;; amdgpu-corpus repo=vllm-project/vllm kind=compiled arch=gfx90a opt=O3
	.text
	.amdgcn_target "amdgcn-amd-amdhsa--gfx90a"
	.amdhsa_code_object_version 6
	.section	.text._Z38paged_attention_ll4mi_QKV_mfma4_kernelIDF16_DF16_LN4vllm18Fp8KVCacheDataTypeE0EDF16_Li16ELi64ELi256ELb1ELi1EEvPKT_PKT0_S7_ifPKiS9_S9_iPKfiiiPfSC_PS2_PT2_iSB_SB_,"axG",@progbits,_Z38paged_attention_ll4mi_QKV_mfma4_kernelIDF16_DF16_LN4vllm18Fp8KVCacheDataTypeE0EDF16_Li16ELi64ELi256ELb1ELi1EEvPKT_PKT0_S7_ifPKiS9_S9_iPKfiiiPfSC_PS2_PT2_iSB_SB_,comdat
	.protected	_Z38paged_attention_ll4mi_QKV_mfma4_kernelIDF16_DF16_LN4vllm18Fp8KVCacheDataTypeE0EDF16_Li16ELi64ELi256ELb1ELi1EEvPKT_PKT0_S7_ifPKiS9_S9_iPKfiiiPfSC_PS2_PT2_iSB_SB_ ; -- Begin function _Z38paged_attention_ll4mi_QKV_mfma4_kernelIDF16_DF16_LN4vllm18Fp8KVCacheDataTypeE0EDF16_Li16ELi64ELi256ELb1ELi1EEvPKT_PKT0_S7_ifPKiS9_S9_iPKfiiiPfSC_PS2_PT2_iSB_SB_
	.globl	_Z38paged_attention_ll4mi_QKV_mfma4_kernelIDF16_DF16_LN4vllm18Fp8KVCacheDataTypeE0EDF16_Li16ELi64ELi256ELb1ELi1EEvPKT_PKT0_S7_ifPKiS9_S9_iPKfiiiPfSC_PS2_PT2_iSB_SB_
	.p2align	8
	.type	_Z38paged_attention_ll4mi_QKV_mfma4_kernelIDF16_DF16_LN4vllm18Fp8KVCacheDataTypeE0EDF16_Li16ELi64ELi256ELb1ELi1EEvPKT_PKT0_S7_ifPKiS9_S9_iPKfiiiPfSC_PS2_PT2_iSB_SB_,@function
_Z38paged_attention_ll4mi_QKV_mfma4_kernelIDF16_DF16_LN4vllm18Fp8KVCacheDataTypeE0EDF16_Li16ELi64ELi256ELb1ELi1EEvPKT_PKT0_S7_ifPKiS9_S9_iPKfiiiPfSC_PS2_PT2_iSB_SB_: ; @_Z38paged_attention_ll4mi_QKV_mfma4_kernelIDF16_DF16_LN4vllm18Fp8KVCacheDataTypeE0EDF16_Li16ELi64ELi256ELb1ELi1EEvPKT_PKT0_S7_ifPKiS9_S9_iPKfiiiPfSC_PS2_PT2_iSB_SB_
; %bb.0:
	s_load_dwordx2 s[2:3], s[4:5], 0x30
	s_mov_b32 s20, s7
	s_mov_b64 s[0:1], 0
	s_waitcnt lgkmcnt(0)
	s_cmp_lg_u64 s[2:3], 0
	s_cselect_b64 s[10:11], -1, 0
	s_and_b64 vcc, exec, s[10:11]
	s_cbranch_vccz .LBB0_10
; %bb.1:
	s_add_i32 s12, s6, 1
	s_mov_b32 s13, 0
	s_lshl_b64 s[14:15], s[12:13], 2
	s_add_u32 s14, s2, s14
	s_mov_b32 s7, s13
	s_addc_u32 s15, s3, s15
	s_lshl_b64 s[12:13], s[6:7], 2
	s_add_u32 s12, s2, s12
	s_addc_u32 s13, s3, s13
	s_load_dword s9, s[14:15], 0x0
	s_load_dword s16, s[12:13], 0x0
	s_waitcnt lgkmcnt(0)
	s_sub_i32 s9, s9, s16
	s_cmp_eq_u32 s9, 1
	s_cselect_b64 s[12:13], -1, 0
	s_andn2_b64 vcc, exec, s[0:1]
	s_cbranch_vccnz .LBB0_3
.LBB0_2:
	s_mov_b32 s7, 0
	s_mov_b64 s[12:13], -1
.LBB0_3:
	s_andn2_b64 vcc, exec, s[12:13]
	s_cbranch_vccnz .LBB0_25
; %bb.4:
	s_load_dword s9, s[4:5], 0x9c
	s_load_dwordx2 s[0:1], s[4:5], 0x28
	s_add_u32 s24, s4, 0x90
	s_addc_u32 s25, s5, 0
	s_lshl_b64 s[16:17], s[6:7], 2
	s_waitcnt lgkmcnt(0)
	s_and_b32 s9, s9, 0xffff
	s_add_u32 s0, s0, s16
	s_addc_u32 s1, s1, s17
	s_load_dword s21, s[0:1], 0x0
	s_mul_i32 s9, s20, s9
	s_waitcnt lgkmcnt(0)
	s_cmp_ge_i32 s9, s21
	s_cbranch_scc1 .LBB0_25
; %bb.5:
	v_and_b32_e32 v2, 0xc0, v0
	v_add_u32_e32 v2, s9, v2
	v_lshrrev_b32_e32 v1, 6, v0
	v_cmp_gt_i32_e64 s[0:1], s21, v2
	v_cmp_le_i32_e32 vcc, s21, v2
                                        ; implicit-def: $sgpr19
                                        ; implicit-def: $sgpr18
	s_and_saveexec_b64 s[12:13], vcc
	s_xor_b64 s[12:13], exec, s[12:13]
	s_cbranch_execz .LBB0_7
; %bb.6:
	v_mul_u32_u24_e32 v2, 20, v1
	v_or_b32_e32 v2, 0xa00, v2
	v_mov_b32_e32 v3, 0xa50
	v_mov_b32_e32 v4, 0xff7fffff
	v_mad_u32_u24 v3, v1, 20, v3
	ds_write2_b32 v2, v4, v4 offset1:1
	v_mov_b32_e32 v2, 0
	ds_write2_b32 v3, v2, v2 offset1:1
	v_mov_b32_e32 v3, 0xa08
	s_mov_b32 s18, 0xff7fffff
	s_mov_b32 s19, 0
	v_mad_u32_u24 v3, v1, 20, v3
	v_mov_b32_e32 v5, 0xa58
	v_mad_u32_u24 v5, v1, 20, v5
	ds_write2_b32 v3, v4, v4 offset1:1
	ds_write2_b32 v5, v2, v2 offset1:1
                                        ; implicit-def: $vgpr2
.LBB0_7:
	s_or_saveexec_b64 s[26:27], s[12:13]
	s_load_dwordx2 s[22:23], s[4:5], 0x68
	s_load_dwordx4 s[12:15], s[4:5], 0x58
	s_load_dword s7, s[24:25], 0x4
	v_and_b32_e32 v54, 63, v0
	v_and_b32_e32 v55, 3, v0
	v_mov_b32_e32 v37, s19
	v_mov_b32_e32 v40, s18
	;; [unrolled: 1-line block ×5, first 2 shown]
                                        ; implicit-def: $vgpr3
                                        ; implicit-def: $vgpr7
                                        ; implicit-def: $vgpr11
                                        ; implicit-def: $vgpr15
                                        ; implicit-def: $vgpr19
                                        ; implicit-def: $vgpr23
                                        ; implicit-def: $vgpr27
                                        ; implicit-def: $vgpr31
	s_xor_b64 exec, exec, s[26:27]
	s_cbranch_execz .LBB0_19
; %bb.8:
	s_add_i32 s29, s21, 15
	s_load_dwordx2 s[18:19], s[4:5], 0x20
	s_load_dword s28, s[4:5], 0x38
	s_ashr_i32 s30, s29, 31
	s_lshr_b32 s30, s30, 28
	v_add_u32_e32 v56, s9, v0
	s_add_i32 s29, s29, s30
	v_ashrrev_i32_e32 v3, 31, v56
	s_ashr_i32 s29, s29, 4
	v_lshrrev_b32_e32 v3, 28, v3
	s_add_i32 s30, s29, -1
	v_add_u32_e32 v3, v56, v3
	s_waitcnt lgkmcnt(0)
	s_mul_i32 s28, s6, s28
	s_mov_b32 s29, 0
	v_ashrrev_i32_e32 v3, 4, v3
	v_mov_b32_e32 v4, s30
	v_cmp_gt_i32_e32 vcc, s21, v56
	s_lshl_b64 s[28:29], s[28:29], 2
	v_cndmask_b32_e32 v4, v4, v3, vcc
	s_add_u32 s18, s18, s28
	v_ashrrev_i32_e32 v5, 31, v4
	s_addc_u32 s19, s19, s29
	v_lshlrev_b64 v[4:5], 2, v[4:5]
	v_mov_b32_e32 v3, s19
	v_add_co_u32_e32 v4, vcc, s18, v4
	v_addc_co_u32_e32 v5, vcc, v3, v5, vcc
	v_ashrrev_i32_e32 v3, 31, v2
	v_lshrrev_b32_e32 v3, 28, v3
	v_add_u32_e32 v2, v2, v3
	v_ashrrev_i32_e32 v10, 4, v2
	v_min_i32_e32 v2, s30, v10
	v_ashrrev_i32_e32 v3, 31, v2
	v_lshlrev_b64 v[2:3], 2, v[2:3]
	v_add_co_u32_e32 v6, vcc, s18, v2
	v_add_u32_e32 v2, 1, v10
	v_mov_b32_e32 v7, s19
	v_min_i32_e32 v2, s30, v2
	v_addc_co_u32_e32 v7, vcc, v7, v3, vcc
	v_ashrrev_i32_e32 v3, 31, v2
	v_lshlrev_b64 v[2:3], 2, v[2:3]
	v_add_co_u32_e32 v8, vcc, s18, v2
	v_add_u32_e32 v2, 2, v10
	v_mov_b32_e32 v9, s19
	v_min_i32_e32 v2, s30, v2
	v_addc_co_u32_e32 v9, vcc, v9, v3, vcc
	;; [unrolled: 7-line block ×3, first 2 shown]
	v_ashrrev_i32_e32 v3, 31, v2
	v_lshlrev_b64 v[2:3], 2, v[2:3]
	v_mov_b32_e32 v10, s19
	v_add_co_u32_e32 v14, vcc, s18, v2
	v_addc_co_u32_e32 v15, vcc, v10, v3, vcc
	global_load_dword v3, v[4:5], off
	global_load_dword v2, v[6:7], off
	;; [unrolled: 1-line block ×5, first 2 shown]
	s_load_dwordx2 s[30:31], s[4:5], 0x8
	s_andn2_b64 vcc, exec, s[10:11]
	s_cbranch_vccnz .LBB0_11
; %bb.9:
	s_add_u32 s2, s2, s16
	s_addc_u32 s3, s3, s17
	s_load_dword s9, s[2:3], 0x0
	s_branch .LBB0_12
.LBB0_10:
	s_mov_b64 s[12:13], 0
	s_branch .LBB0_2
.LBB0_11:
	s_mov_b32 s9, s6
.LBB0_12:
	s_load_dwordx2 s[10:11], s[4:5], 0x10
	s_load_dwordx4 s[16:19], s[4:5], 0x48
	v_cmp_eq_u32_e32 vcc, 0, v55
	s_mov_b32 s29, 0
	v_mov_b32_e32 v59, 0
	v_mov_b32_e32 v26, 0
	;; [unrolled: 1-line block ×5, first 2 shown]
	s_and_saveexec_b64 s[2:3], vcc
	s_cbranch_execz .LBB0_14
; %bb.13:
	s_load_dwordx2 s[34:35], s[4:5], 0x0
	s_waitcnt lgkmcnt(0)
	s_ashr_i32 s19, s16, 31
	s_mul_hi_u32 s28, s9, s16
	s_mul_i32 s19, s9, s19
	s_add_i32 s37, s28, s19
	s_mul_i32 s36, s9, s16
	s_lshl_b64 s[36:37], s[36:37], 1
	s_add_u32 s9, s34, s36
	s_addc_u32 s16, s35, s37
	s_lshl_b32 s28, s8, 6
	s_lshl_b64 s[34:35], s[28:29], 1
	s_add_u32 s34, s9, s34
	s_addc_u32 s35, s16, s35
	v_lshlrev_b32_e32 v4, 2, v54
	global_load_dwordx4 v[26:29], v4, s[34:35]
.LBB0_14:
	s_or_b64 exec, exec, s[2:3]
	s_waitcnt lgkmcnt(0)
	s_mul_i32 s28, s8, s18
	s_waitcnt vmcnt(4)
	v_mad_i64_i32 v[4:5], s[2:3], v3, s17, 0
	s_lshl_b64 s[18:19], s[28:29], 1
	s_add_u32 s2, s18, s30
	v_lshlrev_b64 v[4:5], 1, v[4:5]
	s_addc_u32 s3, s19, s31
	v_mov_b32_e32 v3, s3
	v_add_co_u32_e64 v4, s[2:3], s2, v4
	v_addc_co_u32_e64 v3, s[2:3], v3, v5, s[2:3]
	v_and_b32_e32 v5, 15, v0
	v_lshlrev_b32_e32 v5, 4, v5
	v_add_co_u32_e64 v4, s[2:3], v4, v5
	v_addc_co_u32_e64 v5, s[2:3], 0, v3, s[2:3]
	global_load_dwordx4 v[50:53], v[4:5], off
	global_load_dwordx4 v[46:49], v[4:5], off offset:256
	global_load_dwordx4 v[22:25], v[4:5], off offset:512
	;; [unrolled: 1-line block ×7, first 2 shown]
	v_mov_b32_e32 v60, 0
	s_and_saveexec_b64 s[2:3], vcc
	s_cbranch_execz .LBB0_16
; %bb.15:
	s_load_dwordx2 s[30:31], s[4:5], 0x40
	s_mov_b32 s9, s29
	s_lshl_b64 s[28:29], s[8:9], 2
	v_mov_b32_e32 v59, 1.0
	s_waitcnt lgkmcnt(0)
	s_add_u32 s28, s30, s28
	s_addc_u32 s29, s31, s29
	s_load_dword s9, s[28:29], 0x0
	s_waitcnt lgkmcnt(0)
	v_mov_b32_e32 v60, s9
.LBB0_16:
	s_or_b64 exec, exec, s[2:3]
	s_waitcnt vmcnt(7)
	v_mfma_f32_4x4x4f16 a[0:3], v[26:27], v[50:51], 0 cbsz:4
	s_add_u32 s3, s10, s18
	v_mfma_f32_4x4x4f16 a[0:3], v[28:29], v[52:53], a[0:3] cbsz:4
	v_lshlrev_b32_e32 v3, 5, v54
	s_waitcnt vmcnt(6)
	v_mfma_f32_4x4x4f16 a[0:3], v[26:27], v[46:47], a[0:3] cbsz:4 abid:1
	v_add_co_u32_e32 v61, vcc, s3, v3
	v_mfma_f32_4x4x4f16 a[0:3], v[28:29], v[48:49], a[0:3] cbsz:4 abid:1
	v_mul_hi_i32 v3, v2, s17
	s_waitcnt vmcnt(5)
	v_mfma_f32_4x4x4f16 a[0:3], v[26:27], v[22:23], a[0:3] cbsz:4 abid:2
	v_ashrrev_i32_e32 v3, 31, v3
	v_mfma_f32_4x4x4f16 a[0:3], v[28:29], v[24:25], a[0:3] cbsz:4 abid:2
	s_load_dword s2, s[4:5], 0x1c
	s_waitcnt vmcnt(4)
	v_mfma_f32_4x4x4f16 a[0:3], v[26:27], v[18:19], a[0:3] cbsz:4 abid:3
	s_addc_u32 s4, s11, s19
	v_mfma_f32_4x4x4f16 a[0:3], v[28:29], v[20:21], a[0:3] cbsz:4 abid:3
	v_lshrrev_b32_e32 v62, 29, v3
	s_waitcnt vmcnt(3)
	v_mfma_f32_4x4x4f16 a[0:3], v[26:27], v[42:43], a[0:3] cbsz:4 abid:4
	v_mov_b32_e32 v63, 0
	v_mfma_f32_4x4x4f16 a[0:3], v[28:29], v[44:45], a[0:3] cbsz:4 abid:4
	v_mul_hi_i32 v11, v10, s17
	s_waitcnt vmcnt(2)
	v_mfma_f32_4x4x4f16 a[0:3], v[26:27], v[38:39], a[0:3] cbsz:4 abid:5
	v_mov_b32_e32 v4, s4
	v_mfma_f32_4x4x4f16 a[0:3], v[28:29], v[40:41], a[0:3] cbsz:4 abid:5
	v_mad_i64_i32 v[2:3], s[4:5], v2, s17, v[62:63]
	v_ashrrev_i32_e32 v11, 31, v11
	v_lshlrev_b64 v[2:3], 1, v[2:3]
	v_lshrrev_b32_e32 v62, 29, v11
	v_mul_hi_i32 v50, v58, s17
	s_waitcnt vmcnt(1)
	v_mfma_f32_4x4x4f16 a[0:3], v[26:27], v[34:35], a[0:3] cbsz:4 abid:6
	v_addc_co_u32_e32 v66, vcc, 0, v4, vcc
	v_and_b32_e32 v2, -16, v2
	v_mad_i64_i32 v[10:11], s[4:5], v10, s17, v[62:63]
	v_ashrrev_i32_e32 v50, 31, v50
	v_add_co_u32_e32 v12, vcc, v61, v2
	v_lshlrev_b64 v[10:11], 1, v[10:11]
	v_lshrrev_b32_e32 v62, 29, v50
	v_mul_hi_i32 v42, v57, s17
	v_mfma_f32_4x4x4f16 a[0:3], v[28:29], v[36:37], a[0:3] cbsz:4 abid:6
	v_addc_co_u32_e32 v13, vcc, v66, v3, vcc
	v_and_b32_e32 v10, -16, v10
	v_mad_i64_i32 v[46:47], s[4:5], v58, s17, v[62:63]
	v_ashrrev_i32_e32 v42, 31, v42
	v_add_co_u32_e32 v64, vcc, v61, v10
	v_lshlrev_b64 v[22:23], 1, v[46:47]
	v_lshrrev_b32_e32 v62, 29, v42
	s_waitcnt vmcnt(0)
	v_mfma_f32_4x4x4f16 a[0:3], v[26:27], v[30:31], a[0:3] cbsz:4 abid:7
	v_addc_co_u32_e32 v65, vcc, v66, v11, vcc
	v_and_b32_e32 v22, -16, v22
	v_mad_i64_i32 v[38:39], s[4:5], v57, s17, v[62:63]
	v_add_co_u32_e32 v46, vcc, v61, v22
	v_lshlrev_b64 v[34:35], 1, v[38:39]
	v_mfma_f32_4x4x4f16 a[0:3], v[28:29], v[32:33], a[0:3] cbsz:4 abid:7
	v_addc_co_u32_e32 v47, vcc, v66, v23, vcc
	v_and_b32_e32 v34, -16, v34
	v_add_co_u32_e32 v34, vcc, v61, v34
	s_nop 1
	v_accvgpr_read_b32 v27, a1
	v_addc_co_u32_e32 v35, vcc, v66, v35, vcc
	v_accvgpr_read_b32 v26, a0
	global_load_dwordx4 v[2:5], v[12:13], off
	global_load_dwordx4 v[6:9], v[12:13], off offset:16
	s_nop 0
	global_load_dwordx4 v[10:13], v[64:65], off
	global_load_dwordx4 v[14:17], v[64:65], off offset:16
	global_load_dwordx4 v[18:21], v[46:47], off
	global_load_dwordx4 v[22:25], v[46:47], off offset:16
	s_waitcnt lgkmcnt(0)
	v_pk_mul_f32 v[36:37], s[2:3], v[26:27] op_sel_hi:[0,1]
	global_load_dwordx4 v[26:29], v[34:35], off
	global_load_dwordx4 v[30:33], v[34:35], off offset:16
	v_accvgpr_read_b32 v35, a3
	v_accvgpr_read_b32 v34, a2
	v_pk_mul_f32 v[34:35], s[2:3], v[34:35] op_sel_hi:[0,1]
	v_mfma_f32_4x4x1f32 a[0:3], v36, v59, 0
	v_cmp_eq_u32_e32 vcc, 1, v55
	v_cndmask_b32_e64 v36, 0, 1.0, vcc
	v_cmp_eq_u32_e32 vcc, 2, v55
	v_mov_b32_e32 v41, 0xff7fffff
	v_mfma_f32_4x4x1f32 a[0:3], v37, v36, a[0:3]
	v_cndmask_b32_e64 v36, 0, 1.0, vcc
	v_cmp_eq_u32_e32 vcc, 3, v55
	s_nop 0
	v_mfma_f32_4x4x1f32 a[0:3], v34, v36, a[0:3]
	v_cndmask_b32_e64 v34, 0, 1.0, vcc
	s_nop 1
	v_mfma_f32_4x4x1f32 a[0:3], v35, v34, a[0:3]
	v_and_b32_e32 v34, -4, v56
	v_subrev_u32_e32 v35, s21, v34
	v_add_u32_e32 v36, 1, v35
	v_cvt_f32_i32_e32 v36, v36
	v_add_u32_e32 v37, 2, v35
	v_cvt_f32_i32_e32 v37, v37
	v_accvgpr_read_b32 v38, a0
	v_fma_f32 v36, v60, v36, v38
	v_accvgpr_read_b32 v38, a1
	v_fma_f32 v37, v60, v37, v38
	v_add_u32_e32 v38, 3, v35
	v_cvt_f32_i32_e32 v38, v38
	v_add_u32_e32 v35, 4, v35
	v_max_f32_e32 v40, 0xff7fffff, v36
	v_cmp_gt_i32_e32 vcc, s21, v34
	v_cvt_f32_i32_e32 v35, v35
	v_cndmask_b32_e32 v40, v41, v40, vcc
	v_or_b32_e32 v41, 1, v34
	v_accvgpr_read_b32 v39, a2
	v_max_f32_e32 v42, v40, v37
	v_cmp_gt_i32_e64 s[2:3], s21, v41
	v_fma_f32 v38, v60, v38, v39
	v_cndmask_b32_e64 v40, v40, v42, s[2:3]
	v_or_b32_e32 v34, 2, v34
	v_accvgpr_read_b32 v39, a3
	v_max_f32_e32 v41, v40, v38
	v_cmp_gt_i32_e64 s[4:5], s21, v34
	v_fmac_f32_e32 v39, v60, v35
	v_cndmask_b32_e64 v34, v40, v41, s[4:5]
	v_or_b32_e32 v40, 3, v56
	v_max_f32_e32 v41, v34, v39
	v_cmp_gt_i32_e64 s[10:11], s21, v40
	v_lshlrev_b32_e32 v35, 2, v0
	v_cndmask_b32_e64 v34, v34, v41, s[10:11]
	v_and_or_b32 v35, v35, 48, v55
	;;#ASMSTART
	v_nop
 v_nop
 v_max_f32_dpp v34, v34, v34 row_ror:4
	;;#ASMEND
	v_lshlrev_b32_e32 v41, 2, v35
	;;#ASMSTART
	v_nop
 v_nop
 v_max_f32_dpp v34, v34, v34 row_ror:8
	;;#ASMEND
	ds_bpermute_b32 v34, v41, v34
	s_waitcnt lgkmcnt(0)
	;;#ASMSTART
	v_nop
 v_nop
 v_max_f32_dpp v34, v34, v34 row_ror:4
	;;#ASMEND
	;;#ASMSTART
	v_nop
 v_nop
 v_max_f32_dpp v40, v34, v34 row_ror:8
	;;#ASMEND
	v_sub_f32_e32 v34, v36, v40
	v_mul_f32_e32 v34, 0x3fb8aa3b, v34
	v_sub_f32_e32 v35, v37, v40
	v_exp_f32_e32 v34, v34
	v_mul_f32_e32 v35, 0x3fb8aa3b, v35
	v_sub_f32_e32 v37, v38, v40
	v_exp_f32_e32 v35, v35
	;; [unrolled: 3-line block ×3, first 2 shown]
	v_mul_f32_e32 v38, 0x3fb8aa3b, v38
	v_exp_f32_e32 v38, v38
	v_cndmask_b32_e32 v34, 0, v34, vcc
	v_add_f32_e32 v36, 0, v34
	v_cndmask_b32_e64 v35, 0, v35, s[2:3]
	v_add_f32_e32 v39, v36, v35
	v_cndmask_b32_e64 v36, 0, v37, s[4:5]
	;; [unrolled: 2-line block ×3, first 2 shown]
	v_add_f32_e32 v38, v39, v37
	;;#ASMSTART
	v_nop
 v_nop
 v_add_f32_dpp v38, v38, v38 row_ror:4
	;;#ASMEND
	;;#ASMSTART
	v_nop
 v_nop
 v_add_f32_dpp v38, v38, v38 row_ror:8
	;;#ASMEND
	ds_bpermute_b32 v38, v41, v38
	s_waitcnt lgkmcnt(0)
	;;#ASMSTART
	v_nop
 v_nop
 v_add_f32_dpp v38, v38, v38 row_ror:4
	;;#ASMEND
	v_cmp_gt_u32_e32 vcc, 4, v54
	;;#ASMSTART
	v_nop
 v_nop
 v_add_f32_dpp v38, v38, v38 row_ror:8
	;;#ASMEND
	s_and_saveexec_b64 s[2:3], vcc
	s_cbranch_execz .LBB0_18
; %bb.17:
	v_mul_u32_u24_e32 v39, 20, v1
	v_lshl_add_u32 v39, v55, 2, v39
	v_add_u32_e32 v39, 0x800, v39
	ds_write2_b32 v39, v40, v38 offset0:128 offset1:148
.LBB0_18:
	s_or_b64 exec, exec, s[2:3]
.LBB0_19:
	s_or_b64 exec, exec, s[26:27]
	s_waitcnt lgkmcnt(0)
	s_barrier
	s_load_dword s2, s[24:25], 0x8
	v_lshlrev_b32_e32 v38, 2, v55
	v_add_u32_e32 v46, 0x800, v38
	ds_read2_b32 v[38:39], v46 offset0:128 offset1:133
	ds_read2_b32 v[42:43], v46 offset0:138 offset1:143
	s_mul_i32 s3, s7, s6
	s_waitcnt lgkmcnt(0)
	s_mul_i32 s2, s3, s2
	s_mov_b32 s3, 0xff7fffff
	v_max3_f32 v41, v38, s3, v39
	v_max3_f32 v41, v41, v42, v43
	v_sub_f32_e32 v38, v38, v41
	ds_read2_b32 v[44:45], v46 offset0:148 offset1:153
	v_mul_f32_e32 v38, 0x3fb8aa3b, v38
	v_sub_f32_e32 v39, v39, v41
	v_sub_f32_e32 v42, v42, v41
	v_exp_f32_e32 v48, v38
	v_mul_f32_e32 v39, 0x3fb8aa3b, v39
	v_mul_f32_e32 v42, 0x3fb8aa3b, v42
	v_exp_f32_e32 v39, v39
	ds_read2_b32 v[46:47], v46 offset0:158 offset1:163
	v_exp_f32_e32 v49, v42
	v_sub_f32_e32 v42, v43, v41
	v_mul_f32_e32 v42, 0x3fb8aa3b, v42
	v_exp_f32_e32 v43, v42
	s_waitcnt lgkmcnt(1)
	v_fma_f32 v42, v48, v44, 0
	v_fmac_f32_e32 v42, v39, v45
	s_waitcnt lgkmcnt(0)
	v_fmac_f32_e32 v42, v49, v46
	v_mov_b32_e32 v38, 0
	v_fmac_f32_e32 v42, v43, v47
	s_mov_b32 s3, 0
	v_cmp_eq_u32_e32 vcc, 0, v55
	s_and_saveexec_b64 s[4:5], vcc
	s_cbranch_execz .LBB0_21
; %bb.20:
	s_lshl_b64 s[10:11], s[2:3], 2
	s_add_u32 s6, s12, s10
	s_mov_b32 s21, s3
	s_addc_u32 s9, s13, s11
	s_lshl_b64 s[12:13], s[20:21], 2
	s_add_u32 s6, s6, s12
	s_addc_u32 s9, s9, s13
	s_add_u32 s10, s14, s10
	s_addc_u32 s11, s15, s11
	;; [unrolled: 2-line block ×3, first 2 shown]
	s_mul_i32 s10, s7, s8
	s_mov_b32 s11, s3
	s_lshl_b64 s[10:11], s[10:11], 2
	s_add_u32 s12, s6, s10
	s_addc_u32 s13, s9, s11
	s_add_u32 s10, s14, s10
	s_addc_u32 s11, s15, s11
	global_store_dword v38, v41, s[10:11]
	global_store_dword v38, v42, s[12:13]
.LBB0_21:
	s_or_b64 exec, exec, s[4:5]
	v_mov_b32_e32 v39, 0
	s_and_saveexec_b64 s[4:5], s[0:1]
	s_cbranch_execz .LBB0_23
; %bb.22:
	v_add_f32_e32 v38, 0x358637bd, v42
	v_div_scale_f32 v39, s[0:1], v38, v38, 1.0
	v_rcp_f32_e32 v42, v39
	v_div_scale_f32 v43, vcc, 1.0, v38, 1.0
	v_sub_f32_e32 v40, v40, v41
	v_fma_f32 v44, -v39, v42, 1.0
	v_fmac_f32_e32 v42, v44, v42
	v_mul_f32_e32 v44, v43, v42
	v_fma_f32 v45, -v39, v44, v43
	v_mul_f32_e32 v40, 0x3fb8aa3b, v40
	v_fmac_f32_e32 v44, v45, v42
	v_exp_f32_e32 v40, v40
	v_fma_f32 v39, -v39, v44, v43
	v_div_fmas_f32 v39, v39, v42, v44
	v_div_fixup_f32 v38, v39, v38, 1.0
	v_mul_f32_e32 v38, v40, v38
	v_pk_mul_f32 v[36:37], v[36:37], v[38:39] op_sel_hi:[1,0]
	v_pk_mul_f32 v[34:35], v[34:35], v[38:39] op_sel_hi:[1,0]
	v_cvt_f16_f32_e32 v34, v34
	v_cvt_f16_f32_e32 v35, v35
	;; [unrolled: 1-line block ×4, first 2 shown]
	s_mov_b32 s0, 0x5040100
	v_pack_b32_f16 v34, v34, v35
	v_pack_b32_f16 v35, v36, v37
	s_waitcnt vmcnt(7)
	s_nop 0
	v_mfma_f32_4x4x4f16 a[0:3], v[34:35], v[2:3], 0 cbsz:4
	v_mfma_f32_4x4x4f16 a[0:3], v[34:35], v[4:5], a[0:3] cbsz:4 abid:1
	s_waitcnt vmcnt(6)
	v_mfma_f32_4x4x4f16 a[0:3], v[34:35], v[6:7], a[0:3] cbsz:4 abid:2
	v_mfma_f32_4x4x4f16 a[0:3], v[34:35], v[8:9], a[0:3] cbsz:4 abid:3
	s_waitcnt vmcnt(5)
	v_mfma_f32_4x4x4f16 a[0:3], v[34:35], v[10:11], a[0:3] cbsz:4 abid:4
	;; [unrolled: 3-line block ×7, first 2 shown]
	v_mfma_f32_4x4x4f16 a[0:3], v[34:35], v[32:33], a[0:3] cbsz:4 abid:15
	s_nop 4
	v_accvgpr_read_b32 v2, a0
	v_accvgpr_read_b32 v3, a1
	;; [unrolled: 1-line block ×4, first 2 shown]
	v_cvt_f16_f32_e32 v2, v2
	v_cvt_f16_f32_e32 v3, v3
	;; [unrolled: 1-line block ×4, first 2 shown]
	v_perm_b32 v38, v3, v2, s0
	v_perm_b32 v39, v5, v4, s0
.LBB0_23:
	s_or_b64 exec, exec, s[4:5]
	v_lshlrev_b32_e32 v1, 3, v1
	v_mad_u32_u24 v1, v54, 40, v1
	v_cmp_gt_u32_e32 vcc, 64, v0
	ds_write_b64 v1, v[38:39]
	s_waitcnt lgkmcnt(0)
	s_barrier
	s_and_saveexec_b64 s[0:1], vcc
	s_cbranch_execz .LBB0_25
; %bb.24:
	s_lshl_b32 s0, s2, 6
	s_mov_b32 s1, 0
	s_lshl_b64 s[2:3], s[0:1], 1
	s_add_u32 s2, s22, s2
	s_addc_u32 s3, s23, s3
	s_lshl_b32 s0, s20, 6
	s_lshl_b64 s[0:1], s[0:1], 1
	s_add_u32 s0, s2, s0
	s_mul_i32 s2, s8, s7
	v_lshl_or_b32 v0, s2, 6, v0
	v_mov_b32_e32 v1, 0
	s_waitcnt vmcnt(7)
	v_mul_u32_u24_e32 v4, 40, v54
	s_waitcnt vmcnt(6)
	v_lshlrev_b64 v[8:9], 1, v[0:1]
	ds_read2_b64 v[0:3], v4 offset1:1
	ds_read2_b64 v[4:7], v4 offset0:2 offset1:3
	s_addc_u32 s1, s3, s1
	s_waitcnt vmcnt(5)
	v_mov_b32_e32 v10, s1
	v_add_co_u32_e32 v8, vcc, s0, v8
	s_waitcnt lgkmcnt(1)
	v_pk_add_f16 v0, v0, 0
	v_pk_add_f16 v0, v0, v2
	s_waitcnt lgkmcnt(0)
	v_pk_add_f16 v0, v0, v4
	v_addc_co_u32_e32 v9, vcc, v10, v9, vcc
	v_pk_add_f16 v0, v0, v6
	global_store_short v[8:9], v0, off
.LBB0_25:
	s_endpgm
	.section	.rodata,"a",@progbits
	.p2align	6, 0x0
	.amdhsa_kernel _Z38paged_attention_ll4mi_QKV_mfma4_kernelIDF16_DF16_LN4vllm18Fp8KVCacheDataTypeE0EDF16_Li16ELi64ELi256ELb1ELi1EEvPKT_PKT0_S7_ifPKiS9_S9_iPKfiiiPfSC_PS2_PT2_iSB_SB_
		.amdhsa_group_segment_fixed_size 2720
		.amdhsa_private_segment_fixed_size 0
		.amdhsa_kernarg_size 400
		.amdhsa_user_sgpr_count 6
		.amdhsa_user_sgpr_private_segment_buffer 1
		.amdhsa_user_sgpr_dispatch_ptr 0
		.amdhsa_user_sgpr_queue_ptr 0
		.amdhsa_user_sgpr_kernarg_segment_ptr 1
		.amdhsa_user_sgpr_dispatch_id 0
		.amdhsa_user_sgpr_flat_scratch_init 0
		.amdhsa_user_sgpr_kernarg_preload_length 0
		.amdhsa_user_sgpr_kernarg_preload_offset 0
		.amdhsa_user_sgpr_private_segment_size 0
		.amdhsa_uses_dynamic_stack 0
		.amdhsa_system_sgpr_private_segment_wavefront_offset 0
		.amdhsa_system_sgpr_workgroup_id_x 1
		.amdhsa_system_sgpr_workgroup_id_y 1
		.amdhsa_system_sgpr_workgroup_id_z 1
		.amdhsa_system_sgpr_workgroup_info 0
		.amdhsa_system_vgpr_workitem_id 0
		.amdhsa_next_free_vgpr 72
		.amdhsa_next_free_sgpr 38
		.amdhsa_accum_offset 68
		.amdhsa_reserve_vcc 1
		.amdhsa_reserve_flat_scratch 0
		.amdhsa_float_round_mode_32 0
		.amdhsa_float_round_mode_16_64 0
		.amdhsa_float_denorm_mode_32 3
		.amdhsa_float_denorm_mode_16_64 3
		.amdhsa_dx10_clamp 1
		.amdhsa_ieee_mode 1
		.amdhsa_fp16_overflow 0
		.amdhsa_tg_split 0
		.amdhsa_exception_fp_ieee_invalid_op 0
		.amdhsa_exception_fp_denorm_src 0
		.amdhsa_exception_fp_ieee_div_zero 0
		.amdhsa_exception_fp_ieee_overflow 0
		.amdhsa_exception_fp_ieee_underflow 0
		.amdhsa_exception_fp_ieee_inexact 0
		.amdhsa_exception_int_div_zero 0
	.end_amdhsa_kernel
	.section	.text._Z38paged_attention_ll4mi_QKV_mfma4_kernelIDF16_DF16_LN4vllm18Fp8KVCacheDataTypeE0EDF16_Li16ELi64ELi256ELb1ELi1EEvPKT_PKT0_S7_ifPKiS9_S9_iPKfiiiPfSC_PS2_PT2_iSB_SB_,"axG",@progbits,_Z38paged_attention_ll4mi_QKV_mfma4_kernelIDF16_DF16_LN4vllm18Fp8KVCacheDataTypeE0EDF16_Li16ELi64ELi256ELb1ELi1EEvPKT_PKT0_S7_ifPKiS9_S9_iPKfiiiPfSC_PS2_PT2_iSB_SB_,comdat
.Lfunc_end0:
	.size	_Z38paged_attention_ll4mi_QKV_mfma4_kernelIDF16_DF16_LN4vllm18Fp8KVCacheDataTypeE0EDF16_Li16ELi64ELi256ELb1ELi1EEvPKT_PKT0_S7_ifPKiS9_S9_iPKfiiiPfSC_PS2_PT2_iSB_SB_, .Lfunc_end0-_Z38paged_attention_ll4mi_QKV_mfma4_kernelIDF16_DF16_LN4vllm18Fp8KVCacheDataTypeE0EDF16_Li16ELi64ELi256ELb1ELi1EEvPKT_PKT0_S7_ifPKiS9_S9_iPKfiiiPfSC_PS2_PT2_iSB_SB_
                                        ; -- End function
	.section	.AMDGPU.csdata,"",@progbits
; Kernel info:
; codeLenInByte = 3168
; NumSgprs: 42
; NumVgprs: 67
; NumAgprs: 4
; TotalNumVgprs: 72
; ScratchSize: 0
; MemoryBound: 0
; FloatMode: 240
; IeeeMode: 1
; LDSByteSize: 2720 bytes/workgroup (compile time only)
; SGPRBlocks: 5
; VGPRBlocks: 8
; NumSGPRsForWavesPerEU: 42
; NumVGPRsForWavesPerEU: 72
; AccumOffset: 68
; Occupancy: 7
; WaveLimiterHint : 1
; COMPUTE_PGM_RSRC2:SCRATCH_EN: 0
; COMPUTE_PGM_RSRC2:USER_SGPR: 6
; COMPUTE_PGM_RSRC2:TRAP_HANDLER: 0
; COMPUTE_PGM_RSRC2:TGID_X_EN: 1
; COMPUTE_PGM_RSRC2:TGID_Y_EN: 1
; COMPUTE_PGM_RSRC2:TGID_Z_EN: 1
; COMPUTE_PGM_RSRC2:TIDIG_COMP_CNT: 0
; COMPUTE_PGM_RSRC3_GFX90A:ACCUM_OFFSET: 16
; COMPUTE_PGM_RSRC3_GFX90A:TG_SPLIT: 0
	.section	.text._Z38paged_attention_ll4mi_QKV_mfma4_kernelIDF16_DF16_LN4vllm18Fp8KVCacheDataTypeE0EDF16_Li16ELi64ELi256ELb1ELi2EEvPKT_PKT0_S7_ifPKiS9_S9_iPKfiiiPfSC_PS2_PT2_iSB_SB_,"axG",@progbits,_Z38paged_attention_ll4mi_QKV_mfma4_kernelIDF16_DF16_LN4vllm18Fp8KVCacheDataTypeE0EDF16_Li16ELi64ELi256ELb1ELi2EEvPKT_PKT0_S7_ifPKiS9_S9_iPKfiiiPfSC_PS2_PT2_iSB_SB_,comdat
	.protected	_Z38paged_attention_ll4mi_QKV_mfma4_kernelIDF16_DF16_LN4vllm18Fp8KVCacheDataTypeE0EDF16_Li16ELi64ELi256ELb1ELi2EEvPKT_PKT0_S7_ifPKiS9_S9_iPKfiiiPfSC_PS2_PT2_iSB_SB_ ; -- Begin function _Z38paged_attention_ll4mi_QKV_mfma4_kernelIDF16_DF16_LN4vllm18Fp8KVCacheDataTypeE0EDF16_Li16ELi64ELi256ELb1ELi2EEvPKT_PKT0_S7_ifPKiS9_S9_iPKfiiiPfSC_PS2_PT2_iSB_SB_
	.globl	_Z38paged_attention_ll4mi_QKV_mfma4_kernelIDF16_DF16_LN4vllm18Fp8KVCacheDataTypeE0EDF16_Li16ELi64ELi256ELb1ELi2EEvPKT_PKT0_S7_ifPKiS9_S9_iPKfiiiPfSC_PS2_PT2_iSB_SB_
	.p2align	8
	.type	_Z38paged_attention_ll4mi_QKV_mfma4_kernelIDF16_DF16_LN4vllm18Fp8KVCacheDataTypeE0EDF16_Li16ELi64ELi256ELb1ELi2EEvPKT_PKT0_S7_ifPKiS9_S9_iPKfiiiPfSC_PS2_PT2_iSB_SB_,@function
_Z38paged_attention_ll4mi_QKV_mfma4_kernelIDF16_DF16_LN4vllm18Fp8KVCacheDataTypeE0EDF16_Li16ELi64ELi256ELb1ELi2EEvPKT_PKT0_S7_ifPKiS9_S9_iPKfiiiPfSC_PS2_PT2_iSB_SB_: ; @_Z38paged_attention_ll4mi_QKV_mfma4_kernelIDF16_DF16_LN4vllm18Fp8KVCacheDataTypeE0EDF16_Li16ELi64ELi256ELb1ELi2EEvPKT_PKT0_S7_ifPKiS9_S9_iPKfiiiPfSC_PS2_PT2_iSB_SB_
; %bb.0:
	s_load_dwordx2 s[2:3], s[4:5], 0x30
	s_mov_b32 s10, s7
	s_mov_b64 s[0:1], 0
	s_waitcnt lgkmcnt(0)
	s_cmp_lg_u64 s[2:3], 0
	s_cselect_b64 s[16:17], -1, 0
	s_and_b64 vcc, exec, s[16:17]
	s_cbranch_vccz .LBB1_10
; %bb.1:
	s_add_i32 s12, s6, 1
	s_mov_b32 s13, 0
	s_lshl_b64 s[14:15], s[12:13], 2
	s_add_u32 s14, s2, s14
	s_mov_b32 s7, s13
	s_addc_u32 s15, s3, s15
	s_lshl_b64 s[12:13], s[6:7], 2
	s_add_u32 s12, s2, s12
	s_addc_u32 s13, s3, s13
	s_load_dword s9, s[14:15], 0x0
	s_load_dword s11, s[12:13], 0x0
	s_waitcnt lgkmcnt(0)
	s_sub_i32 s9, s9, s11
	s_cmp_eq_u32 s9, 1
	s_cselect_b64 s[12:13], -1, 0
	s_andn2_b64 vcc, exec, s[0:1]
	s_cbranch_vccnz .LBB1_3
.LBB1_2:
	s_mov_b32 s7, 0
	s_mov_b64 s[12:13], -1
.LBB1_3:
	s_andn2_b64 vcc, exec, s[12:13]
	s_cbranch_vccnz .LBB1_25
; %bb.4:
	s_load_dword s9, s[4:5], 0x9c
	s_load_dwordx2 s[0:1], s[4:5], 0x28
	s_add_u32 s22, s4, 0x90
	s_addc_u32 s23, s5, 0
	s_lshl_b64 s[18:19], s[6:7], 2
	s_waitcnt lgkmcnt(0)
	s_and_b32 s9, s9, 0xffff
	s_add_u32 s0, s0, s18
	s_addc_u32 s1, s1, s19
	s_load_dword s11, s[0:1], 0x0
	s_mul_i32 s9, s10, s9
	s_waitcnt lgkmcnt(0)
	s_cmp_ge_i32 s9, s11
	s_cbranch_scc1 .LBB1_25
; %bb.5:
	v_and_b32_e32 v2, 0xc0, v0
	v_add_u32_e32 v2, s9, v2
	v_lshrrev_b32_e32 v1, 6, v0
	v_cmp_gt_i32_e64 s[0:1], s11, v2
	v_cmp_le_i32_e32 vcc, s11, v2
                                        ; implicit-def: $sgpr27
                                        ; implicit-def: $sgpr26
	s_and_saveexec_b64 s[12:13], vcc
	s_xor_b64 s[12:13], exec, s[12:13]
	s_cbranch_execz .LBB1_7
; %bb.6:
	v_mul_u32_u24_e32 v2, 20, v1
	v_or_b32_e32 v2, 0xa00, v2
	v_mov_b32_e32 v3, 0xa50
	v_mov_b32_e32 v4, 0xff7fffff
	v_mad_u32_u24 v3, v1, 20, v3
	ds_write2_b32 v2, v4, v4 offset1:1
	v_mov_b32_e32 v2, 0
	ds_write2_b32 v3, v2, v2 offset1:1
	v_mov_b32_e32 v3, 0xa08
	s_mov_b32 s26, 0xff7fffff
	s_mov_b32 s27, 0
	v_mad_u32_u24 v3, v1, 20, v3
	v_mov_b32_e32 v5, 0xa58
	v_mad_u32_u24 v5, v1, 20, v5
	ds_write2_b32 v3, v4, v4 offset1:1
	ds_write2_b32 v5, v2, v2 offset1:1
                                        ; implicit-def: $vgpr2
.LBB1_7:
	s_or_saveexec_b64 s[24:25], s[12:13]
	s_load_dwordx2 s[20:21], s[4:5], 0x68
	s_load_dwordx4 s[12:15], s[4:5], 0x58
	s_load_dword s7, s[22:23], 0x4
	v_and_b32_e32 v56, 63, v0
	v_and_b32_e32 v57, 3, v0
	s_lshl_b32 s33, s8, 1
	v_mov_b32_e32 v37, s27
	v_mov_b32_e32 v40, s26
	;; [unrolled: 1-line block ×5, first 2 shown]
                                        ; implicit-def: $vgpr3
                                        ; implicit-def: $vgpr7
                                        ; implicit-def: $vgpr11
                                        ; implicit-def: $vgpr15
                                        ; implicit-def: $vgpr19
                                        ; implicit-def: $vgpr23
                                        ; implicit-def: $vgpr27
                                        ; implicit-def: $vgpr31
	s_xor_b64 exec, exec, s[24:25]
	s_cbranch_execz .LBB1_19
; %bb.8:
	s_add_i32 s29, s11, 15
	s_load_dwordx2 s[26:27], s[4:5], 0x20
	s_load_dword s28, s[4:5], 0x38
	s_ashr_i32 s30, s29, 31
	s_lshr_b32 s30, s30, 28
	v_add_u32_e32 v58, s9, v0
	s_add_i32 s29, s29, s30
	v_ashrrev_i32_e32 v3, 31, v58
	s_ashr_i32 s29, s29, 4
	v_lshrrev_b32_e32 v3, 28, v3
	s_add_i32 s30, s29, -1
	v_add_u32_e32 v3, v58, v3
	s_waitcnt lgkmcnt(0)
	s_mul_i32 s28, s6, s28
	s_mov_b32 s29, 0
	v_ashrrev_i32_e32 v3, 4, v3
	v_mov_b32_e32 v4, s30
	v_cmp_gt_i32_e32 vcc, s11, v58
	s_lshl_b64 s[28:29], s[28:29], 2
	v_cndmask_b32_e32 v4, v4, v3, vcc
	s_add_u32 s26, s26, s28
	v_ashrrev_i32_e32 v5, 31, v4
	s_addc_u32 s27, s27, s29
	v_lshlrev_b64 v[4:5], 2, v[4:5]
	v_mov_b32_e32 v3, s27
	v_add_co_u32_e32 v4, vcc, s26, v4
	v_addc_co_u32_e32 v5, vcc, v3, v5, vcc
	v_ashrrev_i32_e32 v3, 31, v2
	v_lshrrev_b32_e32 v3, 28, v3
	v_add_u32_e32 v2, v2, v3
	v_ashrrev_i32_e32 v10, 4, v2
	v_min_i32_e32 v2, s30, v10
	v_ashrrev_i32_e32 v3, 31, v2
	v_lshlrev_b64 v[2:3], 2, v[2:3]
	v_add_co_u32_e32 v6, vcc, s26, v2
	v_add_u32_e32 v2, 1, v10
	v_mov_b32_e32 v7, s27
	v_min_i32_e32 v2, s30, v2
	v_addc_co_u32_e32 v7, vcc, v7, v3, vcc
	v_ashrrev_i32_e32 v3, 31, v2
	v_lshlrev_b64 v[2:3], 2, v[2:3]
	v_add_co_u32_e32 v8, vcc, s26, v2
	v_add_u32_e32 v2, 2, v10
	v_mov_b32_e32 v9, s27
	v_min_i32_e32 v2, s30, v2
	v_addc_co_u32_e32 v9, vcc, v9, v3, vcc
	;; [unrolled: 7-line block ×3, first 2 shown]
	v_ashrrev_i32_e32 v3, 31, v2
	v_lshlrev_b64 v[2:3], 2, v[2:3]
	v_mov_b32_e32 v10, s27
	v_add_co_u32_e32 v14, vcc, s26, v2
	v_addc_co_u32_e32 v15, vcc, v10, v3, vcc
	global_load_dword v3, v[4:5], off
	global_load_dword v2, v[6:7], off
	;; [unrolled: 1-line block ×5, first 2 shown]
	s_load_dwordx2 s[28:29], s[4:5], 0x8
	s_andn2_b64 vcc, exec, s[16:17]
	s_cbranch_vccnz .LBB1_11
; %bb.9:
	s_add_u32 s2, s2, s18
	s_addc_u32 s3, s3, s19
	s_load_dword s2, s[2:3], 0x0
	s_branch .LBB1_12
.LBB1_10:
	s_mov_b64 s[12:13], 0
	s_branch .LBB1_2
.LBB1_11:
	s_mov_b32 s2, s6
.LBB1_12:
	s_load_dwordx2 s[26:27], s[4:5], 0x10
	s_load_dwordx4 s[16:19], s[4:5], 0x48
	v_cmp_gt_u32_e32 vcc, 2, v57
	s_mov_b32 s3, 0
	v_mov_b32_e32 v59, 0
	v_mov_b32_e32 v32, 0
	;; [unrolled: 1-line block ×5, first 2 shown]
	s_and_saveexec_b64 s[30:31], vcc
	s_cbranch_execz .LBB1_14
; %bb.13:
	s_load_dwordx2 s[34:35], s[4:5], 0x0
	s_waitcnt lgkmcnt(0)
	s_ashr_i32 s9, s16, 31
	s_mul_hi_u32 s19, s2, s16
	s_mul_i32 s9, s2, s9
	s_add_i32 s37, s19, s9
	s_mul_i32 s36, s2, s16
	s_lshl_b64 s[36:37], s[36:37], 1
	s_add_u32 s9, s34, s36
	s_addc_u32 s16, s35, s37
	s_lshl_b32 s2, s8, 7
	s_lshl_b64 s[34:35], s[2:3], 1
	s_add_u32 s34, s9, s34
	v_lshlrev_b32_e32 v4, 3, v57
	v_lshrrev_b32_e32 v5, 2, v56
	s_addc_u32 s35, s16, s35
	v_add_lshl_u32 v4, v4, v5, 4
	global_load_dwordx4 v[32:35], v4, s[34:35]
.LBB1_14:
	s_or_b64 exec, exec, s[30:31]
	s_waitcnt lgkmcnt(0)
	s_mul_i32 s2, s8, s18
	s_lshl_b64 s[8:9], s[2:3], 1
	s_waitcnt vmcnt(4)
	v_mad_i64_i32 v[4:5], s[30:31], v3, s17, 0
	s_add_u32 s2, s8, s28
	v_lshlrev_b64 v[4:5], 1, v[4:5]
	s_addc_u32 s3, s9, s29
	v_mov_b32_e32 v3, s3
	v_add_co_u32_e64 v4, s[2:3], s2, v4
	v_addc_co_u32_e64 v3, s[2:3], v3, v5, s[2:3]
	v_and_b32_e32 v5, 15, v0
	v_lshlrev_b32_e32 v5, 4, v5
	v_add_co_u32_e64 v4, s[2:3], v4, v5
	v_addc_co_u32_e64 v5, s[2:3], 0, v3, s[2:3]
	global_load_dwordx4 v[52:55], v[4:5], off
	global_load_dwordx4 v[22:25], v[4:5], off offset:256
	global_load_dwordx4 v[18:21], v[4:5], off offset:512
	;; [unrolled: 1-line block ×7, first 2 shown]
	s_and_saveexec_b64 s[2:3], vcc
	s_cbranch_execz .LBB1_16
; %bb.15:
	s_load_dwordx2 s[18:19], s[4:5], 0x40
	v_or_b32_e32 v4, s33, v57
	v_mov_b32_e32 v5, 0
	v_lshlrev_b64 v[4:5], 2, v[4:5]
	s_waitcnt lgkmcnt(0)
	v_mov_b32_e32 v3, s19
	v_add_co_u32_e32 v4, vcc, s18, v4
	v_addc_co_u32_e32 v5, vcc, v3, v5, vcc
	global_load_dword v59, v[4:5], off
.LBB1_16:
	s_or_b64 exec, exec, s[2:3]
	s_waitcnt vmcnt(7)
	v_mfma_f32_4x4x4f16 a[0:3], v[32:33], v[52:53], 0 cbsz:4
	s_add_u32 s3, s26, s8
	v_mfma_f32_4x4x4f16 a[0:3], v[34:35], v[54:55], a[0:3] cbsz:4
	v_lshlrev_b32_e32 v3, 5, v56
	s_waitcnt vmcnt(6)
	v_mfma_f32_4x4x4f16 a[0:3], v[32:33], v[22:23], a[0:3] cbsz:4 abid:1
	v_add_co_u32_e32 v64, vcc, s3, v3
	v_mfma_f32_4x4x4f16 a[0:3], v[34:35], v[24:25], a[0:3] cbsz:4 abid:1
	v_mul_hi_i32 v3, v2, s17
	s_waitcnt vmcnt(5)
	v_mfma_f32_4x4x4f16 a[0:3], v[32:33], v[18:19], a[0:3] cbsz:4 abid:2
	v_ashrrev_i32_e32 v3, 31, v3
	v_mfma_f32_4x4x4f16 a[0:3], v[34:35], v[20:21], a[0:3] cbsz:4 abid:2
	v_mul_hi_i32 v11, v10, s17
	s_waitcnt vmcnt(4)
	v_mfma_f32_4x4x4f16 a[0:3], v[32:33], v[48:49], a[0:3] cbsz:4 abid:3
	s_load_dword s2, s[4:5], 0x1c
	v_mfma_f32_4x4x4f16 a[0:3], v[34:35], v[50:51], a[0:3] cbsz:4 abid:3
	s_addc_u32 s4, s27, s9
	v_lshrrev_b32_e32 v60, 29, v3
	v_mov_b32_e32 v61, 0
	v_ashrrev_i32_e32 v11, 31, v11
	v_mov_b32_e32 v4, s4
	v_mad_i64_i32 v[2:3], s[4:5], v2, s17, v[60:61]
	v_lshrrev_b32_e32 v60, 29, v11
	s_waitcnt vmcnt(3)
	v_mfma_f32_4x4x4f16 a[0:3], v[32:33], v[44:45], a[0:3] cbsz:4 abid:4
	v_mad_i64_i32 v[10:11], s[4:5], v10, s17, v[60:61]
	v_mul_hi_i32 v60, v31, s17
	v_lshlrev_b64 v[2:3], 1, v[2:3]
	v_ashrrev_i32_e32 v52, 31, v60
	v_mfma_f32_4x4x4f16 a[0:3], v[34:35], v[46:47], a[0:3] cbsz:4 abid:4
	v_addc_co_u32_e32 v65, vcc, 0, v4, vcc
	v_and_b32_e32 v2, -16, v2
	v_lshrrev_b32_e32 v60, 29, v52
	v_add_co_u32_e32 v12, vcc, v64, v2
	v_lshlrev_b64 v[10:11], 1, v[10:11]
	v_mad_i64_i32 v[22:23], s[4:5], v31, s17, v[60:61]
	v_mul_hi_i32 v31, v30, s17
	s_waitcnt vmcnt(2)
	v_mfma_f32_4x4x4f16 a[0:3], v[32:33], v[40:41], a[0:3] cbsz:4 abid:5
	v_addc_co_u32_e32 v13, vcc, v65, v3, vcc
	v_and_b32_e32 v10, -16, v10
	v_ashrrev_i32_e32 v31, 31, v31
	v_add_co_u32_e32 v62, vcc, v64, v10
	v_lshlrev_b64 v[22:23], 1, v[22:23]
	v_lshrrev_b32_e32 v60, 29, v31
	v_mfma_f32_4x4x4f16 a[0:3], v[34:35], v[42:43], a[0:3] cbsz:4 abid:5
	v_addc_co_u32_e32 v63, vcc, v65, v11, vcc
	v_and_b32_e32 v18, -16, v22
	v_mad_i64_i32 v[30:31], s[4:5], v30, s17, v[60:61]
	v_add_co_u32_e32 v52, vcc, v64, v18
	v_lshlrev_b64 v[30:31], 1, v[30:31]
	s_waitcnt vmcnt(1)
	v_mfma_f32_4x4x4f16 a[0:3], v[32:33], v[26:27], a[0:3] cbsz:4 abid:6
	v_addc_co_u32_e32 v53, vcc, v65, v23, vcc
	v_and_b32_e32 v26, -16, v30
	v_mfma_f32_4x4x4f16 a[0:3], v[34:35], v[28:29], a[0:3] cbsz:4 abid:6
	v_add_co_u32_e32 v40, vcc, v64, v26
	v_addc_co_u32_e32 v41, vcc, v65, v31, vcc
	global_load_dwordx4 v[2:5], v[12:13], off
	global_load_dwordx4 v[6:9], v[12:13], off offset:16
	s_nop 0
	global_load_dwordx4 v[10:13], v[62:63], off
	global_load_dwordx4 v[14:17], v[62:63], off offset:16
	global_load_dwordx4 v[18:21], v[52:53], off
	global_load_dwordx4 v[22:25], v[52:53], off offset:16
	s_waitcnt vmcnt(6)
	v_mfma_f32_4x4x4f16 a[0:3], v[32:33], v[36:37], a[0:3] cbsz:4 abid:7
	global_load_dwordx4 v[26:29], v[40:41], off
	global_load_dwordx4 v[30:33], v[40:41], off offset:16
	v_mfma_f32_4x4x4f16 a[0:3], v[34:35], v[38:39], a[0:3] cbsz:4 abid:7
	v_cmp_eq_u32_e32 vcc, 0, v57
	v_cndmask_b32_e64 v38, 0, 1.0, vcc
	v_cmp_eq_u32_e32 vcc, 1, v57
	v_mov_b32_e32 v41, 0xff7fffff
	s_nop 0
	v_accvgpr_read_b32 v37, a1
	v_accvgpr_read_b32 v36, a0
	s_waitcnt lgkmcnt(0)
	v_pk_mul_f32 v[36:37], s[2:3], v[36:37] op_sel_hi:[0,1]
	v_accvgpr_read_b32 v35, a3
	v_accvgpr_read_b32 v34, a2
	v_pk_mul_f32 v[34:35], s[2:3], v[34:35] op_sel_hi:[0,1]
	v_mfma_f32_4x4x1f32 a[0:3], v36, v38, 0
	v_cndmask_b32_e64 v36, 0, 1.0, vcc
	v_cmp_eq_u32_e32 vcc, 2, v57
	s_nop 0
	v_mfma_f32_4x4x1f32 a[0:3], v37, v36, a[0:3]
	v_cndmask_b32_e64 v36, 0, 1.0, vcc
	v_cmp_eq_u32_e32 vcc, 3, v57
	s_nop 0
	v_mfma_f32_4x4x1f32 a[0:3], v34, v36, a[0:3]
	v_cndmask_b32_e64 v34, 0, 1.0, vcc
	s_nop 1
	v_mfma_f32_4x4x1f32 a[0:3], v35, v34, a[0:3]
	v_and_b32_e32 v34, -4, v58
	v_subrev_u32_e32 v35, s11, v34
	v_add_u32_e32 v36, 1, v35
	v_cvt_f32_i32_e32 v36, v36
	v_add_u32_e32 v37, 2, v35
	v_cvt_f32_i32_e32 v37, v37
	v_accvgpr_read_b32 v38, a0
	v_fma_f32 v36, v59, v36, v38
	v_accvgpr_read_b32 v38, a1
	v_fma_f32 v37, v59, v37, v38
	v_add_u32_e32 v38, 3, v35
	v_cvt_f32_i32_e32 v38, v38
	v_add_u32_e32 v35, 4, v35
	v_max_f32_e32 v40, 0xff7fffff, v36
	v_cmp_gt_i32_e32 vcc, s11, v34
	v_cvt_f32_i32_e32 v35, v35
	v_cndmask_b32_e32 v40, v41, v40, vcc
	v_or_b32_e32 v41, 1, v34
	v_accvgpr_read_b32 v39, a2
	v_max_f32_e32 v42, v40, v37
	v_cmp_gt_i32_e64 s[2:3], s11, v41
	v_fma_f32 v38, v59, v38, v39
	v_cndmask_b32_e64 v40, v40, v42, s[2:3]
	v_or_b32_e32 v34, 2, v34
	v_accvgpr_read_b32 v39, a3
	v_max_f32_e32 v41, v40, v38
	v_cmp_gt_i32_e64 s[4:5], s11, v34
	v_fmac_f32_e32 v39, v59, v35
	v_cndmask_b32_e64 v34, v40, v41, s[4:5]
	v_or_b32_e32 v40, 3, v58
	v_max_f32_e32 v41, v34, v39
	v_cmp_gt_i32_e64 s[8:9], s11, v40
	v_lshlrev_b32_e32 v35, 2, v0
	v_cndmask_b32_e64 v34, v34, v41, s[8:9]
	v_and_or_b32 v35, v35, 48, v57
	;;#ASMSTART
	v_nop
 v_nop
 v_max_f32_dpp v34, v34, v34 row_ror:4
	;;#ASMEND
	v_lshlrev_b32_e32 v41, 2, v35
	;;#ASMSTART
	v_nop
 v_nop
 v_max_f32_dpp v34, v34, v34 row_ror:8
	;;#ASMEND
	ds_bpermute_b32 v34, v41, v34
	s_waitcnt lgkmcnt(0)
	;;#ASMSTART
	v_nop
 v_nop
 v_max_f32_dpp v34, v34, v34 row_ror:4
	;;#ASMEND
	;;#ASMSTART
	v_nop
 v_nop
 v_max_f32_dpp v40, v34, v34 row_ror:8
	;;#ASMEND
	v_sub_f32_e32 v34, v36, v40
	v_mul_f32_e32 v34, 0x3fb8aa3b, v34
	v_sub_f32_e32 v35, v37, v40
	v_exp_f32_e32 v34, v34
	v_mul_f32_e32 v35, 0x3fb8aa3b, v35
	v_sub_f32_e32 v37, v38, v40
	v_exp_f32_e32 v35, v35
	;; [unrolled: 3-line block ×3, first 2 shown]
	v_mul_f32_e32 v38, 0x3fb8aa3b, v38
	v_exp_f32_e32 v38, v38
	v_cndmask_b32_e32 v34, 0, v34, vcc
	v_add_f32_e32 v36, 0, v34
	v_cndmask_b32_e64 v35, 0, v35, s[2:3]
	v_add_f32_e32 v39, v36, v35
	v_cndmask_b32_e64 v36, 0, v37, s[4:5]
	;; [unrolled: 2-line block ×3, first 2 shown]
	v_add_f32_e32 v38, v39, v37
	;;#ASMSTART
	v_nop
 v_nop
 v_add_f32_dpp v38, v38, v38 row_ror:4
	;;#ASMEND
	;;#ASMSTART
	v_nop
 v_nop
 v_add_f32_dpp v38, v38, v38 row_ror:8
	;;#ASMEND
	ds_bpermute_b32 v38, v41, v38
	s_waitcnt lgkmcnt(0)
	;;#ASMSTART
	v_nop
 v_nop
 v_add_f32_dpp v38, v38, v38 row_ror:4
	;;#ASMEND
	v_cmp_gt_u32_e32 vcc, 4, v56
	;;#ASMSTART
	v_nop
 v_nop
 v_add_f32_dpp v38, v38, v38 row_ror:8
	;;#ASMEND
	s_and_saveexec_b64 s[2:3], vcc
	s_cbranch_execz .LBB1_18
; %bb.17:
	v_mul_u32_u24_e32 v39, 20, v1
	v_lshl_add_u32 v39, v57, 2, v39
	v_add_u32_e32 v39, 0x800, v39
	ds_write2_b32 v39, v40, v38 offset0:128 offset1:148
.LBB1_18:
	s_or_b64 exec, exec, s[2:3]
.LBB1_19:
	s_or_b64 exec, exec, s[24:25]
	s_waitcnt lgkmcnt(0)
	s_barrier
	s_load_dword s2, s[22:23], 0x8
	v_lshlrev_b32_e32 v38, 2, v57
	v_add_u32_e32 v46, 0x800, v38
	ds_read2_b32 v[38:39], v46 offset0:128 offset1:133
	ds_read2_b32 v[42:43], v46 offset0:138 offset1:143
	s_mul_i32 s3, s6, s7
	s_waitcnt lgkmcnt(0)
	s_mul_i32 s3, s3, s2
	s_lshl_b32 s2, s3, 1
	s_mov_b32 s3, 0xff7fffff
	v_max3_f32 v41, v38, s3, v39
	v_max3_f32 v41, v41, v42, v43
	v_sub_f32_e32 v38, v38, v41
	v_mul_f32_e32 v38, 0x3fb8aa3b, v38
	ds_read2_b32 v[44:45], v46 offset0:148 offset1:153
	v_exp_f32_e32 v47, v38
	v_sub_f32_e32 v38, v39, v41
	v_sub_f32_e32 v42, v42, v41
	v_mul_f32_e32 v38, 0x3fb8aa3b, v38
	v_mul_f32_e32 v42, 0x3fb8aa3b, v42
	v_exp_f32_e32 v48, v38
	ds_read2_b32 v[38:39], v46 offset0:158 offset1:163
	v_exp_f32_e32 v46, v42
	v_sub_f32_e32 v42, v43, v41
	v_mul_f32_e32 v42, 0x3fb8aa3b, v42
	v_exp_f32_e32 v43, v42
	s_waitcnt lgkmcnt(1)
	v_fma_f32 v42, v47, v44, 0
	v_fmac_f32_e32 v42, v48, v45
	s_waitcnt lgkmcnt(0)
	v_fmac_f32_e32 v42, v46, v38
	v_fmac_f32_e32 v42, v43, v39
	v_cmp_gt_u32_e32 vcc, 2, v57
	s_and_saveexec_b64 s[4:5], vcc
	s_cbranch_execz .LBB1_21
; %bb.20:
	s_mov_b32 s3, 0
	s_lshl_b64 s[8:9], s[2:3], 2
	s_add_u32 s6, s12, s8
	s_mov_b32 s11, s3
	s_addc_u32 s16, s13, s9
	s_lshl_b64 s[12:13], s[10:11], 2
	s_add_u32 s3, s6, s12
	s_addc_u32 s6, s16, s13
	v_or_b32_e32 v38, s33, v57
	s_add_u32 s8, s14, s8
	v_mul_lo_u32 v38, s7, v38
	v_mov_b32_e32 v39, 0
	s_addc_u32 s9, s15, s9
	v_lshlrev_b64 v[38:39], 2, v[38:39]
	s_add_u32 s8, s8, s12
	v_mov_b32_e32 v43, s6
	v_add_co_u32_e32 v44, vcc, s3, v38
	s_addc_u32 s9, s9, s13
	v_addc_co_u32_e32 v45, vcc, v43, v39, vcc
	v_mov_b32_e32 v43, s9
	v_add_co_u32_e32 v38, vcc, s8, v38
	v_addc_co_u32_e32 v39, vcc, v43, v39, vcc
	global_store_dword v[38:39], v41, off
	global_store_dword v[44:45], v42, off
.LBB1_21:
	s_or_b64 exec, exec, s[4:5]
	v_mov_b32_e32 v38, 0
	v_mov_b32_e32 v39, 0
	s_and_saveexec_b64 s[4:5], s[0:1]
	s_cbranch_execz .LBB1_23
; %bb.22:
	v_add_f32_e32 v38, 0x358637bd, v42
	v_div_scale_f32 v39, s[0:1], v38, v38, 1.0
	v_rcp_f32_e32 v42, v39
	v_div_scale_f32 v43, vcc, 1.0, v38, 1.0
	v_sub_f32_e32 v40, v40, v41
	v_fma_f32 v44, -v39, v42, 1.0
	v_fmac_f32_e32 v42, v44, v42
	v_mul_f32_e32 v44, v43, v42
	v_fma_f32 v45, -v39, v44, v43
	v_mul_f32_e32 v40, 0x3fb8aa3b, v40
	v_fmac_f32_e32 v44, v45, v42
	v_exp_f32_e32 v40, v40
	v_fma_f32 v39, -v39, v44, v43
	v_div_fmas_f32 v39, v39, v42, v44
	v_div_fixup_f32 v38, v39, v38, 1.0
	v_mul_f32_e32 v38, v40, v38
	v_pk_mul_f32 v[36:37], v[36:37], v[38:39] op_sel_hi:[1,0]
	v_pk_mul_f32 v[34:35], v[34:35], v[38:39] op_sel_hi:[1,0]
	v_cvt_f16_f32_e32 v34, v34
	v_cvt_f16_f32_e32 v35, v35
	;; [unrolled: 1-line block ×4, first 2 shown]
	s_mov_b32 s0, 0x5040100
	v_pack_b32_f16 v34, v34, v35
	v_pack_b32_f16 v35, v36, v37
	s_waitcnt vmcnt(7)
	s_nop 0
	v_mfma_f32_4x4x4f16 a[0:3], v[34:35], v[2:3], 0 cbsz:4
	v_mfma_f32_4x4x4f16 a[0:3], v[34:35], v[4:5], a[0:3] cbsz:4 abid:1
	s_waitcnt vmcnt(6)
	v_mfma_f32_4x4x4f16 a[0:3], v[34:35], v[6:7], a[0:3] cbsz:4 abid:2
	v_mfma_f32_4x4x4f16 a[0:3], v[34:35], v[8:9], a[0:3] cbsz:4 abid:3
	s_waitcnt vmcnt(5)
	v_mfma_f32_4x4x4f16 a[0:3], v[34:35], v[10:11], a[0:3] cbsz:4 abid:4
	;; [unrolled: 3-line block ×7, first 2 shown]
	v_mfma_f32_4x4x4f16 a[0:3], v[34:35], v[32:33], a[0:3] cbsz:4 abid:15
	s_nop 4
	v_accvgpr_read_b32 v2, a0
	v_accvgpr_read_b32 v3, a1
	;; [unrolled: 1-line block ×4, first 2 shown]
	v_cvt_f16_f32_e32 v2, v2
	v_cvt_f16_f32_e32 v3, v3
	v_cvt_f16_f32_e32 v4, v4
	v_cvt_f16_f32_e32 v5, v5
	v_perm_b32 v38, v3, v2, s0
	v_perm_b32 v39, v5, v4, s0
.LBB1_23:
	s_or_b64 exec, exec, s[4:5]
	v_lshlrev_b32_e32 v1, 3, v1
	v_mad_u32_u24 v1, v56, 40, v1
	v_cmp_gt_u32_e32 vcc, 64, v0
	ds_write_b64 v1, v[38:39]
	s_waitcnt lgkmcnt(0)
	s_barrier
	s_and_saveexec_b64 s[0:1], vcc
	s_cbranch_execz .LBB1_25
; %bb.24:
	s_mov_b32 s1, 0
	s_lshl_b32 s0, s2, 6
	v_mul_u32_u24_e32 v1, 40, v56
	s_lshl_b64 s[2:3], s[0:1], 1
	s_waitcnt vmcnt(7)
	ds_read2_b64 v[2:5], v1 offset1:1
	s_waitcnt vmcnt(6)
	ds_read2_b64 v[6:9], v1 offset0:2 offset1:3
	s_add_u32 s2, s20, s2
	s_addc_u32 s3, s21, s3
	s_lshl_b32 s0, s10, 6
	s_lshl_b64 s[0:1], s[0:1], 1
	s_add_u32 s0, s2, s0
	s_addc_u32 s1, s3, s1
	s_lshl_b32 s2, s7, 6
	s_waitcnt lgkmcnt(1)
	v_pk_add_f16 v1, v2, 0
	s_mul_i32 s3, s2, s33
	v_pk_add_f16 v1, v1, v4
	v_or_b32_e32 v2, s3, v0
	v_mov_b32_e32 v3, 0
	s_waitcnt lgkmcnt(0)
	v_pk_add_f16 v1, v1, v6
	v_lshlrev_b64 v[4:5], 1, v[2:3]
	s_add_i32 s3, s3, s2
	v_pk_add_f16 v6, v1, v8
	v_mov_b32_e32 v1, s1
	v_add_co_u32_e32 v4, vcc, s0, v4
	v_or_b32_e32 v2, s3, v0
	v_addc_co_u32_e32 v5, vcc, v1, v5, vcc
	v_lshlrev_b64 v[0:1], 1, v[2:3]
	v_mov_b32_e32 v2, s1
	v_add_co_u32_e32 v0, vcc, s0, v0
	v_addc_co_u32_e32 v1, vcc, v2, v1, vcc
	global_store_short v[4:5], v6, off
	global_store_short_d16_hi v[0:1], v6, off
.LBB1_25:
	s_endpgm
	.section	.rodata,"a",@progbits
	.p2align	6, 0x0
	.amdhsa_kernel _Z38paged_attention_ll4mi_QKV_mfma4_kernelIDF16_DF16_LN4vllm18Fp8KVCacheDataTypeE0EDF16_Li16ELi64ELi256ELb1ELi2EEvPKT_PKT0_S7_ifPKiS9_S9_iPKfiiiPfSC_PS2_PT2_iSB_SB_
		.amdhsa_group_segment_fixed_size 2720
		.amdhsa_private_segment_fixed_size 0
		.amdhsa_kernarg_size 400
		.amdhsa_user_sgpr_count 6
		.amdhsa_user_sgpr_private_segment_buffer 1
		.amdhsa_user_sgpr_dispatch_ptr 0
		.amdhsa_user_sgpr_queue_ptr 0
		.amdhsa_user_sgpr_kernarg_segment_ptr 1
		.amdhsa_user_sgpr_dispatch_id 0
		.amdhsa_user_sgpr_flat_scratch_init 0
		.amdhsa_user_sgpr_kernarg_preload_length 0
		.amdhsa_user_sgpr_kernarg_preload_offset 0
		.amdhsa_user_sgpr_private_segment_size 0
		.amdhsa_uses_dynamic_stack 0
		.amdhsa_system_sgpr_private_segment_wavefront_offset 0
		.amdhsa_system_sgpr_workgroup_id_x 1
		.amdhsa_system_sgpr_workgroup_id_y 1
		.amdhsa_system_sgpr_workgroup_id_z 1
		.amdhsa_system_sgpr_workgroup_info 0
		.amdhsa_system_vgpr_workitem_id 0
		.amdhsa_next_free_vgpr 72
		.amdhsa_next_free_sgpr 38
		.amdhsa_accum_offset 68
		.amdhsa_reserve_vcc 1
		.amdhsa_reserve_flat_scratch 0
		.amdhsa_float_round_mode_32 0
		.amdhsa_float_round_mode_16_64 0
		.amdhsa_float_denorm_mode_32 3
		.amdhsa_float_denorm_mode_16_64 3
		.amdhsa_dx10_clamp 1
		.amdhsa_ieee_mode 1
		.amdhsa_fp16_overflow 0
		.amdhsa_tg_split 0
		.amdhsa_exception_fp_ieee_invalid_op 0
		.amdhsa_exception_fp_denorm_src 0
		.amdhsa_exception_fp_ieee_div_zero 0
		.amdhsa_exception_fp_ieee_overflow 0
		.amdhsa_exception_fp_ieee_underflow 0
		.amdhsa_exception_fp_ieee_inexact 0
		.amdhsa_exception_int_div_zero 0
	.end_amdhsa_kernel
	.section	.text._Z38paged_attention_ll4mi_QKV_mfma4_kernelIDF16_DF16_LN4vllm18Fp8KVCacheDataTypeE0EDF16_Li16ELi64ELi256ELb1ELi2EEvPKT_PKT0_S7_ifPKiS9_S9_iPKfiiiPfSC_PS2_PT2_iSB_SB_,"axG",@progbits,_Z38paged_attention_ll4mi_QKV_mfma4_kernelIDF16_DF16_LN4vllm18Fp8KVCacheDataTypeE0EDF16_Li16ELi64ELi256ELb1ELi2EEvPKT_PKT0_S7_ifPKiS9_S9_iPKfiiiPfSC_PS2_PT2_iSB_SB_,comdat
.Lfunc_end1:
	.size	_Z38paged_attention_ll4mi_QKV_mfma4_kernelIDF16_DF16_LN4vllm18Fp8KVCacheDataTypeE0EDF16_Li16ELi64ELi256ELb1ELi2EEvPKT_PKT0_S7_ifPKiS9_S9_iPKfiiiPfSC_PS2_PT2_iSB_SB_, .Lfunc_end1-_Z38paged_attention_ll4mi_QKV_mfma4_kernelIDF16_DF16_LN4vllm18Fp8KVCacheDataTypeE0EDF16_Li16ELi64ELi256ELb1ELi2EEvPKT_PKT0_S7_ifPKiS9_S9_iPKfiiiPfSC_PS2_PT2_iSB_SB_
                                        ; -- End function
	.section	.AMDGPU.csdata,"",@progbits
; Kernel info:
; codeLenInByte = 3252
; NumSgprs: 42
; NumVgprs: 66
; NumAgprs: 4
; TotalNumVgprs: 72
; ScratchSize: 0
; MemoryBound: 0
; FloatMode: 240
; IeeeMode: 1
; LDSByteSize: 2720 bytes/workgroup (compile time only)
; SGPRBlocks: 5
; VGPRBlocks: 8
; NumSGPRsForWavesPerEU: 42
; NumVGPRsForWavesPerEU: 72
; AccumOffset: 68
; Occupancy: 7
; WaveLimiterHint : 1
; COMPUTE_PGM_RSRC2:SCRATCH_EN: 0
; COMPUTE_PGM_RSRC2:USER_SGPR: 6
; COMPUTE_PGM_RSRC2:TRAP_HANDLER: 0
; COMPUTE_PGM_RSRC2:TGID_X_EN: 1
; COMPUTE_PGM_RSRC2:TGID_Y_EN: 1
; COMPUTE_PGM_RSRC2:TGID_Z_EN: 1
; COMPUTE_PGM_RSRC2:TIDIG_COMP_CNT: 0
; COMPUTE_PGM_RSRC3_GFX90A:ACCUM_OFFSET: 16
; COMPUTE_PGM_RSRC3_GFX90A:TG_SPLIT: 0
	.section	.text._Z38paged_attention_ll4mi_QKV_mfma4_kernelIDF16_DF16_LN4vllm18Fp8KVCacheDataTypeE0EDF16_Li16ELi64ELi256ELb1ELi3EEvPKT_PKT0_S7_ifPKiS9_S9_iPKfiiiPfSC_PS2_PT2_iSB_SB_,"axG",@progbits,_Z38paged_attention_ll4mi_QKV_mfma4_kernelIDF16_DF16_LN4vllm18Fp8KVCacheDataTypeE0EDF16_Li16ELi64ELi256ELb1ELi3EEvPKT_PKT0_S7_ifPKiS9_S9_iPKfiiiPfSC_PS2_PT2_iSB_SB_,comdat
	.protected	_Z38paged_attention_ll4mi_QKV_mfma4_kernelIDF16_DF16_LN4vllm18Fp8KVCacheDataTypeE0EDF16_Li16ELi64ELi256ELb1ELi3EEvPKT_PKT0_S7_ifPKiS9_S9_iPKfiiiPfSC_PS2_PT2_iSB_SB_ ; -- Begin function _Z38paged_attention_ll4mi_QKV_mfma4_kernelIDF16_DF16_LN4vllm18Fp8KVCacheDataTypeE0EDF16_Li16ELi64ELi256ELb1ELi3EEvPKT_PKT0_S7_ifPKiS9_S9_iPKfiiiPfSC_PS2_PT2_iSB_SB_
	.globl	_Z38paged_attention_ll4mi_QKV_mfma4_kernelIDF16_DF16_LN4vllm18Fp8KVCacheDataTypeE0EDF16_Li16ELi64ELi256ELb1ELi3EEvPKT_PKT0_S7_ifPKiS9_S9_iPKfiiiPfSC_PS2_PT2_iSB_SB_
	.p2align	8
	.type	_Z38paged_attention_ll4mi_QKV_mfma4_kernelIDF16_DF16_LN4vllm18Fp8KVCacheDataTypeE0EDF16_Li16ELi64ELi256ELb1ELi3EEvPKT_PKT0_S7_ifPKiS9_S9_iPKfiiiPfSC_PS2_PT2_iSB_SB_,@function
_Z38paged_attention_ll4mi_QKV_mfma4_kernelIDF16_DF16_LN4vllm18Fp8KVCacheDataTypeE0EDF16_Li16ELi64ELi256ELb1ELi3EEvPKT_PKT0_S7_ifPKiS9_S9_iPKfiiiPfSC_PS2_PT2_iSB_SB_: ; @_Z38paged_attention_ll4mi_QKV_mfma4_kernelIDF16_DF16_LN4vllm18Fp8KVCacheDataTypeE0EDF16_Li16ELi64ELi256ELb1ELi3EEvPKT_PKT0_S7_ifPKiS9_S9_iPKfiiiPfSC_PS2_PT2_iSB_SB_
; %bb.0:
	s_load_dwordx2 s[2:3], s[4:5], 0x30
	s_mov_b32 s10, s7
	s_mov_b64 s[0:1], 0
	s_waitcnt lgkmcnt(0)
	s_cmp_lg_u64 s[2:3], 0
	s_cselect_b64 s[16:17], -1, 0
	s_and_b64 vcc, exec, s[16:17]
	s_cbranch_vccz .LBB2_10
; %bb.1:
	s_add_i32 s12, s6, 1
	s_mov_b32 s13, 0
	s_lshl_b64 s[14:15], s[12:13], 2
	s_add_u32 s14, s2, s14
	s_mov_b32 s7, s13
	s_addc_u32 s15, s3, s15
	s_lshl_b64 s[12:13], s[6:7], 2
	s_add_u32 s12, s2, s12
	s_addc_u32 s13, s3, s13
	s_load_dword s9, s[14:15], 0x0
	s_load_dword s11, s[12:13], 0x0
	s_waitcnt lgkmcnt(0)
	s_sub_i32 s9, s9, s11
	s_cmp_eq_u32 s9, 1
	s_cselect_b64 s[12:13], -1, 0
	s_andn2_b64 vcc, exec, s[0:1]
	s_cbranch_vccnz .LBB2_3
.LBB2_2:
	s_mov_b32 s7, 0
	s_mov_b64 s[12:13], -1
.LBB2_3:
	s_andn2_b64 vcc, exec, s[12:13]
	s_cbranch_vccnz .LBB2_25
; %bb.4:
	s_load_dword s9, s[4:5], 0x9c
	s_load_dwordx2 s[0:1], s[4:5], 0x28
	s_add_u32 s22, s4, 0x90
	s_addc_u32 s23, s5, 0
	s_lshl_b64 s[18:19], s[6:7], 2
	s_waitcnt lgkmcnt(0)
	s_and_b32 s9, s9, 0xffff
	s_add_u32 s0, s0, s18
	s_addc_u32 s1, s1, s19
	s_load_dword s11, s[0:1], 0x0
	s_mul_i32 s9, s10, s9
	s_waitcnt lgkmcnt(0)
	s_cmp_ge_i32 s9, s11
	s_cbranch_scc1 .LBB2_25
; %bb.5:
	v_and_b32_e32 v2, 0xc0, v0
	v_add_u32_e32 v2, s9, v2
	v_lshrrev_b32_e32 v1, 6, v0
	v_cmp_gt_i32_e64 s[0:1], s11, v2
	v_cmp_le_i32_e32 vcc, s11, v2
                                        ; implicit-def: $sgpr27
                                        ; implicit-def: $sgpr26
	s_and_saveexec_b64 s[12:13], vcc
	s_xor_b64 s[12:13], exec, s[12:13]
	s_cbranch_execz .LBB2_7
; %bb.6:
	v_mul_u32_u24_e32 v2, 20, v1
	v_or_b32_e32 v2, 0xa00, v2
	v_mov_b32_e32 v3, 0xa50
	v_mov_b32_e32 v4, 0xff7fffff
	v_mad_u32_u24 v3, v1, 20, v3
	ds_write2_b32 v2, v4, v4 offset1:1
	v_mov_b32_e32 v2, 0
	ds_write2_b32 v3, v2, v2 offset1:1
	v_mov_b32_e32 v3, 0xa08
	s_mov_b32 s26, 0xff7fffff
	s_mov_b32 s27, 0
	v_mad_u32_u24 v3, v1, 20, v3
	v_mov_b32_e32 v5, 0xa58
	v_mad_u32_u24 v5, v1, 20, v5
	ds_write2_b32 v3, v4, v4 offset1:1
	ds_write2_b32 v5, v2, v2 offset1:1
                                        ; implicit-def: $vgpr2
.LBB2_7:
	s_or_saveexec_b64 s[24:25], s[12:13]
	s_load_dwordx2 s[20:21], s[4:5], 0x68
	s_load_dwordx4 s[12:15], s[4:5], 0x58
	s_load_dword s7, s[22:23], 0x4
	v_and_b32_e32 v56, 63, v0
	v_and_b32_e32 v57, 3, v0
	s_mul_i32 s33, s8, 3
	v_mov_b32_e32 v37, s27
	v_mov_b32_e32 v40, s26
	;; [unrolled: 1-line block ×5, first 2 shown]
                                        ; implicit-def: $vgpr3
                                        ; implicit-def: $vgpr7
                                        ; implicit-def: $vgpr11
                                        ; implicit-def: $vgpr15
                                        ; implicit-def: $vgpr19
                                        ; implicit-def: $vgpr23
                                        ; implicit-def: $vgpr27
                                        ; implicit-def: $vgpr31
	s_xor_b64 exec, exec, s[24:25]
	s_cbranch_execz .LBB2_19
; %bb.8:
	s_add_i32 s29, s11, 15
	s_load_dwordx2 s[26:27], s[4:5], 0x20
	s_load_dword s28, s[4:5], 0x38
	s_ashr_i32 s30, s29, 31
	s_lshr_b32 s30, s30, 28
	v_add_u32_e32 v58, s9, v0
	s_add_i32 s29, s29, s30
	v_ashrrev_i32_e32 v3, 31, v58
	s_ashr_i32 s29, s29, 4
	v_lshrrev_b32_e32 v3, 28, v3
	s_add_i32 s30, s29, -1
	v_add_u32_e32 v3, v58, v3
	s_waitcnt lgkmcnt(0)
	s_mul_i32 s28, s6, s28
	s_mov_b32 s29, 0
	v_ashrrev_i32_e32 v3, 4, v3
	v_mov_b32_e32 v4, s30
	v_cmp_gt_i32_e32 vcc, s11, v58
	s_lshl_b64 s[28:29], s[28:29], 2
	v_cndmask_b32_e32 v4, v4, v3, vcc
	s_add_u32 s26, s26, s28
	v_ashrrev_i32_e32 v5, 31, v4
	s_addc_u32 s27, s27, s29
	v_lshlrev_b64 v[4:5], 2, v[4:5]
	v_mov_b32_e32 v3, s27
	v_add_co_u32_e32 v4, vcc, s26, v4
	v_addc_co_u32_e32 v5, vcc, v3, v5, vcc
	v_ashrrev_i32_e32 v3, 31, v2
	v_lshrrev_b32_e32 v3, 28, v3
	v_add_u32_e32 v2, v2, v3
	v_ashrrev_i32_e32 v10, 4, v2
	v_min_i32_e32 v2, s30, v10
	v_ashrrev_i32_e32 v3, 31, v2
	v_lshlrev_b64 v[2:3], 2, v[2:3]
	v_add_co_u32_e32 v6, vcc, s26, v2
	v_add_u32_e32 v2, 1, v10
	v_mov_b32_e32 v7, s27
	v_min_i32_e32 v2, s30, v2
	v_addc_co_u32_e32 v7, vcc, v7, v3, vcc
	v_ashrrev_i32_e32 v3, 31, v2
	v_lshlrev_b64 v[2:3], 2, v[2:3]
	v_add_co_u32_e32 v8, vcc, s26, v2
	v_add_u32_e32 v2, 2, v10
	v_mov_b32_e32 v9, s27
	v_min_i32_e32 v2, s30, v2
	v_addc_co_u32_e32 v9, vcc, v9, v3, vcc
	;; [unrolled: 7-line block ×3, first 2 shown]
	v_ashrrev_i32_e32 v3, 31, v2
	v_lshlrev_b64 v[2:3], 2, v[2:3]
	v_mov_b32_e32 v10, s27
	v_add_co_u32_e32 v14, vcc, s26, v2
	v_addc_co_u32_e32 v15, vcc, v10, v3, vcc
	global_load_dword v3, v[4:5], off
	global_load_dword v2, v[6:7], off
	;; [unrolled: 1-line block ×5, first 2 shown]
	s_load_dwordx2 s[28:29], s[4:5], 0x8
	s_andn2_b64 vcc, exec, s[16:17]
	s_cbranch_vccnz .LBB2_11
; %bb.9:
	s_add_u32 s2, s2, s18
	s_addc_u32 s3, s3, s19
	s_load_dword s2, s[2:3], 0x0
	s_branch .LBB2_12
.LBB2_10:
	s_mov_b64 s[12:13], 0
	s_branch .LBB2_2
.LBB2_11:
	s_mov_b32 s2, s6
.LBB2_12:
	s_load_dwordx2 s[26:27], s[4:5], 0x10
	s_load_dwordx4 s[16:19], s[4:5], 0x48
	v_cmp_ne_u32_e32 vcc, 3, v57
	s_mov_b32 s3, 0
	v_mov_b32_e32 v54, 0
	v_mov_b32_e32 v26, 0
	;; [unrolled: 1-line block ×5, first 2 shown]
	s_and_saveexec_b64 s[30:31], vcc
	s_cbranch_execz .LBB2_14
; %bb.13:
	s_load_dwordx2 s[34:35], s[4:5], 0x0
	s_waitcnt lgkmcnt(0)
	s_ashr_i32 s9, s16, 31
	s_mul_hi_u32 s19, s2, s16
	s_mul_i32 s9, s2, s9
	s_add_i32 s37, s19, s9
	s_mul_i32 s36, s2, s16
	s_lshl_b64 s[36:37], s[36:37], 1
	s_add_u32 s9, s34, s36
	s_mul_i32 s2, s8, 0xc0
	s_addc_u32 s16, s35, s37
	s_lshl_b64 s[34:35], s[2:3], 1
	s_add_u32 s34, s9, s34
	v_lshlrev_b32_e32 v4, 3, v57
	v_lshrrev_b32_e32 v5, 2, v56
	s_addc_u32 s35, s16, s35
	v_add_lshl_u32 v4, v4, v5, 4
	global_load_dwordx4 v[26:29], v4, s[34:35]
.LBB2_14:
	s_or_b64 exec, exec, s[30:31]
	s_waitcnt lgkmcnt(0)
	s_mul_i32 s2, s8, s18
	s_lshl_b64 s[8:9], s[2:3], 1
	s_waitcnt vmcnt(4)
	v_mad_i64_i32 v[4:5], s[30:31], v3, s17, 0
	s_add_u32 s2, s8, s28
	v_lshlrev_b64 v[4:5], 1, v[4:5]
	s_addc_u32 s3, s9, s29
	v_mov_b32_e32 v3, s3
	v_add_co_u32_e64 v4, s[2:3], s2, v4
	v_addc_co_u32_e64 v3, s[2:3], v3, v5, s[2:3]
	v_and_b32_e32 v5, 15, v0
	v_lshlrev_b32_e32 v5, 4, v5
	v_add_co_u32_e64 v4, s[2:3], v4, v5
	v_addc_co_u32_e64 v5, s[2:3], 0, v3, s[2:3]
	global_load_dwordx4 v[50:53], v[4:5], off
	global_load_dwordx4 v[46:49], v[4:5], off offset:256
	global_load_dwordx4 v[22:25], v[4:5], off offset:512
	;; [unrolled: 1-line block ×7, first 2 shown]
	v_mov_b32_e32 v55, 1.0
	s_and_saveexec_b64 s[2:3], vcc
	s_cbranch_execz .LBB2_16
; %bb.15:
	s_load_dwordx2 s[18:19], s[4:5], 0x40
	v_add_u32_e32 v54, s33, v57
	v_mov_b32_e32 v55, 0
	v_lshlrev_b64 v[4:5], 2, v[54:55]
	s_waitcnt lgkmcnt(0)
	v_mov_b32_e32 v3, s19
	v_add_co_u32_e32 v4, vcc, s18, v4
	v_addc_co_u32_e32 v5, vcc, v3, v5, vcc
	global_load_dword v54, v[4:5], off
.LBB2_16:
	s_or_b64 exec, exec, s[2:3]
	s_waitcnt vmcnt(7)
	v_mfma_f32_4x4x4f16 a[0:3], v[26:27], v[50:51], 0 cbsz:4
	s_add_u32 s3, s26, s8
	v_mfma_f32_4x4x4f16 a[0:3], v[28:29], v[52:53], a[0:3] cbsz:4
	v_lshlrev_b32_e32 v3, 5, v56
	s_waitcnt vmcnt(6)
	v_mfma_f32_4x4x4f16 a[0:3], v[26:27], v[46:47], a[0:3] cbsz:4 abid:1
	v_add_co_u32_e32 v61, vcc, s3, v3
	v_mfma_f32_4x4x4f16 a[0:3], v[28:29], v[48:49], a[0:3] cbsz:4 abid:1
	v_mul_hi_i32 v3, v2, s17
	s_waitcnt vmcnt(5)
	v_mfma_f32_4x4x4f16 a[0:3], v[26:27], v[22:23], a[0:3] cbsz:4 abid:2
	v_ashrrev_i32_e32 v3, 31, v3
	v_mfma_f32_4x4x4f16 a[0:3], v[28:29], v[24:25], a[0:3] cbsz:4 abid:2
	s_load_dword s2, s[4:5], 0x1c
	s_waitcnt vmcnt(4)
	v_mfma_f32_4x4x4f16 a[0:3], v[26:27], v[18:19], a[0:3] cbsz:4 abid:3
	s_addc_u32 s4, s27, s9
	v_mfma_f32_4x4x4f16 a[0:3], v[28:29], v[20:21], a[0:3] cbsz:4 abid:3
	v_lshrrev_b32_e32 v62, 29, v3
	s_waitcnt vmcnt(3)
	v_mfma_f32_4x4x4f16 a[0:3], v[26:27], v[42:43], a[0:3] cbsz:4 abid:4
	v_mov_b32_e32 v63, 0
	v_mfma_f32_4x4x4f16 a[0:3], v[28:29], v[44:45], a[0:3] cbsz:4 abid:4
	v_mul_hi_i32 v11, v10, s17
	s_waitcnt vmcnt(2)
	v_mfma_f32_4x4x4f16 a[0:3], v[26:27], v[38:39], a[0:3] cbsz:4 abid:5
	v_mov_b32_e32 v4, s4
	v_mfma_f32_4x4x4f16 a[0:3], v[28:29], v[40:41], a[0:3] cbsz:4 abid:5
	v_mad_i64_i32 v[2:3], s[4:5], v2, s17, v[62:63]
	s_waitcnt vmcnt(1)
	v_mfma_f32_4x4x4f16 a[0:3], v[26:27], v[34:35], a[0:3] cbsz:4 abid:6
	v_ashrrev_i32_e32 v11, 31, v11
	v_mfma_f32_4x4x4f16 a[0:3], v[28:29], v[36:37], a[0:3] cbsz:4 abid:6
	v_lshlrev_b64 v[2:3], 1, v[2:3]
	v_lshrrev_b32_e32 v62, 29, v11
	v_mul_hi_i32 v50, v60, s17
	v_addc_co_u32_e32 v66, vcc, 0, v4, vcc
	v_and_b32_e32 v2, -16, v2
	v_mad_i64_i32 v[10:11], s[4:5], v10, s17, v[62:63]
	v_ashrrev_i32_e32 v50, 31, v50
	s_waitcnt vmcnt(0)
	v_mfma_f32_4x4x4f16 a[0:3], v[26:27], v[30:31], a[0:3] cbsz:4 abid:7
	v_add_co_u32_e32 v12, vcc, v61, v2
	v_lshlrev_b64 v[10:11], 1, v[10:11]
	v_lshrrev_b32_e32 v62, 29, v50
	v_mul_hi_i32 v42, v59, s17
	v_addc_co_u32_e32 v13, vcc, v66, v3, vcc
	v_and_b32_e32 v10, -16, v10
	v_mad_i64_i32 v[46:47], s[4:5], v60, s17, v[62:63]
	v_ashrrev_i32_e32 v42, 31, v42
	v_mfma_f32_4x4x4f16 a[0:3], v[28:29], v[32:33], a[0:3] cbsz:4 abid:7
	v_add_co_u32_e32 v64, vcc, v61, v10
	v_lshlrev_b64 v[22:23], 1, v[46:47]
	v_lshrrev_b32_e32 v62, 29, v42
	v_addc_co_u32_e32 v65, vcc, v66, v11, vcc
	v_and_b32_e32 v22, -16, v22
	v_mad_i64_i32 v[38:39], s[4:5], v59, s17, v[62:63]
	v_accvgpr_read_b32 v29, a1
	v_add_co_u32_e32 v46, vcc, v61, v22
	v_lshlrev_b64 v[34:35], 1, v[38:39]
	v_accvgpr_read_b32 v28, a0
	v_addc_co_u32_e32 v47, vcc, v66, v23, vcc
	v_and_b32_e32 v34, -16, v34
	s_waitcnt lgkmcnt(0)
	v_pk_mul_f32 v[28:29], s[2:3], v[28:29] op_sel_hi:[0,1]
	v_add_co_u32_e32 v34, vcc, v61, v34
	v_addc_co_u32_e32 v35, vcc, v66, v35, vcc
	v_accvgpr_read_b32 v27, a3
	v_accvgpr_read_b32 v26, a2
	v_cmp_eq_u32_e32 vcc, 0, v57
	v_pk_mul_f32 v[36:37], s[2:3], v[26:27] op_sel_hi:[0,1]
	v_cndmask_b32_e64 v26, 0, 1.0, vcc
	v_cmp_eq_u32_e32 vcc, 1, v57
	global_load_dwordx4 v[2:5], v[12:13], off
	global_load_dwordx4 v[6:9], v[12:13], off offset:16
	v_mfma_f32_4x4x1f32 a[0:3], v28, v26, 0
	v_cndmask_b32_e64 v26, 0, 1.0, vcc
	v_cmp_eq_u32_e32 vcc, 2, v57
	global_load_dwordx4 v[10:13], v[64:65], off
	global_load_dwordx4 v[14:17], v[64:65], off offset:16
	v_mfma_f32_4x4x1f32 a[0:3], v29, v26, a[0:3]
	v_cndmask_b32_e64 v26, 0, 1.0, vcc
	global_load_dwordx4 v[18:21], v[46:47], off
	global_load_dwordx4 v[22:25], v[46:47], off offset:16
	v_mfma_f32_4x4x1f32 a[0:3], v36, v26, a[0:3]
	global_load_dwordx4 v[26:29], v[34:35], off
	global_load_dwordx4 v[30:33], v[34:35], off offset:16
	v_and_b32_e32 v34, -4, v58
	v_subrev_u32_e32 v35, s11, v34
	v_add_u32_e32 v36, 1, v35
	v_mfma_f32_4x4x1f32 a[0:3], v37, v55, a[0:3]
	v_cvt_f32_i32_e32 v36, v36
	v_add_u32_e32 v37, 2, v35
	v_cvt_f32_i32_e32 v37, v37
	v_mov_b32_e32 v41, 0xff7fffff
	v_cmp_gt_i32_e32 vcc, s11, v34
	v_accvgpr_read_b32 v38, a0
	v_fma_f32 v36, v54, v36, v38
	v_accvgpr_read_b32 v38, a1
	v_fma_f32 v37, v54, v37, v38
	v_add_u32_e32 v38, 3, v35
	v_cvt_f32_i32_e32 v38, v38
	v_add_u32_e32 v35, 4, v35
	v_max_f32_e32 v40, 0xff7fffff, v36
	v_cvt_f32_i32_e32 v35, v35
	v_cndmask_b32_e32 v40, v41, v40, vcc
	v_or_b32_e32 v41, 1, v34
	v_accvgpr_read_b32 v39, a2
	v_max_f32_e32 v42, v40, v37
	v_cmp_gt_i32_e64 s[2:3], s11, v41
	v_fma_f32 v38, v54, v38, v39
	v_cndmask_b32_e64 v40, v40, v42, s[2:3]
	v_or_b32_e32 v34, 2, v34
	v_accvgpr_read_b32 v39, a3
	v_max_f32_e32 v41, v40, v38
	v_cmp_gt_i32_e64 s[4:5], s11, v34
	v_fmac_f32_e32 v39, v54, v35
	v_cndmask_b32_e64 v34, v40, v41, s[4:5]
	v_or_b32_e32 v40, 3, v58
	v_max_f32_e32 v41, v34, v39
	v_cmp_gt_i32_e64 s[8:9], s11, v40
	v_lshlrev_b32_e32 v35, 2, v0
	v_cndmask_b32_e64 v34, v34, v41, s[8:9]
	v_and_or_b32 v35, v35, 48, v57
	;;#ASMSTART
	v_nop
 v_nop
 v_max_f32_dpp v34, v34, v34 row_ror:4
	;;#ASMEND
	v_lshlrev_b32_e32 v41, 2, v35
	;;#ASMSTART
	v_nop
 v_nop
 v_max_f32_dpp v34, v34, v34 row_ror:8
	;;#ASMEND
	ds_bpermute_b32 v34, v41, v34
	s_waitcnt lgkmcnt(0)
	;;#ASMSTART
	v_nop
 v_nop
 v_max_f32_dpp v34, v34, v34 row_ror:4
	;;#ASMEND
	;;#ASMSTART
	v_nop
 v_nop
 v_max_f32_dpp v40, v34, v34 row_ror:8
	;;#ASMEND
	v_sub_f32_e32 v34, v36, v40
	v_mul_f32_e32 v34, 0x3fb8aa3b, v34
	v_sub_f32_e32 v35, v37, v40
	v_exp_f32_e32 v34, v34
	v_mul_f32_e32 v35, 0x3fb8aa3b, v35
	v_sub_f32_e32 v37, v38, v40
	v_exp_f32_e32 v35, v35
	;; [unrolled: 3-line block ×3, first 2 shown]
	v_mul_f32_e32 v38, 0x3fb8aa3b, v38
	v_exp_f32_e32 v38, v38
	v_cndmask_b32_e32 v34, 0, v34, vcc
	v_add_f32_e32 v36, 0, v34
	v_cndmask_b32_e64 v35, 0, v35, s[2:3]
	v_add_f32_e32 v39, v36, v35
	v_cndmask_b32_e64 v36, 0, v37, s[4:5]
	;; [unrolled: 2-line block ×3, first 2 shown]
	v_add_f32_e32 v38, v39, v37
	;;#ASMSTART
	v_nop
 v_nop
 v_add_f32_dpp v38, v38, v38 row_ror:4
	;;#ASMEND
	;;#ASMSTART
	v_nop
 v_nop
 v_add_f32_dpp v38, v38, v38 row_ror:8
	;;#ASMEND
	ds_bpermute_b32 v38, v41, v38
	s_waitcnt lgkmcnt(0)
	;;#ASMSTART
	v_nop
 v_nop
 v_add_f32_dpp v38, v38, v38 row_ror:4
	;;#ASMEND
	v_cmp_gt_u32_e32 vcc, 4, v56
	;;#ASMSTART
	v_nop
 v_nop
 v_add_f32_dpp v38, v38, v38 row_ror:8
	;;#ASMEND
	s_and_saveexec_b64 s[2:3], vcc
	s_cbranch_execz .LBB2_18
; %bb.17:
	v_mul_u32_u24_e32 v39, 20, v1
	v_lshl_add_u32 v39, v57, 2, v39
	v_add_u32_e32 v39, 0x800, v39
	ds_write2_b32 v39, v40, v38 offset0:128 offset1:148
.LBB2_18:
	s_or_b64 exec, exec, s[2:3]
.LBB2_19:
	s_or_b64 exec, exec, s[24:25]
	s_waitcnt lgkmcnt(0)
	s_barrier
	s_load_dword s2, s[22:23], 0x8
	v_lshlrev_b32_e32 v38, 2, v57
	v_add_u32_e32 v46, 0x800, v38
	ds_read2_b32 v[38:39], v46 offset0:128 offset1:133
	ds_read2_b32 v[42:43], v46 offset0:138 offset1:143
	s_mul_i32 s3, s6, s7
	s_waitcnt lgkmcnt(0)
	s_mul_i32 s2, s3, s2
	s_mov_b32 s3, 0xff7fffff
	v_max3_f32 v41, v38, s3, v39
	v_max3_f32 v41, v41, v42, v43
	v_sub_f32_e32 v38, v38, v41
	v_mul_f32_e32 v38, 0x3fb8aa3b, v38
	ds_read2_b32 v[44:45], v46 offset0:148 offset1:153
	v_exp_f32_e32 v47, v38
	v_sub_f32_e32 v38, v39, v41
	v_sub_f32_e32 v42, v42, v41
	v_mul_f32_e32 v38, 0x3fb8aa3b, v38
	v_mul_f32_e32 v42, 0x3fb8aa3b, v42
	v_exp_f32_e32 v48, v38
	ds_read2_b32 v[38:39], v46 offset0:158 offset1:163
	v_exp_f32_e32 v46, v42
	v_sub_f32_e32 v42, v43, v41
	v_mul_f32_e32 v42, 0x3fb8aa3b, v42
	v_exp_f32_e32 v43, v42
	s_waitcnt lgkmcnt(1)
	v_fma_f32 v42, v47, v44, 0
	v_fmac_f32_e32 v42, v48, v45
	s_waitcnt lgkmcnt(0)
	v_fmac_f32_e32 v42, v46, v38
	s_mul_i32 s2, s2, 3
	v_fmac_f32_e32 v42, v43, v39
	v_cmp_ne_u32_e32 vcc, 3, v57
	s_and_saveexec_b64 s[4:5], vcc
	s_cbranch_execz .LBB2_21
; %bb.20:
	s_mov_b32 s3, 0
	s_lshl_b64 s[8:9], s[2:3], 2
	s_add_u32 s6, s12, s8
	s_mov_b32 s11, s3
	s_addc_u32 s16, s13, s9
	s_lshl_b64 s[12:13], s[10:11], 2
	s_add_u32 s3, s6, s12
	s_addc_u32 s6, s16, s13
	v_add_u32_e32 v38, s33, v57
	s_add_u32 s8, s14, s8
	v_mul_lo_u32 v38, s7, v38
	v_mov_b32_e32 v39, 0
	s_addc_u32 s9, s15, s9
	v_lshlrev_b64 v[38:39], 2, v[38:39]
	s_add_u32 s8, s8, s12
	v_mov_b32_e32 v43, s6
	v_add_co_u32_e32 v44, vcc, s3, v38
	s_addc_u32 s9, s9, s13
	v_addc_co_u32_e32 v45, vcc, v43, v39, vcc
	v_mov_b32_e32 v43, s9
	v_add_co_u32_e32 v38, vcc, s8, v38
	v_addc_co_u32_e32 v39, vcc, v43, v39, vcc
	global_store_dword v[38:39], v41, off
	global_store_dword v[44:45], v42, off
.LBB2_21:
	s_or_b64 exec, exec, s[4:5]
	v_mov_b32_e32 v38, 0
	v_mov_b32_e32 v39, 0
	s_and_saveexec_b64 s[4:5], s[0:1]
	s_cbranch_execz .LBB2_23
; %bb.22:
	v_add_f32_e32 v38, 0x358637bd, v42
	v_div_scale_f32 v39, s[0:1], v38, v38, 1.0
	v_rcp_f32_e32 v42, v39
	v_div_scale_f32 v43, vcc, 1.0, v38, 1.0
	v_sub_f32_e32 v40, v40, v41
	v_fma_f32 v44, -v39, v42, 1.0
	v_fmac_f32_e32 v42, v44, v42
	v_mul_f32_e32 v44, v43, v42
	v_fma_f32 v45, -v39, v44, v43
	v_mul_f32_e32 v40, 0x3fb8aa3b, v40
	v_fmac_f32_e32 v44, v45, v42
	v_exp_f32_e32 v40, v40
	v_fma_f32 v39, -v39, v44, v43
	v_div_fmas_f32 v39, v39, v42, v44
	v_div_fixup_f32 v38, v39, v38, 1.0
	v_mul_f32_e32 v38, v40, v38
	v_pk_mul_f32 v[36:37], v[36:37], v[38:39] op_sel_hi:[1,0]
	v_pk_mul_f32 v[34:35], v[34:35], v[38:39] op_sel_hi:[1,0]
	v_cvt_f16_f32_e32 v34, v34
	v_cvt_f16_f32_e32 v35, v35
	;; [unrolled: 1-line block ×4, first 2 shown]
	s_mov_b32 s0, 0x5040100
	v_pack_b32_f16 v34, v34, v35
	v_pack_b32_f16 v35, v36, v37
	s_waitcnt vmcnt(7)
	s_nop 0
	v_mfma_f32_4x4x4f16 a[0:3], v[34:35], v[2:3], 0 cbsz:4
	v_mfma_f32_4x4x4f16 a[0:3], v[34:35], v[4:5], a[0:3] cbsz:4 abid:1
	s_waitcnt vmcnt(6)
	v_mfma_f32_4x4x4f16 a[0:3], v[34:35], v[6:7], a[0:3] cbsz:4 abid:2
	v_mfma_f32_4x4x4f16 a[0:3], v[34:35], v[8:9], a[0:3] cbsz:4 abid:3
	s_waitcnt vmcnt(5)
	v_mfma_f32_4x4x4f16 a[0:3], v[34:35], v[10:11], a[0:3] cbsz:4 abid:4
	;; [unrolled: 3-line block ×7, first 2 shown]
	v_mfma_f32_4x4x4f16 a[0:3], v[34:35], v[32:33], a[0:3] cbsz:4 abid:15
	s_nop 4
	v_accvgpr_read_b32 v2, a0
	v_accvgpr_read_b32 v3, a1
	;; [unrolled: 1-line block ×4, first 2 shown]
	v_cvt_f16_f32_e32 v2, v2
	v_cvt_f16_f32_e32 v3, v3
	;; [unrolled: 1-line block ×4, first 2 shown]
	v_perm_b32 v38, v3, v2, s0
	v_perm_b32 v39, v5, v4, s0
.LBB2_23:
	s_or_b64 exec, exec, s[4:5]
	v_lshlrev_b32_e32 v1, 3, v1
	v_mad_u32_u24 v1, v56, 40, v1
	v_cmp_gt_u32_e32 vcc, 64, v0
	ds_write_b64 v1, v[38:39]
	s_waitcnt lgkmcnt(0)
	s_barrier
	s_and_saveexec_b64 s[0:1], vcc
	s_cbranch_execz .LBB2_25
; %bb.24:
	v_mul_u32_u24_e32 v1, 40, v56
	s_waitcnt vmcnt(7)
	ds_read2_b64 v[2:5], v1 offset1:1
	s_waitcnt vmcnt(6)
	ds_read2_b64 v[6:9], v1 offset0:2 offset1:3
	s_mov_b32 s1, 0
	s_lshl_b32 s0, s2, 6
	s_lshl_b64 s[2:3], s[0:1], 1
	s_add_u32 s2, s20, s2
	s_addc_u32 s3, s21, s3
	s_lshl_b32 s0, s10, 6
	s_lshl_b64 s[0:1], s[0:1], 1
	s_waitcnt lgkmcnt(1)
	v_pk_add_f16 v1, v2, 0
	v_pk_add_f16 v2, v3, 0
	s_add_u32 s0, s2, s0
	v_pk_add_f16 v2, v2, v5
	s_addc_u32 s1, s3, s1
	s_lshl_b32 s2, s7, 6
	v_pk_add_f16 v1, v1, v4
	s_waitcnt lgkmcnt(0)
	v_pk_add_f16 v2, v2, v7
	s_mul_i32 s3, s2, s33
	v_pk_add_f16 v1, v1, v6
	v_pk_add_f16 v6, v2, v9
	v_or_b32_e32 v2, s3, v0
	v_mov_b32_e32 v3, 0
	v_lshlrev_b64 v[4:5], 1, v[2:3]
	v_mov_b32_e32 v2, s1
	v_add_co_u32_e32 v4, vcc, s0, v4
	s_add_i32 s3, s3, s2
	v_pk_add_f16 v1, v1, v8
	v_addc_co_u32_e32 v5, vcc, v2, v5, vcc
	v_or_b32_e32 v2, s3, v0
	global_store_short v[4:5], v1, off
	v_lshlrev_b64 v[4:5], 1, v[2:3]
	v_mov_b32_e32 v2, s1
	v_add_co_u32_e32 v4, vcc, s0, v4
	s_add_i32 s3, s3, s2
	v_addc_co_u32_e32 v5, vcc, v2, v5, vcc
	v_or_b32_e32 v2, s3, v0
	global_store_short_d16_hi v[4:5], v1, off
	v_lshlrev_b64 v[0:1], 1, v[2:3]
	v_mov_b32_e32 v2, s1
	v_add_co_u32_e32 v0, vcc, s0, v0
	v_addc_co_u32_e32 v1, vcc, v2, v1, vcc
	global_store_short v[0:1], v6, off
.LBB2_25:
	s_endpgm
	.section	.rodata,"a",@progbits
	.p2align	6, 0x0
	.amdhsa_kernel _Z38paged_attention_ll4mi_QKV_mfma4_kernelIDF16_DF16_LN4vllm18Fp8KVCacheDataTypeE0EDF16_Li16ELi64ELi256ELb1ELi3EEvPKT_PKT0_S7_ifPKiS9_S9_iPKfiiiPfSC_PS2_PT2_iSB_SB_
		.amdhsa_group_segment_fixed_size 2720
		.amdhsa_private_segment_fixed_size 0
		.amdhsa_kernarg_size 400
		.amdhsa_user_sgpr_count 6
		.amdhsa_user_sgpr_private_segment_buffer 1
		.amdhsa_user_sgpr_dispatch_ptr 0
		.amdhsa_user_sgpr_queue_ptr 0
		.amdhsa_user_sgpr_kernarg_segment_ptr 1
		.amdhsa_user_sgpr_dispatch_id 0
		.amdhsa_user_sgpr_flat_scratch_init 0
		.amdhsa_user_sgpr_kernarg_preload_length 0
		.amdhsa_user_sgpr_kernarg_preload_offset 0
		.amdhsa_user_sgpr_private_segment_size 0
		.amdhsa_uses_dynamic_stack 0
		.amdhsa_system_sgpr_private_segment_wavefront_offset 0
		.amdhsa_system_sgpr_workgroup_id_x 1
		.amdhsa_system_sgpr_workgroup_id_y 1
		.amdhsa_system_sgpr_workgroup_id_z 1
		.amdhsa_system_sgpr_workgroup_info 0
		.amdhsa_system_vgpr_workitem_id 0
		.amdhsa_next_free_vgpr 72
		.amdhsa_next_free_sgpr 38
		.amdhsa_accum_offset 68
		.amdhsa_reserve_vcc 1
		.amdhsa_reserve_flat_scratch 0
		.amdhsa_float_round_mode_32 0
		.amdhsa_float_round_mode_16_64 0
		.amdhsa_float_denorm_mode_32 3
		.amdhsa_float_denorm_mode_16_64 3
		.amdhsa_dx10_clamp 1
		.amdhsa_ieee_mode 1
		.amdhsa_fp16_overflow 0
		.amdhsa_tg_split 0
		.amdhsa_exception_fp_ieee_invalid_op 0
		.amdhsa_exception_fp_denorm_src 0
		.amdhsa_exception_fp_ieee_div_zero 0
		.amdhsa_exception_fp_ieee_overflow 0
		.amdhsa_exception_fp_ieee_underflow 0
		.amdhsa_exception_fp_ieee_inexact 0
		.amdhsa_exception_int_div_zero 0
	.end_amdhsa_kernel
	.section	.text._Z38paged_attention_ll4mi_QKV_mfma4_kernelIDF16_DF16_LN4vllm18Fp8KVCacheDataTypeE0EDF16_Li16ELi64ELi256ELb1ELi3EEvPKT_PKT0_S7_ifPKiS9_S9_iPKfiiiPfSC_PS2_PT2_iSB_SB_,"axG",@progbits,_Z38paged_attention_ll4mi_QKV_mfma4_kernelIDF16_DF16_LN4vllm18Fp8KVCacheDataTypeE0EDF16_Li16ELi64ELi256ELb1ELi3EEvPKT_PKT0_S7_ifPKiS9_S9_iPKfiiiPfSC_PS2_PT2_iSB_SB_,comdat
.Lfunc_end2:
	.size	_Z38paged_attention_ll4mi_QKV_mfma4_kernelIDF16_DF16_LN4vllm18Fp8KVCacheDataTypeE0EDF16_Li16ELi64ELi256ELb1ELi3EEvPKT_PKT0_S7_ifPKiS9_S9_iPKfiiiPfSC_PS2_PT2_iSB_SB_, .Lfunc_end2-_Z38paged_attention_ll4mi_QKV_mfma4_kernelIDF16_DF16_LN4vllm18Fp8KVCacheDataTypeE0EDF16_Li16ELi64ELi256ELb1ELi3EEvPKT_PKT0_S7_ifPKiS9_S9_iPKfiiiPfSC_PS2_PT2_iSB_SB_
                                        ; -- End function
	.section	.AMDGPU.csdata,"",@progbits
; Kernel info:
; codeLenInByte = 3296
; NumSgprs: 42
; NumVgprs: 67
; NumAgprs: 4
; TotalNumVgprs: 72
; ScratchSize: 0
; MemoryBound: 0
; FloatMode: 240
; IeeeMode: 1
; LDSByteSize: 2720 bytes/workgroup (compile time only)
; SGPRBlocks: 5
; VGPRBlocks: 8
; NumSGPRsForWavesPerEU: 42
; NumVGPRsForWavesPerEU: 72
; AccumOffset: 68
; Occupancy: 7
; WaveLimiterHint : 1
; COMPUTE_PGM_RSRC2:SCRATCH_EN: 0
; COMPUTE_PGM_RSRC2:USER_SGPR: 6
; COMPUTE_PGM_RSRC2:TRAP_HANDLER: 0
; COMPUTE_PGM_RSRC2:TGID_X_EN: 1
; COMPUTE_PGM_RSRC2:TGID_Y_EN: 1
; COMPUTE_PGM_RSRC2:TGID_Z_EN: 1
; COMPUTE_PGM_RSRC2:TIDIG_COMP_CNT: 0
; COMPUTE_PGM_RSRC3_GFX90A:ACCUM_OFFSET: 16
; COMPUTE_PGM_RSRC3_GFX90A:TG_SPLIT: 0
	.section	.text._Z38paged_attention_ll4mi_QKV_mfma4_kernelIDF16_DF16_LN4vllm18Fp8KVCacheDataTypeE0EDF16_Li16ELi64ELi256ELb1ELi4EEvPKT_PKT0_S7_ifPKiS9_S9_iPKfiiiPfSC_PS2_PT2_iSB_SB_,"axG",@progbits,_Z38paged_attention_ll4mi_QKV_mfma4_kernelIDF16_DF16_LN4vllm18Fp8KVCacheDataTypeE0EDF16_Li16ELi64ELi256ELb1ELi4EEvPKT_PKT0_S7_ifPKiS9_S9_iPKfiiiPfSC_PS2_PT2_iSB_SB_,comdat
	.protected	_Z38paged_attention_ll4mi_QKV_mfma4_kernelIDF16_DF16_LN4vllm18Fp8KVCacheDataTypeE0EDF16_Li16ELi64ELi256ELb1ELi4EEvPKT_PKT0_S7_ifPKiS9_S9_iPKfiiiPfSC_PS2_PT2_iSB_SB_ ; -- Begin function _Z38paged_attention_ll4mi_QKV_mfma4_kernelIDF16_DF16_LN4vllm18Fp8KVCacheDataTypeE0EDF16_Li16ELi64ELi256ELb1ELi4EEvPKT_PKT0_S7_ifPKiS9_S9_iPKfiiiPfSC_PS2_PT2_iSB_SB_
	.globl	_Z38paged_attention_ll4mi_QKV_mfma4_kernelIDF16_DF16_LN4vllm18Fp8KVCacheDataTypeE0EDF16_Li16ELi64ELi256ELb1ELi4EEvPKT_PKT0_S7_ifPKiS9_S9_iPKfiiiPfSC_PS2_PT2_iSB_SB_
	.p2align	8
	.type	_Z38paged_attention_ll4mi_QKV_mfma4_kernelIDF16_DF16_LN4vllm18Fp8KVCacheDataTypeE0EDF16_Li16ELi64ELi256ELb1ELi4EEvPKT_PKT0_S7_ifPKiS9_S9_iPKfiiiPfSC_PS2_PT2_iSB_SB_,@function
_Z38paged_attention_ll4mi_QKV_mfma4_kernelIDF16_DF16_LN4vllm18Fp8KVCacheDataTypeE0EDF16_Li16ELi64ELi256ELb1ELi4EEvPKT_PKT0_S7_ifPKiS9_S9_iPKfiiiPfSC_PS2_PT2_iSB_SB_: ; @_Z38paged_attention_ll4mi_QKV_mfma4_kernelIDF16_DF16_LN4vllm18Fp8KVCacheDataTypeE0EDF16_Li16ELi64ELi256ELb1ELi4EEvPKT_PKT0_S7_ifPKiS9_S9_iPKfiiiPfSC_PS2_PT2_iSB_SB_
; %bb.0:
	s_load_dwordx2 s[2:3], s[4:5], 0x30
	s_mov_b32 s10, s7
	s_mov_b64 s[0:1], 0
	s_waitcnt lgkmcnt(0)
	s_cmp_lg_u64 s[2:3], 0
	s_cselect_b64 s[16:17], -1, 0
	s_and_b64 vcc, exec, s[16:17]
	s_cbranch_vccz .LBB3_18
; %bb.1:
	s_add_i32 s12, s6, 1
	s_mov_b32 s13, 0
	s_lshl_b64 s[14:15], s[12:13], 2
	s_add_u32 s14, s2, s14
	s_mov_b32 s7, s13
	s_addc_u32 s15, s3, s15
	s_lshl_b64 s[12:13], s[6:7], 2
	s_add_u32 s12, s2, s12
	s_addc_u32 s13, s3, s13
	s_load_dword s9, s[14:15], 0x0
	s_load_dword s11, s[12:13], 0x0
	s_mov_b64 s[30:31], s[6:7]
	s_waitcnt lgkmcnt(0)
	s_sub_i32 s9, s9, s11
	s_cmp_eq_u32 s9, 1
	s_cselect_b64 s[12:13], -1, 0
	s_andn2_b64 vcc, exec, s[0:1]
	s_cbranch_vccnz .LBB3_3
.LBB3_2:
	s_mov_b32 s7, 0
	s_mov_b64 s[12:13], -1
	s_mov_b64 s[30:31], s[6:7]
.LBB3_3:
	s_andn2_b64 vcc, exec, s[12:13]
	s_cbranch_vccnz .LBB3_17
; %bb.4:
	s_load_dword s7, s[4:5], 0x9c
	s_load_dwordx2 s[0:1], s[4:5], 0x28
	s_add_u32 s26, s4, 0x90
	s_addc_u32 s27, s5, 0
	s_lshl_b64 s[18:19], s[30:31], 2
	s_waitcnt lgkmcnt(0)
	s_and_b32 s7, s7, 0xffff
	s_add_u32 s0, s0, s18
	s_addc_u32 s1, s1, s19
	s_load_dword s9, s[0:1], 0x0
	s_mul_i32 s11, s10, s7
	s_waitcnt lgkmcnt(0)
	s_cmp_ge_i32 s11, s9
	s_cbranch_scc1 .LBB3_17
; %bb.5:
	v_and_b32_e32 v2, 0xc0, v0
	v_and_b32_e32 v41, 3, v0
	s_lshl_b32 s7, s8, 2
	v_add_u32_e32 v2, s11, v2
	v_lshrrev_b32_e32 v1, 6, v0
	v_cmp_gt_i32_e64 s[0:1], s9, v2
	v_cmp_le_i32_e32 vcc, s9, v2
	v_or_b32_e32 v34, s7, v41
                                        ; implicit-def: $sgpr21
                                        ; implicit-def: $sgpr20
	s_and_saveexec_b64 s[12:13], vcc
	s_xor_b64 s[12:13], exec, s[12:13]
	s_cbranch_execz .LBB3_7
; %bb.6:
	v_mul_u32_u24_e32 v2, 20, v1
	v_or_b32_e32 v2, 0xa00, v2
	v_mov_b32_e32 v3, 0xa50
	v_mov_b32_e32 v4, 0xff7fffff
	v_mad_u32_u24 v3, v1, 20, v3
	ds_write2_b32 v2, v4, v4 offset1:1
	v_mov_b32_e32 v2, 0
	ds_write2_b32 v3, v2, v2 offset1:1
	v_mov_b32_e32 v3, 0xa08
	s_mov_b32 s20, 0xff7fffff
	s_mov_b32 s21, 0
	v_mad_u32_u24 v3, v1, 20, v3
	v_mov_b32_e32 v5, 0xa58
	v_or_b32_e32 v34, s7, v41
	v_mad_u32_u24 v5, v1, 20, v5
	ds_write2_b32 v3, v4, v4 offset1:1
	ds_write2_b32 v5, v2, v2 offset1:1
                                        ; implicit-def: $vgpr2
.LBB3_7:
	s_or_saveexec_b64 s[28:29], s[12:13]
	s_load_dwordx2 s[24:25], s[4:5], 0x68
	s_load_dwordx4 s[12:15], s[4:5], 0x58
	s_load_dword s33, s[26:27], 0x4
	v_and_b32_e32 v40, 63, v0
	v_mov_b32_e32 v39, s21
	v_mov_b32_e32 v42, s20
	;; [unrolled: 1-line block ×5, first 2 shown]
                                        ; implicit-def: $vgpr3
                                        ; implicit-def: $vgpr7
                                        ; implicit-def: $vgpr11
                                        ; implicit-def: $vgpr15
                                        ; implicit-def: $vgpr19
                                        ; implicit-def: $vgpr23
                                        ; implicit-def: $vgpr27
                                        ; implicit-def: $vgpr31
	s_xor_b64 exec, exec, s[28:29]
	s_cbranch_execz .LBB3_13
; %bb.8:
	s_add_i32 s23, s9, 15
	s_load_dwordx2 s[20:21], s[4:5], 0x20
	s_load_dword s22, s[4:5], 0x38
	s_ashr_i32 s34, s23, 31
	s_lshr_b32 s34, s34, 28
	v_add_u32_e32 v36, s11, v0
	s_add_i32 s23, s23, s34
	v_ashrrev_i32_e32 v3, 31, v36
	s_ashr_i32 s23, s23, 4
	v_lshrrev_b32_e32 v3, 28, v3
	s_add_i32 s34, s23, -1
	v_add_u32_e32 v3, v36, v3
	s_waitcnt lgkmcnt(0)
	s_mul_i32 s38, s6, s22
	s_mov_b32 s39, 0
	v_ashrrev_i32_e32 v3, 4, v3
	v_mov_b32_e32 v4, s34
	v_cmp_gt_i32_e32 vcc, s9, v36
	s_lshl_b64 s[22:23], s[38:39], 2
	v_cndmask_b32_e32 v4, v4, v3, vcc
	s_add_u32 s20, s20, s22
	v_ashrrev_i32_e32 v5, 31, v4
	s_addc_u32 s21, s21, s23
	v_lshlrev_b64 v[4:5], 2, v[4:5]
	v_mov_b32_e32 v3, s21
	v_add_co_u32_e32 v8, vcc, s20, v4
	v_addc_co_u32_e32 v9, vcc, v3, v5, vcc
	v_ashrrev_i32_e32 v3, 31, v2
	v_lshrrev_b32_e32 v3, 28, v3
	v_add_u32_e32 v2, v2, v3
	v_ashrrev_i32_e32 v4, 4, v2
	v_min_i32_e32 v2, s34, v4
	v_ashrrev_i32_e32 v3, 31, v2
	v_lshlrev_b64 v[2:3], 2, v[2:3]
	v_add_co_u32_e32 v10, vcc, s20, v2
	v_add_u32_e32 v2, 1, v4
	v_mov_b32_e32 v5, s21
	v_min_i32_e32 v2, s34, v2
	v_addc_co_u32_e32 v11, vcc, v5, v3, vcc
	v_ashrrev_i32_e32 v3, 31, v2
	v_lshlrev_b64 v[2:3], 2, v[2:3]
	v_add_co_u32_e32 v12, vcc, s20, v2
	v_add_u32_e32 v2, 2, v4
	v_min_i32_e32 v2, s34, v2
	v_addc_co_u32_e32 v13, vcc, v5, v3, vcc
	v_ashrrev_i32_e32 v3, 31, v2
	v_lshlrev_b64 v[2:3], 2, v[2:3]
	v_add_co_u32_e32 v14, vcc, s20, v2
	v_add_u32_e32 v2, 3, v4
	v_min_i32_e32 v2, s34, v2
	v_addc_co_u32_e32 v15, vcc, v5, v3, vcc
	v_ashrrev_i32_e32 v3, 31, v2
	v_lshlrev_b64 v[2:3], 2, v[2:3]
	v_mov_b32_e32 v4, s21
	v_add_co_u32_e32 v16, vcc, s20, v2
	v_addc_co_u32_e32 v17, vcc, v4, v3, vcc
	global_load_dword v6, v[8:9], off
	global_load_dword v2, v[10:11], off
	;; [unrolled: 1-line block ×5, first 2 shown]
	s_load_dwordx2 s[36:37], s[4:5], 0x40
	s_load_dwordx4 s[20:23], s[4:5], 0x0
	s_load_dwordx2 s[34:35], s[4:5], 0x10
	s_andn2_b64 vcc, exec, s[16:17]
	s_cbranch_vccnz .LBB3_10
; %bb.9:
	s_add_u32 s2, s2, s18
	s_addc_u32 s3, s3, s19
	s_load_dword s38, s[2:3], 0x0
	s_waitcnt lgkmcnt(0)
	s_mov_b64 s[30:31], s[38:39]
.LBB3_10:
	s_load_dwordx4 s[16:19], s[4:5], 0x48
	v_lshrrev_b32_e32 v7, 2, v40
	v_lshlrev_b32_e32 v8, 3, v41
	v_add_lshl_u32 v7, v8, v7, 4
	v_mov_b32_e32 v35, 0
	s_waitcnt lgkmcnt(0)
	s_ashr_i32 s3, s16, 31
	s_mul_hi_u32 s11, s30, s16
	s_mul_i32 s3, s30, s3
	s_mul_i32 s19, s31, s16
	s_add_i32 s3, s11, s3
	s_mul_i32 s2, s30, s16
	s_add_i32 s3, s3, s19
	s_lshl_b64 s[2:3], s[2:3], 1
	s_add_u32 s11, s20, s2
	s_addc_u32 s16, s21, s3
	s_lshl_b32 s38, s8, 8
	s_lshl_b64 s[2:3], s[38:39], 1
	s_add_u32 s2, s11, s2
	s_addc_u32 s3, s16, s3
	global_load_dwordx4 v[42:45], v7, s[2:3]
	s_waitcnt vmcnt(5)
	v_mad_i64_i32 v[6:7], s[2:3], v6, s17, 0
	s_mul_i32 s38, s8, s18
	s_lshl_b64 s[2:3], s[38:39], 1
	s_add_u32 s8, s2, s22
	v_lshlrev_b64 v[6:7], 1, v[6:7]
	s_addc_u32 s11, s3, s23
	v_mov_b32_e32 v8, s11
	v_add_co_u32_e32 v6, vcc, s8, v6
	v_addc_co_u32_e32 v7, vcc, v8, v7, vcc
	v_and_b32_e32 v8, 15, v0
	v_lshlrev_b32_e32 v8, 4, v8
	v_add_co_u32_e32 v38, vcc, v6, v8
	v_addc_co_u32_e32 v39, vcc, 0, v7, vcc
	global_load_dwordx4 v[6:9], v[38:39], off
	global_load_dwordx4 v[10:13], v[38:39], off offset:256
	global_load_dwordx4 v[14:17], v[38:39], off offset:512
	;; [unrolled: 1-line block ×7, first 2 shown]
	v_lshlrev_b64 v[50:51], 2, v[34:35]
	v_mov_b32_e32 v37, s37
	v_add_co_u32_e32 v50, vcc, s36, v50
	v_addc_co_u32_e32 v51, vcc, v37, v51, vcc
	v_mov_b32_e32 v53, v35
	v_mov_b32_e32 v39, v35
	;; [unrolled: 1-line block ×4, first 2 shown]
	global_load_dword v35, v[50:51], off
	s_waitcnt vmcnt(13)
	v_mul_hi_i32 v37, v2, s17
	s_waitcnt vmcnt(12)
	v_mul_hi_i32 v38, v3, s17
	;; [unrolled: 2-line block ×4, first 2 shown]
	v_ashrrev_i32_e32 v37, 31, v37
	v_ashrrev_i32_e32 v38, 31, v38
	;; [unrolled: 1-line block ×4, first 2 shown]
	v_lshrrev_b32_e32 v52, 29, v37
	v_lshrrev_b32_e32 v38, 29, v38
	;; [unrolled: 1-line block ×4, first 2 shown]
	v_mad_i64_i32 v[50:51], s[18:19], v2, s17, v[52:53]
	s_add_u32 s2, s34, s2
	v_lshlrev_b32_e32 v58, 5, v40
	v_mad_i64_i32 v[2:3], s[18:19], v3, s17, v[38:39]
	v_mad_i64_i32 v[38:39], s[18:19], v4, s17, v[54:55]
	;; [unrolled: 1-line block ×3, first 2 shown]
	v_lshlrev_b64 v[50:51], 1, v[50:51]
	s_addc_u32 s3, s35, s3
	v_lshlrev_b64 v[52:53], 1, v[4:5]
	v_and_b32_e32 v4, -16, v50
	v_add_co_u32_e32 v50, vcc, s2, v58
	v_and_b32_e32 v37, -16, v52
	v_lshlrev_b64 v[2:3], 1, v[2:3]
	v_and_b32_e32 v2, -16, v2
	v_lshlrev_b64 v[38:39], 1, v[38:39]
	v_and_b32_e32 v5, -16, v38
	s_load_dword s4, s[4:5], 0x1c
	s_waitcnt vmcnt(8)
	v_mfma_f32_4x4x4f16 a[0:3], v[42:43], v[6:7], 0 cbsz:4
	v_mov_b32_e32 v6, s3
	v_mfma_f32_4x4x4f16 a[0:3], v[44:45], v[8:9], a[0:3] cbsz:4
	v_addc_co_u32_e32 v52, vcc, 0, v6, vcc
	s_waitcnt vmcnt(7)
	v_mfma_f32_4x4x4f16 a[0:3], v[42:43], v[10:11], a[0:3] cbsz:4 abid:1
	v_add_co_u32_e32 v10, vcc, v50, v4
	v_mfma_f32_4x4x4f16 a[0:3], v[44:45], v[12:13], a[0:3] cbsz:4 abid:1
	v_addc_co_u32_e32 v11, vcc, v52, v51, vcc
	s_waitcnt vmcnt(6)
	v_mfma_f32_4x4x4f16 a[0:3], v[42:43], v[14:15], a[0:3] cbsz:4 abid:2
	v_mfma_f32_4x4x4f16 a[0:3], v[44:45], v[16:17], a[0:3] cbsz:4 abid:2
	s_waitcnt vmcnt(5)
	v_mfma_f32_4x4x4f16 a[0:3], v[42:43], v[18:19], a[0:3] cbsz:4 abid:3
	v_add_co_u32_e32 v18, vcc, v50, v2
	v_mfma_f32_4x4x4f16 a[0:3], v[44:45], v[20:21], a[0:3] cbsz:4 abid:3
	v_addc_co_u32_e32 v19, vcc, v52, v3, vcc
	s_waitcnt vmcnt(4)
	v_mfma_f32_4x4x4f16 a[0:3], v[42:43], v[22:23], a[0:3] cbsz:4 abid:4
	v_add_co_u32_e32 v38, vcc, v50, v5
	v_mfma_f32_4x4x4f16 a[0:3], v[44:45], v[24:25], a[0:3] cbsz:4 abid:4
	v_addc_co_u32_e32 v39, vcc, v52, v39, vcc
	s_waitcnt vmcnt(3)
	v_mfma_f32_4x4x4f16 a[0:3], v[42:43], v[26:27], a[0:3] cbsz:4 abid:5
	global_load_dwordx4 v[2:5], v[10:11], off
	global_load_dwordx4 v[6:9], v[10:11], off offset:16
	v_mfma_f32_4x4x4f16 a[0:3], v[44:45], v[28:29], a[0:3] cbsz:4 abid:5
	global_load_dwordx4 v[10:13], v[18:19], off
	global_load_dwordx4 v[14:17], v[18:19], off offset:16
	s_waitcnt vmcnt(6)
	v_mfma_f32_4x4x4f16 a[0:3], v[42:43], v[30:31], a[0:3] cbsz:4 abid:6
	global_load_dwordx4 v[18:21], v[38:39], off
	global_load_dwordx4 v[22:25], v[38:39], off offset:16
	v_add_co_u32_e32 v38, vcc, v50, v37
	v_addc_co_u32_e32 v39, vcc, v52, v53, vcc
	v_mfma_f32_4x4x4f16 a[0:3], v[44:45], v[32:33], a[0:3] cbsz:4 abid:6
	global_load_dwordx4 v[26:29], v[38:39], off
	global_load_dwordx4 v[30:33], v[38:39], off offset:16
	s_waitcnt vmcnt(9)
	v_mfma_f32_4x4x4f16 a[0:3], v[42:43], v[46:47], a[0:3] cbsz:4 abid:7
	v_cmp_eq_u32_e32 vcc, 0, v41
	v_mfma_f32_4x4x4f16 a[0:3], v[44:45], v[48:49], a[0:3] cbsz:4 abid:7
	v_cndmask_b32_e64 v37, 0, 1.0, vcc
	v_cmp_eq_u32_e32 vcc, 1, v41
	s_nop 2
	v_accvgpr_read_b32 v43, a1
	v_accvgpr_read_b32 v42, a0
	s_waitcnt lgkmcnt(0)
	v_pk_mul_f32 v[42:43], s[4:5], v[42:43] op_sel_hi:[0,1]
	v_accvgpr_read_b32 v39, a3
	v_accvgpr_read_b32 v38, a2
	v_pk_mul_f32 v[38:39], s[4:5], v[38:39] op_sel_hi:[0,1]
	v_mfma_f32_4x4x1f32 a[0:3], v42, v37, 0
	v_cndmask_b32_e64 v37, 0, 1.0, vcc
	v_cmp_eq_u32_e32 vcc, 2, v41
	s_nop 0
	v_mfma_f32_4x4x1f32 a[0:3], v43, v37, a[0:3]
	v_cndmask_b32_e64 v37, 0, 1.0, vcc
	v_cmp_eq_u32_e32 vcc, 3, v41
	s_nop 0
	v_mfma_f32_4x4x1f32 a[0:3], v38, v37, a[0:3]
	v_cndmask_b32_e64 v37, 0, 1.0, vcc
	s_nop 1
	v_mfma_f32_4x4x1f32 a[0:3], v39, v37, a[0:3]
	v_and_b32_e32 v37, -4, v36
	v_subrev_u32_e32 v38, s9, v37
	v_add_u32_e32 v39, 1, v38
	v_cvt_f32_i32_e32 v39, v39
	v_add_u32_e32 v42, 2, v38
	v_cvt_f32_i32_e32 v42, v42
	v_accvgpr_read_b32 v43, a0
	s_waitcnt vmcnt(8)
	v_fma_f32 v39, v35, v39, v43
	v_accvgpr_read_b32 v43, a1
	v_fma_f32 v43, v35, v42, v43
	v_add_u32_e32 v42, 3, v38
	v_add_u32_e32 v38, 4, v38
	v_cvt_f32_i32_e32 v42, v42
	v_cvt_f32_i32_e32 v38, v38
	v_accvgpr_read_b32 v44, a2
	v_accvgpr_read_b32 v45, a3
	v_fma_f32 v44, v35, v42, v44
	v_fmac_f32_e32 v45, v35, v38
	v_max_f32_e32 v38, 0xff7fffff, v39
	v_mov_b32_e32 v42, 0xff7fffff
	v_cmp_gt_i32_e32 vcc, s9, v37
	v_cndmask_b32_e32 v38, v42, v38, vcc
	v_or_b32_e32 v42, 1, v37
	v_max_f32_e32 v46, v38, v43
	v_cmp_gt_i32_e64 s[2:3], s9, v42
	v_cndmask_b32_e64 v38, v38, v46, s[2:3]
	v_or_b32_e32 v37, 2, v37
	v_max_f32_e32 v42, v38, v44
	v_cmp_gt_i32_e64 s[4:5], s9, v37
	v_cndmask_b32_e64 v37, v38, v42, s[4:5]
	v_or_b32_e32 v36, 3, v36
	v_max_f32_e32 v38, v37, v45
	v_cmp_gt_i32_e64 s[8:9], s9, v36
	v_lshlrev_b32_e32 v35, 2, v0
	v_cndmask_b32_e64 v36, v37, v38, s[8:9]
	v_and_or_b32 v35, v35, 48, v41
	;;#ASMSTART
	v_nop
 v_nop
 v_max_f32_dpp v36, v36, v36 row_ror:4
	;;#ASMEND
	v_lshlrev_b32_e32 v35, 2, v35
	;;#ASMSTART
	v_nop
 v_nop
 v_max_f32_dpp v36, v36, v36 row_ror:8
	;;#ASMEND
	ds_bpermute_b32 v36, v35, v36
	s_waitcnt lgkmcnt(0)
	;;#ASMSTART
	v_nop
 v_nop
 v_max_f32_dpp v36, v36, v36 row_ror:4
	;;#ASMEND
	;;#ASMSTART
	v_nop
 v_nop
 v_max_f32_dpp v42, v36, v36 row_ror:8
	;;#ASMEND
	v_sub_f32_e32 v36, v39, v42
	v_mul_f32_e32 v36, 0x3fb8aa3b, v36
	v_sub_f32_e32 v37, v43, v42
	v_exp_f32_e32 v36, v36
	v_mul_f32_e32 v37, 0x3fb8aa3b, v37
	v_sub_f32_e32 v39, v44, v42
	v_exp_f32_e32 v37, v37
	;; [unrolled: 3-line block ×3, first 2 shown]
	v_mul_f32_e32 v43, 0x3fb8aa3b, v43
	v_exp_f32_e32 v43, v43
	v_cndmask_b32_e32 v36, 0, v36, vcc
	v_add_f32_e32 v38, 0, v36
	v_cndmask_b32_e64 v37, 0, v37, s[2:3]
	v_add_f32_e32 v44, v38, v37
	v_cndmask_b32_e64 v38, 0, v39, s[4:5]
	;; [unrolled: 2-line block ×3, first 2 shown]
	v_add_f32_e32 v43, v44, v39
	;;#ASMSTART
	v_nop
 v_nop
 v_add_f32_dpp v43, v43, v43 row_ror:4
	;;#ASMEND
	;;#ASMSTART
	v_nop
 v_nop
 v_add_f32_dpp v43, v43, v43 row_ror:8
	;;#ASMEND
	ds_bpermute_b32 v35, v35, v43
	s_waitcnt lgkmcnt(0)
	;;#ASMSTART
	v_nop
 v_nop
 v_add_f32_dpp v35, v35, v35 row_ror:4
	;;#ASMEND
	v_cmp_gt_u32_e32 vcc, 4, v40
	;;#ASMSTART
	v_nop
 v_nop
 v_add_f32_dpp v35, v35, v35 row_ror:8
	;;#ASMEND
	s_and_saveexec_b64 s[2:3], vcc
	s_cbranch_execz .LBB3_12
; %bb.11:
	v_mul_u32_u24_e32 v43, 20, v1
	v_lshl_add_u32 v43, v41, 2, v43
	v_add_u32_e32 v43, 0x800, v43
	ds_write2_b32 v43, v42, v35 offset0:128 offset1:148
.LBB3_12:
	s_or_b64 exec, exec, s[2:3]
.LBB3_13:
	s_or_b64 exec, exec, s[28:29]
	v_lshlrev_b32_e32 v35, 2, v41
	v_add_u32_e32 v35, 0x800, v35
	s_waitcnt lgkmcnt(0)
	s_barrier
	s_load_dword s2, s[26:27], 0x8
	ds_read2_b32 v[44:45], v35 offset0:128 offset1:133
	ds_read2_b32 v[46:47], v35 offset0:138 offset1:143
	s_mov_b32 s8, 0xff7fffff
	s_mul_i32 s3, s6, s33
	ds_read2_b32 v[48:49], v35 offset0:148 offset1:153
	s_waitcnt lgkmcnt(0)
	v_max3_f32 v41, v44, s8, v45
	v_max3_f32 v41, v41, v46, v47
	v_sub_f32_e32 v43, v44, v41
	v_sub_f32_e32 v44, v45, v41
	s_mul_i32 s3, s3, s2
	v_mul_f32_e32 v43, 0x3fb8aa3b, v43
	v_mul_f32_e32 v44, 0x3fb8aa3b, v44
	s_lshl_b32 s2, s3, 2
	s_mov_b32 s3, 0
	v_exp_f32_e32 v43, v43
	v_exp_f32_e32 v50, v44
	ds_read2_b32 v[44:45], v35 offset0:158 offset1:163
	v_sub_f32_e32 v35, v46, v41
	s_lshl_b64 s[4:5], s[2:3], 2
	v_mul_f32_e32 v35, 0x3fb8aa3b, v35
	v_sub_f32_e32 v46, v47, v41
	s_mov_b32 s11, s3
	s_add_u32 s3, s12, s4
	v_exp_f32_e32 v35, v35
	v_mul_f32_e32 v46, 0x3fb8aa3b, v46
	s_addc_u32 s6, s13, s5
	v_exp_f32_e32 v46, v46
	s_add_u32 s8, s14, s4
	v_fma_f32 v43, v43, v48, 0
	s_addc_u32 s9, s15, s5
	s_lshl_b64 s[4:5], s[10:11], 2
	v_fmac_f32_e32 v43, v50, v49
	s_add_u32 s8, s8, s4
	s_waitcnt lgkmcnt(0)
	v_fmac_f32_e32 v43, v35, v44
	v_mul_lo_u32 v34, s33, v34
	v_mov_b32_e32 v35, 0
	s_addc_u32 s9, s9, s5
	v_fmac_f32_e32 v43, v46, v45
	v_lshlrev_b64 v[44:45], 2, v[34:35]
	s_add_u32 s3, s3, s4
	v_mov_b32_e32 v34, s9
	v_add_co_u32_e32 v46, vcc, s8, v44
	s_addc_u32 s4, s6, s5
	v_addc_co_u32_e32 v47, vcc, v34, v45, vcc
	v_mov_b32_e32 v34, s4
	v_add_co_u32_e32 v44, vcc, s3, v44
	v_addc_co_u32_e32 v45, vcc, v34, v45, vcc
	v_mov_b32_e32 v34, v35
	global_store_dword v[46:47], v41, off
	global_store_dword v[44:45], v43, off
	s_and_saveexec_b64 s[4:5], s[0:1]
	s_cbranch_execz .LBB3_15
; %bb.14:
	v_add_f32_e32 v34, 0x358637bd, v43
	v_div_scale_f32 v35, s[0:1], v34, v34, 1.0
	v_rcp_f32_e32 v43, v35
	v_div_scale_f32 v44, vcc, 1.0, v34, 1.0
	v_sub_f32_e32 v41, v42, v41
	v_fma_f32 v45, -v35, v43, 1.0
	v_fmac_f32_e32 v43, v45, v43
	v_mul_f32_e32 v45, v44, v43
	v_fma_f32 v46, -v35, v45, v44
	v_mul_f32_e32 v41, 0x3fb8aa3b, v41
	v_fmac_f32_e32 v45, v46, v43
	v_exp_f32_e32 v41, v41
	v_fma_f32 v35, -v35, v45, v44
	v_div_fmas_f32 v35, v35, v43, v45
	v_div_fixup_f32 v34, v35, v34, 1.0
	v_mul_f32_e32 v34, v41, v34
	v_pk_mul_f32 v[38:39], v[38:39], v[34:35] op_sel_hi:[1,0]
	v_pk_mul_f32 v[34:35], v[36:37], v[34:35] op_sel_hi:[1,0]
	v_cvt_f16_f32_e32 v34, v34
	v_cvt_f16_f32_e32 v35, v35
	;; [unrolled: 1-line block ×4, first 2 shown]
	s_mov_b32 s0, 0x5040100
	v_pack_b32_f16 v34, v34, v35
	v_pack_b32_f16 v35, v36, v37
	s_waitcnt vmcnt(9)
	s_nop 0
	v_mfma_f32_4x4x4f16 a[0:3], v[34:35], v[2:3], 0 cbsz:4
	v_mfma_f32_4x4x4f16 a[0:3], v[34:35], v[4:5], a[0:3] cbsz:4 abid:1
	s_waitcnt vmcnt(8)
	v_mfma_f32_4x4x4f16 a[0:3], v[34:35], v[6:7], a[0:3] cbsz:4 abid:2
	v_mfma_f32_4x4x4f16 a[0:3], v[34:35], v[8:9], a[0:3] cbsz:4 abid:3
	s_waitcnt vmcnt(7)
	v_mfma_f32_4x4x4f16 a[0:3], v[34:35], v[10:11], a[0:3] cbsz:4 abid:4
	v_mfma_f32_4x4x4f16 a[0:3], v[34:35], v[12:13], a[0:3] cbsz:4 abid:5
	s_waitcnt vmcnt(6)
	v_mfma_f32_4x4x4f16 a[0:3], v[34:35], v[14:15], a[0:3] cbsz:4 abid:6
	v_mfma_f32_4x4x4f16 a[0:3], v[34:35], v[16:17], a[0:3] cbsz:4 abid:7
	s_waitcnt vmcnt(5)
	v_mfma_f32_4x4x4f16 a[0:3], v[34:35], v[18:19], a[0:3] cbsz:4 abid:8
	v_mfma_f32_4x4x4f16 a[0:3], v[34:35], v[20:21], a[0:3] cbsz:4 abid:9
	s_waitcnt vmcnt(4)
	v_mfma_f32_4x4x4f16 a[0:3], v[34:35], v[22:23], a[0:3] cbsz:4 abid:10
	v_mfma_f32_4x4x4f16 a[0:3], v[34:35], v[24:25], a[0:3] cbsz:4 abid:11
	s_waitcnt vmcnt(3)
	v_mfma_f32_4x4x4f16 a[0:3], v[34:35], v[26:27], a[0:3] cbsz:4 abid:12
	v_mfma_f32_4x4x4f16 a[0:3], v[34:35], v[28:29], a[0:3] cbsz:4 abid:13
	s_waitcnt vmcnt(2)
	v_mfma_f32_4x4x4f16 a[0:3], v[34:35], v[30:31], a[0:3] cbsz:4 abid:14
	v_mfma_f32_4x4x4f16 a[0:3], v[34:35], v[32:33], a[0:3] cbsz:4 abid:15
	s_nop 4
	v_accvgpr_read_b32 v2, a0
	v_accvgpr_read_b32 v3, a1
	;; [unrolled: 1-line block ×4, first 2 shown]
	v_cvt_f16_f32_e32 v2, v2
	v_cvt_f16_f32_e32 v3, v3
	;; [unrolled: 1-line block ×4, first 2 shown]
	v_perm_b32 v34, v3, v2, s0
	v_perm_b32 v35, v5, v4, s0
.LBB3_15:
	s_or_b64 exec, exec, s[4:5]
	v_lshlrev_b32_e32 v1, 3, v1
	v_mad_u32_u24 v1, v40, 40, v1
	v_cmp_gt_u32_e32 vcc, 64, v0
	ds_write_b64 v1, v[34:35]
	s_waitcnt lgkmcnt(0)
	s_barrier
	s_and_saveexec_b64 s[0:1], vcc
	s_cbranch_execz .LBB3_17
; %bb.16:
	v_mul_u32_u24_e32 v1, 40, v40
	s_waitcnt vmcnt(9)
	ds_read2_b64 v[2:5], v1 offset1:1
	s_waitcnt vmcnt(8)
	ds_read2_b64 v[6:9], v1 offset0:2 offset1:3
	s_mov_b32 s1, 0
	s_lshl_b32 s0, s2, 6
	s_lshl_b64 s[2:3], s[0:1], 1
	s_add_u32 s2, s24, s2
	s_addc_u32 s3, s25, s3
	s_lshl_b32 s0, s10, 6
	s_lshl_b64 s[0:1], s[0:1], 1
	s_waitcnt lgkmcnt(1)
	v_pk_add_f16 v1, v2, 0
	v_pk_add_f16 v2, v3, 0
	s_add_u32 s0, s2, s0
	v_pk_add_f16 v2, v2, v5
	s_addc_u32 s1, s3, s1
	s_lshl_b32 s2, s33, 6
	v_pk_add_f16 v1, v1, v4
	s_waitcnt lgkmcnt(0)
	v_pk_add_f16 v2, v2, v7
	s_mul_i32 s3, s2, s7
	v_pk_add_f16 v1, v1, v6
	v_pk_add_f16 v6, v2, v9
	v_or_b32_e32 v2, s3, v0
	v_mov_b32_e32 v3, 0
	v_lshlrev_b64 v[4:5], 1, v[2:3]
	v_mov_b32_e32 v2, s1
	v_add_co_u32_e32 v4, vcc, s0, v4
	s_add_i32 s3, s3, s2
	v_pk_add_f16 v1, v1, v8
	v_addc_co_u32_e32 v5, vcc, v2, v5, vcc
	v_or_b32_e32 v2, s3, v0
	global_store_short v[4:5], v1, off
	v_lshlrev_b64 v[4:5], 1, v[2:3]
	v_mov_b32_e32 v2, s1
	v_add_co_u32_e32 v4, vcc, s0, v4
	s_add_i32 s3, s3, s2
	v_addc_co_u32_e32 v5, vcc, v2, v5, vcc
	v_or_b32_e32 v2, s3, v0
	global_store_short_d16_hi v[4:5], v1, off
	v_lshlrev_b64 v[4:5], 1, v[2:3]
	s_add_i32 s3, s3, s2
	v_mov_b32_e32 v1, s1
	v_add_co_u32_e32 v4, vcc, s0, v4
	v_or_b32_e32 v2, s3, v0
	v_addc_co_u32_e32 v5, vcc, v1, v5, vcc
	v_lshlrev_b64 v[0:1], 1, v[2:3]
	v_mov_b32_e32 v2, s1
	v_add_co_u32_e32 v0, vcc, s0, v0
	v_addc_co_u32_e32 v1, vcc, v2, v1, vcc
	global_store_short v[4:5], v6, off
	global_store_short_d16_hi v[0:1], v6, off
.LBB3_17:
	s_endpgm
.LBB3_18:
	s_mov_b64 s[12:13], 0
                                        ; implicit-def: $sgpr30_sgpr31
	s_branch .LBB3_2
	.section	.rodata,"a",@progbits
	.p2align	6, 0x0
	.amdhsa_kernel _Z38paged_attention_ll4mi_QKV_mfma4_kernelIDF16_DF16_LN4vllm18Fp8KVCacheDataTypeE0EDF16_Li16ELi64ELi256ELb1ELi4EEvPKT_PKT0_S7_ifPKiS9_S9_iPKfiiiPfSC_PS2_PT2_iSB_SB_
		.amdhsa_group_segment_fixed_size 2720
		.amdhsa_private_segment_fixed_size 0
		.amdhsa_kernarg_size 400
		.amdhsa_user_sgpr_count 6
		.amdhsa_user_sgpr_private_segment_buffer 1
		.amdhsa_user_sgpr_dispatch_ptr 0
		.amdhsa_user_sgpr_queue_ptr 0
		.amdhsa_user_sgpr_kernarg_segment_ptr 1
		.amdhsa_user_sgpr_dispatch_id 0
		.amdhsa_user_sgpr_flat_scratch_init 0
		.amdhsa_user_sgpr_kernarg_preload_length 0
		.amdhsa_user_sgpr_kernarg_preload_offset 0
		.amdhsa_user_sgpr_private_segment_size 0
		.amdhsa_uses_dynamic_stack 0
		.amdhsa_system_sgpr_private_segment_wavefront_offset 0
		.amdhsa_system_sgpr_workgroup_id_x 1
		.amdhsa_system_sgpr_workgroup_id_y 1
		.amdhsa_system_sgpr_workgroup_id_z 1
		.amdhsa_system_sgpr_workgroup_info 0
		.amdhsa_system_vgpr_workitem_id 0
		.amdhsa_next_free_vgpr 64
		.amdhsa_next_free_sgpr 40
		.amdhsa_accum_offset 60
		.amdhsa_reserve_vcc 1
		.amdhsa_reserve_flat_scratch 0
		.amdhsa_float_round_mode_32 0
		.amdhsa_float_round_mode_16_64 0
		.amdhsa_float_denorm_mode_32 3
		.amdhsa_float_denorm_mode_16_64 3
		.amdhsa_dx10_clamp 1
		.amdhsa_ieee_mode 1
		.amdhsa_fp16_overflow 0
		.amdhsa_tg_split 0
		.amdhsa_exception_fp_ieee_invalid_op 0
		.amdhsa_exception_fp_denorm_src 0
		.amdhsa_exception_fp_ieee_div_zero 0
		.amdhsa_exception_fp_ieee_overflow 0
		.amdhsa_exception_fp_ieee_underflow 0
		.amdhsa_exception_fp_ieee_inexact 0
		.amdhsa_exception_int_div_zero 0
	.end_amdhsa_kernel
	.section	.text._Z38paged_attention_ll4mi_QKV_mfma4_kernelIDF16_DF16_LN4vllm18Fp8KVCacheDataTypeE0EDF16_Li16ELi64ELi256ELb1ELi4EEvPKT_PKT0_S7_ifPKiS9_S9_iPKfiiiPfSC_PS2_PT2_iSB_SB_,"axG",@progbits,_Z38paged_attention_ll4mi_QKV_mfma4_kernelIDF16_DF16_LN4vllm18Fp8KVCacheDataTypeE0EDF16_Li16ELi64ELi256ELb1ELi4EEvPKT_PKT0_S7_ifPKiS9_S9_iPKfiiiPfSC_PS2_PT2_iSB_SB_,comdat
.Lfunc_end3:
	.size	_Z38paged_attention_ll4mi_QKV_mfma4_kernelIDF16_DF16_LN4vllm18Fp8KVCacheDataTypeE0EDF16_Li16ELi64ELi256ELb1ELi4EEvPKT_PKT0_S7_ifPKiS9_S9_iPKfiiiPfSC_PS2_PT2_iSB_SB_, .Lfunc_end3-_Z38paged_attention_ll4mi_QKV_mfma4_kernelIDF16_DF16_LN4vllm18Fp8KVCacheDataTypeE0EDF16_Li16ELi64ELi256ELb1ELi4EEvPKT_PKT0_S7_ifPKiS9_S9_iPKfiiiPfSC_PS2_PT2_iSB_SB_
                                        ; -- End function
	.section	.AMDGPU.csdata,"",@progbits
; Kernel info:
; codeLenInByte = 3284
; NumSgprs: 44
; NumVgprs: 59
; NumAgprs: 4
; TotalNumVgprs: 64
; ScratchSize: 0
; MemoryBound: 0
; FloatMode: 240
; IeeeMode: 1
; LDSByteSize: 2720 bytes/workgroup (compile time only)
; SGPRBlocks: 5
; VGPRBlocks: 7
; NumSGPRsForWavesPerEU: 44
; NumVGPRsForWavesPerEU: 64
; AccumOffset: 60
; Occupancy: 8
; WaveLimiterHint : 1
; COMPUTE_PGM_RSRC2:SCRATCH_EN: 0
; COMPUTE_PGM_RSRC2:USER_SGPR: 6
; COMPUTE_PGM_RSRC2:TRAP_HANDLER: 0
; COMPUTE_PGM_RSRC2:TGID_X_EN: 1
; COMPUTE_PGM_RSRC2:TGID_Y_EN: 1
; COMPUTE_PGM_RSRC2:TGID_Z_EN: 1
; COMPUTE_PGM_RSRC2:TIDIG_COMP_CNT: 0
; COMPUTE_PGM_RSRC3_GFX90A:ACCUM_OFFSET: 14
; COMPUTE_PGM_RSRC3_GFX90A:TG_SPLIT: 0
	.section	.text._Z39paged_attention_ll4mi_QKV_mfma16_kernelIDF16_DF16_LN4vllm18Fp8KVCacheDataTypeE0EDF16_Li16ELi64ELi256ELb1ELi5EL8MFMAType0EEvPKT_PKT0_S8_ifPKiSA_SA_iPKfiiiPfSD_PS3_PT2_iSC_SC_,"axG",@progbits,_Z39paged_attention_ll4mi_QKV_mfma16_kernelIDF16_DF16_LN4vllm18Fp8KVCacheDataTypeE0EDF16_Li16ELi64ELi256ELb1ELi5EL8MFMAType0EEvPKT_PKT0_S8_ifPKiSA_SA_iPKfiiiPfSD_PS3_PT2_iSC_SC_,comdat
	.protected	_Z39paged_attention_ll4mi_QKV_mfma16_kernelIDF16_DF16_LN4vllm18Fp8KVCacheDataTypeE0EDF16_Li16ELi64ELi256ELb1ELi5EL8MFMAType0EEvPKT_PKT0_S8_ifPKiSA_SA_iPKfiiiPfSD_PS3_PT2_iSC_SC_ ; -- Begin function _Z39paged_attention_ll4mi_QKV_mfma16_kernelIDF16_DF16_LN4vllm18Fp8KVCacheDataTypeE0EDF16_Li16ELi64ELi256ELb1ELi5EL8MFMAType0EEvPKT_PKT0_S8_ifPKiSA_SA_iPKfiiiPfSD_PS3_PT2_iSC_SC_
	.globl	_Z39paged_attention_ll4mi_QKV_mfma16_kernelIDF16_DF16_LN4vllm18Fp8KVCacheDataTypeE0EDF16_Li16ELi64ELi256ELb1ELi5EL8MFMAType0EEvPKT_PKT0_S8_ifPKiSA_SA_iPKfiiiPfSD_PS3_PT2_iSC_SC_
	.p2align	8
	.type	_Z39paged_attention_ll4mi_QKV_mfma16_kernelIDF16_DF16_LN4vllm18Fp8KVCacheDataTypeE0EDF16_Li16ELi64ELi256ELb1ELi5EL8MFMAType0EEvPKT_PKT0_S8_ifPKiSA_SA_iPKfiiiPfSD_PS3_PT2_iSC_SC_,@function
_Z39paged_attention_ll4mi_QKV_mfma16_kernelIDF16_DF16_LN4vllm18Fp8KVCacheDataTypeE0EDF16_Li16ELi64ELi256ELb1ELi5EL8MFMAType0EEvPKT_PKT0_S8_ifPKiSA_SA_iPKfiiiPfSD_PS3_PT2_iSC_SC_: ; @_Z39paged_attention_ll4mi_QKV_mfma16_kernelIDF16_DF16_LN4vllm18Fp8KVCacheDataTypeE0EDF16_Li16ELi64ELi256ELb1ELi5EL8MFMAType0EEvPKT_PKT0_S8_ifPKiSA_SA_iPKfiiiPfSD_PS3_PT2_iSC_SC_
; %bb.0:
	s_load_dwordx2 s[0:1], s[4:5], 0x30
	s_mov_b32 s28, s7
	s_mov_b64 s[10:11], 0
	s_waitcnt lgkmcnt(0)
	s_cmp_lg_u64 s[0:1], 0
	s_cselect_b64 s[2:3], -1, 0
	s_and_b64 vcc, exec, s[2:3]
	s_cbranch_vccz .LBB4_7
; %bb.1:
	s_add_i32 s12, s6, 1
	s_mov_b32 s13, 0
	s_lshl_b64 s[14:15], s[12:13], 2
	s_add_u32 s14, s0, s14
	s_mov_b32 s7, s13
	s_addc_u32 s15, s1, s15
	s_lshl_b64 s[12:13], s[6:7], 2
	s_add_u32 s12, s0, s12
	s_addc_u32 s13, s1, s13
	s_load_dword s9, s[14:15], 0x0
	s_load_dword s16, s[12:13], 0x0
	s_waitcnt lgkmcnt(0)
	s_sub_i32 s9, s9, s16
	s_cmp_eq_u32 s9, 1
	s_cselect_b64 s[12:13], -1, 0
	s_andn2_b64 vcc, exec, s[10:11]
	s_cbranch_vccnz .LBB4_3
.LBB4_2:
	s_mov_b32 s7, 0
	s_mov_b64 s[12:13], -1
.LBB4_3:
	s_andn2_b64 vcc, exec, s[12:13]
	s_cbranch_vccnz .LBB4_20
; %bb.4:
	s_load_dwordx2 s[12:13], s[4:5], 0x28
	s_lshl_b64 s[10:11], s[6:7], 2
	s_waitcnt lgkmcnt(0)
	s_add_u32 s12, s12, s10
	s_addc_u32 s13, s13, s11
	s_load_dword s33, s[12:13], 0x0
	s_lshl_b32 s14, s28, 8
	s_waitcnt lgkmcnt(0)
	s_cmp_ge_i32 s14, s33
	s_cbranch_scc1 .LBB4_20
; %bb.5:
	s_add_i32 s15, s33, 15
	s_load_dwordx2 s[12:13], s[4:5], 0x20
	s_load_dword s9, s[4:5], 0x38
	s_ashr_i32 s16, s15, 31
	v_and_b32_e32 v1, 0xcf, v0
	s_lshr_b32 s16, s16, 28
	v_add_u32_e32 v1, s14, v1
	s_add_i32 s15, s15, s16
	v_ashrrev_i32_e32 v2, 31, v1
	s_ashr_i32 s17, s15, 4
	v_lshrrev_b32_e32 v4, 28, v2
	s_add_i32 s17, s17, -1
	v_add_u32_e32 v2, v1, v4
	s_waitcnt lgkmcnt(0)
	s_mul_i32 s18, s6, s9
	s_mov_b32 s19, 0
	v_ashrrev_i32_e32 v2, 4, v2
	v_mov_b32_e32 v5, s17
	v_cmp_gt_i32_e32 vcc, s33, v1
	s_lshl_b64 s[18:19], s[18:19], 2
	v_cndmask_b32_e32 v2, v5, v2, vcc
	s_add_u32 s15, s12, s18
	v_ashrrev_i32_e32 v3, 31, v2
	s_addc_u32 s16, s13, s19
	v_lshlrev_b64 v[2:3], 2, v[2:3]
	v_mov_b32_e32 v7, s16
	v_add_co_u32_e32 v6, vcc, s15, v2
	v_or_b32_e32 v2, 16, v1
	v_addc_co_u32_e32 v7, vcc, v7, v3, vcc
	v_add_u32_e32 v3, v2, v4
	v_ashrrev_i32_e32 v3, 4, v3
	v_cmp_gt_i32_e32 vcc, s33, v2
	v_cndmask_b32_e32 v2, v5, v3, vcc
	v_ashrrev_i32_e32 v3, 31, v2
	v_lshlrev_b64 v[2:3], 2, v[2:3]
	v_mov_b32_e32 v9, s16
	v_add_co_u32_e32 v8, vcc, s15, v2
	v_or_b32_e32 v2, 32, v1
	v_addc_co_u32_e32 v9, vcc, v9, v3, vcc
	v_add_u32_e32 v3, v2, v4
	v_ashrrev_i32_e32 v3, 4, v3
	v_cmp_gt_i32_e32 vcc, s33, v2
	v_cndmask_b32_e32 v2, v5, v3, vcc
	v_ashrrev_i32_e32 v3, 31, v2
	;; [unrolled: 10-line block ×3, first 2 shown]
	v_lshlrev_b64 v[2:3], 2, v[2:3]
	v_mov_b32_e32 v1, s16
	v_add_co_u32_e32 v12, vcc, s15, v2
	v_addc_co_u32_e32 v13, vcc, v1, v3, vcc
	global_load_dword v5, v[6:7], off
	global_load_dword v4, v[8:9], off
	;; [unrolled: 1-line block ×4, first 2 shown]
	s_load_dwordx2 s[12:13], s[4:5], 0x8
	s_andn2_b64 vcc, exec, s[2:3]
	s_cbranch_vccnz .LBB4_8
; %bb.6:
	s_add_u32 s0, s0, s10
	s_addc_u32 s1, s1, s11
	s_load_dword s9, s[0:1], 0x0
	s_branch .LBB4_9
.LBB4_7:
	s_mov_b64 s[12:13], 0
	s_branch .LBB4_2
.LBB4_8:
	s_mov_b32 s9, s6
.LBB4_9:
	s_load_dwordx2 s[2:3], s[4:5], 0x10
	s_load_dwordx4 s[44:47], s[4:5], 0x48
	v_lshrrev_b32_e32 v53, 6, v0
	v_bfe_u32 v1, v0, 4, 2
	v_lshl_or_b32 v6, v53, 2, v1
	v_and_b32_e32 v52, 15, v0
	v_lshlrev_b32_e32 v7, 3, v52
	v_cmp_gt_u32_e32 vcc, 5, v6
	v_cmp_gt_u32_e64 s[0:1], 8, v52
	s_mul_i32 s29, s8, 5
	s_and_b64 s[18:19], s[0:1], vcc
	v_lshlrev_b32_e32 v50, 1, v7
	s_and_saveexec_b64 s[10:11], s[18:19]
	s_cbranch_execz .LBB4_11
; %bb.10:
	s_load_dwordx2 s[18:19], s[4:5], 0x0
	s_waitcnt lgkmcnt(0)
	s_ashr_i32 s20, s44, 31
	s_mul_hi_u32 s21, s9, s44
	s_mul_i32 s20, s9, s20
	s_add_i32 s21, s21, s20
	s_mul_i32 s20, s9, s44
	s_lshl_b64 s[20:21], s[20:21], 1
	v_add_lshl_u32 v8, v6, s29, 6
	s_add_u32 s9, s18, s20
	v_ashrrev_i32_e32 v9, 31, v8
	s_addc_u32 s18, s19, s21
	v_lshlrev_b64 v[8:9], 1, v[8:9]
	v_mov_b32_e32 v7, s18
	v_add_co_u32_e32 v8, vcc, s9, v8
	v_addc_co_u32_e32 v7, vcc, v7, v9, vcc
	v_add_co_u32_e32 v8, vcc, v8, v50
	v_addc_co_u32_e32 v9, vcc, 0, v7, vcc
	global_load_dwordx4 v[8:11], v[8:9], off
	v_and_b32_e32 v7, 3, v0
	v_lshlrev_b32_e32 v12, 9, v52
	v_lshlrev_b32_e32 v6, 5, v6
	;; [unrolled: 1-line block ×3, first 2 shown]
	v_and_b32_e32 v12, 0x1800, v12
	v_or3_b32 v6, v12, v7, v6
	s_waitcnt vmcnt(0)
	ds_write_b128 v6, v[8:11]
.LBB4_11:
	s_or_b64 exec, exec, s[10:11]
	s_waitcnt lgkmcnt(0)
	s_mul_i32 s8, s8, s46
	s_mov_b32 s9, 0
	s_lshl_b64 s[8:9], s[8:9], 1
	s_add_u32 s10, s12, s8
	v_lshlrev_b32_e32 v51, 4, v0
	s_addc_u32 s11, s13, s9
	v_and_b32_e32 v6, 0xf0, v51
	v_mov_b32_e32 v7, s11
	v_add_co_u32_e32 v18, vcc, s10, v6
	v_addc_co_u32_e32 v19, vcc, 0, v7, vcc
	s_waitcnt vmcnt(3)
	v_mad_i64_i32 v[6:7], s[10:11], v5, s45, 0
	v_lshlrev_b64 v[6:7], 1, v[6:7]
	v_add_co_u32_e32 v5, vcc, v18, v6
	v_addc_co_u32_e32 v7, vcc, v19, v7, vcc
	v_and_b32_e32 v20, 0x300, v51
	v_add_co_u32_e32 v6, vcc, v5, v20
	s_waitcnt vmcnt(2)
	v_mad_i64_i32 v[4:5], s[10:11], v4, s45, 0
	v_addc_co_u32_e32 v7, vcc, 0, v7, vcc
	v_lshlrev_b64 v[4:5], 1, v[4:5]
	v_add_co_u32_e32 v4, vcc, v18, v4
	v_addc_co_u32_e32 v5, vcc, v19, v5, vcc
	v_add_co_u32_e32 v4, vcc, v4, v20
	v_addc_co_u32_e32 v5, vcc, 0, v5, vcc
	s_barrier
	global_load_dwordx4 v[38:41], v[6:7], off
	global_load_dwordx4 v[34:37], v[6:7], off offset:1024
	global_load_dwordx4 v[30:33], v[4:5], off
	global_load_dwordx4 v[14:17], v[4:5], off offset:1024
	s_waitcnt vmcnt(5)
	v_mad_i64_i32 v[4:5], s[10:11], v3, s45, 0
	v_lshlrev_b64 v[4:5], 1, v[4:5]
	v_add_co_u32_e32 v3, vcc, v18, v4
	v_addc_co_u32_e32 v5, vcc, v19, v5, vcc
	v_add_co_u32_e32 v4, vcc, v3, v20
	s_waitcnt vmcnt(4)
	v_mad_i64_i32 v[2:3], s[10:11], v2, s45, 0
	v_addc_co_u32_e32 v5, vcc, 0, v5, vcc
	v_lshlrev_b64 v[2:3], 1, v[2:3]
	v_add_co_u32_e32 v2, vcc, v18, v2
	v_addc_co_u32_e32 v3, vcc, v19, v3, vcc
	v_add_co_u32_e32 v22, vcc, v2, v20
	v_addc_co_u32_e32 v23, vcc, 0, v3, vcc
	global_load_dwordx4 v[10:13], v[4:5], off
	global_load_dwordx4 v[6:9], v[4:5], off offset:1024
	s_nop 0
	global_load_dwordx4 v[2:5], v[22:23], off
	global_load_dwordx4 v[18:21], v[22:23], off offset:1024
	v_mul_lo_u16_e32 v22, 52, v52
	v_mov_b32_e32 v23, 5
	v_mul_lo_u16_sdwa v22, v22, v23 dst_sel:DWORD dst_unused:UNUSED_PAD src0_sel:BYTE_1 src1_sel:DWORD
	v_sub_u16_e32 v22, v52, v22
	v_lshlrev_b32_sdwa v22, v23, v22 dst_sel:DWORD dst_unused:UNUSED_PAD src0_sel:DWORD src1_sel:BYTE_0
	v_lshl_add_u32 v22, v1, 9, v22
	ds_read_b128 v[26:29], v22
	ds_read_b128 v[22:25], v22 offset:2048
	v_and_b32_e32 v54, 63, v0
	v_cmp_gt_u32_e32 vcc, 5, v52
	v_mov_b32_e32 v48, 0
	s_and_saveexec_b64 s[10:11], vcc
	s_cbranch_execz .LBB4_13
; %bb.12:
	s_load_dwordx2 s[12:13], s[4:5], 0x40
	v_add_u32_e32 v42, s29, v52
	v_ashrrev_i32_e32 v43, 31, v42
	v_lshlrev_b64 v[42:43], 2, v[42:43]
	s_waitcnt lgkmcnt(0)
	v_mov_b32_e32 v44, s13
	v_add_co_u32_e32 v42, vcc, s12, v42
	v_addc_co_u32_e32 v43, vcc, v44, v43, vcc
	global_load_dword v48, v[42:43], off
.LBB4_13:
	s_or_b64 exec, exec, s[10:11]
	s_waitcnt vmcnt(7) lgkmcnt(1)
	v_mfma_f32_16x16x16f16 v[42:45], v[38:39], v[26:27], 0
	s_add_u32 s2, s2, s8
	v_lshlrev_b32_e32 v55, 5, v52
	s_addc_u32 s3, s3, s9
	s_load_dword s10, s[4:5], 0x1c
	s_mov_b32 s42, 0xff7fffff
	v_mfma_f32_16x16x16f16 v[38:41], v[40:41], v[28:29], v[42:45]
	s_waitcnt vmcnt(6) lgkmcnt(0)
	v_mfma_f32_16x16x16f16 v[38:41], v[34:35], v[22:23], v[38:41]
	s_nop 4
	v_and_or_b32 v44, v0, 48, s14
	v_mov_b32_e32 v45, s17
	v_cmp_gt_i32_e32 vcc, s33, v44
	v_mfma_f32_16x16x16f16 v[34:37], v[36:37], v[24:25], v[38:41]
	s_nop 6
	v_ashrrev_i32_e32 v38, 4, v44
	v_cndmask_b32_e32 v42, v45, v38, vcc
	v_ashrrev_i32_e32 v43, 31, v42
	s_waitcnt vmcnt(5)
	v_mfma_f32_16x16x16f16 v[38:41], v[30:31], v[26:27], 0
	v_lshlrev_b64 v[30:31], 2, v[42:43]
	v_mov_b32_e32 v42, s16
	v_add_co_u32_e32 v30, vcc, s15, v30
	v_addc_co_u32_e32 v31, vcc, v42, v31, vcc
	global_load_dword v42, v[30:31], off
	v_mfma_f32_16x16x16f16 v[30:33], v[32:33], v[28:29], v[38:41]
	v_pk_mul_f32 v[46:47], s[10:11], v[36:37] op_sel_hi:[0,1]
	s_nop 5
	v_or_b32_e32 v38, 64, v44
	v_ashrrev_i32_e32 v39, 4, v38
	v_cmp_gt_i32_e32 vcc, s33, v38
	v_cndmask_b32_e32 v38, v45, v39, vcc
	v_ashrrev_i32_e32 v39, 31, v38
	v_lshlrev_b64 v[38:39], 2, v[38:39]
	s_waitcnt vmcnt(5)
	v_mfma_f32_16x16x16f16 v[30:33], v[14:15], v[22:23], v[30:33]
	v_mov_b32_e32 v40, s16
	v_add_co_u32_e32 v14, vcc, s15, v38
	v_addc_co_u32_e32 v15, vcc, v40, v39, vcc
	global_load_dword v40, v[14:15], off
	v_or_b32_e32 v14, 0x80, v44
	v_ashrrev_i32_e32 v15, 4, v14
	v_cmp_gt_i32_e32 vcc, s33, v14
	v_cndmask_b32_e32 v14, v45, v15, vcc
	v_ashrrev_i32_e32 v15, 31, v14
	v_lshlrev_b64 v[14:15], 2, v[14:15]
	v_mfma_f32_16x16x16f16 v[30:33], v[16:17], v[24:25], v[30:33]
	v_mov_b32_e32 v16, s16
	v_add_co_u32_e32 v38, vcc, s15, v14
	v_addc_co_u32_e32 v39, vcc, v16, v15, vcc
	global_load_dword v38, v[38:39], off
	s_waitcnt vmcnt(6)
	v_mfma_f32_16x16x16f16 v[14:17], v[10:11], v[26:27], 0
	v_mfma_f32_16x16x16f16 v[10:13], v[12:13], v[28:29], v[14:17]
	s_nop 7
	s_nop 1
	v_or_b32_e32 v14, 0xc0, v44
	v_ashrrev_i32_e32 v15, 4, v14
	v_cmp_gt_i32_e32 vcc, s33, v14
	v_cndmask_b32_e32 v14, v45, v15, vcc
	s_waitcnt vmcnt(5)
	v_mfma_f32_16x16x16f16 v[10:13], v[6:7], v[22:23], v[10:13]
	v_ashrrev_i32_e32 v15, 31, v14
	v_lshlrev_b64 v[14:15], 2, v[14:15]
	v_mov_b32_e32 v16, s16
	v_add_co_u32_e32 v6, vcc, s15, v14
	v_addc_co_u32_e32 v7, vcc, v16, v15, vcc
	global_load_dword v49, v[6:7], off
	v_lshl_or_b32 v6, v53, 9, v55
	v_mov_b32_e32 v7, s3
	v_add_co_u32_e32 v60, vcc, s2, v6
	v_addc_co_u32_e32 v61, vcc, 0, v7, vcc
	v_mfma_f32_16x16x16f16 v[56:59], v[8:9], v[24:25], v[10:13]
	v_pk_mul_f32 v[44:45], s[10:11], v[30:31] op_sel_hi:[0,1]
	s_waitcnt vmcnt(3)
	v_mad_i64_i32 v[6:7], s[2:3], v42, s45, 0
	s_nop 3
	v_lshlrev_b64 v[10:11], 1, v[6:7]
	v_mfma_f32_16x16x16f16 v[6:9], v[2:3], v[26:27], 0
	v_add_co_u32_e32 v2, vcc, v60, v10
	v_addc_co_u32_e32 v3, vcc, v61, v11, vcc
	global_load_dwordx4 v[14:17], v[2:3], off
	global_load_dwordx4 v[10:13], v[2:3], off offset:16
	v_pk_mul_f32 v[42:43], s[10:11], v[32:33] op_sel_hi:[0,1]
	s_waitcnt vmcnt(4)
	v_mad_i64_i32 v[2:3], s[2:3], v40, s45, 0
	v_mfma_f32_16x16x16f16 v[26:29], v[4:5], v[28:29], v[6:9]
	v_lshlrev_b64 v[2:3], 1, v[2:3]
	v_add_co_u32_e32 v2, vcc, v60, v2
	v_addc_co_u32_e32 v3, vcc, v61, v3, vcc
	v_pk_mul_f32 v[40:41], s[10:11], v[56:57] op_sel_hi:[0,1]
	s_nop 2
	global_load_dwordx4 v[6:9], v[2:3], off
	s_nop 0
	global_load_dwordx4 v[2:5], v[2:3], off offset:16
	v_mfma_f32_16x16x16f16 v[26:29], v[18:19], v[22:23], v[26:29]
	v_pk_mul_f32 v[18:19], s[10:11], v[34:35] op_sel_hi:[0,1]
	s_waitcnt vmcnt(5)
	v_mad_i64_i32 v[38:39], s[2:3], v38, s45, 0
	v_lshlrev_b64 v[38:39], 1, v[38:39]
	v_add_co_u32_e32 v22, vcc, v60, v38
	v_mfma_f32_16x16x16f16 v[24:27], v[20:21], v[24:25], v[26:29]
	v_and_b32_e32 v20, 0xc0, v0
	v_add_u32_e32 v20, s14, v20
	v_lshl_or_b32 v20, v1, 2, v20
	v_or_b32_e32 v21, 1, v20
	v_addc_co_u32_e32 v23, vcc, v61, v39, vcc
	v_pk_mul_f32 v[38:39], s[10:11], v[58:59] op_sel_hi:[0,1]
	s_nop 4
	v_pk_mul_f32 v[36:37], s[10:11], v[24:25] op_sel_hi:[0,1]
	v_subrev_u32_e32 v24, s33, v21
	v_pk_mul_f32 v[34:35], s[10:11], v[26:27] op_sel_hi:[0,1]
	v_add_u32_e32 v26, 1, v24
	v_add_u32_e32 v27, 2, v24
	v_cvt_f32_i32_e32 v25, v24
	v_cvt_f32_i32_e32 v26, v26
	v_cvt_f32_i32_e32 v27, v27
	v_add_u32_e32 v28, 3, v24
	v_fma_f32 v18, v48, v25, v18
	v_fmac_f32_e32 v19, v48, v26
	v_fma_f32 v46, v48, v27, v46
	v_add_u32_e32 v25, 16, v24
	v_add_u32_e32 v26, 17, v24
	;; [unrolled: 1-line block ×3, first 2 shown]
	v_cvt_f32_i32_e32 v28, v28
	v_cvt_f32_i32_e32 v25, v25
	;; [unrolled: 1-line block ×4, first 2 shown]
	v_fmac_f32_e32 v47, v48, v28
	v_add_u32_e32 v28, 19, v24
	v_fma_f32 v44, v48, v25, v44
	v_fmac_f32_e32 v45, v48, v26
	v_fma_f32 v42, v48, v27, v42
	v_add_u32_e32 v25, 32, v24
	v_add_u32_e32 v26, 33, v24
	;; [unrolled: 1-line block ×3, first 2 shown]
	v_cvt_f32_i32_e32 v28, v28
	v_cvt_f32_i32_e32 v25, v25
	;; [unrolled: 1-line block ×4, first 2 shown]
	v_fmac_f32_e32 v43, v48, v28
	v_add_u32_e32 v28, 35, v24
	v_fma_f32 v40, v48, v25, v40
	v_fmac_f32_e32 v41, v48, v26
	v_fma_f32 v38, v48, v27, v38
	v_add_u32_e32 v25, 48, v24
	v_add_u32_e32 v26, 49, v24
	;; [unrolled: 1-line block ×4, first 2 shown]
	v_cvt_f32_i32_e32 v24, v24
	v_cvt_f32_i32_e32 v25, v25
	v_cvt_f32_i32_e32 v26, v26
	v_cmp_gt_i32_e64 s[30:31], s33, v20
	v_fmac_f32_e32 v35, v48, v24
	v_mov_b32_e32 v24, 0xff7fffff
	v_cmp_gt_i32_e64 s[34:35], s33, v21
	v_fma_f32 v36, v48, v25, v36
	v_cndmask_b32_e64 v25, v24, v18, s[30:31]
	v_cndmask_b32_e64 v21, v24, v19, s[34:35]
	v_fmac_f32_e32 v37, v48, v26
	v_max3_f32 v21, v25, s42, v21
	v_or_b32_e32 v25, 2, v20
	v_or_b32_e32 v26, 3, v20
	v_cmp_gt_i32_e64 s[36:37], s33, v25
	v_cmp_gt_i32_e64 s[38:39], s33, v26
	v_cndmask_b32_e64 v25, v24, v46, s[36:37]
	v_cndmask_b32_e64 v26, v24, v47, s[38:39]
	v_max3_f32 v21, v21, v25, v26
	v_or_b32_e32 v25, 16, v20
	v_or_b32_e32 v26, 17, v20
	v_cmp_gt_i32_e64 s[24:25], s33, v25
	v_cmp_gt_i32_e64 s[26:27], s33, v26
	v_cndmask_b32_e64 v25, v24, v44, s[24:25]
	v_cndmask_b32_e64 v26, v24, v45, s[26:27]
	v_max3_f32 v21, v21, v25, v26
	v_or_b32_e32 v25, 18, v20
	v_or_b32_e32 v26, 19, v20
	v_cmp_gt_i32_e64 s[20:21], s33, v25
	v_cmp_gt_i32_e64 s[22:23], s33, v26
	v_cndmask_b32_e64 v25, v24, v42, s[20:21]
	v_cndmask_b32_e64 v26, v24, v43, s[22:23]
	v_cvt_f32_i32_e32 v28, v28
	v_max3_f32 v21, v21, v25, v26
	v_or_b32_e32 v25, 32, v20
	v_or_b32_e32 v26, 33, v20
	v_cmp_gt_i32_e64 s[16:17], s33, v25
	v_cmp_gt_i32_e64 s[18:19], s33, v26
	v_cndmask_b32_e64 v25, v24, v40, s[16:17]
	v_cndmask_b32_e64 v26, v24, v41, s[18:19]
	v_max3_f32 v21, v21, v25, v26
	v_or_b32_e32 v25, 34, v20
	v_or_b32_e32 v26, 35, v20
	v_fmac_f32_e32 v39, v48, v28
	v_cmp_gt_i32_e64 s[12:13], s33, v25
	v_cmp_gt_i32_e64 s[14:15], s33, v26
	v_cndmask_b32_e64 v25, v24, v38, s[12:13]
	v_cndmask_b32_e64 v26, v24, v39, s[14:15]
	v_cvt_f32_i32_e32 v27, v27
	v_max3_f32 v21, v21, v25, v26
	v_or_b32_e32 v25, 48, v20
	v_or_b32_e32 v26, 49, v20
	v_cmp_gt_i32_e64 s[8:9], s33, v25
	v_cmp_gt_i32_e64 s[10:11], s33, v26
	v_cndmask_b32_e64 v25, v24, v36, s[8:9]
	v_cndmask_b32_e64 v26, v24, v37, s[10:11]
	v_max3_f32 v21, v21, v25, v26
	v_or_b32_e32 v25, 50, v20
	v_or_b32_e32 v20, 51, v20
	v_fma_f32 v34, v48, v27, v34
	v_cmp_gt_i32_e32 vcc, s33, v25
	v_cmp_gt_i32_e64 s[2:3], s33, v20
	v_cndmask_b32_e32 v25, v24, v34, vcc
	v_cndmask_b32_e64 v20, v24, v35, s[2:3]
	v_max3_f32 v26, v21, v25, v20
	v_mbcnt_lo_u32_b32 v20, -1, 0
	v_mbcnt_hi_u32_b32 v27, -1, v20
	v_and_b32_e32 v20, 64, v27
	v_add_u32_e32 v28, 64, v20
	v_xor_b32_e32 v20, 32, v27
	v_cmp_lt_i32_e64 s[40:41], v20, v28
	v_cndmask_b32_e64 v20, v27, v20, s[40:41]
	v_lshlrev_b32_e32 v57, 2, v20
	ds_bpermute_b32 v29, v57, v26
	s_waitcnt vmcnt(4)
	v_mad_i64_i32 v[20:21], s[40:41], v49, s45, 0
	v_lshlrev_b64 v[20:21], 1, v[20:21]
	global_load_dwordx4 v[30:33], v[22:23], off
	s_nop 0
	global_load_dwordx4 v[22:25], v[22:23], off offset:16
	s_waitcnt lgkmcnt(0)
	v_max_f32_e32 v29, v29, v29
	v_max_f32_e32 v26, v26, v29
	v_xor_b32_e32 v29, 16, v27
	v_cmp_lt_i32_e64 s[40:41], v29, v28
	v_cndmask_b32_e64 v27, v27, v29, s[40:41]
	v_lshlrev_b32_e32 v59, 2, v27
	ds_bpermute_b32 v27, v59, v26
	v_add_co_u32_e64 v20, s[40:41], v60, v20
	v_addc_co_u32_e64 v21, s[40:41], v61, v21, s[40:41]
	s_waitcnt lgkmcnt(0)
	v_max_f32_e32 v27, v27, v27
	v_max_f32_e32 v56, v26, v27
	v_sub_f32_e32 v18, v18, v56
	v_mul_f32_e32 v18, 0x3fb8aa3b, v18
	v_exp_f32_e32 v48, v18
	v_sub_f32_e32 v18, v19, v56
	v_mul_f32_e32 v18, 0x3fb8aa3b, v18
	v_exp_f32_e32 v49, v18
	global_load_dwordx4 v[26:29], v[20:21], off
	s_nop 0
	global_load_dwordx4 v[18:21], v[20:21], off offset:16
	v_sub_f32_e32 v46, v46, v56
	v_mul_f32_e32 v46, 0x3fb8aa3b, v46
	v_sub_f32_e32 v47, v47, v56
	v_exp_f32_e32 v46, v46
	v_mul_f32_e32 v47, 0x3fb8aa3b, v47
	v_sub_f32_e32 v44, v44, v56
	v_exp_f32_e32 v47, v47
	v_mul_f32_e32 v44, 0x3fb8aa3b, v44
	v_sub_f32_e32 v45, v45, v56
	v_cndmask_b32_e64 v48, 0, v48, s[30:31]
	v_exp_f32_e32 v44, v44
	v_mul_f32_e32 v45, 0x3fb8aa3b, v45
	v_sub_f32_e32 v42, v42, v56
	v_add_f32_e32 v58, 0, v48
	v_cndmask_b32_e64 v49, 0, v49, s[34:35]
	v_exp_f32_e32 v45, v45
	v_mul_f32_e32 v42, 0x3fb8aa3b, v42
	v_sub_f32_e32 v43, v43, v56
	v_add_f32_e32 v58, v58, v49
	;; [unrolled: 5-line block ×10, first 2 shown]
	v_cndmask_b32_e64 v38, 0, v38, s[12:13]
	v_exp_f32_e32 v34, v34
	v_mul_f32_e32 v35, 0x3fb8aa3b, v35
	v_add_f32_e32 v58, v58, v38
	v_cndmask_b32_e64 v39, 0, v39, s[14:15]
	v_exp_f32_e32 v35, v35
	v_add_f32_e32 v58, v58, v39
	v_cndmask_b32_e64 v36, 0, v36, s[8:9]
	v_add_f32_e32 v58, v58, v36
	v_cndmask_b32_e64 v37, 0, v37, s[10:11]
	v_add_f32_e32 v58, v58, v37
	v_cndmask_b32_e32 v34, 0, v34, vcc
	v_add_f32_e32 v58, v58, v34
	v_cndmask_b32_e64 v35, 0, v35, s[2:3]
	v_add_f32_e32 v58, v58, v35
	ds_bpermute_b32 v57, v57, v58
	s_load_dword s11, s[4:5], 0x98
	v_cmp_gt_u32_e64 s[2:3], 16, v54
	s_waitcnt lgkmcnt(0)
	s_barrier
	v_add_f32_e32 v58, v58, v57
	ds_bpermute_b32 v59, v59, v58
	v_lshlrev_b32_e32 v57, 2, v52
	s_waitcnt lgkmcnt(0)
	s_and_saveexec_b64 s[8:9], s[2:3]
	s_cbranch_execz .LBB4_15
; %bb.14:
	v_add_f32_e32 v54, v58, v59
	v_lshl_or_b32 v58, v53, 6, v57
	ds_write2st64_b32 v58, v56, v54 offset1:1
.LBB4_15:
	s_or_b64 exec, exec, s[8:9]
	s_load_dword s10, s[4:5], 0x94
	s_waitcnt lgkmcnt(0)
	s_barrier
	ds_read2_b32 v[58:59], v57 offset1:16
	ds_read2_b32 v[60:61], v57 offset0:32 offset1:48
	ds_read2_b32 v[62:63], v57 offset0:64 offset1:80
	s_mul_i32 s11, s11, 5
	s_waitcnt lgkmcnt(2)
	v_max3_f32 v54, v58, s42, v59
	s_waitcnt lgkmcnt(1)
	v_max3_f32 v54, v54, v60, v61
	v_sub_f32_e32 v56, v58, v54
	v_mul_f32_e32 v56, 0x3fb8aa3b, v56
	v_exp_f32_e32 v64, v56
	v_sub_f32_e32 v56, v59, v54
	v_mul_f32_e32 v56, 0x3fb8aa3b, v56
	v_exp_f32_e32 v65, v56
	;; [unrolled: 3-line block ×3, first 2 shown]
	ds_read2_b32 v[58:59], v57 offset0:96 offset1:112
	v_sub_f32_e32 v56, v61, v54
	v_mul_f32_e32 v56, 0x3fb8aa3b, v56
	v_exp_f32_e32 v57, v56
	s_waitcnt lgkmcnt(1)
	v_fma_f32 v56, v64, v62, 0
	v_fmac_f32_e32 v56, v65, v63
	s_waitcnt lgkmcnt(0)
	v_fmac_f32_e32 v56, v60, v58
	v_fmac_f32_e32 v56, v57, v59
	v_add_f32_e32 v58, 0x358637bd, v56
	v_div_scale_f32 v59, s[8:9], v58, v58, 1.0
	v_rcp_f32_e32 v61, v59
	s_barrier
	v_fma_f32 v62, -v59, v61, 1.0
	v_fmac_f32_e32 v61, v62, v61
	v_div_scale_f32 v62, vcc, 1.0, v58, 1.0
	v_mul_f32_e32 v63, v62, v61
	v_fma_f32 v66, -v59, v63, v62
	v_fmac_f32_e32 v63, v66, v61
	v_fma_f32 v59, -v59, v63, v62
	v_div_fmas_f32 v59, v59, v61, v63
	v_cmp_eq_u32_e32 vcc, 1, v53
	v_div_fixup_f32 v58, v59, v58, 1.0
	v_cndmask_b32_e32 v59, v64, v65, vcc
	v_cmp_eq_u32_e32 vcc, 2, v53
	v_cndmask_b32_e32 v59, v59, v60, vcc
	v_cmp_eq_u32_e32 vcc, 3, v53
	v_cndmask_b32_e32 v57, v59, v57, vcc
	v_mul_f32_e32 v58, v57, v58
	v_pk_mul_f32 v[48:49], v[58:59], v[48:49] op_sel_hi:[0,1]
	v_cvt_f16_f32_e32 v48, v48
	v_cvt_f16_f32_e32 v49, v49
	v_pk_mul_f32 v[46:47], v[58:59], v[46:47] op_sel_hi:[0,1]
	v_pk_mul_f32 v[42:43], v[58:59], v[42:43] op_sel_hi:[0,1]
	;; [unrolled: 1-line block ×3, first 2 shown]
	v_cvt_f16_f32_e32 v57, v46
	v_cvt_f16_f32_e32 v47, v47
	v_pack_b32_f16 v46, v48, v49
	v_cvt_f16_f32_e32 v44, v44
	v_cvt_f16_f32_e32 v45, v45
	;; [unrolled: 1-line block ×4, first 2 shown]
	v_lshlrev_b32_e32 v48, 3, v1
	v_lshlrev_b32_e32 v42, 11, v53
	v_pack_b32_f16 v47, v57, v47
	v_or3_b32 v42, v42, v55, v48
	v_pack_b32_f16 v44, v44, v45
	v_pack_b32_f16 v45, v49, v43
	v_pk_mul_f32 v[38:39], v[58:59], v[38:39] op_sel_hi:[0,1]
	v_pk_mul_f32 v[40:41], v[58:59], v[40:41] op_sel_hi:[0,1]
	;; [unrolled: 1-line block ×4, first 2 shown]
	ds_write2st64_b64 v42, v[46:47], v[44:45] offset1:1
	v_cvt_f16_f32_e32 v40, v40
	v_cvt_f16_f32_e32 v41, v41
	;; [unrolled: 1-line block ×8, first 2 shown]
	v_pack_b32_f16 v34, v40, v41
	v_pack_b32_f16 v35, v38, v39
	;; [unrolled: 1-line block ×4, first 2 shown]
	v_cmp_gt_u32_e32 vcc, 5, v0
	ds_write2st64_b64 v42, v[34:35], v[36:37] offset0:2 offset1:3
	s_and_saveexec_b64 s[8:9], vcc
	s_cbranch_execz .LBB4_17
; %bb.16:
	v_add_co_u32_e32 v36, vcc, s29, v52
	v_addc_co_u32_e64 v37, s[16:17], 0, 0, vcc
	v_mov_b32_e32 v34, s11
	v_mov_b32_e32 v35, 0
	v_mad_u64_u32 v[36:37], s[16:17], s6, v34, v[36:37]
	v_mov_b32_e32 v34, s28
	s_load_dwordx4 s[12:15], s[4:5], 0x58
	s_mul_i32 s7, s7, s11
	v_mad_u64_u32 v[34:35], s[16:17], v36, s10, v[34:35]
	v_add_u32_e32 v37, s7, v37
	v_mov_b32_e32 v36, v35
	v_mad_u64_u32 v[36:37], s[16:17], v37, s10, v[36:37]
	v_mov_b32_e32 v35, v36
	v_lshlrev_b64 v[34:35], 2, v[34:35]
	s_waitcnt lgkmcnt(0)
	v_mov_b32_e32 v37, s15
	v_add_co_u32_e32 v36, vcc, s14, v34
	v_addc_co_u32_e32 v37, vcc, v37, v35, vcc
	global_store_dword v[36:37], v54, off
	v_mov_b32_e32 v36, s13
	v_add_co_u32_e32 v34, vcc, s12, v34
	v_addc_co_u32_e32 v35, vcc, v36, v35, vcc
	global_store_dword v[34:35], v56, off
.LBB4_17:
	s_or_b64 exec, exec, s[8:9]
	v_lshl_or_b32 v43, v1, 9, v55
	s_waitcnt lgkmcnt(0)
	s_barrier
	ds_read_b128 v[34:37], v43
	ds_read_b128 v[38:41], v43 offset:16
	s_waitcnt vmcnt(7) lgkmcnt(1)
	v_mfma_f32_16x16x16f16 v[44:47], v[14:15], v[34:35], 0
	v_cmp_gt_u32_e32 vcc, 64, v0
	s_mov_b32 s7, 0
	s_and_b64 s[0:1], vcc, s[0:1]
	v_mfma_f32_16x16x16f16 v[14:17], v[16:17], v[36:37], v[44:47]
	s_waitcnt vmcnt(6) lgkmcnt(0)
	v_mfma_f32_16x16x16f16 v[14:17], v[10:11], v[38:39], v[14:17]
	v_mfma_f32_16x16x16f16 v[10:13], v[12:13], v[40:41], v[14:17]
	s_nop 7
	s_nop 1
	ds_read_b128 v[14:17], v43 offset:2048
	ds_read_b128 v[34:37], v43 offset:2064
	s_waitcnt vmcnt(5) lgkmcnt(1)
	v_mfma_f32_16x16x16f16 v[10:13], v[6:7], v[14:15], v[10:13]
	v_mfma_f32_16x16x16f16 v[6:9], v[8:9], v[16:17], v[10:13]
	s_waitcnt vmcnt(4) lgkmcnt(0)
	v_mfma_f32_16x16x16f16 v[6:9], v[2:3], v[34:35], v[6:9]
	v_mfma_f32_16x16x16f16 v[2:5], v[4:5], v[36:37], v[6:9]
	s_nop 7
	s_nop 1
	ds_read_b128 v[6:9], v43 offset:4096
	ds_read_b128 v[10:13], v43 offset:4112
	s_waitcnt vmcnt(3) lgkmcnt(1)
	v_mfma_f32_16x16x16f16 v[2:5], v[30:31], v[6:7], v[2:5]
	v_mfma_f32_16x16x16f16 v[2:5], v[32:33], v[8:9], v[2:5]
	s_waitcnt vmcnt(2) lgkmcnt(0)
	v_mfma_f32_16x16x16f16 v[2:5], v[22:23], v[10:11], v[2:5]
	v_mfma_f32_16x16x16f16 v[2:5], v[24:25], v[12:13], v[2:5]
	ds_read_b128 v[6:9], v43 offset:6144
	ds_read_b128 v[10:13], v43 offset:6160
	s_waitcnt lgkmcnt(0)
	s_barrier
	s_waitcnt vmcnt(1)
	v_mfma_f32_16x16x16f16 v[2:5], v[26:27], v[6:7], v[2:5]
	v_mfma_f32_16x16x16f16 v[2:5], v[28:29], v[8:9], v[2:5]
	s_waitcnt vmcnt(0)
	v_mfma_f32_16x16x16f16 v[2:5], v[18:19], v[10:11], v[2:5]
	v_mfma_f32_16x16x16f16 v[2:5], v[20:21], v[12:13], v[2:5]
	s_nop 7
	s_nop 2
	v_cvt_f16_f32_e32 v2, v2
	v_cvt_f16_f32_e32 v3, v3
	v_cvt_f16_f32_e32 v4, v4
	v_cvt_f16_f32_e32 v5, v5
	v_pack_b32_f16 v2, v2, v3
	v_pack_b32_f16 v3, v4, v5
	ds_write_b64 v42, v[2:3]
	s_waitcnt lgkmcnt(0)
	s_barrier
	s_and_saveexec_b64 s[8:9], s[0:1]
	s_cbranch_execz .LBB4_20
; %bb.18:
	s_load_dwordx2 s[4:5], s[4:5], 0x68
	s_lshl_b32 s0, s10, 6
	s_mul_i32 s1, s11, s6
	s_mul_hi_u32 s9, s1, s0
	s_mul_i32 s8, s1, s0
	s_lshl_b64 s[8:9], s[8:9], 1
	s_waitcnt lgkmcnt(0)
	s_add_u32 s1, s4, s8
	v_lshlrev_b32_e32 v0, 10, v0
	s_addc_u32 s8, s5, s9
	s_lshl_b32 s6, s28, 6
	v_and_b32_e32 v0, 0x1800, v0
	v_lshlrev_b32_e32 v2, 5, v1
	v_and_b32_e32 v3, 16, v51
	s_lshl_b64 s[4:5], s[6:7], 1
	v_or3_b32 v0, v0, v2, v3
	s_add_u32 s1, s1, s4
	s_addc_u32 s4, s8, s5
	ds_read_b128 v[4:7], v0
	v_add_u32_e32 v8, s29, v1
	v_mov_b32_e32 v3, s4
	v_add_co_u32_e32 v2, vcc, s1, v50
	v_mad_u64_u32 v[8:9], s[4:5], v8, s0, 0
	v_addc_co_u32_e32 v3, vcc, 0, v3, vcc
	v_lshlrev_b64 v[8:9], 1, v[8:9]
	v_add_co_u32_e32 v8, vcc, v2, v8
	v_addc_co_u32_e32 v9, vcc, v3, v9, vcc
	s_waitcnt lgkmcnt(0)
	global_store_dwordx4 v[8:9], v[4:7], off
	s_and_b64 exec, exec, s[2:3]
	s_cbranch_execz .LBB4_20
; %bb.19:
	ds_read_b128 v[4:7], v0 offset:128
	v_add3_u32 v0, s29, v1, 4
	v_mad_u64_u32 v[0:1], s[0:1], v0, s0, 0
	v_lshlrev_b64 v[0:1], 1, v[0:1]
	v_add_co_u32_e32 v0, vcc, v2, v0
	v_addc_co_u32_e32 v1, vcc, v3, v1, vcc
	s_waitcnt lgkmcnt(0)
	global_store_dwordx4 v[0:1], v[4:7], off
.LBB4_20:
	s_endpgm
	.section	.rodata,"a",@progbits
	.p2align	6, 0x0
	.amdhsa_kernel _Z39paged_attention_ll4mi_QKV_mfma16_kernelIDF16_DF16_LN4vllm18Fp8KVCacheDataTypeE0EDF16_Li16ELi64ELi256ELb1ELi5EL8MFMAType0EEvPKT_PKT0_S8_ifPKiSA_SA_iPKfiiiPfSD_PS3_PT2_iSC_SC_
		.amdhsa_group_segment_fixed_size 8192
		.amdhsa_private_segment_fixed_size 0
		.amdhsa_kernarg_size 400
		.amdhsa_user_sgpr_count 6
		.amdhsa_user_sgpr_private_segment_buffer 1
		.amdhsa_user_sgpr_dispatch_ptr 0
		.amdhsa_user_sgpr_queue_ptr 0
		.amdhsa_user_sgpr_kernarg_segment_ptr 1
		.amdhsa_user_sgpr_dispatch_id 0
		.amdhsa_user_sgpr_flat_scratch_init 0
		.amdhsa_user_sgpr_kernarg_preload_length 0
		.amdhsa_user_sgpr_kernarg_preload_offset 0
		.amdhsa_user_sgpr_private_segment_size 0
		.amdhsa_uses_dynamic_stack 0
		.amdhsa_system_sgpr_private_segment_wavefront_offset 0
		.amdhsa_system_sgpr_workgroup_id_x 1
		.amdhsa_system_sgpr_workgroup_id_y 1
		.amdhsa_system_sgpr_workgroup_id_z 1
		.amdhsa_system_sgpr_workgroup_info 0
		.amdhsa_system_vgpr_workitem_id 0
		.amdhsa_next_free_vgpr 67
		.amdhsa_next_free_sgpr 48
		.amdhsa_accum_offset 68
		.amdhsa_reserve_vcc 1
		.amdhsa_reserve_flat_scratch 0
		.amdhsa_float_round_mode_32 0
		.amdhsa_float_round_mode_16_64 0
		.amdhsa_float_denorm_mode_32 3
		.amdhsa_float_denorm_mode_16_64 3
		.amdhsa_dx10_clamp 1
		.amdhsa_ieee_mode 1
		.amdhsa_fp16_overflow 0
		.amdhsa_tg_split 0
		.amdhsa_exception_fp_ieee_invalid_op 0
		.amdhsa_exception_fp_denorm_src 0
		.amdhsa_exception_fp_ieee_div_zero 0
		.amdhsa_exception_fp_ieee_overflow 0
		.amdhsa_exception_fp_ieee_underflow 0
		.amdhsa_exception_fp_ieee_inexact 0
		.amdhsa_exception_int_div_zero 0
	.end_amdhsa_kernel
	.section	.text._Z39paged_attention_ll4mi_QKV_mfma16_kernelIDF16_DF16_LN4vllm18Fp8KVCacheDataTypeE0EDF16_Li16ELi64ELi256ELb1ELi5EL8MFMAType0EEvPKT_PKT0_S8_ifPKiSA_SA_iPKfiiiPfSD_PS3_PT2_iSC_SC_,"axG",@progbits,_Z39paged_attention_ll4mi_QKV_mfma16_kernelIDF16_DF16_LN4vllm18Fp8KVCacheDataTypeE0EDF16_Li16ELi64ELi256ELb1ELi5EL8MFMAType0EEvPKT_PKT0_S8_ifPKiSA_SA_iPKfiiiPfSD_PS3_PT2_iSC_SC_,comdat
.Lfunc_end4:
	.size	_Z39paged_attention_ll4mi_QKV_mfma16_kernelIDF16_DF16_LN4vllm18Fp8KVCacheDataTypeE0EDF16_Li16ELi64ELi256ELb1ELi5EL8MFMAType0EEvPKT_PKT0_S8_ifPKiSA_SA_iPKfiiiPfSD_PS3_PT2_iSC_SC_, .Lfunc_end4-_Z39paged_attention_ll4mi_QKV_mfma16_kernelIDF16_DF16_LN4vllm18Fp8KVCacheDataTypeE0EDF16_Li16ELi64ELi256ELb1ELi5EL8MFMAType0EEvPKT_PKT0_S8_ifPKiSA_SA_iPKfiiiPfSD_PS3_PT2_iSC_SC_
                                        ; -- End function
	.section	.AMDGPU.csdata,"",@progbits
; Kernel info:
; codeLenInByte = 4284
; NumSgprs: 52
; NumVgprs: 67
; NumAgprs: 0
; TotalNumVgprs: 67
; ScratchSize: 0
; MemoryBound: 0
; FloatMode: 240
; IeeeMode: 1
; LDSByteSize: 8192 bytes/workgroup (compile time only)
; SGPRBlocks: 6
; VGPRBlocks: 8
; NumSGPRsForWavesPerEU: 52
; NumVGPRsForWavesPerEU: 67
; AccumOffset: 68
; Occupancy: 7
; WaveLimiterHint : 1
; COMPUTE_PGM_RSRC2:SCRATCH_EN: 0
; COMPUTE_PGM_RSRC2:USER_SGPR: 6
; COMPUTE_PGM_RSRC2:TRAP_HANDLER: 0
; COMPUTE_PGM_RSRC2:TGID_X_EN: 1
; COMPUTE_PGM_RSRC2:TGID_Y_EN: 1
; COMPUTE_PGM_RSRC2:TGID_Z_EN: 1
; COMPUTE_PGM_RSRC2:TIDIG_COMP_CNT: 0
; COMPUTE_PGM_RSRC3_GFX90A:ACCUM_OFFSET: 16
; COMPUTE_PGM_RSRC3_GFX90A:TG_SPLIT: 0
	.section	.text._Z39paged_attention_ll4mi_QKV_mfma16_kernelIDF16_DF16_LN4vllm18Fp8KVCacheDataTypeE0EDF16_Li16ELi64ELi256ELb1ELi6EL8MFMAType0EEvPKT_PKT0_S8_ifPKiSA_SA_iPKfiiiPfSD_PS3_PT2_iSC_SC_,"axG",@progbits,_Z39paged_attention_ll4mi_QKV_mfma16_kernelIDF16_DF16_LN4vllm18Fp8KVCacheDataTypeE0EDF16_Li16ELi64ELi256ELb1ELi6EL8MFMAType0EEvPKT_PKT0_S8_ifPKiSA_SA_iPKfiiiPfSD_PS3_PT2_iSC_SC_,comdat
	.protected	_Z39paged_attention_ll4mi_QKV_mfma16_kernelIDF16_DF16_LN4vllm18Fp8KVCacheDataTypeE0EDF16_Li16ELi64ELi256ELb1ELi6EL8MFMAType0EEvPKT_PKT0_S8_ifPKiSA_SA_iPKfiiiPfSD_PS3_PT2_iSC_SC_ ; -- Begin function _Z39paged_attention_ll4mi_QKV_mfma16_kernelIDF16_DF16_LN4vllm18Fp8KVCacheDataTypeE0EDF16_Li16ELi64ELi256ELb1ELi6EL8MFMAType0EEvPKT_PKT0_S8_ifPKiSA_SA_iPKfiiiPfSD_PS3_PT2_iSC_SC_
	.globl	_Z39paged_attention_ll4mi_QKV_mfma16_kernelIDF16_DF16_LN4vllm18Fp8KVCacheDataTypeE0EDF16_Li16ELi64ELi256ELb1ELi6EL8MFMAType0EEvPKT_PKT0_S8_ifPKiSA_SA_iPKfiiiPfSD_PS3_PT2_iSC_SC_
	.p2align	8
	.type	_Z39paged_attention_ll4mi_QKV_mfma16_kernelIDF16_DF16_LN4vllm18Fp8KVCacheDataTypeE0EDF16_Li16ELi64ELi256ELb1ELi6EL8MFMAType0EEvPKT_PKT0_S8_ifPKiSA_SA_iPKfiiiPfSD_PS3_PT2_iSC_SC_,@function
_Z39paged_attention_ll4mi_QKV_mfma16_kernelIDF16_DF16_LN4vllm18Fp8KVCacheDataTypeE0EDF16_Li16ELi64ELi256ELb1ELi6EL8MFMAType0EEvPKT_PKT0_S8_ifPKiSA_SA_iPKfiiiPfSD_PS3_PT2_iSC_SC_: ; @_Z39paged_attention_ll4mi_QKV_mfma16_kernelIDF16_DF16_LN4vllm18Fp8KVCacheDataTypeE0EDF16_Li16ELi64ELi256ELb1ELi6EL8MFMAType0EEvPKT_PKT0_S8_ifPKiSA_SA_iPKfiiiPfSD_PS3_PT2_iSC_SC_
; %bb.0:
	s_load_dwordx2 s[0:1], s[4:5], 0x30
	s_mov_b32 s28, s7
	s_mov_b64 s[10:11], 0
	s_waitcnt lgkmcnt(0)
	s_cmp_lg_u64 s[0:1], 0
	s_cselect_b64 s[2:3], -1, 0
	s_and_b64 vcc, exec, s[2:3]
	s_cbranch_vccz .LBB5_7
; %bb.1:
	s_add_i32 s12, s6, 1
	s_mov_b32 s13, 0
	s_lshl_b64 s[14:15], s[12:13], 2
	s_add_u32 s14, s0, s14
	s_mov_b32 s7, s13
	s_addc_u32 s15, s1, s15
	s_lshl_b64 s[12:13], s[6:7], 2
	s_add_u32 s12, s0, s12
	s_addc_u32 s13, s1, s13
	s_load_dword s9, s[14:15], 0x0
	s_load_dword s16, s[12:13], 0x0
	s_waitcnt lgkmcnt(0)
	s_sub_i32 s9, s9, s16
	s_cmp_eq_u32 s9, 1
	s_cselect_b64 s[12:13], -1, 0
	s_andn2_b64 vcc, exec, s[10:11]
	s_cbranch_vccnz .LBB5_3
.LBB5_2:
	s_mov_b32 s7, 0
	s_mov_b64 s[12:13], -1
.LBB5_3:
	s_andn2_b64 vcc, exec, s[12:13]
	s_cbranch_vccnz .LBB5_20
; %bb.4:
	s_load_dwordx2 s[12:13], s[4:5], 0x28
	s_lshl_b64 s[10:11], s[6:7], 2
	s_waitcnt lgkmcnt(0)
	s_add_u32 s12, s12, s10
	s_addc_u32 s13, s13, s11
	s_load_dword s33, s[12:13], 0x0
	s_lshl_b32 s14, s28, 8
	s_waitcnt lgkmcnt(0)
	s_cmp_ge_i32 s14, s33
	s_cbranch_scc1 .LBB5_20
; %bb.5:
	s_add_i32 s15, s33, 15
	s_load_dwordx2 s[12:13], s[4:5], 0x20
	s_load_dword s9, s[4:5], 0x38
	s_ashr_i32 s16, s15, 31
	v_and_b32_e32 v1, 0xcf, v0
	s_lshr_b32 s16, s16, 28
	v_add_u32_e32 v1, s14, v1
	s_add_i32 s15, s15, s16
	v_ashrrev_i32_e32 v2, 31, v1
	s_ashr_i32 s17, s15, 4
	v_lshrrev_b32_e32 v4, 28, v2
	s_add_i32 s17, s17, -1
	v_add_u32_e32 v2, v1, v4
	s_waitcnt lgkmcnt(0)
	s_mul_i32 s18, s6, s9
	s_mov_b32 s19, 0
	v_ashrrev_i32_e32 v2, 4, v2
	v_mov_b32_e32 v5, s17
	v_cmp_gt_i32_e32 vcc, s33, v1
	s_lshl_b64 s[18:19], s[18:19], 2
	v_cndmask_b32_e32 v2, v5, v2, vcc
	s_add_u32 s15, s12, s18
	v_ashrrev_i32_e32 v3, 31, v2
	s_addc_u32 s16, s13, s19
	v_lshlrev_b64 v[2:3], 2, v[2:3]
	v_mov_b32_e32 v7, s16
	v_add_co_u32_e32 v6, vcc, s15, v2
	v_or_b32_e32 v2, 16, v1
	v_addc_co_u32_e32 v7, vcc, v7, v3, vcc
	v_add_u32_e32 v3, v2, v4
	v_ashrrev_i32_e32 v3, 4, v3
	v_cmp_gt_i32_e32 vcc, s33, v2
	v_cndmask_b32_e32 v2, v5, v3, vcc
	v_ashrrev_i32_e32 v3, 31, v2
	v_lshlrev_b64 v[2:3], 2, v[2:3]
	v_mov_b32_e32 v9, s16
	v_add_co_u32_e32 v8, vcc, s15, v2
	v_or_b32_e32 v2, 32, v1
	v_addc_co_u32_e32 v9, vcc, v9, v3, vcc
	v_add_u32_e32 v3, v2, v4
	v_ashrrev_i32_e32 v3, 4, v3
	v_cmp_gt_i32_e32 vcc, s33, v2
	v_cndmask_b32_e32 v2, v5, v3, vcc
	v_ashrrev_i32_e32 v3, 31, v2
	;; [unrolled: 10-line block ×3, first 2 shown]
	v_lshlrev_b64 v[2:3], 2, v[2:3]
	v_mov_b32_e32 v1, s16
	v_add_co_u32_e32 v12, vcc, s15, v2
	v_addc_co_u32_e32 v13, vcc, v1, v3, vcc
	global_load_dword v5, v[6:7], off
	global_load_dword v4, v[8:9], off
	;; [unrolled: 1-line block ×4, first 2 shown]
	s_load_dwordx2 s[12:13], s[4:5], 0x8
	s_andn2_b64 vcc, exec, s[2:3]
	s_cbranch_vccnz .LBB5_8
; %bb.6:
	s_add_u32 s0, s0, s10
	s_addc_u32 s1, s1, s11
	s_load_dword s9, s[0:1], 0x0
	s_branch .LBB5_9
.LBB5_7:
	s_mov_b64 s[12:13], 0
	s_branch .LBB5_2
.LBB5_8:
	s_mov_b32 s9, s6
.LBB5_9:
	s_load_dwordx2 s[2:3], s[4:5], 0x10
	s_load_dwordx4 s[44:47], s[4:5], 0x48
	v_lshrrev_b32_e32 v53, 6, v0
	v_bfe_u32 v1, v0, 4, 2
	v_lshl_or_b32 v6, v53, 2, v1
	v_and_b32_e32 v52, 15, v0
	v_lshlrev_b32_e32 v7, 3, v52
	v_cmp_gt_u32_e32 vcc, 6, v6
	v_cmp_gt_u32_e64 s[0:1], 8, v52
	s_mul_i32 s29, s8, 6
	s_and_b64 s[18:19], s[0:1], vcc
	v_lshlrev_b32_e32 v50, 1, v7
	s_and_saveexec_b64 s[10:11], s[18:19]
	s_cbranch_execz .LBB5_11
; %bb.10:
	s_load_dwordx2 s[18:19], s[4:5], 0x0
	s_waitcnt lgkmcnt(0)
	s_ashr_i32 s20, s44, 31
	s_mul_hi_u32 s21, s9, s44
	s_mul_i32 s20, s9, s20
	s_add_i32 s21, s21, s20
	s_mul_i32 s20, s9, s44
	s_lshl_b64 s[20:21], s[20:21], 1
	v_add_lshl_u32 v8, v6, s29, 6
	s_add_u32 s9, s18, s20
	v_ashrrev_i32_e32 v9, 31, v8
	s_addc_u32 s18, s19, s21
	v_lshlrev_b64 v[8:9], 1, v[8:9]
	v_mov_b32_e32 v7, s18
	v_add_co_u32_e32 v8, vcc, s9, v8
	v_addc_co_u32_e32 v7, vcc, v7, v9, vcc
	v_add_co_u32_e32 v8, vcc, v8, v50
	v_addc_co_u32_e32 v9, vcc, 0, v7, vcc
	global_load_dwordx4 v[8:11], v[8:9], off
	v_and_b32_e32 v7, 3, v0
	v_lshlrev_b32_e32 v12, 9, v52
	v_lshlrev_b32_e32 v6, 5, v6
	;; [unrolled: 1-line block ×3, first 2 shown]
	v_and_b32_e32 v12, 0x1800, v12
	v_or3_b32 v6, v12, v7, v6
	s_waitcnt vmcnt(0)
	ds_write_b128 v6, v[8:11]
.LBB5_11:
	s_or_b64 exec, exec, s[10:11]
	s_waitcnt lgkmcnt(0)
	s_mul_i32 s8, s8, s46
	s_mov_b32 s9, 0
	s_lshl_b64 s[8:9], s[8:9], 1
	s_add_u32 s10, s12, s8
	v_lshlrev_b32_e32 v51, 4, v0
	s_addc_u32 s11, s13, s9
	v_and_b32_e32 v6, 0xf0, v51
	v_mov_b32_e32 v7, s11
	v_add_co_u32_e32 v18, vcc, s10, v6
	v_addc_co_u32_e32 v19, vcc, 0, v7, vcc
	s_waitcnt vmcnt(3)
	v_mad_i64_i32 v[6:7], s[10:11], v5, s45, 0
	v_lshlrev_b64 v[6:7], 1, v[6:7]
	v_add_co_u32_e32 v5, vcc, v18, v6
	v_addc_co_u32_e32 v7, vcc, v19, v7, vcc
	v_and_b32_e32 v20, 0x300, v51
	v_add_co_u32_e32 v6, vcc, v5, v20
	s_waitcnt vmcnt(2)
	v_mad_i64_i32 v[4:5], s[10:11], v4, s45, 0
	v_addc_co_u32_e32 v7, vcc, 0, v7, vcc
	v_lshlrev_b64 v[4:5], 1, v[4:5]
	v_add_co_u32_e32 v4, vcc, v18, v4
	v_addc_co_u32_e32 v5, vcc, v19, v5, vcc
	v_add_co_u32_e32 v4, vcc, v4, v20
	v_addc_co_u32_e32 v5, vcc, 0, v5, vcc
	s_barrier
	global_load_dwordx4 v[38:41], v[6:7], off
	global_load_dwordx4 v[34:37], v[6:7], off offset:1024
	global_load_dwordx4 v[30:33], v[4:5], off
	global_load_dwordx4 v[14:17], v[4:5], off offset:1024
	s_waitcnt vmcnt(5)
	v_mad_i64_i32 v[4:5], s[10:11], v3, s45, 0
	v_lshlrev_b64 v[4:5], 1, v[4:5]
	v_add_co_u32_e32 v3, vcc, v18, v4
	v_addc_co_u32_e32 v5, vcc, v19, v5, vcc
	v_add_co_u32_e32 v4, vcc, v3, v20
	s_waitcnt vmcnt(4)
	v_mad_i64_i32 v[2:3], s[10:11], v2, s45, 0
	v_addc_co_u32_e32 v5, vcc, 0, v5, vcc
	v_lshlrev_b64 v[2:3], 1, v[2:3]
	v_add_co_u32_e32 v2, vcc, v18, v2
	v_addc_co_u32_e32 v3, vcc, v19, v3, vcc
	v_add_co_u32_e32 v22, vcc, v2, v20
	v_addc_co_u32_e32 v23, vcc, 0, v3, vcc
	global_load_dwordx4 v[10:13], v[4:5], off
	global_load_dwordx4 v[6:9], v[4:5], off offset:1024
	s_nop 0
	global_load_dwordx4 v[2:5], v[22:23], off
	global_load_dwordx4 v[18:21], v[22:23], off offset:1024
	v_mul_lo_u16_e32 v22, 43, v52
	v_mov_b32_e32 v23, 6
	v_mul_lo_u16_sdwa v22, v22, v23 dst_sel:DWORD dst_unused:UNUSED_PAD src0_sel:BYTE_1 src1_sel:DWORD
	v_sub_u16_e32 v22, v52, v22
	v_mov_b32_e32 v23, 5
	v_lshlrev_b32_sdwa v22, v23, v22 dst_sel:DWORD dst_unused:UNUSED_PAD src0_sel:DWORD src1_sel:BYTE_0
	v_lshl_add_u32 v22, v1, 9, v22
	ds_read_b128 v[26:29], v22
	ds_read_b128 v[22:25], v22 offset:2048
	v_and_b32_e32 v54, 63, v0
	v_cmp_gt_u32_e32 vcc, 6, v52
	v_mov_b32_e32 v48, 0
	s_and_saveexec_b64 s[10:11], vcc
	s_cbranch_execz .LBB5_13
; %bb.12:
	s_load_dwordx2 s[12:13], s[4:5], 0x40
	v_add_u32_e32 v42, s29, v52
	v_ashrrev_i32_e32 v43, 31, v42
	v_lshlrev_b64 v[42:43], 2, v[42:43]
	s_waitcnt lgkmcnt(0)
	v_mov_b32_e32 v44, s13
	v_add_co_u32_e32 v42, vcc, s12, v42
	v_addc_co_u32_e32 v43, vcc, v44, v43, vcc
	global_load_dword v48, v[42:43], off
.LBB5_13:
	s_or_b64 exec, exec, s[10:11]
	s_waitcnt vmcnt(7) lgkmcnt(1)
	v_mfma_f32_16x16x16f16 v[42:45], v[38:39], v[26:27], 0
	s_add_u32 s2, s2, s8
	v_lshlrev_b32_e32 v55, 5, v52
	s_addc_u32 s3, s3, s9
	s_load_dword s10, s[4:5], 0x1c
	s_mov_b32 s42, 0xff7fffff
	v_mfma_f32_16x16x16f16 v[38:41], v[40:41], v[28:29], v[42:45]
	s_waitcnt vmcnt(6) lgkmcnt(0)
	v_mfma_f32_16x16x16f16 v[38:41], v[34:35], v[22:23], v[38:41]
	s_nop 4
	v_and_or_b32 v44, v0, 48, s14
	v_mov_b32_e32 v45, s17
	v_cmp_gt_i32_e32 vcc, s33, v44
	v_mfma_f32_16x16x16f16 v[34:37], v[36:37], v[24:25], v[38:41]
	s_nop 6
	v_ashrrev_i32_e32 v38, 4, v44
	v_cndmask_b32_e32 v42, v45, v38, vcc
	v_ashrrev_i32_e32 v43, 31, v42
	s_waitcnt vmcnt(5)
	v_mfma_f32_16x16x16f16 v[38:41], v[30:31], v[26:27], 0
	v_lshlrev_b64 v[30:31], 2, v[42:43]
	v_mov_b32_e32 v42, s16
	v_add_co_u32_e32 v30, vcc, s15, v30
	v_addc_co_u32_e32 v31, vcc, v42, v31, vcc
	global_load_dword v42, v[30:31], off
	v_mfma_f32_16x16x16f16 v[30:33], v[32:33], v[28:29], v[38:41]
	v_pk_mul_f32 v[46:47], s[10:11], v[36:37] op_sel_hi:[0,1]
	s_nop 5
	v_or_b32_e32 v38, 64, v44
	v_ashrrev_i32_e32 v39, 4, v38
	v_cmp_gt_i32_e32 vcc, s33, v38
	v_cndmask_b32_e32 v38, v45, v39, vcc
	v_ashrrev_i32_e32 v39, 31, v38
	v_lshlrev_b64 v[38:39], 2, v[38:39]
	s_waitcnt vmcnt(5)
	v_mfma_f32_16x16x16f16 v[30:33], v[14:15], v[22:23], v[30:33]
	v_mov_b32_e32 v40, s16
	v_add_co_u32_e32 v14, vcc, s15, v38
	v_addc_co_u32_e32 v15, vcc, v40, v39, vcc
	global_load_dword v40, v[14:15], off
	v_or_b32_e32 v14, 0x80, v44
	v_ashrrev_i32_e32 v15, 4, v14
	v_cmp_gt_i32_e32 vcc, s33, v14
	v_cndmask_b32_e32 v14, v45, v15, vcc
	v_ashrrev_i32_e32 v15, 31, v14
	v_lshlrev_b64 v[14:15], 2, v[14:15]
	v_mfma_f32_16x16x16f16 v[30:33], v[16:17], v[24:25], v[30:33]
	v_mov_b32_e32 v16, s16
	v_add_co_u32_e32 v38, vcc, s15, v14
	v_addc_co_u32_e32 v39, vcc, v16, v15, vcc
	global_load_dword v38, v[38:39], off
	s_waitcnt vmcnt(6)
	v_mfma_f32_16x16x16f16 v[14:17], v[10:11], v[26:27], 0
	v_mfma_f32_16x16x16f16 v[10:13], v[12:13], v[28:29], v[14:17]
	s_nop 7
	s_nop 1
	v_or_b32_e32 v14, 0xc0, v44
	v_ashrrev_i32_e32 v15, 4, v14
	v_cmp_gt_i32_e32 vcc, s33, v14
	v_cndmask_b32_e32 v14, v45, v15, vcc
	s_waitcnt vmcnt(5)
	v_mfma_f32_16x16x16f16 v[10:13], v[6:7], v[22:23], v[10:13]
	v_ashrrev_i32_e32 v15, 31, v14
	v_lshlrev_b64 v[14:15], 2, v[14:15]
	v_mov_b32_e32 v16, s16
	v_add_co_u32_e32 v6, vcc, s15, v14
	v_addc_co_u32_e32 v7, vcc, v16, v15, vcc
	global_load_dword v49, v[6:7], off
	v_lshl_or_b32 v6, v53, 9, v55
	v_mov_b32_e32 v7, s3
	v_add_co_u32_e32 v60, vcc, s2, v6
	v_addc_co_u32_e32 v61, vcc, 0, v7, vcc
	v_mfma_f32_16x16x16f16 v[56:59], v[8:9], v[24:25], v[10:13]
	v_pk_mul_f32 v[44:45], s[10:11], v[30:31] op_sel_hi:[0,1]
	s_waitcnt vmcnt(3)
	v_mad_i64_i32 v[6:7], s[2:3], v42, s45, 0
	s_nop 3
	v_lshlrev_b64 v[10:11], 1, v[6:7]
	v_mfma_f32_16x16x16f16 v[6:9], v[2:3], v[26:27], 0
	v_add_co_u32_e32 v2, vcc, v60, v10
	v_addc_co_u32_e32 v3, vcc, v61, v11, vcc
	global_load_dwordx4 v[14:17], v[2:3], off
	global_load_dwordx4 v[10:13], v[2:3], off offset:16
	v_pk_mul_f32 v[42:43], s[10:11], v[32:33] op_sel_hi:[0,1]
	s_waitcnt vmcnt(4)
	v_mad_i64_i32 v[2:3], s[2:3], v40, s45, 0
	v_mfma_f32_16x16x16f16 v[26:29], v[4:5], v[28:29], v[6:9]
	v_lshlrev_b64 v[2:3], 1, v[2:3]
	v_add_co_u32_e32 v2, vcc, v60, v2
	v_addc_co_u32_e32 v3, vcc, v61, v3, vcc
	v_pk_mul_f32 v[40:41], s[10:11], v[56:57] op_sel_hi:[0,1]
	s_nop 2
	global_load_dwordx4 v[6:9], v[2:3], off
	s_nop 0
	global_load_dwordx4 v[2:5], v[2:3], off offset:16
	v_mfma_f32_16x16x16f16 v[26:29], v[18:19], v[22:23], v[26:29]
	v_pk_mul_f32 v[18:19], s[10:11], v[34:35] op_sel_hi:[0,1]
	s_waitcnt vmcnt(5)
	v_mad_i64_i32 v[38:39], s[2:3], v38, s45, 0
	v_lshlrev_b64 v[38:39], 1, v[38:39]
	v_add_co_u32_e32 v22, vcc, v60, v38
	v_mfma_f32_16x16x16f16 v[24:27], v[20:21], v[24:25], v[26:29]
	v_and_b32_e32 v20, 0xc0, v0
	v_add_u32_e32 v20, s14, v20
	v_lshl_or_b32 v20, v1, 2, v20
	v_or_b32_e32 v21, 1, v20
	v_addc_co_u32_e32 v23, vcc, v61, v39, vcc
	v_pk_mul_f32 v[38:39], s[10:11], v[58:59] op_sel_hi:[0,1]
	s_nop 4
	v_pk_mul_f32 v[36:37], s[10:11], v[24:25] op_sel_hi:[0,1]
	v_subrev_u32_e32 v24, s33, v21
	v_pk_mul_f32 v[34:35], s[10:11], v[26:27] op_sel_hi:[0,1]
	v_add_u32_e32 v26, 1, v24
	v_add_u32_e32 v27, 2, v24
	v_cvt_f32_i32_e32 v25, v24
	v_cvt_f32_i32_e32 v26, v26
	;; [unrolled: 1-line block ×3, first 2 shown]
	v_add_u32_e32 v28, 3, v24
	v_fma_f32 v18, v48, v25, v18
	v_fmac_f32_e32 v19, v48, v26
	v_fma_f32 v46, v48, v27, v46
	v_add_u32_e32 v25, 16, v24
	v_add_u32_e32 v26, 17, v24
	;; [unrolled: 1-line block ×3, first 2 shown]
	v_cvt_f32_i32_e32 v28, v28
	v_cvt_f32_i32_e32 v25, v25
	;; [unrolled: 1-line block ×4, first 2 shown]
	v_fmac_f32_e32 v47, v48, v28
	v_add_u32_e32 v28, 19, v24
	v_fma_f32 v44, v48, v25, v44
	v_fmac_f32_e32 v45, v48, v26
	v_fma_f32 v42, v48, v27, v42
	v_add_u32_e32 v25, 32, v24
	v_add_u32_e32 v26, 33, v24
	;; [unrolled: 1-line block ×3, first 2 shown]
	v_cvt_f32_i32_e32 v28, v28
	v_cvt_f32_i32_e32 v25, v25
	;; [unrolled: 1-line block ×4, first 2 shown]
	v_fmac_f32_e32 v43, v48, v28
	v_add_u32_e32 v28, 35, v24
	v_fma_f32 v40, v48, v25, v40
	v_fmac_f32_e32 v41, v48, v26
	v_fma_f32 v38, v48, v27, v38
	v_add_u32_e32 v25, 48, v24
	v_add_u32_e32 v26, 49, v24
	;; [unrolled: 1-line block ×4, first 2 shown]
	v_cvt_f32_i32_e32 v24, v24
	v_cvt_f32_i32_e32 v25, v25
	;; [unrolled: 1-line block ×3, first 2 shown]
	v_cmp_gt_i32_e64 s[30:31], s33, v20
	v_fmac_f32_e32 v35, v48, v24
	v_mov_b32_e32 v24, 0xff7fffff
	v_cmp_gt_i32_e64 s[34:35], s33, v21
	v_fma_f32 v36, v48, v25, v36
	v_cndmask_b32_e64 v25, v24, v18, s[30:31]
	v_cndmask_b32_e64 v21, v24, v19, s[34:35]
	v_fmac_f32_e32 v37, v48, v26
	v_max3_f32 v21, v25, s42, v21
	v_or_b32_e32 v25, 2, v20
	v_or_b32_e32 v26, 3, v20
	v_cmp_gt_i32_e64 s[36:37], s33, v25
	v_cmp_gt_i32_e64 s[38:39], s33, v26
	v_cndmask_b32_e64 v25, v24, v46, s[36:37]
	v_cndmask_b32_e64 v26, v24, v47, s[38:39]
	v_max3_f32 v21, v21, v25, v26
	v_or_b32_e32 v25, 16, v20
	v_or_b32_e32 v26, 17, v20
	v_cmp_gt_i32_e64 s[24:25], s33, v25
	v_cmp_gt_i32_e64 s[26:27], s33, v26
	v_cndmask_b32_e64 v25, v24, v44, s[24:25]
	v_cndmask_b32_e64 v26, v24, v45, s[26:27]
	;; [unrolled: 7-line block ×3, first 2 shown]
	v_cvt_f32_i32_e32 v28, v28
	v_max3_f32 v21, v21, v25, v26
	v_or_b32_e32 v25, 32, v20
	v_or_b32_e32 v26, 33, v20
	v_cmp_gt_i32_e64 s[16:17], s33, v25
	v_cmp_gt_i32_e64 s[18:19], s33, v26
	v_cndmask_b32_e64 v25, v24, v40, s[16:17]
	v_cndmask_b32_e64 v26, v24, v41, s[18:19]
	v_max3_f32 v21, v21, v25, v26
	v_or_b32_e32 v25, 34, v20
	v_or_b32_e32 v26, 35, v20
	v_fmac_f32_e32 v39, v48, v28
	v_cmp_gt_i32_e64 s[12:13], s33, v25
	v_cmp_gt_i32_e64 s[14:15], s33, v26
	v_cndmask_b32_e64 v25, v24, v38, s[12:13]
	v_cndmask_b32_e64 v26, v24, v39, s[14:15]
	v_cvt_f32_i32_e32 v27, v27
	v_max3_f32 v21, v21, v25, v26
	v_or_b32_e32 v25, 48, v20
	v_or_b32_e32 v26, 49, v20
	v_cmp_gt_i32_e64 s[8:9], s33, v25
	v_cmp_gt_i32_e64 s[10:11], s33, v26
	v_cndmask_b32_e64 v25, v24, v36, s[8:9]
	v_cndmask_b32_e64 v26, v24, v37, s[10:11]
	v_max3_f32 v21, v21, v25, v26
	v_or_b32_e32 v25, 50, v20
	v_or_b32_e32 v20, 51, v20
	v_fma_f32 v34, v48, v27, v34
	v_cmp_gt_i32_e32 vcc, s33, v25
	v_cmp_gt_i32_e64 s[2:3], s33, v20
	v_cndmask_b32_e32 v25, v24, v34, vcc
	v_cndmask_b32_e64 v20, v24, v35, s[2:3]
	v_max3_f32 v26, v21, v25, v20
	v_mbcnt_lo_u32_b32 v20, -1, 0
	v_mbcnt_hi_u32_b32 v27, -1, v20
	v_and_b32_e32 v20, 64, v27
	v_add_u32_e32 v28, 64, v20
	v_xor_b32_e32 v20, 32, v27
	v_cmp_lt_i32_e64 s[40:41], v20, v28
	v_cndmask_b32_e64 v20, v27, v20, s[40:41]
	v_lshlrev_b32_e32 v57, 2, v20
	ds_bpermute_b32 v29, v57, v26
	s_waitcnt vmcnt(4)
	v_mad_i64_i32 v[20:21], s[40:41], v49, s45, 0
	v_lshlrev_b64 v[20:21], 1, v[20:21]
	global_load_dwordx4 v[30:33], v[22:23], off
	s_nop 0
	global_load_dwordx4 v[22:25], v[22:23], off offset:16
	s_waitcnt lgkmcnt(0)
	v_max_f32_e32 v29, v29, v29
	v_max_f32_e32 v26, v26, v29
	v_xor_b32_e32 v29, 16, v27
	v_cmp_lt_i32_e64 s[40:41], v29, v28
	v_cndmask_b32_e64 v27, v27, v29, s[40:41]
	v_lshlrev_b32_e32 v59, 2, v27
	ds_bpermute_b32 v27, v59, v26
	v_add_co_u32_e64 v20, s[40:41], v60, v20
	v_addc_co_u32_e64 v21, s[40:41], v61, v21, s[40:41]
	s_waitcnt lgkmcnt(0)
	v_max_f32_e32 v27, v27, v27
	v_max_f32_e32 v56, v26, v27
	v_sub_f32_e32 v18, v18, v56
	v_mul_f32_e32 v18, 0x3fb8aa3b, v18
	v_exp_f32_e32 v48, v18
	v_sub_f32_e32 v18, v19, v56
	v_mul_f32_e32 v18, 0x3fb8aa3b, v18
	v_exp_f32_e32 v49, v18
	global_load_dwordx4 v[26:29], v[20:21], off
	s_nop 0
	global_load_dwordx4 v[18:21], v[20:21], off offset:16
	v_sub_f32_e32 v46, v46, v56
	v_mul_f32_e32 v46, 0x3fb8aa3b, v46
	v_sub_f32_e32 v47, v47, v56
	v_exp_f32_e32 v46, v46
	v_mul_f32_e32 v47, 0x3fb8aa3b, v47
	v_sub_f32_e32 v44, v44, v56
	v_exp_f32_e32 v47, v47
	v_mul_f32_e32 v44, 0x3fb8aa3b, v44
	v_sub_f32_e32 v45, v45, v56
	v_cndmask_b32_e64 v48, 0, v48, s[30:31]
	v_exp_f32_e32 v44, v44
	v_mul_f32_e32 v45, 0x3fb8aa3b, v45
	v_sub_f32_e32 v42, v42, v56
	v_add_f32_e32 v58, 0, v48
	v_cndmask_b32_e64 v49, 0, v49, s[34:35]
	v_exp_f32_e32 v45, v45
	v_mul_f32_e32 v42, 0x3fb8aa3b, v42
	v_sub_f32_e32 v43, v43, v56
	v_add_f32_e32 v58, v58, v49
	;; [unrolled: 5-line block ×10, first 2 shown]
	v_cndmask_b32_e64 v38, 0, v38, s[12:13]
	v_exp_f32_e32 v34, v34
	v_mul_f32_e32 v35, 0x3fb8aa3b, v35
	v_add_f32_e32 v58, v58, v38
	v_cndmask_b32_e64 v39, 0, v39, s[14:15]
	v_exp_f32_e32 v35, v35
	v_add_f32_e32 v58, v58, v39
	v_cndmask_b32_e64 v36, 0, v36, s[8:9]
	v_add_f32_e32 v58, v58, v36
	v_cndmask_b32_e64 v37, 0, v37, s[10:11]
	v_add_f32_e32 v58, v58, v37
	v_cndmask_b32_e32 v34, 0, v34, vcc
	v_add_f32_e32 v58, v58, v34
	v_cndmask_b32_e64 v35, 0, v35, s[2:3]
	v_add_f32_e32 v58, v58, v35
	ds_bpermute_b32 v57, v57, v58
	s_load_dword s9, s[4:5], 0x98
	v_cmp_gt_u32_e32 vcc, 16, v54
	s_waitcnt lgkmcnt(0)
	s_barrier
	v_add_f32_e32 v58, v58, v57
	ds_bpermute_b32 v59, v59, v58
	v_lshlrev_b32_e32 v57, 2, v52
	s_waitcnt lgkmcnt(0)
	s_and_saveexec_b64 s[2:3], vcc
	s_cbranch_execz .LBB5_15
; %bb.14:
	v_add_f32_e32 v54, v58, v59
	v_lshl_or_b32 v58, v53, 6, v57
	ds_write2st64_b32 v58, v56, v54 offset1:1
.LBB5_15:
	s_or_b64 exec, exec, s[2:3]
	s_load_dword s8, s[4:5], 0x94
	s_waitcnt lgkmcnt(0)
	s_barrier
	ds_read2_b32 v[58:59], v57 offset1:16
	ds_read2_b32 v[60:61], v57 offset0:32 offset1:48
	ds_read2_b32 v[62:63], v57 offset0:64 offset1:80
	s_mul_i32 s9, s9, 6
	s_waitcnt lgkmcnt(2)
	v_max3_f32 v54, v58, s42, v59
	s_waitcnt lgkmcnt(1)
	v_max3_f32 v54, v54, v60, v61
	v_sub_f32_e32 v56, v58, v54
	v_mul_f32_e32 v56, 0x3fb8aa3b, v56
	v_exp_f32_e32 v64, v56
	v_sub_f32_e32 v56, v59, v54
	v_mul_f32_e32 v56, 0x3fb8aa3b, v56
	v_exp_f32_e32 v65, v56
	v_sub_f32_e32 v56, v60, v54
	v_mul_f32_e32 v56, 0x3fb8aa3b, v56
	v_exp_f32_e32 v60, v56
	ds_read2_b32 v[58:59], v57 offset0:96 offset1:112
	v_sub_f32_e32 v56, v61, v54
	v_mul_f32_e32 v56, 0x3fb8aa3b, v56
	v_exp_f32_e32 v57, v56
	s_waitcnt lgkmcnt(1)
	v_fma_f32 v56, v64, v62, 0
	v_fmac_f32_e32 v56, v65, v63
	s_waitcnt lgkmcnt(0)
	v_fmac_f32_e32 v56, v60, v58
	v_fmac_f32_e32 v56, v57, v59
	v_add_f32_e32 v58, 0x358637bd, v56
	v_div_scale_f32 v59, s[2:3], v58, v58, 1.0
	v_rcp_f32_e32 v61, v59
	s_barrier
	v_fma_f32 v62, -v59, v61, 1.0
	v_fmac_f32_e32 v61, v62, v61
	v_div_scale_f32 v62, vcc, 1.0, v58, 1.0
	v_mul_f32_e32 v63, v62, v61
	v_fma_f32 v66, -v59, v63, v62
	v_fmac_f32_e32 v63, v66, v61
	v_fma_f32 v59, -v59, v63, v62
	v_div_fmas_f32 v59, v59, v61, v63
	v_cmp_eq_u32_e32 vcc, 1, v53
	v_div_fixup_f32 v58, v59, v58, 1.0
	v_cndmask_b32_e32 v59, v64, v65, vcc
	v_cmp_eq_u32_e32 vcc, 2, v53
	v_cndmask_b32_e32 v59, v59, v60, vcc
	v_cmp_eq_u32_e32 vcc, 3, v53
	v_cndmask_b32_e32 v57, v59, v57, vcc
	v_mul_f32_e32 v58, v57, v58
	v_pk_mul_f32 v[48:49], v[58:59], v[48:49] op_sel_hi:[0,1]
	v_cvt_f16_f32_e32 v48, v48
	v_cvt_f16_f32_e32 v49, v49
	v_pk_mul_f32 v[46:47], v[58:59], v[46:47] op_sel_hi:[0,1]
	v_pk_mul_f32 v[42:43], v[58:59], v[42:43] op_sel_hi:[0,1]
	;; [unrolled: 1-line block ×3, first 2 shown]
	v_cvt_f16_f32_e32 v57, v46
	v_cvt_f16_f32_e32 v47, v47
	v_pack_b32_f16 v46, v48, v49
	v_cvt_f16_f32_e32 v44, v44
	v_cvt_f16_f32_e32 v45, v45
	;; [unrolled: 1-line block ×4, first 2 shown]
	v_lshlrev_b32_e32 v48, 3, v1
	v_lshlrev_b32_e32 v42, 11, v53
	v_pack_b32_f16 v47, v57, v47
	v_or3_b32 v42, v42, v55, v48
	v_pack_b32_f16 v44, v44, v45
	v_pack_b32_f16 v45, v49, v43
	v_pk_mul_f32 v[38:39], v[58:59], v[38:39] op_sel_hi:[0,1]
	v_pk_mul_f32 v[40:41], v[58:59], v[40:41] op_sel_hi:[0,1]
	;; [unrolled: 1-line block ×4, first 2 shown]
	ds_write2st64_b64 v42, v[46:47], v[44:45] offset1:1
	v_cvt_f16_f32_e32 v40, v40
	v_cvt_f16_f32_e32 v41, v41
	;; [unrolled: 1-line block ×8, first 2 shown]
	v_pack_b32_f16 v34, v40, v41
	v_pack_b32_f16 v35, v38, v39
	;; [unrolled: 1-line block ×4, first 2 shown]
	v_cmp_gt_u32_e32 vcc, 6, v0
	ds_write2st64_b64 v42, v[34:35], v[36:37] offset0:2 offset1:3
	s_and_saveexec_b64 s[2:3], vcc
	s_cbranch_execz .LBB5_17
; %bb.16:
	v_add_co_u32_e32 v36, vcc, s29, v52
	v_addc_co_u32_e64 v37, s[10:11], 0, 0, vcc
	v_mov_b32_e32 v34, s9
	v_mov_b32_e32 v35, 0
	v_mad_u64_u32 v[36:37], s[10:11], s6, v34, v[36:37]
	v_mov_b32_e32 v34, s28
	s_load_dwordx4 s[12:15], s[4:5], 0x58
	s_mul_i32 s7, s7, s9
	v_mad_u64_u32 v[34:35], s[10:11], v36, s8, v[34:35]
	v_add_u32_e32 v37, s7, v37
	v_mov_b32_e32 v36, v35
	v_mad_u64_u32 v[36:37], s[10:11], v37, s8, v[36:37]
	v_mov_b32_e32 v35, v36
	v_lshlrev_b64 v[34:35], 2, v[34:35]
	s_waitcnt lgkmcnt(0)
	v_mov_b32_e32 v37, s15
	v_add_co_u32_e32 v36, vcc, s14, v34
	v_addc_co_u32_e32 v37, vcc, v37, v35, vcc
	global_store_dword v[36:37], v54, off
	v_mov_b32_e32 v36, s13
	v_add_co_u32_e32 v34, vcc, s12, v34
	v_addc_co_u32_e32 v35, vcc, v36, v35, vcc
	global_store_dword v[34:35], v56, off
.LBB5_17:
	s_or_b64 exec, exec, s[2:3]
	v_lshl_or_b32 v43, v1, 9, v55
	s_waitcnt lgkmcnt(0)
	s_barrier
	ds_read_b128 v[34:37], v43
	ds_read_b128 v[38:41], v43 offset:16
	s_waitcnt vmcnt(7) lgkmcnt(1)
	v_mfma_f32_16x16x16f16 v[44:47], v[14:15], v[34:35], 0
	v_cmp_gt_u32_e32 vcc, 64, v0
	s_mov_b32 s3, 0
	s_and_b64 s[0:1], vcc, s[0:1]
	v_mfma_f32_16x16x16f16 v[14:17], v[16:17], v[36:37], v[44:47]
	s_waitcnt vmcnt(6) lgkmcnt(0)
	v_mfma_f32_16x16x16f16 v[14:17], v[10:11], v[38:39], v[14:17]
	v_mfma_f32_16x16x16f16 v[10:13], v[12:13], v[40:41], v[14:17]
	s_nop 7
	s_nop 1
	ds_read_b128 v[14:17], v43 offset:2048
	ds_read_b128 v[34:37], v43 offset:2064
	s_waitcnt vmcnt(5) lgkmcnt(1)
	v_mfma_f32_16x16x16f16 v[10:13], v[6:7], v[14:15], v[10:13]
	v_mfma_f32_16x16x16f16 v[6:9], v[8:9], v[16:17], v[10:13]
	s_waitcnt vmcnt(4) lgkmcnt(0)
	v_mfma_f32_16x16x16f16 v[6:9], v[2:3], v[34:35], v[6:9]
	v_mfma_f32_16x16x16f16 v[2:5], v[4:5], v[36:37], v[6:9]
	s_nop 7
	s_nop 1
	ds_read_b128 v[6:9], v43 offset:4096
	ds_read_b128 v[10:13], v43 offset:4112
	s_waitcnt vmcnt(3) lgkmcnt(1)
	v_mfma_f32_16x16x16f16 v[2:5], v[30:31], v[6:7], v[2:5]
	v_mfma_f32_16x16x16f16 v[2:5], v[32:33], v[8:9], v[2:5]
	s_waitcnt vmcnt(2) lgkmcnt(0)
	v_mfma_f32_16x16x16f16 v[2:5], v[22:23], v[10:11], v[2:5]
	v_mfma_f32_16x16x16f16 v[2:5], v[24:25], v[12:13], v[2:5]
	ds_read_b128 v[6:9], v43 offset:6144
	ds_read_b128 v[10:13], v43 offset:6160
	s_waitcnt lgkmcnt(0)
	s_barrier
	s_waitcnt vmcnt(1)
	v_mfma_f32_16x16x16f16 v[2:5], v[26:27], v[6:7], v[2:5]
	v_mfma_f32_16x16x16f16 v[2:5], v[28:29], v[8:9], v[2:5]
	s_waitcnt vmcnt(0)
	v_mfma_f32_16x16x16f16 v[2:5], v[18:19], v[10:11], v[2:5]
	v_mfma_f32_16x16x16f16 v[2:5], v[20:21], v[12:13], v[2:5]
	s_nop 7
	s_nop 2
	v_cvt_f16_f32_e32 v2, v2
	v_cvt_f16_f32_e32 v3, v3
	v_cvt_f16_f32_e32 v4, v4
	v_cvt_f16_f32_e32 v5, v5
	v_pack_b32_f16 v2, v2, v3
	v_pack_b32_f16 v3, v4, v5
	ds_write_b64 v42, v[2:3]
	s_waitcnt lgkmcnt(0)
	s_barrier
	s_and_saveexec_b64 s[10:11], s[0:1]
	s_cbranch_execz .LBB5_20
; %bb.18:
	s_load_dwordx2 s[4:5], s[4:5], 0x68
	s_lshl_b32 s0, s8, 6
	s_mul_i32 s1, s9, s6
	s_mul_hi_u32 s7, s1, s0
	s_mul_i32 s6, s1, s0
	s_lshl_b64 s[6:7], s[6:7], 1
	s_waitcnt lgkmcnt(0)
	s_add_u32 s1, s4, s6
	s_addc_u32 s4, s5, s7
	s_lshl_b32 s2, s28, 6
	v_lshlrev_b32_e32 v0, 10, v0
	s_lshl_b64 s[2:3], s[2:3], 1
	v_and_b32_e32 v2, 0x1800, v0
	v_lshlrev_b32_e32 v3, 5, v1
	v_and_b32_e32 v4, 16, v51
	s_add_u32 s1, s1, s2
	v_or_b32_e32 v0, 4, v1
	v_or3_b32 v2, v2, v3, v4
	s_addc_u32 s2, s4, s3
	v_add_u32_e32 v1, s29, v1
	v_mov_b32_e32 v4, s2
	v_add_co_u32_e32 v3, vcc, s1, v50
	ds_read_b128 v[6:9], v2
	v_mad_u64_u32 v[10:11], s[2:3], v1, s0, 0
	v_addc_co_u32_e32 v4, vcc, 0, v4, vcc
	v_lshlrev_b64 v[10:11], 1, v[10:11]
	v_add_co_u32_e32 v10, vcc, v3, v10
	v_addc_co_u32_e32 v11, vcc, v4, v11, vcc
	v_cmp_gt_u32_e32 vcc, 6, v0
	s_waitcnt lgkmcnt(0)
	global_store_dwordx4 v[10:11], v[6:9], off
	s_and_b64 exec, exec, vcc
	s_cbranch_execz .LBB5_20
; %bb.19:
	ds_read_b128 v[6:9], v2 offset:128
	v_add_u32_e32 v0, s29, v0
	v_mad_u64_u32 v[0:1], s[0:1], v0, s0, 0
	v_lshlrev_b64 v[0:1], 1, v[0:1]
	v_add_co_u32_e32 v0, vcc, v3, v0
	v_addc_co_u32_e32 v1, vcc, v4, v1, vcc
	s_waitcnt lgkmcnt(0)
	global_store_dwordx4 v[0:1], v[6:9], off
.LBB5_20:
	s_endpgm
	.section	.rodata,"a",@progbits
	.p2align	6, 0x0
	.amdhsa_kernel _Z39paged_attention_ll4mi_QKV_mfma16_kernelIDF16_DF16_LN4vllm18Fp8KVCacheDataTypeE0EDF16_Li16ELi64ELi256ELb1ELi6EL8MFMAType0EEvPKT_PKT0_S8_ifPKiSA_SA_iPKfiiiPfSD_PS3_PT2_iSC_SC_
		.amdhsa_group_segment_fixed_size 8192
		.amdhsa_private_segment_fixed_size 0
		.amdhsa_kernarg_size 400
		.amdhsa_user_sgpr_count 6
		.amdhsa_user_sgpr_private_segment_buffer 1
		.amdhsa_user_sgpr_dispatch_ptr 0
		.amdhsa_user_sgpr_queue_ptr 0
		.amdhsa_user_sgpr_kernarg_segment_ptr 1
		.amdhsa_user_sgpr_dispatch_id 0
		.amdhsa_user_sgpr_flat_scratch_init 0
		.amdhsa_user_sgpr_kernarg_preload_length 0
		.amdhsa_user_sgpr_kernarg_preload_offset 0
		.amdhsa_user_sgpr_private_segment_size 0
		.amdhsa_uses_dynamic_stack 0
		.amdhsa_system_sgpr_private_segment_wavefront_offset 0
		.amdhsa_system_sgpr_workgroup_id_x 1
		.amdhsa_system_sgpr_workgroup_id_y 1
		.amdhsa_system_sgpr_workgroup_id_z 1
		.amdhsa_system_sgpr_workgroup_info 0
		.amdhsa_system_vgpr_workitem_id 0
		.amdhsa_next_free_vgpr 67
		.amdhsa_next_free_sgpr 48
		.amdhsa_accum_offset 68
		.amdhsa_reserve_vcc 1
		.amdhsa_reserve_flat_scratch 0
		.amdhsa_float_round_mode_32 0
		.amdhsa_float_round_mode_16_64 0
		.amdhsa_float_denorm_mode_32 3
		.amdhsa_float_denorm_mode_16_64 3
		.amdhsa_dx10_clamp 1
		.amdhsa_ieee_mode 1
		.amdhsa_fp16_overflow 0
		.amdhsa_tg_split 0
		.amdhsa_exception_fp_ieee_invalid_op 0
		.amdhsa_exception_fp_denorm_src 0
		.amdhsa_exception_fp_ieee_div_zero 0
		.amdhsa_exception_fp_ieee_overflow 0
		.amdhsa_exception_fp_ieee_underflow 0
		.amdhsa_exception_fp_ieee_inexact 0
		.amdhsa_exception_int_div_zero 0
	.end_amdhsa_kernel
	.section	.text._Z39paged_attention_ll4mi_QKV_mfma16_kernelIDF16_DF16_LN4vllm18Fp8KVCacheDataTypeE0EDF16_Li16ELi64ELi256ELb1ELi6EL8MFMAType0EEvPKT_PKT0_S8_ifPKiSA_SA_iPKfiiiPfSD_PS3_PT2_iSC_SC_,"axG",@progbits,_Z39paged_attention_ll4mi_QKV_mfma16_kernelIDF16_DF16_LN4vllm18Fp8KVCacheDataTypeE0EDF16_Li16ELi64ELi256ELb1ELi6EL8MFMAType0EEvPKT_PKT0_S8_ifPKiSA_SA_iPKfiiiPfSD_PS3_PT2_iSC_SC_,comdat
.Lfunc_end5:
	.size	_Z39paged_attention_ll4mi_QKV_mfma16_kernelIDF16_DF16_LN4vllm18Fp8KVCacheDataTypeE0EDF16_Li16ELi64ELi256ELb1ELi6EL8MFMAType0EEvPKT_PKT0_S8_ifPKiSA_SA_iPKfiiiPfSD_PS3_PT2_iSC_SC_, .Lfunc_end5-_Z39paged_attention_ll4mi_QKV_mfma16_kernelIDF16_DF16_LN4vllm18Fp8KVCacheDataTypeE0EDF16_Li16ELi64ELi256ELb1ELi6EL8MFMAType0EEvPKT_PKT0_S8_ifPKiSA_SA_iPKfiiiPfSD_PS3_PT2_iSC_SC_
                                        ; -- End function
	.section	.AMDGPU.csdata,"",@progbits
; Kernel info:
; codeLenInByte = 4288
; NumSgprs: 52
; NumVgprs: 67
; NumAgprs: 0
; TotalNumVgprs: 67
; ScratchSize: 0
; MemoryBound: 0
; FloatMode: 240
; IeeeMode: 1
; LDSByteSize: 8192 bytes/workgroup (compile time only)
; SGPRBlocks: 6
; VGPRBlocks: 8
; NumSGPRsForWavesPerEU: 52
; NumVGPRsForWavesPerEU: 67
; AccumOffset: 68
; Occupancy: 7
; WaveLimiterHint : 1
; COMPUTE_PGM_RSRC2:SCRATCH_EN: 0
; COMPUTE_PGM_RSRC2:USER_SGPR: 6
; COMPUTE_PGM_RSRC2:TRAP_HANDLER: 0
; COMPUTE_PGM_RSRC2:TGID_X_EN: 1
; COMPUTE_PGM_RSRC2:TGID_Y_EN: 1
; COMPUTE_PGM_RSRC2:TGID_Z_EN: 1
; COMPUTE_PGM_RSRC2:TIDIG_COMP_CNT: 0
; COMPUTE_PGM_RSRC3_GFX90A:ACCUM_OFFSET: 16
; COMPUTE_PGM_RSRC3_GFX90A:TG_SPLIT: 0
	.section	.text._Z39paged_attention_ll4mi_QKV_mfma16_kernelIDF16_DF16_LN4vllm18Fp8KVCacheDataTypeE0EDF16_Li16ELi64ELi256ELb1ELi7EL8MFMAType0EEvPKT_PKT0_S8_ifPKiSA_SA_iPKfiiiPfSD_PS3_PT2_iSC_SC_,"axG",@progbits,_Z39paged_attention_ll4mi_QKV_mfma16_kernelIDF16_DF16_LN4vllm18Fp8KVCacheDataTypeE0EDF16_Li16ELi64ELi256ELb1ELi7EL8MFMAType0EEvPKT_PKT0_S8_ifPKiSA_SA_iPKfiiiPfSD_PS3_PT2_iSC_SC_,comdat
	.protected	_Z39paged_attention_ll4mi_QKV_mfma16_kernelIDF16_DF16_LN4vllm18Fp8KVCacheDataTypeE0EDF16_Li16ELi64ELi256ELb1ELi7EL8MFMAType0EEvPKT_PKT0_S8_ifPKiSA_SA_iPKfiiiPfSD_PS3_PT2_iSC_SC_ ; -- Begin function _Z39paged_attention_ll4mi_QKV_mfma16_kernelIDF16_DF16_LN4vllm18Fp8KVCacheDataTypeE0EDF16_Li16ELi64ELi256ELb1ELi7EL8MFMAType0EEvPKT_PKT0_S8_ifPKiSA_SA_iPKfiiiPfSD_PS3_PT2_iSC_SC_
	.globl	_Z39paged_attention_ll4mi_QKV_mfma16_kernelIDF16_DF16_LN4vllm18Fp8KVCacheDataTypeE0EDF16_Li16ELi64ELi256ELb1ELi7EL8MFMAType0EEvPKT_PKT0_S8_ifPKiSA_SA_iPKfiiiPfSD_PS3_PT2_iSC_SC_
	.p2align	8
	.type	_Z39paged_attention_ll4mi_QKV_mfma16_kernelIDF16_DF16_LN4vllm18Fp8KVCacheDataTypeE0EDF16_Li16ELi64ELi256ELb1ELi7EL8MFMAType0EEvPKT_PKT0_S8_ifPKiSA_SA_iPKfiiiPfSD_PS3_PT2_iSC_SC_,@function
_Z39paged_attention_ll4mi_QKV_mfma16_kernelIDF16_DF16_LN4vllm18Fp8KVCacheDataTypeE0EDF16_Li16ELi64ELi256ELb1ELi7EL8MFMAType0EEvPKT_PKT0_S8_ifPKiSA_SA_iPKfiiiPfSD_PS3_PT2_iSC_SC_: ; @_Z39paged_attention_ll4mi_QKV_mfma16_kernelIDF16_DF16_LN4vllm18Fp8KVCacheDataTypeE0EDF16_Li16ELi64ELi256ELb1ELi7EL8MFMAType0EEvPKT_PKT0_S8_ifPKiSA_SA_iPKfiiiPfSD_PS3_PT2_iSC_SC_
; %bb.0:
	s_load_dwordx2 s[0:1], s[4:5], 0x30
	s_mov_b32 s28, s7
	s_mov_b64 s[10:11], 0
	s_waitcnt lgkmcnt(0)
	s_cmp_lg_u64 s[0:1], 0
	s_cselect_b64 s[2:3], -1, 0
	s_and_b64 vcc, exec, s[2:3]
	s_cbranch_vccz .LBB6_7
; %bb.1:
	s_add_i32 s12, s6, 1
	s_mov_b32 s13, 0
	s_lshl_b64 s[14:15], s[12:13], 2
	s_add_u32 s14, s0, s14
	s_mov_b32 s7, s13
	s_addc_u32 s15, s1, s15
	s_lshl_b64 s[12:13], s[6:7], 2
	s_add_u32 s12, s0, s12
	s_addc_u32 s13, s1, s13
	s_load_dword s9, s[14:15], 0x0
	s_load_dword s16, s[12:13], 0x0
	s_waitcnt lgkmcnt(0)
	s_sub_i32 s9, s9, s16
	s_cmp_eq_u32 s9, 1
	s_cselect_b64 s[12:13], -1, 0
	s_andn2_b64 vcc, exec, s[10:11]
	s_cbranch_vccnz .LBB6_3
.LBB6_2:
	s_mov_b32 s7, 0
	s_mov_b64 s[12:13], -1
.LBB6_3:
	s_andn2_b64 vcc, exec, s[12:13]
	s_cbranch_vccnz .LBB6_20
; %bb.4:
	s_load_dwordx2 s[12:13], s[4:5], 0x28
	s_lshl_b64 s[10:11], s[6:7], 2
	s_waitcnt lgkmcnt(0)
	s_add_u32 s12, s12, s10
	s_addc_u32 s13, s13, s11
	s_load_dword s33, s[12:13], 0x0
	s_lshl_b32 s14, s28, 8
	s_waitcnt lgkmcnt(0)
	s_cmp_ge_i32 s14, s33
	s_cbranch_scc1 .LBB6_20
; %bb.5:
	s_add_i32 s15, s33, 15
	s_load_dwordx2 s[12:13], s[4:5], 0x20
	s_load_dword s9, s[4:5], 0x38
	s_ashr_i32 s16, s15, 31
	v_and_b32_e32 v1, 0xcf, v0
	s_lshr_b32 s16, s16, 28
	v_add_u32_e32 v1, s14, v1
	s_add_i32 s15, s15, s16
	v_ashrrev_i32_e32 v2, 31, v1
	s_ashr_i32 s17, s15, 4
	v_lshrrev_b32_e32 v4, 28, v2
	s_add_i32 s17, s17, -1
	v_add_u32_e32 v2, v1, v4
	s_waitcnt lgkmcnt(0)
	s_mul_i32 s18, s6, s9
	s_mov_b32 s19, 0
	v_ashrrev_i32_e32 v2, 4, v2
	v_mov_b32_e32 v5, s17
	v_cmp_gt_i32_e32 vcc, s33, v1
	s_lshl_b64 s[18:19], s[18:19], 2
	v_cndmask_b32_e32 v2, v5, v2, vcc
	s_add_u32 s15, s12, s18
	v_ashrrev_i32_e32 v3, 31, v2
	s_addc_u32 s16, s13, s19
	v_lshlrev_b64 v[2:3], 2, v[2:3]
	v_mov_b32_e32 v7, s16
	v_add_co_u32_e32 v6, vcc, s15, v2
	v_or_b32_e32 v2, 16, v1
	v_addc_co_u32_e32 v7, vcc, v7, v3, vcc
	v_add_u32_e32 v3, v2, v4
	v_ashrrev_i32_e32 v3, 4, v3
	v_cmp_gt_i32_e32 vcc, s33, v2
	v_cndmask_b32_e32 v2, v5, v3, vcc
	v_ashrrev_i32_e32 v3, 31, v2
	v_lshlrev_b64 v[2:3], 2, v[2:3]
	v_mov_b32_e32 v9, s16
	v_add_co_u32_e32 v8, vcc, s15, v2
	v_or_b32_e32 v2, 32, v1
	v_addc_co_u32_e32 v9, vcc, v9, v3, vcc
	v_add_u32_e32 v3, v2, v4
	v_ashrrev_i32_e32 v3, 4, v3
	v_cmp_gt_i32_e32 vcc, s33, v2
	v_cndmask_b32_e32 v2, v5, v3, vcc
	v_ashrrev_i32_e32 v3, 31, v2
	;; [unrolled: 10-line block ×3, first 2 shown]
	v_lshlrev_b64 v[2:3], 2, v[2:3]
	v_mov_b32_e32 v1, s16
	v_add_co_u32_e32 v12, vcc, s15, v2
	v_addc_co_u32_e32 v13, vcc, v1, v3, vcc
	global_load_dword v5, v[6:7], off
	global_load_dword v4, v[8:9], off
	;; [unrolled: 1-line block ×4, first 2 shown]
	s_load_dwordx2 s[12:13], s[4:5], 0x8
	s_andn2_b64 vcc, exec, s[2:3]
	s_cbranch_vccnz .LBB6_8
; %bb.6:
	s_add_u32 s0, s0, s10
	s_addc_u32 s1, s1, s11
	s_load_dword s9, s[0:1], 0x0
	s_branch .LBB6_9
.LBB6_7:
	s_mov_b64 s[12:13], 0
	s_branch .LBB6_2
.LBB6_8:
	s_mov_b32 s9, s6
.LBB6_9:
	s_load_dwordx2 s[2:3], s[4:5], 0x10
	s_load_dwordx4 s[44:47], s[4:5], 0x48
	v_lshrrev_b32_e32 v53, 6, v0
	v_bfe_u32 v1, v0, 4, 2
	v_lshl_or_b32 v6, v53, 2, v1
	v_and_b32_e32 v52, 15, v0
	v_lshlrev_b32_e32 v7, 3, v52
	v_cmp_gt_u32_e32 vcc, 7, v6
	v_cmp_gt_u32_e64 s[0:1], 8, v52
	s_mul_i32 s29, s8, 7
	s_and_b64 s[18:19], s[0:1], vcc
	v_lshlrev_b32_e32 v50, 1, v7
	s_and_saveexec_b64 s[10:11], s[18:19]
	s_cbranch_execz .LBB6_11
; %bb.10:
	s_load_dwordx2 s[18:19], s[4:5], 0x0
	s_waitcnt lgkmcnt(0)
	s_ashr_i32 s20, s44, 31
	s_mul_hi_u32 s21, s9, s44
	s_mul_i32 s20, s9, s20
	s_add_i32 s21, s21, s20
	s_mul_i32 s20, s9, s44
	s_lshl_b64 s[20:21], s[20:21], 1
	v_add_lshl_u32 v8, v6, s29, 6
	s_add_u32 s9, s18, s20
	v_ashrrev_i32_e32 v9, 31, v8
	s_addc_u32 s18, s19, s21
	v_lshlrev_b64 v[8:9], 1, v[8:9]
	v_mov_b32_e32 v7, s18
	v_add_co_u32_e32 v8, vcc, s9, v8
	v_addc_co_u32_e32 v7, vcc, v7, v9, vcc
	v_add_co_u32_e32 v8, vcc, v8, v50
	v_addc_co_u32_e32 v9, vcc, 0, v7, vcc
	global_load_dwordx4 v[8:11], v[8:9], off
	v_and_b32_e32 v7, 3, v0
	v_lshlrev_b32_e32 v12, 9, v52
	v_lshlrev_b32_e32 v6, 5, v6
	;; [unrolled: 1-line block ×3, first 2 shown]
	v_and_b32_e32 v12, 0x1800, v12
	v_or3_b32 v6, v12, v7, v6
	s_waitcnt vmcnt(0)
	ds_write_b128 v6, v[8:11]
.LBB6_11:
	s_or_b64 exec, exec, s[10:11]
	s_waitcnt lgkmcnt(0)
	s_mul_i32 s8, s8, s46
	s_mov_b32 s9, 0
	s_lshl_b64 s[8:9], s[8:9], 1
	s_add_u32 s10, s12, s8
	v_lshlrev_b32_e32 v51, 4, v0
	s_addc_u32 s11, s13, s9
	v_and_b32_e32 v6, 0xf0, v51
	v_mov_b32_e32 v7, s11
	v_add_co_u32_e32 v18, vcc, s10, v6
	v_addc_co_u32_e32 v19, vcc, 0, v7, vcc
	s_waitcnt vmcnt(3)
	v_mad_i64_i32 v[6:7], s[10:11], v5, s45, 0
	v_lshlrev_b64 v[6:7], 1, v[6:7]
	v_add_co_u32_e32 v5, vcc, v18, v6
	v_addc_co_u32_e32 v7, vcc, v19, v7, vcc
	v_and_b32_e32 v20, 0x300, v51
	v_add_co_u32_e32 v6, vcc, v5, v20
	s_waitcnt vmcnt(2)
	v_mad_i64_i32 v[4:5], s[10:11], v4, s45, 0
	v_addc_co_u32_e32 v7, vcc, 0, v7, vcc
	v_lshlrev_b64 v[4:5], 1, v[4:5]
	v_add_co_u32_e32 v4, vcc, v18, v4
	v_addc_co_u32_e32 v5, vcc, v19, v5, vcc
	v_add_co_u32_e32 v4, vcc, v4, v20
	v_addc_co_u32_e32 v5, vcc, 0, v5, vcc
	s_barrier
	global_load_dwordx4 v[38:41], v[6:7], off
	global_load_dwordx4 v[34:37], v[6:7], off offset:1024
	global_load_dwordx4 v[30:33], v[4:5], off
	global_load_dwordx4 v[14:17], v[4:5], off offset:1024
	s_waitcnt vmcnt(5)
	v_mad_i64_i32 v[4:5], s[10:11], v3, s45, 0
	v_lshlrev_b64 v[4:5], 1, v[4:5]
	v_add_co_u32_e32 v3, vcc, v18, v4
	v_addc_co_u32_e32 v5, vcc, v19, v5, vcc
	v_add_co_u32_e32 v4, vcc, v3, v20
	s_waitcnt vmcnt(4)
	v_mad_i64_i32 v[2:3], s[10:11], v2, s45, 0
	v_addc_co_u32_e32 v5, vcc, 0, v5, vcc
	v_lshlrev_b64 v[2:3], 1, v[2:3]
	v_add_co_u32_e32 v2, vcc, v18, v2
	v_addc_co_u32_e32 v3, vcc, v19, v3, vcc
	v_add_co_u32_e32 v22, vcc, v2, v20
	v_addc_co_u32_e32 v23, vcc, 0, v3, vcc
	global_load_dwordx4 v[10:13], v[4:5], off
	global_load_dwordx4 v[6:9], v[4:5], off offset:1024
	s_nop 0
	global_load_dwordx4 v[2:5], v[22:23], off
	global_load_dwordx4 v[18:21], v[22:23], off offset:1024
	v_mul_lo_u16_e32 v22, 37, v52
	v_mov_b32_e32 v23, 7
	v_mul_lo_u16_sdwa v22, v22, v23 dst_sel:DWORD dst_unused:UNUSED_PAD src0_sel:BYTE_1 src1_sel:DWORD
	v_sub_u16_e32 v22, v52, v22
	v_mov_b32_e32 v23, 5
	v_lshlrev_b32_sdwa v22, v23, v22 dst_sel:DWORD dst_unused:UNUSED_PAD src0_sel:DWORD src1_sel:BYTE_0
	v_lshl_add_u32 v22, v1, 9, v22
	ds_read_b128 v[26:29], v22
	ds_read_b128 v[22:25], v22 offset:2048
	v_and_b32_e32 v54, 63, v0
	v_cmp_gt_u32_e32 vcc, 7, v52
	v_mov_b32_e32 v48, 0
	s_and_saveexec_b64 s[10:11], vcc
	s_cbranch_execz .LBB6_13
; %bb.12:
	s_load_dwordx2 s[12:13], s[4:5], 0x40
	v_add_u32_e32 v42, s29, v52
	v_ashrrev_i32_e32 v43, 31, v42
	v_lshlrev_b64 v[42:43], 2, v[42:43]
	s_waitcnt lgkmcnt(0)
	v_mov_b32_e32 v44, s13
	v_add_co_u32_e32 v42, vcc, s12, v42
	v_addc_co_u32_e32 v43, vcc, v44, v43, vcc
	global_load_dword v48, v[42:43], off
.LBB6_13:
	s_or_b64 exec, exec, s[10:11]
	s_waitcnt vmcnt(7) lgkmcnt(1)
	v_mfma_f32_16x16x16f16 v[42:45], v[38:39], v[26:27], 0
	s_add_u32 s2, s2, s8
	v_lshlrev_b32_e32 v55, 5, v52
	s_addc_u32 s3, s3, s9
	s_load_dword s10, s[4:5], 0x1c
	s_mov_b32 s42, 0xff7fffff
	v_mfma_f32_16x16x16f16 v[38:41], v[40:41], v[28:29], v[42:45]
	s_waitcnt vmcnt(6) lgkmcnt(0)
	v_mfma_f32_16x16x16f16 v[38:41], v[34:35], v[22:23], v[38:41]
	s_nop 4
	v_and_or_b32 v44, v0, 48, s14
	v_mov_b32_e32 v45, s17
	v_cmp_gt_i32_e32 vcc, s33, v44
	v_mfma_f32_16x16x16f16 v[34:37], v[36:37], v[24:25], v[38:41]
	s_nop 6
	v_ashrrev_i32_e32 v38, 4, v44
	v_cndmask_b32_e32 v42, v45, v38, vcc
	v_ashrrev_i32_e32 v43, 31, v42
	s_waitcnt vmcnt(5)
	v_mfma_f32_16x16x16f16 v[38:41], v[30:31], v[26:27], 0
	v_lshlrev_b64 v[30:31], 2, v[42:43]
	v_mov_b32_e32 v42, s16
	v_add_co_u32_e32 v30, vcc, s15, v30
	v_addc_co_u32_e32 v31, vcc, v42, v31, vcc
	global_load_dword v42, v[30:31], off
	v_mfma_f32_16x16x16f16 v[30:33], v[32:33], v[28:29], v[38:41]
	v_pk_mul_f32 v[46:47], s[10:11], v[36:37] op_sel_hi:[0,1]
	s_nop 5
	v_or_b32_e32 v38, 64, v44
	v_ashrrev_i32_e32 v39, 4, v38
	v_cmp_gt_i32_e32 vcc, s33, v38
	v_cndmask_b32_e32 v38, v45, v39, vcc
	v_ashrrev_i32_e32 v39, 31, v38
	v_lshlrev_b64 v[38:39], 2, v[38:39]
	s_waitcnt vmcnt(5)
	v_mfma_f32_16x16x16f16 v[30:33], v[14:15], v[22:23], v[30:33]
	v_mov_b32_e32 v40, s16
	v_add_co_u32_e32 v14, vcc, s15, v38
	v_addc_co_u32_e32 v15, vcc, v40, v39, vcc
	global_load_dword v40, v[14:15], off
	v_or_b32_e32 v14, 0x80, v44
	v_ashrrev_i32_e32 v15, 4, v14
	v_cmp_gt_i32_e32 vcc, s33, v14
	v_cndmask_b32_e32 v14, v45, v15, vcc
	v_ashrrev_i32_e32 v15, 31, v14
	v_lshlrev_b64 v[14:15], 2, v[14:15]
	v_mfma_f32_16x16x16f16 v[30:33], v[16:17], v[24:25], v[30:33]
	v_mov_b32_e32 v16, s16
	v_add_co_u32_e32 v38, vcc, s15, v14
	v_addc_co_u32_e32 v39, vcc, v16, v15, vcc
	global_load_dword v38, v[38:39], off
	s_waitcnt vmcnt(6)
	v_mfma_f32_16x16x16f16 v[14:17], v[10:11], v[26:27], 0
	v_mfma_f32_16x16x16f16 v[10:13], v[12:13], v[28:29], v[14:17]
	s_nop 7
	s_nop 1
	v_or_b32_e32 v14, 0xc0, v44
	v_ashrrev_i32_e32 v15, 4, v14
	v_cmp_gt_i32_e32 vcc, s33, v14
	v_cndmask_b32_e32 v14, v45, v15, vcc
	s_waitcnt vmcnt(5)
	v_mfma_f32_16x16x16f16 v[10:13], v[6:7], v[22:23], v[10:13]
	v_ashrrev_i32_e32 v15, 31, v14
	v_lshlrev_b64 v[14:15], 2, v[14:15]
	v_mov_b32_e32 v16, s16
	v_add_co_u32_e32 v6, vcc, s15, v14
	v_addc_co_u32_e32 v7, vcc, v16, v15, vcc
	global_load_dword v49, v[6:7], off
	v_lshl_or_b32 v6, v53, 9, v55
	v_mov_b32_e32 v7, s3
	v_add_co_u32_e32 v60, vcc, s2, v6
	v_addc_co_u32_e32 v61, vcc, 0, v7, vcc
	v_mfma_f32_16x16x16f16 v[56:59], v[8:9], v[24:25], v[10:13]
	v_pk_mul_f32 v[44:45], s[10:11], v[30:31] op_sel_hi:[0,1]
	s_waitcnt vmcnt(3)
	v_mad_i64_i32 v[6:7], s[2:3], v42, s45, 0
	s_nop 3
	v_lshlrev_b64 v[10:11], 1, v[6:7]
	v_mfma_f32_16x16x16f16 v[6:9], v[2:3], v[26:27], 0
	v_add_co_u32_e32 v2, vcc, v60, v10
	v_addc_co_u32_e32 v3, vcc, v61, v11, vcc
	global_load_dwordx4 v[14:17], v[2:3], off
	global_load_dwordx4 v[10:13], v[2:3], off offset:16
	v_pk_mul_f32 v[42:43], s[10:11], v[32:33] op_sel_hi:[0,1]
	s_waitcnt vmcnt(4)
	v_mad_i64_i32 v[2:3], s[2:3], v40, s45, 0
	v_mfma_f32_16x16x16f16 v[26:29], v[4:5], v[28:29], v[6:9]
	v_lshlrev_b64 v[2:3], 1, v[2:3]
	v_add_co_u32_e32 v2, vcc, v60, v2
	v_addc_co_u32_e32 v3, vcc, v61, v3, vcc
	v_pk_mul_f32 v[40:41], s[10:11], v[56:57] op_sel_hi:[0,1]
	s_nop 2
	global_load_dwordx4 v[6:9], v[2:3], off
	s_nop 0
	global_load_dwordx4 v[2:5], v[2:3], off offset:16
	v_mfma_f32_16x16x16f16 v[26:29], v[18:19], v[22:23], v[26:29]
	v_pk_mul_f32 v[18:19], s[10:11], v[34:35] op_sel_hi:[0,1]
	s_waitcnt vmcnt(5)
	v_mad_i64_i32 v[38:39], s[2:3], v38, s45, 0
	v_lshlrev_b64 v[38:39], 1, v[38:39]
	v_add_co_u32_e32 v22, vcc, v60, v38
	v_mfma_f32_16x16x16f16 v[24:27], v[20:21], v[24:25], v[26:29]
	v_and_b32_e32 v20, 0xc0, v0
	v_add_u32_e32 v20, s14, v20
	v_lshl_or_b32 v20, v1, 2, v20
	v_or_b32_e32 v21, 1, v20
	v_addc_co_u32_e32 v23, vcc, v61, v39, vcc
	v_pk_mul_f32 v[38:39], s[10:11], v[58:59] op_sel_hi:[0,1]
	s_nop 4
	v_pk_mul_f32 v[36:37], s[10:11], v[24:25] op_sel_hi:[0,1]
	v_subrev_u32_e32 v24, s33, v21
	v_pk_mul_f32 v[34:35], s[10:11], v[26:27] op_sel_hi:[0,1]
	v_add_u32_e32 v26, 1, v24
	v_add_u32_e32 v27, 2, v24
	v_cvt_f32_i32_e32 v25, v24
	v_cvt_f32_i32_e32 v26, v26
	;; [unrolled: 1-line block ×3, first 2 shown]
	v_add_u32_e32 v28, 3, v24
	v_fma_f32 v18, v48, v25, v18
	v_fmac_f32_e32 v19, v48, v26
	v_fma_f32 v46, v48, v27, v46
	v_add_u32_e32 v25, 16, v24
	v_add_u32_e32 v26, 17, v24
	;; [unrolled: 1-line block ×3, first 2 shown]
	v_cvt_f32_i32_e32 v28, v28
	v_cvt_f32_i32_e32 v25, v25
	;; [unrolled: 1-line block ×4, first 2 shown]
	v_fmac_f32_e32 v47, v48, v28
	v_add_u32_e32 v28, 19, v24
	v_fma_f32 v44, v48, v25, v44
	v_fmac_f32_e32 v45, v48, v26
	v_fma_f32 v42, v48, v27, v42
	v_add_u32_e32 v25, 32, v24
	v_add_u32_e32 v26, 33, v24
	;; [unrolled: 1-line block ×3, first 2 shown]
	v_cvt_f32_i32_e32 v28, v28
	v_cvt_f32_i32_e32 v25, v25
	;; [unrolled: 1-line block ×4, first 2 shown]
	v_fmac_f32_e32 v43, v48, v28
	v_add_u32_e32 v28, 35, v24
	v_fma_f32 v40, v48, v25, v40
	v_fmac_f32_e32 v41, v48, v26
	v_fma_f32 v38, v48, v27, v38
	v_add_u32_e32 v25, 48, v24
	v_add_u32_e32 v26, 49, v24
	;; [unrolled: 1-line block ×4, first 2 shown]
	v_cvt_f32_i32_e32 v24, v24
	v_cvt_f32_i32_e32 v25, v25
	;; [unrolled: 1-line block ×3, first 2 shown]
	v_cmp_gt_i32_e64 s[30:31], s33, v20
	v_fmac_f32_e32 v35, v48, v24
	v_mov_b32_e32 v24, 0xff7fffff
	v_cmp_gt_i32_e64 s[34:35], s33, v21
	v_fma_f32 v36, v48, v25, v36
	v_cndmask_b32_e64 v25, v24, v18, s[30:31]
	v_cndmask_b32_e64 v21, v24, v19, s[34:35]
	v_fmac_f32_e32 v37, v48, v26
	v_max3_f32 v21, v25, s42, v21
	v_or_b32_e32 v25, 2, v20
	v_or_b32_e32 v26, 3, v20
	v_cmp_gt_i32_e64 s[36:37], s33, v25
	v_cmp_gt_i32_e64 s[38:39], s33, v26
	v_cndmask_b32_e64 v25, v24, v46, s[36:37]
	v_cndmask_b32_e64 v26, v24, v47, s[38:39]
	v_max3_f32 v21, v21, v25, v26
	v_or_b32_e32 v25, 16, v20
	v_or_b32_e32 v26, 17, v20
	v_cmp_gt_i32_e64 s[24:25], s33, v25
	v_cmp_gt_i32_e64 s[26:27], s33, v26
	v_cndmask_b32_e64 v25, v24, v44, s[24:25]
	v_cndmask_b32_e64 v26, v24, v45, s[26:27]
	;; [unrolled: 7-line block ×3, first 2 shown]
	v_cvt_f32_i32_e32 v28, v28
	v_max3_f32 v21, v21, v25, v26
	v_or_b32_e32 v25, 32, v20
	v_or_b32_e32 v26, 33, v20
	v_cmp_gt_i32_e64 s[16:17], s33, v25
	v_cmp_gt_i32_e64 s[18:19], s33, v26
	v_cndmask_b32_e64 v25, v24, v40, s[16:17]
	v_cndmask_b32_e64 v26, v24, v41, s[18:19]
	v_max3_f32 v21, v21, v25, v26
	v_or_b32_e32 v25, 34, v20
	v_or_b32_e32 v26, 35, v20
	v_fmac_f32_e32 v39, v48, v28
	v_cmp_gt_i32_e64 s[12:13], s33, v25
	v_cmp_gt_i32_e64 s[14:15], s33, v26
	v_cndmask_b32_e64 v25, v24, v38, s[12:13]
	v_cndmask_b32_e64 v26, v24, v39, s[14:15]
	v_cvt_f32_i32_e32 v27, v27
	v_max3_f32 v21, v21, v25, v26
	v_or_b32_e32 v25, 48, v20
	v_or_b32_e32 v26, 49, v20
	v_cmp_gt_i32_e64 s[8:9], s33, v25
	v_cmp_gt_i32_e64 s[10:11], s33, v26
	v_cndmask_b32_e64 v25, v24, v36, s[8:9]
	v_cndmask_b32_e64 v26, v24, v37, s[10:11]
	v_max3_f32 v21, v21, v25, v26
	v_or_b32_e32 v25, 50, v20
	v_or_b32_e32 v20, 51, v20
	v_fma_f32 v34, v48, v27, v34
	v_cmp_gt_i32_e32 vcc, s33, v25
	v_cmp_gt_i32_e64 s[2:3], s33, v20
	v_cndmask_b32_e32 v25, v24, v34, vcc
	v_cndmask_b32_e64 v20, v24, v35, s[2:3]
	v_max3_f32 v26, v21, v25, v20
	v_mbcnt_lo_u32_b32 v20, -1, 0
	v_mbcnt_hi_u32_b32 v27, -1, v20
	v_and_b32_e32 v20, 64, v27
	v_add_u32_e32 v28, 64, v20
	v_xor_b32_e32 v20, 32, v27
	v_cmp_lt_i32_e64 s[40:41], v20, v28
	v_cndmask_b32_e64 v20, v27, v20, s[40:41]
	v_lshlrev_b32_e32 v57, 2, v20
	ds_bpermute_b32 v29, v57, v26
	s_waitcnt vmcnt(4)
	v_mad_i64_i32 v[20:21], s[40:41], v49, s45, 0
	v_lshlrev_b64 v[20:21], 1, v[20:21]
	global_load_dwordx4 v[30:33], v[22:23], off
	s_nop 0
	global_load_dwordx4 v[22:25], v[22:23], off offset:16
	s_waitcnt lgkmcnt(0)
	v_max_f32_e32 v29, v29, v29
	v_max_f32_e32 v26, v26, v29
	v_xor_b32_e32 v29, 16, v27
	v_cmp_lt_i32_e64 s[40:41], v29, v28
	v_cndmask_b32_e64 v27, v27, v29, s[40:41]
	v_lshlrev_b32_e32 v59, 2, v27
	ds_bpermute_b32 v27, v59, v26
	v_add_co_u32_e64 v20, s[40:41], v60, v20
	v_addc_co_u32_e64 v21, s[40:41], v61, v21, s[40:41]
	s_waitcnt lgkmcnt(0)
	v_max_f32_e32 v27, v27, v27
	v_max_f32_e32 v56, v26, v27
	v_sub_f32_e32 v18, v18, v56
	v_mul_f32_e32 v18, 0x3fb8aa3b, v18
	v_exp_f32_e32 v48, v18
	v_sub_f32_e32 v18, v19, v56
	v_mul_f32_e32 v18, 0x3fb8aa3b, v18
	v_exp_f32_e32 v49, v18
	global_load_dwordx4 v[26:29], v[20:21], off
	s_nop 0
	global_load_dwordx4 v[18:21], v[20:21], off offset:16
	v_sub_f32_e32 v46, v46, v56
	v_mul_f32_e32 v46, 0x3fb8aa3b, v46
	v_sub_f32_e32 v47, v47, v56
	v_exp_f32_e32 v46, v46
	v_mul_f32_e32 v47, 0x3fb8aa3b, v47
	v_sub_f32_e32 v44, v44, v56
	v_exp_f32_e32 v47, v47
	v_mul_f32_e32 v44, 0x3fb8aa3b, v44
	v_sub_f32_e32 v45, v45, v56
	v_cndmask_b32_e64 v48, 0, v48, s[30:31]
	v_exp_f32_e32 v44, v44
	v_mul_f32_e32 v45, 0x3fb8aa3b, v45
	v_sub_f32_e32 v42, v42, v56
	v_add_f32_e32 v58, 0, v48
	v_cndmask_b32_e64 v49, 0, v49, s[34:35]
	v_exp_f32_e32 v45, v45
	v_mul_f32_e32 v42, 0x3fb8aa3b, v42
	v_sub_f32_e32 v43, v43, v56
	v_add_f32_e32 v58, v58, v49
	;; [unrolled: 5-line block ×10, first 2 shown]
	v_cndmask_b32_e64 v38, 0, v38, s[12:13]
	v_exp_f32_e32 v34, v34
	v_mul_f32_e32 v35, 0x3fb8aa3b, v35
	v_add_f32_e32 v58, v58, v38
	v_cndmask_b32_e64 v39, 0, v39, s[14:15]
	v_exp_f32_e32 v35, v35
	v_add_f32_e32 v58, v58, v39
	v_cndmask_b32_e64 v36, 0, v36, s[8:9]
	v_add_f32_e32 v58, v58, v36
	v_cndmask_b32_e64 v37, 0, v37, s[10:11]
	v_add_f32_e32 v58, v58, v37
	v_cndmask_b32_e32 v34, 0, v34, vcc
	v_add_f32_e32 v58, v58, v34
	v_cndmask_b32_e64 v35, 0, v35, s[2:3]
	v_add_f32_e32 v58, v58, v35
	ds_bpermute_b32 v57, v57, v58
	s_load_dword s9, s[4:5], 0x98
	v_cmp_gt_u32_e32 vcc, 16, v54
	s_waitcnt lgkmcnt(0)
	s_barrier
	v_add_f32_e32 v58, v58, v57
	ds_bpermute_b32 v59, v59, v58
	v_lshlrev_b32_e32 v57, 2, v52
	s_waitcnt lgkmcnt(0)
	s_and_saveexec_b64 s[2:3], vcc
	s_cbranch_execz .LBB6_15
; %bb.14:
	v_add_f32_e32 v54, v58, v59
	v_lshl_or_b32 v58, v53, 6, v57
	ds_write2st64_b32 v58, v56, v54 offset1:1
.LBB6_15:
	s_or_b64 exec, exec, s[2:3]
	s_load_dword s8, s[4:5], 0x94
	s_waitcnt lgkmcnt(0)
	s_barrier
	ds_read2_b32 v[58:59], v57 offset1:16
	ds_read2_b32 v[60:61], v57 offset0:32 offset1:48
	ds_read2_b32 v[62:63], v57 offset0:64 offset1:80
	s_mul_i32 s9, s9, 7
	s_waitcnt lgkmcnt(2)
	v_max3_f32 v54, v58, s42, v59
	s_waitcnt lgkmcnt(1)
	v_max3_f32 v54, v54, v60, v61
	v_sub_f32_e32 v56, v58, v54
	v_mul_f32_e32 v56, 0x3fb8aa3b, v56
	v_exp_f32_e32 v64, v56
	v_sub_f32_e32 v56, v59, v54
	v_mul_f32_e32 v56, 0x3fb8aa3b, v56
	v_exp_f32_e32 v65, v56
	;; [unrolled: 3-line block ×3, first 2 shown]
	ds_read2_b32 v[58:59], v57 offset0:96 offset1:112
	v_sub_f32_e32 v56, v61, v54
	v_mul_f32_e32 v56, 0x3fb8aa3b, v56
	v_exp_f32_e32 v57, v56
	s_waitcnt lgkmcnt(1)
	v_fma_f32 v56, v64, v62, 0
	v_fmac_f32_e32 v56, v65, v63
	s_waitcnt lgkmcnt(0)
	v_fmac_f32_e32 v56, v60, v58
	v_fmac_f32_e32 v56, v57, v59
	v_add_f32_e32 v58, 0x358637bd, v56
	v_div_scale_f32 v59, s[2:3], v58, v58, 1.0
	v_rcp_f32_e32 v61, v59
	s_barrier
	v_fma_f32 v62, -v59, v61, 1.0
	v_fmac_f32_e32 v61, v62, v61
	v_div_scale_f32 v62, vcc, 1.0, v58, 1.0
	v_mul_f32_e32 v63, v62, v61
	v_fma_f32 v66, -v59, v63, v62
	v_fmac_f32_e32 v63, v66, v61
	v_fma_f32 v59, -v59, v63, v62
	v_div_fmas_f32 v59, v59, v61, v63
	v_cmp_eq_u32_e32 vcc, 1, v53
	v_div_fixup_f32 v58, v59, v58, 1.0
	v_cndmask_b32_e32 v59, v64, v65, vcc
	v_cmp_eq_u32_e32 vcc, 2, v53
	v_cndmask_b32_e32 v59, v59, v60, vcc
	v_cmp_eq_u32_e32 vcc, 3, v53
	v_cndmask_b32_e32 v57, v59, v57, vcc
	v_mul_f32_e32 v58, v57, v58
	v_pk_mul_f32 v[48:49], v[58:59], v[48:49] op_sel_hi:[0,1]
	v_cvt_f16_f32_e32 v48, v48
	v_cvt_f16_f32_e32 v49, v49
	v_pk_mul_f32 v[46:47], v[58:59], v[46:47] op_sel_hi:[0,1]
	v_pk_mul_f32 v[42:43], v[58:59], v[42:43] op_sel_hi:[0,1]
	;; [unrolled: 1-line block ×3, first 2 shown]
	v_cvt_f16_f32_e32 v57, v46
	v_cvt_f16_f32_e32 v47, v47
	v_pack_b32_f16 v46, v48, v49
	v_cvt_f16_f32_e32 v44, v44
	v_cvt_f16_f32_e32 v45, v45
	;; [unrolled: 1-line block ×4, first 2 shown]
	v_lshlrev_b32_e32 v48, 3, v1
	v_lshlrev_b32_e32 v42, 11, v53
	v_pack_b32_f16 v47, v57, v47
	v_or3_b32 v42, v42, v55, v48
	v_pack_b32_f16 v44, v44, v45
	v_pack_b32_f16 v45, v49, v43
	v_pk_mul_f32 v[38:39], v[58:59], v[38:39] op_sel_hi:[0,1]
	v_pk_mul_f32 v[40:41], v[58:59], v[40:41] op_sel_hi:[0,1]
	;; [unrolled: 1-line block ×4, first 2 shown]
	ds_write2st64_b64 v42, v[46:47], v[44:45] offset1:1
	v_cvt_f16_f32_e32 v40, v40
	v_cvt_f16_f32_e32 v41, v41
	;; [unrolled: 1-line block ×8, first 2 shown]
	v_pack_b32_f16 v34, v40, v41
	v_pack_b32_f16 v35, v38, v39
	;; [unrolled: 1-line block ×4, first 2 shown]
	v_cmp_gt_u32_e32 vcc, 7, v0
	ds_write2st64_b64 v42, v[34:35], v[36:37] offset0:2 offset1:3
	s_and_saveexec_b64 s[2:3], vcc
	s_cbranch_execz .LBB6_17
; %bb.16:
	v_add_co_u32_e32 v36, vcc, s29, v52
	v_addc_co_u32_e64 v37, s[10:11], 0, 0, vcc
	v_mov_b32_e32 v34, s9
	v_mov_b32_e32 v35, 0
	v_mad_u64_u32 v[36:37], s[10:11], s6, v34, v[36:37]
	v_mov_b32_e32 v34, s28
	s_load_dwordx4 s[12:15], s[4:5], 0x58
	s_mul_i32 s7, s7, s9
	v_mad_u64_u32 v[34:35], s[10:11], v36, s8, v[34:35]
	v_add_u32_e32 v37, s7, v37
	v_mov_b32_e32 v36, v35
	v_mad_u64_u32 v[36:37], s[10:11], v37, s8, v[36:37]
	v_mov_b32_e32 v35, v36
	v_lshlrev_b64 v[34:35], 2, v[34:35]
	s_waitcnt lgkmcnt(0)
	v_mov_b32_e32 v37, s15
	v_add_co_u32_e32 v36, vcc, s14, v34
	v_addc_co_u32_e32 v37, vcc, v37, v35, vcc
	global_store_dword v[36:37], v54, off
	v_mov_b32_e32 v36, s13
	v_add_co_u32_e32 v34, vcc, s12, v34
	v_addc_co_u32_e32 v35, vcc, v36, v35, vcc
	global_store_dword v[34:35], v56, off
.LBB6_17:
	s_or_b64 exec, exec, s[2:3]
	v_lshl_or_b32 v43, v1, 9, v55
	s_waitcnt lgkmcnt(0)
	s_barrier
	ds_read_b128 v[34:37], v43
	ds_read_b128 v[38:41], v43 offset:16
	s_waitcnt vmcnt(7) lgkmcnt(1)
	v_mfma_f32_16x16x16f16 v[44:47], v[14:15], v[34:35], 0
	v_cmp_gt_u32_e32 vcc, 64, v0
	s_mov_b32 s3, 0
	s_and_b64 s[0:1], vcc, s[0:1]
	v_mfma_f32_16x16x16f16 v[14:17], v[16:17], v[36:37], v[44:47]
	s_waitcnt vmcnt(6) lgkmcnt(0)
	v_mfma_f32_16x16x16f16 v[14:17], v[10:11], v[38:39], v[14:17]
	v_mfma_f32_16x16x16f16 v[10:13], v[12:13], v[40:41], v[14:17]
	s_nop 7
	s_nop 1
	ds_read_b128 v[14:17], v43 offset:2048
	ds_read_b128 v[34:37], v43 offset:2064
	s_waitcnt vmcnt(5) lgkmcnt(1)
	v_mfma_f32_16x16x16f16 v[10:13], v[6:7], v[14:15], v[10:13]
	v_mfma_f32_16x16x16f16 v[6:9], v[8:9], v[16:17], v[10:13]
	s_waitcnt vmcnt(4) lgkmcnt(0)
	v_mfma_f32_16x16x16f16 v[6:9], v[2:3], v[34:35], v[6:9]
	v_mfma_f32_16x16x16f16 v[2:5], v[4:5], v[36:37], v[6:9]
	s_nop 7
	s_nop 1
	ds_read_b128 v[6:9], v43 offset:4096
	ds_read_b128 v[10:13], v43 offset:4112
	s_waitcnt vmcnt(3) lgkmcnt(1)
	v_mfma_f32_16x16x16f16 v[2:5], v[30:31], v[6:7], v[2:5]
	v_mfma_f32_16x16x16f16 v[2:5], v[32:33], v[8:9], v[2:5]
	s_waitcnt vmcnt(2) lgkmcnt(0)
	v_mfma_f32_16x16x16f16 v[2:5], v[22:23], v[10:11], v[2:5]
	v_mfma_f32_16x16x16f16 v[2:5], v[24:25], v[12:13], v[2:5]
	ds_read_b128 v[6:9], v43 offset:6144
	ds_read_b128 v[10:13], v43 offset:6160
	s_waitcnt lgkmcnt(0)
	s_barrier
	s_waitcnt vmcnt(1)
	v_mfma_f32_16x16x16f16 v[2:5], v[26:27], v[6:7], v[2:5]
	v_mfma_f32_16x16x16f16 v[2:5], v[28:29], v[8:9], v[2:5]
	s_waitcnt vmcnt(0)
	v_mfma_f32_16x16x16f16 v[2:5], v[18:19], v[10:11], v[2:5]
	v_mfma_f32_16x16x16f16 v[2:5], v[20:21], v[12:13], v[2:5]
	s_nop 7
	s_nop 2
	v_cvt_f16_f32_e32 v2, v2
	v_cvt_f16_f32_e32 v3, v3
	;; [unrolled: 1-line block ×4, first 2 shown]
	v_pack_b32_f16 v2, v2, v3
	v_pack_b32_f16 v3, v4, v5
	ds_write_b64 v42, v[2:3]
	s_waitcnt lgkmcnt(0)
	s_barrier
	s_and_saveexec_b64 s[10:11], s[0:1]
	s_cbranch_execz .LBB6_20
; %bb.18:
	s_load_dwordx2 s[4:5], s[4:5], 0x68
	s_lshl_b32 s0, s8, 6
	s_mul_i32 s1, s9, s6
	s_mul_hi_u32 s7, s1, s0
	s_mul_i32 s6, s1, s0
	s_lshl_b64 s[6:7], s[6:7], 1
	s_waitcnt lgkmcnt(0)
	s_add_u32 s1, s4, s6
	s_addc_u32 s4, s5, s7
	s_lshl_b32 s2, s28, 6
	v_lshlrev_b32_e32 v0, 10, v0
	s_lshl_b64 s[2:3], s[2:3], 1
	v_and_b32_e32 v0, 0x1800, v0
	v_lshlrev_b32_e32 v2, 5, v1
	v_and_b32_e32 v3, 16, v51
	s_add_u32 s1, s1, s2
	v_or3_b32 v0, v0, v2, v3
	s_addc_u32 s2, s4, s3
	v_add_u32_e32 v8, s29, v1
	v_mov_b32_e32 v3, s2
	v_add_co_u32_e32 v2, vcc, s1, v50
	ds_read_b128 v[4:7], v0
	v_mad_u64_u32 v[8:9], s[2:3], v8, s0, 0
	v_addc_co_u32_e32 v3, vcc, 0, v3, vcc
	v_lshlrev_b64 v[8:9], 1, v[8:9]
	v_add_co_u32_e32 v8, vcc, v2, v8
	v_addc_co_u32_e32 v9, vcc, v3, v9, vcc
	v_cmp_ne_u32_e32 vcc, 3, v1
	s_waitcnt lgkmcnt(0)
	global_store_dwordx4 v[8:9], v[4:7], off
	s_and_b64 exec, exec, vcc
	s_cbranch_execz .LBB6_20
; %bb.19:
	ds_read_b128 v[4:7], v0 offset:128
	v_add3_u32 v0, s29, v1, 4
	v_mad_u64_u32 v[0:1], s[0:1], v0, s0, 0
	v_lshlrev_b64 v[0:1], 1, v[0:1]
	v_add_co_u32_e32 v0, vcc, v2, v0
	v_addc_co_u32_e32 v1, vcc, v3, v1, vcc
	s_waitcnt lgkmcnt(0)
	global_store_dwordx4 v[0:1], v[4:7], off
.LBB6_20:
	s_endpgm
	.section	.rodata,"a",@progbits
	.p2align	6, 0x0
	.amdhsa_kernel _Z39paged_attention_ll4mi_QKV_mfma16_kernelIDF16_DF16_LN4vllm18Fp8KVCacheDataTypeE0EDF16_Li16ELi64ELi256ELb1ELi7EL8MFMAType0EEvPKT_PKT0_S8_ifPKiSA_SA_iPKfiiiPfSD_PS3_PT2_iSC_SC_
		.amdhsa_group_segment_fixed_size 8192
		.amdhsa_private_segment_fixed_size 0
		.amdhsa_kernarg_size 400
		.amdhsa_user_sgpr_count 6
		.amdhsa_user_sgpr_private_segment_buffer 1
		.amdhsa_user_sgpr_dispatch_ptr 0
		.amdhsa_user_sgpr_queue_ptr 0
		.amdhsa_user_sgpr_kernarg_segment_ptr 1
		.amdhsa_user_sgpr_dispatch_id 0
		.amdhsa_user_sgpr_flat_scratch_init 0
		.amdhsa_user_sgpr_kernarg_preload_length 0
		.amdhsa_user_sgpr_kernarg_preload_offset 0
		.amdhsa_user_sgpr_private_segment_size 0
		.amdhsa_uses_dynamic_stack 0
		.amdhsa_system_sgpr_private_segment_wavefront_offset 0
		.amdhsa_system_sgpr_workgroup_id_x 1
		.amdhsa_system_sgpr_workgroup_id_y 1
		.amdhsa_system_sgpr_workgroup_id_z 1
		.amdhsa_system_sgpr_workgroup_info 0
		.amdhsa_system_vgpr_workitem_id 0
		.amdhsa_next_free_vgpr 67
		.amdhsa_next_free_sgpr 48
		.amdhsa_accum_offset 68
		.amdhsa_reserve_vcc 1
		.amdhsa_reserve_flat_scratch 0
		.amdhsa_float_round_mode_32 0
		.amdhsa_float_round_mode_16_64 0
		.amdhsa_float_denorm_mode_32 3
		.amdhsa_float_denorm_mode_16_64 3
		.amdhsa_dx10_clamp 1
		.amdhsa_ieee_mode 1
		.amdhsa_fp16_overflow 0
		.amdhsa_tg_split 0
		.amdhsa_exception_fp_ieee_invalid_op 0
		.amdhsa_exception_fp_denorm_src 0
		.amdhsa_exception_fp_ieee_div_zero 0
		.amdhsa_exception_fp_ieee_overflow 0
		.amdhsa_exception_fp_ieee_underflow 0
		.amdhsa_exception_fp_ieee_inexact 0
		.amdhsa_exception_int_div_zero 0
	.end_amdhsa_kernel
	.section	.text._Z39paged_attention_ll4mi_QKV_mfma16_kernelIDF16_DF16_LN4vllm18Fp8KVCacheDataTypeE0EDF16_Li16ELi64ELi256ELb1ELi7EL8MFMAType0EEvPKT_PKT0_S8_ifPKiSA_SA_iPKfiiiPfSD_PS3_PT2_iSC_SC_,"axG",@progbits,_Z39paged_attention_ll4mi_QKV_mfma16_kernelIDF16_DF16_LN4vllm18Fp8KVCacheDataTypeE0EDF16_Li16ELi64ELi256ELb1ELi7EL8MFMAType0EEvPKT_PKT0_S8_ifPKiSA_SA_iPKfiiiPfSD_PS3_PT2_iSC_SC_,comdat
.Lfunc_end6:
	.size	_Z39paged_attention_ll4mi_QKV_mfma16_kernelIDF16_DF16_LN4vllm18Fp8KVCacheDataTypeE0EDF16_Li16ELi64ELi256ELb1ELi7EL8MFMAType0EEvPKT_PKT0_S8_ifPKiSA_SA_iPKfiiiPfSD_PS3_PT2_iSC_SC_, .Lfunc_end6-_Z39paged_attention_ll4mi_QKV_mfma16_kernelIDF16_DF16_LN4vllm18Fp8KVCacheDataTypeE0EDF16_Li16ELi64ELi256ELb1ELi7EL8MFMAType0EEvPKT_PKT0_S8_ifPKiSA_SA_iPKfiiiPfSD_PS3_PT2_iSC_SC_
                                        ; -- End function
	.section	.AMDGPU.csdata,"",@progbits
; Kernel info:
; codeLenInByte = 4288
; NumSgprs: 52
; NumVgprs: 67
; NumAgprs: 0
; TotalNumVgprs: 67
; ScratchSize: 0
; MemoryBound: 0
; FloatMode: 240
; IeeeMode: 1
; LDSByteSize: 8192 bytes/workgroup (compile time only)
; SGPRBlocks: 6
; VGPRBlocks: 8
; NumSGPRsForWavesPerEU: 52
; NumVGPRsForWavesPerEU: 67
; AccumOffset: 68
; Occupancy: 7
; WaveLimiterHint : 1
; COMPUTE_PGM_RSRC2:SCRATCH_EN: 0
; COMPUTE_PGM_RSRC2:USER_SGPR: 6
; COMPUTE_PGM_RSRC2:TRAP_HANDLER: 0
; COMPUTE_PGM_RSRC2:TGID_X_EN: 1
; COMPUTE_PGM_RSRC2:TGID_Y_EN: 1
; COMPUTE_PGM_RSRC2:TGID_Z_EN: 1
; COMPUTE_PGM_RSRC2:TIDIG_COMP_CNT: 0
; COMPUTE_PGM_RSRC3_GFX90A:ACCUM_OFFSET: 16
; COMPUTE_PGM_RSRC3_GFX90A:TG_SPLIT: 0
	.section	.text._Z39paged_attention_ll4mi_QKV_mfma16_kernelIDF16_DF16_LN4vllm18Fp8KVCacheDataTypeE0EDF16_Li16ELi64ELi256ELb1ELi8EL8MFMAType0EEvPKT_PKT0_S8_ifPKiSA_SA_iPKfiiiPfSD_PS3_PT2_iSC_SC_,"axG",@progbits,_Z39paged_attention_ll4mi_QKV_mfma16_kernelIDF16_DF16_LN4vllm18Fp8KVCacheDataTypeE0EDF16_Li16ELi64ELi256ELb1ELi8EL8MFMAType0EEvPKT_PKT0_S8_ifPKiSA_SA_iPKfiiiPfSD_PS3_PT2_iSC_SC_,comdat
	.protected	_Z39paged_attention_ll4mi_QKV_mfma16_kernelIDF16_DF16_LN4vllm18Fp8KVCacheDataTypeE0EDF16_Li16ELi64ELi256ELb1ELi8EL8MFMAType0EEvPKT_PKT0_S8_ifPKiSA_SA_iPKfiiiPfSD_PS3_PT2_iSC_SC_ ; -- Begin function _Z39paged_attention_ll4mi_QKV_mfma16_kernelIDF16_DF16_LN4vllm18Fp8KVCacheDataTypeE0EDF16_Li16ELi64ELi256ELb1ELi8EL8MFMAType0EEvPKT_PKT0_S8_ifPKiSA_SA_iPKfiiiPfSD_PS3_PT2_iSC_SC_
	.globl	_Z39paged_attention_ll4mi_QKV_mfma16_kernelIDF16_DF16_LN4vllm18Fp8KVCacheDataTypeE0EDF16_Li16ELi64ELi256ELb1ELi8EL8MFMAType0EEvPKT_PKT0_S8_ifPKiSA_SA_iPKfiiiPfSD_PS3_PT2_iSC_SC_
	.p2align	8
	.type	_Z39paged_attention_ll4mi_QKV_mfma16_kernelIDF16_DF16_LN4vllm18Fp8KVCacheDataTypeE0EDF16_Li16ELi64ELi256ELb1ELi8EL8MFMAType0EEvPKT_PKT0_S8_ifPKiSA_SA_iPKfiiiPfSD_PS3_PT2_iSC_SC_,@function
_Z39paged_attention_ll4mi_QKV_mfma16_kernelIDF16_DF16_LN4vllm18Fp8KVCacheDataTypeE0EDF16_Li16ELi64ELi256ELb1ELi8EL8MFMAType0EEvPKT_PKT0_S8_ifPKiSA_SA_iPKfiiiPfSD_PS3_PT2_iSC_SC_: ; @_Z39paged_attention_ll4mi_QKV_mfma16_kernelIDF16_DF16_LN4vllm18Fp8KVCacheDataTypeE0EDF16_Li16ELi64ELi256ELb1ELi8EL8MFMAType0EEvPKT_PKT0_S8_ifPKiSA_SA_iPKfiiiPfSD_PS3_PT2_iSC_SC_
; %bb.0:
	s_load_dwordx2 s[0:1], s[4:5], 0x30
	s_mov_b32 s28, s7
	s_mov_b64 s[10:11], 0
	s_waitcnt lgkmcnt(0)
	s_cmp_lg_u64 s[0:1], 0
	s_cselect_b64 s[2:3], -1, 0
	s_and_b64 vcc, exec, s[2:3]
	s_cbranch_vccz .LBB7_7
; %bb.1:
	s_add_i32 s12, s6, 1
	s_mov_b32 s13, 0
	s_lshl_b64 s[14:15], s[12:13], 2
	s_add_u32 s14, s0, s14
	s_mov_b32 s7, s13
	s_addc_u32 s15, s1, s15
	s_lshl_b64 s[12:13], s[6:7], 2
	s_add_u32 s12, s0, s12
	s_addc_u32 s13, s1, s13
	s_load_dword s9, s[14:15], 0x0
	s_load_dword s16, s[12:13], 0x0
	s_waitcnt lgkmcnt(0)
	s_sub_i32 s9, s9, s16
	s_cmp_eq_u32 s9, 1
	s_cselect_b64 s[12:13], -1, 0
	s_andn2_b64 vcc, exec, s[10:11]
	s_cbranch_vccnz .LBB7_3
.LBB7_2:
	s_mov_b32 s7, 0
	s_mov_b64 s[12:13], -1
.LBB7_3:
	s_andn2_b64 vcc, exec, s[12:13]
	s_cbranch_vccnz .LBB7_19
; %bb.4:
	s_load_dwordx2 s[12:13], s[4:5], 0x28
	s_lshl_b64 s[10:11], s[6:7], 2
	s_waitcnt lgkmcnt(0)
	s_add_u32 s12, s12, s10
	s_addc_u32 s13, s13, s11
	s_load_dword s33, s[12:13], 0x0
	s_lshl_b32 s14, s28, 8
	s_waitcnt lgkmcnt(0)
	s_cmp_ge_i32 s14, s33
	s_cbranch_scc1 .LBB7_19
; %bb.5:
	s_add_i32 s15, s33, 15
	s_load_dwordx2 s[12:13], s[4:5], 0x20
	s_load_dword s9, s[4:5], 0x38
	s_ashr_i32 s16, s15, 31
	v_and_b32_e32 v1, 0xcf, v0
	s_lshr_b32 s16, s16, 28
	v_add_u32_e32 v1, s14, v1
	s_add_i32 s15, s15, s16
	v_ashrrev_i32_e32 v2, 31, v1
	s_ashr_i32 s17, s15, 4
	v_lshrrev_b32_e32 v4, 28, v2
	s_add_i32 s17, s17, -1
	v_add_u32_e32 v2, v1, v4
	s_waitcnt lgkmcnt(0)
	s_mul_i32 s18, s6, s9
	s_mov_b32 s19, 0
	v_ashrrev_i32_e32 v2, 4, v2
	v_mov_b32_e32 v5, s17
	v_cmp_gt_i32_e32 vcc, s33, v1
	s_lshl_b64 s[18:19], s[18:19], 2
	v_cndmask_b32_e32 v2, v5, v2, vcc
	s_add_u32 s15, s12, s18
	v_ashrrev_i32_e32 v3, 31, v2
	s_addc_u32 s16, s13, s19
	v_lshlrev_b64 v[2:3], 2, v[2:3]
	v_mov_b32_e32 v7, s16
	v_add_co_u32_e32 v6, vcc, s15, v2
	v_or_b32_e32 v2, 16, v1
	v_addc_co_u32_e32 v7, vcc, v7, v3, vcc
	v_add_u32_e32 v3, v2, v4
	v_ashrrev_i32_e32 v3, 4, v3
	v_cmp_gt_i32_e32 vcc, s33, v2
	v_cndmask_b32_e32 v2, v5, v3, vcc
	v_ashrrev_i32_e32 v3, 31, v2
	v_lshlrev_b64 v[2:3], 2, v[2:3]
	v_mov_b32_e32 v9, s16
	v_add_co_u32_e32 v8, vcc, s15, v2
	v_or_b32_e32 v2, 32, v1
	v_addc_co_u32_e32 v9, vcc, v9, v3, vcc
	v_add_u32_e32 v3, v2, v4
	v_ashrrev_i32_e32 v3, 4, v3
	v_cmp_gt_i32_e32 vcc, s33, v2
	v_cndmask_b32_e32 v2, v5, v3, vcc
	v_ashrrev_i32_e32 v3, 31, v2
	;; [unrolled: 10-line block ×3, first 2 shown]
	v_lshlrev_b64 v[2:3], 2, v[2:3]
	v_mov_b32_e32 v1, s16
	v_add_co_u32_e32 v12, vcc, s15, v2
	v_addc_co_u32_e32 v13, vcc, v1, v3, vcc
	global_load_dword v5, v[6:7], off
	global_load_dword v4, v[8:9], off
	;; [unrolled: 1-line block ×4, first 2 shown]
	s_load_dwordx2 s[12:13], s[4:5], 0x8
	s_andn2_b64 vcc, exec, s[2:3]
	s_cbranch_vccnz .LBB7_8
; %bb.6:
	s_add_u32 s0, s0, s10
	s_addc_u32 s1, s1, s11
	s_load_dword s9, s[0:1], 0x0
	s_branch .LBB7_9
.LBB7_7:
	s_mov_b64 s[12:13], 0
	s_branch .LBB7_2
.LBB7_8:
	s_mov_b32 s9, s6
.LBB7_9:
	s_load_dwordx2 s[2:3], s[4:5], 0x10
	s_load_dwordx4 s[44:47], s[4:5], 0x48
	v_and_b32_e32 v53, 15, v0
	s_movk_i32 s0, 0x80
	v_lshlrev_b32_e32 v6, 3, v53
	v_cmp_gt_u32_e32 vcc, s0, v0
	v_cmp_gt_u32_e64 s[0:1], 8, v53
	v_lshrrev_b32_e32 v52, 6, v0
	v_bfe_u32 v1, v0, 4, 2
	s_lshl_b32 s29, s8, 3
	s_and_b64 s[18:19], vcc, s[0:1]
	v_lshlrev_b32_e32 v50, 1, v6
	s_and_saveexec_b64 s[10:11], s[18:19]
	s_cbranch_execz .LBB7_11
; %bb.10:
	s_load_dwordx2 s[18:19], s[4:5], 0x0
	s_waitcnt lgkmcnt(0)
	s_ashr_i32 s20, s44, 31
	s_mul_hi_u32 s21, s9, s44
	s_mul_i32 s20, s9, s20
	v_lshl_or_b32 v10, v52, 2, v1
	s_add_i32 s21, s21, s20
	s_mul_i32 s20, s9, s44
	s_lshl_b64 s[20:21], s[20:21], 1
	v_add_lshl_u32 v6, v10, s29, 6
	s_add_u32 s9, s18, s20
	v_ashrrev_i32_e32 v7, 31, v6
	s_addc_u32 s18, s19, s21
	v_lshlrev_b64 v[6:7], 1, v[6:7]
	v_mov_b32_e32 v8, s18
	v_add_co_u32_e32 v6, vcc, s9, v6
	v_addc_co_u32_e32 v7, vcc, v8, v7, vcc
	v_add_co_u32_e32 v6, vcc, v6, v50
	v_addc_co_u32_e32 v7, vcc, 0, v7, vcc
	global_load_dwordx4 v[6:9], v[6:7], off
	v_and_b32_e32 v11, 3, v0
	v_lshlrev_b32_e32 v12, 9, v53
	v_lshlrev_b32_e32 v10, 5, v10
	;; [unrolled: 1-line block ×3, first 2 shown]
	v_and_b32_e32 v12, 0x1800, v12
	v_or3_b32 v10, v12, v11, v10
	s_waitcnt vmcnt(0)
	ds_write_b128 v10, v[6:9]
.LBB7_11:
	s_or_b64 exec, exec, s[10:11]
	s_waitcnt lgkmcnt(0)
	s_mul_i32 s8, s8, s46
	s_mov_b32 s9, 0
	s_lshl_b64 s[8:9], s[8:9], 1
	s_add_u32 s10, s12, s8
	v_lshlrev_b32_e32 v51, 4, v0
	s_addc_u32 s11, s13, s9
	v_and_b32_e32 v6, 0xf0, v51
	v_mov_b32_e32 v7, s11
	v_add_co_u32_e32 v8, vcc, s10, v6
	v_addc_co_u32_e32 v9, vcc, 0, v7, vcc
	s_waitcnt vmcnt(3)
	v_mad_i64_i32 v[6:7], s[10:11], v5, s45, 0
	v_lshlrev_b64 v[6:7], 1, v[6:7]
	v_add_co_u32_e32 v5, vcc, v8, v6
	v_addc_co_u32_e32 v7, vcc, v9, v7, vcc
	v_and_b32_e32 v18, 0x300, v51
	v_add_co_u32_e32 v6, vcc, v5, v18
	s_waitcnt vmcnt(2)
	v_mad_i64_i32 v[4:5], s[10:11], v4, s45, 0
	v_addc_co_u32_e32 v7, vcc, 0, v7, vcc
	v_lshlrev_b64 v[4:5], 1, v[4:5]
	v_add_co_u32_e32 v4, vcc, v8, v4
	v_addc_co_u32_e32 v5, vcc, v9, v5, vcc
	v_add_co_u32_e32 v4, vcc, v4, v18
	v_addc_co_u32_e32 v5, vcc, 0, v5, vcc
	s_barrier
	global_load_dwordx4 v[38:41], v[6:7], off
	global_load_dwordx4 v[34:37], v[6:7], off offset:1024
	global_load_dwordx4 v[30:33], v[4:5], off
	global_load_dwordx4 v[26:29], v[4:5], off offset:1024
	s_waitcnt vmcnt(5)
	v_mad_i64_i32 v[4:5], s[10:11], v3, s45, 0
	v_lshlrev_b64 v[4:5], 1, v[4:5]
	v_add_co_u32_e32 v3, vcc, v8, v4
	v_addc_co_u32_e32 v5, vcc, v9, v5, vcc
	v_add_co_u32_e32 v4, vcc, v3, v18
	s_waitcnt vmcnt(4)
	v_mad_i64_i32 v[2:3], s[10:11], v2, s45, 0
	v_addc_co_u32_e32 v5, vcc, 0, v5, vcc
	v_lshlrev_b64 v[2:3], 1, v[2:3]
	v_add_co_u32_e32 v2, vcc, v8, v2
	v_addc_co_u32_e32 v3, vcc, v9, v3, vcc
	v_add_co_u32_e32 v6, vcc, v2, v18
	v_addc_co_u32_e32 v7, vcc, 0, v3, vcc
	global_load_dwordx4 v[14:17], v[4:5], off
	global_load_dwordx4 v[10:13], v[4:5], off offset:1024
	s_nop 0
	global_load_dwordx4 v[2:5], v[6:7], off
	global_load_dwordx4 v[18:21], v[6:7], off offset:1024
	v_and_b32_e32 v6, 7, v0
	v_lshlrev_b32_e32 v6, 5, v6
	v_lshl_or_b32 v22, v1, 9, v6
	ds_read_b128 v[6:9], v22
	ds_read_b128 v[22:25], v22 offset:2048
	v_and_b32_e32 v54, 63, v0
	v_mov_b32_e32 v48, 0
	s_and_saveexec_b64 s[10:11], s[0:1]
	s_cbranch_execz .LBB7_13
; %bb.12:
	s_load_dwordx2 s[12:13], s[4:5], 0x40
	v_or_b32_e32 v42, s29, v53
	v_ashrrev_i32_e32 v43, 31, v42
	v_lshlrev_b64 v[42:43], 2, v[42:43]
	s_waitcnt lgkmcnt(0)
	v_mov_b32_e32 v44, s13
	v_add_co_u32_e32 v42, vcc, s12, v42
	v_addc_co_u32_e32 v43, vcc, v44, v43, vcc
	global_load_dword v48, v[42:43], off
.LBB7_13:
	s_or_b64 exec, exec, s[10:11]
	s_waitcnt vmcnt(7) lgkmcnt(1)
	v_mfma_f32_16x16x16f16 v[42:45], v[38:39], v[6:7], 0
	s_load_dword s10, s[4:5], 0x1c
	s_add_u32 s2, s2, s8
	v_lshlrev_b32_e32 v55, 5, v53
	s_addc_u32 s3, s3, s9
	s_mov_b32 s42, 0xff7fffff
	v_mfma_f32_16x16x16f16 v[38:41], v[40:41], v[8:9], v[42:45]
	s_waitcnt vmcnt(6) lgkmcnt(0)
	v_mfma_f32_16x16x16f16 v[38:41], v[34:35], v[22:23], v[38:41]
	s_nop 4
	v_and_or_b32 v44, v0, 48, s14
	v_mov_b32_e32 v45, s17
	v_cmp_gt_i32_e32 vcc, s33, v44
	v_mfma_f32_16x16x16f16 v[34:37], v[36:37], v[24:25], v[38:41]
	s_nop 6
	v_ashrrev_i32_e32 v38, 4, v44
	v_cndmask_b32_e32 v42, v45, v38, vcc
	s_waitcnt vmcnt(5)
	v_mfma_f32_16x16x16f16 v[38:41], v[30:31], v[6:7], 0
	v_ashrrev_i32_e32 v43, 31, v42
	v_lshlrev_b64 v[30:31], 2, v[42:43]
	v_mov_b32_e32 v42, s16
	v_add_co_u32_e32 v30, vcc, s15, v30
	v_addc_co_u32_e32 v31, vcc, v42, v31, vcc
	global_load_dword v42, v[30:31], off
	v_mfma_f32_16x16x16f16 v[30:33], v[32:33], v[8:9], v[38:41]
	s_nop 6
	v_or_b32_e32 v38, 64, v44
	v_ashrrev_i32_e32 v39, 4, v38
	v_cmp_gt_i32_e32 vcc, s33, v38
	v_cndmask_b32_e32 v38, v45, v39, vcc
	v_ashrrev_i32_e32 v39, 31, v38
	s_waitcnt vmcnt(5)
	v_mfma_f32_16x16x16f16 v[30:33], v[26:27], v[22:23], v[30:33]
	v_lshlrev_b64 v[38:39], 2, v[38:39]
	v_mov_b32_e32 v40, s16
	v_add_co_u32_e32 v26, vcc, s15, v38
	v_addc_co_u32_e32 v27, vcc, v40, v39, vcc
	global_load_dword v43, v[26:27], off
	v_or_b32_e32 v26, 0x80, v44
	v_ashrrev_i32_e32 v27, 4, v26
	v_cmp_gt_i32_e32 vcc, s33, v26
	v_cndmask_b32_e32 v38, v45, v27, vcc
	v_ashrrev_i32_e32 v39, 31, v38
	v_mfma_f32_16x16x16f16 v[26:29], v[28:29], v[24:25], v[30:33]
	s_nop 6
	v_lshlrev_b64 v[30:31], 2, v[38:39]
	v_mov_b32_e32 v32, s16
	v_add_co_u32_e32 v38, vcc, s15, v30
	v_addc_co_u32_e32 v39, vcc, v32, v31, vcc
	global_load_dword v46, v[38:39], off
	s_waitcnt vmcnt(6)
	v_mfma_f32_16x16x16f16 v[30:33], v[14:15], v[6:7], 0
	v_mfma_f32_16x16x16f16 v[14:17], v[16:17], v[8:9], v[30:33]
	s_nop 7
	s_nop 1
	v_or_b32_e32 v30, 0xc0, v44
	v_ashrrev_i32_e32 v31, 4, v30
	v_cmp_gt_i32_e32 vcc, s33, v30
	v_cndmask_b32_e32 v30, v45, v31, vcc
	v_ashrrev_i32_e32 v31, 31, v30
	v_lshlrev_b64 v[30:31], 2, v[30:31]
	v_mov_b32_e32 v32, s16
	s_waitcnt vmcnt(5)
	v_mfma_f32_16x16x16f16 v[14:17], v[10:11], v[22:23], v[14:17]
	v_add_co_u32_e32 v10, vcc, s15, v30
	v_addc_co_u32_e32 v11, vcc, v32, v31, vcc
	global_load_dword v49, v[10:11], off
	v_pk_mul_f32 v[44:45], s[10:11], v[26:27] op_sel_hi:[0,1]
	v_lshl_or_b32 v10, v52, 9, v55
	s_waitcnt vmcnt(5)
	v_mfma_f32_16x16x16f16 v[38:41], v[2:3], v[6:7], 0
	v_mov_b32_e32 v11, s3
	v_add_co_u32_e32 v60, vcc, s2, v10
	v_addc_co_u32_e32 v61, vcc, 0, v11, vcc
	s_waitcnt vmcnt(3)
	v_mad_i64_i32 v[10:11], s[2:3], v42, s45, 0
	v_mfma_f32_16x16x16f16 v[38:41], v[4:5], v[8:9], v[38:41]
	v_lshlrev_b64 v[10:11], 1, v[10:11]
	v_add_co_u32_e32 v2, vcc, v60, v10
	v_addc_co_u32_e32 v3, vcc, v61, v11, vcc
	v_mfma_f32_16x16x16f16 v[56:59], v[18:19], v[22:23], v[38:41]
	v_pk_mul_f32 v[18:19], s[10:11], v[34:35] op_sel_hi:[0,1]
	v_mfma_f32_16x16x16f16 v[30:33], v[12:13], v[24:25], v[14:17]
	s_nop 6
	global_load_dwordx4 v[14:17], v[2:3], off
	global_load_dwordx4 v[10:13], v[2:3], off offset:16
	s_waitcnt vmcnt(4)
	v_mad_i64_i32 v[2:3], s[2:3], v43, s45, 0
	v_lshlrev_b64 v[2:3], 1, v[2:3]
	v_add_co_u32_e32 v2, vcc, v60, v2
	v_mfma_f32_16x16x16f16 v[24:27], v[20:21], v[24:25], v[56:59]
	v_and_b32_e32 v20, 0xc0, v0
	v_add_u32_e32 v20, s14, v20
	v_lshl_or_b32 v20, v1, 2, v20
	v_or_b32_e32 v21, 1, v20
	v_addc_co_u32_e32 v3, vcc, v61, v3, vcc
	v_pk_mul_f32 v[38:39], s[10:11], v[32:33] op_sel_hi:[0,1]
	s_nop 4
	v_pk_mul_f32 v[34:35], s[10:11], v[26:27] op_sel_hi:[0,1]
	v_pk_mul_f32 v[40:41], s[10:11], v[30:31] op_sel_hi:[0,1]
	v_cmp_gt_i32_e64 s[30:31], s33, v20
	v_cmp_gt_i32_e64 s[34:35], s33, v21
	global_load_dwordx4 v[6:9], v[2:3], off
	s_nop 0
	global_load_dwordx4 v[2:5], v[2:3], off offset:16
	s_waitcnt vmcnt(5)
	v_mad_i64_i32 v[42:43], s[2:3], v46, s45, 0
	v_pk_mul_f32 v[46:47], s[10:11], v[36:37] op_sel_hi:[0,1]
	v_pk_mul_f32 v[36:37], s[10:11], v[24:25] op_sel_hi:[0,1]
	v_subrev_u32_e32 v24, s33, v21
	v_add_u32_e32 v26, 1, v24
	v_add_u32_e32 v27, 2, v24
	v_cvt_f32_i32_e32 v25, v24
	v_cvt_f32_i32_e32 v26, v26
	;; [unrolled: 1-line block ×3, first 2 shown]
	v_lshlrev_b64 v[42:43], 1, v[42:43]
	v_add_co_u32_e32 v22, vcc, v60, v42
	v_addc_co_u32_e32 v23, vcc, v61, v43, vcc
	v_pk_mul_f32 v[42:43], s[10:11], v[28:29] op_sel_hi:[0,1]
	v_add_u32_e32 v28, 3, v24
	v_fma_f32 v18, v48, v25, v18
	v_fmac_f32_e32 v19, v48, v26
	v_fma_f32 v46, v48, v27, v46
	v_add_u32_e32 v25, 16, v24
	v_add_u32_e32 v26, 17, v24
	;; [unrolled: 1-line block ×3, first 2 shown]
	v_cvt_f32_i32_e32 v28, v28
	v_cvt_f32_i32_e32 v25, v25
	;; [unrolled: 1-line block ×4, first 2 shown]
	v_fmac_f32_e32 v47, v48, v28
	v_add_u32_e32 v28, 19, v24
	v_fma_f32 v44, v48, v25, v44
	v_fmac_f32_e32 v45, v48, v26
	v_fma_f32 v42, v48, v27, v42
	v_add_u32_e32 v25, 32, v24
	v_add_u32_e32 v26, 33, v24
	;; [unrolled: 1-line block ×3, first 2 shown]
	v_cvt_f32_i32_e32 v28, v28
	v_cvt_f32_i32_e32 v25, v25
	;; [unrolled: 1-line block ×4, first 2 shown]
	v_fmac_f32_e32 v43, v48, v28
	v_add_u32_e32 v28, 35, v24
	v_fma_f32 v40, v48, v25, v40
	v_fmac_f32_e32 v41, v48, v26
	v_fma_f32 v38, v48, v27, v38
	v_add_u32_e32 v25, 48, v24
	v_add_u32_e32 v26, 49, v24
	;; [unrolled: 1-line block ×4, first 2 shown]
	v_cvt_f32_i32_e32 v24, v24
	v_cvt_f32_i32_e32 v25, v25
	v_cvt_f32_i32_e32 v26, v26
	v_cvt_f32_i32_e32 v28, v28
	v_fmac_f32_e32 v35, v48, v24
	v_mov_b32_e32 v24, 0xff7fffff
	v_fma_f32 v36, v48, v25, v36
	v_cndmask_b32_e64 v25, v24, v18, s[30:31]
	v_cndmask_b32_e64 v21, v24, v19, s[34:35]
	v_fmac_f32_e32 v37, v48, v26
	v_max3_f32 v21, v25, s42, v21
	v_or_b32_e32 v25, 2, v20
	v_or_b32_e32 v26, 3, v20
	v_cmp_gt_i32_e64 s[36:37], s33, v25
	v_cmp_gt_i32_e64 s[38:39], s33, v26
	v_cndmask_b32_e64 v25, v24, v46, s[36:37]
	v_cndmask_b32_e64 v26, v24, v47, s[38:39]
	v_max3_f32 v21, v21, v25, v26
	v_or_b32_e32 v25, 16, v20
	v_or_b32_e32 v26, 17, v20
	v_cmp_gt_i32_e64 s[24:25], s33, v25
	v_cmp_gt_i32_e64 s[26:27], s33, v26
	v_cndmask_b32_e64 v25, v24, v44, s[24:25]
	v_cndmask_b32_e64 v26, v24, v45, s[26:27]
	;; [unrolled: 7-line block ×4, first 2 shown]
	v_max3_f32 v21, v21, v25, v26
	v_or_b32_e32 v25, 34, v20
	v_or_b32_e32 v26, 35, v20
	v_fmac_f32_e32 v39, v48, v28
	v_cmp_gt_i32_e64 s[12:13], s33, v25
	v_cmp_gt_i32_e64 s[14:15], s33, v26
	v_cndmask_b32_e64 v25, v24, v38, s[12:13]
	v_cndmask_b32_e64 v26, v24, v39, s[14:15]
	v_cvt_f32_i32_e32 v27, v27
	v_max3_f32 v21, v21, v25, v26
	v_or_b32_e32 v25, 48, v20
	v_or_b32_e32 v26, 49, v20
	v_cmp_gt_i32_e64 s[8:9], s33, v25
	v_cmp_gt_i32_e64 s[10:11], s33, v26
	v_cndmask_b32_e64 v25, v24, v36, s[8:9]
	v_cndmask_b32_e64 v26, v24, v37, s[10:11]
	v_max3_f32 v21, v21, v25, v26
	v_or_b32_e32 v25, 50, v20
	v_or_b32_e32 v20, 51, v20
	v_fma_f32 v34, v48, v27, v34
	v_cmp_gt_i32_e32 vcc, s33, v25
	v_cmp_gt_i32_e64 s[2:3], s33, v20
	v_cndmask_b32_e32 v25, v24, v34, vcc
	v_cndmask_b32_e64 v20, v24, v35, s[2:3]
	v_max3_f32 v26, v21, v25, v20
	v_mbcnt_lo_u32_b32 v20, -1, 0
	v_mbcnt_hi_u32_b32 v27, -1, v20
	v_and_b32_e32 v20, 64, v27
	v_add_u32_e32 v28, 64, v20
	v_xor_b32_e32 v20, 32, v27
	v_cmp_lt_i32_e64 s[40:41], v20, v28
	v_cndmask_b32_e64 v20, v27, v20, s[40:41]
	v_lshlrev_b32_e32 v57, 2, v20
	ds_bpermute_b32 v29, v57, v26
	s_waitcnt vmcnt(4)
	v_mad_i64_i32 v[20:21], s[40:41], v49, s45, 0
	v_lshlrev_b64 v[20:21], 1, v[20:21]
	global_load_dwordx4 v[30:33], v[22:23], off
	s_nop 0
	global_load_dwordx4 v[22:25], v[22:23], off offset:16
	s_waitcnt lgkmcnt(0)
	v_max_f32_e32 v29, v29, v29
	v_max_f32_e32 v26, v26, v29
	v_xor_b32_e32 v29, 16, v27
	v_cmp_lt_i32_e64 s[40:41], v29, v28
	v_cndmask_b32_e64 v27, v27, v29, s[40:41]
	v_lshlrev_b32_e32 v58, 2, v27
	ds_bpermute_b32 v27, v58, v26
	v_add_co_u32_e64 v20, s[40:41], v60, v20
	v_addc_co_u32_e64 v21, s[40:41], v61, v21, s[40:41]
	s_waitcnt lgkmcnt(0)
	v_max_f32_e32 v27, v27, v27
	v_max_f32_e32 v56, v26, v27
	v_sub_f32_e32 v18, v18, v56
	v_mul_f32_e32 v18, 0x3fb8aa3b, v18
	v_exp_f32_e32 v48, v18
	v_sub_f32_e32 v18, v19, v56
	v_mul_f32_e32 v18, 0x3fb8aa3b, v18
	v_exp_f32_e32 v49, v18
	global_load_dwordx4 v[26:29], v[20:21], off
	s_nop 0
	global_load_dwordx4 v[18:21], v[20:21], off offset:16
	v_sub_f32_e32 v46, v46, v56
	v_mul_f32_e32 v46, 0x3fb8aa3b, v46
	v_sub_f32_e32 v47, v47, v56
	v_exp_f32_e32 v46, v46
	v_mul_f32_e32 v47, 0x3fb8aa3b, v47
	v_sub_f32_e32 v44, v44, v56
	v_exp_f32_e32 v47, v47
	v_mul_f32_e32 v44, 0x3fb8aa3b, v44
	v_sub_f32_e32 v45, v45, v56
	v_cndmask_b32_e64 v48, 0, v48, s[30:31]
	v_exp_f32_e32 v44, v44
	v_mul_f32_e32 v45, 0x3fb8aa3b, v45
	v_sub_f32_e32 v42, v42, v56
	v_add_f32_e32 v59, 0, v48
	v_cndmask_b32_e64 v49, 0, v49, s[34:35]
	v_exp_f32_e32 v45, v45
	v_mul_f32_e32 v42, 0x3fb8aa3b, v42
	v_sub_f32_e32 v43, v43, v56
	v_add_f32_e32 v59, v59, v49
	;; [unrolled: 5-line block ×10, first 2 shown]
	v_cndmask_b32_e64 v38, 0, v38, s[12:13]
	v_exp_f32_e32 v34, v34
	v_mul_f32_e32 v35, 0x3fb8aa3b, v35
	v_add_f32_e32 v59, v59, v38
	v_cndmask_b32_e64 v39, 0, v39, s[14:15]
	v_exp_f32_e32 v35, v35
	v_add_f32_e32 v59, v59, v39
	v_cndmask_b32_e64 v36, 0, v36, s[8:9]
	v_add_f32_e32 v59, v59, v36
	v_cndmask_b32_e64 v37, 0, v37, s[10:11]
	v_add_f32_e32 v59, v59, v37
	v_cndmask_b32_e32 v34, 0, v34, vcc
	v_add_f32_e32 v59, v59, v34
	v_cndmask_b32_e64 v35, 0, v35, s[2:3]
	v_add_f32_e32 v59, v59, v35
	ds_bpermute_b32 v57, v57, v59
	s_load_dword s9, s[4:5], 0x98
	v_cmp_gt_u32_e32 vcc, 16, v54
	v_lshlrev_b32_e32 v54, 2, v53
	s_waitcnt lgkmcnt(0)
	v_add_f32_e32 v57, v59, v57
	ds_bpermute_b32 v58, v58, v57
	s_barrier
	s_waitcnt lgkmcnt(0)
	s_and_saveexec_b64 s[2:3], vcc
	s_cbranch_execz .LBB7_15
; %bb.14:
	v_add_f32_e32 v53, v57, v58
	v_lshl_or_b32 v57, v52, 6, v54
	ds_write2st64_b32 v57, v56, v53 offset1:1
.LBB7_15:
	s_or_b64 exec, exec, s[2:3]
	s_load_dword s8, s[4:5], 0x94
	s_waitcnt lgkmcnt(0)
	s_barrier
	ds_read2_b32 v[56:57], v54 offset1:16
	ds_read2_b32 v[58:59], v54 offset0:32 offset1:48
	ds_read2_b32 v[60:61], v54 offset0:64 offset1:80
	s_lshl_b32 s9, s9, 3
	s_waitcnt lgkmcnt(2)
	v_max3_f32 v53, v56, s42, v57
	s_waitcnt lgkmcnt(1)
	v_max3_f32 v53, v53, v58, v59
	v_sub_f32_e32 v56, v56, v53
	v_mul_f32_e32 v56, 0x3fb8aa3b, v56
	v_exp_f32_e32 v62, v56
	v_sub_f32_e32 v56, v57, v53
	v_mul_f32_e32 v56, 0x3fb8aa3b, v56
	v_exp_f32_e32 v63, v56
	;; [unrolled: 3-line block ×3, first 2 shown]
	ds_read2_b32 v[56:57], v54 offset0:96 offset1:112
	v_sub_f32_e32 v54, v59, v53
	v_mul_f32_e32 v54, 0x3fb8aa3b, v54
	v_exp_f32_e32 v59, v54
	s_waitcnt lgkmcnt(1)
	v_fma_f32 v54, v62, v60, 0
	v_fmac_f32_e32 v54, v63, v61
	s_waitcnt lgkmcnt(0)
	v_fmac_f32_e32 v54, v58, v56
	v_fmac_f32_e32 v54, v59, v57
	v_add_f32_e32 v56, 0x358637bd, v54
	v_div_scale_f32 v57, s[2:3], v56, v56, 1.0
	v_rcp_f32_e32 v60, v57
	s_barrier
	v_fma_f32 v61, -v57, v60, 1.0
	v_fmac_f32_e32 v60, v61, v60
	v_div_scale_f32 v61, vcc, 1.0, v56, 1.0
	v_mul_f32_e32 v64, v61, v60
	v_fma_f32 v65, -v57, v64, v61
	v_fmac_f32_e32 v64, v65, v60
	v_fma_f32 v57, -v57, v64, v61
	v_div_fmas_f32 v57, v57, v60, v64
	v_cmp_eq_u32_e32 vcc, 1, v52
	v_div_fixup_f32 v56, v57, v56, 1.0
	v_cndmask_b32_e32 v57, v62, v63, vcc
	v_cmp_eq_u32_e32 vcc, 2, v52
	v_cndmask_b32_e32 v57, v57, v58, vcc
	v_cmp_eq_u32_e32 vcc, 3, v52
	v_cndmask_b32_e32 v57, v57, v59, vcc
	v_mul_f32_e32 v56, v57, v56
	v_pk_mul_f32 v[46:47], v[56:57], v[46:47] op_sel_hi:[0,1]
	v_pk_mul_f32 v[48:49], v[56:57], v[48:49] op_sel_hi:[0,1]
	v_cvt_f16_f32_e32 v57, v46
	v_cvt_f16_f32_e32 v48, v48
	;; [unrolled: 1-line block ×4, first 2 shown]
	v_pk_mul_f32 v[42:43], v[56:57], v[42:43] op_sel_hi:[0,1]
	v_pk_mul_f32 v[44:45], v[56:57], v[44:45] op_sel_hi:[0,1]
	v_pack_b32_f16 v46, v48, v49
	v_cvt_f16_f32_e32 v44, v44
	v_cvt_f16_f32_e32 v45, v45
	;; [unrolled: 1-line block ×4, first 2 shown]
	v_lshlrev_b32_e32 v48, 3, v1
	v_lshlrev_b32_e32 v42, 11, v52
	v_pack_b32_f16 v47, v57, v47
	v_or3_b32 v42, v42, v55, v48
	v_pack_b32_f16 v44, v44, v45
	v_pack_b32_f16 v45, v49, v43
	v_pk_mul_f32 v[38:39], v[56:57], v[38:39] op_sel_hi:[0,1]
	v_pk_mul_f32 v[40:41], v[56:57], v[40:41] op_sel_hi:[0,1]
	;; [unrolled: 1-line block ×4, first 2 shown]
	ds_write2st64_b64 v42, v[46:47], v[44:45] offset1:1
	v_cvt_f16_f32_e32 v40, v40
	v_cvt_f16_f32_e32 v41, v41
	;; [unrolled: 1-line block ×8, first 2 shown]
	v_pack_b32_f16 v34, v40, v41
	v_pack_b32_f16 v35, v38, v39
	v_pack_b32_f16 v36, v36, v37
	v_pack_b32_f16 v37, v43, v44
	v_cmp_gt_u32_e32 vcc, 8, v0
	ds_write2st64_b64 v42, v[34:35], v[36:37] offset0:2 offset1:3
	s_and_saveexec_b64 s[2:3], vcc
	s_cbranch_execz .LBB7_17
; %bb.16:
	v_or_b32_e32 v34, s29, v0
	v_mov_b32_e32 v35, 0
	v_mov_b32_e32 v36, s9
	v_mad_u64_u32 v[36:37], s[10:11], s6, v36, v[34:35]
	v_mov_b32_e32 v34, s28
	s_load_dwordx4 s[12:15], s[4:5], 0x58
	s_mul_i32 s7, s7, s9
	v_mad_u64_u32 v[34:35], s[10:11], v36, s8, v[34:35]
	v_add_u32_e32 v37, s7, v37
	v_mov_b32_e32 v36, v35
	v_mad_u64_u32 v[36:37], s[10:11], v37, s8, v[36:37]
	v_mov_b32_e32 v35, v36
	v_lshlrev_b64 v[34:35], 2, v[34:35]
	s_waitcnt lgkmcnt(0)
	v_mov_b32_e32 v37, s15
	v_add_co_u32_e32 v36, vcc, s14, v34
	v_addc_co_u32_e32 v37, vcc, v37, v35, vcc
	global_store_dword v[36:37], v53, off
	v_mov_b32_e32 v36, s13
	v_add_co_u32_e32 v34, vcc, s12, v34
	v_addc_co_u32_e32 v35, vcc, v36, v35, vcc
	global_store_dword v[34:35], v54, off
.LBB7_17:
	s_or_b64 exec, exec, s[2:3]
	v_lshl_or_b32 v43, v1, 9, v55
	s_waitcnt lgkmcnt(0)
	s_barrier
	ds_read_b128 v[34:37], v43
	ds_read_b128 v[38:41], v43 offset:16
	s_waitcnt vmcnt(7) lgkmcnt(1)
	v_mfma_f32_16x16x16f16 v[44:47], v[14:15], v[34:35], 0
	v_cmp_gt_u32_e32 vcc, 64, v0
	s_mov_b32 s3, 0
	s_and_b64 s[0:1], vcc, s[0:1]
	v_mfma_f32_16x16x16f16 v[14:17], v[16:17], v[36:37], v[44:47]
	s_waitcnt vmcnt(6) lgkmcnt(0)
	v_mfma_f32_16x16x16f16 v[14:17], v[10:11], v[38:39], v[14:17]
	v_mfma_f32_16x16x16f16 v[10:13], v[12:13], v[40:41], v[14:17]
	s_nop 7
	s_nop 1
	ds_read_b128 v[14:17], v43 offset:2048
	ds_read_b128 v[34:37], v43 offset:2064
	s_waitcnt vmcnt(5) lgkmcnt(1)
	v_mfma_f32_16x16x16f16 v[10:13], v[6:7], v[14:15], v[10:13]
	v_mfma_f32_16x16x16f16 v[6:9], v[8:9], v[16:17], v[10:13]
	s_waitcnt vmcnt(4) lgkmcnt(0)
	v_mfma_f32_16x16x16f16 v[6:9], v[2:3], v[34:35], v[6:9]
	v_mfma_f32_16x16x16f16 v[2:5], v[4:5], v[36:37], v[6:9]
	s_nop 7
	s_nop 1
	ds_read_b128 v[6:9], v43 offset:4096
	ds_read_b128 v[10:13], v43 offset:4112
	s_waitcnt vmcnt(3) lgkmcnt(1)
	v_mfma_f32_16x16x16f16 v[2:5], v[30:31], v[6:7], v[2:5]
	v_mfma_f32_16x16x16f16 v[2:5], v[32:33], v[8:9], v[2:5]
	s_waitcnt vmcnt(2) lgkmcnt(0)
	v_mfma_f32_16x16x16f16 v[2:5], v[22:23], v[10:11], v[2:5]
	v_mfma_f32_16x16x16f16 v[2:5], v[24:25], v[12:13], v[2:5]
	ds_read_b128 v[6:9], v43 offset:6144
	ds_read_b128 v[10:13], v43 offset:6160
	s_waitcnt lgkmcnt(0)
	s_barrier
	s_waitcnt vmcnt(1)
	v_mfma_f32_16x16x16f16 v[2:5], v[26:27], v[6:7], v[2:5]
	v_mfma_f32_16x16x16f16 v[2:5], v[28:29], v[8:9], v[2:5]
	s_waitcnt vmcnt(0)
	v_mfma_f32_16x16x16f16 v[2:5], v[18:19], v[10:11], v[2:5]
	v_mfma_f32_16x16x16f16 v[2:5], v[20:21], v[12:13], v[2:5]
	s_nop 7
	s_nop 2
	v_cvt_f16_f32_e32 v2, v2
	v_cvt_f16_f32_e32 v3, v3
	v_cvt_f16_f32_e32 v4, v4
	v_cvt_f16_f32_e32 v5, v5
	v_pack_b32_f16 v2, v2, v3
	v_pack_b32_f16 v3, v4, v5
	ds_write_b64 v42, v[2:3]
	s_waitcnt lgkmcnt(0)
	s_barrier
	s_and_saveexec_b64 s[10:11], s[0:1]
	s_cbranch_execz .LBB7_19
; %bb.18:
	s_load_dwordx2 s[0:1], s[4:5], 0x68
	s_lshl_b32 s7, s8, 6
	s_mul_i32 s2, s9, s6
	s_mul_hi_u32 s5, s2, s7
	s_mul_i32 s4, s2, s7
	s_lshl_b64 s[4:5], s[4:5], 1
	s_waitcnt lgkmcnt(0)
	s_add_u32 s4, s0, s4
	s_addc_u32 s5, s1, s5
	s_lshl_b32 s2, s28, 6
	v_lshlrev_b32_e32 v0, 10, v0
	s_lshl_b64 s[0:1], s[2:3], 1
	v_and_b32_e32 v0, 0x1800, v0
	v_lshlrev_b32_e32 v2, 5, v1
	v_and_b32_e32 v3, 16, v51
	s_add_u32 s0, s4, s0
	v_or3_b32 v0, v0, v2, v3
	s_addc_u32 s1, s5, s1
	ds_read_b128 v[2:5], v0
	ds_read_b128 v[6:9], v0 offset:128
	v_mov_b32_e32 v0, s1
	v_add_co_u32_e32 v10, vcc, s0, v50
	v_or_b32_e32 v12, s29, v1
	v_addc_co_u32_e32 v11, vcc, 0, v0, vcc
	v_mad_u64_u32 v[0:1], s[0:1], v12, s7, 0
	v_lshlrev_b64 v[0:1], 1, v[0:1]
	v_add_co_u32_e32 v0, vcc, v10, v0
	v_addc_co_u32_e32 v1, vcc, v11, v1, vcc
	s_waitcnt lgkmcnt(1)
	global_store_dwordx4 v[0:1], v[2:5], off
	v_or_b32_e32 v0, 4, v12
	v_mad_u64_u32 v[0:1], s[0:1], v0, s7, 0
	v_lshlrev_b64 v[0:1], 1, v[0:1]
	v_add_co_u32_e32 v0, vcc, v10, v0
	v_addc_co_u32_e32 v1, vcc, v11, v1, vcc
	s_waitcnt lgkmcnt(0)
	global_store_dwordx4 v[0:1], v[6:9], off
.LBB7_19:
	s_endpgm
	.section	.rodata,"a",@progbits
	.p2align	6, 0x0
	.amdhsa_kernel _Z39paged_attention_ll4mi_QKV_mfma16_kernelIDF16_DF16_LN4vllm18Fp8KVCacheDataTypeE0EDF16_Li16ELi64ELi256ELb1ELi8EL8MFMAType0EEvPKT_PKT0_S8_ifPKiSA_SA_iPKfiiiPfSD_PS3_PT2_iSC_SC_
		.amdhsa_group_segment_fixed_size 8192
		.amdhsa_private_segment_fixed_size 0
		.amdhsa_kernarg_size 400
		.amdhsa_user_sgpr_count 6
		.amdhsa_user_sgpr_private_segment_buffer 1
		.amdhsa_user_sgpr_dispatch_ptr 0
		.amdhsa_user_sgpr_queue_ptr 0
		.amdhsa_user_sgpr_kernarg_segment_ptr 1
		.amdhsa_user_sgpr_dispatch_id 0
		.amdhsa_user_sgpr_flat_scratch_init 0
		.amdhsa_user_sgpr_kernarg_preload_length 0
		.amdhsa_user_sgpr_kernarg_preload_offset 0
		.amdhsa_user_sgpr_private_segment_size 0
		.amdhsa_uses_dynamic_stack 0
		.amdhsa_system_sgpr_private_segment_wavefront_offset 0
		.amdhsa_system_sgpr_workgroup_id_x 1
		.amdhsa_system_sgpr_workgroup_id_y 1
		.amdhsa_system_sgpr_workgroup_id_z 1
		.amdhsa_system_sgpr_workgroup_info 0
		.amdhsa_system_vgpr_workitem_id 0
		.amdhsa_next_free_vgpr 66
		.amdhsa_next_free_sgpr 48
		.amdhsa_accum_offset 68
		.amdhsa_reserve_vcc 1
		.amdhsa_reserve_flat_scratch 0
		.amdhsa_float_round_mode_32 0
		.amdhsa_float_round_mode_16_64 0
		.amdhsa_float_denorm_mode_32 3
		.amdhsa_float_denorm_mode_16_64 3
		.amdhsa_dx10_clamp 1
		.amdhsa_ieee_mode 1
		.amdhsa_fp16_overflow 0
		.amdhsa_tg_split 0
		.amdhsa_exception_fp_ieee_invalid_op 0
		.amdhsa_exception_fp_denorm_src 0
		.amdhsa_exception_fp_ieee_div_zero 0
		.amdhsa_exception_fp_ieee_overflow 0
		.amdhsa_exception_fp_ieee_underflow 0
		.amdhsa_exception_fp_ieee_inexact 0
		.amdhsa_exception_int_div_zero 0
	.end_amdhsa_kernel
	.section	.text._Z39paged_attention_ll4mi_QKV_mfma16_kernelIDF16_DF16_LN4vllm18Fp8KVCacheDataTypeE0EDF16_Li16ELi64ELi256ELb1ELi8EL8MFMAType0EEvPKT_PKT0_S8_ifPKiSA_SA_iPKfiiiPfSD_PS3_PT2_iSC_SC_,"axG",@progbits,_Z39paged_attention_ll4mi_QKV_mfma16_kernelIDF16_DF16_LN4vllm18Fp8KVCacheDataTypeE0EDF16_Li16ELi64ELi256ELb1ELi8EL8MFMAType0EEvPKT_PKT0_S8_ifPKiSA_SA_iPKfiiiPfSD_PS3_PT2_iSC_SC_,comdat
.Lfunc_end7:
	.size	_Z39paged_attention_ll4mi_QKV_mfma16_kernelIDF16_DF16_LN4vllm18Fp8KVCacheDataTypeE0EDF16_Li16ELi64ELi256ELb1ELi8EL8MFMAType0EEvPKT_PKT0_S8_ifPKiSA_SA_iPKfiiiPfSD_PS3_PT2_iSC_SC_, .Lfunc_end7-_Z39paged_attention_ll4mi_QKV_mfma16_kernelIDF16_DF16_LN4vllm18Fp8KVCacheDataTypeE0EDF16_Li16ELi64ELi256ELb1ELi8EL8MFMAType0EEvPKT_PKT0_S8_ifPKiSA_SA_iPKfiiiPfSD_PS3_PT2_iSC_SC_
                                        ; -- End function
	.section	.AMDGPU.csdata,"",@progbits
; Kernel info:
; codeLenInByte = 4244
; NumSgprs: 52
; NumVgprs: 66
; NumAgprs: 0
; TotalNumVgprs: 66
; ScratchSize: 0
; MemoryBound: 0
; FloatMode: 240
; IeeeMode: 1
; LDSByteSize: 8192 bytes/workgroup (compile time only)
; SGPRBlocks: 6
; VGPRBlocks: 8
; NumSGPRsForWavesPerEU: 52
; NumVGPRsForWavesPerEU: 66
; AccumOffset: 68
; Occupancy: 7
; WaveLimiterHint : 1
; COMPUTE_PGM_RSRC2:SCRATCH_EN: 0
; COMPUTE_PGM_RSRC2:USER_SGPR: 6
; COMPUTE_PGM_RSRC2:TRAP_HANDLER: 0
; COMPUTE_PGM_RSRC2:TGID_X_EN: 1
; COMPUTE_PGM_RSRC2:TGID_Y_EN: 1
; COMPUTE_PGM_RSRC2:TGID_Z_EN: 1
; COMPUTE_PGM_RSRC2:TIDIG_COMP_CNT: 0
; COMPUTE_PGM_RSRC3_GFX90A:ACCUM_OFFSET: 16
; COMPUTE_PGM_RSRC3_GFX90A:TG_SPLIT: 0
	.section	.text._Z39paged_attention_ll4mi_QKV_mfma16_kernelIDF16_DF16_LN4vllm18Fp8KVCacheDataTypeE0EDF16_Li16ELi64ELi256ELb1ELi9EL8MFMAType0EEvPKT_PKT0_S8_ifPKiSA_SA_iPKfiiiPfSD_PS3_PT2_iSC_SC_,"axG",@progbits,_Z39paged_attention_ll4mi_QKV_mfma16_kernelIDF16_DF16_LN4vllm18Fp8KVCacheDataTypeE0EDF16_Li16ELi64ELi256ELb1ELi9EL8MFMAType0EEvPKT_PKT0_S8_ifPKiSA_SA_iPKfiiiPfSD_PS3_PT2_iSC_SC_,comdat
	.protected	_Z39paged_attention_ll4mi_QKV_mfma16_kernelIDF16_DF16_LN4vllm18Fp8KVCacheDataTypeE0EDF16_Li16ELi64ELi256ELb1ELi9EL8MFMAType0EEvPKT_PKT0_S8_ifPKiSA_SA_iPKfiiiPfSD_PS3_PT2_iSC_SC_ ; -- Begin function _Z39paged_attention_ll4mi_QKV_mfma16_kernelIDF16_DF16_LN4vllm18Fp8KVCacheDataTypeE0EDF16_Li16ELi64ELi256ELb1ELi9EL8MFMAType0EEvPKT_PKT0_S8_ifPKiSA_SA_iPKfiiiPfSD_PS3_PT2_iSC_SC_
	.globl	_Z39paged_attention_ll4mi_QKV_mfma16_kernelIDF16_DF16_LN4vllm18Fp8KVCacheDataTypeE0EDF16_Li16ELi64ELi256ELb1ELi9EL8MFMAType0EEvPKT_PKT0_S8_ifPKiSA_SA_iPKfiiiPfSD_PS3_PT2_iSC_SC_
	.p2align	8
	.type	_Z39paged_attention_ll4mi_QKV_mfma16_kernelIDF16_DF16_LN4vllm18Fp8KVCacheDataTypeE0EDF16_Li16ELi64ELi256ELb1ELi9EL8MFMAType0EEvPKT_PKT0_S8_ifPKiSA_SA_iPKfiiiPfSD_PS3_PT2_iSC_SC_,@function
_Z39paged_attention_ll4mi_QKV_mfma16_kernelIDF16_DF16_LN4vllm18Fp8KVCacheDataTypeE0EDF16_Li16ELi64ELi256ELb1ELi9EL8MFMAType0EEvPKT_PKT0_S8_ifPKiSA_SA_iPKfiiiPfSD_PS3_PT2_iSC_SC_: ; @_Z39paged_attention_ll4mi_QKV_mfma16_kernelIDF16_DF16_LN4vllm18Fp8KVCacheDataTypeE0EDF16_Li16ELi64ELi256ELb1ELi9EL8MFMAType0EEvPKT_PKT0_S8_ifPKiSA_SA_iPKfiiiPfSD_PS3_PT2_iSC_SC_
; %bb.0:
	s_load_dwordx2 s[0:1], s[4:5], 0x30
	s_mov_b32 s28, s7
	s_mov_b64 s[10:11], 0
	s_waitcnt lgkmcnt(0)
	s_cmp_lg_u64 s[0:1], 0
	s_cselect_b64 s[2:3], -1, 0
	s_and_b64 vcc, exec, s[2:3]
	s_cbranch_vccz .LBB8_7
; %bb.1:
	s_add_i32 s12, s6, 1
	s_mov_b32 s13, 0
	s_lshl_b64 s[14:15], s[12:13], 2
	s_add_u32 s14, s0, s14
	s_mov_b32 s7, s13
	s_addc_u32 s15, s1, s15
	s_lshl_b64 s[12:13], s[6:7], 2
	s_add_u32 s12, s0, s12
	s_addc_u32 s13, s1, s13
	s_load_dword s9, s[14:15], 0x0
	s_load_dword s16, s[12:13], 0x0
	s_waitcnt lgkmcnt(0)
	s_sub_i32 s9, s9, s16
	s_cmp_eq_u32 s9, 1
	s_cselect_b64 s[12:13], -1, 0
	s_andn2_b64 vcc, exec, s[10:11]
	s_cbranch_vccnz .LBB8_3
.LBB8_2:
	s_mov_b32 s7, 0
	s_mov_b64 s[12:13], -1
.LBB8_3:
	s_andn2_b64 vcc, exec, s[12:13]
	s_cbranch_vccnz .LBB8_20
; %bb.4:
	s_load_dwordx2 s[12:13], s[4:5], 0x28
	s_lshl_b64 s[10:11], s[6:7], 2
	s_waitcnt lgkmcnt(0)
	s_add_u32 s12, s12, s10
	s_addc_u32 s13, s13, s11
	s_load_dword s33, s[12:13], 0x0
	s_lshl_b32 s14, s28, 8
	s_waitcnt lgkmcnt(0)
	s_cmp_ge_i32 s14, s33
	s_cbranch_scc1 .LBB8_20
; %bb.5:
	s_add_i32 s15, s33, 15
	s_load_dwordx2 s[12:13], s[4:5], 0x20
	s_load_dword s9, s[4:5], 0x38
	s_ashr_i32 s16, s15, 31
	v_and_b32_e32 v1, 0xcf, v0
	s_lshr_b32 s16, s16, 28
	v_add_u32_e32 v1, s14, v1
	s_add_i32 s15, s15, s16
	v_ashrrev_i32_e32 v2, 31, v1
	s_ashr_i32 s17, s15, 4
	v_lshrrev_b32_e32 v4, 28, v2
	s_add_i32 s17, s17, -1
	v_add_u32_e32 v2, v1, v4
	s_waitcnt lgkmcnt(0)
	s_mul_i32 s18, s6, s9
	s_mov_b32 s19, 0
	v_ashrrev_i32_e32 v2, 4, v2
	v_mov_b32_e32 v5, s17
	v_cmp_gt_i32_e32 vcc, s33, v1
	s_lshl_b64 s[18:19], s[18:19], 2
	v_cndmask_b32_e32 v2, v5, v2, vcc
	s_add_u32 s15, s12, s18
	v_ashrrev_i32_e32 v3, 31, v2
	s_addc_u32 s16, s13, s19
	v_lshlrev_b64 v[2:3], 2, v[2:3]
	v_mov_b32_e32 v7, s16
	v_add_co_u32_e32 v6, vcc, s15, v2
	v_or_b32_e32 v2, 16, v1
	v_addc_co_u32_e32 v7, vcc, v7, v3, vcc
	v_add_u32_e32 v3, v2, v4
	v_ashrrev_i32_e32 v3, 4, v3
	v_cmp_gt_i32_e32 vcc, s33, v2
	v_cndmask_b32_e32 v2, v5, v3, vcc
	v_ashrrev_i32_e32 v3, 31, v2
	v_lshlrev_b64 v[2:3], 2, v[2:3]
	v_mov_b32_e32 v9, s16
	v_add_co_u32_e32 v8, vcc, s15, v2
	v_or_b32_e32 v2, 32, v1
	v_addc_co_u32_e32 v9, vcc, v9, v3, vcc
	v_add_u32_e32 v3, v2, v4
	v_ashrrev_i32_e32 v3, 4, v3
	v_cmp_gt_i32_e32 vcc, s33, v2
	v_cndmask_b32_e32 v2, v5, v3, vcc
	v_ashrrev_i32_e32 v3, 31, v2
	;; [unrolled: 10-line block ×3, first 2 shown]
	v_lshlrev_b64 v[2:3], 2, v[2:3]
	v_mov_b32_e32 v1, s16
	v_add_co_u32_e32 v12, vcc, s15, v2
	v_addc_co_u32_e32 v13, vcc, v1, v3, vcc
	global_load_dword v5, v[6:7], off
	global_load_dword v4, v[8:9], off
	;; [unrolled: 1-line block ×4, first 2 shown]
	s_load_dwordx2 s[12:13], s[4:5], 0x8
	s_andn2_b64 vcc, exec, s[2:3]
	s_cbranch_vccnz .LBB8_8
; %bb.6:
	s_add_u32 s0, s0, s10
	s_addc_u32 s1, s1, s11
	s_load_dword s9, s[0:1], 0x0
	s_branch .LBB8_9
.LBB8_7:
	s_mov_b64 s[12:13], 0
	s_branch .LBB8_2
.LBB8_8:
	s_mov_b32 s9, s6
.LBB8_9:
	s_load_dwordx2 s[2:3], s[4:5], 0x10
	s_load_dwordx4 s[44:47], s[4:5], 0x48
	v_lshrrev_b32_e32 v53, 6, v0
	v_bfe_u32 v1, v0, 4, 2
	v_lshl_or_b32 v6, v53, 2, v1
	v_and_b32_e32 v52, 15, v0
	v_lshlrev_b32_e32 v7, 3, v52
	v_cmp_gt_u32_e32 vcc, 9, v6
	v_cmp_gt_u32_e64 s[0:1], 8, v52
	s_mul_i32 s29, s8, 9
	s_and_b64 s[18:19], s[0:1], vcc
	v_lshlrev_b32_e32 v50, 1, v7
	s_and_saveexec_b64 s[10:11], s[18:19]
	s_cbranch_execz .LBB8_11
; %bb.10:
	s_load_dwordx2 s[18:19], s[4:5], 0x0
	s_waitcnt lgkmcnt(0)
	s_ashr_i32 s20, s44, 31
	s_mul_hi_u32 s21, s9, s44
	s_mul_i32 s20, s9, s20
	s_add_i32 s21, s21, s20
	s_mul_i32 s20, s9, s44
	s_lshl_b64 s[20:21], s[20:21], 1
	v_add_lshl_u32 v8, v6, s29, 6
	s_add_u32 s9, s18, s20
	v_ashrrev_i32_e32 v9, 31, v8
	s_addc_u32 s18, s19, s21
	v_lshlrev_b64 v[8:9], 1, v[8:9]
	v_mov_b32_e32 v7, s18
	v_add_co_u32_e32 v8, vcc, s9, v8
	v_addc_co_u32_e32 v7, vcc, v7, v9, vcc
	v_add_co_u32_e32 v8, vcc, v8, v50
	v_addc_co_u32_e32 v9, vcc, 0, v7, vcc
	global_load_dwordx4 v[8:11], v[8:9], off
	v_and_b32_e32 v7, 3, v0
	v_lshlrev_b32_e32 v12, 9, v52
	v_lshlrev_b32_e32 v6, 5, v6
	v_lshlrev_b32_e32 v7, 9, v7
	v_and_b32_e32 v12, 0x1800, v12
	v_or3_b32 v6, v12, v7, v6
	s_waitcnt vmcnt(0)
	ds_write_b128 v6, v[8:11]
.LBB8_11:
	s_or_b64 exec, exec, s[10:11]
	s_waitcnt lgkmcnt(0)
	s_mul_i32 s8, s8, s46
	s_mov_b32 s9, 0
	s_lshl_b64 s[8:9], s[8:9], 1
	s_add_u32 s10, s12, s8
	v_lshlrev_b32_e32 v51, 4, v0
	s_addc_u32 s11, s13, s9
	v_and_b32_e32 v6, 0xf0, v51
	v_mov_b32_e32 v7, s11
	v_add_co_u32_e32 v18, vcc, s10, v6
	v_addc_co_u32_e32 v19, vcc, 0, v7, vcc
	s_waitcnt vmcnt(3)
	v_mad_i64_i32 v[6:7], s[10:11], v5, s45, 0
	v_lshlrev_b64 v[6:7], 1, v[6:7]
	v_add_co_u32_e32 v5, vcc, v18, v6
	v_addc_co_u32_e32 v7, vcc, v19, v7, vcc
	v_and_b32_e32 v20, 0x300, v51
	v_add_co_u32_e32 v6, vcc, v5, v20
	s_waitcnt vmcnt(2)
	v_mad_i64_i32 v[4:5], s[10:11], v4, s45, 0
	v_addc_co_u32_e32 v7, vcc, 0, v7, vcc
	v_lshlrev_b64 v[4:5], 1, v[4:5]
	v_add_co_u32_e32 v4, vcc, v18, v4
	v_addc_co_u32_e32 v5, vcc, v19, v5, vcc
	v_add_co_u32_e32 v4, vcc, v4, v20
	v_addc_co_u32_e32 v5, vcc, 0, v5, vcc
	s_barrier
	global_load_dwordx4 v[38:41], v[6:7], off
	global_load_dwordx4 v[34:37], v[6:7], off offset:1024
	global_load_dwordx4 v[30:33], v[4:5], off
	global_load_dwordx4 v[14:17], v[4:5], off offset:1024
	s_waitcnt vmcnt(5)
	v_mad_i64_i32 v[4:5], s[10:11], v3, s45, 0
	v_lshlrev_b64 v[4:5], 1, v[4:5]
	v_add_co_u32_e32 v3, vcc, v18, v4
	v_addc_co_u32_e32 v5, vcc, v19, v5, vcc
	v_add_co_u32_e32 v4, vcc, v3, v20
	s_waitcnt vmcnt(4)
	v_mad_i64_i32 v[2:3], s[10:11], v2, s45, 0
	v_addc_co_u32_e32 v5, vcc, 0, v5, vcc
	v_lshlrev_b64 v[2:3], 1, v[2:3]
	v_add_co_u32_e32 v2, vcc, v18, v2
	v_addc_co_u32_e32 v3, vcc, v19, v3, vcc
	v_add_co_u32_e32 v22, vcc, v2, v20
	v_addc_co_u32_e32 v23, vcc, 0, v3, vcc
	global_load_dwordx4 v[10:13], v[4:5], off
	global_load_dwordx4 v[6:9], v[4:5], off offset:1024
	s_nop 0
	global_load_dwordx4 v[2:5], v[22:23], off
	global_load_dwordx4 v[18:21], v[22:23], off offset:1024
	v_add_u32_e32 v22, -9, v52
	v_cmp_gt_u32_e32 vcc, 9, v52
	v_cndmask_b32_e32 v22, v22, v52, vcc
	v_lshlrev_b32_e32 v22, 5, v22
	v_lshl_add_u32 v22, v1, 9, v22
	ds_read_b128 v[26:29], v22
	ds_read_b128 v[22:25], v22 offset:2048
	v_and_b32_e32 v54, 63, v0
	v_mov_b32_e32 v48, 0
	s_and_saveexec_b64 s[10:11], vcc
	s_cbranch_execz .LBB8_13
; %bb.12:
	s_load_dwordx2 s[12:13], s[4:5], 0x40
	v_add_u32_e32 v42, s29, v52
	v_ashrrev_i32_e32 v43, 31, v42
	v_lshlrev_b64 v[42:43], 2, v[42:43]
	s_waitcnt lgkmcnt(0)
	v_mov_b32_e32 v44, s13
	v_add_co_u32_e32 v42, vcc, s12, v42
	v_addc_co_u32_e32 v43, vcc, v44, v43, vcc
	global_load_dword v48, v[42:43], off
.LBB8_13:
	s_or_b64 exec, exec, s[10:11]
	s_waitcnt vmcnt(7) lgkmcnt(1)
	v_mfma_f32_16x16x16f16 v[42:45], v[38:39], v[26:27], 0
	s_add_u32 s2, s2, s8
	v_lshlrev_b32_e32 v55, 5, v52
	s_addc_u32 s3, s3, s9
	s_load_dword s10, s[4:5], 0x1c
	s_mov_b32 s42, 0xff7fffff
	v_mfma_f32_16x16x16f16 v[38:41], v[40:41], v[28:29], v[42:45]
	s_waitcnt vmcnt(6) lgkmcnt(0)
	v_mfma_f32_16x16x16f16 v[38:41], v[34:35], v[22:23], v[38:41]
	s_nop 4
	v_and_or_b32 v44, v0, 48, s14
	v_mov_b32_e32 v45, s17
	v_cmp_gt_i32_e32 vcc, s33, v44
	v_mfma_f32_16x16x16f16 v[34:37], v[36:37], v[24:25], v[38:41]
	s_nop 6
	v_ashrrev_i32_e32 v38, 4, v44
	v_cndmask_b32_e32 v42, v45, v38, vcc
	v_ashrrev_i32_e32 v43, 31, v42
	s_waitcnt vmcnt(5)
	v_mfma_f32_16x16x16f16 v[38:41], v[30:31], v[26:27], 0
	v_lshlrev_b64 v[30:31], 2, v[42:43]
	v_mov_b32_e32 v42, s16
	v_add_co_u32_e32 v30, vcc, s15, v30
	v_addc_co_u32_e32 v31, vcc, v42, v31, vcc
	global_load_dword v42, v[30:31], off
	v_mfma_f32_16x16x16f16 v[30:33], v[32:33], v[28:29], v[38:41]
	v_pk_mul_f32 v[46:47], s[10:11], v[36:37] op_sel_hi:[0,1]
	s_nop 5
	v_or_b32_e32 v38, 64, v44
	v_ashrrev_i32_e32 v39, 4, v38
	v_cmp_gt_i32_e32 vcc, s33, v38
	v_cndmask_b32_e32 v38, v45, v39, vcc
	v_ashrrev_i32_e32 v39, 31, v38
	v_lshlrev_b64 v[38:39], 2, v[38:39]
	s_waitcnt vmcnt(5)
	v_mfma_f32_16x16x16f16 v[30:33], v[14:15], v[22:23], v[30:33]
	v_mov_b32_e32 v40, s16
	v_add_co_u32_e32 v14, vcc, s15, v38
	v_addc_co_u32_e32 v15, vcc, v40, v39, vcc
	global_load_dword v40, v[14:15], off
	v_or_b32_e32 v14, 0x80, v44
	v_ashrrev_i32_e32 v15, 4, v14
	v_cmp_gt_i32_e32 vcc, s33, v14
	v_cndmask_b32_e32 v14, v45, v15, vcc
	v_ashrrev_i32_e32 v15, 31, v14
	v_lshlrev_b64 v[14:15], 2, v[14:15]
	v_mfma_f32_16x16x16f16 v[30:33], v[16:17], v[24:25], v[30:33]
	v_mov_b32_e32 v16, s16
	v_add_co_u32_e32 v38, vcc, s15, v14
	v_addc_co_u32_e32 v39, vcc, v16, v15, vcc
	global_load_dword v38, v[38:39], off
	s_waitcnt vmcnt(6)
	v_mfma_f32_16x16x16f16 v[14:17], v[10:11], v[26:27], 0
	v_mfma_f32_16x16x16f16 v[10:13], v[12:13], v[28:29], v[14:17]
	s_nop 7
	s_nop 1
	v_or_b32_e32 v14, 0xc0, v44
	v_ashrrev_i32_e32 v15, 4, v14
	v_cmp_gt_i32_e32 vcc, s33, v14
	v_cndmask_b32_e32 v14, v45, v15, vcc
	s_waitcnt vmcnt(5)
	v_mfma_f32_16x16x16f16 v[10:13], v[6:7], v[22:23], v[10:13]
	v_ashrrev_i32_e32 v15, 31, v14
	v_lshlrev_b64 v[14:15], 2, v[14:15]
	v_mov_b32_e32 v16, s16
	v_add_co_u32_e32 v6, vcc, s15, v14
	v_addc_co_u32_e32 v7, vcc, v16, v15, vcc
	global_load_dword v49, v[6:7], off
	v_lshl_or_b32 v6, v53, 9, v55
	v_mov_b32_e32 v7, s3
	v_add_co_u32_e32 v60, vcc, s2, v6
	v_addc_co_u32_e32 v61, vcc, 0, v7, vcc
	v_mfma_f32_16x16x16f16 v[56:59], v[8:9], v[24:25], v[10:13]
	v_pk_mul_f32 v[44:45], s[10:11], v[30:31] op_sel_hi:[0,1]
	s_waitcnt vmcnt(3)
	v_mad_i64_i32 v[6:7], s[2:3], v42, s45, 0
	s_nop 3
	v_lshlrev_b64 v[10:11], 1, v[6:7]
	v_mfma_f32_16x16x16f16 v[6:9], v[2:3], v[26:27], 0
	v_add_co_u32_e32 v2, vcc, v60, v10
	v_addc_co_u32_e32 v3, vcc, v61, v11, vcc
	global_load_dwordx4 v[14:17], v[2:3], off
	global_load_dwordx4 v[10:13], v[2:3], off offset:16
	v_pk_mul_f32 v[42:43], s[10:11], v[32:33] op_sel_hi:[0,1]
	s_waitcnt vmcnt(4)
	v_mad_i64_i32 v[2:3], s[2:3], v40, s45, 0
	v_mfma_f32_16x16x16f16 v[26:29], v[4:5], v[28:29], v[6:9]
	v_lshlrev_b64 v[2:3], 1, v[2:3]
	v_add_co_u32_e32 v2, vcc, v60, v2
	v_addc_co_u32_e32 v3, vcc, v61, v3, vcc
	v_pk_mul_f32 v[40:41], s[10:11], v[56:57] op_sel_hi:[0,1]
	s_nop 2
	global_load_dwordx4 v[6:9], v[2:3], off
	s_nop 0
	global_load_dwordx4 v[2:5], v[2:3], off offset:16
	v_mfma_f32_16x16x16f16 v[26:29], v[18:19], v[22:23], v[26:29]
	v_pk_mul_f32 v[18:19], s[10:11], v[34:35] op_sel_hi:[0,1]
	s_waitcnt vmcnt(5)
	v_mad_i64_i32 v[38:39], s[2:3], v38, s45, 0
	v_lshlrev_b64 v[38:39], 1, v[38:39]
	v_add_co_u32_e32 v22, vcc, v60, v38
	v_mfma_f32_16x16x16f16 v[24:27], v[20:21], v[24:25], v[26:29]
	v_and_b32_e32 v20, 0xc0, v0
	v_add_u32_e32 v20, s14, v20
	v_lshl_or_b32 v20, v1, 2, v20
	v_or_b32_e32 v21, 1, v20
	v_addc_co_u32_e32 v23, vcc, v61, v39, vcc
	v_pk_mul_f32 v[38:39], s[10:11], v[58:59] op_sel_hi:[0,1]
	s_nop 4
	v_pk_mul_f32 v[36:37], s[10:11], v[24:25] op_sel_hi:[0,1]
	v_subrev_u32_e32 v24, s33, v21
	v_pk_mul_f32 v[34:35], s[10:11], v[26:27] op_sel_hi:[0,1]
	v_add_u32_e32 v26, 1, v24
	v_add_u32_e32 v27, 2, v24
	v_cvt_f32_i32_e32 v25, v24
	v_cvt_f32_i32_e32 v26, v26
	;; [unrolled: 1-line block ×3, first 2 shown]
	v_add_u32_e32 v28, 3, v24
	v_fma_f32 v18, v48, v25, v18
	v_fmac_f32_e32 v19, v48, v26
	v_fma_f32 v46, v48, v27, v46
	v_add_u32_e32 v25, 16, v24
	v_add_u32_e32 v26, 17, v24
	;; [unrolled: 1-line block ×3, first 2 shown]
	v_cvt_f32_i32_e32 v28, v28
	v_cvt_f32_i32_e32 v25, v25
	;; [unrolled: 1-line block ×4, first 2 shown]
	v_fmac_f32_e32 v47, v48, v28
	v_add_u32_e32 v28, 19, v24
	v_fma_f32 v44, v48, v25, v44
	v_fmac_f32_e32 v45, v48, v26
	v_fma_f32 v42, v48, v27, v42
	v_add_u32_e32 v25, 32, v24
	v_add_u32_e32 v26, 33, v24
	;; [unrolled: 1-line block ×3, first 2 shown]
	v_cvt_f32_i32_e32 v28, v28
	v_cvt_f32_i32_e32 v25, v25
	;; [unrolled: 1-line block ×4, first 2 shown]
	v_fmac_f32_e32 v43, v48, v28
	v_add_u32_e32 v28, 35, v24
	v_fma_f32 v40, v48, v25, v40
	v_fmac_f32_e32 v41, v48, v26
	v_fma_f32 v38, v48, v27, v38
	v_add_u32_e32 v25, 48, v24
	v_add_u32_e32 v26, 49, v24
	;; [unrolled: 1-line block ×4, first 2 shown]
	v_cvt_f32_i32_e32 v24, v24
	v_cvt_f32_i32_e32 v25, v25
	v_cvt_f32_i32_e32 v26, v26
	v_cmp_gt_i32_e64 s[30:31], s33, v20
	v_fmac_f32_e32 v35, v48, v24
	v_mov_b32_e32 v24, 0xff7fffff
	v_cmp_gt_i32_e64 s[34:35], s33, v21
	v_fma_f32 v36, v48, v25, v36
	v_cndmask_b32_e64 v25, v24, v18, s[30:31]
	v_cndmask_b32_e64 v21, v24, v19, s[34:35]
	v_fmac_f32_e32 v37, v48, v26
	v_max3_f32 v21, v25, s42, v21
	v_or_b32_e32 v25, 2, v20
	v_or_b32_e32 v26, 3, v20
	v_cmp_gt_i32_e64 s[36:37], s33, v25
	v_cmp_gt_i32_e64 s[38:39], s33, v26
	v_cndmask_b32_e64 v25, v24, v46, s[36:37]
	v_cndmask_b32_e64 v26, v24, v47, s[38:39]
	v_max3_f32 v21, v21, v25, v26
	v_or_b32_e32 v25, 16, v20
	v_or_b32_e32 v26, 17, v20
	v_cmp_gt_i32_e64 s[24:25], s33, v25
	v_cmp_gt_i32_e64 s[26:27], s33, v26
	v_cndmask_b32_e64 v25, v24, v44, s[24:25]
	v_cndmask_b32_e64 v26, v24, v45, s[26:27]
	;; [unrolled: 7-line block ×3, first 2 shown]
	v_cvt_f32_i32_e32 v28, v28
	v_max3_f32 v21, v21, v25, v26
	v_or_b32_e32 v25, 32, v20
	v_or_b32_e32 v26, 33, v20
	v_cmp_gt_i32_e64 s[16:17], s33, v25
	v_cmp_gt_i32_e64 s[18:19], s33, v26
	v_cndmask_b32_e64 v25, v24, v40, s[16:17]
	v_cndmask_b32_e64 v26, v24, v41, s[18:19]
	v_max3_f32 v21, v21, v25, v26
	v_or_b32_e32 v25, 34, v20
	v_or_b32_e32 v26, 35, v20
	v_fmac_f32_e32 v39, v48, v28
	v_cmp_gt_i32_e64 s[12:13], s33, v25
	v_cmp_gt_i32_e64 s[14:15], s33, v26
	v_cndmask_b32_e64 v25, v24, v38, s[12:13]
	v_cndmask_b32_e64 v26, v24, v39, s[14:15]
	v_cvt_f32_i32_e32 v27, v27
	v_max3_f32 v21, v21, v25, v26
	v_or_b32_e32 v25, 48, v20
	v_or_b32_e32 v26, 49, v20
	v_cmp_gt_i32_e64 s[8:9], s33, v25
	v_cmp_gt_i32_e64 s[10:11], s33, v26
	v_cndmask_b32_e64 v25, v24, v36, s[8:9]
	v_cndmask_b32_e64 v26, v24, v37, s[10:11]
	v_max3_f32 v21, v21, v25, v26
	v_or_b32_e32 v25, 50, v20
	v_or_b32_e32 v20, 51, v20
	v_fma_f32 v34, v48, v27, v34
	v_cmp_gt_i32_e32 vcc, s33, v25
	v_cmp_gt_i32_e64 s[2:3], s33, v20
	v_cndmask_b32_e32 v25, v24, v34, vcc
	v_cndmask_b32_e64 v20, v24, v35, s[2:3]
	v_max3_f32 v26, v21, v25, v20
	v_mbcnt_lo_u32_b32 v20, -1, 0
	v_mbcnt_hi_u32_b32 v27, -1, v20
	v_and_b32_e32 v20, 64, v27
	v_add_u32_e32 v28, 64, v20
	v_xor_b32_e32 v20, 32, v27
	v_cmp_lt_i32_e64 s[40:41], v20, v28
	v_cndmask_b32_e64 v20, v27, v20, s[40:41]
	v_lshlrev_b32_e32 v57, 2, v20
	ds_bpermute_b32 v29, v57, v26
	s_waitcnt vmcnt(4)
	v_mad_i64_i32 v[20:21], s[40:41], v49, s45, 0
	v_lshlrev_b64 v[20:21], 1, v[20:21]
	global_load_dwordx4 v[30:33], v[22:23], off
	s_nop 0
	global_load_dwordx4 v[22:25], v[22:23], off offset:16
	s_waitcnt lgkmcnt(0)
	v_max_f32_e32 v29, v29, v29
	v_max_f32_e32 v26, v26, v29
	v_xor_b32_e32 v29, 16, v27
	v_cmp_lt_i32_e64 s[40:41], v29, v28
	v_cndmask_b32_e64 v27, v27, v29, s[40:41]
	v_lshlrev_b32_e32 v59, 2, v27
	ds_bpermute_b32 v27, v59, v26
	v_add_co_u32_e64 v20, s[40:41], v60, v20
	v_addc_co_u32_e64 v21, s[40:41], v61, v21, s[40:41]
	s_waitcnt lgkmcnt(0)
	v_max_f32_e32 v27, v27, v27
	v_max_f32_e32 v56, v26, v27
	v_sub_f32_e32 v18, v18, v56
	v_mul_f32_e32 v18, 0x3fb8aa3b, v18
	v_exp_f32_e32 v48, v18
	v_sub_f32_e32 v18, v19, v56
	v_mul_f32_e32 v18, 0x3fb8aa3b, v18
	v_exp_f32_e32 v49, v18
	global_load_dwordx4 v[26:29], v[20:21], off
	s_nop 0
	global_load_dwordx4 v[18:21], v[20:21], off offset:16
	v_sub_f32_e32 v46, v46, v56
	v_mul_f32_e32 v46, 0x3fb8aa3b, v46
	v_sub_f32_e32 v47, v47, v56
	v_exp_f32_e32 v46, v46
	v_mul_f32_e32 v47, 0x3fb8aa3b, v47
	v_sub_f32_e32 v44, v44, v56
	v_exp_f32_e32 v47, v47
	v_mul_f32_e32 v44, 0x3fb8aa3b, v44
	v_sub_f32_e32 v45, v45, v56
	v_cndmask_b32_e64 v48, 0, v48, s[30:31]
	v_exp_f32_e32 v44, v44
	v_mul_f32_e32 v45, 0x3fb8aa3b, v45
	v_sub_f32_e32 v42, v42, v56
	v_add_f32_e32 v58, 0, v48
	v_cndmask_b32_e64 v49, 0, v49, s[34:35]
	v_exp_f32_e32 v45, v45
	v_mul_f32_e32 v42, 0x3fb8aa3b, v42
	v_sub_f32_e32 v43, v43, v56
	v_add_f32_e32 v58, v58, v49
	;; [unrolled: 5-line block ×10, first 2 shown]
	v_cndmask_b32_e64 v38, 0, v38, s[12:13]
	v_exp_f32_e32 v34, v34
	v_mul_f32_e32 v35, 0x3fb8aa3b, v35
	v_add_f32_e32 v58, v58, v38
	v_cndmask_b32_e64 v39, 0, v39, s[14:15]
	v_exp_f32_e32 v35, v35
	v_add_f32_e32 v58, v58, v39
	v_cndmask_b32_e64 v36, 0, v36, s[8:9]
	v_add_f32_e32 v58, v58, v36
	v_cndmask_b32_e64 v37, 0, v37, s[10:11]
	v_add_f32_e32 v58, v58, v37
	v_cndmask_b32_e32 v34, 0, v34, vcc
	v_add_f32_e32 v58, v58, v34
	v_cndmask_b32_e64 v35, 0, v35, s[2:3]
	v_add_f32_e32 v58, v58, v35
	ds_bpermute_b32 v57, v57, v58
	s_load_dword s11, s[4:5], 0x98
	v_cmp_gt_u32_e64 s[2:3], 16, v54
	s_waitcnt lgkmcnt(0)
	s_barrier
	v_add_f32_e32 v58, v58, v57
	ds_bpermute_b32 v59, v59, v58
	v_lshlrev_b32_e32 v57, 2, v52
	s_waitcnt lgkmcnt(0)
	s_and_saveexec_b64 s[8:9], s[2:3]
	s_cbranch_execz .LBB8_15
; %bb.14:
	v_add_f32_e32 v54, v58, v59
	v_lshl_or_b32 v58, v53, 6, v57
	ds_write2st64_b32 v58, v56, v54 offset1:1
.LBB8_15:
	s_or_b64 exec, exec, s[8:9]
	s_load_dword s10, s[4:5], 0x94
	s_waitcnt lgkmcnt(0)
	s_barrier
	ds_read2_b32 v[58:59], v57 offset1:16
	ds_read2_b32 v[60:61], v57 offset0:32 offset1:48
	ds_read2_b32 v[62:63], v57 offset0:64 offset1:80
	s_mul_i32 s11, s11, 9
	s_waitcnt lgkmcnt(2)
	v_max3_f32 v54, v58, s42, v59
	s_waitcnt lgkmcnt(1)
	v_max3_f32 v54, v54, v60, v61
	v_sub_f32_e32 v56, v58, v54
	v_mul_f32_e32 v56, 0x3fb8aa3b, v56
	v_exp_f32_e32 v64, v56
	v_sub_f32_e32 v56, v59, v54
	v_mul_f32_e32 v56, 0x3fb8aa3b, v56
	v_exp_f32_e32 v65, v56
	;; [unrolled: 3-line block ×3, first 2 shown]
	ds_read2_b32 v[58:59], v57 offset0:96 offset1:112
	v_sub_f32_e32 v56, v61, v54
	v_mul_f32_e32 v56, 0x3fb8aa3b, v56
	v_exp_f32_e32 v57, v56
	s_waitcnt lgkmcnt(1)
	v_fma_f32 v56, v64, v62, 0
	v_fmac_f32_e32 v56, v65, v63
	s_waitcnt lgkmcnt(0)
	v_fmac_f32_e32 v56, v60, v58
	v_fmac_f32_e32 v56, v57, v59
	v_add_f32_e32 v58, 0x358637bd, v56
	v_div_scale_f32 v59, s[8:9], v58, v58, 1.0
	v_rcp_f32_e32 v61, v59
	s_barrier
	v_fma_f32 v62, -v59, v61, 1.0
	v_fmac_f32_e32 v61, v62, v61
	v_div_scale_f32 v62, vcc, 1.0, v58, 1.0
	v_mul_f32_e32 v63, v62, v61
	v_fma_f32 v66, -v59, v63, v62
	v_fmac_f32_e32 v63, v66, v61
	v_fma_f32 v59, -v59, v63, v62
	v_div_fmas_f32 v59, v59, v61, v63
	v_cmp_eq_u32_e32 vcc, 1, v53
	v_div_fixup_f32 v58, v59, v58, 1.0
	v_cndmask_b32_e32 v59, v64, v65, vcc
	v_cmp_eq_u32_e32 vcc, 2, v53
	v_cndmask_b32_e32 v59, v59, v60, vcc
	v_cmp_eq_u32_e32 vcc, 3, v53
	v_cndmask_b32_e32 v57, v59, v57, vcc
	v_mul_f32_e32 v58, v57, v58
	v_pk_mul_f32 v[48:49], v[58:59], v[48:49] op_sel_hi:[0,1]
	v_cvt_f16_f32_e32 v48, v48
	v_cvt_f16_f32_e32 v49, v49
	v_pk_mul_f32 v[46:47], v[58:59], v[46:47] op_sel_hi:[0,1]
	v_pk_mul_f32 v[42:43], v[58:59], v[42:43] op_sel_hi:[0,1]
	;; [unrolled: 1-line block ×3, first 2 shown]
	v_cvt_f16_f32_e32 v57, v46
	v_cvt_f16_f32_e32 v47, v47
	v_pack_b32_f16 v46, v48, v49
	v_cvt_f16_f32_e32 v44, v44
	v_cvt_f16_f32_e32 v45, v45
	;; [unrolled: 1-line block ×4, first 2 shown]
	v_lshlrev_b32_e32 v48, 3, v1
	v_lshlrev_b32_e32 v42, 11, v53
	v_pack_b32_f16 v47, v57, v47
	v_or3_b32 v42, v42, v55, v48
	v_pack_b32_f16 v44, v44, v45
	v_pack_b32_f16 v45, v49, v43
	v_pk_mul_f32 v[38:39], v[58:59], v[38:39] op_sel_hi:[0,1]
	v_pk_mul_f32 v[40:41], v[58:59], v[40:41] op_sel_hi:[0,1]
	;; [unrolled: 1-line block ×4, first 2 shown]
	ds_write2st64_b64 v42, v[46:47], v[44:45] offset1:1
	v_cvt_f16_f32_e32 v40, v40
	v_cvt_f16_f32_e32 v41, v41
	;; [unrolled: 1-line block ×8, first 2 shown]
	v_pack_b32_f16 v34, v40, v41
	v_pack_b32_f16 v35, v38, v39
	;; [unrolled: 1-line block ×4, first 2 shown]
	v_cmp_gt_u32_e32 vcc, 9, v0
	ds_write2st64_b64 v42, v[34:35], v[36:37] offset0:2 offset1:3
	s_and_saveexec_b64 s[8:9], vcc
	s_cbranch_execz .LBB8_17
; %bb.16:
	v_add_co_u32_e32 v36, vcc, s29, v52
	v_addc_co_u32_e64 v37, s[16:17], 0, 0, vcc
	v_mov_b32_e32 v34, s11
	v_mov_b32_e32 v35, 0
	v_mad_u64_u32 v[36:37], s[16:17], s6, v34, v[36:37]
	v_mov_b32_e32 v34, s28
	s_load_dwordx4 s[12:15], s[4:5], 0x58
	s_mul_i32 s7, s7, s11
	v_mad_u64_u32 v[34:35], s[16:17], v36, s10, v[34:35]
	v_add_u32_e32 v37, s7, v37
	v_mov_b32_e32 v36, v35
	v_mad_u64_u32 v[36:37], s[16:17], v37, s10, v[36:37]
	v_mov_b32_e32 v35, v36
	v_lshlrev_b64 v[34:35], 2, v[34:35]
	s_waitcnt lgkmcnt(0)
	v_mov_b32_e32 v37, s15
	v_add_co_u32_e32 v36, vcc, s14, v34
	v_addc_co_u32_e32 v37, vcc, v37, v35, vcc
	global_store_dword v[36:37], v54, off
	v_mov_b32_e32 v36, s13
	v_add_co_u32_e32 v34, vcc, s12, v34
	v_addc_co_u32_e32 v35, vcc, v36, v35, vcc
	global_store_dword v[34:35], v56, off
.LBB8_17:
	s_or_b64 exec, exec, s[8:9]
	v_lshl_or_b32 v43, v1, 9, v55
	s_waitcnt lgkmcnt(0)
	s_barrier
	ds_read_b128 v[34:37], v43
	ds_read_b128 v[38:41], v43 offset:16
	s_waitcnt vmcnt(7) lgkmcnt(1)
	v_mfma_f32_16x16x16f16 v[44:47], v[14:15], v[34:35], 0
	v_cmp_gt_u32_e32 vcc, 64, v0
	s_mov_b32 s7, 0
	s_and_b64 s[0:1], vcc, s[0:1]
	v_mfma_f32_16x16x16f16 v[14:17], v[16:17], v[36:37], v[44:47]
	s_waitcnt vmcnt(6) lgkmcnt(0)
	v_mfma_f32_16x16x16f16 v[14:17], v[10:11], v[38:39], v[14:17]
	v_mfma_f32_16x16x16f16 v[10:13], v[12:13], v[40:41], v[14:17]
	s_nop 7
	s_nop 1
	ds_read_b128 v[14:17], v43 offset:2048
	ds_read_b128 v[34:37], v43 offset:2064
	s_waitcnt vmcnt(5) lgkmcnt(1)
	v_mfma_f32_16x16x16f16 v[10:13], v[6:7], v[14:15], v[10:13]
	v_mfma_f32_16x16x16f16 v[6:9], v[8:9], v[16:17], v[10:13]
	s_waitcnt vmcnt(4) lgkmcnt(0)
	v_mfma_f32_16x16x16f16 v[6:9], v[2:3], v[34:35], v[6:9]
	v_mfma_f32_16x16x16f16 v[2:5], v[4:5], v[36:37], v[6:9]
	s_nop 7
	s_nop 1
	ds_read_b128 v[6:9], v43 offset:4096
	ds_read_b128 v[10:13], v43 offset:4112
	s_waitcnt vmcnt(3) lgkmcnt(1)
	v_mfma_f32_16x16x16f16 v[2:5], v[30:31], v[6:7], v[2:5]
	v_mfma_f32_16x16x16f16 v[2:5], v[32:33], v[8:9], v[2:5]
	s_waitcnt vmcnt(2) lgkmcnt(0)
	v_mfma_f32_16x16x16f16 v[2:5], v[22:23], v[10:11], v[2:5]
	v_mfma_f32_16x16x16f16 v[2:5], v[24:25], v[12:13], v[2:5]
	ds_read_b128 v[6:9], v43 offset:6144
	ds_read_b128 v[10:13], v43 offset:6160
	s_waitcnt lgkmcnt(0)
	s_barrier
	s_waitcnt vmcnt(1)
	v_mfma_f32_16x16x16f16 v[2:5], v[26:27], v[6:7], v[2:5]
	v_mfma_f32_16x16x16f16 v[2:5], v[28:29], v[8:9], v[2:5]
	s_waitcnt vmcnt(0)
	v_mfma_f32_16x16x16f16 v[2:5], v[18:19], v[10:11], v[2:5]
	v_mfma_f32_16x16x16f16 v[2:5], v[20:21], v[12:13], v[2:5]
	s_nop 7
	s_nop 2
	v_cvt_f16_f32_e32 v2, v2
	v_cvt_f16_f32_e32 v3, v3
	;; [unrolled: 1-line block ×4, first 2 shown]
	v_pack_b32_f16 v2, v2, v3
	v_pack_b32_f16 v3, v4, v5
	ds_write_b64 v42, v[2:3]
	s_waitcnt lgkmcnt(0)
	s_barrier
	s_and_saveexec_b64 s[8:9], s[0:1]
	s_cbranch_execz .LBB8_20
; %bb.18:
	s_load_dwordx2 s[4:5], s[4:5], 0x68
	s_lshl_b32 s0, s10, 6
	s_mul_i32 s1, s11, s6
	s_mul_hi_u32 s9, s1, s0
	s_mul_i32 s8, s1, s0
	s_lshl_b64 s[8:9], s[8:9], 1
	s_waitcnt lgkmcnt(0)
	s_add_u32 s1, s4, s8
	v_lshlrev_b32_e32 v0, 10, v0
	s_addc_u32 s8, s5, s9
	s_lshl_b32 s6, s28, 6
	v_and_b32_e32 v0, 0x1800, v0
	v_lshlrev_b32_e32 v2, 5, v1
	v_and_b32_e32 v3, 16, v51
	s_lshl_b64 s[4:5], s[6:7], 1
	v_or3_b32 v0, v0, v2, v3
	s_add_u32 s1, s1, s4
	s_addc_u32 s4, s8, s5
	ds_read_b128 v[4:7], v0 offset:128
	ds_read_b128 v[8:11], v0
	v_add_u32_e32 v14, s29, v1
	v_mov_b32_e32 v3, s4
	v_add_co_u32_e32 v2, vcc, s1, v50
	v_mad_u64_u32 v[12:13], s[4:5], v14, s0, 0
	v_addc_co_u32_e32 v3, vcc, 0, v3, vcc
	v_lshlrev_b64 v[12:13], 1, v[12:13]
	v_add_co_u32_e32 v12, vcc, v2, v12
	v_addc_co_u32_e32 v13, vcc, v3, v13, vcc
	s_waitcnt lgkmcnt(0)
	global_store_dwordx4 v[12:13], v[8:11], off
	s_nop 0
	v_add_u32_e32 v8, 4, v14
	v_mad_u64_u32 v[8:9], s[4:5], v8, s0, 0
	v_lshlrev_b64 v[8:9], 1, v[8:9]
	v_add_co_u32_e32 v8, vcc, v2, v8
	v_addc_co_u32_e32 v9, vcc, v3, v9, vcc
	global_store_dwordx4 v[8:9], v[4:7], off
	s_and_b64 exec, exec, s[2:3]
	s_cbranch_execz .LBB8_20
; %bb.19:
	ds_read_b128 v[4:7], v0 offset:256
	v_add3_u32 v0, s29, v1, 8
	v_mad_u64_u32 v[0:1], s[0:1], v0, s0, 0
	v_lshlrev_b64 v[0:1], 1, v[0:1]
	v_add_co_u32_e32 v0, vcc, v2, v0
	v_addc_co_u32_e32 v1, vcc, v3, v1, vcc
	s_waitcnt lgkmcnt(0)
	global_store_dwordx4 v[0:1], v[4:7], off
.LBB8_20:
	s_endpgm
	.section	.rodata,"a",@progbits
	.p2align	6, 0x0
	.amdhsa_kernel _Z39paged_attention_ll4mi_QKV_mfma16_kernelIDF16_DF16_LN4vllm18Fp8KVCacheDataTypeE0EDF16_Li16ELi64ELi256ELb1ELi9EL8MFMAType0EEvPKT_PKT0_S8_ifPKiSA_SA_iPKfiiiPfSD_PS3_PT2_iSC_SC_
		.amdhsa_group_segment_fixed_size 8192
		.amdhsa_private_segment_fixed_size 0
		.amdhsa_kernarg_size 400
		.amdhsa_user_sgpr_count 6
		.amdhsa_user_sgpr_private_segment_buffer 1
		.amdhsa_user_sgpr_dispatch_ptr 0
		.amdhsa_user_sgpr_queue_ptr 0
		.amdhsa_user_sgpr_kernarg_segment_ptr 1
		.amdhsa_user_sgpr_dispatch_id 0
		.amdhsa_user_sgpr_flat_scratch_init 0
		.amdhsa_user_sgpr_kernarg_preload_length 0
		.amdhsa_user_sgpr_kernarg_preload_offset 0
		.amdhsa_user_sgpr_private_segment_size 0
		.amdhsa_uses_dynamic_stack 0
		.amdhsa_system_sgpr_private_segment_wavefront_offset 0
		.amdhsa_system_sgpr_workgroup_id_x 1
		.amdhsa_system_sgpr_workgroup_id_y 1
		.amdhsa_system_sgpr_workgroup_id_z 1
		.amdhsa_system_sgpr_workgroup_info 0
		.amdhsa_system_vgpr_workitem_id 0
		.amdhsa_next_free_vgpr 67
		.amdhsa_next_free_sgpr 48
		.amdhsa_accum_offset 68
		.amdhsa_reserve_vcc 1
		.amdhsa_reserve_flat_scratch 0
		.amdhsa_float_round_mode_32 0
		.amdhsa_float_round_mode_16_64 0
		.amdhsa_float_denorm_mode_32 3
		.amdhsa_float_denorm_mode_16_64 3
		.amdhsa_dx10_clamp 1
		.amdhsa_ieee_mode 1
		.amdhsa_fp16_overflow 0
		.amdhsa_tg_split 0
		.amdhsa_exception_fp_ieee_invalid_op 0
		.amdhsa_exception_fp_denorm_src 0
		.amdhsa_exception_fp_ieee_div_zero 0
		.amdhsa_exception_fp_ieee_overflow 0
		.amdhsa_exception_fp_ieee_underflow 0
		.amdhsa_exception_fp_ieee_inexact 0
		.amdhsa_exception_int_div_zero 0
	.end_amdhsa_kernel
	.section	.text._Z39paged_attention_ll4mi_QKV_mfma16_kernelIDF16_DF16_LN4vllm18Fp8KVCacheDataTypeE0EDF16_Li16ELi64ELi256ELb1ELi9EL8MFMAType0EEvPKT_PKT0_S8_ifPKiSA_SA_iPKfiiiPfSD_PS3_PT2_iSC_SC_,"axG",@progbits,_Z39paged_attention_ll4mi_QKV_mfma16_kernelIDF16_DF16_LN4vllm18Fp8KVCacheDataTypeE0EDF16_Li16ELi64ELi256ELb1ELi9EL8MFMAType0EEvPKT_PKT0_S8_ifPKiSA_SA_iPKfiiiPfSD_PS3_PT2_iSC_SC_,comdat
.Lfunc_end8:
	.size	_Z39paged_attention_ll4mi_QKV_mfma16_kernelIDF16_DF16_LN4vllm18Fp8KVCacheDataTypeE0EDF16_Li16ELi64ELi256ELb1ELi9EL8MFMAType0EEvPKT_PKT0_S8_ifPKiSA_SA_iPKfiiiPfSD_PS3_PT2_iSC_SC_, .Lfunc_end8-_Z39paged_attention_ll4mi_QKV_mfma16_kernelIDF16_DF16_LN4vllm18Fp8KVCacheDataTypeE0EDF16_Li16ELi64ELi256ELb1ELi9EL8MFMAType0EEvPKT_PKT0_S8_ifPKiSA_SA_iPKfiiiPfSD_PS3_PT2_iSC_SC_
                                        ; -- End function
	.section	.AMDGPU.csdata,"",@progbits
; Kernel info:
; codeLenInByte = 4316
; NumSgprs: 52
; NumVgprs: 67
; NumAgprs: 0
; TotalNumVgprs: 67
; ScratchSize: 0
; MemoryBound: 0
; FloatMode: 240
; IeeeMode: 1
; LDSByteSize: 8192 bytes/workgroup (compile time only)
; SGPRBlocks: 6
; VGPRBlocks: 8
; NumSGPRsForWavesPerEU: 52
; NumVGPRsForWavesPerEU: 67
; AccumOffset: 68
; Occupancy: 7
; WaveLimiterHint : 1
; COMPUTE_PGM_RSRC2:SCRATCH_EN: 0
; COMPUTE_PGM_RSRC2:USER_SGPR: 6
; COMPUTE_PGM_RSRC2:TRAP_HANDLER: 0
; COMPUTE_PGM_RSRC2:TGID_X_EN: 1
; COMPUTE_PGM_RSRC2:TGID_Y_EN: 1
; COMPUTE_PGM_RSRC2:TGID_Z_EN: 1
; COMPUTE_PGM_RSRC2:TIDIG_COMP_CNT: 0
; COMPUTE_PGM_RSRC3_GFX90A:ACCUM_OFFSET: 16
; COMPUTE_PGM_RSRC3_GFX90A:TG_SPLIT: 0
	.section	.text._Z39paged_attention_ll4mi_QKV_mfma16_kernelIDF16_DF16_LN4vllm18Fp8KVCacheDataTypeE0EDF16_Li16ELi64ELi256ELb1ELi10EL8MFMAType0EEvPKT_PKT0_S8_ifPKiSA_SA_iPKfiiiPfSD_PS3_PT2_iSC_SC_,"axG",@progbits,_Z39paged_attention_ll4mi_QKV_mfma16_kernelIDF16_DF16_LN4vllm18Fp8KVCacheDataTypeE0EDF16_Li16ELi64ELi256ELb1ELi10EL8MFMAType0EEvPKT_PKT0_S8_ifPKiSA_SA_iPKfiiiPfSD_PS3_PT2_iSC_SC_,comdat
	.protected	_Z39paged_attention_ll4mi_QKV_mfma16_kernelIDF16_DF16_LN4vllm18Fp8KVCacheDataTypeE0EDF16_Li16ELi64ELi256ELb1ELi10EL8MFMAType0EEvPKT_PKT0_S8_ifPKiSA_SA_iPKfiiiPfSD_PS3_PT2_iSC_SC_ ; -- Begin function _Z39paged_attention_ll4mi_QKV_mfma16_kernelIDF16_DF16_LN4vllm18Fp8KVCacheDataTypeE0EDF16_Li16ELi64ELi256ELb1ELi10EL8MFMAType0EEvPKT_PKT0_S8_ifPKiSA_SA_iPKfiiiPfSD_PS3_PT2_iSC_SC_
	.globl	_Z39paged_attention_ll4mi_QKV_mfma16_kernelIDF16_DF16_LN4vllm18Fp8KVCacheDataTypeE0EDF16_Li16ELi64ELi256ELb1ELi10EL8MFMAType0EEvPKT_PKT0_S8_ifPKiSA_SA_iPKfiiiPfSD_PS3_PT2_iSC_SC_
	.p2align	8
	.type	_Z39paged_attention_ll4mi_QKV_mfma16_kernelIDF16_DF16_LN4vllm18Fp8KVCacheDataTypeE0EDF16_Li16ELi64ELi256ELb1ELi10EL8MFMAType0EEvPKT_PKT0_S8_ifPKiSA_SA_iPKfiiiPfSD_PS3_PT2_iSC_SC_,@function
_Z39paged_attention_ll4mi_QKV_mfma16_kernelIDF16_DF16_LN4vllm18Fp8KVCacheDataTypeE0EDF16_Li16ELi64ELi256ELb1ELi10EL8MFMAType0EEvPKT_PKT0_S8_ifPKiSA_SA_iPKfiiiPfSD_PS3_PT2_iSC_SC_: ; @_Z39paged_attention_ll4mi_QKV_mfma16_kernelIDF16_DF16_LN4vllm18Fp8KVCacheDataTypeE0EDF16_Li16ELi64ELi256ELb1ELi10EL8MFMAType0EEvPKT_PKT0_S8_ifPKiSA_SA_iPKfiiiPfSD_PS3_PT2_iSC_SC_
; %bb.0:
	s_load_dwordx2 s[0:1], s[4:5], 0x30
	s_mov_b32 s28, s7
	s_mov_b64 s[10:11], 0
	s_waitcnt lgkmcnt(0)
	s_cmp_lg_u64 s[0:1], 0
	s_cselect_b64 s[2:3], -1, 0
	s_and_b64 vcc, exec, s[2:3]
	s_cbranch_vccz .LBB9_7
; %bb.1:
	s_add_i32 s12, s6, 1
	s_mov_b32 s13, 0
	s_lshl_b64 s[14:15], s[12:13], 2
	s_add_u32 s14, s0, s14
	s_mov_b32 s7, s13
	s_addc_u32 s15, s1, s15
	s_lshl_b64 s[12:13], s[6:7], 2
	s_add_u32 s12, s0, s12
	s_addc_u32 s13, s1, s13
	s_load_dword s9, s[14:15], 0x0
	s_load_dword s16, s[12:13], 0x0
	s_waitcnt lgkmcnt(0)
	s_sub_i32 s9, s9, s16
	s_cmp_eq_u32 s9, 1
	s_cselect_b64 s[12:13], -1, 0
	s_andn2_b64 vcc, exec, s[10:11]
	s_cbranch_vccnz .LBB9_3
.LBB9_2:
	s_mov_b32 s7, 0
	s_mov_b64 s[12:13], -1
.LBB9_3:
	s_andn2_b64 vcc, exec, s[12:13]
	s_cbranch_vccnz .LBB9_20
; %bb.4:
	s_load_dwordx2 s[12:13], s[4:5], 0x28
	s_lshl_b64 s[10:11], s[6:7], 2
	s_waitcnt lgkmcnt(0)
	s_add_u32 s12, s12, s10
	s_addc_u32 s13, s13, s11
	s_load_dword s33, s[12:13], 0x0
	s_lshl_b32 s14, s28, 8
	s_waitcnt lgkmcnt(0)
	s_cmp_ge_i32 s14, s33
	s_cbranch_scc1 .LBB9_20
; %bb.5:
	s_add_i32 s15, s33, 15
	s_load_dwordx2 s[12:13], s[4:5], 0x20
	s_load_dword s9, s[4:5], 0x38
	s_ashr_i32 s16, s15, 31
	v_and_b32_e32 v1, 0xcf, v0
	s_lshr_b32 s16, s16, 28
	v_add_u32_e32 v1, s14, v1
	s_add_i32 s15, s15, s16
	v_ashrrev_i32_e32 v2, 31, v1
	s_ashr_i32 s17, s15, 4
	v_lshrrev_b32_e32 v4, 28, v2
	s_add_i32 s17, s17, -1
	v_add_u32_e32 v2, v1, v4
	s_waitcnt lgkmcnt(0)
	s_mul_i32 s18, s6, s9
	s_mov_b32 s19, 0
	v_ashrrev_i32_e32 v2, 4, v2
	v_mov_b32_e32 v5, s17
	v_cmp_gt_i32_e32 vcc, s33, v1
	s_lshl_b64 s[18:19], s[18:19], 2
	v_cndmask_b32_e32 v2, v5, v2, vcc
	s_add_u32 s15, s12, s18
	v_ashrrev_i32_e32 v3, 31, v2
	s_addc_u32 s16, s13, s19
	v_lshlrev_b64 v[2:3], 2, v[2:3]
	v_mov_b32_e32 v7, s16
	v_add_co_u32_e32 v6, vcc, s15, v2
	v_or_b32_e32 v2, 16, v1
	v_addc_co_u32_e32 v7, vcc, v7, v3, vcc
	v_add_u32_e32 v3, v2, v4
	v_ashrrev_i32_e32 v3, 4, v3
	v_cmp_gt_i32_e32 vcc, s33, v2
	v_cndmask_b32_e32 v2, v5, v3, vcc
	v_ashrrev_i32_e32 v3, 31, v2
	v_lshlrev_b64 v[2:3], 2, v[2:3]
	v_mov_b32_e32 v9, s16
	v_add_co_u32_e32 v8, vcc, s15, v2
	v_or_b32_e32 v2, 32, v1
	v_addc_co_u32_e32 v9, vcc, v9, v3, vcc
	v_add_u32_e32 v3, v2, v4
	v_ashrrev_i32_e32 v3, 4, v3
	v_cmp_gt_i32_e32 vcc, s33, v2
	v_cndmask_b32_e32 v2, v5, v3, vcc
	v_ashrrev_i32_e32 v3, 31, v2
	v_lshlrev_b64 v[2:3], 2, v[2:3]
	v_mov_b32_e32 v11, s16
	v_add_co_u32_e32 v10, vcc, s15, v2
	v_or_b32_e32 v1, 48, v1
	v_addc_co_u32_e32 v11, vcc, v11, v3, vcc
	v_add_u32_e32 v2, v1, v4
	v_ashrrev_i32_e32 v2, 4, v2
	v_cmp_gt_i32_e32 vcc, s33, v1
	v_cndmask_b32_e32 v2, v5, v2, vcc
	v_ashrrev_i32_e32 v3, 31, v2
	v_lshlrev_b64 v[2:3], 2, v[2:3]
	v_mov_b32_e32 v1, s16
	v_add_co_u32_e32 v12, vcc, s15, v2
	v_addc_co_u32_e32 v13, vcc, v1, v3, vcc
	global_load_dword v5, v[6:7], off
	global_load_dword v4, v[8:9], off
	;; [unrolled: 1-line block ×4, first 2 shown]
	s_load_dwordx2 s[12:13], s[4:5], 0x8
	s_andn2_b64 vcc, exec, s[2:3]
	s_cbranch_vccnz .LBB9_8
; %bb.6:
	s_add_u32 s0, s0, s10
	s_addc_u32 s1, s1, s11
	s_load_dword s9, s[0:1], 0x0
	s_branch .LBB9_9
.LBB9_7:
	s_mov_b64 s[12:13], 0
	s_branch .LBB9_2
.LBB9_8:
	s_mov_b32 s9, s6
.LBB9_9:
	s_load_dwordx2 s[2:3], s[4:5], 0x10
	s_load_dwordx4 s[44:47], s[4:5], 0x48
	v_lshrrev_b32_e32 v53, 6, v0
	v_bfe_u32 v1, v0, 4, 2
	v_lshl_or_b32 v6, v53, 2, v1
	v_and_b32_e32 v52, 15, v0
	v_lshlrev_b32_e32 v7, 3, v52
	v_cmp_gt_u32_e32 vcc, 10, v6
	v_cmp_gt_u32_e64 s[0:1], 8, v52
	s_mul_i32 s29, s8, 10
	s_and_b64 s[18:19], s[0:1], vcc
	v_lshlrev_b32_e32 v50, 1, v7
	s_and_saveexec_b64 s[10:11], s[18:19]
	s_cbranch_execz .LBB9_11
; %bb.10:
	s_load_dwordx2 s[18:19], s[4:5], 0x0
	s_waitcnt lgkmcnt(0)
	s_ashr_i32 s20, s44, 31
	s_mul_hi_u32 s21, s9, s44
	s_mul_i32 s20, s9, s20
	s_add_i32 s21, s21, s20
	s_mul_i32 s20, s9, s44
	s_lshl_b64 s[20:21], s[20:21], 1
	v_add_lshl_u32 v8, v6, s29, 6
	s_add_u32 s9, s18, s20
	v_ashrrev_i32_e32 v9, 31, v8
	s_addc_u32 s18, s19, s21
	v_lshlrev_b64 v[8:9], 1, v[8:9]
	v_mov_b32_e32 v7, s18
	v_add_co_u32_e32 v8, vcc, s9, v8
	v_addc_co_u32_e32 v7, vcc, v7, v9, vcc
	v_add_co_u32_e32 v8, vcc, v8, v50
	v_addc_co_u32_e32 v9, vcc, 0, v7, vcc
	global_load_dwordx4 v[8:11], v[8:9], off
	v_and_b32_e32 v7, 3, v0
	v_lshlrev_b32_e32 v12, 9, v52
	v_lshlrev_b32_e32 v6, 5, v6
	v_lshlrev_b32_e32 v7, 9, v7
	v_and_b32_e32 v12, 0x1800, v12
	v_or3_b32 v6, v12, v7, v6
	s_waitcnt vmcnt(0)
	ds_write_b128 v6, v[8:11]
.LBB9_11:
	s_or_b64 exec, exec, s[10:11]
	s_waitcnt lgkmcnt(0)
	s_mul_i32 s8, s8, s46
	s_mov_b32 s9, 0
	s_lshl_b64 s[8:9], s[8:9], 1
	s_add_u32 s10, s12, s8
	v_lshlrev_b32_e32 v51, 4, v0
	s_addc_u32 s11, s13, s9
	v_and_b32_e32 v6, 0xf0, v51
	v_mov_b32_e32 v7, s11
	v_add_co_u32_e32 v18, vcc, s10, v6
	v_addc_co_u32_e32 v19, vcc, 0, v7, vcc
	s_waitcnt vmcnt(3)
	v_mad_i64_i32 v[6:7], s[10:11], v5, s45, 0
	v_lshlrev_b64 v[6:7], 1, v[6:7]
	v_add_co_u32_e32 v5, vcc, v18, v6
	v_addc_co_u32_e32 v7, vcc, v19, v7, vcc
	v_and_b32_e32 v20, 0x300, v51
	v_add_co_u32_e32 v6, vcc, v5, v20
	s_waitcnt vmcnt(2)
	v_mad_i64_i32 v[4:5], s[10:11], v4, s45, 0
	v_addc_co_u32_e32 v7, vcc, 0, v7, vcc
	v_lshlrev_b64 v[4:5], 1, v[4:5]
	v_add_co_u32_e32 v4, vcc, v18, v4
	v_addc_co_u32_e32 v5, vcc, v19, v5, vcc
	v_add_co_u32_e32 v4, vcc, v4, v20
	v_addc_co_u32_e32 v5, vcc, 0, v5, vcc
	s_barrier
	global_load_dwordx4 v[38:41], v[6:7], off
	global_load_dwordx4 v[34:37], v[6:7], off offset:1024
	global_load_dwordx4 v[30:33], v[4:5], off
	global_load_dwordx4 v[14:17], v[4:5], off offset:1024
	s_waitcnt vmcnt(5)
	v_mad_i64_i32 v[4:5], s[10:11], v3, s45, 0
	v_lshlrev_b64 v[4:5], 1, v[4:5]
	v_add_co_u32_e32 v3, vcc, v18, v4
	v_addc_co_u32_e32 v5, vcc, v19, v5, vcc
	v_add_co_u32_e32 v4, vcc, v3, v20
	s_waitcnt vmcnt(4)
	v_mad_i64_i32 v[2:3], s[10:11], v2, s45, 0
	v_addc_co_u32_e32 v5, vcc, 0, v5, vcc
	v_lshlrev_b64 v[2:3], 1, v[2:3]
	v_add_co_u32_e32 v2, vcc, v18, v2
	v_addc_co_u32_e32 v3, vcc, v19, v3, vcc
	v_add_co_u32_e32 v22, vcc, v2, v20
	v_addc_co_u32_e32 v23, vcc, 0, v3, vcc
	global_load_dwordx4 v[10:13], v[4:5], off
	global_load_dwordx4 v[6:9], v[4:5], off offset:1024
	s_nop 0
	global_load_dwordx4 v[2:5], v[22:23], off
	global_load_dwordx4 v[18:21], v[22:23], off offset:1024
	v_add_u32_e32 v22, -10, v52
	v_cmp_gt_u32_e32 vcc, 10, v52
	v_cndmask_b32_e32 v22, v22, v52, vcc
	v_lshlrev_b32_e32 v22, 5, v22
	v_lshl_add_u32 v22, v1, 9, v22
	ds_read_b128 v[26:29], v22
	ds_read_b128 v[22:25], v22 offset:2048
	v_and_b32_e32 v54, 63, v0
	v_mov_b32_e32 v48, 0
	s_and_saveexec_b64 s[10:11], vcc
	s_cbranch_execz .LBB9_13
; %bb.12:
	s_load_dwordx2 s[12:13], s[4:5], 0x40
	v_add_u32_e32 v42, s29, v52
	v_ashrrev_i32_e32 v43, 31, v42
	v_lshlrev_b64 v[42:43], 2, v[42:43]
	s_waitcnt lgkmcnt(0)
	v_mov_b32_e32 v44, s13
	v_add_co_u32_e32 v42, vcc, s12, v42
	v_addc_co_u32_e32 v43, vcc, v44, v43, vcc
	global_load_dword v48, v[42:43], off
.LBB9_13:
	s_or_b64 exec, exec, s[10:11]
	s_waitcnt vmcnt(7) lgkmcnt(1)
	v_mfma_f32_16x16x16f16 v[42:45], v[38:39], v[26:27], 0
	s_add_u32 s2, s2, s8
	v_lshlrev_b32_e32 v55, 5, v52
	s_addc_u32 s3, s3, s9
	s_load_dword s10, s[4:5], 0x1c
	s_mov_b32 s42, 0xff7fffff
	v_mfma_f32_16x16x16f16 v[38:41], v[40:41], v[28:29], v[42:45]
	s_waitcnt vmcnt(6) lgkmcnt(0)
	v_mfma_f32_16x16x16f16 v[38:41], v[34:35], v[22:23], v[38:41]
	s_nop 4
	v_and_or_b32 v44, v0, 48, s14
	v_mov_b32_e32 v45, s17
	v_cmp_gt_i32_e32 vcc, s33, v44
	v_mfma_f32_16x16x16f16 v[34:37], v[36:37], v[24:25], v[38:41]
	s_nop 6
	v_ashrrev_i32_e32 v38, 4, v44
	v_cndmask_b32_e32 v42, v45, v38, vcc
	v_ashrrev_i32_e32 v43, 31, v42
	s_waitcnt vmcnt(5)
	v_mfma_f32_16x16x16f16 v[38:41], v[30:31], v[26:27], 0
	v_lshlrev_b64 v[30:31], 2, v[42:43]
	v_mov_b32_e32 v42, s16
	v_add_co_u32_e32 v30, vcc, s15, v30
	v_addc_co_u32_e32 v31, vcc, v42, v31, vcc
	global_load_dword v42, v[30:31], off
	v_mfma_f32_16x16x16f16 v[30:33], v[32:33], v[28:29], v[38:41]
	v_pk_mul_f32 v[46:47], s[10:11], v[36:37] op_sel_hi:[0,1]
	s_nop 5
	v_or_b32_e32 v38, 64, v44
	v_ashrrev_i32_e32 v39, 4, v38
	v_cmp_gt_i32_e32 vcc, s33, v38
	v_cndmask_b32_e32 v38, v45, v39, vcc
	v_ashrrev_i32_e32 v39, 31, v38
	v_lshlrev_b64 v[38:39], 2, v[38:39]
	s_waitcnt vmcnt(5)
	v_mfma_f32_16x16x16f16 v[30:33], v[14:15], v[22:23], v[30:33]
	v_mov_b32_e32 v40, s16
	v_add_co_u32_e32 v14, vcc, s15, v38
	v_addc_co_u32_e32 v15, vcc, v40, v39, vcc
	global_load_dword v40, v[14:15], off
	v_or_b32_e32 v14, 0x80, v44
	v_ashrrev_i32_e32 v15, 4, v14
	v_cmp_gt_i32_e32 vcc, s33, v14
	v_cndmask_b32_e32 v14, v45, v15, vcc
	v_ashrrev_i32_e32 v15, 31, v14
	v_lshlrev_b64 v[14:15], 2, v[14:15]
	v_mfma_f32_16x16x16f16 v[30:33], v[16:17], v[24:25], v[30:33]
	v_mov_b32_e32 v16, s16
	v_add_co_u32_e32 v38, vcc, s15, v14
	v_addc_co_u32_e32 v39, vcc, v16, v15, vcc
	global_load_dword v38, v[38:39], off
	s_waitcnt vmcnt(6)
	v_mfma_f32_16x16x16f16 v[14:17], v[10:11], v[26:27], 0
	v_mfma_f32_16x16x16f16 v[10:13], v[12:13], v[28:29], v[14:17]
	s_nop 7
	s_nop 1
	v_or_b32_e32 v14, 0xc0, v44
	v_ashrrev_i32_e32 v15, 4, v14
	v_cmp_gt_i32_e32 vcc, s33, v14
	v_cndmask_b32_e32 v14, v45, v15, vcc
	s_waitcnt vmcnt(5)
	v_mfma_f32_16x16x16f16 v[10:13], v[6:7], v[22:23], v[10:13]
	v_ashrrev_i32_e32 v15, 31, v14
	v_lshlrev_b64 v[14:15], 2, v[14:15]
	v_mov_b32_e32 v16, s16
	v_add_co_u32_e32 v6, vcc, s15, v14
	v_addc_co_u32_e32 v7, vcc, v16, v15, vcc
	global_load_dword v49, v[6:7], off
	v_lshl_or_b32 v6, v53, 9, v55
	v_mov_b32_e32 v7, s3
	v_add_co_u32_e32 v60, vcc, s2, v6
	v_addc_co_u32_e32 v61, vcc, 0, v7, vcc
	v_mfma_f32_16x16x16f16 v[56:59], v[8:9], v[24:25], v[10:13]
	v_pk_mul_f32 v[44:45], s[10:11], v[30:31] op_sel_hi:[0,1]
	s_waitcnt vmcnt(3)
	v_mad_i64_i32 v[6:7], s[2:3], v42, s45, 0
	s_nop 3
	v_lshlrev_b64 v[10:11], 1, v[6:7]
	v_mfma_f32_16x16x16f16 v[6:9], v[2:3], v[26:27], 0
	v_add_co_u32_e32 v2, vcc, v60, v10
	v_addc_co_u32_e32 v3, vcc, v61, v11, vcc
	global_load_dwordx4 v[14:17], v[2:3], off
	global_load_dwordx4 v[10:13], v[2:3], off offset:16
	v_pk_mul_f32 v[42:43], s[10:11], v[32:33] op_sel_hi:[0,1]
	s_waitcnt vmcnt(4)
	v_mad_i64_i32 v[2:3], s[2:3], v40, s45, 0
	v_mfma_f32_16x16x16f16 v[26:29], v[4:5], v[28:29], v[6:9]
	v_lshlrev_b64 v[2:3], 1, v[2:3]
	v_add_co_u32_e32 v2, vcc, v60, v2
	v_addc_co_u32_e32 v3, vcc, v61, v3, vcc
	v_pk_mul_f32 v[40:41], s[10:11], v[56:57] op_sel_hi:[0,1]
	s_nop 2
	global_load_dwordx4 v[6:9], v[2:3], off
	s_nop 0
	global_load_dwordx4 v[2:5], v[2:3], off offset:16
	v_mfma_f32_16x16x16f16 v[26:29], v[18:19], v[22:23], v[26:29]
	v_pk_mul_f32 v[18:19], s[10:11], v[34:35] op_sel_hi:[0,1]
	s_waitcnt vmcnt(5)
	v_mad_i64_i32 v[38:39], s[2:3], v38, s45, 0
	v_lshlrev_b64 v[38:39], 1, v[38:39]
	v_add_co_u32_e32 v22, vcc, v60, v38
	v_mfma_f32_16x16x16f16 v[24:27], v[20:21], v[24:25], v[26:29]
	v_and_b32_e32 v20, 0xc0, v0
	v_add_u32_e32 v20, s14, v20
	v_lshl_or_b32 v20, v1, 2, v20
	v_or_b32_e32 v21, 1, v20
	v_addc_co_u32_e32 v23, vcc, v61, v39, vcc
	v_pk_mul_f32 v[38:39], s[10:11], v[58:59] op_sel_hi:[0,1]
	s_nop 4
	v_pk_mul_f32 v[36:37], s[10:11], v[24:25] op_sel_hi:[0,1]
	v_subrev_u32_e32 v24, s33, v21
	v_pk_mul_f32 v[34:35], s[10:11], v[26:27] op_sel_hi:[0,1]
	v_add_u32_e32 v26, 1, v24
	v_add_u32_e32 v27, 2, v24
	v_cvt_f32_i32_e32 v25, v24
	v_cvt_f32_i32_e32 v26, v26
	;; [unrolled: 1-line block ×3, first 2 shown]
	v_add_u32_e32 v28, 3, v24
	v_fma_f32 v18, v48, v25, v18
	v_fmac_f32_e32 v19, v48, v26
	v_fma_f32 v46, v48, v27, v46
	v_add_u32_e32 v25, 16, v24
	v_add_u32_e32 v26, 17, v24
	;; [unrolled: 1-line block ×3, first 2 shown]
	v_cvt_f32_i32_e32 v28, v28
	v_cvt_f32_i32_e32 v25, v25
	;; [unrolled: 1-line block ×4, first 2 shown]
	v_fmac_f32_e32 v47, v48, v28
	v_add_u32_e32 v28, 19, v24
	v_fma_f32 v44, v48, v25, v44
	v_fmac_f32_e32 v45, v48, v26
	v_fma_f32 v42, v48, v27, v42
	v_add_u32_e32 v25, 32, v24
	v_add_u32_e32 v26, 33, v24
	;; [unrolled: 1-line block ×3, first 2 shown]
	v_cvt_f32_i32_e32 v28, v28
	v_cvt_f32_i32_e32 v25, v25
	;; [unrolled: 1-line block ×4, first 2 shown]
	v_fmac_f32_e32 v43, v48, v28
	v_add_u32_e32 v28, 35, v24
	v_fma_f32 v40, v48, v25, v40
	v_fmac_f32_e32 v41, v48, v26
	v_fma_f32 v38, v48, v27, v38
	v_add_u32_e32 v25, 48, v24
	v_add_u32_e32 v26, 49, v24
	;; [unrolled: 1-line block ×4, first 2 shown]
	v_cvt_f32_i32_e32 v24, v24
	v_cvt_f32_i32_e32 v25, v25
	;; [unrolled: 1-line block ×3, first 2 shown]
	v_cmp_gt_i32_e64 s[30:31], s33, v20
	v_fmac_f32_e32 v35, v48, v24
	v_mov_b32_e32 v24, 0xff7fffff
	v_cmp_gt_i32_e64 s[34:35], s33, v21
	v_fma_f32 v36, v48, v25, v36
	v_cndmask_b32_e64 v25, v24, v18, s[30:31]
	v_cndmask_b32_e64 v21, v24, v19, s[34:35]
	v_fmac_f32_e32 v37, v48, v26
	v_max3_f32 v21, v25, s42, v21
	v_or_b32_e32 v25, 2, v20
	v_or_b32_e32 v26, 3, v20
	v_cmp_gt_i32_e64 s[36:37], s33, v25
	v_cmp_gt_i32_e64 s[38:39], s33, v26
	v_cndmask_b32_e64 v25, v24, v46, s[36:37]
	v_cndmask_b32_e64 v26, v24, v47, s[38:39]
	v_max3_f32 v21, v21, v25, v26
	v_or_b32_e32 v25, 16, v20
	v_or_b32_e32 v26, 17, v20
	v_cmp_gt_i32_e64 s[24:25], s33, v25
	v_cmp_gt_i32_e64 s[26:27], s33, v26
	v_cndmask_b32_e64 v25, v24, v44, s[24:25]
	v_cndmask_b32_e64 v26, v24, v45, s[26:27]
	;; [unrolled: 7-line block ×3, first 2 shown]
	v_cvt_f32_i32_e32 v28, v28
	v_max3_f32 v21, v21, v25, v26
	v_or_b32_e32 v25, 32, v20
	v_or_b32_e32 v26, 33, v20
	v_cmp_gt_i32_e64 s[16:17], s33, v25
	v_cmp_gt_i32_e64 s[18:19], s33, v26
	v_cndmask_b32_e64 v25, v24, v40, s[16:17]
	v_cndmask_b32_e64 v26, v24, v41, s[18:19]
	v_max3_f32 v21, v21, v25, v26
	v_or_b32_e32 v25, 34, v20
	v_or_b32_e32 v26, 35, v20
	v_fmac_f32_e32 v39, v48, v28
	v_cmp_gt_i32_e64 s[12:13], s33, v25
	v_cmp_gt_i32_e64 s[14:15], s33, v26
	v_cndmask_b32_e64 v25, v24, v38, s[12:13]
	v_cndmask_b32_e64 v26, v24, v39, s[14:15]
	v_cvt_f32_i32_e32 v27, v27
	v_max3_f32 v21, v21, v25, v26
	v_or_b32_e32 v25, 48, v20
	v_or_b32_e32 v26, 49, v20
	v_cmp_gt_i32_e64 s[8:9], s33, v25
	v_cmp_gt_i32_e64 s[10:11], s33, v26
	v_cndmask_b32_e64 v25, v24, v36, s[8:9]
	v_cndmask_b32_e64 v26, v24, v37, s[10:11]
	v_max3_f32 v21, v21, v25, v26
	v_or_b32_e32 v25, 50, v20
	v_or_b32_e32 v20, 51, v20
	v_fma_f32 v34, v48, v27, v34
	v_cmp_gt_i32_e32 vcc, s33, v25
	v_cmp_gt_i32_e64 s[2:3], s33, v20
	v_cndmask_b32_e32 v25, v24, v34, vcc
	v_cndmask_b32_e64 v20, v24, v35, s[2:3]
	v_max3_f32 v26, v21, v25, v20
	v_mbcnt_lo_u32_b32 v20, -1, 0
	v_mbcnt_hi_u32_b32 v27, -1, v20
	v_and_b32_e32 v20, 64, v27
	v_add_u32_e32 v28, 64, v20
	v_xor_b32_e32 v20, 32, v27
	v_cmp_lt_i32_e64 s[40:41], v20, v28
	v_cndmask_b32_e64 v20, v27, v20, s[40:41]
	v_lshlrev_b32_e32 v57, 2, v20
	ds_bpermute_b32 v29, v57, v26
	s_waitcnt vmcnt(4)
	v_mad_i64_i32 v[20:21], s[40:41], v49, s45, 0
	v_lshlrev_b64 v[20:21], 1, v[20:21]
	global_load_dwordx4 v[30:33], v[22:23], off
	s_nop 0
	global_load_dwordx4 v[22:25], v[22:23], off offset:16
	s_waitcnt lgkmcnt(0)
	v_max_f32_e32 v29, v29, v29
	v_max_f32_e32 v26, v26, v29
	v_xor_b32_e32 v29, 16, v27
	v_cmp_lt_i32_e64 s[40:41], v29, v28
	v_cndmask_b32_e64 v27, v27, v29, s[40:41]
	v_lshlrev_b32_e32 v59, 2, v27
	ds_bpermute_b32 v27, v59, v26
	v_add_co_u32_e64 v20, s[40:41], v60, v20
	v_addc_co_u32_e64 v21, s[40:41], v61, v21, s[40:41]
	s_waitcnt lgkmcnt(0)
	v_max_f32_e32 v27, v27, v27
	v_max_f32_e32 v56, v26, v27
	v_sub_f32_e32 v18, v18, v56
	v_mul_f32_e32 v18, 0x3fb8aa3b, v18
	v_exp_f32_e32 v48, v18
	v_sub_f32_e32 v18, v19, v56
	v_mul_f32_e32 v18, 0x3fb8aa3b, v18
	v_exp_f32_e32 v49, v18
	global_load_dwordx4 v[26:29], v[20:21], off
	s_nop 0
	global_load_dwordx4 v[18:21], v[20:21], off offset:16
	v_sub_f32_e32 v46, v46, v56
	v_mul_f32_e32 v46, 0x3fb8aa3b, v46
	v_sub_f32_e32 v47, v47, v56
	v_exp_f32_e32 v46, v46
	v_mul_f32_e32 v47, 0x3fb8aa3b, v47
	v_sub_f32_e32 v44, v44, v56
	v_exp_f32_e32 v47, v47
	v_mul_f32_e32 v44, 0x3fb8aa3b, v44
	v_sub_f32_e32 v45, v45, v56
	v_cndmask_b32_e64 v48, 0, v48, s[30:31]
	v_exp_f32_e32 v44, v44
	v_mul_f32_e32 v45, 0x3fb8aa3b, v45
	v_sub_f32_e32 v42, v42, v56
	v_add_f32_e32 v58, 0, v48
	v_cndmask_b32_e64 v49, 0, v49, s[34:35]
	v_exp_f32_e32 v45, v45
	v_mul_f32_e32 v42, 0x3fb8aa3b, v42
	v_sub_f32_e32 v43, v43, v56
	v_add_f32_e32 v58, v58, v49
	;; [unrolled: 5-line block ×10, first 2 shown]
	v_cndmask_b32_e64 v38, 0, v38, s[12:13]
	v_exp_f32_e32 v34, v34
	v_mul_f32_e32 v35, 0x3fb8aa3b, v35
	v_add_f32_e32 v58, v58, v38
	v_cndmask_b32_e64 v39, 0, v39, s[14:15]
	v_exp_f32_e32 v35, v35
	v_add_f32_e32 v58, v58, v39
	v_cndmask_b32_e64 v36, 0, v36, s[8:9]
	v_add_f32_e32 v58, v58, v36
	v_cndmask_b32_e64 v37, 0, v37, s[10:11]
	v_add_f32_e32 v58, v58, v37
	v_cndmask_b32_e32 v34, 0, v34, vcc
	v_add_f32_e32 v58, v58, v34
	v_cndmask_b32_e64 v35, 0, v35, s[2:3]
	v_add_f32_e32 v58, v58, v35
	ds_bpermute_b32 v57, v57, v58
	s_load_dword s9, s[4:5], 0x98
	v_cmp_gt_u32_e32 vcc, 16, v54
	s_waitcnt lgkmcnt(0)
	s_barrier
	v_add_f32_e32 v58, v58, v57
	ds_bpermute_b32 v59, v59, v58
	v_lshlrev_b32_e32 v57, 2, v52
	s_waitcnt lgkmcnt(0)
	s_and_saveexec_b64 s[2:3], vcc
	s_cbranch_execz .LBB9_15
; %bb.14:
	v_add_f32_e32 v54, v58, v59
	v_lshl_or_b32 v58, v53, 6, v57
	ds_write2st64_b32 v58, v56, v54 offset1:1
.LBB9_15:
	s_or_b64 exec, exec, s[2:3]
	s_load_dword s8, s[4:5], 0x94
	s_waitcnt lgkmcnt(0)
	s_barrier
	ds_read2_b32 v[58:59], v57 offset1:16
	ds_read2_b32 v[60:61], v57 offset0:32 offset1:48
	ds_read2_b32 v[62:63], v57 offset0:64 offset1:80
	s_mul_i32 s9, s9, 10
	s_waitcnt lgkmcnt(2)
	v_max3_f32 v54, v58, s42, v59
	s_waitcnt lgkmcnt(1)
	v_max3_f32 v54, v54, v60, v61
	v_sub_f32_e32 v56, v58, v54
	v_mul_f32_e32 v56, 0x3fb8aa3b, v56
	v_exp_f32_e32 v64, v56
	v_sub_f32_e32 v56, v59, v54
	v_mul_f32_e32 v56, 0x3fb8aa3b, v56
	v_exp_f32_e32 v65, v56
	;; [unrolled: 3-line block ×3, first 2 shown]
	ds_read2_b32 v[58:59], v57 offset0:96 offset1:112
	v_sub_f32_e32 v56, v61, v54
	v_mul_f32_e32 v56, 0x3fb8aa3b, v56
	v_exp_f32_e32 v57, v56
	s_waitcnt lgkmcnt(1)
	v_fma_f32 v56, v64, v62, 0
	v_fmac_f32_e32 v56, v65, v63
	s_waitcnt lgkmcnt(0)
	v_fmac_f32_e32 v56, v60, v58
	v_fmac_f32_e32 v56, v57, v59
	v_add_f32_e32 v58, 0x358637bd, v56
	v_div_scale_f32 v59, s[2:3], v58, v58, 1.0
	v_rcp_f32_e32 v61, v59
	s_barrier
	v_fma_f32 v62, -v59, v61, 1.0
	v_fmac_f32_e32 v61, v62, v61
	v_div_scale_f32 v62, vcc, 1.0, v58, 1.0
	v_mul_f32_e32 v63, v62, v61
	v_fma_f32 v66, -v59, v63, v62
	v_fmac_f32_e32 v63, v66, v61
	v_fma_f32 v59, -v59, v63, v62
	v_div_fmas_f32 v59, v59, v61, v63
	v_cmp_eq_u32_e32 vcc, 1, v53
	v_div_fixup_f32 v58, v59, v58, 1.0
	v_cndmask_b32_e32 v59, v64, v65, vcc
	v_cmp_eq_u32_e32 vcc, 2, v53
	v_cndmask_b32_e32 v59, v59, v60, vcc
	v_cmp_eq_u32_e32 vcc, 3, v53
	v_cndmask_b32_e32 v57, v59, v57, vcc
	v_mul_f32_e32 v58, v57, v58
	v_pk_mul_f32 v[48:49], v[58:59], v[48:49] op_sel_hi:[0,1]
	v_cvt_f16_f32_e32 v48, v48
	v_cvt_f16_f32_e32 v49, v49
	v_pk_mul_f32 v[46:47], v[58:59], v[46:47] op_sel_hi:[0,1]
	v_pk_mul_f32 v[42:43], v[58:59], v[42:43] op_sel_hi:[0,1]
	;; [unrolled: 1-line block ×3, first 2 shown]
	v_cvt_f16_f32_e32 v57, v46
	v_cvt_f16_f32_e32 v47, v47
	v_pack_b32_f16 v46, v48, v49
	v_cvt_f16_f32_e32 v44, v44
	v_cvt_f16_f32_e32 v45, v45
	;; [unrolled: 1-line block ×4, first 2 shown]
	v_lshlrev_b32_e32 v48, 3, v1
	v_lshlrev_b32_e32 v42, 11, v53
	v_pack_b32_f16 v47, v57, v47
	v_or3_b32 v42, v42, v55, v48
	v_pack_b32_f16 v44, v44, v45
	v_pack_b32_f16 v45, v49, v43
	v_pk_mul_f32 v[38:39], v[58:59], v[38:39] op_sel_hi:[0,1]
	v_pk_mul_f32 v[40:41], v[58:59], v[40:41] op_sel_hi:[0,1]
	;; [unrolled: 1-line block ×4, first 2 shown]
	ds_write2st64_b64 v42, v[46:47], v[44:45] offset1:1
	v_cvt_f16_f32_e32 v40, v40
	v_cvt_f16_f32_e32 v41, v41
	;; [unrolled: 1-line block ×8, first 2 shown]
	v_pack_b32_f16 v34, v40, v41
	v_pack_b32_f16 v35, v38, v39
	;; [unrolled: 1-line block ×4, first 2 shown]
	v_cmp_gt_u32_e32 vcc, 10, v0
	ds_write2st64_b64 v42, v[34:35], v[36:37] offset0:2 offset1:3
	s_and_saveexec_b64 s[2:3], vcc
	s_cbranch_execz .LBB9_17
; %bb.16:
	v_add_co_u32_e32 v36, vcc, s29, v52
	v_addc_co_u32_e64 v37, s[10:11], 0, 0, vcc
	v_mov_b32_e32 v34, s9
	v_mov_b32_e32 v35, 0
	v_mad_u64_u32 v[36:37], s[10:11], s6, v34, v[36:37]
	v_mov_b32_e32 v34, s28
	s_load_dwordx4 s[12:15], s[4:5], 0x58
	s_mul_i32 s7, s7, s9
	v_mad_u64_u32 v[34:35], s[10:11], v36, s8, v[34:35]
	v_add_u32_e32 v37, s7, v37
	v_mov_b32_e32 v36, v35
	v_mad_u64_u32 v[36:37], s[10:11], v37, s8, v[36:37]
	v_mov_b32_e32 v35, v36
	v_lshlrev_b64 v[34:35], 2, v[34:35]
	s_waitcnt lgkmcnt(0)
	v_mov_b32_e32 v37, s15
	v_add_co_u32_e32 v36, vcc, s14, v34
	v_addc_co_u32_e32 v37, vcc, v37, v35, vcc
	global_store_dword v[36:37], v54, off
	v_mov_b32_e32 v36, s13
	v_add_co_u32_e32 v34, vcc, s12, v34
	v_addc_co_u32_e32 v35, vcc, v36, v35, vcc
	global_store_dword v[34:35], v56, off
.LBB9_17:
	s_or_b64 exec, exec, s[2:3]
	v_lshl_or_b32 v43, v1, 9, v55
	s_waitcnt lgkmcnt(0)
	s_barrier
	ds_read_b128 v[34:37], v43
	ds_read_b128 v[38:41], v43 offset:16
	s_waitcnt vmcnt(7) lgkmcnt(1)
	v_mfma_f32_16x16x16f16 v[44:47], v[14:15], v[34:35], 0
	v_cmp_gt_u32_e32 vcc, 64, v0
	s_mov_b32 s3, 0
	s_and_b64 s[0:1], vcc, s[0:1]
	v_mfma_f32_16x16x16f16 v[14:17], v[16:17], v[36:37], v[44:47]
	s_waitcnt vmcnt(6) lgkmcnt(0)
	v_mfma_f32_16x16x16f16 v[14:17], v[10:11], v[38:39], v[14:17]
	v_mfma_f32_16x16x16f16 v[10:13], v[12:13], v[40:41], v[14:17]
	s_nop 7
	s_nop 1
	ds_read_b128 v[14:17], v43 offset:2048
	ds_read_b128 v[34:37], v43 offset:2064
	s_waitcnt vmcnt(5) lgkmcnt(1)
	v_mfma_f32_16x16x16f16 v[10:13], v[6:7], v[14:15], v[10:13]
	v_mfma_f32_16x16x16f16 v[6:9], v[8:9], v[16:17], v[10:13]
	s_waitcnt vmcnt(4) lgkmcnt(0)
	v_mfma_f32_16x16x16f16 v[6:9], v[2:3], v[34:35], v[6:9]
	v_mfma_f32_16x16x16f16 v[2:5], v[4:5], v[36:37], v[6:9]
	s_nop 7
	s_nop 1
	ds_read_b128 v[6:9], v43 offset:4096
	ds_read_b128 v[10:13], v43 offset:4112
	s_waitcnt vmcnt(3) lgkmcnt(1)
	v_mfma_f32_16x16x16f16 v[2:5], v[30:31], v[6:7], v[2:5]
	v_mfma_f32_16x16x16f16 v[2:5], v[32:33], v[8:9], v[2:5]
	s_waitcnt vmcnt(2) lgkmcnt(0)
	v_mfma_f32_16x16x16f16 v[2:5], v[22:23], v[10:11], v[2:5]
	v_mfma_f32_16x16x16f16 v[2:5], v[24:25], v[12:13], v[2:5]
	ds_read_b128 v[6:9], v43 offset:6144
	ds_read_b128 v[10:13], v43 offset:6160
	s_waitcnt lgkmcnt(0)
	s_barrier
	s_waitcnt vmcnt(1)
	v_mfma_f32_16x16x16f16 v[2:5], v[26:27], v[6:7], v[2:5]
	v_mfma_f32_16x16x16f16 v[2:5], v[28:29], v[8:9], v[2:5]
	s_waitcnt vmcnt(0)
	v_mfma_f32_16x16x16f16 v[2:5], v[18:19], v[10:11], v[2:5]
	v_mfma_f32_16x16x16f16 v[2:5], v[20:21], v[12:13], v[2:5]
	s_nop 7
	s_nop 2
	v_cvt_f16_f32_e32 v2, v2
	v_cvt_f16_f32_e32 v3, v3
	;; [unrolled: 1-line block ×4, first 2 shown]
	v_pack_b32_f16 v2, v2, v3
	v_pack_b32_f16 v3, v4, v5
	ds_write_b64 v42, v[2:3]
	s_waitcnt lgkmcnt(0)
	s_barrier
	s_and_saveexec_b64 s[10:11], s[0:1]
	s_cbranch_execz .LBB9_20
; %bb.18:
	s_load_dwordx2 s[4:5], s[4:5], 0x68
	s_lshl_b32 s0, s8, 6
	s_mul_i32 s1, s9, s6
	s_mul_hi_u32 s7, s1, s0
	s_mul_i32 s6, s1, s0
	s_lshl_b64 s[6:7], s[6:7], 1
	s_waitcnt lgkmcnt(0)
	s_add_u32 s1, s4, s6
	v_lshlrev_b32_e32 v0, 10, v0
	s_addc_u32 s4, s5, s7
	s_lshl_b32 s2, s28, 6
	v_and_b32_e32 v0, 0x1800, v0
	v_lshlrev_b32_e32 v2, 5, v1
	v_and_b32_e32 v3, 16, v51
	s_lshl_b64 s[2:3], s[2:3], 1
	v_or3_b32 v0, v0, v2, v3
	s_add_u32 s1, s1, s2
	v_or_b32_e32 v2, 8, v1
	s_addc_u32 s2, s4, s3
	ds_read_b128 v[6:9], v0 offset:128
	ds_read_b128 v[10:13], v0
	v_add_u32_e32 v1, s29, v1
	v_mov_b32_e32 v4, s2
	v_add_co_u32_e32 v3, vcc, s1, v50
	v_mad_u64_u32 v[14:15], s[2:3], v1, s0, 0
	v_addc_co_u32_e32 v4, vcc, 0, v4, vcc
	v_lshlrev_b64 v[14:15], 1, v[14:15]
	v_add_co_u32_e32 v14, vcc, v3, v14
	v_addc_co_u32_e32 v15, vcc, v4, v15, vcc
	v_add_u32_e32 v1, 4, v1
	s_waitcnt lgkmcnt(0)
	global_store_dwordx4 v[14:15], v[10:13], off
	s_nop 0
	v_mad_u64_u32 v[10:11], s[2:3], v1, s0, 0
	v_lshlrev_b64 v[10:11], 1, v[10:11]
	v_add_co_u32_e32 v10, vcc, v3, v10
	v_addc_co_u32_e32 v11, vcc, v4, v11, vcc
	v_cmp_gt_u32_e32 vcc, 10, v2
	global_store_dwordx4 v[10:11], v[6:9], off
	s_and_b64 exec, exec, vcc
	s_cbranch_execz .LBB9_20
; %bb.19:
	ds_read_b128 v[6:9], v0 offset:256
	v_add_u32_e32 v0, s29, v2
	v_mad_u64_u32 v[0:1], s[0:1], v0, s0, 0
	v_lshlrev_b64 v[0:1], 1, v[0:1]
	v_add_co_u32_e32 v0, vcc, v3, v0
	v_addc_co_u32_e32 v1, vcc, v4, v1, vcc
	s_waitcnt lgkmcnt(0)
	global_store_dwordx4 v[0:1], v[6:9], off
.LBB9_20:
	s_endpgm
	.section	.rodata,"a",@progbits
	.p2align	6, 0x0
	.amdhsa_kernel _Z39paged_attention_ll4mi_QKV_mfma16_kernelIDF16_DF16_LN4vllm18Fp8KVCacheDataTypeE0EDF16_Li16ELi64ELi256ELb1ELi10EL8MFMAType0EEvPKT_PKT0_S8_ifPKiSA_SA_iPKfiiiPfSD_PS3_PT2_iSC_SC_
		.amdhsa_group_segment_fixed_size 8192
		.amdhsa_private_segment_fixed_size 0
		.amdhsa_kernarg_size 400
		.amdhsa_user_sgpr_count 6
		.amdhsa_user_sgpr_private_segment_buffer 1
		.amdhsa_user_sgpr_dispatch_ptr 0
		.amdhsa_user_sgpr_queue_ptr 0
		.amdhsa_user_sgpr_kernarg_segment_ptr 1
		.amdhsa_user_sgpr_dispatch_id 0
		.amdhsa_user_sgpr_flat_scratch_init 0
		.amdhsa_user_sgpr_kernarg_preload_length 0
		.amdhsa_user_sgpr_kernarg_preload_offset 0
		.amdhsa_user_sgpr_private_segment_size 0
		.amdhsa_uses_dynamic_stack 0
		.amdhsa_system_sgpr_private_segment_wavefront_offset 0
		.amdhsa_system_sgpr_workgroup_id_x 1
		.amdhsa_system_sgpr_workgroup_id_y 1
		.amdhsa_system_sgpr_workgroup_id_z 1
		.amdhsa_system_sgpr_workgroup_info 0
		.amdhsa_system_vgpr_workitem_id 0
		.amdhsa_next_free_vgpr 67
		.amdhsa_next_free_sgpr 48
		.amdhsa_accum_offset 68
		.amdhsa_reserve_vcc 1
		.amdhsa_reserve_flat_scratch 0
		.amdhsa_float_round_mode_32 0
		.amdhsa_float_round_mode_16_64 0
		.amdhsa_float_denorm_mode_32 3
		.amdhsa_float_denorm_mode_16_64 3
		.amdhsa_dx10_clamp 1
		.amdhsa_ieee_mode 1
		.amdhsa_fp16_overflow 0
		.amdhsa_tg_split 0
		.amdhsa_exception_fp_ieee_invalid_op 0
		.amdhsa_exception_fp_denorm_src 0
		.amdhsa_exception_fp_ieee_div_zero 0
		.amdhsa_exception_fp_ieee_overflow 0
		.amdhsa_exception_fp_ieee_underflow 0
		.amdhsa_exception_fp_ieee_inexact 0
		.amdhsa_exception_int_div_zero 0
	.end_amdhsa_kernel
	.section	.text._Z39paged_attention_ll4mi_QKV_mfma16_kernelIDF16_DF16_LN4vllm18Fp8KVCacheDataTypeE0EDF16_Li16ELi64ELi256ELb1ELi10EL8MFMAType0EEvPKT_PKT0_S8_ifPKiSA_SA_iPKfiiiPfSD_PS3_PT2_iSC_SC_,"axG",@progbits,_Z39paged_attention_ll4mi_QKV_mfma16_kernelIDF16_DF16_LN4vllm18Fp8KVCacheDataTypeE0EDF16_Li16ELi64ELi256ELb1ELi10EL8MFMAType0EEvPKT_PKT0_S8_ifPKiSA_SA_iPKfiiiPfSD_PS3_PT2_iSC_SC_,comdat
.Lfunc_end9:
	.size	_Z39paged_attention_ll4mi_QKV_mfma16_kernelIDF16_DF16_LN4vllm18Fp8KVCacheDataTypeE0EDF16_Li16ELi64ELi256ELb1ELi10EL8MFMAType0EEvPKT_PKT0_S8_ifPKiSA_SA_iPKfiiiPfSD_PS3_PT2_iSC_SC_, .Lfunc_end9-_Z39paged_attention_ll4mi_QKV_mfma16_kernelIDF16_DF16_LN4vllm18Fp8KVCacheDataTypeE0EDF16_Li16ELi64ELi256ELb1ELi10EL8MFMAType0EEvPKT_PKT0_S8_ifPKiSA_SA_iPKfiiiPfSD_PS3_PT2_iSC_SC_
                                        ; -- End function
	.section	.AMDGPU.csdata,"",@progbits
; Kernel info:
; codeLenInByte = 4316
; NumSgprs: 52
; NumVgprs: 67
; NumAgprs: 0
; TotalNumVgprs: 67
; ScratchSize: 0
; MemoryBound: 0
; FloatMode: 240
; IeeeMode: 1
; LDSByteSize: 8192 bytes/workgroup (compile time only)
; SGPRBlocks: 6
; VGPRBlocks: 8
; NumSGPRsForWavesPerEU: 52
; NumVGPRsForWavesPerEU: 67
; AccumOffset: 68
; Occupancy: 7
; WaveLimiterHint : 1
; COMPUTE_PGM_RSRC2:SCRATCH_EN: 0
; COMPUTE_PGM_RSRC2:USER_SGPR: 6
; COMPUTE_PGM_RSRC2:TRAP_HANDLER: 0
; COMPUTE_PGM_RSRC2:TGID_X_EN: 1
; COMPUTE_PGM_RSRC2:TGID_Y_EN: 1
; COMPUTE_PGM_RSRC2:TGID_Z_EN: 1
; COMPUTE_PGM_RSRC2:TIDIG_COMP_CNT: 0
; COMPUTE_PGM_RSRC3_GFX90A:ACCUM_OFFSET: 16
; COMPUTE_PGM_RSRC3_GFX90A:TG_SPLIT: 0
	.section	.text._Z39paged_attention_ll4mi_QKV_mfma16_kernelIDF16_DF16_LN4vllm18Fp8KVCacheDataTypeE0EDF16_Li16ELi64ELi256ELb1ELi11EL8MFMAType0EEvPKT_PKT0_S8_ifPKiSA_SA_iPKfiiiPfSD_PS3_PT2_iSC_SC_,"axG",@progbits,_Z39paged_attention_ll4mi_QKV_mfma16_kernelIDF16_DF16_LN4vllm18Fp8KVCacheDataTypeE0EDF16_Li16ELi64ELi256ELb1ELi11EL8MFMAType0EEvPKT_PKT0_S8_ifPKiSA_SA_iPKfiiiPfSD_PS3_PT2_iSC_SC_,comdat
	.protected	_Z39paged_attention_ll4mi_QKV_mfma16_kernelIDF16_DF16_LN4vllm18Fp8KVCacheDataTypeE0EDF16_Li16ELi64ELi256ELb1ELi11EL8MFMAType0EEvPKT_PKT0_S8_ifPKiSA_SA_iPKfiiiPfSD_PS3_PT2_iSC_SC_ ; -- Begin function _Z39paged_attention_ll4mi_QKV_mfma16_kernelIDF16_DF16_LN4vllm18Fp8KVCacheDataTypeE0EDF16_Li16ELi64ELi256ELb1ELi11EL8MFMAType0EEvPKT_PKT0_S8_ifPKiSA_SA_iPKfiiiPfSD_PS3_PT2_iSC_SC_
	.globl	_Z39paged_attention_ll4mi_QKV_mfma16_kernelIDF16_DF16_LN4vllm18Fp8KVCacheDataTypeE0EDF16_Li16ELi64ELi256ELb1ELi11EL8MFMAType0EEvPKT_PKT0_S8_ifPKiSA_SA_iPKfiiiPfSD_PS3_PT2_iSC_SC_
	.p2align	8
	.type	_Z39paged_attention_ll4mi_QKV_mfma16_kernelIDF16_DF16_LN4vllm18Fp8KVCacheDataTypeE0EDF16_Li16ELi64ELi256ELb1ELi11EL8MFMAType0EEvPKT_PKT0_S8_ifPKiSA_SA_iPKfiiiPfSD_PS3_PT2_iSC_SC_,@function
_Z39paged_attention_ll4mi_QKV_mfma16_kernelIDF16_DF16_LN4vllm18Fp8KVCacheDataTypeE0EDF16_Li16ELi64ELi256ELb1ELi11EL8MFMAType0EEvPKT_PKT0_S8_ifPKiSA_SA_iPKfiiiPfSD_PS3_PT2_iSC_SC_: ; @_Z39paged_attention_ll4mi_QKV_mfma16_kernelIDF16_DF16_LN4vllm18Fp8KVCacheDataTypeE0EDF16_Li16ELi64ELi256ELb1ELi11EL8MFMAType0EEvPKT_PKT0_S8_ifPKiSA_SA_iPKfiiiPfSD_PS3_PT2_iSC_SC_
; %bb.0:
	s_load_dwordx2 s[0:1], s[4:5], 0x30
	s_mov_b32 s28, s7
	s_mov_b64 s[10:11], 0
	s_waitcnt lgkmcnt(0)
	s_cmp_lg_u64 s[0:1], 0
	s_cselect_b64 s[2:3], -1, 0
	s_and_b64 vcc, exec, s[2:3]
	s_cbranch_vccz .LBB10_7
; %bb.1:
	s_add_i32 s12, s6, 1
	s_mov_b32 s13, 0
	s_lshl_b64 s[14:15], s[12:13], 2
	s_add_u32 s14, s0, s14
	s_mov_b32 s7, s13
	s_addc_u32 s15, s1, s15
	s_lshl_b64 s[12:13], s[6:7], 2
	s_add_u32 s12, s0, s12
	s_addc_u32 s13, s1, s13
	s_load_dword s9, s[14:15], 0x0
	s_load_dword s16, s[12:13], 0x0
	s_waitcnt lgkmcnt(0)
	s_sub_i32 s9, s9, s16
	s_cmp_eq_u32 s9, 1
	s_cselect_b64 s[12:13], -1, 0
	s_andn2_b64 vcc, exec, s[10:11]
	s_cbranch_vccnz .LBB10_3
.LBB10_2:
	s_mov_b32 s7, 0
	s_mov_b64 s[12:13], -1
.LBB10_3:
	s_andn2_b64 vcc, exec, s[12:13]
	s_cbranch_vccnz .LBB10_20
; %bb.4:
	s_load_dwordx2 s[12:13], s[4:5], 0x28
	s_lshl_b64 s[10:11], s[6:7], 2
	s_waitcnt lgkmcnt(0)
	s_add_u32 s12, s12, s10
	s_addc_u32 s13, s13, s11
	s_load_dword s33, s[12:13], 0x0
	s_lshl_b32 s14, s28, 8
	s_waitcnt lgkmcnt(0)
	s_cmp_ge_i32 s14, s33
	s_cbranch_scc1 .LBB10_20
; %bb.5:
	s_add_i32 s15, s33, 15
	s_load_dwordx2 s[12:13], s[4:5], 0x20
	s_load_dword s9, s[4:5], 0x38
	s_ashr_i32 s16, s15, 31
	v_and_b32_e32 v1, 0xcf, v0
	s_lshr_b32 s16, s16, 28
	v_add_u32_e32 v1, s14, v1
	s_add_i32 s15, s15, s16
	v_ashrrev_i32_e32 v2, 31, v1
	s_ashr_i32 s17, s15, 4
	v_lshrrev_b32_e32 v4, 28, v2
	s_add_i32 s17, s17, -1
	v_add_u32_e32 v2, v1, v4
	s_waitcnt lgkmcnt(0)
	s_mul_i32 s18, s6, s9
	s_mov_b32 s19, 0
	v_ashrrev_i32_e32 v2, 4, v2
	v_mov_b32_e32 v5, s17
	v_cmp_gt_i32_e32 vcc, s33, v1
	s_lshl_b64 s[18:19], s[18:19], 2
	v_cndmask_b32_e32 v2, v5, v2, vcc
	s_add_u32 s15, s12, s18
	v_ashrrev_i32_e32 v3, 31, v2
	s_addc_u32 s16, s13, s19
	v_lshlrev_b64 v[2:3], 2, v[2:3]
	v_mov_b32_e32 v7, s16
	v_add_co_u32_e32 v6, vcc, s15, v2
	v_or_b32_e32 v2, 16, v1
	v_addc_co_u32_e32 v7, vcc, v7, v3, vcc
	v_add_u32_e32 v3, v2, v4
	v_ashrrev_i32_e32 v3, 4, v3
	v_cmp_gt_i32_e32 vcc, s33, v2
	v_cndmask_b32_e32 v2, v5, v3, vcc
	v_ashrrev_i32_e32 v3, 31, v2
	v_lshlrev_b64 v[2:3], 2, v[2:3]
	v_mov_b32_e32 v9, s16
	v_add_co_u32_e32 v8, vcc, s15, v2
	v_or_b32_e32 v2, 32, v1
	v_addc_co_u32_e32 v9, vcc, v9, v3, vcc
	v_add_u32_e32 v3, v2, v4
	v_ashrrev_i32_e32 v3, 4, v3
	v_cmp_gt_i32_e32 vcc, s33, v2
	v_cndmask_b32_e32 v2, v5, v3, vcc
	v_ashrrev_i32_e32 v3, 31, v2
	;; [unrolled: 10-line block ×3, first 2 shown]
	v_lshlrev_b64 v[2:3], 2, v[2:3]
	v_mov_b32_e32 v1, s16
	v_add_co_u32_e32 v12, vcc, s15, v2
	v_addc_co_u32_e32 v13, vcc, v1, v3, vcc
	global_load_dword v5, v[6:7], off
	global_load_dword v4, v[8:9], off
	;; [unrolled: 1-line block ×4, first 2 shown]
	s_load_dwordx2 s[12:13], s[4:5], 0x8
	s_andn2_b64 vcc, exec, s[2:3]
	s_cbranch_vccnz .LBB10_8
; %bb.6:
	s_add_u32 s0, s0, s10
	s_addc_u32 s1, s1, s11
	s_load_dword s9, s[0:1], 0x0
	s_branch .LBB10_9
.LBB10_7:
	s_mov_b64 s[12:13], 0
	s_branch .LBB10_2
.LBB10_8:
	s_mov_b32 s9, s6
.LBB10_9:
	s_load_dwordx2 s[2:3], s[4:5], 0x10
	s_load_dwordx4 s[44:47], s[4:5], 0x48
	v_lshrrev_b32_e32 v53, 6, v0
	v_bfe_u32 v1, v0, 4, 2
	v_lshl_or_b32 v6, v53, 2, v1
	v_and_b32_e32 v52, 15, v0
	v_lshlrev_b32_e32 v7, 3, v52
	v_cmp_gt_u32_e32 vcc, 11, v6
	v_cmp_gt_u32_e64 s[0:1], 8, v52
	s_mul_i32 s29, s8, 11
	s_and_b64 s[18:19], s[0:1], vcc
	v_lshlrev_b32_e32 v50, 1, v7
	s_and_saveexec_b64 s[10:11], s[18:19]
	s_cbranch_execz .LBB10_11
; %bb.10:
	s_load_dwordx2 s[18:19], s[4:5], 0x0
	s_waitcnt lgkmcnt(0)
	s_ashr_i32 s20, s44, 31
	s_mul_hi_u32 s21, s9, s44
	s_mul_i32 s20, s9, s20
	s_add_i32 s21, s21, s20
	s_mul_i32 s20, s9, s44
	s_lshl_b64 s[20:21], s[20:21], 1
	v_add_lshl_u32 v8, v6, s29, 6
	s_add_u32 s9, s18, s20
	v_ashrrev_i32_e32 v9, 31, v8
	s_addc_u32 s18, s19, s21
	v_lshlrev_b64 v[8:9], 1, v[8:9]
	v_mov_b32_e32 v7, s18
	v_add_co_u32_e32 v8, vcc, s9, v8
	v_addc_co_u32_e32 v7, vcc, v7, v9, vcc
	v_add_co_u32_e32 v8, vcc, v8, v50
	v_addc_co_u32_e32 v9, vcc, 0, v7, vcc
	global_load_dwordx4 v[8:11], v[8:9], off
	v_and_b32_e32 v7, 3, v0
	v_lshlrev_b32_e32 v12, 9, v52
	v_lshlrev_b32_e32 v6, 5, v6
	;; [unrolled: 1-line block ×3, first 2 shown]
	v_and_b32_e32 v12, 0x1800, v12
	v_or3_b32 v6, v12, v7, v6
	s_waitcnt vmcnt(0)
	ds_write_b128 v6, v[8:11]
.LBB10_11:
	s_or_b64 exec, exec, s[10:11]
	s_waitcnt lgkmcnt(0)
	s_mul_i32 s8, s8, s46
	s_mov_b32 s9, 0
	s_lshl_b64 s[8:9], s[8:9], 1
	s_add_u32 s10, s12, s8
	v_lshlrev_b32_e32 v51, 4, v0
	s_addc_u32 s11, s13, s9
	v_and_b32_e32 v6, 0xf0, v51
	v_mov_b32_e32 v7, s11
	v_add_co_u32_e32 v18, vcc, s10, v6
	v_addc_co_u32_e32 v19, vcc, 0, v7, vcc
	s_waitcnt vmcnt(3)
	v_mad_i64_i32 v[6:7], s[10:11], v5, s45, 0
	v_lshlrev_b64 v[6:7], 1, v[6:7]
	v_add_co_u32_e32 v5, vcc, v18, v6
	v_addc_co_u32_e32 v7, vcc, v19, v7, vcc
	v_and_b32_e32 v20, 0x300, v51
	v_add_co_u32_e32 v6, vcc, v5, v20
	s_waitcnt vmcnt(2)
	v_mad_i64_i32 v[4:5], s[10:11], v4, s45, 0
	v_addc_co_u32_e32 v7, vcc, 0, v7, vcc
	v_lshlrev_b64 v[4:5], 1, v[4:5]
	v_add_co_u32_e32 v4, vcc, v18, v4
	v_addc_co_u32_e32 v5, vcc, v19, v5, vcc
	v_add_co_u32_e32 v4, vcc, v4, v20
	v_addc_co_u32_e32 v5, vcc, 0, v5, vcc
	s_barrier
	global_load_dwordx4 v[38:41], v[6:7], off
	global_load_dwordx4 v[34:37], v[6:7], off offset:1024
	global_load_dwordx4 v[30:33], v[4:5], off
	global_load_dwordx4 v[14:17], v[4:5], off offset:1024
	s_waitcnt vmcnt(5)
	v_mad_i64_i32 v[4:5], s[10:11], v3, s45, 0
	v_lshlrev_b64 v[4:5], 1, v[4:5]
	v_add_co_u32_e32 v3, vcc, v18, v4
	v_addc_co_u32_e32 v5, vcc, v19, v5, vcc
	v_add_co_u32_e32 v4, vcc, v3, v20
	s_waitcnt vmcnt(4)
	v_mad_i64_i32 v[2:3], s[10:11], v2, s45, 0
	v_addc_co_u32_e32 v5, vcc, 0, v5, vcc
	v_lshlrev_b64 v[2:3], 1, v[2:3]
	v_add_co_u32_e32 v2, vcc, v18, v2
	v_addc_co_u32_e32 v3, vcc, v19, v3, vcc
	v_add_co_u32_e32 v22, vcc, v2, v20
	v_addc_co_u32_e32 v23, vcc, 0, v3, vcc
	global_load_dwordx4 v[10:13], v[4:5], off
	global_load_dwordx4 v[6:9], v[4:5], off offset:1024
	s_nop 0
	global_load_dwordx4 v[2:5], v[22:23], off
	global_load_dwordx4 v[18:21], v[22:23], off offset:1024
	v_add_u32_e32 v22, -11, v52
	v_cmp_gt_u32_e32 vcc, 11, v52
	v_cndmask_b32_e32 v22, v22, v52, vcc
	v_lshlrev_b32_e32 v22, 5, v22
	v_lshl_add_u32 v22, v1, 9, v22
	ds_read_b128 v[26:29], v22
	ds_read_b128 v[22:25], v22 offset:2048
	v_and_b32_e32 v54, 63, v0
	v_mov_b32_e32 v48, 0
	s_and_saveexec_b64 s[10:11], vcc
	s_cbranch_execz .LBB10_13
; %bb.12:
	s_load_dwordx2 s[12:13], s[4:5], 0x40
	v_add_u32_e32 v42, s29, v52
	v_ashrrev_i32_e32 v43, 31, v42
	v_lshlrev_b64 v[42:43], 2, v[42:43]
	s_waitcnt lgkmcnt(0)
	v_mov_b32_e32 v44, s13
	v_add_co_u32_e32 v42, vcc, s12, v42
	v_addc_co_u32_e32 v43, vcc, v44, v43, vcc
	global_load_dword v48, v[42:43], off
.LBB10_13:
	s_or_b64 exec, exec, s[10:11]
	s_waitcnt vmcnt(7) lgkmcnt(1)
	v_mfma_f32_16x16x16f16 v[42:45], v[38:39], v[26:27], 0
	s_add_u32 s2, s2, s8
	v_lshlrev_b32_e32 v55, 5, v52
	s_addc_u32 s3, s3, s9
	s_load_dword s10, s[4:5], 0x1c
	s_mov_b32 s42, 0xff7fffff
	v_mfma_f32_16x16x16f16 v[38:41], v[40:41], v[28:29], v[42:45]
	s_waitcnt vmcnt(6) lgkmcnt(0)
	v_mfma_f32_16x16x16f16 v[38:41], v[34:35], v[22:23], v[38:41]
	s_nop 4
	v_and_or_b32 v44, v0, 48, s14
	v_mov_b32_e32 v45, s17
	v_cmp_gt_i32_e32 vcc, s33, v44
	v_mfma_f32_16x16x16f16 v[34:37], v[36:37], v[24:25], v[38:41]
	s_nop 6
	v_ashrrev_i32_e32 v38, 4, v44
	v_cndmask_b32_e32 v42, v45, v38, vcc
	v_ashrrev_i32_e32 v43, 31, v42
	s_waitcnt vmcnt(5)
	v_mfma_f32_16x16x16f16 v[38:41], v[30:31], v[26:27], 0
	v_lshlrev_b64 v[30:31], 2, v[42:43]
	v_mov_b32_e32 v42, s16
	v_add_co_u32_e32 v30, vcc, s15, v30
	v_addc_co_u32_e32 v31, vcc, v42, v31, vcc
	global_load_dword v42, v[30:31], off
	v_mfma_f32_16x16x16f16 v[30:33], v[32:33], v[28:29], v[38:41]
	v_pk_mul_f32 v[46:47], s[10:11], v[36:37] op_sel_hi:[0,1]
	s_nop 5
	v_or_b32_e32 v38, 64, v44
	v_ashrrev_i32_e32 v39, 4, v38
	v_cmp_gt_i32_e32 vcc, s33, v38
	v_cndmask_b32_e32 v38, v45, v39, vcc
	v_ashrrev_i32_e32 v39, 31, v38
	v_lshlrev_b64 v[38:39], 2, v[38:39]
	s_waitcnt vmcnt(5)
	v_mfma_f32_16x16x16f16 v[30:33], v[14:15], v[22:23], v[30:33]
	v_mov_b32_e32 v40, s16
	v_add_co_u32_e32 v14, vcc, s15, v38
	v_addc_co_u32_e32 v15, vcc, v40, v39, vcc
	global_load_dword v40, v[14:15], off
	v_or_b32_e32 v14, 0x80, v44
	v_ashrrev_i32_e32 v15, 4, v14
	v_cmp_gt_i32_e32 vcc, s33, v14
	v_cndmask_b32_e32 v14, v45, v15, vcc
	v_ashrrev_i32_e32 v15, 31, v14
	v_lshlrev_b64 v[14:15], 2, v[14:15]
	v_mfma_f32_16x16x16f16 v[30:33], v[16:17], v[24:25], v[30:33]
	v_mov_b32_e32 v16, s16
	v_add_co_u32_e32 v38, vcc, s15, v14
	v_addc_co_u32_e32 v39, vcc, v16, v15, vcc
	global_load_dword v38, v[38:39], off
	s_waitcnt vmcnt(6)
	v_mfma_f32_16x16x16f16 v[14:17], v[10:11], v[26:27], 0
	v_mfma_f32_16x16x16f16 v[10:13], v[12:13], v[28:29], v[14:17]
	s_nop 7
	s_nop 1
	v_or_b32_e32 v14, 0xc0, v44
	v_ashrrev_i32_e32 v15, 4, v14
	v_cmp_gt_i32_e32 vcc, s33, v14
	v_cndmask_b32_e32 v14, v45, v15, vcc
	s_waitcnt vmcnt(5)
	v_mfma_f32_16x16x16f16 v[10:13], v[6:7], v[22:23], v[10:13]
	v_ashrrev_i32_e32 v15, 31, v14
	v_lshlrev_b64 v[14:15], 2, v[14:15]
	v_mov_b32_e32 v16, s16
	v_add_co_u32_e32 v6, vcc, s15, v14
	v_addc_co_u32_e32 v7, vcc, v16, v15, vcc
	global_load_dword v49, v[6:7], off
	v_lshl_or_b32 v6, v53, 9, v55
	v_mov_b32_e32 v7, s3
	v_add_co_u32_e32 v60, vcc, s2, v6
	v_addc_co_u32_e32 v61, vcc, 0, v7, vcc
	v_mfma_f32_16x16x16f16 v[56:59], v[8:9], v[24:25], v[10:13]
	v_pk_mul_f32 v[44:45], s[10:11], v[30:31] op_sel_hi:[0,1]
	s_waitcnt vmcnt(3)
	v_mad_i64_i32 v[6:7], s[2:3], v42, s45, 0
	s_nop 3
	v_lshlrev_b64 v[10:11], 1, v[6:7]
	v_mfma_f32_16x16x16f16 v[6:9], v[2:3], v[26:27], 0
	v_add_co_u32_e32 v2, vcc, v60, v10
	v_addc_co_u32_e32 v3, vcc, v61, v11, vcc
	global_load_dwordx4 v[14:17], v[2:3], off
	global_load_dwordx4 v[10:13], v[2:3], off offset:16
	v_pk_mul_f32 v[42:43], s[10:11], v[32:33] op_sel_hi:[0,1]
	s_waitcnt vmcnt(4)
	v_mad_i64_i32 v[2:3], s[2:3], v40, s45, 0
	v_mfma_f32_16x16x16f16 v[26:29], v[4:5], v[28:29], v[6:9]
	v_lshlrev_b64 v[2:3], 1, v[2:3]
	v_add_co_u32_e32 v2, vcc, v60, v2
	v_addc_co_u32_e32 v3, vcc, v61, v3, vcc
	v_pk_mul_f32 v[40:41], s[10:11], v[56:57] op_sel_hi:[0,1]
	s_nop 2
	global_load_dwordx4 v[6:9], v[2:3], off
	s_nop 0
	global_load_dwordx4 v[2:5], v[2:3], off offset:16
	v_mfma_f32_16x16x16f16 v[26:29], v[18:19], v[22:23], v[26:29]
	v_pk_mul_f32 v[18:19], s[10:11], v[34:35] op_sel_hi:[0,1]
	s_waitcnt vmcnt(5)
	v_mad_i64_i32 v[38:39], s[2:3], v38, s45, 0
	v_lshlrev_b64 v[38:39], 1, v[38:39]
	v_add_co_u32_e32 v22, vcc, v60, v38
	v_mfma_f32_16x16x16f16 v[24:27], v[20:21], v[24:25], v[26:29]
	v_and_b32_e32 v20, 0xc0, v0
	v_add_u32_e32 v20, s14, v20
	v_lshl_or_b32 v20, v1, 2, v20
	v_or_b32_e32 v21, 1, v20
	v_addc_co_u32_e32 v23, vcc, v61, v39, vcc
	v_pk_mul_f32 v[38:39], s[10:11], v[58:59] op_sel_hi:[0,1]
	s_nop 4
	v_pk_mul_f32 v[36:37], s[10:11], v[24:25] op_sel_hi:[0,1]
	v_subrev_u32_e32 v24, s33, v21
	v_pk_mul_f32 v[34:35], s[10:11], v[26:27] op_sel_hi:[0,1]
	v_add_u32_e32 v26, 1, v24
	v_add_u32_e32 v27, 2, v24
	v_cvt_f32_i32_e32 v25, v24
	v_cvt_f32_i32_e32 v26, v26
	;; [unrolled: 1-line block ×3, first 2 shown]
	v_add_u32_e32 v28, 3, v24
	v_fma_f32 v18, v48, v25, v18
	v_fmac_f32_e32 v19, v48, v26
	v_fma_f32 v46, v48, v27, v46
	v_add_u32_e32 v25, 16, v24
	v_add_u32_e32 v26, 17, v24
	;; [unrolled: 1-line block ×3, first 2 shown]
	v_cvt_f32_i32_e32 v28, v28
	v_cvt_f32_i32_e32 v25, v25
	;; [unrolled: 1-line block ×4, first 2 shown]
	v_fmac_f32_e32 v47, v48, v28
	v_add_u32_e32 v28, 19, v24
	v_fma_f32 v44, v48, v25, v44
	v_fmac_f32_e32 v45, v48, v26
	v_fma_f32 v42, v48, v27, v42
	v_add_u32_e32 v25, 32, v24
	v_add_u32_e32 v26, 33, v24
	v_add_u32_e32 v27, 34, v24
	v_cvt_f32_i32_e32 v28, v28
	v_cvt_f32_i32_e32 v25, v25
	;; [unrolled: 1-line block ×4, first 2 shown]
	v_fmac_f32_e32 v43, v48, v28
	v_add_u32_e32 v28, 35, v24
	v_fma_f32 v40, v48, v25, v40
	v_fmac_f32_e32 v41, v48, v26
	v_fma_f32 v38, v48, v27, v38
	v_add_u32_e32 v25, 48, v24
	v_add_u32_e32 v26, 49, v24
	;; [unrolled: 1-line block ×4, first 2 shown]
	v_cvt_f32_i32_e32 v24, v24
	v_cvt_f32_i32_e32 v25, v25
	;; [unrolled: 1-line block ×3, first 2 shown]
	v_cmp_gt_i32_e64 s[30:31], s33, v20
	v_fmac_f32_e32 v35, v48, v24
	v_mov_b32_e32 v24, 0xff7fffff
	v_cmp_gt_i32_e64 s[34:35], s33, v21
	v_fma_f32 v36, v48, v25, v36
	v_cndmask_b32_e64 v25, v24, v18, s[30:31]
	v_cndmask_b32_e64 v21, v24, v19, s[34:35]
	v_fmac_f32_e32 v37, v48, v26
	v_max3_f32 v21, v25, s42, v21
	v_or_b32_e32 v25, 2, v20
	v_or_b32_e32 v26, 3, v20
	v_cmp_gt_i32_e64 s[36:37], s33, v25
	v_cmp_gt_i32_e64 s[38:39], s33, v26
	v_cndmask_b32_e64 v25, v24, v46, s[36:37]
	v_cndmask_b32_e64 v26, v24, v47, s[38:39]
	v_max3_f32 v21, v21, v25, v26
	v_or_b32_e32 v25, 16, v20
	v_or_b32_e32 v26, 17, v20
	v_cmp_gt_i32_e64 s[24:25], s33, v25
	v_cmp_gt_i32_e64 s[26:27], s33, v26
	v_cndmask_b32_e64 v25, v24, v44, s[24:25]
	v_cndmask_b32_e64 v26, v24, v45, s[26:27]
	;; [unrolled: 7-line block ×3, first 2 shown]
	v_cvt_f32_i32_e32 v28, v28
	v_max3_f32 v21, v21, v25, v26
	v_or_b32_e32 v25, 32, v20
	v_or_b32_e32 v26, 33, v20
	v_cmp_gt_i32_e64 s[16:17], s33, v25
	v_cmp_gt_i32_e64 s[18:19], s33, v26
	v_cndmask_b32_e64 v25, v24, v40, s[16:17]
	v_cndmask_b32_e64 v26, v24, v41, s[18:19]
	v_max3_f32 v21, v21, v25, v26
	v_or_b32_e32 v25, 34, v20
	v_or_b32_e32 v26, 35, v20
	v_fmac_f32_e32 v39, v48, v28
	v_cmp_gt_i32_e64 s[12:13], s33, v25
	v_cmp_gt_i32_e64 s[14:15], s33, v26
	v_cndmask_b32_e64 v25, v24, v38, s[12:13]
	v_cndmask_b32_e64 v26, v24, v39, s[14:15]
	v_cvt_f32_i32_e32 v27, v27
	v_max3_f32 v21, v21, v25, v26
	v_or_b32_e32 v25, 48, v20
	v_or_b32_e32 v26, 49, v20
	v_cmp_gt_i32_e64 s[8:9], s33, v25
	v_cmp_gt_i32_e64 s[10:11], s33, v26
	v_cndmask_b32_e64 v25, v24, v36, s[8:9]
	v_cndmask_b32_e64 v26, v24, v37, s[10:11]
	v_max3_f32 v21, v21, v25, v26
	v_or_b32_e32 v25, 50, v20
	v_or_b32_e32 v20, 51, v20
	v_fma_f32 v34, v48, v27, v34
	v_cmp_gt_i32_e32 vcc, s33, v25
	v_cmp_gt_i32_e64 s[2:3], s33, v20
	v_cndmask_b32_e32 v25, v24, v34, vcc
	v_cndmask_b32_e64 v20, v24, v35, s[2:3]
	v_max3_f32 v26, v21, v25, v20
	v_mbcnt_lo_u32_b32 v20, -1, 0
	v_mbcnt_hi_u32_b32 v27, -1, v20
	v_and_b32_e32 v20, 64, v27
	v_add_u32_e32 v28, 64, v20
	v_xor_b32_e32 v20, 32, v27
	v_cmp_lt_i32_e64 s[40:41], v20, v28
	v_cndmask_b32_e64 v20, v27, v20, s[40:41]
	v_lshlrev_b32_e32 v57, 2, v20
	ds_bpermute_b32 v29, v57, v26
	s_waitcnt vmcnt(4)
	v_mad_i64_i32 v[20:21], s[40:41], v49, s45, 0
	v_lshlrev_b64 v[20:21], 1, v[20:21]
	global_load_dwordx4 v[30:33], v[22:23], off
	s_nop 0
	global_load_dwordx4 v[22:25], v[22:23], off offset:16
	s_waitcnt lgkmcnt(0)
	v_max_f32_e32 v29, v29, v29
	v_max_f32_e32 v26, v26, v29
	v_xor_b32_e32 v29, 16, v27
	v_cmp_lt_i32_e64 s[40:41], v29, v28
	v_cndmask_b32_e64 v27, v27, v29, s[40:41]
	v_lshlrev_b32_e32 v59, 2, v27
	ds_bpermute_b32 v27, v59, v26
	v_add_co_u32_e64 v20, s[40:41], v60, v20
	v_addc_co_u32_e64 v21, s[40:41], v61, v21, s[40:41]
	s_waitcnt lgkmcnt(0)
	v_max_f32_e32 v27, v27, v27
	v_max_f32_e32 v56, v26, v27
	v_sub_f32_e32 v18, v18, v56
	v_mul_f32_e32 v18, 0x3fb8aa3b, v18
	v_exp_f32_e32 v48, v18
	v_sub_f32_e32 v18, v19, v56
	v_mul_f32_e32 v18, 0x3fb8aa3b, v18
	v_exp_f32_e32 v49, v18
	global_load_dwordx4 v[26:29], v[20:21], off
	s_nop 0
	global_load_dwordx4 v[18:21], v[20:21], off offset:16
	v_sub_f32_e32 v46, v46, v56
	v_mul_f32_e32 v46, 0x3fb8aa3b, v46
	v_sub_f32_e32 v47, v47, v56
	v_exp_f32_e32 v46, v46
	v_mul_f32_e32 v47, 0x3fb8aa3b, v47
	v_sub_f32_e32 v44, v44, v56
	v_exp_f32_e32 v47, v47
	v_mul_f32_e32 v44, 0x3fb8aa3b, v44
	v_sub_f32_e32 v45, v45, v56
	v_cndmask_b32_e64 v48, 0, v48, s[30:31]
	v_exp_f32_e32 v44, v44
	v_mul_f32_e32 v45, 0x3fb8aa3b, v45
	v_sub_f32_e32 v42, v42, v56
	v_add_f32_e32 v58, 0, v48
	v_cndmask_b32_e64 v49, 0, v49, s[34:35]
	v_exp_f32_e32 v45, v45
	v_mul_f32_e32 v42, 0x3fb8aa3b, v42
	v_sub_f32_e32 v43, v43, v56
	v_add_f32_e32 v58, v58, v49
	;; [unrolled: 5-line block ×10, first 2 shown]
	v_cndmask_b32_e64 v38, 0, v38, s[12:13]
	v_exp_f32_e32 v34, v34
	v_mul_f32_e32 v35, 0x3fb8aa3b, v35
	v_add_f32_e32 v58, v58, v38
	v_cndmask_b32_e64 v39, 0, v39, s[14:15]
	v_exp_f32_e32 v35, v35
	v_add_f32_e32 v58, v58, v39
	v_cndmask_b32_e64 v36, 0, v36, s[8:9]
	v_add_f32_e32 v58, v58, v36
	v_cndmask_b32_e64 v37, 0, v37, s[10:11]
	v_add_f32_e32 v58, v58, v37
	v_cndmask_b32_e32 v34, 0, v34, vcc
	v_add_f32_e32 v58, v58, v34
	v_cndmask_b32_e64 v35, 0, v35, s[2:3]
	v_add_f32_e32 v58, v58, v35
	ds_bpermute_b32 v57, v57, v58
	s_load_dword s9, s[4:5], 0x98
	v_cmp_gt_u32_e32 vcc, 16, v54
	s_waitcnt lgkmcnt(0)
	s_barrier
	v_add_f32_e32 v58, v58, v57
	ds_bpermute_b32 v59, v59, v58
	v_lshlrev_b32_e32 v57, 2, v52
	s_waitcnt lgkmcnt(0)
	s_and_saveexec_b64 s[2:3], vcc
	s_cbranch_execz .LBB10_15
; %bb.14:
	v_add_f32_e32 v54, v58, v59
	v_lshl_or_b32 v58, v53, 6, v57
	ds_write2st64_b32 v58, v56, v54 offset1:1
.LBB10_15:
	s_or_b64 exec, exec, s[2:3]
	s_load_dword s8, s[4:5], 0x94
	s_waitcnt lgkmcnt(0)
	s_barrier
	ds_read2_b32 v[58:59], v57 offset1:16
	ds_read2_b32 v[60:61], v57 offset0:32 offset1:48
	ds_read2_b32 v[62:63], v57 offset0:64 offset1:80
	s_mul_i32 s9, s9, 11
	s_waitcnt lgkmcnt(2)
	v_max3_f32 v54, v58, s42, v59
	s_waitcnt lgkmcnt(1)
	v_max3_f32 v54, v54, v60, v61
	v_sub_f32_e32 v56, v58, v54
	v_mul_f32_e32 v56, 0x3fb8aa3b, v56
	v_exp_f32_e32 v64, v56
	v_sub_f32_e32 v56, v59, v54
	v_mul_f32_e32 v56, 0x3fb8aa3b, v56
	v_exp_f32_e32 v65, v56
	;; [unrolled: 3-line block ×3, first 2 shown]
	ds_read2_b32 v[58:59], v57 offset0:96 offset1:112
	v_sub_f32_e32 v56, v61, v54
	v_mul_f32_e32 v56, 0x3fb8aa3b, v56
	v_exp_f32_e32 v57, v56
	s_waitcnt lgkmcnt(1)
	v_fma_f32 v56, v64, v62, 0
	v_fmac_f32_e32 v56, v65, v63
	s_waitcnt lgkmcnt(0)
	v_fmac_f32_e32 v56, v60, v58
	v_fmac_f32_e32 v56, v57, v59
	v_add_f32_e32 v58, 0x358637bd, v56
	v_div_scale_f32 v59, s[2:3], v58, v58, 1.0
	v_rcp_f32_e32 v61, v59
	s_barrier
	v_fma_f32 v62, -v59, v61, 1.0
	v_fmac_f32_e32 v61, v62, v61
	v_div_scale_f32 v62, vcc, 1.0, v58, 1.0
	v_mul_f32_e32 v63, v62, v61
	v_fma_f32 v66, -v59, v63, v62
	v_fmac_f32_e32 v63, v66, v61
	v_fma_f32 v59, -v59, v63, v62
	v_div_fmas_f32 v59, v59, v61, v63
	v_cmp_eq_u32_e32 vcc, 1, v53
	v_div_fixup_f32 v58, v59, v58, 1.0
	v_cndmask_b32_e32 v59, v64, v65, vcc
	v_cmp_eq_u32_e32 vcc, 2, v53
	v_cndmask_b32_e32 v59, v59, v60, vcc
	v_cmp_eq_u32_e32 vcc, 3, v53
	v_cndmask_b32_e32 v57, v59, v57, vcc
	v_mul_f32_e32 v58, v57, v58
	v_pk_mul_f32 v[48:49], v[58:59], v[48:49] op_sel_hi:[0,1]
	v_cvt_f16_f32_e32 v48, v48
	v_cvt_f16_f32_e32 v49, v49
	v_pk_mul_f32 v[46:47], v[58:59], v[46:47] op_sel_hi:[0,1]
	v_pk_mul_f32 v[42:43], v[58:59], v[42:43] op_sel_hi:[0,1]
	;; [unrolled: 1-line block ×3, first 2 shown]
	v_cvt_f16_f32_e32 v57, v46
	v_cvt_f16_f32_e32 v47, v47
	v_pack_b32_f16 v46, v48, v49
	v_cvt_f16_f32_e32 v44, v44
	v_cvt_f16_f32_e32 v45, v45
	v_cvt_f16_f32_e32 v49, v42
	v_cvt_f16_f32_e32 v43, v43
	v_lshlrev_b32_e32 v48, 3, v1
	v_lshlrev_b32_e32 v42, 11, v53
	v_pack_b32_f16 v47, v57, v47
	v_or3_b32 v42, v42, v55, v48
	v_pack_b32_f16 v44, v44, v45
	v_pack_b32_f16 v45, v49, v43
	v_pk_mul_f32 v[38:39], v[58:59], v[38:39] op_sel_hi:[0,1]
	v_pk_mul_f32 v[40:41], v[58:59], v[40:41] op_sel_hi:[0,1]
	;; [unrolled: 1-line block ×4, first 2 shown]
	ds_write2st64_b64 v42, v[46:47], v[44:45] offset1:1
	v_cvt_f16_f32_e32 v40, v40
	v_cvt_f16_f32_e32 v41, v41
	;; [unrolled: 1-line block ×8, first 2 shown]
	v_pack_b32_f16 v34, v40, v41
	v_pack_b32_f16 v35, v38, v39
	;; [unrolled: 1-line block ×4, first 2 shown]
	v_cmp_gt_u32_e32 vcc, 11, v0
	ds_write2st64_b64 v42, v[34:35], v[36:37] offset0:2 offset1:3
	s_and_saveexec_b64 s[2:3], vcc
	s_cbranch_execz .LBB10_17
; %bb.16:
	v_add_co_u32_e32 v36, vcc, s29, v52
	v_addc_co_u32_e64 v37, s[10:11], 0, 0, vcc
	v_mov_b32_e32 v34, s9
	v_mov_b32_e32 v35, 0
	v_mad_u64_u32 v[36:37], s[10:11], s6, v34, v[36:37]
	v_mov_b32_e32 v34, s28
	s_load_dwordx4 s[12:15], s[4:5], 0x58
	s_mul_i32 s7, s7, s9
	v_mad_u64_u32 v[34:35], s[10:11], v36, s8, v[34:35]
	v_add_u32_e32 v37, s7, v37
	v_mov_b32_e32 v36, v35
	v_mad_u64_u32 v[36:37], s[10:11], v37, s8, v[36:37]
	v_mov_b32_e32 v35, v36
	v_lshlrev_b64 v[34:35], 2, v[34:35]
	s_waitcnt lgkmcnt(0)
	v_mov_b32_e32 v37, s15
	v_add_co_u32_e32 v36, vcc, s14, v34
	v_addc_co_u32_e32 v37, vcc, v37, v35, vcc
	global_store_dword v[36:37], v54, off
	v_mov_b32_e32 v36, s13
	v_add_co_u32_e32 v34, vcc, s12, v34
	v_addc_co_u32_e32 v35, vcc, v36, v35, vcc
	global_store_dword v[34:35], v56, off
.LBB10_17:
	s_or_b64 exec, exec, s[2:3]
	v_lshl_or_b32 v43, v1, 9, v55
	s_waitcnt lgkmcnt(0)
	s_barrier
	ds_read_b128 v[34:37], v43
	ds_read_b128 v[38:41], v43 offset:16
	s_waitcnt vmcnt(7) lgkmcnt(1)
	v_mfma_f32_16x16x16f16 v[44:47], v[14:15], v[34:35], 0
	v_cmp_gt_u32_e32 vcc, 64, v0
	s_mov_b32 s3, 0
	s_and_b64 s[0:1], vcc, s[0:1]
	v_mfma_f32_16x16x16f16 v[14:17], v[16:17], v[36:37], v[44:47]
	s_waitcnt vmcnt(6) lgkmcnt(0)
	v_mfma_f32_16x16x16f16 v[14:17], v[10:11], v[38:39], v[14:17]
	v_mfma_f32_16x16x16f16 v[10:13], v[12:13], v[40:41], v[14:17]
	s_nop 7
	s_nop 1
	ds_read_b128 v[14:17], v43 offset:2048
	ds_read_b128 v[34:37], v43 offset:2064
	s_waitcnt vmcnt(5) lgkmcnt(1)
	v_mfma_f32_16x16x16f16 v[10:13], v[6:7], v[14:15], v[10:13]
	v_mfma_f32_16x16x16f16 v[6:9], v[8:9], v[16:17], v[10:13]
	s_waitcnt vmcnt(4) lgkmcnt(0)
	v_mfma_f32_16x16x16f16 v[6:9], v[2:3], v[34:35], v[6:9]
	v_mfma_f32_16x16x16f16 v[2:5], v[4:5], v[36:37], v[6:9]
	s_nop 7
	s_nop 1
	ds_read_b128 v[6:9], v43 offset:4096
	ds_read_b128 v[10:13], v43 offset:4112
	s_waitcnt vmcnt(3) lgkmcnt(1)
	v_mfma_f32_16x16x16f16 v[2:5], v[30:31], v[6:7], v[2:5]
	v_mfma_f32_16x16x16f16 v[2:5], v[32:33], v[8:9], v[2:5]
	s_waitcnt vmcnt(2) lgkmcnt(0)
	v_mfma_f32_16x16x16f16 v[2:5], v[22:23], v[10:11], v[2:5]
	v_mfma_f32_16x16x16f16 v[2:5], v[24:25], v[12:13], v[2:5]
	ds_read_b128 v[6:9], v43 offset:6144
	ds_read_b128 v[10:13], v43 offset:6160
	s_waitcnt lgkmcnt(0)
	s_barrier
	s_waitcnt vmcnt(1)
	v_mfma_f32_16x16x16f16 v[2:5], v[26:27], v[6:7], v[2:5]
	v_mfma_f32_16x16x16f16 v[2:5], v[28:29], v[8:9], v[2:5]
	s_waitcnt vmcnt(0)
	v_mfma_f32_16x16x16f16 v[2:5], v[18:19], v[10:11], v[2:5]
	v_mfma_f32_16x16x16f16 v[2:5], v[20:21], v[12:13], v[2:5]
	s_nop 7
	s_nop 2
	v_cvt_f16_f32_e32 v2, v2
	v_cvt_f16_f32_e32 v3, v3
	;; [unrolled: 1-line block ×4, first 2 shown]
	v_pack_b32_f16 v2, v2, v3
	v_pack_b32_f16 v3, v4, v5
	ds_write_b64 v42, v[2:3]
	s_waitcnt lgkmcnt(0)
	s_barrier
	s_and_saveexec_b64 s[10:11], s[0:1]
	s_cbranch_execz .LBB10_20
; %bb.18:
	s_load_dwordx2 s[4:5], s[4:5], 0x68
	s_lshl_b32 s0, s8, 6
	s_mul_i32 s1, s9, s6
	s_mul_hi_u32 s7, s1, s0
	s_mul_i32 s6, s1, s0
	s_lshl_b64 s[6:7], s[6:7], 1
	s_waitcnt lgkmcnt(0)
	s_add_u32 s1, s4, s6
	v_lshlrev_b32_e32 v0, 10, v0
	s_addc_u32 s4, s5, s7
	s_lshl_b32 s2, s28, 6
	v_and_b32_e32 v0, 0x1800, v0
	v_lshlrev_b32_e32 v2, 5, v1
	v_and_b32_e32 v3, 16, v51
	s_lshl_b64 s[2:3], s[2:3], 1
	v_or3_b32 v0, v0, v2, v3
	s_add_u32 s1, s1, s2
	s_addc_u32 s2, s4, s3
	ds_read_b128 v[4:7], v0 offset:128
	ds_read_b128 v[8:11], v0
	v_add_u32_e32 v14, s29, v1
	v_mov_b32_e32 v3, s2
	v_add_co_u32_e32 v2, vcc, s1, v50
	v_mad_u64_u32 v[12:13], s[2:3], v14, s0, 0
	v_addc_co_u32_e32 v3, vcc, 0, v3, vcc
	v_lshlrev_b64 v[12:13], 1, v[12:13]
	v_add_co_u32_e32 v12, vcc, v2, v12
	v_addc_co_u32_e32 v13, vcc, v3, v13, vcc
	s_waitcnt lgkmcnt(0)
	global_store_dwordx4 v[12:13], v[8:11], off
	s_nop 0
	v_add_u32_e32 v8, 4, v14
	v_mad_u64_u32 v[8:9], s[2:3], v8, s0, 0
	v_lshlrev_b64 v[8:9], 1, v[8:9]
	v_add_co_u32_e32 v8, vcc, v2, v8
	v_addc_co_u32_e32 v9, vcc, v3, v9, vcc
	v_cmp_ne_u32_e32 vcc, 3, v1
	global_store_dwordx4 v[8:9], v[4:7], off
	s_and_b64 exec, exec, vcc
	s_cbranch_execz .LBB10_20
; %bb.19:
	ds_read_b128 v[4:7], v0 offset:256
	v_add3_u32 v0, s29, v1, 8
	v_mad_u64_u32 v[0:1], s[0:1], v0, s0, 0
	v_lshlrev_b64 v[0:1], 1, v[0:1]
	v_add_co_u32_e32 v0, vcc, v2, v0
	v_addc_co_u32_e32 v1, vcc, v3, v1, vcc
	s_waitcnt lgkmcnt(0)
	global_store_dwordx4 v[0:1], v[4:7], off
.LBB10_20:
	s_endpgm
	.section	.rodata,"a",@progbits
	.p2align	6, 0x0
	.amdhsa_kernel _Z39paged_attention_ll4mi_QKV_mfma16_kernelIDF16_DF16_LN4vllm18Fp8KVCacheDataTypeE0EDF16_Li16ELi64ELi256ELb1ELi11EL8MFMAType0EEvPKT_PKT0_S8_ifPKiSA_SA_iPKfiiiPfSD_PS3_PT2_iSC_SC_
		.amdhsa_group_segment_fixed_size 8192
		.amdhsa_private_segment_fixed_size 0
		.amdhsa_kernarg_size 400
		.amdhsa_user_sgpr_count 6
		.amdhsa_user_sgpr_private_segment_buffer 1
		.amdhsa_user_sgpr_dispatch_ptr 0
		.amdhsa_user_sgpr_queue_ptr 0
		.amdhsa_user_sgpr_kernarg_segment_ptr 1
		.amdhsa_user_sgpr_dispatch_id 0
		.amdhsa_user_sgpr_flat_scratch_init 0
		.amdhsa_user_sgpr_kernarg_preload_length 0
		.amdhsa_user_sgpr_kernarg_preload_offset 0
		.amdhsa_user_sgpr_private_segment_size 0
		.amdhsa_uses_dynamic_stack 0
		.amdhsa_system_sgpr_private_segment_wavefront_offset 0
		.amdhsa_system_sgpr_workgroup_id_x 1
		.amdhsa_system_sgpr_workgroup_id_y 1
		.amdhsa_system_sgpr_workgroup_id_z 1
		.amdhsa_system_sgpr_workgroup_info 0
		.amdhsa_system_vgpr_workitem_id 0
		.amdhsa_next_free_vgpr 67
		.amdhsa_next_free_sgpr 48
		.amdhsa_accum_offset 68
		.amdhsa_reserve_vcc 1
		.amdhsa_reserve_flat_scratch 0
		.amdhsa_float_round_mode_32 0
		.amdhsa_float_round_mode_16_64 0
		.amdhsa_float_denorm_mode_32 3
		.amdhsa_float_denorm_mode_16_64 3
		.amdhsa_dx10_clamp 1
		.amdhsa_ieee_mode 1
		.amdhsa_fp16_overflow 0
		.amdhsa_tg_split 0
		.amdhsa_exception_fp_ieee_invalid_op 0
		.amdhsa_exception_fp_denorm_src 0
		.amdhsa_exception_fp_ieee_div_zero 0
		.amdhsa_exception_fp_ieee_overflow 0
		.amdhsa_exception_fp_ieee_underflow 0
		.amdhsa_exception_fp_ieee_inexact 0
		.amdhsa_exception_int_div_zero 0
	.end_amdhsa_kernel
	.section	.text._Z39paged_attention_ll4mi_QKV_mfma16_kernelIDF16_DF16_LN4vllm18Fp8KVCacheDataTypeE0EDF16_Li16ELi64ELi256ELb1ELi11EL8MFMAType0EEvPKT_PKT0_S8_ifPKiSA_SA_iPKfiiiPfSD_PS3_PT2_iSC_SC_,"axG",@progbits,_Z39paged_attention_ll4mi_QKV_mfma16_kernelIDF16_DF16_LN4vllm18Fp8KVCacheDataTypeE0EDF16_Li16ELi64ELi256ELb1ELi11EL8MFMAType0EEvPKT_PKT0_S8_ifPKiSA_SA_iPKfiiiPfSD_PS3_PT2_iSC_SC_,comdat
.Lfunc_end10:
	.size	_Z39paged_attention_ll4mi_QKV_mfma16_kernelIDF16_DF16_LN4vllm18Fp8KVCacheDataTypeE0EDF16_Li16ELi64ELi256ELb1ELi11EL8MFMAType0EEvPKT_PKT0_S8_ifPKiSA_SA_iPKfiiiPfSD_PS3_PT2_iSC_SC_, .Lfunc_end10-_Z39paged_attention_ll4mi_QKV_mfma16_kernelIDF16_DF16_LN4vllm18Fp8KVCacheDataTypeE0EDF16_Li16ELi64ELi256ELb1ELi11EL8MFMAType0EEvPKT_PKT0_S8_ifPKiSA_SA_iPKfiiiPfSD_PS3_PT2_iSC_SC_
                                        ; -- End function
	.section	.AMDGPU.csdata,"",@progbits
; Kernel info:
; codeLenInByte = 4316
; NumSgprs: 52
; NumVgprs: 67
; NumAgprs: 0
; TotalNumVgprs: 67
; ScratchSize: 0
; MemoryBound: 0
; FloatMode: 240
; IeeeMode: 1
; LDSByteSize: 8192 bytes/workgroup (compile time only)
; SGPRBlocks: 6
; VGPRBlocks: 8
; NumSGPRsForWavesPerEU: 52
; NumVGPRsForWavesPerEU: 67
; AccumOffset: 68
; Occupancy: 7
; WaveLimiterHint : 1
; COMPUTE_PGM_RSRC2:SCRATCH_EN: 0
; COMPUTE_PGM_RSRC2:USER_SGPR: 6
; COMPUTE_PGM_RSRC2:TRAP_HANDLER: 0
; COMPUTE_PGM_RSRC2:TGID_X_EN: 1
; COMPUTE_PGM_RSRC2:TGID_Y_EN: 1
; COMPUTE_PGM_RSRC2:TGID_Z_EN: 1
; COMPUTE_PGM_RSRC2:TIDIG_COMP_CNT: 0
; COMPUTE_PGM_RSRC3_GFX90A:ACCUM_OFFSET: 16
; COMPUTE_PGM_RSRC3_GFX90A:TG_SPLIT: 0
	.section	.text._Z39paged_attention_ll4mi_QKV_mfma16_kernelIDF16_DF16_LN4vllm18Fp8KVCacheDataTypeE0EDF16_Li16ELi64ELi256ELb1ELi12EL8MFMAType0EEvPKT_PKT0_S8_ifPKiSA_SA_iPKfiiiPfSD_PS3_PT2_iSC_SC_,"axG",@progbits,_Z39paged_attention_ll4mi_QKV_mfma16_kernelIDF16_DF16_LN4vllm18Fp8KVCacheDataTypeE0EDF16_Li16ELi64ELi256ELb1ELi12EL8MFMAType0EEvPKT_PKT0_S8_ifPKiSA_SA_iPKfiiiPfSD_PS3_PT2_iSC_SC_,comdat
	.protected	_Z39paged_attention_ll4mi_QKV_mfma16_kernelIDF16_DF16_LN4vllm18Fp8KVCacheDataTypeE0EDF16_Li16ELi64ELi256ELb1ELi12EL8MFMAType0EEvPKT_PKT0_S8_ifPKiSA_SA_iPKfiiiPfSD_PS3_PT2_iSC_SC_ ; -- Begin function _Z39paged_attention_ll4mi_QKV_mfma16_kernelIDF16_DF16_LN4vllm18Fp8KVCacheDataTypeE0EDF16_Li16ELi64ELi256ELb1ELi12EL8MFMAType0EEvPKT_PKT0_S8_ifPKiSA_SA_iPKfiiiPfSD_PS3_PT2_iSC_SC_
	.globl	_Z39paged_attention_ll4mi_QKV_mfma16_kernelIDF16_DF16_LN4vllm18Fp8KVCacheDataTypeE0EDF16_Li16ELi64ELi256ELb1ELi12EL8MFMAType0EEvPKT_PKT0_S8_ifPKiSA_SA_iPKfiiiPfSD_PS3_PT2_iSC_SC_
	.p2align	8
	.type	_Z39paged_attention_ll4mi_QKV_mfma16_kernelIDF16_DF16_LN4vllm18Fp8KVCacheDataTypeE0EDF16_Li16ELi64ELi256ELb1ELi12EL8MFMAType0EEvPKT_PKT0_S8_ifPKiSA_SA_iPKfiiiPfSD_PS3_PT2_iSC_SC_,@function
_Z39paged_attention_ll4mi_QKV_mfma16_kernelIDF16_DF16_LN4vllm18Fp8KVCacheDataTypeE0EDF16_Li16ELi64ELi256ELb1ELi12EL8MFMAType0EEvPKT_PKT0_S8_ifPKiSA_SA_iPKfiiiPfSD_PS3_PT2_iSC_SC_: ; @_Z39paged_attention_ll4mi_QKV_mfma16_kernelIDF16_DF16_LN4vllm18Fp8KVCacheDataTypeE0EDF16_Li16ELi64ELi256ELb1ELi12EL8MFMAType0EEvPKT_PKT0_S8_ifPKiSA_SA_iPKfiiiPfSD_PS3_PT2_iSC_SC_
; %bb.0:
	s_load_dwordx2 s[0:1], s[4:5], 0x30
	s_mov_b32 s28, s7
	s_mov_b64 s[10:11], 0
	s_waitcnt lgkmcnt(0)
	s_cmp_lg_u64 s[0:1], 0
	s_cselect_b64 s[2:3], -1, 0
	s_and_b64 vcc, exec, s[2:3]
	s_cbranch_vccz .LBB11_7
; %bb.1:
	s_add_i32 s12, s6, 1
	s_mov_b32 s13, 0
	s_lshl_b64 s[14:15], s[12:13], 2
	s_add_u32 s14, s0, s14
	s_mov_b32 s7, s13
	s_addc_u32 s15, s1, s15
	s_lshl_b64 s[12:13], s[6:7], 2
	s_add_u32 s12, s0, s12
	s_addc_u32 s13, s1, s13
	s_load_dword s9, s[14:15], 0x0
	s_load_dword s16, s[12:13], 0x0
	s_waitcnt lgkmcnt(0)
	s_sub_i32 s9, s9, s16
	s_cmp_eq_u32 s9, 1
	s_cselect_b64 s[12:13], -1, 0
	s_andn2_b64 vcc, exec, s[10:11]
	s_cbranch_vccnz .LBB11_3
.LBB11_2:
	s_mov_b32 s7, 0
	s_mov_b64 s[12:13], -1
.LBB11_3:
	s_andn2_b64 vcc, exec, s[12:13]
	s_cbranch_vccnz .LBB11_19
; %bb.4:
	s_load_dwordx2 s[12:13], s[4:5], 0x28
	s_lshl_b64 s[10:11], s[6:7], 2
	s_waitcnt lgkmcnt(0)
	s_add_u32 s12, s12, s10
	s_addc_u32 s13, s13, s11
	s_load_dword s33, s[12:13], 0x0
	s_lshl_b32 s14, s28, 8
	s_waitcnt lgkmcnt(0)
	s_cmp_ge_i32 s14, s33
	s_cbranch_scc1 .LBB11_19
; %bb.5:
	s_add_i32 s15, s33, 15
	s_load_dwordx2 s[12:13], s[4:5], 0x20
	s_load_dword s9, s[4:5], 0x38
	s_ashr_i32 s16, s15, 31
	v_and_b32_e32 v1, 0xcf, v0
	s_lshr_b32 s16, s16, 28
	v_add_u32_e32 v1, s14, v1
	s_add_i32 s15, s15, s16
	v_ashrrev_i32_e32 v2, 31, v1
	s_ashr_i32 s17, s15, 4
	v_lshrrev_b32_e32 v4, 28, v2
	s_add_i32 s17, s17, -1
	v_add_u32_e32 v2, v1, v4
	s_waitcnt lgkmcnt(0)
	s_mul_i32 s18, s6, s9
	s_mov_b32 s19, 0
	v_ashrrev_i32_e32 v2, 4, v2
	v_mov_b32_e32 v5, s17
	v_cmp_gt_i32_e32 vcc, s33, v1
	s_lshl_b64 s[18:19], s[18:19], 2
	v_cndmask_b32_e32 v2, v5, v2, vcc
	s_add_u32 s15, s12, s18
	v_ashrrev_i32_e32 v3, 31, v2
	s_addc_u32 s16, s13, s19
	v_lshlrev_b64 v[2:3], 2, v[2:3]
	v_mov_b32_e32 v7, s16
	v_add_co_u32_e32 v6, vcc, s15, v2
	v_or_b32_e32 v2, 16, v1
	v_addc_co_u32_e32 v7, vcc, v7, v3, vcc
	v_add_u32_e32 v3, v2, v4
	v_ashrrev_i32_e32 v3, 4, v3
	v_cmp_gt_i32_e32 vcc, s33, v2
	v_cndmask_b32_e32 v2, v5, v3, vcc
	v_ashrrev_i32_e32 v3, 31, v2
	v_lshlrev_b64 v[2:3], 2, v[2:3]
	v_mov_b32_e32 v9, s16
	v_add_co_u32_e32 v8, vcc, s15, v2
	v_or_b32_e32 v2, 32, v1
	v_addc_co_u32_e32 v9, vcc, v9, v3, vcc
	v_add_u32_e32 v3, v2, v4
	v_ashrrev_i32_e32 v3, 4, v3
	v_cmp_gt_i32_e32 vcc, s33, v2
	v_cndmask_b32_e32 v2, v5, v3, vcc
	v_ashrrev_i32_e32 v3, 31, v2
	;; [unrolled: 10-line block ×3, first 2 shown]
	v_lshlrev_b64 v[2:3], 2, v[2:3]
	v_mov_b32_e32 v1, s16
	v_add_co_u32_e32 v12, vcc, s15, v2
	v_addc_co_u32_e32 v13, vcc, v1, v3, vcc
	global_load_dword v5, v[6:7], off
	global_load_dword v4, v[8:9], off
	;; [unrolled: 1-line block ×4, first 2 shown]
	s_load_dwordx2 s[12:13], s[4:5], 0x8
	s_andn2_b64 vcc, exec, s[2:3]
	s_cbranch_vccnz .LBB11_8
; %bb.6:
	s_add_u32 s0, s0, s10
	s_addc_u32 s1, s1, s11
	s_load_dword s9, s[0:1], 0x0
	s_branch .LBB11_9
.LBB11_7:
	s_mov_b64 s[12:13], 0
	s_branch .LBB11_2
.LBB11_8:
	s_mov_b32 s9, s6
.LBB11_9:
	s_load_dwordx2 s[2:3], s[4:5], 0x10
	s_load_dwordx4 s[44:47], s[4:5], 0x48
	v_and_b32_e32 v52, 15, v0
	s_movk_i32 s0, 0xc0
	v_lshlrev_b32_e32 v6, 3, v52
	v_cmp_gt_u32_e32 vcc, s0, v0
	v_cmp_gt_u32_e64 s[0:1], 8, v52
	v_lshrrev_b32_e32 v53, 6, v0
	v_bfe_u32 v1, v0, 4, 2
	s_mul_i32 s29, s8, 12
	s_and_b64 s[18:19], vcc, s[0:1]
	v_lshlrev_b32_e32 v50, 1, v6
	s_and_saveexec_b64 s[10:11], s[18:19]
	s_cbranch_execz .LBB11_11
; %bb.10:
	s_load_dwordx2 s[18:19], s[4:5], 0x0
	s_waitcnt lgkmcnt(0)
	s_ashr_i32 s20, s44, 31
	s_mul_hi_u32 s21, s9, s44
	s_mul_i32 s20, s9, s20
	v_lshl_or_b32 v10, v53, 2, v1
	s_add_i32 s21, s21, s20
	s_mul_i32 s20, s9, s44
	s_lshl_b64 s[20:21], s[20:21], 1
	v_add_lshl_u32 v6, v10, s29, 6
	s_add_u32 s9, s18, s20
	v_ashrrev_i32_e32 v7, 31, v6
	s_addc_u32 s18, s19, s21
	v_lshlrev_b64 v[6:7], 1, v[6:7]
	v_mov_b32_e32 v8, s18
	v_add_co_u32_e32 v6, vcc, s9, v6
	v_addc_co_u32_e32 v7, vcc, v8, v7, vcc
	v_add_co_u32_e32 v6, vcc, v6, v50
	v_addc_co_u32_e32 v7, vcc, 0, v7, vcc
	global_load_dwordx4 v[6:9], v[6:7], off
	v_and_b32_e32 v11, 3, v0
	v_lshlrev_b32_e32 v12, 9, v52
	v_lshlrev_b32_e32 v10, 5, v10
	;; [unrolled: 1-line block ×3, first 2 shown]
	v_and_b32_e32 v12, 0x1800, v12
	v_or3_b32 v10, v12, v11, v10
	s_waitcnt vmcnt(0)
	ds_write_b128 v10, v[6:9]
.LBB11_11:
	s_or_b64 exec, exec, s[10:11]
	s_waitcnt lgkmcnt(0)
	s_mul_i32 s8, s8, s46
	s_mov_b32 s9, 0
	s_lshl_b64 s[8:9], s[8:9], 1
	s_add_u32 s10, s12, s8
	v_lshlrev_b32_e32 v51, 4, v0
	s_addc_u32 s11, s13, s9
	v_and_b32_e32 v6, 0xf0, v51
	v_mov_b32_e32 v7, s11
	v_add_co_u32_e32 v18, vcc, s10, v6
	v_addc_co_u32_e32 v19, vcc, 0, v7, vcc
	s_waitcnt vmcnt(3)
	v_mad_i64_i32 v[6:7], s[10:11], v5, s45, 0
	v_lshlrev_b64 v[6:7], 1, v[6:7]
	v_add_co_u32_e32 v5, vcc, v18, v6
	v_addc_co_u32_e32 v7, vcc, v19, v7, vcc
	v_and_b32_e32 v20, 0x300, v51
	v_add_co_u32_e32 v6, vcc, v5, v20
	s_waitcnt vmcnt(2)
	v_mad_i64_i32 v[4:5], s[10:11], v4, s45, 0
	v_addc_co_u32_e32 v7, vcc, 0, v7, vcc
	v_lshlrev_b64 v[4:5], 1, v[4:5]
	v_add_co_u32_e32 v4, vcc, v18, v4
	v_addc_co_u32_e32 v5, vcc, v19, v5, vcc
	v_add_co_u32_e32 v4, vcc, v4, v20
	v_addc_co_u32_e32 v5, vcc, 0, v5, vcc
	s_barrier
	global_load_dwordx4 v[38:41], v[6:7], off
	global_load_dwordx4 v[34:37], v[6:7], off offset:1024
	global_load_dwordx4 v[30:33], v[4:5], off
	global_load_dwordx4 v[14:17], v[4:5], off offset:1024
	s_waitcnt vmcnt(5)
	v_mad_i64_i32 v[4:5], s[10:11], v3, s45, 0
	v_lshlrev_b64 v[4:5], 1, v[4:5]
	v_add_co_u32_e32 v3, vcc, v18, v4
	v_addc_co_u32_e32 v5, vcc, v19, v5, vcc
	v_add_co_u32_e32 v4, vcc, v3, v20
	s_waitcnt vmcnt(4)
	v_mad_i64_i32 v[2:3], s[10:11], v2, s45, 0
	v_addc_co_u32_e32 v5, vcc, 0, v5, vcc
	v_lshlrev_b64 v[2:3], 1, v[2:3]
	v_add_co_u32_e32 v2, vcc, v18, v2
	v_addc_co_u32_e32 v3, vcc, v19, v3, vcc
	v_add_co_u32_e32 v22, vcc, v2, v20
	v_addc_co_u32_e32 v23, vcc, 0, v3, vcc
	global_load_dwordx4 v[10:13], v[4:5], off
	global_load_dwordx4 v[6:9], v[4:5], off offset:1024
	s_nop 0
	global_load_dwordx4 v[2:5], v[22:23], off
	global_load_dwordx4 v[18:21], v[22:23], off offset:1024
	v_add_u32_e32 v22, -12, v52
	v_cmp_gt_u32_e32 vcc, 12, v52
	v_cndmask_b32_e32 v22, v22, v52, vcc
	v_lshlrev_b32_e32 v22, 5, v22
	v_lshl_add_u32 v22, v1, 9, v22
	ds_read_b128 v[26:29], v22
	ds_read_b128 v[22:25], v22 offset:2048
	v_and_b32_e32 v54, 63, v0
	v_mov_b32_e32 v48, 0
	s_and_saveexec_b64 s[10:11], vcc
	s_cbranch_execz .LBB11_13
; %bb.12:
	s_load_dwordx2 s[12:13], s[4:5], 0x40
	v_add_u32_e32 v42, s29, v52
	v_ashrrev_i32_e32 v43, 31, v42
	v_lshlrev_b64 v[42:43], 2, v[42:43]
	s_waitcnt lgkmcnt(0)
	v_mov_b32_e32 v44, s13
	v_add_co_u32_e32 v42, vcc, s12, v42
	v_addc_co_u32_e32 v43, vcc, v44, v43, vcc
	global_load_dword v48, v[42:43], off
.LBB11_13:
	s_or_b64 exec, exec, s[10:11]
	s_waitcnt vmcnt(7) lgkmcnt(1)
	v_mfma_f32_16x16x16f16 v[42:45], v[38:39], v[26:27], 0
	s_add_u32 s2, s2, s8
	v_lshlrev_b32_e32 v55, 5, v52
	s_addc_u32 s3, s3, s9
	s_load_dword s10, s[4:5], 0x1c
	s_mov_b32 s42, 0xff7fffff
	v_mfma_f32_16x16x16f16 v[38:41], v[40:41], v[28:29], v[42:45]
	s_waitcnt vmcnt(6) lgkmcnt(0)
	v_mfma_f32_16x16x16f16 v[38:41], v[34:35], v[22:23], v[38:41]
	s_nop 4
	v_and_or_b32 v44, v0, 48, s14
	v_mov_b32_e32 v45, s17
	v_cmp_gt_i32_e32 vcc, s33, v44
	v_mfma_f32_16x16x16f16 v[34:37], v[36:37], v[24:25], v[38:41]
	s_nop 6
	v_ashrrev_i32_e32 v38, 4, v44
	v_cndmask_b32_e32 v42, v45, v38, vcc
	v_ashrrev_i32_e32 v43, 31, v42
	s_waitcnt vmcnt(5)
	v_mfma_f32_16x16x16f16 v[38:41], v[30:31], v[26:27], 0
	v_lshlrev_b64 v[30:31], 2, v[42:43]
	v_mov_b32_e32 v42, s16
	v_add_co_u32_e32 v30, vcc, s15, v30
	v_addc_co_u32_e32 v31, vcc, v42, v31, vcc
	global_load_dword v42, v[30:31], off
	v_mfma_f32_16x16x16f16 v[30:33], v[32:33], v[28:29], v[38:41]
	v_pk_mul_f32 v[46:47], s[10:11], v[36:37] op_sel_hi:[0,1]
	s_nop 5
	v_or_b32_e32 v38, 64, v44
	v_ashrrev_i32_e32 v39, 4, v38
	v_cmp_gt_i32_e32 vcc, s33, v38
	v_cndmask_b32_e32 v38, v45, v39, vcc
	v_ashrrev_i32_e32 v39, 31, v38
	v_lshlrev_b64 v[38:39], 2, v[38:39]
	s_waitcnt vmcnt(5)
	v_mfma_f32_16x16x16f16 v[30:33], v[14:15], v[22:23], v[30:33]
	v_mov_b32_e32 v40, s16
	v_add_co_u32_e32 v14, vcc, s15, v38
	v_addc_co_u32_e32 v15, vcc, v40, v39, vcc
	global_load_dword v40, v[14:15], off
	v_or_b32_e32 v14, 0x80, v44
	v_ashrrev_i32_e32 v15, 4, v14
	v_cmp_gt_i32_e32 vcc, s33, v14
	v_cndmask_b32_e32 v14, v45, v15, vcc
	v_ashrrev_i32_e32 v15, 31, v14
	v_lshlrev_b64 v[14:15], 2, v[14:15]
	v_mfma_f32_16x16x16f16 v[30:33], v[16:17], v[24:25], v[30:33]
	v_mov_b32_e32 v16, s16
	v_add_co_u32_e32 v38, vcc, s15, v14
	v_addc_co_u32_e32 v39, vcc, v16, v15, vcc
	global_load_dword v38, v[38:39], off
	s_waitcnt vmcnt(6)
	v_mfma_f32_16x16x16f16 v[14:17], v[10:11], v[26:27], 0
	v_mfma_f32_16x16x16f16 v[10:13], v[12:13], v[28:29], v[14:17]
	s_nop 7
	s_nop 1
	v_or_b32_e32 v14, 0xc0, v44
	v_ashrrev_i32_e32 v15, 4, v14
	v_cmp_gt_i32_e32 vcc, s33, v14
	v_cndmask_b32_e32 v14, v45, v15, vcc
	s_waitcnt vmcnt(5)
	v_mfma_f32_16x16x16f16 v[10:13], v[6:7], v[22:23], v[10:13]
	v_ashrrev_i32_e32 v15, 31, v14
	v_lshlrev_b64 v[14:15], 2, v[14:15]
	v_mov_b32_e32 v16, s16
	v_add_co_u32_e32 v6, vcc, s15, v14
	v_addc_co_u32_e32 v7, vcc, v16, v15, vcc
	global_load_dword v49, v[6:7], off
	v_lshl_or_b32 v6, v53, 9, v55
	v_mov_b32_e32 v7, s3
	v_add_co_u32_e32 v60, vcc, s2, v6
	v_addc_co_u32_e32 v61, vcc, 0, v7, vcc
	v_mfma_f32_16x16x16f16 v[56:59], v[8:9], v[24:25], v[10:13]
	v_pk_mul_f32 v[44:45], s[10:11], v[30:31] op_sel_hi:[0,1]
	s_waitcnt vmcnt(3)
	v_mad_i64_i32 v[6:7], s[2:3], v42, s45, 0
	s_nop 3
	v_lshlrev_b64 v[10:11], 1, v[6:7]
	v_mfma_f32_16x16x16f16 v[6:9], v[2:3], v[26:27], 0
	v_add_co_u32_e32 v2, vcc, v60, v10
	v_addc_co_u32_e32 v3, vcc, v61, v11, vcc
	global_load_dwordx4 v[14:17], v[2:3], off
	global_load_dwordx4 v[10:13], v[2:3], off offset:16
	v_pk_mul_f32 v[42:43], s[10:11], v[32:33] op_sel_hi:[0,1]
	s_waitcnt vmcnt(4)
	v_mad_i64_i32 v[2:3], s[2:3], v40, s45, 0
	v_mfma_f32_16x16x16f16 v[26:29], v[4:5], v[28:29], v[6:9]
	v_lshlrev_b64 v[2:3], 1, v[2:3]
	v_add_co_u32_e32 v2, vcc, v60, v2
	v_addc_co_u32_e32 v3, vcc, v61, v3, vcc
	v_pk_mul_f32 v[40:41], s[10:11], v[56:57] op_sel_hi:[0,1]
	s_nop 2
	global_load_dwordx4 v[6:9], v[2:3], off
	s_nop 0
	global_load_dwordx4 v[2:5], v[2:3], off offset:16
	v_mfma_f32_16x16x16f16 v[26:29], v[18:19], v[22:23], v[26:29]
	v_pk_mul_f32 v[18:19], s[10:11], v[34:35] op_sel_hi:[0,1]
	s_waitcnt vmcnt(5)
	v_mad_i64_i32 v[38:39], s[2:3], v38, s45, 0
	v_lshlrev_b64 v[38:39], 1, v[38:39]
	v_add_co_u32_e32 v22, vcc, v60, v38
	v_mfma_f32_16x16x16f16 v[24:27], v[20:21], v[24:25], v[26:29]
	v_and_b32_e32 v20, 0xc0, v0
	v_add_u32_e32 v20, s14, v20
	v_lshl_or_b32 v20, v1, 2, v20
	v_or_b32_e32 v21, 1, v20
	v_addc_co_u32_e32 v23, vcc, v61, v39, vcc
	v_pk_mul_f32 v[38:39], s[10:11], v[58:59] op_sel_hi:[0,1]
	s_nop 4
	v_pk_mul_f32 v[36:37], s[10:11], v[24:25] op_sel_hi:[0,1]
	v_subrev_u32_e32 v24, s33, v21
	v_pk_mul_f32 v[34:35], s[10:11], v[26:27] op_sel_hi:[0,1]
	v_add_u32_e32 v26, 1, v24
	v_add_u32_e32 v27, 2, v24
	v_cvt_f32_i32_e32 v25, v24
	v_cvt_f32_i32_e32 v26, v26
	v_cvt_f32_i32_e32 v27, v27
	v_add_u32_e32 v28, 3, v24
	v_fma_f32 v18, v48, v25, v18
	v_fmac_f32_e32 v19, v48, v26
	v_fma_f32 v46, v48, v27, v46
	v_add_u32_e32 v25, 16, v24
	v_add_u32_e32 v26, 17, v24
	;; [unrolled: 1-line block ×3, first 2 shown]
	v_cvt_f32_i32_e32 v28, v28
	v_cvt_f32_i32_e32 v25, v25
	;; [unrolled: 1-line block ×4, first 2 shown]
	v_fmac_f32_e32 v47, v48, v28
	v_add_u32_e32 v28, 19, v24
	v_fma_f32 v44, v48, v25, v44
	v_fmac_f32_e32 v45, v48, v26
	v_fma_f32 v42, v48, v27, v42
	v_add_u32_e32 v25, 32, v24
	v_add_u32_e32 v26, 33, v24
	;; [unrolled: 1-line block ×3, first 2 shown]
	v_cvt_f32_i32_e32 v28, v28
	v_cvt_f32_i32_e32 v25, v25
	;; [unrolled: 1-line block ×4, first 2 shown]
	v_fmac_f32_e32 v43, v48, v28
	v_add_u32_e32 v28, 35, v24
	v_fma_f32 v40, v48, v25, v40
	v_fmac_f32_e32 v41, v48, v26
	v_fma_f32 v38, v48, v27, v38
	v_add_u32_e32 v25, 48, v24
	v_add_u32_e32 v26, 49, v24
	;; [unrolled: 1-line block ×4, first 2 shown]
	v_cvt_f32_i32_e32 v24, v24
	v_cvt_f32_i32_e32 v25, v25
	v_cvt_f32_i32_e32 v26, v26
	v_cmp_gt_i32_e64 s[30:31], s33, v20
	v_fmac_f32_e32 v35, v48, v24
	v_mov_b32_e32 v24, 0xff7fffff
	v_cmp_gt_i32_e64 s[34:35], s33, v21
	v_fma_f32 v36, v48, v25, v36
	v_cndmask_b32_e64 v25, v24, v18, s[30:31]
	v_cndmask_b32_e64 v21, v24, v19, s[34:35]
	v_fmac_f32_e32 v37, v48, v26
	v_max3_f32 v21, v25, s42, v21
	v_or_b32_e32 v25, 2, v20
	v_or_b32_e32 v26, 3, v20
	v_cmp_gt_i32_e64 s[36:37], s33, v25
	v_cmp_gt_i32_e64 s[38:39], s33, v26
	v_cndmask_b32_e64 v25, v24, v46, s[36:37]
	v_cndmask_b32_e64 v26, v24, v47, s[38:39]
	v_max3_f32 v21, v21, v25, v26
	v_or_b32_e32 v25, 16, v20
	v_or_b32_e32 v26, 17, v20
	v_cmp_gt_i32_e64 s[24:25], s33, v25
	v_cmp_gt_i32_e64 s[26:27], s33, v26
	v_cndmask_b32_e64 v25, v24, v44, s[24:25]
	v_cndmask_b32_e64 v26, v24, v45, s[26:27]
	;; [unrolled: 7-line block ×3, first 2 shown]
	v_cvt_f32_i32_e32 v28, v28
	v_max3_f32 v21, v21, v25, v26
	v_or_b32_e32 v25, 32, v20
	v_or_b32_e32 v26, 33, v20
	v_cmp_gt_i32_e64 s[16:17], s33, v25
	v_cmp_gt_i32_e64 s[18:19], s33, v26
	v_cndmask_b32_e64 v25, v24, v40, s[16:17]
	v_cndmask_b32_e64 v26, v24, v41, s[18:19]
	v_max3_f32 v21, v21, v25, v26
	v_or_b32_e32 v25, 34, v20
	v_or_b32_e32 v26, 35, v20
	v_fmac_f32_e32 v39, v48, v28
	v_cmp_gt_i32_e64 s[12:13], s33, v25
	v_cmp_gt_i32_e64 s[14:15], s33, v26
	v_cndmask_b32_e64 v25, v24, v38, s[12:13]
	v_cndmask_b32_e64 v26, v24, v39, s[14:15]
	v_cvt_f32_i32_e32 v27, v27
	v_max3_f32 v21, v21, v25, v26
	v_or_b32_e32 v25, 48, v20
	v_or_b32_e32 v26, 49, v20
	v_cmp_gt_i32_e64 s[8:9], s33, v25
	v_cmp_gt_i32_e64 s[10:11], s33, v26
	v_cndmask_b32_e64 v25, v24, v36, s[8:9]
	v_cndmask_b32_e64 v26, v24, v37, s[10:11]
	v_max3_f32 v21, v21, v25, v26
	v_or_b32_e32 v25, 50, v20
	v_or_b32_e32 v20, 51, v20
	v_fma_f32 v34, v48, v27, v34
	v_cmp_gt_i32_e32 vcc, s33, v25
	v_cmp_gt_i32_e64 s[2:3], s33, v20
	v_cndmask_b32_e32 v25, v24, v34, vcc
	v_cndmask_b32_e64 v20, v24, v35, s[2:3]
	v_max3_f32 v26, v21, v25, v20
	v_mbcnt_lo_u32_b32 v20, -1, 0
	v_mbcnt_hi_u32_b32 v27, -1, v20
	v_and_b32_e32 v20, 64, v27
	v_add_u32_e32 v28, 64, v20
	v_xor_b32_e32 v20, 32, v27
	v_cmp_lt_i32_e64 s[40:41], v20, v28
	v_cndmask_b32_e64 v20, v27, v20, s[40:41]
	v_lshlrev_b32_e32 v57, 2, v20
	ds_bpermute_b32 v29, v57, v26
	s_waitcnt vmcnt(4)
	v_mad_i64_i32 v[20:21], s[40:41], v49, s45, 0
	v_lshlrev_b64 v[20:21], 1, v[20:21]
	global_load_dwordx4 v[30:33], v[22:23], off
	s_nop 0
	global_load_dwordx4 v[22:25], v[22:23], off offset:16
	s_waitcnt lgkmcnt(0)
	v_max_f32_e32 v29, v29, v29
	v_max_f32_e32 v26, v26, v29
	v_xor_b32_e32 v29, 16, v27
	v_cmp_lt_i32_e64 s[40:41], v29, v28
	v_cndmask_b32_e64 v27, v27, v29, s[40:41]
	v_lshlrev_b32_e32 v59, 2, v27
	ds_bpermute_b32 v27, v59, v26
	v_add_co_u32_e64 v20, s[40:41], v60, v20
	v_addc_co_u32_e64 v21, s[40:41], v61, v21, s[40:41]
	s_waitcnt lgkmcnt(0)
	v_max_f32_e32 v27, v27, v27
	v_max_f32_e32 v56, v26, v27
	v_sub_f32_e32 v18, v18, v56
	v_mul_f32_e32 v18, 0x3fb8aa3b, v18
	v_exp_f32_e32 v48, v18
	v_sub_f32_e32 v18, v19, v56
	v_mul_f32_e32 v18, 0x3fb8aa3b, v18
	v_exp_f32_e32 v49, v18
	global_load_dwordx4 v[26:29], v[20:21], off
	s_nop 0
	global_load_dwordx4 v[18:21], v[20:21], off offset:16
	v_sub_f32_e32 v46, v46, v56
	v_mul_f32_e32 v46, 0x3fb8aa3b, v46
	v_sub_f32_e32 v47, v47, v56
	v_exp_f32_e32 v46, v46
	v_mul_f32_e32 v47, 0x3fb8aa3b, v47
	v_sub_f32_e32 v44, v44, v56
	v_exp_f32_e32 v47, v47
	v_mul_f32_e32 v44, 0x3fb8aa3b, v44
	v_sub_f32_e32 v45, v45, v56
	v_cndmask_b32_e64 v48, 0, v48, s[30:31]
	v_exp_f32_e32 v44, v44
	v_mul_f32_e32 v45, 0x3fb8aa3b, v45
	v_sub_f32_e32 v42, v42, v56
	v_add_f32_e32 v58, 0, v48
	v_cndmask_b32_e64 v49, 0, v49, s[34:35]
	v_exp_f32_e32 v45, v45
	v_mul_f32_e32 v42, 0x3fb8aa3b, v42
	v_sub_f32_e32 v43, v43, v56
	v_add_f32_e32 v58, v58, v49
	;; [unrolled: 5-line block ×10, first 2 shown]
	v_cndmask_b32_e64 v38, 0, v38, s[12:13]
	v_exp_f32_e32 v34, v34
	v_mul_f32_e32 v35, 0x3fb8aa3b, v35
	v_add_f32_e32 v58, v58, v38
	v_cndmask_b32_e64 v39, 0, v39, s[14:15]
	v_exp_f32_e32 v35, v35
	v_add_f32_e32 v58, v58, v39
	v_cndmask_b32_e64 v36, 0, v36, s[8:9]
	v_add_f32_e32 v58, v58, v36
	v_cndmask_b32_e64 v37, 0, v37, s[10:11]
	v_add_f32_e32 v58, v58, v37
	v_cndmask_b32_e32 v34, 0, v34, vcc
	v_add_f32_e32 v58, v58, v34
	v_cndmask_b32_e64 v35, 0, v35, s[2:3]
	v_add_f32_e32 v58, v58, v35
	ds_bpermute_b32 v57, v57, v58
	s_load_dword s9, s[4:5], 0x98
	v_cmp_gt_u32_e32 vcc, 16, v54
	s_waitcnt lgkmcnt(0)
	s_barrier
	v_add_f32_e32 v58, v58, v57
	ds_bpermute_b32 v59, v59, v58
	v_lshlrev_b32_e32 v57, 2, v52
	s_waitcnt lgkmcnt(0)
	s_and_saveexec_b64 s[2:3], vcc
	s_cbranch_execz .LBB11_15
; %bb.14:
	v_add_f32_e32 v54, v58, v59
	v_lshl_or_b32 v58, v53, 6, v57
	ds_write2st64_b32 v58, v56, v54 offset1:1
.LBB11_15:
	s_or_b64 exec, exec, s[2:3]
	s_load_dword s8, s[4:5], 0x94
	s_waitcnt lgkmcnt(0)
	s_barrier
	ds_read2_b32 v[58:59], v57 offset1:16
	ds_read2_b32 v[60:61], v57 offset0:32 offset1:48
	ds_read2_b32 v[62:63], v57 offset0:64 offset1:80
	s_mul_i32 s9, s9, 12
	s_waitcnt lgkmcnt(2)
	v_max3_f32 v54, v58, s42, v59
	s_waitcnt lgkmcnt(1)
	v_max3_f32 v54, v54, v60, v61
	v_sub_f32_e32 v56, v58, v54
	v_mul_f32_e32 v56, 0x3fb8aa3b, v56
	v_exp_f32_e32 v64, v56
	v_sub_f32_e32 v56, v59, v54
	v_mul_f32_e32 v56, 0x3fb8aa3b, v56
	v_exp_f32_e32 v65, v56
	;; [unrolled: 3-line block ×3, first 2 shown]
	ds_read2_b32 v[58:59], v57 offset0:96 offset1:112
	v_sub_f32_e32 v56, v61, v54
	v_mul_f32_e32 v56, 0x3fb8aa3b, v56
	v_exp_f32_e32 v57, v56
	s_waitcnt lgkmcnt(1)
	v_fma_f32 v56, v64, v62, 0
	v_fmac_f32_e32 v56, v65, v63
	s_waitcnt lgkmcnt(0)
	v_fmac_f32_e32 v56, v60, v58
	v_fmac_f32_e32 v56, v57, v59
	v_add_f32_e32 v58, 0x358637bd, v56
	v_div_scale_f32 v59, s[2:3], v58, v58, 1.0
	v_rcp_f32_e32 v61, v59
	s_barrier
	v_fma_f32 v62, -v59, v61, 1.0
	v_fmac_f32_e32 v61, v62, v61
	v_div_scale_f32 v62, vcc, 1.0, v58, 1.0
	v_mul_f32_e32 v63, v62, v61
	v_fma_f32 v66, -v59, v63, v62
	v_fmac_f32_e32 v63, v66, v61
	v_fma_f32 v59, -v59, v63, v62
	v_div_fmas_f32 v59, v59, v61, v63
	v_cmp_eq_u32_e32 vcc, 1, v53
	v_div_fixup_f32 v58, v59, v58, 1.0
	v_cndmask_b32_e32 v59, v64, v65, vcc
	v_cmp_eq_u32_e32 vcc, 2, v53
	v_cndmask_b32_e32 v59, v59, v60, vcc
	v_cmp_eq_u32_e32 vcc, 3, v53
	v_cndmask_b32_e32 v57, v59, v57, vcc
	v_mul_f32_e32 v58, v57, v58
	v_pk_mul_f32 v[48:49], v[58:59], v[48:49] op_sel_hi:[0,1]
	v_cvt_f16_f32_e32 v48, v48
	v_cvt_f16_f32_e32 v49, v49
	v_pk_mul_f32 v[46:47], v[58:59], v[46:47] op_sel_hi:[0,1]
	v_pk_mul_f32 v[42:43], v[58:59], v[42:43] op_sel_hi:[0,1]
	;; [unrolled: 1-line block ×3, first 2 shown]
	v_cvt_f16_f32_e32 v57, v46
	v_cvt_f16_f32_e32 v47, v47
	v_pack_b32_f16 v46, v48, v49
	v_cvt_f16_f32_e32 v44, v44
	v_cvt_f16_f32_e32 v45, v45
	;; [unrolled: 1-line block ×4, first 2 shown]
	v_lshlrev_b32_e32 v48, 3, v1
	v_lshlrev_b32_e32 v42, 11, v53
	v_pack_b32_f16 v47, v57, v47
	v_or3_b32 v42, v42, v55, v48
	v_pack_b32_f16 v44, v44, v45
	v_pack_b32_f16 v45, v49, v43
	v_pk_mul_f32 v[38:39], v[58:59], v[38:39] op_sel_hi:[0,1]
	v_pk_mul_f32 v[40:41], v[58:59], v[40:41] op_sel_hi:[0,1]
	v_pk_mul_f32 v[34:35], v[58:59], v[34:35] op_sel_hi:[0,1]
	v_pk_mul_f32 v[36:37], v[58:59], v[36:37] op_sel_hi:[0,1]
	ds_write2st64_b64 v42, v[46:47], v[44:45] offset1:1
	v_cvt_f16_f32_e32 v40, v40
	v_cvt_f16_f32_e32 v41, v41
	;; [unrolled: 1-line block ×8, first 2 shown]
	v_pack_b32_f16 v34, v40, v41
	v_pack_b32_f16 v35, v38, v39
	;; [unrolled: 1-line block ×4, first 2 shown]
	v_cmp_gt_u32_e32 vcc, 12, v0
	ds_write2st64_b64 v42, v[34:35], v[36:37] offset0:2 offset1:3
	s_and_saveexec_b64 s[2:3], vcc
	s_cbranch_execz .LBB11_17
; %bb.16:
	v_add_co_u32_e32 v36, vcc, s29, v52
	v_addc_co_u32_e64 v37, s[10:11], 0, 0, vcc
	v_mov_b32_e32 v34, s9
	v_mov_b32_e32 v35, 0
	v_mad_u64_u32 v[36:37], s[10:11], s6, v34, v[36:37]
	v_mov_b32_e32 v34, s28
	s_load_dwordx4 s[12:15], s[4:5], 0x58
	s_mul_i32 s7, s7, s9
	v_mad_u64_u32 v[34:35], s[10:11], v36, s8, v[34:35]
	v_add_u32_e32 v37, s7, v37
	v_mov_b32_e32 v36, v35
	v_mad_u64_u32 v[36:37], s[10:11], v37, s8, v[36:37]
	v_mov_b32_e32 v35, v36
	v_lshlrev_b64 v[34:35], 2, v[34:35]
	s_waitcnt lgkmcnt(0)
	v_mov_b32_e32 v37, s15
	v_add_co_u32_e32 v36, vcc, s14, v34
	v_addc_co_u32_e32 v37, vcc, v37, v35, vcc
	global_store_dword v[36:37], v54, off
	v_mov_b32_e32 v36, s13
	v_add_co_u32_e32 v34, vcc, s12, v34
	v_addc_co_u32_e32 v35, vcc, v36, v35, vcc
	global_store_dword v[34:35], v56, off
.LBB11_17:
	s_or_b64 exec, exec, s[2:3]
	v_lshl_or_b32 v43, v1, 9, v55
	s_waitcnt lgkmcnt(0)
	s_barrier
	ds_read_b128 v[34:37], v43
	ds_read_b128 v[38:41], v43 offset:16
	s_waitcnt vmcnt(7) lgkmcnt(1)
	v_mfma_f32_16x16x16f16 v[44:47], v[14:15], v[34:35], 0
	v_cmp_gt_u32_e32 vcc, 64, v0
	s_mov_b32 s3, 0
	s_and_b64 s[0:1], vcc, s[0:1]
	v_mfma_f32_16x16x16f16 v[14:17], v[16:17], v[36:37], v[44:47]
	s_waitcnt vmcnt(6) lgkmcnt(0)
	v_mfma_f32_16x16x16f16 v[14:17], v[10:11], v[38:39], v[14:17]
	v_mfma_f32_16x16x16f16 v[10:13], v[12:13], v[40:41], v[14:17]
	s_nop 7
	s_nop 1
	ds_read_b128 v[14:17], v43 offset:2048
	ds_read_b128 v[34:37], v43 offset:2064
	s_waitcnt vmcnt(5) lgkmcnt(1)
	v_mfma_f32_16x16x16f16 v[10:13], v[6:7], v[14:15], v[10:13]
	v_mfma_f32_16x16x16f16 v[6:9], v[8:9], v[16:17], v[10:13]
	s_waitcnt vmcnt(4) lgkmcnt(0)
	v_mfma_f32_16x16x16f16 v[6:9], v[2:3], v[34:35], v[6:9]
	v_mfma_f32_16x16x16f16 v[2:5], v[4:5], v[36:37], v[6:9]
	s_nop 7
	s_nop 1
	ds_read_b128 v[6:9], v43 offset:4096
	ds_read_b128 v[10:13], v43 offset:4112
	s_waitcnt vmcnt(3) lgkmcnt(1)
	v_mfma_f32_16x16x16f16 v[2:5], v[30:31], v[6:7], v[2:5]
	v_mfma_f32_16x16x16f16 v[2:5], v[32:33], v[8:9], v[2:5]
	s_waitcnt vmcnt(2) lgkmcnt(0)
	v_mfma_f32_16x16x16f16 v[2:5], v[22:23], v[10:11], v[2:5]
	v_mfma_f32_16x16x16f16 v[2:5], v[24:25], v[12:13], v[2:5]
	ds_read_b128 v[6:9], v43 offset:6144
	ds_read_b128 v[10:13], v43 offset:6160
	s_waitcnt lgkmcnt(0)
	s_barrier
	s_waitcnt vmcnt(1)
	v_mfma_f32_16x16x16f16 v[2:5], v[26:27], v[6:7], v[2:5]
	v_mfma_f32_16x16x16f16 v[2:5], v[28:29], v[8:9], v[2:5]
	s_waitcnt vmcnt(0)
	v_mfma_f32_16x16x16f16 v[2:5], v[18:19], v[10:11], v[2:5]
	v_mfma_f32_16x16x16f16 v[2:5], v[20:21], v[12:13], v[2:5]
	s_nop 7
	s_nop 2
	v_cvt_f16_f32_e32 v2, v2
	v_cvt_f16_f32_e32 v3, v3
	;; [unrolled: 1-line block ×4, first 2 shown]
	v_pack_b32_f16 v2, v2, v3
	v_pack_b32_f16 v3, v4, v5
	ds_write_b64 v42, v[2:3]
	s_waitcnt lgkmcnt(0)
	s_barrier
	s_and_saveexec_b64 s[10:11], s[0:1]
	s_cbranch_execz .LBB11_19
; %bb.18:
	s_load_dwordx2 s[0:1], s[4:5], 0x68
	s_lshl_b32 s7, s8, 6
	s_mul_i32 s2, s9, s6
	s_mul_hi_u32 s5, s2, s7
	s_mul_i32 s4, s2, s7
	s_lshl_b64 s[4:5], s[4:5], 1
	s_waitcnt lgkmcnt(0)
	s_add_u32 s4, s0, s4
	s_addc_u32 s5, s1, s5
	s_lshl_b32 s2, s28, 6
	v_lshlrev_b32_e32 v0, 10, v0
	s_lshl_b64 s[0:1], s[2:3], 1
	v_and_b32_e32 v0, 0x1800, v0
	v_lshlrev_b32_e32 v2, 5, v1
	v_and_b32_e32 v3, 16, v51
	s_add_u32 s0, s4, s0
	v_or3_b32 v0, v0, v2, v3
	s_addc_u32 s1, s5, s1
	ds_read_b128 v[2:5], v0
	ds_read_b128 v[6:9], v0 offset:128
	ds_read_b128 v[10:13], v0 offset:256
	v_or_b32_e32 v14, s29, v1
	v_mov_b32_e32 v0, s1
	v_add_co_u32_e32 v15, vcc, s0, v50
	v_addc_co_u32_e32 v16, vcc, 0, v0, vcc
	v_mad_u64_u32 v[0:1], s[0:1], v14, s7, 0
	v_lshlrev_b64 v[0:1], 1, v[0:1]
	v_add_co_u32_e32 v0, vcc, v15, v0
	v_addc_co_u32_e32 v1, vcc, v16, v1, vcc
	s_waitcnt lgkmcnt(2)
	global_store_dwordx4 v[0:1], v[2:5], off
	v_add_u32_e32 v0, 4, v14
	v_mad_u64_u32 v[0:1], s[0:1], v0, s7, 0
	v_lshlrev_b64 v[0:1], 1, v[0:1]
	v_add_co_u32_e32 v0, vcc, v15, v0
	v_addc_co_u32_e32 v1, vcc, v16, v1, vcc
	s_waitcnt lgkmcnt(1)
	global_store_dwordx4 v[0:1], v[6:9], off
	v_add_u32_e32 v0, 8, v14
	v_mad_u64_u32 v[0:1], s[0:1], v0, s7, 0
	v_lshlrev_b64 v[0:1], 1, v[0:1]
	v_add_co_u32_e32 v0, vcc, v15, v0
	v_addc_co_u32_e32 v1, vcc, v16, v1, vcc
	s_waitcnt lgkmcnt(0)
	global_store_dwordx4 v[0:1], v[10:13], off
.LBB11_19:
	s_endpgm
	.section	.rodata,"a",@progbits
	.p2align	6, 0x0
	.amdhsa_kernel _Z39paged_attention_ll4mi_QKV_mfma16_kernelIDF16_DF16_LN4vllm18Fp8KVCacheDataTypeE0EDF16_Li16ELi64ELi256ELb1ELi12EL8MFMAType0EEvPKT_PKT0_S8_ifPKiSA_SA_iPKfiiiPfSD_PS3_PT2_iSC_SC_
		.amdhsa_group_segment_fixed_size 8192
		.amdhsa_private_segment_fixed_size 0
		.amdhsa_kernarg_size 400
		.amdhsa_user_sgpr_count 6
		.amdhsa_user_sgpr_private_segment_buffer 1
		.amdhsa_user_sgpr_dispatch_ptr 0
		.amdhsa_user_sgpr_queue_ptr 0
		.amdhsa_user_sgpr_kernarg_segment_ptr 1
		.amdhsa_user_sgpr_dispatch_id 0
		.amdhsa_user_sgpr_flat_scratch_init 0
		.amdhsa_user_sgpr_kernarg_preload_length 0
		.amdhsa_user_sgpr_kernarg_preload_offset 0
		.amdhsa_user_sgpr_private_segment_size 0
		.amdhsa_uses_dynamic_stack 0
		.amdhsa_system_sgpr_private_segment_wavefront_offset 0
		.amdhsa_system_sgpr_workgroup_id_x 1
		.amdhsa_system_sgpr_workgroup_id_y 1
		.amdhsa_system_sgpr_workgroup_id_z 1
		.amdhsa_system_sgpr_workgroup_info 0
		.amdhsa_system_vgpr_workitem_id 0
		.amdhsa_next_free_vgpr 67
		.amdhsa_next_free_sgpr 48
		.amdhsa_accum_offset 68
		.amdhsa_reserve_vcc 1
		.amdhsa_reserve_flat_scratch 0
		.amdhsa_float_round_mode_32 0
		.amdhsa_float_round_mode_16_64 0
		.amdhsa_float_denorm_mode_32 3
		.amdhsa_float_denorm_mode_16_64 3
		.amdhsa_dx10_clamp 1
		.amdhsa_ieee_mode 1
		.amdhsa_fp16_overflow 0
		.amdhsa_tg_split 0
		.amdhsa_exception_fp_ieee_invalid_op 0
		.amdhsa_exception_fp_denorm_src 0
		.amdhsa_exception_fp_ieee_div_zero 0
		.amdhsa_exception_fp_ieee_overflow 0
		.amdhsa_exception_fp_ieee_underflow 0
		.amdhsa_exception_fp_ieee_inexact 0
		.amdhsa_exception_int_div_zero 0
	.end_amdhsa_kernel
	.section	.text._Z39paged_attention_ll4mi_QKV_mfma16_kernelIDF16_DF16_LN4vllm18Fp8KVCacheDataTypeE0EDF16_Li16ELi64ELi256ELb1ELi12EL8MFMAType0EEvPKT_PKT0_S8_ifPKiSA_SA_iPKfiiiPfSD_PS3_PT2_iSC_SC_,"axG",@progbits,_Z39paged_attention_ll4mi_QKV_mfma16_kernelIDF16_DF16_LN4vllm18Fp8KVCacheDataTypeE0EDF16_Li16ELi64ELi256ELb1ELi12EL8MFMAType0EEvPKT_PKT0_S8_ifPKiSA_SA_iPKfiiiPfSD_PS3_PT2_iSC_SC_,comdat
.Lfunc_end11:
	.size	_Z39paged_attention_ll4mi_QKV_mfma16_kernelIDF16_DF16_LN4vllm18Fp8KVCacheDataTypeE0EDF16_Li16ELi64ELi256ELb1ELi12EL8MFMAType0EEvPKT_PKT0_S8_ifPKiSA_SA_iPKfiiiPfSD_PS3_PT2_iSC_SC_, .Lfunc_end11-_Z39paged_attention_ll4mi_QKV_mfma16_kernelIDF16_DF16_LN4vllm18Fp8KVCacheDataTypeE0EDF16_Li16ELi64ELi256ELb1ELi12EL8MFMAType0EEvPKT_PKT0_S8_ifPKiSA_SA_iPKfiiiPfSD_PS3_PT2_iSC_SC_
                                        ; -- End function
	.section	.AMDGPU.csdata,"",@progbits
; Kernel info:
; codeLenInByte = 4304
; NumSgprs: 52
; NumVgprs: 67
; NumAgprs: 0
; TotalNumVgprs: 67
; ScratchSize: 0
; MemoryBound: 0
; FloatMode: 240
; IeeeMode: 1
; LDSByteSize: 8192 bytes/workgroup (compile time only)
; SGPRBlocks: 6
; VGPRBlocks: 8
; NumSGPRsForWavesPerEU: 52
; NumVGPRsForWavesPerEU: 67
; AccumOffset: 68
; Occupancy: 7
; WaveLimiterHint : 1
; COMPUTE_PGM_RSRC2:SCRATCH_EN: 0
; COMPUTE_PGM_RSRC2:USER_SGPR: 6
; COMPUTE_PGM_RSRC2:TRAP_HANDLER: 0
; COMPUTE_PGM_RSRC2:TGID_X_EN: 1
; COMPUTE_PGM_RSRC2:TGID_Y_EN: 1
; COMPUTE_PGM_RSRC2:TGID_Z_EN: 1
; COMPUTE_PGM_RSRC2:TIDIG_COMP_CNT: 0
; COMPUTE_PGM_RSRC3_GFX90A:ACCUM_OFFSET: 16
; COMPUTE_PGM_RSRC3_GFX90A:TG_SPLIT: 0
	.section	.text._Z39paged_attention_ll4mi_QKV_mfma16_kernelIDF16_DF16_LN4vllm18Fp8KVCacheDataTypeE0EDF16_Li16ELi64ELi256ELb1ELi13EL8MFMAType0EEvPKT_PKT0_S8_ifPKiSA_SA_iPKfiiiPfSD_PS3_PT2_iSC_SC_,"axG",@progbits,_Z39paged_attention_ll4mi_QKV_mfma16_kernelIDF16_DF16_LN4vllm18Fp8KVCacheDataTypeE0EDF16_Li16ELi64ELi256ELb1ELi13EL8MFMAType0EEvPKT_PKT0_S8_ifPKiSA_SA_iPKfiiiPfSD_PS3_PT2_iSC_SC_,comdat
	.protected	_Z39paged_attention_ll4mi_QKV_mfma16_kernelIDF16_DF16_LN4vllm18Fp8KVCacheDataTypeE0EDF16_Li16ELi64ELi256ELb1ELi13EL8MFMAType0EEvPKT_PKT0_S8_ifPKiSA_SA_iPKfiiiPfSD_PS3_PT2_iSC_SC_ ; -- Begin function _Z39paged_attention_ll4mi_QKV_mfma16_kernelIDF16_DF16_LN4vllm18Fp8KVCacheDataTypeE0EDF16_Li16ELi64ELi256ELb1ELi13EL8MFMAType0EEvPKT_PKT0_S8_ifPKiSA_SA_iPKfiiiPfSD_PS3_PT2_iSC_SC_
	.globl	_Z39paged_attention_ll4mi_QKV_mfma16_kernelIDF16_DF16_LN4vllm18Fp8KVCacheDataTypeE0EDF16_Li16ELi64ELi256ELb1ELi13EL8MFMAType0EEvPKT_PKT0_S8_ifPKiSA_SA_iPKfiiiPfSD_PS3_PT2_iSC_SC_
	.p2align	8
	.type	_Z39paged_attention_ll4mi_QKV_mfma16_kernelIDF16_DF16_LN4vllm18Fp8KVCacheDataTypeE0EDF16_Li16ELi64ELi256ELb1ELi13EL8MFMAType0EEvPKT_PKT0_S8_ifPKiSA_SA_iPKfiiiPfSD_PS3_PT2_iSC_SC_,@function
_Z39paged_attention_ll4mi_QKV_mfma16_kernelIDF16_DF16_LN4vllm18Fp8KVCacheDataTypeE0EDF16_Li16ELi64ELi256ELb1ELi13EL8MFMAType0EEvPKT_PKT0_S8_ifPKiSA_SA_iPKfiiiPfSD_PS3_PT2_iSC_SC_: ; @_Z39paged_attention_ll4mi_QKV_mfma16_kernelIDF16_DF16_LN4vllm18Fp8KVCacheDataTypeE0EDF16_Li16ELi64ELi256ELb1ELi13EL8MFMAType0EEvPKT_PKT0_S8_ifPKiSA_SA_iPKfiiiPfSD_PS3_PT2_iSC_SC_
; %bb.0:
	s_load_dwordx2 s[0:1], s[4:5], 0x30
	s_mov_b32 s28, s7
	s_mov_b64 s[10:11], 0
	s_waitcnt lgkmcnt(0)
	s_cmp_lg_u64 s[0:1], 0
	s_cselect_b64 s[2:3], -1, 0
	s_and_b64 vcc, exec, s[2:3]
	s_cbranch_vccz .LBB12_7
; %bb.1:
	s_add_i32 s12, s6, 1
	s_mov_b32 s13, 0
	s_lshl_b64 s[14:15], s[12:13], 2
	s_add_u32 s14, s0, s14
	s_mov_b32 s7, s13
	s_addc_u32 s15, s1, s15
	s_lshl_b64 s[12:13], s[6:7], 2
	s_add_u32 s12, s0, s12
	s_addc_u32 s13, s1, s13
	s_load_dword s9, s[14:15], 0x0
	s_load_dword s16, s[12:13], 0x0
	s_waitcnt lgkmcnt(0)
	s_sub_i32 s9, s9, s16
	s_cmp_eq_u32 s9, 1
	s_cselect_b64 s[12:13], -1, 0
	s_andn2_b64 vcc, exec, s[10:11]
	s_cbranch_vccnz .LBB12_3
.LBB12_2:
	s_mov_b32 s7, 0
	s_mov_b64 s[12:13], -1
.LBB12_3:
	s_andn2_b64 vcc, exec, s[12:13]
	s_cbranch_vccnz .LBB12_20
; %bb.4:
	s_load_dwordx2 s[12:13], s[4:5], 0x28
	s_lshl_b64 s[10:11], s[6:7], 2
	s_waitcnt lgkmcnt(0)
	s_add_u32 s12, s12, s10
	s_addc_u32 s13, s13, s11
	s_load_dword s33, s[12:13], 0x0
	s_lshl_b32 s14, s28, 8
	s_waitcnt lgkmcnt(0)
	s_cmp_ge_i32 s14, s33
	s_cbranch_scc1 .LBB12_20
; %bb.5:
	s_add_i32 s15, s33, 15
	s_load_dwordx2 s[12:13], s[4:5], 0x20
	s_load_dword s9, s[4:5], 0x38
	s_ashr_i32 s16, s15, 31
	v_and_b32_e32 v1, 0xcf, v0
	s_lshr_b32 s16, s16, 28
	v_add_u32_e32 v1, s14, v1
	s_add_i32 s15, s15, s16
	v_ashrrev_i32_e32 v2, 31, v1
	s_ashr_i32 s17, s15, 4
	v_lshrrev_b32_e32 v4, 28, v2
	s_add_i32 s17, s17, -1
	v_add_u32_e32 v2, v1, v4
	s_waitcnt lgkmcnt(0)
	s_mul_i32 s18, s6, s9
	s_mov_b32 s19, 0
	v_ashrrev_i32_e32 v2, 4, v2
	v_mov_b32_e32 v5, s17
	v_cmp_gt_i32_e32 vcc, s33, v1
	s_lshl_b64 s[18:19], s[18:19], 2
	v_cndmask_b32_e32 v2, v5, v2, vcc
	s_add_u32 s15, s12, s18
	v_ashrrev_i32_e32 v3, 31, v2
	s_addc_u32 s16, s13, s19
	v_lshlrev_b64 v[2:3], 2, v[2:3]
	v_mov_b32_e32 v7, s16
	v_add_co_u32_e32 v6, vcc, s15, v2
	v_or_b32_e32 v2, 16, v1
	v_addc_co_u32_e32 v7, vcc, v7, v3, vcc
	v_add_u32_e32 v3, v2, v4
	v_ashrrev_i32_e32 v3, 4, v3
	v_cmp_gt_i32_e32 vcc, s33, v2
	v_cndmask_b32_e32 v2, v5, v3, vcc
	v_ashrrev_i32_e32 v3, 31, v2
	v_lshlrev_b64 v[2:3], 2, v[2:3]
	v_mov_b32_e32 v9, s16
	v_add_co_u32_e32 v8, vcc, s15, v2
	v_or_b32_e32 v2, 32, v1
	v_addc_co_u32_e32 v9, vcc, v9, v3, vcc
	v_add_u32_e32 v3, v2, v4
	v_ashrrev_i32_e32 v3, 4, v3
	v_cmp_gt_i32_e32 vcc, s33, v2
	v_cndmask_b32_e32 v2, v5, v3, vcc
	v_ashrrev_i32_e32 v3, 31, v2
	;; [unrolled: 10-line block ×3, first 2 shown]
	v_lshlrev_b64 v[2:3], 2, v[2:3]
	v_mov_b32_e32 v1, s16
	v_add_co_u32_e32 v12, vcc, s15, v2
	v_addc_co_u32_e32 v13, vcc, v1, v3, vcc
	global_load_dword v5, v[6:7], off
	global_load_dword v4, v[8:9], off
	global_load_dword v3, v[10:11], off
	global_load_dword v2, v[12:13], off
	s_load_dwordx2 s[12:13], s[4:5], 0x8
	s_andn2_b64 vcc, exec, s[2:3]
	s_cbranch_vccnz .LBB12_8
; %bb.6:
	s_add_u32 s0, s0, s10
	s_addc_u32 s1, s1, s11
	s_load_dword s9, s[0:1], 0x0
	s_branch .LBB12_9
.LBB12_7:
	s_mov_b64 s[12:13], 0
	s_branch .LBB12_2
.LBB12_8:
	s_mov_b32 s9, s6
.LBB12_9:
	s_load_dwordx2 s[2:3], s[4:5], 0x10
	s_load_dwordx4 s[44:47], s[4:5], 0x48
	v_lshrrev_b32_e32 v53, 6, v0
	v_bfe_u32 v1, v0, 4, 2
	v_lshl_or_b32 v6, v53, 2, v1
	v_and_b32_e32 v52, 15, v0
	v_lshlrev_b32_e32 v7, 3, v52
	v_cmp_gt_u32_e32 vcc, 13, v6
	v_cmp_gt_u32_e64 s[0:1], 8, v52
	s_mul_i32 s29, s8, 13
	s_and_b64 s[18:19], s[0:1], vcc
	v_lshlrev_b32_e32 v50, 1, v7
	s_and_saveexec_b64 s[10:11], s[18:19]
	s_cbranch_execz .LBB12_11
; %bb.10:
	s_load_dwordx2 s[18:19], s[4:5], 0x0
	s_waitcnt lgkmcnt(0)
	s_ashr_i32 s20, s44, 31
	s_mul_hi_u32 s21, s9, s44
	s_mul_i32 s20, s9, s20
	s_add_i32 s21, s21, s20
	s_mul_i32 s20, s9, s44
	s_lshl_b64 s[20:21], s[20:21], 1
	v_add_lshl_u32 v8, v6, s29, 6
	s_add_u32 s9, s18, s20
	v_ashrrev_i32_e32 v9, 31, v8
	s_addc_u32 s18, s19, s21
	v_lshlrev_b64 v[8:9], 1, v[8:9]
	v_mov_b32_e32 v7, s18
	v_add_co_u32_e32 v8, vcc, s9, v8
	v_addc_co_u32_e32 v7, vcc, v7, v9, vcc
	v_add_co_u32_e32 v8, vcc, v8, v50
	v_addc_co_u32_e32 v9, vcc, 0, v7, vcc
	global_load_dwordx4 v[8:11], v[8:9], off
	v_and_b32_e32 v7, 3, v0
	v_lshlrev_b32_e32 v12, 9, v52
	v_lshlrev_b32_e32 v6, 5, v6
	;; [unrolled: 1-line block ×3, first 2 shown]
	v_and_b32_e32 v12, 0x1800, v12
	v_or3_b32 v6, v12, v7, v6
	s_waitcnt vmcnt(0)
	ds_write_b128 v6, v[8:11]
.LBB12_11:
	s_or_b64 exec, exec, s[10:11]
	s_waitcnt lgkmcnt(0)
	s_mul_i32 s8, s8, s46
	s_mov_b32 s9, 0
	s_lshl_b64 s[8:9], s[8:9], 1
	s_add_u32 s10, s12, s8
	v_lshlrev_b32_e32 v51, 4, v0
	s_addc_u32 s11, s13, s9
	v_and_b32_e32 v6, 0xf0, v51
	v_mov_b32_e32 v7, s11
	v_add_co_u32_e32 v18, vcc, s10, v6
	v_addc_co_u32_e32 v19, vcc, 0, v7, vcc
	s_waitcnt vmcnt(3)
	v_mad_i64_i32 v[6:7], s[10:11], v5, s45, 0
	v_lshlrev_b64 v[6:7], 1, v[6:7]
	v_add_co_u32_e32 v5, vcc, v18, v6
	v_addc_co_u32_e32 v7, vcc, v19, v7, vcc
	v_and_b32_e32 v20, 0x300, v51
	v_add_co_u32_e32 v6, vcc, v5, v20
	s_waitcnt vmcnt(2)
	v_mad_i64_i32 v[4:5], s[10:11], v4, s45, 0
	v_addc_co_u32_e32 v7, vcc, 0, v7, vcc
	v_lshlrev_b64 v[4:5], 1, v[4:5]
	v_add_co_u32_e32 v4, vcc, v18, v4
	v_addc_co_u32_e32 v5, vcc, v19, v5, vcc
	v_add_co_u32_e32 v4, vcc, v4, v20
	v_addc_co_u32_e32 v5, vcc, 0, v5, vcc
	s_barrier
	global_load_dwordx4 v[38:41], v[6:7], off
	global_load_dwordx4 v[34:37], v[6:7], off offset:1024
	global_load_dwordx4 v[30:33], v[4:5], off
	global_load_dwordx4 v[14:17], v[4:5], off offset:1024
	s_waitcnt vmcnt(5)
	v_mad_i64_i32 v[4:5], s[10:11], v3, s45, 0
	v_lshlrev_b64 v[4:5], 1, v[4:5]
	v_add_co_u32_e32 v3, vcc, v18, v4
	v_addc_co_u32_e32 v5, vcc, v19, v5, vcc
	v_add_co_u32_e32 v4, vcc, v3, v20
	s_waitcnt vmcnt(4)
	v_mad_i64_i32 v[2:3], s[10:11], v2, s45, 0
	v_addc_co_u32_e32 v5, vcc, 0, v5, vcc
	v_lshlrev_b64 v[2:3], 1, v[2:3]
	v_add_co_u32_e32 v2, vcc, v18, v2
	v_addc_co_u32_e32 v3, vcc, v19, v3, vcc
	v_add_co_u32_e32 v22, vcc, v2, v20
	v_addc_co_u32_e32 v23, vcc, 0, v3, vcc
	global_load_dwordx4 v[10:13], v[4:5], off
	global_load_dwordx4 v[6:9], v[4:5], off offset:1024
	s_nop 0
	global_load_dwordx4 v[2:5], v[22:23], off
	global_load_dwordx4 v[18:21], v[22:23], off offset:1024
	v_add_u32_e32 v22, -13, v52
	v_cmp_gt_u32_e32 vcc, 13, v52
	v_cndmask_b32_e32 v22, v22, v52, vcc
	v_lshlrev_b32_e32 v22, 5, v22
	v_lshl_add_u32 v22, v1, 9, v22
	ds_read_b128 v[26:29], v22
	ds_read_b128 v[22:25], v22 offset:2048
	v_and_b32_e32 v54, 63, v0
	v_mov_b32_e32 v48, 0
	s_and_saveexec_b64 s[10:11], vcc
	s_cbranch_execz .LBB12_13
; %bb.12:
	s_load_dwordx2 s[12:13], s[4:5], 0x40
	v_add_u32_e32 v42, s29, v52
	v_ashrrev_i32_e32 v43, 31, v42
	v_lshlrev_b64 v[42:43], 2, v[42:43]
	s_waitcnt lgkmcnt(0)
	v_mov_b32_e32 v44, s13
	v_add_co_u32_e32 v42, vcc, s12, v42
	v_addc_co_u32_e32 v43, vcc, v44, v43, vcc
	global_load_dword v48, v[42:43], off
.LBB12_13:
	s_or_b64 exec, exec, s[10:11]
	s_waitcnt vmcnt(7) lgkmcnt(1)
	v_mfma_f32_16x16x16f16 v[42:45], v[38:39], v[26:27], 0
	s_add_u32 s2, s2, s8
	v_lshlrev_b32_e32 v55, 5, v52
	s_addc_u32 s3, s3, s9
	s_load_dword s10, s[4:5], 0x1c
	s_mov_b32 s42, 0xff7fffff
	v_mfma_f32_16x16x16f16 v[38:41], v[40:41], v[28:29], v[42:45]
	s_waitcnt vmcnt(6) lgkmcnt(0)
	v_mfma_f32_16x16x16f16 v[38:41], v[34:35], v[22:23], v[38:41]
	s_nop 4
	v_and_or_b32 v44, v0, 48, s14
	v_mov_b32_e32 v45, s17
	v_cmp_gt_i32_e32 vcc, s33, v44
	v_mfma_f32_16x16x16f16 v[34:37], v[36:37], v[24:25], v[38:41]
	s_nop 6
	v_ashrrev_i32_e32 v38, 4, v44
	v_cndmask_b32_e32 v42, v45, v38, vcc
	v_ashrrev_i32_e32 v43, 31, v42
	s_waitcnt vmcnt(5)
	v_mfma_f32_16x16x16f16 v[38:41], v[30:31], v[26:27], 0
	v_lshlrev_b64 v[30:31], 2, v[42:43]
	v_mov_b32_e32 v42, s16
	v_add_co_u32_e32 v30, vcc, s15, v30
	v_addc_co_u32_e32 v31, vcc, v42, v31, vcc
	global_load_dword v42, v[30:31], off
	v_mfma_f32_16x16x16f16 v[30:33], v[32:33], v[28:29], v[38:41]
	v_pk_mul_f32 v[46:47], s[10:11], v[36:37] op_sel_hi:[0,1]
	s_nop 5
	v_or_b32_e32 v38, 64, v44
	v_ashrrev_i32_e32 v39, 4, v38
	v_cmp_gt_i32_e32 vcc, s33, v38
	v_cndmask_b32_e32 v38, v45, v39, vcc
	v_ashrrev_i32_e32 v39, 31, v38
	v_lshlrev_b64 v[38:39], 2, v[38:39]
	s_waitcnt vmcnt(5)
	v_mfma_f32_16x16x16f16 v[30:33], v[14:15], v[22:23], v[30:33]
	v_mov_b32_e32 v40, s16
	v_add_co_u32_e32 v14, vcc, s15, v38
	v_addc_co_u32_e32 v15, vcc, v40, v39, vcc
	global_load_dword v40, v[14:15], off
	v_or_b32_e32 v14, 0x80, v44
	v_ashrrev_i32_e32 v15, 4, v14
	v_cmp_gt_i32_e32 vcc, s33, v14
	v_cndmask_b32_e32 v14, v45, v15, vcc
	v_ashrrev_i32_e32 v15, 31, v14
	v_lshlrev_b64 v[14:15], 2, v[14:15]
	v_mfma_f32_16x16x16f16 v[30:33], v[16:17], v[24:25], v[30:33]
	v_mov_b32_e32 v16, s16
	v_add_co_u32_e32 v38, vcc, s15, v14
	v_addc_co_u32_e32 v39, vcc, v16, v15, vcc
	global_load_dword v38, v[38:39], off
	s_waitcnt vmcnt(6)
	v_mfma_f32_16x16x16f16 v[14:17], v[10:11], v[26:27], 0
	v_mfma_f32_16x16x16f16 v[10:13], v[12:13], v[28:29], v[14:17]
	s_nop 7
	s_nop 1
	v_or_b32_e32 v14, 0xc0, v44
	v_ashrrev_i32_e32 v15, 4, v14
	v_cmp_gt_i32_e32 vcc, s33, v14
	v_cndmask_b32_e32 v14, v45, v15, vcc
	s_waitcnt vmcnt(5)
	v_mfma_f32_16x16x16f16 v[10:13], v[6:7], v[22:23], v[10:13]
	v_ashrrev_i32_e32 v15, 31, v14
	v_lshlrev_b64 v[14:15], 2, v[14:15]
	v_mov_b32_e32 v16, s16
	v_add_co_u32_e32 v6, vcc, s15, v14
	v_addc_co_u32_e32 v7, vcc, v16, v15, vcc
	global_load_dword v49, v[6:7], off
	v_lshl_or_b32 v6, v53, 9, v55
	v_mov_b32_e32 v7, s3
	v_add_co_u32_e32 v60, vcc, s2, v6
	v_addc_co_u32_e32 v61, vcc, 0, v7, vcc
	v_mfma_f32_16x16x16f16 v[56:59], v[8:9], v[24:25], v[10:13]
	v_pk_mul_f32 v[44:45], s[10:11], v[30:31] op_sel_hi:[0,1]
	s_waitcnt vmcnt(3)
	v_mad_i64_i32 v[6:7], s[2:3], v42, s45, 0
	s_nop 3
	v_lshlrev_b64 v[10:11], 1, v[6:7]
	v_mfma_f32_16x16x16f16 v[6:9], v[2:3], v[26:27], 0
	v_add_co_u32_e32 v2, vcc, v60, v10
	v_addc_co_u32_e32 v3, vcc, v61, v11, vcc
	global_load_dwordx4 v[14:17], v[2:3], off
	global_load_dwordx4 v[10:13], v[2:3], off offset:16
	v_pk_mul_f32 v[42:43], s[10:11], v[32:33] op_sel_hi:[0,1]
	s_waitcnt vmcnt(4)
	v_mad_i64_i32 v[2:3], s[2:3], v40, s45, 0
	v_mfma_f32_16x16x16f16 v[26:29], v[4:5], v[28:29], v[6:9]
	v_lshlrev_b64 v[2:3], 1, v[2:3]
	v_add_co_u32_e32 v2, vcc, v60, v2
	v_addc_co_u32_e32 v3, vcc, v61, v3, vcc
	v_pk_mul_f32 v[40:41], s[10:11], v[56:57] op_sel_hi:[0,1]
	s_nop 2
	global_load_dwordx4 v[6:9], v[2:3], off
	s_nop 0
	global_load_dwordx4 v[2:5], v[2:3], off offset:16
	v_mfma_f32_16x16x16f16 v[26:29], v[18:19], v[22:23], v[26:29]
	v_pk_mul_f32 v[18:19], s[10:11], v[34:35] op_sel_hi:[0,1]
	s_waitcnt vmcnt(5)
	v_mad_i64_i32 v[38:39], s[2:3], v38, s45, 0
	v_lshlrev_b64 v[38:39], 1, v[38:39]
	v_add_co_u32_e32 v22, vcc, v60, v38
	v_mfma_f32_16x16x16f16 v[24:27], v[20:21], v[24:25], v[26:29]
	v_and_b32_e32 v20, 0xc0, v0
	v_add_u32_e32 v20, s14, v20
	v_lshl_or_b32 v20, v1, 2, v20
	v_or_b32_e32 v21, 1, v20
	v_addc_co_u32_e32 v23, vcc, v61, v39, vcc
	v_pk_mul_f32 v[38:39], s[10:11], v[58:59] op_sel_hi:[0,1]
	s_nop 4
	v_pk_mul_f32 v[36:37], s[10:11], v[24:25] op_sel_hi:[0,1]
	v_subrev_u32_e32 v24, s33, v21
	v_pk_mul_f32 v[34:35], s[10:11], v[26:27] op_sel_hi:[0,1]
	v_add_u32_e32 v26, 1, v24
	v_add_u32_e32 v27, 2, v24
	v_cvt_f32_i32_e32 v25, v24
	v_cvt_f32_i32_e32 v26, v26
	;; [unrolled: 1-line block ×3, first 2 shown]
	v_add_u32_e32 v28, 3, v24
	v_fma_f32 v18, v48, v25, v18
	v_fmac_f32_e32 v19, v48, v26
	v_fma_f32 v46, v48, v27, v46
	v_add_u32_e32 v25, 16, v24
	v_add_u32_e32 v26, 17, v24
	;; [unrolled: 1-line block ×3, first 2 shown]
	v_cvt_f32_i32_e32 v28, v28
	v_cvt_f32_i32_e32 v25, v25
	;; [unrolled: 1-line block ×4, first 2 shown]
	v_fmac_f32_e32 v47, v48, v28
	v_add_u32_e32 v28, 19, v24
	v_fma_f32 v44, v48, v25, v44
	v_fmac_f32_e32 v45, v48, v26
	v_fma_f32 v42, v48, v27, v42
	v_add_u32_e32 v25, 32, v24
	v_add_u32_e32 v26, 33, v24
	;; [unrolled: 1-line block ×3, first 2 shown]
	v_cvt_f32_i32_e32 v28, v28
	v_cvt_f32_i32_e32 v25, v25
	;; [unrolled: 1-line block ×4, first 2 shown]
	v_fmac_f32_e32 v43, v48, v28
	v_add_u32_e32 v28, 35, v24
	v_fma_f32 v40, v48, v25, v40
	v_fmac_f32_e32 v41, v48, v26
	v_fma_f32 v38, v48, v27, v38
	v_add_u32_e32 v25, 48, v24
	v_add_u32_e32 v26, 49, v24
	;; [unrolled: 1-line block ×4, first 2 shown]
	v_cvt_f32_i32_e32 v24, v24
	v_cvt_f32_i32_e32 v25, v25
	v_cvt_f32_i32_e32 v26, v26
	v_cmp_gt_i32_e64 s[30:31], s33, v20
	v_fmac_f32_e32 v35, v48, v24
	v_mov_b32_e32 v24, 0xff7fffff
	v_cmp_gt_i32_e64 s[34:35], s33, v21
	v_fma_f32 v36, v48, v25, v36
	v_cndmask_b32_e64 v25, v24, v18, s[30:31]
	v_cndmask_b32_e64 v21, v24, v19, s[34:35]
	v_fmac_f32_e32 v37, v48, v26
	v_max3_f32 v21, v25, s42, v21
	v_or_b32_e32 v25, 2, v20
	v_or_b32_e32 v26, 3, v20
	v_cmp_gt_i32_e64 s[36:37], s33, v25
	v_cmp_gt_i32_e64 s[38:39], s33, v26
	v_cndmask_b32_e64 v25, v24, v46, s[36:37]
	v_cndmask_b32_e64 v26, v24, v47, s[38:39]
	v_max3_f32 v21, v21, v25, v26
	v_or_b32_e32 v25, 16, v20
	v_or_b32_e32 v26, 17, v20
	v_cmp_gt_i32_e64 s[24:25], s33, v25
	v_cmp_gt_i32_e64 s[26:27], s33, v26
	v_cndmask_b32_e64 v25, v24, v44, s[24:25]
	v_cndmask_b32_e64 v26, v24, v45, s[26:27]
	;; [unrolled: 7-line block ×3, first 2 shown]
	v_cvt_f32_i32_e32 v28, v28
	v_max3_f32 v21, v21, v25, v26
	v_or_b32_e32 v25, 32, v20
	v_or_b32_e32 v26, 33, v20
	v_cmp_gt_i32_e64 s[16:17], s33, v25
	v_cmp_gt_i32_e64 s[18:19], s33, v26
	v_cndmask_b32_e64 v25, v24, v40, s[16:17]
	v_cndmask_b32_e64 v26, v24, v41, s[18:19]
	v_max3_f32 v21, v21, v25, v26
	v_or_b32_e32 v25, 34, v20
	v_or_b32_e32 v26, 35, v20
	v_fmac_f32_e32 v39, v48, v28
	v_cmp_gt_i32_e64 s[12:13], s33, v25
	v_cmp_gt_i32_e64 s[14:15], s33, v26
	v_cndmask_b32_e64 v25, v24, v38, s[12:13]
	v_cndmask_b32_e64 v26, v24, v39, s[14:15]
	v_cvt_f32_i32_e32 v27, v27
	v_max3_f32 v21, v21, v25, v26
	v_or_b32_e32 v25, 48, v20
	v_or_b32_e32 v26, 49, v20
	v_cmp_gt_i32_e64 s[8:9], s33, v25
	v_cmp_gt_i32_e64 s[10:11], s33, v26
	v_cndmask_b32_e64 v25, v24, v36, s[8:9]
	v_cndmask_b32_e64 v26, v24, v37, s[10:11]
	v_max3_f32 v21, v21, v25, v26
	v_or_b32_e32 v25, 50, v20
	v_or_b32_e32 v20, 51, v20
	v_fma_f32 v34, v48, v27, v34
	v_cmp_gt_i32_e32 vcc, s33, v25
	v_cmp_gt_i32_e64 s[2:3], s33, v20
	v_cndmask_b32_e32 v25, v24, v34, vcc
	v_cndmask_b32_e64 v20, v24, v35, s[2:3]
	v_max3_f32 v26, v21, v25, v20
	v_mbcnt_lo_u32_b32 v20, -1, 0
	v_mbcnt_hi_u32_b32 v27, -1, v20
	v_and_b32_e32 v20, 64, v27
	v_add_u32_e32 v28, 64, v20
	v_xor_b32_e32 v20, 32, v27
	v_cmp_lt_i32_e64 s[40:41], v20, v28
	v_cndmask_b32_e64 v20, v27, v20, s[40:41]
	v_lshlrev_b32_e32 v57, 2, v20
	ds_bpermute_b32 v29, v57, v26
	s_waitcnt vmcnt(4)
	v_mad_i64_i32 v[20:21], s[40:41], v49, s45, 0
	v_lshlrev_b64 v[20:21], 1, v[20:21]
	global_load_dwordx4 v[30:33], v[22:23], off
	s_nop 0
	global_load_dwordx4 v[22:25], v[22:23], off offset:16
	s_waitcnt lgkmcnt(0)
	v_max_f32_e32 v29, v29, v29
	v_max_f32_e32 v26, v26, v29
	v_xor_b32_e32 v29, 16, v27
	v_cmp_lt_i32_e64 s[40:41], v29, v28
	v_cndmask_b32_e64 v27, v27, v29, s[40:41]
	v_lshlrev_b32_e32 v59, 2, v27
	ds_bpermute_b32 v27, v59, v26
	v_add_co_u32_e64 v20, s[40:41], v60, v20
	v_addc_co_u32_e64 v21, s[40:41], v61, v21, s[40:41]
	s_waitcnt lgkmcnt(0)
	v_max_f32_e32 v27, v27, v27
	v_max_f32_e32 v56, v26, v27
	v_sub_f32_e32 v18, v18, v56
	v_mul_f32_e32 v18, 0x3fb8aa3b, v18
	v_exp_f32_e32 v48, v18
	v_sub_f32_e32 v18, v19, v56
	v_mul_f32_e32 v18, 0x3fb8aa3b, v18
	v_exp_f32_e32 v49, v18
	global_load_dwordx4 v[26:29], v[20:21], off
	s_nop 0
	global_load_dwordx4 v[18:21], v[20:21], off offset:16
	v_sub_f32_e32 v46, v46, v56
	v_mul_f32_e32 v46, 0x3fb8aa3b, v46
	v_sub_f32_e32 v47, v47, v56
	v_exp_f32_e32 v46, v46
	v_mul_f32_e32 v47, 0x3fb8aa3b, v47
	v_sub_f32_e32 v44, v44, v56
	v_exp_f32_e32 v47, v47
	v_mul_f32_e32 v44, 0x3fb8aa3b, v44
	v_sub_f32_e32 v45, v45, v56
	v_cndmask_b32_e64 v48, 0, v48, s[30:31]
	v_exp_f32_e32 v44, v44
	v_mul_f32_e32 v45, 0x3fb8aa3b, v45
	v_sub_f32_e32 v42, v42, v56
	v_add_f32_e32 v58, 0, v48
	v_cndmask_b32_e64 v49, 0, v49, s[34:35]
	v_exp_f32_e32 v45, v45
	v_mul_f32_e32 v42, 0x3fb8aa3b, v42
	v_sub_f32_e32 v43, v43, v56
	v_add_f32_e32 v58, v58, v49
	v_cndmask_b32_e64 v46, 0, v46, s[36:37]
	v_exp_f32_e32 v42, v42
	v_mul_f32_e32 v43, 0x3fb8aa3b, v43
	v_sub_f32_e32 v40, v40, v56
	v_add_f32_e32 v58, v58, v46
	v_cndmask_b32_e64 v47, 0, v47, s[38:39]
	v_exp_f32_e32 v43, v43
	v_mul_f32_e32 v40, 0x3fb8aa3b, v40
	v_sub_f32_e32 v41, v41, v56
	v_add_f32_e32 v58, v58, v47
	v_cndmask_b32_e64 v44, 0, v44, s[24:25]
	v_exp_f32_e32 v40, v40
	v_mul_f32_e32 v41, 0x3fb8aa3b, v41
	v_sub_f32_e32 v38, v38, v56
	v_add_f32_e32 v58, v58, v44
	v_cndmask_b32_e64 v45, 0, v45, s[26:27]
	v_exp_f32_e32 v41, v41
	v_mul_f32_e32 v38, 0x3fb8aa3b, v38
	v_sub_f32_e32 v39, v39, v56
	v_add_f32_e32 v58, v58, v45
	v_cndmask_b32_e64 v42, 0, v42, s[20:21]
	v_exp_f32_e32 v38, v38
	v_mul_f32_e32 v39, 0x3fb8aa3b, v39
	v_sub_f32_e32 v36, v36, v56
	v_add_f32_e32 v58, v58, v42
	v_cndmask_b32_e64 v43, 0, v43, s[22:23]
	v_exp_f32_e32 v39, v39
	v_mul_f32_e32 v36, 0x3fb8aa3b, v36
	v_sub_f32_e32 v37, v37, v56
	v_add_f32_e32 v58, v58, v43
	v_cndmask_b32_e64 v40, 0, v40, s[16:17]
	v_exp_f32_e32 v36, v36
	v_mul_f32_e32 v37, 0x3fb8aa3b, v37
	v_sub_f32_e32 v34, v34, v56
	v_add_f32_e32 v58, v58, v40
	v_cndmask_b32_e64 v41, 0, v41, s[18:19]
	v_exp_f32_e32 v37, v37
	v_mul_f32_e32 v34, 0x3fb8aa3b, v34
	v_sub_f32_e32 v35, v35, v56
	v_add_f32_e32 v58, v58, v41
	v_cndmask_b32_e64 v38, 0, v38, s[12:13]
	v_exp_f32_e32 v34, v34
	v_mul_f32_e32 v35, 0x3fb8aa3b, v35
	v_add_f32_e32 v58, v58, v38
	v_cndmask_b32_e64 v39, 0, v39, s[14:15]
	v_exp_f32_e32 v35, v35
	v_add_f32_e32 v58, v58, v39
	v_cndmask_b32_e64 v36, 0, v36, s[8:9]
	v_add_f32_e32 v58, v58, v36
	v_cndmask_b32_e64 v37, 0, v37, s[10:11]
	v_add_f32_e32 v58, v58, v37
	v_cndmask_b32_e32 v34, 0, v34, vcc
	v_add_f32_e32 v58, v58, v34
	v_cndmask_b32_e64 v35, 0, v35, s[2:3]
	v_add_f32_e32 v58, v58, v35
	ds_bpermute_b32 v57, v57, v58
	s_load_dword s11, s[4:5], 0x98
	v_cmp_gt_u32_e64 s[2:3], 16, v54
	s_waitcnt lgkmcnt(0)
	s_barrier
	v_add_f32_e32 v58, v58, v57
	ds_bpermute_b32 v59, v59, v58
	v_lshlrev_b32_e32 v57, 2, v52
	s_waitcnt lgkmcnt(0)
	s_and_saveexec_b64 s[8:9], s[2:3]
	s_cbranch_execz .LBB12_15
; %bb.14:
	v_add_f32_e32 v54, v58, v59
	v_lshl_or_b32 v58, v53, 6, v57
	ds_write2st64_b32 v58, v56, v54 offset1:1
.LBB12_15:
	s_or_b64 exec, exec, s[8:9]
	s_load_dword s10, s[4:5], 0x94
	s_waitcnt lgkmcnt(0)
	s_barrier
	ds_read2_b32 v[58:59], v57 offset1:16
	ds_read2_b32 v[60:61], v57 offset0:32 offset1:48
	ds_read2_b32 v[62:63], v57 offset0:64 offset1:80
	s_mul_i32 s11, s11, 13
	s_waitcnt lgkmcnt(2)
	v_max3_f32 v54, v58, s42, v59
	s_waitcnt lgkmcnt(1)
	v_max3_f32 v54, v54, v60, v61
	v_sub_f32_e32 v56, v58, v54
	v_mul_f32_e32 v56, 0x3fb8aa3b, v56
	v_exp_f32_e32 v64, v56
	v_sub_f32_e32 v56, v59, v54
	v_mul_f32_e32 v56, 0x3fb8aa3b, v56
	v_exp_f32_e32 v65, v56
	;; [unrolled: 3-line block ×3, first 2 shown]
	ds_read2_b32 v[58:59], v57 offset0:96 offset1:112
	v_sub_f32_e32 v56, v61, v54
	v_mul_f32_e32 v56, 0x3fb8aa3b, v56
	v_exp_f32_e32 v57, v56
	s_waitcnt lgkmcnt(1)
	v_fma_f32 v56, v64, v62, 0
	v_fmac_f32_e32 v56, v65, v63
	s_waitcnt lgkmcnt(0)
	v_fmac_f32_e32 v56, v60, v58
	v_fmac_f32_e32 v56, v57, v59
	v_add_f32_e32 v58, 0x358637bd, v56
	v_div_scale_f32 v59, s[8:9], v58, v58, 1.0
	v_rcp_f32_e32 v61, v59
	s_barrier
	v_fma_f32 v62, -v59, v61, 1.0
	v_fmac_f32_e32 v61, v62, v61
	v_div_scale_f32 v62, vcc, 1.0, v58, 1.0
	v_mul_f32_e32 v63, v62, v61
	v_fma_f32 v66, -v59, v63, v62
	v_fmac_f32_e32 v63, v66, v61
	v_fma_f32 v59, -v59, v63, v62
	v_div_fmas_f32 v59, v59, v61, v63
	v_cmp_eq_u32_e32 vcc, 1, v53
	v_div_fixup_f32 v58, v59, v58, 1.0
	v_cndmask_b32_e32 v59, v64, v65, vcc
	v_cmp_eq_u32_e32 vcc, 2, v53
	v_cndmask_b32_e32 v59, v59, v60, vcc
	v_cmp_eq_u32_e32 vcc, 3, v53
	v_cndmask_b32_e32 v57, v59, v57, vcc
	v_mul_f32_e32 v58, v57, v58
	v_pk_mul_f32 v[48:49], v[58:59], v[48:49] op_sel_hi:[0,1]
	v_cvt_f16_f32_e32 v48, v48
	v_cvt_f16_f32_e32 v49, v49
	v_pk_mul_f32 v[46:47], v[58:59], v[46:47] op_sel_hi:[0,1]
	v_pk_mul_f32 v[42:43], v[58:59], v[42:43] op_sel_hi:[0,1]
	;; [unrolled: 1-line block ×3, first 2 shown]
	v_cvt_f16_f32_e32 v57, v46
	v_cvt_f16_f32_e32 v47, v47
	v_pack_b32_f16 v46, v48, v49
	v_cvt_f16_f32_e32 v44, v44
	v_cvt_f16_f32_e32 v45, v45
	;; [unrolled: 1-line block ×4, first 2 shown]
	v_lshlrev_b32_e32 v48, 3, v1
	v_lshlrev_b32_e32 v42, 11, v53
	v_pack_b32_f16 v47, v57, v47
	v_or3_b32 v42, v42, v55, v48
	v_pack_b32_f16 v44, v44, v45
	v_pack_b32_f16 v45, v49, v43
	v_pk_mul_f32 v[38:39], v[58:59], v[38:39] op_sel_hi:[0,1]
	v_pk_mul_f32 v[40:41], v[58:59], v[40:41] op_sel_hi:[0,1]
	;; [unrolled: 1-line block ×4, first 2 shown]
	ds_write2st64_b64 v42, v[46:47], v[44:45] offset1:1
	v_cvt_f16_f32_e32 v40, v40
	v_cvt_f16_f32_e32 v41, v41
	;; [unrolled: 1-line block ×8, first 2 shown]
	v_pack_b32_f16 v34, v40, v41
	v_pack_b32_f16 v35, v38, v39
	;; [unrolled: 1-line block ×4, first 2 shown]
	v_cmp_gt_u32_e32 vcc, 13, v0
	ds_write2st64_b64 v42, v[34:35], v[36:37] offset0:2 offset1:3
	s_and_saveexec_b64 s[8:9], vcc
	s_cbranch_execz .LBB12_17
; %bb.16:
	v_add_co_u32_e32 v36, vcc, s29, v52
	v_addc_co_u32_e64 v37, s[16:17], 0, 0, vcc
	v_mov_b32_e32 v34, s11
	v_mov_b32_e32 v35, 0
	v_mad_u64_u32 v[36:37], s[16:17], s6, v34, v[36:37]
	v_mov_b32_e32 v34, s28
	s_load_dwordx4 s[12:15], s[4:5], 0x58
	s_mul_i32 s7, s7, s11
	v_mad_u64_u32 v[34:35], s[16:17], v36, s10, v[34:35]
	v_add_u32_e32 v37, s7, v37
	v_mov_b32_e32 v36, v35
	v_mad_u64_u32 v[36:37], s[16:17], v37, s10, v[36:37]
	v_mov_b32_e32 v35, v36
	v_lshlrev_b64 v[34:35], 2, v[34:35]
	s_waitcnt lgkmcnt(0)
	v_mov_b32_e32 v37, s15
	v_add_co_u32_e32 v36, vcc, s14, v34
	v_addc_co_u32_e32 v37, vcc, v37, v35, vcc
	global_store_dword v[36:37], v54, off
	v_mov_b32_e32 v36, s13
	v_add_co_u32_e32 v34, vcc, s12, v34
	v_addc_co_u32_e32 v35, vcc, v36, v35, vcc
	global_store_dword v[34:35], v56, off
.LBB12_17:
	s_or_b64 exec, exec, s[8:9]
	v_lshl_or_b32 v43, v1, 9, v55
	s_waitcnt lgkmcnt(0)
	s_barrier
	ds_read_b128 v[34:37], v43
	ds_read_b128 v[38:41], v43 offset:16
	s_waitcnt vmcnt(7) lgkmcnt(1)
	v_mfma_f32_16x16x16f16 v[44:47], v[14:15], v[34:35], 0
	v_cmp_gt_u32_e32 vcc, 64, v0
	s_mov_b32 s7, 0
	s_and_b64 s[0:1], vcc, s[0:1]
	v_mfma_f32_16x16x16f16 v[14:17], v[16:17], v[36:37], v[44:47]
	s_waitcnt vmcnt(6) lgkmcnt(0)
	v_mfma_f32_16x16x16f16 v[14:17], v[10:11], v[38:39], v[14:17]
	v_mfma_f32_16x16x16f16 v[10:13], v[12:13], v[40:41], v[14:17]
	s_nop 7
	s_nop 1
	ds_read_b128 v[14:17], v43 offset:2048
	ds_read_b128 v[34:37], v43 offset:2064
	s_waitcnt vmcnt(5) lgkmcnt(1)
	v_mfma_f32_16x16x16f16 v[10:13], v[6:7], v[14:15], v[10:13]
	v_mfma_f32_16x16x16f16 v[6:9], v[8:9], v[16:17], v[10:13]
	s_waitcnt vmcnt(4) lgkmcnt(0)
	v_mfma_f32_16x16x16f16 v[6:9], v[2:3], v[34:35], v[6:9]
	v_mfma_f32_16x16x16f16 v[2:5], v[4:5], v[36:37], v[6:9]
	s_nop 7
	s_nop 1
	ds_read_b128 v[6:9], v43 offset:4096
	ds_read_b128 v[10:13], v43 offset:4112
	s_waitcnt vmcnt(3) lgkmcnt(1)
	v_mfma_f32_16x16x16f16 v[2:5], v[30:31], v[6:7], v[2:5]
	v_mfma_f32_16x16x16f16 v[2:5], v[32:33], v[8:9], v[2:5]
	s_waitcnt vmcnt(2) lgkmcnt(0)
	v_mfma_f32_16x16x16f16 v[2:5], v[22:23], v[10:11], v[2:5]
	v_mfma_f32_16x16x16f16 v[2:5], v[24:25], v[12:13], v[2:5]
	ds_read_b128 v[6:9], v43 offset:6144
	ds_read_b128 v[10:13], v43 offset:6160
	s_waitcnt lgkmcnt(0)
	s_barrier
	s_waitcnt vmcnt(1)
	v_mfma_f32_16x16x16f16 v[2:5], v[26:27], v[6:7], v[2:5]
	v_mfma_f32_16x16x16f16 v[2:5], v[28:29], v[8:9], v[2:5]
	s_waitcnt vmcnt(0)
	v_mfma_f32_16x16x16f16 v[2:5], v[18:19], v[10:11], v[2:5]
	v_mfma_f32_16x16x16f16 v[2:5], v[20:21], v[12:13], v[2:5]
	s_nop 7
	s_nop 2
	v_cvt_f16_f32_e32 v2, v2
	v_cvt_f16_f32_e32 v3, v3
	;; [unrolled: 1-line block ×4, first 2 shown]
	v_pack_b32_f16 v2, v2, v3
	v_pack_b32_f16 v3, v4, v5
	ds_write_b64 v42, v[2:3]
	s_waitcnt lgkmcnt(0)
	s_barrier
	s_and_saveexec_b64 s[8:9], s[0:1]
	s_cbranch_execz .LBB12_20
; %bb.18:
	s_load_dwordx2 s[4:5], s[4:5], 0x68
	s_lshl_b32 s0, s10, 6
	s_mul_i32 s1, s11, s6
	s_mul_hi_u32 s9, s1, s0
	s_mul_i32 s8, s1, s0
	s_lshl_b64 s[8:9], s[8:9], 1
	s_waitcnt lgkmcnt(0)
	s_add_u32 s1, s4, s8
	v_lshlrev_b32_e32 v0, 10, v0
	s_addc_u32 s8, s5, s9
	s_lshl_b32 s6, s28, 6
	v_and_b32_e32 v0, 0x1800, v0
	v_lshlrev_b32_e32 v2, 5, v1
	v_and_b32_e32 v3, 16, v51
	s_lshl_b64 s[4:5], s[6:7], 1
	v_or3_b32 v0, v0, v2, v3
	s_add_u32 s1, s1, s4
	ds_read_b128 v[4:7], v0 offset:256
	s_addc_u32 s4, s8, s5
	ds_read_b128 v[8:11], v0 offset:128
	ds_read_b128 v[12:15], v0
	v_add_u32_e32 v18, s29, v1
	v_mov_b32_e32 v3, s4
	v_add_co_u32_e32 v2, vcc, s1, v50
	v_mad_u64_u32 v[16:17], s[4:5], v18, s0, 0
	v_addc_co_u32_e32 v3, vcc, 0, v3, vcc
	v_lshlrev_b64 v[16:17], 1, v[16:17]
	v_add_co_u32_e32 v16, vcc, v2, v16
	v_addc_co_u32_e32 v17, vcc, v3, v17, vcc
	s_waitcnt lgkmcnt(0)
	global_store_dwordx4 v[16:17], v[12:15], off
	s_nop 0
	v_add_u32_e32 v12, 4, v18
	v_mad_u64_u32 v[12:13], s[4:5], v12, s0, 0
	v_lshlrev_b64 v[12:13], 1, v[12:13]
	v_add_co_u32_e32 v12, vcc, v2, v12
	v_addc_co_u32_e32 v13, vcc, v3, v13, vcc
	global_store_dwordx4 v[12:13], v[8:11], off
	s_nop 0
	v_add_u32_e32 v8, 8, v18
	v_mad_u64_u32 v[8:9], s[4:5], v8, s0, 0
	v_lshlrev_b64 v[8:9], 1, v[8:9]
	v_add_co_u32_e32 v8, vcc, v2, v8
	v_addc_co_u32_e32 v9, vcc, v3, v9, vcc
	global_store_dwordx4 v[8:9], v[4:7], off
	s_and_b64 exec, exec, s[2:3]
	s_cbranch_execz .LBB12_20
; %bb.19:
	ds_read_b128 v[4:7], v0 offset:384
	v_add3_u32 v0, s29, v1, 12
	v_mad_u64_u32 v[0:1], s[0:1], v0, s0, 0
	v_lshlrev_b64 v[0:1], 1, v[0:1]
	v_add_co_u32_e32 v0, vcc, v2, v0
	v_addc_co_u32_e32 v1, vcc, v3, v1, vcc
	s_waitcnt lgkmcnt(0)
	global_store_dwordx4 v[0:1], v[4:7], off
.LBB12_20:
	s_endpgm
	.section	.rodata,"a",@progbits
	.p2align	6, 0x0
	.amdhsa_kernel _Z39paged_attention_ll4mi_QKV_mfma16_kernelIDF16_DF16_LN4vllm18Fp8KVCacheDataTypeE0EDF16_Li16ELi64ELi256ELb1ELi13EL8MFMAType0EEvPKT_PKT0_S8_ifPKiSA_SA_iPKfiiiPfSD_PS3_PT2_iSC_SC_
		.amdhsa_group_segment_fixed_size 8192
		.amdhsa_private_segment_fixed_size 0
		.amdhsa_kernarg_size 400
		.amdhsa_user_sgpr_count 6
		.amdhsa_user_sgpr_private_segment_buffer 1
		.amdhsa_user_sgpr_dispatch_ptr 0
		.amdhsa_user_sgpr_queue_ptr 0
		.amdhsa_user_sgpr_kernarg_segment_ptr 1
		.amdhsa_user_sgpr_dispatch_id 0
		.amdhsa_user_sgpr_flat_scratch_init 0
		.amdhsa_user_sgpr_kernarg_preload_length 0
		.amdhsa_user_sgpr_kernarg_preload_offset 0
		.amdhsa_user_sgpr_private_segment_size 0
		.amdhsa_uses_dynamic_stack 0
		.amdhsa_system_sgpr_private_segment_wavefront_offset 0
		.amdhsa_system_sgpr_workgroup_id_x 1
		.amdhsa_system_sgpr_workgroup_id_y 1
		.amdhsa_system_sgpr_workgroup_id_z 1
		.amdhsa_system_sgpr_workgroup_info 0
		.amdhsa_system_vgpr_workitem_id 0
		.amdhsa_next_free_vgpr 67
		.amdhsa_next_free_sgpr 48
		.amdhsa_accum_offset 68
		.amdhsa_reserve_vcc 1
		.amdhsa_reserve_flat_scratch 0
		.amdhsa_float_round_mode_32 0
		.amdhsa_float_round_mode_16_64 0
		.amdhsa_float_denorm_mode_32 3
		.amdhsa_float_denorm_mode_16_64 3
		.amdhsa_dx10_clamp 1
		.amdhsa_ieee_mode 1
		.amdhsa_fp16_overflow 0
		.amdhsa_tg_split 0
		.amdhsa_exception_fp_ieee_invalid_op 0
		.amdhsa_exception_fp_denorm_src 0
		.amdhsa_exception_fp_ieee_div_zero 0
		.amdhsa_exception_fp_ieee_overflow 0
		.amdhsa_exception_fp_ieee_underflow 0
		.amdhsa_exception_fp_ieee_inexact 0
		.amdhsa_exception_int_div_zero 0
	.end_amdhsa_kernel
	.section	.text._Z39paged_attention_ll4mi_QKV_mfma16_kernelIDF16_DF16_LN4vllm18Fp8KVCacheDataTypeE0EDF16_Li16ELi64ELi256ELb1ELi13EL8MFMAType0EEvPKT_PKT0_S8_ifPKiSA_SA_iPKfiiiPfSD_PS3_PT2_iSC_SC_,"axG",@progbits,_Z39paged_attention_ll4mi_QKV_mfma16_kernelIDF16_DF16_LN4vllm18Fp8KVCacheDataTypeE0EDF16_Li16ELi64ELi256ELb1ELi13EL8MFMAType0EEvPKT_PKT0_S8_ifPKiSA_SA_iPKfiiiPfSD_PS3_PT2_iSC_SC_,comdat
.Lfunc_end12:
	.size	_Z39paged_attention_ll4mi_QKV_mfma16_kernelIDF16_DF16_LN4vllm18Fp8KVCacheDataTypeE0EDF16_Li16ELi64ELi256ELb1ELi13EL8MFMAType0EEvPKT_PKT0_S8_ifPKiSA_SA_iPKfiiiPfSD_PS3_PT2_iSC_SC_, .Lfunc_end12-_Z39paged_attention_ll4mi_QKV_mfma16_kernelIDF16_DF16_LN4vllm18Fp8KVCacheDataTypeE0EDF16_Li16ELi64ELi256ELb1ELi13EL8MFMAType0EEvPKT_PKT0_S8_ifPKiSA_SA_iPKfiiiPfSD_PS3_PT2_iSC_SC_
                                        ; -- End function
	.section	.AMDGPU.csdata,"",@progbits
; Kernel info:
; codeLenInByte = 4364
; NumSgprs: 52
; NumVgprs: 67
; NumAgprs: 0
; TotalNumVgprs: 67
; ScratchSize: 0
; MemoryBound: 0
; FloatMode: 240
; IeeeMode: 1
; LDSByteSize: 8192 bytes/workgroup (compile time only)
; SGPRBlocks: 6
; VGPRBlocks: 8
; NumSGPRsForWavesPerEU: 52
; NumVGPRsForWavesPerEU: 67
; AccumOffset: 68
; Occupancy: 7
; WaveLimiterHint : 1
; COMPUTE_PGM_RSRC2:SCRATCH_EN: 0
; COMPUTE_PGM_RSRC2:USER_SGPR: 6
; COMPUTE_PGM_RSRC2:TRAP_HANDLER: 0
; COMPUTE_PGM_RSRC2:TGID_X_EN: 1
; COMPUTE_PGM_RSRC2:TGID_Y_EN: 1
; COMPUTE_PGM_RSRC2:TGID_Z_EN: 1
; COMPUTE_PGM_RSRC2:TIDIG_COMP_CNT: 0
; COMPUTE_PGM_RSRC3_GFX90A:ACCUM_OFFSET: 16
; COMPUTE_PGM_RSRC3_GFX90A:TG_SPLIT: 0
	.section	.text._Z39paged_attention_ll4mi_QKV_mfma16_kernelIDF16_DF16_LN4vllm18Fp8KVCacheDataTypeE0EDF16_Li16ELi64ELi256ELb1ELi14EL8MFMAType0EEvPKT_PKT0_S8_ifPKiSA_SA_iPKfiiiPfSD_PS3_PT2_iSC_SC_,"axG",@progbits,_Z39paged_attention_ll4mi_QKV_mfma16_kernelIDF16_DF16_LN4vllm18Fp8KVCacheDataTypeE0EDF16_Li16ELi64ELi256ELb1ELi14EL8MFMAType0EEvPKT_PKT0_S8_ifPKiSA_SA_iPKfiiiPfSD_PS3_PT2_iSC_SC_,comdat
	.protected	_Z39paged_attention_ll4mi_QKV_mfma16_kernelIDF16_DF16_LN4vllm18Fp8KVCacheDataTypeE0EDF16_Li16ELi64ELi256ELb1ELi14EL8MFMAType0EEvPKT_PKT0_S8_ifPKiSA_SA_iPKfiiiPfSD_PS3_PT2_iSC_SC_ ; -- Begin function _Z39paged_attention_ll4mi_QKV_mfma16_kernelIDF16_DF16_LN4vllm18Fp8KVCacheDataTypeE0EDF16_Li16ELi64ELi256ELb1ELi14EL8MFMAType0EEvPKT_PKT0_S8_ifPKiSA_SA_iPKfiiiPfSD_PS3_PT2_iSC_SC_
	.globl	_Z39paged_attention_ll4mi_QKV_mfma16_kernelIDF16_DF16_LN4vllm18Fp8KVCacheDataTypeE0EDF16_Li16ELi64ELi256ELb1ELi14EL8MFMAType0EEvPKT_PKT0_S8_ifPKiSA_SA_iPKfiiiPfSD_PS3_PT2_iSC_SC_
	.p2align	8
	.type	_Z39paged_attention_ll4mi_QKV_mfma16_kernelIDF16_DF16_LN4vllm18Fp8KVCacheDataTypeE0EDF16_Li16ELi64ELi256ELb1ELi14EL8MFMAType0EEvPKT_PKT0_S8_ifPKiSA_SA_iPKfiiiPfSD_PS3_PT2_iSC_SC_,@function
_Z39paged_attention_ll4mi_QKV_mfma16_kernelIDF16_DF16_LN4vllm18Fp8KVCacheDataTypeE0EDF16_Li16ELi64ELi256ELb1ELi14EL8MFMAType0EEvPKT_PKT0_S8_ifPKiSA_SA_iPKfiiiPfSD_PS3_PT2_iSC_SC_: ; @_Z39paged_attention_ll4mi_QKV_mfma16_kernelIDF16_DF16_LN4vllm18Fp8KVCacheDataTypeE0EDF16_Li16ELi64ELi256ELb1ELi14EL8MFMAType0EEvPKT_PKT0_S8_ifPKiSA_SA_iPKfiiiPfSD_PS3_PT2_iSC_SC_
; %bb.0:
	s_load_dwordx2 s[0:1], s[4:5], 0x30
	s_mov_b32 s28, s7
	s_mov_b64 s[10:11], 0
	s_waitcnt lgkmcnt(0)
	s_cmp_lg_u64 s[0:1], 0
	s_cselect_b64 s[2:3], -1, 0
	s_and_b64 vcc, exec, s[2:3]
	s_cbranch_vccz .LBB13_7
; %bb.1:
	s_add_i32 s12, s6, 1
	s_mov_b32 s13, 0
	s_lshl_b64 s[14:15], s[12:13], 2
	s_add_u32 s14, s0, s14
	s_mov_b32 s7, s13
	s_addc_u32 s15, s1, s15
	s_lshl_b64 s[12:13], s[6:7], 2
	s_add_u32 s12, s0, s12
	s_addc_u32 s13, s1, s13
	s_load_dword s9, s[14:15], 0x0
	s_load_dword s16, s[12:13], 0x0
	s_waitcnt lgkmcnt(0)
	s_sub_i32 s9, s9, s16
	s_cmp_eq_u32 s9, 1
	s_cselect_b64 s[12:13], -1, 0
	s_andn2_b64 vcc, exec, s[10:11]
	s_cbranch_vccnz .LBB13_3
.LBB13_2:
	s_mov_b32 s7, 0
	s_mov_b64 s[12:13], -1
.LBB13_3:
	s_andn2_b64 vcc, exec, s[12:13]
	s_cbranch_vccnz .LBB13_20
; %bb.4:
	s_load_dwordx2 s[12:13], s[4:5], 0x28
	s_lshl_b64 s[10:11], s[6:7], 2
	s_waitcnt lgkmcnt(0)
	s_add_u32 s12, s12, s10
	s_addc_u32 s13, s13, s11
	s_load_dword s33, s[12:13], 0x0
	s_lshl_b32 s14, s28, 8
	s_waitcnt lgkmcnt(0)
	s_cmp_ge_i32 s14, s33
	s_cbranch_scc1 .LBB13_20
; %bb.5:
	s_add_i32 s15, s33, 15
	s_load_dwordx2 s[12:13], s[4:5], 0x20
	s_load_dword s9, s[4:5], 0x38
	s_ashr_i32 s16, s15, 31
	v_and_b32_e32 v1, 0xcf, v0
	s_lshr_b32 s16, s16, 28
	v_add_u32_e32 v1, s14, v1
	s_add_i32 s15, s15, s16
	v_ashrrev_i32_e32 v2, 31, v1
	s_ashr_i32 s17, s15, 4
	v_lshrrev_b32_e32 v4, 28, v2
	s_add_i32 s17, s17, -1
	v_add_u32_e32 v2, v1, v4
	s_waitcnt lgkmcnt(0)
	s_mul_i32 s18, s6, s9
	s_mov_b32 s19, 0
	v_ashrrev_i32_e32 v2, 4, v2
	v_mov_b32_e32 v5, s17
	v_cmp_gt_i32_e32 vcc, s33, v1
	s_lshl_b64 s[18:19], s[18:19], 2
	v_cndmask_b32_e32 v2, v5, v2, vcc
	s_add_u32 s15, s12, s18
	v_ashrrev_i32_e32 v3, 31, v2
	s_addc_u32 s16, s13, s19
	v_lshlrev_b64 v[2:3], 2, v[2:3]
	v_mov_b32_e32 v7, s16
	v_add_co_u32_e32 v6, vcc, s15, v2
	v_or_b32_e32 v2, 16, v1
	v_addc_co_u32_e32 v7, vcc, v7, v3, vcc
	v_add_u32_e32 v3, v2, v4
	v_ashrrev_i32_e32 v3, 4, v3
	v_cmp_gt_i32_e32 vcc, s33, v2
	v_cndmask_b32_e32 v2, v5, v3, vcc
	v_ashrrev_i32_e32 v3, 31, v2
	v_lshlrev_b64 v[2:3], 2, v[2:3]
	v_mov_b32_e32 v9, s16
	v_add_co_u32_e32 v8, vcc, s15, v2
	v_or_b32_e32 v2, 32, v1
	v_addc_co_u32_e32 v9, vcc, v9, v3, vcc
	v_add_u32_e32 v3, v2, v4
	v_ashrrev_i32_e32 v3, 4, v3
	v_cmp_gt_i32_e32 vcc, s33, v2
	v_cndmask_b32_e32 v2, v5, v3, vcc
	v_ashrrev_i32_e32 v3, 31, v2
	v_lshlrev_b64 v[2:3], 2, v[2:3]
	v_mov_b32_e32 v11, s16
	v_add_co_u32_e32 v10, vcc, s15, v2
	v_or_b32_e32 v1, 48, v1
	v_addc_co_u32_e32 v11, vcc, v11, v3, vcc
	v_add_u32_e32 v2, v1, v4
	v_ashrrev_i32_e32 v2, 4, v2
	v_cmp_gt_i32_e32 vcc, s33, v1
	v_cndmask_b32_e32 v2, v5, v2, vcc
	v_ashrrev_i32_e32 v3, 31, v2
	v_lshlrev_b64 v[2:3], 2, v[2:3]
	v_mov_b32_e32 v1, s16
	v_add_co_u32_e32 v12, vcc, s15, v2
	v_addc_co_u32_e32 v13, vcc, v1, v3, vcc
	global_load_dword v5, v[6:7], off
	global_load_dword v4, v[8:9], off
	;; [unrolled: 1-line block ×4, first 2 shown]
	s_load_dwordx2 s[12:13], s[4:5], 0x8
	s_andn2_b64 vcc, exec, s[2:3]
	s_cbranch_vccnz .LBB13_8
; %bb.6:
	s_add_u32 s0, s0, s10
	s_addc_u32 s1, s1, s11
	s_load_dword s9, s[0:1], 0x0
	s_branch .LBB13_9
.LBB13_7:
	s_mov_b64 s[12:13], 0
	s_branch .LBB13_2
.LBB13_8:
	s_mov_b32 s9, s6
.LBB13_9:
	s_load_dwordx2 s[2:3], s[4:5], 0x10
	s_load_dwordx4 s[44:47], s[4:5], 0x48
	v_lshrrev_b32_e32 v53, 6, v0
	v_bfe_u32 v1, v0, 4, 2
	v_lshl_or_b32 v6, v53, 2, v1
	v_and_b32_e32 v52, 15, v0
	v_lshlrev_b32_e32 v7, 3, v52
	v_cmp_gt_u32_e32 vcc, 14, v6
	v_cmp_gt_u32_e64 s[0:1], 8, v52
	s_mul_i32 s29, s8, 14
	s_and_b64 s[18:19], s[0:1], vcc
	v_lshlrev_b32_e32 v50, 1, v7
	s_and_saveexec_b64 s[10:11], s[18:19]
	s_cbranch_execz .LBB13_11
; %bb.10:
	s_load_dwordx2 s[18:19], s[4:5], 0x0
	s_waitcnt lgkmcnt(0)
	s_ashr_i32 s20, s44, 31
	s_mul_hi_u32 s21, s9, s44
	s_mul_i32 s20, s9, s20
	s_add_i32 s21, s21, s20
	s_mul_i32 s20, s9, s44
	s_lshl_b64 s[20:21], s[20:21], 1
	v_add_lshl_u32 v8, v6, s29, 6
	s_add_u32 s9, s18, s20
	v_ashrrev_i32_e32 v9, 31, v8
	s_addc_u32 s18, s19, s21
	v_lshlrev_b64 v[8:9], 1, v[8:9]
	v_mov_b32_e32 v7, s18
	v_add_co_u32_e32 v8, vcc, s9, v8
	v_addc_co_u32_e32 v7, vcc, v7, v9, vcc
	v_add_co_u32_e32 v8, vcc, v8, v50
	v_addc_co_u32_e32 v9, vcc, 0, v7, vcc
	global_load_dwordx4 v[8:11], v[8:9], off
	v_and_b32_e32 v7, 3, v0
	v_lshlrev_b32_e32 v12, 9, v52
	v_lshlrev_b32_e32 v6, 5, v6
	;; [unrolled: 1-line block ×3, first 2 shown]
	v_and_b32_e32 v12, 0x1800, v12
	v_or3_b32 v6, v12, v7, v6
	s_waitcnt vmcnt(0)
	ds_write_b128 v6, v[8:11]
.LBB13_11:
	s_or_b64 exec, exec, s[10:11]
	s_waitcnt lgkmcnt(0)
	s_mul_i32 s8, s8, s46
	s_mov_b32 s9, 0
	s_lshl_b64 s[8:9], s[8:9], 1
	s_add_u32 s10, s12, s8
	v_lshlrev_b32_e32 v51, 4, v0
	s_addc_u32 s11, s13, s9
	v_and_b32_e32 v6, 0xf0, v51
	v_mov_b32_e32 v7, s11
	v_add_co_u32_e32 v18, vcc, s10, v6
	v_addc_co_u32_e32 v19, vcc, 0, v7, vcc
	s_waitcnt vmcnt(3)
	v_mad_i64_i32 v[6:7], s[10:11], v5, s45, 0
	v_lshlrev_b64 v[6:7], 1, v[6:7]
	v_add_co_u32_e32 v5, vcc, v18, v6
	v_addc_co_u32_e32 v7, vcc, v19, v7, vcc
	v_and_b32_e32 v20, 0x300, v51
	v_add_co_u32_e32 v6, vcc, v5, v20
	s_waitcnt vmcnt(2)
	v_mad_i64_i32 v[4:5], s[10:11], v4, s45, 0
	v_addc_co_u32_e32 v7, vcc, 0, v7, vcc
	v_lshlrev_b64 v[4:5], 1, v[4:5]
	v_add_co_u32_e32 v4, vcc, v18, v4
	v_addc_co_u32_e32 v5, vcc, v19, v5, vcc
	v_add_co_u32_e32 v4, vcc, v4, v20
	v_addc_co_u32_e32 v5, vcc, 0, v5, vcc
	s_barrier
	global_load_dwordx4 v[38:41], v[6:7], off
	global_load_dwordx4 v[34:37], v[6:7], off offset:1024
	global_load_dwordx4 v[30:33], v[4:5], off
	global_load_dwordx4 v[14:17], v[4:5], off offset:1024
	s_waitcnt vmcnt(5)
	v_mad_i64_i32 v[4:5], s[10:11], v3, s45, 0
	v_lshlrev_b64 v[4:5], 1, v[4:5]
	v_add_co_u32_e32 v3, vcc, v18, v4
	v_addc_co_u32_e32 v5, vcc, v19, v5, vcc
	v_add_co_u32_e32 v4, vcc, v3, v20
	s_waitcnt vmcnt(4)
	v_mad_i64_i32 v[2:3], s[10:11], v2, s45, 0
	v_addc_co_u32_e32 v5, vcc, 0, v5, vcc
	v_lshlrev_b64 v[2:3], 1, v[2:3]
	v_add_co_u32_e32 v2, vcc, v18, v2
	v_addc_co_u32_e32 v3, vcc, v19, v3, vcc
	v_add_co_u32_e32 v22, vcc, v2, v20
	v_addc_co_u32_e32 v23, vcc, 0, v3, vcc
	global_load_dwordx4 v[10:13], v[4:5], off
	global_load_dwordx4 v[6:9], v[4:5], off offset:1024
	s_nop 0
	global_load_dwordx4 v[2:5], v[22:23], off
	global_load_dwordx4 v[18:21], v[22:23], off offset:1024
	v_add_u32_e32 v22, -14, v52
	v_cmp_gt_u32_e32 vcc, 14, v52
	v_cndmask_b32_e32 v22, v22, v52, vcc
	v_lshlrev_b32_e32 v22, 5, v22
	v_lshl_add_u32 v22, v1, 9, v22
	ds_read_b128 v[26:29], v22
	ds_read_b128 v[22:25], v22 offset:2048
	v_and_b32_e32 v54, 63, v0
	v_mov_b32_e32 v48, 0
	s_and_saveexec_b64 s[10:11], vcc
	s_cbranch_execz .LBB13_13
; %bb.12:
	s_load_dwordx2 s[12:13], s[4:5], 0x40
	v_add_u32_e32 v42, s29, v52
	v_ashrrev_i32_e32 v43, 31, v42
	v_lshlrev_b64 v[42:43], 2, v[42:43]
	s_waitcnt lgkmcnt(0)
	v_mov_b32_e32 v44, s13
	v_add_co_u32_e32 v42, vcc, s12, v42
	v_addc_co_u32_e32 v43, vcc, v44, v43, vcc
	global_load_dword v48, v[42:43], off
.LBB13_13:
	s_or_b64 exec, exec, s[10:11]
	s_waitcnt vmcnt(7) lgkmcnt(1)
	v_mfma_f32_16x16x16f16 v[42:45], v[38:39], v[26:27], 0
	s_add_u32 s2, s2, s8
	v_lshlrev_b32_e32 v55, 5, v52
	s_addc_u32 s3, s3, s9
	s_load_dword s10, s[4:5], 0x1c
	s_mov_b32 s42, 0xff7fffff
	v_mfma_f32_16x16x16f16 v[38:41], v[40:41], v[28:29], v[42:45]
	s_waitcnt vmcnt(6) lgkmcnt(0)
	v_mfma_f32_16x16x16f16 v[38:41], v[34:35], v[22:23], v[38:41]
	s_nop 4
	v_and_or_b32 v44, v0, 48, s14
	v_mov_b32_e32 v45, s17
	v_cmp_gt_i32_e32 vcc, s33, v44
	v_mfma_f32_16x16x16f16 v[34:37], v[36:37], v[24:25], v[38:41]
	s_nop 6
	v_ashrrev_i32_e32 v38, 4, v44
	v_cndmask_b32_e32 v42, v45, v38, vcc
	v_ashrrev_i32_e32 v43, 31, v42
	s_waitcnt vmcnt(5)
	v_mfma_f32_16x16x16f16 v[38:41], v[30:31], v[26:27], 0
	v_lshlrev_b64 v[30:31], 2, v[42:43]
	v_mov_b32_e32 v42, s16
	v_add_co_u32_e32 v30, vcc, s15, v30
	v_addc_co_u32_e32 v31, vcc, v42, v31, vcc
	global_load_dword v42, v[30:31], off
	v_mfma_f32_16x16x16f16 v[30:33], v[32:33], v[28:29], v[38:41]
	v_pk_mul_f32 v[46:47], s[10:11], v[36:37] op_sel_hi:[0,1]
	s_nop 5
	v_or_b32_e32 v38, 64, v44
	v_ashrrev_i32_e32 v39, 4, v38
	v_cmp_gt_i32_e32 vcc, s33, v38
	v_cndmask_b32_e32 v38, v45, v39, vcc
	v_ashrrev_i32_e32 v39, 31, v38
	v_lshlrev_b64 v[38:39], 2, v[38:39]
	s_waitcnt vmcnt(5)
	v_mfma_f32_16x16x16f16 v[30:33], v[14:15], v[22:23], v[30:33]
	v_mov_b32_e32 v40, s16
	v_add_co_u32_e32 v14, vcc, s15, v38
	v_addc_co_u32_e32 v15, vcc, v40, v39, vcc
	global_load_dword v40, v[14:15], off
	v_or_b32_e32 v14, 0x80, v44
	v_ashrrev_i32_e32 v15, 4, v14
	v_cmp_gt_i32_e32 vcc, s33, v14
	v_cndmask_b32_e32 v14, v45, v15, vcc
	v_ashrrev_i32_e32 v15, 31, v14
	v_lshlrev_b64 v[14:15], 2, v[14:15]
	v_mfma_f32_16x16x16f16 v[30:33], v[16:17], v[24:25], v[30:33]
	v_mov_b32_e32 v16, s16
	v_add_co_u32_e32 v38, vcc, s15, v14
	v_addc_co_u32_e32 v39, vcc, v16, v15, vcc
	global_load_dword v38, v[38:39], off
	s_waitcnt vmcnt(6)
	v_mfma_f32_16x16x16f16 v[14:17], v[10:11], v[26:27], 0
	v_mfma_f32_16x16x16f16 v[10:13], v[12:13], v[28:29], v[14:17]
	s_nop 7
	s_nop 1
	v_or_b32_e32 v14, 0xc0, v44
	v_ashrrev_i32_e32 v15, 4, v14
	v_cmp_gt_i32_e32 vcc, s33, v14
	v_cndmask_b32_e32 v14, v45, v15, vcc
	s_waitcnt vmcnt(5)
	v_mfma_f32_16x16x16f16 v[10:13], v[6:7], v[22:23], v[10:13]
	v_ashrrev_i32_e32 v15, 31, v14
	v_lshlrev_b64 v[14:15], 2, v[14:15]
	v_mov_b32_e32 v16, s16
	v_add_co_u32_e32 v6, vcc, s15, v14
	v_addc_co_u32_e32 v7, vcc, v16, v15, vcc
	global_load_dword v49, v[6:7], off
	v_lshl_or_b32 v6, v53, 9, v55
	v_mov_b32_e32 v7, s3
	v_add_co_u32_e32 v60, vcc, s2, v6
	v_addc_co_u32_e32 v61, vcc, 0, v7, vcc
	v_mfma_f32_16x16x16f16 v[56:59], v[8:9], v[24:25], v[10:13]
	v_pk_mul_f32 v[44:45], s[10:11], v[30:31] op_sel_hi:[0,1]
	s_waitcnt vmcnt(3)
	v_mad_i64_i32 v[6:7], s[2:3], v42, s45, 0
	s_nop 3
	v_lshlrev_b64 v[10:11], 1, v[6:7]
	v_mfma_f32_16x16x16f16 v[6:9], v[2:3], v[26:27], 0
	v_add_co_u32_e32 v2, vcc, v60, v10
	v_addc_co_u32_e32 v3, vcc, v61, v11, vcc
	global_load_dwordx4 v[14:17], v[2:3], off
	global_load_dwordx4 v[10:13], v[2:3], off offset:16
	v_pk_mul_f32 v[42:43], s[10:11], v[32:33] op_sel_hi:[0,1]
	s_waitcnt vmcnt(4)
	v_mad_i64_i32 v[2:3], s[2:3], v40, s45, 0
	v_mfma_f32_16x16x16f16 v[26:29], v[4:5], v[28:29], v[6:9]
	v_lshlrev_b64 v[2:3], 1, v[2:3]
	v_add_co_u32_e32 v2, vcc, v60, v2
	v_addc_co_u32_e32 v3, vcc, v61, v3, vcc
	v_pk_mul_f32 v[40:41], s[10:11], v[56:57] op_sel_hi:[0,1]
	s_nop 2
	global_load_dwordx4 v[6:9], v[2:3], off
	s_nop 0
	global_load_dwordx4 v[2:5], v[2:3], off offset:16
	v_mfma_f32_16x16x16f16 v[26:29], v[18:19], v[22:23], v[26:29]
	v_pk_mul_f32 v[18:19], s[10:11], v[34:35] op_sel_hi:[0,1]
	s_waitcnt vmcnt(5)
	v_mad_i64_i32 v[38:39], s[2:3], v38, s45, 0
	v_lshlrev_b64 v[38:39], 1, v[38:39]
	v_add_co_u32_e32 v22, vcc, v60, v38
	v_mfma_f32_16x16x16f16 v[24:27], v[20:21], v[24:25], v[26:29]
	v_and_b32_e32 v20, 0xc0, v0
	v_add_u32_e32 v20, s14, v20
	v_lshl_or_b32 v20, v1, 2, v20
	v_or_b32_e32 v21, 1, v20
	v_addc_co_u32_e32 v23, vcc, v61, v39, vcc
	v_pk_mul_f32 v[38:39], s[10:11], v[58:59] op_sel_hi:[0,1]
	s_nop 4
	v_pk_mul_f32 v[36:37], s[10:11], v[24:25] op_sel_hi:[0,1]
	v_subrev_u32_e32 v24, s33, v21
	v_pk_mul_f32 v[34:35], s[10:11], v[26:27] op_sel_hi:[0,1]
	v_add_u32_e32 v26, 1, v24
	v_add_u32_e32 v27, 2, v24
	v_cvt_f32_i32_e32 v25, v24
	v_cvt_f32_i32_e32 v26, v26
	;; [unrolled: 1-line block ×3, first 2 shown]
	v_add_u32_e32 v28, 3, v24
	v_fma_f32 v18, v48, v25, v18
	v_fmac_f32_e32 v19, v48, v26
	v_fma_f32 v46, v48, v27, v46
	v_add_u32_e32 v25, 16, v24
	v_add_u32_e32 v26, 17, v24
	;; [unrolled: 1-line block ×3, first 2 shown]
	v_cvt_f32_i32_e32 v28, v28
	v_cvt_f32_i32_e32 v25, v25
	;; [unrolled: 1-line block ×4, first 2 shown]
	v_fmac_f32_e32 v47, v48, v28
	v_add_u32_e32 v28, 19, v24
	v_fma_f32 v44, v48, v25, v44
	v_fmac_f32_e32 v45, v48, v26
	v_fma_f32 v42, v48, v27, v42
	v_add_u32_e32 v25, 32, v24
	v_add_u32_e32 v26, 33, v24
	v_add_u32_e32 v27, 34, v24
	v_cvt_f32_i32_e32 v28, v28
	v_cvt_f32_i32_e32 v25, v25
	;; [unrolled: 1-line block ×4, first 2 shown]
	v_fmac_f32_e32 v43, v48, v28
	v_add_u32_e32 v28, 35, v24
	v_fma_f32 v40, v48, v25, v40
	v_fmac_f32_e32 v41, v48, v26
	v_fma_f32 v38, v48, v27, v38
	v_add_u32_e32 v25, 48, v24
	v_add_u32_e32 v26, 49, v24
	;; [unrolled: 1-line block ×4, first 2 shown]
	v_cvt_f32_i32_e32 v24, v24
	v_cvt_f32_i32_e32 v25, v25
	;; [unrolled: 1-line block ×3, first 2 shown]
	v_cmp_gt_i32_e64 s[30:31], s33, v20
	v_fmac_f32_e32 v35, v48, v24
	v_mov_b32_e32 v24, 0xff7fffff
	v_cmp_gt_i32_e64 s[34:35], s33, v21
	v_fma_f32 v36, v48, v25, v36
	v_cndmask_b32_e64 v25, v24, v18, s[30:31]
	v_cndmask_b32_e64 v21, v24, v19, s[34:35]
	v_fmac_f32_e32 v37, v48, v26
	v_max3_f32 v21, v25, s42, v21
	v_or_b32_e32 v25, 2, v20
	v_or_b32_e32 v26, 3, v20
	v_cmp_gt_i32_e64 s[36:37], s33, v25
	v_cmp_gt_i32_e64 s[38:39], s33, v26
	v_cndmask_b32_e64 v25, v24, v46, s[36:37]
	v_cndmask_b32_e64 v26, v24, v47, s[38:39]
	v_max3_f32 v21, v21, v25, v26
	v_or_b32_e32 v25, 16, v20
	v_or_b32_e32 v26, 17, v20
	v_cmp_gt_i32_e64 s[24:25], s33, v25
	v_cmp_gt_i32_e64 s[26:27], s33, v26
	v_cndmask_b32_e64 v25, v24, v44, s[24:25]
	v_cndmask_b32_e64 v26, v24, v45, s[26:27]
	;; [unrolled: 7-line block ×3, first 2 shown]
	v_cvt_f32_i32_e32 v28, v28
	v_max3_f32 v21, v21, v25, v26
	v_or_b32_e32 v25, 32, v20
	v_or_b32_e32 v26, 33, v20
	v_cmp_gt_i32_e64 s[16:17], s33, v25
	v_cmp_gt_i32_e64 s[18:19], s33, v26
	v_cndmask_b32_e64 v25, v24, v40, s[16:17]
	v_cndmask_b32_e64 v26, v24, v41, s[18:19]
	v_max3_f32 v21, v21, v25, v26
	v_or_b32_e32 v25, 34, v20
	v_or_b32_e32 v26, 35, v20
	v_fmac_f32_e32 v39, v48, v28
	v_cmp_gt_i32_e64 s[12:13], s33, v25
	v_cmp_gt_i32_e64 s[14:15], s33, v26
	v_cndmask_b32_e64 v25, v24, v38, s[12:13]
	v_cndmask_b32_e64 v26, v24, v39, s[14:15]
	v_cvt_f32_i32_e32 v27, v27
	v_max3_f32 v21, v21, v25, v26
	v_or_b32_e32 v25, 48, v20
	v_or_b32_e32 v26, 49, v20
	v_cmp_gt_i32_e64 s[8:9], s33, v25
	v_cmp_gt_i32_e64 s[10:11], s33, v26
	v_cndmask_b32_e64 v25, v24, v36, s[8:9]
	v_cndmask_b32_e64 v26, v24, v37, s[10:11]
	v_max3_f32 v21, v21, v25, v26
	v_or_b32_e32 v25, 50, v20
	v_or_b32_e32 v20, 51, v20
	v_fma_f32 v34, v48, v27, v34
	v_cmp_gt_i32_e32 vcc, s33, v25
	v_cmp_gt_i32_e64 s[2:3], s33, v20
	v_cndmask_b32_e32 v25, v24, v34, vcc
	v_cndmask_b32_e64 v20, v24, v35, s[2:3]
	v_max3_f32 v26, v21, v25, v20
	v_mbcnt_lo_u32_b32 v20, -1, 0
	v_mbcnt_hi_u32_b32 v27, -1, v20
	v_and_b32_e32 v20, 64, v27
	v_add_u32_e32 v28, 64, v20
	v_xor_b32_e32 v20, 32, v27
	v_cmp_lt_i32_e64 s[40:41], v20, v28
	v_cndmask_b32_e64 v20, v27, v20, s[40:41]
	v_lshlrev_b32_e32 v57, 2, v20
	ds_bpermute_b32 v29, v57, v26
	s_waitcnt vmcnt(4)
	v_mad_i64_i32 v[20:21], s[40:41], v49, s45, 0
	v_lshlrev_b64 v[20:21], 1, v[20:21]
	global_load_dwordx4 v[30:33], v[22:23], off
	s_nop 0
	global_load_dwordx4 v[22:25], v[22:23], off offset:16
	s_waitcnt lgkmcnt(0)
	v_max_f32_e32 v29, v29, v29
	v_max_f32_e32 v26, v26, v29
	v_xor_b32_e32 v29, 16, v27
	v_cmp_lt_i32_e64 s[40:41], v29, v28
	v_cndmask_b32_e64 v27, v27, v29, s[40:41]
	v_lshlrev_b32_e32 v59, 2, v27
	ds_bpermute_b32 v27, v59, v26
	v_add_co_u32_e64 v20, s[40:41], v60, v20
	v_addc_co_u32_e64 v21, s[40:41], v61, v21, s[40:41]
	s_waitcnt lgkmcnt(0)
	v_max_f32_e32 v27, v27, v27
	v_max_f32_e32 v56, v26, v27
	v_sub_f32_e32 v18, v18, v56
	v_mul_f32_e32 v18, 0x3fb8aa3b, v18
	v_exp_f32_e32 v48, v18
	v_sub_f32_e32 v18, v19, v56
	v_mul_f32_e32 v18, 0x3fb8aa3b, v18
	v_exp_f32_e32 v49, v18
	global_load_dwordx4 v[26:29], v[20:21], off
	s_nop 0
	global_load_dwordx4 v[18:21], v[20:21], off offset:16
	v_sub_f32_e32 v46, v46, v56
	v_mul_f32_e32 v46, 0x3fb8aa3b, v46
	v_sub_f32_e32 v47, v47, v56
	v_exp_f32_e32 v46, v46
	v_mul_f32_e32 v47, 0x3fb8aa3b, v47
	v_sub_f32_e32 v44, v44, v56
	v_exp_f32_e32 v47, v47
	v_mul_f32_e32 v44, 0x3fb8aa3b, v44
	v_sub_f32_e32 v45, v45, v56
	v_cndmask_b32_e64 v48, 0, v48, s[30:31]
	v_exp_f32_e32 v44, v44
	v_mul_f32_e32 v45, 0x3fb8aa3b, v45
	v_sub_f32_e32 v42, v42, v56
	v_add_f32_e32 v58, 0, v48
	v_cndmask_b32_e64 v49, 0, v49, s[34:35]
	v_exp_f32_e32 v45, v45
	v_mul_f32_e32 v42, 0x3fb8aa3b, v42
	v_sub_f32_e32 v43, v43, v56
	v_add_f32_e32 v58, v58, v49
	;; [unrolled: 5-line block ×10, first 2 shown]
	v_cndmask_b32_e64 v38, 0, v38, s[12:13]
	v_exp_f32_e32 v34, v34
	v_mul_f32_e32 v35, 0x3fb8aa3b, v35
	v_add_f32_e32 v58, v58, v38
	v_cndmask_b32_e64 v39, 0, v39, s[14:15]
	v_exp_f32_e32 v35, v35
	v_add_f32_e32 v58, v58, v39
	v_cndmask_b32_e64 v36, 0, v36, s[8:9]
	v_add_f32_e32 v58, v58, v36
	v_cndmask_b32_e64 v37, 0, v37, s[10:11]
	v_add_f32_e32 v58, v58, v37
	v_cndmask_b32_e32 v34, 0, v34, vcc
	v_add_f32_e32 v58, v58, v34
	v_cndmask_b32_e64 v35, 0, v35, s[2:3]
	v_add_f32_e32 v58, v58, v35
	ds_bpermute_b32 v57, v57, v58
	s_load_dword s9, s[4:5], 0x98
	v_cmp_gt_u32_e32 vcc, 16, v54
	s_waitcnt lgkmcnt(0)
	s_barrier
	v_add_f32_e32 v58, v58, v57
	ds_bpermute_b32 v59, v59, v58
	v_lshlrev_b32_e32 v57, 2, v52
	s_waitcnt lgkmcnt(0)
	s_and_saveexec_b64 s[2:3], vcc
	s_cbranch_execz .LBB13_15
; %bb.14:
	v_add_f32_e32 v54, v58, v59
	v_lshl_or_b32 v58, v53, 6, v57
	ds_write2st64_b32 v58, v56, v54 offset1:1
.LBB13_15:
	s_or_b64 exec, exec, s[2:3]
	s_load_dword s8, s[4:5], 0x94
	s_waitcnt lgkmcnt(0)
	s_barrier
	ds_read2_b32 v[58:59], v57 offset1:16
	ds_read2_b32 v[60:61], v57 offset0:32 offset1:48
	ds_read2_b32 v[62:63], v57 offset0:64 offset1:80
	s_mul_i32 s9, s9, 14
	s_waitcnt lgkmcnt(2)
	v_max3_f32 v54, v58, s42, v59
	s_waitcnt lgkmcnt(1)
	v_max3_f32 v54, v54, v60, v61
	v_sub_f32_e32 v56, v58, v54
	v_mul_f32_e32 v56, 0x3fb8aa3b, v56
	v_exp_f32_e32 v64, v56
	v_sub_f32_e32 v56, v59, v54
	v_mul_f32_e32 v56, 0x3fb8aa3b, v56
	v_exp_f32_e32 v65, v56
	;; [unrolled: 3-line block ×3, first 2 shown]
	ds_read2_b32 v[58:59], v57 offset0:96 offset1:112
	v_sub_f32_e32 v56, v61, v54
	v_mul_f32_e32 v56, 0x3fb8aa3b, v56
	v_exp_f32_e32 v57, v56
	s_waitcnt lgkmcnt(1)
	v_fma_f32 v56, v64, v62, 0
	v_fmac_f32_e32 v56, v65, v63
	s_waitcnt lgkmcnt(0)
	v_fmac_f32_e32 v56, v60, v58
	v_fmac_f32_e32 v56, v57, v59
	v_add_f32_e32 v58, 0x358637bd, v56
	v_div_scale_f32 v59, s[2:3], v58, v58, 1.0
	v_rcp_f32_e32 v61, v59
	s_barrier
	v_fma_f32 v62, -v59, v61, 1.0
	v_fmac_f32_e32 v61, v62, v61
	v_div_scale_f32 v62, vcc, 1.0, v58, 1.0
	v_mul_f32_e32 v63, v62, v61
	v_fma_f32 v66, -v59, v63, v62
	v_fmac_f32_e32 v63, v66, v61
	v_fma_f32 v59, -v59, v63, v62
	v_div_fmas_f32 v59, v59, v61, v63
	v_cmp_eq_u32_e32 vcc, 1, v53
	v_div_fixup_f32 v58, v59, v58, 1.0
	v_cndmask_b32_e32 v59, v64, v65, vcc
	v_cmp_eq_u32_e32 vcc, 2, v53
	v_cndmask_b32_e32 v59, v59, v60, vcc
	v_cmp_eq_u32_e32 vcc, 3, v53
	v_cndmask_b32_e32 v57, v59, v57, vcc
	v_mul_f32_e32 v58, v57, v58
	v_pk_mul_f32 v[48:49], v[58:59], v[48:49] op_sel_hi:[0,1]
	v_cvt_f16_f32_e32 v48, v48
	v_cvt_f16_f32_e32 v49, v49
	v_pk_mul_f32 v[46:47], v[58:59], v[46:47] op_sel_hi:[0,1]
	v_pk_mul_f32 v[42:43], v[58:59], v[42:43] op_sel_hi:[0,1]
	;; [unrolled: 1-line block ×3, first 2 shown]
	v_cvt_f16_f32_e32 v57, v46
	v_cvt_f16_f32_e32 v47, v47
	v_pack_b32_f16 v46, v48, v49
	v_cvt_f16_f32_e32 v44, v44
	v_cvt_f16_f32_e32 v45, v45
	;; [unrolled: 1-line block ×4, first 2 shown]
	v_lshlrev_b32_e32 v48, 3, v1
	v_lshlrev_b32_e32 v42, 11, v53
	v_pack_b32_f16 v47, v57, v47
	v_or3_b32 v42, v42, v55, v48
	v_pack_b32_f16 v44, v44, v45
	v_pack_b32_f16 v45, v49, v43
	v_pk_mul_f32 v[38:39], v[58:59], v[38:39] op_sel_hi:[0,1]
	v_pk_mul_f32 v[40:41], v[58:59], v[40:41] op_sel_hi:[0,1]
	;; [unrolled: 1-line block ×4, first 2 shown]
	ds_write2st64_b64 v42, v[46:47], v[44:45] offset1:1
	v_cvt_f16_f32_e32 v40, v40
	v_cvt_f16_f32_e32 v41, v41
	;; [unrolled: 1-line block ×8, first 2 shown]
	v_pack_b32_f16 v34, v40, v41
	v_pack_b32_f16 v35, v38, v39
	;; [unrolled: 1-line block ×4, first 2 shown]
	v_cmp_gt_u32_e32 vcc, 14, v0
	ds_write2st64_b64 v42, v[34:35], v[36:37] offset0:2 offset1:3
	s_and_saveexec_b64 s[2:3], vcc
	s_cbranch_execz .LBB13_17
; %bb.16:
	v_add_co_u32_e32 v36, vcc, s29, v52
	v_addc_co_u32_e64 v37, s[10:11], 0, 0, vcc
	v_mov_b32_e32 v34, s9
	v_mov_b32_e32 v35, 0
	v_mad_u64_u32 v[36:37], s[10:11], s6, v34, v[36:37]
	v_mov_b32_e32 v34, s28
	s_load_dwordx4 s[12:15], s[4:5], 0x58
	s_mul_i32 s7, s7, s9
	v_mad_u64_u32 v[34:35], s[10:11], v36, s8, v[34:35]
	v_add_u32_e32 v37, s7, v37
	v_mov_b32_e32 v36, v35
	v_mad_u64_u32 v[36:37], s[10:11], v37, s8, v[36:37]
	v_mov_b32_e32 v35, v36
	v_lshlrev_b64 v[34:35], 2, v[34:35]
	s_waitcnt lgkmcnt(0)
	v_mov_b32_e32 v37, s15
	v_add_co_u32_e32 v36, vcc, s14, v34
	v_addc_co_u32_e32 v37, vcc, v37, v35, vcc
	global_store_dword v[36:37], v54, off
	v_mov_b32_e32 v36, s13
	v_add_co_u32_e32 v34, vcc, s12, v34
	v_addc_co_u32_e32 v35, vcc, v36, v35, vcc
	global_store_dword v[34:35], v56, off
.LBB13_17:
	s_or_b64 exec, exec, s[2:3]
	v_lshl_or_b32 v43, v1, 9, v55
	s_waitcnt lgkmcnt(0)
	s_barrier
	ds_read_b128 v[34:37], v43
	ds_read_b128 v[38:41], v43 offset:16
	s_waitcnt vmcnt(7) lgkmcnt(1)
	v_mfma_f32_16x16x16f16 v[44:47], v[14:15], v[34:35], 0
	v_cmp_gt_u32_e32 vcc, 64, v0
	s_mov_b32 s3, 0
	s_and_b64 s[0:1], vcc, s[0:1]
	v_mfma_f32_16x16x16f16 v[14:17], v[16:17], v[36:37], v[44:47]
	s_waitcnt vmcnt(6) lgkmcnt(0)
	v_mfma_f32_16x16x16f16 v[14:17], v[10:11], v[38:39], v[14:17]
	v_mfma_f32_16x16x16f16 v[10:13], v[12:13], v[40:41], v[14:17]
	s_nop 7
	s_nop 1
	ds_read_b128 v[14:17], v43 offset:2048
	ds_read_b128 v[34:37], v43 offset:2064
	s_waitcnt vmcnt(5) lgkmcnt(1)
	v_mfma_f32_16x16x16f16 v[10:13], v[6:7], v[14:15], v[10:13]
	v_mfma_f32_16x16x16f16 v[6:9], v[8:9], v[16:17], v[10:13]
	s_waitcnt vmcnt(4) lgkmcnt(0)
	v_mfma_f32_16x16x16f16 v[6:9], v[2:3], v[34:35], v[6:9]
	v_mfma_f32_16x16x16f16 v[2:5], v[4:5], v[36:37], v[6:9]
	s_nop 7
	s_nop 1
	ds_read_b128 v[6:9], v43 offset:4096
	ds_read_b128 v[10:13], v43 offset:4112
	s_waitcnt vmcnt(3) lgkmcnt(1)
	v_mfma_f32_16x16x16f16 v[2:5], v[30:31], v[6:7], v[2:5]
	v_mfma_f32_16x16x16f16 v[2:5], v[32:33], v[8:9], v[2:5]
	s_waitcnt vmcnt(2) lgkmcnt(0)
	v_mfma_f32_16x16x16f16 v[2:5], v[22:23], v[10:11], v[2:5]
	v_mfma_f32_16x16x16f16 v[2:5], v[24:25], v[12:13], v[2:5]
	ds_read_b128 v[6:9], v43 offset:6144
	ds_read_b128 v[10:13], v43 offset:6160
	s_waitcnt lgkmcnt(0)
	s_barrier
	s_waitcnt vmcnt(1)
	v_mfma_f32_16x16x16f16 v[2:5], v[26:27], v[6:7], v[2:5]
	v_mfma_f32_16x16x16f16 v[2:5], v[28:29], v[8:9], v[2:5]
	s_waitcnt vmcnt(0)
	v_mfma_f32_16x16x16f16 v[2:5], v[18:19], v[10:11], v[2:5]
	v_mfma_f32_16x16x16f16 v[2:5], v[20:21], v[12:13], v[2:5]
	s_nop 7
	s_nop 2
	v_cvt_f16_f32_e32 v2, v2
	v_cvt_f16_f32_e32 v3, v3
	;; [unrolled: 1-line block ×4, first 2 shown]
	v_pack_b32_f16 v2, v2, v3
	v_pack_b32_f16 v3, v4, v5
	ds_write_b64 v42, v[2:3]
	s_waitcnt lgkmcnt(0)
	s_barrier
	s_and_saveexec_b64 s[10:11], s[0:1]
	s_cbranch_execz .LBB13_20
; %bb.18:
	s_load_dwordx2 s[4:5], s[4:5], 0x68
	s_lshl_b32 s0, s8, 6
	s_mul_i32 s1, s9, s6
	s_mul_hi_u32 s7, s1, s0
	s_mul_i32 s6, s1, s0
	s_lshl_b64 s[6:7], s[6:7], 1
	s_waitcnt lgkmcnt(0)
	s_add_u32 s1, s4, s6
	v_lshlrev_b32_e32 v0, 10, v0
	s_addc_u32 s4, s5, s7
	s_lshl_b32 s2, s28, 6
	v_and_b32_e32 v0, 0x1800, v0
	v_lshlrev_b32_e32 v2, 5, v1
	v_and_b32_e32 v3, 16, v51
	s_lshl_b64 s[2:3], s[2:3], 1
	v_or3_b32 v0, v0, v2, v3
	s_add_u32 s1, s1, s2
	ds_read_b128 v[6:9], v0 offset:256
	v_or_b32_e32 v2, 12, v1
	s_addc_u32 s2, s4, s3
	ds_read_b128 v[10:13], v0 offset:128
	ds_read_b128 v[14:17], v0
	v_add_u32_e32 v1, s29, v1
	v_mov_b32_e32 v4, s2
	v_add_co_u32_e32 v3, vcc, s1, v50
	v_mad_u64_u32 v[18:19], s[2:3], v1, s0, 0
	v_addc_co_u32_e32 v4, vcc, 0, v4, vcc
	v_lshlrev_b64 v[18:19], 1, v[18:19]
	v_add_co_u32_e32 v18, vcc, v3, v18
	v_addc_co_u32_e32 v19, vcc, v4, v19, vcc
	v_add_u32_e32 v5, 4, v1
	s_waitcnt lgkmcnt(0)
	global_store_dwordx4 v[18:19], v[14:17], off
	v_add_u32_e32 v1, 8, v1
	v_mad_u64_u32 v[14:15], s[2:3], v5, s0, 0
	v_lshlrev_b64 v[14:15], 1, v[14:15]
	v_add_co_u32_e32 v14, vcc, v3, v14
	v_addc_co_u32_e32 v15, vcc, v4, v15, vcc
	global_store_dwordx4 v[14:15], v[10:13], off
	s_nop 0
	v_mad_u64_u32 v[10:11], s[2:3], v1, s0, 0
	v_lshlrev_b64 v[10:11], 1, v[10:11]
	v_add_co_u32_e32 v10, vcc, v3, v10
	v_addc_co_u32_e32 v11, vcc, v4, v11, vcc
	v_cmp_gt_u32_e32 vcc, 14, v2
	global_store_dwordx4 v[10:11], v[6:9], off
	s_and_b64 exec, exec, vcc
	s_cbranch_execz .LBB13_20
; %bb.19:
	ds_read_b128 v[6:9], v0 offset:384
	v_add_u32_e32 v0, s29, v2
	v_mad_u64_u32 v[0:1], s[0:1], v0, s0, 0
	v_lshlrev_b64 v[0:1], 1, v[0:1]
	v_add_co_u32_e32 v0, vcc, v3, v0
	v_addc_co_u32_e32 v1, vcc, v4, v1, vcc
	s_waitcnt lgkmcnt(0)
	global_store_dwordx4 v[0:1], v[6:9], off
.LBB13_20:
	s_endpgm
	.section	.rodata,"a",@progbits
	.p2align	6, 0x0
	.amdhsa_kernel _Z39paged_attention_ll4mi_QKV_mfma16_kernelIDF16_DF16_LN4vllm18Fp8KVCacheDataTypeE0EDF16_Li16ELi64ELi256ELb1ELi14EL8MFMAType0EEvPKT_PKT0_S8_ifPKiSA_SA_iPKfiiiPfSD_PS3_PT2_iSC_SC_
		.amdhsa_group_segment_fixed_size 8192
		.amdhsa_private_segment_fixed_size 0
		.amdhsa_kernarg_size 400
		.amdhsa_user_sgpr_count 6
		.amdhsa_user_sgpr_private_segment_buffer 1
		.amdhsa_user_sgpr_dispatch_ptr 0
		.amdhsa_user_sgpr_queue_ptr 0
		.amdhsa_user_sgpr_kernarg_segment_ptr 1
		.amdhsa_user_sgpr_dispatch_id 0
		.amdhsa_user_sgpr_flat_scratch_init 0
		.amdhsa_user_sgpr_kernarg_preload_length 0
		.amdhsa_user_sgpr_kernarg_preload_offset 0
		.amdhsa_user_sgpr_private_segment_size 0
		.amdhsa_uses_dynamic_stack 0
		.amdhsa_system_sgpr_private_segment_wavefront_offset 0
		.amdhsa_system_sgpr_workgroup_id_x 1
		.amdhsa_system_sgpr_workgroup_id_y 1
		.amdhsa_system_sgpr_workgroup_id_z 1
		.amdhsa_system_sgpr_workgroup_info 0
		.amdhsa_system_vgpr_workitem_id 0
		.amdhsa_next_free_vgpr 67
		.amdhsa_next_free_sgpr 48
		.amdhsa_accum_offset 68
		.amdhsa_reserve_vcc 1
		.amdhsa_reserve_flat_scratch 0
		.amdhsa_float_round_mode_32 0
		.amdhsa_float_round_mode_16_64 0
		.amdhsa_float_denorm_mode_32 3
		.amdhsa_float_denorm_mode_16_64 3
		.amdhsa_dx10_clamp 1
		.amdhsa_ieee_mode 1
		.amdhsa_fp16_overflow 0
		.amdhsa_tg_split 0
		.amdhsa_exception_fp_ieee_invalid_op 0
		.amdhsa_exception_fp_denorm_src 0
		.amdhsa_exception_fp_ieee_div_zero 0
		.amdhsa_exception_fp_ieee_overflow 0
		.amdhsa_exception_fp_ieee_underflow 0
		.amdhsa_exception_fp_ieee_inexact 0
		.amdhsa_exception_int_div_zero 0
	.end_amdhsa_kernel
	.section	.text._Z39paged_attention_ll4mi_QKV_mfma16_kernelIDF16_DF16_LN4vllm18Fp8KVCacheDataTypeE0EDF16_Li16ELi64ELi256ELb1ELi14EL8MFMAType0EEvPKT_PKT0_S8_ifPKiSA_SA_iPKfiiiPfSD_PS3_PT2_iSC_SC_,"axG",@progbits,_Z39paged_attention_ll4mi_QKV_mfma16_kernelIDF16_DF16_LN4vllm18Fp8KVCacheDataTypeE0EDF16_Li16ELi64ELi256ELb1ELi14EL8MFMAType0EEvPKT_PKT0_S8_ifPKiSA_SA_iPKfiiiPfSD_PS3_PT2_iSC_SC_,comdat
.Lfunc_end13:
	.size	_Z39paged_attention_ll4mi_QKV_mfma16_kernelIDF16_DF16_LN4vllm18Fp8KVCacheDataTypeE0EDF16_Li16ELi64ELi256ELb1ELi14EL8MFMAType0EEvPKT_PKT0_S8_ifPKiSA_SA_iPKfiiiPfSD_PS3_PT2_iSC_SC_, .Lfunc_end13-_Z39paged_attention_ll4mi_QKV_mfma16_kernelIDF16_DF16_LN4vllm18Fp8KVCacheDataTypeE0EDF16_Li16ELi64ELi256ELb1ELi14EL8MFMAType0EEvPKT_PKT0_S8_ifPKiSA_SA_iPKfiiiPfSD_PS3_PT2_iSC_SC_
                                        ; -- End function
	.section	.AMDGPU.csdata,"",@progbits
; Kernel info:
; codeLenInByte = 4360
; NumSgprs: 52
; NumVgprs: 67
; NumAgprs: 0
; TotalNumVgprs: 67
; ScratchSize: 0
; MemoryBound: 0
; FloatMode: 240
; IeeeMode: 1
; LDSByteSize: 8192 bytes/workgroup (compile time only)
; SGPRBlocks: 6
; VGPRBlocks: 8
; NumSGPRsForWavesPerEU: 52
; NumVGPRsForWavesPerEU: 67
; AccumOffset: 68
; Occupancy: 7
; WaveLimiterHint : 1
; COMPUTE_PGM_RSRC2:SCRATCH_EN: 0
; COMPUTE_PGM_RSRC2:USER_SGPR: 6
; COMPUTE_PGM_RSRC2:TRAP_HANDLER: 0
; COMPUTE_PGM_RSRC2:TGID_X_EN: 1
; COMPUTE_PGM_RSRC2:TGID_Y_EN: 1
; COMPUTE_PGM_RSRC2:TGID_Z_EN: 1
; COMPUTE_PGM_RSRC2:TIDIG_COMP_CNT: 0
; COMPUTE_PGM_RSRC3_GFX90A:ACCUM_OFFSET: 16
; COMPUTE_PGM_RSRC3_GFX90A:TG_SPLIT: 0
	.section	.text._Z39paged_attention_ll4mi_QKV_mfma16_kernelIDF16_DF16_LN4vllm18Fp8KVCacheDataTypeE0EDF16_Li16ELi64ELi256ELb1ELi15EL8MFMAType0EEvPKT_PKT0_S8_ifPKiSA_SA_iPKfiiiPfSD_PS3_PT2_iSC_SC_,"axG",@progbits,_Z39paged_attention_ll4mi_QKV_mfma16_kernelIDF16_DF16_LN4vllm18Fp8KVCacheDataTypeE0EDF16_Li16ELi64ELi256ELb1ELi15EL8MFMAType0EEvPKT_PKT0_S8_ifPKiSA_SA_iPKfiiiPfSD_PS3_PT2_iSC_SC_,comdat
	.protected	_Z39paged_attention_ll4mi_QKV_mfma16_kernelIDF16_DF16_LN4vllm18Fp8KVCacheDataTypeE0EDF16_Li16ELi64ELi256ELb1ELi15EL8MFMAType0EEvPKT_PKT0_S8_ifPKiSA_SA_iPKfiiiPfSD_PS3_PT2_iSC_SC_ ; -- Begin function _Z39paged_attention_ll4mi_QKV_mfma16_kernelIDF16_DF16_LN4vllm18Fp8KVCacheDataTypeE0EDF16_Li16ELi64ELi256ELb1ELi15EL8MFMAType0EEvPKT_PKT0_S8_ifPKiSA_SA_iPKfiiiPfSD_PS3_PT2_iSC_SC_
	.globl	_Z39paged_attention_ll4mi_QKV_mfma16_kernelIDF16_DF16_LN4vllm18Fp8KVCacheDataTypeE0EDF16_Li16ELi64ELi256ELb1ELi15EL8MFMAType0EEvPKT_PKT0_S8_ifPKiSA_SA_iPKfiiiPfSD_PS3_PT2_iSC_SC_
	.p2align	8
	.type	_Z39paged_attention_ll4mi_QKV_mfma16_kernelIDF16_DF16_LN4vllm18Fp8KVCacheDataTypeE0EDF16_Li16ELi64ELi256ELb1ELi15EL8MFMAType0EEvPKT_PKT0_S8_ifPKiSA_SA_iPKfiiiPfSD_PS3_PT2_iSC_SC_,@function
_Z39paged_attention_ll4mi_QKV_mfma16_kernelIDF16_DF16_LN4vllm18Fp8KVCacheDataTypeE0EDF16_Li16ELi64ELi256ELb1ELi15EL8MFMAType0EEvPKT_PKT0_S8_ifPKiSA_SA_iPKfiiiPfSD_PS3_PT2_iSC_SC_: ; @_Z39paged_attention_ll4mi_QKV_mfma16_kernelIDF16_DF16_LN4vllm18Fp8KVCacheDataTypeE0EDF16_Li16ELi64ELi256ELb1ELi15EL8MFMAType0EEvPKT_PKT0_S8_ifPKiSA_SA_iPKfiiiPfSD_PS3_PT2_iSC_SC_
; %bb.0:
	s_load_dwordx2 s[0:1], s[4:5], 0x30
	s_mov_b32 s28, s7
	s_mov_b64 s[10:11], 0
	s_waitcnt lgkmcnt(0)
	s_cmp_lg_u64 s[0:1], 0
	s_cselect_b64 s[2:3], -1, 0
	s_and_b64 vcc, exec, s[2:3]
	s_cbranch_vccz .LBB14_7
; %bb.1:
	s_add_i32 s12, s6, 1
	s_mov_b32 s13, 0
	s_lshl_b64 s[14:15], s[12:13], 2
	s_add_u32 s14, s0, s14
	s_mov_b32 s7, s13
	s_addc_u32 s15, s1, s15
	s_lshl_b64 s[12:13], s[6:7], 2
	s_add_u32 s12, s0, s12
	s_addc_u32 s13, s1, s13
	s_load_dword s9, s[14:15], 0x0
	s_load_dword s16, s[12:13], 0x0
	s_waitcnt lgkmcnt(0)
	s_sub_i32 s9, s9, s16
	s_cmp_eq_u32 s9, 1
	s_cselect_b64 s[12:13], -1, 0
	s_andn2_b64 vcc, exec, s[10:11]
	s_cbranch_vccnz .LBB14_3
.LBB14_2:
	s_mov_b32 s7, 0
	s_mov_b64 s[12:13], -1
.LBB14_3:
	s_andn2_b64 vcc, exec, s[12:13]
	s_cbranch_vccnz .LBB14_20
; %bb.4:
	s_load_dwordx2 s[12:13], s[4:5], 0x28
	s_lshl_b64 s[10:11], s[6:7], 2
	s_waitcnt lgkmcnt(0)
	s_add_u32 s12, s12, s10
	s_addc_u32 s13, s13, s11
	s_load_dword s33, s[12:13], 0x0
	s_lshl_b32 s14, s28, 8
	s_waitcnt lgkmcnt(0)
	s_cmp_ge_i32 s14, s33
	s_cbranch_scc1 .LBB14_20
; %bb.5:
	s_add_i32 s15, s33, 15
	s_load_dwordx2 s[12:13], s[4:5], 0x20
	s_load_dword s9, s[4:5], 0x38
	s_ashr_i32 s16, s15, 31
	v_and_b32_e32 v1, 0xcf, v0
	s_lshr_b32 s16, s16, 28
	v_add_u32_e32 v1, s14, v1
	s_add_i32 s15, s15, s16
	v_ashrrev_i32_e32 v2, 31, v1
	s_ashr_i32 s17, s15, 4
	v_lshrrev_b32_e32 v4, 28, v2
	s_add_i32 s17, s17, -1
	v_add_u32_e32 v2, v1, v4
	s_waitcnt lgkmcnt(0)
	s_mul_i32 s18, s6, s9
	s_mov_b32 s19, 0
	v_ashrrev_i32_e32 v2, 4, v2
	v_mov_b32_e32 v5, s17
	v_cmp_gt_i32_e32 vcc, s33, v1
	s_lshl_b64 s[18:19], s[18:19], 2
	v_cndmask_b32_e32 v2, v5, v2, vcc
	s_add_u32 s15, s12, s18
	v_ashrrev_i32_e32 v3, 31, v2
	s_addc_u32 s16, s13, s19
	v_lshlrev_b64 v[2:3], 2, v[2:3]
	v_mov_b32_e32 v7, s16
	v_add_co_u32_e32 v6, vcc, s15, v2
	v_or_b32_e32 v2, 16, v1
	v_addc_co_u32_e32 v7, vcc, v7, v3, vcc
	v_add_u32_e32 v3, v2, v4
	v_ashrrev_i32_e32 v3, 4, v3
	v_cmp_gt_i32_e32 vcc, s33, v2
	v_cndmask_b32_e32 v2, v5, v3, vcc
	v_ashrrev_i32_e32 v3, 31, v2
	v_lshlrev_b64 v[2:3], 2, v[2:3]
	v_mov_b32_e32 v9, s16
	v_add_co_u32_e32 v8, vcc, s15, v2
	v_or_b32_e32 v2, 32, v1
	v_addc_co_u32_e32 v9, vcc, v9, v3, vcc
	v_add_u32_e32 v3, v2, v4
	v_ashrrev_i32_e32 v3, 4, v3
	v_cmp_gt_i32_e32 vcc, s33, v2
	v_cndmask_b32_e32 v2, v5, v3, vcc
	v_ashrrev_i32_e32 v3, 31, v2
	;; [unrolled: 10-line block ×3, first 2 shown]
	v_lshlrev_b64 v[2:3], 2, v[2:3]
	v_mov_b32_e32 v1, s16
	v_add_co_u32_e32 v12, vcc, s15, v2
	v_addc_co_u32_e32 v13, vcc, v1, v3, vcc
	global_load_dword v5, v[6:7], off
	global_load_dword v4, v[8:9], off
	;; [unrolled: 1-line block ×4, first 2 shown]
	s_load_dwordx2 s[12:13], s[4:5], 0x8
	s_andn2_b64 vcc, exec, s[2:3]
	s_cbranch_vccnz .LBB14_8
; %bb.6:
	s_add_u32 s0, s0, s10
	s_addc_u32 s1, s1, s11
	s_load_dword s9, s[0:1], 0x0
	s_branch .LBB14_9
.LBB14_7:
	s_mov_b64 s[12:13], 0
	s_branch .LBB14_2
.LBB14_8:
	s_mov_b32 s9, s6
.LBB14_9:
	s_load_dwordx2 s[2:3], s[4:5], 0x10
	s_load_dwordx4 s[44:47], s[4:5], 0x48
	v_lshrrev_b32_e32 v53, 6, v0
	v_bfe_u32 v1, v0, 4, 2
	v_lshl_or_b32 v6, v53, 2, v1
	v_and_b32_e32 v52, 15, v0
	v_lshlrev_b32_e32 v7, 3, v52
	v_cmp_gt_u32_e32 vcc, 15, v6
	v_cmp_gt_u32_e64 s[0:1], 8, v52
	s_mul_i32 s29, s8, 15
	s_and_b64 s[18:19], s[0:1], vcc
	v_lshlrev_b32_e32 v50, 1, v7
	s_and_saveexec_b64 s[10:11], s[18:19]
	s_cbranch_execz .LBB14_11
; %bb.10:
	s_load_dwordx2 s[18:19], s[4:5], 0x0
	s_waitcnt lgkmcnt(0)
	s_ashr_i32 s20, s44, 31
	s_mul_hi_u32 s21, s9, s44
	s_mul_i32 s20, s9, s20
	s_add_i32 s21, s21, s20
	s_mul_i32 s20, s9, s44
	s_lshl_b64 s[20:21], s[20:21], 1
	v_add_lshl_u32 v8, v6, s29, 6
	s_add_u32 s9, s18, s20
	v_ashrrev_i32_e32 v9, 31, v8
	s_addc_u32 s18, s19, s21
	v_lshlrev_b64 v[8:9], 1, v[8:9]
	v_mov_b32_e32 v7, s18
	v_add_co_u32_e32 v8, vcc, s9, v8
	v_addc_co_u32_e32 v7, vcc, v7, v9, vcc
	v_add_co_u32_e32 v8, vcc, v8, v50
	v_addc_co_u32_e32 v9, vcc, 0, v7, vcc
	global_load_dwordx4 v[8:11], v[8:9], off
	v_and_b32_e32 v7, 3, v0
	v_lshlrev_b32_e32 v12, 9, v52
	v_lshlrev_b32_e32 v6, 5, v6
	v_lshlrev_b32_e32 v7, 9, v7
	v_and_b32_e32 v12, 0x1800, v12
	v_or3_b32 v6, v12, v7, v6
	s_waitcnt vmcnt(0)
	ds_write_b128 v6, v[8:11]
.LBB14_11:
	s_or_b64 exec, exec, s[10:11]
	s_waitcnt lgkmcnt(0)
	s_mov_b32 s9, 0
	s_mul_i32 s8, s8, s46
	s_lshl_b64 s[8:9], s[8:9], 1
	s_add_u32 s10, s12, s8
	v_lshlrev_b32_e32 v51, 4, v0
	s_addc_u32 s11, s13, s9
	v_and_b32_e32 v6, 0xf0, v51
	v_mov_b32_e32 v7, s11
	v_add_co_u32_e32 v18, vcc, s10, v6
	v_addc_co_u32_e32 v19, vcc, 0, v7, vcc
	s_waitcnt vmcnt(3)
	v_mad_i64_i32 v[6:7], s[10:11], v5, s45, 0
	v_lshlrev_b64 v[6:7], 1, v[6:7]
	v_add_co_u32_e32 v5, vcc, v18, v6
	v_addc_co_u32_e32 v7, vcc, v19, v7, vcc
	v_and_b32_e32 v20, 0x300, v51
	v_add_co_u32_e32 v6, vcc, v5, v20
	s_waitcnt vmcnt(2)
	v_mad_i64_i32 v[4:5], s[10:11], v4, s45, 0
	v_addc_co_u32_e32 v7, vcc, 0, v7, vcc
	v_lshlrev_b64 v[4:5], 1, v[4:5]
	v_add_co_u32_e32 v4, vcc, v18, v4
	v_addc_co_u32_e32 v5, vcc, v19, v5, vcc
	v_add_co_u32_e32 v4, vcc, v4, v20
	v_addc_co_u32_e32 v5, vcc, 0, v5, vcc
	s_barrier
	global_load_dwordx4 v[38:41], v[6:7], off
	global_load_dwordx4 v[34:37], v[6:7], off offset:1024
	global_load_dwordx4 v[30:33], v[4:5], off
	global_load_dwordx4 v[14:17], v[4:5], off offset:1024
	s_waitcnt vmcnt(5)
	v_mad_i64_i32 v[4:5], s[10:11], v3, s45, 0
	v_lshlrev_b64 v[4:5], 1, v[4:5]
	v_add_co_u32_e32 v3, vcc, v18, v4
	v_addc_co_u32_e32 v5, vcc, v19, v5, vcc
	v_add_co_u32_e32 v4, vcc, v3, v20
	s_waitcnt vmcnt(4)
	v_mad_i64_i32 v[2:3], s[10:11], v2, s45, 0
	v_addc_co_u32_e32 v5, vcc, 0, v5, vcc
	v_lshlrev_b64 v[2:3], 1, v[2:3]
	v_add_co_u32_e32 v2, vcc, v18, v2
	v_addc_co_u32_e32 v3, vcc, v19, v3, vcc
	v_add_co_u32_e32 v22, vcc, v2, v20
	v_addc_co_u32_e32 v23, vcc, 0, v3, vcc
	global_load_dwordx4 v[10:13], v[4:5], off
	global_load_dwordx4 v[6:9], v[4:5], off offset:1024
	s_nop 0
	global_load_dwordx4 v[2:5], v[22:23], off
	global_load_dwordx4 v[18:21], v[22:23], off offset:1024
	v_cmp_ne_u32_e32 vcc, 15, v52
	v_cndmask_b32_e32 v22, 0, v52, vcc
	v_lshlrev_b32_e32 v22, 5, v22
	v_lshl_or_b32 v22, v1, 9, v22
	ds_read_b128 v[26:29], v22
	ds_read_b128 v[22:25], v22 offset:2048
	v_and_b32_e32 v54, 63, v0
	v_mov_b32_e32 v48, 0
	s_and_saveexec_b64 s[10:11], vcc
	s_cbranch_execz .LBB14_13
; %bb.12:
	s_load_dwordx2 s[12:13], s[4:5], 0x40
	v_add_u32_e32 v42, s29, v52
	v_ashrrev_i32_e32 v43, 31, v42
	v_lshlrev_b64 v[42:43], 2, v[42:43]
	s_waitcnt lgkmcnt(0)
	v_mov_b32_e32 v44, s13
	v_add_co_u32_e32 v42, vcc, s12, v42
	v_addc_co_u32_e32 v43, vcc, v44, v43, vcc
	global_load_dword v48, v[42:43], off
.LBB14_13:
	s_or_b64 exec, exec, s[10:11]
	s_waitcnt vmcnt(7) lgkmcnt(1)
	v_mfma_f32_16x16x16f16 v[42:45], v[38:39], v[26:27], 0
	s_add_u32 s2, s2, s8
	v_lshlrev_b32_e32 v55, 5, v52
	s_addc_u32 s3, s3, s9
	s_load_dword s10, s[4:5], 0x1c
	s_mov_b32 s42, 0xff7fffff
	v_mfma_f32_16x16x16f16 v[38:41], v[40:41], v[28:29], v[42:45]
	s_waitcnt vmcnt(6) lgkmcnt(0)
	v_mfma_f32_16x16x16f16 v[38:41], v[34:35], v[22:23], v[38:41]
	s_nop 4
	v_and_or_b32 v44, v0, 48, s14
	v_mov_b32_e32 v45, s17
	v_cmp_gt_i32_e32 vcc, s33, v44
	v_mfma_f32_16x16x16f16 v[34:37], v[36:37], v[24:25], v[38:41]
	s_nop 6
	v_ashrrev_i32_e32 v38, 4, v44
	v_cndmask_b32_e32 v42, v45, v38, vcc
	v_ashrrev_i32_e32 v43, 31, v42
	s_waitcnt vmcnt(5)
	v_mfma_f32_16x16x16f16 v[38:41], v[30:31], v[26:27], 0
	v_lshlrev_b64 v[30:31], 2, v[42:43]
	v_mov_b32_e32 v42, s16
	v_add_co_u32_e32 v30, vcc, s15, v30
	v_addc_co_u32_e32 v31, vcc, v42, v31, vcc
	global_load_dword v42, v[30:31], off
	v_mfma_f32_16x16x16f16 v[30:33], v[32:33], v[28:29], v[38:41]
	v_pk_mul_f32 v[46:47], s[10:11], v[36:37] op_sel_hi:[0,1]
	s_nop 5
	v_or_b32_e32 v38, 64, v44
	v_ashrrev_i32_e32 v39, 4, v38
	v_cmp_gt_i32_e32 vcc, s33, v38
	v_cndmask_b32_e32 v38, v45, v39, vcc
	v_ashrrev_i32_e32 v39, 31, v38
	v_lshlrev_b64 v[38:39], 2, v[38:39]
	s_waitcnt vmcnt(5)
	v_mfma_f32_16x16x16f16 v[30:33], v[14:15], v[22:23], v[30:33]
	v_mov_b32_e32 v40, s16
	v_add_co_u32_e32 v14, vcc, s15, v38
	v_addc_co_u32_e32 v15, vcc, v40, v39, vcc
	global_load_dword v40, v[14:15], off
	v_or_b32_e32 v14, 0x80, v44
	v_ashrrev_i32_e32 v15, 4, v14
	v_cmp_gt_i32_e32 vcc, s33, v14
	v_cndmask_b32_e32 v14, v45, v15, vcc
	v_ashrrev_i32_e32 v15, 31, v14
	v_lshlrev_b64 v[14:15], 2, v[14:15]
	v_mfma_f32_16x16x16f16 v[30:33], v[16:17], v[24:25], v[30:33]
	v_mov_b32_e32 v16, s16
	v_add_co_u32_e32 v38, vcc, s15, v14
	v_addc_co_u32_e32 v39, vcc, v16, v15, vcc
	global_load_dword v38, v[38:39], off
	s_waitcnt vmcnt(6)
	v_mfma_f32_16x16x16f16 v[14:17], v[10:11], v[26:27], 0
	v_mfma_f32_16x16x16f16 v[10:13], v[12:13], v[28:29], v[14:17]
	s_nop 7
	s_nop 1
	v_or_b32_e32 v14, 0xc0, v44
	v_ashrrev_i32_e32 v15, 4, v14
	v_cmp_gt_i32_e32 vcc, s33, v14
	v_cndmask_b32_e32 v14, v45, v15, vcc
	s_waitcnt vmcnt(5)
	v_mfma_f32_16x16x16f16 v[10:13], v[6:7], v[22:23], v[10:13]
	v_ashrrev_i32_e32 v15, 31, v14
	v_lshlrev_b64 v[14:15], 2, v[14:15]
	v_mov_b32_e32 v16, s16
	v_add_co_u32_e32 v6, vcc, s15, v14
	v_addc_co_u32_e32 v7, vcc, v16, v15, vcc
	global_load_dword v49, v[6:7], off
	v_lshl_or_b32 v6, v53, 9, v55
	v_mov_b32_e32 v7, s3
	v_add_co_u32_e32 v60, vcc, s2, v6
	v_addc_co_u32_e32 v61, vcc, 0, v7, vcc
	v_mfma_f32_16x16x16f16 v[56:59], v[8:9], v[24:25], v[10:13]
	v_pk_mul_f32 v[44:45], s[10:11], v[30:31] op_sel_hi:[0,1]
	s_waitcnt vmcnt(3)
	v_mad_i64_i32 v[6:7], s[2:3], v42, s45, 0
	s_nop 3
	v_lshlrev_b64 v[10:11], 1, v[6:7]
	v_mfma_f32_16x16x16f16 v[6:9], v[2:3], v[26:27], 0
	v_add_co_u32_e32 v2, vcc, v60, v10
	v_addc_co_u32_e32 v3, vcc, v61, v11, vcc
	global_load_dwordx4 v[14:17], v[2:3], off
	global_load_dwordx4 v[10:13], v[2:3], off offset:16
	v_pk_mul_f32 v[42:43], s[10:11], v[32:33] op_sel_hi:[0,1]
	s_waitcnt vmcnt(4)
	v_mad_i64_i32 v[2:3], s[2:3], v40, s45, 0
	v_mfma_f32_16x16x16f16 v[26:29], v[4:5], v[28:29], v[6:9]
	v_lshlrev_b64 v[2:3], 1, v[2:3]
	v_add_co_u32_e32 v2, vcc, v60, v2
	v_addc_co_u32_e32 v3, vcc, v61, v3, vcc
	v_pk_mul_f32 v[40:41], s[10:11], v[56:57] op_sel_hi:[0,1]
	s_nop 2
	global_load_dwordx4 v[6:9], v[2:3], off
	s_nop 0
	global_load_dwordx4 v[2:5], v[2:3], off offset:16
	v_mfma_f32_16x16x16f16 v[26:29], v[18:19], v[22:23], v[26:29]
	v_pk_mul_f32 v[18:19], s[10:11], v[34:35] op_sel_hi:[0,1]
	s_waitcnt vmcnt(5)
	v_mad_i64_i32 v[38:39], s[2:3], v38, s45, 0
	v_lshlrev_b64 v[38:39], 1, v[38:39]
	v_add_co_u32_e32 v22, vcc, v60, v38
	v_mfma_f32_16x16x16f16 v[24:27], v[20:21], v[24:25], v[26:29]
	v_and_b32_e32 v20, 0xc0, v0
	v_add_u32_e32 v20, s14, v20
	v_lshl_or_b32 v20, v1, 2, v20
	v_or_b32_e32 v21, 1, v20
	v_addc_co_u32_e32 v23, vcc, v61, v39, vcc
	v_pk_mul_f32 v[38:39], s[10:11], v[58:59] op_sel_hi:[0,1]
	s_nop 4
	v_pk_mul_f32 v[36:37], s[10:11], v[24:25] op_sel_hi:[0,1]
	v_subrev_u32_e32 v24, s33, v21
	v_pk_mul_f32 v[34:35], s[10:11], v[26:27] op_sel_hi:[0,1]
	v_add_u32_e32 v26, 1, v24
	v_add_u32_e32 v27, 2, v24
	v_cvt_f32_i32_e32 v25, v24
	v_cvt_f32_i32_e32 v26, v26
	;; [unrolled: 1-line block ×3, first 2 shown]
	v_add_u32_e32 v28, 3, v24
	v_fma_f32 v18, v48, v25, v18
	v_fmac_f32_e32 v19, v48, v26
	v_fma_f32 v46, v48, v27, v46
	v_add_u32_e32 v25, 16, v24
	v_add_u32_e32 v26, 17, v24
	;; [unrolled: 1-line block ×3, first 2 shown]
	v_cvt_f32_i32_e32 v28, v28
	v_cvt_f32_i32_e32 v25, v25
	;; [unrolled: 1-line block ×4, first 2 shown]
	v_fmac_f32_e32 v47, v48, v28
	v_add_u32_e32 v28, 19, v24
	v_fma_f32 v44, v48, v25, v44
	v_fmac_f32_e32 v45, v48, v26
	v_fma_f32 v42, v48, v27, v42
	v_add_u32_e32 v25, 32, v24
	v_add_u32_e32 v26, 33, v24
	;; [unrolled: 1-line block ×3, first 2 shown]
	v_cvt_f32_i32_e32 v28, v28
	v_cvt_f32_i32_e32 v25, v25
	;; [unrolled: 1-line block ×4, first 2 shown]
	v_fmac_f32_e32 v43, v48, v28
	v_add_u32_e32 v28, 35, v24
	v_fma_f32 v40, v48, v25, v40
	v_fmac_f32_e32 v41, v48, v26
	v_fma_f32 v38, v48, v27, v38
	v_add_u32_e32 v25, 48, v24
	v_add_u32_e32 v26, 49, v24
	;; [unrolled: 1-line block ×4, first 2 shown]
	v_cvt_f32_i32_e32 v24, v24
	v_cvt_f32_i32_e32 v25, v25
	;; [unrolled: 1-line block ×3, first 2 shown]
	v_cmp_gt_i32_e64 s[30:31], s33, v20
	v_fmac_f32_e32 v35, v48, v24
	v_mov_b32_e32 v24, 0xff7fffff
	v_cmp_gt_i32_e64 s[34:35], s33, v21
	v_fma_f32 v36, v48, v25, v36
	v_cndmask_b32_e64 v25, v24, v18, s[30:31]
	v_cndmask_b32_e64 v21, v24, v19, s[34:35]
	v_fmac_f32_e32 v37, v48, v26
	v_max3_f32 v21, v25, s42, v21
	v_or_b32_e32 v25, 2, v20
	v_or_b32_e32 v26, 3, v20
	v_cmp_gt_i32_e64 s[36:37], s33, v25
	v_cmp_gt_i32_e64 s[38:39], s33, v26
	v_cndmask_b32_e64 v25, v24, v46, s[36:37]
	v_cndmask_b32_e64 v26, v24, v47, s[38:39]
	v_max3_f32 v21, v21, v25, v26
	v_or_b32_e32 v25, 16, v20
	v_or_b32_e32 v26, 17, v20
	v_cmp_gt_i32_e64 s[24:25], s33, v25
	v_cmp_gt_i32_e64 s[26:27], s33, v26
	v_cndmask_b32_e64 v25, v24, v44, s[24:25]
	v_cndmask_b32_e64 v26, v24, v45, s[26:27]
	;; [unrolled: 7-line block ×3, first 2 shown]
	v_cvt_f32_i32_e32 v28, v28
	v_max3_f32 v21, v21, v25, v26
	v_or_b32_e32 v25, 32, v20
	v_or_b32_e32 v26, 33, v20
	v_cmp_gt_i32_e64 s[16:17], s33, v25
	v_cmp_gt_i32_e64 s[18:19], s33, v26
	v_cndmask_b32_e64 v25, v24, v40, s[16:17]
	v_cndmask_b32_e64 v26, v24, v41, s[18:19]
	v_max3_f32 v21, v21, v25, v26
	v_or_b32_e32 v25, 34, v20
	v_or_b32_e32 v26, 35, v20
	v_fmac_f32_e32 v39, v48, v28
	v_cmp_gt_i32_e64 s[12:13], s33, v25
	v_cmp_gt_i32_e64 s[14:15], s33, v26
	v_cndmask_b32_e64 v25, v24, v38, s[12:13]
	v_cndmask_b32_e64 v26, v24, v39, s[14:15]
	v_cvt_f32_i32_e32 v27, v27
	v_max3_f32 v21, v21, v25, v26
	v_or_b32_e32 v25, 48, v20
	v_or_b32_e32 v26, 49, v20
	v_cmp_gt_i32_e64 s[8:9], s33, v25
	v_cmp_gt_i32_e64 s[10:11], s33, v26
	v_cndmask_b32_e64 v25, v24, v36, s[8:9]
	v_cndmask_b32_e64 v26, v24, v37, s[10:11]
	v_max3_f32 v21, v21, v25, v26
	v_or_b32_e32 v25, 50, v20
	v_or_b32_e32 v20, 51, v20
	v_fma_f32 v34, v48, v27, v34
	v_cmp_gt_i32_e32 vcc, s33, v25
	v_cmp_gt_i32_e64 s[2:3], s33, v20
	v_cndmask_b32_e32 v25, v24, v34, vcc
	v_cndmask_b32_e64 v20, v24, v35, s[2:3]
	v_max3_f32 v26, v21, v25, v20
	v_mbcnt_lo_u32_b32 v20, -1, 0
	v_mbcnt_hi_u32_b32 v27, -1, v20
	v_and_b32_e32 v20, 64, v27
	v_add_u32_e32 v28, 64, v20
	v_xor_b32_e32 v20, 32, v27
	v_cmp_lt_i32_e64 s[40:41], v20, v28
	v_cndmask_b32_e64 v20, v27, v20, s[40:41]
	v_lshlrev_b32_e32 v57, 2, v20
	ds_bpermute_b32 v29, v57, v26
	s_waitcnt vmcnt(4)
	v_mad_i64_i32 v[20:21], s[40:41], v49, s45, 0
	v_lshlrev_b64 v[20:21], 1, v[20:21]
	global_load_dwordx4 v[30:33], v[22:23], off
	s_nop 0
	global_load_dwordx4 v[22:25], v[22:23], off offset:16
	s_waitcnt lgkmcnt(0)
	v_max_f32_e32 v29, v29, v29
	v_max_f32_e32 v26, v26, v29
	v_xor_b32_e32 v29, 16, v27
	v_cmp_lt_i32_e64 s[40:41], v29, v28
	v_cndmask_b32_e64 v27, v27, v29, s[40:41]
	v_lshlrev_b32_e32 v59, 2, v27
	ds_bpermute_b32 v27, v59, v26
	v_add_co_u32_e64 v20, s[40:41], v60, v20
	v_addc_co_u32_e64 v21, s[40:41], v61, v21, s[40:41]
	s_waitcnt lgkmcnt(0)
	v_max_f32_e32 v27, v27, v27
	v_max_f32_e32 v56, v26, v27
	v_sub_f32_e32 v18, v18, v56
	v_mul_f32_e32 v18, 0x3fb8aa3b, v18
	v_exp_f32_e32 v48, v18
	v_sub_f32_e32 v18, v19, v56
	v_mul_f32_e32 v18, 0x3fb8aa3b, v18
	v_exp_f32_e32 v49, v18
	global_load_dwordx4 v[26:29], v[20:21], off
	s_nop 0
	global_load_dwordx4 v[18:21], v[20:21], off offset:16
	v_sub_f32_e32 v46, v46, v56
	v_mul_f32_e32 v46, 0x3fb8aa3b, v46
	v_sub_f32_e32 v47, v47, v56
	v_exp_f32_e32 v46, v46
	v_mul_f32_e32 v47, 0x3fb8aa3b, v47
	v_sub_f32_e32 v44, v44, v56
	v_exp_f32_e32 v47, v47
	v_mul_f32_e32 v44, 0x3fb8aa3b, v44
	v_sub_f32_e32 v45, v45, v56
	v_cndmask_b32_e64 v48, 0, v48, s[30:31]
	v_exp_f32_e32 v44, v44
	v_mul_f32_e32 v45, 0x3fb8aa3b, v45
	v_sub_f32_e32 v42, v42, v56
	v_add_f32_e32 v58, 0, v48
	v_cndmask_b32_e64 v49, 0, v49, s[34:35]
	v_exp_f32_e32 v45, v45
	v_mul_f32_e32 v42, 0x3fb8aa3b, v42
	v_sub_f32_e32 v43, v43, v56
	v_add_f32_e32 v58, v58, v49
	;; [unrolled: 5-line block ×10, first 2 shown]
	v_cndmask_b32_e64 v38, 0, v38, s[12:13]
	v_exp_f32_e32 v34, v34
	v_mul_f32_e32 v35, 0x3fb8aa3b, v35
	v_add_f32_e32 v58, v58, v38
	v_cndmask_b32_e64 v39, 0, v39, s[14:15]
	v_exp_f32_e32 v35, v35
	v_add_f32_e32 v58, v58, v39
	v_cndmask_b32_e64 v36, 0, v36, s[8:9]
	v_add_f32_e32 v58, v58, v36
	v_cndmask_b32_e64 v37, 0, v37, s[10:11]
	v_add_f32_e32 v58, v58, v37
	v_cndmask_b32_e32 v34, 0, v34, vcc
	v_add_f32_e32 v58, v58, v34
	v_cndmask_b32_e64 v35, 0, v35, s[2:3]
	v_add_f32_e32 v58, v58, v35
	ds_bpermute_b32 v57, v57, v58
	s_load_dword s9, s[4:5], 0x98
	v_cmp_gt_u32_e32 vcc, 16, v54
	s_waitcnt lgkmcnt(0)
	s_barrier
	v_add_f32_e32 v58, v58, v57
	ds_bpermute_b32 v59, v59, v58
	v_lshlrev_b32_e32 v57, 2, v52
	s_waitcnt lgkmcnt(0)
	s_and_saveexec_b64 s[2:3], vcc
	s_cbranch_execz .LBB14_15
; %bb.14:
	v_add_f32_e32 v54, v58, v59
	v_lshl_or_b32 v58, v53, 6, v57
	ds_write2st64_b32 v58, v56, v54 offset1:1
.LBB14_15:
	s_or_b64 exec, exec, s[2:3]
	s_load_dword s8, s[4:5], 0x94
	s_waitcnt lgkmcnt(0)
	s_barrier
	ds_read2_b32 v[58:59], v57 offset1:16
	ds_read2_b32 v[60:61], v57 offset0:32 offset1:48
	ds_read2_b32 v[62:63], v57 offset0:64 offset1:80
	s_mul_i32 s9, s9, 15
	s_waitcnt lgkmcnt(2)
	v_max3_f32 v54, v58, s42, v59
	s_waitcnt lgkmcnt(1)
	v_max3_f32 v54, v54, v60, v61
	v_sub_f32_e32 v56, v58, v54
	v_mul_f32_e32 v56, 0x3fb8aa3b, v56
	v_exp_f32_e32 v64, v56
	v_sub_f32_e32 v56, v59, v54
	v_mul_f32_e32 v56, 0x3fb8aa3b, v56
	v_exp_f32_e32 v65, v56
	;; [unrolled: 3-line block ×3, first 2 shown]
	ds_read2_b32 v[58:59], v57 offset0:96 offset1:112
	v_sub_f32_e32 v56, v61, v54
	v_mul_f32_e32 v56, 0x3fb8aa3b, v56
	v_exp_f32_e32 v57, v56
	s_waitcnt lgkmcnt(1)
	v_fma_f32 v56, v64, v62, 0
	v_fmac_f32_e32 v56, v65, v63
	s_waitcnt lgkmcnt(0)
	v_fmac_f32_e32 v56, v60, v58
	v_fmac_f32_e32 v56, v57, v59
	v_add_f32_e32 v58, 0x358637bd, v56
	v_div_scale_f32 v59, s[2:3], v58, v58, 1.0
	v_rcp_f32_e32 v61, v59
	s_barrier
	v_fma_f32 v62, -v59, v61, 1.0
	v_fmac_f32_e32 v61, v62, v61
	v_div_scale_f32 v62, vcc, 1.0, v58, 1.0
	v_mul_f32_e32 v63, v62, v61
	v_fma_f32 v66, -v59, v63, v62
	v_fmac_f32_e32 v63, v66, v61
	v_fma_f32 v59, -v59, v63, v62
	v_div_fmas_f32 v59, v59, v61, v63
	v_cmp_eq_u32_e32 vcc, 1, v53
	v_div_fixup_f32 v58, v59, v58, 1.0
	v_cndmask_b32_e32 v59, v64, v65, vcc
	v_cmp_eq_u32_e32 vcc, 2, v53
	v_cndmask_b32_e32 v59, v59, v60, vcc
	v_cmp_eq_u32_e32 vcc, 3, v53
	v_cndmask_b32_e32 v57, v59, v57, vcc
	v_mul_f32_e32 v58, v57, v58
	v_pk_mul_f32 v[48:49], v[58:59], v[48:49] op_sel_hi:[0,1]
	v_cvt_f16_f32_e32 v48, v48
	v_cvt_f16_f32_e32 v49, v49
	v_pk_mul_f32 v[46:47], v[58:59], v[46:47] op_sel_hi:[0,1]
	v_pk_mul_f32 v[42:43], v[58:59], v[42:43] op_sel_hi:[0,1]
	;; [unrolled: 1-line block ×3, first 2 shown]
	v_cvt_f16_f32_e32 v57, v46
	v_cvt_f16_f32_e32 v47, v47
	v_pack_b32_f16 v46, v48, v49
	v_cvt_f16_f32_e32 v44, v44
	v_cvt_f16_f32_e32 v45, v45
	;; [unrolled: 1-line block ×4, first 2 shown]
	v_lshlrev_b32_e32 v48, 3, v1
	v_lshlrev_b32_e32 v42, 11, v53
	v_pack_b32_f16 v47, v57, v47
	v_or3_b32 v42, v42, v55, v48
	v_pack_b32_f16 v44, v44, v45
	v_pack_b32_f16 v45, v49, v43
	v_pk_mul_f32 v[38:39], v[58:59], v[38:39] op_sel_hi:[0,1]
	v_pk_mul_f32 v[40:41], v[58:59], v[40:41] op_sel_hi:[0,1]
	;; [unrolled: 1-line block ×4, first 2 shown]
	ds_write2st64_b64 v42, v[46:47], v[44:45] offset1:1
	v_cvt_f16_f32_e32 v40, v40
	v_cvt_f16_f32_e32 v41, v41
	;; [unrolled: 1-line block ×8, first 2 shown]
	v_pack_b32_f16 v34, v40, v41
	v_pack_b32_f16 v35, v38, v39
	;; [unrolled: 1-line block ×4, first 2 shown]
	v_cmp_gt_u32_e32 vcc, 15, v0
	ds_write2st64_b64 v42, v[34:35], v[36:37] offset0:2 offset1:3
	s_and_saveexec_b64 s[2:3], vcc
	s_cbranch_execz .LBB14_17
; %bb.16:
	v_add_co_u32_e32 v36, vcc, s29, v52
	v_addc_co_u32_e64 v37, s[10:11], 0, 0, vcc
	v_mov_b32_e32 v34, s9
	v_mov_b32_e32 v35, 0
	v_mad_u64_u32 v[36:37], s[10:11], s6, v34, v[36:37]
	v_mov_b32_e32 v34, s28
	s_load_dwordx4 s[12:15], s[4:5], 0x58
	s_mul_i32 s7, s7, s9
	v_mad_u64_u32 v[34:35], s[10:11], v36, s8, v[34:35]
	v_add_u32_e32 v37, s7, v37
	v_mov_b32_e32 v36, v35
	v_mad_u64_u32 v[36:37], s[10:11], v37, s8, v[36:37]
	v_mov_b32_e32 v35, v36
	v_lshlrev_b64 v[34:35], 2, v[34:35]
	s_waitcnt lgkmcnt(0)
	v_mov_b32_e32 v37, s15
	v_add_co_u32_e32 v36, vcc, s14, v34
	v_addc_co_u32_e32 v37, vcc, v37, v35, vcc
	global_store_dword v[36:37], v54, off
	v_mov_b32_e32 v36, s13
	v_add_co_u32_e32 v34, vcc, s12, v34
	v_addc_co_u32_e32 v35, vcc, v36, v35, vcc
	global_store_dword v[34:35], v56, off
.LBB14_17:
	s_or_b64 exec, exec, s[2:3]
	v_lshl_or_b32 v43, v1, 9, v55
	s_waitcnt lgkmcnt(0)
	s_barrier
	ds_read_b128 v[34:37], v43
	ds_read_b128 v[38:41], v43 offset:16
	s_waitcnt vmcnt(7) lgkmcnt(1)
	v_mfma_f32_16x16x16f16 v[44:47], v[14:15], v[34:35], 0
	v_cmp_gt_u32_e32 vcc, 64, v0
	s_mov_b32 s3, 0
	s_and_b64 s[0:1], vcc, s[0:1]
	v_mfma_f32_16x16x16f16 v[14:17], v[16:17], v[36:37], v[44:47]
	s_waitcnt vmcnt(6) lgkmcnt(0)
	v_mfma_f32_16x16x16f16 v[14:17], v[10:11], v[38:39], v[14:17]
	v_mfma_f32_16x16x16f16 v[10:13], v[12:13], v[40:41], v[14:17]
	s_nop 7
	s_nop 1
	ds_read_b128 v[14:17], v43 offset:2048
	ds_read_b128 v[34:37], v43 offset:2064
	s_waitcnt vmcnt(5) lgkmcnt(1)
	v_mfma_f32_16x16x16f16 v[10:13], v[6:7], v[14:15], v[10:13]
	v_mfma_f32_16x16x16f16 v[6:9], v[8:9], v[16:17], v[10:13]
	s_waitcnt vmcnt(4) lgkmcnt(0)
	v_mfma_f32_16x16x16f16 v[6:9], v[2:3], v[34:35], v[6:9]
	v_mfma_f32_16x16x16f16 v[2:5], v[4:5], v[36:37], v[6:9]
	s_nop 7
	s_nop 1
	ds_read_b128 v[6:9], v43 offset:4096
	ds_read_b128 v[10:13], v43 offset:4112
	s_waitcnt vmcnt(3) lgkmcnt(1)
	v_mfma_f32_16x16x16f16 v[2:5], v[30:31], v[6:7], v[2:5]
	v_mfma_f32_16x16x16f16 v[2:5], v[32:33], v[8:9], v[2:5]
	s_waitcnt vmcnt(2) lgkmcnt(0)
	v_mfma_f32_16x16x16f16 v[2:5], v[22:23], v[10:11], v[2:5]
	v_mfma_f32_16x16x16f16 v[2:5], v[24:25], v[12:13], v[2:5]
	ds_read_b128 v[6:9], v43 offset:6144
	ds_read_b128 v[10:13], v43 offset:6160
	s_waitcnt lgkmcnt(0)
	s_barrier
	s_waitcnt vmcnt(1)
	v_mfma_f32_16x16x16f16 v[2:5], v[26:27], v[6:7], v[2:5]
	v_mfma_f32_16x16x16f16 v[2:5], v[28:29], v[8:9], v[2:5]
	s_waitcnt vmcnt(0)
	v_mfma_f32_16x16x16f16 v[2:5], v[18:19], v[10:11], v[2:5]
	v_mfma_f32_16x16x16f16 v[2:5], v[20:21], v[12:13], v[2:5]
	s_nop 7
	s_nop 2
	v_cvt_f16_f32_e32 v2, v2
	v_cvt_f16_f32_e32 v3, v3
	;; [unrolled: 1-line block ×4, first 2 shown]
	v_pack_b32_f16 v2, v2, v3
	v_pack_b32_f16 v3, v4, v5
	ds_write_b64 v42, v[2:3]
	s_waitcnt lgkmcnt(0)
	s_barrier
	s_and_saveexec_b64 s[10:11], s[0:1]
	s_cbranch_execz .LBB14_20
; %bb.18:
	s_load_dwordx2 s[4:5], s[4:5], 0x68
	s_lshl_b32 s0, s8, 6
	s_mul_i32 s1, s9, s6
	s_mul_hi_u32 s7, s1, s0
	s_mul_i32 s6, s1, s0
	s_lshl_b64 s[6:7], s[6:7], 1
	s_waitcnt lgkmcnt(0)
	s_add_u32 s1, s4, s6
	v_lshlrev_b32_e32 v0, 10, v0
	s_addc_u32 s4, s5, s7
	s_lshl_b32 s2, s28, 6
	v_and_b32_e32 v0, 0x1800, v0
	v_lshlrev_b32_e32 v2, 5, v1
	v_and_b32_e32 v3, 16, v51
	s_lshl_b64 s[2:3], s[2:3], 1
	v_or3_b32 v0, v0, v2, v3
	s_add_u32 s1, s1, s2
	ds_read_b128 v[4:7], v0 offset:256
	s_addc_u32 s2, s4, s3
	ds_read_b128 v[8:11], v0 offset:128
	ds_read_b128 v[12:15], v0
	v_add_u32_e32 v18, s29, v1
	v_mov_b32_e32 v3, s2
	v_add_co_u32_e32 v2, vcc, s1, v50
	v_mad_u64_u32 v[16:17], s[2:3], v18, s0, 0
	v_addc_co_u32_e32 v3, vcc, 0, v3, vcc
	v_lshlrev_b64 v[16:17], 1, v[16:17]
	v_add_co_u32_e32 v16, vcc, v2, v16
	v_addc_co_u32_e32 v17, vcc, v3, v17, vcc
	s_waitcnt lgkmcnt(0)
	global_store_dwordx4 v[16:17], v[12:15], off
	s_nop 0
	v_add_u32_e32 v12, 4, v18
	v_mad_u64_u32 v[12:13], s[2:3], v12, s0, 0
	v_lshlrev_b64 v[12:13], 1, v[12:13]
	v_add_co_u32_e32 v12, vcc, v2, v12
	v_addc_co_u32_e32 v13, vcc, v3, v13, vcc
	global_store_dwordx4 v[12:13], v[8:11], off
	s_nop 0
	v_add_u32_e32 v8, 8, v18
	v_mad_u64_u32 v[8:9], s[2:3], v8, s0, 0
	v_lshlrev_b64 v[8:9], 1, v[8:9]
	v_add_co_u32_e32 v8, vcc, v2, v8
	v_addc_co_u32_e32 v9, vcc, v3, v9, vcc
	v_cmp_ne_u32_e32 vcc, 3, v1
	global_store_dwordx4 v[8:9], v[4:7], off
	s_and_b64 exec, exec, vcc
	s_cbranch_execz .LBB14_20
; %bb.19:
	ds_read_b128 v[4:7], v0 offset:384
	v_add3_u32 v0, s29, v1, 12
	v_mad_u64_u32 v[0:1], s[0:1], v0, s0, 0
	v_lshlrev_b64 v[0:1], 1, v[0:1]
	v_add_co_u32_e32 v0, vcc, v2, v0
	v_addc_co_u32_e32 v1, vcc, v3, v1, vcc
	s_waitcnt lgkmcnt(0)
	global_store_dwordx4 v[0:1], v[4:7], off
.LBB14_20:
	s_endpgm
	.section	.rodata,"a",@progbits
	.p2align	6, 0x0
	.amdhsa_kernel _Z39paged_attention_ll4mi_QKV_mfma16_kernelIDF16_DF16_LN4vllm18Fp8KVCacheDataTypeE0EDF16_Li16ELi64ELi256ELb1ELi15EL8MFMAType0EEvPKT_PKT0_S8_ifPKiSA_SA_iPKfiiiPfSD_PS3_PT2_iSC_SC_
		.amdhsa_group_segment_fixed_size 8192
		.amdhsa_private_segment_fixed_size 0
		.amdhsa_kernarg_size 400
		.amdhsa_user_sgpr_count 6
		.amdhsa_user_sgpr_private_segment_buffer 1
		.amdhsa_user_sgpr_dispatch_ptr 0
		.amdhsa_user_sgpr_queue_ptr 0
		.amdhsa_user_sgpr_kernarg_segment_ptr 1
		.amdhsa_user_sgpr_dispatch_id 0
		.amdhsa_user_sgpr_flat_scratch_init 0
		.amdhsa_user_sgpr_kernarg_preload_length 0
		.amdhsa_user_sgpr_kernarg_preload_offset 0
		.amdhsa_user_sgpr_private_segment_size 0
		.amdhsa_uses_dynamic_stack 0
		.amdhsa_system_sgpr_private_segment_wavefront_offset 0
		.amdhsa_system_sgpr_workgroup_id_x 1
		.amdhsa_system_sgpr_workgroup_id_y 1
		.amdhsa_system_sgpr_workgroup_id_z 1
		.amdhsa_system_sgpr_workgroup_info 0
		.amdhsa_system_vgpr_workitem_id 0
		.amdhsa_next_free_vgpr 67
		.amdhsa_next_free_sgpr 48
		.amdhsa_accum_offset 68
		.amdhsa_reserve_vcc 1
		.amdhsa_reserve_flat_scratch 0
		.amdhsa_float_round_mode_32 0
		.amdhsa_float_round_mode_16_64 0
		.amdhsa_float_denorm_mode_32 3
		.amdhsa_float_denorm_mode_16_64 3
		.amdhsa_dx10_clamp 1
		.amdhsa_ieee_mode 1
		.amdhsa_fp16_overflow 0
		.amdhsa_tg_split 0
		.amdhsa_exception_fp_ieee_invalid_op 0
		.amdhsa_exception_fp_denorm_src 0
		.amdhsa_exception_fp_ieee_div_zero 0
		.amdhsa_exception_fp_ieee_overflow 0
		.amdhsa_exception_fp_ieee_underflow 0
		.amdhsa_exception_fp_ieee_inexact 0
		.amdhsa_exception_int_div_zero 0
	.end_amdhsa_kernel
	.section	.text._Z39paged_attention_ll4mi_QKV_mfma16_kernelIDF16_DF16_LN4vllm18Fp8KVCacheDataTypeE0EDF16_Li16ELi64ELi256ELb1ELi15EL8MFMAType0EEvPKT_PKT0_S8_ifPKiSA_SA_iPKfiiiPfSD_PS3_PT2_iSC_SC_,"axG",@progbits,_Z39paged_attention_ll4mi_QKV_mfma16_kernelIDF16_DF16_LN4vllm18Fp8KVCacheDataTypeE0EDF16_Li16ELi64ELi256ELb1ELi15EL8MFMAType0EEvPKT_PKT0_S8_ifPKiSA_SA_iPKfiiiPfSD_PS3_PT2_iSC_SC_,comdat
.Lfunc_end14:
	.size	_Z39paged_attention_ll4mi_QKV_mfma16_kernelIDF16_DF16_LN4vllm18Fp8KVCacheDataTypeE0EDF16_Li16ELi64ELi256ELb1ELi15EL8MFMAType0EEvPKT_PKT0_S8_ifPKiSA_SA_iPKfiiiPfSD_PS3_PT2_iSC_SC_, .Lfunc_end14-_Z39paged_attention_ll4mi_QKV_mfma16_kernelIDF16_DF16_LN4vllm18Fp8KVCacheDataTypeE0EDF16_Li16ELi64ELi256ELb1ELi15EL8MFMAType0EEvPKT_PKT0_S8_ifPKiSA_SA_iPKfiiiPfSD_PS3_PT2_iSC_SC_
                                        ; -- End function
	.section	.AMDGPU.csdata,"",@progbits
; Kernel info:
; codeLenInByte = 4360
; NumSgprs: 52
; NumVgprs: 67
; NumAgprs: 0
; TotalNumVgprs: 67
; ScratchSize: 0
; MemoryBound: 0
; FloatMode: 240
; IeeeMode: 1
; LDSByteSize: 8192 bytes/workgroup (compile time only)
; SGPRBlocks: 6
; VGPRBlocks: 8
; NumSGPRsForWavesPerEU: 52
; NumVGPRsForWavesPerEU: 67
; AccumOffset: 68
; Occupancy: 7
; WaveLimiterHint : 1
; COMPUTE_PGM_RSRC2:SCRATCH_EN: 0
; COMPUTE_PGM_RSRC2:USER_SGPR: 6
; COMPUTE_PGM_RSRC2:TRAP_HANDLER: 0
; COMPUTE_PGM_RSRC2:TGID_X_EN: 1
; COMPUTE_PGM_RSRC2:TGID_Y_EN: 1
; COMPUTE_PGM_RSRC2:TGID_Z_EN: 1
; COMPUTE_PGM_RSRC2:TIDIG_COMP_CNT: 0
; COMPUTE_PGM_RSRC3_GFX90A:ACCUM_OFFSET: 16
; COMPUTE_PGM_RSRC3_GFX90A:TG_SPLIT: 0
	.section	.text._Z39paged_attention_ll4mi_QKV_mfma16_kernelIDF16_DF16_LN4vllm18Fp8KVCacheDataTypeE0EDF16_Li16ELi64ELi256ELb1ELi16EL8MFMAType0EEvPKT_PKT0_S8_ifPKiSA_SA_iPKfiiiPfSD_PS3_PT2_iSC_SC_,"axG",@progbits,_Z39paged_attention_ll4mi_QKV_mfma16_kernelIDF16_DF16_LN4vllm18Fp8KVCacheDataTypeE0EDF16_Li16ELi64ELi256ELb1ELi16EL8MFMAType0EEvPKT_PKT0_S8_ifPKiSA_SA_iPKfiiiPfSD_PS3_PT2_iSC_SC_,comdat
	.protected	_Z39paged_attention_ll4mi_QKV_mfma16_kernelIDF16_DF16_LN4vllm18Fp8KVCacheDataTypeE0EDF16_Li16ELi64ELi256ELb1ELi16EL8MFMAType0EEvPKT_PKT0_S8_ifPKiSA_SA_iPKfiiiPfSD_PS3_PT2_iSC_SC_ ; -- Begin function _Z39paged_attention_ll4mi_QKV_mfma16_kernelIDF16_DF16_LN4vllm18Fp8KVCacheDataTypeE0EDF16_Li16ELi64ELi256ELb1ELi16EL8MFMAType0EEvPKT_PKT0_S8_ifPKiSA_SA_iPKfiiiPfSD_PS3_PT2_iSC_SC_
	.globl	_Z39paged_attention_ll4mi_QKV_mfma16_kernelIDF16_DF16_LN4vllm18Fp8KVCacheDataTypeE0EDF16_Li16ELi64ELi256ELb1ELi16EL8MFMAType0EEvPKT_PKT0_S8_ifPKiSA_SA_iPKfiiiPfSD_PS3_PT2_iSC_SC_
	.p2align	8
	.type	_Z39paged_attention_ll4mi_QKV_mfma16_kernelIDF16_DF16_LN4vllm18Fp8KVCacheDataTypeE0EDF16_Li16ELi64ELi256ELb1ELi16EL8MFMAType0EEvPKT_PKT0_S8_ifPKiSA_SA_iPKfiiiPfSD_PS3_PT2_iSC_SC_,@function
_Z39paged_attention_ll4mi_QKV_mfma16_kernelIDF16_DF16_LN4vllm18Fp8KVCacheDataTypeE0EDF16_Li16ELi64ELi256ELb1ELi16EL8MFMAType0EEvPKT_PKT0_S8_ifPKiSA_SA_iPKfiiiPfSD_PS3_PT2_iSC_SC_: ; @_Z39paged_attention_ll4mi_QKV_mfma16_kernelIDF16_DF16_LN4vllm18Fp8KVCacheDataTypeE0EDF16_Li16ELi64ELi256ELb1ELi16EL8MFMAType0EEvPKT_PKT0_S8_ifPKiSA_SA_iPKfiiiPfSD_PS3_PT2_iSC_SC_
; %bb.0:
	s_load_dwordx2 s[0:1], s[4:5], 0x30
	s_mov_b32 s28, s7
	s_mov_b64 s[2:3], 0
	s_waitcnt lgkmcnt(0)
	s_cmp_lg_u64 s[0:1], 0
	s_cselect_b64 s[10:11], -1, 0
	s_and_b64 vcc, exec, s[10:11]
	s_cbranch_vccz .LBB15_7
; %bb.1:
	s_add_i32 s12, s6, 1
	s_mov_b32 s13, 0
	s_lshl_b64 s[14:15], s[12:13], 2
	s_add_u32 s14, s0, s14
	s_mov_b32 s7, s13
	s_addc_u32 s15, s1, s15
	s_lshl_b64 s[12:13], s[6:7], 2
	s_add_u32 s12, s0, s12
	s_addc_u32 s13, s1, s13
	s_load_dword s9, s[14:15], 0x0
	s_load_dword s16, s[12:13], 0x0
	s_waitcnt lgkmcnt(0)
	s_sub_i32 s9, s9, s16
	s_cmp_eq_u32 s9, 1
	s_cselect_b64 s[12:13], -1, 0
	s_andn2_b64 vcc, exec, s[2:3]
	s_cbranch_vccnz .LBB15_3
.LBB15_2:
	s_mov_b32 s7, 0
	s_mov_b64 s[12:13], -1
.LBB15_3:
	s_andn2_b64 vcc, exec, s[12:13]
	s_cbranch_vccnz .LBB15_17
; %bb.4:
	s_load_dwordx2 s[2:3], s[4:5], 0x28
	s_lshl_b64 s[16:17], s[6:7], 2
	s_waitcnt lgkmcnt(0)
	s_add_u32 s2, s2, s16
	s_addc_u32 s3, s3, s17
	s_load_dword s40, s[2:3], 0x0
	s_lshl_b32 s18, s28, 8
	s_waitcnt lgkmcnt(0)
	s_cmp_ge_i32 s18, s40
	s_cbranch_scc1 .LBB15_17
; %bb.5:
	s_add_i32 s12, s40, 15
	s_load_dwordx2 s[2:3], s[4:5], 0x20
	s_load_dword s9, s[4:5], 0x38
	s_ashr_i32 s13, s12, 31
	v_and_b32_e32 v1, 0xcf, v0
	s_lshr_b32 s13, s13, 28
	v_add_u32_e32 v1, s18, v1
	s_add_i32 s12, s12, s13
	v_ashrrev_i32_e32 v2, 31, v1
	s_ashr_i32 s21, s12, 4
	v_lshrrev_b32_e32 v4, 28, v2
	s_add_i32 s21, s21, -1
	v_add_u32_e32 v2, v1, v4
	s_waitcnt lgkmcnt(0)
	s_mul_i32 s12, s6, s9
	s_mov_b32 s13, 0
	v_ashrrev_i32_e32 v2, 4, v2
	v_mov_b32_e32 v5, s21
	v_cmp_gt_i32_e32 vcc, s40, v1
	s_lshl_b64 s[12:13], s[12:13], 2
	v_cndmask_b32_e32 v2, v5, v2, vcc
	s_add_u32 s19, s2, s12
	v_ashrrev_i32_e32 v3, 31, v2
	s_addc_u32 s20, s3, s13
	v_lshlrev_b64 v[2:3], 2, v[2:3]
	v_mov_b32_e32 v7, s20
	v_add_co_u32_e32 v6, vcc, s19, v2
	v_or_b32_e32 v2, 16, v1
	v_addc_co_u32_e32 v7, vcc, v7, v3, vcc
	v_add_u32_e32 v3, v2, v4
	v_ashrrev_i32_e32 v3, 4, v3
	v_cmp_gt_i32_e32 vcc, s40, v2
	v_cndmask_b32_e32 v2, v5, v3, vcc
	v_ashrrev_i32_e32 v3, 31, v2
	v_lshlrev_b64 v[2:3], 2, v[2:3]
	v_mov_b32_e32 v9, s20
	v_add_co_u32_e32 v8, vcc, s19, v2
	v_or_b32_e32 v2, 32, v1
	v_addc_co_u32_e32 v9, vcc, v9, v3, vcc
	v_add_u32_e32 v3, v2, v4
	v_ashrrev_i32_e32 v3, 4, v3
	v_cmp_gt_i32_e32 vcc, s40, v2
	v_cndmask_b32_e32 v2, v5, v3, vcc
	v_ashrrev_i32_e32 v3, 31, v2
	;; [unrolled: 10-line block ×3, first 2 shown]
	v_lshlrev_b64 v[2:3], 2, v[2:3]
	v_mov_b32_e32 v1, s20
	v_add_co_u32_e32 v12, vcc, s19, v2
	v_addc_co_u32_e32 v13, vcc, v1, v3, vcc
	global_load_dword v5, v[6:7], off
	global_load_dword v4, v[8:9], off
	global_load_dword v3, v[10:11], off
	global_load_dword v2, v[12:13], off
	s_load_dwordx2 s[2:3], s[4:5], 0x40
	s_load_dwordx4 s[12:15], s[4:5], 0x8
	s_andn2_b64 vcc, exec, s[10:11]
	s_cbranch_vccnz .LBB15_8
; %bb.6:
	s_add_u32 s0, s0, s16
	s_addc_u32 s1, s1, s17
	s_load_dword s9, s[0:1], 0x0
	s_branch .LBB15_9
.LBB15_7:
	s_mov_b64 s[12:13], 0
	s_branch .LBB15_2
.LBB15_8:
	s_mov_b32 s9, s6
.LBB15_9:
	s_load_dwordx4 s[44:47], s[4:5], 0x48
	v_and_b32_e32 v57, 15, v0
	s_movk_i32 s0, 0x100
	v_lshlrev_b32_e32 v6, 3, v57
	v_cmp_gt_u32_e32 vcc, s0, v0
	v_cmp_gt_u32_e64 s[0:1], 8, v57
	v_lshrrev_b32_e32 v55, 6, v0
	v_and_b32_e32 v56, 63, v0
	v_bfe_u32 v1, v0, 4, 2
	s_lshl_b32 s29, s8, 4
	s_and_b64 s[16:17], vcc, s[0:1]
	v_lshlrev_b32_e32 v52, 1, v6
	s_and_saveexec_b64 s[10:11], s[16:17]
	s_cbranch_execz .LBB15_11
; %bb.10:
	s_load_dwordx2 s[16:17], s[4:5], 0x0
	s_waitcnt lgkmcnt(0)
	s_ashr_i32 s22, s44, 31
	s_mul_hi_u32 s23, s9, s44
	s_mul_i32 s22, s9, s22
	v_lshl_or_b32 v10, v55, 2, v1
	s_add_i32 s23, s23, s22
	s_mul_i32 s22, s9, s44
	s_lshl_b64 s[22:23], s[22:23], 1
	v_add_lshl_u32 v6, v10, s29, 6
	s_add_u32 s9, s16, s22
	v_ashrrev_i32_e32 v7, 31, v6
	s_addc_u32 s16, s17, s23
	v_lshlrev_b64 v[6:7], 1, v[6:7]
	v_mov_b32_e32 v8, s16
	v_add_co_u32_e32 v6, vcc, s9, v6
	v_addc_co_u32_e32 v7, vcc, v8, v7, vcc
	v_add_co_u32_e32 v6, vcc, v6, v52
	v_addc_co_u32_e32 v7, vcc, 0, v7, vcc
	global_load_dwordx4 v[6:9], v[6:7], off
	v_and_b32_e32 v11, 3, v0
	v_lshlrev_b32_e32 v12, 9, v57
	v_lshlrev_b32_e32 v10, 5, v10
	;; [unrolled: 1-line block ×3, first 2 shown]
	v_and_b32_e32 v12, 0x1800, v12
	v_or3_b32 v10, v12, v11, v10
	s_waitcnt vmcnt(0)
	ds_write_b128 v10, v[6:9]
.LBB15_11:
	s_or_b64 exec, exec, s[10:11]
	s_waitcnt lgkmcnt(0)
	s_mul_i32 s8, s8, s46
	s_mov_b32 s9, 0
	s_lshl_b64 s[8:9], s[8:9], 1
	s_add_u32 s11, s12, s8
	v_lshlrev_b32_e32 v53, 4, v0
	s_addc_u32 s12, s13, s9
	v_and_b32_e32 v6, 0xf0, v53
	v_mov_b32_e32 v7, s12
	v_add_co_u32_e32 v28, vcc, s11, v6
	v_addc_co_u32_e32 v29, vcc, 0, v7, vcc
	s_waitcnt vmcnt(3)
	v_mad_i64_i32 v[6:7], s[12:13], v5, s45, 0
	v_lshlrev_b64 v[6:7], 1, v[6:7]
	v_add_co_u32_e32 v5, vcc, v28, v6
	v_addc_co_u32_e32 v6, vcc, v29, v7, vcc
	v_and_b32_e32 v30, 0x300, v53
	v_add_co_u32_e32 v18, vcc, v5, v30
	v_addc_co_u32_e32 v19, vcc, 0, v6, vcc
	s_load_dword s33, s[4:5], 0x98
	s_load_dword s10, s[4:5], 0x1c
	s_waitcnt lgkmcnt(0)
	s_barrier
	global_load_dwordx4 v[6:9], v[18:19], off
	s_waitcnt vmcnt(3)
	v_mad_i64_i32 v[4:5], s[12:13], v4, s45, 0
	v_lshlrev_b64 v[4:5], 1, v[4:5]
	v_add_co_u32_e32 v4, vcc, v28, v4
	v_addc_co_u32_e32 v5, vcc, v29, v5, vcc
	v_add_co_u32_e32 v4, vcc, v4, v30
	v_addc_co_u32_e32 v5, vcc, 0, v5, vcc
	global_load_dwordx4 v[22:25], v[4:5], off
	global_load_dwordx4 v[10:13], v[18:19], off offset:1024
	global_load_dwordx4 v[14:17], v[4:5], off offset:1024
	s_waitcnt vmcnt(5)
	v_mad_i64_i32 v[4:5], s[12:13], v3, s45, 0
	v_lshlrev_b64 v[32:33], 1, v[4:5]
	v_add_co_u32_e32 v31, vcc, v28, v32
	v_addc_co_u32_e32 v36, vcc, v29, v33, vcc
	v_lshlrev_b32_e32 v58, 5, v57
	v_add_co_u32_e32 v44, vcc, v31, v30
	v_lshl_or_b32 v54, v1, 9, v58
	v_addc_co_u32_e32 v45, vcc, 0, v36, vcc
	s_waitcnt vmcnt(4)
	v_mad_i64_i32 v[26:27], s[12:13], v2, s45, 0
	ds_read_b128 v[2:5], v54
	ds_read_b128 v[18:21], v54 offset:2048
	global_load_dwordx4 v[36:39], v[44:45], off
	v_and_or_b32 v59, v0, 48, s18
	global_load_dwordx4 v[44:47], v[44:45], off offset:1024
	v_mov_b32_e32 v60, s21
	v_cmp_gt_i32_e32 vcc, s40, v59
	v_or_b32_e32 v50, 64, v59
	v_lshlrev_b64 v[26:27], 1, v[26:27]
	v_mov_b32_e32 v31, s20
	v_or_b32_e32 v51, 0x80, v59
	v_mov_b32_e32 v48, s20
	v_mov_b32_e32 v49, s20
	s_mov_b32 s42, 0xff7fffff
	s_waitcnt vmcnt(4) lgkmcnt(1)
	v_mfma_f32_16x16x16f16 v[40:43], v[22:23], v[2:3], 0
	v_mfma_f32_16x16x16f16 v[32:35], v[6:7], v[2:3], 0
	v_ashrrev_i32_e32 v6, 4, v59
	v_cndmask_b32_e32 v22, v60, v6, vcc
	v_cmp_gt_i32_e32 vcc, s40, v50
	v_ashrrev_i32_e32 v23, 31, v22
	v_mfma_f32_16x16x16f16 v[6:9], v[8:9], v[4:5], v[32:35]
	s_nop 6
	v_ashrrev_i32_e32 v32, 4, v50
	v_cndmask_b32_e32 v32, v60, v32, vcc
	v_add_co_u32_e32 v26, vcc, v28, v26
	v_addc_co_u32_e32 v27, vcc, v29, v27, vcc
	v_lshlrev_b64 v[34:35], 2, v[22:23]
	v_mfma_f32_16x16x16f16 v[22:25], v[24:25], v[4:5], v[40:43]
	v_ashrrev_i32_e32 v33, 4, v51
	s_nop 5
	v_add_co_u32_e32 v40, vcc, v26, v30
	v_addc_co_u32_e32 v41, vcc, 0, v27, vcc
	global_load_dwordx4 v[26:29], v[40:41], off
	s_waitcnt vmcnt(4) lgkmcnt(0)
	v_mfma_f32_16x16x16f16 v[6:9], v[10:11], v[18:19], v[6:9]
	v_add_co_u32_e32 v10, vcc, s19, v34
	v_addc_co_u32_e32 v11, vcc, v31, v35, vcc
	global_load_dword v61, v[10:11], off
	v_cmp_gt_i32_e32 vcc, s40, v51
	v_cndmask_b32_e32 v10, v60, v33, vcc
	v_ashrrev_i32_e32 v33, 31, v32
	s_waitcnt vmcnt(4)
	v_mfma_f32_16x16x16f16 v[22:25], v[14:15], v[18:19], v[22:25]
	v_lshlrev_b64 v[14:15], 2, v[32:33]
	v_add_co_u32_e32 v14, vcc, s19, v14
	v_ashrrev_i32_e32 v11, 31, v10
	v_addc_co_u32_e32 v15, vcc, v48, v15, vcc
	v_or_b32_e32 v34, s29, v57
	v_mfma_f32_16x16x16f16 v[30:33], v[12:13], v[20:21], v[6:9]
	global_load_dword v62, v[14:15], off
	v_ashrrev_i32_e32 v35, 31, v34
	v_mov_b32_e32 v12, s3
	v_lshlrev_b32_e32 v57, 2, v57
	s_nop 2
	v_lshlrev_b64 v[6:7], 2, v[10:11]
	v_add_co_u32_e32 v6, vcc, s19, v6
	v_addc_co_u32_e32 v7, vcc, v49, v7, vcc
	global_load_dwordx4 v[48:51], v[40:41], off offset:1024
	global_load_dword v63, v[6:7], off
	v_lshlrev_b64 v[10:11], 2, v[34:35]
	v_add_co_u32_e32 v10, vcc, s2, v10
	v_addc_co_u32_e32 v11, vcc, v12, v11, vcc
	global_load_dword v35, v[10:11], off
	s_waitcnt vmcnt(7)
	v_mfma_f32_16x16x16f16 v[6:9], v[36:37], v[2:3], 0
	v_or_b32_e32 v10, 0xc0, v59
	v_ashrrev_i32_e32 v11, 4, v10
	v_cmp_gt_i32_e32 vcc, s40, v10
	v_cndmask_b32_e32 v10, v60, v11, vcc
	v_ashrrev_i32_e32 v11, 31, v10
	v_lshlrev_b64 v[10:11], 2, v[10:11]
	v_mov_b32_e32 v12, s20
	v_mfma_f32_16x16x16f16 v[6:9], v[38:39], v[4:5], v[6:9]
	v_add_co_u32_e32 v10, vcc, s19, v10
	v_addc_co_u32_e32 v11, vcc, v12, v11, vcc
	global_load_dword v59, v[10:11], off
	s_add_u32 s2, s14, s8
	s_addc_u32 s3, s15, s9
	s_waitcnt vmcnt(7)
	v_mfma_f32_16x16x16f16 v[6:9], v[44:45], v[18:19], v[6:9]
	v_lshl_or_b32 v10, v55, 9, v58
	v_mov_b32_e32 v11, s3
	v_add_co_u32_e32 v60, vcc, s2, v10
	v_addc_co_u32_e32 v64, vcc, 0, v11, vcc
	v_mfma_f32_16x16x16f16 v[36:39], v[46:47], v[20:21], v[6:9]
	v_mfma_f32_16x16x16f16 v[40:43], v[16:17], v[20:21], v[22:25]
	s_waitcnt vmcnt(5)
	s_nop 4
	v_mad_i64_i32 v[6:7], s[2:3], v61, s45, 0
	v_lshlrev_b64 v[10:11], 1, v[6:7]
	v_mfma_f32_16x16x16f16 v[6:9], v[26:27], v[2:3], 0
	v_add_co_u32_e32 v2, vcc, v60, v10
	s_nop 0
	v_pk_mul_f32 v[46:47], s[10:11], v[40:41] op_sel_hi:[0,1]
	v_pk_mul_f32 v[40:41], s[10:11], v[38:39] op_sel_hi:[0,1]
	v_addc_co_u32_e32 v3, vcc, v64, v11, vcc
	v_pk_mul_f32 v[44:45], s[10:11], v[42:43] op_sel_hi:[0,1]
	v_mfma_f32_16x16x16f16 v[22:25], v[28:29], v[4:5], v[6:9]
	v_pk_mul_f32 v[42:43], s[10:11], v[36:37] op_sel_hi:[0,1]
	global_load_dwordx4 v[14:17], v[2:3], off
	global_load_dwordx4 v[10:13], v[2:3], off offset:16
	s_waitcnt vmcnt(6)
	v_mad_i64_i32 v[2:3], s[2:3], v62, s45, 0
	v_lshlrev_b64 v[2:3], 1, v[2:3]
	v_add_co_u32_e32 v2, vcc, v60, v2
	v_addc_co_u32_e32 v3, vcc, v64, v3, vcc
	global_load_dwordx4 v[6:9], v[2:3], off
	s_nop 0
	global_load_dwordx4 v[2:5], v[2:3], off offset:16
	s_waitcnt vmcnt(6)
	v_mad_i64_i32 v[26:27], s[2:3], v63, s45, 0
	v_lshlrev_b64 v[28:29], 1, v[26:27]
	v_mfma_f32_16x16x16f16 v[24:27], v[48:49], v[18:19], v[22:25]
	v_pk_mul_f32 v[48:49], s[10:11], v[32:33] op_sel_hi:[0,1]
	v_pk_mul_f32 v[18:19], s[10:11], v[30:31] op_sel_hi:[0,1]
	v_mfma_f32_16x16x16f16 v[24:27], v[50:51], v[20:21], v[24:27]
	v_and_b32_e32 v20, 0xc0, v0
	v_add_u32_e32 v20, s18, v20
	v_lshl_or_b32 v20, v1, 2, v20
	v_or_b32_e32 v21, 1, v20
	v_add_co_u32_e32 v22, vcc, v60, v28
	v_cmp_gt_i32_e64 s[30:31], s40, v20
	s_nop 4
	v_pk_mul_f32 v[38:39], s[10:11], v[24:25] op_sel_hi:[0,1]
	v_subrev_u32_e32 v24, s40, v21
	v_pk_mul_f32 v[36:37], s[10:11], v[26:27] op_sel_hi:[0,1]
	v_add_u32_e32 v26, 1, v24
	v_add_u32_e32 v27, 2, v24
	v_cvt_f32_i32_e32 v25, v24
	v_cvt_f32_i32_e32 v26, v26
	;; [unrolled: 1-line block ×3, first 2 shown]
	v_add_u32_e32 v28, 3, v24
	s_waitcnt vmcnt(5)
	v_fma_f32 v18, v35, v25, v18
	v_fmac_f32_e32 v19, v35, v26
	v_fma_f32 v48, v35, v27, v48
	v_add_u32_e32 v25, 16, v24
	v_add_u32_e32 v26, 17, v24
	v_add_u32_e32 v27, 18, v24
	v_cvt_f32_i32_e32 v28, v28
	v_cvt_f32_i32_e32 v25, v25
	;; [unrolled: 1-line block ×4, first 2 shown]
	v_fmac_f32_e32 v49, v35, v28
	v_add_u32_e32 v28, 19, v24
	v_fma_f32 v46, v35, v25, v46
	v_fmac_f32_e32 v47, v35, v26
	v_fma_f32 v44, v35, v27, v44
	v_add_u32_e32 v25, 32, v24
	v_add_u32_e32 v26, 33, v24
	;; [unrolled: 1-line block ×3, first 2 shown]
	v_cvt_f32_i32_e32 v28, v28
	v_cvt_f32_i32_e32 v25, v25
	;; [unrolled: 1-line block ×4, first 2 shown]
	v_fmac_f32_e32 v45, v35, v28
	v_add_u32_e32 v28, 35, v24
	v_fma_f32 v42, v35, v25, v42
	v_fmac_f32_e32 v43, v35, v26
	v_fma_f32 v40, v35, v27, v40
	v_add_u32_e32 v25, 48, v24
	v_add_u32_e32 v26, 49, v24
	;; [unrolled: 1-line block ×4, first 2 shown]
	v_cvt_f32_i32_e32 v24, v24
	v_cvt_f32_i32_e32 v25, v25
	v_cvt_f32_i32_e32 v26, v26
	v_cmp_gt_i32_e64 s[34:35], s40, v21
	v_fmac_f32_e32 v37, v35, v24
	v_mov_b32_e32 v24, 0xff7fffff
	v_fma_f32 v38, v35, v25, v38
	v_cndmask_b32_e64 v25, v24, v18, s[30:31]
	v_cndmask_b32_e64 v21, v24, v19, s[34:35]
	v_fmac_f32_e32 v39, v35, v26
	v_max3_f32 v21, v25, s42, v21
	v_or_b32_e32 v25, 2, v20
	v_or_b32_e32 v26, 3, v20
	v_cmp_gt_i32_e64 s[36:37], s40, v25
	v_cmp_gt_i32_e64 s[38:39], s40, v26
	v_cndmask_b32_e64 v25, v24, v48, s[36:37]
	v_cndmask_b32_e64 v26, v24, v49, s[38:39]
	v_max3_f32 v21, v21, v25, v26
	v_or_b32_e32 v25, 16, v20
	v_or_b32_e32 v26, 17, v20
	v_cmp_gt_i32_e64 s[24:25], s40, v25
	v_cmp_gt_i32_e64 s[26:27], s40, v26
	v_cndmask_b32_e64 v25, v24, v46, s[24:25]
	v_cndmask_b32_e64 v26, v24, v47, s[26:27]
	;; [unrolled: 7-line block ×3, first 2 shown]
	v_cvt_f32_i32_e32 v28, v28
	v_max3_f32 v21, v21, v25, v26
	v_or_b32_e32 v25, 32, v20
	v_or_b32_e32 v26, 33, v20
	v_cmp_gt_i32_e64 s[16:17], s40, v25
	v_cmp_gt_i32_e64 s[18:19], s40, v26
	v_cndmask_b32_e64 v25, v24, v42, s[16:17]
	v_cndmask_b32_e64 v26, v24, v43, s[18:19]
	v_max3_f32 v21, v21, v25, v26
	v_or_b32_e32 v25, 34, v20
	v_or_b32_e32 v26, 35, v20
	v_fmac_f32_e32 v41, v35, v28
	v_cmp_gt_i32_e64 s[12:13], s40, v25
	v_cmp_gt_i32_e64 s[14:15], s40, v26
	v_cndmask_b32_e64 v25, v24, v40, s[12:13]
	v_cndmask_b32_e64 v26, v24, v41, s[14:15]
	v_cvt_f32_i32_e32 v27, v27
	v_max3_f32 v21, v21, v25, v26
	v_or_b32_e32 v25, 48, v20
	v_or_b32_e32 v26, 49, v20
	v_cmp_gt_i32_e64 s[8:9], s40, v25
	v_cmp_gt_i32_e64 s[10:11], s40, v26
	v_cndmask_b32_e64 v25, v24, v38, s[8:9]
	v_cndmask_b32_e64 v26, v24, v39, s[10:11]
	v_addc_co_u32_e32 v23, vcc, v64, v29, vcc
	v_max3_f32 v21, v21, v25, v26
	v_or_b32_e32 v25, 50, v20
	v_or_b32_e32 v20, 51, v20
	v_fma_f32 v36, v35, v27, v36
	v_cmp_gt_i32_e32 vcc, s40, v25
	v_cmp_gt_i32_e64 s[2:3], s40, v20
	v_cndmask_b32_e32 v25, v24, v36, vcc
	v_cndmask_b32_e64 v20, v24, v37, s[2:3]
	v_max3_f32 v26, v21, v25, v20
	v_mbcnt_lo_u32_b32 v20, -1, 0
	v_mbcnt_hi_u32_b32 v27, -1, v20
	v_and_b32_e32 v20, 64, v27
	v_add_u32_e32 v28, 64, v20
	v_xor_b32_e32 v20, 32, v27
	v_cmp_lt_i32_e64 s[40:41], v20, v28
	v_cndmask_b32_e64 v20, v27, v20, s[40:41]
	v_lshlrev_b32_e32 v61, 2, v20
	ds_bpermute_b32 v29, v61, v26
	s_waitcnt vmcnt(4)
	v_mad_i64_i32 v[20:21], s[40:41], v59, s45, 0
	v_lshlrev_b64 v[20:21], 1, v[20:21]
	global_load_dwordx4 v[30:33], v[22:23], off
	s_nop 0
	global_load_dwordx4 v[22:25], v[22:23], off offset:16
	s_waitcnt lgkmcnt(0)
	v_max_f32_e32 v29, v29, v29
	v_max_f32_e32 v26, v26, v29
	v_xor_b32_e32 v29, 16, v27
	v_cmp_lt_i32_e64 s[40:41], v29, v28
	v_cndmask_b32_e64 v27, v27, v29, s[40:41]
	v_lshlrev_b32_e32 v62, 2, v27
	ds_bpermute_b32 v27, v62, v26
	v_add_co_u32_e64 v20, s[40:41], v60, v20
	v_addc_co_u32_e64 v21, s[40:41], v64, v21, s[40:41]
	s_waitcnt lgkmcnt(0)
	v_max_f32_e32 v27, v27, v27
	v_max_f32_e32 v35, v26, v27
	v_sub_f32_e32 v18, v18, v35
	v_mul_f32_e32 v18, 0x3fb8aa3b, v18
	v_exp_f32_e32 v50, v18
	v_sub_f32_e32 v18, v19, v35
	v_mul_f32_e32 v18, 0x3fb8aa3b, v18
	v_exp_f32_e32 v51, v18
	global_load_dwordx4 v[26:29], v[20:21], off
	s_nop 0
	global_load_dwordx4 v[18:21], v[20:21], off offset:16
	v_sub_f32_e32 v48, v48, v35
	v_mul_f32_e32 v48, 0x3fb8aa3b, v48
	v_sub_f32_e32 v49, v49, v35
	v_exp_f32_e32 v48, v48
	v_mul_f32_e32 v49, 0x3fb8aa3b, v49
	v_sub_f32_e32 v46, v46, v35
	v_exp_f32_e32 v49, v49
	v_mul_f32_e32 v46, 0x3fb8aa3b, v46
	v_sub_f32_e32 v47, v47, v35
	v_cndmask_b32_e64 v50, 0, v50, s[30:31]
	v_exp_f32_e32 v46, v46
	v_mul_f32_e32 v47, 0x3fb8aa3b, v47
	v_sub_f32_e32 v44, v44, v35
	v_add_f32_e32 v59, 0, v50
	v_cndmask_b32_e64 v51, 0, v51, s[34:35]
	v_exp_f32_e32 v47, v47
	v_mul_f32_e32 v44, 0x3fb8aa3b, v44
	v_sub_f32_e32 v45, v45, v35
	v_add_f32_e32 v59, v59, v51
	;; [unrolled: 5-line block ×10, first 2 shown]
	v_cndmask_b32_e64 v40, 0, v40, s[12:13]
	v_exp_f32_e32 v36, v36
	v_mul_f32_e32 v37, 0x3fb8aa3b, v37
	v_add_f32_e32 v59, v59, v40
	v_cndmask_b32_e64 v41, 0, v41, s[14:15]
	v_exp_f32_e32 v37, v37
	v_add_f32_e32 v59, v59, v41
	v_cndmask_b32_e64 v38, 0, v38, s[8:9]
	v_add_f32_e32 v59, v59, v38
	v_cndmask_b32_e64 v39, 0, v39, s[10:11]
	v_add_f32_e32 v59, v59, v39
	v_cndmask_b32_e32 v36, 0, v36, vcc
	v_add_f32_e32 v59, v59, v36
	v_cndmask_b32_e64 v37, 0, v37, s[2:3]
	v_add_f32_e32 v59, v59, v37
	ds_bpermute_b32 v60, v61, v59
	v_cmp_gt_u32_e32 vcc, 16, v56
	s_waitcnt lgkmcnt(0)
	s_barrier
	v_add_f32_e32 v59, v59, v60
	ds_bpermute_b32 v60, v62, v59
	s_and_saveexec_b64 s[2:3], vcc
	s_cbranch_execz .LBB15_13
; %bb.12:
	s_waitcnt lgkmcnt(0)
	v_add_f32_e32 v56, v59, v60
	v_lshl_or_b32 v59, v55, 6, v57
	ds_write2st64_b32 v59, v35, v56 offset1:1
.LBB15_13:
	s_or_b64 exec, exec, s[2:3]
	s_load_dword s8, s[4:5], 0x94
	s_waitcnt lgkmcnt(0)
	s_barrier
	ds_read2_b32 v[60:61], v57 offset1:16
	ds_read2_b32 v[62:63], v57 offset0:32 offset1:48
	ds_read2_b32 v[64:65], v57 offset0:64 offset1:80
	s_lshl_b32 s9, s33, 4
	s_waitcnt lgkmcnt(2)
	v_max3_f32 v35, v60, s42, v61
	s_waitcnt lgkmcnt(1)
	v_max3_f32 v56, v35, v62, v63
	v_sub_f32_e32 v35, v60, v56
	v_mul_f32_e32 v35, 0x3fb8aa3b, v35
	v_sub_f32_e32 v59, v61, v56
	v_sub_f32_e32 v60, v62, v56
	v_exp_f32_e32 v35, v35
	v_mul_f32_e32 v59, 0x3fb8aa3b, v59
	v_mul_f32_e32 v60, 0x3fb8aa3b, v60
	v_exp_f32_e32 v59, v59
	v_exp_f32_e32 v62, v60
	ds_read2_b32 v[60:61], v57 offset0:96 offset1:112
	v_sub_f32_e32 v57, v63, v56
	v_mul_f32_e32 v57, 0x3fb8aa3b, v57
	v_exp_f32_e32 v63, v57
	s_waitcnt lgkmcnt(1)
	v_fma_f32 v57, v35, v64, 0
	v_fmac_f32_e32 v57, v59, v65
	s_waitcnt lgkmcnt(0)
	v_fmac_f32_e32 v57, v62, v60
	v_fmac_f32_e32 v57, v63, v61
	v_add_f32_e32 v60, 0x358637bd, v57
	v_div_scale_f32 v61, s[2:3], v60, v60, 1.0
	v_rcp_f32_e32 v64, v61
	s_barrier
	v_fma_f32 v65, -v61, v64, 1.0
	v_fmac_f32_e32 v64, v65, v64
	v_div_scale_f32 v65, vcc, 1.0, v60, 1.0
	v_mul_f32_e32 v66, v65, v64
	v_fma_f32 v67, -v61, v66, v65
	v_fmac_f32_e32 v66, v67, v64
	v_fma_f32 v61, -v61, v66, v65
	v_div_fmas_f32 v61, v61, v64, v66
	v_cmp_eq_u32_e32 vcc, 1, v55
	v_cndmask_b32_e32 v35, v35, v59, vcc
	v_cmp_eq_u32_e32 vcc, 2, v55
	v_cndmask_b32_e32 v35, v35, v62, vcc
	v_cmp_eq_u32_e32 vcc, 3, v55
	v_div_fixup_f32 v60, v61, v60, 1.0
	v_cndmask_b32_e32 v35, v35, v63, vcc
	v_mul_f32_e32 v60, v35, v60
	v_pk_mul_f32 v[50:51], v[60:61], v[50:51] op_sel_hi:[0,1]
	v_cvt_f16_f32_e32 v35, v50
	v_cvt_f16_f32_e32 v50, v51
	v_pk_mul_f32 v[48:49], v[60:61], v[48:49] op_sel_hi:[0,1]
	v_pk_mul_f32 v[44:45], v[60:61], v[44:45] op_sel_hi:[0,1]
	;; [unrolled: 1-line block ×3, first 2 shown]
	v_cvt_f16_f32_e32 v51, v48
	v_pack_b32_f16 v48, v35, v50
	v_cvt_f16_f32_e32 v46, v46
	v_cvt_f16_f32_e32 v47, v47
	;; [unrolled: 1-line block ×4, first 2 shown]
	v_lshlrev_b32_e32 v35, 3, v1
	v_lshlrev_b32_e32 v44, 11, v55
	v_pk_mul_f32 v[40:41], v[60:61], v[40:41] op_sel_hi:[0,1]
	v_pk_mul_f32 v[42:43], v[60:61], v[42:43] op_sel_hi:[0,1]
	;; [unrolled: 1-line block ×4, first 2 shown]
	v_cvt_f16_f32_e32 v49, v49
	v_or3_b32 v44, v44, v58, v35
	v_pack_b32_f16 v46, v46, v47
	v_pack_b32_f16 v47, v50, v45
	v_cvt_f16_f32_e32 v35, v42
	v_cvt_f16_f32_e32 v42, v43
	;; [unrolled: 1-line block ×8, first 2 shown]
	v_pack_b32_f16 v49, v51, v49
	v_pack_b32_f16 v36, v35, v42
	v_pack_b32_f16 v37, v40, v41
	v_pack_b32_f16 v38, v38, v39
	v_pack_b32_f16 v39, v43, v45
	v_cmp_gt_u32_e32 vcc, 16, v0
	ds_write2st64_b64 v44, v[48:49], v[46:47] offset1:1
	ds_write2st64_b64 v44, v[36:37], v[38:39] offset0:2 offset1:3
	s_and_saveexec_b64 s[2:3], vcc
	s_cbranch_execz .LBB15_15
; %bb.14:
	v_mov_b32_e32 v35, 0
	v_mov_b32_e32 v36, s9
	v_mad_u64_u32 v[36:37], s[10:11], s6, v36, v[34:35]
	v_mov_b32_e32 v34, s28
	s_load_dwordx4 s[12:15], s[4:5], 0x58
	s_mul_i32 s7, s7, s9
	v_mad_u64_u32 v[34:35], s[10:11], v36, s8, v[34:35]
	v_add_u32_e32 v37, s7, v37
	v_mov_b32_e32 v36, v35
	v_mad_u64_u32 v[36:37], s[10:11], v37, s8, v[36:37]
	v_mov_b32_e32 v35, v36
	v_lshlrev_b64 v[34:35], 2, v[34:35]
	s_waitcnt lgkmcnt(0)
	v_mov_b32_e32 v37, s15
	v_add_co_u32_e32 v36, vcc, s14, v34
	v_addc_co_u32_e32 v37, vcc, v37, v35, vcc
	global_store_dword v[36:37], v56, off
	v_mov_b32_e32 v36, s13
	v_add_co_u32_e32 v34, vcc, s12, v34
	v_addc_co_u32_e32 v35, vcc, v36, v35, vcc
	global_store_dword v[34:35], v57, off
.LBB15_15:
	s_or_b64 exec, exec, s[2:3]
	s_waitcnt lgkmcnt(0)
	s_barrier
	ds_read_b128 v[34:37], v54
	ds_read_b128 v[38:41], v54 offset:16
	s_waitcnt vmcnt(7) lgkmcnt(1)
	v_mfma_f32_16x16x16f16 v[46:49], v[14:15], v[34:35], 0
	v_cmp_gt_u32_e32 vcc, 64, v0
	s_mov_b32 s3, 0
	s_and_b64 s[0:1], vcc, s[0:1]
	v_mfma_f32_16x16x16f16 v[14:17], v[16:17], v[36:37], v[46:49]
	s_waitcnt vmcnt(6) lgkmcnt(0)
	v_mfma_f32_16x16x16f16 v[14:17], v[10:11], v[38:39], v[14:17]
	v_mfma_f32_16x16x16f16 v[10:13], v[12:13], v[40:41], v[14:17]
	s_nop 7
	s_nop 1
	ds_read_b128 v[14:17], v54 offset:2048
	ds_read_b128 v[34:37], v54 offset:2064
	s_waitcnt vmcnt(5) lgkmcnt(1)
	v_mfma_f32_16x16x16f16 v[10:13], v[6:7], v[14:15], v[10:13]
	v_mfma_f32_16x16x16f16 v[6:9], v[8:9], v[16:17], v[10:13]
	s_waitcnt vmcnt(4) lgkmcnt(0)
	v_mfma_f32_16x16x16f16 v[6:9], v[2:3], v[34:35], v[6:9]
	v_mfma_f32_16x16x16f16 v[2:5], v[4:5], v[36:37], v[6:9]
	s_nop 7
	s_nop 1
	ds_read_b128 v[6:9], v54 offset:4096
	ds_read_b128 v[10:13], v54 offset:4112
	s_waitcnt vmcnt(3) lgkmcnt(1)
	v_mfma_f32_16x16x16f16 v[2:5], v[30:31], v[6:7], v[2:5]
	v_mfma_f32_16x16x16f16 v[2:5], v[32:33], v[8:9], v[2:5]
	s_waitcnt vmcnt(2) lgkmcnt(0)
	v_mfma_f32_16x16x16f16 v[2:5], v[22:23], v[10:11], v[2:5]
	v_mfma_f32_16x16x16f16 v[2:5], v[24:25], v[12:13], v[2:5]
	ds_read_b128 v[6:9], v54 offset:6144
	ds_read_b128 v[10:13], v54 offset:6160
	s_waitcnt lgkmcnt(0)
	s_barrier
	s_waitcnt vmcnt(1)
	v_mfma_f32_16x16x16f16 v[2:5], v[26:27], v[6:7], v[2:5]
	v_mfma_f32_16x16x16f16 v[2:5], v[28:29], v[8:9], v[2:5]
	s_waitcnt vmcnt(0)
	v_mfma_f32_16x16x16f16 v[2:5], v[18:19], v[10:11], v[2:5]
	v_mfma_f32_16x16x16f16 v[2:5], v[20:21], v[12:13], v[2:5]
	s_nop 7
	s_nop 2
	v_cvt_f16_f32_e32 v2, v2
	v_cvt_f16_f32_e32 v3, v3
	;; [unrolled: 1-line block ×4, first 2 shown]
	v_pack_b32_f16 v2, v2, v3
	v_pack_b32_f16 v3, v4, v5
	ds_write_b64 v44, v[2:3]
	s_waitcnt lgkmcnt(0)
	s_barrier
	s_and_saveexec_b64 s[10:11], s[0:1]
	s_cbranch_execz .LBB15_17
; %bb.16:
	s_load_dwordx2 s[0:1], s[4:5], 0x68
	s_lshl_b32 s7, s8, 6
	s_mul_i32 s2, s9, s6
	s_mul_hi_u32 s5, s2, s7
	s_mul_i32 s4, s2, s7
	s_lshl_b64 s[4:5], s[4:5], 1
	s_waitcnt lgkmcnt(0)
	s_add_u32 s4, s0, s4
	s_addc_u32 s5, s1, s5
	s_lshl_b32 s2, s28, 6
	v_lshlrev_b32_e32 v0, 10, v0
	s_lshl_b64 s[0:1], s[2:3], 1
	v_and_b32_e32 v0, 0x1800, v0
	v_lshlrev_b32_e32 v2, 5, v1
	v_and_b32_e32 v3, 16, v53
	s_add_u32 s0, s4, s0
	v_or3_b32 v0, v0, v2, v3
	s_addc_u32 s1, s5, s1
	ds_read_b128 v[2:5], v0
	ds_read_b128 v[6:9], v0 offset:128
	ds_read_b128 v[10:13], v0 offset:256
	;; [unrolled: 1-line block ×3, first 2 shown]
	v_mov_b32_e32 v0, s1
	v_add_co_u32_e32 v18, vcc, s0, v52
	v_or_b32_e32 v20, s29, v1
	v_addc_co_u32_e32 v19, vcc, 0, v0, vcc
	v_mad_u64_u32 v[0:1], s[0:1], v20, s7, 0
	v_lshlrev_b64 v[0:1], 1, v[0:1]
	v_add_co_u32_e32 v0, vcc, v18, v0
	v_addc_co_u32_e32 v1, vcc, v19, v1, vcc
	s_waitcnt lgkmcnt(3)
	global_store_dwordx4 v[0:1], v[2:5], off
	v_or_b32_e32 v0, 4, v20
	v_mad_u64_u32 v[0:1], s[0:1], v0, s7, 0
	v_lshlrev_b64 v[0:1], 1, v[0:1]
	v_add_co_u32_e32 v0, vcc, v18, v0
	v_addc_co_u32_e32 v1, vcc, v19, v1, vcc
	s_waitcnt lgkmcnt(2)
	global_store_dwordx4 v[0:1], v[6:9], off
	v_or_b32_e32 v0, 8, v20
	;; [unrolled: 7-line block ×3, first 2 shown]
	v_mad_u64_u32 v[0:1], s[0:1], v0, s7, 0
	v_lshlrev_b64 v[0:1], 1, v[0:1]
	v_add_co_u32_e32 v0, vcc, v18, v0
	v_addc_co_u32_e32 v1, vcc, v19, v1, vcc
	s_waitcnt lgkmcnt(0)
	global_store_dwordx4 v[0:1], v[14:17], off
.LBB15_17:
	s_endpgm
	.section	.rodata,"a",@progbits
	.p2align	6, 0x0
	.amdhsa_kernel _Z39paged_attention_ll4mi_QKV_mfma16_kernelIDF16_DF16_LN4vllm18Fp8KVCacheDataTypeE0EDF16_Li16ELi64ELi256ELb1ELi16EL8MFMAType0EEvPKT_PKT0_S8_ifPKiSA_SA_iPKfiiiPfSD_PS3_PT2_iSC_SC_
		.amdhsa_group_segment_fixed_size 8192
		.amdhsa_private_segment_fixed_size 0
		.amdhsa_kernarg_size 400
		.amdhsa_user_sgpr_count 6
		.amdhsa_user_sgpr_private_segment_buffer 1
		.amdhsa_user_sgpr_dispatch_ptr 0
		.amdhsa_user_sgpr_queue_ptr 0
		.amdhsa_user_sgpr_kernarg_segment_ptr 1
		.amdhsa_user_sgpr_dispatch_id 0
		.amdhsa_user_sgpr_flat_scratch_init 0
		.amdhsa_user_sgpr_kernarg_preload_length 0
		.amdhsa_user_sgpr_kernarg_preload_offset 0
		.amdhsa_user_sgpr_private_segment_size 0
		.amdhsa_uses_dynamic_stack 0
		.amdhsa_system_sgpr_private_segment_wavefront_offset 0
		.amdhsa_system_sgpr_workgroup_id_x 1
		.amdhsa_system_sgpr_workgroup_id_y 1
		.amdhsa_system_sgpr_workgroup_id_z 1
		.amdhsa_system_sgpr_workgroup_info 0
		.amdhsa_system_vgpr_workitem_id 0
		.amdhsa_next_free_vgpr 68
		.amdhsa_next_free_sgpr 48
		.amdhsa_accum_offset 68
		.amdhsa_reserve_vcc 1
		.amdhsa_reserve_flat_scratch 0
		.amdhsa_float_round_mode_32 0
		.amdhsa_float_round_mode_16_64 0
		.amdhsa_float_denorm_mode_32 3
		.amdhsa_float_denorm_mode_16_64 3
		.amdhsa_dx10_clamp 1
		.amdhsa_ieee_mode 1
		.amdhsa_fp16_overflow 0
		.amdhsa_tg_split 0
		.amdhsa_exception_fp_ieee_invalid_op 0
		.amdhsa_exception_fp_denorm_src 0
		.amdhsa_exception_fp_ieee_div_zero 0
		.amdhsa_exception_fp_ieee_overflow 0
		.amdhsa_exception_fp_ieee_underflow 0
		.amdhsa_exception_fp_ieee_inexact 0
		.amdhsa_exception_int_div_zero 0
	.end_amdhsa_kernel
	.section	.text._Z39paged_attention_ll4mi_QKV_mfma16_kernelIDF16_DF16_LN4vllm18Fp8KVCacheDataTypeE0EDF16_Li16ELi64ELi256ELb1ELi16EL8MFMAType0EEvPKT_PKT0_S8_ifPKiSA_SA_iPKfiiiPfSD_PS3_PT2_iSC_SC_,"axG",@progbits,_Z39paged_attention_ll4mi_QKV_mfma16_kernelIDF16_DF16_LN4vllm18Fp8KVCacheDataTypeE0EDF16_Li16ELi64ELi256ELb1ELi16EL8MFMAType0EEvPKT_PKT0_S8_ifPKiSA_SA_iPKfiiiPfSD_PS3_PT2_iSC_SC_,comdat
.Lfunc_end15:
	.size	_Z39paged_attention_ll4mi_QKV_mfma16_kernelIDF16_DF16_LN4vllm18Fp8KVCacheDataTypeE0EDF16_Li16ELi64ELi256ELb1ELi16EL8MFMAType0EEvPKT_PKT0_S8_ifPKiSA_SA_iPKfiiiPfSD_PS3_PT2_iSC_SC_, .Lfunc_end15-_Z39paged_attention_ll4mi_QKV_mfma16_kernelIDF16_DF16_LN4vllm18Fp8KVCacheDataTypeE0EDF16_Li16ELi64ELi256ELb1ELi16EL8MFMAType0EEvPKT_PKT0_S8_ifPKiSA_SA_iPKfiiiPfSD_PS3_PT2_iSC_SC_
                                        ; -- End function
	.section	.AMDGPU.csdata,"",@progbits
; Kernel info:
; codeLenInByte = 4280
; NumSgprs: 52
; NumVgprs: 68
; NumAgprs: 0
; TotalNumVgprs: 68
; ScratchSize: 0
; MemoryBound: 0
; FloatMode: 240
; IeeeMode: 1
; LDSByteSize: 8192 bytes/workgroup (compile time only)
; SGPRBlocks: 6
; VGPRBlocks: 8
; NumSGPRsForWavesPerEU: 52
; NumVGPRsForWavesPerEU: 68
; AccumOffset: 68
; Occupancy: 7
; WaveLimiterHint : 1
; COMPUTE_PGM_RSRC2:SCRATCH_EN: 0
; COMPUTE_PGM_RSRC2:USER_SGPR: 6
; COMPUTE_PGM_RSRC2:TRAP_HANDLER: 0
; COMPUTE_PGM_RSRC2:TGID_X_EN: 1
; COMPUTE_PGM_RSRC2:TGID_Y_EN: 1
; COMPUTE_PGM_RSRC2:TGID_Z_EN: 1
; COMPUTE_PGM_RSRC2:TIDIG_COMP_CNT: 0
; COMPUTE_PGM_RSRC3_GFX90A:ACCUM_OFFSET: 16
; COMPUTE_PGM_RSRC3_GFX90A:TG_SPLIT: 0
	.section	.text._Z35paged_attention_ll4mi_reduce_kernelIDF16_DF16_Li64ELi64ELi256ELi1EEvPT0_PKfS3_PKT_PKiS8_iS3_,"axG",@progbits,_Z35paged_attention_ll4mi_reduce_kernelIDF16_DF16_Li64ELi64ELi256ELi1EEvPT0_PKfS3_PKT_PKiS8_iS3_,comdat
	.protected	_Z35paged_attention_ll4mi_reduce_kernelIDF16_DF16_Li64ELi64ELi256ELi1EEvPT0_PKfS3_PKT_PKiS8_iS3_ ; -- Begin function _Z35paged_attention_ll4mi_reduce_kernelIDF16_DF16_Li64ELi64ELi256ELi1EEvPT0_PKfS3_PKT_PKiS8_iS3_
	.globl	_Z35paged_attention_ll4mi_reduce_kernelIDF16_DF16_Li64ELi64ELi256ELi1EEvPT0_PKfS3_PKT_PKiS8_iS3_
	.p2align	8
	.type	_Z35paged_attention_ll4mi_reduce_kernelIDF16_DF16_Li64ELi64ELi256ELi1EEvPT0_PKfS3_PKT_PKiS8_iS3_,@function
_Z35paged_attention_ll4mi_reduce_kernelIDF16_DF16_Li64ELi64ELi256ELi1EEvPT0_PKfS3_PKT_PKiS8_iS3_: ; @_Z35paged_attention_ll4mi_reduce_kernelIDF16_DF16_Li64ELi64ELi256ELi1EEvPT0_PKfS3_PKT_PKiS8_iS3_
; %bb.0:
	s_load_dwordx2 s[16:17], s[4:5], 0x28
	s_mov_b32 s2, s7
	s_mov_b64 s[0:1], 0
	s_waitcnt lgkmcnt(0)
	s_cmp_lg_u64 s[16:17], 0
	s_cselect_b64 s[18:19], -1, 0
	s_and_b64 vcc, exec, s[18:19]
	s_cbranch_vccz .LBB16_19
; %bb.1:
	s_add_i32 s8, s2, 1
	s_mov_b32 s9, 0
	s_lshl_b64 s[10:11], s[8:9], 2
	s_add_u32 s10, s16, s10
	s_mov_b32 s3, s9
	s_addc_u32 s11, s17, s11
	s_lshl_b64 s[8:9], s[2:3], 2
	s_add_u32 s8, s16, s8
	s_addc_u32 s9, s17, s9
	s_load_dword s7, s[10:11], 0x0
	s_load_dword s12, s[8:9], 0x0
	s_waitcnt lgkmcnt(0)
	s_sub_i32 s7, s7, s12
	s_cmp_eq_u32 s7, 1
	s_cselect_b64 s[8:9], -1, 0
	s_andn2_b64 vcc, exec, s[0:1]
	s_cbranch_vccnz .LBB16_3
.LBB16_2:
	s_mov_b32 s3, 0
	s_mov_b64 s[8:9], -1
.LBB16_3:
	s_andn2_b64 vcc, exec, s[8:9]
	s_cbranch_vccz .LBB16_5
; %bb.4:
	s_endpgm
.LBB16_5:
	s_load_dwordx4 s[8:11], s[4:5], 0x18
	s_load_dword s13, s[4:5], 0x30
	s_lshl_b64 s[20:21], s[2:3], 2
	v_cmp_lt_u32_e32 vcc, 63, v0
	s_waitcnt lgkmcnt(0)
	s_add_u32 s0, s10, s20
	s_addc_u32 s1, s11, s21
	s_load_dword s26, s[0:1], 0x0
	s_load_dword s7, s[4:5], 0x40
	s_mul_i32 s10, s6, s13
	s_mul_i32 s11, s2, s13
	s_waitcnt lgkmcnt(0)
	s_add_i32 s12, s26, 0xff
	s_ashr_i32 s0, s12, 31
	s_lshr_b32 s0, s0, 24
	s_add_i32 s12, s12, s0
	s_and_saveexec_b64 s[0:1], vcc
	s_xor_b64 s[0:1], exec, s[0:1]
	s_or_saveexec_b64 s[22:23], s[0:1]
	s_ashr_i32 s27, s12, 8
	v_mov_b32_e32 v1, s10
	s_mul_i32 s24, s11, s7
	s_xor_b64 exec, exec, s[22:23]
	s_cbranch_execz .LBB16_9
; %bb.6:
	s_load_dwordx4 s[12:15], s[4:5], 0x8
	s_mov_b32 s25, 0
	s_lshl_b64 s[28:29], s[24:25], 2
	s_mov_b32 s11, s25
	v_cmp_gt_u32_e32 vcc, s27, v0
	s_waitcnt lgkmcnt(0)
	s_add_u32 s0, s14, s28
	s_addc_u32 s1, s15, s29
	s_lshl_b64 s[14:15], s[10:11], 2
	s_add_u32 s0, s0, s14
	s_addc_u32 s1, s1, s15
	s_add_i32 s11, s27, -1
	v_mov_b32_e32 v1, s11
	v_cndmask_b32_e32 v2, v1, v0, vcc
	v_ashrrev_i32_e32 v3, 31, v2
	v_lshlrev_b64 v[2:3], 2, v[2:3]
	v_mov_b32_e32 v1, s1
	v_add_co_u32_e64 v4, s[0:1], s0, v2
	v_addc_co_u32_e64 v5, s[0:1], v1, v3, s[0:1]
	global_load_dword v1, v[4:5], off
	s_add_u32 s0, s12, s28
	s_addc_u32 s1, s13, s29
	s_add_u32 s0, s0, s14
	s_addc_u32 s1, s1, s15
	v_mov_b32_e32 v4, s1
	v_add_co_u32_e64 v2, s[0:1], s0, v2
	v_addc_co_u32_e64 v3, s[0:1], v4, v3, s[0:1]
	global_load_dword v2, v[2:3], off
	v_mbcnt_lo_u32_b32 v3, -1, 0
	v_mbcnt_hi_u32_b32 v3, -1, v3
	v_and_b32_e32 v4, 64, v3
	v_xor_b32_e32 v5, 32, v3
	v_add_u32_e32 v4, 64, v4
	v_cmp_lt_i32_e64 s[0:1], v5, v4
	v_cndmask_b32_e64 v5, v3, v5, s[0:1]
	v_lshlrev_b32_e32 v5, 2, v5
	v_xor_b32_e32 v6, 16, v3
	v_cmp_lt_i32_e64 s[0:1], v6, v4
	v_cndmask_b32_e64 v6, v3, v6, s[0:1]
	v_lshlrev_b32_e32 v6, 2, v6
	v_xor_b32_e32 v9, 8, v3
	;; [unrolled: 4-line block ×5, first 2 shown]
	v_cmp_lt_i32_e64 s[0:1], v12, v4
	v_cndmask_b32_e64 v3, v3, v12, s[0:1]
	v_lshlrev_b32_e32 v3, 2, v3
	s_mov_b32 s0, 0x3fb8aa3b
	s_mov_b32 s11, 0x42b17218
	s_waitcnt vmcnt(1)
	ds_bpermute_b32 v7, v5, v1
	v_max_f32_e32 v8, v1, v1
	s_waitcnt lgkmcnt(0)
	v_max_f32_e32 v7, v7, v7
	v_max_f32_e32 v7, v8, v7
	ds_bpermute_b32 v8, v6, v7
	s_waitcnt lgkmcnt(0)
	v_max_f32_e32 v8, v8, v8
	v_max_f32_e32 v7, v7, v8
	ds_bpermute_b32 v8, v9, v7
	;; [unrolled: 4-line block ×5, first 2 shown]
	s_waitcnt lgkmcnt(0)
	v_max_f32_e32 v7, v7, v7
	v_max_f32_e32 v4, v4, v7
	v_sub_f32_e32 v1, v1, v4
	v_mul_f32_e32 v4, 0x3fb8aa3b, v1
	v_fma_f32 v7, v1, s0, -v4
	v_rndne_f32_e32 v8, v4
	v_fmac_f32_e32 v7, 0x32a5705f, v1
	v_sub_f32_e32 v4, v4, v8
	v_add_f32_e32 v4, v4, v7
	v_cvt_i32_f32_e32 v8, v8
	v_exp_f32_e32 v4, v4
	s_mov_b32 s0, 0xc2ce8ed0
	v_cmp_ngt_f32_e64 s[0:1], s0, v1
	v_mov_b32_e32 v7, 0x7f800000
	v_ldexp_f32 v4, v4, v8
	v_cndmask_b32_e64 v4, 0, v4, s[0:1]
	v_cmp_nlt_f32_e64 s[0:1], s11, v1
	v_cndmask_b32_e64 v1, v7, v4, s[0:1]
	v_cndmask_b32_e32 v1, 0, v1, vcc
	s_waitcnt vmcnt(0)
	v_mul_f32_e32 v4, v1, v2
	ds_bpermute_b32 v1, v5, v4
	v_cmp_eq_u32_e32 vcc, 0, v0
	s_waitcnt lgkmcnt(0)
	v_add_f32_e32 v1, v4, v1
	ds_bpermute_b32 v2, v6, v1
	s_waitcnt lgkmcnt(0)
	v_add_f32_e32 v1, v1, v2
	ds_bpermute_b32 v2, v9, v1
	;; [unrolled: 3-line block ×5, first 2 shown]
	v_lshlrev_b32_e32 v3, 2, v0
	ds_write_b32 v3, v4
	s_and_saveexec_b64 s[0:1], vcc
	s_cbranch_execz .LBB16_8
; %bb.7:
	s_waitcnt lgkmcnt(1)
	v_add_f32_e32 v1, v1, v2
	v_mov_b32_e32 v2, 0
	ds_write_b32 v2, v1 offset:256
.LBB16_8:
	s_or_b64 exec, exec, s[0:1]
	v_mov_b32_e32 v1, s10
.LBB16_9:
	s_or_b64 exec, exec, s[22:23]
	s_lshl_b32 s0, s24, 6
	s_mov_b32 s1, 0
	s_waitcnt lgkmcnt(1)
	v_lshlrev_b32_e32 v2, 6, v1
	v_mov_b32_e32 v3, 0
	s_lshl_b64 s[0:1], s[0:1], 1
	s_add_u32 s0, s8, s0
	v_lshlrev_b64 v[4:5], 1, v[2:3]
	s_addc_u32 s1, s9, s1
	v_add_co_u32_e32 v4, vcc, s0, v4
	s_lshl_b32 s0, s27, 6
	s_sub_i32 s8, s0, 64
	s_cmp_lt_i32 s26, 1
	v_mov_b32_e32 v1, s1
	s_cselect_b32 s0, s8, 0
	v_addc_co_u32_e32 v1, vcc, v1, v5, vcc
	v_lshlrev_b32_e32 v2, 1, v0
	s_ashr_i32 s1, s0, 31
	v_add_co_u32_e32 v0, vcc, v4, v2
	s_lshl_b64 s[0:1], s[0:1], 1
	v_addc_co_u32_e32 v1, vcc, 0, v1, vcc
	s_cmpk_lt_i32 s26, 0x101
	v_add_co_u32_e32 v12, vcc, s0, v0
	s_cselect_b32 s0, s8, 64
	v_mov_b32_e32 v4, s1
	s_ashr_i32 s1, s0, 31
	s_lshl_b64 s[0:1], s[0:1], 1
	v_addc_co_u32_e32 v13, vcc, v1, v4, vcc
	s_cmpk_lt_i32 s26, 0x201
	v_add_co_u32_e32 v14, vcc, s0, v0
	s_cselect_b32 s0, s8, 0x80
	v_mov_b32_e32 v4, s1
	s_ashr_i32 s1, s0, 31
	;; [unrolled: 7-line block ×8, first 2 shown]
	s_lshl_b64 s[0:1], s[0:1], 1
	v_addc_co_u32_e32 v27, vcc, v1, v4, vcc
	s_cmpk_lt_i32 s26, 0x901
	global_load_ushort v4, v[12:13], off
	global_load_ushort v5, v[14:15], off
	;; [unrolled: 1-line block ×8, first 2 shown]
	v_add_co_u32_e32 v20, vcc, s0, v0
	s_cselect_b32 s0, s8, 0x240
	v_mov_b32_e32 v12, s1
	s_ashr_i32 s1, s0, 31
	s_lshl_b64 s[0:1], s[0:1], 1
	v_addc_co_u32_e32 v21, vcc, v1, v12, vcc
	s_cmpk_lt_i32 s26, 0xa01
	v_add_co_u32_e32 v22, vcc, s0, v0
	s_cselect_b32 s0, s8, 0x280
	v_mov_b32_e32 v12, s1
	s_ashr_i32 s1, s0, 31
	s_lshl_b64 s[0:1], s[0:1], 1
	v_addc_co_u32_e32 v23, vcc, v1, v12, vcc
	s_cmpk_lt_i32 s26, 0xb01
	;; [unrolled: 7-line block ×6, first 2 shown]
	v_add_co_u32_e32 v32, vcc, s0, v0
	s_cselect_b32 s0, s8, 0x3c0
	v_mov_b32_e32 v12, s1
	s_ashr_i32 s1, s0, 31
	v_addc_co_u32_e32 v33, vcc, v1, v12, vcc
	s_lshl_b64 s[0:1], s[0:1], 1
	v_mov_b32_e32 v12, s1
	v_add_co_u32_e32 v34, vcc, s0, v0
	v_addc_co_u32_e32 v35, vcc, v1, v12, vcc
	global_load_ushort v13, v[20:21], off
	global_load_ushort v14, v[22:23], off
	global_load_ushort v15, v[24:25], off
	global_load_ushort v16, v[26:27], off
	global_load_ushort v17, v[28:29], off
	global_load_ushort v18, v[30:31], off
	global_load_ushort v19, v[32:33], off
	global_load_ushort v12, v[34:35], off
	s_cmpk_gt_i32 s26, 0x1000
	s_cselect_b64 s[0:1], -1, 0
	s_cmpk_lt_i32 s26, 0x1001
	v_mov_b32_e32 v36, 0
	v_mov_b32_e32 v37, 0
	;; [unrolled: 1-line block ×48, first 2 shown]
	s_waitcnt lgkmcnt(0)
	; wave barrier
	s_waitcnt lgkmcnt(0)
	s_cbranch_scc1 .LBB16_12
; %bb.10:
	s_cmpk_lt_u32 s26, 0x1101
	s_cselect_b32 s10, s8, 0x440
	s_ashr_i32 s11, s10, 31
	s_lshl_b64 s[10:11], s[10:11], 1
	s_cmpk_lt_u32 s26, 0x1201
	v_add_co_u32_e32 v28, vcc, s10, v0
	s_cselect_b32 s10, s8, 0x480
	v_mov_b32_e32 v20, s11
	s_ashr_i32 s11, s10, 31
	s_lshl_b64 s[10:11], s[10:11], 1
	v_addc_co_u32_e32 v29, vcc, v1, v20, vcc
	s_cmpk_lt_u32 s26, 0x1301
	v_add_co_u32_e32 v30, vcc, s10, v0
	s_cselect_b32 s10, s8, 0x4c0
	v_mov_b32_e32 v20, s11
	s_ashr_i32 s11, s10, 31
	s_lshl_b64 s[10:11], s[10:11], 1
	v_addc_co_u32_e32 v31, vcc, v1, v20, vcc
	;; [unrolled: 7-line block ×7, first 2 shown]
	s_cmpk_lt_u32 s26, 0x1901
	global_load_ushort v27, v[0:1], off offset:2048
	global_load_ushort v26, v[28:29], off
	global_load_ushort v25, v[30:31], off
	;; [unrolled: 1-line block ×7, first 2 shown]
	v_add_co_u32_e32 v36, vcc, s10, v0
	s_cselect_b32 s10, s8, 0x640
	v_mov_b32_e32 v28, s11
	s_ashr_i32 s11, s10, 31
	s_lshl_b64 s[10:11], s[10:11], 1
	v_addc_co_u32_e32 v37, vcc, v1, v28, vcc
	s_cmpk_lt_u32 s26, 0x1a01
	v_add_co_u32_e32 v38, vcc, s10, v0
	s_cselect_b32 s10, s8, 0x680
	v_mov_b32_e32 v28, s11
	s_ashr_i32 s11, s10, 31
	s_lshl_b64 s[10:11], s[10:11], 1
	v_addc_co_u32_e32 v39, vcc, v1, v28, vcc
	s_cmpk_lt_u32 s26, 0x1b01
	;; [unrolled: 7-line block ×6, first 2 shown]
	v_add_co_u32_e32 v48, vcc, s10, v0
	s_cselect_b32 s10, s8, 0x7c0
	v_mov_b32_e32 v28, s11
	s_ashr_i32 s11, s10, 31
	v_addc_co_u32_e32 v49, vcc, v1, v28, vcc
	s_lshl_b64 s[10:11], s[10:11], 1
	v_mov_b32_e32 v28, s11
	v_add_co_u32_e32 v50, vcc, s10, v0
	v_addc_co_u32_e32 v51, vcc, v1, v28, vcc
	global_load_ushort v35, v[36:37], off
	global_load_ushort v34, v[38:39], off
	;; [unrolled: 1-line block ×8, first 2 shown]
	s_cmpk_lt_u32 s26, 0x2001
	v_mov_b32_e32 v67, 0
	v_mov_b32_e32 v66, 0
	;; [unrolled: 1-line block ×32, first 2 shown]
	s_cbranch_scc1 .LBB16_12
; %bb.11:
	s_cmpk_lt_u32 s26, 0x2101
	s_cselect_b32 s10, s8, 0x840
	s_ashr_i32 s11, s10, 31
	v_add_co_u32_e32 v36, vcc, 0x1000, v0
	s_lshl_b64 s[10:11], s[10:11], 1
	v_addc_co_u32_e32 v37, vcc, 0, v1, vcc
	s_cmpk_lt_u32 s26, 0x2201
	v_add_co_u32_e32 v38, vcc, s10, v0
	s_cselect_b32 s10, s8, 0x880
	v_mov_b32_e32 v39, s11
	s_ashr_i32 s11, s10, 31
	s_lshl_b64 s[10:11], s[10:11], 1
	v_addc_co_u32_e32 v39, vcc, v1, v39, vcc
	s_cmpk_lt_u32 s26, 0x2301
	v_add_co_u32_e32 v40, vcc, s10, v0
	s_cselect_b32 s10, s8, 0x8c0
	v_mov_b32_e32 v41, s11
	s_ashr_i32 s11, s10, 31
	s_lshl_b64 s[10:11], s[10:11], 1
	v_addc_co_u32_e32 v41, vcc, v1, v41, vcc
	s_cmpk_lt_u32 s26, 0x2401
	v_add_co_u32_e32 v42, vcc, s10, v0
	s_cselect_b32 s10, s8, 0x900
	v_mov_b32_e32 v43, s11
	s_ashr_i32 s11, s10, 31
	s_lshl_b64 s[10:11], s[10:11], 1
	v_addc_co_u32_e32 v43, vcc, v1, v43, vcc
	s_cmpk_lt_u32 s26, 0x2501
	v_add_co_u32_e32 v44, vcc, s10, v0
	s_cselect_b32 s10, s8, 0x940
	v_mov_b32_e32 v45, s11
	s_ashr_i32 s11, s10, 31
	s_lshl_b64 s[10:11], s[10:11], 1
	v_addc_co_u32_e32 v45, vcc, v1, v45, vcc
	s_cmpk_lt_u32 s26, 0x2601
	v_add_co_u32_e32 v46, vcc, s10, v0
	s_cselect_b32 s10, s8, 0x980
	v_mov_b32_e32 v47, s11
	s_ashr_i32 s11, s10, 31
	s_lshl_b64 s[10:11], s[10:11], 1
	v_addc_co_u32_e32 v47, vcc, v1, v47, vcc
	s_cmpk_lt_u32 s26, 0x2701
	v_add_co_u32_e32 v48, vcc, s10, v0
	s_cselect_b32 s10, s8, 0x9c0
	v_mov_b32_e32 v49, s11
	s_ashr_i32 s11, s10, 31
	s_lshl_b64 s[10:11], s[10:11], 1
	v_addc_co_u32_e32 v49, vcc, v1, v49, vcc
	s_cmpk_lt_u32 s26, 0x2801
	v_add_co_u32_e32 v50, vcc, s10, v0
	s_cselect_b32 s10, s8, 0xa00
	v_mov_b32_e32 v51, s11
	s_ashr_i32 s11, s10, 31
	s_lshl_b64 s[10:11], s[10:11], 1
	v_addc_co_u32_e32 v51, vcc, v1, v51, vcc
	s_cmpk_lt_u32 s26, 0x2901
	global_load_ushort v52, v[36:37], off
	global_load_ushort v53, v[38:39], off
	global_load_ushort v54, v[40:41], off
	global_load_ushort v55, v[42:43], off
	global_load_ushort v56, v[44:45], off
	global_load_ushort v57, v[46:47], off
	global_load_ushort v58, v[48:49], off
	global_load_ushort v59, v[50:51], off
	v_add_co_u32_e32 v36, vcc, s10, v0
	s_cselect_b32 s10, s8, 0xa40
	v_mov_b32_e32 v37, s11
	s_ashr_i32 s11, s10, 31
	s_lshl_b64 s[10:11], s[10:11], 1
	v_addc_co_u32_e32 v37, vcc, v1, v37, vcc
	s_cmpk_lt_u32 s26, 0x2a01
	v_add_co_u32_e32 v38, vcc, s10, v0
	s_cselect_b32 s10, s8, 0xa80
	v_mov_b32_e32 v39, s11
	s_ashr_i32 s11, s10, 31
	s_lshl_b64 s[10:11], s[10:11], 1
	v_addc_co_u32_e32 v39, vcc, v1, v39, vcc
	s_cmpk_lt_u32 s26, 0x2b01
	v_add_co_u32_e32 v40, vcc, s10, v0
	s_cselect_b32 s10, s8, 0xac0
	v_mov_b32_e32 v41, s11
	s_ashr_i32 s11, s10, 31
	s_lshl_b64 s[10:11], s[10:11], 1
	v_addc_co_u32_e32 v41, vcc, v1, v41, vcc
	s_cmpk_lt_u32 s26, 0x2c01
	v_add_co_u32_e32 v42, vcc, s10, v0
	s_cselect_b32 s10, s8, 0xb00
	v_mov_b32_e32 v43, s11
	s_ashr_i32 s11, s10, 31
	s_lshl_b64 s[10:11], s[10:11], 1
	v_addc_co_u32_e32 v43, vcc, v1, v43, vcc
	s_cmpk_lt_u32 s26, 0x2d01
	v_add_co_u32_e32 v44, vcc, s10, v0
	s_cselect_b32 s10, s8, 0xb40
	v_mov_b32_e32 v45, s11
	s_ashr_i32 s11, s10, 31
	s_lshl_b64 s[10:11], s[10:11], 1
	v_addc_co_u32_e32 v45, vcc, v1, v45, vcc
	s_cmpk_lt_u32 s26, 0x2e01
	v_add_co_u32_e32 v46, vcc, s10, v0
	s_cselect_b32 s10, s8, 0xb80
	v_mov_b32_e32 v47, s11
	s_ashr_i32 s11, s10, 31
	s_lshl_b64 s[10:11], s[10:11], 1
	v_addc_co_u32_e32 v47, vcc, v1, v47, vcc
	s_cmpk_lt_u32 s26, 0x2f01
	v_add_co_u32_e32 v48, vcc, s10, v0
	s_cselect_b32 s10, s8, 0xbc0
	v_mov_b32_e32 v49, s11
	s_ashr_i32 s11, s10, 31
	s_lshl_b64 s[10:11], s[10:11], 1
	v_addc_co_u32_e32 v49, vcc, v1, v49, vcc
	s_cmpk_lt_u32 s26, 0x3001
	v_add_co_u32_e32 v50, vcc, s10, v0
	s_cselect_b32 s10, s8, 0xc00
	v_mov_b32_e32 v51, s11
	s_ashr_i32 s11, s10, 31
	s_lshl_b64 s[10:11], s[10:11], 1
	v_addc_co_u32_e32 v51, vcc, v1, v51, vcc
	s_cmpk_lt_u32 s26, 0x3101
	global_load_ushort v68, v[36:37], off
	global_load_ushort v69, v[38:39], off
	global_load_ushort v70, v[40:41], off
	global_load_ushort v71, v[42:43], off
	global_load_ushort v72, v[44:45], off
	global_load_ushort v73, v[46:47], off
	global_load_ushort v74, v[48:49], off
	global_load_ushort v75, v[50:51], off
	v_add_co_u32_e32 v36, vcc, s10, v0
	s_cselect_b32 s10, s8, 0xc40
	v_mov_b32_e32 v37, s11
	s_ashr_i32 s11, s10, 31
	;; [unrolled: 64-line block ×3, first 2 shown]
	s_lshl_b64 s[10:11], s[10:11], 1
	v_addc_co_u32_e32 v37, vcc, v1, v37, vcc
	s_cmpk_lt_u32 s26, 0x3a01
	v_add_co_u32_e32 v38, vcc, s10, v0
	s_cselect_b32 s10, s8, 0xe80
	v_mov_b32_e32 v39, s11
	s_ashr_i32 s11, s10, 31
	s_lshl_b64 s[10:11], s[10:11], 1
	v_addc_co_u32_e32 v39, vcc, v1, v39, vcc
	s_cmpk_lt_u32 s26, 0x3b01
	v_add_co_u32_e32 v40, vcc, s10, v0
	s_cselect_b32 s10, s8, 0xec0
	v_mov_b32_e32 v41, s11
	s_ashr_i32 s11, s10, 31
	;; [unrolled: 7-line block ×5, first 2 shown]
	s_lshl_b64 s[10:11], s[10:11], 1
	s_cmpk_lt_u32 s26, 0x3f01
	v_addc_co_u32_e32 v47, vcc, v1, v47, vcc
	s_cselect_b32 s8, s8, 0xfc0
	v_mov_b32_e32 v49, s11
	v_add_co_u32_e32 v48, vcc, s10, v0
	s_ashr_i32 s9, s8, 31
	v_addc_co_u32_e32 v49, vcc, v1, v49, vcc
	s_lshl_b64 s[8:9], s[8:9], 1
	v_mov_b32_e32 v50, s9
	v_add_co_u32_e32 v0, vcc, s8, v0
	v_addc_co_u32_e32 v1, vcc, v1, v50, vcc
	global_load_ushort v84, v[36:37], off
	global_load_ushort v85, v[38:39], off
	;; [unrolled: 1-line block ×8, first 2 shown]
	s_waitcnt vmcnt(31)
	v_cvt_f32_f16_e32 v67, v52
	s_waitcnt vmcnt(30)
	v_cvt_f32_f16_e32 v66, v53
	;; [unrolled: 2-line block ×32, first 2 shown]
.LBB16_12:
	ds_read_b128 v[68:71], v3
	ds_read_b128 v[72:75], v3 offset:16
	ds_read_b128 v[76:79], v3 offset:32
	;; [unrolled: 1-line block ×3, first 2 shown]
	s_load_dwordx2 s[8:9], s[4:5], 0x38
	s_andn2_b64 vcc, exec, s[0:1]
	s_waitcnt vmcnt(15) lgkmcnt(0)
	v_fma_mix_f32 v0, v68, v4, 0 op_sel_hi:[0,1,0]
	s_waitcnt vmcnt(14)
	v_fma_mix_f32 v0, v69, v5, v0 op_sel_hi:[0,1,0]
	s_waitcnt vmcnt(13)
	;; [unrolled: 2-line block ×15, first 2 shown]
	v_fma_mix_f32 v0, v83, v12, v0 op_sel_hi:[0,1,0]
	s_cbranch_vccnz .LBB16_15
; %bb.13:
	ds_read_b128 v[4:7], v3 offset:64
	ds_read_b128 v[8:11], v3 offset:80
	ds_read_b128 v[12:15], v3 offset:96
	ds_read_b128 v[16:19], v3 offset:112
	s_cmpk_lt_u32 s26, 0x2001
	s_waitcnt lgkmcnt(3)
	v_fma_mix_f32 v0, v4, v27, v0 op_sel_hi:[0,1,0]
	v_fma_mix_f32 v0, v5, v26, v0 op_sel_hi:[0,1,0]
	v_fma_mix_f32 v0, v6, v25, v0 op_sel_hi:[0,1,0]
	v_fma_mix_f32 v0, v7, v24, v0 op_sel_hi:[0,1,0]
	s_waitcnt lgkmcnt(2)
	v_fma_mix_f32 v0, v8, v23, v0 op_sel_hi:[0,1,0]
	v_fma_mix_f32 v0, v9, v22, v0 op_sel_hi:[0,1,0]
	v_fma_mix_f32 v0, v10, v20, v0 op_sel_hi:[0,1,0]
	v_fma_mix_f32 v0, v11, v21, v0 op_sel_hi:[0,1,0]
	;; [unrolled: 5-line block ×4, first 2 shown]
	s_cbranch_scc1 .LBB16_15
; %bb.14:
	v_mov_b32_e32 v1, 0
	ds_read_b128 v[4:7], v1 offset:128
	ds_read_b128 v[8:11], v1 offset:144
	;; [unrolled: 1-line block ×4, first 2 shown]
	s_waitcnt lgkmcnt(3)
	v_fmac_f32_e32 v0, v4, v67
	v_fmac_f32_e32 v0, v5, v66
	v_fmac_f32_e32 v0, v6, v65
	v_fmac_f32_e32 v0, v7, v64
	s_waitcnt lgkmcnt(2)
	v_fmac_f32_e32 v0, v8, v63
	v_fmac_f32_e32 v0, v9, v62
	v_fmac_f32_e32 v0, v10, v61
	v_fmac_f32_e32 v0, v11, v60
	s_waitcnt lgkmcnt(1)
	v_fmac_f32_e32 v0, v12, v59
	v_fmac_f32_e32 v0, v13, v58
	v_fmac_f32_e32 v0, v14, v57
	v_fmac_f32_e32 v0, v15, v56
	ds_read_b128 v[4:7], v1 offset:192
	ds_read_b128 v[8:11], v1 offset:208
	s_waitcnt lgkmcnt(2)
	v_fmac_f32_e32 v0, v16, v55
	v_fmac_f32_e32 v0, v17, v54
	;; [unrolled: 1-line block ×4, first 2 shown]
	s_waitcnt lgkmcnt(1)
	v_fmac_f32_e32 v0, v4, v51
	v_fmac_f32_e32 v0, v5, v50
	;; [unrolled: 1-line block ×4, first 2 shown]
	ds_read_b128 v[4:7], v1 offset:224
	s_waitcnt lgkmcnt(1)
	v_fmac_f32_e32 v0, v8, v47
	v_fmac_f32_e32 v0, v9, v46
	;; [unrolled: 1-line block ×4, first 2 shown]
	ds_read_b128 v[8:11], v1 offset:240
	s_waitcnt lgkmcnt(1)
	v_fmac_f32_e32 v0, v4, v43
	v_fmac_f32_e32 v0, v5, v42
	;; [unrolled: 1-line block ×4, first 2 shown]
	s_waitcnt lgkmcnt(0)
	v_fmac_f32_e32 v0, v8, v39
	v_fmac_f32_e32 v0, v9, v38
	;; [unrolled: 1-line block ×4, first 2 shown]
.LBB16_15:
	s_load_dwordx2 s[0:1], s[4:5], 0x0
	ds_read_b32 v3, v3 offset:256
	s_cmp_eq_u64 s[8:9], 0
	s_cbranch_scc1 .LBB16_20
; %bb.16:
	s_load_dword s8, s[8:9], 0x0
	s_waitcnt lgkmcnt(0)
	v_div_scale_f32 v1, s[4:5], s8, s8, 1.0
	v_rcp_f32_e32 v4, v1
	v_div_scale_f32 v5, vcc, 1.0, s8, 1.0
	v_fma_f32 v6, -v1, v4, 1.0
	v_fmac_f32_e32 v4, v6, v4
	v_mul_f32_e32 v6, v5, v4
	v_fma_f32 v7, -v1, v6, v5
	v_fmac_f32_e32 v6, v7, v4
	v_fma_f32 v1, -v1, v6, v5
	v_div_fmas_f32 v1, v1, v4, v6
	v_div_fixup_f32 v1, v1, s8, 1.0
	s_andn2_b64 vcc, exec, s[18:19]
	s_cbranch_vccnz .LBB16_18
.LBB16_17:
	s_add_u32 s2, s16, s20
	s_addc_u32 s3, s17, s21
	s_load_dword s2, s[2:3], 0x0
	s_mov_b32 s3, 0
.LBB16_18:
	s_waitcnt lgkmcnt(0)
	v_add_f32_e32 v3, 0x358637bd, v3
	v_div_scale_f32 v4, s[4:5], v3, v3, 1.0
	v_rcp_f32_e32 v5, v4
	v_div_scale_f32 v6, vcc, 1.0, v3, 1.0
	s_mul_i32 s3, s7, s3
	v_fma_f32 v7, -v4, v5, 1.0
	v_fmac_f32_e32 v5, v7, v5
	v_mul_f32_e32 v7, v6, v5
	v_fma_f32 v8, -v4, v7, v6
	s_mul_hi_u32 s4, s7, s2
	v_fmac_f32_e32 v7, v8, v5
	s_add_i32 s3, s4, s3
	s_mul_i32 s2, s7, s2
	v_fma_f32 v4, -v4, v7, v6
	s_lshl_b64 s[2:3], s[2:3], 7
	v_div_fmas_f32 v4, v4, v5, v7
	s_add_u32 s2, s0, s2
	s_mov_b32 s7, 0
	v_div_fixup_f32 v3, v4, v3, 1.0
	s_addc_u32 s3, s1, s3
	s_lshl_b64 s[0:1], s[6:7], 7
	v_mul_f32_e32 v0, v0, v3
	s_add_u32 s0, s2, s0
	s_addc_u32 s1, s3, s1
	v_fma_mixlo_f16 v0, v0, v1, 0
	global_store_short v2, v0, s[0:1]
	s_endpgm
.LBB16_19:
	s_mov_b64 s[8:9], 0
	s_branch .LBB16_2
.LBB16_20:
	v_mov_b32_e32 v1, 1.0
	s_andn2_b64 vcc, exec, s[18:19]
	s_cbranch_vccz .LBB16_17
	s_branch .LBB16_18
	.section	.rodata,"a",@progbits
	.p2align	6, 0x0
	.amdhsa_kernel _Z35paged_attention_ll4mi_reduce_kernelIDF16_DF16_Li64ELi64ELi256ELi1EEvPT0_PKfS3_PKT_PKiS8_iS3_
		.amdhsa_group_segment_fixed_size 260
		.amdhsa_private_segment_fixed_size 0
		.amdhsa_kernarg_size 320
		.amdhsa_user_sgpr_count 6
		.amdhsa_user_sgpr_private_segment_buffer 1
		.amdhsa_user_sgpr_dispatch_ptr 0
		.amdhsa_user_sgpr_queue_ptr 0
		.amdhsa_user_sgpr_kernarg_segment_ptr 1
		.amdhsa_user_sgpr_dispatch_id 0
		.amdhsa_user_sgpr_flat_scratch_init 0
		.amdhsa_user_sgpr_kernarg_preload_length 0
		.amdhsa_user_sgpr_kernarg_preload_offset 0
		.amdhsa_user_sgpr_private_segment_size 0
		.amdhsa_uses_dynamic_stack 0
		.amdhsa_system_sgpr_private_segment_wavefront_offset 0
		.amdhsa_system_sgpr_workgroup_id_x 1
		.amdhsa_system_sgpr_workgroup_id_y 1
		.amdhsa_system_sgpr_workgroup_id_z 0
		.amdhsa_system_sgpr_workgroup_info 0
		.amdhsa_system_vgpr_workitem_id 0
		.amdhsa_next_free_vgpr 92
		.amdhsa_next_free_sgpr 30
		.amdhsa_accum_offset 92
		.amdhsa_reserve_vcc 1
		.amdhsa_reserve_flat_scratch 0
		.amdhsa_float_round_mode_32 0
		.amdhsa_float_round_mode_16_64 0
		.amdhsa_float_denorm_mode_32 3
		.amdhsa_float_denorm_mode_16_64 3
		.amdhsa_dx10_clamp 1
		.amdhsa_ieee_mode 1
		.amdhsa_fp16_overflow 0
		.amdhsa_tg_split 0
		.amdhsa_exception_fp_ieee_invalid_op 0
		.amdhsa_exception_fp_denorm_src 0
		.amdhsa_exception_fp_ieee_div_zero 0
		.amdhsa_exception_fp_ieee_overflow 0
		.amdhsa_exception_fp_ieee_underflow 0
		.amdhsa_exception_fp_ieee_inexact 0
		.amdhsa_exception_int_div_zero 0
	.end_amdhsa_kernel
	.section	.text._Z35paged_attention_ll4mi_reduce_kernelIDF16_DF16_Li64ELi64ELi256ELi1EEvPT0_PKfS3_PKT_PKiS8_iS3_,"axG",@progbits,_Z35paged_attention_ll4mi_reduce_kernelIDF16_DF16_Li64ELi64ELi256ELi1EEvPT0_PKfS3_PKT_PKiS8_iS3_,comdat
.Lfunc_end16:
	.size	_Z35paged_attention_ll4mi_reduce_kernelIDF16_DF16_Li64ELi64ELi256ELi1EEvPT0_PKfS3_PKT_PKiS8_iS3_, .Lfunc_end16-_Z35paged_attention_ll4mi_reduce_kernelIDF16_DF16_Li64ELi64ELi256ELi1EEvPT0_PKfS3_PKT_PKiS8_iS3_
                                        ; -- End function
	.section	.AMDGPU.csdata,"",@progbits
; Kernel info:
; codeLenInByte = 5108
; NumSgprs: 34
; NumVgprs: 92
; NumAgprs: 0
; TotalNumVgprs: 92
; ScratchSize: 0
; MemoryBound: 0
; FloatMode: 240
; IeeeMode: 1
; LDSByteSize: 260 bytes/workgroup (compile time only)
; SGPRBlocks: 4
; VGPRBlocks: 11
; NumSGPRsForWavesPerEU: 34
; NumVGPRsForWavesPerEU: 92
; AccumOffset: 92
; Occupancy: 5
; WaveLimiterHint : 1
; COMPUTE_PGM_RSRC2:SCRATCH_EN: 0
; COMPUTE_PGM_RSRC2:USER_SGPR: 6
; COMPUTE_PGM_RSRC2:TRAP_HANDLER: 0
; COMPUTE_PGM_RSRC2:TGID_X_EN: 1
; COMPUTE_PGM_RSRC2:TGID_Y_EN: 1
; COMPUTE_PGM_RSRC2:TGID_Z_EN: 0
; COMPUTE_PGM_RSRC2:TIDIG_COMP_CNT: 0
; COMPUTE_PGM_RSRC3_GFX90A:ACCUM_OFFSET: 22
; COMPUTE_PGM_RSRC3_GFX90A:TG_SPLIT: 0
	.section	.text._Z35paged_attention_ll4mi_reduce_kernelIDF16_DF16_Li64ELi64ELi256ELi2EEvPT0_PKfS3_PKT_PKiS8_iS3_,"axG",@progbits,_Z35paged_attention_ll4mi_reduce_kernelIDF16_DF16_Li64ELi64ELi256ELi2EEvPT0_PKfS3_PKT_PKiS8_iS3_,comdat
	.protected	_Z35paged_attention_ll4mi_reduce_kernelIDF16_DF16_Li64ELi64ELi256ELi2EEvPT0_PKfS3_PKT_PKiS8_iS3_ ; -- Begin function _Z35paged_attention_ll4mi_reduce_kernelIDF16_DF16_Li64ELi64ELi256ELi2EEvPT0_PKfS3_PKT_PKiS8_iS3_
	.globl	_Z35paged_attention_ll4mi_reduce_kernelIDF16_DF16_Li64ELi64ELi256ELi2EEvPT0_PKfS3_PKT_PKiS8_iS3_
	.p2align	8
	.type	_Z35paged_attention_ll4mi_reduce_kernelIDF16_DF16_Li64ELi64ELi256ELi2EEvPT0_PKfS3_PKT_PKiS8_iS3_,@function
_Z35paged_attention_ll4mi_reduce_kernelIDF16_DF16_Li64ELi64ELi256ELi2EEvPT0_PKfS3_PKT_PKiS8_iS3_: ; @_Z35paged_attention_ll4mi_reduce_kernelIDF16_DF16_Li64ELi64ELi256ELi2EEvPT0_PKfS3_PKT_PKiS8_iS3_
; %bb.0:
	s_load_dwordx2 s[18:19], s[4:5], 0x28
	s_mov_b32 s16, s7
	s_mov_b64 s[0:1], 0
	s_waitcnt lgkmcnt(0)
	s_cmp_lg_u64 s[18:19], 0
	s_cselect_b64 s[20:21], -1, 0
	s_and_b64 vcc, exec, s[20:21]
	s_cbranch_vccz .LBB17_21
; %bb.1:
	s_add_i32 s2, s16, 1
	s_mov_b32 s3, 0
	s_lshl_b64 s[8:9], s[2:3], 2
	s_add_u32 s8, s18, s8
	s_mov_b32 s17, s3
	s_addc_u32 s9, s19, s9
	s_lshl_b64 s[2:3], s[16:17], 2
	s_add_u32 s2, s18, s2
	s_addc_u32 s3, s19, s3
	s_load_dword s7, s[8:9], 0x0
	s_load_dword s10, s[2:3], 0x0
	s_waitcnt lgkmcnt(0)
	s_sub_i32 s2, s7, s10
	s_cmp_eq_u32 s2, 1
	s_cselect_b64 s[2:3], -1, 0
	s_andn2_b64 vcc, exec, s[0:1]
	s_cbranch_vccnz .LBB17_3
.LBB17_2:
	s_mov_b32 s17, 0
	s_mov_b64 s[2:3], -1
.LBB17_3:
	s_andn2_b64 vcc, exec, s[2:3]
	s_cbranch_vccz .LBB17_5
; %bb.4:
	s_endpgm
.LBB17_5:
	s_load_dwordx4 s[8:11], s[4:5], 0x18
	s_load_dword s12, s[4:5], 0x30
	s_lshl_b64 s[22:23], s[16:17], 2
	v_cmp_lt_u32_e32 vcc, 63, v0
	s_waitcnt lgkmcnt(0)
	s_add_u32 s0, s10, s22
	s_addc_u32 s1, s11, s23
	s_load_dword s28, s[0:1], 0x0
	s_load_dword s7, s[4:5], 0x40
	s_mul_i32 s10, s6, s12
	s_mul_i32 s2, s16, s12
	s_waitcnt lgkmcnt(0)
	s_add_i32 s3, s28, 0xff
	s_ashr_i32 s0, s3, 31
	s_lshr_b32 s0, s0, 24
	s_add_i32 s3, s3, s0
	s_and_saveexec_b64 s[0:1], vcc
	s_xor_b64 s[0:1], exec, s[0:1]
	s_or_saveexec_b64 s[24:25], s[0:1]
	s_ashr_i32 s29, s3, 8
	v_mov_b32_e32 v1, s10
	s_mul_i32 s26, s2, s7
	s_xor_b64 exec, exec, s[24:25]
	s_cbranch_execz .LBB17_9
; %bb.6:
	s_load_dwordx4 s[12:15], s[4:5], 0x8
	s_mov_b32 s27, 0
	s_add_i32 s0, s29, -1
	s_lshl_b64 s[30:31], s[26:27], 2
	s_mov_b32 s11, s27
	v_mov_b32_e32 v1, s0
	v_cmp_gt_u32_e32 vcc, s29, v0
	v_or_b32_e32 v3, 64, v0
	s_waitcnt lgkmcnt(0)
	s_add_u32 s2, s14, s30
	v_cndmask_b32_e32 v2, v1, v0, vcc
	v_cmp_gt_u32_e64 s[0:1], s29, v3
	s_addc_u32 s3, s15, s31
	s_lshl_b64 s[14:15], s[10:11], 2
	v_cndmask_b32_e64 v4, v1, v3, s[0:1]
	s_add_u32 s11, s2, s14
	v_ashrrev_i32_e32 v3, 31, v2
	s_addc_u32 s27, s3, s15
	v_lshlrev_b64 v[2:3], 2, v[2:3]
	v_mov_b32_e32 v1, s27
	v_add_co_u32_e64 v6, s[2:3], s11, v2
	v_ashrrev_i32_e32 v5, 31, v4
	v_addc_co_u32_e64 v7, s[2:3], v1, v3, s[2:3]
	v_lshlrev_b64 v[4:5], 2, v[4:5]
	v_add_co_u32_e64 v8, s[2:3], s11, v4
	v_addc_co_u32_e64 v9, s[2:3], v1, v5, s[2:3]
	global_load_dword v1, v[8:9], off
	global_load_dword v10, v[6:7], off
	v_mbcnt_lo_u32_b32 v6, -1, 0
	v_mbcnt_hi_u32_b32 v6, -1, v6
	v_and_b32_e32 v7, 64, v6
	v_xor_b32_e32 v8, 32, v6
	v_add_u32_e32 v7, 64, v7
	v_cmp_lt_i32_e64 s[2:3], v8, v7
	v_cndmask_b32_e64 v8, v6, v8, s[2:3]
	s_add_u32 s2, s12, s30
	s_addc_u32 s3, s13, s31
	s_add_u32 s11, s2, s14
	s_addc_u32 s2, s3, s15
	v_mov_b32_e32 v9, s2
	v_mov_b32_e32 v11, s2
	v_add_co_u32_e64 v2, s[2:3], s11, v2
	v_addc_co_u32_e64 v3, s[2:3], v9, v3, s[2:3]
	v_add_co_u32_e64 v4, s[2:3], s11, v4
	v_addc_co_u32_e64 v5, s[2:3], v11, v5, s[2:3]
	global_load_dword v9, v[2:3], off
	global_load_dword v11, v[4:5], off
	v_lshlrev_b32_e32 v2, 2, v8
	v_xor_b32_e32 v5, 16, v6
	v_cmp_lt_i32_e64 s[2:3], v5, v7
	v_cndmask_b32_e64 v5, v6, v5, s[2:3]
	v_lshlrev_b32_e32 v5, 2, v5
	v_xor_b32_e32 v8, 8, v6
	v_cmp_lt_i32_e64 s[2:3], v8, v7
	v_cndmask_b32_e64 v8, v6, v8, s[2:3]
	;; [unrolled: 4-line block ×5, first 2 shown]
	v_lshlrev_b32_e32 v6, 2, v6
	s_mov_b32 s2, 0x3fb8aa3b
	s_mov_b32 s11, 0xc2ce8ed0
	;; [unrolled: 1-line block ×3, first 2 shown]
	s_waitcnt vmcnt(3)
	v_max_f32_e32 v3, v1, v1
	s_waitcnt vmcnt(2)
	v_max_f32_e32 v4, v10, v10
	v_max_f32_e32 v3, v4, v3
	ds_bpermute_b32 v4, v2, v3
	s_waitcnt lgkmcnt(0)
	v_max_f32_e32 v4, v4, v4
	v_max_f32_e32 v3, v3, v4
	ds_bpermute_b32 v4, v5, v3
	s_waitcnt lgkmcnt(0)
	;; [unrolled: 4-line block ×6, first 2 shown]
	v_max_f32_e32 v4, v4, v4
	v_max_f32_e32 v3, v3, v4
	v_sub_f32_e32 v4, v10, v3
	v_sub_f32_e32 v1, v1, v3
	v_mul_f32_e32 v3, 0x3fb8aa3b, v4
	v_mul_f32_e32 v7, 0x3fb8aa3b, v1
	v_fma_f32 v10, v4, s2, -v3
	v_rndne_f32_e32 v14, v3
	v_fma_f32 v15, v1, s2, -v7
	v_rndne_f32_e32 v16, v7
	v_fmac_f32_e32 v10, 0x32a5705f, v4
	v_sub_f32_e32 v3, v3, v14
	v_fmac_f32_e32 v15, 0x32a5705f, v1
	v_sub_f32_e32 v7, v7, v16
	v_add_f32_e32 v3, v3, v10
	v_cvt_i32_f32_e32 v14, v14
	v_add_f32_e32 v7, v7, v15
	v_exp_f32_e32 v3, v3
	v_cvt_i32_f32_e32 v16, v16
	v_exp_f32_e32 v7, v7
	v_cmp_ngt_f32_e64 s[2:3], s11, v4
	v_ldexp_f32 v3, v3, v14
	v_cndmask_b32_e64 v3, 0, v3, s[2:3]
	v_ldexp_f32 v7, v7, v16
	v_cmp_ngt_f32_e64 s[2:3], s11, v1
	v_mov_b32_e32 v10, 0x7f800000
	v_cndmask_b32_e64 v7, 0, v7, s[2:3]
	v_cmp_nlt_f32_e64 s[2:3], s12, v4
	v_cndmask_b32_e64 v3, v10, v3, s[2:3]
	v_cmp_nlt_f32_e64 s[2:3], s12, v1
	v_cndmask_b32_e64 v1, v10, v7, s[2:3]
	v_cndmask_b32_e32 v3, 0, v3, vcc
	v_cndmask_b32_e64 v1, 0, v1, s[0:1]
	v_lshlrev_b32_e32 v15, 2, v0
	s_waitcnt vmcnt(1)
	v_mul_f32_e32 v3, v9, v3
	s_waitcnt vmcnt(0)
	v_mul_f32_e32 v4, v11, v1
	ds_write2st64_b32 v15, v3, v4 offset1:1
	v_fmac_f32_e32 v3, v11, v1
	ds_bpermute_b32 v1, v2, v3
	v_cmp_eq_u32_e32 vcc, 0, v0
	s_waitcnt lgkmcnt(0)
	v_add_f32_e32 v1, v3, v1
	ds_bpermute_b32 v2, v5, v1
	s_waitcnt lgkmcnt(0)
	v_add_f32_e32 v1, v1, v2
	ds_bpermute_b32 v2, v8, v1
	;; [unrolled: 3-line block ×5, first 2 shown]
	s_and_saveexec_b64 s[0:1], vcc
	s_cbranch_execz .LBB17_8
; %bb.7:
	s_waitcnt lgkmcnt(0)
	v_add_f32_e32 v1, v1, v2
	v_mov_b32_e32 v2, 0
	ds_write_b32 v2, v1 offset:512
.LBB17_8:
	s_or_b64 exec, exec, s[0:1]
	v_mov_b32_e32 v1, s10
.LBB17_9:
	s_or_b64 exec, exec, s[24:25]
	s_lshl_b32 s0, s26, 6
	s_mov_b32 s1, 0
	s_waitcnt lgkmcnt(0)
	v_lshlrev_b32_e32 v2, 6, v1
	v_mov_b32_e32 v3, 0
	s_lshl_b64 s[0:1], s[0:1], 1
	s_add_u32 s0, s8, s0
	v_lshlrev_b64 v[4:5], 1, v[2:3]
	s_addc_u32 s1, s9, s1
	v_add_co_u32_e32 v4, vcc, s0, v4
	s_lshl_b32 s0, s29, 6
	s_sub_i32 s2, s0, 64
	s_cmp_lt_i32 s28, 1
	v_mov_b32_e32 v1, s1
	s_cselect_b32 s0, s2, 0
	v_addc_co_u32_e32 v1, vcc, v1, v5, vcc
	v_lshlrev_b32_e32 v2, 1, v0
	s_ashr_i32 s1, s0, 31
	v_add_co_u32_e32 v0, vcc, v4, v2
	s_lshl_b64 s[0:1], s[0:1], 1
	v_addc_co_u32_e32 v1, vcc, 0, v1, vcc
	s_cmpk_lt_i32 s28, 0x101
	v_add_co_u32_e32 v12, vcc, s0, v0
	s_cselect_b32 s0, s2, 64
	v_mov_b32_e32 v4, s1
	s_ashr_i32 s1, s0, 31
	s_lshl_b64 s[0:1], s[0:1], 1
	v_addc_co_u32_e32 v13, vcc, v1, v4, vcc
	s_cmpk_lt_i32 s28, 0x201
	v_add_co_u32_e32 v14, vcc, s0, v0
	s_cselect_b32 s0, s2, 0x80
	v_mov_b32_e32 v4, s1
	s_ashr_i32 s1, s0, 31
	;; [unrolled: 7-line block ×8, first 2 shown]
	s_lshl_b64 s[0:1], s[0:1], 1
	v_addc_co_u32_e32 v27, vcc, v1, v4, vcc
	s_cmpk_lt_i32 s28, 0x901
	global_load_ushort v4, v[12:13], off
	global_load_ushort v5, v[14:15], off
	;; [unrolled: 1-line block ×8, first 2 shown]
	v_add_co_u32_e32 v20, vcc, s0, v0
	s_cselect_b32 s0, s2, 0x240
	v_mov_b32_e32 v12, s1
	s_ashr_i32 s1, s0, 31
	s_lshl_b64 s[0:1], s[0:1], 1
	v_addc_co_u32_e32 v21, vcc, v1, v12, vcc
	s_cmpk_lt_i32 s28, 0xa01
	v_add_co_u32_e32 v22, vcc, s0, v0
	s_cselect_b32 s0, s2, 0x280
	v_mov_b32_e32 v12, s1
	s_ashr_i32 s1, s0, 31
	s_lshl_b64 s[0:1], s[0:1], 1
	v_addc_co_u32_e32 v23, vcc, v1, v12, vcc
	s_cmpk_lt_i32 s28, 0xb01
	;; [unrolled: 7-line block ×6, first 2 shown]
	v_add_co_u32_e32 v32, vcc, s0, v0
	s_cselect_b32 s0, s2, 0x3c0
	v_mov_b32_e32 v12, s1
	s_ashr_i32 s1, s0, 31
	v_addc_co_u32_e32 v33, vcc, v1, v12, vcc
	s_lshl_b64 s[0:1], s[0:1], 1
	v_mov_b32_e32 v12, s1
	v_add_co_u32_e32 v34, vcc, s0, v0
	v_addc_co_u32_e32 v35, vcc, v1, v12, vcc
	global_load_ushort v12, v[20:21], off
	global_load_ushort v13, v[22:23], off
	;; [unrolled: 1-line block ×8, first 2 shown]
	s_cmpk_gt_i32 s28, 0x1000
	s_cselect_b64 s[0:1], -1, 0
	s_cmpk_lt_i32 s28, 0x1001
	v_mov_b32_e32 v36, 0
	v_mov_b32_e32 v37, 0
	;; [unrolled: 1-line block ×48, first 2 shown]
	s_waitcnt lgkmcnt(0)
	; wave barrier
	s_cbranch_scc1 .LBB17_12
; %bb.10:
	s_cmpk_lt_u32 s28, 0x1101
	s_cselect_b32 s8, s2, 0x440
	s_ashr_i32 s9, s8, 31
	s_lshl_b64 s[8:9], s[8:9], 1
	s_cmpk_lt_u32 s28, 0x1201
	v_add_co_u32_e32 v28, vcc, s8, v0
	s_cselect_b32 s8, s2, 0x480
	v_mov_b32_e32 v20, s9
	s_ashr_i32 s9, s8, 31
	s_lshl_b64 s[8:9], s[8:9], 1
	v_addc_co_u32_e32 v29, vcc, v1, v20, vcc
	s_cmpk_lt_u32 s28, 0x1301
	v_add_co_u32_e32 v30, vcc, s8, v0
	s_cselect_b32 s8, s2, 0x4c0
	v_mov_b32_e32 v20, s9
	s_ashr_i32 s9, s8, 31
	s_lshl_b64 s[8:9], s[8:9], 1
	v_addc_co_u32_e32 v31, vcc, v1, v20, vcc
	;; [unrolled: 7-line block ×7, first 2 shown]
	s_cmpk_lt_u32 s28, 0x1901
	global_load_ushort v27, v[0:1], off offset:2048
	global_load_ushort v26, v[28:29], off
	global_load_ushort v25, v[30:31], off
	;; [unrolled: 1-line block ×7, first 2 shown]
	v_add_co_u32_e32 v36, vcc, s8, v0
	s_cselect_b32 s8, s2, 0x640
	v_mov_b32_e32 v28, s9
	s_ashr_i32 s9, s8, 31
	s_lshl_b64 s[8:9], s[8:9], 1
	v_addc_co_u32_e32 v37, vcc, v1, v28, vcc
	s_cmpk_lt_u32 s28, 0x1a01
	v_add_co_u32_e32 v38, vcc, s8, v0
	s_cselect_b32 s8, s2, 0x680
	v_mov_b32_e32 v28, s9
	s_ashr_i32 s9, s8, 31
	s_lshl_b64 s[8:9], s[8:9], 1
	v_addc_co_u32_e32 v39, vcc, v1, v28, vcc
	s_cmpk_lt_u32 s28, 0x1b01
	;; [unrolled: 7-line block ×6, first 2 shown]
	v_add_co_u32_e32 v48, vcc, s8, v0
	s_cselect_b32 s8, s2, 0x7c0
	v_mov_b32_e32 v28, s9
	s_ashr_i32 s9, s8, 31
	v_addc_co_u32_e32 v49, vcc, v1, v28, vcc
	s_lshl_b64 s[8:9], s[8:9], 1
	v_mov_b32_e32 v28, s9
	v_add_co_u32_e32 v50, vcc, s8, v0
	v_addc_co_u32_e32 v51, vcc, v1, v28, vcc
	global_load_ushort v35, v[36:37], off
	global_load_ushort v34, v[38:39], off
	;; [unrolled: 1-line block ×8, first 2 shown]
	s_cmpk_lt_u32 s28, 0x2001
	v_mov_b32_e32 v67, 0
	v_mov_b32_e32 v66, 0
	;; [unrolled: 1-line block ×32, first 2 shown]
	s_cbranch_scc1 .LBB17_12
; %bb.11:
	s_cmpk_lt_u32 s28, 0x2101
	s_cselect_b32 s8, s2, 0x840
	s_ashr_i32 s9, s8, 31
	v_add_co_u32_e32 v36, vcc, 0x1000, v0
	s_lshl_b64 s[8:9], s[8:9], 1
	v_addc_co_u32_e32 v37, vcc, 0, v1, vcc
	s_cmpk_lt_u32 s28, 0x2201
	v_add_co_u32_e32 v38, vcc, s8, v0
	s_cselect_b32 s8, s2, 0x880
	v_mov_b32_e32 v39, s9
	s_ashr_i32 s9, s8, 31
	s_lshl_b64 s[8:9], s[8:9], 1
	v_addc_co_u32_e32 v39, vcc, v1, v39, vcc
	s_cmpk_lt_u32 s28, 0x2301
	v_add_co_u32_e32 v40, vcc, s8, v0
	s_cselect_b32 s8, s2, 0x8c0
	v_mov_b32_e32 v41, s9
	s_ashr_i32 s9, s8, 31
	s_lshl_b64 s[8:9], s[8:9], 1
	v_addc_co_u32_e32 v41, vcc, v1, v41, vcc
	s_cmpk_lt_u32 s28, 0x2401
	v_add_co_u32_e32 v42, vcc, s8, v0
	s_cselect_b32 s8, s2, 0x900
	v_mov_b32_e32 v43, s9
	s_ashr_i32 s9, s8, 31
	s_lshl_b64 s[8:9], s[8:9], 1
	v_addc_co_u32_e32 v43, vcc, v1, v43, vcc
	s_cmpk_lt_u32 s28, 0x2501
	v_add_co_u32_e32 v44, vcc, s8, v0
	s_cselect_b32 s8, s2, 0x940
	v_mov_b32_e32 v45, s9
	s_ashr_i32 s9, s8, 31
	s_lshl_b64 s[8:9], s[8:9], 1
	v_addc_co_u32_e32 v45, vcc, v1, v45, vcc
	s_cmpk_lt_u32 s28, 0x2601
	v_add_co_u32_e32 v46, vcc, s8, v0
	s_cselect_b32 s8, s2, 0x980
	v_mov_b32_e32 v47, s9
	s_ashr_i32 s9, s8, 31
	s_lshl_b64 s[8:9], s[8:9], 1
	v_addc_co_u32_e32 v47, vcc, v1, v47, vcc
	s_cmpk_lt_u32 s28, 0x2701
	v_add_co_u32_e32 v48, vcc, s8, v0
	s_cselect_b32 s8, s2, 0x9c0
	v_mov_b32_e32 v49, s9
	s_ashr_i32 s9, s8, 31
	s_lshl_b64 s[8:9], s[8:9], 1
	v_addc_co_u32_e32 v49, vcc, v1, v49, vcc
	s_cmpk_lt_u32 s28, 0x2801
	v_add_co_u32_e32 v50, vcc, s8, v0
	s_cselect_b32 s8, s2, 0xa00
	v_mov_b32_e32 v51, s9
	s_ashr_i32 s9, s8, 31
	s_lshl_b64 s[8:9], s[8:9], 1
	v_addc_co_u32_e32 v51, vcc, v1, v51, vcc
	s_cmpk_lt_u32 s28, 0x2901
	global_load_ushort v52, v[36:37], off
	global_load_ushort v53, v[38:39], off
	global_load_ushort v54, v[40:41], off
	global_load_ushort v55, v[42:43], off
	global_load_ushort v56, v[44:45], off
	global_load_ushort v57, v[46:47], off
	global_load_ushort v58, v[48:49], off
	global_load_ushort v59, v[50:51], off
	v_add_co_u32_e32 v36, vcc, s8, v0
	s_cselect_b32 s8, s2, 0xa40
	v_mov_b32_e32 v37, s9
	s_ashr_i32 s9, s8, 31
	s_lshl_b64 s[8:9], s[8:9], 1
	v_addc_co_u32_e32 v37, vcc, v1, v37, vcc
	s_cmpk_lt_u32 s28, 0x2a01
	v_add_co_u32_e32 v38, vcc, s8, v0
	s_cselect_b32 s8, s2, 0xa80
	v_mov_b32_e32 v39, s9
	s_ashr_i32 s9, s8, 31
	s_lshl_b64 s[8:9], s[8:9], 1
	v_addc_co_u32_e32 v39, vcc, v1, v39, vcc
	s_cmpk_lt_u32 s28, 0x2b01
	v_add_co_u32_e32 v40, vcc, s8, v0
	s_cselect_b32 s8, s2, 0xac0
	v_mov_b32_e32 v41, s9
	s_ashr_i32 s9, s8, 31
	s_lshl_b64 s[8:9], s[8:9], 1
	v_addc_co_u32_e32 v41, vcc, v1, v41, vcc
	s_cmpk_lt_u32 s28, 0x2c01
	v_add_co_u32_e32 v42, vcc, s8, v0
	s_cselect_b32 s8, s2, 0xb00
	v_mov_b32_e32 v43, s9
	s_ashr_i32 s9, s8, 31
	s_lshl_b64 s[8:9], s[8:9], 1
	v_addc_co_u32_e32 v43, vcc, v1, v43, vcc
	s_cmpk_lt_u32 s28, 0x2d01
	v_add_co_u32_e32 v44, vcc, s8, v0
	s_cselect_b32 s8, s2, 0xb40
	v_mov_b32_e32 v45, s9
	s_ashr_i32 s9, s8, 31
	s_lshl_b64 s[8:9], s[8:9], 1
	v_addc_co_u32_e32 v45, vcc, v1, v45, vcc
	s_cmpk_lt_u32 s28, 0x2e01
	v_add_co_u32_e32 v46, vcc, s8, v0
	s_cselect_b32 s8, s2, 0xb80
	v_mov_b32_e32 v47, s9
	s_ashr_i32 s9, s8, 31
	s_lshl_b64 s[8:9], s[8:9], 1
	v_addc_co_u32_e32 v47, vcc, v1, v47, vcc
	s_cmpk_lt_u32 s28, 0x2f01
	v_add_co_u32_e32 v48, vcc, s8, v0
	s_cselect_b32 s8, s2, 0xbc0
	v_mov_b32_e32 v49, s9
	s_ashr_i32 s9, s8, 31
	s_lshl_b64 s[8:9], s[8:9], 1
	v_addc_co_u32_e32 v49, vcc, v1, v49, vcc
	s_cmpk_lt_u32 s28, 0x3001
	v_add_co_u32_e32 v50, vcc, s8, v0
	s_cselect_b32 s8, s2, 0xc00
	v_mov_b32_e32 v51, s9
	s_ashr_i32 s9, s8, 31
	s_lshl_b64 s[8:9], s[8:9], 1
	v_addc_co_u32_e32 v51, vcc, v1, v51, vcc
	s_cmpk_lt_u32 s28, 0x3101
	global_load_ushort v68, v[36:37], off
	global_load_ushort v69, v[38:39], off
	global_load_ushort v70, v[40:41], off
	global_load_ushort v71, v[42:43], off
	global_load_ushort v72, v[44:45], off
	global_load_ushort v73, v[46:47], off
	global_load_ushort v74, v[48:49], off
	global_load_ushort v75, v[50:51], off
	v_add_co_u32_e32 v36, vcc, s8, v0
	s_cselect_b32 s8, s2, 0xc40
	v_mov_b32_e32 v37, s9
	s_ashr_i32 s9, s8, 31
	;; [unrolled: 64-line block ×3, first 2 shown]
	s_lshl_b64 s[8:9], s[8:9], 1
	v_addc_co_u32_e32 v37, vcc, v1, v37, vcc
	s_cmpk_lt_u32 s28, 0x3a01
	v_add_co_u32_e32 v38, vcc, s8, v0
	s_cselect_b32 s8, s2, 0xe80
	v_mov_b32_e32 v39, s9
	s_ashr_i32 s9, s8, 31
	s_lshl_b64 s[8:9], s[8:9], 1
	v_addc_co_u32_e32 v39, vcc, v1, v39, vcc
	s_cmpk_lt_u32 s28, 0x3b01
	v_add_co_u32_e32 v40, vcc, s8, v0
	s_cselect_b32 s8, s2, 0xec0
	v_mov_b32_e32 v41, s9
	s_ashr_i32 s9, s8, 31
	;; [unrolled: 7-line block ×6, first 2 shown]
	v_addc_co_u32_e32 v49, vcc, v1, v49, vcc
	s_lshl_b64 s[8:9], s[8:9], 1
	v_mov_b32_e32 v51, s9
	v_add_co_u32_e32 v50, vcc, s8, v0
	v_addc_co_u32_e32 v51, vcc, v1, v51, vcc
	global_load_ushort v84, v[36:37], off
	global_load_ushort v85, v[38:39], off
	;; [unrolled: 1-line block ×8, first 2 shown]
	s_waitcnt vmcnt(31)
	v_cvt_f32_f16_e32 v67, v52
	s_waitcnt vmcnt(30)
	v_cvt_f32_f16_e32 v66, v53
	;; [unrolled: 2-line block ×32, first 2 shown]
.LBB17_12:
	ds_read_b128 v[68:71], v3
	ds_read_b128 v[72:75], v3 offset:16
	ds_read_b128 v[76:79], v3 offset:32
	;; [unrolled: 1-line block ×3, first 2 shown]
	s_andn2_b64 vcc, exec, s[0:1]
	s_waitcnt vmcnt(15) lgkmcnt(3)
	v_fma_mix_f32 v4, v68, v4, 0 op_sel_hi:[0,1,0]
	s_waitcnt vmcnt(14)
	v_fma_mix_f32 v4, v69, v5, v4 op_sel_hi:[0,1,0]
	s_waitcnt vmcnt(13)
	v_fma_mix_f32 v4, v70, v6, v4 op_sel_hi:[0,1,0]
	s_waitcnt vmcnt(12)
	v_fma_mix_f32 v4, v71, v7, v4 op_sel_hi:[0,1,0]
	s_waitcnt vmcnt(11) lgkmcnt(2)
	v_fma_mix_f32 v4, v72, v8, v4 op_sel_hi:[0,1,0]
	s_waitcnt vmcnt(10)
	v_fma_mix_f32 v4, v73, v9, v4 op_sel_hi:[0,1,0]
	s_waitcnt vmcnt(9)
	v_fma_mix_f32 v4, v74, v10, v4 op_sel_hi:[0,1,0]
	s_waitcnt vmcnt(8)
	v_fma_mix_f32 v4, v75, v11, v4 op_sel_hi:[0,1,0]
	;; [unrolled: 8-line block ×4, first 2 shown]
	s_cbranch_vccnz .LBB17_15
; %bb.13:
	ds_read_b128 v[6:9], v3 offset:64
	ds_read_b128 v[10:13], v3 offset:80
	ds_read_b128 v[14:17], v3 offset:96
	ds_read_b128 v[68:71], v3 offset:112
	s_cmpk_lt_u32 s28, 0x2001
	s_waitcnt lgkmcnt(3)
	v_fma_mix_f32 v3, v6, v27, v4 op_sel_hi:[0,1,0]
	v_fma_mix_f32 v3, v7, v26, v3 op_sel_hi:[0,1,0]
	v_fma_mix_f32 v3, v8, v25, v3 op_sel_hi:[0,1,0]
	v_fma_mix_f32 v3, v9, v24, v3 op_sel_hi:[0,1,0]
	s_waitcnt lgkmcnt(2)
	v_fma_mix_f32 v3, v10, v23, v3 op_sel_hi:[0,1,0]
	v_fma_mix_f32 v3, v11, v22, v3 op_sel_hi:[0,1,0]
	v_fma_mix_f32 v3, v12, v20, v3 op_sel_hi:[0,1,0]
	v_fma_mix_f32 v3, v13, v21, v3 op_sel_hi:[0,1,0]
	;; [unrolled: 5-line block ×4, first 2 shown]
	s_cbranch_scc1 .LBB17_15
; %bb.14:
	v_mov_b32_e32 v3, 0
	ds_read_b128 v[6:9], v3 offset:128
	ds_read_b128 v[10:13], v3 offset:144
	;; [unrolled: 1-line block ×4, first 2 shown]
	s_waitcnt lgkmcnt(3)
	v_fmac_f32_e32 v4, v6, v67
	v_fmac_f32_e32 v4, v7, v66
	v_fmac_f32_e32 v4, v8, v65
	v_fmac_f32_e32 v4, v9, v64
	s_waitcnt lgkmcnt(2)
	v_fmac_f32_e32 v4, v10, v63
	v_fmac_f32_e32 v4, v11, v62
	v_fmac_f32_e32 v4, v12, v61
	v_fmac_f32_e32 v4, v13, v60
	;; [unrolled: 5-line block ×3, first 2 shown]
	ds_read_b128 v[6:9], v3 offset:192
	ds_read_b128 v[10:13], v3 offset:208
	s_waitcnt lgkmcnt(2)
	v_fmac_f32_e32 v4, v18, v55
	v_fmac_f32_e32 v4, v19, v54
	v_fmac_f32_e32 v4, v20, v53
	v_fmac_f32_e32 v4, v21, v52
	s_waitcnt lgkmcnt(1)
	v_fmac_f32_e32 v4, v6, v51
	v_fmac_f32_e32 v4, v7, v50
	;; [unrolled: 1-line block ×4, first 2 shown]
	ds_read_b128 v[6:9], v3 offset:224
	s_waitcnt lgkmcnt(1)
	v_fmac_f32_e32 v4, v10, v47
	v_fmac_f32_e32 v4, v11, v46
	v_fmac_f32_e32 v4, v12, v45
	v_fmac_f32_e32 v4, v13, v44
	ds_read_b128 v[10:13], v3 offset:240
	s_waitcnt lgkmcnt(1)
	v_fmac_f32_e32 v4, v6, v43
	v_fmac_f32_e32 v4, v7, v42
	;; [unrolled: 1-line block ×4, first 2 shown]
	s_waitcnt lgkmcnt(0)
	v_fmac_f32_e32 v4, v10, v39
	v_fmac_f32_e32 v4, v11, v38
	;; [unrolled: 1-line block ×4, first 2 shown]
.LBB17_15:
	s_load_dwordx2 s[0:1], s[4:5], 0x38
	s_cmpk_lt_i32 s28, 0x4001
	s_cbranch_scc1 .LBB17_17
; %bb.16:
	s_cmpk_lt_u32 s28, 0x4101
	s_cselect_b32 s8, s2, 0x1040
	s_ashr_i32 s9, s8, 31
	v_add_co_u32_e32 v12, vcc, 0x2000, v0
	s_lshl_b64 s[8:9], s[8:9], 1
	v_addc_co_u32_e32 v13, vcc, 0, v1, vcc
	s_cmpk_lt_u32 s28, 0x4201
	v_add_co_u32_e32 v14, vcc, s8, v0
	s_cselect_b32 s8, s2, 0x1080
	v_mov_b32_e32 v3, s9
	s_ashr_i32 s9, s8, 31
	s_lshl_b64 s[8:9], s[8:9], 1
	v_addc_co_u32_e32 v15, vcc, v1, v3, vcc
	s_cmpk_lt_u32 s28, 0x4301
	v_add_co_u32_e32 v16, vcc, s8, v0
	s_cselect_b32 s8, s2, 0x10c0
	v_mov_b32_e32 v3, s9
	s_ashr_i32 s9, s8, 31
	s_lshl_b64 s[8:9], s[8:9], 1
	v_addc_co_u32_e32 v17, vcc, v1, v3, vcc
	s_cmpk_lt_u32 s28, 0x4401
	v_add_co_u32_e32 v18, vcc, s8, v0
	s_cselect_b32 s8, s2, 0x1100
	v_mov_b32_e32 v3, s9
	s_ashr_i32 s9, s8, 31
	s_lshl_b64 s[8:9], s[8:9], 1
	v_addc_co_u32_e32 v19, vcc, v1, v3, vcc
	s_cmpk_lt_u32 s28, 0x4501
	v_add_co_u32_e32 v20, vcc, s8, v0
	s_cselect_b32 s8, s2, 0x1140
	v_mov_b32_e32 v3, s9
	s_ashr_i32 s9, s8, 31
	s_lshl_b64 s[8:9], s[8:9], 1
	v_addc_co_u32_e32 v21, vcc, v1, v3, vcc
	s_cmpk_lt_u32 s28, 0x4601
	v_add_co_u32_e32 v22, vcc, s8, v0
	s_cselect_b32 s8, s2, 0x1180
	v_mov_b32_e32 v3, s9
	s_ashr_i32 s9, s8, 31
	s_lshl_b64 s[8:9], s[8:9], 1
	v_addc_co_u32_e32 v23, vcc, v1, v3, vcc
	s_cmpk_lt_u32 s28, 0x4701
	v_add_co_u32_e32 v24, vcc, s8, v0
	s_cselect_b32 s8, s2, 0x11c0
	v_mov_b32_e32 v3, s9
	s_ashr_i32 s9, s8, 31
	s_lshl_b64 s[8:9], s[8:9], 1
	v_addc_co_u32_e32 v25, vcc, v1, v3, vcc
	s_cmpk_lt_u32 s28, 0x4801
	v_add_co_u32_e32 v26, vcc, s8, v0
	s_cselect_b32 s8, s2, 0x1200
	v_mov_b32_e32 v3, s9
	s_ashr_i32 s9, s8, 31
	s_lshl_b64 s[8:9], s[8:9], 1
	v_addc_co_u32_e32 v27, vcc, v1, v3, vcc
	s_cmpk_lt_u32 s28, 0x4901
	global_load_ushort v3, v[12:13], off
	global_load_ushort v5, v[14:15], off
	global_load_ushort v6, v[16:17], off
	global_load_ushort v7, v[18:19], off
	global_load_ushort v8, v[20:21], off
	global_load_ushort v9, v[22:23], off
	global_load_ushort v10, v[24:25], off
	global_load_ushort v11, v[26:27], off
	v_add_co_u32_e32 v20, vcc, s8, v0
	s_cselect_b32 s8, s2, 0x1240
	v_mov_b32_e32 v12, s9
	s_ashr_i32 s9, s8, 31
	s_lshl_b64 s[8:9], s[8:9], 1
	v_addc_co_u32_e32 v21, vcc, v1, v12, vcc
	s_cmpk_lt_u32 s28, 0x4a01
	v_add_co_u32_e32 v22, vcc, s8, v0
	s_cselect_b32 s8, s2, 0x1280
	v_mov_b32_e32 v12, s9
	s_ashr_i32 s9, s8, 31
	s_lshl_b64 s[8:9], s[8:9], 1
	v_addc_co_u32_e32 v23, vcc, v1, v12, vcc
	s_cmpk_lt_u32 s28, 0x4b01
	v_add_co_u32_e32 v24, vcc, s8, v0
	s_cselect_b32 s8, s2, 0x12c0
	v_mov_b32_e32 v12, s9
	s_ashr_i32 s9, s8, 31
	s_lshl_b64 s[8:9], s[8:9], 1
	v_addc_co_u32_e32 v25, vcc, v1, v12, vcc
	s_cmpk_lt_u32 s28, 0x4c01
	v_add_co_u32_e32 v26, vcc, s8, v0
	s_cselect_b32 s8, s2, 0x1300
	v_mov_b32_e32 v12, s9
	s_ashr_i32 s9, s8, 31
	s_lshl_b64 s[8:9], s[8:9], 1
	v_addc_co_u32_e32 v27, vcc, v1, v12, vcc
	s_cmpk_lt_u32 s28, 0x4d01
	v_add_co_u32_e32 v28, vcc, s8, v0
	s_cselect_b32 s8, s2, 0x1340
	v_mov_b32_e32 v12, s9
	s_ashr_i32 s9, s8, 31
	s_lshl_b64 s[8:9], s[8:9], 1
	v_addc_co_u32_e32 v29, vcc, v1, v12, vcc
	s_cmpk_lt_u32 s28, 0x4e01
	v_add_co_u32_e32 v30, vcc, s8, v0
	s_cselect_b32 s8, s2, 0x1380
	v_mov_b32_e32 v12, s9
	s_ashr_i32 s9, s8, 31
	s_lshl_b64 s[8:9], s[8:9], 1
	v_addc_co_u32_e32 v31, vcc, v1, v12, vcc
	s_cmpk_lt_u32 s28, 0x4f01
	v_add_co_u32_e32 v32, vcc, s8, v0
	s_cselect_b32 s8, s2, 0x13c0
	v_mov_b32_e32 v12, s9
	s_ashr_i32 s9, s8, 31
	s_lshl_b64 s[8:9], s[8:9], 1
	v_addc_co_u32_e32 v33, vcc, v1, v12, vcc
	s_cmpk_lt_u32 s28, 0x5001
	v_add_co_u32_e32 v34, vcc, s8, v0
	s_cselect_b32 s8, s2, 0x1400
	v_mov_b32_e32 v12, s9
	s_ashr_i32 s9, s8, 31
	s_lshl_b64 s[8:9], s[8:9], 1
	v_addc_co_u32_e32 v35, vcc, v1, v12, vcc
	s_cmpk_lt_u32 s28, 0x5101
	global_load_ushort v15, v[20:21], off
	global_load_ushort v16, v[22:23], off
	global_load_ushort v17, v[24:25], off
	global_load_ushort v18, v[26:27], off
	global_load_ushort v19, v[28:29], off
	global_load_ushort v12, v[30:31], off
	global_load_ushort v13, v[32:33], off
	global_load_ushort v14, v[34:35], off
	v_add_co_u32_e32 v28, vcc, s8, v0
	s_cselect_b32 s8, s2, 0x1440
	v_mov_b32_e32 v20, s9
	s_ashr_i32 s9, s8, 31
	;; [unrolled: 64-line block ×7, first 2 shown]
	s_lshl_b64 s[8:9], s[8:9], 1
	v_addc_co_u32_e32 v37, vcc, v1, v37, vcc
	s_cmpk_lt_u32 s28, 0x7a01
	v_add_co_u32_e32 v38, vcc, s8, v0
	s_cselect_b32 s8, s2, 0x1e80
	v_mov_b32_e32 v39, s9
	s_ashr_i32 s9, s8, 31
	s_lshl_b64 s[8:9], s[8:9], 1
	v_addc_co_u32_e32 v39, vcc, v1, v39, vcc
	s_cmpk_lt_u32 s28, 0x7b01
	v_add_co_u32_e32 v40, vcc, s8, v0
	s_cselect_b32 s8, s2, 0x1ec0
	v_mov_b32_e32 v41, s9
	s_ashr_i32 s9, s8, 31
	;; [unrolled: 7-line block ×5, first 2 shown]
	s_lshl_b64 s[8:9], s[8:9], 1
	s_cmpk_lt_u32 s28, 0x7f01
	v_addc_co_u32_e32 v47, vcc, v1, v47, vcc
	s_cselect_b32 s2, s2, 0x1fc0
	v_mov_b32_e32 v49, s9
	v_add_co_u32_e32 v48, vcc, s8, v0
	s_ashr_i32 s3, s2, 31
	v_addc_co_u32_e32 v49, vcc, v1, v49, vcc
	s_lshl_b64 s[2:3], s[2:3], 1
	v_mov_b32_e32 v50, s3
	v_add_co_u32_e32 v0, vcc, s2, v0
	v_addc_co_u32_e32 v1, vcc, v1, v50, vcc
	global_load_ushort v76, v[36:37], off
	global_load_ushort v77, v[38:39], off
	;; [unrolled: 1-line block ×8, first 2 shown]
	v_mov_b32_e32 v0, 0
	ds_read_b128 v[36:39], v0 offset:256
	ds_read_b128 v[40:43], v0 offset:272
	;; [unrolled: 1-line block ×4, first 2 shown]
	s_waitcnt vmcnt(62) lgkmcnt(0)
	v_fma_mix_f32 v1, v36, v3, v4 op_sel_hi:[0,1,0]
	v_fma_mix_f32 v1, v37, v5, v1 op_sel_hi:[0,1,0]
	s_waitcnt vmcnt(61)
	v_fma_mix_f32 v1, v38, v6, v1 op_sel_hi:[0,1,0]
	s_waitcnt vmcnt(60)
	;; [unrolled: 2-line block ×10, first 2 shown]
	v_fma_mix_f32 v1, v47, v18, v1 op_sel_hi:[0,1,0]
	ds_read_b128 v[4:7], v0 offset:320
	ds_read_b128 v[8:11], v0 offset:336
	s_waitcnt vmcnt(51)
	v_fma_mix_f32 v1, v48, v19, v1 op_sel_hi:[0,1,0]
	s_waitcnt vmcnt(50)
	v_fma_mix_f32 v1, v49, v12, v1 op_sel_hi:[0,1,0]
	;; [unrolled: 2-line block ×4, first 2 shown]
	s_waitcnt vmcnt(47) lgkmcnt(1)
	v_fma_mix_f32 v1, v4, v23, v1 op_sel_hi:[0,1,0]
	s_waitcnt vmcnt(46)
	v_fma_mix_f32 v1, v5, v24, v1 op_sel_hi:[0,1,0]
	s_waitcnt vmcnt(45)
	v_fma_mix_f32 v1, v6, v25, v1 op_sel_hi:[0,1,0]
	s_waitcnt vmcnt(44)
	v_fma_mix_f32 v1, v7, v26, v1 op_sel_hi:[0,1,0]
	ds_read_b128 v[4:7], v0 offset:352
	s_waitcnt vmcnt(43) lgkmcnt(1)
	v_fma_mix_f32 v1, v8, v27, v1 op_sel_hi:[0,1,0]
	s_waitcnt vmcnt(42)
	v_fma_mix_f32 v1, v9, v20, v1 op_sel_hi:[0,1,0]
	s_waitcnt vmcnt(41)
	v_fma_mix_f32 v1, v10, v21, v1 op_sel_hi:[0,1,0]
	s_waitcnt vmcnt(40)
	v_fma_mix_f32 v1, v11, v22, v1 op_sel_hi:[0,1,0]
	ds_read_b128 v[8:11], v0 offset:368
	;; [unrolled: 9-line block ×10, first 2 shown]
	s_waitcnt vmcnt(7) lgkmcnt(1)
	v_fma_mix_f32 v0, v4, v76, v1 op_sel_hi:[0,1,0]
	s_waitcnt vmcnt(6)
	v_fma_mix_f32 v0, v5, v77, v0 op_sel_hi:[0,1,0]
	s_waitcnt vmcnt(5)
	;; [unrolled: 2-line block ×3, first 2 shown]
	v_fma_mix_f32 v0, v7, v79, v0 op_sel_hi:[0,1,0]
	s_waitcnt vmcnt(3) lgkmcnt(0)
	v_fma_mix_f32 v0, v8, v80, v0 op_sel_hi:[0,1,0]
	s_waitcnt vmcnt(2)
	v_fma_mix_f32 v0, v9, v81, v0 op_sel_hi:[0,1,0]
	s_waitcnt vmcnt(1)
	;; [unrolled: 2-line block ×3, first 2 shown]
	v_fma_mix_f32 v4, v11, v83, v0 op_sel_hi:[0,1,0]
.LBB17_17:
	v_mov_b32_e32 v0, 0
	s_load_dwordx2 s[2:3], s[4:5], 0x0
	ds_read_b32 v1, v0 offset:512
	s_waitcnt lgkmcnt(0)
	s_cmp_eq_u64 s[0:1], 0
	s_cbranch_scc1 .LBB17_22
; %bb.18:
	s_load_dword s4, s[0:1], 0x0
	s_waitcnt lgkmcnt(0)
	v_div_scale_f32 v0, s[0:1], s4, s4, 1.0
	v_rcp_f32_e32 v3, v0
	v_div_scale_f32 v5, vcc, 1.0, s4, 1.0
	v_fma_f32 v6, -v0, v3, 1.0
	v_fmac_f32_e32 v3, v6, v3
	v_mul_f32_e32 v6, v5, v3
	v_fma_f32 v7, -v0, v6, v5
	v_fmac_f32_e32 v6, v7, v3
	v_fma_f32 v0, -v0, v6, v5
	v_div_fmas_f32 v0, v0, v3, v6
	v_div_fixup_f32 v0, v0, s4, 1.0
	s_andn2_b64 vcc, exec, s[20:21]
	s_cbranch_vccnz .LBB17_20
.LBB17_19:
	s_add_u32 s0, s18, s22
	s_addc_u32 s1, s19, s23
	s_load_dword s16, s[0:1], 0x0
	s_mov_b32 s17, 0
.LBB17_20:
	v_add_f32_e32 v1, 0x358637bd, v1
	v_div_scale_f32 v3, s[0:1], v1, v1, 1.0
	v_rcp_f32_e32 v5, v3
	v_div_scale_f32 v6, vcc, 1.0, v1, 1.0
	s_mul_i32 s0, s7, s17
	v_fma_f32 v7, -v3, v5, 1.0
	v_fmac_f32_e32 v5, v7, v5
	v_mul_f32_e32 v7, v6, v5
	v_fma_f32 v8, -v3, v7, v6
	s_waitcnt lgkmcnt(0)
	s_mul_hi_u32 s1, s7, s16
	v_fmac_f32_e32 v7, v8, v5
	s_add_i32 s1, s1, s0
	s_mul_i32 s0, s7, s16
	v_fma_f32 v3, -v3, v7, v6
	s_lshl_b64 s[0:1], s[0:1], 7
	v_div_fmas_f32 v3, v3, v5, v7
	s_add_u32 s2, s2, s0
	s_mov_b32 s7, 0
	v_div_fixup_f32 v1, v3, v1, 1.0
	s_addc_u32 s3, s3, s1
	s_lshl_b64 s[0:1], s[6:7], 7
	v_mul_f32_e32 v1, v4, v1
	s_add_u32 s0, s2, s0
	s_addc_u32 s1, s3, s1
	v_fma_mixlo_f16 v0, v1, v0, 0
	global_store_short v2, v0, s[0:1]
	s_endpgm
.LBB17_21:
	s_mov_b64 s[2:3], 0
	s_branch .LBB17_2
.LBB17_22:
	v_mov_b32_e32 v0, 1.0
	s_andn2_b64 vcc, exec, s[20:21]
	s_cbranch_vccz .LBB17_19
	s_branch .LBB17_20
	.section	.rodata,"a",@progbits
	.p2align	6, 0x0
	.amdhsa_kernel _Z35paged_attention_ll4mi_reduce_kernelIDF16_DF16_Li64ELi64ELi256ELi2EEvPT0_PKfS3_PKT_PKiS8_iS3_
		.amdhsa_group_segment_fixed_size 516
		.amdhsa_private_segment_fixed_size 0
		.amdhsa_kernarg_size 320
		.amdhsa_user_sgpr_count 6
		.amdhsa_user_sgpr_private_segment_buffer 1
		.amdhsa_user_sgpr_dispatch_ptr 0
		.amdhsa_user_sgpr_queue_ptr 0
		.amdhsa_user_sgpr_kernarg_segment_ptr 1
		.amdhsa_user_sgpr_dispatch_id 0
		.amdhsa_user_sgpr_flat_scratch_init 0
		.amdhsa_user_sgpr_kernarg_preload_length 0
		.amdhsa_user_sgpr_kernarg_preload_offset 0
		.amdhsa_user_sgpr_private_segment_size 0
		.amdhsa_uses_dynamic_stack 0
		.amdhsa_system_sgpr_private_segment_wavefront_offset 0
		.amdhsa_system_sgpr_workgroup_id_x 1
		.amdhsa_system_sgpr_workgroup_id_y 1
		.amdhsa_system_sgpr_workgroup_id_z 0
		.amdhsa_system_sgpr_workgroup_info 0
		.amdhsa_system_vgpr_workitem_id 0
		.amdhsa_next_free_vgpr 92
		.amdhsa_next_free_sgpr 32
		.amdhsa_accum_offset 92
		.amdhsa_reserve_vcc 1
		.amdhsa_reserve_flat_scratch 0
		.amdhsa_float_round_mode_32 0
		.amdhsa_float_round_mode_16_64 0
		.amdhsa_float_denorm_mode_32 3
		.amdhsa_float_denorm_mode_16_64 3
		.amdhsa_dx10_clamp 1
		.amdhsa_ieee_mode 1
		.amdhsa_fp16_overflow 0
		.amdhsa_tg_split 0
		.amdhsa_exception_fp_ieee_invalid_op 0
		.amdhsa_exception_fp_denorm_src 0
		.amdhsa_exception_fp_ieee_div_zero 0
		.amdhsa_exception_fp_ieee_overflow 0
		.amdhsa_exception_fp_ieee_underflow 0
		.amdhsa_exception_fp_ieee_inexact 0
		.amdhsa_exception_int_div_zero 0
	.end_amdhsa_kernel
	.section	.text._Z35paged_attention_ll4mi_reduce_kernelIDF16_DF16_Li64ELi64ELi256ELi2EEvPT0_PKfS3_PKT_PKiS8_iS3_,"axG",@progbits,_Z35paged_attention_ll4mi_reduce_kernelIDF16_DF16_Li64ELi64ELi256ELi2EEvPT0_PKfS3_PKT_PKiS8_iS3_,comdat
.Lfunc_end17:
	.size	_Z35paged_attention_ll4mi_reduce_kernelIDF16_DF16_Li64ELi64ELi256ELi2EEvPT0_PKfS3_PKT_PKiS8_iS3_, .Lfunc_end17-_Z35paged_attention_ll4mi_reduce_kernelIDF16_DF16_Li64ELi64ELi256ELi2EEvPT0_PKfS3_PKT_PKiS8_iS3_
                                        ; -- End function
	.section	.AMDGPU.csdata,"",@progbits
; Kernel info:
; codeLenInByte = 8760
; NumSgprs: 36
; NumVgprs: 92
; NumAgprs: 0
; TotalNumVgprs: 92
; ScratchSize: 0
; MemoryBound: 0
; FloatMode: 240
; IeeeMode: 1
; LDSByteSize: 516 bytes/workgroup (compile time only)
; SGPRBlocks: 4
; VGPRBlocks: 11
; NumSGPRsForWavesPerEU: 36
; NumVGPRsForWavesPerEU: 92
; AccumOffset: 92
; Occupancy: 5
; WaveLimiterHint : 1
; COMPUTE_PGM_RSRC2:SCRATCH_EN: 0
; COMPUTE_PGM_RSRC2:USER_SGPR: 6
; COMPUTE_PGM_RSRC2:TRAP_HANDLER: 0
; COMPUTE_PGM_RSRC2:TGID_X_EN: 1
; COMPUTE_PGM_RSRC2:TGID_Y_EN: 1
; COMPUTE_PGM_RSRC2:TGID_Z_EN: 0
; COMPUTE_PGM_RSRC2:TIDIG_COMP_CNT: 0
; COMPUTE_PGM_RSRC3_GFX90A:ACCUM_OFFSET: 22
; COMPUTE_PGM_RSRC3_GFX90A:TG_SPLIT: 0
	.section	.text._Z35paged_attention_ll4mi_reduce_kernelIDF16_DF16_Li64ELi64ELi256ELi3EEvPT0_PKfS3_PKT_PKiS8_iS3_,"axG",@progbits,_Z35paged_attention_ll4mi_reduce_kernelIDF16_DF16_Li64ELi64ELi256ELi3EEvPT0_PKfS3_PKT_PKiS8_iS3_,comdat
	.protected	_Z35paged_attention_ll4mi_reduce_kernelIDF16_DF16_Li64ELi64ELi256ELi3EEvPT0_PKfS3_PKT_PKiS8_iS3_ ; -- Begin function _Z35paged_attention_ll4mi_reduce_kernelIDF16_DF16_Li64ELi64ELi256ELi3EEvPT0_PKfS3_PKT_PKiS8_iS3_
	.globl	_Z35paged_attention_ll4mi_reduce_kernelIDF16_DF16_Li64ELi64ELi256ELi3EEvPT0_PKfS3_PKT_PKiS8_iS3_
	.p2align	8
	.type	_Z35paged_attention_ll4mi_reduce_kernelIDF16_DF16_Li64ELi64ELi256ELi3EEvPT0_PKfS3_PKT_PKiS8_iS3_,@function
_Z35paged_attention_ll4mi_reduce_kernelIDF16_DF16_Li64ELi64ELi256ELi3EEvPT0_PKfS3_PKT_PKiS8_iS3_: ; @_Z35paged_attention_ll4mi_reduce_kernelIDF16_DF16_Li64ELi64ELi256ELi3EEvPT0_PKfS3_PKT_PKiS8_iS3_
; %bb.0:
	s_load_dwordx2 s[20:21], s[4:5], 0x28
	s_mov_b32 s10, s7
	s_mov_b64 s[0:1], 0
	s_waitcnt lgkmcnt(0)
	s_cmp_lg_u64 s[20:21], 0
	s_cselect_b64 s[22:23], -1, 0
	s_and_b64 vcc, exec, s[22:23]
	s_cbranch_vccz .LBB18_23
; %bb.1:
	s_add_i32 s2, s10, 1
	s_mov_b32 s3, 0
	s_lshl_b64 s[8:9], s[2:3], 2
	s_add_u32 s8, s20, s8
	s_mov_b32 s11, s3
	s_addc_u32 s9, s21, s9
	s_lshl_b64 s[2:3], s[10:11], 2
	s_add_u32 s2, s20, s2
	s_addc_u32 s3, s21, s3
	s_load_dword s7, s[8:9], 0x0
	s_load_dword s12, s[2:3], 0x0
	s_waitcnt lgkmcnt(0)
	s_sub_i32 s2, s7, s12
	s_cmp_eq_u32 s2, 1
	s_cselect_b64 s[2:3], -1, 0
	s_andn2_b64 vcc, exec, s[0:1]
	s_cbranch_vccnz .LBB18_3
.LBB18_2:
	s_mov_b32 s11, 0
	s_mov_b64 s[2:3], -1
.LBB18_3:
	s_andn2_b64 vcc, exec, s[2:3]
	s_cbranch_vccz .LBB18_5
; %bb.4:
	s_endpgm
.LBB18_5:
	s_load_dwordx4 s[12:15], s[4:5], 0x18
	s_load_dword s8, s[4:5], 0x30
	s_lshl_b64 s[24:25], s[10:11], 2
	v_cmp_lt_u32_e32 vcc, 63, v0
	s_waitcnt lgkmcnt(0)
	s_add_u32 s0, s14, s24
	s_addc_u32 s1, s15, s25
	s_load_dword s33, s[0:1], 0x0
	s_load_dword s7, s[4:5], 0x40
	s_mul_i32 s14, s6, s8
	s_mul_i32 s2, s10, s8
	s_waitcnt lgkmcnt(0)
	s_add_i32 s3, s33, 0xff
	s_ashr_i32 s0, s3, 31
	s_lshr_b32 s0, s0, 24
	s_add_i32 s3, s3, s0
	s_and_saveexec_b64 s[0:1], vcc
	s_xor_b64 s[0:1], exec, s[0:1]
	s_or_saveexec_b64 s[26:27], s[0:1]
	s_ashr_i32 s34, s3, 8
	v_mov_b32_e32 v1, s14
	s_mul_i32 s28, s2, s7
	s_xor_b64 exec, exec, s[26:27]
	s_cbranch_execz .LBB18_9
; %bb.6:
	s_load_dwordx4 s[16:19], s[4:5], 0x8
	s_mov_b32 s29, 0
	s_add_i32 s0, s34, -1
	v_or_b32_e32 v3, 64, v0
	v_mov_b32_e32 v1, s0
	v_cmp_gt_u32_e64 s[0:1], s34, v3
	s_lshl_b64 s[30:31], s[28:29], 2
	s_mov_b32 s15, s29
	v_cmp_gt_u32_e64 s[2:3], s34, v0
	v_cndmask_b32_e64 v4, v1, v3, s[0:1]
	v_or_b32_e32 v3, 0x80, v0
	s_waitcnt lgkmcnt(0)
	s_add_u32 s8, s18, s30
	v_cndmask_b32_e64 v2, v1, v0, s[2:3]
	v_cmp_gt_u32_e32 vcc, s34, v3
	s_addc_u32 s9, s19, s31
	s_lshl_b64 s[18:19], s[14:15], 2
	v_cndmask_b32_e32 v6, v1, v3, vcc
	s_add_u32 s15, s8, s18
	v_ashrrev_i32_e32 v3, 31, v2
	s_addc_u32 s29, s9, s19
	v_lshlrev_b64 v[2:3], 2, v[2:3]
	v_mov_b32_e32 v1, s29
	v_add_co_u32_e64 v8, s[8:9], s15, v2
	v_ashrrev_i32_e32 v5, 31, v4
	v_addc_co_u32_e64 v9, s[8:9], v1, v3, s[8:9]
	v_lshlrev_b64 v[4:5], 2, v[4:5]
	v_add_co_u32_e64 v10, s[8:9], s15, v4
	v_ashrrev_i32_e32 v7, 31, v6
	v_addc_co_u32_e64 v11, s[8:9], v1, v5, s[8:9]
	v_lshlrev_b64 v[6:7], 2, v[6:7]
	v_add_co_u32_e64 v12, s[8:9], s15, v6
	v_addc_co_u32_e64 v13, s[8:9], v1, v7, s[8:9]
	global_load_dword v1, v[8:9], off
	global_load_dword v14, v[10:11], off
	;; [unrolled: 1-line block ×3, first 2 shown]
	v_mbcnt_lo_u32_b32 v8, -1, 0
	v_mbcnt_hi_u32_b32 v8, -1, v8
	v_and_b32_e32 v9, 64, v8
	v_xor_b32_e32 v10, 32, v8
	v_add_u32_e32 v9, 64, v9
	v_xor_b32_e32 v11, 16, v8
	v_cmp_lt_i32_e64 s[8:9], v10, v9
	v_xor_b32_e32 v12, 8, v8
	v_cndmask_b32_e64 v10, v8, v10, s[8:9]
	v_cmp_lt_i32_e64 s[8:9], v11, v9
	v_cndmask_b32_e64 v11, v8, v11, s[8:9]
	v_cmp_lt_i32_e64 s[8:9], v12, v9
	v_cndmask_b32_e64 v12, v8, v12, s[8:9]
	s_add_u32 s8, s16, s30
	s_addc_u32 s9, s17, s31
	s_add_u32 s15, s8, s18
	s_addc_u32 s16, s9, s19
	v_mov_b32_e32 v13, s16
	v_add_co_u32_e64 v2, s[8:9], s15, v2
	v_addc_co_u32_e64 v3, s[8:9], v13, v3, s[8:9]
	global_load_dword v13, v[2:3], off
	v_lshlrev_b32_e32 v10, 2, v10
	v_mov_b32_e32 v3, s16
	v_add_co_u32_e64 v2, s[8:9], s15, v4
	v_addc_co_u32_e64 v3, s[8:9], v3, v5, s[8:9]
	global_load_dword v4, v[2:3], off
	v_mov_b32_e32 v3, s16
	v_lshlrev_b32_e32 v11, 2, v11
	v_lshlrev_b32_e32 v12, 2, v12
	s_mov_b32 s16, 0x42b17218
	s_waitcnt vmcnt(2)
	v_max3_f32 v16, v1, v14, v15
	ds_bpermute_b32 v17, v10, v16
	s_waitcnt lgkmcnt(0)
	v_max_f32_e32 v2, v17, v17
	v_max_f32_e32 v5, v16, v2
	v_add_co_u32_e64 v2, s[8:9], s15, v6
	v_addc_co_u32_e64 v3, s[8:9], v3, v7, s[8:9]
	global_load_dword v3, v[2:3], off
	ds_bpermute_b32 v16, v11, v5
	v_xor_b32_e32 v6, 4, v8
	v_cmp_lt_i32_e64 s[8:9], v6, v9
	v_cndmask_b32_e64 v6, v8, v6, s[8:9]
	v_lshlrev_b32_e32 v6, 2, v6
	s_waitcnt lgkmcnt(0)
	v_max_f32_e32 v2, v16, v16
	v_max_f32_e32 v2, v5, v2
	ds_bpermute_b32 v5, v12, v2
	v_xor_b32_e32 v7, 2, v8
	v_cmp_lt_i32_e64 s[8:9], v7, v9
	v_cndmask_b32_e64 v7, v8, v7, s[8:9]
	v_lshlrev_b32_e32 v7, 2, v7
	s_waitcnt lgkmcnt(0)
	v_max_f32_e32 v5, v5, v5
	v_max_f32_e32 v2, v2, v5
	;; [unrolled: 8-line block ×3, first 2 shown]
	ds_bpermute_b32 v5, v7, v2
	s_mov_b32 s8, 0x3fb8aa3b
	s_mov_b32 s15, 0xc2ce8ed0
	v_mov_b32_e32 v9, 0x7f800000
	s_waitcnt lgkmcnt(0)
	v_max_f32_e32 v5, v5, v5
	v_max_f32_e32 v2, v2, v5
	ds_bpermute_b32 v5, v8, v2
	s_waitcnt lgkmcnt(0)
	v_max_f32_e32 v5, v5, v5
	v_max_f32_e32 v2, v2, v5
	v_sub_f32_e32 v1, v1, v2
	v_sub_f32_e32 v5, v14, v2
	v_mul_f32_e32 v14, 0x3fb8aa3b, v1
	v_sub_f32_e32 v2, v15, v2
	v_mul_f32_e32 v15, 0x3fb8aa3b, v5
	v_fma_f32 v17, v1, s8, -v14
	v_rndne_f32_e32 v18, v14
	v_fma_f32 v19, v5, s8, -v15
	v_rndne_f32_e32 v20, v15
	v_fmac_f32_e32 v17, 0x32a5705f, v1
	v_sub_f32_e32 v14, v14, v18
	v_fmac_f32_e32 v19, 0x32a5705f, v5
	v_sub_f32_e32 v15, v15, v20
	v_add_f32_e32 v14, v14, v17
	v_cvt_i32_f32_e32 v18, v18
	v_add_f32_e32 v15, v15, v19
	v_exp_f32_e32 v14, v14
	v_cvt_i32_f32_e32 v20, v20
	v_exp_f32_e32 v15, v15
	v_mul_f32_e32 v16, 0x3fb8aa3b, v2
	v_fma_f32 v17, v2, s8, -v16
	v_ldexp_f32 v14, v14, v18
	v_cmp_ngt_f32_e64 s[8:9], s15, v1
	v_ldexp_f32 v15, v15, v20
	v_cndmask_b32_e64 v14, 0, v14, s[8:9]
	v_cmp_ngt_f32_e64 s[8:9], s15, v5
	v_cndmask_b32_e64 v15, 0, v15, s[8:9]
	v_cmp_nlt_f32_e64 s[8:9], s16, v1
	v_cndmask_b32_e64 v1, v9, v14, s[8:9]
	v_cndmask_b32_e64 v1, 0, v1, s[2:3]
	s_waitcnt vmcnt(2)
	v_mul_f32_e32 v1, v13, v1
	v_rndne_f32_e32 v13, v16
	v_fmac_f32_e32 v17, 0x32a5705f, v2
	v_sub_f32_e32 v14, v16, v13
	v_add_f32_e32 v14, v14, v17
	v_exp_f32_e32 v14, v14
	v_cvt_i32_f32_e32 v13, v13
	v_cmp_nlt_f32_e64 s[2:3], s16, v5
	v_cndmask_b32_e64 v5, v9, v15, s[2:3]
	v_cndmask_b32_e64 v5, 0, v5, s[0:1]
	v_ldexp_f32 v13, v14, v13
	v_cmp_ngt_f32_e64 s[0:1], s15, v2
	v_cndmask_b32_e64 v13, 0, v13, s[0:1]
	v_cmp_nlt_f32_e64 s[0:1], s16, v2
	s_waitcnt vmcnt(1)
	v_mul_f32_e32 v15, v4, v5
	v_cndmask_b32_e64 v2, v9, v13, s[0:1]
	v_lshlrev_b32_e32 v13, 2, v0
	v_cndmask_b32_e32 v9, 0, v2, vcc
	ds_write2st64_b32 v13, v1, v15 offset1:1
	v_fmac_f32_e32 v1, v4, v5
	s_waitcnt vmcnt(0)
	v_fmac_f32_e32 v1, v3, v9
	ds_bpermute_b32 v2, v10, v1
	v_mul_f32_e32 v3, v3, v9
	v_cmp_eq_u32_e32 vcc, 0, v0
	ds_write_b32 v13, v3 offset:512
	s_waitcnt lgkmcnt(1)
	v_add_f32_e32 v1, v1, v2
	ds_bpermute_b32 v2, v11, v1
	s_waitcnt lgkmcnt(0)
	v_add_f32_e32 v1, v1, v2
	ds_bpermute_b32 v2, v12, v1
	;; [unrolled: 3-line block ×5, first 2 shown]
	s_and_saveexec_b64 s[0:1], vcc
	s_cbranch_execz .LBB18_8
; %bb.7:
	s_waitcnt lgkmcnt(0)
	v_add_f32_e32 v1, v1, v2
	v_mov_b32_e32 v2, 0
	ds_write_b32 v2, v1 offset:768
.LBB18_8:
	s_or_b64 exec, exec, s[0:1]
	v_mov_b32_e32 v1, s14
.LBB18_9:
	s_or_b64 exec, exec, s[26:27]
	s_lshl_b32 s0, s28, 6
	s_mov_b32 s1, 0
	s_waitcnt lgkmcnt(0)
	v_lshlrev_b32_e32 v2, 6, v1
	v_mov_b32_e32 v3, 0
	s_lshl_b64 s[0:1], s[0:1], 1
	s_add_u32 s0, s12, s0
	v_lshlrev_b64 v[4:5], 1, v[2:3]
	s_addc_u32 s1, s13, s1
	v_add_co_u32_e32 v4, vcc, s0, v4
	s_lshl_b32 s0, s34, 6
	s_sub_i32 s2, s0, 64
	s_cmp_lt_i32 s33, 1
	v_mov_b32_e32 v1, s1
	s_cselect_b32 s0, s2, 0
	v_addc_co_u32_e32 v1, vcc, v1, v5, vcc
	v_lshlrev_b32_e32 v2, 1, v0
	s_ashr_i32 s1, s0, 31
	v_add_co_u32_e32 v0, vcc, v4, v2
	s_lshl_b64 s[0:1], s[0:1], 1
	v_addc_co_u32_e32 v1, vcc, 0, v1, vcc
	s_cmpk_lt_i32 s33, 0x101
	v_add_co_u32_e32 v12, vcc, s0, v0
	s_cselect_b32 s0, s2, 64
	v_mov_b32_e32 v4, s1
	s_ashr_i32 s1, s0, 31
	s_lshl_b64 s[0:1], s[0:1], 1
	v_addc_co_u32_e32 v13, vcc, v1, v4, vcc
	s_cmpk_lt_i32 s33, 0x201
	v_add_co_u32_e32 v14, vcc, s0, v0
	s_cselect_b32 s0, s2, 0x80
	v_mov_b32_e32 v4, s1
	s_ashr_i32 s1, s0, 31
	;; [unrolled: 7-line block ×8, first 2 shown]
	s_lshl_b64 s[0:1], s[0:1], 1
	v_addc_co_u32_e32 v27, vcc, v1, v4, vcc
	s_cmpk_lt_i32 s33, 0x901
	global_load_ushort v4, v[12:13], off
	global_load_ushort v5, v[14:15], off
	global_load_ushort v6, v[16:17], off
	global_load_ushort v7, v[18:19], off
	global_load_ushort v8, v[20:21], off
	global_load_ushort v9, v[22:23], off
	global_load_ushort v10, v[24:25], off
	global_load_ushort v11, v[26:27], off
	v_add_co_u32_e32 v20, vcc, s0, v0
	s_cselect_b32 s0, s2, 0x240
	v_mov_b32_e32 v12, s1
	s_ashr_i32 s1, s0, 31
	s_lshl_b64 s[0:1], s[0:1], 1
	v_addc_co_u32_e32 v21, vcc, v1, v12, vcc
	s_cmpk_lt_i32 s33, 0xa01
	v_add_co_u32_e32 v22, vcc, s0, v0
	s_cselect_b32 s0, s2, 0x280
	v_mov_b32_e32 v12, s1
	s_ashr_i32 s1, s0, 31
	s_lshl_b64 s[0:1], s[0:1], 1
	v_addc_co_u32_e32 v23, vcc, v1, v12, vcc
	s_cmpk_lt_i32 s33, 0xb01
	;; [unrolled: 7-line block ×6, first 2 shown]
	v_add_co_u32_e32 v32, vcc, s0, v0
	s_cselect_b32 s0, s2, 0x3c0
	v_mov_b32_e32 v12, s1
	s_ashr_i32 s1, s0, 31
	v_addc_co_u32_e32 v33, vcc, v1, v12, vcc
	s_lshl_b64 s[0:1], s[0:1], 1
	v_mov_b32_e32 v12, s1
	v_add_co_u32_e32 v34, vcc, s0, v0
	v_addc_co_u32_e32 v35, vcc, v1, v12, vcc
	global_load_ushort v12, v[20:21], off
	global_load_ushort v13, v[22:23], off
	;; [unrolled: 1-line block ×8, first 2 shown]
	s_cmpk_gt_i32 s33, 0x1000
	s_cselect_b64 s[0:1], -1, 0
	s_cmpk_lt_i32 s33, 0x1001
	v_mov_b32_e32 v36, 0
	v_mov_b32_e32 v37, 0
	v_mov_b32_e32 v38, 0
	v_mov_b32_e32 v39, 0
	v_mov_b32_e32 v40, 0
	v_mov_b32_e32 v41, 0
	v_mov_b32_e32 v42, 0
	v_mov_b32_e32 v43, 0
	v_mov_b32_e32 v44, 0
	v_mov_b32_e32 v45, 0
	v_mov_b32_e32 v46, 0
	v_mov_b32_e32 v47, 0
	v_mov_b32_e32 v48, 0
	v_mov_b32_e32 v49, 0
	v_mov_b32_e32 v50, 0
	v_mov_b32_e32 v51, 0
	v_mov_b32_e32 v52, 0
	v_mov_b32_e32 v53, 0
	v_mov_b32_e32 v54, 0
	v_mov_b32_e32 v55, 0
	v_mov_b32_e32 v56, 0
	v_mov_b32_e32 v57, 0
	v_mov_b32_e32 v58, 0
	v_mov_b32_e32 v59, 0
	v_mov_b32_e32 v60, 0
	v_mov_b32_e32 v61, 0
	v_mov_b32_e32 v62, 0
	v_mov_b32_e32 v63, 0
	v_mov_b32_e32 v64, 0
	v_mov_b32_e32 v65, 0
	v_mov_b32_e32 v66, 0
	v_mov_b32_e32 v67, 0
	v_mov_b32_e32 v28, 0
	v_mov_b32_e32 v29, 0
	v_mov_b32_e32 v30, 0
	v_mov_b32_e32 v31, 0
	v_mov_b32_e32 v32, 0
	v_mov_b32_e32 v33, 0
	v_mov_b32_e32 v34, 0
	v_mov_b32_e32 v35, 0
	v_mov_b32_e32 v21, 0
	v_mov_b32_e32 v20, 0
	v_mov_b32_e32 v22, 0
	v_mov_b32_e32 v23, 0
	v_mov_b32_e32 v24, 0
	v_mov_b32_e32 v25, 0
	v_mov_b32_e32 v26, 0
	v_mov_b32_e32 v27, 0
	s_waitcnt lgkmcnt(0)
	; wave barrier
	s_cbranch_scc1 .LBB18_12
; %bb.10:
	s_cmpk_lt_u32 s33, 0x1101
	s_cselect_b32 s8, s2, 0x440
	s_ashr_i32 s9, s8, 31
	s_lshl_b64 s[8:9], s[8:9], 1
	s_cmpk_lt_u32 s33, 0x1201
	v_add_co_u32_e32 v28, vcc, s8, v0
	s_cselect_b32 s8, s2, 0x480
	v_mov_b32_e32 v20, s9
	s_ashr_i32 s9, s8, 31
	s_lshl_b64 s[8:9], s[8:9], 1
	v_addc_co_u32_e32 v29, vcc, v1, v20, vcc
	s_cmpk_lt_u32 s33, 0x1301
	v_add_co_u32_e32 v30, vcc, s8, v0
	s_cselect_b32 s8, s2, 0x4c0
	v_mov_b32_e32 v20, s9
	s_ashr_i32 s9, s8, 31
	s_lshl_b64 s[8:9], s[8:9], 1
	v_addc_co_u32_e32 v31, vcc, v1, v20, vcc
	;; [unrolled: 7-line block ×7, first 2 shown]
	s_cmpk_lt_u32 s33, 0x1901
	global_load_ushort v27, v[0:1], off offset:2048
	global_load_ushort v26, v[28:29], off
	global_load_ushort v25, v[30:31], off
	;; [unrolled: 1-line block ×7, first 2 shown]
	v_add_co_u32_e32 v36, vcc, s8, v0
	s_cselect_b32 s8, s2, 0x640
	v_mov_b32_e32 v28, s9
	s_ashr_i32 s9, s8, 31
	s_lshl_b64 s[8:9], s[8:9], 1
	v_addc_co_u32_e32 v37, vcc, v1, v28, vcc
	s_cmpk_lt_u32 s33, 0x1a01
	v_add_co_u32_e32 v38, vcc, s8, v0
	s_cselect_b32 s8, s2, 0x680
	v_mov_b32_e32 v28, s9
	s_ashr_i32 s9, s8, 31
	s_lshl_b64 s[8:9], s[8:9], 1
	v_addc_co_u32_e32 v39, vcc, v1, v28, vcc
	s_cmpk_lt_u32 s33, 0x1b01
	;; [unrolled: 7-line block ×6, first 2 shown]
	v_add_co_u32_e32 v48, vcc, s8, v0
	s_cselect_b32 s8, s2, 0x7c0
	v_mov_b32_e32 v28, s9
	s_ashr_i32 s9, s8, 31
	v_addc_co_u32_e32 v49, vcc, v1, v28, vcc
	s_lshl_b64 s[8:9], s[8:9], 1
	v_mov_b32_e32 v28, s9
	v_add_co_u32_e32 v50, vcc, s8, v0
	v_addc_co_u32_e32 v51, vcc, v1, v28, vcc
	global_load_ushort v35, v[36:37], off
	global_load_ushort v34, v[38:39], off
	;; [unrolled: 1-line block ×8, first 2 shown]
	s_cmpk_lt_u32 s33, 0x2001
	v_mov_b32_e32 v67, 0
	v_mov_b32_e32 v66, 0
	;; [unrolled: 1-line block ×32, first 2 shown]
	s_cbranch_scc1 .LBB18_12
; %bb.11:
	s_cmpk_lt_u32 s33, 0x2101
	s_cselect_b32 s8, s2, 0x840
	s_ashr_i32 s9, s8, 31
	v_add_co_u32_e32 v36, vcc, 0x1000, v0
	s_lshl_b64 s[8:9], s[8:9], 1
	v_addc_co_u32_e32 v37, vcc, 0, v1, vcc
	s_cmpk_lt_u32 s33, 0x2201
	v_add_co_u32_e32 v38, vcc, s8, v0
	s_cselect_b32 s8, s2, 0x880
	v_mov_b32_e32 v39, s9
	s_ashr_i32 s9, s8, 31
	s_lshl_b64 s[8:9], s[8:9], 1
	v_addc_co_u32_e32 v39, vcc, v1, v39, vcc
	s_cmpk_lt_u32 s33, 0x2301
	v_add_co_u32_e32 v40, vcc, s8, v0
	s_cselect_b32 s8, s2, 0x8c0
	v_mov_b32_e32 v41, s9
	s_ashr_i32 s9, s8, 31
	s_lshl_b64 s[8:9], s[8:9], 1
	v_addc_co_u32_e32 v41, vcc, v1, v41, vcc
	s_cmpk_lt_u32 s33, 0x2401
	v_add_co_u32_e32 v42, vcc, s8, v0
	s_cselect_b32 s8, s2, 0x900
	v_mov_b32_e32 v43, s9
	s_ashr_i32 s9, s8, 31
	s_lshl_b64 s[8:9], s[8:9], 1
	v_addc_co_u32_e32 v43, vcc, v1, v43, vcc
	s_cmpk_lt_u32 s33, 0x2501
	v_add_co_u32_e32 v44, vcc, s8, v0
	s_cselect_b32 s8, s2, 0x940
	v_mov_b32_e32 v45, s9
	s_ashr_i32 s9, s8, 31
	s_lshl_b64 s[8:9], s[8:9], 1
	v_addc_co_u32_e32 v45, vcc, v1, v45, vcc
	s_cmpk_lt_u32 s33, 0x2601
	v_add_co_u32_e32 v46, vcc, s8, v0
	s_cselect_b32 s8, s2, 0x980
	v_mov_b32_e32 v47, s9
	s_ashr_i32 s9, s8, 31
	s_lshl_b64 s[8:9], s[8:9], 1
	v_addc_co_u32_e32 v47, vcc, v1, v47, vcc
	s_cmpk_lt_u32 s33, 0x2701
	v_add_co_u32_e32 v48, vcc, s8, v0
	s_cselect_b32 s8, s2, 0x9c0
	v_mov_b32_e32 v49, s9
	s_ashr_i32 s9, s8, 31
	s_lshl_b64 s[8:9], s[8:9], 1
	v_addc_co_u32_e32 v49, vcc, v1, v49, vcc
	s_cmpk_lt_u32 s33, 0x2801
	v_add_co_u32_e32 v50, vcc, s8, v0
	s_cselect_b32 s8, s2, 0xa00
	v_mov_b32_e32 v51, s9
	s_ashr_i32 s9, s8, 31
	s_lshl_b64 s[8:9], s[8:9], 1
	v_addc_co_u32_e32 v51, vcc, v1, v51, vcc
	s_cmpk_lt_u32 s33, 0x2901
	global_load_ushort v52, v[36:37], off
	global_load_ushort v53, v[38:39], off
	global_load_ushort v54, v[40:41], off
	global_load_ushort v55, v[42:43], off
	global_load_ushort v56, v[44:45], off
	global_load_ushort v57, v[46:47], off
	global_load_ushort v58, v[48:49], off
	global_load_ushort v59, v[50:51], off
	v_add_co_u32_e32 v36, vcc, s8, v0
	s_cselect_b32 s8, s2, 0xa40
	v_mov_b32_e32 v37, s9
	s_ashr_i32 s9, s8, 31
	s_lshl_b64 s[8:9], s[8:9], 1
	v_addc_co_u32_e32 v37, vcc, v1, v37, vcc
	s_cmpk_lt_u32 s33, 0x2a01
	v_add_co_u32_e32 v38, vcc, s8, v0
	s_cselect_b32 s8, s2, 0xa80
	v_mov_b32_e32 v39, s9
	s_ashr_i32 s9, s8, 31
	s_lshl_b64 s[8:9], s[8:9], 1
	v_addc_co_u32_e32 v39, vcc, v1, v39, vcc
	s_cmpk_lt_u32 s33, 0x2b01
	v_add_co_u32_e32 v40, vcc, s8, v0
	s_cselect_b32 s8, s2, 0xac0
	v_mov_b32_e32 v41, s9
	s_ashr_i32 s9, s8, 31
	s_lshl_b64 s[8:9], s[8:9], 1
	v_addc_co_u32_e32 v41, vcc, v1, v41, vcc
	s_cmpk_lt_u32 s33, 0x2c01
	v_add_co_u32_e32 v42, vcc, s8, v0
	s_cselect_b32 s8, s2, 0xb00
	v_mov_b32_e32 v43, s9
	s_ashr_i32 s9, s8, 31
	s_lshl_b64 s[8:9], s[8:9], 1
	v_addc_co_u32_e32 v43, vcc, v1, v43, vcc
	s_cmpk_lt_u32 s33, 0x2d01
	v_add_co_u32_e32 v44, vcc, s8, v0
	s_cselect_b32 s8, s2, 0xb40
	v_mov_b32_e32 v45, s9
	s_ashr_i32 s9, s8, 31
	s_lshl_b64 s[8:9], s[8:9], 1
	v_addc_co_u32_e32 v45, vcc, v1, v45, vcc
	s_cmpk_lt_u32 s33, 0x2e01
	v_add_co_u32_e32 v46, vcc, s8, v0
	s_cselect_b32 s8, s2, 0xb80
	v_mov_b32_e32 v47, s9
	s_ashr_i32 s9, s8, 31
	s_lshl_b64 s[8:9], s[8:9], 1
	v_addc_co_u32_e32 v47, vcc, v1, v47, vcc
	s_cmpk_lt_u32 s33, 0x2f01
	v_add_co_u32_e32 v48, vcc, s8, v0
	s_cselect_b32 s8, s2, 0xbc0
	v_mov_b32_e32 v49, s9
	s_ashr_i32 s9, s8, 31
	s_lshl_b64 s[8:9], s[8:9], 1
	v_addc_co_u32_e32 v49, vcc, v1, v49, vcc
	s_cmpk_lt_u32 s33, 0x3001
	v_add_co_u32_e32 v50, vcc, s8, v0
	s_cselect_b32 s8, s2, 0xc00
	v_mov_b32_e32 v51, s9
	s_ashr_i32 s9, s8, 31
	s_lshl_b64 s[8:9], s[8:9], 1
	v_addc_co_u32_e32 v51, vcc, v1, v51, vcc
	s_cmpk_lt_u32 s33, 0x3101
	global_load_ushort v68, v[36:37], off
	global_load_ushort v69, v[38:39], off
	global_load_ushort v70, v[40:41], off
	global_load_ushort v71, v[42:43], off
	global_load_ushort v72, v[44:45], off
	global_load_ushort v73, v[46:47], off
	global_load_ushort v74, v[48:49], off
	global_load_ushort v75, v[50:51], off
	v_add_co_u32_e32 v36, vcc, s8, v0
	s_cselect_b32 s8, s2, 0xc40
	v_mov_b32_e32 v37, s9
	s_ashr_i32 s9, s8, 31
	;; [unrolled: 64-line block ×3, first 2 shown]
	s_lshl_b64 s[8:9], s[8:9], 1
	v_addc_co_u32_e32 v37, vcc, v1, v37, vcc
	s_cmpk_lt_u32 s33, 0x3a01
	v_add_co_u32_e32 v38, vcc, s8, v0
	s_cselect_b32 s8, s2, 0xe80
	v_mov_b32_e32 v39, s9
	s_ashr_i32 s9, s8, 31
	s_lshl_b64 s[8:9], s[8:9], 1
	v_addc_co_u32_e32 v39, vcc, v1, v39, vcc
	s_cmpk_lt_u32 s33, 0x3b01
	v_add_co_u32_e32 v40, vcc, s8, v0
	s_cselect_b32 s8, s2, 0xec0
	v_mov_b32_e32 v41, s9
	s_ashr_i32 s9, s8, 31
	;; [unrolled: 7-line block ×6, first 2 shown]
	v_addc_co_u32_e32 v49, vcc, v1, v49, vcc
	s_lshl_b64 s[8:9], s[8:9], 1
	v_mov_b32_e32 v51, s9
	v_add_co_u32_e32 v50, vcc, s8, v0
	v_addc_co_u32_e32 v51, vcc, v1, v51, vcc
	global_load_ushort v84, v[36:37], off
	global_load_ushort v85, v[38:39], off
	;; [unrolled: 1-line block ×8, first 2 shown]
	s_waitcnt vmcnt(31)
	v_cvt_f32_f16_e32 v67, v52
	s_waitcnt vmcnt(30)
	v_cvt_f32_f16_e32 v66, v53
	;; [unrolled: 2-line block ×32, first 2 shown]
.LBB18_12:
	ds_read_b128 v[68:71], v3
	ds_read_b128 v[72:75], v3 offset:16
	ds_read_b128 v[76:79], v3 offset:32
	;; [unrolled: 1-line block ×3, first 2 shown]
	s_andn2_b64 vcc, exec, s[0:1]
	s_waitcnt vmcnt(15) lgkmcnt(3)
	v_fma_mix_f32 v4, v68, v4, 0 op_sel_hi:[0,1,0]
	s_waitcnt vmcnt(14)
	v_fma_mix_f32 v4, v69, v5, v4 op_sel_hi:[0,1,0]
	s_waitcnt vmcnt(13)
	v_fma_mix_f32 v4, v70, v6, v4 op_sel_hi:[0,1,0]
	s_waitcnt vmcnt(12)
	v_fma_mix_f32 v4, v71, v7, v4 op_sel_hi:[0,1,0]
	s_waitcnt vmcnt(11) lgkmcnt(2)
	v_fma_mix_f32 v4, v72, v8, v4 op_sel_hi:[0,1,0]
	s_waitcnt vmcnt(10)
	v_fma_mix_f32 v4, v73, v9, v4 op_sel_hi:[0,1,0]
	s_waitcnt vmcnt(9)
	v_fma_mix_f32 v4, v74, v10, v4 op_sel_hi:[0,1,0]
	s_waitcnt vmcnt(8)
	v_fma_mix_f32 v4, v75, v11, v4 op_sel_hi:[0,1,0]
	;; [unrolled: 8-line block ×4, first 2 shown]
	s_cbranch_vccnz .LBB18_15
; %bb.13:
	ds_read_b128 v[6:9], v3 offset:64
	ds_read_b128 v[10:13], v3 offset:80
	;; [unrolled: 1-line block ×4, first 2 shown]
	s_cmpk_lt_u32 s33, 0x2001
	s_waitcnt lgkmcnt(3)
	v_fma_mix_f32 v3, v6, v27, v4 op_sel_hi:[0,1,0]
	v_fma_mix_f32 v3, v7, v26, v3 op_sel_hi:[0,1,0]
	v_fma_mix_f32 v3, v8, v25, v3 op_sel_hi:[0,1,0]
	v_fma_mix_f32 v3, v9, v24, v3 op_sel_hi:[0,1,0]
	s_waitcnt lgkmcnt(2)
	v_fma_mix_f32 v3, v10, v23, v3 op_sel_hi:[0,1,0]
	v_fma_mix_f32 v3, v11, v22, v3 op_sel_hi:[0,1,0]
	v_fma_mix_f32 v3, v12, v20, v3 op_sel_hi:[0,1,0]
	v_fma_mix_f32 v3, v13, v21, v3 op_sel_hi:[0,1,0]
	;; [unrolled: 5-line block ×4, first 2 shown]
	s_cbranch_scc1 .LBB18_15
; %bb.14:
	v_mov_b32_e32 v3, 0
	ds_read_b128 v[6:9], v3 offset:128
	ds_read_b128 v[10:13], v3 offset:144
	;; [unrolled: 1-line block ×4, first 2 shown]
	s_waitcnt lgkmcnt(3)
	v_fmac_f32_e32 v4, v6, v67
	v_fmac_f32_e32 v4, v7, v66
	v_fmac_f32_e32 v4, v8, v65
	v_fmac_f32_e32 v4, v9, v64
	s_waitcnt lgkmcnt(2)
	v_fmac_f32_e32 v4, v10, v63
	v_fmac_f32_e32 v4, v11, v62
	v_fmac_f32_e32 v4, v12, v61
	v_fmac_f32_e32 v4, v13, v60
	;; [unrolled: 5-line block ×3, first 2 shown]
	ds_read_b128 v[6:9], v3 offset:192
	ds_read_b128 v[10:13], v3 offset:208
	s_waitcnt lgkmcnt(2)
	v_fmac_f32_e32 v4, v18, v55
	v_fmac_f32_e32 v4, v19, v54
	;; [unrolled: 1-line block ×4, first 2 shown]
	s_waitcnt lgkmcnt(1)
	v_fmac_f32_e32 v4, v6, v51
	v_fmac_f32_e32 v4, v7, v50
	;; [unrolled: 1-line block ×4, first 2 shown]
	ds_read_b128 v[6:9], v3 offset:224
	s_waitcnt lgkmcnt(1)
	v_fmac_f32_e32 v4, v10, v47
	v_fmac_f32_e32 v4, v11, v46
	;; [unrolled: 1-line block ×4, first 2 shown]
	ds_read_b128 v[10:13], v3 offset:240
	s_waitcnt lgkmcnt(1)
	v_fmac_f32_e32 v4, v6, v43
	v_fmac_f32_e32 v4, v7, v42
	;; [unrolled: 1-line block ×4, first 2 shown]
	s_waitcnt lgkmcnt(0)
	v_fmac_f32_e32 v4, v10, v39
	v_fmac_f32_e32 v4, v11, v38
	;; [unrolled: 1-line block ×4, first 2 shown]
.LBB18_15:
	s_cmpk_lt_i32 s33, 0x4001
	s_cbranch_scc1 .LBB18_17
; %bb.16:
	s_cmpk_lt_i32 s33, 0x4101
	s_cselect_b32 s0, s2, 0x1040
	s_ashr_i32 s1, s0, 31
	v_add_co_u32_e32 v12, vcc, 0x2000, v0
	s_lshl_b64 s[0:1], s[0:1], 1
	v_addc_co_u32_e32 v13, vcc, 0, v1, vcc
	s_cmpk_lt_i32 s33, 0x4201
	v_add_co_u32_e32 v14, vcc, s0, v0
	s_cselect_b32 s0, s2, 0x1080
	v_mov_b32_e32 v3, s1
	s_ashr_i32 s1, s0, 31
	s_lshl_b64 s[0:1], s[0:1], 1
	v_addc_co_u32_e32 v15, vcc, v1, v3, vcc
	s_cmpk_lt_i32 s33, 0x4301
	v_add_co_u32_e32 v16, vcc, s0, v0
	s_cselect_b32 s0, s2, 0x10c0
	v_mov_b32_e32 v3, s1
	s_ashr_i32 s1, s0, 31
	s_lshl_b64 s[0:1], s[0:1], 1
	v_addc_co_u32_e32 v17, vcc, v1, v3, vcc
	s_cmpk_lt_i32 s33, 0x4401
	v_add_co_u32_e32 v18, vcc, s0, v0
	s_cselect_b32 s0, s2, 0x1100
	v_mov_b32_e32 v3, s1
	s_ashr_i32 s1, s0, 31
	s_lshl_b64 s[0:1], s[0:1], 1
	v_addc_co_u32_e32 v19, vcc, v1, v3, vcc
	s_cmpk_lt_i32 s33, 0x4501
	v_add_co_u32_e32 v20, vcc, s0, v0
	s_cselect_b32 s0, s2, 0x1140
	v_mov_b32_e32 v3, s1
	s_ashr_i32 s1, s0, 31
	s_lshl_b64 s[0:1], s[0:1], 1
	v_addc_co_u32_e32 v21, vcc, v1, v3, vcc
	s_cmpk_lt_i32 s33, 0x4601
	v_add_co_u32_e32 v22, vcc, s0, v0
	s_cselect_b32 s0, s2, 0x1180
	v_mov_b32_e32 v3, s1
	s_ashr_i32 s1, s0, 31
	s_lshl_b64 s[0:1], s[0:1], 1
	v_addc_co_u32_e32 v23, vcc, v1, v3, vcc
	s_cmpk_lt_i32 s33, 0x4701
	v_add_co_u32_e32 v24, vcc, s0, v0
	s_cselect_b32 s0, s2, 0x11c0
	v_mov_b32_e32 v3, s1
	s_ashr_i32 s1, s0, 31
	s_lshl_b64 s[0:1], s[0:1], 1
	v_addc_co_u32_e32 v25, vcc, v1, v3, vcc
	s_cmpk_lt_i32 s33, 0x4801
	v_add_co_u32_e32 v26, vcc, s0, v0
	s_cselect_b32 s0, s2, 0x1200
	v_mov_b32_e32 v3, s1
	s_ashr_i32 s1, s0, 31
	s_lshl_b64 s[0:1], s[0:1], 1
	v_addc_co_u32_e32 v27, vcc, v1, v3, vcc
	s_cmpk_lt_i32 s33, 0x4901
	global_load_ushort v3, v[12:13], off
	global_load_ushort v5, v[14:15], off
	global_load_ushort v6, v[16:17], off
	global_load_ushort v7, v[18:19], off
	global_load_ushort v8, v[20:21], off
	global_load_ushort v9, v[22:23], off
	global_load_ushort v10, v[24:25], off
	global_load_ushort v11, v[26:27], off
	v_add_co_u32_e32 v20, vcc, s0, v0
	s_cselect_b32 s0, s2, 0x1240
	v_mov_b32_e32 v12, s1
	s_ashr_i32 s1, s0, 31
	s_lshl_b64 s[0:1], s[0:1], 1
	v_addc_co_u32_e32 v21, vcc, v1, v12, vcc
	s_cmpk_lt_i32 s33, 0x4a01
	v_add_co_u32_e32 v22, vcc, s0, v0
	s_cselect_b32 s0, s2, 0x1280
	v_mov_b32_e32 v12, s1
	s_ashr_i32 s1, s0, 31
	s_lshl_b64 s[0:1], s[0:1], 1
	v_addc_co_u32_e32 v23, vcc, v1, v12, vcc
	s_cmpk_lt_i32 s33, 0x4b01
	v_add_co_u32_e32 v24, vcc, s0, v0
	s_cselect_b32 s0, s2, 0x12c0
	v_mov_b32_e32 v12, s1
	s_ashr_i32 s1, s0, 31
	s_lshl_b64 s[0:1], s[0:1], 1
	v_addc_co_u32_e32 v25, vcc, v1, v12, vcc
	s_cmpk_lt_i32 s33, 0x4c01
	v_add_co_u32_e32 v26, vcc, s0, v0
	s_cselect_b32 s0, s2, 0x1300
	v_mov_b32_e32 v12, s1
	s_ashr_i32 s1, s0, 31
	s_lshl_b64 s[0:1], s[0:1], 1
	v_addc_co_u32_e32 v27, vcc, v1, v12, vcc
	s_cmpk_lt_i32 s33, 0x4d01
	v_add_co_u32_e32 v28, vcc, s0, v0
	s_cselect_b32 s0, s2, 0x1340
	v_mov_b32_e32 v12, s1
	s_ashr_i32 s1, s0, 31
	s_lshl_b64 s[0:1], s[0:1], 1
	v_addc_co_u32_e32 v29, vcc, v1, v12, vcc
	s_cmpk_lt_i32 s33, 0x4e01
	v_add_co_u32_e32 v30, vcc, s0, v0
	s_cselect_b32 s0, s2, 0x1380
	v_mov_b32_e32 v12, s1
	s_ashr_i32 s1, s0, 31
	s_lshl_b64 s[0:1], s[0:1], 1
	v_addc_co_u32_e32 v31, vcc, v1, v12, vcc
	s_cmpk_lt_i32 s33, 0x4f01
	v_add_co_u32_e32 v32, vcc, s0, v0
	s_cselect_b32 s0, s2, 0x13c0
	v_mov_b32_e32 v12, s1
	s_ashr_i32 s1, s0, 31
	s_lshl_b64 s[0:1], s[0:1], 1
	v_addc_co_u32_e32 v33, vcc, v1, v12, vcc
	s_cmpk_lt_i32 s33, 0x5001
	v_add_co_u32_e32 v34, vcc, s0, v0
	s_cselect_b32 s0, s2, 0x1400
	v_mov_b32_e32 v12, s1
	s_ashr_i32 s1, s0, 31
	s_lshl_b64 s[0:1], s[0:1], 1
	v_addc_co_u32_e32 v35, vcc, v1, v12, vcc
	s_cmpk_lt_i32 s33, 0x5101
	global_load_ushort v15, v[20:21], off
	global_load_ushort v16, v[22:23], off
	global_load_ushort v17, v[24:25], off
	global_load_ushort v18, v[26:27], off
	global_load_ushort v19, v[28:29], off
	global_load_ushort v12, v[30:31], off
	global_load_ushort v13, v[32:33], off
	global_load_ushort v14, v[34:35], off
	v_add_co_u32_e32 v28, vcc, s0, v0
	s_cselect_b32 s0, s2, 0x1440
	v_mov_b32_e32 v20, s1
	s_ashr_i32 s1, s0, 31
	;; [unrolled: 64-line block ×7, first 2 shown]
	s_lshl_b64 s[0:1], s[0:1], 1
	v_addc_co_u32_e32 v37, vcc, v1, v37, vcc
	s_cmpk_lt_i32 s33, 0x7a01
	v_add_co_u32_e32 v38, vcc, s0, v0
	s_cselect_b32 s0, s2, 0x1e80
	v_mov_b32_e32 v39, s1
	s_ashr_i32 s1, s0, 31
	s_lshl_b64 s[0:1], s[0:1], 1
	v_addc_co_u32_e32 v39, vcc, v1, v39, vcc
	s_cmpk_lt_i32 s33, 0x7b01
	v_add_co_u32_e32 v40, vcc, s0, v0
	s_cselect_b32 s0, s2, 0x1ec0
	v_mov_b32_e32 v41, s1
	s_ashr_i32 s1, s0, 31
	;; [unrolled: 7-line block ×6, first 2 shown]
	v_addc_co_u32_e32 v49, vcc, v1, v49, vcc
	s_lshl_b64 s[0:1], s[0:1], 1
	v_mov_b32_e32 v51, s1
	v_add_co_u32_e32 v50, vcc, s0, v0
	v_addc_co_u32_e32 v51, vcc, v1, v51, vcc
	global_load_ushort v76, v[36:37], off
	global_load_ushort v77, v[38:39], off
	;; [unrolled: 1-line block ×8, first 2 shown]
	v_mov_b32_e32 v84, 0
	ds_read_b128 v[36:39], v84 offset:256
	ds_read_b128 v[40:43], v84 offset:272
	;; [unrolled: 1-line block ×4, first 2 shown]
	s_waitcnt vmcnt(62) lgkmcnt(3)
	v_fma_mix_f32 v3, v36, v3, v4 op_sel_hi:[0,1,0]
	v_fma_mix_f32 v3, v37, v5, v3 op_sel_hi:[0,1,0]
	s_waitcnt vmcnt(61)
	v_fma_mix_f32 v3, v38, v6, v3 op_sel_hi:[0,1,0]
	s_waitcnt vmcnt(60)
	v_fma_mix_f32 v3, v39, v7, v3 op_sel_hi:[0,1,0]
	s_waitcnt vmcnt(59) lgkmcnt(2)
	v_fma_mix_f32 v3, v40, v8, v3 op_sel_hi:[0,1,0]
	s_waitcnt vmcnt(58)
	v_fma_mix_f32 v3, v41, v9, v3 op_sel_hi:[0,1,0]
	s_waitcnt vmcnt(57)
	;; [unrolled: 2-line block ×3, first 2 shown]
	v_fma_mix_f32 v3, v43, v11, v3 op_sel_hi:[0,1,0]
	s_waitcnt vmcnt(55) lgkmcnt(1)
	v_fma_mix_f32 v3, v44, v15, v3 op_sel_hi:[0,1,0]
	s_waitcnt vmcnt(54)
	v_fma_mix_f32 v3, v45, v16, v3 op_sel_hi:[0,1,0]
	s_waitcnt vmcnt(53)
	;; [unrolled: 2-line block ×3, first 2 shown]
	v_fma_mix_f32 v3, v47, v18, v3 op_sel_hi:[0,1,0]
	ds_read_b128 v[4:7], v84 offset:320
	ds_read_b128 v[8:11], v84 offset:336
	s_waitcnt vmcnt(51) lgkmcnt(2)
	v_fma_mix_f32 v3, v48, v19, v3 op_sel_hi:[0,1,0]
	s_waitcnt vmcnt(50)
	v_fma_mix_f32 v3, v49, v12, v3 op_sel_hi:[0,1,0]
	s_waitcnt vmcnt(49)
	;; [unrolled: 2-line block ×3, first 2 shown]
	v_fma_mix_f32 v3, v51, v14, v3 op_sel_hi:[0,1,0]
	s_waitcnt vmcnt(47) lgkmcnt(1)
	v_fma_mix_f32 v3, v4, v23, v3 op_sel_hi:[0,1,0]
	s_waitcnt vmcnt(46)
	v_fma_mix_f32 v3, v5, v24, v3 op_sel_hi:[0,1,0]
	s_waitcnt vmcnt(45)
	v_fma_mix_f32 v3, v6, v25, v3 op_sel_hi:[0,1,0]
	s_waitcnt vmcnt(44)
	v_fma_mix_f32 v3, v7, v26, v3 op_sel_hi:[0,1,0]
	ds_read_b128 v[4:7], v84 offset:352
	s_waitcnt vmcnt(43) lgkmcnt(1)
	v_fma_mix_f32 v3, v8, v27, v3 op_sel_hi:[0,1,0]
	s_waitcnt vmcnt(42)
	v_fma_mix_f32 v3, v9, v20, v3 op_sel_hi:[0,1,0]
	s_waitcnt vmcnt(41)
	v_fma_mix_f32 v3, v10, v21, v3 op_sel_hi:[0,1,0]
	s_waitcnt vmcnt(40)
	v_fma_mix_f32 v3, v11, v22, v3 op_sel_hi:[0,1,0]
	ds_read_b128 v[8:11], v84 offset:368
	;; [unrolled: 9-line block ×10, first 2 shown]
	s_waitcnt vmcnt(7) lgkmcnt(1)
	v_fma_mix_f32 v3, v4, v76, v3 op_sel_hi:[0,1,0]
	s_waitcnt vmcnt(6)
	v_fma_mix_f32 v3, v5, v77, v3 op_sel_hi:[0,1,0]
	s_waitcnt vmcnt(5)
	;; [unrolled: 2-line block ×3, first 2 shown]
	v_fma_mix_f32 v3, v7, v79, v3 op_sel_hi:[0,1,0]
	s_waitcnt vmcnt(3) lgkmcnt(0)
	v_fma_mix_f32 v3, v8, v80, v3 op_sel_hi:[0,1,0]
	s_waitcnt vmcnt(2)
	v_fma_mix_f32 v3, v9, v81, v3 op_sel_hi:[0,1,0]
	s_waitcnt vmcnt(1)
	;; [unrolled: 2-line block ×3, first 2 shown]
	v_fma_mix_f32 v4, v11, v83, v3 op_sel_hi:[0,1,0]
.LBB18_17:
	s_load_dwordx2 s[0:1], s[4:5], 0x38
	s_cmp_lt_i32 s33, 0x8001
	s_cbranch_scc1 .LBB18_19
; %bb.18:
	s_cmp_lt_i32 s33, 0x8101
	s_cselect_b32 s8, s2, 0x2040
	s_ashr_i32 s9, s8, 31
	v_add_co_u32_e32 v12, vcc, 0x4000, v0
	s_lshl_b64 s[8:9], s[8:9], 1
	v_addc_co_u32_e32 v13, vcc, 0, v1, vcc
	s_cmp_lt_i32 s33, 0x8201
	v_add_co_u32_e32 v14, vcc, s8, v0
	s_cselect_b32 s8, s2, 0x2080
	v_mov_b32_e32 v3, s9
	s_ashr_i32 s9, s8, 31
	s_lshl_b64 s[8:9], s[8:9], 1
	v_addc_co_u32_e32 v15, vcc, v1, v3, vcc
	s_cmp_lt_i32 s33, 0x8301
	v_add_co_u32_e32 v16, vcc, s8, v0
	s_cselect_b32 s8, s2, 0x20c0
	v_mov_b32_e32 v3, s9
	s_ashr_i32 s9, s8, 31
	s_lshl_b64 s[8:9], s[8:9], 1
	v_addc_co_u32_e32 v17, vcc, v1, v3, vcc
	s_cmp_lt_i32 s33, 0x8401
	v_add_co_u32_e32 v18, vcc, s8, v0
	s_cselect_b32 s8, s2, 0x2100
	v_mov_b32_e32 v3, s9
	s_ashr_i32 s9, s8, 31
	s_lshl_b64 s[8:9], s[8:9], 1
	v_addc_co_u32_e32 v19, vcc, v1, v3, vcc
	s_cmp_lt_i32 s33, 0x8501
	v_add_co_u32_e32 v20, vcc, s8, v0
	s_cselect_b32 s8, s2, 0x2140
	v_mov_b32_e32 v3, s9
	s_ashr_i32 s9, s8, 31
	s_lshl_b64 s[8:9], s[8:9], 1
	v_addc_co_u32_e32 v21, vcc, v1, v3, vcc
	s_cmp_lt_i32 s33, 0x8601
	v_add_co_u32_e32 v22, vcc, s8, v0
	s_cselect_b32 s8, s2, 0x2180
	v_mov_b32_e32 v3, s9
	s_ashr_i32 s9, s8, 31
	s_lshl_b64 s[8:9], s[8:9], 1
	v_addc_co_u32_e32 v23, vcc, v1, v3, vcc
	s_cmp_lt_i32 s33, 0x8701
	v_add_co_u32_e32 v24, vcc, s8, v0
	s_cselect_b32 s8, s2, 0x21c0
	v_mov_b32_e32 v3, s9
	s_ashr_i32 s9, s8, 31
	s_lshl_b64 s[8:9], s[8:9], 1
	v_addc_co_u32_e32 v25, vcc, v1, v3, vcc
	s_cmp_lt_i32 s33, 0x8801
	v_add_co_u32_e32 v26, vcc, s8, v0
	s_cselect_b32 s8, s2, 0x2200
	v_mov_b32_e32 v3, s9
	s_ashr_i32 s9, s8, 31
	s_lshl_b64 s[8:9], s[8:9], 1
	v_addc_co_u32_e32 v27, vcc, v1, v3, vcc
	s_cmp_lt_i32 s33, 0x8901
	global_load_ushort v3, v[12:13], off
	global_load_ushort v5, v[14:15], off
	global_load_ushort v6, v[16:17], off
	global_load_ushort v7, v[18:19], off
	global_load_ushort v8, v[20:21], off
	global_load_ushort v9, v[22:23], off
	global_load_ushort v10, v[24:25], off
	global_load_ushort v11, v[26:27], off
	v_add_co_u32_e32 v20, vcc, s8, v0
	s_cselect_b32 s8, s2, 0x2240
	v_mov_b32_e32 v12, s9
	s_ashr_i32 s9, s8, 31
	s_lshl_b64 s[8:9], s[8:9], 1
	v_addc_co_u32_e32 v21, vcc, v1, v12, vcc
	s_cmp_lt_i32 s33, 0x8a01
	v_add_co_u32_e32 v22, vcc, s8, v0
	s_cselect_b32 s8, s2, 0x2280
	v_mov_b32_e32 v12, s9
	s_ashr_i32 s9, s8, 31
	s_lshl_b64 s[8:9], s[8:9], 1
	v_addc_co_u32_e32 v23, vcc, v1, v12, vcc
	s_cmp_lt_i32 s33, 0x8b01
	v_add_co_u32_e32 v24, vcc, s8, v0
	s_cselect_b32 s8, s2, 0x22c0
	v_mov_b32_e32 v12, s9
	s_ashr_i32 s9, s8, 31
	s_lshl_b64 s[8:9], s[8:9], 1
	v_addc_co_u32_e32 v25, vcc, v1, v12, vcc
	s_cmp_lt_i32 s33, 0x8c01
	v_add_co_u32_e32 v26, vcc, s8, v0
	s_cselect_b32 s8, s2, 0x2300
	v_mov_b32_e32 v12, s9
	s_ashr_i32 s9, s8, 31
	s_lshl_b64 s[8:9], s[8:9], 1
	v_addc_co_u32_e32 v27, vcc, v1, v12, vcc
	s_cmp_lt_i32 s33, 0x8d01
	v_add_co_u32_e32 v28, vcc, s8, v0
	s_cselect_b32 s8, s2, 0x2340
	v_mov_b32_e32 v12, s9
	s_ashr_i32 s9, s8, 31
	s_lshl_b64 s[8:9], s[8:9], 1
	v_addc_co_u32_e32 v29, vcc, v1, v12, vcc
	s_cmp_lt_i32 s33, 0x8e01
	v_add_co_u32_e32 v30, vcc, s8, v0
	s_cselect_b32 s8, s2, 0x2380
	v_mov_b32_e32 v12, s9
	s_ashr_i32 s9, s8, 31
	s_lshl_b64 s[8:9], s[8:9], 1
	v_addc_co_u32_e32 v31, vcc, v1, v12, vcc
	s_cmp_lt_i32 s33, 0x8f01
	v_add_co_u32_e32 v32, vcc, s8, v0
	s_cselect_b32 s8, s2, 0x23c0
	v_mov_b32_e32 v12, s9
	s_ashr_i32 s9, s8, 31
	s_lshl_b64 s[8:9], s[8:9], 1
	v_addc_co_u32_e32 v33, vcc, v1, v12, vcc
	s_cmp_lt_i32 s33, 0x9001
	v_add_co_u32_e32 v34, vcc, s8, v0
	s_cselect_b32 s8, s2, 0x2400
	v_mov_b32_e32 v12, s9
	s_ashr_i32 s9, s8, 31
	s_lshl_b64 s[8:9], s[8:9], 1
	v_addc_co_u32_e32 v35, vcc, v1, v12, vcc
	s_cmp_lt_i32 s33, 0x9101
	global_load_ushort v15, v[20:21], off
	global_load_ushort v16, v[22:23], off
	global_load_ushort v17, v[24:25], off
	global_load_ushort v18, v[26:27], off
	global_load_ushort v19, v[28:29], off
	global_load_ushort v12, v[30:31], off
	global_load_ushort v13, v[32:33], off
	global_load_ushort v14, v[34:35], off
	v_add_co_u32_e32 v28, vcc, s8, v0
	s_cselect_b32 s8, s2, 0x2440
	v_mov_b32_e32 v20, s9
	s_ashr_i32 s9, s8, 31
	;; [unrolled: 64-line block ×7, first 2 shown]
	s_lshl_b64 s[8:9], s[8:9], 1
	v_addc_co_u32_e32 v37, vcc, v1, v37, vcc
	s_cmp_lt_i32 s33, 0xba01
	v_add_co_u32_e32 v38, vcc, s8, v0
	s_cselect_b32 s8, s2, 0x2e80
	v_mov_b32_e32 v39, s9
	s_ashr_i32 s9, s8, 31
	s_lshl_b64 s[8:9], s[8:9], 1
	v_addc_co_u32_e32 v39, vcc, v1, v39, vcc
	s_cmp_lt_i32 s33, 0xbb01
	v_add_co_u32_e32 v40, vcc, s8, v0
	s_cselect_b32 s8, s2, 0x2ec0
	v_mov_b32_e32 v41, s9
	s_ashr_i32 s9, s8, 31
	;; [unrolled: 7-line block ×5, first 2 shown]
	s_lshl_b64 s[8:9], s[8:9], 1
	s_cmp_lt_i32 s33, 0xbf01
	v_addc_co_u32_e32 v47, vcc, v1, v47, vcc
	s_cselect_b32 s2, s2, 0x2fc0
	v_mov_b32_e32 v49, s9
	v_add_co_u32_e32 v48, vcc, s8, v0
	s_ashr_i32 s3, s2, 31
	v_addc_co_u32_e32 v49, vcc, v1, v49, vcc
	s_lshl_b64 s[2:3], s[2:3], 1
	v_mov_b32_e32 v50, s3
	v_add_co_u32_e32 v0, vcc, s2, v0
	v_addc_co_u32_e32 v1, vcc, v1, v50, vcc
	global_load_ushort v76, v[36:37], off
	global_load_ushort v77, v[38:39], off
	;; [unrolled: 1-line block ×8, first 2 shown]
	v_mov_b32_e32 v0, 0
	ds_read_b128 v[36:39], v0 offset:512
	ds_read_b128 v[40:43], v0 offset:528
	;; [unrolled: 1-line block ×4, first 2 shown]
	s_waitcnt vmcnt(62) lgkmcnt(0)
	v_fma_mix_f32 v1, v36, v3, v4 op_sel_hi:[0,1,0]
	v_fma_mix_f32 v1, v37, v5, v1 op_sel_hi:[0,1,0]
	s_waitcnt vmcnt(61)
	v_fma_mix_f32 v1, v38, v6, v1 op_sel_hi:[0,1,0]
	s_waitcnt vmcnt(60)
	v_fma_mix_f32 v1, v39, v7, v1 op_sel_hi:[0,1,0]
	s_waitcnt vmcnt(59)
	v_fma_mix_f32 v1, v40, v8, v1 op_sel_hi:[0,1,0]
	s_waitcnt vmcnt(58)
	v_fma_mix_f32 v1, v41, v9, v1 op_sel_hi:[0,1,0]
	s_waitcnt vmcnt(57)
	v_fma_mix_f32 v1, v42, v10, v1 op_sel_hi:[0,1,0]
	s_waitcnt vmcnt(56)
	v_fma_mix_f32 v1, v43, v11, v1 op_sel_hi:[0,1,0]
	s_waitcnt vmcnt(55)
	v_fma_mix_f32 v1, v44, v15, v1 op_sel_hi:[0,1,0]
	s_waitcnt vmcnt(54)
	v_fma_mix_f32 v1, v45, v16, v1 op_sel_hi:[0,1,0]
	s_waitcnt vmcnt(53)
	v_fma_mix_f32 v1, v46, v17, v1 op_sel_hi:[0,1,0]
	s_waitcnt vmcnt(52)
	v_fma_mix_f32 v1, v47, v18, v1 op_sel_hi:[0,1,0]
	ds_read_b128 v[4:7], v0 offset:576
	ds_read_b128 v[8:11], v0 offset:592
	s_waitcnt vmcnt(51)
	v_fma_mix_f32 v1, v48, v19, v1 op_sel_hi:[0,1,0]
	s_waitcnt vmcnt(50)
	v_fma_mix_f32 v1, v49, v12, v1 op_sel_hi:[0,1,0]
	;; [unrolled: 2-line block ×4, first 2 shown]
	s_waitcnt vmcnt(47) lgkmcnt(1)
	v_fma_mix_f32 v1, v4, v23, v1 op_sel_hi:[0,1,0]
	s_waitcnt vmcnt(46)
	v_fma_mix_f32 v1, v5, v24, v1 op_sel_hi:[0,1,0]
	s_waitcnt vmcnt(45)
	v_fma_mix_f32 v1, v6, v25, v1 op_sel_hi:[0,1,0]
	s_waitcnt vmcnt(44)
	v_fma_mix_f32 v1, v7, v26, v1 op_sel_hi:[0,1,0]
	ds_read_b128 v[4:7], v0 offset:608
	s_waitcnt vmcnt(43) lgkmcnt(1)
	v_fma_mix_f32 v1, v8, v27, v1 op_sel_hi:[0,1,0]
	s_waitcnt vmcnt(42)
	v_fma_mix_f32 v1, v9, v20, v1 op_sel_hi:[0,1,0]
	s_waitcnt vmcnt(41)
	v_fma_mix_f32 v1, v10, v21, v1 op_sel_hi:[0,1,0]
	s_waitcnt vmcnt(40)
	v_fma_mix_f32 v1, v11, v22, v1 op_sel_hi:[0,1,0]
	ds_read_b128 v[8:11], v0 offset:624
	;; [unrolled: 9-line block ×10, first 2 shown]
	s_waitcnt vmcnt(7) lgkmcnt(1)
	v_fma_mix_f32 v0, v4, v76, v1 op_sel_hi:[0,1,0]
	s_waitcnt vmcnt(6)
	v_fma_mix_f32 v0, v5, v77, v0 op_sel_hi:[0,1,0]
	s_waitcnt vmcnt(5)
	;; [unrolled: 2-line block ×3, first 2 shown]
	v_fma_mix_f32 v0, v7, v79, v0 op_sel_hi:[0,1,0]
	s_waitcnt vmcnt(3) lgkmcnt(0)
	v_fma_mix_f32 v0, v8, v80, v0 op_sel_hi:[0,1,0]
	s_waitcnt vmcnt(2)
	v_fma_mix_f32 v0, v9, v81, v0 op_sel_hi:[0,1,0]
	s_waitcnt vmcnt(1)
	;; [unrolled: 2-line block ×3, first 2 shown]
	v_fma_mix_f32 v4, v11, v83, v0 op_sel_hi:[0,1,0]
.LBB18_19:
	v_mov_b32_e32 v0, 0
	s_load_dwordx2 s[2:3], s[4:5], 0x0
	ds_read_b32 v1, v0 offset:768
	s_waitcnt lgkmcnt(0)
	s_cmp_eq_u64 s[0:1], 0
	s_cbranch_scc1 .LBB18_24
; %bb.20:
	s_load_dword s4, s[0:1], 0x0
	s_waitcnt lgkmcnt(0)
	v_div_scale_f32 v0, s[0:1], s4, s4, 1.0
	v_rcp_f32_e32 v3, v0
	v_div_scale_f32 v5, vcc, 1.0, s4, 1.0
	v_fma_f32 v6, -v0, v3, 1.0
	v_fmac_f32_e32 v3, v6, v3
	v_mul_f32_e32 v6, v5, v3
	v_fma_f32 v7, -v0, v6, v5
	v_fmac_f32_e32 v6, v7, v3
	v_fma_f32 v0, -v0, v6, v5
	v_div_fmas_f32 v0, v0, v3, v6
	v_div_fixup_f32 v0, v0, s4, 1.0
	s_andn2_b64 vcc, exec, s[22:23]
	s_cbranch_vccnz .LBB18_22
.LBB18_21:
	s_add_u32 s0, s20, s24
	s_addc_u32 s1, s21, s25
	s_load_dword s10, s[0:1], 0x0
	s_mov_b32 s11, 0
.LBB18_22:
	v_add_f32_e32 v1, 0x358637bd, v1
	v_div_scale_f32 v3, s[0:1], v1, v1, 1.0
	v_rcp_f32_e32 v5, v3
	v_div_scale_f32 v6, vcc, 1.0, v1, 1.0
	s_mul_i32 s0, s7, s11
	v_fma_f32 v7, -v3, v5, 1.0
	v_fmac_f32_e32 v5, v7, v5
	v_mul_f32_e32 v7, v6, v5
	v_fma_f32 v8, -v3, v7, v6
	s_waitcnt lgkmcnt(0)
	s_mul_hi_u32 s1, s7, s10
	v_fmac_f32_e32 v7, v8, v5
	s_add_i32 s1, s1, s0
	s_mul_i32 s0, s7, s10
	v_fma_f32 v3, -v3, v7, v6
	s_lshl_b64 s[0:1], s[0:1], 7
	v_div_fmas_f32 v3, v3, v5, v7
	s_add_u32 s2, s2, s0
	s_mov_b32 s7, 0
	v_div_fixup_f32 v1, v3, v1, 1.0
	s_addc_u32 s3, s3, s1
	s_lshl_b64 s[0:1], s[6:7], 7
	v_mul_f32_e32 v1, v4, v1
	s_add_u32 s0, s2, s0
	s_addc_u32 s1, s3, s1
	v_fma_mixlo_f16 v0, v1, v0, 0
	global_store_short v2, v0, s[0:1]
	s_endpgm
.LBB18_23:
	s_mov_b64 s[2:3], 0
	s_branch .LBB18_2
.LBB18_24:
	v_mov_b32_e32 v0, 1.0
	s_andn2_b64 vcc, exec, s[22:23]
	s_cbranch_vccz .LBB18_21
	s_branch .LBB18_22
	.section	.rodata,"a",@progbits
	.p2align	6, 0x0
	.amdhsa_kernel _Z35paged_attention_ll4mi_reduce_kernelIDF16_DF16_Li64ELi64ELi256ELi3EEvPT0_PKfS3_PKT_PKiS8_iS3_
		.amdhsa_group_segment_fixed_size 772
		.amdhsa_private_segment_fixed_size 0
		.amdhsa_kernarg_size 320
		.amdhsa_user_sgpr_count 6
		.amdhsa_user_sgpr_private_segment_buffer 1
		.amdhsa_user_sgpr_dispatch_ptr 0
		.amdhsa_user_sgpr_queue_ptr 0
		.amdhsa_user_sgpr_kernarg_segment_ptr 1
		.amdhsa_user_sgpr_dispatch_id 0
		.amdhsa_user_sgpr_flat_scratch_init 0
		.amdhsa_user_sgpr_kernarg_preload_length 0
		.amdhsa_user_sgpr_kernarg_preload_offset 0
		.amdhsa_user_sgpr_private_segment_size 0
		.amdhsa_uses_dynamic_stack 0
		.amdhsa_system_sgpr_private_segment_wavefront_offset 0
		.amdhsa_system_sgpr_workgroup_id_x 1
		.amdhsa_system_sgpr_workgroup_id_y 1
		.amdhsa_system_sgpr_workgroup_id_z 0
		.amdhsa_system_sgpr_workgroup_info 0
		.amdhsa_system_vgpr_workitem_id 0
		.amdhsa_next_free_vgpr 92
		.amdhsa_next_free_sgpr 35
		.amdhsa_accum_offset 92
		.amdhsa_reserve_vcc 1
		.amdhsa_reserve_flat_scratch 0
		.amdhsa_float_round_mode_32 0
		.amdhsa_float_round_mode_16_64 0
		.amdhsa_float_denorm_mode_32 3
		.amdhsa_float_denorm_mode_16_64 3
		.amdhsa_dx10_clamp 1
		.amdhsa_ieee_mode 1
		.amdhsa_fp16_overflow 0
		.amdhsa_tg_split 0
		.amdhsa_exception_fp_ieee_invalid_op 0
		.amdhsa_exception_fp_denorm_src 0
		.amdhsa_exception_fp_ieee_div_zero 0
		.amdhsa_exception_fp_ieee_overflow 0
		.amdhsa_exception_fp_ieee_underflow 0
		.amdhsa_exception_fp_ieee_inexact 0
		.amdhsa_exception_int_div_zero 0
	.end_amdhsa_kernel
	.section	.text._Z35paged_attention_ll4mi_reduce_kernelIDF16_DF16_Li64ELi64ELi256ELi3EEvPT0_PKfS3_PKT_PKiS8_iS3_,"axG",@progbits,_Z35paged_attention_ll4mi_reduce_kernelIDF16_DF16_Li64ELi64ELi256ELi3EEvPT0_PKfS3_PKT_PKiS8_iS3_,comdat
.Lfunc_end18:
	.size	_Z35paged_attention_ll4mi_reduce_kernelIDF16_DF16_Li64ELi64ELi256ELi3EEvPT0_PKfS3_PKT_PKiS8_iS3_, .Lfunc_end18-_Z35paged_attention_ll4mi_reduce_kernelIDF16_DF16_Li64ELi64ELi256ELi3EEvPT0_PKfS3_PKT_PKiS8_iS3_
                                        ; -- End function
	.section	.AMDGPU.csdata,"",@progbits
; Kernel info:
; codeLenInByte = 12656
; NumSgprs: 39
; NumVgprs: 92
; NumAgprs: 0
; TotalNumVgprs: 92
; ScratchSize: 0
; MemoryBound: 0
; FloatMode: 240
; IeeeMode: 1
; LDSByteSize: 772 bytes/workgroup (compile time only)
; SGPRBlocks: 4
; VGPRBlocks: 11
; NumSGPRsForWavesPerEU: 39
; NumVGPRsForWavesPerEU: 92
; AccumOffset: 92
; Occupancy: 5
; WaveLimiterHint : 1
; COMPUTE_PGM_RSRC2:SCRATCH_EN: 0
; COMPUTE_PGM_RSRC2:USER_SGPR: 6
; COMPUTE_PGM_RSRC2:TRAP_HANDLER: 0
; COMPUTE_PGM_RSRC2:TGID_X_EN: 1
; COMPUTE_PGM_RSRC2:TGID_Y_EN: 1
; COMPUTE_PGM_RSRC2:TGID_Z_EN: 0
; COMPUTE_PGM_RSRC2:TIDIG_COMP_CNT: 0
; COMPUTE_PGM_RSRC3_GFX90A:ACCUM_OFFSET: 22
; COMPUTE_PGM_RSRC3_GFX90A:TG_SPLIT: 0
	.section	.text._Z35paged_attention_ll4mi_reduce_kernelIDF16_DF16_Li64ELi64ELi256ELi4EEvPT0_PKfS3_PKT_PKiS8_iS3_,"axG",@progbits,_Z35paged_attention_ll4mi_reduce_kernelIDF16_DF16_Li64ELi64ELi256ELi4EEvPT0_PKfS3_PKT_PKiS8_iS3_,comdat
	.protected	_Z35paged_attention_ll4mi_reduce_kernelIDF16_DF16_Li64ELi64ELi256ELi4EEvPT0_PKfS3_PKT_PKiS8_iS3_ ; -- Begin function _Z35paged_attention_ll4mi_reduce_kernelIDF16_DF16_Li64ELi64ELi256ELi4EEvPT0_PKfS3_PKT_PKiS8_iS3_
	.globl	_Z35paged_attention_ll4mi_reduce_kernelIDF16_DF16_Li64ELi64ELi256ELi4EEvPT0_PKfS3_PKT_PKiS8_iS3_
	.p2align	8
	.type	_Z35paged_attention_ll4mi_reduce_kernelIDF16_DF16_Li64ELi64ELi256ELi4EEvPT0_PKfS3_PKT_PKiS8_iS3_,@function
_Z35paged_attention_ll4mi_reduce_kernelIDF16_DF16_Li64ELi64ELi256ELi4EEvPT0_PKfS3_PKT_PKiS8_iS3_: ; @_Z35paged_attention_ll4mi_reduce_kernelIDF16_DF16_Li64ELi64ELi256ELi4EEvPT0_PKfS3_PKT_PKiS8_iS3_
; %bb.0:
	s_load_dwordx2 s[22:23], s[4:5], 0x28
	s_mov_b32 s20, s7
	s_mov_b64 s[0:1], 0
	s_waitcnt lgkmcnt(0)
	s_cmp_lg_u64 s[22:23], 0
	s_cselect_b64 s[24:25], -1, 0
	s_and_b64 vcc, exec, s[24:25]
	s_cbranch_vccz .LBB19_23
; %bb.1:
	s_add_i32 s2, s20, 1
	s_mov_b32 s3, 0
	s_lshl_b64 s[8:9], s[2:3], 2
	s_add_u32 s8, s22, s8
	s_mov_b32 s21, s3
	s_addc_u32 s9, s23, s9
	s_lshl_b64 s[2:3], s[20:21], 2
	s_add_u32 s2, s22, s2
	s_addc_u32 s3, s23, s3
	s_load_dword s7, s[8:9], 0x0
	s_load_dword s10, s[2:3], 0x0
	s_waitcnt lgkmcnt(0)
	s_sub_i32 s2, s7, s10
	s_cmp_eq_u32 s2, 1
	s_cselect_b64 s[2:3], -1, 0
	s_andn2_b64 vcc, exec, s[0:1]
	s_cbranch_vccnz .LBB19_3
.LBB19_2:
	s_mov_b32 s21, 0
	s_mov_b64 s[2:3], -1
.LBB19_3:
	s_andn2_b64 vcc, exec, s[2:3]
	s_cbranch_vccz .LBB19_5
; %bb.4:
	s_endpgm
.LBB19_5:
	s_load_dwordx4 s[12:15], s[4:5], 0x18
	s_load_dword s8, s[4:5], 0x30
	s_lshl_b64 s[26:27], s[20:21], 2
	v_cmp_lt_u32_e32 vcc, 63, v0
	s_waitcnt lgkmcnt(0)
	s_add_u32 s0, s14, s26
	s_addc_u32 s1, s15, s27
	s_load_dword s36, s[0:1], 0x0
	s_load_dword s7, s[4:5], 0x40
	s_mul_i32 s14, s6, s8
	s_mul_i32 s2, s20, s8
	s_waitcnt lgkmcnt(0)
	s_add_i32 s3, s36, 0xff
	s_ashr_i32 s0, s3, 31
	s_lshr_b32 s0, s0, 24
	s_add_i32 s3, s3, s0
	s_and_saveexec_b64 s[0:1], vcc
	s_xor_b64 s[0:1], exec, s[0:1]
	s_or_saveexec_b64 s[28:29], s[0:1]
	s_ashr_i32 s33, s3, 8
	v_mov_b32_e32 v1, s14
	s_mul_i32 s30, s2, s7
	s_xor_b64 exec, exec, s[28:29]
	s_cbranch_execz .LBB19_9
; %bb.6:
	s_load_dwordx4 s[16:19], s[4:5], 0x8
	s_add_i32 s0, s33, -1
	v_or_b32_e32 v3, 64, v0
	v_mov_b32_e32 v1, s0
	v_cmp_gt_u32_e64 s[2:3], s33, v3
	s_mov_b32 s31, 0
	v_cndmask_b32_e64 v4, v1, v3, s[2:3]
	v_or_b32_e32 v3, 0x80, v0
	v_cmp_gt_u32_e64 s[0:1], s33, v3
	s_lshl_b64 s[34:35], s[30:31], 2
	s_mov_b32 s15, s31
	v_cmp_gt_u32_e64 s[8:9], s33, v0
	v_cndmask_b32_e64 v6, v1, v3, s[0:1]
	v_or_b32_e32 v3, 0xc0, v0
	s_waitcnt lgkmcnt(0)
	s_add_u32 s10, s18, s34
	v_cndmask_b32_e64 v2, v1, v0, s[8:9]
	v_cmp_gt_u32_e32 vcc, s33, v3
	s_addc_u32 s11, s19, s35
	s_lshl_b64 s[18:19], s[14:15], 2
	v_cndmask_b32_e32 v8, v1, v3, vcc
	s_add_u32 s15, s10, s18
	v_ashrrev_i32_e32 v3, 31, v2
	s_addc_u32 s31, s11, s19
	v_lshlrev_b64 v[2:3], 2, v[2:3]
	v_mov_b32_e32 v1, s31
	v_add_co_u32_e64 v10, s[10:11], s15, v2
	v_ashrrev_i32_e32 v5, 31, v4
	v_addc_co_u32_e64 v11, s[10:11], v1, v3, s[10:11]
	v_lshlrev_b64 v[4:5], 2, v[4:5]
	v_add_co_u32_e64 v12, s[10:11], s15, v4
	v_ashrrev_i32_e32 v7, 31, v6
	v_addc_co_u32_e64 v13, s[10:11], v1, v5, s[10:11]
	v_lshlrev_b64 v[6:7], 2, v[6:7]
	global_load_dword v1, v[10:11], off
	global_load_dword v14, v[12:13], off
	v_mov_b32_e32 v9, s31
	v_add_co_u32_e64 v10, s[10:11], s15, v6
	v_addc_co_u32_e64 v11, s[10:11], v9, v7, s[10:11]
	v_ashrrev_i32_e32 v9, 31, v8
	v_lshlrev_b64 v[8:9], 2, v[8:9]
	v_mov_b32_e32 v13, s31
	v_add_co_u32_e64 v12, s[10:11], s15, v8
	v_addc_co_u32_e64 v13, s[10:11], v13, v9, s[10:11]
	global_load_dword v15, v[10:11], off
	global_load_dword v16, v[12:13], off
	v_mbcnt_lo_u32_b32 v10, -1, 0
	v_mbcnt_hi_u32_b32 v10, -1, v10
	v_and_b32_e32 v11, 64, v10
	v_xor_b32_e32 v12, 32, v10
	v_add_u32_e32 v11, 64, v11
	v_xor_b32_e32 v13, 16, v10
	v_cmp_lt_i32_e64 s[10:11], v12, v11
	v_xor_b32_e32 v17, 8, v10
	v_cndmask_b32_e64 v12, v10, v12, s[10:11]
	v_cmp_lt_i32_e64 s[10:11], v13, v11
	v_xor_b32_e32 v18, 4, v10
	v_cndmask_b32_e64 v13, v10, v13, s[10:11]
	v_cmp_lt_i32_e64 s[10:11], v17, v11
	v_xor_b32_e32 v19, 2, v10
	v_cndmask_b32_e64 v17, v10, v17, s[10:11]
	v_cmp_lt_i32_e64 s[10:11], v18, v11
	v_cndmask_b32_e64 v18, v10, v18, s[10:11]
	v_cmp_lt_i32_e64 s[10:11], v19, v11
	v_cndmask_b32_e64 v19, v10, v19, s[10:11]
	s_add_u32 s10, s16, s34
	s_addc_u32 s11, s17, s35
	s_add_u32 s15, s10, s18
	s_addc_u32 s16, s11, s19
	v_mov_b32_e32 v21, s16
	v_add_co_u32_e64 v2, s[10:11], s15, v2
	v_addc_co_u32_e64 v3, s[10:11], v21, v3, s[10:11]
	global_load_dword v21, v[2:3], off
	v_lshlrev_b32_e32 v12, 2, v12
	v_mov_b32_e32 v3, s16
	v_lshlrev_b32_e32 v13, 2, v13
	v_xor_b32_e32 v20, 1, v10
	s_mov_b32 s17, 0x42b17218
	s_waitcnt vmcnt(4)
	v_max_f32_e32 v22, v1, v1
	s_waitcnt vmcnt(3)
	v_max_f32_e32 v2, v14, v14
	v_max_f32_e32 v2, v22, v2
	s_waitcnt vmcnt(1)
	v_max3_f32 v22, v2, v15, v16
	ds_bpermute_b32 v23, v12, v22
	v_add_co_u32_e64 v2, s[10:11], s15, v4
	v_addc_co_u32_e64 v3, s[10:11], v3, v5, s[10:11]
	global_load_dword v24, v[2:3], off
	s_waitcnt lgkmcnt(0)
	v_max_f32_e32 v2, v23, v23
	v_max_f32_e32 v2, v22, v2
	ds_bpermute_b32 v3, v13, v2
	v_cmp_lt_i32_e64 s[10:11], v20, v11
	v_cndmask_b32_e64 v4, v10, v20, s[10:11]
	v_lshlrev_b32_e32 v10, 2, v17
	v_lshlrev_b32_e32 v11, 2, v18
	s_waitcnt lgkmcnt(0)
	v_max_f32_e32 v3, v3, v3
	v_max_f32_e32 v2, v2, v3
	ds_bpermute_b32 v3, v10, v2
	v_lshlrev_b32_e32 v17, 2, v19
	v_lshlrev_b32_e32 v18, 2, v4
	v_mov_b32_e32 v4, s16
	v_mov_b32_e32 v5, s16
	s_waitcnt lgkmcnt(0)
	v_max_f32_e32 v3, v3, v3
	v_max_f32_e32 v19, v2, v3
	ds_bpermute_b32 v20, v11, v19
	v_add_co_u32_e64 v2, s[10:11], s15, v6
	v_addc_co_u32_e64 v3, s[10:11], v4, v7, s[10:11]
	s_waitcnt lgkmcnt(0)
	v_max_f32_e32 v4, v20, v20
	v_max_f32_e32 v6, v19, v4
	v_add_co_u32_e64 v4, s[10:11], s15, v8
	v_addc_co_u32_e64 v5, s[10:11], v5, v9, s[10:11]
	global_load_dword v8, v[2:3], off
	global_load_dword v9, v[4:5], off
	ds_bpermute_b32 v7, v17, v6
	s_mov_b32 s15, 0x3fb8aa3b
	s_mov_b32 s16, 0xc2ce8ed0
	s_waitcnt lgkmcnt(0)
	v_max_f32_e32 v2, v7, v7
	v_max_f32_e32 v2, v6, v2
	ds_bpermute_b32 v3, v18, v2
	s_waitcnt lgkmcnt(0)
	v_max_f32_e32 v3, v3, v3
	v_max_f32_e32 v2, v2, v3
	v_sub_f32_e32 v1, v1, v2
	v_mul_f32_e32 v3, 0x3fb8aa3b, v1
	v_fma_f32 v4, v1, s15, -v3
	v_rndne_f32_e32 v5, v3
	v_fmac_f32_e32 v4, 0x32a5705f, v1
	v_sub_f32_e32 v3, v3, v5
	v_add_f32_e32 v3, v3, v4
	v_cvt_i32_f32_e32 v5, v5
	v_exp_f32_e32 v3, v3
	v_cmp_ngt_f32_e64 s[10:11], s16, v1
	v_mov_b32_e32 v4, 0x7f800000
	v_ldexp_f32 v3, v3, v5
	v_sub_f32_e32 v5, v14, v2
	v_mul_f32_e32 v6, 0x3fb8aa3b, v5
	v_fma_f32 v7, v5, s15, -v6
	v_rndne_f32_e32 v14, v6
	v_fmac_f32_e32 v7, 0x32a5705f, v5
	v_sub_f32_e32 v6, v6, v14
	v_add_f32_e32 v6, v6, v7
	v_exp_f32_e32 v6, v6
	v_cvt_i32_f32_e32 v7, v14
	v_cndmask_b32_e64 v3, 0, v3, s[10:11]
	v_cmp_nlt_f32_e64 s[10:11], s17, v1
	v_cndmask_b32_e64 v1, v4, v3, s[10:11]
	v_ldexp_f32 v3, v6, v7
	v_sub_f32_e32 v6, v15, v2
	v_mul_f32_e32 v7, 0x3fb8aa3b, v6
	v_fma_f32 v14, v6, s15, -v7
	v_rndne_f32_e32 v15, v7
	v_fmac_f32_e32 v14, 0x32a5705f, v6
	v_sub_f32_e32 v7, v7, v15
	v_add_f32_e32 v7, v7, v14
	v_exp_f32_e32 v7, v7
	v_cvt_i32_f32_e32 v14, v15
	v_sub_f32_e32 v2, v16, v2
	v_cndmask_b32_e64 v1, 0, v1, s[8:9]
	v_cmp_ngt_f32_e64 s[8:9], s16, v5
	v_ldexp_f32 v7, v7, v14
	v_mul_f32_e32 v14, 0x3fb8aa3b, v2
	v_fma_f32 v15, v2, s15, -v14
	v_rndne_f32_e32 v16, v14
	v_fmac_f32_e32 v15, 0x32a5705f, v2
	v_sub_f32_e32 v14, v14, v16
	v_cndmask_b32_e64 v3, 0, v3, s[8:9]
	v_cmp_nlt_f32_e64 s[8:9], s17, v5
	v_add_f32_e32 v14, v14, v15
	v_cndmask_b32_e64 v3, v4, v3, s[8:9]
	v_exp_f32_e32 v14, v14
	v_cvt_i32_f32_e32 v15, v16
	v_cndmask_b32_e64 v3, 0, v3, s[2:3]
	v_cmp_ngt_f32_e64 s[2:3], s16, v6
	v_cndmask_b32_e64 v7, 0, v7, s[2:3]
	v_cmp_nlt_f32_e64 s[2:3], s17, v6
	v_cndmask_b32_e64 v6, v4, v7, s[2:3]
	v_cndmask_b32_e64 v6, 0, v6, s[0:1]
	v_ldexp_f32 v7, v14, v15
	v_cmp_ngt_f32_e64 s[0:1], s16, v2
	v_cndmask_b32_e64 v7, 0, v7, s[0:1]
	v_cmp_nlt_f32_e64 s[0:1], s17, v2
	s_waitcnt vmcnt(3)
	v_mul_f32_e32 v1, v21, v1
	s_waitcnt vmcnt(2)
	v_mul_f32_e32 v5, v24, v3
	v_cndmask_b32_e64 v2, v4, v7, s[0:1]
	v_lshlrev_b32_e32 v7, 2, v0
	ds_write2st64_b32 v7, v1, v5 offset1:1
	v_fmac_f32_e32 v1, v24, v3
	v_cndmask_b32_e32 v4, 0, v2, vcc
	s_waitcnt vmcnt(1)
	v_fmac_f32_e32 v1, v8, v6
	s_waitcnt vmcnt(0)
	v_fmac_f32_e32 v1, v9, v4
	ds_bpermute_b32 v2, v12, v1
	v_mul_f32_e32 v3, v8, v6
	v_mul_f32_e32 v4, v9, v4
	v_cmp_eq_u32_e32 vcc, 0, v0
	ds_write2st64_b32 v7, v3, v4 offset0:2 offset1:3
	s_waitcnt lgkmcnt(1)
	v_add_f32_e32 v1, v1, v2
	ds_bpermute_b32 v2, v13, v1
	s_waitcnt lgkmcnt(0)
	v_add_f32_e32 v1, v1, v2
	ds_bpermute_b32 v2, v10, v1
	;; [unrolled: 3-line block ×5, first 2 shown]
	s_and_saveexec_b64 s[0:1], vcc
	s_cbranch_execz .LBB19_8
; %bb.7:
	s_waitcnt lgkmcnt(0)
	v_add_f32_e32 v1, v1, v2
	v_mov_b32_e32 v2, 0
	ds_write_b32 v2, v1 offset:1024
.LBB19_8:
	s_or_b64 exec, exec, s[0:1]
	v_mov_b32_e32 v1, s14
.LBB19_9:
	s_or_b64 exec, exec, s[28:29]
	s_lshl_b32 s0, s30, 6
	s_mov_b32 s1, 0
	s_lshl_b64 s[0:1], s[0:1], 1
	s_add_u32 s0, s12, s0
	s_addc_u32 s1, s13, s1
	s_lshl_b32 s10, s33, 6
	s_waitcnt lgkmcnt(0)
	v_lshlrev_b32_e32 v2, 6, v1
	v_mov_b32_e32 v3, 0
	s_sub_i32 s11, s10, 64
	v_lshlrev_b64 v[4:5], 1, v[2:3]
	s_cmp_lt_i32 s36, 1
	v_mov_b32_e32 v1, s1
	v_add_co_u32_e32 v4, vcc, s0, v4
	s_cselect_b32 s0, s11, 0
	v_addc_co_u32_e32 v1, vcc, v1, v5, vcc
	v_lshlrev_b32_e32 v2, 1, v0
	s_ashr_i32 s1, s0, 31
	v_add_co_u32_e32 v0, vcc, v4, v2
	s_lshl_b64 s[0:1], s[0:1], 1
	v_addc_co_u32_e32 v1, vcc, 0, v1, vcc
	s_cmpk_lt_i32 s36, 0x101
	v_add_co_u32_e32 v12, vcc, s0, v0
	s_cselect_b32 s0, s11, 64
	v_mov_b32_e32 v4, s1
	s_ashr_i32 s1, s0, 31
	s_lshl_b64 s[0:1], s[0:1], 1
	v_addc_co_u32_e32 v13, vcc, v1, v4, vcc
	s_cmpk_lt_i32 s36, 0x201
	v_add_co_u32_e32 v14, vcc, s0, v0
	s_cselect_b32 s0, s11, 0x80
	v_mov_b32_e32 v4, s1
	s_ashr_i32 s1, s0, 31
	;; [unrolled: 7-line block ×8, first 2 shown]
	s_lshl_b64 s[0:1], s[0:1], 1
	v_addc_co_u32_e32 v27, vcc, v1, v4, vcc
	s_cmpk_lt_i32 s36, 0x901
	global_load_ushort v4, v[12:13], off
	global_load_ushort v5, v[14:15], off
	;; [unrolled: 1-line block ×8, first 2 shown]
	v_add_co_u32_e32 v20, vcc, s0, v0
	s_cselect_b32 s0, s11, 0x240
	v_mov_b32_e32 v12, s1
	s_ashr_i32 s1, s0, 31
	s_lshl_b64 s[0:1], s[0:1], 1
	v_addc_co_u32_e32 v21, vcc, v1, v12, vcc
	s_cmpk_lt_i32 s36, 0xa01
	v_add_co_u32_e32 v22, vcc, s0, v0
	s_cselect_b32 s0, s11, 0x280
	v_mov_b32_e32 v12, s1
	s_ashr_i32 s1, s0, 31
	s_lshl_b64 s[0:1], s[0:1], 1
	v_addc_co_u32_e32 v23, vcc, v1, v12, vcc
	s_cmpk_lt_i32 s36, 0xb01
	;; [unrolled: 7-line block ×6, first 2 shown]
	v_add_co_u32_e32 v32, vcc, s0, v0
	s_cselect_b32 s0, s11, 0x3c0
	v_mov_b32_e32 v12, s1
	s_ashr_i32 s1, s0, 31
	v_addc_co_u32_e32 v33, vcc, v1, v12, vcc
	s_lshl_b64 s[0:1], s[0:1], 1
	v_mov_b32_e32 v12, s1
	v_add_co_u32_e32 v34, vcc, s0, v0
	v_addc_co_u32_e32 v35, vcc, v1, v12, vcc
	global_load_ushort v12, v[20:21], off
	global_load_ushort v13, v[22:23], off
	;; [unrolled: 1-line block ×8, first 2 shown]
	s_cmpk_gt_i32 s36, 0x1000
	s_cselect_b64 s[8:9], -1, 0
	s_cmpk_lt_i32 s36, 0x1001
	v_mov_b32_e32 v36, 0
	v_mov_b32_e32 v37, 0
	;; [unrolled: 1-line block ×48, first 2 shown]
	s_waitcnt lgkmcnt(0)
	; wave barrier
	s_cbranch_scc1 .LBB19_12
; %bb.10:
	s_cmpk_lt_u32 s36, 0x1101
	s_cselect_b32 s0, s11, 0x440
	s_ashr_i32 s1, s0, 31
	s_lshl_b64 s[0:1], s[0:1], 1
	s_cmpk_lt_u32 s36, 0x1201
	v_add_co_u32_e32 v28, vcc, s0, v0
	s_cselect_b32 s0, s11, 0x480
	v_mov_b32_e32 v20, s1
	s_ashr_i32 s1, s0, 31
	s_lshl_b64 s[0:1], s[0:1], 1
	v_addc_co_u32_e32 v29, vcc, v1, v20, vcc
	s_cmpk_lt_u32 s36, 0x1301
	v_add_co_u32_e32 v30, vcc, s0, v0
	s_cselect_b32 s0, s11, 0x4c0
	v_mov_b32_e32 v20, s1
	s_ashr_i32 s1, s0, 31
	s_lshl_b64 s[0:1], s[0:1], 1
	v_addc_co_u32_e32 v31, vcc, v1, v20, vcc
	;; [unrolled: 7-line block ×7, first 2 shown]
	s_cmpk_lt_u32 s36, 0x1901
	global_load_ushort v27, v[0:1], off offset:2048
	global_load_ushort v26, v[28:29], off
	global_load_ushort v25, v[30:31], off
	;; [unrolled: 1-line block ×7, first 2 shown]
	v_add_co_u32_e32 v36, vcc, s0, v0
	s_cselect_b32 s0, s11, 0x640
	v_mov_b32_e32 v28, s1
	s_ashr_i32 s1, s0, 31
	s_lshl_b64 s[0:1], s[0:1], 1
	v_addc_co_u32_e32 v37, vcc, v1, v28, vcc
	s_cmpk_lt_u32 s36, 0x1a01
	v_add_co_u32_e32 v38, vcc, s0, v0
	s_cselect_b32 s0, s11, 0x680
	v_mov_b32_e32 v28, s1
	s_ashr_i32 s1, s0, 31
	s_lshl_b64 s[0:1], s[0:1], 1
	v_addc_co_u32_e32 v39, vcc, v1, v28, vcc
	s_cmpk_lt_u32 s36, 0x1b01
	;; [unrolled: 7-line block ×6, first 2 shown]
	v_add_co_u32_e32 v48, vcc, s0, v0
	s_cselect_b32 s0, s11, 0x7c0
	v_mov_b32_e32 v28, s1
	s_ashr_i32 s1, s0, 31
	v_addc_co_u32_e32 v49, vcc, v1, v28, vcc
	s_lshl_b64 s[0:1], s[0:1], 1
	v_mov_b32_e32 v28, s1
	v_add_co_u32_e32 v50, vcc, s0, v0
	v_addc_co_u32_e32 v51, vcc, v1, v28, vcc
	global_load_ushort v35, v[36:37], off
	global_load_ushort v34, v[38:39], off
	;; [unrolled: 1-line block ×8, first 2 shown]
	s_cmpk_lt_u32 s36, 0x2001
	v_mov_b32_e32 v67, 0
	v_mov_b32_e32 v66, 0
	;; [unrolled: 1-line block ×32, first 2 shown]
	s_cbranch_scc1 .LBB19_12
; %bb.11:
	s_cmpk_lt_u32 s36, 0x2101
	s_cselect_b32 s0, s11, 0x840
	s_ashr_i32 s1, s0, 31
	v_add_co_u32_e32 v36, vcc, 0x1000, v0
	s_lshl_b64 s[0:1], s[0:1], 1
	v_addc_co_u32_e32 v37, vcc, 0, v1, vcc
	s_cmpk_lt_u32 s36, 0x2201
	v_add_co_u32_e32 v38, vcc, s0, v0
	s_cselect_b32 s0, s11, 0x880
	v_mov_b32_e32 v39, s1
	s_ashr_i32 s1, s0, 31
	s_lshl_b64 s[0:1], s[0:1], 1
	v_addc_co_u32_e32 v39, vcc, v1, v39, vcc
	s_cmpk_lt_u32 s36, 0x2301
	v_add_co_u32_e32 v40, vcc, s0, v0
	s_cselect_b32 s0, s11, 0x8c0
	v_mov_b32_e32 v41, s1
	s_ashr_i32 s1, s0, 31
	s_lshl_b64 s[0:1], s[0:1], 1
	v_addc_co_u32_e32 v41, vcc, v1, v41, vcc
	s_cmpk_lt_u32 s36, 0x2401
	v_add_co_u32_e32 v42, vcc, s0, v0
	s_cselect_b32 s0, s11, 0x900
	v_mov_b32_e32 v43, s1
	s_ashr_i32 s1, s0, 31
	s_lshl_b64 s[0:1], s[0:1], 1
	v_addc_co_u32_e32 v43, vcc, v1, v43, vcc
	s_cmpk_lt_u32 s36, 0x2501
	v_add_co_u32_e32 v44, vcc, s0, v0
	s_cselect_b32 s0, s11, 0x940
	v_mov_b32_e32 v45, s1
	s_ashr_i32 s1, s0, 31
	s_lshl_b64 s[0:1], s[0:1], 1
	v_addc_co_u32_e32 v45, vcc, v1, v45, vcc
	s_cmpk_lt_u32 s36, 0x2601
	v_add_co_u32_e32 v46, vcc, s0, v0
	s_cselect_b32 s0, s11, 0x980
	v_mov_b32_e32 v47, s1
	s_ashr_i32 s1, s0, 31
	s_lshl_b64 s[0:1], s[0:1], 1
	v_addc_co_u32_e32 v47, vcc, v1, v47, vcc
	s_cmpk_lt_u32 s36, 0x2701
	v_add_co_u32_e32 v48, vcc, s0, v0
	s_cselect_b32 s0, s11, 0x9c0
	v_mov_b32_e32 v49, s1
	s_ashr_i32 s1, s0, 31
	s_lshl_b64 s[0:1], s[0:1], 1
	v_addc_co_u32_e32 v49, vcc, v1, v49, vcc
	s_cmpk_lt_u32 s36, 0x2801
	v_add_co_u32_e32 v50, vcc, s0, v0
	s_cselect_b32 s0, s11, 0xa00
	v_mov_b32_e32 v51, s1
	s_ashr_i32 s1, s0, 31
	s_lshl_b64 s[0:1], s[0:1], 1
	v_addc_co_u32_e32 v51, vcc, v1, v51, vcc
	s_cmpk_lt_u32 s36, 0x2901
	global_load_ushort v52, v[36:37], off
	global_load_ushort v53, v[38:39], off
	global_load_ushort v54, v[40:41], off
	global_load_ushort v55, v[42:43], off
	global_load_ushort v56, v[44:45], off
	global_load_ushort v57, v[46:47], off
	global_load_ushort v58, v[48:49], off
	global_load_ushort v59, v[50:51], off
	v_add_co_u32_e32 v36, vcc, s0, v0
	s_cselect_b32 s0, s11, 0xa40
	v_mov_b32_e32 v37, s1
	s_ashr_i32 s1, s0, 31
	s_lshl_b64 s[0:1], s[0:1], 1
	v_addc_co_u32_e32 v37, vcc, v1, v37, vcc
	s_cmpk_lt_u32 s36, 0x2a01
	v_add_co_u32_e32 v38, vcc, s0, v0
	s_cselect_b32 s0, s11, 0xa80
	v_mov_b32_e32 v39, s1
	s_ashr_i32 s1, s0, 31
	s_lshl_b64 s[0:1], s[0:1], 1
	v_addc_co_u32_e32 v39, vcc, v1, v39, vcc
	s_cmpk_lt_u32 s36, 0x2b01
	v_add_co_u32_e32 v40, vcc, s0, v0
	s_cselect_b32 s0, s11, 0xac0
	v_mov_b32_e32 v41, s1
	s_ashr_i32 s1, s0, 31
	s_lshl_b64 s[0:1], s[0:1], 1
	v_addc_co_u32_e32 v41, vcc, v1, v41, vcc
	s_cmpk_lt_u32 s36, 0x2c01
	v_add_co_u32_e32 v42, vcc, s0, v0
	s_cselect_b32 s0, s11, 0xb00
	v_mov_b32_e32 v43, s1
	s_ashr_i32 s1, s0, 31
	s_lshl_b64 s[0:1], s[0:1], 1
	v_addc_co_u32_e32 v43, vcc, v1, v43, vcc
	s_cmpk_lt_u32 s36, 0x2d01
	v_add_co_u32_e32 v44, vcc, s0, v0
	s_cselect_b32 s0, s11, 0xb40
	v_mov_b32_e32 v45, s1
	s_ashr_i32 s1, s0, 31
	s_lshl_b64 s[0:1], s[0:1], 1
	v_addc_co_u32_e32 v45, vcc, v1, v45, vcc
	s_cmpk_lt_u32 s36, 0x2e01
	v_add_co_u32_e32 v46, vcc, s0, v0
	s_cselect_b32 s0, s11, 0xb80
	v_mov_b32_e32 v47, s1
	s_ashr_i32 s1, s0, 31
	s_lshl_b64 s[0:1], s[0:1], 1
	v_addc_co_u32_e32 v47, vcc, v1, v47, vcc
	s_cmpk_lt_u32 s36, 0x2f01
	v_add_co_u32_e32 v48, vcc, s0, v0
	s_cselect_b32 s0, s11, 0xbc0
	v_mov_b32_e32 v49, s1
	s_ashr_i32 s1, s0, 31
	s_lshl_b64 s[0:1], s[0:1], 1
	v_addc_co_u32_e32 v49, vcc, v1, v49, vcc
	s_cmpk_lt_u32 s36, 0x3001
	v_add_co_u32_e32 v50, vcc, s0, v0
	s_cselect_b32 s0, s11, 0xc00
	v_mov_b32_e32 v51, s1
	s_ashr_i32 s1, s0, 31
	s_lshl_b64 s[0:1], s[0:1], 1
	v_addc_co_u32_e32 v51, vcc, v1, v51, vcc
	s_cmpk_lt_u32 s36, 0x3101
	global_load_ushort v68, v[36:37], off
	global_load_ushort v69, v[38:39], off
	global_load_ushort v70, v[40:41], off
	global_load_ushort v71, v[42:43], off
	global_load_ushort v72, v[44:45], off
	global_load_ushort v73, v[46:47], off
	global_load_ushort v74, v[48:49], off
	global_load_ushort v75, v[50:51], off
	v_add_co_u32_e32 v36, vcc, s0, v0
	s_cselect_b32 s0, s11, 0xc40
	v_mov_b32_e32 v37, s1
	s_ashr_i32 s1, s0, 31
	;; [unrolled: 64-line block ×3, first 2 shown]
	s_lshl_b64 s[0:1], s[0:1], 1
	v_addc_co_u32_e32 v37, vcc, v1, v37, vcc
	s_cmpk_lt_u32 s36, 0x3a01
	v_add_co_u32_e32 v38, vcc, s0, v0
	s_cselect_b32 s0, s11, 0xe80
	v_mov_b32_e32 v39, s1
	s_ashr_i32 s1, s0, 31
	s_lshl_b64 s[0:1], s[0:1], 1
	v_addc_co_u32_e32 v39, vcc, v1, v39, vcc
	s_cmpk_lt_u32 s36, 0x3b01
	v_add_co_u32_e32 v40, vcc, s0, v0
	s_cselect_b32 s0, s11, 0xec0
	v_mov_b32_e32 v41, s1
	s_ashr_i32 s1, s0, 31
	;; [unrolled: 7-line block ×6, first 2 shown]
	v_addc_co_u32_e32 v49, vcc, v1, v49, vcc
	s_lshl_b64 s[0:1], s[0:1], 1
	v_mov_b32_e32 v51, s1
	v_add_co_u32_e32 v50, vcc, s0, v0
	v_addc_co_u32_e32 v51, vcc, v1, v51, vcc
	global_load_ushort v84, v[36:37], off
	global_load_ushort v85, v[38:39], off
	global_load_ushort v86, v[40:41], off
	global_load_ushort v87, v[42:43], off
	global_load_ushort v88, v[44:45], off
	global_load_ushort v89, v[46:47], off
	global_load_ushort v90, v[48:49], off
	global_load_ushort v91, v[50:51], off
	s_waitcnt vmcnt(31)
	v_cvt_f32_f16_e32 v67, v52
	s_waitcnt vmcnt(30)
	v_cvt_f32_f16_e32 v66, v53
	;; [unrolled: 2-line block ×32, first 2 shown]
.LBB19_12:
	ds_read_b128 v[68:71], v3
	s_load_dwordx2 s[0:1], s[4:5], 0x0
	s_load_dwordx2 s[2:3], s[4:5], 0x38
	ds_read_b128 v[72:75], v3 offset:16
	ds_read_b128 v[76:79], v3 offset:32
	;; [unrolled: 1-line block ×3, first 2 shown]
	s_and_b64 vcc, exec, s[8:9]
	s_waitcnt vmcnt(15) lgkmcnt(0)
	v_fma_mix_f32 v4, v68, v4, 0 op_sel_hi:[0,1,0]
	s_waitcnt vmcnt(14)
	v_fma_mix_f32 v4, v69, v5, v4 op_sel_hi:[0,1,0]
	s_waitcnt vmcnt(13)
	;; [unrolled: 2-line block ×15, first 2 shown]
	v_fma_mix_f32 v4, v83, v19, v4 op_sel_hi:[0,1,0]
	s_cbranch_vccz .LBB19_15
; %bb.13:
	ds_read_b128 v[6:9], v3 offset:64
	ds_read_b128 v[10:13], v3 offset:80
	;; [unrolled: 1-line block ×4, first 2 shown]
	s_cmpk_lt_u32 s36, 0x2001
	s_waitcnt lgkmcnt(3)
	v_fma_mix_f32 v3, v6, v27, v4 op_sel_hi:[0,1,0]
	v_fma_mix_f32 v3, v7, v26, v3 op_sel_hi:[0,1,0]
	v_fma_mix_f32 v3, v8, v25, v3 op_sel_hi:[0,1,0]
	v_fma_mix_f32 v3, v9, v24, v3 op_sel_hi:[0,1,0]
	s_waitcnt lgkmcnt(2)
	v_fma_mix_f32 v3, v10, v23, v3 op_sel_hi:[0,1,0]
	v_fma_mix_f32 v3, v11, v22, v3 op_sel_hi:[0,1,0]
	v_fma_mix_f32 v3, v12, v20, v3 op_sel_hi:[0,1,0]
	v_fma_mix_f32 v3, v13, v21, v3 op_sel_hi:[0,1,0]
	;; [unrolled: 5-line block ×4, first 2 shown]
	s_cbranch_scc1 .LBB19_15
; %bb.14:
	v_mov_b32_e32 v3, 0
	ds_read_b128 v[6:9], v3 offset:128
	ds_read_b128 v[10:13], v3 offset:144
	;; [unrolled: 1-line block ×4, first 2 shown]
	s_waitcnt lgkmcnt(3)
	v_fmac_f32_e32 v4, v6, v67
	v_fmac_f32_e32 v4, v7, v66
	v_fmac_f32_e32 v4, v8, v65
	v_fmac_f32_e32 v4, v9, v64
	s_waitcnt lgkmcnt(2)
	v_fmac_f32_e32 v4, v10, v63
	v_fmac_f32_e32 v4, v11, v62
	v_fmac_f32_e32 v4, v12, v61
	v_fmac_f32_e32 v4, v13, v60
	;; [unrolled: 5-line block ×3, first 2 shown]
	ds_read_b128 v[6:9], v3 offset:192
	ds_read_b128 v[10:13], v3 offset:208
	s_waitcnt lgkmcnt(2)
	v_fmac_f32_e32 v4, v18, v55
	v_fmac_f32_e32 v4, v19, v54
	;; [unrolled: 1-line block ×4, first 2 shown]
	s_waitcnt lgkmcnt(1)
	v_fmac_f32_e32 v4, v6, v51
	v_fmac_f32_e32 v4, v7, v50
	;; [unrolled: 1-line block ×4, first 2 shown]
	ds_read_b128 v[6:9], v3 offset:224
	s_waitcnt lgkmcnt(1)
	v_fmac_f32_e32 v4, v10, v47
	v_fmac_f32_e32 v4, v11, v46
	;; [unrolled: 1-line block ×4, first 2 shown]
	ds_read_b128 v[10:13], v3 offset:240
	s_waitcnt lgkmcnt(1)
	v_fmac_f32_e32 v4, v6, v43
	v_fmac_f32_e32 v4, v7, v42
	;; [unrolled: 1-line block ×4, first 2 shown]
	s_waitcnt lgkmcnt(0)
	v_fmac_f32_e32 v4, v10, v39
	v_fmac_f32_e32 v4, v11, v38
	;; [unrolled: 1-line block ×4, first 2 shown]
.LBB19_15:
	s_movk_i32 s4, 0x1fc0
	s_movk_i32 s5, 0x100
	s_mov_b32 s8, 64
	s_branch .LBB19_17
.LBB19_16:                              ;   in Loop: Header=BB19_17 Depth=1
	s_addk_i32 s4, 0x1000
	s_addk_i32 s5, 0x100
	s_add_i32 s8, s8, 64
	s_cmpk_eq_i32 s4, 0x4fc0
	s_cbranch_scc1 .LBB19_19
.LBB19_17:                              ; =>This Inner Loop Header: Depth=1
	s_cmp_le_i32 s33, s8
	s_cbranch_scc1 .LBB19_16
; %bb.18:                               ;   in Loop: Header=BB19_17 Depth=1
	s_add_i32 s9, s4, 0xfffff040
	s_cmp_lt_i32 s9, s10
	s_cselect_b32 s12, s9, s11
	s_ashr_i32 s13, s12, 31
	s_lshl_b64 s[12:13], s[12:13], 1
	s_add_i32 s9, s4, 0xfffff080
	s_cmp_lt_i32 s9, s10
	v_add_co_u32_e32 v12, vcc, s12, v0
	s_cselect_b32 s12, s9, s11
	v_mov_b32_e32 v3, s13
	s_ashr_i32 s13, s12, 31
	s_lshl_b64 s[12:13], s[12:13], 1
	s_add_i32 s9, s4, 0xfffff0c0
	v_addc_co_u32_e32 v13, vcc, v1, v3, vcc
	s_cmp_lt_i32 s9, s10
	v_add_co_u32_e32 v14, vcc, s12, v0
	s_cselect_b32 s12, s9, s11
	v_mov_b32_e32 v3, s13
	s_ashr_i32 s13, s12, 31
	s_lshl_b64 s[12:13], s[12:13], 1
	s_add_i32 s9, s4, 0xfffff100
	v_addc_co_u32_e32 v15, vcc, v1, v3, vcc
	;; [unrolled: 8-line block ×8, first 2 shown]
	s_cmp_lt_i32 s9, s10
	global_load_ushort v3, v[12:13], off
	global_load_ushort v5, v[14:15], off
	;; [unrolled: 1-line block ×8, first 2 shown]
	v_add_co_u32_e32 v20, vcc, s12, v0
	s_cselect_b32 s12, s9, s11
	v_mov_b32_e32 v12, s13
	s_ashr_i32 s13, s12, 31
	s_lshl_b64 s[12:13], s[12:13], 1
	s_add_i32 s9, s4, 0xfffff2c0
	v_addc_co_u32_e32 v21, vcc, v1, v12, vcc
	s_cmp_lt_i32 s9, s10
	v_add_co_u32_e32 v22, vcc, s12, v0
	s_cselect_b32 s12, s9, s11
	v_mov_b32_e32 v12, s13
	s_ashr_i32 s13, s12, 31
	s_lshl_b64 s[12:13], s[12:13], 1
	s_add_i32 s9, s4, 0xfffff300
	v_addc_co_u32_e32 v23, vcc, v1, v12, vcc
	s_cmp_lt_i32 s9, s10
	;; [unrolled: 8-line block ×8, first 2 shown]
	global_load_ushort v15, v[20:21], off
	global_load_ushort v16, v[22:23], off
	;; [unrolled: 1-line block ×8, first 2 shown]
	v_add_co_u32_e32 v28, vcc, s12, v0
	s_cselect_b32 s12, s9, s11
	v_mov_b32_e32 v20, s13
	s_ashr_i32 s13, s12, 31
	s_lshl_b64 s[12:13], s[12:13], 1
	s_add_i32 s9, s4, 0xfffff4c0
	v_addc_co_u32_e32 v29, vcc, v1, v20, vcc
	s_cmp_lt_i32 s9, s10
	v_add_co_u32_e32 v30, vcc, s12, v0
	s_cselect_b32 s12, s9, s11
	v_mov_b32_e32 v20, s13
	s_ashr_i32 s13, s12, 31
	s_lshl_b64 s[12:13], s[12:13], 1
	s_add_i32 s9, s4, 0xfffff500
	v_addc_co_u32_e32 v31, vcc, v1, v20, vcc
	s_cmp_lt_i32 s9, s10
	;; [unrolled: 8-line block ×8, first 2 shown]
	global_load_ushort v23, v[28:29], off
	global_load_ushort v24, v[30:31], off
	;; [unrolled: 1-line block ×8, first 2 shown]
	v_add_co_u32_e32 v36, vcc, s12, v0
	s_cselect_b32 s12, s9, s11
	v_mov_b32_e32 v28, s13
	s_ashr_i32 s13, s12, 31
	s_lshl_b64 s[12:13], s[12:13], 1
	s_add_i32 s9, s4, 0xfffff6c0
	v_addc_co_u32_e32 v37, vcc, v1, v28, vcc
	s_cmp_lt_i32 s9, s10
	v_add_co_u32_e32 v38, vcc, s12, v0
	s_cselect_b32 s12, s9, s11
	v_mov_b32_e32 v28, s13
	s_ashr_i32 s13, s12, 31
	s_lshl_b64 s[12:13], s[12:13], 1
	s_add_i32 s9, s4, 0xfffff700
	v_addc_co_u32_e32 v39, vcc, v1, v28, vcc
	s_cmp_lt_i32 s9, s10
	v_add_co_u32_e32 v40, vcc, s12, v0
	s_cselect_b32 s12, s9, s11
	v_mov_b32_e32 v28, s13
	s_ashr_i32 s13, s12, 31
	s_lshl_b64 s[12:13], s[12:13], 1
	s_add_i32 s9, s4, 0xfffff740
	v_addc_co_u32_e32 v41, vcc, v1, v28, vcc
	s_cmp_lt_i32 s9, s10
	v_add_co_u32_e32 v42, vcc, s12, v0
	s_cselect_b32 s12, s9, s11
	v_mov_b32_e32 v28, s13
	s_ashr_i32 s13, s12, 31
	s_lshl_b64 s[12:13], s[12:13], 1
	s_add_i32 s9, s4, 0xfffff780
	v_addc_co_u32_e32 v43, vcc, v1, v28, vcc
	s_cmp_lt_i32 s9, s10
	v_add_co_u32_e32 v44, vcc, s12, v0
	s_cselect_b32 s12, s9, s11
	v_mov_b32_e32 v28, s13
	s_ashr_i32 s13, s12, 31
	s_lshl_b64 s[12:13], s[12:13], 1
	s_add_i32 s9, s4, 0xfffff7c0
	v_addc_co_u32_e32 v45, vcc, v1, v28, vcc
	s_cmp_lt_i32 s9, s10
	v_add_co_u32_e32 v46, vcc, s12, v0
	s_cselect_b32 s12, s9, s11
	v_mov_b32_e32 v28, s13
	s_ashr_i32 s13, s12, 31
	s_lshl_b64 s[12:13], s[12:13], 1
	s_add_i32 s9, s4, 0xfffff800
	v_addc_co_u32_e32 v47, vcc, v1, v28, vcc
	s_cmp_lt_i32 s9, s10
	v_add_co_u32_e32 v48, vcc, s12, v0
	s_cselect_b32 s12, s9, s11
	v_mov_b32_e32 v28, s13
	s_ashr_i32 s13, s12, 31
	s_lshl_b64 s[12:13], s[12:13], 1
	s_add_i32 s9, s4, 0xfffff840
	v_addc_co_u32_e32 v49, vcc, v1, v28, vcc
	s_cmp_lt_i32 s9, s10
	v_add_co_u32_e32 v50, vcc, s12, v0
	s_cselect_b32 s12, s9, s11
	v_mov_b32_e32 v28, s13
	s_ashr_i32 s13, s12, 31
	s_lshl_b64 s[12:13], s[12:13], 1
	s_add_i32 s9, s4, 0xfffff880
	v_addc_co_u32_e32 v51, vcc, v1, v28, vcc
	s_cmp_lt_i32 s9, s10
	global_load_ushort v31, v[36:37], off
	global_load_ushort v32, v[38:39], off
	;; [unrolled: 1-line block ×8, first 2 shown]
	v_add_co_u32_e32 v36, vcc, s12, v0
	s_cselect_b32 s12, s9, s11
	v_mov_b32_e32 v37, s13
	s_ashr_i32 s13, s12, 31
	s_lshl_b64 s[12:13], s[12:13], 1
	s_add_i32 s9, s4, 0xfffff8c0
	v_addc_co_u32_e32 v37, vcc, v1, v37, vcc
	s_cmp_lt_i32 s9, s10
	v_add_co_u32_e32 v38, vcc, s12, v0
	s_cselect_b32 s12, s9, s11
	v_mov_b32_e32 v39, s13
	s_ashr_i32 s13, s12, 31
	s_lshl_b64 s[12:13], s[12:13], 1
	s_add_i32 s9, s4, 0xfffff900
	v_addc_co_u32_e32 v39, vcc, v1, v39, vcc
	s_cmp_lt_i32 s9, s10
	;; [unrolled: 8-line block ×8, first 2 shown]
	global_load_ushort v52, v[36:37], off
	global_load_ushort v53, v[38:39], off
	;; [unrolled: 1-line block ×8, first 2 shown]
	v_add_co_u32_e32 v36, vcc, s12, v0
	s_cselect_b32 s12, s9, s11
	v_mov_b32_e32 v37, s13
	s_ashr_i32 s13, s12, 31
	s_lshl_b64 s[12:13], s[12:13], 1
	s_add_i32 s9, s4, 0xfffffac0
	v_addc_co_u32_e32 v37, vcc, v1, v37, vcc
	s_cmp_lt_i32 s9, s10
	v_add_co_u32_e32 v38, vcc, s12, v0
	s_cselect_b32 s12, s9, s11
	v_mov_b32_e32 v39, s13
	s_ashr_i32 s13, s12, 31
	s_lshl_b64 s[12:13], s[12:13], 1
	s_add_i32 s9, s4, 0xfffffb00
	v_addc_co_u32_e32 v39, vcc, v1, v39, vcc
	s_cmp_lt_i32 s9, s10
	;; [unrolled: 8-line block ×8, first 2 shown]
	global_load_ushort v60, v[36:37], off
	global_load_ushort v61, v[38:39], off
	;; [unrolled: 1-line block ×8, first 2 shown]
	v_add_co_u32_e32 v36, vcc, s12, v0
	s_cselect_b32 s12, s9, s11
	v_mov_b32_e32 v37, s13
	s_ashr_i32 s13, s12, 31
	s_lshl_b64 s[12:13], s[12:13], 1
	s_add_i32 s9, s4, 0xfffffcc0
	v_addc_co_u32_e32 v37, vcc, v1, v37, vcc
	s_cmp_lt_i32 s9, s10
	v_add_co_u32_e32 v38, vcc, s12, v0
	s_cselect_b32 s12, s9, s11
	v_mov_b32_e32 v39, s13
	s_ashr_i32 s13, s12, 31
	s_lshl_b64 s[12:13], s[12:13], 1
	s_add_i32 s9, s4, 0xfffffd00
	v_addc_co_u32_e32 v39, vcc, v1, v39, vcc
	s_cmp_lt_i32 s9, s10
	;; [unrolled: 8-line block ×8, first 2 shown]
	global_load_ushort v68, v[36:37], off
	global_load_ushort v69, v[38:39], off
	;; [unrolled: 1-line block ×8, first 2 shown]
	v_add_co_u32_e32 v36, vcc, s12, v0
	s_cselect_b32 s12, s9, s11
	v_mov_b32_e32 v37, s13
	s_ashr_i32 s13, s12, 31
	s_lshl_b64 s[12:13], s[12:13], 1
	s_add_i32 s9, s4, 0xfffffec0
	v_addc_co_u32_e32 v37, vcc, v1, v37, vcc
	s_cmp_lt_i32 s9, s10
	v_add_co_u32_e32 v38, vcc, s12, v0
	s_cselect_b32 s12, s9, s11
	v_mov_b32_e32 v39, s13
	s_ashr_i32 s13, s12, 31
	s_lshl_b64 s[12:13], s[12:13], 1
	s_add_i32 s9, s4, 0xffffff00
	v_addc_co_u32_e32 v39, vcc, v1, v39, vcc
	s_cmp_lt_i32 s9, s10
	;; [unrolled: 8-line block ×4, first 2 shown]
	v_add_co_u32_e32 v44, vcc, s12, v0
	s_cselect_b32 s12, s9, s11
	v_mov_b32_e32 v45, s13
	s_ashr_i32 s13, s12, 31
	s_lshl_b64 s[12:13], s[12:13], 1
	s_sub_i32 s9, s4, 64
	v_addc_co_u32_e32 v45, vcc, v1, v45, vcc
	s_cmp_lt_i32 s9, s10
	v_add_co_u32_e32 v46, vcc, s12, v0
	s_cselect_b32 s12, s9, s11
	v_mov_b32_e32 v47, s13
	s_ashr_i32 s13, s12, 31
	s_lshl_b64 s[12:13], s[12:13], 1
	v_addc_co_u32_e32 v47, vcc, v1, v47, vcc
	s_cmp_lt_i32 s4, s10
	v_add_co_u32_e32 v48, vcc, s12, v0
	s_cselect_b32 s12, s4, s11
	v_mov_b32_e32 v49, s13
	s_ashr_i32 s13, s12, 31
	v_addc_co_u32_e32 v49, vcc, v1, v49, vcc
	s_lshl_b64 s[12:13], s[12:13], 1
	v_mov_b32_e32 v51, s13
	v_add_co_u32_e32 v50, vcc, s12, v0
	v_addc_co_u32_e32 v51, vcc, v1, v51, vcc
	global_load_ushort v76, v[36:37], off
	global_load_ushort v77, v[38:39], off
	;; [unrolled: 1-line block ×8, first 2 shown]
	v_mov_b32_e32 v84, s5
	ds_read_b128 v[36:39], v84
	ds_read_b128 v[40:43], v84 offset:16
	ds_read_b128 v[44:47], v84 offset:32
	;; [unrolled: 1-line block ×3, first 2 shown]
	s_waitcnt vmcnt(62) lgkmcnt(3)
	v_fma_mix_f32 v3, v36, v3, v4 op_sel_hi:[0,1,0]
	v_fma_mix_f32 v3, v37, v5, v3 op_sel_hi:[0,1,0]
	s_waitcnt vmcnt(61)
	v_fma_mix_f32 v3, v38, v6, v3 op_sel_hi:[0,1,0]
	s_waitcnt vmcnt(60)
	v_fma_mix_f32 v3, v39, v7, v3 op_sel_hi:[0,1,0]
	s_waitcnt vmcnt(59) lgkmcnt(2)
	v_fma_mix_f32 v3, v40, v8, v3 op_sel_hi:[0,1,0]
	s_waitcnt vmcnt(58)
	v_fma_mix_f32 v3, v41, v9, v3 op_sel_hi:[0,1,0]
	s_waitcnt vmcnt(57)
	v_fma_mix_f32 v3, v42, v10, v3 op_sel_hi:[0,1,0]
	s_waitcnt vmcnt(56)
	v_fma_mix_f32 v3, v43, v11, v3 op_sel_hi:[0,1,0]
	s_waitcnt vmcnt(55) lgkmcnt(1)
	v_fma_mix_f32 v3, v44, v15, v3 op_sel_hi:[0,1,0]
	s_waitcnt vmcnt(54)
	v_fma_mix_f32 v3, v45, v16, v3 op_sel_hi:[0,1,0]
	s_waitcnt vmcnt(53)
	;; [unrolled: 2-line block ×3, first 2 shown]
	v_fma_mix_f32 v3, v47, v18, v3 op_sel_hi:[0,1,0]
	ds_read_b128 v[4:7], v84 offset:64
	ds_read_b128 v[8:11], v84 offset:80
	s_waitcnt vmcnt(51) lgkmcnt(2)
	v_fma_mix_f32 v3, v48, v19, v3 op_sel_hi:[0,1,0]
	s_waitcnt vmcnt(50)
	v_fma_mix_f32 v3, v49, v12, v3 op_sel_hi:[0,1,0]
	s_waitcnt vmcnt(49)
	v_fma_mix_f32 v3, v50, v13, v3 op_sel_hi:[0,1,0]
	s_waitcnt vmcnt(48)
	v_fma_mix_f32 v3, v51, v14, v3 op_sel_hi:[0,1,0]
	s_waitcnt vmcnt(47) lgkmcnt(1)
	v_fma_mix_f32 v3, v4, v23, v3 op_sel_hi:[0,1,0]
	s_waitcnt vmcnt(46)
	v_fma_mix_f32 v3, v5, v24, v3 op_sel_hi:[0,1,0]
	s_waitcnt vmcnt(45)
	v_fma_mix_f32 v3, v6, v25, v3 op_sel_hi:[0,1,0]
	s_waitcnt vmcnt(44)
	v_fma_mix_f32 v3, v7, v26, v3 op_sel_hi:[0,1,0]
	ds_read_b128 v[4:7], v84 offset:96
	s_waitcnt vmcnt(43) lgkmcnt(1)
	v_fma_mix_f32 v3, v8, v27, v3 op_sel_hi:[0,1,0]
	s_waitcnt vmcnt(42)
	v_fma_mix_f32 v3, v9, v20, v3 op_sel_hi:[0,1,0]
	s_waitcnt vmcnt(41)
	v_fma_mix_f32 v3, v10, v21, v3 op_sel_hi:[0,1,0]
	s_waitcnt vmcnt(40)
	v_fma_mix_f32 v3, v11, v22, v3 op_sel_hi:[0,1,0]
	ds_read_b128 v[8:11], v84 offset:112
	;; [unrolled: 9-line block ×10, first 2 shown]
	s_waitcnt vmcnt(7) lgkmcnt(1)
	v_fma_mix_f32 v3, v4, v76, v3 op_sel_hi:[0,1,0]
	s_waitcnt vmcnt(6)
	v_fma_mix_f32 v3, v5, v77, v3 op_sel_hi:[0,1,0]
	s_waitcnt vmcnt(5)
	;; [unrolled: 2-line block ×3, first 2 shown]
	v_fma_mix_f32 v3, v7, v79, v3 op_sel_hi:[0,1,0]
	s_waitcnt vmcnt(3) lgkmcnt(0)
	v_fma_mix_f32 v3, v8, v80, v3 op_sel_hi:[0,1,0]
	s_waitcnt vmcnt(2)
	v_fma_mix_f32 v3, v9, v81, v3 op_sel_hi:[0,1,0]
	s_waitcnt vmcnt(1)
	v_fma_mix_f32 v3, v10, v82, v3 op_sel_hi:[0,1,0]
	s_waitcnt vmcnt(0)
	v_fma_mix_f32 v4, v11, v83, v3 op_sel_hi:[0,1,0]
	s_branch .LBB19_16
.LBB19_19:
	v_mov_b32_e32 v0, 0
	ds_read_b32 v1, v0 offset:1024
	s_cmp_lg_u64 s[2:3], 0
	s_cbranch_scc0 .LBB19_24
; %bb.20:
	s_load_dword s4, s[2:3], 0x0
	s_waitcnt lgkmcnt(0)
	v_div_scale_f32 v0, s[2:3], s4, s4, 1.0
	v_rcp_f32_e32 v3, v0
	v_div_scale_f32 v5, vcc, 1.0, s4, 1.0
	v_fma_f32 v6, -v0, v3, 1.0
	v_fmac_f32_e32 v3, v6, v3
	v_mul_f32_e32 v6, v5, v3
	v_fma_f32 v7, -v0, v6, v5
	v_fmac_f32_e32 v6, v7, v3
	v_fma_f32 v0, -v0, v6, v5
	v_div_fmas_f32 v0, v0, v3, v6
	v_div_fixup_f32 v0, v0, s4, 1.0
	s_andn2_b64 vcc, exec, s[24:25]
	s_cbranch_vccnz .LBB19_22
.LBB19_21:
	s_add_u32 s2, s22, s26
	s_addc_u32 s3, s23, s27
	s_load_dword s20, s[2:3], 0x0
	s_mov_b32 s21, 0
.LBB19_22:
	s_waitcnt lgkmcnt(0)
	v_add_f32_e32 v1, 0x358637bd, v1
	v_div_scale_f32 v3, s[2:3], v1, v1, 1.0
	v_rcp_f32_e32 v5, v3
	v_div_scale_f32 v6, vcc, 1.0, v1, 1.0
	s_mul_i32 s2, s7, s21
	v_fma_f32 v7, -v3, v5, 1.0
	v_fmac_f32_e32 v5, v7, v5
	v_mul_f32_e32 v7, v6, v5
	v_fma_f32 v8, -v3, v7, v6
	s_mul_hi_u32 s3, s7, s20
	v_fmac_f32_e32 v7, v8, v5
	s_add_i32 s3, s3, s2
	s_mul_i32 s2, s7, s20
	v_fma_f32 v3, -v3, v7, v6
	s_lshl_b64 s[2:3], s[2:3], 7
	v_div_fmas_f32 v3, v3, v5, v7
	s_add_u32 s2, s0, s2
	s_mov_b32 s7, 0
	v_div_fixup_f32 v1, v3, v1, 1.0
	s_addc_u32 s3, s1, s3
	s_lshl_b64 s[0:1], s[6:7], 7
	v_mul_f32_e32 v1, v4, v1
	s_add_u32 s0, s2, s0
	s_addc_u32 s1, s3, s1
	v_fma_mixlo_f16 v0, v1, v0, 0
	global_store_short v2, v0, s[0:1]
	s_endpgm
.LBB19_23:
	s_mov_b64 s[2:3], 0
	s_branch .LBB19_2
.LBB19_24:
	v_mov_b32_e32 v0, 1.0
	s_andn2_b64 vcc, exec, s[24:25]
	s_cbranch_vccz .LBB19_21
	s_branch .LBB19_22
	.section	.rodata,"a",@progbits
	.p2align	6, 0x0
	.amdhsa_kernel _Z35paged_attention_ll4mi_reduce_kernelIDF16_DF16_Li64ELi64ELi256ELi4EEvPT0_PKfS3_PKT_PKiS8_iS3_
		.amdhsa_group_segment_fixed_size 1028
		.amdhsa_private_segment_fixed_size 0
		.amdhsa_kernarg_size 320
		.amdhsa_user_sgpr_count 6
		.amdhsa_user_sgpr_private_segment_buffer 1
		.amdhsa_user_sgpr_dispatch_ptr 0
		.amdhsa_user_sgpr_queue_ptr 0
		.amdhsa_user_sgpr_kernarg_segment_ptr 1
		.amdhsa_user_sgpr_dispatch_id 0
		.amdhsa_user_sgpr_flat_scratch_init 0
		.amdhsa_user_sgpr_kernarg_preload_length 0
		.amdhsa_user_sgpr_kernarg_preload_offset 0
		.amdhsa_user_sgpr_private_segment_size 0
		.amdhsa_uses_dynamic_stack 0
		.amdhsa_system_sgpr_private_segment_wavefront_offset 0
		.amdhsa_system_sgpr_workgroup_id_x 1
		.amdhsa_system_sgpr_workgroup_id_y 1
		.amdhsa_system_sgpr_workgroup_id_z 0
		.amdhsa_system_sgpr_workgroup_info 0
		.amdhsa_system_vgpr_workitem_id 0
		.amdhsa_next_free_vgpr 92
		.amdhsa_next_free_sgpr 37
		.amdhsa_accum_offset 92
		.amdhsa_reserve_vcc 1
		.amdhsa_reserve_flat_scratch 0
		.amdhsa_float_round_mode_32 0
		.amdhsa_float_round_mode_16_64 0
		.amdhsa_float_denorm_mode_32 3
		.amdhsa_float_denorm_mode_16_64 3
		.amdhsa_dx10_clamp 1
		.amdhsa_ieee_mode 1
		.amdhsa_fp16_overflow 0
		.amdhsa_tg_split 0
		.amdhsa_exception_fp_ieee_invalid_op 0
		.amdhsa_exception_fp_denorm_src 0
		.amdhsa_exception_fp_ieee_div_zero 0
		.amdhsa_exception_fp_ieee_overflow 0
		.amdhsa_exception_fp_ieee_underflow 0
		.amdhsa_exception_fp_ieee_inexact 0
		.amdhsa_exception_int_div_zero 0
	.end_amdhsa_kernel
	.section	.text._Z35paged_attention_ll4mi_reduce_kernelIDF16_DF16_Li64ELi64ELi256ELi4EEvPT0_PKfS3_PKT_PKiS8_iS3_,"axG",@progbits,_Z35paged_attention_ll4mi_reduce_kernelIDF16_DF16_Li64ELi64ELi256ELi4EEvPT0_PKfS3_PKT_PKiS8_iS3_,comdat
.Lfunc_end19:
	.size	_Z35paged_attention_ll4mi_reduce_kernelIDF16_DF16_Li64ELi64ELi256ELi4EEvPT0_PKfS3_PKT_PKiS8_iS3_, .Lfunc_end19-_Z35paged_attention_ll4mi_reduce_kernelIDF16_DF16_Li64ELi64ELi256ELi4EEvPT0_PKfS3_PKT_PKiS8_iS3_
                                        ; -- End function
	.section	.AMDGPU.csdata,"",@progbits
; Kernel info:
; codeLenInByte = 9480
; NumSgprs: 41
; NumVgprs: 92
; NumAgprs: 0
; TotalNumVgprs: 92
; ScratchSize: 0
; MemoryBound: 0
; FloatMode: 240
; IeeeMode: 1
; LDSByteSize: 1028 bytes/workgroup (compile time only)
; SGPRBlocks: 5
; VGPRBlocks: 11
; NumSGPRsForWavesPerEU: 41
; NumVGPRsForWavesPerEU: 92
; AccumOffset: 92
; Occupancy: 5
; WaveLimiterHint : 1
; COMPUTE_PGM_RSRC2:SCRATCH_EN: 0
; COMPUTE_PGM_RSRC2:USER_SGPR: 6
; COMPUTE_PGM_RSRC2:TRAP_HANDLER: 0
; COMPUTE_PGM_RSRC2:TGID_X_EN: 1
; COMPUTE_PGM_RSRC2:TGID_Y_EN: 1
; COMPUTE_PGM_RSRC2:TGID_Z_EN: 0
; COMPUTE_PGM_RSRC2:TIDIG_COMP_CNT: 0
; COMPUTE_PGM_RSRC3_GFX90A:ACCUM_OFFSET: 22
; COMPUTE_PGM_RSRC3_GFX90A:TG_SPLIT: 0
	.section	.text._Z35paged_attention_ll4mi_reduce_kernelIDF16_DF16_Li64ELi64ELi256ELi5EEvPT0_PKfS3_PKT_PKiS8_iS3_,"axG",@progbits,_Z35paged_attention_ll4mi_reduce_kernelIDF16_DF16_Li64ELi64ELi256ELi5EEvPT0_PKfS3_PKT_PKiS8_iS3_,comdat
	.protected	_Z35paged_attention_ll4mi_reduce_kernelIDF16_DF16_Li64ELi64ELi256ELi5EEvPT0_PKfS3_PKT_PKiS8_iS3_ ; -- Begin function _Z35paged_attention_ll4mi_reduce_kernelIDF16_DF16_Li64ELi64ELi256ELi5EEvPT0_PKfS3_PKT_PKiS8_iS3_
	.globl	_Z35paged_attention_ll4mi_reduce_kernelIDF16_DF16_Li64ELi64ELi256ELi5EEvPT0_PKfS3_PKT_PKiS8_iS3_
	.p2align	8
	.type	_Z35paged_attention_ll4mi_reduce_kernelIDF16_DF16_Li64ELi64ELi256ELi5EEvPT0_PKfS3_PKT_PKiS8_iS3_,@function
_Z35paged_attention_ll4mi_reduce_kernelIDF16_DF16_Li64ELi64ELi256ELi5EEvPT0_PKfS3_PKT_PKiS8_iS3_: ; @_Z35paged_attention_ll4mi_reduce_kernelIDF16_DF16_Li64ELi64ELi256ELi5EEvPT0_PKfS3_PKT_PKiS8_iS3_
; %bb.0:
	s_load_dwordx2 s[24:25], s[4:5], 0x28
	s_mov_b32 s14, s7
	s_mov_b64 s[0:1], 0
	s_waitcnt lgkmcnt(0)
	s_cmp_lg_u64 s[24:25], 0
	s_cselect_b64 s[26:27], -1, 0
	s_and_b64 vcc, exec, s[26:27]
	s_cbranch_vccz .LBB20_23
; %bb.1:
	s_add_i32 s2, s14, 1
	s_mov_b32 s3, 0
	s_lshl_b64 s[8:9], s[2:3], 2
	s_add_u32 s8, s24, s8
	s_mov_b32 s15, s3
	s_addc_u32 s9, s25, s9
	s_lshl_b64 s[2:3], s[14:15], 2
	s_add_u32 s2, s24, s2
	s_addc_u32 s3, s25, s3
	s_load_dword s7, s[8:9], 0x0
	s_load_dword s10, s[2:3], 0x0
	s_waitcnt lgkmcnt(0)
	s_sub_i32 s2, s7, s10
	s_cmp_eq_u32 s2, 1
	s_cselect_b64 s[2:3], -1, 0
	s_andn2_b64 vcc, exec, s[0:1]
	s_cbranch_vccnz .LBB20_3
.LBB20_2:
	s_mov_b32 s15, 0
	s_mov_b64 s[2:3], -1
.LBB20_3:
	s_andn2_b64 vcc, exec, s[2:3]
	s_cbranch_vccz .LBB20_5
; %bb.4:
	s_endpgm
.LBB20_5:
	s_load_dwordx4 s[16:19], s[4:5], 0x18
	s_load_dword s8, s[4:5], 0x30
	s_lshl_b64 s[28:29], s[14:15], 2
	v_cmp_lt_u32_e32 vcc, 63, v0
	s_waitcnt lgkmcnt(0)
	s_add_u32 s0, s18, s28
	s_addc_u32 s1, s19, s29
	s_load_dword s38, s[0:1], 0x0
	s_load_dword s7, s[4:5], 0x40
	s_mul_i32 s18, s6, s8
	s_mul_i32 s2, s14, s8
	s_waitcnt lgkmcnt(0)
	s_add_i32 s3, s38, 0xff
	s_ashr_i32 s0, s3, 31
	s_lshr_b32 s0, s0, 24
	s_add_i32 s3, s3, s0
	s_and_saveexec_b64 s[0:1], vcc
	s_xor_b64 s[0:1], exec, s[0:1]
	s_or_saveexec_b64 s[30:31], s[0:1]
	s_ashr_i32 s33, s3, 8
	v_mov_b32_e32 v1, s18
	s_mul_i32 s34, s2, s7
	s_xor_b64 exec, exec, s[30:31]
	s_cbranch_execz .LBB20_9
; %bb.6:
	s_add_i32 s0, s33, -1
	v_or_b32_e32 v3, 64, v0
	s_load_dwordx4 s[20:23], s[4:5], 0x8
	v_mov_b32_e32 v1, s0
	v_cmp_gt_u32_e64 s[8:9], s33, v3
	v_cndmask_b32_e64 v4, v1, v3, s[8:9]
	v_or_b32_e32 v3, 0x80, v0
	v_cmp_gt_u32_e64 s[2:3], s33, v3
	s_mov_b32 s35, 0
	v_cndmask_b32_e64 v6, v1, v3, s[2:3]
	v_or_b32_e32 v3, 0xc0, v0
	v_cmp_gt_u32_e64 s[0:1], s33, v3
	s_lshl_b64 s[36:37], s[34:35], 2
	s_mov_b32 s19, s35
	v_cmp_gt_u32_e64 s[10:11], s33, v0
	v_cndmask_b32_e64 v8, v1, v3, s[0:1]
	v_or_b32_e32 v3, 0x100, v0
	s_waitcnt lgkmcnt(0)
	s_add_u32 s12, s22, s36
	v_cndmask_b32_e64 v2, v1, v0, s[10:11]
	v_cmp_gt_u32_e32 vcc, s33, v3
	s_addc_u32 s13, s23, s37
	s_lshl_b64 s[22:23], s[18:19], 2
	v_cndmask_b32_e32 v10, v1, v3, vcc
	s_add_u32 s19, s12, s22
	v_ashrrev_i32_e32 v3, 31, v2
	s_addc_u32 s35, s13, s23
	v_lshlrev_b64 v[2:3], 2, v[2:3]
	v_mov_b32_e32 v1, s35
	v_add_co_u32_e64 v12, s[12:13], s19, v2
	v_ashrrev_i32_e32 v5, 31, v4
	v_addc_co_u32_e64 v13, s[12:13], v1, v3, s[12:13]
	v_lshlrev_b64 v[4:5], 2, v[4:5]
	v_add_co_u32_e64 v14, s[12:13], s19, v4
	v_ashrrev_i32_e32 v7, 31, v6
	v_addc_co_u32_e64 v15, s[12:13], v1, v5, s[12:13]
	v_lshlrev_b64 v[6:7], 2, v[6:7]
	;; [unrolled: 4-line block ×4, first 2 shown]
	v_add_co_u32_e64 v20, s[12:13], s19, v10
	v_addc_co_u32_e64 v21, s[12:13], v1, v11, s[12:13]
	global_load_dword v1, v[12:13], off
	global_load_dword v22, v[14:15], off
	;; [unrolled: 1-line block ×5, first 2 shown]
	v_mbcnt_lo_u32_b32 v12, -1, 0
	v_mbcnt_hi_u32_b32 v12, -1, v12
	v_and_b32_e32 v13, 64, v12
	v_xor_b32_e32 v14, 32, v12
	v_add_u32_e32 v13, 64, v13
	v_xor_b32_e32 v15, 16, v12
	v_cmp_lt_i32_e64 s[12:13], v14, v13
	v_xor_b32_e32 v16, 8, v12
	v_cndmask_b32_e64 v14, v12, v14, s[12:13]
	v_cmp_lt_i32_e64 s[12:13], v15, v13
	v_cndmask_b32_e64 v15, v12, v15, s[12:13]
	v_cmp_lt_i32_e64 s[12:13], v16, v13
	v_cndmask_b32_e64 v16, v12, v16, s[12:13]
	v_lshlrev_b32_e32 v14, 2, v14
	s_add_u32 s12, s20, s36
	s_addc_u32 s13, s21, s37
	s_add_u32 s19, s12, s22
	s_addc_u32 s20, s13, s23
	v_mov_b32_e32 v20, s20
	v_add_co_u32_e64 v2, s[12:13], s19, v2
	v_addc_co_u32_e64 v3, s[12:13], v20, v3, s[12:13]
	global_load_dword v20, v[2:3], off
	v_lshlrev_b32_e32 v15, 2, v15
	v_lshlrev_b32_e32 v16, 2, v16
	v_xor_b32_e32 v17, 4, v12
	v_cmp_lt_i32_e64 s[12:13], v17, v13
	v_cndmask_b32_e64 v17, v12, v17, s[12:13]
	v_lshlrev_b32_e32 v17, 2, v17
	v_xor_b32_e32 v18, 2, v12
	v_xor_b32_e32 v19, 1, v12
	s_mov_b32 s21, 0x42b17218
	s_waitcnt vmcnt(3)
	v_max3_f32 v21, v1, v22, v23
	s_waitcnt vmcnt(1)
	v_max3_f32 v21, v21, v24, v25
	ds_bpermute_b32 v26, v14, v21
	s_waitcnt lgkmcnt(0)
	v_max_f32_e32 v2, v26, v26
	v_max_f32_e32 v2, v21, v2
	ds_bpermute_b32 v3, v15, v2
	v_mov_b32_e32 v21, s20
	s_waitcnt lgkmcnt(0)
	v_max_f32_e32 v3, v3, v3
	v_max_f32_e32 v26, v2, v3
	ds_bpermute_b32 v27, v16, v26
	v_add_co_u32_e64 v2, s[12:13], s19, v4
	v_addc_co_u32_e64 v3, s[12:13], v21, v5, s[12:13]
	s_waitcnt lgkmcnt(0)
	v_max_f32_e32 v4, v27, v27
	v_max_f32_e32 v4, v26, v4
	ds_bpermute_b32 v5, v17, v4
	v_cmp_lt_i32_e64 s[12:13], v18, v13
	global_load_dword v21, v[2:3], off
	v_cndmask_b32_e64 v2, v12, v18, s[12:13]
	v_lshlrev_b32_e32 v18, 2, v2
	s_waitcnt lgkmcnt(0)
	v_max_f32_e32 v2, v5, v5
	v_max_f32_e32 v2, v4, v2
	ds_bpermute_b32 v3, v18, v2
	v_cmp_lt_i32_e64 s[12:13], v19, v13
	v_cndmask_b32_e64 v4, v12, v19, s[12:13]
	v_lshlrev_b32_e32 v12, 2, v4
	v_mov_b32_e32 v4, s20
	s_waitcnt lgkmcnt(0)
	v_max_f32_e32 v3, v3, v3
	v_max_f32_e32 v13, v2, v3
	v_add_co_u32_e64 v2, s[12:13], s19, v6
	v_addc_co_u32_e64 v3, s[12:13], v4, v7, s[12:13]
	v_mov_b32_e32 v5, s20
	v_add_co_u32_e64 v4, s[12:13], s19, v8
	v_addc_co_u32_e64 v5, s[12:13], v5, v9, s[12:13]
	v_mov_b32_e32 v7, s20
	v_add_co_u32_e64 v6, s[12:13], s19, v10
	v_addc_co_u32_e64 v7, s[12:13], v7, v11, s[12:13]
	global_load_dword v8, v[2:3], off
	global_load_dword v9, v[4:5], off
	;; [unrolled: 1-line block ×3, first 2 shown]
	ds_bpermute_b32 v19, v12, v13
	s_mov_b32 s19, 0x3fb8aa3b
	s_mov_b32 s20, 0xc2ce8ed0
	s_waitcnt lgkmcnt(0)
	v_max_f32_e32 v2, v19, v19
	v_max_f32_e32 v2, v13, v2
	v_sub_f32_e32 v1, v1, v2
	v_mul_f32_e32 v3, 0x3fb8aa3b, v1
	v_fma_f32 v4, v1, s19, -v3
	v_rndne_f32_e32 v5, v3
	v_fmac_f32_e32 v4, 0x32a5705f, v1
	v_sub_f32_e32 v3, v3, v5
	v_add_f32_e32 v3, v3, v4
	v_cvt_i32_f32_e32 v4, v5
	v_sub_f32_e32 v5, v22, v2
	v_mul_f32_e32 v6, 0x3fb8aa3b, v5
	v_fma_f32 v7, v5, s19, -v6
	v_rndne_f32_e32 v11, v6
	v_exp_f32_e32 v3, v3
	v_fmac_f32_e32 v7, 0x32a5705f, v5
	v_sub_f32_e32 v6, v6, v11
	v_add_f32_e32 v6, v6, v7
	v_exp_f32_e32 v6, v6
	v_cvt_i32_f32_e32 v7, v11
	v_ldexp_f32 v3, v3, v4
	v_cmp_ngt_f32_e64 s[12:13], s20, v1
	v_cndmask_b32_e64 v3, 0, v3, s[12:13]
	v_mov_b32_e32 v4, 0x7f800000
	v_cmp_nlt_f32_e64 s[12:13], s21, v1
	v_cndmask_b32_e64 v1, v4, v3, s[12:13]
	v_ldexp_f32 v3, v6, v7
	v_sub_f32_e32 v6, v23, v2
	v_mul_f32_e32 v7, 0x3fb8aa3b, v6
	v_fma_f32 v11, v6, s19, -v7
	v_rndne_f32_e32 v13, v7
	v_fmac_f32_e32 v11, 0x32a5705f, v6
	v_sub_f32_e32 v7, v7, v13
	v_add_f32_e32 v7, v7, v11
	v_exp_f32_e32 v7, v7
	v_cvt_i32_f32_e32 v11, v13
	v_cndmask_b32_e64 v1, 0, v1, s[10:11]
	s_waitcnt vmcnt(4)
	v_mul_f32_e32 v1, v20, v1
	v_cmp_ngt_f32_e64 s[10:11], s20, v5
	v_ldexp_f32 v7, v7, v11
	v_sub_f32_e32 v11, v24, v2
	v_mul_f32_e32 v13, 0x3fb8aa3b, v11
	v_fma_f32 v19, v11, s19, -v13
	v_rndne_f32_e32 v20, v13
	v_fmac_f32_e32 v19, 0x32a5705f, v11
	v_sub_f32_e32 v13, v13, v20
	v_add_f32_e32 v13, v13, v19
	v_cndmask_b32_e64 v3, 0, v3, s[10:11]
	v_cmp_nlt_f32_e64 s[10:11], s21, v5
	v_exp_f32_e32 v13, v13
	v_cvt_i32_f32_e32 v19, v20
	v_cndmask_b32_e64 v3, v4, v3, s[10:11]
	v_cndmask_b32_e64 v3, 0, v3, s[8:9]
	v_cmp_ngt_f32_e64 s[8:9], s20, v6
	v_cndmask_b32_e64 v7, 0, v7, s[8:9]
	v_cmp_nlt_f32_e64 s[8:9], s21, v6
	v_sub_f32_e32 v2, v25, v2
	v_cndmask_b32_e64 v6, v4, v7, s[8:9]
	v_ldexp_f32 v7, v13, v19
	v_mul_f32_e32 v13, 0x3fb8aa3b, v2
	v_fma_f32 v19, v2, s19, -v13
	v_rndne_f32_e32 v20, v13
	v_fmac_f32_e32 v19, 0x32a5705f, v2
	v_sub_f32_e32 v13, v13, v20
	v_add_f32_e32 v13, v13, v19
	v_exp_f32_e32 v13, v13
	v_cvt_i32_f32_e32 v19, v20
	v_cndmask_b32_e64 v6, 0, v6, s[2:3]
	v_cmp_ngt_f32_e64 s[2:3], s20, v11
	v_cndmask_b32_e64 v7, 0, v7, s[2:3]
	v_cmp_nlt_f32_e64 s[2:3], s21, v11
	v_cndmask_b32_e64 v7, v4, v7, s[2:3]
	v_cndmask_b32_e64 v7, 0, v7, s[0:1]
	v_ldexp_f32 v11, v13, v19
	v_cmp_ngt_f32_e64 s[0:1], s20, v2
	v_cndmask_b32_e64 v11, 0, v11, s[0:1]
	v_cmp_nlt_f32_e64 s[0:1], s21, v2
	s_waitcnt vmcnt(3)
	v_mul_f32_e32 v5, v21, v3
	v_cndmask_b32_e64 v2, v4, v11, s[0:1]
	v_lshlrev_b32_e32 v11, 2, v0
	ds_write2st64_b32 v11, v1, v5 offset1:1
	v_fmac_f32_e32 v1, v21, v3
	s_waitcnt vmcnt(2)
	v_fmac_f32_e32 v1, v8, v6
	v_cndmask_b32_e32 v4, 0, v2, vcc
	s_waitcnt vmcnt(1)
	v_fmac_f32_e32 v1, v9, v7
	s_waitcnt vmcnt(0)
	v_fmac_f32_e32 v1, v10, v4
	ds_bpermute_b32 v2, v14, v1
	v_mul_f32_e32 v3, v8, v6
	v_mul_f32_e32 v5, v9, v7
	v_cmp_eq_u32_e32 vcc, 0, v0
	v_mul_f32_e32 v4, v10, v4
	s_waitcnt lgkmcnt(0)
	v_add_f32_e32 v1, v1, v2
	ds_bpermute_b32 v2, v15, v1
	ds_write2st64_b32 v11, v3, v5 offset0:2 offset1:3
	ds_write_b32 v11, v4 offset:1024
	s_waitcnt lgkmcnt(2)
	v_add_f32_e32 v1, v1, v2
	ds_bpermute_b32 v2, v16, v1
	s_waitcnt lgkmcnt(0)
	v_add_f32_e32 v1, v1, v2
	ds_bpermute_b32 v2, v17, v1
	;; [unrolled: 3-line block ×4, first 2 shown]
	s_and_saveexec_b64 s[0:1], vcc
	s_cbranch_execz .LBB20_8
; %bb.7:
	s_waitcnt lgkmcnt(0)
	v_add_f32_e32 v1, v1, v2
	v_mov_b32_e32 v2, 0
	ds_write_b32 v2, v1 offset:1280
.LBB20_8:
	s_or_b64 exec, exec, s[0:1]
	v_mov_b32_e32 v1, s18
.LBB20_9:
	s_or_b64 exec, exec, s[30:31]
	s_lshl_b32 s0, s34, 6
	s_mov_b32 s1, 0
	s_lshl_b64 s[0:1], s[0:1], 1
	s_add_u32 s0, s16, s0
	s_addc_u32 s1, s17, s1
	s_lshl_b32 s10, s33, 6
	s_waitcnt lgkmcnt(0)
	v_lshlrev_b32_e32 v2, 6, v1
	v_mov_b32_e32 v3, 0
	s_sub_i32 s11, s10, 64
	v_lshlrev_b64 v[4:5], 1, v[2:3]
	s_cmp_lt_i32 s38, 1
	v_mov_b32_e32 v1, s1
	v_add_co_u32_e32 v4, vcc, s0, v4
	s_cselect_b32 s0, s11, 0
	v_addc_co_u32_e32 v1, vcc, v1, v5, vcc
	v_lshlrev_b32_e32 v2, 1, v0
	s_ashr_i32 s1, s0, 31
	v_add_co_u32_e32 v0, vcc, v4, v2
	s_lshl_b64 s[0:1], s[0:1], 1
	v_addc_co_u32_e32 v1, vcc, 0, v1, vcc
	s_cmpk_lt_i32 s38, 0x101
	v_add_co_u32_e32 v12, vcc, s0, v0
	s_cselect_b32 s0, s11, 64
	v_mov_b32_e32 v4, s1
	s_ashr_i32 s1, s0, 31
	s_lshl_b64 s[0:1], s[0:1], 1
	v_addc_co_u32_e32 v13, vcc, v1, v4, vcc
	s_cmpk_lt_i32 s38, 0x201
	v_add_co_u32_e32 v14, vcc, s0, v0
	s_cselect_b32 s0, s11, 0x80
	v_mov_b32_e32 v4, s1
	s_ashr_i32 s1, s0, 31
	;; [unrolled: 7-line block ×8, first 2 shown]
	s_lshl_b64 s[0:1], s[0:1], 1
	v_addc_co_u32_e32 v27, vcc, v1, v4, vcc
	s_cmpk_lt_i32 s38, 0x901
	global_load_ushort v4, v[12:13], off
	global_load_ushort v5, v[14:15], off
	;; [unrolled: 1-line block ×8, first 2 shown]
	v_add_co_u32_e32 v20, vcc, s0, v0
	s_cselect_b32 s0, s11, 0x240
	v_mov_b32_e32 v12, s1
	s_ashr_i32 s1, s0, 31
	s_lshl_b64 s[0:1], s[0:1], 1
	v_addc_co_u32_e32 v21, vcc, v1, v12, vcc
	s_cmpk_lt_i32 s38, 0xa01
	v_add_co_u32_e32 v22, vcc, s0, v0
	s_cselect_b32 s0, s11, 0x280
	v_mov_b32_e32 v12, s1
	s_ashr_i32 s1, s0, 31
	s_lshl_b64 s[0:1], s[0:1], 1
	v_addc_co_u32_e32 v23, vcc, v1, v12, vcc
	s_cmpk_lt_i32 s38, 0xb01
	;; [unrolled: 7-line block ×6, first 2 shown]
	v_add_co_u32_e32 v32, vcc, s0, v0
	s_cselect_b32 s0, s11, 0x3c0
	v_mov_b32_e32 v12, s1
	s_ashr_i32 s1, s0, 31
	v_addc_co_u32_e32 v33, vcc, v1, v12, vcc
	s_lshl_b64 s[0:1], s[0:1], 1
	v_mov_b32_e32 v12, s1
	v_add_co_u32_e32 v34, vcc, s0, v0
	v_addc_co_u32_e32 v35, vcc, v1, v12, vcc
	global_load_ushort v12, v[20:21], off
	global_load_ushort v13, v[22:23], off
	;; [unrolled: 1-line block ×8, first 2 shown]
	s_cmpk_gt_i32 s38, 0x1000
	s_cselect_b64 s[8:9], -1, 0
	s_cmpk_lt_i32 s38, 0x1001
	v_mov_b32_e32 v36, 0
	v_mov_b32_e32 v37, 0
	;; [unrolled: 1-line block ×48, first 2 shown]
	s_waitcnt lgkmcnt(0)
	; wave barrier
	s_cbranch_scc1 .LBB20_12
; %bb.10:
	s_cmpk_lt_u32 s38, 0x1101
	s_cselect_b32 s0, s11, 0x440
	s_ashr_i32 s1, s0, 31
	s_lshl_b64 s[0:1], s[0:1], 1
	s_cmpk_lt_u32 s38, 0x1201
	v_add_co_u32_e32 v28, vcc, s0, v0
	s_cselect_b32 s0, s11, 0x480
	v_mov_b32_e32 v20, s1
	s_ashr_i32 s1, s0, 31
	s_lshl_b64 s[0:1], s[0:1], 1
	v_addc_co_u32_e32 v29, vcc, v1, v20, vcc
	s_cmpk_lt_u32 s38, 0x1301
	v_add_co_u32_e32 v30, vcc, s0, v0
	s_cselect_b32 s0, s11, 0x4c0
	v_mov_b32_e32 v20, s1
	s_ashr_i32 s1, s0, 31
	s_lshl_b64 s[0:1], s[0:1], 1
	v_addc_co_u32_e32 v31, vcc, v1, v20, vcc
	;; [unrolled: 7-line block ×7, first 2 shown]
	s_cmpk_lt_u32 s38, 0x1901
	global_load_ushort v27, v[0:1], off offset:2048
	global_load_ushort v26, v[28:29], off
	global_load_ushort v25, v[30:31], off
	global_load_ushort v24, v[32:33], off
	global_load_ushort v23, v[34:35], off
	global_load_ushort v22, v[36:37], off
	global_load_ushort v20, v[38:39], off
	global_load_ushort v21, v[40:41], off
	v_add_co_u32_e32 v36, vcc, s0, v0
	s_cselect_b32 s0, s11, 0x640
	v_mov_b32_e32 v28, s1
	s_ashr_i32 s1, s0, 31
	s_lshl_b64 s[0:1], s[0:1], 1
	v_addc_co_u32_e32 v37, vcc, v1, v28, vcc
	s_cmpk_lt_u32 s38, 0x1a01
	v_add_co_u32_e32 v38, vcc, s0, v0
	s_cselect_b32 s0, s11, 0x680
	v_mov_b32_e32 v28, s1
	s_ashr_i32 s1, s0, 31
	s_lshl_b64 s[0:1], s[0:1], 1
	v_addc_co_u32_e32 v39, vcc, v1, v28, vcc
	s_cmpk_lt_u32 s38, 0x1b01
	;; [unrolled: 7-line block ×6, first 2 shown]
	v_add_co_u32_e32 v48, vcc, s0, v0
	s_cselect_b32 s0, s11, 0x7c0
	v_mov_b32_e32 v28, s1
	s_ashr_i32 s1, s0, 31
	v_addc_co_u32_e32 v49, vcc, v1, v28, vcc
	s_lshl_b64 s[0:1], s[0:1], 1
	v_mov_b32_e32 v28, s1
	v_add_co_u32_e32 v50, vcc, s0, v0
	v_addc_co_u32_e32 v51, vcc, v1, v28, vcc
	global_load_ushort v35, v[36:37], off
	global_load_ushort v34, v[38:39], off
	;; [unrolled: 1-line block ×8, first 2 shown]
	s_cmpk_lt_u32 s38, 0x2001
	v_mov_b32_e32 v67, 0
	v_mov_b32_e32 v66, 0
	v_mov_b32_e32 v65, 0
	v_mov_b32_e32 v64, 0
	v_mov_b32_e32 v63, 0
	v_mov_b32_e32 v62, 0
	v_mov_b32_e32 v61, 0
	v_mov_b32_e32 v60, 0
	v_mov_b32_e32 v59, 0
	v_mov_b32_e32 v58, 0
	v_mov_b32_e32 v57, 0
	v_mov_b32_e32 v56, 0
	v_mov_b32_e32 v55, 0
	v_mov_b32_e32 v54, 0
	v_mov_b32_e32 v53, 0
	v_mov_b32_e32 v52, 0
	v_mov_b32_e32 v51, 0
	v_mov_b32_e32 v50, 0
	v_mov_b32_e32 v49, 0
	v_mov_b32_e32 v48, 0
	v_mov_b32_e32 v47, 0
	v_mov_b32_e32 v46, 0
	v_mov_b32_e32 v45, 0
	v_mov_b32_e32 v44, 0
	v_mov_b32_e32 v43, 0
	v_mov_b32_e32 v42, 0
	v_mov_b32_e32 v41, 0
	v_mov_b32_e32 v40, 0
	v_mov_b32_e32 v39, 0
	v_mov_b32_e32 v38, 0
	v_mov_b32_e32 v37, 0
	v_mov_b32_e32 v36, 0
	s_cbranch_scc1 .LBB20_12
; %bb.11:
	s_cmpk_lt_u32 s38, 0x2101
	s_cselect_b32 s0, s11, 0x840
	s_ashr_i32 s1, s0, 31
	v_add_co_u32_e32 v36, vcc, 0x1000, v0
	s_lshl_b64 s[0:1], s[0:1], 1
	v_addc_co_u32_e32 v37, vcc, 0, v1, vcc
	s_cmpk_lt_u32 s38, 0x2201
	v_add_co_u32_e32 v38, vcc, s0, v0
	s_cselect_b32 s0, s11, 0x880
	v_mov_b32_e32 v39, s1
	s_ashr_i32 s1, s0, 31
	s_lshl_b64 s[0:1], s[0:1], 1
	v_addc_co_u32_e32 v39, vcc, v1, v39, vcc
	s_cmpk_lt_u32 s38, 0x2301
	v_add_co_u32_e32 v40, vcc, s0, v0
	s_cselect_b32 s0, s11, 0x8c0
	v_mov_b32_e32 v41, s1
	s_ashr_i32 s1, s0, 31
	s_lshl_b64 s[0:1], s[0:1], 1
	v_addc_co_u32_e32 v41, vcc, v1, v41, vcc
	s_cmpk_lt_u32 s38, 0x2401
	v_add_co_u32_e32 v42, vcc, s0, v0
	s_cselect_b32 s0, s11, 0x900
	v_mov_b32_e32 v43, s1
	s_ashr_i32 s1, s0, 31
	s_lshl_b64 s[0:1], s[0:1], 1
	v_addc_co_u32_e32 v43, vcc, v1, v43, vcc
	s_cmpk_lt_u32 s38, 0x2501
	v_add_co_u32_e32 v44, vcc, s0, v0
	s_cselect_b32 s0, s11, 0x940
	v_mov_b32_e32 v45, s1
	s_ashr_i32 s1, s0, 31
	s_lshl_b64 s[0:1], s[0:1], 1
	v_addc_co_u32_e32 v45, vcc, v1, v45, vcc
	s_cmpk_lt_u32 s38, 0x2601
	v_add_co_u32_e32 v46, vcc, s0, v0
	s_cselect_b32 s0, s11, 0x980
	v_mov_b32_e32 v47, s1
	s_ashr_i32 s1, s0, 31
	s_lshl_b64 s[0:1], s[0:1], 1
	v_addc_co_u32_e32 v47, vcc, v1, v47, vcc
	s_cmpk_lt_u32 s38, 0x2701
	v_add_co_u32_e32 v48, vcc, s0, v0
	s_cselect_b32 s0, s11, 0x9c0
	v_mov_b32_e32 v49, s1
	s_ashr_i32 s1, s0, 31
	s_lshl_b64 s[0:1], s[0:1], 1
	v_addc_co_u32_e32 v49, vcc, v1, v49, vcc
	s_cmpk_lt_u32 s38, 0x2801
	v_add_co_u32_e32 v50, vcc, s0, v0
	s_cselect_b32 s0, s11, 0xa00
	v_mov_b32_e32 v51, s1
	s_ashr_i32 s1, s0, 31
	s_lshl_b64 s[0:1], s[0:1], 1
	v_addc_co_u32_e32 v51, vcc, v1, v51, vcc
	s_cmpk_lt_u32 s38, 0x2901
	global_load_ushort v52, v[36:37], off
	global_load_ushort v53, v[38:39], off
	global_load_ushort v54, v[40:41], off
	global_load_ushort v55, v[42:43], off
	global_load_ushort v56, v[44:45], off
	global_load_ushort v57, v[46:47], off
	global_load_ushort v58, v[48:49], off
	global_load_ushort v59, v[50:51], off
	v_add_co_u32_e32 v36, vcc, s0, v0
	s_cselect_b32 s0, s11, 0xa40
	v_mov_b32_e32 v37, s1
	s_ashr_i32 s1, s0, 31
	s_lshl_b64 s[0:1], s[0:1], 1
	v_addc_co_u32_e32 v37, vcc, v1, v37, vcc
	s_cmpk_lt_u32 s38, 0x2a01
	v_add_co_u32_e32 v38, vcc, s0, v0
	s_cselect_b32 s0, s11, 0xa80
	v_mov_b32_e32 v39, s1
	s_ashr_i32 s1, s0, 31
	s_lshl_b64 s[0:1], s[0:1], 1
	v_addc_co_u32_e32 v39, vcc, v1, v39, vcc
	s_cmpk_lt_u32 s38, 0x2b01
	v_add_co_u32_e32 v40, vcc, s0, v0
	s_cselect_b32 s0, s11, 0xac0
	v_mov_b32_e32 v41, s1
	s_ashr_i32 s1, s0, 31
	s_lshl_b64 s[0:1], s[0:1], 1
	v_addc_co_u32_e32 v41, vcc, v1, v41, vcc
	s_cmpk_lt_u32 s38, 0x2c01
	v_add_co_u32_e32 v42, vcc, s0, v0
	s_cselect_b32 s0, s11, 0xb00
	v_mov_b32_e32 v43, s1
	s_ashr_i32 s1, s0, 31
	s_lshl_b64 s[0:1], s[0:1], 1
	v_addc_co_u32_e32 v43, vcc, v1, v43, vcc
	s_cmpk_lt_u32 s38, 0x2d01
	v_add_co_u32_e32 v44, vcc, s0, v0
	s_cselect_b32 s0, s11, 0xb40
	v_mov_b32_e32 v45, s1
	s_ashr_i32 s1, s0, 31
	s_lshl_b64 s[0:1], s[0:1], 1
	v_addc_co_u32_e32 v45, vcc, v1, v45, vcc
	s_cmpk_lt_u32 s38, 0x2e01
	v_add_co_u32_e32 v46, vcc, s0, v0
	s_cselect_b32 s0, s11, 0xb80
	v_mov_b32_e32 v47, s1
	s_ashr_i32 s1, s0, 31
	s_lshl_b64 s[0:1], s[0:1], 1
	v_addc_co_u32_e32 v47, vcc, v1, v47, vcc
	s_cmpk_lt_u32 s38, 0x2f01
	v_add_co_u32_e32 v48, vcc, s0, v0
	s_cselect_b32 s0, s11, 0xbc0
	v_mov_b32_e32 v49, s1
	s_ashr_i32 s1, s0, 31
	s_lshl_b64 s[0:1], s[0:1], 1
	v_addc_co_u32_e32 v49, vcc, v1, v49, vcc
	s_cmpk_lt_u32 s38, 0x3001
	v_add_co_u32_e32 v50, vcc, s0, v0
	s_cselect_b32 s0, s11, 0xc00
	v_mov_b32_e32 v51, s1
	s_ashr_i32 s1, s0, 31
	s_lshl_b64 s[0:1], s[0:1], 1
	v_addc_co_u32_e32 v51, vcc, v1, v51, vcc
	s_cmpk_lt_u32 s38, 0x3101
	global_load_ushort v68, v[36:37], off
	global_load_ushort v69, v[38:39], off
	global_load_ushort v70, v[40:41], off
	global_load_ushort v71, v[42:43], off
	global_load_ushort v72, v[44:45], off
	global_load_ushort v73, v[46:47], off
	global_load_ushort v74, v[48:49], off
	global_load_ushort v75, v[50:51], off
	v_add_co_u32_e32 v36, vcc, s0, v0
	s_cselect_b32 s0, s11, 0xc40
	v_mov_b32_e32 v37, s1
	s_ashr_i32 s1, s0, 31
	;; [unrolled: 64-line block ×3, first 2 shown]
	s_lshl_b64 s[0:1], s[0:1], 1
	v_addc_co_u32_e32 v37, vcc, v1, v37, vcc
	s_cmpk_lt_u32 s38, 0x3a01
	v_add_co_u32_e32 v38, vcc, s0, v0
	s_cselect_b32 s0, s11, 0xe80
	v_mov_b32_e32 v39, s1
	s_ashr_i32 s1, s0, 31
	s_lshl_b64 s[0:1], s[0:1], 1
	v_addc_co_u32_e32 v39, vcc, v1, v39, vcc
	s_cmpk_lt_u32 s38, 0x3b01
	v_add_co_u32_e32 v40, vcc, s0, v0
	s_cselect_b32 s0, s11, 0xec0
	v_mov_b32_e32 v41, s1
	s_ashr_i32 s1, s0, 31
	;; [unrolled: 7-line block ×6, first 2 shown]
	v_addc_co_u32_e32 v49, vcc, v1, v49, vcc
	s_lshl_b64 s[0:1], s[0:1], 1
	v_mov_b32_e32 v51, s1
	v_add_co_u32_e32 v50, vcc, s0, v0
	v_addc_co_u32_e32 v51, vcc, v1, v51, vcc
	global_load_ushort v84, v[36:37], off
	global_load_ushort v85, v[38:39], off
	;; [unrolled: 1-line block ×8, first 2 shown]
	s_waitcnt vmcnt(31)
	v_cvt_f32_f16_e32 v67, v52
	s_waitcnt vmcnt(30)
	v_cvt_f32_f16_e32 v66, v53
	;; [unrolled: 2-line block ×32, first 2 shown]
.LBB20_12:
	ds_read_b128 v[68:71], v3
	s_load_dwordx2 s[0:1], s[4:5], 0x0
	s_load_dwordx2 s[2:3], s[4:5], 0x38
	ds_read_b128 v[72:75], v3 offset:16
	ds_read_b128 v[76:79], v3 offset:32
	;; [unrolled: 1-line block ×3, first 2 shown]
	s_and_b64 vcc, exec, s[8:9]
	s_waitcnt vmcnt(15) lgkmcnt(0)
	v_fma_mix_f32 v4, v68, v4, 0 op_sel_hi:[0,1,0]
	s_waitcnt vmcnt(14)
	v_fma_mix_f32 v4, v69, v5, v4 op_sel_hi:[0,1,0]
	s_waitcnt vmcnt(13)
	;; [unrolled: 2-line block ×15, first 2 shown]
	v_fma_mix_f32 v4, v83, v19, v4 op_sel_hi:[0,1,0]
	s_cbranch_vccz .LBB20_15
; %bb.13:
	ds_read_b128 v[6:9], v3 offset:64
	ds_read_b128 v[10:13], v3 offset:80
	;; [unrolled: 1-line block ×4, first 2 shown]
	s_cmpk_lt_u32 s38, 0x2001
	s_waitcnt lgkmcnt(3)
	v_fma_mix_f32 v3, v6, v27, v4 op_sel_hi:[0,1,0]
	v_fma_mix_f32 v3, v7, v26, v3 op_sel_hi:[0,1,0]
	v_fma_mix_f32 v3, v8, v25, v3 op_sel_hi:[0,1,0]
	v_fma_mix_f32 v3, v9, v24, v3 op_sel_hi:[0,1,0]
	s_waitcnt lgkmcnt(2)
	v_fma_mix_f32 v3, v10, v23, v3 op_sel_hi:[0,1,0]
	v_fma_mix_f32 v3, v11, v22, v3 op_sel_hi:[0,1,0]
	v_fma_mix_f32 v3, v12, v20, v3 op_sel_hi:[0,1,0]
	v_fma_mix_f32 v3, v13, v21, v3 op_sel_hi:[0,1,0]
	;; [unrolled: 5-line block ×4, first 2 shown]
	s_cbranch_scc1 .LBB20_15
; %bb.14:
	v_mov_b32_e32 v3, 0
	ds_read_b128 v[6:9], v3 offset:128
	ds_read_b128 v[10:13], v3 offset:144
	;; [unrolled: 1-line block ×4, first 2 shown]
	s_waitcnt lgkmcnt(3)
	v_fmac_f32_e32 v4, v6, v67
	v_fmac_f32_e32 v4, v7, v66
	v_fmac_f32_e32 v4, v8, v65
	v_fmac_f32_e32 v4, v9, v64
	s_waitcnt lgkmcnt(2)
	v_fmac_f32_e32 v4, v10, v63
	v_fmac_f32_e32 v4, v11, v62
	v_fmac_f32_e32 v4, v12, v61
	v_fmac_f32_e32 v4, v13, v60
	;; [unrolled: 5-line block ×3, first 2 shown]
	ds_read_b128 v[6:9], v3 offset:192
	ds_read_b128 v[10:13], v3 offset:208
	s_waitcnt lgkmcnt(2)
	v_fmac_f32_e32 v4, v18, v55
	v_fmac_f32_e32 v4, v19, v54
	;; [unrolled: 1-line block ×4, first 2 shown]
	s_waitcnt lgkmcnt(1)
	v_fmac_f32_e32 v4, v6, v51
	v_fmac_f32_e32 v4, v7, v50
	;; [unrolled: 1-line block ×4, first 2 shown]
	ds_read_b128 v[6:9], v3 offset:224
	s_waitcnt lgkmcnt(1)
	v_fmac_f32_e32 v4, v10, v47
	v_fmac_f32_e32 v4, v11, v46
	;; [unrolled: 1-line block ×4, first 2 shown]
	ds_read_b128 v[10:13], v3 offset:240
	s_waitcnt lgkmcnt(1)
	v_fmac_f32_e32 v4, v6, v43
	v_fmac_f32_e32 v4, v7, v42
	;; [unrolled: 1-line block ×4, first 2 shown]
	s_waitcnt lgkmcnt(0)
	v_fmac_f32_e32 v4, v10, v39
	v_fmac_f32_e32 v4, v11, v38
	v_fmac_f32_e32 v4, v12, v37
	v_fmac_f32_e32 v4, v13, v36
.LBB20_15:
	s_movk_i32 s4, 0x1fc0
	s_movk_i32 s5, 0x100
	s_mov_b32 s8, 64
	s_branch .LBB20_17
.LBB20_16:                              ;   in Loop: Header=BB20_17 Depth=1
	s_addk_i32 s4, 0x1000
	s_addk_i32 s5, 0x100
	s_add_i32 s8, s8, 64
	s_cmpk_eq_i32 s4, 0x5fc0
	s_cbranch_scc1 .LBB20_19
.LBB20_17:                              ; =>This Inner Loop Header: Depth=1
	s_cmp_le_i32 s33, s8
	s_cbranch_scc1 .LBB20_16
; %bb.18:                               ;   in Loop: Header=BB20_17 Depth=1
	s_add_i32 s9, s4, 0xfffff040
	s_cmp_lt_i32 s9, s10
	s_cselect_b32 s12, s9, s11
	s_ashr_i32 s13, s12, 31
	s_lshl_b64 s[12:13], s[12:13], 1
	s_add_i32 s9, s4, 0xfffff080
	s_cmp_lt_i32 s9, s10
	v_add_co_u32_e32 v12, vcc, s12, v0
	s_cselect_b32 s12, s9, s11
	v_mov_b32_e32 v3, s13
	s_ashr_i32 s13, s12, 31
	s_lshl_b64 s[12:13], s[12:13], 1
	s_add_i32 s9, s4, 0xfffff0c0
	v_addc_co_u32_e32 v13, vcc, v1, v3, vcc
	s_cmp_lt_i32 s9, s10
	v_add_co_u32_e32 v14, vcc, s12, v0
	s_cselect_b32 s12, s9, s11
	v_mov_b32_e32 v3, s13
	s_ashr_i32 s13, s12, 31
	s_lshl_b64 s[12:13], s[12:13], 1
	s_add_i32 s9, s4, 0xfffff100
	v_addc_co_u32_e32 v15, vcc, v1, v3, vcc
	;; [unrolled: 8-line block ×8, first 2 shown]
	s_cmp_lt_i32 s9, s10
	global_load_ushort v3, v[12:13], off
	global_load_ushort v5, v[14:15], off
	;; [unrolled: 1-line block ×8, first 2 shown]
	v_add_co_u32_e32 v20, vcc, s12, v0
	s_cselect_b32 s12, s9, s11
	v_mov_b32_e32 v12, s13
	s_ashr_i32 s13, s12, 31
	s_lshl_b64 s[12:13], s[12:13], 1
	s_add_i32 s9, s4, 0xfffff2c0
	v_addc_co_u32_e32 v21, vcc, v1, v12, vcc
	s_cmp_lt_i32 s9, s10
	v_add_co_u32_e32 v22, vcc, s12, v0
	s_cselect_b32 s12, s9, s11
	v_mov_b32_e32 v12, s13
	s_ashr_i32 s13, s12, 31
	s_lshl_b64 s[12:13], s[12:13], 1
	s_add_i32 s9, s4, 0xfffff300
	v_addc_co_u32_e32 v23, vcc, v1, v12, vcc
	s_cmp_lt_i32 s9, s10
	;; [unrolled: 8-line block ×8, first 2 shown]
	global_load_ushort v15, v[20:21], off
	global_load_ushort v16, v[22:23], off
	;; [unrolled: 1-line block ×8, first 2 shown]
	v_add_co_u32_e32 v28, vcc, s12, v0
	s_cselect_b32 s12, s9, s11
	v_mov_b32_e32 v20, s13
	s_ashr_i32 s13, s12, 31
	s_lshl_b64 s[12:13], s[12:13], 1
	s_add_i32 s9, s4, 0xfffff4c0
	v_addc_co_u32_e32 v29, vcc, v1, v20, vcc
	s_cmp_lt_i32 s9, s10
	v_add_co_u32_e32 v30, vcc, s12, v0
	s_cselect_b32 s12, s9, s11
	v_mov_b32_e32 v20, s13
	s_ashr_i32 s13, s12, 31
	s_lshl_b64 s[12:13], s[12:13], 1
	s_add_i32 s9, s4, 0xfffff500
	v_addc_co_u32_e32 v31, vcc, v1, v20, vcc
	s_cmp_lt_i32 s9, s10
	;; [unrolled: 8-line block ×8, first 2 shown]
	global_load_ushort v23, v[28:29], off
	global_load_ushort v24, v[30:31], off
	;; [unrolled: 1-line block ×8, first 2 shown]
	v_add_co_u32_e32 v36, vcc, s12, v0
	s_cselect_b32 s12, s9, s11
	v_mov_b32_e32 v28, s13
	s_ashr_i32 s13, s12, 31
	s_lshl_b64 s[12:13], s[12:13], 1
	s_add_i32 s9, s4, 0xfffff6c0
	v_addc_co_u32_e32 v37, vcc, v1, v28, vcc
	s_cmp_lt_i32 s9, s10
	v_add_co_u32_e32 v38, vcc, s12, v0
	s_cselect_b32 s12, s9, s11
	v_mov_b32_e32 v28, s13
	s_ashr_i32 s13, s12, 31
	s_lshl_b64 s[12:13], s[12:13], 1
	s_add_i32 s9, s4, 0xfffff700
	v_addc_co_u32_e32 v39, vcc, v1, v28, vcc
	s_cmp_lt_i32 s9, s10
	;; [unrolled: 8-line block ×8, first 2 shown]
	global_load_ushort v31, v[36:37], off
	global_load_ushort v32, v[38:39], off
	;; [unrolled: 1-line block ×8, first 2 shown]
	v_add_co_u32_e32 v36, vcc, s12, v0
	s_cselect_b32 s12, s9, s11
	v_mov_b32_e32 v37, s13
	s_ashr_i32 s13, s12, 31
	s_lshl_b64 s[12:13], s[12:13], 1
	s_add_i32 s9, s4, 0xfffff8c0
	v_addc_co_u32_e32 v37, vcc, v1, v37, vcc
	s_cmp_lt_i32 s9, s10
	v_add_co_u32_e32 v38, vcc, s12, v0
	s_cselect_b32 s12, s9, s11
	v_mov_b32_e32 v39, s13
	s_ashr_i32 s13, s12, 31
	s_lshl_b64 s[12:13], s[12:13], 1
	s_add_i32 s9, s4, 0xfffff900
	v_addc_co_u32_e32 v39, vcc, v1, v39, vcc
	s_cmp_lt_i32 s9, s10
	;; [unrolled: 8-line block ×8, first 2 shown]
	global_load_ushort v52, v[36:37], off
	global_load_ushort v53, v[38:39], off
	;; [unrolled: 1-line block ×8, first 2 shown]
	v_add_co_u32_e32 v36, vcc, s12, v0
	s_cselect_b32 s12, s9, s11
	v_mov_b32_e32 v37, s13
	s_ashr_i32 s13, s12, 31
	s_lshl_b64 s[12:13], s[12:13], 1
	s_add_i32 s9, s4, 0xfffffac0
	v_addc_co_u32_e32 v37, vcc, v1, v37, vcc
	s_cmp_lt_i32 s9, s10
	v_add_co_u32_e32 v38, vcc, s12, v0
	s_cselect_b32 s12, s9, s11
	v_mov_b32_e32 v39, s13
	s_ashr_i32 s13, s12, 31
	s_lshl_b64 s[12:13], s[12:13], 1
	s_add_i32 s9, s4, 0xfffffb00
	v_addc_co_u32_e32 v39, vcc, v1, v39, vcc
	s_cmp_lt_i32 s9, s10
	;; [unrolled: 8-line block ×8, first 2 shown]
	global_load_ushort v60, v[36:37], off
	global_load_ushort v61, v[38:39], off
	;; [unrolled: 1-line block ×8, first 2 shown]
	v_add_co_u32_e32 v36, vcc, s12, v0
	s_cselect_b32 s12, s9, s11
	v_mov_b32_e32 v37, s13
	s_ashr_i32 s13, s12, 31
	s_lshl_b64 s[12:13], s[12:13], 1
	s_add_i32 s9, s4, 0xfffffcc0
	v_addc_co_u32_e32 v37, vcc, v1, v37, vcc
	s_cmp_lt_i32 s9, s10
	v_add_co_u32_e32 v38, vcc, s12, v0
	s_cselect_b32 s12, s9, s11
	v_mov_b32_e32 v39, s13
	s_ashr_i32 s13, s12, 31
	s_lshl_b64 s[12:13], s[12:13], 1
	s_add_i32 s9, s4, 0xfffffd00
	v_addc_co_u32_e32 v39, vcc, v1, v39, vcc
	s_cmp_lt_i32 s9, s10
	;; [unrolled: 8-line block ×8, first 2 shown]
	global_load_ushort v68, v[36:37], off
	global_load_ushort v69, v[38:39], off
	;; [unrolled: 1-line block ×8, first 2 shown]
	v_add_co_u32_e32 v36, vcc, s12, v0
	s_cselect_b32 s12, s9, s11
	v_mov_b32_e32 v37, s13
	s_ashr_i32 s13, s12, 31
	s_lshl_b64 s[12:13], s[12:13], 1
	s_add_i32 s9, s4, 0xfffffec0
	v_addc_co_u32_e32 v37, vcc, v1, v37, vcc
	s_cmp_lt_i32 s9, s10
	v_add_co_u32_e32 v38, vcc, s12, v0
	s_cselect_b32 s12, s9, s11
	v_mov_b32_e32 v39, s13
	s_ashr_i32 s13, s12, 31
	s_lshl_b64 s[12:13], s[12:13], 1
	s_add_i32 s9, s4, 0xffffff00
	v_addc_co_u32_e32 v39, vcc, v1, v39, vcc
	s_cmp_lt_i32 s9, s10
	;; [unrolled: 8-line block ×4, first 2 shown]
	v_add_co_u32_e32 v44, vcc, s12, v0
	s_cselect_b32 s12, s9, s11
	v_mov_b32_e32 v45, s13
	s_ashr_i32 s13, s12, 31
	s_lshl_b64 s[12:13], s[12:13], 1
	s_sub_i32 s9, s4, 64
	v_addc_co_u32_e32 v45, vcc, v1, v45, vcc
	s_cmp_lt_i32 s9, s10
	v_add_co_u32_e32 v46, vcc, s12, v0
	s_cselect_b32 s12, s9, s11
	v_mov_b32_e32 v47, s13
	s_ashr_i32 s13, s12, 31
	s_lshl_b64 s[12:13], s[12:13], 1
	v_addc_co_u32_e32 v47, vcc, v1, v47, vcc
	s_cmp_lt_i32 s4, s10
	v_add_co_u32_e32 v48, vcc, s12, v0
	s_cselect_b32 s12, s4, s11
	v_mov_b32_e32 v49, s13
	s_ashr_i32 s13, s12, 31
	v_addc_co_u32_e32 v49, vcc, v1, v49, vcc
	s_lshl_b64 s[12:13], s[12:13], 1
	v_mov_b32_e32 v51, s13
	v_add_co_u32_e32 v50, vcc, s12, v0
	v_addc_co_u32_e32 v51, vcc, v1, v51, vcc
	global_load_ushort v76, v[36:37], off
	global_load_ushort v77, v[38:39], off
	;; [unrolled: 1-line block ×8, first 2 shown]
	v_mov_b32_e32 v84, s5
	ds_read_b128 v[36:39], v84
	ds_read_b128 v[40:43], v84 offset:16
	ds_read_b128 v[44:47], v84 offset:32
	ds_read_b128 v[48:51], v84 offset:48
	s_waitcnt vmcnt(62) lgkmcnt(3)
	v_fma_mix_f32 v3, v36, v3, v4 op_sel_hi:[0,1,0]
	v_fma_mix_f32 v3, v37, v5, v3 op_sel_hi:[0,1,0]
	s_waitcnt vmcnt(61)
	v_fma_mix_f32 v3, v38, v6, v3 op_sel_hi:[0,1,0]
	s_waitcnt vmcnt(60)
	v_fma_mix_f32 v3, v39, v7, v3 op_sel_hi:[0,1,0]
	s_waitcnt vmcnt(59) lgkmcnt(2)
	v_fma_mix_f32 v3, v40, v8, v3 op_sel_hi:[0,1,0]
	s_waitcnt vmcnt(58)
	v_fma_mix_f32 v3, v41, v9, v3 op_sel_hi:[0,1,0]
	s_waitcnt vmcnt(57)
	;; [unrolled: 2-line block ×3, first 2 shown]
	v_fma_mix_f32 v3, v43, v11, v3 op_sel_hi:[0,1,0]
	s_waitcnt vmcnt(55) lgkmcnt(1)
	v_fma_mix_f32 v3, v44, v15, v3 op_sel_hi:[0,1,0]
	s_waitcnt vmcnt(54)
	v_fma_mix_f32 v3, v45, v16, v3 op_sel_hi:[0,1,0]
	s_waitcnt vmcnt(53)
	;; [unrolled: 2-line block ×3, first 2 shown]
	v_fma_mix_f32 v3, v47, v18, v3 op_sel_hi:[0,1,0]
	ds_read_b128 v[4:7], v84 offset:64
	ds_read_b128 v[8:11], v84 offset:80
	s_waitcnt vmcnt(51) lgkmcnt(2)
	v_fma_mix_f32 v3, v48, v19, v3 op_sel_hi:[0,1,0]
	s_waitcnt vmcnt(50)
	v_fma_mix_f32 v3, v49, v12, v3 op_sel_hi:[0,1,0]
	s_waitcnt vmcnt(49)
	v_fma_mix_f32 v3, v50, v13, v3 op_sel_hi:[0,1,0]
	s_waitcnt vmcnt(48)
	v_fma_mix_f32 v3, v51, v14, v3 op_sel_hi:[0,1,0]
	s_waitcnt vmcnt(47) lgkmcnt(1)
	v_fma_mix_f32 v3, v4, v23, v3 op_sel_hi:[0,1,0]
	s_waitcnt vmcnt(46)
	v_fma_mix_f32 v3, v5, v24, v3 op_sel_hi:[0,1,0]
	s_waitcnt vmcnt(45)
	v_fma_mix_f32 v3, v6, v25, v3 op_sel_hi:[0,1,0]
	s_waitcnt vmcnt(44)
	v_fma_mix_f32 v3, v7, v26, v3 op_sel_hi:[0,1,0]
	ds_read_b128 v[4:7], v84 offset:96
	s_waitcnt vmcnt(43) lgkmcnt(1)
	v_fma_mix_f32 v3, v8, v27, v3 op_sel_hi:[0,1,0]
	s_waitcnt vmcnt(42)
	v_fma_mix_f32 v3, v9, v20, v3 op_sel_hi:[0,1,0]
	s_waitcnt vmcnt(41)
	v_fma_mix_f32 v3, v10, v21, v3 op_sel_hi:[0,1,0]
	s_waitcnt vmcnt(40)
	v_fma_mix_f32 v3, v11, v22, v3 op_sel_hi:[0,1,0]
	ds_read_b128 v[8:11], v84 offset:112
	s_waitcnt vmcnt(39) lgkmcnt(1)
	v_fma_mix_f32 v3, v4, v31, v3 op_sel_hi:[0,1,0]
	s_waitcnt vmcnt(38)
	v_fma_mix_f32 v3, v5, v32, v3 op_sel_hi:[0,1,0]
	s_waitcnt vmcnt(37)
	v_fma_mix_f32 v3, v6, v33, v3 op_sel_hi:[0,1,0]
	s_waitcnt vmcnt(36)
	v_fma_mix_f32 v3, v7, v34, v3 op_sel_hi:[0,1,0]
	ds_read_b128 v[4:7], v84 offset:128
	s_waitcnt vmcnt(35) lgkmcnt(1)
	v_fma_mix_f32 v3, v8, v35, v3 op_sel_hi:[0,1,0]
	s_waitcnt vmcnt(34)
	v_fma_mix_f32 v3, v9, v28, v3 op_sel_hi:[0,1,0]
	s_waitcnt vmcnt(33)
	v_fma_mix_f32 v3, v10, v29, v3 op_sel_hi:[0,1,0]
	s_waitcnt vmcnt(32)
	v_fma_mix_f32 v3, v11, v30, v3 op_sel_hi:[0,1,0]
	ds_read_b128 v[8:11], v84 offset:144
	s_waitcnt vmcnt(31) lgkmcnt(1)
	v_fma_mix_f32 v3, v4, v52, v3 op_sel_hi:[0,1,0]
	s_waitcnt vmcnt(30)
	v_fma_mix_f32 v3, v5, v53, v3 op_sel_hi:[0,1,0]
	s_waitcnt vmcnt(29)
	v_fma_mix_f32 v3, v6, v54, v3 op_sel_hi:[0,1,0]
	s_waitcnt vmcnt(28)
	v_fma_mix_f32 v3, v7, v55, v3 op_sel_hi:[0,1,0]
	ds_read_b128 v[4:7], v84 offset:160
	s_waitcnt vmcnt(27) lgkmcnt(1)
	v_fma_mix_f32 v3, v8, v56, v3 op_sel_hi:[0,1,0]
	s_waitcnt vmcnt(26)
	v_fma_mix_f32 v3, v9, v57, v3 op_sel_hi:[0,1,0]
	s_waitcnt vmcnt(25)
	v_fma_mix_f32 v3, v10, v58, v3 op_sel_hi:[0,1,0]
	s_waitcnt vmcnt(24)
	v_fma_mix_f32 v3, v11, v59, v3 op_sel_hi:[0,1,0]
	ds_read_b128 v[8:11], v84 offset:176
	s_waitcnt vmcnt(23) lgkmcnt(1)
	v_fma_mix_f32 v3, v4, v60, v3 op_sel_hi:[0,1,0]
	s_waitcnt vmcnt(22)
	v_fma_mix_f32 v3, v5, v61, v3 op_sel_hi:[0,1,0]
	s_waitcnt vmcnt(21)
	v_fma_mix_f32 v3, v6, v62, v3 op_sel_hi:[0,1,0]
	s_waitcnt vmcnt(20)
	v_fma_mix_f32 v3, v7, v63, v3 op_sel_hi:[0,1,0]
	ds_read_b128 v[4:7], v84 offset:192
	s_waitcnt vmcnt(19) lgkmcnt(1)
	v_fma_mix_f32 v3, v8, v64, v3 op_sel_hi:[0,1,0]
	s_waitcnt vmcnt(18)
	v_fma_mix_f32 v3, v9, v65, v3 op_sel_hi:[0,1,0]
	s_waitcnt vmcnt(17)
	v_fma_mix_f32 v3, v10, v66, v3 op_sel_hi:[0,1,0]
	s_waitcnt vmcnt(16)
	v_fma_mix_f32 v3, v11, v67, v3 op_sel_hi:[0,1,0]
	ds_read_b128 v[8:11], v84 offset:208
	s_waitcnt vmcnt(15) lgkmcnt(1)
	v_fma_mix_f32 v3, v4, v68, v3 op_sel_hi:[0,1,0]
	s_waitcnt vmcnt(14)
	v_fma_mix_f32 v3, v5, v69, v3 op_sel_hi:[0,1,0]
	s_waitcnt vmcnt(13)
	v_fma_mix_f32 v3, v6, v70, v3 op_sel_hi:[0,1,0]
	s_waitcnt vmcnt(12)
	v_fma_mix_f32 v3, v7, v71, v3 op_sel_hi:[0,1,0]
	ds_read_b128 v[4:7], v84 offset:224
	s_waitcnt vmcnt(11) lgkmcnt(1)
	v_fma_mix_f32 v3, v8, v72, v3 op_sel_hi:[0,1,0]
	s_waitcnt vmcnt(10)
	v_fma_mix_f32 v3, v9, v73, v3 op_sel_hi:[0,1,0]
	s_waitcnt vmcnt(9)
	v_fma_mix_f32 v3, v10, v74, v3 op_sel_hi:[0,1,0]
	s_waitcnt vmcnt(8)
	v_fma_mix_f32 v3, v11, v75, v3 op_sel_hi:[0,1,0]
	ds_read_b128 v[8:11], v84 offset:240
	s_waitcnt vmcnt(7) lgkmcnt(1)
	v_fma_mix_f32 v3, v4, v76, v3 op_sel_hi:[0,1,0]
	s_waitcnt vmcnt(6)
	v_fma_mix_f32 v3, v5, v77, v3 op_sel_hi:[0,1,0]
	s_waitcnt vmcnt(5)
	;; [unrolled: 2-line block ×3, first 2 shown]
	v_fma_mix_f32 v3, v7, v79, v3 op_sel_hi:[0,1,0]
	s_waitcnt vmcnt(3) lgkmcnt(0)
	v_fma_mix_f32 v3, v8, v80, v3 op_sel_hi:[0,1,0]
	s_waitcnt vmcnt(2)
	v_fma_mix_f32 v3, v9, v81, v3 op_sel_hi:[0,1,0]
	s_waitcnt vmcnt(1)
	;; [unrolled: 2-line block ×3, first 2 shown]
	v_fma_mix_f32 v4, v11, v83, v3 op_sel_hi:[0,1,0]
	s_branch .LBB20_16
.LBB20_19:
	v_mov_b32_e32 v0, 0
	ds_read_b32 v1, v0 offset:1280
	s_cmp_lg_u64 s[2:3], 0
	s_cbranch_scc0 .LBB20_24
; %bb.20:
	s_load_dword s4, s[2:3], 0x0
	s_waitcnt lgkmcnt(0)
	v_div_scale_f32 v0, s[2:3], s4, s4, 1.0
	v_rcp_f32_e32 v3, v0
	v_div_scale_f32 v5, vcc, 1.0, s4, 1.0
	v_fma_f32 v6, -v0, v3, 1.0
	v_fmac_f32_e32 v3, v6, v3
	v_mul_f32_e32 v6, v5, v3
	v_fma_f32 v7, -v0, v6, v5
	v_fmac_f32_e32 v6, v7, v3
	v_fma_f32 v0, -v0, v6, v5
	v_div_fmas_f32 v0, v0, v3, v6
	v_div_fixup_f32 v0, v0, s4, 1.0
	s_andn2_b64 vcc, exec, s[26:27]
	s_cbranch_vccnz .LBB20_22
.LBB20_21:
	s_add_u32 s2, s24, s28
	s_addc_u32 s3, s25, s29
	s_load_dword s14, s[2:3], 0x0
	s_mov_b32 s15, 0
.LBB20_22:
	s_waitcnt lgkmcnt(0)
	v_add_f32_e32 v1, 0x358637bd, v1
	v_div_scale_f32 v3, s[2:3], v1, v1, 1.0
	v_rcp_f32_e32 v5, v3
	v_div_scale_f32 v6, vcc, 1.0, v1, 1.0
	s_mul_i32 s2, s7, s15
	v_fma_f32 v7, -v3, v5, 1.0
	v_fmac_f32_e32 v5, v7, v5
	v_mul_f32_e32 v7, v6, v5
	v_fma_f32 v8, -v3, v7, v6
	s_mul_hi_u32 s3, s7, s14
	v_fmac_f32_e32 v7, v8, v5
	s_add_i32 s3, s3, s2
	s_mul_i32 s2, s7, s14
	v_fma_f32 v3, -v3, v7, v6
	s_lshl_b64 s[2:3], s[2:3], 7
	v_div_fmas_f32 v3, v3, v5, v7
	s_add_u32 s2, s0, s2
	s_mov_b32 s7, 0
	v_div_fixup_f32 v1, v3, v1, 1.0
	s_addc_u32 s3, s1, s3
	s_lshl_b64 s[0:1], s[6:7], 7
	v_mul_f32_e32 v1, v4, v1
	s_add_u32 s0, s2, s0
	s_addc_u32 s1, s3, s1
	v_fma_mixlo_f16 v0, v1, v0, 0
	global_store_short v2, v0, s[0:1]
	s_endpgm
.LBB20_23:
	s_mov_b64 s[2:3], 0
	s_branch .LBB20_2
.LBB20_24:
	v_mov_b32_e32 v0, 1.0
	s_andn2_b64 vcc, exec, s[26:27]
	s_cbranch_vccz .LBB20_21
	s_branch .LBB20_22
	.section	.rodata,"a",@progbits
	.p2align	6, 0x0
	.amdhsa_kernel _Z35paged_attention_ll4mi_reduce_kernelIDF16_DF16_Li64ELi64ELi256ELi5EEvPT0_PKfS3_PKT_PKiS8_iS3_
		.amdhsa_group_segment_fixed_size 1284
		.amdhsa_private_segment_fixed_size 0
		.amdhsa_kernarg_size 320
		.amdhsa_user_sgpr_count 6
		.amdhsa_user_sgpr_private_segment_buffer 1
		.amdhsa_user_sgpr_dispatch_ptr 0
		.amdhsa_user_sgpr_queue_ptr 0
		.amdhsa_user_sgpr_kernarg_segment_ptr 1
		.amdhsa_user_sgpr_dispatch_id 0
		.amdhsa_user_sgpr_flat_scratch_init 0
		.amdhsa_user_sgpr_kernarg_preload_length 0
		.amdhsa_user_sgpr_kernarg_preload_offset 0
		.amdhsa_user_sgpr_private_segment_size 0
		.amdhsa_uses_dynamic_stack 0
		.amdhsa_system_sgpr_private_segment_wavefront_offset 0
		.amdhsa_system_sgpr_workgroup_id_x 1
		.amdhsa_system_sgpr_workgroup_id_y 1
		.amdhsa_system_sgpr_workgroup_id_z 0
		.amdhsa_system_sgpr_workgroup_info 0
		.amdhsa_system_vgpr_workitem_id 0
		.amdhsa_next_free_vgpr 92
		.amdhsa_next_free_sgpr 39
		.amdhsa_accum_offset 92
		.amdhsa_reserve_vcc 1
		.amdhsa_reserve_flat_scratch 0
		.amdhsa_float_round_mode_32 0
		.amdhsa_float_round_mode_16_64 0
		.amdhsa_float_denorm_mode_32 3
		.amdhsa_float_denorm_mode_16_64 3
		.amdhsa_dx10_clamp 1
		.amdhsa_ieee_mode 1
		.amdhsa_fp16_overflow 0
		.amdhsa_tg_split 0
		.amdhsa_exception_fp_ieee_invalid_op 0
		.amdhsa_exception_fp_denorm_src 0
		.amdhsa_exception_fp_ieee_div_zero 0
		.amdhsa_exception_fp_ieee_overflow 0
		.amdhsa_exception_fp_ieee_underflow 0
		.amdhsa_exception_fp_ieee_inexact 0
		.amdhsa_exception_int_div_zero 0
	.end_amdhsa_kernel
	.section	.text._Z35paged_attention_ll4mi_reduce_kernelIDF16_DF16_Li64ELi64ELi256ELi5EEvPT0_PKfS3_PKT_PKiS8_iS3_,"axG",@progbits,_Z35paged_attention_ll4mi_reduce_kernelIDF16_DF16_Li64ELi64ELi256ELi5EEvPT0_PKfS3_PKT_PKiS8_iS3_,comdat
.Lfunc_end20:
	.size	_Z35paged_attention_ll4mi_reduce_kernelIDF16_DF16_Li64ELi64ELi256ELi5EEvPT0_PKfS3_PKT_PKiS8_iS3_, .Lfunc_end20-_Z35paged_attention_ll4mi_reduce_kernelIDF16_DF16_Li64ELi64ELi256ELi5EEvPT0_PKfS3_PKT_PKiS8_iS3_
                                        ; -- End function
	.section	.AMDGPU.csdata,"",@progbits
; Kernel info:
; codeLenInByte = 9668
; NumSgprs: 43
; NumVgprs: 92
; NumAgprs: 0
; TotalNumVgprs: 92
; ScratchSize: 0
; MemoryBound: 0
; FloatMode: 240
; IeeeMode: 1
; LDSByteSize: 1284 bytes/workgroup (compile time only)
; SGPRBlocks: 5
; VGPRBlocks: 11
; NumSGPRsForWavesPerEU: 43
; NumVGPRsForWavesPerEU: 92
; AccumOffset: 92
; Occupancy: 5
; WaveLimiterHint : 1
; COMPUTE_PGM_RSRC2:SCRATCH_EN: 0
; COMPUTE_PGM_RSRC2:USER_SGPR: 6
; COMPUTE_PGM_RSRC2:TRAP_HANDLER: 0
; COMPUTE_PGM_RSRC2:TGID_X_EN: 1
; COMPUTE_PGM_RSRC2:TGID_Y_EN: 1
; COMPUTE_PGM_RSRC2:TGID_Z_EN: 0
; COMPUTE_PGM_RSRC2:TIDIG_COMP_CNT: 0
; COMPUTE_PGM_RSRC3_GFX90A:ACCUM_OFFSET: 22
; COMPUTE_PGM_RSRC3_GFX90A:TG_SPLIT: 0
	.section	.text._Z35paged_attention_ll4mi_reduce_kernelIDF16_DF16_Li64ELi64ELi256ELi6EEvPT0_PKfS3_PKT_PKiS8_iS3_,"axG",@progbits,_Z35paged_attention_ll4mi_reduce_kernelIDF16_DF16_Li64ELi64ELi256ELi6EEvPT0_PKfS3_PKT_PKiS8_iS3_,comdat
	.protected	_Z35paged_attention_ll4mi_reduce_kernelIDF16_DF16_Li64ELi64ELi256ELi6EEvPT0_PKfS3_PKT_PKiS8_iS3_ ; -- Begin function _Z35paged_attention_ll4mi_reduce_kernelIDF16_DF16_Li64ELi64ELi256ELi6EEvPT0_PKfS3_PKT_PKiS8_iS3_
	.globl	_Z35paged_attention_ll4mi_reduce_kernelIDF16_DF16_Li64ELi64ELi256ELi6EEvPT0_PKfS3_PKT_PKiS8_iS3_
	.p2align	8
	.type	_Z35paged_attention_ll4mi_reduce_kernelIDF16_DF16_Li64ELi64ELi256ELi6EEvPT0_PKfS3_PKT_PKiS8_iS3_,@function
_Z35paged_attention_ll4mi_reduce_kernelIDF16_DF16_Li64ELi64ELi256ELi6EEvPT0_PKfS3_PKT_PKiS8_iS3_: ; @_Z35paged_attention_ll4mi_reduce_kernelIDF16_DF16_Li64ELi64ELi256ELi6EEvPT0_PKfS3_PKT_PKiS8_iS3_
; %bb.0:
	s_load_dwordx2 s[26:27], s[4:5], 0x28
	s_mov_b32 s24, s7
	s_mov_b64 s[0:1], 0
	s_waitcnt lgkmcnt(0)
	s_cmp_lg_u64 s[26:27], 0
	s_cselect_b64 s[28:29], -1, 0
	s_and_b64 vcc, exec, s[28:29]
	s_cbranch_vccz .LBB21_23
; %bb.1:
	s_add_i32 s2, s24, 1
	s_mov_b32 s3, 0
	s_lshl_b64 s[8:9], s[2:3], 2
	s_add_u32 s8, s26, s8
	s_mov_b32 s25, s3
	s_addc_u32 s9, s27, s9
	s_lshl_b64 s[2:3], s[24:25], 2
	s_add_u32 s2, s26, s2
	s_addc_u32 s3, s27, s3
	s_load_dword s7, s[8:9], 0x0
	s_load_dword s10, s[2:3], 0x0
	s_waitcnt lgkmcnt(0)
	s_sub_i32 s2, s7, s10
	s_cmp_eq_u32 s2, 1
	s_cselect_b64 s[2:3], -1, 0
	s_andn2_b64 vcc, exec, s[0:1]
	s_cbranch_vccnz .LBB21_3
.LBB21_2:
	s_mov_b32 s25, 0
	s_mov_b64 s[2:3], -1
.LBB21_3:
	s_andn2_b64 vcc, exec, s[2:3]
	s_cbranch_vccz .LBB21_5
; %bb.4:
	s_endpgm
.LBB21_5:
	s_load_dwordx4 s[16:19], s[4:5], 0x18
	s_load_dword s8, s[4:5], 0x30
	s_lshl_b64 s[30:31], s[24:25], 2
	v_cmp_lt_u32_e32 vcc, 63, v0
	s_waitcnt lgkmcnt(0)
	s_add_u32 s0, s18, s30
	s_addc_u32 s1, s19, s31
	s_load_dword s40, s[0:1], 0x0
	s_load_dword s7, s[4:5], 0x40
	s_mul_i32 s18, s6, s8
	s_mul_i32 s2, s24, s8
	s_waitcnt lgkmcnt(0)
	s_add_i32 s3, s40, 0xff
	s_ashr_i32 s0, s3, 31
	s_lshr_b32 s0, s0, 24
	s_add_i32 s3, s3, s0
	s_and_saveexec_b64 s[0:1], vcc
	s_xor_b64 s[0:1], exec, s[0:1]
	s_or_saveexec_b64 s[34:35], s[0:1]
	s_ashr_i32 s33, s3, 8
	v_mov_b32_e32 v1, s18
	s_mul_i32 s36, s2, s7
	s_xor_b64 exec, exec, s[34:35]
	s_cbranch_execz .LBB21_9
; %bb.6:
	s_add_i32 s0, s33, -1
	v_or_b32_e32 v3, 64, v0
	v_mov_b32_e32 v1, s0
	v_cmp_gt_u32_e64 s[10:11], s33, v3
	v_cndmask_b32_e64 v4, v1, v3, s[10:11]
	v_or_b32_e32 v3, 0x80, v0
	s_load_dwordx4 s[20:23], s[4:5], 0x8
	v_cmp_gt_u32_e64 s[8:9], s33, v3
	v_cndmask_b32_e64 v6, v1, v3, s[8:9]
	v_or_b32_e32 v3, 0xc0, v0
	v_cmp_gt_u32_e64 s[2:3], s33, v3
	s_mov_b32 s37, 0
	v_cndmask_b32_e64 v8, v1, v3, s[2:3]
	v_or_b32_e32 v3, 0x100, v0
	v_cmp_gt_u32_e64 s[0:1], s33, v3
	s_lshl_b64 s[38:39], s[36:37], 2
	s_mov_b32 s19, s37
	v_cmp_gt_u32_e64 s[12:13], s33, v0
	v_cndmask_b32_e64 v10, v1, v3, s[0:1]
	v_or_b32_e32 v3, 0x140, v0
	s_waitcnt lgkmcnt(0)
	s_add_u32 s14, s22, s38
	v_cndmask_b32_e64 v2, v1, v0, s[12:13]
	v_cmp_gt_u32_e32 vcc, s33, v3
	s_addc_u32 s15, s23, s39
	s_lshl_b64 s[22:23], s[18:19], 2
	v_cndmask_b32_e32 v12, v1, v3, vcc
	s_add_u32 s19, s14, s22
	v_ashrrev_i32_e32 v3, 31, v2
	s_addc_u32 s37, s15, s23
	v_lshlrev_b64 v[2:3], 2, v[2:3]
	v_mov_b32_e32 v1, s37
	v_add_co_u32_e64 v14, s[14:15], s19, v2
	v_ashrrev_i32_e32 v5, 31, v4
	v_addc_co_u32_e64 v15, s[14:15], v1, v3, s[14:15]
	v_lshlrev_b64 v[4:5], 2, v[4:5]
	v_add_co_u32_e64 v16, s[14:15], s19, v4
	v_ashrrev_i32_e32 v7, 31, v6
	v_addc_co_u32_e64 v17, s[14:15], v1, v5, s[14:15]
	v_lshlrev_b64 v[6:7], 2, v[6:7]
	;; [unrolled: 4-line block ×5, first 2 shown]
	v_add_co_u32_e64 v24, s[14:15], s19, v12
	v_addc_co_u32_e64 v25, s[14:15], v1, v13, s[14:15]
	global_load_dword v1, v[14:15], off
	global_load_dword v26, v[16:17], off
	;; [unrolled: 1-line block ×6, first 2 shown]
	v_mbcnt_lo_u32_b32 v14, -1, 0
	v_mbcnt_hi_u32_b32 v14, -1, v14
	v_and_b32_e32 v15, 64, v14
	v_xor_b32_e32 v16, 32, v14
	v_add_u32_e32 v15, 64, v15
	v_cmp_lt_i32_e64 s[14:15], v16, v15
	v_cndmask_b32_e64 v16, v14, v16, s[14:15]
	v_lshlrev_b32_e32 v16, 2, v16
	v_xor_b32_e32 v17, 16, v14
	v_cmp_lt_i32_e64 s[14:15], v17, v15
	v_cndmask_b32_e64 v17, v14, v17, s[14:15]
	v_lshlrev_b32_e32 v17, 2, v17
	v_xor_b32_e32 v18, 8, v14
	;; [unrolled: 4-line block ×3, first 2 shown]
	v_cmp_lt_i32_e64 s[14:15], v19, v15
	v_cndmask_b32_e64 v19, v14, v19, s[14:15]
	s_add_u32 s14, s20, s38
	v_lshlrev_b32_e32 v19, 2, v19
	s_addc_u32 s15, s21, s39
	s_add_u32 s19, s14, s22
	s_addc_u32 s20, s15, s23
	v_mov_b32_e32 v22, s20
	v_add_co_u32_e64 v2, s[14:15], s19, v2
	v_addc_co_u32_e64 v3, s[14:15], v22, v3, s[14:15]
	global_load_dword v22, v[2:3], off
	v_mov_b32_e32 v3, s20
	s_mov_b32 s21, 0x42b17218
	s_waitcnt vmcnt(6)
	v_max_f32_e32 v21, v1, v1
	s_waitcnt vmcnt(5)
	v_max_f32_e32 v20, v26, v26
	v_max_f32_e32 v20, v21, v20
	s_waitcnt vmcnt(3)
	v_max3_f32 v20, v20, v27, v28
	s_waitcnt vmcnt(1)
	v_max3_f32 v20, v20, v29, v30
	ds_bpermute_b32 v21, v16, v20
	s_waitcnt lgkmcnt(0)
	v_max_f32_e32 v21, v21, v21
	v_max_f32_e32 v20, v20, v21
	ds_bpermute_b32 v21, v17, v20
	s_waitcnt lgkmcnt(0)
	v_max_f32_e32 v21, v21, v21
	v_max_f32_e32 v20, v20, v21
	;; [unrolled: 4-line block ×4, first 2 shown]
	v_xor_b32_e32 v2, 2, v14
	v_cmp_lt_i32_e64 s[14:15], v2, v15
	v_cndmask_b32_e64 v2, v14, v2, s[14:15]
	v_lshlrev_b32_e32 v21, 2, v2
	ds_bpermute_b32 v23, v21, v20
	v_add_co_u32_e64 v2, s[14:15], s19, v4
	v_addc_co_u32_e64 v3, s[14:15], v3, v5, s[14:15]
	global_load_dword v24, v[2:3], off
	s_waitcnt lgkmcnt(0)
	v_max_f32_e32 v2, v23, v23
	v_max_f32_e32 v4, v20, v2
	v_xor_b32_e32 v2, 1, v14
	v_cmp_lt_i32_e64 s[14:15], v2, v15
	v_cndmask_b32_e64 v2, v14, v2, s[14:15]
	v_lshlrev_b32_e32 v14, 2, v2
	v_mov_b32_e32 v3, s20
	v_add_co_u32_e64 v2, s[14:15], s19, v6
	v_addc_co_u32_e64 v3, s[14:15], v3, v7, s[14:15]
	global_load_dword v6, v[2:3], off
	ds_bpermute_b32 v5, v14, v4
	v_mov_b32_e32 v3, s20
	v_add_co_u32_e64 v2, s[14:15], s19, v8
	v_addc_co_u32_e64 v3, s[14:15], v3, v9, s[14:15]
	global_load_dword v7, v[2:3], off
	s_waitcnt lgkmcnt(0)
	v_max_f32_e32 v5, v5, v5
	v_max_f32_e32 v9, v4, v5
	v_sub_f32_e32 v1, v1, v9
	v_mov_b32_e32 v3, s20
	v_mov_b32_e32 v8, s20
	s_mov_b32 s20, 0x3fb8aa3b
	v_mul_f32_e32 v4, 0x3fb8aa3b, v1
	v_add_co_u32_e64 v2, s[14:15], s19, v10
	v_fma_f32 v5, v1, s20, -v4
	v_rndne_f32_e32 v10, v4
	v_fmac_f32_e32 v5, 0x32a5705f, v1
	v_sub_f32_e32 v4, v4, v10
	v_addc_co_u32_e64 v3, s[14:15], v3, v11, s[14:15]
	v_add_f32_e32 v4, v4, v5
	v_exp_f32_e32 v11, v4
	v_add_co_u32_e64 v4, s[14:15], s19, v12
	v_addc_co_u32_e64 v5, s[14:15], v8, v13, s[14:15]
	global_load_dword v8, v[2:3], off
	global_load_dword v12, v[4:5], off
	v_cvt_i32_f32_e32 v10, v10
	v_sub_f32_e32 v4, v26, v9
	v_mul_f32_e32 v5, 0x3fb8aa3b, v4
	s_mov_b32 s19, 0xc2ce8ed0
	v_ldexp_f32 v2, v11, v10
	v_fma_f32 v10, v4, s20, -v5
	v_rndne_f32_e32 v11, v5
	v_fmac_f32_e32 v10, 0x32a5705f, v4
	v_sub_f32_e32 v5, v5, v11
	v_add_f32_e32 v5, v5, v10
	v_cmp_ngt_f32_e64 s[14:15], s19, v1
	v_exp_f32_e32 v5, v5
	v_cvt_i32_f32_e32 v10, v11
	v_cndmask_b32_e64 v2, 0, v2, s[14:15]
	v_mov_b32_e32 v3, 0x7f800000
	v_cmp_nlt_f32_e64 s[14:15], s21, v1
	v_cndmask_b32_e64 v1, v3, v2, s[14:15]
	v_cndmask_b32_e64 v1, 0, v1, s[12:13]
	v_sub_f32_e32 v2, v27, v9
	s_waitcnt vmcnt(5)
	v_mul_f32_e32 v11, v22, v1
	v_ldexp_f32 v1, v5, v10
	v_mul_f32_e32 v5, 0x3fb8aa3b, v2
	v_fma_f32 v10, v2, s20, -v5
	v_rndne_f32_e32 v13, v5
	v_fmac_f32_e32 v10, 0x32a5705f, v2
	v_sub_f32_e32 v5, v5, v13
	v_add_f32_e32 v5, v5, v10
	v_cmp_ngt_f32_e64 s[12:13], s19, v4
	v_exp_f32_e32 v5, v5
	v_cvt_i32_f32_e32 v10, v13
	v_cndmask_b32_e64 v1, 0, v1, s[12:13]
	v_cmp_nlt_f32_e64 s[12:13], s21, v4
	v_cndmask_b32_e64 v1, v3, v1, s[12:13]
	v_cndmask_b32_e64 v1, 0, v1, s[10:11]
	v_cmp_ngt_f32_e64 s[10:11], s19, v2
	s_waitcnt vmcnt(4)
	v_mul_f32_e32 v4, v24, v1
	v_ldexp_f32 v1, v5, v10
	v_sub_f32_e32 v5, v28, v9
	v_mul_f32_e32 v10, 0x3fb8aa3b, v5
	v_fma_f32 v13, v5, s20, -v10
	v_rndne_f32_e32 v15, v10
	v_fmac_f32_e32 v13, 0x32a5705f, v5
	v_sub_f32_e32 v10, v10, v15
	v_add_f32_e32 v10, v10, v13
	v_exp_f32_e32 v10, v10
	v_cvt_i32_f32_e32 v13, v15
	v_cndmask_b32_e64 v1, 0, v1, s[10:11]
	v_cmp_nlt_f32_e64 s[10:11], s21, v2
	v_cndmask_b32_e64 v1, v3, v1, s[10:11]
	v_cndmask_b32_e64 v1, 0, v1, s[8:9]
	v_sub_f32_e32 v2, v29, v9
	s_waitcnt vmcnt(3)
	v_mul_f32_e32 v6, v6, v1
	v_ldexp_f32 v1, v10, v13
	v_mul_f32_e32 v10, 0x3fb8aa3b, v2
	v_fma_f32 v13, v2, s20, -v10
	v_rndne_f32_e32 v15, v10
	v_cmp_ngt_f32_e64 s[8:9], s19, v5
	v_fmac_f32_e32 v13, 0x32a5705f, v2
	v_sub_f32_e32 v10, v10, v15
	v_cndmask_b32_e64 v1, 0, v1, s[8:9]
	v_add_f32_e32 v10, v10, v13
	v_cmp_nlt_f32_e64 s[8:9], s21, v5
	v_exp_f32_e32 v10, v10
	v_cvt_i32_f32_e32 v13, v15
	v_cndmask_b32_e64 v1, v3, v1, s[8:9]
	v_cndmask_b32_e64 v1, 0, v1, s[2:3]
	s_waitcnt vmcnt(2)
	v_mul_f32_e32 v5, v7, v1
	v_sub_f32_e32 v7, v30, v9
	v_mul_f32_e32 v9, 0x3fb8aa3b, v7
	v_ldexp_f32 v1, v10, v13
	v_fma_f32 v10, v7, s20, -v9
	v_rndne_f32_e32 v13, v9
	v_fmac_f32_e32 v10, 0x32a5705f, v7
	v_sub_f32_e32 v9, v9, v13
	v_add_f32_e32 v9, v9, v10
	v_cmp_ngt_f32_e64 s[2:3], s19, v2
	v_exp_f32_e32 v9, v9
	v_cvt_i32_f32_e32 v10, v13
	v_cndmask_b32_e64 v1, 0, v1, s[2:3]
	v_cmp_nlt_f32_e64 s[2:3], s21, v2
	v_cndmask_b32_e64 v1, v3, v1, s[2:3]
	v_cndmask_b32_e64 v1, 0, v1, s[0:1]
	s_waitcnt vmcnt(1)
	v_mul_f32_e32 v8, v8, v1
	v_ldexp_f32 v1, v9, v10
	v_cmp_ngt_f32_e64 s[0:1], s19, v7
	v_cndmask_b32_e64 v1, 0, v1, s[0:1]
	v_cmp_nlt_f32_e64 s[0:1], s21, v7
	v_cndmask_b32_e64 v1, v3, v1, s[0:1]
	v_cndmask_b32_e32 v1, 0, v1, vcc
	s_waitcnt vmcnt(0)
	v_mul_f32_e32 v3, v12, v1
	v_add_f32_e32 v1, v11, v4
	v_add_f32_e32 v1, v1, v6
	;; [unrolled: 1-line block ×5, first 2 shown]
	ds_bpermute_b32 v2, v16, v1
	v_lshlrev_b32_e32 v7, 2, v0
	v_cmp_eq_u32_e32 vcc, 0, v0
	ds_write2st64_b32 v7, v11, v4 offset1:1
	ds_write2st64_b32 v7, v6, v5 offset0:2 offset1:3
	ds_write2st64_b32 v7, v8, v3 offset0:4 offset1:5
	s_waitcnt lgkmcnt(3)
	v_add_f32_e32 v1, v1, v2
	ds_bpermute_b32 v2, v17, v1
	s_waitcnt lgkmcnt(0)
	v_add_f32_e32 v1, v1, v2
	ds_bpermute_b32 v2, v18, v1
	;; [unrolled: 3-line block ×5, first 2 shown]
	s_and_saveexec_b64 s[0:1], vcc
	s_cbranch_execz .LBB21_8
; %bb.7:
	s_waitcnt lgkmcnt(0)
	v_add_f32_e32 v1, v1, v2
	v_mov_b32_e32 v2, 0
	ds_write_b32 v2, v1 offset:1536
.LBB21_8:
	s_or_b64 exec, exec, s[0:1]
	v_mov_b32_e32 v1, s18
.LBB21_9:
	s_or_b64 exec, exec, s[34:35]
	s_lshl_b32 s0, s36, 6
	s_mov_b32 s1, 0
	s_lshl_b64 s[0:1], s[0:1], 1
	s_add_u32 s0, s16, s0
	s_addc_u32 s1, s17, s1
	s_lshl_b32 s10, s33, 6
	s_waitcnt lgkmcnt(0)
	v_lshlrev_b32_e32 v2, 6, v1
	v_mov_b32_e32 v3, 0
	s_sub_i32 s11, s10, 64
	v_lshlrev_b64 v[4:5], 1, v[2:3]
	s_cmp_lt_i32 s40, 1
	v_mov_b32_e32 v1, s1
	v_add_co_u32_e32 v4, vcc, s0, v4
	s_cselect_b32 s0, s11, 0
	v_addc_co_u32_e32 v1, vcc, v1, v5, vcc
	v_lshlrev_b32_e32 v2, 1, v0
	s_ashr_i32 s1, s0, 31
	v_add_co_u32_e32 v0, vcc, v4, v2
	s_lshl_b64 s[0:1], s[0:1], 1
	v_addc_co_u32_e32 v1, vcc, 0, v1, vcc
	s_cmpk_lt_i32 s40, 0x101
	v_add_co_u32_e32 v12, vcc, s0, v0
	s_cselect_b32 s0, s11, 64
	v_mov_b32_e32 v4, s1
	s_ashr_i32 s1, s0, 31
	s_lshl_b64 s[0:1], s[0:1], 1
	v_addc_co_u32_e32 v13, vcc, v1, v4, vcc
	s_cmpk_lt_i32 s40, 0x201
	v_add_co_u32_e32 v14, vcc, s0, v0
	s_cselect_b32 s0, s11, 0x80
	v_mov_b32_e32 v4, s1
	s_ashr_i32 s1, s0, 31
	;; [unrolled: 7-line block ×8, first 2 shown]
	s_lshl_b64 s[0:1], s[0:1], 1
	v_addc_co_u32_e32 v27, vcc, v1, v4, vcc
	s_cmpk_lt_i32 s40, 0x901
	global_load_ushort v4, v[12:13], off
	global_load_ushort v5, v[14:15], off
	;; [unrolled: 1-line block ×8, first 2 shown]
	v_add_co_u32_e32 v20, vcc, s0, v0
	s_cselect_b32 s0, s11, 0x240
	v_mov_b32_e32 v12, s1
	s_ashr_i32 s1, s0, 31
	s_lshl_b64 s[0:1], s[0:1], 1
	v_addc_co_u32_e32 v21, vcc, v1, v12, vcc
	s_cmpk_lt_i32 s40, 0xa01
	v_add_co_u32_e32 v22, vcc, s0, v0
	s_cselect_b32 s0, s11, 0x280
	v_mov_b32_e32 v12, s1
	s_ashr_i32 s1, s0, 31
	s_lshl_b64 s[0:1], s[0:1], 1
	v_addc_co_u32_e32 v23, vcc, v1, v12, vcc
	s_cmpk_lt_i32 s40, 0xb01
	;; [unrolled: 7-line block ×6, first 2 shown]
	v_add_co_u32_e32 v32, vcc, s0, v0
	s_cselect_b32 s0, s11, 0x3c0
	v_mov_b32_e32 v12, s1
	s_ashr_i32 s1, s0, 31
	v_addc_co_u32_e32 v33, vcc, v1, v12, vcc
	s_lshl_b64 s[0:1], s[0:1], 1
	v_mov_b32_e32 v12, s1
	v_add_co_u32_e32 v34, vcc, s0, v0
	v_addc_co_u32_e32 v35, vcc, v1, v12, vcc
	global_load_ushort v12, v[20:21], off
	global_load_ushort v13, v[22:23], off
	;; [unrolled: 1-line block ×8, first 2 shown]
	s_cmpk_gt_i32 s40, 0x1000
	s_cselect_b64 s[8:9], -1, 0
	s_cmpk_lt_i32 s40, 0x1001
	v_mov_b32_e32 v36, 0
	v_mov_b32_e32 v37, 0
	;; [unrolled: 1-line block ×48, first 2 shown]
	s_waitcnt lgkmcnt(0)
	; wave barrier
	s_cbranch_scc1 .LBB21_12
; %bb.10:
	s_cmpk_lt_u32 s40, 0x1101
	s_cselect_b32 s0, s11, 0x440
	s_ashr_i32 s1, s0, 31
	s_lshl_b64 s[0:1], s[0:1], 1
	s_cmpk_lt_u32 s40, 0x1201
	v_add_co_u32_e32 v28, vcc, s0, v0
	s_cselect_b32 s0, s11, 0x480
	v_mov_b32_e32 v20, s1
	s_ashr_i32 s1, s0, 31
	s_lshl_b64 s[0:1], s[0:1], 1
	v_addc_co_u32_e32 v29, vcc, v1, v20, vcc
	s_cmpk_lt_u32 s40, 0x1301
	v_add_co_u32_e32 v30, vcc, s0, v0
	s_cselect_b32 s0, s11, 0x4c0
	v_mov_b32_e32 v20, s1
	s_ashr_i32 s1, s0, 31
	s_lshl_b64 s[0:1], s[0:1], 1
	v_addc_co_u32_e32 v31, vcc, v1, v20, vcc
	s_cmpk_lt_u32 s40, 0x1401
	v_add_co_u32_e32 v32, vcc, s0, v0
	s_cselect_b32 s0, s11, 0x500
	v_mov_b32_e32 v20, s1
	s_ashr_i32 s1, s0, 31
	s_lshl_b64 s[0:1], s[0:1], 1
	v_addc_co_u32_e32 v33, vcc, v1, v20, vcc
	s_cmpk_lt_u32 s40, 0x1501
	v_add_co_u32_e32 v34, vcc, s0, v0
	s_cselect_b32 s0, s11, 0x540
	v_mov_b32_e32 v20, s1
	s_ashr_i32 s1, s0, 31
	s_lshl_b64 s[0:1], s[0:1], 1
	v_addc_co_u32_e32 v35, vcc, v1, v20, vcc
	s_cmpk_lt_u32 s40, 0x1601
	v_add_co_u32_e32 v36, vcc, s0, v0
	s_cselect_b32 s0, s11, 0x580
	v_mov_b32_e32 v20, s1
	s_ashr_i32 s1, s0, 31
	s_lshl_b64 s[0:1], s[0:1], 1
	v_addc_co_u32_e32 v37, vcc, v1, v20, vcc
	s_cmpk_lt_u32 s40, 0x1701
	v_add_co_u32_e32 v38, vcc, s0, v0
	s_cselect_b32 s0, s11, 0x5c0
	v_mov_b32_e32 v20, s1
	s_ashr_i32 s1, s0, 31
	s_lshl_b64 s[0:1], s[0:1], 1
	v_addc_co_u32_e32 v39, vcc, v1, v20, vcc
	s_cmpk_lt_u32 s40, 0x1801
	v_add_co_u32_e32 v40, vcc, s0, v0
	s_cselect_b32 s0, s11, 0x600
	v_mov_b32_e32 v20, s1
	s_ashr_i32 s1, s0, 31
	s_lshl_b64 s[0:1], s[0:1], 1
	v_addc_co_u32_e32 v41, vcc, v1, v20, vcc
	s_cmpk_lt_u32 s40, 0x1901
	global_load_ushort v27, v[0:1], off offset:2048
	global_load_ushort v26, v[28:29], off
	global_load_ushort v25, v[30:31], off
	;; [unrolled: 1-line block ×7, first 2 shown]
	v_add_co_u32_e32 v36, vcc, s0, v0
	s_cselect_b32 s0, s11, 0x640
	v_mov_b32_e32 v28, s1
	s_ashr_i32 s1, s0, 31
	s_lshl_b64 s[0:1], s[0:1], 1
	v_addc_co_u32_e32 v37, vcc, v1, v28, vcc
	s_cmpk_lt_u32 s40, 0x1a01
	v_add_co_u32_e32 v38, vcc, s0, v0
	s_cselect_b32 s0, s11, 0x680
	v_mov_b32_e32 v28, s1
	s_ashr_i32 s1, s0, 31
	s_lshl_b64 s[0:1], s[0:1], 1
	v_addc_co_u32_e32 v39, vcc, v1, v28, vcc
	s_cmpk_lt_u32 s40, 0x1b01
	;; [unrolled: 7-line block ×6, first 2 shown]
	v_add_co_u32_e32 v48, vcc, s0, v0
	s_cselect_b32 s0, s11, 0x7c0
	v_mov_b32_e32 v28, s1
	s_ashr_i32 s1, s0, 31
	v_addc_co_u32_e32 v49, vcc, v1, v28, vcc
	s_lshl_b64 s[0:1], s[0:1], 1
	v_mov_b32_e32 v28, s1
	v_add_co_u32_e32 v50, vcc, s0, v0
	v_addc_co_u32_e32 v51, vcc, v1, v28, vcc
	global_load_ushort v35, v[36:37], off
	global_load_ushort v34, v[38:39], off
	;; [unrolled: 1-line block ×8, first 2 shown]
	s_cmpk_lt_u32 s40, 0x2001
	v_mov_b32_e32 v67, 0
	v_mov_b32_e32 v66, 0
	;; [unrolled: 1-line block ×32, first 2 shown]
	s_cbranch_scc1 .LBB21_12
; %bb.11:
	s_cmpk_lt_u32 s40, 0x2101
	s_cselect_b32 s0, s11, 0x840
	s_ashr_i32 s1, s0, 31
	v_add_co_u32_e32 v36, vcc, 0x1000, v0
	s_lshl_b64 s[0:1], s[0:1], 1
	v_addc_co_u32_e32 v37, vcc, 0, v1, vcc
	s_cmpk_lt_u32 s40, 0x2201
	v_add_co_u32_e32 v38, vcc, s0, v0
	s_cselect_b32 s0, s11, 0x880
	v_mov_b32_e32 v39, s1
	s_ashr_i32 s1, s0, 31
	s_lshl_b64 s[0:1], s[0:1], 1
	v_addc_co_u32_e32 v39, vcc, v1, v39, vcc
	s_cmpk_lt_u32 s40, 0x2301
	v_add_co_u32_e32 v40, vcc, s0, v0
	s_cselect_b32 s0, s11, 0x8c0
	v_mov_b32_e32 v41, s1
	s_ashr_i32 s1, s0, 31
	s_lshl_b64 s[0:1], s[0:1], 1
	v_addc_co_u32_e32 v41, vcc, v1, v41, vcc
	s_cmpk_lt_u32 s40, 0x2401
	v_add_co_u32_e32 v42, vcc, s0, v0
	s_cselect_b32 s0, s11, 0x900
	v_mov_b32_e32 v43, s1
	s_ashr_i32 s1, s0, 31
	s_lshl_b64 s[0:1], s[0:1], 1
	v_addc_co_u32_e32 v43, vcc, v1, v43, vcc
	s_cmpk_lt_u32 s40, 0x2501
	v_add_co_u32_e32 v44, vcc, s0, v0
	s_cselect_b32 s0, s11, 0x940
	v_mov_b32_e32 v45, s1
	s_ashr_i32 s1, s0, 31
	s_lshl_b64 s[0:1], s[0:1], 1
	v_addc_co_u32_e32 v45, vcc, v1, v45, vcc
	s_cmpk_lt_u32 s40, 0x2601
	v_add_co_u32_e32 v46, vcc, s0, v0
	s_cselect_b32 s0, s11, 0x980
	v_mov_b32_e32 v47, s1
	s_ashr_i32 s1, s0, 31
	s_lshl_b64 s[0:1], s[0:1], 1
	v_addc_co_u32_e32 v47, vcc, v1, v47, vcc
	s_cmpk_lt_u32 s40, 0x2701
	v_add_co_u32_e32 v48, vcc, s0, v0
	s_cselect_b32 s0, s11, 0x9c0
	v_mov_b32_e32 v49, s1
	s_ashr_i32 s1, s0, 31
	s_lshl_b64 s[0:1], s[0:1], 1
	v_addc_co_u32_e32 v49, vcc, v1, v49, vcc
	s_cmpk_lt_u32 s40, 0x2801
	v_add_co_u32_e32 v50, vcc, s0, v0
	s_cselect_b32 s0, s11, 0xa00
	v_mov_b32_e32 v51, s1
	s_ashr_i32 s1, s0, 31
	s_lshl_b64 s[0:1], s[0:1], 1
	v_addc_co_u32_e32 v51, vcc, v1, v51, vcc
	s_cmpk_lt_u32 s40, 0x2901
	global_load_ushort v52, v[36:37], off
	global_load_ushort v53, v[38:39], off
	global_load_ushort v54, v[40:41], off
	global_load_ushort v55, v[42:43], off
	global_load_ushort v56, v[44:45], off
	global_load_ushort v57, v[46:47], off
	global_load_ushort v58, v[48:49], off
	global_load_ushort v59, v[50:51], off
	v_add_co_u32_e32 v36, vcc, s0, v0
	s_cselect_b32 s0, s11, 0xa40
	v_mov_b32_e32 v37, s1
	s_ashr_i32 s1, s0, 31
	s_lshl_b64 s[0:1], s[0:1], 1
	v_addc_co_u32_e32 v37, vcc, v1, v37, vcc
	s_cmpk_lt_u32 s40, 0x2a01
	v_add_co_u32_e32 v38, vcc, s0, v0
	s_cselect_b32 s0, s11, 0xa80
	v_mov_b32_e32 v39, s1
	s_ashr_i32 s1, s0, 31
	s_lshl_b64 s[0:1], s[0:1], 1
	v_addc_co_u32_e32 v39, vcc, v1, v39, vcc
	s_cmpk_lt_u32 s40, 0x2b01
	v_add_co_u32_e32 v40, vcc, s0, v0
	s_cselect_b32 s0, s11, 0xac0
	v_mov_b32_e32 v41, s1
	s_ashr_i32 s1, s0, 31
	s_lshl_b64 s[0:1], s[0:1], 1
	v_addc_co_u32_e32 v41, vcc, v1, v41, vcc
	s_cmpk_lt_u32 s40, 0x2c01
	v_add_co_u32_e32 v42, vcc, s0, v0
	s_cselect_b32 s0, s11, 0xb00
	v_mov_b32_e32 v43, s1
	s_ashr_i32 s1, s0, 31
	s_lshl_b64 s[0:1], s[0:1], 1
	v_addc_co_u32_e32 v43, vcc, v1, v43, vcc
	s_cmpk_lt_u32 s40, 0x2d01
	v_add_co_u32_e32 v44, vcc, s0, v0
	s_cselect_b32 s0, s11, 0xb40
	v_mov_b32_e32 v45, s1
	s_ashr_i32 s1, s0, 31
	s_lshl_b64 s[0:1], s[0:1], 1
	v_addc_co_u32_e32 v45, vcc, v1, v45, vcc
	s_cmpk_lt_u32 s40, 0x2e01
	v_add_co_u32_e32 v46, vcc, s0, v0
	s_cselect_b32 s0, s11, 0xb80
	v_mov_b32_e32 v47, s1
	s_ashr_i32 s1, s0, 31
	s_lshl_b64 s[0:1], s[0:1], 1
	v_addc_co_u32_e32 v47, vcc, v1, v47, vcc
	s_cmpk_lt_u32 s40, 0x2f01
	v_add_co_u32_e32 v48, vcc, s0, v0
	s_cselect_b32 s0, s11, 0xbc0
	v_mov_b32_e32 v49, s1
	s_ashr_i32 s1, s0, 31
	s_lshl_b64 s[0:1], s[0:1], 1
	v_addc_co_u32_e32 v49, vcc, v1, v49, vcc
	s_cmpk_lt_u32 s40, 0x3001
	v_add_co_u32_e32 v50, vcc, s0, v0
	s_cselect_b32 s0, s11, 0xc00
	v_mov_b32_e32 v51, s1
	s_ashr_i32 s1, s0, 31
	s_lshl_b64 s[0:1], s[0:1], 1
	v_addc_co_u32_e32 v51, vcc, v1, v51, vcc
	s_cmpk_lt_u32 s40, 0x3101
	global_load_ushort v68, v[36:37], off
	global_load_ushort v69, v[38:39], off
	global_load_ushort v70, v[40:41], off
	global_load_ushort v71, v[42:43], off
	global_load_ushort v72, v[44:45], off
	global_load_ushort v73, v[46:47], off
	global_load_ushort v74, v[48:49], off
	global_load_ushort v75, v[50:51], off
	v_add_co_u32_e32 v36, vcc, s0, v0
	s_cselect_b32 s0, s11, 0xc40
	v_mov_b32_e32 v37, s1
	s_ashr_i32 s1, s0, 31
	s_lshl_b64 s[0:1], s[0:1], 1
	v_addc_co_u32_e32 v37, vcc, v1, v37, vcc
	s_cmpk_lt_u32 s40, 0x3201
	v_add_co_u32_e32 v38, vcc, s0, v0
	s_cselect_b32 s0, s11, 0xc80
	v_mov_b32_e32 v39, s1
	s_ashr_i32 s1, s0, 31
	s_lshl_b64 s[0:1], s[0:1], 1
	v_addc_co_u32_e32 v39, vcc, v1, v39, vcc
	s_cmpk_lt_u32 s40, 0x3301
	v_add_co_u32_e32 v40, vcc, s0, v0
	s_cselect_b32 s0, s11, 0xcc0
	v_mov_b32_e32 v41, s1
	s_ashr_i32 s1, s0, 31
	s_lshl_b64 s[0:1], s[0:1], 1
	v_addc_co_u32_e32 v41, vcc, v1, v41, vcc
	s_cmpk_lt_u32 s40, 0x3401
	v_add_co_u32_e32 v42, vcc, s0, v0
	s_cselect_b32 s0, s11, 0xd00
	v_mov_b32_e32 v43, s1
	s_ashr_i32 s1, s0, 31
	s_lshl_b64 s[0:1], s[0:1], 1
	v_addc_co_u32_e32 v43, vcc, v1, v43, vcc
	s_cmpk_lt_u32 s40, 0x3501
	v_add_co_u32_e32 v44, vcc, s0, v0
	s_cselect_b32 s0, s11, 0xd40
	v_mov_b32_e32 v45, s1
	s_ashr_i32 s1, s0, 31
	s_lshl_b64 s[0:1], s[0:1], 1
	v_addc_co_u32_e32 v45, vcc, v1, v45, vcc
	s_cmpk_lt_u32 s40, 0x3601
	v_add_co_u32_e32 v46, vcc, s0, v0
	s_cselect_b32 s0, s11, 0xd80
	v_mov_b32_e32 v47, s1
	s_ashr_i32 s1, s0, 31
	s_lshl_b64 s[0:1], s[0:1], 1
	v_addc_co_u32_e32 v47, vcc, v1, v47, vcc
	s_cmpk_lt_u32 s40, 0x3701
	v_add_co_u32_e32 v48, vcc, s0, v0
	s_cselect_b32 s0, s11, 0xdc0
	v_mov_b32_e32 v49, s1
	s_ashr_i32 s1, s0, 31
	s_lshl_b64 s[0:1], s[0:1], 1
	v_addc_co_u32_e32 v49, vcc, v1, v49, vcc
	s_cmpk_lt_u32 s40, 0x3801
	v_add_co_u32_e32 v50, vcc, s0, v0
	s_cselect_b32 s0, s11, 0xe00
	v_mov_b32_e32 v51, s1
	s_ashr_i32 s1, s0, 31
	s_lshl_b64 s[0:1], s[0:1], 1
	v_addc_co_u32_e32 v51, vcc, v1, v51, vcc
	s_cmpk_lt_u32 s40, 0x3901
	global_load_ushort v76, v[36:37], off
	global_load_ushort v77, v[38:39], off
	global_load_ushort v78, v[40:41], off
	global_load_ushort v79, v[42:43], off
	global_load_ushort v80, v[44:45], off
	global_load_ushort v81, v[46:47], off
	global_load_ushort v82, v[48:49], off
	global_load_ushort v83, v[50:51], off
	v_add_co_u32_e32 v36, vcc, s0, v0
	s_cselect_b32 s0, s11, 0xe40
	v_mov_b32_e32 v37, s1
	s_ashr_i32 s1, s0, 31
	s_lshl_b64 s[0:1], s[0:1], 1
	v_addc_co_u32_e32 v37, vcc, v1, v37, vcc
	s_cmpk_lt_u32 s40, 0x3a01
	v_add_co_u32_e32 v38, vcc, s0, v0
	s_cselect_b32 s0, s11, 0xe80
	v_mov_b32_e32 v39, s1
	s_ashr_i32 s1, s0, 31
	s_lshl_b64 s[0:1], s[0:1], 1
	v_addc_co_u32_e32 v39, vcc, v1, v39, vcc
	s_cmpk_lt_u32 s40, 0x3b01
	v_add_co_u32_e32 v40, vcc, s0, v0
	s_cselect_b32 s0, s11, 0xec0
	v_mov_b32_e32 v41, s1
	s_ashr_i32 s1, s0, 31
	;; [unrolled: 7-line block ×6, first 2 shown]
	v_addc_co_u32_e32 v49, vcc, v1, v49, vcc
	s_lshl_b64 s[0:1], s[0:1], 1
	v_mov_b32_e32 v51, s1
	v_add_co_u32_e32 v50, vcc, s0, v0
	v_addc_co_u32_e32 v51, vcc, v1, v51, vcc
	global_load_ushort v84, v[36:37], off
	global_load_ushort v85, v[38:39], off
	;; [unrolled: 1-line block ×8, first 2 shown]
	s_waitcnt vmcnt(31)
	v_cvt_f32_f16_e32 v67, v52
	s_waitcnt vmcnt(30)
	v_cvt_f32_f16_e32 v66, v53
	;; [unrolled: 2-line block ×32, first 2 shown]
.LBB21_12:
	ds_read_b128 v[68:71], v3
	s_load_dwordx2 s[0:1], s[4:5], 0x0
	s_load_dwordx2 s[2:3], s[4:5], 0x38
	ds_read_b128 v[72:75], v3 offset:16
	ds_read_b128 v[76:79], v3 offset:32
	;; [unrolled: 1-line block ×3, first 2 shown]
	s_and_b64 vcc, exec, s[8:9]
	s_waitcnt vmcnt(15) lgkmcnt(0)
	v_fma_mix_f32 v4, v68, v4, 0 op_sel_hi:[0,1,0]
	s_waitcnt vmcnt(14)
	v_fma_mix_f32 v4, v69, v5, v4 op_sel_hi:[0,1,0]
	s_waitcnt vmcnt(13)
	;; [unrolled: 2-line block ×15, first 2 shown]
	v_fma_mix_f32 v4, v83, v19, v4 op_sel_hi:[0,1,0]
	s_cbranch_vccz .LBB21_15
; %bb.13:
	ds_read_b128 v[6:9], v3 offset:64
	ds_read_b128 v[10:13], v3 offset:80
	;; [unrolled: 1-line block ×4, first 2 shown]
	s_cmpk_lt_u32 s40, 0x2001
	s_waitcnt lgkmcnt(3)
	v_fma_mix_f32 v3, v6, v27, v4 op_sel_hi:[0,1,0]
	v_fma_mix_f32 v3, v7, v26, v3 op_sel_hi:[0,1,0]
	v_fma_mix_f32 v3, v8, v25, v3 op_sel_hi:[0,1,0]
	v_fma_mix_f32 v3, v9, v24, v3 op_sel_hi:[0,1,0]
	s_waitcnt lgkmcnt(2)
	v_fma_mix_f32 v3, v10, v23, v3 op_sel_hi:[0,1,0]
	v_fma_mix_f32 v3, v11, v22, v3 op_sel_hi:[0,1,0]
	v_fma_mix_f32 v3, v12, v20, v3 op_sel_hi:[0,1,0]
	v_fma_mix_f32 v3, v13, v21, v3 op_sel_hi:[0,1,0]
	;; [unrolled: 5-line block ×4, first 2 shown]
	s_cbranch_scc1 .LBB21_15
; %bb.14:
	v_mov_b32_e32 v3, 0
	ds_read_b128 v[6:9], v3 offset:128
	ds_read_b128 v[10:13], v3 offset:144
	;; [unrolled: 1-line block ×4, first 2 shown]
	s_waitcnt lgkmcnt(3)
	v_fmac_f32_e32 v4, v6, v67
	v_fmac_f32_e32 v4, v7, v66
	v_fmac_f32_e32 v4, v8, v65
	v_fmac_f32_e32 v4, v9, v64
	s_waitcnt lgkmcnt(2)
	v_fmac_f32_e32 v4, v10, v63
	v_fmac_f32_e32 v4, v11, v62
	v_fmac_f32_e32 v4, v12, v61
	v_fmac_f32_e32 v4, v13, v60
	;; [unrolled: 5-line block ×3, first 2 shown]
	ds_read_b128 v[6:9], v3 offset:192
	ds_read_b128 v[10:13], v3 offset:208
	s_waitcnt lgkmcnt(2)
	v_fmac_f32_e32 v4, v18, v55
	v_fmac_f32_e32 v4, v19, v54
	;; [unrolled: 1-line block ×4, first 2 shown]
	s_waitcnt lgkmcnt(1)
	v_fmac_f32_e32 v4, v6, v51
	v_fmac_f32_e32 v4, v7, v50
	;; [unrolled: 1-line block ×4, first 2 shown]
	ds_read_b128 v[6:9], v3 offset:224
	s_waitcnt lgkmcnt(1)
	v_fmac_f32_e32 v4, v10, v47
	v_fmac_f32_e32 v4, v11, v46
	;; [unrolled: 1-line block ×4, first 2 shown]
	ds_read_b128 v[10:13], v3 offset:240
	s_waitcnt lgkmcnt(1)
	v_fmac_f32_e32 v4, v6, v43
	v_fmac_f32_e32 v4, v7, v42
	;; [unrolled: 1-line block ×4, first 2 shown]
	s_waitcnt lgkmcnt(0)
	v_fmac_f32_e32 v4, v10, v39
	v_fmac_f32_e32 v4, v11, v38
	;; [unrolled: 1-line block ×4, first 2 shown]
.LBB21_15:
	s_movk_i32 s4, 0x1fc0
	s_movk_i32 s5, 0x100
	s_mov_b32 s8, 64
	s_branch .LBB21_17
.LBB21_16:                              ;   in Loop: Header=BB21_17 Depth=1
	s_addk_i32 s4, 0x1000
	s_addk_i32 s5, 0x100
	s_add_i32 s8, s8, 64
	s_cmpk_eq_i32 s4, 0x6fc0
	s_cbranch_scc1 .LBB21_19
.LBB21_17:                              ; =>This Inner Loop Header: Depth=1
	s_cmp_le_i32 s33, s8
	s_cbranch_scc1 .LBB21_16
; %bb.18:                               ;   in Loop: Header=BB21_17 Depth=1
	s_add_i32 s9, s4, 0xfffff040
	s_cmp_lt_i32 s9, s10
	s_cselect_b32 s12, s9, s11
	s_ashr_i32 s13, s12, 31
	s_lshl_b64 s[12:13], s[12:13], 1
	s_add_i32 s9, s4, 0xfffff080
	s_cmp_lt_i32 s9, s10
	v_add_co_u32_e32 v12, vcc, s12, v0
	s_cselect_b32 s12, s9, s11
	v_mov_b32_e32 v3, s13
	s_ashr_i32 s13, s12, 31
	s_lshl_b64 s[12:13], s[12:13], 1
	s_add_i32 s9, s4, 0xfffff0c0
	v_addc_co_u32_e32 v13, vcc, v1, v3, vcc
	s_cmp_lt_i32 s9, s10
	v_add_co_u32_e32 v14, vcc, s12, v0
	s_cselect_b32 s12, s9, s11
	v_mov_b32_e32 v3, s13
	s_ashr_i32 s13, s12, 31
	s_lshl_b64 s[12:13], s[12:13], 1
	s_add_i32 s9, s4, 0xfffff100
	v_addc_co_u32_e32 v15, vcc, v1, v3, vcc
	;; [unrolled: 8-line block ×8, first 2 shown]
	s_cmp_lt_i32 s9, s10
	global_load_ushort v3, v[12:13], off
	global_load_ushort v5, v[14:15], off
	;; [unrolled: 1-line block ×8, first 2 shown]
	v_add_co_u32_e32 v20, vcc, s12, v0
	s_cselect_b32 s12, s9, s11
	v_mov_b32_e32 v12, s13
	s_ashr_i32 s13, s12, 31
	s_lshl_b64 s[12:13], s[12:13], 1
	s_add_i32 s9, s4, 0xfffff2c0
	v_addc_co_u32_e32 v21, vcc, v1, v12, vcc
	s_cmp_lt_i32 s9, s10
	v_add_co_u32_e32 v22, vcc, s12, v0
	s_cselect_b32 s12, s9, s11
	v_mov_b32_e32 v12, s13
	s_ashr_i32 s13, s12, 31
	s_lshl_b64 s[12:13], s[12:13], 1
	s_add_i32 s9, s4, 0xfffff300
	v_addc_co_u32_e32 v23, vcc, v1, v12, vcc
	s_cmp_lt_i32 s9, s10
	v_add_co_u32_e32 v24, vcc, s12, v0
	s_cselect_b32 s12, s9, s11
	v_mov_b32_e32 v12, s13
	s_ashr_i32 s13, s12, 31
	s_lshl_b64 s[12:13], s[12:13], 1
	s_add_i32 s9, s4, 0xfffff340
	v_addc_co_u32_e32 v25, vcc, v1, v12, vcc
	s_cmp_lt_i32 s9, s10
	v_add_co_u32_e32 v26, vcc, s12, v0
	s_cselect_b32 s12, s9, s11
	v_mov_b32_e32 v12, s13
	s_ashr_i32 s13, s12, 31
	s_lshl_b64 s[12:13], s[12:13], 1
	s_add_i32 s9, s4, 0xfffff380
	v_addc_co_u32_e32 v27, vcc, v1, v12, vcc
	s_cmp_lt_i32 s9, s10
	v_add_co_u32_e32 v28, vcc, s12, v0
	s_cselect_b32 s12, s9, s11
	v_mov_b32_e32 v12, s13
	s_ashr_i32 s13, s12, 31
	s_lshl_b64 s[12:13], s[12:13], 1
	s_add_i32 s9, s4, 0xfffff3c0
	v_addc_co_u32_e32 v29, vcc, v1, v12, vcc
	s_cmp_lt_i32 s9, s10
	v_add_co_u32_e32 v30, vcc, s12, v0
	s_cselect_b32 s12, s9, s11
	v_mov_b32_e32 v12, s13
	s_ashr_i32 s13, s12, 31
	s_lshl_b64 s[12:13], s[12:13], 1
	s_add_i32 s9, s4, 0xfffff400
	v_addc_co_u32_e32 v31, vcc, v1, v12, vcc
	s_cmp_lt_i32 s9, s10
	v_add_co_u32_e32 v32, vcc, s12, v0
	s_cselect_b32 s12, s9, s11
	v_mov_b32_e32 v12, s13
	s_ashr_i32 s13, s12, 31
	s_lshl_b64 s[12:13], s[12:13], 1
	s_add_i32 s9, s4, 0xfffff440
	v_addc_co_u32_e32 v33, vcc, v1, v12, vcc
	s_cmp_lt_i32 s9, s10
	v_add_co_u32_e32 v34, vcc, s12, v0
	s_cselect_b32 s12, s9, s11
	v_mov_b32_e32 v12, s13
	s_ashr_i32 s13, s12, 31
	s_lshl_b64 s[12:13], s[12:13], 1
	s_add_i32 s9, s4, 0xfffff480
	v_addc_co_u32_e32 v35, vcc, v1, v12, vcc
	s_cmp_lt_i32 s9, s10
	global_load_ushort v15, v[20:21], off
	global_load_ushort v16, v[22:23], off
	global_load_ushort v17, v[24:25], off
	global_load_ushort v18, v[26:27], off
	global_load_ushort v19, v[28:29], off
	global_load_ushort v12, v[30:31], off
	global_load_ushort v13, v[32:33], off
	global_load_ushort v14, v[34:35], off
	v_add_co_u32_e32 v28, vcc, s12, v0
	s_cselect_b32 s12, s9, s11
	v_mov_b32_e32 v20, s13
	s_ashr_i32 s13, s12, 31
	s_lshl_b64 s[12:13], s[12:13], 1
	s_add_i32 s9, s4, 0xfffff4c0
	v_addc_co_u32_e32 v29, vcc, v1, v20, vcc
	s_cmp_lt_i32 s9, s10
	v_add_co_u32_e32 v30, vcc, s12, v0
	s_cselect_b32 s12, s9, s11
	v_mov_b32_e32 v20, s13
	s_ashr_i32 s13, s12, 31
	s_lshl_b64 s[12:13], s[12:13], 1
	s_add_i32 s9, s4, 0xfffff500
	v_addc_co_u32_e32 v31, vcc, v1, v20, vcc
	s_cmp_lt_i32 s9, s10
	;; [unrolled: 8-line block ×8, first 2 shown]
	global_load_ushort v23, v[28:29], off
	global_load_ushort v24, v[30:31], off
	;; [unrolled: 1-line block ×8, first 2 shown]
	v_add_co_u32_e32 v36, vcc, s12, v0
	s_cselect_b32 s12, s9, s11
	v_mov_b32_e32 v28, s13
	s_ashr_i32 s13, s12, 31
	s_lshl_b64 s[12:13], s[12:13], 1
	s_add_i32 s9, s4, 0xfffff6c0
	v_addc_co_u32_e32 v37, vcc, v1, v28, vcc
	s_cmp_lt_i32 s9, s10
	v_add_co_u32_e32 v38, vcc, s12, v0
	s_cselect_b32 s12, s9, s11
	v_mov_b32_e32 v28, s13
	s_ashr_i32 s13, s12, 31
	s_lshl_b64 s[12:13], s[12:13], 1
	s_add_i32 s9, s4, 0xfffff700
	v_addc_co_u32_e32 v39, vcc, v1, v28, vcc
	s_cmp_lt_i32 s9, s10
	v_add_co_u32_e32 v40, vcc, s12, v0
	s_cselect_b32 s12, s9, s11
	v_mov_b32_e32 v28, s13
	s_ashr_i32 s13, s12, 31
	s_lshl_b64 s[12:13], s[12:13], 1
	s_add_i32 s9, s4, 0xfffff740
	v_addc_co_u32_e32 v41, vcc, v1, v28, vcc
	s_cmp_lt_i32 s9, s10
	v_add_co_u32_e32 v42, vcc, s12, v0
	s_cselect_b32 s12, s9, s11
	v_mov_b32_e32 v28, s13
	s_ashr_i32 s13, s12, 31
	s_lshl_b64 s[12:13], s[12:13], 1
	s_add_i32 s9, s4, 0xfffff780
	v_addc_co_u32_e32 v43, vcc, v1, v28, vcc
	s_cmp_lt_i32 s9, s10
	v_add_co_u32_e32 v44, vcc, s12, v0
	s_cselect_b32 s12, s9, s11
	v_mov_b32_e32 v28, s13
	s_ashr_i32 s13, s12, 31
	s_lshl_b64 s[12:13], s[12:13], 1
	s_add_i32 s9, s4, 0xfffff7c0
	v_addc_co_u32_e32 v45, vcc, v1, v28, vcc
	s_cmp_lt_i32 s9, s10
	v_add_co_u32_e32 v46, vcc, s12, v0
	s_cselect_b32 s12, s9, s11
	v_mov_b32_e32 v28, s13
	s_ashr_i32 s13, s12, 31
	s_lshl_b64 s[12:13], s[12:13], 1
	s_add_i32 s9, s4, 0xfffff800
	v_addc_co_u32_e32 v47, vcc, v1, v28, vcc
	s_cmp_lt_i32 s9, s10
	v_add_co_u32_e32 v48, vcc, s12, v0
	s_cselect_b32 s12, s9, s11
	v_mov_b32_e32 v28, s13
	s_ashr_i32 s13, s12, 31
	s_lshl_b64 s[12:13], s[12:13], 1
	s_add_i32 s9, s4, 0xfffff840
	v_addc_co_u32_e32 v49, vcc, v1, v28, vcc
	s_cmp_lt_i32 s9, s10
	v_add_co_u32_e32 v50, vcc, s12, v0
	s_cselect_b32 s12, s9, s11
	v_mov_b32_e32 v28, s13
	s_ashr_i32 s13, s12, 31
	s_lshl_b64 s[12:13], s[12:13], 1
	s_add_i32 s9, s4, 0xfffff880
	v_addc_co_u32_e32 v51, vcc, v1, v28, vcc
	s_cmp_lt_i32 s9, s10
	global_load_ushort v31, v[36:37], off
	global_load_ushort v32, v[38:39], off
	;; [unrolled: 1-line block ×8, first 2 shown]
	v_add_co_u32_e32 v36, vcc, s12, v0
	s_cselect_b32 s12, s9, s11
	v_mov_b32_e32 v37, s13
	s_ashr_i32 s13, s12, 31
	s_lshl_b64 s[12:13], s[12:13], 1
	s_add_i32 s9, s4, 0xfffff8c0
	v_addc_co_u32_e32 v37, vcc, v1, v37, vcc
	s_cmp_lt_i32 s9, s10
	v_add_co_u32_e32 v38, vcc, s12, v0
	s_cselect_b32 s12, s9, s11
	v_mov_b32_e32 v39, s13
	s_ashr_i32 s13, s12, 31
	s_lshl_b64 s[12:13], s[12:13], 1
	s_add_i32 s9, s4, 0xfffff900
	v_addc_co_u32_e32 v39, vcc, v1, v39, vcc
	s_cmp_lt_i32 s9, s10
	;; [unrolled: 8-line block ×8, first 2 shown]
	global_load_ushort v52, v[36:37], off
	global_load_ushort v53, v[38:39], off
	;; [unrolled: 1-line block ×8, first 2 shown]
	v_add_co_u32_e32 v36, vcc, s12, v0
	s_cselect_b32 s12, s9, s11
	v_mov_b32_e32 v37, s13
	s_ashr_i32 s13, s12, 31
	s_lshl_b64 s[12:13], s[12:13], 1
	s_add_i32 s9, s4, 0xfffffac0
	v_addc_co_u32_e32 v37, vcc, v1, v37, vcc
	s_cmp_lt_i32 s9, s10
	v_add_co_u32_e32 v38, vcc, s12, v0
	s_cselect_b32 s12, s9, s11
	v_mov_b32_e32 v39, s13
	s_ashr_i32 s13, s12, 31
	s_lshl_b64 s[12:13], s[12:13], 1
	s_add_i32 s9, s4, 0xfffffb00
	v_addc_co_u32_e32 v39, vcc, v1, v39, vcc
	s_cmp_lt_i32 s9, s10
	;; [unrolled: 8-line block ×8, first 2 shown]
	global_load_ushort v60, v[36:37], off
	global_load_ushort v61, v[38:39], off
	;; [unrolled: 1-line block ×8, first 2 shown]
	v_add_co_u32_e32 v36, vcc, s12, v0
	s_cselect_b32 s12, s9, s11
	v_mov_b32_e32 v37, s13
	s_ashr_i32 s13, s12, 31
	s_lshl_b64 s[12:13], s[12:13], 1
	s_add_i32 s9, s4, 0xfffffcc0
	v_addc_co_u32_e32 v37, vcc, v1, v37, vcc
	s_cmp_lt_i32 s9, s10
	v_add_co_u32_e32 v38, vcc, s12, v0
	s_cselect_b32 s12, s9, s11
	v_mov_b32_e32 v39, s13
	s_ashr_i32 s13, s12, 31
	s_lshl_b64 s[12:13], s[12:13], 1
	s_add_i32 s9, s4, 0xfffffd00
	v_addc_co_u32_e32 v39, vcc, v1, v39, vcc
	s_cmp_lt_i32 s9, s10
	;; [unrolled: 8-line block ×8, first 2 shown]
	global_load_ushort v68, v[36:37], off
	global_load_ushort v69, v[38:39], off
	;; [unrolled: 1-line block ×8, first 2 shown]
	v_add_co_u32_e32 v36, vcc, s12, v0
	s_cselect_b32 s12, s9, s11
	v_mov_b32_e32 v37, s13
	s_ashr_i32 s13, s12, 31
	s_lshl_b64 s[12:13], s[12:13], 1
	s_add_i32 s9, s4, 0xfffffec0
	v_addc_co_u32_e32 v37, vcc, v1, v37, vcc
	s_cmp_lt_i32 s9, s10
	v_add_co_u32_e32 v38, vcc, s12, v0
	s_cselect_b32 s12, s9, s11
	v_mov_b32_e32 v39, s13
	s_ashr_i32 s13, s12, 31
	s_lshl_b64 s[12:13], s[12:13], 1
	s_add_i32 s9, s4, 0xffffff00
	v_addc_co_u32_e32 v39, vcc, v1, v39, vcc
	s_cmp_lt_i32 s9, s10
	;; [unrolled: 8-line block ×4, first 2 shown]
	v_add_co_u32_e32 v44, vcc, s12, v0
	s_cselect_b32 s12, s9, s11
	v_mov_b32_e32 v45, s13
	s_ashr_i32 s13, s12, 31
	s_lshl_b64 s[12:13], s[12:13], 1
	s_sub_i32 s9, s4, 64
	v_addc_co_u32_e32 v45, vcc, v1, v45, vcc
	s_cmp_lt_i32 s9, s10
	v_add_co_u32_e32 v46, vcc, s12, v0
	s_cselect_b32 s12, s9, s11
	v_mov_b32_e32 v47, s13
	s_ashr_i32 s13, s12, 31
	s_lshl_b64 s[12:13], s[12:13], 1
	v_addc_co_u32_e32 v47, vcc, v1, v47, vcc
	s_cmp_lt_i32 s4, s10
	v_add_co_u32_e32 v48, vcc, s12, v0
	s_cselect_b32 s12, s4, s11
	v_mov_b32_e32 v49, s13
	s_ashr_i32 s13, s12, 31
	v_addc_co_u32_e32 v49, vcc, v1, v49, vcc
	s_lshl_b64 s[12:13], s[12:13], 1
	v_mov_b32_e32 v51, s13
	v_add_co_u32_e32 v50, vcc, s12, v0
	v_addc_co_u32_e32 v51, vcc, v1, v51, vcc
	global_load_ushort v76, v[36:37], off
	global_load_ushort v77, v[38:39], off
	global_load_ushort v78, v[40:41], off
	global_load_ushort v79, v[42:43], off
	global_load_ushort v80, v[44:45], off
	global_load_ushort v81, v[46:47], off
	global_load_ushort v82, v[48:49], off
	global_load_ushort v83, v[50:51], off
	v_mov_b32_e32 v84, s5
	ds_read_b128 v[36:39], v84
	ds_read_b128 v[40:43], v84 offset:16
	ds_read_b128 v[44:47], v84 offset:32
	;; [unrolled: 1-line block ×3, first 2 shown]
	s_waitcnt vmcnt(62) lgkmcnt(3)
	v_fma_mix_f32 v3, v36, v3, v4 op_sel_hi:[0,1,0]
	v_fma_mix_f32 v3, v37, v5, v3 op_sel_hi:[0,1,0]
	s_waitcnt vmcnt(61)
	v_fma_mix_f32 v3, v38, v6, v3 op_sel_hi:[0,1,0]
	s_waitcnt vmcnt(60)
	v_fma_mix_f32 v3, v39, v7, v3 op_sel_hi:[0,1,0]
	s_waitcnt vmcnt(59) lgkmcnt(2)
	v_fma_mix_f32 v3, v40, v8, v3 op_sel_hi:[0,1,0]
	s_waitcnt vmcnt(58)
	v_fma_mix_f32 v3, v41, v9, v3 op_sel_hi:[0,1,0]
	s_waitcnt vmcnt(57)
	;; [unrolled: 2-line block ×3, first 2 shown]
	v_fma_mix_f32 v3, v43, v11, v3 op_sel_hi:[0,1,0]
	s_waitcnt vmcnt(55) lgkmcnt(1)
	v_fma_mix_f32 v3, v44, v15, v3 op_sel_hi:[0,1,0]
	s_waitcnt vmcnt(54)
	v_fma_mix_f32 v3, v45, v16, v3 op_sel_hi:[0,1,0]
	s_waitcnt vmcnt(53)
	;; [unrolled: 2-line block ×3, first 2 shown]
	v_fma_mix_f32 v3, v47, v18, v3 op_sel_hi:[0,1,0]
	ds_read_b128 v[4:7], v84 offset:64
	ds_read_b128 v[8:11], v84 offset:80
	s_waitcnt vmcnt(51) lgkmcnt(2)
	v_fma_mix_f32 v3, v48, v19, v3 op_sel_hi:[0,1,0]
	s_waitcnt vmcnt(50)
	v_fma_mix_f32 v3, v49, v12, v3 op_sel_hi:[0,1,0]
	s_waitcnt vmcnt(49)
	;; [unrolled: 2-line block ×3, first 2 shown]
	v_fma_mix_f32 v3, v51, v14, v3 op_sel_hi:[0,1,0]
	s_waitcnt vmcnt(47) lgkmcnt(1)
	v_fma_mix_f32 v3, v4, v23, v3 op_sel_hi:[0,1,0]
	s_waitcnt vmcnt(46)
	v_fma_mix_f32 v3, v5, v24, v3 op_sel_hi:[0,1,0]
	s_waitcnt vmcnt(45)
	v_fma_mix_f32 v3, v6, v25, v3 op_sel_hi:[0,1,0]
	s_waitcnt vmcnt(44)
	v_fma_mix_f32 v3, v7, v26, v3 op_sel_hi:[0,1,0]
	ds_read_b128 v[4:7], v84 offset:96
	s_waitcnt vmcnt(43) lgkmcnt(1)
	v_fma_mix_f32 v3, v8, v27, v3 op_sel_hi:[0,1,0]
	s_waitcnt vmcnt(42)
	v_fma_mix_f32 v3, v9, v20, v3 op_sel_hi:[0,1,0]
	s_waitcnt vmcnt(41)
	v_fma_mix_f32 v3, v10, v21, v3 op_sel_hi:[0,1,0]
	s_waitcnt vmcnt(40)
	v_fma_mix_f32 v3, v11, v22, v3 op_sel_hi:[0,1,0]
	ds_read_b128 v[8:11], v84 offset:112
	;; [unrolled: 9-line block ×10, first 2 shown]
	s_waitcnt vmcnt(7) lgkmcnt(1)
	v_fma_mix_f32 v3, v4, v76, v3 op_sel_hi:[0,1,0]
	s_waitcnt vmcnt(6)
	v_fma_mix_f32 v3, v5, v77, v3 op_sel_hi:[0,1,0]
	s_waitcnt vmcnt(5)
	;; [unrolled: 2-line block ×3, first 2 shown]
	v_fma_mix_f32 v3, v7, v79, v3 op_sel_hi:[0,1,0]
	s_waitcnt vmcnt(3) lgkmcnt(0)
	v_fma_mix_f32 v3, v8, v80, v3 op_sel_hi:[0,1,0]
	s_waitcnt vmcnt(2)
	v_fma_mix_f32 v3, v9, v81, v3 op_sel_hi:[0,1,0]
	s_waitcnt vmcnt(1)
	;; [unrolled: 2-line block ×3, first 2 shown]
	v_fma_mix_f32 v4, v11, v83, v3 op_sel_hi:[0,1,0]
	s_branch .LBB21_16
.LBB21_19:
	v_mov_b32_e32 v0, 0
	ds_read_b32 v1, v0 offset:1536
	s_cmp_lg_u64 s[2:3], 0
	s_cbranch_scc0 .LBB21_24
; %bb.20:
	s_load_dword s4, s[2:3], 0x0
	s_waitcnt lgkmcnt(0)
	v_div_scale_f32 v0, s[2:3], s4, s4, 1.0
	v_rcp_f32_e32 v3, v0
	v_div_scale_f32 v5, vcc, 1.0, s4, 1.0
	v_fma_f32 v6, -v0, v3, 1.0
	v_fmac_f32_e32 v3, v6, v3
	v_mul_f32_e32 v6, v5, v3
	v_fma_f32 v7, -v0, v6, v5
	v_fmac_f32_e32 v6, v7, v3
	v_fma_f32 v0, -v0, v6, v5
	v_div_fmas_f32 v0, v0, v3, v6
	v_div_fixup_f32 v0, v0, s4, 1.0
	s_andn2_b64 vcc, exec, s[28:29]
	s_cbranch_vccnz .LBB21_22
.LBB21_21:
	s_add_u32 s2, s26, s30
	s_addc_u32 s3, s27, s31
	s_load_dword s24, s[2:3], 0x0
	s_mov_b32 s25, 0
.LBB21_22:
	s_waitcnt lgkmcnt(0)
	v_add_f32_e32 v1, 0x358637bd, v1
	v_div_scale_f32 v3, s[2:3], v1, v1, 1.0
	v_rcp_f32_e32 v5, v3
	v_div_scale_f32 v6, vcc, 1.0, v1, 1.0
	s_mul_i32 s2, s7, s25
	v_fma_f32 v7, -v3, v5, 1.0
	v_fmac_f32_e32 v5, v7, v5
	v_mul_f32_e32 v7, v6, v5
	v_fma_f32 v8, -v3, v7, v6
	s_mul_hi_u32 s3, s7, s24
	v_fmac_f32_e32 v7, v8, v5
	s_add_i32 s3, s3, s2
	s_mul_i32 s2, s7, s24
	v_fma_f32 v3, -v3, v7, v6
	s_lshl_b64 s[2:3], s[2:3], 7
	v_div_fmas_f32 v3, v3, v5, v7
	s_add_u32 s2, s0, s2
	s_mov_b32 s7, 0
	v_div_fixup_f32 v1, v3, v1, 1.0
	s_addc_u32 s3, s1, s3
	s_lshl_b64 s[0:1], s[6:7], 7
	v_mul_f32_e32 v1, v4, v1
	s_add_u32 s0, s2, s0
	s_addc_u32 s1, s3, s1
	v_fma_mixlo_f16 v0, v1, v0, 0
	global_store_short v2, v0, s[0:1]
	s_endpgm
.LBB21_23:
	s_mov_b64 s[2:3], 0
	s_branch .LBB21_2
.LBB21_24:
	v_mov_b32_e32 v0, 1.0
	s_andn2_b64 vcc, exec, s[28:29]
	s_cbranch_vccz .LBB21_21
	s_branch .LBB21_22
	.section	.rodata,"a",@progbits
	.p2align	6, 0x0
	.amdhsa_kernel _Z35paged_attention_ll4mi_reduce_kernelIDF16_DF16_Li64ELi64ELi256ELi6EEvPT0_PKfS3_PKT_PKiS8_iS3_
		.amdhsa_group_segment_fixed_size 1540
		.amdhsa_private_segment_fixed_size 0
		.amdhsa_kernarg_size 320
		.amdhsa_user_sgpr_count 6
		.amdhsa_user_sgpr_private_segment_buffer 1
		.amdhsa_user_sgpr_dispatch_ptr 0
		.amdhsa_user_sgpr_queue_ptr 0
		.amdhsa_user_sgpr_kernarg_segment_ptr 1
		.amdhsa_user_sgpr_dispatch_id 0
		.amdhsa_user_sgpr_flat_scratch_init 0
		.amdhsa_user_sgpr_kernarg_preload_length 0
		.amdhsa_user_sgpr_kernarg_preload_offset 0
		.amdhsa_user_sgpr_private_segment_size 0
		.amdhsa_uses_dynamic_stack 0
		.amdhsa_system_sgpr_private_segment_wavefront_offset 0
		.amdhsa_system_sgpr_workgroup_id_x 1
		.amdhsa_system_sgpr_workgroup_id_y 1
		.amdhsa_system_sgpr_workgroup_id_z 0
		.amdhsa_system_sgpr_workgroup_info 0
		.amdhsa_system_vgpr_workitem_id 0
		.amdhsa_next_free_vgpr 92
		.amdhsa_next_free_sgpr 41
		.amdhsa_accum_offset 92
		.amdhsa_reserve_vcc 1
		.amdhsa_reserve_flat_scratch 0
		.amdhsa_float_round_mode_32 0
		.amdhsa_float_round_mode_16_64 0
		.amdhsa_float_denorm_mode_32 3
		.amdhsa_float_denorm_mode_16_64 3
		.amdhsa_dx10_clamp 1
		.amdhsa_ieee_mode 1
		.amdhsa_fp16_overflow 0
		.amdhsa_tg_split 0
		.amdhsa_exception_fp_ieee_invalid_op 0
		.amdhsa_exception_fp_denorm_src 0
		.amdhsa_exception_fp_ieee_div_zero 0
		.amdhsa_exception_fp_ieee_overflow 0
		.amdhsa_exception_fp_ieee_underflow 0
		.amdhsa_exception_fp_ieee_inexact 0
		.amdhsa_exception_int_div_zero 0
	.end_amdhsa_kernel
	.section	.text._Z35paged_attention_ll4mi_reduce_kernelIDF16_DF16_Li64ELi64ELi256ELi6EEvPT0_PKfS3_PKT_PKiS8_iS3_,"axG",@progbits,_Z35paged_attention_ll4mi_reduce_kernelIDF16_DF16_Li64ELi64ELi256ELi6EEvPT0_PKfS3_PKT_PKiS8_iS3_,comdat
.Lfunc_end21:
	.size	_Z35paged_attention_ll4mi_reduce_kernelIDF16_DF16_Li64ELi64ELi256ELi6EEvPT0_PKfS3_PKT_PKiS8_iS3_, .Lfunc_end21-_Z35paged_attention_ll4mi_reduce_kernelIDF16_DF16_Li64ELi64ELi256ELi6EEvPT0_PKfS3_PKT_PKiS8_iS3_
                                        ; -- End function
	.section	.AMDGPU.csdata,"",@progbits
; Kernel info:
; codeLenInByte = 9884
; NumSgprs: 45
; NumVgprs: 92
; NumAgprs: 0
; TotalNumVgprs: 92
; ScratchSize: 0
; MemoryBound: 0
; FloatMode: 240
; IeeeMode: 1
; LDSByteSize: 1540 bytes/workgroup (compile time only)
; SGPRBlocks: 5
; VGPRBlocks: 11
; NumSGPRsForWavesPerEU: 45
; NumVGPRsForWavesPerEU: 92
; AccumOffset: 92
; Occupancy: 5
; WaveLimiterHint : 1
; COMPUTE_PGM_RSRC2:SCRATCH_EN: 0
; COMPUTE_PGM_RSRC2:USER_SGPR: 6
; COMPUTE_PGM_RSRC2:TRAP_HANDLER: 0
; COMPUTE_PGM_RSRC2:TGID_X_EN: 1
; COMPUTE_PGM_RSRC2:TGID_Y_EN: 1
; COMPUTE_PGM_RSRC2:TGID_Z_EN: 0
; COMPUTE_PGM_RSRC2:TIDIG_COMP_CNT: 0
; COMPUTE_PGM_RSRC3_GFX90A:ACCUM_OFFSET: 22
; COMPUTE_PGM_RSRC3_GFX90A:TG_SPLIT: 0
	.section	.text._Z35paged_attention_ll4mi_reduce_kernelIDF16_DF16_Li64ELi64ELi256ELi7EEvPT0_PKfS3_PKT_PKiS8_iS3_,"axG",@progbits,_Z35paged_attention_ll4mi_reduce_kernelIDF16_DF16_Li64ELi64ELi256ELi7EEvPT0_PKfS3_PKT_PKiS8_iS3_,comdat
	.protected	_Z35paged_attention_ll4mi_reduce_kernelIDF16_DF16_Li64ELi64ELi256ELi7EEvPT0_PKfS3_PKT_PKiS8_iS3_ ; -- Begin function _Z35paged_attention_ll4mi_reduce_kernelIDF16_DF16_Li64ELi64ELi256ELi7EEvPT0_PKfS3_PKT_PKiS8_iS3_
	.globl	_Z35paged_attention_ll4mi_reduce_kernelIDF16_DF16_Li64ELi64ELi256ELi7EEvPT0_PKfS3_PKT_PKiS8_iS3_
	.p2align	8
	.type	_Z35paged_attention_ll4mi_reduce_kernelIDF16_DF16_Li64ELi64ELi256ELi7EEvPT0_PKfS3_PKT_PKiS8_iS3_,@function
_Z35paged_attention_ll4mi_reduce_kernelIDF16_DF16_Li64ELi64ELi256ELi7EEvPT0_PKfS3_PKT_PKiS8_iS3_: ; @_Z35paged_attention_ll4mi_reduce_kernelIDF16_DF16_Li64ELi64ELi256ELi7EEvPT0_PKfS3_PKT_PKiS8_iS3_
; %bb.0:
	s_load_dwordx2 s[28:29], s[4:5], 0x28
	s_mov_b32 s18, s7
	s_mov_b64 s[0:1], 0
	s_waitcnt lgkmcnt(0)
	s_cmp_lg_u64 s[28:29], 0
	s_cselect_b64 s[30:31], -1, 0
	s_and_b64 vcc, exec, s[30:31]
	s_cbranch_vccz .LBB22_23
; %bb.1:
	s_add_i32 s2, s18, 1
	s_mov_b32 s3, 0
	s_lshl_b64 s[8:9], s[2:3], 2
	s_add_u32 s8, s28, s8
	s_mov_b32 s19, s3
	s_addc_u32 s9, s29, s9
	s_lshl_b64 s[2:3], s[18:19], 2
	s_add_u32 s2, s28, s2
	s_addc_u32 s3, s29, s3
	s_load_dword s7, s[8:9], 0x0
	s_load_dword s10, s[2:3], 0x0
	s_waitcnt lgkmcnt(0)
	s_sub_i32 s2, s7, s10
	s_cmp_eq_u32 s2, 1
	s_cselect_b64 s[2:3], -1, 0
	s_andn2_b64 vcc, exec, s[0:1]
	s_cbranch_vccnz .LBB22_3
.LBB22_2:
	s_mov_b32 s19, 0
	s_mov_b64 s[2:3], -1
.LBB22_3:
	s_andn2_b64 vcc, exec, s[2:3]
	s_cbranch_vccz .LBB22_5
; %bb.4:
	s_endpgm
.LBB22_5:
	s_load_dwordx4 s[20:23], s[4:5], 0x18
	s_load_dword s8, s[4:5], 0x30
	s_lshl_b64 s[34:35], s[18:19], 2
	v_cmp_lt_u32_e32 vcc, 63, v0
	s_waitcnt lgkmcnt(0)
	s_add_u32 s0, s22, s34
	s_addc_u32 s1, s23, s35
	s_load_dword s42, s[0:1], 0x0
	s_load_dword s7, s[4:5], 0x40
	s_mul_i32 s22, s6, s8
	s_mul_i32 s2, s18, s8
	s_waitcnt lgkmcnt(0)
	s_add_i32 s3, s42, 0xff
	s_ashr_i32 s0, s3, 31
	s_lshr_b32 s0, s0, 24
	s_add_i32 s3, s3, s0
	s_and_saveexec_b64 s[0:1], vcc
	s_xor_b64 s[0:1], exec, s[0:1]
	s_or_saveexec_b64 s[36:37], s[0:1]
	s_ashr_i32 s33, s3, 8
	v_mov_b32_e32 v1, s22
	s_mul_i32 s38, s2, s7
	s_xor_b64 exec, exec, s[36:37]
	s_cbranch_execz .LBB22_9
; %bb.6:
	s_add_i32 s0, s33, -1
	v_or_b32_e32 v3, 64, v0
	v_mov_b32_e32 v1, s0
	v_cmp_gt_u32_e64 s[12:13], s33, v3
	v_cndmask_b32_e64 v4, v1, v3, s[12:13]
	v_or_b32_e32 v3, 0x80, v0
	v_cmp_gt_u32_e64 s[10:11], s33, v3
	v_cndmask_b32_e64 v6, v1, v3, s[10:11]
	v_or_b32_e32 v3, 0xc0, v0
	s_load_dwordx4 s[24:27], s[4:5], 0x8
	v_cmp_gt_u32_e64 s[8:9], s33, v3
	v_cndmask_b32_e64 v8, v1, v3, s[8:9]
	v_or_b32_e32 v3, 0x100, v0
	v_cmp_gt_u32_e64 s[2:3], s33, v3
	s_mov_b32 s39, 0
	v_cndmask_b32_e64 v10, v1, v3, s[2:3]
	v_or_b32_e32 v3, 0x140, v0
	v_cmp_gt_u32_e64 s[0:1], s33, v3
	s_lshl_b64 s[40:41], s[38:39], 2
	s_mov_b32 s23, s39
	v_cmp_gt_u32_e64 s[14:15], s33, v0
	v_cndmask_b32_e64 v12, v1, v3, s[0:1]
	v_or_b32_e32 v3, 0x180, v0
	s_waitcnt lgkmcnt(0)
	s_add_u32 s16, s26, s40
	v_cndmask_b32_e64 v2, v1, v0, s[14:15]
	v_cmp_gt_u32_e32 vcc, s33, v3
	s_addc_u32 s17, s27, s41
	s_lshl_b64 s[26:27], s[22:23], 2
	v_cndmask_b32_e32 v14, v1, v3, vcc
	s_add_u32 s23, s16, s26
	v_ashrrev_i32_e32 v3, 31, v2
	s_addc_u32 s39, s17, s27
	v_lshlrev_b64 v[2:3], 2, v[2:3]
	v_mov_b32_e32 v1, s39
	v_add_co_u32_e64 v16, s[16:17], s23, v2
	v_ashrrev_i32_e32 v5, 31, v4
	v_addc_co_u32_e64 v17, s[16:17], v1, v3, s[16:17]
	v_lshlrev_b64 v[4:5], 2, v[4:5]
	v_add_co_u32_e64 v18, s[16:17], s23, v4
	v_ashrrev_i32_e32 v7, 31, v6
	v_addc_co_u32_e64 v19, s[16:17], v1, v5, s[16:17]
	v_lshlrev_b64 v[6:7], 2, v[6:7]
	v_add_co_u32_e64 v20, s[16:17], s23, v6
	v_ashrrev_i32_e32 v9, 31, v8
	v_addc_co_u32_e64 v21, s[16:17], v1, v7, s[16:17]
	v_lshlrev_b64 v[8:9], 2, v[8:9]
	v_add_co_u32_e64 v22, s[16:17], s23, v8
	v_ashrrev_i32_e32 v11, 31, v10
	v_addc_co_u32_e64 v23, s[16:17], v1, v9, s[16:17]
	v_lshlrev_b64 v[10:11], 2, v[10:11]
	v_add_co_u32_e64 v24, s[16:17], s23, v10
	v_ashrrev_i32_e32 v13, 31, v12
	v_addc_co_u32_e64 v25, s[16:17], v1, v11, s[16:17]
	v_lshlrev_b64 v[12:13], 2, v[12:13]
	v_add_co_u32_e64 v26, s[16:17], s23, v12
	v_ashrrev_i32_e32 v15, 31, v14
	v_addc_co_u32_e64 v27, s[16:17], v1, v13, s[16:17]
	v_lshlrev_b64 v[14:15], 2, v[14:15]
	v_add_co_u32_e64 v28, s[16:17], s23, v14
	v_addc_co_u32_e64 v29, s[16:17], v1, v15, s[16:17]
	global_load_dword v1, v[16:17], off
	global_load_dword v30, v[18:19], off
	;; [unrolled: 1-line block ×7, first 2 shown]
	v_mbcnt_lo_u32_b32 v16, -1, 0
	v_mbcnt_hi_u32_b32 v16, -1, v16
	v_and_b32_e32 v17, 64, v16
	v_add_u32_e32 v17, 64, v17
	v_xor_b32_e32 v19, 32, v16
	v_cmp_lt_i32_e64 s[16:17], v19, v17
	v_cndmask_b32_e64 v19, v16, v19, s[16:17]
	v_lshlrev_b32_e32 v19, 2, v19
	v_xor_b32_e32 v25, 1, v16
	s_waitcnt vmcnt(4)
	v_max3_f32 v18, v1, v30, v31
	s_waitcnt vmcnt(2)
	v_max3_f32 v18, v18, v32, v33
	;; [unrolled: 2-line block ×3, first 2 shown]
	ds_bpermute_b32 v20, v19, v18
	s_waitcnt lgkmcnt(0)
	v_max_f32_e32 v20, v20, v20
	v_max_f32_e32 v18, v18, v20
	v_xor_b32_e32 v20, 16, v16
	v_cmp_lt_i32_e64 s[16:17], v20, v17
	v_cndmask_b32_e64 v20, v16, v20, s[16:17]
	v_lshlrev_b32_e32 v20, 2, v20
	ds_bpermute_b32 v21, v20, v18
	s_waitcnt lgkmcnt(0)
	v_max_f32_e32 v21, v21, v21
	v_max_f32_e32 v18, v18, v21
	v_xor_b32_e32 v21, 8, v16
	v_cmp_lt_i32_e64 s[16:17], v21, v17
	v_cndmask_b32_e64 v21, v16, v21, s[16:17]
	v_lshlrev_b32_e32 v21, 2, v21
	;; [unrolled: 8-line block ×3, first 2 shown]
	ds_bpermute_b32 v23, v22, v18
	s_waitcnt lgkmcnt(0)
	v_max_f32_e32 v23, v23, v23
	v_max_f32_e32 v18, v18, v23
	v_xor_b32_e32 v23, 2, v16
	v_cmp_lt_i32_e64 s[16:17], v23, v17
	v_cndmask_b32_e64 v23, v16, v23, s[16:17]
	s_add_u32 s16, s24, s40
	s_addc_u32 s17, s25, s41
	s_add_u32 s23, s16, s26
	s_addc_u32 s24, s17, s27
	v_mov_b32_e32 v24, s24
	v_add_co_u32_e64 v2, s[16:17], s23, v2
	v_addc_co_u32_e64 v3, s[16:17], v24, v3, s[16:17]
	v_lshlrev_b32_e32 v23, 2, v23
	global_load_dword v24, v[2:3], off
	ds_bpermute_b32 v2, v23, v18
	v_mov_b32_e32 v3, s24
	s_mov_b32 s25, 0x42b17218
	s_waitcnt lgkmcnt(0)
	v_max_f32_e32 v2, v2, v2
	v_max_f32_e32 v18, v18, v2
	v_add_co_u32_e64 v2, s[16:17], s23, v4
	v_addc_co_u32_e64 v3, s[16:17], v3, v5, s[16:17]
	v_cmp_lt_i32_e64 s[16:17], v25, v17
	global_load_dword v26, v[2:3], off
	v_cndmask_b32_e64 v2, v16, v25, s[16:17]
	v_lshlrev_b32_e32 v16, 2, v2
	v_mov_b32_e32 v3, s24
	v_add_co_u32_e64 v2, s[16:17], s23, v6
	v_addc_co_u32_e64 v3, s[16:17], v3, v7, s[16:17]
	global_load_dword v25, v[2:3], off
	v_mov_b32_e32 v3, s24
	v_add_co_u32_e64 v2, s[16:17], s23, v8
	ds_bpermute_b32 v17, v16, v18
	v_addc_co_u32_e64 v3, s[16:17], v3, v9, s[16:17]
	global_load_dword v2, v[2:3], off
	v_mov_b32_e32 v5, s24
	v_add_co_u32_e64 v4, s[16:17], s23, v10
	v_addc_co_u32_e64 v5, s[16:17], v5, v11, s[16:17]
	s_waitcnt lgkmcnt(0)
	v_max_f32_e32 v10, v17, v17
	v_mov_b32_e32 v7, s24
	v_add_co_u32_e64 v6, s[16:17], s23, v12
	v_max_f32_e32 v10, v18, v10
	v_addc_co_u32_e64 v7, s[16:17], v7, v13, s[16:17]
	v_sub_f32_e32 v1, v1, v10
	v_add_co_u32_e64 v8, s[16:17], s23, v14
	s_mov_b32 s23, 0x3fb8aa3b
	v_mul_f32_e32 v3, 0x3fb8aa3b, v1
	v_fma_f32 v11, v1, s23, -v3
	v_rndne_f32_e32 v12, v3
	v_mov_b32_e32 v9, s24
	v_fmac_f32_e32 v11, 0x32a5705f, v1
	v_sub_f32_e32 v3, v3, v12
	v_addc_co_u32_e64 v9, s[16:17], v9, v15, s[16:17]
	v_add_f32_e32 v3, v3, v11
	v_cvt_i32_f32_e32 v11, v12
	global_load_dword v12, v[4:5], off
	global_load_dword v13, v[6:7], off
	;; [unrolled: 1-line block ×3, first 2 shown]
	v_sub_f32_e32 v5, v30, v10
	v_mul_f32_e32 v6, 0x3fb8aa3b, v5
	v_fma_f32 v7, v5, s23, -v6
	v_rndne_f32_e32 v8, v6
	v_exp_f32_e32 v3, v3
	v_fmac_f32_e32 v7, 0x32a5705f, v5
	v_sub_f32_e32 v6, v6, v8
	v_add_f32_e32 v6, v6, v7
	v_exp_f32_e32 v6, v6
	v_cvt_i32_f32_e32 v7, v8
	s_mov_b32 s24, 0xc2ce8ed0
	v_ldexp_f32 v3, v3, v11
	v_cmp_ngt_f32_e64 s[16:17], s24, v1
	v_cndmask_b32_e64 v3, 0, v3, s[16:17]
	v_mov_b32_e32 v4, 0x7f800000
	v_cmp_nlt_f32_e64 s[16:17], s25, v1
	v_cndmask_b32_e64 v1, v4, v3, s[16:17]
	v_ldexp_f32 v3, v6, v7
	v_sub_f32_e32 v6, v31, v10
	v_mul_f32_e32 v7, 0x3fb8aa3b, v6
	v_fma_f32 v8, v6, s23, -v7
	v_rndne_f32_e32 v9, v7
	v_fmac_f32_e32 v8, 0x32a5705f, v6
	v_sub_f32_e32 v7, v7, v9
	v_add_f32_e32 v7, v7, v8
	v_exp_f32_e32 v7, v7
	v_cvt_i32_f32_e32 v8, v9
	v_cndmask_b32_e64 v1, 0, v1, s[14:15]
	v_cmp_ngt_f32_e64 s[14:15], s24, v5
	v_cndmask_b32_e64 v3, 0, v3, s[14:15]
	v_cmp_nlt_f32_e64 s[14:15], s25, v5
	v_ldexp_f32 v5, v7, v8
	v_sub_f32_e32 v7, v32, v10
	v_mul_f32_e32 v8, 0x3fb8aa3b, v7
	v_fma_f32 v9, v7, s23, -v8
	v_rndne_f32_e32 v11, v8
	v_fmac_f32_e32 v9, 0x32a5705f, v7
	v_sub_f32_e32 v8, v8, v11
	v_add_f32_e32 v8, v8, v9
	v_exp_f32_e32 v8, v8
	v_cvt_i32_f32_e32 v9, v11
	v_cndmask_b32_e64 v3, v4, v3, s[14:15]
	v_cndmask_b32_e64 v3, 0, v3, s[12:13]
	v_cmp_ngt_f32_e64 s[12:13], s24, v6
	v_cndmask_b32_e64 v5, 0, v5, s[12:13]
	v_cmp_nlt_f32_e64 s[12:13], s25, v6
	v_ldexp_f32 v6, v8, v9
	v_sub_f32_e32 v8, v33, v10
	v_mul_f32_e32 v9, 0x3fb8aa3b, v8
	v_fma_f32 v11, v8, s23, -v9
	v_rndne_f32_e32 v15, v9
	v_fmac_f32_e32 v11, 0x32a5705f, v8
	v_sub_f32_e32 v9, v9, v15
	v_cndmask_b32_e64 v5, v4, v5, s[12:13]
	v_add_f32_e32 v9, v9, v11
	v_cndmask_b32_e64 v5, 0, v5, s[10:11]
	v_cmp_ngt_f32_e64 s[10:11], s24, v7
	v_exp_f32_e32 v9, v9
	v_cvt_i32_f32_e32 v11, v15
	v_cndmask_b32_e64 v6, 0, v6, s[10:11]
	v_cmp_nlt_f32_e64 s[10:11], s25, v7
	v_cndmask_b32_e64 v6, v4, v6, s[10:11]
	v_cndmask_b32_e64 v6, 0, v6, s[8:9]
	v_sub_f32_e32 v7, v34, v10
	s_waitcnt vmcnt(3)
	v_mul_f32_e32 v6, v2, v6
	v_ldexp_f32 v2, v9, v11
	v_mul_f32_e32 v9, 0x3fb8aa3b, v7
	v_fma_f32 v11, v7, s23, -v9
	v_rndne_f32_e32 v15, v9
	v_fmac_f32_e32 v11, 0x32a5705f, v7
	v_sub_f32_e32 v9, v9, v15
	v_add_f32_e32 v9, v9, v11
	v_cmp_ngt_f32_e64 s[8:9], s24, v8
	v_exp_f32_e32 v9, v9
	v_cvt_i32_f32_e32 v11, v15
	v_cndmask_b32_e64 v2, 0, v2, s[8:9]
	v_cmp_nlt_f32_e64 s[8:9], s25, v8
	v_cndmask_b32_e64 v2, v4, v2, s[8:9]
	v_cndmask_b32_e64 v2, 0, v2, s[2:3]
	s_waitcnt vmcnt(2)
	v_mul_f32_e32 v8, v12, v2
	v_ldexp_f32 v2, v9, v11
	v_sub_f32_e32 v9, v35, v10
	v_mul_f32_e32 v10, 0x3fb8aa3b, v9
	v_fma_f32 v11, v9, s23, -v10
	v_rndne_f32_e32 v12, v10
	v_fmac_f32_e32 v11, 0x32a5705f, v9
	v_sub_f32_e32 v10, v10, v12
	v_add_f32_e32 v10, v10, v11
	v_cmp_ngt_f32_e64 s[2:3], s24, v7
	v_exp_f32_e32 v10, v10
	v_cvt_i32_f32_e32 v11, v12
	v_cndmask_b32_e64 v2, 0, v2, s[2:3]
	v_cmp_nlt_f32_e64 s[2:3], s25, v7
	v_cndmask_b32_e64 v2, v4, v2, s[2:3]
	v_cndmask_b32_e64 v2, 0, v2, s[0:1]
	s_waitcnt vmcnt(1)
	v_mul_f32_e32 v7, v13, v2
	v_ldexp_f32 v2, v10, v11
	v_cmp_ngt_f32_e64 s[0:1], s24, v9
	v_mul_f32_e32 v1, v24, v1
	v_mul_f32_e32 v3, v26, v3
	v_cndmask_b32_e64 v2, 0, v2, s[0:1]
	v_cmp_nlt_f32_e64 s[0:1], s25, v9
	v_mul_f32_e32 v5, v25, v5
	v_cndmask_b32_e64 v2, v4, v2, s[0:1]
	v_add_f32_e32 v4, v1, v3
	v_add_f32_e32 v4, v4, v5
	;; [unrolled: 1-line block ×4, first 2 shown]
	v_cndmask_b32_e32 v2, 0, v2, vcc
	v_add_f32_e32 v4, v4, v7
	s_waitcnt vmcnt(0)
	v_fmac_f32_e32 v4, v14, v2
	ds_bpermute_b32 v9, v19, v4
	v_lshlrev_b32_e32 v11, 2, v0
	ds_write2st64_b32 v11, v1, v3 offset1:1
	v_mul_f32_e32 v10, v14, v2
	v_cmp_eq_u32_e32 vcc, 0, v0
	s_waitcnt lgkmcnt(1)
	v_add_f32_e32 v4, v4, v9
	ds_bpermute_b32 v9, v20, v4
	ds_write2st64_b32 v11, v5, v6 offset0:2 offset1:3
	ds_write2st64_b32 v11, v8, v7 offset0:4 offset1:5
	ds_write_b32 v11, v10 offset:1536
	s_waitcnt lgkmcnt(3)
	v_add_f32_e32 v4, v4, v9
	ds_bpermute_b32 v9, v21, v4
	s_waitcnt lgkmcnt(0)
	v_add_f32_e32 v4, v4, v9
	ds_bpermute_b32 v9, v22, v4
	;; [unrolled: 3-line block ×4, first 2 shown]
	s_and_saveexec_b64 s[0:1], vcc
	s_cbranch_execz .LBB22_8
; %bb.7:
	s_waitcnt lgkmcnt(0)
	v_add_f32_e32 v1, v1, v2
	v_mov_b32_e32 v2, 0
	ds_write_b32 v2, v1 offset:1792
.LBB22_8:
	s_or_b64 exec, exec, s[0:1]
	v_mov_b32_e32 v1, s22
.LBB22_9:
	s_or_b64 exec, exec, s[36:37]
	s_lshl_b32 s0, s38, 6
	s_mov_b32 s1, 0
	s_lshl_b64 s[0:1], s[0:1], 1
	s_add_u32 s0, s20, s0
	s_addc_u32 s1, s21, s1
	s_lshl_b32 s10, s33, 6
	s_waitcnt lgkmcnt(0)
	v_lshlrev_b32_e32 v2, 6, v1
	v_mov_b32_e32 v3, 0
	s_sub_i32 s11, s10, 64
	v_lshlrev_b64 v[4:5], 1, v[2:3]
	s_cmp_lt_i32 s42, 1
	v_mov_b32_e32 v1, s1
	v_add_co_u32_e32 v4, vcc, s0, v4
	s_cselect_b32 s0, s11, 0
	v_addc_co_u32_e32 v1, vcc, v1, v5, vcc
	v_lshlrev_b32_e32 v2, 1, v0
	s_ashr_i32 s1, s0, 31
	v_add_co_u32_e32 v0, vcc, v4, v2
	s_lshl_b64 s[0:1], s[0:1], 1
	v_addc_co_u32_e32 v1, vcc, 0, v1, vcc
	s_cmpk_lt_i32 s42, 0x101
	v_add_co_u32_e32 v12, vcc, s0, v0
	s_cselect_b32 s0, s11, 64
	v_mov_b32_e32 v4, s1
	s_ashr_i32 s1, s0, 31
	s_lshl_b64 s[0:1], s[0:1], 1
	v_addc_co_u32_e32 v13, vcc, v1, v4, vcc
	s_cmpk_lt_i32 s42, 0x201
	v_add_co_u32_e32 v14, vcc, s0, v0
	s_cselect_b32 s0, s11, 0x80
	v_mov_b32_e32 v4, s1
	s_ashr_i32 s1, s0, 31
	s_lshl_b64 s[0:1], s[0:1], 1
	v_addc_co_u32_e32 v15, vcc, v1, v4, vcc
	s_cmpk_lt_i32 s42, 0x301
	v_add_co_u32_e32 v16, vcc, s0, v0
	s_cselect_b32 s0, s11, 0xc0
	v_mov_b32_e32 v4, s1
	s_ashr_i32 s1, s0, 31
	s_lshl_b64 s[0:1], s[0:1], 1
	v_addc_co_u32_e32 v17, vcc, v1, v4, vcc
	s_cmpk_lt_i32 s42, 0x401
	v_add_co_u32_e32 v18, vcc, s0, v0
	s_cselect_b32 s0, s11, 0x100
	v_mov_b32_e32 v4, s1
	s_ashr_i32 s1, s0, 31
	s_lshl_b64 s[0:1], s[0:1], 1
	v_addc_co_u32_e32 v19, vcc, v1, v4, vcc
	s_cmpk_lt_i32 s42, 0x501
	v_add_co_u32_e32 v20, vcc, s0, v0
	s_cselect_b32 s0, s11, 0x140
	v_mov_b32_e32 v4, s1
	s_ashr_i32 s1, s0, 31
	s_lshl_b64 s[0:1], s[0:1], 1
	v_addc_co_u32_e32 v21, vcc, v1, v4, vcc
	s_cmpk_lt_i32 s42, 0x601
	v_add_co_u32_e32 v22, vcc, s0, v0
	s_cselect_b32 s0, s11, 0x180
	v_mov_b32_e32 v4, s1
	s_ashr_i32 s1, s0, 31
	s_lshl_b64 s[0:1], s[0:1], 1
	v_addc_co_u32_e32 v23, vcc, v1, v4, vcc
	s_cmpk_lt_i32 s42, 0x701
	v_add_co_u32_e32 v24, vcc, s0, v0
	s_cselect_b32 s0, s11, 0x1c0
	v_mov_b32_e32 v4, s1
	s_ashr_i32 s1, s0, 31
	s_lshl_b64 s[0:1], s[0:1], 1
	v_addc_co_u32_e32 v25, vcc, v1, v4, vcc
	s_cmpk_lt_i32 s42, 0x801
	v_add_co_u32_e32 v26, vcc, s0, v0
	s_cselect_b32 s0, s11, 0x200
	v_mov_b32_e32 v4, s1
	s_ashr_i32 s1, s0, 31
	s_lshl_b64 s[0:1], s[0:1], 1
	v_addc_co_u32_e32 v27, vcc, v1, v4, vcc
	s_cmpk_lt_i32 s42, 0x901
	global_load_ushort v4, v[12:13], off
	global_load_ushort v5, v[14:15], off
	;; [unrolled: 1-line block ×8, first 2 shown]
	v_add_co_u32_e32 v20, vcc, s0, v0
	s_cselect_b32 s0, s11, 0x240
	v_mov_b32_e32 v12, s1
	s_ashr_i32 s1, s0, 31
	s_lshl_b64 s[0:1], s[0:1], 1
	v_addc_co_u32_e32 v21, vcc, v1, v12, vcc
	s_cmpk_lt_i32 s42, 0xa01
	v_add_co_u32_e32 v22, vcc, s0, v0
	s_cselect_b32 s0, s11, 0x280
	v_mov_b32_e32 v12, s1
	s_ashr_i32 s1, s0, 31
	s_lshl_b64 s[0:1], s[0:1], 1
	v_addc_co_u32_e32 v23, vcc, v1, v12, vcc
	s_cmpk_lt_i32 s42, 0xb01
	;; [unrolled: 7-line block ×6, first 2 shown]
	v_add_co_u32_e32 v32, vcc, s0, v0
	s_cselect_b32 s0, s11, 0x3c0
	v_mov_b32_e32 v12, s1
	s_ashr_i32 s1, s0, 31
	v_addc_co_u32_e32 v33, vcc, v1, v12, vcc
	s_lshl_b64 s[0:1], s[0:1], 1
	v_mov_b32_e32 v12, s1
	v_add_co_u32_e32 v34, vcc, s0, v0
	v_addc_co_u32_e32 v35, vcc, v1, v12, vcc
	global_load_ushort v12, v[20:21], off
	global_load_ushort v13, v[22:23], off
	;; [unrolled: 1-line block ×8, first 2 shown]
	s_cmpk_gt_i32 s42, 0x1000
	s_cselect_b64 s[8:9], -1, 0
	s_cmpk_lt_i32 s42, 0x1001
	v_mov_b32_e32 v36, 0
	v_mov_b32_e32 v37, 0
	;; [unrolled: 1-line block ×48, first 2 shown]
	s_waitcnt lgkmcnt(0)
	; wave barrier
	s_cbranch_scc1 .LBB22_12
; %bb.10:
	s_cmpk_lt_u32 s42, 0x1101
	s_cselect_b32 s0, s11, 0x440
	s_ashr_i32 s1, s0, 31
	s_lshl_b64 s[0:1], s[0:1], 1
	s_cmpk_lt_u32 s42, 0x1201
	v_add_co_u32_e32 v28, vcc, s0, v0
	s_cselect_b32 s0, s11, 0x480
	v_mov_b32_e32 v20, s1
	s_ashr_i32 s1, s0, 31
	s_lshl_b64 s[0:1], s[0:1], 1
	v_addc_co_u32_e32 v29, vcc, v1, v20, vcc
	s_cmpk_lt_u32 s42, 0x1301
	v_add_co_u32_e32 v30, vcc, s0, v0
	s_cselect_b32 s0, s11, 0x4c0
	v_mov_b32_e32 v20, s1
	s_ashr_i32 s1, s0, 31
	s_lshl_b64 s[0:1], s[0:1], 1
	v_addc_co_u32_e32 v31, vcc, v1, v20, vcc
	;; [unrolled: 7-line block ×7, first 2 shown]
	s_cmpk_lt_u32 s42, 0x1901
	global_load_ushort v27, v[0:1], off offset:2048
	global_load_ushort v26, v[28:29], off
	global_load_ushort v25, v[30:31], off
	;; [unrolled: 1-line block ×7, first 2 shown]
	v_add_co_u32_e32 v36, vcc, s0, v0
	s_cselect_b32 s0, s11, 0x640
	v_mov_b32_e32 v28, s1
	s_ashr_i32 s1, s0, 31
	s_lshl_b64 s[0:1], s[0:1], 1
	v_addc_co_u32_e32 v37, vcc, v1, v28, vcc
	s_cmpk_lt_u32 s42, 0x1a01
	v_add_co_u32_e32 v38, vcc, s0, v0
	s_cselect_b32 s0, s11, 0x680
	v_mov_b32_e32 v28, s1
	s_ashr_i32 s1, s0, 31
	s_lshl_b64 s[0:1], s[0:1], 1
	v_addc_co_u32_e32 v39, vcc, v1, v28, vcc
	s_cmpk_lt_u32 s42, 0x1b01
	;; [unrolled: 7-line block ×6, first 2 shown]
	v_add_co_u32_e32 v48, vcc, s0, v0
	s_cselect_b32 s0, s11, 0x7c0
	v_mov_b32_e32 v28, s1
	s_ashr_i32 s1, s0, 31
	v_addc_co_u32_e32 v49, vcc, v1, v28, vcc
	s_lshl_b64 s[0:1], s[0:1], 1
	v_mov_b32_e32 v28, s1
	v_add_co_u32_e32 v50, vcc, s0, v0
	v_addc_co_u32_e32 v51, vcc, v1, v28, vcc
	global_load_ushort v35, v[36:37], off
	global_load_ushort v34, v[38:39], off
	global_load_ushort v33, v[40:41], off
	global_load_ushort v32, v[42:43], off
	global_load_ushort v31, v[44:45], off
	global_load_ushort v30, v[46:47], off
	global_load_ushort v29, v[48:49], off
	global_load_ushort v28, v[50:51], off
	s_cmpk_lt_u32 s42, 0x2001
	v_mov_b32_e32 v67, 0
	v_mov_b32_e32 v66, 0
	;; [unrolled: 1-line block ×32, first 2 shown]
	s_cbranch_scc1 .LBB22_12
; %bb.11:
	s_cmpk_lt_u32 s42, 0x2101
	s_cselect_b32 s0, s11, 0x840
	s_ashr_i32 s1, s0, 31
	v_add_co_u32_e32 v36, vcc, 0x1000, v0
	s_lshl_b64 s[0:1], s[0:1], 1
	v_addc_co_u32_e32 v37, vcc, 0, v1, vcc
	s_cmpk_lt_u32 s42, 0x2201
	v_add_co_u32_e32 v38, vcc, s0, v0
	s_cselect_b32 s0, s11, 0x880
	v_mov_b32_e32 v39, s1
	s_ashr_i32 s1, s0, 31
	s_lshl_b64 s[0:1], s[0:1], 1
	v_addc_co_u32_e32 v39, vcc, v1, v39, vcc
	s_cmpk_lt_u32 s42, 0x2301
	v_add_co_u32_e32 v40, vcc, s0, v0
	s_cselect_b32 s0, s11, 0x8c0
	v_mov_b32_e32 v41, s1
	s_ashr_i32 s1, s0, 31
	s_lshl_b64 s[0:1], s[0:1], 1
	v_addc_co_u32_e32 v41, vcc, v1, v41, vcc
	s_cmpk_lt_u32 s42, 0x2401
	v_add_co_u32_e32 v42, vcc, s0, v0
	s_cselect_b32 s0, s11, 0x900
	v_mov_b32_e32 v43, s1
	s_ashr_i32 s1, s0, 31
	s_lshl_b64 s[0:1], s[0:1], 1
	v_addc_co_u32_e32 v43, vcc, v1, v43, vcc
	s_cmpk_lt_u32 s42, 0x2501
	v_add_co_u32_e32 v44, vcc, s0, v0
	s_cselect_b32 s0, s11, 0x940
	v_mov_b32_e32 v45, s1
	s_ashr_i32 s1, s0, 31
	s_lshl_b64 s[0:1], s[0:1], 1
	v_addc_co_u32_e32 v45, vcc, v1, v45, vcc
	s_cmpk_lt_u32 s42, 0x2601
	v_add_co_u32_e32 v46, vcc, s0, v0
	s_cselect_b32 s0, s11, 0x980
	v_mov_b32_e32 v47, s1
	s_ashr_i32 s1, s0, 31
	s_lshl_b64 s[0:1], s[0:1], 1
	v_addc_co_u32_e32 v47, vcc, v1, v47, vcc
	s_cmpk_lt_u32 s42, 0x2701
	v_add_co_u32_e32 v48, vcc, s0, v0
	s_cselect_b32 s0, s11, 0x9c0
	v_mov_b32_e32 v49, s1
	s_ashr_i32 s1, s0, 31
	s_lshl_b64 s[0:1], s[0:1], 1
	v_addc_co_u32_e32 v49, vcc, v1, v49, vcc
	s_cmpk_lt_u32 s42, 0x2801
	v_add_co_u32_e32 v50, vcc, s0, v0
	s_cselect_b32 s0, s11, 0xa00
	v_mov_b32_e32 v51, s1
	s_ashr_i32 s1, s0, 31
	s_lshl_b64 s[0:1], s[0:1], 1
	v_addc_co_u32_e32 v51, vcc, v1, v51, vcc
	s_cmpk_lt_u32 s42, 0x2901
	global_load_ushort v52, v[36:37], off
	global_load_ushort v53, v[38:39], off
	global_load_ushort v54, v[40:41], off
	global_load_ushort v55, v[42:43], off
	global_load_ushort v56, v[44:45], off
	global_load_ushort v57, v[46:47], off
	global_load_ushort v58, v[48:49], off
	global_load_ushort v59, v[50:51], off
	v_add_co_u32_e32 v36, vcc, s0, v0
	s_cselect_b32 s0, s11, 0xa40
	v_mov_b32_e32 v37, s1
	s_ashr_i32 s1, s0, 31
	s_lshl_b64 s[0:1], s[0:1], 1
	v_addc_co_u32_e32 v37, vcc, v1, v37, vcc
	s_cmpk_lt_u32 s42, 0x2a01
	v_add_co_u32_e32 v38, vcc, s0, v0
	s_cselect_b32 s0, s11, 0xa80
	v_mov_b32_e32 v39, s1
	s_ashr_i32 s1, s0, 31
	s_lshl_b64 s[0:1], s[0:1], 1
	v_addc_co_u32_e32 v39, vcc, v1, v39, vcc
	s_cmpk_lt_u32 s42, 0x2b01
	v_add_co_u32_e32 v40, vcc, s0, v0
	s_cselect_b32 s0, s11, 0xac0
	v_mov_b32_e32 v41, s1
	s_ashr_i32 s1, s0, 31
	s_lshl_b64 s[0:1], s[0:1], 1
	v_addc_co_u32_e32 v41, vcc, v1, v41, vcc
	s_cmpk_lt_u32 s42, 0x2c01
	v_add_co_u32_e32 v42, vcc, s0, v0
	s_cselect_b32 s0, s11, 0xb00
	v_mov_b32_e32 v43, s1
	s_ashr_i32 s1, s0, 31
	s_lshl_b64 s[0:1], s[0:1], 1
	v_addc_co_u32_e32 v43, vcc, v1, v43, vcc
	s_cmpk_lt_u32 s42, 0x2d01
	v_add_co_u32_e32 v44, vcc, s0, v0
	s_cselect_b32 s0, s11, 0xb40
	v_mov_b32_e32 v45, s1
	s_ashr_i32 s1, s0, 31
	s_lshl_b64 s[0:1], s[0:1], 1
	v_addc_co_u32_e32 v45, vcc, v1, v45, vcc
	s_cmpk_lt_u32 s42, 0x2e01
	v_add_co_u32_e32 v46, vcc, s0, v0
	s_cselect_b32 s0, s11, 0xb80
	v_mov_b32_e32 v47, s1
	s_ashr_i32 s1, s0, 31
	s_lshl_b64 s[0:1], s[0:1], 1
	v_addc_co_u32_e32 v47, vcc, v1, v47, vcc
	s_cmpk_lt_u32 s42, 0x2f01
	v_add_co_u32_e32 v48, vcc, s0, v0
	s_cselect_b32 s0, s11, 0xbc0
	v_mov_b32_e32 v49, s1
	s_ashr_i32 s1, s0, 31
	s_lshl_b64 s[0:1], s[0:1], 1
	v_addc_co_u32_e32 v49, vcc, v1, v49, vcc
	s_cmpk_lt_u32 s42, 0x3001
	v_add_co_u32_e32 v50, vcc, s0, v0
	s_cselect_b32 s0, s11, 0xc00
	v_mov_b32_e32 v51, s1
	s_ashr_i32 s1, s0, 31
	s_lshl_b64 s[0:1], s[0:1], 1
	v_addc_co_u32_e32 v51, vcc, v1, v51, vcc
	s_cmpk_lt_u32 s42, 0x3101
	global_load_ushort v68, v[36:37], off
	global_load_ushort v69, v[38:39], off
	global_load_ushort v70, v[40:41], off
	global_load_ushort v71, v[42:43], off
	global_load_ushort v72, v[44:45], off
	global_load_ushort v73, v[46:47], off
	global_load_ushort v74, v[48:49], off
	global_load_ushort v75, v[50:51], off
	v_add_co_u32_e32 v36, vcc, s0, v0
	s_cselect_b32 s0, s11, 0xc40
	v_mov_b32_e32 v37, s1
	s_ashr_i32 s1, s0, 31
	;; [unrolled: 64-line block ×3, first 2 shown]
	s_lshl_b64 s[0:1], s[0:1], 1
	v_addc_co_u32_e32 v37, vcc, v1, v37, vcc
	s_cmpk_lt_u32 s42, 0x3a01
	v_add_co_u32_e32 v38, vcc, s0, v0
	s_cselect_b32 s0, s11, 0xe80
	v_mov_b32_e32 v39, s1
	s_ashr_i32 s1, s0, 31
	s_lshl_b64 s[0:1], s[0:1], 1
	v_addc_co_u32_e32 v39, vcc, v1, v39, vcc
	s_cmpk_lt_u32 s42, 0x3b01
	v_add_co_u32_e32 v40, vcc, s0, v0
	s_cselect_b32 s0, s11, 0xec0
	v_mov_b32_e32 v41, s1
	s_ashr_i32 s1, s0, 31
	;; [unrolled: 7-line block ×6, first 2 shown]
	v_addc_co_u32_e32 v49, vcc, v1, v49, vcc
	s_lshl_b64 s[0:1], s[0:1], 1
	v_mov_b32_e32 v51, s1
	v_add_co_u32_e32 v50, vcc, s0, v0
	v_addc_co_u32_e32 v51, vcc, v1, v51, vcc
	global_load_ushort v84, v[36:37], off
	global_load_ushort v85, v[38:39], off
	;; [unrolled: 1-line block ×8, first 2 shown]
	s_waitcnt vmcnt(31)
	v_cvt_f32_f16_e32 v67, v52
	s_waitcnt vmcnt(30)
	v_cvt_f32_f16_e32 v66, v53
	;; [unrolled: 2-line block ×32, first 2 shown]
.LBB22_12:
	ds_read_b128 v[68:71], v3
	s_load_dwordx2 s[0:1], s[4:5], 0x0
	s_load_dwordx2 s[2:3], s[4:5], 0x38
	ds_read_b128 v[72:75], v3 offset:16
	ds_read_b128 v[76:79], v3 offset:32
	;; [unrolled: 1-line block ×3, first 2 shown]
	s_and_b64 vcc, exec, s[8:9]
	s_waitcnt vmcnt(15) lgkmcnt(0)
	v_fma_mix_f32 v4, v68, v4, 0 op_sel_hi:[0,1,0]
	s_waitcnt vmcnt(14)
	v_fma_mix_f32 v4, v69, v5, v4 op_sel_hi:[0,1,0]
	s_waitcnt vmcnt(13)
	;; [unrolled: 2-line block ×15, first 2 shown]
	v_fma_mix_f32 v4, v83, v19, v4 op_sel_hi:[0,1,0]
	s_cbranch_vccz .LBB22_15
; %bb.13:
	ds_read_b128 v[6:9], v3 offset:64
	ds_read_b128 v[10:13], v3 offset:80
	;; [unrolled: 1-line block ×4, first 2 shown]
	s_cmpk_lt_u32 s42, 0x2001
	s_waitcnt lgkmcnt(3)
	v_fma_mix_f32 v3, v6, v27, v4 op_sel_hi:[0,1,0]
	v_fma_mix_f32 v3, v7, v26, v3 op_sel_hi:[0,1,0]
	v_fma_mix_f32 v3, v8, v25, v3 op_sel_hi:[0,1,0]
	v_fma_mix_f32 v3, v9, v24, v3 op_sel_hi:[0,1,0]
	s_waitcnt lgkmcnt(2)
	v_fma_mix_f32 v3, v10, v23, v3 op_sel_hi:[0,1,0]
	v_fma_mix_f32 v3, v11, v22, v3 op_sel_hi:[0,1,0]
	v_fma_mix_f32 v3, v12, v20, v3 op_sel_hi:[0,1,0]
	v_fma_mix_f32 v3, v13, v21, v3 op_sel_hi:[0,1,0]
	;; [unrolled: 5-line block ×4, first 2 shown]
	s_cbranch_scc1 .LBB22_15
; %bb.14:
	v_mov_b32_e32 v3, 0
	ds_read_b128 v[6:9], v3 offset:128
	ds_read_b128 v[10:13], v3 offset:144
	;; [unrolled: 1-line block ×4, first 2 shown]
	s_waitcnt lgkmcnt(3)
	v_fmac_f32_e32 v4, v6, v67
	v_fmac_f32_e32 v4, v7, v66
	v_fmac_f32_e32 v4, v8, v65
	v_fmac_f32_e32 v4, v9, v64
	s_waitcnt lgkmcnt(2)
	v_fmac_f32_e32 v4, v10, v63
	v_fmac_f32_e32 v4, v11, v62
	v_fmac_f32_e32 v4, v12, v61
	v_fmac_f32_e32 v4, v13, v60
	;; [unrolled: 5-line block ×3, first 2 shown]
	ds_read_b128 v[6:9], v3 offset:192
	ds_read_b128 v[10:13], v3 offset:208
	s_waitcnt lgkmcnt(2)
	v_fmac_f32_e32 v4, v18, v55
	v_fmac_f32_e32 v4, v19, v54
	;; [unrolled: 1-line block ×4, first 2 shown]
	s_waitcnt lgkmcnt(1)
	v_fmac_f32_e32 v4, v6, v51
	v_fmac_f32_e32 v4, v7, v50
	v_fmac_f32_e32 v4, v8, v49
	v_fmac_f32_e32 v4, v9, v48
	ds_read_b128 v[6:9], v3 offset:224
	s_waitcnt lgkmcnt(1)
	v_fmac_f32_e32 v4, v10, v47
	v_fmac_f32_e32 v4, v11, v46
	;; [unrolled: 1-line block ×4, first 2 shown]
	ds_read_b128 v[10:13], v3 offset:240
	s_waitcnt lgkmcnt(1)
	v_fmac_f32_e32 v4, v6, v43
	v_fmac_f32_e32 v4, v7, v42
	;; [unrolled: 1-line block ×4, first 2 shown]
	s_waitcnt lgkmcnt(0)
	v_fmac_f32_e32 v4, v10, v39
	v_fmac_f32_e32 v4, v11, v38
	;; [unrolled: 1-line block ×4, first 2 shown]
.LBB22_15:
	s_movk_i32 s4, 0x1fc0
	s_movk_i32 s5, 0x100
	s_mov_b32 s8, 64
	s_branch .LBB22_17
.LBB22_16:                              ;   in Loop: Header=BB22_17 Depth=1
	s_addk_i32 s4, 0x1000
	s_addk_i32 s5, 0x100
	s_add_i32 s8, s8, 64
	s_cmpk_eq_i32 s4, 0x7fc0
	s_cbranch_scc1 .LBB22_19
.LBB22_17:                              ; =>This Inner Loop Header: Depth=1
	s_cmp_le_i32 s33, s8
	s_cbranch_scc1 .LBB22_16
; %bb.18:                               ;   in Loop: Header=BB22_17 Depth=1
	s_add_i32 s9, s4, 0xfffff040
	s_cmp_lt_i32 s9, s10
	s_cselect_b32 s12, s9, s11
	s_ashr_i32 s13, s12, 31
	s_lshl_b64 s[12:13], s[12:13], 1
	s_add_i32 s9, s4, 0xfffff080
	s_cmp_lt_i32 s9, s10
	v_add_co_u32_e32 v12, vcc, s12, v0
	s_cselect_b32 s12, s9, s11
	v_mov_b32_e32 v3, s13
	s_ashr_i32 s13, s12, 31
	s_lshl_b64 s[12:13], s[12:13], 1
	s_add_i32 s9, s4, 0xfffff0c0
	v_addc_co_u32_e32 v13, vcc, v1, v3, vcc
	s_cmp_lt_i32 s9, s10
	v_add_co_u32_e32 v14, vcc, s12, v0
	s_cselect_b32 s12, s9, s11
	v_mov_b32_e32 v3, s13
	s_ashr_i32 s13, s12, 31
	s_lshl_b64 s[12:13], s[12:13], 1
	s_add_i32 s9, s4, 0xfffff100
	v_addc_co_u32_e32 v15, vcc, v1, v3, vcc
	;; [unrolled: 8-line block ×8, first 2 shown]
	s_cmp_lt_i32 s9, s10
	global_load_ushort v3, v[12:13], off
	global_load_ushort v5, v[14:15], off
	;; [unrolled: 1-line block ×8, first 2 shown]
	v_add_co_u32_e32 v20, vcc, s12, v0
	s_cselect_b32 s12, s9, s11
	v_mov_b32_e32 v12, s13
	s_ashr_i32 s13, s12, 31
	s_lshl_b64 s[12:13], s[12:13], 1
	s_add_i32 s9, s4, 0xfffff2c0
	v_addc_co_u32_e32 v21, vcc, v1, v12, vcc
	s_cmp_lt_i32 s9, s10
	v_add_co_u32_e32 v22, vcc, s12, v0
	s_cselect_b32 s12, s9, s11
	v_mov_b32_e32 v12, s13
	s_ashr_i32 s13, s12, 31
	s_lshl_b64 s[12:13], s[12:13], 1
	s_add_i32 s9, s4, 0xfffff300
	v_addc_co_u32_e32 v23, vcc, v1, v12, vcc
	s_cmp_lt_i32 s9, s10
	;; [unrolled: 8-line block ×8, first 2 shown]
	global_load_ushort v15, v[20:21], off
	global_load_ushort v16, v[22:23], off
	;; [unrolled: 1-line block ×8, first 2 shown]
	v_add_co_u32_e32 v28, vcc, s12, v0
	s_cselect_b32 s12, s9, s11
	v_mov_b32_e32 v20, s13
	s_ashr_i32 s13, s12, 31
	s_lshl_b64 s[12:13], s[12:13], 1
	s_add_i32 s9, s4, 0xfffff4c0
	v_addc_co_u32_e32 v29, vcc, v1, v20, vcc
	s_cmp_lt_i32 s9, s10
	v_add_co_u32_e32 v30, vcc, s12, v0
	s_cselect_b32 s12, s9, s11
	v_mov_b32_e32 v20, s13
	s_ashr_i32 s13, s12, 31
	s_lshl_b64 s[12:13], s[12:13], 1
	s_add_i32 s9, s4, 0xfffff500
	v_addc_co_u32_e32 v31, vcc, v1, v20, vcc
	s_cmp_lt_i32 s9, s10
	;; [unrolled: 8-line block ×8, first 2 shown]
	global_load_ushort v23, v[28:29], off
	global_load_ushort v24, v[30:31], off
	;; [unrolled: 1-line block ×8, first 2 shown]
	v_add_co_u32_e32 v36, vcc, s12, v0
	s_cselect_b32 s12, s9, s11
	v_mov_b32_e32 v28, s13
	s_ashr_i32 s13, s12, 31
	s_lshl_b64 s[12:13], s[12:13], 1
	s_add_i32 s9, s4, 0xfffff6c0
	v_addc_co_u32_e32 v37, vcc, v1, v28, vcc
	s_cmp_lt_i32 s9, s10
	v_add_co_u32_e32 v38, vcc, s12, v0
	s_cselect_b32 s12, s9, s11
	v_mov_b32_e32 v28, s13
	s_ashr_i32 s13, s12, 31
	s_lshl_b64 s[12:13], s[12:13], 1
	s_add_i32 s9, s4, 0xfffff700
	v_addc_co_u32_e32 v39, vcc, v1, v28, vcc
	s_cmp_lt_i32 s9, s10
	;; [unrolled: 8-line block ×8, first 2 shown]
	global_load_ushort v31, v[36:37], off
	global_load_ushort v32, v[38:39], off
	global_load_ushort v33, v[40:41], off
	global_load_ushort v34, v[42:43], off
	global_load_ushort v35, v[44:45], off
	global_load_ushort v28, v[46:47], off
	global_load_ushort v29, v[48:49], off
	global_load_ushort v30, v[50:51], off
	v_add_co_u32_e32 v36, vcc, s12, v0
	s_cselect_b32 s12, s9, s11
	v_mov_b32_e32 v37, s13
	s_ashr_i32 s13, s12, 31
	s_lshl_b64 s[12:13], s[12:13], 1
	s_add_i32 s9, s4, 0xfffff8c0
	v_addc_co_u32_e32 v37, vcc, v1, v37, vcc
	s_cmp_lt_i32 s9, s10
	v_add_co_u32_e32 v38, vcc, s12, v0
	s_cselect_b32 s12, s9, s11
	v_mov_b32_e32 v39, s13
	s_ashr_i32 s13, s12, 31
	s_lshl_b64 s[12:13], s[12:13], 1
	s_add_i32 s9, s4, 0xfffff900
	v_addc_co_u32_e32 v39, vcc, v1, v39, vcc
	s_cmp_lt_i32 s9, s10
	;; [unrolled: 8-line block ×8, first 2 shown]
	global_load_ushort v52, v[36:37], off
	global_load_ushort v53, v[38:39], off
	;; [unrolled: 1-line block ×8, first 2 shown]
	v_add_co_u32_e32 v36, vcc, s12, v0
	s_cselect_b32 s12, s9, s11
	v_mov_b32_e32 v37, s13
	s_ashr_i32 s13, s12, 31
	s_lshl_b64 s[12:13], s[12:13], 1
	s_add_i32 s9, s4, 0xfffffac0
	v_addc_co_u32_e32 v37, vcc, v1, v37, vcc
	s_cmp_lt_i32 s9, s10
	v_add_co_u32_e32 v38, vcc, s12, v0
	s_cselect_b32 s12, s9, s11
	v_mov_b32_e32 v39, s13
	s_ashr_i32 s13, s12, 31
	s_lshl_b64 s[12:13], s[12:13], 1
	s_add_i32 s9, s4, 0xfffffb00
	v_addc_co_u32_e32 v39, vcc, v1, v39, vcc
	s_cmp_lt_i32 s9, s10
	;; [unrolled: 8-line block ×8, first 2 shown]
	global_load_ushort v60, v[36:37], off
	global_load_ushort v61, v[38:39], off
	;; [unrolled: 1-line block ×8, first 2 shown]
	v_add_co_u32_e32 v36, vcc, s12, v0
	s_cselect_b32 s12, s9, s11
	v_mov_b32_e32 v37, s13
	s_ashr_i32 s13, s12, 31
	s_lshl_b64 s[12:13], s[12:13], 1
	s_add_i32 s9, s4, 0xfffffcc0
	v_addc_co_u32_e32 v37, vcc, v1, v37, vcc
	s_cmp_lt_i32 s9, s10
	v_add_co_u32_e32 v38, vcc, s12, v0
	s_cselect_b32 s12, s9, s11
	v_mov_b32_e32 v39, s13
	s_ashr_i32 s13, s12, 31
	s_lshl_b64 s[12:13], s[12:13], 1
	s_add_i32 s9, s4, 0xfffffd00
	v_addc_co_u32_e32 v39, vcc, v1, v39, vcc
	s_cmp_lt_i32 s9, s10
	;; [unrolled: 8-line block ×8, first 2 shown]
	global_load_ushort v68, v[36:37], off
	global_load_ushort v69, v[38:39], off
	;; [unrolled: 1-line block ×8, first 2 shown]
	v_add_co_u32_e32 v36, vcc, s12, v0
	s_cselect_b32 s12, s9, s11
	v_mov_b32_e32 v37, s13
	s_ashr_i32 s13, s12, 31
	s_lshl_b64 s[12:13], s[12:13], 1
	s_add_i32 s9, s4, 0xfffffec0
	v_addc_co_u32_e32 v37, vcc, v1, v37, vcc
	s_cmp_lt_i32 s9, s10
	v_add_co_u32_e32 v38, vcc, s12, v0
	s_cselect_b32 s12, s9, s11
	v_mov_b32_e32 v39, s13
	s_ashr_i32 s13, s12, 31
	s_lshl_b64 s[12:13], s[12:13], 1
	s_add_i32 s9, s4, 0xffffff00
	v_addc_co_u32_e32 v39, vcc, v1, v39, vcc
	s_cmp_lt_i32 s9, s10
	;; [unrolled: 8-line block ×4, first 2 shown]
	v_add_co_u32_e32 v44, vcc, s12, v0
	s_cselect_b32 s12, s9, s11
	v_mov_b32_e32 v45, s13
	s_ashr_i32 s13, s12, 31
	s_lshl_b64 s[12:13], s[12:13], 1
	s_sub_i32 s9, s4, 64
	v_addc_co_u32_e32 v45, vcc, v1, v45, vcc
	s_cmp_lt_i32 s9, s10
	v_add_co_u32_e32 v46, vcc, s12, v0
	s_cselect_b32 s12, s9, s11
	v_mov_b32_e32 v47, s13
	s_ashr_i32 s13, s12, 31
	s_lshl_b64 s[12:13], s[12:13], 1
	v_addc_co_u32_e32 v47, vcc, v1, v47, vcc
	s_cmp_lt_i32 s4, s10
	v_add_co_u32_e32 v48, vcc, s12, v0
	s_cselect_b32 s12, s4, s11
	v_mov_b32_e32 v49, s13
	s_ashr_i32 s13, s12, 31
	v_addc_co_u32_e32 v49, vcc, v1, v49, vcc
	s_lshl_b64 s[12:13], s[12:13], 1
	v_mov_b32_e32 v51, s13
	v_add_co_u32_e32 v50, vcc, s12, v0
	v_addc_co_u32_e32 v51, vcc, v1, v51, vcc
	global_load_ushort v76, v[36:37], off
	global_load_ushort v77, v[38:39], off
	;; [unrolled: 1-line block ×8, first 2 shown]
	v_mov_b32_e32 v84, s5
	ds_read_b128 v[36:39], v84
	ds_read_b128 v[40:43], v84 offset:16
	ds_read_b128 v[44:47], v84 offset:32
	;; [unrolled: 1-line block ×3, first 2 shown]
	s_waitcnt vmcnt(62) lgkmcnt(3)
	v_fma_mix_f32 v3, v36, v3, v4 op_sel_hi:[0,1,0]
	v_fma_mix_f32 v3, v37, v5, v3 op_sel_hi:[0,1,0]
	s_waitcnt vmcnt(61)
	v_fma_mix_f32 v3, v38, v6, v3 op_sel_hi:[0,1,0]
	s_waitcnt vmcnt(60)
	v_fma_mix_f32 v3, v39, v7, v3 op_sel_hi:[0,1,0]
	s_waitcnt vmcnt(59) lgkmcnt(2)
	v_fma_mix_f32 v3, v40, v8, v3 op_sel_hi:[0,1,0]
	s_waitcnt vmcnt(58)
	v_fma_mix_f32 v3, v41, v9, v3 op_sel_hi:[0,1,0]
	s_waitcnt vmcnt(57)
	;; [unrolled: 2-line block ×3, first 2 shown]
	v_fma_mix_f32 v3, v43, v11, v3 op_sel_hi:[0,1,0]
	s_waitcnt vmcnt(55) lgkmcnt(1)
	v_fma_mix_f32 v3, v44, v15, v3 op_sel_hi:[0,1,0]
	s_waitcnt vmcnt(54)
	v_fma_mix_f32 v3, v45, v16, v3 op_sel_hi:[0,1,0]
	s_waitcnt vmcnt(53)
	;; [unrolled: 2-line block ×3, first 2 shown]
	v_fma_mix_f32 v3, v47, v18, v3 op_sel_hi:[0,1,0]
	ds_read_b128 v[4:7], v84 offset:64
	ds_read_b128 v[8:11], v84 offset:80
	s_waitcnt vmcnt(51) lgkmcnt(2)
	v_fma_mix_f32 v3, v48, v19, v3 op_sel_hi:[0,1,0]
	s_waitcnt vmcnt(50)
	v_fma_mix_f32 v3, v49, v12, v3 op_sel_hi:[0,1,0]
	s_waitcnt vmcnt(49)
	;; [unrolled: 2-line block ×3, first 2 shown]
	v_fma_mix_f32 v3, v51, v14, v3 op_sel_hi:[0,1,0]
	s_waitcnt vmcnt(47) lgkmcnt(1)
	v_fma_mix_f32 v3, v4, v23, v3 op_sel_hi:[0,1,0]
	s_waitcnt vmcnt(46)
	v_fma_mix_f32 v3, v5, v24, v3 op_sel_hi:[0,1,0]
	s_waitcnt vmcnt(45)
	v_fma_mix_f32 v3, v6, v25, v3 op_sel_hi:[0,1,0]
	s_waitcnt vmcnt(44)
	v_fma_mix_f32 v3, v7, v26, v3 op_sel_hi:[0,1,0]
	ds_read_b128 v[4:7], v84 offset:96
	s_waitcnt vmcnt(43) lgkmcnt(1)
	v_fma_mix_f32 v3, v8, v27, v3 op_sel_hi:[0,1,0]
	s_waitcnt vmcnt(42)
	v_fma_mix_f32 v3, v9, v20, v3 op_sel_hi:[0,1,0]
	s_waitcnt vmcnt(41)
	v_fma_mix_f32 v3, v10, v21, v3 op_sel_hi:[0,1,0]
	s_waitcnt vmcnt(40)
	v_fma_mix_f32 v3, v11, v22, v3 op_sel_hi:[0,1,0]
	ds_read_b128 v[8:11], v84 offset:112
	;; [unrolled: 9-line block ×10, first 2 shown]
	s_waitcnt vmcnt(7) lgkmcnt(1)
	v_fma_mix_f32 v3, v4, v76, v3 op_sel_hi:[0,1,0]
	s_waitcnt vmcnt(6)
	v_fma_mix_f32 v3, v5, v77, v3 op_sel_hi:[0,1,0]
	s_waitcnt vmcnt(5)
	v_fma_mix_f32 v3, v6, v78, v3 op_sel_hi:[0,1,0]
	s_waitcnt vmcnt(4)
	v_fma_mix_f32 v3, v7, v79, v3 op_sel_hi:[0,1,0]
	s_waitcnt vmcnt(3) lgkmcnt(0)
	v_fma_mix_f32 v3, v8, v80, v3 op_sel_hi:[0,1,0]
	s_waitcnt vmcnt(2)
	v_fma_mix_f32 v3, v9, v81, v3 op_sel_hi:[0,1,0]
	s_waitcnt vmcnt(1)
	;; [unrolled: 2-line block ×3, first 2 shown]
	v_fma_mix_f32 v4, v11, v83, v3 op_sel_hi:[0,1,0]
	s_branch .LBB22_16
.LBB22_19:
	v_mov_b32_e32 v0, 0
	ds_read_b32 v1, v0 offset:1792
	s_cmp_lg_u64 s[2:3], 0
	s_cbranch_scc0 .LBB22_24
; %bb.20:
	s_load_dword s4, s[2:3], 0x0
	s_waitcnt lgkmcnt(0)
	v_div_scale_f32 v0, s[2:3], s4, s4, 1.0
	v_rcp_f32_e32 v3, v0
	v_div_scale_f32 v5, vcc, 1.0, s4, 1.0
	v_fma_f32 v6, -v0, v3, 1.0
	v_fmac_f32_e32 v3, v6, v3
	v_mul_f32_e32 v6, v5, v3
	v_fma_f32 v7, -v0, v6, v5
	v_fmac_f32_e32 v6, v7, v3
	v_fma_f32 v0, -v0, v6, v5
	v_div_fmas_f32 v0, v0, v3, v6
	v_div_fixup_f32 v0, v0, s4, 1.0
	s_andn2_b64 vcc, exec, s[30:31]
	s_cbranch_vccnz .LBB22_22
.LBB22_21:
	s_add_u32 s2, s28, s34
	s_addc_u32 s3, s29, s35
	s_load_dword s18, s[2:3], 0x0
	s_mov_b32 s19, 0
.LBB22_22:
	s_waitcnt lgkmcnt(0)
	v_add_f32_e32 v1, 0x358637bd, v1
	v_div_scale_f32 v3, s[2:3], v1, v1, 1.0
	v_rcp_f32_e32 v5, v3
	v_div_scale_f32 v6, vcc, 1.0, v1, 1.0
	s_mul_i32 s2, s7, s19
	v_fma_f32 v7, -v3, v5, 1.0
	v_fmac_f32_e32 v5, v7, v5
	v_mul_f32_e32 v7, v6, v5
	v_fma_f32 v8, -v3, v7, v6
	s_mul_hi_u32 s3, s7, s18
	v_fmac_f32_e32 v7, v8, v5
	s_add_i32 s3, s3, s2
	s_mul_i32 s2, s7, s18
	v_fma_f32 v3, -v3, v7, v6
	s_lshl_b64 s[2:3], s[2:3], 7
	v_div_fmas_f32 v3, v3, v5, v7
	s_add_u32 s2, s0, s2
	s_mov_b32 s7, 0
	v_div_fixup_f32 v1, v3, v1, 1.0
	s_addc_u32 s3, s1, s3
	s_lshl_b64 s[0:1], s[6:7], 7
	v_mul_f32_e32 v1, v4, v1
	s_add_u32 s0, s2, s0
	s_addc_u32 s1, s3, s1
	v_fma_mixlo_f16 v0, v1, v0, 0
	global_store_short v2, v0, s[0:1]
	s_endpgm
.LBB22_23:
	s_mov_b64 s[2:3], 0
	s_branch .LBB22_2
.LBB22_24:
	v_mov_b32_e32 v0, 1.0
	s_andn2_b64 vcc, exec, s[30:31]
	s_cbranch_vccz .LBB22_21
	s_branch .LBB22_22
	.section	.rodata,"a",@progbits
	.p2align	6, 0x0
	.amdhsa_kernel _Z35paged_attention_ll4mi_reduce_kernelIDF16_DF16_Li64ELi64ELi256ELi7EEvPT0_PKfS3_PKT_PKiS8_iS3_
		.amdhsa_group_segment_fixed_size 1796
		.amdhsa_private_segment_fixed_size 0
		.amdhsa_kernarg_size 320
		.amdhsa_user_sgpr_count 6
		.amdhsa_user_sgpr_private_segment_buffer 1
		.amdhsa_user_sgpr_dispatch_ptr 0
		.amdhsa_user_sgpr_queue_ptr 0
		.amdhsa_user_sgpr_kernarg_segment_ptr 1
		.amdhsa_user_sgpr_dispatch_id 0
		.amdhsa_user_sgpr_flat_scratch_init 0
		.amdhsa_user_sgpr_kernarg_preload_length 0
		.amdhsa_user_sgpr_kernarg_preload_offset 0
		.amdhsa_user_sgpr_private_segment_size 0
		.amdhsa_uses_dynamic_stack 0
		.amdhsa_system_sgpr_private_segment_wavefront_offset 0
		.amdhsa_system_sgpr_workgroup_id_x 1
		.amdhsa_system_sgpr_workgroup_id_y 1
		.amdhsa_system_sgpr_workgroup_id_z 0
		.amdhsa_system_sgpr_workgroup_info 0
		.amdhsa_system_vgpr_workitem_id 0
		.amdhsa_next_free_vgpr 92
		.amdhsa_next_free_sgpr 43
		.amdhsa_accum_offset 92
		.amdhsa_reserve_vcc 1
		.amdhsa_reserve_flat_scratch 0
		.amdhsa_float_round_mode_32 0
		.amdhsa_float_round_mode_16_64 0
		.amdhsa_float_denorm_mode_32 3
		.amdhsa_float_denorm_mode_16_64 3
		.amdhsa_dx10_clamp 1
		.amdhsa_ieee_mode 1
		.amdhsa_fp16_overflow 0
		.amdhsa_tg_split 0
		.amdhsa_exception_fp_ieee_invalid_op 0
		.amdhsa_exception_fp_denorm_src 0
		.amdhsa_exception_fp_ieee_div_zero 0
		.amdhsa_exception_fp_ieee_overflow 0
		.amdhsa_exception_fp_ieee_underflow 0
		.amdhsa_exception_fp_ieee_inexact 0
		.amdhsa_exception_int_div_zero 0
	.end_amdhsa_kernel
	.section	.text._Z35paged_attention_ll4mi_reduce_kernelIDF16_DF16_Li64ELi64ELi256ELi7EEvPT0_PKfS3_PKT_PKiS8_iS3_,"axG",@progbits,_Z35paged_attention_ll4mi_reduce_kernelIDF16_DF16_Li64ELi64ELi256ELi7EEvPT0_PKfS3_PKT_PKiS8_iS3_,comdat
.Lfunc_end22:
	.size	_Z35paged_attention_ll4mi_reduce_kernelIDF16_DF16_Li64ELi64ELi256ELi7EEvPT0_PKfS3_PKT_PKiS8_iS3_, .Lfunc_end22-_Z35paged_attention_ll4mi_reduce_kernelIDF16_DF16_Li64ELi64ELi256ELi7EEvPT0_PKfS3_PKT_PKiS8_iS3_
                                        ; -- End function
	.section	.AMDGPU.csdata,"",@progbits
; Kernel info:
; codeLenInByte = 10068
; NumSgprs: 47
; NumVgprs: 92
; NumAgprs: 0
; TotalNumVgprs: 92
; ScratchSize: 0
; MemoryBound: 0
; FloatMode: 240
; IeeeMode: 1
; LDSByteSize: 1796 bytes/workgroup (compile time only)
; SGPRBlocks: 5
; VGPRBlocks: 11
; NumSGPRsForWavesPerEU: 47
; NumVGPRsForWavesPerEU: 92
; AccumOffset: 92
; Occupancy: 5
; WaveLimiterHint : 1
; COMPUTE_PGM_RSRC2:SCRATCH_EN: 0
; COMPUTE_PGM_RSRC2:USER_SGPR: 6
; COMPUTE_PGM_RSRC2:TRAP_HANDLER: 0
; COMPUTE_PGM_RSRC2:TGID_X_EN: 1
; COMPUTE_PGM_RSRC2:TGID_Y_EN: 1
; COMPUTE_PGM_RSRC2:TGID_Z_EN: 0
; COMPUTE_PGM_RSRC2:TIDIG_COMP_CNT: 0
; COMPUTE_PGM_RSRC3_GFX90A:ACCUM_OFFSET: 22
; COMPUTE_PGM_RSRC3_GFX90A:TG_SPLIT: 0
	.section	.text._Z35paged_attention_ll4mi_reduce_kernelIDF16_DF16_Li64ELi64ELi256ELi8EEvPT0_PKfS3_PKT_PKiS8_iS3_,"axG",@progbits,_Z35paged_attention_ll4mi_reduce_kernelIDF16_DF16_Li64ELi64ELi256ELi8EEvPT0_PKfS3_PKT_PKiS8_iS3_,comdat
	.protected	_Z35paged_attention_ll4mi_reduce_kernelIDF16_DF16_Li64ELi64ELi256ELi8EEvPT0_PKfS3_PKT_PKiS8_iS3_ ; -- Begin function _Z35paged_attention_ll4mi_reduce_kernelIDF16_DF16_Li64ELi64ELi256ELi8EEvPT0_PKfS3_PKT_PKiS8_iS3_
	.globl	_Z35paged_attention_ll4mi_reduce_kernelIDF16_DF16_Li64ELi64ELi256ELi8EEvPT0_PKfS3_PKT_PKiS8_iS3_
	.p2align	8
	.type	_Z35paged_attention_ll4mi_reduce_kernelIDF16_DF16_Li64ELi64ELi256ELi8EEvPT0_PKfS3_PKT_PKiS8_iS3_,@function
_Z35paged_attention_ll4mi_reduce_kernelIDF16_DF16_Li64ELi64ELi256ELi8EEvPT0_PKfS3_PKT_PKiS8_iS3_: ; @_Z35paged_attention_ll4mi_reduce_kernelIDF16_DF16_Li64ELi64ELi256ELi8EEvPT0_PKfS3_PKT_PKiS8_iS3_
; %bb.0:
	s_load_dwordx2 s[30:31], s[4:5], 0x28
	s_mov_b32 s28, s7
	s_mov_b64 s[0:1], 0
	s_waitcnt lgkmcnt(0)
	s_cmp_lg_u64 s[30:31], 0
	s_cselect_b64 s[34:35], -1, 0
	s_and_b64 vcc, exec, s[34:35]
	s_cbranch_vccz .LBB23_23
; %bb.1:
	s_add_i32 s2, s28, 1
	s_mov_b32 s3, 0
	s_lshl_b64 s[8:9], s[2:3], 2
	s_add_u32 s8, s30, s8
	s_mov_b32 s29, s3
	s_addc_u32 s9, s31, s9
	s_lshl_b64 s[2:3], s[28:29], 2
	s_add_u32 s2, s30, s2
	s_addc_u32 s3, s31, s3
	s_load_dword s7, s[8:9], 0x0
	s_load_dword s10, s[2:3], 0x0
	s_waitcnt lgkmcnt(0)
	s_sub_i32 s2, s7, s10
	s_cmp_eq_u32 s2, 1
	s_cselect_b64 s[2:3], -1, 0
	s_andn2_b64 vcc, exec, s[0:1]
	s_cbranch_vccnz .LBB23_3
.LBB23_2:
	s_mov_b32 s29, 0
	s_mov_b64 s[2:3], -1
.LBB23_3:
	s_andn2_b64 vcc, exec, s[2:3]
	s_cbranch_vccz .LBB23_5
; %bb.4:
	s_endpgm
.LBB23_5:
	s_load_dwordx4 s[20:23], s[4:5], 0x18
	s_load_dword s8, s[4:5], 0x30
	s_lshl_b64 s[36:37], s[28:29], 2
	v_cmp_lt_u32_e32 vcc, 63, v0
	s_waitcnt lgkmcnt(0)
	s_add_u32 s0, s22, s36
	s_addc_u32 s1, s23, s37
	s_load_dword s44, s[0:1], 0x0
	s_load_dword s7, s[4:5], 0x40
	s_mul_i32 s22, s6, s8
	s_mul_i32 s2, s28, s8
	s_waitcnt lgkmcnt(0)
	s_add_i32 s3, s44, 0xff
	s_ashr_i32 s0, s3, 31
	s_lshr_b32 s0, s0, 24
	s_add_i32 s3, s3, s0
	s_and_saveexec_b64 s[0:1], vcc
	s_xor_b64 s[0:1], exec, s[0:1]
	s_or_saveexec_b64 s[38:39], s[0:1]
	s_ashr_i32 s33, s3, 8
	v_mov_b32_e32 v1, s22
	s_mul_i32 s40, s2, s7
	s_xor_b64 exec, exec, s[38:39]
	s_cbranch_execz .LBB23_9
; %bb.6:
	s_add_i32 s0, s33, -1
	v_or_b32_e32 v3, 64, v0
	v_mov_b32_e32 v1, s0
	v_cmp_gt_u32_e64 s[14:15], s33, v3
	v_cndmask_b32_e64 v4, v1, v3, s[14:15]
	v_or_b32_e32 v3, 0x80, v0
	v_cmp_gt_u32_e64 s[12:13], s33, v3
	v_cndmask_b32_e64 v6, v1, v3, s[12:13]
	v_or_b32_e32 v3, 0xc0, v0
	;; [unrolled: 3-line block ×3, first 2 shown]
	s_load_dwordx4 s[24:27], s[4:5], 0x8
	v_cmp_gt_u32_e64 s[8:9], s33, v3
	v_cndmask_b32_e64 v10, v1, v3, s[8:9]
	v_or_b32_e32 v3, 0x140, v0
	v_cmp_gt_u32_e64 s[2:3], s33, v3
	s_mov_b32 s41, 0
	v_cndmask_b32_e64 v12, v1, v3, s[2:3]
	v_or_b32_e32 v3, 0x180, v0
	v_cmp_gt_u32_e64 s[0:1], s33, v3
	s_lshl_b64 s[42:43], s[40:41], 2
	s_mov_b32 s23, s41
	v_cmp_gt_u32_e64 s[16:17], s33, v0
	v_cndmask_b32_e64 v14, v1, v3, s[0:1]
	v_or_b32_e32 v3, 0x1c0, v0
	s_waitcnt lgkmcnt(0)
	s_add_u32 s18, s26, s42
	v_cndmask_b32_e64 v2, v1, v0, s[16:17]
	v_cmp_gt_u32_e32 vcc, s33, v3
	s_addc_u32 s19, s27, s43
	s_lshl_b64 s[26:27], s[22:23], 2
	v_cndmask_b32_e32 v16, v1, v3, vcc
	s_add_u32 s23, s18, s26
	v_ashrrev_i32_e32 v3, 31, v2
	s_addc_u32 s41, s19, s27
	v_lshlrev_b64 v[2:3], 2, v[2:3]
	v_mov_b32_e32 v1, s41
	v_add_co_u32_e64 v18, s[18:19], s23, v2
	v_ashrrev_i32_e32 v5, 31, v4
	v_addc_co_u32_e64 v19, s[18:19], v1, v3, s[18:19]
	v_lshlrev_b64 v[4:5], 2, v[4:5]
	v_add_co_u32_e64 v20, s[18:19], s23, v4
	v_ashrrev_i32_e32 v7, 31, v6
	v_addc_co_u32_e64 v21, s[18:19], v1, v5, s[18:19]
	v_lshlrev_b64 v[6:7], 2, v[6:7]
	;; [unrolled: 4-line block ×7, first 2 shown]
	v_add_co_u32_e64 v32, s[18:19], s23, v16
	v_addc_co_u32_e64 v33, s[18:19], v1, v17, s[18:19]
	global_load_dword v1, v[18:19], off
	s_nop 0
	global_load_dword v18, v[20:21], off
	global_load_dword v19, v[22:23], off
	;; [unrolled: 1-line block ×7, first 2 shown]
	s_waitcnt vmcnt(7)
	v_max_f32_e32 v21, v1, v1
	s_waitcnt vmcnt(6)
	v_max_f32_e32 v20, v18, v18
	v_max_f32_e32 v20, v21, v20
	v_mbcnt_lo_u32_b32 v21, -1, 0
	v_mbcnt_hi_u32_b32 v21, -1, v21
	v_and_b32_e32 v22, 64, v21
	v_add_u32_e32 v22, 64, v22
	v_xor_b32_e32 v23, 32, v21
	s_waitcnt vmcnt(4)
	v_max3_f32 v20, v20, v19, v34
	v_cmp_lt_i32_e64 s[18:19], v23, v22
	s_waitcnt vmcnt(2)
	v_max3_f32 v20, v20, v35, v36
	v_cndmask_b32_e64 v23, v21, v23, s[18:19]
	s_waitcnt vmcnt(0)
	v_max3_f32 v20, v20, v37, v38
	v_lshlrev_b32_e32 v23, 2, v23
	ds_bpermute_b32 v24, v23, v20
	s_waitcnt lgkmcnt(0)
	v_max_f32_e32 v24, v24, v24
	v_max_f32_e32 v20, v20, v24
	v_xor_b32_e32 v24, 16, v21
	v_cmp_lt_i32_e64 s[18:19], v24, v22
	v_cndmask_b32_e64 v24, v21, v24, s[18:19]
	v_lshlrev_b32_e32 v24, 2, v24
	ds_bpermute_b32 v25, v24, v20
	s_waitcnt lgkmcnt(0)
	v_max_f32_e32 v25, v25, v25
	v_max_f32_e32 v20, v20, v25
	v_xor_b32_e32 v25, 8, v21
	v_cmp_lt_i32_e64 s[18:19], v25, v22
	v_cndmask_b32_e64 v25, v21, v25, s[18:19]
	;; [unrolled: 8-line block ×4, first 2 shown]
	v_lshlrev_b32_e32 v27, 2, v27
	s_add_u32 s18, s24, s42
	ds_bpermute_b32 v28, v27, v20
	s_addc_u32 s19, s25, s43
	s_add_u32 s23, s18, s26
	s_addc_u32 s24, s19, s27
	v_mov_b32_e32 v29, s24
	v_add_co_u32_e64 v2, s[18:19], s23, v2
	v_addc_co_u32_e64 v3, s[18:19], v29, v3, s[18:19]
	global_load_dword v29, v[2:3], off
	s_waitcnt lgkmcnt(0)
	v_max_f32_e32 v2, v28, v28
	v_max_f32_e32 v20, v20, v2
	v_xor_b32_e32 v2, 1, v21
	v_cmp_lt_i32_e64 s[18:19], v2, v22
	v_cndmask_b32_e64 v2, v21, v2, s[18:19]
	v_lshlrev_b32_e32 v21, 2, v2
	v_mov_b32_e32 v3, s24
	v_add_co_u32_e64 v2, s[18:19], s23, v4
	v_addc_co_u32_e64 v3, s[18:19], v3, v5, s[18:19]
	global_load_dword v28, v[2:3], off
	v_mov_b32_e32 v3, s24
	v_add_co_u32_e64 v2, s[18:19], s23, v6
	v_addc_co_u32_e64 v3, s[18:19], v3, v7, s[18:19]
	global_load_dword v30, v[2:3], off
	v_mov_b32_e32 v3, s24
	v_add_co_u32_e64 v2, s[18:19], s23, v8
	v_addc_co_u32_e64 v3, s[18:19], v3, v9, s[18:19]
	ds_bpermute_b32 v22, v21, v20
	global_load_dword v2, v[2:3], off
	v_mov_b32_e32 v5, s24
	v_add_co_u32_e64 v4, s[18:19], s23, v10
	v_addc_co_u32_e64 v5, s[18:19], v5, v11, s[18:19]
	v_mov_b32_e32 v7, s24
	v_add_co_u32_e64 v6, s[18:19], s23, v12
	v_addc_co_u32_e64 v7, s[18:19], v7, v13, s[18:19]
	s_waitcnt lgkmcnt(0)
	v_max_f32_e32 v12, v22, v22
	v_mov_b32_e32 v9, s24
	v_add_co_u32_e64 v8, s[18:19], s23, v14
	v_max_f32_e32 v12, v20, v12
	v_addc_co_u32_e64 v9, s[18:19], v9, v15, s[18:19]
	v_sub_f32_e32 v1, v1, v12
	v_add_co_u32_e64 v10, s[18:19], s23, v16
	s_mov_b32 s23, 0x3fb8aa3b
	v_mul_f32_e32 v3, 0x3fb8aa3b, v1
	v_fma_f32 v13, v1, s23, -v3
	v_rndne_f32_e32 v14, v3
	v_mov_b32_e32 v11, s24
	v_fmac_f32_e32 v13, 0x32a5705f, v1
	v_sub_f32_e32 v3, v3, v14
	v_addc_co_u32_e64 v11, s[18:19], v11, v17, s[18:19]
	v_add_f32_e32 v3, v3, v13
	v_cvt_i32_f32_e32 v13, v14
	global_load_dword v14, v[4:5], off
	global_load_dword v15, v[6:7], off
	;; [unrolled: 1-line block ×4, first 2 shown]
	v_sub_f32_e32 v5, v18, v12
	v_mul_f32_e32 v6, 0x3fb8aa3b, v5
	v_fma_f32 v7, v5, s23, -v6
	v_rndne_f32_e32 v8, v6
	v_exp_f32_e32 v3, v3
	v_fmac_f32_e32 v7, 0x32a5705f, v5
	v_sub_f32_e32 v6, v6, v8
	v_add_f32_e32 v6, v6, v7
	v_exp_f32_e32 v6, v6
	v_cvt_i32_f32_e32 v7, v8
	s_mov_b32 s24, 0xc2ce8ed0
	v_ldexp_f32 v3, v3, v13
	v_cmp_ngt_f32_e64 s[18:19], s24, v1
	s_mov_b32 s25, 0x42b17218
	v_cndmask_b32_e64 v3, 0, v3, s[18:19]
	v_mov_b32_e32 v4, 0x7f800000
	v_cmp_nlt_f32_e64 s[18:19], s25, v1
	v_cndmask_b32_e64 v1, v4, v3, s[18:19]
	v_ldexp_f32 v3, v6, v7
	v_sub_f32_e32 v6, v19, v12
	v_mul_f32_e32 v7, 0x3fb8aa3b, v6
	v_fma_f32 v8, v6, s23, -v7
	v_rndne_f32_e32 v9, v7
	v_fmac_f32_e32 v8, 0x32a5705f, v6
	v_sub_f32_e32 v7, v7, v9
	v_add_f32_e32 v7, v7, v8
	v_exp_f32_e32 v7, v7
	v_cvt_i32_f32_e32 v8, v9
	v_cndmask_b32_e64 v1, 0, v1, s[16:17]
	v_cmp_ngt_f32_e64 s[16:17], s24, v5
	v_cndmask_b32_e64 v3, 0, v3, s[16:17]
	v_cmp_nlt_f32_e64 s[16:17], s25, v5
	v_ldexp_f32 v5, v7, v8
	v_sub_f32_e32 v7, v34, v12
	v_mul_f32_e32 v8, 0x3fb8aa3b, v7
	v_fma_f32 v9, v7, s23, -v8
	v_rndne_f32_e32 v10, v8
	v_fmac_f32_e32 v9, 0x32a5705f, v7
	v_sub_f32_e32 v8, v8, v10
	v_add_f32_e32 v8, v8, v9
	v_exp_f32_e32 v8, v8
	v_cvt_i32_f32_e32 v9, v10
	v_cndmask_b32_e64 v3, v4, v3, s[16:17]
	v_cndmask_b32_e64 v3, 0, v3, s[14:15]
	v_cmp_ngt_f32_e64 s[14:15], s24, v6
	v_cndmask_b32_e64 v5, 0, v5, s[14:15]
	v_cmp_nlt_f32_e64 s[14:15], s25, v6
	v_ldexp_f32 v6, v8, v9
	v_sub_f32_e32 v8, v35, v12
	v_mul_f32_e32 v9, 0x3fb8aa3b, v8
	v_fma_f32 v10, v8, s23, -v9
	v_rndne_f32_e32 v11, v9
	v_fmac_f32_e32 v10, 0x32a5705f, v8
	v_sub_f32_e32 v9, v9, v11
	v_cndmask_b32_e64 v5, v4, v5, s[14:15]
	v_add_f32_e32 v9, v9, v10
	v_cndmask_b32_e64 v5, 0, v5, s[12:13]
	v_cmp_ngt_f32_e64 s[12:13], s24, v7
	v_exp_f32_e32 v9, v9
	v_cvt_i32_f32_e32 v10, v11
	v_cndmask_b32_e64 v6, 0, v6, s[12:13]
	v_cmp_nlt_f32_e64 s[12:13], s25, v7
	v_cndmask_b32_e64 v6, v4, v6, s[12:13]
	v_cndmask_b32_e64 v6, 0, v6, s[10:11]
	v_sub_f32_e32 v7, v36, v12
	s_waitcnt vmcnt(4)
	v_mul_f32_e32 v6, v2, v6
	v_ldexp_f32 v2, v9, v10
	v_mul_f32_e32 v9, 0x3fb8aa3b, v7
	v_fma_f32 v10, v7, s23, -v9
	v_rndne_f32_e32 v11, v9
	v_fmac_f32_e32 v10, 0x32a5705f, v7
	v_sub_f32_e32 v9, v9, v11
	v_add_f32_e32 v9, v9, v10
	v_cmp_ngt_f32_e64 s[10:11], s24, v8
	v_exp_f32_e32 v9, v9
	v_cvt_i32_f32_e32 v10, v11
	v_cndmask_b32_e64 v2, 0, v2, s[10:11]
	v_cmp_nlt_f32_e64 s[10:11], s25, v8
	v_cndmask_b32_e64 v2, v4, v2, s[10:11]
	v_cndmask_b32_e64 v2, 0, v2, s[8:9]
	s_waitcnt vmcnt(3)
	v_mul_f32_e32 v8, v14, v2
	v_ldexp_f32 v2, v9, v10
	v_sub_f32_e32 v9, v37, v12
	v_mul_f32_e32 v10, 0x3fb8aa3b, v9
	v_fma_f32 v11, v9, s23, -v10
	v_rndne_f32_e32 v13, v10
	v_fmac_f32_e32 v11, 0x32a5705f, v9
	v_sub_f32_e32 v10, v10, v13
	v_add_f32_e32 v10, v10, v11
	v_cmp_ngt_f32_e64 s[8:9], s24, v7
	v_exp_f32_e32 v10, v10
	v_cvt_i32_f32_e32 v11, v13
	v_cndmask_b32_e64 v2, 0, v2, s[8:9]
	v_cmp_nlt_f32_e64 s[8:9], s25, v7
	v_cndmask_b32_e64 v2, v4, v2, s[8:9]
	v_cndmask_b32_e64 v2, 0, v2, s[2:3]
	s_waitcnt vmcnt(2)
	v_mul_f32_e32 v7, v15, v2
	v_ldexp_f32 v2, v10, v11
	v_sub_f32_e32 v10, v38, v12
	v_mul_f32_e32 v11, 0x3fb8aa3b, v10
	v_fma_f32 v12, v10, s23, -v11
	v_rndne_f32_e32 v13, v11
	v_fmac_f32_e32 v12, 0x32a5705f, v10
	v_sub_f32_e32 v11, v11, v13
	v_add_f32_e32 v11, v11, v12
	v_exp_f32_e32 v11, v11
	v_cvt_i32_f32_e32 v12, v13
	v_cmp_ngt_f32_e64 s[2:3], s24, v9
	v_cndmask_b32_e64 v2, 0, v2, s[2:3]
	v_cmp_nlt_f32_e64 s[2:3], s25, v9
	v_cndmask_b32_e64 v2, v4, v2, s[2:3]
	v_cndmask_b32_e64 v2, 0, v2, s[0:1]
	v_ldexp_f32 v9, v11, v12
	v_cmp_ngt_f32_e64 s[0:1], s24, v10
	v_mul_f32_e32 v1, v29, v1
	v_mul_f32_e32 v3, v28, v3
	v_cndmask_b32_e64 v9, 0, v9, s[0:1]
	v_cmp_nlt_f32_e64 s[0:1], s25, v10
	v_mul_f32_e32 v5, v30, v5
	v_cndmask_b32_e64 v4, v4, v9, s[0:1]
	v_add_f32_e32 v9, v1, v3
	v_add_f32_e32 v9, v9, v5
	;; [unrolled: 1-line block ×5, first 2 shown]
	v_cndmask_b32_e32 v4, 0, v4, vcc
	s_waitcnt vmcnt(1)
	v_fmac_f32_e32 v9, v16, v2
	s_waitcnt vmcnt(0)
	v_fmac_f32_e32 v9, v17, v4
	ds_bpermute_b32 v10, v23, v9
	v_lshlrev_b32_e32 v12, 2, v0
	ds_write2st64_b32 v12, v1, v3 offset1:1
	v_mul_f32_e32 v11, v16, v2
	v_cmp_eq_u32_e32 vcc, 0, v0
	s_waitcnt lgkmcnt(1)
	v_add_f32_e32 v9, v9, v10
	ds_bpermute_b32 v10, v24, v9
	v_mul_f32_e32 v4, v17, v4
	ds_write2st64_b32 v12, v5, v6 offset0:2 offset1:3
	ds_write2st64_b32 v12, v8, v7 offset0:4 offset1:5
	;; [unrolled: 1-line block ×3, first 2 shown]
	s_waitcnt lgkmcnt(3)
	v_add_f32_e32 v9, v9, v10
	ds_bpermute_b32 v10, v25, v9
	s_waitcnt lgkmcnt(0)
	v_add_f32_e32 v9, v9, v10
	ds_bpermute_b32 v10, v26, v9
	;; [unrolled: 3-line block ×4, first 2 shown]
	s_and_saveexec_b64 s[0:1], vcc
	s_cbranch_execz .LBB23_8
; %bb.7:
	s_waitcnt lgkmcnt(0)
	v_add_f32_e32 v1, v1, v2
	v_mov_b32_e32 v2, 0
	ds_write_b32 v2, v1 offset:2048
.LBB23_8:
	s_or_b64 exec, exec, s[0:1]
	v_mov_b32_e32 v1, s22
.LBB23_9:
	s_or_b64 exec, exec, s[38:39]
	s_lshl_b32 s0, s40, 6
	s_mov_b32 s1, 0
	s_lshl_b64 s[0:1], s[0:1], 1
	s_add_u32 s0, s20, s0
	s_addc_u32 s1, s21, s1
	s_lshl_b32 s10, s33, 6
	s_waitcnt lgkmcnt(0)
	v_lshlrev_b32_e32 v2, 6, v1
	v_mov_b32_e32 v3, 0
	s_sub_i32 s11, s10, 64
	v_lshlrev_b64 v[4:5], 1, v[2:3]
	s_cmp_lt_i32 s44, 1
	v_mov_b32_e32 v1, s1
	v_add_co_u32_e32 v4, vcc, s0, v4
	s_cselect_b32 s0, s11, 0
	v_addc_co_u32_e32 v1, vcc, v1, v5, vcc
	v_lshlrev_b32_e32 v2, 1, v0
	s_ashr_i32 s1, s0, 31
	v_add_co_u32_e32 v0, vcc, v4, v2
	s_lshl_b64 s[0:1], s[0:1], 1
	v_addc_co_u32_e32 v1, vcc, 0, v1, vcc
	s_cmpk_lt_i32 s44, 0x101
	v_add_co_u32_e32 v12, vcc, s0, v0
	s_cselect_b32 s0, s11, 64
	v_mov_b32_e32 v4, s1
	s_ashr_i32 s1, s0, 31
	s_lshl_b64 s[0:1], s[0:1], 1
	v_addc_co_u32_e32 v13, vcc, v1, v4, vcc
	s_cmpk_lt_i32 s44, 0x201
	v_add_co_u32_e32 v14, vcc, s0, v0
	s_cselect_b32 s0, s11, 0x80
	v_mov_b32_e32 v4, s1
	s_ashr_i32 s1, s0, 31
	;; [unrolled: 7-line block ×8, first 2 shown]
	s_lshl_b64 s[0:1], s[0:1], 1
	v_addc_co_u32_e32 v27, vcc, v1, v4, vcc
	s_cmpk_lt_i32 s44, 0x901
	global_load_ushort v4, v[12:13], off
	global_load_ushort v5, v[14:15], off
	;; [unrolled: 1-line block ×8, first 2 shown]
	v_add_co_u32_e32 v20, vcc, s0, v0
	s_cselect_b32 s0, s11, 0x240
	v_mov_b32_e32 v12, s1
	s_ashr_i32 s1, s0, 31
	s_lshl_b64 s[0:1], s[0:1], 1
	v_addc_co_u32_e32 v21, vcc, v1, v12, vcc
	s_cmpk_lt_i32 s44, 0xa01
	v_add_co_u32_e32 v22, vcc, s0, v0
	s_cselect_b32 s0, s11, 0x280
	v_mov_b32_e32 v12, s1
	s_ashr_i32 s1, s0, 31
	s_lshl_b64 s[0:1], s[0:1], 1
	v_addc_co_u32_e32 v23, vcc, v1, v12, vcc
	s_cmpk_lt_i32 s44, 0xb01
	;; [unrolled: 7-line block ×6, first 2 shown]
	v_add_co_u32_e32 v32, vcc, s0, v0
	s_cselect_b32 s0, s11, 0x3c0
	v_mov_b32_e32 v12, s1
	s_ashr_i32 s1, s0, 31
	v_addc_co_u32_e32 v33, vcc, v1, v12, vcc
	s_lshl_b64 s[0:1], s[0:1], 1
	v_mov_b32_e32 v12, s1
	v_add_co_u32_e32 v34, vcc, s0, v0
	v_addc_co_u32_e32 v35, vcc, v1, v12, vcc
	global_load_ushort v12, v[20:21], off
	global_load_ushort v13, v[22:23], off
	;; [unrolled: 1-line block ×8, first 2 shown]
	s_cmpk_gt_i32 s44, 0x1000
	s_cselect_b64 s[8:9], -1, 0
	s_cmpk_lt_i32 s44, 0x1001
	v_mov_b32_e32 v36, 0
	v_mov_b32_e32 v37, 0
	;; [unrolled: 1-line block ×48, first 2 shown]
	s_waitcnt lgkmcnt(0)
	; wave barrier
	s_cbranch_scc1 .LBB23_12
; %bb.10:
	s_cmpk_lt_u32 s44, 0x1101
	s_cselect_b32 s0, s11, 0x440
	s_ashr_i32 s1, s0, 31
	s_lshl_b64 s[0:1], s[0:1], 1
	s_cmpk_lt_u32 s44, 0x1201
	v_add_co_u32_e32 v28, vcc, s0, v0
	s_cselect_b32 s0, s11, 0x480
	v_mov_b32_e32 v20, s1
	s_ashr_i32 s1, s0, 31
	s_lshl_b64 s[0:1], s[0:1], 1
	v_addc_co_u32_e32 v29, vcc, v1, v20, vcc
	s_cmpk_lt_u32 s44, 0x1301
	v_add_co_u32_e32 v30, vcc, s0, v0
	s_cselect_b32 s0, s11, 0x4c0
	v_mov_b32_e32 v20, s1
	s_ashr_i32 s1, s0, 31
	s_lshl_b64 s[0:1], s[0:1], 1
	v_addc_co_u32_e32 v31, vcc, v1, v20, vcc
	s_cmpk_lt_u32 s44, 0x1401
	v_add_co_u32_e32 v32, vcc, s0, v0
	s_cselect_b32 s0, s11, 0x500
	v_mov_b32_e32 v20, s1
	s_ashr_i32 s1, s0, 31
	s_lshl_b64 s[0:1], s[0:1], 1
	v_addc_co_u32_e32 v33, vcc, v1, v20, vcc
	s_cmpk_lt_u32 s44, 0x1501
	v_add_co_u32_e32 v34, vcc, s0, v0
	s_cselect_b32 s0, s11, 0x540
	v_mov_b32_e32 v20, s1
	s_ashr_i32 s1, s0, 31
	s_lshl_b64 s[0:1], s[0:1], 1
	v_addc_co_u32_e32 v35, vcc, v1, v20, vcc
	s_cmpk_lt_u32 s44, 0x1601
	v_add_co_u32_e32 v36, vcc, s0, v0
	s_cselect_b32 s0, s11, 0x580
	v_mov_b32_e32 v20, s1
	s_ashr_i32 s1, s0, 31
	s_lshl_b64 s[0:1], s[0:1], 1
	v_addc_co_u32_e32 v37, vcc, v1, v20, vcc
	s_cmpk_lt_u32 s44, 0x1701
	v_add_co_u32_e32 v38, vcc, s0, v0
	s_cselect_b32 s0, s11, 0x5c0
	v_mov_b32_e32 v20, s1
	s_ashr_i32 s1, s0, 31
	s_lshl_b64 s[0:1], s[0:1], 1
	v_addc_co_u32_e32 v39, vcc, v1, v20, vcc
	s_cmpk_lt_u32 s44, 0x1801
	v_add_co_u32_e32 v40, vcc, s0, v0
	s_cselect_b32 s0, s11, 0x600
	v_mov_b32_e32 v20, s1
	s_ashr_i32 s1, s0, 31
	s_lshl_b64 s[0:1], s[0:1], 1
	v_addc_co_u32_e32 v41, vcc, v1, v20, vcc
	s_cmpk_lt_u32 s44, 0x1901
	global_load_ushort v27, v[0:1], off offset:2048
	global_load_ushort v26, v[28:29], off
	global_load_ushort v25, v[30:31], off
	;; [unrolled: 1-line block ×7, first 2 shown]
	v_add_co_u32_e32 v36, vcc, s0, v0
	s_cselect_b32 s0, s11, 0x640
	v_mov_b32_e32 v28, s1
	s_ashr_i32 s1, s0, 31
	s_lshl_b64 s[0:1], s[0:1], 1
	v_addc_co_u32_e32 v37, vcc, v1, v28, vcc
	s_cmpk_lt_u32 s44, 0x1a01
	v_add_co_u32_e32 v38, vcc, s0, v0
	s_cselect_b32 s0, s11, 0x680
	v_mov_b32_e32 v28, s1
	s_ashr_i32 s1, s0, 31
	s_lshl_b64 s[0:1], s[0:1], 1
	v_addc_co_u32_e32 v39, vcc, v1, v28, vcc
	s_cmpk_lt_u32 s44, 0x1b01
	;; [unrolled: 7-line block ×6, first 2 shown]
	v_add_co_u32_e32 v48, vcc, s0, v0
	s_cselect_b32 s0, s11, 0x7c0
	v_mov_b32_e32 v28, s1
	s_ashr_i32 s1, s0, 31
	v_addc_co_u32_e32 v49, vcc, v1, v28, vcc
	s_lshl_b64 s[0:1], s[0:1], 1
	v_mov_b32_e32 v28, s1
	v_add_co_u32_e32 v50, vcc, s0, v0
	v_addc_co_u32_e32 v51, vcc, v1, v28, vcc
	global_load_ushort v35, v[36:37], off
	global_load_ushort v34, v[38:39], off
	;; [unrolled: 1-line block ×8, first 2 shown]
	s_cmpk_lt_u32 s44, 0x2001
	v_mov_b32_e32 v67, 0
	v_mov_b32_e32 v66, 0
	;; [unrolled: 1-line block ×32, first 2 shown]
	s_cbranch_scc1 .LBB23_12
; %bb.11:
	s_cmpk_lt_u32 s44, 0x2101
	s_cselect_b32 s0, s11, 0x840
	s_ashr_i32 s1, s0, 31
	v_add_co_u32_e32 v36, vcc, 0x1000, v0
	s_lshl_b64 s[0:1], s[0:1], 1
	v_addc_co_u32_e32 v37, vcc, 0, v1, vcc
	s_cmpk_lt_u32 s44, 0x2201
	v_add_co_u32_e32 v38, vcc, s0, v0
	s_cselect_b32 s0, s11, 0x880
	v_mov_b32_e32 v39, s1
	s_ashr_i32 s1, s0, 31
	s_lshl_b64 s[0:1], s[0:1], 1
	v_addc_co_u32_e32 v39, vcc, v1, v39, vcc
	s_cmpk_lt_u32 s44, 0x2301
	v_add_co_u32_e32 v40, vcc, s0, v0
	s_cselect_b32 s0, s11, 0x8c0
	v_mov_b32_e32 v41, s1
	s_ashr_i32 s1, s0, 31
	s_lshl_b64 s[0:1], s[0:1], 1
	v_addc_co_u32_e32 v41, vcc, v1, v41, vcc
	s_cmpk_lt_u32 s44, 0x2401
	v_add_co_u32_e32 v42, vcc, s0, v0
	s_cselect_b32 s0, s11, 0x900
	v_mov_b32_e32 v43, s1
	s_ashr_i32 s1, s0, 31
	s_lshl_b64 s[0:1], s[0:1], 1
	v_addc_co_u32_e32 v43, vcc, v1, v43, vcc
	s_cmpk_lt_u32 s44, 0x2501
	v_add_co_u32_e32 v44, vcc, s0, v0
	s_cselect_b32 s0, s11, 0x940
	v_mov_b32_e32 v45, s1
	s_ashr_i32 s1, s0, 31
	s_lshl_b64 s[0:1], s[0:1], 1
	v_addc_co_u32_e32 v45, vcc, v1, v45, vcc
	s_cmpk_lt_u32 s44, 0x2601
	v_add_co_u32_e32 v46, vcc, s0, v0
	s_cselect_b32 s0, s11, 0x980
	v_mov_b32_e32 v47, s1
	s_ashr_i32 s1, s0, 31
	s_lshl_b64 s[0:1], s[0:1], 1
	v_addc_co_u32_e32 v47, vcc, v1, v47, vcc
	s_cmpk_lt_u32 s44, 0x2701
	v_add_co_u32_e32 v48, vcc, s0, v0
	s_cselect_b32 s0, s11, 0x9c0
	v_mov_b32_e32 v49, s1
	s_ashr_i32 s1, s0, 31
	s_lshl_b64 s[0:1], s[0:1], 1
	v_addc_co_u32_e32 v49, vcc, v1, v49, vcc
	s_cmpk_lt_u32 s44, 0x2801
	v_add_co_u32_e32 v50, vcc, s0, v0
	s_cselect_b32 s0, s11, 0xa00
	v_mov_b32_e32 v51, s1
	s_ashr_i32 s1, s0, 31
	s_lshl_b64 s[0:1], s[0:1], 1
	v_addc_co_u32_e32 v51, vcc, v1, v51, vcc
	s_cmpk_lt_u32 s44, 0x2901
	global_load_ushort v52, v[36:37], off
	global_load_ushort v53, v[38:39], off
	global_load_ushort v54, v[40:41], off
	global_load_ushort v55, v[42:43], off
	global_load_ushort v56, v[44:45], off
	global_load_ushort v57, v[46:47], off
	global_load_ushort v58, v[48:49], off
	global_load_ushort v59, v[50:51], off
	v_add_co_u32_e32 v36, vcc, s0, v0
	s_cselect_b32 s0, s11, 0xa40
	v_mov_b32_e32 v37, s1
	s_ashr_i32 s1, s0, 31
	s_lshl_b64 s[0:1], s[0:1], 1
	v_addc_co_u32_e32 v37, vcc, v1, v37, vcc
	s_cmpk_lt_u32 s44, 0x2a01
	v_add_co_u32_e32 v38, vcc, s0, v0
	s_cselect_b32 s0, s11, 0xa80
	v_mov_b32_e32 v39, s1
	s_ashr_i32 s1, s0, 31
	s_lshl_b64 s[0:1], s[0:1], 1
	v_addc_co_u32_e32 v39, vcc, v1, v39, vcc
	s_cmpk_lt_u32 s44, 0x2b01
	v_add_co_u32_e32 v40, vcc, s0, v0
	s_cselect_b32 s0, s11, 0xac0
	v_mov_b32_e32 v41, s1
	s_ashr_i32 s1, s0, 31
	s_lshl_b64 s[0:1], s[0:1], 1
	v_addc_co_u32_e32 v41, vcc, v1, v41, vcc
	s_cmpk_lt_u32 s44, 0x2c01
	v_add_co_u32_e32 v42, vcc, s0, v0
	s_cselect_b32 s0, s11, 0xb00
	v_mov_b32_e32 v43, s1
	s_ashr_i32 s1, s0, 31
	s_lshl_b64 s[0:1], s[0:1], 1
	v_addc_co_u32_e32 v43, vcc, v1, v43, vcc
	s_cmpk_lt_u32 s44, 0x2d01
	v_add_co_u32_e32 v44, vcc, s0, v0
	s_cselect_b32 s0, s11, 0xb40
	v_mov_b32_e32 v45, s1
	s_ashr_i32 s1, s0, 31
	s_lshl_b64 s[0:1], s[0:1], 1
	v_addc_co_u32_e32 v45, vcc, v1, v45, vcc
	s_cmpk_lt_u32 s44, 0x2e01
	v_add_co_u32_e32 v46, vcc, s0, v0
	s_cselect_b32 s0, s11, 0xb80
	v_mov_b32_e32 v47, s1
	s_ashr_i32 s1, s0, 31
	s_lshl_b64 s[0:1], s[0:1], 1
	v_addc_co_u32_e32 v47, vcc, v1, v47, vcc
	s_cmpk_lt_u32 s44, 0x2f01
	v_add_co_u32_e32 v48, vcc, s0, v0
	s_cselect_b32 s0, s11, 0xbc0
	v_mov_b32_e32 v49, s1
	s_ashr_i32 s1, s0, 31
	s_lshl_b64 s[0:1], s[0:1], 1
	v_addc_co_u32_e32 v49, vcc, v1, v49, vcc
	s_cmpk_lt_u32 s44, 0x3001
	v_add_co_u32_e32 v50, vcc, s0, v0
	s_cselect_b32 s0, s11, 0xc00
	v_mov_b32_e32 v51, s1
	s_ashr_i32 s1, s0, 31
	s_lshl_b64 s[0:1], s[0:1], 1
	v_addc_co_u32_e32 v51, vcc, v1, v51, vcc
	s_cmpk_lt_u32 s44, 0x3101
	global_load_ushort v68, v[36:37], off
	global_load_ushort v69, v[38:39], off
	global_load_ushort v70, v[40:41], off
	global_load_ushort v71, v[42:43], off
	global_load_ushort v72, v[44:45], off
	global_load_ushort v73, v[46:47], off
	global_load_ushort v74, v[48:49], off
	global_load_ushort v75, v[50:51], off
	v_add_co_u32_e32 v36, vcc, s0, v0
	s_cselect_b32 s0, s11, 0xc40
	v_mov_b32_e32 v37, s1
	s_ashr_i32 s1, s0, 31
	s_lshl_b64 s[0:1], s[0:1], 1
	v_addc_co_u32_e32 v37, vcc, v1, v37, vcc
	s_cmpk_lt_u32 s44, 0x3201
	v_add_co_u32_e32 v38, vcc, s0, v0
	s_cselect_b32 s0, s11, 0xc80
	v_mov_b32_e32 v39, s1
	s_ashr_i32 s1, s0, 31
	s_lshl_b64 s[0:1], s[0:1], 1
	v_addc_co_u32_e32 v39, vcc, v1, v39, vcc
	s_cmpk_lt_u32 s44, 0x3301
	v_add_co_u32_e32 v40, vcc, s0, v0
	s_cselect_b32 s0, s11, 0xcc0
	v_mov_b32_e32 v41, s1
	s_ashr_i32 s1, s0, 31
	s_lshl_b64 s[0:1], s[0:1], 1
	v_addc_co_u32_e32 v41, vcc, v1, v41, vcc
	s_cmpk_lt_u32 s44, 0x3401
	v_add_co_u32_e32 v42, vcc, s0, v0
	s_cselect_b32 s0, s11, 0xd00
	v_mov_b32_e32 v43, s1
	s_ashr_i32 s1, s0, 31
	s_lshl_b64 s[0:1], s[0:1], 1
	v_addc_co_u32_e32 v43, vcc, v1, v43, vcc
	s_cmpk_lt_u32 s44, 0x3501
	v_add_co_u32_e32 v44, vcc, s0, v0
	s_cselect_b32 s0, s11, 0xd40
	v_mov_b32_e32 v45, s1
	s_ashr_i32 s1, s0, 31
	s_lshl_b64 s[0:1], s[0:1], 1
	v_addc_co_u32_e32 v45, vcc, v1, v45, vcc
	s_cmpk_lt_u32 s44, 0x3601
	v_add_co_u32_e32 v46, vcc, s0, v0
	s_cselect_b32 s0, s11, 0xd80
	v_mov_b32_e32 v47, s1
	s_ashr_i32 s1, s0, 31
	s_lshl_b64 s[0:1], s[0:1], 1
	v_addc_co_u32_e32 v47, vcc, v1, v47, vcc
	s_cmpk_lt_u32 s44, 0x3701
	v_add_co_u32_e32 v48, vcc, s0, v0
	s_cselect_b32 s0, s11, 0xdc0
	v_mov_b32_e32 v49, s1
	s_ashr_i32 s1, s0, 31
	s_lshl_b64 s[0:1], s[0:1], 1
	v_addc_co_u32_e32 v49, vcc, v1, v49, vcc
	s_cmpk_lt_u32 s44, 0x3801
	v_add_co_u32_e32 v50, vcc, s0, v0
	s_cselect_b32 s0, s11, 0xe00
	v_mov_b32_e32 v51, s1
	s_ashr_i32 s1, s0, 31
	s_lshl_b64 s[0:1], s[0:1], 1
	v_addc_co_u32_e32 v51, vcc, v1, v51, vcc
	s_cmpk_lt_u32 s44, 0x3901
	global_load_ushort v76, v[36:37], off
	global_load_ushort v77, v[38:39], off
	global_load_ushort v78, v[40:41], off
	global_load_ushort v79, v[42:43], off
	global_load_ushort v80, v[44:45], off
	global_load_ushort v81, v[46:47], off
	global_load_ushort v82, v[48:49], off
	global_load_ushort v83, v[50:51], off
	v_add_co_u32_e32 v36, vcc, s0, v0
	s_cselect_b32 s0, s11, 0xe40
	v_mov_b32_e32 v37, s1
	s_ashr_i32 s1, s0, 31
	s_lshl_b64 s[0:1], s[0:1], 1
	v_addc_co_u32_e32 v37, vcc, v1, v37, vcc
	s_cmpk_lt_u32 s44, 0x3a01
	v_add_co_u32_e32 v38, vcc, s0, v0
	s_cselect_b32 s0, s11, 0xe80
	v_mov_b32_e32 v39, s1
	s_ashr_i32 s1, s0, 31
	s_lshl_b64 s[0:1], s[0:1], 1
	v_addc_co_u32_e32 v39, vcc, v1, v39, vcc
	s_cmpk_lt_u32 s44, 0x3b01
	v_add_co_u32_e32 v40, vcc, s0, v0
	s_cselect_b32 s0, s11, 0xec0
	v_mov_b32_e32 v41, s1
	s_ashr_i32 s1, s0, 31
	;; [unrolled: 7-line block ×6, first 2 shown]
	v_addc_co_u32_e32 v49, vcc, v1, v49, vcc
	s_lshl_b64 s[0:1], s[0:1], 1
	v_mov_b32_e32 v51, s1
	v_add_co_u32_e32 v50, vcc, s0, v0
	v_addc_co_u32_e32 v51, vcc, v1, v51, vcc
	global_load_ushort v84, v[36:37], off
	global_load_ushort v85, v[38:39], off
	;; [unrolled: 1-line block ×8, first 2 shown]
	s_waitcnt vmcnt(31)
	v_cvt_f32_f16_e32 v67, v52
	s_waitcnt vmcnt(30)
	v_cvt_f32_f16_e32 v66, v53
	;; [unrolled: 2-line block ×32, first 2 shown]
.LBB23_12:
	ds_read_b128 v[68:71], v3
	s_load_dwordx2 s[0:1], s[4:5], 0x0
	s_load_dwordx2 s[2:3], s[4:5], 0x38
	ds_read_b128 v[72:75], v3 offset:16
	ds_read_b128 v[76:79], v3 offset:32
	;; [unrolled: 1-line block ×3, first 2 shown]
	s_and_b64 vcc, exec, s[8:9]
	s_waitcnt vmcnt(15) lgkmcnt(0)
	v_fma_mix_f32 v4, v68, v4, 0 op_sel_hi:[0,1,0]
	s_waitcnt vmcnt(14)
	v_fma_mix_f32 v4, v69, v5, v4 op_sel_hi:[0,1,0]
	s_waitcnt vmcnt(13)
	;; [unrolled: 2-line block ×15, first 2 shown]
	v_fma_mix_f32 v4, v83, v19, v4 op_sel_hi:[0,1,0]
	s_cbranch_vccz .LBB23_15
; %bb.13:
	ds_read_b128 v[6:9], v3 offset:64
	ds_read_b128 v[10:13], v3 offset:80
	;; [unrolled: 1-line block ×4, first 2 shown]
	s_cmpk_lt_u32 s44, 0x2001
	s_waitcnt lgkmcnt(3)
	v_fma_mix_f32 v3, v6, v27, v4 op_sel_hi:[0,1,0]
	v_fma_mix_f32 v3, v7, v26, v3 op_sel_hi:[0,1,0]
	v_fma_mix_f32 v3, v8, v25, v3 op_sel_hi:[0,1,0]
	v_fma_mix_f32 v3, v9, v24, v3 op_sel_hi:[0,1,0]
	s_waitcnt lgkmcnt(2)
	v_fma_mix_f32 v3, v10, v23, v3 op_sel_hi:[0,1,0]
	v_fma_mix_f32 v3, v11, v22, v3 op_sel_hi:[0,1,0]
	v_fma_mix_f32 v3, v12, v20, v3 op_sel_hi:[0,1,0]
	v_fma_mix_f32 v3, v13, v21, v3 op_sel_hi:[0,1,0]
	s_waitcnt lgkmcnt(1)
	v_fma_mix_f32 v3, v14, v35, v3 op_sel_hi:[0,1,0]
	v_fma_mix_f32 v3, v15, v34, v3 op_sel_hi:[0,1,0]
	v_fma_mix_f32 v3, v16, v33, v3 op_sel_hi:[0,1,0]
	v_fma_mix_f32 v3, v17, v32, v3 op_sel_hi:[0,1,0]
	s_waitcnt lgkmcnt(0)
	v_fma_mix_f32 v3, v68, v31, v3 op_sel_hi:[0,1,0]
	v_fma_mix_f32 v3, v69, v30, v3 op_sel_hi:[0,1,0]
	v_fma_mix_f32 v3, v70, v29, v3 op_sel_hi:[0,1,0]
	v_fma_mix_f32 v4, v71, v28, v3 op_sel_hi:[0,1,0]
	s_cbranch_scc1 .LBB23_15
; %bb.14:
	v_mov_b32_e32 v3, 0
	ds_read_b128 v[6:9], v3 offset:128
	ds_read_b128 v[10:13], v3 offset:144
	;; [unrolled: 1-line block ×4, first 2 shown]
	s_waitcnt lgkmcnt(3)
	v_fmac_f32_e32 v4, v6, v67
	v_fmac_f32_e32 v4, v7, v66
	v_fmac_f32_e32 v4, v8, v65
	v_fmac_f32_e32 v4, v9, v64
	s_waitcnt lgkmcnt(2)
	v_fmac_f32_e32 v4, v10, v63
	v_fmac_f32_e32 v4, v11, v62
	v_fmac_f32_e32 v4, v12, v61
	v_fmac_f32_e32 v4, v13, v60
	;; [unrolled: 5-line block ×3, first 2 shown]
	ds_read_b128 v[6:9], v3 offset:192
	ds_read_b128 v[10:13], v3 offset:208
	s_waitcnt lgkmcnt(2)
	v_fmac_f32_e32 v4, v18, v55
	v_fmac_f32_e32 v4, v19, v54
	;; [unrolled: 1-line block ×4, first 2 shown]
	s_waitcnt lgkmcnt(1)
	v_fmac_f32_e32 v4, v6, v51
	v_fmac_f32_e32 v4, v7, v50
	;; [unrolled: 1-line block ×4, first 2 shown]
	ds_read_b128 v[6:9], v3 offset:224
	s_waitcnt lgkmcnt(1)
	v_fmac_f32_e32 v4, v10, v47
	v_fmac_f32_e32 v4, v11, v46
	;; [unrolled: 1-line block ×4, first 2 shown]
	ds_read_b128 v[10:13], v3 offset:240
	s_waitcnt lgkmcnt(1)
	v_fmac_f32_e32 v4, v6, v43
	v_fmac_f32_e32 v4, v7, v42
	;; [unrolled: 1-line block ×4, first 2 shown]
	s_waitcnt lgkmcnt(0)
	v_fmac_f32_e32 v4, v10, v39
	v_fmac_f32_e32 v4, v11, v38
	;; [unrolled: 1-line block ×4, first 2 shown]
.LBB23_15:
	s_movk_i32 s4, 0x1fc0
	s_movk_i32 s5, 0x100
	s_mov_b32 s8, 64
	s_branch .LBB23_17
.LBB23_16:                              ;   in Loop: Header=BB23_17 Depth=1
	s_addk_i32 s4, 0x1000
	s_addk_i32 s5, 0x100
	s_add_i32 s8, s8, 64
	s_cmpk_eq_u32 s4, 0x8fc0
	s_cbranch_scc1 .LBB23_19
.LBB23_17:                              ; =>This Inner Loop Header: Depth=1
	s_cmp_le_i32 s33, s8
	s_cbranch_scc1 .LBB23_16
; %bb.18:                               ;   in Loop: Header=BB23_17 Depth=1
	s_add_i32 s9, s4, 0xfffff040
	s_cmp_lt_i32 s9, s10
	s_cselect_b32 s12, s9, s11
	s_ashr_i32 s13, s12, 31
	s_lshl_b64 s[12:13], s[12:13], 1
	s_add_i32 s9, s4, 0xfffff080
	s_cmp_lt_i32 s9, s10
	v_add_co_u32_e32 v12, vcc, s12, v0
	s_cselect_b32 s12, s9, s11
	v_mov_b32_e32 v3, s13
	s_ashr_i32 s13, s12, 31
	s_lshl_b64 s[12:13], s[12:13], 1
	s_add_i32 s9, s4, 0xfffff0c0
	v_addc_co_u32_e32 v13, vcc, v1, v3, vcc
	s_cmp_lt_i32 s9, s10
	v_add_co_u32_e32 v14, vcc, s12, v0
	s_cselect_b32 s12, s9, s11
	v_mov_b32_e32 v3, s13
	s_ashr_i32 s13, s12, 31
	s_lshl_b64 s[12:13], s[12:13], 1
	s_add_i32 s9, s4, 0xfffff100
	v_addc_co_u32_e32 v15, vcc, v1, v3, vcc
	;; [unrolled: 8-line block ×8, first 2 shown]
	s_cmp_lt_i32 s9, s10
	global_load_ushort v3, v[12:13], off
	global_load_ushort v5, v[14:15], off
	;; [unrolled: 1-line block ×8, first 2 shown]
	v_add_co_u32_e32 v20, vcc, s12, v0
	s_cselect_b32 s12, s9, s11
	v_mov_b32_e32 v12, s13
	s_ashr_i32 s13, s12, 31
	s_lshl_b64 s[12:13], s[12:13], 1
	s_add_i32 s9, s4, 0xfffff2c0
	v_addc_co_u32_e32 v21, vcc, v1, v12, vcc
	s_cmp_lt_i32 s9, s10
	v_add_co_u32_e32 v22, vcc, s12, v0
	s_cselect_b32 s12, s9, s11
	v_mov_b32_e32 v12, s13
	s_ashr_i32 s13, s12, 31
	s_lshl_b64 s[12:13], s[12:13], 1
	s_add_i32 s9, s4, 0xfffff300
	v_addc_co_u32_e32 v23, vcc, v1, v12, vcc
	s_cmp_lt_i32 s9, s10
	;; [unrolled: 8-line block ×8, first 2 shown]
	global_load_ushort v15, v[20:21], off
	global_load_ushort v16, v[22:23], off
	;; [unrolled: 1-line block ×8, first 2 shown]
	v_add_co_u32_e32 v28, vcc, s12, v0
	s_cselect_b32 s12, s9, s11
	v_mov_b32_e32 v20, s13
	s_ashr_i32 s13, s12, 31
	s_lshl_b64 s[12:13], s[12:13], 1
	s_add_i32 s9, s4, 0xfffff4c0
	v_addc_co_u32_e32 v29, vcc, v1, v20, vcc
	s_cmp_lt_i32 s9, s10
	v_add_co_u32_e32 v30, vcc, s12, v0
	s_cselect_b32 s12, s9, s11
	v_mov_b32_e32 v20, s13
	s_ashr_i32 s13, s12, 31
	s_lshl_b64 s[12:13], s[12:13], 1
	s_add_i32 s9, s4, 0xfffff500
	v_addc_co_u32_e32 v31, vcc, v1, v20, vcc
	s_cmp_lt_i32 s9, s10
	;; [unrolled: 8-line block ×8, first 2 shown]
	global_load_ushort v23, v[28:29], off
	global_load_ushort v24, v[30:31], off
	;; [unrolled: 1-line block ×8, first 2 shown]
	v_add_co_u32_e32 v36, vcc, s12, v0
	s_cselect_b32 s12, s9, s11
	v_mov_b32_e32 v28, s13
	s_ashr_i32 s13, s12, 31
	s_lshl_b64 s[12:13], s[12:13], 1
	s_add_i32 s9, s4, 0xfffff6c0
	v_addc_co_u32_e32 v37, vcc, v1, v28, vcc
	s_cmp_lt_i32 s9, s10
	v_add_co_u32_e32 v38, vcc, s12, v0
	s_cselect_b32 s12, s9, s11
	v_mov_b32_e32 v28, s13
	s_ashr_i32 s13, s12, 31
	s_lshl_b64 s[12:13], s[12:13], 1
	s_add_i32 s9, s4, 0xfffff700
	v_addc_co_u32_e32 v39, vcc, v1, v28, vcc
	s_cmp_lt_i32 s9, s10
	;; [unrolled: 8-line block ×8, first 2 shown]
	global_load_ushort v31, v[36:37], off
	global_load_ushort v32, v[38:39], off
	;; [unrolled: 1-line block ×8, first 2 shown]
	v_add_co_u32_e32 v36, vcc, s12, v0
	s_cselect_b32 s12, s9, s11
	v_mov_b32_e32 v37, s13
	s_ashr_i32 s13, s12, 31
	s_lshl_b64 s[12:13], s[12:13], 1
	s_add_i32 s9, s4, 0xfffff8c0
	v_addc_co_u32_e32 v37, vcc, v1, v37, vcc
	s_cmp_lt_i32 s9, s10
	v_add_co_u32_e32 v38, vcc, s12, v0
	s_cselect_b32 s12, s9, s11
	v_mov_b32_e32 v39, s13
	s_ashr_i32 s13, s12, 31
	s_lshl_b64 s[12:13], s[12:13], 1
	s_add_i32 s9, s4, 0xfffff900
	v_addc_co_u32_e32 v39, vcc, v1, v39, vcc
	s_cmp_lt_i32 s9, s10
	;; [unrolled: 8-line block ×8, first 2 shown]
	global_load_ushort v52, v[36:37], off
	global_load_ushort v53, v[38:39], off
	;; [unrolled: 1-line block ×8, first 2 shown]
	v_add_co_u32_e32 v36, vcc, s12, v0
	s_cselect_b32 s12, s9, s11
	v_mov_b32_e32 v37, s13
	s_ashr_i32 s13, s12, 31
	s_lshl_b64 s[12:13], s[12:13], 1
	s_add_i32 s9, s4, 0xfffffac0
	v_addc_co_u32_e32 v37, vcc, v1, v37, vcc
	s_cmp_lt_i32 s9, s10
	v_add_co_u32_e32 v38, vcc, s12, v0
	s_cselect_b32 s12, s9, s11
	v_mov_b32_e32 v39, s13
	s_ashr_i32 s13, s12, 31
	s_lshl_b64 s[12:13], s[12:13], 1
	s_add_i32 s9, s4, 0xfffffb00
	v_addc_co_u32_e32 v39, vcc, v1, v39, vcc
	s_cmp_lt_i32 s9, s10
	;; [unrolled: 8-line block ×8, first 2 shown]
	global_load_ushort v60, v[36:37], off
	global_load_ushort v61, v[38:39], off
	global_load_ushort v62, v[40:41], off
	global_load_ushort v63, v[42:43], off
	global_load_ushort v64, v[44:45], off
	global_load_ushort v65, v[46:47], off
	global_load_ushort v66, v[48:49], off
	global_load_ushort v67, v[50:51], off
	v_add_co_u32_e32 v36, vcc, s12, v0
	s_cselect_b32 s12, s9, s11
	v_mov_b32_e32 v37, s13
	s_ashr_i32 s13, s12, 31
	s_lshl_b64 s[12:13], s[12:13], 1
	s_add_i32 s9, s4, 0xfffffcc0
	v_addc_co_u32_e32 v37, vcc, v1, v37, vcc
	s_cmp_lt_i32 s9, s10
	v_add_co_u32_e32 v38, vcc, s12, v0
	s_cselect_b32 s12, s9, s11
	v_mov_b32_e32 v39, s13
	s_ashr_i32 s13, s12, 31
	s_lshl_b64 s[12:13], s[12:13], 1
	s_add_i32 s9, s4, 0xfffffd00
	v_addc_co_u32_e32 v39, vcc, v1, v39, vcc
	s_cmp_lt_i32 s9, s10
	;; [unrolled: 8-line block ×8, first 2 shown]
	global_load_ushort v68, v[36:37], off
	global_load_ushort v69, v[38:39], off
	;; [unrolled: 1-line block ×8, first 2 shown]
	v_add_co_u32_e32 v36, vcc, s12, v0
	s_cselect_b32 s12, s9, s11
	v_mov_b32_e32 v37, s13
	s_ashr_i32 s13, s12, 31
	s_lshl_b64 s[12:13], s[12:13], 1
	s_add_i32 s9, s4, 0xfffffec0
	v_addc_co_u32_e32 v37, vcc, v1, v37, vcc
	s_cmp_lt_i32 s9, s10
	v_add_co_u32_e32 v38, vcc, s12, v0
	s_cselect_b32 s12, s9, s11
	v_mov_b32_e32 v39, s13
	s_ashr_i32 s13, s12, 31
	s_lshl_b64 s[12:13], s[12:13], 1
	s_add_i32 s9, s4, 0xffffff00
	v_addc_co_u32_e32 v39, vcc, v1, v39, vcc
	s_cmp_lt_i32 s9, s10
	;; [unrolled: 8-line block ×4, first 2 shown]
	v_add_co_u32_e32 v44, vcc, s12, v0
	s_cselect_b32 s12, s9, s11
	v_mov_b32_e32 v45, s13
	s_ashr_i32 s13, s12, 31
	s_lshl_b64 s[12:13], s[12:13], 1
	s_sub_i32 s9, s4, 64
	v_addc_co_u32_e32 v45, vcc, v1, v45, vcc
	s_cmp_lt_i32 s9, s10
	v_add_co_u32_e32 v46, vcc, s12, v0
	s_cselect_b32 s12, s9, s11
	v_mov_b32_e32 v47, s13
	s_ashr_i32 s13, s12, 31
	s_lshl_b64 s[12:13], s[12:13], 1
	v_addc_co_u32_e32 v47, vcc, v1, v47, vcc
	s_cmp_lt_i32 s4, s10
	v_add_co_u32_e32 v48, vcc, s12, v0
	s_cselect_b32 s12, s4, s11
	v_mov_b32_e32 v49, s13
	s_ashr_i32 s13, s12, 31
	v_addc_co_u32_e32 v49, vcc, v1, v49, vcc
	s_lshl_b64 s[12:13], s[12:13], 1
	v_mov_b32_e32 v51, s13
	v_add_co_u32_e32 v50, vcc, s12, v0
	v_addc_co_u32_e32 v51, vcc, v1, v51, vcc
	global_load_ushort v76, v[36:37], off
	global_load_ushort v77, v[38:39], off
	;; [unrolled: 1-line block ×8, first 2 shown]
	v_mov_b32_e32 v84, s5
	ds_read_b128 v[36:39], v84
	ds_read_b128 v[40:43], v84 offset:16
	ds_read_b128 v[44:47], v84 offset:32
	;; [unrolled: 1-line block ×3, first 2 shown]
	s_waitcnt vmcnt(62) lgkmcnt(3)
	v_fma_mix_f32 v3, v36, v3, v4 op_sel_hi:[0,1,0]
	v_fma_mix_f32 v3, v37, v5, v3 op_sel_hi:[0,1,0]
	s_waitcnt vmcnt(61)
	v_fma_mix_f32 v3, v38, v6, v3 op_sel_hi:[0,1,0]
	s_waitcnt vmcnt(60)
	v_fma_mix_f32 v3, v39, v7, v3 op_sel_hi:[0,1,0]
	s_waitcnt vmcnt(59) lgkmcnt(2)
	v_fma_mix_f32 v3, v40, v8, v3 op_sel_hi:[0,1,0]
	s_waitcnt vmcnt(58)
	v_fma_mix_f32 v3, v41, v9, v3 op_sel_hi:[0,1,0]
	s_waitcnt vmcnt(57)
	;; [unrolled: 2-line block ×3, first 2 shown]
	v_fma_mix_f32 v3, v43, v11, v3 op_sel_hi:[0,1,0]
	s_waitcnt vmcnt(55) lgkmcnt(1)
	v_fma_mix_f32 v3, v44, v15, v3 op_sel_hi:[0,1,0]
	s_waitcnt vmcnt(54)
	v_fma_mix_f32 v3, v45, v16, v3 op_sel_hi:[0,1,0]
	s_waitcnt vmcnt(53)
	;; [unrolled: 2-line block ×3, first 2 shown]
	v_fma_mix_f32 v3, v47, v18, v3 op_sel_hi:[0,1,0]
	ds_read_b128 v[4:7], v84 offset:64
	ds_read_b128 v[8:11], v84 offset:80
	s_waitcnt vmcnt(51) lgkmcnt(2)
	v_fma_mix_f32 v3, v48, v19, v3 op_sel_hi:[0,1,0]
	s_waitcnt vmcnt(50)
	v_fma_mix_f32 v3, v49, v12, v3 op_sel_hi:[0,1,0]
	s_waitcnt vmcnt(49)
	;; [unrolled: 2-line block ×3, first 2 shown]
	v_fma_mix_f32 v3, v51, v14, v3 op_sel_hi:[0,1,0]
	s_waitcnt vmcnt(47) lgkmcnt(1)
	v_fma_mix_f32 v3, v4, v23, v3 op_sel_hi:[0,1,0]
	s_waitcnt vmcnt(46)
	v_fma_mix_f32 v3, v5, v24, v3 op_sel_hi:[0,1,0]
	s_waitcnt vmcnt(45)
	v_fma_mix_f32 v3, v6, v25, v3 op_sel_hi:[0,1,0]
	s_waitcnt vmcnt(44)
	v_fma_mix_f32 v3, v7, v26, v3 op_sel_hi:[0,1,0]
	ds_read_b128 v[4:7], v84 offset:96
	s_waitcnt vmcnt(43) lgkmcnt(1)
	v_fma_mix_f32 v3, v8, v27, v3 op_sel_hi:[0,1,0]
	s_waitcnt vmcnt(42)
	v_fma_mix_f32 v3, v9, v20, v3 op_sel_hi:[0,1,0]
	s_waitcnt vmcnt(41)
	v_fma_mix_f32 v3, v10, v21, v3 op_sel_hi:[0,1,0]
	s_waitcnt vmcnt(40)
	v_fma_mix_f32 v3, v11, v22, v3 op_sel_hi:[0,1,0]
	ds_read_b128 v[8:11], v84 offset:112
	;; [unrolled: 9-line block ×10, first 2 shown]
	s_waitcnt vmcnt(7) lgkmcnt(1)
	v_fma_mix_f32 v3, v4, v76, v3 op_sel_hi:[0,1,0]
	s_waitcnt vmcnt(6)
	v_fma_mix_f32 v3, v5, v77, v3 op_sel_hi:[0,1,0]
	s_waitcnt vmcnt(5)
	;; [unrolled: 2-line block ×3, first 2 shown]
	v_fma_mix_f32 v3, v7, v79, v3 op_sel_hi:[0,1,0]
	s_waitcnt vmcnt(3) lgkmcnt(0)
	v_fma_mix_f32 v3, v8, v80, v3 op_sel_hi:[0,1,0]
	s_waitcnt vmcnt(2)
	v_fma_mix_f32 v3, v9, v81, v3 op_sel_hi:[0,1,0]
	s_waitcnt vmcnt(1)
	;; [unrolled: 2-line block ×3, first 2 shown]
	v_fma_mix_f32 v4, v11, v83, v3 op_sel_hi:[0,1,0]
	s_branch .LBB23_16
.LBB23_19:
	v_mov_b32_e32 v0, 0
	ds_read_b32 v1, v0 offset:2048
	s_cmp_lg_u64 s[2:3], 0
	s_cbranch_scc0 .LBB23_24
; %bb.20:
	s_load_dword s4, s[2:3], 0x0
	s_waitcnt lgkmcnt(0)
	v_div_scale_f32 v0, s[2:3], s4, s4, 1.0
	v_rcp_f32_e32 v3, v0
	v_div_scale_f32 v5, vcc, 1.0, s4, 1.0
	v_fma_f32 v6, -v0, v3, 1.0
	v_fmac_f32_e32 v3, v6, v3
	v_mul_f32_e32 v6, v5, v3
	v_fma_f32 v7, -v0, v6, v5
	v_fmac_f32_e32 v6, v7, v3
	v_fma_f32 v0, -v0, v6, v5
	v_div_fmas_f32 v0, v0, v3, v6
	v_div_fixup_f32 v0, v0, s4, 1.0
	s_andn2_b64 vcc, exec, s[34:35]
	s_cbranch_vccnz .LBB23_22
.LBB23_21:
	s_add_u32 s2, s30, s36
	s_addc_u32 s3, s31, s37
	s_load_dword s28, s[2:3], 0x0
	s_mov_b32 s29, 0
.LBB23_22:
	s_waitcnt lgkmcnt(0)
	v_add_f32_e32 v1, 0x358637bd, v1
	v_div_scale_f32 v3, s[2:3], v1, v1, 1.0
	v_rcp_f32_e32 v5, v3
	v_div_scale_f32 v6, vcc, 1.0, v1, 1.0
	s_mul_i32 s2, s7, s29
	v_fma_f32 v7, -v3, v5, 1.0
	v_fmac_f32_e32 v5, v7, v5
	v_mul_f32_e32 v7, v6, v5
	v_fma_f32 v8, -v3, v7, v6
	s_mul_hi_u32 s3, s7, s28
	v_fmac_f32_e32 v7, v8, v5
	s_add_i32 s3, s3, s2
	s_mul_i32 s2, s7, s28
	v_fma_f32 v3, -v3, v7, v6
	s_lshl_b64 s[2:3], s[2:3], 7
	v_div_fmas_f32 v3, v3, v5, v7
	s_add_u32 s2, s0, s2
	s_mov_b32 s7, 0
	v_div_fixup_f32 v1, v3, v1, 1.0
	s_addc_u32 s3, s1, s3
	s_lshl_b64 s[0:1], s[6:7], 7
	v_mul_f32_e32 v1, v4, v1
	s_add_u32 s0, s2, s0
	s_addc_u32 s1, s3, s1
	v_fma_mixlo_f16 v0, v1, v0, 0
	global_store_short v2, v0, s[0:1]
	s_endpgm
.LBB23_23:
	s_mov_b64 s[2:3], 0
	s_branch .LBB23_2
.LBB23_24:
	v_mov_b32_e32 v0, 1.0
	s_andn2_b64 vcc, exec, s[34:35]
	s_cbranch_vccz .LBB23_21
	s_branch .LBB23_22
	.section	.rodata,"a",@progbits
	.p2align	6, 0x0
	.amdhsa_kernel _Z35paged_attention_ll4mi_reduce_kernelIDF16_DF16_Li64ELi64ELi256ELi8EEvPT0_PKfS3_PKT_PKiS8_iS3_
		.amdhsa_group_segment_fixed_size 2052
		.amdhsa_private_segment_fixed_size 0
		.amdhsa_kernarg_size 320
		.amdhsa_user_sgpr_count 6
		.amdhsa_user_sgpr_private_segment_buffer 1
		.amdhsa_user_sgpr_dispatch_ptr 0
		.amdhsa_user_sgpr_queue_ptr 0
		.amdhsa_user_sgpr_kernarg_segment_ptr 1
		.amdhsa_user_sgpr_dispatch_id 0
		.amdhsa_user_sgpr_flat_scratch_init 0
		.amdhsa_user_sgpr_kernarg_preload_length 0
		.amdhsa_user_sgpr_kernarg_preload_offset 0
		.amdhsa_user_sgpr_private_segment_size 0
		.amdhsa_uses_dynamic_stack 0
		.amdhsa_system_sgpr_private_segment_wavefront_offset 0
		.amdhsa_system_sgpr_workgroup_id_x 1
		.amdhsa_system_sgpr_workgroup_id_y 1
		.amdhsa_system_sgpr_workgroup_id_z 0
		.amdhsa_system_sgpr_workgroup_info 0
		.amdhsa_system_vgpr_workitem_id 0
		.amdhsa_next_free_vgpr 92
		.amdhsa_next_free_sgpr 45
		.amdhsa_accum_offset 92
		.amdhsa_reserve_vcc 1
		.amdhsa_reserve_flat_scratch 0
		.amdhsa_float_round_mode_32 0
		.amdhsa_float_round_mode_16_64 0
		.amdhsa_float_denorm_mode_32 3
		.amdhsa_float_denorm_mode_16_64 3
		.amdhsa_dx10_clamp 1
		.amdhsa_ieee_mode 1
		.amdhsa_fp16_overflow 0
		.amdhsa_tg_split 0
		.amdhsa_exception_fp_ieee_invalid_op 0
		.amdhsa_exception_fp_denorm_src 0
		.amdhsa_exception_fp_ieee_div_zero 0
		.amdhsa_exception_fp_ieee_overflow 0
		.amdhsa_exception_fp_ieee_underflow 0
		.amdhsa_exception_fp_ieee_inexact 0
		.amdhsa_exception_int_div_zero 0
	.end_amdhsa_kernel
	.section	.text._Z35paged_attention_ll4mi_reduce_kernelIDF16_DF16_Li64ELi64ELi256ELi8EEvPT0_PKfS3_PKT_PKiS8_iS3_,"axG",@progbits,_Z35paged_attention_ll4mi_reduce_kernelIDF16_DF16_Li64ELi64ELi256ELi8EEvPT0_PKfS3_PKT_PKiS8_iS3_,comdat
.Lfunc_end23:
	.size	_Z35paged_attention_ll4mi_reduce_kernelIDF16_DF16_Li64ELi64ELi256ELi8EEvPT0_PKfS3_PKT_PKiS8_iS3_, .Lfunc_end23-_Z35paged_attention_ll4mi_reduce_kernelIDF16_DF16_Li64ELi64ELi256ELi8EEvPT0_PKfS3_PKT_PKiS8_iS3_
                                        ; -- End function
	.section	.AMDGPU.csdata,"",@progbits
; Kernel info:
; codeLenInByte = 10288
; NumSgprs: 49
; NumVgprs: 92
; NumAgprs: 0
; TotalNumVgprs: 92
; ScratchSize: 0
; MemoryBound: 0
; FloatMode: 240
; IeeeMode: 1
; LDSByteSize: 2052 bytes/workgroup (compile time only)
; SGPRBlocks: 6
; VGPRBlocks: 11
; NumSGPRsForWavesPerEU: 49
; NumVGPRsForWavesPerEU: 92
; AccumOffset: 92
; Occupancy: 5
; WaveLimiterHint : 1
; COMPUTE_PGM_RSRC2:SCRATCH_EN: 0
; COMPUTE_PGM_RSRC2:USER_SGPR: 6
; COMPUTE_PGM_RSRC2:TRAP_HANDLER: 0
; COMPUTE_PGM_RSRC2:TGID_X_EN: 1
; COMPUTE_PGM_RSRC2:TGID_Y_EN: 1
; COMPUTE_PGM_RSRC2:TGID_Z_EN: 0
; COMPUTE_PGM_RSRC2:TIDIG_COMP_CNT: 0
; COMPUTE_PGM_RSRC3_GFX90A:ACCUM_OFFSET: 22
; COMPUTE_PGM_RSRC3_GFX90A:TG_SPLIT: 0
	.section	.text._Z39paged_attention_ll4mi_QKV_mfma16_kernelIDF16_DF16_LN4vllm18Fp8KVCacheDataTypeE0EDF16_Li16ELi64ELi256ELb1ELi1EL8MFMAType0EEvPKT_PKT0_S8_ifPKiSA_SA_iPKfiiiPfSD_PS3_PT2_iSC_SC_,"axG",@progbits,_Z39paged_attention_ll4mi_QKV_mfma16_kernelIDF16_DF16_LN4vllm18Fp8KVCacheDataTypeE0EDF16_Li16ELi64ELi256ELb1ELi1EL8MFMAType0EEvPKT_PKT0_S8_ifPKiSA_SA_iPKfiiiPfSD_PS3_PT2_iSC_SC_,comdat
	.protected	_Z39paged_attention_ll4mi_QKV_mfma16_kernelIDF16_DF16_LN4vllm18Fp8KVCacheDataTypeE0EDF16_Li16ELi64ELi256ELb1ELi1EL8MFMAType0EEvPKT_PKT0_S8_ifPKiSA_SA_iPKfiiiPfSD_PS3_PT2_iSC_SC_ ; -- Begin function _Z39paged_attention_ll4mi_QKV_mfma16_kernelIDF16_DF16_LN4vllm18Fp8KVCacheDataTypeE0EDF16_Li16ELi64ELi256ELb1ELi1EL8MFMAType0EEvPKT_PKT0_S8_ifPKiSA_SA_iPKfiiiPfSD_PS3_PT2_iSC_SC_
	.globl	_Z39paged_attention_ll4mi_QKV_mfma16_kernelIDF16_DF16_LN4vllm18Fp8KVCacheDataTypeE0EDF16_Li16ELi64ELi256ELb1ELi1EL8MFMAType0EEvPKT_PKT0_S8_ifPKiSA_SA_iPKfiiiPfSD_PS3_PT2_iSC_SC_
	.p2align	8
	.type	_Z39paged_attention_ll4mi_QKV_mfma16_kernelIDF16_DF16_LN4vllm18Fp8KVCacheDataTypeE0EDF16_Li16ELi64ELi256ELb1ELi1EL8MFMAType0EEvPKT_PKT0_S8_ifPKiSA_SA_iPKfiiiPfSD_PS3_PT2_iSC_SC_,@function
_Z39paged_attention_ll4mi_QKV_mfma16_kernelIDF16_DF16_LN4vllm18Fp8KVCacheDataTypeE0EDF16_Li16ELi64ELi256ELb1ELi1EL8MFMAType0EEvPKT_PKT0_S8_ifPKiSA_SA_iPKfiiiPfSD_PS3_PT2_iSC_SC_: ; @_Z39paged_attention_ll4mi_QKV_mfma16_kernelIDF16_DF16_LN4vllm18Fp8KVCacheDataTypeE0EDF16_Li16ELi64ELi256ELb1ELi1EL8MFMAType0EEvPKT_PKT0_S8_ifPKiSA_SA_iPKfiiiPfSD_PS3_PT2_iSC_SC_
; %bb.0:
	s_load_dwordx2 s[0:1], s[4:5], 0x30
	s_mov_b32 s30, s7
	s_mov_b64 s[10:11], 0
	s_waitcnt lgkmcnt(0)
	s_cmp_lg_u64 s[0:1], 0
	s_cselect_b64 s[2:3], -1, 0
	s_and_b64 vcc, exec, s[2:3]
	s_cbranch_vccz .LBB24_7
; %bb.1:
	s_add_i32 s12, s6, 1
	s_mov_b32 s13, 0
	s_lshl_b64 s[14:15], s[12:13], 2
	s_add_u32 s14, s0, s14
	s_mov_b32 s7, s13
	s_addc_u32 s15, s1, s15
	s_lshl_b64 s[12:13], s[6:7], 2
	s_add_u32 s12, s0, s12
	s_addc_u32 s13, s1, s13
	s_load_dword s9, s[14:15], 0x0
	s_load_dword s16, s[12:13], 0x0
	s_waitcnt lgkmcnt(0)
	s_sub_i32 s9, s9, s16
	s_cmp_eq_u32 s9, 1
	s_cselect_b64 s[12:13], -1, 0
	s_andn2_b64 vcc, exec, s[10:11]
	s_cbranch_vccnz .LBB24_3
.LBB24_2:
	s_mov_b32 s7, 0
	s_mov_b64 s[12:13], -1
.LBB24_3:
	s_andn2_b64 vcc, exec, s[12:13]
	s_cbranch_vccnz .LBB24_19
; %bb.4:
	s_load_dwordx2 s[12:13], s[4:5], 0x28
	s_lshl_b64 s[10:11], s[6:7], 2
	s_waitcnt lgkmcnt(0)
	s_add_u32 s12, s12, s10
	s_addc_u32 s13, s13, s11
	s_load_dword s31, s[12:13], 0x0
	s_lshl_b32 s14, s30, 8
	s_waitcnt lgkmcnt(0)
	s_cmp_ge_i32 s14, s31
	s_cbranch_scc1 .LBB24_19
; %bb.5:
	s_add_i32 s15, s31, 15
	s_load_dwordx2 s[12:13], s[4:5], 0x20
	s_load_dword s9, s[4:5], 0x38
	s_ashr_i32 s16, s15, 31
	v_and_b32_e32 v1, 0xcf, v0
	s_lshr_b32 s16, s16, 28
	v_add_u32_e32 v1, s14, v1
	s_add_i32 s15, s15, s16
	v_ashrrev_i32_e32 v2, 31, v1
	s_ashr_i32 s17, s15, 4
	v_lshrrev_b32_e32 v4, 28, v2
	s_add_i32 s17, s17, -1
	v_add_u32_e32 v2, v1, v4
	s_waitcnt lgkmcnt(0)
	s_mul_i32 s18, s6, s9
	s_mov_b32 s19, 0
	v_ashrrev_i32_e32 v2, 4, v2
	v_mov_b32_e32 v5, s17
	v_cmp_gt_i32_e32 vcc, s31, v1
	s_lshl_b64 s[18:19], s[18:19], 2
	v_cndmask_b32_e32 v2, v5, v2, vcc
	s_add_u32 s15, s12, s18
	v_ashrrev_i32_e32 v3, 31, v2
	s_addc_u32 s16, s13, s19
	v_lshlrev_b64 v[2:3], 2, v[2:3]
	v_mov_b32_e32 v7, s16
	v_add_co_u32_e32 v6, vcc, s15, v2
	v_or_b32_e32 v2, 16, v1
	v_addc_co_u32_e32 v7, vcc, v7, v3, vcc
	v_add_u32_e32 v3, v2, v4
	v_ashrrev_i32_e32 v3, 4, v3
	v_cmp_gt_i32_e32 vcc, s31, v2
	v_cndmask_b32_e32 v2, v5, v3, vcc
	v_ashrrev_i32_e32 v3, 31, v2
	v_lshlrev_b64 v[2:3], 2, v[2:3]
	v_mov_b32_e32 v9, s16
	v_add_co_u32_e32 v8, vcc, s15, v2
	v_or_b32_e32 v2, 32, v1
	v_addc_co_u32_e32 v9, vcc, v9, v3, vcc
	v_add_u32_e32 v3, v2, v4
	v_ashrrev_i32_e32 v3, 4, v3
	v_cmp_gt_i32_e32 vcc, s31, v2
	v_cndmask_b32_e32 v2, v5, v3, vcc
	v_ashrrev_i32_e32 v3, 31, v2
	v_lshlrev_b64 v[2:3], 2, v[2:3]
	v_mov_b32_e32 v11, s16
	v_add_co_u32_e32 v10, vcc, s15, v2
	v_or_b32_e32 v1, 48, v1
	v_addc_co_u32_e32 v11, vcc, v11, v3, vcc
	v_add_u32_e32 v2, v1, v4
	v_ashrrev_i32_e32 v2, 4, v2
	v_cmp_gt_i32_e32 vcc, s31, v1
	v_cndmask_b32_e32 v2, v5, v2, vcc
	v_ashrrev_i32_e32 v3, 31, v2
	v_lshlrev_b64 v[2:3], 2, v[2:3]
	v_mov_b32_e32 v1, s16
	v_add_co_u32_e32 v12, vcc, s15, v2
	v_addc_co_u32_e32 v13, vcc, v1, v3, vcc
	global_load_dword v5, v[6:7], off
	global_load_dword v4, v[8:9], off
	;; [unrolled: 1-line block ×4, first 2 shown]
	s_load_dwordx2 s[12:13], s[4:5], 0x8
	s_andn2_b64 vcc, exec, s[2:3]
	s_cbranch_vccnz .LBB24_8
; %bb.6:
	s_add_u32 s0, s0, s10
	s_addc_u32 s1, s1, s11
	s_load_dword s9, s[0:1], 0x0
	s_branch .LBB24_9
.LBB24_7:
	s_mov_b64 s[12:13], 0
	s_branch .LBB24_2
.LBB24_8:
	s_mov_b32 s9, s6
.LBB24_9:
	s_load_dwordx2 s[2:3], s[4:5], 0x10
	s_load_dwordx4 s[44:47], s[4:5], 0x48
	v_lshrrev_b32_e32 v52, 6, v0
	v_bfe_u32 v50, v0, 4, 2
	v_lshl_or_b32 v1, v52, 2, v50
	v_and_b32_e32 v53, 15, v0
	v_lshlrev_b32_e32 v6, 3, v53
	v_cmp_eq_u32_e32 vcc, 0, v1
	v_cmp_gt_u32_e64 s[0:1], 8, v53
	s_and_b64 s[18:19], s[0:1], vcc
	v_lshlrev_b32_e32 v1, 1, v6
	s_and_saveexec_b64 s[10:11], s[18:19]
	s_cbranch_execz .LBB24_11
; %bb.10:
	s_load_dwordx2 s[18:19], s[4:5], 0x0
	s_waitcnt lgkmcnt(0)
	s_ashr_i32 s20, s44, 31
	s_mul_hi_u32 s21, s9, s44
	s_mul_i32 s20, s9, s20
	s_add_i32 s21, s21, s20
	s_mul_i32 s20, s9, s44
	s_lshl_b64 s[20:21], s[20:21], 1
	s_add_u32 s9, s18, s20
	s_addc_u32 s20, s19, s21
	s_lshl_b32 s18, s8, 6
	s_ashr_i32 s19, s18, 31
	s_lshl_b64 s[18:19], s[18:19], 1
	s_add_u32 s18, s9, s18
	s_addc_u32 s19, s20, s19
	global_load_dwordx4 v[6:9], v1, s[18:19]
	v_and_b32_e32 v10, 3, v0
	v_lshlrev_b32_e32 v11, 9, v53
	v_lshlrev_b32_e32 v10, 9, v10
	s_movk_i32 s9, 0x1800
	v_and_or_b32 v10, v11, s9, v10
	s_waitcnt vmcnt(0)
	ds_write_b128 v10, v[6:9]
.LBB24_11:
	s_or_b64 exec, exec, s[10:11]
	s_waitcnt lgkmcnt(0)
	s_mul_i32 s10, s8, s46
	s_mov_b32 s11, 0
	s_lshl_b64 s[10:11], s[10:11], 1
	s_add_u32 s9, s12, s10
	v_lshlrev_b32_e32 v51, 4, v0
	s_addc_u32 s12, s13, s11
	v_and_b32_e32 v6, 0xf0, v51
	v_mov_b32_e32 v7, s12
	v_add_co_u32_e32 v8, vcc, s9, v6
	v_addc_co_u32_e32 v9, vcc, 0, v7, vcc
	s_waitcnt vmcnt(3)
	v_mad_i64_i32 v[6:7], s[12:13], v5, s45, 0
	v_lshlrev_b64 v[6:7], 1, v[6:7]
	v_add_co_u32_e32 v5, vcc, v8, v6
	v_addc_co_u32_e32 v7, vcc, v9, v7, vcc
	v_and_b32_e32 v18, 0x300, v51
	v_add_co_u32_e32 v6, vcc, v5, v18
	s_waitcnt vmcnt(2)
	v_mad_i64_i32 v[4:5], s[12:13], v4, s45, 0
	v_addc_co_u32_e32 v7, vcc, 0, v7, vcc
	v_lshlrev_b64 v[4:5], 1, v[4:5]
	v_add_co_u32_e32 v4, vcc, v8, v4
	v_addc_co_u32_e32 v5, vcc, v9, v5, vcc
	v_add_co_u32_e32 v4, vcc, v4, v18
	v_addc_co_u32_e32 v5, vcc, 0, v5, vcc
	s_barrier
	global_load_dwordx4 v[38:41], v[6:7], off
	global_load_dwordx4 v[34:37], v[6:7], off offset:1024
	global_load_dwordx4 v[30:33], v[4:5], off
	global_load_dwordx4 v[26:29], v[4:5], off offset:1024
	s_waitcnt vmcnt(5)
	v_mad_i64_i32 v[4:5], s[12:13], v3, s45, 0
	v_lshlrev_b64 v[4:5], 1, v[4:5]
	v_add_co_u32_e32 v3, vcc, v8, v4
	v_addc_co_u32_e32 v5, vcc, v9, v5, vcc
	v_add_co_u32_e32 v4, vcc, v3, v18
	s_waitcnt vmcnt(4)
	v_mad_i64_i32 v[2:3], s[12:13], v2, s45, 0
	v_addc_co_u32_e32 v5, vcc, 0, v5, vcc
	v_lshlrev_b64 v[2:3], 1, v[2:3]
	v_add_co_u32_e32 v2, vcc, v8, v2
	v_addc_co_u32_e32 v3, vcc, v9, v3, vcc
	v_add_co_u32_e32 v6, vcc, v2, v18
	v_addc_co_u32_e32 v7, vcc, 0, v3, vcc
	global_load_dwordx4 v[14:17], v[4:5], off
	global_load_dwordx4 v[10:13], v[4:5], off offset:1024
	s_nop 0
	global_load_dwordx4 v[2:5], v[6:7], off
	global_load_dwordx4 v[18:21], v[6:7], off offset:1024
	v_lshlrev_b32_e32 v22, 9, v50
	ds_read_b128 v[6:9], v22
	ds_read_b128 v[22:25], v22 offset:2048
	v_and_b32_e32 v54, 63, v0
	v_cmp_eq_u32_e32 vcc, 0, v53
	v_mov_b32_e32 v48, 0
	s_and_saveexec_b64 s[12:13], vcc
	s_cbranch_execz .LBB24_13
; %bb.12:
	s_load_dwordx2 s[18:19], s[4:5], 0x40
	s_ashr_i32 s9, s8, 31
	s_lshl_b64 s[20:21], s[8:9], 2
	s_waitcnt lgkmcnt(0)
	s_add_u32 s18, s18, s20
	s_addc_u32 s19, s19, s21
	s_load_dword s9, s[18:19], 0x0
	s_waitcnt lgkmcnt(0)
	v_mov_b32_e32 v48, s9
.LBB24_13:
	s_or_b64 exec, exec, s[12:13]
	s_waitcnt vmcnt(7) lgkmcnt(1)
	v_mfma_f32_16x16x16f16 v[42:45], v[38:39], v[6:7], 0
	s_load_dword s12, s[4:5], 0x1c
	s_add_u32 s2, s2, s10
	v_lshlrev_b32_e32 v55, 5, v53
	s_addc_u32 s3, s3, s11
	s_mov_b32 s9, 0xff7fffff
	v_mfma_f32_16x16x16f16 v[38:41], v[40:41], v[8:9], v[42:45]
	s_waitcnt vmcnt(6) lgkmcnt(0)
	v_mfma_f32_16x16x16f16 v[38:41], v[34:35], v[22:23], v[38:41]
	s_nop 4
	v_and_or_b32 v44, v0, 48, s14
	v_mov_b32_e32 v45, s17
	v_cmp_gt_i32_e32 vcc, s31, v44
	v_mfma_f32_16x16x16f16 v[34:37], v[36:37], v[24:25], v[38:41]
	s_nop 6
	v_ashrrev_i32_e32 v38, 4, v44
	v_cndmask_b32_e32 v42, v45, v38, vcc
	s_waitcnt vmcnt(5)
	v_mfma_f32_16x16x16f16 v[38:41], v[30:31], v[6:7], 0
	v_ashrrev_i32_e32 v43, 31, v42
	v_lshlrev_b64 v[30:31], 2, v[42:43]
	v_mov_b32_e32 v42, s16
	v_add_co_u32_e32 v30, vcc, s15, v30
	v_addc_co_u32_e32 v31, vcc, v42, v31, vcc
	global_load_dword v42, v[30:31], off
	v_mfma_f32_16x16x16f16 v[30:33], v[32:33], v[8:9], v[38:41]
	s_nop 6
	v_or_b32_e32 v38, 64, v44
	v_ashrrev_i32_e32 v39, 4, v38
	v_cmp_gt_i32_e32 vcc, s31, v38
	v_cndmask_b32_e32 v38, v45, v39, vcc
	v_ashrrev_i32_e32 v39, 31, v38
	s_waitcnt vmcnt(5)
	v_mfma_f32_16x16x16f16 v[30:33], v[26:27], v[22:23], v[30:33]
	v_lshlrev_b64 v[38:39], 2, v[38:39]
	v_mov_b32_e32 v40, s16
	v_add_co_u32_e32 v26, vcc, s15, v38
	v_addc_co_u32_e32 v27, vcc, v40, v39, vcc
	global_load_dword v43, v[26:27], off
	v_or_b32_e32 v26, 0x80, v44
	v_ashrrev_i32_e32 v27, 4, v26
	v_cmp_gt_i32_e32 vcc, s31, v26
	v_cndmask_b32_e32 v38, v45, v27, vcc
	v_ashrrev_i32_e32 v39, 31, v38
	v_mfma_f32_16x16x16f16 v[26:29], v[28:29], v[24:25], v[30:33]
	s_nop 6
	v_lshlrev_b64 v[30:31], 2, v[38:39]
	v_mov_b32_e32 v32, s16
	v_add_co_u32_e32 v38, vcc, s15, v30
	v_addc_co_u32_e32 v39, vcc, v32, v31, vcc
	global_load_dword v46, v[38:39], off
	s_waitcnt vmcnt(6)
	v_mfma_f32_16x16x16f16 v[30:33], v[14:15], v[6:7], 0
	v_mfma_f32_16x16x16f16 v[14:17], v[16:17], v[8:9], v[30:33]
	s_nop 7
	s_nop 1
	v_or_b32_e32 v30, 0xc0, v44
	v_ashrrev_i32_e32 v31, 4, v30
	v_cmp_gt_i32_e32 vcc, s31, v30
	v_cndmask_b32_e32 v30, v45, v31, vcc
	v_ashrrev_i32_e32 v31, 31, v30
	v_lshlrev_b64 v[30:31], 2, v[30:31]
	v_mov_b32_e32 v32, s16
	s_waitcnt vmcnt(5)
	v_mfma_f32_16x16x16f16 v[14:17], v[10:11], v[22:23], v[14:17]
	v_add_co_u32_e32 v10, vcc, s15, v30
	v_addc_co_u32_e32 v11, vcc, v32, v31, vcc
	global_load_dword v49, v[10:11], off
	v_pk_mul_f32 v[44:45], s[12:13], v[26:27] op_sel_hi:[0,1]
	v_lshl_or_b32 v10, v52, 9, v55
	s_waitcnt vmcnt(5)
	v_mfma_f32_16x16x16f16 v[38:41], v[2:3], v[6:7], 0
	v_mov_b32_e32 v11, s3
	v_add_co_u32_e32 v60, vcc, s2, v10
	v_addc_co_u32_e32 v61, vcc, 0, v11, vcc
	s_waitcnt vmcnt(3)
	v_mad_i64_i32 v[10:11], s[2:3], v42, s45, 0
	v_mfma_f32_16x16x16f16 v[38:41], v[4:5], v[8:9], v[38:41]
	v_lshlrev_b64 v[10:11], 1, v[10:11]
	v_add_co_u32_e32 v2, vcc, v60, v10
	v_addc_co_u32_e32 v3, vcc, v61, v11, vcc
	v_mfma_f32_16x16x16f16 v[56:59], v[18:19], v[22:23], v[38:41]
	v_pk_mul_f32 v[18:19], s[12:13], v[34:35] op_sel_hi:[0,1]
	v_mfma_f32_16x16x16f16 v[30:33], v[12:13], v[24:25], v[14:17]
	s_nop 6
	global_load_dwordx4 v[14:17], v[2:3], off
	global_load_dwordx4 v[10:13], v[2:3], off offset:16
	s_waitcnt vmcnt(4)
	v_mad_i64_i32 v[2:3], s[2:3], v43, s45, 0
	v_lshlrev_b64 v[2:3], 1, v[2:3]
	v_add_co_u32_e32 v2, vcc, v60, v2
	v_mfma_f32_16x16x16f16 v[24:27], v[20:21], v[24:25], v[56:59]
	v_and_b32_e32 v20, 0xc0, v0
	v_add_u32_e32 v20, s14, v20
	v_lshl_or_b32 v20, v50, 2, v20
	v_or_b32_e32 v21, 1, v20
	v_addc_co_u32_e32 v3, vcc, v61, v3, vcc
	v_pk_mul_f32 v[38:39], s[12:13], v[32:33] op_sel_hi:[0,1]
	s_nop 4
	v_pk_mul_f32 v[34:35], s[12:13], v[26:27] op_sel_hi:[0,1]
	v_pk_mul_f32 v[40:41], s[12:13], v[30:31] op_sel_hi:[0,1]
	v_cmp_gt_i32_e64 s[34:35], s31, v20
	v_cmp_gt_i32_e64 s[36:37], s31, v21
	global_load_dwordx4 v[6:9], v[2:3], off
	s_nop 0
	global_load_dwordx4 v[2:5], v[2:3], off offset:16
	s_waitcnt vmcnt(5)
	v_mad_i64_i32 v[42:43], s[2:3], v46, s45, 0
	v_pk_mul_f32 v[46:47], s[12:13], v[36:37] op_sel_hi:[0,1]
	v_pk_mul_f32 v[36:37], s[12:13], v[24:25] op_sel_hi:[0,1]
	v_subrev_u32_e32 v24, s31, v21
	v_add_u32_e32 v26, 1, v24
	v_add_u32_e32 v27, 2, v24
	v_cvt_f32_i32_e32 v25, v24
	v_cvt_f32_i32_e32 v26, v26
	;; [unrolled: 1-line block ×3, first 2 shown]
	v_lshlrev_b64 v[42:43], 1, v[42:43]
	v_add_co_u32_e32 v22, vcc, v60, v42
	v_addc_co_u32_e32 v23, vcc, v61, v43, vcc
	v_pk_mul_f32 v[42:43], s[12:13], v[28:29] op_sel_hi:[0,1]
	v_add_u32_e32 v28, 3, v24
	v_fma_f32 v18, v48, v25, v18
	v_fmac_f32_e32 v19, v48, v26
	v_fma_f32 v46, v48, v27, v46
	v_add_u32_e32 v25, 16, v24
	v_add_u32_e32 v26, 17, v24
	;; [unrolled: 1-line block ×3, first 2 shown]
	v_cvt_f32_i32_e32 v28, v28
	v_cvt_f32_i32_e32 v25, v25
	;; [unrolled: 1-line block ×4, first 2 shown]
	v_fmac_f32_e32 v47, v48, v28
	v_add_u32_e32 v28, 19, v24
	v_fma_f32 v44, v48, v25, v44
	v_fmac_f32_e32 v45, v48, v26
	v_fma_f32 v42, v48, v27, v42
	v_add_u32_e32 v25, 32, v24
	v_add_u32_e32 v26, 33, v24
	;; [unrolled: 1-line block ×3, first 2 shown]
	v_cvt_f32_i32_e32 v28, v28
	v_cvt_f32_i32_e32 v25, v25
	;; [unrolled: 1-line block ×4, first 2 shown]
	v_fmac_f32_e32 v43, v48, v28
	v_add_u32_e32 v28, 35, v24
	v_fma_f32 v40, v48, v25, v40
	v_fmac_f32_e32 v41, v48, v26
	v_fma_f32 v38, v48, v27, v38
	v_add_u32_e32 v25, 48, v24
	v_add_u32_e32 v26, 49, v24
	;; [unrolled: 1-line block ×4, first 2 shown]
	v_cvt_f32_i32_e32 v24, v24
	v_cvt_f32_i32_e32 v25, v25
	;; [unrolled: 1-line block ×4, first 2 shown]
	v_fmac_f32_e32 v35, v48, v24
	v_mov_b32_e32 v24, 0xff7fffff
	v_fma_f32 v36, v48, v25, v36
	v_cndmask_b32_e64 v25, v24, v18, s[34:35]
	v_cndmask_b32_e64 v21, v24, v19, s[36:37]
	v_fmac_f32_e32 v37, v48, v26
	v_max3_f32 v21, v25, s9, v21
	v_or_b32_e32 v25, 2, v20
	v_or_b32_e32 v26, 3, v20
	v_cmp_gt_i32_e64 s[38:39], s31, v25
	v_cmp_gt_i32_e64 s[40:41], s31, v26
	v_cndmask_b32_e64 v25, v24, v46, s[38:39]
	v_cndmask_b32_e64 v26, v24, v47, s[40:41]
	v_max3_f32 v21, v21, v25, v26
	v_or_b32_e32 v25, 16, v20
	v_or_b32_e32 v26, 17, v20
	v_cmp_gt_i32_e64 s[26:27], s31, v25
	v_cmp_gt_i32_e64 s[28:29], s31, v26
	v_cndmask_b32_e64 v25, v24, v44, s[26:27]
	v_cndmask_b32_e64 v26, v24, v45, s[28:29]
	;; [unrolled: 7-line block ×4, first 2 shown]
	v_max3_f32 v21, v21, v25, v26
	v_or_b32_e32 v25, 34, v20
	v_or_b32_e32 v26, 35, v20
	v_fmac_f32_e32 v39, v48, v28
	v_cmp_gt_i32_e64 s[14:15], s31, v25
	v_cmp_gt_i32_e64 s[16:17], s31, v26
	v_cndmask_b32_e64 v25, v24, v38, s[14:15]
	v_cndmask_b32_e64 v26, v24, v39, s[16:17]
	v_cvt_f32_i32_e32 v27, v27
	v_max3_f32 v21, v21, v25, v26
	v_or_b32_e32 v25, 48, v20
	v_or_b32_e32 v26, 49, v20
	v_cmp_gt_i32_e64 s[10:11], s31, v25
	v_cmp_gt_i32_e64 s[12:13], s31, v26
	v_cndmask_b32_e64 v25, v24, v36, s[10:11]
	v_cndmask_b32_e64 v26, v24, v37, s[12:13]
	v_max3_f32 v21, v21, v25, v26
	v_or_b32_e32 v25, 50, v20
	v_or_b32_e32 v20, 51, v20
	v_fma_f32 v34, v48, v27, v34
	v_cmp_gt_i32_e32 vcc, s31, v25
	v_cmp_gt_i32_e64 s[2:3], s31, v20
	v_cndmask_b32_e32 v25, v24, v34, vcc
	v_cndmask_b32_e64 v20, v24, v35, s[2:3]
	v_max3_f32 v26, v21, v25, v20
	v_mbcnt_lo_u32_b32 v20, -1, 0
	v_mbcnt_hi_u32_b32 v27, -1, v20
	v_and_b32_e32 v20, 64, v27
	v_add_u32_e32 v28, 64, v20
	v_xor_b32_e32 v20, 32, v27
	v_cmp_lt_i32_e64 s[42:43], v20, v28
	v_cndmask_b32_e64 v20, v27, v20, s[42:43]
	v_lshlrev_b32_e32 v57, 2, v20
	ds_bpermute_b32 v29, v57, v26
	s_waitcnt vmcnt(4)
	v_mad_i64_i32 v[20:21], s[42:43], v49, s45, 0
	v_lshlrev_b64 v[20:21], 1, v[20:21]
	global_load_dwordx4 v[30:33], v[22:23], off
	s_nop 0
	global_load_dwordx4 v[22:25], v[22:23], off offset:16
	s_waitcnt lgkmcnt(0)
	v_max_f32_e32 v29, v29, v29
	v_max_f32_e32 v26, v26, v29
	v_xor_b32_e32 v29, 16, v27
	v_cmp_lt_i32_e64 s[42:43], v29, v28
	v_cndmask_b32_e64 v27, v27, v29, s[42:43]
	v_lshlrev_b32_e32 v58, 2, v27
	ds_bpermute_b32 v27, v58, v26
	v_add_co_u32_e64 v20, s[42:43], v60, v20
	v_addc_co_u32_e64 v21, s[42:43], v61, v21, s[42:43]
	s_waitcnt lgkmcnt(0)
	v_max_f32_e32 v27, v27, v27
	v_max_f32_e32 v56, v26, v27
	v_sub_f32_e32 v18, v18, v56
	v_mul_f32_e32 v18, 0x3fb8aa3b, v18
	v_exp_f32_e32 v48, v18
	v_sub_f32_e32 v18, v19, v56
	v_mul_f32_e32 v18, 0x3fb8aa3b, v18
	v_exp_f32_e32 v49, v18
	global_load_dwordx4 v[26:29], v[20:21], off
	s_nop 0
	global_load_dwordx4 v[18:21], v[20:21], off offset:16
	v_sub_f32_e32 v46, v46, v56
	v_mul_f32_e32 v46, 0x3fb8aa3b, v46
	v_sub_f32_e32 v47, v47, v56
	v_exp_f32_e32 v46, v46
	v_mul_f32_e32 v47, 0x3fb8aa3b, v47
	v_sub_f32_e32 v44, v44, v56
	v_exp_f32_e32 v47, v47
	v_mul_f32_e32 v44, 0x3fb8aa3b, v44
	v_sub_f32_e32 v45, v45, v56
	v_cndmask_b32_e64 v48, 0, v48, s[34:35]
	v_exp_f32_e32 v44, v44
	v_mul_f32_e32 v45, 0x3fb8aa3b, v45
	v_sub_f32_e32 v42, v42, v56
	v_add_f32_e32 v59, 0, v48
	v_cndmask_b32_e64 v49, 0, v49, s[36:37]
	v_exp_f32_e32 v45, v45
	v_mul_f32_e32 v42, 0x3fb8aa3b, v42
	v_sub_f32_e32 v43, v43, v56
	v_add_f32_e32 v59, v59, v49
	v_cndmask_b32_e64 v46, 0, v46, s[38:39]
	v_exp_f32_e32 v42, v42
	v_mul_f32_e32 v43, 0x3fb8aa3b, v43
	v_sub_f32_e32 v40, v40, v56
	v_add_f32_e32 v59, v59, v46
	v_cndmask_b32_e64 v47, 0, v47, s[40:41]
	v_exp_f32_e32 v43, v43
	v_mul_f32_e32 v40, 0x3fb8aa3b, v40
	v_sub_f32_e32 v41, v41, v56
	v_add_f32_e32 v59, v59, v47
	v_cndmask_b32_e64 v44, 0, v44, s[26:27]
	v_exp_f32_e32 v40, v40
	v_mul_f32_e32 v41, 0x3fb8aa3b, v41
	v_sub_f32_e32 v38, v38, v56
	v_add_f32_e32 v59, v59, v44
	v_cndmask_b32_e64 v45, 0, v45, s[28:29]
	v_exp_f32_e32 v41, v41
	v_mul_f32_e32 v38, 0x3fb8aa3b, v38
	v_sub_f32_e32 v39, v39, v56
	v_add_f32_e32 v59, v59, v45
	v_cndmask_b32_e64 v42, 0, v42, s[22:23]
	v_exp_f32_e32 v38, v38
	v_mul_f32_e32 v39, 0x3fb8aa3b, v39
	v_sub_f32_e32 v36, v36, v56
	v_add_f32_e32 v59, v59, v42
	v_cndmask_b32_e64 v43, 0, v43, s[24:25]
	v_exp_f32_e32 v39, v39
	v_mul_f32_e32 v36, 0x3fb8aa3b, v36
	v_sub_f32_e32 v37, v37, v56
	v_add_f32_e32 v59, v59, v43
	v_cndmask_b32_e64 v40, 0, v40, s[18:19]
	v_exp_f32_e32 v36, v36
	v_mul_f32_e32 v37, 0x3fb8aa3b, v37
	v_sub_f32_e32 v34, v34, v56
	v_add_f32_e32 v59, v59, v40
	v_cndmask_b32_e64 v41, 0, v41, s[20:21]
	v_exp_f32_e32 v37, v37
	v_mul_f32_e32 v34, 0x3fb8aa3b, v34
	v_sub_f32_e32 v35, v35, v56
	v_add_f32_e32 v59, v59, v41
	v_cndmask_b32_e64 v38, 0, v38, s[14:15]
	v_exp_f32_e32 v34, v34
	v_mul_f32_e32 v35, 0x3fb8aa3b, v35
	v_add_f32_e32 v59, v59, v38
	v_cndmask_b32_e64 v39, 0, v39, s[16:17]
	v_exp_f32_e32 v35, v35
	v_add_f32_e32 v59, v59, v39
	v_cndmask_b32_e64 v36, 0, v36, s[10:11]
	v_add_f32_e32 v59, v59, v36
	v_cndmask_b32_e64 v37, 0, v37, s[12:13]
	v_add_f32_e32 v59, v59, v37
	v_cndmask_b32_e32 v34, 0, v34, vcc
	v_add_f32_e32 v59, v59, v34
	v_cndmask_b32_e64 v35, 0, v35, s[2:3]
	v_add_f32_e32 v59, v59, v35
	ds_bpermute_b32 v57, v57, v59
	v_cmp_gt_u32_e64 s[2:3], 16, v54
	v_lshlrev_b32_e32 v54, 2, v53
	s_waitcnt lgkmcnt(0)
	s_barrier
	v_add_f32_e32 v57, v59, v57
	ds_bpermute_b32 v58, v58, v57
	s_waitcnt lgkmcnt(0)
	s_and_saveexec_b64 s[10:11], s[2:3]
	s_cbranch_execz .LBB24_15
; %bb.14:
	v_add_f32_e32 v53, v57, v58
	v_lshl_or_b32 v57, v52, 6, v54
	ds_write2st64_b32 v57, v56, v53 offset1:1
.LBB24_15:
	s_or_b64 exec, exec, s[10:11]
	s_load_dwordx2 s[10:11], s[4:5], 0x94
	s_waitcnt lgkmcnt(0)
	s_barrier
	ds_read2_b32 v[56:57], v54 offset1:16
	ds_read2_b32 v[58:59], v54 offset0:32 offset1:48
	ds_read2_b32 v[60:61], v54 offset0:64 offset1:80
	s_waitcnt lgkmcnt(2)
	v_max3_f32 v53, v56, s9, v57
	s_waitcnt lgkmcnt(1)
	v_max3_f32 v53, v53, v58, v59
	v_sub_f32_e32 v56, v56, v53
	v_mul_f32_e32 v56, 0x3fb8aa3b, v56
	v_exp_f32_e32 v62, v56
	v_sub_f32_e32 v56, v57, v53
	v_mul_f32_e32 v56, 0x3fb8aa3b, v56
	v_exp_f32_e32 v63, v56
	v_sub_f32_e32 v56, v58, v53
	v_mul_f32_e32 v56, 0x3fb8aa3b, v56
	v_exp_f32_e32 v58, v56
	ds_read2_b32 v[56:57], v54 offset0:96 offset1:112
	v_sub_f32_e32 v54, v59, v53
	v_mul_f32_e32 v54, 0x3fb8aa3b, v54
	v_exp_f32_e32 v59, v54
	s_waitcnt lgkmcnt(1)
	v_fma_f32 v54, v62, v60, 0
	v_fmac_f32_e32 v54, v63, v61
	s_waitcnt lgkmcnt(0)
	v_fmac_f32_e32 v54, v58, v56
	v_fmac_f32_e32 v54, v59, v57
	v_add_f32_e32 v57, 0x358637bd, v54
	v_div_scale_f32 v60, s[12:13], v57, v57, 1.0
	v_rcp_f32_e32 v61, v60
	s_barrier
	v_fma_f32 v64, -v60, v61, 1.0
	v_fmac_f32_e32 v61, v64, v61
	v_div_scale_f32 v64, vcc, 1.0, v57, 1.0
	v_mul_f32_e32 v65, v64, v61
	v_fma_f32 v66, -v60, v65, v64
	v_fmac_f32_e32 v65, v66, v61
	v_fma_f32 v60, -v60, v65, v64
	v_div_fmas_f32 v60, v60, v61, v65
	v_cmp_eq_u32_e32 vcc, 1, v52
	v_div_fixup_f32 v57, v60, v57, 1.0
	v_cndmask_b32_e32 v60, v62, v63, vcc
	v_cmp_eq_u32_e32 vcc, 2, v52
	v_cndmask_b32_e32 v58, v60, v58, vcc
	v_cmp_eq_u32_e32 vcc, 3, v52
	v_cndmask_b32_e32 v58, v58, v59, vcc
	v_mul_f32_e32 v58, v58, v57
	v_pk_mul_f32 v[48:49], v[58:59], v[48:49] op_sel_hi:[0,1]
	v_cvt_f16_f32_e32 v48, v48
	v_cvt_f16_f32_e32 v49, v49
	v_pk_mul_f32 v[46:47], v[58:59], v[46:47] op_sel_hi:[0,1]
	v_pk_mul_f32 v[42:43], v[58:59], v[42:43] op_sel_hi:[0,1]
	;; [unrolled: 1-line block ×3, first 2 shown]
	v_cvt_f16_f32_e32 v57, v46
	v_cvt_f16_f32_e32 v47, v47
	v_pack_b32_f16 v46, v48, v49
	v_cvt_f16_f32_e32 v44, v44
	v_cvt_f16_f32_e32 v45, v45
	;; [unrolled: 1-line block ×4, first 2 shown]
	v_lshlrev_b32_e32 v48, 3, v50
	v_lshlrev_b32_e32 v42, 11, v52
	v_pack_b32_f16 v47, v57, v47
	v_or3_b32 v42, v42, v55, v48
	v_pack_b32_f16 v44, v44, v45
	v_pack_b32_f16 v45, v49, v43
	v_pk_mul_f32 v[38:39], v[58:59], v[38:39] op_sel_hi:[0,1]
	v_pk_mul_f32 v[40:41], v[58:59], v[40:41] op_sel_hi:[0,1]
	;; [unrolled: 1-line block ×4, first 2 shown]
	ds_write2st64_b64 v42, v[46:47], v[44:45] offset1:1
	v_cvt_f16_f32_e32 v40, v40
	v_cvt_f16_f32_e32 v41, v41
	;; [unrolled: 1-line block ×8, first 2 shown]
	v_mov_b32_e32 v56, 0
	v_pack_b32_f16 v34, v40, v41
	v_pack_b32_f16 v35, v38, v39
	;; [unrolled: 1-line block ×4, first 2 shown]
	v_cmp_eq_u32_e32 vcc, 0, v0
	ds_write2st64_b64 v42, v[34:35], v[36:37] offset0:2 offset1:3
	s_and_saveexec_b64 s[12:13], vcc
	s_cbranch_execz .LBB24_17
; %bb.16:
	s_mul_i32 s7, s7, s11
	s_mul_hi_u32 s9, s6, s11
	s_add_i32 s9, s9, s7
	s_mul_i32 s7, s6, s11
	s_add_u32 s7, s7, s8
	s_addc_u32 s9, s9, 0
	s_load_dwordx4 s[16:19], s[4:5], 0x58
	s_mul_i32 s9, s9, s10
	s_mul_hi_u32 s14, s7, s10
	s_add_i32 s9, s14, s9
	s_mul_i32 s7, s7, s10
	s_add_u32 s14, s7, s30
	s_addc_u32 s15, s9, 0
	s_lshl_b64 s[14:15], s[14:15], 2
	s_waitcnt lgkmcnt(0)
	s_add_u32 s18, s18, s14
	s_addc_u32 s19, s19, s15
	s_add_u32 s14, s16, s14
	s_addc_u32 s15, s17, s15
	global_store_dword v56, v53, s[18:19]
	global_store_dword v56, v54, s[14:15]
.LBB24_17:
	s_or_b64 exec, exec, s[12:13]
	v_lshl_or_b32 v43, v50, 9, v55
	s_waitcnt lgkmcnt(0)
	s_barrier
	ds_read_b128 v[34:37], v43
	ds_read_b128 v[38:41], v43 offset:16
	s_waitcnt vmcnt(7) lgkmcnt(1)
	v_mfma_f32_16x16x16f16 v[44:47], v[14:15], v[34:35], 0
	v_cmp_gt_u32_e32 vcc, 64, v0
	s_and_b64 s[0:1], s[0:1], vcc
	s_mov_b32 s7, 0
	s_and_b64 s[0:1], s[0:1], s[2:3]
	v_mfma_f32_16x16x16f16 v[14:17], v[16:17], v[36:37], v[44:47]
	s_waitcnt vmcnt(6) lgkmcnt(0)
	v_mfma_f32_16x16x16f16 v[14:17], v[10:11], v[38:39], v[14:17]
	v_mfma_f32_16x16x16f16 v[10:13], v[12:13], v[40:41], v[14:17]
	s_nop 7
	s_nop 1
	ds_read_b128 v[14:17], v43 offset:2048
	ds_read_b128 v[34:37], v43 offset:2064
	s_waitcnt vmcnt(5) lgkmcnt(1)
	v_mfma_f32_16x16x16f16 v[10:13], v[6:7], v[14:15], v[10:13]
	v_mfma_f32_16x16x16f16 v[6:9], v[8:9], v[16:17], v[10:13]
	s_waitcnt vmcnt(4) lgkmcnt(0)
	v_mfma_f32_16x16x16f16 v[6:9], v[2:3], v[34:35], v[6:9]
	v_mfma_f32_16x16x16f16 v[2:5], v[4:5], v[36:37], v[6:9]
	s_nop 7
	s_nop 1
	ds_read_b128 v[6:9], v43 offset:4096
	ds_read_b128 v[10:13], v43 offset:4112
	s_waitcnt vmcnt(3) lgkmcnt(1)
	v_mfma_f32_16x16x16f16 v[2:5], v[30:31], v[6:7], v[2:5]
	v_mfma_f32_16x16x16f16 v[2:5], v[32:33], v[8:9], v[2:5]
	s_waitcnt vmcnt(2) lgkmcnt(0)
	v_mfma_f32_16x16x16f16 v[2:5], v[22:23], v[10:11], v[2:5]
	v_mfma_f32_16x16x16f16 v[2:5], v[24:25], v[12:13], v[2:5]
	ds_read_b128 v[6:9], v43 offset:6144
	ds_read_b128 v[10:13], v43 offset:6160
	s_waitcnt lgkmcnt(0)
	s_barrier
	s_waitcnt vmcnt(1)
	v_mfma_f32_16x16x16f16 v[2:5], v[26:27], v[6:7], v[2:5]
	v_mfma_f32_16x16x16f16 v[2:5], v[28:29], v[8:9], v[2:5]
	s_waitcnt vmcnt(0)
	v_mfma_f32_16x16x16f16 v[2:5], v[18:19], v[10:11], v[2:5]
	v_mfma_f32_16x16x16f16 v[2:5], v[20:21], v[12:13], v[2:5]
	s_nop 7
	s_nop 2
	v_cvt_f16_f32_e32 v2, v2
	v_cvt_f16_f32_e32 v3, v3
	;; [unrolled: 1-line block ×4, first 2 shown]
	v_pack_b32_f16 v2, v2, v3
	v_pack_b32_f16 v3, v4, v5
	ds_write_b64 v42, v[2:3]
	s_waitcnt lgkmcnt(0)
	s_barrier
	s_and_saveexec_b64 s[2:3], s[0:1]
	s_cbranch_execz .LBB24_19
; %bb.18:
	s_load_dwordx2 s[0:1], s[4:5], 0x68
	s_mul_i32 s2, s11, s6
	s_lshl_b32 s4, s10, 6
	s_mul_hi_u32 s3, s2, s4
	s_mul_i32 s2, s2, s4
	s_lshl_b64 s[2:3], s[2:3], 1
	v_lshlrev_b32_e32 v0, 10, v0
	s_waitcnt lgkmcnt(0)
	s_add_u32 s2, s0, s2
	v_and_b32_e32 v0, 0x1800, v0
	v_lshlrev_b32_e32 v2, 5, v50
	v_and_b32_e32 v3, 16, v51
	s_addc_u32 s3, s1, s3
	s_lshl_b32 s6, s30, 6
	v_or3_b32 v0, v0, v2, v3
	s_lshl_b64 s[0:1], s[6:7], 1
	ds_read_b128 v[2:5], v0
	s_add_u32 s2, s2, s0
	s_addc_u32 s3, s3, s1
	s_mul_hi_u32 s1, s4, s8
	s_mul_i32 s0, s4, s8
	s_lshl_b64 s[0:1], s[0:1], 1
	s_add_u32 s0, s2, s0
	s_addc_u32 s1, s3, s1
	s_waitcnt lgkmcnt(0)
	global_store_dwordx4 v1, v[2:5], s[0:1]
.LBB24_19:
	s_endpgm
	.section	.rodata,"a",@progbits
	.p2align	6, 0x0
	.amdhsa_kernel _Z39paged_attention_ll4mi_QKV_mfma16_kernelIDF16_DF16_LN4vllm18Fp8KVCacheDataTypeE0EDF16_Li16ELi64ELi256ELb1ELi1EL8MFMAType0EEvPKT_PKT0_S8_ifPKiSA_SA_iPKfiiiPfSD_PS3_PT2_iSC_SC_
		.amdhsa_group_segment_fixed_size 8192
		.amdhsa_private_segment_fixed_size 0
		.amdhsa_kernarg_size 400
		.amdhsa_user_sgpr_count 6
		.amdhsa_user_sgpr_private_segment_buffer 1
		.amdhsa_user_sgpr_dispatch_ptr 0
		.amdhsa_user_sgpr_queue_ptr 0
		.amdhsa_user_sgpr_kernarg_segment_ptr 1
		.amdhsa_user_sgpr_dispatch_id 0
		.amdhsa_user_sgpr_flat_scratch_init 0
		.amdhsa_user_sgpr_kernarg_preload_length 0
		.amdhsa_user_sgpr_kernarg_preload_offset 0
		.amdhsa_user_sgpr_private_segment_size 0
		.amdhsa_uses_dynamic_stack 0
		.amdhsa_system_sgpr_private_segment_wavefront_offset 0
		.amdhsa_system_sgpr_workgroup_id_x 1
		.amdhsa_system_sgpr_workgroup_id_y 1
		.amdhsa_system_sgpr_workgroup_id_z 1
		.amdhsa_system_sgpr_workgroup_info 0
		.amdhsa_system_vgpr_workitem_id 0
		.amdhsa_next_free_vgpr 67
		.amdhsa_next_free_sgpr 48
		.amdhsa_accum_offset 68
		.amdhsa_reserve_vcc 1
		.amdhsa_reserve_flat_scratch 0
		.amdhsa_float_round_mode_32 0
		.amdhsa_float_round_mode_16_64 0
		.amdhsa_float_denorm_mode_32 3
		.amdhsa_float_denorm_mode_16_64 3
		.amdhsa_dx10_clamp 1
		.amdhsa_ieee_mode 1
		.amdhsa_fp16_overflow 0
		.amdhsa_tg_split 0
		.amdhsa_exception_fp_ieee_invalid_op 0
		.amdhsa_exception_fp_denorm_src 0
		.amdhsa_exception_fp_ieee_div_zero 0
		.amdhsa_exception_fp_ieee_overflow 0
		.amdhsa_exception_fp_ieee_underflow 0
		.amdhsa_exception_fp_ieee_inexact 0
		.amdhsa_exception_int_div_zero 0
	.end_amdhsa_kernel
	.section	.text._Z39paged_attention_ll4mi_QKV_mfma16_kernelIDF16_DF16_LN4vllm18Fp8KVCacheDataTypeE0EDF16_Li16ELi64ELi256ELb1ELi1EL8MFMAType0EEvPKT_PKT0_S8_ifPKiSA_SA_iPKfiiiPfSD_PS3_PT2_iSC_SC_,"axG",@progbits,_Z39paged_attention_ll4mi_QKV_mfma16_kernelIDF16_DF16_LN4vllm18Fp8KVCacheDataTypeE0EDF16_Li16ELi64ELi256ELb1ELi1EL8MFMAType0EEvPKT_PKT0_S8_ifPKiSA_SA_iPKfiiiPfSD_PS3_PT2_iSC_SC_,comdat
.Lfunc_end24:
	.size	_Z39paged_attention_ll4mi_QKV_mfma16_kernelIDF16_DF16_LN4vllm18Fp8KVCacheDataTypeE0EDF16_Li16ELi64ELi256ELb1ELi1EL8MFMAType0EEvPKT_PKT0_S8_ifPKiSA_SA_iPKfiiiPfSD_PS3_PT2_iSC_SC_, .Lfunc_end24-_Z39paged_attention_ll4mi_QKV_mfma16_kernelIDF16_DF16_LN4vllm18Fp8KVCacheDataTypeE0EDF16_Li16ELi64ELi256ELb1ELi1EL8MFMAType0EEvPKT_PKT0_S8_ifPKiSA_SA_iPKfiiiPfSD_PS3_PT2_iSC_SC_
                                        ; -- End function
	.section	.AMDGPU.csdata,"",@progbits
; Kernel info:
; codeLenInByte = 4108
; NumSgprs: 52
; NumVgprs: 67
; NumAgprs: 0
; TotalNumVgprs: 67
; ScratchSize: 0
; MemoryBound: 0
; FloatMode: 240
; IeeeMode: 1
; LDSByteSize: 8192 bytes/workgroup (compile time only)
; SGPRBlocks: 6
; VGPRBlocks: 8
; NumSGPRsForWavesPerEU: 52
; NumVGPRsForWavesPerEU: 67
; AccumOffset: 68
; Occupancy: 7
; WaveLimiterHint : 1
; COMPUTE_PGM_RSRC2:SCRATCH_EN: 0
; COMPUTE_PGM_RSRC2:USER_SGPR: 6
; COMPUTE_PGM_RSRC2:TRAP_HANDLER: 0
; COMPUTE_PGM_RSRC2:TGID_X_EN: 1
; COMPUTE_PGM_RSRC2:TGID_Y_EN: 1
; COMPUTE_PGM_RSRC2:TGID_Z_EN: 1
; COMPUTE_PGM_RSRC2:TIDIG_COMP_CNT: 0
; COMPUTE_PGM_RSRC3_GFX90A:ACCUM_OFFSET: 16
; COMPUTE_PGM_RSRC3_GFX90A:TG_SPLIT: 0
	.section	.text._Z39paged_attention_ll4mi_QKV_mfma16_kernelIDF16_DF16_LN4vllm18Fp8KVCacheDataTypeE0EDF16_Li16ELi64ELi256ELb1ELi2EL8MFMAType0EEvPKT_PKT0_S8_ifPKiSA_SA_iPKfiiiPfSD_PS3_PT2_iSC_SC_,"axG",@progbits,_Z39paged_attention_ll4mi_QKV_mfma16_kernelIDF16_DF16_LN4vllm18Fp8KVCacheDataTypeE0EDF16_Li16ELi64ELi256ELb1ELi2EL8MFMAType0EEvPKT_PKT0_S8_ifPKiSA_SA_iPKfiiiPfSD_PS3_PT2_iSC_SC_,comdat
	.protected	_Z39paged_attention_ll4mi_QKV_mfma16_kernelIDF16_DF16_LN4vllm18Fp8KVCacheDataTypeE0EDF16_Li16ELi64ELi256ELb1ELi2EL8MFMAType0EEvPKT_PKT0_S8_ifPKiSA_SA_iPKfiiiPfSD_PS3_PT2_iSC_SC_ ; -- Begin function _Z39paged_attention_ll4mi_QKV_mfma16_kernelIDF16_DF16_LN4vllm18Fp8KVCacheDataTypeE0EDF16_Li16ELi64ELi256ELb1ELi2EL8MFMAType0EEvPKT_PKT0_S8_ifPKiSA_SA_iPKfiiiPfSD_PS3_PT2_iSC_SC_
	.globl	_Z39paged_attention_ll4mi_QKV_mfma16_kernelIDF16_DF16_LN4vllm18Fp8KVCacheDataTypeE0EDF16_Li16ELi64ELi256ELb1ELi2EL8MFMAType0EEvPKT_PKT0_S8_ifPKiSA_SA_iPKfiiiPfSD_PS3_PT2_iSC_SC_
	.p2align	8
	.type	_Z39paged_attention_ll4mi_QKV_mfma16_kernelIDF16_DF16_LN4vllm18Fp8KVCacheDataTypeE0EDF16_Li16ELi64ELi256ELb1ELi2EL8MFMAType0EEvPKT_PKT0_S8_ifPKiSA_SA_iPKfiiiPfSD_PS3_PT2_iSC_SC_,@function
_Z39paged_attention_ll4mi_QKV_mfma16_kernelIDF16_DF16_LN4vllm18Fp8KVCacheDataTypeE0EDF16_Li16ELi64ELi256ELb1ELi2EL8MFMAType0EEvPKT_PKT0_S8_ifPKiSA_SA_iPKfiiiPfSD_PS3_PT2_iSC_SC_: ; @_Z39paged_attention_ll4mi_QKV_mfma16_kernelIDF16_DF16_LN4vllm18Fp8KVCacheDataTypeE0EDF16_Li16ELi64ELi256ELb1ELi2EL8MFMAType0EEvPKT_PKT0_S8_ifPKiSA_SA_iPKfiiiPfSD_PS3_PT2_iSC_SC_
; %bb.0:
	s_load_dwordx2 s[0:1], s[4:5], 0x30
	s_mov_b32 s28, s7
	s_mov_b64 s[10:11], 0
	s_waitcnt lgkmcnt(0)
	s_cmp_lg_u64 s[0:1], 0
	s_cselect_b64 s[2:3], -1, 0
	s_and_b64 vcc, exec, s[2:3]
	s_cbranch_vccz .LBB25_7
; %bb.1:
	s_add_i32 s12, s6, 1
	s_mov_b32 s13, 0
	s_lshl_b64 s[14:15], s[12:13], 2
	s_add_u32 s14, s0, s14
	s_mov_b32 s7, s13
	s_addc_u32 s15, s1, s15
	s_lshl_b64 s[12:13], s[6:7], 2
	s_add_u32 s12, s0, s12
	s_addc_u32 s13, s1, s13
	s_load_dword s9, s[14:15], 0x0
	s_load_dword s16, s[12:13], 0x0
	s_waitcnt lgkmcnt(0)
	s_sub_i32 s9, s9, s16
	s_cmp_eq_u32 s9, 1
	s_cselect_b64 s[12:13], -1, 0
	s_andn2_b64 vcc, exec, s[10:11]
	s_cbranch_vccnz .LBB25_3
.LBB25_2:
	s_mov_b32 s7, 0
	s_mov_b64 s[12:13], -1
.LBB25_3:
	s_andn2_b64 vcc, exec, s[12:13]
	s_cbranch_vccnz .LBB25_19
; %bb.4:
	s_load_dwordx2 s[12:13], s[4:5], 0x28
	s_lshl_b64 s[10:11], s[6:7], 2
	s_waitcnt lgkmcnt(0)
	s_add_u32 s12, s12, s10
	s_addc_u32 s13, s13, s11
	s_load_dword s33, s[12:13], 0x0
	s_lshl_b32 s14, s28, 8
	s_waitcnt lgkmcnt(0)
	s_cmp_ge_i32 s14, s33
	s_cbranch_scc1 .LBB25_19
; %bb.5:
	s_add_i32 s15, s33, 15
	s_load_dwordx2 s[12:13], s[4:5], 0x20
	s_load_dword s9, s[4:5], 0x38
	s_ashr_i32 s16, s15, 31
	v_and_b32_e32 v1, 0xcf, v0
	s_lshr_b32 s16, s16, 28
	v_add_u32_e32 v1, s14, v1
	s_add_i32 s15, s15, s16
	v_ashrrev_i32_e32 v2, 31, v1
	s_ashr_i32 s17, s15, 4
	v_lshrrev_b32_e32 v4, 28, v2
	s_add_i32 s17, s17, -1
	v_add_u32_e32 v2, v1, v4
	s_waitcnt lgkmcnt(0)
	s_mul_i32 s18, s6, s9
	s_mov_b32 s19, 0
	v_ashrrev_i32_e32 v2, 4, v2
	v_mov_b32_e32 v5, s17
	v_cmp_gt_i32_e32 vcc, s33, v1
	s_lshl_b64 s[18:19], s[18:19], 2
	v_cndmask_b32_e32 v2, v5, v2, vcc
	s_add_u32 s15, s12, s18
	v_ashrrev_i32_e32 v3, 31, v2
	s_addc_u32 s16, s13, s19
	v_lshlrev_b64 v[2:3], 2, v[2:3]
	v_mov_b32_e32 v7, s16
	v_add_co_u32_e32 v6, vcc, s15, v2
	v_or_b32_e32 v2, 16, v1
	v_addc_co_u32_e32 v7, vcc, v7, v3, vcc
	v_add_u32_e32 v3, v2, v4
	v_ashrrev_i32_e32 v3, 4, v3
	v_cmp_gt_i32_e32 vcc, s33, v2
	v_cndmask_b32_e32 v2, v5, v3, vcc
	v_ashrrev_i32_e32 v3, 31, v2
	v_lshlrev_b64 v[2:3], 2, v[2:3]
	v_mov_b32_e32 v9, s16
	v_add_co_u32_e32 v8, vcc, s15, v2
	v_or_b32_e32 v2, 32, v1
	v_addc_co_u32_e32 v9, vcc, v9, v3, vcc
	v_add_u32_e32 v3, v2, v4
	v_ashrrev_i32_e32 v3, 4, v3
	v_cmp_gt_i32_e32 vcc, s33, v2
	v_cndmask_b32_e32 v2, v5, v3, vcc
	v_ashrrev_i32_e32 v3, 31, v2
	;; [unrolled: 10-line block ×3, first 2 shown]
	v_lshlrev_b64 v[2:3], 2, v[2:3]
	v_mov_b32_e32 v1, s16
	v_add_co_u32_e32 v12, vcc, s15, v2
	v_addc_co_u32_e32 v13, vcc, v1, v3, vcc
	global_load_dword v5, v[6:7], off
	global_load_dword v4, v[8:9], off
	global_load_dword v3, v[10:11], off
	global_load_dword v2, v[12:13], off
	s_load_dwordx2 s[12:13], s[4:5], 0x8
	s_andn2_b64 vcc, exec, s[2:3]
	s_cbranch_vccnz .LBB25_8
; %bb.6:
	s_add_u32 s0, s0, s10
	s_addc_u32 s1, s1, s11
	s_load_dword s9, s[0:1], 0x0
	s_branch .LBB25_9
.LBB25_7:
	s_mov_b64 s[12:13], 0
	s_branch .LBB25_2
.LBB25_8:
	s_mov_b32 s9, s6
.LBB25_9:
	s_load_dwordx2 s[2:3], s[4:5], 0x10
	s_load_dwordx4 s[44:47], s[4:5], 0x48
	v_lshrrev_b32_e32 v53, 6, v0
	v_bfe_u32 v1, v0, 4, 2
	v_lshl_or_b32 v6, v53, 2, v1
	v_and_b32_e32 v54, 15, v0
	v_lshlrev_b32_e32 v7, 3, v54
	v_cmp_gt_u32_e32 vcc, 2, v6
	v_cmp_gt_u32_e64 s[0:1], 8, v54
	s_lshl_b32 s29, s8, 1
	s_and_b64 s[18:19], s[0:1], vcc
	v_lshlrev_b32_e32 v50, 1, v7
	s_and_saveexec_b64 s[10:11], s[18:19]
	s_cbranch_execz .LBB25_11
; %bb.10:
	s_load_dwordx2 s[18:19], s[4:5], 0x0
	s_waitcnt lgkmcnt(0)
	s_ashr_i32 s20, s44, 31
	s_mul_hi_u32 s21, s9, s44
	s_mul_i32 s20, s9, s20
	s_add_i32 s21, s21, s20
	s_mul_i32 s20, s9, s44
	s_lshl_b64 s[20:21], s[20:21], 1
	v_add_lshl_u32 v8, v1, s29, 6
	s_add_u32 s9, s18, s20
	v_ashrrev_i32_e32 v9, 31, v8
	s_addc_u32 s18, s19, s21
	v_lshlrev_b64 v[8:9], 1, v[8:9]
	v_mov_b32_e32 v7, s18
	v_add_co_u32_e32 v8, vcc, s9, v8
	v_addc_co_u32_e32 v7, vcc, v7, v9, vcc
	v_add_co_u32_e32 v8, vcc, v8, v50
	v_addc_co_u32_e32 v9, vcc, 0, v7, vcc
	global_load_dwordx4 v[8:11], v[8:9], off
	v_and_b32_e32 v7, 3, v0
	v_lshlrev_b32_e32 v12, 9, v54
	v_lshlrev_b32_e32 v6, 5, v6
	;; [unrolled: 1-line block ×3, first 2 shown]
	v_and_b32_e32 v12, 0x1800, v12
	v_or3_b32 v6, v12, v7, v6
	s_waitcnt vmcnt(0)
	ds_write_b128 v6, v[8:11]
.LBB25_11:
	s_or_b64 exec, exec, s[10:11]
	s_waitcnt lgkmcnt(0)
	s_mul_i32 s8, s8, s46
	s_mov_b32 s9, 0
	s_lshl_b64 s[8:9], s[8:9], 1
	s_add_u32 s10, s12, s8
	v_lshlrev_b32_e32 v51, 4, v0
	s_addc_u32 s11, s13, s9
	v_and_b32_e32 v6, 0xf0, v51
	v_mov_b32_e32 v7, s11
	v_add_co_u32_e32 v8, vcc, s10, v6
	v_addc_co_u32_e32 v9, vcc, 0, v7, vcc
	s_waitcnt vmcnt(3)
	v_mad_i64_i32 v[6:7], s[10:11], v5, s45, 0
	v_lshlrev_b64 v[6:7], 1, v[6:7]
	v_add_co_u32_e32 v5, vcc, v8, v6
	v_addc_co_u32_e32 v7, vcc, v9, v7, vcc
	v_and_b32_e32 v18, 0x300, v51
	v_add_co_u32_e32 v6, vcc, v5, v18
	s_waitcnt vmcnt(2)
	v_mad_i64_i32 v[4:5], s[10:11], v4, s45, 0
	v_addc_co_u32_e32 v7, vcc, 0, v7, vcc
	v_lshlrev_b64 v[4:5], 1, v[4:5]
	v_add_co_u32_e32 v4, vcc, v8, v4
	v_addc_co_u32_e32 v5, vcc, v9, v5, vcc
	v_add_co_u32_e32 v4, vcc, v4, v18
	v_addc_co_u32_e32 v5, vcc, 0, v5, vcc
	s_barrier
	global_load_dwordx4 v[38:41], v[6:7], off
	global_load_dwordx4 v[34:37], v[6:7], off offset:1024
	global_load_dwordx4 v[30:33], v[4:5], off
	global_load_dwordx4 v[26:29], v[4:5], off offset:1024
	s_waitcnt vmcnt(5)
	v_mad_i64_i32 v[4:5], s[10:11], v3, s45, 0
	v_lshlrev_b64 v[4:5], 1, v[4:5]
	v_add_co_u32_e32 v3, vcc, v8, v4
	v_addc_co_u32_e32 v5, vcc, v9, v5, vcc
	v_add_co_u32_e32 v4, vcc, v3, v18
	s_waitcnt vmcnt(4)
	v_mad_i64_i32 v[2:3], s[10:11], v2, s45, 0
	v_addc_co_u32_e32 v5, vcc, 0, v5, vcc
	v_lshlrev_b64 v[2:3], 1, v[2:3]
	v_add_co_u32_e32 v2, vcc, v8, v2
	v_addc_co_u32_e32 v3, vcc, v9, v3, vcc
	v_add_co_u32_e32 v6, vcc, v2, v18
	v_addc_co_u32_e32 v7, vcc, 0, v3, vcc
	global_load_dwordx4 v[14:17], v[4:5], off
	global_load_dwordx4 v[10:13], v[4:5], off offset:1024
	s_nop 0
	global_load_dwordx4 v[2:5], v[6:7], off
	global_load_dwordx4 v[18:21], v[6:7], off offset:1024
	v_and_b32_e32 v6, 1, v0
	v_lshlrev_b32_e32 v6, 5, v6
	v_lshl_or_b32 v22, v1, 9, v6
	ds_read_b128 v[6:9], v22
	ds_read_b128 v[22:25], v22 offset:2048
	v_and_b32_e32 v52, 63, v0
	v_cmp_gt_u32_e32 vcc, 2, v54
	v_mov_b32_e32 v48, 0
	s_and_saveexec_b64 s[10:11], vcc
	s_cbranch_execz .LBB25_13
; %bb.12:
	s_load_dwordx2 s[12:13], s[4:5], 0x40
	v_or_b32_e32 v42, s29, v54
	v_ashrrev_i32_e32 v43, 31, v42
	v_lshlrev_b64 v[42:43], 2, v[42:43]
	s_waitcnt lgkmcnt(0)
	v_mov_b32_e32 v44, s13
	v_add_co_u32_e32 v42, vcc, s12, v42
	v_addc_co_u32_e32 v43, vcc, v44, v43, vcc
	global_load_dword v48, v[42:43], off
.LBB25_13:
	s_or_b64 exec, exec, s[10:11]
	s_waitcnt vmcnt(7) lgkmcnt(1)
	v_mfma_f32_16x16x16f16 v[42:45], v[38:39], v[6:7], 0
	s_load_dword s10, s[4:5], 0x1c
	s_add_u32 s2, s2, s8
	v_lshlrev_b32_e32 v55, 5, v54
	s_addc_u32 s3, s3, s9
	s_mov_b32 s42, 0xff7fffff
	v_mfma_f32_16x16x16f16 v[38:41], v[40:41], v[8:9], v[42:45]
	s_waitcnt vmcnt(6) lgkmcnt(0)
	v_mfma_f32_16x16x16f16 v[38:41], v[34:35], v[22:23], v[38:41]
	s_nop 4
	v_and_or_b32 v44, v0, 48, s14
	v_mov_b32_e32 v45, s17
	v_cmp_gt_i32_e32 vcc, s33, v44
	v_mfma_f32_16x16x16f16 v[34:37], v[36:37], v[24:25], v[38:41]
	s_nop 6
	v_ashrrev_i32_e32 v38, 4, v44
	v_cndmask_b32_e32 v42, v45, v38, vcc
	s_waitcnt vmcnt(5)
	v_mfma_f32_16x16x16f16 v[38:41], v[30:31], v[6:7], 0
	v_ashrrev_i32_e32 v43, 31, v42
	v_lshlrev_b64 v[30:31], 2, v[42:43]
	v_mov_b32_e32 v42, s16
	v_add_co_u32_e32 v30, vcc, s15, v30
	v_addc_co_u32_e32 v31, vcc, v42, v31, vcc
	global_load_dword v42, v[30:31], off
	v_mfma_f32_16x16x16f16 v[30:33], v[32:33], v[8:9], v[38:41]
	s_nop 6
	v_or_b32_e32 v38, 64, v44
	v_ashrrev_i32_e32 v39, 4, v38
	v_cmp_gt_i32_e32 vcc, s33, v38
	v_cndmask_b32_e32 v38, v45, v39, vcc
	v_ashrrev_i32_e32 v39, 31, v38
	s_waitcnt vmcnt(5)
	v_mfma_f32_16x16x16f16 v[30:33], v[26:27], v[22:23], v[30:33]
	v_lshlrev_b64 v[38:39], 2, v[38:39]
	v_mov_b32_e32 v40, s16
	v_add_co_u32_e32 v26, vcc, s15, v38
	v_addc_co_u32_e32 v27, vcc, v40, v39, vcc
	global_load_dword v43, v[26:27], off
	v_or_b32_e32 v26, 0x80, v44
	v_ashrrev_i32_e32 v27, 4, v26
	v_cmp_gt_i32_e32 vcc, s33, v26
	v_cndmask_b32_e32 v38, v45, v27, vcc
	v_ashrrev_i32_e32 v39, 31, v38
	v_mfma_f32_16x16x16f16 v[26:29], v[28:29], v[24:25], v[30:33]
	s_nop 6
	v_lshlrev_b64 v[30:31], 2, v[38:39]
	v_mov_b32_e32 v32, s16
	v_add_co_u32_e32 v38, vcc, s15, v30
	v_addc_co_u32_e32 v39, vcc, v32, v31, vcc
	global_load_dword v46, v[38:39], off
	s_waitcnt vmcnt(6)
	v_mfma_f32_16x16x16f16 v[30:33], v[14:15], v[6:7], 0
	v_mfma_f32_16x16x16f16 v[14:17], v[16:17], v[8:9], v[30:33]
	s_nop 7
	s_nop 1
	v_or_b32_e32 v30, 0xc0, v44
	v_ashrrev_i32_e32 v31, 4, v30
	v_cmp_gt_i32_e32 vcc, s33, v30
	v_cndmask_b32_e32 v30, v45, v31, vcc
	v_ashrrev_i32_e32 v31, 31, v30
	v_lshlrev_b64 v[30:31], 2, v[30:31]
	v_mov_b32_e32 v32, s16
	s_waitcnt vmcnt(5)
	v_mfma_f32_16x16x16f16 v[14:17], v[10:11], v[22:23], v[14:17]
	v_add_co_u32_e32 v10, vcc, s15, v30
	v_addc_co_u32_e32 v11, vcc, v32, v31, vcc
	global_load_dword v49, v[10:11], off
	v_pk_mul_f32 v[44:45], s[10:11], v[26:27] op_sel_hi:[0,1]
	v_lshl_or_b32 v10, v53, 9, v55
	s_waitcnt vmcnt(5)
	v_mfma_f32_16x16x16f16 v[38:41], v[2:3], v[6:7], 0
	v_mov_b32_e32 v11, s3
	v_add_co_u32_e32 v60, vcc, s2, v10
	v_addc_co_u32_e32 v61, vcc, 0, v11, vcc
	s_waitcnt vmcnt(3)
	v_mad_i64_i32 v[10:11], s[2:3], v42, s45, 0
	v_mfma_f32_16x16x16f16 v[38:41], v[4:5], v[8:9], v[38:41]
	v_lshlrev_b64 v[10:11], 1, v[10:11]
	v_add_co_u32_e32 v2, vcc, v60, v10
	v_addc_co_u32_e32 v3, vcc, v61, v11, vcc
	v_mfma_f32_16x16x16f16 v[56:59], v[18:19], v[22:23], v[38:41]
	v_pk_mul_f32 v[18:19], s[10:11], v[34:35] op_sel_hi:[0,1]
	v_mfma_f32_16x16x16f16 v[30:33], v[12:13], v[24:25], v[14:17]
	s_nop 6
	global_load_dwordx4 v[14:17], v[2:3], off
	global_load_dwordx4 v[10:13], v[2:3], off offset:16
	s_waitcnt vmcnt(4)
	v_mad_i64_i32 v[2:3], s[2:3], v43, s45, 0
	v_lshlrev_b64 v[2:3], 1, v[2:3]
	v_add_co_u32_e32 v2, vcc, v60, v2
	v_mfma_f32_16x16x16f16 v[24:27], v[20:21], v[24:25], v[56:59]
	v_and_b32_e32 v20, 0xc0, v0
	v_add_u32_e32 v20, s14, v20
	v_lshl_or_b32 v20, v1, 2, v20
	v_or_b32_e32 v21, 1, v20
	v_addc_co_u32_e32 v3, vcc, v61, v3, vcc
	v_pk_mul_f32 v[38:39], s[10:11], v[32:33] op_sel_hi:[0,1]
	s_nop 4
	v_pk_mul_f32 v[34:35], s[10:11], v[26:27] op_sel_hi:[0,1]
	v_pk_mul_f32 v[40:41], s[10:11], v[30:31] op_sel_hi:[0,1]
	v_cmp_gt_i32_e64 s[30:31], s33, v20
	v_cmp_gt_i32_e64 s[34:35], s33, v21
	global_load_dwordx4 v[6:9], v[2:3], off
	s_nop 0
	global_load_dwordx4 v[2:5], v[2:3], off offset:16
	s_waitcnt vmcnt(5)
	v_mad_i64_i32 v[42:43], s[2:3], v46, s45, 0
	v_pk_mul_f32 v[46:47], s[10:11], v[36:37] op_sel_hi:[0,1]
	v_pk_mul_f32 v[36:37], s[10:11], v[24:25] op_sel_hi:[0,1]
	v_subrev_u32_e32 v24, s33, v21
	v_add_u32_e32 v26, 1, v24
	v_add_u32_e32 v27, 2, v24
	v_cvt_f32_i32_e32 v25, v24
	v_cvt_f32_i32_e32 v26, v26
	;; [unrolled: 1-line block ×3, first 2 shown]
	v_lshlrev_b64 v[42:43], 1, v[42:43]
	v_add_co_u32_e32 v22, vcc, v60, v42
	v_addc_co_u32_e32 v23, vcc, v61, v43, vcc
	v_pk_mul_f32 v[42:43], s[10:11], v[28:29] op_sel_hi:[0,1]
	v_add_u32_e32 v28, 3, v24
	v_fma_f32 v18, v48, v25, v18
	v_fmac_f32_e32 v19, v48, v26
	v_fma_f32 v46, v48, v27, v46
	v_add_u32_e32 v25, 16, v24
	v_add_u32_e32 v26, 17, v24
	;; [unrolled: 1-line block ×3, first 2 shown]
	v_cvt_f32_i32_e32 v28, v28
	v_cvt_f32_i32_e32 v25, v25
	;; [unrolled: 1-line block ×4, first 2 shown]
	v_fmac_f32_e32 v47, v48, v28
	v_add_u32_e32 v28, 19, v24
	v_fma_f32 v44, v48, v25, v44
	v_fmac_f32_e32 v45, v48, v26
	v_fma_f32 v42, v48, v27, v42
	v_add_u32_e32 v25, 32, v24
	v_add_u32_e32 v26, 33, v24
	;; [unrolled: 1-line block ×3, first 2 shown]
	v_cvt_f32_i32_e32 v28, v28
	v_cvt_f32_i32_e32 v25, v25
	;; [unrolled: 1-line block ×4, first 2 shown]
	v_fmac_f32_e32 v43, v48, v28
	v_add_u32_e32 v28, 35, v24
	v_fma_f32 v40, v48, v25, v40
	v_fmac_f32_e32 v41, v48, v26
	v_fma_f32 v38, v48, v27, v38
	v_add_u32_e32 v25, 48, v24
	v_add_u32_e32 v26, 49, v24
	;; [unrolled: 1-line block ×4, first 2 shown]
	v_cvt_f32_i32_e32 v24, v24
	v_cvt_f32_i32_e32 v25, v25
	;; [unrolled: 1-line block ×4, first 2 shown]
	v_fmac_f32_e32 v35, v48, v24
	v_mov_b32_e32 v24, 0xff7fffff
	v_fma_f32 v36, v48, v25, v36
	v_cndmask_b32_e64 v25, v24, v18, s[30:31]
	v_cndmask_b32_e64 v21, v24, v19, s[34:35]
	v_fmac_f32_e32 v37, v48, v26
	v_max3_f32 v21, v25, s42, v21
	v_or_b32_e32 v25, 2, v20
	v_or_b32_e32 v26, 3, v20
	v_cmp_gt_i32_e64 s[36:37], s33, v25
	v_cmp_gt_i32_e64 s[38:39], s33, v26
	v_cndmask_b32_e64 v25, v24, v46, s[36:37]
	v_cndmask_b32_e64 v26, v24, v47, s[38:39]
	v_max3_f32 v21, v21, v25, v26
	v_or_b32_e32 v25, 16, v20
	v_or_b32_e32 v26, 17, v20
	v_cmp_gt_i32_e64 s[24:25], s33, v25
	v_cmp_gt_i32_e64 s[26:27], s33, v26
	v_cndmask_b32_e64 v25, v24, v44, s[24:25]
	v_cndmask_b32_e64 v26, v24, v45, s[26:27]
	;; [unrolled: 7-line block ×4, first 2 shown]
	v_max3_f32 v21, v21, v25, v26
	v_or_b32_e32 v25, 34, v20
	v_or_b32_e32 v26, 35, v20
	v_fmac_f32_e32 v39, v48, v28
	v_cmp_gt_i32_e64 s[12:13], s33, v25
	v_cmp_gt_i32_e64 s[14:15], s33, v26
	v_cndmask_b32_e64 v25, v24, v38, s[12:13]
	v_cndmask_b32_e64 v26, v24, v39, s[14:15]
	v_cvt_f32_i32_e32 v27, v27
	v_max3_f32 v21, v21, v25, v26
	v_or_b32_e32 v25, 48, v20
	v_or_b32_e32 v26, 49, v20
	v_cmp_gt_i32_e64 s[8:9], s33, v25
	v_cmp_gt_i32_e64 s[10:11], s33, v26
	v_cndmask_b32_e64 v25, v24, v36, s[8:9]
	v_cndmask_b32_e64 v26, v24, v37, s[10:11]
	v_max3_f32 v21, v21, v25, v26
	v_or_b32_e32 v25, 50, v20
	v_or_b32_e32 v20, 51, v20
	v_fma_f32 v34, v48, v27, v34
	v_cmp_gt_i32_e32 vcc, s33, v25
	v_cmp_gt_i32_e64 s[2:3], s33, v20
	v_cndmask_b32_e32 v25, v24, v34, vcc
	v_cndmask_b32_e64 v20, v24, v35, s[2:3]
	v_max3_f32 v26, v21, v25, v20
	v_mbcnt_lo_u32_b32 v20, -1, 0
	v_mbcnt_hi_u32_b32 v27, -1, v20
	v_and_b32_e32 v20, 64, v27
	v_add_u32_e32 v28, 64, v20
	v_xor_b32_e32 v20, 32, v27
	v_cmp_lt_i32_e64 s[40:41], v20, v28
	v_cndmask_b32_e64 v20, v27, v20, s[40:41]
	v_lshlrev_b32_e32 v57, 2, v20
	ds_bpermute_b32 v29, v57, v26
	s_waitcnt vmcnt(4)
	v_mad_i64_i32 v[20:21], s[40:41], v49, s45, 0
	v_lshlrev_b64 v[20:21], 1, v[20:21]
	global_load_dwordx4 v[30:33], v[22:23], off
	s_nop 0
	global_load_dwordx4 v[22:25], v[22:23], off offset:16
	s_waitcnt lgkmcnt(0)
	v_max_f32_e32 v29, v29, v29
	v_max_f32_e32 v26, v26, v29
	v_xor_b32_e32 v29, 16, v27
	v_cmp_lt_i32_e64 s[40:41], v29, v28
	v_cndmask_b32_e64 v27, v27, v29, s[40:41]
	v_lshlrev_b32_e32 v59, 2, v27
	ds_bpermute_b32 v27, v59, v26
	v_add_co_u32_e64 v20, s[40:41], v60, v20
	v_addc_co_u32_e64 v21, s[40:41], v61, v21, s[40:41]
	s_waitcnt lgkmcnt(0)
	v_max_f32_e32 v27, v27, v27
	v_max_f32_e32 v56, v26, v27
	v_sub_f32_e32 v18, v18, v56
	v_mul_f32_e32 v18, 0x3fb8aa3b, v18
	v_exp_f32_e32 v48, v18
	v_sub_f32_e32 v18, v19, v56
	v_mul_f32_e32 v18, 0x3fb8aa3b, v18
	v_exp_f32_e32 v49, v18
	global_load_dwordx4 v[26:29], v[20:21], off
	s_nop 0
	global_load_dwordx4 v[18:21], v[20:21], off offset:16
	v_sub_f32_e32 v46, v46, v56
	v_mul_f32_e32 v46, 0x3fb8aa3b, v46
	v_sub_f32_e32 v47, v47, v56
	v_exp_f32_e32 v46, v46
	v_mul_f32_e32 v47, 0x3fb8aa3b, v47
	v_sub_f32_e32 v44, v44, v56
	v_exp_f32_e32 v47, v47
	v_mul_f32_e32 v44, 0x3fb8aa3b, v44
	v_sub_f32_e32 v45, v45, v56
	v_cndmask_b32_e64 v48, 0, v48, s[30:31]
	v_exp_f32_e32 v44, v44
	v_mul_f32_e32 v45, 0x3fb8aa3b, v45
	v_sub_f32_e32 v42, v42, v56
	v_add_f32_e32 v58, 0, v48
	v_cndmask_b32_e64 v49, 0, v49, s[34:35]
	v_exp_f32_e32 v45, v45
	v_mul_f32_e32 v42, 0x3fb8aa3b, v42
	v_sub_f32_e32 v43, v43, v56
	v_add_f32_e32 v58, v58, v49
	;; [unrolled: 5-line block ×10, first 2 shown]
	v_cndmask_b32_e64 v38, 0, v38, s[12:13]
	v_exp_f32_e32 v34, v34
	v_mul_f32_e32 v35, 0x3fb8aa3b, v35
	v_add_f32_e32 v58, v58, v38
	v_cndmask_b32_e64 v39, 0, v39, s[14:15]
	v_exp_f32_e32 v35, v35
	v_add_f32_e32 v58, v58, v39
	v_cndmask_b32_e64 v36, 0, v36, s[8:9]
	v_add_f32_e32 v58, v58, v36
	v_cndmask_b32_e64 v37, 0, v37, s[10:11]
	v_add_f32_e32 v58, v58, v37
	v_cndmask_b32_e32 v34, 0, v34, vcc
	v_add_f32_e32 v58, v58, v34
	v_cndmask_b32_e64 v35, 0, v35, s[2:3]
	v_add_f32_e32 v58, v58, v35
	ds_bpermute_b32 v57, v57, v58
	s_load_dword s9, s[4:5], 0x98
	v_cmp_gt_u32_e32 vcc, 16, v52
	s_waitcnt lgkmcnt(0)
	s_barrier
	v_add_f32_e32 v58, v58, v57
	ds_bpermute_b32 v59, v59, v58
	v_lshlrev_b32_e32 v57, 2, v54
	s_waitcnt lgkmcnt(0)
	s_and_saveexec_b64 s[2:3], vcc
	s_cbranch_execz .LBB25_15
; %bb.14:
	v_add_f32_e32 v54, v58, v59
	v_lshl_or_b32 v58, v53, 6, v57
	ds_write2st64_b32 v58, v56, v54 offset1:1
.LBB25_15:
	s_or_b64 exec, exec, s[2:3]
	s_load_dword s8, s[4:5], 0x94
	s_waitcnt lgkmcnt(0)
	s_barrier
	ds_read2_b32 v[58:59], v57 offset1:16
	ds_read2_b32 v[60:61], v57 offset0:32 offset1:48
	ds_read2_b32 v[62:63], v57 offset0:64 offset1:80
	s_lshl_b32 s9, s9, 1
	s_waitcnt lgkmcnt(2)
	v_max3_f32 v54, v58, s42, v59
	s_waitcnt lgkmcnt(1)
	v_max3_f32 v54, v54, v60, v61
	v_sub_f32_e32 v56, v58, v54
	v_mul_f32_e32 v56, 0x3fb8aa3b, v56
	v_exp_f32_e32 v64, v56
	v_sub_f32_e32 v56, v59, v54
	v_mul_f32_e32 v56, 0x3fb8aa3b, v56
	v_exp_f32_e32 v65, v56
	;; [unrolled: 3-line block ×3, first 2 shown]
	ds_read2_b32 v[58:59], v57 offset0:96 offset1:112
	v_sub_f32_e32 v56, v61, v54
	v_mul_f32_e32 v56, 0x3fb8aa3b, v56
	v_exp_f32_e32 v57, v56
	s_waitcnt lgkmcnt(1)
	v_fma_f32 v56, v64, v62, 0
	v_fmac_f32_e32 v56, v65, v63
	s_waitcnt lgkmcnt(0)
	v_fmac_f32_e32 v56, v60, v58
	v_fmac_f32_e32 v56, v57, v59
	v_add_f32_e32 v58, 0x358637bd, v56
	v_div_scale_f32 v59, s[2:3], v58, v58, 1.0
	v_rcp_f32_e32 v61, v59
	s_barrier
	v_fma_f32 v62, -v59, v61, 1.0
	v_fmac_f32_e32 v61, v62, v61
	v_div_scale_f32 v62, vcc, 1.0, v58, 1.0
	v_mul_f32_e32 v63, v62, v61
	v_fma_f32 v66, -v59, v63, v62
	v_fmac_f32_e32 v63, v66, v61
	v_fma_f32 v59, -v59, v63, v62
	v_div_fmas_f32 v59, v59, v61, v63
	v_cmp_eq_u32_e32 vcc, 1, v53
	v_div_fixup_f32 v58, v59, v58, 1.0
	v_cndmask_b32_e32 v59, v64, v65, vcc
	v_cmp_eq_u32_e32 vcc, 2, v53
	v_cndmask_b32_e32 v59, v59, v60, vcc
	v_cmp_eq_u32_e32 vcc, 3, v53
	v_cndmask_b32_e32 v57, v59, v57, vcc
	v_mul_f32_e32 v58, v57, v58
	v_pk_mul_f32 v[48:49], v[58:59], v[48:49] op_sel_hi:[0,1]
	v_cvt_f16_f32_e32 v48, v48
	v_cvt_f16_f32_e32 v49, v49
	v_pk_mul_f32 v[46:47], v[58:59], v[46:47] op_sel_hi:[0,1]
	v_pk_mul_f32 v[42:43], v[58:59], v[42:43] op_sel_hi:[0,1]
	;; [unrolled: 1-line block ×3, first 2 shown]
	v_cvt_f16_f32_e32 v57, v46
	v_cvt_f16_f32_e32 v47, v47
	v_pack_b32_f16 v46, v48, v49
	v_cvt_f16_f32_e32 v44, v44
	v_cvt_f16_f32_e32 v45, v45
	;; [unrolled: 1-line block ×4, first 2 shown]
	v_lshlrev_b32_e32 v48, 3, v1
	v_lshlrev_b32_e32 v42, 11, v53
	v_pack_b32_f16 v47, v57, v47
	v_or3_b32 v42, v42, v55, v48
	v_pack_b32_f16 v44, v44, v45
	v_pack_b32_f16 v45, v49, v43
	v_pk_mul_f32 v[38:39], v[58:59], v[38:39] op_sel_hi:[0,1]
	v_pk_mul_f32 v[40:41], v[58:59], v[40:41] op_sel_hi:[0,1]
	;; [unrolled: 1-line block ×4, first 2 shown]
	ds_write2st64_b64 v42, v[46:47], v[44:45] offset1:1
	v_cvt_f16_f32_e32 v40, v40
	v_cvt_f16_f32_e32 v41, v41
	;; [unrolled: 1-line block ×8, first 2 shown]
	v_pack_b32_f16 v34, v40, v41
	v_pack_b32_f16 v35, v38, v39
	;; [unrolled: 1-line block ×4, first 2 shown]
	v_cmp_gt_u32_e32 vcc, 2, v0
	ds_write2st64_b64 v42, v[34:35], v[36:37] offset0:2 offset1:3
	s_and_saveexec_b64 s[2:3], vcc
	s_cbranch_execz .LBB25_17
; %bb.16:
	v_or_b32_e32 v34, s29, v0
	v_mov_b32_e32 v35, 0
	v_mov_b32_e32 v36, s9
	v_mad_u64_u32 v[36:37], s[10:11], s6, v36, v[34:35]
	v_mov_b32_e32 v34, s28
	s_load_dwordx4 s[12:15], s[4:5], 0x58
	s_mul_i32 s7, s7, s9
	v_mad_u64_u32 v[34:35], s[10:11], v36, s8, v[34:35]
	v_add_u32_e32 v37, s7, v37
	v_mov_b32_e32 v36, v35
	v_mad_u64_u32 v[36:37], s[10:11], v37, s8, v[36:37]
	v_mov_b32_e32 v35, v36
	v_lshlrev_b64 v[34:35], 2, v[34:35]
	s_waitcnt lgkmcnt(0)
	v_mov_b32_e32 v37, s15
	v_add_co_u32_e32 v36, vcc, s14, v34
	v_addc_co_u32_e32 v37, vcc, v37, v35, vcc
	global_store_dword v[36:37], v54, off
	v_mov_b32_e32 v36, s13
	v_add_co_u32_e32 v34, vcc, s12, v34
	v_addc_co_u32_e32 v35, vcc, v36, v35, vcc
	global_store_dword v[34:35], v56, off
.LBB25_17:
	s_or_b64 exec, exec, s[2:3]
	v_lshl_or_b32 v43, v1, 9, v55
	s_waitcnt lgkmcnt(0)
	s_barrier
	ds_read_b128 v[34:37], v43
	ds_read_b128 v[38:41], v43 offset:16
	s_waitcnt vmcnt(7) lgkmcnt(1)
	v_mfma_f32_16x16x16f16 v[44:47], v[14:15], v[34:35], 0
	v_cmp_gt_u32_e32 vcc, 64, v0
	v_cmp_gt_u32_e64 s[2:3], 32, v52
	s_and_b64 s[2:3], s[2:3], vcc
	s_mov_b32 s7, 0
	s_and_b64 s[0:1], s[2:3], s[0:1]
	v_mfma_f32_16x16x16f16 v[14:17], v[16:17], v[36:37], v[44:47]
	s_waitcnt vmcnt(6) lgkmcnt(0)
	v_mfma_f32_16x16x16f16 v[14:17], v[10:11], v[38:39], v[14:17]
	v_mfma_f32_16x16x16f16 v[10:13], v[12:13], v[40:41], v[14:17]
	s_nop 7
	s_nop 1
	ds_read_b128 v[14:17], v43 offset:2048
	ds_read_b128 v[34:37], v43 offset:2064
	s_waitcnt vmcnt(5) lgkmcnt(1)
	v_mfma_f32_16x16x16f16 v[10:13], v[6:7], v[14:15], v[10:13]
	v_mfma_f32_16x16x16f16 v[6:9], v[8:9], v[16:17], v[10:13]
	s_waitcnt vmcnt(4) lgkmcnt(0)
	v_mfma_f32_16x16x16f16 v[6:9], v[2:3], v[34:35], v[6:9]
	v_mfma_f32_16x16x16f16 v[2:5], v[4:5], v[36:37], v[6:9]
	s_nop 7
	s_nop 1
	ds_read_b128 v[6:9], v43 offset:4096
	ds_read_b128 v[10:13], v43 offset:4112
	s_waitcnt vmcnt(3) lgkmcnt(1)
	v_mfma_f32_16x16x16f16 v[2:5], v[30:31], v[6:7], v[2:5]
	v_mfma_f32_16x16x16f16 v[2:5], v[32:33], v[8:9], v[2:5]
	s_waitcnt vmcnt(2) lgkmcnt(0)
	v_mfma_f32_16x16x16f16 v[2:5], v[22:23], v[10:11], v[2:5]
	v_mfma_f32_16x16x16f16 v[2:5], v[24:25], v[12:13], v[2:5]
	ds_read_b128 v[6:9], v43 offset:6144
	ds_read_b128 v[10:13], v43 offset:6160
	s_waitcnt lgkmcnt(0)
	s_barrier
	s_waitcnt vmcnt(1)
	v_mfma_f32_16x16x16f16 v[2:5], v[26:27], v[6:7], v[2:5]
	v_mfma_f32_16x16x16f16 v[2:5], v[28:29], v[8:9], v[2:5]
	s_waitcnt vmcnt(0)
	v_mfma_f32_16x16x16f16 v[2:5], v[18:19], v[10:11], v[2:5]
	v_mfma_f32_16x16x16f16 v[2:5], v[20:21], v[12:13], v[2:5]
	s_nop 7
	s_nop 2
	v_cvt_f16_f32_e32 v2, v2
	v_cvt_f16_f32_e32 v3, v3
	;; [unrolled: 1-line block ×4, first 2 shown]
	v_pack_b32_f16 v2, v2, v3
	v_pack_b32_f16 v3, v4, v5
	ds_write_b64 v42, v[2:3]
	s_waitcnt lgkmcnt(0)
	s_barrier
	s_and_saveexec_b64 s[2:3], s[0:1]
	s_cbranch_execz .LBB25_19
; %bb.18:
	s_load_dwordx2 s[0:1], s[4:5], 0x68
	s_mul_i32 s2, s9, s6
	s_lshl_b32 s4, s8, 6
	s_mul_hi_u32 s3, s2, s4
	s_mul_i32 s2, s2, s4
	s_lshl_b64 s[2:3], s[2:3], 1
	v_lshlrev_b32_e32 v0, 10, v0
	s_waitcnt lgkmcnt(0)
	s_add_u32 s2, s0, s2
	v_and_b32_e32 v0, 0x1800, v0
	v_lshlrev_b32_e32 v2, 5, v1
	v_and_b32_e32 v3, 16, v51
	s_addc_u32 s3, s1, s3
	s_lshl_b32 s6, s28, 6
	v_or3_b32 v0, v0, v2, v3
	s_lshl_b64 s[0:1], s[6:7], 1
	ds_read_b128 v[2:5], v0
	s_add_u32 s2, s2, s0
	v_or_b32_e32 v0, s29, v1
	s_addc_u32 s3, s3, s1
	v_mad_u64_u32 v[0:1], s[0:1], s4, v0, 0
	v_lshlrev_b64 v[0:1], 1, v[0:1]
	v_mov_b32_e32 v6, s3
	v_add_co_u32_e32 v0, vcc, s2, v0
	v_addc_co_u32_e32 v1, vcc, v6, v1, vcc
	v_add_co_u32_e32 v0, vcc, v0, v50
	v_addc_co_u32_e32 v1, vcc, 0, v1, vcc
	s_waitcnt lgkmcnt(0)
	global_store_dwordx4 v[0:1], v[2:5], off
.LBB25_19:
	s_endpgm
	.section	.rodata,"a",@progbits
	.p2align	6, 0x0
	.amdhsa_kernel _Z39paged_attention_ll4mi_QKV_mfma16_kernelIDF16_DF16_LN4vllm18Fp8KVCacheDataTypeE0EDF16_Li16ELi64ELi256ELb1ELi2EL8MFMAType0EEvPKT_PKT0_S8_ifPKiSA_SA_iPKfiiiPfSD_PS3_PT2_iSC_SC_
		.amdhsa_group_segment_fixed_size 8192
		.amdhsa_private_segment_fixed_size 0
		.amdhsa_kernarg_size 400
		.amdhsa_user_sgpr_count 6
		.amdhsa_user_sgpr_private_segment_buffer 1
		.amdhsa_user_sgpr_dispatch_ptr 0
		.amdhsa_user_sgpr_queue_ptr 0
		.amdhsa_user_sgpr_kernarg_segment_ptr 1
		.amdhsa_user_sgpr_dispatch_id 0
		.amdhsa_user_sgpr_flat_scratch_init 0
		.amdhsa_user_sgpr_kernarg_preload_length 0
		.amdhsa_user_sgpr_kernarg_preload_offset 0
		.amdhsa_user_sgpr_private_segment_size 0
		.amdhsa_uses_dynamic_stack 0
		.amdhsa_system_sgpr_private_segment_wavefront_offset 0
		.amdhsa_system_sgpr_workgroup_id_x 1
		.amdhsa_system_sgpr_workgroup_id_y 1
		.amdhsa_system_sgpr_workgroup_id_z 1
		.amdhsa_system_sgpr_workgroup_info 0
		.amdhsa_system_vgpr_workitem_id 0
		.amdhsa_next_free_vgpr 67
		.amdhsa_next_free_sgpr 48
		.amdhsa_accum_offset 68
		.amdhsa_reserve_vcc 1
		.amdhsa_reserve_flat_scratch 0
		.amdhsa_float_round_mode_32 0
		.amdhsa_float_round_mode_16_64 0
		.amdhsa_float_denorm_mode_32 3
		.amdhsa_float_denorm_mode_16_64 3
		.amdhsa_dx10_clamp 1
		.amdhsa_ieee_mode 1
		.amdhsa_fp16_overflow 0
		.amdhsa_tg_split 0
		.amdhsa_exception_fp_ieee_invalid_op 0
		.amdhsa_exception_fp_denorm_src 0
		.amdhsa_exception_fp_ieee_div_zero 0
		.amdhsa_exception_fp_ieee_overflow 0
		.amdhsa_exception_fp_ieee_underflow 0
		.amdhsa_exception_fp_ieee_inexact 0
		.amdhsa_exception_int_div_zero 0
	.end_amdhsa_kernel
	.section	.text._Z39paged_attention_ll4mi_QKV_mfma16_kernelIDF16_DF16_LN4vllm18Fp8KVCacheDataTypeE0EDF16_Li16ELi64ELi256ELb1ELi2EL8MFMAType0EEvPKT_PKT0_S8_ifPKiSA_SA_iPKfiiiPfSD_PS3_PT2_iSC_SC_,"axG",@progbits,_Z39paged_attention_ll4mi_QKV_mfma16_kernelIDF16_DF16_LN4vllm18Fp8KVCacheDataTypeE0EDF16_Li16ELi64ELi256ELb1ELi2EL8MFMAType0EEvPKT_PKT0_S8_ifPKiSA_SA_iPKfiiiPfSD_PS3_PT2_iSC_SC_,comdat
.Lfunc_end25:
	.size	_Z39paged_attention_ll4mi_QKV_mfma16_kernelIDF16_DF16_LN4vllm18Fp8KVCacheDataTypeE0EDF16_Li16ELi64ELi256ELb1ELi2EL8MFMAType0EEvPKT_PKT0_S8_ifPKiSA_SA_iPKfiiiPfSD_PS3_PT2_iSC_SC_, .Lfunc_end25-_Z39paged_attention_ll4mi_QKV_mfma16_kernelIDF16_DF16_LN4vllm18Fp8KVCacheDataTypeE0EDF16_Li16ELi64ELi256ELb1ELi2EL8MFMAType0EEvPKT_PKT0_S8_ifPKiSA_SA_iPKfiiiPfSD_PS3_PT2_iSC_SC_
                                        ; -- End function
	.section	.AMDGPU.csdata,"",@progbits
; Kernel info:
; codeLenInByte = 4208
; NumSgprs: 52
; NumVgprs: 67
; NumAgprs: 0
; TotalNumVgprs: 67
; ScratchSize: 0
; MemoryBound: 0
; FloatMode: 240
; IeeeMode: 1
; LDSByteSize: 8192 bytes/workgroup (compile time only)
; SGPRBlocks: 6
; VGPRBlocks: 8
; NumSGPRsForWavesPerEU: 52
; NumVGPRsForWavesPerEU: 67
; AccumOffset: 68
; Occupancy: 7
; WaveLimiterHint : 1
; COMPUTE_PGM_RSRC2:SCRATCH_EN: 0
; COMPUTE_PGM_RSRC2:USER_SGPR: 6
; COMPUTE_PGM_RSRC2:TRAP_HANDLER: 0
; COMPUTE_PGM_RSRC2:TGID_X_EN: 1
; COMPUTE_PGM_RSRC2:TGID_Y_EN: 1
; COMPUTE_PGM_RSRC2:TGID_Z_EN: 1
; COMPUTE_PGM_RSRC2:TIDIG_COMP_CNT: 0
; COMPUTE_PGM_RSRC3_GFX90A:ACCUM_OFFSET: 16
; COMPUTE_PGM_RSRC3_GFX90A:TG_SPLIT: 0
	.section	.text._Z39paged_attention_ll4mi_QKV_mfma16_kernelIDF16_DF16_LN4vllm18Fp8KVCacheDataTypeE0EDF16_Li16ELi64ELi256ELb1ELi3EL8MFMAType0EEvPKT_PKT0_S8_ifPKiSA_SA_iPKfiiiPfSD_PS3_PT2_iSC_SC_,"axG",@progbits,_Z39paged_attention_ll4mi_QKV_mfma16_kernelIDF16_DF16_LN4vllm18Fp8KVCacheDataTypeE0EDF16_Li16ELi64ELi256ELb1ELi3EL8MFMAType0EEvPKT_PKT0_S8_ifPKiSA_SA_iPKfiiiPfSD_PS3_PT2_iSC_SC_,comdat
	.protected	_Z39paged_attention_ll4mi_QKV_mfma16_kernelIDF16_DF16_LN4vllm18Fp8KVCacheDataTypeE0EDF16_Li16ELi64ELi256ELb1ELi3EL8MFMAType0EEvPKT_PKT0_S8_ifPKiSA_SA_iPKfiiiPfSD_PS3_PT2_iSC_SC_ ; -- Begin function _Z39paged_attention_ll4mi_QKV_mfma16_kernelIDF16_DF16_LN4vllm18Fp8KVCacheDataTypeE0EDF16_Li16ELi64ELi256ELb1ELi3EL8MFMAType0EEvPKT_PKT0_S8_ifPKiSA_SA_iPKfiiiPfSD_PS3_PT2_iSC_SC_
	.globl	_Z39paged_attention_ll4mi_QKV_mfma16_kernelIDF16_DF16_LN4vllm18Fp8KVCacheDataTypeE0EDF16_Li16ELi64ELi256ELb1ELi3EL8MFMAType0EEvPKT_PKT0_S8_ifPKiSA_SA_iPKfiiiPfSD_PS3_PT2_iSC_SC_
	.p2align	8
	.type	_Z39paged_attention_ll4mi_QKV_mfma16_kernelIDF16_DF16_LN4vllm18Fp8KVCacheDataTypeE0EDF16_Li16ELi64ELi256ELb1ELi3EL8MFMAType0EEvPKT_PKT0_S8_ifPKiSA_SA_iPKfiiiPfSD_PS3_PT2_iSC_SC_,@function
_Z39paged_attention_ll4mi_QKV_mfma16_kernelIDF16_DF16_LN4vllm18Fp8KVCacheDataTypeE0EDF16_Li16ELi64ELi256ELb1ELi3EL8MFMAType0EEvPKT_PKT0_S8_ifPKiSA_SA_iPKfiiiPfSD_PS3_PT2_iSC_SC_: ; @_Z39paged_attention_ll4mi_QKV_mfma16_kernelIDF16_DF16_LN4vllm18Fp8KVCacheDataTypeE0EDF16_Li16ELi64ELi256ELb1ELi3EL8MFMAType0EEvPKT_PKT0_S8_ifPKiSA_SA_iPKfiiiPfSD_PS3_PT2_iSC_SC_
; %bb.0:
	s_load_dwordx2 s[0:1], s[4:5], 0x30
	s_mov_b32 s28, s7
	s_mov_b64 s[10:11], 0
	s_waitcnt lgkmcnt(0)
	s_cmp_lg_u64 s[0:1], 0
	s_cselect_b64 s[2:3], -1, 0
	s_and_b64 vcc, exec, s[2:3]
	s_cbranch_vccz .LBB26_7
; %bb.1:
	s_add_i32 s12, s6, 1
	s_mov_b32 s13, 0
	s_lshl_b64 s[14:15], s[12:13], 2
	s_add_u32 s14, s0, s14
	s_mov_b32 s7, s13
	s_addc_u32 s15, s1, s15
	s_lshl_b64 s[12:13], s[6:7], 2
	s_add_u32 s12, s0, s12
	s_addc_u32 s13, s1, s13
	s_load_dword s9, s[14:15], 0x0
	s_load_dword s16, s[12:13], 0x0
	s_waitcnt lgkmcnt(0)
	s_sub_i32 s9, s9, s16
	s_cmp_eq_u32 s9, 1
	s_cselect_b64 s[12:13], -1, 0
	s_andn2_b64 vcc, exec, s[10:11]
	s_cbranch_vccnz .LBB26_3
.LBB26_2:
	s_mov_b32 s7, 0
	s_mov_b64 s[12:13], -1
.LBB26_3:
	s_andn2_b64 vcc, exec, s[12:13]
	s_cbranch_vccnz .LBB26_19
; %bb.4:
	s_load_dwordx2 s[12:13], s[4:5], 0x28
	s_lshl_b64 s[10:11], s[6:7], 2
	s_waitcnt lgkmcnt(0)
	s_add_u32 s12, s12, s10
	s_addc_u32 s13, s13, s11
	s_load_dword s33, s[12:13], 0x0
	s_lshl_b32 s14, s28, 8
	s_waitcnt lgkmcnt(0)
	s_cmp_ge_i32 s14, s33
	s_cbranch_scc1 .LBB26_19
; %bb.5:
	s_add_i32 s15, s33, 15
	s_load_dwordx2 s[12:13], s[4:5], 0x20
	s_load_dword s9, s[4:5], 0x38
	s_ashr_i32 s16, s15, 31
	v_and_b32_e32 v1, 0xcf, v0
	s_lshr_b32 s16, s16, 28
	v_add_u32_e32 v1, s14, v1
	s_add_i32 s15, s15, s16
	v_ashrrev_i32_e32 v2, 31, v1
	s_ashr_i32 s17, s15, 4
	v_lshrrev_b32_e32 v4, 28, v2
	s_add_i32 s17, s17, -1
	v_add_u32_e32 v2, v1, v4
	s_waitcnt lgkmcnt(0)
	s_mul_i32 s18, s6, s9
	s_mov_b32 s19, 0
	v_ashrrev_i32_e32 v2, 4, v2
	v_mov_b32_e32 v5, s17
	v_cmp_gt_i32_e32 vcc, s33, v1
	s_lshl_b64 s[18:19], s[18:19], 2
	v_cndmask_b32_e32 v2, v5, v2, vcc
	s_add_u32 s15, s12, s18
	v_ashrrev_i32_e32 v3, 31, v2
	s_addc_u32 s16, s13, s19
	v_lshlrev_b64 v[2:3], 2, v[2:3]
	v_mov_b32_e32 v7, s16
	v_add_co_u32_e32 v6, vcc, s15, v2
	v_or_b32_e32 v2, 16, v1
	v_addc_co_u32_e32 v7, vcc, v7, v3, vcc
	v_add_u32_e32 v3, v2, v4
	v_ashrrev_i32_e32 v3, 4, v3
	v_cmp_gt_i32_e32 vcc, s33, v2
	v_cndmask_b32_e32 v2, v5, v3, vcc
	v_ashrrev_i32_e32 v3, 31, v2
	v_lshlrev_b64 v[2:3], 2, v[2:3]
	v_mov_b32_e32 v9, s16
	v_add_co_u32_e32 v8, vcc, s15, v2
	v_or_b32_e32 v2, 32, v1
	v_addc_co_u32_e32 v9, vcc, v9, v3, vcc
	v_add_u32_e32 v3, v2, v4
	v_ashrrev_i32_e32 v3, 4, v3
	v_cmp_gt_i32_e32 vcc, s33, v2
	v_cndmask_b32_e32 v2, v5, v3, vcc
	v_ashrrev_i32_e32 v3, 31, v2
	v_lshlrev_b64 v[2:3], 2, v[2:3]
	v_mov_b32_e32 v11, s16
	v_add_co_u32_e32 v10, vcc, s15, v2
	v_or_b32_e32 v1, 48, v1
	v_addc_co_u32_e32 v11, vcc, v11, v3, vcc
	v_add_u32_e32 v2, v1, v4
	v_ashrrev_i32_e32 v2, 4, v2
	v_cmp_gt_i32_e32 vcc, s33, v1
	v_cndmask_b32_e32 v2, v5, v2, vcc
	v_ashrrev_i32_e32 v3, 31, v2
	v_lshlrev_b64 v[2:3], 2, v[2:3]
	v_mov_b32_e32 v1, s16
	v_add_co_u32_e32 v12, vcc, s15, v2
	v_addc_co_u32_e32 v13, vcc, v1, v3, vcc
	global_load_dword v5, v[6:7], off
	global_load_dword v4, v[8:9], off
	;; [unrolled: 1-line block ×4, first 2 shown]
	s_load_dwordx2 s[12:13], s[4:5], 0x8
	s_andn2_b64 vcc, exec, s[2:3]
	s_cbranch_vccnz .LBB26_8
; %bb.6:
	s_add_u32 s0, s0, s10
	s_addc_u32 s1, s1, s11
	s_load_dword s9, s[0:1], 0x0
	s_branch .LBB26_9
.LBB26_7:
	s_mov_b64 s[12:13], 0
	s_branch .LBB26_2
.LBB26_8:
	s_mov_b32 s9, s6
.LBB26_9:
	s_load_dwordx2 s[2:3], s[4:5], 0x10
	s_load_dwordx4 s[44:47], s[4:5], 0x48
	v_lshrrev_b32_e32 v54, 6, v0
	v_bfe_u32 v51, v0, 4, 2
	v_lshl_or_b32 v6, v54, 2, v51
	v_and_b32_e32 v53, 15, v0
	s_mul_i32 s29, s8, 3
	v_lshlrev_b32_e32 v7, 3, v53
	v_cmp_gt_u32_e32 vcc, 3, v6
	v_cmp_gt_u32_e64 s[0:1], 8, v53
	v_add_u32_e32 v1, s29, v51
	s_and_b64 s[18:19], s[0:1], vcc
	v_lshlrev_b32_e32 v50, 1, v7
	s_and_saveexec_b64 s[10:11], s[18:19]
	s_cbranch_execz .LBB26_11
; %bb.10:
	s_load_dwordx2 s[18:19], s[4:5], 0x0
	s_waitcnt lgkmcnt(0)
	s_ashr_i32 s20, s44, 31
	s_mul_hi_u32 s21, s9, s44
	s_mul_i32 s20, s9, s20
	s_add_i32 s21, s21, s20
	s_mul_i32 s20, s9, s44
	s_lshl_b64 s[20:21], s[20:21], 1
	v_lshlrev_b32_e32 v8, 6, v1
	s_add_u32 s9, s18, s20
	v_ashrrev_i32_e32 v9, 31, v8
	s_addc_u32 s18, s19, s21
	v_lshlrev_b64 v[8:9], 1, v[8:9]
	v_mov_b32_e32 v7, s18
	v_add_co_u32_e32 v8, vcc, s9, v8
	v_addc_co_u32_e32 v7, vcc, v7, v9, vcc
	v_add_co_u32_e32 v8, vcc, v8, v50
	v_addc_co_u32_e32 v9, vcc, 0, v7, vcc
	global_load_dwordx4 v[8:11], v[8:9], off
	v_and_b32_e32 v7, 3, v0
	v_lshlrev_b32_e32 v12, 9, v53
	v_lshlrev_b32_e32 v6, 5, v6
	;; [unrolled: 1-line block ×3, first 2 shown]
	v_and_b32_e32 v12, 0x1800, v12
	v_or3_b32 v6, v12, v7, v6
	s_waitcnt vmcnt(0)
	ds_write_b128 v6, v[8:11]
.LBB26_11:
	s_or_b64 exec, exec, s[10:11]
	s_waitcnt lgkmcnt(0)
	s_mul_i32 s8, s8, s46
	s_mov_b32 s9, 0
	s_lshl_b64 s[8:9], s[8:9], 1
	s_add_u32 s10, s12, s8
	v_lshlrev_b32_e32 v52, 4, v0
	s_addc_u32 s11, s13, s9
	v_and_b32_e32 v6, 0xf0, v52
	v_mov_b32_e32 v7, s11
	v_add_co_u32_e32 v18, vcc, s10, v6
	v_addc_co_u32_e32 v19, vcc, 0, v7, vcc
	s_waitcnt vmcnt(3)
	v_mad_i64_i32 v[6:7], s[10:11], v5, s45, 0
	v_lshlrev_b64 v[6:7], 1, v[6:7]
	v_add_co_u32_e32 v5, vcc, v18, v6
	v_addc_co_u32_e32 v7, vcc, v19, v7, vcc
	v_and_b32_e32 v20, 0x300, v52
	v_add_co_u32_e32 v6, vcc, v5, v20
	s_waitcnt vmcnt(2)
	v_mad_i64_i32 v[4:5], s[10:11], v4, s45, 0
	v_addc_co_u32_e32 v7, vcc, 0, v7, vcc
	v_lshlrev_b64 v[4:5], 1, v[4:5]
	v_add_co_u32_e32 v4, vcc, v18, v4
	v_addc_co_u32_e32 v5, vcc, v19, v5, vcc
	v_add_co_u32_e32 v4, vcc, v4, v20
	v_addc_co_u32_e32 v5, vcc, 0, v5, vcc
	s_barrier
	global_load_dwordx4 v[38:41], v[6:7], off
	global_load_dwordx4 v[34:37], v[6:7], off offset:1024
	global_load_dwordx4 v[30:33], v[4:5], off
	global_load_dwordx4 v[14:17], v[4:5], off offset:1024
	s_waitcnt vmcnt(5)
	v_mad_i64_i32 v[4:5], s[10:11], v3, s45, 0
	v_lshlrev_b64 v[4:5], 1, v[4:5]
	v_add_co_u32_e32 v3, vcc, v18, v4
	v_addc_co_u32_e32 v5, vcc, v19, v5, vcc
	v_add_co_u32_e32 v4, vcc, v3, v20
	s_waitcnt vmcnt(4)
	v_mad_i64_i32 v[2:3], s[10:11], v2, s45, 0
	v_addc_co_u32_e32 v5, vcc, 0, v5, vcc
	v_lshlrev_b64 v[2:3], 1, v[2:3]
	v_add_co_u32_e32 v2, vcc, v18, v2
	v_addc_co_u32_e32 v3, vcc, v19, v3, vcc
	v_add_co_u32_e32 v22, vcc, v2, v20
	v_addc_co_u32_e32 v23, vcc, 0, v3, vcc
	global_load_dwordx4 v[10:13], v[4:5], off
	global_load_dwordx4 v[6:9], v[4:5], off offset:1024
	s_nop 0
	global_load_dwordx4 v[2:5], v[22:23], off
	global_load_dwordx4 v[18:21], v[22:23], off offset:1024
	v_mul_lo_u16_e32 v22, 0x56, v53
	v_mov_b32_e32 v23, 3
	v_mul_lo_u16_sdwa v22, v22, v23 dst_sel:DWORD dst_unused:UNUSED_PAD src0_sel:BYTE_1 src1_sel:DWORD
	v_sub_u16_e32 v22, v53, v22
	v_mov_b32_e32 v23, 5
	v_lshlrev_b32_sdwa v22, v23, v22 dst_sel:DWORD dst_unused:UNUSED_PAD src0_sel:DWORD src1_sel:BYTE_0
	v_lshl_add_u32 v22, v51, 9, v22
	ds_read_b128 v[26:29], v22
	ds_read_b128 v[22:25], v22 offset:2048
	v_and_b32_e32 v55, 63, v0
	v_cmp_gt_u32_e32 vcc, 3, v53
	v_mov_b32_e32 v48, 0
	s_and_saveexec_b64 s[10:11], vcc
	s_cbranch_execz .LBB26_13
; %bb.12:
	s_load_dwordx2 s[12:13], s[4:5], 0x40
	v_add_u32_e32 v42, s29, v53
	v_ashrrev_i32_e32 v43, 31, v42
	v_lshlrev_b64 v[42:43], 2, v[42:43]
	s_waitcnt lgkmcnt(0)
	v_mov_b32_e32 v44, s13
	v_add_co_u32_e32 v42, vcc, s12, v42
	v_addc_co_u32_e32 v43, vcc, v44, v43, vcc
	global_load_dword v48, v[42:43], off
.LBB26_13:
	s_or_b64 exec, exec, s[10:11]
	s_waitcnt vmcnt(7) lgkmcnt(1)
	v_mfma_f32_16x16x16f16 v[42:45], v[38:39], v[26:27], 0
	s_add_u32 s2, s2, s8
	v_lshlrev_b32_e32 v56, 5, v53
	s_addc_u32 s3, s3, s9
	s_load_dword s10, s[4:5], 0x1c
	s_mov_b32 s42, 0xff7fffff
	v_mfma_f32_16x16x16f16 v[38:41], v[40:41], v[28:29], v[42:45]
	s_waitcnt vmcnt(6) lgkmcnt(0)
	v_mfma_f32_16x16x16f16 v[38:41], v[34:35], v[22:23], v[38:41]
	s_nop 4
	v_and_or_b32 v44, v0, 48, s14
	v_mov_b32_e32 v45, s17
	v_cmp_gt_i32_e32 vcc, s33, v44
	v_mfma_f32_16x16x16f16 v[34:37], v[36:37], v[24:25], v[38:41]
	s_nop 6
	v_ashrrev_i32_e32 v38, 4, v44
	v_cndmask_b32_e32 v42, v45, v38, vcc
	v_ashrrev_i32_e32 v43, 31, v42
	s_waitcnt vmcnt(5)
	v_mfma_f32_16x16x16f16 v[38:41], v[30:31], v[26:27], 0
	v_lshlrev_b64 v[30:31], 2, v[42:43]
	v_mov_b32_e32 v42, s16
	v_add_co_u32_e32 v30, vcc, s15, v30
	v_addc_co_u32_e32 v31, vcc, v42, v31, vcc
	global_load_dword v42, v[30:31], off
	v_mfma_f32_16x16x16f16 v[30:33], v[32:33], v[28:29], v[38:41]
	v_pk_mul_f32 v[46:47], s[10:11], v[36:37] op_sel_hi:[0,1]
	s_nop 5
	v_or_b32_e32 v38, 64, v44
	v_ashrrev_i32_e32 v39, 4, v38
	v_cmp_gt_i32_e32 vcc, s33, v38
	v_cndmask_b32_e32 v38, v45, v39, vcc
	v_ashrrev_i32_e32 v39, 31, v38
	v_lshlrev_b64 v[38:39], 2, v[38:39]
	s_waitcnt vmcnt(5)
	v_mfma_f32_16x16x16f16 v[30:33], v[14:15], v[22:23], v[30:33]
	v_mov_b32_e32 v40, s16
	v_add_co_u32_e32 v14, vcc, s15, v38
	v_addc_co_u32_e32 v15, vcc, v40, v39, vcc
	global_load_dword v40, v[14:15], off
	v_or_b32_e32 v14, 0x80, v44
	v_ashrrev_i32_e32 v15, 4, v14
	v_cmp_gt_i32_e32 vcc, s33, v14
	v_cndmask_b32_e32 v14, v45, v15, vcc
	v_ashrrev_i32_e32 v15, 31, v14
	v_lshlrev_b64 v[14:15], 2, v[14:15]
	v_mfma_f32_16x16x16f16 v[30:33], v[16:17], v[24:25], v[30:33]
	v_mov_b32_e32 v16, s16
	v_add_co_u32_e32 v38, vcc, s15, v14
	v_addc_co_u32_e32 v39, vcc, v16, v15, vcc
	global_load_dword v38, v[38:39], off
	s_waitcnt vmcnt(6)
	v_mfma_f32_16x16x16f16 v[14:17], v[10:11], v[26:27], 0
	v_mfma_f32_16x16x16f16 v[10:13], v[12:13], v[28:29], v[14:17]
	s_nop 7
	s_nop 1
	v_or_b32_e32 v14, 0xc0, v44
	v_ashrrev_i32_e32 v15, 4, v14
	v_cmp_gt_i32_e32 vcc, s33, v14
	v_cndmask_b32_e32 v14, v45, v15, vcc
	s_waitcnt vmcnt(5)
	v_mfma_f32_16x16x16f16 v[10:13], v[6:7], v[22:23], v[10:13]
	v_ashrrev_i32_e32 v15, 31, v14
	v_lshlrev_b64 v[14:15], 2, v[14:15]
	v_mov_b32_e32 v16, s16
	v_add_co_u32_e32 v6, vcc, s15, v14
	v_addc_co_u32_e32 v7, vcc, v16, v15, vcc
	global_load_dword v49, v[6:7], off
	v_lshl_or_b32 v6, v54, 9, v56
	v_mov_b32_e32 v7, s3
	v_add_co_u32_e32 v57, vcc, s2, v6
	v_addc_co_u32_e32 v62, vcc, 0, v7, vcc
	v_mfma_f32_16x16x16f16 v[58:61], v[8:9], v[24:25], v[10:13]
	v_pk_mul_f32 v[44:45], s[10:11], v[30:31] op_sel_hi:[0,1]
	s_waitcnt vmcnt(3)
	v_mad_i64_i32 v[6:7], s[2:3], v42, s45, 0
	s_nop 3
	v_lshlrev_b64 v[10:11], 1, v[6:7]
	v_mfma_f32_16x16x16f16 v[6:9], v[2:3], v[26:27], 0
	v_add_co_u32_e32 v2, vcc, v57, v10
	v_addc_co_u32_e32 v3, vcc, v62, v11, vcc
	global_load_dwordx4 v[14:17], v[2:3], off
	global_load_dwordx4 v[10:13], v[2:3], off offset:16
	v_pk_mul_f32 v[42:43], s[10:11], v[32:33] op_sel_hi:[0,1]
	s_waitcnt vmcnt(4)
	v_mad_i64_i32 v[2:3], s[2:3], v40, s45, 0
	v_mfma_f32_16x16x16f16 v[26:29], v[4:5], v[28:29], v[6:9]
	v_lshlrev_b64 v[2:3], 1, v[2:3]
	v_add_co_u32_e32 v2, vcc, v57, v2
	v_addc_co_u32_e32 v3, vcc, v62, v3, vcc
	v_pk_mul_f32 v[40:41], s[10:11], v[58:59] op_sel_hi:[0,1]
	s_nop 2
	global_load_dwordx4 v[6:9], v[2:3], off
	s_nop 0
	global_load_dwordx4 v[2:5], v[2:3], off offset:16
	v_mfma_f32_16x16x16f16 v[26:29], v[18:19], v[22:23], v[26:29]
	v_pk_mul_f32 v[18:19], s[10:11], v[34:35] op_sel_hi:[0,1]
	s_waitcnt vmcnt(5)
	v_mad_i64_i32 v[38:39], s[2:3], v38, s45, 0
	v_lshlrev_b64 v[38:39], 1, v[38:39]
	v_add_co_u32_e32 v22, vcc, v57, v38
	v_mfma_f32_16x16x16f16 v[24:27], v[20:21], v[24:25], v[26:29]
	v_and_b32_e32 v20, 0xc0, v0
	v_add_u32_e32 v20, s14, v20
	v_lshl_or_b32 v20, v51, 2, v20
	v_or_b32_e32 v21, 1, v20
	v_addc_co_u32_e32 v23, vcc, v62, v39, vcc
	v_pk_mul_f32 v[38:39], s[10:11], v[60:61] op_sel_hi:[0,1]
	s_nop 4
	v_pk_mul_f32 v[36:37], s[10:11], v[24:25] op_sel_hi:[0,1]
	v_subrev_u32_e32 v24, s33, v21
	v_pk_mul_f32 v[34:35], s[10:11], v[26:27] op_sel_hi:[0,1]
	v_add_u32_e32 v26, 1, v24
	v_add_u32_e32 v27, 2, v24
	v_cvt_f32_i32_e32 v25, v24
	v_cvt_f32_i32_e32 v26, v26
	;; [unrolled: 1-line block ×3, first 2 shown]
	v_add_u32_e32 v28, 3, v24
	v_fma_f32 v18, v48, v25, v18
	v_fmac_f32_e32 v19, v48, v26
	v_fma_f32 v46, v48, v27, v46
	v_add_u32_e32 v25, 16, v24
	v_add_u32_e32 v26, 17, v24
	;; [unrolled: 1-line block ×3, first 2 shown]
	v_cvt_f32_i32_e32 v28, v28
	v_cvt_f32_i32_e32 v25, v25
	;; [unrolled: 1-line block ×4, first 2 shown]
	v_fmac_f32_e32 v47, v48, v28
	v_add_u32_e32 v28, 19, v24
	v_fma_f32 v44, v48, v25, v44
	v_fmac_f32_e32 v45, v48, v26
	v_fma_f32 v42, v48, v27, v42
	v_add_u32_e32 v25, 32, v24
	v_add_u32_e32 v26, 33, v24
	;; [unrolled: 1-line block ×3, first 2 shown]
	v_cvt_f32_i32_e32 v28, v28
	v_cvt_f32_i32_e32 v25, v25
	;; [unrolled: 1-line block ×4, first 2 shown]
	v_fmac_f32_e32 v43, v48, v28
	v_add_u32_e32 v28, 35, v24
	v_fma_f32 v40, v48, v25, v40
	v_fmac_f32_e32 v41, v48, v26
	v_fma_f32 v38, v48, v27, v38
	v_add_u32_e32 v25, 48, v24
	v_add_u32_e32 v26, 49, v24
	;; [unrolled: 1-line block ×4, first 2 shown]
	v_cvt_f32_i32_e32 v24, v24
	v_cvt_f32_i32_e32 v25, v25
	;; [unrolled: 1-line block ×3, first 2 shown]
	v_cmp_gt_i32_e64 s[30:31], s33, v20
	v_fmac_f32_e32 v35, v48, v24
	v_mov_b32_e32 v24, 0xff7fffff
	v_cmp_gt_i32_e64 s[34:35], s33, v21
	v_fma_f32 v36, v48, v25, v36
	v_cndmask_b32_e64 v25, v24, v18, s[30:31]
	v_cndmask_b32_e64 v21, v24, v19, s[34:35]
	v_fmac_f32_e32 v37, v48, v26
	v_max3_f32 v21, v25, s42, v21
	v_or_b32_e32 v25, 2, v20
	v_or_b32_e32 v26, 3, v20
	v_cmp_gt_i32_e64 s[36:37], s33, v25
	v_cmp_gt_i32_e64 s[38:39], s33, v26
	v_cndmask_b32_e64 v25, v24, v46, s[36:37]
	v_cndmask_b32_e64 v26, v24, v47, s[38:39]
	v_max3_f32 v21, v21, v25, v26
	v_or_b32_e32 v25, 16, v20
	v_or_b32_e32 v26, 17, v20
	v_cmp_gt_i32_e64 s[24:25], s33, v25
	v_cmp_gt_i32_e64 s[26:27], s33, v26
	v_cndmask_b32_e64 v25, v24, v44, s[24:25]
	v_cndmask_b32_e64 v26, v24, v45, s[26:27]
	;; [unrolled: 7-line block ×3, first 2 shown]
	v_cvt_f32_i32_e32 v28, v28
	v_max3_f32 v21, v21, v25, v26
	v_or_b32_e32 v25, 32, v20
	v_or_b32_e32 v26, 33, v20
	v_cmp_gt_i32_e64 s[16:17], s33, v25
	v_cmp_gt_i32_e64 s[18:19], s33, v26
	v_cndmask_b32_e64 v25, v24, v40, s[16:17]
	v_cndmask_b32_e64 v26, v24, v41, s[18:19]
	v_max3_f32 v21, v21, v25, v26
	v_or_b32_e32 v25, 34, v20
	v_or_b32_e32 v26, 35, v20
	v_fmac_f32_e32 v39, v48, v28
	v_cmp_gt_i32_e64 s[12:13], s33, v25
	v_cmp_gt_i32_e64 s[14:15], s33, v26
	v_cndmask_b32_e64 v25, v24, v38, s[12:13]
	v_cndmask_b32_e64 v26, v24, v39, s[14:15]
	v_cvt_f32_i32_e32 v27, v27
	v_max3_f32 v21, v21, v25, v26
	v_or_b32_e32 v25, 48, v20
	v_or_b32_e32 v26, 49, v20
	v_cmp_gt_i32_e64 s[8:9], s33, v25
	v_cmp_gt_i32_e64 s[10:11], s33, v26
	v_cndmask_b32_e64 v25, v24, v36, s[8:9]
	v_cndmask_b32_e64 v26, v24, v37, s[10:11]
	v_max3_f32 v21, v21, v25, v26
	v_or_b32_e32 v25, 50, v20
	v_or_b32_e32 v20, 51, v20
	v_fma_f32 v34, v48, v27, v34
	v_cmp_gt_i32_e32 vcc, s33, v25
	v_cmp_gt_i32_e64 s[2:3], s33, v20
	v_cndmask_b32_e32 v25, v24, v34, vcc
	v_cndmask_b32_e64 v20, v24, v35, s[2:3]
	v_max3_f32 v26, v21, v25, v20
	v_mbcnt_lo_u32_b32 v20, -1, 0
	v_mbcnt_hi_u32_b32 v27, -1, v20
	v_and_b32_e32 v20, 64, v27
	v_add_u32_e32 v28, 64, v20
	v_xor_b32_e32 v20, 32, v27
	v_cmp_lt_i32_e64 s[40:41], v20, v28
	v_cndmask_b32_e64 v20, v27, v20, s[40:41]
	v_lshlrev_b32_e32 v58, 2, v20
	ds_bpermute_b32 v29, v58, v26
	s_waitcnt vmcnt(4)
	v_mad_i64_i32 v[20:21], s[40:41], v49, s45, 0
	v_lshlrev_b64 v[20:21], 1, v[20:21]
	global_load_dwordx4 v[30:33], v[22:23], off
	s_nop 0
	global_load_dwordx4 v[22:25], v[22:23], off offset:16
	s_waitcnt lgkmcnt(0)
	v_max_f32_e32 v29, v29, v29
	v_max_f32_e32 v26, v26, v29
	v_xor_b32_e32 v29, 16, v27
	v_cmp_lt_i32_e64 s[40:41], v29, v28
	v_cndmask_b32_e64 v27, v27, v29, s[40:41]
	v_lshlrev_b32_e32 v60, 2, v27
	ds_bpermute_b32 v27, v60, v26
	v_add_co_u32_e64 v20, s[40:41], v57, v20
	v_addc_co_u32_e64 v21, s[40:41], v62, v21, s[40:41]
	s_waitcnt lgkmcnt(0)
	v_max_f32_e32 v27, v27, v27
	v_max_f32_e32 v57, v26, v27
	v_sub_f32_e32 v18, v18, v57
	v_mul_f32_e32 v18, 0x3fb8aa3b, v18
	v_exp_f32_e32 v48, v18
	v_sub_f32_e32 v18, v19, v57
	v_mul_f32_e32 v18, 0x3fb8aa3b, v18
	v_exp_f32_e32 v49, v18
	global_load_dwordx4 v[26:29], v[20:21], off
	s_nop 0
	global_load_dwordx4 v[18:21], v[20:21], off offset:16
	v_sub_f32_e32 v46, v46, v57
	v_mul_f32_e32 v46, 0x3fb8aa3b, v46
	v_sub_f32_e32 v47, v47, v57
	v_exp_f32_e32 v46, v46
	v_mul_f32_e32 v47, 0x3fb8aa3b, v47
	v_sub_f32_e32 v44, v44, v57
	v_exp_f32_e32 v47, v47
	v_mul_f32_e32 v44, 0x3fb8aa3b, v44
	v_sub_f32_e32 v45, v45, v57
	v_cndmask_b32_e64 v48, 0, v48, s[30:31]
	v_exp_f32_e32 v44, v44
	v_mul_f32_e32 v45, 0x3fb8aa3b, v45
	v_sub_f32_e32 v42, v42, v57
	v_add_f32_e32 v59, 0, v48
	v_cndmask_b32_e64 v49, 0, v49, s[34:35]
	v_exp_f32_e32 v45, v45
	v_mul_f32_e32 v42, 0x3fb8aa3b, v42
	v_sub_f32_e32 v43, v43, v57
	v_add_f32_e32 v59, v59, v49
	;; [unrolled: 5-line block ×10, first 2 shown]
	v_cndmask_b32_e64 v38, 0, v38, s[12:13]
	v_exp_f32_e32 v34, v34
	v_mul_f32_e32 v35, 0x3fb8aa3b, v35
	v_add_f32_e32 v59, v59, v38
	v_cndmask_b32_e64 v39, 0, v39, s[14:15]
	v_exp_f32_e32 v35, v35
	v_add_f32_e32 v59, v59, v39
	v_cndmask_b32_e64 v36, 0, v36, s[8:9]
	v_add_f32_e32 v59, v59, v36
	v_cndmask_b32_e64 v37, 0, v37, s[10:11]
	v_add_f32_e32 v59, v59, v37
	v_cndmask_b32_e32 v34, 0, v34, vcc
	v_add_f32_e32 v59, v59, v34
	v_cndmask_b32_e64 v35, 0, v35, s[2:3]
	v_add_f32_e32 v59, v59, v35
	ds_bpermute_b32 v58, v58, v59
	s_load_dword s9, s[4:5], 0x98
	v_cmp_gt_u32_e32 vcc, 16, v55
	s_waitcnt lgkmcnt(0)
	s_barrier
	v_add_f32_e32 v59, v59, v58
	ds_bpermute_b32 v60, v60, v59
	v_lshlrev_b32_e32 v58, 2, v53
	s_waitcnt lgkmcnt(0)
	s_and_saveexec_b64 s[2:3], vcc
	s_cbranch_execz .LBB26_15
; %bb.14:
	v_add_f32_e32 v55, v59, v60
	v_lshl_or_b32 v59, v54, 6, v58
	ds_write2st64_b32 v59, v57, v55 offset1:1
.LBB26_15:
	s_or_b64 exec, exec, s[2:3]
	s_load_dword s8, s[4:5], 0x94
	s_waitcnt lgkmcnt(0)
	s_barrier
	ds_read2_b32 v[60:61], v58 offset1:16
	ds_read2_b32 v[62:63], v58 offset0:32 offset1:48
	ds_read2_b32 v[64:65], v58 offset0:64 offset1:80
	;; [unrolled: 1-line block ×3, first 2 shown]
	s_waitcnt lgkmcnt(0)
	v_max3_f32 v55, v60, s42, v61
	v_max3_f32 v55, v55, v62, v63
	v_sub_f32_e32 v57, v60, v55
	v_mul_f32_e32 v57, 0x3fb8aa3b, v57
	v_exp_f32_e32 v60, v57
	v_sub_f32_e32 v57, v61, v55
	v_mul_f32_e32 v57, 0x3fb8aa3b, v57
	v_exp_f32_e32 v61, v57
	v_sub_f32_e32 v57, v62, v55
	v_mul_f32_e32 v57, 0x3fb8aa3b, v57
	v_exp_f32_e32 v62, v57
	v_sub_f32_e32 v57, v63, v55
	v_mul_f32_e32 v57, 0x3fb8aa3b, v57
	v_exp_f32_e32 v63, v57
	v_fma_f32 v57, v60, v64, 0
	v_fmac_f32_e32 v57, v61, v65
	v_fmac_f32_e32 v57, v62, v58
	;; [unrolled: 1-line block ×3, first 2 shown]
	v_add_f32_e32 v58, 0x358637bd, v57
	v_div_scale_f32 v59, s[2:3], v58, v58, 1.0
	v_rcp_f32_e32 v64, v59
	s_barrier
	s_mul_i32 s9, s9, 3
	v_fma_f32 v65, -v59, v64, 1.0
	v_fmac_f32_e32 v64, v65, v64
	v_div_scale_f32 v65, vcc, 1.0, v58, 1.0
	v_mul_f32_e32 v66, v65, v64
	v_fma_f32 v67, -v59, v66, v65
	v_fmac_f32_e32 v66, v67, v64
	v_fma_f32 v59, -v59, v66, v65
	v_div_fmas_f32 v59, v59, v64, v66
	v_cmp_eq_u32_e32 vcc, 1, v54
	v_div_fixup_f32 v58, v59, v58, 1.0
	v_cndmask_b32_e32 v59, v60, v61, vcc
	v_cmp_eq_u32_e32 vcc, 2, v54
	v_cndmask_b32_e32 v59, v59, v62, vcc
	v_cmp_eq_u32_e32 vcc, 3, v54
	v_cndmask_b32_e32 v59, v59, v63, vcc
	v_mul_f32_e32 v58, v59, v58
	v_pk_mul_f32 v[46:47], v[58:59], v[46:47] op_sel_hi:[0,1]
	v_pk_mul_f32 v[48:49], v[58:59], v[48:49] op_sel_hi:[0,1]
	v_cvt_f16_f32_e32 v59, v46
	v_cvt_f16_f32_e32 v48, v48
	;; [unrolled: 1-line block ×4, first 2 shown]
	v_pk_mul_f32 v[42:43], v[58:59], v[42:43] op_sel_hi:[0,1]
	v_pk_mul_f32 v[44:45], v[58:59], v[44:45] op_sel_hi:[0,1]
	v_pack_b32_f16 v46, v48, v49
	v_cvt_f16_f32_e32 v44, v44
	v_cvt_f16_f32_e32 v45, v45
	;; [unrolled: 1-line block ×4, first 2 shown]
	v_lshlrev_b32_e32 v48, 3, v51
	v_lshlrev_b32_e32 v42, 11, v54
	v_pack_b32_f16 v47, v59, v47
	v_or3_b32 v42, v42, v56, v48
	v_pack_b32_f16 v44, v44, v45
	v_pack_b32_f16 v45, v49, v43
	v_pk_mul_f32 v[38:39], v[58:59], v[38:39] op_sel_hi:[0,1]
	v_pk_mul_f32 v[40:41], v[58:59], v[40:41] op_sel_hi:[0,1]
	;; [unrolled: 1-line block ×4, first 2 shown]
	ds_write2st64_b64 v42, v[46:47], v[44:45] offset1:1
	v_cvt_f16_f32_e32 v40, v40
	v_cvt_f16_f32_e32 v41, v41
	;; [unrolled: 1-line block ×8, first 2 shown]
	v_pack_b32_f16 v34, v40, v41
	v_pack_b32_f16 v35, v38, v39
	;; [unrolled: 1-line block ×4, first 2 shown]
	v_cmp_gt_u32_e32 vcc, 3, v0
	ds_write2st64_b64 v42, v[34:35], v[36:37] offset0:2 offset1:3
	s_and_saveexec_b64 s[2:3], vcc
	s_cbranch_execz .LBB26_17
; %bb.16:
	v_add_co_u32_e32 v36, vcc, s29, v53
	v_addc_co_u32_e64 v37, s[10:11], 0, 0, vcc
	v_mov_b32_e32 v34, s9
	v_mov_b32_e32 v35, 0
	v_mad_u64_u32 v[36:37], s[10:11], s6, v34, v[36:37]
	v_mov_b32_e32 v34, s28
	s_load_dwordx4 s[12:15], s[4:5], 0x58
	s_mul_i32 s7, s7, s9
	v_mad_u64_u32 v[34:35], s[10:11], v36, s8, v[34:35]
	v_add_u32_e32 v37, s7, v37
	v_mov_b32_e32 v36, v35
	v_mad_u64_u32 v[36:37], s[10:11], v37, s8, v[36:37]
	v_mov_b32_e32 v35, v36
	v_lshlrev_b64 v[34:35], 2, v[34:35]
	s_waitcnt lgkmcnt(0)
	v_mov_b32_e32 v37, s15
	v_add_co_u32_e32 v36, vcc, s14, v34
	v_addc_co_u32_e32 v37, vcc, v37, v35, vcc
	global_store_dword v[36:37], v55, off
	v_mov_b32_e32 v36, s13
	v_add_co_u32_e32 v34, vcc, s12, v34
	v_addc_co_u32_e32 v35, vcc, v36, v35, vcc
	global_store_dword v[34:35], v57, off
.LBB26_17:
	s_or_b64 exec, exec, s[2:3]
	v_lshl_or_b32 v43, v51, 9, v56
	s_waitcnt lgkmcnt(0)
	s_barrier
	ds_read_b128 v[34:37], v43
	ds_read_b128 v[38:41], v43 offset:16
	s_waitcnt vmcnt(7) lgkmcnt(1)
	v_mfma_f32_16x16x16f16 v[44:47], v[14:15], v[34:35], 0
	v_cmp_gt_u32_e32 vcc, 64, v0
	v_cmp_ne_u32_e64 s[2:3], 3, v51
	s_and_b64 s[2:3], s[2:3], vcc
	s_mov_b32 s7, 0
	s_and_b64 s[0:1], s[2:3], s[0:1]
	v_mfma_f32_16x16x16f16 v[14:17], v[16:17], v[36:37], v[44:47]
	s_waitcnt vmcnt(6) lgkmcnt(0)
	v_mfma_f32_16x16x16f16 v[14:17], v[10:11], v[38:39], v[14:17]
	v_mfma_f32_16x16x16f16 v[10:13], v[12:13], v[40:41], v[14:17]
	s_nop 7
	s_nop 1
	ds_read_b128 v[14:17], v43 offset:2048
	ds_read_b128 v[34:37], v43 offset:2064
	s_waitcnt vmcnt(5) lgkmcnt(1)
	v_mfma_f32_16x16x16f16 v[10:13], v[6:7], v[14:15], v[10:13]
	v_mfma_f32_16x16x16f16 v[6:9], v[8:9], v[16:17], v[10:13]
	s_waitcnt vmcnt(4) lgkmcnt(0)
	v_mfma_f32_16x16x16f16 v[6:9], v[2:3], v[34:35], v[6:9]
	v_mfma_f32_16x16x16f16 v[2:5], v[4:5], v[36:37], v[6:9]
	s_nop 7
	s_nop 1
	ds_read_b128 v[6:9], v43 offset:4096
	ds_read_b128 v[10:13], v43 offset:4112
	s_waitcnt vmcnt(3) lgkmcnt(1)
	v_mfma_f32_16x16x16f16 v[2:5], v[30:31], v[6:7], v[2:5]
	v_mfma_f32_16x16x16f16 v[2:5], v[32:33], v[8:9], v[2:5]
	s_waitcnt vmcnt(2) lgkmcnt(0)
	v_mfma_f32_16x16x16f16 v[2:5], v[22:23], v[10:11], v[2:5]
	v_mfma_f32_16x16x16f16 v[2:5], v[24:25], v[12:13], v[2:5]
	ds_read_b128 v[6:9], v43 offset:6144
	ds_read_b128 v[10:13], v43 offset:6160
	s_waitcnt lgkmcnt(0)
	s_barrier
	s_waitcnt vmcnt(1)
	v_mfma_f32_16x16x16f16 v[2:5], v[26:27], v[6:7], v[2:5]
	v_mfma_f32_16x16x16f16 v[2:5], v[28:29], v[8:9], v[2:5]
	s_waitcnt vmcnt(0)
	v_mfma_f32_16x16x16f16 v[2:5], v[18:19], v[10:11], v[2:5]
	v_mfma_f32_16x16x16f16 v[2:5], v[20:21], v[12:13], v[2:5]
	s_nop 7
	s_nop 2
	v_cvt_f16_f32_e32 v2, v2
	v_cvt_f16_f32_e32 v3, v3
	;; [unrolled: 1-line block ×4, first 2 shown]
	v_pack_b32_f16 v2, v2, v3
	v_pack_b32_f16 v3, v4, v5
	ds_write_b64 v42, v[2:3]
	s_waitcnt lgkmcnt(0)
	s_barrier
	s_and_saveexec_b64 s[2:3], s[0:1]
	s_cbranch_execz .LBB26_19
; %bb.18:
	s_load_dwordx2 s[0:1], s[4:5], 0x68
	s_mul_i32 s2, s9, s6
	s_lshl_b32 s4, s8, 6
	s_mul_hi_u32 s3, s2, s4
	s_mul_i32 s2, s2, s4
	s_lshl_b64 s[2:3], s[2:3], 1
	s_waitcnt lgkmcnt(0)
	s_add_u32 s2, s0, s2
	v_lshlrev_b32_e32 v0, 10, v0
	s_addc_u32 s3, s1, s3
	s_lshl_b32 s6, s28, 6
	v_and_b32_e32 v0, 0x1800, v0
	v_lshlrev_b32_e32 v2, 5, v51
	v_and_b32_e32 v3, 16, v52
	s_lshl_b64 s[0:1], s[6:7], 1
	v_or3_b32 v0, v0, v2, v3
	s_add_u32 s2, s2, s0
	ds_read_b128 v[2:5], v0
	s_addc_u32 s3, s3, s1
	v_mad_u64_u32 v[0:1], s[0:1], s4, v1, 0
	v_lshlrev_b64 v[0:1], 1, v[0:1]
	v_mov_b32_e32 v6, s3
	v_add_co_u32_e32 v0, vcc, s2, v0
	v_addc_co_u32_e32 v1, vcc, v6, v1, vcc
	v_add_co_u32_e32 v0, vcc, v0, v50
	v_addc_co_u32_e32 v1, vcc, 0, v1, vcc
	s_waitcnt lgkmcnt(0)
	global_store_dwordx4 v[0:1], v[2:5], off
.LBB26_19:
	s_endpgm
	.section	.rodata,"a",@progbits
	.p2align	6, 0x0
	.amdhsa_kernel _Z39paged_attention_ll4mi_QKV_mfma16_kernelIDF16_DF16_LN4vllm18Fp8KVCacheDataTypeE0EDF16_Li16ELi64ELi256ELb1ELi3EL8MFMAType0EEvPKT_PKT0_S8_ifPKiSA_SA_iPKfiiiPfSD_PS3_PT2_iSC_SC_
		.amdhsa_group_segment_fixed_size 8192
		.amdhsa_private_segment_fixed_size 0
		.amdhsa_kernarg_size 400
		.amdhsa_user_sgpr_count 6
		.amdhsa_user_sgpr_private_segment_buffer 1
		.amdhsa_user_sgpr_dispatch_ptr 0
		.amdhsa_user_sgpr_queue_ptr 0
		.amdhsa_user_sgpr_kernarg_segment_ptr 1
		.amdhsa_user_sgpr_dispatch_id 0
		.amdhsa_user_sgpr_flat_scratch_init 0
		.amdhsa_user_sgpr_kernarg_preload_length 0
		.amdhsa_user_sgpr_kernarg_preload_offset 0
		.amdhsa_user_sgpr_private_segment_size 0
		.amdhsa_uses_dynamic_stack 0
		.amdhsa_system_sgpr_private_segment_wavefront_offset 0
		.amdhsa_system_sgpr_workgroup_id_x 1
		.amdhsa_system_sgpr_workgroup_id_y 1
		.amdhsa_system_sgpr_workgroup_id_z 1
		.amdhsa_system_sgpr_workgroup_info 0
		.amdhsa_system_vgpr_workitem_id 0
		.amdhsa_next_free_vgpr 68
		.amdhsa_next_free_sgpr 48
		.amdhsa_accum_offset 68
		.amdhsa_reserve_vcc 1
		.amdhsa_reserve_flat_scratch 0
		.amdhsa_float_round_mode_32 0
		.amdhsa_float_round_mode_16_64 0
		.amdhsa_float_denorm_mode_32 3
		.amdhsa_float_denorm_mode_16_64 3
		.amdhsa_dx10_clamp 1
		.amdhsa_ieee_mode 1
		.amdhsa_fp16_overflow 0
		.amdhsa_tg_split 0
		.amdhsa_exception_fp_ieee_invalid_op 0
		.amdhsa_exception_fp_denorm_src 0
		.amdhsa_exception_fp_ieee_div_zero 0
		.amdhsa_exception_fp_ieee_overflow 0
		.amdhsa_exception_fp_ieee_underflow 0
		.amdhsa_exception_fp_ieee_inexact 0
		.amdhsa_exception_int_div_zero 0
	.end_amdhsa_kernel
	.section	.text._Z39paged_attention_ll4mi_QKV_mfma16_kernelIDF16_DF16_LN4vllm18Fp8KVCacheDataTypeE0EDF16_Li16ELi64ELi256ELb1ELi3EL8MFMAType0EEvPKT_PKT0_S8_ifPKiSA_SA_iPKfiiiPfSD_PS3_PT2_iSC_SC_,"axG",@progbits,_Z39paged_attention_ll4mi_QKV_mfma16_kernelIDF16_DF16_LN4vllm18Fp8KVCacheDataTypeE0EDF16_Li16ELi64ELi256ELb1ELi3EL8MFMAType0EEvPKT_PKT0_S8_ifPKiSA_SA_iPKfiiiPfSD_PS3_PT2_iSC_SC_,comdat
.Lfunc_end26:
	.size	_Z39paged_attention_ll4mi_QKV_mfma16_kernelIDF16_DF16_LN4vllm18Fp8KVCacheDataTypeE0EDF16_Li16ELi64ELi256ELb1ELi3EL8MFMAType0EEvPKT_PKT0_S8_ifPKiSA_SA_iPKfiiiPfSD_PS3_PT2_iSC_SC_, .Lfunc_end26-_Z39paged_attention_ll4mi_QKV_mfma16_kernelIDF16_DF16_LN4vllm18Fp8KVCacheDataTypeE0EDF16_Li16ELi64ELi256ELb1ELi3EL8MFMAType0EEvPKT_PKT0_S8_ifPKiSA_SA_iPKfiiiPfSD_PS3_PT2_iSC_SC_
                                        ; -- End function
	.section	.AMDGPU.csdata,"",@progbits
; Kernel info:
; codeLenInByte = 4224
; NumSgprs: 52
; NumVgprs: 68
; NumAgprs: 0
; TotalNumVgprs: 68
; ScratchSize: 0
; MemoryBound: 0
; FloatMode: 240
; IeeeMode: 1
; LDSByteSize: 8192 bytes/workgroup (compile time only)
; SGPRBlocks: 6
; VGPRBlocks: 8
; NumSGPRsForWavesPerEU: 52
; NumVGPRsForWavesPerEU: 68
; AccumOffset: 68
; Occupancy: 7
; WaveLimiterHint : 1
; COMPUTE_PGM_RSRC2:SCRATCH_EN: 0
; COMPUTE_PGM_RSRC2:USER_SGPR: 6
; COMPUTE_PGM_RSRC2:TRAP_HANDLER: 0
; COMPUTE_PGM_RSRC2:TGID_X_EN: 1
; COMPUTE_PGM_RSRC2:TGID_Y_EN: 1
; COMPUTE_PGM_RSRC2:TGID_Z_EN: 1
; COMPUTE_PGM_RSRC2:TIDIG_COMP_CNT: 0
; COMPUTE_PGM_RSRC3_GFX90A:ACCUM_OFFSET: 16
; COMPUTE_PGM_RSRC3_GFX90A:TG_SPLIT: 0
	.section	.text._Z39paged_attention_ll4mi_QKV_mfma16_kernelIDF16_DF16_LN4vllm18Fp8KVCacheDataTypeE0EDF16_Li16ELi64ELi256ELb1ELi4EL8MFMAType0EEvPKT_PKT0_S8_ifPKiSA_SA_iPKfiiiPfSD_PS3_PT2_iSC_SC_,"axG",@progbits,_Z39paged_attention_ll4mi_QKV_mfma16_kernelIDF16_DF16_LN4vllm18Fp8KVCacheDataTypeE0EDF16_Li16ELi64ELi256ELb1ELi4EL8MFMAType0EEvPKT_PKT0_S8_ifPKiSA_SA_iPKfiiiPfSD_PS3_PT2_iSC_SC_,comdat
	.protected	_Z39paged_attention_ll4mi_QKV_mfma16_kernelIDF16_DF16_LN4vllm18Fp8KVCacheDataTypeE0EDF16_Li16ELi64ELi256ELb1ELi4EL8MFMAType0EEvPKT_PKT0_S8_ifPKiSA_SA_iPKfiiiPfSD_PS3_PT2_iSC_SC_ ; -- Begin function _Z39paged_attention_ll4mi_QKV_mfma16_kernelIDF16_DF16_LN4vllm18Fp8KVCacheDataTypeE0EDF16_Li16ELi64ELi256ELb1ELi4EL8MFMAType0EEvPKT_PKT0_S8_ifPKiSA_SA_iPKfiiiPfSD_PS3_PT2_iSC_SC_
	.globl	_Z39paged_attention_ll4mi_QKV_mfma16_kernelIDF16_DF16_LN4vllm18Fp8KVCacheDataTypeE0EDF16_Li16ELi64ELi256ELb1ELi4EL8MFMAType0EEvPKT_PKT0_S8_ifPKiSA_SA_iPKfiiiPfSD_PS3_PT2_iSC_SC_
	.p2align	8
	.type	_Z39paged_attention_ll4mi_QKV_mfma16_kernelIDF16_DF16_LN4vllm18Fp8KVCacheDataTypeE0EDF16_Li16ELi64ELi256ELb1ELi4EL8MFMAType0EEvPKT_PKT0_S8_ifPKiSA_SA_iPKfiiiPfSD_PS3_PT2_iSC_SC_,@function
_Z39paged_attention_ll4mi_QKV_mfma16_kernelIDF16_DF16_LN4vllm18Fp8KVCacheDataTypeE0EDF16_Li16ELi64ELi256ELb1ELi4EL8MFMAType0EEvPKT_PKT0_S8_ifPKiSA_SA_iPKfiiiPfSD_PS3_PT2_iSC_SC_: ; @_Z39paged_attention_ll4mi_QKV_mfma16_kernelIDF16_DF16_LN4vllm18Fp8KVCacheDataTypeE0EDF16_Li16ELi64ELi256ELb1ELi4EL8MFMAType0EEvPKT_PKT0_S8_ifPKiSA_SA_iPKfiiiPfSD_PS3_PT2_iSC_SC_
; %bb.0:
	s_load_dwordx2 s[0:1], s[4:5], 0x30
	s_mov_b32 s26, s7
	s_mov_b64 s[10:11], 0
	s_waitcnt lgkmcnt(0)
	s_cmp_lg_u64 s[0:1], 0
	s_cselect_b64 s[2:3], -1, 0
	s_and_b64 vcc, exec, s[2:3]
	s_cbranch_vccz .LBB27_7
; %bb.1:
	s_add_i32 s12, s6, 1
	s_mov_b32 s13, 0
	s_lshl_b64 s[14:15], s[12:13], 2
	s_add_u32 s14, s0, s14
	s_mov_b32 s7, s13
	s_addc_u32 s15, s1, s15
	s_lshl_b64 s[12:13], s[6:7], 2
	s_add_u32 s12, s0, s12
	s_addc_u32 s13, s1, s13
	s_load_dword s9, s[14:15], 0x0
	s_load_dword s16, s[12:13], 0x0
	s_waitcnt lgkmcnt(0)
	s_sub_i32 s9, s9, s16
	s_cmp_eq_u32 s9, 1
	s_cselect_b64 s[12:13], -1, 0
	s_andn2_b64 vcc, exec, s[10:11]
	s_cbranch_vccnz .LBB27_3
.LBB27_2:
	s_mov_b32 s7, 0
	s_mov_b64 s[12:13], -1
.LBB27_3:
	s_andn2_b64 vcc, exec, s[12:13]
	s_cbranch_vccnz .LBB27_19
; %bb.4:
	s_load_dwordx2 s[12:13], s[4:5], 0x28
	s_lshl_b64 s[10:11], s[6:7], 2
	s_waitcnt lgkmcnt(0)
	s_add_u32 s12, s12, s10
	s_addc_u32 s13, s13, s11
	s_load_dword s33, s[12:13], 0x0
	s_lshl_b32 s14, s26, 8
	s_waitcnt lgkmcnt(0)
	s_cmp_ge_i32 s14, s33
	s_cbranch_scc1 .LBB27_19
; %bb.5:
	s_add_i32 s15, s33, 15
	s_load_dwordx2 s[12:13], s[4:5], 0x20
	s_load_dword s9, s[4:5], 0x38
	s_ashr_i32 s16, s15, 31
	v_and_b32_e32 v1, 0xcf, v0
	s_lshr_b32 s16, s16, 28
	v_add_u32_e32 v1, s14, v1
	s_add_i32 s15, s15, s16
	v_ashrrev_i32_e32 v2, 31, v1
	s_ashr_i32 s17, s15, 4
	v_lshrrev_b32_e32 v4, 28, v2
	s_add_i32 s17, s17, -1
	v_add_u32_e32 v2, v1, v4
	s_waitcnt lgkmcnt(0)
	s_mul_i32 s18, s6, s9
	s_mov_b32 s19, 0
	v_ashrrev_i32_e32 v2, 4, v2
	v_mov_b32_e32 v5, s17
	v_cmp_gt_i32_e32 vcc, s33, v1
	s_lshl_b64 s[18:19], s[18:19], 2
	v_cndmask_b32_e32 v2, v5, v2, vcc
	s_add_u32 s15, s12, s18
	v_ashrrev_i32_e32 v3, 31, v2
	s_addc_u32 s16, s13, s19
	v_lshlrev_b64 v[2:3], 2, v[2:3]
	v_mov_b32_e32 v7, s16
	v_add_co_u32_e32 v6, vcc, s15, v2
	v_or_b32_e32 v2, 16, v1
	v_addc_co_u32_e32 v7, vcc, v7, v3, vcc
	v_add_u32_e32 v3, v2, v4
	v_ashrrev_i32_e32 v3, 4, v3
	v_cmp_gt_i32_e32 vcc, s33, v2
	v_cndmask_b32_e32 v2, v5, v3, vcc
	v_ashrrev_i32_e32 v3, 31, v2
	v_lshlrev_b64 v[2:3], 2, v[2:3]
	v_mov_b32_e32 v9, s16
	v_add_co_u32_e32 v8, vcc, s15, v2
	v_or_b32_e32 v2, 32, v1
	v_addc_co_u32_e32 v9, vcc, v9, v3, vcc
	v_add_u32_e32 v3, v2, v4
	v_ashrrev_i32_e32 v3, 4, v3
	v_cmp_gt_i32_e32 vcc, s33, v2
	v_cndmask_b32_e32 v2, v5, v3, vcc
	v_ashrrev_i32_e32 v3, 31, v2
	;; [unrolled: 10-line block ×3, first 2 shown]
	v_lshlrev_b64 v[2:3], 2, v[2:3]
	v_mov_b32_e32 v1, s16
	v_add_co_u32_e32 v12, vcc, s15, v2
	v_addc_co_u32_e32 v13, vcc, v1, v3, vcc
	global_load_dword v5, v[6:7], off
	global_load_dword v4, v[8:9], off
	;; [unrolled: 1-line block ×4, first 2 shown]
	s_load_dwordx2 s[12:13], s[4:5], 0x8
	s_andn2_b64 vcc, exec, s[2:3]
	s_cbranch_vccnz .LBB27_8
; %bb.6:
	s_add_u32 s0, s0, s10
	s_addc_u32 s1, s1, s11
	s_load_dword s9, s[0:1], 0x0
	s_branch .LBB27_9
.LBB27_7:
	s_mov_b64 s[12:13], 0
	s_branch .LBB27_2
.LBB27_8:
	s_mov_b32 s9, s6
.LBB27_9:
	s_load_dwordx2 s[2:3], s[4:5], 0x10
	s_load_dwordx4 s[40:43], s[4:5], 0x48
	v_and_b32_e32 v55, 15, v0
	v_bfe_u32 v53, v0, 4, 2
	s_lshl_b32 s27, s8, 2
	v_lshlrev_b32_e32 v7, 3, v55
	v_cmp_gt_u32_e32 vcc, 64, v0
	v_cmp_gt_u32_e64 s[0:1], 8, v55
	v_lshrrev_b32_e32 v54, 6, v0
	v_or_b32_e32 v1, s27, v53
	v_and_b32_e32 v6, 3, v0
	s_and_b64 s[44:45], vcc, s[0:1]
	v_lshlrev_b32_e32 v50, 1, v7
	v_lshlrev_b32_e32 v51, 5, v53
	s_and_saveexec_b64 s[0:1], s[44:45]
	s_cbranch_execz .LBB27_11
; %bb.10:
	s_load_dwordx2 s[10:11], s[4:5], 0x0
	s_waitcnt lgkmcnt(0)
	s_ashr_i32 s18, s40, 31
	s_mul_hi_u32 s19, s9, s40
	s_mul_i32 s18, s9, s18
	s_add_i32 s19, s19, s18
	s_mul_i32 s18, s9, s40
	s_lshl_b64 s[18:19], s[18:19], 1
	v_lshlrev_b32_e32 v8, 6, v1
	s_add_u32 s9, s10, s18
	v_ashrrev_i32_e32 v9, 31, v8
	s_addc_u32 s10, s11, s19
	v_lshlrev_b64 v[8:9], 1, v[8:9]
	v_mov_b32_e32 v7, s10
	v_add_co_u32_e32 v8, vcc, s9, v8
	v_addc_co_u32_e32 v7, vcc, v7, v9, vcc
	v_add_co_u32_e32 v8, vcc, v8, v50
	v_addc_co_u32_e32 v9, vcc, 0, v7, vcc
	global_load_dwordx4 v[8:11], v[8:9], off
	v_lshlrev_b32_e32 v13, 9, v55
	v_lshl_or_b32 v7, v54, 7, v51
	v_lshlrev_b32_e32 v12, 9, v6
	v_and_b32_e32 v13, 0x1800, v13
	v_or3_b32 v7, v13, v12, v7
	s_waitcnt vmcnt(0)
	ds_write_b128 v7, v[8:11]
.LBB27_11:
	s_or_b64 exec, exec, s[0:1]
	s_waitcnt lgkmcnt(0)
	s_mul_i32 s0, s8, s42
	s_mov_b32 s1, 0
	s_lshl_b64 s[0:1], s[0:1], 1
	s_add_u32 s8, s12, s0
	v_lshlrev_b32_e32 v52, 4, v0
	s_addc_u32 s9, s13, s1
	v_and_b32_e32 v7, 0xf0, v52
	v_mov_b32_e32 v8, s9
	v_add_co_u32_e32 v7, vcc, s8, v7
	v_addc_co_u32_e32 v18, vcc, 0, v8, vcc
	s_waitcnt vmcnt(3)
	v_mad_i64_i32 v[8:9], s[8:9], v5, s41, 0
	v_lshlrev_b64 v[8:9], 1, v[8:9]
	v_add_co_u32_e32 v5, vcc, v7, v8
	v_addc_co_u32_e32 v9, vcc, v18, v9, vcc
	v_and_b32_e32 v19, 0x300, v52
	v_add_co_u32_e32 v8, vcc, v5, v19
	s_waitcnt vmcnt(2)
	v_mad_i64_i32 v[4:5], s[8:9], v4, s41, 0
	v_addc_co_u32_e32 v9, vcc, 0, v9, vcc
	v_lshlrev_b64 v[4:5], 1, v[4:5]
	v_add_co_u32_e32 v4, vcc, v7, v4
	v_addc_co_u32_e32 v5, vcc, v18, v5, vcc
	v_add_co_u32_e32 v4, vcc, v4, v19
	v_addc_co_u32_e32 v5, vcc, 0, v5, vcc
	s_barrier
	global_load_dwordx4 v[38:41], v[8:9], off
	global_load_dwordx4 v[34:37], v[8:9], off offset:1024
	global_load_dwordx4 v[30:33], v[4:5], off
	global_load_dwordx4 v[26:29], v[4:5], off offset:1024
	s_waitcnt vmcnt(5)
	v_mad_i64_i32 v[4:5], s[8:9], v3, s41, 0
	v_lshlrev_b64 v[4:5], 1, v[4:5]
	v_add_co_u32_e32 v3, vcc, v7, v4
	v_addc_co_u32_e32 v5, vcc, v18, v5, vcc
	v_add_co_u32_e32 v4, vcc, v3, v19
	s_waitcnt vmcnt(4)
	v_mad_i64_i32 v[2:3], s[8:9], v2, s41, 0
	v_addc_co_u32_e32 v5, vcc, 0, v5, vcc
	v_lshlrev_b64 v[2:3], 1, v[2:3]
	v_add_co_u32_e32 v2, vcc, v7, v2
	v_addc_co_u32_e32 v3, vcc, v18, v3, vcc
	v_add_co_u32_e32 v8, vcc, v2, v19
	v_addc_co_u32_e32 v9, vcc, 0, v3, vcc
	global_load_dwordx4 v[14:17], v[4:5], off
	global_load_dwordx4 v[10:13], v[4:5], off offset:1024
	s_nop 0
	global_load_dwordx4 v[2:5], v[8:9], off
	global_load_dwordx4 v[18:21], v[8:9], off offset:1024
	v_lshlrev_b32_e32 v6, 5, v6
	v_lshl_or_b32 v22, v53, 9, v6
	ds_read_b128 v[6:9], v22
	ds_read_b128 v[22:25], v22 offset:2048
	v_and_b32_e32 v56, 63, v0
	v_cmp_gt_u32_e32 vcc, 4, v55
	v_mov_b32_e32 v48, 0
	s_and_saveexec_b64 s[8:9], vcc
	s_cbranch_execz .LBB27_13
; %bb.12:
	s_load_dwordx2 s[10:11], s[4:5], 0x40
	v_or_b32_e32 v42, s27, v55
	v_ashrrev_i32_e32 v43, 31, v42
	v_lshlrev_b64 v[42:43], 2, v[42:43]
	s_waitcnt lgkmcnt(0)
	v_mov_b32_e32 v44, s11
	v_add_co_u32_e32 v42, vcc, s10, v42
	v_addc_co_u32_e32 v43, vcc, v44, v43, vcc
	global_load_dword v48, v[42:43], off
.LBB27_13:
	s_or_b64 exec, exec, s[8:9]
	s_waitcnt vmcnt(7) lgkmcnt(1)
	v_mfma_f32_16x16x16f16 v[42:45], v[38:39], v[6:7], 0
	s_load_dword s8, s[4:5], 0x1c
	s_add_u32 s0, s2, s0
	v_lshlrev_b32_e32 v57, 5, v55
	s_addc_u32 s1, s3, s1
	s_mov_b32 s40, 0xff7fffff
	v_mfma_f32_16x16x16f16 v[38:41], v[40:41], v[8:9], v[42:45]
	s_waitcnt vmcnt(6) lgkmcnt(0)
	v_mfma_f32_16x16x16f16 v[38:41], v[34:35], v[22:23], v[38:41]
	s_nop 4
	v_and_or_b32 v44, v0, 48, s14
	v_mov_b32_e32 v45, s17
	v_cmp_gt_i32_e32 vcc, s33, v44
	v_mfma_f32_16x16x16f16 v[34:37], v[36:37], v[24:25], v[38:41]
	s_nop 6
	v_ashrrev_i32_e32 v38, 4, v44
	v_cndmask_b32_e32 v42, v45, v38, vcc
	s_waitcnt vmcnt(5)
	v_mfma_f32_16x16x16f16 v[38:41], v[30:31], v[6:7], 0
	v_ashrrev_i32_e32 v43, 31, v42
	v_lshlrev_b64 v[30:31], 2, v[42:43]
	v_mov_b32_e32 v42, s16
	v_add_co_u32_e32 v30, vcc, s15, v30
	v_addc_co_u32_e32 v31, vcc, v42, v31, vcc
	global_load_dword v42, v[30:31], off
	v_mfma_f32_16x16x16f16 v[30:33], v[32:33], v[8:9], v[38:41]
	s_nop 6
	v_or_b32_e32 v38, 64, v44
	v_ashrrev_i32_e32 v39, 4, v38
	v_cmp_gt_i32_e32 vcc, s33, v38
	v_cndmask_b32_e32 v38, v45, v39, vcc
	v_ashrrev_i32_e32 v39, 31, v38
	s_waitcnt vmcnt(5)
	v_mfma_f32_16x16x16f16 v[30:33], v[26:27], v[22:23], v[30:33]
	v_lshlrev_b64 v[38:39], 2, v[38:39]
	v_mov_b32_e32 v40, s16
	v_add_co_u32_e32 v26, vcc, s15, v38
	v_addc_co_u32_e32 v27, vcc, v40, v39, vcc
	global_load_dword v43, v[26:27], off
	v_or_b32_e32 v26, 0x80, v44
	v_ashrrev_i32_e32 v27, 4, v26
	v_cmp_gt_i32_e32 vcc, s33, v26
	v_cndmask_b32_e32 v38, v45, v27, vcc
	v_ashrrev_i32_e32 v39, 31, v38
	v_mfma_f32_16x16x16f16 v[26:29], v[28:29], v[24:25], v[30:33]
	s_nop 6
	v_lshlrev_b64 v[30:31], 2, v[38:39]
	v_mov_b32_e32 v32, s16
	v_add_co_u32_e32 v38, vcc, s15, v30
	v_addc_co_u32_e32 v39, vcc, v32, v31, vcc
	global_load_dword v46, v[38:39], off
	s_waitcnt vmcnt(6)
	v_mfma_f32_16x16x16f16 v[30:33], v[14:15], v[6:7], 0
	v_mfma_f32_16x16x16f16 v[14:17], v[16:17], v[8:9], v[30:33]
	s_nop 7
	s_nop 1
	v_or_b32_e32 v30, 0xc0, v44
	v_ashrrev_i32_e32 v31, 4, v30
	v_cmp_gt_i32_e32 vcc, s33, v30
	v_cndmask_b32_e32 v30, v45, v31, vcc
	v_ashrrev_i32_e32 v31, 31, v30
	v_lshlrev_b64 v[30:31], 2, v[30:31]
	v_mov_b32_e32 v32, s16
	s_waitcnt vmcnt(5)
	v_mfma_f32_16x16x16f16 v[14:17], v[10:11], v[22:23], v[14:17]
	v_add_co_u32_e32 v10, vcc, s15, v30
	v_addc_co_u32_e32 v11, vcc, v32, v31, vcc
	global_load_dword v49, v[10:11], off
	v_pk_mul_f32 v[44:45], s[8:9], v[26:27] op_sel_hi:[0,1]
	v_lshl_or_b32 v10, v54, 9, v57
	s_waitcnt vmcnt(5)
	v_mfma_f32_16x16x16f16 v[38:41], v[2:3], v[6:7], 0
	v_mov_b32_e32 v11, s1
	v_add_co_u32_e32 v62, vcc, s0, v10
	v_addc_co_u32_e32 v63, vcc, 0, v11, vcc
	s_waitcnt vmcnt(3)
	v_mad_i64_i32 v[10:11], s[0:1], v42, s41, 0
	v_mfma_f32_16x16x16f16 v[38:41], v[4:5], v[8:9], v[38:41]
	v_lshlrev_b64 v[10:11], 1, v[10:11]
	v_add_co_u32_e32 v2, vcc, v62, v10
	v_addc_co_u32_e32 v3, vcc, v63, v11, vcc
	v_mfma_f32_16x16x16f16 v[58:61], v[18:19], v[22:23], v[38:41]
	v_pk_mul_f32 v[18:19], s[8:9], v[34:35] op_sel_hi:[0,1]
	v_mfma_f32_16x16x16f16 v[30:33], v[12:13], v[24:25], v[14:17]
	s_nop 6
	global_load_dwordx4 v[14:17], v[2:3], off
	global_load_dwordx4 v[10:13], v[2:3], off offset:16
	s_waitcnt vmcnt(4)
	v_mad_i64_i32 v[2:3], s[0:1], v43, s41, 0
	v_lshlrev_b64 v[2:3], 1, v[2:3]
	v_add_co_u32_e32 v2, vcc, v62, v2
	v_mfma_f32_16x16x16f16 v[24:27], v[20:21], v[24:25], v[58:61]
	v_and_b32_e32 v20, 0xc0, v0
	v_add_u32_e32 v20, s14, v20
	v_lshl_or_b32 v20, v53, 2, v20
	v_or_b32_e32 v21, 1, v20
	v_addc_co_u32_e32 v3, vcc, v63, v3, vcc
	v_pk_mul_f32 v[38:39], s[8:9], v[32:33] op_sel_hi:[0,1]
	s_nop 4
	v_pk_mul_f32 v[34:35], s[8:9], v[26:27] op_sel_hi:[0,1]
	v_pk_mul_f32 v[40:41], s[8:9], v[30:31] op_sel_hi:[0,1]
	v_cmp_gt_i32_e64 s[28:29], s33, v20
	v_cmp_gt_i32_e64 s[30:31], s33, v21
	global_load_dwordx4 v[6:9], v[2:3], off
	s_nop 0
	global_load_dwordx4 v[2:5], v[2:3], off offset:16
	s_waitcnt vmcnt(5)
	v_mad_i64_i32 v[42:43], s[0:1], v46, s41, 0
	v_pk_mul_f32 v[46:47], s[8:9], v[36:37] op_sel_hi:[0,1]
	v_pk_mul_f32 v[36:37], s[8:9], v[24:25] op_sel_hi:[0,1]
	v_subrev_u32_e32 v24, s33, v21
	v_add_u32_e32 v26, 1, v24
	v_add_u32_e32 v27, 2, v24
	v_cvt_f32_i32_e32 v25, v24
	v_cvt_f32_i32_e32 v26, v26
	;; [unrolled: 1-line block ×3, first 2 shown]
	v_lshlrev_b64 v[42:43], 1, v[42:43]
	v_add_co_u32_e32 v22, vcc, v62, v42
	v_addc_co_u32_e32 v23, vcc, v63, v43, vcc
	v_pk_mul_f32 v[42:43], s[8:9], v[28:29] op_sel_hi:[0,1]
	v_add_u32_e32 v28, 3, v24
	v_fma_f32 v18, v48, v25, v18
	v_fmac_f32_e32 v19, v48, v26
	v_fma_f32 v46, v48, v27, v46
	v_add_u32_e32 v25, 16, v24
	v_add_u32_e32 v26, 17, v24
	;; [unrolled: 1-line block ×3, first 2 shown]
	v_cvt_f32_i32_e32 v28, v28
	v_cvt_f32_i32_e32 v25, v25
	;; [unrolled: 1-line block ×4, first 2 shown]
	v_fmac_f32_e32 v47, v48, v28
	v_add_u32_e32 v28, 19, v24
	v_fma_f32 v44, v48, v25, v44
	v_fmac_f32_e32 v45, v48, v26
	v_fma_f32 v42, v48, v27, v42
	v_add_u32_e32 v25, 32, v24
	v_add_u32_e32 v26, 33, v24
	v_add_u32_e32 v27, 34, v24
	v_cvt_f32_i32_e32 v28, v28
	v_cvt_f32_i32_e32 v25, v25
	;; [unrolled: 1-line block ×4, first 2 shown]
	v_fmac_f32_e32 v43, v48, v28
	v_add_u32_e32 v28, 35, v24
	v_fma_f32 v40, v48, v25, v40
	v_fmac_f32_e32 v41, v48, v26
	v_fma_f32 v38, v48, v27, v38
	v_add_u32_e32 v25, 48, v24
	v_add_u32_e32 v26, 49, v24
	;; [unrolled: 1-line block ×4, first 2 shown]
	v_cvt_f32_i32_e32 v24, v24
	v_cvt_f32_i32_e32 v25, v25
	;; [unrolled: 1-line block ×4, first 2 shown]
	v_fmac_f32_e32 v35, v48, v24
	v_mov_b32_e32 v24, 0xff7fffff
	v_fma_f32 v36, v48, v25, v36
	v_cndmask_b32_e64 v25, v24, v18, s[28:29]
	v_cndmask_b32_e64 v21, v24, v19, s[30:31]
	v_fmac_f32_e32 v37, v48, v26
	v_max3_f32 v21, v25, s40, v21
	v_or_b32_e32 v25, 2, v20
	v_or_b32_e32 v26, 3, v20
	v_cmp_gt_i32_e64 s[34:35], s33, v25
	v_cmp_gt_i32_e64 s[36:37], s33, v26
	v_cndmask_b32_e64 v25, v24, v46, s[34:35]
	v_cndmask_b32_e64 v26, v24, v47, s[36:37]
	v_max3_f32 v21, v21, v25, v26
	v_or_b32_e32 v25, 16, v20
	v_or_b32_e32 v26, 17, v20
	v_cmp_gt_i32_e64 s[22:23], s33, v25
	v_cmp_gt_i32_e64 s[24:25], s33, v26
	v_cndmask_b32_e64 v25, v24, v44, s[22:23]
	v_cndmask_b32_e64 v26, v24, v45, s[24:25]
	;; [unrolled: 7-line block ×4, first 2 shown]
	v_max3_f32 v21, v21, v25, v26
	v_or_b32_e32 v25, 34, v20
	v_or_b32_e32 v26, 35, v20
	v_fmac_f32_e32 v39, v48, v28
	v_cmp_gt_i32_e64 s[10:11], s33, v25
	v_cmp_gt_i32_e64 s[12:13], s33, v26
	v_cndmask_b32_e64 v25, v24, v38, s[10:11]
	v_cndmask_b32_e64 v26, v24, v39, s[12:13]
	v_cvt_f32_i32_e32 v27, v27
	v_max3_f32 v21, v21, v25, v26
	v_or_b32_e32 v25, 48, v20
	v_or_b32_e32 v26, 49, v20
	v_cmp_gt_i32_e64 s[2:3], s33, v25
	v_cmp_gt_i32_e64 s[8:9], s33, v26
	v_cndmask_b32_e64 v25, v24, v36, s[2:3]
	v_cndmask_b32_e64 v26, v24, v37, s[8:9]
	v_max3_f32 v21, v21, v25, v26
	v_or_b32_e32 v25, 50, v20
	v_or_b32_e32 v20, 51, v20
	v_fma_f32 v34, v48, v27, v34
	v_cmp_gt_i32_e32 vcc, s33, v25
	v_cmp_gt_i32_e64 s[0:1], s33, v20
	v_cndmask_b32_e32 v25, v24, v34, vcc
	v_cndmask_b32_e64 v20, v24, v35, s[0:1]
	v_max3_f32 v26, v21, v25, v20
	v_mbcnt_lo_u32_b32 v20, -1, 0
	v_mbcnt_hi_u32_b32 v27, -1, v20
	v_and_b32_e32 v20, 64, v27
	v_add_u32_e32 v28, 64, v20
	v_xor_b32_e32 v20, 32, v27
	v_cmp_lt_i32_e64 s[38:39], v20, v28
	v_cndmask_b32_e64 v20, v27, v20, s[38:39]
	v_lshlrev_b32_e32 v59, 2, v20
	ds_bpermute_b32 v29, v59, v26
	s_waitcnt vmcnt(4)
	v_mad_i64_i32 v[20:21], s[38:39], v49, s41, 0
	v_lshlrev_b64 v[20:21], 1, v[20:21]
	global_load_dwordx4 v[30:33], v[22:23], off
	s_nop 0
	global_load_dwordx4 v[22:25], v[22:23], off offset:16
	s_waitcnt lgkmcnt(0)
	v_max_f32_e32 v29, v29, v29
	v_max_f32_e32 v26, v26, v29
	v_xor_b32_e32 v29, 16, v27
	v_cmp_lt_i32_e64 s[38:39], v29, v28
	v_cndmask_b32_e64 v27, v27, v29, s[38:39]
	v_lshlrev_b32_e32 v60, 2, v27
	ds_bpermute_b32 v27, v60, v26
	v_add_co_u32_e64 v20, s[38:39], v62, v20
	v_addc_co_u32_e64 v21, s[38:39], v63, v21, s[38:39]
	s_waitcnt lgkmcnt(0)
	v_max_f32_e32 v27, v27, v27
	v_max_f32_e32 v58, v26, v27
	v_sub_f32_e32 v18, v18, v58
	v_mul_f32_e32 v18, 0x3fb8aa3b, v18
	v_exp_f32_e32 v48, v18
	v_sub_f32_e32 v18, v19, v58
	v_mul_f32_e32 v18, 0x3fb8aa3b, v18
	v_exp_f32_e32 v49, v18
	global_load_dwordx4 v[26:29], v[20:21], off
	s_nop 0
	global_load_dwordx4 v[18:21], v[20:21], off offset:16
	v_sub_f32_e32 v46, v46, v58
	v_mul_f32_e32 v46, 0x3fb8aa3b, v46
	v_sub_f32_e32 v47, v47, v58
	v_exp_f32_e32 v46, v46
	v_mul_f32_e32 v47, 0x3fb8aa3b, v47
	v_sub_f32_e32 v44, v44, v58
	v_exp_f32_e32 v47, v47
	v_mul_f32_e32 v44, 0x3fb8aa3b, v44
	v_sub_f32_e32 v45, v45, v58
	v_cndmask_b32_e64 v48, 0, v48, s[28:29]
	v_exp_f32_e32 v44, v44
	v_mul_f32_e32 v45, 0x3fb8aa3b, v45
	v_sub_f32_e32 v42, v42, v58
	v_add_f32_e32 v61, 0, v48
	v_cndmask_b32_e64 v49, 0, v49, s[30:31]
	v_exp_f32_e32 v45, v45
	v_mul_f32_e32 v42, 0x3fb8aa3b, v42
	v_sub_f32_e32 v43, v43, v58
	v_add_f32_e32 v61, v61, v49
	;; [unrolled: 5-line block ×10, first 2 shown]
	v_cndmask_b32_e64 v38, 0, v38, s[10:11]
	v_exp_f32_e32 v34, v34
	v_mul_f32_e32 v35, 0x3fb8aa3b, v35
	v_add_f32_e32 v61, v61, v38
	v_cndmask_b32_e64 v39, 0, v39, s[12:13]
	v_exp_f32_e32 v35, v35
	v_add_f32_e32 v61, v61, v39
	v_cndmask_b32_e64 v36, 0, v36, s[2:3]
	v_add_f32_e32 v61, v61, v36
	v_cndmask_b32_e64 v37, 0, v37, s[8:9]
	v_add_f32_e32 v61, v61, v37
	v_cndmask_b32_e32 v34, 0, v34, vcc
	v_add_f32_e32 v61, v61, v34
	v_cndmask_b32_e64 v35, 0, v35, s[0:1]
	v_add_f32_e32 v61, v61, v35
	ds_bpermute_b32 v59, v59, v61
	s_load_dword s3, s[4:5], 0x98
	v_cmp_gt_u32_e32 vcc, 16, v56
	v_lshlrev_b32_e32 v56, 2, v55
	s_waitcnt lgkmcnt(0)
	v_add_f32_e32 v59, v61, v59
	ds_bpermute_b32 v60, v60, v59
	s_barrier
	s_waitcnt lgkmcnt(0)
	s_and_saveexec_b64 s[0:1], vcc
	s_cbranch_execz .LBB27_15
; %bb.14:
	v_add_f32_e32 v55, v59, v60
	v_lshl_or_b32 v59, v54, 6, v56
	ds_write2st64_b32 v59, v58, v55 offset1:1
.LBB27_15:
	s_or_b64 exec, exec, s[0:1]
	s_load_dword s2, s[4:5], 0x94
	s_waitcnt lgkmcnt(0)
	s_barrier
	ds_read2_b32 v[58:59], v56 offset1:16
	ds_read2_b32 v[60:61], v56 offset0:32 offset1:48
	ds_read2_b32 v[62:63], v56 offset0:64 offset1:80
	s_lshl_b32 s3, s3, 2
	s_waitcnt lgkmcnt(2)
	v_max3_f32 v55, v58, s40, v59
	s_waitcnt lgkmcnt(1)
	v_max3_f32 v55, v55, v60, v61
	v_sub_f32_e32 v58, v58, v55
	v_mul_f32_e32 v58, 0x3fb8aa3b, v58
	v_exp_f32_e32 v64, v58
	v_sub_f32_e32 v58, v59, v55
	v_mul_f32_e32 v58, 0x3fb8aa3b, v58
	v_exp_f32_e32 v65, v58
	;; [unrolled: 3-line block ×3, first 2 shown]
	ds_read2_b32 v[58:59], v56 offset0:96 offset1:112
	v_sub_f32_e32 v56, v61, v55
	v_mul_f32_e32 v56, 0x3fb8aa3b, v56
	v_exp_f32_e32 v61, v56
	s_waitcnt lgkmcnt(1)
	v_fma_f32 v56, v64, v62, 0
	v_fmac_f32_e32 v56, v65, v63
	s_waitcnt lgkmcnt(0)
	v_fmac_f32_e32 v56, v60, v58
	v_fmac_f32_e32 v56, v61, v59
	v_add_f32_e32 v58, 0x358637bd, v56
	v_div_scale_f32 v59, s[0:1], v58, v58, 1.0
	v_rcp_f32_e32 v62, v59
	s_barrier
	v_fma_f32 v63, -v59, v62, 1.0
	v_fmac_f32_e32 v62, v63, v62
	v_div_scale_f32 v63, vcc, 1.0, v58, 1.0
	v_mul_f32_e32 v66, v63, v62
	v_fma_f32 v67, -v59, v66, v63
	v_fmac_f32_e32 v66, v67, v62
	v_fma_f32 v59, -v59, v66, v63
	v_div_fmas_f32 v59, v59, v62, v66
	v_cmp_eq_u32_e32 vcc, 1, v54
	v_div_fixup_f32 v58, v59, v58, 1.0
	v_cndmask_b32_e32 v59, v64, v65, vcc
	v_cmp_eq_u32_e32 vcc, 2, v54
	v_cndmask_b32_e32 v59, v59, v60, vcc
	v_cmp_eq_u32_e32 vcc, 3, v54
	v_cndmask_b32_e32 v59, v59, v61, vcc
	v_mul_f32_e32 v58, v59, v58
	v_pk_mul_f32 v[46:47], v[58:59], v[46:47] op_sel_hi:[0,1]
	v_pk_mul_f32 v[48:49], v[58:59], v[48:49] op_sel_hi:[0,1]
	v_cvt_f16_f32_e32 v59, v46
	v_cvt_f16_f32_e32 v48, v48
	;; [unrolled: 1-line block ×4, first 2 shown]
	v_pk_mul_f32 v[42:43], v[58:59], v[42:43] op_sel_hi:[0,1]
	v_pk_mul_f32 v[44:45], v[58:59], v[44:45] op_sel_hi:[0,1]
	v_pack_b32_f16 v46, v48, v49
	v_cvt_f16_f32_e32 v44, v44
	v_cvt_f16_f32_e32 v45, v45
	;; [unrolled: 1-line block ×4, first 2 shown]
	v_lshlrev_b32_e32 v48, 3, v53
	v_lshlrev_b32_e32 v42, 11, v54
	v_pack_b32_f16 v47, v59, v47
	v_or3_b32 v42, v42, v57, v48
	v_pack_b32_f16 v44, v44, v45
	v_pack_b32_f16 v45, v49, v43
	v_pk_mul_f32 v[38:39], v[58:59], v[38:39] op_sel_hi:[0,1]
	v_pk_mul_f32 v[40:41], v[58:59], v[40:41] op_sel_hi:[0,1]
	;; [unrolled: 1-line block ×4, first 2 shown]
	ds_write2st64_b64 v42, v[46:47], v[44:45] offset1:1
	v_cvt_f16_f32_e32 v40, v40
	v_cvt_f16_f32_e32 v41, v41
	;; [unrolled: 1-line block ×8, first 2 shown]
	v_pack_b32_f16 v34, v40, v41
	v_pack_b32_f16 v35, v38, v39
	;; [unrolled: 1-line block ×4, first 2 shown]
	v_cmp_gt_u32_e32 vcc, 4, v0
	ds_write2st64_b64 v42, v[34:35], v[36:37] offset0:2 offset1:3
	s_and_saveexec_b64 s[0:1], vcc
	s_cbranch_execz .LBB27_17
; %bb.16:
	v_or_b32_e32 v34, s27, v0
	v_mov_b32_e32 v35, 0
	v_mov_b32_e32 v36, s3
	v_mad_u64_u32 v[36:37], s[12:13], s6, v36, v[34:35]
	v_mov_b32_e32 v34, s26
	s_load_dwordx4 s[8:11], s[4:5], 0x58
	s_mul_i32 s7, s7, s3
	v_mad_u64_u32 v[34:35], s[12:13], v36, s2, v[34:35]
	v_add_u32_e32 v37, s7, v37
	v_mov_b32_e32 v36, v35
	v_mad_u64_u32 v[36:37], s[12:13], v37, s2, v[36:37]
	v_mov_b32_e32 v35, v36
	v_lshlrev_b64 v[34:35], 2, v[34:35]
	s_waitcnt lgkmcnt(0)
	v_mov_b32_e32 v37, s11
	v_add_co_u32_e32 v36, vcc, s10, v34
	v_addc_co_u32_e32 v37, vcc, v37, v35, vcc
	global_store_dword v[36:37], v55, off
	v_mov_b32_e32 v36, s9
	v_add_co_u32_e32 v34, vcc, s8, v34
	v_addc_co_u32_e32 v35, vcc, v36, v35, vcc
	global_store_dword v[34:35], v56, off
.LBB27_17:
	s_or_b64 exec, exec, s[0:1]
	v_lshl_or_b32 v43, v53, 9, v57
	s_waitcnt lgkmcnt(0)
	s_barrier
	ds_read_b128 v[34:37], v43
	ds_read_b128 v[38:41], v43 offset:16
	s_waitcnt vmcnt(7) lgkmcnt(1)
	v_mfma_f32_16x16x16f16 v[44:47], v[14:15], v[34:35], 0
	s_mov_b32 s1, 0
	v_mfma_f32_16x16x16f16 v[14:17], v[16:17], v[36:37], v[44:47]
	s_waitcnt vmcnt(6) lgkmcnt(0)
	v_mfma_f32_16x16x16f16 v[14:17], v[10:11], v[38:39], v[14:17]
	v_mfma_f32_16x16x16f16 v[10:13], v[12:13], v[40:41], v[14:17]
	s_nop 7
	s_nop 1
	ds_read_b128 v[14:17], v43 offset:2048
	ds_read_b128 v[34:37], v43 offset:2064
	s_waitcnt vmcnt(5) lgkmcnt(1)
	v_mfma_f32_16x16x16f16 v[10:13], v[6:7], v[14:15], v[10:13]
	v_mfma_f32_16x16x16f16 v[6:9], v[8:9], v[16:17], v[10:13]
	s_waitcnt vmcnt(4) lgkmcnt(0)
	v_mfma_f32_16x16x16f16 v[6:9], v[2:3], v[34:35], v[6:9]
	v_mfma_f32_16x16x16f16 v[2:5], v[4:5], v[36:37], v[6:9]
	s_nop 7
	s_nop 1
	ds_read_b128 v[6:9], v43 offset:4096
	ds_read_b128 v[10:13], v43 offset:4112
	s_waitcnt vmcnt(3) lgkmcnt(1)
	v_mfma_f32_16x16x16f16 v[2:5], v[30:31], v[6:7], v[2:5]
	v_mfma_f32_16x16x16f16 v[2:5], v[32:33], v[8:9], v[2:5]
	s_waitcnt vmcnt(2) lgkmcnt(0)
	v_mfma_f32_16x16x16f16 v[2:5], v[22:23], v[10:11], v[2:5]
	v_mfma_f32_16x16x16f16 v[2:5], v[24:25], v[12:13], v[2:5]
	ds_read_b128 v[6:9], v43 offset:6144
	ds_read_b128 v[10:13], v43 offset:6160
	s_waitcnt lgkmcnt(0)
	s_barrier
	s_waitcnt vmcnt(1)
	v_mfma_f32_16x16x16f16 v[2:5], v[26:27], v[6:7], v[2:5]
	v_mfma_f32_16x16x16f16 v[2:5], v[28:29], v[8:9], v[2:5]
	s_waitcnt vmcnt(0)
	v_mfma_f32_16x16x16f16 v[2:5], v[18:19], v[10:11], v[2:5]
	v_mfma_f32_16x16x16f16 v[2:5], v[20:21], v[12:13], v[2:5]
	s_nop 7
	s_nop 2
	v_cvt_f16_f32_e32 v2, v2
	v_cvt_f16_f32_e32 v3, v3
	;; [unrolled: 1-line block ×4, first 2 shown]
	v_pack_b32_f16 v2, v2, v3
	v_pack_b32_f16 v3, v4, v5
	ds_write_b64 v42, v[2:3]
	s_waitcnt lgkmcnt(0)
	s_barrier
	s_and_saveexec_b64 s[8:9], s[44:45]
	s_cbranch_execz .LBB27_19
; %bb.18:
	s_load_dwordx2 s[4:5], s[4:5], 0x68
	s_lshl_b32 s7, s2, 6
	s_mul_i32 s0, s3, s6
	s_mul_hi_u32 s3, s0, s7
	s_mul_i32 s2, s0, s7
	s_lshl_b64 s[2:3], s[2:3], 1
	s_waitcnt lgkmcnt(0)
	s_add_u32 s2, s4, s2
	v_lshlrev_b32_e32 v0, 10, v0
	s_addc_u32 s3, s5, s3
	s_lshl_b32 s0, s26, 6
	v_and_b32_e32 v0, 0x1800, v0
	v_and_b32_e32 v2, 16, v52
	s_lshl_b64 s[0:1], s[0:1], 1
	v_or3_b32 v0, v0, v51, v2
	s_add_u32 s2, s2, s0
	ds_read_b128 v[2:5], v0
	s_addc_u32 s3, s3, s1
	v_mad_u64_u32 v[0:1], s[0:1], s7, v1, 0
	v_lshlrev_b64 v[0:1], 1, v[0:1]
	v_mov_b32_e32 v6, s3
	v_add_co_u32_e32 v0, vcc, s2, v0
	v_addc_co_u32_e32 v1, vcc, v6, v1, vcc
	v_add_co_u32_e32 v0, vcc, v0, v50
	v_addc_co_u32_e32 v1, vcc, 0, v1, vcc
	s_waitcnt lgkmcnt(0)
	global_store_dwordx4 v[0:1], v[2:5], off
.LBB27_19:
	s_endpgm
	.section	.rodata,"a",@progbits
	.p2align	6, 0x0
	.amdhsa_kernel _Z39paged_attention_ll4mi_QKV_mfma16_kernelIDF16_DF16_LN4vllm18Fp8KVCacheDataTypeE0EDF16_Li16ELi64ELi256ELb1ELi4EL8MFMAType0EEvPKT_PKT0_S8_ifPKiSA_SA_iPKfiiiPfSD_PS3_PT2_iSC_SC_
		.amdhsa_group_segment_fixed_size 8192
		.amdhsa_private_segment_fixed_size 0
		.amdhsa_kernarg_size 400
		.amdhsa_user_sgpr_count 6
		.amdhsa_user_sgpr_private_segment_buffer 1
		.amdhsa_user_sgpr_dispatch_ptr 0
		.amdhsa_user_sgpr_queue_ptr 0
		.amdhsa_user_sgpr_kernarg_segment_ptr 1
		.amdhsa_user_sgpr_dispatch_id 0
		.amdhsa_user_sgpr_flat_scratch_init 0
		.amdhsa_user_sgpr_kernarg_preload_length 0
		.amdhsa_user_sgpr_kernarg_preload_offset 0
		.amdhsa_user_sgpr_private_segment_size 0
		.amdhsa_uses_dynamic_stack 0
		.amdhsa_system_sgpr_private_segment_wavefront_offset 0
		.amdhsa_system_sgpr_workgroup_id_x 1
		.amdhsa_system_sgpr_workgroup_id_y 1
		.amdhsa_system_sgpr_workgroup_id_z 1
		.amdhsa_system_sgpr_workgroup_info 0
		.amdhsa_system_vgpr_workitem_id 0
		.amdhsa_next_free_vgpr 68
		.amdhsa_next_free_sgpr 46
		.amdhsa_accum_offset 68
		.amdhsa_reserve_vcc 1
		.amdhsa_reserve_flat_scratch 0
		.amdhsa_float_round_mode_32 0
		.amdhsa_float_round_mode_16_64 0
		.amdhsa_float_denorm_mode_32 3
		.amdhsa_float_denorm_mode_16_64 3
		.amdhsa_dx10_clamp 1
		.amdhsa_ieee_mode 1
		.amdhsa_fp16_overflow 0
		.amdhsa_tg_split 0
		.amdhsa_exception_fp_ieee_invalid_op 0
		.amdhsa_exception_fp_denorm_src 0
		.amdhsa_exception_fp_ieee_div_zero 0
		.amdhsa_exception_fp_ieee_overflow 0
		.amdhsa_exception_fp_ieee_underflow 0
		.amdhsa_exception_fp_ieee_inexact 0
		.amdhsa_exception_int_div_zero 0
	.end_amdhsa_kernel
	.section	.text._Z39paged_attention_ll4mi_QKV_mfma16_kernelIDF16_DF16_LN4vllm18Fp8KVCacheDataTypeE0EDF16_Li16ELi64ELi256ELb1ELi4EL8MFMAType0EEvPKT_PKT0_S8_ifPKiSA_SA_iPKfiiiPfSD_PS3_PT2_iSC_SC_,"axG",@progbits,_Z39paged_attention_ll4mi_QKV_mfma16_kernelIDF16_DF16_LN4vllm18Fp8KVCacheDataTypeE0EDF16_Li16ELi64ELi256ELb1ELi4EL8MFMAType0EEvPKT_PKT0_S8_ifPKiSA_SA_iPKfiiiPfSD_PS3_PT2_iSC_SC_,comdat
.Lfunc_end27:
	.size	_Z39paged_attention_ll4mi_QKV_mfma16_kernelIDF16_DF16_LN4vllm18Fp8KVCacheDataTypeE0EDF16_Li16ELi64ELi256ELb1ELi4EL8MFMAType0EEvPKT_PKT0_S8_ifPKiSA_SA_iPKfiiiPfSD_PS3_PT2_iSC_SC_, .Lfunc_end27-_Z39paged_attention_ll4mi_QKV_mfma16_kernelIDF16_DF16_LN4vllm18Fp8KVCacheDataTypeE0EDF16_Li16ELi64ELi256ELb1ELi4EL8MFMAType0EEvPKT_PKT0_S8_ifPKiSA_SA_iPKfiiiPfSD_PS3_PT2_iSC_SC_
                                        ; -- End function
	.section	.AMDGPU.csdata,"",@progbits
; Kernel info:
; codeLenInByte = 4176
; NumSgprs: 50
; NumVgprs: 68
; NumAgprs: 0
; TotalNumVgprs: 68
; ScratchSize: 0
; MemoryBound: 0
; FloatMode: 240
; IeeeMode: 1
; LDSByteSize: 8192 bytes/workgroup (compile time only)
; SGPRBlocks: 6
; VGPRBlocks: 8
; NumSGPRsForWavesPerEU: 50
; NumVGPRsForWavesPerEU: 68
; AccumOffset: 68
; Occupancy: 7
; WaveLimiterHint : 1
; COMPUTE_PGM_RSRC2:SCRATCH_EN: 0
; COMPUTE_PGM_RSRC2:USER_SGPR: 6
; COMPUTE_PGM_RSRC2:TRAP_HANDLER: 0
; COMPUTE_PGM_RSRC2:TGID_X_EN: 1
; COMPUTE_PGM_RSRC2:TGID_Y_EN: 1
; COMPUTE_PGM_RSRC2:TGID_Z_EN: 1
; COMPUTE_PGM_RSRC2:TIDIG_COMP_CNT: 0
; COMPUTE_PGM_RSRC3_GFX90A:ACCUM_OFFSET: 16
; COMPUTE_PGM_RSRC3_GFX90A:TG_SPLIT: 0
	.section	.text._Z35paged_attention_ll4mi_reduce_kernelIDF16_DF16_Li64ELi64ELi256ELi9EEvPT0_PKfS3_PKT_PKiS8_iS3_,"axG",@progbits,_Z35paged_attention_ll4mi_reduce_kernelIDF16_DF16_Li64ELi64ELi256ELi9EEvPT0_PKfS3_PKT_PKiS8_iS3_,comdat
	.protected	_Z35paged_attention_ll4mi_reduce_kernelIDF16_DF16_Li64ELi64ELi256ELi9EEvPT0_PKfS3_PKT_PKiS8_iS3_ ; -- Begin function _Z35paged_attention_ll4mi_reduce_kernelIDF16_DF16_Li64ELi64ELi256ELi9EEvPT0_PKfS3_PKT_PKiS8_iS3_
	.globl	_Z35paged_attention_ll4mi_reduce_kernelIDF16_DF16_Li64ELi64ELi256ELi9EEvPT0_PKfS3_PKT_PKiS8_iS3_
	.p2align	8
	.type	_Z35paged_attention_ll4mi_reduce_kernelIDF16_DF16_Li64ELi64ELi256ELi9EEvPT0_PKfS3_PKT_PKiS8_iS3_,@function
_Z35paged_attention_ll4mi_reduce_kernelIDF16_DF16_Li64ELi64ELi256ELi9EEvPT0_PKfS3_PKT_PKiS8_iS3_: ; @_Z35paged_attention_ll4mi_reduce_kernelIDF16_DF16_Li64ELi64ELi256ELi9EEvPT0_PKfS3_PKT_PKiS8_iS3_
; %bb.0:
	s_load_dwordx2 s[34:35], s[4:5], 0x28
	s_mov_b32 s22, s7
	s_mov_b64 s[0:1], 0
	s_waitcnt lgkmcnt(0)
	s_cmp_lg_u64 s[34:35], 0
	s_cselect_b64 s[36:37], -1, 0
	s_and_b64 vcc, exec, s[36:37]
	s_cbranch_vccz .LBB28_23
; %bb.1:
	s_add_i32 s2, s22, 1
	s_mov_b32 s3, 0
	s_lshl_b64 s[8:9], s[2:3], 2
	s_add_u32 s8, s34, s8
	s_mov_b32 s23, s3
	s_addc_u32 s9, s35, s9
	s_lshl_b64 s[2:3], s[22:23], 2
	s_add_u32 s2, s34, s2
	s_addc_u32 s3, s35, s3
	s_load_dword s7, s[8:9], 0x0
	s_load_dword s10, s[2:3], 0x0
	s_waitcnt lgkmcnt(0)
	s_sub_i32 s2, s7, s10
	s_cmp_eq_u32 s2, 1
	s_cselect_b64 s[2:3], -1, 0
	s_andn2_b64 vcc, exec, s[0:1]
	s_cbranch_vccnz .LBB28_3
.LBB28_2:
	s_mov_b32 s23, 0
	s_mov_b64 s[2:3], -1
.LBB28_3:
	s_andn2_b64 vcc, exec, s[2:3]
	s_cbranch_vccz .LBB28_5
; %bb.4:
	s_endpgm
.LBB28_5:
	s_load_dwordx4 s[24:27], s[4:5], 0x18
	s_load_dword s8, s[4:5], 0x30
	s_lshl_b64 s[38:39], s[22:23], 2
	v_cmp_lt_u32_e32 vcc, 63, v0
	s_waitcnt lgkmcnt(0)
	s_add_u32 s0, s26, s38
	s_addc_u32 s1, s27, s39
	s_load_dword s46, s[0:1], 0x0
	s_load_dword s7, s[4:5], 0x40
	s_mul_i32 s26, s6, s8
	s_mul_i32 s2, s22, s8
	s_waitcnt lgkmcnt(0)
	s_add_i32 s3, s46, 0xff
	s_ashr_i32 s0, s3, 31
	s_lshr_b32 s0, s0, 24
	s_add_i32 s3, s3, s0
	s_and_saveexec_b64 s[0:1], vcc
	s_xor_b64 s[0:1], exec, s[0:1]
	s_or_saveexec_b64 s[40:41], s[0:1]
	s_ashr_i32 s33, s3, 8
	v_mov_b32_e32 v1, s26
	s_mul_i32 s42, s2, s7
	s_xor_b64 exec, exec, s[40:41]
	s_cbranch_execz .LBB28_9
; %bb.6:
	s_add_i32 s0, s33, -1
	v_or_b32_e32 v3, 64, v0
	v_mov_b32_e32 v1, s0
	v_cmp_gt_u32_e64 s[16:17], s33, v3
	v_cndmask_b32_e64 v4, v1, v3, s[16:17]
	v_or_b32_e32 v3, 0x80, v0
	v_cmp_gt_u32_e64 s[14:15], s33, v3
	v_cndmask_b32_e64 v6, v1, v3, s[14:15]
	v_or_b32_e32 v3, 0xc0, v0
	;; [unrolled: 3-line block ×4, first 2 shown]
	s_load_dwordx4 s[28:31], s[4:5], 0x8
	v_cmp_gt_u32_e64 s[8:9], s33, v3
	v_cndmask_b32_e64 v12, v1, v3, s[8:9]
	v_or_b32_e32 v3, 0x180, v0
	v_cmp_gt_u32_e64 s[2:3], s33, v3
	s_mov_b32 s43, 0
	v_cndmask_b32_e64 v14, v1, v3, s[2:3]
	v_or_b32_e32 v3, 0x1c0, v0
	v_cmp_gt_u32_e64 s[0:1], s33, v3
	s_lshl_b64 s[44:45], s[42:43], 2
	s_mov_b32 s27, s43
	v_cmp_gt_u32_e64 s[18:19], s33, v0
	v_cndmask_b32_e64 v16, v1, v3, s[0:1]
	v_or_b32_e32 v3, 0x200, v0
	s_waitcnt lgkmcnt(0)
	s_add_u32 s20, s30, s44
	v_cndmask_b32_e64 v2, v1, v0, s[18:19]
	v_cmp_gt_u32_e32 vcc, s33, v3
	s_addc_u32 s21, s31, s45
	s_lshl_b64 s[30:31], s[26:27], 2
	v_cndmask_b32_e32 v18, v1, v3, vcc
	s_add_u32 s27, s20, s30
	v_ashrrev_i32_e32 v3, 31, v2
	s_addc_u32 s43, s21, s31
	v_lshlrev_b64 v[2:3], 2, v[2:3]
	v_mov_b32_e32 v1, s43
	v_add_co_u32_e64 v20, s[20:21], s27, v2
	v_ashrrev_i32_e32 v5, 31, v4
	v_addc_co_u32_e64 v21, s[20:21], v1, v3, s[20:21]
	v_lshlrev_b64 v[4:5], 2, v[4:5]
	v_add_co_u32_e64 v22, s[20:21], s27, v4
	v_ashrrev_i32_e32 v7, 31, v6
	v_addc_co_u32_e64 v23, s[20:21], v1, v5, s[20:21]
	v_lshlrev_b64 v[6:7], 2, v[6:7]
	;; [unrolled: 4-line block ×8, first 2 shown]
	global_load_dword v1, v[20:21], off
	global_load_dword v36, v[22:23], off
	;; [unrolled: 1-line block ×8, first 2 shown]
	v_mov_b32_e32 v21, s43
	v_add_co_u32_e64 v20, s[20:21], s27, v18
	v_addc_co_u32_e64 v21, s[20:21], v21, v19, s[20:21]
	global_load_dword v20, v[20:21], off
	v_mbcnt_lo_u32_b32 v22, -1, 0
	v_mbcnt_hi_u32_b32 v22, -1, v22
	v_and_b32_e32 v23, 64, v22
	v_add_u32_e32 v23, 64, v23
	v_xor_b32_e32 v24, 32, v22
	v_cmp_lt_i32_e64 s[20:21], v24, v23
	v_cndmask_b32_e64 v24, v22, v24, s[20:21]
	v_lshlrev_b32_e32 v24, 2, v24
	s_waitcnt vmcnt(6)
	v_max3_f32 v21, v1, v36, v37
	s_waitcnt vmcnt(4)
	v_max3_f32 v21, v21, v38, v39
	;; [unrolled: 2-line block ×4, first 2 shown]
	ds_bpermute_b32 v25, v24, v21
	s_waitcnt lgkmcnt(0)
	v_max_f32_e32 v25, v25, v25
	v_max_f32_e32 v21, v21, v25
	v_xor_b32_e32 v25, 16, v22
	v_cmp_lt_i32_e64 s[20:21], v25, v23
	v_cndmask_b32_e64 v25, v22, v25, s[20:21]
	v_lshlrev_b32_e32 v25, 2, v25
	ds_bpermute_b32 v26, v25, v21
	s_waitcnt lgkmcnt(0)
	v_max_f32_e32 v26, v26, v26
	v_max_f32_e32 v21, v21, v26
	v_xor_b32_e32 v26, 8, v22
	v_cmp_lt_i32_e64 s[20:21], v26, v23
	v_cndmask_b32_e64 v26, v22, v26, s[20:21]
	v_lshlrev_b32_e32 v26, 2, v26
	;; [unrolled: 8-line block ×4, first 2 shown]
	ds_bpermute_b32 v29, v28, v21
	s_waitcnt lgkmcnt(0)
	v_max_f32_e32 v29, v29, v29
	v_max_f32_e32 v21, v21, v29
	v_xor_b32_e32 v29, 1, v22
	v_cmp_lt_i32_e64 s[20:21], v29, v23
	v_cndmask_b32_e64 v22, v22, v29, s[20:21]
	s_add_u32 s20, s28, s44
	s_addc_u32 s21, s29, s45
	s_add_u32 s27, s20, s30
	s_addc_u32 s28, s21, s31
	v_mov_b32_e32 v23, s28
	v_add_co_u32_e64 v2, s[20:21], s27, v2
	v_addc_co_u32_e64 v3, s[20:21], v23, v3, s[20:21]
	global_load_dword v23, v[2:3], off
	v_mov_b32_e32 v3, s28
	v_add_co_u32_e64 v2, s[20:21], s27, v4
	v_addc_co_u32_e64 v3, s[20:21], v3, v5, s[20:21]
	v_mov_b32_e32 v5, s28
	v_add_co_u32_e64 v4, s[20:21], s27, v6
	v_addc_co_u32_e64 v5, s[20:21], v5, v7, s[20:21]
	global_load_dword v30, v[2:3], off
	global_load_dword v31, v[4:5], off
	v_mov_b32_e32 v3, s28
	v_add_co_u32_e64 v2, s[20:21], s27, v8
	v_addc_co_u32_e64 v3, s[20:21], v3, v9, s[20:21]
	v_mov_b32_e32 v5, s28
	v_add_co_u32_e64 v4, s[20:21], s27, v10
	v_addc_co_u32_e64 v5, s[20:21], v5, v11, s[20:21]
	;; [unrolled: 3-line block ×5, first 2 shown]
	global_load_dword v12, v[2:3], off
	global_load_dword v13, v[4:5], off
	;; [unrolled: 1-line block ×5, first 2 shown]
	v_lshlrev_b32_e32 v22, 2, v22
	ds_bpermute_b32 v29, v22, v21
	v_mov_b32_e32 v3, s28
	s_mov_b32 s28, 0x3fb8aa3b
	s_mov_b32 s29, 0x42b17218
	s_waitcnt lgkmcnt(0)
	v_max_f32_e32 v2, v29, v29
	v_max_f32_e32 v4, v21, v2
	v_sub_f32_e32 v1, v1, v4
	v_mul_f32_e32 v2, 0x3fb8aa3b, v1
	v_fma_f32 v5, v1, s28, -v2
	v_rndne_f32_e32 v6, v2
	v_fmac_f32_e32 v5, 0x32a5705f, v1
	v_sub_f32_e32 v2, v2, v6
	v_add_f32_e32 v2, v2, v5
	v_exp_f32_e32 v5, v2
	v_cvt_i32_f32_e32 v6, v6
	v_add_co_u32_e64 v2, s[20:21], s27, v18
	v_addc_co_u32_e64 v3, s[20:21], v3, v19, s[20:21]
	global_load_dword v2, v[2:3], off
	v_ldexp_f32 v3, v5, v6
	v_sub_f32_e32 v6, v36, v4
	v_mul_f32_e32 v7, 0x3fb8aa3b, v6
	v_fma_f32 v8, v6, s28, -v7
	v_rndne_f32_e32 v9, v7
	v_fmac_f32_e32 v8, 0x32a5705f, v6
	v_sub_f32_e32 v7, v7, v9
	v_add_f32_e32 v7, v7, v8
	v_exp_f32_e32 v7, v7
	v_cvt_i32_f32_e32 v8, v9
	s_mov_b32 s27, 0xc2ce8ed0
	v_cmp_ngt_f32_e64 s[20:21], s27, v1
	v_cndmask_b32_e64 v3, 0, v3, s[20:21]
	v_mov_b32_e32 v5, 0x7f800000
	v_cmp_nlt_f32_e64 s[20:21], s29, v1
	v_cndmask_b32_e64 v1, v5, v3, s[20:21]
	v_ldexp_f32 v3, v7, v8
	v_sub_f32_e32 v7, v37, v4
	v_mul_f32_e32 v8, 0x3fb8aa3b, v7
	v_fma_f32 v9, v7, s28, -v8
	v_rndne_f32_e32 v10, v8
	v_fmac_f32_e32 v9, 0x32a5705f, v7
	v_sub_f32_e32 v8, v8, v10
	v_add_f32_e32 v8, v8, v9
	v_exp_f32_e32 v8, v8
	v_cvt_i32_f32_e32 v9, v10
	v_cndmask_b32_e64 v1, 0, v1, s[18:19]
	v_cmp_ngt_f32_e64 s[18:19], s27, v6
	v_cndmask_b32_e64 v3, 0, v3, s[18:19]
	v_cmp_nlt_f32_e64 s[18:19], s29, v6
	v_ldexp_f32 v6, v8, v9
	v_sub_f32_e32 v8, v38, v4
	v_mul_f32_e32 v9, 0x3fb8aa3b, v8
	v_fma_f32 v10, v8, s28, -v9
	v_rndne_f32_e32 v11, v9
	v_fmac_f32_e32 v10, 0x32a5705f, v8
	v_sub_f32_e32 v9, v9, v11
	v_add_f32_e32 v9, v9, v10
	v_exp_f32_e32 v9, v9
	v_cvt_i32_f32_e32 v10, v11
	v_cndmask_b32_e64 v3, v5, v3, s[18:19]
	v_cndmask_b32_e64 v3, 0, v3, s[16:17]
	v_cmp_ngt_f32_e64 s[16:17], s27, v7
	v_cndmask_b32_e64 v6, 0, v6, s[16:17]
	v_cmp_nlt_f32_e64 s[16:17], s29, v7
	v_ldexp_f32 v7, v9, v10
	v_sub_f32_e32 v9, v39, v4
	v_mul_f32_e32 v10, 0x3fb8aa3b, v9
	v_fma_f32 v11, v9, s28, -v10
	v_rndne_f32_e32 v17, v10
	v_fmac_f32_e32 v11, 0x32a5705f, v9
	v_sub_f32_e32 v10, v10, v17
	v_add_f32_e32 v10, v10, v11
	v_exp_f32_e32 v10, v10
	v_cvt_i32_f32_e32 v11, v17
	v_cndmask_b32_e64 v6, v5, v6, s[16:17]
	v_cndmask_b32_e64 v6, 0, v6, s[14:15]
	v_cmp_ngt_f32_e64 s[14:15], s27, v8
	v_cndmask_b32_e64 v7, 0, v7, s[14:15]
	v_cmp_nlt_f32_e64 s[14:15], s29, v8
	v_cndmask_b32_e64 v7, v5, v7, s[14:15]
	v_ldexp_f32 v8, v10, v11
	v_sub_f32_e32 v10, v40, v4
	v_cndmask_b32_e64 v7, 0, v7, s[12:13]
	v_mul_f32_e32 v11, 0x3fb8aa3b, v10
	s_waitcnt vmcnt(5)
	v_mul_f32_e32 v7, v12, v7
	v_fma_f32 v12, v10, s28, -v11
	v_rndne_f32_e32 v17, v11
	v_fmac_f32_e32 v12, 0x32a5705f, v10
	v_sub_f32_e32 v11, v11, v17
	v_add_f32_e32 v11, v11, v12
	v_exp_f32_e32 v11, v11
	v_cvt_i32_f32_e32 v12, v17
	v_cmp_ngt_f32_e64 s[12:13], s27, v9
	v_cndmask_b32_e64 v8, 0, v8, s[12:13]
	v_cmp_nlt_f32_e64 s[12:13], s29, v9
	v_cndmask_b32_e64 v8, v5, v8, s[12:13]
	v_ldexp_f32 v9, v11, v12
	v_sub_f32_e32 v11, v41, v4
	v_cndmask_b32_e64 v8, 0, v8, s[10:11]
	v_mul_f32_e32 v12, 0x3fb8aa3b, v11
	s_waitcnt vmcnt(4)
	v_mul_f32_e32 v8, v13, v8
	v_fma_f32 v13, v11, s28, -v12
	v_rndne_f32_e32 v17, v12
	v_fmac_f32_e32 v13, 0x32a5705f, v11
	v_sub_f32_e32 v12, v12, v17
	v_add_f32_e32 v12, v12, v13
	v_exp_f32_e32 v12, v12
	v_cvt_i32_f32_e32 v13, v17
	v_cmp_ngt_f32_e64 s[10:11], s27, v10
	v_cndmask_b32_e64 v9, 0, v9, s[10:11]
	v_cmp_nlt_f32_e64 s[10:11], s29, v10
	v_cndmask_b32_e64 v9, v5, v9, s[10:11]
	v_ldexp_f32 v10, v12, v13
	v_sub_f32_e32 v12, v42, v4
	v_cndmask_b32_e64 v9, 0, v9, s[8:9]
	v_mul_f32_e32 v13, 0x3fb8aa3b, v12
	s_waitcnt vmcnt(3)
	v_mul_f32_e32 v9, v14, v9
	v_fma_f32 v14, v12, s28, -v13
	v_rndne_f32_e32 v17, v13
	v_fmac_f32_e32 v14, 0x32a5705f, v12
	v_sub_f32_e32 v13, v13, v17
	v_add_f32_e32 v13, v13, v14
	v_exp_f32_e32 v13, v13
	v_cvt_i32_f32_e32 v14, v17
	v_cmp_ngt_f32_e64 s[8:9], s27, v11
	v_sub_f32_e32 v4, v20, v4
	v_cndmask_b32_e64 v10, 0, v10, s[8:9]
	v_cmp_nlt_f32_e64 s[8:9], s29, v11
	v_ldexp_f32 v11, v13, v14
	v_mul_f32_e32 v13, 0x3fb8aa3b, v4
	v_fma_f32 v14, v4, s28, -v13
	v_rndne_f32_e32 v17, v13
	v_fmac_f32_e32 v14, 0x32a5705f, v4
	v_sub_f32_e32 v13, v13, v17
	v_add_f32_e32 v13, v13, v14
	v_cndmask_b32_e64 v10, v5, v10, s[8:9]
	v_exp_f32_e32 v13, v13
	v_cvt_i32_f32_e32 v14, v17
	v_cndmask_b32_e64 v10, 0, v10, s[2:3]
	v_cmp_ngt_f32_e64 s[2:3], s27, v12
	v_cndmask_b32_e64 v11, 0, v11, s[2:3]
	v_cmp_nlt_f32_e64 s[2:3], s29, v12
	v_cndmask_b32_e64 v11, v5, v11, s[2:3]
	v_cndmask_b32_e64 v11, 0, v11, s[0:1]
	v_ldexp_f32 v12, v13, v14
	v_cmp_ngt_f32_e64 s[0:1], s27, v4
	v_mul_f32_e32 v1, v23, v1
	v_mul_f32_e32 v3, v30, v3
	v_cndmask_b32_e64 v12, 0, v12, s[0:1]
	v_cmp_nlt_f32_e64 s[0:1], s29, v4
	v_mul_f32_e32 v6, v31, v6
	v_cndmask_b32_e64 v4, v5, v12, s[0:1]
	v_add_f32_e32 v5, v1, v3
	v_add_f32_e32 v5, v5, v6
	;; [unrolled: 1-line block ×5, first 2 shown]
	s_waitcnt vmcnt(2)
	v_fmac_f32_e32 v5, v15, v10
	v_cndmask_b32_e32 v4, 0, v4, vcc
	s_waitcnt vmcnt(1)
	v_fmac_f32_e32 v5, v16, v11
	s_waitcnt vmcnt(0)
	v_fmac_f32_e32 v5, v2, v4
	ds_bpermute_b32 v12, v24, v5
	v_lshlrev_b32_e32 v13, 2, v0
	ds_write2st64_b32 v13, v1, v3 offset1:1
	ds_write2st64_b32 v13, v6, v7 offset0:2 offset1:3
	v_mul_f32_e32 v4, v2, v4
	v_cmp_eq_u32_e32 vcc, 0, v0
	s_waitcnt lgkmcnt(2)
	v_add_f32_e32 v5, v5, v12
	ds_bpermute_b32 v12, v25, v5
	v_mul_f32_e32 v10, v15, v10
	v_mul_f32_e32 v11, v16, v11
	ds_write2st64_b32 v13, v8, v9 offset0:4 offset1:5
	ds_write2st64_b32 v13, v10, v11 offset0:6 offset1:7
	ds_write_b32 v13, v4 offset:2048
	s_waitcnt lgkmcnt(3)
	v_add_f32_e32 v5, v5, v12
	ds_bpermute_b32 v12, v26, v5
	s_waitcnt lgkmcnt(0)
	v_add_f32_e32 v5, v5, v12
	ds_bpermute_b32 v12, v27, v5
	;; [unrolled: 3-line block ×4, first 2 shown]
	s_and_saveexec_b64 s[0:1], vcc
	s_cbranch_execz .LBB28_8
; %bb.7:
	s_waitcnt lgkmcnt(0)
	v_add_f32_e32 v1, v1, v2
	v_mov_b32_e32 v2, 0
	ds_write_b32 v2, v1 offset:2304
.LBB28_8:
	s_or_b64 exec, exec, s[0:1]
	v_mov_b32_e32 v1, s26
.LBB28_9:
	s_or_b64 exec, exec, s[40:41]
	s_lshl_b32 s0, s42, 6
	s_mov_b32 s1, 0
	s_lshl_b64 s[0:1], s[0:1], 1
	s_add_u32 s0, s24, s0
	s_addc_u32 s1, s25, s1
	s_lshl_b32 s10, s33, 6
	s_waitcnt lgkmcnt(0)
	v_lshlrev_b32_e32 v2, 6, v1
	v_mov_b32_e32 v3, 0
	s_sub_i32 s11, s10, 64
	v_lshlrev_b64 v[4:5], 1, v[2:3]
	s_cmp_lt_i32 s46, 1
	v_mov_b32_e32 v1, s1
	v_add_co_u32_e32 v4, vcc, s0, v4
	s_cselect_b32 s0, s11, 0
	v_addc_co_u32_e32 v1, vcc, v1, v5, vcc
	v_lshlrev_b32_e32 v2, 1, v0
	s_ashr_i32 s1, s0, 31
	v_add_co_u32_e32 v0, vcc, v4, v2
	s_lshl_b64 s[0:1], s[0:1], 1
	v_addc_co_u32_e32 v1, vcc, 0, v1, vcc
	s_cmpk_lt_i32 s46, 0x101
	v_add_co_u32_e32 v12, vcc, s0, v0
	s_cselect_b32 s0, s11, 64
	v_mov_b32_e32 v4, s1
	s_ashr_i32 s1, s0, 31
	s_lshl_b64 s[0:1], s[0:1], 1
	v_addc_co_u32_e32 v13, vcc, v1, v4, vcc
	s_cmpk_lt_i32 s46, 0x201
	v_add_co_u32_e32 v14, vcc, s0, v0
	s_cselect_b32 s0, s11, 0x80
	v_mov_b32_e32 v4, s1
	s_ashr_i32 s1, s0, 31
	;; [unrolled: 7-line block ×8, first 2 shown]
	s_lshl_b64 s[0:1], s[0:1], 1
	v_addc_co_u32_e32 v27, vcc, v1, v4, vcc
	s_cmpk_lt_i32 s46, 0x901
	global_load_ushort v4, v[12:13], off
	global_load_ushort v5, v[14:15], off
	;; [unrolled: 1-line block ×8, first 2 shown]
	v_add_co_u32_e32 v20, vcc, s0, v0
	s_cselect_b32 s0, s11, 0x240
	v_mov_b32_e32 v12, s1
	s_ashr_i32 s1, s0, 31
	s_lshl_b64 s[0:1], s[0:1], 1
	v_addc_co_u32_e32 v21, vcc, v1, v12, vcc
	s_cmpk_lt_i32 s46, 0xa01
	v_add_co_u32_e32 v22, vcc, s0, v0
	s_cselect_b32 s0, s11, 0x280
	v_mov_b32_e32 v12, s1
	s_ashr_i32 s1, s0, 31
	s_lshl_b64 s[0:1], s[0:1], 1
	v_addc_co_u32_e32 v23, vcc, v1, v12, vcc
	s_cmpk_lt_i32 s46, 0xb01
	v_add_co_u32_e32 v24, vcc, s0, v0
	s_cselect_b32 s0, s11, 0x2c0
	v_mov_b32_e32 v12, s1
	s_ashr_i32 s1, s0, 31
	s_lshl_b64 s[0:1], s[0:1], 1
	v_addc_co_u32_e32 v25, vcc, v1, v12, vcc
	s_cmpk_lt_i32 s46, 0xc01
	v_add_co_u32_e32 v26, vcc, s0, v0
	s_cselect_b32 s0, s11, 0x300
	v_mov_b32_e32 v12, s1
	s_ashr_i32 s1, s0, 31
	s_lshl_b64 s[0:1], s[0:1], 1
	v_addc_co_u32_e32 v27, vcc, v1, v12, vcc
	s_cmpk_lt_i32 s46, 0xd01
	v_add_co_u32_e32 v28, vcc, s0, v0
	s_cselect_b32 s0, s11, 0x340
	v_mov_b32_e32 v12, s1
	s_ashr_i32 s1, s0, 31
	s_lshl_b64 s[0:1], s[0:1], 1
	v_addc_co_u32_e32 v29, vcc, v1, v12, vcc
	s_cmpk_lt_i32 s46, 0xe01
	v_add_co_u32_e32 v30, vcc, s0, v0
	s_cselect_b32 s0, s11, 0x380
	v_mov_b32_e32 v12, s1
	s_ashr_i32 s1, s0, 31
	s_lshl_b64 s[0:1], s[0:1], 1
	v_addc_co_u32_e32 v31, vcc, v1, v12, vcc
	s_cmpk_lt_i32 s46, 0xf01
	v_add_co_u32_e32 v32, vcc, s0, v0
	s_cselect_b32 s0, s11, 0x3c0
	v_mov_b32_e32 v12, s1
	s_ashr_i32 s1, s0, 31
	v_addc_co_u32_e32 v33, vcc, v1, v12, vcc
	s_lshl_b64 s[0:1], s[0:1], 1
	v_mov_b32_e32 v12, s1
	v_add_co_u32_e32 v34, vcc, s0, v0
	v_addc_co_u32_e32 v35, vcc, v1, v12, vcc
	global_load_ushort v12, v[20:21], off
	global_load_ushort v13, v[22:23], off
	;; [unrolled: 1-line block ×8, first 2 shown]
	s_cmpk_gt_i32 s46, 0x1000
	s_cselect_b64 s[8:9], -1, 0
	s_cmpk_lt_i32 s46, 0x1001
	v_mov_b32_e32 v36, 0
	v_mov_b32_e32 v37, 0
	;; [unrolled: 1-line block ×48, first 2 shown]
	s_waitcnt lgkmcnt(0)
	; wave barrier
	s_cbranch_scc1 .LBB28_12
; %bb.10:
	s_cmpk_lt_u32 s46, 0x1101
	s_cselect_b32 s0, s11, 0x440
	s_ashr_i32 s1, s0, 31
	s_lshl_b64 s[0:1], s[0:1], 1
	s_cmpk_lt_u32 s46, 0x1201
	v_add_co_u32_e32 v28, vcc, s0, v0
	s_cselect_b32 s0, s11, 0x480
	v_mov_b32_e32 v20, s1
	s_ashr_i32 s1, s0, 31
	s_lshl_b64 s[0:1], s[0:1], 1
	v_addc_co_u32_e32 v29, vcc, v1, v20, vcc
	s_cmpk_lt_u32 s46, 0x1301
	v_add_co_u32_e32 v30, vcc, s0, v0
	s_cselect_b32 s0, s11, 0x4c0
	v_mov_b32_e32 v20, s1
	s_ashr_i32 s1, s0, 31
	s_lshl_b64 s[0:1], s[0:1], 1
	v_addc_co_u32_e32 v31, vcc, v1, v20, vcc
	;; [unrolled: 7-line block ×7, first 2 shown]
	s_cmpk_lt_u32 s46, 0x1901
	global_load_ushort v27, v[0:1], off offset:2048
	global_load_ushort v26, v[28:29], off
	global_load_ushort v25, v[30:31], off
	;; [unrolled: 1-line block ×7, first 2 shown]
	v_add_co_u32_e32 v36, vcc, s0, v0
	s_cselect_b32 s0, s11, 0x640
	v_mov_b32_e32 v28, s1
	s_ashr_i32 s1, s0, 31
	s_lshl_b64 s[0:1], s[0:1], 1
	v_addc_co_u32_e32 v37, vcc, v1, v28, vcc
	s_cmpk_lt_u32 s46, 0x1a01
	v_add_co_u32_e32 v38, vcc, s0, v0
	s_cselect_b32 s0, s11, 0x680
	v_mov_b32_e32 v28, s1
	s_ashr_i32 s1, s0, 31
	s_lshl_b64 s[0:1], s[0:1], 1
	v_addc_co_u32_e32 v39, vcc, v1, v28, vcc
	s_cmpk_lt_u32 s46, 0x1b01
	;; [unrolled: 7-line block ×6, first 2 shown]
	v_add_co_u32_e32 v48, vcc, s0, v0
	s_cselect_b32 s0, s11, 0x7c0
	v_mov_b32_e32 v28, s1
	s_ashr_i32 s1, s0, 31
	v_addc_co_u32_e32 v49, vcc, v1, v28, vcc
	s_lshl_b64 s[0:1], s[0:1], 1
	v_mov_b32_e32 v28, s1
	v_add_co_u32_e32 v50, vcc, s0, v0
	v_addc_co_u32_e32 v51, vcc, v1, v28, vcc
	global_load_ushort v35, v[36:37], off
	global_load_ushort v34, v[38:39], off
	;; [unrolled: 1-line block ×8, first 2 shown]
	s_cmpk_lt_u32 s46, 0x2001
	v_mov_b32_e32 v67, 0
	v_mov_b32_e32 v66, 0
	;; [unrolled: 1-line block ×32, first 2 shown]
	s_cbranch_scc1 .LBB28_12
; %bb.11:
	s_cmpk_lt_u32 s46, 0x2101
	s_cselect_b32 s0, s11, 0x840
	s_ashr_i32 s1, s0, 31
	v_add_co_u32_e32 v36, vcc, 0x1000, v0
	s_lshl_b64 s[0:1], s[0:1], 1
	v_addc_co_u32_e32 v37, vcc, 0, v1, vcc
	s_cmpk_lt_u32 s46, 0x2201
	v_add_co_u32_e32 v38, vcc, s0, v0
	s_cselect_b32 s0, s11, 0x880
	v_mov_b32_e32 v39, s1
	s_ashr_i32 s1, s0, 31
	s_lshl_b64 s[0:1], s[0:1], 1
	v_addc_co_u32_e32 v39, vcc, v1, v39, vcc
	s_cmpk_lt_u32 s46, 0x2301
	v_add_co_u32_e32 v40, vcc, s0, v0
	s_cselect_b32 s0, s11, 0x8c0
	v_mov_b32_e32 v41, s1
	s_ashr_i32 s1, s0, 31
	s_lshl_b64 s[0:1], s[0:1], 1
	v_addc_co_u32_e32 v41, vcc, v1, v41, vcc
	s_cmpk_lt_u32 s46, 0x2401
	v_add_co_u32_e32 v42, vcc, s0, v0
	s_cselect_b32 s0, s11, 0x900
	v_mov_b32_e32 v43, s1
	s_ashr_i32 s1, s0, 31
	s_lshl_b64 s[0:1], s[0:1], 1
	v_addc_co_u32_e32 v43, vcc, v1, v43, vcc
	s_cmpk_lt_u32 s46, 0x2501
	v_add_co_u32_e32 v44, vcc, s0, v0
	s_cselect_b32 s0, s11, 0x940
	v_mov_b32_e32 v45, s1
	s_ashr_i32 s1, s0, 31
	s_lshl_b64 s[0:1], s[0:1], 1
	v_addc_co_u32_e32 v45, vcc, v1, v45, vcc
	s_cmpk_lt_u32 s46, 0x2601
	v_add_co_u32_e32 v46, vcc, s0, v0
	s_cselect_b32 s0, s11, 0x980
	v_mov_b32_e32 v47, s1
	s_ashr_i32 s1, s0, 31
	s_lshl_b64 s[0:1], s[0:1], 1
	v_addc_co_u32_e32 v47, vcc, v1, v47, vcc
	s_cmpk_lt_u32 s46, 0x2701
	v_add_co_u32_e32 v48, vcc, s0, v0
	s_cselect_b32 s0, s11, 0x9c0
	v_mov_b32_e32 v49, s1
	s_ashr_i32 s1, s0, 31
	s_lshl_b64 s[0:1], s[0:1], 1
	v_addc_co_u32_e32 v49, vcc, v1, v49, vcc
	s_cmpk_lt_u32 s46, 0x2801
	v_add_co_u32_e32 v50, vcc, s0, v0
	s_cselect_b32 s0, s11, 0xa00
	v_mov_b32_e32 v51, s1
	s_ashr_i32 s1, s0, 31
	s_lshl_b64 s[0:1], s[0:1], 1
	v_addc_co_u32_e32 v51, vcc, v1, v51, vcc
	s_cmpk_lt_u32 s46, 0x2901
	global_load_ushort v52, v[36:37], off
	global_load_ushort v53, v[38:39], off
	global_load_ushort v54, v[40:41], off
	global_load_ushort v55, v[42:43], off
	global_load_ushort v56, v[44:45], off
	global_load_ushort v57, v[46:47], off
	global_load_ushort v58, v[48:49], off
	global_load_ushort v59, v[50:51], off
	v_add_co_u32_e32 v36, vcc, s0, v0
	s_cselect_b32 s0, s11, 0xa40
	v_mov_b32_e32 v37, s1
	s_ashr_i32 s1, s0, 31
	s_lshl_b64 s[0:1], s[0:1], 1
	v_addc_co_u32_e32 v37, vcc, v1, v37, vcc
	s_cmpk_lt_u32 s46, 0x2a01
	v_add_co_u32_e32 v38, vcc, s0, v0
	s_cselect_b32 s0, s11, 0xa80
	v_mov_b32_e32 v39, s1
	s_ashr_i32 s1, s0, 31
	s_lshl_b64 s[0:1], s[0:1], 1
	v_addc_co_u32_e32 v39, vcc, v1, v39, vcc
	s_cmpk_lt_u32 s46, 0x2b01
	v_add_co_u32_e32 v40, vcc, s0, v0
	s_cselect_b32 s0, s11, 0xac0
	v_mov_b32_e32 v41, s1
	s_ashr_i32 s1, s0, 31
	s_lshl_b64 s[0:1], s[0:1], 1
	v_addc_co_u32_e32 v41, vcc, v1, v41, vcc
	s_cmpk_lt_u32 s46, 0x2c01
	v_add_co_u32_e32 v42, vcc, s0, v0
	s_cselect_b32 s0, s11, 0xb00
	v_mov_b32_e32 v43, s1
	s_ashr_i32 s1, s0, 31
	s_lshl_b64 s[0:1], s[0:1], 1
	v_addc_co_u32_e32 v43, vcc, v1, v43, vcc
	s_cmpk_lt_u32 s46, 0x2d01
	v_add_co_u32_e32 v44, vcc, s0, v0
	s_cselect_b32 s0, s11, 0xb40
	v_mov_b32_e32 v45, s1
	s_ashr_i32 s1, s0, 31
	s_lshl_b64 s[0:1], s[0:1], 1
	v_addc_co_u32_e32 v45, vcc, v1, v45, vcc
	s_cmpk_lt_u32 s46, 0x2e01
	v_add_co_u32_e32 v46, vcc, s0, v0
	s_cselect_b32 s0, s11, 0xb80
	v_mov_b32_e32 v47, s1
	s_ashr_i32 s1, s0, 31
	s_lshl_b64 s[0:1], s[0:1], 1
	v_addc_co_u32_e32 v47, vcc, v1, v47, vcc
	s_cmpk_lt_u32 s46, 0x2f01
	v_add_co_u32_e32 v48, vcc, s0, v0
	s_cselect_b32 s0, s11, 0xbc0
	v_mov_b32_e32 v49, s1
	s_ashr_i32 s1, s0, 31
	s_lshl_b64 s[0:1], s[0:1], 1
	v_addc_co_u32_e32 v49, vcc, v1, v49, vcc
	s_cmpk_lt_u32 s46, 0x3001
	v_add_co_u32_e32 v50, vcc, s0, v0
	s_cselect_b32 s0, s11, 0xc00
	v_mov_b32_e32 v51, s1
	s_ashr_i32 s1, s0, 31
	s_lshl_b64 s[0:1], s[0:1], 1
	v_addc_co_u32_e32 v51, vcc, v1, v51, vcc
	s_cmpk_lt_u32 s46, 0x3101
	global_load_ushort v68, v[36:37], off
	global_load_ushort v69, v[38:39], off
	global_load_ushort v70, v[40:41], off
	global_load_ushort v71, v[42:43], off
	global_load_ushort v72, v[44:45], off
	global_load_ushort v73, v[46:47], off
	global_load_ushort v74, v[48:49], off
	global_load_ushort v75, v[50:51], off
	v_add_co_u32_e32 v36, vcc, s0, v0
	s_cselect_b32 s0, s11, 0xc40
	v_mov_b32_e32 v37, s1
	s_ashr_i32 s1, s0, 31
	;; [unrolled: 64-line block ×3, first 2 shown]
	s_lshl_b64 s[0:1], s[0:1], 1
	v_addc_co_u32_e32 v37, vcc, v1, v37, vcc
	s_cmpk_lt_u32 s46, 0x3a01
	v_add_co_u32_e32 v38, vcc, s0, v0
	s_cselect_b32 s0, s11, 0xe80
	v_mov_b32_e32 v39, s1
	s_ashr_i32 s1, s0, 31
	s_lshl_b64 s[0:1], s[0:1], 1
	v_addc_co_u32_e32 v39, vcc, v1, v39, vcc
	s_cmpk_lt_u32 s46, 0x3b01
	v_add_co_u32_e32 v40, vcc, s0, v0
	s_cselect_b32 s0, s11, 0xec0
	v_mov_b32_e32 v41, s1
	s_ashr_i32 s1, s0, 31
	s_lshl_b64 s[0:1], s[0:1], 1
	v_addc_co_u32_e32 v41, vcc, v1, v41, vcc
	s_cmpk_lt_u32 s46, 0x3c01
	v_add_co_u32_e32 v42, vcc, s0, v0
	s_cselect_b32 s0, s11, 0xf00
	v_mov_b32_e32 v43, s1
	s_ashr_i32 s1, s0, 31
	s_lshl_b64 s[0:1], s[0:1], 1
	v_addc_co_u32_e32 v43, vcc, v1, v43, vcc
	s_cmpk_lt_u32 s46, 0x3d01
	v_add_co_u32_e32 v44, vcc, s0, v0
	s_cselect_b32 s0, s11, 0xf40
	v_mov_b32_e32 v45, s1
	s_ashr_i32 s1, s0, 31
	s_lshl_b64 s[0:1], s[0:1], 1
	v_addc_co_u32_e32 v45, vcc, v1, v45, vcc
	s_cmpk_lt_u32 s46, 0x3e01
	v_add_co_u32_e32 v46, vcc, s0, v0
	s_cselect_b32 s0, s11, 0xf80
	v_mov_b32_e32 v47, s1
	s_ashr_i32 s1, s0, 31
	s_lshl_b64 s[0:1], s[0:1], 1
	v_addc_co_u32_e32 v47, vcc, v1, v47, vcc
	s_cmpk_lt_u32 s46, 0x3f01
	v_add_co_u32_e32 v48, vcc, s0, v0
	s_cselect_b32 s0, s11, 0xfc0
	v_mov_b32_e32 v49, s1
	s_ashr_i32 s1, s0, 31
	v_addc_co_u32_e32 v49, vcc, v1, v49, vcc
	s_lshl_b64 s[0:1], s[0:1], 1
	v_mov_b32_e32 v51, s1
	v_add_co_u32_e32 v50, vcc, s0, v0
	v_addc_co_u32_e32 v51, vcc, v1, v51, vcc
	global_load_ushort v84, v[36:37], off
	global_load_ushort v85, v[38:39], off
	global_load_ushort v86, v[40:41], off
	global_load_ushort v87, v[42:43], off
	global_load_ushort v88, v[44:45], off
	global_load_ushort v89, v[46:47], off
	global_load_ushort v90, v[48:49], off
	global_load_ushort v91, v[50:51], off
	s_waitcnt vmcnt(31)
	v_cvt_f32_f16_e32 v67, v52
	s_waitcnt vmcnt(30)
	v_cvt_f32_f16_e32 v66, v53
	s_waitcnt vmcnt(29)
	v_cvt_f32_f16_e32 v65, v54
	s_waitcnt vmcnt(28)
	v_cvt_f32_f16_e32 v64, v55
	s_waitcnt vmcnt(27)
	v_cvt_f32_f16_e32 v63, v56
	s_waitcnt vmcnt(26)
	v_cvt_f32_f16_e32 v62, v57
	s_waitcnt vmcnt(25)
	v_cvt_f32_f16_e32 v61, v58
	s_waitcnt vmcnt(24)
	v_cvt_f32_f16_e32 v60, v59
	s_waitcnt vmcnt(23)
	v_cvt_f32_f16_e32 v59, v68
	s_waitcnt vmcnt(22)
	v_cvt_f32_f16_e32 v58, v69
	s_waitcnt vmcnt(21)
	v_cvt_f32_f16_e32 v57, v70
	s_waitcnt vmcnt(20)
	v_cvt_f32_f16_e32 v56, v71
	s_waitcnt vmcnt(19)
	v_cvt_f32_f16_e32 v55, v72
	s_waitcnt vmcnt(18)
	v_cvt_f32_f16_e32 v54, v73
	s_waitcnt vmcnt(17)
	v_cvt_f32_f16_e32 v53, v74
	s_waitcnt vmcnt(16)
	v_cvt_f32_f16_e32 v52, v75
	s_waitcnt vmcnt(15)
	v_cvt_f32_f16_e32 v51, v76
	s_waitcnt vmcnt(14)
	v_cvt_f32_f16_e32 v50, v77
	s_waitcnt vmcnt(13)
	v_cvt_f32_f16_e32 v49, v78
	s_waitcnt vmcnt(12)
	v_cvt_f32_f16_e32 v48, v79
	s_waitcnt vmcnt(11)
	v_cvt_f32_f16_e32 v47, v80
	s_waitcnt vmcnt(10)
	v_cvt_f32_f16_e32 v46, v81
	s_waitcnt vmcnt(9)
	v_cvt_f32_f16_e32 v45, v82
	s_waitcnt vmcnt(8)
	v_cvt_f32_f16_e32 v44, v83
	s_waitcnt vmcnt(7)
	v_cvt_f32_f16_e32 v43, v84
	s_waitcnt vmcnt(6)
	v_cvt_f32_f16_e32 v42, v85
	s_waitcnt vmcnt(5)
	v_cvt_f32_f16_e32 v41, v86
	s_waitcnt vmcnt(4)
	v_cvt_f32_f16_e32 v40, v87
	s_waitcnt vmcnt(3)
	v_cvt_f32_f16_e32 v39, v88
	s_waitcnt vmcnt(2)
	v_cvt_f32_f16_e32 v38, v89
	s_waitcnt vmcnt(1)
	v_cvt_f32_f16_e32 v37, v90
	s_waitcnt vmcnt(0)
	v_cvt_f32_f16_e32 v36, v91
.LBB28_12:
	ds_read_b128 v[68:71], v3
	s_load_dwordx2 s[0:1], s[4:5], 0x0
	s_load_dwordx2 s[2:3], s[4:5], 0x38
	ds_read_b128 v[72:75], v3 offset:16
	ds_read_b128 v[76:79], v3 offset:32
	;; [unrolled: 1-line block ×3, first 2 shown]
	s_and_b64 vcc, exec, s[8:9]
	s_waitcnt vmcnt(15) lgkmcnt(0)
	v_fma_mix_f32 v4, v68, v4, 0 op_sel_hi:[0,1,0]
	s_waitcnt vmcnt(14)
	v_fma_mix_f32 v4, v69, v5, v4 op_sel_hi:[0,1,0]
	s_waitcnt vmcnt(13)
	;; [unrolled: 2-line block ×15, first 2 shown]
	v_fma_mix_f32 v4, v83, v19, v4 op_sel_hi:[0,1,0]
	s_cbranch_vccz .LBB28_15
; %bb.13:
	ds_read_b128 v[6:9], v3 offset:64
	ds_read_b128 v[10:13], v3 offset:80
	;; [unrolled: 1-line block ×4, first 2 shown]
	s_cmpk_lt_u32 s46, 0x2001
	s_waitcnt lgkmcnt(3)
	v_fma_mix_f32 v3, v6, v27, v4 op_sel_hi:[0,1,0]
	v_fma_mix_f32 v3, v7, v26, v3 op_sel_hi:[0,1,0]
	v_fma_mix_f32 v3, v8, v25, v3 op_sel_hi:[0,1,0]
	v_fma_mix_f32 v3, v9, v24, v3 op_sel_hi:[0,1,0]
	s_waitcnt lgkmcnt(2)
	v_fma_mix_f32 v3, v10, v23, v3 op_sel_hi:[0,1,0]
	v_fma_mix_f32 v3, v11, v22, v3 op_sel_hi:[0,1,0]
	v_fma_mix_f32 v3, v12, v20, v3 op_sel_hi:[0,1,0]
	v_fma_mix_f32 v3, v13, v21, v3 op_sel_hi:[0,1,0]
	;; [unrolled: 5-line block ×4, first 2 shown]
	s_cbranch_scc1 .LBB28_15
; %bb.14:
	v_mov_b32_e32 v3, 0
	ds_read_b128 v[6:9], v3 offset:128
	ds_read_b128 v[10:13], v3 offset:144
	;; [unrolled: 1-line block ×4, first 2 shown]
	s_waitcnt lgkmcnt(3)
	v_fmac_f32_e32 v4, v6, v67
	v_fmac_f32_e32 v4, v7, v66
	v_fmac_f32_e32 v4, v8, v65
	v_fmac_f32_e32 v4, v9, v64
	s_waitcnt lgkmcnt(2)
	v_fmac_f32_e32 v4, v10, v63
	v_fmac_f32_e32 v4, v11, v62
	v_fmac_f32_e32 v4, v12, v61
	v_fmac_f32_e32 v4, v13, v60
	s_waitcnt lgkmcnt(1)
	v_fmac_f32_e32 v4, v14, v59
	v_fmac_f32_e32 v4, v15, v58
	v_fmac_f32_e32 v4, v16, v57
	v_fmac_f32_e32 v4, v17, v56
	ds_read_b128 v[6:9], v3 offset:192
	ds_read_b128 v[10:13], v3 offset:208
	s_waitcnt lgkmcnt(2)
	v_fmac_f32_e32 v4, v18, v55
	v_fmac_f32_e32 v4, v19, v54
	;; [unrolled: 1-line block ×4, first 2 shown]
	s_waitcnt lgkmcnt(1)
	v_fmac_f32_e32 v4, v6, v51
	v_fmac_f32_e32 v4, v7, v50
	v_fmac_f32_e32 v4, v8, v49
	v_fmac_f32_e32 v4, v9, v48
	ds_read_b128 v[6:9], v3 offset:224
	s_waitcnt lgkmcnt(1)
	v_fmac_f32_e32 v4, v10, v47
	v_fmac_f32_e32 v4, v11, v46
	v_fmac_f32_e32 v4, v12, v45
	v_fmac_f32_e32 v4, v13, v44
	ds_read_b128 v[10:13], v3 offset:240
	s_waitcnt lgkmcnt(1)
	v_fmac_f32_e32 v4, v6, v43
	v_fmac_f32_e32 v4, v7, v42
	;; [unrolled: 1-line block ×4, first 2 shown]
	s_waitcnt lgkmcnt(0)
	v_fmac_f32_e32 v4, v10, v39
	v_fmac_f32_e32 v4, v11, v38
	;; [unrolled: 1-line block ×4, first 2 shown]
.LBB28_15:
	s_movk_i32 s4, 0x1fc0
	s_movk_i32 s5, 0x100
	s_mov_b32 s8, 64
	s_branch .LBB28_17
.LBB28_16:                              ;   in Loop: Header=BB28_17 Depth=1
	s_addk_i32 s4, 0x1000
	s_addk_i32 s5, 0x100
	s_add_i32 s8, s8, 64
	s_cmpk_eq_u32 s4, 0x9fc0
	s_cbranch_scc1 .LBB28_19
.LBB28_17:                              ; =>This Inner Loop Header: Depth=1
	s_cmp_le_i32 s33, s8
	s_cbranch_scc1 .LBB28_16
; %bb.18:                               ;   in Loop: Header=BB28_17 Depth=1
	s_add_i32 s9, s4, 0xfffff040
	s_cmp_lt_i32 s9, s10
	s_cselect_b32 s12, s9, s11
	s_ashr_i32 s13, s12, 31
	s_lshl_b64 s[12:13], s[12:13], 1
	s_add_i32 s9, s4, 0xfffff080
	s_cmp_lt_i32 s9, s10
	v_add_co_u32_e32 v12, vcc, s12, v0
	s_cselect_b32 s12, s9, s11
	v_mov_b32_e32 v3, s13
	s_ashr_i32 s13, s12, 31
	s_lshl_b64 s[12:13], s[12:13], 1
	s_add_i32 s9, s4, 0xfffff0c0
	v_addc_co_u32_e32 v13, vcc, v1, v3, vcc
	s_cmp_lt_i32 s9, s10
	v_add_co_u32_e32 v14, vcc, s12, v0
	s_cselect_b32 s12, s9, s11
	v_mov_b32_e32 v3, s13
	s_ashr_i32 s13, s12, 31
	s_lshl_b64 s[12:13], s[12:13], 1
	s_add_i32 s9, s4, 0xfffff100
	v_addc_co_u32_e32 v15, vcc, v1, v3, vcc
	;; [unrolled: 8-line block ×8, first 2 shown]
	s_cmp_lt_i32 s9, s10
	global_load_ushort v3, v[12:13], off
	global_load_ushort v5, v[14:15], off
	;; [unrolled: 1-line block ×8, first 2 shown]
	v_add_co_u32_e32 v20, vcc, s12, v0
	s_cselect_b32 s12, s9, s11
	v_mov_b32_e32 v12, s13
	s_ashr_i32 s13, s12, 31
	s_lshl_b64 s[12:13], s[12:13], 1
	s_add_i32 s9, s4, 0xfffff2c0
	v_addc_co_u32_e32 v21, vcc, v1, v12, vcc
	s_cmp_lt_i32 s9, s10
	v_add_co_u32_e32 v22, vcc, s12, v0
	s_cselect_b32 s12, s9, s11
	v_mov_b32_e32 v12, s13
	s_ashr_i32 s13, s12, 31
	s_lshl_b64 s[12:13], s[12:13], 1
	s_add_i32 s9, s4, 0xfffff300
	v_addc_co_u32_e32 v23, vcc, v1, v12, vcc
	s_cmp_lt_i32 s9, s10
	;; [unrolled: 8-line block ×8, first 2 shown]
	global_load_ushort v15, v[20:21], off
	global_load_ushort v16, v[22:23], off
	;; [unrolled: 1-line block ×8, first 2 shown]
	v_add_co_u32_e32 v28, vcc, s12, v0
	s_cselect_b32 s12, s9, s11
	v_mov_b32_e32 v20, s13
	s_ashr_i32 s13, s12, 31
	s_lshl_b64 s[12:13], s[12:13], 1
	s_add_i32 s9, s4, 0xfffff4c0
	v_addc_co_u32_e32 v29, vcc, v1, v20, vcc
	s_cmp_lt_i32 s9, s10
	v_add_co_u32_e32 v30, vcc, s12, v0
	s_cselect_b32 s12, s9, s11
	v_mov_b32_e32 v20, s13
	s_ashr_i32 s13, s12, 31
	s_lshl_b64 s[12:13], s[12:13], 1
	s_add_i32 s9, s4, 0xfffff500
	v_addc_co_u32_e32 v31, vcc, v1, v20, vcc
	s_cmp_lt_i32 s9, s10
	;; [unrolled: 8-line block ×8, first 2 shown]
	global_load_ushort v23, v[28:29], off
	global_load_ushort v24, v[30:31], off
	;; [unrolled: 1-line block ×8, first 2 shown]
	v_add_co_u32_e32 v36, vcc, s12, v0
	s_cselect_b32 s12, s9, s11
	v_mov_b32_e32 v28, s13
	s_ashr_i32 s13, s12, 31
	s_lshl_b64 s[12:13], s[12:13], 1
	s_add_i32 s9, s4, 0xfffff6c0
	v_addc_co_u32_e32 v37, vcc, v1, v28, vcc
	s_cmp_lt_i32 s9, s10
	v_add_co_u32_e32 v38, vcc, s12, v0
	s_cselect_b32 s12, s9, s11
	v_mov_b32_e32 v28, s13
	s_ashr_i32 s13, s12, 31
	s_lshl_b64 s[12:13], s[12:13], 1
	s_add_i32 s9, s4, 0xfffff700
	v_addc_co_u32_e32 v39, vcc, v1, v28, vcc
	s_cmp_lt_i32 s9, s10
	;; [unrolled: 8-line block ×8, first 2 shown]
	global_load_ushort v31, v[36:37], off
	global_load_ushort v32, v[38:39], off
	;; [unrolled: 1-line block ×8, first 2 shown]
	v_add_co_u32_e32 v36, vcc, s12, v0
	s_cselect_b32 s12, s9, s11
	v_mov_b32_e32 v37, s13
	s_ashr_i32 s13, s12, 31
	s_lshl_b64 s[12:13], s[12:13], 1
	s_add_i32 s9, s4, 0xfffff8c0
	v_addc_co_u32_e32 v37, vcc, v1, v37, vcc
	s_cmp_lt_i32 s9, s10
	v_add_co_u32_e32 v38, vcc, s12, v0
	s_cselect_b32 s12, s9, s11
	v_mov_b32_e32 v39, s13
	s_ashr_i32 s13, s12, 31
	s_lshl_b64 s[12:13], s[12:13], 1
	s_add_i32 s9, s4, 0xfffff900
	v_addc_co_u32_e32 v39, vcc, v1, v39, vcc
	s_cmp_lt_i32 s9, s10
	;; [unrolled: 8-line block ×8, first 2 shown]
	global_load_ushort v52, v[36:37], off
	global_load_ushort v53, v[38:39], off
	;; [unrolled: 1-line block ×8, first 2 shown]
	v_add_co_u32_e32 v36, vcc, s12, v0
	s_cselect_b32 s12, s9, s11
	v_mov_b32_e32 v37, s13
	s_ashr_i32 s13, s12, 31
	s_lshl_b64 s[12:13], s[12:13], 1
	s_add_i32 s9, s4, 0xfffffac0
	v_addc_co_u32_e32 v37, vcc, v1, v37, vcc
	s_cmp_lt_i32 s9, s10
	v_add_co_u32_e32 v38, vcc, s12, v0
	s_cselect_b32 s12, s9, s11
	v_mov_b32_e32 v39, s13
	s_ashr_i32 s13, s12, 31
	s_lshl_b64 s[12:13], s[12:13], 1
	s_add_i32 s9, s4, 0xfffffb00
	v_addc_co_u32_e32 v39, vcc, v1, v39, vcc
	s_cmp_lt_i32 s9, s10
	;; [unrolled: 8-line block ×8, first 2 shown]
	global_load_ushort v60, v[36:37], off
	global_load_ushort v61, v[38:39], off
	;; [unrolled: 1-line block ×8, first 2 shown]
	v_add_co_u32_e32 v36, vcc, s12, v0
	s_cselect_b32 s12, s9, s11
	v_mov_b32_e32 v37, s13
	s_ashr_i32 s13, s12, 31
	s_lshl_b64 s[12:13], s[12:13], 1
	s_add_i32 s9, s4, 0xfffffcc0
	v_addc_co_u32_e32 v37, vcc, v1, v37, vcc
	s_cmp_lt_i32 s9, s10
	v_add_co_u32_e32 v38, vcc, s12, v0
	s_cselect_b32 s12, s9, s11
	v_mov_b32_e32 v39, s13
	s_ashr_i32 s13, s12, 31
	s_lshl_b64 s[12:13], s[12:13], 1
	s_add_i32 s9, s4, 0xfffffd00
	v_addc_co_u32_e32 v39, vcc, v1, v39, vcc
	s_cmp_lt_i32 s9, s10
	v_add_co_u32_e32 v40, vcc, s12, v0
	s_cselect_b32 s12, s9, s11
	v_mov_b32_e32 v41, s13
	s_ashr_i32 s13, s12, 31
	s_lshl_b64 s[12:13], s[12:13], 1
	s_add_i32 s9, s4, 0xfffffd40
	v_addc_co_u32_e32 v41, vcc, v1, v41, vcc
	s_cmp_lt_i32 s9, s10
	v_add_co_u32_e32 v42, vcc, s12, v0
	s_cselect_b32 s12, s9, s11
	v_mov_b32_e32 v43, s13
	s_ashr_i32 s13, s12, 31
	s_lshl_b64 s[12:13], s[12:13], 1
	s_add_i32 s9, s4, 0xfffffd80
	v_addc_co_u32_e32 v43, vcc, v1, v43, vcc
	s_cmp_lt_i32 s9, s10
	v_add_co_u32_e32 v44, vcc, s12, v0
	s_cselect_b32 s12, s9, s11
	v_mov_b32_e32 v45, s13
	s_ashr_i32 s13, s12, 31
	s_lshl_b64 s[12:13], s[12:13], 1
	s_add_i32 s9, s4, 0xfffffdc0
	v_addc_co_u32_e32 v45, vcc, v1, v45, vcc
	s_cmp_lt_i32 s9, s10
	v_add_co_u32_e32 v46, vcc, s12, v0
	s_cselect_b32 s12, s9, s11
	v_mov_b32_e32 v47, s13
	s_ashr_i32 s13, s12, 31
	s_lshl_b64 s[12:13], s[12:13], 1
	s_add_i32 s9, s4, 0xfffffe00
	v_addc_co_u32_e32 v47, vcc, v1, v47, vcc
	s_cmp_lt_i32 s9, s10
	v_add_co_u32_e32 v48, vcc, s12, v0
	s_cselect_b32 s12, s9, s11
	v_mov_b32_e32 v49, s13
	s_ashr_i32 s13, s12, 31
	s_lshl_b64 s[12:13], s[12:13], 1
	s_add_i32 s9, s4, 0xfffffe40
	v_addc_co_u32_e32 v49, vcc, v1, v49, vcc
	s_cmp_lt_i32 s9, s10
	v_add_co_u32_e32 v50, vcc, s12, v0
	s_cselect_b32 s12, s9, s11
	v_mov_b32_e32 v51, s13
	s_ashr_i32 s13, s12, 31
	s_lshl_b64 s[12:13], s[12:13], 1
	s_add_i32 s9, s4, 0xfffffe80
	v_addc_co_u32_e32 v51, vcc, v1, v51, vcc
	s_cmp_lt_i32 s9, s10
	global_load_ushort v68, v[36:37], off
	global_load_ushort v69, v[38:39], off
	;; [unrolled: 1-line block ×8, first 2 shown]
	v_add_co_u32_e32 v36, vcc, s12, v0
	s_cselect_b32 s12, s9, s11
	v_mov_b32_e32 v37, s13
	s_ashr_i32 s13, s12, 31
	s_lshl_b64 s[12:13], s[12:13], 1
	s_add_i32 s9, s4, 0xfffffec0
	v_addc_co_u32_e32 v37, vcc, v1, v37, vcc
	s_cmp_lt_i32 s9, s10
	v_add_co_u32_e32 v38, vcc, s12, v0
	s_cselect_b32 s12, s9, s11
	v_mov_b32_e32 v39, s13
	s_ashr_i32 s13, s12, 31
	s_lshl_b64 s[12:13], s[12:13], 1
	s_add_i32 s9, s4, 0xffffff00
	v_addc_co_u32_e32 v39, vcc, v1, v39, vcc
	s_cmp_lt_i32 s9, s10
	;; [unrolled: 8-line block ×4, first 2 shown]
	v_add_co_u32_e32 v44, vcc, s12, v0
	s_cselect_b32 s12, s9, s11
	v_mov_b32_e32 v45, s13
	s_ashr_i32 s13, s12, 31
	s_lshl_b64 s[12:13], s[12:13], 1
	s_sub_i32 s9, s4, 64
	v_addc_co_u32_e32 v45, vcc, v1, v45, vcc
	s_cmp_lt_i32 s9, s10
	v_add_co_u32_e32 v46, vcc, s12, v0
	s_cselect_b32 s12, s9, s11
	v_mov_b32_e32 v47, s13
	s_ashr_i32 s13, s12, 31
	s_lshl_b64 s[12:13], s[12:13], 1
	v_addc_co_u32_e32 v47, vcc, v1, v47, vcc
	s_cmp_lt_i32 s4, s10
	v_add_co_u32_e32 v48, vcc, s12, v0
	s_cselect_b32 s12, s4, s11
	v_mov_b32_e32 v49, s13
	s_ashr_i32 s13, s12, 31
	v_addc_co_u32_e32 v49, vcc, v1, v49, vcc
	s_lshl_b64 s[12:13], s[12:13], 1
	v_mov_b32_e32 v51, s13
	v_add_co_u32_e32 v50, vcc, s12, v0
	v_addc_co_u32_e32 v51, vcc, v1, v51, vcc
	global_load_ushort v76, v[36:37], off
	global_load_ushort v77, v[38:39], off
	;; [unrolled: 1-line block ×8, first 2 shown]
	v_mov_b32_e32 v84, s5
	ds_read_b128 v[36:39], v84
	ds_read_b128 v[40:43], v84 offset:16
	ds_read_b128 v[44:47], v84 offset:32
	;; [unrolled: 1-line block ×3, first 2 shown]
	s_waitcnt vmcnt(62) lgkmcnt(3)
	v_fma_mix_f32 v3, v36, v3, v4 op_sel_hi:[0,1,0]
	v_fma_mix_f32 v3, v37, v5, v3 op_sel_hi:[0,1,0]
	s_waitcnt vmcnt(61)
	v_fma_mix_f32 v3, v38, v6, v3 op_sel_hi:[0,1,0]
	s_waitcnt vmcnt(60)
	v_fma_mix_f32 v3, v39, v7, v3 op_sel_hi:[0,1,0]
	s_waitcnt vmcnt(59) lgkmcnt(2)
	v_fma_mix_f32 v3, v40, v8, v3 op_sel_hi:[0,1,0]
	s_waitcnt vmcnt(58)
	v_fma_mix_f32 v3, v41, v9, v3 op_sel_hi:[0,1,0]
	s_waitcnt vmcnt(57)
	;; [unrolled: 2-line block ×3, first 2 shown]
	v_fma_mix_f32 v3, v43, v11, v3 op_sel_hi:[0,1,0]
	s_waitcnt vmcnt(55) lgkmcnt(1)
	v_fma_mix_f32 v3, v44, v15, v3 op_sel_hi:[0,1,0]
	s_waitcnt vmcnt(54)
	v_fma_mix_f32 v3, v45, v16, v3 op_sel_hi:[0,1,0]
	s_waitcnt vmcnt(53)
	;; [unrolled: 2-line block ×3, first 2 shown]
	v_fma_mix_f32 v3, v47, v18, v3 op_sel_hi:[0,1,0]
	ds_read_b128 v[4:7], v84 offset:64
	ds_read_b128 v[8:11], v84 offset:80
	s_waitcnt vmcnt(51) lgkmcnt(2)
	v_fma_mix_f32 v3, v48, v19, v3 op_sel_hi:[0,1,0]
	s_waitcnt vmcnt(50)
	v_fma_mix_f32 v3, v49, v12, v3 op_sel_hi:[0,1,0]
	s_waitcnt vmcnt(49)
	;; [unrolled: 2-line block ×3, first 2 shown]
	v_fma_mix_f32 v3, v51, v14, v3 op_sel_hi:[0,1,0]
	s_waitcnt vmcnt(47) lgkmcnt(1)
	v_fma_mix_f32 v3, v4, v23, v3 op_sel_hi:[0,1,0]
	s_waitcnt vmcnt(46)
	v_fma_mix_f32 v3, v5, v24, v3 op_sel_hi:[0,1,0]
	s_waitcnt vmcnt(45)
	v_fma_mix_f32 v3, v6, v25, v3 op_sel_hi:[0,1,0]
	s_waitcnt vmcnt(44)
	v_fma_mix_f32 v3, v7, v26, v3 op_sel_hi:[0,1,0]
	ds_read_b128 v[4:7], v84 offset:96
	s_waitcnt vmcnt(43) lgkmcnt(1)
	v_fma_mix_f32 v3, v8, v27, v3 op_sel_hi:[0,1,0]
	s_waitcnt vmcnt(42)
	v_fma_mix_f32 v3, v9, v20, v3 op_sel_hi:[0,1,0]
	s_waitcnt vmcnt(41)
	v_fma_mix_f32 v3, v10, v21, v3 op_sel_hi:[0,1,0]
	s_waitcnt vmcnt(40)
	v_fma_mix_f32 v3, v11, v22, v3 op_sel_hi:[0,1,0]
	ds_read_b128 v[8:11], v84 offset:112
	;; [unrolled: 9-line block ×10, first 2 shown]
	s_waitcnt vmcnt(7) lgkmcnt(1)
	v_fma_mix_f32 v3, v4, v76, v3 op_sel_hi:[0,1,0]
	s_waitcnt vmcnt(6)
	v_fma_mix_f32 v3, v5, v77, v3 op_sel_hi:[0,1,0]
	s_waitcnt vmcnt(5)
	;; [unrolled: 2-line block ×3, first 2 shown]
	v_fma_mix_f32 v3, v7, v79, v3 op_sel_hi:[0,1,0]
	s_waitcnt vmcnt(3) lgkmcnt(0)
	v_fma_mix_f32 v3, v8, v80, v3 op_sel_hi:[0,1,0]
	s_waitcnt vmcnt(2)
	v_fma_mix_f32 v3, v9, v81, v3 op_sel_hi:[0,1,0]
	s_waitcnt vmcnt(1)
	;; [unrolled: 2-line block ×3, first 2 shown]
	v_fma_mix_f32 v4, v11, v83, v3 op_sel_hi:[0,1,0]
	s_branch .LBB28_16
.LBB28_19:
	v_mov_b32_e32 v0, 0
	ds_read_b32 v1, v0 offset:2304
	s_cmp_lg_u64 s[2:3], 0
	s_cbranch_scc0 .LBB28_24
; %bb.20:
	s_load_dword s4, s[2:3], 0x0
	s_waitcnt lgkmcnt(0)
	v_div_scale_f32 v0, s[2:3], s4, s4, 1.0
	v_rcp_f32_e32 v3, v0
	v_div_scale_f32 v5, vcc, 1.0, s4, 1.0
	v_fma_f32 v6, -v0, v3, 1.0
	v_fmac_f32_e32 v3, v6, v3
	v_mul_f32_e32 v6, v5, v3
	v_fma_f32 v7, -v0, v6, v5
	v_fmac_f32_e32 v6, v7, v3
	v_fma_f32 v0, -v0, v6, v5
	v_div_fmas_f32 v0, v0, v3, v6
	v_div_fixup_f32 v0, v0, s4, 1.0
	s_andn2_b64 vcc, exec, s[36:37]
	s_cbranch_vccnz .LBB28_22
.LBB28_21:
	s_add_u32 s2, s34, s38
	s_addc_u32 s3, s35, s39
	s_load_dword s22, s[2:3], 0x0
	s_mov_b32 s23, 0
.LBB28_22:
	s_waitcnt lgkmcnt(0)
	v_add_f32_e32 v1, 0x358637bd, v1
	v_div_scale_f32 v3, s[2:3], v1, v1, 1.0
	v_rcp_f32_e32 v5, v3
	v_div_scale_f32 v6, vcc, 1.0, v1, 1.0
	s_mul_i32 s2, s7, s23
	v_fma_f32 v7, -v3, v5, 1.0
	v_fmac_f32_e32 v5, v7, v5
	v_mul_f32_e32 v7, v6, v5
	v_fma_f32 v8, -v3, v7, v6
	s_mul_hi_u32 s3, s7, s22
	v_fmac_f32_e32 v7, v8, v5
	s_add_i32 s3, s3, s2
	s_mul_i32 s2, s7, s22
	v_fma_f32 v3, -v3, v7, v6
	s_lshl_b64 s[2:3], s[2:3], 7
	v_div_fmas_f32 v3, v3, v5, v7
	s_add_u32 s2, s0, s2
	s_mov_b32 s7, 0
	v_div_fixup_f32 v1, v3, v1, 1.0
	s_addc_u32 s3, s1, s3
	s_lshl_b64 s[0:1], s[6:7], 7
	v_mul_f32_e32 v1, v4, v1
	s_add_u32 s0, s2, s0
	s_addc_u32 s1, s3, s1
	v_fma_mixlo_f16 v0, v1, v0, 0
	global_store_short v2, v0, s[0:1]
	s_endpgm
.LBB28_23:
	s_mov_b64 s[2:3], 0
	s_branch .LBB28_2
.LBB28_24:
	v_mov_b32_e32 v0, 1.0
	s_andn2_b64 vcc, exec, s[36:37]
	s_cbranch_vccz .LBB28_21
	s_branch .LBB28_22
	.section	.rodata,"a",@progbits
	.p2align	6, 0x0
	.amdhsa_kernel _Z35paged_attention_ll4mi_reduce_kernelIDF16_DF16_Li64ELi64ELi256ELi9EEvPT0_PKfS3_PKT_PKiS8_iS3_
		.amdhsa_group_segment_fixed_size 2308
		.amdhsa_private_segment_fixed_size 0
		.amdhsa_kernarg_size 320
		.amdhsa_user_sgpr_count 6
		.amdhsa_user_sgpr_private_segment_buffer 1
		.amdhsa_user_sgpr_dispatch_ptr 0
		.amdhsa_user_sgpr_queue_ptr 0
		.amdhsa_user_sgpr_kernarg_segment_ptr 1
		.amdhsa_user_sgpr_dispatch_id 0
		.amdhsa_user_sgpr_flat_scratch_init 0
		.amdhsa_user_sgpr_kernarg_preload_length 0
		.amdhsa_user_sgpr_kernarg_preload_offset 0
		.amdhsa_user_sgpr_private_segment_size 0
		.amdhsa_uses_dynamic_stack 0
		.amdhsa_system_sgpr_private_segment_wavefront_offset 0
		.amdhsa_system_sgpr_workgroup_id_x 1
		.amdhsa_system_sgpr_workgroup_id_y 1
		.amdhsa_system_sgpr_workgroup_id_z 0
		.amdhsa_system_sgpr_workgroup_info 0
		.amdhsa_system_vgpr_workitem_id 0
		.amdhsa_next_free_vgpr 92
		.amdhsa_next_free_sgpr 47
		.amdhsa_accum_offset 92
		.amdhsa_reserve_vcc 1
		.amdhsa_reserve_flat_scratch 0
		.amdhsa_float_round_mode_32 0
		.amdhsa_float_round_mode_16_64 0
		.amdhsa_float_denorm_mode_32 3
		.amdhsa_float_denorm_mode_16_64 3
		.amdhsa_dx10_clamp 1
		.amdhsa_ieee_mode 1
		.amdhsa_fp16_overflow 0
		.amdhsa_tg_split 0
		.amdhsa_exception_fp_ieee_invalid_op 0
		.amdhsa_exception_fp_denorm_src 0
		.amdhsa_exception_fp_ieee_div_zero 0
		.amdhsa_exception_fp_ieee_overflow 0
		.amdhsa_exception_fp_ieee_underflow 0
		.amdhsa_exception_fp_ieee_inexact 0
		.amdhsa_exception_int_div_zero 0
	.end_amdhsa_kernel
	.section	.text._Z35paged_attention_ll4mi_reduce_kernelIDF16_DF16_Li64ELi64ELi256ELi9EEvPT0_PKfS3_PKT_PKiS8_iS3_,"axG",@progbits,_Z35paged_attention_ll4mi_reduce_kernelIDF16_DF16_Li64ELi64ELi256ELi9EEvPT0_PKfS3_PKT_PKiS8_iS3_,comdat
.Lfunc_end28:
	.size	_Z35paged_attention_ll4mi_reduce_kernelIDF16_DF16_Li64ELi64ELi256ELi9EEvPT0_PKfS3_PKT_PKiS8_iS3_, .Lfunc_end28-_Z35paged_attention_ll4mi_reduce_kernelIDF16_DF16_Li64ELi64ELi256ELi9EEvPT0_PKfS3_PKT_PKiS8_iS3_
                                        ; -- End function
	.section	.AMDGPU.csdata,"",@progbits
; Kernel info:
; codeLenInByte = 10484
; NumSgprs: 51
; NumVgprs: 92
; NumAgprs: 0
; TotalNumVgprs: 92
; ScratchSize: 0
; MemoryBound: 0
; FloatMode: 240
; IeeeMode: 1
; LDSByteSize: 2308 bytes/workgroup (compile time only)
; SGPRBlocks: 6
; VGPRBlocks: 11
; NumSGPRsForWavesPerEU: 51
; NumVGPRsForWavesPerEU: 92
; AccumOffset: 92
; Occupancy: 5
; WaveLimiterHint : 1
; COMPUTE_PGM_RSRC2:SCRATCH_EN: 0
; COMPUTE_PGM_RSRC2:USER_SGPR: 6
; COMPUTE_PGM_RSRC2:TRAP_HANDLER: 0
; COMPUTE_PGM_RSRC2:TGID_X_EN: 1
; COMPUTE_PGM_RSRC2:TGID_Y_EN: 1
; COMPUTE_PGM_RSRC2:TGID_Z_EN: 0
; COMPUTE_PGM_RSRC2:TIDIG_COMP_CNT: 0
; COMPUTE_PGM_RSRC3_GFX90A:ACCUM_OFFSET: 22
; COMPUTE_PGM_RSRC3_GFX90A:TG_SPLIT: 0
	.section	.text._Z35paged_attention_ll4mi_reduce_kernelIDF16_DF16_Li64ELi64ELi256ELi10EEvPT0_PKfS3_PKT_PKiS8_iS3_,"axG",@progbits,_Z35paged_attention_ll4mi_reduce_kernelIDF16_DF16_Li64ELi64ELi256ELi10EEvPT0_PKfS3_PKT_PKiS8_iS3_,comdat
	.protected	_Z35paged_attention_ll4mi_reduce_kernelIDF16_DF16_Li64ELi64ELi256ELi10EEvPT0_PKfS3_PKT_PKiS8_iS3_ ; -- Begin function _Z35paged_attention_ll4mi_reduce_kernelIDF16_DF16_Li64ELi64ELi256ELi10EEvPT0_PKfS3_PKT_PKiS8_iS3_
	.globl	_Z35paged_attention_ll4mi_reduce_kernelIDF16_DF16_Li64ELi64ELi256ELi10EEvPT0_PKfS3_PKT_PKiS8_iS3_
	.p2align	8
	.type	_Z35paged_attention_ll4mi_reduce_kernelIDF16_DF16_Li64ELi64ELi256ELi10EEvPT0_PKfS3_PKT_PKiS8_iS3_,@function
_Z35paged_attention_ll4mi_reduce_kernelIDF16_DF16_Li64ELi64ELi256ELi10EEvPT0_PKfS3_PKT_PKiS8_iS3_: ; @_Z35paged_attention_ll4mi_reduce_kernelIDF16_DF16_Li64ELi64ELi256ELi10EEvPT0_PKfS3_PKT_PKiS8_iS3_
; %bb.0:
	s_load_dwordx2 s[36:37], s[4:5], 0x28
	s_mov_b32 s34, s7
	s_mov_b64 s[0:1], 0
	s_waitcnt lgkmcnt(0)
	s_cmp_lg_u64 s[36:37], 0
	s_cselect_b64 s[38:39], -1, 0
	s_and_b64 vcc, exec, s[38:39]
	s_cbranch_vccz .LBB29_23
; %bb.1:
	s_add_i32 s2, s34, 1
	s_mov_b32 s3, 0
	s_lshl_b64 s[8:9], s[2:3], 2
	s_add_u32 s8, s36, s8
	s_mov_b32 s35, s3
	s_addc_u32 s9, s37, s9
	s_lshl_b64 s[2:3], s[34:35], 2
	s_add_u32 s2, s36, s2
	s_addc_u32 s3, s37, s3
	s_load_dword s7, s[8:9], 0x0
	s_load_dword s10, s[2:3], 0x0
	s_waitcnt lgkmcnt(0)
	s_sub_i32 s2, s7, s10
	s_cmp_eq_u32 s2, 1
	s_cselect_b64 s[2:3], -1, 0
	s_andn2_b64 vcc, exec, s[0:1]
	s_cbranch_vccnz .LBB29_3
.LBB29_2:
	s_mov_b32 s35, 0
	s_mov_b64 s[2:3], -1
.LBB29_3:
	s_andn2_b64 vcc, exec, s[2:3]
	s_cbranch_vccz .LBB29_5
; %bb.4:
	s_endpgm
.LBB29_5:
	s_load_dwordx4 s[24:27], s[4:5], 0x18
	s_load_dword s8, s[4:5], 0x30
	s_lshl_b64 s[40:41], s[34:35], 2
	v_cmp_lt_u32_e32 vcc, 63, v0
	s_waitcnt lgkmcnt(0)
	s_add_u32 s0, s26, s40
	s_addc_u32 s1, s27, s41
	s_load_dword s48, s[0:1], 0x0
	s_load_dword s7, s[4:5], 0x40
	s_mul_i32 s26, s6, s8
	s_mul_i32 s2, s34, s8
	s_waitcnt lgkmcnt(0)
	s_add_i32 s3, s48, 0xff
	s_ashr_i32 s0, s3, 31
	s_lshr_b32 s0, s0, 24
	s_add_i32 s3, s3, s0
	s_and_saveexec_b64 s[0:1], vcc
	s_xor_b64 s[0:1], exec, s[0:1]
	s_or_saveexec_b64 s[42:43], s[0:1]
	s_ashr_i32 s33, s3, 8
	v_mov_b32_e32 v1, s26
	s_mul_i32 s44, s2, s7
	s_xor_b64 exec, exec, s[42:43]
	s_cbranch_execz .LBB29_9
; %bb.6:
	s_add_i32 s0, s33, -1
	v_or_b32_e32 v3, 64, v0
	v_mov_b32_e32 v1, s0
	v_cmp_gt_u32_e64 s[18:19], s33, v3
	v_cndmask_b32_e64 v4, v1, v3, s[18:19]
	v_or_b32_e32 v3, 0x80, v0
	v_cmp_gt_u32_e64 s[16:17], s33, v3
	v_cndmask_b32_e64 v6, v1, v3, s[16:17]
	v_or_b32_e32 v3, 0xc0, v0
	;; [unrolled: 3-line block ×5, first 2 shown]
	s_load_dwordx4 s[28:31], s[4:5], 0x8
	v_cmp_gt_u32_e64 s[8:9], s33, v3
	v_cndmask_b32_e64 v14, v1, v3, s[8:9]
	v_or_b32_e32 v3, 0x1c0, v0
	v_cmp_gt_u32_e64 s[2:3], s33, v3
	s_mov_b32 s45, 0
	v_cndmask_b32_e64 v16, v1, v3, s[2:3]
	v_or_b32_e32 v3, 0x200, v0
	v_cmp_gt_u32_e64 s[0:1], s33, v3
	s_lshl_b64 s[46:47], s[44:45], 2
	s_mov_b32 s27, s45
	v_cmp_gt_u32_e64 s[20:21], s33, v0
	v_cndmask_b32_e64 v18, v1, v3, s[0:1]
	v_or_b32_e32 v3, 0x240, v0
	s_waitcnt lgkmcnt(0)
	s_add_u32 s22, s30, s46
	v_cndmask_b32_e64 v2, v1, v0, s[20:21]
	v_cmp_gt_u32_e32 vcc, s33, v3
	s_addc_u32 s23, s31, s47
	s_lshl_b64 s[30:31], s[26:27], 2
	v_cndmask_b32_e32 v20, v1, v3, vcc
	s_add_u32 s27, s22, s30
	v_ashrrev_i32_e32 v3, 31, v2
	s_addc_u32 s45, s23, s31
	v_lshlrev_b64 v[2:3], 2, v[2:3]
	v_mov_b32_e32 v1, s45
	v_add_co_u32_e64 v22, s[22:23], s27, v2
	v_ashrrev_i32_e32 v5, 31, v4
	v_addc_co_u32_e64 v23, s[22:23], v1, v3, s[22:23]
	v_lshlrev_b64 v[4:5], 2, v[4:5]
	v_add_co_u32_e64 v24, s[22:23], s27, v4
	v_ashrrev_i32_e32 v7, 31, v6
	v_addc_co_u32_e64 v25, s[22:23], v1, v5, s[22:23]
	v_lshlrev_b64 v[6:7], 2, v[6:7]
	v_add_co_u32_e64 v26, s[22:23], s27, v6
	v_ashrrev_i32_e32 v9, 31, v8
	v_addc_co_u32_e64 v27, s[22:23], v1, v7, s[22:23]
	v_lshlrev_b64 v[8:9], 2, v[8:9]
	v_add_co_u32_e64 v28, s[22:23], s27, v8
	v_ashrrev_i32_e32 v11, 31, v10
	v_addc_co_u32_e64 v29, s[22:23], v1, v9, s[22:23]
	v_lshlrev_b64 v[10:11], 2, v[10:11]
	v_add_co_u32_e64 v30, s[22:23], s27, v10
	v_ashrrev_i32_e32 v13, 31, v12
	v_addc_co_u32_e64 v31, s[22:23], v1, v11, s[22:23]
	v_lshlrev_b64 v[12:13], 2, v[12:13]
	v_add_co_u32_e64 v32, s[22:23], s27, v12
	v_ashrrev_i32_e32 v15, 31, v14
	v_addc_co_u32_e64 v33, s[22:23], v1, v13, s[22:23]
	v_lshlrev_b64 v[14:15], 2, v[14:15]
	v_add_co_u32_e64 v34, s[22:23], s27, v14
	v_ashrrev_i32_e32 v17, 31, v16
	v_addc_co_u32_e64 v35, s[22:23], v1, v15, s[22:23]
	v_lshlrev_b64 v[16:17], 2, v[16:17]
	v_add_co_u32_e64 v36, s[22:23], s27, v16
	v_ashrrev_i32_e32 v19, 31, v18
	v_addc_co_u32_e64 v37, s[22:23], v1, v17, s[22:23]
	v_lshlrev_b64 v[18:19], 2, v[18:19]
	global_load_dword v1, v[22:23], off
	global_load_dword v38, v[24:25], off
	s_nop 0
	global_load_dword v26, v[26:27], off
	s_nop 0
	global_load_dword v27, v[28:29], off
	s_nop 0
	global_load_dword v28, v[30:31], off
	global_load_dword v29, v[32:33], off
	s_nop 0
	global_load_dword v30, v[34:35], off
	global_load_dword v31, v[36:37], off
	v_mov_b32_e32 v21, s45
	v_add_co_u32_e64 v22, s[22:23], s27, v18
	v_addc_co_u32_e64 v23, s[22:23], v21, v19, s[22:23]
	v_ashrrev_i32_e32 v21, 31, v20
	v_lshlrev_b64 v[20:21], 2, v[20:21]
	v_mov_b32_e32 v25, s45
	v_add_co_u32_e64 v24, s[22:23], s27, v20
	v_addc_co_u32_e64 v25, s[22:23], v25, v21, s[22:23]
	global_load_dword v22, v[22:23], off
	s_nop 0
	global_load_dword v23, v[24:25], off
	s_waitcnt vmcnt(9)
	v_max_f32_e32 v25, v1, v1
	s_waitcnt vmcnt(8)
	v_max_f32_e32 v24, v38, v38
	v_max_f32_e32 v24, v25, v24
	v_mbcnt_lo_u32_b32 v25, -1, 0
	v_mbcnt_hi_u32_b32 v25, -1, v25
	v_and_b32_e32 v32, 64, v25
	s_waitcnt vmcnt(6)
	v_max3_f32 v24, v24, v26, v27
	v_add_u32_e32 v32, 64, v32
	v_xor_b32_e32 v33, 32, v25
	s_waitcnt vmcnt(4)
	v_max3_f32 v24, v24, v28, v29
	v_cmp_lt_i32_e64 s[22:23], v33, v32
	s_waitcnt vmcnt(2)
	v_max3_f32 v24, v24, v30, v31
	v_cndmask_b32_e64 v33, v25, v33, s[22:23]
	v_lshlrev_b32_e32 v33, 2, v33
	s_waitcnt vmcnt(0)
	v_max3_f32 v24, v24, v22, v23
	ds_bpermute_b32 v34, v33, v24
	s_waitcnt lgkmcnt(0)
	v_max_f32_e32 v34, v34, v34
	v_max_f32_e32 v24, v24, v34
	v_xor_b32_e32 v34, 16, v25
	v_cmp_lt_i32_e64 s[22:23], v34, v32
	v_cndmask_b32_e64 v34, v25, v34, s[22:23]
	v_lshlrev_b32_e32 v34, 2, v34
	ds_bpermute_b32 v35, v34, v24
	s_waitcnt lgkmcnt(0)
	v_max_f32_e32 v35, v35, v35
	v_max_f32_e32 v24, v24, v35
	v_xor_b32_e32 v35, 8, v25
	v_cmp_lt_i32_e64 s[22:23], v35, v32
	v_cndmask_b32_e64 v35, v25, v35, s[22:23]
	v_lshlrev_b32_e32 v35, 2, v35
	;; [unrolled: 8-line block ×4, first 2 shown]
	ds_bpermute_b32 v39, v37, v24
	s_waitcnt lgkmcnt(0)
	v_max_f32_e32 v39, v39, v39
	v_max_f32_e32 v24, v24, v39
	v_xor_b32_e32 v39, 1, v25
	v_cmp_lt_i32_e64 s[22:23], v39, v32
	v_cndmask_b32_e64 v25, v25, v39, s[22:23]
	s_add_u32 s22, s28, s46
	s_addc_u32 s23, s29, s47
	s_add_u32 s28, s22, s30
	s_addc_u32 s27, s23, s31
	v_mov_b32_e32 v39, s27
	v_add_co_u32_e64 v2, s[22:23], s28, v2
	v_addc_co_u32_e64 v3, s[22:23], v39, v3, s[22:23]
	v_add_co_u32_e64 v4, s[22:23], s28, v4
	v_addc_co_u32_e64 v5, s[22:23], v39, v5, s[22:23]
	global_load_dword v39, v[2:3], off
	global_load_dword v40, v[4:5], off
	v_mov_b32_e32 v3, s27
	v_add_co_u32_e64 v2, s[22:23], s28, v6
	v_addc_co_u32_e64 v3, s[22:23], v3, v7, s[22:23]
	v_mov_b32_e32 v5, s27
	v_add_co_u32_e64 v4, s[22:23], s28, v8
	v_addc_co_u32_e64 v5, s[22:23], v5, v9, s[22:23]
	;; [unrolled: 3-line block ×6, first 2 shown]
	global_load_dword v14, v[2:3], off
	global_load_dword v15, v[4:5], off
	;; [unrolled: 1-line block ×6, first 2 shown]
	v_lshlrev_b32_e32 v25, 2, v25
	ds_bpermute_b32 v32, v25, v24
	v_mov_b32_e32 v3, s27
	v_mov_b32_e32 v5, s27
	s_mov_b32 s27, 0x3fb8aa3b
	v_add_co_u32_e64 v2, s[22:23], s28, v18
	s_waitcnt lgkmcnt(0)
	v_max_f32_e32 v4, v32, v32
	v_max_f32_e32 v6, v24, v4
	v_sub_f32_e32 v1, v1, v6
	v_mul_f32_e32 v4, 0x3fb8aa3b, v1
	v_fma_f32 v7, v1, s27, -v4
	v_rndne_f32_e32 v8, v4
	v_fmac_f32_e32 v7, 0x32a5705f, v1
	v_sub_f32_e32 v4, v4, v8
	v_add_f32_e32 v4, v4, v7
	v_addc_co_u32_e64 v3, s[22:23], v3, v19, s[22:23]
	v_exp_f32_e32 v7, v4
	v_cvt_i32_f32_e32 v8, v8
	v_add_co_u32_e64 v4, s[22:23], s28, v20
	v_addc_co_u32_e64 v5, s[22:23], v5, v21, s[22:23]
	global_load_dword v9, v[2:3], off
	global_load_dword v10, v[4:5], off
	v_sub_f32_e32 v4, v38, v6
	v_mul_f32_e32 v5, 0x3fb8aa3b, v4
	v_ldexp_f32 v2, v7, v8
	v_fma_f32 v7, v4, s27, -v5
	v_rndne_f32_e32 v8, v5
	v_fmac_f32_e32 v7, 0x32a5705f, v4
	v_sub_f32_e32 v5, v5, v8
	v_add_f32_e32 v5, v5, v7
	v_exp_f32_e32 v5, v5
	v_cvt_i32_f32_e32 v7, v8
	s_mov_b32 s28, 0xc2ce8ed0
	v_cmp_ngt_f32_e64 s[22:23], s28, v1
	s_mov_b32 s29, 0x42b17218
	v_cndmask_b32_e64 v2, 0, v2, s[22:23]
	v_mov_b32_e32 v3, 0x7f800000
	v_cmp_nlt_f32_e64 s[22:23], s29, v1
	v_cndmask_b32_e64 v1, v3, v2, s[22:23]
	v_ldexp_f32 v2, v5, v7
	v_sub_f32_e32 v5, v26, v6
	v_mul_f32_e32 v7, 0x3fb8aa3b, v5
	v_fma_f32 v8, v5, s27, -v7
	v_rndne_f32_e32 v11, v7
	v_fmac_f32_e32 v8, 0x32a5705f, v5
	v_sub_f32_e32 v7, v7, v11
	v_add_f32_e32 v7, v7, v8
	v_exp_f32_e32 v7, v7
	v_cvt_i32_f32_e32 v8, v11
	v_cndmask_b32_e64 v1, 0, v1, s[20:21]
	v_cmp_ngt_f32_e64 s[20:21], s28, v4
	v_cndmask_b32_e64 v2, 0, v2, s[20:21]
	v_cmp_nlt_f32_e64 s[20:21], s29, v4
	v_ldexp_f32 v4, v7, v8
	v_sub_f32_e32 v7, v27, v6
	v_mul_f32_e32 v8, 0x3fb8aa3b, v7
	v_fma_f32 v11, v7, s27, -v8
	v_rndne_f32_e32 v12, v8
	v_fmac_f32_e32 v11, 0x32a5705f, v7
	v_sub_f32_e32 v8, v8, v12
	v_add_f32_e32 v8, v8, v11
	v_exp_f32_e32 v8, v8
	v_cvt_i32_f32_e32 v11, v12
	v_cndmask_b32_e64 v2, v3, v2, s[20:21]
	v_cndmask_b32_e64 v2, 0, v2, s[18:19]
	v_cmp_ngt_f32_e64 s[18:19], s28, v5
	v_cndmask_b32_e64 v4, 0, v4, s[18:19]
	v_cmp_nlt_f32_e64 s[18:19], s29, v5
	v_ldexp_f32 v5, v8, v11
	v_sub_f32_e32 v8, v28, v6
	v_mul_f32_e32 v11, 0x3fb8aa3b, v8
	v_fma_f32 v12, v8, s27, -v11
	v_rndne_f32_e32 v13, v11
	v_fmac_f32_e32 v12, 0x32a5705f, v8
	v_sub_f32_e32 v11, v11, v13
	v_add_f32_e32 v11, v11, v12
	v_exp_f32_e32 v11, v11
	v_cvt_i32_f32_e32 v12, v13
	v_cndmask_b32_e64 v4, v3, v4, s[18:19]
	v_cndmask_b32_e64 v4, 0, v4, s[16:17]
	v_cmp_ngt_f32_e64 s[16:17], s28, v7
	v_cndmask_b32_e64 v5, 0, v5, s[16:17]
	v_cmp_nlt_f32_e64 s[16:17], s29, v7
	v_ldexp_f32 v7, v11, v12
	v_sub_f32_e32 v11, v29, v6
	v_mul_f32_e32 v12, 0x3fb8aa3b, v11
	s_waitcnt vmcnt(7)
	v_mul_f32_e32 v4, v14, v4
	v_fma_f32 v13, v11, s27, -v12
	v_rndne_f32_e32 v14, v12
	v_fmac_f32_e32 v13, 0x32a5705f, v11
	v_sub_f32_e32 v12, v12, v14
	v_add_f32_e32 v12, v12, v13
	v_exp_f32_e32 v12, v12
	v_cvt_i32_f32_e32 v13, v14
	v_cndmask_b32_e64 v5, v3, v5, s[16:17]
	v_cndmask_b32_e64 v5, 0, v5, s[14:15]
	v_cmp_ngt_f32_e64 s[14:15], s28, v8
	v_cndmask_b32_e64 v7, 0, v7, s[14:15]
	v_cmp_nlt_f32_e64 s[14:15], s29, v8
	v_ldexp_f32 v8, v12, v13
	v_sub_f32_e32 v12, v30, v6
	v_mul_f32_e32 v13, 0x3fb8aa3b, v12
	s_waitcnt vmcnt(6)
	;; [unrolled: 17-line block ×4, first 2 shown]
	v_mul_f32_e32 v8, v17, v8
	v_fma_f32 v16, v14, s27, -v15
	v_rndne_f32_e32 v17, v15
	v_fmac_f32_e32 v16, 0x32a5705f, v14
	v_sub_f32_e32 v15, v15, v17
	v_add_f32_e32 v15, v15, v16
	v_exp_f32_e32 v15, v15
	v_cvt_i32_f32_e32 v16, v17
	v_cndmask_b32_e64 v11, v3, v11, s[10:11]
	v_cndmask_b32_e64 v11, 0, v11, s[8:9]
	v_cmp_ngt_f32_e64 s[8:9], s28, v13
	v_sub_f32_e32 v6, v23, v6
	v_cndmask_b32_e64 v12, 0, v12, s[8:9]
	v_cmp_nlt_f32_e64 s[8:9], s29, v13
	v_ldexp_f32 v13, v15, v16
	v_mul_f32_e32 v15, 0x3fb8aa3b, v6
	v_fma_f32 v16, v6, s27, -v15
	v_rndne_f32_e32 v17, v15
	v_fmac_f32_e32 v16, 0x32a5705f, v6
	v_sub_f32_e32 v15, v15, v17
	v_add_f32_e32 v15, v15, v16
	v_cndmask_b32_e64 v12, v3, v12, s[8:9]
	v_exp_f32_e32 v15, v15
	v_cvt_i32_f32_e32 v16, v17
	v_cndmask_b32_e64 v12, 0, v12, s[2:3]
	v_cmp_ngt_f32_e64 s[2:3], s28, v14
	v_cndmask_b32_e64 v13, 0, v13, s[2:3]
	v_cmp_nlt_f32_e64 s[2:3], s29, v14
	v_cndmask_b32_e64 v13, v3, v13, s[2:3]
	v_mul_f32_e32 v1, v39, v1
	v_mul_f32_e32 v2, v40, v2
	v_cndmask_b32_e64 v13, 0, v13, s[0:1]
	v_ldexp_f32 v14, v15, v16
	v_cmp_ngt_f32_e64 s[0:1], s28, v6
	v_cndmask_b32_e64 v14, 0, v14, s[0:1]
	v_cmp_nlt_f32_e64 s[0:1], s29, v6
	v_add_f32_e32 v6, v1, v2
	v_add_f32_e32 v6, v6, v4
	;; [unrolled: 1-line block ×5, first 2 shown]
	s_waitcnt vmcnt(3)
	v_fmac_f32_e32 v6, v41, v11
	v_cndmask_b32_e64 v3, v3, v14, s[0:1]
	s_waitcnt vmcnt(2)
	v_fmac_f32_e32 v6, v42, v12
	v_cndmask_b32_e32 v3, 0, v3, vcc
	s_waitcnt vmcnt(1)
	v_fmac_f32_e32 v6, v9, v13
	s_waitcnt vmcnt(0)
	v_fmac_f32_e32 v6, v10, v3
	ds_bpermute_b32 v14, v33, v6
	v_mul_f32_e32 v9, v9, v13
	v_mul_f32_e32 v3, v10, v3
	v_lshlrev_b32_e32 v10, 2, v0
	ds_write2st64_b32 v10, v1, v2 offset1:1
	ds_write2st64_b32 v10, v4, v5 offset0:2 offset1:3
	s_waitcnt lgkmcnt(2)
	v_add_f32_e32 v6, v6, v14
	ds_bpermute_b32 v14, v34, v6
	v_cmp_eq_u32_e32 vcc, 0, v0
	v_mul_f32_e32 v11, v41, v11
	v_mul_f32_e32 v12, v42, v12
	ds_write2st64_b32 v10, v7, v8 offset0:4 offset1:5
	ds_write2st64_b32 v10, v11, v12 offset0:6 offset1:7
	;; [unrolled: 1-line block ×3, first 2 shown]
	s_waitcnt lgkmcnt(3)
	v_add_f32_e32 v6, v6, v14
	ds_bpermute_b32 v14, v35, v6
	s_waitcnt lgkmcnt(0)
	v_add_f32_e32 v6, v6, v14
	ds_bpermute_b32 v14, v36, v6
	;; [unrolled: 3-line block ×4, first 2 shown]
	s_and_saveexec_b64 s[0:1], vcc
	s_cbranch_execz .LBB29_8
; %bb.7:
	s_waitcnt lgkmcnt(0)
	v_add_f32_e32 v1, v1, v2
	v_mov_b32_e32 v2, 0
	ds_write_b32 v2, v1 offset:2560
.LBB29_8:
	s_or_b64 exec, exec, s[0:1]
	v_mov_b32_e32 v1, s26
.LBB29_9:
	s_or_b64 exec, exec, s[42:43]
	s_lshl_b32 s0, s44, 6
	s_mov_b32 s1, 0
	s_lshl_b64 s[0:1], s[0:1], 1
	s_add_u32 s0, s24, s0
	s_addc_u32 s1, s25, s1
	s_lshl_b32 s10, s33, 6
	s_waitcnt lgkmcnt(0)
	v_lshlrev_b32_e32 v2, 6, v1
	v_mov_b32_e32 v3, 0
	s_sub_i32 s11, s10, 64
	v_lshlrev_b64 v[4:5], 1, v[2:3]
	s_cmp_lt_i32 s48, 1
	v_mov_b32_e32 v1, s1
	v_add_co_u32_e32 v4, vcc, s0, v4
	s_cselect_b32 s0, s11, 0
	v_addc_co_u32_e32 v1, vcc, v1, v5, vcc
	v_lshlrev_b32_e32 v2, 1, v0
	s_ashr_i32 s1, s0, 31
	v_add_co_u32_e32 v0, vcc, v4, v2
	s_lshl_b64 s[0:1], s[0:1], 1
	v_addc_co_u32_e32 v1, vcc, 0, v1, vcc
	s_cmpk_lt_i32 s48, 0x101
	v_add_co_u32_e32 v12, vcc, s0, v0
	s_cselect_b32 s0, s11, 64
	v_mov_b32_e32 v4, s1
	s_ashr_i32 s1, s0, 31
	s_lshl_b64 s[0:1], s[0:1], 1
	v_addc_co_u32_e32 v13, vcc, v1, v4, vcc
	s_cmpk_lt_i32 s48, 0x201
	v_add_co_u32_e32 v14, vcc, s0, v0
	s_cselect_b32 s0, s11, 0x80
	v_mov_b32_e32 v4, s1
	s_ashr_i32 s1, s0, 31
	;; [unrolled: 7-line block ×8, first 2 shown]
	s_lshl_b64 s[0:1], s[0:1], 1
	v_addc_co_u32_e32 v27, vcc, v1, v4, vcc
	s_cmpk_lt_i32 s48, 0x901
	global_load_ushort v4, v[12:13], off
	global_load_ushort v5, v[14:15], off
	;; [unrolled: 1-line block ×8, first 2 shown]
	v_add_co_u32_e32 v20, vcc, s0, v0
	s_cselect_b32 s0, s11, 0x240
	v_mov_b32_e32 v12, s1
	s_ashr_i32 s1, s0, 31
	s_lshl_b64 s[0:1], s[0:1], 1
	v_addc_co_u32_e32 v21, vcc, v1, v12, vcc
	s_cmpk_lt_i32 s48, 0xa01
	v_add_co_u32_e32 v22, vcc, s0, v0
	s_cselect_b32 s0, s11, 0x280
	v_mov_b32_e32 v12, s1
	s_ashr_i32 s1, s0, 31
	s_lshl_b64 s[0:1], s[0:1], 1
	v_addc_co_u32_e32 v23, vcc, v1, v12, vcc
	s_cmpk_lt_i32 s48, 0xb01
	v_add_co_u32_e32 v24, vcc, s0, v0
	s_cselect_b32 s0, s11, 0x2c0
	v_mov_b32_e32 v12, s1
	s_ashr_i32 s1, s0, 31
	s_lshl_b64 s[0:1], s[0:1], 1
	v_addc_co_u32_e32 v25, vcc, v1, v12, vcc
	s_cmpk_lt_i32 s48, 0xc01
	v_add_co_u32_e32 v26, vcc, s0, v0
	s_cselect_b32 s0, s11, 0x300
	v_mov_b32_e32 v12, s1
	s_ashr_i32 s1, s0, 31
	s_lshl_b64 s[0:1], s[0:1], 1
	v_addc_co_u32_e32 v27, vcc, v1, v12, vcc
	s_cmpk_lt_i32 s48, 0xd01
	v_add_co_u32_e32 v28, vcc, s0, v0
	s_cselect_b32 s0, s11, 0x340
	v_mov_b32_e32 v12, s1
	s_ashr_i32 s1, s0, 31
	s_lshl_b64 s[0:1], s[0:1], 1
	v_addc_co_u32_e32 v29, vcc, v1, v12, vcc
	s_cmpk_lt_i32 s48, 0xe01
	v_add_co_u32_e32 v30, vcc, s0, v0
	s_cselect_b32 s0, s11, 0x380
	v_mov_b32_e32 v12, s1
	s_ashr_i32 s1, s0, 31
	s_lshl_b64 s[0:1], s[0:1], 1
	v_addc_co_u32_e32 v31, vcc, v1, v12, vcc
	s_cmpk_lt_i32 s48, 0xf01
	v_add_co_u32_e32 v32, vcc, s0, v0
	s_cselect_b32 s0, s11, 0x3c0
	v_mov_b32_e32 v12, s1
	s_ashr_i32 s1, s0, 31
	v_addc_co_u32_e32 v33, vcc, v1, v12, vcc
	s_lshl_b64 s[0:1], s[0:1], 1
	v_mov_b32_e32 v12, s1
	v_add_co_u32_e32 v34, vcc, s0, v0
	v_addc_co_u32_e32 v35, vcc, v1, v12, vcc
	global_load_ushort v12, v[20:21], off
	global_load_ushort v13, v[22:23], off
	;; [unrolled: 1-line block ×8, first 2 shown]
	s_cmpk_gt_i32 s48, 0x1000
	s_cselect_b64 s[8:9], -1, 0
	s_cmpk_lt_i32 s48, 0x1001
	v_mov_b32_e32 v36, 0
	v_mov_b32_e32 v37, 0
	v_mov_b32_e32 v38, 0
	v_mov_b32_e32 v39, 0
	v_mov_b32_e32 v40, 0
	v_mov_b32_e32 v41, 0
	v_mov_b32_e32 v42, 0
	v_mov_b32_e32 v43, 0
	v_mov_b32_e32 v44, 0
	v_mov_b32_e32 v45, 0
	v_mov_b32_e32 v46, 0
	v_mov_b32_e32 v47, 0
	v_mov_b32_e32 v48, 0
	v_mov_b32_e32 v49, 0
	v_mov_b32_e32 v50, 0
	v_mov_b32_e32 v51, 0
	v_mov_b32_e32 v52, 0
	v_mov_b32_e32 v53, 0
	v_mov_b32_e32 v54, 0
	v_mov_b32_e32 v55, 0
	v_mov_b32_e32 v56, 0
	v_mov_b32_e32 v57, 0
	v_mov_b32_e32 v58, 0
	v_mov_b32_e32 v59, 0
	v_mov_b32_e32 v60, 0
	v_mov_b32_e32 v61, 0
	v_mov_b32_e32 v62, 0
	v_mov_b32_e32 v63, 0
	v_mov_b32_e32 v64, 0
	v_mov_b32_e32 v65, 0
	v_mov_b32_e32 v66, 0
	v_mov_b32_e32 v67, 0
	v_mov_b32_e32 v28, 0
	v_mov_b32_e32 v29, 0
	v_mov_b32_e32 v30, 0
	v_mov_b32_e32 v31, 0
	v_mov_b32_e32 v32, 0
	v_mov_b32_e32 v33, 0
	v_mov_b32_e32 v34, 0
	v_mov_b32_e32 v35, 0
	v_mov_b32_e32 v21, 0
	v_mov_b32_e32 v20, 0
	v_mov_b32_e32 v22, 0
	v_mov_b32_e32 v23, 0
	v_mov_b32_e32 v24, 0
	v_mov_b32_e32 v25, 0
	v_mov_b32_e32 v26, 0
	v_mov_b32_e32 v27, 0
	s_waitcnt lgkmcnt(0)
	; wave barrier
	s_cbranch_scc1 .LBB29_12
; %bb.10:
	s_cmpk_lt_u32 s48, 0x1101
	s_cselect_b32 s0, s11, 0x440
	s_ashr_i32 s1, s0, 31
	s_lshl_b64 s[0:1], s[0:1], 1
	s_cmpk_lt_u32 s48, 0x1201
	v_add_co_u32_e32 v28, vcc, s0, v0
	s_cselect_b32 s0, s11, 0x480
	v_mov_b32_e32 v20, s1
	s_ashr_i32 s1, s0, 31
	s_lshl_b64 s[0:1], s[0:1], 1
	v_addc_co_u32_e32 v29, vcc, v1, v20, vcc
	s_cmpk_lt_u32 s48, 0x1301
	v_add_co_u32_e32 v30, vcc, s0, v0
	s_cselect_b32 s0, s11, 0x4c0
	v_mov_b32_e32 v20, s1
	s_ashr_i32 s1, s0, 31
	s_lshl_b64 s[0:1], s[0:1], 1
	v_addc_co_u32_e32 v31, vcc, v1, v20, vcc
	;; [unrolled: 7-line block ×7, first 2 shown]
	s_cmpk_lt_u32 s48, 0x1901
	global_load_ushort v27, v[0:1], off offset:2048
	global_load_ushort v26, v[28:29], off
	global_load_ushort v25, v[30:31], off
	;; [unrolled: 1-line block ×7, first 2 shown]
	v_add_co_u32_e32 v36, vcc, s0, v0
	s_cselect_b32 s0, s11, 0x640
	v_mov_b32_e32 v28, s1
	s_ashr_i32 s1, s0, 31
	s_lshl_b64 s[0:1], s[0:1], 1
	v_addc_co_u32_e32 v37, vcc, v1, v28, vcc
	s_cmpk_lt_u32 s48, 0x1a01
	v_add_co_u32_e32 v38, vcc, s0, v0
	s_cselect_b32 s0, s11, 0x680
	v_mov_b32_e32 v28, s1
	s_ashr_i32 s1, s0, 31
	s_lshl_b64 s[0:1], s[0:1], 1
	v_addc_co_u32_e32 v39, vcc, v1, v28, vcc
	s_cmpk_lt_u32 s48, 0x1b01
	;; [unrolled: 7-line block ×6, first 2 shown]
	v_add_co_u32_e32 v48, vcc, s0, v0
	s_cselect_b32 s0, s11, 0x7c0
	v_mov_b32_e32 v28, s1
	s_ashr_i32 s1, s0, 31
	v_addc_co_u32_e32 v49, vcc, v1, v28, vcc
	s_lshl_b64 s[0:1], s[0:1], 1
	v_mov_b32_e32 v28, s1
	v_add_co_u32_e32 v50, vcc, s0, v0
	v_addc_co_u32_e32 v51, vcc, v1, v28, vcc
	global_load_ushort v35, v[36:37], off
	global_load_ushort v34, v[38:39], off
	;; [unrolled: 1-line block ×8, first 2 shown]
	s_cmpk_lt_u32 s48, 0x2001
	v_mov_b32_e32 v67, 0
	v_mov_b32_e32 v66, 0
	;; [unrolled: 1-line block ×32, first 2 shown]
	s_cbranch_scc1 .LBB29_12
; %bb.11:
	s_cmpk_lt_u32 s48, 0x2101
	s_cselect_b32 s0, s11, 0x840
	s_ashr_i32 s1, s0, 31
	v_add_co_u32_e32 v36, vcc, 0x1000, v0
	s_lshl_b64 s[0:1], s[0:1], 1
	v_addc_co_u32_e32 v37, vcc, 0, v1, vcc
	s_cmpk_lt_u32 s48, 0x2201
	v_add_co_u32_e32 v38, vcc, s0, v0
	s_cselect_b32 s0, s11, 0x880
	v_mov_b32_e32 v39, s1
	s_ashr_i32 s1, s0, 31
	s_lshl_b64 s[0:1], s[0:1], 1
	v_addc_co_u32_e32 v39, vcc, v1, v39, vcc
	s_cmpk_lt_u32 s48, 0x2301
	v_add_co_u32_e32 v40, vcc, s0, v0
	s_cselect_b32 s0, s11, 0x8c0
	v_mov_b32_e32 v41, s1
	s_ashr_i32 s1, s0, 31
	s_lshl_b64 s[0:1], s[0:1], 1
	v_addc_co_u32_e32 v41, vcc, v1, v41, vcc
	s_cmpk_lt_u32 s48, 0x2401
	v_add_co_u32_e32 v42, vcc, s0, v0
	s_cselect_b32 s0, s11, 0x900
	v_mov_b32_e32 v43, s1
	s_ashr_i32 s1, s0, 31
	s_lshl_b64 s[0:1], s[0:1], 1
	v_addc_co_u32_e32 v43, vcc, v1, v43, vcc
	s_cmpk_lt_u32 s48, 0x2501
	v_add_co_u32_e32 v44, vcc, s0, v0
	s_cselect_b32 s0, s11, 0x940
	v_mov_b32_e32 v45, s1
	s_ashr_i32 s1, s0, 31
	s_lshl_b64 s[0:1], s[0:1], 1
	v_addc_co_u32_e32 v45, vcc, v1, v45, vcc
	s_cmpk_lt_u32 s48, 0x2601
	v_add_co_u32_e32 v46, vcc, s0, v0
	s_cselect_b32 s0, s11, 0x980
	v_mov_b32_e32 v47, s1
	s_ashr_i32 s1, s0, 31
	s_lshl_b64 s[0:1], s[0:1], 1
	v_addc_co_u32_e32 v47, vcc, v1, v47, vcc
	s_cmpk_lt_u32 s48, 0x2701
	v_add_co_u32_e32 v48, vcc, s0, v0
	s_cselect_b32 s0, s11, 0x9c0
	v_mov_b32_e32 v49, s1
	s_ashr_i32 s1, s0, 31
	s_lshl_b64 s[0:1], s[0:1], 1
	v_addc_co_u32_e32 v49, vcc, v1, v49, vcc
	s_cmpk_lt_u32 s48, 0x2801
	v_add_co_u32_e32 v50, vcc, s0, v0
	s_cselect_b32 s0, s11, 0xa00
	v_mov_b32_e32 v51, s1
	s_ashr_i32 s1, s0, 31
	s_lshl_b64 s[0:1], s[0:1], 1
	v_addc_co_u32_e32 v51, vcc, v1, v51, vcc
	s_cmpk_lt_u32 s48, 0x2901
	global_load_ushort v52, v[36:37], off
	global_load_ushort v53, v[38:39], off
	global_load_ushort v54, v[40:41], off
	global_load_ushort v55, v[42:43], off
	global_load_ushort v56, v[44:45], off
	global_load_ushort v57, v[46:47], off
	global_load_ushort v58, v[48:49], off
	global_load_ushort v59, v[50:51], off
	v_add_co_u32_e32 v36, vcc, s0, v0
	s_cselect_b32 s0, s11, 0xa40
	v_mov_b32_e32 v37, s1
	s_ashr_i32 s1, s0, 31
	s_lshl_b64 s[0:1], s[0:1], 1
	v_addc_co_u32_e32 v37, vcc, v1, v37, vcc
	s_cmpk_lt_u32 s48, 0x2a01
	v_add_co_u32_e32 v38, vcc, s0, v0
	s_cselect_b32 s0, s11, 0xa80
	v_mov_b32_e32 v39, s1
	s_ashr_i32 s1, s0, 31
	s_lshl_b64 s[0:1], s[0:1], 1
	v_addc_co_u32_e32 v39, vcc, v1, v39, vcc
	s_cmpk_lt_u32 s48, 0x2b01
	v_add_co_u32_e32 v40, vcc, s0, v0
	s_cselect_b32 s0, s11, 0xac0
	v_mov_b32_e32 v41, s1
	s_ashr_i32 s1, s0, 31
	s_lshl_b64 s[0:1], s[0:1], 1
	v_addc_co_u32_e32 v41, vcc, v1, v41, vcc
	s_cmpk_lt_u32 s48, 0x2c01
	v_add_co_u32_e32 v42, vcc, s0, v0
	s_cselect_b32 s0, s11, 0xb00
	v_mov_b32_e32 v43, s1
	s_ashr_i32 s1, s0, 31
	s_lshl_b64 s[0:1], s[0:1], 1
	v_addc_co_u32_e32 v43, vcc, v1, v43, vcc
	s_cmpk_lt_u32 s48, 0x2d01
	v_add_co_u32_e32 v44, vcc, s0, v0
	s_cselect_b32 s0, s11, 0xb40
	v_mov_b32_e32 v45, s1
	s_ashr_i32 s1, s0, 31
	s_lshl_b64 s[0:1], s[0:1], 1
	v_addc_co_u32_e32 v45, vcc, v1, v45, vcc
	s_cmpk_lt_u32 s48, 0x2e01
	v_add_co_u32_e32 v46, vcc, s0, v0
	s_cselect_b32 s0, s11, 0xb80
	v_mov_b32_e32 v47, s1
	s_ashr_i32 s1, s0, 31
	s_lshl_b64 s[0:1], s[0:1], 1
	v_addc_co_u32_e32 v47, vcc, v1, v47, vcc
	s_cmpk_lt_u32 s48, 0x2f01
	v_add_co_u32_e32 v48, vcc, s0, v0
	s_cselect_b32 s0, s11, 0xbc0
	v_mov_b32_e32 v49, s1
	s_ashr_i32 s1, s0, 31
	s_lshl_b64 s[0:1], s[0:1], 1
	v_addc_co_u32_e32 v49, vcc, v1, v49, vcc
	s_cmpk_lt_u32 s48, 0x3001
	v_add_co_u32_e32 v50, vcc, s0, v0
	s_cselect_b32 s0, s11, 0xc00
	v_mov_b32_e32 v51, s1
	s_ashr_i32 s1, s0, 31
	s_lshl_b64 s[0:1], s[0:1], 1
	v_addc_co_u32_e32 v51, vcc, v1, v51, vcc
	s_cmpk_lt_u32 s48, 0x3101
	global_load_ushort v68, v[36:37], off
	global_load_ushort v69, v[38:39], off
	global_load_ushort v70, v[40:41], off
	global_load_ushort v71, v[42:43], off
	global_load_ushort v72, v[44:45], off
	global_load_ushort v73, v[46:47], off
	global_load_ushort v74, v[48:49], off
	global_load_ushort v75, v[50:51], off
	v_add_co_u32_e32 v36, vcc, s0, v0
	s_cselect_b32 s0, s11, 0xc40
	v_mov_b32_e32 v37, s1
	s_ashr_i32 s1, s0, 31
	;; [unrolled: 64-line block ×3, first 2 shown]
	s_lshl_b64 s[0:1], s[0:1], 1
	v_addc_co_u32_e32 v37, vcc, v1, v37, vcc
	s_cmpk_lt_u32 s48, 0x3a01
	v_add_co_u32_e32 v38, vcc, s0, v0
	s_cselect_b32 s0, s11, 0xe80
	v_mov_b32_e32 v39, s1
	s_ashr_i32 s1, s0, 31
	s_lshl_b64 s[0:1], s[0:1], 1
	v_addc_co_u32_e32 v39, vcc, v1, v39, vcc
	s_cmpk_lt_u32 s48, 0x3b01
	v_add_co_u32_e32 v40, vcc, s0, v0
	s_cselect_b32 s0, s11, 0xec0
	v_mov_b32_e32 v41, s1
	s_ashr_i32 s1, s0, 31
	;; [unrolled: 7-line block ×6, first 2 shown]
	v_addc_co_u32_e32 v49, vcc, v1, v49, vcc
	s_lshl_b64 s[0:1], s[0:1], 1
	v_mov_b32_e32 v51, s1
	v_add_co_u32_e32 v50, vcc, s0, v0
	v_addc_co_u32_e32 v51, vcc, v1, v51, vcc
	global_load_ushort v84, v[36:37], off
	global_load_ushort v85, v[38:39], off
	;; [unrolled: 1-line block ×8, first 2 shown]
	s_waitcnt vmcnt(31)
	v_cvt_f32_f16_e32 v67, v52
	s_waitcnt vmcnt(30)
	v_cvt_f32_f16_e32 v66, v53
	;; [unrolled: 2-line block ×32, first 2 shown]
.LBB29_12:
	ds_read_b128 v[68:71], v3
	s_load_dwordx2 s[0:1], s[4:5], 0x0
	s_load_dwordx2 s[2:3], s[4:5], 0x38
	ds_read_b128 v[72:75], v3 offset:16
	ds_read_b128 v[76:79], v3 offset:32
	;; [unrolled: 1-line block ×3, first 2 shown]
	s_and_b64 vcc, exec, s[8:9]
	s_waitcnt vmcnt(15) lgkmcnt(0)
	v_fma_mix_f32 v4, v68, v4, 0 op_sel_hi:[0,1,0]
	s_waitcnt vmcnt(14)
	v_fma_mix_f32 v4, v69, v5, v4 op_sel_hi:[0,1,0]
	s_waitcnt vmcnt(13)
	;; [unrolled: 2-line block ×15, first 2 shown]
	v_fma_mix_f32 v4, v83, v19, v4 op_sel_hi:[0,1,0]
	s_cbranch_vccz .LBB29_15
; %bb.13:
	ds_read_b128 v[6:9], v3 offset:64
	ds_read_b128 v[10:13], v3 offset:80
	;; [unrolled: 1-line block ×4, first 2 shown]
	s_cmpk_lt_u32 s48, 0x2001
	s_waitcnt lgkmcnt(3)
	v_fma_mix_f32 v3, v6, v27, v4 op_sel_hi:[0,1,0]
	v_fma_mix_f32 v3, v7, v26, v3 op_sel_hi:[0,1,0]
	v_fma_mix_f32 v3, v8, v25, v3 op_sel_hi:[0,1,0]
	v_fma_mix_f32 v3, v9, v24, v3 op_sel_hi:[0,1,0]
	s_waitcnt lgkmcnt(2)
	v_fma_mix_f32 v3, v10, v23, v3 op_sel_hi:[0,1,0]
	v_fma_mix_f32 v3, v11, v22, v3 op_sel_hi:[0,1,0]
	v_fma_mix_f32 v3, v12, v20, v3 op_sel_hi:[0,1,0]
	v_fma_mix_f32 v3, v13, v21, v3 op_sel_hi:[0,1,0]
	;; [unrolled: 5-line block ×4, first 2 shown]
	s_cbranch_scc1 .LBB29_15
; %bb.14:
	v_mov_b32_e32 v3, 0
	ds_read_b128 v[6:9], v3 offset:128
	ds_read_b128 v[10:13], v3 offset:144
	;; [unrolled: 1-line block ×4, first 2 shown]
	s_waitcnt lgkmcnt(3)
	v_fmac_f32_e32 v4, v6, v67
	v_fmac_f32_e32 v4, v7, v66
	v_fmac_f32_e32 v4, v8, v65
	v_fmac_f32_e32 v4, v9, v64
	s_waitcnt lgkmcnt(2)
	v_fmac_f32_e32 v4, v10, v63
	v_fmac_f32_e32 v4, v11, v62
	v_fmac_f32_e32 v4, v12, v61
	v_fmac_f32_e32 v4, v13, v60
	;; [unrolled: 5-line block ×3, first 2 shown]
	ds_read_b128 v[6:9], v3 offset:192
	ds_read_b128 v[10:13], v3 offset:208
	s_waitcnt lgkmcnt(2)
	v_fmac_f32_e32 v4, v18, v55
	v_fmac_f32_e32 v4, v19, v54
	;; [unrolled: 1-line block ×4, first 2 shown]
	s_waitcnt lgkmcnt(1)
	v_fmac_f32_e32 v4, v6, v51
	v_fmac_f32_e32 v4, v7, v50
	;; [unrolled: 1-line block ×4, first 2 shown]
	ds_read_b128 v[6:9], v3 offset:224
	s_waitcnt lgkmcnt(1)
	v_fmac_f32_e32 v4, v10, v47
	v_fmac_f32_e32 v4, v11, v46
	;; [unrolled: 1-line block ×4, first 2 shown]
	ds_read_b128 v[10:13], v3 offset:240
	s_waitcnt lgkmcnt(1)
	v_fmac_f32_e32 v4, v6, v43
	v_fmac_f32_e32 v4, v7, v42
	;; [unrolled: 1-line block ×4, first 2 shown]
	s_waitcnt lgkmcnt(0)
	v_fmac_f32_e32 v4, v10, v39
	v_fmac_f32_e32 v4, v11, v38
	;; [unrolled: 1-line block ×4, first 2 shown]
.LBB29_15:
	s_movk_i32 s4, 0x1fc0
	s_movk_i32 s5, 0x100
	s_mov_b32 s8, 64
	s_branch .LBB29_17
.LBB29_16:                              ;   in Loop: Header=BB29_17 Depth=1
	s_addk_i32 s4, 0x1000
	s_addk_i32 s5, 0x100
	s_add_i32 s8, s8, 64
	s_cmpk_eq_u32 s4, 0xafc0
	s_cbranch_scc1 .LBB29_19
.LBB29_17:                              ; =>This Inner Loop Header: Depth=1
	s_cmp_le_i32 s33, s8
	s_cbranch_scc1 .LBB29_16
; %bb.18:                               ;   in Loop: Header=BB29_17 Depth=1
	s_add_i32 s9, s4, 0xfffff040
	s_cmp_lt_i32 s9, s10
	s_cselect_b32 s12, s9, s11
	s_ashr_i32 s13, s12, 31
	s_lshl_b64 s[12:13], s[12:13], 1
	s_add_i32 s9, s4, 0xfffff080
	s_cmp_lt_i32 s9, s10
	v_add_co_u32_e32 v12, vcc, s12, v0
	s_cselect_b32 s12, s9, s11
	v_mov_b32_e32 v3, s13
	s_ashr_i32 s13, s12, 31
	s_lshl_b64 s[12:13], s[12:13], 1
	s_add_i32 s9, s4, 0xfffff0c0
	v_addc_co_u32_e32 v13, vcc, v1, v3, vcc
	s_cmp_lt_i32 s9, s10
	v_add_co_u32_e32 v14, vcc, s12, v0
	s_cselect_b32 s12, s9, s11
	v_mov_b32_e32 v3, s13
	s_ashr_i32 s13, s12, 31
	s_lshl_b64 s[12:13], s[12:13], 1
	s_add_i32 s9, s4, 0xfffff100
	v_addc_co_u32_e32 v15, vcc, v1, v3, vcc
	;; [unrolled: 8-line block ×8, first 2 shown]
	s_cmp_lt_i32 s9, s10
	global_load_ushort v3, v[12:13], off
	global_load_ushort v5, v[14:15], off
	;; [unrolled: 1-line block ×8, first 2 shown]
	v_add_co_u32_e32 v20, vcc, s12, v0
	s_cselect_b32 s12, s9, s11
	v_mov_b32_e32 v12, s13
	s_ashr_i32 s13, s12, 31
	s_lshl_b64 s[12:13], s[12:13], 1
	s_add_i32 s9, s4, 0xfffff2c0
	v_addc_co_u32_e32 v21, vcc, v1, v12, vcc
	s_cmp_lt_i32 s9, s10
	v_add_co_u32_e32 v22, vcc, s12, v0
	s_cselect_b32 s12, s9, s11
	v_mov_b32_e32 v12, s13
	s_ashr_i32 s13, s12, 31
	s_lshl_b64 s[12:13], s[12:13], 1
	s_add_i32 s9, s4, 0xfffff300
	v_addc_co_u32_e32 v23, vcc, v1, v12, vcc
	s_cmp_lt_i32 s9, s10
	;; [unrolled: 8-line block ×8, first 2 shown]
	global_load_ushort v15, v[20:21], off
	global_load_ushort v16, v[22:23], off
	;; [unrolled: 1-line block ×8, first 2 shown]
	v_add_co_u32_e32 v28, vcc, s12, v0
	s_cselect_b32 s12, s9, s11
	v_mov_b32_e32 v20, s13
	s_ashr_i32 s13, s12, 31
	s_lshl_b64 s[12:13], s[12:13], 1
	s_add_i32 s9, s4, 0xfffff4c0
	v_addc_co_u32_e32 v29, vcc, v1, v20, vcc
	s_cmp_lt_i32 s9, s10
	v_add_co_u32_e32 v30, vcc, s12, v0
	s_cselect_b32 s12, s9, s11
	v_mov_b32_e32 v20, s13
	s_ashr_i32 s13, s12, 31
	s_lshl_b64 s[12:13], s[12:13], 1
	s_add_i32 s9, s4, 0xfffff500
	v_addc_co_u32_e32 v31, vcc, v1, v20, vcc
	s_cmp_lt_i32 s9, s10
	;; [unrolled: 8-line block ×8, first 2 shown]
	global_load_ushort v23, v[28:29], off
	global_load_ushort v24, v[30:31], off
	;; [unrolled: 1-line block ×8, first 2 shown]
	v_add_co_u32_e32 v36, vcc, s12, v0
	s_cselect_b32 s12, s9, s11
	v_mov_b32_e32 v28, s13
	s_ashr_i32 s13, s12, 31
	s_lshl_b64 s[12:13], s[12:13], 1
	s_add_i32 s9, s4, 0xfffff6c0
	v_addc_co_u32_e32 v37, vcc, v1, v28, vcc
	s_cmp_lt_i32 s9, s10
	v_add_co_u32_e32 v38, vcc, s12, v0
	s_cselect_b32 s12, s9, s11
	v_mov_b32_e32 v28, s13
	s_ashr_i32 s13, s12, 31
	s_lshl_b64 s[12:13], s[12:13], 1
	s_add_i32 s9, s4, 0xfffff700
	v_addc_co_u32_e32 v39, vcc, v1, v28, vcc
	s_cmp_lt_i32 s9, s10
	;; [unrolled: 8-line block ×8, first 2 shown]
	global_load_ushort v31, v[36:37], off
	global_load_ushort v32, v[38:39], off
	;; [unrolled: 1-line block ×8, first 2 shown]
	v_add_co_u32_e32 v36, vcc, s12, v0
	s_cselect_b32 s12, s9, s11
	v_mov_b32_e32 v37, s13
	s_ashr_i32 s13, s12, 31
	s_lshl_b64 s[12:13], s[12:13], 1
	s_add_i32 s9, s4, 0xfffff8c0
	v_addc_co_u32_e32 v37, vcc, v1, v37, vcc
	s_cmp_lt_i32 s9, s10
	v_add_co_u32_e32 v38, vcc, s12, v0
	s_cselect_b32 s12, s9, s11
	v_mov_b32_e32 v39, s13
	s_ashr_i32 s13, s12, 31
	s_lshl_b64 s[12:13], s[12:13], 1
	s_add_i32 s9, s4, 0xfffff900
	v_addc_co_u32_e32 v39, vcc, v1, v39, vcc
	s_cmp_lt_i32 s9, s10
	;; [unrolled: 8-line block ×8, first 2 shown]
	global_load_ushort v52, v[36:37], off
	global_load_ushort v53, v[38:39], off
	;; [unrolled: 1-line block ×8, first 2 shown]
	v_add_co_u32_e32 v36, vcc, s12, v0
	s_cselect_b32 s12, s9, s11
	v_mov_b32_e32 v37, s13
	s_ashr_i32 s13, s12, 31
	s_lshl_b64 s[12:13], s[12:13], 1
	s_add_i32 s9, s4, 0xfffffac0
	v_addc_co_u32_e32 v37, vcc, v1, v37, vcc
	s_cmp_lt_i32 s9, s10
	v_add_co_u32_e32 v38, vcc, s12, v0
	s_cselect_b32 s12, s9, s11
	v_mov_b32_e32 v39, s13
	s_ashr_i32 s13, s12, 31
	s_lshl_b64 s[12:13], s[12:13], 1
	s_add_i32 s9, s4, 0xfffffb00
	v_addc_co_u32_e32 v39, vcc, v1, v39, vcc
	s_cmp_lt_i32 s9, s10
	;; [unrolled: 8-line block ×8, first 2 shown]
	global_load_ushort v60, v[36:37], off
	global_load_ushort v61, v[38:39], off
	global_load_ushort v62, v[40:41], off
	global_load_ushort v63, v[42:43], off
	global_load_ushort v64, v[44:45], off
	global_load_ushort v65, v[46:47], off
	global_load_ushort v66, v[48:49], off
	global_load_ushort v67, v[50:51], off
	v_add_co_u32_e32 v36, vcc, s12, v0
	s_cselect_b32 s12, s9, s11
	v_mov_b32_e32 v37, s13
	s_ashr_i32 s13, s12, 31
	s_lshl_b64 s[12:13], s[12:13], 1
	s_add_i32 s9, s4, 0xfffffcc0
	v_addc_co_u32_e32 v37, vcc, v1, v37, vcc
	s_cmp_lt_i32 s9, s10
	v_add_co_u32_e32 v38, vcc, s12, v0
	s_cselect_b32 s12, s9, s11
	v_mov_b32_e32 v39, s13
	s_ashr_i32 s13, s12, 31
	s_lshl_b64 s[12:13], s[12:13], 1
	s_add_i32 s9, s4, 0xfffffd00
	v_addc_co_u32_e32 v39, vcc, v1, v39, vcc
	s_cmp_lt_i32 s9, s10
	;; [unrolled: 8-line block ×8, first 2 shown]
	global_load_ushort v68, v[36:37], off
	global_load_ushort v69, v[38:39], off
	;; [unrolled: 1-line block ×8, first 2 shown]
	v_add_co_u32_e32 v36, vcc, s12, v0
	s_cselect_b32 s12, s9, s11
	v_mov_b32_e32 v37, s13
	s_ashr_i32 s13, s12, 31
	s_lshl_b64 s[12:13], s[12:13], 1
	s_add_i32 s9, s4, 0xfffffec0
	v_addc_co_u32_e32 v37, vcc, v1, v37, vcc
	s_cmp_lt_i32 s9, s10
	v_add_co_u32_e32 v38, vcc, s12, v0
	s_cselect_b32 s12, s9, s11
	v_mov_b32_e32 v39, s13
	s_ashr_i32 s13, s12, 31
	s_lshl_b64 s[12:13], s[12:13], 1
	s_add_i32 s9, s4, 0xffffff00
	v_addc_co_u32_e32 v39, vcc, v1, v39, vcc
	s_cmp_lt_i32 s9, s10
	;; [unrolled: 8-line block ×4, first 2 shown]
	v_add_co_u32_e32 v44, vcc, s12, v0
	s_cselect_b32 s12, s9, s11
	v_mov_b32_e32 v45, s13
	s_ashr_i32 s13, s12, 31
	s_lshl_b64 s[12:13], s[12:13], 1
	s_sub_i32 s9, s4, 64
	v_addc_co_u32_e32 v45, vcc, v1, v45, vcc
	s_cmp_lt_i32 s9, s10
	v_add_co_u32_e32 v46, vcc, s12, v0
	s_cselect_b32 s12, s9, s11
	v_mov_b32_e32 v47, s13
	s_ashr_i32 s13, s12, 31
	s_lshl_b64 s[12:13], s[12:13], 1
	v_addc_co_u32_e32 v47, vcc, v1, v47, vcc
	s_cmp_lt_i32 s4, s10
	v_add_co_u32_e32 v48, vcc, s12, v0
	s_cselect_b32 s12, s4, s11
	v_mov_b32_e32 v49, s13
	s_ashr_i32 s13, s12, 31
	v_addc_co_u32_e32 v49, vcc, v1, v49, vcc
	s_lshl_b64 s[12:13], s[12:13], 1
	v_mov_b32_e32 v51, s13
	v_add_co_u32_e32 v50, vcc, s12, v0
	v_addc_co_u32_e32 v51, vcc, v1, v51, vcc
	global_load_ushort v76, v[36:37], off
	global_load_ushort v77, v[38:39], off
	;; [unrolled: 1-line block ×8, first 2 shown]
	v_mov_b32_e32 v84, s5
	ds_read_b128 v[36:39], v84
	ds_read_b128 v[40:43], v84 offset:16
	ds_read_b128 v[44:47], v84 offset:32
	;; [unrolled: 1-line block ×3, first 2 shown]
	s_waitcnt vmcnt(62) lgkmcnt(3)
	v_fma_mix_f32 v3, v36, v3, v4 op_sel_hi:[0,1,0]
	v_fma_mix_f32 v3, v37, v5, v3 op_sel_hi:[0,1,0]
	s_waitcnt vmcnt(61)
	v_fma_mix_f32 v3, v38, v6, v3 op_sel_hi:[0,1,0]
	s_waitcnt vmcnt(60)
	v_fma_mix_f32 v3, v39, v7, v3 op_sel_hi:[0,1,0]
	s_waitcnt vmcnt(59) lgkmcnt(2)
	v_fma_mix_f32 v3, v40, v8, v3 op_sel_hi:[0,1,0]
	s_waitcnt vmcnt(58)
	v_fma_mix_f32 v3, v41, v9, v3 op_sel_hi:[0,1,0]
	s_waitcnt vmcnt(57)
	;; [unrolled: 2-line block ×3, first 2 shown]
	v_fma_mix_f32 v3, v43, v11, v3 op_sel_hi:[0,1,0]
	s_waitcnt vmcnt(55) lgkmcnt(1)
	v_fma_mix_f32 v3, v44, v15, v3 op_sel_hi:[0,1,0]
	s_waitcnt vmcnt(54)
	v_fma_mix_f32 v3, v45, v16, v3 op_sel_hi:[0,1,0]
	s_waitcnt vmcnt(53)
	;; [unrolled: 2-line block ×3, first 2 shown]
	v_fma_mix_f32 v3, v47, v18, v3 op_sel_hi:[0,1,0]
	ds_read_b128 v[4:7], v84 offset:64
	ds_read_b128 v[8:11], v84 offset:80
	s_waitcnt vmcnt(51) lgkmcnt(2)
	v_fma_mix_f32 v3, v48, v19, v3 op_sel_hi:[0,1,0]
	s_waitcnt vmcnt(50)
	v_fma_mix_f32 v3, v49, v12, v3 op_sel_hi:[0,1,0]
	s_waitcnt vmcnt(49)
	;; [unrolled: 2-line block ×3, first 2 shown]
	v_fma_mix_f32 v3, v51, v14, v3 op_sel_hi:[0,1,0]
	s_waitcnt vmcnt(47) lgkmcnt(1)
	v_fma_mix_f32 v3, v4, v23, v3 op_sel_hi:[0,1,0]
	s_waitcnt vmcnt(46)
	v_fma_mix_f32 v3, v5, v24, v3 op_sel_hi:[0,1,0]
	s_waitcnt vmcnt(45)
	v_fma_mix_f32 v3, v6, v25, v3 op_sel_hi:[0,1,0]
	s_waitcnt vmcnt(44)
	v_fma_mix_f32 v3, v7, v26, v3 op_sel_hi:[0,1,0]
	ds_read_b128 v[4:7], v84 offset:96
	s_waitcnt vmcnt(43) lgkmcnt(1)
	v_fma_mix_f32 v3, v8, v27, v3 op_sel_hi:[0,1,0]
	s_waitcnt vmcnt(42)
	v_fma_mix_f32 v3, v9, v20, v3 op_sel_hi:[0,1,0]
	s_waitcnt vmcnt(41)
	v_fma_mix_f32 v3, v10, v21, v3 op_sel_hi:[0,1,0]
	s_waitcnt vmcnt(40)
	v_fma_mix_f32 v3, v11, v22, v3 op_sel_hi:[0,1,0]
	ds_read_b128 v[8:11], v84 offset:112
	;; [unrolled: 9-line block ×10, first 2 shown]
	s_waitcnt vmcnt(7) lgkmcnt(1)
	v_fma_mix_f32 v3, v4, v76, v3 op_sel_hi:[0,1,0]
	s_waitcnt vmcnt(6)
	v_fma_mix_f32 v3, v5, v77, v3 op_sel_hi:[0,1,0]
	s_waitcnt vmcnt(5)
	;; [unrolled: 2-line block ×3, first 2 shown]
	v_fma_mix_f32 v3, v7, v79, v3 op_sel_hi:[0,1,0]
	s_waitcnt vmcnt(3) lgkmcnt(0)
	v_fma_mix_f32 v3, v8, v80, v3 op_sel_hi:[0,1,0]
	s_waitcnt vmcnt(2)
	v_fma_mix_f32 v3, v9, v81, v3 op_sel_hi:[0,1,0]
	s_waitcnt vmcnt(1)
	;; [unrolled: 2-line block ×3, first 2 shown]
	v_fma_mix_f32 v4, v11, v83, v3 op_sel_hi:[0,1,0]
	s_branch .LBB29_16
.LBB29_19:
	v_mov_b32_e32 v0, 0
	ds_read_b32 v1, v0 offset:2560
	s_cmp_lg_u64 s[2:3], 0
	s_cbranch_scc0 .LBB29_24
; %bb.20:
	s_load_dword s4, s[2:3], 0x0
	s_waitcnt lgkmcnt(0)
	v_div_scale_f32 v0, s[2:3], s4, s4, 1.0
	v_rcp_f32_e32 v3, v0
	v_div_scale_f32 v5, vcc, 1.0, s4, 1.0
	v_fma_f32 v6, -v0, v3, 1.0
	v_fmac_f32_e32 v3, v6, v3
	v_mul_f32_e32 v6, v5, v3
	v_fma_f32 v7, -v0, v6, v5
	v_fmac_f32_e32 v6, v7, v3
	v_fma_f32 v0, -v0, v6, v5
	v_div_fmas_f32 v0, v0, v3, v6
	v_div_fixup_f32 v0, v0, s4, 1.0
	s_andn2_b64 vcc, exec, s[38:39]
	s_cbranch_vccnz .LBB29_22
.LBB29_21:
	s_add_u32 s2, s36, s40
	s_addc_u32 s3, s37, s41
	s_load_dword s34, s[2:3], 0x0
	s_mov_b32 s35, 0
.LBB29_22:
	s_waitcnt lgkmcnt(0)
	v_add_f32_e32 v1, 0x358637bd, v1
	v_div_scale_f32 v3, s[2:3], v1, v1, 1.0
	v_rcp_f32_e32 v5, v3
	v_div_scale_f32 v6, vcc, 1.0, v1, 1.0
	s_mul_i32 s2, s7, s35
	v_fma_f32 v7, -v3, v5, 1.0
	v_fmac_f32_e32 v5, v7, v5
	v_mul_f32_e32 v7, v6, v5
	v_fma_f32 v8, -v3, v7, v6
	s_mul_hi_u32 s3, s7, s34
	v_fmac_f32_e32 v7, v8, v5
	s_add_i32 s3, s3, s2
	s_mul_i32 s2, s7, s34
	v_fma_f32 v3, -v3, v7, v6
	s_lshl_b64 s[2:3], s[2:3], 7
	v_div_fmas_f32 v3, v3, v5, v7
	s_add_u32 s2, s0, s2
	s_mov_b32 s7, 0
	v_div_fixup_f32 v1, v3, v1, 1.0
	s_addc_u32 s3, s1, s3
	s_lshl_b64 s[0:1], s[6:7], 7
	v_mul_f32_e32 v1, v4, v1
	s_add_u32 s0, s2, s0
	s_addc_u32 s1, s3, s1
	v_fma_mixlo_f16 v0, v1, v0, 0
	global_store_short v2, v0, s[0:1]
	s_endpgm
.LBB29_23:
	s_mov_b64 s[2:3], 0
	s_branch .LBB29_2
.LBB29_24:
	v_mov_b32_e32 v0, 1.0
	s_andn2_b64 vcc, exec, s[38:39]
	s_cbranch_vccz .LBB29_21
	s_branch .LBB29_22
	.section	.rodata,"a",@progbits
	.p2align	6, 0x0
	.amdhsa_kernel _Z35paged_attention_ll4mi_reduce_kernelIDF16_DF16_Li64ELi64ELi256ELi10EEvPT0_PKfS3_PKT_PKiS8_iS3_
		.amdhsa_group_segment_fixed_size 2564
		.amdhsa_private_segment_fixed_size 0
		.amdhsa_kernarg_size 320
		.amdhsa_user_sgpr_count 6
		.amdhsa_user_sgpr_private_segment_buffer 1
		.amdhsa_user_sgpr_dispatch_ptr 0
		.amdhsa_user_sgpr_queue_ptr 0
		.amdhsa_user_sgpr_kernarg_segment_ptr 1
		.amdhsa_user_sgpr_dispatch_id 0
		.amdhsa_user_sgpr_flat_scratch_init 0
		.amdhsa_user_sgpr_kernarg_preload_length 0
		.amdhsa_user_sgpr_kernarg_preload_offset 0
		.amdhsa_user_sgpr_private_segment_size 0
		.amdhsa_uses_dynamic_stack 0
		.amdhsa_system_sgpr_private_segment_wavefront_offset 0
		.amdhsa_system_sgpr_workgroup_id_x 1
		.amdhsa_system_sgpr_workgroup_id_y 1
		.amdhsa_system_sgpr_workgroup_id_z 0
		.amdhsa_system_sgpr_workgroup_info 0
		.amdhsa_system_vgpr_workitem_id 0
		.amdhsa_next_free_vgpr 92
		.amdhsa_next_free_sgpr 49
		.amdhsa_accum_offset 92
		.amdhsa_reserve_vcc 1
		.amdhsa_reserve_flat_scratch 0
		.amdhsa_float_round_mode_32 0
		.amdhsa_float_round_mode_16_64 0
		.amdhsa_float_denorm_mode_32 3
		.amdhsa_float_denorm_mode_16_64 3
		.amdhsa_dx10_clamp 1
		.amdhsa_ieee_mode 1
		.amdhsa_fp16_overflow 0
		.amdhsa_tg_split 0
		.amdhsa_exception_fp_ieee_invalid_op 0
		.amdhsa_exception_fp_denorm_src 0
		.amdhsa_exception_fp_ieee_div_zero 0
		.amdhsa_exception_fp_ieee_overflow 0
		.amdhsa_exception_fp_ieee_underflow 0
		.amdhsa_exception_fp_ieee_inexact 0
		.amdhsa_exception_int_div_zero 0
	.end_amdhsa_kernel
	.section	.text._Z35paged_attention_ll4mi_reduce_kernelIDF16_DF16_Li64ELi64ELi256ELi10EEvPT0_PKfS3_PKT_PKiS8_iS3_,"axG",@progbits,_Z35paged_attention_ll4mi_reduce_kernelIDF16_DF16_Li64ELi64ELi256ELi10EEvPT0_PKfS3_PKT_PKiS8_iS3_,comdat
.Lfunc_end29:
	.size	_Z35paged_attention_ll4mi_reduce_kernelIDF16_DF16_Li64ELi64ELi256ELi10EEvPT0_PKfS3_PKT_PKiS8_iS3_, .Lfunc_end29-_Z35paged_attention_ll4mi_reduce_kernelIDF16_DF16_Li64ELi64ELi256ELi10EEvPT0_PKfS3_PKT_PKiS8_iS3_
                                        ; -- End function
	.section	.AMDGPU.csdata,"",@progbits
; Kernel info:
; codeLenInByte = 10724
; NumSgprs: 53
; NumVgprs: 92
; NumAgprs: 0
; TotalNumVgprs: 92
; ScratchSize: 0
; MemoryBound: 0
; FloatMode: 240
; IeeeMode: 1
; LDSByteSize: 2564 bytes/workgroup (compile time only)
; SGPRBlocks: 6
; VGPRBlocks: 11
; NumSGPRsForWavesPerEU: 53
; NumVGPRsForWavesPerEU: 92
; AccumOffset: 92
; Occupancy: 5
; WaveLimiterHint : 1
; COMPUTE_PGM_RSRC2:SCRATCH_EN: 0
; COMPUTE_PGM_RSRC2:USER_SGPR: 6
; COMPUTE_PGM_RSRC2:TRAP_HANDLER: 0
; COMPUTE_PGM_RSRC2:TGID_X_EN: 1
; COMPUTE_PGM_RSRC2:TGID_Y_EN: 1
; COMPUTE_PGM_RSRC2:TGID_Z_EN: 0
; COMPUTE_PGM_RSRC2:TIDIG_COMP_CNT: 0
; COMPUTE_PGM_RSRC3_GFX90A:ACCUM_OFFSET: 22
; COMPUTE_PGM_RSRC3_GFX90A:TG_SPLIT: 0
	.section	.text._Z35paged_attention_ll4mi_reduce_kernelIDF16_DF16_Li64ELi64ELi256ELi11EEvPT0_PKfS3_PKT_PKiS8_iS3_,"axG",@progbits,_Z35paged_attention_ll4mi_reduce_kernelIDF16_DF16_Li64ELi64ELi256ELi11EEvPT0_PKfS3_PKT_PKiS8_iS3_,comdat
	.protected	_Z35paged_attention_ll4mi_reduce_kernelIDF16_DF16_Li64ELi64ELi256ELi11EEvPT0_PKfS3_PKT_PKiS8_iS3_ ; -- Begin function _Z35paged_attention_ll4mi_reduce_kernelIDF16_DF16_Li64ELi64ELi256ELi11EEvPT0_PKfS3_PKT_PKiS8_iS3_
	.globl	_Z35paged_attention_ll4mi_reduce_kernelIDF16_DF16_Li64ELi64ELi256ELi11EEvPT0_PKfS3_PKT_PKiS8_iS3_
	.p2align	8
	.type	_Z35paged_attention_ll4mi_reduce_kernelIDF16_DF16_Li64ELi64ELi256ELi11EEvPT0_PKfS3_PKT_PKiS8_iS3_,@function
_Z35paged_attention_ll4mi_reduce_kernelIDF16_DF16_Li64ELi64ELi256ELi11EEvPT0_PKfS3_PKT_PKiS8_iS3_: ; @_Z35paged_attention_ll4mi_reduce_kernelIDF16_DF16_Li64ELi64ELi256ELi11EEvPT0_PKfS3_PKT_PKiS8_iS3_
; %bb.0:
	s_load_dwordx2 s[34:35], s[4:5], 0x28
	s_mov_b32 s26, s7
	s_mov_b64 s[0:1], 0
	s_waitcnt lgkmcnt(0)
	s_cmp_lg_u64 s[34:35], 0
	s_cselect_b64 s[40:41], -1, 0
	s_and_b64 vcc, exec, s[40:41]
	s_cbranch_vccz .LBB30_23
; %bb.1:
	s_add_i32 s2, s26, 1
	s_mov_b32 s3, 0
	s_lshl_b64 s[8:9], s[2:3], 2
	s_add_u32 s8, s34, s8
	s_mov_b32 s27, s3
	s_addc_u32 s9, s35, s9
	s_lshl_b64 s[2:3], s[26:27], 2
	s_add_u32 s2, s34, s2
	s_addc_u32 s3, s35, s3
	s_load_dword s7, s[8:9], 0x0
	s_load_dword s10, s[2:3], 0x0
	s_waitcnt lgkmcnt(0)
	s_sub_i32 s2, s7, s10
	s_cmp_eq_u32 s2, 1
	s_cselect_b64 s[2:3], -1, 0
	s_andn2_b64 vcc, exec, s[0:1]
	s_cbranch_vccnz .LBB30_3
.LBB30_2:
	s_mov_b32 s27, 0
	s_mov_b64 s[2:3], -1
.LBB30_3:
	s_andn2_b64 vcc, exec, s[2:3]
	s_cbranch_vccz .LBB30_5
; %bb.4:
	s_endpgm
.LBB30_5:
	s_load_dwordx4 s[28:31], s[4:5], 0x18
	s_load_dword s8, s[4:5], 0x30
	s_lshl_b64 s[42:43], s[26:27], 2
	v_cmp_lt_u32_e32 vcc, 63, v0
	s_waitcnt lgkmcnt(0)
	s_add_u32 s0, s30, s42
	s_addc_u32 s1, s31, s43
	s_load_dword s50, s[0:1], 0x0
	s_load_dword s7, s[4:5], 0x40
	s_mul_i32 s30, s6, s8
	s_mul_i32 s2, s26, s8
	s_waitcnt lgkmcnt(0)
	s_add_i32 s3, s50, 0xff
	s_ashr_i32 s0, s3, 31
	s_lshr_b32 s0, s0, 24
	s_add_i32 s3, s3, s0
	s_and_saveexec_b64 s[0:1], vcc
	s_xor_b64 s[0:1], exec, s[0:1]
	s_or_saveexec_b64 s[44:45], s[0:1]
	s_ashr_i32 s33, s3, 8
	v_mov_b32_e32 v1, s30
	s_mul_i32 s46, s2, s7
	s_xor_b64 exec, exec, s[44:45]
	s_cbranch_execz .LBB30_9
; %bb.6:
	s_add_i32 s0, s33, -1
	v_or_b32_e32 v3, 64, v0
	v_mov_b32_e32 v1, s0
	v_cmp_gt_u32_e64 s[20:21], s33, v3
	v_cndmask_b32_e64 v4, v1, v3, s[20:21]
	v_or_b32_e32 v3, 0x80, v0
	v_cmp_gt_u32_e64 s[18:19], s33, v3
	v_cndmask_b32_e64 v6, v1, v3, s[18:19]
	v_or_b32_e32 v3, 0xc0, v0
	;; [unrolled: 3-line block ×6, first 2 shown]
	s_load_dwordx4 s[36:39], s[4:5], 0x8
	v_cmp_gt_u32_e64 s[8:9], s33, v3
	v_cndmask_b32_e64 v16, v1, v3, s[8:9]
	v_or_b32_e32 v3, 0x200, v0
	v_cmp_gt_u32_e64 s[2:3], s33, v3
	s_mov_b32 s47, 0
	v_cndmask_b32_e64 v18, v1, v3, s[2:3]
	v_or_b32_e32 v3, 0x240, v0
	v_cmp_gt_u32_e64 s[0:1], s33, v3
	s_lshl_b64 s[48:49], s[46:47], 2
	s_mov_b32 s31, s47
	v_cmp_gt_u32_e64 s[22:23], s33, v0
	v_cndmask_b32_e64 v20, v1, v3, s[0:1]
	v_or_b32_e32 v3, 0x280, v0
	s_waitcnt lgkmcnt(0)
	s_add_u32 s24, s38, s48
	v_cndmask_b32_e64 v2, v1, v0, s[22:23]
	v_cmp_gt_u32_e32 vcc, s33, v3
	s_addc_u32 s25, s39, s49
	s_lshl_b64 s[38:39], s[30:31], 2
	v_cndmask_b32_e32 v22, v1, v3, vcc
	s_add_u32 s31, s24, s38
	v_ashrrev_i32_e32 v3, 31, v2
	s_addc_u32 s47, s25, s39
	v_lshlrev_b64 v[2:3], 2, v[2:3]
	v_mov_b32_e32 v1, s47
	v_add_co_u32_e64 v24, s[24:25], s31, v2
	v_ashrrev_i32_e32 v5, 31, v4
	v_addc_co_u32_e64 v25, s[24:25], v1, v3, s[24:25]
	v_lshlrev_b64 v[4:5], 2, v[4:5]
	v_add_co_u32_e64 v26, s[24:25], s31, v4
	v_ashrrev_i32_e32 v7, 31, v6
	v_addc_co_u32_e64 v27, s[24:25], v1, v5, s[24:25]
	v_lshlrev_b64 v[6:7], 2, v[6:7]
	;; [unrolled: 4-line block ×8, first 2 shown]
	global_load_dword v1, v[24:25], off
	global_load_dword v40, v[26:27], off
	;; [unrolled: 1-line block ×3, first 2 shown]
	s_nop 0
	global_load_dword v30, v[30:31], off
	s_nop 0
	global_load_dword v31, v[32:33], off
	;; [unrolled: 2-line block ×3, first 2 shown]
	global_load_dword v33, v[36:37], off
	s_nop 0
	global_load_dword v34, v[38:39], off
	v_mov_b32_e32 v21, s47
	v_add_co_u32_e64 v24, s[24:25], s31, v18
	v_addc_co_u32_e64 v25, s[24:25], v21, v19, s[24:25]
	v_ashrrev_i32_e32 v21, 31, v20
	v_lshlrev_b64 v[20:21], 2, v[20:21]
	v_mov_b32_e32 v23, s47
	v_add_co_u32_e64 v26, s[24:25], s31, v20
	v_addc_co_u32_e64 v27, s[24:25], v23, v21, s[24:25]
	v_ashrrev_i32_e32 v23, 31, v22
	v_lshlrev_b64 v[22:23], 2, v[22:23]
	v_mov_b32_e32 v29, s47
	v_add_co_u32_e64 v28, s[24:25], s31, v22
	v_addc_co_u32_e64 v29, s[24:25], v29, v23, s[24:25]
	global_load_dword v24, v[24:25], off
	s_nop 0
	global_load_dword v25, v[26:27], off
	s_nop 0
	global_load_dword v26, v[28:29], off
	v_mbcnt_lo_u32_b32 v28, -1, 0
	v_mbcnt_hi_u32_b32 v28, -1, v28
	v_and_b32_e32 v29, 64, v28
	v_add_u32_e32 v29, 64, v29
	v_xor_b32_e32 v35, 32, v28
	v_cmp_lt_i32_e64 s[24:25], v35, v29
	v_cndmask_b32_e64 v35, v28, v35, s[24:25]
	v_lshlrev_b32_e32 v35, 2, v35
	s_waitcnt vmcnt(8)
	v_max3_f32 v27, v1, v40, v41
	s_waitcnt vmcnt(6)
	v_max3_f32 v27, v27, v30, v31
	;; [unrolled: 2-line block ×5, first 2 shown]
	ds_bpermute_b32 v36, v35, v27
	s_waitcnt lgkmcnt(0)
	v_max_f32_e32 v36, v36, v36
	v_max_f32_e32 v27, v27, v36
	v_xor_b32_e32 v36, 16, v28
	v_cmp_lt_i32_e64 s[24:25], v36, v29
	v_cndmask_b32_e64 v36, v28, v36, s[24:25]
	v_lshlrev_b32_e32 v36, 2, v36
	ds_bpermute_b32 v37, v36, v27
	s_waitcnt lgkmcnt(0)
	v_max_f32_e32 v37, v37, v37
	v_max_f32_e32 v27, v27, v37
	v_xor_b32_e32 v37, 8, v28
	v_cmp_lt_i32_e64 s[24:25], v37, v29
	v_cndmask_b32_e64 v37, v28, v37, s[24:25]
	v_lshlrev_b32_e32 v37, 2, v37
	;; [unrolled: 8-line block ×4, first 2 shown]
	ds_bpermute_b32 v42, v39, v27
	s_waitcnt lgkmcnt(0)
	v_max_f32_e32 v42, v42, v42
	v_max_f32_e32 v27, v27, v42
	v_xor_b32_e32 v42, 1, v28
	v_cmp_lt_i32_e64 s[24:25], v42, v29
	v_cndmask_b32_e64 v28, v28, v42, s[24:25]
	s_add_u32 s24, s36, s48
	s_addc_u32 s25, s37, s49
	s_add_u32 s31, s24, s38
	s_addc_u32 s36, s25, s39
	v_mov_b32_e32 v42, s36
	v_add_co_u32_e64 v2, s[24:25], s31, v2
	v_addc_co_u32_e64 v3, s[24:25], v42, v3, s[24:25]
	v_add_co_u32_e64 v4, s[24:25], s31, v4
	v_addc_co_u32_e64 v5, s[24:25], v42, v5, s[24:25]
	global_load_dword v42, v[2:3], off
	global_load_dword v43, v[4:5], off
	v_mov_b32_e32 v3, s36
	v_add_co_u32_e64 v2, s[24:25], s31, v6
	v_addc_co_u32_e64 v3, s[24:25], v3, v7, s[24:25]
	v_mov_b32_e32 v5, s36
	v_add_co_u32_e64 v4, s[24:25], s31, v8
	v_addc_co_u32_e64 v5, s[24:25], v5, v9, s[24:25]
	;; [unrolled: 3-line block ×6, first 2 shown]
	global_load_dword v14, v[2:3], off
	global_load_dword v15, v[4:5], off
	;; [unrolled: 1-line block ×6, first 2 shown]
	v_lshlrev_b32_e32 v28, 2, v28
	ds_bpermute_b32 v29, v28, v27
	v_mov_b32_e32 v3, s36
	v_add_co_u32_e64 v2, s[24:25], s31, v18
	v_addc_co_u32_e64 v3, s[24:25], v3, v19, s[24:25]
	s_waitcnt lgkmcnt(0)
	v_max_f32_e32 v8, v29, v29
	v_mov_b32_e32 v5, s36
	v_add_co_u32_e64 v4, s[24:25], s31, v20
	v_max_f32_e32 v8, v27, v8
	v_addc_co_u32_e64 v5, s[24:25], v5, v21, s[24:25]
	v_sub_f32_e32 v1, v1, v8
	v_add_co_u32_e64 v6, s[24:25], s31, v22
	s_mov_b32 s31, 0x3fb8aa3b
	v_mul_f32_e32 v9, 0x3fb8aa3b, v1
	v_fma_f32 v10, v1, s31, -v9
	v_rndne_f32_e32 v11, v9
	v_fmac_f32_e32 v10, 0x32a5705f, v1
	v_sub_f32_e32 v9, v9, v11
	v_add_f32_e32 v9, v9, v10
	v_exp_f32_e32 v9, v9
	v_cvt_i32_f32_e32 v10, v11
	v_mov_b32_e32 v7, s36
	v_addc_co_u32_e64 v7, s[24:25], v7, v23, s[24:25]
	global_load_dword v2, v[2:3], off
	s_nop 0
	global_load_dword v3, v[4:5], off
	global_load_dword v11, v[6:7], off
	v_sub_f32_e32 v6, v40, v8
	v_mul_f32_e32 v7, 0x3fb8aa3b, v6
	v_ldexp_f32 v4, v9, v10
	v_fma_f32 v9, v6, s31, -v7
	v_rndne_f32_e32 v10, v7
	v_fmac_f32_e32 v9, 0x32a5705f, v6
	v_sub_f32_e32 v7, v7, v10
	v_add_f32_e32 v7, v7, v9
	v_exp_f32_e32 v7, v7
	v_cvt_i32_f32_e32 v9, v10
	s_mov_b32 s36, 0xc2ce8ed0
	v_cmp_ngt_f32_e64 s[24:25], s36, v1
	s_mov_b32 s37, 0x42b17218
	v_cndmask_b32_e64 v4, 0, v4, s[24:25]
	v_mov_b32_e32 v5, 0x7f800000
	v_cmp_nlt_f32_e64 s[24:25], s37, v1
	v_cndmask_b32_e64 v1, v5, v4, s[24:25]
	v_ldexp_f32 v4, v7, v9
	v_sub_f32_e32 v7, v41, v8
	v_mul_f32_e32 v9, 0x3fb8aa3b, v7
	v_fma_f32 v10, v7, s31, -v9
	v_rndne_f32_e32 v12, v9
	v_fmac_f32_e32 v10, 0x32a5705f, v7
	v_sub_f32_e32 v9, v9, v12
	v_add_f32_e32 v9, v9, v10
	v_exp_f32_e32 v9, v9
	v_cvt_i32_f32_e32 v10, v12
	v_cndmask_b32_e64 v1, 0, v1, s[22:23]
	v_cmp_ngt_f32_e64 s[22:23], s36, v6
	v_cndmask_b32_e64 v4, 0, v4, s[22:23]
	v_cmp_nlt_f32_e64 s[22:23], s37, v6
	v_ldexp_f32 v6, v9, v10
	v_sub_f32_e32 v9, v30, v8
	v_mul_f32_e32 v10, 0x3fb8aa3b, v9
	v_fma_f32 v12, v9, s31, -v10
	v_rndne_f32_e32 v13, v10
	v_fmac_f32_e32 v12, 0x32a5705f, v9
	v_sub_f32_e32 v10, v10, v13
	v_add_f32_e32 v10, v10, v12
	v_exp_f32_e32 v10, v10
	v_cvt_i32_f32_e32 v12, v13
	v_cndmask_b32_e64 v4, v5, v4, s[22:23]
	v_cndmask_b32_e64 v4, 0, v4, s[20:21]
	v_cmp_ngt_f32_e64 s[20:21], s36, v7
	v_cndmask_b32_e64 v6, 0, v6, s[20:21]
	v_cmp_nlt_f32_e64 s[20:21], s37, v7
	v_cndmask_b32_e64 v6, v5, v6, s[20:21]
	v_ldexp_f32 v7, v10, v12
	v_sub_f32_e32 v10, v31, v8
	v_cndmask_b32_e64 v6, 0, v6, s[18:19]
	v_mul_f32_e32 v12, 0x3fb8aa3b, v10
	s_waitcnt vmcnt(8)
	v_mul_f32_e32 v6, v14, v6
	v_fma_f32 v13, v10, s31, -v12
	v_rndne_f32_e32 v14, v12
	v_fmac_f32_e32 v13, 0x32a5705f, v10
	v_sub_f32_e32 v12, v12, v14
	v_add_f32_e32 v12, v12, v13
	v_exp_f32_e32 v12, v12
	v_cvt_i32_f32_e32 v13, v14
	v_cmp_ngt_f32_e64 s[18:19], s36, v9
	v_cndmask_b32_e64 v7, 0, v7, s[18:19]
	v_cmp_nlt_f32_e64 s[18:19], s37, v9
	v_cndmask_b32_e64 v7, v5, v7, s[18:19]
	v_ldexp_f32 v9, v12, v13
	v_sub_f32_e32 v12, v32, v8
	v_cndmask_b32_e64 v7, 0, v7, s[16:17]
	v_mul_f32_e32 v13, 0x3fb8aa3b, v12
	s_waitcnt vmcnt(7)
	v_mul_f32_e32 v7, v15, v7
	v_fma_f32 v14, v12, s31, -v13
	v_rndne_f32_e32 v15, v13
	v_fmac_f32_e32 v14, 0x32a5705f, v12
	v_sub_f32_e32 v13, v13, v15
	v_add_f32_e32 v13, v13, v14
	v_exp_f32_e32 v13, v13
	v_cvt_i32_f32_e32 v14, v15
	v_cmp_ngt_f32_e64 s[16:17], s36, v10
	v_cndmask_b32_e64 v9, 0, v9, s[16:17]
	v_cmp_nlt_f32_e64 s[16:17], s37, v10
	v_cndmask_b32_e64 v9, v5, v9, s[16:17]
	v_ldexp_f32 v10, v13, v14
	v_sub_f32_e32 v13, v33, v8
	v_cndmask_b32_e64 v9, 0, v9, s[14:15]
	v_mul_f32_e32 v14, 0x3fb8aa3b, v13
	s_waitcnt vmcnt(6)
	v_mul_f32_e32 v9, v16, v9
	v_fma_f32 v15, v13, s31, -v14
	v_rndne_f32_e32 v16, v14
	v_fmac_f32_e32 v15, 0x32a5705f, v13
	v_sub_f32_e32 v14, v14, v16
	v_add_f32_e32 v14, v14, v15
	v_exp_f32_e32 v14, v14
	v_cvt_i32_f32_e32 v15, v16
	v_cmp_ngt_f32_e64 s[14:15], s36, v12
	v_cndmask_b32_e64 v10, 0, v10, s[14:15]
	v_cmp_nlt_f32_e64 s[14:15], s37, v12
	v_cndmask_b32_e64 v10, v5, v10, s[14:15]
	v_ldexp_f32 v12, v14, v15
	v_sub_f32_e32 v14, v34, v8
	v_cndmask_b32_e64 v10, 0, v10, s[12:13]
	v_mul_f32_e32 v15, 0x3fb8aa3b, v14
	s_waitcnt vmcnt(5)
	v_mul_f32_e32 v10, v17, v10
	v_fma_f32 v16, v14, s31, -v15
	v_rndne_f32_e32 v17, v15
	v_fmac_f32_e32 v16, 0x32a5705f, v14
	v_sub_f32_e32 v15, v15, v17
	v_add_f32_e32 v15, v15, v16
	v_exp_f32_e32 v15, v15
	v_cvt_i32_f32_e32 v16, v17
	v_cmp_ngt_f32_e64 s[12:13], s36, v13
	v_cndmask_b32_e64 v12, 0, v12, s[12:13]
	v_cmp_nlt_f32_e64 s[12:13], s37, v13
	v_ldexp_f32 v13, v15, v16
	v_sub_f32_e32 v15, v24, v8
	v_mul_f32_e32 v16, 0x3fb8aa3b, v15
	v_fma_f32 v17, v15, s31, -v16
	v_rndne_f32_e32 v18, v16
	v_fmac_f32_e32 v17, 0x32a5705f, v15
	v_sub_f32_e32 v16, v16, v18
	v_add_f32_e32 v16, v16, v17
	v_exp_f32_e32 v16, v16
	v_cvt_i32_f32_e32 v17, v18
	v_cndmask_b32_e64 v12, v5, v12, s[12:13]
	v_cndmask_b32_e64 v12, 0, v12, s[10:11]
	v_cmp_ngt_f32_e64 s[10:11], s36, v14
	v_cndmask_b32_e64 v13, 0, v13, s[10:11]
	v_cmp_nlt_f32_e64 s[10:11], s37, v14
	v_ldexp_f32 v14, v16, v17
	v_sub_f32_e32 v16, v25, v8
	v_mul_f32_e32 v17, 0x3fb8aa3b, v16
	v_fma_f32 v18, v16, s31, -v17
	v_rndne_f32_e32 v19, v17
	v_fmac_f32_e32 v18, 0x32a5705f, v16
	v_sub_f32_e32 v17, v17, v19
	v_cndmask_b32_e64 v13, v5, v13, s[10:11]
	v_add_f32_e32 v17, v17, v18
	v_cndmask_b32_e64 v13, 0, v13, s[8:9]
	v_cmp_ngt_f32_e64 s[8:9], s36, v15
	v_exp_f32_e32 v17, v17
	v_cvt_i32_f32_e32 v18, v19
	v_cndmask_b32_e64 v14, 0, v14, s[8:9]
	v_cmp_nlt_f32_e64 s[8:9], s37, v15
	v_cndmask_b32_e64 v14, v5, v14, s[8:9]
	v_sub_f32_e32 v8, v26, v8
	v_cndmask_b32_e64 v14, 0, v14, s[2:3]
	v_mul_f32_e32 v15, 0x3fb8aa3b, v8
	s_waitcnt vmcnt(2)
	v_mul_f32_e32 v14, v2, v14
	v_ldexp_f32 v2, v17, v18
	v_fma_f32 v17, v8, s31, -v15
	v_rndne_f32_e32 v18, v15
	v_fmac_f32_e32 v17, 0x32a5705f, v8
	v_sub_f32_e32 v15, v15, v18
	v_add_f32_e32 v15, v15, v17
	v_cmp_ngt_f32_e64 s[2:3], s36, v16
	v_exp_f32_e32 v15, v15
	v_cvt_i32_f32_e32 v17, v18
	v_cndmask_b32_e64 v2, 0, v2, s[2:3]
	v_cmp_nlt_f32_e64 s[2:3], s37, v16
	v_cndmask_b32_e64 v2, v5, v2, s[2:3]
	v_cndmask_b32_e64 v2, 0, v2, s[0:1]
	s_waitcnt vmcnt(1)
	v_mul_f32_e32 v3, v3, v2
	v_ldexp_f32 v2, v15, v17
	v_cmp_ngt_f32_e64 s[0:1], s36, v8
	v_cndmask_b32_e64 v2, 0, v2, s[0:1]
	v_cmp_nlt_f32_e64 s[0:1], s37, v8
	v_cndmask_b32_e64 v2, v5, v2, s[0:1]
	v_mul_f32_e32 v1, v42, v1
	v_mul_f32_e32 v4, v43, v4
	v_cndmask_b32_e32 v2, 0, v2, vcc
	s_waitcnt vmcnt(0)
	v_mul_f32_e32 v5, v11, v2
	v_add_f32_e32 v2, v1, v4
	v_add_f32_e32 v2, v2, v6
	;; [unrolled: 1-line block ×4, first 2 shown]
	v_mul_f32_e32 v12, v44, v12
	v_add_f32_e32 v2, v2, v10
	v_mul_f32_e32 v13, v45, v13
	v_add_f32_e32 v2, v2, v12
	v_add_f32_e32 v2, v2, v13
	;; [unrolled: 1-line block ×5, first 2 shown]
	ds_bpermute_b32 v8, v35, v2
	v_lshlrev_b32_e32 v11, 2, v0
	ds_write2st64_b32 v11, v1, v4 offset1:1
	ds_write2st64_b32 v11, v6, v7 offset0:2 offset1:3
	ds_write2st64_b32 v11, v9, v10 offset0:4 offset1:5
	v_cmp_eq_u32_e32 vcc, 0, v0
	ds_write2st64_b32 v11, v12, v13 offset0:6 offset1:7
	ds_write2st64_b32 v11, v14, v3 offset0:8 offset1:9
	ds_write_b32 v11, v5 offset:2560
	s_waitcnt lgkmcnt(6)
	v_add_f32_e32 v2, v2, v8
	ds_bpermute_b32 v8, v36, v2
	s_waitcnt lgkmcnt(0)
	v_add_f32_e32 v2, v2, v8
	ds_bpermute_b32 v8, v37, v2
	;; [unrolled: 3-line block ×5, first 2 shown]
	s_and_saveexec_b64 s[0:1], vcc
	s_cbranch_execz .LBB30_8
; %bb.7:
	s_waitcnt lgkmcnt(0)
	v_add_f32_e32 v1, v1, v2
	v_mov_b32_e32 v2, 0
	ds_write_b32 v2, v1 offset:2816
.LBB30_8:
	s_or_b64 exec, exec, s[0:1]
	v_mov_b32_e32 v1, s30
.LBB30_9:
	s_or_b64 exec, exec, s[44:45]
	s_lshl_b32 s0, s46, 6
	s_mov_b32 s1, 0
	s_lshl_b64 s[0:1], s[0:1], 1
	s_add_u32 s0, s28, s0
	s_addc_u32 s1, s29, s1
	s_lshl_b32 s10, s33, 6
	s_waitcnt lgkmcnt(0)
	v_lshlrev_b32_e32 v2, 6, v1
	v_mov_b32_e32 v3, 0
	s_sub_i32 s11, s10, 64
	v_lshlrev_b64 v[4:5], 1, v[2:3]
	s_cmp_lt_i32 s50, 1
	v_mov_b32_e32 v1, s1
	v_add_co_u32_e32 v4, vcc, s0, v4
	s_cselect_b32 s0, s11, 0
	v_addc_co_u32_e32 v1, vcc, v1, v5, vcc
	v_lshlrev_b32_e32 v2, 1, v0
	s_ashr_i32 s1, s0, 31
	v_add_co_u32_e32 v0, vcc, v4, v2
	s_lshl_b64 s[0:1], s[0:1], 1
	v_addc_co_u32_e32 v1, vcc, 0, v1, vcc
	s_cmpk_lt_i32 s50, 0x101
	v_add_co_u32_e32 v12, vcc, s0, v0
	s_cselect_b32 s0, s11, 64
	v_mov_b32_e32 v4, s1
	s_ashr_i32 s1, s0, 31
	s_lshl_b64 s[0:1], s[0:1], 1
	v_addc_co_u32_e32 v13, vcc, v1, v4, vcc
	s_cmpk_lt_i32 s50, 0x201
	v_add_co_u32_e32 v14, vcc, s0, v0
	s_cselect_b32 s0, s11, 0x80
	v_mov_b32_e32 v4, s1
	s_ashr_i32 s1, s0, 31
	;; [unrolled: 7-line block ×8, first 2 shown]
	s_lshl_b64 s[0:1], s[0:1], 1
	v_addc_co_u32_e32 v27, vcc, v1, v4, vcc
	s_cmpk_lt_i32 s50, 0x901
	global_load_ushort v4, v[12:13], off
	global_load_ushort v5, v[14:15], off
	global_load_ushort v6, v[16:17], off
	global_load_ushort v7, v[18:19], off
	global_load_ushort v8, v[20:21], off
	global_load_ushort v9, v[22:23], off
	global_load_ushort v10, v[24:25], off
	global_load_ushort v11, v[26:27], off
	v_add_co_u32_e32 v20, vcc, s0, v0
	s_cselect_b32 s0, s11, 0x240
	v_mov_b32_e32 v12, s1
	s_ashr_i32 s1, s0, 31
	s_lshl_b64 s[0:1], s[0:1], 1
	v_addc_co_u32_e32 v21, vcc, v1, v12, vcc
	s_cmpk_lt_i32 s50, 0xa01
	v_add_co_u32_e32 v22, vcc, s0, v0
	s_cselect_b32 s0, s11, 0x280
	v_mov_b32_e32 v12, s1
	s_ashr_i32 s1, s0, 31
	s_lshl_b64 s[0:1], s[0:1], 1
	v_addc_co_u32_e32 v23, vcc, v1, v12, vcc
	s_cmpk_lt_i32 s50, 0xb01
	;; [unrolled: 7-line block ×6, first 2 shown]
	v_add_co_u32_e32 v32, vcc, s0, v0
	s_cselect_b32 s0, s11, 0x3c0
	v_mov_b32_e32 v12, s1
	s_ashr_i32 s1, s0, 31
	v_addc_co_u32_e32 v33, vcc, v1, v12, vcc
	s_lshl_b64 s[0:1], s[0:1], 1
	v_mov_b32_e32 v12, s1
	v_add_co_u32_e32 v34, vcc, s0, v0
	v_addc_co_u32_e32 v35, vcc, v1, v12, vcc
	global_load_ushort v12, v[20:21], off
	global_load_ushort v13, v[22:23], off
	;; [unrolled: 1-line block ×8, first 2 shown]
	s_cmpk_gt_i32 s50, 0x1000
	s_cselect_b64 s[8:9], -1, 0
	s_cmpk_lt_i32 s50, 0x1001
	v_mov_b32_e32 v36, 0
	v_mov_b32_e32 v37, 0
	;; [unrolled: 1-line block ×48, first 2 shown]
	s_waitcnt lgkmcnt(0)
	; wave barrier
	s_cbranch_scc1 .LBB30_12
; %bb.10:
	s_cmpk_lt_u32 s50, 0x1101
	s_cselect_b32 s0, s11, 0x440
	s_ashr_i32 s1, s0, 31
	s_lshl_b64 s[0:1], s[0:1], 1
	s_cmpk_lt_u32 s50, 0x1201
	v_add_co_u32_e32 v28, vcc, s0, v0
	s_cselect_b32 s0, s11, 0x480
	v_mov_b32_e32 v20, s1
	s_ashr_i32 s1, s0, 31
	s_lshl_b64 s[0:1], s[0:1], 1
	v_addc_co_u32_e32 v29, vcc, v1, v20, vcc
	s_cmpk_lt_u32 s50, 0x1301
	v_add_co_u32_e32 v30, vcc, s0, v0
	s_cselect_b32 s0, s11, 0x4c0
	v_mov_b32_e32 v20, s1
	s_ashr_i32 s1, s0, 31
	s_lshl_b64 s[0:1], s[0:1], 1
	v_addc_co_u32_e32 v31, vcc, v1, v20, vcc
	;; [unrolled: 7-line block ×7, first 2 shown]
	s_cmpk_lt_u32 s50, 0x1901
	global_load_ushort v27, v[0:1], off offset:2048
	global_load_ushort v26, v[28:29], off
	global_load_ushort v25, v[30:31], off
	;; [unrolled: 1-line block ×7, first 2 shown]
	v_add_co_u32_e32 v36, vcc, s0, v0
	s_cselect_b32 s0, s11, 0x640
	v_mov_b32_e32 v28, s1
	s_ashr_i32 s1, s0, 31
	s_lshl_b64 s[0:1], s[0:1], 1
	v_addc_co_u32_e32 v37, vcc, v1, v28, vcc
	s_cmpk_lt_u32 s50, 0x1a01
	v_add_co_u32_e32 v38, vcc, s0, v0
	s_cselect_b32 s0, s11, 0x680
	v_mov_b32_e32 v28, s1
	s_ashr_i32 s1, s0, 31
	s_lshl_b64 s[0:1], s[0:1], 1
	v_addc_co_u32_e32 v39, vcc, v1, v28, vcc
	s_cmpk_lt_u32 s50, 0x1b01
	;; [unrolled: 7-line block ×6, first 2 shown]
	v_add_co_u32_e32 v48, vcc, s0, v0
	s_cselect_b32 s0, s11, 0x7c0
	v_mov_b32_e32 v28, s1
	s_ashr_i32 s1, s0, 31
	v_addc_co_u32_e32 v49, vcc, v1, v28, vcc
	s_lshl_b64 s[0:1], s[0:1], 1
	v_mov_b32_e32 v28, s1
	v_add_co_u32_e32 v50, vcc, s0, v0
	v_addc_co_u32_e32 v51, vcc, v1, v28, vcc
	global_load_ushort v35, v[36:37], off
	global_load_ushort v34, v[38:39], off
	;; [unrolled: 1-line block ×8, first 2 shown]
	s_cmpk_lt_u32 s50, 0x2001
	v_mov_b32_e32 v67, 0
	v_mov_b32_e32 v66, 0
	;; [unrolled: 1-line block ×32, first 2 shown]
	s_cbranch_scc1 .LBB30_12
; %bb.11:
	s_cmpk_lt_u32 s50, 0x2101
	s_cselect_b32 s0, s11, 0x840
	s_ashr_i32 s1, s0, 31
	v_add_co_u32_e32 v36, vcc, 0x1000, v0
	s_lshl_b64 s[0:1], s[0:1], 1
	v_addc_co_u32_e32 v37, vcc, 0, v1, vcc
	s_cmpk_lt_u32 s50, 0x2201
	v_add_co_u32_e32 v38, vcc, s0, v0
	s_cselect_b32 s0, s11, 0x880
	v_mov_b32_e32 v39, s1
	s_ashr_i32 s1, s0, 31
	s_lshl_b64 s[0:1], s[0:1], 1
	v_addc_co_u32_e32 v39, vcc, v1, v39, vcc
	s_cmpk_lt_u32 s50, 0x2301
	v_add_co_u32_e32 v40, vcc, s0, v0
	s_cselect_b32 s0, s11, 0x8c0
	v_mov_b32_e32 v41, s1
	s_ashr_i32 s1, s0, 31
	s_lshl_b64 s[0:1], s[0:1], 1
	v_addc_co_u32_e32 v41, vcc, v1, v41, vcc
	s_cmpk_lt_u32 s50, 0x2401
	v_add_co_u32_e32 v42, vcc, s0, v0
	s_cselect_b32 s0, s11, 0x900
	v_mov_b32_e32 v43, s1
	s_ashr_i32 s1, s0, 31
	s_lshl_b64 s[0:1], s[0:1], 1
	v_addc_co_u32_e32 v43, vcc, v1, v43, vcc
	s_cmpk_lt_u32 s50, 0x2501
	v_add_co_u32_e32 v44, vcc, s0, v0
	s_cselect_b32 s0, s11, 0x940
	v_mov_b32_e32 v45, s1
	s_ashr_i32 s1, s0, 31
	s_lshl_b64 s[0:1], s[0:1], 1
	v_addc_co_u32_e32 v45, vcc, v1, v45, vcc
	s_cmpk_lt_u32 s50, 0x2601
	v_add_co_u32_e32 v46, vcc, s0, v0
	s_cselect_b32 s0, s11, 0x980
	v_mov_b32_e32 v47, s1
	s_ashr_i32 s1, s0, 31
	s_lshl_b64 s[0:1], s[0:1], 1
	v_addc_co_u32_e32 v47, vcc, v1, v47, vcc
	s_cmpk_lt_u32 s50, 0x2701
	v_add_co_u32_e32 v48, vcc, s0, v0
	s_cselect_b32 s0, s11, 0x9c0
	v_mov_b32_e32 v49, s1
	s_ashr_i32 s1, s0, 31
	s_lshl_b64 s[0:1], s[0:1], 1
	v_addc_co_u32_e32 v49, vcc, v1, v49, vcc
	s_cmpk_lt_u32 s50, 0x2801
	v_add_co_u32_e32 v50, vcc, s0, v0
	s_cselect_b32 s0, s11, 0xa00
	v_mov_b32_e32 v51, s1
	s_ashr_i32 s1, s0, 31
	s_lshl_b64 s[0:1], s[0:1], 1
	v_addc_co_u32_e32 v51, vcc, v1, v51, vcc
	s_cmpk_lt_u32 s50, 0x2901
	global_load_ushort v52, v[36:37], off
	global_load_ushort v53, v[38:39], off
	global_load_ushort v54, v[40:41], off
	global_load_ushort v55, v[42:43], off
	global_load_ushort v56, v[44:45], off
	global_load_ushort v57, v[46:47], off
	global_load_ushort v58, v[48:49], off
	global_load_ushort v59, v[50:51], off
	v_add_co_u32_e32 v36, vcc, s0, v0
	s_cselect_b32 s0, s11, 0xa40
	v_mov_b32_e32 v37, s1
	s_ashr_i32 s1, s0, 31
	s_lshl_b64 s[0:1], s[0:1], 1
	v_addc_co_u32_e32 v37, vcc, v1, v37, vcc
	s_cmpk_lt_u32 s50, 0x2a01
	v_add_co_u32_e32 v38, vcc, s0, v0
	s_cselect_b32 s0, s11, 0xa80
	v_mov_b32_e32 v39, s1
	s_ashr_i32 s1, s0, 31
	s_lshl_b64 s[0:1], s[0:1], 1
	v_addc_co_u32_e32 v39, vcc, v1, v39, vcc
	s_cmpk_lt_u32 s50, 0x2b01
	v_add_co_u32_e32 v40, vcc, s0, v0
	s_cselect_b32 s0, s11, 0xac0
	v_mov_b32_e32 v41, s1
	s_ashr_i32 s1, s0, 31
	s_lshl_b64 s[0:1], s[0:1], 1
	v_addc_co_u32_e32 v41, vcc, v1, v41, vcc
	s_cmpk_lt_u32 s50, 0x2c01
	v_add_co_u32_e32 v42, vcc, s0, v0
	s_cselect_b32 s0, s11, 0xb00
	v_mov_b32_e32 v43, s1
	s_ashr_i32 s1, s0, 31
	s_lshl_b64 s[0:1], s[0:1], 1
	v_addc_co_u32_e32 v43, vcc, v1, v43, vcc
	s_cmpk_lt_u32 s50, 0x2d01
	v_add_co_u32_e32 v44, vcc, s0, v0
	s_cselect_b32 s0, s11, 0xb40
	v_mov_b32_e32 v45, s1
	s_ashr_i32 s1, s0, 31
	s_lshl_b64 s[0:1], s[0:1], 1
	v_addc_co_u32_e32 v45, vcc, v1, v45, vcc
	s_cmpk_lt_u32 s50, 0x2e01
	v_add_co_u32_e32 v46, vcc, s0, v0
	s_cselect_b32 s0, s11, 0xb80
	v_mov_b32_e32 v47, s1
	s_ashr_i32 s1, s0, 31
	s_lshl_b64 s[0:1], s[0:1], 1
	v_addc_co_u32_e32 v47, vcc, v1, v47, vcc
	s_cmpk_lt_u32 s50, 0x2f01
	v_add_co_u32_e32 v48, vcc, s0, v0
	s_cselect_b32 s0, s11, 0xbc0
	v_mov_b32_e32 v49, s1
	s_ashr_i32 s1, s0, 31
	s_lshl_b64 s[0:1], s[0:1], 1
	v_addc_co_u32_e32 v49, vcc, v1, v49, vcc
	s_cmpk_lt_u32 s50, 0x3001
	v_add_co_u32_e32 v50, vcc, s0, v0
	s_cselect_b32 s0, s11, 0xc00
	v_mov_b32_e32 v51, s1
	s_ashr_i32 s1, s0, 31
	s_lshl_b64 s[0:1], s[0:1], 1
	v_addc_co_u32_e32 v51, vcc, v1, v51, vcc
	s_cmpk_lt_u32 s50, 0x3101
	global_load_ushort v68, v[36:37], off
	global_load_ushort v69, v[38:39], off
	global_load_ushort v70, v[40:41], off
	global_load_ushort v71, v[42:43], off
	global_load_ushort v72, v[44:45], off
	global_load_ushort v73, v[46:47], off
	global_load_ushort v74, v[48:49], off
	global_load_ushort v75, v[50:51], off
	v_add_co_u32_e32 v36, vcc, s0, v0
	s_cselect_b32 s0, s11, 0xc40
	v_mov_b32_e32 v37, s1
	s_ashr_i32 s1, s0, 31
	;; [unrolled: 64-line block ×3, first 2 shown]
	s_lshl_b64 s[0:1], s[0:1], 1
	v_addc_co_u32_e32 v37, vcc, v1, v37, vcc
	s_cmpk_lt_u32 s50, 0x3a01
	v_add_co_u32_e32 v38, vcc, s0, v0
	s_cselect_b32 s0, s11, 0xe80
	v_mov_b32_e32 v39, s1
	s_ashr_i32 s1, s0, 31
	s_lshl_b64 s[0:1], s[0:1], 1
	v_addc_co_u32_e32 v39, vcc, v1, v39, vcc
	s_cmpk_lt_u32 s50, 0x3b01
	v_add_co_u32_e32 v40, vcc, s0, v0
	s_cselect_b32 s0, s11, 0xec0
	v_mov_b32_e32 v41, s1
	s_ashr_i32 s1, s0, 31
	;; [unrolled: 7-line block ×6, first 2 shown]
	v_addc_co_u32_e32 v49, vcc, v1, v49, vcc
	s_lshl_b64 s[0:1], s[0:1], 1
	v_mov_b32_e32 v51, s1
	v_add_co_u32_e32 v50, vcc, s0, v0
	v_addc_co_u32_e32 v51, vcc, v1, v51, vcc
	global_load_ushort v84, v[36:37], off
	global_load_ushort v85, v[38:39], off
	global_load_ushort v86, v[40:41], off
	global_load_ushort v87, v[42:43], off
	global_load_ushort v88, v[44:45], off
	global_load_ushort v89, v[46:47], off
	global_load_ushort v90, v[48:49], off
	global_load_ushort v91, v[50:51], off
	s_waitcnt vmcnt(31)
	v_cvt_f32_f16_e32 v67, v52
	s_waitcnt vmcnt(30)
	v_cvt_f32_f16_e32 v66, v53
	;; [unrolled: 2-line block ×32, first 2 shown]
.LBB30_12:
	ds_read_b128 v[68:71], v3
	s_load_dwordx2 s[0:1], s[4:5], 0x0
	s_load_dwordx2 s[2:3], s[4:5], 0x38
	ds_read_b128 v[72:75], v3 offset:16
	ds_read_b128 v[76:79], v3 offset:32
	;; [unrolled: 1-line block ×3, first 2 shown]
	s_and_b64 vcc, exec, s[8:9]
	s_waitcnt vmcnt(15) lgkmcnt(0)
	v_fma_mix_f32 v4, v68, v4, 0 op_sel_hi:[0,1,0]
	s_waitcnt vmcnt(14)
	v_fma_mix_f32 v4, v69, v5, v4 op_sel_hi:[0,1,0]
	s_waitcnt vmcnt(13)
	;; [unrolled: 2-line block ×15, first 2 shown]
	v_fma_mix_f32 v4, v83, v19, v4 op_sel_hi:[0,1,0]
	s_cbranch_vccz .LBB30_15
; %bb.13:
	ds_read_b128 v[6:9], v3 offset:64
	ds_read_b128 v[10:13], v3 offset:80
	;; [unrolled: 1-line block ×4, first 2 shown]
	s_cmpk_lt_u32 s50, 0x2001
	s_waitcnt lgkmcnt(3)
	v_fma_mix_f32 v3, v6, v27, v4 op_sel_hi:[0,1,0]
	v_fma_mix_f32 v3, v7, v26, v3 op_sel_hi:[0,1,0]
	v_fma_mix_f32 v3, v8, v25, v3 op_sel_hi:[0,1,0]
	v_fma_mix_f32 v3, v9, v24, v3 op_sel_hi:[0,1,0]
	s_waitcnt lgkmcnt(2)
	v_fma_mix_f32 v3, v10, v23, v3 op_sel_hi:[0,1,0]
	v_fma_mix_f32 v3, v11, v22, v3 op_sel_hi:[0,1,0]
	v_fma_mix_f32 v3, v12, v20, v3 op_sel_hi:[0,1,0]
	v_fma_mix_f32 v3, v13, v21, v3 op_sel_hi:[0,1,0]
	;; [unrolled: 5-line block ×4, first 2 shown]
	s_cbranch_scc1 .LBB30_15
; %bb.14:
	v_mov_b32_e32 v3, 0
	ds_read_b128 v[6:9], v3 offset:128
	ds_read_b128 v[10:13], v3 offset:144
	;; [unrolled: 1-line block ×4, first 2 shown]
	s_waitcnt lgkmcnt(3)
	v_fmac_f32_e32 v4, v6, v67
	v_fmac_f32_e32 v4, v7, v66
	v_fmac_f32_e32 v4, v8, v65
	v_fmac_f32_e32 v4, v9, v64
	s_waitcnt lgkmcnt(2)
	v_fmac_f32_e32 v4, v10, v63
	v_fmac_f32_e32 v4, v11, v62
	v_fmac_f32_e32 v4, v12, v61
	v_fmac_f32_e32 v4, v13, v60
	;; [unrolled: 5-line block ×3, first 2 shown]
	ds_read_b128 v[6:9], v3 offset:192
	ds_read_b128 v[10:13], v3 offset:208
	s_waitcnt lgkmcnt(2)
	v_fmac_f32_e32 v4, v18, v55
	v_fmac_f32_e32 v4, v19, v54
	;; [unrolled: 1-line block ×4, first 2 shown]
	s_waitcnt lgkmcnt(1)
	v_fmac_f32_e32 v4, v6, v51
	v_fmac_f32_e32 v4, v7, v50
	;; [unrolled: 1-line block ×4, first 2 shown]
	ds_read_b128 v[6:9], v3 offset:224
	s_waitcnt lgkmcnt(1)
	v_fmac_f32_e32 v4, v10, v47
	v_fmac_f32_e32 v4, v11, v46
	;; [unrolled: 1-line block ×4, first 2 shown]
	ds_read_b128 v[10:13], v3 offset:240
	s_waitcnt lgkmcnt(1)
	v_fmac_f32_e32 v4, v6, v43
	v_fmac_f32_e32 v4, v7, v42
	;; [unrolled: 1-line block ×4, first 2 shown]
	s_waitcnt lgkmcnt(0)
	v_fmac_f32_e32 v4, v10, v39
	v_fmac_f32_e32 v4, v11, v38
	;; [unrolled: 1-line block ×4, first 2 shown]
.LBB30_15:
	s_movk_i32 s4, 0x1fc0
	s_movk_i32 s5, 0x100
	s_mov_b32 s8, 64
	s_branch .LBB30_17
.LBB30_16:                              ;   in Loop: Header=BB30_17 Depth=1
	s_addk_i32 s4, 0x1000
	s_addk_i32 s5, 0x100
	s_add_i32 s8, s8, 64
	s_cmpk_eq_u32 s4, 0xbfc0
	s_cbranch_scc1 .LBB30_19
.LBB30_17:                              ; =>This Inner Loop Header: Depth=1
	s_cmp_le_i32 s33, s8
	s_cbranch_scc1 .LBB30_16
; %bb.18:                               ;   in Loop: Header=BB30_17 Depth=1
	s_add_i32 s9, s4, 0xfffff040
	s_cmp_lt_i32 s9, s10
	s_cselect_b32 s12, s9, s11
	s_ashr_i32 s13, s12, 31
	s_lshl_b64 s[12:13], s[12:13], 1
	s_add_i32 s9, s4, 0xfffff080
	s_cmp_lt_i32 s9, s10
	v_add_co_u32_e32 v12, vcc, s12, v0
	s_cselect_b32 s12, s9, s11
	v_mov_b32_e32 v3, s13
	s_ashr_i32 s13, s12, 31
	s_lshl_b64 s[12:13], s[12:13], 1
	s_add_i32 s9, s4, 0xfffff0c0
	v_addc_co_u32_e32 v13, vcc, v1, v3, vcc
	s_cmp_lt_i32 s9, s10
	v_add_co_u32_e32 v14, vcc, s12, v0
	s_cselect_b32 s12, s9, s11
	v_mov_b32_e32 v3, s13
	s_ashr_i32 s13, s12, 31
	s_lshl_b64 s[12:13], s[12:13], 1
	s_add_i32 s9, s4, 0xfffff100
	v_addc_co_u32_e32 v15, vcc, v1, v3, vcc
	s_cmp_lt_i32 s9, s10
	v_add_co_u32_e32 v16, vcc, s12, v0
	s_cselect_b32 s12, s9, s11
	v_mov_b32_e32 v3, s13
	s_ashr_i32 s13, s12, 31
	s_lshl_b64 s[12:13], s[12:13], 1
	s_add_i32 s9, s4, 0xfffff140
	v_addc_co_u32_e32 v17, vcc, v1, v3, vcc
	s_cmp_lt_i32 s9, s10
	v_add_co_u32_e32 v18, vcc, s12, v0
	s_cselect_b32 s12, s9, s11
	v_mov_b32_e32 v3, s13
	s_ashr_i32 s13, s12, 31
	s_lshl_b64 s[12:13], s[12:13], 1
	s_add_i32 s9, s4, 0xfffff180
	v_addc_co_u32_e32 v19, vcc, v1, v3, vcc
	s_cmp_lt_i32 s9, s10
	v_add_co_u32_e32 v20, vcc, s12, v0
	s_cselect_b32 s12, s9, s11
	v_mov_b32_e32 v3, s13
	s_ashr_i32 s13, s12, 31
	s_lshl_b64 s[12:13], s[12:13], 1
	s_add_i32 s9, s4, 0xfffff1c0
	v_addc_co_u32_e32 v21, vcc, v1, v3, vcc
	s_cmp_lt_i32 s9, s10
	v_add_co_u32_e32 v22, vcc, s12, v0
	s_cselect_b32 s12, s9, s11
	v_mov_b32_e32 v3, s13
	s_ashr_i32 s13, s12, 31
	s_lshl_b64 s[12:13], s[12:13], 1
	s_add_i32 s9, s4, 0xfffff200
	v_addc_co_u32_e32 v23, vcc, v1, v3, vcc
	s_cmp_lt_i32 s9, s10
	v_add_co_u32_e32 v24, vcc, s12, v0
	s_cselect_b32 s12, s9, s11
	v_mov_b32_e32 v3, s13
	s_ashr_i32 s13, s12, 31
	s_lshl_b64 s[12:13], s[12:13], 1
	s_add_i32 s9, s4, 0xfffff240
	v_addc_co_u32_e32 v25, vcc, v1, v3, vcc
	s_cmp_lt_i32 s9, s10
	v_add_co_u32_e32 v26, vcc, s12, v0
	s_cselect_b32 s12, s9, s11
	v_mov_b32_e32 v3, s13
	s_ashr_i32 s13, s12, 31
	s_lshl_b64 s[12:13], s[12:13], 1
	s_add_i32 s9, s4, 0xfffff280
	v_addc_co_u32_e32 v27, vcc, v1, v3, vcc
	s_cmp_lt_i32 s9, s10
	global_load_ushort v3, v[12:13], off
	global_load_ushort v5, v[14:15], off
	global_load_ushort v6, v[16:17], off
	global_load_ushort v7, v[18:19], off
	global_load_ushort v8, v[20:21], off
	global_load_ushort v9, v[22:23], off
	global_load_ushort v10, v[24:25], off
	global_load_ushort v11, v[26:27], off
	v_add_co_u32_e32 v20, vcc, s12, v0
	s_cselect_b32 s12, s9, s11
	v_mov_b32_e32 v12, s13
	s_ashr_i32 s13, s12, 31
	s_lshl_b64 s[12:13], s[12:13], 1
	s_add_i32 s9, s4, 0xfffff2c0
	v_addc_co_u32_e32 v21, vcc, v1, v12, vcc
	s_cmp_lt_i32 s9, s10
	v_add_co_u32_e32 v22, vcc, s12, v0
	s_cselect_b32 s12, s9, s11
	v_mov_b32_e32 v12, s13
	s_ashr_i32 s13, s12, 31
	s_lshl_b64 s[12:13], s[12:13], 1
	s_add_i32 s9, s4, 0xfffff300
	v_addc_co_u32_e32 v23, vcc, v1, v12, vcc
	s_cmp_lt_i32 s9, s10
	;; [unrolled: 8-line block ×8, first 2 shown]
	global_load_ushort v15, v[20:21], off
	global_load_ushort v16, v[22:23], off
	global_load_ushort v17, v[24:25], off
	global_load_ushort v18, v[26:27], off
	global_load_ushort v19, v[28:29], off
	global_load_ushort v12, v[30:31], off
	global_load_ushort v13, v[32:33], off
	global_load_ushort v14, v[34:35], off
	v_add_co_u32_e32 v28, vcc, s12, v0
	s_cselect_b32 s12, s9, s11
	v_mov_b32_e32 v20, s13
	s_ashr_i32 s13, s12, 31
	s_lshl_b64 s[12:13], s[12:13], 1
	s_add_i32 s9, s4, 0xfffff4c0
	v_addc_co_u32_e32 v29, vcc, v1, v20, vcc
	s_cmp_lt_i32 s9, s10
	v_add_co_u32_e32 v30, vcc, s12, v0
	s_cselect_b32 s12, s9, s11
	v_mov_b32_e32 v20, s13
	s_ashr_i32 s13, s12, 31
	s_lshl_b64 s[12:13], s[12:13], 1
	s_add_i32 s9, s4, 0xfffff500
	v_addc_co_u32_e32 v31, vcc, v1, v20, vcc
	s_cmp_lt_i32 s9, s10
	;; [unrolled: 8-line block ×8, first 2 shown]
	global_load_ushort v23, v[28:29], off
	global_load_ushort v24, v[30:31], off
	;; [unrolled: 1-line block ×8, first 2 shown]
	v_add_co_u32_e32 v36, vcc, s12, v0
	s_cselect_b32 s12, s9, s11
	v_mov_b32_e32 v28, s13
	s_ashr_i32 s13, s12, 31
	s_lshl_b64 s[12:13], s[12:13], 1
	s_add_i32 s9, s4, 0xfffff6c0
	v_addc_co_u32_e32 v37, vcc, v1, v28, vcc
	s_cmp_lt_i32 s9, s10
	v_add_co_u32_e32 v38, vcc, s12, v0
	s_cselect_b32 s12, s9, s11
	v_mov_b32_e32 v28, s13
	s_ashr_i32 s13, s12, 31
	s_lshl_b64 s[12:13], s[12:13], 1
	s_add_i32 s9, s4, 0xfffff700
	v_addc_co_u32_e32 v39, vcc, v1, v28, vcc
	s_cmp_lt_i32 s9, s10
	;; [unrolled: 8-line block ×8, first 2 shown]
	global_load_ushort v31, v[36:37], off
	global_load_ushort v32, v[38:39], off
	;; [unrolled: 1-line block ×8, first 2 shown]
	v_add_co_u32_e32 v36, vcc, s12, v0
	s_cselect_b32 s12, s9, s11
	v_mov_b32_e32 v37, s13
	s_ashr_i32 s13, s12, 31
	s_lshl_b64 s[12:13], s[12:13], 1
	s_add_i32 s9, s4, 0xfffff8c0
	v_addc_co_u32_e32 v37, vcc, v1, v37, vcc
	s_cmp_lt_i32 s9, s10
	v_add_co_u32_e32 v38, vcc, s12, v0
	s_cselect_b32 s12, s9, s11
	v_mov_b32_e32 v39, s13
	s_ashr_i32 s13, s12, 31
	s_lshl_b64 s[12:13], s[12:13], 1
	s_add_i32 s9, s4, 0xfffff900
	v_addc_co_u32_e32 v39, vcc, v1, v39, vcc
	s_cmp_lt_i32 s9, s10
	;; [unrolled: 8-line block ×8, first 2 shown]
	global_load_ushort v52, v[36:37], off
	global_load_ushort v53, v[38:39], off
	global_load_ushort v54, v[40:41], off
	global_load_ushort v55, v[42:43], off
	global_load_ushort v56, v[44:45], off
	global_load_ushort v57, v[46:47], off
	global_load_ushort v58, v[48:49], off
	global_load_ushort v59, v[50:51], off
	v_add_co_u32_e32 v36, vcc, s12, v0
	s_cselect_b32 s12, s9, s11
	v_mov_b32_e32 v37, s13
	s_ashr_i32 s13, s12, 31
	s_lshl_b64 s[12:13], s[12:13], 1
	s_add_i32 s9, s4, 0xfffffac0
	v_addc_co_u32_e32 v37, vcc, v1, v37, vcc
	s_cmp_lt_i32 s9, s10
	v_add_co_u32_e32 v38, vcc, s12, v0
	s_cselect_b32 s12, s9, s11
	v_mov_b32_e32 v39, s13
	s_ashr_i32 s13, s12, 31
	s_lshl_b64 s[12:13], s[12:13], 1
	s_add_i32 s9, s4, 0xfffffb00
	v_addc_co_u32_e32 v39, vcc, v1, v39, vcc
	s_cmp_lt_i32 s9, s10
	;; [unrolled: 8-line block ×8, first 2 shown]
	global_load_ushort v60, v[36:37], off
	global_load_ushort v61, v[38:39], off
	;; [unrolled: 1-line block ×8, first 2 shown]
	v_add_co_u32_e32 v36, vcc, s12, v0
	s_cselect_b32 s12, s9, s11
	v_mov_b32_e32 v37, s13
	s_ashr_i32 s13, s12, 31
	s_lshl_b64 s[12:13], s[12:13], 1
	s_add_i32 s9, s4, 0xfffffcc0
	v_addc_co_u32_e32 v37, vcc, v1, v37, vcc
	s_cmp_lt_i32 s9, s10
	v_add_co_u32_e32 v38, vcc, s12, v0
	s_cselect_b32 s12, s9, s11
	v_mov_b32_e32 v39, s13
	s_ashr_i32 s13, s12, 31
	s_lshl_b64 s[12:13], s[12:13], 1
	s_add_i32 s9, s4, 0xfffffd00
	v_addc_co_u32_e32 v39, vcc, v1, v39, vcc
	s_cmp_lt_i32 s9, s10
	;; [unrolled: 8-line block ×8, first 2 shown]
	global_load_ushort v68, v[36:37], off
	global_load_ushort v69, v[38:39], off
	;; [unrolled: 1-line block ×8, first 2 shown]
	v_add_co_u32_e32 v36, vcc, s12, v0
	s_cselect_b32 s12, s9, s11
	v_mov_b32_e32 v37, s13
	s_ashr_i32 s13, s12, 31
	s_lshl_b64 s[12:13], s[12:13], 1
	s_add_i32 s9, s4, 0xfffffec0
	v_addc_co_u32_e32 v37, vcc, v1, v37, vcc
	s_cmp_lt_i32 s9, s10
	v_add_co_u32_e32 v38, vcc, s12, v0
	s_cselect_b32 s12, s9, s11
	v_mov_b32_e32 v39, s13
	s_ashr_i32 s13, s12, 31
	s_lshl_b64 s[12:13], s[12:13], 1
	s_add_i32 s9, s4, 0xffffff00
	v_addc_co_u32_e32 v39, vcc, v1, v39, vcc
	s_cmp_lt_i32 s9, s10
	;; [unrolled: 8-line block ×4, first 2 shown]
	v_add_co_u32_e32 v44, vcc, s12, v0
	s_cselect_b32 s12, s9, s11
	v_mov_b32_e32 v45, s13
	s_ashr_i32 s13, s12, 31
	s_lshl_b64 s[12:13], s[12:13], 1
	s_sub_i32 s9, s4, 64
	v_addc_co_u32_e32 v45, vcc, v1, v45, vcc
	s_cmp_lt_i32 s9, s10
	v_add_co_u32_e32 v46, vcc, s12, v0
	s_cselect_b32 s12, s9, s11
	v_mov_b32_e32 v47, s13
	s_ashr_i32 s13, s12, 31
	s_lshl_b64 s[12:13], s[12:13], 1
	v_addc_co_u32_e32 v47, vcc, v1, v47, vcc
	s_cmp_lt_i32 s4, s10
	v_add_co_u32_e32 v48, vcc, s12, v0
	s_cselect_b32 s12, s4, s11
	v_mov_b32_e32 v49, s13
	s_ashr_i32 s13, s12, 31
	v_addc_co_u32_e32 v49, vcc, v1, v49, vcc
	s_lshl_b64 s[12:13], s[12:13], 1
	v_mov_b32_e32 v51, s13
	v_add_co_u32_e32 v50, vcc, s12, v0
	v_addc_co_u32_e32 v51, vcc, v1, v51, vcc
	global_load_ushort v76, v[36:37], off
	global_load_ushort v77, v[38:39], off
	;; [unrolled: 1-line block ×8, first 2 shown]
	v_mov_b32_e32 v84, s5
	ds_read_b128 v[36:39], v84
	ds_read_b128 v[40:43], v84 offset:16
	ds_read_b128 v[44:47], v84 offset:32
	ds_read_b128 v[48:51], v84 offset:48
	s_waitcnt vmcnt(62) lgkmcnt(3)
	v_fma_mix_f32 v3, v36, v3, v4 op_sel_hi:[0,1,0]
	v_fma_mix_f32 v3, v37, v5, v3 op_sel_hi:[0,1,0]
	s_waitcnt vmcnt(61)
	v_fma_mix_f32 v3, v38, v6, v3 op_sel_hi:[0,1,0]
	s_waitcnt vmcnt(60)
	v_fma_mix_f32 v3, v39, v7, v3 op_sel_hi:[0,1,0]
	s_waitcnt vmcnt(59) lgkmcnt(2)
	v_fma_mix_f32 v3, v40, v8, v3 op_sel_hi:[0,1,0]
	s_waitcnt vmcnt(58)
	v_fma_mix_f32 v3, v41, v9, v3 op_sel_hi:[0,1,0]
	s_waitcnt vmcnt(57)
	;; [unrolled: 2-line block ×3, first 2 shown]
	v_fma_mix_f32 v3, v43, v11, v3 op_sel_hi:[0,1,0]
	s_waitcnt vmcnt(55) lgkmcnt(1)
	v_fma_mix_f32 v3, v44, v15, v3 op_sel_hi:[0,1,0]
	s_waitcnt vmcnt(54)
	v_fma_mix_f32 v3, v45, v16, v3 op_sel_hi:[0,1,0]
	s_waitcnt vmcnt(53)
	;; [unrolled: 2-line block ×3, first 2 shown]
	v_fma_mix_f32 v3, v47, v18, v3 op_sel_hi:[0,1,0]
	ds_read_b128 v[4:7], v84 offset:64
	ds_read_b128 v[8:11], v84 offset:80
	s_waitcnt vmcnt(51) lgkmcnt(2)
	v_fma_mix_f32 v3, v48, v19, v3 op_sel_hi:[0,1,0]
	s_waitcnt vmcnt(50)
	v_fma_mix_f32 v3, v49, v12, v3 op_sel_hi:[0,1,0]
	s_waitcnt vmcnt(49)
	;; [unrolled: 2-line block ×3, first 2 shown]
	v_fma_mix_f32 v3, v51, v14, v3 op_sel_hi:[0,1,0]
	s_waitcnt vmcnt(47) lgkmcnt(1)
	v_fma_mix_f32 v3, v4, v23, v3 op_sel_hi:[0,1,0]
	s_waitcnt vmcnt(46)
	v_fma_mix_f32 v3, v5, v24, v3 op_sel_hi:[0,1,0]
	s_waitcnt vmcnt(45)
	v_fma_mix_f32 v3, v6, v25, v3 op_sel_hi:[0,1,0]
	s_waitcnt vmcnt(44)
	v_fma_mix_f32 v3, v7, v26, v3 op_sel_hi:[0,1,0]
	ds_read_b128 v[4:7], v84 offset:96
	s_waitcnt vmcnt(43) lgkmcnt(1)
	v_fma_mix_f32 v3, v8, v27, v3 op_sel_hi:[0,1,0]
	s_waitcnt vmcnt(42)
	v_fma_mix_f32 v3, v9, v20, v3 op_sel_hi:[0,1,0]
	s_waitcnt vmcnt(41)
	v_fma_mix_f32 v3, v10, v21, v3 op_sel_hi:[0,1,0]
	s_waitcnt vmcnt(40)
	v_fma_mix_f32 v3, v11, v22, v3 op_sel_hi:[0,1,0]
	ds_read_b128 v[8:11], v84 offset:112
	;; [unrolled: 9-line block ×10, first 2 shown]
	s_waitcnt vmcnt(7) lgkmcnt(1)
	v_fma_mix_f32 v3, v4, v76, v3 op_sel_hi:[0,1,0]
	s_waitcnt vmcnt(6)
	v_fma_mix_f32 v3, v5, v77, v3 op_sel_hi:[0,1,0]
	s_waitcnt vmcnt(5)
	;; [unrolled: 2-line block ×3, first 2 shown]
	v_fma_mix_f32 v3, v7, v79, v3 op_sel_hi:[0,1,0]
	s_waitcnt vmcnt(3) lgkmcnt(0)
	v_fma_mix_f32 v3, v8, v80, v3 op_sel_hi:[0,1,0]
	s_waitcnt vmcnt(2)
	v_fma_mix_f32 v3, v9, v81, v3 op_sel_hi:[0,1,0]
	s_waitcnt vmcnt(1)
	;; [unrolled: 2-line block ×3, first 2 shown]
	v_fma_mix_f32 v4, v11, v83, v3 op_sel_hi:[0,1,0]
	s_branch .LBB30_16
.LBB30_19:
	v_mov_b32_e32 v0, 0
	ds_read_b32 v1, v0 offset:2816
	s_cmp_lg_u64 s[2:3], 0
	s_cbranch_scc0 .LBB30_24
; %bb.20:
	s_load_dword s4, s[2:3], 0x0
	s_waitcnt lgkmcnt(0)
	v_div_scale_f32 v0, s[2:3], s4, s4, 1.0
	v_rcp_f32_e32 v3, v0
	v_div_scale_f32 v5, vcc, 1.0, s4, 1.0
	v_fma_f32 v6, -v0, v3, 1.0
	v_fmac_f32_e32 v3, v6, v3
	v_mul_f32_e32 v6, v5, v3
	v_fma_f32 v7, -v0, v6, v5
	v_fmac_f32_e32 v6, v7, v3
	v_fma_f32 v0, -v0, v6, v5
	v_div_fmas_f32 v0, v0, v3, v6
	v_div_fixup_f32 v0, v0, s4, 1.0
	s_andn2_b64 vcc, exec, s[40:41]
	s_cbranch_vccnz .LBB30_22
.LBB30_21:
	s_add_u32 s2, s34, s42
	s_addc_u32 s3, s35, s43
	s_load_dword s26, s[2:3], 0x0
	s_mov_b32 s27, 0
.LBB30_22:
	s_waitcnt lgkmcnt(0)
	v_add_f32_e32 v1, 0x358637bd, v1
	v_div_scale_f32 v3, s[2:3], v1, v1, 1.0
	v_rcp_f32_e32 v5, v3
	v_div_scale_f32 v6, vcc, 1.0, v1, 1.0
	s_mul_i32 s2, s7, s27
	v_fma_f32 v7, -v3, v5, 1.0
	v_fmac_f32_e32 v5, v7, v5
	v_mul_f32_e32 v7, v6, v5
	v_fma_f32 v8, -v3, v7, v6
	s_mul_hi_u32 s3, s7, s26
	v_fmac_f32_e32 v7, v8, v5
	s_add_i32 s3, s3, s2
	s_mul_i32 s2, s7, s26
	v_fma_f32 v3, -v3, v7, v6
	s_lshl_b64 s[2:3], s[2:3], 7
	v_div_fmas_f32 v3, v3, v5, v7
	s_add_u32 s2, s0, s2
	s_mov_b32 s7, 0
	v_div_fixup_f32 v1, v3, v1, 1.0
	s_addc_u32 s3, s1, s3
	s_lshl_b64 s[0:1], s[6:7], 7
	v_mul_f32_e32 v1, v4, v1
	s_add_u32 s0, s2, s0
	s_addc_u32 s1, s3, s1
	v_fma_mixlo_f16 v0, v1, v0, 0
	global_store_short v2, v0, s[0:1]
	s_endpgm
.LBB30_23:
	s_mov_b64 s[2:3], 0
	s_branch .LBB30_2
.LBB30_24:
	v_mov_b32_e32 v0, 1.0
	s_andn2_b64 vcc, exec, s[40:41]
	s_cbranch_vccz .LBB30_21
	s_branch .LBB30_22
	.section	.rodata,"a",@progbits
	.p2align	6, 0x0
	.amdhsa_kernel _Z35paged_attention_ll4mi_reduce_kernelIDF16_DF16_Li64ELi64ELi256ELi11EEvPT0_PKfS3_PKT_PKiS8_iS3_
		.amdhsa_group_segment_fixed_size 2820
		.amdhsa_private_segment_fixed_size 0
		.amdhsa_kernarg_size 320
		.amdhsa_user_sgpr_count 6
		.amdhsa_user_sgpr_private_segment_buffer 1
		.amdhsa_user_sgpr_dispatch_ptr 0
		.amdhsa_user_sgpr_queue_ptr 0
		.amdhsa_user_sgpr_kernarg_segment_ptr 1
		.amdhsa_user_sgpr_dispatch_id 0
		.amdhsa_user_sgpr_flat_scratch_init 0
		.amdhsa_user_sgpr_kernarg_preload_length 0
		.amdhsa_user_sgpr_kernarg_preload_offset 0
		.amdhsa_user_sgpr_private_segment_size 0
		.amdhsa_uses_dynamic_stack 0
		.amdhsa_system_sgpr_private_segment_wavefront_offset 0
		.amdhsa_system_sgpr_workgroup_id_x 1
		.amdhsa_system_sgpr_workgroup_id_y 1
		.amdhsa_system_sgpr_workgroup_id_z 0
		.amdhsa_system_sgpr_workgroup_info 0
		.amdhsa_system_vgpr_workitem_id 0
		.amdhsa_next_free_vgpr 92
		.amdhsa_next_free_sgpr 51
		.amdhsa_accum_offset 92
		.amdhsa_reserve_vcc 1
		.amdhsa_reserve_flat_scratch 0
		.amdhsa_float_round_mode_32 0
		.amdhsa_float_round_mode_16_64 0
		.amdhsa_float_denorm_mode_32 3
		.amdhsa_float_denorm_mode_16_64 3
		.amdhsa_dx10_clamp 1
		.amdhsa_ieee_mode 1
		.amdhsa_fp16_overflow 0
		.amdhsa_tg_split 0
		.amdhsa_exception_fp_ieee_invalid_op 0
		.amdhsa_exception_fp_denorm_src 0
		.amdhsa_exception_fp_ieee_div_zero 0
		.amdhsa_exception_fp_ieee_overflow 0
		.amdhsa_exception_fp_ieee_underflow 0
		.amdhsa_exception_fp_ieee_inexact 0
		.amdhsa_exception_int_div_zero 0
	.end_amdhsa_kernel
	.section	.text._Z35paged_attention_ll4mi_reduce_kernelIDF16_DF16_Li64ELi64ELi256ELi11EEvPT0_PKfS3_PKT_PKiS8_iS3_,"axG",@progbits,_Z35paged_attention_ll4mi_reduce_kernelIDF16_DF16_Li64ELi64ELi256ELi11EEvPT0_PKfS3_PKT_PKiS8_iS3_,comdat
.Lfunc_end30:
	.size	_Z35paged_attention_ll4mi_reduce_kernelIDF16_DF16_Li64ELi64ELi256ELi11EEvPT0_PKfS3_PKT_PKiS8_iS3_, .Lfunc_end30-_Z35paged_attention_ll4mi_reduce_kernelIDF16_DF16_Li64ELi64ELi256ELi11EEvPT0_PKfS3_PKT_PKiS8_iS3_
                                        ; -- End function
	.section	.AMDGPU.csdata,"",@progbits
; Kernel info:
; codeLenInByte = 10924
; NumSgprs: 55
; NumVgprs: 92
; NumAgprs: 0
; TotalNumVgprs: 92
; ScratchSize: 0
; MemoryBound: 0
; FloatMode: 240
; IeeeMode: 1
; LDSByteSize: 2820 bytes/workgroup (compile time only)
; SGPRBlocks: 6
; VGPRBlocks: 11
; NumSGPRsForWavesPerEU: 55
; NumVGPRsForWavesPerEU: 92
; AccumOffset: 92
; Occupancy: 5
; WaveLimiterHint : 1
; COMPUTE_PGM_RSRC2:SCRATCH_EN: 0
; COMPUTE_PGM_RSRC2:USER_SGPR: 6
; COMPUTE_PGM_RSRC2:TRAP_HANDLER: 0
; COMPUTE_PGM_RSRC2:TGID_X_EN: 1
; COMPUTE_PGM_RSRC2:TGID_Y_EN: 1
; COMPUTE_PGM_RSRC2:TGID_Z_EN: 0
; COMPUTE_PGM_RSRC2:TIDIG_COMP_CNT: 0
; COMPUTE_PGM_RSRC3_GFX90A:ACCUM_OFFSET: 22
; COMPUTE_PGM_RSRC3_GFX90A:TG_SPLIT: 0
	.section	.text._Z35paged_attention_ll4mi_reduce_kernelIDF16_DF16_Li64ELi64ELi256ELi12EEvPT0_PKfS3_PKT_PKiS8_iS3_,"axG",@progbits,_Z35paged_attention_ll4mi_reduce_kernelIDF16_DF16_Li64ELi64ELi256ELi12EEvPT0_PKfS3_PKT_PKiS8_iS3_,comdat
	.protected	_Z35paged_attention_ll4mi_reduce_kernelIDF16_DF16_Li64ELi64ELi256ELi12EEvPT0_PKfS3_PKT_PKiS8_iS3_ ; -- Begin function _Z35paged_attention_ll4mi_reduce_kernelIDF16_DF16_Li64ELi64ELi256ELi12EEvPT0_PKfS3_PKT_PKiS8_iS3_
	.globl	_Z35paged_attention_ll4mi_reduce_kernelIDF16_DF16_Li64ELi64ELi256ELi12EEvPT0_PKfS3_PKT_PKiS8_iS3_
	.p2align	8
	.type	_Z35paged_attention_ll4mi_reduce_kernelIDF16_DF16_Li64ELi64ELi256ELi12EEvPT0_PKfS3_PKT_PKiS8_iS3_,@function
_Z35paged_attention_ll4mi_reduce_kernelIDF16_DF16_Li64ELi64ELi256ELi12EEvPT0_PKfS3_PKT_PKiS8_iS3_: ; @_Z35paged_attention_ll4mi_reduce_kernelIDF16_DF16_Li64ELi64ELi256ELi12EEvPT0_PKfS3_PKT_PKiS8_iS3_
; %bb.0:
	s_load_dwordx2 s[40:41], s[4:5], 0x28
	s_mov_b32 s34, s7
	s_mov_b64 s[0:1], 0
	s_waitcnt lgkmcnt(0)
	s_cmp_lg_u64 s[40:41], 0
	s_cselect_b64 s[42:43], -1, 0
	s_and_b64 vcc, exec, s[42:43]
	s_cbranch_vccz .LBB31_23
; %bb.1:
	s_add_i32 s2, s34, 1
	s_mov_b32 s3, 0
	s_lshl_b64 s[8:9], s[2:3], 2
	s_add_u32 s8, s40, s8
	s_mov_b32 s35, s3
	s_addc_u32 s9, s41, s9
	s_lshl_b64 s[2:3], s[34:35], 2
	s_add_u32 s2, s40, s2
	s_addc_u32 s3, s41, s3
	s_load_dword s7, s[8:9], 0x0
	s_load_dword s10, s[2:3], 0x0
	s_waitcnt lgkmcnt(0)
	s_sub_i32 s2, s7, s10
	s_cmp_eq_u32 s2, 1
	s_cselect_b64 s[2:3], -1, 0
	s_andn2_b64 vcc, exec, s[0:1]
	s_cbranch_vccnz .LBB31_3
.LBB31_2:
	s_mov_b32 s35, 0
	s_mov_b64 s[2:3], -1
.LBB31_3:
	s_andn2_b64 vcc, exec, s[2:3]
	s_cbranch_vccz .LBB31_5
; %bb.4:
	s_endpgm
.LBB31_5:
	s_load_dwordx4 s[28:31], s[4:5], 0x18
	s_load_dword s8, s[4:5], 0x30
	s_lshl_b64 s[44:45], s[34:35], 2
	v_cmp_lt_u32_e32 vcc, 63, v0
	s_waitcnt lgkmcnt(0)
	s_add_u32 s0, s30, s44
	s_addc_u32 s1, s31, s45
	s_load_dword s52, s[0:1], 0x0
	s_load_dword s7, s[4:5], 0x40
	s_mul_i32 s30, s6, s8
	s_mul_i32 s2, s34, s8
	s_waitcnt lgkmcnt(0)
	s_add_i32 s3, s52, 0xff
	s_ashr_i32 s0, s3, 31
	s_lshr_b32 s0, s0, 24
	s_add_i32 s3, s3, s0
	s_and_saveexec_b64 s[0:1], vcc
	s_xor_b64 s[0:1], exec, s[0:1]
	s_or_saveexec_b64 s[46:47], s[0:1]
	s_ashr_i32 s33, s3, 8
	v_mov_b32_e32 v1, s30
	s_mul_i32 s48, s2, s7
	s_xor_b64 exec, exec, s[46:47]
	s_cbranch_execz .LBB31_9
; %bb.6:
	s_add_i32 s0, s33, -1
	v_or_b32_e32 v3, 64, v0
	v_mov_b32_e32 v1, s0
	v_cmp_gt_u32_e64 s[22:23], s33, v3
	v_cndmask_b32_e64 v4, v1, v3, s[22:23]
	v_or_b32_e32 v3, 0x80, v0
	v_cmp_gt_u32_e64 s[20:21], s33, v3
	v_cndmask_b32_e64 v6, v1, v3, s[20:21]
	v_or_b32_e32 v3, 0xc0, v0
	;; [unrolled: 3-line block ×7, first 2 shown]
	s_load_dwordx4 s[36:39], s[4:5], 0x8
	v_cmp_gt_u32_e64 s[8:9], s33, v3
	v_cndmask_b32_e64 v18, v1, v3, s[8:9]
	v_or_b32_e32 v3, 0x240, v0
	v_cmp_gt_u32_e64 s[2:3], s33, v3
	s_mov_b32 s49, 0
	v_cndmask_b32_e64 v20, v1, v3, s[2:3]
	v_or_b32_e32 v3, 0x280, v0
	v_cmp_gt_u32_e64 s[0:1], s33, v3
	s_lshl_b64 s[50:51], s[48:49], 2
	s_mov_b32 s31, s49
	v_cmp_gt_u32_e64 s[24:25], s33, v0
	v_cndmask_b32_e64 v22, v1, v3, s[0:1]
	v_or_b32_e32 v3, 0x2c0, v0
	s_waitcnt lgkmcnt(0)
	s_add_u32 s26, s38, s50
	v_cndmask_b32_e64 v2, v1, v0, s[24:25]
	v_cmp_gt_u32_e32 vcc, s33, v3
	s_addc_u32 s27, s39, s51
	s_lshl_b64 s[38:39], s[30:31], 2
	v_cndmask_b32_e32 v24, v1, v3, vcc
	s_add_u32 s31, s26, s38
	v_ashrrev_i32_e32 v3, 31, v2
	s_addc_u32 s49, s27, s39
	v_lshlrev_b64 v[2:3], 2, v[2:3]
	v_mov_b32_e32 v1, s49
	v_add_co_u32_e64 v26, s[26:27], s31, v2
	v_ashrrev_i32_e32 v5, 31, v4
	v_addc_co_u32_e64 v27, s[26:27], v1, v3, s[26:27]
	v_lshlrev_b64 v[4:5], 2, v[4:5]
	v_add_co_u32_e64 v28, s[26:27], s31, v4
	v_ashrrev_i32_e32 v7, 31, v6
	v_addc_co_u32_e64 v29, s[26:27], v1, v5, s[26:27]
	v_lshlrev_b64 v[6:7], 2, v[6:7]
	;; [unrolled: 4-line block ×8, first 2 shown]
	global_load_dword v1, v[26:27], off
	global_load_dword v42, v[28:29], off
	;; [unrolled: 1-line block ×4, first 2 shown]
	s_nop 0
	global_load_dword v34, v[34:35], off
	s_nop 0
	global_load_dword v35, v[36:37], off
	;; [unrolled: 2-line block ×3, first 2 shown]
	global_load_dword v37, v[40:41], off
	v_mov_b32_e32 v21, s49
	v_add_co_u32_e64 v26, s[26:27], s31, v18
	v_addc_co_u32_e64 v27, s[26:27], v21, v19, s[26:27]
	v_ashrrev_i32_e32 v21, 31, v20
	v_lshlrev_b64 v[20:21], 2, v[20:21]
	v_mov_b32_e32 v23, s49
	v_add_co_u32_e64 v28, s[26:27], s31, v20
	v_addc_co_u32_e64 v29, s[26:27], v23, v21, s[26:27]
	v_ashrrev_i32_e32 v23, 31, v22
	v_lshlrev_b64 v[22:23], 2, v[22:23]
	;; [unrolled: 5-line block ×3, first 2 shown]
	v_mov_b32_e32 v33, s49
	v_add_co_u32_e64 v32, s[26:27], s31, v24
	v_addc_co_u32_e64 v33, s[26:27], v33, v25, s[26:27]
	global_load_dword v26, v[26:27], off
	s_nop 0
	global_load_dword v27, v[28:29], off
	s_nop 0
	global_load_dword v28, v[30:31], off
	global_load_dword v29, v[32:33], off
	s_waitcnt vmcnt(11)
	v_max_f32_e32 v31, v1, v1
	s_waitcnt vmcnt(10)
	v_max_f32_e32 v30, v42, v42
	v_max_f32_e32 v30, v31, v30
	v_mbcnt_lo_u32_b32 v31, -1, 0
	v_mbcnt_hi_u32_b32 v31, -1, v31
	s_waitcnt vmcnt(8)
	v_max3_f32 v30, v30, v43, v44
	v_and_b32_e32 v32, 64, v31
	s_waitcnt vmcnt(6)
	v_max3_f32 v30, v30, v34, v35
	v_add_u32_e32 v32, 64, v32
	v_xor_b32_e32 v33, 32, v31
	s_waitcnt vmcnt(4)
	v_max3_f32 v30, v30, v36, v37
	v_cmp_lt_i32_e64 s[26:27], v33, v32
	v_cndmask_b32_e64 v33, v31, v33, s[26:27]
	v_lshlrev_b32_e32 v33, 2, v33
	s_waitcnt vmcnt(2)
	v_max3_f32 v30, v30, v26, v27
	s_waitcnt vmcnt(0)
	v_max3_f32 v30, v30, v28, v29
	ds_bpermute_b32 v38, v33, v30
	s_waitcnt lgkmcnt(0)
	v_max_f32_e32 v38, v38, v38
	v_max_f32_e32 v30, v30, v38
	v_xor_b32_e32 v38, 16, v31
	v_cmp_lt_i32_e64 s[26:27], v38, v32
	v_cndmask_b32_e64 v38, v31, v38, s[26:27]
	v_lshlrev_b32_e32 v38, 2, v38
	ds_bpermute_b32 v39, v38, v30
	s_waitcnt lgkmcnt(0)
	v_max_f32_e32 v39, v39, v39
	v_max_f32_e32 v30, v30, v39
	v_xor_b32_e32 v39, 8, v31
	v_cmp_lt_i32_e64 s[26:27], v39, v32
	v_cndmask_b32_e64 v39, v31, v39, s[26:27]
	v_lshlrev_b32_e32 v39, 2, v39
	ds_bpermute_b32 v40, v39, v30
	s_waitcnt lgkmcnt(0)
	v_max_f32_e32 v40, v40, v40
	v_max_f32_e32 v30, v30, v40
	v_xor_b32_e32 v40, 4, v31
	v_cmp_lt_i32_e64 s[26:27], v40, v32
	v_cndmask_b32_e64 v40, v31, v40, s[26:27]
	v_lshlrev_b32_e32 v40, 2, v40
	ds_bpermute_b32 v41, v40, v30
	s_waitcnt lgkmcnt(0)
	v_max_f32_e32 v41, v41, v41
	v_max_f32_e32 v30, v30, v41
	v_xor_b32_e32 v41, 2, v31
	v_cmp_lt_i32_e64 s[26:27], v41, v32
	v_cndmask_b32_e64 v41, v31, v41, s[26:27]
	v_lshlrev_b32_e32 v41, 2, v41
	ds_bpermute_b32 v45, v41, v30
	s_waitcnt lgkmcnt(0)
	v_max_f32_e32 v45, v45, v45
	v_max_f32_e32 v30, v30, v45
	v_xor_b32_e32 v45, 1, v31
	v_cmp_lt_i32_e64 s[26:27], v45, v32
	v_cndmask_b32_e64 v31, v31, v45, s[26:27]
	s_add_u32 s26, s36, s50
	s_addc_u32 s27, s37, s51
	s_add_u32 s31, s26, s38
	s_addc_u32 s36, s27, s39
	v_mov_b32_e32 v45, s36
	v_add_co_u32_e64 v2, s[26:27], s31, v2
	v_addc_co_u32_e64 v3, s[26:27], v45, v3, s[26:27]
	v_add_co_u32_e64 v4, s[26:27], s31, v4
	v_addc_co_u32_e64 v5, s[26:27], v45, v5, s[26:27]
	global_load_dword v45, v[2:3], off
	global_load_dword v46, v[4:5], off
	v_mov_b32_e32 v3, s36
	v_add_co_u32_e64 v2, s[26:27], s31, v6
	v_addc_co_u32_e64 v3, s[26:27], v3, v7, s[26:27]
	v_mov_b32_e32 v5, s36
	v_add_co_u32_e64 v4, s[26:27], s31, v8
	v_addc_co_u32_e64 v5, s[26:27], v5, v9, s[26:27]
	;; [unrolled: 3-line block ×6, first 2 shown]
	global_load_dword v14, v[2:3], off
	global_load_dword v15, v[4:5], off
	global_load_dword v16, v[6:7], off
	global_load_dword v17, v[8:9], off
	global_load_dword v47, v[10:11], off
	global_load_dword v48, v[12:13], off
	v_lshlrev_b32_e32 v31, 2, v31
	ds_bpermute_b32 v32, v31, v30
	v_mov_b32_e32 v3, s36
	v_add_co_u32_e64 v2, s[26:27], s31, v18
	v_addc_co_u32_e64 v3, s[26:27], v3, v19, s[26:27]
	v_mov_b32_e32 v5, s36
	v_add_co_u32_e64 v4, s[26:27], s31, v20
	v_addc_co_u32_e64 v5, s[26:27], v5, v21, s[26:27]
	s_waitcnt lgkmcnt(0)
	v_max_f32_e32 v10, v32, v32
	v_mov_b32_e32 v7, s36
	v_add_co_u32_e64 v6, s[26:27], s31, v22
	v_max_f32_e32 v10, v30, v10
	v_addc_co_u32_e64 v7, s[26:27], v7, v23, s[26:27]
	v_sub_f32_e32 v1, v1, v10
	v_add_co_u32_e64 v8, s[26:27], s31, v24
	s_mov_b32 s31, 0x3fb8aa3b
	v_mul_f32_e32 v11, 0x3fb8aa3b, v1
	v_fma_f32 v12, v1, s31, -v11
	v_rndne_f32_e32 v13, v11
	v_mov_b32_e32 v9, s36
	v_fmac_f32_e32 v12, 0x32a5705f, v1
	v_sub_f32_e32 v11, v11, v13
	v_addc_co_u32_e64 v9, s[26:27], v9, v25, s[26:27]
	v_add_f32_e32 v11, v11, v12
	v_cvt_i32_f32_e32 v12, v13
	global_load_dword v2, v[2:3], off
	s_nop 0
	global_load_dword v3, v[4:5], off
	global_load_dword v13, v[6:7], off
	;; [unrolled: 1-line block ×3, first 2 shown]
	v_sub_f32_e32 v6, v42, v10
	v_mul_f32_e32 v7, 0x3fb8aa3b, v6
	v_fma_f32 v8, v6, s31, -v7
	v_rndne_f32_e32 v9, v7
	v_exp_f32_e32 v11, v11
	v_fmac_f32_e32 v8, 0x32a5705f, v6
	v_sub_f32_e32 v7, v7, v9
	v_add_f32_e32 v7, v7, v8
	v_exp_f32_e32 v7, v7
	v_cvt_i32_f32_e32 v8, v9
	s_mov_b32 s36, 0xc2ce8ed0
	v_ldexp_f32 v4, v11, v12
	v_cmp_ngt_f32_e64 s[26:27], s36, v1
	s_mov_b32 s37, 0x42b17218
	v_cndmask_b32_e64 v4, 0, v4, s[26:27]
	v_mov_b32_e32 v5, 0x7f800000
	v_cmp_nlt_f32_e64 s[26:27], s37, v1
	v_cndmask_b32_e64 v1, v5, v4, s[26:27]
	v_ldexp_f32 v4, v7, v8
	v_sub_f32_e32 v7, v43, v10
	v_mul_f32_e32 v8, 0x3fb8aa3b, v7
	v_fma_f32 v9, v7, s31, -v8
	v_rndne_f32_e32 v11, v8
	v_fmac_f32_e32 v9, 0x32a5705f, v7
	v_sub_f32_e32 v8, v8, v11
	v_add_f32_e32 v8, v8, v9
	v_exp_f32_e32 v8, v8
	v_cvt_i32_f32_e32 v9, v11
	v_cndmask_b32_e64 v1, 0, v1, s[24:25]
	v_cmp_ngt_f32_e64 s[24:25], s36, v6
	v_cndmask_b32_e64 v4, 0, v4, s[24:25]
	v_cmp_nlt_f32_e64 s[24:25], s37, v6
	v_ldexp_f32 v6, v8, v9
	v_sub_f32_e32 v8, v44, v10
	v_mul_f32_e32 v9, 0x3fb8aa3b, v8
	v_fma_f32 v11, v8, s31, -v9
	v_rndne_f32_e32 v12, v9
	v_fmac_f32_e32 v11, 0x32a5705f, v8
	v_sub_f32_e32 v9, v9, v12
	v_add_f32_e32 v9, v9, v11
	v_exp_f32_e32 v9, v9
	v_cvt_i32_f32_e32 v11, v12
	v_cndmask_b32_e64 v4, v5, v4, s[24:25]
	v_cndmask_b32_e64 v4, 0, v4, s[22:23]
	v_cmp_ngt_f32_e64 s[22:23], s36, v7
	v_cndmask_b32_e64 v6, 0, v6, s[22:23]
	v_cmp_nlt_f32_e64 s[22:23], s37, v7
	v_cndmask_b32_e64 v6, v5, v6, s[22:23]
	v_ldexp_f32 v7, v9, v11
	v_sub_f32_e32 v9, v34, v10
	v_cndmask_b32_e64 v6, 0, v6, s[20:21]
	v_mul_f32_e32 v11, 0x3fb8aa3b, v9
	s_waitcnt vmcnt(9)
	v_mul_f32_e32 v6, v14, v6
	v_fma_f32 v12, v9, s31, -v11
	v_rndne_f32_e32 v14, v11
	v_fmac_f32_e32 v12, 0x32a5705f, v9
	v_sub_f32_e32 v11, v11, v14
	v_add_f32_e32 v11, v11, v12
	v_exp_f32_e32 v11, v11
	v_cvt_i32_f32_e32 v12, v14
	v_cmp_ngt_f32_e64 s[20:21], s36, v8
	v_cndmask_b32_e64 v7, 0, v7, s[20:21]
	v_cmp_nlt_f32_e64 s[20:21], s37, v8
	v_cndmask_b32_e64 v7, v5, v7, s[20:21]
	v_ldexp_f32 v8, v11, v12
	v_sub_f32_e32 v11, v35, v10
	v_cndmask_b32_e64 v7, 0, v7, s[18:19]
	v_mul_f32_e32 v12, 0x3fb8aa3b, v11
	s_waitcnt vmcnt(8)
	v_mul_f32_e32 v7, v15, v7
	v_fma_f32 v14, v11, s31, -v12
	v_rndne_f32_e32 v15, v12
	v_fmac_f32_e32 v14, 0x32a5705f, v11
	v_sub_f32_e32 v12, v12, v15
	v_add_f32_e32 v12, v12, v14
	v_exp_f32_e32 v12, v12
	v_cvt_i32_f32_e32 v14, v15
	;; [unrolled: 17-line block ×4, first 2 shown]
	v_cmp_ngt_f32_e64 s[14:15], s36, v12
	v_cndmask_b32_e64 v11, 0, v11, s[14:15]
	v_cmp_nlt_f32_e64 s[14:15], s37, v12
	v_ldexp_f32 v12, v15, v16
	v_sub_f32_e32 v15, v26, v10
	v_mul_f32_e32 v16, 0x3fb8aa3b, v15
	v_fma_f32 v17, v15, s31, -v16
	v_rndne_f32_e32 v19, v16
	v_fmac_f32_e32 v17, 0x32a5705f, v15
	v_sub_f32_e32 v16, v16, v19
	v_add_f32_e32 v16, v16, v17
	v_exp_f32_e32 v16, v16
	v_cvt_i32_f32_e32 v17, v19
	v_cndmask_b32_e64 v11, v5, v11, s[14:15]
	v_cndmask_b32_e64 v11, 0, v11, s[12:13]
	v_cmp_ngt_f32_e64 s[12:13], s36, v14
	v_cndmask_b32_e64 v12, 0, v12, s[12:13]
	v_cmp_nlt_f32_e64 s[12:13], s37, v14
	v_ldexp_f32 v14, v16, v17
	v_sub_f32_e32 v16, v27, v10
	v_mul_f32_e32 v17, 0x3fb8aa3b, v16
	v_fma_f32 v19, v16, s31, -v17
	v_rndne_f32_e32 v20, v17
	v_fmac_f32_e32 v19, 0x32a5705f, v16
	v_sub_f32_e32 v17, v17, v20
	v_cndmask_b32_e64 v12, v5, v12, s[12:13]
	v_add_f32_e32 v17, v17, v19
	v_cndmask_b32_e64 v12, 0, v12, s[10:11]
	v_cmp_ngt_f32_e64 s[10:11], s36, v15
	v_exp_f32_e32 v17, v17
	v_cvt_i32_f32_e32 v19, v20
	v_cndmask_b32_e64 v14, 0, v14, s[10:11]
	v_cmp_nlt_f32_e64 s[10:11], s37, v15
	v_cndmask_b32_e64 v14, v5, v14, s[10:11]
	v_cndmask_b32_e64 v14, 0, v14, s[8:9]
	v_sub_f32_e32 v15, v28, v10
	s_waitcnt vmcnt(3)
	v_mul_f32_e32 v14, v2, v14
	v_ldexp_f32 v2, v17, v19
	v_mul_f32_e32 v17, 0x3fb8aa3b, v15
	v_fma_f32 v19, v15, s31, -v17
	v_rndne_f32_e32 v20, v17
	v_fmac_f32_e32 v19, 0x32a5705f, v15
	v_sub_f32_e32 v17, v17, v20
	v_add_f32_e32 v17, v17, v19
	v_cmp_ngt_f32_e64 s[8:9], s36, v16
	v_exp_f32_e32 v17, v17
	v_cvt_i32_f32_e32 v19, v20
	v_cndmask_b32_e64 v2, 0, v2, s[8:9]
	v_cmp_nlt_f32_e64 s[8:9], s37, v16
	v_cndmask_b32_e64 v2, v5, v2, s[8:9]
	v_sub_f32_e32 v10, v29, v10
	v_cndmask_b32_e64 v2, 0, v2, s[2:3]
	v_mul_f32_e32 v16, 0x3fb8aa3b, v10
	s_waitcnt vmcnt(2)
	v_mul_f32_e32 v3, v3, v2
	v_ldexp_f32 v2, v17, v19
	v_fma_f32 v17, v10, s31, -v16
	v_rndne_f32_e32 v19, v16
	v_fmac_f32_e32 v17, 0x32a5705f, v10
	v_sub_f32_e32 v16, v16, v19
	v_add_f32_e32 v16, v16, v17
	v_cmp_ngt_f32_e64 s[2:3], s36, v15
	v_exp_f32_e32 v16, v16
	v_cvt_i32_f32_e32 v17, v19
	v_cndmask_b32_e64 v2, 0, v2, s[2:3]
	v_cmp_nlt_f32_e64 s[2:3], s37, v15
	v_cndmask_b32_e64 v2, v5, v2, s[2:3]
	v_cndmask_b32_e64 v2, 0, v2, s[0:1]
	s_waitcnt vmcnt(1)
	v_mul_f32_e32 v13, v13, v2
	v_ldexp_f32 v2, v16, v17
	v_cmp_ngt_f32_e64 s[0:1], s36, v10
	v_mul_f32_e32 v1, v45, v1
	v_mul_f32_e32 v4, v46, v4
	v_cndmask_b32_e64 v2, 0, v2, s[0:1]
	v_cmp_nlt_f32_e64 s[0:1], s37, v10
	v_cndmask_b32_e64 v2, v5, v2, s[0:1]
	v_add_f32_e32 v5, v1, v4
	v_add_f32_e32 v5, v5, v6
	;; [unrolled: 1-line block ×4, first 2 shown]
	v_mul_f32_e32 v11, v47, v11
	v_add_f32_e32 v5, v5, v9
	v_mul_f32_e32 v12, v48, v12
	v_add_f32_e32 v5, v5, v11
	v_add_f32_e32 v5, v5, v12
	;; [unrolled: 1-line block ×4, first 2 shown]
	v_cndmask_b32_e32 v2, 0, v2, vcc
	v_add_f32_e32 v5, v5, v13
	s_waitcnt vmcnt(0)
	v_fmac_f32_e32 v5, v18, v2
	ds_bpermute_b32 v10, v33, v5
	v_mul_f32_e32 v15, v18, v2
	v_cmp_eq_u32_e32 vcc, 0, v0
	s_waitcnt lgkmcnt(0)
	v_add_f32_e32 v5, v5, v10
	ds_bpermute_b32 v10, v38, v5
	s_waitcnt lgkmcnt(0)
	v_add_f32_e32 v5, v5, v10
	ds_bpermute_b32 v10, v39, v5
	;; [unrolled: 3-line block ×4, first 2 shown]
	v_lshlrev_b32_e32 v10, 2, v0
	ds_write2st64_b32 v10, v1, v4 offset1:1
	ds_write2st64_b32 v10, v6, v7 offset0:2 offset1:3
	ds_write2st64_b32 v10, v8, v9 offset0:4 offset1:5
	;; [unrolled: 1-line block ×5, first 2 shown]
	s_waitcnt lgkmcnt(6)
	v_add_f32_e32 v1, v2, v5
	ds_bpermute_b32 v2, v31, v1
	s_and_saveexec_b64 s[0:1], vcc
	s_cbranch_execz .LBB31_8
; %bb.7:
	s_waitcnt lgkmcnt(0)
	v_add_f32_e32 v1, v1, v2
	v_mov_b32_e32 v2, 0
	ds_write_b32 v2, v1 offset:3072
.LBB31_8:
	s_or_b64 exec, exec, s[0:1]
	v_mov_b32_e32 v1, s30
.LBB31_9:
	s_or_b64 exec, exec, s[46:47]
	s_lshl_b32 s0, s48, 6
	s_mov_b32 s1, 0
	s_lshl_b64 s[0:1], s[0:1], 1
	s_add_u32 s0, s28, s0
	s_addc_u32 s1, s29, s1
	s_lshl_b32 s10, s33, 6
	s_waitcnt lgkmcnt(0)
	v_lshlrev_b32_e32 v2, 6, v1
	v_mov_b32_e32 v3, 0
	s_sub_i32 s11, s10, 64
	v_lshlrev_b64 v[4:5], 1, v[2:3]
	s_cmp_lt_i32 s52, 1
	v_mov_b32_e32 v1, s1
	v_add_co_u32_e32 v4, vcc, s0, v4
	s_cselect_b32 s0, s11, 0
	v_addc_co_u32_e32 v1, vcc, v1, v5, vcc
	v_lshlrev_b32_e32 v2, 1, v0
	s_ashr_i32 s1, s0, 31
	v_add_co_u32_e32 v0, vcc, v4, v2
	s_lshl_b64 s[0:1], s[0:1], 1
	v_addc_co_u32_e32 v1, vcc, 0, v1, vcc
	s_cmpk_lt_i32 s52, 0x101
	v_add_co_u32_e32 v12, vcc, s0, v0
	s_cselect_b32 s0, s11, 64
	v_mov_b32_e32 v4, s1
	s_ashr_i32 s1, s0, 31
	s_lshl_b64 s[0:1], s[0:1], 1
	v_addc_co_u32_e32 v13, vcc, v1, v4, vcc
	s_cmpk_lt_i32 s52, 0x201
	v_add_co_u32_e32 v14, vcc, s0, v0
	s_cselect_b32 s0, s11, 0x80
	v_mov_b32_e32 v4, s1
	s_ashr_i32 s1, s0, 31
	;; [unrolled: 7-line block ×8, first 2 shown]
	s_lshl_b64 s[0:1], s[0:1], 1
	v_addc_co_u32_e32 v27, vcc, v1, v4, vcc
	s_cmpk_lt_i32 s52, 0x901
	global_load_ushort v4, v[12:13], off
	global_load_ushort v5, v[14:15], off
	;; [unrolled: 1-line block ×8, first 2 shown]
	v_add_co_u32_e32 v20, vcc, s0, v0
	s_cselect_b32 s0, s11, 0x240
	v_mov_b32_e32 v12, s1
	s_ashr_i32 s1, s0, 31
	s_lshl_b64 s[0:1], s[0:1], 1
	v_addc_co_u32_e32 v21, vcc, v1, v12, vcc
	s_cmpk_lt_i32 s52, 0xa01
	v_add_co_u32_e32 v22, vcc, s0, v0
	s_cselect_b32 s0, s11, 0x280
	v_mov_b32_e32 v12, s1
	s_ashr_i32 s1, s0, 31
	s_lshl_b64 s[0:1], s[0:1], 1
	v_addc_co_u32_e32 v23, vcc, v1, v12, vcc
	s_cmpk_lt_i32 s52, 0xb01
	;; [unrolled: 7-line block ×6, first 2 shown]
	v_add_co_u32_e32 v32, vcc, s0, v0
	s_cselect_b32 s0, s11, 0x3c0
	v_mov_b32_e32 v12, s1
	s_ashr_i32 s1, s0, 31
	v_addc_co_u32_e32 v33, vcc, v1, v12, vcc
	s_lshl_b64 s[0:1], s[0:1], 1
	v_mov_b32_e32 v12, s1
	v_add_co_u32_e32 v34, vcc, s0, v0
	v_addc_co_u32_e32 v35, vcc, v1, v12, vcc
	global_load_ushort v12, v[20:21], off
	global_load_ushort v13, v[22:23], off
	;; [unrolled: 1-line block ×8, first 2 shown]
	s_cmpk_gt_i32 s52, 0x1000
	s_cselect_b64 s[8:9], -1, 0
	s_cmpk_lt_i32 s52, 0x1001
	v_mov_b32_e32 v36, 0
	v_mov_b32_e32 v37, 0
	;; [unrolled: 1-line block ×48, first 2 shown]
	s_waitcnt lgkmcnt(0)
	; wave barrier
	s_cbranch_scc1 .LBB31_12
; %bb.10:
	s_cmpk_lt_u32 s52, 0x1101
	s_cselect_b32 s0, s11, 0x440
	s_ashr_i32 s1, s0, 31
	s_lshl_b64 s[0:1], s[0:1], 1
	s_cmpk_lt_u32 s52, 0x1201
	v_add_co_u32_e32 v28, vcc, s0, v0
	s_cselect_b32 s0, s11, 0x480
	v_mov_b32_e32 v20, s1
	s_ashr_i32 s1, s0, 31
	s_lshl_b64 s[0:1], s[0:1], 1
	v_addc_co_u32_e32 v29, vcc, v1, v20, vcc
	s_cmpk_lt_u32 s52, 0x1301
	v_add_co_u32_e32 v30, vcc, s0, v0
	s_cselect_b32 s0, s11, 0x4c0
	v_mov_b32_e32 v20, s1
	s_ashr_i32 s1, s0, 31
	s_lshl_b64 s[0:1], s[0:1], 1
	v_addc_co_u32_e32 v31, vcc, v1, v20, vcc
	;; [unrolled: 7-line block ×7, first 2 shown]
	s_cmpk_lt_u32 s52, 0x1901
	global_load_ushort v27, v[0:1], off offset:2048
	global_load_ushort v26, v[28:29], off
	global_load_ushort v25, v[30:31], off
	;; [unrolled: 1-line block ×7, first 2 shown]
	v_add_co_u32_e32 v36, vcc, s0, v0
	s_cselect_b32 s0, s11, 0x640
	v_mov_b32_e32 v28, s1
	s_ashr_i32 s1, s0, 31
	s_lshl_b64 s[0:1], s[0:1], 1
	v_addc_co_u32_e32 v37, vcc, v1, v28, vcc
	s_cmpk_lt_u32 s52, 0x1a01
	v_add_co_u32_e32 v38, vcc, s0, v0
	s_cselect_b32 s0, s11, 0x680
	v_mov_b32_e32 v28, s1
	s_ashr_i32 s1, s0, 31
	s_lshl_b64 s[0:1], s[0:1], 1
	v_addc_co_u32_e32 v39, vcc, v1, v28, vcc
	s_cmpk_lt_u32 s52, 0x1b01
	;; [unrolled: 7-line block ×6, first 2 shown]
	v_add_co_u32_e32 v48, vcc, s0, v0
	s_cselect_b32 s0, s11, 0x7c0
	v_mov_b32_e32 v28, s1
	s_ashr_i32 s1, s0, 31
	v_addc_co_u32_e32 v49, vcc, v1, v28, vcc
	s_lshl_b64 s[0:1], s[0:1], 1
	v_mov_b32_e32 v28, s1
	v_add_co_u32_e32 v50, vcc, s0, v0
	v_addc_co_u32_e32 v51, vcc, v1, v28, vcc
	global_load_ushort v35, v[36:37], off
	global_load_ushort v34, v[38:39], off
	;; [unrolled: 1-line block ×8, first 2 shown]
	s_cmpk_lt_u32 s52, 0x2001
	v_mov_b32_e32 v67, 0
	v_mov_b32_e32 v66, 0
	;; [unrolled: 1-line block ×32, first 2 shown]
	s_cbranch_scc1 .LBB31_12
; %bb.11:
	s_cmpk_lt_u32 s52, 0x2101
	s_cselect_b32 s0, s11, 0x840
	s_ashr_i32 s1, s0, 31
	v_add_co_u32_e32 v36, vcc, 0x1000, v0
	s_lshl_b64 s[0:1], s[0:1], 1
	v_addc_co_u32_e32 v37, vcc, 0, v1, vcc
	s_cmpk_lt_u32 s52, 0x2201
	v_add_co_u32_e32 v38, vcc, s0, v0
	s_cselect_b32 s0, s11, 0x880
	v_mov_b32_e32 v39, s1
	s_ashr_i32 s1, s0, 31
	s_lshl_b64 s[0:1], s[0:1], 1
	v_addc_co_u32_e32 v39, vcc, v1, v39, vcc
	s_cmpk_lt_u32 s52, 0x2301
	v_add_co_u32_e32 v40, vcc, s0, v0
	s_cselect_b32 s0, s11, 0x8c0
	v_mov_b32_e32 v41, s1
	s_ashr_i32 s1, s0, 31
	s_lshl_b64 s[0:1], s[0:1], 1
	v_addc_co_u32_e32 v41, vcc, v1, v41, vcc
	s_cmpk_lt_u32 s52, 0x2401
	v_add_co_u32_e32 v42, vcc, s0, v0
	s_cselect_b32 s0, s11, 0x900
	v_mov_b32_e32 v43, s1
	s_ashr_i32 s1, s0, 31
	s_lshl_b64 s[0:1], s[0:1], 1
	v_addc_co_u32_e32 v43, vcc, v1, v43, vcc
	s_cmpk_lt_u32 s52, 0x2501
	v_add_co_u32_e32 v44, vcc, s0, v0
	s_cselect_b32 s0, s11, 0x940
	v_mov_b32_e32 v45, s1
	s_ashr_i32 s1, s0, 31
	s_lshl_b64 s[0:1], s[0:1], 1
	v_addc_co_u32_e32 v45, vcc, v1, v45, vcc
	s_cmpk_lt_u32 s52, 0x2601
	v_add_co_u32_e32 v46, vcc, s0, v0
	s_cselect_b32 s0, s11, 0x980
	v_mov_b32_e32 v47, s1
	s_ashr_i32 s1, s0, 31
	s_lshl_b64 s[0:1], s[0:1], 1
	v_addc_co_u32_e32 v47, vcc, v1, v47, vcc
	s_cmpk_lt_u32 s52, 0x2701
	v_add_co_u32_e32 v48, vcc, s0, v0
	s_cselect_b32 s0, s11, 0x9c0
	v_mov_b32_e32 v49, s1
	s_ashr_i32 s1, s0, 31
	s_lshl_b64 s[0:1], s[0:1], 1
	v_addc_co_u32_e32 v49, vcc, v1, v49, vcc
	s_cmpk_lt_u32 s52, 0x2801
	v_add_co_u32_e32 v50, vcc, s0, v0
	s_cselect_b32 s0, s11, 0xa00
	v_mov_b32_e32 v51, s1
	s_ashr_i32 s1, s0, 31
	s_lshl_b64 s[0:1], s[0:1], 1
	v_addc_co_u32_e32 v51, vcc, v1, v51, vcc
	s_cmpk_lt_u32 s52, 0x2901
	global_load_ushort v52, v[36:37], off
	global_load_ushort v53, v[38:39], off
	global_load_ushort v54, v[40:41], off
	global_load_ushort v55, v[42:43], off
	global_load_ushort v56, v[44:45], off
	global_load_ushort v57, v[46:47], off
	global_load_ushort v58, v[48:49], off
	global_load_ushort v59, v[50:51], off
	v_add_co_u32_e32 v36, vcc, s0, v0
	s_cselect_b32 s0, s11, 0xa40
	v_mov_b32_e32 v37, s1
	s_ashr_i32 s1, s0, 31
	s_lshl_b64 s[0:1], s[0:1], 1
	v_addc_co_u32_e32 v37, vcc, v1, v37, vcc
	s_cmpk_lt_u32 s52, 0x2a01
	v_add_co_u32_e32 v38, vcc, s0, v0
	s_cselect_b32 s0, s11, 0xa80
	v_mov_b32_e32 v39, s1
	s_ashr_i32 s1, s0, 31
	s_lshl_b64 s[0:1], s[0:1], 1
	v_addc_co_u32_e32 v39, vcc, v1, v39, vcc
	s_cmpk_lt_u32 s52, 0x2b01
	v_add_co_u32_e32 v40, vcc, s0, v0
	s_cselect_b32 s0, s11, 0xac0
	v_mov_b32_e32 v41, s1
	s_ashr_i32 s1, s0, 31
	s_lshl_b64 s[0:1], s[0:1], 1
	v_addc_co_u32_e32 v41, vcc, v1, v41, vcc
	s_cmpk_lt_u32 s52, 0x2c01
	v_add_co_u32_e32 v42, vcc, s0, v0
	s_cselect_b32 s0, s11, 0xb00
	v_mov_b32_e32 v43, s1
	s_ashr_i32 s1, s0, 31
	s_lshl_b64 s[0:1], s[0:1], 1
	v_addc_co_u32_e32 v43, vcc, v1, v43, vcc
	s_cmpk_lt_u32 s52, 0x2d01
	v_add_co_u32_e32 v44, vcc, s0, v0
	s_cselect_b32 s0, s11, 0xb40
	v_mov_b32_e32 v45, s1
	s_ashr_i32 s1, s0, 31
	s_lshl_b64 s[0:1], s[0:1], 1
	v_addc_co_u32_e32 v45, vcc, v1, v45, vcc
	s_cmpk_lt_u32 s52, 0x2e01
	v_add_co_u32_e32 v46, vcc, s0, v0
	s_cselect_b32 s0, s11, 0xb80
	v_mov_b32_e32 v47, s1
	s_ashr_i32 s1, s0, 31
	s_lshl_b64 s[0:1], s[0:1], 1
	v_addc_co_u32_e32 v47, vcc, v1, v47, vcc
	s_cmpk_lt_u32 s52, 0x2f01
	v_add_co_u32_e32 v48, vcc, s0, v0
	s_cselect_b32 s0, s11, 0xbc0
	v_mov_b32_e32 v49, s1
	s_ashr_i32 s1, s0, 31
	s_lshl_b64 s[0:1], s[0:1], 1
	v_addc_co_u32_e32 v49, vcc, v1, v49, vcc
	s_cmpk_lt_u32 s52, 0x3001
	v_add_co_u32_e32 v50, vcc, s0, v0
	s_cselect_b32 s0, s11, 0xc00
	v_mov_b32_e32 v51, s1
	s_ashr_i32 s1, s0, 31
	s_lshl_b64 s[0:1], s[0:1], 1
	v_addc_co_u32_e32 v51, vcc, v1, v51, vcc
	s_cmpk_lt_u32 s52, 0x3101
	global_load_ushort v68, v[36:37], off
	global_load_ushort v69, v[38:39], off
	global_load_ushort v70, v[40:41], off
	global_load_ushort v71, v[42:43], off
	global_load_ushort v72, v[44:45], off
	global_load_ushort v73, v[46:47], off
	global_load_ushort v74, v[48:49], off
	global_load_ushort v75, v[50:51], off
	v_add_co_u32_e32 v36, vcc, s0, v0
	s_cselect_b32 s0, s11, 0xc40
	v_mov_b32_e32 v37, s1
	s_ashr_i32 s1, s0, 31
	;; [unrolled: 64-line block ×3, first 2 shown]
	s_lshl_b64 s[0:1], s[0:1], 1
	v_addc_co_u32_e32 v37, vcc, v1, v37, vcc
	s_cmpk_lt_u32 s52, 0x3a01
	v_add_co_u32_e32 v38, vcc, s0, v0
	s_cselect_b32 s0, s11, 0xe80
	v_mov_b32_e32 v39, s1
	s_ashr_i32 s1, s0, 31
	s_lshl_b64 s[0:1], s[0:1], 1
	v_addc_co_u32_e32 v39, vcc, v1, v39, vcc
	s_cmpk_lt_u32 s52, 0x3b01
	v_add_co_u32_e32 v40, vcc, s0, v0
	s_cselect_b32 s0, s11, 0xec0
	v_mov_b32_e32 v41, s1
	s_ashr_i32 s1, s0, 31
	;; [unrolled: 7-line block ×6, first 2 shown]
	v_addc_co_u32_e32 v49, vcc, v1, v49, vcc
	s_lshl_b64 s[0:1], s[0:1], 1
	v_mov_b32_e32 v51, s1
	v_add_co_u32_e32 v50, vcc, s0, v0
	v_addc_co_u32_e32 v51, vcc, v1, v51, vcc
	global_load_ushort v84, v[36:37], off
	global_load_ushort v85, v[38:39], off
	global_load_ushort v86, v[40:41], off
	global_load_ushort v87, v[42:43], off
	global_load_ushort v88, v[44:45], off
	global_load_ushort v89, v[46:47], off
	global_load_ushort v90, v[48:49], off
	global_load_ushort v91, v[50:51], off
	s_waitcnt vmcnt(31)
	v_cvt_f32_f16_e32 v67, v52
	s_waitcnt vmcnt(30)
	v_cvt_f32_f16_e32 v66, v53
	;; [unrolled: 2-line block ×32, first 2 shown]
.LBB31_12:
	ds_read_b128 v[68:71], v3
	s_load_dwordx2 s[0:1], s[4:5], 0x0
	s_load_dwordx2 s[2:3], s[4:5], 0x38
	ds_read_b128 v[72:75], v3 offset:16
	ds_read_b128 v[76:79], v3 offset:32
	ds_read_b128 v[80:83], v3 offset:48
	s_and_b64 vcc, exec, s[8:9]
	s_waitcnt vmcnt(15) lgkmcnt(0)
	v_fma_mix_f32 v4, v68, v4, 0 op_sel_hi:[0,1,0]
	s_waitcnt vmcnt(14)
	v_fma_mix_f32 v4, v69, v5, v4 op_sel_hi:[0,1,0]
	s_waitcnt vmcnt(13)
	;; [unrolled: 2-line block ×15, first 2 shown]
	v_fma_mix_f32 v4, v83, v19, v4 op_sel_hi:[0,1,0]
	s_cbranch_vccz .LBB31_15
; %bb.13:
	ds_read_b128 v[6:9], v3 offset:64
	ds_read_b128 v[10:13], v3 offset:80
	;; [unrolled: 1-line block ×4, first 2 shown]
	s_cmpk_lt_u32 s52, 0x2001
	s_waitcnt lgkmcnt(3)
	v_fma_mix_f32 v3, v6, v27, v4 op_sel_hi:[0,1,0]
	v_fma_mix_f32 v3, v7, v26, v3 op_sel_hi:[0,1,0]
	v_fma_mix_f32 v3, v8, v25, v3 op_sel_hi:[0,1,0]
	v_fma_mix_f32 v3, v9, v24, v3 op_sel_hi:[0,1,0]
	s_waitcnt lgkmcnt(2)
	v_fma_mix_f32 v3, v10, v23, v3 op_sel_hi:[0,1,0]
	v_fma_mix_f32 v3, v11, v22, v3 op_sel_hi:[0,1,0]
	v_fma_mix_f32 v3, v12, v20, v3 op_sel_hi:[0,1,0]
	v_fma_mix_f32 v3, v13, v21, v3 op_sel_hi:[0,1,0]
	s_waitcnt lgkmcnt(1)
	v_fma_mix_f32 v3, v14, v35, v3 op_sel_hi:[0,1,0]
	v_fma_mix_f32 v3, v15, v34, v3 op_sel_hi:[0,1,0]
	v_fma_mix_f32 v3, v16, v33, v3 op_sel_hi:[0,1,0]
	v_fma_mix_f32 v3, v17, v32, v3 op_sel_hi:[0,1,0]
	s_waitcnt lgkmcnt(0)
	v_fma_mix_f32 v3, v68, v31, v3 op_sel_hi:[0,1,0]
	v_fma_mix_f32 v3, v69, v30, v3 op_sel_hi:[0,1,0]
	v_fma_mix_f32 v3, v70, v29, v3 op_sel_hi:[0,1,0]
	v_fma_mix_f32 v4, v71, v28, v3 op_sel_hi:[0,1,0]
	s_cbranch_scc1 .LBB31_15
; %bb.14:
	v_mov_b32_e32 v3, 0
	ds_read_b128 v[6:9], v3 offset:128
	ds_read_b128 v[10:13], v3 offset:144
	;; [unrolled: 1-line block ×4, first 2 shown]
	s_waitcnt lgkmcnt(3)
	v_fmac_f32_e32 v4, v6, v67
	v_fmac_f32_e32 v4, v7, v66
	v_fmac_f32_e32 v4, v8, v65
	v_fmac_f32_e32 v4, v9, v64
	s_waitcnt lgkmcnt(2)
	v_fmac_f32_e32 v4, v10, v63
	v_fmac_f32_e32 v4, v11, v62
	v_fmac_f32_e32 v4, v12, v61
	v_fmac_f32_e32 v4, v13, v60
	;; [unrolled: 5-line block ×3, first 2 shown]
	ds_read_b128 v[6:9], v3 offset:192
	ds_read_b128 v[10:13], v3 offset:208
	s_waitcnt lgkmcnt(2)
	v_fmac_f32_e32 v4, v18, v55
	v_fmac_f32_e32 v4, v19, v54
	;; [unrolled: 1-line block ×4, first 2 shown]
	s_waitcnt lgkmcnt(1)
	v_fmac_f32_e32 v4, v6, v51
	v_fmac_f32_e32 v4, v7, v50
	;; [unrolled: 1-line block ×4, first 2 shown]
	ds_read_b128 v[6:9], v3 offset:224
	s_waitcnt lgkmcnt(1)
	v_fmac_f32_e32 v4, v10, v47
	v_fmac_f32_e32 v4, v11, v46
	;; [unrolled: 1-line block ×4, first 2 shown]
	ds_read_b128 v[10:13], v3 offset:240
	s_waitcnt lgkmcnt(1)
	v_fmac_f32_e32 v4, v6, v43
	v_fmac_f32_e32 v4, v7, v42
	;; [unrolled: 1-line block ×4, first 2 shown]
	s_waitcnt lgkmcnt(0)
	v_fmac_f32_e32 v4, v10, v39
	v_fmac_f32_e32 v4, v11, v38
	;; [unrolled: 1-line block ×4, first 2 shown]
.LBB31_15:
	s_movk_i32 s4, 0x1fc0
	s_movk_i32 s5, 0x100
	s_mov_b32 s8, 64
	s_branch .LBB31_17
.LBB31_16:                              ;   in Loop: Header=BB31_17 Depth=1
	s_addk_i32 s4, 0x1000
	s_addk_i32 s5, 0x100
	s_add_i32 s8, s8, 64
	s_cmpk_eq_u32 s4, 0xcfc0
	s_cbranch_scc1 .LBB31_19
.LBB31_17:                              ; =>This Inner Loop Header: Depth=1
	s_cmp_le_i32 s33, s8
	s_cbranch_scc1 .LBB31_16
; %bb.18:                               ;   in Loop: Header=BB31_17 Depth=1
	s_add_i32 s9, s4, 0xfffff040
	s_cmp_lt_i32 s9, s10
	s_cselect_b32 s12, s9, s11
	s_ashr_i32 s13, s12, 31
	s_lshl_b64 s[12:13], s[12:13], 1
	s_add_i32 s9, s4, 0xfffff080
	s_cmp_lt_i32 s9, s10
	v_add_co_u32_e32 v12, vcc, s12, v0
	s_cselect_b32 s12, s9, s11
	v_mov_b32_e32 v3, s13
	s_ashr_i32 s13, s12, 31
	s_lshl_b64 s[12:13], s[12:13], 1
	s_add_i32 s9, s4, 0xfffff0c0
	v_addc_co_u32_e32 v13, vcc, v1, v3, vcc
	s_cmp_lt_i32 s9, s10
	v_add_co_u32_e32 v14, vcc, s12, v0
	s_cselect_b32 s12, s9, s11
	v_mov_b32_e32 v3, s13
	s_ashr_i32 s13, s12, 31
	s_lshl_b64 s[12:13], s[12:13], 1
	s_add_i32 s9, s4, 0xfffff100
	v_addc_co_u32_e32 v15, vcc, v1, v3, vcc
	;; [unrolled: 8-line block ×8, first 2 shown]
	s_cmp_lt_i32 s9, s10
	global_load_ushort v3, v[12:13], off
	global_load_ushort v5, v[14:15], off
	;; [unrolled: 1-line block ×8, first 2 shown]
	v_add_co_u32_e32 v20, vcc, s12, v0
	s_cselect_b32 s12, s9, s11
	v_mov_b32_e32 v12, s13
	s_ashr_i32 s13, s12, 31
	s_lshl_b64 s[12:13], s[12:13], 1
	s_add_i32 s9, s4, 0xfffff2c0
	v_addc_co_u32_e32 v21, vcc, v1, v12, vcc
	s_cmp_lt_i32 s9, s10
	v_add_co_u32_e32 v22, vcc, s12, v0
	s_cselect_b32 s12, s9, s11
	v_mov_b32_e32 v12, s13
	s_ashr_i32 s13, s12, 31
	s_lshl_b64 s[12:13], s[12:13], 1
	s_add_i32 s9, s4, 0xfffff300
	v_addc_co_u32_e32 v23, vcc, v1, v12, vcc
	s_cmp_lt_i32 s9, s10
	;; [unrolled: 8-line block ×8, first 2 shown]
	global_load_ushort v15, v[20:21], off
	global_load_ushort v16, v[22:23], off
	;; [unrolled: 1-line block ×8, first 2 shown]
	v_add_co_u32_e32 v28, vcc, s12, v0
	s_cselect_b32 s12, s9, s11
	v_mov_b32_e32 v20, s13
	s_ashr_i32 s13, s12, 31
	s_lshl_b64 s[12:13], s[12:13], 1
	s_add_i32 s9, s4, 0xfffff4c0
	v_addc_co_u32_e32 v29, vcc, v1, v20, vcc
	s_cmp_lt_i32 s9, s10
	v_add_co_u32_e32 v30, vcc, s12, v0
	s_cselect_b32 s12, s9, s11
	v_mov_b32_e32 v20, s13
	s_ashr_i32 s13, s12, 31
	s_lshl_b64 s[12:13], s[12:13], 1
	s_add_i32 s9, s4, 0xfffff500
	v_addc_co_u32_e32 v31, vcc, v1, v20, vcc
	s_cmp_lt_i32 s9, s10
	;; [unrolled: 8-line block ×8, first 2 shown]
	global_load_ushort v23, v[28:29], off
	global_load_ushort v24, v[30:31], off
	;; [unrolled: 1-line block ×8, first 2 shown]
	v_add_co_u32_e32 v36, vcc, s12, v0
	s_cselect_b32 s12, s9, s11
	v_mov_b32_e32 v28, s13
	s_ashr_i32 s13, s12, 31
	s_lshl_b64 s[12:13], s[12:13], 1
	s_add_i32 s9, s4, 0xfffff6c0
	v_addc_co_u32_e32 v37, vcc, v1, v28, vcc
	s_cmp_lt_i32 s9, s10
	v_add_co_u32_e32 v38, vcc, s12, v0
	s_cselect_b32 s12, s9, s11
	v_mov_b32_e32 v28, s13
	s_ashr_i32 s13, s12, 31
	s_lshl_b64 s[12:13], s[12:13], 1
	s_add_i32 s9, s4, 0xfffff700
	v_addc_co_u32_e32 v39, vcc, v1, v28, vcc
	s_cmp_lt_i32 s9, s10
	;; [unrolled: 8-line block ×8, first 2 shown]
	global_load_ushort v31, v[36:37], off
	global_load_ushort v32, v[38:39], off
	;; [unrolled: 1-line block ×8, first 2 shown]
	v_add_co_u32_e32 v36, vcc, s12, v0
	s_cselect_b32 s12, s9, s11
	v_mov_b32_e32 v37, s13
	s_ashr_i32 s13, s12, 31
	s_lshl_b64 s[12:13], s[12:13], 1
	s_add_i32 s9, s4, 0xfffff8c0
	v_addc_co_u32_e32 v37, vcc, v1, v37, vcc
	s_cmp_lt_i32 s9, s10
	v_add_co_u32_e32 v38, vcc, s12, v0
	s_cselect_b32 s12, s9, s11
	v_mov_b32_e32 v39, s13
	s_ashr_i32 s13, s12, 31
	s_lshl_b64 s[12:13], s[12:13], 1
	s_add_i32 s9, s4, 0xfffff900
	v_addc_co_u32_e32 v39, vcc, v1, v39, vcc
	s_cmp_lt_i32 s9, s10
	;; [unrolled: 8-line block ×8, first 2 shown]
	global_load_ushort v52, v[36:37], off
	global_load_ushort v53, v[38:39], off
	global_load_ushort v54, v[40:41], off
	global_load_ushort v55, v[42:43], off
	global_load_ushort v56, v[44:45], off
	global_load_ushort v57, v[46:47], off
	global_load_ushort v58, v[48:49], off
	global_load_ushort v59, v[50:51], off
	v_add_co_u32_e32 v36, vcc, s12, v0
	s_cselect_b32 s12, s9, s11
	v_mov_b32_e32 v37, s13
	s_ashr_i32 s13, s12, 31
	s_lshl_b64 s[12:13], s[12:13], 1
	s_add_i32 s9, s4, 0xfffffac0
	v_addc_co_u32_e32 v37, vcc, v1, v37, vcc
	s_cmp_lt_i32 s9, s10
	v_add_co_u32_e32 v38, vcc, s12, v0
	s_cselect_b32 s12, s9, s11
	v_mov_b32_e32 v39, s13
	s_ashr_i32 s13, s12, 31
	s_lshl_b64 s[12:13], s[12:13], 1
	s_add_i32 s9, s4, 0xfffffb00
	v_addc_co_u32_e32 v39, vcc, v1, v39, vcc
	s_cmp_lt_i32 s9, s10
	;; [unrolled: 8-line block ×8, first 2 shown]
	global_load_ushort v60, v[36:37], off
	global_load_ushort v61, v[38:39], off
	;; [unrolled: 1-line block ×8, first 2 shown]
	v_add_co_u32_e32 v36, vcc, s12, v0
	s_cselect_b32 s12, s9, s11
	v_mov_b32_e32 v37, s13
	s_ashr_i32 s13, s12, 31
	s_lshl_b64 s[12:13], s[12:13], 1
	s_add_i32 s9, s4, 0xfffffcc0
	v_addc_co_u32_e32 v37, vcc, v1, v37, vcc
	s_cmp_lt_i32 s9, s10
	v_add_co_u32_e32 v38, vcc, s12, v0
	s_cselect_b32 s12, s9, s11
	v_mov_b32_e32 v39, s13
	s_ashr_i32 s13, s12, 31
	s_lshl_b64 s[12:13], s[12:13], 1
	s_add_i32 s9, s4, 0xfffffd00
	v_addc_co_u32_e32 v39, vcc, v1, v39, vcc
	s_cmp_lt_i32 s9, s10
	;; [unrolled: 8-line block ×8, first 2 shown]
	global_load_ushort v68, v[36:37], off
	global_load_ushort v69, v[38:39], off
	;; [unrolled: 1-line block ×8, first 2 shown]
	v_add_co_u32_e32 v36, vcc, s12, v0
	s_cselect_b32 s12, s9, s11
	v_mov_b32_e32 v37, s13
	s_ashr_i32 s13, s12, 31
	s_lshl_b64 s[12:13], s[12:13], 1
	s_add_i32 s9, s4, 0xfffffec0
	v_addc_co_u32_e32 v37, vcc, v1, v37, vcc
	s_cmp_lt_i32 s9, s10
	v_add_co_u32_e32 v38, vcc, s12, v0
	s_cselect_b32 s12, s9, s11
	v_mov_b32_e32 v39, s13
	s_ashr_i32 s13, s12, 31
	s_lshl_b64 s[12:13], s[12:13], 1
	s_add_i32 s9, s4, 0xffffff00
	v_addc_co_u32_e32 v39, vcc, v1, v39, vcc
	s_cmp_lt_i32 s9, s10
	;; [unrolled: 8-line block ×4, first 2 shown]
	v_add_co_u32_e32 v44, vcc, s12, v0
	s_cselect_b32 s12, s9, s11
	v_mov_b32_e32 v45, s13
	s_ashr_i32 s13, s12, 31
	s_lshl_b64 s[12:13], s[12:13], 1
	s_sub_i32 s9, s4, 64
	v_addc_co_u32_e32 v45, vcc, v1, v45, vcc
	s_cmp_lt_i32 s9, s10
	v_add_co_u32_e32 v46, vcc, s12, v0
	s_cselect_b32 s12, s9, s11
	v_mov_b32_e32 v47, s13
	s_ashr_i32 s13, s12, 31
	s_lshl_b64 s[12:13], s[12:13], 1
	v_addc_co_u32_e32 v47, vcc, v1, v47, vcc
	s_cmp_lt_i32 s4, s10
	v_add_co_u32_e32 v48, vcc, s12, v0
	s_cselect_b32 s12, s4, s11
	v_mov_b32_e32 v49, s13
	s_ashr_i32 s13, s12, 31
	v_addc_co_u32_e32 v49, vcc, v1, v49, vcc
	s_lshl_b64 s[12:13], s[12:13], 1
	v_mov_b32_e32 v51, s13
	v_add_co_u32_e32 v50, vcc, s12, v0
	v_addc_co_u32_e32 v51, vcc, v1, v51, vcc
	global_load_ushort v76, v[36:37], off
	global_load_ushort v77, v[38:39], off
	global_load_ushort v78, v[40:41], off
	global_load_ushort v79, v[42:43], off
	global_load_ushort v80, v[44:45], off
	global_load_ushort v81, v[46:47], off
	global_load_ushort v82, v[48:49], off
	global_load_ushort v83, v[50:51], off
	v_mov_b32_e32 v84, s5
	ds_read_b128 v[36:39], v84
	ds_read_b128 v[40:43], v84 offset:16
	ds_read_b128 v[44:47], v84 offset:32
	;; [unrolled: 1-line block ×3, first 2 shown]
	s_waitcnt vmcnt(62) lgkmcnt(3)
	v_fma_mix_f32 v3, v36, v3, v4 op_sel_hi:[0,1,0]
	v_fma_mix_f32 v3, v37, v5, v3 op_sel_hi:[0,1,0]
	s_waitcnt vmcnt(61)
	v_fma_mix_f32 v3, v38, v6, v3 op_sel_hi:[0,1,0]
	s_waitcnt vmcnt(60)
	v_fma_mix_f32 v3, v39, v7, v3 op_sel_hi:[0,1,0]
	s_waitcnt vmcnt(59) lgkmcnt(2)
	v_fma_mix_f32 v3, v40, v8, v3 op_sel_hi:[0,1,0]
	s_waitcnt vmcnt(58)
	v_fma_mix_f32 v3, v41, v9, v3 op_sel_hi:[0,1,0]
	s_waitcnt vmcnt(57)
	;; [unrolled: 2-line block ×3, first 2 shown]
	v_fma_mix_f32 v3, v43, v11, v3 op_sel_hi:[0,1,0]
	s_waitcnt vmcnt(55) lgkmcnt(1)
	v_fma_mix_f32 v3, v44, v15, v3 op_sel_hi:[0,1,0]
	s_waitcnt vmcnt(54)
	v_fma_mix_f32 v3, v45, v16, v3 op_sel_hi:[0,1,0]
	s_waitcnt vmcnt(53)
	;; [unrolled: 2-line block ×3, first 2 shown]
	v_fma_mix_f32 v3, v47, v18, v3 op_sel_hi:[0,1,0]
	ds_read_b128 v[4:7], v84 offset:64
	ds_read_b128 v[8:11], v84 offset:80
	s_waitcnt vmcnt(51) lgkmcnt(2)
	v_fma_mix_f32 v3, v48, v19, v3 op_sel_hi:[0,1,0]
	s_waitcnt vmcnt(50)
	v_fma_mix_f32 v3, v49, v12, v3 op_sel_hi:[0,1,0]
	s_waitcnt vmcnt(49)
	;; [unrolled: 2-line block ×3, first 2 shown]
	v_fma_mix_f32 v3, v51, v14, v3 op_sel_hi:[0,1,0]
	s_waitcnt vmcnt(47) lgkmcnt(1)
	v_fma_mix_f32 v3, v4, v23, v3 op_sel_hi:[0,1,0]
	s_waitcnt vmcnt(46)
	v_fma_mix_f32 v3, v5, v24, v3 op_sel_hi:[0,1,0]
	s_waitcnt vmcnt(45)
	v_fma_mix_f32 v3, v6, v25, v3 op_sel_hi:[0,1,0]
	s_waitcnt vmcnt(44)
	v_fma_mix_f32 v3, v7, v26, v3 op_sel_hi:[0,1,0]
	ds_read_b128 v[4:7], v84 offset:96
	s_waitcnt vmcnt(43) lgkmcnt(1)
	v_fma_mix_f32 v3, v8, v27, v3 op_sel_hi:[0,1,0]
	s_waitcnt vmcnt(42)
	v_fma_mix_f32 v3, v9, v20, v3 op_sel_hi:[0,1,0]
	s_waitcnt vmcnt(41)
	v_fma_mix_f32 v3, v10, v21, v3 op_sel_hi:[0,1,0]
	s_waitcnt vmcnt(40)
	v_fma_mix_f32 v3, v11, v22, v3 op_sel_hi:[0,1,0]
	ds_read_b128 v[8:11], v84 offset:112
	;; [unrolled: 9-line block ×10, first 2 shown]
	s_waitcnt vmcnt(7) lgkmcnt(1)
	v_fma_mix_f32 v3, v4, v76, v3 op_sel_hi:[0,1,0]
	s_waitcnt vmcnt(6)
	v_fma_mix_f32 v3, v5, v77, v3 op_sel_hi:[0,1,0]
	s_waitcnt vmcnt(5)
	;; [unrolled: 2-line block ×3, first 2 shown]
	v_fma_mix_f32 v3, v7, v79, v3 op_sel_hi:[0,1,0]
	s_waitcnt vmcnt(3) lgkmcnt(0)
	v_fma_mix_f32 v3, v8, v80, v3 op_sel_hi:[0,1,0]
	s_waitcnt vmcnt(2)
	v_fma_mix_f32 v3, v9, v81, v3 op_sel_hi:[0,1,0]
	s_waitcnt vmcnt(1)
	;; [unrolled: 2-line block ×3, first 2 shown]
	v_fma_mix_f32 v4, v11, v83, v3 op_sel_hi:[0,1,0]
	s_branch .LBB31_16
.LBB31_19:
	v_mov_b32_e32 v0, 0
	ds_read_b32 v1, v0 offset:3072
	s_cmp_lg_u64 s[2:3], 0
	s_cbranch_scc0 .LBB31_24
; %bb.20:
	s_load_dword s4, s[2:3], 0x0
	s_waitcnt lgkmcnt(0)
	v_div_scale_f32 v0, s[2:3], s4, s4, 1.0
	v_rcp_f32_e32 v3, v0
	v_div_scale_f32 v5, vcc, 1.0, s4, 1.0
	v_fma_f32 v6, -v0, v3, 1.0
	v_fmac_f32_e32 v3, v6, v3
	v_mul_f32_e32 v6, v5, v3
	v_fma_f32 v7, -v0, v6, v5
	v_fmac_f32_e32 v6, v7, v3
	v_fma_f32 v0, -v0, v6, v5
	v_div_fmas_f32 v0, v0, v3, v6
	v_div_fixup_f32 v0, v0, s4, 1.0
	s_andn2_b64 vcc, exec, s[42:43]
	s_cbranch_vccnz .LBB31_22
.LBB31_21:
	s_add_u32 s2, s40, s44
	s_addc_u32 s3, s41, s45
	s_load_dword s34, s[2:3], 0x0
	s_mov_b32 s35, 0
.LBB31_22:
	s_waitcnt lgkmcnt(0)
	v_add_f32_e32 v1, 0x358637bd, v1
	v_div_scale_f32 v3, s[2:3], v1, v1, 1.0
	v_rcp_f32_e32 v5, v3
	v_div_scale_f32 v6, vcc, 1.0, v1, 1.0
	s_mul_i32 s2, s7, s35
	v_fma_f32 v7, -v3, v5, 1.0
	v_fmac_f32_e32 v5, v7, v5
	v_mul_f32_e32 v7, v6, v5
	v_fma_f32 v8, -v3, v7, v6
	s_mul_hi_u32 s3, s7, s34
	v_fmac_f32_e32 v7, v8, v5
	s_add_i32 s3, s3, s2
	s_mul_i32 s2, s7, s34
	v_fma_f32 v3, -v3, v7, v6
	s_lshl_b64 s[2:3], s[2:3], 7
	v_div_fmas_f32 v3, v3, v5, v7
	s_add_u32 s2, s0, s2
	s_mov_b32 s7, 0
	v_div_fixup_f32 v1, v3, v1, 1.0
	s_addc_u32 s3, s1, s3
	s_lshl_b64 s[0:1], s[6:7], 7
	v_mul_f32_e32 v1, v4, v1
	s_add_u32 s0, s2, s0
	s_addc_u32 s1, s3, s1
	v_fma_mixlo_f16 v0, v1, v0, 0
	global_store_short v2, v0, s[0:1]
	s_endpgm
.LBB31_23:
	s_mov_b64 s[2:3], 0
	s_branch .LBB31_2
.LBB31_24:
	v_mov_b32_e32 v0, 1.0
	s_andn2_b64 vcc, exec, s[42:43]
	s_cbranch_vccz .LBB31_21
	s_branch .LBB31_22
	.section	.rodata,"a",@progbits
	.p2align	6, 0x0
	.amdhsa_kernel _Z35paged_attention_ll4mi_reduce_kernelIDF16_DF16_Li64ELi64ELi256ELi12EEvPT0_PKfS3_PKT_PKiS8_iS3_
		.amdhsa_group_segment_fixed_size 3076
		.amdhsa_private_segment_fixed_size 0
		.amdhsa_kernarg_size 320
		.amdhsa_user_sgpr_count 6
		.amdhsa_user_sgpr_private_segment_buffer 1
		.amdhsa_user_sgpr_dispatch_ptr 0
		.amdhsa_user_sgpr_queue_ptr 0
		.amdhsa_user_sgpr_kernarg_segment_ptr 1
		.amdhsa_user_sgpr_dispatch_id 0
		.amdhsa_user_sgpr_flat_scratch_init 0
		.amdhsa_user_sgpr_kernarg_preload_length 0
		.amdhsa_user_sgpr_kernarg_preload_offset 0
		.amdhsa_user_sgpr_private_segment_size 0
		.amdhsa_uses_dynamic_stack 0
		.amdhsa_system_sgpr_private_segment_wavefront_offset 0
		.amdhsa_system_sgpr_workgroup_id_x 1
		.amdhsa_system_sgpr_workgroup_id_y 1
		.amdhsa_system_sgpr_workgroup_id_z 0
		.amdhsa_system_sgpr_workgroup_info 0
		.amdhsa_system_vgpr_workitem_id 0
		.amdhsa_next_free_vgpr 92
		.amdhsa_next_free_sgpr 53
		.amdhsa_accum_offset 92
		.amdhsa_reserve_vcc 1
		.amdhsa_reserve_flat_scratch 0
		.amdhsa_float_round_mode_32 0
		.amdhsa_float_round_mode_16_64 0
		.amdhsa_float_denorm_mode_32 3
		.amdhsa_float_denorm_mode_16_64 3
		.amdhsa_dx10_clamp 1
		.amdhsa_ieee_mode 1
		.amdhsa_fp16_overflow 0
		.amdhsa_tg_split 0
		.amdhsa_exception_fp_ieee_invalid_op 0
		.amdhsa_exception_fp_denorm_src 0
		.amdhsa_exception_fp_ieee_div_zero 0
		.amdhsa_exception_fp_ieee_overflow 0
		.amdhsa_exception_fp_ieee_underflow 0
		.amdhsa_exception_fp_ieee_inexact 0
		.amdhsa_exception_int_div_zero 0
	.end_amdhsa_kernel
	.section	.text._Z35paged_attention_ll4mi_reduce_kernelIDF16_DF16_Li64ELi64ELi256ELi12EEvPT0_PKfS3_PKT_PKiS8_iS3_,"axG",@progbits,_Z35paged_attention_ll4mi_reduce_kernelIDF16_DF16_Li64ELi64ELi256ELi12EEvPT0_PKfS3_PKT_PKiS8_iS3_,comdat
.Lfunc_end31:
	.size	_Z35paged_attention_ll4mi_reduce_kernelIDF16_DF16_Li64ELi64ELi256ELi12EEvPT0_PKfS3_PKT_PKiS8_iS3_, .Lfunc_end31-_Z35paged_attention_ll4mi_reduce_kernelIDF16_DF16_Li64ELi64ELi256ELi12EEvPT0_PKfS3_PKT_PKiS8_iS3_
                                        ; -- End function
	.section	.AMDGPU.csdata,"",@progbits
; Kernel info:
; codeLenInByte = 11140
; NumSgprs: 57
; NumVgprs: 92
; NumAgprs: 0
; TotalNumVgprs: 92
; ScratchSize: 0
; MemoryBound: 0
; FloatMode: 240
; IeeeMode: 1
; LDSByteSize: 3076 bytes/workgroup (compile time only)
; SGPRBlocks: 7
; VGPRBlocks: 11
; NumSGPRsForWavesPerEU: 57
; NumVGPRsForWavesPerEU: 92
; AccumOffset: 92
; Occupancy: 5
; WaveLimiterHint : 1
; COMPUTE_PGM_RSRC2:SCRATCH_EN: 0
; COMPUTE_PGM_RSRC2:USER_SGPR: 6
; COMPUTE_PGM_RSRC2:TRAP_HANDLER: 0
; COMPUTE_PGM_RSRC2:TGID_X_EN: 1
; COMPUTE_PGM_RSRC2:TGID_Y_EN: 1
; COMPUTE_PGM_RSRC2:TGID_Z_EN: 0
; COMPUTE_PGM_RSRC2:TIDIG_COMP_CNT: 0
; COMPUTE_PGM_RSRC3_GFX90A:ACCUM_OFFSET: 22
; COMPUTE_PGM_RSRC3_GFX90A:TG_SPLIT: 0
	.section	.text._Z35paged_attention_ll4mi_reduce_kernelIDF16_DF16_Li64ELi64ELi256ELi13EEvPT0_PKfS3_PKT_PKiS8_iS3_,"axG",@progbits,_Z35paged_attention_ll4mi_reduce_kernelIDF16_DF16_Li64ELi64ELi256ELi13EEvPT0_PKfS3_PKT_PKiS8_iS3_,comdat
	.protected	_Z35paged_attention_ll4mi_reduce_kernelIDF16_DF16_Li64ELi64ELi256ELi13EEvPT0_PKfS3_PKT_PKiS8_iS3_ ; -- Begin function _Z35paged_attention_ll4mi_reduce_kernelIDF16_DF16_Li64ELi64ELi256ELi13EEvPT0_PKfS3_PKT_PKiS8_iS3_
	.globl	_Z35paged_attention_ll4mi_reduce_kernelIDF16_DF16_Li64ELi64ELi256ELi13EEvPT0_PKfS3_PKT_PKiS8_iS3_
	.p2align	8
	.type	_Z35paged_attention_ll4mi_reduce_kernelIDF16_DF16_Li64ELi64ELi256ELi13EEvPT0_PKfS3_PKT_PKiS8_iS3_,@function
_Z35paged_attention_ll4mi_reduce_kernelIDF16_DF16_Li64ELi64ELi256ELi13EEvPT0_PKfS3_PKT_PKiS8_iS3_: ; @_Z35paged_attention_ll4mi_reduce_kernelIDF16_DF16_Li64ELi64ELi256ELi13EEvPT0_PKfS3_PKT_PKiS8_iS3_
; %bb.0:
	s_load_dwordx2 s[34:35], s[4:5], 0x28
	s_mov_b32 s30, s7
	s_mov_b64 s[0:1], 0
	s_waitcnt lgkmcnt(0)
	s_cmp_lg_u64 s[34:35], 0
	s_cselect_b64 s[44:45], -1, 0
	s_and_b64 vcc, exec, s[44:45]
	s_cbranch_vccz .LBB32_23
; %bb.1:
	s_add_i32 s2, s30, 1
	s_mov_b32 s3, 0
	s_lshl_b64 s[8:9], s[2:3], 2
	s_add_u32 s8, s34, s8
	s_mov_b32 s31, s3
	s_addc_u32 s9, s35, s9
	s_lshl_b64 s[2:3], s[30:31], 2
	s_add_u32 s2, s34, s2
	s_addc_u32 s3, s35, s3
	s_load_dword s7, s[8:9], 0x0
	s_load_dword s10, s[2:3], 0x0
	s_waitcnt lgkmcnt(0)
	s_sub_i32 s2, s7, s10
	s_cmp_eq_u32 s2, 1
	s_cselect_b64 s[2:3], -1, 0
	s_andn2_b64 vcc, exec, s[0:1]
	s_cbranch_vccnz .LBB32_3
.LBB32_2:
	s_mov_b32 s31, 0
	s_mov_b64 s[2:3], -1
.LBB32_3:
	s_andn2_b64 vcc, exec, s[2:3]
	s_cbranch_vccz .LBB32_5
; %bb.4:
	s_endpgm
.LBB32_5:
	s_load_dwordx4 s[36:39], s[4:5], 0x18
	s_load_dword s8, s[4:5], 0x30
	s_lshl_b64 s[46:47], s[30:31], 2
	v_cmp_lt_u32_e32 vcc, 63, v0
	s_waitcnt lgkmcnt(0)
	s_add_u32 s0, s38, s46
	s_addc_u32 s1, s39, s47
	s_load_dword s54, s[0:1], 0x0
	s_load_dword s7, s[4:5], 0x40
	s_mul_i32 s38, s6, s8
	s_mul_i32 s2, s30, s8
	s_waitcnt lgkmcnt(0)
	s_add_i32 s3, s54, 0xff
	s_ashr_i32 s0, s3, 31
	s_lshr_b32 s0, s0, 24
	s_add_i32 s3, s3, s0
	s_and_saveexec_b64 s[0:1], vcc
	s_xor_b64 s[0:1], exec, s[0:1]
	s_or_saveexec_b64 s[48:49], s[0:1]
	s_ashr_i32 s33, s3, 8
	v_mov_b32_e32 v1, s38
	s_mul_i32 s50, s2, s7
	s_xor_b64 exec, exec, s[48:49]
	s_cbranch_execz .LBB32_9
; %bb.6:
	s_add_i32 s0, s33, -1
	v_or_b32_e32 v3, 64, v0
	v_mov_b32_e32 v1, s0
	v_cmp_gt_u32_e64 s[24:25], s33, v3
	v_cndmask_b32_e64 v4, v1, v3, s[24:25]
	v_or_b32_e32 v3, 0x80, v0
	v_cmp_gt_u32_e64 s[22:23], s33, v3
	v_cndmask_b32_e64 v6, v1, v3, s[22:23]
	v_or_b32_e32 v3, 0xc0, v0
	;; [unrolled: 3-line block ×8, first 2 shown]
	s_load_dwordx4 s[40:43], s[4:5], 0x8
	v_cmp_gt_u32_e64 s[8:9], s33, v3
	v_cndmask_b32_e64 v20, v1, v3, s[8:9]
	v_or_b32_e32 v3, 0x280, v0
	v_cmp_gt_u32_e64 s[2:3], s33, v3
	s_mov_b32 s51, 0
	v_cndmask_b32_e64 v22, v1, v3, s[2:3]
	v_or_b32_e32 v3, 0x2c0, v0
	v_cmp_gt_u32_e64 s[0:1], s33, v3
	s_lshl_b64 s[52:53], s[50:51], 2
	s_mov_b32 s39, s51
	v_cmp_gt_u32_e64 s[26:27], s33, v0
	v_cndmask_b32_e64 v24, v1, v3, s[0:1]
	v_or_b32_e32 v3, 0x300, v0
	s_waitcnt lgkmcnt(0)
	s_add_u32 s28, s42, s52
	v_cndmask_b32_e64 v2, v1, v0, s[26:27]
	v_cmp_gt_u32_e32 vcc, s33, v3
	s_addc_u32 s29, s43, s53
	s_lshl_b64 s[42:43], s[38:39], 2
	v_cndmask_b32_e32 v26, v1, v3, vcc
	s_add_u32 s39, s28, s42
	v_ashrrev_i32_e32 v3, 31, v2
	s_addc_u32 s51, s29, s43
	v_lshlrev_b64 v[2:3], 2, v[2:3]
	v_mov_b32_e32 v1, s51
	v_add_co_u32_e64 v28, s[28:29], s39, v2
	v_ashrrev_i32_e32 v5, 31, v4
	v_addc_co_u32_e64 v29, s[28:29], v1, v3, s[28:29]
	v_lshlrev_b64 v[4:5], 2, v[4:5]
	v_add_co_u32_e64 v30, s[28:29], s39, v4
	v_ashrrev_i32_e32 v7, 31, v6
	v_addc_co_u32_e64 v31, s[28:29], v1, v5, s[28:29]
	v_lshlrev_b64 v[6:7], 2, v[6:7]
	;; [unrolled: 4-line block ×8, first 2 shown]
	global_load_dword v1, v[28:29], off
	global_load_dword v44, v[30:31], off
	;; [unrolled: 1-line block ×5, first 2 shown]
	s_nop 0
	global_load_dword v38, v[38:39], off
	s_nop 0
	global_load_dword v39, v[40:41], off
	;; [unrolled: 2-line block ×3, first 2 shown]
	v_mov_b32_e32 v21, s51
	v_add_co_u32_e64 v28, s[28:29], s39, v18
	v_addc_co_u32_e64 v29, s[28:29], v21, v19, s[28:29]
	v_ashrrev_i32_e32 v21, 31, v20
	v_lshlrev_b64 v[20:21], 2, v[20:21]
	v_mov_b32_e32 v23, s51
	v_add_co_u32_e64 v30, s[28:29], s39, v20
	v_addc_co_u32_e64 v31, s[28:29], v23, v21, s[28:29]
	v_ashrrev_i32_e32 v23, 31, v22
	v_lshlrev_b64 v[22:23], 2, v[22:23]
	;; [unrolled: 5-line block ×4, first 2 shown]
	v_mov_b32_e32 v37, s51
	v_add_co_u32_e64 v36, s[28:29], s39, v26
	v_addc_co_u32_e64 v37, s[28:29], v37, v27, s[28:29]
	global_load_dword v28, v[28:29], off
	s_nop 0
	global_load_dword v29, v[30:31], off
	s_nop 0
	global_load_dword v30, v[32:33], off
	global_load_dword v31, v[34:35], off
	s_nop 0
	global_load_dword v32, v[36:37], off
	v_mbcnt_lo_u32_b32 v34, -1, 0
	v_mbcnt_hi_u32_b32 v34, -1, v34
	v_and_b32_e32 v35, 64, v34
	v_add_u32_e32 v35, 64, v35
	v_xor_b32_e32 v36, 32, v34
	v_cmp_lt_i32_e64 s[28:29], v36, v35
	v_cndmask_b32_e64 v36, v34, v36, s[28:29]
	v_lshlrev_b32_e32 v36, 2, v36
	s_waitcnt vmcnt(10)
	v_max3_f32 v33, v1, v44, v45
	s_waitcnt vmcnt(8)
	v_max3_f32 v33, v33, v46, v47
	s_waitcnt vmcnt(6)
	v_max3_f32 v33, v33, v38, v39
	s_waitcnt vmcnt(4)
	v_max3_f32 v33, v33, v40, v28
	s_waitcnt vmcnt(2)
	v_max3_f32 v33, v33, v29, v30
	s_waitcnt vmcnt(0)
	v_max3_f32 v33, v33, v31, v32
	ds_bpermute_b32 v37, v36, v33
	s_waitcnt lgkmcnt(0)
	v_max_f32_e32 v37, v37, v37
	v_max_f32_e32 v33, v33, v37
	v_xor_b32_e32 v37, 16, v34
	v_cmp_lt_i32_e64 s[28:29], v37, v35
	v_cndmask_b32_e64 v37, v34, v37, s[28:29]
	v_lshlrev_b32_e32 v37, 2, v37
	ds_bpermute_b32 v41, v37, v33
	s_waitcnt lgkmcnt(0)
	v_max_f32_e32 v41, v41, v41
	v_max_f32_e32 v33, v33, v41
	v_xor_b32_e32 v41, 8, v34
	v_cmp_lt_i32_e64 s[28:29], v41, v35
	v_cndmask_b32_e64 v41, v34, v41, s[28:29]
	v_lshlrev_b32_e32 v41, 2, v41
	ds_bpermute_b32 v42, v41, v33
	s_waitcnt lgkmcnt(0)
	v_max_f32_e32 v42, v42, v42
	v_max_f32_e32 v33, v33, v42
	v_xor_b32_e32 v42, 4, v34
	v_cmp_lt_i32_e64 s[28:29], v42, v35
	v_cndmask_b32_e64 v42, v34, v42, s[28:29]
	v_lshlrev_b32_e32 v42, 2, v42
	ds_bpermute_b32 v43, v42, v33
	s_waitcnt lgkmcnt(0)
	v_max_f32_e32 v43, v43, v43
	v_max_f32_e32 v33, v33, v43
	v_xor_b32_e32 v43, 2, v34
	v_cmp_lt_i32_e64 s[28:29], v43, v35
	v_cndmask_b32_e64 v43, v34, v43, s[28:29]
	v_lshlrev_b32_e32 v43, 2, v43
	ds_bpermute_b32 v48, v43, v33
	s_waitcnt lgkmcnt(0)
	v_max_f32_e32 v48, v48, v48
	v_max_f32_e32 v33, v33, v48
	v_xor_b32_e32 v48, 1, v34
	v_cmp_lt_i32_e64 s[28:29], v48, v35
	v_cndmask_b32_e64 v34, v34, v48, s[28:29]
	s_add_u32 s28, s40, s52
	s_addc_u32 s29, s41, s53
	s_add_u32 s39, s28, s42
	s_addc_u32 s40, s29, s43
	v_mov_b32_e32 v48, s40
	v_add_co_u32_e64 v2, s[28:29], s39, v2
	v_addc_co_u32_e64 v3, s[28:29], v48, v3, s[28:29]
	global_load_dword v48, v[2:3], off
	v_mov_b32_e32 v3, s40
	v_add_co_u32_e64 v2, s[28:29], s39, v4
	v_addc_co_u32_e64 v3, s[28:29], v3, v5, s[28:29]
	v_mov_b32_e32 v5, s40
	v_add_co_u32_e64 v4, s[28:29], s39, v6
	v_addc_co_u32_e64 v5, s[28:29], v5, v7, s[28:29]
	;; [unrolled: 3-line block ×7, first 2 shown]
	global_load_dword v16, v[2:3], off
	global_load_dword v17, v[4:5], off
	;; [unrolled: 1-line block ×5, first 2 shown]
	s_nop 0
	global_load_dword v12, v[12:13], off
	s_nop 0
	global_load_dword v13, v[14:15], off
	v_lshlrev_b32_e32 v34, 2, v34
	ds_bpermute_b32 v35, v34, v33
	v_mov_b32_e32 v3, s40
	v_add_co_u32_e64 v2, s[28:29], s39, v18
	v_addc_co_u32_e64 v3, s[28:29], v3, v19, s[28:29]
	v_mov_b32_e32 v5, s40
	v_add_co_u32_e64 v4, s[28:29], s39, v20
	v_addc_co_u32_e64 v5, s[28:29], v5, v21, s[28:29]
	;; [unrolled: 3-line block ×3, first 2 shown]
	s_waitcnt lgkmcnt(0)
	v_max_f32_e32 v14, v35, v35
	v_mov_b32_e32 v9, s40
	v_add_co_u32_e64 v8, s[28:29], s39, v24
	v_max_f32_e32 v14, v33, v14
	v_addc_co_u32_e64 v9, s[28:29], v9, v25, s[28:29]
	v_sub_f32_e32 v1, v1, v14
	v_add_co_u32_e64 v10, s[28:29], s39, v26
	s_mov_b32 s39, 0x3fb8aa3b
	v_mul_f32_e32 v15, 0x3fb8aa3b, v1
	v_fma_f32 v18, v1, s39, -v15
	v_rndne_f32_e32 v19, v15
	v_mov_b32_e32 v11, s40
	v_fmac_f32_e32 v18, 0x32a5705f, v1
	v_sub_f32_e32 v15, v15, v19
	v_addc_co_u32_e64 v11, s[28:29], v11, v27, s[28:29]
	v_add_f32_e32 v15, v15, v18
	v_cvt_i32_f32_e32 v18, v19
	global_load_dword v2, v[2:3], off
	s_nop 0
	global_load_dword v3, v[4:5], off
	global_load_dword v19, v[6:7], off
	;; [unrolled: 1-line block ×4, first 2 shown]
	v_sub_f32_e32 v6, v44, v14
	v_mul_f32_e32 v7, 0x3fb8aa3b, v6
	v_fma_f32 v8, v6, s39, -v7
	v_rndne_f32_e32 v9, v7
	v_exp_f32_e32 v15, v15
	v_fmac_f32_e32 v8, 0x32a5705f, v6
	v_sub_f32_e32 v7, v7, v9
	v_add_f32_e32 v7, v7, v8
	v_exp_f32_e32 v7, v7
	v_cvt_i32_f32_e32 v8, v9
	s_mov_b32 s40, 0xc2ce8ed0
	v_ldexp_f32 v4, v15, v18
	v_cmp_ngt_f32_e64 s[28:29], s40, v1
	s_mov_b32 s41, 0x42b17218
	v_cndmask_b32_e64 v4, 0, v4, s[28:29]
	v_mov_b32_e32 v5, 0x7f800000
	v_cmp_nlt_f32_e64 s[28:29], s41, v1
	v_cndmask_b32_e64 v1, v5, v4, s[28:29]
	v_ldexp_f32 v4, v7, v8
	v_sub_f32_e32 v7, v45, v14
	v_mul_f32_e32 v8, 0x3fb8aa3b, v7
	v_fma_f32 v9, v7, s39, -v8
	v_rndne_f32_e32 v10, v8
	v_fmac_f32_e32 v9, 0x32a5705f, v7
	v_sub_f32_e32 v8, v8, v10
	v_add_f32_e32 v8, v8, v9
	v_exp_f32_e32 v8, v8
	v_cvt_i32_f32_e32 v9, v10
	v_cndmask_b32_e64 v1, 0, v1, s[26:27]
	v_cmp_ngt_f32_e64 s[26:27], s40, v6
	v_cndmask_b32_e64 v4, 0, v4, s[26:27]
	v_cmp_nlt_f32_e64 s[26:27], s41, v6
	v_ldexp_f32 v6, v8, v9
	v_sub_f32_e32 v8, v46, v14
	v_mul_f32_e32 v9, 0x3fb8aa3b, v8
	v_fma_f32 v10, v8, s39, -v9
	v_rndne_f32_e32 v11, v9
	v_fmac_f32_e32 v10, 0x32a5705f, v8
	v_sub_f32_e32 v9, v9, v11
	v_add_f32_e32 v9, v9, v10
	v_exp_f32_e32 v9, v9
	v_cvt_i32_f32_e32 v10, v11
	v_cndmask_b32_e64 v4, v5, v4, s[26:27]
	v_cndmask_b32_e64 v4, 0, v4, s[24:25]
	v_cmp_ngt_f32_e64 s[24:25], s40, v7
	v_cndmask_b32_e64 v6, 0, v6, s[24:25]
	v_cmp_nlt_f32_e64 s[24:25], s41, v7
	v_ldexp_f32 v7, v9, v10
	v_sub_f32_e32 v9, v47, v14
	v_mul_f32_e32 v10, 0x3fb8aa3b, v9
	v_fma_f32 v11, v9, s39, -v10
	v_rndne_f32_e32 v15, v10
	v_fmac_f32_e32 v11, 0x32a5705f, v9
	v_sub_f32_e32 v10, v10, v15
	v_add_f32_e32 v10, v10, v11
	v_exp_f32_e32 v10, v10
	v_cvt_i32_f32_e32 v11, v15
	v_cndmask_b32_e64 v6, v5, v6, s[24:25]
	v_cndmask_b32_e64 v6, 0, v6, s[22:23]
	v_cmp_ngt_f32_e64 s[22:23], s40, v8
	v_cndmask_b32_e64 v7, 0, v7, s[22:23]
	v_cmp_nlt_f32_e64 s[22:23], s41, v8
	v_ldexp_f32 v8, v10, v11
	v_sub_f32_e32 v10, v38, v14
	v_mul_f32_e32 v11, 0x3fb8aa3b, v10
	s_waitcnt vmcnt(11)
	v_mul_f32_e32 v4, v16, v4
	v_fma_f32 v15, v10, s39, -v11
	v_rndne_f32_e32 v16, v11
	v_fmac_f32_e32 v15, 0x32a5705f, v10
	v_sub_f32_e32 v11, v11, v16
	v_add_f32_e32 v11, v11, v15
	v_exp_f32_e32 v11, v11
	v_cvt_i32_f32_e32 v15, v16
	v_cndmask_b32_e64 v7, v5, v7, s[22:23]
	v_cndmask_b32_e64 v7, 0, v7, s[20:21]
	v_cmp_ngt_f32_e64 s[20:21], s40, v9
	v_cndmask_b32_e64 v8, 0, v8, s[20:21]
	v_cmp_nlt_f32_e64 s[20:21], s41, v9
	v_ldexp_f32 v9, v11, v15
	v_sub_f32_e32 v11, v39, v14
	v_mul_f32_e32 v15, 0x3fb8aa3b, v11
	s_waitcnt vmcnt(10)
	v_mul_f32_e32 v6, v17, v6
	v_fma_f32 v16, v11, s39, -v15
	v_rndne_f32_e32 v17, v15
	v_fmac_f32_e32 v16, 0x32a5705f, v11
	v_sub_f32_e32 v15, v15, v17
	v_add_f32_e32 v15, v15, v16
	v_exp_f32_e32 v15, v15
	v_cvt_i32_f32_e32 v16, v17
	v_cndmask_b32_e64 v8, v5, v8, s[20:21]
	v_cndmask_b32_e64 v8, 0, v8, s[18:19]
	v_cmp_ngt_f32_e64 s[18:19], s40, v10
	v_cndmask_b32_e64 v9, 0, v9, s[18:19]
	v_cmp_nlt_f32_e64 s[18:19], s41, v10
	v_ldexp_f32 v10, v15, v16
	v_sub_f32_e32 v15, v40, v14
	v_mul_f32_e32 v16, 0x3fb8aa3b, v15
	v_fma_f32 v17, v15, s39, -v16
	v_rndne_f32_e32 v18, v16
	v_cndmask_b32_e64 v9, v5, v9, s[18:19]
	v_fmac_f32_e32 v17, 0x32a5705f, v15
	v_sub_f32_e32 v16, v16, v18
	v_cndmask_b32_e64 v9, 0, v9, s[16:17]
	v_cmp_ngt_f32_e64 s[16:17], s40, v11
	v_add_f32_e32 v16, v16, v17
	v_cndmask_b32_e64 v10, 0, v10, s[16:17]
	v_exp_f32_e32 v16, v16
	v_cvt_i32_f32_e32 v17, v18
	v_cmp_nlt_f32_e64 s[16:17], s41, v11
	v_cndmask_b32_e64 v10, v5, v10, s[16:17]
	v_cndmask_b32_e64 v10, 0, v10, s[14:15]
	s_waitcnt vmcnt(6)
	v_mul_f32_e32 v10, v12, v10
	v_sub_f32_e32 v12, v28, v14
	v_ldexp_f32 v11, v16, v17
	v_mul_f32_e32 v16, 0x3fb8aa3b, v12
	v_fma_f32 v17, v12, s39, -v16
	v_rndne_f32_e32 v18, v16
	v_fmac_f32_e32 v17, 0x32a5705f, v12
	v_sub_f32_e32 v16, v16, v18
	v_add_f32_e32 v16, v16, v17
	v_cmp_ngt_f32_e64 s[14:15], s40, v15
	v_exp_f32_e32 v16, v16
	v_cvt_i32_f32_e32 v17, v18
	v_cndmask_b32_e64 v11, 0, v11, s[14:15]
	v_cmp_nlt_f32_e64 s[14:15], s41, v15
	v_cndmask_b32_e64 v11, v5, v11, s[14:15]
	v_cndmask_b32_e64 v11, 0, v11, s[12:13]
	v_sub_f32_e32 v15, v29, v14
	s_waitcnt vmcnt(5)
	v_mul_f32_e32 v11, v13, v11
	v_ldexp_f32 v13, v16, v17
	v_mul_f32_e32 v16, 0x3fb8aa3b, v15
	v_fma_f32 v17, v15, s39, -v16
	v_rndne_f32_e32 v18, v16
	v_fmac_f32_e32 v17, 0x32a5705f, v15
	v_sub_f32_e32 v16, v16, v18
	v_add_f32_e32 v16, v16, v17
	v_cmp_ngt_f32_e64 s[12:13], s40, v12
	v_exp_f32_e32 v16, v16
	v_cvt_i32_f32_e32 v17, v18
	v_cndmask_b32_e64 v13, 0, v13, s[12:13]
	v_cmp_nlt_f32_e64 s[12:13], s41, v12
	v_cndmask_b32_e64 v12, v5, v13, s[12:13]
	v_cndmask_b32_e64 v12, 0, v12, s[10:11]
	v_sub_f32_e32 v13, v30, v14
	s_waitcnt vmcnt(4)
	v_mul_f32_e32 v12, v2, v12
	v_ldexp_f32 v2, v16, v17
	v_mul_f32_e32 v16, 0x3fb8aa3b, v13
	v_fma_f32 v17, v13, s39, -v16
	v_rndne_f32_e32 v18, v16
	v_fmac_f32_e32 v17, 0x32a5705f, v13
	v_sub_f32_e32 v16, v16, v18
	v_add_f32_e32 v16, v16, v17
	v_cmp_ngt_f32_e64 s[10:11], s40, v15
	v_exp_f32_e32 v16, v16
	v_cvt_i32_f32_e32 v17, v18
	v_cndmask_b32_e64 v2, 0, v2, s[10:11]
	v_cmp_nlt_f32_e64 s[10:11], s41, v15
	v_cndmask_b32_e64 v2, v5, v2, s[10:11]
	v_cndmask_b32_e64 v2, 0, v2, s[8:9]
	v_sub_f32_e32 v15, v31, v14
	s_waitcnt vmcnt(3)
	v_mul_f32_e32 v3, v3, v2
	v_ldexp_f32 v2, v16, v17
	v_mul_f32_e32 v16, 0x3fb8aa3b, v15
	v_fma_f32 v17, v15, s39, -v16
	v_rndne_f32_e32 v18, v16
	v_fmac_f32_e32 v17, 0x32a5705f, v15
	v_sub_f32_e32 v16, v16, v18
	v_add_f32_e32 v16, v16, v17
	v_cmp_ngt_f32_e64 s[8:9], s40, v13
	v_exp_f32_e32 v16, v16
	v_cvt_i32_f32_e32 v17, v18
	v_cndmask_b32_e64 v2, 0, v2, s[8:9]
	v_cmp_nlt_f32_e64 s[8:9], s41, v13
	v_cndmask_b32_e64 v2, v5, v2, s[8:9]
	v_cndmask_b32_e64 v2, 0, v2, s[2:3]
	v_sub_f32_e32 v14, v32, v14
	s_waitcnt vmcnt(2)
	v_mul_f32_e32 v13, v19, v2
	v_ldexp_f32 v2, v16, v17
	v_mul_f32_e32 v16, 0x3fb8aa3b, v14
	v_fma_f32 v17, v14, s39, -v16
	v_rndne_f32_e32 v18, v16
	v_fmac_f32_e32 v17, 0x32a5705f, v14
	v_sub_f32_e32 v16, v16, v18
	v_add_f32_e32 v16, v16, v17
	v_exp_f32_e32 v16, v16
	v_cvt_i32_f32_e32 v17, v18
	v_cmp_ngt_f32_e64 s[2:3], s40, v15
	v_cndmask_b32_e64 v2, 0, v2, s[2:3]
	v_cmp_nlt_f32_e64 s[2:3], s41, v15
	v_cndmask_b32_e64 v2, v5, v2, s[2:3]
	v_mul_f32_e32 v1, v48, v1
	v_cndmask_b32_e64 v2, 0, v2, s[0:1]
	v_ldexp_f32 v15, v16, v17
	v_cmp_ngt_f32_e64 s[0:1], s40, v14
	v_cndmask_b32_e64 v15, 0, v15, s[0:1]
	v_cmp_nlt_f32_e64 s[0:1], s41, v14
	v_add_f32_e32 v14, v1, v4
	v_mul_f32_e32 v7, v49, v7
	v_add_f32_e32 v14, v14, v6
	v_mul_f32_e32 v8, v50, v8
	;; [unrolled: 2-line block ×3, first 2 shown]
	v_add_f32_e32 v14, v14, v8
	v_add_f32_e32 v14, v14, v9
	;; [unrolled: 1-line block ×6, first 2 shown]
	v_cndmask_b32_e64 v5, v5, v15, s[0:1]
	v_add_f32_e32 v14, v14, v13
	v_cndmask_b32_e32 v5, 0, v5, vcc
	s_waitcnt vmcnt(1)
	v_fmac_f32_e32 v14, v20, v2
	s_waitcnt vmcnt(0)
	v_fmac_f32_e32 v14, v21, v5
	ds_bpermute_b32 v15, v36, v14
	v_mul_f32_e32 v16, v20, v2
	v_lshlrev_b32_e32 v17, 2, v0
	ds_write2st64_b32 v17, v1, v4 offset1:1
	ds_write2st64_b32 v17, v6, v7 offset0:2 offset1:3
	ds_write2st64_b32 v17, v8, v9 offset0:4 offset1:5
	;; [unrolled: 1-line block ×3, first 2 shown]
	v_cmp_eq_u32_e32 vcc, 0, v0
	s_waitcnt lgkmcnt(4)
	v_add_f32_e32 v14, v14, v15
	ds_bpermute_b32 v15, v37, v14
	v_mul_f32_e32 v5, v21, v5
	ds_write2st64_b32 v17, v12, v3 offset0:8 offset1:9
	ds_write2st64_b32 v17, v13, v16 offset0:10 offset1:11
	ds_write_b32 v17, v5 offset:3072
	s_waitcnt lgkmcnt(3)
	v_add_f32_e32 v14, v14, v15
	ds_bpermute_b32 v15, v41, v14
	s_waitcnt lgkmcnt(0)
	v_add_f32_e32 v14, v14, v15
	ds_bpermute_b32 v15, v42, v14
	;; [unrolled: 3-line block ×4, first 2 shown]
	s_and_saveexec_b64 s[0:1], vcc
	s_cbranch_execz .LBB32_8
; %bb.7:
	s_waitcnt lgkmcnt(0)
	v_add_f32_e32 v1, v1, v2
	v_mov_b32_e32 v2, 0
	ds_write_b32 v2, v1 offset:3328
.LBB32_8:
	s_or_b64 exec, exec, s[0:1]
	v_mov_b32_e32 v1, s38
.LBB32_9:
	s_or_b64 exec, exec, s[48:49]
	s_lshl_b32 s0, s50, 6
	s_mov_b32 s1, 0
	s_lshl_b64 s[0:1], s[0:1], 1
	s_add_u32 s0, s36, s0
	s_addc_u32 s1, s37, s1
	s_lshl_b32 s10, s33, 6
	s_waitcnt lgkmcnt(0)
	v_lshlrev_b32_e32 v2, 6, v1
	v_mov_b32_e32 v3, 0
	s_sub_i32 s11, s10, 64
	v_lshlrev_b64 v[4:5], 1, v[2:3]
	s_cmp_lt_i32 s54, 1
	v_mov_b32_e32 v1, s1
	v_add_co_u32_e32 v4, vcc, s0, v4
	s_cselect_b32 s0, s11, 0
	v_addc_co_u32_e32 v1, vcc, v1, v5, vcc
	v_lshlrev_b32_e32 v2, 1, v0
	s_ashr_i32 s1, s0, 31
	v_add_co_u32_e32 v0, vcc, v4, v2
	s_lshl_b64 s[0:1], s[0:1], 1
	v_addc_co_u32_e32 v1, vcc, 0, v1, vcc
	s_cmpk_lt_i32 s54, 0x101
	v_add_co_u32_e32 v12, vcc, s0, v0
	s_cselect_b32 s0, s11, 64
	v_mov_b32_e32 v4, s1
	s_ashr_i32 s1, s0, 31
	s_lshl_b64 s[0:1], s[0:1], 1
	v_addc_co_u32_e32 v13, vcc, v1, v4, vcc
	s_cmpk_lt_i32 s54, 0x201
	v_add_co_u32_e32 v14, vcc, s0, v0
	s_cselect_b32 s0, s11, 0x80
	v_mov_b32_e32 v4, s1
	s_ashr_i32 s1, s0, 31
	;; [unrolled: 7-line block ×8, first 2 shown]
	s_lshl_b64 s[0:1], s[0:1], 1
	v_addc_co_u32_e32 v27, vcc, v1, v4, vcc
	s_cmpk_lt_i32 s54, 0x901
	global_load_ushort v4, v[12:13], off
	global_load_ushort v5, v[14:15], off
	;; [unrolled: 1-line block ×8, first 2 shown]
	v_add_co_u32_e32 v20, vcc, s0, v0
	s_cselect_b32 s0, s11, 0x240
	v_mov_b32_e32 v12, s1
	s_ashr_i32 s1, s0, 31
	s_lshl_b64 s[0:1], s[0:1], 1
	v_addc_co_u32_e32 v21, vcc, v1, v12, vcc
	s_cmpk_lt_i32 s54, 0xa01
	v_add_co_u32_e32 v22, vcc, s0, v0
	s_cselect_b32 s0, s11, 0x280
	v_mov_b32_e32 v12, s1
	s_ashr_i32 s1, s0, 31
	s_lshl_b64 s[0:1], s[0:1], 1
	v_addc_co_u32_e32 v23, vcc, v1, v12, vcc
	s_cmpk_lt_i32 s54, 0xb01
	;; [unrolled: 7-line block ×6, first 2 shown]
	v_add_co_u32_e32 v32, vcc, s0, v0
	s_cselect_b32 s0, s11, 0x3c0
	v_mov_b32_e32 v12, s1
	s_ashr_i32 s1, s0, 31
	v_addc_co_u32_e32 v33, vcc, v1, v12, vcc
	s_lshl_b64 s[0:1], s[0:1], 1
	v_mov_b32_e32 v12, s1
	v_add_co_u32_e32 v34, vcc, s0, v0
	v_addc_co_u32_e32 v35, vcc, v1, v12, vcc
	global_load_ushort v12, v[20:21], off
	global_load_ushort v13, v[22:23], off
	;; [unrolled: 1-line block ×8, first 2 shown]
	s_cmpk_gt_i32 s54, 0x1000
	s_cselect_b64 s[8:9], -1, 0
	s_cmpk_lt_i32 s54, 0x1001
	v_mov_b32_e32 v36, 0
	v_mov_b32_e32 v37, 0
	;; [unrolled: 1-line block ×48, first 2 shown]
	s_waitcnt lgkmcnt(0)
	; wave barrier
	s_cbranch_scc1 .LBB32_12
; %bb.10:
	s_cmpk_lt_u32 s54, 0x1101
	s_cselect_b32 s0, s11, 0x440
	s_ashr_i32 s1, s0, 31
	s_lshl_b64 s[0:1], s[0:1], 1
	s_cmpk_lt_u32 s54, 0x1201
	v_add_co_u32_e32 v28, vcc, s0, v0
	s_cselect_b32 s0, s11, 0x480
	v_mov_b32_e32 v20, s1
	s_ashr_i32 s1, s0, 31
	s_lshl_b64 s[0:1], s[0:1], 1
	v_addc_co_u32_e32 v29, vcc, v1, v20, vcc
	s_cmpk_lt_u32 s54, 0x1301
	v_add_co_u32_e32 v30, vcc, s0, v0
	s_cselect_b32 s0, s11, 0x4c0
	v_mov_b32_e32 v20, s1
	s_ashr_i32 s1, s0, 31
	s_lshl_b64 s[0:1], s[0:1], 1
	v_addc_co_u32_e32 v31, vcc, v1, v20, vcc
	;; [unrolled: 7-line block ×7, first 2 shown]
	s_cmpk_lt_u32 s54, 0x1901
	global_load_ushort v27, v[0:1], off offset:2048
	global_load_ushort v26, v[28:29], off
	global_load_ushort v25, v[30:31], off
	;; [unrolled: 1-line block ×7, first 2 shown]
	v_add_co_u32_e32 v36, vcc, s0, v0
	s_cselect_b32 s0, s11, 0x640
	v_mov_b32_e32 v28, s1
	s_ashr_i32 s1, s0, 31
	s_lshl_b64 s[0:1], s[0:1], 1
	v_addc_co_u32_e32 v37, vcc, v1, v28, vcc
	s_cmpk_lt_u32 s54, 0x1a01
	v_add_co_u32_e32 v38, vcc, s0, v0
	s_cselect_b32 s0, s11, 0x680
	v_mov_b32_e32 v28, s1
	s_ashr_i32 s1, s0, 31
	s_lshl_b64 s[0:1], s[0:1], 1
	v_addc_co_u32_e32 v39, vcc, v1, v28, vcc
	s_cmpk_lt_u32 s54, 0x1b01
	;; [unrolled: 7-line block ×6, first 2 shown]
	v_add_co_u32_e32 v48, vcc, s0, v0
	s_cselect_b32 s0, s11, 0x7c0
	v_mov_b32_e32 v28, s1
	s_ashr_i32 s1, s0, 31
	v_addc_co_u32_e32 v49, vcc, v1, v28, vcc
	s_lshl_b64 s[0:1], s[0:1], 1
	v_mov_b32_e32 v28, s1
	v_add_co_u32_e32 v50, vcc, s0, v0
	v_addc_co_u32_e32 v51, vcc, v1, v28, vcc
	global_load_ushort v35, v[36:37], off
	global_load_ushort v34, v[38:39], off
	;; [unrolled: 1-line block ×8, first 2 shown]
	s_cmpk_lt_u32 s54, 0x2001
	v_mov_b32_e32 v67, 0
	v_mov_b32_e32 v66, 0
	;; [unrolled: 1-line block ×32, first 2 shown]
	s_cbranch_scc1 .LBB32_12
; %bb.11:
	s_cmpk_lt_u32 s54, 0x2101
	s_cselect_b32 s0, s11, 0x840
	s_ashr_i32 s1, s0, 31
	v_add_co_u32_e32 v36, vcc, 0x1000, v0
	s_lshl_b64 s[0:1], s[0:1], 1
	v_addc_co_u32_e32 v37, vcc, 0, v1, vcc
	s_cmpk_lt_u32 s54, 0x2201
	v_add_co_u32_e32 v38, vcc, s0, v0
	s_cselect_b32 s0, s11, 0x880
	v_mov_b32_e32 v39, s1
	s_ashr_i32 s1, s0, 31
	s_lshl_b64 s[0:1], s[0:1], 1
	v_addc_co_u32_e32 v39, vcc, v1, v39, vcc
	s_cmpk_lt_u32 s54, 0x2301
	v_add_co_u32_e32 v40, vcc, s0, v0
	s_cselect_b32 s0, s11, 0x8c0
	v_mov_b32_e32 v41, s1
	s_ashr_i32 s1, s0, 31
	s_lshl_b64 s[0:1], s[0:1], 1
	v_addc_co_u32_e32 v41, vcc, v1, v41, vcc
	s_cmpk_lt_u32 s54, 0x2401
	v_add_co_u32_e32 v42, vcc, s0, v0
	s_cselect_b32 s0, s11, 0x900
	v_mov_b32_e32 v43, s1
	s_ashr_i32 s1, s0, 31
	s_lshl_b64 s[0:1], s[0:1], 1
	v_addc_co_u32_e32 v43, vcc, v1, v43, vcc
	s_cmpk_lt_u32 s54, 0x2501
	v_add_co_u32_e32 v44, vcc, s0, v0
	s_cselect_b32 s0, s11, 0x940
	v_mov_b32_e32 v45, s1
	s_ashr_i32 s1, s0, 31
	s_lshl_b64 s[0:1], s[0:1], 1
	v_addc_co_u32_e32 v45, vcc, v1, v45, vcc
	s_cmpk_lt_u32 s54, 0x2601
	v_add_co_u32_e32 v46, vcc, s0, v0
	s_cselect_b32 s0, s11, 0x980
	v_mov_b32_e32 v47, s1
	s_ashr_i32 s1, s0, 31
	s_lshl_b64 s[0:1], s[0:1], 1
	v_addc_co_u32_e32 v47, vcc, v1, v47, vcc
	s_cmpk_lt_u32 s54, 0x2701
	v_add_co_u32_e32 v48, vcc, s0, v0
	s_cselect_b32 s0, s11, 0x9c0
	v_mov_b32_e32 v49, s1
	s_ashr_i32 s1, s0, 31
	s_lshl_b64 s[0:1], s[0:1], 1
	v_addc_co_u32_e32 v49, vcc, v1, v49, vcc
	s_cmpk_lt_u32 s54, 0x2801
	v_add_co_u32_e32 v50, vcc, s0, v0
	s_cselect_b32 s0, s11, 0xa00
	v_mov_b32_e32 v51, s1
	s_ashr_i32 s1, s0, 31
	s_lshl_b64 s[0:1], s[0:1], 1
	v_addc_co_u32_e32 v51, vcc, v1, v51, vcc
	s_cmpk_lt_u32 s54, 0x2901
	global_load_ushort v52, v[36:37], off
	global_load_ushort v53, v[38:39], off
	global_load_ushort v54, v[40:41], off
	global_load_ushort v55, v[42:43], off
	global_load_ushort v56, v[44:45], off
	global_load_ushort v57, v[46:47], off
	global_load_ushort v58, v[48:49], off
	global_load_ushort v59, v[50:51], off
	v_add_co_u32_e32 v36, vcc, s0, v0
	s_cselect_b32 s0, s11, 0xa40
	v_mov_b32_e32 v37, s1
	s_ashr_i32 s1, s0, 31
	s_lshl_b64 s[0:1], s[0:1], 1
	v_addc_co_u32_e32 v37, vcc, v1, v37, vcc
	s_cmpk_lt_u32 s54, 0x2a01
	v_add_co_u32_e32 v38, vcc, s0, v0
	s_cselect_b32 s0, s11, 0xa80
	v_mov_b32_e32 v39, s1
	s_ashr_i32 s1, s0, 31
	s_lshl_b64 s[0:1], s[0:1], 1
	v_addc_co_u32_e32 v39, vcc, v1, v39, vcc
	s_cmpk_lt_u32 s54, 0x2b01
	v_add_co_u32_e32 v40, vcc, s0, v0
	s_cselect_b32 s0, s11, 0xac0
	v_mov_b32_e32 v41, s1
	s_ashr_i32 s1, s0, 31
	s_lshl_b64 s[0:1], s[0:1], 1
	v_addc_co_u32_e32 v41, vcc, v1, v41, vcc
	s_cmpk_lt_u32 s54, 0x2c01
	v_add_co_u32_e32 v42, vcc, s0, v0
	s_cselect_b32 s0, s11, 0xb00
	v_mov_b32_e32 v43, s1
	s_ashr_i32 s1, s0, 31
	s_lshl_b64 s[0:1], s[0:1], 1
	v_addc_co_u32_e32 v43, vcc, v1, v43, vcc
	s_cmpk_lt_u32 s54, 0x2d01
	v_add_co_u32_e32 v44, vcc, s0, v0
	s_cselect_b32 s0, s11, 0xb40
	v_mov_b32_e32 v45, s1
	s_ashr_i32 s1, s0, 31
	s_lshl_b64 s[0:1], s[0:1], 1
	v_addc_co_u32_e32 v45, vcc, v1, v45, vcc
	s_cmpk_lt_u32 s54, 0x2e01
	v_add_co_u32_e32 v46, vcc, s0, v0
	s_cselect_b32 s0, s11, 0xb80
	v_mov_b32_e32 v47, s1
	s_ashr_i32 s1, s0, 31
	s_lshl_b64 s[0:1], s[0:1], 1
	v_addc_co_u32_e32 v47, vcc, v1, v47, vcc
	s_cmpk_lt_u32 s54, 0x2f01
	v_add_co_u32_e32 v48, vcc, s0, v0
	s_cselect_b32 s0, s11, 0xbc0
	v_mov_b32_e32 v49, s1
	s_ashr_i32 s1, s0, 31
	s_lshl_b64 s[0:1], s[0:1], 1
	v_addc_co_u32_e32 v49, vcc, v1, v49, vcc
	s_cmpk_lt_u32 s54, 0x3001
	v_add_co_u32_e32 v50, vcc, s0, v0
	s_cselect_b32 s0, s11, 0xc00
	v_mov_b32_e32 v51, s1
	s_ashr_i32 s1, s0, 31
	s_lshl_b64 s[0:1], s[0:1], 1
	v_addc_co_u32_e32 v51, vcc, v1, v51, vcc
	s_cmpk_lt_u32 s54, 0x3101
	global_load_ushort v68, v[36:37], off
	global_load_ushort v69, v[38:39], off
	global_load_ushort v70, v[40:41], off
	global_load_ushort v71, v[42:43], off
	global_load_ushort v72, v[44:45], off
	global_load_ushort v73, v[46:47], off
	global_load_ushort v74, v[48:49], off
	global_load_ushort v75, v[50:51], off
	v_add_co_u32_e32 v36, vcc, s0, v0
	s_cselect_b32 s0, s11, 0xc40
	v_mov_b32_e32 v37, s1
	s_ashr_i32 s1, s0, 31
	;; [unrolled: 64-line block ×3, first 2 shown]
	s_lshl_b64 s[0:1], s[0:1], 1
	v_addc_co_u32_e32 v37, vcc, v1, v37, vcc
	s_cmpk_lt_u32 s54, 0x3a01
	v_add_co_u32_e32 v38, vcc, s0, v0
	s_cselect_b32 s0, s11, 0xe80
	v_mov_b32_e32 v39, s1
	s_ashr_i32 s1, s0, 31
	s_lshl_b64 s[0:1], s[0:1], 1
	v_addc_co_u32_e32 v39, vcc, v1, v39, vcc
	s_cmpk_lt_u32 s54, 0x3b01
	v_add_co_u32_e32 v40, vcc, s0, v0
	s_cselect_b32 s0, s11, 0xec0
	v_mov_b32_e32 v41, s1
	s_ashr_i32 s1, s0, 31
	;; [unrolled: 7-line block ×6, first 2 shown]
	v_addc_co_u32_e32 v49, vcc, v1, v49, vcc
	s_lshl_b64 s[0:1], s[0:1], 1
	v_mov_b32_e32 v51, s1
	v_add_co_u32_e32 v50, vcc, s0, v0
	v_addc_co_u32_e32 v51, vcc, v1, v51, vcc
	global_load_ushort v84, v[36:37], off
	global_load_ushort v85, v[38:39], off
	;; [unrolled: 1-line block ×8, first 2 shown]
	s_waitcnt vmcnt(31)
	v_cvt_f32_f16_e32 v67, v52
	s_waitcnt vmcnt(30)
	v_cvt_f32_f16_e32 v66, v53
	;; [unrolled: 2-line block ×32, first 2 shown]
.LBB32_12:
	ds_read_b128 v[68:71], v3
	s_load_dwordx2 s[0:1], s[4:5], 0x0
	s_load_dwordx2 s[2:3], s[4:5], 0x38
	ds_read_b128 v[72:75], v3 offset:16
	ds_read_b128 v[76:79], v3 offset:32
	;; [unrolled: 1-line block ×3, first 2 shown]
	s_and_b64 vcc, exec, s[8:9]
	s_waitcnt vmcnt(15) lgkmcnt(0)
	v_fma_mix_f32 v4, v68, v4, 0 op_sel_hi:[0,1,0]
	s_waitcnt vmcnt(14)
	v_fma_mix_f32 v4, v69, v5, v4 op_sel_hi:[0,1,0]
	s_waitcnt vmcnt(13)
	;; [unrolled: 2-line block ×15, first 2 shown]
	v_fma_mix_f32 v4, v83, v19, v4 op_sel_hi:[0,1,0]
	s_cbranch_vccz .LBB32_15
; %bb.13:
	ds_read_b128 v[6:9], v3 offset:64
	ds_read_b128 v[10:13], v3 offset:80
	;; [unrolled: 1-line block ×4, first 2 shown]
	s_cmpk_lt_u32 s54, 0x2001
	s_waitcnt lgkmcnt(3)
	v_fma_mix_f32 v3, v6, v27, v4 op_sel_hi:[0,1,0]
	v_fma_mix_f32 v3, v7, v26, v3 op_sel_hi:[0,1,0]
	v_fma_mix_f32 v3, v8, v25, v3 op_sel_hi:[0,1,0]
	v_fma_mix_f32 v3, v9, v24, v3 op_sel_hi:[0,1,0]
	s_waitcnt lgkmcnt(2)
	v_fma_mix_f32 v3, v10, v23, v3 op_sel_hi:[0,1,0]
	v_fma_mix_f32 v3, v11, v22, v3 op_sel_hi:[0,1,0]
	v_fma_mix_f32 v3, v12, v20, v3 op_sel_hi:[0,1,0]
	v_fma_mix_f32 v3, v13, v21, v3 op_sel_hi:[0,1,0]
	s_waitcnt lgkmcnt(1)
	v_fma_mix_f32 v3, v14, v35, v3 op_sel_hi:[0,1,0]
	v_fma_mix_f32 v3, v15, v34, v3 op_sel_hi:[0,1,0]
	v_fma_mix_f32 v3, v16, v33, v3 op_sel_hi:[0,1,0]
	v_fma_mix_f32 v3, v17, v32, v3 op_sel_hi:[0,1,0]
	s_waitcnt lgkmcnt(0)
	v_fma_mix_f32 v3, v68, v31, v3 op_sel_hi:[0,1,0]
	v_fma_mix_f32 v3, v69, v30, v3 op_sel_hi:[0,1,0]
	v_fma_mix_f32 v3, v70, v29, v3 op_sel_hi:[0,1,0]
	v_fma_mix_f32 v4, v71, v28, v3 op_sel_hi:[0,1,0]
	s_cbranch_scc1 .LBB32_15
; %bb.14:
	v_mov_b32_e32 v3, 0
	ds_read_b128 v[6:9], v3 offset:128
	ds_read_b128 v[10:13], v3 offset:144
	;; [unrolled: 1-line block ×4, first 2 shown]
	s_waitcnt lgkmcnt(3)
	v_fmac_f32_e32 v4, v6, v67
	v_fmac_f32_e32 v4, v7, v66
	v_fmac_f32_e32 v4, v8, v65
	v_fmac_f32_e32 v4, v9, v64
	s_waitcnt lgkmcnt(2)
	v_fmac_f32_e32 v4, v10, v63
	v_fmac_f32_e32 v4, v11, v62
	v_fmac_f32_e32 v4, v12, v61
	v_fmac_f32_e32 v4, v13, v60
	;; [unrolled: 5-line block ×3, first 2 shown]
	ds_read_b128 v[6:9], v3 offset:192
	ds_read_b128 v[10:13], v3 offset:208
	s_waitcnt lgkmcnt(2)
	v_fmac_f32_e32 v4, v18, v55
	v_fmac_f32_e32 v4, v19, v54
	;; [unrolled: 1-line block ×4, first 2 shown]
	s_waitcnt lgkmcnt(1)
	v_fmac_f32_e32 v4, v6, v51
	v_fmac_f32_e32 v4, v7, v50
	v_fmac_f32_e32 v4, v8, v49
	v_fmac_f32_e32 v4, v9, v48
	ds_read_b128 v[6:9], v3 offset:224
	s_waitcnt lgkmcnt(1)
	v_fmac_f32_e32 v4, v10, v47
	v_fmac_f32_e32 v4, v11, v46
	v_fmac_f32_e32 v4, v12, v45
	v_fmac_f32_e32 v4, v13, v44
	ds_read_b128 v[10:13], v3 offset:240
	s_waitcnt lgkmcnt(1)
	v_fmac_f32_e32 v4, v6, v43
	v_fmac_f32_e32 v4, v7, v42
	v_fmac_f32_e32 v4, v8, v41
	v_fmac_f32_e32 v4, v9, v40
	s_waitcnt lgkmcnt(0)
	v_fmac_f32_e32 v4, v10, v39
	v_fmac_f32_e32 v4, v11, v38
	;; [unrolled: 1-line block ×4, first 2 shown]
.LBB32_15:
	s_movk_i32 s4, 0x1fc0
	s_movk_i32 s5, 0x100
	s_mov_b32 s8, 64
	s_branch .LBB32_17
.LBB32_16:                              ;   in Loop: Header=BB32_17 Depth=1
	s_addk_i32 s4, 0x1000
	s_addk_i32 s5, 0x100
	s_add_i32 s8, s8, 64
	s_cmpk_eq_u32 s4, 0xdfc0
	s_cbranch_scc1 .LBB32_19
.LBB32_17:                              ; =>This Inner Loop Header: Depth=1
	s_cmp_le_i32 s33, s8
	s_cbranch_scc1 .LBB32_16
; %bb.18:                               ;   in Loop: Header=BB32_17 Depth=1
	s_add_i32 s9, s4, 0xfffff040
	s_cmp_lt_i32 s9, s10
	s_cselect_b32 s12, s9, s11
	s_ashr_i32 s13, s12, 31
	s_lshl_b64 s[12:13], s[12:13], 1
	s_add_i32 s9, s4, 0xfffff080
	s_cmp_lt_i32 s9, s10
	v_add_co_u32_e32 v12, vcc, s12, v0
	s_cselect_b32 s12, s9, s11
	v_mov_b32_e32 v3, s13
	s_ashr_i32 s13, s12, 31
	s_lshl_b64 s[12:13], s[12:13], 1
	s_add_i32 s9, s4, 0xfffff0c0
	v_addc_co_u32_e32 v13, vcc, v1, v3, vcc
	s_cmp_lt_i32 s9, s10
	v_add_co_u32_e32 v14, vcc, s12, v0
	s_cselect_b32 s12, s9, s11
	v_mov_b32_e32 v3, s13
	s_ashr_i32 s13, s12, 31
	s_lshl_b64 s[12:13], s[12:13], 1
	s_add_i32 s9, s4, 0xfffff100
	v_addc_co_u32_e32 v15, vcc, v1, v3, vcc
	;; [unrolled: 8-line block ×8, first 2 shown]
	s_cmp_lt_i32 s9, s10
	global_load_ushort v3, v[12:13], off
	global_load_ushort v5, v[14:15], off
	;; [unrolled: 1-line block ×8, first 2 shown]
	v_add_co_u32_e32 v20, vcc, s12, v0
	s_cselect_b32 s12, s9, s11
	v_mov_b32_e32 v12, s13
	s_ashr_i32 s13, s12, 31
	s_lshl_b64 s[12:13], s[12:13], 1
	s_add_i32 s9, s4, 0xfffff2c0
	v_addc_co_u32_e32 v21, vcc, v1, v12, vcc
	s_cmp_lt_i32 s9, s10
	v_add_co_u32_e32 v22, vcc, s12, v0
	s_cselect_b32 s12, s9, s11
	v_mov_b32_e32 v12, s13
	s_ashr_i32 s13, s12, 31
	s_lshl_b64 s[12:13], s[12:13], 1
	s_add_i32 s9, s4, 0xfffff300
	v_addc_co_u32_e32 v23, vcc, v1, v12, vcc
	s_cmp_lt_i32 s9, s10
	;; [unrolled: 8-line block ×8, first 2 shown]
	global_load_ushort v15, v[20:21], off
	global_load_ushort v16, v[22:23], off
	;; [unrolled: 1-line block ×8, first 2 shown]
	v_add_co_u32_e32 v28, vcc, s12, v0
	s_cselect_b32 s12, s9, s11
	v_mov_b32_e32 v20, s13
	s_ashr_i32 s13, s12, 31
	s_lshl_b64 s[12:13], s[12:13], 1
	s_add_i32 s9, s4, 0xfffff4c0
	v_addc_co_u32_e32 v29, vcc, v1, v20, vcc
	s_cmp_lt_i32 s9, s10
	v_add_co_u32_e32 v30, vcc, s12, v0
	s_cselect_b32 s12, s9, s11
	v_mov_b32_e32 v20, s13
	s_ashr_i32 s13, s12, 31
	s_lshl_b64 s[12:13], s[12:13], 1
	s_add_i32 s9, s4, 0xfffff500
	v_addc_co_u32_e32 v31, vcc, v1, v20, vcc
	s_cmp_lt_i32 s9, s10
	;; [unrolled: 8-line block ×8, first 2 shown]
	global_load_ushort v23, v[28:29], off
	global_load_ushort v24, v[30:31], off
	;; [unrolled: 1-line block ×8, first 2 shown]
	v_add_co_u32_e32 v36, vcc, s12, v0
	s_cselect_b32 s12, s9, s11
	v_mov_b32_e32 v28, s13
	s_ashr_i32 s13, s12, 31
	s_lshl_b64 s[12:13], s[12:13], 1
	s_add_i32 s9, s4, 0xfffff6c0
	v_addc_co_u32_e32 v37, vcc, v1, v28, vcc
	s_cmp_lt_i32 s9, s10
	v_add_co_u32_e32 v38, vcc, s12, v0
	s_cselect_b32 s12, s9, s11
	v_mov_b32_e32 v28, s13
	s_ashr_i32 s13, s12, 31
	s_lshl_b64 s[12:13], s[12:13], 1
	s_add_i32 s9, s4, 0xfffff700
	v_addc_co_u32_e32 v39, vcc, v1, v28, vcc
	s_cmp_lt_i32 s9, s10
	;; [unrolled: 8-line block ×8, first 2 shown]
	global_load_ushort v31, v[36:37], off
	global_load_ushort v32, v[38:39], off
	;; [unrolled: 1-line block ×8, first 2 shown]
	v_add_co_u32_e32 v36, vcc, s12, v0
	s_cselect_b32 s12, s9, s11
	v_mov_b32_e32 v37, s13
	s_ashr_i32 s13, s12, 31
	s_lshl_b64 s[12:13], s[12:13], 1
	s_add_i32 s9, s4, 0xfffff8c0
	v_addc_co_u32_e32 v37, vcc, v1, v37, vcc
	s_cmp_lt_i32 s9, s10
	v_add_co_u32_e32 v38, vcc, s12, v0
	s_cselect_b32 s12, s9, s11
	v_mov_b32_e32 v39, s13
	s_ashr_i32 s13, s12, 31
	s_lshl_b64 s[12:13], s[12:13], 1
	s_add_i32 s9, s4, 0xfffff900
	v_addc_co_u32_e32 v39, vcc, v1, v39, vcc
	s_cmp_lt_i32 s9, s10
	;; [unrolled: 8-line block ×8, first 2 shown]
	global_load_ushort v52, v[36:37], off
	global_load_ushort v53, v[38:39], off
	;; [unrolled: 1-line block ×8, first 2 shown]
	v_add_co_u32_e32 v36, vcc, s12, v0
	s_cselect_b32 s12, s9, s11
	v_mov_b32_e32 v37, s13
	s_ashr_i32 s13, s12, 31
	s_lshl_b64 s[12:13], s[12:13], 1
	s_add_i32 s9, s4, 0xfffffac0
	v_addc_co_u32_e32 v37, vcc, v1, v37, vcc
	s_cmp_lt_i32 s9, s10
	v_add_co_u32_e32 v38, vcc, s12, v0
	s_cselect_b32 s12, s9, s11
	v_mov_b32_e32 v39, s13
	s_ashr_i32 s13, s12, 31
	s_lshl_b64 s[12:13], s[12:13], 1
	s_add_i32 s9, s4, 0xfffffb00
	v_addc_co_u32_e32 v39, vcc, v1, v39, vcc
	s_cmp_lt_i32 s9, s10
	v_add_co_u32_e32 v40, vcc, s12, v0
	s_cselect_b32 s12, s9, s11
	v_mov_b32_e32 v41, s13
	s_ashr_i32 s13, s12, 31
	s_lshl_b64 s[12:13], s[12:13], 1
	s_add_i32 s9, s4, 0xfffffb40
	v_addc_co_u32_e32 v41, vcc, v1, v41, vcc
	s_cmp_lt_i32 s9, s10
	v_add_co_u32_e32 v42, vcc, s12, v0
	s_cselect_b32 s12, s9, s11
	v_mov_b32_e32 v43, s13
	s_ashr_i32 s13, s12, 31
	s_lshl_b64 s[12:13], s[12:13], 1
	s_add_i32 s9, s4, 0xfffffb80
	v_addc_co_u32_e32 v43, vcc, v1, v43, vcc
	s_cmp_lt_i32 s9, s10
	v_add_co_u32_e32 v44, vcc, s12, v0
	s_cselect_b32 s12, s9, s11
	v_mov_b32_e32 v45, s13
	s_ashr_i32 s13, s12, 31
	s_lshl_b64 s[12:13], s[12:13], 1
	s_add_i32 s9, s4, 0xfffffbc0
	v_addc_co_u32_e32 v45, vcc, v1, v45, vcc
	s_cmp_lt_i32 s9, s10
	v_add_co_u32_e32 v46, vcc, s12, v0
	s_cselect_b32 s12, s9, s11
	v_mov_b32_e32 v47, s13
	s_ashr_i32 s13, s12, 31
	s_lshl_b64 s[12:13], s[12:13], 1
	s_add_i32 s9, s4, 0xfffffc00
	v_addc_co_u32_e32 v47, vcc, v1, v47, vcc
	s_cmp_lt_i32 s9, s10
	v_add_co_u32_e32 v48, vcc, s12, v0
	s_cselect_b32 s12, s9, s11
	v_mov_b32_e32 v49, s13
	s_ashr_i32 s13, s12, 31
	s_lshl_b64 s[12:13], s[12:13], 1
	s_add_i32 s9, s4, 0xfffffc40
	v_addc_co_u32_e32 v49, vcc, v1, v49, vcc
	s_cmp_lt_i32 s9, s10
	v_add_co_u32_e32 v50, vcc, s12, v0
	s_cselect_b32 s12, s9, s11
	v_mov_b32_e32 v51, s13
	s_ashr_i32 s13, s12, 31
	s_lshl_b64 s[12:13], s[12:13], 1
	s_add_i32 s9, s4, 0xfffffc80
	v_addc_co_u32_e32 v51, vcc, v1, v51, vcc
	s_cmp_lt_i32 s9, s10
	global_load_ushort v60, v[36:37], off
	global_load_ushort v61, v[38:39], off
	;; [unrolled: 1-line block ×8, first 2 shown]
	v_add_co_u32_e32 v36, vcc, s12, v0
	s_cselect_b32 s12, s9, s11
	v_mov_b32_e32 v37, s13
	s_ashr_i32 s13, s12, 31
	s_lshl_b64 s[12:13], s[12:13], 1
	s_add_i32 s9, s4, 0xfffffcc0
	v_addc_co_u32_e32 v37, vcc, v1, v37, vcc
	s_cmp_lt_i32 s9, s10
	v_add_co_u32_e32 v38, vcc, s12, v0
	s_cselect_b32 s12, s9, s11
	v_mov_b32_e32 v39, s13
	s_ashr_i32 s13, s12, 31
	s_lshl_b64 s[12:13], s[12:13], 1
	s_add_i32 s9, s4, 0xfffffd00
	v_addc_co_u32_e32 v39, vcc, v1, v39, vcc
	s_cmp_lt_i32 s9, s10
	;; [unrolled: 8-line block ×8, first 2 shown]
	global_load_ushort v68, v[36:37], off
	global_load_ushort v69, v[38:39], off
	;; [unrolled: 1-line block ×8, first 2 shown]
	v_add_co_u32_e32 v36, vcc, s12, v0
	s_cselect_b32 s12, s9, s11
	v_mov_b32_e32 v37, s13
	s_ashr_i32 s13, s12, 31
	s_lshl_b64 s[12:13], s[12:13], 1
	s_add_i32 s9, s4, 0xfffffec0
	v_addc_co_u32_e32 v37, vcc, v1, v37, vcc
	s_cmp_lt_i32 s9, s10
	v_add_co_u32_e32 v38, vcc, s12, v0
	s_cselect_b32 s12, s9, s11
	v_mov_b32_e32 v39, s13
	s_ashr_i32 s13, s12, 31
	s_lshl_b64 s[12:13], s[12:13], 1
	s_add_i32 s9, s4, 0xffffff00
	v_addc_co_u32_e32 v39, vcc, v1, v39, vcc
	s_cmp_lt_i32 s9, s10
	;; [unrolled: 8-line block ×4, first 2 shown]
	v_add_co_u32_e32 v44, vcc, s12, v0
	s_cselect_b32 s12, s9, s11
	v_mov_b32_e32 v45, s13
	s_ashr_i32 s13, s12, 31
	s_lshl_b64 s[12:13], s[12:13], 1
	s_sub_i32 s9, s4, 64
	v_addc_co_u32_e32 v45, vcc, v1, v45, vcc
	s_cmp_lt_i32 s9, s10
	v_add_co_u32_e32 v46, vcc, s12, v0
	s_cselect_b32 s12, s9, s11
	v_mov_b32_e32 v47, s13
	s_ashr_i32 s13, s12, 31
	s_lshl_b64 s[12:13], s[12:13], 1
	v_addc_co_u32_e32 v47, vcc, v1, v47, vcc
	s_cmp_lt_i32 s4, s10
	v_add_co_u32_e32 v48, vcc, s12, v0
	s_cselect_b32 s12, s4, s11
	v_mov_b32_e32 v49, s13
	s_ashr_i32 s13, s12, 31
	v_addc_co_u32_e32 v49, vcc, v1, v49, vcc
	s_lshl_b64 s[12:13], s[12:13], 1
	v_mov_b32_e32 v51, s13
	v_add_co_u32_e32 v50, vcc, s12, v0
	v_addc_co_u32_e32 v51, vcc, v1, v51, vcc
	global_load_ushort v76, v[36:37], off
	global_load_ushort v77, v[38:39], off
	;; [unrolled: 1-line block ×8, first 2 shown]
	v_mov_b32_e32 v84, s5
	ds_read_b128 v[36:39], v84
	ds_read_b128 v[40:43], v84 offset:16
	ds_read_b128 v[44:47], v84 offset:32
	ds_read_b128 v[48:51], v84 offset:48
	s_waitcnt vmcnt(62) lgkmcnt(3)
	v_fma_mix_f32 v3, v36, v3, v4 op_sel_hi:[0,1,0]
	v_fma_mix_f32 v3, v37, v5, v3 op_sel_hi:[0,1,0]
	s_waitcnt vmcnt(61)
	v_fma_mix_f32 v3, v38, v6, v3 op_sel_hi:[0,1,0]
	s_waitcnt vmcnt(60)
	v_fma_mix_f32 v3, v39, v7, v3 op_sel_hi:[0,1,0]
	s_waitcnt vmcnt(59) lgkmcnt(2)
	v_fma_mix_f32 v3, v40, v8, v3 op_sel_hi:[0,1,0]
	s_waitcnt vmcnt(58)
	v_fma_mix_f32 v3, v41, v9, v3 op_sel_hi:[0,1,0]
	s_waitcnt vmcnt(57)
	;; [unrolled: 2-line block ×3, first 2 shown]
	v_fma_mix_f32 v3, v43, v11, v3 op_sel_hi:[0,1,0]
	s_waitcnt vmcnt(55) lgkmcnt(1)
	v_fma_mix_f32 v3, v44, v15, v3 op_sel_hi:[0,1,0]
	s_waitcnt vmcnt(54)
	v_fma_mix_f32 v3, v45, v16, v3 op_sel_hi:[0,1,0]
	s_waitcnt vmcnt(53)
	;; [unrolled: 2-line block ×3, first 2 shown]
	v_fma_mix_f32 v3, v47, v18, v3 op_sel_hi:[0,1,0]
	ds_read_b128 v[4:7], v84 offset:64
	ds_read_b128 v[8:11], v84 offset:80
	s_waitcnt vmcnt(51) lgkmcnt(2)
	v_fma_mix_f32 v3, v48, v19, v3 op_sel_hi:[0,1,0]
	s_waitcnt vmcnt(50)
	v_fma_mix_f32 v3, v49, v12, v3 op_sel_hi:[0,1,0]
	s_waitcnt vmcnt(49)
	;; [unrolled: 2-line block ×3, first 2 shown]
	v_fma_mix_f32 v3, v51, v14, v3 op_sel_hi:[0,1,0]
	s_waitcnt vmcnt(47) lgkmcnt(1)
	v_fma_mix_f32 v3, v4, v23, v3 op_sel_hi:[0,1,0]
	s_waitcnt vmcnt(46)
	v_fma_mix_f32 v3, v5, v24, v3 op_sel_hi:[0,1,0]
	s_waitcnt vmcnt(45)
	v_fma_mix_f32 v3, v6, v25, v3 op_sel_hi:[0,1,0]
	s_waitcnt vmcnt(44)
	v_fma_mix_f32 v3, v7, v26, v3 op_sel_hi:[0,1,0]
	ds_read_b128 v[4:7], v84 offset:96
	s_waitcnt vmcnt(43) lgkmcnt(1)
	v_fma_mix_f32 v3, v8, v27, v3 op_sel_hi:[0,1,0]
	s_waitcnt vmcnt(42)
	v_fma_mix_f32 v3, v9, v20, v3 op_sel_hi:[0,1,0]
	s_waitcnt vmcnt(41)
	v_fma_mix_f32 v3, v10, v21, v3 op_sel_hi:[0,1,0]
	s_waitcnt vmcnt(40)
	v_fma_mix_f32 v3, v11, v22, v3 op_sel_hi:[0,1,0]
	ds_read_b128 v[8:11], v84 offset:112
	;; [unrolled: 9-line block ×10, first 2 shown]
	s_waitcnt vmcnt(7) lgkmcnt(1)
	v_fma_mix_f32 v3, v4, v76, v3 op_sel_hi:[0,1,0]
	s_waitcnt vmcnt(6)
	v_fma_mix_f32 v3, v5, v77, v3 op_sel_hi:[0,1,0]
	s_waitcnt vmcnt(5)
	;; [unrolled: 2-line block ×3, first 2 shown]
	v_fma_mix_f32 v3, v7, v79, v3 op_sel_hi:[0,1,0]
	s_waitcnt vmcnt(3) lgkmcnt(0)
	v_fma_mix_f32 v3, v8, v80, v3 op_sel_hi:[0,1,0]
	s_waitcnt vmcnt(2)
	v_fma_mix_f32 v3, v9, v81, v3 op_sel_hi:[0,1,0]
	s_waitcnt vmcnt(1)
	;; [unrolled: 2-line block ×3, first 2 shown]
	v_fma_mix_f32 v4, v11, v83, v3 op_sel_hi:[0,1,0]
	s_branch .LBB32_16
.LBB32_19:
	v_mov_b32_e32 v0, 0
	ds_read_b32 v1, v0 offset:3328
	s_cmp_lg_u64 s[2:3], 0
	s_cbranch_scc0 .LBB32_24
; %bb.20:
	s_load_dword s4, s[2:3], 0x0
	s_waitcnt lgkmcnt(0)
	v_div_scale_f32 v0, s[2:3], s4, s4, 1.0
	v_rcp_f32_e32 v3, v0
	v_div_scale_f32 v5, vcc, 1.0, s4, 1.0
	v_fma_f32 v6, -v0, v3, 1.0
	v_fmac_f32_e32 v3, v6, v3
	v_mul_f32_e32 v6, v5, v3
	v_fma_f32 v7, -v0, v6, v5
	v_fmac_f32_e32 v6, v7, v3
	v_fma_f32 v0, -v0, v6, v5
	v_div_fmas_f32 v0, v0, v3, v6
	v_div_fixup_f32 v0, v0, s4, 1.0
	s_andn2_b64 vcc, exec, s[44:45]
	s_cbranch_vccnz .LBB32_22
.LBB32_21:
	s_add_u32 s2, s34, s46
	s_addc_u32 s3, s35, s47
	s_load_dword s30, s[2:3], 0x0
	s_mov_b32 s31, 0
.LBB32_22:
	s_waitcnt lgkmcnt(0)
	v_add_f32_e32 v1, 0x358637bd, v1
	v_div_scale_f32 v3, s[2:3], v1, v1, 1.0
	v_rcp_f32_e32 v5, v3
	v_div_scale_f32 v6, vcc, 1.0, v1, 1.0
	s_mul_i32 s2, s7, s31
	v_fma_f32 v7, -v3, v5, 1.0
	v_fmac_f32_e32 v5, v7, v5
	v_mul_f32_e32 v7, v6, v5
	v_fma_f32 v8, -v3, v7, v6
	s_mul_hi_u32 s3, s7, s30
	v_fmac_f32_e32 v7, v8, v5
	s_add_i32 s3, s3, s2
	s_mul_i32 s2, s7, s30
	v_fma_f32 v3, -v3, v7, v6
	s_lshl_b64 s[2:3], s[2:3], 7
	v_div_fmas_f32 v3, v3, v5, v7
	s_add_u32 s2, s0, s2
	s_mov_b32 s7, 0
	v_div_fixup_f32 v1, v3, v1, 1.0
	s_addc_u32 s3, s1, s3
	s_lshl_b64 s[0:1], s[6:7], 7
	v_mul_f32_e32 v1, v4, v1
	s_add_u32 s0, s2, s0
	s_addc_u32 s1, s3, s1
	v_fma_mixlo_f16 v0, v1, v0, 0
	global_store_short v2, v0, s[0:1]
	s_endpgm
.LBB32_23:
	s_mov_b64 s[2:3], 0
	s_branch .LBB32_2
.LBB32_24:
	v_mov_b32_e32 v0, 1.0
	s_andn2_b64 vcc, exec, s[44:45]
	s_cbranch_vccz .LBB32_21
	s_branch .LBB32_22
	.section	.rodata,"a",@progbits
	.p2align	6, 0x0
	.amdhsa_kernel _Z35paged_attention_ll4mi_reduce_kernelIDF16_DF16_Li64ELi64ELi256ELi13EEvPT0_PKfS3_PKT_PKiS8_iS3_
		.amdhsa_group_segment_fixed_size 3332
		.amdhsa_private_segment_fixed_size 0
		.amdhsa_kernarg_size 320
		.amdhsa_user_sgpr_count 6
		.amdhsa_user_sgpr_private_segment_buffer 1
		.amdhsa_user_sgpr_dispatch_ptr 0
		.amdhsa_user_sgpr_queue_ptr 0
		.amdhsa_user_sgpr_kernarg_segment_ptr 1
		.amdhsa_user_sgpr_dispatch_id 0
		.amdhsa_user_sgpr_flat_scratch_init 0
		.amdhsa_user_sgpr_kernarg_preload_length 0
		.amdhsa_user_sgpr_kernarg_preload_offset 0
		.amdhsa_user_sgpr_private_segment_size 0
		.amdhsa_uses_dynamic_stack 0
		.amdhsa_system_sgpr_private_segment_wavefront_offset 0
		.amdhsa_system_sgpr_workgroup_id_x 1
		.amdhsa_system_sgpr_workgroup_id_y 1
		.amdhsa_system_sgpr_workgroup_id_z 0
		.amdhsa_system_sgpr_workgroup_info 0
		.amdhsa_system_vgpr_workitem_id 0
		.amdhsa_next_free_vgpr 92
		.amdhsa_next_free_sgpr 55
		.amdhsa_accum_offset 92
		.amdhsa_reserve_vcc 1
		.amdhsa_reserve_flat_scratch 0
		.amdhsa_float_round_mode_32 0
		.amdhsa_float_round_mode_16_64 0
		.amdhsa_float_denorm_mode_32 3
		.amdhsa_float_denorm_mode_16_64 3
		.amdhsa_dx10_clamp 1
		.amdhsa_ieee_mode 1
		.amdhsa_fp16_overflow 0
		.amdhsa_tg_split 0
		.amdhsa_exception_fp_ieee_invalid_op 0
		.amdhsa_exception_fp_denorm_src 0
		.amdhsa_exception_fp_ieee_div_zero 0
		.amdhsa_exception_fp_ieee_overflow 0
		.amdhsa_exception_fp_ieee_underflow 0
		.amdhsa_exception_fp_ieee_inexact 0
		.amdhsa_exception_int_div_zero 0
	.end_amdhsa_kernel
	.section	.text._Z35paged_attention_ll4mi_reduce_kernelIDF16_DF16_Li64ELi64ELi256ELi13EEvPT0_PKfS3_PKT_PKiS8_iS3_,"axG",@progbits,_Z35paged_attention_ll4mi_reduce_kernelIDF16_DF16_Li64ELi64ELi256ELi13EEvPT0_PKfS3_PKT_PKiS8_iS3_,comdat
.Lfunc_end32:
	.size	_Z35paged_attention_ll4mi_reduce_kernelIDF16_DF16_Li64ELi64ELi256ELi13EEvPT0_PKfS3_PKT_PKiS8_iS3_, .Lfunc_end32-_Z35paged_attention_ll4mi_reduce_kernelIDF16_DF16_Li64ELi64ELi256ELi13EEvPT0_PKfS3_PKT_PKiS8_iS3_
                                        ; -- End function
	.section	.AMDGPU.csdata,"",@progbits
; Kernel info:
; codeLenInByte = 11356
; NumSgprs: 59
; NumVgprs: 92
; NumAgprs: 0
; TotalNumVgprs: 92
; ScratchSize: 0
; MemoryBound: 0
; FloatMode: 240
; IeeeMode: 1
; LDSByteSize: 3332 bytes/workgroup (compile time only)
; SGPRBlocks: 7
; VGPRBlocks: 11
; NumSGPRsForWavesPerEU: 59
; NumVGPRsForWavesPerEU: 92
; AccumOffset: 92
; Occupancy: 5
; WaveLimiterHint : 1
; COMPUTE_PGM_RSRC2:SCRATCH_EN: 0
; COMPUTE_PGM_RSRC2:USER_SGPR: 6
; COMPUTE_PGM_RSRC2:TRAP_HANDLER: 0
; COMPUTE_PGM_RSRC2:TGID_X_EN: 1
; COMPUTE_PGM_RSRC2:TGID_Y_EN: 1
; COMPUTE_PGM_RSRC2:TGID_Z_EN: 0
; COMPUTE_PGM_RSRC2:TIDIG_COMP_CNT: 0
; COMPUTE_PGM_RSRC3_GFX90A:ACCUM_OFFSET: 22
; COMPUTE_PGM_RSRC3_GFX90A:TG_SPLIT: 0
	.section	.text._Z35paged_attention_ll4mi_reduce_kernelIDF16_DF16_Li64ELi64ELi256ELi14EEvPT0_PKfS3_PKT_PKiS8_iS3_,"axG",@progbits,_Z35paged_attention_ll4mi_reduce_kernelIDF16_DF16_Li64ELi64ELi256ELi14EEvPT0_PKfS3_PKT_PKiS8_iS3_,comdat
	.protected	_Z35paged_attention_ll4mi_reduce_kernelIDF16_DF16_Li64ELi64ELi256ELi14EEvPT0_PKfS3_PKT_PKiS8_iS3_ ; -- Begin function _Z35paged_attention_ll4mi_reduce_kernelIDF16_DF16_Li64ELi64ELi256ELi14EEvPT0_PKfS3_PKT_PKiS8_iS3_
	.globl	_Z35paged_attention_ll4mi_reduce_kernelIDF16_DF16_Li64ELi64ELi256ELi14EEvPT0_PKfS3_PKT_PKiS8_iS3_
	.p2align	8
	.type	_Z35paged_attention_ll4mi_reduce_kernelIDF16_DF16_Li64ELi64ELi256ELi14EEvPT0_PKfS3_PKT_PKiS8_iS3_,@function
_Z35paged_attention_ll4mi_reduce_kernelIDF16_DF16_Li64ELi64ELi256ELi14EEvPT0_PKfS3_PKT_PKiS8_iS3_: ; @_Z35paged_attention_ll4mi_reduce_kernelIDF16_DF16_Li64ELi64ELi256ELi14EEvPT0_PKfS3_PKT_PKiS8_iS3_
; %bb.0:
	s_load_dwordx2 s[44:45], s[4:5], 0x28
	s_mov_b32 s34, s7
	s_mov_b64 s[0:1], 0
	s_waitcnt lgkmcnt(0)
	s_cmp_lg_u64 s[44:45], 0
	s_cselect_b64 s[46:47], -1, 0
	s_and_b64 vcc, exec, s[46:47]
	s_cbranch_vccz .LBB33_23
; %bb.1:
	s_add_i32 s2, s34, 1
	s_mov_b32 s3, 0
	s_lshl_b64 s[8:9], s[2:3], 2
	s_add_u32 s8, s44, s8
	s_mov_b32 s35, s3
	s_addc_u32 s9, s45, s9
	s_lshl_b64 s[2:3], s[34:35], 2
	s_add_u32 s2, s44, s2
	s_addc_u32 s3, s45, s3
	s_load_dword s7, s[8:9], 0x0
	s_load_dword s10, s[2:3], 0x0
	s_waitcnt lgkmcnt(0)
	s_sub_i32 s2, s7, s10
	s_cmp_eq_u32 s2, 1
	s_cselect_b64 s[2:3], -1, 0
	s_andn2_b64 vcc, exec, s[0:1]
	s_cbranch_vccnz .LBB33_3
.LBB33_2:
	s_mov_b32 s35, 0
	s_mov_b64 s[2:3], -1
.LBB33_3:
	s_andn2_b64 vcc, exec, s[2:3]
	s_cbranch_vccz .LBB33_5
; %bb.4:
	s_endpgm
.LBB33_5:
	s_load_dwordx4 s[36:39], s[4:5], 0x18
	s_load_dword s8, s[4:5], 0x30
	s_lshl_b64 s[48:49], s[34:35], 2
	v_cmp_lt_u32_e32 vcc, 63, v0
	s_waitcnt lgkmcnt(0)
	s_add_u32 s0, s38, s48
	s_addc_u32 s1, s39, s49
	s_load_dword s56, s[0:1], 0x0
	s_load_dword s7, s[4:5], 0x40
	s_mul_i32 s38, s6, s8
	s_mul_i32 s2, s34, s8
	s_waitcnt lgkmcnt(0)
	s_add_i32 s3, s56, 0xff
	s_ashr_i32 s0, s3, 31
	s_lshr_b32 s0, s0, 24
	s_add_i32 s3, s3, s0
	s_and_saveexec_b64 s[0:1], vcc
	s_xor_b64 s[0:1], exec, s[0:1]
	s_or_saveexec_b64 s[50:51], s[0:1]
	s_ashr_i32 s33, s3, 8
	v_mov_b32_e32 v1, s38
	s_mul_i32 s52, s2, s7
	s_xor_b64 exec, exec, s[50:51]
	s_cbranch_execz .LBB33_9
; %bb.6:
	s_add_i32 s0, s33, -1
	v_or_b32_e32 v3, 64, v0
	v_mov_b32_e32 v1, s0
	v_cmp_gt_u32_e64 s[26:27], s33, v3
	v_cndmask_b32_e64 v4, v1, v3, s[26:27]
	v_or_b32_e32 v3, 0x80, v0
	v_cmp_gt_u32_e64 s[24:25], s33, v3
	v_cndmask_b32_e64 v6, v1, v3, s[24:25]
	v_or_b32_e32 v3, 0xc0, v0
	;; [unrolled: 3-line block ×9, first 2 shown]
	s_load_dwordx4 s[40:43], s[4:5], 0x8
	v_cmp_gt_u32_e64 s[8:9], s33, v3
	v_cndmask_b32_e64 v22, v1, v3, s[8:9]
	v_or_b32_e32 v3, 0x2c0, v0
	v_cmp_gt_u32_e64 s[2:3], s33, v3
	s_mov_b32 s53, 0
	v_cndmask_b32_e64 v24, v1, v3, s[2:3]
	v_or_b32_e32 v3, 0x300, v0
	v_cmp_gt_u32_e64 s[0:1], s33, v3
	s_lshl_b64 s[54:55], s[52:53], 2
	s_mov_b32 s39, s53
	v_cmp_gt_u32_e64 s[28:29], s33, v0
	v_cndmask_b32_e64 v26, v1, v3, s[0:1]
	v_or_b32_e32 v3, 0x340, v0
	s_waitcnt lgkmcnt(0)
	s_add_u32 s30, s42, s54
	v_cndmask_b32_e64 v2, v1, v0, s[28:29]
	v_cmp_gt_u32_e32 vcc, s33, v3
	s_addc_u32 s31, s43, s55
	s_lshl_b64 s[42:43], s[38:39], 2
	v_cndmask_b32_e32 v28, v1, v3, vcc
	s_add_u32 s39, s30, s42
	v_ashrrev_i32_e32 v3, 31, v2
	s_addc_u32 s53, s31, s43
	v_lshlrev_b64 v[2:3], 2, v[2:3]
	v_mov_b32_e32 v1, s53
	v_add_co_u32_e64 v30, s[30:31], s39, v2
	v_ashrrev_i32_e32 v5, 31, v4
	v_addc_co_u32_e64 v31, s[30:31], v1, v3, s[30:31]
	v_lshlrev_b64 v[4:5], 2, v[4:5]
	v_add_co_u32_e64 v32, s[30:31], s39, v4
	v_ashrrev_i32_e32 v7, 31, v6
	v_addc_co_u32_e64 v33, s[30:31], v1, v5, s[30:31]
	v_lshlrev_b64 v[6:7], 2, v[6:7]
	;; [unrolled: 4-line block ×8, first 2 shown]
	global_load_dword v1, v[30:31], off
	global_load_dword v46, v[32:33], off
	;; [unrolled: 1-line block ×6, first 2 shown]
	s_nop 0
	global_load_dword v42, v[42:43], off
	s_nop 0
	global_load_dword v43, v[44:45], off
	v_mov_b32_e32 v21, s53
	v_add_co_u32_e64 v30, s[30:31], s39, v18
	v_addc_co_u32_e64 v31, s[30:31], v21, v19, s[30:31]
	v_ashrrev_i32_e32 v21, 31, v20
	v_lshlrev_b64 v[20:21], 2, v[20:21]
	v_mov_b32_e32 v23, s53
	v_add_co_u32_e64 v32, s[30:31], s39, v20
	v_addc_co_u32_e64 v33, s[30:31], v23, v21, s[30:31]
	v_ashrrev_i32_e32 v23, 31, v22
	v_lshlrev_b64 v[22:23], 2, v[22:23]
	;; [unrolled: 5-line block ×5, first 2 shown]
	v_mov_b32_e32 v41, s53
	v_add_co_u32_e64 v40, s[30:31], s39, v28
	v_addc_co_u32_e64 v41, s[30:31], v41, v29, s[30:31]
	global_load_dword v30, v[30:31], off
	s_nop 0
	global_load_dword v31, v[32:33], off
	s_nop 0
	global_load_dword v32, v[34:35], off
	global_load_dword v33, v[36:37], off
	s_nop 0
	global_load_dword v34, v[38:39], off
	global_load_dword v35, v[40:41], off
	s_waitcnt vmcnt(13)
	v_max_f32_e32 v37, v1, v1
	s_waitcnt vmcnt(12)
	v_max_f32_e32 v36, v46, v46
	v_max_f32_e32 v36, v37, v36
	v_mbcnt_lo_u32_b32 v37, -1, 0
	s_waitcnt vmcnt(10)
	v_max3_f32 v36, v36, v47, v48
	v_mbcnt_hi_u32_b32 v37, -1, v37
	s_waitcnt vmcnt(8)
	v_max3_f32 v36, v36, v49, v50
	v_and_b32_e32 v38, 64, v37
	s_waitcnt vmcnt(6)
	v_max3_f32 v36, v36, v42, v43
	v_add_u32_e32 v38, 64, v38
	v_xor_b32_e32 v39, 32, v37
	v_cmp_lt_i32_e64 s[30:31], v39, v38
	v_cndmask_b32_e64 v39, v37, v39, s[30:31]
	v_lshlrev_b32_e32 v39, 2, v39
	s_waitcnt vmcnt(4)
	v_max3_f32 v36, v36, v30, v31
	s_waitcnt vmcnt(2)
	v_max3_f32 v36, v36, v32, v33
	;; [unrolled: 2-line block ×3, first 2 shown]
	ds_bpermute_b32 v40, v39, v36
	s_waitcnt lgkmcnt(0)
	v_max_f32_e32 v40, v40, v40
	v_max_f32_e32 v36, v36, v40
	v_xor_b32_e32 v40, 16, v37
	v_cmp_lt_i32_e64 s[30:31], v40, v38
	v_cndmask_b32_e64 v40, v37, v40, s[30:31]
	v_lshlrev_b32_e32 v40, 2, v40
	ds_bpermute_b32 v41, v40, v36
	s_waitcnt lgkmcnt(0)
	v_max_f32_e32 v41, v41, v41
	v_max_f32_e32 v36, v36, v41
	v_xor_b32_e32 v41, 8, v37
	v_cmp_lt_i32_e64 s[30:31], v41, v38
	v_cndmask_b32_e64 v41, v37, v41, s[30:31]
	v_lshlrev_b32_e32 v41, 2, v41
	;; [unrolled: 8-line block ×4, first 2 shown]
	ds_bpermute_b32 v51, v45, v36
	s_waitcnt lgkmcnt(0)
	v_max_f32_e32 v51, v51, v51
	v_max_f32_e32 v36, v36, v51
	v_xor_b32_e32 v51, 1, v37
	v_cmp_lt_i32_e64 s[30:31], v51, v38
	v_cndmask_b32_e64 v37, v37, v51, s[30:31]
	s_add_u32 s30, s40, s54
	s_addc_u32 s31, s41, s55
	s_add_u32 s39, s30, s42
	s_addc_u32 s40, s31, s43
	v_mov_b32_e32 v51, s40
	v_add_co_u32_e64 v2, s[30:31], s39, v2
	v_addc_co_u32_e64 v3, s[30:31], v51, v3, s[30:31]
	global_load_dword v51, v[2:3], off
	v_mov_b32_e32 v3, s40
	v_add_co_u32_e64 v2, s[30:31], s39, v4
	v_addc_co_u32_e64 v3, s[30:31], v3, v5, s[30:31]
	v_mov_b32_e32 v5, s40
	v_add_co_u32_e64 v4, s[30:31], s39, v6
	v_addc_co_u32_e64 v5, s[30:31], v5, v7, s[30:31]
	;; [unrolled: 3-line block ×7, first 2 shown]
	global_load_dword v16, v[2:3], off
	global_load_dword v17, v[4:5], off
	;; [unrolled: 1-line block ×6, first 2 shown]
	s_nop 0
	global_load_dword v14, v[14:15], off
	v_mov_b32_e32 v3, s40
	v_add_co_u32_e64 v2, s[30:31], s39, v18
	v_lshlrev_b32_e32 v37, 2, v37
	v_addc_co_u32_e64 v3, s[30:31], v3, v19, s[30:31]
	ds_bpermute_b32 v38, v37, v36
	v_mov_b32_e32 v5, s40
	v_add_co_u32_e64 v4, s[30:31], s39, v20
	v_addc_co_u32_e64 v5, s[30:31], v5, v21, s[30:31]
	v_mov_b32_e32 v7, s40
	v_add_co_u32_e64 v6, s[30:31], s39, v22
	v_addc_co_u32_e64 v7, s[30:31], v7, v23, s[30:31]
	;; [unrolled: 3-line block ×3, first 2 shown]
	s_waitcnt lgkmcnt(0)
	v_max_f32_e32 v15, v38, v38
	v_mov_b32_e32 v11, s40
	v_add_co_u32_e64 v10, s[30:31], s39, v26
	v_max_f32_e32 v15, v36, v15
	v_addc_co_u32_e64 v11, s[30:31], v11, v27, s[30:31]
	v_sub_f32_e32 v1, v1, v15
	v_mov_b32_e32 v13, s40
	v_add_co_u32_e64 v12, s[30:31], s39, v28
	s_mov_b32 s39, 0x3fb8aa3b
	v_mul_f32_e32 v18, 0x3fb8aa3b, v1
	v_addc_co_u32_e64 v13, s[30:31], v13, v29, s[30:31]
	v_fma_f32 v19, v1, s39, -v18
	v_rndne_f32_e32 v20, v18
	global_load_dword v2, v[2:3], off
	s_nop 0
	global_load_dword v3, v[4:5], off
	s_nop 0
	global_load_dword v4, v[6:7], off
	global_load_dword v5, v[8:9], off
	s_nop 0
	global_load_dword v6, v[10:11], off
	global_load_dword v7, v[12:13], off
	v_sub_f32_e32 v10, v46, v15
	v_fmac_f32_e32 v19, 0x32a5705f, v1
	v_sub_f32_e32 v18, v18, v20
	v_mul_f32_e32 v11, 0x3fb8aa3b, v10
	v_add_f32_e32 v18, v18, v19
	v_fma_f32 v12, v10, s39, -v11
	v_rndne_f32_e32 v13, v11
	v_exp_f32_e32 v18, v18
	v_cvt_i32_f32_e32 v19, v20
	v_fmac_f32_e32 v12, 0x32a5705f, v10
	v_sub_f32_e32 v11, v11, v13
	v_add_f32_e32 v11, v11, v12
	v_exp_f32_e32 v11, v11
	v_cvt_i32_f32_e32 v12, v13
	s_mov_b32 s40, 0xc2ce8ed0
	v_ldexp_f32 v8, v18, v19
	v_cmp_ngt_f32_e64 s[30:31], s40, v1
	s_mov_b32 s41, 0x42b17218
	v_cndmask_b32_e64 v8, 0, v8, s[30:31]
	v_mov_b32_e32 v9, 0x7f800000
	v_cmp_nlt_f32_e64 s[30:31], s41, v1
	v_cndmask_b32_e64 v1, v9, v8, s[30:31]
	v_ldexp_f32 v8, v11, v12
	v_sub_f32_e32 v11, v47, v15
	v_mul_f32_e32 v12, 0x3fb8aa3b, v11
	v_fma_f32 v13, v11, s39, -v12
	v_rndne_f32_e32 v18, v12
	v_fmac_f32_e32 v13, 0x32a5705f, v11
	v_sub_f32_e32 v12, v12, v18
	v_add_f32_e32 v12, v12, v13
	v_exp_f32_e32 v12, v12
	v_cvt_i32_f32_e32 v13, v18
	v_cndmask_b32_e64 v1, 0, v1, s[28:29]
	v_cmp_ngt_f32_e64 s[28:29], s40, v10
	v_cndmask_b32_e64 v8, 0, v8, s[28:29]
	v_cmp_nlt_f32_e64 s[28:29], s41, v10
	v_cndmask_b32_e64 v8, v9, v8, s[28:29]
	v_ldexp_f32 v10, v12, v13
	v_sub_f32_e32 v12, v48, v15
	v_cndmask_b32_e64 v8, 0, v8, s[26:27]
	v_mul_f32_e32 v13, 0x3fb8aa3b, v12
	s_waitcnt vmcnt(12)
	v_mul_f32_e32 v8, v16, v8
	v_fma_f32 v16, v12, s39, -v13
	v_rndne_f32_e32 v18, v13
	v_fmac_f32_e32 v16, 0x32a5705f, v12
	v_sub_f32_e32 v13, v13, v18
	v_add_f32_e32 v13, v13, v16
	v_exp_f32_e32 v13, v13
	v_cvt_i32_f32_e32 v16, v18
	v_cmp_ngt_f32_e64 s[26:27], s40, v11
	v_cndmask_b32_e64 v10, 0, v10, s[26:27]
	v_cmp_nlt_f32_e64 s[26:27], s41, v11
	v_cndmask_b32_e64 v10, v9, v10, s[26:27]
	v_ldexp_f32 v11, v13, v16
	v_sub_f32_e32 v13, v49, v15
	v_cndmask_b32_e64 v10, 0, v10, s[24:25]
	v_mul_f32_e32 v16, 0x3fb8aa3b, v13
	s_waitcnt vmcnt(11)
	v_mul_f32_e32 v10, v17, v10
	v_fma_f32 v17, v13, s39, -v16
	v_rndne_f32_e32 v18, v16
	v_fmac_f32_e32 v17, 0x32a5705f, v13
	v_sub_f32_e32 v16, v16, v18
	v_add_f32_e32 v16, v16, v17
	v_exp_f32_e32 v16, v16
	v_cvt_i32_f32_e32 v17, v18
	v_cmp_ngt_f32_e64 s[24:25], s40, v12
	v_cndmask_b32_e64 v11, 0, v11, s[24:25]
	v_cmp_nlt_f32_e64 s[24:25], s41, v12
	v_ldexp_f32 v12, v16, v17
	v_sub_f32_e32 v16, v50, v15
	v_mul_f32_e32 v17, 0x3fb8aa3b, v16
	v_fma_f32 v18, v16, s39, -v17
	v_rndne_f32_e32 v19, v17
	v_fmac_f32_e32 v18, 0x32a5705f, v16
	v_sub_f32_e32 v17, v17, v19
	v_add_f32_e32 v17, v17, v18
	v_exp_f32_e32 v17, v17
	v_cvt_i32_f32_e32 v18, v19
	v_cndmask_b32_e64 v11, v9, v11, s[24:25]
	v_cndmask_b32_e64 v11, 0, v11, s[22:23]
	v_cmp_ngt_f32_e64 s[22:23], s40, v13
	v_cndmask_b32_e64 v12, 0, v12, s[22:23]
	v_cmp_nlt_f32_e64 s[22:23], s41, v13
	v_ldexp_f32 v13, v17, v18
	v_sub_f32_e32 v17, v42, v15
	v_mul_f32_e32 v18, 0x3fb8aa3b, v17
	v_fma_f32 v19, v17, s39, -v18
	v_rndne_f32_e32 v20, v18
	v_fmac_f32_e32 v19, 0x32a5705f, v17
	v_sub_f32_e32 v18, v18, v20
	v_add_f32_e32 v18, v18, v19
	v_exp_f32_e32 v18, v18
	v_cvt_i32_f32_e32 v19, v20
	v_cndmask_b32_e64 v12, v9, v12, s[22:23]
	v_cndmask_b32_e64 v12, 0, v12, s[20:21]
	;; [unrolled: 15-line block ×3, first 2 shown]
	v_cmp_ngt_f32_e64 s[18:19], s40, v17
	v_cndmask_b32_e64 v16, 0, v16, s[18:19]
	v_cmp_nlt_f32_e64 s[18:19], s41, v17
	v_ldexp_f32 v17, v19, v20
	v_sub_f32_e32 v19, v30, v15
	v_mul_f32_e32 v20, 0x3fb8aa3b, v19
	v_fma_f32 v21, v19, s39, -v20
	v_rndne_f32_e32 v22, v20
	v_fmac_f32_e32 v21, 0x32a5705f, v19
	v_sub_f32_e32 v20, v20, v22
	v_cndmask_b32_e64 v16, v9, v16, s[18:19]
	v_add_f32_e32 v20, v20, v21
	v_cndmask_b32_e64 v16, 0, v16, s[16:17]
	v_cmp_ngt_f32_e64 s[16:17], s40, v18
	v_exp_f32_e32 v20, v20
	v_cvt_i32_f32_e32 v21, v22
	v_cndmask_b32_e64 v17, 0, v17, s[16:17]
	v_cmp_nlt_f32_e64 s[16:17], s41, v18
	v_cndmask_b32_e64 v17, v9, v17, s[16:17]
	v_cndmask_b32_e64 v17, 0, v17, s[14:15]
	v_sub_f32_e32 v18, v31, v15
	s_waitcnt vmcnt(6)
	v_mul_f32_e32 v14, v14, v17
	v_ldexp_f32 v17, v20, v21
	v_mul_f32_e32 v20, 0x3fb8aa3b, v18
	v_fma_f32 v21, v18, s39, -v20
	v_rndne_f32_e32 v22, v20
	v_fmac_f32_e32 v21, 0x32a5705f, v18
	v_sub_f32_e32 v20, v20, v22
	v_add_f32_e32 v20, v20, v21
	v_cmp_ngt_f32_e64 s[14:15], s40, v19
	v_exp_f32_e32 v20, v20
	v_cvt_i32_f32_e32 v21, v22
	v_cndmask_b32_e64 v17, 0, v17, s[14:15]
	v_cmp_nlt_f32_e64 s[14:15], s41, v19
	v_cndmask_b32_e64 v17, v9, v17, s[14:15]
	v_cndmask_b32_e64 v17, 0, v17, s[12:13]
	v_sub_f32_e32 v19, v32, v15
	s_waitcnt vmcnt(5)
	v_mul_f32_e32 v17, v2, v17
	v_ldexp_f32 v2, v20, v21
	v_mul_f32_e32 v20, 0x3fb8aa3b, v19
	v_fma_f32 v21, v19, s39, -v20
	v_rndne_f32_e32 v22, v20
	v_fmac_f32_e32 v21, 0x32a5705f, v19
	v_sub_f32_e32 v20, v20, v22
	v_add_f32_e32 v20, v20, v21
	;; [unrolled: 17-line block ×4, first 2 shown]
	v_exp_f32_e32 v20, v20
	v_cvt_i32_f32_e32 v21, v22
	v_cmp_ngt_f32_e64 s[8:9], s40, v18
	v_sub_f32_e32 v15, v35, v15
	v_cndmask_b32_e64 v2, 0, v2, s[8:9]
	v_cmp_nlt_f32_e64 s[8:9], s41, v18
	v_ldexp_f32 v18, v20, v21
	v_mul_f32_e32 v20, 0x3fb8aa3b, v15
	v_fma_f32 v21, v15, s39, -v20
	v_rndne_f32_e32 v22, v20
	v_fmac_f32_e32 v21, 0x32a5705f, v15
	v_sub_f32_e32 v20, v20, v22
	v_add_f32_e32 v20, v20, v21
	v_cndmask_b32_e64 v2, v9, v2, s[8:9]
	v_exp_f32_e32 v20, v20
	v_cvt_i32_f32_e32 v21, v22
	v_cndmask_b32_e64 v2, 0, v2, s[2:3]
	v_cmp_ngt_f32_e64 s[2:3], s40, v19
	v_cndmask_b32_e64 v18, 0, v18, s[2:3]
	v_cmp_nlt_f32_e64 s[2:3], s41, v19
	v_cndmask_b32_e64 v18, v9, v18, s[2:3]
	v_mul_f32_e32 v1, v51, v1
	v_cndmask_b32_e64 v18, 0, v18, s[0:1]
	v_ldexp_f32 v19, v20, v21
	v_cmp_ngt_f32_e64 s[0:1], s40, v15
	v_cndmask_b32_e64 v19, 0, v19, s[0:1]
	v_cmp_nlt_f32_e64 s[0:1], s41, v15
	v_add_f32_e32 v15, v1, v8
	v_mul_f32_e32 v11, v52, v11
	v_add_f32_e32 v15, v15, v10
	v_mul_f32_e32 v12, v53, v12
	;; [unrolled: 2-line block ×4, first 2 shown]
	v_add_f32_e32 v15, v15, v13
	v_add_f32_e32 v15, v15, v16
	;; [unrolled: 1-line block ×6, first 2 shown]
	v_cndmask_b32_e64 v9, v9, v19, s[0:1]
	s_waitcnt vmcnt(2)
	v_fmac_f32_e32 v15, v5, v2
	v_cndmask_b32_e32 v9, 0, v9, vcc
	s_waitcnt vmcnt(1)
	v_fmac_f32_e32 v15, v6, v18
	s_waitcnt vmcnt(0)
	v_fmac_f32_e32 v15, v7, v9
	ds_bpermute_b32 v19, v39, v15
	v_mul_f32_e32 v5, v5, v2
	v_mul_f32_e32 v7, v7, v9
	v_lshlrev_b32_e32 v9, 2, v0
	ds_write2st64_b32 v9, v1, v8 offset1:1
	ds_write2st64_b32 v9, v10, v11 offset0:2 offset1:3
	ds_write2st64_b32 v9, v12, v13 offset0:4 offset1:5
	;; [unrolled: 1-line block ×3, first 2 shown]
	s_waitcnt lgkmcnt(4)
	v_add_f32_e32 v15, v15, v19
	ds_bpermute_b32 v19, v40, v15
	v_cmp_eq_u32_e32 vcc, 0, v0
	v_mul_f32_e32 v6, v6, v18
	ds_write2st64_b32 v9, v17, v3 offset0:8 offset1:9
	ds_write2st64_b32 v9, v4, v5 offset0:10 offset1:11
	;; [unrolled: 1-line block ×3, first 2 shown]
	s_waitcnt lgkmcnt(3)
	v_add_f32_e32 v15, v15, v19
	ds_bpermute_b32 v19, v41, v15
	s_waitcnt lgkmcnt(0)
	v_add_f32_e32 v15, v15, v19
	ds_bpermute_b32 v19, v44, v15
	;; [unrolled: 3-line block ×4, first 2 shown]
	s_and_saveexec_b64 s[0:1], vcc
	s_cbranch_execz .LBB33_8
; %bb.7:
	s_waitcnt lgkmcnt(0)
	v_add_f32_e32 v1, v1, v2
	v_mov_b32_e32 v2, 0
	ds_write_b32 v2, v1 offset:3584
.LBB33_8:
	s_or_b64 exec, exec, s[0:1]
	v_mov_b32_e32 v1, s38
.LBB33_9:
	s_or_b64 exec, exec, s[50:51]
	s_lshl_b32 s0, s52, 6
	s_mov_b32 s1, 0
	s_lshl_b64 s[0:1], s[0:1], 1
	s_add_u32 s0, s36, s0
	s_addc_u32 s1, s37, s1
	s_lshl_b32 s10, s33, 6
	s_waitcnt lgkmcnt(0)
	v_lshlrev_b32_e32 v2, 6, v1
	v_mov_b32_e32 v3, 0
	s_sub_i32 s11, s10, 64
	v_lshlrev_b64 v[4:5], 1, v[2:3]
	s_cmp_lt_i32 s56, 1
	v_mov_b32_e32 v1, s1
	v_add_co_u32_e32 v4, vcc, s0, v4
	s_cselect_b32 s0, s11, 0
	v_addc_co_u32_e32 v1, vcc, v1, v5, vcc
	v_lshlrev_b32_e32 v2, 1, v0
	s_ashr_i32 s1, s0, 31
	v_add_co_u32_e32 v0, vcc, v4, v2
	s_lshl_b64 s[0:1], s[0:1], 1
	v_addc_co_u32_e32 v1, vcc, 0, v1, vcc
	s_cmpk_lt_i32 s56, 0x101
	v_add_co_u32_e32 v12, vcc, s0, v0
	s_cselect_b32 s0, s11, 64
	v_mov_b32_e32 v4, s1
	s_ashr_i32 s1, s0, 31
	s_lshl_b64 s[0:1], s[0:1], 1
	v_addc_co_u32_e32 v13, vcc, v1, v4, vcc
	s_cmpk_lt_i32 s56, 0x201
	v_add_co_u32_e32 v14, vcc, s0, v0
	s_cselect_b32 s0, s11, 0x80
	v_mov_b32_e32 v4, s1
	s_ashr_i32 s1, s0, 31
	;; [unrolled: 7-line block ×8, first 2 shown]
	s_lshl_b64 s[0:1], s[0:1], 1
	v_addc_co_u32_e32 v27, vcc, v1, v4, vcc
	s_cmpk_lt_i32 s56, 0x901
	global_load_ushort v4, v[12:13], off
	global_load_ushort v5, v[14:15], off
	;; [unrolled: 1-line block ×8, first 2 shown]
	v_add_co_u32_e32 v20, vcc, s0, v0
	s_cselect_b32 s0, s11, 0x240
	v_mov_b32_e32 v12, s1
	s_ashr_i32 s1, s0, 31
	s_lshl_b64 s[0:1], s[0:1], 1
	v_addc_co_u32_e32 v21, vcc, v1, v12, vcc
	s_cmpk_lt_i32 s56, 0xa01
	v_add_co_u32_e32 v22, vcc, s0, v0
	s_cselect_b32 s0, s11, 0x280
	v_mov_b32_e32 v12, s1
	s_ashr_i32 s1, s0, 31
	s_lshl_b64 s[0:1], s[0:1], 1
	v_addc_co_u32_e32 v23, vcc, v1, v12, vcc
	s_cmpk_lt_i32 s56, 0xb01
	v_add_co_u32_e32 v24, vcc, s0, v0
	s_cselect_b32 s0, s11, 0x2c0
	v_mov_b32_e32 v12, s1
	s_ashr_i32 s1, s0, 31
	s_lshl_b64 s[0:1], s[0:1], 1
	v_addc_co_u32_e32 v25, vcc, v1, v12, vcc
	s_cmpk_lt_i32 s56, 0xc01
	v_add_co_u32_e32 v26, vcc, s0, v0
	s_cselect_b32 s0, s11, 0x300
	v_mov_b32_e32 v12, s1
	s_ashr_i32 s1, s0, 31
	s_lshl_b64 s[0:1], s[0:1], 1
	v_addc_co_u32_e32 v27, vcc, v1, v12, vcc
	s_cmpk_lt_i32 s56, 0xd01
	v_add_co_u32_e32 v28, vcc, s0, v0
	s_cselect_b32 s0, s11, 0x340
	v_mov_b32_e32 v12, s1
	s_ashr_i32 s1, s0, 31
	s_lshl_b64 s[0:1], s[0:1], 1
	v_addc_co_u32_e32 v29, vcc, v1, v12, vcc
	s_cmpk_lt_i32 s56, 0xe01
	v_add_co_u32_e32 v30, vcc, s0, v0
	s_cselect_b32 s0, s11, 0x380
	v_mov_b32_e32 v12, s1
	s_ashr_i32 s1, s0, 31
	s_lshl_b64 s[0:1], s[0:1], 1
	v_addc_co_u32_e32 v31, vcc, v1, v12, vcc
	s_cmpk_lt_i32 s56, 0xf01
	v_add_co_u32_e32 v32, vcc, s0, v0
	s_cselect_b32 s0, s11, 0x3c0
	v_mov_b32_e32 v12, s1
	s_ashr_i32 s1, s0, 31
	v_addc_co_u32_e32 v33, vcc, v1, v12, vcc
	s_lshl_b64 s[0:1], s[0:1], 1
	v_mov_b32_e32 v12, s1
	v_add_co_u32_e32 v34, vcc, s0, v0
	v_addc_co_u32_e32 v35, vcc, v1, v12, vcc
	global_load_ushort v12, v[20:21], off
	global_load_ushort v13, v[22:23], off
	;; [unrolled: 1-line block ×8, first 2 shown]
	s_cmpk_gt_i32 s56, 0x1000
	s_cselect_b64 s[8:9], -1, 0
	s_cmpk_lt_i32 s56, 0x1001
	v_mov_b32_e32 v36, 0
	v_mov_b32_e32 v37, 0
	;; [unrolled: 1-line block ×48, first 2 shown]
	s_waitcnt lgkmcnt(0)
	; wave barrier
	s_cbranch_scc1 .LBB33_12
; %bb.10:
	s_cmpk_lt_u32 s56, 0x1101
	s_cselect_b32 s0, s11, 0x440
	s_ashr_i32 s1, s0, 31
	s_lshl_b64 s[0:1], s[0:1], 1
	s_cmpk_lt_u32 s56, 0x1201
	v_add_co_u32_e32 v28, vcc, s0, v0
	s_cselect_b32 s0, s11, 0x480
	v_mov_b32_e32 v20, s1
	s_ashr_i32 s1, s0, 31
	s_lshl_b64 s[0:1], s[0:1], 1
	v_addc_co_u32_e32 v29, vcc, v1, v20, vcc
	s_cmpk_lt_u32 s56, 0x1301
	v_add_co_u32_e32 v30, vcc, s0, v0
	s_cselect_b32 s0, s11, 0x4c0
	v_mov_b32_e32 v20, s1
	s_ashr_i32 s1, s0, 31
	s_lshl_b64 s[0:1], s[0:1], 1
	v_addc_co_u32_e32 v31, vcc, v1, v20, vcc
	;; [unrolled: 7-line block ×7, first 2 shown]
	s_cmpk_lt_u32 s56, 0x1901
	global_load_ushort v27, v[0:1], off offset:2048
	global_load_ushort v26, v[28:29], off
	global_load_ushort v25, v[30:31], off
	;; [unrolled: 1-line block ×7, first 2 shown]
	v_add_co_u32_e32 v36, vcc, s0, v0
	s_cselect_b32 s0, s11, 0x640
	v_mov_b32_e32 v28, s1
	s_ashr_i32 s1, s0, 31
	s_lshl_b64 s[0:1], s[0:1], 1
	v_addc_co_u32_e32 v37, vcc, v1, v28, vcc
	s_cmpk_lt_u32 s56, 0x1a01
	v_add_co_u32_e32 v38, vcc, s0, v0
	s_cselect_b32 s0, s11, 0x680
	v_mov_b32_e32 v28, s1
	s_ashr_i32 s1, s0, 31
	s_lshl_b64 s[0:1], s[0:1], 1
	v_addc_co_u32_e32 v39, vcc, v1, v28, vcc
	s_cmpk_lt_u32 s56, 0x1b01
	;; [unrolled: 7-line block ×6, first 2 shown]
	v_add_co_u32_e32 v48, vcc, s0, v0
	s_cselect_b32 s0, s11, 0x7c0
	v_mov_b32_e32 v28, s1
	s_ashr_i32 s1, s0, 31
	v_addc_co_u32_e32 v49, vcc, v1, v28, vcc
	s_lshl_b64 s[0:1], s[0:1], 1
	v_mov_b32_e32 v28, s1
	v_add_co_u32_e32 v50, vcc, s0, v0
	v_addc_co_u32_e32 v51, vcc, v1, v28, vcc
	global_load_ushort v35, v[36:37], off
	global_load_ushort v34, v[38:39], off
	global_load_ushort v33, v[40:41], off
	global_load_ushort v32, v[42:43], off
	global_load_ushort v31, v[44:45], off
	global_load_ushort v30, v[46:47], off
	global_load_ushort v29, v[48:49], off
	global_load_ushort v28, v[50:51], off
	s_cmpk_lt_u32 s56, 0x2001
	v_mov_b32_e32 v67, 0
	v_mov_b32_e32 v66, 0
	;; [unrolled: 1-line block ×32, first 2 shown]
	s_cbranch_scc1 .LBB33_12
; %bb.11:
	s_cmpk_lt_u32 s56, 0x2101
	s_cselect_b32 s0, s11, 0x840
	s_ashr_i32 s1, s0, 31
	v_add_co_u32_e32 v36, vcc, 0x1000, v0
	s_lshl_b64 s[0:1], s[0:1], 1
	v_addc_co_u32_e32 v37, vcc, 0, v1, vcc
	s_cmpk_lt_u32 s56, 0x2201
	v_add_co_u32_e32 v38, vcc, s0, v0
	s_cselect_b32 s0, s11, 0x880
	v_mov_b32_e32 v39, s1
	s_ashr_i32 s1, s0, 31
	s_lshl_b64 s[0:1], s[0:1], 1
	v_addc_co_u32_e32 v39, vcc, v1, v39, vcc
	s_cmpk_lt_u32 s56, 0x2301
	v_add_co_u32_e32 v40, vcc, s0, v0
	s_cselect_b32 s0, s11, 0x8c0
	v_mov_b32_e32 v41, s1
	s_ashr_i32 s1, s0, 31
	s_lshl_b64 s[0:1], s[0:1], 1
	v_addc_co_u32_e32 v41, vcc, v1, v41, vcc
	s_cmpk_lt_u32 s56, 0x2401
	v_add_co_u32_e32 v42, vcc, s0, v0
	s_cselect_b32 s0, s11, 0x900
	v_mov_b32_e32 v43, s1
	s_ashr_i32 s1, s0, 31
	s_lshl_b64 s[0:1], s[0:1], 1
	v_addc_co_u32_e32 v43, vcc, v1, v43, vcc
	s_cmpk_lt_u32 s56, 0x2501
	v_add_co_u32_e32 v44, vcc, s0, v0
	s_cselect_b32 s0, s11, 0x940
	v_mov_b32_e32 v45, s1
	s_ashr_i32 s1, s0, 31
	s_lshl_b64 s[0:1], s[0:1], 1
	v_addc_co_u32_e32 v45, vcc, v1, v45, vcc
	s_cmpk_lt_u32 s56, 0x2601
	v_add_co_u32_e32 v46, vcc, s0, v0
	s_cselect_b32 s0, s11, 0x980
	v_mov_b32_e32 v47, s1
	s_ashr_i32 s1, s0, 31
	s_lshl_b64 s[0:1], s[0:1], 1
	v_addc_co_u32_e32 v47, vcc, v1, v47, vcc
	s_cmpk_lt_u32 s56, 0x2701
	v_add_co_u32_e32 v48, vcc, s0, v0
	s_cselect_b32 s0, s11, 0x9c0
	v_mov_b32_e32 v49, s1
	s_ashr_i32 s1, s0, 31
	s_lshl_b64 s[0:1], s[0:1], 1
	v_addc_co_u32_e32 v49, vcc, v1, v49, vcc
	s_cmpk_lt_u32 s56, 0x2801
	v_add_co_u32_e32 v50, vcc, s0, v0
	s_cselect_b32 s0, s11, 0xa00
	v_mov_b32_e32 v51, s1
	s_ashr_i32 s1, s0, 31
	s_lshl_b64 s[0:1], s[0:1], 1
	v_addc_co_u32_e32 v51, vcc, v1, v51, vcc
	s_cmpk_lt_u32 s56, 0x2901
	global_load_ushort v52, v[36:37], off
	global_load_ushort v53, v[38:39], off
	global_load_ushort v54, v[40:41], off
	global_load_ushort v55, v[42:43], off
	global_load_ushort v56, v[44:45], off
	global_load_ushort v57, v[46:47], off
	global_load_ushort v58, v[48:49], off
	global_load_ushort v59, v[50:51], off
	v_add_co_u32_e32 v36, vcc, s0, v0
	s_cselect_b32 s0, s11, 0xa40
	v_mov_b32_e32 v37, s1
	s_ashr_i32 s1, s0, 31
	s_lshl_b64 s[0:1], s[0:1], 1
	v_addc_co_u32_e32 v37, vcc, v1, v37, vcc
	s_cmpk_lt_u32 s56, 0x2a01
	v_add_co_u32_e32 v38, vcc, s0, v0
	s_cselect_b32 s0, s11, 0xa80
	v_mov_b32_e32 v39, s1
	s_ashr_i32 s1, s0, 31
	s_lshl_b64 s[0:1], s[0:1], 1
	v_addc_co_u32_e32 v39, vcc, v1, v39, vcc
	s_cmpk_lt_u32 s56, 0x2b01
	v_add_co_u32_e32 v40, vcc, s0, v0
	s_cselect_b32 s0, s11, 0xac0
	v_mov_b32_e32 v41, s1
	s_ashr_i32 s1, s0, 31
	s_lshl_b64 s[0:1], s[0:1], 1
	v_addc_co_u32_e32 v41, vcc, v1, v41, vcc
	s_cmpk_lt_u32 s56, 0x2c01
	v_add_co_u32_e32 v42, vcc, s0, v0
	s_cselect_b32 s0, s11, 0xb00
	v_mov_b32_e32 v43, s1
	s_ashr_i32 s1, s0, 31
	s_lshl_b64 s[0:1], s[0:1], 1
	v_addc_co_u32_e32 v43, vcc, v1, v43, vcc
	s_cmpk_lt_u32 s56, 0x2d01
	v_add_co_u32_e32 v44, vcc, s0, v0
	s_cselect_b32 s0, s11, 0xb40
	v_mov_b32_e32 v45, s1
	s_ashr_i32 s1, s0, 31
	s_lshl_b64 s[0:1], s[0:1], 1
	v_addc_co_u32_e32 v45, vcc, v1, v45, vcc
	s_cmpk_lt_u32 s56, 0x2e01
	v_add_co_u32_e32 v46, vcc, s0, v0
	s_cselect_b32 s0, s11, 0xb80
	v_mov_b32_e32 v47, s1
	s_ashr_i32 s1, s0, 31
	s_lshl_b64 s[0:1], s[0:1], 1
	v_addc_co_u32_e32 v47, vcc, v1, v47, vcc
	s_cmpk_lt_u32 s56, 0x2f01
	v_add_co_u32_e32 v48, vcc, s0, v0
	s_cselect_b32 s0, s11, 0xbc0
	v_mov_b32_e32 v49, s1
	s_ashr_i32 s1, s0, 31
	s_lshl_b64 s[0:1], s[0:1], 1
	v_addc_co_u32_e32 v49, vcc, v1, v49, vcc
	s_cmpk_lt_u32 s56, 0x3001
	v_add_co_u32_e32 v50, vcc, s0, v0
	s_cselect_b32 s0, s11, 0xc00
	v_mov_b32_e32 v51, s1
	s_ashr_i32 s1, s0, 31
	s_lshl_b64 s[0:1], s[0:1], 1
	v_addc_co_u32_e32 v51, vcc, v1, v51, vcc
	s_cmpk_lt_u32 s56, 0x3101
	global_load_ushort v68, v[36:37], off
	global_load_ushort v69, v[38:39], off
	global_load_ushort v70, v[40:41], off
	global_load_ushort v71, v[42:43], off
	global_load_ushort v72, v[44:45], off
	global_load_ushort v73, v[46:47], off
	global_load_ushort v74, v[48:49], off
	global_load_ushort v75, v[50:51], off
	v_add_co_u32_e32 v36, vcc, s0, v0
	s_cselect_b32 s0, s11, 0xc40
	v_mov_b32_e32 v37, s1
	s_ashr_i32 s1, s0, 31
	;; [unrolled: 64-line block ×3, first 2 shown]
	s_lshl_b64 s[0:1], s[0:1], 1
	v_addc_co_u32_e32 v37, vcc, v1, v37, vcc
	s_cmpk_lt_u32 s56, 0x3a01
	v_add_co_u32_e32 v38, vcc, s0, v0
	s_cselect_b32 s0, s11, 0xe80
	v_mov_b32_e32 v39, s1
	s_ashr_i32 s1, s0, 31
	s_lshl_b64 s[0:1], s[0:1], 1
	v_addc_co_u32_e32 v39, vcc, v1, v39, vcc
	s_cmpk_lt_u32 s56, 0x3b01
	v_add_co_u32_e32 v40, vcc, s0, v0
	s_cselect_b32 s0, s11, 0xec0
	v_mov_b32_e32 v41, s1
	s_ashr_i32 s1, s0, 31
	;; [unrolled: 7-line block ×6, first 2 shown]
	v_addc_co_u32_e32 v49, vcc, v1, v49, vcc
	s_lshl_b64 s[0:1], s[0:1], 1
	v_mov_b32_e32 v51, s1
	v_add_co_u32_e32 v50, vcc, s0, v0
	v_addc_co_u32_e32 v51, vcc, v1, v51, vcc
	global_load_ushort v84, v[36:37], off
	global_load_ushort v85, v[38:39], off
	global_load_ushort v86, v[40:41], off
	global_load_ushort v87, v[42:43], off
	global_load_ushort v88, v[44:45], off
	global_load_ushort v89, v[46:47], off
	global_load_ushort v90, v[48:49], off
	global_load_ushort v91, v[50:51], off
	s_waitcnt vmcnt(31)
	v_cvt_f32_f16_e32 v67, v52
	s_waitcnt vmcnt(30)
	v_cvt_f32_f16_e32 v66, v53
	;; [unrolled: 2-line block ×32, first 2 shown]
.LBB33_12:
	ds_read_b128 v[68:71], v3
	s_load_dwordx2 s[0:1], s[4:5], 0x0
	s_load_dwordx2 s[2:3], s[4:5], 0x38
	ds_read_b128 v[72:75], v3 offset:16
	ds_read_b128 v[76:79], v3 offset:32
	;; [unrolled: 1-line block ×3, first 2 shown]
	s_and_b64 vcc, exec, s[8:9]
	s_waitcnt vmcnt(15) lgkmcnt(0)
	v_fma_mix_f32 v4, v68, v4, 0 op_sel_hi:[0,1,0]
	s_waitcnt vmcnt(14)
	v_fma_mix_f32 v4, v69, v5, v4 op_sel_hi:[0,1,0]
	s_waitcnt vmcnt(13)
	;; [unrolled: 2-line block ×15, first 2 shown]
	v_fma_mix_f32 v4, v83, v19, v4 op_sel_hi:[0,1,0]
	s_cbranch_vccz .LBB33_15
; %bb.13:
	ds_read_b128 v[6:9], v3 offset:64
	ds_read_b128 v[10:13], v3 offset:80
	;; [unrolled: 1-line block ×4, first 2 shown]
	s_cmpk_lt_u32 s56, 0x2001
	s_waitcnt lgkmcnt(3)
	v_fma_mix_f32 v3, v6, v27, v4 op_sel_hi:[0,1,0]
	v_fma_mix_f32 v3, v7, v26, v3 op_sel_hi:[0,1,0]
	v_fma_mix_f32 v3, v8, v25, v3 op_sel_hi:[0,1,0]
	v_fma_mix_f32 v3, v9, v24, v3 op_sel_hi:[0,1,0]
	s_waitcnt lgkmcnt(2)
	v_fma_mix_f32 v3, v10, v23, v3 op_sel_hi:[0,1,0]
	v_fma_mix_f32 v3, v11, v22, v3 op_sel_hi:[0,1,0]
	v_fma_mix_f32 v3, v12, v20, v3 op_sel_hi:[0,1,0]
	v_fma_mix_f32 v3, v13, v21, v3 op_sel_hi:[0,1,0]
	s_waitcnt lgkmcnt(1)
	v_fma_mix_f32 v3, v14, v35, v3 op_sel_hi:[0,1,0]
	v_fma_mix_f32 v3, v15, v34, v3 op_sel_hi:[0,1,0]
	v_fma_mix_f32 v3, v16, v33, v3 op_sel_hi:[0,1,0]
	v_fma_mix_f32 v3, v17, v32, v3 op_sel_hi:[0,1,0]
	s_waitcnt lgkmcnt(0)
	v_fma_mix_f32 v3, v68, v31, v3 op_sel_hi:[0,1,0]
	v_fma_mix_f32 v3, v69, v30, v3 op_sel_hi:[0,1,0]
	v_fma_mix_f32 v3, v70, v29, v3 op_sel_hi:[0,1,0]
	v_fma_mix_f32 v4, v71, v28, v3 op_sel_hi:[0,1,0]
	s_cbranch_scc1 .LBB33_15
; %bb.14:
	v_mov_b32_e32 v3, 0
	ds_read_b128 v[6:9], v3 offset:128
	ds_read_b128 v[10:13], v3 offset:144
	;; [unrolled: 1-line block ×4, first 2 shown]
	s_waitcnt lgkmcnt(3)
	v_fmac_f32_e32 v4, v6, v67
	v_fmac_f32_e32 v4, v7, v66
	v_fmac_f32_e32 v4, v8, v65
	v_fmac_f32_e32 v4, v9, v64
	s_waitcnt lgkmcnt(2)
	v_fmac_f32_e32 v4, v10, v63
	v_fmac_f32_e32 v4, v11, v62
	v_fmac_f32_e32 v4, v12, v61
	v_fmac_f32_e32 v4, v13, v60
	s_waitcnt lgkmcnt(1)
	v_fmac_f32_e32 v4, v14, v59
	v_fmac_f32_e32 v4, v15, v58
	v_fmac_f32_e32 v4, v16, v57
	v_fmac_f32_e32 v4, v17, v56
	ds_read_b128 v[6:9], v3 offset:192
	ds_read_b128 v[10:13], v3 offset:208
	s_waitcnt lgkmcnt(2)
	v_fmac_f32_e32 v4, v18, v55
	v_fmac_f32_e32 v4, v19, v54
	;; [unrolled: 1-line block ×4, first 2 shown]
	s_waitcnt lgkmcnt(1)
	v_fmac_f32_e32 v4, v6, v51
	v_fmac_f32_e32 v4, v7, v50
	;; [unrolled: 1-line block ×4, first 2 shown]
	ds_read_b128 v[6:9], v3 offset:224
	s_waitcnt lgkmcnt(1)
	v_fmac_f32_e32 v4, v10, v47
	v_fmac_f32_e32 v4, v11, v46
	;; [unrolled: 1-line block ×4, first 2 shown]
	ds_read_b128 v[10:13], v3 offset:240
	s_waitcnt lgkmcnt(1)
	v_fmac_f32_e32 v4, v6, v43
	v_fmac_f32_e32 v4, v7, v42
	v_fmac_f32_e32 v4, v8, v41
	v_fmac_f32_e32 v4, v9, v40
	s_waitcnt lgkmcnt(0)
	v_fmac_f32_e32 v4, v10, v39
	v_fmac_f32_e32 v4, v11, v38
	;; [unrolled: 1-line block ×4, first 2 shown]
.LBB33_15:
	s_movk_i32 s4, 0x1fc0
	s_movk_i32 s5, 0x100
	s_mov_b32 s8, 64
	s_branch .LBB33_17
.LBB33_16:                              ;   in Loop: Header=BB33_17 Depth=1
	s_addk_i32 s4, 0x1000
	s_addk_i32 s5, 0x100
	s_add_i32 s8, s8, 64
	s_cmpk_eq_u32 s4, 0xefc0
	s_cbranch_scc1 .LBB33_19
.LBB33_17:                              ; =>This Inner Loop Header: Depth=1
	s_cmp_le_i32 s33, s8
	s_cbranch_scc1 .LBB33_16
; %bb.18:                               ;   in Loop: Header=BB33_17 Depth=1
	s_add_i32 s9, s4, 0xfffff040
	s_cmp_lt_i32 s9, s10
	s_cselect_b32 s12, s9, s11
	s_ashr_i32 s13, s12, 31
	s_lshl_b64 s[12:13], s[12:13], 1
	s_add_i32 s9, s4, 0xfffff080
	s_cmp_lt_i32 s9, s10
	v_add_co_u32_e32 v12, vcc, s12, v0
	s_cselect_b32 s12, s9, s11
	v_mov_b32_e32 v3, s13
	s_ashr_i32 s13, s12, 31
	s_lshl_b64 s[12:13], s[12:13], 1
	s_add_i32 s9, s4, 0xfffff0c0
	v_addc_co_u32_e32 v13, vcc, v1, v3, vcc
	s_cmp_lt_i32 s9, s10
	v_add_co_u32_e32 v14, vcc, s12, v0
	s_cselect_b32 s12, s9, s11
	v_mov_b32_e32 v3, s13
	s_ashr_i32 s13, s12, 31
	s_lshl_b64 s[12:13], s[12:13], 1
	s_add_i32 s9, s4, 0xfffff100
	v_addc_co_u32_e32 v15, vcc, v1, v3, vcc
	;; [unrolled: 8-line block ×8, first 2 shown]
	s_cmp_lt_i32 s9, s10
	global_load_ushort v3, v[12:13], off
	global_load_ushort v5, v[14:15], off
	;; [unrolled: 1-line block ×8, first 2 shown]
	v_add_co_u32_e32 v20, vcc, s12, v0
	s_cselect_b32 s12, s9, s11
	v_mov_b32_e32 v12, s13
	s_ashr_i32 s13, s12, 31
	s_lshl_b64 s[12:13], s[12:13], 1
	s_add_i32 s9, s4, 0xfffff2c0
	v_addc_co_u32_e32 v21, vcc, v1, v12, vcc
	s_cmp_lt_i32 s9, s10
	v_add_co_u32_e32 v22, vcc, s12, v0
	s_cselect_b32 s12, s9, s11
	v_mov_b32_e32 v12, s13
	s_ashr_i32 s13, s12, 31
	s_lshl_b64 s[12:13], s[12:13], 1
	s_add_i32 s9, s4, 0xfffff300
	v_addc_co_u32_e32 v23, vcc, v1, v12, vcc
	s_cmp_lt_i32 s9, s10
	v_add_co_u32_e32 v24, vcc, s12, v0
	s_cselect_b32 s12, s9, s11
	v_mov_b32_e32 v12, s13
	s_ashr_i32 s13, s12, 31
	s_lshl_b64 s[12:13], s[12:13], 1
	s_add_i32 s9, s4, 0xfffff340
	v_addc_co_u32_e32 v25, vcc, v1, v12, vcc
	s_cmp_lt_i32 s9, s10
	v_add_co_u32_e32 v26, vcc, s12, v0
	s_cselect_b32 s12, s9, s11
	v_mov_b32_e32 v12, s13
	s_ashr_i32 s13, s12, 31
	s_lshl_b64 s[12:13], s[12:13], 1
	s_add_i32 s9, s4, 0xfffff380
	v_addc_co_u32_e32 v27, vcc, v1, v12, vcc
	s_cmp_lt_i32 s9, s10
	v_add_co_u32_e32 v28, vcc, s12, v0
	s_cselect_b32 s12, s9, s11
	v_mov_b32_e32 v12, s13
	s_ashr_i32 s13, s12, 31
	s_lshl_b64 s[12:13], s[12:13], 1
	s_add_i32 s9, s4, 0xfffff3c0
	v_addc_co_u32_e32 v29, vcc, v1, v12, vcc
	s_cmp_lt_i32 s9, s10
	v_add_co_u32_e32 v30, vcc, s12, v0
	s_cselect_b32 s12, s9, s11
	v_mov_b32_e32 v12, s13
	s_ashr_i32 s13, s12, 31
	s_lshl_b64 s[12:13], s[12:13], 1
	s_add_i32 s9, s4, 0xfffff400
	v_addc_co_u32_e32 v31, vcc, v1, v12, vcc
	s_cmp_lt_i32 s9, s10
	v_add_co_u32_e32 v32, vcc, s12, v0
	s_cselect_b32 s12, s9, s11
	v_mov_b32_e32 v12, s13
	s_ashr_i32 s13, s12, 31
	s_lshl_b64 s[12:13], s[12:13], 1
	s_add_i32 s9, s4, 0xfffff440
	v_addc_co_u32_e32 v33, vcc, v1, v12, vcc
	s_cmp_lt_i32 s9, s10
	v_add_co_u32_e32 v34, vcc, s12, v0
	s_cselect_b32 s12, s9, s11
	v_mov_b32_e32 v12, s13
	s_ashr_i32 s13, s12, 31
	s_lshl_b64 s[12:13], s[12:13], 1
	s_add_i32 s9, s4, 0xfffff480
	v_addc_co_u32_e32 v35, vcc, v1, v12, vcc
	s_cmp_lt_i32 s9, s10
	global_load_ushort v15, v[20:21], off
	global_load_ushort v16, v[22:23], off
	;; [unrolled: 1-line block ×8, first 2 shown]
	v_add_co_u32_e32 v28, vcc, s12, v0
	s_cselect_b32 s12, s9, s11
	v_mov_b32_e32 v20, s13
	s_ashr_i32 s13, s12, 31
	s_lshl_b64 s[12:13], s[12:13], 1
	s_add_i32 s9, s4, 0xfffff4c0
	v_addc_co_u32_e32 v29, vcc, v1, v20, vcc
	s_cmp_lt_i32 s9, s10
	v_add_co_u32_e32 v30, vcc, s12, v0
	s_cselect_b32 s12, s9, s11
	v_mov_b32_e32 v20, s13
	s_ashr_i32 s13, s12, 31
	s_lshl_b64 s[12:13], s[12:13], 1
	s_add_i32 s9, s4, 0xfffff500
	v_addc_co_u32_e32 v31, vcc, v1, v20, vcc
	s_cmp_lt_i32 s9, s10
	;; [unrolled: 8-line block ×8, first 2 shown]
	global_load_ushort v23, v[28:29], off
	global_load_ushort v24, v[30:31], off
	;; [unrolled: 1-line block ×8, first 2 shown]
	v_add_co_u32_e32 v36, vcc, s12, v0
	s_cselect_b32 s12, s9, s11
	v_mov_b32_e32 v28, s13
	s_ashr_i32 s13, s12, 31
	s_lshl_b64 s[12:13], s[12:13], 1
	s_add_i32 s9, s4, 0xfffff6c0
	v_addc_co_u32_e32 v37, vcc, v1, v28, vcc
	s_cmp_lt_i32 s9, s10
	v_add_co_u32_e32 v38, vcc, s12, v0
	s_cselect_b32 s12, s9, s11
	v_mov_b32_e32 v28, s13
	s_ashr_i32 s13, s12, 31
	s_lshl_b64 s[12:13], s[12:13], 1
	s_add_i32 s9, s4, 0xfffff700
	v_addc_co_u32_e32 v39, vcc, v1, v28, vcc
	s_cmp_lt_i32 s9, s10
	;; [unrolled: 8-line block ×8, first 2 shown]
	global_load_ushort v31, v[36:37], off
	global_load_ushort v32, v[38:39], off
	;; [unrolled: 1-line block ×8, first 2 shown]
	v_add_co_u32_e32 v36, vcc, s12, v0
	s_cselect_b32 s12, s9, s11
	v_mov_b32_e32 v37, s13
	s_ashr_i32 s13, s12, 31
	s_lshl_b64 s[12:13], s[12:13], 1
	s_add_i32 s9, s4, 0xfffff8c0
	v_addc_co_u32_e32 v37, vcc, v1, v37, vcc
	s_cmp_lt_i32 s9, s10
	v_add_co_u32_e32 v38, vcc, s12, v0
	s_cselect_b32 s12, s9, s11
	v_mov_b32_e32 v39, s13
	s_ashr_i32 s13, s12, 31
	s_lshl_b64 s[12:13], s[12:13], 1
	s_add_i32 s9, s4, 0xfffff900
	v_addc_co_u32_e32 v39, vcc, v1, v39, vcc
	s_cmp_lt_i32 s9, s10
	;; [unrolled: 8-line block ×8, first 2 shown]
	global_load_ushort v52, v[36:37], off
	global_load_ushort v53, v[38:39], off
	;; [unrolled: 1-line block ×8, first 2 shown]
	v_add_co_u32_e32 v36, vcc, s12, v0
	s_cselect_b32 s12, s9, s11
	v_mov_b32_e32 v37, s13
	s_ashr_i32 s13, s12, 31
	s_lshl_b64 s[12:13], s[12:13], 1
	s_add_i32 s9, s4, 0xfffffac0
	v_addc_co_u32_e32 v37, vcc, v1, v37, vcc
	s_cmp_lt_i32 s9, s10
	v_add_co_u32_e32 v38, vcc, s12, v0
	s_cselect_b32 s12, s9, s11
	v_mov_b32_e32 v39, s13
	s_ashr_i32 s13, s12, 31
	s_lshl_b64 s[12:13], s[12:13], 1
	s_add_i32 s9, s4, 0xfffffb00
	v_addc_co_u32_e32 v39, vcc, v1, v39, vcc
	s_cmp_lt_i32 s9, s10
	;; [unrolled: 8-line block ×8, first 2 shown]
	global_load_ushort v60, v[36:37], off
	global_load_ushort v61, v[38:39], off
	;; [unrolled: 1-line block ×8, first 2 shown]
	v_add_co_u32_e32 v36, vcc, s12, v0
	s_cselect_b32 s12, s9, s11
	v_mov_b32_e32 v37, s13
	s_ashr_i32 s13, s12, 31
	s_lshl_b64 s[12:13], s[12:13], 1
	s_add_i32 s9, s4, 0xfffffcc0
	v_addc_co_u32_e32 v37, vcc, v1, v37, vcc
	s_cmp_lt_i32 s9, s10
	v_add_co_u32_e32 v38, vcc, s12, v0
	s_cselect_b32 s12, s9, s11
	v_mov_b32_e32 v39, s13
	s_ashr_i32 s13, s12, 31
	s_lshl_b64 s[12:13], s[12:13], 1
	s_add_i32 s9, s4, 0xfffffd00
	v_addc_co_u32_e32 v39, vcc, v1, v39, vcc
	s_cmp_lt_i32 s9, s10
	;; [unrolled: 8-line block ×8, first 2 shown]
	global_load_ushort v68, v[36:37], off
	global_load_ushort v69, v[38:39], off
	;; [unrolled: 1-line block ×8, first 2 shown]
	v_add_co_u32_e32 v36, vcc, s12, v0
	s_cselect_b32 s12, s9, s11
	v_mov_b32_e32 v37, s13
	s_ashr_i32 s13, s12, 31
	s_lshl_b64 s[12:13], s[12:13], 1
	s_add_i32 s9, s4, 0xfffffec0
	v_addc_co_u32_e32 v37, vcc, v1, v37, vcc
	s_cmp_lt_i32 s9, s10
	v_add_co_u32_e32 v38, vcc, s12, v0
	s_cselect_b32 s12, s9, s11
	v_mov_b32_e32 v39, s13
	s_ashr_i32 s13, s12, 31
	s_lshl_b64 s[12:13], s[12:13], 1
	s_add_i32 s9, s4, 0xffffff00
	v_addc_co_u32_e32 v39, vcc, v1, v39, vcc
	s_cmp_lt_i32 s9, s10
	;; [unrolled: 8-line block ×4, first 2 shown]
	v_add_co_u32_e32 v44, vcc, s12, v0
	s_cselect_b32 s12, s9, s11
	v_mov_b32_e32 v45, s13
	s_ashr_i32 s13, s12, 31
	s_lshl_b64 s[12:13], s[12:13], 1
	s_sub_i32 s9, s4, 64
	v_addc_co_u32_e32 v45, vcc, v1, v45, vcc
	s_cmp_lt_i32 s9, s10
	v_add_co_u32_e32 v46, vcc, s12, v0
	s_cselect_b32 s12, s9, s11
	v_mov_b32_e32 v47, s13
	s_ashr_i32 s13, s12, 31
	s_lshl_b64 s[12:13], s[12:13], 1
	v_addc_co_u32_e32 v47, vcc, v1, v47, vcc
	s_cmp_lt_i32 s4, s10
	v_add_co_u32_e32 v48, vcc, s12, v0
	s_cselect_b32 s12, s4, s11
	v_mov_b32_e32 v49, s13
	s_ashr_i32 s13, s12, 31
	v_addc_co_u32_e32 v49, vcc, v1, v49, vcc
	s_lshl_b64 s[12:13], s[12:13], 1
	v_mov_b32_e32 v51, s13
	v_add_co_u32_e32 v50, vcc, s12, v0
	v_addc_co_u32_e32 v51, vcc, v1, v51, vcc
	global_load_ushort v76, v[36:37], off
	global_load_ushort v77, v[38:39], off
	;; [unrolled: 1-line block ×8, first 2 shown]
	v_mov_b32_e32 v84, s5
	ds_read_b128 v[36:39], v84
	ds_read_b128 v[40:43], v84 offset:16
	ds_read_b128 v[44:47], v84 offset:32
	;; [unrolled: 1-line block ×3, first 2 shown]
	s_waitcnt vmcnt(62) lgkmcnt(3)
	v_fma_mix_f32 v3, v36, v3, v4 op_sel_hi:[0,1,0]
	v_fma_mix_f32 v3, v37, v5, v3 op_sel_hi:[0,1,0]
	s_waitcnt vmcnt(61)
	v_fma_mix_f32 v3, v38, v6, v3 op_sel_hi:[0,1,0]
	s_waitcnt vmcnt(60)
	v_fma_mix_f32 v3, v39, v7, v3 op_sel_hi:[0,1,0]
	s_waitcnt vmcnt(59) lgkmcnt(2)
	v_fma_mix_f32 v3, v40, v8, v3 op_sel_hi:[0,1,0]
	s_waitcnt vmcnt(58)
	v_fma_mix_f32 v3, v41, v9, v3 op_sel_hi:[0,1,0]
	s_waitcnt vmcnt(57)
	;; [unrolled: 2-line block ×3, first 2 shown]
	v_fma_mix_f32 v3, v43, v11, v3 op_sel_hi:[0,1,0]
	s_waitcnt vmcnt(55) lgkmcnt(1)
	v_fma_mix_f32 v3, v44, v15, v3 op_sel_hi:[0,1,0]
	s_waitcnt vmcnt(54)
	v_fma_mix_f32 v3, v45, v16, v3 op_sel_hi:[0,1,0]
	s_waitcnt vmcnt(53)
	;; [unrolled: 2-line block ×3, first 2 shown]
	v_fma_mix_f32 v3, v47, v18, v3 op_sel_hi:[0,1,0]
	ds_read_b128 v[4:7], v84 offset:64
	ds_read_b128 v[8:11], v84 offset:80
	s_waitcnt vmcnt(51) lgkmcnt(2)
	v_fma_mix_f32 v3, v48, v19, v3 op_sel_hi:[0,1,0]
	s_waitcnt vmcnt(50)
	v_fma_mix_f32 v3, v49, v12, v3 op_sel_hi:[0,1,0]
	s_waitcnt vmcnt(49)
	;; [unrolled: 2-line block ×3, first 2 shown]
	v_fma_mix_f32 v3, v51, v14, v3 op_sel_hi:[0,1,0]
	s_waitcnt vmcnt(47) lgkmcnt(1)
	v_fma_mix_f32 v3, v4, v23, v3 op_sel_hi:[0,1,0]
	s_waitcnt vmcnt(46)
	v_fma_mix_f32 v3, v5, v24, v3 op_sel_hi:[0,1,0]
	s_waitcnt vmcnt(45)
	v_fma_mix_f32 v3, v6, v25, v3 op_sel_hi:[0,1,0]
	s_waitcnt vmcnt(44)
	v_fma_mix_f32 v3, v7, v26, v3 op_sel_hi:[0,1,0]
	ds_read_b128 v[4:7], v84 offset:96
	s_waitcnt vmcnt(43) lgkmcnt(1)
	v_fma_mix_f32 v3, v8, v27, v3 op_sel_hi:[0,1,0]
	s_waitcnt vmcnt(42)
	v_fma_mix_f32 v3, v9, v20, v3 op_sel_hi:[0,1,0]
	s_waitcnt vmcnt(41)
	v_fma_mix_f32 v3, v10, v21, v3 op_sel_hi:[0,1,0]
	s_waitcnt vmcnt(40)
	v_fma_mix_f32 v3, v11, v22, v3 op_sel_hi:[0,1,0]
	ds_read_b128 v[8:11], v84 offset:112
	;; [unrolled: 9-line block ×10, first 2 shown]
	s_waitcnt vmcnt(7) lgkmcnt(1)
	v_fma_mix_f32 v3, v4, v76, v3 op_sel_hi:[0,1,0]
	s_waitcnt vmcnt(6)
	v_fma_mix_f32 v3, v5, v77, v3 op_sel_hi:[0,1,0]
	s_waitcnt vmcnt(5)
	;; [unrolled: 2-line block ×3, first 2 shown]
	v_fma_mix_f32 v3, v7, v79, v3 op_sel_hi:[0,1,0]
	s_waitcnt vmcnt(3) lgkmcnt(0)
	v_fma_mix_f32 v3, v8, v80, v3 op_sel_hi:[0,1,0]
	s_waitcnt vmcnt(2)
	v_fma_mix_f32 v3, v9, v81, v3 op_sel_hi:[0,1,0]
	s_waitcnt vmcnt(1)
	;; [unrolled: 2-line block ×3, first 2 shown]
	v_fma_mix_f32 v4, v11, v83, v3 op_sel_hi:[0,1,0]
	s_branch .LBB33_16
.LBB33_19:
	v_mov_b32_e32 v0, 0
	ds_read_b32 v1, v0 offset:3584
	s_cmp_lg_u64 s[2:3], 0
	s_cbranch_scc0 .LBB33_24
; %bb.20:
	s_load_dword s4, s[2:3], 0x0
	s_waitcnt lgkmcnt(0)
	v_div_scale_f32 v0, s[2:3], s4, s4, 1.0
	v_rcp_f32_e32 v3, v0
	v_div_scale_f32 v5, vcc, 1.0, s4, 1.0
	v_fma_f32 v6, -v0, v3, 1.0
	v_fmac_f32_e32 v3, v6, v3
	v_mul_f32_e32 v6, v5, v3
	v_fma_f32 v7, -v0, v6, v5
	v_fmac_f32_e32 v6, v7, v3
	v_fma_f32 v0, -v0, v6, v5
	v_div_fmas_f32 v0, v0, v3, v6
	v_div_fixup_f32 v0, v0, s4, 1.0
	s_andn2_b64 vcc, exec, s[46:47]
	s_cbranch_vccnz .LBB33_22
.LBB33_21:
	s_add_u32 s2, s44, s48
	s_addc_u32 s3, s45, s49
	s_load_dword s34, s[2:3], 0x0
	s_mov_b32 s35, 0
.LBB33_22:
	s_waitcnt lgkmcnt(0)
	v_add_f32_e32 v1, 0x358637bd, v1
	v_div_scale_f32 v3, s[2:3], v1, v1, 1.0
	v_rcp_f32_e32 v5, v3
	v_div_scale_f32 v6, vcc, 1.0, v1, 1.0
	s_mul_i32 s2, s7, s35
	v_fma_f32 v7, -v3, v5, 1.0
	v_fmac_f32_e32 v5, v7, v5
	v_mul_f32_e32 v7, v6, v5
	v_fma_f32 v8, -v3, v7, v6
	s_mul_hi_u32 s3, s7, s34
	v_fmac_f32_e32 v7, v8, v5
	s_add_i32 s3, s3, s2
	s_mul_i32 s2, s7, s34
	v_fma_f32 v3, -v3, v7, v6
	s_lshl_b64 s[2:3], s[2:3], 7
	v_div_fmas_f32 v3, v3, v5, v7
	s_add_u32 s2, s0, s2
	s_mov_b32 s7, 0
	v_div_fixup_f32 v1, v3, v1, 1.0
	s_addc_u32 s3, s1, s3
	s_lshl_b64 s[0:1], s[6:7], 7
	v_mul_f32_e32 v1, v4, v1
	s_add_u32 s0, s2, s0
	s_addc_u32 s1, s3, s1
	v_fma_mixlo_f16 v0, v1, v0, 0
	global_store_short v2, v0, s[0:1]
	s_endpgm
.LBB33_23:
	s_mov_b64 s[2:3], 0
	s_branch .LBB33_2
.LBB33_24:
	v_mov_b32_e32 v0, 1.0
	s_andn2_b64 vcc, exec, s[46:47]
	s_cbranch_vccz .LBB33_21
	s_branch .LBB33_22
	.section	.rodata,"a",@progbits
	.p2align	6, 0x0
	.amdhsa_kernel _Z35paged_attention_ll4mi_reduce_kernelIDF16_DF16_Li64ELi64ELi256ELi14EEvPT0_PKfS3_PKT_PKiS8_iS3_
		.amdhsa_group_segment_fixed_size 3588
		.amdhsa_private_segment_fixed_size 0
		.amdhsa_kernarg_size 320
		.amdhsa_user_sgpr_count 6
		.amdhsa_user_sgpr_private_segment_buffer 1
		.amdhsa_user_sgpr_dispatch_ptr 0
		.amdhsa_user_sgpr_queue_ptr 0
		.amdhsa_user_sgpr_kernarg_segment_ptr 1
		.amdhsa_user_sgpr_dispatch_id 0
		.amdhsa_user_sgpr_flat_scratch_init 0
		.amdhsa_user_sgpr_kernarg_preload_length 0
		.amdhsa_user_sgpr_kernarg_preload_offset 0
		.amdhsa_user_sgpr_private_segment_size 0
		.amdhsa_uses_dynamic_stack 0
		.amdhsa_system_sgpr_private_segment_wavefront_offset 0
		.amdhsa_system_sgpr_workgroup_id_x 1
		.amdhsa_system_sgpr_workgroup_id_y 1
		.amdhsa_system_sgpr_workgroup_id_z 0
		.amdhsa_system_sgpr_workgroup_info 0
		.amdhsa_system_vgpr_workitem_id 0
		.amdhsa_next_free_vgpr 92
		.amdhsa_next_free_sgpr 57
		.amdhsa_accum_offset 92
		.amdhsa_reserve_vcc 1
		.amdhsa_reserve_flat_scratch 0
		.amdhsa_float_round_mode_32 0
		.amdhsa_float_round_mode_16_64 0
		.amdhsa_float_denorm_mode_32 3
		.amdhsa_float_denorm_mode_16_64 3
		.amdhsa_dx10_clamp 1
		.amdhsa_ieee_mode 1
		.amdhsa_fp16_overflow 0
		.amdhsa_tg_split 0
		.amdhsa_exception_fp_ieee_invalid_op 0
		.amdhsa_exception_fp_denorm_src 0
		.amdhsa_exception_fp_ieee_div_zero 0
		.amdhsa_exception_fp_ieee_overflow 0
		.amdhsa_exception_fp_ieee_underflow 0
		.amdhsa_exception_fp_ieee_inexact 0
		.amdhsa_exception_int_div_zero 0
	.end_amdhsa_kernel
	.section	.text._Z35paged_attention_ll4mi_reduce_kernelIDF16_DF16_Li64ELi64ELi256ELi14EEvPT0_PKfS3_PKT_PKiS8_iS3_,"axG",@progbits,_Z35paged_attention_ll4mi_reduce_kernelIDF16_DF16_Li64ELi64ELi256ELi14EEvPT0_PKfS3_PKT_PKiS8_iS3_,comdat
.Lfunc_end33:
	.size	_Z35paged_attention_ll4mi_reduce_kernelIDF16_DF16_Li64ELi64ELi256ELi14EEvPT0_PKfS3_PKT_PKiS8_iS3_, .Lfunc_end33-_Z35paged_attention_ll4mi_reduce_kernelIDF16_DF16_Li64ELi64ELi256ELi14EEvPT0_PKfS3_PKT_PKiS8_iS3_
                                        ; -- End function
	.section	.AMDGPU.csdata,"",@progbits
; Kernel info:
; codeLenInByte = 11572
; NumSgprs: 61
; NumVgprs: 92
; NumAgprs: 0
; TotalNumVgprs: 92
; ScratchSize: 0
; MemoryBound: 0
; FloatMode: 240
; IeeeMode: 1
; LDSByteSize: 3588 bytes/workgroup (compile time only)
; SGPRBlocks: 7
; VGPRBlocks: 11
; NumSGPRsForWavesPerEU: 61
; NumVGPRsForWavesPerEU: 92
; AccumOffset: 92
; Occupancy: 5
; WaveLimiterHint : 1
; COMPUTE_PGM_RSRC2:SCRATCH_EN: 0
; COMPUTE_PGM_RSRC2:USER_SGPR: 6
; COMPUTE_PGM_RSRC2:TRAP_HANDLER: 0
; COMPUTE_PGM_RSRC2:TGID_X_EN: 1
; COMPUTE_PGM_RSRC2:TGID_Y_EN: 1
; COMPUTE_PGM_RSRC2:TGID_Z_EN: 0
; COMPUTE_PGM_RSRC2:TIDIG_COMP_CNT: 0
; COMPUTE_PGM_RSRC3_GFX90A:ACCUM_OFFSET: 22
; COMPUTE_PGM_RSRC3_GFX90A:TG_SPLIT: 0
	.section	.text._Z35paged_attention_ll4mi_reduce_kernelIDF16_DF16_Li64ELi64ELi256ELi15EEvPT0_PKfS3_PKT_PKiS8_iS3_,"axG",@progbits,_Z35paged_attention_ll4mi_reduce_kernelIDF16_DF16_Li64ELi64ELi256ELi15EEvPT0_PKfS3_PKT_PKiS8_iS3_,comdat
	.protected	_Z35paged_attention_ll4mi_reduce_kernelIDF16_DF16_Li64ELi64ELi256ELi15EEvPT0_PKfS3_PKT_PKiS8_iS3_ ; -- Begin function _Z35paged_attention_ll4mi_reduce_kernelIDF16_DF16_Li64ELi64ELi256ELi15EEvPT0_PKfS3_PKT_PKiS8_iS3_
	.globl	_Z35paged_attention_ll4mi_reduce_kernelIDF16_DF16_Li64ELi64ELi256ELi15EEvPT0_PKfS3_PKT_PKiS8_iS3_
	.p2align	8
	.type	_Z35paged_attention_ll4mi_reduce_kernelIDF16_DF16_Li64ELi64ELi256ELi15EEvPT0_PKfS3_PKT_PKiS8_iS3_,@function
_Z35paged_attention_ll4mi_reduce_kernelIDF16_DF16_Li64ELi64ELi256ELi15EEvPT0_PKfS3_PKT_PKiS8_iS3_: ; @_Z35paged_attention_ll4mi_reduce_kernelIDF16_DF16_Li64ELi64ELi256ELi15EEvPT0_PKfS3_PKT_PKiS8_iS3_
; %bb.0:
	s_load_dwordx2 s[46:47], s[4:5], 0x28
	s_mov_b32 s44, s7
	s_mov_b64 s[0:1], 0
	s_waitcnt lgkmcnt(0)
	s_cmp_lg_u64 s[46:47], 0
	s_cselect_b64 s[48:49], -1, 0
	s_and_b64 vcc, exec, s[48:49]
	s_cbranch_vccz .LBB34_23
; %bb.1:
	s_add_i32 s2, s44, 1
	s_mov_b32 s3, 0
	s_lshl_b64 s[8:9], s[2:3], 2
	s_add_u32 s8, s46, s8
	s_mov_b32 s45, s3
	s_addc_u32 s9, s47, s9
	s_lshl_b64 s[2:3], s[44:45], 2
	s_add_u32 s2, s46, s2
	s_addc_u32 s3, s47, s3
	s_load_dword s7, s[8:9], 0x0
	s_load_dword s10, s[2:3], 0x0
	s_waitcnt lgkmcnt(0)
	s_sub_i32 s2, s7, s10
	s_cmp_eq_u32 s2, 1
	s_cselect_b64 s[2:3], -1, 0
	s_andn2_b64 vcc, exec, s[0:1]
	s_cbranch_vccnz .LBB34_3
.LBB34_2:
	s_mov_b32 s45, 0
	s_mov_b64 s[2:3], -1
.LBB34_3:
	s_andn2_b64 vcc, exec, s[2:3]
	s_cbranch_vccz .LBB34_5
; %bb.4:
	s_endpgm
.LBB34_5:
	s_load_dwordx4 s[36:39], s[4:5], 0x18
	s_load_dword s8, s[4:5], 0x30
	s_lshl_b64 s[50:51], s[44:45], 2
	v_cmp_lt_u32_e32 vcc, 63, v0
	s_waitcnt lgkmcnt(0)
	s_add_u32 s0, s38, s50
	s_addc_u32 s1, s39, s51
	s_load_dword s58, s[0:1], 0x0
	s_load_dword s7, s[4:5], 0x40
	s_mul_i32 s38, s6, s8
	s_mul_i32 s2, s44, s8
	s_waitcnt lgkmcnt(0)
	s_add_i32 s3, s58, 0xff
	s_ashr_i32 s0, s3, 31
	s_lshr_b32 s0, s0, 24
	s_add_i32 s3, s3, s0
	s_and_saveexec_b64 s[0:1], vcc
	s_xor_b64 s[0:1], exec, s[0:1]
	s_or_saveexec_b64 s[52:53], s[0:1]
	s_ashr_i32 s33, s3, 8
	v_mov_b32_e32 v1, s38
	s_mul_i32 s54, s2, s7
	s_xor_b64 exec, exec, s[52:53]
	s_cbranch_execz .LBB34_9
; %bb.6:
	s_add_i32 s0, s33, -1
	v_or_b32_e32 v3, 64, v0
	v_mov_b32_e32 v1, s0
	v_cmp_gt_u32_e64 s[28:29], s33, v3
	v_cndmask_b32_e64 v4, v1, v3, s[28:29]
	v_or_b32_e32 v3, 0x80, v0
	v_cmp_gt_u32_e64 s[26:27], s33, v3
	v_cndmask_b32_e64 v6, v1, v3, s[26:27]
	v_or_b32_e32 v3, 0xc0, v0
	;; [unrolled: 3-line block ×10, first 2 shown]
	s_load_dwordx4 s[40:43], s[4:5], 0x8
	v_cmp_gt_u32_e64 s[8:9], s33, v3
	v_cndmask_b32_e64 v24, v1, v3, s[8:9]
	v_or_b32_e32 v3, 0x300, v0
	v_cmp_gt_u32_e64 s[2:3], s33, v3
	s_mov_b32 s55, 0
	v_cndmask_b32_e64 v26, v1, v3, s[2:3]
	v_or_b32_e32 v3, 0x340, v0
	v_cmp_gt_u32_e64 s[0:1], s33, v3
	s_lshl_b64 s[56:57], s[54:55], 2
	s_mov_b32 s39, s55
	v_cmp_gt_u32_e64 s[30:31], s33, v0
	v_cndmask_b32_e64 v28, v1, v3, s[0:1]
	v_or_b32_e32 v3, 0x380, v0
	s_waitcnt lgkmcnt(0)
	s_add_u32 s34, s42, s56
	v_cndmask_b32_e64 v2, v1, v0, s[30:31]
	v_cmp_gt_u32_e32 vcc, s33, v3
	s_addc_u32 s35, s43, s57
	s_lshl_b64 s[42:43], s[38:39], 2
	v_cndmask_b32_e32 v30, v1, v3, vcc
	s_add_u32 s39, s34, s42
	v_ashrrev_i32_e32 v3, 31, v2
	s_addc_u32 s55, s35, s43
	v_lshlrev_b64 v[2:3], 2, v[2:3]
	v_mov_b32_e32 v1, s55
	v_add_co_u32_e64 v32, s[34:35], s39, v2
	v_ashrrev_i32_e32 v5, 31, v4
	v_addc_co_u32_e64 v33, s[34:35], v1, v3, s[34:35]
	v_lshlrev_b64 v[4:5], 2, v[4:5]
	v_add_co_u32_e64 v34, s[34:35], s39, v4
	v_ashrrev_i32_e32 v7, 31, v6
	v_addc_co_u32_e64 v35, s[34:35], v1, v5, s[34:35]
	v_lshlrev_b64 v[6:7], 2, v[6:7]
	;; [unrolled: 4-line block ×8, first 2 shown]
	global_load_dword v1, v[32:33], off
	global_load_dword v48, v[34:35], off
	;; [unrolled: 1-line block ×7, first 2 shown]
	s_nop 0
	global_load_dword v46, v[46:47], off
	v_mov_b32_e32 v21, s55
	v_add_co_u32_e64 v32, s[34:35], s39, v18
	v_addc_co_u32_e64 v33, s[34:35], v21, v19, s[34:35]
	v_ashrrev_i32_e32 v21, 31, v20
	v_lshlrev_b64 v[20:21], 2, v[20:21]
	v_mov_b32_e32 v23, s55
	v_add_co_u32_e64 v34, s[34:35], s39, v20
	v_addc_co_u32_e64 v35, s[34:35], v23, v21, s[34:35]
	v_ashrrev_i32_e32 v23, 31, v22
	v_lshlrev_b64 v[22:23], 2, v[22:23]
	;; [unrolled: 5-line block ×6, first 2 shown]
	v_mov_b32_e32 v45, s55
	v_add_co_u32_e64 v44, s[34:35], s39, v30
	v_addc_co_u32_e64 v45, s[34:35], v45, v31, s[34:35]
	global_load_dword v32, v[32:33], off
	s_nop 0
	global_load_dword v33, v[34:35], off
	s_nop 0
	global_load_dword v34, v[36:37], off
	global_load_dword v35, v[38:39], off
	s_nop 0
	global_load_dword v36, v[40:41], off
	global_load_dword v37, v[42:43], off
	;; [unrolled: 1-line block ×3, first 2 shown]
	v_mbcnt_lo_u32_b32 v40, -1, 0
	v_mbcnt_hi_u32_b32 v40, -1, v40
	v_and_b32_e32 v41, 64, v40
	v_add_u32_e32 v41, 64, v41
	v_xor_b32_e32 v42, 32, v40
	v_cmp_lt_i32_e64 s[34:35], v42, v41
	v_cndmask_b32_e64 v42, v40, v42, s[34:35]
	v_lshlrev_b32_e32 v42, 2, v42
	s_waitcnt vmcnt(12)
	v_max3_f32 v39, v1, v48, v49
	s_waitcnt vmcnt(10)
	v_max3_f32 v39, v39, v50, v51
	;; [unrolled: 2-line block ×7, first 2 shown]
	ds_bpermute_b32 v43, v42, v39
	s_waitcnt lgkmcnt(0)
	v_max_f32_e32 v43, v43, v43
	v_max_f32_e32 v39, v39, v43
	v_xor_b32_e32 v43, 16, v40
	v_cmp_lt_i32_e64 s[34:35], v43, v41
	v_cndmask_b32_e64 v43, v40, v43, s[34:35]
	v_lshlrev_b32_e32 v43, 2, v43
	ds_bpermute_b32 v44, v43, v39
	s_waitcnt lgkmcnt(0)
	v_max_f32_e32 v44, v44, v44
	v_max_f32_e32 v39, v39, v44
	v_xor_b32_e32 v44, 8, v40
	v_cmp_lt_i32_e64 s[34:35], v44, v41
	v_cndmask_b32_e64 v44, v40, v44, s[34:35]
	v_lshlrev_b32_e32 v44, 2, v44
	;; [unrolled: 8-line block ×4, first 2 shown]
	ds_bpermute_b32 v54, v47, v39
	s_waitcnt lgkmcnt(0)
	v_max_f32_e32 v54, v54, v54
	v_max_f32_e32 v39, v39, v54
	v_xor_b32_e32 v54, 1, v40
	v_cmp_lt_i32_e64 s[34:35], v54, v41
	v_cndmask_b32_e64 v40, v40, v54, s[34:35]
	s_add_u32 s34, s40, s56
	s_addc_u32 s35, s41, s57
	s_add_u32 s39, s34, s42
	s_addc_u32 s40, s35, s43
	v_mov_b32_e32 v54, s40
	v_add_co_u32_e64 v2, s[34:35], s39, v2
	v_addc_co_u32_e64 v3, s[34:35], v54, v3, s[34:35]
	v_add_co_u32_e64 v4, s[34:35], s39, v4
	v_addc_co_u32_e64 v5, s[34:35], v54, v5, s[34:35]
	;; [unrolled: 2-line block ×8, first 2 shown]
	global_load_dword v54, v[2:3], off
	global_load_dword v55, v[4:5], off
	;; [unrolled: 1-line block ×7, first 2 shown]
	s_nop 0
	global_load_dword v16, v[16:17], off
	v_mov_b32_e32 v3, s40
	v_add_co_u32_e64 v2, s[34:35], s39, v18
	v_addc_co_u32_e64 v3, s[34:35], v3, v19, s[34:35]
	v_mov_b32_e32 v5, s40
	v_add_co_u32_e64 v4, s[34:35], s39, v20
	v_lshlrev_b32_e32 v40, 2, v40
	v_addc_co_u32_e64 v5, s[34:35], v5, v21, s[34:35]
	ds_bpermute_b32 v41, v40, v39
	v_mov_b32_e32 v7, s40
	v_add_co_u32_e64 v6, s[34:35], s39, v22
	v_addc_co_u32_e64 v7, s[34:35], v7, v23, s[34:35]
	v_mov_b32_e32 v9, s40
	v_add_co_u32_e64 v8, s[34:35], s39, v24
	v_addc_co_u32_e64 v9, s[34:35], v9, v25, s[34:35]
	;; [unrolled: 3-line block ×3, first 2 shown]
	s_waitcnt lgkmcnt(0)
	v_max_f32_e32 v17, v41, v41
	v_mov_b32_e32 v13, s40
	v_add_co_u32_e64 v12, s[34:35], s39, v28
	v_max_f32_e32 v17, v39, v17
	v_addc_co_u32_e64 v13, s[34:35], v13, v29, s[34:35]
	v_sub_f32_e32 v1, v1, v17
	v_mov_b32_e32 v15, s40
	v_add_co_u32_e64 v14, s[34:35], s39, v30
	s_mov_b32 s39, 0x3fb8aa3b
	v_mul_f32_e32 v18, 0x3fb8aa3b, v1
	v_addc_co_u32_e64 v15, s[34:35], v15, v31, s[34:35]
	v_fma_f32 v19, v1, s39, -v18
	v_rndne_f32_e32 v20, v18
	global_load_dword v2, v[2:3], off
	s_nop 0
	global_load_dword v3, v[4:5], off
	s_nop 0
	global_load_dword v4, v[6:7], off
	global_load_dword v5, v[8:9], off
	s_nop 0
	global_load_dword v6, v[10:11], off
	global_load_dword v7, v[12:13], off
	;; [unrolled: 1-line block ×3, first 2 shown]
	v_sub_f32_e32 v11, v48, v17
	v_fmac_f32_e32 v19, 0x32a5705f, v1
	v_sub_f32_e32 v18, v18, v20
	v_mul_f32_e32 v12, 0x3fb8aa3b, v11
	v_add_f32_e32 v18, v18, v19
	v_fma_f32 v13, v11, s39, -v12
	v_rndne_f32_e32 v14, v12
	v_exp_f32_e32 v18, v18
	v_cvt_i32_f32_e32 v19, v20
	v_fmac_f32_e32 v13, 0x32a5705f, v11
	v_sub_f32_e32 v12, v12, v14
	v_add_f32_e32 v12, v12, v13
	v_exp_f32_e32 v12, v12
	v_cvt_i32_f32_e32 v13, v14
	s_mov_b32 s40, 0xc2ce8ed0
	v_ldexp_f32 v9, v18, v19
	v_cmp_ngt_f32_e64 s[34:35], s40, v1
	s_mov_b32 s41, 0x42b17218
	v_cndmask_b32_e64 v9, 0, v9, s[34:35]
	v_mov_b32_e32 v10, 0x7f800000
	v_cmp_nlt_f32_e64 s[34:35], s41, v1
	v_cndmask_b32_e64 v1, v10, v9, s[34:35]
	v_ldexp_f32 v9, v12, v13
	v_sub_f32_e32 v12, v49, v17
	v_mul_f32_e32 v13, 0x3fb8aa3b, v12
	v_fma_f32 v14, v12, s39, -v13
	v_rndne_f32_e32 v15, v13
	v_fmac_f32_e32 v14, 0x32a5705f, v12
	v_sub_f32_e32 v13, v13, v15
	v_add_f32_e32 v13, v13, v14
	v_exp_f32_e32 v13, v13
	v_cvt_i32_f32_e32 v14, v15
	v_cndmask_b32_e64 v1, 0, v1, s[30:31]
	v_cmp_ngt_f32_e64 s[30:31], s40, v11
	v_cndmask_b32_e64 v9, 0, v9, s[30:31]
	v_cmp_nlt_f32_e64 s[30:31], s41, v11
	v_ldexp_f32 v11, v13, v14
	v_sub_f32_e32 v13, v50, v17
	v_mul_f32_e32 v14, 0x3fb8aa3b, v13
	v_fma_f32 v15, v13, s39, -v14
	v_rndne_f32_e32 v18, v14
	v_fmac_f32_e32 v15, 0x32a5705f, v13
	v_sub_f32_e32 v14, v14, v18
	v_add_f32_e32 v14, v14, v15
	v_exp_f32_e32 v14, v14
	v_cvt_i32_f32_e32 v15, v18
	v_cndmask_b32_e64 v9, v10, v9, s[30:31]
	v_cndmask_b32_e64 v9, 0, v9, s[28:29]
	v_cmp_ngt_f32_e64 s[28:29], s40, v12
	v_cndmask_b32_e64 v11, 0, v11, s[28:29]
	v_cmp_nlt_f32_e64 s[28:29], s41, v12
	v_ldexp_f32 v12, v14, v15
	v_sub_f32_e32 v14, v51, v17
	v_mul_f32_e32 v15, 0x3fb8aa3b, v14
	v_fma_f32 v18, v14, s39, -v15
	v_rndne_f32_e32 v19, v15
	v_fmac_f32_e32 v18, 0x32a5705f, v14
	v_sub_f32_e32 v15, v15, v19
	v_add_f32_e32 v15, v15, v18
	v_exp_f32_e32 v15, v15
	v_cvt_i32_f32_e32 v18, v19
	v_cndmask_b32_e64 v11, v10, v11, s[28:29]
	;; [unrolled: 15-line block ×5, first 2 shown]
	v_cndmask_b32_e64 v14, 0, v14, s[20:21]
	v_cmp_ngt_f32_e64 s[20:21], s40, v18
	v_cndmask_b32_e64 v15, 0, v15, s[20:21]
	v_cmp_nlt_f32_e64 s[20:21], s41, v18
	v_ldexp_f32 v18, v20, v21
	v_sub_f32_e32 v20, v32, v17
	v_mul_f32_e32 v21, 0x3fb8aa3b, v20
	v_fma_f32 v22, v20, s39, -v21
	v_rndne_f32_e32 v23, v21
	v_fmac_f32_e32 v22, 0x32a5705f, v20
	v_sub_f32_e32 v21, v21, v23
	v_cndmask_b32_e64 v15, v10, v15, s[20:21]
	v_add_f32_e32 v21, v21, v22
	v_cndmask_b32_e64 v15, 0, v15, s[18:19]
	v_cmp_ngt_f32_e64 s[18:19], s40, v19
	v_exp_f32_e32 v21, v21
	v_cvt_i32_f32_e32 v22, v23
	v_cndmask_b32_e64 v18, 0, v18, s[18:19]
	v_cmp_nlt_f32_e64 s[18:19], s41, v19
	v_cndmask_b32_e64 v18, v10, v18, s[18:19]
	v_cndmask_b32_e64 v18, 0, v18, s[16:17]
	v_sub_f32_e32 v19, v33, v17
	s_waitcnt vmcnt(7)
	v_mul_f32_e32 v16, v16, v18
	v_ldexp_f32 v18, v21, v22
	v_mul_f32_e32 v21, 0x3fb8aa3b, v19
	v_fma_f32 v22, v19, s39, -v21
	v_rndne_f32_e32 v23, v21
	v_fmac_f32_e32 v22, 0x32a5705f, v19
	v_sub_f32_e32 v21, v21, v23
	v_add_f32_e32 v21, v21, v22
	v_cmp_ngt_f32_e64 s[16:17], s40, v20
	v_exp_f32_e32 v21, v21
	v_cvt_i32_f32_e32 v22, v23
	v_cndmask_b32_e64 v18, 0, v18, s[16:17]
	v_cmp_nlt_f32_e64 s[16:17], s41, v20
	v_cndmask_b32_e64 v18, v10, v18, s[16:17]
	v_cndmask_b32_e64 v18, 0, v18, s[14:15]
	v_sub_f32_e32 v20, v34, v17
	s_waitcnt vmcnt(6)
	v_mul_f32_e32 v2, v2, v18
	v_ldexp_f32 v18, v21, v22
	v_mul_f32_e32 v21, 0x3fb8aa3b, v20
	v_fma_f32 v22, v20, s39, -v21
	v_rndne_f32_e32 v23, v21
	v_fmac_f32_e32 v22, 0x32a5705f, v20
	v_sub_f32_e32 v21, v21, v23
	v_add_f32_e32 v21, v21, v22
	;; [unrolled: 17-line block ×4, first 2 shown]
	v_exp_f32_e32 v21, v21
	v_cvt_i32_f32_e32 v22, v23
	v_cmp_ngt_f32_e64 s[10:11], s40, v19
	v_cndmask_b32_e64 v18, 0, v18, s[10:11]
	v_cmp_nlt_f32_e64 s[10:11], s41, v19
	v_ldexp_f32 v19, v21, v22
	v_sub_f32_e32 v21, v37, v17
	v_mul_f32_e32 v22, 0x3fb8aa3b, v21
	v_fma_f32 v23, v21, s39, -v22
	v_rndne_f32_e32 v24, v22
	v_fmac_f32_e32 v23, 0x32a5705f, v21
	v_sub_f32_e32 v22, v22, v24
	v_add_f32_e32 v22, v22, v23
	v_exp_f32_e32 v22, v22
	v_cvt_i32_f32_e32 v23, v24
	v_cndmask_b32_e64 v18, v10, v18, s[10:11]
	v_cndmask_b32_e64 v18, 0, v18, s[8:9]
	v_cmp_ngt_f32_e64 s[8:9], s40, v20
	v_sub_f32_e32 v17, v38, v17
	v_cndmask_b32_e64 v19, 0, v19, s[8:9]
	v_cmp_nlt_f32_e64 s[8:9], s41, v20
	v_ldexp_f32 v20, v22, v23
	v_mul_f32_e32 v22, 0x3fb8aa3b, v17
	v_fma_f32 v23, v17, s39, -v22
	v_rndne_f32_e32 v24, v22
	v_fmac_f32_e32 v23, 0x32a5705f, v17
	v_sub_f32_e32 v22, v22, v24
	v_add_f32_e32 v22, v22, v23
	v_cndmask_b32_e64 v19, v10, v19, s[8:9]
	v_exp_f32_e32 v22, v22
	v_cvt_i32_f32_e32 v23, v24
	v_cndmask_b32_e64 v19, 0, v19, s[2:3]
	v_cmp_ngt_f32_e64 s[2:3], s40, v21
	v_cndmask_b32_e64 v20, 0, v20, s[2:3]
	v_cmp_nlt_f32_e64 s[2:3], s41, v21
	v_cndmask_b32_e64 v20, v10, v20, s[2:3]
	v_mul_f32_e32 v1, v54, v1
	v_mul_f32_e32 v9, v55, v9
	v_cndmask_b32_e64 v20, 0, v20, s[0:1]
	v_ldexp_f32 v21, v22, v23
	v_cmp_ngt_f32_e64 s[0:1], s40, v17
	v_mul_f32_e32 v11, v56, v11
	v_cndmask_b32_e64 v21, 0, v21, s[0:1]
	v_cmp_nlt_f32_e64 s[0:1], s41, v17
	v_add_f32_e32 v17, v1, v9
	v_mul_f32_e32 v12, v57, v12
	v_add_f32_e32 v17, v17, v11
	v_mul_f32_e32 v13, v58, v13
	;; [unrolled: 2-line block ×4, first 2 shown]
	v_add_f32_e32 v17, v17, v14
	v_add_f32_e32 v17, v17, v15
	v_add_f32_e32 v17, v17, v16
	v_add_f32_e32 v17, v17, v2
	v_add_f32_e32 v17, v17, v3
	v_add_f32_e32 v17, v17, v4
	s_waitcnt vmcnt(3)
	v_fmac_f32_e32 v17, v5, v18
	v_cndmask_b32_e64 v10, v10, v21, s[0:1]
	s_waitcnt vmcnt(2)
	v_fmac_f32_e32 v17, v6, v19
	v_cndmask_b32_e32 v10, 0, v10, vcc
	s_waitcnt vmcnt(1)
	v_fmac_f32_e32 v17, v7, v20
	s_waitcnt vmcnt(0)
	v_fmac_f32_e32 v17, v8, v10
	ds_bpermute_b32 v21, v42, v17
	v_mul_f32_e32 v5, v5, v18
	v_mul_f32_e32 v8, v8, v10
	v_lshlrev_b32_e32 v10, 2, v0
	ds_write2st64_b32 v10, v1, v9 offset1:1
	s_waitcnt lgkmcnt(1)
	v_add_f32_e32 v17, v17, v21
	ds_bpermute_b32 v21, v43, v17
	ds_write2st64_b32 v10, v11, v12 offset0:2 offset1:3
	ds_write2st64_b32 v10, v13, v14 offset0:4 offset1:5
	;; [unrolled: 1-line block ×4, first 2 shown]
	v_cmp_eq_u32_e32 vcc, 0, v0
	v_mul_f32_e32 v6, v6, v19
	v_mul_f32_e32 v7, v7, v20
	s_waitcnt lgkmcnt(4)
	v_add_f32_e32 v17, v17, v21
	ds_bpermute_b32 v21, v44, v17
	ds_write2st64_b32 v10, v4, v5 offset0:10 offset1:11
	ds_write2st64_b32 v10, v6, v7 offset0:12 offset1:13
	ds_write_b32 v10, v8 offset:3584
	s_waitcnt lgkmcnt(3)
	v_add_f32_e32 v17, v17, v21
	ds_bpermute_b32 v18, v45, v17
	s_waitcnt lgkmcnt(0)
	v_add_f32_e32 v1, v17, v18
	ds_bpermute_b32 v9, v47, v1
	;; [unrolled: 3-line block ×3, first 2 shown]
	s_and_saveexec_b64 s[0:1], vcc
	s_cbranch_execz .LBB34_8
; %bb.7:
	s_waitcnt lgkmcnt(0)
	v_add_f32_e32 v1, v1, v2
	v_mov_b32_e32 v2, 0
	ds_write_b32 v2, v1 offset:3840
.LBB34_8:
	s_or_b64 exec, exec, s[0:1]
	v_mov_b32_e32 v1, s38
.LBB34_9:
	s_or_b64 exec, exec, s[52:53]
	s_lshl_b32 s0, s54, 6
	s_mov_b32 s1, 0
	s_lshl_b64 s[0:1], s[0:1], 1
	s_add_u32 s0, s36, s0
	s_addc_u32 s1, s37, s1
	s_lshl_b32 s10, s33, 6
	s_waitcnt lgkmcnt(0)
	v_lshlrev_b32_e32 v2, 6, v1
	v_mov_b32_e32 v3, 0
	s_sub_i32 s11, s10, 64
	v_lshlrev_b64 v[4:5], 1, v[2:3]
	s_cmp_lt_i32 s58, 1
	v_mov_b32_e32 v1, s1
	v_add_co_u32_e32 v4, vcc, s0, v4
	s_cselect_b32 s0, s11, 0
	v_addc_co_u32_e32 v1, vcc, v1, v5, vcc
	v_lshlrev_b32_e32 v2, 1, v0
	s_ashr_i32 s1, s0, 31
	v_add_co_u32_e32 v0, vcc, v4, v2
	s_lshl_b64 s[0:1], s[0:1], 1
	v_addc_co_u32_e32 v1, vcc, 0, v1, vcc
	s_cmpk_lt_i32 s58, 0x101
	v_add_co_u32_e32 v12, vcc, s0, v0
	s_cselect_b32 s0, s11, 64
	v_mov_b32_e32 v4, s1
	s_ashr_i32 s1, s0, 31
	s_lshl_b64 s[0:1], s[0:1], 1
	v_addc_co_u32_e32 v13, vcc, v1, v4, vcc
	s_cmpk_lt_i32 s58, 0x201
	v_add_co_u32_e32 v14, vcc, s0, v0
	s_cselect_b32 s0, s11, 0x80
	v_mov_b32_e32 v4, s1
	s_ashr_i32 s1, s0, 31
	;; [unrolled: 7-line block ×8, first 2 shown]
	s_lshl_b64 s[0:1], s[0:1], 1
	v_addc_co_u32_e32 v27, vcc, v1, v4, vcc
	s_cmpk_lt_i32 s58, 0x901
	global_load_ushort v4, v[12:13], off
	global_load_ushort v5, v[14:15], off
	;; [unrolled: 1-line block ×8, first 2 shown]
	v_add_co_u32_e32 v20, vcc, s0, v0
	s_cselect_b32 s0, s11, 0x240
	v_mov_b32_e32 v12, s1
	s_ashr_i32 s1, s0, 31
	s_lshl_b64 s[0:1], s[0:1], 1
	v_addc_co_u32_e32 v21, vcc, v1, v12, vcc
	s_cmpk_lt_i32 s58, 0xa01
	v_add_co_u32_e32 v22, vcc, s0, v0
	s_cselect_b32 s0, s11, 0x280
	v_mov_b32_e32 v12, s1
	s_ashr_i32 s1, s0, 31
	s_lshl_b64 s[0:1], s[0:1], 1
	v_addc_co_u32_e32 v23, vcc, v1, v12, vcc
	s_cmpk_lt_i32 s58, 0xb01
	v_add_co_u32_e32 v24, vcc, s0, v0
	s_cselect_b32 s0, s11, 0x2c0
	v_mov_b32_e32 v12, s1
	s_ashr_i32 s1, s0, 31
	s_lshl_b64 s[0:1], s[0:1], 1
	v_addc_co_u32_e32 v25, vcc, v1, v12, vcc
	s_cmpk_lt_i32 s58, 0xc01
	v_add_co_u32_e32 v26, vcc, s0, v0
	s_cselect_b32 s0, s11, 0x300
	v_mov_b32_e32 v12, s1
	s_ashr_i32 s1, s0, 31
	s_lshl_b64 s[0:1], s[0:1], 1
	v_addc_co_u32_e32 v27, vcc, v1, v12, vcc
	s_cmpk_lt_i32 s58, 0xd01
	v_add_co_u32_e32 v28, vcc, s0, v0
	s_cselect_b32 s0, s11, 0x340
	v_mov_b32_e32 v12, s1
	s_ashr_i32 s1, s0, 31
	s_lshl_b64 s[0:1], s[0:1], 1
	v_addc_co_u32_e32 v29, vcc, v1, v12, vcc
	s_cmpk_lt_i32 s58, 0xe01
	v_add_co_u32_e32 v30, vcc, s0, v0
	s_cselect_b32 s0, s11, 0x380
	v_mov_b32_e32 v12, s1
	s_ashr_i32 s1, s0, 31
	s_lshl_b64 s[0:1], s[0:1], 1
	v_addc_co_u32_e32 v31, vcc, v1, v12, vcc
	s_cmpk_lt_i32 s58, 0xf01
	v_add_co_u32_e32 v32, vcc, s0, v0
	s_cselect_b32 s0, s11, 0x3c0
	v_mov_b32_e32 v12, s1
	s_ashr_i32 s1, s0, 31
	v_addc_co_u32_e32 v33, vcc, v1, v12, vcc
	s_lshl_b64 s[0:1], s[0:1], 1
	v_mov_b32_e32 v12, s1
	v_add_co_u32_e32 v34, vcc, s0, v0
	v_addc_co_u32_e32 v35, vcc, v1, v12, vcc
	global_load_ushort v12, v[20:21], off
	global_load_ushort v13, v[22:23], off
	;; [unrolled: 1-line block ×8, first 2 shown]
	s_cmpk_gt_i32 s58, 0x1000
	s_cselect_b64 s[8:9], -1, 0
	s_cmpk_lt_i32 s58, 0x1001
	v_mov_b32_e32 v36, 0
	v_mov_b32_e32 v37, 0
	;; [unrolled: 1-line block ×48, first 2 shown]
	s_waitcnt lgkmcnt(0)
	; wave barrier
	s_cbranch_scc1 .LBB34_12
; %bb.10:
	s_cmpk_lt_u32 s58, 0x1101
	s_cselect_b32 s0, s11, 0x440
	s_ashr_i32 s1, s0, 31
	s_lshl_b64 s[0:1], s[0:1], 1
	s_cmpk_lt_u32 s58, 0x1201
	v_add_co_u32_e32 v28, vcc, s0, v0
	s_cselect_b32 s0, s11, 0x480
	v_mov_b32_e32 v20, s1
	s_ashr_i32 s1, s0, 31
	s_lshl_b64 s[0:1], s[0:1], 1
	v_addc_co_u32_e32 v29, vcc, v1, v20, vcc
	s_cmpk_lt_u32 s58, 0x1301
	v_add_co_u32_e32 v30, vcc, s0, v0
	s_cselect_b32 s0, s11, 0x4c0
	v_mov_b32_e32 v20, s1
	s_ashr_i32 s1, s0, 31
	s_lshl_b64 s[0:1], s[0:1], 1
	v_addc_co_u32_e32 v31, vcc, v1, v20, vcc
	;; [unrolled: 7-line block ×7, first 2 shown]
	s_cmpk_lt_u32 s58, 0x1901
	global_load_ushort v27, v[0:1], off offset:2048
	global_load_ushort v26, v[28:29], off
	global_load_ushort v25, v[30:31], off
	;; [unrolled: 1-line block ×7, first 2 shown]
	v_add_co_u32_e32 v36, vcc, s0, v0
	s_cselect_b32 s0, s11, 0x640
	v_mov_b32_e32 v28, s1
	s_ashr_i32 s1, s0, 31
	s_lshl_b64 s[0:1], s[0:1], 1
	v_addc_co_u32_e32 v37, vcc, v1, v28, vcc
	s_cmpk_lt_u32 s58, 0x1a01
	v_add_co_u32_e32 v38, vcc, s0, v0
	s_cselect_b32 s0, s11, 0x680
	v_mov_b32_e32 v28, s1
	s_ashr_i32 s1, s0, 31
	s_lshl_b64 s[0:1], s[0:1], 1
	v_addc_co_u32_e32 v39, vcc, v1, v28, vcc
	s_cmpk_lt_u32 s58, 0x1b01
	;; [unrolled: 7-line block ×6, first 2 shown]
	v_add_co_u32_e32 v48, vcc, s0, v0
	s_cselect_b32 s0, s11, 0x7c0
	v_mov_b32_e32 v28, s1
	s_ashr_i32 s1, s0, 31
	v_addc_co_u32_e32 v49, vcc, v1, v28, vcc
	s_lshl_b64 s[0:1], s[0:1], 1
	v_mov_b32_e32 v28, s1
	v_add_co_u32_e32 v50, vcc, s0, v0
	v_addc_co_u32_e32 v51, vcc, v1, v28, vcc
	global_load_ushort v35, v[36:37], off
	global_load_ushort v34, v[38:39], off
	;; [unrolled: 1-line block ×8, first 2 shown]
	s_cmpk_lt_u32 s58, 0x2001
	v_mov_b32_e32 v67, 0
	v_mov_b32_e32 v66, 0
	;; [unrolled: 1-line block ×32, first 2 shown]
	s_cbranch_scc1 .LBB34_12
; %bb.11:
	s_cmpk_lt_u32 s58, 0x2101
	s_cselect_b32 s0, s11, 0x840
	s_ashr_i32 s1, s0, 31
	v_add_co_u32_e32 v36, vcc, 0x1000, v0
	s_lshl_b64 s[0:1], s[0:1], 1
	v_addc_co_u32_e32 v37, vcc, 0, v1, vcc
	s_cmpk_lt_u32 s58, 0x2201
	v_add_co_u32_e32 v38, vcc, s0, v0
	s_cselect_b32 s0, s11, 0x880
	v_mov_b32_e32 v39, s1
	s_ashr_i32 s1, s0, 31
	s_lshl_b64 s[0:1], s[0:1], 1
	v_addc_co_u32_e32 v39, vcc, v1, v39, vcc
	s_cmpk_lt_u32 s58, 0x2301
	v_add_co_u32_e32 v40, vcc, s0, v0
	s_cselect_b32 s0, s11, 0x8c0
	v_mov_b32_e32 v41, s1
	s_ashr_i32 s1, s0, 31
	s_lshl_b64 s[0:1], s[0:1], 1
	v_addc_co_u32_e32 v41, vcc, v1, v41, vcc
	s_cmpk_lt_u32 s58, 0x2401
	v_add_co_u32_e32 v42, vcc, s0, v0
	s_cselect_b32 s0, s11, 0x900
	v_mov_b32_e32 v43, s1
	s_ashr_i32 s1, s0, 31
	s_lshl_b64 s[0:1], s[0:1], 1
	v_addc_co_u32_e32 v43, vcc, v1, v43, vcc
	s_cmpk_lt_u32 s58, 0x2501
	v_add_co_u32_e32 v44, vcc, s0, v0
	s_cselect_b32 s0, s11, 0x940
	v_mov_b32_e32 v45, s1
	s_ashr_i32 s1, s0, 31
	s_lshl_b64 s[0:1], s[0:1], 1
	v_addc_co_u32_e32 v45, vcc, v1, v45, vcc
	s_cmpk_lt_u32 s58, 0x2601
	v_add_co_u32_e32 v46, vcc, s0, v0
	s_cselect_b32 s0, s11, 0x980
	v_mov_b32_e32 v47, s1
	s_ashr_i32 s1, s0, 31
	s_lshl_b64 s[0:1], s[0:1], 1
	v_addc_co_u32_e32 v47, vcc, v1, v47, vcc
	s_cmpk_lt_u32 s58, 0x2701
	v_add_co_u32_e32 v48, vcc, s0, v0
	s_cselect_b32 s0, s11, 0x9c0
	v_mov_b32_e32 v49, s1
	s_ashr_i32 s1, s0, 31
	s_lshl_b64 s[0:1], s[0:1], 1
	v_addc_co_u32_e32 v49, vcc, v1, v49, vcc
	s_cmpk_lt_u32 s58, 0x2801
	v_add_co_u32_e32 v50, vcc, s0, v0
	s_cselect_b32 s0, s11, 0xa00
	v_mov_b32_e32 v51, s1
	s_ashr_i32 s1, s0, 31
	s_lshl_b64 s[0:1], s[0:1], 1
	v_addc_co_u32_e32 v51, vcc, v1, v51, vcc
	s_cmpk_lt_u32 s58, 0x2901
	global_load_ushort v52, v[36:37], off
	global_load_ushort v53, v[38:39], off
	global_load_ushort v54, v[40:41], off
	global_load_ushort v55, v[42:43], off
	global_load_ushort v56, v[44:45], off
	global_load_ushort v57, v[46:47], off
	global_load_ushort v58, v[48:49], off
	global_load_ushort v59, v[50:51], off
	v_add_co_u32_e32 v36, vcc, s0, v0
	s_cselect_b32 s0, s11, 0xa40
	v_mov_b32_e32 v37, s1
	s_ashr_i32 s1, s0, 31
	s_lshl_b64 s[0:1], s[0:1], 1
	v_addc_co_u32_e32 v37, vcc, v1, v37, vcc
	s_cmpk_lt_u32 s58, 0x2a01
	v_add_co_u32_e32 v38, vcc, s0, v0
	s_cselect_b32 s0, s11, 0xa80
	v_mov_b32_e32 v39, s1
	s_ashr_i32 s1, s0, 31
	s_lshl_b64 s[0:1], s[0:1], 1
	v_addc_co_u32_e32 v39, vcc, v1, v39, vcc
	s_cmpk_lt_u32 s58, 0x2b01
	v_add_co_u32_e32 v40, vcc, s0, v0
	s_cselect_b32 s0, s11, 0xac0
	v_mov_b32_e32 v41, s1
	s_ashr_i32 s1, s0, 31
	s_lshl_b64 s[0:1], s[0:1], 1
	v_addc_co_u32_e32 v41, vcc, v1, v41, vcc
	s_cmpk_lt_u32 s58, 0x2c01
	v_add_co_u32_e32 v42, vcc, s0, v0
	s_cselect_b32 s0, s11, 0xb00
	v_mov_b32_e32 v43, s1
	s_ashr_i32 s1, s0, 31
	s_lshl_b64 s[0:1], s[0:1], 1
	v_addc_co_u32_e32 v43, vcc, v1, v43, vcc
	s_cmpk_lt_u32 s58, 0x2d01
	v_add_co_u32_e32 v44, vcc, s0, v0
	s_cselect_b32 s0, s11, 0xb40
	v_mov_b32_e32 v45, s1
	s_ashr_i32 s1, s0, 31
	s_lshl_b64 s[0:1], s[0:1], 1
	v_addc_co_u32_e32 v45, vcc, v1, v45, vcc
	s_cmpk_lt_u32 s58, 0x2e01
	v_add_co_u32_e32 v46, vcc, s0, v0
	s_cselect_b32 s0, s11, 0xb80
	v_mov_b32_e32 v47, s1
	s_ashr_i32 s1, s0, 31
	s_lshl_b64 s[0:1], s[0:1], 1
	v_addc_co_u32_e32 v47, vcc, v1, v47, vcc
	s_cmpk_lt_u32 s58, 0x2f01
	v_add_co_u32_e32 v48, vcc, s0, v0
	s_cselect_b32 s0, s11, 0xbc0
	v_mov_b32_e32 v49, s1
	s_ashr_i32 s1, s0, 31
	s_lshl_b64 s[0:1], s[0:1], 1
	v_addc_co_u32_e32 v49, vcc, v1, v49, vcc
	s_cmpk_lt_u32 s58, 0x3001
	v_add_co_u32_e32 v50, vcc, s0, v0
	s_cselect_b32 s0, s11, 0xc00
	v_mov_b32_e32 v51, s1
	s_ashr_i32 s1, s0, 31
	s_lshl_b64 s[0:1], s[0:1], 1
	v_addc_co_u32_e32 v51, vcc, v1, v51, vcc
	s_cmpk_lt_u32 s58, 0x3101
	global_load_ushort v68, v[36:37], off
	global_load_ushort v69, v[38:39], off
	global_load_ushort v70, v[40:41], off
	global_load_ushort v71, v[42:43], off
	global_load_ushort v72, v[44:45], off
	global_load_ushort v73, v[46:47], off
	global_load_ushort v74, v[48:49], off
	global_load_ushort v75, v[50:51], off
	v_add_co_u32_e32 v36, vcc, s0, v0
	s_cselect_b32 s0, s11, 0xc40
	v_mov_b32_e32 v37, s1
	s_ashr_i32 s1, s0, 31
	;; [unrolled: 64-line block ×3, first 2 shown]
	s_lshl_b64 s[0:1], s[0:1], 1
	v_addc_co_u32_e32 v37, vcc, v1, v37, vcc
	s_cmpk_lt_u32 s58, 0x3a01
	v_add_co_u32_e32 v38, vcc, s0, v0
	s_cselect_b32 s0, s11, 0xe80
	v_mov_b32_e32 v39, s1
	s_ashr_i32 s1, s0, 31
	s_lshl_b64 s[0:1], s[0:1], 1
	v_addc_co_u32_e32 v39, vcc, v1, v39, vcc
	s_cmpk_lt_u32 s58, 0x3b01
	v_add_co_u32_e32 v40, vcc, s0, v0
	s_cselect_b32 s0, s11, 0xec0
	v_mov_b32_e32 v41, s1
	s_ashr_i32 s1, s0, 31
	;; [unrolled: 7-line block ×6, first 2 shown]
	v_addc_co_u32_e32 v49, vcc, v1, v49, vcc
	s_lshl_b64 s[0:1], s[0:1], 1
	v_mov_b32_e32 v51, s1
	v_add_co_u32_e32 v50, vcc, s0, v0
	v_addc_co_u32_e32 v51, vcc, v1, v51, vcc
	global_load_ushort v84, v[36:37], off
	global_load_ushort v85, v[38:39], off
	;; [unrolled: 1-line block ×8, first 2 shown]
	s_waitcnt vmcnt(31)
	v_cvt_f32_f16_e32 v67, v52
	s_waitcnt vmcnt(30)
	v_cvt_f32_f16_e32 v66, v53
	;; [unrolled: 2-line block ×32, first 2 shown]
.LBB34_12:
	ds_read_b128 v[68:71], v3
	s_load_dwordx2 s[0:1], s[4:5], 0x0
	s_load_dwordx2 s[2:3], s[4:5], 0x38
	ds_read_b128 v[72:75], v3 offset:16
	ds_read_b128 v[76:79], v3 offset:32
	;; [unrolled: 1-line block ×3, first 2 shown]
	s_and_b64 vcc, exec, s[8:9]
	s_waitcnt vmcnt(15) lgkmcnt(0)
	v_fma_mix_f32 v4, v68, v4, 0 op_sel_hi:[0,1,0]
	s_waitcnt vmcnt(14)
	v_fma_mix_f32 v4, v69, v5, v4 op_sel_hi:[0,1,0]
	s_waitcnt vmcnt(13)
	;; [unrolled: 2-line block ×15, first 2 shown]
	v_fma_mix_f32 v4, v83, v19, v4 op_sel_hi:[0,1,0]
	s_cbranch_vccz .LBB34_15
; %bb.13:
	ds_read_b128 v[6:9], v3 offset:64
	ds_read_b128 v[10:13], v3 offset:80
	;; [unrolled: 1-line block ×4, first 2 shown]
	s_cmpk_lt_u32 s58, 0x2001
	s_waitcnt lgkmcnt(3)
	v_fma_mix_f32 v3, v6, v27, v4 op_sel_hi:[0,1,0]
	v_fma_mix_f32 v3, v7, v26, v3 op_sel_hi:[0,1,0]
	v_fma_mix_f32 v3, v8, v25, v3 op_sel_hi:[0,1,0]
	v_fma_mix_f32 v3, v9, v24, v3 op_sel_hi:[0,1,0]
	s_waitcnt lgkmcnt(2)
	v_fma_mix_f32 v3, v10, v23, v3 op_sel_hi:[0,1,0]
	v_fma_mix_f32 v3, v11, v22, v3 op_sel_hi:[0,1,0]
	v_fma_mix_f32 v3, v12, v20, v3 op_sel_hi:[0,1,0]
	v_fma_mix_f32 v3, v13, v21, v3 op_sel_hi:[0,1,0]
	;; [unrolled: 5-line block ×4, first 2 shown]
	s_cbranch_scc1 .LBB34_15
; %bb.14:
	v_mov_b32_e32 v3, 0
	ds_read_b128 v[6:9], v3 offset:128
	ds_read_b128 v[10:13], v3 offset:144
	;; [unrolled: 1-line block ×4, first 2 shown]
	s_waitcnt lgkmcnt(3)
	v_fmac_f32_e32 v4, v6, v67
	v_fmac_f32_e32 v4, v7, v66
	v_fmac_f32_e32 v4, v8, v65
	v_fmac_f32_e32 v4, v9, v64
	s_waitcnt lgkmcnt(2)
	v_fmac_f32_e32 v4, v10, v63
	v_fmac_f32_e32 v4, v11, v62
	v_fmac_f32_e32 v4, v12, v61
	v_fmac_f32_e32 v4, v13, v60
	;; [unrolled: 5-line block ×3, first 2 shown]
	ds_read_b128 v[6:9], v3 offset:192
	ds_read_b128 v[10:13], v3 offset:208
	s_waitcnt lgkmcnt(2)
	v_fmac_f32_e32 v4, v18, v55
	v_fmac_f32_e32 v4, v19, v54
	;; [unrolled: 1-line block ×4, first 2 shown]
	s_waitcnt lgkmcnt(1)
	v_fmac_f32_e32 v4, v6, v51
	v_fmac_f32_e32 v4, v7, v50
	v_fmac_f32_e32 v4, v8, v49
	v_fmac_f32_e32 v4, v9, v48
	ds_read_b128 v[6:9], v3 offset:224
	s_waitcnt lgkmcnt(1)
	v_fmac_f32_e32 v4, v10, v47
	v_fmac_f32_e32 v4, v11, v46
	;; [unrolled: 1-line block ×4, first 2 shown]
	ds_read_b128 v[10:13], v3 offset:240
	s_waitcnt lgkmcnt(1)
	v_fmac_f32_e32 v4, v6, v43
	v_fmac_f32_e32 v4, v7, v42
	;; [unrolled: 1-line block ×4, first 2 shown]
	s_waitcnt lgkmcnt(0)
	v_fmac_f32_e32 v4, v10, v39
	v_fmac_f32_e32 v4, v11, v38
	;; [unrolled: 1-line block ×4, first 2 shown]
.LBB34_15:
	s_movk_i32 s4, 0x1fc0
	s_movk_i32 s5, 0x100
	s_mov_b32 s8, 64
	s_branch .LBB34_17
.LBB34_16:                              ;   in Loop: Header=BB34_17 Depth=1
	s_addk_i32 s4, 0x1000
	s_addk_i32 s5, 0x100
	s_add_i32 s8, s8, 64
	s_cmpk_eq_u32 s4, 0xffc0
	s_cbranch_scc1 .LBB34_19
.LBB34_17:                              ; =>This Inner Loop Header: Depth=1
	s_cmp_le_i32 s33, s8
	s_cbranch_scc1 .LBB34_16
; %bb.18:                               ;   in Loop: Header=BB34_17 Depth=1
	s_add_i32 s9, s4, 0xfffff040
	s_cmp_lt_i32 s9, s10
	s_cselect_b32 s12, s9, s11
	s_ashr_i32 s13, s12, 31
	s_lshl_b64 s[12:13], s[12:13], 1
	s_add_i32 s9, s4, 0xfffff080
	s_cmp_lt_i32 s9, s10
	v_add_co_u32_e32 v12, vcc, s12, v0
	s_cselect_b32 s12, s9, s11
	v_mov_b32_e32 v3, s13
	s_ashr_i32 s13, s12, 31
	s_lshl_b64 s[12:13], s[12:13], 1
	s_add_i32 s9, s4, 0xfffff0c0
	v_addc_co_u32_e32 v13, vcc, v1, v3, vcc
	s_cmp_lt_i32 s9, s10
	v_add_co_u32_e32 v14, vcc, s12, v0
	s_cselect_b32 s12, s9, s11
	v_mov_b32_e32 v3, s13
	s_ashr_i32 s13, s12, 31
	s_lshl_b64 s[12:13], s[12:13], 1
	s_add_i32 s9, s4, 0xfffff100
	v_addc_co_u32_e32 v15, vcc, v1, v3, vcc
	;; [unrolled: 8-line block ×8, first 2 shown]
	s_cmp_lt_i32 s9, s10
	global_load_ushort v3, v[12:13], off
	global_load_ushort v5, v[14:15], off
	;; [unrolled: 1-line block ×8, first 2 shown]
	v_add_co_u32_e32 v20, vcc, s12, v0
	s_cselect_b32 s12, s9, s11
	v_mov_b32_e32 v12, s13
	s_ashr_i32 s13, s12, 31
	s_lshl_b64 s[12:13], s[12:13], 1
	s_add_i32 s9, s4, 0xfffff2c0
	v_addc_co_u32_e32 v21, vcc, v1, v12, vcc
	s_cmp_lt_i32 s9, s10
	v_add_co_u32_e32 v22, vcc, s12, v0
	s_cselect_b32 s12, s9, s11
	v_mov_b32_e32 v12, s13
	s_ashr_i32 s13, s12, 31
	s_lshl_b64 s[12:13], s[12:13], 1
	s_add_i32 s9, s4, 0xfffff300
	v_addc_co_u32_e32 v23, vcc, v1, v12, vcc
	s_cmp_lt_i32 s9, s10
	v_add_co_u32_e32 v24, vcc, s12, v0
	s_cselect_b32 s12, s9, s11
	v_mov_b32_e32 v12, s13
	s_ashr_i32 s13, s12, 31
	s_lshl_b64 s[12:13], s[12:13], 1
	s_add_i32 s9, s4, 0xfffff340
	v_addc_co_u32_e32 v25, vcc, v1, v12, vcc
	s_cmp_lt_i32 s9, s10
	v_add_co_u32_e32 v26, vcc, s12, v0
	s_cselect_b32 s12, s9, s11
	v_mov_b32_e32 v12, s13
	s_ashr_i32 s13, s12, 31
	s_lshl_b64 s[12:13], s[12:13], 1
	s_add_i32 s9, s4, 0xfffff380
	v_addc_co_u32_e32 v27, vcc, v1, v12, vcc
	s_cmp_lt_i32 s9, s10
	v_add_co_u32_e32 v28, vcc, s12, v0
	s_cselect_b32 s12, s9, s11
	v_mov_b32_e32 v12, s13
	s_ashr_i32 s13, s12, 31
	s_lshl_b64 s[12:13], s[12:13], 1
	s_add_i32 s9, s4, 0xfffff3c0
	v_addc_co_u32_e32 v29, vcc, v1, v12, vcc
	s_cmp_lt_i32 s9, s10
	v_add_co_u32_e32 v30, vcc, s12, v0
	s_cselect_b32 s12, s9, s11
	v_mov_b32_e32 v12, s13
	s_ashr_i32 s13, s12, 31
	s_lshl_b64 s[12:13], s[12:13], 1
	s_add_i32 s9, s4, 0xfffff400
	v_addc_co_u32_e32 v31, vcc, v1, v12, vcc
	s_cmp_lt_i32 s9, s10
	v_add_co_u32_e32 v32, vcc, s12, v0
	s_cselect_b32 s12, s9, s11
	v_mov_b32_e32 v12, s13
	s_ashr_i32 s13, s12, 31
	s_lshl_b64 s[12:13], s[12:13], 1
	s_add_i32 s9, s4, 0xfffff440
	v_addc_co_u32_e32 v33, vcc, v1, v12, vcc
	s_cmp_lt_i32 s9, s10
	v_add_co_u32_e32 v34, vcc, s12, v0
	s_cselect_b32 s12, s9, s11
	v_mov_b32_e32 v12, s13
	s_ashr_i32 s13, s12, 31
	s_lshl_b64 s[12:13], s[12:13], 1
	s_add_i32 s9, s4, 0xfffff480
	v_addc_co_u32_e32 v35, vcc, v1, v12, vcc
	s_cmp_lt_i32 s9, s10
	global_load_ushort v15, v[20:21], off
	global_load_ushort v16, v[22:23], off
	;; [unrolled: 1-line block ×8, first 2 shown]
	v_add_co_u32_e32 v28, vcc, s12, v0
	s_cselect_b32 s12, s9, s11
	v_mov_b32_e32 v20, s13
	s_ashr_i32 s13, s12, 31
	s_lshl_b64 s[12:13], s[12:13], 1
	s_add_i32 s9, s4, 0xfffff4c0
	v_addc_co_u32_e32 v29, vcc, v1, v20, vcc
	s_cmp_lt_i32 s9, s10
	v_add_co_u32_e32 v30, vcc, s12, v0
	s_cselect_b32 s12, s9, s11
	v_mov_b32_e32 v20, s13
	s_ashr_i32 s13, s12, 31
	s_lshl_b64 s[12:13], s[12:13], 1
	s_add_i32 s9, s4, 0xfffff500
	v_addc_co_u32_e32 v31, vcc, v1, v20, vcc
	s_cmp_lt_i32 s9, s10
	;; [unrolled: 8-line block ×8, first 2 shown]
	global_load_ushort v23, v[28:29], off
	global_load_ushort v24, v[30:31], off
	;; [unrolled: 1-line block ×8, first 2 shown]
	v_add_co_u32_e32 v36, vcc, s12, v0
	s_cselect_b32 s12, s9, s11
	v_mov_b32_e32 v28, s13
	s_ashr_i32 s13, s12, 31
	s_lshl_b64 s[12:13], s[12:13], 1
	s_add_i32 s9, s4, 0xfffff6c0
	v_addc_co_u32_e32 v37, vcc, v1, v28, vcc
	s_cmp_lt_i32 s9, s10
	v_add_co_u32_e32 v38, vcc, s12, v0
	s_cselect_b32 s12, s9, s11
	v_mov_b32_e32 v28, s13
	s_ashr_i32 s13, s12, 31
	s_lshl_b64 s[12:13], s[12:13], 1
	s_add_i32 s9, s4, 0xfffff700
	v_addc_co_u32_e32 v39, vcc, v1, v28, vcc
	s_cmp_lt_i32 s9, s10
	;; [unrolled: 8-line block ×8, first 2 shown]
	global_load_ushort v31, v[36:37], off
	global_load_ushort v32, v[38:39], off
	;; [unrolled: 1-line block ×8, first 2 shown]
	v_add_co_u32_e32 v36, vcc, s12, v0
	s_cselect_b32 s12, s9, s11
	v_mov_b32_e32 v37, s13
	s_ashr_i32 s13, s12, 31
	s_lshl_b64 s[12:13], s[12:13], 1
	s_add_i32 s9, s4, 0xfffff8c0
	v_addc_co_u32_e32 v37, vcc, v1, v37, vcc
	s_cmp_lt_i32 s9, s10
	v_add_co_u32_e32 v38, vcc, s12, v0
	s_cselect_b32 s12, s9, s11
	v_mov_b32_e32 v39, s13
	s_ashr_i32 s13, s12, 31
	s_lshl_b64 s[12:13], s[12:13], 1
	s_add_i32 s9, s4, 0xfffff900
	v_addc_co_u32_e32 v39, vcc, v1, v39, vcc
	s_cmp_lt_i32 s9, s10
	;; [unrolled: 8-line block ×8, first 2 shown]
	global_load_ushort v52, v[36:37], off
	global_load_ushort v53, v[38:39], off
	;; [unrolled: 1-line block ×8, first 2 shown]
	v_add_co_u32_e32 v36, vcc, s12, v0
	s_cselect_b32 s12, s9, s11
	v_mov_b32_e32 v37, s13
	s_ashr_i32 s13, s12, 31
	s_lshl_b64 s[12:13], s[12:13], 1
	s_add_i32 s9, s4, 0xfffffac0
	v_addc_co_u32_e32 v37, vcc, v1, v37, vcc
	s_cmp_lt_i32 s9, s10
	v_add_co_u32_e32 v38, vcc, s12, v0
	s_cselect_b32 s12, s9, s11
	v_mov_b32_e32 v39, s13
	s_ashr_i32 s13, s12, 31
	s_lshl_b64 s[12:13], s[12:13], 1
	s_add_i32 s9, s4, 0xfffffb00
	v_addc_co_u32_e32 v39, vcc, v1, v39, vcc
	s_cmp_lt_i32 s9, s10
	v_add_co_u32_e32 v40, vcc, s12, v0
	s_cselect_b32 s12, s9, s11
	v_mov_b32_e32 v41, s13
	s_ashr_i32 s13, s12, 31
	s_lshl_b64 s[12:13], s[12:13], 1
	s_add_i32 s9, s4, 0xfffffb40
	v_addc_co_u32_e32 v41, vcc, v1, v41, vcc
	s_cmp_lt_i32 s9, s10
	v_add_co_u32_e32 v42, vcc, s12, v0
	s_cselect_b32 s12, s9, s11
	v_mov_b32_e32 v43, s13
	s_ashr_i32 s13, s12, 31
	s_lshl_b64 s[12:13], s[12:13], 1
	s_add_i32 s9, s4, 0xfffffb80
	v_addc_co_u32_e32 v43, vcc, v1, v43, vcc
	s_cmp_lt_i32 s9, s10
	v_add_co_u32_e32 v44, vcc, s12, v0
	s_cselect_b32 s12, s9, s11
	v_mov_b32_e32 v45, s13
	s_ashr_i32 s13, s12, 31
	s_lshl_b64 s[12:13], s[12:13], 1
	s_add_i32 s9, s4, 0xfffffbc0
	v_addc_co_u32_e32 v45, vcc, v1, v45, vcc
	s_cmp_lt_i32 s9, s10
	v_add_co_u32_e32 v46, vcc, s12, v0
	s_cselect_b32 s12, s9, s11
	v_mov_b32_e32 v47, s13
	s_ashr_i32 s13, s12, 31
	s_lshl_b64 s[12:13], s[12:13], 1
	s_add_i32 s9, s4, 0xfffffc00
	v_addc_co_u32_e32 v47, vcc, v1, v47, vcc
	s_cmp_lt_i32 s9, s10
	v_add_co_u32_e32 v48, vcc, s12, v0
	s_cselect_b32 s12, s9, s11
	v_mov_b32_e32 v49, s13
	s_ashr_i32 s13, s12, 31
	s_lshl_b64 s[12:13], s[12:13], 1
	s_add_i32 s9, s4, 0xfffffc40
	v_addc_co_u32_e32 v49, vcc, v1, v49, vcc
	s_cmp_lt_i32 s9, s10
	v_add_co_u32_e32 v50, vcc, s12, v0
	s_cselect_b32 s12, s9, s11
	v_mov_b32_e32 v51, s13
	s_ashr_i32 s13, s12, 31
	s_lshl_b64 s[12:13], s[12:13], 1
	s_add_i32 s9, s4, 0xfffffc80
	v_addc_co_u32_e32 v51, vcc, v1, v51, vcc
	s_cmp_lt_i32 s9, s10
	global_load_ushort v60, v[36:37], off
	global_load_ushort v61, v[38:39], off
	;; [unrolled: 1-line block ×8, first 2 shown]
	v_add_co_u32_e32 v36, vcc, s12, v0
	s_cselect_b32 s12, s9, s11
	v_mov_b32_e32 v37, s13
	s_ashr_i32 s13, s12, 31
	s_lshl_b64 s[12:13], s[12:13], 1
	s_add_i32 s9, s4, 0xfffffcc0
	v_addc_co_u32_e32 v37, vcc, v1, v37, vcc
	s_cmp_lt_i32 s9, s10
	v_add_co_u32_e32 v38, vcc, s12, v0
	s_cselect_b32 s12, s9, s11
	v_mov_b32_e32 v39, s13
	s_ashr_i32 s13, s12, 31
	s_lshl_b64 s[12:13], s[12:13], 1
	s_add_i32 s9, s4, 0xfffffd00
	v_addc_co_u32_e32 v39, vcc, v1, v39, vcc
	s_cmp_lt_i32 s9, s10
	;; [unrolled: 8-line block ×8, first 2 shown]
	global_load_ushort v68, v[36:37], off
	global_load_ushort v69, v[38:39], off
	;; [unrolled: 1-line block ×8, first 2 shown]
	v_add_co_u32_e32 v36, vcc, s12, v0
	s_cselect_b32 s12, s9, s11
	v_mov_b32_e32 v37, s13
	s_ashr_i32 s13, s12, 31
	s_lshl_b64 s[12:13], s[12:13], 1
	s_add_i32 s9, s4, 0xfffffec0
	v_addc_co_u32_e32 v37, vcc, v1, v37, vcc
	s_cmp_lt_i32 s9, s10
	v_add_co_u32_e32 v38, vcc, s12, v0
	s_cselect_b32 s12, s9, s11
	v_mov_b32_e32 v39, s13
	s_ashr_i32 s13, s12, 31
	s_lshl_b64 s[12:13], s[12:13], 1
	s_add_i32 s9, s4, 0xffffff00
	v_addc_co_u32_e32 v39, vcc, v1, v39, vcc
	s_cmp_lt_i32 s9, s10
	;; [unrolled: 8-line block ×4, first 2 shown]
	v_add_co_u32_e32 v44, vcc, s12, v0
	s_cselect_b32 s12, s9, s11
	v_mov_b32_e32 v45, s13
	s_ashr_i32 s13, s12, 31
	s_lshl_b64 s[12:13], s[12:13], 1
	s_sub_i32 s9, s4, 64
	v_addc_co_u32_e32 v45, vcc, v1, v45, vcc
	s_cmp_lt_i32 s9, s10
	v_add_co_u32_e32 v46, vcc, s12, v0
	s_cselect_b32 s12, s9, s11
	v_mov_b32_e32 v47, s13
	s_ashr_i32 s13, s12, 31
	s_lshl_b64 s[12:13], s[12:13], 1
	v_addc_co_u32_e32 v47, vcc, v1, v47, vcc
	s_cmp_lt_i32 s4, s10
	v_add_co_u32_e32 v48, vcc, s12, v0
	s_cselect_b32 s12, s4, s11
	v_mov_b32_e32 v49, s13
	s_ashr_i32 s13, s12, 31
	v_addc_co_u32_e32 v49, vcc, v1, v49, vcc
	s_lshl_b64 s[12:13], s[12:13], 1
	v_mov_b32_e32 v51, s13
	v_add_co_u32_e32 v50, vcc, s12, v0
	v_addc_co_u32_e32 v51, vcc, v1, v51, vcc
	global_load_ushort v76, v[36:37], off
	global_load_ushort v77, v[38:39], off
	;; [unrolled: 1-line block ×8, first 2 shown]
	v_mov_b32_e32 v84, s5
	ds_read_b128 v[36:39], v84
	ds_read_b128 v[40:43], v84 offset:16
	ds_read_b128 v[44:47], v84 offset:32
	;; [unrolled: 1-line block ×3, first 2 shown]
	s_waitcnt vmcnt(62) lgkmcnt(3)
	v_fma_mix_f32 v3, v36, v3, v4 op_sel_hi:[0,1,0]
	v_fma_mix_f32 v3, v37, v5, v3 op_sel_hi:[0,1,0]
	s_waitcnt vmcnt(61)
	v_fma_mix_f32 v3, v38, v6, v3 op_sel_hi:[0,1,0]
	s_waitcnt vmcnt(60)
	v_fma_mix_f32 v3, v39, v7, v3 op_sel_hi:[0,1,0]
	s_waitcnt vmcnt(59) lgkmcnt(2)
	v_fma_mix_f32 v3, v40, v8, v3 op_sel_hi:[0,1,0]
	s_waitcnt vmcnt(58)
	v_fma_mix_f32 v3, v41, v9, v3 op_sel_hi:[0,1,0]
	s_waitcnt vmcnt(57)
	;; [unrolled: 2-line block ×3, first 2 shown]
	v_fma_mix_f32 v3, v43, v11, v3 op_sel_hi:[0,1,0]
	s_waitcnt vmcnt(55) lgkmcnt(1)
	v_fma_mix_f32 v3, v44, v15, v3 op_sel_hi:[0,1,0]
	s_waitcnt vmcnt(54)
	v_fma_mix_f32 v3, v45, v16, v3 op_sel_hi:[0,1,0]
	s_waitcnt vmcnt(53)
	;; [unrolled: 2-line block ×3, first 2 shown]
	v_fma_mix_f32 v3, v47, v18, v3 op_sel_hi:[0,1,0]
	ds_read_b128 v[4:7], v84 offset:64
	ds_read_b128 v[8:11], v84 offset:80
	s_waitcnt vmcnt(51) lgkmcnt(2)
	v_fma_mix_f32 v3, v48, v19, v3 op_sel_hi:[0,1,0]
	s_waitcnt vmcnt(50)
	v_fma_mix_f32 v3, v49, v12, v3 op_sel_hi:[0,1,0]
	s_waitcnt vmcnt(49)
	v_fma_mix_f32 v3, v50, v13, v3 op_sel_hi:[0,1,0]
	s_waitcnt vmcnt(48)
	v_fma_mix_f32 v3, v51, v14, v3 op_sel_hi:[0,1,0]
	s_waitcnt vmcnt(47) lgkmcnt(1)
	v_fma_mix_f32 v3, v4, v23, v3 op_sel_hi:[0,1,0]
	s_waitcnt vmcnt(46)
	v_fma_mix_f32 v3, v5, v24, v3 op_sel_hi:[0,1,0]
	s_waitcnt vmcnt(45)
	v_fma_mix_f32 v3, v6, v25, v3 op_sel_hi:[0,1,0]
	s_waitcnt vmcnt(44)
	v_fma_mix_f32 v3, v7, v26, v3 op_sel_hi:[0,1,0]
	ds_read_b128 v[4:7], v84 offset:96
	s_waitcnt vmcnt(43) lgkmcnt(1)
	v_fma_mix_f32 v3, v8, v27, v3 op_sel_hi:[0,1,0]
	s_waitcnt vmcnt(42)
	v_fma_mix_f32 v3, v9, v20, v3 op_sel_hi:[0,1,0]
	s_waitcnt vmcnt(41)
	v_fma_mix_f32 v3, v10, v21, v3 op_sel_hi:[0,1,0]
	s_waitcnt vmcnt(40)
	v_fma_mix_f32 v3, v11, v22, v3 op_sel_hi:[0,1,0]
	ds_read_b128 v[8:11], v84 offset:112
	;; [unrolled: 9-line block ×10, first 2 shown]
	s_waitcnt vmcnt(7) lgkmcnt(1)
	v_fma_mix_f32 v3, v4, v76, v3 op_sel_hi:[0,1,0]
	s_waitcnt vmcnt(6)
	v_fma_mix_f32 v3, v5, v77, v3 op_sel_hi:[0,1,0]
	s_waitcnt vmcnt(5)
	v_fma_mix_f32 v3, v6, v78, v3 op_sel_hi:[0,1,0]
	s_waitcnt vmcnt(4)
	v_fma_mix_f32 v3, v7, v79, v3 op_sel_hi:[0,1,0]
	s_waitcnt vmcnt(3) lgkmcnt(0)
	v_fma_mix_f32 v3, v8, v80, v3 op_sel_hi:[0,1,0]
	s_waitcnt vmcnt(2)
	v_fma_mix_f32 v3, v9, v81, v3 op_sel_hi:[0,1,0]
	s_waitcnt vmcnt(1)
	;; [unrolled: 2-line block ×3, first 2 shown]
	v_fma_mix_f32 v4, v11, v83, v3 op_sel_hi:[0,1,0]
	s_branch .LBB34_16
.LBB34_19:
	v_mov_b32_e32 v0, 0
	ds_read_b32 v1, v0 offset:3840
	s_cmp_lg_u64 s[2:3], 0
	s_cbranch_scc0 .LBB34_24
; %bb.20:
	s_load_dword s4, s[2:3], 0x0
	s_waitcnt lgkmcnt(0)
	v_div_scale_f32 v0, s[2:3], s4, s4, 1.0
	v_rcp_f32_e32 v3, v0
	v_div_scale_f32 v5, vcc, 1.0, s4, 1.0
	v_fma_f32 v6, -v0, v3, 1.0
	v_fmac_f32_e32 v3, v6, v3
	v_mul_f32_e32 v6, v5, v3
	v_fma_f32 v7, -v0, v6, v5
	v_fmac_f32_e32 v6, v7, v3
	v_fma_f32 v0, -v0, v6, v5
	v_div_fmas_f32 v0, v0, v3, v6
	v_div_fixup_f32 v0, v0, s4, 1.0
	s_andn2_b64 vcc, exec, s[48:49]
	s_cbranch_vccnz .LBB34_22
.LBB34_21:
	s_add_u32 s2, s46, s50
	s_addc_u32 s3, s47, s51
	s_load_dword s44, s[2:3], 0x0
	s_mov_b32 s45, 0
.LBB34_22:
	s_waitcnt lgkmcnt(0)
	v_add_f32_e32 v1, 0x358637bd, v1
	v_div_scale_f32 v3, s[2:3], v1, v1, 1.0
	v_rcp_f32_e32 v5, v3
	v_div_scale_f32 v6, vcc, 1.0, v1, 1.0
	s_mul_i32 s2, s7, s45
	v_fma_f32 v7, -v3, v5, 1.0
	v_fmac_f32_e32 v5, v7, v5
	v_mul_f32_e32 v7, v6, v5
	v_fma_f32 v8, -v3, v7, v6
	s_mul_hi_u32 s3, s7, s44
	v_fmac_f32_e32 v7, v8, v5
	s_add_i32 s3, s3, s2
	s_mul_i32 s2, s7, s44
	v_fma_f32 v3, -v3, v7, v6
	s_lshl_b64 s[2:3], s[2:3], 7
	v_div_fmas_f32 v3, v3, v5, v7
	s_add_u32 s2, s0, s2
	s_mov_b32 s7, 0
	v_div_fixup_f32 v1, v3, v1, 1.0
	s_addc_u32 s3, s1, s3
	s_lshl_b64 s[0:1], s[6:7], 7
	v_mul_f32_e32 v1, v4, v1
	s_add_u32 s0, s2, s0
	s_addc_u32 s1, s3, s1
	v_fma_mixlo_f16 v0, v1, v0, 0
	global_store_short v2, v0, s[0:1]
	s_endpgm
.LBB34_23:
	s_mov_b64 s[2:3], 0
	s_branch .LBB34_2
.LBB34_24:
	v_mov_b32_e32 v0, 1.0
	s_andn2_b64 vcc, exec, s[48:49]
	s_cbranch_vccz .LBB34_21
	s_branch .LBB34_22
	.section	.rodata,"a",@progbits
	.p2align	6, 0x0
	.amdhsa_kernel _Z35paged_attention_ll4mi_reduce_kernelIDF16_DF16_Li64ELi64ELi256ELi15EEvPT0_PKfS3_PKT_PKiS8_iS3_
		.amdhsa_group_segment_fixed_size 3844
		.amdhsa_private_segment_fixed_size 0
		.amdhsa_kernarg_size 320
		.amdhsa_user_sgpr_count 6
		.amdhsa_user_sgpr_private_segment_buffer 1
		.amdhsa_user_sgpr_dispatch_ptr 0
		.amdhsa_user_sgpr_queue_ptr 0
		.amdhsa_user_sgpr_kernarg_segment_ptr 1
		.amdhsa_user_sgpr_dispatch_id 0
		.amdhsa_user_sgpr_flat_scratch_init 0
		.amdhsa_user_sgpr_kernarg_preload_length 0
		.amdhsa_user_sgpr_kernarg_preload_offset 0
		.amdhsa_user_sgpr_private_segment_size 0
		.amdhsa_uses_dynamic_stack 0
		.amdhsa_system_sgpr_private_segment_wavefront_offset 0
		.amdhsa_system_sgpr_workgroup_id_x 1
		.amdhsa_system_sgpr_workgroup_id_y 1
		.amdhsa_system_sgpr_workgroup_id_z 0
		.amdhsa_system_sgpr_workgroup_info 0
		.amdhsa_system_vgpr_workitem_id 0
		.amdhsa_next_free_vgpr 92
		.amdhsa_next_free_sgpr 59
		.amdhsa_accum_offset 92
		.amdhsa_reserve_vcc 1
		.amdhsa_reserve_flat_scratch 0
		.amdhsa_float_round_mode_32 0
		.amdhsa_float_round_mode_16_64 0
		.amdhsa_float_denorm_mode_32 3
		.amdhsa_float_denorm_mode_16_64 3
		.amdhsa_dx10_clamp 1
		.amdhsa_ieee_mode 1
		.amdhsa_fp16_overflow 0
		.amdhsa_tg_split 0
		.amdhsa_exception_fp_ieee_invalid_op 0
		.amdhsa_exception_fp_denorm_src 0
		.amdhsa_exception_fp_ieee_div_zero 0
		.amdhsa_exception_fp_ieee_overflow 0
		.amdhsa_exception_fp_ieee_underflow 0
		.amdhsa_exception_fp_ieee_inexact 0
		.amdhsa_exception_int_div_zero 0
	.end_amdhsa_kernel
	.section	.text._Z35paged_attention_ll4mi_reduce_kernelIDF16_DF16_Li64ELi64ELi256ELi15EEvPT0_PKfS3_PKT_PKiS8_iS3_,"axG",@progbits,_Z35paged_attention_ll4mi_reduce_kernelIDF16_DF16_Li64ELi64ELi256ELi15EEvPT0_PKfS3_PKT_PKiS8_iS3_,comdat
.Lfunc_end34:
	.size	_Z35paged_attention_ll4mi_reduce_kernelIDF16_DF16_Li64ELi64ELi256ELi15EEvPT0_PKfS3_PKT_PKiS8_iS3_, .Lfunc_end34-_Z35paged_attention_ll4mi_reduce_kernelIDF16_DF16_Li64ELi64ELi256ELi15EEvPT0_PKfS3_PKT_PKiS8_iS3_
                                        ; -- End function
	.section	.AMDGPU.csdata,"",@progbits
; Kernel info:
; codeLenInByte = 11732
; NumSgprs: 63
; NumVgprs: 92
; NumAgprs: 0
; TotalNumVgprs: 92
; ScratchSize: 0
; MemoryBound: 0
; FloatMode: 240
; IeeeMode: 1
; LDSByteSize: 3844 bytes/workgroup (compile time only)
; SGPRBlocks: 7
; VGPRBlocks: 11
; NumSGPRsForWavesPerEU: 63
; NumVGPRsForWavesPerEU: 92
; AccumOffset: 92
; Occupancy: 5
; WaveLimiterHint : 1
; COMPUTE_PGM_RSRC2:SCRATCH_EN: 0
; COMPUTE_PGM_RSRC2:USER_SGPR: 6
; COMPUTE_PGM_RSRC2:TRAP_HANDLER: 0
; COMPUTE_PGM_RSRC2:TGID_X_EN: 1
; COMPUTE_PGM_RSRC2:TGID_Y_EN: 1
; COMPUTE_PGM_RSRC2:TGID_Z_EN: 0
; COMPUTE_PGM_RSRC2:TIDIG_COMP_CNT: 0
; COMPUTE_PGM_RSRC3_GFX90A:ACCUM_OFFSET: 22
; COMPUTE_PGM_RSRC3_GFX90A:TG_SPLIT: 0
	.section	.text._Z35paged_attention_ll4mi_reduce_kernelIDF16_DF16_Li64ELi64ELi256ELi16EEvPT0_PKfS3_PKT_PKiS8_iS3_,"axG",@progbits,_Z35paged_attention_ll4mi_reduce_kernelIDF16_DF16_Li64ELi64ELi256ELi16EEvPT0_PKfS3_PKT_PKiS8_iS3_,comdat
	.protected	_Z35paged_attention_ll4mi_reduce_kernelIDF16_DF16_Li64ELi64ELi256ELi16EEvPT0_PKfS3_PKT_PKiS8_iS3_ ; -- Begin function _Z35paged_attention_ll4mi_reduce_kernelIDF16_DF16_Li64ELi64ELi256ELi16EEvPT0_PKfS3_PKT_PKiS8_iS3_
	.globl	_Z35paged_attention_ll4mi_reduce_kernelIDF16_DF16_Li64ELi64ELi256ELi16EEvPT0_PKfS3_PKT_PKiS8_iS3_
	.p2align	8
	.type	_Z35paged_attention_ll4mi_reduce_kernelIDF16_DF16_Li64ELi64ELi256ELi16EEvPT0_PKfS3_PKT_PKiS8_iS3_,@function
_Z35paged_attention_ll4mi_reduce_kernelIDF16_DF16_Li64ELi64ELi256ELi16EEvPT0_PKfS3_PKT_PKiS8_iS3_: ; @_Z35paged_attention_ll4mi_reduce_kernelIDF16_DF16_Li64ELi64ELi256ELi16EEvPT0_PKfS3_PKT_PKiS8_iS3_
; %bb.0:
	s_load_dwordx2 s[48:49], s[4:5], 0x28
	s_mov_b32 s38, s7
	s_mov_b64 s[0:1], 0
	s_waitcnt lgkmcnt(0)
	s_cmp_lg_u64 s[48:49], 0
	s_cselect_b64 s[50:51], -1, 0
	s_and_b64 vcc, exec, s[50:51]
	s_cbranch_vccz .LBB35_23
; %bb.1:
	s_add_i32 s2, s38, 1
	s_mov_b32 s3, 0
	s_lshl_b64 s[8:9], s[2:3], 2
	s_add_u32 s8, s48, s8
	s_mov_b32 s39, s3
	s_addc_u32 s9, s49, s9
	s_lshl_b64 s[2:3], s[38:39], 2
	s_add_u32 s2, s48, s2
	s_addc_u32 s3, s49, s3
	s_load_dword s7, s[8:9], 0x0
	s_load_dword s10, s[2:3], 0x0
	s_waitcnt lgkmcnt(0)
	s_sub_i32 s2, s7, s10
	s_cmp_eq_u32 s2, 1
	s_cselect_b64 s[2:3], -1, 0
	s_andn2_b64 vcc, exec, s[0:1]
	s_cbranch_vccnz .LBB35_3
.LBB35_2:
	s_mov_b32 s39, 0
	s_mov_b64 s[2:3], -1
.LBB35_3:
	s_andn2_b64 vcc, exec, s[2:3]
	s_cbranch_vccz .LBB35_5
; %bb.4:
	s_endpgm
.LBB35_5:
	s_load_dwordx4 s[40:43], s[4:5], 0x18
	s_load_dword s8, s[4:5], 0x30
	s_lshl_b64 s[52:53], s[38:39], 2
	v_cmp_lt_u32_e32 vcc, 63, v0
	s_waitcnt lgkmcnt(0)
	s_add_u32 s0, s42, s52
	s_addc_u32 s1, s43, s53
	s_load_dword s60, s[0:1], 0x0
	s_load_dword s7, s[4:5], 0x40
	s_mul_i32 s42, s6, s8
	s_mul_i32 s2, s38, s8
	s_waitcnt lgkmcnt(0)
	s_add_i32 s3, s60, 0xff
	s_ashr_i32 s0, s3, 31
	s_lshr_b32 s0, s0, 24
	s_add_i32 s3, s3, s0
	s_and_saveexec_b64 s[0:1], vcc
	s_xor_b64 s[0:1], exec, s[0:1]
	s_or_saveexec_b64 s[54:55], s[0:1]
	s_ashr_i32 s33, s3, 8
	v_mov_b32_e32 v1, s42
	s_mul_i32 s56, s2, s7
	s_xor_b64 exec, exec, s[54:55]
	s_cbranch_execz .LBB35_9
; %bb.6:
	s_add_i32 s0, s33, -1
	v_or_b32_e32 v3, 64, v0
	v_mov_b32_e32 v1, s0
	v_cmp_gt_u32_e64 s[30:31], s33, v3
	v_cndmask_b32_e64 v4, v1, v3, s[30:31]
	v_or_b32_e32 v3, 0x80, v0
	v_cmp_gt_u32_e64 s[28:29], s33, v3
	v_cndmask_b32_e64 v6, v1, v3, s[28:29]
	v_or_b32_e32 v3, 0xc0, v0
	v_cmp_gt_u32_e64 s[26:27], s33, v3
	v_cndmask_b32_e64 v8, v1, v3, s[26:27]
	v_or_b32_e32 v3, 0x100, v0
	v_cmp_gt_u32_e64 s[24:25], s33, v3
	v_cndmask_b32_e64 v10, v1, v3, s[24:25]
	v_or_b32_e32 v3, 0x140, v0
	v_cmp_gt_u32_e64 s[22:23], s33, v3
	v_cndmask_b32_e64 v12, v1, v3, s[22:23]
	v_or_b32_e32 v3, 0x180, v0
	v_cmp_gt_u32_e64 s[20:21], s33, v3
	v_cndmask_b32_e64 v14, v1, v3, s[20:21]
	v_or_b32_e32 v3, 0x1c0, v0
	v_cmp_gt_u32_e64 s[16:17], s33, v3
	v_cndmask_b32_e64 v16, v1, v3, s[16:17]
	v_or_b32_e32 v3, 0x200, v0
	v_cmp_gt_u32_e64 s[12:13], s33, v3
	v_cndmask_b32_e64 v18, v1, v3, s[12:13]
	v_or_b32_e32 v3, 0x240, v0
	v_cmp_gt_u32_e64 s[8:9], s33, v3
	v_cndmask_b32_e64 v20, v1, v3, s[8:9]
	v_or_b32_e32 v3, 0x280, v0
	v_cmp_gt_u32_e64 s[2:3], s33, v3
	v_cndmask_b32_e64 v22, v1, v3, s[2:3]
	v_or_b32_e32 v3, 0x2c0, v0
	v_cmp_gt_u32_e64 s[18:19], s33, v3
	v_cndmask_b32_e64 v24, v1, v3, s[18:19]
	v_or_b32_e32 v3, 0x300, v0
	s_load_dwordx4 s[44:47], s[4:5], 0x8
	v_cmp_gt_u32_e64 s[14:15], s33, v3
	v_cndmask_b32_e64 v26, v1, v3, s[14:15]
	v_or_b32_e32 v3, 0x340, v0
	v_cmp_gt_u32_e64 s[10:11], s33, v3
	s_mov_b32 s57, 0
	v_cndmask_b32_e64 v28, v1, v3, s[10:11]
	v_or_b32_e32 v3, 0x380, v0
	v_cmp_gt_u32_e64 s[0:1], s33, v3
	s_lshl_b64 s[58:59], s[56:57], 2
	s_mov_b32 s43, s57
	v_cmp_gt_u32_e64 s[34:35], s33, v0
	v_cndmask_b32_e64 v30, v1, v3, s[0:1]
	v_or_b32_e32 v3, 0x3c0, v0
	s_waitcnt lgkmcnt(0)
	s_add_u32 s36, s46, s58
	v_cndmask_b32_e64 v2, v1, v0, s[34:35]
	v_cmp_gt_u32_e32 vcc, s33, v3
	s_addc_u32 s37, s47, s59
	s_lshl_b64 s[46:47], s[42:43], 2
	v_cndmask_b32_e32 v32, v1, v3, vcc
	s_add_u32 s43, s36, s46
	v_ashrrev_i32_e32 v3, 31, v2
	s_addc_u32 s57, s37, s47
	v_lshlrev_b64 v[34:35], 2, v[2:3]
	v_mov_b32_e32 v1, s57
	v_add_co_u32_e64 v2, s[36:37], s43, v34
	v_ashrrev_i32_e32 v5, 31, v4
	v_addc_co_u32_e64 v3, s[36:37], v1, v35, s[36:37]
	v_lshlrev_b64 v[36:37], 2, v[4:5]
	v_add_co_u32_e64 v4, s[36:37], s43, v36
	v_ashrrev_i32_e32 v7, 31, v6
	v_addc_co_u32_e64 v5, s[36:37], v1, v37, s[36:37]
	v_lshlrev_b64 v[6:7], 2, v[6:7]
	;; [unrolled: 4-line block ×8, first 2 shown]
	global_load_dword v50, v[2:3], off
	global_load_dword v51, v[4:5], off
	;; [unrolled: 1-line block ×8, first 2 shown]
	v_add_co_u32_e64 v2, s[36:37], s43, v18
	v_ashrrev_i32_e32 v21, 31, v20
	v_addc_co_u32_e64 v3, s[36:37], v1, v19, s[36:37]
	v_lshlrev_b64 v[20:21], 2, v[20:21]
	v_add_co_u32_e64 v4, s[36:37], s43, v20
	v_ashrrev_i32_e32 v23, 31, v22
	v_addc_co_u32_e64 v5, s[36:37], v1, v21, s[36:37]
	v_lshlrev_b64 v[22:23], 2, v[22:23]
	;; [unrolled: 4-line block ×7, first 2 shown]
	v_add_co_u32_e64 v46, s[36:37], s43, v32
	v_addc_co_u32_e64 v47, s[36:37], v1, v33, s[36:37]
	global_load_dword v58, v[2:3], off
	global_load_dword v59, v[4:5], off
	;; [unrolled: 1-line block ×6, first 2 shown]
	s_nop 0
	global_load_dword v17, v[44:45], off
	global_load_dword v10, v[46:47], off
	s_waitcnt vmcnt(15)
	v_max_f32_e32 v2, v50, v50
	s_waitcnt vmcnt(14)
	v_max_f32_e32 v1, v51, v51
	v_max_f32_e32 v1, v2, v1
	s_waitcnt vmcnt(12)
	v_max3_f32 v1, v1, v52, v53
	s_waitcnt vmcnt(10)
	v_max3_f32 v1, v1, v54, v55
	;; [unrolled: 2-line block ×7, first 2 shown]
	v_mbcnt_lo_u32_b32 v1, -1, 0
	v_mbcnt_hi_u32_b32 v11, -1, v1
	v_and_b32_e32 v1, 64, v11
	v_add_u32_e32 v16, 64, v1
	v_xor_b32_e32 v1, 32, v11
	v_cmp_lt_i32_e64 s[36:37], v1, v16
	v_cndmask_b32_e64 v1, v11, v1, s[36:37]
	v_lshlrev_b32_e32 v1, 2, v1
	ds_bpermute_b32 v3, v1, v2
	s_waitcnt lgkmcnt(0)
	v_max_f32_e32 v3, v3, v3
	v_max_f32_e32 v3, v2, v3
	v_xor_b32_e32 v2, 16, v11
	v_cmp_lt_i32_e64 s[36:37], v2, v16
	v_cndmask_b32_e64 v2, v11, v2, s[36:37]
	v_lshlrev_b32_e32 v2, 2, v2
	ds_bpermute_b32 v4, v2, v3
	s_waitcnt lgkmcnt(0)
	v_max_f32_e32 v4, v4, v4
	v_max_f32_e32 v4, v3, v4
	;; [unrolled: 8-line block ×5, first 2 shown]
	v_xor_b32_e32 v38, 1, v11
	v_cmp_lt_i32_e64 s[36:37], v38, v16
	v_cndmask_b32_e64 v11, v11, v38, s[36:37]
	s_add_u32 s36, s44, s58
	s_addc_u32 s37, s45, s59
	s_add_u32 s43, s36, s46
	s_addc_u32 s44, s37, s47
	v_mov_b32_e32 v38, s44
	v_add_co_u32_e64 v34, s[36:37], s43, v34
	v_addc_co_u32_e64 v35, s[36:37], v38, v35, s[36:37]
	v_add_co_u32_e64 v36, s[36:37], s43, v36
	v_addc_co_u32_e64 v37, s[36:37], v38, v37, s[36:37]
	;; [unrolled: 2-line block ×4, first 2 shown]
	v_mov_b32_e32 v39, s44
	v_add_co_u32_e64 v38, s[36:37], s43, v42
	v_addc_co_u32_e64 v39, s[36:37], v39, v43, s[36:37]
	v_mov_b32_e32 v40, s44
	v_add_co_u32_e64 v12, s[36:37], s43, v12
	v_addc_co_u32_e64 v13, s[36:37], v40, v13, s[36:37]
	v_add_co_u32_e64 v14, s[36:37], s43, v14
	v_addc_co_u32_e64 v15, s[36:37], v40, v15, s[36:37]
	v_mov_b32_e32 v41, s44
	v_add_co_u32_e64 v40, s[36:37], s43, v48
	v_addc_co_u32_e64 v41, s[36:37], v41, v49, s[36:37]
	global_load_dword v34, v[34:35], off
	s_nop 0
	global_load_dword v35, v[36:37], off
	s_nop 0
	global_load_dword v36, v[6:7], off
	global_load_dword v37, v[8:9], off
	s_nop 0
	global_load_dword v38, v[38:39], off
	s_nop 0
	global_load_dword v39, v[12:13], off
	global_load_dword v42, v[14:15], off
	s_nop 0
	global_load_dword v40, v[40:41], off
	v_mov_b32_e32 v7, s44
	v_add_co_u32_e64 v6, s[36:37], s43, v18
	v_addc_co_u32_e64 v7, s[36:37], v7, v19, s[36:37]
	v_mov_b32_e32 v9, s44
	v_add_co_u32_e64 v8, s[36:37], s43, v20
	v_addc_co_u32_e64 v9, s[36:37], v9, v21, s[36:37]
	v_mov_b32_e32 v13, s44
	v_add_co_u32_e64 v12, s[36:37], s43, v22
	v_lshlrev_b32_e32 v16, 2, v11
	v_addc_co_u32_e64 v13, s[36:37], v13, v23, s[36:37]
	ds_bpermute_b32 v11, v16, v44
	v_mov_b32_e32 v15, s44
	v_add_co_u32_e64 v14, s[36:37], s43, v24
	v_addc_co_u32_e64 v15, s[36:37], v15, v25, s[36:37]
	v_mov_b32_e32 v19, s44
	v_add_co_u32_e64 v18, s[36:37], s43, v26
	v_addc_co_u32_e64 v19, s[36:37], v19, v27, s[36:37]
	;; [unrolled: 3-line block ×3, first 2 shown]
	s_waitcnt lgkmcnt(0)
	v_max_f32_e32 v11, v11, v11
	v_mov_b32_e32 v23, s44
	v_add_co_u32_e64 v22, s[36:37], s43, v30
	v_max_f32_e32 v26, v44, v11
	v_addc_co_u32_e64 v23, s[36:37], v23, v31, s[36:37]
	v_sub_f32_e32 v27, v50, v26
	v_add_co_u32_e64 v24, s[36:37], s43, v32
	s_mov_b32 s43, 0x3fb8aa3b
	v_mul_f32_e32 v11, 0x3fb8aa3b, v27
	v_fma_f32 v28, v27, s43, -v11
	v_rndne_f32_e32 v29, v11
	v_fmac_f32_e32 v28, 0x32a5705f, v27
	v_sub_f32_e32 v11, v11, v29
	v_mov_b32_e32 v25, s44
	v_add_f32_e32 v11, v11, v28
	v_addc_co_u32_e64 v25, s[36:37], v25, v33, s[36:37]
	v_exp_f32_e32 v28, v11
	global_load_dword v30, v[6:7], off
	s_nop 0
	global_load_dword v9, v[8:9], off
	s_nop 0
	global_load_dword v31, v[12:13], off
	global_load_dword v11, v[14:15], off
	s_nop 0
	global_load_dword v12, v[18:19], off
	global_load_dword v13, v[20:21], off
	;; [unrolled: 1-line block ×4, first 2 shown]
	v_sub_f32_e32 v7, v51, v26
	v_cvt_i32_f32_e32 v29, v29
	v_mul_f32_e32 v8, 0x3fb8aa3b, v7
	v_fma_f32 v19, v7, s43, -v8
	v_rndne_f32_e32 v20, v8
	v_fmac_f32_e32 v19, 0x32a5705f, v7
	v_sub_f32_e32 v8, v8, v20
	s_mov_b32 s44, 0xc2ce8ed0
	v_add_f32_e32 v8, v8, v19
	v_ldexp_f32 v6, v28, v29
	v_cmp_ngt_f32_e64 s[36:37], s44, v27
	s_mov_b32 s45, 0x42b17218
	v_exp_f32_e32 v8, v8
	v_cvt_i32_f32_e32 v19, v20
	v_cndmask_b32_e64 v6, 0, v6, s[36:37]
	v_mov_b32_e32 v18, 0x7f800000
	v_cmp_nlt_f32_e64 s[36:37], s45, v27
	v_cndmask_b32_e64 v6, v18, v6, s[36:37]
	v_cndmask_b32_e64 v6, 0, v6, s[34:35]
	s_waitcnt vmcnt(15)
	v_mul_f32_e32 v20, v34, v6
	v_ldexp_f32 v6, v8, v19
	v_sub_f32_e32 v8, v52, v26
	v_mul_f32_e32 v19, 0x3fb8aa3b, v8
	v_fma_f32 v21, v8, s43, -v19
	v_rndne_f32_e32 v22, v19
	v_fmac_f32_e32 v21, 0x32a5705f, v8
	v_sub_f32_e32 v19, v19, v22
	v_add_f32_e32 v19, v19, v21
	v_cmp_ngt_f32_e64 s[34:35], s44, v7
	v_exp_f32_e32 v19, v19
	v_cvt_i32_f32_e32 v21, v22
	v_cndmask_b32_e64 v6, 0, v6, s[34:35]
	v_cmp_nlt_f32_e64 s[34:35], s45, v7
	v_cndmask_b32_e64 v6, v18, v6, s[34:35]
	v_cndmask_b32_e64 v6, 0, v6, s[30:31]
	v_sub_f32_e32 v7, v53, v26
	s_waitcnt vmcnt(14)
	v_mul_f32_e32 v22, v35, v6
	v_ldexp_f32 v6, v19, v21
	v_mul_f32_e32 v19, 0x3fb8aa3b, v7
	v_fma_f32 v21, v7, s43, -v19
	v_rndne_f32_e32 v23, v19
	v_fmac_f32_e32 v21, 0x32a5705f, v7
	v_sub_f32_e32 v19, v19, v23
	v_add_f32_e32 v19, v19, v21
	v_cmp_ngt_f32_e64 s[30:31], s44, v8
	v_exp_f32_e32 v19, v19
	v_cvt_i32_f32_e32 v21, v23
	v_cndmask_b32_e64 v6, 0, v6, s[30:31]
	v_cmp_nlt_f32_e64 s[30:31], s45, v8
	v_cndmask_b32_e64 v6, v18, v6, s[30:31]
	v_cndmask_b32_e64 v6, 0, v6, s[28:29]
	v_sub_f32_e32 v8, v54, v26
	s_waitcnt vmcnt(13)
	v_mul_f32_e32 v23, v36, v6
	v_ldexp_f32 v6, v19, v21
	;; [unrolled: 17-line block ×4, first 2 shown]
	v_mul_f32_e32 v19, 0x3fb8aa3b, v8
	v_fma_f32 v21, v8, s43, -v19
	v_rndne_f32_e32 v27, v19
	v_fmac_f32_e32 v21, 0x32a5705f, v8
	v_sub_f32_e32 v19, v19, v27
	v_add_f32_e32 v19, v19, v21
	v_cmp_ngt_f32_e64 s[24:25], s44, v7
	v_exp_f32_e32 v19, v19
	v_cvt_i32_f32_e32 v21, v27
	v_cndmask_b32_e64 v6, 0, v6, s[24:25]
	v_cmp_nlt_f32_e64 s[24:25], s45, v7
	v_sub_f32_e32 v28, v61, v26
	v_cndmask_b32_e64 v6, v18, v6, s[24:25]
	v_mul_f32_e32 v29, 0x3fb8aa3b, v28
	v_cndmask_b32_e64 v6, 0, v6, s[22:23]
	v_fma_f32 v32, v28, s43, -v29
	v_rndne_f32_e32 v33, v29
	s_waitcnt vmcnt(10)
	v_mul_f32_e32 v27, v39, v6
	v_ldexp_f32 v6, v19, v21
	v_cmp_ngt_f32_e64 s[22:23], s44, v8
	v_sub_f32_e32 v7, v57, v26
	v_fmac_f32_e32 v32, 0x32a5705f, v28
	v_sub_f32_e32 v29, v29, v33
	v_cndmask_b32_e64 v6, 0, v6, s[22:23]
	v_cmp_nlt_f32_e64 s[22:23], s45, v8
	v_mul_f32_e32 v8, 0x3fb8aa3b, v7
	v_add_f32_e32 v29, v29, v32
	v_fma_f32 v19, v7, s43, -v8
	v_rndne_f32_e32 v21, v8
	v_exp_f32_e32 v29, v29
	v_cvt_i32_f32_e32 v32, v33
	v_fmac_f32_e32 v19, 0x32a5705f, v7
	v_sub_f32_e32 v8, v8, v21
	v_add_f32_e32 v8, v8, v19
	v_cndmask_b32_e64 v6, v18, v6, s[22:23]
	v_exp_f32_e32 v8, v8
	v_cvt_i32_f32_e32 v19, v21
	v_cndmask_b32_e64 v6, 0, v6, s[20:21]
	v_ldexp_f32 v21, v29, v32
	v_cmp_ngt_f32_e64 s[20:21], s44, v28
	v_cndmask_b32_e64 v21, 0, v21, s[20:21]
	v_cmp_nlt_f32_e64 s[20:21], s45, v28
	v_cndmask_b32_e64 v21, v18, v21, s[20:21]
	v_cndmask_b32_e64 v21, 0, v21, s[18:19]
	v_ldexp_f32 v8, v8, v19
	v_sub_f32_e32 v19, v58, v26
	s_waitcnt vmcnt(4)
	v_mul_f32_e32 v11, v11, v21
	v_mul_f32_e32 v21, 0x3fb8aa3b, v19
	v_fma_f32 v28, v19, s43, -v21
	v_rndne_f32_e32 v29, v21
	v_fmac_f32_e32 v28, 0x32a5705f, v19
	v_sub_f32_e32 v21, v21, v29
	v_add_f32_e32 v21, v21, v28
	v_exp_f32_e32 v21, v21
	v_cvt_i32_f32_e32 v28, v29
	v_cmp_ngt_f32_e64 s[18:19], s44, v7
	v_cndmask_b32_e64 v8, 0, v8, s[18:19]
	v_cmp_nlt_f32_e64 s[18:19], s45, v7
	v_cndmask_b32_e64 v7, v18, v8, s[18:19]
	v_ldexp_f32 v8, v21, v28
	v_sub_f32_e32 v21, v59, v26
	v_mul_f32_e32 v28, 0x3fb8aa3b, v21
	v_fma_f32 v29, v21, s43, -v28
	v_rndne_f32_e32 v32, v28
	v_fmac_f32_e32 v29, 0x32a5705f, v21
	v_sub_f32_e32 v28, v28, v32
	v_add_f32_e32 v28, v28, v29
	v_cvt_i32_f32_e32 v29, v32
	v_sub_f32_e32 v32, v62, v26
	v_mul_f32_e32 v33, 0x3fb8aa3b, v32
	v_fma_f32 v34, v32, s43, -v33
	v_rndne_f32_e32 v35, v33
	v_fmac_f32_e32 v34, 0x32a5705f, v32
	v_sub_f32_e32 v33, v33, v35
	v_exp_f32_e32 v28, v28
	v_add_f32_e32 v33, v33, v34
	v_cndmask_b32_e64 v7, 0, v7, s[16:17]
	v_exp_f32_e32 v33, v33
	v_cvt_i32_f32_e32 v34, v35
	v_cmp_ngt_f32_e64 s[16:17], s44, v19
	v_cndmask_b32_e64 v8, 0, v8, s[16:17]
	v_cmp_nlt_f32_e64 s[16:17], s45, v19
	v_cndmask_b32_e64 v8, v18, v8, s[16:17]
	v_ldexp_f32 v28, v28, v29
	v_cndmask_b32_e64 v8, 0, v8, s[12:13]
	v_cmp_ngt_f32_e64 s[12:13], s44, v21
	v_ldexp_f32 v29, v33, v34
	v_cndmask_b32_e64 v19, 0, v28, s[12:13]
	v_cmp_ngt_f32_e64 s[12:13], s44, v32
	v_cndmask_b32_e64 v29, 0, v29, s[12:13]
	v_cmp_nlt_f32_e64 s[12:13], s45, v32
	v_sub_f32_e32 v28, v60, v26
	v_cndmask_b32_e64 v29, v18, v29, s[12:13]
	v_mul_f32_e32 v32, 0x3fb8aa3b, v28
	v_cndmask_b32_e64 v29, 0, v29, s[14:15]
	s_waitcnt vmcnt(3)
	v_mul_f32_e32 v12, v12, v29
	v_fma_f32 v29, v28, s43, -v32
	v_rndne_f32_e32 v33, v32
	v_fmac_f32_e32 v29, 0x32a5705f, v28
	v_sub_f32_e32 v32, v32, v33
	v_add_f32_e32 v29, v32, v29
	v_sub_f32_e32 v32, v63, v26
	v_mul_f32_e32 v34, 0x3fb8aa3b, v32
	v_fma_f32 v35, v32, s43, -v34
	v_rndne_f32_e32 v36, v34
	v_fmac_f32_e32 v35, 0x32a5705f, v32
	v_sub_f32_e32 v34, v34, v36
	v_add_f32_e32 v34, v34, v35
	v_cmp_nlt_f32_e64 s[12:13], s45, v21
	v_mul_f32_e32 v8, v30, v8
	v_exp_f32_e32 v21, v34
	v_cvt_i32_f32_e32 v30, v36
	v_cndmask_b32_e64 v19, v18, v19, s[12:13]
	v_cndmask_b32_e64 v19, 0, v19, s[8:9]
	v_cmp_ngt_f32_e64 s[8:9], s44, v32
	v_ldexp_f32 v21, v21, v30
	v_exp_f32_e32 v29, v29
	v_cvt_i32_f32_e32 v33, v33
	v_cndmask_b32_e64 v21, 0, v21, s[8:9]
	v_cmp_nlt_f32_e64 s[8:9], s45, v32
	v_cndmask_b32_e64 v21, v18, v21, s[8:9]
	v_cndmask_b32_e64 v21, 0, v21, s[10:11]
	v_sub_f32_e32 v17, v17, v26
	s_waitcnt vmcnt(2)
	v_mul_f32_e32 v13, v13, v21
	v_mul_f32_e32 v21, 0x3fb8aa3b, v17
	;; [unrolled: 1-line block ×3, first 2 shown]
	v_ldexp_f32 v19, v29, v33
	v_fma_f32 v29, v17, s43, -v21
	v_rndne_f32_e32 v30, v21
	v_fmac_f32_e32 v29, 0x32a5705f, v17
	v_sub_f32_e32 v21, v21, v30
	v_add_f32_e32 v21, v21, v29
	v_exp_f32_e32 v21, v21
	v_cvt_i32_f32_e32 v29, v30
	v_cmp_ngt_f32_e64 s[8:9], s44, v28
	v_cndmask_b32_e64 v19, 0, v19, s[8:9]
	v_cmp_nlt_f32_e64 s[8:9], s45, v28
	v_cndmask_b32_e64 v19, v18, v19, s[8:9]
	v_cndmask_b32_e64 v19, 0, v19, s[2:3]
	v_ldexp_f32 v21, v21, v29
	v_cmp_ngt_f32_e64 s[2:3], s44, v17
	v_cndmask_b32_e64 v21, 0, v21, s[2:3]
	v_cmp_nlt_f32_e64 s[2:3], s45, v17
	v_cndmask_b32_e64 v17, v18, v21, s[2:3]
	v_sub_f32_e32 v21, v10, v26
	v_mul_f32_e32 v10, 0x3fb8aa3b, v21
	v_fma_f32 v26, v21, s43, -v10
	v_rndne_f32_e32 v28, v10
	v_fmac_f32_e32 v26, 0x32a5705f, v21
	v_sub_f32_e32 v10, v10, v28
	v_add_f32_e32 v10, v10, v26
	v_exp_f32_e32 v26, v10
	v_cvt_i32_f32_e32 v28, v28
	v_cndmask_b32_e64 v10, 0, v17, s[0:1]
	v_cmp_ngt_f32_e64 s[0:1], s44, v21
	v_mul_f32_e32 v6, v42, v6
	v_ldexp_f32 v17, v26, v28
	v_cndmask_b32_e64 v17, 0, v17, s[0:1]
	v_cmp_nlt_f32_e64 s[0:1], s45, v21
	v_cndmask_b32_e64 v17, v18, v17, s[0:1]
	v_cndmask_b32_e32 v17, 0, v17, vcc
	s_waitcnt vmcnt(0)
	v_mul_f32_e32 v15, v15, v17
	v_add_f32_e32 v17, v20, v22
	v_add_f32_e32 v17, v17, v23
	;; [unrolled: 1-line block ×5, first 2 shown]
	v_mul_f32_e32 v7, v40, v7
	v_add_f32_e32 v17, v17, v6
	v_add_f32_e32 v17, v17, v7
	;; [unrolled: 1-line block ×3, first 2 shown]
	v_mul_f32_e32 v14, v14, v10
	v_mul_f32_e32 v10, v31, v19
	v_add_f32_e32 v17, v17, v9
	v_add_f32_e32 v17, v17, v10
	;; [unrolled: 1-line block ×7, first 2 shown]
	ds_bpermute_b32 v1, v1, v17
	v_cmp_eq_u32_e32 vcc, 0, v0
	s_waitcnt lgkmcnt(0)
	v_add_f32_e32 v1, v17, v1
	ds_bpermute_b32 v2, v2, v1
	s_waitcnt lgkmcnt(0)
	v_add_f32_e32 v1, v1, v2
	ds_bpermute_b32 v2, v3, v1
	v_lshlrev_b32_e32 v3, 2, v0
	ds_write2st64_b32 v3, v20, v22 offset1:1
	ds_write2st64_b32 v3, v23, v24 offset0:2 offset1:3
	ds_write2st64_b32 v3, v25, v27 offset0:4 offset1:5
	;; [unrolled: 1-line block ×7, first 2 shown]
	s_waitcnt lgkmcnt(8)
	v_add_f32_e32 v1, v1, v2
	ds_bpermute_b32 v2, v4, v1
	s_waitcnt lgkmcnt(0)
	v_add_f32_e32 v1, v1, v2
	ds_bpermute_b32 v2, v5, v1
	;; [unrolled: 3-line block ×3, first 2 shown]
	s_and_saveexec_b64 s[0:1], vcc
	s_cbranch_execz .LBB35_8
; %bb.7:
	s_waitcnt lgkmcnt(0)
	v_add_f32_e32 v1, v1, v2
	v_mov_b32_e32 v2, 0
	ds_write_b32 v2, v1 offset:4096
.LBB35_8:
	s_or_b64 exec, exec, s[0:1]
	v_mov_b32_e32 v1, s42
.LBB35_9:
	s_or_b64 exec, exec, s[54:55]
	s_lshl_b32 s0, s56, 6
	s_mov_b32 s1, 0
	s_lshl_b64 s[0:1], s[0:1], 1
	s_add_u32 s0, s40, s0
	s_addc_u32 s1, s41, s1
	s_lshl_b32 s10, s33, 6
	s_waitcnt lgkmcnt(0)
	v_lshlrev_b32_e32 v2, 6, v1
	v_mov_b32_e32 v3, 0
	s_sub_i32 s11, s10, 64
	v_lshlrev_b64 v[4:5], 1, v[2:3]
	s_cmp_lt_i32 s60, 1
	v_mov_b32_e32 v1, s1
	v_add_co_u32_e32 v4, vcc, s0, v4
	s_cselect_b32 s0, s11, 0
	v_addc_co_u32_e32 v1, vcc, v1, v5, vcc
	v_lshlrev_b32_e32 v2, 1, v0
	s_ashr_i32 s1, s0, 31
	v_add_co_u32_e32 v0, vcc, v4, v2
	s_lshl_b64 s[0:1], s[0:1], 1
	v_addc_co_u32_e32 v1, vcc, 0, v1, vcc
	s_cmpk_lt_i32 s60, 0x101
	v_add_co_u32_e32 v12, vcc, s0, v0
	s_cselect_b32 s0, s11, 64
	v_mov_b32_e32 v4, s1
	s_ashr_i32 s1, s0, 31
	s_lshl_b64 s[0:1], s[0:1], 1
	v_addc_co_u32_e32 v13, vcc, v1, v4, vcc
	s_cmpk_lt_i32 s60, 0x201
	v_add_co_u32_e32 v14, vcc, s0, v0
	s_cselect_b32 s0, s11, 0x80
	v_mov_b32_e32 v4, s1
	s_ashr_i32 s1, s0, 31
	;; [unrolled: 7-line block ×8, first 2 shown]
	s_lshl_b64 s[0:1], s[0:1], 1
	v_addc_co_u32_e32 v27, vcc, v1, v4, vcc
	s_cmpk_lt_i32 s60, 0x901
	global_load_ushort v4, v[12:13], off
	global_load_ushort v5, v[14:15], off
	;; [unrolled: 1-line block ×8, first 2 shown]
	v_add_co_u32_e32 v20, vcc, s0, v0
	s_cselect_b32 s0, s11, 0x240
	v_mov_b32_e32 v12, s1
	s_ashr_i32 s1, s0, 31
	s_lshl_b64 s[0:1], s[0:1], 1
	v_addc_co_u32_e32 v21, vcc, v1, v12, vcc
	s_cmpk_lt_i32 s60, 0xa01
	v_add_co_u32_e32 v22, vcc, s0, v0
	s_cselect_b32 s0, s11, 0x280
	v_mov_b32_e32 v12, s1
	s_ashr_i32 s1, s0, 31
	s_lshl_b64 s[0:1], s[0:1], 1
	v_addc_co_u32_e32 v23, vcc, v1, v12, vcc
	s_cmpk_lt_i32 s60, 0xb01
	;; [unrolled: 7-line block ×6, first 2 shown]
	v_add_co_u32_e32 v32, vcc, s0, v0
	s_cselect_b32 s0, s11, 0x3c0
	v_mov_b32_e32 v12, s1
	s_ashr_i32 s1, s0, 31
	v_addc_co_u32_e32 v33, vcc, v1, v12, vcc
	s_lshl_b64 s[0:1], s[0:1], 1
	v_mov_b32_e32 v12, s1
	v_add_co_u32_e32 v34, vcc, s0, v0
	v_addc_co_u32_e32 v35, vcc, v1, v12, vcc
	global_load_ushort v12, v[20:21], off
	global_load_ushort v13, v[22:23], off
	;; [unrolled: 1-line block ×8, first 2 shown]
	s_cmpk_gt_i32 s60, 0x1000
	s_cselect_b64 s[8:9], -1, 0
	s_cmpk_lt_i32 s60, 0x1001
	v_mov_b32_e32 v36, 0
	v_mov_b32_e32 v37, 0
	;; [unrolled: 1-line block ×48, first 2 shown]
	s_waitcnt lgkmcnt(0)
	; wave barrier
	s_cbranch_scc1 .LBB35_12
; %bb.10:
	s_cmpk_lt_u32 s60, 0x1101
	s_cselect_b32 s0, s11, 0x440
	s_ashr_i32 s1, s0, 31
	s_lshl_b64 s[0:1], s[0:1], 1
	s_cmpk_lt_u32 s60, 0x1201
	v_add_co_u32_e32 v28, vcc, s0, v0
	s_cselect_b32 s0, s11, 0x480
	v_mov_b32_e32 v20, s1
	s_ashr_i32 s1, s0, 31
	s_lshl_b64 s[0:1], s[0:1], 1
	v_addc_co_u32_e32 v29, vcc, v1, v20, vcc
	s_cmpk_lt_u32 s60, 0x1301
	v_add_co_u32_e32 v30, vcc, s0, v0
	s_cselect_b32 s0, s11, 0x4c0
	v_mov_b32_e32 v20, s1
	s_ashr_i32 s1, s0, 31
	s_lshl_b64 s[0:1], s[0:1], 1
	v_addc_co_u32_e32 v31, vcc, v1, v20, vcc
	s_cmpk_lt_u32 s60, 0x1401
	v_add_co_u32_e32 v32, vcc, s0, v0
	s_cselect_b32 s0, s11, 0x500
	v_mov_b32_e32 v20, s1
	s_ashr_i32 s1, s0, 31
	s_lshl_b64 s[0:1], s[0:1], 1
	v_addc_co_u32_e32 v33, vcc, v1, v20, vcc
	s_cmpk_lt_u32 s60, 0x1501
	v_add_co_u32_e32 v34, vcc, s0, v0
	s_cselect_b32 s0, s11, 0x540
	v_mov_b32_e32 v20, s1
	s_ashr_i32 s1, s0, 31
	s_lshl_b64 s[0:1], s[0:1], 1
	v_addc_co_u32_e32 v35, vcc, v1, v20, vcc
	s_cmpk_lt_u32 s60, 0x1601
	v_add_co_u32_e32 v36, vcc, s0, v0
	s_cselect_b32 s0, s11, 0x580
	v_mov_b32_e32 v20, s1
	s_ashr_i32 s1, s0, 31
	s_lshl_b64 s[0:1], s[0:1], 1
	v_addc_co_u32_e32 v37, vcc, v1, v20, vcc
	s_cmpk_lt_u32 s60, 0x1701
	v_add_co_u32_e32 v38, vcc, s0, v0
	s_cselect_b32 s0, s11, 0x5c0
	v_mov_b32_e32 v20, s1
	s_ashr_i32 s1, s0, 31
	s_lshl_b64 s[0:1], s[0:1], 1
	v_addc_co_u32_e32 v39, vcc, v1, v20, vcc
	s_cmpk_lt_u32 s60, 0x1801
	v_add_co_u32_e32 v40, vcc, s0, v0
	s_cselect_b32 s0, s11, 0x600
	v_mov_b32_e32 v20, s1
	s_ashr_i32 s1, s0, 31
	s_lshl_b64 s[0:1], s[0:1], 1
	v_addc_co_u32_e32 v41, vcc, v1, v20, vcc
	s_cmpk_lt_u32 s60, 0x1901
	global_load_ushort v27, v[0:1], off offset:2048
	global_load_ushort v26, v[28:29], off
	global_load_ushort v25, v[30:31], off
	;; [unrolled: 1-line block ×7, first 2 shown]
	v_add_co_u32_e32 v36, vcc, s0, v0
	s_cselect_b32 s0, s11, 0x640
	v_mov_b32_e32 v28, s1
	s_ashr_i32 s1, s0, 31
	s_lshl_b64 s[0:1], s[0:1], 1
	v_addc_co_u32_e32 v37, vcc, v1, v28, vcc
	s_cmpk_lt_u32 s60, 0x1a01
	v_add_co_u32_e32 v38, vcc, s0, v0
	s_cselect_b32 s0, s11, 0x680
	v_mov_b32_e32 v28, s1
	s_ashr_i32 s1, s0, 31
	s_lshl_b64 s[0:1], s[0:1], 1
	v_addc_co_u32_e32 v39, vcc, v1, v28, vcc
	s_cmpk_lt_u32 s60, 0x1b01
	;; [unrolled: 7-line block ×6, first 2 shown]
	v_add_co_u32_e32 v48, vcc, s0, v0
	s_cselect_b32 s0, s11, 0x7c0
	v_mov_b32_e32 v28, s1
	s_ashr_i32 s1, s0, 31
	v_addc_co_u32_e32 v49, vcc, v1, v28, vcc
	s_lshl_b64 s[0:1], s[0:1], 1
	v_mov_b32_e32 v28, s1
	v_add_co_u32_e32 v50, vcc, s0, v0
	v_addc_co_u32_e32 v51, vcc, v1, v28, vcc
	global_load_ushort v35, v[36:37], off
	global_load_ushort v34, v[38:39], off
	;; [unrolled: 1-line block ×8, first 2 shown]
	s_cmpk_lt_u32 s60, 0x2001
	v_mov_b32_e32 v67, 0
	v_mov_b32_e32 v66, 0
	;; [unrolled: 1-line block ×32, first 2 shown]
	s_cbranch_scc1 .LBB35_12
; %bb.11:
	s_cmpk_lt_u32 s60, 0x2101
	s_cselect_b32 s0, s11, 0x840
	s_ashr_i32 s1, s0, 31
	v_add_co_u32_e32 v36, vcc, 0x1000, v0
	s_lshl_b64 s[0:1], s[0:1], 1
	v_addc_co_u32_e32 v37, vcc, 0, v1, vcc
	s_cmpk_lt_u32 s60, 0x2201
	v_add_co_u32_e32 v38, vcc, s0, v0
	s_cselect_b32 s0, s11, 0x880
	v_mov_b32_e32 v39, s1
	s_ashr_i32 s1, s0, 31
	s_lshl_b64 s[0:1], s[0:1], 1
	v_addc_co_u32_e32 v39, vcc, v1, v39, vcc
	s_cmpk_lt_u32 s60, 0x2301
	v_add_co_u32_e32 v40, vcc, s0, v0
	s_cselect_b32 s0, s11, 0x8c0
	v_mov_b32_e32 v41, s1
	s_ashr_i32 s1, s0, 31
	s_lshl_b64 s[0:1], s[0:1], 1
	v_addc_co_u32_e32 v41, vcc, v1, v41, vcc
	s_cmpk_lt_u32 s60, 0x2401
	v_add_co_u32_e32 v42, vcc, s0, v0
	s_cselect_b32 s0, s11, 0x900
	v_mov_b32_e32 v43, s1
	s_ashr_i32 s1, s0, 31
	s_lshl_b64 s[0:1], s[0:1], 1
	v_addc_co_u32_e32 v43, vcc, v1, v43, vcc
	s_cmpk_lt_u32 s60, 0x2501
	v_add_co_u32_e32 v44, vcc, s0, v0
	s_cselect_b32 s0, s11, 0x940
	v_mov_b32_e32 v45, s1
	s_ashr_i32 s1, s0, 31
	s_lshl_b64 s[0:1], s[0:1], 1
	v_addc_co_u32_e32 v45, vcc, v1, v45, vcc
	s_cmpk_lt_u32 s60, 0x2601
	v_add_co_u32_e32 v46, vcc, s0, v0
	s_cselect_b32 s0, s11, 0x980
	v_mov_b32_e32 v47, s1
	s_ashr_i32 s1, s0, 31
	s_lshl_b64 s[0:1], s[0:1], 1
	v_addc_co_u32_e32 v47, vcc, v1, v47, vcc
	s_cmpk_lt_u32 s60, 0x2701
	v_add_co_u32_e32 v48, vcc, s0, v0
	s_cselect_b32 s0, s11, 0x9c0
	v_mov_b32_e32 v49, s1
	s_ashr_i32 s1, s0, 31
	s_lshl_b64 s[0:1], s[0:1], 1
	v_addc_co_u32_e32 v49, vcc, v1, v49, vcc
	s_cmpk_lt_u32 s60, 0x2801
	v_add_co_u32_e32 v50, vcc, s0, v0
	s_cselect_b32 s0, s11, 0xa00
	v_mov_b32_e32 v51, s1
	s_ashr_i32 s1, s0, 31
	s_lshl_b64 s[0:1], s[0:1], 1
	v_addc_co_u32_e32 v51, vcc, v1, v51, vcc
	s_cmpk_lt_u32 s60, 0x2901
	global_load_ushort v52, v[36:37], off
	global_load_ushort v53, v[38:39], off
	global_load_ushort v54, v[40:41], off
	global_load_ushort v55, v[42:43], off
	global_load_ushort v56, v[44:45], off
	global_load_ushort v57, v[46:47], off
	global_load_ushort v58, v[48:49], off
	global_load_ushort v59, v[50:51], off
	v_add_co_u32_e32 v36, vcc, s0, v0
	s_cselect_b32 s0, s11, 0xa40
	v_mov_b32_e32 v37, s1
	s_ashr_i32 s1, s0, 31
	s_lshl_b64 s[0:1], s[0:1], 1
	v_addc_co_u32_e32 v37, vcc, v1, v37, vcc
	s_cmpk_lt_u32 s60, 0x2a01
	v_add_co_u32_e32 v38, vcc, s0, v0
	s_cselect_b32 s0, s11, 0xa80
	v_mov_b32_e32 v39, s1
	s_ashr_i32 s1, s0, 31
	s_lshl_b64 s[0:1], s[0:1], 1
	v_addc_co_u32_e32 v39, vcc, v1, v39, vcc
	s_cmpk_lt_u32 s60, 0x2b01
	v_add_co_u32_e32 v40, vcc, s0, v0
	s_cselect_b32 s0, s11, 0xac0
	v_mov_b32_e32 v41, s1
	s_ashr_i32 s1, s0, 31
	s_lshl_b64 s[0:1], s[0:1], 1
	v_addc_co_u32_e32 v41, vcc, v1, v41, vcc
	s_cmpk_lt_u32 s60, 0x2c01
	v_add_co_u32_e32 v42, vcc, s0, v0
	s_cselect_b32 s0, s11, 0xb00
	v_mov_b32_e32 v43, s1
	s_ashr_i32 s1, s0, 31
	s_lshl_b64 s[0:1], s[0:1], 1
	v_addc_co_u32_e32 v43, vcc, v1, v43, vcc
	s_cmpk_lt_u32 s60, 0x2d01
	v_add_co_u32_e32 v44, vcc, s0, v0
	s_cselect_b32 s0, s11, 0xb40
	v_mov_b32_e32 v45, s1
	s_ashr_i32 s1, s0, 31
	s_lshl_b64 s[0:1], s[0:1], 1
	v_addc_co_u32_e32 v45, vcc, v1, v45, vcc
	s_cmpk_lt_u32 s60, 0x2e01
	v_add_co_u32_e32 v46, vcc, s0, v0
	s_cselect_b32 s0, s11, 0xb80
	v_mov_b32_e32 v47, s1
	s_ashr_i32 s1, s0, 31
	s_lshl_b64 s[0:1], s[0:1], 1
	v_addc_co_u32_e32 v47, vcc, v1, v47, vcc
	s_cmpk_lt_u32 s60, 0x2f01
	v_add_co_u32_e32 v48, vcc, s0, v0
	s_cselect_b32 s0, s11, 0xbc0
	v_mov_b32_e32 v49, s1
	s_ashr_i32 s1, s0, 31
	s_lshl_b64 s[0:1], s[0:1], 1
	v_addc_co_u32_e32 v49, vcc, v1, v49, vcc
	s_cmpk_lt_u32 s60, 0x3001
	v_add_co_u32_e32 v50, vcc, s0, v0
	s_cselect_b32 s0, s11, 0xc00
	v_mov_b32_e32 v51, s1
	s_ashr_i32 s1, s0, 31
	s_lshl_b64 s[0:1], s[0:1], 1
	v_addc_co_u32_e32 v51, vcc, v1, v51, vcc
	s_cmpk_lt_u32 s60, 0x3101
	global_load_ushort v68, v[36:37], off
	global_load_ushort v69, v[38:39], off
	global_load_ushort v70, v[40:41], off
	global_load_ushort v71, v[42:43], off
	global_load_ushort v72, v[44:45], off
	global_load_ushort v73, v[46:47], off
	global_load_ushort v74, v[48:49], off
	global_load_ushort v75, v[50:51], off
	v_add_co_u32_e32 v36, vcc, s0, v0
	s_cselect_b32 s0, s11, 0xc40
	v_mov_b32_e32 v37, s1
	s_ashr_i32 s1, s0, 31
	;; [unrolled: 64-line block ×3, first 2 shown]
	s_lshl_b64 s[0:1], s[0:1], 1
	v_addc_co_u32_e32 v37, vcc, v1, v37, vcc
	s_cmpk_lt_u32 s60, 0x3a01
	v_add_co_u32_e32 v38, vcc, s0, v0
	s_cselect_b32 s0, s11, 0xe80
	v_mov_b32_e32 v39, s1
	s_ashr_i32 s1, s0, 31
	s_lshl_b64 s[0:1], s[0:1], 1
	v_addc_co_u32_e32 v39, vcc, v1, v39, vcc
	s_cmpk_lt_u32 s60, 0x3b01
	v_add_co_u32_e32 v40, vcc, s0, v0
	s_cselect_b32 s0, s11, 0xec0
	v_mov_b32_e32 v41, s1
	s_ashr_i32 s1, s0, 31
	;; [unrolled: 7-line block ×6, first 2 shown]
	v_addc_co_u32_e32 v49, vcc, v1, v49, vcc
	s_lshl_b64 s[0:1], s[0:1], 1
	v_mov_b32_e32 v51, s1
	v_add_co_u32_e32 v50, vcc, s0, v0
	v_addc_co_u32_e32 v51, vcc, v1, v51, vcc
	global_load_ushort v84, v[36:37], off
	global_load_ushort v85, v[38:39], off
	;; [unrolled: 1-line block ×8, first 2 shown]
	s_waitcnt vmcnt(31)
	v_cvt_f32_f16_e32 v67, v52
	s_waitcnt vmcnt(30)
	v_cvt_f32_f16_e32 v66, v53
	;; [unrolled: 2-line block ×32, first 2 shown]
.LBB35_12:
	ds_read_b128 v[68:71], v3
	s_load_dwordx2 s[0:1], s[4:5], 0x0
	s_load_dwordx2 s[2:3], s[4:5], 0x38
	ds_read_b128 v[72:75], v3 offset:16
	ds_read_b128 v[76:79], v3 offset:32
	;; [unrolled: 1-line block ×3, first 2 shown]
	s_and_b64 vcc, exec, s[8:9]
	s_waitcnt vmcnt(15) lgkmcnt(0)
	v_fma_mix_f32 v4, v68, v4, 0 op_sel_hi:[0,1,0]
	s_waitcnt vmcnt(14)
	v_fma_mix_f32 v4, v69, v5, v4 op_sel_hi:[0,1,0]
	s_waitcnt vmcnt(13)
	;; [unrolled: 2-line block ×15, first 2 shown]
	v_fma_mix_f32 v4, v83, v19, v4 op_sel_hi:[0,1,0]
	s_cbranch_vccz .LBB35_15
; %bb.13:
	ds_read_b128 v[6:9], v3 offset:64
	ds_read_b128 v[10:13], v3 offset:80
	;; [unrolled: 1-line block ×4, first 2 shown]
	s_cmpk_lt_u32 s60, 0x2001
	s_waitcnt lgkmcnt(3)
	v_fma_mix_f32 v3, v6, v27, v4 op_sel_hi:[0,1,0]
	v_fma_mix_f32 v3, v7, v26, v3 op_sel_hi:[0,1,0]
	v_fma_mix_f32 v3, v8, v25, v3 op_sel_hi:[0,1,0]
	v_fma_mix_f32 v3, v9, v24, v3 op_sel_hi:[0,1,0]
	s_waitcnt lgkmcnt(2)
	v_fma_mix_f32 v3, v10, v23, v3 op_sel_hi:[0,1,0]
	v_fma_mix_f32 v3, v11, v22, v3 op_sel_hi:[0,1,0]
	v_fma_mix_f32 v3, v12, v20, v3 op_sel_hi:[0,1,0]
	v_fma_mix_f32 v3, v13, v21, v3 op_sel_hi:[0,1,0]
	;; [unrolled: 5-line block ×4, first 2 shown]
	s_cbranch_scc1 .LBB35_15
; %bb.14:
	v_mov_b32_e32 v3, 0
	ds_read_b128 v[6:9], v3 offset:128
	ds_read_b128 v[10:13], v3 offset:144
	;; [unrolled: 1-line block ×4, first 2 shown]
	s_waitcnt lgkmcnt(3)
	v_fmac_f32_e32 v4, v6, v67
	v_fmac_f32_e32 v4, v7, v66
	v_fmac_f32_e32 v4, v8, v65
	v_fmac_f32_e32 v4, v9, v64
	s_waitcnt lgkmcnt(2)
	v_fmac_f32_e32 v4, v10, v63
	v_fmac_f32_e32 v4, v11, v62
	v_fmac_f32_e32 v4, v12, v61
	v_fmac_f32_e32 v4, v13, v60
	;; [unrolled: 5-line block ×3, first 2 shown]
	ds_read_b128 v[6:9], v3 offset:192
	ds_read_b128 v[10:13], v3 offset:208
	s_waitcnt lgkmcnt(2)
	v_fmac_f32_e32 v4, v18, v55
	v_fmac_f32_e32 v4, v19, v54
	;; [unrolled: 1-line block ×4, first 2 shown]
	s_waitcnt lgkmcnt(1)
	v_fmac_f32_e32 v4, v6, v51
	v_fmac_f32_e32 v4, v7, v50
	;; [unrolled: 1-line block ×4, first 2 shown]
	ds_read_b128 v[6:9], v3 offset:224
	s_waitcnt lgkmcnt(1)
	v_fmac_f32_e32 v4, v10, v47
	v_fmac_f32_e32 v4, v11, v46
	;; [unrolled: 1-line block ×4, first 2 shown]
	ds_read_b128 v[10:13], v3 offset:240
	s_waitcnt lgkmcnt(1)
	v_fmac_f32_e32 v4, v6, v43
	v_fmac_f32_e32 v4, v7, v42
	v_fmac_f32_e32 v4, v8, v41
	v_fmac_f32_e32 v4, v9, v40
	s_waitcnt lgkmcnt(0)
	v_fmac_f32_e32 v4, v10, v39
	v_fmac_f32_e32 v4, v11, v38
	;; [unrolled: 1-line block ×4, first 2 shown]
.LBB35_15:
	s_movk_i32 s4, 0x1fc0
	s_movk_i32 s5, 0x100
	s_mov_b32 s8, 64
	s_branch .LBB35_17
.LBB35_16:                              ;   in Loop: Header=BB35_17 Depth=1
	s_addk_i32 s4, 0x1000
	s_addk_i32 s5, 0x100
	s_add_i32 s8, s8, 64
	s_cmp_eq_u32 s4, 0x10fc0
	s_cbranch_scc1 .LBB35_19
.LBB35_17:                              ; =>This Inner Loop Header: Depth=1
	s_cmp_le_i32 s33, s8
	s_cbranch_scc1 .LBB35_16
; %bb.18:                               ;   in Loop: Header=BB35_17 Depth=1
	s_add_i32 s9, s4, 0xfffff040
	s_cmp_lt_i32 s9, s10
	s_cselect_b32 s12, s9, s11
	s_ashr_i32 s13, s12, 31
	s_lshl_b64 s[12:13], s[12:13], 1
	s_add_i32 s9, s4, 0xfffff080
	s_cmp_lt_i32 s9, s10
	v_add_co_u32_e32 v12, vcc, s12, v0
	s_cselect_b32 s12, s9, s11
	v_mov_b32_e32 v3, s13
	s_ashr_i32 s13, s12, 31
	s_lshl_b64 s[12:13], s[12:13], 1
	s_add_i32 s9, s4, 0xfffff0c0
	v_addc_co_u32_e32 v13, vcc, v1, v3, vcc
	s_cmp_lt_i32 s9, s10
	v_add_co_u32_e32 v14, vcc, s12, v0
	s_cselect_b32 s12, s9, s11
	v_mov_b32_e32 v3, s13
	s_ashr_i32 s13, s12, 31
	s_lshl_b64 s[12:13], s[12:13], 1
	s_add_i32 s9, s4, 0xfffff100
	v_addc_co_u32_e32 v15, vcc, v1, v3, vcc
	;; [unrolled: 8-line block ×8, first 2 shown]
	s_cmp_lt_i32 s9, s10
	global_load_ushort v3, v[12:13], off
	global_load_ushort v5, v[14:15], off
	;; [unrolled: 1-line block ×8, first 2 shown]
	v_add_co_u32_e32 v20, vcc, s12, v0
	s_cselect_b32 s12, s9, s11
	v_mov_b32_e32 v12, s13
	s_ashr_i32 s13, s12, 31
	s_lshl_b64 s[12:13], s[12:13], 1
	s_add_i32 s9, s4, 0xfffff2c0
	v_addc_co_u32_e32 v21, vcc, v1, v12, vcc
	s_cmp_lt_i32 s9, s10
	v_add_co_u32_e32 v22, vcc, s12, v0
	s_cselect_b32 s12, s9, s11
	v_mov_b32_e32 v12, s13
	s_ashr_i32 s13, s12, 31
	s_lshl_b64 s[12:13], s[12:13], 1
	s_add_i32 s9, s4, 0xfffff300
	v_addc_co_u32_e32 v23, vcc, v1, v12, vcc
	s_cmp_lt_i32 s9, s10
	;; [unrolled: 8-line block ×8, first 2 shown]
	global_load_ushort v15, v[20:21], off
	global_load_ushort v16, v[22:23], off
	;; [unrolled: 1-line block ×8, first 2 shown]
	v_add_co_u32_e32 v28, vcc, s12, v0
	s_cselect_b32 s12, s9, s11
	v_mov_b32_e32 v20, s13
	s_ashr_i32 s13, s12, 31
	s_lshl_b64 s[12:13], s[12:13], 1
	s_add_i32 s9, s4, 0xfffff4c0
	v_addc_co_u32_e32 v29, vcc, v1, v20, vcc
	s_cmp_lt_i32 s9, s10
	v_add_co_u32_e32 v30, vcc, s12, v0
	s_cselect_b32 s12, s9, s11
	v_mov_b32_e32 v20, s13
	s_ashr_i32 s13, s12, 31
	s_lshl_b64 s[12:13], s[12:13], 1
	s_add_i32 s9, s4, 0xfffff500
	v_addc_co_u32_e32 v31, vcc, v1, v20, vcc
	s_cmp_lt_i32 s9, s10
	;; [unrolled: 8-line block ×8, first 2 shown]
	global_load_ushort v23, v[28:29], off
	global_load_ushort v24, v[30:31], off
	;; [unrolled: 1-line block ×8, first 2 shown]
	v_add_co_u32_e32 v36, vcc, s12, v0
	s_cselect_b32 s12, s9, s11
	v_mov_b32_e32 v28, s13
	s_ashr_i32 s13, s12, 31
	s_lshl_b64 s[12:13], s[12:13], 1
	s_add_i32 s9, s4, 0xfffff6c0
	v_addc_co_u32_e32 v37, vcc, v1, v28, vcc
	s_cmp_lt_i32 s9, s10
	v_add_co_u32_e32 v38, vcc, s12, v0
	s_cselect_b32 s12, s9, s11
	v_mov_b32_e32 v28, s13
	s_ashr_i32 s13, s12, 31
	s_lshl_b64 s[12:13], s[12:13], 1
	s_add_i32 s9, s4, 0xfffff700
	v_addc_co_u32_e32 v39, vcc, v1, v28, vcc
	s_cmp_lt_i32 s9, s10
	;; [unrolled: 8-line block ×8, first 2 shown]
	global_load_ushort v31, v[36:37], off
	global_load_ushort v32, v[38:39], off
	;; [unrolled: 1-line block ×8, first 2 shown]
	v_add_co_u32_e32 v36, vcc, s12, v0
	s_cselect_b32 s12, s9, s11
	v_mov_b32_e32 v37, s13
	s_ashr_i32 s13, s12, 31
	s_lshl_b64 s[12:13], s[12:13], 1
	s_add_i32 s9, s4, 0xfffff8c0
	v_addc_co_u32_e32 v37, vcc, v1, v37, vcc
	s_cmp_lt_i32 s9, s10
	v_add_co_u32_e32 v38, vcc, s12, v0
	s_cselect_b32 s12, s9, s11
	v_mov_b32_e32 v39, s13
	s_ashr_i32 s13, s12, 31
	s_lshl_b64 s[12:13], s[12:13], 1
	s_add_i32 s9, s4, 0xfffff900
	v_addc_co_u32_e32 v39, vcc, v1, v39, vcc
	s_cmp_lt_i32 s9, s10
	;; [unrolled: 8-line block ×8, first 2 shown]
	global_load_ushort v52, v[36:37], off
	global_load_ushort v53, v[38:39], off
	;; [unrolled: 1-line block ×8, first 2 shown]
	v_add_co_u32_e32 v36, vcc, s12, v0
	s_cselect_b32 s12, s9, s11
	v_mov_b32_e32 v37, s13
	s_ashr_i32 s13, s12, 31
	s_lshl_b64 s[12:13], s[12:13], 1
	s_add_i32 s9, s4, 0xfffffac0
	v_addc_co_u32_e32 v37, vcc, v1, v37, vcc
	s_cmp_lt_i32 s9, s10
	v_add_co_u32_e32 v38, vcc, s12, v0
	s_cselect_b32 s12, s9, s11
	v_mov_b32_e32 v39, s13
	s_ashr_i32 s13, s12, 31
	s_lshl_b64 s[12:13], s[12:13], 1
	s_add_i32 s9, s4, 0xfffffb00
	v_addc_co_u32_e32 v39, vcc, v1, v39, vcc
	s_cmp_lt_i32 s9, s10
	;; [unrolled: 8-line block ×8, first 2 shown]
	global_load_ushort v60, v[36:37], off
	global_load_ushort v61, v[38:39], off
	;; [unrolled: 1-line block ×8, first 2 shown]
	v_add_co_u32_e32 v36, vcc, s12, v0
	s_cselect_b32 s12, s9, s11
	v_mov_b32_e32 v37, s13
	s_ashr_i32 s13, s12, 31
	s_lshl_b64 s[12:13], s[12:13], 1
	s_add_i32 s9, s4, 0xfffffcc0
	v_addc_co_u32_e32 v37, vcc, v1, v37, vcc
	s_cmp_lt_i32 s9, s10
	v_add_co_u32_e32 v38, vcc, s12, v0
	s_cselect_b32 s12, s9, s11
	v_mov_b32_e32 v39, s13
	s_ashr_i32 s13, s12, 31
	s_lshl_b64 s[12:13], s[12:13], 1
	s_add_i32 s9, s4, 0xfffffd00
	v_addc_co_u32_e32 v39, vcc, v1, v39, vcc
	s_cmp_lt_i32 s9, s10
	;; [unrolled: 8-line block ×8, first 2 shown]
	global_load_ushort v68, v[36:37], off
	global_load_ushort v69, v[38:39], off
	;; [unrolled: 1-line block ×8, first 2 shown]
	v_add_co_u32_e32 v36, vcc, s12, v0
	s_cselect_b32 s12, s9, s11
	v_mov_b32_e32 v37, s13
	s_ashr_i32 s13, s12, 31
	s_lshl_b64 s[12:13], s[12:13], 1
	s_add_i32 s9, s4, 0xfffffec0
	v_addc_co_u32_e32 v37, vcc, v1, v37, vcc
	s_cmp_lt_i32 s9, s10
	v_add_co_u32_e32 v38, vcc, s12, v0
	s_cselect_b32 s12, s9, s11
	v_mov_b32_e32 v39, s13
	s_ashr_i32 s13, s12, 31
	s_lshl_b64 s[12:13], s[12:13], 1
	s_add_i32 s9, s4, 0xffffff00
	v_addc_co_u32_e32 v39, vcc, v1, v39, vcc
	s_cmp_lt_i32 s9, s10
	;; [unrolled: 8-line block ×4, first 2 shown]
	v_add_co_u32_e32 v44, vcc, s12, v0
	s_cselect_b32 s12, s9, s11
	v_mov_b32_e32 v45, s13
	s_ashr_i32 s13, s12, 31
	s_lshl_b64 s[12:13], s[12:13], 1
	s_sub_i32 s9, s4, 64
	v_addc_co_u32_e32 v45, vcc, v1, v45, vcc
	s_cmp_lt_i32 s9, s10
	v_add_co_u32_e32 v46, vcc, s12, v0
	s_cselect_b32 s12, s9, s11
	v_mov_b32_e32 v47, s13
	s_ashr_i32 s13, s12, 31
	s_lshl_b64 s[12:13], s[12:13], 1
	v_addc_co_u32_e32 v47, vcc, v1, v47, vcc
	s_cmp_lt_i32 s4, s10
	v_add_co_u32_e32 v48, vcc, s12, v0
	s_cselect_b32 s12, s4, s11
	v_mov_b32_e32 v49, s13
	s_ashr_i32 s13, s12, 31
	v_addc_co_u32_e32 v49, vcc, v1, v49, vcc
	s_lshl_b64 s[12:13], s[12:13], 1
	v_mov_b32_e32 v51, s13
	v_add_co_u32_e32 v50, vcc, s12, v0
	v_addc_co_u32_e32 v51, vcc, v1, v51, vcc
	global_load_ushort v76, v[36:37], off
	global_load_ushort v77, v[38:39], off
	global_load_ushort v78, v[40:41], off
	global_load_ushort v79, v[42:43], off
	global_load_ushort v80, v[44:45], off
	global_load_ushort v81, v[46:47], off
	global_load_ushort v82, v[48:49], off
	global_load_ushort v83, v[50:51], off
	v_mov_b32_e32 v84, s5
	ds_read_b128 v[36:39], v84
	ds_read_b128 v[40:43], v84 offset:16
	ds_read_b128 v[44:47], v84 offset:32
	ds_read_b128 v[48:51], v84 offset:48
	s_waitcnt vmcnt(62) lgkmcnt(3)
	v_fma_mix_f32 v3, v36, v3, v4 op_sel_hi:[0,1,0]
	v_fma_mix_f32 v3, v37, v5, v3 op_sel_hi:[0,1,0]
	s_waitcnt vmcnt(61)
	v_fma_mix_f32 v3, v38, v6, v3 op_sel_hi:[0,1,0]
	s_waitcnt vmcnt(60)
	v_fma_mix_f32 v3, v39, v7, v3 op_sel_hi:[0,1,0]
	s_waitcnt vmcnt(59) lgkmcnt(2)
	v_fma_mix_f32 v3, v40, v8, v3 op_sel_hi:[0,1,0]
	s_waitcnt vmcnt(58)
	v_fma_mix_f32 v3, v41, v9, v3 op_sel_hi:[0,1,0]
	s_waitcnt vmcnt(57)
	;; [unrolled: 2-line block ×3, first 2 shown]
	v_fma_mix_f32 v3, v43, v11, v3 op_sel_hi:[0,1,0]
	s_waitcnt vmcnt(55) lgkmcnt(1)
	v_fma_mix_f32 v3, v44, v15, v3 op_sel_hi:[0,1,0]
	s_waitcnt vmcnt(54)
	v_fma_mix_f32 v3, v45, v16, v3 op_sel_hi:[0,1,0]
	s_waitcnt vmcnt(53)
	;; [unrolled: 2-line block ×3, first 2 shown]
	v_fma_mix_f32 v3, v47, v18, v3 op_sel_hi:[0,1,0]
	ds_read_b128 v[4:7], v84 offset:64
	ds_read_b128 v[8:11], v84 offset:80
	s_waitcnt vmcnt(51) lgkmcnt(2)
	v_fma_mix_f32 v3, v48, v19, v3 op_sel_hi:[0,1,0]
	s_waitcnt vmcnt(50)
	v_fma_mix_f32 v3, v49, v12, v3 op_sel_hi:[0,1,0]
	s_waitcnt vmcnt(49)
	;; [unrolled: 2-line block ×3, first 2 shown]
	v_fma_mix_f32 v3, v51, v14, v3 op_sel_hi:[0,1,0]
	s_waitcnt vmcnt(47) lgkmcnt(1)
	v_fma_mix_f32 v3, v4, v23, v3 op_sel_hi:[0,1,0]
	s_waitcnt vmcnt(46)
	v_fma_mix_f32 v3, v5, v24, v3 op_sel_hi:[0,1,0]
	s_waitcnt vmcnt(45)
	v_fma_mix_f32 v3, v6, v25, v3 op_sel_hi:[0,1,0]
	s_waitcnt vmcnt(44)
	v_fma_mix_f32 v3, v7, v26, v3 op_sel_hi:[0,1,0]
	ds_read_b128 v[4:7], v84 offset:96
	s_waitcnt vmcnt(43) lgkmcnt(1)
	v_fma_mix_f32 v3, v8, v27, v3 op_sel_hi:[0,1,0]
	s_waitcnt vmcnt(42)
	v_fma_mix_f32 v3, v9, v20, v3 op_sel_hi:[0,1,0]
	s_waitcnt vmcnt(41)
	v_fma_mix_f32 v3, v10, v21, v3 op_sel_hi:[0,1,0]
	s_waitcnt vmcnt(40)
	v_fma_mix_f32 v3, v11, v22, v3 op_sel_hi:[0,1,0]
	ds_read_b128 v[8:11], v84 offset:112
	;; [unrolled: 9-line block ×10, first 2 shown]
	s_waitcnt vmcnt(7) lgkmcnt(1)
	v_fma_mix_f32 v3, v4, v76, v3 op_sel_hi:[0,1,0]
	s_waitcnt vmcnt(6)
	v_fma_mix_f32 v3, v5, v77, v3 op_sel_hi:[0,1,0]
	s_waitcnt vmcnt(5)
	;; [unrolled: 2-line block ×3, first 2 shown]
	v_fma_mix_f32 v3, v7, v79, v3 op_sel_hi:[0,1,0]
	s_waitcnt vmcnt(3) lgkmcnt(0)
	v_fma_mix_f32 v3, v8, v80, v3 op_sel_hi:[0,1,0]
	s_waitcnt vmcnt(2)
	v_fma_mix_f32 v3, v9, v81, v3 op_sel_hi:[0,1,0]
	s_waitcnt vmcnt(1)
	v_fma_mix_f32 v3, v10, v82, v3 op_sel_hi:[0,1,0]
	s_waitcnt vmcnt(0)
	v_fma_mix_f32 v4, v11, v83, v3 op_sel_hi:[0,1,0]
	s_branch .LBB35_16
.LBB35_19:
	v_mov_b32_e32 v0, 0
	ds_read_b32 v1, v0 offset:4096
	s_cmp_lg_u64 s[2:3], 0
	s_cbranch_scc0 .LBB35_24
; %bb.20:
	s_load_dword s4, s[2:3], 0x0
	s_waitcnt lgkmcnt(0)
	v_div_scale_f32 v0, s[2:3], s4, s4, 1.0
	v_rcp_f32_e32 v3, v0
	v_div_scale_f32 v5, vcc, 1.0, s4, 1.0
	v_fma_f32 v6, -v0, v3, 1.0
	v_fmac_f32_e32 v3, v6, v3
	v_mul_f32_e32 v6, v5, v3
	v_fma_f32 v7, -v0, v6, v5
	v_fmac_f32_e32 v6, v7, v3
	v_fma_f32 v0, -v0, v6, v5
	v_div_fmas_f32 v0, v0, v3, v6
	v_div_fixup_f32 v0, v0, s4, 1.0
	s_andn2_b64 vcc, exec, s[50:51]
	s_cbranch_vccnz .LBB35_22
.LBB35_21:
	s_add_u32 s2, s48, s52
	s_addc_u32 s3, s49, s53
	s_load_dword s38, s[2:3], 0x0
	s_mov_b32 s39, 0
.LBB35_22:
	s_waitcnt lgkmcnt(0)
	v_add_f32_e32 v1, 0x358637bd, v1
	v_div_scale_f32 v3, s[2:3], v1, v1, 1.0
	v_rcp_f32_e32 v5, v3
	v_div_scale_f32 v6, vcc, 1.0, v1, 1.0
	s_mul_i32 s2, s7, s39
	v_fma_f32 v7, -v3, v5, 1.0
	v_fmac_f32_e32 v5, v7, v5
	v_mul_f32_e32 v7, v6, v5
	v_fma_f32 v8, -v3, v7, v6
	s_mul_hi_u32 s3, s7, s38
	v_fmac_f32_e32 v7, v8, v5
	s_add_i32 s3, s3, s2
	s_mul_i32 s2, s7, s38
	v_fma_f32 v3, -v3, v7, v6
	s_lshl_b64 s[2:3], s[2:3], 7
	v_div_fmas_f32 v3, v3, v5, v7
	s_add_u32 s2, s0, s2
	s_mov_b32 s7, 0
	v_div_fixup_f32 v1, v3, v1, 1.0
	s_addc_u32 s3, s1, s3
	s_lshl_b64 s[0:1], s[6:7], 7
	v_mul_f32_e32 v1, v4, v1
	s_add_u32 s0, s2, s0
	s_addc_u32 s1, s3, s1
	v_fma_mixlo_f16 v0, v1, v0, 0
	global_store_short v2, v0, s[0:1]
	s_endpgm
.LBB35_23:
	s_mov_b64 s[2:3], 0
	s_branch .LBB35_2
.LBB35_24:
	v_mov_b32_e32 v0, 1.0
	s_andn2_b64 vcc, exec, s[50:51]
	s_cbranch_vccz .LBB35_21
	s_branch .LBB35_22
	.section	.rodata,"a",@progbits
	.p2align	6, 0x0
	.amdhsa_kernel _Z35paged_attention_ll4mi_reduce_kernelIDF16_DF16_Li64ELi64ELi256ELi16EEvPT0_PKfS3_PKT_PKiS8_iS3_
		.amdhsa_group_segment_fixed_size 4100
		.amdhsa_private_segment_fixed_size 0
		.amdhsa_kernarg_size 320
		.amdhsa_user_sgpr_count 6
		.amdhsa_user_sgpr_private_segment_buffer 1
		.amdhsa_user_sgpr_dispatch_ptr 0
		.amdhsa_user_sgpr_queue_ptr 0
		.amdhsa_user_sgpr_kernarg_segment_ptr 1
		.amdhsa_user_sgpr_dispatch_id 0
		.amdhsa_user_sgpr_flat_scratch_init 0
		.amdhsa_user_sgpr_kernarg_preload_length 0
		.amdhsa_user_sgpr_kernarg_preload_offset 0
		.amdhsa_user_sgpr_private_segment_size 0
		.amdhsa_uses_dynamic_stack 0
		.amdhsa_system_sgpr_private_segment_wavefront_offset 0
		.amdhsa_system_sgpr_workgroup_id_x 1
		.amdhsa_system_sgpr_workgroup_id_y 1
		.amdhsa_system_sgpr_workgroup_id_z 0
		.amdhsa_system_sgpr_workgroup_info 0
		.amdhsa_system_vgpr_workitem_id 0
		.amdhsa_next_free_vgpr 92
		.amdhsa_next_free_sgpr 61
		.amdhsa_accum_offset 92
		.amdhsa_reserve_vcc 1
		.amdhsa_reserve_flat_scratch 0
		.amdhsa_float_round_mode_32 0
		.amdhsa_float_round_mode_16_64 0
		.amdhsa_float_denorm_mode_32 3
		.amdhsa_float_denorm_mode_16_64 3
		.amdhsa_dx10_clamp 1
		.amdhsa_ieee_mode 1
		.amdhsa_fp16_overflow 0
		.amdhsa_tg_split 0
		.amdhsa_exception_fp_ieee_invalid_op 0
		.amdhsa_exception_fp_denorm_src 0
		.amdhsa_exception_fp_ieee_div_zero 0
		.amdhsa_exception_fp_ieee_overflow 0
		.amdhsa_exception_fp_ieee_underflow 0
		.amdhsa_exception_fp_ieee_inexact 0
		.amdhsa_exception_int_div_zero 0
	.end_amdhsa_kernel
	.section	.text._Z35paged_attention_ll4mi_reduce_kernelIDF16_DF16_Li64ELi64ELi256ELi16EEvPT0_PKfS3_PKT_PKiS8_iS3_,"axG",@progbits,_Z35paged_attention_ll4mi_reduce_kernelIDF16_DF16_Li64ELi64ELi256ELi16EEvPT0_PKfS3_PKT_PKiS8_iS3_,comdat
.Lfunc_end35:
	.size	_Z35paged_attention_ll4mi_reduce_kernelIDF16_DF16_Li64ELi64ELi256ELi16EEvPT0_PKfS3_PKT_PKiS8_iS3_, .Lfunc_end35-_Z35paged_attention_ll4mi_reduce_kernelIDF16_DF16_Li64ELi64ELi256ELi16EEvPT0_PKfS3_PKT_PKiS8_iS3_
                                        ; -- End function
	.section	.AMDGPU.csdata,"",@progbits
; Kernel info:
; codeLenInByte = 11944
; NumSgprs: 65
; NumVgprs: 92
; NumAgprs: 0
; TotalNumVgprs: 92
; ScratchSize: 0
; MemoryBound: 0
; FloatMode: 240
; IeeeMode: 1
; LDSByteSize: 4100 bytes/workgroup (compile time only)
; SGPRBlocks: 8
; VGPRBlocks: 11
; NumSGPRsForWavesPerEU: 65
; NumVGPRsForWavesPerEU: 92
; AccumOffset: 92
; Occupancy: 4
; WaveLimiterHint : 1
; COMPUTE_PGM_RSRC2:SCRATCH_EN: 0
; COMPUTE_PGM_RSRC2:USER_SGPR: 6
; COMPUTE_PGM_RSRC2:TRAP_HANDLER: 0
; COMPUTE_PGM_RSRC2:TGID_X_EN: 1
; COMPUTE_PGM_RSRC2:TGID_Y_EN: 1
; COMPUTE_PGM_RSRC2:TGID_Z_EN: 0
; COMPUTE_PGM_RSRC2:TIDIG_COMP_CNT: 0
; COMPUTE_PGM_RSRC3_GFX90A:ACCUM_OFFSET: 22
; COMPUTE_PGM_RSRC3_GFX90A:TG_SPLIT: 0
	.section	.text._Z38paged_attention_ll4mi_QKV_mfma4_kernelIDF16_DF16_LN4vllm18Fp8KVCacheDataTypeE0EDF16_Li16ELi64ELi256ELb0ELi1EEvPKT_PKT0_S7_ifPKiS9_S9_iPKfiiiPfSC_PS2_PT2_iSB_SB_,"axG",@progbits,_Z38paged_attention_ll4mi_QKV_mfma4_kernelIDF16_DF16_LN4vllm18Fp8KVCacheDataTypeE0EDF16_Li16ELi64ELi256ELb0ELi1EEvPKT_PKT0_S7_ifPKiS9_S9_iPKfiiiPfSC_PS2_PT2_iSB_SB_,comdat
	.protected	_Z38paged_attention_ll4mi_QKV_mfma4_kernelIDF16_DF16_LN4vllm18Fp8KVCacheDataTypeE0EDF16_Li16ELi64ELi256ELb0ELi1EEvPKT_PKT0_S7_ifPKiS9_S9_iPKfiiiPfSC_PS2_PT2_iSB_SB_ ; -- Begin function _Z38paged_attention_ll4mi_QKV_mfma4_kernelIDF16_DF16_LN4vllm18Fp8KVCacheDataTypeE0EDF16_Li16ELi64ELi256ELb0ELi1EEvPKT_PKT0_S7_ifPKiS9_S9_iPKfiiiPfSC_PS2_PT2_iSB_SB_
	.globl	_Z38paged_attention_ll4mi_QKV_mfma4_kernelIDF16_DF16_LN4vllm18Fp8KVCacheDataTypeE0EDF16_Li16ELi64ELi256ELb0ELi1EEvPKT_PKT0_S7_ifPKiS9_S9_iPKfiiiPfSC_PS2_PT2_iSB_SB_
	.p2align	8
	.type	_Z38paged_attention_ll4mi_QKV_mfma4_kernelIDF16_DF16_LN4vllm18Fp8KVCacheDataTypeE0EDF16_Li16ELi64ELi256ELb0ELi1EEvPKT_PKT0_S7_ifPKiS9_S9_iPKfiiiPfSC_PS2_PT2_iSB_SB_,@function
_Z38paged_attention_ll4mi_QKV_mfma4_kernelIDF16_DF16_LN4vllm18Fp8KVCacheDataTypeE0EDF16_Li16ELi64ELi256ELb0ELi1EEvPKT_PKT0_S7_ifPKiS9_S9_iPKfiiiPfSC_PS2_PT2_iSB_SB_: ; @_Z38paged_attention_ll4mi_QKV_mfma4_kernelIDF16_DF16_LN4vllm18Fp8KVCacheDataTypeE0EDF16_Li16ELi64ELi256ELb0ELi1EEvPKT_PKT0_S7_ifPKiS9_S9_iPKfiiiPfSC_PS2_PT2_iSB_SB_
; %bb.0:
	s_load_dwordx2 s[2:3], s[4:5], 0x30
	s_mov_b32 s24, s7
	s_mov_b64 s[0:1], 0
	s_waitcnt lgkmcnt(0)
	s_cmp_lg_u64 s[2:3], 0
	s_cselect_b64 s[10:11], -1, 0
	s_and_b64 vcc, exec, s[10:11]
	s_cbranch_vccz .LBB36_10
; %bb.1:
	s_add_i32 s12, s6, 1
	s_mov_b32 s13, 0
	s_lshl_b64 s[14:15], s[12:13], 2
	s_add_u32 s14, s2, s14
	s_mov_b32 s7, s13
	s_addc_u32 s15, s3, s15
	s_lshl_b64 s[12:13], s[6:7], 2
	s_add_u32 s12, s2, s12
	s_addc_u32 s13, s3, s13
	s_load_dword s9, s[14:15], 0x0
	s_load_dword s16, s[12:13], 0x0
	s_waitcnt lgkmcnt(0)
	s_sub_i32 s9, s9, s16
	s_cmp_eq_u32 s9, 1
	s_cselect_b64 s[12:13], -1, 0
	s_andn2_b64 vcc, exec, s[0:1]
	s_cbranch_vccnz .LBB36_3
.LBB36_2:
	s_mov_b32 s7, 0
	s_mov_b64 s[12:13], -1
.LBB36_3:
	s_andn2_b64 vcc, exec, s[12:13]
	s_cbranch_vccnz .LBB36_23
; %bb.4:
	s_load_dword s9, s[4:5], 0x9c
	s_load_dwordx2 s[0:1], s[4:5], 0x28
	s_add_u32 s28, s4, 0x90
	s_addc_u32 s29, s5, 0
	s_lshl_b64 s[20:21], s[6:7], 2
	s_waitcnt lgkmcnt(0)
	s_and_b32 s12, s9, 0xffff
	s_add_u32 s0, s0, s20
	s_addc_u32 s1, s1, s21
	s_load_dword s9, s[0:1], 0x0
	s_mul_i32 s16, s24, s12
	s_waitcnt lgkmcnt(0)
	s_cmp_ge_i32 s16, s9
	s_cbranch_scc1 .LBB36_23
; %bb.5:
	v_and_b32_e32 v2, 0xc0, v0
	v_add_u32_e32 v2, s16, v2
	v_lshrrev_b32_e32 v1, 6, v0
	v_cmp_gt_i32_e64 s[0:1], s9, v2
	v_cmp_le_i32_e32 vcc, s9, v2
                                        ; implicit-def: $sgpr18
                                        ; implicit-def: $sgpr17
	s_and_saveexec_b64 s[12:13], vcc
	s_xor_b64 s[12:13], exec, s[12:13]
	s_cbranch_execz .LBB36_7
; %bb.6:
	v_mul_u32_u24_e32 v2, 20, v1
	v_or_b32_e32 v2, 0xa00, v2
	v_mov_b32_e32 v3, 0xa50
	v_mov_b32_e32 v4, 0xff7fffff
	v_mad_u32_u24 v3, v1, 20, v3
	ds_write2_b32 v2, v4, v4 offset1:1
	v_mov_b32_e32 v2, 0
	ds_write2_b32 v3, v2, v2 offset1:1
	v_mov_b32_e32 v3, 0xa08
	s_mov_b32 s17, 0xff7fffff
	s_mov_b32 s18, 0
	v_mad_u32_u24 v3, v1, 20, v3
	v_mov_b32_e32 v5, 0xa58
	v_mad_u32_u24 v5, v1, 20, v5
	ds_write2_b32 v3, v4, v4 offset1:1
	ds_write2_b32 v5, v2, v2 offset1:1
                                        ; implicit-def: $vgpr2
.LBB36_7:
	s_or_saveexec_b64 s[30:31], s[12:13]
	s_load_dwordx2 s[26:27], s[4:5], 0x68
	s_load_dwordx4 s[12:15], s[4:5], 0x58
	s_load_dword s7, s[28:29], 0x4
	v_and_b32_e32 v40, 63, v0
	v_and_b32_e32 v39, 3, v0
	v_mov_b32_e32 v37, s18
	v_mov_b32_e32 v41, s17
	v_mov_b32_e32 v36, s18
	v_mov_b32_e32 v35, s18
	v_mov_b32_e32 v34, s18
                                        ; implicit-def: $vgpr3
                                        ; implicit-def: $vgpr7
                                        ; implicit-def: $vgpr11
                                        ; implicit-def: $vgpr15
                                        ; implicit-def: $vgpr19
                                        ; implicit-def: $vgpr23
                                        ; implicit-def: $vgpr27
                                        ; implicit-def: $vgpr31
	s_xor_b64 exec, exec, s[30:31]
	s_cbranch_execz .LBB36_17
; %bb.8:
	s_add_i32 s22, s9, 15
	s_load_dwordx2 s[18:19], s[4:5], 0x20
	s_load_dword s17, s[4:5], 0x38
	s_ashr_i32 s23, s22, 31
	s_lshr_b32 s23, s23, 28
	v_add_u32_e32 v38, s16, v0
	s_add_i32 s22, s22, s23
	v_ashrrev_i32_e32 v3, 31, v38
	s_ashr_i32 s22, s22, 4
	v_lshrrev_b32_e32 v3, 28, v3
	s_add_i32 s25, s22, -1
	v_add_u32_e32 v3, v38, v3
	s_waitcnt lgkmcnt(0)
	s_mul_i32 s22, s6, s17
	s_mov_b32 s23, 0
	v_ashrrev_i32_e32 v3, 4, v3
	v_mov_b32_e32 v4, s25
	v_cmp_gt_i32_e32 vcc, s9, v38
	s_lshl_b64 s[22:23], s[22:23], 2
	v_cndmask_b32_e32 v4, v4, v3, vcc
	s_add_u32 s17, s18, s22
	v_ashrrev_i32_e32 v5, 31, v4
	s_addc_u32 s18, s19, s23
	v_lshlrev_b64 v[4:5], 2, v[4:5]
	v_mov_b32_e32 v3, s18
	v_add_co_u32_e32 v8, vcc, s17, v4
	v_addc_co_u32_e32 v9, vcc, v3, v5, vcc
	v_ashrrev_i32_e32 v3, 31, v2
	v_lshrrev_b32_e32 v3, 28, v3
	v_add_u32_e32 v2, v2, v3
	v_ashrrev_i32_e32 v4, 4, v2
	v_min_i32_e32 v2, s25, v4
	v_ashrrev_i32_e32 v3, 31, v2
	v_lshlrev_b64 v[2:3], 2, v[2:3]
	v_add_co_u32_e32 v10, vcc, s17, v2
	v_add_u32_e32 v2, 1, v4
	v_mov_b32_e32 v5, s18
	v_min_i32_e32 v2, s25, v2
	v_addc_co_u32_e32 v11, vcc, v5, v3, vcc
	v_ashrrev_i32_e32 v3, 31, v2
	v_lshlrev_b64 v[2:3], 2, v[2:3]
	v_add_co_u32_e32 v12, vcc, s17, v2
	v_add_u32_e32 v2, 2, v4
	v_min_i32_e32 v2, s25, v2
	v_addc_co_u32_e32 v13, vcc, v5, v3, vcc
	v_ashrrev_i32_e32 v3, 31, v2
	v_lshlrev_b64 v[2:3], 2, v[2:3]
	v_add_co_u32_e32 v14, vcc, s17, v2
	v_add_u32_e32 v2, 3, v4
	v_min_i32_e32 v2, s25, v2
	v_addc_co_u32_e32 v15, vcc, v5, v3, vcc
	v_ashrrev_i32_e32 v3, 31, v2
	v_lshlrev_b64 v[2:3], 2, v[2:3]
	v_mov_b32_e32 v4, s18
	v_add_co_u32_e32 v16, vcc, s17, v2
	v_addc_co_u32_e32 v17, vcc, v4, v3, vcc
	global_load_dword v2, v[8:9], off
	global_load_dword v7, v[10:11], off
	;; [unrolled: 1-line block ×5, first 2 shown]
	s_load_dwordx4 s[16:19], s[4:5], 0x8
	s_andn2_b64 vcc, exec, s[10:11]
	s_cbranch_vccnz .LBB36_11
; %bb.9:
	s_add_u32 s2, s2, s20
	s_addc_u32 s3, s3, s21
	s_load_dword s2, s[2:3], 0x0
	s_branch .LBB36_12
.LBB36_10:
	s_mov_b64 s[12:13], 0
	s_branch .LBB36_2
.LBB36_11:
	s_mov_b32 s2, s6
.LBB36_12:
	s_load_dwordx4 s[20:23], s[4:5], 0x48
	v_cmp_eq_u32_e32 vcc, 0, v39
	s_mov_b32 s3, 0
	v_mov_b32_e32 v41, 0
	v_mov_b32_e32 v3, 0
	;; [unrolled: 1-line block ×6, first 2 shown]
	s_and_saveexec_b64 s[10:11], vcc
	s_cbranch_execz .LBB36_14
; %bb.13:
	s_load_dwordx2 s[34:35], s[4:5], 0x0
	s_waitcnt lgkmcnt(0)
	s_ashr_i32 s23, s20, 31
	s_mul_hi_u32 s25, s2, s20
	s_mul_i32 s23, s2, s23
	s_add_i32 s37, s25, s23
	s_mul_i32 s36, s2, s20
	s_lshl_b64 s[36:37], s[36:37], 1
	s_add_u32 s20, s34, s36
	s_addc_u32 s23, s35, s37
	s_lshl_b32 s2, s8, 6
	s_lshl_b64 s[34:35], s[2:3], 1
	s_add_u32 s34, s20, s34
	s_addc_u32 s35, s23, s35
	v_lshlrev_b32_e32 v8, 2, v40
	global_load_dwordx4 v[34:37], v8, s[34:35]
	v_mov_b32_e32 v41, 1.0
.LBB36_14:
	s_or_b64 exec, exec, s[10:11]
	s_waitcnt vmcnt(4) lgkmcnt(0)
	v_mad_i64_i32 v[8:9], s[10:11], v2, s21, 0
	s_mul_i32 s2, s8, s22
	s_lshl_b64 s[10:11], s[2:3], 1
	s_add_u32 s2, s10, s16
	v_lshlrev_b64 v[8:9], 1, v[8:9]
	s_addc_u32 s3, s11, s17
	v_mov_b32_e32 v2, s3
	v_add_co_u32_e32 v8, vcc, s2, v8
	v_addc_co_u32_e32 v2, vcc, v2, v9, vcc
	v_and_b32_e32 v9, 15, v0
	v_lshlrev_b32_e32 v9, 4, v9
	v_add_co_u32_e32 v32, vcc, v8, v9
	v_addc_co_u32_e32 v33, vcc, 0, v2, vcc
	global_load_dwordx4 v[8:11], v[32:33], off
	global_load_dwordx4 v[12:15], v[32:33], off offset:256
	global_load_dwordx4 v[16:19], v[32:33], off offset:512
	;; [unrolled: 1-line block ×7, first 2 shown]
	s_waitcnt vmcnt(11)
	v_mul_hi_i32 v2, v7, s21
	s_waitcnt vmcnt(10)
	v_mul_hi_i32 v50, v6, s21
	v_ashrrev_i32_e32 v2, 31, v2
	s_waitcnt vmcnt(9)
	v_mul_hi_i32 v32, v5, s21
	s_waitcnt vmcnt(8)
	v_mul_hi_i32 v33, v4, s21
	v_cmp_eq_u32_e32 vcc, 1, v39
	v_ashrrev_i32_e32 v50, 31, v50
	v_lshrrev_b32_e32 v2, 29, v2
	s_load_dword s2, s[4:5], 0x1c
	v_cndmask_b32_e64 v53, 0, 1.0, vcc
	v_cmp_eq_u32_e32 vcc, 2, v39
	v_ashrrev_i32_e32 v51, 31, v32
	v_ashrrev_i32_e32 v58, 31, v33
	v_mad_i64_i32 v[32:33], s[4:5], v7, s21, v[2:3]
	v_lshrrev_b32_e32 v2, 29, v50
	s_add_u32 s3, s18, s10
	v_lshlrev_b32_e32 v52, 5, v40
	v_cndmask_b32_e64 v54, 0, 1.0, vcc
	v_cmp_eq_u32_e32 vcc, 3, v39
	v_mad_i64_i32 v[6:7], s[4:5], v6, s21, v[2:3]
	v_lshrrev_b32_e32 v2, 29, v51
	s_addc_u32 s10, s19, s11
	v_cndmask_b32_e64 v55, 0, 1.0, vcc
	v_lshlrev_b64 v[32:33], 1, v[32:33]
	v_mad_i64_i32 v[50:51], s[4:5], v5, s21, v[2:3]
	v_mov_b32_e32 v5, s10
	v_add_co_u32_e32 v52, vcc, s3, v52
	v_and_b32_e32 v32, -16, v32
	v_lshrrev_b32_e32 v2, 29, v58
	v_addc_co_u32_e32 v58, vcc, 0, v5, vcc
	v_lshlrev_b64 v[6:7], 1, v[6:7]
	v_and_b32_e32 v6, -16, v6
	v_mad_i64_i32 v[2:3], s[4:5], v4, s21, v[2:3]
	v_and_b32_e32 v56, -4, v38
	v_lshlrev_b32_e32 v57, 2, v0
	v_or_b32_e32 v38, 3, v38
	v_cmp_gt_i32_e64 s[10:11], s9, v38
	s_waitcnt vmcnt(7)
	v_mfma_f32_4x4x4f16 a[0:3], v[34:35], v[8:9], 0 cbsz:4
	v_lshlrev_b64 v[8:9], 1, v[50:51]
	v_mfma_f32_4x4x4f16 a[0:3], v[36:37], v[10:11], a[0:3] cbsz:4
	v_add_co_u32_e32 v10, vcc, v52, v32
	s_waitcnt vmcnt(6)
	v_mfma_f32_4x4x4f16 a[0:3], v[34:35], v[12:13], a[0:3] cbsz:4 abid:1
	v_addc_co_u32_e32 v11, vcc, v58, v33, vcc
	v_mfma_f32_4x4x4f16 a[0:3], v[36:37], v[14:15], a[0:3] cbsz:4 abid:1
	v_and_b32_e32 v4, -16, v8
	s_waitcnt vmcnt(5)
	v_mfma_f32_4x4x4f16 a[0:3], v[34:35], v[16:17], a[0:3] cbsz:4 abid:2
	v_lshlrev_b64 v[50:51], 1, v[2:3]
	v_mfma_f32_4x4x4f16 a[0:3], v[36:37], v[18:19], a[0:3] cbsz:4 abid:2
	v_add_co_u32_e32 v18, vcc, v52, v6
	s_waitcnt vmcnt(4)
	v_mfma_f32_4x4x4f16 a[0:3], v[34:35], v[20:21], a[0:3] cbsz:4 abid:3
	v_addc_co_u32_e32 v19, vcc, v58, v7, vcc
	v_mfma_f32_4x4x4f16 a[0:3], v[36:37], v[22:23], a[0:3] cbsz:4 abid:3
	v_add_co_u32_e32 v32, vcc, v52, v4
	s_waitcnt vmcnt(3)
	v_mfma_f32_4x4x4f16 a[0:3], v[34:35], v[24:25], a[0:3] cbsz:4 abid:4
	v_addc_co_u32_e32 v33, vcc, v58, v9, vcc
	v_mfma_f32_4x4x4f16 a[0:3], v[36:37], v[26:27], a[0:3] cbsz:4 abid:4
	v_and_b32_e32 v50, -16, v50
	s_waitcnt vmcnt(2)
	v_mfma_f32_4x4x4f16 a[0:3], v[34:35], v[28:29], a[0:3] cbsz:4 abid:5
	global_load_dwordx4 v[2:5], v[10:11], off
	global_load_dwordx4 v[6:9], v[10:11], off offset:16
	v_mfma_f32_4x4x4f16 a[0:3], v[36:37], v[30:31], a[0:3] cbsz:4 abid:5
	global_load_dwordx4 v[10:13], v[18:19], off
	global_load_dwordx4 v[14:17], v[18:19], off offset:16
	s_waitcnt vmcnt(5)
	v_mfma_f32_4x4x4f16 a[0:3], v[34:35], v[42:43], a[0:3] cbsz:4 abid:6
	v_add_co_u32_e32 v42, vcc, v52, v50
	v_addc_co_u32_e32 v43, vcc, v58, v51, vcc
	global_load_dwordx4 v[18:21], v[32:33], off
	global_load_dwordx4 v[22:25], v[32:33], off offset:16
	global_load_dwordx4 v[26:29], v[42:43], off
	s_nop 0
	global_load_dwordx4 v[30:33], v[42:43], off offset:16
	v_mfma_f32_4x4x4f16 a[0:3], v[36:37], v[44:45], a[0:3] cbsz:4 abid:6
	v_mov_b32_e32 v42, 0xff7fffff
	s_waitcnt vmcnt(8)
	v_mfma_f32_4x4x4f16 a[0:3], v[34:35], v[46:47], a[0:3] cbsz:4 abid:7
	v_cmp_gt_i32_e32 vcc, s9, v56
	v_mfma_f32_4x4x4f16 a[0:3], v[36:37], v[48:49], a[0:3] cbsz:4 abid:7
	s_nop 4
	v_accvgpr_read_b32 v35, a1
	v_accvgpr_read_b32 v34, a0
	s_waitcnt lgkmcnt(0)
	v_pk_mul_f32 v[34:35], s[2:3], v[34:35] op_sel_hi:[0,1]
	v_accvgpr_read_b32 v37, a3
	v_accvgpr_read_b32 v36, a2
	v_pk_mul_f32 v[36:37], s[2:3], v[36:37] op_sel_hi:[0,1]
	v_mfma_f32_4x4x1f32 a[0:3], v34, v41, 0
	v_and_or_b32 v34, v57, 48, v39
	v_mfma_f32_4x4x1f32 a[0:3], v35, v53, a[0:3]
	v_or_b32_e32 v35, 1, v56
	v_mfma_f32_4x4x1f32 a[0:3], v36, v54, a[0:3]
	v_cmp_gt_i32_e64 s[2:3], s9, v35
	v_mfma_f32_4x4x1f32 a[0:3], v37, v55, a[0:3]
	v_or_b32_e32 v36, 2, v56
	v_cmp_gt_i32_e64 s[4:5], s9, v36
	v_lshlrev_b32_e32 v38, 2, v34
	s_nop 1
	v_accvgpr_read_b32 v37, a0
	v_max_f32_e32 v41, v37, v37
	v_accvgpr_read_b32 v43, a1
	v_max_f32_e32 v41, 0xff7fffff, v41
	v_max_f32_e32 v46, v43, v43
	v_cndmask_b32_e32 v41, v42, v41, vcc
	v_accvgpr_read_b32 v44, a2
	v_max_f32_e32 v42, v41, v46
	v_max_f32_e32 v47, v44, v44
	v_cndmask_b32_e64 v35, v41, v42, s[2:3]
	v_accvgpr_read_b32 v45, a3
	v_max_f32_e32 v41, v35, v47
	v_cndmask_b32_e64 v35, v35, v41, s[4:5]
	v_max_f32_e32 v36, v45, v45
	v_max_f32_e32 v36, v35, v36
	v_cndmask_b32_e64 v35, v35, v36, s[10:11]
	;;#ASMSTART
	v_nop
 v_nop
 v_max_f32_dpp v34, v35, v35 row_ror:4
	;;#ASMEND
	;;#ASMSTART
	v_nop
 v_nop
 v_max_f32_dpp v34, v34, v34 row_ror:8
	;;#ASMEND
	ds_bpermute_b32 v34, v38, v34
	s_waitcnt lgkmcnt(0)
	;;#ASMSTART
	v_nop
 v_nop
 v_max_f32_dpp v34, v34, v34 row_ror:4
	;;#ASMEND
	;;#ASMSTART
	v_nop
 v_nop
 v_max_f32_dpp v41, v34, v34 row_ror:8
	;;#ASMEND
	v_sub_f32_e32 v34, v37, v41
	v_sub_f32_e32 v35, v43, v41
	v_mul_f32_e32 v34, 0x3fb8aa3b, v34
	v_exp_f32_e32 v34, v34
	v_mul_f32_e32 v35, 0x3fb8aa3b, v35
	v_sub_f32_e32 v37, v44, v41
	v_exp_f32_e32 v35, v35
	v_mul_f32_e32 v37, 0x3fb8aa3b, v37
	v_sub_f32_e32 v42, v45, v41
	v_exp_f32_e32 v37, v37
	v_mul_f32_e32 v42, 0x3fb8aa3b, v42
	v_exp_f32_e32 v42, v42
	v_cndmask_b32_e32 v34, 0, v34, vcc
	v_cndmask_b32_e64 v35, 0, v35, s[2:3]
	v_add_f32_e32 v36, 0, v34
	v_add_f32_e32 v43, v36, v35
	v_cndmask_b32_e64 v36, 0, v37, s[4:5]
	v_add_f32_e32 v43, v43, v36
	v_cndmask_b32_e64 v37, 0, v42, s[10:11]
	v_add_f32_e32 v42, v43, v37
	;;#ASMSTART
	v_nop
 v_nop
 v_add_f32_dpp v42, v42, v42 row_ror:4
	;;#ASMEND
	;;#ASMSTART
	v_nop
 v_nop
 v_add_f32_dpp v42, v42, v42 row_ror:8
	;;#ASMEND
	ds_bpermute_b32 v38, v38, v42
	s_waitcnt lgkmcnt(0)
	;;#ASMSTART
	v_nop
 v_nop
 v_add_f32_dpp v38, v38, v38 row_ror:4
	;;#ASMEND
	v_cmp_gt_u32_e32 vcc, 4, v40
	;;#ASMSTART
	v_nop
 v_nop
 v_add_f32_dpp v38, v38, v38 row_ror:8
	;;#ASMEND
	s_and_saveexec_b64 s[2:3], vcc
	s_cbranch_execz .LBB36_16
; %bb.15:
	v_mul_u32_u24_e32 v42, 20, v1
	v_lshl_add_u32 v42, v39, 2, v42
	v_add_u32_e32 v42, 0x800, v42
	ds_write2_b32 v42, v41, v38 offset0:128 offset1:148
.LBB36_16:
	s_or_b64 exec, exec, s[2:3]
.LBB36_17:
	s_or_b64 exec, exec, s[30:31]
	s_waitcnt lgkmcnt(0)
	s_barrier
	s_load_dword s2, s[28:29], 0x8
	v_lshlrev_b32_e32 v38, 2, v39
	v_add_u32_e32 v43, 0x800, v38
	ds_read2_b32 v[44:45], v43 offset0:128 offset1:133
	ds_read2_b32 v[46:47], v43 offset0:138 offset1:143
	s_mul_i32 s3, s7, s6
	s_waitcnt lgkmcnt(0)
	s_mul_i32 s2, s3, s2
	s_mov_b32 s3, 0xff7fffff
	v_max3_f32 v38, v44, s3, v45
	v_max3_f32 v42, v38, v46, v47
	v_sub_f32_e32 v38, v44, v42
	v_sub_f32_e32 v44, v45, v42
	v_mul_f32_e32 v44, 0x3fb8aa3b, v44
	ds_read2_b32 v[48:49], v43 offset0:148 offset1:153
	v_mul_f32_e32 v38, 0x3fb8aa3b, v38
	v_exp_f32_e32 v51, v44
	ds_read2_b32 v[44:45], v43 offset0:158 offset1:163
	v_sub_f32_e32 v43, v46, v42
	v_exp_f32_e32 v50, v38
	v_mul_f32_e32 v43, 0x3fb8aa3b, v43
	v_exp_f32_e32 v46, v43
	v_sub_f32_e32 v43, v47, v42
	v_mul_f32_e32 v43, 0x3fb8aa3b, v43
	v_exp_f32_e32 v47, v43
	s_waitcnt lgkmcnt(1)
	v_fma_f32 v43, v50, v48, 0
	v_fmac_f32_e32 v43, v51, v49
	s_waitcnt lgkmcnt(0)
	v_fmac_f32_e32 v43, v46, v44
	v_mov_b32_e32 v38, 0
	v_fmac_f32_e32 v43, v47, v45
	s_mov_b32 s3, 0
	v_cmp_eq_u32_e32 vcc, 0, v39
	s_and_saveexec_b64 s[4:5], vcc
	s_cbranch_execz .LBB36_19
; %bb.18:
	s_lshl_b64 s[10:11], s[2:3], 2
	s_add_u32 s6, s12, s10
	s_mov_b32 s25, s3
	s_addc_u32 s9, s13, s11
	s_lshl_b64 s[12:13], s[24:25], 2
	s_add_u32 s6, s6, s12
	s_addc_u32 s9, s9, s13
	s_add_u32 s10, s14, s10
	s_addc_u32 s11, s15, s11
	;; [unrolled: 2-line block ×3, first 2 shown]
	s_mul_i32 s10, s7, s8
	s_mov_b32 s11, s3
	s_lshl_b64 s[10:11], s[10:11], 2
	s_add_u32 s12, s6, s10
	s_addc_u32 s13, s9, s11
	s_add_u32 s10, s14, s10
	s_addc_u32 s11, s15, s11
	global_store_dword v38, v42, s[10:11]
	global_store_dword v38, v43, s[12:13]
.LBB36_19:
	s_or_b64 exec, exec, s[4:5]
	v_mov_b32_e32 v39, 0
	s_and_saveexec_b64 s[4:5], s[0:1]
	s_cbranch_execz .LBB36_21
; %bb.20:
	v_add_f32_e32 v38, 0x358637bd, v43
	v_div_scale_f32 v39, s[0:1], v38, v38, 1.0
	v_rcp_f32_e32 v43, v39
	v_div_scale_f32 v44, vcc, 1.0, v38, 1.0
	v_sub_f32_e32 v41, v41, v42
	v_fma_f32 v45, -v39, v43, 1.0
	v_fmac_f32_e32 v43, v45, v43
	v_mul_f32_e32 v45, v44, v43
	v_fma_f32 v46, -v39, v45, v44
	v_mul_f32_e32 v41, 0x3fb8aa3b, v41
	v_fmac_f32_e32 v45, v46, v43
	v_exp_f32_e32 v41, v41
	v_fma_f32 v39, -v39, v45, v44
	v_div_fmas_f32 v39, v39, v43, v45
	v_div_fixup_f32 v38, v39, v38, 1.0
	v_mul_f32_e32 v38, v41, v38
	v_pk_mul_f32 v[36:37], v[36:37], v[38:39] op_sel_hi:[1,0]
	v_pk_mul_f32 v[34:35], v[34:35], v[38:39] op_sel_hi:[1,0]
	v_cvt_f16_f32_e32 v34, v34
	v_cvt_f16_f32_e32 v35, v35
	;; [unrolled: 1-line block ×4, first 2 shown]
	s_mov_b32 s0, 0x5040100
	v_pack_b32_f16 v34, v34, v35
	v_pack_b32_f16 v35, v36, v37
	s_waitcnt vmcnt(7)
	s_nop 0
	v_mfma_f32_4x4x4f16 a[0:3], v[34:35], v[2:3], 0 cbsz:4
	v_mfma_f32_4x4x4f16 a[0:3], v[34:35], v[4:5], a[0:3] cbsz:4 abid:1
	s_waitcnt vmcnt(6)
	v_mfma_f32_4x4x4f16 a[0:3], v[34:35], v[6:7], a[0:3] cbsz:4 abid:2
	v_mfma_f32_4x4x4f16 a[0:3], v[34:35], v[8:9], a[0:3] cbsz:4 abid:3
	s_waitcnt vmcnt(5)
	v_mfma_f32_4x4x4f16 a[0:3], v[34:35], v[10:11], a[0:3] cbsz:4 abid:4
	v_mfma_f32_4x4x4f16 a[0:3], v[34:35], v[12:13], a[0:3] cbsz:4 abid:5
	s_waitcnt vmcnt(4)
	v_mfma_f32_4x4x4f16 a[0:3], v[34:35], v[14:15], a[0:3] cbsz:4 abid:6
	v_mfma_f32_4x4x4f16 a[0:3], v[34:35], v[16:17], a[0:3] cbsz:4 abid:7
	s_waitcnt vmcnt(3)
	v_mfma_f32_4x4x4f16 a[0:3], v[34:35], v[18:19], a[0:3] cbsz:4 abid:8
	v_mfma_f32_4x4x4f16 a[0:3], v[34:35], v[20:21], a[0:3] cbsz:4 abid:9
	s_waitcnt vmcnt(2)
	v_mfma_f32_4x4x4f16 a[0:3], v[34:35], v[22:23], a[0:3] cbsz:4 abid:10
	v_mfma_f32_4x4x4f16 a[0:3], v[34:35], v[24:25], a[0:3] cbsz:4 abid:11
	s_waitcnt vmcnt(1)
	v_mfma_f32_4x4x4f16 a[0:3], v[34:35], v[26:27], a[0:3] cbsz:4 abid:12
	v_mfma_f32_4x4x4f16 a[0:3], v[34:35], v[28:29], a[0:3] cbsz:4 abid:13
	s_waitcnt vmcnt(0)
	v_mfma_f32_4x4x4f16 a[0:3], v[34:35], v[30:31], a[0:3] cbsz:4 abid:14
	v_mfma_f32_4x4x4f16 a[0:3], v[34:35], v[32:33], a[0:3] cbsz:4 abid:15
	s_nop 4
	v_accvgpr_read_b32 v2, a0
	v_accvgpr_read_b32 v3, a1
	;; [unrolled: 1-line block ×4, first 2 shown]
	v_cvt_f16_f32_e32 v2, v2
	v_cvt_f16_f32_e32 v3, v3
	;; [unrolled: 1-line block ×4, first 2 shown]
	v_perm_b32 v38, v3, v2, s0
	v_perm_b32 v39, v5, v4, s0
.LBB36_21:
	s_or_b64 exec, exec, s[4:5]
	v_lshlrev_b32_e32 v1, 3, v1
	v_mad_u32_u24 v1, v40, 40, v1
	v_cmp_gt_u32_e32 vcc, 64, v0
	ds_write_b64 v1, v[38:39]
	s_waitcnt lgkmcnt(0)
	s_barrier
	s_and_saveexec_b64 s[0:1], vcc
	s_cbranch_execz .LBB36_23
; %bb.22:
	s_mul_i32 s8, s8, s7
	s_lshl_b32 s0, s2, 6
	s_mov_b32 s1, 0
	v_lshl_or_b32 v0, s8, 6, v0
	v_mov_b32_e32 v1, 0
	s_waitcnt vmcnt(7)
	v_mul_u32_u24_e32 v4, 40, v40
	s_lshl_b64 s[2:3], s[0:1], 1
	s_waitcnt vmcnt(6)
	v_lshlrev_b64 v[8:9], 1, v[0:1]
	ds_read2_b64 v[0:3], v4 offset1:1
	ds_read2_b64 v[4:7], v4 offset0:2 offset1:3
	s_add_u32 s2, s26, s2
	s_addc_u32 s3, s27, s3
	s_lshl_b32 s0, s24, 6
	s_lshl_b64 s[0:1], s[0:1], 1
	s_add_u32 s0, s2, s0
	s_waitcnt lgkmcnt(1)
	v_pk_add_f16 v0, v0, 0
	s_addc_u32 s1, s3, s1
	v_pk_add_f16 v0, v0, v2
	s_waitcnt vmcnt(5)
	v_mov_b32_e32 v10, s1
	v_add_co_u32_e32 v8, vcc, s0, v8
	s_waitcnt lgkmcnt(0)
	v_pk_add_f16 v0, v0, v4
	v_addc_co_u32_e32 v9, vcc, v10, v9, vcc
	v_pk_add_f16 v0, v0, v6
	global_store_short v[8:9], v0, off
.LBB36_23:
	s_endpgm
	.section	.rodata,"a",@progbits
	.p2align	6, 0x0
	.amdhsa_kernel _Z38paged_attention_ll4mi_QKV_mfma4_kernelIDF16_DF16_LN4vllm18Fp8KVCacheDataTypeE0EDF16_Li16ELi64ELi256ELb0ELi1EEvPKT_PKT0_S7_ifPKiS9_S9_iPKfiiiPfSC_PS2_PT2_iSB_SB_
		.amdhsa_group_segment_fixed_size 2720
		.amdhsa_private_segment_fixed_size 0
		.amdhsa_kernarg_size 400
		.amdhsa_user_sgpr_count 6
		.amdhsa_user_sgpr_private_segment_buffer 1
		.amdhsa_user_sgpr_dispatch_ptr 0
		.amdhsa_user_sgpr_queue_ptr 0
		.amdhsa_user_sgpr_kernarg_segment_ptr 1
		.amdhsa_user_sgpr_dispatch_id 0
		.amdhsa_user_sgpr_flat_scratch_init 0
		.amdhsa_user_sgpr_kernarg_preload_length 0
		.amdhsa_user_sgpr_kernarg_preload_offset 0
		.amdhsa_user_sgpr_private_segment_size 0
		.amdhsa_uses_dynamic_stack 0
		.amdhsa_system_sgpr_private_segment_wavefront_offset 0
		.amdhsa_system_sgpr_workgroup_id_x 1
		.amdhsa_system_sgpr_workgroup_id_y 1
		.amdhsa_system_sgpr_workgroup_id_z 1
		.amdhsa_system_sgpr_workgroup_info 0
		.amdhsa_system_vgpr_workitem_id 0
		.amdhsa_next_free_vgpr 64
		.amdhsa_next_free_sgpr 38
		.amdhsa_accum_offset 60
		.amdhsa_reserve_vcc 1
		.amdhsa_reserve_flat_scratch 0
		.amdhsa_float_round_mode_32 0
		.amdhsa_float_round_mode_16_64 0
		.amdhsa_float_denorm_mode_32 3
		.amdhsa_float_denorm_mode_16_64 3
		.amdhsa_dx10_clamp 1
		.amdhsa_ieee_mode 1
		.amdhsa_fp16_overflow 0
		.amdhsa_tg_split 0
		.amdhsa_exception_fp_ieee_invalid_op 0
		.amdhsa_exception_fp_denorm_src 0
		.amdhsa_exception_fp_ieee_div_zero 0
		.amdhsa_exception_fp_ieee_overflow 0
		.amdhsa_exception_fp_ieee_underflow 0
		.amdhsa_exception_fp_ieee_inexact 0
		.amdhsa_exception_int_div_zero 0
	.end_amdhsa_kernel
	.section	.text._Z38paged_attention_ll4mi_QKV_mfma4_kernelIDF16_DF16_LN4vllm18Fp8KVCacheDataTypeE0EDF16_Li16ELi64ELi256ELb0ELi1EEvPKT_PKT0_S7_ifPKiS9_S9_iPKfiiiPfSC_PS2_PT2_iSB_SB_,"axG",@progbits,_Z38paged_attention_ll4mi_QKV_mfma4_kernelIDF16_DF16_LN4vllm18Fp8KVCacheDataTypeE0EDF16_Li16ELi64ELi256ELb0ELi1EEvPKT_PKT0_S7_ifPKiS9_S9_iPKfiiiPfSC_PS2_PT2_iSB_SB_,comdat
.Lfunc_end36:
	.size	_Z38paged_attention_ll4mi_QKV_mfma4_kernelIDF16_DF16_LN4vllm18Fp8KVCacheDataTypeE0EDF16_Li16ELi64ELi256ELb0ELi1EEvPKT_PKT0_S7_ifPKiS9_S9_iPKfiiiPfSC_PS2_PT2_iSB_SB_, .Lfunc_end36-_Z38paged_attention_ll4mi_QKV_mfma4_kernelIDF16_DF16_LN4vllm18Fp8KVCacheDataTypeE0EDF16_Li16ELi64ELi256ELb0ELi1EEvPKT_PKT0_S7_ifPKiS9_S9_iPKfiiiPfSC_PS2_PT2_iSB_SB_
                                        ; -- End function
	.section	.AMDGPU.csdata,"",@progbits
; Kernel info:
; codeLenInByte = 3036
; NumSgprs: 42
; NumVgprs: 59
; NumAgprs: 4
; TotalNumVgprs: 64
; ScratchSize: 0
; MemoryBound: 0
; FloatMode: 240
; IeeeMode: 1
; LDSByteSize: 2720 bytes/workgroup (compile time only)
; SGPRBlocks: 5
; VGPRBlocks: 7
; NumSGPRsForWavesPerEU: 42
; NumVGPRsForWavesPerEU: 64
; AccumOffset: 60
; Occupancy: 8
; WaveLimiterHint : 1
; COMPUTE_PGM_RSRC2:SCRATCH_EN: 0
; COMPUTE_PGM_RSRC2:USER_SGPR: 6
; COMPUTE_PGM_RSRC2:TRAP_HANDLER: 0
; COMPUTE_PGM_RSRC2:TGID_X_EN: 1
; COMPUTE_PGM_RSRC2:TGID_Y_EN: 1
; COMPUTE_PGM_RSRC2:TGID_Z_EN: 1
; COMPUTE_PGM_RSRC2:TIDIG_COMP_CNT: 0
; COMPUTE_PGM_RSRC3_GFX90A:ACCUM_OFFSET: 14
; COMPUTE_PGM_RSRC3_GFX90A:TG_SPLIT: 0
	.section	.text._Z38paged_attention_ll4mi_QKV_mfma4_kernelIDF16_DF16_LN4vllm18Fp8KVCacheDataTypeE0EDF16_Li16ELi64ELi256ELb0ELi2EEvPKT_PKT0_S7_ifPKiS9_S9_iPKfiiiPfSC_PS2_PT2_iSB_SB_,"axG",@progbits,_Z38paged_attention_ll4mi_QKV_mfma4_kernelIDF16_DF16_LN4vllm18Fp8KVCacheDataTypeE0EDF16_Li16ELi64ELi256ELb0ELi2EEvPKT_PKT0_S7_ifPKiS9_S9_iPKfiiiPfSC_PS2_PT2_iSB_SB_,comdat
	.protected	_Z38paged_attention_ll4mi_QKV_mfma4_kernelIDF16_DF16_LN4vllm18Fp8KVCacheDataTypeE0EDF16_Li16ELi64ELi256ELb0ELi2EEvPKT_PKT0_S7_ifPKiS9_S9_iPKfiiiPfSC_PS2_PT2_iSB_SB_ ; -- Begin function _Z38paged_attention_ll4mi_QKV_mfma4_kernelIDF16_DF16_LN4vllm18Fp8KVCacheDataTypeE0EDF16_Li16ELi64ELi256ELb0ELi2EEvPKT_PKT0_S7_ifPKiS9_S9_iPKfiiiPfSC_PS2_PT2_iSB_SB_
	.globl	_Z38paged_attention_ll4mi_QKV_mfma4_kernelIDF16_DF16_LN4vllm18Fp8KVCacheDataTypeE0EDF16_Li16ELi64ELi256ELb0ELi2EEvPKT_PKT0_S7_ifPKiS9_S9_iPKfiiiPfSC_PS2_PT2_iSB_SB_
	.p2align	8
	.type	_Z38paged_attention_ll4mi_QKV_mfma4_kernelIDF16_DF16_LN4vllm18Fp8KVCacheDataTypeE0EDF16_Li16ELi64ELi256ELb0ELi2EEvPKT_PKT0_S7_ifPKiS9_S9_iPKfiiiPfSC_PS2_PT2_iSB_SB_,@function
_Z38paged_attention_ll4mi_QKV_mfma4_kernelIDF16_DF16_LN4vllm18Fp8KVCacheDataTypeE0EDF16_Li16ELi64ELi256ELb0ELi2EEvPKT_PKT0_S7_ifPKiS9_S9_iPKfiiiPfSC_PS2_PT2_iSB_SB_: ; @_Z38paged_attention_ll4mi_QKV_mfma4_kernelIDF16_DF16_LN4vllm18Fp8KVCacheDataTypeE0EDF16_Li16ELi64ELi256ELb0ELi2EEvPKT_PKT0_S7_ifPKiS9_S9_iPKfiiiPfSC_PS2_PT2_iSB_SB_
; %bb.0:
	s_load_dwordx2 s[2:3], s[4:5], 0x30
	s_mov_b32 s24, s7
	s_mov_b64 s[0:1], 0
	s_waitcnt lgkmcnt(0)
	s_cmp_lg_u64 s[2:3], 0
	s_cselect_b64 s[10:11], -1, 0
	s_and_b64 vcc, exec, s[10:11]
	s_cbranch_vccz .LBB37_10
; %bb.1:
	s_add_i32 s12, s6, 1
	s_mov_b32 s13, 0
	s_lshl_b64 s[14:15], s[12:13], 2
	s_add_u32 s14, s2, s14
	s_mov_b32 s7, s13
	s_addc_u32 s15, s3, s15
	s_lshl_b64 s[12:13], s[6:7], 2
	s_add_u32 s12, s2, s12
	s_addc_u32 s13, s3, s13
	s_load_dword s9, s[14:15], 0x0
	s_load_dword s16, s[12:13], 0x0
	s_waitcnt lgkmcnt(0)
	s_sub_i32 s9, s9, s16
	s_cmp_eq_u32 s9, 1
	s_cselect_b64 s[12:13], -1, 0
	s_andn2_b64 vcc, exec, s[0:1]
	s_cbranch_vccnz .LBB37_3
.LBB37_2:
	s_mov_b32 s7, 0
	s_mov_b64 s[12:13], -1
.LBB37_3:
	s_andn2_b64 vcc, exec, s[12:13]
	s_cbranch_vccnz .LBB37_23
; %bb.4:
	s_load_dword s9, s[4:5], 0x9c
	s_load_dwordx2 s[0:1], s[4:5], 0x28
	s_add_u32 s28, s4, 0x90
	s_addc_u32 s29, s5, 0
	s_lshl_b64 s[20:21], s[6:7], 2
	s_waitcnt lgkmcnt(0)
	s_and_b32 s12, s9, 0xffff
	s_add_u32 s0, s0, s20
	s_addc_u32 s1, s1, s21
	s_load_dword s9, s[0:1], 0x0
	s_mul_i32 s16, s24, s12
	s_waitcnt lgkmcnt(0)
	s_cmp_ge_i32 s16, s9
	s_cbranch_scc1 .LBB37_23
; %bb.5:
	v_and_b32_e32 v2, 0xc0, v0
	v_add_u32_e32 v2, s16, v2
	v_lshrrev_b32_e32 v1, 6, v0
	v_cmp_gt_i32_e64 s[0:1], s9, v2
	v_cmp_le_i32_e32 vcc, s9, v2
                                        ; implicit-def: $sgpr18
                                        ; implicit-def: $sgpr17
	s_and_saveexec_b64 s[12:13], vcc
	s_xor_b64 s[12:13], exec, s[12:13]
	s_cbranch_execz .LBB37_7
; %bb.6:
	v_mul_u32_u24_e32 v2, 20, v1
	v_or_b32_e32 v2, 0xa00, v2
	v_mov_b32_e32 v3, 0xa50
	v_mov_b32_e32 v4, 0xff7fffff
	v_mad_u32_u24 v3, v1, 20, v3
	ds_write2_b32 v2, v4, v4 offset1:1
	v_mov_b32_e32 v2, 0
	ds_write2_b32 v3, v2, v2 offset1:1
	v_mov_b32_e32 v3, 0xa08
	s_mov_b32 s17, 0xff7fffff
	s_mov_b32 s18, 0
	v_mad_u32_u24 v3, v1, 20, v3
	v_mov_b32_e32 v5, 0xa58
	v_mad_u32_u24 v5, v1, 20, v5
	ds_write2_b32 v3, v4, v4 offset1:1
	ds_write2_b32 v5, v2, v2 offset1:1
                                        ; implicit-def: $vgpr2
.LBB37_7:
	s_or_saveexec_b64 s[30:31], s[12:13]
	s_load_dwordx2 s[26:27], s[4:5], 0x68
	s_load_dwordx4 s[12:15], s[4:5], 0x58
	s_load_dword s7, s[28:29], 0x4
	v_and_b32_e32 v40, 63, v0
	v_and_b32_e32 v38, 3, v0
	v_mov_b32_e32 v37, s18
	v_mov_b32_e32 v41, s17
	;; [unrolled: 1-line block ×5, first 2 shown]
                                        ; implicit-def: $vgpr3
                                        ; implicit-def: $vgpr7
                                        ; implicit-def: $vgpr11
                                        ; implicit-def: $vgpr15
                                        ; implicit-def: $vgpr19
                                        ; implicit-def: $vgpr23
                                        ; implicit-def: $vgpr27
                                        ; implicit-def: $vgpr31
	s_xor_b64 exec, exec, s[30:31]
	s_cbranch_execz .LBB37_17
; %bb.8:
	s_add_i32 s22, s9, 15
	s_load_dwordx2 s[18:19], s[4:5], 0x20
	s_load_dword s17, s[4:5], 0x38
	s_ashr_i32 s23, s22, 31
	s_lshr_b32 s23, s23, 28
	v_add_u32_e32 v39, s16, v0
	s_add_i32 s22, s22, s23
	v_ashrrev_i32_e32 v3, 31, v39
	s_ashr_i32 s22, s22, 4
	v_lshrrev_b32_e32 v3, 28, v3
	s_add_i32 s25, s22, -1
	v_add_u32_e32 v3, v39, v3
	s_waitcnt lgkmcnt(0)
	s_mul_i32 s22, s6, s17
	s_mov_b32 s23, 0
	v_ashrrev_i32_e32 v3, 4, v3
	v_mov_b32_e32 v4, s25
	v_cmp_gt_i32_e32 vcc, s9, v39
	s_lshl_b64 s[22:23], s[22:23], 2
	v_cndmask_b32_e32 v4, v4, v3, vcc
	s_add_u32 s17, s18, s22
	v_ashrrev_i32_e32 v5, 31, v4
	s_addc_u32 s18, s19, s23
	v_lshlrev_b64 v[4:5], 2, v[4:5]
	v_mov_b32_e32 v3, s18
	v_add_co_u32_e32 v8, vcc, s17, v4
	v_addc_co_u32_e32 v9, vcc, v3, v5, vcc
	v_ashrrev_i32_e32 v3, 31, v2
	v_lshrrev_b32_e32 v3, 28, v3
	v_add_u32_e32 v2, v2, v3
	v_ashrrev_i32_e32 v4, 4, v2
	v_min_i32_e32 v2, s25, v4
	v_ashrrev_i32_e32 v3, 31, v2
	v_lshlrev_b64 v[2:3], 2, v[2:3]
	v_add_co_u32_e32 v10, vcc, s17, v2
	v_add_u32_e32 v2, 1, v4
	v_mov_b32_e32 v5, s18
	v_min_i32_e32 v2, s25, v2
	v_addc_co_u32_e32 v11, vcc, v5, v3, vcc
	v_ashrrev_i32_e32 v3, 31, v2
	v_lshlrev_b64 v[2:3], 2, v[2:3]
	v_add_co_u32_e32 v12, vcc, s17, v2
	v_add_u32_e32 v2, 2, v4
	v_min_i32_e32 v2, s25, v2
	v_addc_co_u32_e32 v13, vcc, v5, v3, vcc
	v_ashrrev_i32_e32 v3, 31, v2
	v_lshlrev_b64 v[2:3], 2, v[2:3]
	v_add_co_u32_e32 v14, vcc, s17, v2
	v_add_u32_e32 v2, 3, v4
	v_min_i32_e32 v2, s25, v2
	v_addc_co_u32_e32 v15, vcc, v5, v3, vcc
	v_ashrrev_i32_e32 v3, 31, v2
	v_lshlrev_b64 v[2:3], 2, v[2:3]
	v_mov_b32_e32 v4, s18
	v_add_co_u32_e32 v16, vcc, s17, v2
	v_addc_co_u32_e32 v17, vcc, v4, v3, vcc
	global_load_dword v2, v[8:9], off
	global_load_dword v7, v[10:11], off
	;; [unrolled: 1-line block ×5, first 2 shown]
	s_load_dwordx4 s[16:19], s[4:5], 0x8
	s_andn2_b64 vcc, exec, s[10:11]
	s_cbranch_vccnz .LBB37_11
; %bb.9:
	s_add_u32 s2, s2, s20
	s_addc_u32 s3, s3, s21
	s_load_dword s2, s[2:3], 0x0
	s_branch .LBB37_12
.LBB37_10:
	s_mov_b64 s[12:13], 0
	s_branch .LBB37_2
.LBB37_11:
	s_mov_b32 s2, s6
.LBB37_12:
	s_load_dwordx4 s[20:23], s[4:5], 0x48
	v_cmp_gt_u32_e32 vcc, 2, v38
	s_mov_b32 s3, 0
	v_mov_b32_e32 v3, 0
	v_mov_b32_e32 v34, 0
	;; [unrolled: 1-line block ×5, first 2 shown]
	s_and_saveexec_b64 s[10:11], vcc
	s_cbranch_execz .LBB37_14
; %bb.13:
	s_load_dwordx2 s[34:35], s[4:5], 0x0
	s_waitcnt lgkmcnt(0)
	s_ashr_i32 s23, s20, 31
	s_mul_hi_u32 s25, s2, s20
	s_mul_i32 s23, s2, s23
	s_add_i32 s37, s25, s23
	s_mul_i32 s36, s2, s20
	s_lshl_b64 s[36:37], s[36:37], 1
	s_add_u32 s20, s34, s36
	s_addc_u32 s23, s35, s37
	s_lshl_b32 s2, s8, 7
	s_lshl_b64 s[34:35], s[2:3], 1
	s_add_u32 s34, s20, s34
	v_lshlrev_b32_e32 v8, 3, v38
	v_lshrrev_b32_e32 v9, 2, v40
	s_addc_u32 s35, s23, s35
	v_add_lshl_u32 v8, v8, v9, 4
	global_load_dwordx4 v[34:37], v8, s[34:35]
.LBB37_14:
	s_or_b64 exec, exec, s[10:11]
	s_waitcnt lgkmcnt(0)
	s_mul_i32 s2, s8, s22
	s_waitcnt vmcnt(4)
	v_mad_i64_i32 v[8:9], s[10:11], v2, s21, 0
	s_lshl_b64 s[2:3], s[2:3], 1
	s_add_u32 s10, s2, s16
	v_lshlrev_b64 v[8:9], 1, v[8:9]
	s_addc_u32 s11, s3, s17
	v_mov_b32_e32 v2, s11
	v_add_co_u32_e32 v8, vcc, s10, v8
	v_addc_co_u32_e32 v2, vcc, v2, v9, vcc
	v_and_b32_e32 v9, 15, v0
	v_lshlrev_b32_e32 v9, 4, v9
	v_add_co_u32_e32 v32, vcc, v8, v9
	v_addc_co_u32_e32 v33, vcc, 0, v2, vcc
	global_load_dwordx4 v[8:11], v[32:33], off
	global_load_dwordx4 v[12:15], v[32:33], off offset:256
	global_load_dwordx4 v[16:19], v[32:33], off offset:512
	global_load_dwordx4 v[20:23], v[32:33], off offset:768
	global_load_dwordx4 v[24:27], v[32:33], off offset:1024
	global_load_dwordx4 v[28:31], v[32:33], off offset:1280
	global_load_dwordx4 v[42:45], v[32:33], off offset:1536
	global_load_dwordx4 v[46:49], v[32:33], off offset:1792
	s_waitcnt vmcnt(11)
	v_mul_hi_i32 v2, v7, s21
	s_waitcnt vmcnt(10)
	v_mul_hi_i32 v50, v6, s21
	v_ashrrev_i32_e32 v2, 31, v2
	s_waitcnt vmcnt(8)
	v_mul_hi_i32 v32, v4, s21
	v_cmp_eq_u32_e32 vcc, 0, v38
	v_ashrrev_i32_e32 v50, 31, v50
	v_lshrrev_b32_e32 v2, 29, v2
	v_mul_hi_i32 v51, v5, s21
	v_cndmask_b32_e64 v52, 0, 1.0, vcc
	v_cmp_eq_u32_e32 vcc, 1, v38
	v_ashrrev_i32_e32 v57, 31, v32
	v_mad_i64_i32 v[32:33], s[10:11], v7, s21, v[2:3]
	v_lshrrev_b32_e32 v2, 29, v50
	s_load_dword s4, s[4:5], 0x1c
	v_cndmask_b32_e64 v53, 0, 1.0, vcc
	v_cmp_eq_u32_e32 vcc, 2, v38
	v_ashrrev_i32_e32 v51, 31, v51
	s_add_u32 s5, s18, s2
	v_mad_i64_i32 v[6:7], s[10:11], v6, s21, v[2:3]
	v_lshlrev_b32_e32 v41, 5, v40
	v_cndmask_b32_e64 v54, 0, 1.0, vcc
	v_cmp_eq_u32_e32 vcc, 3, v38
	v_lshrrev_b32_e32 v2, 29, v51
	s_addc_u32 s10, s19, s3
	v_cndmask_b32_e64 v55, 0, 1.0, vcc
	v_lshlrev_b64 v[32:33], 1, v[32:33]
	v_mad_i64_i32 v[50:51], s[2:3], v5, s21, v[2:3]
	v_mov_b32_e32 v5, s10
	v_add_co_u32_e32 v41, vcc, s5, v41
	v_and_b32_e32 v32, -16, v32
	v_lshrrev_b32_e32 v2, 29, v57
	v_addc_co_u32_e32 v57, vcc, 0, v5, vcc
	v_lshlrev_b64 v[6:7], 1, v[6:7]
	v_and_b32_e32 v6, -16, v6
	v_mad_i64_i32 v[2:3], s[2:3], v4, s21, v[2:3]
	v_and_b32_e32 v56, -4, v39
	s_waitcnt vmcnt(7)
	v_mfma_f32_4x4x4f16 a[0:3], v[34:35], v[8:9], 0 cbsz:4
	v_lshlrev_b64 v[8:9], 1, v[50:51]
	v_mfma_f32_4x4x4f16 a[0:3], v[36:37], v[10:11], a[0:3] cbsz:4
	v_add_co_u32_e32 v10, vcc, v41, v32
	s_waitcnt vmcnt(6)
	v_mfma_f32_4x4x4f16 a[0:3], v[34:35], v[12:13], a[0:3] cbsz:4 abid:1
	v_addc_co_u32_e32 v11, vcc, v57, v33, vcc
	v_mfma_f32_4x4x4f16 a[0:3], v[36:37], v[14:15], a[0:3] cbsz:4 abid:1
	v_and_b32_e32 v4, -16, v8
	s_waitcnt vmcnt(5)
	v_mfma_f32_4x4x4f16 a[0:3], v[34:35], v[16:17], a[0:3] cbsz:4 abid:2
	v_lshlrev_b64 v[50:51], 1, v[2:3]
	v_mfma_f32_4x4x4f16 a[0:3], v[36:37], v[18:19], a[0:3] cbsz:4 abid:2
	v_add_co_u32_e32 v18, vcc, v41, v6
	s_waitcnt vmcnt(4)
	v_mfma_f32_4x4x4f16 a[0:3], v[34:35], v[20:21], a[0:3] cbsz:4 abid:3
	v_addc_co_u32_e32 v19, vcc, v57, v7, vcc
	v_mfma_f32_4x4x4f16 a[0:3], v[36:37], v[22:23], a[0:3] cbsz:4 abid:3
	v_add_co_u32_e32 v32, vcc, v41, v4
	s_waitcnt vmcnt(3)
	v_mfma_f32_4x4x4f16 a[0:3], v[34:35], v[24:25], a[0:3] cbsz:4 abid:4
	v_addc_co_u32_e32 v33, vcc, v57, v9, vcc
	v_mfma_f32_4x4x4f16 a[0:3], v[36:37], v[26:27], a[0:3] cbsz:4 abid:4
	v_and_b32_e32 v50, -16, v50
	s_waitcnt vmcnt(2)
	v_mfma_f32_4x4x4f16 a[0:3], v[34:35], v[28:29], a[0:3] cbsz:4 abid:5
	global_load_dwordx4 v[2:5], v[10:11], off
	global_load_dwordx4 v[6:9], v[10:11], off offset:16
	v_mfma_f32_4x4x4f16 a[0:3], v[36:37], v[30:31], a[0:3] cbsz:4 abid:5
	global_load_dwordx4 v[10:13], v[18:19], off
	global_load_dwordx4 v[14:17], v[18:19], off offset:16
	s_waitcnt vmcnt(5)
	v_mfma_f32_4x4x4f16 a[0:3], v[34:35], v[42:43], a[0:3] cbsz:4 abid:6
	v_add_co_u32_e32 v42, vcc, v41, v50
	v_addc_co_u32_e32 v43, vcc, v57, v51, vcc
	global_load_dwordx4 v[18:21], v[32:33], off
	global_load_dwordx4 v[22:25], v[32:33], off offset:16
	global_load_dwordx4 v[26:29], v[42:43], off
	s_nop 0
	global_load_dwordx4 v[30:33], v[42:43], off offset:16
	v_mfma_f32_4x4x4f16 a[0:3], v[36:37], v[44:45], a[0:3] cbsz:4 abid:6
	v_lshlrev_b32_e32 v41, 2, v0
	s_waitcnt vmcnt(8)
	v_mfma_f32_4x4x4f16 a[0:3], v[34:35], v[46:47], a[0:3] cbsz:4 abid:7
	v_mov_b32_e32 v42, 0xff7fffff
	v_mfma_f32_4x4x4f16 a[0:3], v[36:37], v[48:49], a[0:3] cbsz:4 abid:7
	v_cmp_gt_i32_e32 vcc, s9, v56
	s_nop 3
	v_accvgpr_read_b32 v35, a1
	v_accvgpr_read_b32 v34, a0
	s_waitcnt lgkmcnt(0)
	v_pk_mul_f32 v[34:35], s[4:5], v[34:35] op_sel_hi:[0,1]
	v_accvgpr_read_b32 v37, a3
	v_accvgpr_read_b32 v36, a2
	v_pk_mul_f32 v[36:37], s[4:5], v[36:37] op_sel_hi:[0,1]
	v_mfma_f32_4x4x1f32 a[0:3], v34, v52, 0
	v_and_or_b32 v34, v41, 48, v38
	v_mfma_f32_4x4x1f32 a[0:3], v35, v53, a[0:3]
	v_or_b32_e32 v35, 1, v56
	v_mfma_f32_4x4x1f32 a[0:3], v36, v54, a[0:3]
	v_cmp_gt_i32_e64 s[2:3], s9, v35
	v_mfma_f32_4x4x1f32 a[0:3], v37, v55, a[0:3]
	v_or_b32_e32 v36, 2, v56
	v_cmp_gt_i32_e64 s[4:5], s9, v36
	v_or_b32_e32 v36, 3, v39
	v_cmp_gt_i32_e64 s[10:11], s9, v36
	s_nop 0
	v_accvgpr_read_b32 v37, a0
	v_max_f32_e32 v41, v37, v37
	v_accvgpr_read_b32 v43, a1
	v_max_f32_e32 v41, 0xff7fffff, v41
	v_max_f32_e32 v45, v43, v43
	v_cndmask_b32_e32 v41, v42, v41, vcc
	v_accvgpr_read_b32 v44, a2
	v_max_f32_e32 v42, v41, v45
	v_max_f32_e32 v46, v44, v44
	v_cndmask_b32_e64 v35, v41, v42, s[2:3]
	v_max_f32_e32 v41, v35, v46
	v_accvgpr_read_b32 v39, a3
	v_cndmask_b32_e64 v35, v35, v41, s[4:5]
	v_max_f32_e32 v41, v39, v39
	v_max_f32_e32 v41, v35, v41
	v_cndmask_b32_e64 v35, v35, v41, s[10:11]
	v_lshlrev_b32_e32 v42, 2, v34
	;;#ASMSTART
	v_nop
 v_nop
 v_max_f32_dpp v34, v35, v35 row_ror:4
	;;#ASMEND
	;;#ASMSTART
	v_nop
 v_nop
 v_max_f32_dpp v34, v34, v34 row_ror:8
	;;#ASMEND
	ds_bpermute_b32 v34, v42, v34
	s_waitcnt lgkmcnt(0)
	;;#ASMSTART
	v_nop
 v_nop
 v_max_f32_dpp v34, v34, v34 row_ror:4
	;;#ASMEND
	;;#ASMSTART
	v_nop
 v_nop
 v_max_f32_dpp v41, v34, v34 row_ror:8
	;;#ASMEND
	v_sub_f32_e32 v34, v37, v41
	v_mul_f32_e32 v34, 0x3fb8aa3b, v34
	v_sub_f32_e32 v35, v43, v41
	v_exp_f32_e32 v34, v34
	v_mul_f32_e32 v35, 0x3fb8aa3b, v35
	v_sub_f32_e32 v37, v44, v41
	v_exp_f32_e32 v35, v35
	;; [unrolled: 3-line block ×3, first 2 shown]
	v_mul_f32_e32 v39, 0x3fb8aa3b, v39
	v_exp_f32_e32 v39, v39
	v_cndmask_b32_e32 v34, 0, v34, vcc
	v_add_f32_e32 v36, 0, v34
	v_cndmask_b32_e64 v35, 0, v35, s[2:3]
	v_add_f32_e32 v43, v36, v35
	v_cndmask_b32_e64 v36, 0, v37, s[4:5]
	;; [unrolled: 2-line block ×3, first 2 shown]
	v_add_f32_e32 v39, v43, v37
	;;#ASMSTART
	v_nop
 v_nop
 v_add_f32_dpp v39, v39, v39 row_ror:4
	;;#ASMEND
	;;#ASMSTART
	v_nop
 v_nop
 v_add_f32_dpp v39, v39, v39 row_ror:8
	;;#ASMEND
	ds_bpermute_b32 v39, v42, v39
	s_waitcnt lgkmcnt(0)
	;;#ASMSTART
	v_nop
 v_nop
 v_add_f32_dpp v39, v39, v39 row_ror:4
	;;#ASMEND
	v_cmp_gt_u32_e32 vcc, 4, v40
	;;#ASMSTART
	v_nop
 v_nop
 v_add_f32_dpp v39, v39, v39 row_ror:8
	;;#ASMEND
	s_and_saveexec_b64 s[2:3], vcc
	s_cbranch_execz .LBB37_16
; %bb.15:
	v_mul_u32_u24_e32 v42, 20, v1
	v_lshl_add_u32 v42, v38, 2, v42
	v_add_u32_e32 v42, 0x800, v42
	ds_write2_b32 v42, v41, v39 offset0:128 offset1:148
.LBB37_16:
	s_or_b64 exec, exec, s[2:3]
.LBB37_17:
	s_or_b64 exec, exec, s[30:31]
	s_waitcnt lgkmcnt(0)
	s_barrier
	s_load_dword s2, s[28:29], 0x8
	v_lshlrev_b32_e32 v39, 2, v38
	v_add_u32_e32 v39, 0x800, v39
	ds_read2_b32 v[44:45], v39 offset0:128 offset1:133
	ds_read2_b32 v[46:47], v39 offset0:138 offset1:143
	s_mul_i32 s3, s6, s7
	s_waitcnt lgkmcnt(0)
	s_mul_i32 s3, s3, s2
	s_lshl_b32 s2, s3, 1
	s_mov_b32 s3, 0xff7fffff
	v_max3_f32 v42, v44, s3, v45
	v_max3_f32 v42, v42, v46, v47
	v_sub_f32_e32 v43, v44, v42
	v_sub_f32_e32 v44, v45, v42
	ds_read2_b32 v[48:49], v39 offset0:148 offset1:153
	v_mul_f32_e32 v43, 0x3fb8aa3b, v43
	v_mul_f32_e32 v44, 0x3fb8aa3b, v44
	v_exp_f32_e32 v43, v43
	v_exp_f32_e32 v50, v44
	ds_read2_b32 v[44:45], v39 offset0:158 offset1:163
	v_sub_f32_e32 v39, v46, v42
	v_mul_f32_e32 v39, 0x3fb8aa3b, v39
	v_sub_f32_e32 v46, v47, v42
	v_exp_f32_e32 v39, v39
	v_mul_f32_e32 v46, 0x3fb8aa3b, v46
	v_exp_f32_e32 v46, v46
	s_waitcnt lgkmcnt(1)
	v_fma_f32 v43, v43, v48, 0
	v_fmac_f32_e32 v43, v50, v49
	s_waitcnt lgkmcnt(0)
	v_fmac_f32_e32 v43, v39, v44
	s_lshl_b32 s8, s8, 1
	v_fmac_f32_e32 v43, v46, v45
	v_cmp_gt_u32_e32 vcc, 2, v38
	s_and_saveexec_b64 s[4:5], vcc
	s_cbranch_execz .LBB37_19
; %bb.18:
	s_mov_b32 s3, 0
	s_lshl_b64 s[10:11], s[2:3], 2
	s_add_u32 s6, s12, s10
	s_mov_b32 s25, s3
	s_addc_u32 s9, s13, s11
	s_lshl_b64 s[12:13], s[24:25], 2
	s_add_u32 s3, s6, s12
	s_addc_u32 s6, s9, s13
	v_or_b32_e32 v38, s8, v38
	s_add_u32 s9, s14, s10
	v_mul_lo_u32 v38, s7, v38
	v_mov_b32_e32 v39, 0
	s_addc_u32 s10, s15, s11
	v_lshlrev_b64 v[38:39], 2, v[38:39]
	s_add_u32 s9, s9, s12
	v_mov_b32_e32 v45, s6
	v_add_co_u32_e32 v44, vcc, s3, v38
	s_addc_u32 s10, s10, s13
	v_addc_co_u32_e32 v45, vcc, v45, v39, vcc
	v_mov_b32_e32 v46, s10
	v_add_co_u32_e32 v38, vcc, s9, v38
	v_addc_co_u32_e32 v39, vcc, v46, v39, vcc
	global_store_dword v[38:39], v42, off
	global_store_dword v[44:45], v43, off
.LBB37_19:
	s_or_b64 exec, exec, s[4:5]
	v_mov_b32_e32 v38, 0
	v_mov_b32_e32 v39, 0
	s_and_saveexec_b64 s[4:5], s[0:1]
	s_cbranch_execz .LBB37_21
; %bb.20:
	v_add_f32_e32 v38, 0x358637bd, v43
	v_div_scale_f32 v39, s[0:1], v38, v38, 1.0
	v_rcp_f32_e32 v43, v39
	v_div_scale_f32 v44, vcc, 1.0, v38, 1.0
	v_sub_f32_e32 v41, v41, v42
	v_fma_f32 v45, -v39, v43, 1.0
	v_fmac_f32_e32 v43, v45, v43
	v_mul_f32_e32 v45, v44, v43
	v_fma_f32 v46, -v39, v45, v44
	v_mul_f32_e32 v41, 0x3fb8aa3b, v41
	v_fmac_f32_e32 v45, v46, v43
	v_exp_f32_e32 v41, v41
	v_fma_f32 v39, -v39, v45, v44
	v_div_fmas_f32 v39, v39, v43, v45
	v_div_fixup_f32 v38, v39, v38, 1.0
	v_mul_f32_e32 v38, v41, v38
	v_pk_mul_f32 v[36:37], v[36:37], v[38:39] op_sel_hi:[1,0]
	v_pk_mul_f32 v[34:35], v[34:35], v[38:39] op_sel_hi:[1,0]
	v_cvt_f16_f32_e32 v34, v34
	v_cvt_f16_f32_e32 v35, v35
	;; [unrolled: 1-line block ×4, first 2 shown]
	s_mov_b32 s0, 0x5040100
	v_pack_b32_f16 v34, v34, v35
	v_pack_b32_f16 v35, v36, v37
	s_waitcnt vmcnt(7)
	s_nop 0
	v_mfma_f32_4x4x4f16 a[0:3], v[34:35], v[2:3], 0 cbsz:4
	v_mfma_f32_4x4x4f16 a[0:3], v[34:35], v[4:5], a[0:3] cbsz:4 abid:1
	s_waitcnt vmcnt(6)
	v_mfma_f32_4x4x4f16 a[0:3], v[34:35], v[6:7], a[0:3] cbsz:4 abid:2
	v_mfma_f32_4x4x4f16 a[0:3], v[34:35], v[8:9], a[0:3] cbsz:4 abid:3
	s_waitcnt vmcnt(5)
	v_mfma_f32_4x4x4f16 a[0:3], v[34:35], v[10:11], a[0:3] cbsz:4 abid:4
	;; [unrolled: 3-line block ×7, first 2 shown]
	v_mfma_f32_4x4x4f16 a[0:3], v[34:35], v[32:33], a[0:3] cbsz:4 abid:15
	s_nop 4
	v_accvgpr_read_b32 v2, a0
	v_accvgpr_read_b32 v3, a1
	v_accvgpr_read_b32 v4, a2
	v_accvgpr_read_b32 v5, a3
	v_cvt_f16_f32_e32 v2, v2
	v_cvt_f16_f32_e32 v3, v3
	;; [unrolled: 1-line block ×4, first 2 shown]
	v_perm_b32 v38, v3, v2, s0
	v_perm_b32 v39, v5, v4, s0
.LBB37_21:
	s_or_b64 exec, exec, s[4:5]
	v_lshlrev_b32_e32 v1, 3, v1
	v_mad_u32_u24 v1, v40, 40, v1
	v_cmp_gt_u32_e32 vcc, 64, v0
	ds_write_b64 v1, v[38:39]
	s_waitcnt lgkmcnt(0)
	s_barrier
	s_and_saveexec_b64 s[0:1], vcc
	s_cbranch_execz .LBB37_23
; %bb.22:
	s_mov_b32 s1, 0
	s_lshl_b32 s0, s2, 6
	v_mul_u32_u24_e32 v1, 40, v40
	s_lshl_b64 s[2:3], s[0:1], 1
	s_waitcnt vmcnt(7)
	ds_read2_b64 v[2:5], v1 offset1:1
	s_waitcnt vmcnt(6)
	ds_read2_b64 v[6:9], v1 offset0:2 offset1:3
	s_add_u32 s2, s26, s2
	s_addc_u32 s3, s27, s3
	s_lshl_b32 s0, s24, 6
	s_lshl_b64 s[0:1], s[0:1], 1
	s_add_u32 s0, s2, s0
	s_addc_u32 s1, s3, s1
	s_lshl_b32 s2, s7, 6
	s_waitcnt lgkmcnt(1)
	v_pk_add_f16 v1, v2, 0
	s_mul_i32 s3, s2, s8
	v_pk_add_f16 v1, v1, v4
	v_or_b32_e32 v2, s3, v0
	v_mov_b32_e32 v3, 0
	s_waitcnt lgkmcnt(0)
	v_pk_add_f16 v1, v1, v6
	v_lshlrev_b64 v[4:5], 1, v[2:3]
	s_add_i32 s3, s3, s2
	v_pk_add_f16 v6, v1, v8
	v_mov_b32_e32 v1, s1
	v_add_co_u32_e32 v4, vcc, s0, v4
	v_or_b32_e32 v2, s3, v0
	v_addc_co_u32_e32 v5, vcc, v1, v5, vcc
	v_lshlrev_b64 v[0:1], 1, v[2:3]
	v_mov_b32_e32 v2, s1
	v_add_co_u32_e32 v0, vcc, s0, v0
	v_addc_co_u32_e32 v1, vcc, v2, v1, vcc
	global_store_short v[4:5], v6, off
	global_store_short_d16_hi v[0:1], v6, off
.LBB37_23:
	s_endpgm
	.section	.rodata,"a",@progbits
	.p2align	6, 0x0
	.amdhsa_kernel _Z38paged_attention_ll4mi_QKV_mfma4_kernelIDF16_DF16_LN4vllm18Fp8KVCacheDataTypeE0EDF16_Li16ELi64ELi256ELb0ELi2EEvPKT_PKT0_S7_ifPKiS9_S9_iPKfiiiPfSC_PS2_PT2_iSB_SB_
		.amdhsa_group_segment_fixed_size 2720
		.amdhsa_private_segment_fixed_size 0
		.amdhsa_kernarg_size 400
		.amdhsa_user_sgpr_count 6
		.amdhsa_user_sgpr_private_segment_buffer 1
		.amdhsa_user_sgpr_dispatch_ptr 0
		.amdhsa_user_sgpr_queue_ptr 0
		.amdhsa_user_sgpr_kernarg_segment_ptr 1
		.amdhsa_user_sgpr_dispatch_id 0
		.amdhsa_user_sgpr_flat_scratch_init 0
		.amdhsa_user_sgpr_kernarg_preload_length 0
		.amdhsa_user_sgpr_kernarg_preload_offset 0
		.amdhsa_user_sgpr_private_segment_size 0
		.amdhsa_uses_dynamic_stack 0
		.amdhsa_system_sgpr_private_segment_wavefront_offset 0
		.amdhsa_system_sgpr_workgroup_id_x 1
		.amdhsa_system_sgpr_workgroup_id_y 1
		.amdhsa_system_sgpr_workgroup_id_z 1
		.amdhsa_system_sgpr_workgroup_info 0
		.amdhsa_system_vgpr_workitem_id 0
		.amdhsa_next_free_vgpr 64
		.amdhsa_next_free_sgpr 38
		.amdhsa_accum_offset 60
		.amdhsa_reserve_vcc 1
		.amdhsa_reserve_flat_scratch 0
		.amdhsa_float_round_mode_32 0
		.amdhsa_float_round_mode_16_64 0
		.amdhsa_float_denorm_mode_32 3
		.amdhsa_float_denorm_mode_16_64 3
		.amdhsa_dx10_clamp 1
		.amdhsa_ieee_mode 1
		.amdhsa_fp16_overflow 0
		.amdhsa_tg_split 0
		.amdhsa_exception_fp_ieee_invalid_op 0
		.amdhsa_exception_fp_denorm_src 0
		.amdhsa_exception_fp_ieee_div_zero 0
		.amdhsa_exception_fp_ieee_overflow 0
		.amdhsa_exception_fp_ieee_underflow 0
		.amdhsa_exception_fp_ieee_inexact 0
		.amdhsa_exception_int_div_zero 0
	.end_amdhsa_kernel
	.section	.text._Z38paged_attention_ll4mi_QKV_mfma4_kernelIDF16_DF16_LN4vllm18Fp8KVCacheDataTypeE0EDF16_Li16ELi64ELi256ELb0ELi2EEvPKT_PKT0_S7_ifPKiS9_S9_iPKfiiiPfSC_PS2_PT2_iSB_SB_,"axG",@progbits,_Z38paged_attention_ll4mi_QKV_mfma4_kernelIDF16_DF16_LN4vllm18Fp8KVCacheDataTypeE0EDF16_Li16ELi64ELi256ELb0ELi2EEvPKT_PKT0_S7_ifPKiS9_S9_iPKfiiiPfSC_PS2_PT2_iSB_SB_,comdat
.Lfunc_end37:
	.size	_Z38paged_attention_ll4mi_QKV_mfma4_kernelIDF16_DF16_LN4vllm18Fp8KVCacheDataTypeE0EDF16_Li16ELi64ELi256ELb0ELi2EEvPKT_PKT0_S7_ifPKiS9_S9_iPKfiiiPfSC_PS2_PT2_iSB_SB_, .Lfunc_end37-_Z38paged_attention_ll4mi_QKV_mfma4_kernelIDF16_DF16_LN4vllm18Fp8KVCacheDataTypeE0EDF16_Li16ELi64ELi256ELb0ELi2EEvPKT_PKT0_S7_ifPKiS9_S9_iPKfiiiPfSC_PS2_PT2_iSB_SB_
                                        ; -- End function
	.section	.AMDGPU.csdata,"",@progbits
; Kernel info:
; codeLenInByte = 3112
; NumSgprs: 42
; NumVgprs: 58
; NumAgprs: 4
; TotalNumVgprs: 64
; ScratchSize: 0
; MemoryBound: 0
; FloatMode: 240
; IeeeMode: 1
; LDSByteSize: 2720 bytes/workgroup (compile time only)
; SGPRBlocks: 5
; VGPRBlocks: 7
; NumSGPRsForWavesPerEU: 42
; NumVGPRsForWavesPerEU: 64
; AccumOffset: 60
; Occupancy: 8
; WaveLimiterHint : 1
; COMPUTE_PGM_RSRC2:SCRATCH_EN: 0
; COMPUTE_PGM_RSRC2:USER_SGPR: 6
; COMPUTE_PGM_RSRC2:TRAP_HANDLER: 0
; COMPUTE_PGM_RSRC2:TGID_X_EN: 1
; COMPUTE_PGM_RSRC2:TGID_Y_EN: 1
; COMPUTE_PGM_RSRC2:TGID_Z_EN: 1
; COMPUTE_PGM_RSRC2:TIDIG_COMP_CNT: 0
; COMPUTE_PGM_RSRC3_GFX90A:ACCUM_OFFSET: 14
; COMPUTE_PGM_RSRC3_GFX90A:TG_SPLIT: 0
	.section	.text._Z38paged_attention_ll4mi_QKV_mfma4_kernelIDF16_DF16_LN4vllm18Fp8KVCacheDataTypeE0EDF16_Li16ELi64ELi256ELb0ELi3EEvPKT_PKT0_S7_ifPKiS9_S9_iPKfiiiPfSC_PS2_PT2_iSB_SB_,"axG",@progbits,_Z38paged_attention_ll4mi_QKV_mfma4_kernelIDF16_DF16_LN4vllm18Fp8KVCacheDataTypeE0EDF16_Li16ELi64ELi256ELb0ELi3EEvPKT_PKT0_S7_ifPKiS9_S9_iPKfiiiPfSC_PS2_PT2_iSB_SB_,comdat
	.protected	_Z38paged_attention_ll4mi_QKV_mfma4_kernelIDF16_DF16_LN4vllm18Fp8KVCacheDataTypeE0EDF16_Li16ELi64ELi256ELb0ELi3EEvPKT_PKT0_S7_ifPKiS9_S9_iPKfiiiPfSC_PS2_PT2_iSB_SB_ ; -- Begin function _Z38paged_attention_ll4mi_QKV_mfma4_kernelIDF16_DF16_LN4vllm18Fp8KVCacheDataTypeE0EDF16_Li16ELi64ELi256ELb0ELi3EEvPKT_PKT0_S7_ifPKiS9_S9_iPKfiiiPfSC_PS2_PT2_iSB_SB_
	.globl	_Z38paged_attention_ll4mi_QKV_mfma4_kernelIDF16_DF16_LN4vllm18Fp8KVCacheDataTypeE0EDF16_Li16ELi64ELi256ELb0ELi3EEvPKT_PKT0_S7_ifPKiS9_S9_iPKfiiiPfSC_PS2_PT2_iSB_SB_
	.p2align	8
	.type	_Z38paged_attention_ll4mi_QKV_mfma4_kernelIDF16_DF16_LN4vllm18Fp8KVCacheDataTypeE0EDF16_Li16ELi64ELi256ELb0ELi3EEvPKT_PKT0_S7_ifPKiS9_S9_iPKfiiiPfSC_PS2_PT2_iSB_SB_,@function
_Z38paged_attention_ll4mi_QKV_mfma4_kernelIDF16_DF16_LN4vllm18Fp8KVCacheDataTypeE0EDF16_Li16ELi64ELi256ELb0ELi3EEvPKT_PKT0_S7_ifPKiS9_S9_iPKfiiiPfSC_PS2_PT2_iSB_SB_: ; @_Z38paged_attention_ll4mi_QKV_mfma4_kernelIDF16_DF16_LN4vllm18Fp8KVCacheDataTypeE0EDF16_Li16ELi64ELi256ELb0ELi3EEvPKT_PKT0_S7_ifPKiS9_S9_iPKfiiiPfSC_PS2_PT2_iSB_SB_
; %bb.0:
	s_load_dwordx2 s[2:3], s[4:5], 0x30
	s_mov_b32 s24, s7
	s_mov_b64 s[0:1], 0
	s_waitcnt lgkmcnt(0)
	s_cmp_lg_u64 s[2:3], 0
	s_cselect_b64 s[10:11], -1, 0
	s_and_b64 vcc, exec, s[10:11]
	s_cbranch_vccz .LBB38_10
; %bb.1:
	s_add_i32 s12, s6, 1
	s_mov_b32 s13, 0
	s_lshl_b64 s[14:15], s[12:13], 2
	s_add_u32 s14, s2, s14
	s_mov_b32 s7, s13
	s_addc_u32 s15, s3, s15
	s_lshl_b64 s[12:13], s[6:7], 2
	s_add_u32 s12, s2, s12
	s_addc_u32 s13, s3, s13
	s_load_dword s9, s[14:15], 0x0
	s_load_dword s16, s[12:13], 0x0
	s_waitcnt lgkmcnt(0)
	s_sub_i32 s9, s9, s16
	s_cmp_eq_u32 s9, 1
	s_cselect_b64 s[12:13], -1, 0
	s_andn2_b64 vcc, exec, s[0:1]
	s_cbranch_vccnz .LBB38_3
.LBB38_2:
	s_mov_b32 s7, 0
	s_mov_b64 s[12:13], -1
.LBB38_3:
	s_andn2_b64 vcc, exec, s[12:13]
	s_cbranch_vccnz .LBB38_23
; %bb.4:
	s_load_dword s9, s[4:5], 0x9c
	s_load_dwordx2 s[0:1], s[4:5], 0x28
	s_add_u32 s28, s4, 0x90
	s_addc_u32 s29, s5, 0
	s_lshl_b64 s[20:21], s[6:7], 2
	s_waitcnt lgkmcnt(0)
	s_and_b32 s12, s9, 0xffff
	s_add_u32 s0, s0, s20
	s_addc_u32 s1, s1, s21
	s_load_dword s9, s[0:1], 0x0
	s_mul_i32 s16, s24, s12
	s_waitcnt lgkmcnt(0)
	s_cmp_ge_i32 s16, s9
	s_cbranch_scc1 .LBB38_23
; %bb.5:
	v_and_b32_e32 v2, 0xc0, v0
	v_add_u32_e32 v2, s16, v2
	v_lshrrev_b32_e32 v1, 6, v0
	v_cmp_gt_i32_e64 s[0:1], s9, v2
	v_cmp_le_i32_e32 vcc, s9, v2
                                        ; implicit-def: $sgpr18
                                        ; implicit-def: $sgpr17
	s_and_saveexec_b64 s[12:13], vcc
	s_xor_b64 s[12:13], exec, s[12:13]
	s_cbranch_execz .LBB38_7
; %bb.6:
	v_mul_u32_u24_e32 v2, 20, v1
	v_or_b32_e32 v2, 0xa00, v2
	v_mov_b32_e32 v3, 0xa50
	v_mov_b32_e32 v4, 0xff7fffff
	v_mad_u32_u24 v3, v1, 20, v3
	ds_write2_b32 v2, v4, v4 offset1:1
	v_mov_b32_e32 v2, 0
	ds_write2_b32 v3, v2, v2 offset1:1
	v_mov_b32_e32 v3, 0xa08
	s_mov_b32 s17, 0xff7fffff
	s_mov_b32 s18, 0
	v_mad_u32_u24 v3, v1, 20, v3
	v_mov_b32_e32 v5, 0xa58
	v_mad_u32_u24 v5, v1, 20, v5
	ds_write2_b32 v3, v4, v4 offset1:1
	ds_write2_b32 v5, v2, v2 offset1:1
                                        ; implicit-def: $vgpr2
.LBB38_7:
	s_or_saveexec_b64 s[30:31], s[12:13]
	s_load_dwordx2 s[26:27], s[4:5], 0x68
	s_load_dwordx4 s[12:15], s[4:5], 0x58
	s_load_dword s7, s[28:29], 0x4
	v_and_b32_e32 v40, 63, v0
	v_and_b32_e32 v38, 3, v0
	v_mov_b32_e32 v37, s18
	v_mov_b32_e32 v41, s17
	;; [unrolled: 1-line block ×5, first 2 shown]
                                        ; implicit-def: $vgpr3
                                        ; implicit-def: $vgpr7
                                        ; implicit-def: $vgpr11
                                        ; implicit-def: $vgpr15
                                        ; implicit-def: $vgpr19
                                        ; implicit-def: $vgpr23
                                        ; implicit-def: $vgpr27
                                        ; implicit-def: $vgpr31
	s_xor_b64 exec, exec, s[30:31]
	s_cbranch_execz .LBB38_17
; %bb.8:
	s_add_i32 s22, s9, 15
	s_load_dwordx2 s[18:19], s[4:5], 0x20
	s_load_dword s17, s[4:5], 0x38
	s_ashr_i32 s23, s22, 31
	s_lshr_b32 s23, s23, 28
	v_add_u32_e32 v39, s16, v0
	s_add_i32 s22, s22, s23
	v_ashrrev_i32_e32 v3, 31, v39
	s_ashr_i32 s22, s22, 4
	v_lshrrev_b32_e32 v3, 28, v3
	s_add_i32 s25, s22, -1
	v_add_u32_e32 v3, v39, v3
	s_waitcnt lgkmcnt(0)
	s_mul_i32 s22, s6, s17
	s_mov_b32 s23, 0
	v_ashrrev_i32_e32 v3, 4, v3
	v_mov_b32_e32 v4, s25
	v_cmp_gt_i32_e32 vcc, s9, v39
	s_lshl_b64 s[22:23], s[22:23], 2
	v_cndmask_b32_e32 v4, v4, v3, vcc
	s_add_u32 s17, s18, s22
	v_ashrrev_i32_e32 v5, 31, v4
	s_addc_u32 s18, s19, s23
	v_lshlrev_b64 v[4:5], 2, v[4:5]
	v_mov_b32_e32 v3, s18
	v_add_co_u32_e32 v8, vcc, s17, v4
	v_addc_co_u32_e32 v9, vcc, v3, v5, vcc
	v_ashrrev_i32_e32 v3, 31, v2
	v_lshrrev_b32_e32 v3, 28, v3
	v_add_u32_e32 v2, v2, v3
	v_ashrrev_i32_e32 v4, 4, v2
	v_min_i32_e32 v2, s25, v4
	v_ashrrev_i32_e32 v3, 31, v2
	v_lshlrev_b64 v[2:3], 2, v[2:3]
	v_add_co_u32_e32 v10, vcc, s17, v2
	v_add_u32_e32 v2, 1, v4
	v_mov_b32_e32 v5, s18
	v_min_i32_e32 v2, s25, v2
	v_addc_co_u32_e32 v11, vcc, v5, v3, vcc
	v_ashrrev_i32_e32 v3, 31, v2
	v_lshlrev_b64 v[2:3], 2, v[2:3]
	v_add_co_u32_e32 v12, vcc, s17, v2
	v_add_u32_e32 v2, 2, v4
	v_min_i32_e32 v2, s25, v2
	v_addc_co_u32_e32 v13, vcc, v5, v3, vcc
	v_ashrrev_i32_e32 v3, 31, v2
	v_lshlrev_b64 v[2:3], 2, v[2:3]
	v_add_co_u32_e32 v14, vcc, s17, v2
	v_add_u32_e32 v2, 3, v4
	v_min_i32_e32 v2, s25, v2
	v_addc_co_u32_e32 v15, vcc, v5, v3, vcc
	v_ashrrev_i32_e32 v3, 31, v2
	v_lshlrev_b64 v[2:3], 2, v[2:3]
	v_mov_b32_e32 v4, s18
	v_add_co_u32_e32 v16, vcc, s17, v2
	v_addc_co_u32_e32 v17, vcc, v4, v3, vcc
	global_load_dword v2, v[8:9], off
	global_load_dword v7, v[10:11], off
	global_load_dword v6, v[12:13], off
	global_load_dword v5, v[14:15], off
	global_load_dword v4, v[16:17], off
	s_load_dwordx4 s[16:19], s[4:5], 0x8
	s_andn2_b64 vcc, exec, s[10:11]
	s_cbranch_vccnz .LBB38_11
; %bb.9:
	s_add_u32 s2, s2, s20
	s_addc_u32 s3, s3, s21
	s_load_dword s2, s[2:3], 0x0
	s_branch .LBB38_12
.LBB38_10:
	s_mov_b64 s[12:13], 0
	s_branch .LBB38_2
.LBB38_11:
	s_mov_b32 s2, s6
.LBB38_12:
	s_load_dwordx4 s[20:23], s[4:5], 0x48
	v_cmp_ne_u32_e32 vcc, 3, v38
	s_mov_b32 s3, 0
	v_mov_b32_e32 v41, 1.0
	v_mov_b32_e32 v3, 0
	v_mov_b32_e32 v34, 0
	;; [unrolled: 1-line block ×5, first 2 shown]
	s_and_saveexec_b64 s[10:11], vcc
	s_cbranch_execz .LBB38_14
; %bb.13:
	s_load_dwordx2 s[34:35], s[4:5], 0x0
	s_waitcnt lgkmcnt(0)
	s_ashr_i32 s23, s20, 31
	s_mul_hi_u32 s25, s2, s20
	s_mul_i32 s23, s2, s23
	s_add_i32 s37, s25, s23
	s_mul_i32 s36, s2, s20
	s_lshl_b64 s[36:37], s[36:37], 1
	s_add_u32 s20, s34, s36
	s_mul_i32 s2, s8, 0xc0
	s_addc_u32 s23, s35, s37
	s_lshl_b64 s[34:35], s[2:3], 1
	s_add_u32 s34, s20, s34
	v_lshlrev_b32_e32 v8, 3, v38
	v_lshrrev_b32_e32 v9, 2, v40
	s_addc_u32 s35, s23, s35
	v_add_lshl_u32 v8, v8, v9, 4
	global_load_dwordx4 v[34:37], v8, s[34:35]
	v_mov_b32_e32 v41, 0
.LBB38_14:
	s_or_b64 exec, exec, s[10:11]
	s_waitcnt vmcnt(4) lgkmcnt(0)
	v_mad_i64_i32 v[8:9], s[10:11], v2, s21, 0
	s_mul_i32 s2, s8, s22
	s_lshl_b64 s[10:11], s[2:3], 1
	s_add_u32 s2, s10, s16
	v_lshlrev_b64 v[8:9], 1, v[8:9]
	s_addc_u32 s3, s11, s17
	v_mov_b32_e32 v2, s3
	v_add_co_u32_e32 v8, vcc, s2, v8
	v_addc_co_u32_e32 v2, vcc, v2, v9, vcc
	v_and_b32_e32 v9, 15, v0
	v_lshlrev_b32_e32 v9, 4, v9
	v_add_co_u32_e32 v32, vcc, v8, v9
	v_addc_co_u32_e32 v33, vcc, 0, v2, vcc
	global_load_dwordx4 v[8:11], v[32:33], off
	global_load_dwordx4 v[12:15], v[32:33], off offset:256
	global_load_dwordx4 v[16:19], v[32:33], off offset:512
	;; [unrolled: 1-line block ×7, first 2 shown]
	s_waitcnt vmcnt(11)
	v_mul_hi_i32 v2, v7, s21
	s_waitcnt vmcnt(10)
	v_mul_hi_i32 v50, v6, s21
	v_ashrrev_i32_e32 v2, 31, v2
	s_waitcnt vmcnt(9)
	v_mul_hi_i32 v32, v5, s21
	s_waitcnt vmcnt(8)
	v_mul_hi_i32 v33, v4, s21
	v_cmp_eq_u32_e32 vcc, 0, v38
	v_ashrrev_i32_e32 v50, 31, v50
	v_lshrrev_b32_e32 v2, 29, v2
	s_load_dword s2, s[4:5], 0x1c
	v_cndmask_b32_e64 v53, 0, 1.0, vcc
	v_cmp_eq_u32_e32 vcc, 1, v38
	v_ashrrev_i32_e32 v51, 31, v32
	v_ashrrev_i32_e32 v58, 31, v33
	v_mad_i64_i32 v[32:33], s[4:5], v7, s21, v[2:3]
	v_lshrrev_b32_e32 v2, 29, v50
	s_add_u32 s3, s18, s10
	v_lshlrev_b32_e32 v52, 5, v40
	v_cndmask_b32_e64 v54, 0, 1.0, vcc
	v_cmp_eq_u32_e32 vcc, 2, v38
	v_mad_i64_i32 v[6:7], s[4:5], v6, s21, v[2:3]
	v_lshrrev_b32_e32 v2, 29, v51
	s_addc_u32 s10, s19, s11
	v_cndmask_b32_e64 v55, 0, 1.0, vcc
	v_lshlrev_b64 v[32:33], 1, v[32:33]
	v_mad_i64_i32 v[50:51], s[4:5], v5, s21, v[2:3]
	v_mov_b32_e32 v5, s10
	v_add_co_u32_e32 v52, vcc, s3, v52
	v_and_b32_e32 v32, -16, v32
	v_lshrrev_b32_e32 v2, 29, v58
	v_addc_co_u32_e32 v58, vcc, 0, v5, vcc
	v_lshlrev_b64 v[6:7], 1, v[6:7]
	v_and_b32_e32 v6, -16, v6
	v_mad_i64_i32 v[2:3], s[4:5], v4, s21, v[2:3]
	v_and_b32_e32 v56, -4, v39
	v_lshlrev_b32_e32 v57, 2, v0
	v_or_b32_e32 v39, 3, v39
	v_cmp_gt_i32_e64 s[10:11], s9, v39
	s_waitcnt vmcnt(7)
	v_mfma_f32_4x4x4f16 a[0:3], v[34:35], v[8:9], 0 cbsz:4
	v_lshlrev_b64 v[8:9], 1, v[50:51]
	v_mfma_f32_4x4x4f16 a[0:3], v[36:37], v[10:11], a[0:3] cbsz:4
	v_add_co_u32_e32 v10, vcc, v52, v32
	s_waitcnt vmcnt(6)
	v_mfma_f32_4x4x4f16 a[0:3], v[34:35], v[12:13], a[0:3] cbsz:4 abid:1
	v_addc_co_u32_e32 v11, vcc, v58, v33, vcc
	v_mfma_f32_4x4x4f16 a[0:3], v[36:37], v[14:15], a[0:3] cbsz:4 abid:1
	v_and_b32_e32 v4, -16, v8
	s_waitcnt vmcnt(5)
	v_mfma_f32_4x4x4f16 a[0:3], v[34:35], v[16:17], a[0:3] cbsz:4 abid:2
	v_lshlrev_b64 v[50:51], 1, v[2:3]
	v_mfma_f32_4x4x4f16 a[0:3], v[36:37], v[18:19], a[0:3] cbsz:4 abid:2
	v_add_co_u32_e32 v18, vcc, v52, v6
	s_waitcnt vmcnt(4)
	v_mfma_f32_4x4x4f16 a[0:3], v[34:35], v[20:21], a[0:3] cbsz:4 abid:3
	v_addc_co_u32_e32 v19, vcc, v58, v7, vcc
	v_mfma_f32_4x4x4f16 a[0:3], v[36:37], v[22:23], a[0:3] cbsz:4 abid:3
	v_add_co_u32_e32 v32, vcc, v52, v4
	s_waitcnt vmcnt(3)
	v_mfma_f32_4x4x4f16 a[0:3], v[34:35], v[24:25], a[0:3] cbsz:4 abid:4
	v_addc_co_u32_e32 v33, vcc, v58, v9, vcc
	v_mfma_f32_4x4x4f16 a[0:3], v[36:37], v[26:27], a[0:3] cbsz:4 abid:4
	v_and_b32_e32 v50, -16, v50
	s_waitcnt vmcnt(2)
	v_mfma_f32_4x4x4f16 a[0:3], v[34:35], v[28:29], a[0:3] cbsz:4 abid:5
	global_load_dwordx4 v[2:5], v[10:11], off
	global_load_dwordx4 v[6:9], v[10:11], off offset:16
	v_mfma_f32_4x4x4f16 a[0:3], v[36:37], v[30:31], a[0:3] cbsz:4 abid:5
	global_load_dwordx4 v[10:13], v[18:19], off
	global_load_dwordx4 v[14:17], v[18:19], off offset:16
	s_waitcnt vmcnt(5)
	v_mfma_f32_4x4x4f16 a[0:3], v[34:35], v[42:43], a[0:3] cbsz:4 abid:6
	v_add_co_u32_e32 v42, vcc, v52, v50
	v_addc_co_u32_e32 v43, vcc, v58, v51, vcc
	global_load_dwordx4 v[18:21], v[32:33], off
	global_load_dwordx4 v[22:25], v[32:33], off offset:16
	global_load_dwordx4 v[26:29], v[42:43], off
	s_nop 0
	global_load_dwordx4 v[30:33], v[42:43], off offset:16
	v_mfma_f32_4x4x4f16 a[0:3], v[36:37], v[44:45], a[0:3] cbsz:4 abid:6
	v_mov_b32_e32 v42, 0xff7fffff
	s_waitcnt vmcnt(8)
	v_mfma_f32_4x4x4f16 a[0:3], v[34:35], v[46:47], a[0:3] cbsz:4 abid:7
	v_cmp_gt_i32_e32 vcc, s9, v56
	v_mfma_f32_4x4x4f16 a[0:3], v[36:37], v[48:49], a[0:3] cbsz:4 abid:7
	s_nop 4
	v_accvgpr_read_b32 v35, a1
	v_accvgpr_read_b32 v34, a0
	s_waitcnt lgkmcnt(0)
	v_pk_mul_f32 v[34:35], s[2:3], v[34:35] op_sel_hi:[0,1]
	v_accvgpr_read_b32 v37, a3
	v_accvgpr_read_b32 v36, a2
	v_pk_mul_f32 v[36:37], s[2:3], v[36:37] op_sel_hi:[0,1]
	v_mfma_f32_4x4x1f32 a[0:3], v34, v53, 0
	v_and_or_b32 v34, v57, 48, v38
	v_mfma_f32_4x4x1f32 a[0:3], v35, v54, a[0:3]
	v_or_b32_e32 v35, 1, v56
	v_mfma_f32_4x4x1f32 a[0:3], v36, v55, a[0:3]
	v_cmp_gt_i32_e64 s[2:3], s9, v35
	v_mfma_f32_4x4x1f32 a[0:3], v37, v41, a[0:3]
	v_or_b32_e32 v36, 2, v56
	v_cmp_gt_i32_e64 s[4:5], s9, v36
	v_lshlrev_b32_e32 v39, 2, v34
	s_nop 1
	v_accvgpr_read_b32 v37, a0
	v_max_f32_e32 v41, v37, v37
	v_accvgpr_read_b32 v43, a1
	v_max_f32_e32 v41, 0xff7fffff, v41
	v_max_f32_e32 v46, v43, v43
	v_cndmask_b32_e32 v41, v42, v41, vcc
	v_accvgpr_read_b32 v44, a2
	v_max_f32_e32 v42, v41, v46
	v_max_f32_e32 v47, v44, v44
	v_cndmask_b32_e64 v35, v41, v42, s[2:3]
	v_accvgpr_read_b32 v45, a3
	v_max_f32_e32 v41, v35, v47
	v_cndmask_b32_e64 v35, v35, v41, s[4:5]
	v_max_f32_e32 v36, v45, v45
	v_max_f32_e32 v36, v35, v36
	v_cndmask_b32_e64 v35, v35, v36, s[10:11]
	;;#ASMSTART
	v_nop
 v_nop
 v_max_f32_dpp v34, v35, v35 row_ror:4
	;;#ASMEND
	;;#ASMSTART
	v_nop
 v_nop
 v_max_f32_dpp v34, v34, v34 row_ror:8
	;;#ASMEND
	ds_bpermute_b32 v34, v39, v34
	s_waitcnt lgkmcnt(0)
	;;#ASMSTART
	v_nop
 v_nop
 v_max_f32_dpp v34, v34, v34 row_ror:4
	;;#ASMEND
	;;#ASMSTART
	v_nop
 v_nop
 v_max_f32_dpp v41, v34, v34 row_ror:8
	;;#ASMEND
	v_sub_f32_e32 v34, v37, v41
	v_sub_f32_e32 v35, v43, v41
	v_mul_f32_e32 v34, 0x3fb8aa3b, v34
	v_exp_f32_e32 v34, v34
	v_mul_f32_e32 v35, 0x3fb8aa3b, v35
	v_sub_f32_e32 v37, v44, v41
	v_exp_f32_e32 v35, v35
	v_mul_f32_e32 v37, 0x3fb8aa3b, v37
	v_sub_f32_e32 v42, v45, v41
	v_exp_f32_e32 v37, v37
	v_mul_f32_e32 v42, 0x3fb8aa3b, v42
	v_exp_f32_e32 v42, v42
	v_cndmask_b32_e32 v34, 0, v34, vcc
	v_cndmask_b32_e64 v35, 0, v35, s[2:3]
	v_add_f32_e32 v36, 0, v34
	v_add_f32_e32 v43, v36, v35
	v_cndmask_b32_e64 v36, 0, v37, s[4:5]
	v_add_f32_e32 v43, v43, v36
	v_cndmask_b32_e64 v37, 0, v42, s[10:11]
	v_add_f32_e32 v42, v43, v37
	;;#ASMSTART
	v_nop
 v_nop
 v_add_f32_dpp v42, v42, v42 row_ror:4
	;;#ASMEND
	;;#ASMSTART
	v_nop
 v_nop
 v_add_f32_dpp v42, v42, v42 row_ror:8
	;;#ASMEND
	ds_bpermute_b32 v39, v39, v42
	s_waitcnt lgkmcnt(0)
	;;#ASMSTART
	v_nop
 v_nop
 v_add_f32_dpp v39, v39, v39 row_ror:4
	;;#ASMEND
	v_cmp_gt_u32_e32 vcc, 4, v40
	;;#ASMSTART
	v_nop
 v_nop
 v_add_f32_dpp v39, v39, v39 row_ror:8
	;;#ASMEND
	s_and_saveexec_b64 s[2:3], vcc
	s_cbranch_execz .LBB38_16
; %bb.15:
	v_mul_u32_u24_e32 v42, 20, v1
	v_lshl_add_u32 v42, v38, 2, v42
	v_add_u32_e32 v42, 0x800, v42
	ds_write2_b32 v42, v41, v39 offset0:128 offset1:148
.LBB38_16:
	s_or_b64 exec, exec, s[2:3]
.LBB38_17:
	s_or_b64 exec, exec, s[30:31]
	s_waitcnt lgkmcnt(0)
	s_barrier
	s_load_dword s2, s[28:29], 0x8
	v_lshlrev_b32_e32 v39, 2, v38
	v_add_u32_e32 v39, 0x800, v39
	ds_read2_b32 v[44:45], v39 offset0:128 offset1:133
	ds_read2_b32 v[46:47], v39 offset0:138 offset1:143
	s_mul_i32 s3, s6, s7
	s_waitcnt lgkmcnt(0)
	s_mul_i32 s2, s3, s2
	s_mov_b32 s3, 0xff7fffff
	v_max3_f32 v42, v44, s3, v45
	v_max3_f32 v42, v42, v46, v47
	v_sub_f32_e32 v43, v44, v42
	v_sub_f32_e32 v44, v45, v42
	ds_read2_b32 v[48:49], v39 offset0:148 offset1:153
	v_mul_f32_e32 v43, 0x3fb8aa3b, v43
	v_mul_f32_e32 v44, 0x3fb8aa3b, v44
	v_exp_f32_e32 v43, v43
	v_exp_f32_e32 v50, v44
	ds_read2_b32 v[44:45], v39 offset0:158 offset1:163
	v_sub_f32_e32 v39, v46, v42
	v_mul_f32_e32 v39, 0x3fb8aa3b, v39
	v_sub_f32_e32 v46, v47, v42
	v_exp_f32_e32 v39, v39
	v_mul_f32_e32 v46, 0x3fb8aa3b, v46
	v_exp_f32_e32 v46, v46
	s_waitcnt lgkmcnt(1)
	v_fma_f32 v43, v43, v48, 0
	v_fmac_f32_e32 v43, v50, v49
	s_waitcnt lgkmcnt(0)
	v_fmac_f32_e32 v43, v39, v44
	s_mul_i32 s8, s8, 3
	s_mul_i32 s2, s2, 3
	v_fmac_f32_e32 v43, v46, v45
	v_cmp_ne_u32_e32 vcc, 3, v38
	s_and_saveexec_b64 s[4:5], vcc
	s_cbranch_execz .LBB38_19
; %bb.18:
	s_mov_b32 s3, 0
	s_lshl_b64 s[10:11], s[2:3], 2
	s_add_u32 s6, s12, s10
	s_mov_b32 s25, s3
	s_addc_u32 s9, s13, s11
	s_lshl_b64 s[12:13], s[24:25], 2
	s_add_u32 s3, s6, s12
	s_addc_u32 s6, s9, s13
	v_add_u32_e32 v38, s8, v38
	s_add_u32 s9, s14, s10
	v_mul_lo_u32 v38, s7, v38
	v_mov_b32_e32 v39, 0
	s_addc_u32 s10, s15, s11
	v_lshlrev_b64 v[38:39], 2, v[38:39]
	s_add_u32 s9, s9, s12
	v_mov_b32_e32 v45, s6
	v_add_co_u32_e32 v44, vcc, s3, v38
	s_addc_u32 s10, s10, s13
	v_addc_co_u32_e32 v45, vcc, v45, v39, vcc
	v_mov_b32_e32 v46, s10
	v_add_co_u32_e32 v38, vcc, s9, v38
	v_addc_co_u32_e32 v39, vcc, v46, v39, vcc
	global_store_dword v[38:39], v42, off
	global_store_dword v[44:45], v43, off
.LBB38_19:
	s_or_b64 exec, exec, s[4:5]
	v_mov_b32_e32 v38, 0
	v_mov_b32_e32 v39, 0
	s_and_saveexec_b64 s[4:5], s[0:1]
	s_cbranch_execz .LBB38_21
; %bb.20:
	v_add_f32_e32 v38, 0x358637bd, v43
	v_div_scale_f32 v39, s[0:1], v38, v38, 1.0
	v_rcp_f32_e32 v43, v39
	v_div_scale_f32 v44, vcc, 1.0, v38, 1.0
	v_sub_f32_e32 v41, v41, v42
	v_fma_f32 v45, -v39, v43, 1.0
	v_fmac_f32_e32 v43, v45, v43
	v_mul_f32_e32 v45, v44, v43
	v_fma_f32 v46, -v39, v45, v44
	v_mul_f32_e32 v41, 0x3fb8aa3b, v41
	v_fmac_f32_e32 v45, v46, v43
	v_exp_f32_e32 v41, v41
	v_fma_f32 v39, -v39, v45, v44
	v_div_fmas_f32 v39, v39, v43, v45
	v_div_fixup_f32 v38, v39, v38, 1.0
	v_mul_f32_e32 v38, v41, v38
	v_pk_mul_f32 v[36:37], v[36:37], v[38:39] op_sel_hi:[1,0]
	v_pk_mul_f32 v[34:35], v[34:35], v[38:39] op_sel_hi:[1,0]
	v_cvt_f16_f32_e32 v34, v34
	v_cvt_f16_f32_e32 v35, v35
	;; [unrolled: 1-line block ×4, first 2 shown]
	s_mov_b32 s0, 0x5040100
	v_pack_b32_f16 v34, v34, v35
	v_pack_b32_f16 v35, v36, v37
	s_waitcnt vmcnt(7)
	s_nop 0
	v_mfma_f32_4x4x4f16 a[0:3], v[34:35], v[2:3], 0 cbsz:4
	v_mfma_f32_4x4x4f16 a[0:3], v[34:35], v[4:5], a[0:3] cbsz:4 abid:1
	s_waitcnt vmcnt(6)
	v_mfma_f32_4x4x4f16 a[0:3], v[34:35], v[6:7], a[0:3] cbsz:4 abid:2
	v_mfma_f32_4x4x4f16 a[0:3], v[34:35], v[8:9], a[0:3] cbsz:4 abid:3
	s_waitcnt vmcnt(5)
	v_mfma_f32_4x4x4f16 a[0:3], v[34:35], v[10:11], a[0:3] cbsz:4 abid:4
	;; [unrolled: 3-line block ×7, first 2 shown]
	v_mfma_f32_4x4x4f16 a[0:3], v[34:35], v[32:33], a[0:3] cbsz:4 abid:15
	s_nop 4
	v_accvgpr_read_b32 v2, a0
	v_accvgpr_read_b32 v3, a1
	;; [unrolled: 1-line block ×4, first 2 shown]
	v_cvt_f16_f32_e32 v2, v2
	v_cvt_f16_f32_e32 v3, v3
	;; [unrolled: 1-line block ×4, first 2 shown]
	v_perm_b32 v38, v3, v2, s0
	v_perm_b32 v39, v5, v4, s0
.LBB38_21:
	s_or_b64 exec, exec, s[4:5]
	v_lshlrev_b32_e32 v1, 3, v1
	v_mad_u32_u24 v1, v40, 40, v1
	v_cmp_gt_u32_e32 vcc, 64, v0
	ds_write_b64 v1, v[38:39]
	s_waitcnt lgkmcnt(0)
	s_barrier
	s_and_saveexec_b64 s[0:1], vcc
	s_cbranch_execz .LBB38_23
; %bb.22:
	v_mul_u32_u24_e32 v1, 40, v40
	s_waitcnt vmcnt(7)
	ds_read2_b64 v[2:5], v1 offset1:1
	s_waitcnt vmcnt(6)
	ds_read2_b64 v[6:9], v1 offset0:2 offset1:3
	s_mov_b32 s1, 0
	s_lshl_b32 s0, s2, 6
	s_lshl_b64 s[2:3], s[0:1], 1
	s_add_u32 s2, s26, s2
	s_addc_u32 s3, s27, s3
	s_lshl_b32 s0, s24, 6
	s_lshl_b64 s[0:1], s[0:1], 1
	s_waitcnt lgkmcnt(1)
	v_pk_add_f16 v1, v2, 0
	v_pk_add_f16 v2, v3, 0
	s_add_u32 s0, s2, s0
	v_pk_add_f16 v2, v2, v5
	s_addc_u32 s1, s3, s1
	s_lshl_b32 s2, s7, 6
	v_pk_add_f16 v1, v1, v4
	s_waitcnt lgkmcnt(0)
	v_pk_add_f16 v2, v2, v7
	s_mul_i32 s3, s2, s8
	v_pk_add_f16 v1, v1, v6
	v_pk_add_f16 v6, v2, v9
	v_or_b32_e32 v2, s3, v0
	v_mov_b32_e32 v3, 0
	v_lshlrev_b64 v[4:5], 1, v[2:3]
	v_mov_b32_e32 v2, s1
	v_add_co_u32_e32 v4, vcc, s0, v4
	s_add_i32 s3, s3, s2
	v_pk_add_f16 v1, v1, v8
	v_addc_co_u32_e32 v5, vcc, v2, v5, vcc
	v_or_b32_e32 v2, s3, v0
	global_store_short v[4:5], v1, off
	v_lshlrev_b64 v[4:5], 1, v[2:3]
	v_mov_b32_e32 v2, s1
	v_add_co_u32_e32 v4, vcc, s0, v4
	s_add_i32 s3, s3, s2
	v_addc_co_u32_e32 v5, vcc, v2, v5, vcc
	v_or_b32_e32 v2, s3, v0
	global_store_short_d16_hi v[4:5], v1, off
	v_lshlrev_b64 v[0:1], 1, v[2:3]
	v_mov_b32_e32 v2, s1
	v_add_co_u32_e32 v0, vcc, s0, v0
	v_addc_co_u32_e32 v1, vcc, v2, v1, vcc
	global_store_short v[0:1], v6, off
.LBB38_23:
	s_endpgm
	.section	.rodata,"a",@progbits
	.p2align	6, 0x0
	.amdhsa_kernel _Z38paged_attention_ll4mi_QKV_mfma4_kernelIDF16_DF16_LN4vllm18Fp8KVCacheDataTypeE0EDF16_Li16ELi64ELi256ELb0ELi3EEvPKT_PKT0_S7_ifPKiS9_S9_iPKfiiiPfSC_PS2_PT2_iSB_SB_
		.amdhsa_group_segment_fixed_size 2720
		.amdhsa_private_segment_fixed_size 0
		.amdhsa_kernarg_size 400
		.amdhsa_user_sgpr_count 6
		.amdhsa_user_sgpr_private_segment_buffer 1
		.amdhsa_user_sgpr_dispatch_ptr 0
		.amdhsa_user_sgpr_queue_ptr 0
		.amdhsa_user_sgpr_kernarg_segment_ptr 1
		.amdhsa_user_sgpr_dispatch_id 0
		.amdhsa_user_sgpr_flat_scratch_init 0
		.amdhsa_user_sgpr_kernarg_preload_length 0
		.amdhsa_user_sgpr_kernarg_preload_offset 0
		.amdhsa_user_sgpr_private_segment_size 0
		.amdhsa_uses_dynamic_stack 0
		.amdhsa_system_sgpr_private_segment_wavefront_offset 0
		.amdhsa_system_sgpr_workgroup_id_x 1
		.amdhsa_system_sgpr_workgroup_id_y 1
		.amdhsa_system_sgpr_workgroup_id_z 1
		.amdhsa_system_sgpr_workgroup_info 0
		.amdhsa_system_vgpr_workitem_id 0
		.amdhsa_next_free_vgpr 64
		.amdhsa_next_free_sgpr 38
		.amdhsa_accum_offset 60
		.amdhsa_reserve_vcc 1
		.amdhsa_reserve_flat_scratch 0
		.amdhsa_float_round_mode_32 0
		.amdhsa_float_round_mode_16_64 0
		.amdhsa_float_denorm_mode_32 3
		.amdhsa_float_denorm_mode_16_64 3
		.amdhsa_dx10_clamp 1
		.amdhsa_ieee_mode 1
		.amdhsa_fp16_overflow 0
		.amdhsa_tg_split 0
		.amdhsa_exception_fp_ieee_invalid_op 0
		.amdhsa_exception_fp_denorm_src 0
		.amdhsa_exception_fp_ieee_div_zero 0
		.amdhsa_exception_fp_ieee_overflow 0
		.amdhsa_exception_fp_ieee_underflow 0
		.amdhsa_exception_fp_ieee_inexact 0
		.amdhsa_exception_int_div_zero 0
	.end_amdhsa_kernel
	.section	.text._Z38paged_attention_ll4mi_QKV_mfma4_kernelIDF16_DF16_LN4vllm18Fp8KVCacheDataTypeE0EDF16_Li16ELi64ELi256ELb0ELi3EEvPKT_PKT0_S7_ifPKiS9_S9_iPKfiiiPfSC_PS2_PT2_iSB_SB_,"axG",@progbits,_Z38paged_attention_ll4mi_QKV_mfma4_kernelIDF16_DF16_LN4vllm18Fp8KVCacheDataTypeE0EDF16_Li16ELi64ELi256ELb0ELi3EEvPKT_PKT0_S7_ifPKiS9_S9_iPKfiiiPfSC_PS2_PT2_iSB_SB_,comdat
.Lfunc_end38:
	.size	_Z38paged_attention_ll4mi_QKV_mfma4_kernelIDF16_DF16_LN4vllm18Fp8KVCacheDataTypeE0EDF16_Li16ELi64ELi256ELb0ELi3EEvPKT_PKT0_S7_ifPKiS9_S9_iPKfiiiPfSC_PS2_PT2_iSB_SB_, .Lfunc_end38-_Z38paged_attention_ll4mi_QKV_mfma4_kernelIDF16_DF16_LN4vllm18Fp8KVCacheDataTypeE0EDF16_Li16ELi64ELi256ELb0ELi3EEvPKT_PKT0_S7_ifPKiS9_S9_iPKfiiiPfSC_PS2_PT2_iSB_SB_
                                        ; -- End function
	.section	.AMDGPU.csdata,"",@progbits
; Kernel info:
; codeLenInByte = 3180
; NumSgprs: 42
; NumVgprs: 59
; NumAgprs: 4
; TotalNumVgprs: 64
; ScratchSize: 0
; MemoryBound: 0
; FloatMode: 240
; IeeeMode: 1
; LDSByteSize: 2720 bytes/workgroup (compile time only)
; SGPRBlocks: 5
; VGPRBlocks: 7
; NumSGPRsForWavesPerEU: 42
; NumVGPRsForWavesPerEU: 64
; AccumOffset: 60
; Occupancy: 8
; WaveLimiterHint : 1
; COMPUTE_PGM_RSRC2:SCRATCH_EN: 0
; COMPUTE_PGM_RSRC2:USER_SGPR: 6
; COMPUTE_PGM_RSRC2:TRAP_HANDLER: 0
; COMPUTE_PGM_RSRC2:TGID_X_EN: 1
; COMPUTE_PGM_RSRC2:TGID_Y_EN: 1
; COMPUTE_PGM_RSRC2:TGID_Z_EN: 1
; COMPUTE_PGM_RSRC2:TIDIG_COMP_CNT: 0
; COMPUTE_PGM_RSRC3_GFX90A:ACCUM_OFFSET: 14
; COMPUTE_PGM_RSRC3_GFX90A:TG_SPLIT: 0
	.section	.text._Z38paged_attention_ll4mi_QKV_mfma4_kernelIDF16_DF16_LN4vllm18Fp8KVCacheDataTypeE0EDF16_Li16ELi64ELi256ELb0ELi4EEvPKT_PKT0_S7_ifPKiS9_S9_iPKfiiiPfSC_PS2_PT2_iSB_SB_,"axG",@progbits,_Z38paged_attention_ll4mi_QKV_mfma4_kernelIDF16_DF16_LN4vllm18Fp8KVCacheDataTypeE0EDF16_Li16ELi64ELi256ELb0ELi4EEvPKT_PKT0_S7_ifPKiS9_S9_iPKfiiiPfSC_PS2_PT2_iSB_SB_,comdat
	.protected	_Z38paged_attention_ll4mi_QKV_mfma4_kernelIDF16_DF16_LN4vllm18Fp8KVCacheDataTypeE0EDF16_Li16ELi64ELi256ELb0ELi4EEvPKT_PKT0_S7_ifPKiS9_S9_iPKfiiiPfSC_PS2_PT2_iSB_SB_ ; -- Begin function _Z38paged_attention_ll4mi_QKV_mfma4_kernelIDF16_DF16_LN4vllm18Fp8KVCacheDataTypeE0EDF16_Li16ELi64ELi256ELb0ELi4EEvPKT_PKT0_S7_ifPKiS9_S9_iPKfiiiPfSC_PS2_PT2_iSB_SB_
	.globl	_Z38paged_attention_ll4mi_QKV_mfma4_kernelIDF16_DF16_LN4vllm18Fp8KVCacheDataTypeE0EDF16_Li16ELi64ELi256ELb0ELi4EEvPKT_PKT0_S7_ifPKiS9_S9_iPKfiiiPfSC_PS2_PT2_iSB_SB_
	.p2align	8
	.type	_Z38paged_attention_ll4mi_QKV_mfma4_kernelIDF16_DF16_LN4vllm18Fp8KVCacheDataTypeE0EDF16_Li16ELi64ELi256ELb0ELi4EEvPKT_PKT0_S7_ifPKiS9_S9_iPKfiiiPfSC_PS2_PT2_iSB_SB_,@function
_Z38paged_attention_ll4mi_QKV_mfma4_kernelIDF16_DF16_LN4vllm18Fp8KVCacheDataTypeE0EDF16_Li16ELi64ELi256ELb0ELi4EEvPKT_PKT0_S7_ifPKiS9_S9_iPKfiiiPfSC_PS2_PT2_iSB_SB_: ; @_Z38paged_attention_ll4mi_QKV_mfma4_kernelIDF16_DF16_LN4vllm18Fp8KVCacheDataTypeE0EDF16_Li16ELi64ELi256ELb0ELi4EEvPKT_PKT0_S7_ifPKiS9_S9_iPKfiiiPfSC_PS2_PT2_iSB_SB_
; %bb.0:
	s_load_dwordx2 s[2:3], s[4:5], 0x30
	s_mov_b32 s24, s7
	s_mov_b64 s[0:1], 0
	s_waitcnt lgkmcnt(0)
	s_cmp_lg_u64 s[2:3], 0
	s_cselect_b64 s[10:11], -1, 0
	s_and_b64 vcc, exec, s[10:11]
	s_cbranch_vccz .LBB39_18
; %bb.1:
	s_add_i32 s12, s6, 1
	s_mov_b32 s13, 0
	s_lshl_b64 s[14:15], s[12:13], 2
	s_add_u32 s14, s2, s14
	s_mov_b32 s7, s13
	s_addc_u32 s15, s3, s15
	s_lshl_b64 s[12:13], s[6:7], 2
	s_add_u32 s12, s2, s12
	s_addc_u32 s13, s3, s13
	s_load_dword s9, s[14:15], 0x0
	s_load_dword s16, s[12:13], 0x0
	s_mov_b64 s[36:37], s[6:7]
	s_waitcnt lgkmcnt(0)
	s_sub_i32 s9, s9, s16
	s_cmp_eq_u32 s9, 1
	s_cselect_b64 s[12:13], -1, 0
	s_andn2_b64 vcc, exec, s[0:1]
	s_cbranch_vccnz .LBB39_3
.LBB39_2:
	s_mov_b32 s7, 0
	s_mov_b64 s[12:13], -1
	s_mov_b64 s[36:37], s[6:7]
.LBB39_3:
	s_andn2_b64 vcc, exec, s[12:13]
	s_cbranch_vccnz .LBB39_17
; %bb.4:
	s_load_dword s7, s[4:5], 0x9c
	s_load_dwordx2 s[0:1], s[4:5], 0x28
	s_add_u32 s28, s4, 0x90
	s_addc_u32 s29, s5, 0
	s_lshl_b64 s[16:17], s[36:37], 2
	s_waitcnt lgkmcnt(0)
	s_and_b32 s7, s7, 0xffff
	s_add_u32 s0, s0, s16
	s_addc_u32 s1, s1, s17
	s_load_dword s9, s[0:1], 0x0
	s_mul_i32 s18, s24, s7
	s_waitcnt lgkmcnt(0)
	s_cmp_ge_i32 s18, s9
	s_cbranch_scc1 .LBB39_17
; %bb.5:
	v_and_b32_e32 v2, 0xc0, v0
	v_add_u32_e32 v2, s18, v2
	v_lshrrev_b32_e32 v1, 6, v0
	v_cmp_gt_i32_e64 s[0:1], s9, v2
	v_cmp_le_i32_e32 vcc, s9, v2
                                        ; implicit-def: $sgpr20
                                        ; implicit-def: $sgpr19
	s_and_saveexec_b64 s[12:13], vcc
	s_xor_b64 s[12:13], exec, s[12:13]
	s_cbranch_execz .LBB39_7
; %bb.6:
	v_mul_u32_u24_e32 v2, 20, v1
	v_or_b32_e32 v2, 0xa00, v2
	v_mov_b32_e32 v3, 0xa50
	v_mov_b32_e32 v4, 0xff7fffff
	v_mad_u32_u24 v3, v1, 20, v3
	ds_write2_b32 v2, v4, v4 offset1:1
	v_mov_b32_e32 v2, 0
	ds_write2_b32 v3, v2, v2 offset1:1
	v_mov_b32_e32 v3, 0xa08
	s_mov_b32 s19, 0xff7fffff
	s_mov_b32 s20, 0
	v_mad_u32_u24 v3, v1, 20, v3
	v_mov_b32_e32 v5, 0xa58
	v_mad_u32_u24 v5, v1, 20, v5
	ds_write2_b32 v3, v4, v4 offset1:1
	ds_write2_b32 v5, v2, v2 offset1:1
                                        ; implicit-def: $vgpr2
.LBB39_7:
	s_or_saveexec_b64 s[30:31], s[12:13]
	s_load_dwordx2 s[26:27], s[4:5], 0x68
	s_load_dwordx4 s[12:15], s[4:5], 0x58
	s_load_dword s7, s[28:29], 0x4
	v_and_b32_e32 v40, 63, v0
	v_and_b32_e32 v38, 3, v0
	v_mov_b32_e32 v37, s20
	v_mov_b32_e32 v41, s19
	;; [unrolled: 1-line block ×5, first 2 shown]
                                        ; implicit-def: $vgpr3
                                        ; implicit-def: $vgpr7
                                        ; implicit-def: $vgpr11
                                        ; implicit-def: $vgpr15
                                        ; implicit-def: $vgpr19
                                        ; implicit-def: $vgpr23
                                        ; implicit-def: $vgpr27
                                        ; implicit-def: $vgpr31
	s_xor_b64 exec, exec, s[30:31]
	s_cbranch_execz .LBB39_13
; %bb.8:
	s_add_i32 s22, s9, 15
	s_load_dwordx2 s[20:21], s[4:5], 0x20
	s_load_dword s19, s[4:5], 0x38
	s_ashr_i32 s23, s22, 31
	s_lshr_b32 s23, s23, 28
	v_add_u32_e32 v34, s18, v0
	s_add_i32 s22, s22, s23
	v_ashrrev_i32_e32 v3, 31, v34
	s_ashr_i32 s22, s22, 4
	v_lshrrev_b32_e32 v3, 28, v3
	s_add_i32 s25, s22, -1
	v_add_u32_e32 v3, v34, v3
	s_waitcnt lgkmcnt(0)
	s_mul_i32 s38, s6, s19
	s_mov_b32 s39, 0
	v_ashrrev_i32_e32 v3, 4, v3
	v_mov_b32_e32 v4, s25
	v_cmp_gt_i32_e32 vcc, s9, v34
	s_lshl_b64 s[22:23], s[38:39], 2
	v_cndmask_b32_e32 v4, v4, v3, vcc
	s_add_u32 s19, s20, s22
	v_ashrrev_i32_e32 v5, 31, v4
	s_addc_u32 s20, s21, s23
	v_lshlrev_b64 v[4:5], 2, v[4:5]
	v_mov_b32_e32 v3, s20
	v_add_co_u32_e32 v8, vcc, s19, v4
	v_addc_co_u32_e32 v9, vcc, v3, v5, vcc
	v_ashrrev_i32_e32 v3, 31, v2
	v_lshrrev_b32_e32 v3, 28, v3
	v_add_u32_e32 v2, v2, v3
	v_ashrrev_i32_e32 v4, 4, v2
	v_min_i32_e32 v2, s25, v4
	v_ashrrev_i32_e32 v3, 31, v2
	v_lshlrev_b64 v[2:3], 2, v[2:3]
	v_add_co_u32_e32 v10, vcc, s19, v2
	v_add_u32_e32 v2, 1, v4
	v_mov_b32_e32 v5, s20
	v_min_i32_e32 v2, s25, v2
	v_addc_co_u32_e32 v11, vcc, v5, v3, vcc
	v_ashrrev_i32_e32 v3, 31, v2
	v_lshlrev_b64 v[2:3], 2, v[2:3]
	v_add_co_u32_e32 v12, vcc, s19, v2
	v_add_u32_e32 v2, 2, v4
	v_min_i32_e32 v2, s25, v2
	v_addc_co_u32_e32 v13, vcc, v5, v3, vcc
	v_ashrrev_i32_e32 v3, 31, v2
	v_lshlrev_b64 v[2:3], 2, v[2:3]
	v_add_co_u32_e32 v14, vcc, s19, v2
	v_add_u32_e32 v2, 3, v4
	v_min_i32_e32 v2, s25, v2
	v_addc_co_u32_e32 v15, vcc, v5, v3, vcc
	v_ashrrev_i32_e32 v3, 31, v2
	v_lshlrev_b64 v[2:3], 2, v[2:3]
	v_mov_b32_e32 v4, s20
	v_add_co_u32_e32 v16, vcc, s19, v2
	v_addc_co_u32_e32 v17, vcc, v4, v3, vcc
	global_load_dword v6, v[8:9], off
	global_load_dword v5, v[10:11], off
	;; [unrolled: 1-line block ×5, first 2 shown]
	s_load_dwordx4 s[20:23], s[4:5], 0x0
	s_load_dwordx2 s[34:35], s[4:5], 0x10
	s_andn2_b64 vcc, exec, s[10:11]
	s_cbranch_vccnz .LBB39_10
; %bb.9:
	s_add_u32 s2, s2, s16
	s_addc_u32 s3, s3, s17
	s_load_dword s38, s[2:3], 0x0
	s_waitcnt lgkmcnt(0)
	s_mov_b64 s[36:37], s[38:39]
.LBB39_10:
	s_load_dwordx4 s[16:19], s[4:5], 0x48
	v_lshrrev_b32_e32 v7, 2, v40
	v_lshlrev_b32_e32 v8, 3, v38
	v_add_lshl_u32 v7, v8, v7, 4
	v_mov_b32_e32 v51, 0
	s_waitcnt lgkmcnt(0)
	s_ashr_i32 s3, s16, 31
	s_mul_hi_u32 s10, s36, s16
	s_mul_i32 s3, s36, s3
	s_mul_i32 s11, s37, s16
	s_add_i32 s3, s10, s3
	s_mul_i32 s2, s36, s16
	s_add_i32 s3, s3, s11
	s_lshl_b64 s[2:3], s[2:3], 1
	s_add_u32 s10, s20, s2
	s_addc_u32 s11, s21, s3
	s_lshl_b32 s38, s8, 8
	s_lshl_b64 s[2:3], s[38:39], 1
	s_add_u32 s2, s10, s2
	s_addc_u32 s3, s11, s3
	global_load_dwordx4 v[42:45], v7, s[2:3]
	s_waitcnt vmcnt(5)
	v_mad_i64_i32 v[6:7], s[2:3], v6, s17, 0
	s_mul_i32 s38, s8, s18
	s_lshl_b64 s[2:3], s[38:39], 1
	s_add_u32 s10, s2, s22
	v_lshlrev_b64 v[6:7], 1, v[6:7]
	s_addc_u32 s11, s3, s23
	v_mov_b32_e32 v8, s11
	v_add_co_u32_e32 v6, vcc, s10, v6
	v_addc_co_u32_e32 v7, vcc, v8, v7, vcc
	v_and_b32_e32 v8, 15, v0
	v_lshlrev_b32_e32 v8, 4, v8
	v_add_co_u32_e32 v36, vcc, v6, v8
	v_addc_co_u32_e32 v37, vcc, 0, v7, vcc
	global_load_dwordx4 v[6:9], v[36:37], off
	global_load_dwordx4 v[10:13], v[36:37], off offset:256
	global_load_dwordx4 v[14:17], v[36:37], off offset:512
	;; [unrolled: 1-line block ×7, first 2 shown]
	s_waitcnt vmcnt(12)
	v_mul_hi_i32 v36, v5, s17
	v_cmp_eq_u32_e32 vcc, 0, v38
	s_waitcnt vmcnt(10)
	v_mul_hi_i32 v50, v3, s17
	v_ashrrev_i32_e32 v36, 31, v36
	v_cndmask_b32_e64 v39, 0, 1.0, vcc
	v_cmp_eq_u32_e32 vcc, 1, v38
	v_mul_hi_i32 v37, v4, s17
	v_ashrrev_i32_e32 v55, 31, v50
	v_lshrrev_b32_e32 v50, 29, v36
	s_add_u32 s2, s34, s2
	v_lshlrev_b32_e32 v35, 5, v40
	v_cndmask_b32_e64 v41, 0, 1.0, vcc
	v_cmp_eq_u32_e32 vcc, 2, v38
	v_ashrrev_i32_e32 v53, 31, v37
	v_mad_i64_i32 v[36:37], s[10:11], v5, s17, v[50:51]
	s_addc_u32 s3, s35, s3
	v_cndmask_b32_e64 v54, 0, 1.0, vcc
	v_lshrrev_b32_e32 v50, 29, v53
	v_lshlrev_b64 v[36:37], 1, v[36:37]
	v_mad_i64_i32 v[4:5], s[10:11], v4, s17, v[50:51]
	v_and_b32_e32 v36, -16, v36
	s_waitcnt vmcnt(9)
	v_mul_hi_i32 v52, v2, s17
	v_lshrrev_b32_e32 v50, 29, v55
	v_lshlrev_b64 v[4:5], 1, v[4:5]
	v_ashrrev_i32_e32 v56, 31, v52
	v_mad_i64_i32 v[52:53], s[10:11], v3, s17, v[50:51]
	v_and_b32_e32 v4, -16, v4
	v_lshrrev_b32_e32 v50, 29, v56
	v_lshlrev_b64 v[52:53], 1, v[52:53]
	v_mad_i64_i32 v[2:3], s[10:11], v2, s17, v[50:51]
	v_and_b32_e32 v50, -16, v52
	v_lshlrev_b64 v[2:3], 1, v[2:3]
	v_and_b32_e32 v2, -16, v2
	s_load_dword s4, s[4:5], 0x1c
	s_waitcnt vmcnt(7)
	v_mfma_f32_4x4x4f16 a[0:3], v[42:43], v[6:7], 0 cbsz:4
	v_mov_b32_e32 v6, s3
	v_mfma_f32_4x4x4f16 a[0:3], v[44:45], v[8:9], a[0:3] cbsz:4
	v_add_co_u32_e32 v7, vcc, s2, v35
	s_waitcnt vmcnt(6)
	v_mfma_f32_4x4x4f16 a[0:3], v[42:43], v[10:11], a[0:3] cbsz:4 abid:1
	v_addc_co_u32_e32 v6, vcc, 0, v6, vcc
	v_mfma_f32_4x4x4f16 a[0:3], v[44:45], v[12:13], a[0:3] cbsz:4 abid:1
	v_add_co_u32_e32 v10, vcc, v7, v36
	s_waitcnt vmcnt(5)
	v_mfma_f32_4x4x4f16 a[0:3], v[42:43], v[14:15], a[0:3] cbsz:4 abid:2
	v_addc_co_u32_e32 v11, vcc, v6, v37, vcc
	v_mfma_f32_4x4x4f16 a[0:3], v[44:45], v[16:17], a[0:3] cbsz:4 abid:2
	s_waitcnt vmcnt(4)
	v_mfma_f32_4x4x4f16 a[0:3], v[42:43], v[18:19], a[0:3] cbsz:4 abid:3
	v_add_co_u32_e32 v18, vcc, v7, v4
	v_mfma_f32_4x4x4f16 a[0:3], v[44:45], v[20:21], a[0:3] cbsz:4 abid:3
	v_addc_co_u32_e32 v19, vcc, v6, v5, vcc
	s_waitcnt vmcnt(3)
	v_mfma_f32_4x4x4f16 a[0:3], v[42:43], v[22:23], a[0:3] cbsz:4 abid:4
	v_add_co_u32_e32 v36, vcc, v7, v50
	v_mfma_f32_4x4x4f16 a[0:3], v[44:45], v[24:25], a[0:3] cbsz:4 abid:4
	v_addc_co_u32_e32 v37, vcc, v6, v53, vcc
	;; [unrolled: 5-line block ×3, first 2 shown]
	s_waitcnt vmcnt(1)
	v_mfma_f32_4x4x4f16 a[0:3], v[42:43], v[30:31], a[0:3] cbsz:4 abid:6
	global_load_dwordx4 v[2:5], v[10:11], off
	global_load_dwordx4 v[6:9], v[10:11], off offset:16
	s_nop 0
	global_load_dwordx4 v[10:13], v[18:19], off
	global_load_dwordx4 v[14:17], v[18:19], off offset:16
	s_nop 0
	global_load_dwordx4 v[18:21], v[36:37], off
	global_load_dwordx4 v[22:25], v[36:37], off offset:16
	v_mfma_f32_4x4x4f16 a[0:3], v[44:45], v[32:33], a[0:3] cbsz:4 abid:6
	global_load_dwordx4 v[26:29], v[50:51], off
	global_load_dwordx4 v[30:33], v[50:51], off offset:16
	s_waitcnt vmcnt(8)
	v_mfma_f32_4x4x4f16 a[0:3], v[42:43], v[46:47], a[0:3] cbsz:4 abid:7
	v_cmp_eq_u32_e32 vcc, 3, v38
	v_mfma_f32_4x4x4f16 a[0:3], v[44:45], v[48:49], a[0:3] cbsz:4 abid:7
	v_cndmask_b32_e64 v35, 0, 1.0, vcc
	v_and_b32_e32 v46, -4, v34
	v_cmp_gt_i32_e32 vcc, s9, v46
	v_or_b32_e32 v34, 3, v34
	v_cmp_gt_i32_e64 s[10:11], s9, v34
	v_accvgpr_read_b32 v37, a1
	v_accvgpr_read_b32 v36, a0
	s_waitcnt lgkmcnt(0)
	v_pk_mul_f32 v[36:37], s[4:5], v[36:37] op_sel_hi:[0,1]
	v_accvgpr_read_b32 v43, a3
	v_accvgpr_read_b32 v42, a2
	v_pk_mul_f32 v[42:43], s[4:5], v[42:43] op_sel_hi:[0,1]
	v_mfma_f32_4x4x1f32 a[0:3], v36, v39, 0
	v_mov_b32_e32 v36, 0xff7fffff
	v_mfma_f32_4x4x1f32 a[0:3], v37, v41, a[0:3]
	v_or_b32_e32 v39, 1, v46
	v_mfma_f32_4x4x1f32 a[0:3], v42, v54, a[0:3]
	v_cmp_gt_i32_e64 s[2:3], s9, v39
	v_mfma_f32_4x4x1f32 a[0:3], v43, v35, a[0:3]
	v_or_b32_e32 v39, 2, v46
	v_cmp_gt_i32_e64 s[4:5], s9, v39
	v_lshlrev_b32_e32 v44, 2, v0
	v_and_or_b32 v37, v44, 48, v38
	v_lshlrev_b32_e32 v44, 2, v37
	v_accvgpr_read_b32 v35, a0
	v_max_f32_e32 v41, v35, v35
	v_max_f32_e32 v41, 0xff7fffff, v41
	v_accvgpr_read_b32 v42, a1
	v_cndmask_b32_e32 v36, v36, v41, vcc
	v_max_f32_e32 v41, v42, v42
	v_max_f32_e32 v41, v36, v41
	v_accvgpr_read_b32 v43, a2
	v_cndmask_b32_e64 v36, v36, v41, s[2:3]
	v_max_f32_e32 v41, v43, v43
	v_max_f32_e32 v41, v36, v41
	v_accvgpr_read_b32 v39, a3
	v_cndmask_b32_e64 v36, v36, v41, s[4:5]
	v_max_f32_e32 v41, v39, v39
	v_max_f32_e32 v41, v36, v41
	v_cndmask_b32_e64 v34, v36, v41, s[10:11]
	;;#ASMSTART
	v_nop
 v_nop
 v_max_f32_dpp v34, v34, v34 row_ror:4
	;;#ASMEND
	;;#ASMSTART
	v_nop
 v_nop
 v_max_f32_dpp v34, v34, v34 row_ror:8
	;;#ASMEND
	ds_bpermute_b32 v34, v44, v34
	s_waitcnt lgkmcnt(0)
	;;#ASMSTART
	v_nop
 v_nop
 v_max_f32_dpp v34, v34, v34 row_ror:4
	;;#ASMEND
	;;#ASMSTART
	v_nop
 v_nop
 v_max_f32_dpp v41, v34, v34 row_ror:8
	;;#ASMEND
	v_sub_f32_e32 v34, v35, v41
	v_mul_f32_e32 v34, 0x3fb8aa3b, v34
	v_sub_f32_e32 v35, v42, v41
	v_exp_f32_e32 v34, v34
	v_mul_f32_e32 v35, 0x3fb8aa3b, v35
	v_sub_f32_e32 v37, v43, v41
	v_exp_f32_e32 v35, v35
	;; [unrolled: 3-line block ×3, first 2 shown]
	v_mul_f32_e32 v39, 0x3fb8aa3b, v39
	v_exp_f32_e32 v39, v39
	v_cndmask_b32_e32 v34, 0, v34, vcc
	v_add_f32_e32 v36, 0, v34
	v_cndmask_b32_e64 v35, 0, v35, s[2:3]
	v_add_f32_e32 v42, v36, v35
	v_cndmask_b32_e64 v36, 0, v37, s[4:5]
	;; [unrolled: 2-line block ×3, first 2 shown]
	v_add_f32_e32 v39, v42, v37
	;;#ASMSTART
	v_nop
 v_nop
 v_add_f32_dpp v39, v39, v39 row_ror:4
	;;#ASMEND
	;;#ASMSTART
	v_nop
 v_nop
 v_add_f32_dpp v39, v39, v39 row_ror:8
	;;#ASMEND
	ds_bpermute_b32 v39, v44, v39
	s_waitcnt lgkmcnt(0)
	;;#ASMSTART
	v_nop
 v_nop
 v_add_f32_dpp v39, v39, v39 row_ror:4
	;;#ASMEND
	v_cmp_gt_u32_e32 vcc, 4, v40
	;;#ASMSTART
	v_nop
 v_nop
 v_add_f32_dpp v39, v39, v39 row_ror:8
	;;#ASMEND
	s_and_saveexec_b64 s[2:3], vcc
	s_cbranch_execz .LBB39_12
; %bb.11:
	v_mul_u32_u24_e32 v42, 20, v1
	v_lshl_add_u32 v42, v38, 2, v42
	v_add_u32_e32 v42, 0x800, v42
	ds_write2_b32 v42, v41, v39 offset0:128 offset1:148
.LBB39_12:
	s_or_b64 exec, exec, s[2:3]
.LBB39_13:
	s_or_b64 exec, exec, s[30:31]
	v_lshlrev_b32_e32 v39, 2, v38
	v_add_u32_e32 v39, 0x800, v39
	s_waitcnt lgkmcnt(0)
	s_barrier
	s_load_dword s2, s[28:29], 0x8
	ds_read2_b32 v[44:45], v39 offset0:128 offset1:133
	ds_read2_b32 v[46:47], v39 offset0:138 offset1:143
	s_mov_b32 s9, 0xff7fffff
	s_mul_i32 s3, s6, s7
	ds_read2_b32 v[48:49], v39 offset0:148 offset1:153
	s_waitcnt lgkmcnt(0)
	v_max3_f32 v42, v44, s9, v45
	v_max3_f32 v42, v42, v46, v47
	v_sub_f32_e32 v43, v44, v42
	v_sub_f32_e32 v44, v45, v42
	s_mul_i32 s3, s3, s2
	v_mul_f32_e32 v43, 0x3fb8aa3b, v43
	v_mul_f32_e32 v44, 0x3fb8aa3b, v44
	s_lshl_b32 s2, s3, 2
	s_mov_b32 s3, 0
	v_exp_f32_e32 v43, v43
	v_exp_f32_e32 v50, v44
	ds_read2_b32 v[44:45], v39 offset0:158 offset1:163
	v_sub_f32_e32 v39, v46, v42
	s_lshl_b32 s8, s8, 2
	s_lshl_b64 s[4:5], s[2:3], 2
	v_mul_f32_e32 v39, 0x3fb8aa3b, v39
	v_sub_f32_e32 v46, v47, v42
	s_mov_b32 s25, s3
	s_add_u32 s3, s12, s4
	v_exp_f32_e32 v39, v39
	v_mul_f32_e32 v46, 0x3fb8aa3b, v46
	s_addc_u32 s6, s13, s5
	v_exp_f32_e32 v46, v46
	s_add_u32 s9, s14, s4
	v_fma_f32 v43, v43, v48, 0
	s_addc_u32 s10, s15, s5
	s_lshl_b64 s[4:5], s[24:25], 2
	v_fmac_f32_e32 v43, v50, v49
	v_or_b32_e32 v38, s8, v38
	s_add_u32 s9, s9, s4
	s_waitcnt lgkmcnt(0)
	v_fmac_f32_e32 v43, v39, v44
	v_mul_lo_u32 v38, s7, v38
	v_mov_b32_e32 v39, 0
	s_addc_u32 s10, s10, s5
	v_fmac_f32_e32 v43, v46, v45
	v_lshlrev_b64 v[44:45], 2, v[38:39]
	s_add_u32 s3, s3, s4
	v_mov_b32_e32 v38, s10
	v_add_co_u32_e32 v46, vcc, s9, v44
	s_addc_u32 s4, s6, s5
	v_addc_co_u32_e32 v47, vcc, v38, v45, vcc
	v_mov_b32_e32 v38, s4
	v_add_co_u32_e32 v44, vcc, s3, v44
	v_addc_co_u32_e32 v45, vcc, v38, v45, vcc
	v_mov_b32_e32 v38, v39
	global_store_dword v[46:47], v42, off
	global_store_dword v[44:45], v43, off
	s_and_saveexec_b64 s[4:5], s[0:1]
	s_cbranch_execz .LBB39_15
; %bb.14:
	v_add_f32_e32 v38, 0x358637bd, v43
	v_div_scale_f32 v39, s[0:1], v38, v38, 1.0
	v_rcp_f32_e32 v43, v39
	v_div_scale_f32 v44, vcc, 1.0, v38, 1.0
	v_sub_f32_e32 v41, v41, v42
	v_fma_f32 v45, -v39, v43, 1.0
	v_fmac_f32_e32 v43, v45, v43
	v_mul_f32_e32 v45, v44, v43
	v_fma_f32 v46, -v39, v45, v44
	v_mul_f32_e32 v41, 0x3fb8aa3b, v41
	v_fmac_f32_e32 v45, v46, v43
	v_exp_f32_e32 v41, v41
	v_fma_f32 v39, -v39, v45, v44
	v_div_fmas_f32 v39, v39, v43, v45
	v_div_fixup_f32 v38, v39, v38, 1.0
	v_mul_f32_e32 v38, v41, v38
	v_pk_mul_f32 v[36:37], v[36:37], v[38:39] op_sel_hi:[1,0]
	v_pk_mul_f32 v[34:35], v[34:35], v[38:39] op_sel_hi:[1,0]
	v_cvt_f16_f32_e32 v34, v34
	v_cvt_f16_f32_e32 v35, v35
	;; [unrolled: 1-line block ×4, first 2 shown]
	s_mov_b32 s0, 0x5040100
	v_pack_b32_f16 v34, v34, v35
	v_pack_b32_f16 v35, v36, v37
	s_waitcnt vmcnt(9)
	s_nop 0
	v_mfma_f32_4x4x4f16 a[0:3], v[34:35], v[2:3], 0 cbsz:4
	v_mfma_f32_4x4x4f16 a[0:3], v[34:35], v[4:5], a[0:3] cbsz:4 abid:1
	s_waitcnt vmcnt(8)
	v_mfma_f32_4x4x4f16 a[0:3], v[34:35], v[6:7], a[0:3] cbsz:4 abid:2
	v_mfma_f32_4x4x4f16 a[0:3], v[34:35], v[8:9], a[0:3] cbsz:4 abid:3
	s_waitcnt vmcnt(7)
	v_mfma_f32_4x4x4f16 a[0:3], v[34:35], v[10:11], a[0:3] cbsz:4 abid:4
	;; [unrolled: 3-line block ×7, first 2 shown]
	v_mfma_f32_4x4x4f16 a[0:3], v[34:35], v[32:33], a[0:3] cbsz:4 abid:15
	s_nop 4
	v_accvgpr_read_b32 v2, a0
	v_accvgpr_read_b32 v3, a1
	;; [unrolled: 1-line block ×4, first 2 shown]
	v_cvt_f16_f32_e32 v2, v2
	v_cvt_f16_f32_e32 v3, v3
	;; [unrolled: 1-line block ×4, first 2 shown]
	v_perm_b32 v38, v3, v2, s0
	v_perm_b32 v39, v5, v4, s0
.LBB39_15:
	s_or_b64 exec, exec, s[4:5]
	v_lshlrev_b32_e32 v1, 3, v1
	v_mad_u32_u24 v1, v40, 40, v1
	v_cmp_gt_u32_e32 vcc, 64, v0
	ds_write_b64 v1, v[38:39]
	s_waitcnt lgkmcnt(0)
	s_barrier
	s_and_saveexec_b64 s[0:1], vcc
	s_cbranch_execz .LBB39_17
; %bb.16:
	v_mul_u32_u24_e32 v1, 40, v40
	s_waitcnt vmcnt(9)
	ds_read2_b64 v[2:5], v1 offset1:1
	s_waitcnt vmcnt(8)
	ds_read2_b64 v[6:9], v1 offset0:2 offset1:3
	s_mov_b32 s1, 0
	s_lshl_b32 s0, s2, 6
	s_lshl_b64 s[2:3], s[0:1], 1
	s_add_u32 s2, s26, s2
	s_addc_u32 s3, s27, s3
	s_lshl_b32 s0, s24, 6
	s_lshl_b64 s[0:1], s[0:1], 1
	s_waitcnt lgkmcnt(1)
	v_pk_add_f16 v1, v2, 0
	v_pk_add_f16 v2, v3, 0
	s_add_u32 s0, s2, s0
	v_pk_add_f16 v2, v2, v5
	s_addc_u32 s1, s3, s1
	s_lshl_b32 s2, s7, 6
	v_pk_add_f16 v1, v1, v4
	s_waitcnt lgkmcnt(0)
	v_pk_add_f16 v2, v2, v7
	s_mul_i32 s3, s2, s8
	v_pk_add_f16 v1, v1, v6
	v_pk_add_f16 v6, v2, v9
	v_or_b32_e32 v2, s3, v0
	v_mov_b32_e32 v3, 0
	v_lshlrev_b64 v[4:5], 1, v[2:3]
	v_mov_b32_e32 v2, s1
	v_add_co_u32_e32 v4, vcc, s0, v4
	s_add_i32 s3, s3, s2
	v_pk_add_f16 v1, v1, v8
	v_addc_co_u32_e32 v5, vcc, v2, v5, vcc
	v_or_b32_e32 v2, s3, v0
	global_store_short v[4:5], v1, off
	v_lshlrev_b64 v[4:5], 1, v[2:3]
	v_mov_b32_e32 v2, s1
	v_add_co_u32_e32 v4, vcc, s0, v4
	s_add_i32 s3, s3, s2
	v_addc_co_u32_e32 v5, vcc, v2, v5, vcc
	v_or_b32_e32 v2, s3, v0
	global_store_short_d16_hi v[4:5], v1, off
	v_lshlrev_b64 v[4:5], 1, v[2:3]
	s_add_i32 s3, s3, s2
	v_mov_b32_e32 v1, s1
	v_add_co_u32_e32 v4, vcc, s0, v4
	v_or_b32_e32 v2, s3, v0
	v_addc_co_u32_e32 v5, vcc, v1, v5, vcc
	v_lshlrev_b64 v[0:1], 1, v[2:3]
	v_mov_b32_e32 v2, s1
	v_add_co_u32_e32 v0, vcc, s0, v0
	v_addc_co_u32_e32 v1, vcc, v2, v1, vcc
	global_store_short v[4:5], v6, off
	global_store_short_d16_hi v[0:1], v6, off
.LBB39_17:
	s_endpgm
.LBB39_18:
	s_mov_b64 s[12:13], 0
                                        ; implicit-def: $sgpr36_sgpr37
	s_branch .LBB39_2
	.section	.rodata,"a",@progbits
	.p2align	6, 0x0
	.amdhsa_kernel _Z38paged_attention_ll4mi_QKV_mfma4_kernelIDF16_DF16_LN4vllm18Fp8KVCacheDataTypeE0EDF16_Li16ELi64ELi256ELb0ELi4EEvPKT_PKT0_S7_ifPKiS9_S9_iPKfiiiPfSC_PS2_PT2_iSB_SB_
		.amdhsa_group_segment_fixed_size 2720
		.amdhsa_private_segment_fixed_size 0
		.amdhsa_kernarg_size 400
		.amdhsa_user_sgpr_count 6
		.amdhsa_user_sgpr_private_segment_buffer 1
		.amdhsa_user_sgpr_dispatch_ptr 0
		.amdhsa_user_sgpr_queue_ptr 0
		.amdhsa_user_sgpr_kernarg_segment_ptr 1
		.amdhsa_user_sgpr_dispatch_id 0
		.amdhsa_user_sgpr_flat_scratch_init 0
		.amdhsa_user_sgpr_kernarg_preload_length 0
		.amdhsa_user_sgpr_kernarg_preload_offset 0
		.amdhsa_user_sgpr_private_segment_size 0
		.amdhsa_uses_dynamic_stack 0
		.amdhsa_system_sgpr_private_segment_wavefront_offset 0
		.amdhsa_system_sgpr_workgroup_id_x 1
		.amdhsa_system_sgpr_workgroup_id_y 1
		.amdhsa_system_sgpr_workgroup_id_z 1
		.amdhsa_system_sgpr_workgroup_info 0
		.amdhsa_system_vgpr_workitem_id 0
		.amdhsa_next_free_vgpr 64
		.amdhsa_next_free_sgpr 40
		.amdhsa_accum_offset 60
		.amdhsa_reserve_vcc 1
		.amdhsa_reserve_flat_scratch 0
		.amdhsa_float_round_mode_32 0
		.amdhsa_float_round_mode_16_64 0
		.amdhsa_float_denorm_mode_32 3
		.amdhsa_float_denorm_mode_16_64 3
		.amdhsa_dx10_clamp 1
		.amdhsa_ieee_mode 1
		.amdhsa_fp16_overflow 0
		.amdhsa_tg_split 0
		.amdhsa_exception_fp_ieee_invalid_op 0
		.amdhsa_exception_fp_denorm_src 0
		.amdhsa_exception_fp_ieee_div_zero 0
		.amdhsa_exception_fp_ieee_overflow 0
		.amdhsa_exception_fp_ieee_underflow 0
		.amdhsa_exception_fp_ieee_inexact 0
		.amdhsa_exception_int_div_zero 0
	.end_amdhsa_kernel
	.section	.text._Z38paged_attention_ll4mi_QKV_mfma4_kernelIDF16_DF16_LN4vllm18Fp8KVCacheDataTypeE0EDF16_Li16ELi64ELi256ELb0ELi4EEvPKT_PKT0_S7_ifPKiS9_S9_iPKfiiiPfSC_PS2_PT2_iSB_SB_,"axG",@progbits,_Z38paged_attention_ll4mi_QKV_mfma4_kernelIDF16_DF16_LN4vllm18Fp8KVCacheDataTypeE0EDF16_Li16ELi64ELi256ELb0ELi4EEvPKT_PKT0_S7_ifPKiS9_S9_iPKfiiiPfSC_PS2_PT2_iSB_SB_,comdat
.Lfunc_end39:
	.size	_Z38paged_attention_ll4mi_QKV_mfma4_kernelIDF16_DF16_LN4vllm18Fp8KVCacheDataTypeE0EDF16_Li16ELi64ELi256ELb0ELi4EEvPKT_PKT0_S7_ifPKiS9_S9_iPKfiiiPfSC_PS2_PT2_iSB_SB_, .Lfunc_end39-_Z38paged_attention_ll4mi_QKV_mfma4_kernelIDF16_DF16_LN4vllm18Fp8KVCacheDataTypeE0EDF16_Li16ELi64ELi256ELb0ELi4EEvPKT_PKT0_S7_ifPKiS9_S9_iPKfiiiPfSC_PS2_PT2_iSB_SB_
                                        ; -- End function
	.section	.AMDGPU.csdata,"",@progbits
; Kernel info:
; codeLenInByte = 3164
; NumSgprs: 44
; NumVgprs: 57
; NumAgprs: 4
; TotalNumVgprs: 64
; ScratchSize: 0
; MemoryBound: 0
; FloatMode: 240
; IeeeMode: 1
; LDSByteSize: 2720 bytes/workgroup (compile time only)
; SGPRBlocks: 5
; VGPRBlocks: 7
; NumSGPRsForWavesPerEU: 44
; NumVGPRsForWavesPerEU: 64
; AccumOffset: 60
; Occupancy: 8
; WaveLimiterHint : 1
; COMPUTE_PGM_RSRC2:SCRATCH_EN: 0
; COMPUTE_PGM_RSRC2:USER_SGPR: 6
; COMPUTE_PGM_RSRC2:TRAP_HANDLER: 0
; COMPUTE_PGM_RSRC2:TGID_X_EN: 1
; COMPUTE_PGM_RSRC2:TGID_Y_EN: 1
; COMPUTE_PGM_RSRC2:TGID_Z_EN: 1
; COMPUTE_PGM_RSRC2:TIDIG_COMP_CNT: 0
; COMPUTE_PGM_RSRC3_GFX90A:ACCUM_OFFSET: 14
; COMPUTE_PGM_RSRC3_GFX90A:TG_SPLIT: 0
	.section	.text._Z39paged_attention_ll4mi_QKV_mfma16_kernelIDF16_DF16_LN4vllm18Fp8KVCacheDataTypeE0EDF16_Li16ELi64ELi256ELb0ELi5EL8MFMAType0EEvPKT_PKT0_S8_ifPKiSA_SA_iPKfiiiPfSD_PS3_PT2_iSC_SC_,"axG",@progbits,_Z39paged_attention_ll4mi_QKV_mfma16_kernelIDF16_DF16_LN4vllm18Fp8KVCacheDataTypeE0EDF16_Li16ELi64ELi256ELb0ELi5EL8MFMAType0EEvPKT_PKT0_S8_ifPKiSA_SA_iPKfiiiPfSD_PS3_PT2_iSC_SC_,comdat
	.protected	_Z39paged_attention_ll4mi_QKV_mfma16_kernelIDF16_DF16_LN4vllm18Fp8KVCacheDataTypeE0EDF16_Li16ELi64ELi256ELb0ELi5EL8MFMAType0EEvPKT_PKT0_S8_ifPKiSA_SA_iPKfiiiPfSD_PS3_PT2_iSC_SC_ ; -- Begin function _Z39paged_attention_ll4mi_QKV_mfma16_kernelIDF16_DF16_LN4vllm18Fp8KVCacheDataTypeE0EDF16_Li16ELi64ELi256ELb0ELi5EL8MFMAType0EEvPKT_PKT0_S8_ifPKiSA_SA_iPKfiiiPfSD_PS3_PT2_iSC_SC_
	.globl	_Z39paged_attention_ll4mi_QKV_mfma16_kernelIDF16_DF16_LN4vllm18Fp8KVCacheDataTypeE0EDF16_Li16ELi64ELi256ELb0ELi5EL8MFMAType0EEvPKT_PKT0_S8_ifPKiSA_SA_iPKfiiiPfSD_PS3_PT2_iSC_SC_
	.p2align	8
	.type	_Z39paged_attention_ll4mi_QKV_mfma16_kernelIDF16_DF16_LN4vllm18Fp8KVCacheDataTypeE0EDF16_Li16ELi64ELi256ELb0ELi5EL8MFMAType0EEvPKT_PKT0_S8_ifPKiSA_SA_iPKfiiiPfSD_PS3_PT2_iSC_SC_,@function
_Z39paged_attention_ll4mi_QKV_mfma16_kernelIDF16_DF16_LN4vllm18Fp8KVCacheDataTypeE0EDF16_Li16ELi64ELi256ELb0ELi5EL8MFMAType0EEvPKT_PKT0_S8_ifPKiSA_SA_iPKfiiiPfSD_PS3_PT2_iSC_SC_: ; @_Z39paged_attention_ll4mi_QKV_mfma16_kernelIDF16_DF16_LN4vllm18Fp8KVCacheDataTypeE0EDF16_Li16ELi64ELi256ELb0ELi5EL8MFMAType0EEvPKT_PKT0_S8_ifPKiSA_SA_iPKfiiiPfSD_PS3_PT2_iSC_SC_
; %bb.0:
	s_load_dwordx2 s[0:1], s[4:5], 0x30
	s_mov_b32 s28, s7
	s_mov_b64 s[10:11], 0
	s_waitcnt lgkmcnt(0)
	s_cmp_lg_u64 s[0:1], 0
	s_cselect_b64 s[2:3], -1, 0
	s_and_b64 vcc, exec, s[2:3]
	s_cbranch_vccz .LBB40_7
; %bb.1:
	s_add_i32 s12, s6, 1
	s_mov_b32 s13, 0
	s_lshl_b64 s[14:15], s[12:13], 2
	s_add_u32 s14, s0, s14
	s_mov_b32 s7, s13
	s_addc_u32 s15, s1, s15
	s_lshl_b64 s[12:13], s[6:7], 2
	s_add_u32 s12, s0, s12
	s_addc_u32 s13, s1, s13
	s_load_dword s9, s[14:15], 0x0
	s_load_dword s16, s[12:13], 0x0
	s_waitcnt lgkmcnt(0)
	s_sub_i32 s9, s9, s16
	s_cmp_eq_u32 s9, 1
	s_cselect_b64 s[12:13], -1, 0
	s_andn2_b64 vcc, exec, s[10:11]
	s_cbranch_vccnz .LBB40_3
.LBB40_2:
	s_mov_b32 s7, 0
	s_mov_b64 s[12:13], -1
.LBB40_3:
	s_andn2_b64 vcc, exec, s[12:13]
	s_cbranch_vccnz .LBB40_18
; %bb.4:
	s_load_dwordx2 s[12:13], s[4:5], 0x28
	s_lshl_b64 s[10:11], s[6:7], 2
	s_waitcnt lgkmcnt(0)
	s_add_u32 s12, s12, s10
	s_addc_u32 s13, s13, s11
	s_load_dword s40, s[12:13], 0x0
	s_lshl_b32 s16, s28, 8
	s_waitcnt lgkmcnt(0)
	s_cmp_ge_i32 s16, s40
	s_cbranch_scc1 .LBB40_18
; %bb.5:
	s_add_i32 s14, s40, 15
	s_load_dwordx2 s[12:13], s[4:5], 0x20
	s_load_dword s9, s[4:5], 0x38
	s_ashr_i32 s15, s14, 31
	v_and_b32_e32 v1, 0xcf, v0
	s_lshr_b32 s15, s15, 28
	v_add_u32_e32 v1, s16, v1
	s_add_i32 s14, s14, s15
	v_ashrrev_i32_e32 v2, 31, v1
	s_ashr_i32 s19, s14, 4
	v_lshrrev_b32_e32 v10, 28, v2
	s_add_i32 s19, s19, -1
	v_add_u32_e32 v2, v1, v10
	s_waitcnt lgkmcnt(0)
	s_mul_i32 s14, s6, s9
	s_mov_b32 s15, 0
	v_ashrrev_i32_e32 v2, 4, v2
	v_mov_b32_e32 v11, s19
	v_cmp_gt_i32_e32 vcc, s40, v1
	s_lshl_b64 s[14:15], s[14:15], 2
	v_cndmask_b32_e32 v2, v11, v2, vcc
	s_add_u32 s17, s12, s14
	v_ashrrev_i32_e32 v3, 31, v2
	s_addc_u32 s18, s13, s15
	v_lshlrev_b64 v[2:3], 2, v[2:3]
	v_mov_b32_e32 v5, s18
	v_add_co_u32_e32 v4, vcc, s17, v2
	v_or_b32_e32 v2, 16, v1
	v_addc_co_u32_e32 v5, vcc, v5, v3, vcc
	v_add_u32_e32 v3, v2, v10
	v_ashrrev_i32_e32 v3, 4, v3
	v_cmp_gt_i32_e32 vcc, s40, v2
	v_cndmask_b32_e32 v2, v11, v3, vcc
	v_ashrrev_i32_e32 v3, 31, v2
	v_lshlrev_b64 v[2:3], 2, v[2:3]
	v_mov_b32_e32 v7, s18
	v_add_co_u32_e32 v6, vcc, s17, v2
	v_or_b32_e32 v2, 32, v1
	v_addc_co_u32_e32 v7, vcc, v7, v3, vcc
	v_add_u32_e32 v3, v2, v10
	v_ashrrev_i32_e32 v3, 4, v3
	v_cmp_gt_i32_e32 vcc, s40, v2
	v_cndmask_b32_e32 v2, v11, v3, vcc
	v_ashrrev_i32_e32 v3, 31, v2
	;; [unrolled: 10-line block ×3, first 2 shown]
	v_lshlrev_b64 v[2:3], 2, v[2:3]
	v_mov_b32_e32 v1, s18
	v_add_co_u32_e32 v10, vcc, s17, v2
	v_addc_co_u32_e32 v11, vcc, v1, v3, vcc
	global_load_dword v3, v[4:5], off
	global_load_dword v2, v[6:7], off
	;; [unrolled: 1-line block ×4, first 2 shown]
	s_load_dwordx4 s[12:15], s[4:5], 0x8
	s_andn2_b64 vcc, exec, s[2:3]
	s_cbranch_vccnz .LBB40_8
; %bb.6:
	s_add_u32 s0, s0, s10
	s_addc_u32 s1, s1, s11
	s_load_dword s9, s[0:1], 0x0
	s_branch .LBB40_9
.LBB40_7:
	s_mov_b64 s[12:13], 0
	s_branch .LBB40_2
.LBB40_8:
	s_mov_b32 s9, s6
.LBB40_9:
	s_load_dwordx4 s[44:47], s[4:5], 0x48
	v_lshrrev_b32_e32 v53, 6, v0
	v_bfe_u32 v1, v0, 4, 2
	v_lshl_or_b32 v4, v53, 2, v1
	v_and_b32_e32 v52, 15, v0
	v_lshlrev_b32_e32 v5, 3, v52
	v_cmp_gt_u32_e32 vcc, 5, v4
	v_cmp_gt_u32_e64 s[0:1], 8, v52
	v_and_b32_e32 v54, 63, v0
	s_mul_i32 s29, s8, 5
	s_and_b64 s[10:11], s[0:1], vcc
	v_lshlrev_b32_e32 v50, 1, v5
	s_and_saveexec_b64 s[2:3], s[10:11]
	s_cbranch_execz .LBB40_11
; %bb.10:
	s_load_dwordx2 s[10:11], s[4:5], 0x0
	s_waitcnt lgkmcnt(0)
	s_ashr_i32 s20, s44, 31
	s_mul_hi_u32 s21, s9, s44
	s_mul_i32 s20, s9, s20
	s_add_i32 s21, s21, s20
	s_mul_i32 s20, s9, s44
	s_lshl_b64 s[20:21], s[20:21], 1
	v_add_lshl_u32 v6, v4, s29, 6
	s_add_u32 s9, s10, s20
	v_ashrrev_i32_e32 v7, 31, v6
	s_addc_u32 s10, s11, s21
	v_lshlrev_b64 v[6:7], 1, v[6:7]
	v_mov_b32_e32 v5, s10
	v_add_co_u32_e32 v6, vcc, s9, v6
	v_addc_co_u32_e32 v5, vcc, v5, v7, vcc
	v_add_co_u32_e32 v6, vcc, v6, v50
	v_addc_co_u32_e32 v7, vcc, 0, v5, vcc
	global_load_dwordx4 v[6:9], v[6:7], off
	v_and_b32_e32 v5, 3, v0
	v_lshlrev_b32_e32 v10, 9, v52
	v_lshlrev_b32_e32 v4, 5, v4
	;; [unrolled: 1-line block ×3, first 2 shown]
	v_and_b32_e32 v10, 0x1800, v10
	v_or3_b32 v4, v10, v5, v4
	s_waitcnt vmcnt(0)
	ds_write_b128 v4, v[6:9]
.LBB40_11:
	s_or_b64 exec, exec, s[2:3]
	s_waitcnt lgkmcnt(0)
	s_mul_i32 s8, s8, s46
	s_mov_b32 s9, 0
	s_lshl_b64 s[8:9], s[8:9], 1
	s_add_u32 s3, s12, s8
	v_lshlrev_b32_e32 v51, 4, v0
	s_addc_u32 s10, s13, s9
	v_and_b32_e32 v4, 0xf0, v51
	v_mov_b32_e32 v5, s10
	v_add_co_u32_e32 v29, vcc, s3, v4
	v_addc_co_u32_e32 v30, vcc, 0, v5, vcc
	s_waitcnt vmcnt(3)
	v_mad_i64_i32 v[4:5], s[10:11], v3, s45, 0
	v_lshlrev_b64 v[4:5], 1, v[4:5]
	v_add_co_u32_e32 v3, vcc, v29, v4
	v_addc_co_u32_e32 v5, vcc, v30, v5, vcc
	v_and_b32_e32 v31, 0x300, v51
	v_add_co_u32_e32 v4, vcc, v3, v31
	v_addc_co_u32_e32 v5, vcc, 0, v5, vcc
	s_load_dword s33, s[4:5], 0x98
	s_load_dword s2, s[4:5], 0x1c
	s_waitcnt lgkmcnt(0)
	s_barrier
	global_load_dwordx4 v[6:9], v[4:5], off
	s_waitcnt vmcnt(3)
	v_mad_i64_i32 v[2:3], s[10:11], v2, s45, 0
	v_lshlrev_b64 v[2:3], 1, v[2:3]
	v_add_co_u32_e32 v2, vcc, v29, v2
	v_addc_co_u32_e32 v3, vcc, v30, v3, vcc
	v_add_co_u32_e32 v2, vcc, v2, v31
	v_addc_co_u32_e32 v3, vcc, 0, v3, vcc
	global_load_dwordx4 v[22:25], v[2:3], off
	global_load_dwordx4 v[10:13], v[4:5], off offset:1024
	global_load_dwordx4 v[14:17], v[2:3], off offset:1024
	v_mul_lo_u16_e32 v2, 52, v52
	v_mov_b32_e32 v3, 5
	v_mul_lo_u16_sdwa v2, v2, v3 dst_sel:DWORD dst_unused:UNUSED_PAD src0_sel:BYTE_1 src1_sel:DWORD
	v_sub_u16_e32 v2, v52, v2
	v_lshlrev_b32_sdwa v2, v3, v2 dst_sel:DWORD dst_unused:UNUSED_PAD src0_sel:DWORD src1_sel:BYTE_0
	v_lshl_add_u32 v20, v1, 9, v2
	ds_read_b128 v[2:5], v20
	s_waitcnt vmcnt(5)
	v_mad_i64_i32 v[18:19], s[10:11], v18, s45, 0
	v_lshlrev_b64 v[26:27], 1, v[18:19]
	v_and_or_b32 v55, v0, 48, s16
	ds_read_b128 v[18:21], v20 offset:2048
	v_mov_b32_e32 v60, s19
	v_or_b32_e32 v48, 64, v55
	v_or_b32_e32 v49, 0x80, v55
	v_mov_b32_e32 v56, s18
	s_add_u32 s3, s14, s8
	s_addc_u32 s8, s15, s9
	s_mov_b32 s42, 0xff7fffff
	s_waitcnt vmcnt(2) lgkmcnt(1)
	v_mfma_f32_16x16x16f16 v[36:39], v[22:23], v[2:3], 0
	v_mad_i64_i32 v[22:23], s[10:11], v28, s45, 0
	v_lshlrev_b64 v[44:45], 1, v[22:23]
	v_ashrrev_i32_e32 v22, 4, v55
	v_mov_b32_e32 v28, s18
	v_mfma_f32_16x16x16f16 v[32:35], v[6:7], v[2:3], 0
	v_add_co_u32_e32 v6, vcc, v29, v26
	v_addc_co_u32_e32 v7, vcc, v30, v27, vcc
	v_add_co_u32_e32 v26, vcc, v6, v31
	v_addc_co_u32_e32 v27, vcc, 0, v7, vcc
	global_load_dwordx4 v[40:43], v[26:27], off
	v_mfma_f32_16x16x16f16 v[6:9], v[8:9], v[4:5], v[32:35]
	v_cmp_gt_i32_e32 vcc, s40, v55
	v_cndmask_b32_e32 v46, v60, v22, vcc
	v_ashrrev_i32_e32 v47, 31, v46
	v_cmp_gt_i32_e32 vcc, s40, v48
	s_nop 2
	global_load_dwordx4 v[32:35], v[26:27], off offset:1024
	v_mfma_f32_16x16x16f16 v[22:25], v[24:25], v[4:5], v[36:39]
	v_lshlrev_b64 v[26:27], 2, v[46:47]
	s_nop 5
	v_ashrrev_i32_e32 v36, 4, v48
	v_cndmask_b32_e32 v48, v60, v36, vcc
	s_waitcnt vmcnt(3) lgkmcnt(0)
	v_mfma_f32_16x16x16f16 v[6:9], v[10:11], v[18:19], v[6:9]
	v_add_co_u32_e32 v10, vcc, s17, v26
	v_addc_co_u32_e32 v11, vcc, v28, v27, vcc
	v_add_co_u32_e32 v26, vcc, v29, v44
	v_addc_co_u32_e32 v27, vcc, v30, v45, vcc
	s_waitcnt vmcnt(2)
	v_mfma_f32_16x16x16f16 v[22:25], v[14:15], v[18:19], v[22:25]
	v_add_co_u32_e32 v14, vcc, v26, v31
	v_addc_co_u32_e32 v15, vcc, 0, v27, vcc
	global_load_dwordx4 v[26:29], v[14:15], off
	global_load_dword v44, v[10:11], off
	v_ashrrev_i32_e32 v37, 4, v49
	v_cmp_gt_i32_e32 vcc, s40, v49
	v_ashrrev_i32_e32 v49, 31, v48
	v_cndmask_b32_e32 v10, v60, v37, vcc
	v_mfma_f32_16x16x16f16 v[36:39], v[12:13], v[20:21], v[6:9]
	v_ashrrev_i32_e32 v11, 31, v10
	v_mov_b32_e32 v12, s18
	s_nop 4
	v_lshlrev_b64 v[6:7], 2, v[48:49]
	v_add_co_u32_e32 v6, vcc, s17, v6
	v_addc_co_u32_e32 v7, vcc, v56, v7, vcc
	global_load_dwordx4 v[56:59], v[14:15], off offset:1024
	global_load_dword v45, v[6:7], off
	v_lshlrev_b64 v[6:7], 2, v[10:11]
	v_mov_b32_e32 v8, s18
	v_add_co_u32_e32 v10, vcc, s17, v6
	v_addc_co_u32_e32 v11, vcc, v8, v7, vcc
	s_waitcnt vmcnt(5)
	v_mfma_f32_16x16x16f16 v[6:9], v[40:41], v[2:3], 0
	global_load_dword v40, v[10:11], off
	v_or_b32_e32 v10, 0xc0, v55
	v_ashrrev_i32_e32 v11, 4, v10
	v_cmp_gt_i32_e32 vcc, s40, v10
	v_cndmask_b32_e32 v10, v60, v11, vcc
	v_ashrrev_i32_e32 v11, 31, v10
	v_lshlrev_b64 v[10:11], 2, v[10:11]
	v_mfma_f32_16x16x16f16 v[6:9], v[42:43], v[4:5], v[6:9]
	v_add_co_u32_e32 v10, vcc, s17, v10
	v_addc_co_u32_e32 v11, vcc, v12, v11, vcc
	global_load_dword v60, v[10:11], off
	v_lshlrev_b32_e32 v55, 5, v52
	v_lshl_or_b32 v10, v53, 9, v55
	s_waitcnt vmcnt(6)
	v_mfma_f32_16x16x16f16 v[6:9], v[32:33], v[18:19], v[6:9]
	v_mov_b32_e32 v11, s8
	v_add_co_u32_e32 v61, vcc, s3, v10
	v_addc_co_u32_e32 v62, vcc, 0, v11, vcc
	v_pk_mul_f32 v[46:47], s[2:3], v[38:39] op_sel_hi:[0,1]
	v_mfma_f32_16x16x16f16 v[30:33], v[34:35], v[20:21], v[6:9]
	s_waitcnt vmcnt(1)
	v_mad_i64_i32 v[34:35], s[8:9], v40, s45, 0
	s_nop 4
	v_mad_i64_i32 v[6:7], s[8:9], v44, s45, 0
	v_lshlrev_b64 v[10:11], 1, v[6:7]
	v_mfma_f32_16x16x16f16 v[6:9], v[26:27], v[2:3], 0
	v_add_co_u32_e32 v2, vcc, v61, v10
	v_addc_co_u32_e32 v3, vcc, v62, v11, vcc
	v_lshlrev_b64 v[34:35], 1, v[34:35]
	v_pk_mul_f32 v[42:43], s[2:3], v[30:31] op_sel_hi:[0,1]
	v_mfma_f32_16x16x16f16 v[26:29], v[28:29], v[4:5], v[6:9]
	v_mfma_f32_16x16x16f16 v[22:25], v[16:17], v[20:21], v[22:25]
	global_load_dwordx4 v[14:17], v[2:3], off
	global_load_dwordx4 v[10:13], v[2:3], off offset:16
	v_mad_i64_i32 v[2:3], s[8:9], v45, s45, 0
	v_lshlrev_b64 v[2:3], 1, v[2:3]
	v_add_co_u32_e32 v2, vcc, v61, v2
	v_addc_co_u32_e32 v3, vcc, v62, v3, vcc
	v_mfma_f32_16x16x16f16 v[26:29], v[56:57], v[18:19], v[26:29]
	s_nop 3
	v_pk_mul_f32 v[38:39], s[2:3], v[22:23] op_sel_hi:[0,1]
	v_add_co_u32_e32 v56, vcc, v61, v34
	v_addc_co_u32_e32 v57, vcc, v62, v35, vcc
	v_pk_mul_f32 v[18:19], s[2:3], v[36:37] op_sel_hi:[0,1]
	v_pk_mul_f32 v[48:49], s[2:3], v[24:25] op_sel_hi:[0,1]
	v_mfma_f32_16x16x16f16 v[20:23], v[58:59], v[20:21], v[26:29]
	v_pk_mul_f32 v[44:45], s[2:3], v[32:33] op_sel_hi:[0,1]
	global_load_dwordx4 v[6:9], v[2:3], off
	s_nop 0
	global_load_dwordx4 v[2:5], v[2:3], off offset:16
	s_nop 6
	v_pk_mul_f32 v[40:41], s[2:3], v[20:21] op_sel_hi:[0,1]
	v_and_b32_e32 v20, 0xc0, v0
	v_add_u32_e32 v20, s16, v20
	v_lshl_or_b32 v20, v1, 2, v20
	v_pk_mul_f32 v[34:35], s[2:3], v[22:23] op_sel_hi:[0,1]
	v_or_b32_e32 v23, 1, v20
	v_mov_b32_e32 v21, 0xff7fffff
	v_cmp_gt_i32_e64 s[30:31], s40, v20
	v_cmp_gt_i32_e64 s[34:35], s40, v23
	v_cndmask_b32_e64 v22, v21, v18, s[30:31]
	v_cndmask_b32_e64 v23, v21, v19, s[34:35]
	v_max3_f32 v22, v22, s42, v23
	v_or_b32_e32 v23, 2, v20
	v_or_b32_e32 v24, 3, v20
	v_cmp_gt_i32_e64 s[36:37], s40, v23
	v_cmp_gt_i32_e64 s[38:39], s40, v24
	v_cndmask_b32_e64 v23, v21, v46, s[36:37]
	v_cndmask_b32_e64 v24, v21, v47, s[38:39]
	v_max3_f32 v22, v22, v23, v24
	v_or_b32_e32 v23, 16, v20
	v_or_b32_e32 v24, 17, v20
	;; [unrolled: 7-line block ×7, first 2 shown]
	v_cmp_gt_i32_e32 vcc, s40, v23
	v_cmp_gt_i32_e64 s[2:3], s40, v20
	v_cndmask_b32_e32 v23, v21, v34, vcc
	v_cndmask_b32_e64 v20, v21, v35, s[2:3]
	v_max3_f32 v26, v22, v23, v20
	v_mbcnt_lo_u32_b32 v20, -1, 0
	v_mbcnt_hi_u32_b32 v27, -1, v20
	v_and_b32_e32 v20, 64, v27
	v_add_u32_e32 v28, 64, v20
	v_xor_b32_e32 v20, 32, v27
	v_cmp_lt_i32_e64 s[40:41], v20, v28
	v_cndmask_b32_e64 v20, v27, v20, s[40:41]
	v_lshlrev_b32_e32 v58, 2, v20
	ds_bpermute_b32 v29, v58, v26
	s_waitcnt vmcnt(4)
	v_mad_i64_i32 v[20:21], s[40:41], v60, s45, 0
	global_load_dwordx4 v[30:33], v[56:57], off
	global_load_dwordx4 v[22:25], v[56:57], off offset:16
	v_lshlrev_b64 v[20:21], 1, v[20:21]
	s_waitcnt lgkmcnt(0)
	v_max_f32_e32 v29, v29, v29
	v_max_f32_e32 v26, v26, v29
	v_xor_b32_e32 v29, 16, v27
	v_cmp_lt_i32_e64 s[40:41], v29, v28
	v_cndmask_b32_e64 v27, v27, v29, s[40:41]
	v_lshlrev_b32_e32 v57, 2, v27
	ds_bpermute_b32 v27, v57, v26
	v_add_co_u32_e64 v20, s[40:41], v61, v20
	v_addc_co_u32_e64 v21, s[40:41], v62, v21, s[40:41]
	s_waitcnt lgkmcnt(0)
	v_max_f32_e32 v27, v27, v27
	v_max_f32_e32 v56, v26, v27
	v_sub_f32_e32 v18, v18, v56
	v_mul_f32_e32 v18, 0x3fb8aa3b, v18
	v_exp_f32_e32 v36, v18
	v_sub_f32_e32 v18, v19, v56
	v_mul_f32_e32 v18, 0x3fb8aa3b, v18
	v_exp_f32_e32 v37, v18
	global_load_dwordx4 v[26:29], v[20:21], off
	s_nop 0
	global_load_dwordx4 v[18:21], v[20:21], off offset:16
	v_sub_f32_e32 v46, v46, v56
	v_mul_f32_e32 v46, 0x3fb8aa3b, v46
	v_sub_f32_e32 v47, v47, v56
	v_exp_f32_e32 v46, v46
	v_mul_f32_e32 v47, 0x3fb8aa3b, v47
	v_sub_f32_e32 v38, v38, v56
	v_exp_f32_e32 v47, v47
	v_mul_f32_e32 v38, 0x3fb8aa3b, v38
	v_sub_f32_e32 v39, v39, v56
	v_cndmask_b32_e64 v36, 0, v36, s[30:31]
	v_exp_f32_e32 v38, v38
	v_mul_f32_e32 v39, 0x3fb8aa3b, v39
	v_sub_f32_e32 v48, v48, v56
	v_add_f32_e32 v59, 0, v36
	v_cndmask_b32_e64 v37, 0, v37, s[34:35]
	v_exp_f32_e32 v39, v39
	v_mul_f32_e32 v48, 0x3fb8aa3b, v48
	v_sub_f32_e32 v49, v49, v56
	v_add_f32_e32 v59, v59, v37
	;; [unrolled: 5-line block ×10, first 2 shown]
	v_cndmask_b32_e64 v44, 0, v44, s[12:13]
	v_exp_f32_e32 v34, v34
	v_mul_f32_e32 v35, 0x3fb8aa3b, v35
	v_add_f32_e32 v59, v59, v44
	v_cndmask_b32_e64 v45, 0, v45, s[14:15]
	v_exp_f32_e32 v35, v35
	v_add_f32_e32 v59, v59, v45
	v_cndmask_b32_e64 v40, 0, v40, s[8:9]
	v_add_f32_e32 v59, v59, v40
	v_cndmask_b32_e64 v41, 0, v41, s[10:11]
	v_add_f32_e32 v59, v59, v41
	v_cndmask_b32_e32 v34, 0, v34, vcc
	v_add_f32_e32 v59, v59, v34
	v_cndmask_b32_e64 v35, 0, v35, s[2:3]
	v_add_f32_e32 v59, v59, v35
	ds_bpermute_b32 v58, v58, v59
	v_cmp_gt_u32_e64 s[2:3], 16, v54
	s_waitcnt lgkmcnt(0)
	s_barrier
	v_add_f32_e32 v58, v59, v58
	ds_bpermute_b32 v59, v57, v58
	v_lshlrev_b32_e32 v57, 2, v52
	s_and_saveexec_b64 s[8:9], s[2:3]
	s_cbranch_execz .LBB40_13
; %bb.12:
	s_waitcnt lgkmcnt(0)
	v_add_f32_e32 v54, v58, v59
	v_lshl_or_b32 v58, v53, 6, v57
	ds_write2st64_b32 v58, v56, v54 offset1:1
.LBB40_13:
	s_or_b64 exec, exec, s[8:9]
	s_load_dword s10, s[4:5], 0x94
	s_waitcnt lgkmcnt(0)
	s_barrier
	ds_read2_b32 v[58:59], v57 offset1:16
	ds_read2_b32 v[60:61], v57 offset0:32 offset1:48
	ds_read2_b32 v[62:63], v57 offset0:64 offset1:80
	s_mul_i32 s11, s33, 5
	s_waitcnt lgkmcnt(2)
	v_max3_f32 v54, v58, s42, v59
	s_waitcnt lgkmcnt(1)
	v_max3_f32 v54, v54, v60, v61
	v_sub_f32_e32 v56, v58, v54
	v_mul_f32_e32 v56, 0x3fb8aa3b, v56
	v_exp_f32_e32 v64, v56
	v_sub_f32_e32 v56, v59, v54
	v_mul_f32_e32 v56, 0x3fb8aa3b, v56
	v_exp_f32_e32 v65, v56
	;; [unrolled: 3-line block ×3, first 2 shown]
	ds_read2_b32 v[58:59], v57 offset0:96 offset1:112
	v_sub_f32_e32 v56, v61, v54
	v_mul_f32_e32 v56, 0x3fb8aa3b, v56
	v_exp_f32_e32 v57, v56
	s_waitcnt lgkmcnt(1)
	v_fma_f32 v56, v64, v62, 0
	v_fmac_f32_e32 v56, v65, v63
	s_waitcnt lgkmcnt(0)
	v_fmac_f32_e32 v56, v60, v58
	v_fmac_f32_e32 v56, v57, v59
	v_add_f32_e32 v58, 0x358637bd, v56
	v_div_scale_f32 v59, s[8:9], v58, v58, 1.0
	v_rcp_f32_e32 v61, v59
	s_barrier
	v_fma_f32 v62, -v59, v61, 1.0
	v_fmac_f32_e32 v61, v62, v61
	v_div_scale_f32 v62, vcc, 1.0, v58, 1.0
	v_mul_f32_e32 v63, v62, v61
	v_fma_f32 v66, -v59, v63, v62
	v_fmac_f32_e32 v63, v66, v61
	v_fma_f32 v59, -v59, v63, v62
	v_div_fmas_f32 v59, v59, v61, v63
	v_cmp_eq_u32_e32 vcc, 1, v53
	v_div_fixup_f32 v58, v59, v58, 1.0
	v_cndmask_b32_e32 v59, v64, v65, vcc
	v_cmp_eq_u32_e32 vcc, 2, v53
	v_cndmask_b32_e32 v59, v59, v60, vcc
	v_cmp_eq_u32_e32 vcc, 3, v53
	v_cndmask_b32_e32 v57, v59, v57, vcc
	v_mul_f32_e32 v58, v57, v58
	v_pk_mul_f32 v[36:37], v[58:59], v[36:37] op_sel_hi:[0,1]
	v_cvt_f16_f32_e32 v36, v36
	v_cvt_f16_f32_e32 v37, v37
	v_pk_mul_f32 v[46:47], v[58:59], v[46:47] op_sel_hi:[0,1]
	v_cvt_f16_f32_e32 v57, v46
	v_cvt_f16_f32_e32 v47, v47
	v_pack_b32_f16 v46, v36, v37
	v_pk_mul_f32 v[36:37], v[58:59], v[48:49] op_sel_hi:[0,1]
	v_pk_mul_f32 v[38:39], v[58:59], v[38:39] op_sel_hi:[0,1]
	v_cvt_f16_f32_e32 v38, v38
	v_cvt_f16_f32_e32 v39, v39
	;; [unrolled: 1-line block ×4, first 2 shown]
	v_pack_b32_f16 v47, v57, v47
	v_lshlrev_b32_e32 v57, 3, v1
	v_lshlrev_b32_e32 v36, 11, v53
	v_or3_b32 v36, v36, v55, v57
	v_pack_b32_f16 v38, v38, v39
	v_pack_b32_f16 v39, v48, v37
	ds_write2st64_b64 v36, v[46:47], v[38:39] offset1:1
	v_pk_mul_f32 v[38:39], v[58:59], v[44:45] op_sel_hi:[0,1]
	v_pk_mul_f32 v[42:43], v[58:59], v[42:43] op_sel_hi:[0,1]
	v_cvt_f16_f32_e32 v37, v42
	v_cvt_f16_f32_e32 v42, v43
	v_cvt_f16_f32_e32 v43, v38
	v_cvt_f16_f32_e32 v44, v39
	v_pk_mul_f32 v[34:35], v[58:59], v[34:35] op_sel_hi:[0,1]
	v_pk_mul_f32 v[38:39], v[58:59], v[40:41] op_sel_hi:[0,1]
	v_cvt_f16_f32_e32 v38, v38
	v_cvt_f16_f32_e32 v39, v39
	;; [unrolled: 1-line block ×4, first 2 shown]
	v_pack_b32_f16 v34, v37, v42
	v_pack_b32_f16 v35, v43, v44
	;; [unrolled: 1-line block ×4, first 2 shown]
	v_cmp_gt_u32_e32 vcc, 5, v0
	ds_write2st64_b64 v36, v[34:35], v[38:39] offset0:2 offset1:3
	s_and_saveexec_b64 s[8:9], vcc
	s_cbranch_execz .LBB40_15
; %bb.14:
	v_add_co_u32_e32 v38, vcc, s29, v52
	v_addc_co_u32_e64 v39, s[16:17], 0, 0, vcc
	v_mov_b32_e32 v34, s11
	v_mov_b32_e32 v35, 0
	v_mad_u64_u32 v[38:39], s[16:17], s6, v34, v[38:39]
	v_mov_b32_e32 v34, s28
	s_load_dwordx4 s[12:15], s[4:5], 0x58
	s_mul_i32 s7, s7, s11
	v_mad_u64_u32 v[34:35], s[16:17], v38, s10, v[34:35]
	v_add_u32_e32 v37, s7, v39
	v_mov_b32_e32 v38, v35
	v_mad_u64_u32 v[38:39], s[16:17], v37, s10, v[38:39]
	v_mov_b32_e32 v35, v38
	v_lshlrev_b64 v[34:35], 2, v[34:35]
	s_waitcnt lgkmcnt(0)
	v_mov_b32_e32 v37, s15
	v_add_co_u32_e32 v38, vcc, s14, v34
	v_addc_co_u32_e32 v39, vcc, v37, v35, vcc
	v_mov_b32_e32 v37, s13
	v_add_co_u32_e32 v34, vcc, s12, v34
	v_addc_co_u32_e32 v35, vcc, v37, v35, vcc
	global_store_dword v[38:39], v54, off
	global_store_dword v[34:35], v56, off
.LBB40_15:
	s_or_b64 exec, exec, s[8:9]
	v_lshl_or_b32 v34, v1, 9, v55
	s_waitcnt lgkmcnt(0)
	s_barrier
	ds_read_b128 v[38:41], v34
	ds_read_b128 v[42:45], v34 offset:16
	s_waitcnt vmcnt(7) lgkmcnt(1)
	v_mfma_f32_16x16x16f16 v[46:49], v[14:15], v[38:39], 0
	v_cmp_gt_u32_e32 vcc, 64, v0
	s_mov_b32 s7, 0
	s_and_b64 s[0:1], vcc, s[0:1]
	v_mfma_f32_16x16x16f16 v[14:17], v[16:17], v[40:41], v[46:49]
	s_waitcnt vmcnt(6) lgkmcnt(0)
	v_mfma_f32_16x16x16f16 v[14:17], v[10:11], v[42:43], v[14:17]
	v_mfma_f32_16x16x16f16 v[10:13], v[12:13], v[44:45], v[14:17]
	s_nop 7
	s_nop 1
	ds_read_b128 v[14:17], v34 offset:2048
	ds_read_b128 v[38:41], v34 offset:2064
	s_waitcnt vmcnt(5) lgkmcnt(1)
	v_mfma_f32_16x16x16f16 v[10:13], v[6:7], v[14:15], v[10:13]
	v_mfma_f32_16x16x16f16 v[6:9], v[8:9], v[16:17], v[10:13]
	s_waitcnt vmcnt(4) lgkmcnt(0)
	v_mfma_f32_16x16x16f16 v[6:9], v[2:3], v[38:39], v[6:9]
	v_mfma_f32_16x16x16f16 v[2:5], v[4:5], v[40:41], v[6:9]
	s_nop 7
	s_nop 1
	ds_read_b128 v[6:9], v34 offset:4096
	ds_read_b128 v[10:13], v34 offset:4112
	s_waitcnt vmcnt(3) lgkmcnt(1)
	v_mfma_f32_16x16x16f16 v[2:5], v[30:31], v[6:7], v[2:5]
	v_mfma_f32_16x16x16f16 v[2:5], v[32:33], v[8:9], v[2:5]
	s_waitcnt vmcnt(2) lgkmcnt(0)
	v_mfma_f32_16x16x16f16 v[2:5], v[22:23], v[10:11], v[2:5]
	v_mfma_f32_16x16x16f16 v[2:5], v[24:25], v[12:13], v[2:5]
	ds_read_b128 v[6:9], v34 offset:6144
	ds_read_b128 v[10:13], v34 offset:6160
	s_waitcnt lgkmcnt(0)
	s_barrier
	s_waitcnt vmcnt(1)
	v_mfma_f32_16x16x16f16 v[2:5], v[26:27], v[6:7], v[2:5]
	v_mfma_f32_16x16x16f16 v[2:5], v[28:29], v[8:9], v[2:5]
	s_waitcnt vmcnt(0)
	v_mfma_f32_16x16x16f16 v[2:5], v[18:19], v[10:11], v[2:5]
	v_mfma_f32_16x16x16f16 v[2:5], v[20:21], v[12:13], v[2:5]
	s_nop 7
	s_nop 2
	v_cvt_f16_f32_e32 v2, v2
	v_cvt_f16_f32_e32 v3, v3
	;; [unrolled: 1-line block ×4, first 2 shown]
	v_pack_b32_f16 v2, v2, v3
	v_pack_b32_f16 v3, v4, v5
	ds_write_b64 v36, v[2:3]
	s_waitcnt lgkmcnt(0)
	s_barrier
	s_and_saveexec_b64 s[8:9], s[0:1]
	s_cbranch_execz .LBB40_18
; %bb.16:
	s_load_dwordx2 s[4:5], s[4:5], 0x68
	s_lshl_b32 s0, s10, 6
	s_mul_i32 s1, s11, s6
	s_mul_hi_u32 s9, s1, s0
	s_mul_i32 s8, s1, s0
	s_lshl_b64 s[8:9], s[8:9], 1
	s_waitcnt lgkmcnt(0)
	s_add_u32 s1, s4, s8
	v_lshlrev_b32_e32 v0, 10, v0
	s_addc_u32 s8, s5, s9
	s_lshl_b32 s6, s28, 6
	v_and_b32_e32 v0, 0x1800, v0
	v_lshlrev_b32_e32 v2, 5, v1
	v_and_b32_e32 v3, 16, v51
	s_lshl_b64 s[4:5], s[6:7], 1
	v_or3_b32 v0, v0, v2, v3
	s_add_u32 s1, s1, s4
	s_addc_u32 s4, s8, s5
	ds_read_b128 v[4:7], v0
	v_add_u32_e32 v8, s29, v1
	v_mov_b32_e32 v3, s4
	v_add_co_u32_e32 v2, vcc, s1, v50
	v_mad_u64_u32 v[8:9], s[4:5], v8, s0, 0
	v_addc_co_u32_e32 v3, vcc, 0, v3, vcc
	v_lshlrev_b64 v[8:9], 1, v[8:9]
	v_add_co_u32_e32 v8, vcc, v2, v8
	v_addc_co_u32_e32 v9, vcc, v3, v9, vcc
	s_waitcnt lgkmcnt(0)
	global_store_dwordx4 v[8:9], v[4:7], off
	s_and_b64 exec, exec, s[2:3]
	s_cbranch_execz .LBB40_18
; %bb.17:
	ds_read_b128 v[4:7], v0 offset:128
	v_add3_u32 v0, s29, v1, 4
	v_mad_u64_u32 v[0:1], s[0:1], v0, s0, 0
	v_lshlrev_b64 v[0:1], 1, v[0:1]
	v_add_co_u32_e32 v0, vcc, v2, v0
	v_addc_co_u32_e32 v1, vcc, v3, v1, vcc
	s_waitcnt lgkmcnt(0)
	global_store_dwordx4 v[0:1], v[4:7], off
.LBB40_18:
	s_endpgm
	.section	.rodata,"a",@progbits
	.p2align	6, 0x0
	.amdhsa_kernel _Z39paged_attention_ll4mi_QKV_mfma16_kernelIDF16_DF16_LN4vllm18Fp8KVCacheDataTypeE0EDF16_Li16ELi64ELi256ELb0ELi5EL8MFMAType0EEvPKT_PKT0_S8_ifPKiSA_SA_iPKfiiiPfSD_PS3_PT2_iSC_SC_
		.amdhsa_group_segment_fixed_size 8192
		.amdhsa_private_segment_fixed_size 0
		.amdhsa_kernarg_size 400
		.amdhsa_user_sgpr_count 6
		.amdhsa_user_sgpr_private_segment_buffer 1
		.amdhsa_user_sgpr_dispatch_ptr 0
		.amdhsa_user_sgpr_queue_ptr 0
		.amdhsa_user_sgpr_kernarg_segment_ptr 1
		.amdhsa_user_sgpr_dispatch_id 0
		.amdhsa_user_sgpr_flat_scratch_init 0
		.amdhsa_user_sgpr_kernarg_preload_length 0
		.amdhsa_user_sgpr_kernarg_preload_offset 0
		.amdhsa_user_sgpr_private_segment_size 0
		.amdhsa_uses_dynamic_stack 0
		.amdhsa_system_sgpr_private_segment_wavefront_offset 0
		.amdhsa_system_sgpr_workgroup_id_x 1
		.amdhsa_system_sgpr_workgroup_id_y 1
		.amdhsa_system_sgpr_workgroup_id_z 1
		.amdhsa_system_sgpr_workgroup_info 0
		.amdhsa_system_vgpr_workitem_id 0
		.amdhsa_next_free_vgpr 67
		.amdhsa_next_free_sgpr 48
		.amdhsa_accum_offset 68
		.amdhsa_reserve_vcc 1
		.amdhsa_reserve_flat_scratch 0
		.amdhsa_float_round_mode_32 0
		.amdhsa_float_round_mode_16_64 0
		.amdhsa_float_denorm_mode_32 3
		.amdhsa_float_denorm_mode_16_64 3
		.amdhsa_dx10_clamp 1
		.amdhsa_ieee_mode 1
		.amdhsa_fp16_overflow 0
		.amdhsa_tg_split 0
		.amdhsa_exception_fp_ieee_invalid_op 0
		.amdhsa_exception_fp_denorm_src 0
		.amdhsa_exception_fp_ieee_div_zero 0
		.amdhsa_exception_fp_ieee_overflow 0
		.amdhsa_exception_fp_ieee_underflow 0
		.amdhsa_exception_fp_ieee_inexact 0
		.amdhsa_exception_int_div_zero 0
	.end_amdhsa_kernel
	.section	.text._Z39paged_attention_ll4mi_QKV_mfma16_kernelIDF16_DF16_LN4vllm18Fp8KVCacheDataTypeE0EDF16_Li16ELi64ELi256ELb0ELi5EL8MFMAType0EEvPKT_PKT0_S8_ifPKiSA_SA_iPKfiiiPfSD_PS3_PT2_iSC_SC_,"axG",@progbits,_Z39paged_attention_ll4mi_QKV_mfma16_kernelIDF16_DF16_LN4vllm18Fp8KVCacheDataTypeE0EDF16_Li16ELi64ELi256ELb0ELi5EL8MFMAType0EEvPKT_PKT0_S8_ifPKiSA_SA_iPKfiiiPfSD_PS3_PT2_iSC_SC_,comdat
.Lfunc_end40:
	.size	_Z39paged_attention_ll4mi_QKV_mfma16_kernelIDF16_DF16_LN4vllm18Fp8KVCacheDataTypeE0EDF16_Li16ELi64ELi256ELb0ELi5EL8MFMAType0EEvPKT_PKT0_S8_ifPKiSA_SA_iPKfiiiPfSD_PS3_PT2_iSC_SC_, .Lfunc_end40-_Z39paged_attention_ll4mi_QKV_mfma16_kernelIDF16_DF16_LN4vllm18Fp8KVCacheDataTypeE0EDF16_Li16ELi64ELi256ELb0ELi5EL8MFMAType0EEvPKT_PKT0_S8_ifPKiSA_SA_iPKfiiiPfSD_PS3_PT2_iSC_SC_
                                        ; -- End function
	.section	.AMDGPU.csdata,"",@progbits
; Kernel info:
; codeLenInByte = 3956
; NumSgprs: 52
; NumVgprs: 67
; NumAgprs: 0
; TotalNumVgprs: 67
; ScratchSize: 0
; MemoryBound: 0
; FloatMode: 240
; IeeeMode: 1
; LDSByteSize: 8192 bytes/workgroup (compile time only)
; SGPRBlocks: 6
; VGPRBlocks: 8
; NumSGPRsForWavesPerEU: 52
; NumVGPRsForWavesPerEU: 67
; AccumOffset: 68
; Occupancy: 7
; WaveLimiterHint : 1
; COMPUTE_PGM_RSRC2:SCRATCH_EN: 0
; COMPUTE_PGM_RSRC2:USER_SGPR: 6
; COMPUTE_PGM_RSRC2:TRAP_HANDLER: 0
; COMPUTE_PGM_RSRC2:TGID_X_EN: 1
; COMPUTE_PGM_RSRC2:TGID_Y_EN: 1
; COMPUTE_PGM_RSRC2:TGID_Z_EN: 1
; COMPUTE_PGM_RSRC2:TIDIG_COMP_CNT: 0
; COMPUTE_PGM_RSRC3_GFX90A:ACCUM_OFFSET: 16
; COMPUTE_PGM_RSRC3_GFX90A:TG_SPLIT: 0
	.section	.text._Z39paged_attention_ll4mi_QKV_mfma16_kernelIDF16_DF16_LN4vllm18Fp8KVCacheDataTypeE0EDF16_Li16ELi64ELi256ELb0ELi6EL8MFMAType0EEvPKT_PKT0_S8_ifPKiSA_SA_iPKfiiiPfSD_PS3_PT2_iSC_SC_,"axG",@progbits,_Z39paged_attention_ll4mi_QKV_mfma16_kernelIDF16_DF16_LN4vllm18Fp8KVCacheDataTypeE0EDF16_Li16ELi64ELi256ELb0ELi6EL8MFMAType0EEvPKT_PKT0_S8_ifPKiSA_SA_iPKfiiiPfSD_PS3_PT2_iSC_SC_,comdat
	.protected	_Z39paged_attention_ll4mi_QKV_mfma16_kernelIDF16_DF16_LN4vllm18Fp8KVCacheDataTypeE0EDF16_Li16ELi64ELi256ELb0ELi6EL8MFMAType0EEvPKT_PKT0_S8_ifPKiSA_SA_iPKfiiiPfSD_PS3_PT2_iSC_SC_ ; -- Begin function _Z39paged_attention_ll4mi_QKV_mfma16_kernelIDF16_DF16_LN4vllm18Fp8KVCacheDataTypeE0EDF16_Li16ELi64ELi256ELb0ELi6EL8MFMAType0EEvPKT_PKT0_S8_ifPKiSA_SA_iPKfiiiPfSD_PS3_PT2_iSC_SC_
	.globl	_Z39paged_attention_ll4mi_QKV_mfma16_kernelIDF16_DF16_LN4vllm18Fp8KVCacheDataTypeE0EDF16_Li16ELi64ELi256ELb0ELi6EL8MFMAType0EEvPKT_PKT0_S8_ifPKiSA_SA_iPKfiiiPfSD_PS3_PT2_iSC_SC_
	.p2align	8
	.type	_Z39paged_attention_ll4mi_QKV_mfma16_kernelIDF16_DF16_LN4vllm18Fp8KVCacheDataTypeE0EDF16_Li16ELi64ELi256ELb0ELi6EL8MFMAType0EEvPKT_PKT0_S8_ifPKiSA_SA_iPKfiiiPfSD_PS3_PT2_iSC_SC_,@function
_Z39paged_attention_ll4mi_QKV_mfma16_kernelIDF16_DF16_LN4vllm18Fp8KVCacheDataTypeE0EDF16_Li16ELi64ELi256ELb0ELi6EL8MFMAType0EEvPKT_PKT0_S8_ifPKiSA_SA_iPKfiiiPfSD_PS3_PT2_iSC_SC_: ; @_Z39paged_attention_ll4mi_QKV_mfma16_kernelIDF16_DF16_LN4vllm18Fp8KVCacheDataTypeE0EDF16_Li16ELi64ELi256ELb0ELi6EL8MFMAType0EEvPKT_PKT0_S8_ifPKiSA_SA_iPKfiiiPfSD_PS3_PT2_iSC_SC_
; %bb.0:
	s_load_dwordx2 s[0:1], s[4:5], 0x30
	s_mov_b32 s28, s7
	s_mov_b64 s[10:11], 0
	s_waitcnt lgkmcnt(0)
	s_cmp_lg_u64 s[0:1], 0
	s_cselect_b64 s[2:3], -1, 0
	s_and_b64 vcc, exec, s[2:3]
	s_cbranch_vccz .LBB41_7
; %bb.1:
	s_add_i32 s12, s6, 1
	s_mov_b32 s13, 0
	s_lshl_b64 s[14:15], s[12:13], 2
	s_add_u32 s14, s0, s14
	s_mov_b32 s7, s13
	s_addc_u32 s15, s1, s15
	s_lshl_b64 s[12:13], s[6:7], 2
	s_add_u32 s12, s0, s12
	s_addc_u32 s13, s1, s13
	s_load_dword s9, s[14:15], 0x0
	s_load_dword s16, s[12:13], 0x0
	s_waitcnt lgkmcnt(0)
	s_sub_i32 s9, s9, s16
	s_cmp_eq_u32 s9, 1
	s_cselect_b64 s[12:13], -1, 0
	s_andn2_b64 vcc, exec, s[10:11]
	s_cbranch_vccnz .LBB41_3
.LBB41_2:
	s_mov_b32 s7, 0
	s_mov_b64 s[12:13], -1
.LBB41_3:
	s_andn2_b64 vcc, exec, s[12:13]
	s_cbranch_vccnz .LBB41_18
; %bb.4:
	s_load_dwordx2 s[12:13], s[4:5], 0x28
	s_lshl_b64 s[10:11], s[6:7], 2
	s_waitcnt lgkmcnt(0)
	s_add_u32 s12, s12, s10
	s_addc_u32 s13, s13, s11
	s_load_dword s40, s[12:13], 0x0
	s_lshl_b32 s16, s28, 8
	s_waitcnt lgkmcnt(0)
	s_cmp_ge_i32 s16, s40
	s_cbranch_scc1 .LBB41_18
; %bb.5:
	s_add_i32 s14, s40, 15
	s_load_dwordx2 s[12:13], s[4:5], 0x20
	s_load_dword s9, s[4:5], 0x38
	s_ashr_i32 s15, s14, 31
	v_and_b32_e32 v1, 0xcf, v0
	s_lshr_b32 s15, s15, 28
	v_add_u32_e32 v1, s16, v1
	s_add_i32 s14, s14, s15
	v_ashrrev_i32_e32 v2, 31, v1
	s_ashr_i32 s19, s14, 4
	v_lshrrev_b32_e32 v10, 28, v2
	s_add_i32 s19, s19, -1
	v_add_u32_e32 v2, v1, v10
	s_waitcnt lgkmcnt(0)
	s_mul_i32 s14, s6, s9
	s_mov_b32 s15, 0
	v_ashrrev_i32_e32 v2, 4, v2
	v_mov_b32_e32 v11, s19
	v_cmp_gt_i32_e32 vcc, s40, v1
	s_lshl_b64 s[14:15], s[14:15], 2
	v_cndmask_b32_e32 v2, v11, v2, vcc
	s_add_u32 s17, s12, s14
	v_ashrrev_i32_e32 v3, 31, v2
	s_addc_u32 s18, s13, s15
	v_lshlrev_b64 v[2:3], 2, v[2:3]
	v_mov_b32_e32 v5, s18
	v_add_co_u32_e32 v4, vcc, s17, v2
	v_or_b32_e32 v2, 16, v1
	v_addc_co_u32_e32 v5, vcc, v5, v3, vcc
	v_add_u32_e32 v3, v2, v10
	v_ashrrev_i32_e32 v3, 4, v3
	v_cmp_gt_i32_e32 vcc, s40, v2
	v_cndmask_b32_e32 v2, v11, v3, vcc
	v_ashrrev_i32_e32 v3, 31, v2
	v_lshlrev_b64 v[2:3], 2, v[2:3]
	v_mov_b32_e32 v7, s18
	v_add_co_u32_e32 v6, vcc, s17, v2
	v_or_b32_e32 v2, 32, v1
	v_addc_co_u32_e32 v7, vcc, v7, v3, vcc
	v_add_u32_e32 v3, v2, v10
	v_ashrrev_i32_e32 v3, 4, v3
	v_cmp_gt_i32_e32 vcc, s40, v2
	v_cndmask_b32_e32 v2, v11, v3, vcc
	v_ashrrev_i32_e32 v3, 31, v2
	v_lshlrev_b64 v[2:3], 2, v[2:3]
	v_mov_b32_e32 v9, s18
	v_add_co_u32_e32 v8, vcc, s17, v2
	v_or_b32_e32 v1, 48, v1
	v_addc_co_u32_e32 v9, vcc, v9, v3, vcc
	v_add_u32_e32 v2, v1, v10
	v_ashrrev_i32_e32 v2, 4, v2
	v_cmp_gt_i32_e32 vcc, s40, v1
	v_cndmask_b32_e32 v2, v11, v2, vcc
	v_ashrrev_i32_e32 v3, 31, v2
	v_lshlrev_b64 v[2:3], 2, v[2:3]
	v_mov_b32_e32 v1, s18
	v_add_co_u32_e32 v10, vcc, s17, v2
	v_addc_co_u32_e32 v11, vcc, v1, v3, vcc
	global_load_dword v3, v[4:5], off
	global_load_dword v2, v[6:7], off
	;; [unrolled: 1-line block ×4, first 2 shown]
	s_load_dwordx4 s[12:15], s[4:5], 0x8
	s_andn2_b64 vcc, exec, s[2:3]
	s_cbranch_vccnz .LBB41_8
; %bb.6:
	s_add_u32 s0, s0, s10
	s_addc_u32 s1, s1, s11
	s_load_dword s9, s[0:1], 0x0
	s_branch .LBB41_9
.LBB41_7:
	s_mov_b64 s[12:13], 0
	s_branch .LBB41_2
.LBB41_8:
	s_mov_b32 s9, s6
.LBB41_9:
	s_load_dwordx4 s[44:47], s[4:5], 0x48
	v_lshrrev_b32_e32 v53, 6, v0
	v_bfe_u32 v1, v0, 4, 2
	v_lshl_or_b32 v4, v53, 2, v1
	v_and_b32_e32 v52, 15, v0
	v_lshlrev_b32_e32 v5, 3, v52
	v_cmp_gt_u32_e32 vcc, 6, v4
	v_cmp_gt_u32_e64 s[0:1], 8, v52
	v_and_b32_e32 v54, 63, v0
	s_mul_i32 s29, s8, 6
	s_and_b64 s[10:11], s[0:1], vcc
	v_lshlrev_b32_e32 v50, 1, v5
	s_and_saveexec_b64 s[2:3], s[10:11]
	s_cbranch_execz .LBB41_11
; %bb.10:
	s_load_dwordx2 s[10:11], s[4:5], 0x0
	s_waitcnt lgkmcnt(0)
	s_ashr_i32 s20, s44, 31
	s_mul_hi_u32 s21, s9, s44
	s_mul_i32 s20, s9, s20
	s_add_i32 s21, s21, s20
	s_mul_i32 s20, s9, s44
	s_lshl_b64 s[20:21], s[20:21], 1
	v_add_lshl_u32 v6, v4, s29, 6
	s_add_u32 s9, s10, s20
	v_ashrrev_i32_e32 v7, 31, v6
	s_addc_u32 s10, s11, s21
	v_lshlrev_b64 v[6:7], 1, v[6:7]
	v_mov_b32_e32 v5, s10
	v_add_co_u32_e32 v6, vcc, s9, v6
	v_addc_co_u32_e32 v5, vcc, v5, v7, vcc
	v_add_co_u32_e32 v6, vcc, v6, v50
	v_addc_co_u32_e32 v7, vcc, 0, v5, vcc
	global_load_dwordx4 v[6:9], v[6:7], off
	v_and_b32_e32 v5, 3, v0
	v_lshlrev_b32_e32 v10, 9, v52
	v_lshlrev_b32_e32 v4, 5, v4
	;; [unrolled: 1-line block ×3, first 2 shown]
	v_and_b32_e32 v10, 0x1800, v10
	v_or3_b32 v4, v10, v5, v4
	s_waitcnt vmcnt(0)
	ds_write_b128 v4, v[6:9]
.LBB41_11:
	s_or_b64 exec, exec, s[2:3]
	s_waitcnt lgkmcnt(0)
	s_mul_i32 s8, s8, s46
	s_mov_b32 s9, 0
	s_lshl_b64 s[8:9], s[8:9], 1
	s_add_u32 s3, s12, s8
	v_lshlrev_b32_e32 v51, 4, v0
	s_addc_u32 s10, s13, s9
	v_and_b32_e32 v4, 0xf0, v51
	v_mov_b32_e32 v5, s10
	v_add_co_u32_e32 v29, vcc, s3, v4
	v_addc_co_u32_e32 v30, vcc, 0, v5, vcc
	s_waitcnt vmcnt(3)
	v_mad_i64_i32 v[4:5], s[10:11], v3, s45, 0
	v_lshlrev_b64 v[4:5], 1, v[4:5]
	v_add_co_u32_e32 v3, vcc, v29, v4
	v_addc_co_u32_e32 v5, vcc, v30, v5, vcc
	v_and_b32_e32 v31, 0x300, v51
	v_add_co_u32_e32 v4, vcc, v3, v31
	v_addc_co_u32_e32 v5, vcc, 0, v5, vcc
	s_load_dword s33, s[4:5], 0x98
	s_load_dword s2, s[4:5], 0x1c
	s_waitcnt lgkmcnt(0)
	s_barrier
	global_load_dwordx4 v[6:9], v[4:5], off
	s_waitcnt vmcnt(3)
	v_mad_i64_i32 v[2:3], s[10:11], v2, s45, 0
	v_lshlrev_b64 v[2:3], 1, v[2:3]
	v_add_co_u32_e32 v2, vcc, v29, v2
	v_addc_co_u32_e32 v3, vcc, v30, v3, vcc
	v_add_co_u32_e32 v2, vcc, v2, v31
	v_addc_co_u32_e32 v3, vcc, 0, v3, vcc
	global_load_dwordx4 v[22:25], v[2:3], off
	global_load_dwordx4 v[10:13], v[4:5], off offset:1024
	global_load_dwordx4 v[14:17], v[2:3], off offset:1024
	v_mul_lo_u16_e32 v2, 43, v52
	v_mov_b32_e32 v3, 6
	v_mul_lo_u16_sdwa v2, v2, v3 dst_sel:DWORD dst_unused:UNUSED_PAD src0_sel:BYTE_1 src1_sel:DWORD
	v_mov_b32_e32 v4, 5
	v_sub_u16_e32 v2, v52, v2
	v_lshlrev_b32_sdwa v2, v4, v2 dst_sel:DWORD dst_unused:UNUSED_PAD src0_sel:DWORD src1_sel:BYTE_0
	v_lshl_add_u32 v20, v1, 9, v2
	ds_read_b128 v[2:5], v20
	s_waitcnt vmcnt(5)
	v_mad_i64_i32 v[18:19], s[10:11], v18, s45, 0
	v_lshlrev_b64 v[26:27], 1, v[18:19]
	v_and_or_b32 v55, v0, 48, s16
	ds_read_b128 v[18:21], v20 offset:2048
	v_mov_b32_e32 v60, s19
	v_or_b32_e32 v48, 64, v55
	v_or_b32_e32 v49, 0x80, v55
	v_mov_b32_e32 v56, s18
	s_add_u32 s3, s14, s8
	s_addc_u32 s8, s15, s9
	s_mov_b32 s42, 0xff7fffff
	s_waitcnt vmcnt(2) lgkmcnt(1)
	v_mfma_f32_16x16x16f16 v[36:39], v[22:23], v[2:3], 0
	v_mad_i64_i32 v[22:23], s[10:11], v28, s45, 0
	v_lshlrev_b64 v[44:45], 1, v[22:23]
	v_ashrrev_i32_e32 v22, 4, v55
	v_mov_b32_e32 v28, s18
	v_mfma_f32_16x16x16f16 v[32:35], v[6:7], v[2:3], 0
	v_add_co_u32_e32 v6, vcc, v29, v26
	v_addc_co_u32_e32 v7, vcc, v30, v27, vcc
	v_add_co_u32_e32 v26, vcc, v6, v31
	v_addc_co_u32_e32 v27, vcc, 0, v7, vcc
	global_load_dwordx4 v[40:43], v[26:27], off
	v_mfma_f32_16x16x16f16 v[6:9], v[8:9], v[4:5], v[32:35]
	v_cmp_gt_i32_e32 vcc, s40, v55
	v_cndmask_b32_e32 v46, v60, v22, vcc
	v_ashrrev_i32_e32 v47, 31, v46
	v_cmp_gt_i32_e32 vcc, s40, v48
	s_nop 2
	global_load_dwordx4 v[32:35], v[26:27], off offset:1024
	v_mfma_f32_16x16x16f16 v[22:25], v[24:25], v[4:5], v[36:39]
	v_lshlrev_b64 v[26:27], 2, v[46:47]
	s_nop 5
	v_ashrrev_i32_e32 v36, 4, v48
	v_cndmask_b32_e32 v48, v60, v36, vcc
	s_waitcnt vmcnt(3) lgkmcnt(0)
	v_mfma_f32_16x16x16f16 v[6:9], v[10:11], v[18:19], v[6:9]
	v_add_co_u32_e32 v10, vcc, s17, v26
	v_addc_co_u32_e32 v11, vcc, v28, v27, vcc
	v_add_co_u32_e32 v26, vcc, v29, v44
	v_addc_co_u32_e32 v27, vcc, v30, v45, vcc
	s_waitcnt vmcnt(2)
	v_mfma_f32_16x16x16f16 v[22:25], v[14:15], v[18:19], v[22:25]
	v_add_co_u32_e32 v14, vcc, v26, v31
	v_addc_co_u32_e32 v15, vcc, 0, v27, vcc
	global_load_dwordx4 v[26:29], v[14:15], off
	global_load_dword v44, v[10:11], off
	v_ashrrev_i32_e32 v37, 4, v49
	v_cmp_gt_i32_e32 vcc, s40, v49
	v_ashrrev_i32_e32 v49, 31, v48
	v_cndmask_b32_e32 v10, v60, v37, vcc
	v_mfma_f32_16x16x16f16 v[36:39], v[12:13], v[20:21], v[6:9]
	v_ashrrev_i32_e32 v11, 31, v10
	v_mov_b32_e32 v12, s18
	s_nop 4
	v_lshlrev_b64 v[6:7], 2, v[48:49]
	v_add_co_u32_e32 v6, vcc, s17, v6
	v_addc_co_u32_e32 v7, vcc, v56, v7, vcc
	global_load_dwordx4 v[56:59], v[14:15], off offset:1024
	global_load_dword v45, v[6:7], off
	v_lshlrev_b64 v[6:7], 2, v[10:11]
	v_mov_b32_e32 v8, s18
	v_add_co_u32_e32 v10, vcc, s17, v6
	v_addc_co_u32_e32 v11, vcc, v8, v7, vcc
	s_waitcnt vmcnt(5)
	v_mfma_f32_16x16x16f16 v[6:9], v[40:41], v[2:3], 0
	global_load_dword v40, v[10:11], off
	v_or_b32_e32 v10, 0xc0, v55
	v_ashrrev_i32_e32 v11, 4, v10
	v_cmp_gt_i32_e32 vcc, s40, v10
	v_cndmask_b32_e32 v10, v60, v11, vcc
	v_ashrrev_i32_e32 v11, 31, v10
	v_lshlrev_b64 v[10:11], 2, v[10:11]
	v_mfma_f32_16x16x16f16 v[6:9], v[42:43], v[4:5], v[6:9]
	v_add_co_u32_e32 v10, vcc, s17, v10
	v_addc_co_u32_e32 v11, vcc, v12, v11, vcc
	global_load_dword v60, v[10:11], off
	v_lshlrev_b32_e32 v55, 5, v52
	v_lshl_or_b32 v10, v53, 9, v55
	s_waitcnt vmcnt(6)
	v_mfma_f32_16x16x16f16 v[6:9], v[32:33], v[18:19], v[6:9]
	v_mov_b32_e32 v11, s8
	v_add_co_u32_e32 v61, vcc, s3, v10
	v_addc_co_u32_e32 v62, vcc, 0, v11, vcc
	v_pk_mul_f32 v[46:47], s[2:3], v[38:39] op_sel_hi:[0,1]
	v_mfma_f32_16x16x16f16 v[30:33], v[34:35], v[20:21], v[6:9]
	s_waitcnt vmcnt(1)
	v_mad_i64_i32 v[34:35], s[8:9], v40, s45, 0
	s_nop 4
	v_mad_i64_i32 v[6:7], s[8:9], v44, s45, 0
	v_lshlrev_b64 v[10:11], 1, v[6:7]
	v_mfma_f32_16x16x16f16 v[6:9], v[26:27], v[2:3], 0
	v_add_co_u32_e32 v2, vcc, v61, v10
	v_addc_co_u32_e32 v3, vcc, v62, v11, vcc
	v_lshlrev_b64 v[34:35], 1, v[34:35]
	v_pk_mul_f32 v[42:43], s[2:3], v[30:31] op_sel_hi:[0,1]
	v_mfma_f32_16x16x16f16 v[26:29], v[28:29], v[4:5], v[6:9]
	v_mfma_f32_16x16x16f16 v[22:25], v[16:17], v[20:21], v[22:25]
	global_load_dwordx4 v[14:17], v[2:3], off
	global_load_dwordx4 v[10:13], v[2:3], off offset:16
	v_mad_i64_i32 v[2:3], s[8:9], v45, s45, 0
	v_lshlrev_b64 v[2:3], 1, v[2:3]
	v_add_co_u32_e32 v2, vcc, v61, v2
	v_addc_co_u32_e32 v3, vcc, v62, v3, vcc
	v_mfma_f32_16x16x16f16 v[26:29], v[56:57], v[18:19], v[26:29]
	s_nop 3
	v_pk_mul_f32 v[38:39], s[2:3], v[22:23] op_sel_hi:[0,1]
	v_add_co_u32_e32 v56, vcc, v61, v34
	v_addc_co_u32_e32 v57, vcc, v62, v35, vcc
	v_pk_mul_f32 v[18:19], s[2:3], v[36:37] op_sel_hi:[0,1]
	v_pk_mul_f32 v[48:49], s[2:3], v[24:25] op_sel_hi:[0,1]
	v_mfma_f32_16x16x16f16 v[20:23], v[58:59], v[20:21], v[26:29]
	v_pk_mul_f32 v[44:45], s[2:3], v[32:33] op_sel_hi:[0,1]
	global_load_dwordx4 v[6:9], v[2:3], off
	s_nop 0
	global_load_dwordx4 v[2:5], v[2:3], off offset:16
	s_nop 6
	v_pk_mul_f32 v[40:41], s[2:3], v[20:21] op_sel_hi:[0,1]
	v_and_b32_e32 v20, 0xc0, v0
	v_add_u32_e32 v20, s16, v20
	v_lshl_or_b32 v20, v1, 2, v20
	v_pk_mul_f32 v[34:35], s[2:3], v[22:23] op_sel_hi:[0,1]
	v_or_b32_e32 v23, 1, v20
	v_mov_b32_e32 v21, 0xff7fffff
	v_cmp_gt_i32_e64 s[30:31], s40, v20
	v_cmp_gt_i32_e64 s[34:35], s40, v23
	v_cndmask_b32_e64 v22, v21, v18, s[30:31]
	v_cndmask_b32_e64 v23, v21, v19, s[34:35]
	v_max3_f32 v22, v22, s42, v23
	v_or_b32_e32 v23, 2, v20
	v_or_b32_e32 v24, 3, v20
	v_cmp_gt_i32_e64 s[36:37], s40, v23
	v_cmp_gt_i32_e64 s[38:39], s40, v24
	v_cndmask_b32_e64 v23, v21, v46, s[36:37]
	v_cndmask_b32_e64 v24, v21, v47, s[38:39]
	v_max3_f32 v22, v22, v23, v24
	v_or_b32_e32 v23, 16, v20
	v_or_b32_e32 v24, 17, v20
	;; [unrolled: 7-line block ×7, first 2 shown]
	v_cmp_gt_i32_e32 vcc, s40, v23
	v_cmp_gt_i32_e64 s[2:3], s40, v20
	v_cndmask_b32_e32 v23, v21, v34, vcc
	v_cndmask_b32_e64 v20, v21, v35, s[2:3]
	v_max3_f32 v26, v22, v23, v20
	v_mbcnt_lo_u32_b32 v20, -1, 0
	v_mbcnt_hi_u32_b32 v27, -1, v20
	v_and_b32_e32 v20, 64, v27
	v_add_u32_e32 v28, 64, v20
	v_xor_b32_e32 v20, 32, v27
	v_cmp_lt_i32_e64 s[40:41], v20, v28
	v_cndmask_b32_e64 v20, v27, v20, s[40:41]
	v_lshlrev_b32_e32 v58, 2, v20
	ds_bpermute_b32 v29, v58, v26
	s_waitcnt vmcnt(4)
	v_mad_i64_i32 v[20:21], s[40:41], v60, s45, 0
	global_load_dwordx4 v[30:33], v[56:57], off
	global_load_dwordx4 v[22:25], v[56:57], off offset:16
	v_lshlrev_b64 v[20:21], 1, v[20:21]
	s_waitcnt lgkmcnt(0)
	v_max_f32_e32 v29, v29, v29
	v_max_f32_e32 v26, v26, v29
	v_xor_b32_e32 v29, 16, v27
	v_cmp_lt_i32_e64 s[40:41], v29, v28
	v_cndmask_b32_e64 v27, v27, v29, s[40:41]
	v_lshlrev_b32_e32 v57, 2, v27
	ds_bpermute_b32 v27, v57, v26
	v_add_co_u32_e64 v20, s[40:41], v61, v20
	v_addc_co_u32_e64 v21, s[40:41], v62, v21, s[40:41]
	s_waitcnt lgkmcnt(0)
	v_max_f32_e32 v27, v27, v27
	v_max_f32_e32 v56, v26, v27
	v_sub_f32_e32 v18, v18, v56
	v_mul_f32_e32 v18, 0x3fb8aa3b, v18
	v_exp_f32_e32 v36, v18
	v_sub_f32_e32 v18, v19, v56
	v_mul_f32_e32 v18, 0x3fb8aa3b, v18
	v_exp_f32_e32 v37, v18
	global_load_dwordx4 v[26:29], v[20:21], off
	s_nop 0
	global_load_dwordx4 v[18:21], v[20:21], off offset:16
	v_sub_f32_e32 v46, v46, v56
	v_mul_f32_e32 v46, 0x3fb8aa3b, v46
	v_sub_f32_e32 v47, v47, v56
	v_exp_f32_e32 v46, v46
	v_mul_f32_e32 v47, 0x3fb8aa3b, v47
	v_sub_f32_e32 v38, v38, v56
	v_exp_f32_e32 v47, v47
	v_mul_f32_e32 v38, 0x3fb8aa3b, v38
	v_sub_f32_e32 v39, v39, v56
	v_cndmask_b32_e64 v36, 0, v36, s[30:31]
	v_exp_f32_e32 v38, v38
	v_mul_f32_e32 v39, 0x3fb8aa3b, v39
	v_sub_f32_e32 v48, v48, v56
	v_add_f32_e32 v59, 0, v36
	v_cndmask_b32_e64 v37, 0, v37, s[34:35]
	v_exp_f32_e32 v39, v39
	v_mul_f32_e32 v48, 0x3fb8aa3b, v48
	v_sub_f32_e32 v49, v49, v56
	v_add_f32_e32 v59, v59, v37
	;; [unrolled: 5-line block ×10, first 2 shown]
	v_cndmask_b32_e64 v44, 0, v44, s[12:13]
	v_exp_f32_e32 v34, v34
	v_mul_f32_e32 v35, 0x3fb8aa3b, v35
	v_add_f32_e32 v59, v59, v44
	v_cndmask_b32_e64 v45, 0, v45, s[14:15]
	v_exp_f32_e32 v35, v35
	v_add_f32_e32 v59, v59, v45
	v_cndmask_b32_e64 v40, 0, v40, s[8:9]
	v_add_f32_e32 v59, v59, v40
	v_cndmask_b32_e64 v41, 0, v41, s[10:11]
	v_add_f32_e32 v59, v59, v41
	v_cndmask_b32_e32 v34, 0, v34, vcc
	v_add_f32_e32 v59, v59, v34
	v_cndmask_b32_e64 v35, 0, v35, s[2:3]
	v_add_f32_e32 v59, v59, v35
	ds_bpermute_b32 v58, v58, v59
	v_cmp_gt_u32_e32 vcc, 16, v54
	s_waitcnt lgkmcnt(0)
	s_barrier
	v_add_f32_e32 v58, v59, v58
	ds_bpermute_b32 v59, v57, v58
	v_lshlrev_b32_e32 v57, 2, v52
	s_and_saveexec_b64 s[2:3], vcc
	s_cbranch_execz .LBB41_13
; %bb.12:
	s_waitcnt lgkmcnt(0)
	v_add_f32_e32 v54, v58, v59
	v_lshl_or_b32 v58, v53, 6, v57
	ds_write2st64_b32 v58, v56, v54 offset1:1
.LBB41_13:
	s_or_b64 exec, exec, s[2:3]
	s_load_dword s8, s[4:5], 0x94
	s_waitcnt lgkmcnt(0)
	s_barrier
	ds_read2_b32 v[58:59], v57 offset1:16
	ds_read2_b32 v[60:61], v57 offset0:32 offset1:48
	ds_read2_b32 v[62:63], v57 offset0:64 offset1:80
	s_mul_i32 s9, s33, 6
	s_waitcnt lgkmcnt(2)
	v_max3_f32 v54, v58, s42, v59
	s_waitcnt lgkmcnt(1)
	v_max3_f32 v54, v54, v60, v61
	v_sub_f32_e32 v56, v58, v54
	v_mul_f32_e32 v56, 0x3fb8aa3b, v56
	v_exp_f32_e32 v64, v56
	v_sub_f32_e32 v56, v59, v54
	v_mul_f32_e32 v56, 0x3fb8aa3b, v56
	v_exp_f32_e32 v65, v56
	;; [unrolled: 3-line block ×3, first 2 shown]
	ds_read2_b32 v[58:59], v57 offset0:96 offset1:112
	v_sub_f32_e32 v56, v61, v54
	v_mul_f32_e32 v56, 0x3fb8aa3b, v56
	v_exp_f32_e32 v57, v56
	s_waitcnt lgkmcnt(1)
	v_fma_f32 v56, v64, v62, 0
	v_fmac_f32_e32 v56, v65, v63
	s_waitcnt lgkmcnt(0)
	v_fmac_f32_e32 v56, v60, v58
	v_fmac_f32_e32 v56, v57, v59
	v_add_f32_e32 v58, 0x358637bd, v56
	v_div_scale_f32 v59, s[2:3], v58, v58, 1.0
	v_rcp_f32_e32 v61, v59
	s_barrier
	v_fma_f32 v62, -v59, v61, 1.0
	v_fmac_f32_e32 v61, v62, v61
	v_div_scale_f32 v62, vcc, 1.0, v58, 1.0
	v_mul_f32_e32 v63, v62, v61
	v_fma_f32 v66, -v59, v63, v62
	v_fmac_f32_e32 v63, v66, v61
	v_fma_f32 v59, -v59, v63, v62
	v_div_fmas_f32 v59, v59, v61, v63
	v_cmp_eq_u32_e32 vcc, 1, v53
	v_div_fixup_f32 v58, v59, v58, 1.0
	v_cndmask_b32_e32 v59, v64, v65, vcc
	v_cmp_eq_u32_e32 vcc, 2, v53
	v_cndmask_b32_e32 v59, v59, v60, vcc
	v_cmp_eq_u32_e32 vcc, 3, v53
	v_cndmask_b32_e32 v57, v59, v57, vcc
	v_mul_f32_e32 v58, v57, v58
	v_pk_mul_f32 v[36:37], v[58:59], v[36:37] op_sel_hi:[0,1]
	v_cvt_f16_f32_e32 v36, v36
	v_cvt_f16_f32_e32 v37, v37
	v_pk_mul_f32 v[46:47], v[58:59], v[46:47] op_sel_hi:[0,1]
	v_cvt_f16_f32_e32 v57, v46
	v_cvt_f16_f32_e32 v47, v47
	v_pack_b32_f16 v46, v36, v37
	v_pk_mul_f32 v[36:37], v[58:59], v[48:49] op_sel_hi:[0,1]
	v_pk_mul_f32 v[38:39], v[58:59], v[38:39] op_sel_hi:[0,1]
	v_cvt_f16_f32_e32 v38, v38
	v_cvt_f16_f32_e32 v39, v39
	v_cvt_f16_f32_e32 v48, v36
	v_cvt_f16_f32_e32 v37, v37
	v_pack_b32_f16 v47, v57, v47
	v_lshlrev_b32_e32 v57, 3, v1
	v_lshlrev_b32_e32 v36, 11, v53
	v_or3_b32 v36, v36, v55, v57
	v_pack_b32_f16 v38, v38, v39
	v_pack_b32_f16 v39, v48, v37
	ds_write2st64_b64 v36, v[46:47], v[38:39] offset1:1
	v_pk_mul_f32 v[38:39], v[58:59], v[44:45] op_sel_hi:[0,1]
	v_pk_mul_f32 v[42:43], v[58:59], v[42:43] op_sel_hi:[0,1]
	v_cvt_f16_f32_e32 v37, v42
	v_cvt_f16_f32_e32 v42, v43
	;; [unrolled: 1-line block ×4, first 2 shown]
	v_pk_mul_f32 v[34:35], v[58:59], v[34:35] op_sel_hi:[0,1]
	v_pk_mul_f32 v[38:39], v[58:59], v[40:41] op_sel_hi:[0,1]
	v_cvt_f16_f32_e32 v38, v38
	v_cvt_f16_f32_e32 v39, v39
	;; [unrolled: 1-line block ×4, first 2 shown]
	v_pack_b32_f16 v34, v37, v42
	v_pack_b32_f16 v35, v43, v44
	;; [unrolled: 1-line block ×4, first 2 shown]
	v_cmp_gt_u32_e32 vcc, 6, v0
	ds_write2st64_b64 v36, v[34:35], v[38:39] offset0:2 offset1:3
	s_and_saveexec_b64 s[2:3], vcc
	s_cbranch_execz .LBB41_15
; %bb.14:
	v_add_co_u32_e32 v38, vcc, s29, v52
	v_addc_co_u32_e64 v39, s[10:11], 0, 0, vcc
	v_mov_b32_e32 v34, s9
	v_mov_b32_e32 v35, 0
	v_mad_u64_u32 v[38:39], s[10:11], s6, v34, v[38:39]
	v_mov_b32_e32 v34, s28
	s_load_dwordx4 s[12:15], s[4:5], 0x58
	s_mul_i32 s7, s7, s9
	v_mad_u64_u32 v[34:35], s[10:11], v38, s8, v[34:35]
	v_add_u32_e32 v37, s7, v39
	v_mov_b32_e32 v38, v35
	v_mad_u64_u32 v[38:39], s[10:11], v37, s8, v[38:39]
	v_mov_b32_e32 v35, v38
	v_lshlrev_b64 v[34:35], 2, v[34:35]
	s_waitcnt lgkmcnt(0)
	v_mov_b32_e32 v37, s15
	v_add_co_u32_e32 v38, vcc, s14, v34
	v_addc_co_u32_e32 v39, vcc, v37, v35, vcc
	v_mov_b32_e32 v37, s13
	v_add_co_u32_e32 v34, vcc, s12, v34
	v_addc_co_u32_e32 v35, vcc, v37, v35, vcc
	global_store_dword v[38:39], v54, off
	global_store_dword v[34:35], v56, off
.LBB41_15:
	s_or_b64 exec, exec, s[2:3]
	v_lshl_or_b32 v34, v1, 9, v55
	s_waitcnt lgkmcnt(0)
	s_barrier
	ds_read_b128 v[38:41], v34
	ds_read_b128 v[42:45], v34 offset:16
	s_waitcnt vmcnt(7) lgkmcnt(1)
	v_mfma_f32_16x16x16f16 v[46:49], v[14:15], v[38:39], 0
	v_cmp_gt_u32_e32 vcc, 64, v0
	s_mov_b32 s3, 0
	s_and_b64 s[0:1], vcc, s[0:1]
	v_mfma_f32_16x16x16f16 v[14:17], v[16:17], v[40:41], v[46:49]
	s_waitcnt vmcnt(6) lgkmcnt(0)
	v_mfma_f32_16x16x16f16 v[14:17], v[10:11], v[42:43], v[14:17]
	v_mfma_f32_16x16x16f16 v[10:13], v[12:13], v[44:45], v[14:17]
	s_nop 7
	s_nop 1
	ds_read_b128 v[14:17], v34 offset:2048
	ds_read_b128 v[38:41], v34 offset:2064
	s_waitcnt vmcnt(5) lgkmcnt(1)
	v_mfma_f32_16x16x16f16 v[10:13], v[6:7], v[14:15], v[10:13]
	v_mfma_f32_16x16x16f16 v[6:9], v[8:9], v[16:17], v[10:13]
	s_waitcnt vmcnt(4) lgkmcnt(0)
	v_mfma_f32_16x16x16f16 v[6:9], v[2:3], v[38:39], v[6:9]
	v_mfma_f32_16x16x16f16 v[2:5], v[4:5], v[40:41], v[6:9]
	s_nop 7
	s_nop 1
	ds_read_b128 v[6:9], v34 offset:4096
	ds_read_b128 v[10:13], v34 offset:4112
	s_waitcnt vmcnt(3) lgkmcnt(1)
	v_mfma_f32_16x16x16f16 v[2:5], v[30:31], v[6:7], v[2:5]
	v_mfma_f32_16x16x16f16 v[2:5], v[32:33], v[8:9], v[2:5]
	s_waitcnt vmcnt(2) lgkmcnt(0)
	v_mfma_f32_16x16x16f16 v[2:5], v[22:23], v[10:11], v[2:5]
	v_mfma_f32_16x16x16f16 v[2:5], v[24:25], v[12:13], v[2:5]
	ds_read_b128 v[6:9], v34 offset:6144
	ds_read_b128 v[10:13], v34 offset:6160
	s_waitcnt lgkmcnt(0)
	s_barrier
	s_waitcnt vmcnt(1)
	v_mfma_f32_16x16x16f16 v[2:5], v[26:27], v[6:7], v[2:5]
	v_mfma_f32_16x16x16f16 v[2:5], v[28:29], v[8:9], v[2:5]
	s_waitcnt vmcnt(0)
	v_mfma_f32_16x16x16f16 v[2:5], v[18:19], v[10:11], v[2:5]
	v_mfma_f32_16x16x16f16 v[2:5], v[20:21], v[12:13], v[2:5]
	s_nop 7
	s_nop 2
	v_cvt_f16_f32_e32 v2, v2
	v_cvt_f16_f32_e32 v3, v3
	;; [unrolled: 1-line block ×4, first 2 shown]
	v_pack_b32_f16 v2, v2, v3
	v_pack_b32_f16 v3, v4, v5
	ds_write_b64 v36, v[2:3]
	s_waitcnt lgkmcnt(0)
	s_barrier
	s_and_saveexec_b64 s[10:11], s[0:1]
	s_cbranch_execz .LBB41_18
; %bb.16:
	s_load_dwordx2 s[4:5], s[4:5], 0x68
	s_lshl_b32 s0, s8, 6
	s_mul_i32 s1, s9, s6
	s_mul_hi_u32 s7, s1, s0
	s_mul_i32 s6, s1, s0
	s_lshl_b64 s[6:7], s[6:7], 1
	s_waitcnt lgkmcnt(0)
	s_add_u32 s1, s4, s6
	s_addc_u32 s4, s5, s7
	s_lshl_b32 s2, s28, 6
	v_lshlrev_b32_e32 v0, 10, v0
	s_lshl_b64 s[2:3], s[2:3], 1
	v_and_b32_e32 v2, 0x1800, v0
	v_lshlrev_b32_e32 v3, 5, v1
	v_and_b32_e32 v4, 16, v51
	s_add_u32 s1, s1, s2
	v_or_b32_e32 v0, 4, v1
	v_or3_b32 v2, v2, v3, v4
	s_addc_u32 s2, s4, s3
	v_add_u32_e32 v1, s29, v1
	v_mov_b32_e32 v4, s2
	v_add_co_u32_e32 v3, vcc, s1, v50
	ds_read_b128 v[6:9], v2
	v_mad_u64_u32 v[10:11], s[2:3], v1, s0, 0
	v_addc_co_u32_e32 v4, vcc, 0, v4, vcc
	v_lshlrev_b64 v[10:11], 1, v[10:11]
	v_add_co_u32_e32 v10, vcc, v3, v10
	v_addc_co_u32_e32 v11, vcc, v4, v11, vcc
	v_cmp_gt_u32_e32 vcc, 6, v0
	s_waitcnt lgkmcnt(0)
	global_store_dwordx4 v[10:11], v[6:9], off
	s_and_b64 exec, exec, vcc
	s_cbranch_execz .LBB41_18
; %bb.17:
	ds_read_b128 v[6:9], v2 offset:128
	v_add_u32_e32 v0, s29, v0
	v_mad_u64_u32 v[0:1], s[0:1], v0, s0, 0
	v_lshlrev_b64 v[0:1], 1, v[0:1]
	v_add_co_u32_e32 v0, vcc, v3, v0
	v_addc_co_u32_e32 v1, vcc, v4, v1, vcc
	s_waitcnt lgkmcnt(0)
	global_store_dwordx4 v[0:1], v[6:9], off
.LBB41_18:
	s_endpgm
	.section	.rodata,"a",@progbits
	.p2align	6, 0x0
	.amdhsa_kernel _Z39paged_attention_ll4mi_QKV_mfma16_kernelIDF16_DF16_LN4vllm18Fp8KVCacheDataTypeE0EDF16_Li16ELi64ELi256ELb0ELi6EL8MFMAType0EEvPKT_PKT0_S8_ifPKiSA_SA_iPKfiiiPfSD_PS3_PT2_iSC_SC_
		.amdhsa_group_segment_fixed_size 8192
		.amdhsa_private_segment_fixed_size 0
		.amdhsa_kernarg_size 400
		.amdhsa_user_sgpr_count 6
		.amdhsa_user_sgpr_private_segment_buffer 1
		.amdhsa_user_sgpr_dispatch_ptr 0
		.amdhsa_user_sgpr_queue_ptr 0
		.amdhsa_user_sgpr_kernarg_segment_ptr 1
		.amdhsa_user_sgpr_dispatch_id 0
		.amdhsa_user_sgpr_flat_scratch_init 0
		.amdhsa_user_sgpr_kernarg_preload_length 0
		.amdhsa_user_sgpr_kernarg_preload_offset 0
		.amdhsa_user_sgpr_private_segment_size 0
		.amdhsa_uses_dynamic_stack 0
		.amdhsa_system_sgpr_private_segment_wavefront_offset 0
		.amdhsa_system_sgpr_workgroup_id_x 1
		.amdhsa_system_sgpr_workgroup_id_y 1
		.amdhsa_system_sgpr_workgroup_id_z 1
		.amdhsa_system_sgpr_workgroup_info 0
		.amdhsa_system_vgpr_workitem_id 0
		.amdhsa_next_free_vgpr 67
		.amdhsa_next_free_sgpr 48
		.amdhsa_accum_offset 68
		.amdhsa_reserve_vcc 1
		.amdhsa_reserve_flat_scratch 0
		.amdhsa_float_round_mode_32 0
		.amdhsa_float_round_mode_16_64 0
		.amdhsa_float_denorm_mode_32 3
		.amdhsa_float_denorm_mode_16_64 3
		.amdhsa_dx10_clamp 1
		.amdhsa_ieee_mode 1
		.amdhsa_fp16_overflow 0
		.amdhsa_tg_split 0
		.amdhsa_exception_fp_ieee_invalid_op 0
		.amdhsa_exception_fp_denorm_src 0
		.amdhsa_exception_fp_ieee_div_zero 0
		.amdhsa_exception_fp_ieee_overflow 0
		.amdhsa_exception_fp_ieee_underflow 0
		.amdhsa_exception_fp_ieee_inexact 0
		.amdhsa_exception_int_div_zero 0
	.end_amdhsa_kernel
	.section	.text._Z39paged_attention_ll4mi_QKV_mfma16_kernelIDF16_DF16_LN4vllm18Fp8KVCacheDataTypeE0EDF16_Li16ELi64ELi256ELb0ELi6EL8MFMAType0EEvPKT_PKT0_S8_ifPKiSA_SA_iPKfiiiPfSD_PS3_PT2_iSC_SC_,"axG",@progbits,_Z39paged_attention_ll4mi_QKV_mfma16_kernelIDF16_DF16_LN4vllm18Fp8KVCacheDataTypeE0EDF16_Li16ELi64ELi256ELb0ELi6EL8MFMAType0EEvPKT_PKT0_S8_ifPKiSA_SA_iPKfiiiPfSD_PS3_PT2_iSC_SC_,comdat
.Lfunc_end41:
	.size	_Z39paged_attention_ll4mi_QKV_mfma16_kernelIDF16_DF16_LN4vllm18Fp8KVCacheDataTypeE0EDF16_Li16ELi64ELi256ELb0ELi6EL8MFMAType0EEvPKT_PKT0_S8_ifPKiSA_SA_iPKfiiiPfSD_PS3_PT2_iSC_SC_, .Lfunc_end41-_Z39paged_attention_ll4mi_QKV_mfma16_kernelIDF16_DF16_LN4vllm18Fp8KVCacheDataTypeE0EDF16_Li16ELi64ELi256ELb0ELi6EL8MFMAType0EEvPKT_PKT0_S8_ifPKiSA_SA_iPKfiiiPfSD_PS3_PT2_iSC_SC_
                                        ; -- End function
	.section	.AMDGPU.csdata,"",@progbits
; Kernel info:
; codeLenInByte = 3960
; NumSgprs: 52
; NumVgprs: 67
; NumAgprs: 0
; TotalNumVgprs: 67
; ScratchSize: 0
; MemoryBound: 0
; FloatMode: 240
; IeeeMode: 1
; LDSByteSize: 8192 bytes/workgroup (compile time only)
; SGPRBlocks: 6
; VGPRBlocks: 8
; NumSGPRsForWavesPerEU: 52
; NumVGPRsForWavesPerEU: 67
; AccumOffset: 68
; Occupancy: 7
; WaveLimiterHint : 1
; COMPUTE_PGM_RSRC2:SCRATCH_EN: 0
; COMPUTE_PGM_RSRC2:USER_SGPR: 6
; COMPUTE_PGM_RSRC2:TRAP_HANDLER: 0
; COMPUTE_PGM_RSRC2:TGID_X_EN: 1
; COMPUTE_PGM_RSRC2:TGID_Y_EN: 1
; COMPUTE_PGM_RSRC2:TGID_Z_EN: 1
; COMPUTE_PGM_RSRC2:TIDIG_COMP_CNT: 0
; COMPUTE_PGM_RSRC3_GFX90A:ACCUM_OFFSET: 16
; COMPUTE_PGM_RSRC3_GFX90A:TG_SPLIT: 0
	.section	.text._Z39paged_attention_ll4mi_QKV_mfma16_kernelIDF16_DF16_LN4vllm18Fp8KVCacheDataTypeE0EDF16_Li16ELi64ELi256ELb0ELi7EL8MFMAType0EEvPKT_PKT0_S8_ifPKiSA_SA_iPKfiiiPfSD_PS3_PT2_iSC_SC_,"axG",@progbits,_Z39paged_attention_ll4mi_QKV_mfma16_kernelIDF16_DF16_LN4vllm18Fp8KVCacheDataTypeE0EDF16_Li16ELi64ELi256ELb0ELi7EL8MFMAType0EEvPKT_PKT0_S8_ifPKiSA_SA_iPKfiiiPfSD_PS3_PT2_iSC_SC_,comdat
	.protected	_Z39paged_attention_ll4mi_QKV_mfma16_kernelIDF16_DF16_LN4vllm18Fp8KVCacheDataTypeE0EDF16_Li16ELi64ELi256ELb0ELi7EL8MFMAType0EEvPKT_PKT0_S8_ifPKiSA_SA_iPKfiiiPfSD_PS3_PT2_iSC_SC_ ; -- Begin function _Z39paged_attention_ll4mi_QKV_mfma16_kernelIDF16_DF16_LN4vllm18Fp8KVCacheDataTypeE0EDF16_Li16ELi64ELi256ELb0ELi7EL8MFMAType0EEvPKT_PKT0_S8_ifPKiSA_SA_iPKfiiiPfSD_PS3_PT2_iSC_SC_
	.globl	_Z39paged_attention_ll4mi_QKV_mfma16_kernelIDF16_DF16_LN4vllm18Fp8KVCacheDataTypeE0EDF16_Li16ELi64ELi256ELb0ELi7EL8MFMAType0EEvPKT_PKT0_S8_ifPKiSA_SA_iPKfiiiPfSD_PS3_PT2_iSC_SC_
	.p2align	8
	.type	_Z39paged_attention_ll4mi_QKV_mfma16_kernelIDF16_DF16_LN4vllm18Fp8KVCacheDataTypeE0EDF16_Li16ELi64ELi256ELb0ELi7EL8MFMAType0EEvPKT_PKT0_S8_ifPKiSA_SA_iPKfiiiPfSD_PS3_PT2_iSC_SC_,@function
_Z39paged_attention_ll4mi_QKV_mfma16_kernelIDF16_DF16_LN4vllm18Fp8KVCacheDataTypeE0EDF16_Li16ELi64ELi256ELb0ELi7EL8MFMAType0EEvPKT_PKT0_S8_ifPKiSA_SA_iPKfiiiPfSD_PS3_PT2_iSC_SC_: ; @_Z39paged_attention_ll4mi_QKV_mfma16_kernelIDF16_DF16_LN4vllm18Fp8KVCacheDataTypeE0EDF16_Li16ELi64ELi256ELb0ELi7EL8MFMAType0EEvPKT_PKT0_S8_ifPKiSA_SA_iPKfiiiPfSD_PS3_PT2_iSC_SC_
; %bb.0:
	s_load_dwordx2 s[0:1], s[4:5], 0x30
	s_mov_b32 s28, s7
	s_mov_b64 s[10:11], 0
	s_waitcnt lgkmcnt(0)
	s_cmp_lg_u64 s[0:1], 0
	s_cselect_b64 s[2:3], -1, 0
	s_and_b64 vcc, exec, s[2:3]
	s_cbranch_vccz .LBB42_7
; %bb.1:
	s_add_i32 s12, s6, 1
	s_mov_b32 s13, 0
	s_lshl_b64 s[14:15], s[12:13], 2
	s_add_u32 s14, s0, s14
	s_mov_b32 s7, s13
	s_addc_u32 s15, s1, s15
	s_lshl_b64 s[12:13], s[6:7], 2
	s_add_u32 s12, s0, s12
	s_addc_u32 s13, s1, s13
	s_load_dword s9, s[14:15], 0x0
	s_load_dword s16, s[12:13], 0x0
	s_waitcnt lgkmcnt(0)
	s_sub_i32 s9, s9, s16
	s_cmp_eq_u32 s9, 1
	s_cselect_b64 s[12:13], -1, 0
	s_andn2_b64 vcc, exec, s[10:11]
	s_cbranch_vccnz .LBB42_3
.LBB42_2:
	s_mov_b32 s7, 0
	s_mov_b64 s[12:13], -1
.LBB42_3:
	s_andn2_b64 vcc, exec, s[12:13]
	s_cbranch_vccnz .LBB42_18
; %bb.4:
	s_load_dwordx2 s[12:13], s[4:5], 0x28
	s_lshl_b64 s[10:11], s[6:7], 2
	s_waitcnt lgkmcnt(0)
	s_add_u32 s12, s12, s10
	s_addc_u32 s13, s13, s11
	s_load_dword s40, s[12:13], 0x0
	s_lshl_b32 s16, s28, 8
	s_waitcnt lgkmcnt(0)
	s_cmp_ge_i32 s16, s40
	s_cbranch_scc1 .LBB42_18
; %bb.5:
	s_add_i32 s14, s40, 15
	s_load_dwordx2 s[12:13], s[4:5], 0x20
	s_load_dword s9, s[4:5], 0x38
	s_ashr_i32 s15, s14, 31
	v_and_b32_e32 v1, 0xcf, v0
	s_lshr_b32 s15, s15, 28
	v_add_u32_e32 v1, s16, v1
	s_add_i32 s14, s14, s15
	v_ashrrev_i32_e32 v2, 31, v1
	s_ashr_i32 s19, s14, 4
	v_lshrrev_b32_e32 v10, 28, v2
	s_add_i32 s19, s19, -1
	v_add_u32_e32 v2, v1, v10
	s_waitcnt lgkmcnt(0)
	s_mul_i32 s14, s6, s9
	s_mov_b32 s15, 0
	v_ashrrev_i32_e32 v2, 4, v2
	v_mov_b32_e32 v11, s19
	v_cmp_gt_i32_e32 vcc, s40, v1
	s_lshl_b64 s[14:15], s[14:15], 2
	v_cndmask_b32_e32 v2, v11, v2, vcc
	s_add_u32 s17, s12, s14
	v_ashrrev_i32_e32 v3, 31, v2
	s_addc_u32 s18, s13, s15
	v_lshlrev_b64 v[2:3], 2, v[2:3]
	v_mov_b32_e32 v5, s18
	v_add_co_u32_e32 v4, vcc, s17, v2
	v_or_b32_e32 v2, 16, v1
	v_addc_co_u32_e32 v5, vcc, v5, v3, vcc
	v_add_u32_e32 v3, v2, v10
	v_ashrrev_i32_e32 v3, 4, v3
	v_cmp_gt_i32_e32 vcc, s40, v2
	v_cndmask_b32_e32 v2, v11, v3, vcc
	v_ashrrev_i32_e32 v3, 31, v2
	v_lshlrev_b64 v[2:3], 2, v[2:3]
	v_mov_b32_e32 v7, s18
	v_add_co_u32_e32 v6, vcc, s17, v2
	v_or_b32_e32 v2, 32, v1
	v_addc_co_u32_e32 v7, vcc, v7, v3, vcc
	v_add_u32_e32 v3, v2, v10
	v_ashrrev_i32_e32 v3, 4, v3
	v_cmp_gt_i32_e32 vcc, s40, v2
	v_cndmask_b32_e32 v2, v11, v3, vcc
	v_ashrrev_i32_e32 v3, 31, v2
	;; [unrolled: 10-line block ×3, first 2 shown]
	v_lshlrev_b64 v[2:3], 2, v[2:3]
	v_mov_b32_e32 v1, s18
	v_add_co_u32_e32 v10, vcc, s17, v2
	v_addc_co_u32_e32 v11, vcc, v1, v3, vcc
	global_load_dword v3, v[4:5], off
	global_load_dword v2, v[6:7], off
	global_load_dword v18, v[8:9], off
	global_load_dword v28, v[10:11], off
	s_load_dwordx4 s[12:15], s[4:5], 0x8
	s_andn2_b64 vcc, exec, s[2:3]
	s_cbranch_vccnz .LBB42_8
; %bb.6:
	s_add_u32 s0, s0, s10
	s_addc_u32 s1, s1, s11
	s_load_dword s9, s[0:1], 0x0
	s_branch .LBB42_9
.LBB42_7:
	s_mov_b64 s[12:13], 0
	s_branch .LBB42_2
.LBB42_8:
	s_mov_b32 s9, s6
.LBB42_9:
	s_load_dwordx4 s[44:47], s[4:5], 0x48
	v_lshrrev_b32_e32 v53, 6, v0
	v_bfe_u32 v1, v0, 4, 2
	v_lshl_or_b32 v4, v53, 2, v1
	v_and_b32_e32 v52, 15, v0
	v_lshlrev_b32_e32 v5, 3, v52
	v_cmp_gt_u32_e32 vcc, 7, v4
	v_cmp_gt_u32_e64 s[0:1], 8, v52
	v_and_b32_e32 v54, 63, v0
	s_mul_i32 s29, s8, 7
	s_and_b64 s[10:11], s[0:1], vcc
	v_lshlrev_b32_e32 v50, 1, v5
	s_and_saveexec_b64 s[2:3], s[10:11]
	s_cbranch_execz .LBB42_11
; %bb.10:
	s_load_dwordx2 s[10:11], s[4:5], 0x0
	s_waitcnt lgkmcnt(0)
	s_ashr_i32 s20, s44, 31
	s_mul_hi_u32 s21, s9, s44
	s_mul_i32 s20, s9, s20
	s_add_i32 s21, s21, s20
	s_mul_i32 s20, s9, s44
	s_lshl_b64 s[20:21], s[20:21], 1
	v_add_lshl_u32 v6, v4, s29, 6
	s_add_u32 s9, s10, s20
	v_ashrrev_i32_e32 v7, 31, v6
	s_addc_u32 s10, s11, s21
	v_lshlrev_b64 v[6:7], 1, v[6:7]
	v_mov_b32_e32 v5, s10
	v_add_co_u32_e32 v6, vcc, s9, v6
	v_addc_co_u32_e32 v5, vcc, v5, v7, vcc
	v_add_co_u32_e32 v6, vcc, v6, v50
	v_addc_co_u32_e32 v7, vcc, 0, v5, vcc
	global_load_dwordx4 v[6:9], v[6:7], off
	v_and_b32_e32 v5, 3, v0
	v_lshlrev_b32_e32 v10, 9, v52
	v_lshlrev_b32_e32 v4, 5, v4
	;; [unrolled: 1-line block ×3, first 2 shown]
	v_and_b32_e32 v10, 0x1800, v10
	v_or3_b32 v4, v10, v5, v4
	s_waitcnt vmcnt(0)
	ds_write_b128 v4, v[6:9]
.LBB42_11:
	s_or_b64 exec, exec, s[2:3]
	s_waitcnt lgkmcnt(0)
	s_mul_i32 s8, s8, s46
	s_mov_b32 s9, 0
	s_lshl_b64 s[8:9], s[8:9], 1
	s_add_u32 s3, s12, s8
	v_lshlrev_b32_e32 v51, 4, v0
	s_addc_u32 s10, s13, s9
	v_and_b32_e32 v4, 0xf0, v51
	v_mov_b32_e32 v5, s10
	v_add_co_u32_e32 v29, vcc, s3, v4
	v_addc_co_u32_e32 v30, vcc, 0, v5, vcc
	s_waitcnt vmcnt(3)
	v_mad_i64_i32 v[4:5], s[10:11], v3, s45, 0
	v_lshlrev_b64 v[4:5], 1, v[4:5]
	v_add_co_u32_e32 v3, vcc, v29, v4
	v_addc_co_u32_e32 v5, vcc, v30, v5, vcc
	v_and_b32_e32 v31, 0x300, v51
	v_add_co_u32_e32 v4, vcc, v3, v31
	v_addc_co_u32_e32 v5, vcc, 0, v5, vcc
	s_load_dword s33, s[4:5], 0x98
	s_load_dword s2, s[4:5], 0x1c
	s_waitcnt lgkmcnt(0)
	s_barrier
	global_load_dwordx4 v[6:9], v[4:5], off
	s_waitcnt vmcnt(3)
	v_mad_i64_i32 v[2:3], s[10:11], v2, s45, 0
	v_lshlrev_b64 v[2:3], 1, v[2:3]
	v_add_co_u32_e32 v2, vcc, v29, v2
	v_addc_co_u32_e32 v3, vcc, v30, v3, vcc
	v_add_co_u32_e32 v2, vcc, v2, v31
	v_addc_co_u32_e32 v3, vcc, 0, v3, vcc
	global_load_dwordx4 v[22:25], v[2:3], off
	global_load_dwordx4 v[10:13], v[4:5], off offset:1024
	global_load_dwordx4 v[14:17], v[2:3], off offset:1024
	v_mul_lo_u16_e32 v2, 37, v52
	v_mov_b32_e32 v3, 7
	v_mul_lo_u16_sdwa v2, v2, v3 dst_sel:DWORD dst_unused:UNUSED_PAD src0_sel:BYTE_1 src1_sel:DWORD
	v_mov_b32_e32 v4, 5
	v_sub_u16_e32 v2, v52, v2
	v_lshlrev_b32_sdwa v2, v4, v2 dst_sel:DWORD dst_unused:UNUSED_PAD src0_sel:DWORD src1_sel:BYTE_0
	v_lshl_add_u32 v20, v1, 9, v2
	ds_read_b128 v[2:5], v20
	s_waitcnt vmcnt(5)
	v_mad_i64_i32 v[18:19], s[10:11], v18, s45, 0
	v_lshlrev_b64 v[26:27], 1, v[18:19]
	v_and_or_b32 v55, v0, 48, s16
	ds_read_b128 v[18:21], v20 offset:2048
	v_mov_b32_e32 v60, s19
	v_or_b32_e32 v48, 64, v55
	v_or_b32_e32 v49, 0x80, v55
	v_mov_b32_e32 v56, s18
	s_add_u32 s3, s14, s8
	s_addc_u32 s8, s15, s9
	s_mov_b32 s42, 0xff7fffff
	s_waitcnt vmcnt(2) lgkmcnt(1)
	v_mfma_f32_16x16x16f16 v[36:39], v[22:23], v[2:3], 0
	v_mad_i64_i32 v[22:23], s[10:11], v28, s45, 0
	v_lshlrev_b64 v[44:45], 1, v[22:23]
	v_ashrrev_i32_e32 v22, 4, v55
	v_mov_b32_e32 v28, s18
	v_mfma_f32_16x16x16f16 v[32:35], v[6:7], v[2:3], 0
	v_add_co_u32_e32 v6, vcc, v29, v26
	v_addc_co_u32_e32 v7, vcc, v30, v27, vcc
	v_add_co_u32_e32 v26, vcc, v6, v31
	v_addc_co_u32_e32 v27, vcc, 0, v7, vcc
	global_load_dwordx4 v[40:43], v[26:27], off
	v_mfma_f32_16x16x16f16 v[6:9], v[8:9], v[4:5], v[32:35]
	v_cmp_gt_i32_e32 vcc, s40, v55
	v_cndmask_b32_e32 v46, v60, v22, vcc
	v_ashrrev_i32_e32 v47, 31, v46
	v_cmp_gt_i32_e32 vcc, s40, v48
	s_nop 2
	global_load_dwordx4 v[32:35], v[26:27], off offset:1024
	v_mfma_f32_16x16x16f16 v[22:25], v[24:25], v[4:5], v[36:39]
	v_lshlrev_b64 v[26:27], 2, v[46:47]
	s_nop 5
	v_ashrrev_i32_e32 v36, 4, v48
	v_cndmask_b32_e32 v48, v60, v36, vcc
	s_waitcnt vmcnt(3) lgkmcnt(0)
	v_mfma_f32_16x16x16f16 v[6:9], v[10:11], v[18:19], v[6:9]
	v_add_co_u32_e32 v10, vcc, s17, v26
	v_addc_co_u32_e32 v11, vcc, v28, v27, vcc
	v_add_co_u32_e32 v26, vcc, v29, v44
	v_addc_co_u32_e32 v27, vcc, v30, v45, vcc
	s_waitcnt vmcnt(2)
	v_mfma_f32_16x16x16f16 v[22:25], v[14:15], v[18:19], v[22:25]
	v_add_co_u32_e32 v14, vcc, v26, v31
	v_addc_co_u32_e32 v15, vcc, 0, v27, vcc
	global_load_dwordx4 v[26:29], v[14:15], off
	global_load_dword v44, v[10:11], off
	v_ashrrev_i32_e32 v37, 4, v49
	v_cmp_gt_i32_e32 vcc, s40, v49
	v_ashrrev_i32_e32 v49, 31, v48
	v_cndmask_b32_e32 v10, v60, v37, vcc
	v_mfma_f32_16x16x16f16 v[36:39], v[12:13], v[20:21], v[6:9]
	v_ashrrev_i32_e32 v11, 31, v10
	v_mov_b32_e32 v12, s18
	s_nop 4
	v_lshlrev_b64 v[6:7], 2, v[48:49]
	v_add_co_u32_e32 v6, vcc, s17, v6
	v_addc_co_u32_e32 v7, vcc, v56, v7, vcc
	global_load_dwordx4 v[56:59], v[14:15], off offset:1024
	global_load_dword v45, v[6:7], off
	v_lshlrev_b64 v[6:7], 2, v[10:11]
	v_mov_b32_e32 v8, s18
	v_add_co_u32_e32 v10, vcc, s17, v6
	v_addc_co_u32_e32 v11, vcc, v8, v7, vcc
	s_waitcnt vmcnt(5)
	v_mfma_f32_16x16x16f16 v[6:9], v[40:41], v[2:3], 0
	global_load_dword v40, v[10:11], off
	v_or_b32_e32 v10, 0xc0, v55
	v_ashrrev_i32_e32 v11, 4, v10
	v_cmp_gt_i32_e32 vcc, s40, v10
	v_cndmask_b32_e32 v10, v60, v11, vcc
	v_ashrrev_i32_e32 v11, 31, v10
	v_lshlrev_b64 v[10:11], 2, v[10:11]
	v_mfma_f32_16x16x16f16 v[6:9], v[42:43], v[4:5], v[6:9]
	v_add_co_u32_e32 v10, vcc, s17, v10
	v_addc_co_u32_e32 v11, vcc, v12, v11, vcc
	global_load_dword v60, v[10:11], off
	v_lshlrev_b32_e32 v55, 5, v52
	v_lshl_or_b32 v10, v53, 9, v55
	s_waitcnt vmcnt(6)
	v_mfma_f32_16x16x16f16 v[6:9], v[32:33], v[18:19], v[6:9]
	v_mov_b32_e32 v11, s8
	v_add_co_u32_e32 v61, vcc, s3, v10
	v_addc_co_u32_e32 v62, vcc, 0, v11, vcc
	v_pk_mul_f32 v[46:47], s[2:3], v[38:39] op_sel_hi:[0,1]
	v_mfma_f32_16x16x16f16 v[30:33], v[34:35], v[20:21], v[6:9]
	s_waitcnt vmcnt(1)
	v_mad_i64_i32 v[34:35], s[8:9], v40, s45, 0
	s_nop 4
	v_mad_i64_i32 v[6:7], s[8:9], v44, s45, 0
	v_lshlrev_b64 v[10:11], 1, v[6:7]
	v_mfma_f32_16x16x16f16 v[6:9], v[26:27], v[2:3], 0
	v_add_co_u32_e32 v2, vcc, v61, v10
	v_addc_co_u32_e32 v3, vcc, v62, v11, vcc
	v_lshlrev_b64 v[34:35], 1, v[34:35]
	v_pk_mul_f32 v[42:43], s[2:3], v[30:31] op_sel_hi:[0,1]
	v_mfma_f32_16x16x16f16 v[26:29], v[28:29], v[4:5], v[6:9]
	v_mfma_f32_16x16x16f16 v[22:25], v[16:17], v[20:21], v[22:25]
	global_load_dwordx4 v[14:17], v[2:3], off
	global_load_dwordx4 v[10:13], v[2:3], off offset:16
	v_mad_i64_i32 v[2:3], s[8:9], v45, s45, 0
	v_lshlrev_b64 v[2:3], 1, v[2:3]
	v_add_co_u32_e32 v2, vcc, v61, v2
	v_addc_co_u32_e32 v3, vcc, v62, v3, vcc
	v_mfma_f32_16x16x16f16 v[26:29], v[56:57], v[18:19], v[26:29]
	s_nop 3
	v_pk_mul_f32 v[38:39], s[2:3], v[22:23] op_sel_hi:[0,1]
	v_add_co_u32_e32 v56, vcc, v61, v34
	v_addc_co_u32_e32 v57, vcc, v62, v35, vcc
	v_pk_mul_f32 v[18:19], s[2:3], v[36:37] op_sel_hi:[0,1]
	v_pk_mul_f32 v[48:49], s[2:3], v[24:25] op_sel_hi:[0,1]
	v_mfma_f32_16x16x16f16 v[20:23], v[58:59], v[20:21], v[26:29]
	v_pk_mul_f32 v[44:45], s[2:3], v[32:33] op_sel_hi:[0,1]
	global_load_dwordx4 v[6:9], v[2:3], off
	s_nop 0
	global_load_dwordx4 v[2:5], v[2:3], off offset:16
	s_nop 6
	v_pk_mul_f32 v[40:41], s[2:3], v[20:21] op_sel_hi:[0,1]
	v_and_b32_e32 v20, 0xc0, v0
	v_add_u32_e32 v20, s16, v20
	v_lshl_or_b32 v20, v1, 2, v20
	v_pk_mul_f32 v[34:35], s[2:3], v[22:23] op_sel_hi:[0,1]
	v_or_b32_e32 v23, 1, v20
	v_mov_b32_e32 v21, 0xff7fffff
	v_cmp_gt_i32_e64 s[30:31], s40, v20
	v_cmp_gt_i32_e64 s[34:35], s40, v23
	v_cndmask_b32_e64 v22, v21, v18, s[30:31]
	v_cndmask_b32_e64 v23, v21, v19, s[34:35]
	v_max3_f32 v22, v22, s42, v23
	v_or_b32_e32 v23, 2, v20
	v_or_b32_e32 v24, 3, v20
	v_cmp_gt_i32_e64 s[36:37], s40, v23
	v_cmp_gt_i32_e64 s[38:39], s40, v24
	v_cndmask_b32_e64 v23, v21, v46, s[36:37]
	v_cndmask_b32_e64 v24, v21, v47, s[38:39]
	v_max3_f32 v22, v22, v23, v24
	v_or_b32_e32 v23, 16, v20
	v_or_b32_e32 v24, 17, v20
	v_cmp_gt_i32_e64 s[24:25], s40, v23
	v_cmp_gt_i32_e64 s[26:27], s40, v24
	v_cndmask_b32_e64 v23, v21, v38, s[24:25]
	v_cndmask_b32_e64 v24, v21, v39, s[26:27]
	v_max3_f32 v22, v22, v23, v24
	v_or_b32_e32 v23, 18, v20
	v_or_b32_e32 v24, 19, v20
	v_cmp_gt_i32_e64 s[20:21], s40, v23
	v_cmp_gt_i32_e64 s[22:23], s40, v24
	v_cndmask_b32_e64 v23, v21, v48, s[20:21]
	v_cndmask_b32_e64 v24, v21, v49, s[22:23]
	v_max3_f32 v22, v22, v23, v24
	v_or_b32_e32 v23, 32, v20
	v_or_b32_e32 v24, 33, v20
	v_cmp_gt_i32_e64 s[16:17], s40, v23
	v_cmp_gt_i32_e64 s[18:19], s40, v24
	v_cndmask_b32_e64 v23, v21, v42, s[16:17]
	v_cndmask_b32_e64 v24, v21, v43, s[18:19]
	v_max3_f32 v22, v22, v23, v24
	v_or_b32_e32 v23, 34, v20
	v_or_b32_e32 v24, 35, v20
	v_cmp_gt_i32_e64 s[12:13], s40, v23
	v_cmp_gt_i32_e64 s[14:15], s40, v24
	v_cndmask_b32_e64 v23, v21, v44, s[12:13]
	v_cndmask_b32_e64 v24, v21, v45, s[14:15]
	v_max3_f32 v22, v22, v23, v24
	v_or_b32_e32 v23, 48, v20
	v_or_b32_e32 v24, 49, v20
	v_cmp_gt_i32_e64 s[8:9], s40, v23
	v_cmp_gt_i32_e64 s[10:11], s40, v24
	v_cndmask_b32_e64 v23, v21, v40, s[8:9]
	v_cndmask_b32_e64 v24, v21, v41, s[10:11]
	v_max3_f32 v22, v22, v23, v24
	v_or_b32_e32 v23, 50, v20
	v_or_b32_e32 v20, 51, v20
	v_cmp_gt_i32_e32 vcc, s40, v23
	v_cmp_gt_i32_e64 s[2:3], s40, v20
	v_cndmask_b32_e32 v23, v21, v34, vcc
	v_cndmask_b32_e64 v20, v21, v35, s[2:3]
	v_max3_f32 v26, v22, v23, v20
	v_mbcnt_lo_u32_b32 v20, -1, 0
	v_mbcnt_hi_u32_b32 v27, -1, v20
	v_and_b32_e32 v20, 64, v27
	v_add_u32_e32 v28, 64, v20
	v_xor_b32_e32 v20, 32, v27
	v_cmp_lt_i32_e64 s[40:41], v20, v28
	v_cndmask_b32_e64 v20, v27, v20, s[40:41]
	v_lshlrev_b32_e32 v58, 2, v20
	ds_bpermute_b32 v29, v58, v26
	s_waitcnt vmcnt(4)
	v_mad_i64_i32 v[20:21], s[40:41], v60, s45, 0
	global_load_dwordx4 v[30:33], v[56:57], off
	global_load_dwordx4 v[22:25], v[56:57], off offset:16
	v_lshlrev_b64 v[20:21], 1, v[20:21]
	s_waitcnt lgkmcnt(0)
	v_max_f32_e32 v29, v29, v29
	v_max_f32_e32 v26, v26, v29
	v_xor_b32_e32 v29, 16, v27
	v_cmp_lt_i32_e64 s[40:41], v29, v28
	v_cndmask_b32_e64 v27, v27, v29, s[40:41]
	v_lshlrev_b32_e32 v57, 2, v27
	ds_bpermute_b32 v27, v57, v26
	v_add_co_u32_e64 v20, s[40:41], v61, v20
	v_addc_co_u32_e64 v21, s[40:41], v62, v21, s[40:41]
	s_waitcnt lgkmcnt(0)
	v_max_f32_e32 v27, v27, v27
	v_max_f32_e32 v56, v26, v27
	v_sub_f32_e32 v18, v18, v56
	v_mul_f32_e32 v18, 0x3fb8aa3b, v18
	v_exp_f32_e32 v36, v18
	v_sub_f32_e32 v18, v19, v56
	v_mul_f32_e32 v18, 0x3fb8aa3b, v18
	v_exp_f32_e32 v37, v18
	global_load_dwordx4 v[26:29], v[20:21], off
	s_nop 0
	global_load_dwordx4 v[18:21], v[20:21], off offset:16
	v_sub_f32_e32 v46, v46, v56
	v_mul_f32_e32 v46, 0x3fb8aa3b, v46
	v_sub_f32_e32 v47, v47, v56
	v_exp_f32_e32 v46, v46
	v_mul_f32_e32 v47, 0x3fb8aa3b, v47
	v_sub_f32_e32 v38, v38, v56
	v_exp_f32_e32 v47, v47
	v_mul_f32_e32 v38, 0x3fb8aa3b, v38
	v_sub_f32_e32 v39, v39, v56
	v_cndmask_b32_e64 v36, 0, v36, s[30:31]
	v_exp_f32_e32 v38, v38
	v_mul_f32_e32 v39, 0x3fb8aa3b, v39
	v_sub_f32_e32 v48, v48, v56
	v_add_f32_e32 v59, 0, v36
	v_cndmask_b32_e64 v37, 0, v37, s[34:35]
	v_exp_f32_e32 v39, v39
	v_mul_f32_e32 v48, 0x3fb8aa3b, v48
	v_sub_f32_e32 v49, v49, v56
	v_add_f32_e32 v59, v59, v37
	;; [unrolled: 5-line block ×10, first 2 shown]
	v_cndmask_b32_e64 v44, 0, v44, s[12:13]
	v_exp_f32_e32 v34, v34
	v_mul_f32_e32 v35, 0x3fb8aa3b, v35
	v_add_f32_e32 v59, v59, v44
	v_cndmask_b32_e64 v45, 0, v45, s[14:15]
	v_exp_f32_e32 v35, v35
	v_add_f32_e32 v59, v59, v45
	v_cndmask_b32_e64 v40, 0, v40, s[8:9]
	v_add_f32_e32 v59, v59, v40
	v_cndmask_b32_e64 v41, 0, v41, s[10:11]
	v_add_f32_e32 v59, v59, v41
	v_cndmask_b32_e32 v34, 0, v34, vcc
	v_add_f32_e32 v59, v59, v34
	v_cndmask_b32_e64 v35, 0, v35, s[2:3]
	v_add_f32_e32 v59, v59, v35
	ds_bpermute_b32 v58, v58, v59
	v_cmp_gt_u32_e32 vcc, 16, v54
	s_waitcnt lgkmcnt(0)
	s_barrier
	v_add_f32_e32 v58, v59, v58
	ds_bpermute_b32 v59, v57, v58
	v_lshlrev_b32_e32 v57, 2, v52
	s_and_saveexec_b64 s[2:3], vcc
	s_cbranch_execz .LBB42_13
; %bb.12:
	s_waitcnt lgkmcnt(0)
	v_add_f32_e32 v54, v58, v59
	v_lshl_or_b32 v58, v53, 6, v57
	ds_write2st64_b32 v58, v56, v54 offset1:1
.LBB42_13:
	s_or_b64 exec, exec, s[2:3]
	s_load_dword s8, s[4:5], 0x94
	s_waitcnt lgkmcnt(0)
	s_barrier
	ds_read2_b32 v[58:59], v57 offset1:16
	ds_read2_b32 v[60:61], v57 offset0:32 offset1:48
	ds_read2_b32 v[62:63], v57 offset0:64 offset1:80
	s_mul_i32 s9, s33, 7
	s_waitcnt lgkmcnt(2)
	v_max3_f32 v54, v58, s42, v59
	s_waitcnt lgkmcnt(1)
	v_max3_f32 v54, v54, v60, v61
	v_sub_f32_e32 v56, v58, v54
	v_mul_f32_e32 v56, 0x3fb8aa3b, v56
	v_exp_f32_e32 v64, v56
	v_sub_f32_e32 v56, v59, v54
	v_mul_f32_e32 v56, 0x3fb8aa3b, v56
	v_exp_f32_e32 v65, v56
	;; [unrolled: 3-line block ×3, first 2 shown]
	ds_read2_b32 v[58:59], v57 offset0:96 offset1:112
	v_sub_f32_e32 v56, v61, v54
	v_mul_f32_e32 v56, 0x3fb8aa3b, v56
	v_exp_f32_e32 v57, v56
	s_waitcnt lgkmcnt(1)
	v_fma_f32 v56, v64, v62, 0
	v_fmac_f32_e32 v56, v65, v63
	s_waitcnt lgkmcnt(0)
	v_fmac_f32_e32 v56, v60, v58
	v_fmac_f32_e32 v56, v57, v59
	v_add_f32_e32 v58, 0x358637bd, v56
	v_div_scale_f32 v59, s[2:3], v58, v58, 1.0
	v_rcp_f32_e32 v61, v59
	s_barrier
	v_fma_f32 v62, -v59, v61, 1.0
	v_fmac_f32_e32 v61, v62, v61
	v_div_scale_f32 v62, vcc, 1.0, v58, 1.0
	v_mul_f32_e32 v63, v62, v61
	v_fma_f32 v66, -v59, v63, v62
	v_fmac_f32_e32 v63, v66, v61
	v_fma_f32 v59, -v59, v63, v62
	v_div_fmas_f32 v59, v59, v61, v63
	v_cmp_eq_u32_e32 vcc, 1, v53
	v_div_fixup_f32 v58, v59, v58, 1.0
	v_cndmask_b32_e32 v59, v64, v65, vcc
	v_cmp_eq_u32_e32 vcc, 2, v53
	v_cndmask_b32_e32 v59, v59, v60, vcc
	v_cmp_eq_u32_e32 vcc, 3, v53
	v_cndmask_b32_e32 v57, v59, v57, vcc
	v_mul_f32_e32 v58, v57, v58
	v_pk_mul_f32 v[36:37], v[58:59], v[36:37] op_sel_hi:[0,1]
	v_cvt_f16_f32_e32 v36, v36
	v_cvt_f16_f32_e32 v37, v37
	v_pk_mul_f32 v[46:47], v[58:59], v[46:47] op_sel_hi:[0,1]
	v_cvt_f16_f32_e32 v57, v46
	v_cvt_f16_f32_e32 v47, v47
	v_pack_b32_f16 v46, v36, v37
	v_pk_mul_f32 v[36:37], v[58:59], v[48:49] op_sel_hi:[0,1]
	v_pk_mul_f32 v[38:39], v[58:59], v[38:39] op_sel_hi:[0,1]
	v_cvt_f16_f32_e32 v38, v38
	v_cvt_f16_f32_e32 v39, v39
	;; [unrolled: 1-line block ×4, first 2 shown]
	v_pack_b32_f16 v47, v57, v47
	v_lshlrev_b32_e32 v57, 3, v1
	v_lshlrev_b32_e32 v36, 11, v53
	v_or3_b32 v36, v36, v55, v57
	v_pack_b32_f16 v38, v38, v39
	v_pack_b32_f16 v39, v48, v37
	ds_write2st64_b64 v36, v[46:47], v[38:39] offset1:1
	v_pk_mul_f32 v[38:39], v[58:59], v[44:45] op_sel_hi:[0,1]
	v_pk_mul_f32 v[42:43], v[58:59], v[42:43] op_sel_hi:[0,1]
	v_cvt_f16_f32_e32 v37, v42
	v_cvt_f16_f32_e32 v42, v43
	;; [unrolled: 1-line block ×4, first 2 shown]
	v_pk_mul_f32 v[34:35], v[58:59], v[34:35] op_sel_hi:[0,1]
	v_pk_mul_f32 v[38:39], v[58:59], v[40:41] op_sel_hi:[0,1]
	v_cvt_f16_f32_e32 v38, v38
	v_cvt_f16_f32_e32 v39, v39
	;; [unrolled: 1-line block ×4, first 2 shown]
	v_pack_b32_f16 v34, v37, v42
	v_pack_b32_f16 v35, v43, v44
	;; [unrolled: 1-line block ×4, first 2 shown]
	v_cmp_gt_u32_e32 vcc, 7, v0
	ds_write2st64_b64 v36, v[34:35], v[38:39] offset0:2 offset1:3
	s_and_saveexec_b64 s[2:3], vcc
	s_cbranch_execz .LBB42_15
; %bb.14:
	v_add_co_u32_e32 v38, vcc, s29, v52
	v_addc_co_u32_e64 v39, s[10:11], 0, 0, vcc
	v_mov_b32_e32 v34, s9
	v_mov_b32_e32 v35, 0
	v_mad_u64_u32 v[38:39], s[10:11], s6, v34, v[38:39]
	v_mov_b32_e32 v34, s28
	s_load_dwordx4 s[12:15], s[4:5], 0x58
	s_mul_i32 s7, s7, s9
	v_mad_u64_u32 v[34:35], s[10:11], v38, s8, v[34:35]
	v_add_u32_e32 v37, s7, v39
	v_mov_b32_e32 v38, v35
	v_mad_u64_u32 v[38:39], s[10:11], v37, s8, v[38:39]
	v_mov_b32_e32 v35, v38
	v_lshlrev_b64 v[34:35], 2, v[34:35]
	s_waitcnt lgkmcnt(0)
	v_mov_b32_e32 v37, s15
	v_add_co_u32_e32 v38, vcc, s14, v34
	v_addc_co_u32_e32 v39, vcc, v37, v35, vcc
	v_mov_b32_e32 v37, s13
	v_add_co_u32_e32 v34, vcc, s12, v34
	v_addc_co_u32_e32 v35, vcc, v37, v35, vcc
	global_store_dword v[38:39], v54, off
	global_store_dword v[34:35], v56, off
.LBB42_15:
	s_or_b64 exec, exec, s[2:3]
	v_lshl_or_b32 v34, v1, 9, v55
	s_waitcnt lgkmcnt(0)
	s_barrier
	ds_read_b128 v[38:41], v34
	ds_read_b128 v[42:45], v34 offset:16
	s_waitcnt vmcnt(7) lgkmcnt(1)
	v_mfma_f32_16x16x16f16 v[46:49], v[14:15], v[38:39], 0
	v_cmp_gt_u32_e32 vcc, 64, v0
	s_mov_b32 s3, 0
	s_and_b64 s[0:1], vcc, s[0:1]
	v_mfma_f32_16x16x16f16 v[14:17], v[16:17], v[40:41], v[46:49]
	s_waitcnt vmcnt(6) lgkmcnt(0)
	v_mfma_f32_16x16x16f16 v[14:17], v[10:11], v[42:43], v[14:17]
	v_mfma_f32_16x16x16f16 v[10:13], v[12:13], v[44:45], v[14:17]
	s_nop 7
	s_nop 1
	ds_read_b128 v[14:17], v34 offset:2048
	ds_read_b128 v[38:41], v34 offset:2064
	s_waitcnt vmcnt(5) lgkmcnt(1)
	v_mfma_f32_16x16x16f16 v[10:13], v[6:7], v[14:15], v[10:13]
	v_mfma_f32_16x16x16f16 v[6:9], v[8:9], v[16:17], v[10:13]
	s_waitcnt vmcnt(4) lgkmcnt(0)
	v_mfma_f32_16x16x16f16 v[6:9], v[2:3], v[38:39], v[6:9]
	v_mfma_f32_16x16x16f16 v[2:5], v[4:5], v[40:41], v[6:9]
	s_nop 7
	s_nop 1
	ds_read_b128 v[6:9], v34 offset:4096
	ds_read_b128 v[10:13], v34 offset:4112
	s_waitcnt vmcnt(3) lgkmcnt(1)
	v_mfma_f32_16x16x16f16 v[2:5], v[30:31], v[6:7], v[2:5]
	v_mfma_f32_16x16x16f16 v[2:5], v[32:33], v[8:9], v[2:5]
	s_waitcnt vmcnt(2) lgkmcnt(0)
	v_mfma_f32_16x16x16f16 v[2:5], v[22:23], v[10:11], v[2:5]
	v_mfma_f32_16x16x16f16 v[2:5], v[24:25], v[12:13], v[2:5]
	ds_read_b128 v[6:9], v34 offset:6144
	ds_read_b128 v[10:13], v34 offset:6160
	s_waitcnt lgkmcnt(0)
	s_barrier
	s_waitcnt vmcnt(1)
	v_mfma_f32_16x16x16f16 v[2:5], v[26:27], v[6:7], v[2:5]
	v_mfma_f32_16x16x16f16 v[2:5], v[28:29], v[8:9], v[2:5]
	s_waitcnt vmcnt(0)
	v_mfma_f32_16x16x16f16 v[2:5], v[18:19], v[10:11], v[2:5]
	v_mfma_f32_16x16x16f16 v[2:5], v[20:21], v[12:13], v[2:5]
	s_nop 7
	s_nop 2
	v_cvt_f16_f32_e32 v2, v2
	v_cvt_f16_f32_e32 v3, v3
	;; [unrolled: 1-line block ×4, first 2 shown]
	v_pack_b32_f16 v2, v2, v3
	v_pack_b32_f16 v3, v4, v5
	ds_write_b64 v36, v[2:3]
	s_waitcnt lgkmcnt(0)
	s_barrier
	s_and_saveexec_b64 s[10:11], s[0:1]
	s_cbranch_execz .LBB42_18
; %bb.16:
	s_load_dwordx2 s[4:5], s[4:5], 0x68
	s_lshl_b32 s0, s8, 6
	s_mul_i32 s1, s9, s6
	s_mul_hi_u32 s7, s1, s0
	s_mul_i32 s6, s1, s0
	s_lshl_b64 s[6:7], s[6:7], 1
	s_waitcnt lgkmcnt(0)
	s_add_u32 s1, s4, s6
	s_addc_u32 s4, s5, s7
	s_lshl_b32 s2, s28, 6
	v_lshlrev_b32_e32 v0, 10, v0
	s_lshl_b64 s[2:3], s[2:3], 1
	v_and_b32_e32 v0, 0x1800, v0
	v_lshlrev_b32_e32 v2, 5, v1
	v_and_b32_e32 v3, 16, v51
	s_add_u32 s1, s1, s2
	v_or3_b32 v0, v0, v2, v3
	s_addc_u32 s2, s4, s3
	v_add_u32_e32 v8, s29, v1
	v_mov_b32_e32 v3, s2
	v_add_co_u32_e32 v2, vcc, s1, v50
	ds_read_b128 v[4:7], v0
	v_mad_u64_u32 v[8:9], s[2:3], v8, s0, 0
	v_addc_co_u32_e32 v3, vcc, 0, v3, vcc
	v_lshlrev_b64 v[8:9], 1, v[8:9]
	v_add_co_u32_e32 v8, vcc, v2, v8
	v_addc_co_u32_e32 v9, vcc, v3, v9, vcc
	v_cmp_ne_u32_e32 vcc, 3, v1
	s_waitcnt lgkmcnt(0)
	global_store_dwordx4 v[8:9], v[4:7], off
	s_and_b64 exec, exec, vcc
	s_cbranch_execz .LBB42_18
; %bb.17:
	ds_read_b128 v[4:7], v0 offset:128
	v_add3_u32 v0, s29, v1, 4
	v_mad_u64_u32 v[0:1], s[0:1], v0, s0, 0
	v_lshlrev_b64 v[0:1], 1, v[0:1]
	v_add_co_u32_e32 v0, vcc, v2, v0
	v_addc_co_u32_e32 v1, vcc, v3, v1, vcc
	s_waitcnt lgkmcnt(0)
	global_store_dwordx4 v[0:1], v[4:7], off
.LBB42_18:
	s_endpgm
	.section	.rodata,"a",@progbits
	.p2align	6, 0x0
	.amdhsa_kernel _Z39paged_attention_ll4mi_QKV_mfma16_kernelIDF16_DF16_LN4vllm18Fp8KVCacheDataTypeE0EDF16_Li16ELi64ELi256ELb0ELi7EL8MFMAType0EEvPKT_PKT0_S8_ifPKiSA_SA_iPKfiiiPfSD_PS3_PT2_iSC_SC_
		.amdhsa_group_segment_fixed_size 8192
		.amdhsa_private_segment_fixed_size 0
		.amdhsa_kernarg_size 400
		.amdhsa_user_sgpr_count 6
		.amdhsa_user_sgpr_private_segment_buffer 1
		.amdhsa_user_sgpr_dispatch_ptr 0
		.amdhsa_user_sgpr_queue_ptr 0
		.amdhsa_user_sgpr_kernarg_segment_ptr 1
		.amdhsa_user_sgpr_dispatch_id 0
		.amdhsa_user_sgpr_flat_scratch_init 0
		.amdhsa_user_sgpr_kernarg_preload_length 0
		.amdhsa_user_sgpr_kernarg_preload_offset 0
		.amdhsa_user_sgpr_private_segment_size 0
		.amdhsa_uses_dynamic_stack 0
		.amdhsa_system_sgpr_private_segment_wavefront_offset 0
		.amdhsa_system_sgpr_workgroup_id_x 1
		.amdhsa_system_sgpr_workgroup_id_y 1
		.amdhsa_system_sgpr_workgroup_id_z 1
		.amdhsa_system_sgpr_workgroup_info 0
		.amdhsa_system_vgpr_workitem_id 0
		.amdhsa_next_free_vgpr 67
		.amdhsa_next_free_sgpr 48
		.amdhsa_accum_offset 68
		.amdhsa_reserve_vcc 1
		.amdhsa_reserve_flat_scratch 0
		.amdhsa_float_round_mode_32 0
		.amdhsa_float_round_mode_16_64 0
		.amdhsa_float_denorm_mode_32 3
		.amdhsa_float_denorm_mode_16_64 3
		.amdhsa_dx10_clamp 1
		.amdhsa_ieee_mode 1
		.amdhsa_fp16_overflow 0
		.amdhsa_tg_split 0
		.amdhsa_exception_fp_ieee_invalid_op 0
		.amdhsa_exception_fp_denorm_src 0
		.amdhsa_exception_fp_ieee_div_zero 0
		.amdhsa_exception_fp_ieee_overflow 0
		.amdhsa_exception_fp_ieee_underflow 0
		.amdhsa_exception_fp_ieee_inexact 0
		.amdhsa_exception_int_div_zero 0
	.end_amdhsa_kernel
	.section	.text._Z39paged_attention_ll4mi_QKV_mfma16_kernelIDF16_DF16_LN4vllm18Fp8KVCacheDataTypeE0EDF16_Li16ELi64ELi256ELb0ELi7EL8MFMAType0EEvPKT_PKT0_S8_ifPKiSA_SA_iPKfiiiPfSD_PS3_PT2_iSC_SC_,"axG",@progbits,_Z39paged_attention_ll4mi_QKV_mfma16_kernelIDF16_DF16_LN4vllm18Fp8KVCacheDataTypeE0EDF16_Li16ELi64ELi256ELb0ELi7EL8MFMAType0EEvPKT_PKT0_S8_ifPKiSA_SA_iPKfiiiPfSD_PS3_PT2_iSC_SC_,comdat
.Lfunc_end42:
	.size	_Z39paged_attention_ll4mi_QKV_mfma16_kernelIDF16_DF16_LN4vllm18Fp8KVCacheDataTypeE0EDF16_Li16ELi64ELi256ELb0ELi7EL8MFMAType0EEvPKT_PKT0_S8_ifPKiSA_SA_iPKfiiiPfSD_PS3_PT2_iSC_SC_, .Lfunc_end42-_Z39paged_attention_ll4mi_QKV_mfma16_kernelIDF16_DF16_LN4vllm18Fp8KVCacheDataTypeE0EDF16_Li16ELi64ELi256ELb0ELi7EL8MFMAType0EEvPKT_PKT0_S8_ifPKiSA_SA_iPKfiiiPfSD_PS3_PT2_iSC_SC_
                                        ; -- End function
	.section	.AMDGPU.csdata,"",@progbits
; Kernel info:
; codeLenInByte = 3960
; NumSgprs: 52
; NumVgprs: 67
; NumAgprs: 0
; TotalNumVgprs: 67
; ScratchSize: 0
; MemoryBound: 0
; FloatMode: 240
; IeeeMode: 1
; LDSByteSize: 8192 bytes/workgroup (compile time only)
; SGPRBlocks: 6
; VGPRBlocks: 8
; NumSGPRsForWavesPerEU: 52
; NumVGPRsForWavesPerEU: 67
; AccumOffset: 68
; Occupancy: 7
; WaveLimiterHint : 1
; COMPUTE_PGM_RSRC2:SCRATCH_EN: 0
; COMPUTE_PGM_RSRC2:USER_SGPR: 6
; COMPUTE_PGM_RSRC2:TRAP_HANDLER: 0
; COMPUTE_PGM_RSRC2:TGID_X_EN: 1
; COMPUTE_PGM_RSRC2:TGID_Y_EN: 1
; COMPUTE_PGM_RSRC2:TGID_Z_EN: 1
; COMPUTE_PGM_RSRC2:TIDIG_COMP_CNT: 0
; COMPUTE_PGM_RSRC3_GFX90A:ACCUM_OFFSET: 16
; COMPUTE_PGM_RSRC3_GFX90A:TG_SPLIT: 0
	.section	.text._Z39paged_attention_ll4mi_QKV_mfma16_kernelIDF16_DF16_LN4vllm18Fp8KVCacheDataTypeE0EDF16_Li16ELi64ELi256ELb0ELi8EL8MFMAType0EEvPKT_PKT0_S8_ifPKiSA_SA_iPKfiiiPfSD_PS3_PT2_iSC_SC_,"axG",@progbits,_Z39paged_attention_ll4mi_QKV_mfma16_kernelIDF16_DF16_LN4vllm18Fp8KVCacheDataTypeE0EDF16_Li16ELi64ELi256ELb0ELi8EL8MFMAType0EEvPKT_PKT0_S8_ifPKiSA_SA_iPKfiiiPfSD_PS3_PT2_iSC_SC_,comdat
	.protected	_Z39paged_attention_ll4mi_QKV_mfma16_kernelIDF16_DF16_LN4vllm18Fp8KVCacheDataTypeE0EDF16_Li16ELi64ELi256ELb0ELi8EL8MFMAType0EEvPKT_PKT0_S8_ifPKiSA_SA_iPKfiiiPfSD_PS3_PT2_iSC_SC_ ; -- Begin function _Z39paged_attention_ll4mi_QKV_mfma16_kernelIDF16_DF16_LN4vllm18Fp8KVCacheDataTypeE0EDF16_Li16ELi64ELi256ELb0ELi8EL8MFMAType0EEvPKT_PKT0_S8_ifPKiSA_SA_iPKfiiiPfSD_PS3_PT2_iSC_SC_
	.globl	_Z39paged_attention_ll4mi_QKV_mfma16_kernelIDF16_DF16_LN4vllm18Fp8KVCacheDataTypeE0EDF16_Li16ELi64ELi256ELb0ELi8EL8MFMAType0EEvPKT_PKT0_S8_ifPKiSA_SA_iPKfiiiPfSD_PS3_PT2_iSC_SC_
	.p2align	8
	.type	_Z39paged_attention_ll4mi_QKV_mfma16_kernelIDF16_DF16_LN4vllm18Fp8KVCacheDataTypeE0EDF16_Li16ELi64ELi256ELb0ELi8EL8MFMAType0EEvPKT_PKT0_S8_ifPKiSA_SA_iPKfiiiPfSD_PS3_PT2_iSC_SC_,@function
_Z39paged_attention_ll4mi_QKV_mfma16_kernelIDF16_DF16_LN4vllm18Fp8KVCacheDataTypeE0EDF16_Li16ELi64ELi256ELb0ELi8EL8MFMAType0EEvPKT_PKT0_S8_ifPKiSA_SA_iPKfiiiPfSD_PS3_PT2_iSC_SC_: ; @_Z39paged_attention_ll4mi_QKV_mfma16_kernelIDF16_DF16_LN4vllm18Fp8KVCacheDataTypeE0EDF16_Li16ELi64ELi256ELb0ELi8EL8MFMAType0EEvPKT_PKT0_S8_ifPKiSA_SA_iPKfiiiPfSD_PS3_PT2_iSC_SC_
; %bb.0:
	s_load_dwordx2 s[0:1], s[4:5], 0x30
	s_mov_b32 s28, s7
	s_mov_b64 s[10:11], 0
	s_waitcnt lgkmcnt(0)
	s_cmp_lg_u64 s[0:1], 0
	s_cselect_b64 s[2:3], -1, 0
	s_and_b64 vcc, exec, s[2:3]
	s_cbranch_vccz .LBB43_7
; %bb.1:
	s_add_i32 s12, s6, 1
	s_mov_b32 s13, 0
	s_lshl_b64 s[14:15], s[12:13], 2
	s_add_u32 s14, s0, s14
	s_mov_b32 s7, s13
	s_addc_u32 s15, s1, s15
	s_lshl_b64 s[12:13], s[6:7], 2
	s_add_u32 s12, s0, s12
	s_addc_u32 s13, s1, s13
	s_load_dword s9, s[14:15], 0x0
	s_load_dword s16, s[12:13], 0x0
	s_waitcnt lgkmcnt(0)
	s_sub_i32 s9, s9, s16
	s_cmp_eq_u32 s9, 1
	s_cselect_b64 s[12:13], -1, 0
	s_andn2_b64 vcc, exec, s[10:11]
	s_cbranch_vccnz .LBB43_3
.LBB43_2:
	s_mov_b32 s7, 0
	s_mov_b64 s[12:13], -1
.LBB43_3:
	s_andn2_b64 vcc, exec, s[12:13]
	s_cbranch_vccnz .LBB43_17
; %bb.4:
	s_load_dwordx2 s[12:13], s[4:5], 0x28
	s_lshl_b64 s[10:11], s[6:7], 2
	s_waitcnt lgkmcnt(0)
	s_add_u32 s12, s12, s10
	s_addc_u32 s13, s13, s11
	s_load_dword s40, s[12:13], 0x0
	s_lshl_b32 s16, s28, 8
	s_waitcnt lgkmcnt(0)
	s_cmp_ge_i32 s16, s40
	s_cbranch_scc1 .LBB43_17
; %bb.5:
	s_add_i32 s14, s40, 15
	s_load_dwordx2 s[12:13], s[4:5], 0x20
	s_load_dword s9, s[4:5], 0x38
	s_ashr_i32 s15, s14, 31
	v_and_b32_e32 v1, 0xcf, v0
	s_lshr_b32 s15, s15, 28
	v_add_u32_e32 v1, s16, v1
	s_add_i32 s14, s14, s15
	v_ashrrev_i32_e32 v2, 31, v1
	s_ashr_i32 s19, s14, 4
	v_lshrrev_b32_e32 v10, 28, v2
	s_add_i32 s19, s19, -1
	v_add_u32_e32 v2, v1, v10
	s_waitcnt lgkmcnt(0)
	s_mul_i32 s14, s6, s9
	s_mov_b32 s15, 0
	v_ashrrev_i32_e32 v2, 4, v2
	v_mov_b32_e32 v11, s19
	v_cmp_gt_i32_e32 vcc, s40, v1
	s_lshl_b64 s[14:15], s[14:15], 2
	v_cndmask_b32_e32 v2, v11, v2, vcc
	s_add_u32 s17, s12, s14
	v_ashrrev_i32_e32 v3, 31, v2
	s_addc_u32 s18, s13, s15
	v_lshlrev_b64 v[2:3], 2, v[2:3]
	v_mov_b32_e32 v5, s18
	v_add_co_u32_e32 v4, vcc, s17, v2
	v_or_b32_e32 v2, 16, v1
	v_addc_co_u32_e32 v5, vcc, v5, v3, vcc
	v_add_u32_e32 v3, v2, v10
	v_ashrrev_i32_e32 v3, 4, v3
	v_cmp_gt_i32_e32 vcc, s40, v2
	v_cndmask_b32_e32 v2, v11, v3, vcc
	v_ashrrev_i32_e32 v3, 31, v2
	v_lshlrev_b64 v[2:3], 2, v[2:3]
	v_mov_b32_e32 v7, s18
	v_add_co_u32_e32 v6, vcc, s17, v2
	v_or_b32_e32 v2, 32, v1
	v_addc_co_u32_e32 v7, vcc, v7, v3, vcc
	v_add_u32_e32 v3, v2, v10
	v_ashrrev_i32_e32 v3, 4, v3
	v_cmp_gt_i32_e32 vcc, s40, v2
	v_cndmask_b32_e32 v2, v11, v3, vcc
	v_ashrrev_i32_e32 v3, 31, v2
	;; [unrolled: 10-line block ×3, first 2 shown]
	v_lshlrev_b64 v[2:3], 2, v[2:3]
	v_mov_b32_e32 v1, s18
	v_add_co_u32_e32 v10, vcc, s17, v2
	v_addc_co_u32_e32 v11, vcc, v1, v3, vcc
	global_load_dword v3, v[4:5], off
	global_load_dword v2, v[6:7], off
	;; [unrolled: 1-line block ×4, first 2 shown]
	s_load_dwordx4 s[12:15], s[4:5], 0x8
	s_andn2_b64 vcc, exec, s[2:3]
	s_cbranch_vccnz .LBB43_8
; %bb.6:
	s_add_u32 s0, s0, s10
	s_addc_u32 s1, s1, s11
	s_load_dword s9, s[0:1], 0x0
	s_branch .LBB43_9
.LBB43_7:
	s_mov_b64 s[12:13], 0
	s_branch .LBB43_2
.LBB43_8:
	s_mov_b32 s9, s6
.LBB43_9:
	s_load_dwordx4 s[44:47], s[4:5], 0x48
	v_and_b32_e32 v54, 15, v0
	s_movk_i32 s0, 0x80
	v_lshlrev_b32_e32 v4, 3, v54
	v_cmp_gt_u32_e32 vcc, s0, v0
	v_cmp_gt_u32_e64 s[0:1], 8, v54
	v_lshrrev_b32_e32 v52, 6, v0
	v_and_b32_e32 v53, 63, v0
	v_bfe_u32 v1, v0, 4, 2
	s_lshl_b32 s29, s8, 3
	s_and_b64 s[10:11], vcc, s[0:1]
	v_lshlrev_b32_e32 v50, 1, v4
	s_and_saveexec_b64 s[2:3], s[10:11]
	s_cbranch_execz .LBB43_11
; %bb.10:
	s_load_dwordx2 s[10:11], s[4:5], 0x0
	s_waitcnt lgkmcnt(0)
	s_ashr_i32 s20, s44, 31
	s_mul_hi_u32 s21, s9, s44
	s_mul_i32 s20, s9, s20
	v_lshl_or_b32 v8, v52, 2, v1
	s_add_i32 s21, s21, s20
	s_mul_i32 s20, s9, s44
	s_lshl_b64 s[20:21], s[20:21], 1
	v_add_lshl_u32 v4, v8, s29, 6
	s_add_u32 s9, s10, s20
	v_ashrrev_i32_e32 v5, 31, v4
	s_addc_u32 s10, s11, s21
	v_lshlrev_b64 v[4:5], 1, v[4:5]
	v_mov_b32_e32 v6, s10
	v_add_co_u32_e32 v4, vcc, s9, v4
	v_addc_co_u32_e32 v5, vcc, v6, v5, vcc
	v_add_co_u32_e32 v4, vcc, v4, v50
	v_addc_co_u32_e32 v5, vcc, 0, v5, vcc
	global_load_dwordx4 v[4:7], v[4:5], off
	v_and_b32_e32 v9, 3, v0
	v_lshlrev_b32_e32 v10, 9, v54
	v_lshlrev_b32_e32 v8, 5, v8
	;; [unrolled: 1-line block ×3, first 2 shown]
	v_and_b32_e32 v10, 0x1800, v10
	v_or3_b32 v8, v10, v9, v8
	s_waitcnt vmcnt(0)
	ds_write_b128 v8, v[4:7]
.LBB43_11:
	s_or_b64 exec, exec, s[2:3]
	s_waitcnt lgkmcnt(0)
	s_mul_i32 s8, s8, s46
	s_mov_b32 s9, 0
	s_lshl_b64 s[8:9], s[8:9], 1
	s_add_u32 s3, s12, s8
	v_lshlrev_b32_e32 v51, 4, v0
	s_addc_u32 s10, s13, s9
	v_and_b32_e32 v4, 0xf0, v51
	v_mov_b32_e32 v5, s10
	v_add_co_u32_e32 v29, vcc, s3, v4
	v_addc_co_u32_e32 v30, vcc, 0, v5, vcc
	s_waitcnt vmcnt(3)
	v_mad_i64_i32 v[4:5], s[10:11], v3, s45, 0
	v_lshlrev_b64 v[4:5], 1, v[4:5]
	v_add_co_u32_e32 v3, vcc, v29, v4
	v_addc_co_u32_e32 v5, vcc, v30, v5, vcc
	v_and_b32_e32 v31, 0x300, v51
	v_add_co_u32_e32 v4, vcc, v3, v31
	v_addc_co_u32_e32 v5, vcc, 0, v5, vcc
	s_load_dword s33, s[4:5], 0x98
	s_load_dword s2, s[4:5], 0x1c
	s_waitcnt lgkmcnt(0)
	s_barrier
	global_load_dwordx4 v[6:9], v[4:5], off
	s_waitcnt vmcnt(3)
	v_mad_i64_i32 v[2:3], s[10:11], v2, s45, 0
	v_lshlrev_b64 v[2:3], 1, v[2:3]
	v_add_co_u32_e32 v2, vcc, v29, v2
	v_addc_co_u32_e32 v3, vcc, v30, v3, vcc
	v_add_co_u32_e32 v2, vcc, v2, v31
	v_addc_co_u32_e32 v3, vcc, 0, v3, vcc
	global_load_dwordx4 v[22:25], v[2:3], off
	global_load_dwordx4 v[10:13], v[4:5], off offset:1024
	global_load_dwordx4 v[14:17], v[2:3], off offset:1024
	v_and_b32_e32 v2, 7, v0
	v_lshlrev_b32_e32 v2, 5, v2
	v_lshl_or_b32 v20, v1, 9, v2
	ds_read_b128 v[2:5], v20
	s_waitcnt vmcnt(5)
	v_mad_i64_i32 v[18:19], s[10:11], v18, s45, 0
	v_lshlrev_b64 v[26:27], 1, v[18:19]
	ds_read_b128 v[18:21], v20 offset:2048
	v_and_or_b32 v55, v0, 48, s16
	v_mov_b32_e32 v60, s19
	v_mov_b32_e32 v49, s18
	v_or_b32_e32 v57, 0x80, v55
	v_mov_b32_e32 v56, s18
	v_mov_b32_e32 v61, s18
	s_add_u32 s3, s14, s8
	s_addc_u32 s8, s15, s9
	s_mov_b32 s42, 0xff7fffff
	s_waitcnt vmcnt(2) lgkmcnt(1)
	v_mfma_f32_16x16x16f16 v[36:39], v[22:23], v[2:3], 0
	v_mad_i64_i32 v[22:23], s[10:11], v28, s45, 0
	v_lshlrev_b64 v[44:45], 1, v[22:23]
	v_ashrrev_i32_e32 v22, 4, v55
	v_or_b32_e32 v28, 64, v55
	v_mfma_f32_16x16x16f16 v[32:35], v[6:7], v[2:3], 0
	v_add_co_u32_e32 v6, vcc, v29, v26
	v_addc_co_u32_e32 v7, vcc, v30, v27, vcc
	v_add_co_u32_e32 v26, vcc, v6, v31
	v_addc_co_u32_e32 v27, vcc, 0, v7, vcc
	global_load_dwordx4 v[40:43], v[26:27], off
	v_mfma_f32_16x16x16f16 v[6:9], v[8:9], v[4:5], v[32:35]
	v_cmp_gt_i32_e32 vcc, s40, v55
	v_cndmask_b32_e32 v46, v60, v22, vcc
	v_cmp_gt_i32_e32 vcc, s40, v28
	v_ashrrev_i32_e32 v47, 31, v46
	s_nop 2
	global_load_dwordx4 v[32:35], v[26:27], off offset:1024
	v_mfma_f32_16x16x16f16 v[22:25], v[24:25], v[4:5], v[36:39]
	s_nop 6
	v_ashrrev_i32_e32 v36, 4, v28
	v_cndmask_b32_e32 v48, v60, v36, vcc
	s_waitcnt vmcnt(3) lgkmcnt(0)
	v_mfma_f32_16x16x16f16 v[6:9], v[10:11], v[18:19], v[6:9]
	v_add_co_u32_e32 v10, vcc, v29, v44
	v_addc_co_u32_e32 v11, vcc, v30, v45, vcc
	v_add_co_u32_e32 v10, vcc, v10, v31
	v_addc_co_u32_e32 v11, vcc, 0, v11, vcc
	v_lshlrev_b64 v[36:37], 2, v[46:47]
	global_load_dwordx4 v[26:29], v[10:11], off
	s_waitcnt vmcnt(3)
	v_mfma_f32_16x16x16f16 v[22:25], v[14:15], v[18:19], v[22:25]
	v_add_co_u32_e32 v14, vcc, s17, v36
	v_addc_co_u32_e32 v15, vcc, v49, v37, vcc
	global_load_dword v44, v[14:15], off
	v_ashrrev_i32_e32 v38, 4, v57
	v_cmp_gt_i32_e32 vcc, s40, v57
	v_ashrrev_i32_e32 v49, 31, v48
	v_cndmask_b32_e32 v14, v60, v38, vcc
	v_mfma_f32_16x16x16f16 v[36:39], v[12:13], v[20:21], v[6:9]
	v_ashrrev_i32_e32 v15, 31, v14
	v_mov_b32_e32 v12, s18
	s_nop 4
	v_lshlrev_b64 v[6:7], 2, v[48:49]
	v_add_co_u32_e32 v6, vcc, s17, v6
	v_addc_co_u32_e32 v7, vcc, v56, v7, vcc
	global_load_dwordx4 v[56:59], v[10:11], off offset:1024
	global_load_dword v45, v[6:7], off
	v_lshlrev_b64 v[6:7], 2, v[14:15]
	v_add_co_u32_e32 v10, vcc, s17, v6
	v_addc_co_u32_e32 v11, vcc, v61, v7, vcc
	s_waitcnt vmcnt(5)
	v_mfma_f32_16x16x16f16 v[6:9], v[40:41], v[2:3], 0
	global_load_dword v40, v[10:11], off
	v_or_b32_e32 v10, 0xc0, v55
	v_ashrrev_i32_e32 v11, 4, v10
	v_cmp_gt_i32_e32 vcc, s40, v10
	v_cndmask_b32_e32 v10, v60, v11, vcc
	v_ashrrev_i32_e32 v11, 31, v10
	v_lshlrev_b64 v[10:11], 2, v[10:11]
	v_mfma_f32_16x16x16f16 v[6:9], v[42:43], v[4:5], v[6:9]
	v_add_co_u32_e32 v10, vcc, s17, v10
	v_addc_co_u32_e32 v11, vcc, v12, v11, vcc
	global_load_dword v60, v[10:11], off
	v_lshlrev_b32_e32 v55, 5, v54
	v_lshl_or_b32 v10, v52, 9, v55
	s_waitcnt vmcnt(6)
	v_mfma_f32_16x16x16f16 v[6:9], v[32:33], v[18:19], v[6:9]
	v_mov_b32_e32 v11, s8
	v_add_co_u32_e32 v61, vcc, s3, v10
	v_addc_co_u32_e32 v62, vcc, 0, v11, vcc
	v_pk_mul_f32 v[46:47], s[2:3], v[38:39] op_sel_hi:[0,1]
	v_lshlrev_b32_e32 v54, 2, v54
	v_mfma_f32_16x16x16f16 v[30:33], v[34:35], v[20:21], v[6:9]
	s_waitcnt vmcnt(1)
	v_mad_i64_i32 v[34:35], s[8:9], v40, s45, 0
	s_nop 4
	v_mad_i64_i32 v[6:7], s[8:9], v44, s45, 0
	v_lshlrev_b64 v[10:11], 1, v[6:7]
	v_mfma_f32_16x16x16f16 v[6:9], v[26:27], v[2:3], 0
	v_add_co_u32_e32 v2, vcc, v61, v10
	v_addc_co_u32_e32 v3, vcc, v62, v11, vcc
	v_lshlrev_b64 v[34:35], 1, v[34:35]
	v_pk_mul_f32 v[42:43], s[2:3], v[30:31] op_sel_hi:[0,1]
	v_mfma_f32_16x16x16f16 v[26:29], v[28:29], v[4:5], v[6:9]
	v_mfma_f32_16x16x16f16 v[22:25], v[16:17], v[20:21], v[22:25]
	global_load_dwordx4 v[14:17], v[2:3], off
	global_load_dwordx4 v[10:13], v[2:3], off offset:16
	v_mad_i64_i32 v[2:3], s[8:9], v45, s45, 0
	v_lshlrev_b64 v[2:3], 1, v[2:3]
	v_add_co_u32_e32 v2, vcc, v61, v2
	v_addc_co_u32_e32 v3, vcc, v62, v3, vcc
	v_mfma_f32_16x16x16f16 v[26:29], v[56:57], v[18:19], v[26:29]
	s_nop 3
	v_pk_mul_f32 v[38:39], s[2:3], v[22:23] op_sel_hi:[0,1]
	v_add_co_u32_e32 v56, vcc, v61, v34
	v_addc_co_u32_e32 v57, vcc, v62, v35, vcc
	v_pk_mul_f32 v[18:19], s[2:3], v[36:37] op_sel_hi:[0,1]
	v_pk_mul_f32 v[48:49], s[2:3], v[24:25] op_sel_hi:[0,1]
	v_mfma_f32_16x16x16f16 v[20:23], v[58:59], v[20:21], v[26:29]
	v_pk_mul_f32 v[44:45], s[2:3], v[32:33] op_sel_hi:[0,1]
	global_load_dwordx4 v[6:9], v[2:3], off
	s_nop 0
	global_load_dwordx4 v[2:5], v[2:3], off offset:16
	s_nop 6
	v_pk_mul_f32 v[40:41], s[2:3], v[20:21] op_sel_hi:[0,1]
	v_and_b32_e32 v20, 0xc0, v0
	v_add_u32_e32 v20, s16, v20
	v_lshl_or_b32 v20, v1, 2, v20
	v_pk_mul_f32 v[34:35], s[2:3], v[22:23] op_sel_hi:[0,1]
	v_or_b32_e32 v23, 1, v20
	v_mov_b32_e32 v21, 0xff7fffff
	v_cmp_gt_i32_e64 s[30:31], s40, v20
	v_cmp_gt_i32_e64 s[34:35], s40, v23
	v_cndmask_b32_e64 v22, v21, v18, s[30:31]
	v_cndmask_b32_e64 v23, v21, v19, s[34:35]
	v_max3_f32 v22, v22, s42, v23
	v_or_b32_e32 v23, 2, v20
	v_or_b32_e32 v24, 3, v20
	v_cmp_gt_i32_e64 s[36:37], s40, v23
	v_cmp_gt_i32_e64 s[38:39], s40, v24
	v_cndmask_b32_e64 v23, v21, v46, s[36:37]
	v_cndmask_b32_e64 v24, v21, v47, s[38:39]
	v_max3_f32 v22, v22, v23, v24
	v_or_b32_e32 v23, 16, v20
	v_or_b32_e32 v24, 17, v20
	;; [unrolled: 7-line block ×7, first 2 shown]
	v_cmp_gt_i32_e32 vcc, s40, v23
	v_cmp_gt_i32_e64 s[2:3], s40, v20
	v_cndmask_b32_e32 v23, v21, v34, vcc
	v_cndmask_b32_e64 v20, v21, v35, s[2:3]
	v_max3_f32 v26, v22, v23, v20
	v_mbcnt_lo_u32_b32 v20, -1, 0
	v_mbcnt_hi_u32_b32 v27, -1, v20
	v_and_b32_e32 v20, 64, v27
	v_add_u32_e32 v28, 64, v20
	v_xor_b32_e32 v20, 32, v27
	v_cmp_lt_i32_e64 s[40:41], v20, v28
	v_cndmask_b32_e64 v20, v27, v20, s[40:41]
	v_lshlrev_b32_e32 v58, 2, v20
	ds_bpermute_b32 v29, v58, v26
	s_waitcnt vmcnt(4)
	v_mad_i64_i32 v[20:21], s[40:41], v60, s45, 0
	global_load_dwordx4 v[30:33], v[56:57], off
	global_load_dwordx4 v[22:25], v[56:57], off offset:16
	v_lshlrev_b64 v[20:21], 1, v[20:21]
	s_waitcnt lgkmcnt(0)
	v_max_f32_e32 v29, v29, v29
	v_max_f32_e32 v26, v26, v29
	v_xor_b32_e32 v29, 16, v27
	v_cmp_lt_i32_e64 s[40:41], v29, v28
	v_cndmask_b32_e64 v27, v27, v29, s[40:41]
	v_lshlrev_b32_e32 v59, 2, v27
	ds_bpermute_b32 v27, v59, v26
	v_add_co_u32_e64 v20, s[40:41], v61, v20
	v_addc_co_u32_e64 v21, s[40:41], v62, v21, s[40:41]
	s_waitcnt lgkmcnt(0)
	v_max_f32_e32 v27, v27, v27
	v_max_f32_e32 v56, v26, v27
	v_sub_f32_e32 v18, v18, v56
	v_mul_f32_e32 v18, 0x3fb8aa3b, v18
	v_exp_f32_e32 v36, v18
	v_sub_f32_e32 v18, v19, v56
	v_mul_f32_e32 v18, 0x3fb8aa3b, v18
	v_exp_f32_e32 v37, v18
	global_load_dwordx4 v[26:29], v[20:21], off
	s_nop 0
	global_load_dwordx4 v[18:21], v[20:21], off offset:16
	v_sub_f32_e32 v46, v46, v56
	v_mul_f32_e32 v46, 0x3fb8aa3b, v46
	v_sub_f32_e32 v47, v47, v56
	v_exp_f32_e32 v46, v46
	v_mul_f32_e32 v47, 0x3fb8aa3b, v47
	v_sub_f32_e32 v38, v38, v56
	v_exp_f32_e32 v47, v47
	v_mul_f32_e32 v38, 0x3fb8aa3b, v38
	v_sub_f32_e32 v39, v39, v56
	v_cndmask_b32_e64 v36, 0, v36, s[30:31]
	v_exp_f32_e32 v38, v38
	v_mul_f32_e32 v39, 0x3fb8aa3b, v39
	v_sub_f32_e32 v48, v48, v56
	v_add_f32_e32 v57, 0, v36
	v_cndmask_b32_e64 v37, 0, v37, s[34:35]
	v_exp_f32_e32 v39, v39
	v_mul_f32_e32 v48, 0x3fb8aa3b, v48
	v_sub_f32_e32 v49, v49, v56
	v_add_f32_e32 v57, v57, v37
	;; [unrolled: 5-line block ×10, first 2 shown]
	v_cndmask_b32_e64 v44, 0, v44, s[12:13]
	v_exp_f32_e32 v34, v34
	v_mul_f32_e32 v35, 0x3fb8aa3b, v35
	v_add_f32_e32 v57, v57, v44
	v_cndmask_b32_e64 v45, 0, v45, s[14:15]
	v_exp_f32_e32 v35, v35
	v_add_f32_e32 v57, v57, v45
	v_cndmask_b32_e64 v40, 0, v40, s[8:9]
	v_add_f32_e32 v57, v57, v40
	v_cndmask_b32_e64 v41, 0, v41, s[10:11]
	v_add_f32_e32 v57, v57, v41
	v_cndmask_b32_e32 v34, 0, v34, vcc
	v_add_f32_e32 v57, v57, v34
	v_cndmask_b32_e64 v35, 0, v35, s[2:3]
	v_add_f32_e32 v57, v57, v35
	ds_bpermute_b32 v58, v58, v57
	v_cmp_gt_u32_e32 vcc, 16, v53
	s_waitcnt lgkmcnt(0)
	s_barrier
	v_add_f32_e32 v57, v57, v58
	ds_bpermute_b32 v58, v59, v57
	s_and_saveexec_b64 s[2:3], vcc
	s_cbranch_execz .LBB43_13
; %bb.12:
	s_waitcnt lgkmcnt(0)
	v_add_f32_e32 v53, v57, v58
	v_lshl_or_b32 v57, v52, 6, v54
	ds_write2st64_b32 v57, v56, v53 offset1:1
.LBB43_13:
	s_or_b64 exec, exec, s[2:3]
	s_load_dword s8, s[4:5], 0x94
	s_waitcnt lgkmcnt(0)
	s_barrier
	ds_read2_b32 v[56:57], v54 offset1:16
	ds_read2_b32 v[58:59], v54 offset0:32 offset1:48
	ds_read2_b32 v[60:61], v54 offset0:64 offset1:80
	s_lshl_b32 s9, s33, 3
	s_waitcnt lgkmcnt(2)
	v_max3_f32 v53, v56, s42, v57
	s_waitcnt lgkmcnt(1)
	v_max3_f32 v53, v53, v58, v59
	v_sub_f32_e32 v56, v56, v53
	v_mul_f32_e32 v56, 0x3fb8aa3b, v56
	v_exp_f32_e32 v62, v56
	v_sub_f32_e32 v56, v57, v53
	v_mul_f32_e32 v56, 0x3fb8aa3b, v56
	v_exp_f32_e32 v63, v56
	;; [unrolled: 3-line block ×3, first 2 shown]
	ds_read2_b32 v[56:57], v54 offset0:96 offset1:112
	v_sub_f32_e32 v54, v59, v53
	v_mul_f32_e32 v54, 0x3fb8aa3b, v54
	v_exp_f32_e32 v59, v54
	s_waitcnt lgkmcnt(1)
	v_fma_f32 v54, v62, v60, 0
	v_fmac_f32_e32 v54, v63, v61
	s_waitcnt lgkmcnt(0)
	v_fmac_f32_e32 v54, v58, v56
	v_fmac_f32_e32 v54, v59, v57
	v_add_f32_e32 v56, 0x358637bd, v54
	v_div_scale_f32 v57, s[2:3], v56, v56, 1.0
	v_rcp_f32_e32 v60, v57
	s_barrier
	v_fma_f32 v61, -v57, v60, 1.0
	v_fmac_f32_e32 v60, v61, v60
	v_div_scale_f32 v61, vcc, 1.0, v56, 1.0
	v_mul_f32_e32 v64, v61, v60
	v_fma_f32 v65, -v57, v64, v61
	v_fmac_f32_e32 v64, v65, v60
	v_fma_f32 v57, -v57, v64, v61
	v_div_fmas_f32 v57, v57, v60, v64
	v_cmp_eq_u32_e32 vcc, 1, v52
	v_div_fixup_f32 v56, v57, v56, 1.0
	v_cndmask_b32_e32 v57, v62, v63, vcc
	v_cmp_eq_u32_e32 vcc, 2, v52
	v_cndmask_b32_e32 v57, v57, v58, vcc
	v_cmp_eq_u32_e32 vcc, 3, v52
	v_cndmask_b32_e32 v57, v57, v59, vcc
	v_mul_f32_e32 v56, v57, v56
	v_pk_mul_f32 v[46:47], v[56:57], v[46:47] op_sel_hi:[0,1]
	v_pk_mul_f32 v[36:37], v[56:57], v[36:37] op_sel_hi:[0,1]
	v_cvt_f16_f32_e32 v57, v46
	v_cvt_f16_f32_e32 v47, v47
	;; [unrolled: 1-line block ×4, first 2 shown]
	v_cmp_gt_u32_e32 vcc, 8, v0
	v_pack_b32_f16 v47, v57, v47
	v_lshlrev_b32_e32 v57, 3, v1
	v_pack_b32_f16 v46, v36, v37
	v_pk_mul_f32 v[36:37], v[56:57], v[48:49] op_sel_hi:[0,1]
	v_pk_mul_f32 v[38:39], v[56:57], v[38:39] op_sel_hi:[0,1]
	v_cvt_f16_f32_e32 v38, v38
	v_cvt_f16_f32_e32 v39, v39
	;; [unrolled: 1-line block ×4, first 2 shown]
	v_lshlrev_b32_e32 v36, 11, v52
	v_or3_b32 v36, v36, v55, v57
	v_pack_b32_f16 v38, v38, v39
	v_pack_b32_f16 v39, v48, v37
	ds_write2st64_b64 v36, v[46:47], v[38:39] offset1:1
	v_pk_mul_f32 v[38:39], v[56:57], v[44:45] op_sel_hi:[0,1]
	v_pk_mul_f32 v[42:43], v[56:57], v[42:43] op_sel_hi:[0,1]
	v_cvt_f16_f32_e32 v37, v42
	v_cvt_f16_f32_e32 v42, v43
	;; [unrolled: 1-line block ×4, first 2 shown]
	v_pk_mul_f32 v[34:35], v[56:57], v[34:35] op_sel_hi:[0,1]
	v_pk_mul_f32 v[38:39], v[56:57], v[40:41] op_sel_hi:[0,1]
	v_cvt_f16_f32_e32 v38, v38
	v_cvt_f16_f32_e32 v39, v39
	;; [unrolled: 1-line block ×4, first 2 shown]
	v_pack_b32_f16 v34, v37, v42
	v_pack_b32_f16 v35, v43, v44
	;; [unrolled: 1-line block ×4, first 2 shown]
	ds_write2st64_b64 v36, v[34:35], v[38:39] offset0:2 offset1:3
	s_and_saveexec_b64 s[2:3], vcc
	s_cbranch_execz .LBB43_15
; %bb.14:
	v_or_b32_e32 v34, s29, v0
	v_mov_b32_e32 v35, 0
	v_mov_b32_e32 v37, s9
	v_mad_u64_u32 v[38:39], s[10:11], s6, v37, v[34:35]
	v_mov_b32_e32 v34, s28
	s_load_dwordx4 s[12:15], s[4:5], 0x58
	s_mul_i32 s7, s7, s9
	v_mad_u64_u32 v[34:35], s[10:11], v38, s8, v[34:35]
	v_add_u32_e32 v37, s7, v39
	v_mov_b32_e32 v38, v35
	v_mad_u64_u32 v[38:39], s[10:11], v37, s8, v[38:39]
	v_mov_b32_e32 v35, v38
	v_lshlrev_b64 v[34:35], 2, v[34:35]
	s_waitcnt lgkmcnt(0)
	v_mov_b32_e32 v37, s15
	v_add_co_u32_e32 v38, vcc, s14, v34
	v_addc_co_u32_e32 v39, vcc, v37, v35, vcc
	v_mov_b32_e32 v37, s13
	v_add_co_u32_e32 v34, vcc, s12, v34
	v_addc_co_u32_e32 v35, vcc, v37, v35, vcc
	global_store_dword v[38:39], v53, off
	global_store_dword v[34:35], v54, off
.LBB43_15:
	s_or_b64 exec, exec, s[2:3]
	v_lshl_or_b32 v34, v1, 9, v55
	s_waitcnt lgkmcnt(0)
	s_barrier
	ds_read_b128 v[38:41], v34
	ds_read_b128 v[42:45], v34 offset:16
	s_waitcnt vmcnt(7) lgkmcnt(1)
	v_mfma_f32_16x16x16f16 v[46:49], v[14:15], v[38:39], 0
	v_cmp_gt_u32_e32 vcc, 64, v0
	s_mov_b32 s3, 0
	s_and_b64 s[0:1], vcc, s[0:1]
	v_mfma_f32_16x16x16f16 v[14:17], v[16:17], v[40:41], v[46:49]
	s_waitcnt vmcnt(6) lgkmcnt(0)
	v_mfma_f32_16x16x16f16 v[14:17], v[10:11], v[42:43], v[14:17]
	v_mfma_f32_16x16x16f16 v[10:13], v[12:13], v[44:45], v[14:17]
	s_nop 7
	s_nop 1
	ds_read_b128 v[14:17], v34 offset:2048
	ds_read_b128 v[38:41], v34 offset:2064
	s_waitcnt vmcnt(5) lgkmcnt(1)
	v_mfma_f32_16x16x16f16 v[10:13], v[6:7], v[14:15], v[10:13]
	v_mfma_f32_16x16x16f16 v[6:9], v[8:9], v[16:17], v[10:13]
	s_waitcnt vmcnt(4) lgkmcnt(0)
	v_mfma_f32_16x16x16f16 v[6:9], v[2:3], v[38:39], v[6:9]
	v_mfma_f32_16x16x16f16 v[2:5], v[4:5], v[40:41], v[6:9]
	s_nop 7
	s_nop 1
	ds_read_b128 v[6:9], v34 offset:4096
	ds_read_b128 v[10:13], v34 offset:4112
	s_waitcnt vmcnt(3) lgkmcnt(1)
	v_mfma_f32_16x16x16f16 v[2:5], v[30:31], v[6:7], v[2:5]
	v_mfma_f32_16x16x16f16 v[2:5], v[32:33], v[8:9], v[2:5]
	s_waitcnt vmcnt(2) lgkmcnt(0)
	v_mfma_f32_16x16x16f16 v[2:5], v[22:23], v[10:11], v[2:5]
	v_mfma_f32_16x16x16f16 v[2:5], v[24:25], v[12:13], v[2:5]
	ds_read_b128 v[6:9], v34 offset:6144
	ds_read_b128 v[10:13], v34 offset:6160
	s_waitcnt lgkmcnt(0)
	s_barrier
	s_waitcnt vmcnt(1)
	v_mfma_f32_16x16x16f16 v[2:5], v[26:27], v[6:7], v[2:5]
	v_mfma_f32_16x16x16f16 v[2:5], v[28:29], v[8:9], v[2:5]
	s_waitcnt vmcnt(0)
	v_mfma_f32_16x16x16f16 v[2:5], v[18:19], v[10:11], v[2:5]
	v_mfma_f32_16x16x16f16 v[2:5], v[20:21], v[12:13], v[2:5]
	s_nop 7
	s_nop 2
	v_cvt_f16_f32_e32 v2, v2
	v_cvt_f16_f32_e32 v3, v3
	;; [unrolled: 1-line block ×4, first 2 shown]
	v_pack_b32_f16 v2, v2, v3
	v_pack_b32_f16 v3, v4, v5
	ds_write_b64 v36, v[2:3]
	s_waitcnt lgkmcnt(0)
	s_barrier
	s_and_saveexec_b64 s[10:11], s[0:1]
	s_cbranch_execz .LBB43_17
; %bb.16:
	s_load_dwordx2 s[0:1], s[4:5], 0x68
	s_lshl_b32 s7, s8, 6
	s_mul_i32 s2, s9, s6
	s_mul_hi_u32 s5, s2, s7
	s_mul_i32 s4, s2, s7
	s_lshl_b64 s[4:5], s[4:5], 1
	s_waitcnt lgkmcnt(0)
	s_add_u32 s4, s0, s4
	s_addc_u32 s5, s1, s5
	s_lshl_b32 s2, s28, 6
	v_lshlrev_b32_e32 v0, 10, v0
	s_lshl_b64 s[0:1], s[2:3], 1
	v_and_b32_e32 v0, 0x1800, v0
	v_lshlrev_b32_e32 v2, 5, v1
	v_and_b32_e32 v3, 16, v51
	s_add_u32 s0, s4, s0
	v_or3_b32 v0, v0, v2, v3
	s_addc_u32 s1, s5, s1
	ds_read_b128 v[2:5], v0
	ds_read_b128 v[6:9], v0 offset:128
	v_mov_b32_e32 v0, s1
	v_add_co_u32_e32 v10, vcc, s0, v50
	v_or_b32_e32 v12, s29, v1
	v_addc_co_u32_e32 v11, vcc, 0, v0, vcc
	v_mad_u64_u32 v[0:1], s[0:1], v12, s7, 0
	v_lshlrev_b64 v[0:1], 1, v[0:1]
	v_add_co_u32_e32 v0, vcc, v10, v0
	v_addc_co_u32_e32 v1, vcc, v11, v1, vcc
	s_waitcnt lgkmcnt(1)
	global_store_dwordx4 v[0:1], v[2:5], off
	v_or_b32_e32 v0, 4, v12
	v_mad_u64_u32 v[0:1], s[0:1], v0, s7, 0
	v_lshlrev_b64 v[0:1], 1, v[0:1]
	v_add_co_u32_e32 v0, vcc, v10, v0
	v_addc_co_u32_e32 v1, vcc, v11, v1, vcc
	s_waitcnt lgkmcnt(0)
	global_store_dwordx4 v[0:1], v[6:9], off
.LBB43_17:
	s_endpgm
	.section	.rodata,"a",@progbits
	.p2align	6, 0x0
	.amdhsa_kernel _Z39paged_attention_ll4mi_QKV_mfma16_kernelIDF16_DF16_LN4vllm18Fp8KVCacheDataTypeE0EDF16_Li16ELi64ELi256ELb0ELi8EL8MFMAType0EEvPKT_PKT0_S8_ifPKiSA_SA_iPKfiiiPfSD_PS3_PT2_iSC_SC_
		.amdhsa_group_segment_fixed_size 8192
		.amdhsa_private_segment_fixed_size 0
		.amdhsa_kernarg_size 400
		.amdhsa_user_sgpr_count 6
		.amdhsa_user_sgpr_private_segment_buffer 1
		.amdhsa_user_sgpr_dispatch_ptr 0
		.amdhsa_user_sgpr_queue_ptr 0
		.amdhsa_user_sgpr_kernarg_segment_ptr 1
		.amdhsa_user_sgpr_dispatch_id 0
		.amdhsa_user_sgpr_flat_scratch_init 0
		.amdhsa_user_sgpr_kernarg_preload_length 0
		.amdhsa_user_sgpr_kernarg_preload_offset 0
		.amdhsa_user_sgpr_private_segment_size 0
		.amdhsa_uses_dynamic_stack 0
		.amdhsa_system_sgpr_private_segment_wavefront_offset 0
		.amdhsa_system_sgpr_workgroup_id_x 1
		.amdhsa_system_sgpr_workgroup_id_y 1
		.amdhsa_system_sgpr_workgroup_id_z 1
		.amdhsa_system_sgpr_workgroup_info 0
		.amdhsa_system_vgpr_workitem_id 0
		.amdhsa_next_free_vgpr 66
		.amdhsa_next_free_sgpr 48
		.amdhsa_accum_offset 68
		.amdhsa_reserve_vcc 1
		.amdhsa_reserve_flat_scratch 0
		.amdhsa_float_round_mode_32 0
		.amdhsa_float_round_mode_16_64 0
		.amdhsa_float_denorm_mode_32 3
		.amdhsa_float_denorm_mode_16_64 3
		.amdhsa_dx10_clamp 1
		.amdhsa_ieee_mode 1
		.amdhsa_fp16_overflow 0
		.amdhsa_tg_split 0
		.amdhsa_exception_fp_ieee_invalid_op 0
		.amdhsa_exception_fp_denorm_src 0
		.amdhsa_exception_fp_ieee_div_zero 0
		.amdhsa_exception_fp_ieee_overflow 0
		.amdhsa_exception_fp_ieee_underflow 0
		.amdhsa_exception_fp_ieee_inexact 0
		.amdhsa_exception_int_div_zero 0
	.end_amdhsa_kernel
	.section	.text._Z39paged_attention_ll4mi_QKV_mfma16_kernelIDF16_DF16_LN4vllm18Fp8KVCacheDataTypeE0EDF16_Li16ELi64ELi256ELb0ELi8EL8MFMAType0EEvPKT_PKT0_S8_ifPKiSA_SA_iPKfiiiPfSD_PS3_PT2_iSC_SC_,"axG",@progbits,_Z39paged_attention_ll4mi_QKV_mfma16_kernelIDF16_DF16_LN4vllm18Fp8KVCacheDataTypeE0EDF16_Li16ELi64ELi256ELb0ELi8EL8MFMAType0EEvPKT_PKT0_S8_ifPKiSA_SA_iPKfiiiPfSD_PS3_PT2_iSC_SC_,comdat
.Lfunc_end43:
	.size	_Z39paged_attention_ll4mi_QKV_mfma16_kernelIDF16_DF16_LN4vllm18Fp8KVCacheDataTypeE0EDF16_Li16ELi64ELi256ELb0ELi8EL8MFMAType0EEvPKT_PKT0_S8_ifPKiSA_SA_iPKfiiiPfSD_PS3_PT2_iSC_SC_, .Lfunc_end43-_Z39paged_attention_ll4mi_QKV_mfma16_kernelIDF16_DF16_LN4vllm18Fp8KVCacheDataTypeE0EDF16_Li16ELi64ELi256ELb0ELi8EL8MFMAType0EEvPKT_PKT0_S8_ifPKiSA_SA_iPKfiiiPfSD_PS3_PT2_iSC_SC_
                                        ; -- End function
	.section	.AMDGPU.csdata,"",@progbits
; Kernel info:
; codeLenInByte = 3916
; NumSgprs: 52
; NumVgprs: 66
; NumAgprs: 0
; TotalNumVgprs: 66
; ScratchSize: 0
; MemoryBound: 0
; FloatMode: 240
; IeeeMode: 1
; LDSByteSize: 8192 bytes/workgroup (compile time only)
; SGPRBlocks: 6
; VGPRBlocks: 8
; NumSGPRsForWavesPerEU: 52
; NumVGPRsForWavesPerEU: 66
; AccumOffset: 68
; Occupancy: 7
; WaveLimiterHint : 1
; COMPUTE_PGM_RSRC2:SCRATCH_EN: 0
; COMPUTE_PGM_RSRC2:USER_SGPR: 6
; COMPUTE_PGM_RSRC2:TRAP_HANDLER: 0
; COMPUTE_PGM_RSRC2:TGID_X_EN: 1
; COMPUTE_PGM_RSRC2:TGID_Y_EN: 1
; COMPUTE_PGM_RSRC2:TGID_Z_EN: 1
; COMPUTE_PGM_RSRC2:TIDIG_COMP_CNT: 0
; COMPUTE_PGM_RSRC3_GFX90A:ACCUM_OFFSET: 16
; COMPUTE_PGM_RSRC3_GFX90A:TG_SPLIT: 0
	.section	.text._Z39paged_attention_ll4mi_QKV_mfma16_kernelIDF16_DF16_LN4vllm18Fp8KVCacheDataTypeE0EDF16_Li16ELi64ELi256ELb0ELi9EL8MFMAType0EEvPKT_PKT0_S8_ifPKiSA_SA_iPKfiiiPfSD_PS3_PT2_iSC_SC_,"axG",@progbits,_Z39paged_attention_ll4mi_QKV_mfma16_kernelIDF16_DF16_LN4vllm18Fp8KVCacheDataTypeE0EDF16_Li16ELi64ELi256ELb0ELi9EL8MFMAType0EEvPKT_PKT0_S8_ifPKiSA_SA_iPKfiiiPfSD_PS3_PT2_iSC_SC_,comdat
	.protected	_Z39paged_attention_ll4mi_QKV_mfma16_kernelIDF16_DF16_LN4vllm18Fp8KVCacheDataTypeE0EDF16_Li16ELi64ELi256ELb0ELi9EL8MFMAType0EEvPKT_PKT0_S8_ifPKiSA_SA_iPKfiiiPfSD_PS3_PT2_iSC_SC_ ; -- Begin function _Z39paged_attention_ll4mi_QKV_mfma16_kernelIDF16_DF16_LN4vllm18Fp8KVCacheDataTypeE0EDF16_Li16ELi64ELi256ELb0ELi9EL8MFMAType0EEvPKT_PKT0_S8_ifPKiSA_SA_iPKfiiiPfSD_PS3_PT2_iSC_SC_
	.globl	_Z39paged_attention_ll4mi_QKV_mfma16_kernelIDF16_DF16_LN4vllm18Fp8KVCacheDataTypeE0EDF16_Li16ELi64ELi256ELb0ELi9EL8MFMAType0EEvPKT_PKT0_S8_ifPKiSA_SA_iPKfiiiPfSD_PS3_PT2_iSC_SC_
	.p2align	8
	.type	_Z39paged_attention_ll4mi_QKV_mfma16_kernelIDF16_DF16_LN4vllm18Fp8KVCacheDataTypeE0EDF16_Li16ELi64ELi256ELb0ELi9EL8MFMAType0EEvPKT_PKT0_S8_ifPKiSA_SA_iPKfiiiPfSD_PS3_PT2_iSC_SC_,@function
_Z39paged_attention_ll4mi_QKV_mfma16_kernelIDF16_DF16_LN4vllm18Fp8KVCacheDataTypeE0EDF16_Li16ELi64ELi256ELb0ELi9EL8MFMAType0EEvPKT_PKT0_S8_ifPKiSA_SA_iPKfiiiPfSD_PS3_PT2_iSC_SC_: ; @_Z39paged_attention_ll4mi_QKV_mfma16_kernelIDF16_DF16_LN4vllm18Fp8KVCacheDataTypeE0EDF16_Li16ELi64ELi256ELb0ELi9EL8MFMAType0EEvPKT_PKT0_S8_ifPKiSA_SA_iPKfiiiPfSD_PS3_PT2_iSC_SC_
; %bb.0:
	s_load_dwordx2 s[0:1], s[4:5], 0x30
	s_mov_b32 s28, s7
	s_mov_b64 s[10:11], 0
	s_waitcnt lgkmcnt(0)
	s_cmp_lg_u64 s[0:1], 0
	s_cselect_b64 s[2:3], -1, 0
	s_and_b64 vcc, exec, s[2:3]
	s_cbranch_vccz .LBB44_7
; %bb.1:
	s_add_i32 s12, s6, 1
	s_mov_b32 s13, 0
	s_lshl_b64 s[14:15], s[12:13], 2
	s_add_u32 s14, s0, s14
	s_mov_b32 s7, s13
	s_addc_u32 s15, s1, s15
	s_lshl_b64 s[12:13], s[6:7], 2
	s_add_u32 s12, s0, s12
	s_addc_u32 s13, s1, s13
	s_load_dword s9, s[14:15], 0x0
	s_load_dword s16, s[12:13], 0x0
	s_waitcnt lgkmcnt(0)
	s_sub_i32 s9, s9, s16
	s_cmp_eq_u32 s9, 1
	s_cselect_b64 s[12:13], -1, 0
	s_andn2_b64 vcc, exec, s[10:11]
	s_cbranch_vccnz .LBB44_3
.LBB44_2:
	s_mov_b32 s7, 0
	s_mov_b64 s[12:13], -1
.LBB44_3:
	s_andn2_b64 vcc, exec, s[12:13]
	s_cbranch_vccnz .LBB44_18
; %bb.4:
	s_load_dwordx2 s[12:13], s[4:5], 0x28
	s_lshl_b64 s[10:11], s[6:7], 2
	s_waitcnt lgkmcnt(0)
	s_add_u32 s12, s12, s10
	s_addc_u32 s13, s13, s11
	s_load_dword s40, s[12:13], 0x0
	s_lshl_b32 s16, s28, 8
	s_waitcnt lgkmcnt(0)
	s_cmp_ge_i32 s16, s40
	s_cbranch_scc1 .LBB44_18
; %bb.5:
	s_add_i32 s14, s40, 15
	s_load_dwordx2 s[12:13], s[4:5], 0x20
	s_load_dword s9, s[4:5], 0x38
	s_ashr_i32 s15, s14, 31
	v_and_b32_e32 v1, 0xcf, v0
	s_lshr_b32 s15, s15, 28
	v_add_u32_e32 v1, s16, v1
	s_add_i32 s14, s14, s15
	v_ashrrev_i32_e32 v2, 31, v1
	s_ashr_i32 s19, s14, 4
	v_lshrrev_b32_e32 v10, 28, v2
	s_add_i32 s19, s19, -1
	v_add_u32_e32 v2, v1, v10
	s_waitcnt lgkmcnt(0)
	s_mul_i32 s14, s6, s9
	s_mov_b32 s15, 0
	v_ashrrev_i32_e32 v2, 4, v2
	v_mov_b32_e32 v11, s19
	v_cmp_gt_i32_e32 vcc, s40, v1
	s_lshl_b64 s[14:15], s[14:15], 2
	v_cndmask_b32_e32 v2, v11, v2, vcc
	s_add_u32 s17, s12, s14
	v_ashrrev_i32_e32 v3, 31, v2
	s_addc_u32 s18, s13, s15
	v_lshlrev_b64 v[2:3], 2, v[2:3]
	v_mov_b32_e32 v5, s18
	v_add_co_u32_e32 v4, vcc, s17, v2
	v_or_b32_e32 v2, 16, v1
	v_addc_co_u32_e32 v5, vcc, v5, v3, vcc
	v_add_u32_e32 v3, v2, v10
	v_ashrrev_i32_e32 v3, 4, v3
	v_cmp_gt_i32_e32 vcc, s40, v2
	v_cndmask_b32_e32 v2, v11, v3, vcc
	v_ashrrev_i32_e32 v3, 31, v2
	v_lshlrev_b64 v[2:3], 2, v[2:3]
	v_mov_b32_e32 v7, s18
	v_add_co_u32_e32 v6, vcc, s17, v2
	v_or_b32_e32 v2, 32, v1
	v_addc_co_u32_e32 v7, vcc, v7, v3, vcc
	v_add_u32_e32 v3, v2, v10
	v_ashrrev_i32_e32 v3, 4, v3
	v_cmp_gt_i32_e32 vcc, s40, v2
	v_cndmask_b32_e32 v2, v11, v3, vcc
	v_ashrrev_i32_e32 v3, 31, v2
	;; [unrolled: 10-line block ×3, first 2 shown]
	v_lshlrev_b64 v[2:3], 2, v[2:3]
	v_mov_b32_e32 v1, s18
	v_add_co_u32_e32 v10, vcc, s17, v2
	v_addc_co_u32_e32 v11, vcc, v1, v3, vcc
	global_load_dword v3, v[4:5], off
	global_load_dword v2, v[6:7], off
	;; [unrolled: 1-line block ×4, first 2 shown]
	s_load_dwordx4 s[12:15], s[4:5], 0x8
	s_andn2_b64 vcc, exec, s[2:3]
	s_cbranch_vccnz .LBB44_8
; %bb.6:
	s_add_u32 s0, s0, s10
	s_addc_u32 s1, s1, s11
	s_load_dword s9, s[0:1], 0x0
	s_branch .LBB44_9
.LBB44_7:
	s_mov_b64 s[12:13], 0
	s_branch .LBB44_2
.LBB44_8:
	s_mov_b32 s9, s6
.LBB44_9:
	s_load_dwordx4 s[44:47], s[4:5], 0x48
	v_lshrrev_b32_e32 v53, 6, v0
	v_bfe_u32 v1, v0, 4, 2
	v_lshl_or_b32 v4, v53, 2, v1
	v_and_b32_e32 v52, 15, v0
	v_lshlrev_b32_e32 v5, 3, v52
	v_cmp_gt_u32_e32 vcc, 9, v4
	v_cmp_gt_u32_e64 s[0:1], 8, v52
	v_and_b32_e32 v54, 63, v0
	s_mul_i32 s29, s8, 9
	s_and_b64 s[10:11], s[0:1], vcc
	v_lshlrev_b32_e32 v50, 1, v5
	s_and_saveexec_b64 s[2:3], s[10:11]
	s_cbranch_execz .LBB44_11
; %bb.10:
	s_load_dwordx2 s[10:11], s[4:5], 0x0
	s_waitcnt lgkmcnt(0)
	s_ashr_i32 s20, s44, 31
	s_mul_hi_u32 s21, s9, s44
	s_mul_i32 s20, s9, s20
	s_add_i32 s21, s21, s20
	s_mul_i32 s20, s9, s44
	s_lshl_b64 s[20:21], s[20:21], 1
	v_add_lshl_u32 v6, v4, s29, 6
	s_add_u32 s9, s10, s20
	v_ashrrev_i32_e32 v7, 31, v6
	s_addc_u32 s10, s11, s21
	v_lshlrev_b64 v[6:7], 1, v[6:7]
	v_mov_b32_e32 v5, s10
	v_add_co_u32_e32 v6, vcc, s9, v6
	v_addc_co_u32_e32 v5, vcc, v5, v7, vcc
	v_add_co_u32_e32 v6, vcc, v6, v50
	v_addc_co_u32_e32 v7, vcc, 0, v5, vcc
	global_load_dwordx4 v[6:9], v[6:7], off
	v_and_b32_e32 v5, 3, v0
	v_lshlrev_b32_e32 v10, 9, v52
	v_lshlrev_b32_e32 v4, 5, v4
	;; [unrolled: 1-line block ×3, first 2 shown]
	v_and_b32_e32 v10, 0x1800, v10
	v_or3_b32 v4, v10, v5, v4
	s_waitcnt vmcnt(0)
	ds_write_b128 v4, v[6:9]
.LBB44_11:
	s_or_b64 exec, exec, s[2:3]
	s_waitcnt lgkmcnt(0)
	s_mul_i32 s8, s8, s46
	s_mov_b32 s9, 0
	s_lshl_b64 s[8:9], s[8:9], 1
	s_add_u32 s3, s12, s8
	v_lshlrev_b32_e32 v51, 4, v0
	s_addc_u32 s10, s13, s9
	v_and_b32_e32 v4, 0xf0, v51
	v_mov_b32_e32 v5, s10
	v_add_co_u32_e32 v29, vcc, s3, v4
	v_addc_co_u32_e32 v30, vcc, 0, v5, vcc
	s_waitcnt vmcnt(3)
	v_mad_i64_i32 v[4:5], s[10:11], v3, s45, 0
	v_lshlrev_b64 v[4:5], 1, v[4:5]
	v_add_co_u32_e32 v3, vcc, v29, v4
	v_addc_co_u32_e32 v5, vcc, v30, v5, vcc
	v_and_b32_e32 v31, 0x300, v51
	v_add_co_u32_e32 v4, vcc, v3, v31
	v_addc_co_u32_e32 v5, vcc, 0, v5, vcc
	s_load_dword s33, s[4:5], 0x98
	s_load_dword s2, s[4:5], 0x1c
	s_waitcnt lgkmcnt(0)
	s_barrier
	global_load_dwordx4 v[6:9], v[4:5], off
	s_waitcnt vmcnt(3)
	v_mad_i64_i32 v[2:3], s[10:11], v2, s45, 0
	v_lshlrev_b64 v[2:3], 1, v[2:3]
	v_add_co_u32_e32 v2, vcc, v29, v2
	v_addc_co_u32_e32 v3, vcc, v30, v3, vcc
	v_add_co_u32_e32 v2, vcc, v2, v31
	v_addc_co_u32_e32 v3, vcc, 0, v3, vcc
	global_load_dwordx4 v[22:25], v[2:3], off
	global_load_dwordx4 v[10:13], v[4:5], off offset:1024
	global_load_dwordx4 v[14:17], v[2:3], off offset:1024
	v_add_u32_e32 v2, -9, v52
	v_cmp_gt_u32_e32 vcc, 9, v52
	v_cndmask_b32_e32 v2, v2, v52, vcc
	v_lshlrev_b32_e32 v2, 5, v2
	v_lshl_add_u32 v20, v1, 9, v2
	ds_read_b128 v[2:5], v20
	s_waitcnt vmcnt(5)
	v_mad_i64_i32 v[18:19], s[10:11], v18, s45, 0
	v_lshlrev_b64 v[26:27], 1, v[18:19]
	ds_read_b128 v[18:21], v20 offset:2048
	v_and_or_b32 v55, v0, 48, s16
	v_mov_b32_e32 v60, s19
	v_mov_b32_e32 v49, s18
	v_or_b32_e32 v57, 0x80, v55
	v_mov_b32_e32 v56, s18
	v_mov_b32_e32 v61, s18
	s_add_u32 s3, s14, s8
	s_addc_u32 s8, s15, s9
	s_mov_b32 s42, 0xff7fffff
	s_waitcnt vmcnt(2) lgkmcnt(1)
	v_mfma_f32_16x16x16f16 v[36:39], v[22:23], v[2:3], 0
	v_mad_i64_i32 v[22:23], s[10:11], v28, s45, 0
	v_lshlrev_b64 v[44:45], 1, v[22:23]
	v_ashrrev_i32_e32 v22, 4, v55
	v_or_b32_e32 v28, 64, v55
	v_mfma_f32_16x16x16f16 v[32:35], v[6:7], v[2:3], 0
	v_add_co_u32_e32 v6, vcc, v29, v26
	v_addc_co_u32_e32 v7, vcc, v30, v27, vcc
	v_add_co_u32_e32 v26, vcc, v6, v31
	v_addc_co_u32_e32 v27, vcc, 0, v7, vcc
	global_load_dwordx4 v[40:43], v[26:27], off
	v_mfma_f32_16x16x16f16 v[6:9], v[8:9], v[4:5], v[32:35]
	v_cmp_gt_i32_e32 vcc, s40, v55
	v_cndmask_b32_e32 v46, v60, v22, vcc
	v_cmp_gt_i32_e32 vcc, s40, v28
	v_ashrrev_i32_e32 v47, 31, v46
	s_nop 2
	global_load_dwordx4 v[32:35], v[26:27], off offset:1024
	v_mfma_f32_16x16x16f16 v[22:25], v[24:25], v[4:5], v[36:39]
	s_nop 6
	v_ashrrev_i32_e32 v36, 4, v28
	v_cndmask_b32_e32 v48, v60, v36, vcc
	s_waitcnt vmcnt(3) lgkmcnt(0)
	v_mfma_f32_16x16x16f16 v[6:9], v[10:11], v[18:19], v[6:9]
	v_add_co_u32_e32 v10, vcc, v29, v44
	v_addc_co_u32_e32 v11, vcc, v30, v45, vcc
	v_add_co_u32_e32 v10, vcc, v10, v31
	v_addc_co_u32_e32 v11, vcc, 0, v11, vcc
	v_lshlrev_b64 v[36:37], 2, v[46:47]
	global_load_dwordx4 v[26:29], v[10:11], off
	s_waitcnt vmcnt(3)
	v_mfma_f32_16x16x16f16 v[22:25], v[14:15], v[18:19], v[22:25]
	v_add_co_u32_e32 v14, vcc, s17, v36
	v_addc_co_u32_e32 v15, vcc, v49, v37, vcc
	global_load_dword v44, v[14:15], off
	v_ashrrev_i32_e32 v38, 4, v57
	v_cmp_gt_i32_e32 vcc, s40, v57
	v_ashrrev_i32_e32 v49, 31, v48
	v_cndmask_b32_e32 v14, v60, v38, vcc
	v_mfma_f32_16x16x16f16 v[36:39], v[12:13], v[20:21], v[6:9]
	v_ashrrev_i32_e32 v15, 31, v14
	v_mov_b32_e32 v12, s18
	s_nop 4
	v_lshlrev_b64 v[6:7], 2, v[48:49]
	v_add_co_u32_e32 v6, vcc, s17, v6
	v_addc_co_u32_e32 v7, vcc, v56, v7, vcc
	global_load_dwordx4 v[56:59], v[10:11], off offset:1024
	global_load_dword v45, v[6:7], off
	v_lshlrev_b64 v[6:7], 2, v[14:15]
	v_add_co_u32_e32 v10, vcc, s17, v6
	v_addc_co_u32_e32 v11, vcc, v61, v7, vcc
	s_waitcnt vmcnt(5)
	v_mfma_f32_16x16x16f16 v[6:9], v[40:41], v[2:3], 0
	global_load_dword v40, v[10:11], off
	v_or_b32_e32 v10, 0xc0, v55
	v_ashrrev_i32_e32 v11, 4, v10
	v_cmp_gt_i32_e32 vcc, s40, v10
	v_cndmask_b32_e32 v10, v60, v11, vcc
	v_ashrrev_i32_e32 v11, 31, v10
	v_lshlrev_b64 v[10:11], 2, v[10:11]
	v_mfma_f32_16x16x16f16 v[6:9], v[42:43], v[4:5], v[6:9]
	v_add_co_u32_e32 v10, vcc, s17, v10
	v_addc_co_u32_e32 v11, vcc, v12, v11, vcc
	global_load_dword v60, v[10:11], off
	v_lshlrev_b32_e32 v55, 5, v52
	v_lshl_or_b32 v10, v53, 9, v55
	s_waitcnt vmcnt(6)
	v_mfma_f32_16x16x16f16 v[6:9], v[32:33], v[18:19], v[6:9]
	v_mov_b32_e32 v11, s8
	v_add_co_u32_e32 v61, vcc, s3, v10
	v_addc_co_u32_e32 v62, vcc, 0, v11, vcc
	v_pk_mul_f32 v[46:47], s[2:3], v[38:39] op_sel_hi:[0,1]
	v_mfma_f32_16x16x16f16 v[30:33], v[34:35], v[20:21], v[6:9]
	s_waitcnt vmcnt(1)
	v_mad_i64_i32 v[34:35], s[8:9], v40, s45, 0
	s_nop 4
	v_mad_i64_i32 v[6:7], s[8:9], v44, s45, 0
	v_lshlrev_b64 v[10:11], 1, v[6:7]
	v_mfma_f32_16x16x16f16 v[6:9], v[26:27], v[2:3], 0
	v_add_co_u32_e32 v2, vcc, v61, v10
	v_addc_co_u32_e32 v3, vcc, v62, v11, vcc
	v_lshlrev_b64 v[34:35], 1, v[34:35]
	v_pk_mul_f32 v[42:43], s[2:3], v[30:31] op_sel_hi:[0,1]
	v_mfma_f32_16x16x16f16 v[26:29], v[28:29], v[4:5], v[6:9]
	v_mfma_f32_16x16x16f16 v[22:25], v[16:17], v[20:21], v[22:25]
	global_load_dwordx4 v[14:17], v[2:3], off
	global_load_dwordx4 v[10:13], v[2:3], off offset:16
	v_mad_i64_i32 v[2:3], s[8:9], v45, s45, 0
	v_lshlrev_b64 v[2:3], 1, v[2:3]
	v_add_co_u32_e32 v2, vcc, v61, v2
	v_addc_co_u32_e32 v3, vcc, v62, v3, vcc
	v_mfma_f32_16x16x16f16 v[26:29], v[56:57], v[18:19], v[26:29]
	s_nop 3
	v_pk_mul_f32 v[38:39], s[2:3], v[22:23] op_sel_hi:[0,1]
	v_add_co_u32_e32 v56, vcc, v61, v34
	v_addc_co_u32_e32 v57, vcc, v62, v35, vcc
	v_pk_mul_f32 v[18:19], s[2:3], v[36:37] op_sel_hi:[0,1]
	v_pk_mul_f32 v[48:49], s[2:3], v[24:25] op_sel_hi:[0,1]
	v_mfma_f32_16x16x16f16 v[20:23], v[58:59], v[20:21], v[26:29]
	v_pk_mul_f32 v[44:45], s[2:3], v[32:33] op_sel_hi:[0,1]
	global_load_dwordx4 v[6:9], v[2:3], off
	s_nop 0
	global_load_dwordx4 v[2:5], v[2:3], off offset:16
	s_nop 6
	v_pk_mul_f32 v[40:41], s[2:3], v[20:21] op_sel_hi:[0,1]
	v_and_b32_e32 v20, 0xc0, v0
	v_add_u32_e32 v20, s16, v20
	v_lshl_or_b32 v20, v1, 2, v20
	v_pk_mul_f32 v[34:35], s[2:3], v[22:23] op_sel_hi:[0,1]
	v_or_b32_e32 v23, 1, v20
	v_mov_b32_e32 v21, 0xff7fffff
	v_cmp_gt_i32_e64 s[30:31], s40, v20
	v_cmp_gt_i32_e64 s[34:35], s40, v23
	v_cndmask_b32_e64 v22, v21, v18, s[30:31]
	v_cndmask_b32_e64 v23, v21, v19, s[34:35]
	v_max3_f32 v22, v22, s42, v23
	v_or_b32_e32 v23, 2, v20
	v_or_b32_e32 v24, 3, v20
	v_cmp_gt_i32_e64 s[36:37], s40, v23
	v_cmp_gt_i32_e64 s[38:39], s40, v24
	v_cndmask_b32_e64 v23, v21, v46, s[36:37]
	v_cndmask_b32_e64 v24, v21, v47, s[38:39]
	v_max3_f32 v22, v22, v23, v24
	v_or_b32_e32 v23, 16, v20
	v_or_b32_e32 v24, 17, v20
	;; [unrolled: 7-line block ×7, first 2 shown]
	v_cmp_gt_i32_e32 vcc, s40, v23
	v_cmp_gt_i32_e64 s[2:3], s40, v20
	v_cndmask_b32_e32 v23, v21, v34, vcc
	v_cndmask_b32_e64 v20, v21, v35, s[2:3]
	v_max3_f32 v26, v22, v23, v20
	v_mbcnt_lo_u32_b32 v20, -1, 0
	v_mbcnt_hi_u32_b32 v27, -1, v20
	v_and_b32_e32 v20, 64, v27
	v_add_u32_e32 v28, 64, v20
	v_xor_b32_e32 v20, 32, v27
	v_cmp_lt_i32_e64 s[40:41], v20, v28
	v_cndmask_b32_e64 v20, v27, v20, s[40:41]
	v_lshlrev_b32_e32 v58, 2, v20
	ds_bpermute_b32 v29, v58, v26
	s_waitcnt vmcnt(4)
	v_mad_i64_i32 v[20:21], s[40:41], v60, s45, 0
	global_load_dwordx4 v[30:33], v[56:57], off
	global_load_dwordx4 v[22:25], v[56:57], off offset:16
	v_lshlrev_b64 v[20:21], 1, v[20:21]
	s_waitcnt lgkmcnt(0)
	v_max_f32_e32 v29, v29, v29
	v_max_f32_e32 v26, v26, v29
	v_xor_b32_e32 v29, 16, v27
	v_cmp_lt_i32_e64 s[40:41], v29, v28
	v_cndmask_b32_e64 v27, v27, v29, s[40:41]
	v_lshlrev_b32_e32 v57, 2, v27
	ds_bpermute_b32 v27, v57, v26
	v_add_co_u32_e64 v20, s[40:41], v61, v20
	v_addc_co_u32_e64 v21, s[40:41], v62, v21, s[40:41]
	s_waitcnt lgkmcnt(0)
	v_max_f32_e32 v27, v27, v27
	v_max_f32_e32 v56, v26, v27
	v_sub_f32_e32 v18, v18, v56
	v_mul_f32_e32 v18, 0x3fb8aa3b, v18
	v_exp_f32_e32 v36, v18
	v_sub_f32_e32 v18, v19, v56
	v_mul_f32_e32 v18, 0x3fb8aa3b, v18
	v_exp_f32_e32 v37, v18
	global_load_dwordx4 v[26:29], v[20:21], off
	s_nop 0
	global_load_dwordx4 v[18:21], v[20:21], off offset:16
	v_sub_f32_e32 v46, v46, v56
	v_mul_f32_e32 v46, 0x3fb8aa3b, v46
	v_sub_f32_e32 v47, v47, v56
	v_exp_f32_e32 v46, v46
	v_mul_f32_e32 v47, 0x3fb8aa3b, v47
	v_sub_f32_e32 v38, v38, v56
	v_exp_f32_e32 v47, v47
	v_mul_f32_e32 v38, 0x3fb8aa3b, v38
	v_sub_f32_e32 v39, v39, v56
	v_cndmask_b32_e64 v36, 0, v36, s[30:31]
	v_exp_f32_e32 v38, v38
	v_mul_f32_e32 v39, 0x3fb8aa3b, v39
	v_sub_f32_e32 v48, v48, v56
	v_add_f32_e32 v59, 0, v36
	v_cndmask_b32_e64 v37, 0, v37, s[34:35]
	v_exp_f32_e32 v39, v39
	v_mul_f32_e32 v48, 0x3fb8aa3b, v48
	v_sub_f32_e32 v49, v49, v56
	v_add_f32_e32 v59, v59, v37
	v_cndmask_b32_e64 v46, 0, v46, s[36:37]
	v_exp_f32_e32 v48, v48
	v_mul_f32_e32 v49, 0x3fb8aa3b, v49
	v_sub_f32_e32 v42, v42, v56
	v_add_f32_e32 v59, v59, v46
	v_cndmask_b32_e64 v47, 0, v47, s[38:39]
	v_exp_f32_e32 v49, v49
	v_mul_f32_e32 v42, 0x3fb8aa3b, v42
	v_sub_f32_e32 v43, v43, v56
	v_add_f32_e32 v59, v59, v47
	v_cndmask_b32_e64 v38, 0, v38, s[24:25]
	v_exp_f32_e32 v42, v42
	v_mul_f32_e32 v43, 0x3fb8aa3b, v43
	v_sub_f32_e32 v44, v44, v56
	v_add_f32_e32 v59, v59, v38
	v_cndmask_b32_e64 v39, 0, v39, s[26:27]
	v_exp_f32_e32 v43, v43
	v_mul_f32_e32 v44, 0x3fb8aa3b, v44
	v_sub_f32_e32 v45, v45, v56
	v_add_f32_e32 v59, v59, v39
	v_cndmask_b32_e64 v48, 0, v48, s[20:21]
	v_exp_f32_e32 v44, v44
	v_mul_f32_e32 v45, 0x3fb8aa3b, v45
	v_sub_f32_e32 v40, v40, v56
	v_add_f32_e32 v59, v59, v48
	v_cndmask_b32_e64 v49, 0, v49, s[22:23]
	v_exp_f32_e32 v45, v45
	v_mul_f32_e32 v40, 0x3fb8aa3b, v40
	v_sub_f32_e32 v41, v41, v56
	v_add_f32_e32 v59, v59, v49
	v_cndmask_b32_e64 v42, 0, v42, s[16:17]
	v_exp_f32_e32 v40, v40
	v_mul_f32_e32 v41, 0x3fb8aa3b, v41
	v_sub_f32_e32 v34, v34, v56
	v_add_f32_e32 v59, v59, v42
	v_cndmask_b32_e64 v43, 0, v43, s[18:19]
	v_exp_f32_e32 v41, v41
	v_mul_f32_e32 v34, 0x3fb8aa3b, v34
	v_sub_f32_e32 v35, v35, v56
	v_add_f32_e32 v59, v59, v43
	v_cndmask_b32_e64 v44, 0, v44, s[12:13]
	v_exp_f32_e32 v34, v34
	v_mul_f32_e32 v35, 0x3fb8aa3b, v35
	v_add_f32_e32 v59, v59, v44
	v_cndmask_b32_e64 v45, 0, v45, s[14:15]
	v_exp_f32_e32 v35, v35
	v_add_f32_e32 v59, v59, v45
	v_cndmask_b32_e64 v40, 0, v40, s[8:9]
	v_add_f32_e32 v59, v59, v40
	v_cndmask_b32_e64 v41, 0, v41, s[10:11]
	v_add_f32_e32 v59, v59, v41
	v_cndmask_b32_e32 v34, 0, v34, vcc
	v_add_f32_e32 v59, v59, v34
	v_cndmask_b32_e64 v35, 0, v35, s[2:3]
	v_add_f32_e32 v59, v59, v35
	ds_bpermute_b32 v58, v58, v59
	v_cmp_gt_u32_e64 s[2:3], 16, v54
	s_waitcnt lgkmcnt(0)
	s_barrier
	v_add_f32_e32 v58, v59, v58
	ds_bpermute_b32 v59, v57, v58
	v_lshlrev_b32_e32 v57, 2, v52
	s_and_saveexec_b64 s[8:9], s[2:3]
	s_cbranch_execz .LBB44_13
; %bb.12:
	s_waitcnt lgkmcnt(0)
	v_add_f32_e32 v54, v58, v59
	v_lshl_or_b32 v58, v53, 6, v57
	ds_write2st64_b32 v58, v56, v54 offset1:1
.LBB44_13:
	s_or_b64 exec, exec, s[8:9]
	s_load_dword s10, s[4:5], 0x94
	s_waitcnt lgkmcnt(0)
	s_barrier
	ds_read2_b32 v[58:59], v57 offset1:16
	ds_read2_b32 v[60:61], v57 offset0:32 offset1:48
	ds_read2_b32 v[62:63], v57 offset0:64 offset1:80
	s_mul_i32 s11, s33, 9
	s_waitcnt lgkmcnt(2)
	v_max3_f32 v54, v58, s42, v59
	s_waitcnt lgkmcnt(1)
	v_max3_f32 v54, v54, v60, v61
	v_sub_f32_e32 v56, v58, v54
	v_mul_f32_e32 v56, 0x3fb8aa3b, v56
	v_exp_f32_e32 v64, v56
	v_sub_f32_e32 v56, v59, v54
	v_mul_f32_e32 v56, 0x3fb8aa3b, v56
	v_exp_f32_e32 v65, v56
	;; [unrolled: 3-line block ×3, first 2 shown]
	ds_read2_b32 v[58:59], v57 offset0:96 offset1:112
	v_sub_f32_e32 v56, v61, v54
	v_mul_f32_e32 v56, 0x3fb8aa3b, v56
	v_exp_f32_e32 v57, v56
	s_waitcnt lgkmcnt(1)
	v_fma_f32 v56, v64, v62, 0
	v_fmac_f32_e32 v56, v65, v63
	s_waitcnt lgkmcnt(0)
	v_fmac_f32_e32 v56, v60, v58
	v_fmac_f32_e32 v56, v57, v59
	v_add_f32_e32 v58, 0x358637bd, v56
	v_div_scale_f32 v59, s[8:9], v58, v58, 1.0
	v_rcp_f32_e32 v61, v59
	s_barrier
	v_fma_f32 v62, -v59, v61, 1.0
	v_fmac_f32_e32 v61, v62, v61
	v_div_scale_f32 v62, vcc, 1.0, v58, 1.0
	v_mul_f32_e32 v63, v62, v61
	v_fma_f32 v66, -v59, v63, v62
	v_fmac_f32_e32 v63, v66, v61
	v_fma_f32 v59, -v59, v63, v62
	v_div_fmas_f32 v59, v59, v61, v63
	v_cmp_eq_u32_e32 vcc, 1, v53
	v_div_fixup_f32 v58, v59, v58, 1.0
	v_cndmask_b32_e32 v59, v64, v65, vcc
	v_cmp_eq_u32_e32 vcc, 2, v53
	v_cndmask_b32_e32 v59, v59, v60, vcc
	v_cmp_eq_u32_e32 vcc, 3, v53
	v_cndmask_b32_e32 v57, v59, v57, vcc
	v_mul_f32_e32 v58, v57, v58
	v_pk_mul_f32 v[36:37], v[58:59], v[36:37] op_sel_hi:[0,1]
	v_cvt_f16_f32_e32 v36, v36
	v_cvt_f16_f32_e32 v37, v37
	v_pk_mul_f32 v[46:47], v[58:59], v[46:47] op_sel_hi:[0,1]
	v_cvt_f16_f32_e32 v57, v46
	v_cvt_f16_f32_e32 v47, v47
	v_pack_b32_f16 v46, v36, v37
	v_pk_mul_f32 v[36:37], v[58:59], v[48:49] op_sel_hi:[0,1]
	v_pk_mul_f32 v[38:39], v[58:59], v[38:39] op_sel_hi:[0,1]
	v_cvt_f16_f32_e32 v38, v38
	v_cvt_f16_f32_e32 v39, v39
	;; [unrolled: 1-line block ×4, first 2 shown]
	v_pack_b32_f16 v47, v57, v47
	v_lshlrev_b32_e32 v57, 3, v1
	v_lshlrev_b32_e32 v36, 11, v53
	v_or3_b32 v36, v36, v55, v57
	v_pack_b32_f16 v38, v38, v39
	v_pack_b32_f16 v39, v48, v37
	ds_write2st64_b64 v36, v[46:47], v[38:39] offset1:1
	v_pk_mul_f32 v[38:39], v[58:59], v[44:45] op_sel_hi:[0,1]
	v_pk_mul_f32 v[42:43], v[58:59], v[42:43] op_sel_hi:[0,1]
	v_cvt_f16_f32_e32 v37, v42
	v_cvt_f16_f32_e32 v42, v43
	;; [unrolled: 1-line block ×4, first 2 shown]
	v_pk_mul_f32 v[34:35], v[58:59], v[34:35] op_sel_hi:[0,1]
	v_pk_mul_f32 v[38:39], v[58:59], v[40:41] op_sel_hi:[0,1]
	v_cvt_f16_f32_e32 v38, v38
	v_cvt_f16_f32_e32 v39, v39
	;; [unrolled: 1-line block ×4, first 2 shown]
	v_pack_b32_f16 v34, v37, v42
	v_pack_b32_f16 v35, v43, v44
	v_pack_b32_f16 v38, v38, v39
	v_pack_b32_f16 v39, v40, v41
	v_cmp_gt_u32_e32 vcc, 9, v0
	ds_write2st64_b64 v36, v[34:35], v[38:39] offset0:2 offset1:3
	s_and_saveexec_b64 s[8:9], vcc
	s_cbranch_execz .LBB44_15
; %bb.14:
	v_add_co_u32_e32 v38, vcc, s29, v52
	v_addc_co_u32_e64 v39, s[16:17], 0, 0, vcc
	v_mov_b32_e32 v34, s11
	v_mov_b32_e32 v35, 0
	v_mad_u64_u32 v[38:39], s[16:17], s6, v34, v[38:39]
	v_mov_b32_e32 v34, s28
	s_load_dwordx4 s[12:15], s[4:5], 0x58
	s_mul_i32 s7, s7, s11
	v_mad_u64_u32 v[34:35], s[16:17], v38, s10, v[34:35]
	v_add_u32_e32 v37, s7, v39
	v_mov_b32_e32 v38, v35
	v_mad_u64_u32 v[38:39], s[16:17], v37, s10, v[38:39]
	v_mov_b32_e32 v35, v38
	v_lshlrev_b64 v[34:35], 2, v[34:35]
	s_waitcnt lgkmcnt(0)
	v_mov_b32_e32 v37, s15
	v_add_co_u32_e32 v38, vcc, s14, v34
	v_addc_co_u32_e32 v39, vcc, v37, v35, vcc
	v_mov_b32_e32 v37, s13
	v_add_co_u32_e32 v34, vcc, s12, v34
	v_addc_co_u32_e32 v35, vcc, v37, v35, vcc
	global_store_dword v[38:39], v54, off
	global_store_dword v[34:35], v56, off
.LBB44_15:
	s_or_b64 exec, exec, s[8:9]
	v_lshl_or_b32 v34, v1, 9, v55
	s_waitcnt lgkmcnt(0)
	s_barrier
	ds_read_b128 v[38:41], v34
	ds_read_b128 v[42:45], v34 offset:16
	s_waitcnt vmcnt(7) lgkmcnt(1)
	v_mfma_f32_16x16x16f16 v[46:49], v[14:15], v[38:39], 0
	v_cmp_gt_u32_e32 vcc, 64, v0
	s_mov_b32 s7, 0
	s_and_b64 s[0:1], vcc, s[0:1]
	v_mfma_f32_16x16x16f16 v[14:17], v[16:17], v[40:41], v[46:49]
	s_waitcnt vmcnt(6) lgkmcnt(0)
	v_mfma_f32_16x16x16f16 v[14:17], v[10:11], v[42:43], v[14:17]
	v_mfma_f32_16x16x16f16 v[10:13], v[12:13], v[44:45], v[14:17]
	s_nop 7
	s_nop 1
	ds_read_b128 v[14:17], v34 offset:2048
	ds_read_b128 v[38:41], v34 offset:2064
	s_waitcnt vmcnt(5) lgkmcnt(1)
	v_mfma_f32_16x16x16f16 v[10:13], v[6:7], v[14:15], v[10:13]
	v_mfma_f32_16x16x16f16 v[6:9], v[8:9], v[16:17], v[10:13]
	s_waitcnt vmcnt(4) lgkmcnt(0)
	v_mfma_f32_16x16x16f16 v[6:9], v[2:3], v[38:39], v[6:9]
	v_mfma_f32_16x16x16f16 v[2:5], v[4:5], v[40:41], v[6:9]
	s_nop 7
	s_nop 1
	ds_read_b128 v[6:9], v34 offset:4096
	ds_read_b128 v[10:13], v34 offset:4112
	s_waitcnt vmcnt(3) lgkmcnt(1)
	v_mfma_f32_16x16x16f16 v[2:5], v[30:31], v[6:7], v[2:5]
	v_mfma_f32_16x16x16f16 v[2:5], v[32:33], v[8:9], v[2:5]
	s_waitcnt vmcnt(2) lgkmcnt(0)
	v_mfma_f32_16x16x16f16 v[2:5], v[22:23], v[10:11], v[2:5]
	v_mfma_f32_16x16x16f16 v[2:5], v[24:25], v[12:13], v[2:5]
	ds_read_b128 v[6:9], v34 offset:6144
	ds_read_b128 v[10:13], v34 offset:6160
	s_waitcnt lgkmcnt(0)
	s_barrier
	s_waitcnt vmcnt(1)
	v_mfma_f32_16x16x16f16 v[2:5], v[26:27], v[6:7], v[2:5]
	v_mfma_f32_16x16x16f16 v[2:5], v[28:29], v[8:9], v[2:5]
	s_waitcnt vmcnt(0)
	v_mfma_f32_16x16x16f16 v[2:5], v[18:19], v[10:11], v[2:5]
	v_mfma_f32_16x16x16f16 v[2:5], v[20:21], v[12:13], v[2:5]
	s_nop 7
	s_nop 2
	v_cvt_f16_f32_e32 v2, v2
	v_cvt_f16_f32_e32 v3, v3
	;; [unrolled: 1-line block ×4, first 2 shown]
	v_pack_b32_f16 v2, v2, v3
	v_pack_b32_f16 v3, v4, v5
	ds_write_b64 v36, v[2:3]
	s_waitcnt lgkmcnt(0)
	s_barrier
	s_and_saveexec_b64 s[8:9], s[0:1]
	s_cbranch_execz .LBB44_18
; %bb.16:
	s_load_dwordx2 s[4:5], s[4:5], 0x68
	s_lshl_b32 s0, s10, 6
	s_mul_i32 s1, s11, s6
	s_mul_hi_u32 s9, s1, s0
	s_mul_i32 s8, s1, s0
	s_lshl_b64 s[8:9], s[8:9], 1
	s_waitcnt lgkmcnt(0)
	s_add_u32 s1, s4, s8
	v_lshlrev_b32_e32 v0, 10, v0
	s_addc_u32 s8, s5, s9
	s_lshl_b32 s6, s28, 6
	v_and_b32_e32 v0, 0x1800, v0
	v_lshlrev_b32_e32 v2, 5, v1
	v_and_b32_e32 v3, 16, v51
	s_lshl_b64 s[4:5], s[6:7], 1
	v_or3_b32 v0, v0, v2, v3
	s_add_u32 s1, s1, s4
	s_addc_u32 s4, s8, s5
	ds_read_b128 v[4:7], v0 offset:128
	ds_read_b128 v[8:11], v0
	v_add_u32_e32 v14, s29, v1
	v_mov_b32_e32 v3, s4
	v_add_co_u32_e32 v2, vcc, s1, v50
	v_mad_u64_u32 v[12:13], s[4:5], v14, s0, 0
	v_addc_co_u32_e32 v3, vcc, 0, v3, vcc
	v_lshlrev_b64 v[12:13], 1, v[12:13]
	v_add_co_u32_e32 v12, vcc, v2, v12
	v_addc_co_u32_e32 v13, vcc, v3, v13, vcc
	s_waitcnt lgkmcnt(0)
	global_store_dwordx4 v[12:13], v[8:11], off
	s_nop 0
	v_add_u32_e32 v8, 4, v14
	v_mad_u64_u32 v[8:9], s[4:5], v8, s0, 0
	v_lshlrev_b64 v[8:9], 1, v[8:9]
	v_add_co_u32_e32 v8, vcc, v2, v8
	v_addc_co_u32_e32 v9, vcc, v3, v9, vcc
	global_store_dwordx4 v[8:9], v[4:7], off
	s_and_b64 exec, exec, s[2:3]
	s_cbranch_execz .LBB44_18
; %bb.17:
	ds_read_b128 v[4:7], v0 offset:256
	v_add3_u32 v0, s29, v1, 8
	v_mad_u64_u32 v[0:1], s[0:1], v0, s0, 0
	v_lshlrev_b64 v[0:1], 1, v[0:1]
	v_add_co_u32_e32 v0, vcc, v2, v0
	v_addc_co_u32_e32 v1, vcc, v3, v1, vcc
	s_waitcnt lgkmcnt(0)
	global_store_dwordx4 v[0:1], v[4:7], off
.LBB44_18:
	s_endpgm
	.section	.rodata,"a",@progbits
	.p2align	6, 0x0
	.amdhsa_kernel _Z39paged_attention_ll4mi_QKV_mfma16_kernelIDF16_DF16_LN4vllm18Fp8KVCacheDataTypeE0EDF16_Li16ELi64ELi256ELb0ELi9EL8MFMAType0EEvPKT_PKT0_S8_ifPKiSA_SA_iPKfiiiPfSD_PS3_PT2_iSC_SC_
		.amdhsa_group_segment_fixed_size 8192
		.amdhsa_private_segment_fixed_size 0
		.amdhsa_kernarg_size 400
		.amdhsa_user_sgpr_count 6
		.amdhsa_user_sgpr_private_segment_buffer 1
		.amdhsa_user_sgpr_dispatch_ptr 0
		.amdhsa_user_sgpr_queue_ptr 0
		.amdhsa_user_sgpr_kernarg_segment_ptr 1
		.amdhsa_user_sgpr_dispatch_id 0
		.amdhsa_user_sgpr_flat_scratch_init 0
		.amdhsa_user_sgpr_kernarg_preload_length 0
		.amdhsa_user_sgpr_kernarg_preload_offset 0
		.amdhsa_user_sgpr_private_segment_size 0
		.amdhsa_uses_dynamic_stack 0
		.amdhsa_system_sgpr_private_segment_wavefront_offset 0
		.amdhsa_system_sgpr_workgroup_id_x 1
		.amdhsa_system_sgpr_workgroup_id_y 1
		.amdhsa_system_sgpr_workgroup_id_z 1
		.amdhsa_system_sgpr_workgroup_info 0
		.amdhsa_system_vgpr_workitem_id 0
		.amdhsa_next_free_vgpr 67
		.amdhsa_next_free_sgpr 48
		.amdhsa_accum_offset 68
		.amdhsa_reserve_vcc 1
		.amdhsa_reserve_flat_scratch 0
		.amdhsa_float_round_mode_32 0
		.amdhsa_float_round_mode_16_64 0
		.amdhsa_float_denorm_mode_32 3
		.amdhsa_float_denorm_mode_16_64 3
		.amdhsa_dx10_clamp 1
		.amdhsa_ieee_mode 1
		.amdhsa_fp16_overflow 0
		.amdhsa_tg_split 0
		.amdhsa_exception_fp_ieee_invalid_op 0
		.amdhsa_exception_fp_denorm_src 0
		.amdhsa_exception_fp_ieee_div_zero 0
		.amdhsa_exception_fp_ieee_overflow 0
		.amdhsa_exception_fp_ieee_underflow 0
		.amdhsa_exception_fp_ieee_inexact 0
		.amdhsa_exception_int_div_zero 0
	.end_amdhsa_kernel
	.section	.text._Z39paged_attention_ll4mi_QKV_mfma16_kernelIDF16_DF16_LN4vllm18Fp8KVCacheDataTypeE0EDF16_Li16ELi64ELi256ELb0ELi9EL8MFMAType0EEvPKT_PKT0_S8_ifPKiSA_SA_iPKfiiiPfSD_PS3_PT2_iSC_SC_,"axG",@progbits,_Z39paged_attention_ll4mi_QKV_mfma16_kernelIDF16_DF16_LN4vllm18Fp8KVCacheDataTypeE0EDF16_Li16ELi64ELi256ELb0ELi9EL8MFMAType0EEvPKT_PKT0_S8_ifPKiSA_SA_iPKfiiiPfSD_PS3_PT2_iSC_SC_,comdat
.Lfunc_end44:
	.size	_Z39paged_attention_ll4mi_QKV_mfma16_kernelIDF16_DF16_LN4vllm18Fp8KVCacheDataTypeE0EDF16_Li16ELi64ELi256ELb0ELi9EL8MFMAType0EEvPKT_PKT0_S8_ifPKiSA_SA_iPKfiiiPfSD_PS3_PT2_iSC_SC_, .Lfunc_end44-_Z39paged_attention_ll4mi_QKV_mfma16_kernelIDF16_DF16_LN4vllm18Fp8KVCacheDataTypeE0EDF16_Li16ELi64ELi256ELb0ELi9EL8MFMAType0EEvPKT_PKT0_S8_ifPKiSA_SA_iPKfiiiPfSD_PS3_PT2_iSC_SC_
                                        ; -- End function
	.section	.AMDGPU.csdata,"",@progbits
; Kernel info:
; codeLenInByte = 3992
; NumSgprs: 52
; NumVgprs: 67
; NumAgprs: 0
; TotalNumVgprs: 67
; ScratchSize: 0
; MemoryBound: 0
; FloatMode: 240
; IeeeMode: 1
; LDSByteSize: 8192 bytes/workgroup (compile time only)
; SGPRBlocks: 6
; VGPRBlocks: 8
; NumSGPRsForWavesPerEU: 52
; NumVGPRsForWavesPerEU: 67
; AccumOffset: 68
; Occupancy: 7
; WaveLimiterHint : 1
; COMPUTE_PGM_RSRC2:SCRATCH_EN: 0
; COMPUTE_PGM_RSRC2:USER_SGPR: 6
; COMPUTE_PGM_RSRC2:TRAP_HANDLER: 0
; COMPUTE_PGM_RSRC2:TGID_X_EN: 1
; COMPUTE_PGM_RSRC2:TGID_Y_EN: 1
; COMPUTE_PGM_RSRC2:TGID_Z_EN: 1
; COMPUTE_PGM_RSRC2:TIDIG_COMP_CNT: 0
; COMPUTE_PGM_RSRC3_GFX90A:ACCUM_OFFSET: 16
; COMPUTE_PGM_RSRC3_GFX90A:TG_SPLIT: 0
	.section	.text._Z39paged_attention_ll4mi_QKV_mfma16_kernelIDF16_DF16_LN4vllm18Fp8KVCacheDataTypeE0EDF16_Li16ELi64ELi256ELb0ELi10EL8MFMAType0EEvPKT_PKT0_S8_ifPKiSA_SA_iPKfiiiPfSD_PS3_PT2_iSC_SC_,"axG",@progbits,_Z39paged_attention_ll4mi_QKV_mfma16_kernelIDF16_DF16_LN4vllm18Fp8KVCacheDataTypeE0EDF16_Li16ELi64ELi256ELb0ELi10EL8MFMAType0EEvPKT_PKT0_S8_ifPKiSA_SA_iPKfiiiPfSD_PS3_PT2_iSC_SC_,comdat
	.protected	_Z39paged_attention_ll4mi_QKV_mfma16_kernelIDF16_DF16_LN4vllm18Fp8KVCacheDataTypeE0EDF16_Li16ELi64ELi256ELb0ELi10EL8MFMAType0EEvPKT_PKT0_S8_ifPKiSA_SA_iPKfiiiPfSD_PS3_PT2_iSC_SC_ ; -- Begin function _Z39paged_attention_ll4mi_QKV_mfma16_kernelIDF16_DF16_LN4vllm18Fp8KVCacheDataTypeE0EDF16_Li16ELi64ELi256ELb0ELi10EL8MFMAType0EEvPKT_PKT0_S8_ifPKiSA_SA_iPKfiiiPfSD_PS3_PT2_iSC_SC_
	.globl	_Z39paged_attention_ll4mi_QKV_mfma16_kernelIDF16_DF16_LN4vllm18Fp8KVCacheDataTypeE0EDF16_Li16ELi64ELi256ELb0ELi10EL8MFMAType0EEvPKT_PKT0_S8_ifPKiSA_SA_iPKfiiiPfSD_PS3_PT2_iSC_SC_
	.p2align	8
	.type	_Z39paged_attention_ll4mi_QKV_mfma16_kernelIDF16_DF16_LN4vllm18Fp8KVCacheDataTypeE0EDF16_Li16ELi64ELi256ELb0ELi10EL8MFMAType0EEvPKT_PKT0_S8_ifPKiSA_SA_iPKfiiiPfSD_PS3_PT2_iSC_SC_,@function
_Z39paged_attention_ll4mi_QKV_mfma16_kernelIDF16_DF16_LN4vllm18Fp8KVCacheDataTypeE0EDF16_Li16ELi64ELi256ELb0ELi10EL8MFMAType0EEvPKT_PKT0_S8_ifPKiSA_SA_iPKfiiiPfSD_PS3_PT2_iSC_SC_: ; @_Z39paged_attention_ll4mi_QKV_mfma16_kernelIDF16_DF16_LN4vllm18Fp8KVCacheDataTypeE0EDF16_Li16ELi64ELi256ELb0ELi10EL8MFMAType0EEvPKT_PKT0_S8_ifPKiSA_SA_iPKfiiiPfSD_PS3_PT2_iSC_SC_
; %bb.0:
	s_load_dwordx2 s[0:1], s[4:5], 0x30
	s_mov_b32 s28, s7
	s_mov_b64 s[10:11], 0
	s_waitcnt lgkmcnt(0)
	s_cmp_lg_u64 s[0:1], 0
	s_cselect_b64 s[2:3], -1, 0
	s_and_b64 vcc, exec, s[2:3]
	s_cbranch_vccz .LBB45_7
; %bb.1:
	s_add_i32 s12, s6, 1
	s_mov_b32 s13, 0
	s_lshl_b64 s[14:15], s[12:13], 2
	s_add_u32 s14, s0, s14
	s_mov_b32 s7, s13
	s_addc_u32 s15, s1, s15
	s_lshl_b64 s[12:13], s[6:7], 2
	s_add_u32 s12, s0, s12
	s_addc_u32 s13, s1, s13
	s_load_dword s9, s[14:15], 0x0
	s_load_dword s16, s[12:13], 0x0
	s_waitcnt lgkmcnt(0)
	s_sub_i32 s9, s9, s16
	s_cmp_eq_u32 s9, 1
	s_cselect_b64 s[12:13], -1, 0
	s_andn2_b64 vcc, exec, s[10:11]
	s_cbranch_vccnz .LBB45_3
.LBB45_2:
	s_mov_b32 s7, 0
	s_mov_b64 s[12:13], -1
.LBB45_3:
	s_andn2_b64 vcc, exec, s[12:13]
	s_cbranch_vccnz .LBB45_18
; %bb.4:
	s_load_dwordx2 s[12:13], s[4:5], 0x28
	s_lshl_b64 s[10:11], s[6:7], 2
	s_waitcnt lgkmcnt(0)
	s_add_u32 s12, s12, s10
	s_addc_u32 s13, s13, s11
	s_load_dword s40, s[12:13], 0x0
	s_lshl_b32 s16, s28, 8
	s_waitcnt lgkmcnt(0)
	s_cmp_ge_i32 s16, s40
	s_cbranch_scc1 .LBB45_18
; %bb.5:
	s_add_i32 s14, s40, 15
	s_load_dwordx2 s[12:13], s[4:5], 0x20
	s_load_dword s9, s[4:5], 0x38
	s_ashr_i32 s15, s14, 31
	v_and_b32_e32 v1, 0xcf, v0
	s_lshr_b32 s15, s15, 28
	v_add_u32_e32 v1, s16, v1
	s_add_i32 s14, s14, s15
	v_ashrrev_i32_e32 v2, 31, v1
	s_ashr_i32 s19, s14, 4
	v_lshrrev_b32_e32 v10, 28, v2
	s_add_i32 s19, s19, -1
	v_add_u32_e32 v2, v1, v10
	s_waitcnt lgkmcnt(0)
	s_mul_i32 s14, s6, s9
	s_mov_b32 s15, 0
	v_ashrrev_i32_e32 v2, 4, v2
	v_mov_b32_e32 v11, s19
	v_cmp_gt_i32_e32 vcc, s40, v1
	s_lshl_b64 s[14:15], s[14:15], 2
	v_cndmask_b32_e32 v2, v11, v2, vcc
	s_add_u32 s17, s12, s14
	v_ashrrev_i32_e32 v3, 31, v2
	s_addc_u32 s18, s13, s15
	v_lshlrev_b64 v[2:3], 2, v[2:3]
	v_mov_b32_e32 v5, s18
	v_add_co_u32_e32 v4, vcc, s17, v2
	v_or_b32_e32 v2, 16, v1
	v_addc_co_u32_e32 v5, vcc, v5, v3, vcc
	v_add_u32_e32 v3, v2, v10
	v_ashrrev_i32_e32 v3, 4, v3
	v_cmp_gt_i32_e32 vcc, s40, v2
	v_cndmask_b32_e32 v2, v11, v3, vcc
	v_ashrrev_i32_e32 v3, 31, v2
	v_lshlrev_b64 v[2:3], 2, v[2:3]
	v_mov_b32_e32 v7, s18
	v_add_co_u32_e32 v6, vcc, s17, v2
	v_or_b32_e32 v2, 32, v1
	v_addc_co_u32_e32 v7, vcc, v7, v3, vcc
	v_add_u32_e32 v3, v2, v10
	v_ashrrev_i32_e32 v3, 4, v3
	v_cmp_gt_i32_e32 vcc, s40, v2
	v_cndmask_b32_e32 v2, v11, v3, vcc
	v_ashrrev_i32_e32 v3, 31, v2
	;; [unrolled: 10-line block ×3, first 2 shown]
	v_lshlrev_b64 v[2:3], 2, v[2:3]
	v_mov_b32_e32 v1, s18
	v_add_co_u32_e32 v10, vcc, s17, v2
	v_addc_co_u32_e32 v11, vcc, v1, v3, vcc
	global_load_dword v3, v[4:5], off
	global_load_dword v2, v[6:7], off
	;; [unrolled: 1-line block ×4, first 2 shown]
	s_load_dwordx4 s[12:15], s[4:5], 0x8
	s_andn2_b64 vcc, exec, s[2:3]
	s_cbranch_vccnz .LBB45_8
; %bb.6:
	s_add_u32 s0, s0, s10
	s_addc_u32 s1, s1, s11
	s_load_dword s9, s[0:1], 0x0
	s_branch .LBB45_9
.LBB45_7:
	s_mov_b64 s[12:13], 0
	s_branch .LBB45_2
.LBB45_8:
	s_mov_b32 s9, s6
.LBB45_9:
	s_load_dwordx4 s[44:47], s[4:5], 0x48
	v_lshrrev_b32_e32 v53, 6, v0
	v_bfe_u32 v1, v0, 4, 2
	v_lshl_or_b32 v4, v53, 2, v1
	v_and_b32_e32 v52, 15, v0
	v_lshlrev_b32_e32 v5, 3, v52
	v_cmp_gt_u32_e32 vcc, 10, v4
	v_cmp_gt_u32_e64 s[0:1], 8, v52
	v_and_b32_e32 v54, 63, v0
	s_mul_i32 s29, s8, 10
	s_and_b64 s[10:11], s[0:1], vcc
	v_lshlrev_b32_e32 v50, 1, v5
	s_and_saveexec_b64 s[2:3], s[10:11]
	s_cbranch_execz .LBB45_11
; %bb.10:
	s_load_dwordx2 s[10:11], s[4:5], 0x0
	s_waitcnt lgkmcnt(0)
	s_ashr_i32 s20, s44, 31
	s_mul_hi_u32 s21, s9, s44
	s_mul_i32 s20, s9, s20
	s_add_i32 s21, s21, s20
	s_mul_i32 s20, s9, s44
	s_lshl_b64 s[20:21], s[20:21], 1
	v_add_lshl_u32 v6, v4, s29, 6
	s_add_u32 s9, s10, s20
	v_ashrrev_i32_e32 v7, 31, v6
	s_addc_u32 s10, s11, s21
	v_lshlrev_b64 v[6:7], 1, v[6:7]
	v_mov_b32_e32 v5, s10
	v_add_co_u32_e32 v6, vcc, s9, v6
	v_addc_co_u32_e32 v5, vcc, v5, v7, vcc
	v_add_co_u32_e32 v6, vcc, v6, v50
	v_addc_co_u32_e32 v7, vcc, 0, v5, vcc
	global_load_dwordx4 v[6:9], v[6:7], off
	v_and_b32_e32 v5, 3, v0
	v_lshlrev_b32_e32 v10, 9, v52
	v_lshlrev_b32_e32 v4, 5, v4
	;; [unrolled: 1-line block ×3, first 2 shown]
	v_and_b32_e32 v10, 0x1800, v10
	v_or3_b32 v4, v10, v5, v4
	s_waitcnt vmcnt(0)
	ds_write_b128 v4, v[6:9]
.LBB45_11:
	s_or_b64 exec, exec, s[2:3]
	s_waitcnt lgkmcnt(0)
	s_mul_i32 s8, s8, s46
	s_mov_b32 s9, 0
	s_lshl_b64 s[8:9], s[8:9], 1
	s_add_u32 s3, s12, s8
	v_lshlrev_b32_e32 v51, 4, v0
	s_addc_u32 s10, s13, s9
	v_and_b32_e32 v4, 0xf0, v51
	v_mov_b32_e32 v5, s10
	v_add_co_u32_e32 v29, vcc, s3, v4
	v_addc_co_u32_e32 v30, vcc, 0, v5, vcc
	s_waitcnt vmcnt(3)
	v_mad_i64_i32 v[4:5], s[10:11], v3, s45, 0
	v_lshlrev_b64 v[4:5], 1, v[4:5]
	v_add_co_u32_e32 v3, vcc, v29, v4
	v_addc_co_u32_e32 v5, vcc, v30, v5, vcc
	v_and_b32_e32 v31, 0x300, v51
	v_add_co_u32_e32 v4, vcc, v3, v31
	v_addc_co_u32_e32 v5, vcc, 0, v5, vcc
	s_load_dword s33, s[4:5], 0x98
	s_load_dword s2, s[4:5], 0x1c
	s_waitcnt lgkmcnt(0)
	s_barrier
	global_load_dwordx4 v[6:9], v[4:5], off
	s_waitcnt vmcnt(3)
	v_mad_i64_i32 v[2:3], s[10:11], v2, s45, 0
	v_lshlrev_b64 v[2:3], 1, v[2:3]
	v_add_co_u32_e32 v2, vcc, v29, v2
	v_addc_co_u32_e32 v3, vcc, v30, v3, vcc
	v_add_co_u32_e32 v2, vcc, v2, v31
	v_addc_co_u32_e32 v3, vcc, 0, v3, vcc
	global_load_dwordx4 v[22:25], v[2:3], off
	global_load_dwordx4 v[10:13], v[4:5], off offset:1024
	global_load_dwordx4 v[14:17], v[2:3], off offset:1024
	v_add_u32_e32 v2, -10, v52
	v_cmp_gt_u32_e32 vcc, 10, v52
	v_cndmask_b32_e32 v2, v2, v52, vcc
	v_lshlrev_b32_e32 v2, 5, v2
	v_lshl_add_u32 v20, v1, 9, v2
	ds_read_b128 v[2:5], v20
	s_waitcnt vmcnt(5)
	v_mad_i64_i32 v[18:19], s[10:11], v18, s45, 0
	v_lshlrev_b64 v[26:27], 1, v[18:19]
	ds_read_b128 v[18:21], v20 offset:2048
	v_and_or_b32 v55, v0, 48, s16
	v_mov_b32_e32 v60, s19
	v_mov_b32_e32 v49, s18
	v_or_b32_e32 v57, 0x80, v55
	v_mov_b32_e32 v56, s18
	v_mov_b32_e32 v61, s18
	s_add_u32 s3, s14, s8
	s_addc_u32 s8, s15, s9
	s_mov_b32 s42, 0xff7fffff
	s_waitcnt vmcnt(2) lgkmcnt(1)
	v_mfma_f32_16x16x16f16 v[36:39], v[22:23], v[2:3], 0
	v_mad_i64_i32 v[22:23], s[10:11], v28, s45, 0
	v_lshlrev_b64 v[44:45], 1, v[22:23]
	v_ashrrev_i32_e32 v22, 4, v55
	v_or_b32_e32 v28, 64, v55
	v_mfma_f32_16x16x16f16 v[32:35], v[6:7], v[2:3], 0
	v_add_co_u32_e32 v6, vcc, v29, v26
	v_addc_co_u32_e32 v7, vcc, v30, v27, vcc
	v_add_co_u32_e32 v26, vcc, v6, v31
	v_addc_co_u32_e32 v27, vcc, 0, v7, vcc
	global_load_dwordx4 v[40:43], v[26:27], off
	v_mfma_f32_16x16x16f16 v[6:9], v[8:9], v[4:5], v[32:35]
	v_cmp_gt_i32_e32 vcc, s40, v55
	v_cndmask_b32_e32 v46, v60, v22, vcc
	v_cmp_gt_i32_e32 vcc, s40, v28
	v_ashrrev_i32_e32 v47, 31, v46
	s_nop 2
	global_load_dwordx4 v[32:35], v[26:27], off offset:1024
	v_mfma_f32_16x16x16f16 v[22:25], v[24:25], v[4:5], v[36:39]
	s_nop 6
	v_ashrrev_i32_e32 v36, 4, v28
	v_cndmask_b32_e32 v48, v60, v36, vcc
	s_waitcnt vmcnt(3) lgkmcnt(0)
	v_mfma_f32_16x16x16f16 v[6:9], v[10:11], v[18:19], v[6:9]
	v_add_co_u32_e32 v10, vcc, v29, v44
	v_addc_co_u32_e32 v11, vcc, v30, v45, vcc
	v_add_co_u32_e32 v10, vcc, v10, v31
	v_addc_co_u32_e32 v11, vcc, 0, v11, vcc
	v_lshlrev_b64 v[36:37], 2, v[46:47]
	global_load_dwordx4 v[26:29], v[10:11], off
	s_waitcnt vmcnt(3)
	v_mfma_f32_16x16x16f16 v[22:25], v[14:15], v[18:19], v[22:25]
	v_add_co_u32_e32 v14, vcc, s17, v36
	v_addc_co_u32_e32 v15, vcc, v49, v37, vcc
	global_load_dword v44, v[14:15], off
	v_ashrrev_i32_e32 v38, 4, v57
	v_cmp_gt_i32_e32 vcc, s40, v57
	v_ashrrev_i32_e32 v49, 31, v48
	v_cndmask_b32_e32 v14, v60, v38, vcc
	v_mfma_f32_16x16x16f16 v[36:39], v[12:13], v[20:21], v[6:9]
	v_ashrrev_i32_e32 v15, 31, v14
	v_mov_b32_e32 v12, s18
	s_nop 4
	v_lshlrev_b64 v[6:7], 2, v[48:49]
	v_add_co_u32_e32 v6, vcc, s17, v6
	v_addc_co_u32_e32 v7, vcc, v56, v7, vcc
	global_load_dwordx4 v[56:59], v[10:11], off offset:1024
	global_load_dword v45, v[6:7], off
	v_lshlrev_b64 v[6:7], 2, v[14:15]
	v_add_co_u32_e32 v10, vcc, s17, v6
	v_addc_co_u32_e32 v11, vcc, v61, v7, vcc
	s_waitcnt vmcnt(5)
	v_mfma_f32_16x16x16f16 v[6:9], v[40:41], v[2:3], 0
	global_load_dword v40, v[10:11], off
	v_or_b32_e32 v10, 0xc0, v55
	v_ashrrev_i32_e32 v11, 4, v10
	v_cmp_gt_i32_e32 vcc, s40, v10
	v_cndmask_b32_e32 v10, v60, v11, vcc
	v_ashrrev_i32_e32 v11, 31, v10
	v_lshlrev_b64 v[10:11], 2, v[10:11]
	v_mfma_f32_16x16x16f16 v[6:9], v[42:43], v[4:5], v[6:9]
	v_add_co_u32_e32 v10, vcc, s17, v10
	v_addc_co_u32_e32 v11, vcc, v12, v11, vcc
	global_load_dword v60, v[10:11], off
	v_lshlrev_b32_e32 v55, 5, v52
	v_lshl_or_b32 v10, v53, 9, v55
	s_waitcnt vmcnt(6)
	v_mfma_f32_16x16x16f16 v[6:9], v[32:33], v[18:19], v[6:9]
	v_mov_b32_e32 v11, s8
	v_add_co_u32_e32 v61, vcc, s3, v10
	v_addc_co_u32_e32 v62, vcc, 0, v11, vcc
	v_pk_mul_f32 v[46:47], s[2:3], v[38:39] op_sel_hi:[0,1]
	v_mfma_f32_16x16x16f16 v[30:33], v[34:35], v[20:21], v[6:9]
	s_waitcnt vmcnt(1)
	v_mad_i64_i32 v[34:35], s[8:9], v40, s45, 0
	s_nop 4
	v_mad_i64_i32 v[6:7], s[8:9], v44, s45, 0
	v_lshlrev_b64 v[10:11], 1, v[6:7]
	v_mfma_f32_16x16x16f16 v[6:9], v[26:27], v[2:3], 0
	v_add_co_u32_e32 v2, vcc, v61, v10
	v_addc_co_u32_e32 v3, vcc, v62, v11, vcc
	v_lshlrev_b64 v[34:35], 1, v[34:35]
	v_pk_mul_f32 v[42:43], s[2:3], v[30:31] op_sel_hi:[0,1]
	v_mfma_f32_16x16x16f16 v[26:29], v[28:29], v[4:5], v[6:9]
	v_mfma_f32_16x16x16f16 v[22:25], v[16:17], v[20:21], v[22:25]
	global_load_dwordx4 v[14:17], v[2:3], off
	global_load_dwordx4 v[10:13], v[2:3], off offset:16
	v_mad_i64_i32 v[2:3], s[8:9], v45, s45, 0
	v_lshlrev_b64 v[2:3], 1, v[2:3]
	v_add_co_u32_e32 v2, vcc, v61, v2
	v_addc_co_u32_e32 v3, vcc, v62, v3, vcc
	v_mfma_f32_16x16x16f16 v[26:29], v[56:57], v[18:19], v[26:29]
	s_nop 3
	v_pk_mul_f32 v[38:39], s[2:3], v[22:23] op_sel_hi:[0,1]
	v_add_co_u32_e32 v56, vcc, v61, v34
	v_addc_co_u32_e32 v57, vcc, v62, v35, vcc
	v_pk_mul_f32 v[18:19], s[2:3], v[36:37] op_sel_hi:[0,1]
	v_pk_mul_f32 v[48:49], s[2:3], v[24:25] op_sel_hi:[0,1]
	v_mfma_f32_16x16x16f16 v[20:23], v[58:59], v[20:21], v[26:29]
	v_pk_mul_f32 v[44:45], s[2:3], v[32:33] op_sel_hi:[0,1]
	global_load_dwordx4 v[6:9], v[2:3], off
	s_nop 0
	global_load_dwordx4 v[2:5], v[2:3], off offset:16
	s_nop 6
	v_pk_mul_f32 v[40:41], s[2:3], v[20:21] op_sel_hi:[0,1]
	v_and_b32_e32 v20, 0xc0, v0
	v_add_u32_e32 v20, s16, v20
	v_lshl_or_b32 v20, v1, 2, v20
	v_pk_mul_f32 v[34:35], s[2:3], v[22:23] op_sel_hi:[0,1]
	v_or_b32_e32 v23, 1, v20
	v_mov_b32_e32 v21, 0xff7fffff
	v_cmp_gt_i32_e64 s[30:31], s40, v20
	v_cmp_gt_i32_e64 s[34:35], s40, v23
	v_cndmask_b32_e64 v22, v21, v18, s[30:31]
	v_cndmask_b32_e64 v23, v21, v19, s[34:35]
	v_max3_f32 v22, v22, s42, v23
	v_or_b32_e32 v23, 2, v20
	v_or_b32_e32 v24, 3, v20
	v_cmp_gt_i32_e64 s[36:37], s40, v23
	v_cmp_gt_i32_e64 s[38:39], s40, v24
	v_cndmask_b32_e64 v23, v21, v46, s[36:37]
	v_cndmask_b32_e64 v24, v21, v47, s[38:39]
	v_max3_f32 v22, v22, v23, v24
	v_or_b32_e32 v23, 16, v20
	v_or_b32_e32 v24, 17, v20
	;; [unrolled: 7-line block ×7, first 2 shown]
	v_cmp_gt_i32_e32 vcc, s40, v23
	v_cmp_gt_i32_e64 s[2:3], s40, v20
	v_cndmask_b32_e32 v23, v21, v34, vcc
	v_cndmask_b32_e64 v20, v21, v35, s[2:3]
	v_max3_f32 v26, v22, v23, v20
	v_mbcnt_lo_u32_b32 v20, -1, 0
	v_mbcnt_hi_u32_b32 v27, -1, v20
	v_and_b32_e32 v20, 64, v27
	v_add_u32_e32 v28, 64, v20
	v_xor_b32_e32 v20, 32, v27
	v_cmp_lt_i32_e64 s[40:41], v20, v28
	v_cndmask_b32_e64 v20, v27, v20, s[40:41]
	v_lshlrev_b32_e32 v58, 2, v20
	ds_bpermute_b32 v29, v58, v26
	s_waitcnt vmcnt(4)
	v_mad_i64_i32 v[20:21], s[40:41], v60, s45, 0
	global_load_dwordx4 v[30:33], v[56:57], off
	global_load_dwordx4 v[22:25], v[56:57], off offset:16
	v_lshlrev_b64 v[20:21], 1, v[20:21]
	s_waitcnt lgkmcnt(0)
	v_max_f32_e32 v29, v29, v29
	v_max_f32_e32 v26, v26, v29
	v_xor_b32_e32 v29, 16, v27
	v_cmp_lt_i32_e64 s[40:41], v29, v28
	v_cndmask_b32_e64 v27, v27, v29, s[40:41]
	v_lshlrev_b32_e32 v57, 2, v27
	ds_bpermute_b32 v27, v57, v26
	v_add_co_u32_e64 v20, s[40:41], v61, v20
	v_addc_co_u32_e64 v21, s[40:41], v62, v21, s[40:41]
	s_waitcnt lgkmcnt(0)
	v_max_f32_e32 v27, v27, v27
	v_max_f32_e32 v56, v26, v27
	v_sub_f32_e32 v18, v18, v56
	v_mul_f32_e32 v18, 0x3fb8aa3b, v18
	v_exp_f32_e32 v36, v18
	v_sub_f32_e32 v18, v19, v56
	v_mul_f32_e32 v18, 0x3fb8aa3b, v18
	v_exp_f32_e32 v37, v18
	global_load_dwordx4 v[26:29], v[20:21], off
	s_nop 0
	global_load_dwordx4 v[18:21], v[20:21], off offset:16
	v_sub_f32_e32 v46, v46, v56
	v_mul_f32_e32 v46, 0x3fb8aa3b, v46
	v_sub_f32_e32 v47, v47, v56
	v_exp_f32_e32 v46, v46
	v_mul_f32_e32 v47, 0x3fb8aa3b, v47
	v_sub_f32_e32 v38, v38, v56
	v_exp_f32_e32 v47, v47
	v_mul_f32_e32 v38, 0x3fb8aa3b, v38
	v_sub_f32_e32 v39, v39, v56
	v_cndmask_b32_e64 v36, 0, v36, s[30:31]
	v_exp_f32_e32 v38, v38
	v_mul_f32_e32 v39, 0x3fb8aa3b, v39
	v_sub_f32_e32 v48, v48, v56
	v_add_f32_e32 v59, 0, v36
	v_cndmask_b32_e64 v37, 0, v37, s[34:35]
	v_exp_f32_e32 v39, v39
	v_mul_f32_e32 v48, 0x3fb8aa3b, v48
	v_sub_f32_e32 v49, v49, v56
	v_add_f32_e32 v59, v59, v37
	;; [unrolled: 5-line block ×10, first 2 shown]
	v_cndmask_b32_e64 v44, 0, v44, s[12:13]
	v_exp_f32_e32 v34, v34
	v_mul_f32_e32 v35, 0x3fb8aa3b, v35
	v_add_f32_e32 v59, v59, v44
	v_cndmask_b32_e64 v45, 0, v45, s[14:15]
	v_exp_f32_e32 v35, v35
	v_add_f32_e32 v59, v59, v45
	v_cndmask_b32_e64 v40, 0, v40, s[8:9]
	v_add_f32_e32 v59, v59, v40
	v_cndmask_b32_e64 v41, 0, v41, s[10:11]
	v_add_f32_e32 v59, v59, v41
	v_cndmask_b32_e32 v34, 0, v34, vcc
	v_add_f32_e32 v59, v59, v34
	v_cndmask_b32_e64 v35, 0, v35, s[2:3]
	v_add_f32_e32 v59, v59, v35
	ds_bpermute_b32 v58, v58, v59
	v_cmp_gt_u32_e32 vcc, 16, v54
	s_waitcnt lgkmcnt(0)
	s_barrier
	v_add_f32_e32 v58, v59, v58
	ds_bpermute_b32 v59, v57, v58
	v_lshlrev_b32_e32 v57, 2, v52
	s_and_saveexec_b64 s[2:3], vcc
	s_cbranch_execz .LBB45_13
; %bb.12:
	s_waitcnt lgkmcnt(0)
	v_add_f32_e32 v54, v58, v59
	v_lshl_or_b32 v58, v53, 6, v57
	ds_write2st64_b32 v58, v56, v54 offset1:1
.LBB45_13:
	s_or_b64 exec, exec, s[2:3]
	s_load_dword s8, s[4:5], 0x94
	s_waitcnt lgkmcnt(0)
	s_barrier
	ds_read2_b32 v[58:59], v57 offset1:16
	ds_read2_b32 v[60:61], v57 offset0:32 offset1:48
	ds_read2_b32 v[62:63], v57 offset0:64 offset1:80
	s_mul_i32 s9, s33, 10
	s_waitcnt lgkmcnt(2)
	v_max3_f32 v54, v58, s42, v59
	s_waitcnt lgkmcnt(1)
	v_max3_f32 v54, v54, v60, v61
	v_sub_f32_e32 v56, v58, v54
	v_mul_f32_e32 v56, 0x3fb8aa3b, v56
	v_exp_f32_e32 v64, v56
	v_sub_f32_e32 v56, v59, v54
	v_mul_f32_e32 v56, 0x3fb8aa3b, v56
	v_exp_f32_e32 v65, v56
	v_sub_f32_e32 v56, v60, v54
	v_mul_f32_e32 v56, 0x3fb8aa3b, v56
	v_exp_f32_e32 v60, v56
	ds_read2_b32 v[58:59], v57 offset0:96 offset1:112
	v_sub_f32_e32 v56, v61, v54
	v_mul_f32_e32 v56, 0x3fb8aa3b, v56
	v_exp_f32_e32 v57, v56
	s_waitcnt lgkmcnt(1)
	v_fma_f32 v56, v64, v62, 0
	v_fmac_f32_e32 v56, v65, v63
	s_waitcnt lgkmcnt(0)
	v_fmac_f32_e32 v56, v60, v58
	v_fmac_f32_e32 v56, v57, v59
	v_add_f32_e32 v58, 0x358637bd, v56
	v_div_scale_f32 v59, s[2:3], v58, v58, 1.0
	v_rcp_f32_e32 v61, v59
	s_barrier
	v_fma_f32 v62, -v59, v61, 1.0
	v_fmac_f32_e32 v61, v62, v61
	v_div_scale_f32 v62, vcc, 1.0, v58, 1.0
	v_mul_f32_e32 v63, v62, v61
	v_fma_f32 v66, -v59, v63, v62
	v_fmac_f32_e32 v63, v66, v61
	v_fma_f32 v59, -v59, v63, v62
	v_div_fmas_f32 v59, v59, v61, v63
	v_cmp_eq_u32_e32 vcc, 1, v53
	v_div_fixup_f32 v58, v59, v58, 1.0
	v_cndmask_b32_e32 v59, v64, v65, vcc
	v_cmp_eq_u32_e32 vcc, 2, v53
	v_cndmask_b32_e32 v59, v59, v60, vcc
	v_cmp_eq_u32_e32 vcc, 3, v53
	v_cndmask_b32_e32 v57, v59, v57, vcc
	v_mul_f32_e32 v58, v57, v58
	v_pk_mul_f32 v[36:37], v[58:59], v[36:37] op_sel_hi:[0,1]
	v_cvt_f16_f32_e32 v36, v36
	v_cvt_f16_f32_e32 v37, v37
	v_pk_mul_f32 v[46:47], v[58:59], v[46:47] op_sel_hi:[0,1]
	v_cvt_f16_f32_e32 v57, v46
	v_cvt_f16_f32_e32 v47, v47
	v_pack_b32_f16 v46, v36, v37
	v_pk_mul_f32 v[36:37], v[58:59], v[48:49] op_sel_hi:[0,1]
	v_pk_mul_f32 v[38:39], v[58:59], v[38:39] op_sel_hi:[0,1]
	v_cvt_f16_f32_e32 v38, v38
	v_cvt_f16_f32_e32 v39, v39
	;; [unrolled: 1-line block ×4, first 2 shown]
	v_pack_b32_f16 v47, v57, v47
	v_lshlrev_b32_e32 v57, 3, v1
	v_lshlrev_b32_e32 v36, 11, v53
	v_or3_b32 v36, v36, v55, v57
	v_pack_b32_f16 v38, v38, v39
	v_pack_b32_f16 v39, v48, v37
	ds_write2st64_b64 v36, v[46:47], v[38:39] offset1:1
	v_pk_mul_f32 v[38:39], v[58:59], v[44:45] op_sel_hi:[0,1]
	v_pk_mul_f32 v[42:43], v[58:59], v[42:43] op_sel_hi:[0,1]
	v_cvt_f16_f32_e32 v37, v42
	v_cvt_f16_f32_e32 v42, v43
	;; [unrolled: 1-line block ×4, first 2 shown]
	v_pk_mul_f32 v[34:35], v[58:59], v[34:35] op_sel_hi:[0,1]
	v_pk_mul_f32 v[38:39], v[58:59], v[40:41] op_sel_hi:[0,1]
	v_cvt_f16_f32_e32 v38, v38
	v_cvt_f16_f32_e32 v39, v39
	;; [unrolled: 1-line block ×4, first 2 shown]
	v_pack_b32_f16 v34, v37, v42
	v_pack_b32_f16 v35, v43, v44
	;; [unrolled: 1-line block ×4, first 2 shown]
	v_cmp_gt_u32_e32 vcc, 10, v0
	ds_write2st64_b64 v36, v[34:35], v[38:39] offset0:2 offset1:3
	s_and_saveexec_b64 s[2:3], vcc
	s_cbranch_execz .LBB45_15
; %bb.14:
	v_add_co_u32_e32 v38, vcc, s29, v52
	v_addc_co_u32_e64 v39, s[10:11], 0, 0, vcc
	v_mov_b32_e32 v34, s9
	v_mov_b32_e32 v35, 0
	v_mad_u64_u32 v[38:39], s[10:11], s6, v34, v[38:39]
	v_mov_b32_e32 v34, s28
	s_load_dwordx4 s[12:15], s[4:5], 0x58
	s_mul_i32 s7, s7, s9
	v_mad_u64_u32 v[34:35], s[10:11], v38, s8, v[34:35]
	v_add_u32_e32 v37, s7, v39
	v_mov_b32_e32 v38, v35
	v_mad_u64_u32 v[38:39], s[10:11], v37, s8, v[38:39]
	v_mov_b32_e32 v35, v38
	v_lshlrev_b64 v[34:35], 2, v[34:35]
	s_waitcnt lgkmcnt(0)
	v_mov_b32_e32 v37, s15
	v_add_co_u32_e32 v38, vcc, s14, v34
	v_addc_co_u32_e32 v39, vcc, v37, v35, vcc
	v_mov_b32_e32 v37, s13
	v_add_co_u32_e32 v34, vcc, s12, v34
	v_addc_co_u32_e32 v35, vcc, v37, v35, vcc
	global_store_dword v[38:39], v54, off
	global_store_dword v[34:35], v56, off
.LBB45_15:
	s_or_b64 exec, exec, s[2:3]
	v_lshl_or_b32 v34, v1, 9, v55
	s_waitcnt lgkmcnt(0)
	s_barrier
	ds_read_b128 v[38:41], v34
	ds_read_b128 v[42:45], v34 offset:16
	s_waitcnt vmcnt(7) lgkmcnt(1)
	v_mfma_f32_16x16x16f16 v[46:49], v[14:15], v[38:39], 0
	v_cmp_gt_u32_e32 vcc, 64, v0
	s_mov_b32 s3, 0
	s_and_b64 s[0:1], vcc, s[0:1]
	v_mfma_f32_16x16x16f16 v[14:17], v[16:17], v[40:41], v[46:49]
	s_waitcnt vmcnt(6) lgkmcnt(0)
	v_mfma_f32_16x16x16f16 v[14:17], v[10:11], v[42:43], v[14:17]
	v_mfma_f32_16x16x16f16 v[10:13], v[12:13], v[44:45], v[14:17]
	s_nop 7
	s_nop 1
	ds_read_b128 v[14:17], v34 offset:2048
	ds_read_b128 v[38:41], v34 offset:2064
	s_waitcnt vmcnt(5) lgkmcnt(1)
	v_mfma_f32_16x16x16f16 v[10:13], v[6:7], v[14:15], v[10:13]
	v_mfma_f32_16x16x16f16 v[6:9], v[8:9], v[16:17], v[10:13]
	s_waitcnt vmcnt(4) lgkmcnt(0)
	v_mfma_f32_16x16x16f16 v[6:9], v[2:3], v[38:39], v[6:9]
	v_mfma_f32_16x16x16f16 v[2:5], v[4:5], v[40:41], v[6:9]
	s_nop 7
	s_nop 1
	ds_read_b128 v[6:9], v34 offset:4096
	ds_read_b128 v[10:13], v34 offset:4112
	s_waitcnt vmcnt(3) lgkmcnt(1)
	v_mfma_f32_16x16x16f16 v[2:5], v[30:31], v[6:7], v[2:5]
	v_mfma_f32_16x16x16f16 v[2:5], v[32:33], v[8:9], v[2:5]
	s_waitcnt vmcnt(2) lgkmcnt(0)
	v_mfma_f32_16x16x16f16 v[2:5], v[22:23], v[10:11], v[2:5]
	v_mfma_f32_16x16x16f16 v[2:5], v[24:25], v[12:13], v[2:5]
	ds_read_b128 v[6:9], v34 offset:6144
	ds_read_b128 v[10:13], v34 offset:6160
	s_waitcnt lgkmcnt(0)
	s_barrier
	s_waitcnt vmcnt(1)
	v_mfma_f32_16x16x16f16 v[2:5], v[26:27], v[6:7], v[2:5]
	v_mfma_f32_16x16x16f16 v[2:5], v[28:29], v[8:9], v[2:5]
	s_waitcnt vmcnt(0)
	v_mfma_f32_16x16x16f16 v[2:5], v[18:19], v[10:11], v[2:5]
	v_mfma_f32_16x16x16f16 v[2:5], v[20:21], v[12:13], v[2:5]
	s_nop 7
	s_nop 2
	v_cvt_f16_f32_e32 v2, v2
	v_cvt_f16_f32_e32 v3, v3
	;; [unrolled: 1-line block ×4, first 2 shown]
	v_pack_b32_f16 v2, v2, v3
	v_pack_b32_f16 v3, v4, v5
	ds_write_b64 v36, v[2:3]
	s_waitcnt lgkmcnt(0)
	s_barrier
	s_and_saveexec_b64 s[10:11], s[0:1]
	s_cbranch_execz .LBB45_18
; %bb.16:
	s_load_dwordx2 s[4:5], s[4:5], 0x68
	s_lshl_b32 s0, s8, 6
	s_mul_i32 s1, s9, s6
	s_mul_hi_u32 s7, s1, s0
	s_mul_i32 s6, s1, s0
	s_lshl_b64 s[6:7], s[6:7], 1
	s_waitcnt lgkmcnt(0)
	s_add_u32 s1, s4, s6
	v_lshlrev_b32_e32 v0, 10, v0
	s_addc_u32 s4, s5, s7
	s_lshl_b32 s2, s28, 6
	v_and_b32_e32 v0, 0x1800, v0
	v_lshlrev_b32_e32 v2, 5, v1
	v_and_b32_e32 v3, 16, v51
	s_lshl_b64 s[2:3], s[2:3], 1
	v_or3_b32 v0, v0, v2, v3
	s_add_u32 s1, s1, s2
	v_or_b32_e32 v2, 8, v1
	s_addc_u32 s2, s4, s3
	ds_read_b128 v[6:9], v0 offset:128
	ds_read_b128 v[10:13], v0
	v_add_u32_e32 v1, s29, v1
	v_mov_b32_e32 v4, s2
	v_add_co_u32_e32 v3, vcc, s1, v50
	v_mad_u64_u32 v[14:15], s[2:3], v1, s0, 0
	v_addc_co_u32_e32 v4, vcc, 0, v4, vcc
	v_lshlrev_b64 v[14:15], 1, v[14:15]
	v_add_co_u32_e32 v14, vcc, v3, v14
	v_addc_co_u32_e32 v15, vcc, v4, v15, vcc
	v_add_u32_e32 v1, 4, v1
	s_waitcnt lgkmcnt(0)
	global_store_dwordx4 v[14:15], v[10:13], off
	s_nop 0
	v_mad_u64_u32 v[10:11], s[2:3], v1, s0, 0
	v_lshlrev_b64 v[10:11], 1, v[10:11]
	v_add_co_u32_e32 v10, vcc, v3, v10
	v_addc_co_u32_e32 v11, vcc, v4, v11, vcc
	v_cmp_gt_u32_e32 vcc, 10, v2
	global_store_dwordx4 v[10:11], v[6:9], off
	s_and_b64 exec, exec, vcc
	s_cbranch_execz .LBB45_18
; %bb.17:
	ds_read_b128 v[6:9], v0 offset:256
	v_add_u32_e32 v0, s29, v2
	v_mad_u64_u32 v[0:1], s[0:1], v0, s0, 0
	v_lshlrev_b64 v[0:1], 1, v[0:1]
	v_add_co_u32_e32 v0, vcc, v3, v0
	v_addc_co_u32_e32 v1, vcc, v4, v1, vcc
	s_waitcnt lgkmcnt(0)
	global_store_dwordx4 v[0:1], v[6:9], off
.LBB45_18:
	s_endpgm
	.section	.rodata,"a",@progbits
	.p2align	6, 0x0
	.amdhsa_kernel _Z39paged_attention_ll4mi_QKV_mfma16_kernelIDF16_DF16_LN4vllm18Fp8KVCacheDataTypeE0EDF16_Li16ELi64ELi256ELb0ELi10EL8MFMAType0EEvPKT_PKT0_S8_ifPKiSA_SA_iPKfiiiPfSD_PS3_PT2_iSC_SC_
		.amdhsa_group_segment_fixed_size 8192
		.amdhsa_private_segment_fixed_size 0
		.amdhsa_kernarg_size 400
		.amdhsa_user_sgpr_count 6
		.amdhsa_user_sgpr_private_segment_buffer 1
		.amdhsa_user_sgpr_dispatch_ptr 0
		.amdhsa_user_sgpr_queue_ptr 0
		.amdhsa_user_sgpr_kernarg_segment_ptr 1
		.amdhsa_user_sgpr_dispatch_id 0
		.amdhsa_user_sgpr_flat_scratch_init 0
		.amdhsa_user_sgpr_kernarg_preload_length 0
		.amdhsa_user_sgpr_kernarg_preload_offset 0
		.amdhsa_user_sgpr_private_segment_size 0
		.amdhsa_uses_dynamic_stack 0
		.amdhsa_system_sgpr_private_segment_wavefront_offset 0
		.amdhsa_system_sgpr_workgroup_id_x 1
		.amdhsa_system_sgpr_workgroup_id_y 1
		.amdhsa_system_sgpr_workgroup_id_z 1
		.amdhsa_system_sgpr_workgroup_info 0
		.amdhsa_system_vgpr_workitem_id 0
		.amdhsa_next_free_vgpr 67
		.amdhsa_next_free_sgpr 48
		.amdhsa_accum_offset 68
		.amdhsa_reserve_vcc 1
		.amdhsa_reserve_flat_scratch 0
		.amdhsa_float_round_mode_32 0
		.amdhsa_float_round_mode_16_64 0
		.amdhsa_float_denorm_mode_32 3
		.amdhsa_float_denorm_mode_16_64 3
		.amdhsa_dx10_clamp 1
		.amdhsa_ieee_mode 1
		.amdhsa_fp16_overflow 0
		.amdhsa_tg_split 0
		.amdhsa_exception_fp_ieee_invalid_op 0
		.amdhsa_exception_fp_denorm_src 0
		.amdhsa_exception_fp_ieee_div_zero 0
		.amdhsa_exception_fp_ieee_overflow 0
		.amdhsa_exception_fp_ieee_underflow 0
		.amdhsa_exception_fp_ieee_inexact 0
		.amdhsa_exception_int_div_zero 0
	.end_amdhsa_kernel
	.section	.text._Z39paged_attention_ll4mi_QKV_mfma16_kernelIDF16_DF16_LN4vllm18Fp8KVCacheDataTypeE0EDF16_Li16ELi64ELi256ELb0ELi10EL8MFMAType0EEvPKT_PKT0_S8_ifPKiSA_SA_iPKfiiiPfSD_PS3_PT2_iSC_SC_,"axG",@progbits,_Z39paged_attention_ll4mi_QKV_mfma16_kernelIDF16_DF16_LN4vllm18Fp8KVCacheDataTypeE0EDF16_Li16ELi64ELi256ELb0ELi10EL8MFMAType0EEvPKT_PKT0_S8_ifPKiSA_SA_iPKfiiiPfSD_PS3_PT2_iSC_SC_,comdat
.Lfunc_end45:
	.size	_Z39paged_attention_ll4mi_QKV_mfma16_kernelIDF16_DF16_LN4vllm18Fp8KVCacheDataTypeE0EDF16_Li16ELi64ELi256ELb0ELi10EL8MFMAType0EEvPKT_PKT0_S8_ifPKiSA_SA_iPKfiiiPfSD_PS3_PT2_iSC_SC_, .Lfunc_end45-_Z39paged_attention_ll4mi_QKV_mfma16_kernelIDF16_DF16_LN4vllm18Fp8KVCacheDataTypeE0EDF16_Li16ELi64ELi256ELb0ELi10EL8MFMAType0EEvPKT_PKT0_S8_ifPKiSA_SA_iPKfiiiPfSD_PS3_PT2_iSC_SC_
                                        ; -- End function
	.section	.AMDGPU.csdata,"",@progbits
; Kernel info:
; codeLenInByte = 3992
; NumSgprs: 52
; NumVgprs: 67
; NumAgprs: 0
; TotalNumVgprs: 67
; ScratchSize: 0
; MemoryBound: 0
; FloatMode: 240
; IeeeMode: 1
; LDSByteSize: 8192 bytes/workgroup (compile time only)
; SGPRBlocks: 6
; VGPRBlocks: 8
; NumSGPRsForWavesPerEU: 52
; NumVGPRsForWavesPerEU: 67
; AccumOffset: 68
; Occupancy: 7
; WaveLimiterHint : 1
; COMPUTE_PGM_RSRC2:SCRATCH_EN: 0
; COMPUTE_PGM_RSRC2:USER_SGPR: 6
; COMPUTE_PGM_RSRC2:TRAP_HANDLER: 0
; COMPUTE_PGM_RSRC2:TGID_X_EN: 1
; COMPUTE_PGM_RSRC2:TGID_Y_EN: 1
; COMPUTE_PGM_RSRC2:TGID_Z_EN: 1
; COMPUTE_PGM_RSRC2:TIDIG_COMP_CNT: 0
; COMPUTE_PGM_RSRC3_GFX90A:ACCUM_OFFSET: 16
; COMPUTE_PGM_RSRC3_GFX90A:TG_SPLIT: 0
	.section	.text._Z39paged_attention_ll4mi_QKV_mfma16_kernelIDF16_DF16_LN4vllm18Fp8KVCacheDataTypeE0EDF16_Li16ELi64ELi256ELb0ELi11EL8MFMAType0EEvPKT_PKT0_S8_ifPKiSA_SA_iPKfiiiPfSD_PS3_PT2_iSC_SC_,"axG",@progbits,_Z39paged_attention_ll4mi_QKV_mfma16_kernelIDF16_DF16_LN4vllm18Fp8KVCacheDataTypeE0EDF16_Li16ELi64ELi256ELb0ELi11EL8MFMAType0EEvPKT_PKT0_S8_ifPKiSA_SA_iPKfiiiPfSD_PS3_PT2_iSC_SC_,comdat
	.protected	_Z39paged_attention_ll4mi_QKV_mfma16_kernelIDF16_DF16_LN4vllm18Fp8KVCacheDataTypeE0EDF16_Li16ELi64ELi256ELb0ELi11EL8MFMAType0EEvPKT_PKT0_S8_ifPKiSA_SA_iPKfiiiPfSD_PS3_PT2_iSC_SC_ ; -- Begin function _Z39paged_attention_ll4mi_QKV_mfma16_kernelIDF16_DF16_LN4vllm18Fp8KVCacheDataTypeE0EDF16_Li16ELi64ELi256ELb0ELi11EL8MFMAType0EEvPKT_PKT0_S8_ifPKiSA_SA_iPKfiiiPfSD_PS3_PT2_iSC_SC_
	.globl	_Z39paged_attention_ll4mi_QKV_mfma16_kernelIDF16_DF16_LN4vllm18Fp8KVCacheDataTypeE0EDF16_Li16ELi64ELi256ELb0ELi11EL8MFMAType0EEvPKT_PKT0_S8_ifPKiSA_SA_iPKfiiiPfSD_PS3_PT2_iSC_SC_
	.p2align	8
	.type	_Z39paged_attention_ll4mi_QKV_mfma16_kernelIDF16_DF16_LN4vllm18Fp8KVCacheDataTypeE0EDF16_Li16ELi64ELi256ELb0ELi11EL8MFMAType0EEvPKT_PKT0_S8_ifPKiSA_SA_iPKfiiiPfSD_PS3_PT2_iSC_SC_,@function
_Z39paged_attention_ll4mi_QKV_mfma16_kernelIDF16_DF16_LN4vllm18Fp8KVCacheDataTypeE0EDF16_Li16ELi64ELi256ELb0ELi11EL8MFMAType0EEvPKT_PKT0_S8_ifPKiSA_SA_iPKfiiiPfSD_PS3_PT2_iSC_SC_: ; @_Z39paged_attention_ll4mi_QKV_mfma16_kernelIDF16_DF16_LN4vllm18Fp8KVCacheDataTypeE0EDF16_Li16ELi64ELi256ELb0ELi11EL8MFMAType0EEvPKT_PKT0_S8_ifPKiSA_SA_iPKfiiiPfSD_PS3_PT2_iSC_SC_
; %bb.0:
	s_load_dwordx2 s[0:1], s[4:5], 0x30
	s_mov_b32 s28, s7
	s_mov_b64 s[10:11], 0
	s_waitcnt lgkmcnt(0)
	s_cmp_lg_u64 s[0:1], 0
	s_cselect_b64 s[2:3], -1, 0
	s_and_b64 vcc, exec, s[2:3]
	s_cbranch_vccz .LBB46_7
; %bb.1:
	s_add_i32 s12, s6, 1
	s_mov_b32 s13, 0
	s_lshl_b64 s[14:15], s[12:13], 2
	s_add_u32 s14, s0, s14
	s_mov_b32 s7, s13
	s_addc_u32 s15, s1, s15
	s_lshl_b64 s[12:13], s[6:7], 2
	s_add_u32 s12, s0, s12
	s_addc_u32 s13, s1, s13
	s_load_dword s9, s[14:15], 0x0
	s_load_dword s16, s[12:13], 0x0
	s_waitcnt lgkmcnt(0)
	s_sub_i32 s9, s9, s16
	s_cmp_eq_u32 s9, 1
	s_cselect_b64 s[12:13], -1, 0
	s_andn2_b64 vcc, exec, s[10:11]
	s_cbranch_vccnz .LBB46_3
.LBB46_2:
	s_mov_b32 s7, 0
	s_mov_b64 s[12:13], -1
.LBB46_3:
	s_andn2_b64 vcc, exec, s[12:13]
	s_cbranch_vccnz .LBB46_18
; %bb.4:
	s_load_dwordx2 s[12:13], s[4:5], 0x28
	s_lshl_b64 s[10:11], s[6:7], 2
	s_waitcnt lgkmcnt(0)
	s_add_u32 s12, s12, s10
	s_addc_u32 s13, s13, s11
	s_load_dword s40, s[12:13], 0x0
	s_lshl_b32 s16, s28, 8
	s_waitcnt lgkmcnt(0)
	s_cmp_ge_i32 s16, s40
	s_cbranch_scc1 .LBB46_18
; %bb.5:
	s_add_i32 s14, s40, 15
	s_load_dwordx2 s[12:13], s[4:5], 0x20
	s_load_dword s9, s[4:5], 0x38
	s_ashr_i32 s15, s14, 31
	v_and_b32_e32 v1, 0xcf, v0
	s_lshr_b32 s15, s15, 28
	v_add_u32_e32 v1, s16, v1
	s_add_i32 s14, s14, s15
	v_ashrrev_i32_e32 v2, 31, v1
	s_ashr_i32 s19, s14, 4
	v_lshrrev_b32_e32 v10, 28, v2
	s_add_i32 s19, s19, -1
	v_add_u32_e32 v2, v1, v10
	s_waitcnt lgkmcnt(0)
	s_mul_i32 s14, s6, s9
	s_mov_b32 s15, 0
	v_ashrrev_i32_e32 v2, 4, v2
	v_mov_b32_e32 v11, s19
	v_cmp_gt_i32_e32 vcc, s40, v1
	s_lshl_b64 s[14:15], s[14:15], 2
	v_cndmask_b32_e32 v2, v11, v2, vcc
	s_add_u32 s17, s12, s14
	v_ashrrev_i32_e32 v3, 31, v2
	s_addc_u32 s18, s13, s15
	v_lshlrev_b64 v[2:3], 2, v[2:3]
	v_mov_b32_e32 v5, s18
	v_add_co_u32_e32 v4, vcc, s17, v2
	v_or_b32_e32 v2, 16, v1
	v_addc_co_u32_e32 v5, vcc, v5, v3, vcc
	v_add_u32_e32 v3, v2, v10
	v_ashrrev_i32_e32 v3, 4, v3
	v_cmp_gt_i32_e32 vcc, s40, v2
	v_cndmask_b32_e32 v2, v11, v3, vcc
	v_ashrrev_i32_e32 v3, 31, v2
	v_lshlrev_b64 v[2:3], 2, v[2:3]
	v_mov_b32_e32 v7, s18
	v_add_co_u32_e32 v6, vcc, s17, v2
	v_or_b32_e32 v2, 32, v1
	v_addc_co_u32_e32 v7, vcc, v7, v3, vcc
	v_add_u32_e32 v3, v2, v10
	v_ashrrev_i32_e32 v3, 4, v3
	v_cmp_gt_i32_e32 vcc, s40, v2
	v_cndmask_b32_e32 v2, v11, v3, vcc
	v_ashrrev_i32_e32 v3, 31, v2
	;; [unrolled: 10-line block ×3, first 2 shown]
	v_lshlrev_b64 v[2:3], 2, v[2:3]
	v_mov_b32_e32 v1, s18
	v_add_co_u32_e32 v10, vcc, s17, v2
	v_addc_co_u32_e32 v11, vcc, v1, v3, vcc
	global_load_dword v3, v[4:5], off
	global_load_dword v2, v[6:7], off
	;; [unrolled: 1-line block ×4, first 2 shown]
	s_load_dwordx4 s[12:15], s[4:5], 0x8
	s_andn2_b64 vcc, exec, s[2:3]
	s_cbranch_vccnz .LBB46_8
; %bb.6:
	s_add_u32 s0, s0, s10
	s_addc_u32 s1, s1, s11
	s_load_dword s9, s[0:1], 0x0
	s_branch .LBB46_9
.LBB46_7:
	s_mov_b64 s[12:13], 0
	s_branch .LBB46_2
.LBB46_8:
	s_mov_b32 s9, s6
.LBB46_9:
	s_load_dwordx4 s[44:47], s[4:5], 0x48
	v_lshrrev_b32_e32 v53, 6, v0
	v_bfe_u32 v1, v0, 4, 2
	v_lshl_or_b32 v4, v53, 2, v1
	v_and_b32_e32 v52, 15, v0
	v_lshlrev_b32_e32 v5, 3, v52
	v_cmp_gt_u32_e32 vcc, 11, v4
	v_cmp_gt_u32_e64 s[0:1], 8, v52
	v_and_b32_e32 v54, 63, v0
	s_mul_i32 s29, s8, 11
	s_and_b64 s[10:11], s[0:1], vcc
	v_lshlrev_b32_e32 v50, 1, v5
	s_and_saveexec_b64 s[2:3], s[10:11]
	s_cbranch_execz .LBB46_11
; %bb.10:
	s_load_dwordx2 s[10:11], s[4:5], 0x0
	s_waitcnt lgkmcnt(0)
	s_ashr_i32 s20, s44, 31
	s_mul_hi_u32 s21, s9, s44
	s_mul_i32 s20, s9, s20
	s_add_i32 s21, s21, s20
	s_mul_i32 s20, s9, s44
	s_lshl_b64 s[20:21], s[20:21], 1
	v_add_lshl_u32 v6, v4, s29, 6
	s_add_u32 s9, s10, s20
	v_ashrrev_i32_e32 v7, 31, v6
	s_addc_u32 s10, s11, s21
	v_lshlrev_b64 v[6:7], 1, v[6:7]
	v_mov_b32_e32 v5, s10
	v_add_co_u32_e32 v6, vcc, s9, v6
	v_addc_co_u32_e32 v5, vcc, v5, v7, vcc
	v_add_co_u32_e32 v6, vcc, v6, v50
	v_addc_co_u32_e32 v7, vcc, 0, v5, vcc
	global_load_dwordx4 v[6:9], v[6:7], off
	v_and_b32_e32 v5, 3, v0
	v_lshlrev_b32_e32 v10, 9, v52
	v_lshlrev_b32_e32 v4, 5, v4
	v_lshlrev_b32_e32 v5, 9, v5
	v_and_b32_e32 v10, 0x1800, v10
	v_or3_b32 v4, v10, v5, v4
	s_waitcnt vmcnt(0)
	ds_write_b128 v4, v[6:9]
.LBB46_11:
	s_or_b64 exec, exec, s[2:3]
	s_waitcnt lgkmcnt(0)
	s_mul_i32 s8, s8, s46
	s_mov_b32 s9, 0
	s_lshl_b64 s[8:9], s[8:9], 1
	s_add_u32 s3, s12, s8
	v_lshlrev_b32_e32 v51, 4, v0
	s_addc_u32 s10, s13, s9
	v_and_b32_e32 v4, 0xf0, v51
	v_mov_b32_e32 v5, s10
	v_add_co_u32_e32 v29, vcc, s3, v4
	v_addc_co_u32_e32 v30, vcc, 0, v5, vcc
	s_waitcnt vmcnt(3)
	v_mad_i64_i32 v[4:5], s[10:11], v3, s45, 0
	v_lshlrev_b64 v[4:5], 1, v[4:5]
	v_add_co_u32_e32 v3, vcc, v29, v4
	v_addc_co_u32_e32 v5, vcc, v30, v5, vcc
	v_and_b32_e32 v31, 0x300, v51
	v_add_co_u32_e32 v4, vcc, v3, v31
	v_addc_co_u32_e32 v5, vcc, 0, v5, vcc
	s_load_dword s33, s[4:5], 0x98
	s_load_dword s2, s[4:5], 0x1c
	s_waitcnt lgkmcnt(0)
	s_barrier
	global_load_dwordx4 v[6:9], v[4:5], off
	s_waitcnt vmcnt(3)
	v_mad_i64_i32 v[2:3], s[10:11], v2, s45, 0
	v_lshlrev_b64 v[2:3], 1, v[2:3]
	v_add_co_u32_e32 v2, vcc, v29, v2
	v_addc_co_u32_e32 v3, vcc, v30, v3, vcc
	v_add_co_u32_e32 v2, vcc, v2, v31
	v_addc_co_u32_e32 v3, vcc, 0, v3, vcc
	global_load_dwordx4 v[22:25], v[2:3], off
	global_load_dwordx4 v[10:13], v[4:5], off offset:1024
	global_load_dwordx4 v[14:17], v[2:3], off offset:1024
	v_add_u32_e32 v2, -11, v52
	v_cmp_gt_u32_e32 vcc, 11, v52
	v_cndmask_b32_e32 v2, v2, v52, vcc
	v_lshlrev_b32_e32 v2, 5, v2
	v_lshl_add_u32 v20, v1, 9, v2
	ds_read_b128 v[2:5], v20
	s_waitcnt vmcnt(5)
	v_mad_i64_i32 v[18:19], s[10:11], v18, s45, 0
	v_lshlrev_b64 v[26:27], 1, v[18:19]
	ds_read_b128 v[18:21], v20 offset:2048
	v_and_or_b32 v55, v0, 48, s16
	v_mov_b32_e32 v60, s19
	v_mov_b32_e32 v49, s18
	v_or_b32_e32 v57, 0x80, v55
	v_mov_b32_e32 v56, s18
	v_mov_b32_e32 v61, s18
	s_add_u32 s3, s14, s8
	s_addc_u32 s8, s15, s9
	s_mov_b32 s42, 0xff7fffff
	s_waitcnt vmcnt(2) lgkmcnt(1)
	v_mfma_f32_16x16x16f16 v[36:39], v[22:23], v[2:3], 0
	v_mad_i64_i32 v[22:23], s[10:11], v28, s45, 0
	v_lshlrev_b64 v[44:45], 1, v[22:23]
	v_ashrrev_i32_e32 v22, 4, v55
	v_or_b32_e32 v28, 64, v55
	v_mfma_f32_16x16x16f16 v[32:35], v[6:7], v[2:3], 0
	v_add_co_u32_e32 v6, vcc, v29, v26
	v_addc_co_u32_e32 v7, vcc, v30, v27, vcc
	v_add_co_u32_e32 v26, vcc, v6, v31
	v_addc_co_u32_e32 v27, vcc, 0, v7, vcc
	global_load_dwordx4 v[40:43], v[26:27], off
	v_mfma_f32_16x16x16f16 v[6:9], v[8:9], v[4:5], v[32:35]
	v_cmp_gt_i32_e32 vcc, s40, v55
	v_cndmask_b32_e32 v46, v60, v22, vcc
	v_cmp_gt_i32_e32 vcc, s40, v28
	v_ashrrev_i32_e32 v47, 31, v46
	s_nop 2
	global_load_dwordx4 v[32:35], v[26:27], off offset:1024
	v_mfma_f32_16x16x16f16 v[22:25], v[24:25], v[4:5], v[36:39]
	s_nop 6
	v_ashrrev_i32_e32 v36, 4, v28
	v_cndmask_b32_e32 v48, v60, v36, vcc
	s_waitcnt vmcnt(3) lgkmcnt(0)
	v_mfma_f32_16x16x16f16 v[6:9], v[10:11], v[18:19], v[6:9]
	v_add_co_u32_e32 v10, vcc, v29, v44
	v_addc_co_u32_e32 v11, vcc, v30, v45, vcc
	v_add_co_u32_e32 v10, vcc, v10, v31
	v_addc_co_u32_e32 v11, vcc, 0, v11, vcc
	v_lshlrev_b64 v[36:37], 2, v[46:47]
	global_load_dwordx4 v[26:29], v[10:11], off
	s_waitcnt vmcnt(3)
	v_mfma_f32_16x16x16f16 v[22:25], v[14:15], v[18:19], v[22:25]
	v_add_co_u32_e32 v14, vcc, s17, v36
	v_addc_co_u32_e32 v15, vcc, v49, v37, vcc
	global_load_dword v44, v[14:15], off
	v_ashrrev_i32_e32 v38, 4, v57
	v_cmp_gt_i32_e32 vcc, s40, v57
	v_ashrrev_i32_e32 v49, 31, v48
	v_cndmask_b32_e32 v14, v60, v38, vcc
	v_mfma_f32_16x16x16f16 v[36:39], v[12:13], v[20:21], v[6:9]
	v_ashrrev_i32_e32 v15, 31, v14
	v_mov_b32_e32 v12, s18
	s_nop 4
	v_lshlrev_b64 v[6:7], 2, v[48:49]
	v_add_co_u32_e32 v6, vcc, s17, v6
	v_addc_co_u32_e32 v7, vcc, v56, v7, vcc
	global_load_dwordx4 v[56:59], v[10:11], off offset:1024
	global_load_dword v45, v[6:7], off
	v_lshlrev_b64 v[6:7], 2, v[14:15]
	v_add_co_u32_e32 v10, vcc, s17, v6
	v_addc_co_u32_e32 v11, vcc, v61, v7, vcc
	s_waitcnt vmcnt(5)
	v_mfma_f32_16x16x16f16 v[6:9], v[40:41], v[2:3], 0
	global_load_dword v40, v[10:11], off
	v_or_b32_e32 v10, 0xc0, v55
	v_ashrrev_i32_e32 v11, 4, v10
	v_cmp_gt_i32_e32 vcc, s40, v10
	v_cndmask_b32_e32 v10, v60, v11, vcc
	v_ashrrev_i32_e32 v11, 31, v10
	v_lshlrev_b64 v[10:11], 2, v[10:11]
	v_mfma_f32_16x16x16f16 v[6:9], v[42:43], v[4:5], v[6:9]
	v_add_co_u32_e32 v10, vcc, s17, v10
	v_addc_co_u32_e32 v11, vcc, v12, v11, vcc
	global_load_dword v60, v[10:11], off
	v_lshlrev_b32_e32 v55, 5, v52
	v_lshl_or_b32 v10, v53, 9, v55
	s_waitcnt vmcnt(6)
	v_mfma_f32_16x16x16f16 v[6:9], v[32:33], v[18:19], v[6:9]
	v_mov_b32_e32 v11, s8
	v_add_co_u32_e32 v61, vcc, s3, v10
	v_addc_co_u32_e32 v62, vcc, 0, v11, vcc
	v_pk_mul_f32 v[46:47], s[2:3], v[38:39] op_sel_hi:[0,1]
	v_mfma_f32_16x16x16f16 v[30:33], v[34:35], v[20:21], v[6:9]
	s_waitcnt vmcnt(1)
	v_mad_i64_i32 v[34:35], s[8:9], v40, s45, 0
	s_nop 4
	v_mad_i64_i32 v[6:7], s[8:9], v44, s45, 0
	v_lshlrev_b64 v[10:11], 1, v[6:7]
	v_mfma_f32_16x16x16f16 v[6:9], v[26:27], v[2:3], 0
	v_add_co_u32_e32 v2, vcc, v61, v10
	v_addc_co_u32_e32 v3, vcc, v62, v11, vcc
	v_lshlrev_b64 v[34:35], 1, v[34:35]
	v_pk_mul_f32 v[42:43], s[2:3], v[30:31] op_sel_hi:[0,1]
	v_mfma_f32_16x16x16f16 v[26:29], v[28:29], v[4:5], v[6:9]
	v_mfma_f32_16x16x16f16 v[22:25], v[16:17], v[20:21], v[22:25]
	global_load_dwordx4 v[14:17], v[2:3], off
	global_load_dwordx4 v[10:13], v[2:3], off offset:16
	v_mad_i64_i32 v[2:3], s[8:9], v45, s45, 0
	v_lshlrev_b64 v[2:3], 1, v[2:3]
	v_add_co_u32_e32 v2, vcc, v61, v2
	v_addc_co_u32_e32 v3, vcc, v62, v3, vcc
	v_mfma_f32_16x16x16f16 v[26:29], v[56:57], v[18:19], v[26:29]
	s_nop 3
	v_pk_mul_f32 v[38:39], s[2:3], v[22:23] op_sel_hi:[0,1]
	v_add_co_u32_e32 v56, vcc, v61, v34
	v_addc_co_u32_e32 v57, vcc, v62, v35, vcc
	v_pk_mul_f32 v[18:19], s[2:3], v[36:37] op_sel_hi:[0,1]
	v_pk_mul_f32 v[48:49], s[2:3], v[24:25] op_sel_hi:[0,1]
	v_mfma_f32_16x16x16f16 v[20:23], v[58:59], v[20:21], v[26:29]
	v_pk_mul_f32 v[44:45], s[2:3], v[32:33] op_sel_hi:[0,1]
	global_load_dwordx4 v[6:9], v[2:3], off
	s_nop 0
	global_load_dwordx4 v[2:5], v[2:3], off offset:16
	s_nop 6
	v_pk_mul_f32 v[40:41], s[2:3], v[20:21] op_sel_hi:[0,1]
	v_and_b32_e32 v20, 0xc0, v0
	v_add_u32_e32 v20, s16, v20
	v_lshl_or_b32 v20, v1, 2, v20
	v_pk_mul_f32 v[34:35], s[2:3], v[22:23] op_sel_hi:[0,1]
	v_or_b32_e32 v23, 1, v20
	v_mov_b32_e32 v21, 0xff7fffff
	v_cmp_gt_i32_e64 s[30:31], s40, v20
	v_cmp_gt_i32_e64 s[34:35], s40, v23
	v_cndmask_b32_e64 v22, v21, v18, s[30:31]
	v_cndmask_b32_e64 v23, v21, v19, s[34:35]
	v_max3_f32 v22, v22, s42, v23
	v_or_b32_e32 v23, 2, v20
	v_or_b32_e32 v24, 3, v20
	v_cmp_gt_i32_e64 s[36:37], s40, v23
	v_cmp_gt_i32_e64 s[38:39], s40, v24
	v_cndmask_b32_e64 v23, v21, v46, s[36:37]
	v_cndmask_b32_e64 v24, v21, v47, s[38:39]
	v_max3_f32 v22, v22, v23, v24
	v_or_b32_e32 v23, 16, v20
	v_or_b32_e32 v24, 17, v20
	;; [unrolled: 7-line block ×7, first 2 shown]
	v_cmp_gt_i32_e32 vcc, s40, v23
	v_cmp_gt_i32_e64 s[2:3], s40, v20
	v_cndmask_b32_e32 v23, v21, v34, vcc
	v_cndmask_b32_e64 v20, v21, v35, s[2:3]
	v_max3_f32 v26, v22, v23, v20
	v_mbcnt_lo_u32_b32 v20, -1, 0
	v_mbcnt_hi_u32_b32 v27, -1, v20
	v_and_b32_e32 v20, 64, v27
	v_add_u32_e32 v28, 64, v20
	v_xor_b32_e32 v20, 32, v27
	v_cmp_lt_i32_e64 s[40:41], v20, v28
	v_cndmask_b32_e64 v20, v27, v20, s[40:41]
	v_lshlrev_b32_e32 v58, 2, v20
	ds_bpermute_b32 v29, v58, v26
	s_waitcnt vmcnt(4)
	v_mad_i64_i32 v[20:21], s[40:41], v60, s45, 0
	global_load_dwordx4 v[30:33], v[56:57], off
	global_load_dwordx4 v[22:25], v[56:57], off offset:16
	v_lshlrev_b64 v[20:21], 1, v[20:21]
	s_waitcnt lgkmcnt(0)
	v_max_f32_e32 v29, v29, v29
	v_max_f32_e32 v26, v26, v29
	v_xor_b32_e32 v29, 16, v27
	v_cmp_lt_i32_e64 s[40:41], v29, v28
	v_cndmask_b32_e64 v27, v27, v29, s[40:41]
	v_lshlrev_b32_e32 v57, 2, v27
	ds_bpermute_b32 v27, v57, v26
	v_add_co_u32_e64 v20, s[40:41], v61, v20
	v_addc_co_u32_e64 v21, s[40:41], v62, v21, s[40:41]
	s_waitcnt lgkmcnt(0)
	v_max_f32_e32 v27, v27, v27
	v_max_f32_e32 v56, v26, v27
	v_sub_f32_e32 v18, v18, v56
	v_mul_f32_e32 v18, 0x3fb8aa3b, v18
	v_exp_f32_e32 v36, v18
	v_sub_f32_e32 v18, v19, v56
	v_mul_f32_e32 v18, 0x3fb8aa3b, v18
	v_exp_f32_e32 v37, v18
	global_load_dwordx4 v[26:29], v[20:21], off
	s_nop 0
	global_load_dwordx4 v[18:21], v[20:21], off offset:16
	v_sub_f32_e32 v46, v46, v56
	v_mul_f32_e32 v46, 0x3fb8aa3b, v46
	v_sub_f32_e32 v47, v47, v56
	v_exp_f32_e32 v46, v46
	v_mul_f32_e32 v47, 0x3fb8aa3b, v47
	v_sub_f32_e32 v38, v38, v56
	v_exp_f32_e32 v47, v47
	v_mul_f32_e32 v38, 0x3fb8aa3b, v38
	v_sub_f32_e32 v39, v39, v56
	v_cndmask_b32_e64 v36, 0, v36, s[30:31]
	v_exp_f32_e32 v38, v38
	v_mul_f32_e32 v39, 0x3fb8aa3b, v39
	v_sub_f32_e32 v48, v48, v56
	v_add_f32_e32 v59, 0, v36
	v_cndmask_b32_e64 v37, 0, v37, s[34:35]
	v_exp_f32_e32 v39, v39
	v_mul_f32_e32 v48, 0x3fb8aa3b, v48
	v_sub_f32_e32 v49, v49, v56
	v_add_f32_e32 v59, v59, v37
	;; [unrolled: 5-line block ×10, first 2 shown]
	v_cndmask_b32_e64 v44, 0, v44, s[12:13]
	v_exp_f32_e32 v34, v34
	v_mul_f32_e32 v35, 0x3fb8aa3b, v35
	v_add_f32_e32 v59, v59, v44
	v_cndmask_b32_e64 v45, 0, v45, s[14:15]
	v_exp_f32_e32 v35, v35
	v_add_f32_e32 v59, v59, v45
	v_cndmask_b32_e64 v40, 0, v40, s[8:9]
	v_add_f32_e32 v59, v59, v40
	v_cndmask_b32_e64 v41, 0, v41, s[10:11]
	v_add_f32_e32 v59, v59, v41
	v_cndmask_b32_e32 v34, 0, v34, vcc
	v_add_f32_e32 v59, v59, v34
	v_cndmask_b32_e64 v35, 0, v35, s[2:3]
	v_add_f32_e32 v59, v59, v35
	ds_bpermute_b32 v58, v58, v59
	v_cmp_gt_u32_e32 vcc, 16, v54
	s_waitcnt lgkmcnt(0)
	s_barrier
	v_add_f32_e32 v58, v59, v58
	ds_bpermute_b32 v59, v57, v58
	v_lshlrev_b32_e32 v57, 2, v52
	s_and_saveexec_b64 s[2:3], vcc
	s_cbranch_execz .LBB46_13
; %bb.12:
	s_waitcnt lgkmcnt(0)
	v_add_f32_e32 v54, v58, v59
	v_lshl_or_b32 v58, v53, 6, v57
	ds_write2st64_b32 v58, v56, v54 offset1:1
.LBB46_13:
	s_or_b64 exec, exec, s[2:3]
	s_load_dword s8, s[4:5], 0x94
	s_waitcnt lgkmcnt(0)
	s_barrier
	ds_read2_b32 v[58:59], v57 offset1:16
	ds_read2_b32 v[60:61], v57 offset0:32 offset1:48
	ds_read2_b32 v[62:63], v57 offset0:64 offset1:80
	s_mul_i32 s9, s33, 11
	s_waitcnt lgkmcnt(2)
	v_max3_f32 v54, v58, s42, v59
	s_waitcnt lgkmcnt(1)
	v_max3_f32 v54, v54, v60, v61
	v_sub_f32_e32 v56, v58, v54
	v_mul_f32_e32 v56, 0x3fb8aa3b, v56
	v_exp_f32_e32 v64, v56
	v_sub_f32_e32 v56, v59, v54
	v_mul_f32_e32 v56, 0x3fb8aa3b, v56
	v_exp_f32_e32 v65, v56
	v_sub_f32_e32 v56, v60, v54
	v_mul_f32_e32 v56, 0x3fb8aa3b, v56
	v_exp_f32_e32 v60, v56
	ds_read2_b32 v[58:59], v57 offset0:96 offset1:112
	v_sub_f32_e32 v56, v61, v54
	v_mul_f32_e32 v56, 0x3fb8aa3b, v56
	v_exp_f32_e32 v57, v56
	s_waitcnt lgkmcnt(1)
	v_fma_f32 v56, v64, v62, 0
	v_fmac_f32_e32 v56, v65, v63
	s_waitcnt lgkmcnt(0)
	v_fmac_f32_e32 v56, v60, v58
	v_fmac_f32_e32 v56, v57, v59
	v_add_f32_e32 v58, 0x358637bd, v56
	v_div_scale_f32 v59, s[2:3], v58, v58, 1.0
	v_rcp_f32_e32 v61, v59
	s_barrier
	v_fma_f32 v62, -v59, v61, 1.0
	v_fmac_f32_e32 v61, v62, v61
	v_div_scale_f32 v62, vcc, 1.0, v58, 1.0
	v_mul_f32_e32 v63, v62, v61
	v_fma_f32 v66, -v59, v63, v62
	v_fmac_f32_e32 v63, v66, v61
	v_fma_f32 v59, -v59, v63, v62
	v_div_fmas_f32 v59, v59, v61, v63
	v_cmp_eq_u32_e32 vcc, 1, v53
	v_div_fixup_f32 v58, v59, v58, 1.0
	v_cndmask_b32_e32 v59, v64, v65, vcc
	v_cmp_eq_u32_e32 vcc, 2, v53
	v_cndmask_b32_e32 v59, v59, v60, vcc
	v_cmp_eq_u32_e32 vcc, 3, v53
	v_cndmask_b32_e32 v57, v59, v57, vcc
	v_mul_f32_e32 v58, v57, v58
	v_pk_mul_f32 v[36:37], v[58:59], v[36:37] op_sel_hi:[0,1]
	v_cvt_f16_f32_e32 v36, v36
	v_cvt_f16_f32_e32 v37, v37
	v_pk_mul_f32 v[46:47], v[58:59], v[46:47] op_sel_hi:[0,1]
	v_cvt_f16_f32_e32 v57, v46
	v_cvt_f16_f32_e32 v47, v47
	v_pack_b32_f16 v46, v36, v37
	v_pk_mul_f32 v[36:37], v[58:59], v[48:49] op_sel_hi:[0,1]
	v_pk_mul_f32 v[38:39], v[58:59], v[38:39] op_sel_hi:[0,1]
	v_cvt_f16_f32_e32 v38, v38
	v_cvt_f16_f32_e32 v39, v39
	;; [unrolled: 1-line block ×4, first 2 shown]
	v_pack_b32_f16 v47, v57, v47
	v_lshlrev_b32_e32 v57, 3, v1
	v_lshlrev_b32_e32 v36, 11, v53
	v_or3_b32 v36, v36, v55, v57
	v_pack_b32_f16 v38, v38, v39
	v_pack_b32_f16 v39, v48, v37
	ds_write2st64_b64 v36, v[46:47], v[38:39] offset1:1
	v_pk_mul_f32 v[38:39], v[58:59], v[44:45] op_sel_hi:[0,1]
	v_pk_mul_f32 v[42:43], v[58:59], v[42:43] op_sel_hi:[0,1]
	v_cvt_f16_f32_e32 v37, v42
	v_cvt_f16_f32_e32 v42, v43
	;; [unrolled: 1-line block ×4, first 2 shown]
	v_pk_mul_f32 v[34:35], v[58:59], v[34:35] op_sel_hi:[0,1]
	v_pk_mul_f32 v[38:39], v[58:59], v[40:41] op_sel_hi:[0,1]
	v_cvt_f16_f32_e32 v38, v38
	v_cvt_f16_f32_e32 v39, v39
	;; [unrolled: 1-line block ×4, first 2 shown]
	v_pack_b32_f16 v34, v37, v42
	v_pack_b32_f16 v35, v43, v44
	;; [unrolled: 1-line block ×4, first 2 shown]
	v_cmp_gt_u32_e32 vcc, 11, v0
	ds_write2st64_b64 v36, v[34:35], v[38:39] offset0:2 offset1:3
	s_and_saveexec_b64 s[2:3], vcc
	s_cbranch_execz .LBB46_15
; %bb.14:
	v_add_co_u32_e32 v38, vcc, s29, v52
	v_addc_co_u32_e64 v39, s[10:11], 0, 0, vcc
	v_mov_b32_e32 v34, s9
	v_mov_b32_e32 v35, 0
	v_mad_u64_u32 v[38:39], s[10:11], s6, v34, v[38:39]
	v_mov_b32_e32 v34, s28
	s_load_dwordx4 s[12:15], s[4:5], 0x58
	s_mul_i32 s7, s7, s9
	v_mad_u64_u32 v[34:35], s[10:11], v38, s8, v[34:35]
	v_add_u32_e32 v37, s7, v39
	v_mov_b32_e32 v38, v35
	v_mad_u64_u32 v[38:39], s[10:11], v37, s8, v[38:39]
	v_mov_b32_e32 v35, v38
	v_lshlrev_b64 v[34:35], 2, v[34:35]
	s_waitcnt lgkmcnt(0)
	v_mov_b32_e32 v37, s15
	v_add_co_u32_e32 v38, vcc, s14, v34
	v_addc_co_u32_e32 v39, vcc, v37, v35, vcc
	v_mov_b32_e32 v37, s13
	v_add_co_u32_e32 v34, vcc, s12, v34
	v_addc_co_u32_e32 v35, vcc, v37, v35, vcc
	global_store_dword v[38:39], v54, off
	global_store_dword v[34:35], v56, off
.LBB46_15:
	s_or_b64 exec, exec, s[2:3]
	v_lshl_or_b32 v34, v1, 9, v55
	s_waitcnt lgkmcnt(0)
	s_barrier
	ds_read_b128 v[38:41], v34
	ds_read_b128 v[42:45], v34 offset:16
	s_waitcnt vmcnt(7) lgkmcnt(1)
	v_mfma_f32_16x16x16f16 v[46:49], v[14:15], v[38:39], 0
	v_cmp_gt_u32_e32 vcc, 64, v0
	s_mov_b32 s3, 0
	s_and_b64 s[0:1], vcc, s[0:1]
	v_mfma_f32_16x16x16f16 v[14:17], v[16:17], v[40:41], v[46:49]
	s_waitcnt vmcnt(6) lgkmcnt(0)
	v_mfma_f32_16x16x16f16 v[14:17], v[10:11], v[42:43], v[14:17]
	v_mfma_f32_16x16x16f16 v[10:13], v[12:13], v[44:45], v[14:17]
	s_nop 7
	s_nop 1
	ds_read_b128 v[14:17], v34 offset:2048
	ds_read_b128 v[38:41], v34 offset:2064
	s_waitcnt vmcnt(5) lgkmcnt(1)
	v_mfma_f32_16x16x16f16 v[10:13], v[6:7], v[14:15], v[10:13]
	v_mfma_f32_16x16x16f16 v[6:9], v[8:9], v[16:17], v[10:13]
	s_waitcnt vmcnt(4) lgkmcnt(0)
	v_mfma_f32_16x16x16f16 v[6:9], v[2:3], v[38:39], v[6:9]
	v_mfma_f32_16x16x16f16 v[2:5], v[4:5], v[40:41], v[6:9]
	s_nop 7
	s_nop 1
	ds_read_b128 v[6:9], v34 offset:4096
	ds_read_b128 v[10:13], v34 offset:4112
	s_waitcnt vmcnt(3) lgkmcnt(1)
	v_mfma_f32_16x16x16f16 v[2:5], v[30:31], v[6:7], v[2:5]
	v_mfma_f32_16x16x16f16 v[2:5], v[32:33], v[8:9], v[2:5]
	s_waitcnt vmcnt(2) lgkmcnt(0)
	v_mfma_f32_16x16x16f16 v[2:5], v[22:23], v[10:11], v[2:5]
	v_mfma_f32_16x16x16f16 v[2:5], v[24:25], v[12:13], v[2:5]
	ds_read_b128 v[6:9], v34 offset:6144
	ds_read_b128 v[10:13], v34 offset:6160
	s_waitcnt lgkmcnt(0)
	s_barrier
	s_waitcnt vmcnt(1)
	v_mfma_f32_16x16x16f16 v[2:5], v[26:27], v[6:7], v[2:5]
	v_mfma_f32_16x16x16f16 v[2:5], v[28:29], v[8:9], v[2:5]
	s_waitcnt vmcnt(0)
	v_mfma_f32_16x16x16f16 v[2:5], v[18:19], v[10:11], v[2:5]
	v_mfma_f32_16x16x16f16 v[2:5], v[20:21], v[12:13], v[2:5]
	s_nop 7
	s_nop 2
	v_cvt_f16_f32_e32 v2, v2
	v_cvt_f16_f32_e32 v3, v3
	;; [unrolled: 1-line block ×4, first 2 shown]
	v_pack_b32_f16 v2, v2, v3
	v_pack_b32_f16 v3, v4, v5
	ds_write_b64 v36, v[2:3]
	s_waitcnt lgkmcnt(0)
	s_barrier
	s_and_saveexec_b64 s[10:11], s[0:1]
	s_cbranch_execz .LBB46_18
; %bb.16:
	s_load_dwordx2 s[4:5], s[4:5], 0x68
	s_lshl_b32 s0, s8, 6
	s_mul_i32 s1, s9, s6
	s_mul_hi_u32 s7, s1, s0
	s_mul_i32 s6, s1, s0
	s_lshl_b64 s[6:7], s[6:7], 1
	s_waitcnt lgkmcnt(0)
	s_add_u32 s1, s4, s6
	v_lshlrev_b32_e32 v0, 10, v0
	s_addc_u32 s4, s5, s7
	s_lshl_b32 s2, s28, 6
	v_and_b32_e32 v0, 0x1800, v0
	v_lshlrev_b32_e32 v2, 5, v1
	v_and_b32_e32 v3, 16, v51
	s_lshl_b64 s[2:3], s[2:3], 1
	v_or3_b32 v0, v0, v2, v3
	s_add_u32 s1, s1, s2
	s_addc_u32 s2, s4, s3
	ds_read_b128 v[4:7], v0 offset:128
	ds_read_b128 v[8:11], v0
	v_add_u32_e32 v14, s29, v1
	v_mov_b32_e32 v3, s2
	v_add_co_u32_e32 v2, vcc, s1, v50
	v_mad_u64_u32 v[12:13], s[2:3], v14, s0, 0
	v_addc_co_u32_e32 v3, vcc, 0, v3, vcc
	v_lshlrev_b64 v[12:13], 1, v[12:13]
	v_add_co_u32_e32 v12, vcc, v2, v12
	v_addc_co_u32_e32 v13, vcc, v3, v13, vcc
	s_waitcnt lgkmcnt(0)
	global_store_dwordx4 v[12:13], v[8:11], off
	s_nop 0
	v_add_u32_e32 v8, 4, v14
	v_mad_u64_u32 v[8:9], s[2:3], v8, s0, 0
	v_lshlrev_b64 v[8:9], 1, v[8:9]
	v_add_co_u32_e32 v8, vcc, v2, v8
	v_addc_co_u32_e32 v9, vcc, v3, v9, vcc
	v_cmp_ne_u32_e32 vcc, 3, v1
	global_store_dwordx4 v[8:9], v[4:7], off
	s_and_b64 exec, exec, vcc
	s_cbranch_execz .LBB46_18
; %bb.17:
	ds_read_b128 v[4:7], v0 offset:256
	v_add3_u32 v0, s29, v1, 8
	v_mad_u64_u32 v[0:1], s[0:1], v0, s0, 0
	v_lshlrev_b64 v[0:1], 1, v[0:1]
	v_add_co_u32_e32 v0, vcc, v2, v0
	v_addc_co_u32_e32 v1, vcc, v3, v1, vcc
	s_waitcnt lgkmcnt(0)
	global_store_dwordx4 v[0:1], v[4:7], off
.LBB46_18:
	s_endpgm
	.section	.rodata,"a",@progbits
	.p2align	6, 0x0
	.amdhsa_kernel _Z39paged_attention_ll4mi_QKV_mfma16_kernelIDF16_DF16_LN4vllm18Fp8KVCacheDataTypeE0EDF16_Li16ELi64ELi256ELb0ELi11EL8MFMAType0EEvPKT_PKT0_S8_ifPKiSA_SA_iPKfiiiPfSD_PS3_PT2_iSC_SC_
		.amdhsa_group_segment_fixed_size 8192
		.amdhsa_private_segment_fixed_size 0
		.amdhsa_kernarg_size 400
		.amdhsa_user_sgpr_count 6
		.amdhsa_user_sgpr_private_segment_buffer 1
		.amdhsa_user_sgpr_dispatch_ptr 0
		.amdhsa_user_sgpr_queue_ptr 0
		.amdhsa_user_sgpr_kernarg_segment_ptr 1
		.amdhsa_user_sgpr_dispatch_id 0
		.amdhsa_user_sgpr_flat_scratch_init 0
		.amdhsa_user_sgpr_kernarg_preload_length 0
		.amdhsa_user_sgpr_kernarg_preload_offset 0
		.amdhsa_user_sgpr_private_segment_size 0
		.amdhsa_uses_dynamic_stack 0
		.amdhsa_system_sgpr_private_segment_wavefront_offset 0
		.amdhsa_system_sgpr_workgroup_id_x 1
		.amdhsa_system_sgpr_workgroup_id_y 1
		.amdhsa_system_sgpr_workgroup_id_z 1
		.amdhsa_system_sgpr_workgroup_info 0
		.amdhsa_system_vgpr_workitem_id 0
		.amdhsa_next_free_vgpr 67
		.amdhsa_next_free_sgpr 48
		.amdhsa_accum_offset 68
		.amdhsa_reserve_vcc 1
		.amdhsa_reserve_flat_scratch 0
		.amdhsa_float_round_mode_32 0
		.amdhsa_float_round_mode_16_64 0
		.amdhsa_float_denorm_mode_32 3
		.amdhsa_float_denorm_mode_16_64 3
		.amdhsa_dx10_clamp 1
		.amdhsa_ieee_mode 1
		.amdhsa_fp16_overflow 0
		.amdhsa_tg_split 0
		.amdhsa_exception_fp_ieee_invalid_op 0
		.amdhsa_exception_fp_denorm_src 0
		.amdhsa_exception_fp_ieee_div_zero 0
		.amdhsa_exception_fp_ieee_overflow 0
		.amdhsa_exception_fp_ieee_underflow 0
		.amdhsa_exception_fp_ieee_inexact 0
		.amdhsa_exception_int_div_zero 0
	.end_amdhsa_kernel
	.section	.text._Z39paged_attention_ll4mi_QKV_mfma16_kernelIDF16_DF16_LN4vllm18Fp8KVCacheDataTypeE0EDF16_Li16ELi64ELi256ELb0ELi11EL8MFMAType0EEvPKT_PKT0_S8_ifPKiSA_SA_iPKfiiiPfSD_PS3_PT2_iSC_SC_,"axG",@progbits,_Z39paged_attention_ll4mi_QKV_mfma16_kernelIDF16_DF16_LN4vllm18Fp8KVCacheDataTypeE0EDF16_Li16ELi64ELi256ELb0ELi11EL8MFMAType0EEvPKT_PKT0_S8_ifPKiSA_SA_iPKfiiiPfSD_PS3_PT2_iSC_SC_,comdat
.Lfunc_end46:
	.size	_Z39paged_attention_ll4mi_QKV_mfma16_kernelIDF16_DF16_LN4vllm18Fp8KVCacheDataTypeE0EDF16_Li16ELi64ELi256ELb0ELi11EL8MFMAType0EEvPKT_PKT0_S8_ifPKiSA_SA_iPKfiiiPfSD_PS3_PT2_iSC_SC_, .Lfunc_end46-_Z39paged_attention_ll4mi_QKV_mfma16_kernelIDF16_DF16_LN4vllm18Fp8KVCacheDataTypeE0EDF16_Li16ELi64ELi256ELb0ELi11EL8MFMAType0EEvPKT_PKT0_S8_ifPKiSA_SA_iPKfiiiPfSD_PS3_PT2_iSC_SC_
                                        ; -- End function
	.section	.AMDGPU.csdata,"",@progbits
; Kernel info:
; codeLenInByte = 3992
; NumSgprs: 52
; NumVgprs: 67
; NumAgprs: 0
; TotalNumVgprs: 67
; ScratchSize: 0
; MemoryBound: 0
; FloatMode: 240
; IeeeMode: 1
; LDSByteSize: 8192 bytes/workgroup (compile time only)
; SGPRBlocks: 6
; VGPRBlocks: 8
; NumSGPRsForWavesPerEU: 52
; NumVGPRsForWavesPerEU: 67
; AccumOffset: 68
; Occupancy: 7
; WaveLimiterHint : 1
; COMPUTE_PGM_RSRC2:SCRATCH_EN: 0
; COMPUTE_PGM_RSRC2:USER_SGPR: 6
; COMPUTE_PGM_RSRC2:TRAP_HANDLER: 0
; COMPUTE_PGM_RSRC2:TGID_X_EN: 1
; COMPUTE_PGM_RSRC2:TGID_Y_EN: 1
; COMPUTE_PGM_RSRC2:TGID_Z_EN: 1
; COMPUTE_PGM_RSRC2:TIDIG_COMP_CNT: 0
; COMPUTE_PGM_RSRC3_GFX90A:ACCUM_OFFSET: 16
; COMPUTE_PGM_RSRC3_GFX90A:TG_SPLIT: 0
	.section	.text._Z39paged_attention_ll4mi_QKV_mfma16_kernelIDF16_DF16_LN4vllm18Fp8KVCacheDataTypeE0EDF16_Li16ELi64ELi256ELb0ELi12EL8MFMAType0EEvPKT_PKT0_S8_ifPKiSA_SA_iPKfiiiPfSD_PS3_PT2_iSC_SC_,"axG",@progbits,_Z39paged_attention_ll4mi_QKV_mfma16_kernelIDF16_DF16_LN4vllm18Fp8KVCacheDataTypeE0EDF16_Li16ELi64ELi256ELb0ELi12EL8MFMAType0EEvPKT_PKT0_S8_ifPKiSA_SA_iPKfiiiPfSD_PS3_PT2_iSC_SC_,comdat
	.protected	_Z39paged_attention_ll4mi_QKV_mfma16_kernelIDF16_DF16_LN4vllm18Fp8KVCacheDataTypeE0EDF16_Li16ELi64ELi256ELb0ELi12EL8MFMAType0EEvPKT_PKT0_S8_ifPKiSA_SA_iPKfiiiPfSD_PS3_PT2_iSC_SC_ ; -- Begin function _Z39paged_attention_ll4mi_QKV_mfma16_kernelIDF16_DF16_LN4vllm18Fp8KVCacheDataTypeE0EDF16_Li16ELi64ELi256ELb0ELi12EL8MFMAType0EEvPKT_PKT0_S8_ifPKiSA_SA_iPKfiiiPfSD_PS3_PT2_iSC_SC_
	.globl	_Z39paged_attention_ll4mi_QKV_mfma16_kernelIDF16_DF16_LN4vllm18Fp8KVCacheDataTypeE0EDF16_Li16ELi64ELi256ELb0ELi12EL8MFMAType0EEvPKT_PKT0_S8_ifPKiSA_SA_iPKfiiiPfSD_PS3_PT2_iSC_SC_
	.p2align	8
	.type	_Z39paged_attention_ll4mi_QKV_mfma16_kernelIDF16_DF16_LN4vllm18Fp8KVCacheDataTypeE0EDF16_Li16ELi64ELi256ELb0ELi12EL8MFMAType0EEvPKT_PKT0_S8_ifPKiSA_SA_iPKfiiiPfSD_PS3_PT2_iSC_SC_,@function
_Z39paged_attention_ll4mi_QKV_mfma16_kernelIDF16_DF16_LN4vllm18Fp8KVCacheDataTypeE0EDF16_Li16ELi64ELi256ELb0ELi12EL8MFMAType0EEvPKT_PKT0_S8_ifPKiSA_SA_iPKfiiiPfSD_PS3_PT2_iSC_SC_: ; @_Z39paged_attention_ll4mi_QKV_mfma16_kernelIDF16_DF16_LN4vllm18Fp8KVCacheDataTypeE0EDF16_Li16ELi64ELi256ELb0ELi12EL8MFMAType0EEvPKT_PKT0_S8_ifPKiSA_SA_iPKfiiiPfSD_PS3_PT2_iSC_SC_
; %bb.0:
	s_load_dwordx2 s[0:1], s[4:5], 0x30
	s_mov_b32 s28, s7
	s_mov_b64 s[10:11], 0
	s_waitcnt lgkmcnt(0)
	s_cmp_lg_u64 s[0:1], 0
	s_cselect_b64 s[2:3], -1, 0
	s_and_b64 vcc, exec, s[2:3]
	s_cbranch_vccz .LBB47_7
; %bb.1:
	s_add_i32 s12, s6, 1
	s_mov_b32 s13, 0
	s_lshl_b64 s[14:15], s[12:13], 2
	s_add_u32 s14, s0, s14
	s_mov_b32 s7, s13
	s_addc_u32 s15, s1, s15
	s_lshl_b64 s[12:13], s[6:7], 2
	s_add_u32 s12, s0, s12
	s_addc_u32 s13, s1, s13
	s_load_dword s9, s[14:15], 0x0
	s_load_dword s16, s[12:13], 0x0
	s_waitcnt lgkmcnt(0)
	s_sub_i32 s9, s9, s16
	s_cmp_eq_u32 s9, 1
	s_cselect_b64 s[12:13], -1, 0
	s_andn2_b64 vcc, exec, s[10:11]
	s_cbranch_vccnz .LBB47_3
.LBB47_2:
	s_mov_b32 s7, 0
	s_mov_b64 s[12:13], -1
.LBB47_3:
	s_andn2_b64 vcc, exec, s[12:13]
	s_cbranch_vccnz .LBB47_17
; %bb.4:
	s_load_dwordx2 s[12:13], s[4:5], 0x28
	s_lshl_b64 s[10:11], s[6:7], 2
	s_waitcnt lgkmcnt(0)
	s_add_u32 s12, s12, s10
	s_addc_u32 s13, s13, s11
	s_load_dword s40, s[12:13], 0x0
	s_lshl_b32 s16, s28, 8
	s_waitcnt lgkmcnt(0)
	s_cmp_ge_i32 s16, s40
	s_cbranch_scc1 .LBB47_17
; %bb.5:
	s_add_i32 s14, s40, 15
	s_load_dwordx2 s[12:13], s[4:5], 0x20
	s_load_dword s9, s[4:5], 0x38
	s_ashr_i32 s15, s14, 31
	v_and_b32_e32 v1, 0xcf, v0
	s_lshr_b32 s15, s15, 28
	v_add_u32_e32 v1, s16, v1
	s_add_i32 s14, s14, s15
	v_ashrrev_i32_e32 v2, 31, v1
	s_ashr_i32 s19, s14, 4
	v_lshrrev_b32_e32 v10, 28, v2
	s_add_i32 s19, s19, -1
	v_add_u32_e32 v2, v1, v10
	s_waitcnt lgkmcnt(0)
	s_mul_i32 s14, s6, s9
	s_mov_b32 s15, 0
	v_ashrrev_i32_e32 v2, 4, v2
	v_mov_b32_e32 v11, s19
	v_cmp_gt_i32_e32 vcc, s40, v1
	s_lshl_b64 s[14:15], s[14:15], 2
	v_cndmask_b32_e32 v2, v11, v2, vcc
	s_add_u32 s17, s12, s14
	v_ashrrev_i32_e32 v3, 31, v2
	s_addc_u32 s18, s13, s15
	v_lshlrev_b64 v[2:3], 2, v[2:3]
	v_mov_b32_e32 v5, s18
	v_add_co_u32_e32 v4, vcc, s17, v2
	v_or_b32_e32 v2, 16, v1
	v_addc_co_u32_e32 v5, vcc, v5, v3, vcc
	v_add_u32_e32 v3, v2, v10
	v_ashrrev_i32_e32 v3, 4, v3
	v_cmp_gt_i32_e32 vcc, s40, v2
	v_cndmask_b32_e32 v2, v11, v3, vcc
	v_ashrrev_i32_e32 v3, 31, v2
	v_lshlrev_b64 v[2:3], 2, v[2:3]
	v_mov_b32_e32 v7, s18
	v_add_co_u32_e32 v6, vcc, s17, v2
	v_or_b32_e32 v2, 32, v1
	v_addc_co_u32_e32 v7, vcc, v7, v3, vcc
	v_add_u32_e32 v3, v2, v10
	v_ashrrev_i32_e32 v3, 4, v3
	v_cmp_gt_i32_e32 vcc, s40, v2
	v_cndmask_b32_e32 v2, v11, v3, vcc
	v_ashrrev_i32_e32 v3, 31, v2
	;; [unrolled: 10-line block ×3, first 2 shown]
	v_lshlrev_b64 v[2:3], 2, v[2:3]
	v_mov_b32_e32 v1, s18
	v_add_co_u32_e32 v10, vcc, s17, v2
	v_addc_co_u32_e32 v11, vcc, v1, v3, vcc
	global_load_dword v3, v[4:5], off
	global_load_dword v2, v[6:7], off
	;; [unrolled: 1-line block ×4, first 2 shown]
	s_load_dwordx4 s[12:15], s[4:5], 0x8
	s_andn2_b64 vcc, exec, s[2:3]
	s_cbranch_vccnz .LBB47_8
; %bb.6:
	s_add_u32 s0, s0, s10
	s_addc_u32 s1, s1, s11
	s_load_dword s9, s[0:1], 0x0
	s_branch .LBB47_9
.LBB47_7:
	s_mov_b64 s[12:13], 0
	s_branch .LBB47_2
.LBB47_8:
	s_mov_b32 s9, s6
.LBB47_9:
	s_load_dwordx4 s[44:47], s[4:5], 0x48
	v_and_b32_e32 v52, 15, v0
	s_movk_i32 s0, 0xc0
	v_lshlrev_b32_e32 v4, 3, v52
	v_cmp_gt_u32_e32 vcc, s0, v0
	v_cmp_gt_u32_e64 s[0:1], 8, v52
	v_lshrrev_b32_e32 v53, 6, v0
	v_and_b32_e32 v54, 63, v0
	v_bfe_u32 v1, v0, 4, 2
	s_mul_i32 s29, s8, 12
	s_and_b64 s[10:11], vcc, s[0:1]
	v_lshlrev_b32_e32 v50, 1, v4
	s_and_saveexec_b64 s[2:3], s[10:11]
	s_cbranch_execz .LBB47_11
; %bb.10:
	s_load_dwordx2 s[10:11], s[4:5], 0x0
	s_waitcnt lgkmcnt(0)
	s_ashr_i32 s20, s44, 31
	s_mul_hi_u32 s21, s9, s44
	s_mul_i32 s20, s9, s20
	v_lshl_or_b32 v8, v53, 2, v1
	s_add_i32 s21, s21, s20
	s_mul_i32 s20, s9, s44
	s_lshl_b64 s[20:21], s[20:21], 1
	v_add_lshl_u32 v4, v8, s29, 6
	s_add_u32 s9, s10, s20
	v_ashrrev_i32_e32 v5, 31, v4
	s_addc_u32 s10, s11, s21
	v_lshlrev_b64 v[4:5], 1, v[4:5]
	v_mov_b32_e32 v6, s10
	v_add_co_u32_e32 v4, vcc, s9, v4
	v_addc_co_u32_e32 v5, vcc, v6, v5, vcc
	v_add_co_u32_e32 v4, vcc, v4, v50
	v_addc_co_u32_e32 v5, vcc, 0, v5, vcc
	global_load_dwordx4 v[4:7], v[4:5], off
	v_and_b32_e32 v9, 3, v0
	v_lshlrev_b32_e32 v10, 9, v52
	v_lshlrev_b32_e32 v8, 5, v8
	;; [unrolled: 1-line block ×3, first 2 shown]
	v_and_b32_e32 v10, 0x1800, v10
	v_or3_b32 v8, v10, v9, v8
	s_waitcnt vmcnt(0)
	ds_write_b128 v8, v[4:7]
.LBB47_11:
	s_or_b64 exec, exec, s[2:3]
	s_waitcnt lgkmcnt(0)
	s_mul_i32 s8, s8, s46
	s_mov_b32 s9, 0
	s_lshl_b64 s[8:9], s[8:9], 1
	s_add_u32 s3, s12, s8
	v_lshlrev_b32_e32 v51, 4, v0
	s_addc_u32 s10, s13, s9
	v_and_b32_e32 v4, 0xf0, v51
	v_mov_b32_e32 v5, s10
	v_add_co_u32_e32 v29, vcc, s3, v4
	v_addc_co_u32_e32 v30, vcc, 0, v5, vcc
	s_waitcnt vmcnt(3)
	v_mad_i64_i32 v[4:5], s[10:11], v3, s45, 0
	v_lshlrev_b64 v[4:5], 1, v[4:5]
	v_add_co_u32_e32 v3, vcc, v29, v4
	v_addc_co_u32_e32 v5, vcc, v30, v5, vcc
	v_and_b32_e32 v31, 0x300, v51
	v_add_co_u32_e32 v4, vcc, v3, v31
	v_addc_co_u32_e32 v5, vcc, 0, v5, vcc
	s_load_dword s33, s[4:5], 0x98
	s_load_dword s2, s[4:5], 0x1c
	s_waitcnt lgkmcnt(0)
	s_barrier
	global_load_dwordx4 v[6:9], v[4:5], off
	s_waitcnt vmcnt(3)
	v_mad_i64_i32 v[2:3], s[10:11], v2, s45, 0
	v_lshlrev_b64 v[2:3], 1, v[2:3]
	v_add_co_u32_e32 v2, vcc, v29, v2
	v_addc_co_u32_e32 v3, vcc, v30, v3, vcc
	v_add_co_u32_e32 v2, vcc, v2, v31
	v_addc_co_u32_e32 v3, vcc, 0, v3, vcc
	global_load_dwordx4 v[22:25], v[2:3], off
	global_load_dwordx4 v[10:13], v[4:5], off offset:1024
	global_load_dwordx4 v[14:17], v[2:3], off offset:1024
	v_add_u32_e32 v2, -12, v52
	v_cmp_gt_u32_e32 vcc, 12, v52
	v_cndmask_b32_e32 v2, v2, v52, vcc
	v_lshlrev_b32_e32 v2, 5, v2
	v_lshl_add_u32 v20, v1, 9, v2
	ds_read_b128 v[2:5], v20
	s_waitcnt vmcnt(5)
	v_mad_i64_i32 v[18:19], s[10:11], v18, s45, 0
	v_lshlrev_b64 v[26:27], 1, v[18:19]
	ds_read_b128 v[18:21], v20 offset:2048
	v_and_or_b32 v55, v0, 48, s16
	v_mov_b32_e32 v60, s19
	v_mov_b32_e32 v49, s18
	v_or_b32_e32 v57, 0x80, v55
	v_mov_b32_e32 v56, s18
	v_mov_b32_e32 v61, s18
	s_add_u32 s3, s14, s8
	s_addc_u32 s8, s15, s9
	s_mov_b32 s42, 0xff7fffff
	s_waitcnt vmcnt(2) lgkmcnt(1)
	v_mfma_f32_16x16x16f16 v[36:39], v[22:23], v[2:3], 0
	v_mad_i64_i32 v[22:23], s[10:11], v28, s45, 0
	v_lshlrev_b64 v[44:45], 1, v[22:23]
	v_ashrrev_i32_e32 v22, 4, v55
	v_or_b32_e32 v28, 64, v55
	v_mfma_f32_16x16x16f16 v[32:35], v[6:7], v[2:3], 0
	v_add_co_u32_e32 v6, vcc, v29, v26
	v_addc_co_u32_e32 v7, vcc, v30, v27, vcc
	v_add_co_u32_e32 v26, vcc, v6, v31
	v_addc_co_u32_e32 v27, vcc, 0, v7, vcc
	global_load_dwordx4 v[40:43], v[26:27], off
	v_mfma_f32_16x16x16f16 v[6:9], v[8:9], v[4:5], v[32:35]
	v_cmp_gt_i32_e32 vcc, s40, v55
	v_cndmask_b32_e32 v46, v60, v22, vcc
	v_cmp_gt_i32_e32 vcc, s40, v28
	v_ashrrev_i32_e32 v47, 31, v46
	s_nop 2
	global_load_dwordx4 v[32:35], v[26:27], off offset:1024
	v_mfma_f32_16x16x16f16 v[22:25], v[24:25], v[4:5], v[36:39]
	s_nop 6
	v_ashrrev_i32_e32 v36, 4, v28
	v_cndmask_b32_e32 v48, v60, v36, vcc
	s_waitcnt vmcnt(3) lgkmcnt(0)
	v_mfma_f32_16x16x16f16 v[6:9], v[10:11], v[18:19], v[6:9]
	v_add_co_u32_e32 v10, vcc, v29, v44
	v_addc_co_u32_e32 v11, vcc, v30, v45, vcc
	v_add_co_u32_e32 v10, vcc, v10, v31
	v_addc_co_u32_e32 v11, vcc, 0, v11, vcc
	v_lshlrev_b64 v[36:37], 2, v[46:47]
	global_load_dwordx4 v[26:29], v[10:11], off
	s_waitcnt vmcnt(3)
	v_mfma_f32_16x16x16f16 v[22:25], v[14:15], v[18:19], v[22:25]
	v_add_co_u32_e32 v14, vcc, s17, v36
	v_addc_co_u32_e32 v15, vcc, v49, v37, vcc
	global_load_dword v44, v[14:15], off
	v_ashrrev_i32_e32 v38, 4, v57
	v_cmp_gt_i32_e32 vcc, s40, v57
	v_ashrrev_i32_e32 v49, 31, v48
	v_cndmask_b32_e32 v14, v60, v38, vcc
	v_mfma_f32_16x16x16f16 v[36:39], v[12:13], v[20:21], v[6:9]
	v_ashrrev_i32_e32 v15, 31, v14
	v_mov_b32_e32 v12, s18
	s_nop 4
	v_lshlrev_b64 v[6:7], 2, v[48:49]
	v_add_co_u32_e32 v6, vcc, s17, v6
	v_addc_co_u32_e32 v7, vcc, v56, v7, vcc
	global_load_dwordx4 v[56:59], v[10:11], off offset:1024
	global_load_dword v45, v[6:7], off
	v_lshlrev_b64 v[6:7], 2, v[14:15]
	v_add_co_u32_e32 v10, vcc, s17, v6
	v_addc_co_u32_e32 v11, vcc, v61, v7, vcc
	s_waitcnt vmcnt(5)
	v_mfma_f32_16x16x16f16 v[6:9], v[40:41], v[2:3], 0
	global_load_dword v40, v[10:11], off
	v_or_b32_e32 v10, 0xc0, v55
	v_ashrrev_i32_e32 v11, 4, v10
	v_cmp_gt_i32_e32 vcc, s40, v10
	v_cndmask_b32_e32 v10, v60, v11, vcc
	v_ashrrev_i32_e32 v11, 31, v10
	v_lshlrev_b64 v[10:11], 2, v[10:11]
	v_mfma_f32_16x16x16f16 v[6:9], v[42:43], v[4:5], v[6:9]
	v_add_co_u32_e32 v10, vcc, s17, v10
	v_addc_co_u32_e32 v11, vcc, v12, v11, vcc
	global_load_dword v60, v[10:11], off
	v_lshlrev_b32_e32 v55, 5, v52
	v_lshl_or_b32 v10, v53, 9, v55
	s_waitcnt vmcnt(6)
	v_mfma_f32_16x16x16f16 v[6:9], v[32:33], v[18:19], v[6:9]
	v_mov_b32_e32 v11, s8
	v_add_co_u32_e32 v61, vcc, s3, v10
	v_addc_co_u32_e32 v62, vcc, 0, v11, vcc
	v_pk_mul_f32 v[46:47], s[2:3], v[38:39] op_sel_hi:[0,1]
	v_mfma_f32_16x16x16f16 v[30:33], v[34:35], v[20:21], v[6:9]
	s_waitcnt vmcnt(1)
	v_mad_i64_i32 v[34:35], s[8:9], v40, s45, 0
	s_nop 4
	v_mad_i64_i32 v[6:7], s[8:9], v44, s45, 0
	v_lshlrev_b64 v[10:11], 1, v[6:7]
	v_mfma_f32_16x16x16f16 v[6:9], v[26:27], v[2:3], 0
	v_add_co_u32_e32 v2, vcc, v61, v10
	v_addc_co_u32_e32 v3, vcc, v62, v11, vcc
	v_lshlrev_b64 v[34:35], 1, v[34:35]
	v_pk_mul_f32 v[42:43], s[2:3], v[30:31] op_sel_hi:[0,1]
	v_mfma_f32_16x16x16f16 v[26:29], v[28:29], v[4:5], v[6:9]
	v_mfma_f32_16x16x16f16 v[22:25], v[16:17], v[20:21], v[22:25]
	global_load_dwordx4 v[14:17], v[2:3], off
	global_load_dwordx4 v[10:13], v[2:3], off offset:16
	v_mad_i64_i32 v[2:3], s[8:9], v45, s45, 0
	v_lshlrev_b64 v[2:3], 1, v[2:3]
	v_add_co_u32_e32 v2, vcc, v61, v2
	v_addc_co_u32_e32 v3, vcc, v62, v3, vcc
	v_mfma_f32_16x16x16f16 v[26:29], v[56:57], v[18:19], v[26:29]
	s_nop 3
	v_pk_mul_f32 v[38:39], s[2:3], v[22:23] op_sel_hi:[0,1]
	v_add_co_u32_e32 v56, vcc, v61, v34
	v_addc_co_u32_e32 v57, vcc, v62, v35, vcc
	v_pk_mul_f32 v[18:19], s[2:3], v[36:37] op_sel_hi:[0,1]
	v_pk_mul_f32 v[48:49], s[2:3], v[24:25] op_sel_hi:[0,1]
	v_mfma_f32_16x16x16f16 v[20:23], v[58:59], v[20:21], v[26:29]
	v_pk_mul_f32 v[44:45], s[2:3], v[32:33] op_sel_hi:[0,1]
	global_load_dwordx4 v[6:9], v[2:3], off
	s_nop 0
	global_load_dwordx4 v[2:5], v[2:3], off offset:16
	s_nop 6
	v_pk_mul_f32 v[40:41], s[2:3], v[20:21] op_sel_hi:[0,1]
	v_and_b32_e32 v20, 0xc0, v0
	v_add_u32_e32 v20, s16, v20
	v_lshl_or_b32 v20, v1, 2, v20
	v_pk_mul_f32 v[34:35], s[2:3], v[22:23] op_sel_hi:[0,1]
	v_or_b32_e32 v23, 1, v20
	v_mov_b32_e32 v21, 0xff7fffff
	v_cmp_gt_i32_e64 s[30:31], s40, v20
	v_cmp_gt_i32_e64 s[34:35], s40, v23
	v_cndmask_b32_e64 v22, v21, v18, s[30:31]
	v_cndmask_b32_e64 v23, v21, v19, s[34:35]
	v_max3_f32 v22, v22, s42, v23
	v_or_b32_e32 v23, 2, v20
	v_or_b32_e32 v24, 3, v20
	v_cmp_gt_i32_e64 s[36:37], s40, v23
	v_cmp_gt_i32_e64 s[38:39], s40, v24
	v_cndmask_b32_e64 v23, v21, v46, s[36:37]
	v_cndmask_b32_e64 v24, v21, v47, s[38:39]
	v_max3_f32 v22, v22, v23, v24
	v_or_b32_e32 v23, 16, v20
	v_or_b32_e32 v24, 17, v20
	;; [unrolled: 7-line block ×7, first 2 shown]
	v_cmp_gt_i32_e32 vcc, s40, v23
	v_cmp_gt_i32_e64 s[2:3], s40, v20
	v_cndmask_b32_e32 v23, v21, v34, vcc
	v_cndmask_b32_e64 v20, v21, v35, s[2:3]
	v_max3_f32 v26, v22, v23, v20
	v_mbcnt_lo_u32_b32 v20, -1, 0
	v_mbcnt_hi_u32_b32 v27, -1, v20
	v_and_b32_e32 v20, 64, v27
	v_add_u32_e32 v28, 64, v20
	v_xor_b32_e32 v20, 32, v27
	v_cmp_lt_i32_e64 s[40:41], v20, v28
	v_cndmask_b32_e64 v20, v27, v20, s[40:41]
	v_lshlrev_b32_e32 v58, 2, v20
	ds_bpermute_b32 v29, v58, v26
	s_waitcnt vmcnt(4)
	v_mad_i64_i32 v[20:21], s[40:41], v60, s45, 0
	global_load_dwordx4 v[30:33], v[56:57], off
	global_load_dwordx4 v[22:25], v[56:57], off offset:16
	v_lshlrev_b64 v[20:21], 1, v[20:21]
	s_waitcnt lgkmcnt(0)
	v_max_f32_e32 v29, v29, v29
	v_max_f32_e32 v26, v26, v29
	v_xor_b32_e32 v29, 16, v27
	v_cmp_lt_i32_e64 s[40:41], v29, v28
	v_cndmask_b32_e64 v27, v27, v29, s[40:41]
	v_lshlrev_b32_e32 v57, 2, v27
	ds_bpermute_b32 v27, v57, v26
	v_add_co_u32_e64 v20, s[40:41], v61, v20
	v_addc_co_u32_e64 v21, s[40:41], v62, v21, s[40:41]
	s_waitcnt lgkmcnt(0)
	v_max_f32_e32 v27, v27, v27
	v_max_f32_e32 v56, v26, v27
	v_sub_f32_e32 v18, v18, v56
	v_mul_f32_e32 v18, 0x3fb8aa3b, v18
	v_exp_f32_e32 v36, v18
	v_sub_f32_e32 v18, v19, v56
	v_mul_f32_e32 v18, 0x3fb8aa3b, v18
	v_exp_f32_e32 v37, v18
	global_load_dwordx4 v[26:29], v[20:21], off
	s_nop 0
	global_load_dwordx4 v[18:21], v[20:21], off offset:16
	v_sub_f32_e32 v46, v46, v56
	v_mul_f32_e32 v46, 0x3fb8aa3b, v46
	v_sub_f32_e32 v47, v47, v56
	v_exp_f32_e32 v46, v46
	v_mul_f32_e32 v47, 0x3fb8aa3b, v47
	v_sub_f32_e32 v38, v38, v56
	v_exp_f32_e32 v47, v47
	v_mul_f32_e32 v38, 0x3fb8aa3b, v38
	v_sub_f32_e32 v39, v39, v56
	v_cndmask_b32_e64 v36, 0, v36, s[30:31]
	v_exp_f32_e32 v38, v38
	v_mul_f32_e32 v39, 0x3fb8aa3b, v39
	v_sub_f32_e32 v48, v48, v56
	v_add_f32_e32 v59, 0, v36
	v_cndmask_b32_e64 v37, 0, v37, s[34:35]
	v_exp_f32_e32 v39, v39
	v_mul_f32_e32 v48, 0x3fb8aa3b, v48
	v_sub_f32_e32 v49, v49, v56
	v_add_f32_e32 v59, v59, v37
	;; [unrolled: 5-line block ×10, first 2 shown]
	v_cndmask_b32_e64 v44, 0, v44, s[12:13]
	v_exp_f32_e32 v34, v34
	v_mul_f32_e32 v35, 0x3fb8aa3b, v35
	v_add_f32_e32 v59, v59, v44
	v_cndmask_b32_e64 v45, 0, v45, s[14:15]
	v_exp_f32_e32 v35, v35
	v_add_f32_e32 v59, v59, v45
	v_cndmask_b32_e64 v40, 0, v40, s[8:9]
	v_add_f32_e32 v59, v59, v40
	v_cndmask_b32_e64 v41, 0, v41, s[10:11]
	v_add_f32_e32 v59, v59, v41
	v_cndmask_b32_e32 v34, 0, v34, vcc
	v_add_f32_e32 v59, v59, v34
	v_cndmask_b32_e64 v35, 0, v35, s[2:3]
	v_add_f32_e32 v59, v59, v35
	ds_bpermute_b32 v58, v58, v59
	v_cmp_gt_u32_e32 vcc, 16, v54
	s_waitcnt lgkmcnt(0)
	s_barrier
	v_add_f32_e32 v58, v59, v58
	ds_bpermute_b32 v59, v57, v58
	v_lshlrev_b32_e32 v57, 2, v52
	s_and_saveexec_b64 s[2:3], vcc
	s_cbranch_execz .LBB47_13
; %bb.12:
	s_waitcnt lgkmcnt(0)
	v_add_f32_e32 v54, v58, v59
	v_lshl_or_b32 v58, v53, 6, v57
	ds_write2st64_b32 v58, v56, v54 offset1:1
.LBB47_13:
	s_or_b64 exec, exec, s[2:3]
	s_load_dword s8, s[4:5], 0x94
	s_waitcnt lgkmcnt(0)
	s_barrier
	ds_read2_b32 v[58:59], v57 offset1:16
	ds_read2_b32 v[60:61], v57 offset0:32 offset1:48
	ds_read2_b32 v[62:63], v57 offset0:64 offset1:80
	s_mul_i32 s9, s33, 12
	s_waitcnt lgkmcnt(2)
	v_max3_f32 v54, v58, s42, v59
	s_waitcnt lgkmcnt(1)
	v_max3_f32 v54, v54, v60, v61
	v_sub_f32_e32 v56, v58, v54
	v_mul_f32_e32 v56, 0x3fb8aa3b, v56
	v_exp_f32_e32 v64, v56
	v_sub_f32_e32 v56, v59, v54
	v_mul_f32_e32 v56, 0x3fb8aa3b, v56
	v_exp_f32_e32 v65, v56
	;; [unrolled: 3-line block ×3, first 2 shown]
	ds_read2_b32 v[58:59], v57 offset0:96 offset1:112
	v_sub_f32_e32 v56, v61, v54
	v_mul_f32_e32 v56, 0x3fb8aa3b, v56
	v_exp_f32_e32 v57, v56
	s_waitcnt lgkmcnt(1)
	v_fma_f32 v56, v64, v62, 0
	v_fmac_f32_e32 v56, v65, v63
	s_waitcnt lgkmcnt(0)
	v_fmac_f32_e32 v56, v60, v58
	v_fmac_f32_e32 v56, v57, v59
	v_add_f32_e32 v58, 0x358637bd, v56
	v_div_scale_f32 v59, s[2:3], v58, v58, 1.0
	v_rcp_f32_e32 v61, v59
	s_barrier
	v_fma_f32 v62, -v59, v61, 1.0
	v_fmac_f32_e32 v61, v62, v61
	v_div_scale_f32 v62, vcc, 1.0, v58, 1.0
	v_mul_f32_e32 v63, v62, v61
	v_fma_f32 v66, -v59, v63, v62
	v_fmac_f32_e32 v63, v66, v61
	v_fma_f32 v59, -v59, v63, v62
	v_div_fmas_f32 v59, v59, v61, v63
	v_cmp_eq_u32_e32 vcc, 1, v53
	v_div_fixup_f32 v58, v59, v58, 1.0
	v_cndmask_b32_e32 v59, v64, v65, vcc
	v_cmp_eq_u32_e32 vcc, 2, v53
	v_cndmask_b32_e32 v59, v59, v60, vcc
	v_cmp_eq_u32_e32 vcc, 3, v53
	v_cndmask_b32_e32 v57, v59, v57, vcc
	v_mul_f32_e32 v58, v57, v58
	v_pk_mul_f32 v[36:37], v[58:59], v[36:37] op_sel_hi:[0,1]
	v_cvt_f16_f32_e32 v36, v36
	v_cvt_f16_f32_e32 v37, v37
	v_pk_mul_f32 v[46:47], v[58:59], v[46:47] op_sel_hi:[0,1]
	v_cvt_f16_f32_e32 v57, v46
	v_cvt_f16_f32_e32 v47, v47
	v_pack_b32_f16 v46, v36, v37
	v_pk_mul_f32 v[36:37], v[58:59], v[48:49] op_sel_hi:[0,1]
	v_pk_mul_f32 v[38:39], v[58:59], v[38:39] op_sel_hi:[0,1]
	v_cvt_f16_f32_e32 v38, v38
	v_cvt_f16_f32_e32 v39, v39
	;; [unrolled: 1-line block ×4, first 2 shown]
	v_pack_b32_f16 v47, v57, v47
	v_lshlrev_b32_e32 v57, 3, v1
	v_lshlrev_b32_e32 v36, 11, v53
	v_or3_b32 v36, v36, v55, v57
	v_pack_b32_f16 v38, v38, v39
	v_pack_b32_f16 v39, v48, v37
	ds_write2st64_b64 v36, v[46:47], v[38:39] offset1:1
	v_pk_mul_f32 v[38:39], v[58:59], v[44:45] op_sel_hi:[0,1]
	v_pk_mul_f32 v[42:43], v[58:59], v[42:43] op_sel_hi:[0,1]
	v_cvt_f16_f32_e32 v37, v42
	v_cvt_f16_f32_e32 v42, v43
	v_cvt_f16_f32_e32 v43, v38
	v_cvt_f16_f32_e32 v44, v39
	v_pk_mul_f32 v[34:35], v[58:59], v[34:35] op_sel_hi:[0,1]
	v_pk_mul_f32 v[38:39], v[58:59], v[40:41] op_sel_hi:[0,1]
	v_cvt_f16_f32_e32 v38, v38
	v_cvt_f16_f32_e32 v39, v39
	;; [unrolled: 1-line block ×4, first 2 shown]
	v_pack_b32_f16 v34, v37, v42
	v_pack_b32_f16 v35, v43, v44
	;; [unrolled: 1-line block ×4, first 2 shown]
	v_cmp_gt_u32_e32 vcc, 12, v0
	ds_write2st64_b64 v36, v[34:35], v[38:39] offset0:2 offset1:3
	s_and_saveexec_b64 s[2:3], vcc
	s_cbranch_execz .LBB47_15
; %bb.14:
	v_add_co_u32_e32 v38, vcc, s29, v52
	v_addc_co_u32_e64 v39, s[10:11], 0, 0, vcc
	v_mov_b32_e32 v34, s9
	v_mov_b32_e32 v35, 0
	v_mad_u64_u32 v[38:39], s[10:11], s6, v34, v[38:39]
	v_mov_b32_e32 v34, s28
	s_load_dwordx4 s[12:15], s[4:5], 0x58
	s_mul_i32 s7, s7, s9
	v_mad_u64_u32 v[34:35], s[10:11], v38, s8, v[34:35]
	v_add_u32_e32 v37, s7, v39
	v_mov_b32_e32 v38, v35
	v_mad_u64_u32 v[38:39], s[10:11], v37, s8, v[38:39]
	v_mov_b32_e32 v35, v38
	v_lshlrev_b64 v[34:35], 2, v[34:35]
	s_waitcnt lgkmcnt(0)
	v_mov_b32_e32 v37, s15
	v_add_co_u32_e32 v38, vcc, s14, v34
	v_addc_co_u32_e32 v39, vcc, v37, v35, vcc
	v_mov_b32_e32 v37, s13
	v_add_co_u32_e32 v34, vcc, s12, v34
	v_addc_co_u32_e32 v35, vcc, v37, v35, vcc
	global_store_dword v[38:39], v54, off
	global_store_dword v[34:35], v56, off
.LBB47_15:
	s_or_b64 exec, exec, s[2:3]
	v_lshl_or_b32 v34, v1, 9, v55
	s_waitcnt lgkmcnt(0)
	s_barrier
	ds_read_b128 v[38:41], v34
	ds_read_b128 v[42:45], v34 offset:16
	s_waitcnt vmcnt(7) lgkmcnt(1)
	v_mfma_f32_16x16x16f16 v[46:49], v[14:15], v[38:39], 0
	v_cmp_gt_u32_e32 vcc, 64, v0
	s_mov_b32 s3, 0
	s_and_b64 s[0:1], vcc, s[0:1]
	v_mfma_f32_16x16x16f16 v[14:17], v[16:17], v[40:41], v[46:49]
	s_waitcnt vmcnt(6) lgkmcnt(0)
	v_mfma_f32_16x16x16f16 v[14:17], v[10:11], v[42:43], v[14:17]
	v_mfma_f32_16x16x16f16 v[10:13], v[12:13], v[44:45], v[14:17]
	s_nop 7
	s_nop 1
	ds_read_b128 v[14:17], v34 offset:2048
	ds_read_b128 v[38:41], v34 offset:2064
	s_waitcnt vmcnt(5) lgkmcnt(1)
	v_mfma_f32_16x16x16f16 v[10:13], v[6:7], v[14:15], v[10:13]
	v_mfma_f32_16x16x16f16 v[6:9], v[8:9], v[16:17], v[10:13]
	s_waitcnt vmcnt(4) lgkmcnt(0)
	v_mfma_f32_16x16x16f16 v[6:9], v[2:3], v[38:39], v[6:9]
	v_mfma_f32_16x16x16f16 v[2:5], v[4:5], v[40:41], v[6:9]
	s_nop 7
	s_nop 1
	ds_read_b128 v[6:9], v34 offset:4096
	ds_read_b128 v[10:13], v34 offset:4112
	s_waitcnt vmcnt(3) lgkmcnt(1)
	v_mfma_f32_16x16x16f16 v[2:5], v[30:31], v[6:7], v[2:5]
	v_mfma_f32_16x16x16f16 v[2:5], v[32:33], v[8:9], v[2:5]
	s_waitcnt vmcnt(2) lgkmcnt(0)
	v_mfma_f32_16x16x16f16 v[2:5], v[22:23], v[10:11], v[2:5]
	v_mfma_f32_16x16x16f16 v[2:5], v[24:25], v[12:13], v[2:5]
	ds_read_b128 v[6:9], v34 offset:6144
	ds_read_b128 v[10:13], v34 offset:6160
	s_waitcnt lgkmcnt(0)
	s_barrier
	s_waitcnt vmcnt(1)
	v_mfma_f32_16x16x16f16 v[2:5], v[26:27], v[6:7], v[2:5]
	v_mfma_f32_16x16x16f16 v[2:5], v[28:29], v[8:9], v[2:5]
	s_waitcnt vmcnt(0)
	v_mfma_f32_16x16x16f16 v[2:5], v[18:19], v[10:11], v[2:5]
	v_mfma_f32_16x16x16f16 v[2:5], v[20:21], v[12:13], v[2:5]
	s_nop 7
	s_nop 2
	v_cvt_f16_f32_e32 v2, v2
	v_cvt_f16_f32_e32 v3, v3
	;; [unrolled: 1-line block ×4, first 2 shown]
	v_pack_b32_f16 v2, v2, v3
	v_pack_b32_f16 v3, v4, v5
	ds_write_b64 v36, v[2:3]
	s_waitcnt lgkmcnt(0)
	s_barrier
	s_and_saveexec_b64 s[10:11], s[0:1]
	s_cbranch_execz .LBB47_17
; %bb.16:
	s_load_dwordx2 s[0:1], s[4:5], 0x68
	s_lshl_b32 s7, s8, 6
	s_mul_i32 s2, s9, s6
	s_mul_hi_u32 s5, s2, s7
	s_mul_i32 s4, s2, s7
	s_lshl_b64 s[4:5], s[4:5], 1
	s_waitcnt lgkmcnt(0)
	s_add_u32 s4, s0, s4
	s_addc_u32 s5, s1, s5
	s_lshl_b32 s2, s28, 6
	v_lshlrev_b32_e32 v0, 10, v0
	s_lshl_b64 s[0:1], s[2:3], 1
	v_and_b32_e32 v0, 0x1800, v0
	v_lshlrev_b32_e32 v2, 5, v1
	v_and_b32_e32 v3, 16, v51
	s_add_u32 s0, s4, s0
	v_or3_b32 v0, v0, v2, v3
	s_addc_u32 s1, s5, s1
	ds_read_b128 v[2:5], v0
	ds_read_b128 v[6:9], v0 offset:128
	ds_read_b128 v[10:13], v0 offset:256
	v_or_b32_e32 v14, s29, v1
	v_mov_b32_e32 v0, s1
	v_add_co_u32_e32 v15, vcc, s0, v50
	v_addc_co_u32_e32 v16, vcc, 0, v0, vcc
	v_mad_u64_u32 v[0:1], s[0:1], v14, s7, 0
	v_lshlrev_b64 v[0:1], 1, v[0:1]
	v_add_co_u32_e32 v0, vcc, v15, v0
	v_addc_co_u32_e32 v1, vcc, v16, v1, vcc
	s_waitcnt lgkmcnt(2)
	global_store_dwordx4 v[0:1], v[2:5], off
	v_add_u32_e32 v0, 4, v14
	v_mad_u64_u32 v[0:1], s[0:1], v0, s7, 0
	v_lshlrev_b64 v[0:1], 1, v[0:1]
	v_add_co_u32_e32 v0, vcc, v15, v0
	v_addc_co_u32_e32 v1, vcc, v16, v1, vcc
	s_waitcnt lgkmcnt(1)
	global_store_dwordx4 v[0:1], v[6:9], off
	v_add_u32_e32 v0, 8, v14
	v_mad_u64_u32 v[0:1], s[0:1], v0, s7, 0
	v_lshlrev_b64 v[0:1], 1, v[0:1]
	v_add_co_u32_e32 v0, vcc, v15, v0
	v_addc_co_u32_e32 v1, vcc, v16, v1, vcc
	s_waitcnt lgkmcnt(0)
	global_store_dwordx4 v[0:1], v[10:13], off
.LBB47_17:
	s_endpgm
	.section	.rodata,"a",@progbits
	.p2align	6, 0x0
	.amdhsa_kernel _Z39paged_attention_ll4mi_QKV_mfma16_kernelIDF16_DF16_LN4vllm18Fp8KVCacheDataTypeE0EDF16_Li16ELi64ELi256ELb0ELi12EL8MFMAType0EEvPKT_PKT0_S8_ifPKiSA_SA_iPKfiiiPfSD_PS3_PT2_iSC_SC_
		.amdhsa_group_segment_fixed_size 8192
		.amdhsa_private_segment_fixed_size 0
		.amdhsa_kernarg_size 400
		.amdhsa_user_sgpr_count 6
		.amdhsa_user_sgpr_private_segment_buffer 1
		.amdhsa_user_sgpr_dispatch_ptr 0
		.amdhsa_user_sgpr_queue_ptr 0
		.amdhsa_user_sgpr_kernarg_segment_ptr 1
		.amdhsa_user_sgpr_dispatch_id 0
		.amdhsa_user_sgpr_flat_scratch_init 0
		.amdhsa_user_sgpr_kernarg_preload_length 0
		.amdhsa_user_sgpr_kernarg_preload_offset 0
		.amdhsa_user_sgpr_private_segment_size 0
		.amdhsa_uses_dynamic_stack 0
		.amdhsa_system_sgpr_private_segment_wavefront_offset 0
		.amdhsa_system_sgpr_workgroup_id_x 1
		.amdhsa_system_sgpr_workgroup_id_y 1
		.amdhsa_system_sgpr_workgroup_id_z 1
		.amdhsa_system_sgpr_workgroup_info 0
		.amdhsa_system_vgpr_workitem_id 0
		.amdhsa_next_free_vgpr 67
		.amdhsa_next_free_sgpr 48
		.amdhsa_accum_offset 68
		.amdhsa_reserve_vcc 1
		.amdhsa_reserve_flat_scratch 0
		.amdhsa_float_round_mode_32 0
		.amdhsa_float_round_mode_16_64 0
		.amdhsa_float_denorm_mode_32 3
		.amdhsa_float_denorm_mode_16_64 3
		.amdhsa_dx10_clamp 1
		.amdhsa_ieee_mode 1
		.amdhsa_fp16_overflow 0
		.amdhsa_tg_split 0
		.amdhsa_exception_fp_ieee_invalid_op 0
		.amdhsa_exception_fp_denorm_src 0
		.amdhsa_exception_fp_ieee_div_zero 0
		.amdhsa_exception_fp_ieee_overflow 0
		.amdhsa_exception_fp_ieee_underflow 0
		.amdhsa_exception_fp_ieee_inexact 0
		.amdhsa_exception_int_div_zero 0
	.end_amdhsa_kernel
	.section	.text._Z39paged_attention_ll4mi_QKV_mfma16_kernelIDF16_DF16_LN4vllm18Fp8KVCacheDataTypeE0EDF16_Li16ELi64ELi256ELb0ELi12EL8MFMAType0EEvPKT_PKT0_S8_ifPKiSA_SA_iPKfiiiPfSD_PS3_PT2_iSC_SC_,"axG",@progbits,_Z39paged_attention_ll4mi_QKV_mfma16_kernelIDF16_DF16_LN4vllm18Fp8KVCacheDataTypeE0EDF16_Li16ELi64ELi256ELb0ELi12EL8MFMAType0EEvPKT_PKT0_S8_ifPKiSA_SA_iPKfiiiPfSD_PS3_PT2_iSC_SC_,comdat
.Lfunc_end47:
	.size	_Z39paged_attention_ll4mi_QKV_mfma16_kernelIDF16_DF16_LN4vllm18Fp8KVCacheDataTypeE0EDF16_Li16ELi64ELi256ELb0ELi12EL8MFMAType0EEvPKT_PKT0_S8_ifPKiSA_SA_iPKfiiiPfSD_PS3_PT2_iSC_SC_, .Lfunc_end47-_Z39paged_attention_ll4mi_QKV_mfma16_kernelIDF16_DF16_LN4vllm18Fp8KVCacheDataTypeE0EDF16_Li16ELi64ELi256ELb0ELi12EL8MFMAType0EEvPKT_PKT0_S8_ifPKiSA_SA_iPKfiiiPfSD_PS3_PT2_iSC_SC_
                                        ; -- End function
	.section	.AMDGPU.csdata,"",@progbits
; Kernel info:
; codeLenInByte = 3980
; NumSgprs: 52
; NumVgprs: 67
; NumAgprs: 0
; TotalNumVgprs: 67
; ScratchSize: 0
; MemoryBound: 0
; FloatMode: 240
; IeeeMode: 1
; LDSByteSize: 8192 bytes/workgroup (compile time only)
; SGPRBlocks: 6
; VGPRBlocks: 8
; NumSGPRsForWavesPerEU: 52
; NumVGPRsForWavesPerEU: 67
; AccumOffset: 68
; Occupancy: 7
; WaveLimiterHint : 1
; COMPUTE_PGM_RSRC2:SCRATCH_EN: 0
; COMPUTE_PGM_RSRC2:USER_SGPR: 6
; COMPUTE_PGM_RSRC2:TRAP_HANDLER: 0
; COMPUTE_PGM_RSRC2:TGID_X_EN: 1
; COMPUTE_PGM_RSRC2:TGID_Y_EN: 1
; COMPUTE_PGM_RSRC2:TGID_Z_EN: 1
; COMPUTE_PGM_RSRC2:TIDIG_COMP_CNT: 0
; COMPUTE_PGM_RSRC3_GFX90A:ACCUM_OFFSET: 16
; COMPUTE_PGM_RSRC3_GFX90A:TG_SPLIT: 0
	.section	.text._Z39paged_attention_ll4mi_QKV_mfma16_kernelIDF16_DF16_LN4vllm18Fp8KVCacheDataTypeE0EDF16_Li16ELi64ELi256ELb0ELi13EL8MFMAType0EEvPKT_PKT0_S8_ifPKiSA_SA_iPKfiiiPfSD_PS3_PT2_iSC_SC_,"axG",@progbits,_Z39paged_attention_ll4mi_QKV_mfma16_kernelIDF16_DF16_LN4vllm18Fp8KVCacheDataTypeE0EDF16_Li16ELi64ELi256ELb0ELi13EL8MFMAType0EEvPKT_PKT0_S8_ifPKiSA_SA_iPKfiiiPfSD_PS3_PT2_iSC_SC_,comdat
	.protected	_Z39paged_attention_ll4mi_QKV_mfma16_kernelIDF16_DF16_LN4vllm18Fp8KVCacheDataTypeE0EDF16_Li16ELi64ELi256ELb0ELi13EL8MFMAType0EEvPKT_PKT0_S8_ifPKiSA_SA_iPKfiiiPfSD_PS3_PT2_iSC_SC_ ; -- Begin function _Z39paged_attention_ll4mi_QKV_mfma16_kernelIDF16_DF16_LN4vllm18Fp8KVCacheDataTypeE0EDF16_Li16ELi64ELi256ELb0ELi13EL8MFMAType0EEvPKT_PKT0_S8_ifPKiSA_SA_iPKfiiiPfSD_PS3_PT2_iSC_SC_
	.globl	_Z39paged_attention_ll4mi_QKV_mfma16_kernelIDF16_DF16_LN4vllm18Fp8KVCacheDataTypeE0EDF16_Li16ELi64ELi256ELb0ELi13EL8MFMAType0EEvPKT_PKT0_S8_ifPKiSA_SA_iPKfiiiPfSD_PS3_PT2_iSC_SC_
	.p2align	8
	.type	_Z39paged_attention_ll4mi_QKV_mfma16_kernelIDF16_DF16_LN4vllm18Fp8KVCacheDataTypeE0EDF16_Li16ELi64ELi256ELb0ELi13EL8MFMAType0EEvPKT_PKT0_S8_ifPKiSA_SA_iPKfiiiPfSD_PS3_PT2_iSC_SC_,@function
_Z39paged_attention_ll4mi_QKV_mfma16_kernelIDF16_DF16_LN4vllm18Fp8KVCacheDataTypeE0EDF16_Li16ELi64ELi256ELb0ELi13EL8MFMAType0EEvPKT_PKT0_S8_ifPKiSA_SA_iPKfiiiPfSD_PS3_PT2_iSC_SC_: ; @_Z39paged_attention_ll4mi_QKV_mfma16_kernelIDF16_DF16_LN4vllm18Fp8KVCacheDataTypeE0EDF16_Li16ELi64ELi256ELb0ELi13EL8MFMAType0EEvPKT_PKT0_S8_ifPKiSA_SA_iPKfiiiPfSD_PS3_PT2_iSC_SC_
; %bb.0:
	s_load_dwordx2 s[0:1], s[4:5], 0x30
	s_mov_b32 s28, s7
	s_mov_b64 s[10:11], 0
	s_waitcnt lgkmcnt(0)
	s_cmp_lg_u64 s[0:1], 0
	s_cselect_b64 s[2:3], -1, 0
	s_and_b64 vcc, exec, s[2:3]
	s_cbranch_vccz .LBB48_7
; %bb.1:
	s_add_i32 s12, s6, 1
	s_mov_b32 s13, 0
	s_lshl_b64 s[14:15], s[12:13], 2
	s_add_u32 s14, s0, s14
	s_mov_b32 s7, s13
	s_addc_u32 s15, s1, s15
	s_lshl_b64 s[12:13], s[6:7], 2
	s_add_u32 s12, s0, s12
	s_addc_u32 s13, s1, s13
	s_load_dword s9, s[14:15], 0x0
	s_load_dword s16, s[12:13], 0x0
	s_waitcnt lgkmcnt(0)
	s_sub_i32 s9, s9, s16
	s_cmp_eq_u32 s9, 1
	s_cselect_b64 s[12:13], -1, 0
	s_andn2_b64 vcc, exec, s[10:11]
	s_cbranch_vccnz .LBB48_3
.LBB48_2:
	s_mov_b32 s7, 0
	s_mov_b64 s[12:13], -1
.LBB48_3:
	s_andn2_b64 vcc, exec, s[12:13]
	s_cbranch_vccnz .LBB48_18
; %bb.4:
	s_load_dwordx2 s[12:13], s[4:5], 0x28
	s_lshl_b64 s[10:11], s[6:7], 2
	s_waitcnt lgkmcnt(0)
	s_add_u32 s12, s12, s10
	s_addc_u32 s13, s13, s11
	s_load_dword s40, s[12:13], 0x0
	s_lshl_b32 s16, s28, 8
	s_waitcnt lgkmcnt(0)
	s_cmp_ge_i32 s16, s40
	s_cbranch_scc1 .LBB48_18
; %bb.5:
	s_add_i32 s14, s40, 15
	s_load_dwordx2 s[12:13], s[4:5], 0x20
	s_load_dword s9, s[4:5], 0x38
	s_ashr_i32 s15, s14, 31
	v_and_b32_e32 v1, 0xcf, v0
	s_lshr_b32 s15, s15, 28
	v_add_u32_e32 v1, s16, v1
	s_add_i32 s14, s14, s15
	v_ashrrev_i32_e32 v2, 31, v1
	s_ashr_i32 s19, s14, 4
	v_lshrrev_b32_e32 v10, 28, v2
	s_add_i32 s19, s19, -1
	v_add_u32_e32 v2, v1, v10
	s_waitcnt lgkmcnt(0)
	s_mul_i32 s14, s6, s9
	s_mov_b32 s15, 0
	v_ashrrev_i32_e32 v2, 4, v2
	v_mov_b32_e32 v11, s19
	v_cmp_gt_i32_e32 vcc, s40, v1
	s_lshl_b64 s[14:15], s[14:15], 2
	v_cndmask_b32_e32 v2, v11, v2, vcc
	s_add_u32 s17, s12, s14
	v_ashrrev_i32_e32 v3, 31, v2
	s_addc_u32 s18, s13, s15
	v_lshlrev_b64 v[2:3], 2, v[2:3]
	v_mov_b32_e32 v5, s18
	v_add_co_u32_e32 v4, vcc, s17, v2
	v_or_b32_e32 v2, 16, v1
	v_addc_co_u32_e32 v5, vcc, v5, v3, vcc
	v_add_u32_e32 v3, v2, v10
	v_ashrrev_i32_e32 v3, 4, v3
	v_cmp_gt_i32_e32 vcc, s40, v2
	v_cndmask_b32_e32 v2, v11, v3, vcc
	v_ashrrev_i32_e32 v3, 31, v2
	v_lshlrev_b64 v[2:3], 2, v[2:3]
	v_mov_b32_e32 v7, s18
	v_add_co_u32_e32 v6, vcc, s17, v2
	v_or_b32_e32 v2, 32, v1
	v_addc_co_u32_e32 v7, vcc, v7, v3, vcc
	v_add_u32_e32 v3, v2, v10
	v_ashrrev_i32_e32 v3, 4, v3
	v_cmp_gt_i32_e32 vcc, s40, v2
	v_cndmask_b32_e32 v2, v11, v3, vcc
	v_ashrrev_i32_e32 v3, 31, v2
	;; [unrolled: 10-line block ×3, first 2 shown]
	v_lshlrev_b64 v[2:3], 2, v[2:3]
	v_mov_b32_e32 v1, s18
	v_add_co_u32_e32 v10, vcc, s17, v2
	v_addc_co_u32_e32 v11, vcc, v1, v3, vcc
	global_load_dword v3, v[4:5], off
	global_load_dword v2, v[6:7], off
	;; [unrolled: 1-line block ×4, first 2 shown]
	s_load_dwordx4 s[12:15], s[4:5], 0x8
	s_andn2_b64 vcc, exec, s[2:3]
	s_cbranch_vccnz .LBB48_8
; %bb.6:
	s_add_u32 s0, s0, s10
	s_addc_u32 s1, s1, s11
	s_load_dword s9, s[0:1], 0x0
	s_branch .LBB48_9
.LBB48_7:
	s_mov_b64 s[12:13], 0
	s_branch .LBB48_2
.LBB48_8:
	s_mov_b32 s9, s6
.LBB48_9:
	s_load_dwordx4 s[44:47], s[4:5], 0x48
	v_lshrrev_b32_e32 v53, 6, v0
	v_bfe_u32 v1, v0, 4, 2
	v_lshl_or_b32 v4, v53, 2, v1
	v_and_b32_e32 v52, 15, v0
	v_lshlrev_b32_e32 v5, 3, v52
	v_cmp_gt_u32_e32 vcc, 13, v4
	v_cmp_gt_u32_e64 s[0:1], 8, v52
	v_and_b32_e32 v54, 63, v0
	s_mul_i32 s29, s8, 13
	s_and_b64 s[10:11], s[0:1], vcc
	v_lshlrev_b32_e32 v50, 1, v5
	s_and_saveexec_b64 s[2:3], s[10:11]
	s_cbranch_execz .LBB48_11
; %bb.10:
	s_load_dwordx2 s[10:11], s[4:5], 0x0
	s_waitcnt lgkmcnt(0)
	s_ashr_i32 s20, s44, 31
	s_mul_hi_u32 s21, s9, s44
	s_mul_i32 s20, s9, s20
	s_add_i32 s21, s21, s20
	s_mul_i32 s20, s9, s44
	s_lshl_b64 s[20:21], s[20:21], 1
	v_add_lshl_u32 v6, v4, s29, 6
	s_add_u32 s9, s10, s20
	v_ashrrev_i32_e32 v7, 31, v6
	s_addc_u32 s10, s11, s21
	v_lshlrev_b64 v[6:7], 1, v[6:7]
	v_mov_b32_e32 v5, s10
	v_add_co_u32_e32 v6, vcc, s9, v6
	v_addc_co_u32_e32 v5, vcc, v5, v7, vcc
	v_add_co_u32_e32 v6, vcc, v6, v50
	v_addc_co_u32_e32 v7, vcc, 0, v5, vcc
	global_load_dwordx4 v[6:9], v[6:7], off
	v_and_b32_e32 v5, 3, v0
	v_lshlrev_b32_e32 v10, 9, v52
	v_lshlrev_b32_e32 v4, 5, v4
	;; [unrolled: 1-line block ×3, first 2 shown]
	v_and_b32_e32 v10, 0x1800, v10
	v_or3_b32 v4, v10, v5, v4
	s_waitcnt vmcnt(0)
	ds_write_b128 v4, v[6:9]
.LBB48_11:
	s_or_b64 exec, exec, s[2:3]
	s_waitcnt lgkmcnt(0)
	s_mul_i32 s8, s8, s46
	s_mov_b32 s9, 0
	s_lshl_b64 s[8:9], s[8:9], 1
	s_add_u32 s3, s12, s8
	v_lshlrev_b32_e32 v51, 4, v0
	s_addc_u32 s10, s13, s9
	v_and_b32_e32 v4, 0xf0, v51
	v_mov_b32_e32 v5, s10
	v_add_co_u32_e32 v29, vcc, s3, v4
	v_addc_co_u32_e32 v30, vcc, 0, v5, vcc
	s_waitcnt vmcnt(3)
	v_mad_i64_i32 v[4:5], s[10:11], v3, s45, 0
	v_lshlrev_b64 v[4:5], 1, v[4:5]
	v_add_co_u32_e32 v3, vcc, v29, v4
	v_addc_co_u32_e32 v5, vcc, v30, v5, vcc
	v_and_b32_e32 v31, 0x300, v51
	v_add_co_u32_e32 v4, vcc, v3, v31
	v_addc_co_u32_e32 v5, vcc, 0, v5, vcc
	s_load_dword s33, s[4:5], 0x98
	s_load_dword s2, s[4:5], 0x1c
	s_waitcnt lgkmcnt(0)
	s_barrier
	global_load_dwordx4 v[6:9], v[4:5], off
	s_waitcnt vmcnt(3)
	v_mad_i64_i32 v[2:3], s[10:11], v2, s45, 0
	v_lshlrev_b64 v[2:3], 1, v[2:3]
	v_add_co_u32_e32 v2, vcc, v29, v2
	v_addc_co_u32_e32 v3, vcc, v30, v3, vcc
	v_add_co_u32_e32 v2, vcc, v2, v31
	v_addc_co_u32_e32 v3, vcc, 0, v3, vcc
	global_load_dwordx4 v[22:25], v[2:3], off
	global_load_dwordx4 v[10:13], v[4:5], off offset:1024
	global_load_dwordx4 v[14:17], v[2:3], off offset:1024
	v_add_u32_e32 v2, -13, v52
	v_cmp_gt_u32_e32 vcc, 13, v52
	v_cndmask_b32_e32 v2, v2, v52, vcc
	v_lshlrev_b32_e32 v2, 5, v2
	v_lshl_add_u32 v20, v1, 9, v2
	ds_read_b128 v[2:5], v20
	s_waitcnt vmcnt(5)
	v_mad_i64_i32 v[18:19], s[10:11], v18, s45, 0
	v_lshlrev_b64 v[26:27], 1, v[18:19]
	ds_read_b128 v[18:21], v20 offset:2048
	v_and_or_b32 v55, v0, 48, s16
	v_mov_b32_e32 v60, s19
	v_mov_b32_e32 v49, s18
	v_or_b32_e32 v57, 0x80, v55
	v_mov_b32_e32 v56, s18
	v_mov_b32_e32 v61, s18
	s_add_u32 s3, s14, s8
	s_addc_u32 s8, s15, s9
	s_mov_b32 s42, 0xff7fffff
	s_waitcnt vmcnt(2) lgkmcnt(1)
	v_mfma_f32_16x16x16f16 v[36:39], v[22:23], v[2:3], 0
	v_mad_i64_i32 v[22:23], s[10:11], v28, s45, 0
	v_lshlrev_b64 v[44:45], 1, v[22:23]
	v_ashrrev_i32_e32 v22, 4, v55
	v_or_b32_e32 v28, 64, v55
	v_mfma_f32_16x16x16f16 v[32:35], v[6:7], v[2:3], 0
	v_add_co_u32_e32 v6, vcc, v29, v26
	v_addc_co_u32_e32 v7, vcc, v30, v27, vcc
	v_add_co_u32_e32 v26, vcc, v6, v31
	v_addc_co_u32_e32 v27, vcc, 0, v7, vcc
	global_load_dwordx4 v[40:43], v[26:27], off
	v_mfma_f32_16x16x16f16 v[6:9], v[8:9], v[4:5], v[32:35]
	v_cmp_gt_i32_e32 vcc, s40, v55
	v_cndmask_b32_e32 v46, v60, v22, vcc
	v_cmp_gt_i32_e32 vcc, s40, v28
	v_ashrrev_i32_e32 v47, 31, v46
	s_nop 2
	global_load_dwordx4 v[32:35], v[26:27], off offset:1024
	v_mfma_f32_16x16x16f16 v[22:25], v[24:25], v[4:5], v[36:39]
	s_nop 6
	v_ashrrev_i32_e32 v36, 4, v28
	v_cndmask_b32_e32 v48, v60, v36, vcc
	s_waitcnt vmcnt(3) lgkmcnt(0)
	v_mfma_f32_16x16x16f16 v[6:9], v[10:11], v[18:19], v[6:9]
	v_add_co_u32_e32 v10, vcc, v29, v44
	v_addc_co_u32_e32 v11, vcc, v30, v45, vcc
	v_add_co_u32_e32 v10, vcc, v10, v31
	v_addc_co_u32_e32 v11, vcc, 0, v11, vcc
	v_lshlrev_b64 v[36:37], 2, v[46:47]
	global_load_dwordx4 v[26:29], v[10:11], off
	s_waitcnt vmcnt(3)
	v_mfma_f32_16x16x16f16 v[22:25], v[14:15], v[18:19], v[22:25]
	v_add_co_u32_e32 v14, vcc, s17, v36
	v_addc_co_u32_e32 v15, vcc, v49, v37, vcc
	global_load_dword v44, v[14:15], off
	v_ashrrev_i32_e32 v38, 4, v57
	v_cmp_gt_i32_e32 vcc, s40, v57
	v_ashrrev_i32_e32 v49, 31, v48
	v_cndmask_b32_e32 v14, v60, v38, vcc
	v_mfma_f32_16x16x16f16 v[36:39], v[12:13], v[20:21], v[6:9]
	v_ashrrev_i32_e32 v15, 31, v14
	v_mov_b32_e32 v12, s18
	s_nop 4
	v_lshlrev_b64 v[6:7], 2, v[48:49]
	v_add_co_u32_e32 v6, vcc, s17, v6
	v_addc_co_u32_e32 v7, vcc, v56, v7, vcc
	global_load_dwordx4 v[56:59], v[10:11], off offset:1024
	global_load_dword v45, v[6:7], off
	v_lshlrev_b64 v[6:7], 2, v[14:15]
	v_add_co_u32_e32 v10, vcc, s17, v6
	v_addc_co_u32_e32 v11, vcc, v61, v7, vcc
	s_waitcnt vmcnt(5)
	v_mfma_f32_16x16x16f16 v[6:9], v[40:41], v[2:3], 0
	global_load_dword v40, v[10:11], off
	v_or_b32_e32 v10, 0xc0, v55
	v_ashrrev_i32_e32 v11, 4, v10
	v_cmp_gt_i32_e32 vcc, s40, v10
	v_cndmask_b32_e32 v10, v60, v11, vcc
	v_ashrrev_i32_e32 v11, 31, v10
	v_lshlrev_b64 v[10:11], 2, v[10:11]
	v_mfma_f32_16x16x16f16 v[6:9], v[42:43], v[4:5], v[6:9]
	v_add_co_u32_e32 v10, vcc, s17, v10
	v_addc_co_u32_e32 v11, vcc, v12, v11, vcc
	global_load_dword v60, v[10:11], off
	v_lshlrev_b32_e32 v55, 5, v52
	v_lshl_or_b32 v10, v53, 9, v55
	s_waitcnt vmcnt(6)
	v_mfma_f32_16x16x16f16 v[6:9], v[32:33], v[18:19], v[6:9]
	v_mov_b32_e32 v11, s8
	v_add_co_u32_e32 v61, vcc, s3, v10
	v_addc_co_u32_e32 v62, vcc, 0, v11, vcc
	v_pk_mul_f32 v[46:47], s[2:3], v[38:39] op_sel_hi:[0,1]
	v_mfma_f32_16x16x16f16 v[30:33], v[34:35], v[20:21], v[6:9]
	s_waitcnt vmcnt(1)
	v_mad_i64_i32 v[34:35], s[8:9], v40, s45, 0
	s_nop 4
	v_mad_i64_i32 v[6:7], s[8:9], v44, s45, 0
	v_lshlrev_b64 v[10:11], 1, v[6:7]
	v_mfma_f32_16x16x16f16 v[6:9], v[26:27], v[2:3], 0
	v_add_co_u32_e32 v2, vcc, v61, v10
	v_addc_co_u32_e32 v3, vcc, v62, v11, vcc
	v_lshlrev_b64 v[34:35], 1, v[34:35]
	v_pk_mul_f32 v[42:43], s[2:3], v[30:31] op_sel_hi:[0,1]
	v_mfma_f32_16x16x16f16 v[26:29], v[28:29], v[4:5], v[6:9]
	v_mfma_f32_16x16x16f16 v[22:25], v[16:17], v[20:21], v[22:25]
	global_load_dwordx4 v[14:17], v[2:3], off
	global_load_dwordx4 v[10:13], v[2:3], off offset:16
	v_mad_i64_i32 v[2:3], s[8:9], v45, s45, 0
	v_lshlrev_b64 v[2:3], 1, v[2:3]
	v_add_co_u32_e32 v2, vcc, v61, v2
	v_addc_co_u32_e32 v3, vcc, v62, v3, vcc
	v_mfma_f32_16x16x16f16 v[26:29], v[56:57], v[18:19], v[26:29]
	s_nop 3
	v_pk_mul_f32 v[38:39], s[2:3], v[22:23] op_sel_hi:[0,1]
	v_add_co_u32_e32 v56, vcc, v61, v34
	v_addc_co_u32_e32 v57, vcc, v62, v35, vcc
	v_pk_mul_f32 v[18:19], s[2:3], v[36:37] op_sel_hi:[0,1]
	v_pk_mul_f32 v[48:49], s[2:3], v[24:25] op_sel_hi:[0,1]
	v_mfma_f32_16x16x16f16 v[20:23], v[58:59], v[20:21], v[26:29]
	v_pk_mul_f32 v[44:45], s[2:3], v[32:33] op_sel_hi:[0,1]
	global_load_dwordx4 v[6:9], v[2:3], off
	s_nop 0
	global_load_dwordx4 v[2:5], v[2:3], off offset:16
	s_nop 6
	v_pk_mul_f32 v[40:41], s[2:3], v[20:21] op_sel_hi:[0,1]
	v_and_b32_e32 v20, 0xc0, v0
	v_add_u32_e32 v20, s16, v20
	v_lshl_or_b32 v20, v1, 2, v20
	v_pk_mul_f32 v[34:35], s[2:3], v[22:23] op_sel_hi:[0,1]
	v_or_b32_e32 v23, 1, v20
	v_mov_b32_e32 v21, 0xff7fffff
	v_cmp_gt_i32_e64 s[30:31], s40, v20
	v_cmp_gt_i32_e64 s[34:35], s40, v23
	v_cndmask_b32_e64 v22, v21, v18, s[30:31]
	v_cndmask_b32_e64 v23, v21, v19, s[34:35]
	v_max3_f32 v22, v22, s42, v23
	v_or_b32_e32 v23, 2, v20
	v_or_b32_e32 v24, 3, v20
	v_cmp_gt_i32_e64 s[36:37], s40, v23
	v_cmp_gt_i32_e64 s[38:39], s40, v24
	v_cndmask_b32_e64 v23, v21, v46, s[36:37]
	v_cndmask_b32_e64 v24, v21, v47, s[38:39]
	v_max3_f32 v22, v22, v23, v24
	v_or_b32_e32 v23, 16, v20
	v_or_b32_e32 v24, 17, v20
	;; [unrolled: 7-line block ×7, first 2 shown]
	v_cmp_gt_i32_e32 vcc, s40, v23
	v_cmp_gt_i32_e64 s[2:3], s40, v20
	v_cndmask_b32_e32 v23, v21, v34, vcc
	v_cndmask_b32_e64 v20, v21, v35, s[2:3]
	v_max3_f32 v26, v22, v23, v20
	v_mbcnt_lo_u32_b32 v20, -1, 0
	v_mbcnt_hi_u32_b32 v27, -1, v20
	v_and_b32_e32 v20, 64, v27
	v_add_u32_e32 v28, 64, v20
	v_xor_b32_e32 v20, 32, v27
	v_cmp_lt_i32_e64 s[40:41], v20, v28
	v_cndmask_b32_e64 v20, v27, v20, s[40:41]
	v_lshlrev_b32_e32 v58, 2, v20
	ds_bpermute_b32 v29, v58, v26
	s_waitcnt vmcnt(4)
	v_mad_i64_i32 v[20:21], s[40:41], v60, s45, 0
	global_load_dwordx4 v[30:33], v[56:57], off
	global_load_dwordx4 v[22:25], v[56:57], off offset:16
	v_lshlrev_b64 v[20:21], 1, v[20:21]
	s_waitcnt lgkmcnt(0)
	v_max_f32_e32 v29, v29, v29
	v_max_f32_e32 v26, v26, v29
	v_xor_b32_e32 v29, 16, v27
	v_cmp_lt_i32_e64 s[40:41], v29, v28
	v_cndmask_b32_e64 v27, v27, v29, s[40:41]
	v_lshlrev_b32_e32 v57, 2, v27
	ds_bpermute_b32 v27, v57, v26
	v_add_co_u32_e64 v20, s[40:41], v61, v20
	v_addc_co_u32_e64 v21, s[40:41], v62, v21, s[40:41]
	s_waitcnt lgkmcnt(0)
	v_max_f32_e32 v27, v27, v27
	v_max_f32_e32 v56, v26, v27
	v_sub_f32_e32 v18, v18, v56
	v_mul_f32_e32 v18, 0x3fb8aa3b, v18
	v_exp_f32_e32 v36, v18
	v_sub_f32_e32 v18, v19, v56
	v_mul_f32_e32 v18, 0x3fb8aa3b, v18
	v_exp_f32_e32 v37, v18
	global_load_dwordx4 v[26:29], v[20:21], off
	s_nop 0
	global_load_dwordx4 v[18:21], v[20:21], off offset:16
	v_sub_f32_e32 v46, v46, v56
	v_mul_f32_e32 v46, 0x3fb8aa3b, v46
	v_sub_f32_e32 v47, v47, v56
	v_exp_f32_e32 v46, v46
	v_mul_f32_e32 v47, 0x3fb8aa3b, v47
	v_sub_f32_e32 v38, v38, v56
	v_exp_f32_e32 v47, v47
	v_mul_f32_e32 v38, 0x3fb8aa3b, v38
	v_sub_f32_e32 v39, v39, v56
	v_cndmask_b32_e64 v36, 0, v36, s[30:31]
	v_exp_f32_e32 v38, v38
	v_mul_f32_e32 v39, 0x3fb8aa3b, v39
	v_sub_f32_e32 v48, v48, v56
	v_add_f32_e32 v59, 0, v36
	v_cndmask_b32_e64 v37, 0, v37, s[34:35]
	v_exp_f32_e32 v39, v39
	v_mul_f32_e32 v48, 0x3fb8aa3b, v48
	v_sub_f32_e32 v49, v49, v56
	v_add_f32_e32 v59, v59, v37
	;; [unrolled: 5-line block ×10, first 2 shown]
	v_cndmask_b32_e64 v44, 0, v44, s[12:13]
	v_exp_f32_e32 v34, v34
	v_mul_f32_e32 v35, 0x3fb8aa3b, v35
	v_add_f32_e32 v59, v59, v44
	v_cndmask_b32_e64 v45, 0, v45, s[14:15]
	v_exp_f32_e32 v35, v35
	v_add_f32_e32 v59, v59, v45
	v_cndmask_b32_e64 v40, 0, v40, s[8:9]
	v_add_f32_e32 v59, v59, v40
	v_cndmask_b32_e64 v41, 0, v41, s[10:11]
	v_add_f32_e32 v59, v59, v41
	v_cndmask_b32_e32 v34, 0, v34, vcc
	v_add_f32_e32 v59, v59, v34
	v_cndmask_b32_e64 v35, 0, v35, s[2:3]
	v_add_f32_e32 v59, v59, v35
	ds_bpermute_b32 v58, v58, v59
	v_cmp_gt_u32_e64 s[2:3], 16, v54
	s_waitcnt lgkmcnt(0)
	s_barrier
	v_add_f32_e32 v58, v59, v58
	ds_bpermute_b32 v59, v57, v58
	v_lshlrev_b32_e32 v57, 2, v52
	s_and_saveexec_b64 s[8:9], s[2:3]
	s_cbranch_execz .LBB48_13
; %bb.12:
	s_waitcnt lgkmcnt(0)
	v_add_f32_e32 v54, v58, v59
	v_lshl_or_b32 v58, v53, 6, v57
	ds_write2st64_b32 v58, v56, v54 offset1:1
.LBB48_13:
	s_or_b64 exec, exec, s[8:9]
	s_load_dword s10, s[4:5], 0x94
	s_waitcnt lgkmcnt(0)
	s_barrier
	ds_read2_b32 v[58:59], v57 offset1:16
	ds_read2_b32 v[60:61], v57 offset0:32 offset1:48
	ds_read2_b32 v[62:63], v57 offset0:64 offset1:80
	s_mul_i32 s11, s33, 13
	s_waitcnt lgkmcnt(2)
	v_max3_f32 v54, v58, s42, v59
	s_waitcnt lgkmcnt(1)
	v_max3_f32 v54, v54, v60, v61
	v_sub_f32_e32 v56, v58, v54
	v_mul_f32_e32 v56, 0x3fb8aa3b, v56
	v_exp_f32_e32 v64, v56
	v_sub_f32_e32 v56, v59, v54
	v_mul_f32_e32 v56, 0x3fb8aa3b, v56
	v_exp_f32_e32 v65, v56
	;; [unrolled: 3-line block ×3, first 2 shown]
	ds_read2_b32 v[58:59], v57 offset0:96 offset1:112
	v_sub_f32_e32 v56, v61, v54
	v_mul_f32_e32 v56, 0x3fb8aa3b, v56
	v_exp_f32_e32 v57, v56
	s_waitcnt lgkmcnt(1)
	v_fma_f32 v56, v64, v62, 0
	v_fmac_f32_e32 v56, v65, v63
	s_waitcnt lgkmcnt(0)
	v_fmac_f32_e32 v56, v60, v58
	v_fmac_f32_e32 v56, v57, v59
	v_add_f32_e32 v58, 0x358637bd, v56
	v_div_scale_f32 v59, s[8:9], v58, v58, 1.0
	v_rcp_f32_e32 v61, v59
	s_barrier
	v_fma_f32 v62, -v59, v61, 1.0
	v_fmac_f32_e32 v61, v62, v61
	v_div_scale_f32 v62, vcc, 1.0, v58, 1.0
	v_mul_f32_e32 v63, v62, v61
	v_fma_f32 v66, -v59, v63, v62
	v_fmac_f32_e32 v63, v66, v61
	v_fma_f32 v59, -v59, v63, v62
	v_div_fmas_f32 v59, v59, v61, v63
	v_cmp_eq_u32_e32 vcc, 1, v53
	v_div_fixup_f32 v58, v59, v58, 1.0
	v_cndmask_b32_e32 v59, v64, v65, vcc
	v_cmp_eq_u32_e32 vcc, 2, v53
	v_cndmask_b32_e32 v59, v59, v60, vcc
	v_cmp_eq_u32_e32 vcc, 3, v53
	v_cndmask_b32_e32 v57, v59, v57, vcc
	v_mul_f32_e32 v58, v57, v58
	v_pk_mul_f32 v[36:37], v[58:59], v[36:37] op_sel_hi:[0,1]
	v_cvt_f16_f32_e32 v36, v36
	v_cvt_f16_f32_e32 v37, v37
	v_pk_mul_f32 v[46:47], v[58:59], v[46:47] op_sel_hi:[0,1]
	v_cvt_f16_f32_e32 v57, v46
	v_cvt_f16_f32_e32 v47, v47
	v_pack_b32_f16 v46, v36, v37
	v_pk_mul_f32 v[36:37], v[58:59], v[48:49] op_sel_hi:[0,1]
	v_pk_mul_f32 v[38:39], v[58:59], v[38:39] op_sel_hi:[0,1]
	v_cvt_f16_f32_e32 v38, v38
	v_cvt_f16_f32_e32 v39, v39
	;; [unrolled: 1-line block ×4, first 2 shown]
	v_pack_b32_f16 v47, v57, v47
	v_lshlrev_b32_e32 v57, 3, v1
	v_lshlrev_b32_e32 v36, 11, v53
	v_or3_b32 v36, v36, v55, v57
	v_pack_b32_f16 v38, v38, v39
	v_pack_b32_f16 v39, v48, v37
	ds_write2st64_b64 v36, v[46:47], v[38:39] offset1:1
	v_pk_mul_f32 v[38:39], v[58:59], v[44:45] op_sel_hi:[0,1]
	v_pk_mul_f32 v[42:43], v[58:59], v[42:43] op_sel_hi:[0,1]
	v_cvt_f16_f32_e32 v37, v42
	v_cvt_f16_f32_e32 v42, v43
	;; [unrolled: 1-line block ×4, first 2 shown]
	v_pk_mul_f32 v[34:35], v[58:59], v[34:35] op_sel_hi:[0,1]
	v_pk_mul_f32 v[38:39], v[58:59], v[40:41] op_sel_hi:[0,1]
	v_cvt_f16_f32_e32 v38, v38
	v_cvt_f16_f32_e32 v39, v39
	;; [unrolled: 1-line block ×4, first 2 shown]
	v_pack_b32_f16 v34, v37, v42
	v_pack_b32_f16 v35, v43, v44
	;; [unrolled: 1-line block ×4, first 2 shown]
	v_cmp_gt_u32_e32 vcc, 13, v0
	ds_write2st64_b64 v36, v[34:35], v[38:39] offset0:2 offset1:3
	s_and_saveexec_b64 s[8:9], vcc
	s_cbranch_execz .LBB48_15
; %bb.14:
	v_add_co_u32_e32 v38, vcc, s29, v52
	v_addc_co_u32_e64 v39, s[16:17], 0, 0, vcc
	v_mov_b32_e32 v34, s11
	v_mov_b32_e32 v35, 0
	v_mad_u64_u32 v[38:39], s[16:17], s6, v34, v[38:39]
	v_mov_b32_e32 v34, s28
	s_load_dwordx4 s[12:15], s[4:5], 0x58
	s_mul_i32 s7, s7, s11
	v_mad_u64_u32 v[34:35], s[16:17], v38, s10, v[34:35]
	v_add_u32_e32 v37, s7, v39
	v_mov_b32_e32 v38, v35
	v_mad_u64_u32 v[38:39], s[16:17], v37, s10, v[38:39]
	v_mov_b32_e32 v35, v38
	v_lshlrev_b64 v[34:35], 2, v[34:35]
	s_waitcnt lgkmcnt(0)
	v_mov_b32_e32 v37, s15
	v_add_co_u32_e32 v38, vcc, s14, v34
	v_addc_co_u32_e32 v39, vcc, v37, v35, vcc
	v_mov_b32_e32 v37, s13
	v_add_co_u32_e32 v34, vcc, s12, v34
	v_addc_co_u32_e32 v35, vcc, v37, v35, vcc
	global_store_dword v[38:39], v54, off
	global_store_dword v[34:35], v56, off
.LBB48_15:
	s_or_b64 exec, exec, s[8:9]
	v_lshl_or_b32 v34, v1, 9, v55
	s_waitcnt lgkmcnt(0)
	s_barrier
	ds_read_b128 v[38:41], v34
	ds_read_b128 v[42:45], v34 offset:16
	s_waitcnt vmcnt(7) lgkmcnt(1)
	v_mfma_f32_16x16x16f16 v[46:49], v[14:15], v[38:39], 0
	v_cmp_gt_u32_e32 vcc, 64, v0
	s_mov_b32 s7, 0
	s_and_b64 s[0:1], vcc, s[0:1]
	v_mfma_f32_16x16x16f16 v[14:17], v[16:17], v[40:41], v[46:49]
	s_waitcnt vmcnt(6) lgkmcnt(0)
	v_mfma_f32_16x16x16f16 v[14:17], v[10:11], v[42:43], v[14:17]
	v_mfma_f32_16x16x16f16 v[10:13], v[12:13], v[44:45], v[14:17]
	s_nop 7
	s_nop 1
	ds_read_b128 v[14:17], v34 offset:2048
	ds_read_b128 v[38:41], v34 offset:2064
	s_waitcnt vmcnt(5) lgkmcnt(1)
	v_mfma_f32_16x16x16f16 v[10:13], v[6:7], v[14:15], v[10:13]
	v_mfma_f32_16x16x16f16 v[6:9], v[8:9], v[16:17], v[10:13]
	s_waitcnt vmcnt(4) lgkmcnt(0)
	v_mfma_f32_16x16x16f16 v[6:9], v[2:3], v[38:39], v[6:9]
	v_mfma_f32_16x16x16f16 v[2:5], v[4:5], v[40:41], v[6:9]
	s_nop 7
	s_nop 1
	ds_read_b128 v[6:9], v34 offset:4096
	ds_read_b128 v[10:13], v34 offset:4112
	s_waitcnt vmcnt(3) lgkmcnt(1)
	v_mfma_f32_16x16x16f16 v[2:5], v[30:31], v[6:7], v[2:5]
	v_mfma_f32_16x16x16f16 v[2:5], v[32:33], v[8:9], v[2:5]
	s_waitcnt vmcnt(2) lgkmcnt(0)
	v_mfma_f32_16x16x16f16 v[2:5], v[22:23], v[10:11], v[2:5]
	v_mfma_f32_16x16x16f16 v[2:5], v[24:25], v[12:13], v[2:5]
	ds_read_b128 v[6:9], v34 offset:6144
	ds_read_b128 v[10:13], v34 offset:6160
	s_waitcnt lgkmcnt(0)
	s_barrier
	s_waitcnt vmcnt(1)
	v_mfma_f32_16x16x16f16 v[2:5], v[26:27], v[6:7], v[2:5]
	v_mfma_f32_16x16x16f16 v[2:5], v[28:29], v[8:9], v[2:5]
	s_waitcnt vmcnt(0)
	v_mfma_f32_16x16x16f16 v[2:5], v[18:19], v[10:11], v[2:5]
	v_mfma_f32_16x16x16f16 v[2:5], v[20:21], v[12:13], v[2:5]
	s_nop 7
	s_nop 2
	v_cvt_f16_f32_e32 v2, v2
	v_cvt_f16_f32_e32 v3, v3
	;; [unrolled: 1-line block ×4, first 2 shown]
	v_pack_b32_f16 v2, v2, v3
	v_pack_b32_f16 v3, v4, v5
	ds_write_b64 v36, v[2:3]
	s_waitcnt lgkmcnt(0)
	s_barrier
	s_and_saveexec_b64 s[8:9], s[0:1]
	s_cbranch_execz .LBB48_18
; %bb.16:
	s_load_dwordx2 s[4:5], s[4:5], 0x68
	s_lshl_b32 s0, s10, 6
	s_mul_i32 s1, s11, s6
	s_mul_hi_u32 s9, s1, s0
	s_mul_i32 s8, s1, s0
	s_lshl_b64 s[8:9], s[8:9], 1
	s_waitcnt lgkmcnt(0)
	s_add_u32 s1, s4, s8
	v_lshlrev_b32_e32 v0, 10, v0
	s_addc_u32 s8, s5, s9
	s_lshl_b32 s6, s28, 6
	v_and_b32_e32 v0, 0x1800, v0
	v_lshlrev_b32_e32 v2, 5, v1
	v_and_b32_e32 v3, 16, v51
	s_lshl_b64 s[4:5], s[6:7], 1
	v_or3_b32 v0, v0, v2, v3
	s_add_u32 s1, s1, s4
	ds_read_b128 v[4:7], v0 offset:256
	s_addc_u32 s4, s8, s5
	ds_read_b128 v[8:11], v0 offset:128
	ds_read_b128 v[12:15], v0
	v_add_u32_e32 v18, s29, v1
	v_mov_b32_e32 v3, s4
	v_add_co_u32_e32 v2, vcc, s1, v50
	v_mad_u64_u32 v[16:17], s[4:5], v18, s0, 0
	v_addc_co_u32_e32 v3, vcc, 0, v3, vcc
	v_lshlrev_b64 v[16:17], 1, v[16:17]
	v_add_co_u32_e32 v16, vcc, v2, v16
	v_addc_co_u32_e32 v17, vcc, v3, v17, vcc
	s_waitcnt lgkmcnt(0)
	global_store_dwordx4 v[16:17], v[12:15], off
	s_nop 0
	v_add_u32_e32 v12, 4, v18
	v_mad_u64_u32 v[12:13], s[4:5], v12, s0, 0
	v_lshlrev_b64 v[12:13], 1, v[12:13]
	v_add_co_u32_e32 v12, vcc, v2, v12
	v_addc_co_u32_e32 v13, vcc, v3, v13, vcc
	global_store_dwordx4 v[12:13], v[8:11], off
	s_nop 0
	v_add_u32_e32 v8, 8, v18
	v_mad_u64_u32 v[8:9], s[4:5], v8, s0, 0
	v_lshlrev_b64 v[8:9], 1, v[8:9]
	v_add_co_u32_e32 v8, vcc, v2, v8
	v_addc_co_u32_e32 v9, vcc, v3, v9, vcc
	global_store_dwordx4 v[8:9], v[4:7], off
	s_and_b64 exec, exec, s[2:3]
	s_cbranch_execz .LBB48_18
; %bb.17:
	ds_read_b128 v[4:7], v0 offset:384
	v_add3_u32 v0, s29, v1, 12
	v_mad_u64_u32 v[0:1], s[0:1], v0, s0, 0
	v_lshlrev_b64 v[0:1], 1, v[0:1]
	v_add_co_u32_e32 v0, vcc, v2, v0
	v_addc_co_u32_e32 v1, vcc, v3, v1, vcc
	s_waitcnt lgkmcnt(0)
	global_store_dwordx4 v[0:1], v[4:7], off
.LBB48_18:
	s_endpgm
	.section	.rodata,"a",@progbits
	.p2align	6, 0x0
	.amdhsa_kernel _Z39paged_attention_ll4mi_QKV_mfma16_kernelIDF16_DF16_LN4vllm18Fp8KVCacheDataTypeE0EDF16_Li16ELi64ELi256ELb0ELi13EL8MFMAType0EEvPKT_PKT0_S8_ifPKiSA_SA_iPKfiiiPfSD_PS3_PT2_iSC_SC_
		.amdhsa_group_segment_fixed_size 8192
		.amdhsa_private_segment_fixed_size 0
		.amdhsa_kernarg_size 400
		.amdhsa_user_sgpr_count 6
		.amdhsa_user_sgpr_private_segment_buffer 1
		.amdhsa_user_sgpr_dispatch_ptr 0
		.amdhsa_user_sgpr_queue_ptr 0
		.amdhsa_user_sgpr_kernarg_segment_ptr 1
		.amdhsa_user_sgpr_dispatch_id 0
		.amdhsa_user_sgpr_flat_scratch_init 0
		.amdhsa_user_sgpr_kernarg_preload_length 0
		.amdhsa_user_sgpr_kernarg_preload_offset 0
		.amdhsa_user_sgpr_private_segment_size 0
		.amdhsa_uses_dynamic_stack 0
		.amdhsa_system_sgpr_private_segment_wavefront_offset 0
		.amdhsa_system_sgpr_workgroup_id_x 1
		.amdhsa_system_sgpr_workgroup_id_y 1
		.amdhsa_system_sgpr_workgroup_id_z 1
		.amdhsa_system_sgpr_workgroup_info 0
		.amdhsa_system_vgpr_workitem_id 0
		.amdhsa_next_free_vgpr 67
		.amdhsa_next_free_sgpr 48
		.amdhsa_accum_offset 68
		.amdhsa_reserve_vcc 1
		.amdhsa_reserve_flat_scratch 0
		.amdhsa_float_round_mode_32 0
		.amdhsa_float_round_mode_16_64 0
		.amdhsa_float_denorm_mode_32 3
		.amdhsa_float_denorm_mode_16_64 3
		.amdhsa_dx10_clamp 1
		.amdhsa_ieee_mode 1
		.amdhsa_fp16_overflow 0
		.amdhsa_tg_split 0
		.amdhsa_exception_fp_ieee_invalid_op 0
		.amdhsa_exception_fp_denorm_src 0
		.amdhsa_exception_fp_ieee_div_zero 0
		.amdhsa_exception_fp_ieee_overflow 0
		.amdhsa_exception_fp_ieee_underflow 0
		.amdhsa_exception_fp_ieee_inexact 0
		.amdhsa_exception_int_div_zero 0
	.end_amdhsa_kernel
	.section	.text._Z39paged_attention_ll4mi_QKV_mfma16_kernelIDF16_DF16_LN4vllm18Fp8KVCacheDataTypeE0EDF16_Li16ELi64ELi256ELb0ELi13EL8MFMAType0EEvPKT_PKT0_S8_ifPKiSA_SA_iPKfiiiPfSD_PS3_PT2_iSC_SC_,"axG",@progbits,_Z39paged_attention_ll4mi_QKV_mfma16_kernelIDF16_DF16_LN4vllm18Fp8KVCacheDataTypeE0EDF16_Li16ELi64ELi256ELb0ELi13EL8MFMAType0EEvPKT_PKT0_S8_ifPKiSA_SA_iPKfiiiPfSD_PS3_PT2_iSC_SC_,comdat
.Lfunc_end48:
	.size	_Z39paged_attention_ll4mi_QKV_mfma16_kernelIDF16_DF16_LN4vllm18Fp8KVCacheDataTypeE0EDF16_Li16ELi64ELi256ELb0ELi13EL8MFMAType0EEvPKT_PKT0_S8_ifPKiSA_SA_iPKfiiiPfSD_PS3_PT2_iSC_SC_, .Lfunc_end48-_Z39paged_attention_ll4mi_QKV_mfma16_kernelIDF16_DF16_LN4vllm18Fp8KVCacheDataTypeE0EDF16_Li16ELi64ELi256ELb0ELi13EL8MFMAType0EEvPKT_PKT0_S8_ifPKiSA_SA_iPKfiiiPfSD_PS3_PT2_iSC_SC_
                                        ; -- End function
	.section	.AMDGPU.csdata,"",@progbits
; Kernel info:
; codeLenInByte = 4040
; NumSgprs: 52
; NumVgprs: 67
; NumAgprs: 0
; TotalNumVgprs: 67
; ScratchSize: 0
; MemoryBound: 0
; FloatMode: 240
; IeeeMode: 1
; LDSByteSize: 8192 bytes/workgroup (compile time only)
; SGPRBlocks: 6
; VGPRBlocks: 8
; NumSGPRsForWavesPerEU: 52
; NumVGPRsForWavesPerEU: 67
; AccumOffset: 68
; Occupancy: 7
; WaveLimiterHint : 1
; COMPUTE_PGM_RSRC2:SCRATCH_EN: 0
; COMPUTE_PGM_RSRC2:USER_SGPR: 6
; COMPUTE_PGM_RSRC2:TRAP_HANDLER: 0
; COMPUTE_PGM_RSRC2:TGID_X_EN: 1
; COMPUTE_PGM_RSRC2:TGID_Y_EN: 1
; COMPUTE_PGM_RSRC2:TGID_Z_EN: 1
; COMPUTE_PGM_RSRC2:TIDIG_COMP_CNT: 0
; COMPUTE_PGM_RSRC3_GFX90A:ACCUM_OFFSET: 16
; COMPUTE_PGM_RSRC3_GFX90A:TG_SPLIT: 0
	.section	.text._Z39paged_attention_ll4mi_QKV_mfma16_kernelIDF16_DF16_LN4vllm18Fp8KVCacheDataTypeE0EDF16_Li16ELi64ELi256ELb0ELi14EL8MFMAType0EEvPKT_PKT0_S8_ifPKiSA_SA_iPKfiiiPfSD_PS3_PT2_iSC_SC_,"axG",@progbits,_Z39paged_attention_ll4mi_QKV_mfma16_kernelIDF16_DF16_LN4vllm18Fp8KVCacheDataTypeE0EDF16_Li16ELi64ELi256ELb0ELi14EL8MFMAType0EEvPKT_PKT0_S8_ifPKiSA_SA_iPKfiiiPfSD_PS3_PT2_iSC_SC_,comdat
	.protected	_Z39paged_attention_ll4mi_QKV_mfma16_kernelIDF16_DF16_LN4vllm18Fp8KVCacheDataTypeE0EDF16_Li16ELi64ELi256ELb0ELi14EL8MFMAType0EEvPKT_PKT0_S8_ifPKiSA_SA_iPKfiiiPfSD_PS3_PT2_iSC_SC_ ; -- Begin function _Z39paged_attention_ll4mi_QKV_mfma16_kernelIDF16_DF16_LN4vllm18Fp8KVCacheDataTypeE0EDF16_Li16ELi64ELi256ELb0ELi14EL8MFMAType0EEvPKT_PKT0_S8_ifPKiSA_SA_iPKfiiiPfSD_PS3_PT2_iSC_SC_
	.globl	_Z39paged_attention_ll4mi_QKV_mfma16_kernelIDF16_DF16_LN4vllm18Fp8KVCacheDataTypeE0EDF16_Li16ELi64ELi256ELb0ELi14EL8MFMAType0EEvPKT_PKT0_S8_ifPKiSA_SA_iPKfiiiPfSD_PS3_PT2_iSC_SC_
	.p2align	8
	.type	_Z39paged_attention_ll4mi_QKV_mfma16_kernelIDF16_DF16_LN4vllm18Fp8KVCacheDataTypeE0EDF16_Li16ELi64ELi256ELb0ELi14EL8MFMAType0EEvPKT_PKT0_S8_ifPKiSA_SA_iPKfiiiPfSD_PS3_PT2_iSC_SC_,@function
_Z39paged_attention_ll4mi_QKV_mfma16_kernelIDF16_DF16_LN4vllm18Fp8KVCacheDataTypeE0EDF16_Li16ELi64ELi256ELb0ELi14EL8MFMAType0EEvPKT_PKT0_S8_ifPKiSA_SA_iPKfiiiPfSD_PS3_PT2_iSC_SC_: ; @_Z39paged_attention_ll4mi_QKV_mfma16_kernelIDF16_DF16_LN4vllm18Fp8KVCacheDataTypeE0EDF16_Li16ELi64ELi256ELb0ELi14EL8MFMAType0EEvPKT_PKT0_S8_ifPKiSA_SA_iPKfiiiPfSD_PS3_PT2_iSC_SC_
; %bb.0:
	s_load_dwordx2 s[0:1], s[4:5], 0x30
	s_mov_b32 s28, s7
	s_mov_b64 s[10:11], 0
	s_waitcnt lgkmcnt(0)
	s_cmp_lg_u64 s[0:1], 0
	s_cselect_b64 s[2:3], -1, 0
	s_and_b64 vcc, exec, s[2:3]
	s_cbranch_vccz .LBB49_7
; %bb.1:
	s_add_i32 s12, s6, 1
	s_mov_b32 s13, 0
	s_lshl_b64 s[14:15], s[12:13], 2
	s_add_u32 s14, s0, s14
	s_mov_b32 s7, s13
	s_addc_u32 s15, s1, s15
	s_lshl_b64 s[12:13], s[6:7], 2
	s_add_u32 s12, s0, s12
	s_addc_u32 s13, s1, s13
	s_load_dword s9, s[14:15], 0x0
	s_load_dword s16, s[12:13], 0x0
	s_waitcnt lgkmcnt(0)
	s_sub_i32 s9, s9, s16
	s_cmp_eq_u32 s9, 1
	s_cselect_b64 s[12:13], -1, 0
	s_andn2_b64 vcc, exec, s[10:11]
	s_cbranch_vccnz .LBB49_3
.LBB49_2:
	s_mov_b32 s7, 0
	s_mov_b64 s[12:13], -1
.LBB49_3:
	s_andn2_b64 vcc, exec, s[12:13]
	s_cbranch_vccnz .LBB49_18
; %bb.4:
	s_load_dwordx2 s[12:13], s[4:5], 0x28
	s_lshl_b64 s[10:11], s[6:7], 2
	s_waitcnt lgkmcnt(0)
	s_add_u32 s12, s12, s10
	s_addc_u32 s13, s13, s11
	s_load_dword s40, s[12:13], 0x0
	s_lshl_b32 s16, s28, 8
	s_waitcnt lgkmcnt(0)
	s_cmp_ge_i32 s16, s40
	s_cbranch_scc1 .LBB49_18
; %bb.5:
	s_add_i32 s14, s40, 15
	s_load_dwordx2 s[12:13], s[4:5], 0x20
	s_load_dword s9, s[4:5], 0x38
	s_ashr_i32 s15, s14, 31
	v_and_b32_e32 v1, 0xcf, v0
	s_lshr_b32 s15, s15, 28
	v_add_u32_e32 v1, s16, v1
	s_add_i32 s14, s14, s15
	v_ashrrev_i32_e32 v2, 31, v1
	s_ashr_i32 s19, s14, 4
	v_lshrrev_b32_e32 v10, 28, v2
	s_add_i32 s19, s19, -1
	v_add_u32_e32 v2, v1, v10
	s_waitcnt lgkmcnt(0)
	s_mul_i32 s14, s6, s9
	s_mov_b32 s15, 0
	v_ashrrev_i32_e32 v2, 4, v2
	v_mov_b32_e32 v11, s19
	v_cmp_gt_i32_e32 vcc, s40, v1
	s_lshl_b64 s[14:15], s[14:15], 2
	v_cndmask_b32_e32 v2, v11, v2, vcc
	s_add_u32 s17, s12, s14
	v_ashrrev_i32_e32 v3, 31, v2
	s_addc_u32 s18, s13, s15
	v_lshlrev_b64 v[2:3], 2, v[2:3]
	v_mov_b32_e32 v5, s18
	v_add_co_u32_e32 v4, vcc, s17, v2
	v_or_b32_e32 v2, 16, v1
	v_addc_co_u32_e32 v5, vcc, v5, v3, vcc
	v_add_u32_e32 v3, v2, v10
	v_ashrrev_i32_e32 v3, 4, v3
	v_cmp_gt_i32_e32 vcc, s40, v2
	v_cndmask_b32_e32 v2, v11, v3, vcc
	v_ashrrev_i32_e32 v3, 31, v2
	v_lshlrev_b64 v[2:3], 2, v[2:3]
	v_mov_b32_e32 v7, s18
	v_add_co_u32_e32 v6, vcc, s17, v2
	v_or_b32_e32 v2, 32, v1
	v_addc_co_u32_e32 v7, vcc, v7, v3, vcc
	v_add_u32_e32 v3, v2, v10
	v_ashrrev_i32_e32 v3, 4, v3
	v_cmp_gt_i32_e32 vcc, s40, v2
	v_cndmask_b32_e32 v2, v11, v3, vcc
	v_ashrrev_i32_e32 v3, 31, v2
	;; [unrolled: 10-line block ×3, first 2 shown]
	v_lshlrev_b64 v[2:3], 2, v[2:3]
	v_mov_b32_e32 v1, s18
	v_add_co_u32_e32 v10, vcc, s17, v2
	v_addc_co_u32_e32 v11, vcc, v1, v3, vcc
	global_load_dword v3, v[4:5], off
	global_load_dword v2, v[6:7], off
	global_load_dword v18, v[8:9], off
	global_load_dword v28, v[10:11], off
	s_load_dwordx4 s[12:15], s[4:5], 0x8
	s_andn2_b64 vcc, exec, s[2:3]
	s_cbranch_vccnz .LBB49_8
; %bb.6:
	s_add_u32 s0, s0, s10
	s_addc_u32 s1, s1, s11
	s_load_dword s9, s[0:1], 0x0
	s_branch .LBB49_9
.LBB49_7:
	s_mov_b64 s[12:13], 0
	s_branch .LBB49_2
.LBB49_8:
	s_mov_b32 s9, s6
.LBB49_9:
	s_load_dwordx4 s[44:47], s[4:5], 0x48
	v_lshrrev_b32_e32 v53, 6, v0
	v_bfe_u32 v1, v0, 4, 2
	v_lshl_or_b32 v4, v53, 2, v1
	v_and_b32_e32 v52, 15, v0
	v_lshlrev_b32_e32 v5, 3, v52
	v_cmp_gt_u32_e32 vcc, 14, v4
	v_cmp_gt_u32_e64 s[0:1], 8, v52
	v_and_b32_e32 v54, 63, v0
	s_mul_i32 s29, s8, 14
	s_and_b64 s[10:11], s[0:1], vcc
	v_lshlrev_b32_e32 v50, 1, v5
	s_and_saveexec_b64 s[2:3], s[10:11]
	s_cbranch_execz .LBB49_11
; %bb.10:
	s_load_dwordx2 s[10:11], s[4:5], 0x0
	s_waitcnt lgkmcnt(0)
	s_ashr_i32 s20, s44, 31
	s_mul_hi_u32 s21, s9, s44
	s_mul_i32 s20, s9, s20
	s_add_i32 s21, s21, s20
	s_mul_i32 s20, s9, s44
	s_lshl_b64 s[20:21], s[20:21], 1
	v_add_lshl_u32 v6, v4, s29, 6
	s_add_u32 s9, s10, s20
	v_ashrrev_i32_e32 v7, 31, v6
	s_addc_u32 s10, s11, s21
	v_lshlrev_b64 v[6:7], 1, v[6:7]
	v_mov_b32_e32 v5, s10
	v_add_co_u32_e32 v6, vcc, s9, v6
	v_addc_co_u32_e32 v5, vcc, v5, v7, vcc
	v_add_co_u32_e32 v6, vcc, v6, v50
	v_addc_co_u32_e32 v7, vcc, 0, v5, vcc
	global_load_dwordx4 v[6:9], v[6:7], off
	v_and_b32_e32 v5, 3, v0
	v_lshlrev_b32_e32 v10, 9, v52
	v_lshlrev_b32_e32 v4, 5, v4
	v_lshlrev_b32_e32 v5, 9, v5
	v_and_b32_e32 v10, 0x1800, v10
	v_or3_b32 v4, v10, v5, v4
	s_waitcnt vmcnt(0)
	ds_write_b128 v4, v[6:9]
.LBB49_11:
	s_or_b64 exec, exec, s[2:3]
	s_waitcnt lgkmcnt(0)
	s_mul_i32 s8, s8, s46
	s_mov_b32 s9, 0
	s_lshl_b64 s[8:9], s[8:9], 1
	s_add_u32 s3, s12, s8
	v_lshlrev_b32_e32 v51, 4, v0
	s_addc_u32 s10, s13, s9
	v_and_b32_e32 v4, 0xf0, v51
	v_mov_b32_e32 v5, s10
	v_add_co_u32_e32 v29, vcc, s3, v4
	v_addc_co_u32_e32 v30, vcc, 0, v5, vcc
	s_waitcnt vmcnt(3)
	v_mad_i64_i32 v[4:5], s[10:11], v3, s45, 0
	v_lshlrev_b64 v[4:5], 1, v[4:5]
	v_add_co_u32_e32 v3, vcc, v29, v4
	v_addc_co_u32_e32 v5, vcc, v30, v5, vcc
	v_and_b32_e32 v31, 0x300, v51
	v_add_co_u32_e32 v4, vcc, v3, v31
	v_addc_co_u32_e32 v5, vcc, 0, v5, vcc
	s_load_dword s33, s[4:5], 0x98
	s_load_dword s2, s[4:5], 0x1c
	s_waitcnt lgkmcnt(0)
	s_barrier
	global_load_dwordx4 v[6:9], v[4:5], off
	s_waitcnt vmcnt(3)
	v_mad_i64_i32 v[2:3], s[10:11], v2, s45, 0
	v_lshlrev_b64 v[2:3], 1, v[2:3]
	v_add_co_u32_e32 v2, vcc, v29, v2
	v_addc_co_u32_e32 v3, vcc, v30, v3, vcc
	v_add_co_u32_e32 v2, vcc, v2, v31
	v_addc_co_u32_e32 v3, vcc, 0, v3, vcc
	global_load_dwordx4 v[22:25], v[2:3], off
	global_load_dwordx4 v[10:13], v[4:5], off offset:1024
	global_load_dwordx4 v[14:17], v[2:3], off offset:1024
	v_add_u32_e32 v2, -14, v52
	v_cmp_gt_u32_e32 vcc, 14, v52
	v_cndmask_b32_e32 v2, v2, v52, vcc
	v_lshlrev_b32_e32 v2, 5, v2
	v_lshl_add_u32 v20, v1, 9, v2
	ds_read_b128 v[2:5], v20
	s_waitcnt vmcnt(5)
	v_mad_i64_i32 v[18:19], s[10:11], v18, s45, 0
	v_lshlrev_b64 v[26:27], 1, v[18:19]
	ds_read_b128 v[18:21], v20 offset:2048
	v_and_or_b32 v55, v0, 48, s16
	v_mov_b32_e32 v60, s19
	v_mov_b32_e32 v49, s18
	v_or_b32_e32 v57, 0x80, v55
	v_mov_b32_e32 v56, s18
	v_mov_b32_e32 v61, s18
	s_add_u32 s3, s14, s8
	s_addc_u32 s8, s15, s9
	s_mov_b32 s42, 0xff7fffff
	s_waitcnt vmcnt(2) lgkmcnt(1)
	v_mfma_f32_16x16x16f16 v[36:39], v[22:23], v[2:3], 0
	v_mad_i64_i32 v[22:23], s[10:11], v28, s45, 0
	v_lshlrev_b64 v[44:45], 1, v[22:23]
	v_ashrrev_i32_e32 v22, 4, v55
	v_or_b32_e32 v28, 64, v55
	v_mfma_f32_16x16x16f16 v[32:35], v[6:7], v[2:3], 0
	v_add_co_u32_e32 v6, vcc, v29, v26
	v_addc_co_u32_e32 v7, vcc, v30, v27, vcc
	v_add_co_u32_e32 v26, vcc, v6, v31
	v_addc_co_u32_e32 v27, vcc, 0, v7, vcc
	global_load_dwordx4 v[40:43], v[26:27], off
	v_mfma_f32_16x16x16f16 v[6:9], v[8:9], v[4:5], v[32:35]
	v_cmp_gt_i32_e32 vcc, s40, v55
	v_cndmask_b32_e32 v46, v60, v22, vcc
	v_cmp_gt_i32_e32 vcc, s40, v28
	v_ashrrev_i32_e32 v47, 31, v46
	s_nop 2
	global_load_dwordx4 v[32:35], v[26:27], off offset:1024
	v_mfma_f32_16x16x16f16 v[22:25], v[24:25], v[4:5], v[36:39]
	s_nop 6
	v_ashrrev_i32_e32 v36, 4, v28
	v_cndmask_b32_e32 v48, v60, v36, vcc
	s_waitcnt vmcnt(3) lgkmcnt(0)
	v_mfma_f32_16x16x16f16 v[6:9], v[10:11], v[18:19], v[6:9]
	v_add_co_u32_e32 v10, vcc, v29, v44
	v_addc_co_u32_e32 v11, vcc, v30, v45, vcc
	v_add_co_u32_e32 v10, vcc, v10, v31
	v_addc_co_u32_e32 v11, vcc, 0, v11, vcc
	v_lshlrev_b64 v[36:37], 2, v[46:47]
	global_load_dwordx4 v[26:29], v[10:11], off
	s_waitcnt vmcnt(3)
	v_mfma_f32_16x16x16f16 v[22:25], v[14:15], v[18:19], v[22:25]
	v_add_co_u32_e32 v14, vcc, s17, v36
	v_addc_co_u32_e32 v15, vcc, v49, v37, vcc
	global_load_dword v44, v[14:15], off
	v_ashrrev_i32_e32 v38, 4, v57
	v_cmp_gt_i32_e32 vcc, s40, v57
	v_ashrrev_i32_e32 v49, 31, v48
	v_cndmask_b32_e32 v14, v60, v38, vcc
	v_mfma_f32_16x16x16f16 v[36:39], v[12:13], v[20:21], v[6:9]
	v_ashrrev_i32_e32 v15, 31, v14
	v_mov_b32_e32 v12, s18
	s_nop 4
	v_lshlrev_b64 v[6:7], 2, v[48:49]
	v_add_co_u32_e32 v6, vcc, s17, v6
	v_addc_co_u32_e32 v7, vcc, v56, v7, vcc
	global_load_dwordx4 v[56:59], v[10:11], off offset:1024
	global_load_dword v45, v[6:7], off
	v_lshlrev_b64 v[6:7], 2, v[14:15]
	v_add_co_u32_e32 v10, vcc, s17, v6
	v_addc_co_u32_e32 v11, vcc, v61, v7, vcc
	s_waitcnt vmcnt(5)
	v_mfma_f32_16x16x16f16 v[6:9], v[40:41], v[2:3], 0
	global_load_dword v40, v[10:11], off
	v_or_b32_e32 v10, 0xc0, v55
	v_ashrrev_i32_e32 v11, 4, v10
	v_cmp_gt_i32_e32 vcc, s40, v10
	v_cndmask_b32_e32 v10, v60, v11, vcc
	v_ashrrev_i32_e32 v11, 31, v10
	v_lshlrev_b64 v[10:11], 2, v[10:11]
	v_mfma_f32_16x16x16f16 v[6:9], v[42:43], v[4:5], v[6:9]
	v_add_co_u32_e32 v10, vcc, s17, v10
	v_addc_co_u32_e32 v11, vcc, v12, v11, vcc
	global_load_dword v60, v[10:11], off
	v_lshlrev_b32_e32 v55, 5, v52
	v_lshl_or_b32 v10, v53, 9, v55
	s_waitcnt vmcnt(6)
	v_mfma_f32_16x16x16f16 v[6:9], v[32:33], v[18:19], v[6:9]
	v_mov_b32_e32 v11, s8
	v_add_co_u32_e32 v61, vcc, s3, v10
	v_addc_co_u32_e32 v62, vcc, 0, v11, vcc
	v_pk_mul_f32 v[46:47], s[2:3], v[38:39] op_sel_hi:[0,1]
	v_mfma_f32_16x16x16f16 v[30:33], v[34:35], v[20:21], v[6:9]
	s_waitcnt vmcnt(1)
	v_mad_i64_i32 v[34:35], s[8:9], v40, s45, 0
	s_nop 4
	v_mad_i64_i32 v[6:7], s[8:9], v44, s45, 0
	v_lshlrev_b64 v[10:11], 1, v[6:7]
	v_mfma_f32_16x16x16f16 v[6:9], v[26:27], v[2:3], 0
	v_add_co_u32_e32 v2, vcc, v61, v10
	v_addc_co_u32_e32 v3, vcc, v62, v11, vcc
	v_lshlrev_b64 v[34:35], 1, v[34:35]
	v_pk_mul_f32 v[42:43], s[2:3], v[30:31] op_sel_hi:[0,1]
	v_mfma_f32_16x16x16f16 v[26:29], v[28:29], v[4:5], v[6:9]
	v_mfma_f32_16x16x16f16 v[22:25], v[16:17], v[20:21], v[22:25]
	global_load_dwordx4 v[14:17], v[2:3], off
	global_load_dwordx4 v[10:13], v[2:3], off offset:16
	v_mad_i64_i32 v[2:3], s[8:9], v45, s45, 0
	v_lshlrev_b64 v[2:3], 1, v[2:3]
	v_add_co_u32_e32 v2, vcc, v61, v2
	v_addc_co_u32_e32 v3, vcc, v62, v3, vcc
	v_mfma_f32_16x16x16f16 v[26:29], v[56:57], v[18:19], v[26:29]
	s_nop 3
	v_pk_mul_f32 v[38:39], s[2:3], v[22:23] op_sel_hi:[0,1]
	v_add_co_u32_e32 v56, vcc, v61, v34
	v_addc_co_u32_e32 v57, vcc, v62, v35, vcc
	v_pk_mul_f32 v[18:19], s[2:3], v[36:37] op_sel_hi:[0,1]
	v_pk_mul_f32 v[48:49], s[2:3], v[24:25] op_sel_hi:[0,1]
	v_mfma_f32_16x16x16f16 v[20:23], v[58:59], v[20:21], v[26:29]
	v_pk_mul_f32 v[44:45], s[2:3], v[32:33] op_sel_hi:[0,1]
	global_load_dwordx4 v[6:9], v[2:3], off
	s_nop 0
	global_load_dwordx4 v[2:5], v[2:3], off offset:16
	s_nop 6
	v_pk_mul_f32 v[40:41], s[2:3], v[20:21] op_sel_hi:[0,1]
	v_and_b32_e32 v20, 0xc0, v0
	v_add_u32_e32 v20, s16, v20
	v_lshl_or_b32 v20, v1, 2, v20
	v_pk_mul_f32 v[34:35], s[2:3], v[22:23] op_sel_hi:[0,1]
	v_or_b32_e32 v23, 1, v20
	v_mov_b32_e32 v21, 0xff7fffff
	v_cmp_gt_i32_e64 s[30:31], s40, v20
	v_cmp_gt_i32_e64 s[34:35], s40, v23
	v_cndmask_b32_e64 v22, v21, v18, s[30:31]
	v_cndmask_b32_e64 v23, v21, v19, s[34:35]
	v_max3_f32 v22, v22, s42, v23
	v_or_b32_e32 v23, 2, v20
	v_or_b32_e32 v24, 3, v20
	v_cmp_gt_i32_e64 s[36:37], s40, v23
	v_cmp_gt_i32_e64 s[38:39], s40, v24
	v_cndmask_b32_e64 v23, v21, v46, s[36:37]
	v_cndmask_b32_e64 v24, v21, v47, s[38:39]
	v_max3_f32 v22, v22, v23, v24
	v_or_b32_e32 v23, 16, v20
	v_or_b32_e32 v24, 17, v20
	;; [unrolled: 7-line block ×7, first 2 shown]
	v_cmp_gt_i32_e32 vcc, s40, v23
	v_cmp_gt_i32_e64 s[2:3], s40, v20
	v_cndmask_b32_e32 v23, v21, v34, vcc
	v_cndmask_b32_e64 v20, v21, v35, s[2:3]
	v_max3_f32 v26, v22, v23, v20
	v_mbcnt_lo_u32_b32 v20, -1, 0
	v_mbcnt_hi_u32_b32 v27, -1, v20
	v_and_b32_e32 v20, 64, v27
	v_add_u32_e32 v28, 64, v20
	v_xor_b32_e32 v20, 32, v27
	v_cmp_lt_i32_e64 s[40:41], v20, v28
	v_cndmask_b32_e64 v20, v27, v20, s[40:41]
	v_lshlrev_b32_e32 v58, 2, v20
	ds_bpermute_b32 v29, v58, v26
	s_waitcnt vmcnt(4)
	v_mad_i64_i32 v[20:21], s[40:41], v60, s45, 0
	global_load_dwordx4 v[30:33], v[56:57], off
	global_load_dwordx4 v[22:25], v[56:57], off offset:16
	v_lshlrev_b64 v[20:21], 1, v[20:21]
	s_waitcnt lgkmcnt(0)
	v_max_f32_e32 v29, v29, v29
	v_max_f32_e32 v26, v26, v29
	v_xor_b32_e32 v29, 16, v27
	v_cmp_lt_i32_e64 s[40:41], v29, v28
	v_cndmask_b32_e64 v27, v27, v29, s[40:41]
	v_lshlrev_b32_e32 v57, 2, v27
	ds_bpermute_b32 v27, v57, v26
	v_add_co_u32_e64 v20, s[40:41], v61, v20
	v_addc_co_u32_e64 v21, s[40:41], v62, v21, s[40:41]
	s_waitcnt lgkmcnt(0)
	v_max_f32_e32 v27, v27, v27
	v_max_f32_e32 v56, v26, v27
	v_sub_f32_e32 v18, v18, v56
	v_mul_f32_e32 v18, 0x3fb8aa3b, v18
	v_exp_f32_e32 v36, v18
	v_sub_f32_e32 v18, v19, v56
	v_mul_f32_e32 v18, 0x3fb8aa3b, v18
	v_exp_f32_e32 v37, v18
	global_load_dwordx4 v[26:29], v[20:21], off
	s_nop 0
	global_load_dwordx4 v[18:21], v[20:21], off offset:16
	v_sub_f32_e32 v46, v46, v56
	v_mul_f32_e32 v46, 0x3fb8aa3b, v46
	v_sub_f32_e32 v47, v47, v56
	v_exp_f32_e32 v46, v46
	v_mul_f32_e32 v47, 0x3fb8aa3b, v47
	v_sub_f32_e32 v38, v38, v56
	v_exp_f32_e32 v47, v47
	v_mul_f32_e32 v38, 0x3fb8aa3b, v38
	v_sub_f32_e32 v39, v39, v56
	v_cndmask_b32_e64 v36, 0, v36, s[30:31]
	v_exp_f32_e32 v38, v38
	v_mul_f32_e32 v39, 0x3fb8aa3b, v39
	v_sub_f32_e32 v48, v48, v56
	v_add_f32_e32 v59, 0, v36
	v_cndmask_b32_e64 v37, 0, v37, s[34:35]
	v_exp_f32_e32 v39, v39
	v_mul_f32_e32 v48, 0x3fb8aa3b, v48
	v_sub_f32_e32 v49, v49, v56
	v_add_f32_e32 v59, v59, v37
	;; [unrolled: 5-line block ×10, first 2 shown]
	v_cndmask_b32_e64 v44, 0, v44, s[12:13]
	v_exp_f32_e32 v34, v34
	v_mul_f32_e32 v35, 0x3fb8aa3b, v35
	v_add_f32_e32 v59, v59, v44
	v_cndmask_b32_e64 v45, 0, v45, s[14:15]
	v_exp_f32_e32 v35, v35
	v_add_f32_e32 v59, v59, v45
	v_cndmask_b32_e64 v40, 0, v40, s[8:9]
	v_add_f32_e32 v59, v59, v40
	v_cndmask_b32_e64 v41, 0, v41, s[10:11]
	v_add_f32_e32 v59, v59, v41
	v_cndmask_b32_e32 v34, 0, v34, vcc
	v_add_f32_e32 v59, v59, v34
	v_cndmask_b32_e64 v35, 0, v35, s[2:3]
	v_add_f32_e32 v59, v59, v35
	ds_bpermute_b32 v58, v58, v59
	v_cmp_gt_u32_e32 vcc, 16, v54
	s_waitcnt lgkmcnt(0)
	s_barrier
	v_add_f32_e32 v58, v59, v58
	ds_bpermute_b32 v59, v57, v58
	v_lshlrev_b32_e32 v57, 2, v52
	s_and_saveexec_b64 s[2:3], vcc
	s_cbranch_execz .LBB49_13
; %bb.12:
	s_waitcnt lgkmcnt(0)
	v_add_f32_e32 v54, v58, v59
	v_lshl_or_b32 v58, v53, 6, v57
	ds_write2st64_b32 v58, v56, v54 offset1:1
.LBB49_13:
	s_or_b64 exec, exec, s[2:3]
	s_load_dword s8, s[4:5], 0x94
	s_waitcnt lgkmcnt(0)
	s_barrier
	ds_read2_b32 v[58:59], v57 offset1:16
	ds_read2_b32 v[60:61], v57 offset0:32 offset1:48
	ds_read2_b32 v[62:63], v57 offset0:64 offset1:80
	s_mul_i32 s9, s33, 14
	s_waitcnt lgkmcnt(2)
	v_max3_f32 v54, v58, s42, v59
	s_waitcnt lgkmcnt(1)
	v_max3_f32 v54, v54, v60, v61
	v_sub_f32_e32 v56, v58, v54
	v_mul_f32_e32 v56, 0x3fb8aa3b, v56
	v_exp_f32_e32 v64, v56
	v_sub_f32_e32 v56, v59, v54
	v_mul_f32_e32 v56, 0x3fb8aa3b, v56
	v_exp_f32_e32 v65, v56
	;; [unrolled: 3-line block ×3, first 2 shown]
	ds_read2_b32 v[58:59], v57 offset0:96 offset1:112
	v_sub_f32_e32 v56, v61, v54
	v_mul_f32_e32 v56, 0x3fb8aa3b, v56
	v_exp_f32_e32 v57, v56
	s_waitcnt lgkmcnt(1)
	v_fma_f32 v56, v64, v62, 0
	v_fmac_f32_e32 v56, v65, v63
	s_waitcnt lgkmcnt(0)
	v_fmac_f32_e32 v56, v60, v58
	v_fmac_f32_e32 v56, v57, v59
	v_add_f32_e32 v58, 0x358637bd, v56
	v_div_scale_f32 v59, s[2:3], v58, v58, 1.0
	v_rcp_f32_e32 v61, v59
	s_barrier
	v_fma_f32 v62, -v59, v61, 1.0
	v_fmac_f32_e32 v61, v62, v61
	v_div_scale_f32 v62, vcc, 1.0, v58, 1.0
	v_mul_f32_e32 v63, v62, v61
	v_fma_f32 v66, -v59, v63, v62
	v_fmac_f32_e32 v63, v66, v61
	v_fma_f32 v59, -v59, v63, v62
	v_div_fmas_f32 v59, v59, v61, v63
	v_cmp_eq_u32_e32 vcc, 1, v53
	v_div_fixup_f32 v58, v59, v58, 1.0
	v_cndmask_b32_e32 v59, v64, v65, vcc
	v_cmp_eq_u32_e32 vcc, 2, v53
	v_cndmask_b32_e32 v59, v59, v60, vcc
	v_cmp_eq_u32_e32 vcc, 3, v53
	v_cndmask_b32_e32 v57, v59, v57, vcc
	v_mul_f32_e32 v58, v57, v58
	v_pk_mul_f32 v[36:37], v[58:59], v[36:37] op_sel_hi:[0,1]
	v_cvt_f16_f32_e32 v36, v36
	v_cvt_f16_f32_e32 v37, v37
	v_pk_mul_f32 v[46:47], v[58:59], v[46:47] op_sel_hi:[0,1]
	v_cvt_f16_f32_e32 v57, v46
	v_cvt_f16_f32_e32 v47, v47
	v_pack_b32_f16 v46, v36, v37
	v_pk_mul_f32 v[36:37], v[58:59], v[48:49] op_sel_hi:[0,1]
	v_pk_mul_f32 v[38:39], v[58:59], v[38:39] op_sel_hi:[0,1]
	v_cvt_f16_f32_e32 v38, v38
	v_cvt_f16_f32_e32 v39, v39
	;; [unrolled: 1-line block ×4, first 2 shown]
	v_pack_b32_f16 v47, v57, v47
	v_lshlrev_b32_e32 v57, 3, v1
	v_lshlrev_b32_e32 v36, 11, v53
	v_or3_b32 v36, v36, v55, v57
	v_pack_b32_f16 v38, v38, v39
	v_pack_b32_f16 v39, v48, v37
	ds_write2st64_b64 v36, v[46:47], v[38:39] offset1:1
	v_pk_mul_f32 v[38:39], v[58:59], v[44:45] op_sel_hi:[0,1]
	v_pk_mul_f32 v[42:43], v[58:59], v[42:43] op_sel_hi:[0,1]
	v_cvt_f16_f32_e32 v37, v42
	v_cvt_f16_f32_e32 v42, v43
	;; [unrolled: 1-line block ×4, first 2 shown]
	v_pk_mul_f32 v[34:35], v[58:59], v[34:35] op_sel_hi:[0,1]
	v_pk_mul_f32 v[38:39], v[58:59], v[40:41] op_sel_hi:[0,1]
	v_cvt_f16_f32_e32 v38, v38
	v_cvt_f16_f32_e32 v39, v39
	;; [unrolled: 1-line block ×4, first 2 shown]
	v_pack_b32_f16 v34, v37, v42
	v_pack_b32_f16 v35, v43, v44
	;; [unrolled: 1-line block ×4, first 2 shown]
	v_cmp_gt_u32_e32 vcc, 14, v0
	ds_write2st64_b64 v36, v[34:35], v[38:39] offset0:2 offset1:3
	s_and_saveexec_b64 s[2:3], vcc
	s_cbranch_execz .LBB49_15
; %bb.14:
	v_add_co_u32_e32 v38, vcc, s29, v52
	v_addc_co_u32_e64 v39, s[10:11], 0, 0, vcc
	v_mov_b32_e32 v34, s9
	v_mov_b32_e32 v35, 0
	v_mad_u64_u32 v[38:39], s[10:11], s6, v34, v[38:39]
	v_mov_b32_e32 v34, s28
	s_load_dwordx4 s[12:15], s[4:5], 0x58
	s_mul_i32 s7, s7, s9
	v_mad_u64_u32 v[34:35], s[10:11], v38, s8, v[34:35]
	v_add_u32_e32 v37, s7, v39
	v_mov_b32_e32 v38, v35
	v_mad_u64_u32 v[38:39], s[10:11], v37, s8, v[38:39]
	v_mov_b32_e32 v35, v38
	v_lshlrev_b64 v[34:35], 2, v[34:35]
	s_waitcnt lgkmcnt(0)
	v_mov_b32_e32 v37, s15
	v_add_co_u32_e32 v38, vcc, s14, v34
	v_addc_co_u32_e32 v39, vcc, v37, v35, vcc
	v_mov_b32_e32 v37, s13
	v_add_co_u32_e32 v34, vcc, s12, v34
	v_addc_co_u32_e32 v35, vcc, v37, v35, vcc
	global_store_dword v[38:39], v54, off
	global_store_dword v[34:35], v56, off
.LBB49_15:
	s_or_b64 exec, exec, s[2:3]
	v_lshl_or_b32 v34, v1, 9, v55
	s_waitcnt lgkmcnt(0)
	s_barrier
	ds_read_b128 v[38:41], v34
	ds_read_b128 v[42:45], v34 offset:16
	s_waitcnt vmcnt(7) lgkmcnt(1)
	v_mfma_f32_16x16x16f16 v[46:49], v[14:15], v[38:39], 0
	v_cmp_gt_u32_e32 vcc, 64, v0
	s_mov_b32 s3, 0
	s_and_b64 s[0:1], vcc, s[0:1]
	v_mfma_f32_16x16x16f16 v[14:17], v[16:17], v[40:41], v[46:49]
	s_waitcnt vmcnt(6) lgkmcnt(0)
	v_mfma_f32_16x16x16f16 v[14:17], v[10:11], v[42:43], v[14:17]
	v_mfma_f32_16x16x16f16 v[10:13], v[12:13], v[44:45], v[14:17]
	s_nop 7
	s_nop 1
	ds_read_b128 v[14:17], v34 offset:2048
	ds_read_b128 v[38:41], v34 offset:2064
	s_waitcnt vmcnt(5) lgkmcnt(1)
	v_mfma_f32_16x16x16f16 v[10:13], v[6:7], v[14:15], v[10:13]
	v_mfma_f32_16x16x16f16 v[6:9], v[8:9], v[16:17], v[10:13]
	s_waitcnt vmcnt(4) lgkmcnt(0)
	v_mfma_f32_16x16x16f16 v[6:9], v[2:3], v[38:39], v[6:9]
	v_mfma_f32_16x16x16f16 v[2:5], v[4:5], v[40:41], v[6:9]
	s_nop 7
	s_nop 1
	ds_read_b128 v[6:9], v34 offset:4096
	ds_read_b128 v[10:13], v34 offset:4112
	s_waitcnt vmcnt(3) lgkmcnt(1)
	v_mfma_f32_16x16x16f16 v[2:5], v[30:31], v[6:7], v[2:5]
	v_mfma_f32_16x16x16f16 v[2:5], v[32:33], v[8:9], v[2:5]
	s_waitcnt vmcnt(2) lgkmcnt(0)
	v_mfma_f32_16x16x16f16 v[2:5], v[22:23], v[10:11], v[2:5]
	v_mfma_f32_16x16x16f16 v[2:5], v[24:25], v[12:13], v[2:5]
	ds_read_b128 v[6:9], v34 offset:6144
	ds_read_b128 v[10:13], v34 offset:6160
	s_waitcnt lgkmcnt(0)
	s_barrier
	s_waitcnt vmcnt(1)
	v_mfma_f32_16x16x16f16 v[2:5], v[26:27], v[6:7], v[2:5]
	v_mfma_f32_16x16x16f16 v[2:5], v[28:29], v[8:9], v[2:5]
	s_waitcnt vmcnt(0)
	v_mfma_f32_16x16x16f16 v[2:5], v[18:19], v[10:11], v[2:5]
	v_mfma_f32_16x16x16f16 v[2:5], v[20:21], v[12:13], v[2:5]
	s_nop 7
	s_nop 2
	v_cvt_f16_f32_e32 v2, v2
	v_cvt_f16_f32_e32 v3, v3
	;; [unrolled: 1-line block ×4, first 2 shown]
	v_pack_b32_f16 v2, v2, v3
	v_pack_b32_f16 v3, v4, v5
	ds_write_b64 v36, v[2:3]
	s_waitcnt lgkmcnt(0)
	s_barrier
	s_and_saveexec_b64 s[10:11], s[0:1]
	s_cbranch_execz .LBB49_18
; %bb.16:
	s_load_dwordx2 s[4:5], s[4:5], 0x68
	s_lshl_b32 s0, s8, 6
	s_mul_i32 s1, s9, s6
	s_mul_hi_u32 s7, s1, s0
	s_mul_i32 s6, s1, s0
	s_lshl_b64 s[6:7], s[6:7], 1
	s_waitcnt lgkmcnt(0)
	s_add_u32 s1, s4, s6
	v_lshlrev_b32_e32 v0, 10, v0
	s_addc_u32 s4, s5, s7
	s_lshl_b32 s2, s28, 6
	v_and_b32_e32 v0, 0x1800, v0
	v_lshlrev_b32_e32 v2, 5, v1
	v_and_b32_e32 v3, 16, v51
	s_lshl_b64 s[2:3], s[2:3], 1
	v_or3_b32 v0, v0, v2, v3
	s_add_u32 s1, s1, s2
	ds_read_b128 v[6:9], v0 offset:256
	v_or_b32_e32 v2, 12, v1
	s_addc_u32 s2, s4, s3
	ds_read_b128 v[10:13], v0 offset:128
	ds_read_b128 v[14:17], v0
	v_add_u32_e32 v1, s29, v1
	v_mov_b32_e32 v4, s2
	v_add_co_u32_e32 v3, vcc, s1, v50
	v_mad_u64_u32 v[18:19], s[2:3], v1, s0, 0
	v_addc_co_u32_e32 v4, vcc, 0, v4, vcc
	v_lshlrev_b64 v[18:19], 1, v[18:19]
	v_add_co_u32_e32 v18, vcc, v3, v18
	v_addc_co_u32_e32 v19, vcc, v4, v19, vcc
	v_add_u32_e32 v5, 4, v1
	s_waitcnt lgkmcnt(0)
	global_store_dwordx4 v[18:19], v[14:17], off
	v_add_u32_e32 v1, 8, v1
	v_mad_u64_u32 v[14:15], s[2:3], v5, s0, 0
	v_lshlrev_b64 v[14:15], 1, v[14:15]
	v_add_co_u32_e32 v14, vcc, v3, v14
	v_addc_co_u32_e32 v15, vcc, v4, v15, vcc
	global_store_dwordx4 v[14:15], v[10:13], off
	s_nop 0
	v_mad_u64_u32 v[10:11], s[2:3], v1, s0, 0
	v_lshlrev_b64 v[10:11], 1, v[10:11]
	v_add_co_u32_e32 v10, vcc, v3, v10
	v_addc_co_u32_e32 v11, vcc, v4, v11, vcc
	v_cmp_gt_u32_e32 vcc, 14, v2
	global_store_dwordx4 v[10:11], v[6:9], off
	s_and_b64 exec, exec, vcc
	s_cbranch_execz .LBB49_18
; %bb.17:
	ds_read_b128 v[6:9], v0 offset:384
	v_add_u32_e32 v0, s29, v2
	v_mad_u64_u32 v[0:1], s[0:1], v0, s0, 0
	v_lshlrev_b64 v[0:1], 1, v[0:1]
	v_add_co_u32_e32 v0, vcc, v3, v0
	v_addc_co_u32_e32 v1, vcc, v4, v1, vcc
	s_waitcnt lgkmcnt(0)
	global_store_dwordx4 v[0:1], v[6:9], off
.LBB49_18:
	s_endpgm
	.section	.rodata,"a",@progbits
	.p2align	6, 0x0
	.amdhsa_kernel _Z39paged_attention_ll4mi_QKV_mfma16_kernelIDF16_DF16_LN4vllm18Fp8KVCacheDataTypeE0EDF16_Li16ELi64ELi256ELb0ELi14EL8MFMAType0EEvPKT_PKT0_S8_ifPKiSA_SA_iPKfiiiPfSD_PS3_PT2_iSC_SC_
		.amdhsa_group_segment_fixed_size 8192
		.amdhsa_private_segment_fixed_size 0
		.amdhsa_kernarg_size 400
		.amdhsa_user_sgpr_count 6
		.amdhsa_user_sgpr_private_segment_buffer 1
		.amdhsa_user_sgpr_dispatch_ptr 0
		.amdhsa_user_sgpr_queue_ptr 0
		.amdhsa_user_sgpr_kernarg_segment_ptr 1
		.amdhsa_user_sgpr_dispatch_id 0
		.amdhsa_user_sgpr_flat_scratch_init 0
		.amdhsa_user_sgpr_kernarg_preload_length 0
		.amdhsa_user_sgpr_kernarg_preload_offset 0
		.amdhsa_user_sgpr_private_segment_size 0
		.amdhsa_uses_dynamic_stack 0
		.amdhsa_system_sgpr_private_segment_wavefront_offset 0
		.amdhsa_system_sgpr_workgroup_id_x 1
		.amdhsa_system_sgpr_workgroup_id_y 1
		.amdhsa_system_sgpr_workgroup_id_z 1
		.amdhsa_system_sgpr_workgroup_info 0
		.amdhsa_system_vgpr_workitem_id 0
		.amdhsa_next_free_vgpr 67
		.amdhsa_next_free_sgpr 48
		.amdhsa_accum_offset 68
		.amdhsa_reserve_vcc 1
		.amdhsa_reserve_flat_scratch 0
		.amdhsa_float_round_mode_32 0
		.amdhsa_float_round_mode_16_64 0
		.amdhsa_float_denorm_mode_32 3
		.amdhsa_float_denorm_mode_16_64 3
		.amdhsa_dx10_clamp 1
		.amdhsa_ieee_mode 1
		.amdhsa_fp16_overflow 0
		.amdhsa_tg_split 0
		.amdhsa_exception_fp_ieee_invalid_op 0
		.amdhsa_exception_fp_denorm_src 0
		.amdhsa_exception_fp_ieee_div_zero 0
		.amdhsa_exception_fp_ieee_overflow 0
		.amdhsa_exception_fp_ieee_underflow 0
		.amdhsa_exception_fp_ieee_inexact 0
		.amdhsa_exception_int_div_zero 0
	.end_amdhsa_kernel
	.section	.text._Z39paged_attention_ll4mi_QKV_mfma16_kernelIDF16_DF16_LN4vllm18Fp8KVCacheDataTypeE0EDF16_Li16ELi64ELi256ELb0ELi14EL8MFMAType0EEvPKT_PKT0_S8_ifPKiSA_SA_iPKfiiiPfSD_PS3_PT2_iSC_SC_,"axG",@progbits,_Z39paged_attention_ll4mi_QKV_mfma16_kernelIDF16_DF16_LN4vllm18Fp8KVCacheDataTypeE0EDF16_Li16ELi64ELi256ELb0ELi14EL8MFMAType0EEvPKT_PKT0_S8_ifPKiSA_SA_iPKfiiiPfSD_PS3_PT2_iSC_SC_,comdat
.Lfunc_end49:
	.size	_Z39paged_attention_ll4mi_QKV_mfma16_kernelIDF16_DF16_LN4vllm18Fp8KVCacheDataTypeE0EDF16_Li16ELi64ELi256ELb0ELi14EL8MFMAType0EEvPKT_PKT0_S8_ifPKiSA_SA_iPKfiiiPfSD_PS3_PT2_iSC_SC_, .Lfunc_end49-_Z39paged_attention_ll4mi_QKV_mfma16_kernelIDF16_DF16_LN4vllm18Fp8KVCacheDataTypeE0EDF16_Li16ELi64ELi256ELb0ELi14EL8MFMAType0EEvPKT_PKT0_S8_ifPKiSA_SA_iPKfiiiPfSD_PS3_PT2_iSC_SC_
                                        ; -- End function
	.section	.AMDGPU.csdata,"",@progbits
; Kernel info:
; codeLenInByte = 4036
; NumSgprs: 52
; NumVgprs: 67
; NumAgprs: 0
; TotalNumVgprs: 67
; ScratchSize: 0
; MemoryBound: 0
; FloatMode: 240
; IeeeMode: 1
; LDSByteSize: 8192 bytes/workgroup (compile time only)
; SGPRBlocks: 6
; VGPRBlocks: 8
; NumSGPRsForWavesPerEU: 52
; NumVGPRsForWavesPerEU: 67
; AccumOffset: 68
; Occupancy: 7
; WaveLimiterHint : 1
; COMPUTE_PGM_RSRC2:SCRATCH_EN: 0
; COMPUTE_PGM_RSRC2:USER_SGPR: 6
; COMPUTE_PGM_RSRC2:TRAP_HANDLER: 0
; COMPUTE_PGM_RSRC2:TGID_X_EN: 1
; COMPUTE_PGM_RSRC2:TGID_Y_EN: 1
; COMPUTE_PGM_RSRC2:TGID_Z_EN: 1
; COMPUTE_PGM_RSRC2:TIDIG_COMP_CNT: 0
; COMPUTE_PGM_RSRC3_GFX90A:ACCUM_OFFSET: 16
; COMPUTE_PGM_RSRC3_GFX90A:TG_SPLIT: 0
	.section	.text._Z39paged_attention_ll4mi_QKV_mfma16_kernelIDF16_DF16_LN4vllm18Fp8KVCacheDataTypeE0EDF16_Li16ELi64ELi256ELb0ELi15EL8MFMAType0EEvPKT_PKT0_S8_ifPKiSA_SA_iPKfiiiPfSD_PS3_PT2_iSC_SC_,"axG",@progbits,_Z39paged_attention_ll4mi_QKV_mfma16_kernelIDF16_DF16_LN4vllm18Fp8KVCacheDataTypeE0EDF16_Li16ELi64ELi256ELb0ELi15EL8MFMAType0EEvPKT_PKT0_S8_ifPKiSA_SA_iPKfiiiPfSD_PS3_PT2_iSC_SC_,comdat
	.protected	_Z39paged_attention_ll4mi_QKV_mfma16_kernelIDF16_DF16_LN4vllm18Fp8KVCacheDataTypeE0EDF16_Li16ELi64ELi256ELb0ELi15EL8MFMAType0EEvPKT_PKT0_S8_ifPKiSA_SA_iPKfiiiPfSD_PS3_PT2_iSC_SC_ ; -- Begin function _Z39paged_attention_ll4mi_QKV_mfma16_kernelIDF16_DF16_LN4vllm18Fp8KVCacheDataTypeE0EDF16_Li16ELi64ELi256ELb0ELi15EL8MFMAType0EEvPKT_PKT0_S8_ifPKiSA_SA_iPKfiiiPfSD_PS3_PT2_iSC_SC_
	.globl	_Z39paged_attention_ll4mi_QKV_mfma16_kernelIDF16_DF16_LN4vllm18Fp8KVCacheDataTypeE0EDF16_Li16ELi64ELi256ELb0ELi15EL8MFMAType0EEvPKT_PKT0_S8_ifPKiSA_SA_iPKfiiiPfSD_PS3_PT2_iSC_SC_
	.p2align	8
	.type	_Z39paged_attention_ll4mi_QKV_mfma16_kernelIDF16_DF16_LN4vllm18Fp8KVCacheDataTypeE0EDF16_Li16ELi64ELi256ELb0ELi15EL8MFMAType0EEvPKT_PKT0_S8_ifPKiSA_SA_iPKfiiiPfSD_PS3_PT2_iSC_SC_,@function
_Z39paged_attention_ll4mi_QKV_mfma16_kernelIDF16_DF16_LN4vllm18Fp8KVCacheDataTypeE0EDF16_Li16ELi64ELi256ELb0ELi15EL8MFMAType0EEvPKT_PKT0_S8_ifPKiSA_SA_iPKfiiiPfSD_PS3_PT2_iSC_SC_: ; @_Z39paged_attention_ll4mi_QKV_mfma16_kernelIDF16_DF16_LN4vllm18Fp8KVCacheDataTypeE0EDF16_Li16ELi64ELi256ELb0ELi15EL8MFMAType0EEvPKT_PKT0_S8_ifPKiSA_SA_iPKfiiiPfSD_PS3_PT2_iSC_SC_
; %bb.0:
	s_load_dwordx2 s[0:1], s[4:5], 0x30
	s_mov_b32 s28, s7
	s_mov_b64 s[10:11], 0
	s_waitcnt lgkmcnt(0)
	s_cmp_lg_u64 s[0:1], 0
	s_cselect_b64 s[2:3], -1, 0
	s_and_b64 vcc, exec, s[2:3]
	s_cbranch_vccz .LBB50_7
; %bb.1:
	s_add_i32 s12, s6, 1
	s_mov_b32 s13, 0
	s_lshl_b64 s[14:15], s[12:13], 2
	s_add_u32 s14, s0, s14
	s_mov_b32 s7, s13
	s_addc_u32 s15, s1, s15
	s_lshl_b64 s[12:13], s[6:7], 2
	s_add_u32 s12, s0, s12
	s_addc_u32 s13, s1, s13
	s_load_dword s9, s[14:15], 0x0
	s_load_dword s16, s[12:13], 0x0
	s_waitcnt lgkmcnt(0)
	s_sub_i32 s9, s9, s16
	s_cmp_eq_u32 s9, 1
	s_cselect_b64 s[12:13], -1, 0
	s_andn2_b64 vcc, exec, s[10:11]
	s_cbranch_vccnz .LBB50_3
.LBB50_2:
	s_mov_b32 s7, 0
	s_mov_b64 s[12:13], -1
.LBB50_3:
	s_andn2_b64 vcc, exec, s[12:13]
	s_cbranch_vccnz .LBB50_18
; %bb.4:
	s_load_dwordx2 s[12:13], s[4:5], 0x28
	s_lshl_b64 s[10:11], s[6:7], 2
	s_waitcnt lgkmcnt(0)
	s_add_u32 s12, s12, s10
	s_addc_u32 s13, s13, s11
	s_load_dword s40, s[12:13], 0x0
	s_lshl_b32 s16, s28, 8
	s_waitcnt lgkmcnt(0)
	s_cmp_ge_i32 s16, s40
	s_cbranch_scc1 .LBB50_18
; %bb.5:
	s_add_i32 s14, s40, 15
	s_load_dwordx2 s[12:13], s[4:5], 0x20
	s_load_dword s9, s[4:5], 0x38
	s_ashr_i32 s15, s14, 31
	v_and_b32_e32 v1, 0xcf, v0
	s_lshr_b32 s15, s15, 28
	v_add_u32_e32 v1, s16, v1
	s_add_i32 s14, s14, s15
	v_ashrrev_i32_e32 v2, 31, v1
	s_ashr_i32 s19, s14, 4
	v_lshrrev_b32_e32 v10, 28, v2
	s_add_i32 s19, s19, -1
	v_add_u32_e32 v2, v1, v10
	s_waitcnt lgkmcnt(0)
	s_mul_i32 s14, s6, s9
	s_mov_b32 s15, 0
	v_ashrrev_i32_e32 v2, 4, v2
	v_mov_b32_e32 v11, s19
	v_cmp_gt_i32_e32 vcc, s40, v1
	s_lshl_b64 s[14:15], s[14:15], 2
	v_cndmask_b32_e32 v2, v11, v2, vcc
	s_add_u32 s17, s12, s14
	v_ashrrev_i32_e32 v3, 31, v2
	s_addc_u32 s18, s13, s15
	v_lshlrev_b64 v[2:3], 2, v[2:3]
	v_mov_b32_e32 v5, s18
	v_add_co_u32_e32 v4, vcc, s17, v2
	v_or_b32_e32 v2, 16, v1
	v_addc_co_u32_e32 v5, vcc, v5, v3, vcc
	v_add_u32_e32 v3, v2, v10
	v_ashrrev_i32_e32 v3, 4, v3
	v_cmp_gt_i32_e32 vcc, s40, v2
	v_cndmask_b32_e32 v2, v11, v3, vcc
	v_ashrrev_i32_e32 v3, 31, v2
	v_lshlrev_b64 v[2:3], 2, v[2:3]
	v_mov_b32_e32 v7, s18
	v_add_co_u32_e32 v6, vcc, s17, v2
	v_or_b32_e32 v2, 32, v1
	v_addc_co_u32_e32 v7, vcc, v7, v3, vcc
	v_add_u32_e32 v3, v2, v10
	v_ashrrev_i32_e32 v3, 4, v3
	v_cmp_gt_i32_e32 vcc, s40, v2
	v_cndmask_b32_e32 v2, v11, v3, vcc
	v_ashrrev_i32_e32 v3, 31, v2
	;; [unrolled: 10-line block ×3, first 2 shown]
	v_lshlrev_b64 v[2:3], 2, v[2:3]
	v_mov_b32_e32 v1, s18
	v_add_co_u32_e32 v10, vcc, s17, v2
	v_addc_co_u32_e32 v11, vcc, v1, v3, vcc
	global_load_dword v3, v[4:5], off
	global_load_dword v2, v[6:7], off
	;; [unrolled: 1-line block ×4, first 2 shown]
	s_load_dwordx4 s[12:15], s[4:5], 0x8
	s_andn2_b64 vcc, exec, s[2:3]
	s_cbranch_vccnz .LBB50_8
; %bb.6:
	s_add_u32 s0, s0, s10
	s_addc_u32 s1, s1, s11
	s_load_dword s9, s[0:1], 0x0
	s_branch .LBB50_9
.LBB50_7:
	s_mov_b64 s[12:13], 0
	s_branch .LBB50_2
.LBB50_8:
	s_mov_b32 s9, s6
.LBB50_9:
	s_load_dwordx4 s[44:47], s[4:5], 0x48
	v_lshrrev_b32_e32 v53, 6, v0
	v_bfe_u32 v1, v0, 4, 2
	v_lshl_or_b32 v4, v53, 2, v1
	v_and_b32_e32 v52, 15, v0
	v_lshlrev_b32_e32 v5, 3, v52
	v_cmp_gt_u32_e32 vcc, 15, v4
	v_cmp_gt_u32_e64 s[0:1], 8, v52
	v_and_b32_e32 v54, 63, v0
	s_mul_i32 s29, s8, 15
	s_and_b64 s[10:11], s[0:1], vcc
	v_lshlrev_b32_e32 v50, 1, v5
	s_and_saveexec_b64 s[2:3], s[10:11]
	s_cbranch_execz .LBB50_11
; %bb.10:
	s_load_dwordx2 s[10:11], s[4:5], 0x0
	s_waitcnt lgkmcnt(0)
	s_ashr_i32 s20, s44, 31
	s_mul_hi_u32 s21, s9, s44
	s_mul_i32 s20, s9, s20
	s_add_i32 s21, s21, s20
	s_mul_i32 s20, s9, s44
	s_lshl_b64 s[20:21], s[20:21], 1
	v_add_lshl_u32 v6, v4, s29, 6
	s_add_u32 s9, s10, s20
	v_ashrrev_i32_e32 v7, 31, v6
	s_addc_u32 s10, s11, s21
	v_lshlrev_b64 v[6:7], 1, v[6:7]
	v_mov_b32_e32 v5, s10
	v_add_co_u32_e32 v6, vcc, s9, v6
	v_addc_co_u32_e32 v5, vcc, v5, v7, vcc
	v_add_co_u32_e32 v6, vcc, v6, v50
	v_addc_co_u32_e32 v7, vcc, 0, v5, vcc
	global_load_dwordx4 v[6:9], v[6:7], off
	v_and_b32_e32 v5, 3, v0
	v_lshlrev_b32_e32 v10, 9, v52
	v_lshlrev_b32_e32 v4, 5, v4
	;; [unrolled: 1-line block ×3, first 2 shown]
	v_and_b32_e32 v10, 0x1800, v10
	v_or3_b32 v4, v10, v5, v4
	s_waitcnt vmcnt(0)
	ds_write_b128 v4, v[6:9]
.LBB50_11:
	s_or_b64 exec, exec, s[2:3]
	s_waitcnt lgkmcnt(0)
	s_mov_b32 s9, 0
	s_mul_i32 s8, s8, s46
	s_lshl_b64 s[8:9], s[8:9], 1
	s_add_u32 s3, s12, s8
	v_lshlrev_b32_e32 v51, 4, v0
	s_addc_u32 s10, s13, s9
	v_and_b32_e32 v4, 0xf0, v51
	v_mov_b32_e32 v5, s10
	v_add_co_u32_e32 v29, vcc, s3, v4
	v_addc_co_u32_e32 v30, vcc, 0, v5, vcc
	s_waitcnt vmcnt(3)
	v_mad_i64_i32 v[4:5], s[10:11], v3, s45, 0
	v_lshlrev_b64 v[4:5], 1, v[4:5]
	v_add_co_u32_e32 v3, vcc, v29, v4
	v_addc_co_u32_e32 v5, vcc, v30, v5, vcc
	v_and_b32_e32 v31, 0x300, v51
	v_add_co_u32_e32 v4, vcc, v3, v31
	v_addc_co_u32_e32 v5, vcc, 0, v5, vcc
	s_load_dword s33, s[4:5], 0x98
	s_load_dword s2, s[4:5], 0x1c
	s_waitcnt lgkmcnt(0)
	s_barrier
	global_load_dwordx4 v[6:9], v[4:5], off
	s_waitcnt vmcnt(3)
	v_mad_i64_i32 v[2:3], s[10:11], v2, s45, 0
	v_lshlrev_b64 v[2:3], 1, v[2:3]
	v_add_co_u32_e32 v2, vcc, v29, v2
	v_addc_co_u32_e32 v3, vcc, v30, v3, vcc
	v_add_co_u32_e32 v2, vcc, v2, v31
	v_addc_co_u32_e32 v3, vcc, 0, v3, vcc
	global_load_dwordx4 v[22:25], v[2:3], off
	global_load_dwordx4 v[10:13], v[4:5], off offset:1024
	global_load_dwordx4 v[14:17], v[2:3], off offset:1024
	v_cmp_ne_u32_e32 vcc, 15, v52
	v_cndmask_b32_e32 v2, 0, v52, vcc
	v_lshlrev_b32_e32 v2, 5, v2
	v_lshl_or_b32 v20, v1, 9, v2
	ds_read_b128 v[2:5], v20
	s_waitcnt vmcnt(5)
	v_mad_i64_i32 v[18:19], s[10:11], v18, s45, 0
	v_lshlrev_b64 v[26:27], 1, v[18:19]
	ds_read_b128 v[18:21], v20 offset:2048
	v_and_or_b32 v55, v0, 48, s16
	v_mov_b32_e32 v60, s19
	v_mov_b32_e32 v49, s18
	v_or_b32_e32 v57, 0x80, v55
	v_mov_b32_e32 v56, s18
	v_mov_b32_e32 v61, s18
	s_add_u32 s3, s14, s8
	s_addc_u32 s8, s15, s9
	s_mov_b32 s42, 0xff7fffff
	s_waitcnt vmcnt(2) lgkmcnt(1)
	v_mfma_f32_16x16x16f16 v[36:39], v[22:23], v[2:3], 0
	v_mad_i64_i32 v[22:23], s[10:11], v28, s45, 0
	v_lshlrev_b64 v[44:45], 1, v[22:23]
	v_ashrrev_i32_e32 v22, 4, v55
	v_or_b32_e32 v28, 64, v55
	v_mfma_f32_16x16x16f16 v[32:35], v[6:7], v[2:3], 0
	v_add_co_u32_e32 v6, vcc, v29, v26
	v_addc_co_u32_e32 v7, vcc, v30, v27, vcc
	v_add_co_u32_e32 v26, vcc, v6, v31
	v_addc_co_u32_e32 v27, vcc, 0, v7, vcc
	global_load_dwordx4 v[40:43], v[26:27], off
	v_mfma_f32_16x16x16f16 v[6:9], v[8:9], v[4:5], v[32:35]
	v_cmp_gt_i32_e32 vcc, s40, v55
	v_cndmask_b32_e32 v46, v60, v22, vcc
	v_cmp_gt_i32_e32 vcc, s40, v28
	v_ashrrev_i32_e32 v47, 31, v46
	s_nop 2
	global_load_dwordx4 v[32:35], v[26:27], off offset:1024
	v_mfma_f32_16x16x16f16 v[22:25], v[24:25], v[4:5], v[36:39]
	s_nop 6
	v_ashrrev_i32_e32 v36, 4, v28
	v_cndmask_b32_e32 v48, v60, v36, vcc
	s_waitcnt vmcnt(3) lgkmcnt(0)
	v_mfma_f32_16x16x16f16 v[6:9], v[10:11], v[18:19], v[6:9]
	v_add_co_u32_e32 v10, vcc, v29, v44
	v_addc_co_u32_e32 v11, vcc, v30, v45, vcc
	v_add_co_u32_e32 v10, vcc, v10, v31
	v_addc_co_u32_e32 v11, vcc, 0, v11, vcc
	v_lshlrev_b64 v[36:37], 2, v[46:47]
	global_load_dwordx4 v[26:29], v[10:11], off
	s_waitcnt vmcnt(3)
	v_mfma_f32_16x16x16f16 v[22:25], v[14:15], v[18:19], v[22:25]
	v_add_co_u32_e32 v14, vcc, s17, v36
	v_addc_co_u32_e32 v15, vcc, v49, v37, vcc
	global_load_dword v44, v[14:15], off
	v_ashrrev_i32_e32 v38, 4, v57
	v_cmp_gt_i32_e32 vcc, s40, v57
	v_ashrrev_i32_e32 v49, 31, v48
	v_cndmask_b32_e32 v14, v60, v38, vcc
	v_mfma_f32_16x16x16f16 v[36:39], v[12:13], v[20:21], v[6:9]
	v_ashrrev_i32_e32 v15, 31, v14
	v_mov_b32_e32 v12, s18
	s_nop 4
	v_lshlrev_b64 v[6:7], 2, v[48:49]
	v_add_co_u32_e32 v6, vcc, s17, v6
	v_addc_co_u32_e32 v7, vcc, v56, v7, vcc
	global_load_dwordx4 v[56:59], v[10:11], off offset:1024
	global_load_dword v45, v[6:7], off
	v_lshlrev_b64 v[6:7], 2, v[14:15]
	v_add_co_u32_e32 v10, vcc, s17, v6
	v_addc_co_u32_e32 v11, vcc, v61, v7, vcc
	s_waitcnt vmcnt(5)
	v_mfma_f32_16x16x16f16 v[6:9], v[40:41], v[2:3], 0
	global_load_dword v40, v[10:11], off
	v_or_b32_e32 v10, 0xc0, v55
	v_ashrrev_i32_e32 v11, 4, v10
	v_cmp_gt_i32_e32 vcc, s40, v10
	v_cndmask_b32_e32 v10, v60, v11, vcc
	v_ashrrev_i32_e32 v11, 31, v10
	v_lshlrev_b64 v[10:11], 2, v[10:11]
	v_mfma_f32_16x16x16f16 v[6:9], v[42:43], v[4:5], v[6:9]
	v_add_co_u32_e32 v10, vcc, s17, v10
	v_addc_co_u32_e32 v11, vcc, v12, v11, vcc
	global_load_dword v60, v[10:11], off
	v_lshlrev_b32_e32 v55, 5, v52
	v_lshl_or_b32 v10, v53, 9, v55
	s_waitcnt vmcnt(6)
	v_mfma_f32_16x16x16f16 v[6:9], v[32:33], v[18:19], v[6:9]
	v_mov_b32_e32 v11, s8
	v_add_co_u32_e32 v61, vcc, s3, v10
	v_addc_co_u32_e32 v62, vcc, 0, v11, vcc
	v_pk_mul_f32 v[46:47], s[2:3], v[38:39] op_sel_hi:[0,1]
	v_mfma_f32_16x16x16f16 v[30:33], v[34:35], v[20:21], v[6:9]
	s_waitcnt vmcnt(1)
	v_mad_i64_i32 v[34:35], s[8:9], v40, s45, 0
	s_nop 4
	v_mad_i64_i32 v[6:7], s[8:9], v44, s45, 0
	v_lshlrev_b64 v[10:11], 1, v[6:7]
	v_mfma_f32_16x16x16f16 v[6:9], v[26:27], v[2:3], 0
	v_add_co_u32_e32 v2, vcc, v61, v10
	v_addc_co_u32_e32 v3, vcc, v62, v11, vcc
	v_lshlrev_b64 v[34:35], 1, v[34:35]
	v_pk_mul_f32 v[42:43], s[2:3], v[30:31] op_sel_hi:[0,1]
	v_mfma_f32_16x16x16f16 v[26:29], v[28:29], v[4:5], v[6:9]
	v_mfma_f32_16x16x16f16 v[22:25], v[16:17], v[20:21], v[22:25]
	global_load_dwordx4 v[14:17], v[2:3], off
	global_load_dwordx4 v[10:13], v[2:3], off offset:16
	v_mad_i64_i32 v[2:3], s[8:9], v45, s45, 0
	v_lshlrev_b64 v[2:3], 1, v[2:3]
	v_add_co_u32_e32 v2, vcc, v61, v2
	v_addc_co_u32_e32 v3, vcc, v62, v3, vcc
	v_mfma_f32_16x16x16f16 v[26:29], v[56:57], v[18:19], v[26:29]
	s_nop 3
	v_pk_mul_f32 v[38:39], s[2:3], v[22:23] op_sel_hi:[0,1]
	v_add_co_u32_e32 v56, vcc, v61, v34
	v_addc_co_u32_e32 v57, vcc, v62, v35, vcc
	v_pk_mul_f32 v[18:19], s[2:3], v[36:37] op_sel_hi:[0,1]
	v_pk_mul_f32 v[48:49], s[2:3], v[24:25] op_sel_hi:[0,1]
	v_mfma_f32_16x16x16f16 v[20:23], v[58:59], v[20:21], v[26:29]
	v_pk_mul_f32 v[44:45], s[2:3], v[32:33] op_sel_hi:[0,1]
	global_load_dwordx4 v[6:9], v[2:3], off
	s_nop 0
	global_load_dwordx4 v[2:5], v[2:3], off offset:16
	s_nop 6
	v_pk_mul_f32 v[40:41], s[2:3], v[20:21] op_sel_hi:[0,1]
	v_and_b32_e32 v20, 0xc0, v0
	v_add_u32_e32 v20, s16, v20
	v_lshl_or_b32 v20, v1, 2, v20
	v_pk_mul_f32 v[34:35], s[2:3], v[22:23] op_sel_hi:[0,1]
	v_or_b32_e32 v23, 1, v20
	v_mov_b32_e32 v21, 0xff7fffff
	v_cmp_gt_i32_e64 s[30:31], s40, v20
	v_cmp_gt_i32_e64 s[34:35], s40, v23
	v_cndmask_b32_e64 v22, v21, v18, s[30:31]
	v_cndmask_b32_e64 v23, v21, v19, s[34:35]
	v_max3_f32 v22, v22, s42, v23
	v_or_b32_e32 v23, 2, v20
	v_or_b32_e32 v24, 3, v20
	v_cmp_gt_i32_e64 s[36:37], s40, v23
	v_cmp_gt_i32_e64 s[38:39], s40, v24
	v_cndmask_b32_e64 v23, v21, v46, s[36:37]
	v_cndmask_b32_e64 v24, v21, v47, s[38:39]
	v_max3_f32 v22, v22, v23, v24
	v_or_b32_e32 v23, 16, v20
	v_or_b32_e32 v24, 17, v20
	;; [unrolled: 7-line block ×7, first 2 shown]
	v_cmp_gt_i32_e32 vcc, s40, v23
	v_cmp_gt_i32_e64 s[2:3], s40, v20
	v_cndmask_b32_e32 v23, v21, v34, vcc
	v_cndmask_b32_e64 v20, v21, v35, s[2:3]
	v_max3_f32 v26, v22, v23, v20
	v_mbcnt_lo_u32_b32 v20, -1, 0
	v_mbcnt_hi_u32_b32 v27, -1, v20
	v_and_b32_e32 v20, 64, v27
	v_add_u32_e32 v28, 64, v20
	v_xor_b32_e32 v20, 32, v27
	v_cmp_lt_i32_e64 s[40:41], v20, v28
	v_cndmask_b32_e64 v20, v27, v20, s[40:41]
	v_lshlrev_b32_e32 v58, 2, v20
	ds_bpermute_b32 v29, v58, v26
	s_waitcnt vmcnt(4)
	v_mad_i64_i32 v[20:21], s[40:41], v60, s45, 0
	global_load_dwordx4 v[30:33], v[56:57], off
	global_load_dwordx4 v[22:25], v[56:57], off offset:16
	v_lshlrev_b64 v[20:21], 1, v[20:21]
	s_waitcnt lgkmcnt(0)
	v_max_f32_e32 v29, v29, v29
	v_max_f32_e32 v26, v26, v29
	v_xor_b32_e32 v29, 16, v27
	v_cmp_lt_i32_e64 s[40:41], v29, v28
	v_cndmask_b32_e64 v27, v27, v29, s[40:41]
	v_lshlrev_b32_e32 v57, 2, v27
	ds_bpermute_b32 v27, v57, v26
	v_add_co_u32_e64 v20, s[40:41], v61, v20
	v_addc_co_u32_e64 v21, s[40:41], v62, v21, s[40:41]
	s_waitcnt lgkmcnt(0)
	v_max_f32_e32 v27, v27, v27
	v_max_f32_e32 v56, v26, v27
	v_sub_f32_e32 v18, v18, v56
	v_mul_f32_e32 v18, 0x3fb8aa3b, v18
	v_exp_f32_e32 v36, v18
	v_sub_f32_e32 v18, v19, v56
	v_mul_f32_e32 v18, 0x3fb8aa3b, v18
	v_exp_f32_e32 v37, v18
	global_load_dwordx4 v[26:29], v[20:21], off
	s_nop 0
	global_load_dwordx4 v[18:21], v[20:21], off offset:16
	v_sub_f32_e32 v46, v46, v56
	v_mul_f32_e32 v46, 0x3fb8aa3b, v46
	v_sub_f32_e32 v47, v47, v56
	v_exp_f32_e32 v46, v46
	v_mul_f32_e32 v47, 0x3fb8aa3b, v47
	v_sub_f32_e32 v38, v38, v56
	v_exp_f32_e32 v47, v47
	v_mul_f32_e32 v38, 0x3fb8aa3b, v38
	v_sub_f32_e32 v39, v39, v56
	v_cndmask_b32_e64 v36, 0, v36, s[30:31]
	v_exp_f32_e32 v38, v38
	v_mul_f32_e32 v39, 0x3fb8aa3b, v39
	v_sub_f32_e32 v48, v48, v56
	v_add_f32_e32 v59, 0, v36
	v_cndmask_b32_e64 v37, 0, v37, s[34:35]
	v_exp_f32_e32 v39, v39
	v_mul_f32_e32 v48, 0x3fb8aa3b, v48
	v_sub_f32_e32 v49, v49, v56
	v_add_f32_e32 v59, v59, v37
	;; [unrolled: 5-line block ×10, first 2 shown]
	v_cndmask_b32_e64 v44, 0, v44, s[12:13]
	v_exp_f32_e32 v34, v34
	v_mul_f32_e32 v35, 0x3fb8aa3b, v35
	v_add_f32_e32 v59, v59, v44
	v_cndmask_b32_e64 v45, 0, v45, s[14:15]
	v_exp_f32_e32 v35, v35
	v_add_f32_e32 v59, v59, v45
	v_cndmask_b32_e64 v40, 0, v40, s[8:9]
	v_add_f32_e32 v59, v59, v40
	v_cndmask_b32_e64 v41, 0, v41, s[10:11]
	v_add_f32_e32 v59, v59, v41
	v_cndmask_b32_e32 v34, 0, v34, vcc
	v_add_f32_e32 v59, v59, v34
	v_cndmask_b32_e64 v35, 0, v35, s[2:3]
	v_add_f32_e32 v59, v59, v35
	ds_bpermute_b32 v58, v58, v59
	v_cmp_gt_u32_e32 vcc, 16, v54
	s_waitcnt lgkmcnt(0)
	s_barrier
	v_add_f32_e32 v58, v59, v58
	ds_bpermute_b32 v59, v57, v58
	v_lshlrev_b32_e32 v57, 2, v52
	s_and_saveexec_b64 s[2:3], vcc
	s_cbranch_execz .LBB50_13
; %bb.12:
	s_waitcnt lgkmcnt(0)
	v_add_f32_e32 v54, v58, v59
	v_lshl_or_b32 v58, v53, 6, v57
	ds_write2st64_b32 v58, v56, v54 offset1:1
.LBB50_13:
	s_or_b64 exec, exec, s[2:3]
	s_load_dword s8, s[4:5], 0x94
	s_waitcnt lgkmcnt(0)
	s_barrier
	ds_read2_b32 v[58:59], v57 offset1:16
	ds_read2_b32 v[60:61], v57 offset0:32 offset1:48
	ds_read2_b32 v[62:63], v57 offset0:64 offset1:80
	s_mul_i32 s9, s33, 15
	s_waitcnt lgkmcnt(2)
	v_max3_f32 v54, v58, s42, v59
	s_waitcnt lgkmcnt(1)
	v_max3_f32 v54, v54, v60, v61
	v_sub_f32_e32 v56, v58, v54
	v_mul_f32_e32 v56, 0x3fb8aa3b, v56
	v_exp_f32_e32 v64, v56
	v_sub_f32_e32 v56, v59, v54
	v_mul_f32_e32 v56, 0x3fb8aa3b, v56
	v_exp_f32_e32 v65, v56
	;; [unrolled: 3-line block ×3, first 2 shown]
	ds_read2_b32 v[58:59], v57 offset0:96 offset1:112
	v_sub_f32_e32 v56, v61, v54
	v_mul_f32_e32 v56, 0x3fb8aa3b, v56
	v_exp_f32_e32 v57, v56
	s_waitcnt lgkmcnt(1)
	v_fma_f32 v56, v64, v62, 0
	v_fmac_f32_e32 v56, v65, v63
	s_waitcnt lgkmcnt(0)
	v_fmac_f32_e32 v56, v60, v58
	v_fmac_f32_e32 v56, v57, v59
	v_add_f32_e32 v58, 0x358637bd, v56
	v_div_scale_f32 v59, s[2:3], v58, v58, 1.0
	v_rcp_f32_e32 v61, v59
	s_barrier
	v_fma_f32 v62, -v59, v61, 1.0
	v_fmac_f32_e32 v61, v62, v61
	v_div_scale_f32 v62, vcc, 1.0, v58, 1.0
	v_mul_f32_e32 v63, v62, v61
	v_fma_f32 v66, -v59, v63, v62
	v_fmac_f32_e32 v63, v66, v61
	v_fma_f32 v59, -v59, v63, v62
	v_div_fmas_f32 v59, v59, v61, v63
	v_cmp_eq_u32_e32 vcc, 1, v53
	v_div_fixup_f32 v58, v59, v58, 1.0
	v_cndmask_b32_e32 v59, v64, v65, vcc
	v_cmp_eq_u32_e32 vcc, 2, v53
	v_cndmask_b32_e32 v59, v59, v60, vcc
	v_cmp_eq_u32_e32 vcc, 3, v53
	v_cndmask_b32_e32 v57, v59, v57, vcc
	v_mul_f32_e32 v58, v57, v58
	v_pk_mul_f32 v[36:37], v[58:59], v[36:37] op_sel_hi:[0,1]
	v_cvt_f16_f32_e32 v36, v36
	v_cvt_f16_f32_e32 v37, v37
	v_pk_mul_f32 v[46:47], v[58:59], v[46:47] op_sel_hi:[0,1]
	v_cvt_f16_f32_e32 v57, v46
	v_cvt_f16_f32_e32 v47, v47
	v_pack_b32_f16 v46, v36, v37
	v_pk_mul_f32 v[36:37], v[58:59], v[48:49] op_sel_hi:[0,1]
	v_pk_mul_f32 v[38:39], v[58:59], v[38:39] op_sel_hi:[0,1]
	v_cvt_f16_f32_e32 v38, v38
	v_cvt_f16_f32_e32 v39, v39
	;; [unrolled: 1-line block ×4, first 2 shown]
	v_pack_b32_f16 v47, v57, v47
	v_lshlrev_b32_e32 v57, 3, v1
	v_lshlrev_b32_e32 v36, 11, v53
	v_or3_b32 v36, v36, v55, v57
	v_pack_b32_f16 v38, v38, v39
	v_pack_b32_f16 v39, v48, v37
	ds_write2st64_b64 v36, v[46:47], v[38:39] offset1:1
	v_pk_mul_f32 v[38:39], v[58:59], v[44:45] op_sel_hi:[0,1]
	v_pk_mul_f32 v[42:43], v[58:59], v[42:43] op_sel_hi:[0,1]
	v_cvt_f16_f32_e32 v37, v42
	v_cvt_f16_f32_e32 v42, v43
	;; [unrolled: 1-line block ×4, first 2 shown]
	v_pk_mul_f32 v[34:35], v[58:59], v[34:35] op_sel_hi:[0,1]
	v_pk_mul_f32 v[38:39], v[58:59], v[40:41] op_sel_hi:[0,1]
	v_cvt_f16_f32_e32 v38, v38
	v_cvt_f16_f32_e32 v39, v39
	;; [unrolled: 1-line block ×4, first 2 shown]
	v_pack_b32_f16 v34, v37, v42
	v_pack_b32_f16 v35, v43, v44
	;; [unrolled: 1-line block ×4, first 2 shown]
	v_cmp_gt_u32_e32 vcc, 15, v0
	ds_write2st64_b64 v36, v[34:35], v[38:39] offset0:2 offset1:3
	s_and_saveexec_b64 s[2:3], vcc
	s_cbranch_execz .LBB50_15
; %bb.14:
	v_add_co_u32_e32 v38, vcc, s29, v52
	v_addc_co_u32_e64 v39, s[10:11], 0, 0, vcc
	v_mov_b32_e32 v34, s9
	v_mov_b32_e32 v35, 0
	v_mad_u64_u32 v[38:39], s[10:11], s6, v34, v[38:39]
	v_mov_b32_e32 v34, s28
	s_load_dwordx4 s[12:15], s[4:5], 0x58
	s_mul_i32 s7, s7, s9
	v_mad_u64_u32 v[34:35], s[10:11], v38, s8, v[34:35]
	v_add_u32_e32 v37, s7, v39
	v_mov_b32_e32 v38, v35
	v_mad_u64_u32 v[38:39], s[10:11], v37, s8, v[38:39]
	v_mov_b32_e32 v35, v38
	v_lshlrev_b64 v[34:35], 2, v[34:35]
	s_waitcnt lgkmcnt(0)
	v_mov_b32_e32 v37, s15
	v_add_co_u32_e32 v38, vcc, s14, v34
	v_addc_co_u32_e32 v39, vcc, v37, v35, vcc
	v_mov_b32_e32 v37, s13
	v_add_co_u32_e32 v34, vcc, s12, v34
	v_addc_co_u32_e32 v35, vcc, v37, v35, vcc
	global_store_dword v[38:39], v54, off
	global_store_dword v[34:35], v56, off
.LBB50_15:
	s_or_b64 exec, exec, s[2:3]
	v_lshl_or_b32 v34, v1, 9, v55
	s_waitcnt lgkmcnt(0)
	s_barrier
	ds_read_b128 v[38:41], v34
	ds_read_b128 v[42:45], v34 offset:16
	s_waitcnt vmcnt(7) lgkmcnt(1)
	v_mfma_f32_16x16x16f16 v[46:49], v[14:15], v[38:39], 0
	v_cmp_gt_u32_e32 vcc, 64, v0
	s_mov_b32 s3, 0
	s_and_b64 s[0:1], vcc, s[0:1]
	v_mfma_f32_16x16x16f16 v[14:17], v[16:17], v[40:41], v[46:49]
	s_waitcnt vmcnt(6) lgkmcnt(0)
	v_mfma_f32_16x16x16f16 v[14:17], v[10:11], v[42:43], v[14:17]
	v_mfma_f32_16x16x16f16 v[10:13], v[12:13], v[44:45], v[14:17]
	s_nop 7
	s_nop 1
	ds_read_b128 v[14:17], v34 offset:2048
	ds_read_b128 v[38:41], v34 offset:2064
	s_waitcnt vmcnt(5) lgkmcnt(1)
	v_mfma_f32_16x16x16f16 v[10:13], v[6:7], v[14:15], v[10:13]
	v_mfma_f32_16x16x16f16 v[6:9], v[8:9], v[16:17], v[10:13]
	s_waitcnt vmcnt(4) lgkmcnt(0)
	v_mfma_f32_16x16x16f16 v[6:9], v[2:3], v[38:39], v[6:9]
	v_mfma_f32_16x16x16f16 v[2:5], v[4:5], v[40:41], v[6:9]
	s_nop 7
	s_nop 1
	ds_read_b128 v[6:9], v34 offset:4096
	ds_read_b128 v[10:13], v34 offset:4112
	s_waitcnt vmcnt(3) lgkmcnt(1)
	v_mfma_f32_16x16x16f16 v[2:5], v[30:31], v[6:7], v[2:5]
	v_mfma_f32_16x16x16f16 v[2:5], v[32:33], v[8:9], v[2:5]
	s_waitcnt vmcnt(2) lgkmcnt(0)
	v_mfma_f32_16x16x16f16 v[2:5], v[22:23], v[10:11], v[2:5]
	v_mfma_f32_16x16x16f16 v[2:5], v[24:25], v[12:13], v[2:5]
	ds_read_b128 v[6:9], v34 offset:6144
	ds_read_b128 v[10:13], v34 offset:6160
	s_waitcnt lgkmcnt(0)
	s_barrier
	s_waitcnt vmcnt(1)
	v_mfma_f32_16x16x16f16 v[2:5], v[26:27], v[6:7], v[2:5]
	v_mfma_f32_16x16x16f16 v[2:5], v[28:29], v[8:9], v[2:5]
	s_waitcnt vmcnt(0)
	v_mfma_f32_16x16x16f16 v[2:5], v[18:19], v[10:11], v[2:5]
	v_mfma_f32_16x16x16f16 v[2:5], v[20:21], v[12:13], v[2:5]
	s_nop 7
	s_nop 2
	v_cvt_f16_f32_e32 v2, v2
	v_cvt_f16_f32_e32 v3, v3
	;; [unrolled: 1-line block ×4, first 2 shown]
	v_pack_b32_f16 v2, v2, v3
	v_pack_b32_f16 v3, v4, v5
	ds_write_b64 v36, v[2:3]
	s_waitcnt lgkmcnt(0)
	s_barrier
	s_and_saveexec_b64 s[10:11], s[0:1]
	s_cbranch_execz .LBB50_18
; %bb.16:
	s_load_dwordx2 s[4:5], s[4:5], 0x68
	s_lshl_b32 s0, s8, 6
	s_mul_i32 s1, s9, s6
	s_mul_hi_u32 s7, s1, s0
	s_mul_i32 s6, s1, s0
	s_lshl_b64 s[6:7], s[6:7], 1
	s_waitcnt lgkmcnt(0)
	s_add_u32 s1, s4, s6
	v_lshlrev_b32_e32 v0, 10, v0
	s_addc_u32 s4, s5, s7
	s_lshl_b32 s2, s28, 6
	v_and_b32_e32 v0, 0x1800, v0
	v_lshlrev_b32_e32 v2, 5, v1
	v_and_b32_e32 v3, 16, v51
	s_lshl_b64 s[2:3], s[2:3], 1
	v_or3_b32 v0, v0, v2, v3
	s_add_u32 s1, s1, s2
	ds_read_b128 v[4:7], v0 offset:256
	s_addc_u32 s2, s4, s3
	ds_read_b128 v[8:11], v0 offset:128
	ds_read_b128 v[12:15], v0
	v_add_u32_e32 v18, s29, v1
	v_mov_b32_e32 v3, s2
	v_add_co_u32_e32 v2, vcc, s1, v50
	v_mad_u64_u32 v[16:17], s[2:3], v18, s0, 0
	v_addc_co_u32_e32 v3, vcc, 0, v3, vcc
	v_lshlrev_b64 v[16:17], 1, v[16:17]
	v_add_co_u32_e32 v16, vcc, v2, v16
	v_addc_co_u32_e32 v17, vcc, v3, v17, vcc
	s_waitcnt lgkmcnt(0)
	global_store_dwordx4 v[16:17], v[12:15], off
	s_nop 0
	v_add_u32_e32 v12, 4, v18
	v_mad_u64_u32 v[12:13], s[2:3], v12, s0, 0
	v_lshlrev_b64 v[12:13], 1, v[12:13]
	v_add_co_u32_e32 v12, vcc, v2, v12
	v_addc_co_u32_e32 v13, vcc, v3, v13, vcc
	global_store_dwordx4 v[12:13], v[8:11], off
	s_nop 0
	v_add_u32_e32 v8, 8, v18
	v_mad_u64_u32 v[8:9], s[2:3], v8, s0, 0
	v_lshlrev_b64 v[8:9], 1, v[8:9]
	v_add_co_u32_e32 v8, vcc, v2, v8
	v_addc_co_u32_e32 v9, vcc, v3, v9, vcc
	v_cmp_ne_u32_e32 vcc, 3, v1
	global_store_dwordx4 v[8:9], v[4:7], off
	s_and_b64 exec, exec, vcc
	s_cbranch_execz .LBB50_18
; %bb.17:
	ds_read_b128 v[4:7], v0 offset:384
	v_add3_u32 v0, s29, v1, 12
	v_mad_u64_u32 v[0:1], s[0:1], v0, s0, 0
	v_lshlrev_b64 v[0:1], 1, v[0:1]
	v_add_co_u32_e32 v0, vcc, v2, v0
	v_addc_co_u32_e32 v1, vcc, v3, v1, vcc
	s_waitcnt lgkmcnt(0)
	global_store_dwordx4 v[0:1], v[4:7], off
.LBB50_18:
	s_endpgm
	.section	.rodata,"a",@progbits
	.p2align	6, 0x0
	.amdhsa_kernel _Z39paged_attention_ll4mi_QKV_mfma16_kernelIDF16_DF16_LN4vllm18Fp8KVCacheDataTypeE0EDF16_Li16ELi64ELi256ELb0ELi15EL8MFMAType0EEvPKT_PKT0_S8_ifPKiSA_SA_iPKfiiiPfSD_PS3_PT2_iSC_SC_
		.amdhsa_group_segment_fixed_size 8192
		.amdhsa_private_segment_fixed_size 0
		.amdhsa_kernarg_size 400
		.amdhsa_user_sgpr_count 6
		.amdhsa_user_sgpr_private_segment_buffer 1
		.amdhsa_user_sgpr_dispatch_ptr 0
		.amdhsa_user_sgpr_queue_ptr 0
		.amdhsa_user_sgpr_kernarg_segment_ptr 1
		.amdhsa_user_sgpr_dispatch_id 0
		.amdhsa_user_sgpr_flat_scratch_init 0
		.amdhsa_user_sgpr_kernarg_preload_length 0
		.amdhsa_user_sgpr_kernarg_preload_offset 0
		.amdhsa_user_sgpr_private_segment_size 0
		.amdhsa_uses_dynamic_stack 0
		.amdhsa_system_sgpr_private_segment_wavefront_offset 0
		.amdhsa_system_sgpr_workgroup_id_x 1
		.amdhsa_system_sgpr_workgroup_id_y 1
		.amdhsa_system_sgpr_workgroup_id_z 1
		.amdhsa_system_sgpr_workgroup_info 0
		.amdhsa_system_vgpr_workitem_id 0
		.amdhsa_next_free_vgpr 67
		.amdhsa_next_free_sgpr 48
		.amdhsa_accum_offset 68
		.amdhsa_reserve_vcc 1
		.amdhsa_reserve_flat_scratch 0
		.amdhsa_float_round_mode_32 0
		.amdhsa_float_round_mode_16_64 0
		.amdhsa_float_denorm_mode_32 3
		.amdhsa_float_denorm_mode_16_64 3
		.amdhsa_dx10_clamp 1
		.amdhsa_ieee_mode 1
		.amdhsa_fp16_overflow 0
		.amdhsa_tg_split 0
		.amdhsa_exception_fp_ieee_invalid_op 0
		.amdhsa_exception_fp_denorm_src 0
		.amdhsa_exception_fp_ieee_div_zero 0
		.amdhsa_exception_fp_ieee_overflow 0
		.amdhsa_exception_fp_ieee_underflow 0
		.amdhsa_exception_fp_ieee_inexact 0
		.amdhsa_exception_int_div_zero 0
	.end_amdhsa_kernel
	.section	.text._Z39paged_attention_ll4mi_QKV_mfma16_kernelIDF16_DF16_LN4vllm18Fp8KVCacheDataTypeE0EDF16_Li16ELi64ELi256ELb0ELi15EL8MFMAType0EEvPKT_PKT0_S8_ifPKiSA_SA_iPKfiiiPfSD_PS3_PT2_iSC_SC_,"axG",@progbits,_Z39paged_attention_ll4mi_QKV_mfma16_kernelIDF16_DF16_LN4vllm18Fp8KVCacheDataTypeE0EDF16_Li16ELi64ELi256ELb0ELi15EL8MFMAType0EEvPKT_PKT0_S8_ifPKiSA_SA_iPKfiiiPfSD_PS3_PT2_iSC_SC_,comdat
.Lfunc_end50:
	.size	_Z39paged_attention_ll4mi_QKV_mfma16_kernelIDF16_DF16_LN4vllm18Fp8KVCacheDataTypeE0EDF16_Li16ELi64ELi256ELb0ELi15EL8MFMAType0EEvPKT_PKT0_S8_ifPKiSA_SA_iPKfiiiPfSD_PS3_PT2_iSC_SC_, .Lfunc_end50-_Z39paged_attention_ll4mi_QKV_mfma16_kernelIDF16_DF16_LN4vllm18Fp8KVCacheDataTypeE0EDF16_Li16ELi64ELi256ELb0ELi15EL8MFMAType0EEvPKT_PKT0_S8_ifPKiSA_SA_iPKfiiiPfSD_PS3_PT2_iSC_SC_
                                        ; -- End function
	.section	.AMDGPU.csdata,"",@progbits
; Kernel info:
; codeLenInByte = 4036
; NumSgprs: 52
; NumVgprs: 67
; NumAgprs: 0
; TotalNumVgprs: 67
; ScratchSize: 0
; MemoryBound: 0
; FloatMode: 240
; IeeeMode: 1
; LDSByteSize: 8192 bytes/workgroup (compile time only)
; SGPRBlocks: 6
; VGPRBlocks: 8
; NumSGPRsForWavesPerEU: 52
; NumVGPRsForWavesPerEU: 67
; AccumOffset: 68
; Occupancy: 7
; WaveLimiterHint : 1
; COMPUTE_PGM_RSRC2:SCRATCH_EN: 0
; COMPUTE_PGM_RSRC2:USER_SGPR: 6
; COMPUTE_PGM_RSRC2:TRAP_HANDLER: 0
; COMPUTE_PGM_RSRC2:TGID_X_EN: 1
; COMPUTE_PGM_RSRC2:TGID_Y_EN: 1
; COMPUTE_PGM_RSRC2:TGID_Z_EN: 1
; COMPUTE_PGM_RSRC2:TIDIG_COMP_CNT: 0
; COMPUTE_PGM_RSRC3_GFX90A:ACCUM_OFFSET: 16
; COMPUTE_PGM_RSRC3_GFX90A:TG_SPLIT: 0
	.section	.text._Z39paged_attention_ll4mi_QKV_mfma16_kernelIDF16_DF16_LN4vllm18Fp8KVCacheDataTypeE0EDF16_Li16ELi64ELi256ELb0ELi16EL8MFMAType0EEvPKT_PKT0_S8_ifPKiSA_SA_iPKfiiiPfSD_PS3_PT2_iSC_SC_,"axG",@progbits,_Z39paged_attention_ll4mi_QKV_mfma16_kernelIDF16_DF16_LN4vllm18Fp8KVCacheDataTypeE0EDF16_Li16ELi64ELi256ELb0ELi16EL8MFMAType0EEvPKT_PKT0_S8_ifPKiSA_SA_iPKfiiiPfSD_PS3_PT2_iSC_SC_,comdat
	.protected	_Z39paged_attention_ll4mi_QKV_mfma16_kernelIDF16_DF16_LN4vllm18Fp8KVCacheDataTypeE0EDF16_Li16ELi64ELi256ELb0ELi16EL8MFMAType0EEvPKT_PKT0_S8_ifPKiSA_SA_iPKfiiiPfSD_PS3_PT2_iSC_SC_ ; -- Begin function _Z39paged_attention_ll4mi_QKV_mfma16_kernelIDF16_DF16_LN4vllm18Fp8KVCacheDataTypeE0EDF16_Li16ELi64ELi256ELb0ELi16EL8MFMAType0EEvPKT_PKT0_S8_ifPKiSA_SA_iPKfiiiPfSD_PS3_PT2_iSC_SC_
	.globl	_Z39paged_attention_ll4mi_QKV_mfma16_kernelIDF16_DF16_LN4vllm18Fp8KVCacheDataTypeE0EDF16_Li16ELi64ELi256ELb0ELi16EL8MFMAType0EEvPKT_PKT0_S8_ifPKiSA_SA_iPKfiiiPfSD_PS3_PT2_iSC_SC_
	.p2align	8
	.type	_Z39paged_attention_ll4mi_QKV_mfma16_kernelIDF16_DF16_LN4vllm18Fp8KVCacheDataTypeE0EDF16_Li16ELi64ELi256ELb0ELi16EL8MFMAType0EEvPKT_PKT0_S8_ifPKiSA_SA_iPKfiiiPfSD_PS3_PT2_iSC_SC_,@function
_Z39paged_attention_ll4mi_QKV_mfma16_kernelIDF16_DF16_LN4vllm18Fp8KVCacheDataTypeE0EDF16_Li16ELi64ELi256ELb0ELi16EL8MFMAType0EEvPKT_PKT0_S8_ifPKiSA_SA_iPKfiiiPfSD_PS3_PT2_iSC_SC_: ; @_Z39paged_attention_ll4mi_QKV_mfma16_kernelIDF16_DF16_LN4vllm18Fp8KVCacheDataTypeE0EDF16_Li16ELi64ELi256ELb0ELi16EL8MFMAType0EEvPKT_PKT0_S8_ifPKiSA_SA_iPKfiiiPfSD_PS3_PT2_iSC_SC_
; %bb.0:
	s_load_dwordx2 s[0:1], s[4:5], 0x30
	s_mov_b32 s28, s7
	s_mov_b64 s[10:11], 0
	s_waitcnt lgkmcnt(0)
	s_cmp_lg_u64 s[0:1], 0
	s_cselect_b64 s[2:3], -1, 0
	s_and_b64 vcc, exec, s[2:3]
	s_cbranch_vccz .LBB51_7
; %bb.1:
	s_add_i32 s12, s6, 1
	s_mov_b32 s13, 0
	s_lshl_b64 s[14:15], s[12:13], 2
	s_add_u32 s14, s0, s14
	s_mov_b32 s7, s13
	s_addc_u32 s15, s1, s15
	s_lshl_b64 s[12:13], s[6:7], 2
	s_add_u32 s12, s0, s12
	s_addc_u32 s13, s1, s13
	s_load_dword s9, s[14:15], 0x0
	s_load_dword s16, s[12:13], 0x0
	s_waitcnt lgkmcnt(0)
	s_sub_i32 s9, s9, s16
	s_cmp_eq_u32 s9, 1
	s_cselect_b64 s[12:13], -1, 0
	s_andn2_b64 vcc, exec, s[10:11]
	s_cbranch_vccnz .LBB51_3
.LBB51_2:
	s_mov_b32 s7, 0
	s_mov_b64 s[12:13], -1
.LBB51_3:
	s_andn2_b64 vcc, exec, s[12:13]
	s_cbranch_vccnz .LBB51_17
; %bb.4:
	s_load_dwordx2 s[12:13], s[4:5], 0x28
	s_lshl_b64 s[10:11], s[6:7], 2
	s_waitcnt lgkmcnt(0)
	s_add_u32 s12, s12, s10
	s_addc_u32 s13, s13, s11
	s_load_dword s40, s[12:13], 0x0
	s_lshl_b32 s16, s28, 8
	s_waitcnt lgkmcnt(0)
	s_cmp_ge_i32 s16, s40
	s_cbranch_scc1 .LBB51_17
; %bb.5:
	s_add_i32 s14, s40, 15
	s_load_dwordx2 s[12:13], s[4:5], 0x20
	s_load_dword s9, s[4:5], 0x38
	s_ashr_i32 s15, s14, 31
	v_and_b32_e32 v1, 0xcf, v0
	s_lshr_b32 s15, s15, 28
	v_add_u32_e32 v1, s16, v1
	s_add_i32 s14, s14, s15
	v_ashrrev_i32_e32 v2, 31, v1
	s_ashr_i32 s19, s14, 4
	v_lshrrev_b32_e32 v10, 28, v2
	s_add_i32 s19, s19, -1
	v_add_u32_e32 v2, v1, v10
	s_waitcnt lgkmcnt(0)
	s_mul_i32 s14, s6, s9
	s_mov_b32 s15, 0
	v_ashrrev_i32_e32 v2, 4, v2
	v_mov_b32_e32 v11, s19
	v_cmp_gt_i32_e32 vcc, s40, v1
	s_lshl_b64 s[14:15], s[14:15], 2
	v_cndmask_b32_e32 v2, v11, v2, vcc
	s_add_u32 s17, s12, s14
	v_ashrrev_i32_e32 v3, 31, v2
	s_addc_u32 s18, s13, s15
	v_lshlrev_b64 v[2:3], 2, v[2:3]
	v_mov_b32_e32 v5, s18
	v_add_co_u32_e32 v4, vcc, s17, v2
	v_or_b32_e32 v2, 16, v1
	v_addc_co_u32_e32 v5, vcc, v5, v3, vcc
	v_add_u32_e32 v3, v2, v10
	v_ashrrev_i32_e32 v3, 4, v3
	v_cmp_gt_i32_e32 vcc, s40, v2
	v_cndmask_b32_e32 v2, v11, v3, vcc
	v_ashrrev_i32_e32 v3, 31, v2
	v_lshlrev_b64 v[2:3], 2, v[2:3]
	v_mov_b32_e32 v7, s18
	v_add_co_u32_e32 v6, vcc, s17, v2
	v_or_b32_e32 v2, 32, v1
	v_addc_co_u32_e32 v7, vcc, v7, v3, vcc
	v_add_u32_e32 v3, v2, v10
	v_ashrrev_i32_e32 v3, 4, v3
	v_cmp_gt_i32_e32 vcc, s40, v2
	v_cndmask_b32_e32 v2, v11, v3, vcc
	v_ashrrev_i32_e32 v3, 31, v2
	;; [unrolled: 10-line block ×3, first 2 shown]
	v_lshlrev_b64 v[2:3], 2, v[2:3]
	v_mov_b32_e32 v1, s18
	v_add_co_u32_e32 v10, vcc, s17, v2
	v_addc_co_u32_e32 v11, vcc, v1, v3, vcc
	global_load_dword v3, v[4:5], off
	global_load_dword v2, v[6:7], off
	;; [unrolled: 1-line block ×4, first 2 shown]
	s_load_dwordx4 s[12:15], s[4:5], 0x8
	s_andn2_b64 vcc, exec, s[2:3]
	s_cbranch_vccnz .LBB51_8
; %bb.6:
	s_add_u32 s0, s0, s10
	s_addc_u32 s1, s1, s11
	s_load_dword s9, s[0:1], 0x0
	s_branch .LBB51_9
.LBB51_7:
	s_mov_b64 s[12:13], 0
	s_branch .LBB51_2
.LBB51_8:
	s_mov_b32 s9, s6
.LBB51_9:
	s_load_dwordx4 s[44:47], s[4:5], 0x48
	v_and_b32_e32 v55, 15, v0
	s_movk_i32 s0, 0x100
	v_lshlrev_b32_e32 v4, 3, v55
	v_cmp_gt_u32_e32 vcc, s0, v0
	v_cmp_gt_u32_e64 s[0:1], 8, v55
	v_lshrrev_b32_e32 v53, 6, v0
	v_and_b32_e32 v54, 63, v0
	v_bfe_u32 v1, v0, 4, 2
	s_lshl_b32 s29, s8, 4
	s_and_b64 s[10:11], vcc, s[0:1]
	v_lshlrev_b32_e32 v50, 1, v4
	s_and_saveexec_b64 s[2:3], s[10:11]
	s_cbranch_execz .LBB51_11
; %bb.10:
	s_load_dwordx2 s[10:11], s[4:5], 0x0
	s_waitcnt lgkmcnt(0)
	s_ashr_i32 s20, s44, 31
	s_mul_hi_u32 s21, s9, s44
	s_mul_i32 s20, s9, s20
	v_lshl_or_b32 v8, v53, 2, v1
	s_add_i32 s21, s21, s20
	s_mul_i32 s20, s9, s44
	s_lshl_b64 s[20:21], s[20:21], 1
	v_add_lshl_u32 v4, v8, s29, 6
	s_add_u32 s9, s10, s20
	v_ashrrev_i32_e32 v5, 31, v4
	s_addc_u32 s10, s11, s21
	v_lshlrev_b64 v[4:5], 1, v[4:5]
	v_mov_b32_e32 v6, s10
	v_add_co_u32_e32 v4, vcc, s9, v4
	v_addc_co_u32_e32 v5, vcc, v6, v5, vcc
	v_add_co_u32_e32 v4, vcc, v4, v50
	v_addc_co_u32_e32 v5, vcc, 0, v5, vcc
	global_load_dwordx4 v[4:7], v[4:5], off
	v_and_b32_e32 v9, 3, v0
	v_lshlrev_b32_e32 v10, 9, v55
	v_lshlrev_b32_e32 v8, 5, v8
	;; [unrolled: 1-line block ×3, first 2 shown]
	v_and_b32_e32 v10, 0x1800, v10
	v_or3_b32 v8, v10, v9, v8
	s_waitcnt vmcnt(0)
	ds_write_b128 v8, v[4:7]
.LBB51_11:
	s_or_b64 exec, exec, s[2:3]
	s_waitcnt lgkmcnt(0)
	s_mul_i32 s8, s8, s46
	s_mov_b32 s9, 0
	s_lshl_b64 s[8:9], s[8:9], 1
	s_add_u32 s3, s12, s8
	v_lshlrev_b32_e32 v51, 4, v0
	s_addc_u32 s10, s13, s9
	v_and_b32_e32 v4, 0xf0, v51
	v_mov_b32_e32 v5, s10
	v_add_co_u32_e32 v29, vcc, s3, v4
	v_addc_co_u32_e32 v30, vcc, 0, v5, vcc
	s_waitcnt vmcnt(3)
	v_mad_i64_i32 v[4:5], s[10:11], v3, s45, 0
	v_lshlrev_b64 v[4:5], 1, v[4:5]
	v_add_co_u32_e32 v3, vcc, v29, v4
	v_addc_co_u32_e32 v5, vcc, v30, v5, vcc
	v_and_b32_e32 v31, 0x300, v51
	v_add_co_u32_e32 v4, vcc, v3, v31
	v_addc_co_u32_e32 v5, vcc, 0, v5, vcc
	s_load_dword s33, s[4:5], 0x98
	s_load_dword s2, s[4:5], 0x1c
	s_waitcnt lgkmcnt(0)
	s_barrier
	global_load_dwordx4 v[6:9], v[4:5], off
	s_waitcnt vmcnt(3)
	v_mad_i64_i32 v[2:3], s[10:11], v2, s45, 0
	v_lshlrev_b64 v[2:3], 1, v[2:3]
	v_add_co_u32_e32 v2, vcc, v29, v2
	v_addc_co_u32_e32 v3, vcc, v30, v3, vcc
	v_add_co_u32_e32 v2, vcc, v2, v31
	v_addc_co_u32_e32 v3, vcc, 0, v3, vcc
	global_load_dwordx4 v[22:25], v[2:3], off
	global_load_dwordx4 v[10:13], v[4:5], off offset:1024
	global_load_dwordx4 v[14:17], v[2:3], off offset:1024
	v_lshlrev_b32_e32 v56, 5, v55
	v_lshl_or_b32 v52, v1, 9, v56
	ds_read_b128 v[2:5], v52
	s_waitcnt vmcnt(5)
	v_mad_i64_i32 v[18:19], s[10:11], v18, s45, 0
	v_lshlrev_b64 v[26:27], 1, v[18:19]
	ds_read_b128 v[18:21], v52 offset:2048
	v_and_or_b32 v57, v0, 48, s16
	v_mov_b32_e32 v62, s19
	v_mov_b32_e32 v49, s18
	v_or_b32_e32 v59, 0x80, v57
	v_mov_b32_e32 v58, s18
	v_mov_b32_e32 v63, s18
	s_add_u32 s3, s14, s8
	s_addc_u32 s8, s15, s9
	s_mov_b32 s42, 0xff7fffff
	v_lshlrev_b32_e32 v55, 2, v55
	s_waitcnt vmcnt(2) lgkmcnt(1)
	v_mfma_f32_16x16x16f16 v[36:39], v[22:23], v[2:3], 0
	v_mad_i64_i32 v[22:23], s[10:11], v28, s45, 0
	v_lshlrev_b64 v[44:45], 1, v[22:23]
	v_ashrrev_i32_e32 v22, 4, v57
	v_or_b32_e32 v28, 64, v57
	v_mfma_f32_16x16x16f16 v[32:35], v[6:7], v[2:3], 0
	v_add_co_u32_e32 v6, vcc, v29, v26
	v_addc_co_u32_e32 v7, vcc, v30, v27, vcc
	v_add_co_u32_e32 v26, vcc, v6, v31
	v_addc_co_u32_e32 v27, vcc, 0, v7, vcc
	global_load_dwordx4 v[40:43], v[26:27], off
	v_mfma_f32_16x16x16f16 v[6:9], v[8:9], v[4:5], v[32:35]
	v_cmp_gt_i32_e32 vcc, s40, v57
	v_cndmask_b32_e32 v46, v62, v22, vcc
	v_cmp_gt_i32_e32 vcc, s40, v28
	v_ashrrev_i32_e32 v47, 31, v46
	s_nop 2
	global_load_dwordx4 v[32:35], v[26:27], off offset:1024
	v_mfma_f32_16x16x16f16 v[22:25], v[24:25], v[4:5], v[36:39]
	s_nop 6
	v_ashrrev_i32_e32 v36, 4, v28
	v_cndmask_b32_e32 v48, v62, v36, vcc
	s_waitcnt vmcnt(3) lgkmcnt(0)
	v_mfma_f32_16x16x16f16 v[6:9], v[10:11], v[18:19], v[6:9]
	v_add_co_u32_e32 v10, vcc, v29, v44
	v_addc_co_u32_e32 v11, vcc, v30, v45, vcc
	v_add_co_u32_e32 v10, vcc, v10, v31
	v_addc_co_u32_e32 v11, vcc, 0, v11, vcc
	v_lshlrev_b64 v[36:37], 2, v[46:47]
	global_load_dwordx4 v[26:29], v[10:11], off
	s_waitcnt vmcnt(3)
	v_mfma_f32_16x16x16f16 v[22:25], v[14:15], v[18:19], v[22:25]
	v_add_co_u32_e32 v14, vcc, s17, v36
	v_addc_co_u32_e32 v15, vcc, v49, v37, vcc
	global_load_dword v44, v[14:15], off
	v_ashrrev_i32_e32 v38, 4, v59
	v_cmp_gt_i32_e32 vcc, s40, v59
	v_ashrrev_i32_e32 v49, 31, v48
	v_cndmask_b32_e32 v14, v62, v38, vcc
	v_mfma_f32_16x16x16f16 v[36:39], v[12:13], v[20:21], v[6:9]
	v_ashrrev_i32_e32 v15, 31, v14
	v_mov_b32_e32 v12, s18
	s_nop 4
	v_lshlrev_b64 v[6:7], 2, v[48:49]
	v_add_co_u32_e32 v6, vcc, s17, v6
	v_addc_co_u32_e32 v7, vcc, v58, v7, vcc
	global_load_dwordx4 v[58:61], v[10:11], off offset:1024
	global_load_dword v45, v[6:7], off
	v_lshlrev_b64 v[6:7], 2, v[14:15]
	v_add_co_u32_e32 v10, vcc, s17, v6
	v_addc_co_u32_e32 v11, vcc, v63, v7, vcc
	s_waitcnt vmcnt(5)
	v_mfma_f32_16x16x16f16 v[6:9], v[40:41], v[2:3], 0
	global_load_dword v40, v[10:11], off
	v_or_b32_e32 v10, 0xc0, v57
	v_ashrrev_i32_e32 v11, 4, v10
	v_cmp_gt_i32_e32 vcc, s40, v10
	v_cndmask_b32_e32 v10, v62, v11, vcc
	v_ashrrev_i32_e32 v11, 31, v10
	v_lshlrev_b64 v[10:11], 2, v[10:11]
	v_mfma_f32_16x16x16f16 v[6:9], v[42:43], v[4:5], v[6:9]
	v_add_co_u32_e32 v10, vcc, s17, v10
	v_addc_co_u32_e32 v11, vcc, v12, v11, vcc
	global_load_dword v57, v[10:11], off
	v_lshl_or_b32 v10, v53, 9, v56
	v_mov_b32_e32 v11, s8
	s_waitcnt vmcnt(6)
	v_mfma_f32_16x16x16f16 v[6:9], v[32:33], v[18:19], v[6:9]
	v_add_co_u32_e32 v62, vcc, s3, v10
	v_addc_co_u32_e32 v63, vcc, 0, v11, vcc
	v_pk_mul_f32 v[46:47], s[2:3], v[38:39] op_sel_hi:[0,1]
	v_mfma_f32_16x16x16f16 v[30:33], v[34:35], v[20:21], v[6:9]
	s_waitcnt vmcnt(1)
	v_mad_i64_i32 v[34:35], s[8:9], v40, s45, 0
	s_nop 4
	v_mad_i64_i32 v[6:7], s[8:9], v44, s45, 0
	v_lshlrev_b64 v[10:11], 1, v[6:7]
	v_mfma_f32_16x16x16f16 v[6:9], v[26:27], v[2:3], 0
	v_add_co_u32_e32 v2, vcc, v62, v10
	v_addc_co_u32_e32 v3, vcc, v63, v11, vcc
	v_lshlrev_b64 v[34:35], 1, v[34:35]
	v_pk_mul_f32 v[42:43], s[2:3], v[30:31] op_sel_hi:[0,1]
	v_mfma_f32_16x16x16f16 v[26:29], v[28:29], v[4:5], v[6:9]
	v_mfma_f32_16x16x16f16 v[22:25], v[16:17], v[20:21], v[22:25]
	global_load_dwordx4 v[14:17], v[2:3], off
	global_load_dwordx4 v[10:13], v[2:3], off offset:16
	v_mad_i64_i32 v[2:3], s[8:9], v45, s45, 0
	v_lshlrev_b64 v[2:3], 1, v[2:3]
	v_add_co_u32_e32 v2, vcc, v62, v2
	v_addc_co_u32_e32 v3, vcc, v63, v3, vcc
	v_mfma_f32_16x16x16f16 v[26:29], v[58:59], v[18:19], v[26:29]
	s_nop 3
	v_pk_mul_f32 v[38:39], s[2:3], v[22:23] op_sel_hi:[0,1]
	v_add_co_u32_e32 v58, vcc, v62, v34
	v_addc_co_u32_e32 v59, vcc, v63, v35, vcc
	v_pk_mul_f32 v[18:19], s[2:3], v[36:37] op_sel_hi:[0,1]
	v_pk_mul_f32 v[48:49], s[2:3], v[24:25] op_sel_hi:[0,1]
	v_mfma_f32_16x16x16f16 v[20:23], v[60:61], v[20:21], v[26:29]
	v_pk_mul_f32 v[44:45], s[2:3], v[32:33] op_sel_hi:[0,1]
	global_load_dwordx4 v[6:9], v[2:3], off
	s_nop 0
	global_load_dwordx4 v[2:5], v[2:3], off offset:16
	s_nop 6
	v_pk_mul_f32 v[40:41], s[2:3], v[20:21] op_sel_hi:[0,1]
	v_and_b32_e32 v20, 0xc0, v0
	v_add_u32_e32 v20, s16, v20
	v_lshl_or_b32 v20, v1, 2, v20
	v_pk_mul_f32 v[34:35], s[2:3], v[22:23] op_sel_hi:[0,1]
	v_or_b32_e32 v23, 1, v20
	v_mov_b32_e32 v21, 0xff7fffff
	v_cmp_gt_i32_e64 s[30:31], s40, v20
	v_cmp_gt_i32_e64 s[34:35], s40, v23
	v_cndmask_b32_e64 v22, v21, v18, s[30:31]
	v_cndmask_b32_e64 v23, v21, v19, s[34:35]
	v_max3_f32 v22, v22, s42, v23
	v_or_b32_e32 v23, 2, v20
	v_or_b32_e32 v24, 3, v20
	v_cmp_gt_i32_e64 s[36:37], s40, v23
	v_cmp_gt_i32_e64 s[38:39], s40, v24
	v_cndmask_b32_e64 v23, v21, v46, s[36:37]
	v_cndmask_b32_e64 v24, v21, v47, s[38:39]
	v_max3_f32 v22, v22, v23, v24
	v_or_b32_e32 v23, 16, v20
	v_or_b32_e32 v24, 17, v20
	;; [unrolled: 7-line block ×7, first 2 shown]
	v_cmp_gt_i32_e32 vcc, s40, v23
	v_cmp_gt_i32_e64 s[2:3], s40, v20
	v_cndmask_b32_e32 v23, v21, v34, vcc
	v_cndmask_b32_e64 v20, v21, v35, s[2:3]
	v_max3_f32 v26, v22, v23, v20
	v_mbcnt_lo_u32_b32 v20, -1, 0
	v_mbcnt_hi_u32_b32 v27, -1, v20
	v_and_b32_e32 v20, 64, v27
	v_add_u32_e32 v28, 64, v20
	v_xor_b32_e32 v20, 32, v27
	v_cmp_lt_i32_e64 s[40:41], v20, v28
	v_cndmask_b32_e64 v20, v27, v20, s[40:41]
	v_lshlrev_b32_e32 v60, 2, v20
	ds_bpermute_b32 v29, v60, v26
	s_waitcnt vmcnt(4)
	v_mad_i64_i32 v[20:21], s[40:41], v57, s45, 0
	global_load_dwordx4 v[30:33], v[58:59], off
	global_load_dwordx4 v[22:25], v[58:59], off offset:16
	v_lshlrev_b64 v[20:21], 1, v[20:21]
	s_waitcnt lgkmcnt(0)
	v_max_f32_e32 v29, v29, v29
	v_max_f32_e32 v26, v26, v29
	v_xor_b32_e32 v29, 16, v27
	v_cmp_lt_i32_e64 s[40:41], v29, v28
	v_cndmask_b32_e64 v27, v27, v29, s[40:41]
	v_lshlrev_b32_e32 v59, 2, v27
	ds_bpermute_b32 v27, v59, v26
	v_add_co_u32_e64 v20, s[40:41], v62, v20
	v_addc_co_u32_e64 v21, s[40:41], v63, v21, s[40:41]
	s_waitcnt lgkmcnt(0)
	v_max_f32_e32 v27, v27, v27
	v_max_f32_e32 v57, v26, v27
	v_sub_f32_e32 v18, v18, v57
	v_mul_f32_e32 v18, 0x3fb8aa3b, v18
	v_exp_f32_e32 v36, v18
	v_sub_f32_e32 v18, v19, v57
	v_mul_f32_e32 v18, 0x3fb8aa3b, v18
	v_exp_f32_e32 v37, v18
	global_load_dwordx4 v[26:29], v[20:21], off
	s_nop 0
	global_load_dwordx4 v[18:21], v[20:21], off offset:16
	v_sub_f32_e32 v46, v46, v57
	v_mul_f32_e32 v46, 0x3fb8aa3b, v46
	v_sub_f32_e32 v47, v47, v57
	v_exp_f32_e32 v46, v46
	v_mul_f32_e32 v47, 0x3fb8aa3b, v47
	v_sub_f32_e32 v38, v38, v57
	v_exp_f32_e32 v47, v47
	v_mul_f32_e32 v38, 0x3fb8aa3b, v38
	v_sub_f32_e32 v39, v39, v57
	v_cndmask_b32_e64 v36, 0, v36, s[30:31]
	v_exp_f32_e32 v38, v38
	v_mul_f32_e32 v39, 0x3fb8aa3b, v39
	v_sub_f32_e32 v48, v48, v57
	v_add_f32_e32 v58, 0, v36
	v_cndmask_b32_e64 v37, 0, v37, s[34:35]
	v_exp_f32_e32 v39, v39
	v_mul_f32_e32 v48, 0x3fb8aa3b, v48
	v_sub_f32_e32 v49, v49, v57
	v_add_f32_e32 v58, v58, v37
	;; [unrolled: 5-line block ×10, first 2 shown]
	v_cndmask_b32_e64 v44, 0, v44, s[12:13]
	v_exp_f32_e32 v34, v34
	v_mul_f32_e32 v35, 0x3fb8aa3b, v35
	v_add_f32_e32 v58, v58, v44
	v_cndmask_b32_e64 v45, 0, v45, s[14:15]
	v_exp_f32_e32 v35, v35
	v_add_f32_e32 v58, v58, v45
	v_cndmask_b32_e64 v40, 0, v40, s[8:9]
	v_add_f32_e32 v58, v58, v40
	v_cndmask_b32_e64 v41, 0, v41, s[10:11]
	v_add_f32_e32 v58, v58, v41
	v_cndmask_b32_e32 v34, 0, v34, vcc
	v_add_f32_e32 v58, v58, v34
	v_cndmask_b32_e64 v35, 0, v35, s[2:3]
	v_add_f32_e32 v58, v58, v35
	ds_bpermute_b32 v60, v60, v58
	v_cmp_gt_u32_e32 vcc, 16, v54
	s_waitcnt lgkmcnt(0)
	s_barrier
	v_add_f32_e32 v58, v58, v60
	ds_bpermute_b32 v59, v59, v58
	s_and_saveexec_b64 s[2:3], vcc
	s_cbranch_execz .LBB51_13
; %bb.12:
	s_waitcnt lgkmcnt(0)
	v_add_f32_e32 v54, v58, v59
	v_lshl_or_b32 v58, v53, 6, v55
	ds_write2st64_b32 v58, v57, v54 offset1:1
.LBB51_13:
	s_or_b64 exec, exec, s[2:3]
	s_load_dword s8, s[4:5], 0x94
	s_waitcnt lgkmcnt(0)
	s_barrier
	ds_read2_b32 v[58:59], v55 offset1:16
	ds_read2_b32 v[60:61], v55 offset0:32 offset1:48
	ds_read2_b32 v[62:63], v55 offset0:64 offset1:80
	s_lshl_b32 s9, s33, 4
	s_waitcnt lgkmcnt(2)
	v_max3_f32 v54, v58, s42, v59
	s_waitcnt lgkmcnt(1)
	v_max3_f32 v54, v54, v60, v61
	v_sub_f32_e32 v57, v58, v54
	v_sub_f32_e32 v58, v59, v54
	v_mul_f32_e32 v58, 0x3fb8aa3b, v58
	v_mul_f32_e32 v57, 0x3fb8aa3b, v57
	v_exp_f32_e32 v64, v58
	v_sub_f32_e32 v58, v60, v54
	v_exp_f32_e32 v57, v57
	v_mul_f32_e32 v58, 0x3fb8aa3b, v58
	v_exp_f32_e32 v60, v58
	ds_read2_b32 v[58:59], v55 offset0:96 offset1:112
	v_sub_f32_e32 v55, v61, v54
	v_mul_f32_e32 v55, 0x3fb8aa3b, v55
	v_exp_f32_e32 v61, v55
	s_waitcnt lgkmcnt(1)
	v_fma_f32 v55, v57, v62, 0
	v_fmac_f32_e32 v55, v64, v63
	s_waitcnt lgkmcnt(0)
	v_fmac_f32_e32 v55, v60, v58
	v_fmac_f32_e32 v55, v61, v59
	v_add_f32_e32 v58, 0x358637bd, v55
	v_div_scale_f32 v59, s[2:3], v58, v58, 1.0
	v_rcp_f32_e32 v62, v59
	s_barrier
	v_fma_f32 v63, -v59, v62, 1.0
	v_fmac_f32_e32 v62, v63, v62
	v_div_scale_f32 v63, vcc, 1.0, v58, 1.0
	v_mul_f32_e32 v65, v63, v62
	v_fma_f32 v66, -v59, v65, v63
	v_fmac_f32_e32 v65, v66, v62
	v_fma_f32 v59, -v59, v65, v63
	v_div_fmas_f32 v59, v59, v62, v65
	v_cmp_eq_u32_e32 vcc, 1, v53
	v_cndmask_b32_e32 v57, v57, v64, vcc
	v_cmp_eq_u32_e32 vcc, 2, v53
	v_cndmask_b32_e32 v57, v57, v60, vcc
	v_cmp_eq_u32_e32 vcc, 3, v53
	v_div_fixup_f32 v58, v59, v58, 1.0
	v_cndmask_b32_e32 v57, v57, v61, vcc
	v_mul_f32_e32 v58, v57, v58
	v_pk_mul_f32 v[36:37], v[58:59], v[36:37] op_sel_hi:[0,1]
	v_cvt_f16_f32_e32 v36, v36
	v_cvt_f16_f32_e32 v37, v37
	v_pk_mul_f32 v[46:47], v[58:59], v[46:47] op_sel_hi:[0,1]
	v_cvt_f16_f32_e32 v57, v46
	v_cvt_f16_f32_e32 v47, v47
	v_pack_b32_f16 v46, v36, v37
	v_pk_mul_f32 v[36:37], v[58:59], v[48:49] op_sel_hi:[0,1]
	v_pk_mul_f32 v[38:39], v[58:59], v[38:39] op_sel_hi:[0,1]
	v_cvt_f16_f32_e32 v38, v38
	v_cvt_f16_f32_e32 v39, v39
	;; [unrolled: 1-line block ×4, first 2 shown]
	v_pack_b32_f16 v47, v57, v47
	v_lshlrev_b32_e32 v57, 3, v1
	v_lshlrev_b32_e32 v36, 11, v53
	v_or3_b32 v36, v36, v56, v57
	v_pack_b32_f16 v38, v38, v39
	v_pack_b32_f16 v39, v48, v37
	ds_write2st64_b64 v36, v[46:47], v[38:39] offset1:1
	v_pk_mul_f32 v[38:39], v[58:59], v[44:45] op_sel_hi:[0,1]
	v_pk_mul_f32 v[42:43], v[58:59], v[42:43] op_sel_hi:[0,1]
	v_cvt_f16_f32_e32 v37, v42
	v_cvt_f16_f32_e32 v42, v43
	;; [unrolled: 1-line block ×4, first 2 shown]
	v_pk_mul_f32 v[34:35], v[58:59], v[34:35] op_sel_hi:[0,1]
	v_pk_mul_f32 v[38:39], v[58:59], v[40:41] op_sel_hi:[0,1]
	v_cvt_f16_f32_e32 v38, v38
	v_cvt_f16_f32_e32 v39, v39
	;; [unrolled: 1-line block ×4, first 2 shown]
	v_pack_b32_f16 v34, v37, v42
	v_pack_b32_f16 v35, v43, v44
	;; [unrolled: 1-line block ×4, first 2 shown]
	v_cmp_gt_u32_e32 vcc, 16, v0
	ds_write2st64_b64 v36, v[34:35], v[38:39] offset0:2 offset1:3
	s_and_saveexec_b64 s[2:3], vcc
	s_cbranch_execz .LBB51_15
; %bb.14:
	v_or_b32_e32 v34, s29, v0
	v_mov_b32_e32 v35, 0
	v_mov_b32_e32 v37, s9
	v_mad_u64_u32 v[38:39], s[10:11], s6, v37, v[34:35]
	v_mov_b32_e32 v34, s28
	s_load_dwordx4 s[12:15], s[4:5], 0x58
	s_mul_i32 s7, s7, s9
	v_mad_u64_u32 v[34:35], s[10:11], v38, s8, v[34:35]
	v_add_u32_e32 v37, s7, v39
	v_mov_b32_e32 v38, v35
	v_mad_u64_u32 v[38:39], s[10:11], v37, s8, v[38:39]
	v_mov_b32_e32 v35, v38
	v_lshlrev_b64 v[34:35], 2, v[34:35]
	s_waitcnt lgkmcnt(0)
	v_mov_b32_e32 v37, s15
	v_add_co_u32_e32 v38, vcc, s14, v34
	v_addc_co_u32_e32 v39, vcc, v37, v35, vcc
	v_mov_b32_e32 v37, s13
	v_add_co_u32_e32 v34, vcc, s12, v34
	v_addc_co_u32_e32 v35, vcc, v37, v35, vcc
	global_store_dword v[38:39], v54, off
	global_store_dword v[34:35], v55, off
.LBB51_15:
	s_or_b64 exec, exec, s[2:3]
	s_waitcnt lgkmcnt(0)
	s_barrier
	ds_read_b128 v[38:41], v52
	ds_read_b128 v[42:45], v52 offset:16
	s_waitcnt vmcnt(7) lgkmcnt(1)
	v_mfma_f32_16x16x16f16 v[46:49], v[14:15], v[38:39], 0
	v_cmp_gt_u32_e32 vcc, 64, v0
	s_mov_b32 s3, 0
	s_and_b64 s[0:1], vcc, s[0:1]
	v_mfma_f32_16x16x16f16 v[14:17], v[16:17], v[40:41], v[46:49]
	s_waitcnt vmcnt(6) lgkmcnt(0)
	v_mfma_f32_16x16x16f16 v[14:17], v[10:11], v[42:43], v[14:17]
	v_mfma_f32_16x16x16f16 v[10:13], v[12:13], v[44:45], v[14:17]
	s_nop 7
	s_nop 1
	ds_read_b128 v[14:17], v52 offset:2048
	ds_read_b128 v[38:41], v52 offset:2064
	s_waitcnt vmcnt(5) lgkmcnt(1)
	v_mfma_f32_16x16x16f16 v[10:13], v[6:7], v[14:15], v[10:13]
	v_mfma_f32_16x16x16f16 v[6:9], v[8:9], v[16:17], v[10:13]
	s_waitcnt vmcnt(4) lgkmcnt(0)
	v_mfma_f32_16x16x16f16 v[6:9], v[2:3], v[38:39], v[6:9]
	v_mfma_f32_16x16x16f16 v[2:5], v[4:5], v[40:41], v[6:9]
	s_nop 7
	s_nop 1
	ds_read_b128 v[6:9], v52 offset:4096
	ds_read_b128 v[10:13], v52 offset:4112
	s_waitcnt vmcnt(3) lgkmcnt(1)
	v_mfma_f32_16x16x16f16 v[2:5], v[30:31], v[6:7], v[2:5]
	v_mfma_f32_16x16x16f16 v[2:5], v[32:33], v[8:9], v[2:5]
	s_waitcnt vmcnt(2) lgkmcnt(0)
	v_mfma_f32_16x16x16f16 v[2:5], v[22:23], v[10:11], v[2:5]
	v_mfma_f32_16x16x16f16 v[2:5], v[24:25], v[12:13], v[2:5]
	ds_read_b128 v[6:9], v52 offset:6144
	ds_read_b128 v[10:13], v52 offset:6160
	s_waitcnt lgkmcnt(0)
	s_barrier
	s_waitcnt vmcnt(1)
	v_mfma_f32_16x16x16f16 v[2:5], v[26:27], v[6:7], v[2:5]
	v_mfma_f32_16x16x16f16 v[2:5], v[28:29], v[8:9], v[2:5]
	s_waitcnt vmcnt(0)
	v_mfma_f32_16x16x16f16 v[2:5], v[18:19], v[10:11], v[2:5]
	v_mfma_f32_16x16x16f16 v[2:5], v[20:21], v[12:13], v[2:5]
	s_nop 7
	s_nop 2
	v_cvt_f16_f32_e32 v2, v2
	v_cvt_f16_f32_e32 v3, v3
	;; [unrolled: 1-line block ×4, first 2 shown]
	v_pack_b32_f16 v2, v2, v3
	v_pack_b32_f16 v3, v4, v5
	ds_write_b64 v36, v[2:3]
	s_waitcnt lgkmcnt(0)
	s_barrier
	s_and_saveexec_b64 s[10:11], s[0:1]
	s_cbranch_execz .LBB51_17
; %bb.16:
	s_load_dwordx2 s[0:1], s[4:5], 0x68
	s_lshl_b32 s7, s8, 6
	s_mul_i32 s2, s9, s6
	s_mul_hi_u32 s5, s2, s7
	s_mul_i32 s4, s2, s7
	s_lshl_b64 s[4:5], s[4:5], 1
	s_waitcnt lgkmcnt(0)
	s_add_u32 s4, s0, s4
	s_addc_u32 s5, s1, s5
	s_lshl_b32 s2, s28, 6
	v_lshlrev_b32_e32 v0, 10, v0
	s_lshl_b64 s[0:1], s[2:3], 1
	v_and_b32_e32 v0, 0x1800, v0
	v_lshlrev_b32_e32 v2, 5, v1
	v_and_b32_e32 v3, 16, v51
	s_add_u32 s0, s4, s0
	v_or3_b32 v0, v0, v2, v3
	s_addc_u32 s1, s5, s1
	ds_read_b128 v[2:5], v0
	ds_read_b128 v[6:9], v0 offset:128
	ds_read_b128 v[10:13], v0 offset:256
	;; [unrolled: 1-line block ×3, first 2 shown]
	v_mov_b32_e32 v0, s1
	v_add_co_u32_e32 v18, vcc, s0, v50
	v_or_b32_e32 v20, s29, v1
	v_addc_co_u32_e32 v19, vcc, 0, v0, vcc
	v_mad_u64_u32 v[0:1], s[0:1], v20, s7, 0
	v_lshlrev_b64 v[0:1], 1, v[0:1]
	v_add_co_u32_e32 v0, vcc, v18, v0
	v_addc_co_u32_e32 v1, vcc, v19, v1, vcc
	s_waitcnt lgkmcnt(3)
	global_store_dwordx4 v[0:1], v[2:5], off
	v_or_b32_e32 v0, 4, v20
	v_mad_u64_u32 v[0:1], s[0:1], v0, s7, 0
	v_lshlrev_b64 v[0:1], 1, v[0:1]
	v_add_co_u32_e32 v0, vcc, v18, v0
	v_addc_co_u32_e32 v1, vcc, v19, v1, vcc
	s_waitcnt lgkmcnt(2)
	global_store_dwordx4 v[0:1], v[6:9], off
	v_or_b32_e32 v0, 8, v20
	;; [unrolled: 7-line block ×3, first 2 shown]
	v_mad_u64_u32 v[0:1], s[0:1], v0, s7, 0
	v_lshlrev_b64 v[0:1], 1, v[0:1]
	v_add_co_u32_e32 v0, vcc, v18, v0
	v_addc_co_u32_e32 v1, vcc, v19, v1, vcc
	s_waitcnt lgkmcnt(0)
	global_store_dwordx4 v[0:1], v[14:17], off
.LBB51_17:
	s_endpgm
	.section	.rodata,"a",@progbits
	.p2align	6, 0x0
	.amdhsa_kernel _Z39paged_attention_ll4mi_QKV_mfma16_kernelIDF16_DF16_LN4vllm18Fp8KVCacheDataTypeE0EDF16_Li16ELi64ELi256ELb0ELi16EL8MFMAType0EEvPKT_PKT0_S8_ifPKiSA_SA_iPKfiiiPfSD_PS3_PT2_iSC_SC_
		.amdhsa_group_segment_fixed_size 8192
		.amdhsa_private_segment_fixed_size 0
		.amdhsa_kernarg_size 400
		.amdhsa_user_sgpr_count 6
		.amdhsa_user_sgpr_private_segment_buffer 1
		.amdhsa_user_sgpr_dispatch_ptr 0
		.amdhsa_user_sgpr_queue_ptr 0
		.amdhsa_user_sgpr_kernarg_segment_ptr 1
		.amdhsa_user_sgpr_dispatch_id 0
		.amdhsa_user_sgpr_flat_scratch_init 0
		.amdhsa_user_sgpr_kernarg_preload_length 0
		.amdhsa_user_sgpr_kernarg_preload_offset 0
		.amdhsa_user_sgpr_private_segment_size 0
		.amdhsa_uses_dynamic_stack 0
		.amdhsa_system_sgpr_private_segment_wavefront_offset 0
		.amdhsa_system_sgpr_workgroup_id_x 1
		.amdhsa_system_sgpr_workgroup_id_y 1
		.amdhsa_system_sgpr_workgroup_id_z 1
		.amdhsa_system_sgpr_workgroup_info 0
		.amdhsa_system_vgpr_workitem_id 0
		.amdhsa_next_free_vgpr 67
		.amdhsa_next_free_sgpr 48
		.amdhsa_accum_offset 68
		.amdhsa_reserve_vcc 1
		.amdhsa_reserve_flat_scratch 0
		.amdhsa_float_round_mode_32 0
		.amdhsa_float_round_mode_16_64 0
		.amdhsa_float_denorm_mode_32 3
		.amdhsa_float_denorm_mode_16_64 3
		.amdhsa_dx10_clamp 1
		.amdhsa_ieee_mode 1
		.amdhsa_fp16_overflow 0
		.amdhsa_tg_split 0
		.amdhsa_exception_fp_ieee_invalid_op 0
		.amdhsa_exception_fp_denorm_src 0
		.amdhsa_exception_fp_ieee_div_zero 0
		.amdhsa_exception_fp_ieee_overflow 0
		.amdhsa_exception_fp_ieee_underflow 0
		.amdhsa_exception_fp_ieee_inexact 0
		.amdhsa_exception_int_div_zero 0
	.end_amdhsa_kernel
	.section	.text._Z39paged_attention_ll4mi_QKV_mfma16_kernelIDF16_DF16_LN4vllm18Fp8KVCacheDataTypeE0EDF16_Li16ELi64ELi256ELb0ELi16EL8MFMAType0EEvPKT_PKT0_S8_ifPKiSA_SA_iPKfiiiPfSD_PS3_PT2_iSC_SC_,"axG",@progbits,_Z39paged_attention_ll4mi_QKV_mfma16_kernelIDF16_DF16_LN4vllm18Fp8KVCacheDataTypeE0EDF16_Li16ELi64ELi256ELb0ELi16EL8MFMAType0EEvPKT_PKT0_S8_ifPKiSA_SA_iPKfiiiPfSD_PS3_PT2_iSC_SC_,comdat
.Lfunc_end51:
	.size	_Z39paged_attention_ll4mi_QKV_mfma16_kernelIDF16_DF16_LN4vllm18Fp8KVCacheDataTypeE0EDF16_Li16ELi64ELi256ELb0ELi16EL8MFMAType0EEvPKT_PKT0_S8_ifPKiSA_SA_iPKfiiiPfSD_PS3_PT2_iSC_SC_, .Lfunc_end51-_Z39paged_attention_ll4mi_QKV_mfma16_kernelIDF16_DF16_LN4vllm18Fp8KVCacheDataTypeE0EDF16_Li16ELi64ELi256ELb0ELi16EL8MFMAType0EEvPKT_PKT0_S8_ifPKiSA_SA_iPKfiiiPfSD_PS3_PT2_iSC_SC_
                                        ; -- End function
	.section	.AMDGPU.csdata,"",@progbits
; Kernel info:
; codeLenInByte = 3996
; NumSgprs: 52
; NumVgprs: 67
; NumAgprs: 0
; TotalNumVgprs: 67
; ScratchSize: 0
; MemoryBound: 0
; FloatMode: 240
; IeeeMode: 1
; LDSByteSize: 8192 bytes/workgroup (compile time only)
; SGPRBlocks: 6
; VGPRBlocks: 8
; NumSGPRsForWavesPerEU: 52
; NumVGPRsForWavesPerEU: 67
; AccumOffset: 68
; Occupancy: 7
; WaveLimiterHint : 1
; COMPUTE_PGM_RSRC2:SCRATCH_EN: 0
; COMPUTE_PGM_RSRC2:USER_SGPR: 6
; COMPUTE_PGM_RSRC2:TRAP_HANDLER: 0
; COMPUTE_PGM_RSRC2:TGID_X_EN: 1
; COMPUTE_PGM_RSRC2:TGID_Y_EN: 1
; COMPUTE_PGM_RSRC2:TGID_Z_EN: 1
; COMPUTE_PGM_RSRC2:TIDIG_COMP_CNT: 0
; COMPUTE_PGM_RSRC3_GFX90A:ACCUM_OFFSET: 16
; COMPUTE_PGM_RSRC3_GFX90A:TG_SPLIT: 0
	.section	.text._Z39paged_attention_ll4mi_QKV_mfma16_kernelIDF16_DF16_LN4vllm18Fp8KVCacheDataTypeE0EDF16_Li16ELi64ELi256ELb0ELi1EL8MFMAType0EEvPKT_PKT0_S8_ifPKiSA_SA_iPKfiiiPfSD_PS3_PT2_iSC_SC_,"axG",@progbits,_Z39paged_attention_ll4mi_QKV_mfma16_kernelIDF16_DF16_LN4vllm18Fp8KVCacheDataTypeE0EDF16_Li16ELi64ELi256ELb0ELi1EL8MFMAType0EEvPKT_PKT0_S8_ifPKiSA_SA_iPKfiiiPfSD_PS3_PT2_iSC_SC_,comdat
	.protected	_Z39paged_attention_ll4mi_QKV_mfma16_kernelIDF16_DF16_LN4vllm18Fp8KVCacheDataTypeE0EDF16_Li16ELi64ELi256ELb0ELi1EL8MFMAType0EEvPKT_PKT0_S8_ifPKiSA_SA_iPKfiiiPfSD_PS3_PT2_iSC_SC_ ; -- Begin function _Z39paged_attention_ll4mi_QKV_mfma16_kernelIDF16_DF16_LN4vllm18Fp8KVCacheDataTypeE0EDF16_Li16ELi64ELi256ELb0ELi1EL8MFMAType0EEvPKT_PKT0_S8_ifPKiSA_SA_iPKfiiiPfSD_PS3_PT2_iSC_SC_
	.globl	_Z39paged_attention_ll4mi_QKV_mfma16_kernelIDF16_DF16_LN4vllm18Fp8KVCacheDataTypeE0EDF16_Li16ELi64ELi256ELb0ELi1EL8MFMAType0EEvPKT_PKT0_S8_ifPKiSA_SA_iPKfiiiPfSD_PS3_PT2_iSC_SC_
	.p2align	8
	.type	_Z39paged_attention_ll4mi_QKV_mfma16_kernelIDF16_DF16_LN4vllm18Fp8KVCacheDataTypeE0EDF16_Li16ELi64ELi256ELb0ELi1EL8MFMAType0EEvPKT_PKT0_S8_ifPKiSA_SA_iPKfiiiPfSD_PS3_PT2_iSC_SC_,@function
_Z39paged_attention_ll4mi_QKV_mfma16_kernelIDF16_DF16_LN4vllm18Fp8KVCacheDataTypeE0EDF16_Li16ELi64ELi256ELb0ELi1EL8MFMAType0EEvPKT_PKT0_S8_ifPKiSA_SA_iPKfiiiPfSD_PS3_PT2_iSC_SC_: ; @_Z39paged_attention_ll4mi_QKV_mfma16_kernelIDF16_DF16_LN4vllm18Fp8KVCacheDataTypeE0EDF16_Li16ELi64ELi256ELb0ELi1EL8MFMAType0EEvPKT_PKT0_S8_ifPKiSA_SA_iPKfiiiPfSD_PS3_PT2_iSC_SC_
; %bb.0:
	s_load_dwordx2 s[0:1], s[4:5], 0x30
	s_mov_b32 s9, s7
	s_mov_b64 s[10:11], 0
	s_waitcnt lgkmcnt(0)
	s_cmp_lg_u64 s[0:1], 0
	s_cselect_b64 s[2:3], -1, 0
	s_and_b64 vcc, exec, s[2:3]
	s_cbranch_vccz .LBB52_7
; %bb.1:
	s_add_i32 s12, s6, 1
	s_mov_b32 s13, 0
	s_lshl_b64 s[14:15], s[12:13], 2
	s_add_u32 s14, s0, s14
	s_mov_b32 s7, s13
	s_addc_u32 s15, s1, s15
	s_lshl_b64 s[12:13], s[6:7], 2
	s_add_u32 s12, s0, s12
	s_addc_u32 s13, s1, s13
	s_load_dword s16, s[14:15], 0x0
	s_load_dword s17, s[12:13], 0x0
	s_waitcnt lgkmcnt(0)
	s_sub_i32 s12, s16, s17
	s_cmp_eq_u32 s12, 1
	s_cselect_b64 s[12:13], -1, 0
	s_andn2_b64 vcc, exec, s[10:11]
	s_cbranch_vccnz .LBB52_3
.LBB52_2:
	s_mov_b32 s7, 0
	s_mov_b64 s[12:13], -1
.LBB52_3:
	s_andn2_b64 vcc, exec, s[12:13]
	s_cbranch_vccnz .LBB52_17
; %bb.4:
	s_load_dwordx2 s[12:13], s[4:5], 0x28
	s_lshl_b64 s[10:11], s[6:7], 2
	s_waitcnt lgkmcnt(0)
	s_add_u32 s12, s12, s10
	s_addc_u32 s13, s13, s11
	s_load_dword s33, s[12:13], 0x0
	s_lshl_b32 s16, s9, 8
	s_waitcnt lgkmcnt(0)
	s_cmp_ge_i32 s16, s33
	s_cbranch_scc1 .LBB52_17
; %bb.5:
	s_add_i32 s15, s33, 15
	s_load_dwordx2 s[12:13], s[4:5], 0x20
	s_load_dword s14, s[4:5], 0x38
	s_ashr_i32 s17, s15, 31
	v_and_b32_e32 v1, 0xcf, v0
	s_lshr_b32 s17, s17, 28
	v_add_u32_e32 v1, s16, v1
	s_add_i32 s15, s15, s17
	v_ashrrev_i32_e32 v2, 31, v1
	s_ashr_i32 s19, s15, 4
	v_lshrrev_b32_e32 v10, 28, v2
	s_add_i32 s19, s19, -1
	v_add_u32_e32 v2, v1, v10
	s_waitcnt lgkmcnt(0)
	s_mul_i32 s14, s6, s14
	s_mov_b32 s15, 0
	v_ashrrev_i32_e32 v2, 4, v2
	v_mov_b32_e32 v11, s19
	v_cmp_gt_i32_e32 vcc, s33, v1
	s_lshl_b64 s[14:15], s[14:15], 2
	v_cndmask_b32_e32 v2, v11, v2, vcc
	s_add_u32 s17, s12, s14
	v_ashrrev_i32_e32 v3, 31, v2
	s_addc_u32 s18, s13, s15
	v_lshlrev_b64 v[2:3], 2, v[2:3]
	v_mov_b32_e32 v5, s18
	v_add_co_u32_e32 v4, vcc, s17, v2
	v_or_b32_e32 v2, 16, v1
	v_addc_co_u32_e32 v5, vcc, v5, v3, vcc
	v_add_u32_e32 v3, v2, v10
	v_ashrrev_i32_e32 v3, 4, v3
	v_cmp_gt_i32_e32 vcc, s33, v2
	v_cndmask_b32_e32 v2, v11, v3, vcc
	v_ashrrev_i32_e32 v3, 31, v2
	v_lshlrev_b64 v[2:3], 2, v[2:3]
	v_mov_b32_e32 v7, s18
	v_add_co_u32_e32 v6, vcc, s17, v2
	v_or_b32_e32 v2, 32, v1
	v_addc_co_u32_e32 v7, vcc, v7, v3, vcc
	v_add_u32_e32 v3, v2, v10
	v_ashrrev_i32_e32 v3, 4, v3
	v_cmp_gt_i32_e32 vcc, s33, v2
	v_cndmask_b32_e32 v2, v11, v3, vcc
	v_ashrrev_i32_e32 v3, 31, v2
	;; [unrolled: 10-line block ×3, first 2 shown]
	v_lshlrev_b64 v[2:3], 2, v[2:3]
	v_mov_b32_e32 v1, s18
	v_add_co_u32_e32 v10, vcc, s17, v2
	v_addc_co_u32_e32 v11, vcc, v1, v3, vcc
	global_load_dword v3, v[4:5], off
	global_load_dword v2, v[6:7], off
	;; [unrolled: 1-line block ×4, first 2 shown]
	s_load_dwordx4 s[12:15], s[4:5], 0x8
	s_andn2_b64 vcc, exec, s[2:3]
	s_cbranch_vccnz .LBB52_8
; %bb.6:
	s_add_u32 s0, s0, s10
	s_addc_u32 s1, s1, s11
	s_load_dword s10, s[0:1], 0x0
	s_branch .LBB52_9
.LBB52_7:
	s_mov_b64 s[12:13], 0
	s_branch .LBB52_2
.LBB52_8:
	s_mov_b32 s10, s6
.LBB52_9:
	s_load_dwordx4 s[44:47], s[4:5], 0x48
	v_lshrrev_b32_e32 v52, 6, v0
	v_bfe_u32 v50, v0, 4, 2
	v_lshl_or_b32 v1, v52, 2, v50
	v_and_b32_e32 v54, 15, v0
	v_lshlrev_b32_e32 v4, 3, v54
	v_cmp_eq_u32_e32 vcc, 0, v1
	v_cmp_gt_u32_e64 s[0:1], 8, v54
	v_and_b32_e32 v53, 63, v0
	s_and_b64 s[20:21], s[0:1], vcc
	v_lshlrev_b32_e32 v1, 1, v4
	s_and_saveexec_b64 s[2:3], s[20:21]
	s_cbranch_execz .LBB52_11
; %bb.10:
	s_load_dwordx2 s[20:21], s[4:5], 0x0
	s_waitcnt lgkmcnt(0)
	s_ashr_i32 s11, s44, 31
	s_mul_hi_u32 s22, s10, s44
	s_mul_i32 s11, s10, s11
	s_add_i32 s11, s22, s11
	s_mul_i32 s10, s10, s44
	s_lshl_b64 s[10:11], s[10:11], 1
	s_add_u32 s20, s20, s10
	s_addc_u32 s21, s21, s11
	s_lshl_b32 s10, s8, 6
	s_ashr_i32 s11, s10, 31
	s_lshl_b64 s[10:11], s[10:11], 1
	s_add_u32 s10, s20, s10
	s_addc_u32 s11, s21, s11
	global_load_dwordx4 v[4:7], v1, s[10:11]
	v_and_b32_e32 v8, 3, v0
	v_lshlrev_b32_e32 v9, 9, v54
	v_lshlrev_b32_e32 v8, 9, v8
	s_movk_i32 s10, 0x1800
	v_and_or_b32 v8, v9, s10, v8
	s_waitcnt vmcnt(0)
	ds_write_b128 v8, v[4:7]
.LBB52_11:
	s_or_b64 exec, exec, s[2:3]
	s_waitcnt lgkmcnt(0)
	s_mul_i32 s2, s8, s46
	s_mov_b32 s3, 0
	s_lshl_b64 s[2:3], s[2:3], 1
	s_add_u32 s10, s12, s2
	v_lshlrev_b32_e32 v51, 4, v0
	s_addc_u32 s11, s13, s3
	v_and_b32_e32 v4, 0xf0, v51
	v_mov_b32_e32 v5, s11
	v_add_co_u32_e32 v27, vcc, s10, v4
	v_addc_co_u32_e32 v28, vcc, 0, v5, vcc
	s_waitcnt vmcnt(3)
	v_mad_i64_i32 v[4:5], s[10:11], v3, s45, 0
	v_lshlrev_b64 v[4:5], 1, v[4:5]
	v_add_co_u32_e32 v3, vcc, v27, v4
	v_addc_co_u32_e32 v4, vcc, v28, v5, vcc
	v_and_b32_e32 v29, 0x300, v51
	v_add_co_u32_e32 v16, vcc, v3, v29
	v_addc_co_u32_e32 v17, vcc, 0, v4, vcc
	s_barrier
	global_load_dwordx4 v[6:9], v[16:17], off
	s_waitcnt vmcnt(3)
	v_mad_i64_i32 v[2:3], s[10:11], v2, s45, 0
	v_lshlrev_b64 v[2:3], 1, v[2:3]
	v_add_co_u32_e32 v2, vcc, v27, v2
	v_addc_co_u32_e32 v3, vcc, v28, v3, vcc
	v_add_co_u32_e32 v22, vcc, v2, v29
	v_lshlrev_b32_e32 v18, 9, v50
	v_addc_co_u32_e32 v23, vcc, 0, v3, vcc
	global_load_dwordx4 v[10:13], v[22:23], off
	ds_read_b128 v[2:5], v18
	s_waitcnt vmcnt(3)
	v_mad_i64_i32 v[14:15], s[10:11], v14, s45, 0
	v_lshlrev_b64 v[24:25], 1, v[14:15]
	global_load_dwordx4 v[14:17], v[16:17], off offset:1024
	v_and_or_b32 v55, v0, 48, s16
	v_mov_b32_e32 v56, s19
	ds_read_b128 v[18:21], v18 offset:2048
	v_mov_b32_e32 v57, s18
	v_or_b32_e32 v60, 0x80, v55
	v_mov_b32_e32 v58, s18
	v_mov_b32_e32 v59, s18
	s_add_u32 s2, s14, s2
	s_addc_u32 s3, s15, s3
	s_mov_b32 s42, 0xff7fffff
	s_waitcnt vmcnt(2) lgkmcnt(1)
	v_mfma_f32_16x16x16f16 v[30:33], v[6:7], v[2:3], 0
	v_add_co_u32_e32 v6, vcc, v27, v24
	v_addc_co_u32_e32 v7, vcc, v28, v25, vcc
	global_load_dwordx4 v[22:25], v[22:23], off offset:1024
	v_add_co_u32_e32 v6, vcc, v6, v29
	v_addc_co_u32_e32 v7, vcc, 0, v7, vcc
	global_load_dwordx4 v[38:41], v[6:7], off
	global_load_dwordx4 v[42:45], v[6:7], off offset:1024
	s_waitcnt vmcnt(4)
	v_mfma_f32_16x16x16f16 v[34:37], v[10:11], v[2:3], 0
	v_mad_i64_i32 v[10:11], s[10:11], v26, s45, 0
	v_or_b32_e32 v26, 64, v55
	v_cmp_gt_i32_e32 vcc, s33, v55
	s_load_dword s10, s[4:5], 0x1c
	v_mfma_f32_16x16x16f16 v[6:9], v[8:9], v[4:5], v[30:33]
	s_nop 6
	v_ashrrev_i32_e32 v30, 4, v26
	s_waitcnt vmcnt(3) lgkmcnt(0)
	v_mfma_f32_16x16x16f16 v[6:9], v[14:15], v[18:19], v[6:9]
	v_ashrrev_i32_e32 v31, 4, v60
	s_waitcnt vmcnt(1)
	v_mfma_f32_16x16x16f16 v[46:49], v[38:39], v[2:3], 0
	v_lshlrev_b64 v[38:39], 1, v[10:11]
	v_ashrrev_i32_e32 v10, 4, v55
	v_cndmask_b32_e32 v10, v56, v10, vcc
	v_cmp_gt_i32_e32 vcc, s33, v26
	v_cndmask_b32_e32 v30, v56, v30, vcc
	v_add_co_u32_e32 v26, vcc, v27, v38
	v_ashrrev_i32_e32 v11, 31, v10
	v_addc_co_u32_e32 v27, vcc, v28, v39, vcc
	v_lshlrev_b64 v[32:33], 2, v[10:11]
	v_mfma_f32_16x16x16f16 v[10:13], v[12:13], v[4:5], v[34:37]
	s_nop 6
	v_add_co_u32_e32 v34, vcc, v26, v29
	v_addc_co_u32_e32 v35, vcc, 0, v27, vcc
	global_load_dwordx4 v[26:29], v[34:35], off
	v_add_co_u32_e32 v14, vcc, s17, v32
	v_addc_co_u32_e32 v15, vcc, v57, v33, vcc
	global_load_dword v38, v[14:15], off
	v_cmp_gt_i32_e32 vcc, s33, v60
	global_load_dwordx4 v[34:37], v[34:35], off offset:1024
	v_cndmask_b32_e32 v14, v56, v31, vcc
	v_ashrrev_i32_e32 v31, 31, v30
	v_mfma_f32_16x16x16f16 v[10:13], v[22:23], v[18:19], v[10:13]
	v_lshlrev_b64 v[22:23], 2, v[30:31]
	v_add_co_u32_e32 v22, vcc, s17, v22
	v_ashrrev_i32_e32 v15, 31, v14
	v_addc_co_u32_e32 v23, vcc, v58, v23, vcc
	global_load_dword v39, v[22:23], off
	v_mfma_f32_16x16x16f16 v[30:33], v[16:17], v[20:21], v[6:9]
	s_nop 6
	v_lshlrev_b64 v[6:7], 2, v[14:15]
	v_add_co_u32_e32 v6, vcc, s17, v6
	v_addc_co_u32_e32 v7, vcc, v59, v7, vcc
	global_load_dword v57, v[6:7], off
	v_mfma_f32_16x16x16f16 v[22:25], v[24:25], v[20:21], v[10:13]
	s_nop 6
	v_or_b32_e32 v10, 0xc0, v55
	v_ashrrev_i32_e32 v11, 4, v10
	v_cmp_gt_i32_e32 vcc, s33, v10
	v_cndmask_b32_e32 v10, v56, v11, vcc
	v_ashrrev_i32_e32 v11, 31, v10
	v_lshlrev_b64 v[10:11], 2, v[10:11]
	v_mov_b32_e32 v12, s18
	v_add_co_u32_e32 v10, vcc, s17, v10
	v_addc_co_u32_e32 v11, vcc, v12, v11, vcc
	global_load_dword v58, v[10:11], off
	v_mfma_f32_16x16x16f16 v[6:9], v[40:41], v[4:5], v[46:49]
	v_lshlrev_b32_e32 v55, 5, v54
	v_lshl_or_b32 v10, v52, 9, v55
	v_mov_b32_e32 v11, s3
	v_add_co_u32_e32 v59, vcc, s2, v10
	v_addc_co_u32_e32 v60, vcc, 0, v11, vcc
	s_waitcnt vmcnt(6)
	v_mfma_f32_16x16x16f16 v[6:9], v[42:43], v[18:19], v[6:9]
	v_pk_mul_f32 v[48:49], s[10:11], v[24:25] op_sel_hi:[0,1]
	v_pk_mul_f32 v[46:47], s[10:11], v[32:33] op_sel_hi:[0,1]
	v_lshlrev_b32_e32 v54, 2, v54
	v_mfma_f32_16x16x16f16 v[40:43], v[44:45], v[20:21], v[6:9]
	s_waitcnt vmcnt(4)
	s_nop 5
	v_mad_i64_i32 v[6:7], s[2:3], v38, s45, 0
	v_lshlrev_b64 v[10:11], 1, v[6:7]
	v_mfma_f32_16x16x16f16 v[6:9], v[26:27], v[2:3], 0
	v_add_co_u32_e32 v2, vcc, v59, v10
	v_addc_co_u32_e32 v3, vcc, v60, v11, vcc
	global_load_dwordx4 v[14:17], v[2:3], off
	global_load_dwordx4 v[10:13], v[2:3], off offset:16
	v_pk_mul_f32 v[44:45], s[10:11], v[42:43] op_sel_hi:[0,1]
	v_pk_mul_f32 v[42:43], s[10:11], v[40:41] op_sel_hi:[0,1]
	v_mfma_f32_16x16x16f16 v[26:29], v[28:29], v[4:5], v[6:9]
	s_waitcnt vmcnt(4)
	v_mad_i64_i32 v[2:3], s[2:3], v39, s45, 0
	v_lshlrev_b64 v[2:3], 1, v[2:3]
	v_add_co_u32_e32 v2, vcc, v59, v2
	v_addc_co_u32_e32 v3, vcc, v60, v3, vcc
	v_mfma_f32_16x16x16f16 v[26:29], v[34:35], v[18:19], v[26:29]
	v_pk_mul_f32 v[18:19], s[10:11], v[30:31] op_sel_hi:[0,1]
	global_load_dwordx4 v[6:9], v[2:3], off
	s_nop 0
	global_load_dwordx4 v[2:5], v[2:3], off offset:16
	s_waitcnt vmcnt(5)
	v_mad_i64_i32 v[38:39], s[2:3], v57, s45, 0
	v_lshlrev_b64 v[38:39], 1, v[38:39]
	v_add_co_u32_e32 v56, vcc, v59, v38
	v_addc_co_u32_e32 v57, vcc, v60, v39, vcc
	v_pk_mul_f32 v[38:39], s[10:11], v[22:23] op_sel_hi:[0,1]
	v_mfma_f32_16x16x16f16 v[20:23], v[36:37], v[20:21], v[26:29]
	s_nop 7
	s_nop 2
	v_pk_mul_f32 v[40:41], s[10:11], v[20:21] op_sel_hi:[0,1]
	v_and_b32_e32 v20, 0xc0, v0
	v_add_u32_e32 v20, s16, v20
	v_lshl_or_b32 v20, v50, 2, v20
	v_pk_mul_f32 v[34:35], s[10:11], v[22:23] op_sel_hi:[0,1]
	v_or_b32_e32 v23, 1, v20
	v_mov_b32_e32 v21, 0xff7fffff
	v_cmp_gt_i32_e64 s[30:31], s33, v20
	v_cmp_gt_i32_e64 s[34:35], s33, v23
	v_cndmask_b32_e64 v22, v21, v18, s[30:31]
	v_cndmask_b32_e64 v23, v21, v19, s[34:35]
	v_max3_f32 v22, v22, s42, v23
	v_or_b32_e32 v23, 2, v20
	v_or_b32_e32 v24, 3, v20
	v_cmp_gt_i32_e64 s[36:37], s33, v23
	v_cmp_gt_i32_e64 s[38:39], s33, v24
	v_cndmask_b32_e64 v23, v21, v46, s[36:37]
	v_cndmask_b32_e64 v24, v21, v47, s[38:39]
	v_max3_f32 v22, v22, v23, v24
	v_or_b32_e32 v23, 16, v20
	v_or_b32_e32 v24, 17, v20
	;; [unrolled: 7-line block ×7, first 2 shown]
	v_cmp_gt_i32_e32 vcc, s33, v23
	v_cmp_gt_i32_e64 s[2:3], s33, v20
	v_cndmask_b32_e32 v23, v21, v34, vcc
	v_cndmask_b32_e64 v20, v21, v35, s[2:3]
	v_max3_f32 v26, v22, v23, v20
	v_mbcnt_lo_u32_b32 v20, -1, 0
	v_mbcnt_hi_u32_b32 v27, -1, v20
	v_and_b32_e32 v20, 64, v27
	v_add_u32_e32 v28, 64, v20
	v_xor_b32_e32 v20, 32, v27
	v_cmp_lt_i32_e64 s[40:41], v20, v28
	v_cndmask_b32_e64 v20, v27, v20, s[40:41]
	v_lshlrev_b32_e32 v61, 2, v20
	ds_bpermute_b32 v29, v61, v26
	s_waitcnt vmcnt(4)
	v_mad_i64_i32 v[20:21], s[40:41], v58, s45, 0
	global_load_dwordx4 v[30:33], v[56:57], off
	global_load_dwordx4 v[22:25], v[56:57], off offset:16
	v_lshlrev_b64 v[20:21], 1, v[20:21]
	s_waitcnt lgkmcnt(0)
	v_max_f32_e32 v29, v29, v29
	v_max_f32_e32 v26, v26, v29
	v_xor_b32_e32 v29, 16, v27
	v_cmp_lt_i32_e64 s[40:41], v29, v28
	v_cndmask_b32_e64 v27, v27, v29, s[40:41]
	v_lshlrev_b32_e32 v58, 2, v27
	ds_bpermute_b32 v27, v58, v26
	v_add_co_u32_e64 v20, s[40:41], v59, v20
	v_addc_co_u32_e64 v21, s[40:41], v60, v21, s[40:41]
	s_waitcnt lgkmcnt(0)
	v_max_f32_e32 v27, v27, v27
	v_max_f32_e32 v56, v26, v27
	v_sub_f32_e32 v18, v18, v56
	v_mul_f32_e32 v18, 0x3fb8aa3b, v18
	v_exp_f32_e32 v36, v18
	v_sub_f32_e32 v18, v19, v56
	v_mul_f32_e32 v18, 0x3fb8aa3b, v18
	v_exp_f32_e32 v37, v18
	global_load_dwordx4 v[26:29], v[20:21], off
	s_nop 0
	global_load_dwordx4 v[18:21], v[20:21], off offset:16
	v_sub_f32_e32 v46, v46, v56
	v_mul_f32_e32 v46, 0x3fb8aa3b, v46
	v_sub_f32_e32 v47, v47, v56
	v_exp_f32_e32 v46, v46
	v_mul_f32_e32 v47, 0x3fb8aa3b, v47
	v_sub_f32_e32 v38, v38, v56
	v_exp_f32_e32 v47, v47
	v_mul_f32_e32 v38, 0x3fb8aa3b, v38
	v_sub_f32_e32 v39, v39, v56
	v_cndmask_b32_e64 v36, 0, v36, s[30:31]
	v_exp_f32_e32 v38, v38
	v_mul_f32_e32 v39, 0x3fb8aa3b, v39
	v_sub_f32_e32 v48, v48, v56
	v_add_f32_e32 v57, 0, v36
	v_cndmask_b32_e64 v37, 0, v37, s[34:35]
	v_exp_f32_e32 v39, v39
	v_mul_f32_e32 v48, 0x3fb8aa3b, v48
	v_sub_f32_e32 v49, v49, v56
	v_add_f32_e32 v57, v57, v37
	;; [unrolled: 5-line block ×10, first 2 shown]
	v_cndmask_b32_e64 v44, 0, v44, s[12:13]
	v_exp_f32_e32 v34, v34
	v_mul_f32_e32 v35, 0x3fb8aa3b, v35
	v_add_f32_e32 v57, v57, v44
	v_cndmask_b32_e64 v45, 0, v45, s[14:15]
	v_exp_f32_e32 v35, v35
	v_add_f32_e32 v57, v57, v45
	v_cndmask_b32_e64 v40, 0, v40, s[28:29]
	v_add_f32_e32 v57, v57, v40
	v_cndmask_b32_e64 v41, 0, v41, s[10:11]
	v_add_f32_e32 v57, v57, v41
	v_cndmask_b32_e32 v34, 0, v34, vcc
	v_add_f32_e32 v57, v57, v34
	v_cndmask_b32_e64 v35, 0, v35, s[2:3]
	v_add_f32_e32 v57, v57, v35
	ds_bpermute_b32 v59, v61, v57
	v_cmp_gt_u32_e64 s[2:3], 16, v53
	s_waitcnt lgkmcnt(0)
	s_barrier
	v_add_f32_e32 v57, v57, v59
	ds_bpermute_b32 v58, v58, v57
	s_and_saveexec_b64 s[10:11], s[2:3]
	s_cbranch_execz .LBB52_13
; %bb.12:
	s_waitcnt lgkmcnt(0)
	v_add_f32_e32 v53, v57, v58
	v_lshl_or_b32 v57, v52, 6, v54
	ds_write2st64_b32 v57, v56, v53 offset1:1
.LBB52_13:
	s_or_b64 exec, exec, s[10:11]
	s_load_dwordx2 s[10:11], s[4:5], 0x94
	s_waitcnt lgkmcnt(0)
	s_barrier
	ds_read2_b32 v[56:57], v54 offset1:16
	ds_read2_b32 v[58:59], v54 offset0:32 offset1:48
	ds_read2_b32 v[60:61], v54 offset0:64 offset1:80
	s_waitcnt lgkmcnt(2)
	v_max3_f32 v53, v56, s42, v57
	s_waitcnt lgkmcnt(1)
	v_max3_f32 v53, v53, v58, v59
	v_sub_f32_e32 v56, v56, v53
	v_mul_f32_e32 v56, 0x3fb8aa3b, v56
	v_exp_f32_e32 v62, v56
	v_sub_f32_e32 v56, v57, v53
	v_mul_f32_e32 v56, 0x3fb8aa3b, v56
	v_exp_f32_e32 v63, v56
	;; [unrolled: 3-line block ×3, first 2 shown]
	ds_read2_b32 v[56:57], v54 offset0:96 offset1:112
	v_sub_f32_e32 v54, v59, v53
	v_mul_f32_e32 v54, 0x3fb8aa3b, v54
	v_exp_f32_e32 v59, v54
	s_waitcnt lgkmcnt(1)
	v_fma_f32 v54, v62, v60, 0
	v_fmac_f32_e32 v54, v63, v61
	s_waitcnt lgkmcnt(0)
	v_fmac_f32_e32 v54, v58, v56
	v_fmac_f32_e32 v54, v59, v57
	v_add_f32_e32 v57, 0x358637bd, v54
	v_div_scale_f32 v60, s[12:13], v57, v57, 1.0
	v_rcp_f32_e32 v61, v60
	s_barrier
	v_fma_f32 v64, -v60, v61, 1.0
	v_fmac_f32_e32 v61, v64, v61
	v_div_scale_f32 v64, vcc, 1.0, v57, 1.0
	v_mul_f32_e32 v65, v64, v61
	v_fma_f32 v66, -v60, v65, v64
	v_fmac_f32_e32 v65, v66, v61
	v_fma_f32 v60, -v60, v65, v64
	v_div_fmas_f32 v60, v60, v61, v65
	v_cmp_eq_u32_e32 vcc, 1, v52
	v_div_fixup_f32 v57, v60, v57, 1.0
	v_cndmask_b32_e32 v60, v62, v63, vcc
	v_cmp_eq_u32_e32 vcc, 2, v52
	v_cndmask_b32_e32 v58, v60, v58, vcc
	v_cmp_eq_u32_e32 vcc, 3, v52
	v_cndmask_b32_e32 v58, v58, v59, vcc
	v_mul_f32_e32 v58, v58, v57
	v_pk_mul_f32 v[36:37], v[58:59], v[36:37] op_sel_hi:[0,1]
	v_cvt_f16_f32_e32 v36, v36
	v_cvt_f16_f32_e32 v37, v37
	v_pk_mul_f32 v[46:47], v[58:59], v[46:47] op_sel_hi:[0,1]
	v_cvt_f16_f32_e32 v57, v46
	v_cvt_f16_f32_e32 v47, v47
	v_pack_b32_f16 v46, v36, v37
	v_pk_mul_f32 v[36:37], v[58:59], v[48:49] op_sel_hi:[0,1]
	v_pk_mul_f32 v[38:39], v[58:59], v[38:39] op_sel_hi:[0,1]
	v_cvt_f16_f32_e32 v38, v38
	v_cvt_f16_f32_e32 v39, v39
	;; [unrolled: 1-line block ×4, first 2 shown]
	v_pack_b32_f16 v47, v57, v47
	v_lshlrev_b32_e32 v57, 3, v50
	v_lshlrev_b32_e32 v36, 11, v52
	v_or3_b32 v36, v36, v55, v57
	v_pack_b32_f16 v38, v38, v39
	v_pack_b32_f16 v39, v48, v37
	ds_write2st64_b64 v36, v[46:47], v[38:39] offset1:1
	v_pk_mul_f32 v[38:39], v[58:59], v[44:45] op_sel_hi:[0,1]
	v_pk_mul_f32 v[42:43], v[58:59], v[42:43] op_sel_hi:[0,1]
	v_cvt_f16_f32_e32 v37, v42
	v_cvt_f16_f32_e32 v42, v43
	;; [unrolled: 1-line block ×4, first 2 shown]
	v_pk_mul_f32 v[34:35], v[58:59], v[34:35] op_sel_hi:[0,1]
	v_pk_mul_f32 v[38:39], v[58:59], v[40:41] op_sel_hi:[0,1]
	v_cvt_f16_f32_e32 v38, v38
	v_cvt_f16_f32_e32 v39, v39
	;; [unrolled: 1-line block ×4, first 2 shown]
	v_mov_b32_e32 v56, 0
	v_pack_b32_f16 v34, v37, v42
	v_pack_b32_f16 v35, v43, v44
	v_pack_b32_f16 v38, v38, v39
	v_pack_b32_f16 v39, v40, v41
	v_cmp_eq_u32_e32 vcc, 0, v0
	ds_write2st64_b64 v36, v[34:35], v[38:39] offset0:2 offset1:3
	s_and_saveexec_b64 s[12:13], vcc
	s_cbranch_execz .LBB52_15
; %bb.14:
	s_mul_i32 s7, s7, s11
	s_mul_hi_u32 s14, s6, s11
	s_add_i32 s14, s14, s7
	s_mul_i32 s7, s6, s11
	s_add_u32 s7, s7, s8
	s_addc_u32 s14, s14, 0
	s_load_dwordx4 s[16:19], s[4:5], 0x58
	s_mul_i32 s14, s14, s10
	s_mul_hi_u32 s15, s7, s10
	s_add_i32 s15, s15, s14
	s_mul_i32 s7, s7, s10
	s_add_u32 s14, s7, s9
	s_addc_u32 s15, s15, 0
	s_lshl_b64 s[14:15], s[14:15], 2
	s_waitcnt lgkmcnt(0)
	s_add_u32 s18, s18, s14
	s_addc_u32 s19, s19, s15
	s_add_u32 s14, s16, s14
	s_addc_u32 s15, s17, s15
	global_store_dword v56, v53, s[18:19]
	global_store_dword v56, v54, s[14:15]
.LBB52_15:
	s_or_b64 exec, exec, s[12:13]
	v_lshl_or_b32 v34, v50, 9, v55
	s_waitcnt lgkmcnt(0)
	s_barrier
	ds_read_b128 v[38:41], v34
	ds_read_b128 v[42:45], v34 offset:16
	s_waitcnt vmcnt(7) lgkmcnt(1)
	v_mfma_f32_16x16x16f16 v[46:49], v[14:15], v[38:39], 0
	v_cmp_gt_u32_e32 vcc, 64, v0
	s_and_b64 s[0:1], s[0:1], vcc
	s_mov_b32 s7, 0
	s_and_b64 s[0:1], s[0:1], s[2:3]
	v_mfma_f32_16x16x16f16 v[14:17], v[16:17], v[40:41], v[46:49]
	s_waitcnt vmcnt(6) lgkmcnt(0)
	v_mfma_f32_16x16x16f16 v[14:17], v[10:11], v[42:43], v[14:17]
	v_mfma_f32_16x16x16f16 v[10:13], v[12:13], v[44:45], v[14:17]
	s_nop 7
	s_nop 1
	ds_read_b128 v[14:17], v34 offset:2048
	ds_read_b128 v[38:41], v34 offset:2064
	s_waitcnt vmcnt(5) lgkmcnt(1)
	v_mfma_f32_16x16x16f16 v[10:13], v[6:7], v[14:15], v[10:13]
	v_mfma_f32_16x16x16f16 v[6:9], v[8:9], v[16:17], v[10:13]
	s_waitcnt vmcnt(4) lgkmcnt(0)
	v_mfma_f32_16x16x16f16 v[6:9], v[2:3], v[38:39], v[6:9]
	v_mfma_f32_16x16x16f16 v[2:5], v[4:5], v[40:41], v[6:9]
	s_nop 7
	s_nop 1
	ds_read_b128 v[6:9], v34 offset:4096
	ds_read_b128 v[10:13], v34 offset:4112
	s_waitcnt vmcnt(3) lgkmcnt(1)
	v_mfma_f32_16x16x16f16 v[2:5], v[30:31], v[6:7], v[2:5]
	v_mfma_f32_16x16x16f16 v[2:5], v[32:33], v[8:9], v[2:5]
	s_waitcnt vmcnt(2) lgkmcnt(0)
	v_mfma_f32_16x16x16f16 v[2:5], v[22:23], v[10:11], v[2:5]
	v_mfma_f32_16x16x16f16 v[2:5], v[24:25], v[12:13], v[2:5]
	ds_read_b128 v[6:9], v34 offset:6144
	ds_read_b128 v[10:13], v34 offset:6160
	s_waitcnt lgkmcnt(0)
	s_barrier
	s_waitcnt vmcnt(1)
	v_mfma_f32_16x16x16f16 v[2:5], v[26:27], v[6:7], v[2:5]
	v_mfma_f32_16x16x16f16 v[2:5], v[28:29], v[8:9], v[2:5]
	s_waitcnt vmcnt(0)
	v_mfma_f32_16x16x16f16 v[2:5], v[18:19], v[10:11], v[2:5]
	v_mfma_f32_16x16x16f16 v[2:5], v[20:21], v[12:13], v[2:5]
	s_nop 7
	s_nop 2
	v_cvt_f16_f32_e32 v2, v2
	v_cvt_f16_f32_e32 v3, v3
	v_cvt_f16_f32_e32 v4, v4
	v_cvt_f16_f32_e32 v5, v5
	v_pack_b32_f16 v2, v2, v3
	v_pack_b32_f16 v3, v4, v5
	ds_write_b64 v36, v[2:3]
	s_waitcnt lgkmcnt(0)
	s_barrier
	s_and_saveexec_b64 s[2:3], s[0:1]
	s_cbranch_execz .LBB52_17
; %bb.16:
	s_load_dwordx2 s[0:1], s[4:5], 0x68
	s_mul_i32 s2, s11, s6
	s_lshl_b32 s4, s10, 6
	s_mul_hi_u32 s3, s2, s4
	s_mul_i32 s2, s2, s4
	s_lshl_b64 s[2:3], s[2:3], 1
	v_lshlrev_b32_e32 v0, 10, v0
	s_waitcnt lgkmcnt(0)
	s_add_u32 s2, s0, s2
	v_and_b32_e32 v0, 0x1800, v0
	v_lshlrev_b32_e32 v2, 5, v50
	v_and_b32_e32 v3, 16, v51
	s_addc_u32 s3, s1, s3
	s_lshl_b32 s6, s9, 6
	v_or3_b32 v0, v0, v2, v3
	s_lshl_b64 s[0:1], s[6:7], 1
	ds_read_b128 v[2:5], v0
	s_add_u32 s2, s2, s0
	s_addc_u32 s3, s3, s1
	s_mul_hi_u32 s1, s4, s8
	s_mul_i32 s0, s4, s8
	s_lshl_b64 s[0:1], s[0:1], 1
	s_add_u32 s0, s2, s0
	s_addc_u32 s1, s3, s1
	s_waitcnt lgkmcnt(0)
	global_store_dwordx4 v1, v[2:5], s[0:1]
.LBB52_17:
	s_endpgm
	.section	.rodata,"a",@progbits
	.p2align	6, 0x0
	.amdhsa_kernel _Z39paged_attention_ll4mi_QKV_mfma16_kernelIDF16_DF16_LN4vllm18Fp8KVCacheDataTypeE0EDF16_Li16ELi64ELi256ELb0ELi1EL8MFMAType0EEvPKT_PKT0_S8_ifPKiSA_SA_iPKfiiiPfSD_PS3_PT2_iSC_SC_
		.amdhsa_group_segment_fixed_size 8192
		.amdhsa_private_segment_fixed_size 0
		.amdhsa_kernarg_size 400
		.amdhsa_user_sgpr_count 6
		.amdhsa_user_sgpr_private_segment_buffer 1
		.amdhsa_user_sgpr_dispatch_ptr 0
		.amdhsa_user_sgpr_queue_ptr 0
		.amdhsa_user_sgpr_kernarg_segment_ptr 1
		.amdhsa_user_sgpr_dispatch_id 0
		.amdhsa_user_sgpr_flat_scratch_init 0
		.amdhsa_user_sgpr_kernarg_preload_length 0
		.amdhsa_user_sgpr_kernarg_preload_offset 0
		.amdhsa_user_sgpr_private_segment_size 0
		.amdhsa_uses_dynamic_stack 0
		.amdhsa_system_sgpr_private_segment_wavefront_offset 0
		.amdhsa_system_sgpr_workgroup_id_x 1
		.amdhsa_system_sgpr_workgroup_id_y 1
		.amdhsa_system_sgpr_workgroup_id_z 1
		.amdhsa_system_sgpr_workgroup_info 0
		.amdhsa_system_vgpr_workitem_id 0
		.amdhsa_next_free_vgpr 67
		.amdhsa_next_free_sgpr 48
		.amdhsa_accum_offset 68
		.amdhsa_reserve_vcc 1
		.amdhsa_reserve_flat_scratch 0
		.amdhsa_float_round_mode_32 0
		.amdhsa_float_round_mode_16_64 0
		.amdhsa_float_denorm_mode_32 3
		.amdhsa_float_denorm_mode_16_64 3
		.amdhsa_dx10_clamp 1
		.amdhsa_ieee_mode 1
		.amdhsa_fp16_overflow 0
		.amdhsa_tg_split 0
		.amdhsa_exception_fp_ieee_invalid_op 0
		.amdhsa_exception_fp_denorm_src 0
		.amdhsa_exception_fp_ieee_div_zero 0
		.amdhsa_exception_fp_ieee_overflow 0
		.amdhsa_exception_fp_ieee_underflow 0
		.amdhsa_exception_fp_ieee_inexact 0
		.amdhsa_exception_int_div_zero 0
	.end_amdhsa_kernel
	.section	.text._Z39paged_attention_ll4mi_QKV_mfma16_kernelIDF16_DF16_LN4vllm18Fp8KVCacheDataTypeE0EDF16_Li16ELi64ELi256ELb0ELi1EL8MFMAType0EEvPKT_PKT0_S8_ifPKiSA_SA_iPKfiiiPfSD_PS3_PT2_iSC_SC_,"axG",@progbits,_Z39paged_attention_ll4mi_QKV_mfma16_kernelIDF16_DF16_LN4vllm18Fp8KVCacheDataTypeE0EDF16_Li16ELi64ELi256ELb0ELi1EL8MFMAType0EEvPKT_PKT0_S8_ifPKiSA_SA_iPKfiiiPfSD_PS3_PT2_iSC_SC_,comdat
.Lfunc_end52:
	.size	_Z39paged_attention_ll4mi_QKV_mfma16_kernelIDF16_DF16_LN4vllm18Fp8KVCacheDataTypeE0EDF16_Li16ELi64ELi256ELb0ELi1EL8MFMAType0EEvPKT_PKT0_S8_ifPKiSA_SA_iPKfiiiPfSD_PS3_PT2_iSC_SC_, .Lfunc_end52-_Z39paged_attention_ll4mi_QKV_mfma16_kernelIDF16_DF16_LN4vllm18Fp8KVCacheDataTypeE0EDF16_Li16ELi64ELi256ELb0ELi1EL8MFMAType0EEvPKT_PKT0_S8_ifPKiSA_SA_iPKfiiiPfSD_PS3_PT2_iSC_SC_
                                        ; -- End function
	.section	.AMDGPU.csdata,"",@progbits
; Kernel info:
; codeLenInByte = 3788
; NumSgprs: 52
; NumVgprs: 67
; NumAgprs: 0
; TotalNumVgprs: 67
; ScratchSize: 0
; MemoryBound: 0
; FloatMode: 240
; IeeeMode: 1
; LDSByteSize: 8192 bytes/workgroup (compile time only)
; SGPRBlocks: 6
; VGPRBlocks: 8
; NumSGPRsForWavesPerEU: 52
; NumVGPRsForWavesPerEU: 67
; AccumOffset: 68
; Occupancy: 7
; WaveLimiterHint : 1
; COMPUTE_PGM_RSRC2:SCRATCH_EN: 0
; COMPUTE_PGM_RSRC2:USER_SGPR: 6
; COMPUTE_PGM_RSRC2:TRAP_HANDLER: 0
; COMPUTE_PGM_RSRC2:TGID_X_EN: 1
; COMPUTE_PGM_RSRC2:TGID_Y_EN: 1
; COMPUTE_PGM_RSRC2:TGID_Z_EN: 1
; COMPUTE_PGM_RSRC2:TIDIG_COMP_CNT: 0
; COMPUTE_PGM_RSRC3_GFX90A:ACCUM_OFFSET: 16
; COMPUTE_PGM_RSRC3_GFX90A:TG_SPLIT: 0
	.section	.text._Z39paged_attention_ll4mi_QKV_mfma16_kernelIDF16_DF16_LN4vllm18Fp8KVCacheDataTypeE0EDF16_Li16ELi64ELi256ELb0ELi2EL8MFMAType0EEvPKT_PKT0_S8_ifPKiSA_SA_iPKfiiiPfSD_PS3_PT2_iSC_SC_,"axG",@progbits,_Z39paged_attention_ll4mi_QKV_mfma16_kernelIDF16_DF16_LN4vllm18Fp8KVCacheDataTypeE0EDF16_Li16ELi64ELi256ELb0ELi2EL8MFMAType0EEvPKT_PKT0_S8_ifPKiSA_SA_iPKfiiiPfSD_PS3_PT2_iSC_SC_,comdat
	.protected	_Z39paged_attention_ll4mi_QKV_mfma16_kernelIDF16_DF16_LN4vllm18Fp8KVCacheDataTypeE0EDF16_Li16ELi64ELi256ELb0ELi2EL8MFMAType0EEvPKT_PKT0_S8_ifPKiSA_SA_iPKfiiiPfSD_PS3_PT2_iSC_SC_ ; -- Begin function _Z39paged_attention_ll4mi_QKV_mfma16_kernelIDF16_DF16_LN4vllm18Fp8KVCacheDataTypeE0EDF16_Li16ELi64ELi256ELb0ELi2EL8MFMAType0EEvPKT_PKT0_S8_ifPKiSA_SA_iPKfiiiPfSD_PS3_PT2_iSC_SC_
	.globl	_Z39paged_attention_ll4mi_QKV_mfma16_kernelIDF16_DF16_LN4vllm18Fp8KVCacheDataTypeE0EDF16_Li16ELi64ELi256ELb0ELi2EL8MFMAType0EEvPKT_PKT0_S8_ifPKiSA_SA_iPKfiiiPfSD_PS3_PT2_iSC_SC_
	.p2align	8
	.type	_Z39paged_attention_ll4mi_QKV_mfma16_kernelIDF16_DF16_LN4vllm18Fp8KVCacheDataTypeE0EDF16_Li16ELi64ELi256ELb0ELi2EL8MFMAType0EEvPKT_PKT0_S8_ifPKiSA_SA_iPKfiiiPfSD_PS3_PT2_iSC_SC_,@function
_Z39paged_attention_ll4mi_QKV_mfma16_kernelIDF16_DF16_LN4vllm18Fp8KVCacheDataTypeE0EDF16_Li16ELi64ELi256ELb0ELi2EL8MFMAType0EEvPKT_PKT0_S8_ifPKiSA_SA_iPKfiiiPfSD_PS3_PT2_iSC_SC_: ; @_Z39paged_attention_ll4mi_QKV_mfma16_kernelIDF16_DF16_LN4vllm18Fp8KVCacheDataTypeE0EDF16_Li16ELi64ELi256ELb0ELi2EL8MFMAType0EEvPKT_PKT0_S8_ifPKiSA_SA_iPKfiiiPfSD_PS3_PT2_iSC_SC_
; %bb.0:
	s_load_dwordx2 s[0:1], s[4:5], 0x30
	s_mov_b32 s28, s7
	s_mov_b64 s[10:11], 0
	s_waitcnt lgkmcnt(0)
	s_cmp_lg_u64 s[0:1], 0
	s_cselect_b64 s[2:3], -1, 0
	s_and_b64 vcc, exec, s[2:3]
	s_cbranch_vccz .LBB53_7
; %bb.1:
	s_add_i32 s12, s6, 1
	s_mov_b32 s13, 0
	s_lshl_b64 s[14:15], s[12:13], 2
	s_add_u32 s14, s0, s14
	s_mov_b32 s7, s13
	s_addc_u32 s15, s1, s15
	s_lshl_b64 s[12:13], s[6:7], 2
	s_add_u32 s12, s0, s12
	s_addc_u32 s13, s1, s13
	s_load_dword s9, s[14:15], 0x0
	s_load_dword s16, s[12:13], 0x0
	s_waitcnt lgkmcnt(0)
	s_sub_i32 s9, s9, s16
	s_cmp_eq_u32 s9, 1
	s_cselect_b64 s[12:13], -1, 0
	s_andn2_b64 vcc, exec, s[10:11]
	s_cbranch_vccnz .LBB53_3
.LBB53_2:
	s_mov_b32 s7, 0
	s_mov_b64 s[12:13], -1
.LBB53_3:
	s_andn2_b64 vcc, exec, s[12:13]
	s_cbranch_vccnz .LBB53_17
; %bb.4:
	s_load_dwordx2 s[12:13], s[4:5], 0x28
	s_lshl_b64 s[10:11], s[6:7], 2
	s_waitcnt lgkmcnt(0)
	s_add_u32 s12, s12, s10
	s_addc_u32 s13, s13, s11
	s_load_dword s40, s[12:13], 0x0
	s_lshl_b32 s16, s28, 8
	s_waitcnt lgkmcnt(0)
	s_cmp_ge_i32 s16, s40
	s_cbranch_scc1 .LBB53_17
; %bb.5:
	s_add_i32 s14, s40, 15
	s_load_dwordx2 s[12:13], s[4:5], 0x20
	s_load_dword s9, s[4:5], 0x38
	s_ashr_i32 s15, s14, 31
	v_and_b32_e32 v1, 0xcf, v0
	s_lshr_b32 s15, s15, 28
	v_add_u32_e32 v1, s16, v1
	s_add_i32 s14, s14, s15
	v_ashrrev_i32_e32 v2, 31, v1
	s_ashr_i32 s19, s14, 4
	v_lshrrev_b32_e32 v10, 28, v2
	s_add_i32 s19, s19, -1
	v_add_u32_e32 v2, v1, v10
	s_waitcnt lgkmcnt(0)
	s_mul_i32 s14, s6, s9
	s_mov_b32 s15, 0
	v_ashrrev_i32_e32 v2, 4, v2
	v_mov_b32_e32 v11, s19
	v_cmp_gt_i32_e32 vcc, s40, v1
	s_lshl_b64 s[14:15], s[14:15], 2
	v_cndmask_b32_e32 v2, v11, v2, vcc
	s_add_u32 s17, s12, s14
	v_ashrrev_i32_e32 v3, 31, v2
	s_addc_u32 s18, s13, s15
	v_lshlrev_b64 v[2:3], 2, v[2:3]
	v_mov_b32_e32 v5, s18
	v_add_co_u32_e32 v4, vcc, s17, v2
	v_or_b32_e32 v2, 16, v1
	v_addc_co_u32_e32 v5, vcc, v5, v3, vcc
	v_add_u32_e32 v3, v2, v10
	v_ashrrev_i32_e32 v3, 4, v3
	v_cmp_gt_i32_e32 vcc, s40, v2
	v_cndmask_b32_e32 v2, v11, v3, vcc
	v_ashrrev_i32_e32 v3, 31, v2
	v_lshlrev_b64 v[2:3], 2, v[2:3]
	v_mov_b32_e32 v7, s18
	v_add_co_u32_e32 v6, vcc, s17, v2
	v_or_b32_e32 v2, 32, v1
	v_addc_co_u32_e32 v7, vcc, v7, v3, vcc
	v_add_u32_e32 v3, v2, v10
	v_ashrrev_i32_e32 v3, 4, v3
	v_cmp_gt_i32_e32 vcc, s40, v2
	v_cndmask_b32_e32 v2, v11, v3, vcc
	v_ashrrev_i32_e32 v3, 31, v2
	;; [unrolled: 10-line block ×3, first 2 shown]
	v_lshlrev_b64 v[2:3], 2, v[2:3]
	v_mov_b32_e32 v1, s18
	v_add_co_u32_e32 v10, vcc, s17, v2
	v_addc_co_u32_e32 v11, vcc, v1, v3, vcc
	global_load_dword v3, v[4:5], off
	global_load_dword v2, v[6:7], off
	;; [unrolled: 1-line block ×4, first 2 shown]
	s_load_dwordx4 s[12:15], s[4:5], 0x8
	s_andn2_b64 vcc, exec, s[2:3]
	s_cbranch_vccnz .LBB53_8
; %bb.6:
	s_add_u32 s0, s0, s10
	s_addc_u32 s1, s1, s11
	s_load_dword s9, s[0:1], 0x0
	s_branch .LBB53_9
.LBB53_7:
	s_mov_b64 s[12:13], 0
	s_branch .LBB53_2
.LBB53_8:
	s_mov_b32 s9, s6
.LBB53_9:
	s_load_dwordx4 s[44:47], s[4:5], 0x48
	v_lshrrev_b32_e32 v53, 6, v0
	v_bfe_u32 v1, v0, 4, 2
	v_lshl_or_b32 v4, v53, 2, v1
	v_and_b32_e32 v54, 15, v0
	v_lshlrev_b32_e32 v5, 3, v54
	v_cmp_gt_u32_e32 vcc, 2, v4
	v_cmp_gt_u32_e64 s[0:1], 8, v54
	v_and_b32_e32 v51, 63, v0
	s_lshl_b32 s29, s8, 1
	s_and_b64 s[10:11], s[0:1], vcc
	v_lshlrev_b32_e32 v50, 1, v5
	s_and_saveexec_b64 s[2:3], s[10:11]
	s_cbranch_execz .LBB53_11
; %bb.10:
	s_load_dwordx2 s[10:11], s[4:5], 0x0
	s_waitcnt lgkmcnt(0)
	s_ashr_i32 s20, s44, 31
	s_mul_hi_u32 s21, s9, s44
	s_mul_i32 s20, s9, s20
	s_add_i32 s21, s21, s20
	s_mul_i32 s20, s9, s44
	s_lshl_b64 s[20:21], s[20:21], 1
	v_add_lshl_u32 v6, v1, s29, 6
	s_add_u32 s9, s10, s20
	v_ashrrev_i32_e32 v7, 31, v6
	s_addc_u32 s10, s11, s21
	v_lshlrev_b64 v[6:7], 1, v[6:7]
	v_mov_b32_e32 v5, s10
	v_add_co_u32_e32 v6, vcc, s9, v6
	v_addc_co_u32_e32 v5, vcc, v5, v7, vcc
	v_add_co_u32_e32 v6, vcc, v6, v50
	v_addc_co_u32_e32 v7, vcc, 0, v5, vcc
	global_load_dwordx4 v[6:9], v[6:7], off
	v_and_b32_e32 v5, 3, v0
	v_lshlrev_b32_e32 v10, 9, v54
	v_lshlrev_b32_e32 v4, 5, v4
	;; [unrolled: 1-line block ×3, first 2 shown]
	v_and_b32_e32 v10, 0x1800, v10
	v_or3_b32 v4, v10, v5, v4
	s_waitcnt vmcnt(0)
	ds_write_b128 v4, v[6:9]
.LBB53_11:
	s_or_b64 exec, exec, s[2:3]
	s_waitcnt lgkmcnt(0)
	s_mul_i32 s8, s8, s46
	s_mov_b32 s9, 0
	s_lshl_b64 s[8:9], s[8:9], 1
	s_add_u32 s3, s12, s8
	v_lshlrev_b32_e32 v52, 4, v0
	s_addc_u32 s10, s13, s9
	v_and_b32_e32 v4, 0xf0, v52
	v_mov_b32_e32 v5, s10
	v_add_co_u32_e32 v29, vcc, s3, v4
	v_addc_co_u32_e32 v30, vcc, 0, v5, vcc
	s_waitcnt vmcnt(3)
	v_mad_i64_i32 v[4:5], s[10:11], v3, s45, 0
	v_lshlrev_b64 v[4:5], 1, v[4:5]
	v_add_co_u32_e32 v3, vcc, v29, v4
	v_addc_co_u32_e32 v5, vcc, v30, v5, vcc
	v_and_b32_e32 v31, 0x300, v52
	v_add_co_u32_e32 v4, vcc, v3, v31
	v_addc_co_u32_e32 v5, vcc, 0, v5, vcc
	s_load_dword s33, s[4:5], 0x98
	s_load_dword s2, s[4:5], 0x1c
	s_waitcnt lgkmcnt(0)
	s_barrier
	global_load_dwordx4 v[6:9], v[4:5], off
	s_waitcnt vmcnt(3)
	v_mad_i64_i32 v[2:3], s[10:11], v2, s45, 0
	v_lshlrev_b64 v[2:3], 1, v[2:3]
	v_add_co_u32_e32 v2, vcc, v29, v2
	v_addc_co_u32_e32 v3, vcc, v30, v3, vcc
	v_add_co_u32_e32 v2, vcc, v2, v31
	v_addc_co_u32_e32 v3, vcc, 0, v3, vcc
	global_load_dwordx4 v[22:25], v[2:3], off
	global_load_dwordx4 v[10:13], v[4:5], off offset:1024
	global_load_dwordx4 v[14:17], v[2:3], off offset:1024
	v_and_b32_e32 v2, 1, v0
	v_lshlrev_b32_e32 v2, 5, v2
	v_lshl_or_b32 v20, v1, 9, v2
	ds_read_b128 v[2:5], v20
	s_waitcnt vmcnt(5)
	v_mad_i64_i32 v[18:19], s[10:11], v18, s45, 0
	v_lshlrev_b64 v[26:27], 1, v[18:19]
	ds_read_b128 v[18:21], v20 offset:2048
	v_and_or_b32 v55, v0, 48, s16
	v_mov_b32_e32 v60, s19
	v_mov_b32_e32 v49, s18
	v_or_b32_e32 v57, 0x80, v55
	v_mov_b32_e32 v56, s18
	v_mov_b32_e32 v61, s18
	s_add_u32 s3, s14, s8
	s_addc_u32 s8, s15, s9
	s_mov_b32 s42, 0xff7fffff
	s_waitcnt vmcnt(2) lgkmcnt(1)
	v_mfma_f32_16x16x16f16 v[36:39], v[22:23], v[2:3], 0
	v_mad_i64_i32 v[22:23], s[10:11], v28, s45, 0
	v_lshlrev_b64 v[44:45], 1, v[22:23]
	v_ashrrev_i32_e32 v22, 4, v55
	v_or_b32_e32 v28, 64, v55
	v_mfma_f32_16x16x16f16 v[32:35], v[6:7], v[2:3], 0
	v_add_co_u32_e32 v6, vcc, v29, v26
	v_addc_co_u32_e32 v7, vcc, v30, v27, vcc
	v_add_co_u32_e32 v26, vcc, v6, v31
	v_addc_co_u32_e32 v27, vcc, 0, v7, vcc
	global_load_dwordx4 v[40:43], v[26:27], off
	v_mfma_f32_16x16x16f16 v[6:9], v[8:9], v[4:5], v[32:35]
	v_cmp_gt_i32_e32 vcc, s40, v55
	v_cndmask_b32_e32 v46, v60, v22, vcc
	v_cmp_gt_i32_e32 vcc, s40, v28
	v_ashrrev_i32_e32 v47, 31, v46
	s_nop 2
	global_load_dwordx4 v[32:35], v[26:27], off offset:1024
	v_mfma_f32_16x16x16f16 v[22:25], v[24:25], v[4:5], v[36:39]
	s_nop 6
	v_ashrrev_i32_e32 v36, 4, v28
	v_cndmask_b32_e32 v48, v60, v36, vcc
	s_waitcnt vmcnt(3) lgkmcnt(0)
	v_mfma_f32_16x16x16f16 v[6:9], v[10:11], v[18:19], v[6:9]
	v_add_co_u32_e32 v10, vcc, v29, v44
	v_addc_co_u32_e32 v11, vcc, v30, v45, vcc
	v_add_co_u32_e32 v10, vcc, v10, v31
	v_addc_co_u32_e32 v11, vcc, 0, v11, vcc
	v_lshlrev_b64 v[36:37], 2, v[46:47]
	global_load_dwordx4 v[26:29], v[10:11], off
	s_waitcnt vmcnt(3)
	v_mfma_f32_16x16x16f16 v[22:25], v[14:15], v[18:19], v[22:25]
	v_add_co_u32_e32 v14, vcc, s17, v36
	v_addc_co_u32_e32 v15, vcc, v49, v37, vcc
	global_load_dword v44, v[14:15], off
	v_ashrrev_i32_e32 v38, 4, v57
	v_cmp_gt_i32_e32 vcc, s40, v57
	v_ashrrev_i32_e32 v49, 31, v48
	v_cndmask_b32_e32 v14, v60, v38, vcc
	v_mfma_f32_16x16x16f16 v[36:39], v[12:13], v[20:21], v[6:9]
	v_ashrrev_i32_e32 v15, 31, v14
	v_mov_b32_e32 v12, s18
	s_nop 4
	v_lshlrev_b64 v[6:7], 2, v[48:49]
	v_add_co_u32_e32 v6, vcc, s17, v6
	v_addc_co_u32_e32 v7, vcc, v56, v7, vcc
	global_load_dwordx4 v[56:59], v[10:11], off offset:1024
	global_load_dword v45, v[6:7], off
	v_lshlrev_b64 v[6:7], 2, v[14:15]
	v_add_co_u32_e32 v10, vcc, s17, v6
	v_addc_co_u32_e32 v11, vcc, v61, v7, vcc
	s_waitcnt vmcnt(5)
	v_mfma_f32_16x16x16f16 v[6:9], v[40:41], v[2:3], 0
	global_load_dword v40, v[10:11], off
	v_or_b32_e32 v10, 0xc0, v55
	v_ashrrev_i32_e32 v11, 4, v10
	v_cmp_gt_i32_e32 vcc, s40, v10
	v_cndmask_b32_e32 v10, v60, v11, vcc
	v_ashrrev_i32_e32 v11, 31, v10
	v_lshlrev_b64 v[10:11], 2, v[10:11]
	v_mfma_f32_16x16x16f16 v[6:9], v[42:43], v[4:5], v[6:9]
	v_add_co_u32_e32 v10, vcc, s17, v10
	v_addc_co_u32_e32 v11, vcc, v12, v11, vcc
	global_load_dword v60, v[10:11], off
	v_lshlrev_b32_e32 v55, 5, v54
	v_lshl_or_b32 v10, v53, 9, v55
	s_waitcnt vmcnt(6)
	v_mfma_f32_16x16x16f16 v[6:9], v[32:33], v[18:19], v[6:9]
	v_mov_b32_e32 v11, s8
	v_add_co_u32_e32 v61, vcc, s3, v10
	v_addc_co_u32_e32 v62, vcc, 0, v11, vcc
	v_pk_mul_f32 v[46:47], s[2:3], v[38:39] op_sel_hi:[0,1]
	v_mfma_f32_16x16x16f16 v[30:33], v[34:35], v[20:21], v[6:9]
	s_waitcnt vmcnt(1)
	v_mad_i64_i32 v[34:35], s[8:9], v40, s45, 0
	s_nop 4
	v_mad_i64_i32 v[6:7], s[8:9], v44, s45, 0
	v_lshlrev_b64 v[10:11], 1, v[6:7]
	v_mfma_f32_16x16x16f16 v[6:9], v[26:27], v[2:3], 0
	v_add_co_u32_e32 v2, vcc, v61, v10
	v_addc_co_u32_e32 v3, vcc, v62, v11, vcc
	v_lshlrev_b64 v[34:35], 1, v[34:35]
	v_pk_mul_f32 v[42:43], s[2:3], v[30:31] op_sel_hi:[0,1]
	v_mfma_f32_16x16x16f16 v[26:29], v[28:29], v[4:5], v[6:9]
	v_mfma_f32_16x16x16f16 v[22:25], v[16:17], v[20:21], v[22:25]
	global_load_dwordx4 v[14:17], v[2:3], off
	global_load_dwordx4 v[10:13], v[2:3], off offset:16
	v_mad_i64_i32 v[2:3], s[8:9], v45, s45, 0
	v_lshlrev_b64 v[2:3], 1, v[2:3]
	v_add_co_u32_e32 v2, vcc, v61, v2
	v_addc_co_u32_e32 v3, vcc, v62, v3, vcc
	v_mfma_f32_16x16x16f16 v[26:29], v[56:57], v[18:19], v[26:29]
	s_nop 3
	v_pk_mul_f32 v[38:39], s[2:3], v[22:23] op_sel_hi:[0,1]
	v_add_co_u32_e32 v56, vcc, v61, v34
	v_addc_co_u32_e32 v57, vcc, v62, v35, vcc
	v_pk_mul_f32 v[18:19], s[2:3], v[36:37] op_sel_hi:[0,1]
	v_pk_mul_f32 v[48:49], s[2:3], v[24:25] op_sel_hi:[0,1]
	v_mfma_f32_16x16x16f16 v[20:23], v[58:59], v[20:21], v[26:29]
	v_pk_mul_f32 v[44:45], s[2:3], v[32:33] op_sel_hi:[0,1]
	global_load_dwordx4 v[6:9], v[2:3], off
	s_nop 0
	global_load_dwordx4 v[2:5], v[2:3], off offset:16
	s_nop 6
	v_pk_mul_f32 v[40:41], s[2:3], v[20:21] op_sel_hi:[0,1]
	v_and_b32_e32 v20, 0xc0, v0
	v_add_u32_e32 v20, s16, v20
	v_lshl_or_b32 v20, v1, 2, v20
	v_pk_mul_f32 v[34:35], s[2:3], v[22:23] op_sel_hi:[0,1]
	v_or_b32_e32 v23, 1, v20
	v_mov_b32_e32 v21, 0xff7fffff
	v_cmp_gt_i32_e64 s[30:31], s40, v20
	v_cmp_gt_i32_e64 s[34:35], s40, v23
	v_cndmask_b32_e64 v22, v21, v18, s[30:31]
	v_cndmask_b32_e64 v23, v21, v19, s[34:35]
	v_max3_f32 v22, v22, s42, v23
	v_or_b32_e32 v23, 2, v20
	v_or_b32_e32 v24, 3, v20
	v_cmp_gt_i32_e64 s[36:37], s40, v23
	v_cmp_gt_i32_e64 s[38:39], s40, v24
	v_cndmask_b32_e64 v23, v21, v46, s[36:37]
	v_cndmask_b32_e64 v24, v21, v47, s[38:39]
	v_max3_f32 v22, v22, v23, v24
	v_or_b32_e32 v23, 16, v20
	v_or_b32_e32 v24, 17, v20
	;; [unrolled: 7-line block ×7, first 2 shown]
	v_cmp_gt_i32_e32 vcc, s40, v23
	v_cmp_gt_i32_e64 s[2:3], s40, v20
	v_cndmask_b32_e32 v23, v21, v34, vcc
	v_cndmask_b32_e64 v20, v21, v35, s[2:3]
	v_max3_f32 v26, v22, v23, v20
	v_mbcnt_lo_u32_b32 v20, -1, 0
	v_mbcnt_hi_u32_b32 v27, -1, v20
	v_and_b32_e32 v20, 64, v27
	v_add_u32_e32 v28, 64, v20
	v_xor_b32_e32 v20, 32, v27
	v_cmp_lt_i32_e64 s[40:41], v20, v28
	v_cndmask_b32_e64 v20, v27, v20, s[40:41]
	v_lshlrev_b32_e32 v58, 2, v20
	ds_bpermute_b32 v29, v58, v26
	s_waitcnt vmcnt(4)
	v_mad_i64_i32 v[20:21], s[40:41], v60, s45, 0
	global_load_dwordx4 v[30:33], v[56:57], off
	global_load_dwordx4 v[22:25], v[56:57], off offset:16
	v_lshlrev_b64 v[20:21], 1, v[20:21]
	s_waitcnt lgkmcnt(0)
	v_max_f32_e32 v29, v29, v29
	v_max_f32_e32 v26, v26, v29
	v_xor_b32_e32 v29, 16, v27
	v_cmp_lt_i32_e64 s[40:41], v29, v28
	v_cndmask_b32_e64 v27, v27, v29, s[40:41]
	v_lshlrev_b32_e32 v57, 2, v27
	ds_bpermute_b32 v27, v57, v26
	v_add_co_u32_e64 v20, s[40:41], v61, v20
	v_addc_co_u32_e64 v21, s[40:41], v62, v21, s[40:41]
	s_waitcnt lgkmcnt(0)
	v_max_f32_e32 v27, v27, v27
	v_max_f32_e32 v56, v26, v27
	v_sub_f32_e32 v18, v18, v56
	v_mul_f32_e32 v18, 0x3fb8aa3b, v18
	v_exp_f32_e32 v36, v18
	v_sub_f32_e32 v18, v19, v56
	v_mul_f32_e32 v18, 0x3fb8aa3b, v18
	v_exp_f32_e32 v37, v18
	global_load_dwordx4 v[26:29], v[20:21], off
	s_nop 0
	global_load_dwordx4 v[18:21], v[20:21], off offset:16
	v_sub_f32_e32 v46, v46, v56
	v_mul_f32_e32 v46, 0x3fb8aa3b, v46
	v_sub_f32_e32 v47, v47, v56
	v_exp_f32_e32 v46, v46
	v_mul_f32_e32 v47, 0x3fb8aa3b, v47
	v_sub_f32_e32 v38, v38, v56
	v_exp_f32_e32 v47, v47
	v_mul_f32_e32 v38, 0x3fb8aa3b, v38
	v_sub_f32_e32 v39, v39, v56
	v_cndmask_b32_e64 v36, 0, v36, s[30:31]
	v_exp_f32_e32 v38, v38
	v_mul_f32_e32 v39, 0x3fb8aa3b, v39
	v_sub_f32_e32 v48, v48, v56
	v_add_f32_e32 v59, 0, v36
	v_cndmask_b32_e64 v37, 0, v37, s[34:35]
	v_exp_f32_e32 v39, v39
	v_mul_f32_e32 v48, 0x3fb8aa3b, v48
	v_sub_f32_e32 v49, v49, v56
	v_add_f32_e32 v59, v59, v37
	;; [unrolled: 5-line block ×10, first 2 shown]
	v_cndmask_b32_e64 v44, 0, v44, s[12:13]
	v_exp_f32_e32 v34, v34
	v_mul_f32_e32 v35, 0x3fb8aa3b, v35
	v_add_f32_e32 v59, v59, v44
	v_cndmask_b32_e64 v45, 0, v45, s[14:15]
	v_exp_f32_e32 v35, v35
	v_add_f32_e32 v59, v59, v45
	v_cndmask_b32_e64 v40, 0, v40, s[8:9]
	v_add_f32_e32 v59, v59, v40
	v_cndmask_b32_e64 v41, 0, v41, s[10:11]
	v_add_f32_e32 v59, v59, v41
	v_cndmask_b32_e32 v34, 0, v34, vcc
	v_add_f32_e32 v59, v59, v34
	v_cndmask_b32_e64 v35, 0, v35, s[2:3]
	v_add_f32_e32 v59, v59, v35
	ds_bpermute_b32 v58, v58, v59
	v_cmp_gt_u32_e32 vcc, 16, v51
	s_waitcnt lgkmcnt(0)
	s_barrier
	v_add_f32_e32 v58, v59, v58
	ds_bpermute_b32 v59, v57, v58
	v_lshlrev_b32_e32 v57, 2, v54
	s_and_saveexec_b64 s[2:3], vcc
	s_cbranch_execz .LBB53_13
; %bb.12:
	s_waitcnt lgkmcnt(0)
	v_add_f32_e32 v54, v58, v59
	v_lshl_or_b32 v58, v53, 6, v57
	ds_write2st64_b32 v58, v56, v54 offset1:1
.LBB53_13:
	s_or_b64 exec, exec, s[2:3]
	s_load_dword s8, s[4:5], 0x94
	s_waitcnt lgkmcnt(0)
	s_barrier
	ds_read2_b32 v[58:59], v57 offset1:16
	ds_read2_b32 v[60:61], v57 offset0:32 offset1:48
	ds_read2_b32 v[62:63], v57 offset0:64 offset1:80
	s_lshl_b32 s9, s33, 1
	s_waitcnt lgkmcnt(2)
	v_max3_f32 v54, v58, s42, v59
	s_waitcnt lgkmcnt(1)
	v_max3_f32 v54, v54, v60, v61
	v_sub_f32_e32 v56, v58, v54
	v_mul_f32_e32 v56, 0x3fb8aa3b, v56
	v_exp_f32_e32 v64, v56
	v_sub_f32_e32 v56, v59, v54
	v_mul_f32_e32 v56, 0x3fb8aa3b, v56
	v_exp_f32_e32 v65, v56
	v_sub_f32_e32 v56, v60, v54
	v_mul_f32_e32 v56, 0x3fb8aa3b, v56
	v_exp_f32_e32 v60, v56
	ds_read2_b32 v[58:59], v57 offset0:96 offset1:112
	v_sub_f32_e32 v56, v61, v54
	v_mul_f32_e32 v56, 0x3fb8aa3b, v56
	v_exp_f32_e32 v57, v56
	s_waitcnt lgkmcnt(1)
	v_fma_f32 v56, v64, v62, 0
	v_fmac_f32_e32 v56, v65, v63
	s_waitcnt lgkmcnt(0)
	v_fmac_f32_e32 v56, v60, v58
	v_fmac_f32_e32 v56, v57, v59
	v_add_f32_e32 v58, 0x358637bd, v56
	v_div_scale_f32 v59, s[2:3], v58, v58, 1.0
	v_rcp_f32_e32 v61, v59
	s_barrier
	v_fma_f32 v62, -v59, v61, 1.0
	v_fmac_f32_e32 v61, v62, v61
	v_div_scale_f32 v62, vcc, 1.0, v58, 1.0
	v_mul_f32_e32 v63, v62, v61
	v_fma_f32 v66, -v59, v63, v62
	v_fmac_f32_e32 v63, v66, v61
	v_fma_f32 v59, -v59, v63, v62
	v_div_fmas_f32 v59, v59, v61, v63
	v_cmp_eq_u32_e32 vcc, 1, v53
	v_div_fixup_f32 v58, v59, v58, 1.0
	v_cndmask_b32_e32 v59, v64, v65, vcc
	v_cmp_eq_u32_e32 vcc, 2, v53
	v_cndmask_b32_e32 v59, v59, v60, vcc
	v_cmp_eq_u32_e32 vcc, 3, v53
	v_cndmask_b32_e32 v57, v59, v57, vcc
	v_mul_f32_e32 v58, v57, v58
	v_pk_mul_f32 v[36:37], v[58:59], v[36:37] op_sel_hi:[0,1]
	v_cvt_f16_f32_e32 v36, v36
	v_cvt_f16_f32_e32 v37, v37
	v_pk_mul_f32 v[46:47], v[58:59], v[46:47] op_sel_hi:[0,1]
	v_cvt_f16_f32_e32 v57, v46
	v_cvt_f16_f32_e32 v47, v47
	v_pack_b32_f16 v46, v36, v37
	v_pk_mul_f32 v[36:37], v[58:59], v[48:49] op_sel_hi:[0,1]
	v_pk_mul_f32 v[38:39], v[58:59], v[38:39] op_sel_hi:[0,1]
	v_cvt_f16_f32_e32 v38, v38
	v_cvt_f16_f32_e32 v39, v39
	;; [unrolled: 1-line block ×4, first 2 shown]
	v_pack_b32_f16 v47, v57, v47
	v_lshlrev_b32_e32 v57, 3, v1
	v_lshlrev_b32_e32 v36, 11, v53
	v_or3_b32 v36, v36, v55, v57
	v_pack_b32_f16 v38, v38, v39
	v_pack_b32_f16 v39, v48, v37
	ds_write2st64_b64 v36, v[46:47], v[38:39] offset1:1
	v_pk_mul_f32 v[38:39], v[58:59], v[44:45] op_sel_hi:[0,1]
	v_pk_mul_f32 v[42:43], v[58:59], v[42:43] op_sel_hi:[0,1]
	v_cvt_f16_f32_e32 v37, v42
	v_cvt_f16_f32_e32 v42, v43
	;; [unrolled: 1-line block ×4, first 2 shown]
	v_pk_mul_f32 v[34:35], v[58:59], v[34:35] op_sel_hi:[0,1]
	v_pk_mul_f32 v[38:39], v[58:59], v[40:41] op_sel_hi:[0,1]
	v_cvt_f16_f32_e32 v38, v38
	v_cvt_f16_f32_e32 v39, v39
	;; [unrolled: 1-line block ×4, first 2 shown]
	v_pack_b32_f16 v34, v37, v42
	v_pack_b32_f16 v35, v43, v44
	;; [unrolled: 1-line block ×4, first 2 shown]
	v_cmp_gt_u32_e32 vcc, 2, v0
	ds_write2st64_b64 v36, v[34:35], v[38:39] offset0:2 offset1:3
	s_and_saveexec_b64 s[2:3], vcc
	s_cbranch_execz .LBB53_15
; %bb.14:
	v_or_b32_e32 v34, s29, v0
	v_mov_b32_e32 v35, 0
	v_mov_b32_e32 v37, s9
	v_mad_u64_u32 v[38:39], s[10:11], s6, v37, v[34:35]
	v_mov_b32_e32 v34, s28
	s_load_dwordx4 s[12:15], s[4:5], 0x58
	s_mul_i32 s7, s7, s9
	v_mad_u64_u32 v[34:35], s[10:11], v38, s8, v[34:35]
	v_add_u32_e32 v37, s7, v39
	v_mov_b32_e32 v38, v35
	v_mad_u64_u32 v[38:39], s[10:11], v37, s8, v[38:39]
	v_mov_b32_e32 v35, v38
	v_lshlrev_b64 v[34:35], 2, v[34:35]
	s_waitcnt lgkmcnt(0)
	v_mov_b32_e32 v37, s15
	v_add_co_u32_e32 v38, vcc, s14, v34
	v_addc_co_u32_e32 v39, vcc, v37, v35, vcc
	v_mov_b32_e32 v37, s13
	v_add_co_u32_e32 v34, vcc, s12, v34
	v_addc_co_u32_e32 v35, vcc, v37, v35, vcc
	global_store_dword v[38:39], v54, off
	global_store_dword v[34:35], v56, off
.LBB53_15:
	s_or_b64 exec, exec, s[2:3]
	v_lshl_or_b32 v34, v1, 9, v55
	s_waitcnt lgkmcnt(0)
	s_barrier
	ds_read_b128 v[38:41], v34
	ds_read_b128 v[42:45], v34 offset:16
	s_waitcnt vmcnt(7) lgkmcnt(1)
	v_mfma_f32_16x16x16f16 v[46:49], v[14:15], v[38:39], 0
	v_cmp_gt_u32_e32 vcc, 64, v0
	v_cmp_gt_u32_e64 s[2:3], 32, v51
	s_and_b64 s[2:3], s[2:3], vcc
	s_mov_b32 s7, 0
	s_and_b64 s[0:1], s[2:3], s[0:1]
	v_mfma_f32_16x16x16f16 v[14:17], v[16:17], v[40:41], v[46:49]
	s_waitcnt vmcnt(6) lgkmcnt(0)
	v_mfma_f32_16x16x16f16 v[14:17], v[10:11], v[42:43], v[14:17]
	v_mfma_f32_16x16x16f16 v[10:13], v[12:13], v[44:45], v[14:17]
	s_nop 7
	s_nop 1
	ds_read_b128 v[14:17], v34 offset:2048
	ds_read_b128 v[38:41], v34 offset:2064
	s_waitcnt vmcnt(5) lgkmcnt(1)
	v_mfma_f32_16x16x16f16 v[10:13], v[6:7], v[14:15], v[10:13]
	v_mfma_f32_16x16x16f16 v[6:9], v[8:9], v[16:17], v[10:13]
	s_waitcnt vmcnt(4) lgkmcnt(0)
	v_mfma_f32_16x16x16f16 v[6:9], v[2:3], v[38:39], v[6:9]
	v_mfma_f32_16x16x16f16 v[2:5], v[4:5], v[40:41], v[6:9]
	s_nop 7
	s_nop 1
	ds_read_b128 v[6:9], v34 offset:4096
	ds_read_b128 v[10:13], v34 offset:4112
	s_waitcnt vmcnt(3) lgkmcnt(1)
	v_mfma_f32_16x16x16f16 v[2:5], v[30:31], v[6:7], v[2:5]
	v_mfma_f32_16x16x16f16 v[2:5], v[32:33], v[8:9], v[2:5]
	s_waitcnt vmcnt(2) lgkmcnt(0)
	v_mfma_f32_16x16x16f16 v[2:5], v[22:23], v[10:11], v[2:5]
	v_mfma_f32_16x16x16f16 v[2:5], v[24:25], v[12:13], v[2:5]
	ds_read_b128 v[6:9], v34 offset:6144
	ds_read_b128 v[10:13], v34 offset:6160
	s_waitcnt lgkmcnt(0)
	s_barrier
	s_waitcnt vmcnt(1)
	v_mfma_f32_16x16x16f16 v[2:5], v[26:27], v[6:7], v[2:5]
	v_mfma_f32_16x16x16f16 v[2:5], v[28:29], v[8:9], v[2:5]
	s_waitcnt vmcnt(0)
	v_mfma_f32_16x16x16f16 v[2:5], v[18:19], v[10:11], v[2:5]
	v_mfma_f32_16x16x16f16 v[2:5], v[20:21], v[12:13], v[2:5]
	s_nop 7
	s_nop 2
	v_cvt_f16_f32_e32 v2, v2
	v_cvt_f16_f32_e32 v3, v3
	;; [unrolled: 1-line block ×4, first 2 shown]
	v_pack_b32_f16 v2, v2, v3
	v_pack_b32_f16 v3, v4, v5
	ds_write_b64 v36, v[2:3]
	s_waitcnt lgkmcnt(0)
	s_barrier
	s_and_saveexec_b64 s[2:3], s[0:1]
	s_cbranch_execz .LBB53_17
; %bb.16:
	s_load_dwordx2 s[0:1], s[4:5], 0x68
	s_mul_i32 s2, s9, s6
	s_lshl_b32 s4, s8, 6
	s_mul_hi_u32 s3, s2, s4
	s_mul_i32 s2, s2, s4
	s_lshl_b64 s[2:3], s[2:3], 1
	v_lshlrev_b32_e32 v0, 10, v0
	s_waitcnt lgkmcnt(0)
	s_add_u32 s2, s0, s2
	v_and_b32_e32 v0, 0x1800, v0
	v_lshlrev_b32_e32 v2, 5, v1
	v_and_b32_e32 v3, 16, v52
	s_addc_u32 s3, s1, s3
	s_lshl_b32 s6, s28, 6
	v_or3_b32 v0, v0, v2, v3
	s_lshl_b64 s[0:1], s[6:7], 1
	ds_read_b128 v[2:5], v0
	s_add_u32 s2, s2, s0
	v_or_b32_e32 v0, s29, v1
	s_addc_u32 s3, s3, s1
	v_mad_u64_u32 v[0:1], s[0:1], s4, v0, 0
	v_lshlrev_b64 v[0:1], 1, v[0:1]
	v_mov_b32_e32 v6, s3
	v_add_co_u32_e32 v0, vcc, s2, v0
	v_addc_co_u32_e32 v1, vcc, v6, v1, vcc
	v_add_co_u32_e32 v0, vcc, v0, v50
	v_addc_co_u32_e32 v1, vcc, 0, v1, vcc
	s_waitcnt lgkmcnt(0)
	global_store_dwordx4 v[0:1], v[2:5], off
.LBB53_17:
	s_endpgm
	.section	.rodata,"a",@progbits
	.p2align	6, 0x0
	.amdhsa_kernel _Z39paged_attention_ll4mi_QKV_mfma16_kernelIDF16_DF16_LN4vllm18Fp8KVCacheDataTypeE0EDF16_Li16ELi64ELi256ELb0ELi2EL8MFMAType0EEvPKT_PKT0_S8_ifPKiSA_SA_iPKfiiiPfSD_PS3_PT2_iSC_SC_
		.amdhsa_group_segment_fixed_size 8192
		.amdhsa_private_segment_fixed_size 0
		.amdhsa_kernarg_size 400
		.amdhsa_user_sgpr_count 6
		.amdhsa_user_sgpr_private_segment_buffer 1
		.amdhsa_user_sgpr_dispatch_ptr 0
		.amdhsa_user_sgpr_queue_ptr 0
		.amdhsa_user_sgpr_kernarg_segment_ptr 1
		.amdhsa_user_sgpr_dispatch_id 0
		.amdhsa_user_sgpr_flat_scratch_init 0
		.amdhsa_user_sgpr_kernarg_preload_length 0
		.amdhsa_user_sgpr_kernarg_preload_offset 0
		.amdhsa_user_sgpr_private_segment_size 0
		.amdhsa_uses_dynamic_stack 0
		.amdhsa_system_sgpr_private_segment_wavefront_offset 0
		.amdhsa_system_sgpr_workgroup_id_x 1
		.amdhsa_system_sgpr_workgroup_id_y 1
		.amdhsa_system_sgpr_workgroup_id_z 1
		.amdhsa_system_sgpr_workgroup_info 0
		.amdhsa_system_vgpr_workitem_id 0
		.amdhsa_next_free_vgpr 67
		.amdhsa_next_free_sgpr 48
		.amdhsa_accum_offset 68
		.amdhsa_reserve_vcc 1
		.amdhsa_reserve_flat_scratch 0
		.amdhsa_float_round_mode_32 0
		.amdhsa_float_round_mode_16_64 0
		.amdhsa_float_denorm_mode_32 3
		.amdhsa_float_denorm_mode_16_64 3
		.amdhsa_dx10_clamp 1
		.amdhsa_ieee_mode 1
		.amdhsa_fp16_overflow 0
		.amdhsa_tg_split 0
		.amdhsa_exception_fp_ieee_invalid_op 0
		.amdhsa_exception_fp_denorm_src 0
		.amdhsa_exception_fp_ieee_div_zero 0
		.amdhsa_exception_fp_ieee_overflow 0
		.amdhsa_exception_fp_ieee_underflow 0
		.amdhsa_exception_fp_ieee_inexact 0
		.amdhsa_exception_int_div_zero 0
	.end_amdhsa_kernel
	.section	.text._Z39paged_attention_ll4mi_QKV_mfma16_kernelIDF16_DF16_LN4vllm18Fp8KVCacheDataTypeE0EDF16_Li16ELi64ELi256ELb0ELi2EL8MFMAType0EEvPKT_PKT0_S8_ifPKiSA_SA_iPKfiiiPfSD_PS3_PT2_iSC_SC_,"axG",@progbits,_Z39paged_attention_ll4mi_QKV_mfma16_kernelIDF16_DF16_LN4vllm18Fp8KVCacheDataTypeE0EDF16_Li16ELi64ELi256ELb0ELi2EL8MFMAType0EEvPKT_PKT0_S8_ifPKiSA_SA_iPKfiiiPfSD_PS3_PT2_iSC_SC_,comdat
.Lfunc_end53:
	.size	_Z39paged_attention_ll4mi_QKV_mfma16_kernelIDF16_DF16_LN4vllm18Fp8KVCacheDataTypeE0EDF16_Li16ELi64ELi256ELb0ELi2EL8MFMAType0EEvPKT_PKT0_S8_ifPKiSA_SA_iPKfiiiPfSD_PS3_PT2_iSC_SC_, .Lfunc_end53-_Z39paged_attention_ll4mi_QKV_mfma16_kernelIDF16_DF16_LN4vllm18Fp8KVCacheDataTypeE0EDF16_Li16ELi64ELi256ELb0ELi2EL8MFMAType0EEvPKT_PKT0_S8_ifPKiSA_SA_iPKfiiiPfSD_PS3_PT2_iSC_SC_
                                        ; -- End function
	.section	.AMDGPU.csdata,"",@progbits
; Kernel info:
; codeLenInByte = 3876
; NumSgprs: 52
; NumVgprs: 67
; NumAgprs: 0
; TotalNumVgprs: 67
; ScratchSize: 0
; MemoryBound: 0
; FloatMode: 240
; IeeeMode: 1
; LDSByteSize: 8192 bytes/workgroup (compile time only)
; SGPRBlocks: 6
; VGPRBlocks: 8
; NumSGPRsForWavesPerEU: 52
; NumVGPRsForWavesPerEU: 67
; AccumOffset: 68
; Occupancy: 7
; WaveLimiterHint : 1
; COMPUTE_PGM_RSRC2:SCRATCH_EN: 0
; COMPUTE_PGM_RSRC2:USER_SGPR: 6
; COMPUTE_PGM_RSRC2:TRAP_HANDLER: 0
; COMPUTE_PGM_RSRC2:TGID_X_EN: 1
; COMPUTE_PGM_RSRC2:TGID_Y_EN: 1
; COMPUTE_PGM_RSRC2:TGID_Z_EN: 1
; COMPUTE_PGM_RSRC2:TIDIG_COMP_CNT: 0
; COMPUTE_PGM_RSRC3_GFX90A:ACCUM_OFFSET: 16
; COMPUTE_PGM_RSRC3_GFX90A:TG_SPLIT: 0
	.section	.text._Z39paged_attention_ll4mi_QKV_mfma16_kernelIDF16_DF16_LN4vllm18Fp8KVCacheDataTypeE0EDF16_Li16ELi64ELi256ELb0ELi3EL8MFMAType0EEvPKT_PKT0_S8_ifPKiSA_SA_iPKfiiiPfSD_PS3_PT2_iSC_SC_,"axG",@progbits,_Z39paged_attention_ll4mi_QKV_mfma16_kernelIDF16_DF16_LN4vllm18Fp8KVCacheDataTypeE0EDF16_Li16ELi64ELi256ELb0ELi3EL8MFMAType0EEvPKT_PKT0_S8_ifPKiSA_SA_iPKfiiiPfSD_PS3_PT2_iSC_SC_,comdat
	.protected	_Z39paged_attention_ll4mi_QKV_mfma16_kernelIDF16_DF16_LN4vllm18Fp8KVCacheDataTypeE0EDF16_Li16ELi64ELi256ELb0ELi3EL8MFMAType0EEvPKT_PKT0_S8_ifPKiSA_SA_iPKfiiiPfSD_PS3_PT2_iSC_SC_ ; -- Begin function _Z39paged_attention_ll4mi_QKV_mfma16_kernelIDF16_DF16_LN4vllm18Fp8KVCacheDataTypeE0EDF16_Li16ELi64ELi256ELb0ELi3EL8MFMAType0EEvPKT_PKT0_S8_ifPKiSA_SA_iPKfiiiPfSD_PS3_PT2_iSC_SC_
	.globl	_Z39paged_attention_ll4mi_QKV_mfma16_kernelIDF16_DF16_LN4vllm18Fp8KVCacheDataTypeE0EDF16_Li16ELi64ELi256ELb0ELi3EL8MFMAType0EEvPKT_PKT0_S8_ifPKiSA_SA_iPKfiiiPfSD_PS3_PT2_iSC_SC_
	.p2align	8
	.type	_Z39paged_attention_ll4mi_QKV_mfma16_kernelIDF16_DF16_LN4vllm18Fp8KVCacheDataTypeE0EDF16_Li16ELi64ELi256ELb0ELi3EL8MFMAType0EEvPKT_PKT0_S8_ifPKiSA_SA_iPKfiiiPfSD_PS3_PT2_iSC_SC_,@function
_Z39paged_attention_ll4mi_QKV_mfma16_kernelIDF16_DF16_LN4vllm18Fp8KVCacheDataTypeE0EDF16_Li16ELi64ELi256ELb0ELi3EL8MFMAType0EEvPKT_PKT0_S8_ifPKiSA_SA_iPKfiiiPfSD_PS3_PT2_iSC_SC_: ; @_Z39paged_attention_ll4mi_QKV_mfma16_kernelIDF16_DF16_LN4vllm18Fp8KVCacheDataTypeE0EDF16_Li16ELi64ELi256ELb0ELi3EL8MFMAType0EEvPKT_PKT0_S8_ifPKiSA_SA_iPKfiiiPfSD_PS3_PT2_iSC_SC_
; %bb.0:
	s_load_dwordx2 s[0:1], s[4:5], 0x30
	s_mov_b32 s28, s7
	s_mov_b64 s[10:11], 0
	s_waitcnt lgkmcnt(0)
	s_cmp_lg_u64 s[0:1], 0
	s_cselect_b64 s[2:3], -1, 0
	s_and_b64 vcc, exec, s[2:3]
	s_cbranch_vccz .LBB54_7
; %bb.1:
	s_add_i32 s12, s6, 1
	s_mov_b32 s13, 0
	s_lshl_b64 s[14:15], s[12:13], 2
	s_add_u32 s14, s0, s14
	s_mov_b32 s7, s13
	s_addc_u32 s15, s1, s15
	s_lshl_b64 s[12:13], s[6:7], 2
	s_add_u32 s12, s0, s12
	s_addc_u32 s13, s1, s13
	s_load_dword s9, s[14:15], 0x0
	s_load_dword s16, s[12:13], 0x0
	s_waitcnt lgkmcnt(0)
	s_sub_i32 s9, s9, s16
	s_cmp_eq_u32 s9, 1
	s_cselect_b64 s[12:13], -1, 0
	s_andn2_b64 vcc, exec, s[10:11]
	s_cbranch_vccnz .LBB54_3
.LBB54_2:
	s_mov_b32 s7, 0
	s_mov_b64 s[12:13], -1
.LBB54_3:
	s_andn2_b64 vcc, exec, s[12:13]
	s_cbranch_vccnz .LBB54_17
; %bb.4:
	s_load_dwordx2 s[12:13], s[4:5], 0x28
	s_lshl_b64 s[10:11], s[6:7], 2
	s_waitcnt lgkmcnt(0)
	s_add_u32 s12, s12, s10
	s_addc_u32 s13, s13, s11
	s_load_dword s40, s[12:13], 0x0
	s_lshl_b32 s16, s28, 8
	s_waitcnt lgkmcnt(0)
	s_cmp_ge_i32 s16, s40
	s_cbranch_scc1 .LBB54_17
; %bb.5:
	s_add_i32 s14, s40, 15
	s_load_dwordx2 s[12:13], s[4:5], 0x20
	s_load_dword s9, s[4:5], 0x38
	s_ashr_i32 s15, s14, 31
	v_and_b32_e32 v1, 0xcf, v0
	s_lshr_b32 s15, s15, 28
	v_add_u32_e32 v1, s16, v1
	s_add_i32 s14, s14, s15
	v_ashrrev_i32_e32 v2, 31, v1
	s_ashr_i32 s19, s14, 4
	v_lshrrev_b32_e32 v10, 28, v2
	s_add_i32 s19, s19, -1
	v_add_u32_e32 v2, v1, v10
	s_waitcnt lgkmcnt(0)
	s_mul_i32 s14, s6, s9
	s_mov_b32 s15, 0
	v_ashrrev_i32_e32 v2, 4, v2
	v_mov_b32_e32 v11, s19
	v_cmp_gt_i32_e32 vcc, s40, v1
	s_lshl_b64 s[14:15], s[14:15], 2
	v_cndmask_b32_e32 v2, v11, v2, vcc
	s_add_u32 s17, s12, s14
	v_ashrrev_i32_e32 v3, 31, v2
	s_addc_u32 s18, s13, s15
	v_lshlrev_b64 v[2:3], 2, v[2:3]
	v_mov_b32_e32 v5, s18
	v_add_co_u32_e32 v4, vcc, s17, v2
	v_or_b32_e32 v2, 16, v1
	v_addc_co_u32_e32 v5, vcc, v5, v3, vcc
	v_add_u32_e32 v3, v2, v10
	v_ashrrev_i32_e32 v3, 4, v3
	v_cmp_gt_i32_e32 vcc, s40, v2
	v_cndmask_b32_e32 v2, v11, v3, vcc
	v_ashrrev_i32_e32 v3, 31, v2
	v_lshlrev_b64 v[2:3], 2, v[2:3]
	v_mov_b32_e32 v7, s18
	v_add_co_u32_e32 v6, vcc, s17, v2
	v_or_b32_e32 v2, 32, v1
	v_addc_co_u32_e32 v7, vcc, v7, v3, vcc
	v_add_u32_e32 v3, v2, v10
	v_ashrrev_i32_e32 v3, 4, v3
	v_cmp_gt_i32_e32 vcc, s40, v2
	v_cndmask_b32_e32 v2, v11, v3, vcc
	v_ashrrev_i32_e32 v3, 31, v2
	;; [unrolled: 10-line block ×3, first 2 shown]
	v_lshlrev_b64 v[2:3], 2, v[2:3]
	v_mov_b32_e32 v1, s18
	v_add_co_u32_e32 v10, vcc, s17, v2
	v_addc_co_u32_e32 v11, vcc, v1, v3, vcc
	global_load_dword v3, v[4:5], off
	global_load_dword v2, v[6:7], off
	;; [unrolled: 1-line block ×4, first 2 shown]
	s_load_dwordx4 s[12:15], s[4:5], 0x8
	s_andn2_b64 vcc, exec, s[2:3]
	s_cbranch_vccnz .LBB54_8
; %bb.6:
	s_add_u32 s0, s0, s10
	s_addc_u32 s1, s1, s11
	s_load_dword s9, s[0:1], 0x0
	s_branch .LBB54_9
.LBB54_7:
	s_mov_b64 s[12:13], 0
	s_branch .LBB54_2
.LBB54_8:
	s_mov_b32 s9, s6
.LBB54_9:
	s_load_dwordx4 s[44:47], s[4:5], 0x48
	v_lshrrev_b32_e32 v54, 6, v0
	v_bfe_u32 v51, v0, 4, 2
	v_lshl_or_b32 v4, v54, 2, v51
	v_and_b32_e32 v53, 15, v0
	s_mul_i32 s29, s8, 3
	v_lshlrev_b32_e32 v1, 3, v53
	v_cmp_gt_u32_e32 vcc, 3, v4
	v_cmp_gt_u32_e64 s[0:1], 8, v53
	v_and_b32_e32 v55, 63, v0
	v_add_u32_e32 v50, s29, v51
	s_and_b64 s[10:11], s[0:1], vcc
	v_lshlrev_b32_e32 v1, 1, v1
	s_and_saveexec_b64 s[2:3], s[10:11]
	s_cbranch_execz .LBB54_11
; %bb.10:
	s_load_dwordx2 s[10:11], s[4:5], 0x0
	s_waitcnt lgkmcnt(0)
	s_ashr_i32 s20, s44, 31
	s_mul_hi_u32 s21, s9, s44
	s_mul_i32 s20, s9, s20
	s_add_i32 s21, s21, s20
	s_mul_i32 s20, s9, s44
	s_lshl_b64 s[20:21], s[20:21], 1
	v_lshlrev_b32_e32 v6, 6, v50
	s_add_u32 s9, s10, s20
	v_ashrrev_i32_e32 v7, 31, v6
	s_addc_u32 s10, s11, s21
	v_lshlrev_b64 v[6:7], 1, v[6:7]
	v_mov_b32_e32 v5, s10
	v_add_co_u32_e32 v6, vcc, s9, v6
	v_addc_co_u32_e32 v5, vcc, v5, v7, vcc
	v_add_co_u32_e32 v6, vcc, v6, v1
	v_addc_co_u32_e32 v7, vcc, 0, v5, vcc
	global_load_dwordx4 v[6:9], v[6:7], off
	v_and_b32_e32 v5, 3, v0
	v_lshlrev_b32_e32 v10, 9, v53
	v_lshlrev_b32_e32 v4, 5, v4
	;; [unrolled: 1-line block ×3, first 2 shown]
	v_and_b32_e32 v10, 0x1800, v10
	v_or3_b32 v4, v10, v5, v4
	s_waitcnt vmcnt(0)
	ds_write_b128 v4, v[6:9]
.LBB54_11:
	s_or_b64 exec, exec, s[2:3]
	s_waitcnt lgkmcnt(0)
	s_mul_i32 s8, s8, s46
	s_mov_b32 s9, 0
	s_lshl_b64 s[8:9], s[8:9], 1
	s_add_u32 s3, s12, s8
	v_lshlrev_b32_e32 v52, 4, v0
	s_addc_u32 s10, s13, s9
	v_and_b32_e32 v4, 0xf0, v52
	v_mov_b32_e32 v5, s10
	v_add_co_u32_e32 v29, vcc, s3, v4
	v_addc_co_u32_e32 v30, vcc, 0, v5, vcc
	s_waitcnt vmcnt(3)
	v_mad_i64_i32 v[4:5], s[10:11], v3, s45, 0
	v_lshlrev_b64 v[4:5], 1, v[4:5]
	v_add_co_u32_e32 v3, vcc, v29, v4
	v_addc_co_u32_e32 v5, vcc, v30, v5, vcc
	v_and_b32_e32 v31, 0x300, v52
	v_add_co_u32_e32 v4, vcc, v3, v31
	v_addc_co_u32_e32 v5, vcc, 0, v5, vcc
	s_load_dword s33, s[4:5], 0x98
	s_load_dword s2, s[4:5], 0x1c
	s_waitcnt lgkmcnt(0)
	s_barrier
	global_load_dwordx4 v[6:9], v[4:5], off
	s_waitcnt vmcnt(3)
	v_mad_i64_i32 v[2:3], s[10:11], v2, s45, 0
	v_lshlrev_b64 v[2:3], 1, v[2:3]
	v_add_co_u32_e32 v2, vcc, v29, v2
	v_addc_co_u32_e32 v3, vcc, v30, v3, vcc
	v_add_co_u32_e32 v2, vcc, v2, v31
	v_addc_co_u32_e32 v3, vcc, 0, v3, vcc
	global_load_dwordx4 v[22:25], v[2:3], off
	global_load_dwordx4 v[10:13], v[4:5], off offset:1024
	global_load_dwordx4 v[14:17], v[2:3], off offset:1024
	v_mul_lo_u16_e32 v2, 0x56, v53
	v_mov_b32_e32 v3, 3
	v_mul_lo_u16_sdwa v2, v2, v3 dst_sel:DWORD dst_unused:UNUSED_PAD src0_sel:BYTE_1 src1_sel:DWORD
	v_mov_b32_e32 v4, 5
	v_sub_u16_e32 v2, v53, v2
	v_lshlrev_b32_sdwa v2, v4, v2 dst_sel:DWORD dst_unused:UNUSED_PAD src0_sel:DWORD src1_sel:BYTE_0
	v_lshl_add_u32 v20, v51, 9, v2
	ds_read_b128 v[2:5], v20
	s_waitcnt vmcnt(5)
	v_mad_i64_i32 v[18:19], s[10:11], v18, s45, 0
	v_lshlrev_b64 v[26:27], 1, v[18:19]
	v_and_or_b32 v56, v0, 48, s16
	ds_read_b128 v[18:21], v20 offset:2048
	v_mov_b32_e32 v57, s19
	v_or_b32_e32 v48, 64, v56
	v_or_b32_e32 v49, 0x80, v56
	v_mov_b32_e32 v58, s18
	s_add_u32 s3, s14, s8
	s_addc_u32 s8, s15, s9
	s_mov_b32 s42, 0xff7fffff
	s_waitcnt vmcnt(2) lgkmcnt(1)
	v_mfma_f32_16x16x16f16 v[36:39], v[22:23], v[2:3], 0
	v_mad_i64_i32 v[22:23], s[10:11], v28, s45, 0
	v_lshlrev_b64 v[44:45], 1, v[22:23]
	v_ashrrev_i32_e32 v22, 4, v56
	v_mov_b32_e32 v28, s18
	v_mfma_f32_16x16x16f16 v[32:35], v[6:7], v[2:3], 0
	v_add_co_u32_e32 v6, vcc, v29, v26
	v_addc_co_u32_e32 v7, vcc, v30, v27, vcc
	v_add_co_u32_e32 v26, vcc, v6, v31
	v_addc_co_u32_e32 v27, vcc, 0, v7, vcc
	global_load_dwordx4 v[40:43], v[26:27], off
	v_mfma_f32_16x16x16f16 v[6:9], v[8:9], v[4:5], v[32:35]
	v_cmp_gt_i32_e32 vcc, s40, v56
	v_cndmask_b32_e32 v46, v57, v22, vcc
	v_ashrrev_i32_e32 v47, 31, v46
	v_cmp_gt_i32_e32 vcc, s40, v48
	s_nop 2
	global_load_dwordx4 v[32:35], v[26:27], off offset:1024
	v_mfma_f32_16x16x16f16 v[22:25], v[24:25], v[4:5], v[36:39]
	v_lshlrev_b64 v[26:27], 2, v[46:47]
	s_nop 5
	v_ashrrev_i32_e32 v36, 4, v48
	v_cndmask_b32_e32 v48, v57, v36, vcc
	s_waitcnt vmcnt(3) lgkmcnt(0)
	v_mfma_f32_16x16x16f16 v[6:9], v[10:11], v[18:19], v[6:9]
	v_add_co_u32_e32 v10, vcc, s17, v26
	v_addc_co_u32_e32 v11, vcc, v28, v27, vcc
	v_add_co_u32_e32 v26, vcc, v29, v44
	v_addc_co_u32_e32 v27, vcc, v30, v45, vcc
	s_waitcnt vmcnt(2)
	v_mfma_f32_16x16x16f16 v[22:25], v[14:15], v[18:19], v[22:25]
	v_add_co_u32_e32 v14, vcc, v26, v31
	v_addc_co_u32_e32 v15, vcc, 0, v27, vcc
	global_load_dwordx4 v[26:29], v[14:15], off
	global_load_dword v44, v[10:11], off
	v_ashrrev_i32_e32 v37, 4, v49
	v_cmp_gt_i32_e32 vcc, s40, v49
	v_ashrrev_i32_e32 v49, 31, v48
	v_cndmask_b32_e32 v10, v57, v37, vcc
	v_mfma_f32_16x16x16f16 v[36:39], v[12:13], v[20:21], v[6:9]
	v_ashrrev_i32_e32 v11, 31, v10
	v_mov_b32_e32 v12, s18
	s_nop 4
	v_lshlrev_b64 v[6:7], 2, v[48:49]
	v_add_co_u32_e32 v6, vcc, s17, v6
	v_addc_co_u32_e32 v7, vcc, v58, v7, vcc
	global_load_dwordx4 v[58:61], v[14:15], off offset:1024
	global_load_dword v45, v[6:7], off
	v_lshlrev_b64 v[6:7], 2, v[10:11]
	v_mov_b32_e32 v8, s18
	v_add_co_u32_e32 v10, vcc, s17, v6
	v_addc_co_u32_e32 v11, vcc, v8, v7, vcc
	s_waitcnt vmcnt(5)
	v_mfma_f32_16x16x16f16 v[6:9], v[40:41], v[2:3], 0
	global_load_dword v40, v[10:11], off
	v_or_b32_e32 v10, 0xc0, v56
	v_ashrrev_i32_e32 v11, 4, v10
	v_cmp_gt_i32_e32 vcc, s40, v10
	v_cndmask_b32_e32 v10, v57, v11, vcc
	v_ashrrev_i32_e32 v11, 31, v10
	v_lshlrev_b64 v[10:11], 2, v[10:11]
	v_mfma_f32_16x16x16f16 v[6:9], v[42:43], v[4:5], v[6:9]
	v_add_co_u32_e32 v10, vcc, s17, v10
	v_addc_co_u32_e32 v11, vcc, v12, v11, vcc
	global_load_dword v57, v[10:11], off
	v_lshlrev_b32_e32 v56, 5, v53
	v_lshl_or_b32 v10, v54, 9, v56
	s_waitcnt vmcnt(6)
	v_mfma_f32_16x16x16f16 v[6:9], v[32:33], v[18:19], v[6:9]
	v_mov_b32_e32 v11, s8
	v_add_co_u32_e32 v62, vcc, s3, v10
	v_addc_co_u32_e32 v63, vcc, 0, v11, vcc
	v_pk_mul_f32 v[46:47], s[2:3], v[38:39] op_sel_hi:[0,1]
	v_mfma_f32_16x16x16f16 v[30:33], v[34:35], v[20:21], v[6:9]
	s_waitcnt vmcnt(1)
	v_mad_i64_i32 v[34:35], s[8:9], v40, s45, 0
	s_nop 4
	v_mad_i64_i32 v[6:7], s[8:9], v44, s45, 0
	v_lshlrev_b64 v[10:11], 1, v[6:7]
	v_mfma_f32_16x16x16f16 v[6:9], v[26:27], v[2:3], 0
	v_add_co_u32_e32 v2, vcc, v62, v10
	v_addc_co_u32_e32 v3, vcc, v63, v11, vcc
	v_lshlrev_b64 v[34:35], 1, v[34:35]
	v_pk_mul_f32 v[42:43], s[2:3], v[30:31] op_sel_hi:[0,1]
	v_mfma_f32_16x16x16f16 v[26:29], v[28:29], v[4:5], v[6:9]
	v_mfma_f32_16x16x16f16 v[22:25], v[16:17], v[20:21], v[22:25]
	global_load_dwordx4 v[14:17], v[2:3], off
	global_load_dwordx4 v[10:13], v[2:3], off offset:16
	v_mad_i64_i32 v[2:3], s[8:9], v45, s45, 0
	v_lshlrev_b64 v[2:3], 1, v[2:3]
	v_add_co_u32_e32 v2, vcc, v62, v2
	v_addc_co_u32_e32 v3, vcc, v63, v3, vcc
	v_mfma_f32_16x16x16f16 v[26:29], v[58:59], v[18:19], v[26:29]
	s_nop 3
	v_pk_mul_f32 v[38:39], s[2:3], v[22:23] op_sel_hi:[0,1]
	v_add_co_u32_e32 v58, vcc, v62, v34
	v_addc_co_u32_e32 v59, vcc, v63, v35, vcc
	v_pk_mul_f32 v[18:19], s[2:3], v[36:37] op_sel_hi:[0,1]
	v_pk_mul_f32 v[48:49], s[2:3], v[24:25] op_sel_hi:[0,1]
	v_mfma_f32_16x16x16f16 v[20:23], v[60:61], v[20:21], v[26:29]
	v_pk_mul_f32 v[44:45], s[2:3], v[32:33] op_sel_hi:[0,1]
	global_load_dwordx4 v[6:9], v[2:3], off
	s_nop 0
	global_load_dwordx4 v[2:5], v[2:3], off offset:16
	s_nop 6
	v_pk_mul_f32 v[40:41], s[2:3], v[20:21] op_sel_hi:[0,1]
	v_and_b32_e32 v20, 0xc0, v0
	v_add_u32_e32 v20, s16, v20
	v_lshl_or_b32 v20, v51, 2, v20
	v_pk_mul_f32 v[34:35], s[2:3], v[22:23] op_sel_hi:[0,1]
	v_or_b32_e32 v23, 1, v20
	v_mov_b32_e32 v21, 0xff7fffff
	v_cmp_gt_i32_e64 s[30:31], s40, v20
	v_cmp_gt_i32_e64 s[34:35], s40, v23
	v_cndmask_b32_e64 v22, v21, v18, s[30:31]
	v_cndmask_b32_e64 v23, v21, v19, s[34:35]
	v_max3_f32 v22, v22, s42, v23
	v_or_b32_e32 v23, 2, v20
	v_or_b32_e32 v24, 3, v20
	v_cmp_gt_i32_e64 s[36:37], s40, v23
	v_cmp_gt_i32_e64 s[38:39], s40, v24
	v_cndmask_b32_e64 v23, v21, v46, s[36:37]
	v_cndmask_b32_e64 v24, v21, v47, s[38:39]
	v_max3_f32 v22, v22, v23, v24
	v_or_b32_e32 v23, 16, v20
	v_or_b32_e32 v24, 17, v20
	;; [unrolled: 7-line block ×7, first 2 shown]
	v_cmp_gt_i32_e32 vcc, s40, v23
	v_cmp_gt_i32_e64 s[2:3], s40, v20
	v_cndmask_b32_e32 v23, v21, v34, vcc
	v_cndmask_b32_e64 v20, v21, v35, s[2:3]
	v_max3_f32 v26, v22, v23, v20
	v_mbcnt_lo_u32_b32 v20, -1, 0
	v_mbcnt_hi_u32_b32 v27, -1, v20
	v_and_b32_e32 v20, 64, v27
	v_add_u32_e32 v28, 64, v20
	v_xor_b32_e32 v20, 32, v27
	v_cmp_lt_i32_e64 s[40:41], v20, v28
	v_cndmask_b32_e64 v20, v27, v20, s[40:41]
	v_lshlrev_b32_e32 v60, 2, v20
	ds_bpermute_b32 v29, v60, v26
	s_waitcnt vmcnt(4)
	v_mad_i64_i32 v[20:21], s[40:41], v57, s45, 0
	global_load_dwordx4 v[30:33], v[58:59], off
	global_load_dwordx4 v[22:25], v[58:59], off offset:16
	v_lshlrev_b64 v[20:21], 1, v[20:21]
	s_waitcnt lgkmcnt(0)
	v_max_f32_e32 v29, v29, v29
	v_max_f32_e32 v26, v26, v29
	v_xor_b32_e32 v29, 16, v27
	v_cmp_lt_i32_e64 s[40:41], v29, v28
	v_cndmask_b32_e64 v27, v27, v29, s[40:41]
	v_lshlrev_b32_e32 v58, 2, v27
	ds_bpermute_b32 v27, v58, v26
	v_add_co_u32_e64 v20, s[40:41], v62, v20
	v_addc_co_u32_e64 v21, s[40:41], v63, v21, s[40:41]
	s_waitcnt lgkmcnt(0)
	v_max_f32_e32 v27, v27, v27
	v_max_f32_e32 v57, v26, v27
	v_sub_f32_e32 v18, v18, v57
	v_mul_f32_e32 v18, 0x3fb8aa3b, v18
	v_exp_f32_e32 v36, v18
	v_sub_f32_e32 v18, v19, v57
	v_mul_f32_e32 v18, 0x3fb8aa3b, v18
	v_exp_f32_e32 v37, v18
	global_load_dwordx4 v[26:29], v[20:21], off
	s_nop 0
	global_load_dwordx4 v[18:21], v[20:21], off offset:16
	v_sub_f32_e32 v46, v46, v57
	v_mul_f32_e32 v46, 0x3fb8aa3b, v46
	v_sub_f32_e32 v47, v47, v57
	v_exp_f32_e32 v46, v46
	v_mul_f32_e32 v47, 0x3fb8aa3b, v47
	v_sub_f32_e32 v38, v38, v57
	v_exp_f32_e32 v47, v47
	v_mul_f32_e32 v38, 0x3fb8aa3b, v38
	v_sub_f32_e32 v39, v39, v57
	v_cndmask_b32_e64 v36, 0, v36, s[30:31]
	v_exp_f32_e32 v38, v38
	v_mul_f32_e32 v39, 0x3fb8aa3b, v39
	v_sub_f32_e32 v48, v48, v57
	v_add_f32_e32 v59, 0, v36
	v_cndmask_b32_e64 v37, 0, v37, s[34:35]
	v_exp_f32_e32 v39, v39
	v_mul_f32_e32 v48, 0x3fb8aa3b, v48
	v_sub_f32_e32 v49, v49, v57
	v_add_f32_e32 v59, v59, v37
	;; [unrolled: 5-line block ×10, first 2 shown]
	v_cndmask_b32_e64 v44, 0, v44, s[12:13]
	v_exp_f32_e32 v34, v34
	v_mul_f32_e32 v35, 0x3fb8aa3b, v35
	v_add_f32_e32 v59, v59, v44
	v_cndmask_b32_e64 v45, 0, v45, s[14:15]
	v_exp_f32_e32 v35, v35
	v_add_f32_e32 v59, v59, v45
	v_cndmask_b32_e64 v40, 0, v40, s[8:9]
	v_add_f32_e32 v59, v59, v40
	v_cndmask_b32_e64 v41, 0, v41, s[10:11]
	v_add_f32_e32 v59, v59, v41
	v_cndmask_b32_e32 v34, 0, v34, vcc
	v_add_f32_e32 v59, v59, v34
	v_cndmask_b32_e64 v35, 0, v35, s[2:3]
	v_add_f32_e32 v59, v59, v35
	ds_bpermute_b32 v60, v60, v59
	v_cmp_gt_u32_e32 vcc, 16, v55
	s_waitcnt lgkmcnt(0)
	s_barrier
	v_add_f32_e32 v59, v59, v60
	ds_bpermute_b32 v60, v58, v59
	v_lshlrev_b32_e32 v58, 2, v53
	s_and_saveexec_b64 s[2:3], vcc
	s_cbranch_execz .LBB54_13
; %bb.12:
	s_waitcnt lgkmcnt(0)
	v_add_f32_e32 v55, v59, v60
	v_lshl_or_b32 v59, v54, 6, v58
	ds_write2st64_b32 v59, v57, v55 offset1:1
.LBB54_13:
	s_or_b64 exec, exec, s[2:3]
	s_load_dword s8, s[4:5], 0x94
	s_waitcnt lgkmcnt(0)
	s_barrier
	ds_read2_b32 v[60:61], v58 offset1:16
	ds_read2_b32 v[62:63], v58 offset0:32 offset1:48
	ds_read2_b32 v[64:65], v58 offset0:64 offset1:80
	;; [unrolled: 1-line block ×3, first 2 shown]
	s_waitcnt lgkmcnt(0)
	v_max3_f32 v55, v60, s42, v61
	v_max3_f32 v55, v55, v62, v63
	v_sub_f32_e32 v57, v60, v55
	v_mul_f32_e32 v57, 0x3fb8aa3b, v57
	v_exp_f32_e32 v60, v57
	v_sub_f32_e32 v57, v61, v55
	v_mul_f32_e32 v57, 0x3fb8aa3b, v57
	v_exp_f32_e32 v61, v57
	;; [unrolled: 3-line block ×4, first 2 shown]
	v_fma_f32 v57, v60, v64, 0
	v_fmac_f32_e32 v57, v61, v65
	v_fmac_f32_e32 v57, v62, v58
	;; [unrolled: 1-line block ×3, first 2 shown]
	v_add_f32_e32 v58, 0x358637bd, v57
	v_div_scale_f32 v59, s[2:3], v58, v58, 1.0
	v_rcp_f32_e32 v64, v59
	s_barrier
	s_mul_i32 s9, s33, 3
	v_fma_f32 v65, -v59, v64, 1.0
	v_fmac_f32_e32 v64, v65, v64
	v_div_scale_f32 v65, vcc, 1.0, v58, 1.0
	v_mul_f32_e32 v66, v65, v64
	v_fma_f32 v67, -v59, v66, v65
	v_fmac_f32_e32 v66, v67, v64
	v_fma_f32 v59, -v59, v66, v65
	v_div_fmas_f32 v59, v59, v64, v66
	v_cmp_eq_u32_e32 vcc, 1, v54
	v_div_fixup_f32 v58, v59, v58, 1.0
	v_cndmask_b32_e32 v59, v60, v61, vcc
	v_cmp_eq_u32_e32 vcc, 2, v54
	v_cndmask_b32_e32 v59, v59, v62, vcc
	v_cmp_eq_u32_e32 vcc, 3, v54
	v_cndmask_b32_e32 v59, v59, v63, vcc
	v_mul_f32_e32 v58, v59, v58
	v_pk_mul_f32 v[46:47], v[58:59], v[46:47] op_sel_hi:[0,1]
	v_pk_mul_f32 v[36:37], v[58:59], v[36:37] op_sel_hi:[0,1]
	v_cvt_f16_f32_e32 v59, v46
	v_cvt_f16_f32_e32 v47, v47
	;; [unrolled: 1-line block ×4, first 2 shown]
	v_cmp_gt_u32_e32 vcc, 3, v0
	v_pack_b32_f16 v47, v59, v47
	v_lshlrev_b32_e32 v59, 3, v51
	v_pack_b32_f16 v46, v36, v37
	v_pk_mul_f32 v[36:37], v[58:59], v[48:49] op_sel_hi:[0,1]
	v_pk_mul_f32 v[38:39], v[58:59], v[38:39] op_sel_hi:[0,1]
	v_cvt_f16_f32_e32 v38, v38
	v_cvt_f16_f32_e32 v39, v39
	;; [unrolled: 1-line block ×4, first 2 shown]
	v_lshlrev_b32_e32 v36, 11, v54
	v_or3_b32 v36, v36, v56, v59
	v_pack_b32_f16 v38, v38, v39
	v_pack_b32_f16 v39, v48, v37
	ds_write2st64_b64 v36, v[46:47], v[38:39] offset1:1
	v_pk_mul_f32 v[38:39], v[58:59], v[44:45] op_sel_hi:[0,1]
	v_pk_mul_f32 v[42:43], v[58:59], v[42:43] op_sel_hi:[0,1]
	v_cvt_f16_f32_e32 v37, v42
	v_cvt_f16_f32_e32 v42, v43
	;; [unrolled: 1-line block ×4, first 2 shown]
	v_pk_mul_f32 v[34:35], v[58:59], v[34:35] op_sel_hi:[0,1]
	v_pk_mul_f32 v[38:39], v[58:59], v[40:41] op_sel_hi:[0,1]
	v_cvt_f16_f32_e32 v38, v38
	v_cvt_f16_f32_e32 v39, v39
	v_cvt_f16_f32_e32 v40, v34
	v_cvt_f16_f32_e32 v41, v35
	v_pack_b32_f16 v34, v37, v42
	v_pack_b32_f16 v35, v43, v44
	;; [unrolled: 1-line block ×4, first 2 shown]
	ds_write2st64_b64 v36, v[34:35], v[38:39] offset0:2 offset1:3
	s_and_saveexec_b64 s[2:3], vcc
	s_cbranch_execz .LBB54_15
; %bb.14:
	v_add_co_u32_e32 v38, vcc, s29, v53
	v_addc_co_u32_e64 v39, s[10:11], 0, 0, vcc
	v_mov_b32_e32 v34, s9
	v_mov_b32_e32 v35, 0
	v_mad_u64_u32 v[38:39], s[10:11], s6, v34, v[38:39]
	v_mov_b32_e32 v34, s28
	s_load_dwordx4 s[12:15], s[4:5], 0x58
	s_mul_i32 s7, s7, s9
	v_mad_u64_u32 v[34:35], s[10:11], v38, s8, v[34:35]
	v_add_u32_e32 v37, s7, v39
	v_mov_b32_e32 v38, v35
	v_mad_u64_u32 v[38:39], s[10:11], v37, s8, v[38:39]
	v_mov_b32_e32 v35, v38
	v_lshlrev_b64 v[34:35], 2, v[34:35]
	s_waitcnt lgkmcnt(0)
	v_mov_b32_e32 v37, s15
	v_add_co_u32_e32 v38, vcc, s14, v34
	v_addc_co_u32_e32 v39, vcc, v37, v35, vcc
	v_mov_b32_e32 v37, s13
	v_add_co_u32_e32 v34, vcc, s12, v34
	v_addc_co_u32_e32 v35, vcc, v37, v35, vcc
	global_store_dword v[38:39], v55, off
	global_store_dword v[34:35], v57, off
.LBB54_15:
	s_or_b64 exec, exec, s[2:3]
	v_lshl_or_b32 v34, v51, 9, v56
	s_waitcnt lgkmcnt(0)
	s_barrier
	ds_read_b128 v[38:41], v34
	ds_read_b128 v[42:45], v34 offset:16
	s_waitcnt vmcnt(7) lgkmcnt(1)
	v_mfma_f32_16x16x16f16 v[46:49], v[14:15], v[38:39], 0
	v_cmp_gt_u32_e32 vcc, 64, v0
	v_cmp_ne_u32_e64 s[2:3], 3, v51
	s_and_b64 s[2:3], s[2:3], vcc
	s_mov_b32 s7, 0
	s_and_b64 s[0:1], s[2:3], s[0:1]
	v_mfma_f32_16x16x16f16 v[14:17], v[16:17], v[40:41], v[46:49]
	s_waitcnt vmcnt(6) lgkmcnt(0)
	v_mfma_f32_16x16x16f16 v[14:17], v[10:11], v[42:43], v[14:17]
	v_mfma_f32_16x16x16f16 v[10:13], v[12:13], v[44:45], v[14:17]
	s_nop 7
	s_nop 1
	ds_read_b128 v[14:17], v34 offset:2048
	ds_read_b128 v[38:41], v34 offset:2064
	s_waitcnt vmcnt(5) lgkmcnt(1)
	v_mfma_f32_16x16x16f16 v[10:13], v[6:7], v[14:15], v[10:13]
	v_mfma_f32_16x16x16f16 v[6:9], v[8:9], v[16:17], v[10:13]
	s_waitcnt vmcnt(4) lgkmcnt(0)
	v_mfma_f32_16x16x16f16 v[6:9], v[2:3], v[38:39], v[6:9]
	v_mfma_f32_16x16x16f16 v[2:5], v[4:5], v[40:41], v[6:9]
	s_nop 7
	s_nop 1
	ds_read_b128 v[6:9], v34 offset:4096
	ds_read_b128 v[10:13], v34 offset:4112
	s_waitcnt vmcnt(3) lgkmcnt(1)
	v_mfma_f32_16x16x16f16 v[2:5], v[30:31], v[6:7], v[2:5]
	v_mfma_f32_16x16x16f16 v[2:5], v[32:33], v[8:9], v[2:5]
	s_waitcnt vmcnt(2) lgkmcnt(0)
	v_mfma_f32_16x16x16f16 v[2:5], v[22:23], v[10:11], v[2:5]
	v_mfma_f32_16x16x16f16 v[2:5], v[24:25], v[12:13], v[2:5]
	ds_read_b128 v[6:9], v34 offset:6144
	ds_read_b128 v[10:13], v34 offset:6160
	s_waitcnt lgkmcnt(0)
	s_barrier
	s_waitcnt vmcnt(1)
	v_mfma_f32_16x16x16f16 v[2:5], v[26:27], v[6:7], v[2:5]
	v_mfma_f32_16x16x16f16 v[2:5], v[28:29], v[8:9], v[2:5]
	s_waitcnt vmcnt(0)
	v_mfma_f32_16x16x16f16 v[2:5], v[18:19], v[10:11], v[2:5]
	v_mfma_f32_16x16x16f16 v[2:5], v[20:21], v[12:13], v[2:5]
	s_nop 7
	s_nop 2
	v_cvt_f16_f32_e32 v2, v2
	v_cvt_f16_f32_e32 v3, v3
	;; [unrolled: 1-line block ×4, first 2 shown]
	v_pack_b32_f16 v2, v2, v3
	v_pack_b32_f16 v3, v4, v5
	ds_write_b64 v36, v[2:3]
	s_waitcnt lgkmcnt(0)
	s_barrier
	s_and_saveexec_b64 s[2:3], s[0:1]
	s_cbranch_execz .LBB54_17
; %bb.16:
	s_load_dwordx2 s[0:1], s[4:5], 0x68
	s_mul_i32 s2, s9, s6
	s_lshl_b32 s4, s8, 6
	s_mul_hi_u32 s3, s2, s4
	s_mul_i32 s2, s2, s4
	s_lshl_b64 s[2:3], s[2:3], 1
	s_waitcnt lgkmcnt(0)
	s_add_u32 s2, s0, s2
	s_addc_u32 s3, s1, s3
	s_lshl_b32 s6, s28, 6
	v_lshlrev_b32_e32 v0, 10, v0
	s_lshl_b64 s[0:1], s[6:7], 1
	v_and_b32_e32 v0, 0x1800, v0
	v_lshlrev_b32_e32 v2, 5, v51
	v_and_b32_e32 v3, 16, v52
	s_add_u32 s2, s2, s0
	v_or3_b32 v0, v0, v2, v3
	s_addc_u32 s3, s3, s1
	v_mad_u64_u32 v[6:7], s[0:1], s4, v50, 0
	ds_read_b128 v[2:5], v0
	v_lshlrev_b64 v[6:7], 1, v[6:7]
	v_mov_b32_e32 v0, s3
	v_add_co_u32_e32 v6, vcc, s2, v6
	v_addc_co_u32_e32 v7, vcc, v0, v7, vcc
	v_add_co_u32_e32 v0, vcc, v6, v1
	v_addc_co_u32_e32 v1, vcc, 0, v7, vcc
	s_waitcnt lgkmcnt(0)
	global_store_dwordx4 v[0:1], v[2:5], off
.LBB54_17:
	s_endpgm
	.section	.rodata,"a",@progbits
	.p2align	6, 0x0
	.amdhsa_kernel _Z39paged_attention_ll4mi_QKV_mfma16_kernelIDF16_DF16_LN4vllm18Fp8KVCacheDataTypeE0EDF16_Li16ELi64ELi256ELb0ELi3EL8MFMAType0EEvPKT_PKT0_S8_ifPKiSA_SA_iPKfiiiPfSD_PS3_PT2_iSC_SC_
		.amdhsa_group_segment_fixed_size 8192
		.amdhsa_private_segment_fixed_size 0
		.amdhsa_kernarg_size 400
		.amdhsa_user_sgpr_count 6
		.amdhsa_user_sgpr_private_segment_buffer 1
		.amdhsa_user_sgpr_dispatch_ptr 0
		.amdhsa_user_sgpr_queue_ptr 0
		.amdhsa_user_sgpr_kernarg_segment_ptr 1
		.amdhsa_user_sgpr_dispatch_id 0
		.amdhsa_user_sgpr_flat_scratch_init 0
		.amdhsa_user_sgpr_kernarg_preload_length 0
		.amdhsa_user_sgpr_kernarg_preload_offset 0
		.amdhsa_user_sgpr_private_segment_size 0
		.amdhsa_uses_dynamic_stack 0
		.amdhsa_system_sgpr_private_segment_wavefront_offset 0
		.amdhsa_system_sgpr_workgroup_id_x 1
		.amdhsa_system_sgpr_workgroup_id_y 1
		.amdhsa_system_sgpr_workgroup_id_z 1
		.amdhsa_system_sgpr_workgroup_info 0
		.amdhsa_system_vgpr_workitem_id 0
		.amdhsa_next_free_vgpr 68
		.amdhsa_next_free_sgpr 48
		.amdhsa_accum_offset 68
		.amdhsa_reserve_vcc 1
		.amdhsa_reserve_flat_scratch 0
		.amdhsa_float_round_mode_32 0
		.amdhsa_float_round_mode_16_64 0
		.amdhsa_float_denorm_mode_32 3
		.amdhsa_float_denorm_mode_16_64 3
		.amdhsa_dx10_clamp 1
		.amdhsa_ieee_mode 1
		.amdhsa_fp16_overflow 0
		.amdhsa_tg_split 0
		.amdhsa_exception_fp_ieee_invalid_op 0
		.amdhsa_exception_fp_denorm_src 0
		.amdhsa_exception_fp_ieee_div_zero 0
		.amdhsa_exception_fp_ieee_overflow 0
		.amdhsa_exception_fp_ieee_underflow 0
		.amdhsa_exception_fp_ieee_inexact 0
		.amdhsa_exception_int_div_zero 0
	.end_amdhsa_kernel
	.section	.text._Z39paged_attention_ll4mi_QKV_mfma16_kernelIDF16_DF16_LN4vllm18Fp8KVCacheDataTypeE0EDF16_Li16ELi64ELi256ELb0ELi3EL8MFMAType0EEvPKT_PKT0_S8_ifPKiSA_SA_iPKfiiiPfSD_PS3_PT2_iSC_SC_,"axG",@progbits,_Z39paged_attention_ll4mi_QKV_mfma16_kernelIDF16_DF16_LN4vllm18Fp8KVCacheDataTypeE0EDF16_Li16ELi64ELi256ELb0ELi3EL8MFMAType0EEvPKT_PKT0_S8_ifPKiSA_SA_iPKfiiiPfSD_PS3_PT2_iSC_SC_,comdat
.Lfunc_end54:
	.size	_Z39paged_attention_ll4mi_QKV_mfma16_kernelIDF16_DF16_LN4vllm18Fp8KVCacheDataTypeE0EDF16_Li16ELi64ELi256ELb0ELi3EL8MFMAType0EEvPKT_PKT0_S8_ifPKiSA_SA_iPKfiiiPfSD_PS3_PT2_iSC_SC_, .Lfunc_end54-_Z39paged_attention_ll4mi_QKV_mfma16_kernelIDF16_DF16_LN4vllm18Fp8KVCacheDataTypeE0EDF16_Li16ELi64ELi256ELb0ELi3EL8MFMAType0EEvPKT_PKT0_S8_ifPKiSA_SA_iPKfiiiPfSD_PS3_PT2_iSC_SC_
                                        ; -- End function
	.section	.AMDGPU.csdata,"",@progbits
; Kernel info:
; codeLenInByte = 3896
; NumSgprs: 52
; NumVgprs: 68
; NumAgprs: 0
; TotalNumVgprs: 68
; ScratchSize: 0
; MemoryBound: 0
; FloatMode: 240
; IeeeMode: 1
; LDSByteSize: 8192 bytes/workgroup (compile time only)
; SGPRBlocks: 6
; VGPRBlocks: 8
; NumSGPRsForWavesPerEU: 52
; NumVGPRsForWavesPerEU: 68
; AccumOffset: 68
; Occupancy: 7
; WaveLimiterHint : 1
; COMPUTE_PGM_RSRC2:SCRATCH_EN: 0
; COMPUTE_PGM_RSRC2:USER_SGPR: 6
; COMPUTE_PGM_RSRC2:TRAP_HANDLER: 0
; COMPUTE_PGM_RSRC2:TGID_X_EN: 1
; COMPUTE_PGM_RSRC2:TGID_Y_EN: 1
; COMPUTE_PGM_RSRC2:TGID_Z_EN: 1
; COMPUTE_PGM_RSRC2:TIDIG_COMP_CNT: 0
; COMPUTE_PGM_RSRC3_GFX90A:ACCUM_OFFSET: 16
; COMPUTE_PGM_RSRC3_GFX90A:TG_SPLIT: 0
	.section	.text._Z39paged_attention_ll4mi_QKV_mfma16_kernelIDF16_DF16_LN4vllm18Fp8KVCacheDataTypeE0EDF16_Li16ELi64ELi256ELb0ELi4EL8MFMAType0EEvPKT_PKT0_S8_ifPKiSA_SA_iPKfiiiPfSD_PS3_PT2_iSC_SC_,"axG",@progbits,_Z39paged_attention_ll4mi_QKV_mfma16_kernelIDF16_DF16_LN4vllm18Fp8KVCacheDataTypeE0EDF16_Li16ELi64ELi256ELb0ELi4EL8MFMAType0EEvPKT_PKT0_S8_ifPKiSA_SA_iPKfiiiPfSD_PS3_PT2_iSC_SC_,comdat
	.protected	_Z39paged_attention_ll4mi_QKV_mfma16_kernelIDF16_DF16_LN4vllm18Fp8KVCacheDataTypeE0EDF16_Li16ELi64ELi256ELb0ELi4EL8MFMAType0EEvPKT_PKT0_S8_ifPKiSA_SA_iPKfiiiPfSD_PS3_PT2_iSC_SC_ ; -- Begin function _Z39paged_attention_ll4mi_QKV_mfma16_kernelIDF16_DF16_LN4vllm18Fp8KVCacheDataTypeE0EDF16_Li16ELi64ELi256ELb0ELi4EL8MFMAType0EEvPKT_PKT0_S8_ifPKiSA_SA_iPKfiiiPfSD_PS3_PT2_iSC_SC_
	.globl	_Z39paged_attention_ll4mi_QKV_mfma16_kernelIDF16_DF16_LN4vllm18Fp8KVCacheDataTypeE0EDF16_Li16ELi64ELi256ELb0ELi4EL8MFMAType0EEvPKT_PKT0_S8_ifPKiSA_SA_iPKfiiiPfSD_PS3_PT2_iSC_SC_
	.p2align	8
	.type	_Z39paged_attention_ll4mi_QKV_mfma16_kernelIDF16_DF16_LN4vllm18Fp8KVCacheDataTypeE0EDF16_Li16ELi64ELi256ELb0ELi4EL8MFMAType0EEvPKT_PKT0_S8_ifPKiSA_SA_iPKfiiiPfSD_PS3_PT2_iSC_SC_,@function
_Z39paged_attention_ll4mi_QKV_mfma16_kernelIDF16_DF16_LN4vllm18Fp8KVCacheDataTypeE0EDF16_Li16ELi64ELi256ELb0ELi4EL8MFMAType0EEvPKT_PKT0_S8_ifPKiSA_SA_iPKfiiiPfSD_PS3_PT2_iSC_SC_: ; @_Z39paged_attention_ll4mi_QKV_mfma16_kernelIDF16_DF16_LN4vllm18Fp8KVCacheDataTypeE0EDF16_Li16ELi64ELi256ELb0ELi4EL8MFMAType0EEvPKT_PKT0_S8_ifPKiSA_SA_iPKfiiiPfSD_PS3_PT2_iSC_SC_
; %bb.0:
	s_load_dwordx2 s[0:1], s[4:5], 0x30
	s_mov_b32 s26, s7
	s_mov_b64 s[10:11], 0
	s_waitcnt lgkmcnt(0)
	s_cmp_lg_u64 s[0:1], 0
	s_cselect_b64 s[2:3], -1, 0
	s_and_b64 vcc, exec, s[2:3]
	s_cbranch_vccz .LBB55_7
; %bb.1:
	s_add_i32 s12, s6, 1
	s_mov_b32 s13, 0
	s_lshl_b64 s[14:15], s[12:13], 2
	s_add_u32 s14, s0, s14
	s_mov_b32 s7, s13
	s_addc_u32 s15, s1, s15
	s_lshl_b64 s[12:13], s[6:7], 2
	s_add_u32 s12, s0, s12
	s_addc_u32 s13, s1, s13
	s_load_dword s9, s[14:15], 0x0
	s_load_dword s16, s[12:13], 0x0
	s_waitcnt lgkmcnt(0)
	s_sub_i32 s9, s9, s16
	s_cmp_eq_u32 s9, 1
	s_cselect_b64 s[12:13], -1, 0
	s_andn2_b64 vcc, exec, s[10:11]
	s_cbranch_vccnz .LBB55_3
.LBB55_2:
	s_mov_b32 s7, 0
	s_mov_b64 s[12:13], -1
.LBB55_3:
	s_andn2_b64 vcc, exec, s[12:13]
	s_cbranch_vccnz .LBB55_17
; %bb.4:
	s_load_dwordx2 s[12:13], s[4:5], 0x28
	s_lshl_b64 s[10:11], s[6:7], 2
	s_waitcnt lgkmcnt(0)
	s_add_u32 s12, s12, s10
	s_addc_u32 s13, s13, s11
	s_load_dword s38, s[12:13], 0x0
	s_lshl_b32 s9, s26, 8
	s_waitcnt lgkmcnt(0)
	s_cmp_ge_i32 s9, s38
	s_cbranch_scc1 .LBB55_17
; %bb.5:
	s_add_i32 s15, s38, 15
	s_load_dwordx2 s[12:13], s[4:5], 0x20
	s_load_dword s14, s[4:5], 0x38
	s_ashr_i32 s16, s15, 31
	v_and_b32_e32 v1, 0xcf, v0
	s_lshr_b32 s16, s16, 28
	v_add_u32_e32 v1, s9, v1
	s_add_i32 s15, s15, s16
	v_ashrrev_i32_e32 v2, 31, v1
	s_ashr_i32 s18, s15, 4
	v_lshrrev_b32_e32 v4, 28, v2
	s_add_i32 s18, s18, -1
	v_add_u32_e32 v2, v1, v4
	s_waitcnt lgkmcnt(0)
	s_mul_i32 s14, s6, s14
	s_mov_b32 s15, 0
	v_ashrrev_i32_e32 v2, 4, v2
	v_mov_b32_e32 v5, s18
	v_cmp_gt_i32_e32 vcc, s38, v1
	s_lshl_b64 s[14:15], s[14:15], 2
	v_cndmask_b32_e32 v2, v5, v2, vcc
	s_add_u32 s16, s12, s14
	v_ashrrev_i32_e32 v3, 31, v2
	s_addc_u32 s17, s13, s15
	v_lshlrev_b64 v[2:3], 2, v[2:3]
	v_mov_b32_e32 v7, s17
	v_add_co_u32_e32 v6, vcc, s16, v2
	v_or_b32_e32 v2, 16, v1
	v_addc_co_u32_e32 v7, vcc, v7, v3, vcc
	v_add_u32_e32 v3, v2, v4
	v_ashrrev_i32_e32 v3, 4, v3
	v_cmp_gt_i32_e32 vcc, s38, v2
	v_cndmask_b32_e32 v2, v5, v3, vcc
	v_ashrrev_i32_e32 v3, 31, v2
	v_lshlrev_b64 v[2:3], 2, v[2:3]
	v_mov_b32_e32 v9, s17
	v_add_co_u32_e32 v8, vcc, s16, v2
	v_or_b32_e32 v2, 32, v1
	v_addc_co_u32_e32 v9, vcc, v9, v3, vcc
	v_add_u32_e32 v3, v2, v4
	v_ashrrev_i32_e32 v3, 4, v3
	v_cmp_gt_i32_e32 vcc, s38, v2
	v_cndmask_b32_e32 v2, v5, v3, vcc
	v_ashrrev_i32_e32 v3, 31, v2
	v_lshlrev_b64 v[2:3], 2, v[2:3]
	v_mov_b32_e32 v11, s17
	v_add_co_u32_e32 v10, vcc, s16, v2
	v_or_b32_e32 v1, 48, v1
	v_addc_co_u32_e32 v11, vcc, v11, v3, vcc
	v_add_u32_e32 v2, v1, v4
	v_ashrrev_i32_e32 v2, 4, v2
	v_cmp_gt_i32_e32 vcc, s38, v1
	v_cndmask_b32_e32 v2, v5, v2, vcc
	v_ashrrev_i32_e32 v3, 31, v2
	v_lshlrev_b64 v[2:3], 2, v[2:3]
	v_mov_b32_e32 v1, s17
	v_add_co_u32_e32 v12, vcc, s16, v2
	v_addc_co_u32_e32 v13, vcc, v1, v3, vcc
	global_load_dword v4, v[6:7], off
	global_load_dword v2, v[8:9], off
	;; [unrolled: 1-line block ×4, first 2 shown]
	s_load_dwordx4 s[12:15], s[4:5], 0x8
	s_andn2_b64 vcc, exec, s[2:3]
	s_cbranch_vccnz .LBB55_8
; %bb.6:
	s_add_u32 s0, s0, s10
	s_addc_u32 s1, s1, s11
	s_load_dword s2, s[0:1], 0x0
	s_branch .LBB55_9
.LBB55_7:
	s_mov_b64 s[12:13], 0
	s_branch .LBB55_2
.LBB55_8:
	s_mov_b32 s2, s6
.LBB55_9:
	s_load_dwordx4 s[40:43], s[4:5], 0x48
	v_and_b32_e32 v56, 15, v0
	v_bfe_u32 v53, v0, 4, 2
	s_lshl_b32 s27, s8, 2
	v_lshlrev_b32_e32 v5, 3, v56
	v_cmp_gt_u32_e32 vcc, 64, v0
	v_cmp_gt_u32_e64 s[0:1], 8, v56
	v_lshrrev_b32_e32 v54, 6, v0
	v_and_b32_e32 v55, 63, v0
	v_or_b32_e32 v1, s27, v53
	v_and_b32_e32 v3, 3, v0
	s_and_b64 s[44:45], vcc, s[0:1]
	v_lshlrev_b32_e32 v50, 1, v5
	v_lshlrev_b32_e32 v51, 5, v53
	s_and_saveexec_b64 s[0:1], s[44:45]
	s_cbranch_execz .LBB55_11
; %bb.10:
	s_load_dwordx2 s[10:11], s[4:5], 0x0
	s_waitcnt lgkmcnt(0)
	s_ashr_i32 s3, s40, 31
	s_mul_hi_u32 s19, s2, s40
	s_mul_i32 s3, s2, s3
	s_add_i32 s3, s19, s3
	s_mul_i32 s2, s2, s40
	s_lshl_b64 s[2:3], s[2:3], 1
	v_lshlrev_b32_e32 v6, 6, v1
	s_add_u32 s2, s10, s2
	v_ashrrev_i32_e32 v7, 31, v6
	s_addc_u32 s3, s11, s3
	v_lshlrev_b64 v[6:7], 1, v[6:7]
	v_mov_b32_e32 v5, s3
	v_add_co_u32_e32 v6, vcc, s2, v6
	v_addc_co_u32_e32 v5, vcc, v5, v7, vcc
	v_add_co_u32_e32 v6, vcc, v6, v50
	v_addc_co_u32_e32 v7, vcc, 0, v5, vcc
	global_load_dwordx4 v[6:9], v[6:7], off
	v_lshlrev_b32_e32 v11, 9, v56
	v_lshl_or_b32 v5, v54, 7, v51
	v_lshlrev_b32_e32 v10, 9, v3
	v_and_b32_e32 v11, 0x1800, v11
	v_or3_b32 v5, v11, v10, v5
	s_waitcnt vmcnt(0)
	ds_write_b128 v5, v[6:9]
.LBB55_11:
	s_or_b64 exec, exec, s[0:1]
	s_waitcnt lgkmcnt(0)
	s_mul_i32 s2, s8, s42
	s_mov_b32 s3, 0
	s_lshl_b64 s[2:3], s[2:3], 1
	s_add_u32 s1, s12, s2
	v_lshlrev_b32_e32 v52, 4, v0
	s_addc_u32 s8, s13, s3
	v_and_b32_e32 v5, 0xf0, v52
	v_mov_b32_e32 v6, s8
	v_add_co_u32_e32 v29, vcc, s1, v5
	s_waitcnt vmcnt(3)
	v_mad_i64_i32 v[4:5], s[10:11], v4, s41, 0
	v_addc_co_u32_e32 v30, vcc, 0, v6, vcc
	v_lshlrev_b64 v[4:5], 1, v[4:5]
	v_add_co_u32_e32 v4, vcc, v29, v4
	v_addc_co_u32_e32 v5, vcc, v30, v5, vcc
	v_and_b32_e32 v31, 0x300, v52
	v_add_co_u32_e32 v4, vcc, v4, v31
	v_addc_co_u32_e32 v5, vcc, 0, v5, vcc
	s_load_dword s33, s[4:5], 0x98
	s_load_dword s0, s[4:5], 0x1c
	s_waitcnt lgkmcnt(0)
	s_barrier
	global_load_dwordx4 v[6:9], v[4:5], off
	s_waitcnt vmcnt(3)
	v_mad_i64_i32 v[10:11], s[10:11], v2, s41, 0
	v_lshlrev_b64 v[10:11], 1, v[10:11]
	v_add_co_u32_e32 v2, vcc, v29, v10
	v_addc_co_u32_e32 v10, vcc, v30, v11, vcc
	v_add_co_u32_e32 v20, vcc, v2, v31
	v_addc_co_u32_e32 v21, vcc, 0, v10, vcc
	global_load_dwordx4 v[22:25], v[20:21], off
	global_load_dwordx4 v[10:13], v[4:5], off offset:1024
	global_load_dwordx4 v[14:17], v[20:21], off offset:1024
	v_lshlrev_b32_e32 v2, 5, v3
	v_lshl_or_b32 v20, v53, 9, v2
	ds_read_b128 v[2:5], v20
	s_waitcnt vmcnt(5)
	v_mad_i64_i32 v[18:19], s[10:11], v18, s41, 0
	v_lshlrev_b64 v[26:27], 1, v[18:19]
	ds_read_b128 v[18:21], v20 offset:2048
	v_and_or_b32 v57, v0, 48, s9
	v_mov_b32_e32 v62, s18
	v_mov_b32_e32 v49, s17
	v_or_b32_e32 v59, 0x80, v57
	v_mov_b32_e32 v58, s17
	v_mov_b32_e32 v63, s17
	s_add_u32 s1, s14, s2
	s_addc_u32 s2, s15, s3
	s_mov_b32 s40, 0xff7fffff
	s_waitcnt vmcnt(2) lgkmcnt(1)
	v_mfma_f32_16x16x16f16 v[36:39], v[22:23], v[2:3], 0
	v_mad_i64_i32 v[22:23], s[10:11], v28, s41, 0
	v_lshlrev_b64 v[44:45], 1, v[22:23]
	v_ashrrev_i32_e32 v22, 4, v57
	v_or_b32_e32 v28, 64, v57
	v_mfma_f32_16x16x16f16 v[32:35], v[6:7], v[2:3], 0
	v_add_co_u32_e32 v6, vcc, v29, v26
	v_addc_co_u32_e32 v7, vcc, v30, v27, vcc
	v_add_co_u32_e32 v26, vcc, v6, v31
	v_addc_co_u32_e32 v27, vcc, 0, v7, vcc
	global_load_dwordx4 v[40:43], v[26:27], off
	v_mfma_f32_16x16x16f16 v[6:9], v[8:9], v[4:5], v[32:35]
	v_cmp_gt_i32_e32 vcc, s38, v57
	v_cndmask_b32_e32 v46, v62, v22, vcc
	v_cmp_gt_i32_e32 vcc, s38, v28
	v_ashrrev_i32_e32 v47, 31, v46
	s_nop 2
	global_load_dwordx4 v[32:35], v[26:27], off offset:1024
	v_mfma_f32_16x16x16f16 v[22:25], v[24:25], v[4:5], v[36:39]
	s_nop 6
	v_ashrrev_i32_e32 v36, 4, v28
	v_cndmask_b32_e32 v48, v62, v36, vcc
	s_waitcnt vmcnt(3) lgkmcnt(0)
	v_mfma_f32_16x16x16f16 v[6:9], v[10:11], v[18:19], v[6:9]
	v_add_co_u32_e32 v10, vcc, v29, v44
	v_addc_co_u32_e32 v11, vcc, v30, v45, vcc
	v_add_co_u32_e32 v10, vcc, v10, v31
	v_addc_co_u32_e32 v11, vcc, 0, v11, vcc
	v_lshlrev_b64 v[36:37], 2, v[46:47]
	global_load_dwordx4 v[26:29], v[10:11], off
	s_waitcnt vmcnt(3)
	v_mfma_f32_16x16x16f16 v[22:25], v[14:15], v[18:19], v[22:25]
	v_add_co_u32_e32 v14, vcc, s16, v36
	v_addc_co_u32_e32 v15, vcc, v49, v37, vcc
	global_load_dword v44, v[14:15], off
	v_ashrrev_i32_e32 v38, 4, v59
	v_cmp_gt_i32_e32 vcc, s38, v59
	v_ashrrev_i32_e32 v49, 31, v48
	v_cndmask_b32_e32 v14, v62, v38, vcc
	v_mfma_f32_16x16x16f16 v[36:39], v[12:13], v[20:21], v[6:9]
	v_ashrrev_i32_e32 v15, 31, v14
	v_mov_b32_e32 v12, s17
	s_nop 4
	v_lshlrev_b64 v[6:7], 2, v[48:49]
	v_add_co_u32_e32 v6, vcc, s16, v6
	v_addc_co_u32_e32 v7, vcc, v58, v7, vcc
	global_load_dwordx4 v[58:61], v[10:11], off offset:1024
	global_load_dword v45, v[6:7], off
	v_lshlrev_b64 v[6:7], 2, v[14:15]
	v_add_co_u32_e32 v10, vcc, s16, v6
	v_addc_co_u32_e32 v11, vcc, v63, v7, vcc
	s_waitcnt vmcnt(5)
	v_mfma_f32_16x16x16f16 v[6:9], v[40:41], v[2:3], 0
	global_load_dword v40, v[10:11], off
	v_or_b32_e32 v10, 0xc0, v57
	v_ashrrev_i32_e32 v11, 4, v10
	v_cmp_gt_i32_e32 vcc, s38, v10
	v_cndmask_b32_e32 v10, v62, v11, vcc
	v_ashrrev_i32_e32 v11, 31, v10
	v_lshlrev_b64 v[10:11], 2, v[10:11]
	v_mfma_f32_16x16x16f16 v[6:9], v[42:43], v[4:5], v[6:9]
	v_add_co_u32_e32 v10, vcc, s16, v10
	v_addc_co_u32_e32 v11, vcc, v12, v11, vcc
	global_load_dword v62, v[10:11], off
	v_lshlrev_b32_e32 v57, 5, v56
	v_lshl_or_b32 v10, v54, 9, v57
	s_waitcnt vmcnt(6)
	v_mfma_f32_16x16x16f16 v[6:9], v[32:33], v[18:19], v[6:9]
	v_mov_b32_e32 v11, s2
	v_add_co_u32_e32 v63, vcc, s1, v10
	v_addc_co_u32_e32 v64, vcc, 0, v11, vcc
	v_pk_mul_f32 v[46:47], s[0:1], v[38:39] op_sel_hi:[0,1]
	v_lshlrev_b32_e32 v56, 2, v56
	v_mfma_f32_16x16x16f16 v[30:33], v[34:35], v[20:21], v[6:9]
	s_waitcnt vmcnt(1)
	v_mad_i64_i32 v[34:35], s[2:3], v40, s41, 0
	s_nop 4
	v_mad_i64_i32 v[6:7], s[2:3], v44, s41, 0
	v_lshlrev_b64 v[10:11], 1, v[6:7]
	v_mfma_f32_16x16x16f16 v[6:9], v[26:27], v[2:3], 0
	v_add_co_u32_e32 v2, vcc, v63, v10
	v_addc_co_u32_e32 v3, vcc, v64, v11, vcc
	v_lshlrev_b64 v[34:35], 1, v[34:35]
	v_pk_mul_f32 v[42:43], s[0:1], v[30:31] op_sel_hi:[0,1]
	v_mfma_f32_16x16x16f16 v[26:29], v[28:29], v[4:5], v[6:9]
	v_mfma_f32_16x16x16f16 v[22:25], v[16:17], v[20:21], v[22:25]
	global_load_dwordx4 v[14:17], v[2:3], off
	global_load_dwordx4 v[10:13], v[2:3], off offset:16
	v_mad_i64_i32 v[2:3], s[2:3], v45, s41, 0
	v_lshlrev_b64 v[2:3], 1, v[2:3]
	v_add_co_u32_e32 v2, vcc, v63, v2
	v_addc_co_u32_e32 v3, vcc, v64, v3, vcc
	v_mfma_f32_16x16x16f16 v[26:29], v[58:59], v[18:19], v[26:29]
	s_nop 3
	v_pk_mul_f32 v[38:39], s[0:1], v[22:23] op_sel_hi:[0,1]
	v_add_co_u32_e32 v58, vcc, v63, v34
	v_addc_co_u32_e32 v59, vcc, v64, v35, vcc
	v_pk_mul_f32 v[18:19], s[0:1], v[36:37] op_sel_hi:[0,1]
	v_pk_mul_f32 v[48:49], s[0:1], v[24:25] op_sel_hi:[0,1]
	v_mfma_f32_16x16x16f16 v[20:23], v[60:61], v[20:21], v[26:29]
	v_pk_mul_f32 v[44:45], s[0:1], v[32:33] op_sel_hi:[0,1]
	global_load_dwordx4 v[6:9], v[2:3], off
	s_nop 0
	global_load_dwordx4 v[2:5], v[2:3], off offset:16
	s_nop 6
	v_pk_mul_f32 v[40:41], s[0:1], v[20:21] op_sel_hi:[0,1]
	v_and_b32_e32 v20, 0xc0, v0
	v_add_u32_e32 v20, s9, v20
	v_lshl_or_b32 v20, v53, 2, v20
	v_pk_mul_f32 v[34:35], s[0:1], v[22:23] op_sel_hi:[0,1]
	v_or_b32_e32 v23, 1, v20
	v_mov_b32_e32 v21, 0xff7fffff
	v_cmp_gt_i32_e64 s[28:29], s38, v20
	v_cmp_gt_i32_e64 s[30:31], s38, v23
	v_cndmask_b32_e64 v22, v21, v18, s[28:29]
	v_cndmask_b32_e64 v23, v21, v19, s[30:31]
	v_max3_f32 v22, v22, s40, v23
	v_or_b32_e32 v23, 2, v20
	v_or_b32_e32 v24, 3, v20
	v_cmp_gt_i32_e64 s[34:35], s38, v23
	v_cmp_gt_i32_e64 s[36:37], s38, v24
	v_cndmask_b32_e64 v23, v21, v46, s[34:35]
	v_cndmask_b32_e64 v24, v21, v47, s[36:37]
	v_max3_f32 v22, v22, v23, v24
	v_or_b32_e32 v23, 16, v20
	v_or_b32_e32 v24, 17, v20
	;; [unrolled: 7-line block ×7, first 2 shown]
	v_cmp_gt_i32_e32 vcc, s38, v23
	v_cmp_gt_i32_e64 s[0:1], s38, v20
	v_cndmask_b32_e32 v23, v21, v34, vcc
	v_cndmask_b32_e64 v20, v21, v35, s[0:1]
	v_max3_f32 v26, v22, v23, v20
	v_mbcnt_lo_u32_b32 v20, -1, 0
	v_mbcnt_hi_u32_b32 v27, -1, v20
	v_and_b32_e32 v20, 64, v27
	v_add_u32_e32 v28, 64, v20
	v_xor_b32_e32 v20, 32, v27
	v_cmp_lt_i32_e64 s[38:39], v20, v28
	v_cndmask_b32_e64 v20, v27, v20, s[38:39]
	v_lshlrev_b32_e32 v60, 2, v20
	ds_bpermute_b32 v29, v60, v26
	s_waitcnt vmcnt(4)
	v_mad_i64_i32 v[20:21], s[38:39], v62, s41, 0
	global_load_dwordx4 v[30:33], v[58:59], off
	global_load_dwordx4 v[22:25], v[58:59], off offset:16
	v_lshlrev_b64 v[20:21], 1, v[20:21]
	s_waitcnt lgkmcnt(0)
	v_max_f32_e32 v29, v29, v29
	v_max_f32_e32 v26, v26, v29
	v_xor_b32_e32 v29, 16, v27
	v_cmp_lt_i32_e64 s[38:39], v29, v28
	v_cndmask_b32_e64 v27, v27, v29, s[38:39]
	v_lshlrev_b32_e32 v61, 2, v27
	ds_bpermute_b32 v27, v61, v26
	v_add_co_u32_e64 v20, s[38:39], v63, v20
	v_addc_co_u32_e64 v21, s[38:39], v64, v21, s[38:39]
	s_waitcnt lgkmcnt(0)
	v_max_f32_e32 v27, v27, v27
	v_max_f32_e32 v58, v26, v27
	v_sub_f32_e32 v18, v18, v58
	v_mul_f32_e32 v18, 0x3fb8aa3b, v18
	v_exp_f32_e32 v36, v18
	v_sub_f32_e32 v18, v19, v58
	v_mul_f32_e32 v18, 0x3fb8aa3b, v18
	v_exp_f32_e32 v37, v18
	global_load_dwordx4 v[26:29], v[20:21], off
	s_nop 0
	global_load_dwordx4 v[18:21], v[20:21], off offset:16
	v_sub_f32_e32 v46, v46, v58
	v_mul_f32_e32 v46, 0x3fb8aa3b, v46
	v_sub_f32_e32 v47, v47, v58
	v_exp_f32_e32 v46, v46
	v_mul_f32_e32 v47, 0x3fb8aa3b, v47
	v_sub_f32_e32 v38, v38, v58
	v_exp_f32_e32 v47, v47
	v_mul_f32_e32 v38, 0x3fb8aa3b, v38
	v_sub_f32_e32 v39, v39, v58
	v_cndmask_b32_e64 v36, 0, v36, s[28:29]
	v_exp_f32_e32 v38, v38
	v_mul_f32_e32 v39, 0x3fb8aa3b, v39
	v_sub_f32_e32 v48, v48, v58
	v_add_f32_e32 v59, 0, v36
	v_cndmask_b32_e64 v37, 0, v37, s[30:31]
	v_exp_f32_e32 v39, v39
	v_mul_f32_e32 v48, 0x3fb8aa3b, v48
	v_sub_f32_e32 v49, v49, v58
	v_add_f32_e32 v59, v59, v37
	;; [unrolled: 5-line block ×10, first 2 shown]
	v_cndmask_b32_e64 v44, 0, v44, s[10:11]
	v_exp_f32_e32 v34, v34
	v_mul_f32_e32 v35, 0x3fb8aa3b, v35
	v_add_f32_e32 v59, v59, v44
	v_cndmask_b32_e64 v45, 0, v45, s[12:13]
	v_exp_f32_e32 v35, v35
	v_add_f32_e32 v59, v59, v45
	v_cndmask_b32_e64 v40, 0, v40, s[2:3]
	v_add_f32_e32 v59, v59, v40
	v_cndmask_b32_e64 v41, 0, v41, s[8:9]
	v_add_f32_e32 v59, v59, v41
	v_cndmask_b32_e32 v34, 0, v34, vcc
	v_add_f32_e32 v59, v59, v34
	v_cndmask_b32_e64 v35, 0, v35, s[0:1]
	v_add_f32_e32 v59, v59, v35
	ds_bpermute_b32 v60, v60, v59
	v_cmp_gt_u32_e32 vcc, 16, v55
	s_waitcnt lgkmcnt(0)
	s_barrier
	v_add_f32_e32 v59, v59, v60
	ds_bpermute_b32 v60, v61, v59
	s_and_saveexec_b64 s[0:1], vcc
	s_cbranch_execz .LBB55_13
; %bb.12:
	s_waitcnt lgkmcnt(0)
	v_add_f32_e32 v55, v59, v60
	v_lshl_or_b32 v59, v54, 6, v56
	ds_write2st64_b32 v59, v58, v55 offset1:1
.LBB55_13:
	s_or_b64 exec, exec, s[0:1]
	s_load_dword s2, s[4:5], 0x94
	s_waitcnt lgkmcnt(0)
	s_barrier
	ds_read2_b32 v[58:59], v56 offset1:16
	ds_read2_b32 v[60:61], v56 offset0:32 offset1:48
	ds_read2_b32 v[62:63], v56 offset0:64 offset1:80
	s_lshl_b32 s3, s33, 2
	s_waitcnt lgkmcnt(2)
	v_max3_f32 v55, v58, s40, v59
	s_waitcnt lgkmcnt(1)
	v_max3_f32 v55, v55, v60, v61
	v_sub_f32_e32 v58, v58, v55
	v_mul_f32_e32 v58, 0x3fb8aa3b, v58
	v_exp_f32_e32 v64, v58
	v_sub_f32_e32 v58, v59, v55
	v_mul_f32_e32 v58, 0x3fb8aa3b, v58
	v_exp_f32_e32 v65, v58
	v_sub_f32_e32 v58, v60, v55
	v_mul_f32_e32 v58, 0x3fb8aa3b, v58
	v_exp_f32_e32 v60, v58
	ds_read2_b32 v[58:59], v56 offset0:96 offset1:112
	v_sub_f32_e32 v56, v61, v55
	v_mul_f32_e32 v56, 0x3fb8aa3b, v56
	v_exp_f32_e32 v61, v56
	s_waitcnt lgkmcnt(1)
	v_fma_f32 v56, v64, v62, 0
	v_fmac_f32_e32 v56, v65, v63
	s_waitcnt lgkmcnt(0)
	v_fmac_f32_e32 v56, v60, v58
	v_fmac_f32_e32 v56, v61, v59
	v_add_f32_e32 v58, 0x358637bd, v56
	v_div_scale_f32 v59, s[0:1], v58, v58, 1.0
	v_rcp_f32_e32 v62, v59
	s_barrier
	v_fma_f32 v63, -v59, v62, 1.0
	v_fmac_f32_e32 v62, v63, v62
	v_div_scale_f32 v63, vcc, 1.0, v58, 1.0
	v_mul_f32_e32 v66, v63, v62
	v_fma_f32 v67, -v59, v66, v63
	v_fmac_f32_e32 v66, v67, v62
	v_fma_f32 v59, -v59, v66, v63
	v_div_fmas_f32 v59, v59, v62, v66
	v_cmp_eq_u32_e32 vcc, 1, v54
	v_div_fixup_f32 v58, v59, v58, 1.0
	v_cndmask_b32_e32 v59, v64, v65, vcc
	v_cmp_eq_u32_e32 vcc, 2, v54
	v_cndmask_b32_e32 v59, v59, v60, vcc
	v_cmp_eq_u32_e32 vcc, 3, v54
	v_cndmask_b32_e32 v59, v59, v61, vcc
	v_mul_f32_e32 v58, v59, v58
	v_pk_mul_f32 v[46:47], v[58:59], v[46:47] op_sel_hi:[0,1]
	v_pk_mul_f32 v[36:37], v[58:59], v[36:37] op_sel_hi:[0,1]
	v_cvt_f16_f32_e32 v59, v46
	v_cvt_f16_f32_e32 v47, v47
	;; [unrolled: 1-line block ×4, first 2 shown]
	v_cmp_gt_u32_e32 vcc, 4, v0
	v_pack_b32_f16 v47, v59, v47
	v_lshlrev_b32_e32 v59, 3, v53
	v_pack_b32_f16 v46, v36, v37
	v_pk_mul_f32 v[36:37], v[58:59], v[48:49] op_sel_hi:[0,1]
	v_pk_mul_f32 v[38:39], v[58:59], v[38:39] op_sel_hi:[0,1]
	v_cvt_f16_f32_e32 v38, v38
	v_cvt_f16_f32_e32 v39, v39
	;; [unrolled: 1-line block ×4, first 2 shown]
	v_lshlrev_b32_e32 v36, 11, v54
	v_or3_b32 v36, v36, v57, v59
	v_pack_b32_f16 v38, v38, v39
	v_pack_b32_f16 v39, v48, v37
	ds_write2st64_b64 v36, v[46:47], v[38:39] offset1:1
	v_pk_mul_f32 v[38:39], v[58:59], v[44:45] op_sel_hi:[0,1]
	v_pk_mul_f32 v[42:43], v[58:59], v[42:43] op_sel_hi:[0,1]
	v_cvt_f16_f32_e32 v37, v42
	v_cvt_f16_f32_e32 v42, v43
	;; [unrolled: 1-line block ×4, first 2 shown]
	v_pk_mul_f32 v[34:35], v[58:59], v[34:35] op_sel_hi:[0,1]
	v_pk_mul_f32 v[38:39], v[58:59], v[40:41] op_sel_hi:[0,1]
	v_cvt_f16_f32_e32 v38, v38
	v_cvt_f16_f32_e32 v39, v39
	;; [unrolled: 1-line block ×4, first 2 shown]
	v_pack_b32_f16 v34, v37, v42
	v_pack_b32_f16 v35, v43, v44
	;; [unrolled: 1-line block ×4, first 2 shown]
	ds_write2st64_b64 v36, v[34:35], v[38:39] offset0:2 offset1:3
	s_and_saveexec_b64 s[0:1], vcc
	s_cbranch_execz .LBB55_15
; %bb.14:
	v_or_b32_e32 v34, s27, v0
	v_mov_b32_e32 v35, 0
	v_mov_b32_e32 v37, s3
	v_mad_u64_u32 v[38:39], s[12:13], s6, v37, v[34:35]
	v_mov_b32_e32 v34, s26
	s_load_dwordx4 s[8:11], s[4:5], 0x58
	s_mul_i32 s7, s7, s3
	v_mad_u64_u32 v[34:35], s[12:13], v38, s2, v[34:35]
	v_add_u32_e32 v37, s7, v39
	v_mov_b32_e32 v38, v35
	v_mad_u64_u32 v[38:39], s[12:13], v37, s2, v[38:39]
	v_mov_b32_e32 v35, v38
	v_lshlrev_b64 v[34:35], 2, v[34:35]
	s_waitcnt lgkmcnt(0)
	v_mov_b32_e32 v37, s11
	v_add_co_u32_e32 v38, vcc, s10, v34
	v_addc_co_u32_e32 v39, vcc, v37, v35, vcc
	v_mov_b32_e32 v37, s9
	v_add_co_u32_e32 v34, vcc, s8, v34
	v_addc_co_u32_e32 v35, vcc, v37, v35, vcc
	global_store_dword v[38:39], v55, off
	global_store_dword v[34:35], v56, off
.LBB55_15:
	s_or_b64 exec, exec, s[0:1]
	v_lshl_or_b32 v34, v53, 9, v57
	s_waitcnt lgkmcnt(0)
	s_barrier
	ds_read_b128 v[38:41], v34
	ds_read_b128 v[42:45], v34 offset:16
	s_waitcnt vmcnt(7) lgkmcnt(1)
	v_mfma_f32_16x16x16f16 v[46:49], v[14:15], v[38:39], 0
	s_mov_b32 s1, 0
	v_mfma_f32_16x16x16f16 v[14:17], v[16:17], v[40:41], v[46:49]
	s_waitcnt vmcnt(6) lgkmcnt(0)
	v_mfma_f32_16x16x16f16 v[14:17], v[10:11], v[42:43], v[14:17]
	v_mfma_f32_16x16x16f16 v[10:13], v[12:13], v[44:45], v[14:17]
	s_nop 7
	s_nop 1
	ds_read_b128 v[14:17], v34 offset:2048
	ds_read_b128 v[38:41], v34 offset:2064
	s_waitcnt vmcnt(5) lgkmcnt(1)
	v_mfma_f32_16x16x16f16 v[10:13], v[6:7], v[14:15], v[10:13]
	v_mfma_f32_16x16x16f16 v[6:9], v[8:9], v[16:17], v[10:13]
	s_waitcnt vmcnt(4) lgkmcnt(0)
	v_mfma_f32_16x16x16f16 v[6:9], v[2:3], v[38:39], v[6:9]
	v_mfma_f32_16x16x16f16 v[2:5], v[4:5], v[40:41], v[6:9]
	s_nop 7
	s_nop 1
	ds_read_b128 v[6:9], v34 offset:4096
	ds_read_b128 v[10:13], v34 offset:4112
	s_waitcnt vmcnt(3) lgkmcnt(1)
	v_mfma_f32_16x16x16f16 v[2:5], v[30:31], v[6:7], v[2:5]
	v_mfma_f32_16x16x16f16 v[2:5], v[32:33], v[8:9], v[2:5]
	s_waitcnt vmcnt(2) lgkmcnt(0)
	v_mfma_f32_16x16x16f16 v[2:5], v[22:23], v[10:11], v[2:5]
	v_mfma_f32_16x16x16f16 v[2:5], v[24:25], v[12:13], v[2:5]
	ds_read_b128 v[6:9], v34 offset:6144
	ds_read_b128 v[10:13], v34 offset:6160
	s_waitcnt lgkmcnt(0)
	s_barrier
	s_waitcnt vmcnt(1)
	v_mfma_f32_16x16x16f16 v[2:5], v[26:27], v[6:7], v[2:5]
	v_mfma_f32_16x16x16f16 v[2:5], v[28:29], v[8:9], v[2:5]
	s_waitcnt vmcnt(0)
	v_mfma_f32_16x16x16f16 v[2:5], v[18:19], v[10:11], v[2:5]
	v_mfma_f32_16x16x16f16 v[2:5], v[20:21], v[12:13], v[2:5]
	s_nop 7
	s_nop 2
	v_cvt_f16_f32_e32 v2, v2
	v_cvt_f16_f32_e32 v3, v3
	;; [unrolled: 1-line block ×4, first 2 shown]
	v_pack_b32_f16 v2, v2, v3
	v_pack_b32_f16 v3, v4, v5
	ds_write_b64 v36, v[2:3]
	s_waitcnt lgkmcnt(0)
	s_barrier
	s_and_saveexec_b64 s[8:9], s[44:45]
	s_cbranch_execz .LBB55_17
; %bb.16:
	s_load_dwordx2 s[4:5], s[4:5], 0x68
	s_lshl_b32 s7, s2, 6
	s_mul_i32 s0, s3, s6
	s_mul_hi_u32 s3, s0, s7
	s_mul_i32 s2, s0, s7
	s_lshl_b64 s[2:3], s[2:3], 1
	s_waitcnt lgkmcnt(0)
	s_add_u32 s2, s4, s2
	v_lshlrev_b32_e32 v0, 10, v0
	s_addc_u32 s3, s5, s3
	s_lshl_b32 s0, s26, 6
	v_and_b32_e32 v0, 0x1800, v0
	v_and_b32_e32 v2, 16, v52
	s_lshl_b64 s[0:1], s[0:1], 1
	v_or3_b32 v0, v0, v51, v2
	s_add_u32 s2, s2, s0
	ds_read_b128 v[2:5], v0
	s_addc_u32 s3, s3, s1
	v_mad_u64_u32 v[0:1], s[0:1], s7, v1, 0
	v_lshlrev_b64 v[0:1], 1, v[0:1]
	v_mov_b32_e32 v6, s3
	v_add_co_u32_e32 v0, vcc, s2, v0
	v_addc_co_u32_e32 v1, vcc, v6, v1, vcc
	v_add_co_u32_e32 v0, vcc, v0, v50
	v_addc_co_u32_e32 v1, vcc, 0, v1, vcc
	s_waitcnt lgkmcnt(0)
	global_store_dwordx4 v[0:1], v[2:5], off
.LBB55_17:
	s_endpgm
	.section	.rodata,"a",@progbits
	.p2align	6, 0x0
	.amdhsa_kernel _Z39paged_attention_ll4mi_QKV_mfma16_kernelIDF16_DF16_LN4vllm18Fp8KVCacheDataTypeE0EDF16_Li16ELi64ELi256ELb0ELi4EL8MFMAType0EEvPKT_PKT0_S8_ifPKiSA_SA_iPKfiiiPfSD_PS3_PT2_iSC_SC_
		.amdhsa_group_segment_fixed_size 8192
		.amdhsa_private_segment_fixed_size 0
		.amdhsa_kernarg_size 400
		.amdhsa_user_sgpr_count 6
		.amdhsa_user_sgpr_private_segment_buffer 1
		.amdhsa_user_sgpr_dispatch_ptr 0
		.amdhsa_user_sgpr_queue_ptr 0
		.amdhsa_user_sgpr_kernarg_segment_ptr 1
		.amdhsa_user_sgpr_dispatch_id 0
		.amdhsa_user_sgpr_flat_scratch_init 0
		.amdhsa_user_sgpr_kernarg_preload_length 0
		.amdhsa_user_sgpr_kernarg_preload_offset 0
		.amdhsa_user_sgpr_private_segment_size 0
		.amdhsa_uses_dynamic_stack 0
		.amdhsa_system_sgpr_private_segment_wavefront_offset 0
		.amdhsa_system_sgpr_workgroup_id_x 1
		.amdhsa_system_sgpr_workgroup_id_y 1
		.amdhsa_system_sgpr_workgroup_id_z 1
		.amdhsa_system_sgpr_workgroup_info 0
		.amdhsa_system_vgpr_workitem_id 0
		.amdhsa_next_free_vgpr 68
		.amdhsa_next_free_sgpr 46
		.amdhsa_accum_offset 68
		.amdhsa_reserve_vcc 1
		.amdhsa_reserve_flat_scratch 0
		.amdhsa_float_round_mode_32 0
		.amdhsa_float_round_mode_16_64 0
		.amdhsa_float_denorm_mode_32 3
		.amdhsa_float_denorm_mode_16_64 3
		.amdhsa_dx10_clamp 1
		.amdhsa_ieee_mode 1
		.amdhsa_fp16_overflow 0
		.amdhsa_tg_split 0
		.amdhsa_exception_fp_ieee_invalid_op 0
		.amdhsa_exception_fp_denorm_src 0
		.amdhsa_exception_fp_ieee_div_zero 0
		.amdhsa_exception_fp_ieee_overflow 0
		.amdhsa_exception_fp_ieee_underflow 0
		.amdhsa_exception_fp_ieee_inexact 0
		.amdhsa_exception_int_div_zero 0
	.end_amdhsa_kernel
	.section	.text._Z39paged_attention_ll4mi_QKV_mfma16_kernelIDF16_DF16_LN4vllm18Fp8KVCacheDataTypeE0EDF16_Li16ELi64ELi256ELb0ELi4EL8MFMAType0EEvPKT_PKT0_S8_ifPKiSA_SA_iPKfiiiPfSD_PS3_PT2_iSC_SC_,"axG",@progbits,_Z39paged_attention_ll4mi_QKV_mfma16_kernelIDF16_DF16_LN4vllm18Fp8KVCacheDataTypeE0EDF16_Li16ELi64ELi256ELb0ELi4EL8MFMAType0EEvPKT_PKT0_S8_ifPKiSA_SA_iPKfiiiPfSD_PS3_PT2_iSC_SC_,comdat
.Lfunc_end55:
	.size	_Z39paged_attention_ll4mi_QKV_mfma16_kernelIDF16_DF16_LN4vllm18Fp8KVCacheDataTypeE0EDF16_Li16ELi64ELi256ELb0ELi4EL8MFMAType0EEvPKT_PKT0_S8_ifPKiSA_SA_iPKfiiiPfSD_PS3_PT2_iSC_SC_, .Lfunc_end55-_Z39paged_attention_ll4mi_QKV_mfma16_kernelIDF16_DF16_LN4vllm18Fp8KVCacheDataTypeE0EDF16_Li16ELi64ELi256ELb0ELi4EL8MFMAType0EEvPKT_PKT0_S8_ifPKiSA_SA_iPKfiiiPfSD_PS3_PT2_iSC_SC_
                                        ; -- End function
	.section	.AMDGPU.csdata,"",@progbits
; Kernel info:
; codeLenInByte = 3844
; NumSgprs: 50
; NumVgprs: 68
; NumAgprs: 0
; TotalNumVgprs: 68
; ScratchSize: 0
; MemoryBound: 0
; FloatMode: 240
; IeeeMode: 1
; LDSByteSize: 8192 bytes/workgroup (compile time only)
; SGPRBlocks: 6
; VGPRBlocks: 8
; NumSGPRsForWavesPerEU: 50
; NumVGPRsForWavesPerEU: 68
; AccumOffset: 68
; Occupancy: 7
; WaveLimiterHint : 1
; COMPUTE_PGM_RSRC2:SCRATCH_EN: 0
; COMPUTE_PGM_RSRC2:USER_SGPR: 6
; COMPUTE_PGM_RSRC2:TRAP_HANDLER: 0
; COMPUTE_PGM_RSRC2:TGID_X_EN: 1
; COMPUTE_PGM_RSRC2:TGID_Y_EN: 1
; COMPUTE_PGM_RSRC2:TGID_Z_EN: 1
; COMPUTE_PGM_RSRC2:TIDIG_COMP_CNT: 0
; COMPUTE_PGM_RSRC3_GFX90A:ACCUM_OFFSET: 16
; COMPUTE_PGM_RSRC3_GFX90A:TG_SPLIT: 0
	.section	.text._Z38paged_attention_ll4mi_QKV_mfma4_kernelIDF16_DF16_LN4vllm18Fp8KVCacheDataTypeE0EDF16_Li32ELi64ELi256ELb1ELi1EEvPKT_PKT0_S7_ifPKiS9_S9_iPKfiiiPfSC_PS2_PT2_iSB_SB_,"axG",@progbits,_Z38paged_attention_ll4mi_QKV_mfma4_kernelIDF16_DF16_LN4vllm18Fp8KVCacheDataTypeE0EDF16_Li32ELi64ELi256ELb1ELi1EEvPKT_PKT0_S7_ifPKiS9_S9_iPKfiiiPfSC_PS2_PT2_iSB_SB_,comdat
	.protected	_Z38paged_attention_ll4mi_QKV_mfma4_kernelIDF16_DF16_LN4vllm18Fp8KVCacheDataTypeE0EDF16_Li32ELi64ELi256ELb1ELi1EEvPKT_PKT0_S7_ifPKiS9_S9_iPKfiiiPfSC_PS2_PT2_iSB_SB_ ; -- Begin function _Z38paged_attention_ll4mi_QKV_mfma4_kernelIDF16_DF16_LN4vllm18Fp8KVCacheDataTypeE0EDF16_Li32ELi64ELi256ELb1ELi1EEvPKT_PKT0_S7_ifPKiS9_S9_iPKfiiiPfSC_PS2_PT2_iSB_SB_
	.globl	_Z38paged_attention_ll4mi_QKV_mfma4_kernelIDF16_DF16_LN4vllm18Fp8KVCacheDataTypeE0EDF16_Li32ELi64ELi256ELb1ELi1EEvPKT_PKT0_S7_ifPKiS9_S9_iPKfiiiPfSC_PS2_PT2_iSB_SB_
	.p2align	8
	.type	_Z38paged_attention_ll4mi_QKV_mfma4_kernelIDF16_DF16_LN4vllm18Fp8KVCacheDataTypeE0EDF16_Li32ELi64ELi256ELb1ELi1EEvPKT_PKT0_S7_ifPKiS9_S9_iPKfiiiPfSC_PS2_PT2_iSB_SB_,@function
_Z38paged_attention_ll4mi_QKV_mfma4_kernelIDF16_DF16_LN4vllm18Fp8KVCacheDataTypeE0EDF16_Li32ELi64ELi256ELb1ELi1EEvPKT_PKT0_S7_ifPKiS9_S9_iPKfiiiPfSC_PS2_PT2_iSB_SB_: ; @_Z38paged_attention_ll4mi_QKV_mfma4_kernelIDF16_DF16_LN4vllm18Fp8KVCacheDataTypeE0EDF16_Li32ELi64ELi256ELb1ELi1EEvPKT_PKT0_S7_ifPKiS9_S9_iPKfiiiPfSC_PS2_PT2_iSB_SB_
; %bb.0:
	s_load_dwordx2 s[2:3], s[4:5], 0x30
	s_mov_b32 s20, s7
	s_mov_b64 s[0:1], 0
	s_waitcnt lgkmcnt(0)
	s_cmp_lg_u64 s[2:3], 0
	s_cselect_b64 s[10:11], -1, 0
	s_and_b64 vcc, exec, s[10:11]
	s_cbranch_vccz .LBB56_10
; %bb.1:
	s_add_i32 s12, s6, 1
	s_mov_b32 s13, 0
	s_lshl_b64 s[14:15], s[12:13], 2
	s_add_u32 s14, s2, s14
	s_mov_b32 s7, s13
	s_addc_u32 s15, s3, s15
	s_lshl_b64 s[12:13], s[6:7], 2
	s_add_u32 s12, s2, s12
	s_addc_u32 s13, s3, s13
	s_load_dword s9, s[14:15], 0x0
	s_load_dword s16, s[12:13], 0x0
	s_waitcnt lgkmcnt(0)
	s_sub_i32 s9, s9, s16
	s_cmp_eq_u32 s9, 1
	s_cselect_b64 s[12:13], -1, 0
	s_andn2_b64 vcc, exec, s[0:1]
	s_cbranch_vccnz .LBB56_3
.LBB56_2:
	s_mov_b32 s7, 0
	s_mov_b64 s[12:13], -1
.LBB56_3:
	s_andn2_b64 vcc, exec, s[12:13]
	s_cbranch_vccnz .LBB56_25
; %bb.4:
	s_load_dword s9, s[4:5], 0x9c
	s_load_dwordx2 s[0:1], s[4:5], 0x28
	s_add_u32 s24, s4, 0x90
	s_addc_u32 s25, s5, 0
	s_lshl_b64 s[16:17], s[6:7], 2
	s_waitcnt lgkmcnt(0)
	s_and_b32 s9, s9, 0xffff
	s_add_u32 s0, s0, s16
	s_addc_u32 s1, s1, s17
	s_load_dword s21, s[0:1], 0x0
	s_mul_i32 s9, s20, s9
	s_waitcnt lgkmcnt(0)
	s_cmp_ge_i32 s9, s21
	s_cbranch_scc1 .LBB56_25
; %bb.5:
	v_and_b32_e32 v2, 0xc0, v0
	v_add_u32_e32 v2, s9, v2
	v_lshrrev_b32_e32 v1, 6, v0
	v_cmp_gt_i32_e64 s[0:1], s21, v2
	v_cmp_le_i32_e32 vcc, s21, v2
                                        ; implicit-def: $sgpr19
                                        ; implicit-def: $sgpr18
	s_and_saveexec_b64 s[12:13], vcc
	s_xor_b64 s[12:13], exec, s[12:13]
	s_cbranch_execz .LBB56_7
; %bb.6:
	v_mul_u32_u24_e32 v2, 20, v1
	v_or_b32_e32 v2, 0xa00, v2
	v_mov_b32_e32 v3, 0xa50
	v_mov_b32_e32 v4, 0xff7fffff
	v_mad_u32_u24 v3, v1, 20, v3
	ds_write2_b32 v2, v4, v4 offset1:1
	v_mov_b32_e32 v2, 0
	ds_write2_b32 v3, v2, v2 offset1:1
	v_mov_b32_e32 v3, 0xa08
	s_mov_b32 s18, 0xff7fffff
	s_mov_b32 s19, 0
	v_mad_u32_u24 v3, v1, 20, v3
	v_mov_b32_e32 v5, 0xa58
	v_mad_u32_u24 v5, v1, 20, v5
	ds_write2_b32 v3, v4, v4 offset1:1
	ds_write2_b32 v5, v2, v2 offset1:1
                                        ; implicit-def: $vgpr2
.LBB56_7:
	s_or_saveexec_b64 s[26:27], s[12:13]
	s_load_dwordx2 s[22:23], s[4:5], 0x68
	s_load_dwordx4 s[12:15], s[4:5], 0x58
	s_load_dword s7, s[24:25], 0x4
	v_and_b32_e32 v44, 63, v0
	v_and_b32_e32 v45, 3, v0
	v_mov_b32_e32 v37, s19
	v_mov_b32_e32 v40, s18
	;; [unrolled: 1-line block ×5, first 2 shown]
                                        ; implicit-def: $vgpr3
                                        ; implicit-def: $vgpr7
                                        ; implicit-def: $vgpr11
                                        ; implicit-def: $vgpr15
                                        ; implicit-def: $vgpr19
                                        ; implicit-def: $vgpr23
                                        ; implicit-def: $vgpr27
                                        ; implicit-def: $vgpr31
	s_xor_b64 exec, exec, s[26:27]
	s_cbranch_execz .LBB56_19
; %bb.8:
	s_add_i32 s29, s21, 31
	s_load_dwordx2 s[18:19], s[4:5], 0x20
	s_load_dword s28, s[4:5], 0x38
	s_ashr_i32 s30, s29, 31
	s_lshr_b32 s30, s30, 27
	v_add_u32_e32 v46, s9, v0
	s_add_i32 s29, s29, s30
	v_ashrrev_i32_e32 v3, 31, v46
	s_ashr_i32 s29, s29, 5
	v_lshrrev_b32_e32 v3, 27, v3
	s_add_i32 s30, s29, -1
	v_add_u32_e32 v3, v46, v3
	s_waitcnt lgkmcnt(0)
	s_mul_i32 s28, s6, s28
	s_mov_b32 s29, 0
	v_ashrrev_i32_e32 v3, 5, v3
	v_mov_b32_e32 v4, s30
	v_cmp_gt_i32_e32 vcc, s21, v46
	s_lshl_b64 s[28:29], s[28:29], 2
	v_cndmask_b32_e32 v4, v4, v3, vcc
	s_add_u32 s18, s18, s28
	v_ashrrev_i32_e32 v5, 31, v4
	s_addc_u32 s19, s19, s29
	v_lshlrev_b64 v[4:5], 2, v[4:5]
	v_mov_b32_e32 v3, s19
	v_add_co_u32_e32 v4, vcc, s18, v4
	v_addc_co_u32_e32 v5, vcc, v3, v5, vcc
	v_ashrrev_i32_e32 v3, 31, v2
	v_lshrrev_b32_e32 v3, 27, v3
	v_add_u32_e32 v2, v2, v3
	v_ashrrev_i32_e32 v8, 5, v2
	v_min_i32_e32 v2, s30, v8
	v_ashrrev_i32_e32 v3, 31, v2
	v_lshlrev_b64 v[2:3], 2, v[2:3]
	v_add_co_u32_e32 v6, vcc, s18, v2
	v_add_u32_e32 v2, 1, v8
	v_mov_b32_e32 v7, s19
	v_min_i32_e32 v2, s30, v2
	v_addc_co_u32_e32 v7, vcc, v7, v3, vcc
	v_ashrrev_i32_e32 v3, 31, v2
	v_lshlrev_b64 v[2:3], 2, v[2:3]
	v_mov_b32_e32 v9, s19
	v_add_co_u32_e32 v8, vcc, s18, v2
	v_addc_co_u32_e32 v9, vcc, v9, v3, vcc
	global_load_dword v2, v[4:5], off
	global_load_dword v14, v[6:7], off
	;; [unrolled: 1-line block ×3, first 2 shown]
	s_load_dwordx2 s[30:31], s[4:5], 0x8
	s_andn2_b64 vcc, exec, s[10:11]
	s_cbranch_vccnz .LBB56_11
; %bb.9:
	s_add_u32 s2, s2, s16
	s_addc_u32 s3, s3, s17
	s_load_dword s9, s[2:3], 0x0
	s_branch .LBB56_12
.LBB56_10:
	s_mov_b64 s[12:13], 0
	s_branch .LBB56_2
.LBB56_11:
	s_mov_b32 s9, s6
.LBB56_12:
	s_load_dwordx2 s[10:11], s[4:5], 0x10
	s_load_dwordx4 s[16:19], s[4:5], 0x48
	v_cmp_eq_u32_e32 vcc, 0, v45
	s_mov_b32 s29, 0
	v_mov_b32_e32 v47, 0
	v_mov_b32_e32 v24, 0
	;; [unrolled: 1-line block ×5, first 2 shown]
	s_and_saveexec_b64 s[2:3], vcc
	s_cbranch_execz .LBB56_14
; %bb.13:
	s_load_dwordx2 s[34:35], s[4:5], 0x0
	s_waitcnt lgkmcnt(0)
	s_ashr_i32 s19, s16, 31
	s_mul_hi_u32 s28, s9, s16
	s_mul_i32 s19, s9, s19
	s_add_i32 s37, s28, s19
	s_mul_i32 s36, s9, s16
	s_lshl_b64 s[36:37], s[36:37], 1
	s_add_u32 s9, s34, s36
	s_addc_u32 s16, s35, s37
	s_lshl_b32 s28, s8, 6
	s_lshl_b64 s[34:35], s[28:29], 1
	s_add_u32 s34, s9, s34
	s_addc_u32 s35, s16, s35
	v_lshlrev_b32_e32 v3, 2, v44
	global_load_dwordx4 v[24:27], v3, s[34:35]
.LBB56_14:
	s_or_b64 exec, exec, s[2:3]
	s_waitcnt lgkmcnt(0)
	s_mul_i32 s28, s8, s18
	s_waitcnt vmcnt(2)
	v_mad_i64_i32 v[2:3], s[2:3], v2, s17, 0
	s_lshl_b64 s[18:19], s[28:29], 1
	s_add_u32 s2, s18, s30
	v_lshlrev_b64 v[2:3], 1, v[2:3]
	s_addc_u32 s3, s19, s31
	v_mov_b32_e32 v4, s3
	v_add_co_u32_e64 v2, s[2:3], s2, v2
	v_addc_co_u32_e64 v3, s[2:3], v4, v3, s[2:3]
	v_and_b32_e32 v4, 31, v0
	v_lshlrev_b32_e32 v4, 4, v4
	v_add_co_u32_e64 v16, s[2:3], v2, v4
	v_addc_co_u32_e64 v17, s[2:3], 0, v3, s[2:3]
	global_load_dwordx4 v[10:13], v[16:17], off
	global_load_dwordx4 v[6:9], v[16:17], off offset:512
	global_load_dwordx4 v[2:5], v[16:17], off offset:1024
	;; [unrolled: 1-line block ×7, first 2 shown]
	v_mov_b32_e32 v48, 0
	s_and_saveexec_b64 s[2:3], vcc
	s_cbranch_execz .LBB56_16
; %bb.15:
	s_load_dwordx2 s[30:31], s[4:5], 0x40
	s_mov_b32 s9, s29
	s_lshl_b64 s[28:29], s[8:9], 2
	v_mov_b32_e32 v47, 1.0
	s_waitcnt lgkmcnt(0)
	s_add_u32 s28, s30, s28
	s_addc_u32 s29, s31, s29
	s_load_dword s9, s[28:29], 0x0
	s_waitcnt lgkmcnt(0)
	v_mov_b32_e32 v48, s9
.LBB56_16:
	s_or_b64 exec, exec, s[2:3]
	s_waitcnt vmcnt(7)
	v_mfma_f32_4x4x4f16 a[0:3], v[24:25], v[10:11], 0 cbsz:4
	s_add_u32 s3, s10, s18
	v_mfma_f32_4x4x4f16 a[0:3], v[26:27], v[12:13], a[0:3] cbsz:4
	v_lshlrev_b32_e32 v15, 6, v44
	s_waitcnt vmcnt(6)
	v_mfma_f32_4x4x4f16 a[0:3], v[24:25], v[6:7], a[0:3] cbsz:4 abid:1
	v_add_co_u32_e32 v49, vcc, s3, v15
	v_mfma_f32_4x4x4f16 a[0:3], v[26:27], v[8:9], a[0:3] cbsz:4 abid:1
	v_mul_hi_i32 v15, v14, s17
	s_waitcnt vmcnt(5)
	v_mfma_f32_4x4x4f16 a[0:3], v[24:25], v[2:3], a[0:3] cbsz:4 abid:2
	v_ashrrev_i32_e32 v15, 31, v15
	v_mfma_f32_4x4x4f16 a[0:3], v[26:27], v[4:5], a[0:3] cbsz:4 abid:2
	s_load_dword s2, s[4:5], 0x1c
	s_waitcnt vmcnt(4)
	v_mfma_f32_4x4x4f16 a[0:3], v[24:25], v[40:41], a[0:3] cbsz:4 abid:3
	s_addc_u32 s4, s11, s19
	v_mfma_f32_4x4x4f16 a[0:3], v[26:27], v[42:43], a[0:3] cbsz:4 abid:3
	v_lshrrev_b32_e32 v50, 29, v15
	s_waitcnt vmcnt(3)
	v_mfma_f32_4x4x4f16 a[0:3], v[24:25], v[36:37], a[0:3] cbsz:4 abid:4
	v_mov_b32_e32 v51, 0
	v_mfma_f32_4x4x4f16 a[0:3], v[26:27], v[38:39], a[0:3] cbsz:4 abid:4
	v_mul_hi_i32 v23, v22, s17
	s_waitcnt vmcnt(2)
	v_mfma_f32_4x4x4f16 a[0:3], v[24:25], v[32:33], a[0:3] cbsz:4 abid:5
	v_mov_b32_e32 v16, s4
	v_mfma_f32_4x4x4f16 a[0:3], v[26:27], v[34:35], a[0:3] cbsz:4 abid:5
	v_mad_i64_i32 v[10:11], s[4:5], v14, s17, v[50:51]
	s_waitcnt vmcnt(1)
	v_mfma_f32_4x4x4f16 a[0:3], v[24:25], v[18:19], a[0:3] cbsz:4 abid:6
	v_ashrrev_i32_e32 v23, 31, v23
	v_mfma_f32_4x4x4f16 a[0:3], v[26:27], v[20:21], a[0:3] cbsz:4 abid:6
	v_lshlrev_b64 v[6:7], 1, v[10:11]
	v_lshrrev_b32_e32 v50, 29, v23
	s_waitcnt vmcnt(0)
	v_mfma_f32_4x4x4f16 a[0:3], v[24:25], v[28:29], a[0:3] cbsz:4 abid:7
	v_addc_co_u32_e32 v54, vcc, 0, v16, vcc
	v_and_b32_e32 v6, -16, v6
	v_mad_i64_i32 v[22:23], s[4:5], v22, s17, v[50:51]
	v_add_co_u32_e32 v52, vcc, v49, v6
	v_lshlrev_b64 v[22:23], 1, v[22:23]
	v_mfma_f32_4x4x4f16 a[0:3], v[26:27], v[30:31], a[0:3] cbsz:4 abid:7
	v_addc_co_u32_e32 v53, vcc, v54, v7, vcc
	v_and_b32_e32 v18, -16, v22
	v_add_co_u32_e32 v34, vcc, v49, v18
	s_nop 1
	v_accvgpr_read_b32 v27, a1
	v_addc_co_u32_e32 v35, vcc, v54, v23, vcc
	v_accvgpr_read_b32 v26, a0
	global_load_dwordx4 v[2:5], v[52:53], off
	global_load_dwordx4 v[6:9], v[52:53], off offset:16
	global_load_dwordx4 v[10:13], v[52:53], off offset:32
	;; [unrolled: 1-line block ×3, first 2 shown]
	global_load_dwordx4 v[18:21], v[34:35], off
	global_load_dwordx4 v[22:25], v[34:35], off offset:16
	s_waitcnt lgkmcnt(0)
	v_pk_mul_f32 v[36:37], s[2:3], v[26:27] op_sel_hi:[0,1]
	global_load_dwordx4 v[26:29], v[34:35], off offset:32
	global_load_dwordx4 v[30:33], v[34:35], off offset:48
	v_accvgpr_read_b32 v35, a3
	v_accvgpr_read_b32 v34, a2
	v_pk_mul_f32 v[34:35], s[2:3], v[34:35] op_sel_hi:[0,1]
	v_mfma_f32_4x4x1f32 a[0:3], v36, v47, 0
	v_cmp_eq_u32_e32 vcc, 1, v45
	v_cndmask_b32_e64 v36, 0, 1.0, vcc
	v_cmp_eq_u32_e32 vcc, 2, v45
	v_mov_b32_e32 v41, 0xff7fffff
	v_mfma_f32_4x4x1f32 a[0:3], v37, v36, a[0:3]
	v_cndmask_b32_e64 v36, 0, 1.0, vcc
	v_cmp_eq_u32_e32 vcc, 3, v45
	s_nop 0
	v_mfma_f32_4x4x1f32 a[0:3], v34, v36, a[0:3]
	v_cndmask_b32_e64 v34, 0, 1.0, vcc
	s_nop 1
	v_mfma_f32_4x4x1f32 a[0:3], v35, v34, a[0:3]
	v_and_b32_e32 v34, -4, v46
	v_subrev_u32_e32 v35, s21, v34
	v_add_u32_e32 v36, 1, v35
	v_cvt_f32_i32_e32 v36, v36
	v_add_u32_e32 v37, 2, v35
	v_cvt_f32_i32_e32 v37, v37
	v_accvgpr_read_b32 v38, a0
	v_fma_f32 v36, v48, v36, v38
	v_accvgpr_read_b32 v38, a1
	v_fma_f32 v37, v48, v37, v38
	v_add_u32_e32 v38, 3, v35
	v_cvt_f32_i32_e32 v38, v38
	v_add_u32_e32 v35, 4, v35
	v_max_f32_e32 v40, 0xff7fffff, v36
	v_cmp_gt_i32_e32 vcc, s21, v34
	v_cvt_f32_i32_e32 v35, v35
	v_cndmask_b32_e32 v40, v41, v40, vcc
	v_or_b32_e32 v41, 1, v34
	v_accvgpr_read_b32 v39, a2
	v_max_f32_e32 v42, v40, v37
	v_cmp_gt_i32_e64 s[2:3], s21, v41
	v_fma_f32 v38, v48, v38, v39
	v_cndmask_b32_e64 v40, v40, v42, s[2:3]
	v_or_b32_e32 v34, 2, v34
	v_accvgpr_read_b32 v39, a3
	v_max_f32_e32 v41, v40, v38
	v_cmp_gt_i32_e64 s[4:5], s21, v34
	v_fmac_f32_e32 v39, v48, v35
	v_cndmask_b32_e64 v34, v40, v41, s[4:5]
	v_or_b32_e32 v40, 3, v46
	v_max_f32_e32 v41, v34, v39
	v_cmp_gt_i32_e64 s[10:11], s21, v40
	v_lshlrev_b32_e32 v35, 2, v0
	v_cndmask_b32_e64 v34, v34, v41, s[10:11]
	v_and_or_b32 v35, v35, 48, v45
	;;#ASMSTART
	v_nop
 v_nop
 v_max_f32_dpp v34, v34, v34 row_ror:4
	;;#ASMEND
	v_lshlrev_b32_e32 v41, 2, v35
	;;#ASMSTART
	v_nop
 v_nop
 v_max_f32_dpp v34, v34, v34 row_ror:8
	;;#ASMEND
	ds_bpermute_b32 v34, v41, v34
	s_waitcnt lgkmcnt(0)
	;;#ASMSTART
	v_nop
 v_nop
 v_max_f32_dpp v34, v34, v34 row_ror:4
	;;#ASMEND
	;;#ASMSTART
	v_nop
 v_nop
 v_max_f32_dpp v40, v34, v34 row_ror:8
	;;#ASMEND
	v_sub_f32_e32 v34, v36, v40
	v_mul_f32_e32 v34, 0x3fb8aa3b, v34
	v_sub_f32_e32 v35, v37, v40
	v_exp_f32_e32 v34, v34
	v_mul_f32_e32 v35, 0x3fb8aa3b, v35
	v_sub_f32_e32 v37, v38, v40
	v_exp_f32_e32 v35, v35
	;; [unrolled: 3-line block ×3, first 2 shown]
	v_mul_f32_e32 v38, 0x3fb8aa3b, v38
	v_exp_f32_e32 v38, v38
	v_cndmask_b32_e32 v34, 0, v34, vcc
	v_add_f32_e32 v36, 0, v34
	v_cndmask_b32_e64 v35, 0, v35, s[2:3]
	v_add_f32_e32 v39, v36, v35
	v_cndmask_b32_e64 v36, 0, v37, s[4:5]
	;; [unrolled: 2-line block ×3, first 2 shown]
	v_add_f32_e32 v38, v39, v37
	;;#ASMSTART
	v_nop
 v_nop
 v_add_f32_dpp v38, v38, v38 row_ror:4
	;;#ASMEND
	;;#ASMSTART
	v_nop
 v_nop
 v_add_f32_dpp v38, v38, v38 row_ror:8
	;;#ASMEND
	ds_bpermute_b32 v38, v41, v38
	s_waitcnt lgkmcnt(0)
	;;#ASMSTART
	v_nop
 v_nop
 v_add_f32_dpp v38, v38, v38 row_ror:4
	;;#ASMEND
	v_cmp_gt_u32_e32 vcc, 4, v44
	;;#ASMSTART
	v_nop
 v_nop
 v_add_f32_dpp v38, v38, v38 row_ror:8
	;;#ASMEND
	s_and_saveexec_b64 s[2:3], vcc
	s_cbranch_execz .LBB56_18
; %bb.17:
	v_mul_u32_u24_e32 v39, 20, v1
	v_lshl_add_u32 v39, v45, 2, v39
	v_add_u32_e32 v39, 0x800, v39
	ds_write2_b32 v39, v40, v38 offset0:128 offset1:148
.LBB56_18:
	s_or_b64 exec, exec, s[2:3]
.LBB56_19:
	s_or_b64 exec, exec, s[26:27]
	s_waitcnt lgkmcnt(0)
	s_barrier
	s_load_dword s2, s[24:25], 0x8
	v_lshlrev_b32_e32 v38, 2, v45
	v_add_u32_e32 v48, 0x800, v38
	ds_read2_b32 v[38:39], v48 offset0:128 offset1:133
	ds_read2_b32 v[42:43], v48 offset0:138 offset1:143
	s_mul_i32 s3, s7, s6
	s_waitcnt lgkmcnt(0)
	s_mul_i32 s2, s3, s2
	s_mov_b32 s3, 0xff7fffff
	v_max3_f32 v41, v38, s3, v39
	v_max3_f32 v41, v41, v42, v43
	v_sub_f32_e32 v38, v38, v41
	ds_read2_b32 v[46:47], v48 offset0:148 offset1:153
	v_mul_f32_e32 v38, 0x3fb8aa3b, v38
	v_sub_f32_e32 v39, v39, v41
	v_sub_f32_e32 v42, v42, v41
	v_exp_f32_e32 v50, v38
	v_mul_f32_e32 v39, 0x3fb8aa3b, v39
	v_mul_f32_e32 v42, 0x3fb8aa3b, v42
	v_exp_f32_e32 v39, v39
	ds_read2_b32 v[48:49], v48 offset0:158 offset1:163
	v_exp_f32_e32 v51, v42
	v_sub_f32_e32 v42, v43, v41
	v_mul_f32_e32 v42, 0x3fb8aa3b, v42
	v_exp_f32_e32 v43, v42
	s_waitcnt lgkmcnt(1)
	v_fma_f32 v42, v50, v46, 0
	v_fmac_f32_e32 v42, v39, v47
	s_waitcnt lgkmcnt(0)
	v_fmac_f32_e32 v42, v51, v48
	v_mov_b32_e32 v38, 0
	v_fmac_f32_e32 v42, v43, v49
	s_mov_b32 s3, 0
	v_cmp_eq_u32_e32 vcc, 0, v45
	s_and_saveexec_b64 s[4:5], vcc
	s_cbranch_execz .LBB56_21
; %bb.20:
	s_lshl_b64 s[10:11], s[2:3], 2
	s_add_u32 s6, s12, s10
	s_mov_b32 s21, s3
	s_addc_u32 s9, s13, s11
	s_lshl_b64 s[12:13], s[20:21], 2
	s_add_u32 s6, s6, s12
	s_addc_u32 s9, s9, s13
	s_add_u32 s10, s14, s10
	s_addc_u32 s11, s15, s11
	;; [unrolled: 2-line block ×3, first 2 shown]
	s_mul_i32 s10, s7, s8
	s_mov_b32 s11, s3
	s_lshl_b64 s[10:11], s[10:11], 2
	s_add_u32 s12, s6, s10
	s_addc_u32 s13, s9, s11
	s_add_u32 s10, s14, s10
	s_addc_u32 s11, s15, s11
	global_store_dword v38, v41, s[10:11]
	global_store_dword v38, v42, s[12:13]
.LBB56_21:
	s_or_b64 exec, exec, s[4:5]
	v_mov_b32_e32 v39, 0
	s_and_saveexec_b64 s[4:5], s[0:1]
	s_cbranch_execz .LBB56_23
; %bb.22:
	v_add_f32_e32 v38, 0x358637bd, v42
	v_div_scale_f32 v39, s[0:1], v38, v38, 1.0
	v_rcp_f32_e32 v42, v39
	v_div_scale_f32 v43, vcc, 1.0, v38, 1.0
	v_sub_f32_e32 v40, v40, v41
	v_fma_f32 v45, -v39, v42, 1.0
	v_fmac_f32_e32 v42, v45, v42
	v_mul_f32_e32 v45, v43, v42
	v_fma_f32 v46, -v39, v45, v43
	v_mul_f32_e32 v40, 0x3fb8aa3b, v40
	v_fmac_f32_e32 v45, v46, v42
	v_exp_f32_e32 v40, v40
	v_fma_f32 v39, -v39, v45, v43
	v_div_fmas_f32 v39, v39, v42, v45
	v_div_fixup_f32 v38, v39, v38, 1.0
	v_mul_f32_e32 v38, v40, v38
	v_pk_mul_f32 v[36:37], v[36:37], v[38:39] op_sel_hi:[1,0]
	v_pk_mul_f32 v[34:35], v[34:35], v[38:39] op_sel_hi:[1,0]
	v_cvt_f16_f32_e32 v34, v34
	v_cvt_f16_f32_e32 v35, v35
	;; [unrolled: 1-line block ×4, first 2 shown]
	s_mov_b32 s0, 0x5040100
	v_pack_b32_f16 v34, v34, v35
	v_pack_b32_f16 v35, v36, v37
	s_waitcnt vmcnt(7)
	s_nop 0
	v_mfma_f32_4x4x4f16 a[0:3], v[34:35], v[2:3], 0 cbsz:4
	v_mfma_f32_4x4x4f16 a[0:3], v[34:35], v[4:5], a[0:3] cbsz:4 abid:1
	s_waitcnt vmcnt(6)
	v_mfma_f32_4x4x4f16 a[0:3], v[34:35], v[6:7], a[0:3] cbsz:4 abid:2
	v_mfma_f32_4x4x4f16 a[0:3], v[34:35], v[8:9], a[0:3] cbsz:4 abid:3
	s_waitcnt vmcnt(5)
	v_mfma_f32_4x4x4f16 a[0:3], v[34:35], v[10:11], a[0:3] cbsz:4 abid:4
	;; [unrolled: 3-line block ×7, first 2 shown]
	v_mfma_f32_4x4x4f16 a[0:3], v[34:35], v[32:33], a[0:3] cbsz:4 abid:15
	s_nop 4
	v_accvgpr_read_b32 v2, a0
	v_accvgpr_read_b32 v3, a1
	;; [unrolled: 1-line block ×4, first 2 shown]
	v_cvt_f16_f32_e32 v2, v2
	v_cvt_f16_f32_e32 v3, v3
	;; [unrolled: 1-line block ×4, first 2 shown]
	v_perm_b32 v38, v3, v2, s0
	v_perm_b32 v39, v5, v4, s0
.LBB56_23:
	s_or_b64 exec, exec, s[4:5]
	v_lshlrev_b32_e32 v1, 3, v1
	v_mad_u32_u24 v1, v44, 40, v1
	v_cmp_gt_u32_e32 vcc, 64, v0
	ds_write_b64 v1, v[38:39]
	s_waitcnt lgkmcnt(0)
	s_barrier
	s_and_saveexec_b64 s[0:1], vcc
	s_cbranch_execz .LBB56_25
; %bb.24:
	s_lshl_b32 s0, s2, 6
	s_mov_b32 s1, 0
	s_lshl_b64 s[2:3], s[0:1], 1
	s_add_u32 s2, s22, s2
	s_addc_u32 s3, s23, s3
	s_lshl_b32 s0, s20, 6
	s_lshl_b64 s[0:1], s[0:1], 1
	s_add_u32 s0, s2, s0
	s_mul_i32 s2, s8, s7
	v_lshl_or_b32 v0, s2, 6, v0
	v_mov_b32_e32 v1, 0
	s_waitcnt vmcnt(7)
	v_mul_u32_u24_e32 v4, 40, v44
	s_waitcnt vmcnt(6)
	v_lshlrev_b64 v[8:9], 1, v[0:1]
	ds_read2_b64 v[0:3], v4 offset1:1
	ds_read2_b64 v[4:7], v4 offset0:2 offset1:3
	s_addc_u32 s1, s3, s1
	s_waitcnt vmcnt(5)
	v_mov_b32_e32 v10, s1
	v_add_co_u32_e32 v8, vcc, s0, v8
	s_waitcnt lgkmcnt(1)
	v_pk_add_f16 v0, v0, 0
	v_pk_add_f16 v0, v0, v2
	s_waitcnt lgkmcnt(0)
	v_pk_add_f16 v0, v0, v4
	v_addc_co_u32_e32 v9, vcc, v10, v9, vcc
	v_pk_add_f16 v0, v0, v6
	global_store_short v[8:9], v0, off
.LBB56_25:
	s_endpgm
	.section	.rodata,"a",@progbits
	.p2align	6, 0x0
	.amdhsa_kernel _Z38paged_attention_ll4mi_QKV_mfma4_kernelIDF16_DF16_LN4vllm18Fp8KVCacheDataTypeE0EDF16_Li32ELi64ELi256ELb1ELi1EEvPKT_PKT0_S7_ifPKiS9_S9_iPKfiiiPfSC_PS2_PT2_iSB_SB_
		.amdhsa_group_segment_fixed_size 2720
		.amdhsa_private_segment_fixed_size 0
		.amdhsa_kernarg_size 400
		.amdhsa_user_sgpr_count 6
		.amdhsa_user_sgpr_private_segment_buffer 1
		.amdhsa_user_sgpr_dispatch_ptr 0
		.amdhsa_user_sgpr_queue_ptr 0
		.amdhsa_user_sgpr_kernarg_segment_ptr 1
		.amdhsa_user_sgpr_dispatch_id 0
		.amdhsa_user_sgpr_flat_scratch_init 0
		.amdhsa_user_sgpr_kernarg_preload_length 0
		.amdhsa_user_sgpr_kernarg_preload_offset 0
		.amdhsa_user_sgpr_private_segment_size 0
		.amdhsa_uses_dynamic_stack 0
		.amdhsa_system_sgpr_private_segment_wavefront_offset 0
		.amdhsa_system_sgpr_workgroup_id_x 1
		.amdhsa_system_sgpr_workgroup_id_y 1
		.amdhsa_system_sgpr_workgroup_id_z 1
		.amdhsa_system_sgpr_workgroup_info 0
		.amdhsa_system_vgpr_workitem_id 0
		.amdhsa_next_free_vgpr 60
		.amdhsa_next_free_sgpr 38
		.amdhsa_accum_offset 56
		.amdhsa_reserve_vcc 1
		.amdhsa_reserve_flat_scratch 0
		.amdhsa_float_round_mode_32 0
		.amdhsa_float_round_mode_16_64 0
		.amdhsa_float_denorm_mode_32 3
		.amdhsa_float_denorm_mode_16_64 3
		.amdhsa_dx10_clamp 1
		.amdhsa_ieee_mode 1
		.amdhsa_fp16_overflow 0
		.amdhsa_tg_split 0
		.amdhsa_exception_fp_ieee_invalid_op 0
		.amdhsa_exception_fp_denorm_src 0
		.amdhsa_exception_fp_ieee_div_zero 0
		.amdhsa_exception_fp_ieee_overflow 0
		.amdhsa_exception_fp_ieee_underflow 0
		.amdhsa_exception_fp_ieee_inexact 0
		.amdhsa_exception_int_div_zero 0
	.end_amdhsa_kernel
	.section	.text._Z38paged_attention_ll4mi_QKV_mfma4_kernelIDF16_DF16_LN4vllm18Fp8KVCacheDataTypeE0EDF16_Li32ELi64ELi256ELb1ELi1EEvPKT_PKT0_S7_ifPKiS9_S9_iPKfiiiPfSC_PS2_PT2_iSB_SB_,"axG",@progbits,_Z38paged_attention_ll4mi_QKV_mfma4_kernelIDF16_DF16_LN4vllm18Fp8KVCacheDataTypeE0EDF16_Li32ELi64ELi256ELb1ELi1EEvPKT_PKT0_S7_ifPKiS9_S9_iPKfiiiPfSC_PS2_PT2_iSB_SB_,comdat
.Lfunc_end56:
	.size	_Z38paged_attention_ll4mi_QKV_mfma4_kernelIDF16_DF16_LN4vllm18Fp8KVCacheDataTypeE0EDF16_Li32ELi64ELi256ELb1ELi1EEvPKT_PKT0_S7_ifPKiS9_S9_iPKfiiiPfSC_PS2_PT2_iSB_SB_, .Lfunc_end56-_Z38paged_attention_ll4mi_QKV_mfma4_kernelIDF16_DF16_LN4vllm18Fp8KVCacheDataTypeE0EDF16_Li32ELi64ELi256ELb1ELi1EEvPKT_PKT0_S7_ifPKiS9_S9_iPKfiiiPfSC_PS2_PT2_iSB_SB_
                                        ; -- End function
	.section	.AMDGPU.csdata,"",@progbits
; Kernel info:
; codeLenInByte = 2996
; NumSgprs: 42
; NumVgprs: 55
; NumAgprs: 4
; TotalNumVgprs: 60
; ScratchSize: 0
; MemoryBound: 0
; FloatMode: 240
; IeeeMode: 1
; LDSByteSize: 2720 bytes/workgroup (compile time only)
; SGPRBlocks: 5
; VGPRBlocks: 7
; NumSGPRsForWavesPerEU: 42
; NumVGPRsForWavesPerEU: 60
; AccumOffset: 56
; Occupancy: 8
; WaveLimiterHint : 1
; COMPUTE_PGM_RSRC2:SCRATCH_EN: 0
; COMPUTE_PGM_RSRC2:USER_SGPR: 6
; COMPUTE_PGM_RSRC2:TRAP_HANDLER: 0
; COMPUTE_PGM_RSRC2:TGID_X_EN: 1
; COMPUTE_PGM_RSRC2:TGID_Y_EN: 1
; COMPUTE_PGM_RSRC2:TGID_Z_EN: 1
; COMPUTE_PGM_RSRC2:TIDIG_COMP_CNT: 0
; COMPUTE_PGM_RSRC3_GFX90A:ACCUM_OFFSET: 13
; COMPUTE_PGM_RSRC3_GFX90A:TG_SPLIT: 0
	.section	.text._Z38paged_attention_ll4mi_QKV_mfma4_kernelIDF16_DF16_LN4vllm18Fp8KVCacheDataTypeE0EDF16_Li32ELi64ELi256ELb1ELi2EEvPKT_PKT0_S7_ifPKiS9_S9_iPKfiiiPfSC_PS2_PT2_iSB_SB_,"axG",@progbits,_Z38paged_attention_ll4mi_QKV_mfma4_kernelIDF16_DF16_LN4vllm18Fp8KVCacheDataTypeE0EDF16_Li32ELi64ELi256ELb1ELi2EEvPKT_PKT0_S7_ifPKiS9_S9_iPKfiiiPfSC_PS2_PT2_iSB_SB_,comdat
	.protected	_Z38paged_attention_ll4mi_QKV_mfma4_kernelIDF16_DF16_LN4vllm18Fp8KVCacheDataTypeE0EDF16_Li32ELi64ELi256ELb1ELi2EEvPKT_PKT0_S7_ifPKiS9_S9_iPKfiiiPfSC_PS2_PT2_iSB_SB_ ; -- Begin function _Z38paged_attention_ll4mi_QKV_mfma4_kernelIDF16_DF16_LN4vllm18Fp8KVCacheDataTypeE0EDF16_Li32ELi64ELi256ELb1ELi2EEvPKT_PKT0_S7_ifPKiS9_S9_iPKfiiiPfSC_PS2_PT2_iSB_SB_
	.globl	_Z38paged_attention_ll4mi_QKV_mfma4_kernelIDF16_DF16_LN4vllm18Fp8KVCacheDataTypeE0EDF16_Li32ELi64ELi256ELb1ELi2EEvPKT_PKT0_S7_ifPKiS9_S9_iPKfiiiPfSC_PS2_PT2_iSB_SB_
	.p2align	8
	.type	_Z38paged_attention_ll4mi_QKV_mfma4_kernelIDF16_DF16_LN4vllm18Fp8KVCacheDataTypeE0EDF16_Li32ELi64ELi256ELb1ELi2EEvPKT_PKT0_S7_ifPKiS9_S9_iPKfiiiPfSC_PS2_PT2_iSB_SB_,@function
_Z38paged_attention_ll4mi_QKV_mfma4_kernelIDF16_DF16_LN4vllm18Fp8KVCacheDataTypeE0EDF16_Li32ELi64ELi256ELb1ELi2EEvPKT_PKT0_S7_ifPKiS9_S9_iPKfiiiPfSC_PS2_PT2_iSB_SB_: ; @_Z38paged_attention_ll4mi_QKV_mfma4_kernelIDF16_DF16_LN4vllm18Fp8KVCacheDataTypeE0EDF16_Li32ELi64ELi256ELb1ELi2EEvPKT_PKT0_S7_ifPKiS9_S9_iPKfiiiPfSC_PS2_PT2_iSB_SB_
; %bb.0:
	s_load_dwordx2 s[2:3], s[4:5], 0x30
	s_mov_b32 s10, s7
	s_mov_b64 s[0:1], 0
	s_waitcnt lgkmcnt(0)
	s_cmp_lg_u64 s[2:3], 0
	s_cselect_b64 s[16:17], -1, 0
	s_and_b64 vcc, exec, s[16:17]
	s_cbranch_vccz .LBB57_10
; %bb.1:
	s_add_i32 s12, s6, 1
	s_mov_b32 s13, 0
	s_lshl_b64 s[14:15], s[12:13], 2
	s_add_u32 s14, s2, s14
	s_mov_b32 s7, s13
	s_addc_u32 s15, s3, s15
	s_lshl_b64 s[12:13], s[6:7], 2
	s_add_u32 s12, s2, s12
	s_addc_u32 s13, s3, s13
	s_load_dword s9, s[14:15], 0x0
	s_load_dword s11, s[12:13], 0x0
	s_waitcnt lgkmcnt(0)
	s_sub_i32 s9, s9, s11
	s_cmp_eq_u32 s9, 1
	s_cselect_b64 s[12:13], -1, 0
	s_andn2_b64 vcc, exec, s[0:1]
	s_cbranch_vccnz .LBB57_3
.LBB57_2:
	s_mov_b32 s7, 0
	s_mov_b64 s[12:13], -1
.LBB57_3:
	s_andn2_b64 vcc, exec, s[12:13]
	s_cbranch_vccnz .LBB57_25
; %bb.4:
	s_load_dword s9, s[4:5], 0x9c
	s_load_dwordx2 s[0:1], s[4:5], 0x28
	s_add_u32 s22, s4, 0x90
	s_addc_u32 s23, s5, 0
	s_lshl_b64 s[18:19], s[6:7], 2
	s_waitcnt lgkmcnt(0)
	s_and_b32 s9, s9, 0xffff
	s_add_u32 s0, s0, s18
	s_addc_u32 s1, s1, s19
	s_load_dword s11, s[0:1], 0x0
	s_mul_i32 s9, s10, s9
	s_waitcnt lgkmcnt(0)
	s_cmp_ge_i32 s9, s11
	s_cbranch_scc1 .LBB57_25
; %bb.5:
	v_and_b32_e32 v2, 0xc0, v0
	v_add_u32_e32 v2, s9, v2
	v_lshrrev_b32_e32 v1, 6, v0
	v_cmp_gt_i32_e64 s[0:1], s11, v2
	v_cmp_le_i32_e32 vcc, s11, v2
                                        ; implicit-def: $sgpr27
                                        ; implicit-def: $sgpr26
	s_and_saveexec_b64 s[12:13], vcc
	s_xor_b64 s[12:13], exec, s[12:13]
	s_cbranch_execz .LBB57_7
; %bb.6:
	v_mul_u32_u24_e32 v2, 20, v1
	v_or_b32_e32 v2, 0xa00, v2
	v_mov_b32_e32 v3, 0xa50
	v_mov_b32_e32 v4, 0xff7fffff
	v_mad_u32_u24 v3, v1, 20, v3
	ds_write2_b32 v2, v4, v4 offset1:1
	v_mov_b32_e32 v2, 0
	ds_write2_b32 v3, v2, v2 offset1:1
	v_mov_b32_e32 v3, 0xa08
	s_mov_b32 s26, 0xff7fffff
	s_mov_b32 s27, 0
	v_mad_u32_u24 v3, v1, 20, v3
	v_mov_b32_e32 v5, 0xa58
	v_mad_u32_u24 v5, v1, 20, v5
	ds_write2_b32 v3, v4, v4 offset1:1
	ds_write2_b32 v5, v2, v2 offset1:1
                                        ; implicit-def: $vgpr2
.LBB57_7:
	s_or_saveexec_b64 s[24:25], s[12:13]
	s_load_dwordx2 s[20:21], s[4:5], 0x68
	s_load_dwordx4 s[12:15], s[4:5], 0x58
	s_load_dword s7, s[22:23], 0x4
	v_and_b32_e32 v44, 63, v0
	v_and_b32_e32 v45, 3, v0
	s_lshl_b32 s33, s8, 1
	v_mov_b32_e32 v37, s27
	v_mov_b32_e32 v40, s26
	;; [unrolled: 1-line block ×5, first 2 shown]
                                        ; implicit-def: $vgpr3
                                        ; implicit-def: $vgpr7
                                        ; implicit-def: $vgpr11
                                        ; implicit-def: $vgpr15
                                        ; implicit-def: $vgpr19
                                        ; implicit-def: $vgpr23
                                        ; implicit-def: $vgpr27
                                        ; implicit-def: $vgpr31
	s_xor_b64 exec, exec, s[24:25]
	s_cbranch_execz .LBB57_19
; %bb.8:
	s_add_i32 s29, s11, 31
	s_load_dwordx2 s[26:27], s[4:5], 0x20
	s_load_dword s28, s[4:5], 0x38
	s_ashr_i32 s30, s29, 31
	s_lshr_b32 s30, s30, 27
	v_add_u32_e32 v46, s9, v0
	s_add_i32 s29, s29, s30
	v_ashrrev_i32_e32 v3, 31, v46
	s_ashr_i32 s29, s29, 5
	v_lshrrev_b32_e32 v3, 27, v3
	s_add_i32 s30, s29, -1
	v_add_u32_e32 v3, v46, v3
	s_waitcnt lgkmcnt(0)
	s_mul_i32 s28, s6, s28
	s_mov_b32 s29, 0
	v_ashrrev_i32_e32 v3, 5, v3
	v_mov_b32_e32 v4, s30
	v_cmp_gt_i32_e32 vcc, s11, v46
	s_lshl_b64 s[28:29], s[28:29], 2
	v_cndmask_b32_e32 v4, v4, v3, vcc
	s_add_u32 s26, s26, s28
	v_ashrrev_i32_e32 v5, 31, v4
	s_addc_u32 s27, s27, s29
	v_lshlrev_b64 v[4:5], 2, v[4:5]
	v_mov_b32_e32 v3, s27
	v_add_co_u32_e32 v4, vcc, s26, v4
	v_addc_co_u32_e32 v5, vcc, v3, v5, vcc
	v_ashrrev_i32_e32 v3, 31, v2
	v_lshrrev_b32_e32 v3, 27, v3
	v_add_u32_e32 v2, v2, v3
	v_ashrrev_i32_e32 v6, 5, v2
	v_min_i32_e32 v2, s30, v6
	v_ashrrev_i32_e32 v3, 31, v2
	v_lshlrev_b64 v[2:3], 2, v[2:3]
	v_add_co_u32_e32 v8, vcc, s26, v2
	v_add_u32_e32 v2, 1, v6
	v_mov_b32_e32 v7, s27
	v_min_i32_e32 v2, s30, v2
	v_addc_co_u32_e32 v9, vcc, v7, v3, vcc
	v_ashrrev_i32_e32 v3, 31, v2
	v_lshlrev_b64 v[2:3], 2, v[2:3]
	v_mov_b32_e32 v6, s27
	v_add_co_u32_e32 v10, vcc, s26, v2
	v_addc_co_u32_e32 v11, vcc, v6, v3, vcc
	global_load_dword v2, v[4:5], off
	global_load_dword v6, v[8:9], off
	;; [unrolled: 1-line block ×3, first 2 shown]
	s_load_dwordx2 s[28:29], s[4:5], 0x8
	s_andn2_b64 vcc, exec, s[16:17]
	s_cbranch_vccnz .LBB57_11
; %bb.9:
	s_add_u32 s2, s2, s18
	s_addc_u32 s3, s3, s19
	s_load_dword s2, s[2:3], 0x0
	s_branch .LBB57_12
.LBB57_10:
	s_mov_b64 s[12:13], 0
	s_branch .LBB57_2
.LBB57_11:
	s_mov_b32 s2, s6
.LBB57_12:
	s_load_dwordx2 s[26:27], s[4:5], 0x10
	s_load_dwordx4 s[16:19], s[4:5], 0x48
	v_cmp_gt_u32_e32 vcc, 2, v45
	s_mov_b32 s3, 0
	v_mov_b32_e32 v47, 0
	v_mov_b32_e32 v32, 0
	v_mov_b32_e32 v33, 0
	v_mov_b32_e32 v34, 0
	v_mov_b32_e32 v35, 0
	s_and_saveexec_b64 s[30:31], vcc
	s_cbranch_execz .LBB57_14
; %bb.13:
	s_load_dwordx2 s[34:35], s[4:5], 0x0
	s_waitcnt lgkmcnt(0)
	s_ashr_i32 s9, s16, 31
	s_mul_hi_u32 s19, s2, s16
	s_mul_i32 s9, s2, s9
	s_add_i32 s37, s19, s9
	s_mul_i32 s36, s2, s16
	s_lshl_b64 s[36:37], s[36:37], 1
	s_add_u32 s9, s34, s36
	s_addc_u32 s16, s35, s37
	s_lshl_b32 s2, s8, 7
	s_lshl_b64 s[34:35], s[2:3], 1
	s_add_u32 s34, s9, s34
	v_lshlrev_b32_e32 v3, 3, v45
	v_lshrrev_b32_e32 v4, 2, v44
	s_addc_u32 s35, s16, s35
	v_add_lshl_u32 v3, v3, v4, 4
	global_load_dwordx4 v[32:35], v3, s[34:35]
.LBB57_14:
	s_or_b64 exec, exec, s[30:31]
	s_waitcnt lgkmcnt(0)
	s_mul_i32 s2, s8, s18
	s_lshl_b64 s[8:9], s[2:3], 1
	s_waitcnt vmcnt(2)
	v_mad_i64_i32 v[2:3], s[30:31], v2, s17, 0
	s_add_u32 s2, s8, s28
	v_lshlrev_b64 v[2:3], 1, v[2:3]
	s_addc_u32 s3, s9, s29
	v_mov_b32_e32 v4, s3
	v_add_co_u32_e64 v2, s[2:3], s2, v2
	v_addc_co_u32_e64 v3, s[2:3], v4, v3, s[2:3]
	v_and_b32_e32 v4, 31, v0
	v_lshlrev_b32_e32 v4, 4, v4
	v_add_co_u32_e64 v16, s[2:3], v2, v4
	v_addc_co_u32_e64 v17, s[2:3], 0, v3, s[2:3]
	global_load_dwordx4 v[12:15], v[16:17], off
	global_load_dwordx4 v[2:5], v[16:17], off offset:512
	global_load_dwordx4 v[8:11], v[16:17], off offset:1024
	;; [unrolled: 1-line block ×7, first 2 shown]
	s_and_saveexec_b64 s[2:3], vcc
	s_cbranch_execz .LBB57_16
; %bb.15:
	s_load_dwordx2 s[18:19], s[4:5], 0x40
	v_or_b32_e32 v16, s33, v45
	v_mov_b32_e32 v17, 0
	v_lshlrev_b64 v[16:17], 2, v[16:17]
	s_waitcnt lgkmcnt(0)
	v_mov_b32_e32 v7, s19
	v_add_co_u32_e32 v16, vcc, s18, v16
	v_addc_co_u32_e32 v17, vcc, v7, v17, vcc
	global_load_dword v47, v[16:17], off
.LBB57_16:
	s_or_b64 exec, exec, s[2:3]
	s_waitcnt vmcnt(7)
	v_mfma_f32_4x4x4f16 a[0:3], v[32:33], v[12:13], 0 cbsz:4
	s_add_u32 s3, s26, s8
	v_mfma_f32_4x4x4f16 a[0:3], v[34:35], v[14:15], a[0:3] cbsz:4
	v_lshlrev_b32_e32 v7, 6, v44
	s_waitcnt vmcnt(6)
	v_mfma_f32_4x4x4f16 a[0:3], v[32:33], v[2:3], a[0:3] cbsz:4 abid:1
	v_add_co_u32_e32 v31, vcc, s3, v7
	v_mfma_f32_4x4x4f16 a[0:3], v[34:35], v[4:5], a[0:3] cbsz:4 abid:1
	v_mul_hi_i32 v7, v6, s17
	s_waitcnt vmcnt(5)
	v_mfma_f32_4x4x4f16 a[0:3], v[32:33], v[8:9], a[0:3] cbsz:4 abid:2
	v_ashrrev_i32_e32 v7, 31, v7
	v_mfma_f32_4x4x4f16 a[0:3], v[34:35], v[10:11], a[0:3] cbsz:4 abid:2
	s_load_dword s2, s[4:5], 0x1c
	s_waitcnt vmcnt(4)
	v_mfma_f32_4x4x4f16 a[0:3], v[32:33], v[40:41], a[0:3] cbsz:4 abid:3
	s_addc_u32 s4, s27, s9
	v_mfma_f32_4x4x4f16 a[0:3], v[34:35], v[42:43], a[0:3] cbsz:4 abid:3
	v_lshrrev_b32_e32 v48, 29, v7
	s_waitcnt vmcnt(3)
	v_mfma_f32_4x4x4f16 a[0:3], v[32:33], v[26:27], a[0:3] cbsz:4 abid:4
	v_mov_b32_e32 v49, 0
	v_mfma_f32_4x4x4f16 a[0:3], v[34:35], v[28:29], a[0:3] cbsz:4 abid:4
	v_mul_hi_i32 v40, v30, s17
	s_waitcnt vmcnt(2)
	v_mfma_f32_4x4x4f16 a[0:3], v[32:33], v[22:23], a[0:3] cbsz:4 abid:5
	v_mov_b32_e32 v16, s4
	v_mad_i64_i32 v[6:7], s[4:5], v6, s17, v[48:49]
	v_ashrrev_i32_e32 v40, 31, v40
	v_lshlrev_b64 v[6:7], 1, v[6:7]
	v_lshrrev_b32_e32 v48, 29, v40
	v_mfma_f32_4x4x4f16 a[0:3], v[34:35], v[24:25], a[0:3] cbsz:4 abid:5
	v_addc_co_u32_e32 v52, vcc, 0, v16, vcc
	v_and_b32_e32 v2, -16, v6
	v_mad_i64_i32 v[26:27], s[4:5], v30, s17, v[48:49]
	v_add_co_u32_e32 v50, vcc, v31, v2
	v_lshlrev_b64 v[22:23], 1, v[26:27]
	s_waitcnt vmcnt(1)
	v_mfma_f32_4x4x4f16 a[0:3], v[32:33], v[18:19], a[0:3] cbsz:4 abid:6
	v_addc_co_u32_e32 v51, vcc, v52, v7, vcc
	v_and_b32_e32 v22, -16, v22
	v_add_co_u32_e32 v40, vcc, v31, v22
	v_mfma_f32_4x4x4f16 a[0:3], v[34:35], v[20:21], a[0:3] cbsz:4 abid:6
	v_addc_co_u32_e32 v41, vcc, v52, v23, vcc
	global_load_dwordx4 v[2:5], v[50:51], off
	global_load_dwordx4 v[6:9], v[50:51], off offset:16
	global_load_dwordx4 v[10:13], v[50:51], off offset:32
	;; [unrolled: 1-line block ×3, first 2 shown]
	global_load_dwordx4 v[18:21], v[40:41], off
	global_load_dwordx4 v[22:25], v[40:41], off offset:16
	s_waitcnt vmcnt(6)
	v_mfma_f32_4x4x4f16 a[0:3], v[32:33], v[36:37], a[0:3] cbsz:4 abid:7
	global_load_dwordx4 v[26:29], v[40:41], off offset:32
	global_load_dwordx4 v[30:33], v[40:41], off offset:48
	v_mfma_f32_4x4x4f16 a[0:3], v[34:35], v[38:39], a[0:3] cbsz:4 abid:7
	v_cmp_eq_u32_e32 vcc, 0, v45
	v_cndmask_b32_e64 v38, 0, 1.0, vcc
	v_cmp_eq_u32_e32 vcc, 1, v45
	v_mov_b32_e32 v41, 0xff7fffff
	s_nop 0
	v_accvgpr_read_b32 v37, a1
	v_accvgpr_read_b32 v36, a0
	s_waitcnt lgkmcnt(0)
	v_pk_mul_f32 v[36:37], s[2:3], v[36:37] op_sel_hi:[0,1]
	v_accvgpr_read_b32 v35, a3
	v_accvgpr_read_b32 v34, a2
	v_pk_mul_f32 v[34:35], s[2:3], v[34:35] op_sel_hi:[0,1]
	v_mfma_f32_4x4x1f32 a[0:3], v36, v38, 0
	v_cndmask_b32_e64 v36, 0, 1.0, vcc
	v_cmp_eq_u32_e32 vcc, 2, v45
	s_nop 0
	v_mfma_f32_4x4x1f32 a[0:3], v37, v36, a[0:3]
	v_cndmask_b32_e64 v36, 0, 1.0, vcc
	v_cmp_eq_u32_e32 vcc, 3, v45
	s_nop 0
	v_mfma_f32_4x4x1f32 a[0:3], v34, v36, a[0:3]
	v_cndmask_b32_e64 v34, 0, 1.0, vcc
	s_nop 1
	v_mfma_f32_4x4x1f32 a[0:3], v35, v34, a[0:3]
	v_and_b32_e32 v34, -4, v46
	v_subrev_u32_e32 v35, s11, v34
	v_add_u32_e32 v36, 1, v35
	v_cvt_f32_i32_e32 v36, v36
	v_add_u32_e32 v37, 2, v35
	v_cvt_f32_i32_e32 v37, v37
	v_accvgpr_read_b32 v38, a0
	v_fma_f32 v36, v47, v36, v38
	v_accvgpr_read_b32 v38, a1
	v_fma_f32 v37, v47, v37, v38
	v_add_u32_e32 v38, 3, v35
	v_cvt_f32_i32_e32 v38, v38
	v_add_u32_e32 v35, 4, v35
	v_max_f32_e32 v40, 0xff7fffff, v36
	v_cmp_gt_i32_e32 vcc, s11, v34
	v_cvt_f32_i32_e32 v35, v35
	v_cndmask_b32_e32 v40, v41, v40, vcc
	v_or_b32_e32 v41, 1, v34
	v_accvgpr_read_b32 v39, a2
	v_max_f32_e32 v42, v40, v37
	v_cmp_gt_i32_e64 s[2:3], s11, v41
	v_fma_f32 v38, v47, v38, v39
	v_cndmask_b32_e64 v40, v40, v42, s[2:3]
	v_or_b32_e32 v34, 2, v34
	v_accvgpr_read_b32 v39, a3
	v_max_f32_e32 v41, v40, v38
	v_cmp_gt_i32_e64 s[4:5], s11, v34
	v_fmac_f32_e32 v39, v47, v35
	v_cndmask_b32_e64 v34, v40, v41, s[4:5]
	v_or_b32_e32 v40, 3, v46
	v_max_f32_e32 v41, v34, v39
	v_cmp_gt_i32_e64 s[8:9], s11, v40
	v_lshlrev_b32_e32 v35, 2, v0
	v_cndmask_b32_e64 v34, v34, v41, s[8:9]
	v_and_or_b32 v35, v35, 48, v45
	;;#ASMSTART
	v_nop
 v_nop
 v_max_f32_dpp v34, v34, v34 row_ror:4
	;;#ASMEND
	v_lshlrev_b32_e32 v41, 2, v35
	;;#ASMSTART
	v_nop
 v_nop
 v_max_f32_dpp v34, v34, v34 row_ror:8
	;;#ASMEND
	ds_bpermute_b32 v34, v41, v34
	s_waitcnt lgkmcnt(0)
	;;#ASMSTART
	v_nop
 v_nop
 v_max_f32_dpp v34, v34, v34 row_ror:4
	;;#ASMEND
	;;#ASMSTART
	v_nop
 v_nop
 v_max_f32_dpp v40, v34, v34 row_ror:8
	;;#ASMEND
	v_sub_f32_e32 v34, v36, v40
	v_mul_f32_e32 v34, 0x3fb8aa3b, v34
	v_sub_f32_e32 v35, v37, v40
	v_exp_f32_e32 v34, v34
	v_mul_f32_e32 v35, 0x3fb8aa3b, v35
	v_sub_f32_e32 v37, v38, v40
	v_exp_f32_e32 v35, v35
	;; [unrolled: 3-line block ×3, first 2 shown]
	v_mul_f32_e32 v38, 0x3fb8aa3b, v38
	v_exp_f32_e32 v38, v38
	v_cndmask_b32_e32 v34, 0, v34, vcc
	v_add_f32_e32 v36, 0, v34
	v_cndmask_b32_e64 v35, 0, v35, s[2:3]
	v_add_f32_e32 v39, v36, v35
	v_cndmask_b32_e64 v36, 0, v37, s[4:5]
	;; [unrolled: 2-line block ×3, first 2 shown]
	v_add_f32_e32 v38, v39, v37
	;;#ASMSTART
	v_nop
 v_nop
 v_add_f32_dpp v38, v38, v38 row_ror:4
	;;#ASMEND
	;;#ASMSTART
	v_nop
 v_nop
 v_add_f32_dpp v38, v38, v38 row_ror:8
	;;#ASMEND
	ds_bpermute_b32 v38, v41, v38
	s_waitcnt lgkmcnt(0)
	;;#ASMSTART
	v_nop
 v_nop
 v_add_f32_dpp v38, v38, v38 row_ror:4
	;;#ASMEND
	v_cmp_gt_u32_e32 vcc, 4, v44
	;;#ASMSTART
	v_nop
 v_nop
 v_add_f32_dpp v38, v38, v38 row_ror:8
	;;#ASMEND
	s_and_saveexec_b64 s[2:3], vcc
	s_cbranch_execz .LBB57_18
; %bb.17:
	v_mul_u32_u24_e32 v39, 20, v1
	v_lshl_add_u32 v39, v45, 2, v39
	v_add_u32_e32 v39, 0x800, v39
	ds_write2_b32 v39, v40, v38 offset0:128 offset1:148
.LBB57_18:
	s_or_b64 exec, exec, s[2:3]
.LBB57_19:
	s_or_b64 exec, exec, s[24:25]
	s_waitcnt lgkmcnt(0)
	s_barrier
	s_load_dword s2, s[22:23], 0x8
	v_lshlrev_b32_e32 v38, 2, v45
	v_add_u32_e32 v48, 0x800, v38
	ds_read2_b32 v[38:39], v48 offset0:128 offset1:133
	ds_read2_b32 v[42:43], v48 offset0:138 offset1:143
	s_mul_i32 s3, s6, s7
	s_waitcnt lgkmcnt(0)
	s_mul_i32 s3, s3, s2
	s_lshl_b32 s2, s3, 1
	s_mov_b32 s3, 0xff7fffff
	v_max3_f32 v41, v38, s3, v39
	v_max3_f32 v41, v41, v42, v43
	v_sub_f32_e32 v38, v38, v41
	v_mul_f32_e32 v38, 0x3fb8aa3b, v38
	ds_read2_b32 v[46:47], v48 offset0:148 offset1:153
	v_exp_f32_e32 v49, v38
	v_sub_f32_e32 v38, v39, v41
	v_sub_f32_e32 v42, v42, v41
	v_mul_f32_e32 v38, 0x3fb8aa3b, v38
	v_mul_f32_e32 v42, 0x3fb8aa3b, v42
	v_exp_f32_e32 v50, v38
	ds_read2_b32 v[38:39], v48 offset0:158 offset1:163
	v_exp_f32_e32 v48, v42
	v_sub_f32_e32 v42, v43, v41
	v_mul_f32_e32 v42, 0x3fb8aa3b, v42
	v_exp_f32_e32 v43, v42
	s_waitcnt lgkmcnt(1)
	v_fma_f32 v42, v49, v46, 0
	v_fmac_f32_e32 v42, v50, v47
	s_waitcnt lgkmcnt(0)
	v_fmac_f32_e32 v42, v48, v38
	v_fmac_f32_e32 v42, v43, v39
	v_cmp_gt_u32_e32 vcc, 2, v45
	s_and_saveexec_b64 s[4:5], vcc
	s_cbranch_execz .LBB57_21
; %bb.20:
	s_mov_b32 s3, 0
	s_lshl_b64 s[8:9], s[2:3], 2
	s_add_u32 s6, s12, s8
	s_mov_b32 s11, s3
	s_addc_u32 s16, s13, s9
	s_lshl_b64 s[12:13], s[10:11], 2
	s_add_u32 s3, s6, s12
	s_addc_u32 s6, s16, s13
	v_or_b32_e32 v38, s33, v45
	s_add_u32 s8, s14, s8
	v_mul_lo_u32 v38, s7, v38
	v_mov_b32_e32 v39, 0
	s_addc_u32 s9, s15, s9
	v_lshlrev_b64 v[38:39], 2, v[38:39]
	s_add_u32 s8, s8, s12
	v_mov_b32_e32 v43, s6
	v_add_co_u32_e32 v46, vcc, s3, v38
	s_addc_u32 s9, s9, s13
	v_addc_co_u32_e32 v47, vcc, v43, v39, vcc
	v_mov_b32_e32 v43, s9
	v_add_co_u32_e32 v38, vcc, s8, v38
	v_addc_co_u32_e32 v39, vcc, v43, v39, vcc
	global_store_dword v[38:39], v41, off
	global_store_dword v[46:47], v42, off
.LBB57_21:
	s_or_b64 exec, exec, s[4:5]
	v_mov_b32_e32 v38, 0
	v_mov_b32_e32 v39, 0
	s_and_saveexec_b64 s[4:5], s[0:1]
	s_cbranch_execz .LBB57_23
; %bb.22:
	v_add_f32_e32 v38, 0x358637bd, v42
	v_div_scale_f32 v39, s[0:1], v38, v38, 1.0
	v_rcp_f32_e32 v42, v39
	v_div_scale_f32 v43, vcc, 1.0, v38, 1.0
	v_sub_f32_e32 v40, v40, v41
	v_fma_f32 v45, -v39, v42, 1.0
	v_fmac_f32_e32 v42, v45, v42
	v_mul_f32_e32 v45, v43, v42
	v_fma_f32 v46, -v39, v45, v43
	v_mul_f32_e32 v40, 0x3fb8aa3b, v40
	v_fmac_f32_e32 v45, v46, v42
	v_exp_f32_e32 v40, v40
	v_fma_f32 v39, -v39, v45, v43
	v_div_fmas_f32 v39, v39, v42, v45
	v_div_fixup_f32 v38, v39, v38, 1.0
	v_mul_f32_e32 v38, v40, v38
	v_pk_mul_f32 v[36:37], v[36:37], v[38:39] op_sel_hi:[1,0]
	v_pk_mul_f32 v[34:35], v[34:35], v[38:39] op_sel_hi:[1,0]
	v_cvt_f16_f32_e32 v34, v34
	v_cvt_f16_f32_e32 v35, v35
	;; [unrolled: 1-line block ×4, first 2 shown]
	s_mov_b32 s0, 0x5040100
	v_pack_b32_f16 v34, v34, v35
	v_pack_b32_f16 v35, v36, v37
	s_waitcnt vmcnt(7)
	s_nop 0
	v_mfma_f32_4x4x4f16 a[0:3], v[34:35], v[2:3], 0 cbsz:4
	v_mfma_f32_4x4x4f16 a[0:3], v[34:35], v[4:5], a[0:3] cbsz:4 abid:1
	s_waitcnt vmcnt(6)
	v_mfma_f32_4x4x4f16 a[0:3], v[34:35], v[6:7], a[0:3] cbsz:4 abid:2
	v_mfma_f32_4x4x4f16 a[0:3], v[34:35], v[8:9], a[0:3] cbsz:4 abid:3
	s_waitcnt vmcnt(5)
	v_mfma_f32_4x4x4f16 a[0:3], v[34:35], v[10:11], a[0:3] cbsz:4 abid:4
	;; [unrolled: 3-line block ×7, first 2 shown]
	v_mfma_f32_4x4x4f16 a[0:3], v[34:35], v[32:33], a[0:3] cbsz:4 abid:15
	s_nop 4
	v_accvgpr_read_b32 v2, a0
	v_accvgpr_read_b32 v3, a1
	;; [unrolled: 1-line block ×4, first 2 shown]
	v_cvt_f16_f32_e32 v2, v2
	v_cvt_f16_f32_e32 v3, v3
	;; [unrolled: 1-line block ×4, first 2 shown]
	v_perm_b32 v38, v3, v2, s0
	v_perm_b32 v39, v5, v4, s0
.LBB57_23:
	s_or_b64 exec, exec, s[4:5]
	v_lshlrev_b32_e32 v1, 3, v1
	v_mad_u32_u24 v1, v44, 40, v1
	v_cmp_gt_u32_e32 vcc, 64, v0
	ds_write_b64 v1, v[38:39]
	s_waitcnt lgkmcnt(0)
	s_barrier
	s_and_saveexec_b64 s[0:1], vcc
	s_cbranch_execz .LBB57_25
; %bb.24:
	s_mov_b32 s1, 0
	s_lshl_b32 s0, s2, 6
	v_mul_u32_u24_e32 v1, 40, v44
	s_lshl_b64 s[2:3], s[0:1], 1
	s_waitcnt vmcnt(7)
	ds_read2_b64 v[2:5], v1 offset1:1
	s_waitcnt vmcnt(6)
	ds_read2_b64 v[6:9], v1 offset0:2 offset1:3
	s_add_u32 s2, s20, s2
	s_addc_u32 s3, s21, s3
	s_lshl_b32 s0, s10, 6
	s_lshl_b64 s[0:1], s[0:1], 1
	s_add_u32 s0, s2, s0
	s_addc_u32 s1, s3, s1
	s_lshl_b32 s2, s7, 6
	s_waitcnt lgkmcnt(1)
	v_pk_add_f16 v1, v2, 0
	s_mul_i32 s3, s2, s33
	v_pk_add_f16 v1, v1, v4
	v_or_b32_e32 v2, s3, v0
	v_mov_b32_e32 v3, 0
	s_waitcnt lgkmcnt(0)
	v_pk_add_f16 v1, v1, v6
	v_lshlrev_b64 v[4:5], 1, v[2:3]
	s_add_i32 s3, s3, s2
	v_pk_add_f16 v6, v1, v8
	v_mov_b32_e32 v1, s1
	v_add_co_u32_e32 v4, vcc, s0, v4
	v_or_b32_e32 v2, s3, v0
	v_addc_co_u32_e32 v5, vcc, v1, v5, vcc
	v_lshlrev_b64 v[0:1], 1, v[2:3]
	v_mov_b32_e32 v2, s1
	v_add_co_u32_e32 v0, vcc, s0, v0
	v_addc_co_u32_e32 v1, vcc, v2, v1, vcc
	global_store_short v[4:5], v6, off
	global_store_short_d16_hi v[0:1], v6, off
.LBB57_25:
	s_endpgm
	.section	.rodata,"a",@progbits
	.p2align	6, 0x0
	.amdhsa_kernel _Z38paged_attention_ll4mi_QKV_mfma4_kernelIDF16_DF16_LN4vllm18Fp8KVCacheDataTypeE0EDF16_Li32ELi64ELi256ELb1ELi2EEvPKT_PKT0_S7_ifPKiS9_S9_iPKfiiiPfSC_PS2_PT2_iSB_SB_
		.amdhsa_group_segment_fixed_size 2720
		.amdhsa_private_segment_fixed_size 0
		.amdhsa_kernarg_size 400
		.amdhsa_user_sgpr_count 6
		.amdhsa_user_sgpr_private_segment_buffer 1
		.amdhsa_user_sgpr_dispatch_ptr 0
		.amdhsa_user_sgpr_queue_ptr 0
		.amdhsa_user_sgpr_kernarg_segment_ptr 1
		.amdhsa_user_sgpr_dispatch_id 0
		.amdhsa_user_sgpr_flat_scratch_init 0
		.amdhsa_user_sgpr_kernarg_preload_length 0
		.amdhsa_user_sgpr_kernarg_preload_offset 0
		.amdhsa_user_sgpr_private_segment_size 0
		.amdhsa_uses_dynamic_stack 0
		.amdhsa_system_sgpr_private_segment_wavefront_offset 0
		.amdhsa_system_sgpr_workgroup_id_x 1
		.amdhsa_system_sgpr_workgroup_id_y 1
		.amdhsa_system_sgpr_workgroup_id_z 1
		.amdhsa_system_sgpr_workgroup_info 0
		.amdhsa_system_vgpr_workitem_id 0
		.amdhsa_next_free_vgpr 60
		.amdhsa_next_free_sgpr 38
		.amdhsa_accum_offset 56
		.amdhsa_reserve_vcc 1
		.amdhsa_reserve_flat_scratch 0
		.amdhsa_float_round_mode_32 0
		.amdhsa_float_round_mode_16_64 0
		.amdhsa_float_denorm_mode_32 3
		.amdhsa_float_denorm_mode_16_64 3
		.amdhsa_dx10_clamp 1
		.amdhsa_ieee_mode 1
		.amdhsa_fp16_overflow 0
		.amdhsa_tg_split 0
		.amdhsa_exception_fp_ieee_invalid_op 0
		.amdhsa_exception_fp_denorm_src 0
		.amdhsa_exception_fp_ieee_div_zero 0
		.amdhsa_exception_fp_ieee_overflow 0
		.amdhsa_exception_fp_ieee_underflow 0
		.amdhsa_exception_fp_ieee_inexact 0
		.amdhsa_exception_int_div_zero 0
	.end_amdhsa_kernel
	.section	.text._Z38paged_attention_ll4mi_QKV_mfma4_kernelIDF16_DF16_LN4vllm18Fp8KVCacheDataTypeE0EDF16_Li32ELi64ELi256ELb1ELi2EEvPKT_PKT0_S7_ifPKiS9_S9_iPKfiiiPfSC_PS2_PT2_iSB_SB_,"axG",@progbits,_Z38paged_attention_ll4mi_QKV_mfma4_kernelIDF16_DF16_LN4vllm18Fp8KVCacheDataTypeE0EDF16_Li32ELi64ELi256ELb1ELi2EEvPKT_PKT0_S7_ifPKiS9_S9_iPKfiiiPfSC_PS2_PT2_iSB_SB_,comdat
.Lfunc_end57:
	.size	_Z38paged_attention_ll4mi_QKV_mfma4_kernelIDF16_DF16_LN4vllm18Fp8KVCacheDataTypeE0EDF16_Li32ELi64ELi256ELb1ELi2EEvPKT_PKT0_S7_ifPKiS9_S9_iPKfiiiPfSC_PS2_PT2_iSB_SB_, .Lfunc_end57-_Z38paged_attention_ll4mi_QKV_mfma4_kernelIDF16_DF16_LN4vllm18Fp8KVCacheDataTypeE0EDF16_Li32ELi64ELi256ELb1ELi2EEvPKT_PKT0_S7_ifPKiS9_S9_iPKfiiiPfSC_PS2_PT2_iSB_SB_
                                        ; -- End function
	.section	.AMDGPU.csdata,"",@progbits
; Kernel info:
; codeLenInByte = 3080
; NumSgprs: 42
; NumVgprs: 53
; NumAgprs: 4
; TotalNumVgprs: 60
; ScratchSize: 0
; MemoryBound: 0
; FloatMode: 240
; IeeeMode: 1
; LDSByteSize: 2720 bytes/workgroup (compile time only)
; SGPRBlocks: 5
; VGPRBlocks: 7
; NumSGPRsForWavesPerEU: 42
; NumVGPRsForWavesPerEU: 60
; AccumOffset: 56
; Occupancy: 8
; WaveLimiterHint : 1
; COMPUTE_PGM_RSRC2:SCRATCH_EN: 0
; COMPUTE_PGM_RSRC2:USER_SGPR: 6
; COMPUTE_PGM_RSRC2:TRAP_HANDLER: 0
; COMPUTE_PGM_RSRC2:TGID_X_EN: 1
; COMPUTE_PGM_RSRC2:TGID_Y_EN: 1
; COMPUTE_PGM_RSRC2:TGID_Z_EN: 1
; COMPUTE_PGM_RSRC2:TIDIG_COMP_CNT: 0
; COMPUTE_PGM_RSRC3_GFX90A:ACCUM_OFFSET: 13
; COMPUTE_PGM_RSRC3_GFX90A:TG_SPLIT: 0
	.section	.text._Z38paged_attention_ll4mi_QKV_mfma4_kernelIDF16_DF16_LN4vllm18Fp8KVCacheDataTypeE0EDF16_Li32ELi64ELi256ELb1ELi3EEvPKT_PKT0_S7_ifPKiS9_S9_iPKfiiiPfSC_PS2_PT2_iSB_SB_,"axG",@progbits,_Z38paged_attention_ll4mi_QKV_mfma4_kernelIDF16_DF16_LN4vllm18Fp8KVCacheDataTypeE0EDF16_Li32ELi64ELi256ELb1ELi3EEvPKT_PKT0_S7_ifPKiS9_S9_iPKfiiiPfSC_PS2_PT2_iSB_SB_,comdat
	.protected	_Z38paged_attention_ll4mi_QKV_mfma4_kernelIDF16_DF16_LN4vllm18Fp8KVCacheDataTypeE0EDF16_Li32ELi64ELi256ELb1ELi3EEvPKT_PKT0_S7_ifPKiS9_S9_iPKfiiiPfSC_PS2_PT2_iSB_SB_ ; -- Begin function _Z38paged_attention_ll4mi_QKV_mfma4_kernelIDF16_DF16_LN4vllm18Fp8KVCacheDataTypeE0EDF16_Li32ELi64ELi256ELb1ELi3EEvPKT_PKT0_S7_ifPKiS9_S9_iPKfiiiPfSC_PS2_PT2_iSB_SB_
	.globl	_Z38paged_attention_ll4mi_QKV_mfma4_kernelIDF16_DF16_LN4vllm18Fp8KVCacheDataTypeE0EDF16_Li32ELi64ELi256ELb1ELi3EEvPKT_PKT0_S7_ifPKiS9_S9_iPKfiiiPfSC_PS2_PT2_iSB_SB_
	.p2align	8
	.type	_Z38paged_attention_ll4mi_QKV_mfma4_kernelIDF16_DF16_LN4vllm18Fp8KVCacheDataTypeE0EDF16_Li32ELi64ELi256ELb1ELi3EEvPKT_PKT0_S7_ifPKiS9_S9_iPKfiiiPfSC_PS2_PT2_iSB_SB_,@function
_Z38paged_attention_ll4mi_QKV_mfma4_kernelIDF16_DF16_LN4vllm18Fp8KVCacheDataTypeE0EDF16_Li32ELi64ELi256ELb1ELi3EEvPKT_PKT0_S7_ifPKiS9_S9_iPKfiiiPfSC_PS2_PT2_iSB_SB_: ; @_Z38paged_attention_ll4mi_QKV_mfma4_kernelIDF16_DF16_LN4vllm18Fp8KVCacheDataTypeE0EDF16_Li32ELi64ELi256ELb1ELi3EEvPKT_PKT0_S7_ifPKiS9_S9_iPKfiiiPfSC_PS2_PT2_iSB_SB_
; %bb.0:
	s_load_dwordx2 s[2:3], s[4:5], 0x30
	s_mov_b32 s10, s7
	s_mov_b64 s[0:1], 0
	s_waitcnt lgkmcnt(0)
	s_cmp_lg_u64 s[2:3], 0
	s_cselect_b64 s[16:17], -1, 0
	s_and_b64 vcc, exec, s[16:17]
	s_cbranch_vccz .LBB58_10
; %bb.1:
	s_add_i32 s12, s6, 1
	s_mov_b32 s13, 0
	s_lshl_b64 s[14:15], s[12:13], 2
	s_add_u32 s14, s2, s14
	s_mov_b32 s7, s13
	s_addc_u32 s15, s3, s15
	s_lshl_b64 s[12:13], s[6:7], 2
	s_add_u32 s12, s2, s12
	s_addc_u32 s13, s3, s13
	s_load_dword s9, s[14:15], 0x0
	s_load_dword s11, s[12:13], 0x0
	s_waitcnt lgkmcnt(0)
	s_sub_i32 s9, s9, s11
	s_cmp_eq_u32 s9, 1
	s_cselect_b64 s[12:13], -1, 0
	s_andn2_b64 vcc, exec, s[0:1]
	s_cbranch_vccnz .LBB58_3
.LBB58_2:
	s_mov_b32 s7, 0
	s_mov_b64 s[12:13], -1
.LBB58_3:
	s_andn2_b64 vcc, exec, s[12:13]
	s_cbranch_vccnz .LBB58_25
; %bb.4:
	s_load_dword s9, s[4:5], 0x9c
	s_load_dwordx2 s[0:1], s[4:5], 0x28
	s_add_u32 s22, s4, 0x90
	s_addc_u32 s23, s5, 0
	s_lshl_b64 s[18:19], s[6:7], 2
	s_waitcnt lgkmcnt(0)
	s_and_b32 s9, s9, 0xffff
	s_add_u32 s0, s0, s18
	s_addc_u32 s1, s1, s19
	s_load_dword s11, s[0:1], 0x0
	s_mul_i32 s9, s10, s9
	s_waitcnt lgkmcnt(0)
	s_cmp_ge_i32 s9, s11
	s_cbranch_scc1 .LBB58_25
; %bb.5:
	v_and_b32_e32 v2, 0xc0, v0
	v_add_u32_e32 v2, s9, v2
	v_lshrrev_b32_e32 v1, 6, v0
	v_cmp_gt_i32_e64 s[0:1], s11, v2
	v_cmp_le_i32_e32 vcc, s11, v2
                                        ; implicit-def: $sgpr27
                                        ; implicit-def: $sgpr26
	s_and_saveexec_b64 s[12:13], vcc
	s_xor_b64 s[12:13], exec, s[12:13]
	s_cbranch_execz .LBB58_7
; %bb.6:
	v_mul_u32_u24_e32 v2, 20, v1
	v_or_b32_e32 v2, 0xa00, v2
	v_mov_b32_e32 v3, 0xa50
	v_mov_b32_e32 v4, 0xff7fffff
	v_mad_u32_u24 v3, v1, 20, v3
	ds_write2_b32 v2, v4, v4 offset1:1
	v_mov_b32_e32 v2, 0
	ds_write2_b32 v3, v2, v2 offset1:1
	v_mov_b32_e32 v3, 0xa08
	s_mov_b32 s26, 0xff7fffff
	s_mov_b32 s27, 0
	v_mad_u32_u24 v3, v1, 20, v3
	v_mov_b32_e32 v5, 0xa58
	v_mad_u32_u24 v5, v1, 20, v5
	ds_write2_b32 v3, v4, v4 offset1:1
	ds_write2_b32 v5, v2, v2 offset1:1
                                        ; implicit-def: $vgpr2
.LBB58_7:
	s_or_saveexec_b64 s[24:25], s[12:13]
	s_load_dwordx2 s[20:21], s[4:5], 0x68
	s_load_dwordx4 s[12:15], s[4:5], 0x58
	s_load_dword s7, s[22:23], 0x4
	v_and_b32_e32 v46, 63, v0
	v_and_b32_e32 v47, 3, v0
	s_mul_i32 s33, s8, 3
	v_mov_b32_e32 v37, s27
	v_mov_b32_e32 v40, s26
	;; [unrolled: 1-line block ×5, first 2 shown]
                                        ; implicit-def: $vgpr3
                                        ; implicit-def: $vgpr7
                                        ; implicit-def: $vgpr11
                                        ; implicit-def: $vgpr15
                                        ; implicit-def: $vgpr19
                                        ; implicit-def: $vgpr23
                                        ; implicit-def: $vgpr27
                                        ; implicit-def: $vgpr31
	s_xor_b64 exec, exec, s[24:25]
	s_cbranch_execz .LBB58_19
; %bb.8:
	s_add_i32 s29, s11, 31
	s_load_dwordx2 s[26:27], s[4:5], 0x20
	s_load_dword s28, s[4:5], 0x38
	s_ashr_i32 s30, s29, 31
	s_lshr_b32 s30, s30, 27
	v_add_u32_e32 v48, s9, v0
	s_add_i32 s29, s29, s30
	v_ashrrev_i32_e32 v3, 31, v48
	s_ashr_i32 s29, s29, 5
	v_lshrrev_b32_e32 v3, 27, v3
	s_add_i32 s30, s29, -1
	v_add_u32_e32 v3, v48, v3
	s_waitcnt lgkmcnt(0)
	s_mul_i32 s28, s6, s28
	s_mov_b32 s29, 0
	v_ashrrev_i32_e32 v3, 5, v3
	v_mov_b32_e32 v4, s30
	v_cmp_gt_i32_e32 vcc, s11, v48
	s_lshl_b64 s[28:29], s[28:29], 2
	v_cndmask_b32_e32 v4, v4, v3, vcc
	s_add_u32 s26, s26, s28
	v_ashrrev_i32_e32 v5, 31, v4
	s_addc_u32 s27, s27, s29
	v_lshlrev_b64 v[4:5], 2, v[4:5]
	v_mov_b32_e32 v3, s27
	v_add_co_u32_e32 v4, vcc, s26, v4
	v_addc_co_u32_e32 v5, vcc, v3, v5, vcc
	v_ashrrev_i32_e32 v3, 31, v2
	v_lshrrev_b32_e32 v3, 27, v3
	v_add_u32_e32 v2, v2, v3
	v_ashrrev_i32_e32 v8, 5, v2
	v_min_i32_e32 v2, s30, v8
	v_ashrrev_i32_e32 v3, 31, v2
	v_lshlrev_b64 v[2:3], 2, v[2:3]
	v_add_co_u32_e32 v6, vcc, s26, v2
	v_add_u32_e32 v2, 1, v8
	v_mov_b32_e32 v7, s27
	v_min_i32_e32 v2, s30, v2
	v_addc_co_u32_e32 v7, vcc, v7, v3, vcc
	v_ashrrev_i32_e32 v3, 31, v2
	v_lshlrev_b64 v[2:3], 2, v[2:3]
	v_mov_b32_e32 v9, s27
	v_add_co_u32_e32 v8, vcc, s26, v2
	v_addc_co_u32_e32 v9, vcc, v9, v3, vcc
	global_load_dword v2, v[4:5], off
	global_load_dword v14, v[6:7], off
	;; [unrolled: 1-line block ×3, first 2 shown]
	s_load_dwordx2 s[28:29], s[4:5], 0x8
	s_andn2_b64 vcc, exec, s[16:17]
	s_cbranch_vccnz .LBB58_11
; %bb.9:
	s_add_u32 s2, s2, s18
	s_addc_u32 s3, s3, s19
	s_load_dword s2, s[2:3], 0x0
	s_branch .LBB58_12
.LBB58_10:
	s_mov_b64 s[12:13], 0
	s_branch .LBB58_2
.LBB58_11:
	s_mov_b32 s2, s6
.LBB58_12:
	s_load_dwordx2 s[26:27], s[4:5], 0x10
	s_load_dwordx4 s[16:19], s[4:5], 0x48
	v_cmp_ne_u32_e32 vcc, 3, v47
	s_mov_b32 s3, 0
	v_mov_b32_e32 v44, 0
	v_mov_b32_e32 v24, 0
	;; [unrolled: 1-line block ×5, first 2 shown]
	s_and_saveexec_b64 s[30:31], vcc
	s_cbranch_execz .LBB58_14
; %bb.13:
	s_load_dwordx2 s[34:35], s[4:5], 0x0
	s_waitcnt lgkmcnt(0)
	s_ashr_i32 s9, s16, 31
	s_mul_hi_u32 s19, s2, s16
	s_mul_i32 s9, s2, s9
	s_add_i32 s37, s19, s9
	s_mul_i32 s36, s2, s16
	s_lshl_b64 s[36:37], s[36:37], 1
	s_add_u32 s9, s34, s36
	s_mul_i32 s2, s8, 0xc0
	s_addc_u32 s16, s35, s37
	s_lshl_b64 s[34:35], s[2:3], 1
	s_add_u32 s34, s9, s34
	v_lshlrev_b32_e32 v3, 3, v47
	v_lshrrev_b32_e32 v4, 2, v46
	s_addc_u32 s35, s16, s35
	v_add_lshl_u32 v3, v3, v4, 4
	global_load_dwordx4 v[24:27], v3, s[34:35]
.LBB58_14:
	s_or_b64 exec, exec, s[30:31]
	s_waitcnt lgkmcnt(0)
	s_mul_i32 s2, s8, s18
	s_lshl_b64 s[8:9], s[2:3], 1
	s_waitcnt vmcnt(2)
	v_mad_i64_i32 v[2:3], s[30:31], v2, s17, 0
	s_add_u32 s2, s8, s28
	v_lshlrev_b64 v[2:3], 1, v[2:3]
	s_addc_u32 s3, s9, s29
	v_mov_b32_e32 v4, s3
	v_add_co_u32_e64 v2, s[2:3], s2, v2
	v_addc_co_u32_e64 v3, s[2:3], v4, v3, s[2:3]
	v_and_b32_e32 v4, 31, v0
	v_lshlrev_b32_e32 v4, 4, v4
	v_add_co_u32_e64 v16, s[2:3], v2, v4
	v_addc_co_u32_e64 v17, s[2:3], 0, v3, s[2:3]
	global_load_dwordx4 v[10:13], v[16:17], off
	global_load_dwordx4 v[6:9], v[16:17], off offset:512
	global_load_dwordx4 v[2:5], v[16:17], off offset:1024
	;; [unrolled: 1-line block ×7, first 2 shown]
	v_mov_b32_e32 v45, 1.0
	s_and_saveexec_b64 s[2:3], vcc
	s_cbranch_execz .LBB58_16
; %bb.15:
	s_load_dwordx2 s[18:19], s[4:5], 0x40
	v_add_u32_e32 v44, s33, v47
	v_mov_b32_e32 v45, 0
	v_lshlrev_b64 v[16:17], 2, v[44:45]
	s_waitcnt lgkmcnt(0)
	v_mov_b32_e32 v15, s19
	v_add_co_u32_e32 v16, vcc, s18, v16
	v_addc_co_u32_e32 v17, vcc, v15, v17, vcc
	global_load_dword v44, v[16:17], off
.LBB58_16:
	s_or_b64 exec, exec, s[2:3]
	s_waitcnt vmcnt(7)
	v_mfma_f32_4x4x4f16 a[0:3], v[24:25], v[10:11], 0 cbsz:4
	s_add_u32 s3, s26, s8
	v_mfma_f32_4x4x4f16 a[0:3], v[26:27], v[12:13], a[0:3] cbsz:4
	v_lshlrev_b32_e32 v15, 6, v46
	s_waitcnt vmcnt(6)
	v_mfma_f32_4x4x4f16 a[0:3], v[24:25], v[6:7], a[0:3] cbsz:4 abid:1
	v_add_co_u32_e32 v49, vcc, s3, v15
	v_mfma_f32_4x4x4f16 a[0:3], v[26:27], v[8:9], a[0:3] cbsz:4 abid:1
	v_mul_hi_i32 v15, v14, s17
	s_waitcnt vmcnt(5)
	v_mfma_f32_4x4x4f16 a[0:3], v[24:25], v[2:3], a[0:3] cbsz:4 abid:2
	v_ashrrev_i32_e32 v15, 31, v15
	v_mfma_f32_4x4x4f16 a[0:3], v[26:27], v[4:5], a[0:3] cbsz:4 abid:2
	s_load_dword s2, s[4:5], 0x1c
	s_waitcnt vmcnt(4)
	v_mfma_f32_4x4x4f16 a[0:3], v[24:25], v[40:41], a[0:3] cbsz:4 abid:3
	s_addc_u32 s4, s27, s9
	v_mfma_f32_4x4x4f16 a[0:3], v[26:27], v[42:43], a[0:3] cbsz:4 abid:3
	v_lshrrev_b32_e32 v50, 29, v15
	s_waitcnt vmcnt(3)
	v_mfma_f32_4x4x4f16 a[0:3], v[24:25], v[36:37], a[0:3] cbsz:4 abid:4
	v_mov_b32_e32 v51, 0
	v_mfma_f32_4x4x4f16 a[0:3], v[26:27], v[38:39], a[0:3] cbsz:4 abid:4
	v_mul_hi_i32 v23, v22, s17
	s_waitcnt vmcnt(2)
	v_mfma_f32_4x4x4f16 a[0:3], v[24:25], v[32:33], a[0:3] cbsz:4 abid:5
	v_mov_b32_e32 v16, s4
	v_mfma_f32_4x4x4f16 a[0:3], v[26:27], v[34:35], a[0:3] cbsz:4 abid:5
	v_mad_i64_i32 v[10:11], s[4:5], v14, s17, v[50:51]
	s_waitcnt vmcnt(1)
	v_mfma_f32_4x4x4f16 a[0:3], v[24:25], v[18:19], a[0:3] cbsz:4 abid:6
	v_ashrrev_i32_e32 v23, 31, v23
	v_mfma_f32_4x4x4f16 a[0:3], v[26:27], v[20:21], a[0:3] cbsz:4 abid:6
	v_lshlrev_b64 v[6:7], 1, v[10:11]
	s_waitcnt vmcnt(0)
	v_mfma_f32_4x4x4f16 a[0:3], v[24:25], v[28:29], a[0:3] cbsz:4 abid:7
	v_lshrrev_b32_e32 v50, 29, v23
	v_mfma_f32_4x4x4f16 a[0:3], v[26:27], v[30:31], a[0:3] cbsz:4 abid:7
	v_addc_co_u32_e32 v54, vcc, 0, v16, vcc
	v_and_b32_e32 v6, -16, v6
	v_mad_i64_i32 v[22:23], s[4:5], v22, s17, v[50:51]
	s_nop 1
	v_accvgpr_read_b32 v29, a1
	v_add_co_u32_e32 v52, vcc, v49, v6
	v_lshlrev_b64 v[22:23], 1, v[22:23]
	v_accvgpr_read_b32 v28, a0
	v_addc_co_u32_e32 v53, vcc, v54, v7, vcc
	v_and_b32_e32 v18, -16, v22
	s_waitcnt lgkmcnt(0)
	v_pk_mul_f32 v[28:29], s[2:3], v[28:29] op_sel_hi:[0,1]
	v_add_co_u32_e32 v34, vcc, v49, v18
	v_addc_co_u32_e32 v35, vcc, v54, v23, vcc
	v_accvgpr_read_b32 v27, a3
	v_accvgpr_read_b32 v26, a2
	v_cmp_eq_u32_e32 vcc, 0, v47
	v_pk_mul_f32 v[36:37], s[2:3], v[26:27] op_sel_hi:[0,1]
	v_cndmask_b32_e64 v26, 0, 1.0, vcc
	v_cmp_eq_u32_e32 vcc, 1, v47
	global_load_dwordx4 v[2:5], v[52:53], off
	global_load_dwordx4 v[6:9], v[52:53], off offset:16
	v_mfma_f32_4x4x1f32 a[0:3], v28, v26, 0
	v_cndmask_b32_e64 v26, 0, 1.0, vcc
	v_cmp_eq_u32_e32 vcc, 2, v47
	global_load_dwordx4 v[10:13], v[52:53], off offset:32
	global_load_dwordx4 v[14:17], v[52:53], off offset:48
	v_mfma_f32_4x4x1f32 a[0:3], v29, v26, a[0:3]
	v_cndmask_b32_e64 v26, 0, 1.0, vcc
	global_load_dwordx4 v[18:21], v[34:35], off
	global_load_dwordx4 v[22:25], v[34:35], off offset:16
	v_mfma_f32_4x4x1f32 a[0:3], v36, v26, a[0:3]
	global_load_dwordx4 v[26:29], v[34:35], off offset:32
	global_load_dwordx4 v[30:33], v[34:35], off offset:48
	v_and_b32_e32 v34, -4, v48
	v_subrev_u32_e32 v35, s11, v34
	v_add_u32_e32 v36, 1, v35
	v_mfma_f32_4x4x1f32 a[0:3], v37, v45, a[0:3]
	v_cvt_f32_i32_e32 v36, v36
	v_add_u32_e32 v37, 2, v35
	v_cvt_f32_i32_e32 v37, v37
	v_mov_b32_e32 v41, 0xff7fffff
	v_cmp_gt_i32_e32 vcc, s11, v34
	v_accvgpr_read_b32 v38, a0
	v_fma_f32 v36, v44, v36, v38
	v_accvgpr_read_b32 v38, a1
	v_fma_f32 v37, v44, v37, v38
	v_add_u32_e32 v38, 3, v35
	v_cvt_f32_i32_e32 v38, v38
	v_add_u32_e32 v35, 4, v35
	v_max_f32_e32 v40, 0xff7fffff, v36
	v_cvt_f32_i32_e32 v35, v35
	v_cndmask_b32_e32 v40, v41, v40, vcc
	v_or_b32_e32 v41, 1, v34
	v_accvgpr_read_b32 v39, a2
	v_max_f32_e32 v42, v40, v37
	v_cmp_gt_i32_e64 s[2:3], s11, v41
	v_fma_f32 v38, v44, v38, v39
	v_cndmask_b32_e64 v40, v40, v42, s[2:3]
	v_or_b32_e32 v34, 2, v34
	v_accvgpr_read_b32 v39, a3
	v_max_f32_e32 v41, v40, v38
	v_cmp_gt_i32_e64 s[4:5], s11, v34
	v_fmac_f32_e32 v39, v44, v35
	v_cndmask_b32_e64 v34, v40, v41, s[4:5]
	v_or_b32_e32 v40, 3, v48
	v_max_f32_e32 v41, v34, v39
	v_cmp_gt_i32_e64 s[8:9], s11, v40
	v_lshlrev_b32_e32 v35, 2, v0
	v_cndmask_b32_e64 v34, v34, v41, s[8:9]
	v_and_or_b32 v35, v35, 48, v47
	;;#ASMSTART
	v_nop
 v_nop
 v_max_f32_dpp v34, v34, v34 row_ror:4
	;;#ASMEND
	v_lshlrev_b32_e32 v41, 2, v35
	;;#ASMSTART
	v_nop
 v_nop
 v_max_f32_dpp v34, v34, v34 row_ror:8
	;;#ASMEND
	ds_bpermute_b32 v34, v41, v34
	s_waitcnt lgkmcnt(0)
	;;#ASMSTART
	v_nop
 v_nop
 v_max_f32_dpp v34, v34, v34 row_ror:4
	;;#ASMEND
	;;#ASMSTART
	v_nop
 v_nop
 v_max_f32_dpp v40, v34, v34 row_ror:8
	;;#ASMEND
	v_sub_f32_e32 v34, v36, v40
	v_mul_f32_e32 v34, 0x3fb8aa3b, v34
	v_sub_f32_e32 v35, v37, v40
	v_exp_f32_e32 v34, v34
	v_mul_f32_e32 v35, 0x3fb8aa3b, v35
	v_sub_f32_e32 v37, v38, v40
	v_exp_f32_e32 v35, v35
	;; [unrolled: 3-line block ×3, first 2 shown]
	v_mul_f32_e32 v38, 0x3fb8aa3b, v38
	v_exp_f32_e32 v38, v38
	v_cndmask_b32_e32 v34, 0, v34, vcc
	v_add_f32_e32 v36, 0, v34
	v_cndmask_b32_e64 v35, 0, v35, s[2:3]
	v_add_f32_e32 v39, v36, v35
	v_cndmask_b32_e64 v36, 0, v37, s[4:5]
	v_add_f32_e32 v39, v39, v36
	v_cndmask_b32_e64 v37, 0, v38, s[8:9]
	v_add_f32_e32 v38, v39, v37
	;;#ASMSTART
	v_nop
 v_nop
 v_add_f32_dpp v38, v38, v38 row_ror:4
	;;#ASMEND
	;;#ASMSTART
	v_nop
 v_nop
 v_add_f32_dpp v38, v38, v38 row_ror:8
	;;#ASMEND
	ds_bpermute_b32 v38, v41, v38
	s_waitcnt lgkmcnt(0)
	;;#ASMSTART
	v_nop
 v_nop
 v_add_f32_dpp v38, v38, v38 row_ror:4
	;;#ASMEND
	v_cmp_gt_u32_e32 vcc, 4, v46
	;;#ASMSTART
	v_nop
 v_nop
 v_add_f32_dpp v38, v38, v38 row_ror:8
	;;#ASMEND
	s_and_saveexec_b64 s[2:3], vcc
	s_cbranch_execz .LBB58_18
; %bb.17:
	v_mul_u32_u24_e32 v39, 20, v1
	v_lshl_add_u32 v39, v47, 2, v39
	v_add_u32_e32 v39, 0x800, v39
	ds_write2_b32 v39, v40, v38 offset0:128 offset1:148
.LBB58_18:
	s_or_b64 exec, exec, s[2:3]
.LBB58_19:
	s_or_b64 exec, exec, s[24:25]
	s_waitcnt lgkmcnt(0)
	s_barrier
	s_load_dword s2, s[22:23], 0x8
	v_lshlrev_b32_e32 v38, 2, v47
	v_add_u32_e32 v48, 0x800, v38
	ds_read2_b32 v[38:39], v48 offset0:128 offset1:133
	ds_read2_b32 v[42:43], v48 offset0:138 offset1:143
	s_mul_i32 s3, s6, s7
	s_waitcnt lgkmcnt(0)
	s_mul_i32 s2, s3, s2
	s_mov_b32 s3, 0xff7fffff
	v_max3_f32 v41, v38, s3, v39
	v_max3_f32 v41, v41, v42, v43
	v_sub_f32_e32 v38, v38, v41
	v_mul_f32_e32 v38, 0x3fb8aa3b, v38
	ds_read2_b32 v[44:45], v48 offset0:148 offset1:153
	v_exp_f32_e32 v49, v38
	v_sub_f32_e32 v38, v39, v41
	v_sub_f32_e32 v42, v42, v41
	v_mul_f32_e32 v38, 0x3fb8aa3b, v38
	v_mul_f32_e32 v42, 0x3fb8aa3b, v42
	v_exp_f32_e32 v50, v38
	ds_read2_b32 v[38:39], v48 offset0:158 offset1:163
	v_exp_f32_e32 v48, v42
	v_sub_f32_e32 v42, v43, v41
	v_mul_f32_e32 v42, 0x3fb8aa3b, v42
	v_exp_f32_e32 v43, v42
	s_waitcnt lgkmcnt(1)
	v_fma_f32 v42, v49, v44, 0
	v_fmac_f32_e32 v42, v50, v45
	s_waitcnt lgkmcnt(0)
	v_fmac_f32_e32 v42, v48, v38
	s_mul_i32 s2, s2, 3
	v_fmac_f32_e32 v42, v43, v39
	v_cmp_ne_u32_e32 vcc, 3, v47
	s_and_saveexec_b64 s[4:5], vcc
	s_cbranch_execz .LBB58_21
; %bb.20:
	s_mov_b32 s3, 0
	s_lshl_b64 s[8:9], s[2:3], 2
	s_add_u32 s6, s12, s8
	s_mov_b32 s11, s3
	s_addc_u32 s16, s13, s9
	s_lshl_b64 s[12:13], s[10:11], 2
	s_add_u32 s3, s6, s12
	s_addc_u32 s6, s16, s13
	v_add_u32_e32 v38, s33, v47
	s_add_u32 s8, s14, s8
	v_mul_lo_u32 v38, s7, v38
	v_mov_b32_e32 v39, 0
	s_addc_u32 s9, s15, s9
	v_lshlrev_b64 v[38:39], 2, v[38:39]
	s_add_u32 s8, s8, s12
	v_mov_b32_e32 v43, s6
	v_add_co_u32_e32 v44, vcc, s3, v38
	s_addc_u32 s9, s9, s13
	v_addc_co_u32_e32 v45, vcc, v43, v39, vcc
	v_mov_b32_e32 v43, s9
	v_add_co_u32_e32 v38, vcc, s8, v38
	v_addc_co_u32_e32 v39, vcc, v43, v39, vcc
	global_store_dword v[38:39], v41, off
	global_store_dword v[44:45], v42, off
.LBB58_21:
	s_or_b64 exec, exec, s[4:5]
	v_mov_b32_e32 v38, 0
	v_mov_b32_e32 v39, 0
	s_and_saveexec_b64 s[4:5], s[0:1]
	s_cbranch_execz .LBB58_23
; %bb.22:
	v_add_f32_e32 v38, 0x358637bd, v42
	v_div_scale_f32 v39, s[0:1], v38, v38, 1.0
	v_rcp_f32_e32 v42, v39
	v_div_scale_f32 v43, vcc, 1.0, v38, 1.0
	v_sub_f32_e32 v40, v40, v41
	v_fma_f32 v44, -v39, v42, 1.0
	v_fmac_f32_e32 v42, v44, v42
	v_mul_f32_e32 v44, v43, v42
	v_fma_f32 v45, -v39, v44, v43
	v_mul_f32_e32 v40, 0x3fb8aa3b, v40
	v_fmac_f32_e32 v44, v45, v42
	v_exp_f32_e32 v40, v40
	v_fma_f32 v39, -v39, v44, v43
	v_div_fmas_f32 v39, v39, v42, v44
	v_div_fixup_f32 v38, v39, v38, 1.0
	v_mul_f32_e32 v38, v40, v38
	v_pk_mul_f32 v[36:37], v[36:37], v[38:39] op_sel_hi:[1,0]
	v_pk_mul_f32 v[34:35], v[34:35], v[38:39] op_sel_hi:[1,0]
	v_cvt_f16_f32_e32 v34, v34
	v_cvt_f16_f32_e32 v35, v35
	;; [unrolled: 1-line block ×4, first 2 shown]
	s_mov_b32 s0, 0x5040100
	v_pack_b32_f16 v34, v34, v35
	v_pack_b32_f16 v35, v36, v37
	s_waitcnt vmcnt(7)
	s_nop 0
	v_mfma_f32_4x4x4f16 a[0:3], v[34:35], v[2:3], 0 cbsz:4
	v_mfma_f32_4x4x4f16 a[0:3], v[34:35], v[4:5], a[0:3] cbsz:4 abid:1
	s_waitcnt vmcnt(6)
	v_mfma_f32_4x4x4f16 a[0:3], v[34:35], v[6:7], a[0:3] cbsz:4 abid:2
	v_mfma_f32_4x4x4f16 a[0:3], v[34:35], v[8:9], a[0:3] cbsz:4 abid:3
	s_waitcnt vmcnt(5)
	v_mfma_f32_4x4x4f16 a[0:3], v[34:35], v[10:11], a[0:3] cbsz:4 abid:4
	;; [unrolled: 3-line block ×7, first 2 shown]
	v_mfma_f32_4x4x4f16 a[0:3], v[34:35], v[32:33], a[0:3] cbsz:4 abid:15
	s_nop 4
	v_accvgpr_read_b32 v2, a0
	v_accvgpr_read_b32 v3, a1
	;; [unrolled: 1-line block ×4, first 2 shown]
	v_cvt_f16_f32_e32 v2, v2
	v_cvt_f16_f32_e32 v3, v3
	v_cvt_f16_f32_e32 v4, v4
	v_cvt_f16_f32_e32 v5, v5
	v_perm_b32 v38, v3, v2, s0
	v_perm_b32 v39, v5, v4, s0
.LBB58_23:
	s_or_b64 exec, exec, s[4:5]
	v_lshlrev_b32_e32 v1, 3, v1
	v_mad_u32_u24 v1, v46, 40, v1
	v_cmp_gt_u32_e32 vcc, 64, v0
	ds_write_b64 v1, v[38:39]
	s_waitcnt lgkmcnt(0)
	s_barrier
	s_and_saveexec_b64 s[0:1], vcc
	s_cbranch_execz .LBB58_25
; %bb.24:
	v_mul_u32_u24_e32 v1, 40, v46
	s_waitcnt vmcnt(7)
	ds_read2_b64 v[2:5], v1 offset1:1
	s_waitcnt vmcnt(6)
	ds_read2_b64 v[6:9], v1 offset0:2 offset1:3
	s_mov_b32 s1, 0
	s_lshl_b32 s0, s2, 6
	s_lshl_b64 s[2:3], s[0:1], 1
	s_add_u32 s2, s20, s2
	s_addc_u32 s3, s21, s3
	s_lshl_b32 s0, s10, 6
	s_lshl_b64 s[0:1], s[0:1], 1
	s_waitcnt lgkmcnt(1)
	v_pk_add_f16 v1, v2, 0
	v_pk_add_f16 v2, v3, 0
	s_add_u32 s0, s2, s0
	v_pk_add_f16 v2, v2, v5
	s_addc_u32 s1, s3, s1
	s_lshl_b32 s2, s7, 6
	v_pk_add_f16 v1, v1, v4
	s_waitcnt lgkmcnt(0)
	v_pk_add_f16 v2, v2, v7
	s_mul_i32 s3, s2, s33
	v_pk_add_f16 v1, v1, v6
	v_pk_add_f16 v6, v2, v9
	v_or_b32_e32 v2, s3, v0
	v_mov_b32_e32 v3, 0
	v_lshlrev_b64 v[4:5], 1, v[2:3]
	v_mov_b32_e32 v2, s1
	v_add_co_u32_e32 v4, vcc, s0, v4
	s_add_i32 s3, s3, s2
	v_pk_add_f16 v1, v1, v8
	v_addc_co_u32_e32 v5, vcc, v2, v5, vcc
	v_or_b32_e32 v2, s3, v0
	global_store_short v[4:5], v1, off
	v_lshlrev_b64 v[4:5], 1, v[2:3]
	v_mov_b32_e32 v2, s1
	v_add_co_u32_e32 v4, vcc, s0, v4
	s_add_i32 s3, s3, s2
	v_addc_co_u32_e32 v5, vcc, v2, v5, vcc
	v_or_b32_e32 v2, s3, v0
	global_store_short_d16_hi v[4:5], v1, off
	v_lshlrev_b64 v[0:1], 1, v[2:3]
	v_mov_b32_e32 v2, s1
	v_add_co_u32_e32 v0, vcc, s0, v0
	v_addc_co_u32_e32 v1, vcc, v2, v1, vcc
	global_store_short v[0:1], v6, off
.LBB58_25:
	s_endpgm
	.section	.rodata,"a",@progbits
	.p2align	6, 0x0
	.amdhsa_kernel _Z38paged_attention_ll4mi_QKV_mfma4_kernelIDF16_DF16_LN4vllm18Fp8KVCacheDataTypeE0EDF16_Li32ELi64ELi256ELb1ELi3EEvPKT_PKT0_S7_ifPKiS9_S9_iPKfiiiPfSC_PS2_PT2_iSB_SB_
		.amdhsa_group_segment_fixed_size 2720
		.amdhsa_private_segment_fixed_size 0
		.amdhsa_kernarg_size 400
		.amdhsa_user_sgpr_count 6
		.amdhsa_user_sgpr_private_segment_buffer 1
		.amdhsa_user_sgpr_dispatch_ptr 0
		.amdhsa_user_sgpr_queue_ptr 0
		.amdhsa_user_sgpr_kernarg_segment_ptr 1
		.amdhsa_user_sgpr_dispatch_id 0
		.amdhsa_user_sgpr_flat_scratch_init 0
		.amdhsa_user_sgpr_kernarg_preload_length 0
		.amdhsa_user_sgpr_kernarg_preload_offset 0
		.amdhsa_user_sgpr_private_segment_size 0
		.amdhsa_uses_dynamic_stack 0
		.amdhsa_system_sgpr_private_segment_wavefront_offset 0
		.amdhsa_system_sgpr_workgroup_id_x 1
		.amdhsa_system_sgpr_workgroup_id_y 1
		.amdhsa_system_sgpr_workgroup_id_z 1
		.amdhsa_system_sgpr_workgroup_info 0
		.amdhsa_system_vgpr_workitem_id 0
		.amdhsa_next_free_vgpr 60
		.amdhsa_next_free_sgpr 38
		.amdhsa_accum_offset 56
		.amdhsa_reserve_vcc 1
		.amdhsa_reserve_flat_scratch 0
		.amdhsa_float_round_mode_32 0
		.amdhsa_float_round_mode_16_64 0
		.amdhsa_float_denorm_mode_32 3
		.amdhsa_float_denorm_mode_16_64 3
		.amdhsa_dx10_clamp 1
		.amdhsa_ieee_mode 1
		.amdhsa_fp16_overflow 0
		.amdhsa_tg_split 0
		.amdhsa_exception_fp_ieee_invalid_op 0
		.amdhsa_exception_fp_denorm_src 0
		.amdhsa_exception_fp_ieee_div_zero 0
		.amdhsa_exception_fp_ieee_overflow 0
		.amdhsa_exception_fp_ieee_underflow 0
		.amdhsa_exception_fp_ieee_inexact 0
		.amdhsa_exception_int_div_zero 0
	.end_amdhsa_kernel
	.section	.text._Z38paged_attention_ll4mi_QKV_mfma4_kernelIDF16_DF16_LN4vllm18Fp8KVCacheDataTypeE0EDF16_Li32ELi64ELi256ELb1ELi3EEvPKT_PKT0_S7_ifPKiS9_S9_iPKfiiiPfSC_PS2_PT2_iSB_SB_,"axG",@progbits,_Z38paged_attention_ll4mi_QKV_mfma4_kernelIDF16_DF16_LN4vllm18Fp8KVCacheDataTypeE0EDF16_Li32ELi64ELi256ELb1ELi3EEvPKT_PKT0_S7_ifPKiS9_S9_iPKfiiiPfSC_PS2_PT2_iSB_SB_,comdat
.Lfunc_end58:
	.size	_Z38paged_attention_ll4mi_QKV_mfma4_kernelIDF16_DF16_LN4vllm18Fp8KVCacheDataTypeE0EDF16_Li32ELi64ELi256ELb1ELi3EEvPKT_PKT0_S7_ifPKiS9_S9_iPKfiiiPfSC_PS2_PT2_iSB_SB_, .Lfunc_end58-_Z38paged_attention_ll4mi_QKV_mfma4_kernelIDF16_DF16_LN4vllm18Fp8KVCacheDataTypeE0EDF16_Li32ELi64ELi256ELb1ELi3EEvPKT_PKT0_S7_ifPKiS9_S9_iPKfiiiPfSC_PS2_PT2_iSB_SB_
                                        ; -- End function
	.section	.AMDGPU.csdata,"",@progbits
; Kernel info:
; codeLenInByte = 3132
; NumSgprs: 42
; NumVgprs: 55
; NumAgprs: 4
; TotalNumVgprs: 60
; ScratchSize: 0
; MemoryBound: 0
; FloatMode: 240
; IeeeMode: 1
; LDSByteSize: 2720 bytes/workgroup (compile time only)
; SGPRBlocks: 5
; VGPRBlocks: 7
; NumSGPRsForWavesPerEU: 42
; NumVGPRsForWavesPerEU: 60
; AccumOffset: 56
; Occupancy: 8
; WaveLimiterHint : 1
; COMPUTE_PGM_RSRC2:SCRATCH_EN: 0
; COMPUTE_PGM_RSRC2:USER_SGPR: 6
; COMPUTE_PGM_RSRC2:TRAP_HANDLER: 0
; COMPUTE_PGM_RSRC2:TGID_X_EN: 1
; COMPUTE_PGM_RSRC2:TGID_Y_EN: 1
; COMPUTE_PGM_RSRC2:TGID_Z_EN: 1
; COMPUTE_PGM_RSRC2:TIDIG_COMP_CNT: 0
; COMPUTE_PGM_RSRC3_GFX90A:ACCUM_OFFSET: 13
; COMPUTE_PGM_RSRC3_GFX90A:TG_SPLIT: 0
	.section	.text._Z38paged_attention_ll4mi_QKV_mfma4_kernelIDF16_DF16_LN4vllm18Fp8KVCacheDataTypeE0EDF16_Li32ELi64ELi256ELb1ELi4EEvPKT_PKT0_S7_ifPKiS9_S9_iPKfiiiPfSC_PS2_PT2_iSB_SB_,"axG",@progbits,_Z38paged_attention_ll4mi_QKV_mfma4_kernelIDF16_DF16_LN4vllm18Fp8KVCacheDataTypeE0EDF16_Li32ELi64ELi256ELb1ELi4EEvPKT_PKT0_S7_ifPKiS9_S9_iPKfiiiPfSC_PS2_PT2_iSB_SB_,comdat
	.protected	_Z38paged_attention_ll4mi_QKV_mfma4_kernelIDF16_DF16_LN4vllm18Fp8KVCacheDataTypeE0EDF16_Li32ELi64ELi256ELb1ELi4EEvPKT_PKT0_S7_ifPKiS9_S9_iPKfiiiPfSC_PS2_PT2_iSB_SB_ ; -- Begin function _Z38paged_attention_ll4mi_QKV_mfma4_kernelIDF16_DF16_LN4vllm18Fp8KVCacheDataTypeE0EDF16_Li32ELi64ELi256ELb1ELi4EEvPKT_PKT0_S7_ifPKiS9_S9_iPKfiiiPfSC_PS2_PT2_iSB_SB_
	.globl	_Z38paged_attention_ll4mi_QKV_mfma4_kernelIDF16_DF16_LN4vllm18Fp8KVCacheDataTypeE0EDF16_Li32ELi64ELi256ELb1ELi4EEvPKT_PKT0_S7_ifPKiS9_S9_iPKfiiiPfSC_PS2_PT2_iSB_SB_
	.p2align	8
	.type	_Z38paged_attention_ll4mi_QKV_mfma4_kernelIDF16_DF16_LN4vllm18Fp8KVCacheDataTypeE0EDF16_Li32ELi64ELi256ELb1ELi4EEvPKT_PKT0_S7_ifPKiS9_S9_iPKfiiiPfSC_PS2_PT2_iSB_SB_,@function
_Z38paged_attention_ll4mi_QKV_mfma4_kernelIDF16_DF16_LN4vllm18Fp8KVCacheDataTypeE0EDF16_Li32ELi64ELi256ELb1ELi4EEvPKT_PKT0_S7_ifPKiS9_S9_iPKfiiiPfSC_PS2_PT2_iSB_SB_: ; @_Z38paged_attention_ll4mi_QKV_mfma4_kernelIDF16_DF16_LN4vllm18Fp8KVCacheDataTypeE0EDF16_Li32ELi64ELi256ELb1ELi4EEvPKT_PKT0_S7_ifPKiS9_S9_iPKfiiiPfSC_PS2_PT2_iSB_SB_
; %bb.0:
	s_load_dwordx2 s[16:17], s[4:5], 0x30
	s_mov_b32 s10, s7
	s_mov_b64 s[0:1], 0
	s_waitcnt lgkmcnt(0)
	s_cmp_lg_u64 s[16:17], 0
	s_cselect_b64 s[18:19], -1, 0
	s_and_b64 vcc, exec, s[18:19]
	s_cbranch_vccz .LBB59_18
; %bb.1:
	s_add_i32 s2, s6, 1
	s_mov_b32 s3, 0
	s_lshl_b64 s[12:13], s[2:3], 2
	s_add_u32 s12, s16, s12
	s_mov_b32 s7, s3
	s_addc_u32 s13, s17, s13
	s_lshl_b64 s[2:3], s[6:7], 2
	s_add_u32 s2, s16, s2
	s_addc_u32 s3, s17, s3
	s_load_dword s9, s[12:13], 0x0
	s_load_dword s11, s[2:3], 0x0
	s_mov_b64 s[34:35], s[6:7]
	s_waitcnt lgkmcnt(0)
	s_sub_i32 s2, s9, s11
	s_cmp_eq_u32 s2, 1
	s_cselect_b64 s[2:3], -1, 0
	s_andn2_b64 vcc, exec, s[0:1]
	s_cbranch_vccnz .LBB59_3
.LBB59_2:
	s_mov_b32 s7, 0
	s_mov_b64 s[2:3], -1
	s_mov_b64 s[34:35], s[6:7]
.LBB59_3:
	s_andn2_b64 vcc, exec, s[2:3]
	s_cbranch_vccnz .LBB59_17
; %bb.4:
	s_load_dword s2, s[4:5], 0x9c
	s_load_dwordx2 s[0:1], s[4:5], 0x28
	s_add_u32 s26, s4, 0x90
	s_addc_u32 s27, s5, 0
	s_lshl_b64 s[36:37], s[34:35], 2
	s_waitcnt lgkmcnt(0)
	s_and_b32 s2, s2, 0xffff
	s_add_u32 s0, s0, s36
	s_addc_u32 s1, s1, s37
	s_load_dword s11, s[0:1], 0x0
	s_mul_i32 s9, s10, s2
	s_waitcnt lgkmcnt(0)
	s_cmp_ge_i32 s9, s11
	s_cbranch_scc1 .LBB59_17
; %bb.5:
	v_and_b32_e32 v2, 0xc0, v0
	v_and_b32_e32 v41, 3, v0
	s_lshl_b32 s7, s8, 2
	v_add_u32_e32 v2, s9, v2
	v_lshrrev_b32_e32 v1, 6, v0
	v_cmp_gt_i32_e64 s[0:1], s11, v2
	v_cmp_le_i32_e32 vcc, s11, v2
	v_or_b32_e32 v34, s7, v41
                                        ; implicit-def: $sgpr21
                                        ; implicit-def: $sgpr20
	s_and_saveexec_b64 s[2:3], vcc
	s_xor_b64 s[2:3], exec, s[2:3]
	s_cbranch_execz .LBB59_7
; %bb.6:
	v_mul_u32_u24_e32 v2, 20, v1
	v_or_b32_e32 v2, 0xa00, v2
	v_mov_b32_e32 v3, 0xa50
	v_mov_b32_e32 v4, 0xff7fffff
	v_mad_u32_u24 v3, v1, 20, v3
	ds_write2_b32 v2, v4, v4 offset1:1
	v_mov_b32_e32 v2, 0
	ds_write2_b32 v3, v2, v2 offset1:1
	v_mov_b32_e32 v3, 0xa08
	s_mov_b32 s20, 0xff7fffff
	s_mov_b32 s21, 0
	v_mad_u32_u24 v3, v1, 20, v3
	v_mov_b32_e32 v5, 0xa58
	v_or_b32_e32 v34, s7, v41
	v_mad_u32_u24 v5, v1, 20, v5
	ds_write2_b32 v3, v4, v4 offset1:1
	ds_write2_b32 v5, v2, v2 offset1:1
                                        ; implicit-def: $vgpr2
.LBB59_7:
	s_or_saveexec_b64 s[28:29], s[2:3]
	s_load_dwordx2 s[24:25], s[4:5], 0x68
	s_load_dwordx4 s[12:15], s[4:5], 0x58
	s_load_dword s33, s[26:27], 0x4
	v_and_b32_e32 v40, 63, v0
	v_mov_b32_e32 v39, s21
	v_mov_b32_e32 v42, s20
	;; [unrolled: 1-line block ×5, first 2 shown]
                                        ; implicit-def: $vgpr3
                                        ; implicit-def: $vgpr7
                                        ; implicit-def: $vgpr11
                                        ; implicit-def: $vgpr15
                                        ; implicit-def: $vgpr19
                                        ; implicit-def: $vgpr23
                                        ; implicit-def: $vgpr27
                                        ; implicit-def: $vgpr31
	s_xor_b64 exec, exec, s[28:29]
	s_cbranch_execz .LBB59_13
; %bb.8:
	s_add_i32 s21, s11, 31
	s_load_dwordx2 s[2:3], s[4:5], 0x20
	s_load_dword s20, s[4:5], 0x38
	s_ashr_i32 s22, s21, 31
	s_lshr_b32 s22, s22, 27
	v_add_u32_e32 v36, s9, v0
	s_add_i32 s21, s21, s22
	v_ashrrev_i32_e32 v3, 31, v36
	s_ashr_i32 s21, s21, 5
	v_lshrrev_b32_e32 v3, 27, v3
	s_add_i32 s22, s21, -1
	v_add_u32_e32 v3, v36, v3
	s_waitcnt lgkmcnt(0)
	s_mul_i32 s38, s6, s20
	s_mov_b32 s39, 0
	v_ashrrev_i32_e32 v3, 5, v3
	v_mov_b32_e32 v4, s22
	v_cmp_gt_i32_e32 vcc, s11, v36
	s_lshl_b64 s[20:21], s[38:39], 2
	v_cndmask_b32_e32 v4, v4, v3, vcc
	s_add_u32 s2, s2, s20
	v_ashrrev_i32_e32 v5, 31, v4
	s_addc_u32 s3, s3, s21
	v_lshlrev_b64 v[4:5], 2, v[4:5]
	v_mov_b32_e32 v3, s3
	v_add_co_u32_e32 v6, vcc, s2, v4
	v_addc_co_u32_e32 v7, vcc, v3, v5, vcc
	v_ashrrev_i32_e32 v3, 31, v2
	v_lshrrev_b32_e32 v3, 27, v3
	v_add_u32_e32 v2, v2, v3
	v_ashrrev_i32_e32 v4, 5, v2
	v_min_i32_e32 v2, s22, v4
	v_ashrrev_i32_e32 v3, 31, v2
	v_lshlrev_b64 v[2:3], 2, v[2:3]
	v_add_co_u32_e32 v8, vcc, s2, v2
	v_add_u32_e32 v2, 1, v4
	v_mov_b32_e32 v5, s3
	v_min_i32_e32 v2, s22, v2
	v_addc_co_u32_e32 v9, vcc, v5, v3, vcc
	v_ashrrev_i32_e32 v3, 31, v2
	v_lshlrev_b64 v[2:3], 2, v[2:3]
	v_mov_b32_e32 v4, s3
	v_add_co_u32_e32 v10, vcc, s2, v2
	v_addc_co_u32_e32 v11, vcc, v4, v3, vcc
	global_load_dword v4, v[6:7], off
	global_load_dword v2, v[8:9], off
	;; [unrolled: 1-line block ×3, first 2 shown]
	s_load_dwordx2 s[30:31], s[4:5], 0x40
	s_load_dwordx4 s[20:23], s[4:5], 0x0
	s_load_dwordx2 s[2:3], s[4:5], 0x10
	s_andn2_b64 vcc, exec, s[18:19]
	s_cbranch_vccnz .LBB59_10
; %bb.9:
	s_add_u32 s16, s16, s36
	s_addc_u32 s17, s17, s37
	s_load_dword s38, s[16:17], 0x0
	s_waitcnt lgkmcnt(0)
	s_mov_b64 s[34:35], s[38:39]
.LBB59_10:
	s_load_dwordx4 s[16:19], s[4:5], 0x48
	v_lshrrev_b32_e32 v5, 2, v40
	v_lshlrev_b32_e32 v6, 3, v41
	v_add_lshl_u32 v5, v6, v5, 4
	v_mov_b32_e32 v35, 0
	s_waitcnt lgkmcnt(0)
	s_ashr_i32 s9, s16, 31
	s_mul_hi_u32 s19, s34, s16
	s_mul_i32 s9, s34, s9
	s_mul_i32 s35, s35, s16
	s_add_i32 s9, s19, s9
	s_mul_i32 s36, s34, s16
	s_add_i32 s37, s9, s35
	s_lshl_b64 s[34:35], s[36:37], 1
	s_add_u32 s9, s20, s34
	s_addc_u32 s16, s21, s35
	s_lshl_b32 s38, s8, 8
	s_lshl_b64 s[20:21], s[38:39], 1
	s_add_u32 s20, s9, s20
	s_addc_u32 s21, s16, s21
	global_load_dwordx4 v[42:45], v5, s[20:21]
	s_mul_i32 s38, s8, s18
	s_lshl_b64 s[8:9], s[38:39], 1
	s_waitcnt vmcnt(3)
	v_mad_i64_i32 v[4:5], s[20:21], v4, s17, 0
	s_add_u32 s16, s8, s22
	v_lshlrev_b64 v[4:5], 1, v[4:5]
	s_addc_u32 s18, s9, s23
	v_mov_b32_e32 v6, s18
	v_add_co_u32_e32 v4, vcc, s16, v4
	v_addc_co_u32_e32 v5, vcc, v6, v5, vcc
	v_and_b32_e32 v6, 31, v0
	v_lshlrev_b32_e32 v6, 4, v6
	v_add_co_u32_e32 v32, vcc, v4, v6
	v_addc_co_u32_e32 v33, vcc, 0, v5, vcc
	global_load_dwordx4 v[4:7], v[32:33], off
	global_load_dwordx4 v[8:11], v[32:33], off offset:512
	global_load_dwordx4 v[12:15], v[32:33], off offset:1024
	;; [unrolled: 1-line block ×7, first 2 shown]
	v_cmp_eq_u32_e32 vcc, 0, v41
	v_cndmask_b32_e64 v51, 0, 1.0, vcc
	v_cmp_eq_u32_e32 vcc, 1, v41
	v_cndmask_b32_e64 v52, 0, 1.0, vcc
	;; [unrolled: 2-line block ×3, first 2 shown]
	v_cmp_eq_u32_e32 vcc, 3, v41
	v_lshlrev_b64 v[32:33], 2, v[34:35]
	v_mov_b32_e32 v37, s31
	v_cndmask_b32_e64 v54, 0, 1.0, vcc
	v_add_co_u32_e32 v32, vcc, s30, v32
	v_addc_co_u32_e32 v33, vcc, v37, v33, vcc
	global_load_dword v37, v[32:33], off
	v_and_b32_e32 v55, -4, v36
	v_subrev_u32_e32 v32, s11, v55
	v_lshlrev_b32_e32 v38, 2, v0
	v_add_u32_e32 v57, 1, v32
	v_add_u32_e32 v58, 2, v32
	;; [unrolled: 1-line block ×4, first 2 shown]
	s_waitcnt vmcnt(11)
	v_mul_hi_i32 v32, v2, s17
	v_mov_b32_e32 v39, v35
	v_mov_b32_e32 v33, v35
	v_and_or_b32 v35, v38, 48, v41
	s_waitcnt vmcnt(10)
	v_mul_hi_i32 v38, v3, s17
	v_ashrrev_i32_e32 v32, 31, v32
	v_ashrrev_i32_e32 v61, 31, v38
	v_lshrrev_b32_e32 v38, 29, v32
	s_add_u32 s2, s2, s8
	v_lshlrev_b32_e32 v50, 6, v40
	v_mad_i64_i32 v[38:39], s[18:19], v2, s17, v[38:39]
	s_addc_u32 s3, s3, s9
	v_lshrrev_b32_e32 v32, 29, v61
	v_mad_i64_i32 v[2:3], s[16:17], v3, s17, v[32:33]
	v_lshlrev_b64 v[2:3], 1, v[2:3]
	v_and_b32_e32 v2, -16, v2
	s_load_dword s4, s[4:5], 0x1c
	v_mov_b32_e32 v56, 0xff7fffff
	v_or_b32_e32 v36, 3, v36
	v_cmp_gt_i32_e64 s[8:9], s11, v36
	v_lshlrev_b32_e32 v35, 2, v35
	s_waitcnt vmcnt(8)
	v_mfma_f32_4x4x4f16 a[0:3], v[42:43], v[4:5], 0 cbsz:4
	v_lshlrev_b64 v[4:5], 1, v[38:39]
	v_mfma_f32_4x4x4f16 a[0:3], v[44:45], v[6:7], a[0:3] cbsz:4
	v_mov_b32_e32 v6, s3
	s_waitcnt vmcnt(7)
	v_mfma_f32_4x4x4f16 a[0:3], v[42:43], v[8:9], a[0:3] cbsz:4 abid:1
	v_add_co_u32_e32 v7, vcc, s2, v50
	v_mfma_f32_4x4x4f16 a[0:3], v[44:45], v[10:11], a[0:3] cbsz:4 abid:1
	v_and_b32_e32 v4, -16, v4
	s_waitcnt vmcnt(6)
	v_mfma_f32_4x4x4f16 a[0:3], v[42:43], v[12:13], a[0:3] cbsz:4 abid:2
	v_addc_co_u32_e32 v6, vcc, 0, v6, vcc
	v_mfma_f32_4x4x4f16 a[0:3], v[44:45], v[14:15], a[0:3] cbsz:4 abid:2
	s_waitcnt vmcnt(5)
	v_mfma_f32_4x4x4f16 a[0:3], v[42:43], v[16:17], a[0:3] cbsz:4 abid:3
	v_mfma_f32_4x4x4f16 a[0:3], v[44:45], v[18:19], a[0:3] cbsz:4 abid:3
	v_add_co_u32_e32 v18, vcc, v7, v4
	s_waitcnt vmcnt(4)
	v_mfma_f32_4x4x4f16 a[0:3], v[42:43], v[20:21], a[0:3] cbsz:4 abid:4
	v_addc_co_u32_e32 v19, vcc, v6, v5, vcc
	v_mfma_f32_4x4x4f16 a[0:3], v[44:45], v[22:23], a[0:3] cbsz:4 abid:4
	v_add_co_u32_e32 v38, vcc, v7, v2
	s_waitcnt vmcnt(3)
	v_mfma_f32_4x4x4f16 a[0:3], v[42:43], v[24:25], a[0:3] cbsz:4 abid:5
	v_addc_co_u32_e32 v39, vcc, v6, v3, vcc
	v_mfma_f32_4x4x4f16 a[0:3], v[44:45], v[26:27], a[0:3] cbsz:4 abid:5
	global_load_dwordx4 v[2:5], v[18:19], off
	global_load_dwordx4 v[6:9], v[18:19], off offset:16
	s_waitcnt vmcnt(4)
	v_mfma_f32_4x4x4f16 a[0:3], v[42:43], v[28:29], a[0:3] cbsz:4 abid:6
	global_load_dwordx4 v[10:13], v[18:19], off offset:32
	global_load_dwordx4 v[14:17], v[18:19], off offset:48
	v_mfma_f32_4x4x4f16 a[0:3], v[44:45], v[30:31], a[0:3] cbsz:4 abid:6
	global_load_dwordx4 v[18:21], v[38:39], off
	global_load_dwordx4 v[22:25], v[38:39], off offset:16
	global_load_dwordx4 v[26:29], v[38:39], off offset:32
	;; [unrolled: 1-line block ×3, first 2 shown]
	s_waitcnt vmcnt(9)
	v_mfma_f32_4x4x4f16 a[0:3], v[42:43], v[46:47], a[0:3] cbsz:4 abid:7
	v_cmp_gt_i32_e32 vcc, s11, v55
	v_mfma_f32_4x4x4f16 a[0:3], v[44:45], v[48:49], a[0:3] cbsz:4 abid:7
	v_cvt_f32_i32_e32 v44, v57
	s_nop 3
	v_accvgpr_read_b32 v39, a1
	v_accvgpr_read_b32 v38, a0
	s_waitcnt lgkmcnt(0)
	v_pk_mul_f32 v[38:39], s[4:5], v[38:39] op_sel_hi:[0,1]
	v_accvgpr_read_b32 v43, a3
	v_accvgpr_read_b32 v42, a2
	v_pk_mul_f32 v[42:43], s[4:5], v[42:43] op_sel_hi:[0,1]
	v_mfma_f32_4x4x1f32 a[0:3], v38, v51, 0
	v_cvt_f32_i32_e32 v38, v58
	v_mfma_f32_4x4x1f32 a[0:3], v39, v52, a[0:3]
	v_cvt_f32_i32_e32 v39, v59
	;; [unrolled: 2-line block ×3, first 2 shown]
	v_mfma_f32_4x4x1f32 a[0:3], v43, v54, a[0:3]
	s_nop 4
	v_accvgpr_read_b32 v43, a0
	v_accvgpr_read_b32 v45, a1
	;; [unrolled: 1-line block ×4, first 2 shown]
	s_waitcnt vmcnt(8)
	v_fma_f32 v43, v37, v44, v43
	v_fma_f32 v38, v37, v38, v45
	;; [unrolled: 1-line block ×3, first 2 shown]
	v_fmac_f32_e32 v47, v37, v42
	v_max_f32_e32 v37, 0xff7fffff, v43
	v_cndmask_b32_e32 v37, v56, v37, vcc
	v_or_b32_e32 v42, 1, v55
	v_max_f32_e32 v44, v37, v38
	v_cmp_gt_i32_e64 s[2:3], s11, v42
	v_cndmask_b32_e64 v37, v37, v44, s[2:3]
	v_or_b32_e32 v42, 2, v55
	v_max_f32_e32 v44, v37, v39
	v_cmp_gt_i32_e64 s[4:5], s11, v42
	v_cndmask_b32_e64 v37, v37, v44, s[4:5]
	v_max_f32_e32 v42, v37, v47
	v_cndmask_b32_e64 v36, v37, v42, s[8:9]
	;;#ASMSTART
	v_nop
 v_nop
 v_max_f32_dpp v36, v36, v36 row_ror:4
	;;#ASMEND
	;;#ASMSTART
	v_nop
 v_nop
 v_max_f32_dpp v36, v36, v36 row_ror:8
	;;#ASMEND
	ds_bpermute_b32 v36, v35, v36
	s_waitcnt lgkmcnt(0)
	;;#ASMSTART
	v_nop
 v_nop
 v_max_f32_dpp v36, v36, v36 row_ror:4
	;;#ASMEND
	;;#ASMSTART
	v_nop
 v_nop
 v_max_f32_dpp v42, v36, v36 row_ror:8
	;;#ASMEND
	v_sub_f32_e32 v36, v43, v42
	v_mul_f32_e32 v36, 0x3fb8aa3b, v36
	v_sub_f32_e32 v37, v38, v42
	v_exp_f32_e32 v36, v36
	v_mul_f32_e32 v37, 0x3fb8aa3b, v37
	v_sub_f32_e32 v39, v39, v42
	v_exp_f32_e32 v37, v37
	;; [unrolled: 3-line block ×3, first 2 shown]
	v_mul_f32_e32 v43, 0x3fb8aa3b, v43
	v_exp_f32_e32 v43, v43
	v_cndmask_b32_e32 v36, 0, v36, vcc
	v_add_f32_e32 v38, 0, v36
	v_cndmask_b32_e64 v37, 0, v37, s[2:3]
	v_add_f32_e32 v44, v38, v37
	v_cndmask_b32_e64 v38, 0, v39, s[4:5]
	;; [unrolled: 2-line block ×3, first 2 shown]
	v_add_f32_e32 v43, v44, v39
	;;#ASMSTART
	v_nop
 v_nop
 v_add_f32_dpp v43, v43, v43 row_ror:4
	;;#ASMEND
	;;#ASMSTART
	v_nop
 v_nop
 v_add_f32_dpp v43, v43, v43 row_ror:8
	;;#ASMEND
	ds_bpermute_b32 v35, v35, v43
	s_waitcnt lgkmcnt(0)
	;;#ASMSTART
	v_nop
 v_nop
 v_add_f32_dpp v35, v35, v35 row_ror:4
	;;#ASMEND
	v_cmp_gt_u32_e32 vcc, 4, v40
	;;#ASMSTART
	v_nop
 v_nop
 v_add_f32_dpp v35, v35, v35 row_ror:8
	;;#ASMEND
	s_and_saveexec_b64 s[2:3], vcc
	s_cbranch_execz .LBB59_12
; %bb.11:
	v_mul_u32_u24_e32 v43, 20, v1
	v_lshl_add_u32 v43, v41, 2, v43
	v_add_u32_e32 v43, 0x800, v43
	ds_write2_b32 v43, v42, v35 offset0:128 offset1:148
.LBB59_12:
	s_or_b64 exec, exec, s[2:3]
.LBB59_13:
	s_or_b64 exec, exec, s[28:29]
	v_lshlrev_b32_e32 v35, 2, v41
	v_add_u32_e32 v35, 0x800, v35
	s_waitcnt lgkmcnt(0)
	s_barrier
	s_load_dword s2, s[26:27], 0x8
	ds_read2_b32 v[44:45], v35 offset0:128 offset1:133
	ds_read2_b32 v[46:47], v35 offset0:138 offset1:143
	s_mov_b32 s8, 0xff7fffff
	s_mul_i32 s3, s6, s33
	ds_read2_b32 v[48:49], v35 offset0:148 offset1:153
	s_waitcnt lgkmcnt(0)
	v_max3_f32 v41, v44, s8, v45
	v_max3_f32 v41, v41, v46, v47
	v_sub_f32_e32 v43, v44, v41
	v_sub_f32_e32 v44, v45, v41
	s_mul_i32 s3, s3, s2
	v_mul_f32_e32 v43, 0x3fb8aa3b, v43
	v_mul_f32_e32 v44, 0x3fb8aa3b, v44
	s_lshl_b32 s2, s3, 2
	s_mov_b32 s3, 0
	v_exp_f32_e32 v43, v43
	v_exp_f32_e32 v50, v44
	ds_read2_b32 v[44:45], v35 offset0:158 offset1:163
	v_sub_f32_e32 v35, v46, v41
	s_lshl_b64 s[4:5], s[2:3], 2
	v_mul_f32_e32 v35, 0x3fb8aa3b, v35
	v_sub_f32_e32 v46, v47, v41
	s_mov_b32 s11, s3
	s_add_u32 s3, s12, s4
	v_exp_f32_e32 v35, v35
	v_mul_f32_e32 v46, 0x3fb8aa3b, v46
	s_addc_u32 s6, s13, s5
	v_exp_f32_e32 v46, v46
	s_add_u32 s8, s14, s4
	v_fma_f32 v43, v43, v48, 0
	s_addc_u32 s9, s15, s5
	s_lshl_b64 s[4:5], s[10:11], 2
	v_fmac_f32_e32 v43, v50, v49
	s_add_u32 s8, s8, s4
	s_waitcnt lgkmcnt(0)
	v_fmac_f32_e32 v43, v35, v44
	v_mul_lo_u32 v34, s33, v34
	v_mov_b32_e32 v35, 0
	s_addc_u32 s9, s9, s5
	v_fmac_f32_e32 v43, v46, v45
	v_lshlrev_b64 v[44:45], 2, v[34:35]
	s_add_u32 s3, s3, s4
	v_mov_b32_e32 v34, s9
	v_add_co_u32_e32 v46, vcc, s8, v44
	s_addc_u32 s4, s6, s5
	v_addc_co_u32_e32 v47, vcc, v34, v45, vcc
	v_mov_b32_e32 v34, s4
	v_add_co_u32_e32 v44, vcc, s3, v44
	v_addc_co_u32_e32 v45, vcc, v34, v45, vcc
	v_mov_b32_e32 v34, v35
	global_store_dword v[46:47], v41, off
	global_store_dword v[44:45], v43, off
	s_and_saveexec_b64 s[4:5], s[0:1]
	s_cbranch_execz .LBB59_15
; %bb.14:
	v_add_f32_e32 v34, 0x358637bd, v43
	v_div_scale_f32 v35, s[0:1], v34, v34, 1.0
	v_rcp_f32_e32 v43, v35
	v_div_scale_f32 v44, vcc, 1.0, v34, 1.0
	v_sub_f32_e32 v41, v42, v41
	v_fma_f32 v45, -v35, v43, 1.0
	v_fmac_f32_e32 v43, v45, v43
	v_mul_f32_e32 v45, v44, v43
	v_fma_f32 v46, -v35, v45, v44
	v_mul_f32_e32 v41, 0x3fb8aa3b, v41
	v_fmac_f32_e32 v45, v46, v43
	v_exp_f32_e32 v41, v41
	v_fma_f32 v35, -v35, v45, v44
	v_div_fmas_f32 v35, v35, v43, v45
	v_div_fixup_f32 v34, v35, v34, 1.0
	v_mul_f32_e32 v34, v41, v34
	v_pk_mul_f32 v[38:39], v[38:39], v[34:35] op_sel_hi:[1,0]
	v_pk_mul_f32 v[34:35], v[36:37], v[34:35] op_sel_hi:[1,0]
	v_cvt_f16_f32_e32 v34, v34
	v_cvt_f16_f32_e32 v35, v35
	;; [unrolled: 1-line block ×4, first 2 shown]
	s_mov_b32 s0, 0x5040100
	v_pack_b32_f16 v34, v34, v35
	v_pack_b32_f16 v35, v36, v37
	s_waitcnt vmcnt(9)
	s_nop 0
	v_mfma_f32_4x4x4f16 a[0:3], v[34:35], v[2:3], 0 cbsz:4
	v_mfma_f32_4x4x4f16 a[0:3], v[34:35], v[4:5], a[0:3] cbsz:4 abid:1
	s_waitcnt vmcnt(8)
	v_mfma_f32_4x4x4f16 a[0:3], v[34:35], v[6:7], a[0:3] cbsz:4 abid:2
	v_mfma_f32_4x4x4f16 a[0:3], v[34:35], v[8:9], a[0:3] cbsz:4 abid:3
	s_waitcnt vmcnt(7)
	v_mfma_f32_4x4x4f16 a[0:3], v[34:35], v[10:11], a[0:3] cbsz:4 abid:4
	;; [unrolled: 3-line block ×7, first 2 shown]
	v_mfma_f32_4x4x4f16 a[0:3], v[34:35], v[32:33], a[0:3] cbsz:4 abid:15
	s_nop 4
	v_accvgpr_read_b32 v2, a0
	v_accvgpr_read_b32 v3, a1
	;; [unrolled: 1-line block ×4, first 2 shown]
	v_cvt_f16_f32_e32 v2, v2
	v_cvt_f16_f32_e32 v3, v3
	;; [unrolled: 1-line block ×4, first 2 shown]
	v_perm_b32 v34, v3, v2, s0
	v_perm_b32 v35, v5, v4, s0
.LBB59_15:
	s_or_b64 exec, exec, s[4:5]
	v_lshlrev_b32_e32 v1, 3, v1
	v_mad_u32_u24 v1, v40, 40, v1
	v_cmp_gt_u32_e32 vcc, 64, v0
	ds_write_b64 v1, v[34:35]
	s_waitcnt lgkmcnt(0)
	s_barrier
	s_and_saveexec_b64 s[0:1], vcc
	s_cbranch_execz .LBB59_17
; %bb.16:
	v_mul_u32_u24_e32 v1, 40, v40
	s_waitcnt vmcnt(9)
	ds_read2_b64 v[2:5], v1 offset1:1
	s_waitcnt vmcnt(8)
	ds_read2_b64 v[6:9], v1 offset0:2 offset1:3
	s_mov_b32 s1, 0
	s_lshl_b32 s0, s2, 6
	s_lshl_b64 s[2:3], s[0:1], 1
	s_add_u32 s2, s24, s2
	s_addc_u32 s3, s25, s3
	s_lshl_b32 s0, s10, 6
	s_lshl_b64 s[0:1], s[0:1], 1
	s_waitcnt lgkmcnt(1)
	v_pk_add_f16 v1, v2, 0
	v_pk_add_f16 v2, v3, 0
	s_add_u32 s0, s2, s0
	v_pk_add_f16 v2, v2, v5
	s_addc_u32 s1, s3, s1
	s_lshl_b32 s2, s33, 6
	v_pk_add_f16 v1, v1, v4
	s_waitcnt lgkmcnt(0)
	v_pk_add_f16 v2, v2, v7
	s_mul_i32 s3, s2, s7
	v_pk_add_f16 v1, v1, v6
	v_pk_add_f16 v6, v2, v9
	v_or_b32_e32 v2, s3, v0
	v_mov_b32_e32 v3, 0
	v_lshlrev_b64 v[4:5], 1, v[2:3]
	v_mov_b32_e32 v2, s1
	v_add_co_u32_e32 v4, vcc, s0, v4
	s_add_i32 s3, s3, s2
	v_pk_add_f16 v1, v1, v8
	v_addc_co_u32_e32 v5, vcc, v2, v5, vcc
	v_or_b32_e32 v2, s3, v0
	global_store_short v[4:5], v1, off
	v_lshlrev_b64 v[4:5], 1, v[2:3]
	v_mov_b32_e32 v2, s1
	v_add_co_u32_e32 v4, vcc, s0, v4
	s_add_i32 s3, s3, s2
	v_addc_co_u32_e32 v5, vcc, v2, v5, vcc
	v_or_b32_e32 v2, s3, v0
	global_store_short_d16_hi v[4:5], v1, off
	v_lshlrev_b64 v[4:5], 1, v[2:3]
	s_add_i32 s3, s3, s2
	v_mov_b32_e32 v1, s1
	v_add_co_u32_e32 v4, vcc, s0, v4
	v_or_b32_e32 v2, s3, v0
	v_addc_co_u32_e32 v5, vcc, v1, v5, vcc
	v_lshlrev_b64 v[0:1], 1, v[2:3]
	v_mov_b32_e32 v2, s1
	v_add_co_u32_e32 v0, vcc, s0, v0
	v_addc_co_u32_e32 v1, vcc, v2, v1, vcc
	global_store_short v[4:5], v6, off
	global_store_short_d16_hi v[0:1], v6, off
.LBB59_17:
	s_endpgm
.LBB59_18:
	s_mov_b64 s[2:3], 0
                                        ; implicit-def: $sgpr34_sgpr35
	s_branch .LBB59_2
	.section	.rodata,"a",@progbits
	.p2align	6, 0x0
	.amdhsa_kernel _Z38paged_attention_ll4mi_QKV_mfma4_kernelIDF16_DF16_LN4vllm18Fp8KVCacheDataTypeE0EDF16_Li32ELi64ELi256ELb1ELi4EEvPKT_PKT0_S7_ifPKiS9_S9_iPKfiiiPfSC_PS2_PT2_iSB_SB_
		.amdhsa_group_segment_fixed_size 2720
		.amdhsa_private_segment_fixed_size 0
		.amdhsa_kernarg_size 400
		.amdhsa_user_sgpr_count 6
		.amdhsa_user_sgpr_private_segment_buffer 1
		.amdhsa_user_sgpr_dispatch_ptr 0
		.amdhsa_user_sgpr_queue_ptr 0
		.amdhsa_user_sgpr_kernarg_segment_ptr 1
		.amdhsa_user_sgpr_dispatch_id 0
		.amdhsa_user_sgpr_flat_scratch_init 0
		.amdhsa_user_sgpr_kernarg_preload_length 0
		.amdhsa_user_sgpr_kernarg_preload_offset 0
		.amdhsa_user_sgpr_private_segment_size 0
		.amdhsa_uses_dynamic_stack 0
		.amdhsa_system_sgpr_private_segment_wavefront_offset 0
		.amdhsa_system_sgpr_workgroup_id_x 1
		.amdhsa_system_sgpr_workgroup_id_y 1
		.amdhsa_system_sgpr_workgroup_id_z 1
		.amdhsa_system_sgpr_workgroup_info 0
		.amdhsa_system_vgpr_workitem_id 0
		.amdhsa_next_free_vgpr 68
		.amdhsa_next_free_sgpr 40
		.amdhsa_accum_offset 64
		.amdhsa_reserve_vcc 1
		.amdhsa_reserve_flat_scratch 0
		.amdhsa_float_round_mode_32 0
		.amdhsa_float_round_mode_16_64 0
		.amdhsa_float_denorm_mode_32 3
		.amdhsa_float_denorm_mode_16_64 3
		.amdhsa_dx10_clamp 1
		.amdhsa_ieee_mode 1
		.amdhsa_fp16_overflow 0
		.amdhsa_tg_split 0
		.amdhsa_exception_fp_ieee_invalid_op 0
		.amdhsa_exception_fp_denorm_src 0
		.amdhsa_exception_fp_ieee_div_zero 0
		.amdhsa_exception_fp_ieee_overflow 0
		.amdhsa_exception_fp_ieee_underflow 0
		.amdhsa_exception_fp_ieee_inexact 0
		.amdhsa_exception_int_div_zero 0
	.end_amdhsa_kernel
	.section	.text._Z38paged_attention_ll4mi_QKV_mfma4_kernelIDF16_DF16_LN4vllm18Fp8KVCacheDataTypeE0EDF16_Li32ELi64ELi256ELb1ELi4EEvPKT_PKT0_S7_ifPKiS9_S9_iPKfiiiPfSC_PS2_PT2_iSB_SB_,"axG",@progbits,_Z38paged_attention_ll4mi_QKV_mfma4_kernelIDF16_DF16_LN4vllm18Fp8KVCacheDataTypeE0EDF16_Li32ELi64ELi256ELb1ELi4EEvPKT_PKT0_S7_ifPKiS9_S9_iPKfiiiPfSC_PS2_PT2_iSB_SB_,comdat
.Lfunc_end59:
	.size	_Z38paged_attention_ll4mi_QKV_mfma4_kernelIDF16_DF16_LN4vllm18Fp8KVCacheDataTypeE0EDF16_Li32ELi64ELi256ELb1ELi4EEvPKT_PKT0_S7_ifPKiS9_S9_iPKfiiiPfSC_PS2_PT2_iSB_SB_, .Lfunc_end59-_Z38paged_attention_ll4mi_QKV_mfma4_kernelIDF16_DF16_LN4vllm18Fp8KVCacheDataTypeE0EDF16_Li32ELi64ELi256ELb1ELi4EEvPKT_PKT0_S7_ifPKiS9_S9_iPKfiiiPfSC_PS2_PT2_iSB_SB_
                                        ; -- End function
	.section	.AMDGPU.csdata,"",@progbits
; Kernel info:
; codeLenInByte = 3100
; NumSgprs: 44
; NumVgprs: 62
; NumAgprs: 4
; TotalNumVgprs: 68
; ScratchSize: 0
; MemoryBound: 0
; FloatMode: 240
; IeeeMode: 1
; LDSByteSize: 2720 bytes/workgroup (compile time only)
; SGPRBlocks: 5
; VGPRBlocks: 8
; NumSGPRsForWavesPerEU: 44
; NumVGPRsForWavesPerEU: 68
; AccumOffset: 64
; Occupancy: 7
; WaveLimiterHint : 1
; COMPUTE_PGM_RSRC2:SCRATCH_EN: 0
; COMPUTE_PGM_RSRC2:USER_SGPR: 6
; COMPUTE_PGM_RSRC2:TRAP_HANDLER: 0
; COMPUTE_PGM_RSRC2:TGID_X_EN: 1
; COMPUTE_PGM_RSRC2:TGID_Y_EN: 1
; COMPUTE_PGM_RSRC2:TGID_Z_EN: 1
; COMPUTE_PGM_RSRC2:TIDIG_COMP_CNT: 0
; COMPUTE_PGM_RSRC3_GFX90A:ACCUM_OFFSET: 15
; COMPUTE_PGM_RSRC3_GFX90A:TG_SPLIT: 0
	.section	.text._Z39paged_attention_ll4mi_QKV_mfma16_kernelIDF16_DF16_LN4vllm18Fp8KVCacheDataTypeE0EDF16_Li32ELi64ELi256ELb1ELi5EL8MFMAType0EEvPKT_PKT0_S8_ifPKiSA_SA_iPKfiiiPfSD_PS3_PT2_iSC_SC_,"axG",@progbits,_Z39paged_attention_ll4mi_QKV_mfma16_kernelIDF16_DF16_LN4vllm18Fp8KVCacheDataTypeE0EDF16_Li32ELi64ELi256ELb1ELi5EL8MFMAType0EEvPKT_PKT0_S8_ifPKiSA_SA_iPKfiiiPfSD_PS3_PT2_iSC_SC_,comdat
	.protected	_Z39paged_attention_ll4mi_QKV_mfma16_kernelIDF16_DF16_LN4vllm18Fp8KVCacheDataTypeE0EDF16_Li32ELi64ELi256ELb1ELi5EL8MFMAType0EEvPKT_PKT0_S8_ifPKiSA_SA_iPKfiiiPfSD_PS3_PT2_iSC_SC_ ; -- Begin function _Z39paged_attention_ll4mi_QKV_mfma16_kernelIDF16_DF16_LN4vllm18Fp8KVCacheDataTypeE0EDF16_Li32ELi64ELi256ELb1ELi5EL8MFMAType0EEvPKT_PKT0_S8_ifPKiSA_SA_iPKfiiiPfSD_PS3_PT2_iSC_SC_
	.globl	_Z39paged_attention_ll4mi_QKV_mfma16_kernelIDF16_DF16_LN4vllm18Fp8KVCacheDataTypeE0EDF16_Li32ELi64ELi256ELb1ELi5EL8MFMAType0EEvPKT_PKT0_S8_ifPKiSA_SA_iPKfiiiPfSD_PS3_PT2_iSC_SC_
	.p2align	8
	.type	_Z39paged_attention_ll4mi_QKV_mfma16_kernelIDF16_DF16_LN4vllm18Fp8KVCacheDataTypeE0EDF16_Li32ELi64ELi256ELb1ELi5EL8MFMAType0EEvPKT_PKT0_S8_ifPKiSA_SA_iPKfiiiPfSD_PS3_PT2_iSC_SC_,@function
_Z39paged_attention_ll4mi_QKV_mfma16_kernelIDF16_DF16_LN4vllm18Fp8KVCacheDataTypeE0EDF16_Li32ELi64ELi256ELb1ELi5EL8MFMAType0EEvPKT_PKT0_S8_ifPKiSA_SA_iPKfiiiPfSD_PS3_PT2_iSC_SC_: ; @_Z39paged_attention_ll4mi_QKV_mfma16_kernelIDF16_DF16_LN4vllm18Fp8KVCacheDataTypeE0EDF16_Li32ELi64ELi256ELb1ELi5EL8MFMAType0EEvPKT_PKT0_S8_ifPKiSA_SA_iPKfiiiPfSD_PS3_PT2_iSC_SC_
; %bb.0:
	s_load_dwordx2 s[0:1], s[4:5], 0x30
	s_mov_b32 s28, s7
	s_mov_b64 s[10:11], 0
	s_waitcnt lgkmcnt(0)
	s_cmp_lg_u64 s[0:1], 0
	s_cselect_b64 s[2:3], -1, 0
	s_and_b64 vcc, exec, s[2:3]
	s_cbranch_vccz .LBB60_7
; %bb.1:
	s_add_i32 s12, s6, 1
	s_mov_b32 s13, 0
	s_lshl_b64 s[14:15], s[12:13], 2
	s_add_u32 s14, s0, s14
	s_mov_b32 s7, s13
	s_addc_u32 s15, s1, s15
	s_lshl_b64 s[12:13], s[6:7], 2
	s_add_u32 s12, s0, s12
	s_addc_u32 s13, s1, s13
	s_load_dword s9, s[14:15], 0x0
	s_load_dword s16, s[12:13], 0x0
	s_waitcnt lgkmcnt(0)
	s_sub_i32 s9, s9, s16
	s_cmp_eq_u32 s9, 1
	s_cselect_b64 s[12:13], -1, 0
	s_andn2_b64 vcc, exec, s[10:11]
	s_cbranch_vccnz .LBB60_3
.LBB60_2:
	s_mov_b32 s7, 0
	s_mov_b64 s[12:13], -1
.LBB60_3:
	s_andn2_b64 vcc, exec, s[12:13]
	s_cbranch_vccnz .LBB60_22
; %bb.4:
	s_load_dwordx2 s[12:13], s[4:5], 0x28
	s_lshl_b64 s[10:11], s[6:7], 2
	s_waitcnt lgkmcnt(0)
	s_add_u32 s12, s12, s10
	s_addc_u32 s13, s13, s11
	s_load_dword s33, s[12:13], 0x0
	s_lshl_b32 s14, s28, 8
	s_waitcnt lgkmcnt(0)
	s_cmp_ge_i32 s14, s33
	s_cbranch_scc1 .LBB60_22
; %bb.5:
	s_add_i32 s15, s33, 31
	s_load_dwordx2 s[12:13], s[4:5], 0x20
	s_load_dword s9, s[4:5], 0x38
	s_ashr_i32 s16, s15, 31
	v_and_b32_e32 v1, 0xcf, v0
	s_lshr_b32 s16, s16, 27
	v_add_u32_e32 v1, s14, v1
	s_add_i32 s15, s15, s16
	v_ashrrev_i32_e32 v2, 31, v1
	s_ashr_i32 s17, s15, 5
	v_lshrrev_b32_e32 v6, 27, v2
	s_add_i32 s17, s17, -1
	v_add_u32_e32 v2, v1, v6
	s_waitcnt lgkmcnt(0)
	s_mul_i32 s18, s6, s9
	s_mov_b32 s19, 0
	v_ashrrev_i32_e32 v2, 5, v2
	v_mov_b32_e32 v7, s17
	v_cmp_gt_i32_e32 vcc, s33, v1
	s_lshl_b64 s[18:19], s[18:19], 2
	v_cndmask_b32_e32 v2, v7, v2, vcc
	s_add_u32 s15, s12, s18
	v_ashrrev_i32_e32 v3, 31, v2
	s_addc_u32 s16, s13, s19
	v_lshlrev_b64 v[2:3], 2, v[2:3]
	v_mov_b32_e32 v4, s16
	v_add_co_u32_e32 v2, vcc, s15, v2
	v_addc_co_u32_e32 v3, vcc, v4, v3, vcc
	v_or_b32_e32 v4, 16, v1
	v_add_u32_e32 v5, v4, v6
	v_ashrrev_i32_e32 v5, 5, v5
	v_cmp_gt_i32_e32 vcc, s33, v4
	v_cndmask_b32_e32 v4, v7, v5, vcc
	v_ashrrev_i32_e32 v5, 31, v4
	v_lshlrev_b64 v[4:5], 2, v[4:5]
	v_mov_b32_e32 v9, s16
	v_add_co_u32_e32 v8, vcc, s15, v4
	v_or_b32_e32 v4, 32, v1
	v_addc_co_u32_e32 v9, vcc, v9, v5, vcc
	v_add_u32_e32 v5, v4, v6
	v_ashrrev_i32_e32 v5, 5, v5
	v_cmp_gt_i32_e32 vcc, s33, v4
	v_cndmask_b32_e32 v4, v7, v5, vcc
	v_ashrrev_i32_e32 v5, 31, v4
	v_lshlrev_b64 v[4:5], 2, v[4:5]
	v_mov_b32_e32 v11, s16
	v_add_co_u32_e32 v10, vcc, s15, v4
	v_or_b32_e32 v1, 48, v1
	v_addc_co_u32_e32 v11, vcc, v11, v5, vcc
	v_add_u32_e32 v4, v1, v6
	v_ashrrev_i32_e32 v4, 5, v4
	v_cmp_gt_i32_e32 vcc, s33, v1
	v_cndmask_b32_e32 v4, v7, v4, vcc
	v_ashrrev_i32_e32 v5, 31, v4
	v_lshlrev_b64 v[4:5], 2, v[4:5]
	v_mov_b32_e32 v1, s16
	v_add_co_u32_e32 v12, vcc, s15, v4
	v_addc_co_u32_e32 v13, vcc, v1, v5, vcc
	global_load_dword v7, v[2:3], off
	global_load_dword v6, v[8:9], off
	;; [unrolled: 1-line block ×4, first 2 shown]
	s_andn2_b64 vcc, exec, s[2:3]
	s_cbranch_vccnz .LBB60_8
; %bb.6:
	s_add_u32 s0, s0, s10
	s_addc_u32 s1, s1, s11
	s_load_dword s9, s[0:1], 0x0
	s_branch .LBB60_9
.LBB60_7:
	s_mov_b64 s[12:13], 0
	s_branch .LBB60_2
.LBB60_8:
	s_mov_b32 s9, s6
.LBB60_9:
	s_load_dwordx2 s[10:11], s[4:5], 0x8
	s_load_dwordx4 s[44:47], s[4:5], 0x48
	v_lshrrev_b32_e32 v53, 6, v0
	v_bfe_u32 v1, v0, 4, 2
	v_lshl_or_b32 v8, v53, 2, v1
	v_and_b32_e32 v52, 15, v0
	v_cmp_lt_u32_e32 vcc, 4, v8
	v_cmp_lt_u32_e64 s[2:3], 7, v52
	v_lshlrev_b32_e32 v2, 3, v52
	v_cmp_gt_u32_e64 s[0:1], 8, v52
	s_or_b64 s[2:3], s[2:3], vcc
	s_and_saveexec_b64 s[12:13], s[2:3]
	s_xor_b64 s[2:3], exec, s[12:13]
; %bb.10:
	v_mov_b32_e32 v3, 0
                                        ; implicit-def: $vgpr8
; %bb.11:
	s_or_saveexec_b64 s[12:13], s[2:3]
	s_load_dwordx2 s[2:3], s[4:5], 0x10
	s_mul_i32 s29, s8, 5
	s_xor_b64 exec, exec, s[12:13]
	s_cbranch_execz .LBB60_13
; %bb.12:
	s_load_dwordx2 s[18:19], s[4:5], 0x0
	s_waitcnt lgkmcnt(0)
	s_ashr_i32 s20, s44, 31
	s_mul_hi_u32 s21, s9, s44
	s_mul_i32 s20, s9, s20
	s_add_i32 s21, s21, s20
	s_mul_i32 s20, s9, s44
	s_lshl_b64 s[20:21], s[20:21], 1
	v_add_lshl_u32 v10, v8, s29, 6
	s_add_u32 s9, s18, s20
	v_ashrrev_i32_e32 v11, 31, v10
	s_addc_u32 s18, s19, s21
	v_lshlrev_b64 v[10:11], 1, v[10:11]
	v_mov_b32_e32 v3, s18
	v_add_co_u32_e32 v9, vcc, s9, v10
	v_addc_co_u32_e32 v3, vcc, v3, v11, vcc
	v_lshlrev_b32_e32 v10, 1, v2
	v_add_co_u32_e32 v10, vcc, v9, v10
	v_addc_co_u32_e32 v11, vcc, 0, v3, vcc
	global_load_dwordx4 v[10:13], v[10:11], off
	v_and_b32_e32 v9, 3, v0
	v_lshlrev_b32_e32 v14, 9, v52
	v_lshlrev_b32_e32 v8, 5, v8
	;; [unrolled: 1-line block ×3, first 2 shown]
	v_and_b32_e32 v14, 0x1800, v14
	v_mov_b32_e32 v3, 0
	v_or3_b32 v8, v14, v9, v8
	s_waitcnt vmcnt(0)
	ds_write_b128 v8, v[10:13]
.LBB60_13:
	s_or_b64 exec, exec, s[12:13]
	s_waitcnt lgkmcnt(0)
	s_mul_i32 s8, s8, s46
	s_mov_b32 s9, 0
	s_lshl_b64 s[8:9], s[8:9], 1
	s_add_u32 s12, s10, s8
	s_addc_u32 s13, s11, s9
	s_waitcnt vmcnt(3)
	v_mad_i64_i32 v[8:9], s[10:11], v7, s45, 0
	v_lshlrev_b64 v[8:9], 1, v[8:9]
	v_mov_b32_e32 v7, s13
	v_add_co_u32_e32 v8, vcc, s12, v8
	v_addc_co_u32_e32 v7, vcc, v7, v9, vcc
	v_lshlrev_b64 v[42:43], 1, v[2:3]
	v_add_co_u32_e32 v2, vcc, v8, v42
	v_lshlrev_b32_e32 v24, 9, v1
	v_addc_co_u32_e32 v3, vcc, v7, v43, vcc
	v_add_co_u32_e32 v2, vcc, v2, v24
	v_addc_co_u32_e32 v3, vcc, 0, v3, vcc
	s_barrier
	global_load_dwordx4 v[38:41], v[2:3], off
	global_load_dwordx4 v[34:37], v[2:3], off offset:2048
	s_waitcnt vmcnt(4)
	v_mad_i64_i32 v[2:3], s[10:11], v6, s45, 0
	v_lshlrev_b64 v[2:3], 1, v[2:3]
	v_mov_b32_e32 v6, s13
	v_add_co_u32_e32 v2, vcc, s12, v2
	v_addc_co_u32_e32 v3, vcc, v6, v3, vcc
	v_mov_b32_e32 v6, 0x100
	v_lshl_or_b32 v18, v52, 4, v6
	v_add_co_u32_e32 v2, vcc, v2, v18
	v_addc_co_u32_e32 v3, vcc, 0, v3, vcc
	v_add_co_u32_e32 v2, vcc, v2, v24
	v_addc_co_u32_e32 v3, vcc, 0, v3, vcc
	global_load_dwordx4 v[30:33], v[2:3], off
	global_load_dwordx4 v[14:17], v[2:3], off offset:2048
	s_waitcnt vmcnt(5)
	v_mad_i64_i32 v[2:3], s[10:11], v5, s45, 0
	v_lshlrev_b64 v[2:3], 1, v[2:3]
	v_mov_b32_e32 v5, s13
	v_add_co_u32_e32 v2, vcc, s12, v2
	v_addc_co_u32_e32 v3, vcc, v5, v3, vcc
	v_add_co_u32_e32 v2, vcc, v2, v42
	v_addc_co_u32_e32 v3, vcc, v3, v43, vcc
	;; [unrolled: 2-line block ×3, first 2 shown]
	global_load_dwordx4 v[10:13], v[2:3], off
	global_load_dwordx4 v[6:9], v[2:3], off offset:2048
	s_waitcnt vmcnt(6)
	v_mad_i64_i32 v[2:3], s[10:11], v4, s45, 0
	v_lshlrev_b64 v[2:3], 1, v[2:3]
	v_mov_b32_e32 v4, s13
	v_add_co_u32_e32 v2, vcc, s12, v2
	v_addc_co_u32_e32 v3, vcc, v4, v3, vcc
	v_add_co_u32_e32 v2, vcc, v2, v18
	v_addc_co_u32_e32 v3, vcc, 0, v3, vcc
	;; [unrolled: 2-line block ×3, first 2 shown]
	global_load_dwordx4 v[2:5], v[22:23], off
	global_load_dwordx4 v[18:21], v[22:23], off offset:2048
	v_mul_lo_u16_e32 v22, 52, v52
	v_mov_b32_e32 v23, 5
	v_mul_lo_u16_sdwa v22, v22, v23 dst_sel:DWORD dst_unused:UNUSED_PAD src0_sel:BYTE_1 src1_sel:DWORD
	v_sub_u16_e32 v22, v52, v22
	v_and_b32_e32 v22, 0xff, v22
	v_lshl_add_u32 v22, v22, 5, v24
	ds_read_b128 v[26:29], v22
	ds_read_b128 v[22:25], v22 offset:2048
	v_and_b32_e32 v54, 63, v0
	v_cmp_gt_u32_e32 vcc, 5, v52
	v_mov_b32_e32 v50, 0
	s_and_saveexec_b64 s[10:11], vcc
	s_cbranch_execz .LBB60_15
; %bb.14:
	s_load_dwordx2 s[12:13], s[4:5], 0x40
	v_add_u32_e32 v44, s29, v52
	v_ashrrev_i32_e32 v45, 31, v44
	v_lshlrev_b64 v[44:45], 2, v[44:45]
	s_waitcnt lgkmcnt(0)
	v_mov_b32_e32 v46, s13
	v_add_co_u32_e32 v44, vcc, s12, v44
	v_addc_co_u32_e32 v45, vcc, v46, v45, vcc
	global_load_dword v50, v[44:45], off
.LBB60_15:
	s_or_b64 exec, exec, s[10:11]
	s_waitcnt vmcnt(7) lgkmcnt(1)
	v_mfma_f32_16x16x16f16 v[44:47], v[38:39], v[26:27], 0
	s_ashr_i32 s10, s14, 31
	s_lshr_b32 s11, s10, 27
	v_mov_b32_e32 v49, s16
	s_add_u32 s2, s2, s8
	s_addc_u32 s3, s3, s9
	s_load_dword s10, s[4:5], 0x1c
	s_mov_b32 s42, 0xff7fffff
	v_mfma_f32_16x16x16f16 v[38:41], v[40:41], v[28:29], v[44:47]
	s_waitcnt vmcnt(6) lgkmcnt(0)
	v_mfma_f32_16x16x16f16 v[38:41], v[34:35], v[22:23], v[38:41]
	s_nop 4
	v_and_or_b32 v46, v0, 48, s14
	v_add_u32_e32 v34, s11, v46
	v_ashrrev_i32_e32 v34, 5, v34
	v_mov_b32_e32 v47, s17
	v_cmp_gt_i32_e32 vcc, s33, v46
	v_cndmask_b32_e32 v34, v47, v34, vcc
	v_ashrrev_i32_e32 v35, 31, v34
	v_lshlrev_b64 v[44:45], 2, v[34:35]
	v_mfma_f32_16x16x16f16 v[34:37], v[36:37], v[24:25], v[38:41]
	s_nop 6
	v_mov_b32_e32 v39, s16
	v_add_co_u32_e32 v38, vcc, s15, v44
	v_addc_co_u32_e32 v39, vcc, v39, v45, vcc
	global_load_dword v48, v[38:39], off
	s_waitcnt vmcnt(6)
	v_mfma_f32_16x16x16f16 v[38:41], v[30:31], v[26:27], 0
	v_or_b32_e32 v44, 64, v46
	v_add_u32_e32 v30, s11, v44
	v_ashrrev_i32_e32 v30, 5, v30
	v_cmp_gt_i32_e32 vcc, s33, v44
	v_cndmask_b32_e32 v30, v47, v30, vcc
	v_ashrrev_i32_e32 v31, 31, v30
	v_lshlrev_b64 v[44:45], 2, v[30:31]
	v_mfma_f32_16x16x16f16 v[30:33], v[32:33], v[28:29], v[38:41]
	s_nop 6
	v_add_co_u32_e32 v38, vcc, s15, v44
	v_addc_co_u32_e32 v39, vcc, v49, v45, vcc
	global_load_dword v40, v[38:39], off
	v_or_b32_e32 v38, 0x80, v46
	v_add_u32_e32 v39, s11, v38
	v_ashrrev_i32_e32 v39, 5, v39
	v_cmp_gt_i32_e32 vcc, s33, v38
	v_cndmask_b32_e32 v38, v47, v39, vcc
	v_ashrrev_i32_e32 v39, 31, v38
	s_waitcnt vmcnt(6)
	v_mfma_f32_16x16x16f16 v[30:33], v[14:15], v[22:23], v[30:33]
	v_lshlrev_b64 v[14:15], 2, v[38:39]
	v_mov_b32_e32 v38, s16
	v_add_co_u32_e32 v14, vcc, s15, v14
	v_addc_co_u32_e32 v15, vcc, v38, v15, vcc
	global_load_dword v41, v[14:15], off
	v_mfma_f32_16x16x16f16 v[30:33], v[16:17], v[24:25], v[30:33]
	v_or_b32_e32 v38, 0xc0, v46
	v_cmp_gt_i32_e32 vcc, s33, v38
	v_mov_b32_e32 v44, s16
	s_waitcnt vmcnt(6)
	v_mfma_f32_16x16x16f16 v[14:17], v[10:11], v[26:27], 0
	v_add_u32_e32 v10, s11, v38
	v_ashrrev_i32_e32 v10, 5, v10
	v_cndmask_b32_e32 v10, v47, v10, vcc
	v_ashrrev_i32_e32 v11, 31, v10
	v_lshlrev_b64 v[38:39], 2, v[10:11]
	s_nop 0
	v_pk_mul_f32 v[46:47], s[10:11], v[30:31] op_sel_hi:[0,1]
	v_mfma_f32_16x16x16f16 v[10:13], v[12:13], v[28:29], v[14:17]
	s_nop 6
	v_add_co_u32_e32 v14, vcc, s15, v38
	s_waitcnt vmcnt(5)
	v_mfma_f32_16x16x16f16 v[10:13], v[6:7], v[22:23], v[10:13]
	v_addc_co_u32_e32 v15, vcc, v44, v39, vcc
	global_load_dword v51, v[14:15], off
	v_and_b32_e32 v14, 16, v0
	v_lshlrev_b32_e32 v14, 1, v14
	v_mov_b32_e32 v6, s3
	v_add_co_u32_e32 v7, vcc, s2, v14
	v_lshlrev_b32_e32 v14, 6, v52
	v_addc_co_u32_e32 v6, vcc, 0, v6, vcc
	v_lshl_or_b32 v14, v53, 10, v14
	v_add_co_u32_e32 v55, vcc, v7, v14
	v_addc_co_u32_e32 v60, vcc, 0, v6, vcc
	v_mfma_f32_16x16x16f16 v[56:59], v[8:9], v[24:25], v[10:13]
	s_waitcnt vmcnt(3)
	v_mad_i64_i32 v[6:7], s[2:3], v48, s45, 0
	v_pk_mul_f32 v[48:49], s[10:11], v[36:37] op_sel_hi:[0,1]
	v_pk_mul_f32 v[44:45], s[10:11], v[32:33] op_sel_hi:[0,1]
	s_waitcnt vmcnt(1)
	v_mad_i64_i32 v[38:39], s[2:3], v41, s45, 0
	s_nop 0
	v_lshlrev_b64 v[10:11], 1, v[6:7]
	v_mfma_f32_16x16x16f16 v[6:9], v[2:3], v[26:27], 0
	v_add_co_u32_e32 v2, vcc, v55, v10
	v_addc_co_u32_e32 v3, vcc, v60, v11, vcc
	global_load_dwordx4 v[14:17], v[2:3], off
	global_load_dwordx4 v[10:13], v[2:3], off offset:16
	v_mad_i64_i32 v[2:3], s[2:3], v40, s45, 0
	v_mfma_f32_16x16x16f16 v[26:29], v[4:5], v[28:29], v[6:9]
	v_lshlrev_b64 v[2:3], 1, v[2:3]
	v_add_co_u32_e32 v2, vcc, v55, v2
	v_addc_co_u32_e32 v3, vcc, v60, v3, vcc
	v_lshlrev_b64 v[38:39], 1, v[38:39]
	v_pk_mul_f32 v[40:41], s[10:11], v[56:57] op_sel_hi:[0,1]
	v_mfma_f32_16x16x16f16 v[26:29], v[18:19], v[22:23], v[26:29]
	v_pk_mul_f32 v[18:19], s[10:11], v[34:35] op_sel_hi:[0,1]
	v_add_co_u32_e32 v22, vcc, v55, v38
	v_addc_co_u32_e32 v23, vcc, v60, v39, vcc
	v_pk_mul_f32 v[38:39], s[10:11], v[58:59] op_sel_hi:[0,1]
	global_load_dwordx4 v[6:9], v[2:3], off
	s_nop 0
	global_load_dwordx4 v[2:5], v[2:3], off offset:16
	v_mfma_f32_16x16x16f16 v[24:27], v[20:21], v[24:25], v[26:29]
	v_and_b32_e32 v20, 0xc0, v0
	v_add_u32_e32 v20, s14, v20
	v_lshl_or_b32 v20, v1, 2, v20
	v_or_b32_e32 v21, 1, v20
	v_cmp_gt_i32_e64 s[30:31], s33, v20
	v_cmp_gt_i32_e64 s[34:35], s33, v21
	s_nop 4
	v_pk_mul_f32 v[36:37], s[10:11], v[24:25] op_sel_hi:[0,1]
	v_subrev_u32_e32 v24, s33, v21
	v_pk_mul_f32 v[34:35], s[10:11], v[26:27] op_sel_hi:[0,1]
	v_add_u32_e32 v26, 1, v24
	v_add_u32_e32 v27, 2, v24
	v_cvt_f32_i32_e32 v25, v24
	v_cvt_f32_i32_e32 v26, v26
	;; [unrolled: 1-line block ×3, first 2 shown]
	v_add_u32_e32 v28, 3, v24
	v_fma_f32 v18, v50, v25, v18
	v_fmac_f32_e32 v19, v50, v26
	v_fma_f32 v48, v50, v27, v48
	v_add_u32_e32 v25, 16, v24
	v_add_u32_e32 v26, 17, v24
	;; [unrolled: 1-line block ×3, first 2 shown]
	v_cvt_f32_i32_e32 v28, v28
	v_cvt_f32_i32_e32 v25, v25
	;; [unrolled: 1-line block ×4, first 2 shown]
	v_fmac_f32_e32 v49, v50, v28
	v_add_u32_e32 v28, 19, v24
	v_fma_f32 v46, v50, v25, v46
	v_fmac_f32_e32 v47, v50, v26
	v_fma_f32 v44, v50, v27, v44
	v_add_u32_e32 v25, 32, v24
	v_add_u32_e32 v26, 33, v24
	;; [unrolled: 1-line block ×3, first 2 shown]
	v_cvt_f32_i32_e32 v28, v28
	v_cvt_f32_i32_e32 v25, v25
	;; [unrolled: 1-line block ×4, first 2 shown]
	v_fmac_f32_e32 v45, v50, v28
	v_add_u32_e32 v28, 35, v24
	v_fma_f32 v40, v50, v25, v40
	v_fmac_f32_e32 v41, v50, v26
	v_fma_f32 v38, v50, v27, v38
	v_add_u32_e32 v25, 48, v24
	v_add_u32_e32 v26, 49, v24
	;; [unrolled: 1-line block ×4, first 2 shown]
	v_cvt_f32_i32_e32 v24, v24
	v_cvt_f32_i32_e32 v25, v25
	;; [unrolled: 1-line block ×4, first 2 shown]
	v_fmac_f32_e32 v35, v50, v24
	v_mov_b32_e32 v24, 0xff7fffff
	v_fma_f32 v36, v50, v25, v36
	v_cndmask_b32_e64 v25, v24, v18, s[30:31]
	v_cndmask_b32_e64 v21, v24, v19, s[34:35]
	v_fmac_f32_e32 v37, v50, v26
	v_max3_f32 v21, v25, s42, v21
	v_or_b32_e32 v25, 2, v20
	v_or_b32_e32 v26, 3, v20
	v_cmp_gt_i32_e64 s[36:37], s33, v25
	v_cmp_gt_i32_e64 s[38:39], s33, v26
	v_cndmask_b32_e64 v25, v24, v48, s[36:37]
	v_cndmask_b32_e64 v26, v24, v49, s[38:39]
	v_max3_f32 v21, v21, v25, v26
	v_or_b32_e32 v25, 16, v20
	v_or_b32_e32 v26, 17, v20
	v_cmp_gt_i32_e64 s[24:25], s33, v25
	v_cmp_gt_i32_e64 s[26:27], s33, v26
	v_cndmask_b32_e64 v25, v24, v46, s[24:25]
	v_cndmask_b32_e64 v26, v24, v47, s[26:27]
	v_max3_f32 v21, v21, v25, v26
	v_or_b32_e32 v25, 18, v20
	v_or_b32_e32 v26, 19, v20
	v_cmp_gt_i32_e64 s[20:21], s33, v25
	v_cmp_gt_i32_e64 s[22:23], s33, v26
	v_cndmask_b32_e64 v25, v24, v44, s[20:21]
	v_cndmask_b32_e64 v26, v24, v45, s[22:23]
	v_max3_f32 v21, v21, v25, v26
	v_or_b32_e32 v25, 32, v20
	v_or_b32_e32 v26, 33, v20
	v_cmp_gt_i32_e64 s[16:17], s33, v25
	v_cmp_gt_i32_e64 s[18:19], s33, v26
	v_cndmask_b32_e64 v25, v24, v40, s[16:17]
	v_cndmask_b32_e64 v26, v24, v41, s[18:19]
	v_max3_f32 v21, v21, v25, v26
	v_or_b32_e32 v25, 34, v20
	v_or_b32_e32 v26, 35, v20
	v_fmac_f32_e32 v39, v50, v28
	v_cmp_gt_i32_e64 s[12:13], s33, v25
	v_cmp_gt_i32_e64 s[14:15], s33, v26
	v_cndmask_b32_e64 v25, v24, v38, s[12:13]
	v_cndmask_b32_e64 v26, v24, v39, s[14:15]
	v_cvt_f32_i32_e32 v27, v27
	v_max3_f32 v21, v21, v25, v26
	v_or_b32_e32 v25, 48, v20
	v_or_b32_e32 v26, 49, v20
	v_cmp_gt_i32_e64 s[8:9], s33, v25
	v_cmp_gt_i32_e64 s[10:11], s33, v26
	v_cndmask_b32_e64 v25, v24, v36, s[8:9]
	v_cndmask_b32_e64 v26, v24, v37, s[10:11]
	v_max3_f32 v21, v21, v25, v26
	v_or_b32_e32 v25, 50, v20
	v_or_b32_e32 v20, 51, v20
	v_fma_f32 v34, v50, v27, v34
	v_cmp_gt_i32_e32 vcc, s33, v25
	v_cmp_gt_i32_e64 s[2:3], s33, v20
	v_cndmask_b32_e32 v25, v24, v34, vcc
	v_cndmask_b32_e64 v20, v24, v35, s[2:3]
	v_max3_f32 v26, v21, v25, v20
	v_mbcnt_lo_u32_b32 v20, -1, 0
	v_mbcnt_hi_u32_b32 v27, -1, v20
	v_and_b32_e32 v20, 64, v27
	v_add_u32_e32 v28, 64, v20
	v_xor_b32_e32 v20, 32, v27
	v_cmp_lt_i32_e64 s[40:41], v20, v28
	v_cndmask_b32_e64 v20, v27, v20, s[40:41]
	v_lshlrev_b32_e32 v56, 2, v20
	ds_bpermute_b32 v29, v56, v26
	s_waitcnt vmcnt(4)
	v_mad_i64_i32 v[20:21], s[40:41], v51, s45, 0
	v_lshlrev_b64 v[20:21], 1, v[20:21]
	global_load_dwordx4 v[30:33], v[22:23], off
	s_nop 0
	global_load_dwordx4 v[22:25], v[22:23], off offset:16
	s_waitcnt lgkmcnt(0)
	v_max_f32_e32 v29, v29, v29
	v_max_f32_e32 v26, v26, v29
	v_xor_b32_e32 v29, 16, v27
	v_cmp_lt_i32_e64 s[40:41], v29, v28
	v_cndmask_b32_e64 v27, v27, v29, s[40:41]
	v_lshlrev_b32_e32 v58, 2, v27
	ds_bpermute_b32 v27, v58, v26
	v_add_co_u32_e64 v20, s[40:41], v55, v20
	v_addc_co_u32_e64 v21, s[40:41], v60, v21, s[40:41]
	s_waitcnt lgkmcnt(0)
	v_max_f32_e32 v27, v27, v27
	v_max_f32_e32 v55, v26, v27
	v_sub_f32_e32 v18, v18, v55
	v_mul_f32_e32 v18, 0x3fb8aa3b, v18
	v_exp_f32_e32 v50, v18
	v_sub_f32_e32 v18, v19, v55
	v_mul_f32_e32 v18, 0x3fb8aa3b, v18
	v_exp_f32_e32 v51, v18
	global_load_dwordx4 v[26:29], v[20:21], off
	s_nop 0
	global_load_dwordx4 v[18:21], v[20:21], off offset:16
	v_sub_f32_e32 v48, v48, v55
	v_mul_f32_e32 v48, 0x3fb8aa3b, v48
	v_sub_f32_e32 v49, v49, v55
	v_exp_f32_e32 v48, v48
	v_mul_f32_e32 v49, 0x3fb8aa3b, v49
	v_sub_f32_e32 v46, v46, v55
	v_exp_f32_e32 v49, v49
	v_mul_f32_e32 v46, 0x3fb8aa3b, v46
	v_sub_f32_e32 v47, v47, v55
	v_cndmask_b32_e64 v50, 0, v50, s[30:31]
	v_exp_f32_e32 v46, v46
	v_mul_f32_e32 v47, 0x3fb8aa3b, v47
	v_sub_f32_e32 v44, v44, v55
	v_add_f32_e32 v57, 0, v50
	v_cndmask_b32_e64 v51, 0, v51, s[34:35]
	v_exp_f32_e32 v47, v47
	v_mul_f32_e32 v44, 0x3fb8aa3b, v44
	v_sub_f32_e32 v45, v45, v55
	v_add_f32_e32 v57, v57, v51
	v_cndmask_b32_e64 v48, 0, v48, s[36:37]
	v_exp_f32_e32 v44, v44
	v_mul_f32_e32 v45, 0x3fb8aa3b, v45
	v_sub_f32_e32 v40, v40, v55
	v_add_f32_e32 v57, v57, v48
	v_cndmask_b32_e64 v49, 0, v49, s[38:39]
	v_exp_f32_e32 v45, v45
	v_mul_f32_e32 v40, 0x3fb8aa3b, v40
	v_sub_f32_e32 v41, v41, v55
	v_add_f32_e32 v57, v57, v49
	v_cndmask_b32_e64 v46, 0, v46, s[24:25]
	v_exp_f32_e32 v40, v40
	v_mul_f32_e32 v41, 0x3fb8aa3b, v41
	v_sub_f32_e32 v38, v38, v55
	v_add_f32_e32 v57, v57, v46
	v_cndmask_b32_e64 v47, 0, v47, s[26:27]
	v_exp_f32_e32 v41, v41
	v_mul_f32_e32 v38, 0x3fb8aa3b, v38
	v_sub_f32_e32 v39, v39, v55
	v_add_f32_e32 v57, v57, v47
	v_cndmask_b32_e64 v44, 0, v44, s[20:21]
	v_exp_f32_e32 v38, v38
	v_mul_f32_e32 v39, 0x3fb8aa3b, v39
	v_sub_f32_e32 v36, v36, v55
	v_add_f32_e32 v57, v57, v44
	v_cndmask_b32_e64 v45, 0, v45, s[22:23]
	v_exp_f32_e32 v39, v39
	v_mul_f32_e32 v36, 0x3fb8aa3b, v36
	v_sub_f32_e32 v37, v37, v55
	v_add_f32_e32 v57, v57, v45
	v_cndmask_b32_e64 v40, 0, v40, s[16:17]
	v_exp_f32_e32 v36, v36
	v_mul_f32_e32 v37, 0x3fb8aa3b, v37
	v_sub_f32_e32 v34, v34, v55
	v_add_f32_e32 v57, v57, v40
	v_cndmask_b32_e64 v41, 0, v41, s[18:19]
	v_exp_f32_e32 v37, v37
	v_mul_f32_e32 v34, 0x3fb8aa3b, v34
	v_sub_f32_e32 v35, v35, v55
	v_add_f32_e32 v57, v57, v41
	v_cndmask_b32_e64 v38, 0, v38, s[12:13]
	v_exp_f32_e32 v34, v34
	v_mul_f32_e32 v35, 0x3fb8aa3b, v35
	v_add_f32_e32 v57, v57, v38
	v_cndmask_b32_e64 v39, 0, v39, s[14:15]
	v_exp_f32_e32 v35, v35
	v_add_f32_e32 v57, v57, v39
	v_cndmask_b32_e64 v36, 0, v36, s[8:9]
	v_add_f32_e32 v57, v57, v36
	v_cndmask_b32_e64 v37, 0, v37, s[10:11]
	v_add_f32_e32 v57, v57, v37
	v_cndmask_b32_e32 v34, 0, v34, vcc
	v_add_f32_e32 v57, v57, v34
	v_cndmask_b32_e64 v35, 0, v35, s[2:3]
	v_add_f32_e32 v57, v57, v35
	ds_bpermute_b32 v56, v56, v57
	s_load_dword s11, s[4:5], 0x98
	v_cmp_gt_u32_e64 s[2:3], 16, v54
	s_waitcnt lgkmcnt(0)
	s_barrier
	v_add_f32_e32 v57, v57, v56
	ds_bpermute_b32 v58, v58, v57
	v_lshlrev_b32_e32 v56, 2, v52
	s_waitcnt lgkmcnt(0)
	s_and_saveexec_b64 s[8:9], s[2:3]
	s_cbranch_execz .LBB60_17
; %bb.16:
	v_add_f32_e32 v54, v57, v58
	v_lshl_or_b32 v57, v53, 6, v56
	ds_write2st64_b32 v57, v55, v54 offset1:1
.LBB60_17:
	s_or_b64 exec, exec, s[8:9]
	s_load_dword s10, s[4:5], 0x94
	s_waitcnt lgkmcnt(0)
	s_barrier
	ds_read2_b32 v[58:59], v56 offset1:16
	ds_read2_b32 v[60:61], v56 offset0:32 offset1:48
	ds_read2_b32 v[62:63], v56 offset0:64 offset1:80
	;; [unrolled: 1-line block ×3, first 2 shown]
	s_waitcnt lgkmcnt(0)
	v_max3_f32 v54, v58, s42, v59
	v_max3_f32 v54, v54, v60, v61
	v_sub_f32_e32 v55, v58, v54
	v_mul_f32_e32 v55, 0x3fb8aa3b, v55
	v_exp_f32_e32 v58, v55
	v_sub_f32_e32 v55, v59, v54
	v_mul_f32_e32 v55, 0x3fb8aa3b, v55
	v_exp_f32_e32 v59, v55
	;; [unrolled: 3-line block ×4, first 2 shown]
	v_fma_f32 v55, v58, v62, 0
	v_fmac_f32_e32 v55, v59, v63
	v_fmac_f32_e32 v55, v60, v56
	;; [unrolled: 1-line block ×3, first 2 shown]
	v_add_f32_e32 v56, 0x358637bd, v55
	v_div_scale_f32 v57, s[8:9], v56, v56, 1.0
	v_rcp_f32_e32 v62, v57
	s_barrier
	s_mul_i32 s11, s11, 5
	v_fma_f32 v63, -v57, v62, 1.0
	v_fmac_f32_e32 v62, v63, v62
	v_div_scale_f32 v63, vcc, 1.0, v56, 1.0
	v_mul_f32_e32 v64, v63, v62
	v_fma_f32 v65, -v57, v64, v63
	v_fmac_f32_e32 v64, v65, v62
	v_fma_f32 v57, -v57, v64, v63
	v_div_fmas_f32 v57, v57, v62, v64
	v_cmp_eq_u32_e32 vcc, 1, v53
	v_div_fixup_f32 v56, v57, v56, 1.0
	v_cndmask_b32_e32 v57, v58, v59, vcc
	v_cmp_eq_u32_e32 vcc, 2, v53
	v_cndmask_b32_e32 v57, v57, v60, vcc
	v_cmp_eq_u32_e32 vcc, 3, v53
	v_cndmask_b32_e32 v57, v57, v61, vcc
	v_mul_f32_e32 v56, v57, v56
	v_pk_mul_f32 v[48:49], v[56:57], v[48:49] op_sel_hi:[0,1]
	v_pk_mul_f32 v[50:51], v[56:57], v[50:51] op_sel_hi:[0,1]
	v_cvt_f16_f32_e32 v50, v50
	v_cvt_f16_f32_e32 v51, v51
	;; [unrolled: 1-line block ×4, first 2 shown]
	v_pk_mul_f32 v[44:45], v[56:57], v[44:45] op_sel_hi:[0,1]
	v_pk_mul_f32 v[46:47], v[56:57], v[46:47] op_sel_hi:[0,1]
	v_cvt_f16_f32_e32 v46, v46
	v_cvt_f16_f32_e32 v47, v47
	v_cvt_f16_f32_e32 v57, v44
	v_cvt_f16_f32_e32 v45, v45
	v_pack_b32_f16 v50, v50, v51
	v_pack_b32_f16 v51, v48, v49
	v_lshlrev_b32_e32 v49, 3, v1
	v_lshlrev_b32_e32 v48, 5, v52
	;; [unrolled: 1-line block ×3, first 2 shown]
	v_or3_b32 v44, v44, v48, v49
	v_pack_b32_f16 v46, v46, v47
	v_pack_b32_f16 v47, v57, v45
	v_pk_mul_f32 v[38:39], v[56:57], v[38:39] op_sel_hi:[0,1]
	v_pk_mul_f32 v[40:41], v[56:57], v[40:41] op_sel_hi:[0,1]
	;; [unrolled: 1-line block ×4, first 2 shown]
	ds_write2st64_b64 v44, v[50:51], v[46:47] offset1:1
	v_cvt_f16_f32_e32 v40, v40
	v_cvt_f16_f32_e32 v41, v41
	;; [unrolled: 1-line block ×8, first 2 shown]
	v_pack_b32_f16 v34, v40, v41
	v_pack_b32_f16 v35, v38, v39
	;; [unrolled: 1-line block ×4, first 2 shown]
	v_cmp_gt_u32_e32 vcc, 5, v0
	ds_write2st64_b64 v44, v[34:35], v[36:37] offset0:2 offset1:3
	s_and_saveexec_b64 s[8:9], vcc
	s_cbranch_execz .LBB60_19
; %bb.18:
	v_add_co_u32_e32 v36, vcc, s29, v52
	v_addc_co_u32_e64 v37, s[16:17], 0, 0, vcc
	v_mov_b32_e32 v34, s11
	v_mov_b32_e32 v35, 0
	v_mad_u64_u32 v[36:37], s[16:17], s6, v34, v[36:37]
	v_mov_b32_e32 v34, s28
	s_load_dwordx4 s[12:15], s[4:5], 0x58
	s_mul_i32 s7, s7, s11
	v_mad_u64_u32 v[34:35], s[16:17], v36, s10, v[34:35]
	v_add_u32_e32 v37, s7, v37
	v_mov_b32_e32 v36, v35
	v_mad_u64_u32 v[36:37], s[16:17], v37, s10, v[36:37]
	v_mov_b32_e32 v35, v36
	v_lshlrev_b64 v[34:35], 2, v[34:35]
	s_waitcnt lgkmcnt(0)
	v_mov_b32_e32 v37, s15
	v_add_co_u32_e32 v36, vcc, s14, v34
	v_addc_co_u32_e32 v37, vcc, v37, v35, vcc
	global_store_dword v[36:37], v54, off
	v_mov_b32_e32 v36, s13
	v_add_co_u32_e32 v34, vcc, s12, v34
	v_addc_co_u32_e32 v35, vcc, v36, v35, vcc
	global_store_dword v[34:35], v55, off
.LBB60_19:
	s_or_b64 exec, exec, s[8:9]
	v_lshl_or_b32 v45, v1, 9, v48
	s_waitcnt lgkmcnt(0)
	s_barrier
	ds_read_b128 v[34:37], v45
	ds_read_b128 v[38:41], v45 offset:16
	s_waitcnt vmcnt(7) lgkmcnt(1)
	v_mfma_f32_16x16x16f16 v[46:49], v[14:15], v[34:35], 0
	v_cmp_gt_u32_e32 vcc, 64, v0
	s_mov_b32 s7, 0
	s_and_b64 s[0:1], vcc, s[0:1]
	v_mfma_f32_16x16x16f16 v[14:17], v[16:17], v[36:37], v[46:49]
	s_waitcnt vmcnt(6) lgkmcnt(0)
	v_mfma_f32_16x16x16f16 v[14:17], v[10:11], v[38:39], v[14:17]
	v_mfma_f32_16x16x16f16 v[10:13], v[12:13], v[40:41], v[14:17]
	s_nop 7
	s_nop 1
	ds_read_b128 v[14:17], v45 offset:2048
	ds_read_b128 v[34:37], v45 offset:2064
	s_waitcnt vmcnt(5) lgkmcnt(1)
	v_mfma_f32_16x16x16f16 v[10:13], v[6:7], v[14:15], v[10:13]
	v_mfma_f32_16x16x16f16 v[6:9], v[8:9], v[16:17], v[10:13]
	s_waitcnt vmcnt(4) lgkmcnt(0)
	v_mfma_f32_16x16x16f16 v[6:9], v[2:3], v[34:35], v[6:9]
	v_mfma_f32_16x16x16f16 v[2:5], v[4:5], v[36:37], v[6:9]
	s_nop 7
	s_nop 1
	ds_read_b128 v[6:9], v45 offset:4096
	ds_read_b128 v[10:13], v45 offset:4112
	s_waitcnt vmcnt(3) lgkmcnt(1)
	v_mfma_f32_16x16x16f16 v[2:5], v[30:31], v[6:7], v[2:5]
	v_mfma_f32_16x16x16f16 v[2:5], v[32:33], v[8:9], v[2:5]
	s_waitcnt vmcnt(2) lgkmcnt(0)
	v_mfma_f32_16x16x16f16 v[2:5], v[22:23], v[10:11], v[2:5]
	v_mfma_f32_16x16x16f16 v[2:5], v[24:25], v[12:13], v[2:5]
	ds_read_b128 v[6:9], v45 offset:6144
	ds_read_b128 v[10:13], v45 offset:6160
	s_waitcnt lgkmcnt(0)
	s_barrier
	s_waitcnt vmcnt(1)
	v_mfma_f32_16x16x16f16 v[2:5], v[26:27], v[6:7], v[2:5]
	v_mfma_f32_16x16x16f16 v[2:5], v[28:29], v[8:9], v[2:5]
	s_waitcnt vmcnt(0)
	v_mfma_f32_16x16x16f16 v[2:5], v[18:19], v[10:11], v[2:5]
	v_mfma_f32_16x16x16f16 v[2:5], v[20:21], v[12:13], v[2:5]
	s_nop 7
	s_nop 2
	v_cvt_f16_f32_e32 v2, v2
	v_cvt_f16_f32_e32 v3, v3
	;; [unrolled: 1-line block ×4, first 2 shown]
	v_pack_b32_f16 v2, v2, v3
	v_pack_b32_f16 v3, v4, v5
	ds_write_b64 v44, v[2:3]
	s_waitcnt lgkmcnt(0)
	s_barrier
	s_and_saveexec_b64 s[8:9], s[0:1]
	s_cbranch_execz .LBB60_22
; %bb.20:
	s_load_dwordx2 s[4:5], s[4:5], 0x68
	s_lshl_b32 s0, s10, 6
	s_mul_i32 s1, s11, s6
	s_mul_hi_u32 s9, s1, s0
	s_mul_i32 s8, s1, s0
	s_lshl_b64 s[8:9], s[8:9], 1
	s_waitcnt lgkmcnt(0)
	s_add_u32 s1, s4, s8
	v_lshlrev_b32_e32 v2, 10, v0
	v_lshlrev_b32_e32 v0, 4, v0
	s_addc_u32 s8, s5, s9
	s_lshl_b32 s6, s28, 6
	v_and_b32_e32 v2, 0x1800, v2
	v_lshlrev_b32_e32 v3, 5, v1
	v_and_b32_e32 v0, 16, v0
	s_lshl_b64 s[4:5], s[6:7], 1
	v_or3_b32 v0, v2, v3, v0
	s_add_u32 s1, s1, s4
	s_addc_u32 s4, s8, s5
	ds_read_b128 v[4:7], v0
	v_add_u32_e32 v8, s29, v1
	v_mov_b32_e32 v3, s4
	v_add_co_u32_e32 v2, vcc, s1, v42
	v_mad_u64_u32 v[8:9], s[4:5], v8, s0, 0
	v_addc_co_u32_e32 v3, vcc, v3, v43, vcc
	v_lshlrev_b64 v[8:9], 1, v[8:9]
	v_add_co_u32_e32 v8, vcc, v2, v8
	v_addc_co_u32_e32 v9, vcc, v3, v9, vcc
	s_waitcnt lgkmcnt(0)
	global_store_dwordx4 v[8:9], v[4:7], off
	s_and_b64 exec, exec, s[2:3]
	s_cbranch_execz .LBB60_22
; %bb.21:
	ds_read_b128 v[4:7], v0 offset:128
	v_add3_u32 v0, s29, v1, 4
	v_mad_u64_u32 v[0:1], s[0:1], v0, s0, 0
	v_lshlrev_b64 v[0:1], 1, v[0:1]
	v_add_co_u32_e32 v0, vcc, v2, v0
	v_addc_co_u32_e32 v1, vcc, v3, v1, vcc
	s_waitcnt lgkmcnt(0)
	global_store_dwordx4 v[0:1], v[4:7], off
.LBB60_22:
	s_endpgm
	.section	.rodata,"a",@progbits
	.p2align	6, 0x0
	.amdhsa_kernel _Z39paged_attention_ll4mi_QKV_mfma16_kernelIDF16_DF16_LN4vllm18Fp8KVCacheDataTypeE0EDF16_Li32ELi64ELi256ELb1ELi5EL8MFMAType0EEvPKT_PKT0_S8_ifPKiSA_SA_iPKfiiiPfSD_PS3_PT2_iSC_SC_
		.amdhsa_group_segment_fixed_size 8192
		.amdhsa_private_segment_fixed_size 0
		.amdhsa_kernarg_size 400
		.amdhsa_user_sgpr_count 6
		.amdhsa_user_sgpr_private_segment_buffer 1
		.amdhsa_user_sgpr_dispatch_ptr 0
		.amdhsa_user_sgpr_queue_ptr 0
		.amdhsa_user_sgpr_kernarg_segment_ptr 1
		.amdhsa_user_sgpr_dispatch_id 0
		.amdhsa_user_sgpr_flat_scratch_init 0
		.amdhsa_user_sgpr_kernarg_preload_length 0
		.amdhsa_user_sgpr_kernarg_preload_offset 0
		.amdhsa_user_sgpr_private_segment_size 0
		.amdhsa_uses_dynamic_stack 0
		.amdhsa_system_sgpr_private_segment_wavefront_offset 0
		.amdhsa_system_sgpr_workgroup_id_x 1
		.amdhsa_system_sgpr_workgroup_id_y 1
		.amdhsa_system_sgpr_workgroup_id_z 1
		.amdhsa_system_sgpr_workgroup_info 0
		.amdhsa_system_vgpr_workitem_id 0
		.amdhsa_next_free_vgpr 66
		.amdhsa_next_free_sgpr 48
		.amdhsa_accum_offset 68
		.amdhsa_reserve_vcc 1
		.amdhsa_reserve_flat_scratch 0
		.amdhsa_float_round_mode_32 0
		.amdhsa_float_round_mode_16_64 0
		.amdhsa_float_denorm_mode_32 3
		.amdhsa_float_denorm_mode_16_64 3
		.amdhsa_dx10_clamp 1
		.amdhsa_ieee_mode 1
		.amdhsa_fp16_overflow 0
		.amdhsa_tg_split 0
		.amdhsa_exception_fp_ieee_invalid_op 0
		.amdhsa_exception_fp_denorm_src 0
		.amdhsa_exception_fp_ieee_div_zero 0
		.amdhsa_exception_fp_ieee_overflow 0
		.amdhsa_exception_fp_ieee_underflow 0
		.amdhsa_exception_fp_ieee_inexact 0
		.amdhsa_exception_int_div_zero 0
	.end_amdhsa_kernel
	.section	.text._Z39paged_attention_ll4mi_QKV_mfma16_kernelIDF16_DF16_LN4vllm18Fp8KVCacheDataTypeE0EDF16_Li32ELi64ELi256ELb1ELi5EL8MFMAType0EEvPKT_PKT0_S8_ifPKiSA_SA_iPKfiiiPfSD_PS3_PT2_iSC_SC_,"axG",@progbits,_Z39paged_attention_ll4mi_QKV_mfma16_kernelIDF16_DF16_LN4vllm18Fp8KVCacheDataTypeE0EDF16_Li32ELi64ELi256ELb1ELi5EL8MFMAType0EEvPKT_PKT0_S8_ifPKiSA_SA_iPKfiiiPfSD_PS3_PT2_iSC_SC_,comdat
.Lfunc_end60:
	.size	_Z39paged_attention_ll4mi_QKV_mfma16_kernelIDF16_DF16_LN4vllm18Fp8KVCacheDataTypeE0EDF16_Li32ELi64ELi256ELb1ELi5EL8MFMAType0EEvPKT_PKT0_S8_ifPKiSA_SA_iPKfiiiPfSD_PS3_PT2_iSC_SC_, .Lfunc_end60-_Z39paged_attention_ll4mi_QKV_mfma16_kernelIDF16_DF16_LN4vllm18Fp8KVCacheDataTypeE0EDF16_Li32ELi64ELi256ELb1ELi5EL8MFMAType0EEvPKT_PKT0_S8_ifPKiSA_SA_iPKfiiiPfSD_PS3_PT2_iSC_SC_
                                        ; -- End function
	.section	.AMDGPU.csdata,"",@progbits
; Kernel info:
; codeLenInByte = 4380
; NumSgprs: 52
; NumVgprs: 66
; NumAgprs: 0
; TotalNumVgprs: 66
; ScratchSize: 0
; MemoryBound: 0
; FloatMode: 240
; IeeeMode: 1
; LDSByteSize: 8192 bytes/workgroup (compile time only)
; SGPRBlocks: 6
; VGPRBlocks: 8
; NumSGPRsForWavesPerEU: 52
; NumVGPRsForWavesPerEU: 66
; AccumOffset: 68
; Occupancy: 7
; WaveLimiterHint : 1
; COMPUTE_PGM_RSRC2:SCRATCH_EN: 0
; COMPUTE_PGM_RSRC2:USER_SGPR: 6
; COMPUTE_PGM_RSRC2:TRAP_HANDLER: 0
; COMPUTE_PGM_RSRC2:TGID_X_EN: 1
; COMPUTE_PGM_RSRC2:TGID_Y_EN: 1
; COMPUTE_PGM_RSRC2:TGID_Z_EN: 1
; COMPUTE_PGM_RSRC2:TIDIG_COMP_CNT: 0
; COMPUTE_PGM_RSRC3_GFX90A:ACCUM_OFFSET: 16
; COMPUTE_PGM_RSRC3_GFX90A:TG_SPLIT: 0
	.section	.text._Z39paged_attention_ll4mi_QKV_mfma16_kernelIDF16_DF16_LN4vllm18Fp8KVCacheDataTypeE0EDF16_Li32ELi64ELi256ELb1ELi6EL8MFMAType0EEvPKT_PKT0_S8_ifPKiSA_SA_iPKfiiiPfSD_PS3_PT2_iSC_SC_,"axG",@progbits,_Z39paged_attention_ll4mi_QKV_mfma16_kernelIDF16_DF16_LN4vllm18Fp8KVCacheDataTypeE0EDF16_Li32ELi64ELi256ELb1ELi6EL8MFMAType0EEvPKT_PKT0_S8_ifPKiSA_SA_iPKfiiiPfSD_PS3_PT2_iSC_SC_,comdat
	.protected	_Z39paged_attention_ll4mi_QKV_mfma16_kernelIDF16_DF16_LN4vllm18Fp8KVCacheDataTypeE0EDF16_Li32ELi64ELi256ELb1ELi6EL8MFMAType0EEvPKT_PKT0_S8_ifPKiSA_SA_iPKfiiiPfSD_PS3_PT2_iSC_SC_ ; -- Begin function _Z39paged_attention_ll4mi_QKV_mfma16_kernelIDF16_DF16_LN4vllm18Fp8KVCacheDataTypeE0EDF16_Li32ELi64ELi256ELb1ELi6EL8MFMAType0EEvPKT_PKT0_S8_ifPKiSA_SA_iPKfiiiPfSD_PS3_PT2_iSC_SC_
	.globl	_Z39paged_attention_ll4mi_QKV_mfma16_kernelIDF16_DF16_LN4vllm18Fp8KVCacheDataTypeE0EDF16_Li32ELi64ELi256ELb1ELi6EL8MFMAType0EEvPKT_PKT0_S8_ifPKiSA_SA_iPKfiiiPfSD_PS3_PT2_iSC_SC_
	.p2align	8
	.type	_Z39paged_attention_ll4mi_QKV_mfma16_kernelIDF16_DF16_LN4vllm18Fp8KVCacheDataTypeE0EDF16_Li32ELi64ELi256ELb1ELi6EL8MFMAType0EEvPKT_PKT0_S8_ifPKiSA_SA_iPKfiiiPfSD_PS3_PT2_iSC_SC_,@function
_Z39paged_attention_ll4mi_QKV_mfma16_kernelIDF16_DF16_LN4vllm18Fp8KVCacheDataTypeE0EDF16_Li32ELi64ELi256ELb1ELi6EL8MFMAType0EEvPKT_PKT0_S8_ifPKiSA_SA_iPKfiiiPfSD_PS3_PT2_iSC_SC_: ; @_Z39paged_attention_ll4mi_QKV_mfma16_kernelIDF16_DF16_LN4vllm18Fp8KVCacheDataTypeE0EDF16_Li32ELi64ELi256ELb1ELi6EL8MFMAType0EEvPKT_PKT0_S8_ifPKiSA_SA_iPKfiiiPfSD_PS3_PT2_iSC_SC_
; %bb.0:
	s_load_dwordx2 s[0:1], s[4:5], 0x30
	s_mov_b32 s28, s7
	s_mov_b64 s[10:11], 0
	s_waitcnt lgkmcnt(0)
	s_cmp_lg_u64 s[0:1], 0
	s_cselect_b64 s[2:3], -1, 0
	s_and_b64 vcc, exec, s[2:3]
	s_cbranch_vccz .LBB61_7
; %bb.1:
	s_add_i32 s12, s6, 1
	s_mov_b32 s13, 0
	s_lshl_b64 s[14:15], s[12:13], 2
	s_add_u32 s14, s0, s14
	s_mov_b32 s7, s13
	s_addc_u32 s15, s1, s15
	s_lshl_b64 s[12:13], s[6:7], 2
	s_add_u32 s12, s0, s12
	s_addc_u32 s13, s1, s13
	s_load_dword s9, s[14:15], 0x0
	s_load_dword s16, s[12:13], 0x0
	s_waitcnt lgkmcnt(0)
	s_sub_i32 s9, s9, s16
	s_cmp_eq_u32 s9, 1
	s_cselect_b64 s[12:13], -1, 0
	s_andn2_b64 vcc, exec, s[10:11]
	s_cbranch_vccnz .LBB61_3
.LBB61_2:
	s_mov_b32 s7, 0
	s_mov_b64 s[12:13], -1
.LBB61_3:
	s_andn2_b64 vcc, exec, s[12:13]
	s_cbranch_vccnz .LBB61_22
; %bb.4:
	s_load_dwordx2 s[12:13], s[4:5], 0x28
	s_lshl_b64 s[10:11], s[6:7], 2
	s_waitcnt lgkmcnt(0)
	s_add_u32 s12, s12, s10
	s_addc_u32 s13, s13, s11
	s_load_dword s33, s[12:13], 0x0
	s_lshl_b32 s14, s28, 8
	s_waitcnt lgkmcnt(0)
	s_cmp_ge_i32 s14, s33
	s_cbranch_scc1 .LBB61_22
; %bb.5:
	s_add_i32 s15, s33, 31
	s_load_dwordx2 s[12:13], s[4:5], 0x20
	s_load_dword s9, s[4:5], 0x38
	s_ashr_i32 s16, s15, 31
	v_and_b32_e32 v1, 0xcf, v0
	s_lshr_b32 s16, s16, 27
	v_add_u32_e32 v1, s14, v1
	s_add_i32 s15, s15, s16
	v_ashrrev_i32_e32 v2, 31, v1
	s_ashr_i32 s17, s15, 5
	v_lshrrev_b32_e32 v6, 27, v2
	s_add_i32 s17, s17, -1
	v_add_u32_e32 v2, v1, v6
	s_waitcnt lgkmcnt(0)
	s_mul_i32 s18, s6, s9
	s_mov_b32 s19, 0
	v_ashrrev_i32_e32 v2, 5, v2
	v_mov_b32_e32 v7, s17
	v_cmp_gt_i32_e32 vcc, s33, v1
	s_lshl_b64 s[18:19], s[18:19], 2
	v_cndmask_b32_e32 v2, v7, v2, vcc
	s_add_u32 s15, s12, s18
	v_ashrrev_i32_e32 v3, 31, v2
	s_addc_u32 s16, s13, s19
	v_lshlrev_b64 v[2:3], 2, v[2:3]
	v_mov_b32_e32 v4, s16
	v_add_co_u32_e32 v2, vcc, s15, v2
	v_addc_co_u32_e32 v3, vcc, v4, v3, vcc
	v_or_b32_e32 v4, 16, v1
	v_add_u32_e32 v5, v4, v6
	v_ashrrev_i32_e32 v5, 5, v5
	v_cmp_gt_i32_e32 vcc, s33, v4
	v_cndmask_b32_e32 v4, v7, v5, vcc
	v_ashrrev_i32_e32 v5, 31, v4
	v_lshlrev_b64 v[4:5], 2, v[4:5]
	v_mov_b32_e32 v9, s16
	v_add_co_u32_e32 v8, vcc, s15, v4
	v_or_b32_e32 v4, 32, v1
	v_addc_co_u32_e32 v9, vcc, v9, v5, vcc
	v_add_u32_e32 v5, v4, v6
	v_ashrrev_i32_e32 v5, 5, v5
	v_cmp_gt_i32_e32 vcc, s33, v4
	v_cndmask_b32_e32 v4, v7, v5, vcc
	v_ashrrev_i32_e32 v5, 31, v4
	v_lshlrev_b64 v[4:5], 2, v[4:5]
	v_mov_b32_e32 v11, s16
	v_add_co_u32_e32 v10, vcc, s15, v4
	v_or_b32_e32 v1, 48, v1
	v_addc_co_u32_e32 v11, vcc, v11, v5, vcc
	v_add_u32_e32 v4, v1, v6
	v_ashrrev_i32_e32 v4, 5, v4
	v_cmp_gt_i32_e32 vcc, s33, v1
	v_cndmask_b32_e32 v4, v7, v4, vcc
	v_ashrrev_i32_e32 v5, 31, v4
	v_lshlrev_b64 v[4:5], 2, v[4:5]
	v_mov_b32_e32 v1, s16
	v_add_co_u32_e32 v12, vcc, s15, v4
	v_addc_co_u32_e32 v13, vcc, v1, v5, vcc
	global_load_dword v7, v[2:3], off
	global_load_dword v6, v[8:9], off
	;; [unrolled: 1-line block ×4, first 2 shown]
	s_andn2_b64 vcc, exec, s[2:3]
	s_cbranch_vccnz .LBB61_8
; %bb.6:
	s_add_u32 s0, s0, s10
	s_addc_u32 s1, s1, s11
	s_load_dword s9, s[0:1], 0x0
	s_branch .LBB61_9
.LBB61_7:
	s_mov_b64 s[12:13], 0
	s_branch .LBB61_2
.LBB61_8:
	s_mov_b32 s9, s6
.LBB61_9:
	s_load_dwordx2 s[10:11], s[4:5], 0x8
	s_load_dwordx4 s[44:47], s[4:5], 0x48
	v_lshrrev_b32_e32 v53, 6, v0
	v_bfe_u32 v1, v0, 4, 2
	v_lshl_or_b32 v8, v53, 2, v1
	v_and_b32_e32 v52, 15, v0
	v_cmp_lt_u32_e32 vcc, 5, v8
	v_cmp_lt_u32_e64 s[2:3], 7, v52
	v_lshlrev_b32_e32 v2, 3, v52
	v_cmp_gt_u32_e64 s[0:1], 8, v52
	s_or_b64 s[2:3], s[2:3], vcc
	s_and_saveexec_b64 s[12:13], s[2:3]
	s_xor_b64 s[2:3], exec, s[12:13]
; %bb.10:
	v_mov_b32_e32 v3, 0
                                        ; implicit-def: $vgpr8
; %bb.11:
	s_or_saveexec_b64 s[12:13], s[2:3]
	s_load_dwordx2 s[2:3], s[4:5], 0x10
	s_mul_i32 s29, s8, 6
	s_xor_b64 exec, exec, s[12:13]
	s_cbranch_execz .LBB61_13
; %bb.12:
	s_load_dwordx2 s[18:19], s[4:5], 0x0
	s_waitcnt lgkmcnt(0)
	s_ashr_i32 s20, s44, 31
	s_mul_hi_u32 s21, s9, s44
	s_mul_i32 s20, s9, s20
	s_add_i32 s21, s21, s20
	s_mul_i32 s20, s9, s44
	s_lshl_b64 s[20:21], s[20:21], 1
	v_add_lshl_u32 v10, v8, s29, 6
	s_add_u32 s9, s18, s20
	v_ashrrev_i32_e32 v11, 31, v10
	s_addc_u32 s18, s19, s21
	v_lshlrev_b64 v[10:11], 1, v[10:11]
	v_mov_b32_e32 v3, s18
	v_add_co_u32_e32 v9, vcc, s9, v10
	v_addc_co_u32_e32 v3, vcc, v3, v11, vcc
	v_lshlrev_b32_e32 v10, 1, v2
	v_add_co_u32_e32 v10, vcc, v9, v10
	v_addc_co_u32_e32 v11, vcc, 0, v3, vcc
	global_load_dwordx4 v[10:13], v[10:11], off
	v_and_b32_e32 v9, 3, v0
	v_lshlrev_b32_e32 v14, 9, v52
	v_lshlrev_b32_e32 v8, 5, v8
	;; [unrolled: 1-line block ×3, first 2 shown]
	v_and_b32_e32 v14, 0x1800, v14
	v_mov_b32_e32 v3, 0
	v_or3_b32 v8, v14, v9, v8
	s_waitcnt vmcnt(0)
	ds_write_b128 v8, v[10:13]
.LBB61_13:
	s_or_b64 exec, exec, s[12:13]
	s_waitcnt lgkmcnt(0)
	s_mul_i32 s8, s8, s46
	s_mov_b32 s9, 0
	s_lshl_b64 s[8:9], s[8:9], 1
	s_add_u32 s12, s10, s8
	s_addc_u32 s13, s11, s9
	s_waitcnt vmcnt(3)
	v_mad_i64_i32 v[8:9], s[10:11], v7, s45, 0
	v_lshlrev_b64 v[8:9], 1, v[8:9]
	v_mov_b32_e32 v7, s13
	v_add_co_u32_e32 v8, vcc, s12, v8
	v_addc_co_u32_e32 v7, vcc, v7, v9, vcc
	v_lshlrev_b64 v[42:43], 1, v[2:3]
	v_add_co_u32_e32 v2, vcc, v8, v42
	v_lshlrev_b32_e32 v24, 9, v1
	v_addc_co_u32_e32 v3, vcc, v7, v43, vcc
	v_add_co_u32_e32 v2, vcc, v2, v24
	v_addc_co_u32_e32 v3, vcc, 0, v3, vcc
	s_barrier
	global_load_dwordx4 v[38:41], v[2:3], off
	global_load_dwordx4 v[34:37], v[2:3], off offset:2048
	s_waitcnt vmcnt(4)
	v_mad_i64_i32 v[2:3], s[10:11], v6, s45, 0
	v_lshlrev_b64 v[2:3], 1, v[2:3]
	v_mov_b32_e32 v6, s13
	v_add_co_u32_e32 v2, vcc, s12, v2
	v_addc_co_u32_e32 v3, vcc, v6, v3, vcc
	v_mov_b32_e32 v6, 0x100
	v_lshl_or_b32 v18, v52, 4, v6
	v_add_co_u32_e32 v2, vcc, v2, v18
	v_addc_co_u32_e32 v3, vcc, 0, v3, vcc
	v_add_co_u32_e32 v2, vcc, v2, v24
	v_addc_co_u32_e32 v3, vcc, 0, v3, vcc
	global_load_dwordx4 v[30:33], v[2:3], off
	global_load_dwordx4 v[14:17], v[2:3], off offset:2048
	s_waitcnt vmcnt(5)
	v_mad_i64_i32 v[2:3], s[10:11], v5, s45, 0
	v_lshlrev_b64 v[2:3], 1, v[2:3]
	v_mov_b32_e32 v5, s13
	v_add_co_u32_e32 v2, vcc, s12, v2
	v_addc_co_u32_e32 v3, vcc, v5, v3, vcc
	v_add_co_u32_e32 v2, vcc, v2, v42
	v_addc_co_u32_e32 v3, vcc, v3, v43, vcc
	;; [unrolled: 2-line block ×3, first 2 shown]
	global_load_dwordx4 v[10:13], v[2:3], off
	global_load_dwordx4 v[6:9], v[2:3], off offset:2048
	s_waitcnt vmcnt(6)
	v_mad_i64_i32 v[2:3], s[10:11], v4, s45, 0
	v_lshlrev_b64 v[2:3], 1, v[2:3]
	v_mov_b32_e32 v4, s13
	v_add_co_u32_e32 v2, vcc, s12, v2
	v_addc_co_u32_e32 v3, vcc, v4, v3, vcc
	v_add_co_u32_e32 v2, vcc, v2, v18
	v_addc_co_u32_e32 v3, vcc, 0, v3, vcc
	;; [unrolled: 2-line block ×3, first 2 shown]
	global_load_dwordx4 v[2:5], v[22:23], off
	global_load_dwordx4 v[18:21], v[22:23], off offset:2048
	v_mul_lo_u16_e32 v22, 43, v52
	v_mov_b32_e32 v23, 6
	v_mul_lo_u16_sdwa v22, v22, v23 dst_sel:DWORD dst_unused:UNUSED_PAD src0_sel:BYTE_1 src1_sel:DWORD
	v_sub_u16_e32 v22, v52, v22
	v_and_b32_e32 v22, 0xff, v22
	v_lshl_add_u32 v22, v22, 5, v24
	ds_read_b128 v[26:29], v22
	ds_read_b128 v[22:25], v22 offset:2048
	v_and_b32_e32 v54, 63, v0
	v_cmp_gt_u32_e32 vcc, 6, v52
	v_mov_b32_e32 v50, 0
	s_and_saveexec_b64 s[10:11], vcc
	s_cbranch_execz .LBB61_15
; %bb.14:
	s_load_dwordx2 s[12:13], s[4:5], 0x40
	v_add_u32_e32 v44, s29, v52
	v_ashrrev_i32_e32 v45, 31, v44
	v_lshlrev_b64 v[44:45], 2, v[44:45]
	s_waitcnt lgkmcnt(0)
	v_mov_b32_e32 v46, s13
	v_add_co_u32_e32 v44, vcc, s12, v44
	v_addc_co_u32_e32 v45, vcc, v46, v45, vcc
	global_load_dword v50, v[44:45], off
.LBB61_15:
	s_or_b64 exec, exec, s[10:11]
	s_waitcnt vmcnt(7) lgkmcnt(1)
	v_mfma_f32_16x16x16f16 v[44:47], v[38:39], v[26:27], 0
	s_ashr_i32 s10, s14, 31
	s_lshr_b32 s11, s10, 27
	v_mov_b32_e32 v49, s16
	s_add_u32 s2, s2, s8
	s_addc_u32 s3, s3, s9
	s_load_dword s10, s[4:5], 0x1c
	s_mov_b32 s42, 0xff7fffff
	v_mfma_f32_16x16x16f16 v[38:41], v[40:41], v[28:29], v[44:47]
	s_waitcnt vmcnt(6) lgkmcnt(0)
	v_mfma_f32_16x16x16f16 v[38:41], v[34:35], v[22:23], v[38:41]
	s_nop 4
	v_and_or_b32 v46, v0, 48, s14
	v_add_u32_e32 v34, s11, v46
	v_ashrrev_i32_e32 v34, 5, v34
	v_mov_b32_e32 v47, s17
	v_cmp_gt_i32_e32 vcc, s33, v46
	v_cndmask_b32_e32 v34, v47, v34, vcc
	v_ashrrev_i32_e32 v35, 31, v34
	v_lshlrev_b64 v[44:45], 2, v[34:35]
	v_mfma_f32_16x16x16f16 v[34:37], v[36:37], v[24:25], v[38:41]
	s_nop 6
	v_mov_b32_e32 v39, s16
	v_add_co_u32_e32 v38, vcc, s15, v44
	v_addc_co_u32_e32 v39, vcc, v39, v45, vcc
	global_load_dword v48, v[38:39], off
	s_waitcnt vmcnt(6)
	v_mfma_f32_16x16x16f16 v[38:41], v[30:31], v[26:27], 0
	v_or_b32_e32 v44, 64, v46
	v_add_u32_e32 v30, s11, v44
	v_ashrrev_i32_e32 v30, 5, v30
	v_cmp_gt_i32_e32 vcc, s33, v44
	v_cndmask_b32_e32 v30, v47, v30, vcc
	v_ashrrev_i32_e32 v31, 31, v30
	v_lshlrev_b64 v[44:45], 2, v[30:31]
	v_mfma_f32_16x16x16f16 v[30:33], v[32:33], v[28:29], v[38:41]
	s_nop 6
	v_add_co_u32_e32 v38, vcc, s15, v44
	v_addc_co_u32_e32 v39, vcc, v49, v45, vcc
	global_load_dword v40, v[38:39], off
	v_or_b32_e32 v38, 0x80, v46
	v_add_u32_e32 v39, s11, v38
	v_ashrrev_i32_e32 v39, 5, v39
	v_cmp_gt_i32_e32 vcc, s33, v38
	v_cndmask_b32_e32 v38, v47, v39, vcc
	v_ashrrev_i32_e32 v39, 31, v38
	s_waitcnt vmcnt(6)
	v_mfma_f32_16x16x16f16 v[30:33], v[14:15], v[22:23], v[30:33]
	v_lshlrev_b64 v[14:15], 2, v[38:39]
	v_mov_b32_e32 v38, s16
	v_add_co_u32_e32 v14, vcc, s15, v14
	v_addc_co_u32_e32 v15, vcc, v38, v15, vcc
	global_load_dword v41, v[14:15], off
	v_mfma_f32_16x16x16f16 v[30:33], v[16:17], v[24:25], v[30:33]
	v_or_b32_e32 v38, 0xc0, v46
	v_cmp_gt_i32_e32 vcc, s33, v38
	v_mov_b32_e32 v44, s16
	s_waitcnt vmcnt(6)
	v_mfma_f32_16x16x16f16 v[14:17], v[10:11], v[26:27], 0
	v_add_u32_e32 v10, s11, v38
	v_ashrrev_i32_e32 v10, 5, v10
	v_cndmask_b32_e32 v10, v47, v10, vcc
	v_ashrrev_i32_e32 v11, 31, v10
	v_lshlrev_b64 v[38:39], 2, v[10:11]
	s_nop 0
	v_pk_mul_f32 v[46:47], s[10:11], v[30:31] op_sel_hi:[0,1]
	v_mfma_f32_16x16x16f16 v[10:13], v[12:13], v[28:29], v[14:17]
	s_nop 6
	v_add_co_u32_e32 v14, vcc, s15, v38
	s_waitcnt vmcnt(5)
	v_mfma_f32_16x16x16f16 v[10:13], v[6:7], v[22:23], v[10:13]
	v_addc_co_u32_e32 v15, vcc, v44, v39, vcc
	global_load_dword v51, v[14:15], off
	v_and_b32_e32 v14, 16, v0
	v_lshlrev_b32_e32 v14, 1, v14
	v_mov_b32_e32 v6, s3
	v_add_co_u32_e32 v7, vcc, s2, v14
	v_lshlrev_b32_e32 v14, 6, v52
	v_addc_co_u32_e32 v6, vcc, 0, v6, vcc
	v_lshl_or_b32 v14, v53, 10, v14
	v_add_co_u32_e32 v55, vcc, v7, v14
	v_addc_co_u32_e32 v60, vcc, 0, v6, vcc
	v_mfma_f32_16x16x16f16 v[56:59], v[8:9], v[24:25], v[10:13]
	s_waitcnt vmcnt(3)
	v_mad_i64_i32 v[6:7], s[2:3], v48, s45, 0
	v_pk_mul_f32 v[48:49], s[10:11], v[36:37] op_sel_hi:[0,1]
	v_pk_mul_f32 v[44:45], s[10:11], v[32:33] op_sel_hi:[0,1]
	s_waitcnt vmcnt(1)
	v_mad_i64_i32 v[38:39], s[2:3], v41, s45, 0
	s_nop 0
	v_lshlrev_b64 v[10:11], 1, v[6:7]
	v_mfma_f32_16x16x16f16 v[6:9], v[2:3], v[26:27], 0
	v_add_co_u32_e32 v2, vcc, v55, v10
	v_addc_co_u32_e32 v3, vcc, v60, v11, vcc
	global_load_dwordx4 v[14:17], v[2:3], off
	global_load_dwordx4 v[10:13], v[2:3], off offset:16
	v_mad_i64_i32 v[2:3], s[2:3], v40, s45, 0
	v_mfma_f32_16x16x16f16 v[26:29], v[4:5], v[28:29], v[6:9]
	v_lshlrev_b64 v[2:3], 1, v[2:3]
	v_add_co_u32_e32 v2, vcc, v55, v2
	v_addc_co_u32_e32 v3, vcc, v60, v3, vcc
	v_lshlrev_b64 v[38:39], 1, v[38:39]
	v_pk_mul_f32 v[40:41], s[10:11], v[56:57] op_sel_hi:[0,1]
	v_mfma_f32_16x16x16f16 v[26:29], v[18:19], v[22:23], v[26:29]
	v_pk_mul_f32 v[18:19], s[10:11], v[34:35] op_sel_hi:[0,1]
	v_add_co_u32_e32 v22, vcc, v55, v38
	v_addc_co_u32_e32 v23, vcc, v60, v39, vcc
	v_pk_mul_f32 v[38:39], s[10:11], v[58:59] op_sel_hi:[0,1]
	global_load_dwordx4 v[6:9], v[2:3], off
	s_nop 0
	global_load_dwordx4 v[2:5], v[2:3], off offset:16
	v_mfma_f32_16x16x16f16 v[24:27], v[20:21], v[24:25], v[26:29]
	v_and_b32_e32 v20, 0xc0, v0
	v_add_u32_e32 v20, s14, v20
	v_lshl_or_b32 v20, v1, 2, v20
	v_or_b32_e32 v21, 1, v20
	v_cmp_gt_i32_e64 s[30:31], s33, v20
	v_cmp_gt_i32_e64 s[34:35], s33, v21
	s_nop 4
	v_pk_mul_f32 v[36:37], s[10:11], v[24:25] op_sel_hi:[0,1]
	v_subrev_u32_e32 v24, s33, v21
	v_pk_mul_f32 v[34:35], s[10:11], v[26:27] op_sel_hi:[0,1]
	v_add_u32_e32 v26, 1, v24
	v_add_u32_e32 v27, 2, v24
	v_cvt_f32_i32_e32 v25, v24
	v_cvt_f32_i32_e32 v26, v26
	;; [unrolled: 1-line block ×3, first 2 shown]
	v_add_u32_e32 v28, 3, v24
	v_fma_f32 v18, v50, v25, v18
	v_fmac_f32_e32 v19, v50, v26
	v_fma_f32 v48, v50, v27, v48
	v_add_u32_e32 v25, 16, v24
	v_add_u32_e32 v26, 17, v24
	;; [unrolled: 1-line block ×3, first 2 shown]
	v_cvt_f32_i32_e32 v28, v28
	v_cvt_f32_i32_e32 v25, v25
	;; [unrolled: 1-line block ×4, first 2 shown]
	v_fmac_f32_e32 v49, v50, v28
	v_add_u32_e32 v28, 19, v24
	v_fma_f32 v46, v50, v25, v46
	v_fmac_f32_e32 v47, v50, v26
	v_fma_f32 v44, v50, v27, v44
	v_add_u32_e32 v25, 32, v24
	v_add_u32_e32 v26, 33, v24
	;; [unrolled: 1-line block ×3, first 2 shown]
	v_cvt_f32_i32_e32 v28, v28
	v_cvt_f32_i32_e32 v25, v25
	;; [unrolled: 1-line block ×4, first 2 shown]
	v_fmac_f32_e32 v45, v50, v28
	v_add_u32_e32 v28, 35, v24
	v_fma_f32 v40, v50, v25, v40
	v_fmac_f32_e32 v41, v50, v26
	v_fma_f32 v38, v50, v27, v38
	v_add_u32_e32 v25, 48, v24
	v_add_u32_e32 v26, 49, v24
	;; [unrolled: 1-line block ×4, first 2 shown]
	v_cvt_f32_i32_e32 v24, v24
	v_cvt_f32_i32_e32 v25, v25
	;; [unrolled: 1-line block ×4, first 2 shown]
	v_fmac_f32_e32 v35, v50, v24
	v_mov_b32_e32 v24, 0xff7fffff
	v_fma_f32 v36, v50, v25, v36
	v_cndmask_b32_e64 v25, v24, v18, s[30:31]
	v_cndmask_b32_e64 v21, v24, v19, s[34:35]
	v_fmac_f32_e32 v37, v50, v26
	v_max3_f32 v21, v25, s42, v21
	v_or_b32_e32 v25, 2, v20
	v_or_b32_e32 v26, 3, v20
	v_cmp_gt_i32_e64 s[36:37], s33, v25
	v_cmp_gt_i32_e64 s[38:39], s33, v26
	v_cndmask_b32_e64 v25, v24, v48, s[36:37]
	v_cndmask_b32_e64 v26, v24, v49, s[38:39]
	v_max3_f32 v21, v21, v25, v26
	v_or_b32_e32 v25, 16, v20
	v_or_b32_e32 v26, 17, v20
	v_cmp_gt_i32_e64 s[24:25], s33, v25
	v_cmp_gt_i32_e64 s[26:27], s33, v26
	v_cndmask_b32_e64 v25, v24, v46, s[24:25]
	v_cndmask_b32_e64 v26, v24, v47, s[26:27]
	;; [unrolled: 7-line block ×4, first 2 shown]
	v_max3_f32 v21, v21, v25, v26
	v_or_b32_e32 v25, 34, v20
	v_or_b32_e32 v26, 35, v20
	v_fmac_f32_e32 v39, v50, v28
	v_cmp_gt_i32_e64 s[12:13], s33, v25
	v_cmp_gt_i32_e64 s[14:15], s33, v26
	v_cndmask_b32_e64 v25, v24, v38, s[12:13]
	v_cndmask_b32_e64 v26, v24, v39, s[14:15]
	v_cvt_f32_i32_e32 v27, v27
	v_max3_f32 v21, v21, v25, v26
	v_or_b32_e32 v25, 48, v20
	v_or_b32_e32 v26, 49, v20
	v_cmp_gt_i32_e64 s[8:9], s33, v25
	v_cmp_gt_i32_e64 s[10:11], s33, v26
	v_cndmask_b32_e64 v25, v24, v36, s[8:9]
	v_cndmask_b32_e64 v26, v24, v37, s[10:11]
	v_max3_f32 v21, v21, v25, v26
	v_or_b32_e32 v25, 50, v20
	v_or_b32_e32 v20, 51, v20
	v_fma_f32 v34, v50, v27, v34
	v_cmp_gt_i32_e32 vcc, s33, v25
	v_cmp_gt_i32_e64 s[2:3], s33, v20
	v_cndmask_b32_e32 v25, v24, v34, vcc
	v_cndmask_b32_e64 v20, v24, v35, s[2:3]
	v_max3_f32 v26, v21, v25, v20
	v_mbcnt_lo_u32_b32 v20, -1, 0
	v_mbcnt_hi_u32_b32 v27, -1, v20
	v_and_b32_e32 v20, 64, v27
	v_add_u32_e32 v28, 64, v20
	v_xor_b32_e32 v20, 32, v27
	v_cmp_lt_i32_e64 s[40:41], v20, v28
	v_cndmask_b32_e64 v20, v27, v20, s[40:41]
	v_lshlrev_b32_e32 v56, 2, v20
	ds_bpermute_b32 v29, v56, v26
	s_waitcnt vmcnt(4)
	v_mad_i64_i32 v[20:21], s[40:41], v51, s45, 0
	v_lshlrev_b64 v[20:21], 1, v[20:21]
	global_load_dwordx4 v[30:33], v[22:23], off
	s_nop 0
	global_load_dwordx4 v[22:25], v[22:23], off offset:16
	s_waitcnt lgkmcnt(0)
	v_max_f32_e32 v29, v29, v29
	v_max_f32_e32 v26, v26, v29
	v_xor_b32_e32 v29, 16, v27
	v_cmp_lt_i32_e64 s[40:41], v29, v28
	v_cndmask_b32_e64 v27, v27, v29, s[40:41]
	v_lshlrev_b32_e32 v58, 2, v27
	ds_bpermute_b32 v27, v58, v26
	v_add_co_u32_e64 v20, s[40:41], v55, v20
	v_addc_co_u32_e64 v21, s[40:41], v60, v21, s[40:41]
	s_waitcnt lgkmcnt(0)
	v_max_f32_e32 v27, v27, v27
	v_max_f32_e32 v55, v26, v27
	v_sub_f32_e32 v18, v18, v55
	v_mul_f32_e32 v18, 0x3fb8aa3b, v18
	v_exp_f32_e32 v50, v18
	v_sub_f32_e32 v18, v19, v55
	v_mul_f32_e32 v18, 0x3fb8aa3b, v18
	v_exp_f32_e32 v51, v18
	global_load_dwordx4 v[26:29], v[20:21], off
	s_nop 0
	global_load_dwordx4 v[18:21], v[20:21], off offset:16
	v_sub_f32_e32 v48, v48, v55
	v_mul_f32_e32 v48, 0x3fb8aa3b, v48
	v_sub_f32_e32 v49, v49, v55
	v_exp_f32_e32 v48, v48
	v_mul_f32_e32 v49, 0x3fb8aa3b, v49
	v_sub_f32_e32 v46, v46, v55
	v_exp_f32_e32 v49, v49
	v_mul_f32_e32 v46, 0x3fb8aa3b, v46
	v_sub_f32_e32 v47, v47, v55
	v_cndmask_b32_e64 v50, 0, v50, s[30:31]
	v_exp_f32_e32 v46, v46
	v_mul_f32_e32 v47, 0x3fb8aa3b, v47
	v_sub_f32_e32 v44, v44, v55
	v_add_f32_e32 v57, 0, v50
	v_cndmask_b32_e64 v51, 0, v51, s[34:35]
	v_exp_f32_e32 v47, v47
	v_mul_f32_e32 v44, 0x3fb8aa3b, v44
	v_sub_f32_e32 v45, v45, v55
	v_add_f32_e32 v57, v57, v51
	;; [unrolled: 5-line block ×10, first 2 shown]
	v_cndmask_b32_e64 v38, 0, v38, s[12:13]
	v_exp_f32_e32 v34, v34
	v_mul_f32_e32 v35, 0x3fb8aa3b, v35
	v_add_f32_e32 v57, v57, v38
	v_cndmask_b32_e64 v39, 0, v39, s[14:15]
	v_exp_f32_e32 v35, v35
	v_add_f32_e32 v57, v57, v39
	v_cndmask_b32_e64 v36, 0, v36, s[8:9]
	v_add_f32_e32 v57, v57, v36
	v_cndmask_b32_e64 v37, 0, v37, s[10:11]
	v_add_f32_e32 v57, v57, v37
	v_cndmask_b32_e32 v34, 0, v34, vcc
	v_add_f32_e32 v57, v57, v34
	v_cndmask_b32_e64 v35, 0, v35, s[2:3]
	v_add_f32_e32 v57, v57, v35
	ds_bpermute_b32 v56, v56, v57
	s_load_dword s9, s[4:5], 0x98
	v_cmp_gt_u32_e32 vcc, 16, v54
	s_waitcnt lgkmcnt(0)
	s_barrier
	v_add_f32_e32 v57, v57, v56
	ds_bpermute_b32 v58, v58, v57
	v_lshlrev_b32_e32 v56, 2, v52
	s_waitcnt lgkmcnt(0)
	s_and_saveexec_b64 s[2:3], vcc
	s_cbranch_execz .LBB61_17
; %bb.16:
	v_add_f32_e32 v54, v57, v58
	v_lshl_or_b32 v57, v53, 6, v56
	ds_write2st64_b32 v57, v55, v54 offset1:1
.LBB61_17:
	s_or_b64 exec, exec, s[2:3]
	s_load_dword s8, s[4:5], 0x94
	s_waitcnt lgkmcnt(0)
	s_barrier
	ds_read2_b32 v[58:59], v56 offset1:16
	ds_read2_b32 v[60:61], v56 offset0:32 offset1:48
	ds_read2_b32 v[62:63], v56 offset0:64 offset1:80
	;; [unrolled: 1-line block ×3, first 2 shown]
	s_waitcnt lgkmcnt(0)
	v_max3_f32 v54, v58, s42, v59
	v_max3_f32 v54, v54, v60, v61
	v_sub_f32_e32 v55, v58, v54
	v_mul_f32_e32 v55, 0x3fb8aa3b, v55
	v_exp_f32_e32 v58, v55
	v_sub_f32_e32 v55, v59, v54
	v_mul_f32_e32 v55, 0x3fb8aa3b, v55
	v_exp_f32_e32 v59, v55
	;; [unrolled: 3-line block ×4, first 2 shown]
	v_fma_f32 v55, v58, v62, 0
	v_fmac_f32_e32 v55, v59, v63
	v_fmac_f32_e32 v55, v60, v56
	;; [unrolled: 1-line block ×3, first 2 shown]
	v_add_f32_e32 v56, 0x358637bd, v55
	v_div_scale_f32 v57, s[2:3], v56, v56, 1.0
	v_rcp_f32_e32 v62, v57
	s_barrier
	s_mul_i32 s9, s9, 6
	v_fma_f32 v63, -v57, v62, 1.0
	v_fmac_f32_e32 v62, v63, v62
	v_div_scale_f32 v63, vcc, 1.0, v56, 1.0
	v_mul_f32_e32 v64, v63, v62
	v_fma_f32 v65, -v57, v64, v63
	v_fmac_f32_e32 v64, v65, v62
	v_fma_f32 v57, -v57, v64, v63
	v_div_fmas_f32 v57, v57, v62, v64
	v_cmp_eq_u32_e32 vcc, 1, v53
	v_div_fixup_f32 v56, v57, v56, 1.0
	v_cndmask_b32_e32 v57, v58, v59, vcc
	v_cmp_eq_u32_e32 vcc, 2, v53
	v_cndmask_b32_e32 v57, v57, v60, vcc
	v_cmp_eq_u32_e32 vcc, 3, v53
	v_cndmask_b32_e32 v57, v57, v61, vcc
	v_mul_f32_e32 v56, v57, v56
	v_pk_mul_f32 v[48:49], v[56:57], v[48:49] op_sel_hi:[0,1]
	v_pk_mul_f32 v[50:51], v[56:57], v[50:51] op_sel_hi:[0,1]
	v_cvt_f16_f32_e32 v50, v50
	v_cvt_f16_f32_e32 v51, v51
	;; [unrolled: 1-line block ×4, first 2 shown]
	v_pk_mul_f32 v[44:45], v[56:57], v[44:45] op_sel_hi:[0,1]
	v_pk_mul_f32 v[46:47], v[56:57], v[46:47] op_sel_hi:[0,1]
	v_cvt_f16_f32_e32 v46, v46
	v_cvt_f16_f32_e32 v47, v47
	;; [unrolled: 1-line block ×4, first 2 shown]
	v_pack_b32_f16 v50, v50, v51
	v_pack_b32_f16 v51, v48, v49
	v_lshlrev_b32_e32 v49, 3, v1
	v_lshlrev_b32_e32 v48, 5, v52
	;; [unrolled: 1-line block ×3, first 2 shown]
	v_or3_b32 v44, v44, v48, v49
	v_pack_b32_f16 v46, v46, v47
	v_pack_b32_f16 v47, v57, v45
	v_pk_mul_f32 v[38:39], v[56:57], v[38:39] op_sel_hi:[0,1]
	v_pk_mul_f32 v[40:41], v[56:57], v[40:41] op_sel_hi:[0,1]
	;; [unrolled: 1-line block ×4, first 2 shown]
	ds_write2st64_b64 v44, v[50:51], v[46:47] offset1:1
	v_cvt_f16_f32_e32 v40, v40
	v_cvt_f16_f32_e32 v41, v41
	;; [unrolled: 1-line block ×8, first 2 shown]
	v_pack_b32_f16 v34, v40, v41
	v_pack_b32_f16 v35, v38, v39
	;; [unrolled: 1-line block ×4, first 2 shown]
	v_cmp_gt_u32_e32 vcc, 6, v0
	ds_write2st64_b64 v44, v[34:35], v[36:37] offset0:2 offset1:3
	s_and_saveexec_b64 s[2:3], vcc
	s_cbranch_execz .LBB61_19
; %bb.18:
	v_add_co_u32_e32 v36, vcc, s29, v52
	v_addc_co_u32_e64 v37, s[10:11], 0, 0, vcc
	v_mov_b32_e32 v34, s9
	v_mov_b32_e32 v35, 0
	v_mad_u64_u32 v[36:37], s[10:11], s6, v34, v[36:37]
	v_mov_b32_e32 v34, s28
	s_load_dwordx4 s[12:15], s[4:5], 0x58
	s_mul_i32 s7, s7, s9
	v_mad_u64_u32 v[34:35], s[10:11], v36, s8, v[34:35]
	v_add_u32_e32 v37, s7, v37
	v_mov_b32_e32 v36, v35
	v_mad_u64_u32 v[36:37], s[10:11], v37, s8, v[36:37]
	v_mov_b32_e32 v35, v36
	v_lshlrev_b64 v[34:35], 2, v[34:35]
	s_waitcnt lgkmcnt(0)
	v_mov_b32_e32 v37, s15
	v_add_co_u32_e32 v36, vcc, s14, v34
	v_addc_co_u32_e32 v37, vcc, v37, v35, vcc
	global_store_dword v[36:37], v54, off
	v_mov_b32_e32 v36, s13
	v_add_co_u32_e32 v34, vcc, s12, v34
	v_addc_co_u32_e32 v35, vcc, v36, v35, vcc
	global_store_dword v[34:35], v55, off
.LBB61_19:
	s_or_b64 exec, exec, s[2:3]
	v_lshl_or_b32 v45, v1, 9, v48
	s_waitcnt lgkmcnt(0)
	s_barrier
	ds_read_b128 v[34:37], v45
	ds_read_b128 v[38:41], v45 offset:16
	s_waitcnt vmcnt(7) lgkmcnt(1)
	v_mfma_f32_16x16x16f16 v[46:49], v[14:15], v[34:35], 0
	v_cmp_gt_u32_e32 vcc, 64, v0
	s_mov_b32 s3, 0
	s_and_b64 s[0:1], vcc, s[0:1]
	v_mfma_f32_16x16x16f16 v[14:17], v[16:17], v[36:37], v[46:49]
	s_waitcnt vmcnt(6) lgkmcnt(0)
	v_mfma_f32_16x16x16f16 v[14:17], v[10:11], v[38:39], v[14:17]
	v_mfma_f32_16x16x16f16 v[10:13], v[12:13], v[40:41], v[14:17]
	s_nop 7
	s_nop 1
	ds_read_b128 v[14:17], v45 offset:2048
	ds_read_b128 v[34:37], v45 offset:2064
	s_waitcnt vmcnt(5) lgkmcnt(1)
	v_mfma_f32_16x16x16f16 v[10:13], v[6:7], v[14:15], v[10:13]
	v_mfma_f32_16x16x16f16 v[6:9], v[8:9], v[16:17], v[10:13]
	s_waitcnt vmcnt(4) lgkmcnt(0)
	v_mfma_f32_16x16x16f16 v[6:9], v[2:3], v[34:35], v[6:9]
	v_mfma_f32_16x16x16f16 v[2:5], v[4:5], v[36:37], v[6:9]
	s_nop 7
	s_nop 1
	ds_read_b128 v[6:9], v45 offset:4096
	ds_read_b128 v[10:13], v45 offset:4112
	s_waitcnt vmcnt(3) lgkmcnt(1)
	v_mfma_f32_16x16x16f16 v[2:5], v[30:31], v[6:7], v[2:5]
	v_mfma_f32_16x16x16f16 v[2:5], v[32:33], v[8:9], v[2:5]
	s_waitcnt vmcnt(2) lgkmcnt(0)
	v_mfma_f32_16x16x16f16 v[2:5], v[22:23], v[10:11], v[2:5]
	v_mfma_f32_16x16x16f16 v[2:5], v[24:25], v[12:13], v[2:5]
	ds_read_b128 v[6:9], v45 offset:6144
	ds_read_b128 v[10:13], v45 offset:6160
	s_waitcnt lgkmcnt(0)
	s_barrier
	s_waitcnt vmcnt(1)
	v_mfma_f32_16x16x16f16 v[2:5], v[26:27], v[6:7], v[2:5]
	v_mfma_f32_16x16x16f16 v[2:5], v[28:29], v[8:9], v[2:5]
	s_waitcnt vmcnt(0)
	v_mfma_f32_16x16x16f16 v[2:5], v[18:19], v[10:11], v[2:5]
	v_mfma_f32_16x16x16f16 v[2:5], v[20:21], v[12:13], v[2:5]
	s_nop 7
	s_nop 2
	v_cvt_f16_f32_e32 v2, v2
	v_cvt_f16_f32_e32 v3, v3
	;; [unrolled: 1-line block ×4, first 2 shown]
	v_pack_b32_f16 v2, v2, v3
	v_pack_b32_f16 v3, v4, v5
	ds_write_b64 v44, v[2:3]
	s_waitcnt lgkmcnt(0)
	s_barrier
	s_and_saveexec_b64 s[10:11], s[0:1]
	s_cbranch_execz .LBB61_22
; %bb.20:
	s_load_dwordx2 s[4:5], s[4:5], 0x68
	s_lshl_b32 s0, s8, 6
	s_mul_i32 s1, s9, s6
	s_mul_hi_u32 s7, s1, s0
	s_mul_i32 s6, s1, s0
	s_lshl_b64 s[6:7], s[6:7], 1
	s_waitcnt lgkmcnt(0)
	s_add_u32 s1, s4, s6
	s_addc_u32 s4, s5, s7
	s_lshl_b32 s2, s28, 6
	v_lshlrev_b32_e32 v2, 10, v0
	v_lshlrev_b32_e32 v0, 4, v0
	s_lshl_b64 s[2:3], s[2:3], 1
	v_and_b32_e32 v3, 0x1800, v2
	v_lshlrev_b32_e32 v4, 5, v1
	v_and_b32_e32 v0, 16, v0
	s_add_u32 s1, s1, s2
	v_or_b32_e32 v2, 4, v1
	v_or3_b32 v0, v3, v4, v0
	s_addc_u32 s2, s4, s3
	v_add_u32_e32 v1, s29, v1
	v_mov_b32_e32 v4, s2
	v_add_co_u32_e32 v3, vcc, s1, v42
	ds_read_b128 v[6:9], v0
	v_mad_u64_u32 v[10:11], s[2:3], v1, s0, 0
	v_addc_co_u32_e32 v4, vcc, v4, v43, vcc
	v_lshlrev_b64 v[10:11], 1, v[10:11]
	v_add_co_u32_e32 v10, vcc, v3, v10
	v_addc_co_u32_e32 v11, vcc, v4, v11, vcc
	v_cmp_gt_u32_e32 vcc, 6, v2
	s_waitcnt lgkmcnt(0)
	global_store_dwordx4 v[10:11], v[6:9], off
	s_and_b64 exec, exec, vcc
	s_cbranch_execz .LBB61_22
; %bb.21:
	ds_read_b128 v[6:9], v0 offset:128
	v_add_u32_e32 v0, s29, v2
	v_mad_u64_u32 v[0:1], s[0:1], v0, s0, 0
	v_lshlrev_b64 v[0:1], 1, v[0:1]
	v_add_co_u32_e32 v0, vcc, v3, v0
	v_addc_co_u32_e32 v1, vcc, v4, v1, vcc
	s_waitcnt lgkmcnt(0)
	global_store_dwordx4 v[0:1], v[6:9], off
.LBB61_22:
	s_endpgm
	.section	.rodata,"a",@progbits
	.p2align	6, 0x0
	.amdhsa_kernel _Z39paged_attention_ll4mi_QKV_mfma16_kernelIDF16_DF16_LN4vllm18Fp8KVCacheDataTypeE0EDF16_Li32ELi64ELi256ELb1ELi6EL8MFMAType0EEvPKT_PKT0_S8_ifPKiSA_SA_iPKfiiiPfSD_PS3_PT2_iSC_SC_
		.amdhsa_group_segment_fixed_size 8192
		.amdhsa_private_segment_fixed_size 0
		.amdhsa_kernarg_size 400
		.amdhsa_user_sgpr_count 6
		.amdhsa_user_sgpr_private_segment_buffer 1
		.amdhsa_user_sgpr_dispatch_ptr 0
		.amdhsa_user_sgpr_queue_ptr 0
		.amdhsa_user_sgpr_kernarg_segment_ptr 1
		.amdhsa_user_sgpr_dispatch_id 0
		.amdhsa_user_sgpr_flat_scratch_init 0
		.amdhsa_user_sgpr_kernarg_preload_length 0
		.amdhsa_user_sgpr_kernarg_preload_offset 0
		.amdhsa_user_sgpr_private_segment_size 0
		.amdhsa_uses_dynamic_stack 0
		.amdhsa_system_sgpr_private_segment_wavefront_offset 0
		.amdhsa_system_sgpr_workgroup_id_x 1
		.amdhsa_system_sgpr_workgroup_id_y 1
		.amdhsa_system_sgpr_workgroup_id_z 1
		.amdhsa_system_sgpr_workgroup_info 0
		.amdhsa_system_vgpr_workitem_id 0
		.amdhsa_next_free_vgpr 66
		.amdhsa_next_free_sgpr 48
		.amdhsa_accum_offset 68
		.amdhsa_reserve_vcc 1
		.amdhsa_reserve_flat_scratch 0
		.amdhsa_float_round_mode_32 0
		.amdhsa_float_round_mode_16_64 0
		.amdhsa_float_denorm_mode_32 3
		.amdhsa_float_denorm_mode_16_64 3
		.amdhsa_dx10_clamp 1
		.amdhsa_ieee_mode 1
		.amdhsa_fp16_overflow 0
		.amdhsa_tg_split 0
		.amdhsa_exception_fp_ieee_invalid_op 0
		.amdhsa_exception_fp_denorm_src 0
		.amdhsa_exception_fp_ieee_div_zero 0
		.amdhsa_exception_fp_ieee_overflow 0
		.amdhsa_exception_fp_ieee_underflow 0
		.amdhsa_exception_fp_ieee_inexact 0
		.amdhsa_exception_int_div_zero 0
	.end_amdhsa_kernel
	.section	.text._Z39paged_attention_ll4mi_QKV_mfma16_kernelIDF16_DF16_LN4vllm18Fp8KVCacheDataTypeE0EDF16_Li32ELi64ELi256ELb1ELi6EL8MFMAType0EEvPKT_PKT0_S8_ifPKiSA_SA_iPKfiiiPfSD_PS3_PT2_iSC_SC_,"axG",@progbits,_Z39paged_attention_ll4mi_QKV_mfma16_kernelIDF16_DF16_LN4vllm18Fp8KVCacheDataTypeE0EDF16_Li32ELi64ELi256ELb1ELi6EL8MFMAType0EEvPKT_PKT0_S8_ifPKiSA_SA_iPKfiiiPfSD_PS3_PT2_iSC_SC_,comdat
.Lfunc_end61:
	.size	_Z39paged_attention_ll4mi_QKV_mfma16_kernelIDF16_DF16_LN4vllm18Fp8KVCacheDataTypeE0EDF16_Li32ELi64ELi256ELb1ELi6EL8MFMAType0EEvPKT_PKT0_S8_ifPKiSA_SA_iPKfiiiPfSD_PS3_PT2_iSC_SC_, .Lfunc_end61-_Z39paged_attention_ll4mi_QKV_mfma16_kernelIDF16_DF16_LN4vllm18Fp8KVCacheDataTypeE0EDF16_Li32ELi64ELi256ELb1ELi6EL8MFMAType0EEvPKT_PKT0_S8_ifPKiSA_SA_iPKfiiiPfSD_PS3_PT2_iSC_SC_
                                        ; -- End function
	.section	.AMDGPU.csdata,"",@progbits
; Kernel info:
; codeLenInByte = 4380
; NumSgprs: 52
; NumVgprs: 66
; NumAgprs: 0
; TotalNumVgprs: 66
; ScratchSize: 0
; MemoryBound: 0
; FloatMode: 240
; IeeeMode: 1
; LDSByteSize: 8192 bytes/workgroup (compile time only)
; SGPRBlocks: 6
; VGPRBlocks: 8
; NumSGPRsForWavesPerEU: 52
; NumVGPRsForWavesPerEU: 66
; AccumOffset: 68
; Occupancy: 7
; WaveLimiterHint : 1
; COMPUTE_PGM_RSRC2:SCRATCH_EN: 0
; COMPUTE_PGM_RSRC2:USER_SGPR: 6
; COMPUTE_PGM_RSRC2:TRAP_HANDLER: 0
; COMPUTE_PGM_RSRC2:TGID_X_EN: 1
; COMPUTE_PGM_RSRC2:TGID_Y_EN: 1
; COMPUTE_PGM_RSRC2:TGID_Z_EN: 1
; COMPUTE_PGM_RSRC2:TIDIG_COMP_CNT: 0
; COMPUTE_PGM_RSRC3_GFX90A:ACCUM_OFFSET: 16
; COMPUTE_PGM_RSRC3_GFX90A:TG_SPLIT: 0
	.section	.text._Z39paged_attention_ll4mi_QKV_mfma16_kernelIDF16_DF16_LN4vllm18Fp8KVCacheDataTypeE0EDF16_Li32ELi64ELi256ELb1ELi7EL8MFMAType0EEvPKT_PKT0_S8_ifPKiSA_SA_iPKfiiiPfSD_PS3_PT2_iSC_SC_,"axG",@progbits,_Z39paged_attention_ll4mi_QKV_mfma16_kernelIDF16_DF16_LN4vllm18Fp8KVCacheDataTypeE0EDF16_Li32ELi64ELi256ELb1ELi7EL8MFMAType0EEvPKT_PKT0_S8_ifPKiSA_SA_iPKfiiiPfSD_PS3_PT2_iSC_SC_,comdat
	.protected	_Z39paged_attention_ll4mi_QKV_mfma16_kernelIDF16_DF16_LN4vllm18Fp8KVCacheDataTypeE0EDF16_Li32ELi64ELi256ELb1ELi7EL8MFMAType0EEvPKT_PKT0_S8_ifPKiSA_SA_iPKfiiiPfSD_PS3_PT2_iSC_SC_ ; -- Begin function _Z39paged_attention_ll4mi_QKV_mfma16_kernelIDF16_DF16_LN4vllm18Fp8KVCacheDataTypeE0EDF16_Li32ELi64ELi256ELb1ELi7EL8MFMAType0EEvPKT_PKT0_S8_ifPKiSA_SA_iPKfiiiPfSD_PS3_PT2_iSC_SC_
	.globl	_Z39paged_attention_ll4mi_QKV_mfma16_kernelIDF16_DF16_LN4vllm18Fp8KVCacheDataTypeE0EDF16_Li32ELi64ELi256ELb1ELi7EL8MFMAType0EEvPKT_PKT0_S8_ifPKiSA_SA_iPKfiiiPfSD_PS3_PT2_iSC_SC_
	.p2align	8
	.type	_Z39paged_attention_ll4mi_QKV_mfma16_kernelIDF16_DF16_LN4vllm18Fp8KVCacheDataTypeE0EDF16_Li32ELi64ELi256ELb1ELi7EL8MFMAType0EEvPKT_PKT0_S8_ifPKiSA_SA_iPKfiiiPfSD_PS3_PT2_iSC_SC_,@function
_Z39paged_attention_ll4mi_QKV_mfma16_kernelIDF16_DF16_LN4vllm18Fp8KVCacheDataTypeE0EDF16_Li32ELi64ELi256ELb1ELi7EL8MFMAType0EEvPKT_PKT0_S8_ifPKiSA_SA_iPKfiiiPfSD_PS3_PT2_iSC_SC_: ; @_Z39paged_attention_ll4mi_QKV_mfma16_kernelIDF16_DF16_LN4vllm18Fp8KVCacheDataTypeE0EDF16_Li32ELi64ELi256ELb1ELi7EL8MFMAType0EEvPKT_PKT0_S8_ifPKiSA_SA_iPKfiiiPfSD_PS3_PT2_iSC_SC_
; %bb.0:
	s_load_dwordx2 s[0:1], s[4:5], 0x30
	s_mov_b32 s28, s7
	s_mov_b64 s[10:11], 0
	s_waitcnt lgkmcnt(0)
	s_cmp_lg_u64 s[0:1], 0
	s_cselect_b64 s[2:3], -1, 0
	s_and_b64 vcc, exec, s[2:3]
	s_cbranch_vccz .LBB62_7
; %bb.1:
	s_add_i32 s12, s6, 1
	s_mov_b32 s13, 0
	s_lshl_b64 s[14:15], s[12:13], 2
	s_add_u32 s14, s0, s14
	s_mov_b32 s7, s13
	s_addc_u32 s15, s1, s15
	s_lshl_b64 s[12:13], s[6:7], 2
	s_add_u32 s12, s0, s12
	s_addc_u32 s13, s1, s13
	s_load_dword s9, s[14:15], 0x0
	s_load_dword s16, s[12:13], 0x0
	s_waitcnt lgkmcnt(0)
	s_sub_i32 s9, s9, s16
	s_cmp_eq_u32 s9, 1
	s_cselect_b64 s[12:13], -1, 0
	s_andn2_b64 vcc, exec, s[10:11]
	s_cbranch_vccnz .LBB62_3
.LBB62_2:
	s_mov_b32 s7, 0
	s_mov_b64 s[12:13], -1
.LBB62_3:
	s_andn2_b64 vcc, exec, s[12:13]
	s_cbranch_vccnz .LBB62_22
; %bb.4:
	s_load_dwordx2 s[12:13], s[4:5], 0x28
	s_lshl_b64 s[10:11], s[6:7], 2
	s_waitcnt lgkmcnt(0)
	s_add_u32 s12, s12, s10
	s_addc_u32 s13, s13, s11
	s_load_dword s33, s[12:13], 0x0
	s_lshl_b32 s14, s28, 8
	s_waitcnt lgkmcnt(0)
	s_cmp_ge_i32 s14, s33
	s_cbranch_scc1 .LBB62_22
; %bb.5:
	s_add_i32 s15, s33, 31
	s_load_dwordx2 s[12:13], s[4:5], 0x20
	s_load_dword s9, s[4:5], 0x38
	s_ashr_i32 s16, s15, 31
	v_and_b32_e32 v1, 0xcf, v0
	s_lshr_b32 s16, s16, 27
	v_add_u32_e32 v1, s14, v1
	s_add_i32 s15, s15, s16
	v_ashrrev_i32_e32 v2, 31, v1
	s_ashr_i32 s17, s15, 5
	v_lshrrev_b32_e32 v6, 27, v2
	s_add_i32 s17, s17, -1
	v_add_u32_e32 v2, v1, v6
	s_waitcnt lgkmcnt(0)
	s_mul_i32 s18, s6, s9
	s_mov_b32 s19, 0
	v_ashrrev_i32_e32 v2, 5, v2
	v_mov_b32_e32 v7, s17
	v_cmp_gt_i32_e32 vcc, s33, v1
	s_lshl_b64 s[18:19], s[18:19], 2
	v_cndmask_b32_e32 v2, v7, v2, vcc
	s_add_u32 s15, s12, s18
	v_ashrrev_i32_e32 v3, 31, v2
	s_addc_u32 s16, s13, s19
	v_lshlrev_b64 v[2:3], 2, v[2:3]
	v_mov_b32_e32 v4, s16
	v_add_co_u32_e32 v2, vcc, s15, v2
	v_addc_co_u32_e32 v3, vcc, v4, v3, vcc
	v_or_b32_e32 v4, 16, v1
	v_add_u32_e32 v5, v4, v6
	v_ashrrev_i32_e32 v5, 5, v5
	v_cmp_gt_i32_e32 vcc, s33, v4
	v_cndmask_b32_e32 v4, v7, v5, vcc
	v_ashrrev_i32_e32 v5, 31, v4
	v_lshlrev_b64 v[4:5], 2, v[4:5]
	v_mov_b32_e32 v9, s16
	v_add_co_u32_e32 v8, vcc, s15, v4
	v_or_b32_e32 v4, 32, v1
	v_addc_co_u32_e32 v9, vcc, v9, v5, vcc
	v_add_u32_e32 v5, v4, v6
	v_ashrrev_i32_e32 v5, 5, v5
	v_cmp_gt_i32_e32 vcc, s33, v4
	v_cndmask_b32_e32 v4, v7, v5, vcc
	v_ashrrev_i32_e32 v5, 31, v4
	v_lshlrev_b64 v[4:5], 2, v[4:5]
	v_mov_b32_e32 v11, s16
	v_add_co_u32_e32 v10, vcc, s15, v4
	v_or_b32_e32 v1, 48, v1
	v_addc_co_u32_e32 v11, vcc, v11, v5, vcc
	v_add_u32_e32 v4, v1, v6
	v_ashrrev_i32_e32 v4, 5, v4
	v_cmp_gt_i32_e32 vcc, s33, v1
	v_cndmask_b32_e32 v4, v7, v4, vcc
	v_ashrrev_i32_e32 v5, 31, v4
	v_lshlrev_b64 v[4:5], 2, v[4:5]
	v_mov_b32_e32 v1, s16
	v_add_co_u32_e32 v12, vcc, s15, v4
	v_addc_co_u32_e32 v13, vcc, v1, v5, vcc
	global_load_dword v7, v[2:3], off
	global_load_dword v6, v[8:9], off
	;; [unrolled: 1-line block ×4, first 2 shown]
	s_andn2_b64 vcc, exec, s[2:3]
	s_cbranch_vccnz .LBB62_8
; %bb.6:
	s_add_u32 s0, s0, s10
	s_addc_u32 s1, s1, s11
	s_load_dword s9, s[0:1], 0x0
	s_branch .LBB62_9
.LBB62_7:
	s_mov_b64 s[12:13], 0
	s_branch .LBB62_2
.LBB62_8:
	s_mov_b32 s9, s6
.LBB62_9:
	s_load_dwordx2 s[10:11], s[4:5], 0x8
	s_load_dwordx4 s[44:47], s[4:5], 0x48
	v_lshrrev_b32_e32 v53, 6, v0
	v_bfe_u32 v1, v0, 4, 2
	v_lshl_or_b32 v8, v53, 2, v1
	v_and_b32_e32 v52, 15, v0
	v_cmp_lt_u32_e32 vcc, 6, v8
	v_cmp_lt_u32_e64 s[2:3], 7, v52
	v_lshlrev_b32_e32 v2, 3, v52
	v_cmp_gt_u32_e64 s[0:1], 8, v52
	s_or_b64 s[2:3], s[2:3], vcc
	s_and_saveexec_b64 s[12:13], s[2:3]
	s_xor_b64 s[2:3], exec, s[12:13]
; %bb.10:
	v_mov_b32_e32 v3, 0
                                        ; implicit-def: $vgpr8
; %bb.11:
	s_or_saveexec_b64 s[12:13], s[2:3]
	s_load_dwordx2 s[2:3], s[4:5], 0x10
	s_mul_i32 s29, s8, 7
	s_xor_b64 exec, exec, s[12:13]
	s_cbranch_execz .LBB62_13
; %bb.12:
	s_load_dwordx2 s[18:19], s[4:5], 0x0
	s_waitcnt lgkmcnt(0)
	s_ashr_i32 s20, s44, 31
	s_mul_hi_u32 s21, s9, s44
	s_mul_i32 s20, s9, s20
	s_add_i32 s21, s21, s20
	s_mul_i32 s20, s9, s44
	s_lshl_b64 s[20:21], s[20:21], 1
	v_add_lshl_u32 v10, v8, s29, 6
	s_add_u32 s9, s18, s20
	v_ashrrev_i32_e32 v11, 31, v10
	s_addc_u32 s18, s19, s21
	v_lshlrev_b64 v[10:11], 1, v[10:11]
	v_mov_b32_e32 v3, s18
	v_add_co_u32_e32 v9, vcc, s9, v10
	v_addc_co_u32_e32 v3, vcc, v3, v11, vcc
	v_lshlrev_b32_e32 v10, 1, v2
	v_add_co_u32_e32 v10, vcc, v9, v10
	v_addc_co_u32_e32 v11, vcc, 0, v3, vcc
	global_load_dwordx4 v[10:13], v[10:11], off
	v_and_b32_e32 v9, 3, v0
	v_lshlrev_b32_e32 v14, 9, v52
	v_lshlrev_b32_e32 v8, 5, v8
	;; [unrolled: 1-line block ×3, first 2 shown]
	v_and_b32_e32 v14, 0x1800, v14
	v_mov_b32_e32 v3, 0
	v_or3_b32 v8, v14, v9, v8
	s_waitcnt vmcnt(0)
	ds_write_b128 v8, v[10:13]
.LBB62_13:
	s_or_b64 exec, exec, s[12:13]
	s_waitcnt lgkmcnt(0)
	s_mul_i32 s8, s8, s46
	s_mov_b32 s9, 0
	s_lshl_b64 s[8:9], s[8:9], 1
	s_add_u32 s12, s10, s8
	s_addc_u32 s13, s11, s9
	s_waitcnt vmcnt(3)
	v_mad_i64_i32 v[8:9], s[10:11], v7, s45, 0
	v_lshlrev_b64 v[8:9], 1, v[8:9]
	v_mov_b32_e32 v7, s13
	v_add_co_u32_e32 v8, vcc, s12, v8
	v_addc_co_u32_e32 v7, vcc, v7, v9, vcc
	v_lshlrev_b64 v[42:43], 1, v[2:3]
	v_add_co_u32_e32 v2, vcc, v8, v42
	v_lshlrev_b32_e32 v24, 9, v1
	v_addc_co_u32_e32 v3, vcc, v7, v43, vcc
	v_add_co_u32_e32 v2, vcc, v2, v24
	v_addc_co_u32_e32 v3, vcc, 0, v3, vcc
	s_barrier
	global_load_dwordx4 v[38:41], v[2:3], off
	global_load_dwordx4 v[34:37], v[2:3], off offset:2048
	s_waitcnt vmcnt(4)
	v_mad_i64_i32 v[2:3], s[10:11], v6, s45, 0
	v_lshlrev_b64 v[2:3], 1, v[2:3]
	v_mov_b32_e32 v6, s13
	v_add_co_u32_e32 v2, vcc, s12, v2
	v_addc_co_u32_e32 v3, vcc, v6, v3, vcc
	v_mov_b32_e32 v6, 0x100
	v_lshl_or_b32 v18, v52, 4, v6
	v_add_co_u32_e32 v2, vcc, v2, v18
	v_addc_co_u32_e32 v3, vcc, 0, v3, vcc
	v_add_co_u32_e32 v2, vcc, v2, v24
	v_addc_co_u32_e32 v3, vcc, 0, v3, vcc
	global_load_dwordx4 v[30:33], v[2:3], off
	global_load_dwordx4 v[14:17], v[2:3], off offset:2048
	s_waitcnt vmcnt(5)
	v_mad_i64_i32 v[2:3], s[10:11], v5, s45, 0
	v_lshlrev_b64 v[2:3], 1, v[2:3]
	v_mov_b32_e32 v5, s13
	v_add_co_u32_e32 v2, vcc, s12, v2
	v_addc_co_u32_e32 v3, vcc, v5, v3, vcc
	v_add_co_u32_e32 v2, vcc, v2, v42
	v_addc_co_u32_e32 v3, vcc, v3, v43, vcc
	;; [unrolled: 2-line block ×3, first 2 shown]
	global_load_dwordx4 v[10:13], v[2:3], off
	global_load_dwordx4 v[6:9], v[2:3], off offset:2048
	s_waitcnt vmcnt(6)
	v_mad_i64_i32 v[2:3], s[10:11], v4, s45, 0
	v_lshlrev_b64 v[2:3], 1, v[2:3]
	v_mov_b32_e32 v4, s13
	v_add_co_u32_e32 v2, vcc, s12, v2
	v_addc_co_u32_e32 v3, vcc, v4, v3, vcc
	v_add_co_u32_e32 v2, vcc, v2, v18
	v_addc_co_u32_e32 v3, vcc, 0, v3, vcc
	;; [unrolled: 2-line block ×3, first 2 shown]
	global_load_dwordx4 v[2:5], v[22:23], off
	global_load_dwordx4 v[18:21], v[22:23], off offset:2048
	v_mul_lo_u16_e32 v22, 37, v52
	v_mov_b32_e32 v23, 7
	v_mul_lo_u16_sdwa v22, v22, v23 dst_sel:DWORD dst_unused:UNUSED_PAD src0_sel:BYTE_1 src1_sel:DWORD
	v_sub_u16_e32 v22, v52, v22
	v_and_b32_e32 v22, 0xff, v22
	v_lshl_add_u32 v22, v22, 5, v24
	ds_read_b128 v[26:29], v22
	ds_read_b128 v[22:25], v22 offset:2048
	v_and_b32_e32 v54, 63, v0
	v_cmp_gt_u32_e32 vcc, 7, v52
	v_mov_b32_e32 v50, 0
	s_and_saveexec_b64 s[10:11], vcc
	s_cbranch_execz .LBB62_15
; %bb.14:
	s_load_dwordx2 s[12:13], s[4:5], 0x40
	v_add_u32_e32 v44, s29, v52
	v_ashrrev_i32_e32 v45, 31, v44
	v_lshlrev_b64 v[44:45], 2, v[44:45]
	s_waitcnt lgkmcnt(0)
	v_mov_b32_e32 v46, s13
	v_add_co_u32_e32 v44, vcc, s12, v44
	v_addc_co_u32_e32 v45, vcc, v46, v45, vcc
	global_load_dword v50, v[44:45], off
.LBB62_15:
	s_or_b64 exec, exec, s[10:11]
	s_waitcnt vmcnt(7) lgkmcnt(1)
	v_mfma_f32_16x16x16f16 v[44:47], v[38:39], v[26:27], 0
	s_ashr_i32 s10, s14, 31
	s_lshr_b32 s11, s10, 27
	v_mov_b32_e32 v49, s16
	s_add_u32 s2, s2, s8
	s_addc_u32 s3, s3, s9
	s_load_dword s10, s[4:5], 0x1c
	s_mov_b32 s42, 0xff7fffff
	v_mfma_f32_16x16x16f16 v[38:41], v[40:41], v[28:29], v[44:47]
	s_waitcnt vmcnt(6) lgkmcnt(0)
	v_mfma_f32_16x16x16f16 v[38:41], v[34:35], v[22:23], v[38:41]
	s_nop 4
	v_and_or_b32 v46, v0, 48, s14
	v_add_u32_e32 v34, s11, v46
	v_ashrrev_i32_e32 v34, 5, v34
	v_mov_b32_e32 v47, s17
	v_cmp_gt_i32_e32 vcc, s33, v46
	v_cndmask_b32_e32 v34, v47, v34, vcc
	v_ashrrev_i32_e32 v35, 31, v34
	v_lshlrev_b64 v[44:45], 2, v[34:35]
	v_mfma_f32_16x16x16f16 v[34:37], v[36:37], v[24:25], v[38:41]
	s_nop 6
	v_mov_b32_e32 v39, s16
	v_add_co_u32_e32 v38, vcc, s15, v44
	v_addc_co_u32_e32 v39, vcc, v39, v45, vcc
	global_load_dword v48, v[38:39], off
	s_waitcnt vmcnt(6)
	v_mfma_f32_16x16x16f16 v[38:41], v[30:31], v[26:27], 0
	v_or_b32_e32 v44, 64, v46
	v_add_u32_e32 v30, s11, v44
	v_ashrrev_i32_e32 v30, 5, v30
	v_cmp_gt_i32_e32 vcc, s33, v44
	v_cndmask_b32_e32 v30, v47, v30, vcc
	v_ashrrev_i32_e32 v31, 31, v30
	v_lshlrev_b64 v[44:45], 2, v[30:31]
	v_mfma_f32_16x16x16f16 v[30:33], v[32:33], v[28:29], v[38:41]
	s_nop 6
	v_add_co_u32_e32 v38, vcc, s15, v44
	v_addc_co_u32_e32 v39, vcc, v49, v45, vcc
	global_load_dword v40, v[38:39], off
	v_or_b32_e32 v38, 0x80, v46
	v_add_u32_e32 v39, s11, v38
	v_ashrrev_i32_e32 v39, 5, v39
	v_cmp_gt_i32_e32 vcc, s33, v38
	v_cndmask_b32_e32 v38, v47, v39, vcc
	v_ashrrev_i32_e32 v39, 31, v38
	s_waitcnt vmcnt(6)
	v_mfma_f32_16x16x16f16 v[30:33], v[14:15], v[22:23], v[30:33]
	v_lshlrev_b64 v[14:15], 2, v[38:39]
	v_mov_b32_e32 v38, s16
	v_add_co_u32_e32 v14, vcc, s15, v14
	v_addc_co_u32_e32 v15, vcc, v38, v15, vcc
	global_load_dword v41, v[14:15], off
	v_mfma_f32_16x16x16f16 v[30:33], v[16:17], v[24:25], v[30:33]
	v_or_b32_e32 v38, 0xc0, v46
	v_cmp_gt_i32_e32 vcc, s33, v38
	v_mov_b32_e32 v44, s16
	s_waitcnt vmcnt(6)
	v_mfma_f32_16x16x16f16 v[14:17], v[10:11], v[26:27], 0
	v_add_u32_e32 v10, s11, v38
	v_ashrrev_i32_e32 v10, 5, v10
	v_cndmask_b32_e32 v10, v47, v10, vcc
	v_ashrrev_i32_e32 v11, 31, v10
	v_lshlrev_b64 v[38:39], 2, v[10:11]
	s_nop 0
	v_pk_mul_f32 v[46:47], s[10:11], v[30:31] op_sel_hi:[0,1]
	v_mfma_f32_16x16x16f16 v[10:13], v[12:13], v[28:29], v[14:17]
	s_nop 6
	v_add_co_u32_e32 v14, vcc, s15, v38
	s_waitcnt vmcnt(5)
	v_mfma_f32_16x16x16f16 v[10:13], v[6:7], v[22:23], v[10:13]
	v_addc_co_u32_e32 v15, vcc, v44, v39, vcc
	global_load_dword v51, v[14:15], off
	v_and_b32_e32 v14, 16, v0
	v_lshlrev_b32_e32 v14, 1, v14
	v_mov_b32_e32 v6, s3
	v_add_co_u32_e32 v7, vcc, s2, v14
	v_lshlrev_b32_e32 v14, 6, v52
	v_addc_co_u32_e32 v6, vcc, 0, v6, vcc
	v_lshl_or_b32 v14, v53, 10, v14
	v_add_co_u32_e32 v55, vcc, v7, v14
	v_addc_co_u32_e32 v60, vcc, 0, v6, vcc
	v_mfma_f32_16x16x16f16 v[56:59], v[8:9], v[24:25], v[10:13]
	s_waitcnt vmcnt(3)
	v_mad_i64_i32 v[6:7], s[2:3], v48, s45, 0
	v_pk_mul_f32 v[48:49], s[10:11], v[36:37] op_sel_hi:[0,1]
	v_pk_mul_f32 v[44:45], s[10:11], v[32:33] op_sel_hi:[0,1]
	s_waitcnt vmcnt(1)
	v_mad_i64_i32 v[38:39], s[2:3], v41, s45, 0
	s_nop 0
	v_lshlrev_b64 v[10:11], 1, v[6:7]
	v_mfma_f32_16x16x16f16 v[6:9], v[2:3], v[26:27], 0
	v_add_co_u32_e32 v2, vcc, v55, v10
	v_addc_co_u32_e32 v3, vcc, v60, v11, vcc
	global_load_dwordx4 v[14:17], v[2:3], off
	global_load_dwordx4 v[10:13], v[2:3], off offset:16
	v_mad_i64_i32 v[2:3], s[2:3], v40, s45, 0
	v_mfma_f32_16x16x16f16 v[26:29], v[4:5], v[28:29], v[6:9]
	v_lshlrev_b64 v[2:3], 1, v[2:3]
	v_add_co_u32_e32 v2, vcc, v55, v2
	v_addc_co_u32_e32 v3, vcc, v60, v3, vcc
	v_lshlrev_b64 v[38:39], 1, v[38:39]
	v_pk_mul_f32 v[40:41], s[10:11], v[56:57] op_sel_hi:[0,1]
	v_mfma_f32_16x16x16f16 v[26:29], v[18:19], v[22:23], v[26:29]
	v_pk_mul_f32 v[18:19], s[10:11], v[34:35] op_sel_hi:[0,1]
	v_add_co_u32_e32 v22, vcc, v55, v38
	v_addc_co_u32_e32 v23, vcc, v60, v39, vcc
	v_pk_mul_f32 v[38:39], s[10:11], v[58:59] op_sel_hi:[0,1]
	global_load_dwordx4 v[6:9], v[2:3], off
	s_nop 0
	global_load_dwordx4 v[2:5], v[2:3], off offset:16
	v_mfma_f32_16x16x16f16 v[24:27], v[20:21], v[24:25], v[26:29]
	v_and_b32_e32 v20, 0xc0, v0
	v_add_u32_e32 v20, s14, v20
	v_lshl_or_b32 v20, v1, 2, v20
	v_or_b32_e32 v21, 1, v20
	v_cmp_gt_i32_e64 s[30:31], s33, v20
	v_cmp_gt_i32_e64 s[34:35], s33, v21
	s_nop 4
	v_pk_mul_f32 v[36:37], s[10:11], v[24:25] op_sel_hi:[0,1]
	v_subrev_u32_e32 v24, s33, v21
	v_pk_mul_f32 v[34:35], s[10:11], v[26:27] op_sel_hi:[0,1]
	v_add_u32_e32 v26, 1, v24
	v_add_u32_e32 v27, 2, v24
	v_cvt_f32_i32_e32 v25, v24
	v_cvt_f32_i32_e32 v26, v26
	;; [unrolled: 1-line block ×3, first 2 shown]
	v_add_u32_e32 v28, 3, v24
	v_fma_f32 v18, v50, v25, v18
	v_fmac_f32_e32 v19, v50, v26
	v_fma_f32 v48, v50, v27, v48
	v_add_u32_e32 v25, 16, v24
	v_add_u32_e32 v26, 17, v24
	;; [unrolled: 1-line block ×3, first 2 shown]
	v_cvt_f32_i32_e32 v28, v28
	v_cvt_f32_i32_e32 v25, v25
	v_cvt_f32_i32_e32 v26, v26
	v_cvt_f32_i32_e32 v27, v27
	v_fmac_f32_e32 v49, v50, v28
	v_add_u32_e32 v28, 19, v24
	v_fma_f32 v46, v50, v25, v46
	v_fmac_f32_e32 v47, v50, v26
	v_fma_f32 v44, v50, v27, v44
	v_add_u32_e32 v25, 32, v24
	v_add_u32_e32 v26, 33, v24
	v_add_u32_e32 v27, 34, v24
	v_cvt_f32_i32_e32 v28, v28
	v_cvt_f32_i32_e32 v25, v25
	;; [unrolled: 1-line block ×4, first 2 shown]
	v_fmac_f32_e32 v45, v50, v28
	v_add_u32_e32 v28, 35, v24
	v_fma_f32 v40, v50, v25, v40
	v_fmac_f32_e32 v41, v50, v26
	v_fma_f32 v38, v50, v27, v38
	v_add_u32_e32 v25, 48, v24
	v_add_u32_e32 v26, 49, v24
	;; [unrolled: 1-line block ×4, first 2 shown]
	v_cvt_f32_i32_e32 v24, v24
	v_cvt_f32_i32_e32 v25, v25
	;; [unrolled: 1-line block ×4, first 2 shown]
	v_fmac_f32_e32 v35, v50, v24
	v_mov_b32_e32 v24, 0xff7fffff
	v_fma_f32 v36, v50, v25, v36
	v_cndmask_b32_e64 v25, v24, v18, s[30:31]
	v_cndmask_b32_e64 v21, v24, v19, s[34:35]
	v_fmac_f32_e32 v37, v50, v26
	v_max3_f32 v21, v25, s42, v21
	v_or_b32_e32 v25, 2, v20
	v_or_b32_e32 v26, 3, v20
	v_cmp_gt_i32_e64 s[36:37], s33, v25
	v_cmp_gt_i32_e64 s[38:39], s33, v26
	v_cndmask_b32_e64 v25, v24, v48, s[36:37]
	v_cndmask_b32_e64 v26, v24, v49, s[38:39]
	v_max3_f32 v21, v21, v25, v26
	v_or_b32_e32 v25, 16, v20
	v_or_b32_e32 v26, 17, v20
	v_cmp_gt_i32_e64 s[24:25], s33, v25
	v_cmp_gt_i32_e64 s[26:27], s33, v26
	v_cndmask_b32_e64 v25, v24, v46, s[24:25]
	v_cndmask_b32_e64 v26, v24, v47, s[26:27]
	;; [unrolled: 7-line block ×4, first 2 shown]
	v_max3_f32 v21, v21, v25, v26
	v_or_b32_e32 v25, 34, v20
	v_or_b32_e32 v26, 35, v20
	v_fmac_f32_e32 v39, v50, v28
	v_cmp_gt_i32_e64 s[12:13], s33, v25
	v_cmp_gt_i32_e64 s[14:15], s33, v26
	v_cndmask_b32_e64 v25, v24, v38, s[12:13]
	v_cndmask_b32_e64 v26, v24, v39, s[14:15]
	v_cvt_f32_i32_e32 v27, v27
	v_max3_f32 v21, v21, v25, v26
	v_or_b32_e32 v25, 48, v20
	v_or_b32_e32 v26, 49, v20
	v_cmp_gt_i32_e64 s[8:9], s33, v25
	v_cmp_gt_i32_e64 s[10:11], s33, v26
	v_cndmask_b32_e64 v25, v24, v36, s[8:9]
	v_cndmask_b32_e64 v26, v24, v37, s[10:11]
	v_max3_f32 v21, v21, v25, v26
	v_or_b32_e32 v25, 50, v20
	v_or_b32_e32 v20, 51, v20
	v_fma_f32 v34, v50, v27, v34
	v_cmp_gt_i32_e32 vcc, s33, v25
	v_cmp_gt_i32_e64 s[2:3], s33, v20
	v_cndmask_b32_e32 v25, v24, v34, vcc
	v_cndmask_b32_e64 v20, v24, v35, s[2:3]
	v_max3_f32 v26, v21, v25, v20
	v_mbcnt_lo_u32_b32 v20, -1, 0
	v_mbcnt_hi_u32_b32 v27, -1, v20
	v_and_b32_e32 v20, 64, v27
	v_add_u32_e32 v28, 64, v20
	v_xor_b32_e32 v20, 32, v27
	v_cmp_lt_i32_e64 s[40:41], v20, v28
	v_cndmask_b32_e64 v20, v27, v20, s[40:41]
	v_lshlrev_b32_e32 v56, 2, v20
	ds_bpermute_b32 v29, v56, v26
	s_waitcnt vmcnt(4)
	v_mad_i64_i32 v[20:21], s[40:41], v51, s45, 0
	v_lshlrev_b64 v[20:21], 1, v[20:21]
	global_load_dwordx4 v[30:33], v[22:23], off
	s_nop 0
	global_load_dwordx4 v[22:25], v[22:23], off offset:16
	s_waitcnt lgkmcnt(0)
	v_max_f32_e32 v29, v29, v29
	v_max_f32_e32 v26, v26, v29
	v_xor_b32_e32 v29, 16, v27
	v_cmp_lt_i32_e64 s[40:41], v29, v28
	v_cndmask_b32_e64 v27, v27, v29, s[40:41]
	v_lshlrev_b32_e32 v58, 2, v27
	ds_bpermute_b32 v27, v58, v26
	v_add_co_u32_e64 v20, s[40:41], v55, v20
	v_addc_co_u32_e64 v21, s[40:41], v60, v21, s[40:41]
	s_waitcnt lgkmcnt(0)
	v_max_f32_e32 v27, v27, v27
	v_max_f32_e32 v55, v26, v27
	v_sub_f32_e32 v18, v18, v55
	v_mul_f32_e32 v18, 0x3fb8aa3b, v18
	v_exp_f32_e32 v50, v18
	v_sub_f32_e32 v18, v19, v55
	v_mul_f32_e32 v18, 0x3fb8aa3b, v18
	v_exp_f32_e32 v51, v18
	global_load_dwordx4 v[26:29], v[20:21], off
	s_nop 0
	global_load_dwordx4 v[18:21], v[20:21], off offset:16
	v_sub_f32_e32 v48, v48, v55
	v_mul_f32_e32 v48, 0x3fb8aa3b, v48
	v_sub_f32_e32 v49, v49, v55
	v_exp_f32_e32 v48, v48
	v_mul_f32_e32 v49, 0x3fb8aa3b, v49
	v_sub_f32_e32 v46, v46, v55
	v_exp_f32_e32 v49, v49
	v_mul_f32_e32 v46, 0x3fb8aa3b, v46
	v_sub_f32_e32 v47, v47, v55
	v_cndmask_b32_e64 v50, 0, v50, s[30:31]
	v_exp_f32_e32 v46, v46
	v_mul_f32_e32 v47, 0x3fb8aa3b, v47
	v_sub_f32_e32 v44, v44, v55
	v_add_f32_e32 v57, 0, v50
	v_cndmask_b32_e64 v51, 0, v51, s[34:35]
	v_exp_f32_e32 v47, v47
	v_mul_f32_e32 v44, 0x3fb8aa3b, v44
	v_sub_f32_e32 v45, v45, v55
	v_add_f32_e32 v57, v57, v51
	;; [unrolled: 5-line block ×10, first 2 shown]
	v_cndmask_b32_e64 v38, 0, v38, s[12:13]
	v_exp_f32_e32 v34, v34
	v_mul_f32_e32 v35, 0x3fb8aa3b, v35
	v_add_f32_e32 v57, v57, v38
	v_cndmask_b32_e64 v39, 0, v39, s[14:15]
	v_exp_f32_e32 v35, v35
	v_add_f32_e32 v57, v57, v39
	v_cndmask_b32_e64 v36, 0, v36, s[8:9]
	v_add_f32_e32 v57, v57, v36
	v_cndmask_b32_e64 v37, 0, v37, s[10:11]
	v_add_f32_e32 v57, v57, v37
	v_cndmask_b32_e32 v34, 0, v34, vcc
	v_add_f32_e32 v57, v57, v34
	v_cndmask_b32_e64 v35, 0, v35, s[2:3]
	v_add_f32_e32 v57, v57, v35
	ds_bpermute_b32 v56, v56, v57
	s_load_dword s9, s[4:5], 0x98
	v_cmp_gt_u32_e32 vcc, 16, v54
	s_waitcnt lgkmcnt(0)
	s_barrier
	v_add_f32_e32 v57, v57, v56
	ds_bpermute_b32 v58, v58, v57
	v_lshlrev_b32_e32 v56, 2, v52
	s_waitcnt lgkmcnt(0)
	s_and_saveexec_b64 s[2:3], vcc
	s_cbranch_execz .LBB62_17
; %bb.16:
	v_add_f32_e32 v54, v57, v58
	v_lshl_or_b32 v57, v53, 6, v56
	ds_write2st64_b32 v57, v55, v54 offset1:1
.LBB62_17:
	s_or_b64 exec, exec, s[2:3]
	s_load_dword s8, s[4:5], 0x94
	s_waitcnt lgkmcnt(0)
	s_barrier
	ds_read2_b32 v[58:59], v56 offset1:16
	ds_read2_b32 v[60:61], v56 offset0:32 offset1:48
	ds_read2_b32 v[62:63], v56 offset0:64 offset1:80
	;; [unrolled: 1-line block ×3, first 2 shown]
	s_waitcnt lgkmcnt(0)
	v_max3_f32 v54, v58, s42, v59
	v_max3_f32 v54, v54, v60, v61
	v_sub_f32_e32 v55, v58, v54
	v_mul_f32_e32 v55, 0x3fb8aa3b, v55
	v_exp_f32_e32 v58, v55
	v_sub_f32_e32 v55, v59, v54
	v_mul_f32_e32 v55, 0x3fb8aa3b, v55
	v_exp_f32_e32 v59, v55
	;; [unrolled: 3-line block ×4, first 2 shown]
	v_fma_f32 v55, v58, v62, 0
	v_fmac_f32_e32 v55, v59, v63
	v_fmac_f32_e32 v55, v60, v56
	;; [unrolled: 1-line block ×3, first 2 shown]
	v_add_f32_e32 v56, 0x358637bd, v55
	v_div_scale_f32 v57, s[2:3], v56, v56, 1.0
	v_rcp_f32_e32 v62, v57
	s_barrier
	s_mul_i32 s9, s9, 7
	v_fma_f32 v63, -v57, v62, 1.0
	v_fmac_f32_e32 v62, v63, v62
	v_div_scale_f32 v63, vcc, 1.0, v56, 1.0
	v_mul_f32_e32 v64, v63, v62
	v_fma_f32 v65, -v57, v64, v63
	v_fmac_f32_e32 v64, v65, v62
	v_fma_f32 v57, -v57, v64, v63
	v_div_fmas_f32 v57, v57, v62, v64
	v_cmp_eq_u32_e32 vcc, 1, v53
	v_div_fixup_f32 v56, v57, v56, 1.0
	v_cndmask_b32_e32 v57, v58, v59, vcc
	v_cmp_eq_u32_e32 vcc, 2, v53
	v_cndmask_b32_e32 v57, v57, v60, vcc
	v_cmp_eq_u32_e32 vcc, 3, v53
	v_cndmask_b32_e32 v57, v57, v61, vcc
	v_mul_f32_e32 v56, v57, v56
	v_pk_mul_f32 v[48:49], v[56:57], v[48:49] op_sel_hi:[0,1]
	v_pk_mul_f32 v[50:51], v[56:57], v[50:51] op_sel_hi:[0,1]
	v_cvt_f16_f32_e32 v50, v50
	v_cvt_f16_f32_e32 v51, v51
	;; [unrolled: 1-line block ×4, first 2 shown]
	v_pk_mul_f32 v[44:45], v[56:57], v[44:45] op_sel_hi:[0,1]
	v_pk_mul_f32 v[46:47], v[56:57], v[46:47] op_sel_hi:[0,1]
	v_cvt_f16_f32_e32 v46, v46
	v_cvt_f16_f32_e32 v47, v47
	;; [unrolled: 1-line block ×4, first 2 shown]
	v_pack_b32_f16 v50, v50, v51
	v_pack_b32_f16 v51, v48, v49
	v_lshlrev_b32_e32 v49, 3, v1
	v_lshlrev_b32_e32 v48, 5, v52
	;; [unrolled: 1-line block ×3, first 2 shown]
	v_or3_b32 v44, v44, v48, v49
	v_pack_b32_f16 v46, v46, v47
	v_pack_b32_f16 v47, v57, v45
	v_pk_mul_f32 v[38:39], v[56:57], v[38:39] op_sel_hi:[0,1]
	v_pk_mul_f32 v[40:41], v[56:57], v[40:41] op_sel_hi:[0,1]
	;; [unrolled: 1-line block ×4, first 2 shown]
	ds_write2st64_b64 v44, v[50:51], v[46:47] offset1:1
	v_cvt_f16_f32_e32 v40, v40
	v_cvt_f16_f32_e32 v41, v41
	;; [unrolled: 1-line block ×8, first 2 shown]
	v_pack_b32_f16 v34, v40, v41
	v_pack_b32_f16 v35, v38, v39
	;; [unrolled: 1-line block ×4, first 2 shown]
	v_cmp_gt_u32_e32 vcc, 7, v0
	ds_write2st64_b64 v44, v[34:35], v[36:37] offset0:2 offset1:3
	s_and_saveexec_b64 s[2:3], vcc
	s_cbranch_execz .LBB62_19
; %bb.18:
	v_add_co_u32_e32 v36, vcc, s29, v52
	v_addc_co_u32_e64 v37, s[10:11], 0, 0, vcc
	v_mov_b32_e32 v34, s9
	v_mov_b32_e32 v35, 0
	v_mad_u64_u32 v[36:37], s[10:11], s6, v34, v[36:37]
	v_mov_b32_e32 v34, s28
	s_load_dwordx4 s[12:15], s[4:5], 0x58
	s_mul_i32 s7, s7, s9
	v_mad_u64_u32 v[34:35], s[10:11], v36, s8, v[34:35]
	v_add_u32_e32 v37, s7, v37
	v_mov_b32_e32 v36, v35
	v_mad_u64_u32 v[36:37], s[10:11], v37, s8, v[36:37]
	v_mov_b32_e32 v35, v36
	v_lshlrev_b64 v[34:35], 2, v[34:35]
	s_waitcnt lgkmcnt(0)
	v_mov_b32_e32 v37, s15
	v_add_co_u32_e32 v36, vcc, s14, v34
	v_addc_co_u32_e32 v37, vcc, v37, v35, vcc
	global_store_dword v[36:37], v54, off
	v_mov_b32_e32 v36, s13
	v_add_co_u32_e32 v34, vcc, s12, v34
	v_addc_co_u32_e32 v35, vcc, v36, v35, vcc
	global_store_dword v[34:35], v55, off
.LBB62_19:
	s_or_b64 exec, exec, s[2:3]
	v_lshl_or_b32 v45, v1, 9, v48
	s_waitcnt lgkmcnt(0)
	s_barrier
	ds_read_b128 v[34:37], v45
	ds_read_b128 v[38:41], v45 offset:16
	s_waitcnt vmcnt(7) lgkmcnt(1)
	v_mfma_f32_16x16x16f16 v[46:49], v[14:15], v[34:35], 0
	v_cmp_gt_u32_e32 vcc, 64, v0
	s_mov_b32 s3, 0
	s_and_b64 s[0:1], vcc, s[0:1]
	v_mfma_f32_16x16x16f16 v[14:17], v[16:17], v[36:37], v[46:49]
	s_waitcnt vmcnt(6) lgkmcnt(0)
	v_mfma_f32_16x16x16f16 v[14:17], v[10:11], v[38:39], v[14:17]
	v_mfma_f32_16x16x16f16 v[10:13], v[12:13], v[40:41], v[14:17]
	s_nop 7
	s_nop 1
	ds_read_b128 v[14:17], v45 offset:2048
	ds_read_b128 v[34:37], v45 offset:2064
	s_waitcnt vmcnt(5) lgkmcnt(1)
	v_mfma_f32_16x16x16f16 v[10:13], v[6:7], v[14:15], v[10:13]
	v_mfma_f32_16x16x16f16 v[6:9], v[8:9], v[16:17], v[10:13]
	s_waitcnt vmcnt(4) lgkmcnt(0)
	v_mfma_f32_16x16x16f16 v[6:9], v[2:3], v[34:35], v[6:9]
	v_mfma_f32_16x16x16f16 v[2:5], v[4:5], v[36:37], v[6:9]
	s_nop 7
	s_nop 1
	ds_read_b128 v[6:9], v45 offset:4096
	ds_read_b128 v[10:13], v45 offset:4112
	s_waitcnt vmcnt(3) lgkmcnt(1)
	v_mfma_f32_16x16x16f16 v[2:5], v[30:31], v[6:7], v[2:5]
	v_mfma_f32_16x16x16f16 v[2:5], v[32:33], v[8:9], v[2:5]
	s_waitcnt vmcnt(2) lgkmcnt(0)
	v_mfma_f32_16x16x16f16 v[2:5], v[22:23], v[10:11], v[2:5]
	v_mfma_f32_16x16x16f16 v[2:5], v[24:25], v[12:13], v[2:5]
	ds_read_b128 v[6:9], v45 offset:6144
	ds_read_b128 v[10:13], v45 offset:6160
	s_waitcnt lgkmcnt(0)
	s_barrier
	s_waitcnt vmcnt(1)
	v_mfma_f32_16x16x16f16 v[2:5], v[26:27], v[6:7], v[2:5]
	v_mfma_f32_16x16x16f16 v[2:5], v[28:29], v[8:9], v[2:5]
	s_waitcnt vmcnt(0)
	v_mfma_f32_16x16x16f16 v[2:5], v[18:19], v[10:11], v[2:5]
	v_mfma_f32_16x16x16f16 v[2:5], v[20:21], v[12:13], v[2:5]
	s_nop 7
	s_nop 2
	v_cvt_f16_f32_e32 v2, v2
	v_cvt_f16_f32_e32 v3, v3
	;; [unrolled: 1-line block ×4, first 2 shown]
	v_pack_b32_f16 v2, v2, v3
	v_pack_b32_f16 v3, v4, v5
	ds_write_b64 v44, v[2:3]
	s_waitcnt lgkmcnt(0)
	s_barrier
	s_and_saveexec_b64 s[10:11], s[0:1]
	s_cbranch_execz .LBB62_22
; %bb.20:
	s_load_dwordx2 s[4:5], s[4:5], 0x68
	s_lshl_b32 s0, s8, 6
	s_mul_i32 s1, s9, s6
	s_mul_hi_u32 s7, s1, s0
	s_mul_i32 s6, s1, s0
	s_lshl_b64 s[6:7], s[6:7], 1
	s_waitcnt lgkmcnt(0)
	s_add_u32 s1, s4, s6
	s_addc_u32 s4, s5, s7
	s_lshl_b32 s2, s28, 6
	v_lshlrev_b32_e32 v2, 10, v0
	v_lshlrev_b32_e32 v0, 4, v0
	s_lshl_b64 s[2:3], s[2:3], 1
	v_and_b32_e32 v2, 0x1800, v2
	v_lshlrev_b32_e32 v3, 5, v1
	v_and_b32_e32 v0, 16, v0
	s_add_u32 s1, s1, s2
	v_or3_b32 v0, v2, v3, v0
	s_addc_u32 s2, s4, s3
	v_add_u32_e32 v8, s29, v1
	v_mov_b32_e32 v3, s2
	v_add_co_u32_e32 v2, vcc, s1, v42
	ds_read_b128 v[4:7], v0
	v_mad_u64_u32 v[8:9], s[2:3], v8, s0, 0
	v_addc_co_u32_e32 v3, vcc, v3, v43, vcc
	v_lshlrev_b64 v[8:9], 1, v[8:9]
	v_add_co_u32_e32 v8, vcc, v2, v8
	v_addc_co_u32_e32 v9, vcc, v3, v9, vcc
	v_cmp_ne_u32_e32 vcc, 3, v1
	s_waitcnt lgkmcnt(0)
	global_store_dwordx4 v[8:9], v[4:7], off
	s_and_b64 exec, exec, vcc
	s_cbranch_execz .LBB62_22
; %bb.21:
	ds_read_b128 v[4:7], v0 offset:128
	v_add3_u32 v0, s29, v1, 4
	v_mad_u64_u32 v[0:1], s[0:1], v0, s0, 0
	v_lshlrev_b64 v[0:1], 1, v[0:1]
	v_add_co_u32_e32 v0, vcc, v2, v0
	v_addc_co_u32_e32 v1, vcc, v3, v1, vcc
	s_waitcnt lgkmcnt(0)
	global_store_dwordx4 v[0:1], v[4:7], off
.LBB62_22:
	s_endpgm
	.section	.rodata,"a",@progbits
	.p2align	6, 0x0
	.amdhsa_kernel _Z39paged_attention_ll4mi_QKV_mfma16_kernelIDF16_DF16_LN4vllm18Fp8KVCacheDataTypeE0EDF16_Li32ELi64ELi256ELb1ELi7EL8MFMAType0EEvPKT_PKT0_S8_ifPKiSA_SA_iPKfiiiPfSD_PS3_PT2_iSC_SC_
		.amdhsa_group_segment_fixed_size 8192
		.amdhsa_private_segment_fixed_size 0
		.amdhsa_kernarg_size 400
		.amdhsa_user_sgpr_count 6
		.amdhsa_user_sgpr_private_segment_buffer 1
		.amdhsa_user_sgpr_dispatch_ptr 0
		.amdhsa_user_sgpr_queue_ptr 0
		.amdhsa_user_sgpr_kernarg_segment_ptr 1
		.amdhsa_user_sgpr_dispatch_id 0
		.amdhsa_user_sgpr_flat_scratch_init 0
		.amdhsa_user_sgpr_kernarg_preload_length 0
		.amdhsa_user_sgpr_kernarg_preload_offset 0
		.amdhsa_user_sgpr_private_segment_size 0
		.amdhsa_uses_dynamic_stack 0
		.amdhsa_system_sgpr_private_segment_wavefront_offset 0
		.amdhsa_system_sgpr_workgroup_id_x 1
		.amdhsa_system_sgpr_workgroup_id_y 1
		.amdhsa_system_sgpr_workgroup_id_z 1
		.amdhsa_system_sgpr_workgroup_info 0
		.amdhsa_system_vgpr_workitem_id 0
		.amdhsa_next_free_vgpr 66
		.amdhsa_next_free_sgpr 48
		.amdhsa_accum_offset 68
		.amdhsa_reserve_vcc 1
		.amdhsa_reserve_flat_scratch 0
		.amdhsa_float_round_mode_32 0
		.amdhsa_float_round_mode_16_64 0
		.amdhsa_float_denorm_mode_32 3
		.amdhsa_float_denorm_mode_16_64 3
		.amdhsa_dx10_clamp 1
		.amdhsa_ieee_mode 1
		.amdhsa_fp16_overflow 0
		.amdhsa_tg_split 0
		.amdhsa_exception_fp_ieee_invalid_op 0
		.amdhsa_exception_fp_denorm_src 0
		.amdhsa_exception_fp_ieee_div_zero 0
		.amdhsa_exception_fp_ieee_overflow 0
		.amdhsa_exception_fp_ieee_underflow 0
		.amdhsa_exception_fp_ieee_inexact 0
		.amdhsa_exception_int_div_zero 0
	.end_amdhsa_kernel
	.section	.text._Z39paged_attention_ll4mi_QKV_mfma16_kernelIDF16_DF16_LN4vllm18Fp8KVCacheDataTypeE0EDF16_Li32ELi64ELi256ELb1ELi7EL8MFMAType0EEvPKT_PKT0_S8_ifPKiSA_SA_iPKfiiiPfSD_PS3_PT2_iSC_SC_,"axG",@progbits,_Z39paged_attention_ll4mi_QKV_mfma16_kernelIDF16_DF16_LN4vllm18Fp8KVCacheDataTypeE0EDF16_Li32ELi64ELi256ELb1ELi7EL8MFMAType0EEvPKT_PKT0_S8_ifPKiSA_SA_iPKfiiiPfSD_PS3_PT2_iSC_SC_,comdat
.Lfunc_end62:
	.size	_Z39paged_attention_ll4mi_QKV_mfma16_kernelIDF16_DF16_LN4vllm18Fp8KVCacheDataTypeE0EDF16_Li32ELi64ELi256ELb1ELi7EL8MFMAType0EEvPKT_PKT0_S8_ifPKiSA_SA_iPKfiiiPfSD_PS3_PT2_iSC_SC_, .Lfunc_end62-_Z39paged_attention_ll4mi_QKV_mfma16_kernelIDF16_DF16_LN4vllm18Fp8KVCacheDataTypeE0EDF16_Li32ELi64ELi256ELb1ELi7EL8MFMAType0EEvPKT_PKT0_S8_ifPKiSA_SA_iPKfiiiPfSD_PS3_PT2_iSC_SC_
                                        ; -- End function
	.section	.AMDGPU.csdata,"",@progbits
; Kernel info:
; codeLenInByte = 4380
; NumSgprs: 52
; NumVgprs: 66
; NumAgprs: 0
; TotalNumVgprs: 66
; ScratchSize: 0
; MemoryBound: 0
; FloatMode: 240
; IeeeMode: 1
; LDSByteSize: 8192 bytes/workgroup (compile time only)
; SGPRBlocks: 6
; VGPRBlocks: 8
; NumSGPRsForWavesPerEU: 52
; NumVGPRsForWavesPerEU: 66
; AccumOffset: 68
; Occupancy: 7
; WaveLimiterHint : 1
; COMPUTE_PGM_RSRC2:SCRATCH_EN: 0
; COMPUTE_PGM_RSRC2:USER_SGPR: 6
; COMPUTE_PGM_RSRC2:TRAP_HANDLER: 0
; COMPUTE_PGM_RSRC2:TGID_X_EN: 1
; COMPUTE_PGM_RSRC2:TGID_Y_EN: 1
; COMPUTE_PGM_RSRC2:TGID_Z_EN: 1
; COMPUTE_PGM_RSRC2:TIDIG_COMP_CNT: 0
; COMPUTE_PGM_RSRC3_GFX90A:ACCUM_OFFSET: 16
; COMPUTE_PGM_RSRC3_GFX90A:TG_SPLIT: 0
	.section	.text._Z39paged_attention_ll4mi_QKV_mfma16_kernelIDF16_DF16_LN4vllm18Fp8KVCacheDataTypeE0EDF16_Li32ELi64ELi256ELb1ELi8EL8MFMAType0EEvPKT_PKT0_S8_ifPKiSA_SA_iPKfiiiPfSD_PS3_PT2_iSC_SC_,"axG",@progbits,_Z39paged_attention_ll4mi_QKV_mfma16_kernelIDF16_DF16_LN4vllm18Fp8KVCacheDataTypeE0EDF16_Li32ELi64ELi256ELb1ELi8EL8MFMAType0EEvPKT_PKT0_S8_ifPKiSA_SA_iPKfiiiPfSD_PS3_PT2_iSC_SC_,comdat
	.protected	_Z39paged_attention_ll4mi_QKV_mfma16_kernelIDF16_DF16_LN4vllm18Fp8KVCacheDataTypeE0EDF16_Li32ELi64ELi256ELb1ELi8EL8MFMAType0EEvPKT_PKT0_S8_ifPKiSA_SA_iPKfiiiPfSD_PS3_PT2_iSC_SC_ ; -- Begin function _Z39paged_attention_ll4mi_QKV_mfma16_kernelIDF16_DF16_LN4vllm18Fp8KVCacheDataTypeE0EDF16_Li32ELi64ELi256ELb1ELi8EL8MFMAType0EEvPKT_PKT0_S8_ifPKiSA_SA_iPKfiiiPfSD_PS3_PT2_iSC_SC_
	.globl	_Z39paged_attention_ll4mi_QKV_mfma16_kernelIDF16_DF16_LN4vllm18Fp8KVCacheDataTypeE0EDF16_Li32ELi64ELi256ELb1ELi8EL8MFMAType0EEvPKT_PKT0_S8_ifPKiSA_SA_iPKfiiiPfSD_PS3_PT2_iSC_SC_
	.p2align	8
	.type	_Z39paged_attention_ll4mi_QKV_mfma16_kernelIDF16_DF16_LN4vllm18Fp8KVCacheDataTypeE0EDF16_Li32ELi64ELi256ELb1ELi8EL8MFMAType0EEvPKT_PKT0_S8_ifPKiSA_SA_iPKfiiiPfSD_PS3_PT2_iSC_SC_,@function
_Z39paged_attention_ll4mi_QKV_mfma16_kernelIDF16_DF16_LN4vllm18Fp8KVCacheDataTypeE0EDF16_Li32ELi64ELi256ELb1ELi8EL8MFMAType0EEvPKT_PKT0_S8_ifPKiSA_SA_iPKfiiiPfSD_PS3_PT2_iSC_SC_: ; @_Z39paged_attention_ll4mi_QKV_mfma16_kernelIDF16_DF16_LN4vllm18Fp8KVCacheDataTypeE0EDF16_Li32ELi64ELi256ELb1ELi8EL8MFMAType0EEvPKT_PKT0_S8_ifPKiSA_SA_iPKfiiiPfSD_PS3_PT2_iSC_SC_
; %bb.0:
	s_load_dwordx2 s[0:1], s[4:5], 0x30
	s_mov_b32 s28, s7
	s_mov_b64 s[10:11], 0
	s_waitcnt lgkmcnt(0)
	s_cmp_lg_u64 s[0:1], 0
	s_cselect_b64 s[2:3], -1, 0
	s_and_b64 vcc, exec, s[2:3]
	s_cbranch_vccz .LBB63_7
; %bb.1:
	s_add_i32 s12, s6, 1
	s_mov_b32 s13, 0
	s_lshl_b64 s[14:15], s[12:13], 2
	s_add_u32 s14, s0, s14
	s_mov_b32 s7, s13
	s_addc_u32 s15, s1, s15
	s_lshl_b64 s[12:13], s[6:7], 2
	s_add_u32 s12, s0, s12
	s_addc_u32 s13, s1, s13
	s_load_dword s9, s[14:15], 0x0
	s_load_dword s16, s[12:13], 0x0
	s_waitcnt lgkmcnt(0)
	s_sub_i32 s9, s9, s16
	s_cmp_eq_u32 s9, 1
	s_cselect_b64 s[12:13], -1, 0
	s_andn2_b64 vcc, exec, s[10:11]
	s_cbranch_vccnz .LBB63_3
.LBB63_2:
	s_mov_b32 s7, 0
	s_mov_b64 s[12:13], -1
.LBB63_3:
	s_andn2_b64 vcc, exec, s[12:13]
	s_cbranch_vccnz .LBB63_21
; %bb.4:
	s_load_dwordx2 s[12:13], s[4:5], 0x28
	s_lshl_b64 s[10:11], s[6:7], 2
	s_waitcnt lgkmcnt(0)
	s_add_u32 s12, s12, s10
	s_addc_u32 s13, s13, s11
	s_load_dword s33, s[12:13], 0x0
	s_lshl_b32 s14, s28, 8
	s_waitcnt lgkmcnt(0)
	s_cmp_ge_i32 s14, s33
	s_cbranch_scc1 .LBB63_21
; %bb.5:
	s_add_i32 s15, s33, 31
	s_load_dwordx2 s[12:13], s[4:5], 0x20
	s_load_dword s9, s[4:5], 0x38
	s_ashr_i32 s16, s15, 31
	v_and_b32_e32 v1, 0xcf, v0
	s_lshr_b32 s16, s16, 27
	v_add_u32_e32 v1, s14, v1
	s_add_i32 s15, s15, s16
	v_ashrrev_i32_e32 v2, 31, v1
	s_ashr_i32 s17, s15, 5
	v_lshrrev_b32_e32 v6, 27, v2
	s_add_i32 s17, s17, -1
	v_add_u32_e32 v2, v1, v6
	s_waitcnt lgkmcnt(0)
	s_mul_i32 s18, s6, s9
	s_mov_b32 s19, 0
	v_ashrrev_i32_e32 v2, 5, v2
	v_mov_b32_e32 v7, s17
	v_cmp_gt_i32_e32 vcc, s33, v1
	s_lshl_b64 s[18:19], s[18:19], 2
	v_cndmask_b32_e32 v2, v7, v2, vcc
	s_add_u32 s15, s12, s18
	v_ashrrev_i32_e32 v3, 31, v2
	s_addc_u32 s16, s13, s19
	v_lshlrev_b64 v[2:3], 2, v[2:3]
	v_mov_b32_e32 v4, s16
	v_add_co_u32_e32 v2, vcc, s15, v2
	v_addc_co_u32_e32 v3, vcc, v4, v3, vcc
	v_or_b32_e32 v4, 16, v1
	v_add_u32_e32 v5, v4, v6
	v_ashrrev_i32_e32 v5, 5, v5
	v_cmp_gt_i32_e32 vcc, s33, v4
	v_cndmask_b32_e32 v4, v7, v5, vcc
	v_ashrrev_i32_e32 v5, 31, v4
	v_lshlrev_b64 v[4:5], 2, v[4:5]
	v_mov_b32_e32 v9, s16
	v_add_co_u32_e32 v8, vcc, s15, v4
	v_or_b32_e32 v4, 32, v1
	v_addc_co_u32_e32 v9, vcc, v9, v5, vcc
	v_add_u32_e32 v5, v4, v6
	v_ashrrev_i32_e32 v5, 5, v5
	v_cmp_gt_i32_e32 vcc, s33, v4
	v_cndmask_b32_e32 v4, v7, v5, vcc
	v_ashrrev_i32_e32 v5, 31, v4
	v_lshlrev_b64 v[4:5], 2, v[4:5]
	v_mov_b32_e32 v11, s16
	v_add_co_u32_e32 v10, vcc, s15, v4
	v_or_b32_e32 v1, 48, v1
	v_addc_co_u32_e32 v11, vcc, v11, v5, vcc
	v_add_u32_e32 v4, v1, v6
	v_ashrrev_i32_e32 v4, 5, v4
	v_cmp_gt_i32_e32 vcc, s33, v1
	v_cndmask_b32_e32 v4, v7, v4, vcc
	v_ashrrev_i32_e32 v5, 31, v4
	v_lshlrev_b64 v[4:5], 2, v[4:5]
	v_mov_b32_e32 v1, s16
	v_add_co_u32_e32 v12, vcc, s15, v4
	v_addc_co_u32_e32 v13, vcc, v1, v5, vcc
	global_load_dword v7, v[2:3], off
	global_load_dword v6, v[8:9], off
	;; [unrolled: 1-line block ×4, first 2 shown]
	s_andn2_b64 vcc, exec, s[2:3]
	s_cbranch_vccnz .LBB63_8
; %bb.6:
	s_add_u32 s0, s0, s10
	s_addc_u32 s1, s1, s11
	s_load_dword s9, s[0:1], 0x0
	s_branch .LBB63_9
.LBB63_7:
	s_mov_b64 s[12:13], 0
	s_branch .LBB63_2
.LBB63_8:
	s_mov_b32 s9, s6
.LBB63_9:
	s_load_dwordx2 s[10:11], s[4:5], 0x8
	s_load_dwordx4 s[44:47], s[4:5], 0x48
	v_and_b32_e32 v52, 15, v0
	s_movk_i32 s0, 0x7f
	v_cmp_lt_u32_e32 vcc, s0, v0
	v_cmp_lt_u32_e64 s[2:3], 7, v52
	v_lshlrev_b32_e32 v2, 3, v52
	v_cmp_gt_u32_e64 s[0:1], 8, v52
	s_or_b64 s[2:3], vcc, s[2:3]
	s_and_saveexec_b64 s[12:13], s[2:3]
	s_xor_b64 s[2:3], exec, s[12:13]
; %bb.10:
	v_mov_b32_e32 v3, 0
; %bb.11:
	s_or_saveexec_b64 s[12:13], s[2:3]
	s_load_dwordx2 s[2:3], s[4:5], 0x10
	v_lshrrev_b32_e32 v53, 6, v0
	s_lshl_b32 s29, s8, 3
	v_bfe_u32 v1, v0, 4, 2
	s_xor_b64 exec, exec, s[12:13]
	s_cbranch_execz .LBB63_13
; %bb.12:
	s_load_dwordx2 s[18:19], s[4:5], 0x0
	s_waitcnt lgkmcnt(0)
	s_ashr_i32 s20, s44, 31
	s_mul_hi_u32 s21, s9, s44
	s_mul_i32 s20, s9, s20
	v_lshl_or_b32 v12, v53, 2, v1
	s_add_i32 s21, s21, s20
	s_mul_i32 s20, s9, s44
	s_lshl_b64 s[20:21], s[20:21], 1
	v_add_lshl_u32 v8, v12, s29, 6
	s_add_u32 s9, s18, s20
	v_ashrrev_i32_e32 v9, 31, v8
	s_addc_u32 s18, s19, s21
	v_lshlrev_b64 v[8:9], 1, v[8:9]
	v_mov_b32_e32 v3, s18
	v_add_co_u32_e32 v8, vcc, s9, v8
	v_addc_co_u32_e32 v3, vcc, v3, v9, vcc
	v_lshlrev_b32_e32 v9, 1, v2
	v_add_co_u32_e32 v8, vcc, v8, v9
	v_addc_co_u32_e32 v9, vcc, 0, v3, vcc
	global_load_dwordx4 v[8:11], v[8:9], off
	v_and_b32_e32 v13, 3, v0
	v_lshlrev_b32_e32 v14, 9, v52
	v_lshlrev_b32_e32 v12, 5, v12
	;; [unrolled: 1-line block ×3, first 2 shown]
	v_and_b32_e32 v14, 0x1800, v14
	v_mov_b32_e32 v3, 0
	v_or3_b32 v12, v14, v13, v12
	s_waitcnt vmcnt(0)
	ds_write_b128 v12, v[8:11]
.LBB63_13:
	s_or_b64 exec, exec, s[12:13]
	s_waitcnt lgkmcnt(0)
	s_mul_i32 s8, s8, s46
	s_mov_b32 s9, 0
	s_lshl_b64 s[8:9], s[8:9], 1
	s_add_u32 s12, s10, s8
	s_addc_u32 s13, s11, s9
	s_waitcnt vmcnt(3)
	v_mad_i64_i32 v[8:9], s[10:11], v7, s45, 0
	v_lshlrev_b64 v[8:9], 1, v[8:9]
	v_mov_b32_e32 v7, s13
	v_add_co_u32_e32 v8, vcc, s12, v8
	v_addc_co_u32_e32 v7, vcc, v7, v9, vcc
	v_lshlrev_b64 v[42:43], 1, v[2:3]
	v_add_co_u32_e32 v2, vcc, v8, v42
	v_lshlrev_b32_e32 v24, 9, v1
	v_addc_co_u32_e32 v3, vcc, v7, v43, vcc
	v_add_co_u32_e32 v2, vcc, v2, v24
	v_addc_co_u32_e32 v3, vcc, 0, v3, vcc
	s_barrier
	global_load_dwordx4 v[38:41], v[2:3], off
	global_load_dwordx4 v[34:37], v[2:3], off offset:2048
	s_waitcnt vmcnt(4)
	v_mad_i64_i32 v[2:3], s[10:11], v6, s45, 0
	v_lshlrev_b64 v[2:3], 1, v[2:3]
	v_mov_b32_e32 v6, s13
	v_add_co_u32_e32 v2, vcc, s12, v2
	v_addc_co_u32_e32 v3, vcc, v6, v3, vcc
	v_mov_b32_e32 v6, 0x100
	v_lshl_or_b32 v18, v52, 4, v6
	v_add_co_u32_e32 v2, vcc, v2, v18
	v_addc_co_u32_e32 v3, vcc, 0, v3, vcc
	v_add_co_u32_e32 v2, vcc, v2, v24
	v_addc_co_u32_e32 v3, vcc, 0, v3, vcc
	global_load_dwordx4 v[30:33], v[2:3], off
	global_load_dwordx4 v[14:17], v[2:3], off offset:2048
	s_waitcnt vmcnt(5)
	v_mad_i64_i32 v[2:3], s[10:11], v5, s45, 0
	v_lshlrev_b64 v[2:3], 1, v[2:3]
	v_mov_b32_e32 v5, s13
	v_add_co_u32_e32 v2, vcc, s12, v2
	v_addc_co_u32_e32 v3, vcc, v5, v3, vcc
	v_add_co_u32_e32 v2, vcc, v2, v42
	v_addc_co_u32_e32 v3, vcc, v3, v43, vcc
	;; [unrolled: 2-line block ×3, first 2 shown]
	global_load_dwordx4 v[10:13], v[2:3], off
	global_load_dwordx4 v[6:9], v[2:3], off offset:2048
	s_waitcnt vmcnt(6)
	v_mad_i64_i32 v[2:3], s[10:11], v4, s45, 0
	v_lshlrev_b64 v[2:3], 1, v[2:3]
	v_mov_b32_e32 v4, s13
	v_add_co_u32_e32 v2, vcc, s12, v2
	v_addc_co_u32_e32 v3, vcc, v4, v3, vcc
	v_add_co_u32_e32 v2, vcc, v2, v18
	v_addc_co_u32_e32 v3, vcc, 0, v3, vcc
	;; [unrolled: 2-line block ×3, first 2 shown]
	global_load_dwordx4 v[2:5], v[22:23], off
	global_load_dwordx4 v[18:21], v[22:23], off offset:2048
	v_and_b32_e32 v22, 7, v0
	v_lshl_or_b32 v22, v22, 5, v24
	ds_read_b128 v[26:29], v22
	ds_read_b128 v[22:25], v22 offset:2048
	v_and_b32_e32 v54, 63, v0
	v_mov_b32_e32 v50, 0
	s_and_saveexec_b64 s[10:11], s[0:1]
	s_cbranch_execz .LBB63_15
; %bb.14:
	s_load_dwordx2 s[12:13], s[4:5], 0x40
	v_or_b32_e32 v44, s29, v52
	v_ashrrev_i32_e32 v45, 31, v44
	v_lshlrev_b64 v[44:45], 2, v[44:45]
	s_waitcnt lgkmcnt(0)
	v_mov_b32_e32 v46, s13
	v_add_co_u32_e32 v44, vcc, s12, v44
	v_addc_co_u32_e32 v45, vcc, v46, v45, vcc
	global_load_dword v50, v[44:45], off
.LBB63_15:
	s_or_b64 exec, exec, s[10:11]
	s_waitcnt vmcnt(7) lgkmcnt(1)
	v_mfma_f32_16x16x16f16 v[44:47], v[38:39], v[26:27], 0
	s_ashr_i32 s10, s14, 31
	s_lshr_b32 s11, s10, 27
	v_mov_b32_e32 v49, s16
	s_add_u32 s2, s2, s8
	s_addc_u32 s3, s3, s9
	s_load_dword s10, s[4:5], 0x1c
	s_mov_b32 s42, 0xff7fffff
	v_mfma_f32_16x16x16f16 v[38:41], v[40:41], v[28:29], v[44:47]
	s_waitcnt vmcnt(6) lgkmcnt(0)
	v_mfma_f32_16x16x16f16 v[38:41], v[34:35], v[22:23], v[38:41]
	s_nop 4
	v_and_or_b32 v46, v0, 48, s14
	v_add_u32_e32 v34, s11, v46
	v_ashrrev_i32_e32 v34, 5, v34
	v_mov_b32_e32 v47, s17
	v_cmp_gt_i32_e32 vcc, s33, v46
	v_cndmask_b32_e32 v34, v47, v34, vcc
	v_ashrrev_i32_e32 v35, 31, v34
	v_lshlrev_b64 v[44:45], 2, v[34:35]
	v_mfma_f32_16x16x16f16 v[34:37], v[36:37], v[24:25], v[38:41]
	s_nop 6
	v_mov_b32_e32 v39, s16
	v_add_co_u32_e32 v38, vcc, s15, v44
	v_addc_co_u32_e32 v39, vcc, v39, v45, vcc
	global_load_dword v48, v[38:39], off
	s_waitcnt vmcnt(6)
	v_mfma_f32_16x16x16f16 v[38:41], v[30:31], v[26:27], 0
	v_or_b32_e32 v44, 64, v46
	v_add_u32_e32 v30, s11, v44
	v_ashrrev_i32_e32 v30, 5, v30
	v_cmp_gt_i32_e32 vcc, s33, v44
	v_cndmask_b32_e32 v30, v47, v30, vcc
	v_ashrrev_i32_e32 v31, 31, v30
	v_lshlrev_b64 v[44:45], 2, v[30:31]
	v_mfma_f32_16x16x16f16 v[30:33], v[32:33], v[28:29], v[38:41]
	s_nop 6
	v_add_co_u32_e32 v38, vcc, s15, v44
	v_addc_co_u32_e32 v39, vcc, v49, v45, vcc
	global_load_dword v40, v[38:39], off
	v_or_b32_e32 v38, 0x80, v46
	v_add_u32_e32 v39, s11, v38
	v_ashrrev_i32_e32 v39, 5, v39
	v_cmp_gt_i32_e32 vcc, s33, v38
	v_cndmask_b32_e32 v38, v47, v39, vcc
	v_ashrrev_i32_e32 v39, 31, v38
	s_waitcnt vmcnt(6)
	v_mfma_f32_16x16x16f16 v[30:33], v[14:15], v[22:23], v[30:33]
	v_lshlrev_b64 v[14:15], 2, v[38:39]
	v_mov_b32_e32 v38, s16
	v_add_co_u32_e32 v14, vcc, s15, v14
	v_addc_co_u32_e32 v15, vcc, v38, v15, vcc
	global_load_dword v41, v[14:15], off
	v_mfma_f32_16x16x16f16 v[30:33], v[16:17], v[24:25], v[30:33]
	v_or_b32_e32 v38, 0xc0, v46
	v_cmp_gt_i32_e32 vcc, s33, v38
	v_mov_b32_e32 v44, s16
	s_waitcnt vmcnt(6)
	v_mfma_f32_16x16x16f16 v[14:17], v[10:11], v[26:27], 0
	v_add_u32_e32 v10, s11, v38
	v_ashrrev_i32_e32 v10, 5, v10
	v_cndmask_b32_e32 v10, v47, v10, vcc
	v_ashrrev_i32_e32 v11, 31, v10
	v_lshlrev_b64 v[38:39], 2, v[10:11]
	s_nop 0
	v_pk_mul_f32 v[46:47], s[10:11], v[30:31] op_sel_hi:[0,1]
	v_mfma_f32_16x16x16f16 v[10:13], v[12:13], v[28:29], v[14:17]
	s_nop 6
	v_add_co_u32_e32 v14, vcc, s15, v38
	s_waitcnt vmcnt(5)
	v_mfma_f32_16x16x16f16 v[10:13], v[6:7], v[22:23], v[10:13]
	v_addc_co_u32_e32 v15, vcc, v44, v39, vcc
	global_load_dword v51, v[14:15], off
	v_and_b32_e32 v14, 16, v0
	v_lshlrev_b32_e32 v14, 1, v14
	v_mov_b32_e32 v6, s3
	v_add_co_u32_e32 v7, vcc, s2, v14
	v_lshlrev_b32_e32 v14, 6, v52
	v_addc_co_u32_e32 v6, vcc, 0, v6, vcc
	v_lshl_or_b32 v14, v53, 10, v14
	v_add_co_u32_e32 v55, vcc, v7, v14
	v_addc_co_u32_e32 v60, vcc, 0, v6, vcc
	v_mfma_f32_16x16x16f16 v[56:59], v[8:9], v[24:25], v[10:13]
	s_waitcnt vmcnt(3)
	v_mad_i64_i32 v[6:7], s[2:3], v48, s45, 0
	v_pk_mul_f32 v[48:49], s[10:11], v[36:37] op_sel_hi:[0,1]
	v_pk_mul_f32 v[44:45], s[10:11], v[32:33] op_sel_hi:[0,1]
	s_waitcnt vmcnt(1)
	v_mad_i64_i32 v[38:39], s[2:3], v41, s45, 0
	s_nop 0
	v_lshlrev_b64 v[10:11], 1, v[6:7]
	v_mfma_f32_16x16x16f16 v[6:9], v[2:3], v[26:27], 0
	v_add_co_u32_e32 v2, vcc, v55, v10
	v_addc_co_u32_e32 v3, vcc, v60, v11, vcc
	global_load_dwordx4 v[14:17], v[2:3], off
	global_load_dwordx4 v[10:13], v[2:3], off offset:16
	v_mad_i64_i32 v[2:3], s[2:3], v40, s45, 0
	v_mfma_f32_16x16x16f16 v[26:29], v[4:5], v[28:29], v[6:9]
	v_lshlrev_b64 v[2:3], 1, v[2:3]
	v_add_co_u32_e32 v2, vcc, v55, v2
	v_addc_co_u32_e32 v3, vcc, v60, v3, vcc
	v_lshlrev_b64 v[38:39], 1, v[38:39]
	v_pk_mul_f32 v[40:41], s[10:11], v[56:57] op_sel_hi:[0,1]
	v_mfma_f32_16x16x16f16 v[26:29], v[18:19], v[22:23], v[26:29]
	v_pk_mul_f32 v[18:19], s[10:11], v[34:35] op_sel_hi:[0,1]
	v_add_co_u32_e32 v22, vcc, v55, v38
	v_addc_co_u32_e32 v23, vcc, v60, v39, vcc
	v_pk_mul_f32 v[38:39], s[10:11], v[58:59] op_sel_hi:[0,1]
	global_load_dwordx4 v[6:9], v[2:3], off
	s_nop 0
	global_load_dwordx4 v[2:5], v[2:3], off offset:16
	v_mfma_f32_16x16x16f16 v[24:27], v[20:21], v[24:25], v[26:29]
	v_and_b32_e32 v20, 0xc0, v0
	v_add_u32_e32 v20, s14, v20
	v_lshl_or_b32 v20, v1, 2, v20
	v_or_b32_e32 v21, 1, v20
	v_cmp_gt_i32_e64 s[30:31], s33, v20
	v_cmp_gt_i32_e64 s[34:35], s33, v21
	s_nop 4
	v_pk_mul_f32 v[36:37], s[10:11], v[24:25] op_sel_hi:[0,1]
	v_subrev_u32_e32 v24, s33, v21
	v_pk_mul_f32 v[34:35], s[10:11], v[26:27] op_sel_hi:[0,1]
	v_add_u32_e32 v26, 1, v24
	v_add_u32_e32 v27, 2, v24
	v_cvt_f32_i32_e32 v25, v24
	v_cvt_f32_i32_e32 v26, v26
	;; [unrolled: 1-line block ×3, first 2 shown]
	v_add_u32_e32 v28, 3, v24
	v_fma_f32 v18, v50, v25, v18
	v_fmac_f32_e32 v19, v50, v26
	v_fma_f32 v48, v50, v27, v48
	v_add_u32_e32 v25, 16, v24
	v_add_u32_e32 v26, 17, v24
	;; [unrolled: 1-line block ×3, first 2 shown]
	v_cvt_f32_i32_e32 v28, v28
	v_cvt_f32_i32_e32 v25, v25
	v_cvt_f32_i32_e32 v26, v26
	v_cvt_f32_i32_e32 v27, v27
	v_fmac_f32_e32 v49, v50, v28
	v_add_u32_e32 v28, 19, v24
	v_fma_f32 v46, v50, v25, v46
	v_fmac_f32_e32 v47, v50, v26
	v_fma_f32 v44, v50, v27, v44
	v_add_u32_e32 v25, 32, v24
	v_add_u32_e32 v26, 33, v24
	;; [unrolled: 1-line block ×3, first 2 shown]
	v_cvt_f32_i32_e32 v28, v28
	v_cvt_f32_i32_e32 v25, v25
	;; [unrolled: 1-line block ×4, first 2 shown]
	v_fmac_f32_e32 v45, v50, v28
	v_add_u32_e32 v28, 35, v24
	v_fma_f32 v40, v50, v25, v40
	v_fmac_f32_e32 v41, v50, v26
	v_fma_f32 v38, v50, v27, v38
	v_add_u32_e32 v25, 48, v24
	v_add_u32_e32 v26, 49, v24
	;; [unrolled: 1-line block ×4, first 2 shown]
	v_cvt_f32_i32_e32 v24, v24
	v_cvt_f32_i32_e32 v25, v25
	v_cvt_f32_i32_e32 v26, v26
	v_cvt_f32_i32_e32 v28, v28
	v_fmac_f32_e32 v35, v50, v24
	v_mov_b32_e32 v24, 0xff7fffff
	v_fma_f32 v36, v50, v25, v36
	v_cndmask_b32_e64 v25, v24, v18, s[30:31]
	v_cndmask_b32_e64 v21, v24, v19, s[34:35]
	v_fmac_f32_e32 v37, v50, v26
	v_max3_f32 v21, v25, s42, v21
	v_or_b32_e32 v25, 2, v20
	v_or_b32_e32 v26, 3, v20
	v_cmp_gt_i32_e64 s[36:37], s33, v25
	v_cmp_gt_i32_e64 s[38:39], s33, v26
	v_cndmask_b32_e64 v25, v24, v48, s[36:37]
	v_cndmask_b32_e64 v26, v24, v49, s[38:39]
	v_max3_f32 v21, v21, v25, v26
	v_or_b32_e32 v25, 16, v20
	v_or_b32_e32 v26, 17, v20
	v_cmp_gt_i32_e64 s[24:25], s33, v25
	v_cmp_gt_i32_e64 s[26:27], s33, v26
	v_cndmask_b32_e64 v25, v24, v46, s[24:25]
	v_cndmask_b32_e64 v26, v24, v47, s[26:27]
	;; [unrolled: 7-line block ×4, first 2 shown]
	v_max3_f32 v21, v21, v25, v26
	v_or_b32_e32 v25, 34, v20
	v_or_b32_e32 v26, 35, v20
	v_fmac_f32_e32 v39, v50, v28
	v_cmp_gt_i32_e64 s[12:13], s33, v25
	v_cmp_gt_i32_e64 s[14:15], s33, v26
	v_cndmask_b32_e64 v25, v24, v38, s[12:13]
	v_cndmask_b32_e64 v26, v24, v39, s[14:15]
	v_cvt_f32_i32_e32 v27, v27
	v_max3_f32 v21, v21, v25, v26
	v_or_b32_e32 v25, 48, v20
	v_or_b32_e32 v26, 49, v20
	v_cmp_gt_i32_e64 s[8:9], s33, v25
	v_cmp_gt_i32_e64 s[10:11], s33, v26
	v_cndmask_b32_e64 v25, v24, v36, s[8:9]
	v_cndmask_b32_e64 v26, v24, v37, s[10:11]
	v_max3_f32 v21, v21, v25, v26
	v_or_b32_e32 v25, 50, v20
	v_or_b32_e32 v20, 51, v20
	v_fma_f32 v34, v50, v27, v34
	v_cmp_gt_i32_e32 vcc, s33, v25
	v_cmp_gt_i32_e64 s[2:3], s33, v20
	v_cndmask_b32_e32 v25, v24, v34, vcc
	v_cndmask_b32_e64 v20, v24, v35, s[2:3]
	v_max3_f32 v26, v21, v25, v20
	v_mbcnt_lo_u32_b32 v20, -1, 0
	v_mbcnt_hi_u32_b32 v27, -1, v20
	v_and_b32_e32 v20, 64, v27
	v_add_u32_e32 v28, 64, v20
	v_xor_b32_e32 v20, 32, v27
	v_cmp_lt_i32_e64 s[40:41], v20, v28
	v_cndmask_b32_e64 v20, v27, v20, s[40:41]
	v_lshlrev_b32_e32 v56, 2, v20
	ds_bpermute_b32 v29, v56, v26
	s_waitcnt vmcnt(4)
	v_mad_i64_i32 v[20:21], s[40:41], v51, s45, 0
	v_lshlrev_b64 v[20:21], 1, v[20:21]
	global_load_dwordx4 v[30:33], v[22:23], off
	s_nop 0
	global_load_dwordx4 v[22:25], v[22:23], off offset:16
	s_waitcnt lgkmcnt(0)
	v_max_f32_e32 v29, v29, v29
	v_max_f32_e32 v26, v26, v29
	v_xor_b32_e32 v29, 16, v27
	v_cmp_lt_i32_e64 s[40:41], v29, v28
	v_cndmask_b32_e64 v27, v27, v29, s[40:41]
	v_lshlrev_b32_e32 v58, 2, v27
	ds_bpermute_b32 v27, v58, v26
	v_add_co_u32_e64 v20, s[40:41], v55, v20
	v_addc_co_u32_e64 v21, s[40:41], v60, v21, s[40:41]
	s_waitcnt lgkmcnt(0)
	v_max_f32_e32 v27, v27, v27
	v_max_f32_e32 v55, v26, v27
	v_sub_f32_e32 v18, v18, v55
	v_mul_f32_e32 v18, 0x3fb8aa3b, v18
	v_exp_f32_e32 v50, v18
	v_sub_f32_e32 v18, v19, v55
	v_mul_f32_e32 v18, 0x3fb8aa3b, v18
	v_exp_f32_e32 v51, v18
	global_load_dwordx4 v[26:29], v[20:21], off
	s_nop 0
	global_load_dwordx4 v[18:21], v[20:21], off offset:16
	v_sub_f32_e32 v48, v48, v55
	v_mul_f32_e32 v48, 0x3fb8aa3b, v48
	v_sub_f32_e32 v49, v49, v55
	v_exp_f32_e32 v48, v48
	v_mul_f32_e32 v49, 0x3fb8aa3b, v49
	v_sub_f32_e32 v46, v46, v55
	v_exp_f32_e32 v49, v49
	v_mul_f32_e32 v46, 0x3fb8aa3b, v46
	v_sub_f32_e32 v47, v47, v55
	v_cndmask_b32_e64 v50, 0, v50, s[30:31]
	v_exp_f32_e32 v46, v46
	v_mul_f32_e32 v47, 0x3fb8aa3b, v47
	v_sub_f32_e32 v44, v44, v55
	v_add_f32_e32 v57, 0, v50
	v_cndmask_b32_e64 v51, 0, v51, s[34:35]
	v_exp_f32_e32 v47, v47
	v_mul_f32_e32 v44, 0x3fb8aa3b, v44
	v_sub_f32_e32 v45, v45, v55
	v_add_f32_e32 v57, v57, v51
	;; [unrolled: 5-line block ×10, first 2 shown]
	v_cndmask_b32_e64 v38, 0, v38, s[12:13]
	v_exp_f32_e32 v34, v34
	v_mul_f32_e32 v35, 0x3fb8aa3b, v35
	v_add_f32_e32 v57, v57, v38
	v_cndmask_b32_e64 v39, 0, v39, s[14:15]
	v_exp_f32_e32 v35, v35
	v_add_f32_e32 v57, v57, v39
	v_cndmask_b32_e64 v36, 0, v36, s[8:9]
	v_add_f32_e32 v57, v57, v36
	v_cndmask_b32_e64 v37, 0, v37, s[10:11]
	v_add_f32_e32 v57, v57, v37
	v_cndmask_b32_e32 v34, 0, v34, vcc
	v_add_f32_e32 v57, v57, v34
	v_cndmask_b32_e64 v35, 0, v35, s[2:3]
	v_add_f32_e32 v57, v57, v35
	ds_bpermute_b32 v56, v56, v57
	s_load_dword s9, s[4:5], 0x98
	v_cmp_gt_u32_e32 vcc, 16, v54
	s_waitcnt lgkmcnt(0)
	s_barrier
	v_add_f32_e32 v57, v57, v56
	ds_bpermute_b32 v58, v58, v57
	v_lshlrev_b32_e32 v56, 2, v52
	s_waitcnt lgkmcnt(0)
	s_and_saveexec_b64 s[2:3], vcc
	s_cbranch_execz .LBB63_17
; %bb.16:
	v_add_f32_e32 v54, v57, v58
	v_lshl_or_b32 v57, v53, 6, v56
	ds_write2st64_b32 v57, v55, v54 offset1:1
.LBB63_17:
	s_or_b64 exec, exec, s[2:3]
	s_load_dword s8, s[4:5], 0x94
	s_waitcnt lgkmcnt(0)
	s_barrier
	ds_read2_b32 v[58:59], v56 offset1:16
	ds_read2_b32 v[60:61], v56 offset0:32 offset1:48
	ds_read2_b32 v[62:63], v56 offset0:64 offset1:80
	;; [unrolled: 1-line block ×3, first 2 shown]
	s_waitcnt lgkmcnt(0)
	v_max3_f32 v54, v58, s42, v59
	v_max3_f32 v54, v54, v60, v61
	v_sub_f32_e32 v55, v58, v54
	v_mul_f32_e32 v55, 0x3fb8aa3b, v55
	v_exp_f32_e32 v58, v55
	v_sub_f32_e32 v55, v59, v54
	v_mul_f32_e32 v55, 0x3fb8aa3b, v55
	v_exp_f32_e32 v59, v55
	;; [unrolled: 3-line block ×4, first 2 shown]
	v_fma_f32 v55, v58, v62, 0
	v_fmac_f32_e32 v55, v59, v63
	v_fmac_f32_e32 v55, v60, v56
	;; [unrolled: 1-line block ×3, first 2 shown]
	v_add_f32_e32 v56, 0x358637bd, v55
	v_div_scale_f32 v57, s[2:3], v56, v56, 1.0
	v_rcp_f32_e32 v62, v57
	s_barrier
	s_lshl_b32 s9, s9, 3
	v_fma_f32 v63, -v57, v62, 1.0
	v_fmac_f32_e32 v62, v63, v62
	v_div_scale_f32 v63, vcc, 1.0, v56, 1.0
	v_mul_f32_e32 v64, v63, v62
	v_fma_f32 v65, -v57, v64, v63
	v_fmac_f32_e32 v64, v65, v62
	v_fma_f32 v57, -v57, v64, v63
	v_div_fmas_f32 v57, v57, v62, v64
	v_cmp_eq_u32_e32 vcc, 1, v53
	v_div_fixup_f32 v56, v57, v56, 1.0
	v_cndmask_b32_e32 v57, v58, v59, vcc
	v_cmp_eq_u32_e32 vcc, 2, v53
	v_cndmask_b32_e32 v57, v57, v60, vcc
	v_cmp_eq_u32_e32 vcc, 3, v53
	v_cndmask_b32_e32 v57, v57, v61, vcc
	v_mul_f32_e32 v56, v57, v56
	v_pk_mul_f32 v[48:49], v[56:57], v[48:49] op_sel_hi:[0,1]
	v_pk_mul_f32 v[50:51], v[56:57], v[50:51] op_sel_hi:[0,1]
	v_cvt_f16_f32_e32 v50, v50
	v_cvt_f16_f32_e32 v51, v51
	;; [unrolled: 1-line block ×4, first 2 shown]
	v_pk_mul_f32 v[44:45], v[56:57], v[44:45] op_sel_hi:[0,1]
	v_pk_mul_f32 v[46:47], v[56:57], v[46:47] op_sel_hi:[0,1]
	v_pack_b32_f16 v50, v50, v51
	v_pack_b32_f16 v51, v48, v49
	v_lshlrev_b32_e32 v48, 5, v52
	v_cvt_f16_f32_e32 v46, v46
	v_cvt_f16_f32_e32 v47, v47
	;; [unrolled: 1-line block ×4, first 2 shown]
	v_lshlrev_b32_e32 v49, 3, v1
	v_lshlrev_b32_e32 v44, 11, v53
	v_or3_b32 v44, v44, v48, v49
	v_pack_b32_f16 v46, v46, v47
	v_pack_b32_f16 v47, v52, v45
	v_pk_mul_f32 v[38:39], v[56:57], v[38:39] op_sel_hi:[0,1]
	v_pk_mul_f32 v[40:41], v[56:57], v[40:41] op_sel_hi:[0,1]
	;; [unrolled: 1-line block ×4, first 2 shown]
	ds_write2st64_b64 v44, v[50:51], v[46:47] offset1:1
	v_cvt_f16_f32_e32 v40, v40
	v_cvt_f16_f32_e32 v41, v41
	;; [unrolled: 1-line block ×8, first 2 shown]
	v_pack_b32_f16 v34, v40, v41
	v_pack_b32_f16 v35, v38, v39
	;; [unrolled: 1-line block ×4, first 2 shown]
	v_cmp_gt_u32_e32 vcc, 8, v0
	ds_write2st64_b64 v44, v[34:35], v[36:37] offset0:2 offset1:3
	s_and_saveexec_b64 s[2:3], vcc
	s_cbranch_execz .LBB63_19
; %bb.18:
	v_or_b32_e32 v34, s29, v0
	v_mov_b32_e32 v35, 0
	v_mov_b32_e32 v36, s9
	v_mad_u64_u32 v[36:37], s[10:11], s6, v36, v[34:35]
	v_mov_b32_e32 v34, s28
	s_load_dwordx4 s[12:15], s[4:5], 0x58
	s_mul_i32 s7, s7, s9
	v_mad_u64_u32 v[34:35], s[10:11], v36, s8, v[34:35]
	v_add_u32_e32 v37, s7, v37
	v_mov_b32_e32 v36, v35
	v_mad_u64_u32 v[36:37], s[10:11], v37, s8, v[36:37]
	v_mov_b32_e32 v35, v36
	v_lshlrev_b64 v[34:35], 2, v[34:35]
	s_waitcnt lgkmcnt(0)
	v_mov_b32_e32 v37, s15
	v_add_co_u32_e32 v36, vcc, s14, v34
	v_addc_co_u32_e32 v37, vcc, v37, v35, vcc
	global_store_dword v[36:37], v54, off
	v_mov_b32_e32 v36, s13
	v_add_co_u32_e32 v34, vcc, s12, v34
	v_addc_co_u32_e32 v35, vcc, v36, v35, vcc
	global_store_dword v[34:35], v55, off
.LBB63_19:
	s_or_b64 exec, exec, s[2:3]
	v_lshl_or_b32 v45, v1, 9, v48
	s_waitcnt lgkmcnt(0)
	s_barrier
	ds_read_b128 v[34:37], v45
	ds_read_b128 v[38:41], v45 offset:16
	s_waitcnt vmcnt(7) lgkmcnt(1)
	v_mfma_f32_16x16x16f16 v[46:49], v[14:15], v[34:35], 0
	v_cmp_gt_u32_e32 vcc, 64, v0
	s_mov_b32 s3, 0
	s_and_b64 s[0:1], vcc, s[0:1]
	v_mfma_f32_16x16x16f16 v[14:17], v[16:17], v[36:37], v[46:49]
	s_waitcnt vmcnt(6) lgkmcnt(0)
	v_mfma_f32_16x16x16f16 v[14:17], v[10:11], v[38:39], v[14:17]
	v_mfma_f32_16x16x16f16 v[10:13], v[12:13], v[40:41], v[14:17]
	s_nop 7
	s_nop 1
	ds_read_b128 v[14:17], v45 offset:2048
	ds_read_b128 v[34:37], v45 offset:2064
	s_waitcnt vmcnt(5) lgkmcnt(1)
	v_mfma_f32_16x16x16f16 v[10:13], v[6:7], v[14:15], v[10:13]
	v_mfma_f32_16x16x16f16 v[6:9], v[8:9], v[16:17], v[10:13]
	s_waitcnt vmcnt(4) lgkmcnt(0)
	v_mfma_f32_16x16x16f16 v[6:9], v[2:3], v[34:35], v[6:9]
	v_mfma_f32_16x16x16f16 v[2:5], v[4:5], v[36:37], v[6:9]
	s_nop 7
	s_nop 1
	ds_read_b128 v[6:9], v45 offset:4096
	ds_read_b128 v[10:13], v45 offset:4112
	s_waitcnt vmcnt(3) lgkmcnt(1)
	v_mfma_f32_16x16x16f16 v[2:5], v[30:31], v[6:7], v[2:5]
	v_mfma_f32_16x16x16f16 v[2:5], v[32:33], v[8:9], v[2:5]
	s_waitcnt vmcnt(2) lgkmcnt(0)
	v_mfma_f32_16x16x16f16 v[2:5], v[22:23], v[10:11], v[2:5]
	v_mfma_f32_16x16x16f16 v[2:5], v[24:25], v[12:13], v[2:5]
	ds_read_b128 v[6:9], v45 offset:6144
	ds_read_b128 v[10:13], v45 offset:6160
	s_waitcnt lgkmcnt(0)
	s_barrier
	s_waitcnt vmcnt(1)
	v_mfma_f32_16x16x16f16 v[2:5], v[26:27], v[6:7], v[2:5]
	v_mfma_f32_16x16x16f16 v[2:5], v[28:29], v[8:9], v[2:5]
	s_waitcnt vmcnt(0)
	v_mfma_f32_16x16x16f16 v[2:5], v[18:19], v[10:11], v[2:5]
	v_mfma_f32_16x16x16f16 v[2:5], v[20:21], v[12:13], v[2:5]
	s_nop 7
	s_nop 2
	v_cvt_f16_f32_e32 v2, v2
	v_cvt_f16_f32_e32 v3, v3
	;; [unrolled: 1-line block ×4, first 2 shown]
	v_pack_b32_f16 v2, v2, v3
	v_pack_b32_f16 v3, v4, v5
	ds_write_b64 v44, v[2:3]
	s_waitcnt lgkmcnt(0)
	s_barrier
	s_and_saveexec_b64 s[10:11], s[0:1]
	s_cbranch_execz .LBB63_21
; %bb.20:
	s_load_dwordx2 s[0:1], s[4:5], 0x68
	s_lshl_b32 s7, s8, 6
	s_mul_i32 s2, s9, s6
	s_mul_hi_u32 s5, s2, s7
	s_mul_i32 s4, s2, s7
	s_lshl_b64 s[4:5], s[4:5], 1
	s_waitcnt lgkmcnt(0)
	s_add_u32 s4, s0, s4
	s_addc_u32 s5, s1, s5
	s_lshl_b32 s2, s28, 6
	v_lshlrev_b32_e32 v2, 10, v0
	v_lshlrev_b32_e32 v0, 4, v0
	s_lshl_b64 s[0:1], s[2:3], 1
	v_and_b32_e32 v2, 0x1800, v2
	v_lshlrev_b32_e32 v3, 5, v1
	v_and_b32_e32 v0, 16, v0
	s_add_u32 s0, s4, s0
	v_or3_b32 v0, v2, v3, v0
	s_addc_u32 s1, s5, s1
	ds_read_b128 v[2:5], v0
	ds_read_b128 v[6:9], v0 offset:128
	v_mov_b32_e32 v0, s1
	v_add_co_u32_e32 v10, vcc, s0, v42
	v_or_b32_e32 v12, s29, v1
	v_addc_co_u32_e32 v11, vcc, v0, v43, vcc
	v_mad_u64_u32 v[0:1], s[0:1], v12, s7, 0
	v_lshlrev_b64 v[0:1], 1, v[0:1]
	v_add_co_u32_e32 v0, vcc, v10, v0
	v_addc_co_u32_e32 v1, vcc, v11, v1, vcc
	s_waitcnt lgkmcnt(1)
	global_store_dwordx4 v[0:1], v[2:5], off
	v_or_b32_e32 v0, 4, v12
	v_mad_u64_u32 v[0:1], s[0:1], v0, s7, 0
	v_lshlrev_b64 v[0:1], 1, v[0:1]
	v_add_co_u32_e32 v0, vcc, v10, v0
	v_addc_co_u32_e32 v1, vcc, v11, v1, vcc
	s_waitcnt lgkmcnt(0)
	global_store_dwordx4 v[0:1], v[6:9], off
.LBB63_21:
	s_endpgm
	.section	.rodata,"a",@progbits
	.p2align	6, 0x0
	.amdhsa_kernel _Z39paged_attention_ll4mi_QKV_mfma16_kernelIDF16_DF16_LN4vllm18Fp8KVCacheDataTypeE0EDF16_Li32ELi64ELi256ELb1ELi8EL8MFMAType0EEvPKT_PKT0_S8_ifPKiSA_SA_iPKfiiiPfSD_PS3_PT2_iSC_SC_
		.amdhsa_group_segment_fixed_size 8192
		.amdhsa_private_segment_fixed_size 0
		.amdhsa_kernarg_size 400
		.amdhsa_user_sgpr_count 6
		.amdhsa_user_sgpr_private_segment_buffer 1
		.amdhsa_user_sgpr_dispatch_ptr 0
		.amdhsa_user_sgpr_queue_ptr 0
		.amdhsa_user_sgpr_kernarg_segment_ptr 1
		.amdhsa_user_sgpr_dispatch_id 0
		.amdhsa_user_sgpr_flat_scratch_init 0
		.amdhsa_user_sgpr_kernarg_preload_length 0
		.amdhsa_user_sgpr_kernarg_preload_offset 0
		.amdhsa_user_sgpr_private_segment_size 0
		.amdhsa_uses_dynamic_stack 0
		.amdhsa_system_sgpr_private_segment_wavefront_offset 0
		.amdhsa_system_sgpr_workgroup_id_x 1
		.amdhsa_system_sgpr_workgroup_id_y 1
		.amdhsa_system_sgpr_workgroup_id_z 1
		.amdhsa_system_sgpr_workgroup_info 0
		.amdhsa_system_vgpr_workitem_id 0
		.amdhsa_next_free_vgpr 66
		.amdhsa_next_free_sgpr 48
		.amdhsa_accum_offset 68
		.amdhsa_reserve_vcc 1
		.amdhsa_reserve_flat_scratch 0
		.amdhsa_float_round_mode_32 0
		.amdhsa_float_round_mode_16_64 0
		.amdhsa_float_denorm_mode_32 3
		.amdhsa_float_denorm_mode_16_64 3
		.amdhsa_dx10_clamp 1
		.amdhsa_ieee_mode 1
		.amdhsa_fp16_overflow 0
		.amdhsa_tg_split 0
		.amdhsa_exception_fp_ieee_invalid_op 0
		.amdhsa_exception_fp_denorm_src 0
		.amdhsa_exception_fp_ieee_div_zero 0
		.amdhsa_exception_fp_ieee_overflow 0
		.amdhsa_exception_fp_ieee_underflow 0
		.amdhsa_exception_fp_ieee_inexact 0
		.amdhsa_exception_int_div_zero 0
	.end_amdhsa_kernel
	.section	.text._Z39paged_attention_ll4mi_QKV_mfma16_kernelIDF16_DF16_LN4vllm18Fp8KVCacheDataTypeE0EDF16_Li32ELi64ELi256ELb1ELi8EL8MFMAType0EEvPKT_PKT0_S8_ifPKiSA_SA_iPKfiiiPfSD_PS3_PT2_iSC_SC_,"axG",@progbits,_Z39paged_attention_ll4mi_QKV_mfma16_kernelIDF16_DF16_LN4vllm18Fp8KVCacheDataTypeE0EDF16_Li32ELi64ELi256ELb1ELi8EL8MFMAType0EEvPKT_PKT0_S8_ifPKiSA_SA_iPKfiiiPfSD_PS3_PT2_iSC_SC_,comdat
.Lfunc_end63:
	.size	_Z39paged_attention_ll4mi_QKV_mfma16_kernelIDF16_DF16_LN4vllm18Fp8KVCacheDataTypeE0EDF16_Li32ELi64ELi256ELb1ELi8EL8MFMAType0EEvPKT_PKT0_S8_ifPKiSA_SA_iPKfiiiPfSD_PS3_PT2_iSC_SC_, .Lfunc_end63-_Z39paged_attention_ll4mi_QKV_mfma16_kernelIDF16_DF16_LN4vllm18Fp8KVCacheDataTypeE0EDF16_Li32ELi64ELi256ELb1ELi8EL8MFMAType0EEvPKT_PKT0_S8_ifPKiSA_SA_iPKfiiiPfSD_PS3_PT2_iSC_SC_
                                        ; -- End function
	.section	.AMDGPU.csdata,"",@progbits
; Kernel info:
; codeLenInByte = 4332
; NumSgprs: 52
; NumVgprs: 66
; NumAgprs: 0
; TotalNumVgprs: 66
; ScratchSize: 0
; MemoryBound: 0
; FloatMode: 240
; IeeeMode: 1
; LDSByteSize: 8192 bytes/workgroup (compile time only)
; SGPRBlocks: 6
; VGPRBlocks: 8
; NumSGPRsForWavesPerEU: 52
; NumVGPRsForWavesPerEU: 66
; AccumOffset: 68
; Occupancy: 7
; WaveLimiterHint : 1
; COMPUTE_PGM_RSRC2:SCRATCH_EN: 0
; COMPUTE_PGM_RSRC2:USER_SGPR: 6
; COMPUTE_PGM_RSRC2:TRAP_HANDLER: 0
; COMPUTE_PGM_RSRC2:TGID_X_EN: 1
; COMPUTE_PGM_RSRC2:TGID_Y_EN: 1
; COMPUTE_PGM_RSRC2:TGID_Z_EN: 1
; COMPUTE_PGM_RSRC2:TIDIG_COMP_CNT: 0
; COMPUTE_PGM_RSRC3_GFX90A:ACCUM_OFFSET: 16
; COMPUTE_PGM_RSRC3_GFX90A:TG_SPLIT: 0
	.section	.text._Z39paged_attention_ll4mi_QKV_mfma16_kernelIDF16_DF16_LN4vllm18Fp8KVCacheDataTypeE0EDF16_Li32ELi64ELi256ELb1ELi9EL8MFMAType0EEvPKT_PKT0_S8_ifPKiSA_SA_iPKfiiiPfSD_PS3_PT2_iSC_SC_,"axG",@progbits,_Z39paged_attention_ll4mi_QKV_mfma16_kernelIDF16_DF16_LN4vllm18Fp8KVCacheDataTypeE0EDF16_Li32ELi64ELi256ELb1ELi9EL8MFMAType0EEvPKT_PKT0_S8_ifPKiSA_SA_iPKfiiiPfSD_PS3_PT2_iSC_SC_,comdat
	.protected	_Z39paged_attention_ll4mi_QKV_mfma16_kernelIDF16_DF16_LN4vllm18Fp8KVCacheDataTypeE0EDF16_Li32ELi64ELi256ELb1ELi9EL8MFMAType0EEvPKT_PKT0_S8_ifPKiSA_SA_iPKfiiiPfSD_PS3_PT2_iSC_SC_ ; -- Begin function _Z39paged_attention_ll4mi_QKV_mfma16_kernelIDF16_DF16_LN4vllm18Fp8KVCacheDataTypeE0EDF16_Li32ELi64ELi256ELb1ELi9EL8MFMAType0EEvPKT_PKT0_S8_ifPKiSA_SA_iPKfiiiPfSD_PS3_PT2_iSC_SC_
	.globl	_Z39paged_attention_ll4mi_QKV_mfma16_kernelIDF16_DF16_LN4vllm18Fp8KVCacheDataTypeE0EDF16_Li32ELi64ELi256ELb1ELi9EL8MFMAType0EEvPKT_PKT0_S8_ifPKiSA_SA_iPKfiiiPfSD_PS3_PT2_iSC_SC_
	.p2align	8
	.type	_Z39paged_attention_ll4mi_QKV_mfma16_kernelIDF16_DF16_LN4vllm18Fp8KVCacheDataTypeE0EDF16_Li32ELi64ELi256ELb1ELi9EL8MFMAType0EEvPKT_PKT0_S8_ifPKiSA_SA_iPKfiiiPfSD_PS3_PT2_iSC_SC_,@function
_Z39paged_attention_ll4mi_QKV_mfma16_kernelIDF16_DF16_LN4vllm18Fp8KVCacheDataTypeE0EDF16_Li32ELi64ELi256ELb1ELi9EL8MFMAType0EEvPKT_PKT0_S8_ifPKiSA_SA_iPKfiiiPfSD_PS3_PT2_iSC_SC_: ; @_Z39paged_attention_ll4mi_QKV_mfma16_kernelIDF16_DF16_LN4vllm18Fp8KVCacheDataTypeE0EDF16_Li32ELi64ELi256ELb1ELi9EL8MFMAType0EEvPKT_PKT0_S8_ifPKiSA_SA_iPKfiiiPfSD_PS3_PT2_iSC_SC_
; %bb.0:
	s_load_dwordx2 s[0:1], s[4:5], 0x30
	s_mov_b32 s28, s7
	s_mov_b64 s[10:11], 0
	s_waitcnt lgkmcnt(0)
	s_cmp_lg_u64 s[0:1], 0
	s_cselect_b64 s[2:3], -1, 0
	s_and_b64 vcc, exec, s[2:3]
	s_cbranch_vccz .LBB64_7
; %bb.1:
	s_add_i32 s12, s6, 1
	s_mov_b32 s13, 0
	s_lshl_b64 s[14:15], s[12:13], 2
	s_add_u32 s14, s0, s14
	s_mov_b32 s7, s13
	s_addc_u32 s15, s1, s15
	s_lshl_b64 s[12:13], s[6:7], 2
	s_add_u32 s12, s0, s12
	s_addc_u32 s13, s1, s13
	s_load_dword s9, s[14:15], 0x0
	s_load_dword s16, s[12:13], 0x0
	s_waitcnt lgkmcnt(0)
	s_sub_i32 s9, s9, s16
	s_cmp_eq_u32 s9, 1
	s_cselect_b64 s[12:13], -1, 0
	s_andn2_b64 vcc, exec, s[10:11]
	s_cbranch_vccnz .LBB64_3
.LBB64_2:
	s_mov_b32 s7, 0
	s_mov_b64 s[12:13], -1
.LBB64_3:
	s_andn2_b64 vcc, exec, s[12:13]
	s_cbranch_vccnz .LBB64_22
; %bb.4:
	s_load_dwordx2 s[12:13], s[4:5], 0x28
	s_lshl_b64 s[10:11], s[6:7], 2
	s_waitcnt lgkmcnt(0)
	s_add_u32 s12, s12, s10
	s_addc_u32 s13, s13, s11
	s_load_dword s33, s[12:13], 0x0
	s_lshl_b32 s14, s28, 8
	s_waitcnt lgkmcnt(0)
	s_cmp_ge_i32 s14, s33
	s_cbranch_scc1 .LBB64_22
; %bb.5:
	s_add_i32 s15, s33, 31
	s_load_dwordx2 s[12:13], s[4:5], 0x20
	s_load_dword s9, s[4:5], 0x38
	s_ashr_i32 s16, s15, 31
	v_and_b32_e32 v1, 0xcf, v0
	s_lshr_b32 s16, s16, 27
	v_add_u32_e32 v1, s14, v1
	s_add_i32 s15, s15, s16
	v_ashrrev_i32_e32 v2, 31, v1
	s_ashr_i32 s17, s15, 5
	v_lshrrev_b32_e32 v6, 27, v2
	s_add_i32 s17, s17, -1
	v_add_u32_e32 v2, v1, v6
	s_waitcnt lgkmcnt(0)
	s_mul_i32 s18, s6, s9
	s_mov_b32 s19, 0
	v_ashrrev_i32_e32 v2, 5, v2
	v_mov_b32_e32 v7, s17
	v_cmp_gt_i32_e32 vcc, s33, v1
	s_lshl_b64 s[18:19], s[18:19], 2
	v_cndmask_b32_e32 v2, v7, v2, vcc
	s_add_u32 s15, s12, s18
	v_ashrrev_i32_e32 v3, 31, v2
	s_addc_u32 s16, s13, s19
	v_lshlrev_b64 v[2:3], 2, v[2:3]
	v_mov_b32_e32 v4, s16
	v_add_co_u32_e32 v2, vcc, s15, v2
	v_addc_co_u32_e32 v3, vcc, v4, v3, vcc
	v_or_b32_e32 v4, 16, v1
	v_add_u32_e32 v5, v4, v6
	v_ashrrev_i32_e32 v5, 5, v5
	v_cmp_gt_i32_e32 vcc, s33, v4
	v_cndmask_b32_e32 v4, v7, v5, vcc
	v_ashrrev_i32_e32 v5, 31, v4
	v_lshlrev_b64 v[4:5], 2, v[4:5]
	v_mov_b32_e32 v9, s16
	v_add_co_u32_e32 v8, vcc, s15, v4
	v_or_b32_e32 v4, 32, v1
	v_addc_co_u32_e32 v9, vcc, v9, v5, vcc
	v_add_u32_e32 v5, v4, v6
	v_ashrrev_i32_e32 v5, 5, v5
	v_cmp_gt_i32_e32 vcc, s33, v4
	v_cndmask_b32_e32 v4, v7, v5, vcc
	v_ashrrev_i32_e32 v5, 31, v4
	v_lshlrev_b64 v[4:5], 2, v[4:5]
	v_mov_b32_e32 v11, s16
	v_add_co_u32_e32 v10, vcc, s15, v4
	v_or_b32_e32 v1, 48, v1
	v_addc_co_u32_e32 v11, vcc, v11, v5, vcc
	v_add_u32_e32 v4, v1, v6
	v_ashrrev_i32_e32 v4, 5, v4
	v_cmp_gt_i32_e32 vcc, s33, v1
	v_cndmask_b32_e32 v4, v7, v4, vcc
	v_ashrrev_i32_e32 v5, 31, v4
	v_lshlrev_b64 v[4:5], 2, v[4:5]
	v_mov_b32_e32 v1, s16
	v_add_co_u32_e32 v12, vcc, s15, v4
	v_addc_co_u32_e32 v13, vcc, v1, v5, vcc
	global_load_dword v7, v[2:3], off
	global_load_dword v6, v[8:9], off
	;; [unrolled: 1-line block ×4, first 2 shown]
	s_andn2_b64 vcc, exec, s[2:3]
	s_cbranch_vccnz .LBB64_8
; %bb.6:
	s_add_u32 s0, s0, s10
	s_addc_u32 s1, s1, s11
	s_load_dword s9, s[0:1], 0x0
	s_branch .LBB64_9
.LBB64_7:
	s_mov_b64 s[12:13], 0
	s_branch .LBB64_2
.LBB64_8:
	s_mov_b32 s9, s6
.LBB64_9:
	s_load_dwordx2 s[10:11], s[4:5], 0x8
	s_load_dwordx4 s[44:47], s[4:5], 0x48
	v_lshrrev_b32_e32 v53, 6, v0
	v_bfe_u32 v1, v0, 4, 2
	v_lshl_or_b32 v8, v53, 2, v1
	v_and_b32_e32 v52, 15, v0
	v_cmp_lt_u32_e32 vcc, 8, v8
	v_cmp_lt_u32_e64 s[2:3], 7, v52
	v_lshlrev_b32_e32 v2, 3, v52
	v_cmp_gt_u32_e64 s[0:1], 8, v52
	s_or_b64 s[2:3], s[2:3], vcc
	s_and_saveexec_b64 s[12:13], s[2:3]
	s_xor_b64 s[2:3], exec, s[12:13]
; %bb.10:
	v_mov_b32_e32 v3, 0
                                        ; implicit-def: $vgpr8
; %bb.11:
	s_or_saveexec_b64 s[12:13], s[2:3]
	s_load_dwordx2 s[2:3], s[4:5], 0x10
	s_mul_i32 s29, s8, 9
	s_xor_b64 exec, exec, s[12:13]
	s_cbranch_execz .LBB64_13
; %bb.12:
	s_load_dwordx2 s[18:19], s[4:5], 0x0
	s_waitcnt lgkmcnt(0)
	s_ashr_i32 s20, s44, 31
	s_mul_hi_u32 s21, s9, s44
	s_mul_i32 s20, s9, s20
	s_add_i32 s21, s21, s20
	s_mul_i32 s20, s9, s44
	s_lshl_b64 s[20:21], s[20:21], 1
	v_add_lshl_u32 v10, v8, s29, 6
	s_add_u32 s9, s18, s20
	v_ashrrev_i32_e32 v11, 31, v10
	s_addc_u32 s18, s19, s21
	v_lshlrev_b64 v[10:11], 1, v[10:11]
	v_mov_b32_e32 v3, s18
	v_add_co_u32_e32 v9, vcc, s9, v10
	v_addc_co_u32_e32 v3, vcc, v3, v11, vcc
	v_lshlrev_b32_e32 v10, 1, v2
	v_add_co_u32_e32 v10, vcc, v9, v10
	v_addc_co_u32_e32 v11, vcc, 0, v3, vcc
	global_load_dwordx4 v[10:13], v[10:11], off
	v_and_b32_e32 v9, 3, v0
	v_lshlrev_b32_e32 v14, 9, v52
	v_lshlrev_b32_e32 v8, 5, v8
	;; [unrolled: 1-line block ×3, first 2 shown]
	v_and_b32_e32 v14, 0x1800, v14
	v_mov_b32_e32 v3, 0
	v_or3_b32 v8, v14, v9, v8
	s_waitcnt vmcnt(0)
	ds_write_b128 v8, v[10:13]
.LBB64_13:
	s_or_b64 exec, exec, s[12:13]
	s_waitcnt lgkmcnt(0)
	s_mul_i32 s8, s8, s46
	s_mov_b32 s9, 0
	s_lshl_b64 s[8:9], s[8:9], 1
	s_add_u32 s12, s10, s8
	s_addc_u32 s13, s11, s9
	s_waitcnt vmcnt(3)
	v_mad_i64_i32 v[8:9], s[10:11], v7, s45, 0
	v_lshlrev_b64 v[8:9], 1, v[8:9]
	v_mov_b32_e32 v7, s13
	v_add_co_u32_e32 v8, vcc, s12, v8
	v_addc_co_u32_e32 v7, vcc, v7, v9, vcc
	v_lshlrev_b64 v[42:43], 1, v[2:3]
	v_add_co_u32_e32 v2, vcc, v8, v42
	v_lshlrev_b32_e32 v24, 9, v1
	v_addc_co_u32_e32 v3, vcc, v7, v43, vcc
	v_add_co_u32_e32 v2, vcc, v2, v24
	v_addc_co_u32_e32 v3, vcc, 0, v3, vcc
	s_barrier
	global_load_dwordx4 v[38:41], v[2:3], off
	global_load_dwordx4 v[34:37], v[2:3], off offset:2048
	s_waitcnt vmcnt(4)
	v_mad_i64_i32 v[2:3], s[10:11], v6, s45, 0
	v_lshlrev_b64 v[2:3], 1, v[2:3]
	v_mov_b32_e32 v6, s13
	v_add_co_u32_e32 v2, vcc, s12, v2
	v_addc_co_u32_e32 v3, vcc, v6, v3, vcc
	v_mov_b32_e32 v6, 0x100
	v_lshl_or_b32 v18, v52, 4, v6
	v_add_co_u32_e32 v2, vcc, v2, v18
	v_addc_co_u32_e32 v3, vcc, 0, v3, vcc
	v_add_co_u32_e32 v2, vcc, v2, v24
	v_addc_co_u32_e32 v3, vcc, 0, v3, vcc
	global_load_dwordx4 v[30:33], v[2:3], off
	global_load_dwordx4 v[14:17], v[2:3], off offset:2048
	s_waitcnt vmcnt(5)
	v_mad_i64_i32 v[2:3], s[10:11], v5, s45, 0
	v_lshlrev_b64 v[2:3], 1, v[2:3]
	v_mov_b32_e32 v5, s13
	v_add_co_u32_e32 v2, vcc, s12, v2
	v_addc_co_u32_e32 v3, vcc, v5, v3, vcc
	v_add_co_u32_e32 v2, vcc, v2, v42
	v_addc_co_u32_e32 v3, vcc, v3, v43, vcc
	;; [unrolled: 2-line block ×3, first 2 shown]
	global_load_dwordx4 v[10:13], v[2:3], off
	global_load_dwordx4 v[6:9], v[2:3], off offset:2048
	s_waitcnt vmcnt(6)
	v_mad_i64_i32 v[2:3], s[10:11], v4, s45, 0
	v_lshlrev_b64 v[2:3], 1, v[2:3]
	v_mov_b32_e32 v4, s13
	v_add_co_u32_e32 v2, vcc, s12, v2
	v_addc_co_u32_e32 v3, vcc, v4, v3, vcc
	v_add_co_u32_e32 v2, vcc, v2, v18
	v_addc_co_u32_e32 v3, vcc, 0, v3, vcc
	;; [unrolled: 2-line block ×3, first 2 shown]
	global_load_dwordx4 v[2:5], v[22:23], off
	global_load_dwordx4 v[18:21], v[22:23], off offset:2048
	v_add_u32_e32 v22, -9, v52
	v_cmp_gt_u32_e32 vcc, 9, v52
	v_cndmask_b32_e32 v22, v22, v52, vcc
	v_lshl_add_u32 v22, v22, 5, v24
	ds_read_b128 v[26:29], v22
	ds_read_b128 v[22:25], v22 offset:2048
	v_and_b32_e32 v54, 63, v0
	v_mov_b32_e32 v50, 0
	s_and_saveexec_b64 s[10:11], vcc
	s_cbranch_execz .LBB64_15
; %bb.14:
	s_load_dwordx2 s[12:13], s[4:5], 0x40
	v_add_u32_e32 v44, s29, v52
	v_ashrrev_i32_e32 v45, 31, v44
	v_lshlrev_b64 v[44:45], 2, v[44:45]
	s_waitcnt lgkmcnt(0)
	v_mov_b32_e32 v46, s13
	v_add_co_u32_e32 v44, vcc, s12, v44
	v_addc_co_u32_e32 v45, vcc, v46, v45, vcc
	global_load_dword v50, v[44:45], off
.LBB64_15:
	s_or_b64 exec, exec, s[10:11]
	s_waitcnt vmcnt(7) lgkmcnt(1)
	v_mfma_f32_16x16x16f16 v[44:47], v[38:39], v[26:27], 0
	s_ashr_i32 s10, s14, 31
	s_lshr_b32 s11, s10, 27
	v_mov_b32_e32 v49, s16
	s_add_u32 s2, s2, s8
	s_addc_u32 s3, s3, s9
	s_load_dword s10, s[4:5], 0x1c
	s_mov_b32 s42, 0xff7fffff
	v_mfma_f32_16x16x16f16 v[38:41], v[40:41], v[28:29], v[44:47]
	s_waitcnt vmcnt(6) lgkmcnt(0)
	v_mfma_f32_16x16x16f16 v[38:41], v[34:35], v[22:23], v[38:41]
	s_nop 4
	v_and_or_b32 v46, v0, 48, s14
	v_add_u32_e32 v34, s11, v46
	v_ashrrev_i32_e32 v34, 5, v34
	v_mov_b32_e32 v47, s17
	v_cmp_gt_i32_e32 vcc, s33, v46
	v_cndmask_b32_e32 v34, v47, v34, vcc
	v_ashrrev_i32_e32 v35, 31, v34
	v_lshlrev_b64 v[44:45], 2, v[34:35]
	v_mfma_f32_16x16x16f16 v[34:37], v[36:37], v[24:25], v[38:41]
	s_nop 6
	v_mov_b32_e32 v39, s16
	v_add_co_u32_e32 v38, vcc, s15, v44
	v_addc_co_u32_e32 v39, vcc, v39, v45, vcc
	global_load_dword v48, v[38:39], off
	s_waitcnt vmcnt(6)
	v_mfma_f32_16x16x16f16 v[38:41], v[30:31], v[26:27], 0
	v_or_b32_e32 v44, 64, v46
	v_add_u32_e32 v30, s11, v44
	v_ashrrev_i32_e32 v30, 5, v30
	v_cmp_gt_i32_e32 vcc, s33, v44
	v_cndmask_b32_e32 v30, v47, v30, vcc
	v_ashrrev_i32_e32 v31, 31, v30
	v_lshlrev_b64 v[44:45], 2, v[30:31]
	v_mfma_f32_16x16x16f16 v[30:33], v[32:33], v[28:29], v[38:41]
	s_nop 6
	v_add_co_u32_e32 v38, vcc, s15, v44
	v_addc_co_u32_e32 v39, vcc, v49, v45, vcc
	global_load_dword v40, v[38:39], off
	v_or_b32_e32 v38, 0x80, v46
	v_add_u32_e32 v39, s11, v38
	v_ashrrev_i32_e32 v39, 5, v39
	v_cmp_gt_i32_e32 vcc, s33, v38
	v_cndmask_b32_e32 v38, v47, v39, vcc
	v_ashrrev_i32_e32 v39, 31, v38
	s_waitcnt vmcnt(6)
	v_mfma_f32_16x16x16f16 v[30:33], v[14:15], v[22:23], v[30:33]
	v_lshlrev_b64 v[14:15], 2, v[38:39]
	v_mov_b32_e32 v38, s16
	v_add_co_u32_e32 v14, vcc, s15, v14
	v_addc_co_u32_e32 v15, vcc, v38, v15, vcc
	global_load_dword v41, v[14:15], off
	v_mfma_f32_16x16x16f16 v[30:33], v[16:17], v[24:25], v[30:33]
	v_or_b32_e32 v38, 0xc0, v46
	v_cmp_gt_i32_e32 vcc, s33, v38
	v_mov_b32_e32 v44, s16
	s_waitcnt vmcnt(6)
	v_mfma_f32_16x16x16f16 v[14:17], v[10:11], v[26:27], 0
	v_add_u32_e32 v10, s11, v38
	v_ashrrev_i32_e32 v10, 5, v10
	v_cndmask_b32_e32 v10, v47, v10, vcc
	v_ashrrev_i32_e32 v11, 31, v10
	v_lshlrev_b64 v[38:39], 2, v[10:11]
	s_nop 0
	v_pk_mul_f32 v[46:47], s[10:11], v[30:31] op_sel_hi:[0,1]
	v_mfma_f32_16x16x16f16 v[10:13], v[12:13], v[28:29], v[14:17]
	s_nop 6
	v_add_co_u32_e32 v14, vcc, s15, v38
	s_waitcnt vmcnt(5)
	v_mfma_f32_16x16x16f16 v[10:13], v[6:7], v[22:23], v[10:13]
	v_addc_co_u32_e32 v15, vcc, v44, v39, vcc
	global_load_dword v51, v[14:15], off
	v_and_b32_e32 v14, 16, v0
	v_lshlrev_b32_e32 v14, 1, v14
	v_mov_b32_e32 v6, s3
	v_add_co_u32_e32 v7, vcc, s2, v14
	v_lshlrev_b32_e32 v14, 6, v52
	v_addc_co_u32_e32 v6, vcc, 0, v6, vcc
	v_lshl_or_b32 v14, v53, 10, v14
	v_add_co_u32_e32 v55, vcc, v7, v14
	v_addc_co_u32_e32 v60, vcc, 0, v6, vcc
	v_mfma_f32_16x16x16f16 v[56:59], v[8:9], v[24:25], v[10:13]
	s_waitcnt vmcnt(3)
	v_mad_i64_i32 v[6:7], s[2:3], v48, s45, 0
	v_pk_mul_f32 v[48:49], s[10:11], v[36:37] op_sel_hi:[0,1]
	v_pk_mul_f32 v[44:45], s[10:11], v[32:33] op_sel_hi:[0,1]
	s_waitcnt vmcnt(1)
	v_mad_i64_i32 v[38:39], s[2:3], v41, s45, 0
	s_nop 0
	v_lshlrev_b64 v[10:11], 1, v[6:7]
	v_mfma_f32_16x16x16f16 v[6:9], v[2:3], v[26:27], 0
	v_add_co_u32_e32 v2, vcc, v55, v10
	v_addc_co_u32_e32 v3, vcc, v60, v11, vcc
	global_load_dwordx4 v[14:17], v[2:3], off
	global_load_dwordx4 v[10:13], v[2:3], off offset:16
	v_mad_i64_i32 v[2:3], s[2:3], v40, s45, 0
	v_mfma_f32_16x16x16f16 v[26:29], v[4:5], v[28:29], v[6:9]
	v_lshlrev_b64 v[2:3], 1, v[2:3]
	v_add_co_u32_e32 v2, vcc, v55, v2
	v_addc_co_u32_e32 v3, vcc, v60, v3, vcc
	v_lshlrev_b64 v[38:39], 1, v[38:39]
	v_pk_mul_f32 v[40:41], s[10:11], v[56:57] op_sel_hi:[0,1]
	v_mfma_f32_16x16x16f16 v[26:29], v[18:19], v[22:23], v[26:29]
	v_pk_mul_f32 v[18:19], s[10:11], v[34:35] op_sel_hi:[0,1]
	v_add_co_u32_e32 v22, vcc, v55, v38
	v_addc_co_u32_e32 v23, vcc, v60, v39, vcc
	v_pk_mul_f32 v[38:39], s[10:11], v[58:59] op_sel_hi:[0,1]
	global_load_dwordx4 v[6:9], v[2:3], off
	s_nop 0
	global_load_dwordx4 v[2:5], v[2:3], off offset:16
	v_mfma_f32_16x16x16f16 v[24:27], v[20:21], v[24:25], v[26:29]
	v_and_b32_e32 v20, 0xc0, v0
	v_add_u32_e32 v20, s14, v20
	v_lshl_or_b32 v20, v1, 2, v20
	v_or_b32_e32 v21, 1, v20
	v_cmp_gt_i32_e64 s[30:31], s33, v20
	v_cmp_gt_i32_e64 s[34:35], s33, v21
	s_nop 4
	v_pk_mul_f32 v[36:37], s[10:11], v[24:25] op_sel_hi:[0,1]
	v_subrev_u32_e32 v24, s33, v21
	v_pk_mul_f32 v[34:35], s[10:11], v[26:27] op_sel_hi:[0,1]
	v_add_u32_e32 v26, 1, v24
	v_add_u32_e32 v27, 2, v24
	v_cvt_f32_i32_e32 v25, v24
	v_cvt_f32_i32_e32 v26, v26
	;; [unrolled: 1-line block ×3, first 2 shown]
	v_add_u32_e32 v28, 3, v24
	v_fma_f32 v18, v50, v25, v18
	v_fmac_f32_e32 v19, v50, v26
	v_fma_f32 v48, v50, v27, v48
	v_add_u32_e32 v25, 16, v24
	v_add_u32_e32 v26, 17, v24
	v_add_u32_e32 v27, 18, v24
	v_cvt_f32_i32_e32 v28, v28
	v_cvt_f32_i32_e32 v25, v25
	;; [unrolled: 1-line block ×4, first 2 shown]
	v_fmac_f32_e32 v49, v50, v28
	v_add_u32_e32 v28, 19, v24
	v_fma_f32 v46, v50, v25, v46
	v_fmac_f32_e32 v47, v50, v26
	v_fma_f32 v44, v50, v27, v44
	v_add_u32_e32 v25, 32, v24
	v_add_u32_e32 v26, 33, v24
	;; [unrolled: 1-line block ×3, first 2 shown]
	v_cvt_f32_i32_e32 v28, v28
	v_cvt_f32_i32_e32 v25, v25
	;; [unrolled: 1-line block ×4, first 2 shown]
	v_fmac_f32_e32 v45, v50, v28
	v_add_u32_e32 v28, 35, v24
	v_fma_f32 v40, v50, v25, v40
	v_fmac_f32_e32 v41, v50, v26
	v_fma_f32 v38, v50, v27, v38
	v_add_u32_e32 v25, 48, v24
	v_add_u32_e32 v26, 49, v24
	;; [unrolled: 1-line block ×4, first 2 shown]
	v_cvt_f32_i32_e32 v24, v24
	v_cvt_f32_i32_e32 v25, v25
	;; [unrolled: 1-line block ×4, first 2 shown]
	v_fmac_f32_e32 v35, v50, v24
	v_mov_b32_e32 v24, 0xff7fffff
	v_fma_f32 v36, v50, v25, v36
	v_cndmask_b32_e64 v25, v24, v18, s[30:31]
	v_cndmask_b32_e64 v21, v24, v19, s[34:35]
	v_fmac_f32_e32 v37, v50, v26
	v_max3_f32 v21, v25, s42, v21
	v_or_b32_e32 v25, 2, v20
	v_or_b32_e32 v26, 3, v20
	v_cmp_gt_i32_e64 s[36:37], s33, v25
	v_cmp_gt_i32_e64 s[38:39], s33, v26
	v_cndmask_b32_e64 v25, v24, v48, s[36:37]
	v_cndmask_b32_e64 v26, v24, v49, s[38:39]
	v_max3_f32 v21, v21, v25, v26
	v_or_b32_e32 v25, 16, v20
	v_or_b32_e32 v26, 17, v20
	v_cmp_gt_i32_e64 s[24:25], s33, v25
	v_cmp_gt_i32_e64 s[26:27], s33, v26
	v_cndmask_b32_e64 v25, v24, v46, s[24:25]
	v_cndmask_b32_e64 v26, v24, v47, s[26:27]
	v_max3_f32 v21, v21, v25, v26
	v_or_b32_e32 v25, 18, v20
	v_or_b32_e32 v26, 19, v20
	v_cmp_gt_i32_e64 s[20:21], s33, v25
	v_cmp_gt_i32_e64 s[22:23], s33, v26
	v_cndmask_b32_e64 v25, v24, v44, s[20:21]
	v_cndmask_b32_e64 v26, v24, v45, s[22:23]
	v_max3_f32 v21, v21, v25, v26
	v_or_b32_e32 v25, 32, v20
	v_or_b32_e32 v26, 33, v20
	v_cmp_gt_i32_e64 s[16:17], s33, v25
	v_cmp_gt_i32_e64 s[18:19], s33, v26
	v_cndmask_b32_e64 v25, v24, v40, s[16:17]
	v_cndmask_b32_e64 v26, v24, v41, s[18:19]
	v_max3_f32 v21, v21, v25, v26
	v_or_b32_e32 v25, 34, v20
	v_or_b32_e32 v26, 35, v20
	v_fmac_f32_e32 v39, v50, v28
	v_cmp_gt_i32_e64 s[12:13], s33, v25
	v_cmp_gt_i32_e64 s[14:15], s33, v26
	v_cndmask_b32_e64 v25, v24, v38, s[12:13]
	v_cndmask_b32_e64 v26, v24, v39, s[14:15]
	v_cvt_f32_i32_e32 v27, v27
	v_max3_f32 v21, v21, v25, v26
	v_or_b32_e32 v25, 48, v20
	v_or_b32_e32 v26, 49, v20
	v_cmp_gt_i32_e64 s[8:9], s33, v25
	v_cmp_gt_i32_e64 s[10:11], s33, v26
	v_cndmask_b32_e64 v25, v24, v36, s[8:9]
	v_cndmask_b32_e64 v26, v24, v37, s[10:11]
	v_max3_f32 v21, v21, v25, v26
	v_or_b32_e32 v25, 50, v20
	v_or_b32_e32 v20, 51, v20
	v_fma_f32 v34, v50, v27, v34
	v_cmp_gt_i32_e32 vcc, s33, v25
	v_cmp_gt_i32_e64 s[2:3], s33, v20
	v_cndmask_b32_e32 v25, v24, v34, vcc
	v_cndmask_b32_e64 v20, v24, v35, s[2:3]
	v_max3_f32 v26, v21, v25, v20
	v_mbcnt_lo_u32_b32 v20, -1, 0
	v_mbcnt_hi_u32_b32 v27, -1, v20
	v_and_b32_e32 v20, 64, v27
	v_add_u32_e32 v28, 64, v20
	v_xor_b32_e32 v20, 32, v27
	v_cmp_lt_i32_e64 s[40:41], v20, v28
	v_cndmask_b32_e64 v20, v27, v20, s[40:41]
	v_lshlrev_b32_e32 v56, 2, v20
	ds_bpermute_b32 v29, v56, v26
	s_waitcnt vmcnt(4)
	v_mad_i64_i32 v[20:21], s[40:41], v51, s45, 0
	v_lshlrev_b64 v[20:21], 1, v[20:21]
	global_load_dwordx4 v[30:33], v[22:23], off
	s_nop 0
	global_load_dwordx4 v[22:25], v[22:23], off offset:16
	s_waitcnt lgkmcnt(0)
	v_max_f32_e32 v29, v29, v29
	v_max_f32_e32 v26, v26, v29
	v_xor_b32_e32 v29, 16, v27
	v_cmp_lt_i32_e64 s[40:41], v29, v28
	v_cndmask_b32_e64 v27, v27, v29, s[40:41]
	v_lshlrev_b32_e32 v58, 2, v27
	ds_bpermute_b32 v27, v58, v26
	v_add_co_u32_e64 v20, s[40:41], v55, v20
	v_addc_co_u32_e64 v21, s[40:41], v60, v21, s[40:41]
	s_waitcnt lgkmcnt(0)
	v_max_f32_e32 v27, v27, v27
	v_max_f32_e32 v55, v26, v27
	v_sub_f32_e32 v18, v18, v55
	v_mul_f32_e32 v18, 0x3fb8aa3b, v18
	v_exp_f32_e32 v50, v18
	v_sub_f32_e32 v18, v19, v55
	v_mul_f32_e32 v18, 0x3fb8aa3b, v18
	v_exp_f32_e32 v51, v18
	global_load_dwordx4 v[26:29], v[20:21], off
	s_nop 0
	global_load_dwordx4 v[18:21], v[20:21], off offset:16
	v_sub_f32_e32 v48, v48, v55
	v_mul_f32_e32 v48, 0x3fb8aa3b, v48
	v_sub_f32_e32 v49, v49, v55
	v_exp_f32_e32 v48, v48
	v_mul_f32_e32 v49, 0x3fb8aa3b, v49
	v_sub_f32_e32 v46, v46, v55
	v_exp_f32_e32 v49, v49
	v_mul_f32_e32 v46, 0x3fb8aa3b, v46
	v_sub_f32_e32 v47, v47, v55
	v_cndmask_b32_e64 v50, 0, v50, s[30:31]
	v_exp_f32_e32 v46, v46
	v_mul_f32_e32 v47, 0x3fb8aa3b, v47
	v_sub_f32_e32 v44, v44, v55
	v_add_f32_e32 v57, 0, v50
	v_cndmask_b32_e64 v51, 0, v51, s[34:35]
	v_exp_f32_e32 v47, v47
	v_mul_f32_e32 v44, 0x3fb8aa3b, v44
	v_sub_f32_e32 v45, v45, v55
	v_add_f32_e32 v57, v57, v51
	;; [unrolled: 5-line block ×10, first 2 shown]
	v_cndmask_b32_e64 v38, 0, v38, s[12:13]
	v_exp_f32_e32 v34, v34
	v_mul_f32_e32 v35, 0x3fb8aa3b, v35
	v_add_f32_e32 v57, v57, v38
	v_cndmask_b32_e64 v39, 0, v39, s[14:15]
	v_exp_f32_e32 v35, v35
	v_add_f32_e32 v57, v57, v39
	v_cndmask_b32_e64 v36, 0, v36, s[8:9]
	v_add_f32_e32 v57, v57, v36
	v_cndmask_b32_e64 v37, 0, v37, s[10:11]
	v_add_f32_e32 v57, v57, v37
	v_cndmask_b32_e32 v34, 0, v34, vcc
	v_add_f32_e32 v57, v57, v34
	v_cndmask_b32_e64 v35, 0, v35, s[2:3]
	v_add_f32_e32 v57, v57, v35
	ds_bpermute_b32 v56, v56, v57
	s_load_dword s11, s[4:5], 0x98
	v_cmp_gt_u32_e64 s[2:3], 16, v54
	s_waitcnt lgkmcnt(0)
	s_barrier
	v_add_f32_e32 v57, v57, v56
	ds_bpermute_b32 v58, v58, v57
	v_lshlrev_b32_e32 v56, 2, v52
	s_waitcnt lgkmcnt(0)
	s_and_saveexec_b64 s[8:9], s[2:3]
	s_cbranch_execz .LBB64_17
; %bb.16:
	v_add_f32_e32 v54, v57, v58
	v_lshl_or_b32 v57, v53, 6, v56
	ds_write2st64_b32 v57, v55, v54 offset1:1
.LBB64_17:
	s_or_b64 exec, exec, s[8:9]
	s_load_dword s10, s[4:5], 0x94
	s_waitcnt lgkmcnt(0)
	s_barrier
	ds_read2_b32 v[58:59], v56 offset1:16
	ds_read2_b32 v[60:61], v56 offset0:32 offset1:48
	ds_read2_b32 v[62:63], v56 offset0:64 offset1:80
	;; [unrolled: 1-line block ×3, first 2 shown]
	s_waitcnt lgkmcnt(0)
	v_max3_f32 v54, v58, s42, v59
	v_max3_f32 v54, v54, v60, v61
	v_sub_f32_e32 v55, v58, v54
	v_mul_f32_e32 v55, 0x3fb8aa3b, v55
	v_exp_f32_e32 v58, v55
	v_sub_f32_e32 v55, v59, v54
	v_mul_f32_e32 v55, 0x3fb8aa3b, v55
	v_exp_f32_e32 v59, v55
	;; [unrolled: 3-line block ×4, first 2 shown]
	v_fma_f32 v55, v58, v62, 0
	v_fmac_f32_e32 v55, v59, v63
	v_fmac_f32_e32 v55, v60, v56
	;; [unrolled: 1-line block ×3, first 2 shown]
	v_add_f32_e32 v56, 0x358637bd, v55
	v_div_scale_f32 v57, s[8:9], v56, v56, 1.0
	v_rcp_f32_e32 v62, v57
	s_barrier
	s_mul_i32 s11, s11, 9
	v_fma_f32 v63, -v57, v62, 1.0
	v_fmac_f32_e32 v62, v63, v62
	v_div_scale_f32 v63, vcc, 1.0, v56, 1.0
	v_mul_f32_e32 v64, v63, v62
	v_fma_f32 v65, -v57, v64, v63
	v_fmac_f32_e32 v64, v65, v62
	v_fma_f32 v57, -v57, v64, v63
	v_div_fmas_f32 v57, v57, v62, v64
	v_cmp_eq_u32_e32 vcc, 1, v53
	v_div_fixup_f32 v56, v57, v56, 1.0
	v_cndmask_b32_e32 v57, v58, v59, vcc
	v_cmp_eq_u32_e32 vcc, 2, v53
	v_cndmask_b32_e32 v57, v57, v60, vcc
	v_cmp_eq_u32_e32 vcc, 3, v53
	v_cndmask_b32_e32 v57, v57, v61, vcc
	v_mul_f32_e32 v56, v57, v56
	v_pk_mul_f32 v[48:49], v[56:57], v[48:49] op_sel_hi:[0,1]
	v_pk_mul_f32 v[50:51], v[56:57], v[50:51] op_sel_hi:[0,1]
	v_cvt_f16_f32_e32 v50, v50
	v_cvt_f16_f32_e32 v51, v51
	;; [unrolled: 1-line block ×4, first 2 shown]
	v_pk_mul_f32 v[44:45], v[56:57], v[44:45] op_sel_hi:[0,1]
	v_pk_mul_f32 v[46:47], v[56:57], v[46:47] op_sel_hi:[0,1]
	v_cvt_f16_f32_e32 v46, v46
	v_cvt_f16_f32_e32 v47, v47
	v_cvt_f16_f32_e32 v57, v44
	v_cvt_f16_f32_e32 v45, v45
	v_pack_b32_f16 v50, v50, v51
	v_pack_b32_f16 v51, v48, v49
	v_lshlrev_b32_e32 v49, 3, v1
	v_lshlrev_b32_e32 v48, 5, v52
	;; [unrolled: 1-line block ×3, first 2 shown]
	v_or3_b32 v44, v44, v48, v49
	v_pack_b32_f16 v46, v46, v47
	v_pack_b32_f16 v47, v57, v45
	v_pk_mul_f32 v[38:39], v[56:57], v[38:39] op_sel_hi:[0,1]
	v_pk_mul_f32 v[40:41], v[56:57], v[40:41] op_sel_hi:[0,1]
	;; [unrolled: 1-line block ×4, first 2 shown]
	ds_write2st64_b64 v44, v[50:51], v[46:47] offset1:1
	v_cvt_f16_f32_e32 v40, v40
	v_cvt_f16_f32_e32 v41, v41
	;; [unrolled: 1-line block ×8, first 2 shown]
	v_pack_b32_f16 v34, v40, v41
	v_pack_b32_f16 v35, v38, v39
	;; [unrolled: 1-line block ×4, first 2 shown]
	v_cmp_gt_u32_e32 vcc, 9, v0
	ds_write2st64_b64 v44, v[34:35], v[36:37] offset0:2 offset1:3
	s_and_saveexec_b64 s[8:9], vcc
	s_cbranch_execz .LBB64_19
; %bb.18:
	v_add_co_u32_e32 v36, vcc, s29, v52
	v_addc_co_u32_e64 v37, s[16:17], 0, 0, vcc
	v_mov_b32_e32 v34, s11
	v_mov_b32_e32 v35, 0
	v_mad_u64_u32 v[36:37], s[16:17], s6, v34, v[36:37]
	v_mov_b32_e32 v34, s28
	s_load_dwordx4 s[12:15], s[4:5], 0x58
	s_mul_i32 s7, s7, s11
	v_mad_u64_u32 v[34:35], s[16:17], v36, s10, v[34:35]
	v_add_u32_e32 v37, s7, v37
	v_mov_b32_e32 v36, v35
	v_mad_u64_u32 v[36:37], s[16:17], v37, s10, v[36:37]
	v_mov_b32_e32 v35, v36
	v_lshlrev_b64 v[34:35], 2, v[34:35]
	s_waitcnt lgkmcnt(0)
	v_mov_b32_e32 v37, s15
	v_add_co_u32_e32 v36, vcc, s14, v34
	v_addc_co_u32_e32 v37, vcc, v37, v35, vcc
	global_store_dword v[36:37], v54, off
	v_mov_b32_e32 v36, s13
	v_add_co_u32_e32 v34, vcc, s12, v34
	v_addc_co_u32_e32 v35, vcc, v36, v35, vcc
	global_store_dword v[34:35], v55, off
.LBB64_19:
	s_or_b64 exec, exec, s[8:9]
	v_lshl_or_b32 v45, v1, 9, v48
	s_waitcnt lgkmcnt(0)
	s_barrier
	ds_read_b128 v[34:37], v45
	ds_read_b128 v[38:41], v45 offset:16
	s_waitcnt vmcnt(7) lgkmcnt(1)
	v_mfma_f32_16x16x16f16 v[46:49], v[14:15], v[34:35], 0
	v_cmp_gt_u32_e32 vcc, 64, v0
	s_mov_b32 s7, 0
	s_and_b64 s[0:1], vcc, s[0:1]
	v_mfma_f32_16x16x16f16 v[14:17], v[16:17], v[36:37], v[46:49]
	s_waitcnt vmcnt(6) lgkmcnt(0)
	v_mfma_f32_16x16x16f16 v[14:17], v[10:11], v[38:39], v[14:17]
	v_mfma_f32_16x16x16f16 v[10:13], v[12:13], v[40:41], v[14:17]
	s_nop 7
	s_nop 1
	ds_read_b128 v[14:17], v45 offset:2048
	ds_read_b128 v[34:37], v45 offset:2064
	s_waitcnt vmcnt(5) lgkmcnt(1)
	v_mfma_f32_16x16x16f16 v[10:13], v[6:7], v[14:15], v[10:13]
	v_mfma_f32_16x16x16f16 v[6:9], v[8:9], v[16:17], v[10:13]
	s_waitcnt vmcnt(4) lgkmcnt(0)
	v_mfma_f32_16x16x16f16 v[6:9], v[2:3], v[34:35], v[6:9]
	v_mfma_f32_16x16x16f16 v[2:5], v[4:5], v[36:37], v[6:9]
	s_nop 7
	s_nop 1
	ds_read_b128 v[6:9], v45 offset:4096
	ds_read_b128 v[10:13], v45 offset:4112
	s_waitcnt vmcnt(3) lgkmcnt(1)
	v_mfma_f32_16x16x16f16 v[2:5], v[30:31], v[6:7], v[2:5]
	v_mfma_f32_16x16x16f16 v[2:5], v[32:33], v[8:9], v[2:5]
	s_waitcnt vmcnt(2) lgkmcnt(0)
	v_mfma_f32_16x16x16f16 v[2:5], v[22:23], v[10:11], v[2:5]
	v_mfma_f32_16x16x16f16 v[2:5], v[24:25], v[12:13], v[2:5]
	ds_read_b128 v[6:9], v45 offset:6144
	ds_read_b128 v[10:13], v45 offset:6160
	s_waitcnt lgkmcnt(0)
	s_barrier
	s_waitcnt vmcnt(1)
	v_mfma_f32_16x16x16f16 v[2:5], v[26:27], v[6:7], v[2:5]
	v_mfma_f32_16x16x16f16 v[2:5], v[28:29], v[8:9], v[2:5]
	s_waitcnt vmcnt(0)
	v_mfma_f32_16x16x16f16 v[2:5], v[18:19], v[10:11], v[2:5]
	v_mfma_f32_16x16x16f16 v[2:5], v[20:21], v[12:13], v[2:5]
	s_nop 7
	s_nop 2
	v_cvt_f16_f32_e32 v2, v2
	v_cvt_f16_f32_e32 v3, v3
	;; [unrolled: 1-line block ×4, first 2 shown]
	v_pack_b32_f16 v2, v2, v3
	v_pack_b32_f16 v3, v4, v5
	ds_write_b64 v44, v[2:3]
	s_waitcnt lgkmcnt(0)
	s_barrier
	s_and_saveexec_b64 s[8:9], s[0:1]
	s_cbranch_execz .LBB64_22
; %bb.20:
	s_load_dwordx2 s[4:5], s[4:5], 0x68
	s_lshl_b32 s0, s10, 6
	s_mul_i32 s1, s11, s6
	s_mul_hi_u32 s9, s1, s0
	s_mul_i32 s8, s1, s0
	s_lshl_b64 s[8:9], s[8:9], 1
	s_waitcnt lgkmcnt(0)
	s_add_u32 s1, s4, s8
	v_lshlrev_b32_e32 v2, 10, v0
	v_lshlrev_b32_e32 v0, 4, v0
	s_addc_u32 s8, s5, s9
	s_lshl_b32 s6, s28, 6
	v_and_b32_e32 v2, 0x1800, v2
	v_lshlrev_b32_e32 v3, 5, v1
	v_and_b32_e32 v0, 16, v0
	s_lshl_b64 s[4:5], s[6:7], 1
	v_or3_b32 v0, v2, v3, v0
	s_add_u32 s1, s1, s4
	s_addc_u32 s4, s8, s5
	ds_read_b128 v[4:7], v0 offset:128
	ds_read_b128 v[8:11], v0
	v_add_u32_e32 v14, s29, v1
	v_mov_b32_e32 v3, s4
	v_add_co_u32_e32 v2, vcc, s1, v42
	v_mad_u64_u32 v[12:13], s[4:5], v14, s0, 0
	v_addc_co_u32_e32 v3, vcc, v3, v43, vcc
	v_lshlrev_b64 v[12:13], 1, v[12:13]
	v_add_co_u32_e32 v12, vcc, v2, v12
	v_addc_co_u32_e32 v13, vcc, v3, v13, vcc
	s_waitcnt lgkmcnt(0)
	global_store_dwordx4 v[12:13], v[8:11], off
	s_nop 0
	v_add_u32_e32 v8, 4, v14
	v_mad_u64_u32 v[8:9], s[4:5], v8, s0, 0
	v_lshlrev_b64 v[8:9], 1, v[8:9]
	v_add_co_u32_e32 v8, vcc, v2, v8
	v_addc_co_u32_e32 v9, vcc, v3, v9, vcc
	global_store_dwordx4 v[8:9], v[4:7], off
	s_and_b64 exec, exec, s[2:3]
	s_cbranch_execz .LBB64_22
; %bb.21:
	ds_read_b128 v[4:7], v0 offset:256
	v_add3_u32 v0, s29, v1, 8
	v_mad_u64_u32 v[0:1], s[0:1], v0, s0, 0
	v_lshlrev_b64 v[0:1], 1, v[0:1]
	v_add_co_u32_e32 v0, vcc, v2, v0
	v_addc_co_u32_e32 v1, vcc, v3, v1, vcc
	s_waitcnt lgkmcnt(0)
	global_store_dwordx4 v[0:1], v[4:7], off
.LBB64_22:
	s_endpgm
	.section	.rodata,"a",@progbits
	.p2align	6, 0x0
	.amdhsa_kernel _Z39paged_attention_ll4mi_QKV_mfma16_kernelIDF16_DF16_LN4vllm18Fp8KVCacheDataTypeE0EDF16_Li32ELi64ELi256ELb1ELi9EL8MFMAType0EEvPKT_PKT0_S8_ifPKiSA_SA_iPKfiiiPfSD_PS3_PT2_iSC_SC_
		.amdhsa_group_segment_fixed_size 8192
		.amdhsa_private_segment_fixed_size 0
		.amdhsa_kernarg_size 400
		.amdhsa_user_sgpr_count 6
		.amdhsa_user_sgpr_private_segment_buffer 1
		.amdhsa_user_sgpr_dispatch_ptr 0
		.amdhsa_user_sgpr_queue_ptr 0
		.amdhsa_user_sgpr_kernarg_segment_ptr 1
		.amdhsa_user_sgpr_dispatch_id 0
		.amdhsa_user_sgpr_flat_scratch_init 0
		.amdhsa_user_sgpr_kernarg_preload_length 0
		.amdhsa_user_sgpr_kernarg_preload_offset 0
		.amdhsa_user_sgpr_private_segment_size 0
		.amdhsa_uses_dynamic_stack 0
		.amdhsa_system_sgpr_private_segment_wavefront_offset 0
		.amdhsa_system_sgpr_workgroup_id_x 1
		.amdhsa_system_sgpr_workgroup_id_y 1
		.amdhsa_system_sgpr_workgroup_id_z 1
		.amdhsa_system_sgpr_workgroup_info 0
		.amdhsa_system_vgpr_workitem_id 0
		.amdhsa_next_free_vgpr 66
		.amdhsa_next_free_sgpr 48
		.amdhsa_accum_offset 68
		.amdhsa_reserve_vcc 1
		.amdhsa_reserve_flat_scratch 0
		.amdhsa_float_round_mode_32 0
		.amdhsa_float_round_mode_16_64 0
		.amdhsa_float_denorm_mode_32 3
		.amdhsa_float_denorm_mode_16_64 3
		.amdhsa_dx10_clamp 1
		.amdhsa_ieee_mode 1
		.amdhsa_fp16_overflow 0
		.amdhsa_tg_split 0
		.amdhsa_exception_fp_ieee_invalid_op 0
		.amdhsa_exception_fp_denorm_src 0
		.amdhsa_exception_fp_ieee_div_zero 0
		.amdhsa_exception_fp_ieee_overflow 0
		.amdhsa_exception_fp_ieee_underflow 0
		.amdhsa_exception_fp_ieee_inexact 0
		.amdhsa_exception_int_div_zero 0
	.end_amdhsa_kernel
	.section	.text._Z39paged_attention_ll4mi_QKV_mfma16_kernelIDF16_DF16_LN4vllm18Fp8KVCacheDataTypeE0EDF16_Li32ELi64ELi256ELb1ELi9EL8MFMAType0EEvPKT_PKT0_S8_ifPKiSA_SA_iPKfiiiPfSD_PS3_PT2_iSC_SC_,"axG",@progbits,_Z39paged_attention_ll4mi_QKV_mfma16_kernelIDF16_DF16_LN4vllm18Fp8KVCacheDataTypeE0EDF16_Li32ELi64ELi256ELb1ELi9EL8MFMAType0EEvPKT_PKT0_S8_ifPKiSA_SA_iPKfiiiPfSD_PS3_PT2_iSC_SC_,comdat
.Lfunc_end64:
	.size	_Z39paged_attention_ll4mi_QKV_mfma16_kernelIDF16_DF16_LN4vllm18Fp8KVCacheDataTypeE0EDF16_Li32ELi64ELi256ELb1ELi9EL8MFMAType0EEvPKT_PKT0_S8_ifPKiSA_SA_iPKfiiiPfSD_PS3_PT2_iSC_SC_, .Lfunc_end64-_Z39paged_attention_ll4mi_QKV_mfma16_kernelIDF16_DF16_LN4vllm18Fp8KVCacheDataTypeE0EDF16_Li32ELi64ELi256ELb1ELi9EL8MFMAType0EEvPKT_PKT0_S8_ifPKiSA_SA_iPKfiiiPfSD_PS3_PT2_iSC_SC_
                                        ; -- End function
	.section	.AMDGPU.csdata,"",@progbits
; Kernel info:
; codeLenInByte = 4408
; NumSgprs: 52
; NumVgprs: 66
; NumAgprs: 0
; TotalNumVgprs: 66
; ScratchSize: 0
; MemoryBound: 0
; FloatMode: 240
; IeeeMode: 1
; LDSByteSize: 8192 bytes/workgroup (compile time only)
; SGPRBlocks: 6
; VGPRBlocks: 8
; NumSGPRsForWavesPerEU: 52
; NumVGPRsForWavesPerEU: 66
; AccumOffset: 68
; Occupancy: 7
; WaveLimiterHint : 1
; COMPUTE_PGM_RSRC2:SCRATCH_EN: 0
; COMPUTE_PGM_RSRC2:USER_SGPR: 6
; COMPUTE_PGM_RSRC2:TRAP_HANDLER: 0
; COMPUTE_PGM_RSRC2:TGID_X_EN: 1
; COMPUTE_PGM_RSRC2:TGID_Y_EN: 1
; COMPUTE_PGM_RSRC2:TGID_Z_EN: 1
; COMPUTE_PGM_RSRC2:TIDIG_COMP_CNT: 0
; COMPUTE_PGM_RSRC3_GFX90A:ACCUM_OFFSET: 16
; COMPUTE_PGM_RSRC3_GFX90A:TG_SPLIT: 0
	.section	.text._Z39paged_attention_ll4mi_QKV_mfma16_kernelIDF16_DF16_LN4vllm18Fp8KVCacheDataTypeE0EDF16_Li32ELi64ELi256ELb1ELi10EL8MFMAType0EEvPKT_PKT0_S8_ifPKiSA_SA_iPKfiiiPfSD_PS3_PT2_iSC_SC_,"axG",@progbits,_Z39paged_attention_ll4mi_QKV_mfma16_kernelIDF16_DF16_LN4vllm18Fp8KVCacheDataTypeE0EDF16_Li32ELi64ELi256ELb1ELi10EL8MFMAType0EEvPKT_PKT0_S8_ifPKiSA_SA_iPKfiiiPfSD_PS3_PT2_iSC_SC_,comdat
	.protected	_Z39paged_attention_ll4mi_QKV_mfma16_kernelIDF16_DF16_LN4vllm18Fp8KVCacheDataTypeE0EDF16_Li32ELi64ELi256ELb1ELi10EL8MFMAType0EEvPKT_PKT0_S8_ifPKiSA_SA_iPKfiiiPfSD_PS3_PT2_iSC_SC_ ; -- Begin function _Z39paged_attention_ll4mi_QKV_mfma16_kernelIDF16_DF16_LN4vllm18Fp8KVCacheDataTypeE0EDF16_Li32ELi64ELi256ELb1ELi10EL8MFMAType0EEvPKT_PKT0_S8_ifPKiSA_SA_iPKfiiiPfSD_PS3_PT2_iSC_SC_
	.globl	_Z39paged_attention_ll4mi_QKV_mfma16_kernelIDF16_DF16_LN4vllm18Fp8KVCacheDataTypeE0EDF16_Li32ELi64ELi256ELb1ELi10EL8MFMAType0EEvPKT_PKT0_S8_ifPKiSA_SA_iPKfiiiPfSD_PS3_PT2_iSC_SC_
	.p2align	8
	.type	_Z39paged_attention_ll4mi_QKV_mfma16_kernelIDF16_DF16_LN4vllm18Fp8KVCacheDataTypeE0EDF16_Li32ELi64ELi256ELb1ELi10EL8MFMAType0EEvPKT_PKT0_S8_ifPKiSA_SA_iPKfiiiPfSD_PS3_PT2_iSC_SC_,@function
_Z39paged_attention_ll4mi_QKV_mfma16_kernelIDF16_DF16_LN4vllm18Fp8KVCacheDataTypeE0EDF16_Li32ELi64ELi256ELb1ELi10EL8MFMAType0EEvPKT_PKT0_S8_ifPKiSA_SA_iPKfiiiPfSD_PS3_PT2_iSC_SC_: ; @_Z39paged_attention_ll4mi_QKV_mfma16_kernelIDF16_DF16_LN4vllm18Fp8KVCacheDataTypeE0EDF16_Li32ELi64ELi256ELb1ELi10EL8MFMAType0EEvPKT_PKT0_S8_ifPKiSA_SA_iPKfiiiPfSD_PS3_PT2_iSC_SC_
; %bb.0:
	s_load_dwordx2 s[0:1], s[4:5], 0x30
	s_mov_b32 s28, s7
	s_mov_b64 s[10:11], 0
	s_waitcnt lgkmcnt(0)
	s_cmp_lg_u64 s[0:1], 0
	s_cselect_b64 s[2:3], -1, 0
	s_and_b64 vcc, exec, s[2:3]
	s_cbranch_vccz .LBB65_7
; %bb.1:
	s_add_i32 s12, s6, 1
	s_mov_b32 s13, 0
	s_lshl_b64 s[14:15], s[12:13], 2
	s_add_u32 s14, s0, s14
	s_mov_b32 s7, s13
	s_addc_u32 s15, s1, s15
	s_lshl_b64 s[12:13], s[6:7], 2
	s_add_u32 s12, s0, s12
	s_addc_u32 s13, s1, s13
	s_load_dword s9, s[14:15], 0x0
	s_load_dword s16, s[12:13], 0x0
	s_waitcnt lgkmcnt(0)
	s_sub_i32 s9, s9, s16
	s_cmp_eq_u32 s9, 1
	s_cselect_b64 s[12:13], -1, 0
	s_andn2_b64 vcc, exec, s[10:11]
	s_cbranch_vccnz .LBB65_3
.LBB65_2:
	s_mov_b32 s7, 0
	s_mov_b64 s[12:13], -1
.LBB65_3:
	s_andn2_b64 vcc, exec, s[12:13]
	s_cbranch_vccnz .LBB65_22
; %bb.4:
	s_load_dwordx2 s[12:13], s[4:5], 0x28
	s_lshl_b64 s[10:11], s[6:7], 2
	s_waitcnt lgkmcnt(0)
	s_add_u32 s12, s12, s10
	s_addc_u32 s13, s13, s11
	s_load_dword s33, s[12:13], 0x0
	s_lshl_b32 s14, s28, 8
	s_waitcnt lgkmcnt(0)
	s_cmp_ge_i32 s14, s33
	s_cbranch_scc1 .LBB65_22
; %bb.5:
	s_add_i32 s15, s33, 31
	s_load_dwordx2 s[12:13], s[4:5], 0x20
	s_load_dword s9, s[4:5], 0x38
	s_ashr_i32 s16, s15, 31
	v_and_b32_e32 v1, 0xcf, v0
	s_lshr_b32 s16, s16, 27
	v_add_u32_e32 v1, s14, v1
	s_add_i32 s15, s15, s16
	v_ashrrev_i32_e32 v2, 31, v1
	s_ashr_i32 s17, s15, 5
	v_lshrrev_b32_e32 v6, 27, v2
	s_add_i32 s17, s17, -1
	v_add_u32_e32 v2, v1, v6
	s_waitcnt lgkmcnt(0)
	s_mul_i32 s18, s6, s9
	s_mov_b32 s19, 0
	v_ashrrev_i32_e32 v2, 5, v2
	v_mov_b32_e32 v7, s17
	v_cmp_gt_i32_e32 vcc, s33, v1
	s_lshl_b64 s[18:19], s[18:19], 2
	v_cndmask_b32_e32 v2, v7, v2, vcc
	s_add_u32 s15, s12, s18
	v_ashrrev_i32_e32 v3, 31, v2
	s_addc_u32 s16, s13, s19
	v_lshlrev_b64 v[2:3], 2, v[2:3]
	v_mov_b32_e32 v4, s16
	v_add_co_u32_e32 v2, vcc, s15, v2
	v_addc_co_u32_e32 v3, vcc, v4, v3, vcc
	v_or_b32_e32 v4, 16, v1
	v_add_u32_e32 v5, v4, v6
	v_ashrrev_i32_e32 v5, 5, v5
	v_cmp_gt_i32_e32 vcc, s33, v4
	v_cndmask_b32_e32 v4, v7, v5, vcc
	v_ashrrev_i32_e32 v5, 31, v4
	v_lshlrev_b64 v[4:5], 2, v[4:5]
	v_mov_b32_e32 v9, s16
	v_add_co_u32_e32 v8, vcc, s15, v4
	v_or_b32_e32 v4, 32, v1
	v_addc_co_u32_e32 v9, vcc, v9, v5, vcc
	v_add_u32_e32 v5, v4, v6
	v_ashrrev_i32_e32 v5, 5, v5
	v_cmp_gt_i32_e32 vcc, s33, v4
	v_cndmask_b32_e32 v4, v7, v5, vcc
	v_ashrrev_i32_e32 v5, 31, v4
	v_lshlrev_b64 v[4:5], 2, v[4:5]
	v_mov_b32_e32 v11, s16
	v_add_co_u32_e32 v10, vcc, s15, v4
	v_or_b32_e32 v1, 48, v1
	v_addc_co_u32_e32 v11, vcc, v11, v5, vcc
	v_add_u32_e32 v4, v1, v6
	v_ashrrev_i32_e32 v4, 5, v4
	v_cmp_gt_i32_e32 vcc, s33, v1
	v_cndmask_b32_e32 v4, v7, v4, vcc
	v_ashrrev_i32_e32 v5, 31, v4
	v_lshlrev_b64 v[4:5], 2, v[4:5]
	v_mov_b32_e32 v1, s16
	v_add_co_u32_e32 v12, vcc, s15, v4
	v_addc_co_u32_e32 v13, vcc, v1, v5, vcc
	global_load_dword v7, v[2:3], off
	global_load_dword v6, v[8:9], off
	;; [unrolled: 1-line block ×4, first 2 shown]
	s_andn2_b64 vcc, exec, s[2:3]
	s_cbranch_vccnz .LBB65_8
; %bb.6:
	s_add_u32 s0, s0, s10
	s_addc_u32 s1, s1, s11
	s_load_dword s9, s[0:1], 0x0
	s_branch .LBB65_9
.LBB65_7:
	s_mov_b64 s[12:13], 0
	s_branch .LBB65_2
.LBB65_8:
	s_mov_b32 s9, s6
.LBB65_9:
	s_load_dwordx2 s[10:11], s[4:5], 0x8
	s_load_dwordx4 s[44:47], s[4:5], 0x48
	v_lshrrev_b32_e32 v53, 6, v0
	v_bfe_u32 v1, v0, 4, 2
	v_lshl_or_b32 v8, v53, 2, v1
	v_and_b32_e32 v52, 15, v0
	v_cmp_lt_u32_e32 vcc, 9, v8
	v_cmp_lt_u32_e64 s[2:3], 7, v52
	v_lshlrev_b32_e32 v2, 3, v52
	v_cmp_gt_u32_e64 s[0:1], 8, v52
	s_or_b64 s[2:3], s[2:3], vcc
	s_and_saveexec_b64 s[12:13], s[2:3]
	s_xor_b64 s[2:3], exec, s[12:13]
; %bb.10:
	v_mov_b32_e32 v3, 0
                                        ; implicit-def: $vgpr8
; %bb.11:
	s_or_saveexec_b64 s[12:13], s[2:3]
	s_load_dwordx2 s[2:3], s[4:5], 0x10
	s_mul_i32 s29, s8, 10
	s_xor_b64 exec, exec, s[12:13]
	s_cbranch_execz .LBB65_13
; %bb.12:
	s_load_dwordx2 s[18:19], s[4:5], 0x0
	s_waitcnt lgkmcnt(0)
	s_ashr_i32 s20, s44, 31
	s_mul_hi_u32 s21, s9, s44
	s_mul_i32 s20, s9, s20
	s_add_i32 s21, s21, s20
	s_mul_i32 s20, s9, s44
	s_lshl_b64 s[20:21], s[20:21], 1
	v_add_lshl_u32 v10, v8, s29, 6
	s_add_u32 s9, s18, s20
	v_ashrrev_i32_e32 v11, 31, v10
	s_addc_u32 s18, s19, s21
	v_lshlrev_b64 v[10:11], 1, v[10:11]
	v_mov_b32_e32 v3, s18
	v_add_co_u32_e32 v9, vcc, s9, v10
	v_addc_co_u32_e32 v3, vcc, v3, v11, vcc
	v_lshlrev_b32_e32 v10, 1, v2
	v_add_co_u32_e32 v10, vcc, v9, v10
	v_addc_co_u32_e32 v11, vcc, 0, v3, vcc
	global_load_dwordx4 v[10:13], v[10:11], off
	v_and_b32_e32 v9, 3, v0
	v_lshlrev_b32_e32 v14, 9, v52
	v_lshlrev_b32_e32 v8, 5, v8
	;; [unrolled: 1-line block ×3, first 2 shown]
	v_and_b32_e32 v14, 0x1800, v14
	v_mov_b32_e32 v3, 0
	v_or3_b32 v8, v14, v9, v8
	s_waitcnt vmcnt(0)
	ds_write_b128 v8, v[10:13]
.LBB65_13:
	s_or_b64 exec, exec, s[12:13]
	s_waitcnt lgkmcnt(0)
	s_mul_i32 s8, s8, s46
	s_mov_b32 s9, 0
	s_lshl_b64 s[8:9], s[8:9], 1
	s_add_u32 s12, s10, s8
	s_addc_u32 s13, s11, s9
	s_waitcnt vmcnt(3)
	v_mad_i64_i32 v[8:9], s[10:11], v7, s45, 0
	v_lshlrev_b64 v[8:9], 1, v[8:9]
	v_mov_b32_e32 v7, s13
	v_add_co_u32_e32 v8, vcc, s12, v8
	v_addc_co_u32_e32 v7, vcc, v7, v9, vcc
	v_lshlrev_b64 v[42:43], 1, v[2:3]
	v_add_co_u32_e32 v2, vcc, v8, v42
	v_lshlrev_b32_e32 v24, 9, v1
	v_addc_co_u32_e32 v3, vcc, v7, v43, vcc
	v_add_co_u32_e32 v2, vcc, v2, v24
	v_addc_co_u32_e32 v3, vcc, 0, v3, vcc
	s_barrier
	global_load_dwordx4 v[38:41], v[2:3], off
	global_load_dwordx4 v[34:37], v[2:3], off offset:2048
	s_waitcnt vmcnt(4)
	v_mad_i64_i32 v[2:3], s[10:11], v6, s45, 0
	v_lshlrev_b64 v[2:3], 1, v[2:3]
	v_mov_b32_e32 v6, s13
	v_add_co_u32_e32 v2, vcc, s12, v2
	v_addc_co_u32_e32 v3, vcc, v6, v3, vcc
	v_mov_b32_e32 v6, 0x100
	v_lshl_or_b32 v18, v52, 4, v6
	v_add_co_u32_e32 v2, vcc, v2, v18
	v_addc_co_u32_e32 v3, vcc, 0, v3, vcc
	v_add_co_u32_e32 v2, vcc, v2, v24
	v_addc_co_u32_e32 v3, vcc, 0, v3, vcc
	global_load_dwordx4 v[30:33], v[2:3], off
	global_load_dwordx4 v[14:17], v[2:3], off offset:2048
	s_waitcnt vmcnt(5)
	v_mad_i64_i32 v[2:3], s[10:11], v5, s45, 0
	v_lshlrev_b64 v[2:3], 1, v[2:3]
	v_mov_b32_e32 v5, s13
	v_add_co_u32_e32 v2, vcc, s12, v2
	v_addc_co_u32_e32 v3, vcc, v5, v3, vcc
	v_add_co_u32_e32 v2, vcc, v2, v42
	v_addc_co_u32_e32 v3, vcc, v3, v43, vcc
	;; [unrolled: 2-line block ×3, first 2 shown]
	global_load_dwordx4 v[10:13], v[2:3], off
	global_load_dwordx4 v[6:9], v[2:3], off offset:2048
	s_waitcnt vmcnt(6)
	v_mad_i64_i32 v[2:3], s[10:11], v4, s45, 0
	v_lshlrev_b64 v[2:3], 1, v[2:3]
	v_mov_b32_e32 v4, s13
	v_add_co_u32_e32 v2, vcc, s12, v2
	v_addc_co_u32_e32 v3, vcc, v4, v3, vcc
	v_add_co_u32_e32 v2, vcc, v2, v18
	v_addc_co_u32_e32 v3, vcc, 0, v3, vcc
	;; [unrolled: 2-line block ×3, first 2 shown]
	global_load_dwordx4 v[2:5], v[22:23], off
	global_load_dwordx4 v[18:21], v[22:23], off offset:2048
	v_add_u32_e32 v22, -10, v52
	v_cmp_gt_u32_e32 vcc, 10, v52
	v_cndmask_b32_e32 v22, v22, v52, vcc
	v_lshl_add_u32 v22, v22, 5, v24
	ds_read_b128 v[26:29], v22
	ds_read_b128 v[22:25], v22 offset:2048
	v_and_b32_e32 v54, 63, v0
	v_mov_b32_e32 v50, 0
	s_and_saveexec_b64 s[10:11], vcc
	s_cbranch_execz .LBB65_15
; %bb.14:
	s_load_dwordx2 s[12:13], s[4:5], 0x40
	v_add_u32_e32 v44, s29, v52
	v_ashrrev_i32_e32 v45, 31, v44
	v_lshlrev_b64 v[44:45], 2, v[44:45]
	s_waitcnt lgkmcnt(0)
	v_mov_b32_e32 v46, s13
	v_add_co_u32_e32 v44, vcc, s12, v44
	v_addc_co_u32_e32 v45, vcc, v46, v45, vcc
	global_load_dword v50, v[44:45], off
.LBB65_15:
	s_or_b64 exec, exec, s[10:11]
	s_waitcnt vmcnt(7) lgkmcnt(1)
	v_mfma_f32_16x16x16f16 v[44:47], v[38:39], v[26:27], 0
	s_ashr_i32 s10, s14, 31
	s_lshr_b32 s11, s10, 27
	v_mov_b32_e32 v49, s16
	s_add_u32 s2, s2, s8
	s_addc_u32 s3, s3, s9
	s_load_dword s10, s[4:5], 0x1c
	s_mov_b32 s42, 0xff7fffff
	v_mfma_f32_16x16x16f16 v[38:41], v[40:41], v[28:29], v[44:47]
	s_waitcnt vmcnt(6) lgkmcnt(0)
	v_mfma_f32_16x16x16f16 v[38:41], v[34:35], v[22:23], v[38:41]
	s_nop 4
	v_and_or_b32 v46, v0, 48, s14
	v_add_u32_e32 v34, s11, v46
	v_ashrrev_i32_e32 v34, 5, v34
	v_mov_b32_e32 v47, s17
	v_cmp_gt_i32_e32 vcc, s33, v46
	v_cndmask_b32_e32 v34, v47, v34, vcc
	v_ashrrev_i32_e32 v35, 31, v34
	v_lshlrev_b64 v[44:45], 2, v[34:35]
	v_mfma_f32_16x16x16f16 v[34:37], v[36:37], v[24:25], v[38:41]
	s_nop 6
	v_mov_b32_e32 v39, s16
	v_add_co_u32_e32 v38, vcc, s15, v44
	v_addc_co_u32_e32 v39, vcc, v39, v45, vcc
	global_load_dword v48, v[38:39], off
	s_waitcnt vmcnt(6)
	v_mfma_f32_16x16x16f16 v[38:41], v[30:31], v[26:27], 0
	v_or_b32_e32 v44, 64, v46
	v_add_u32_e32 v30, s11, v44
	v_ashrrev_i32_e32 v30, 5, v30
	v_cmp_gt_i32_e32 vcc, s33, v44
	v_cndmask_b32_e32 v30, v47, v30, vcc
	v_ashrrev_i32_e32 v31, 31, v30
	v_lshlrev_b64 v[44:45], 2, v[30:31]
	v_mfma_f32_16x16x16f16 v[30:33], v[32:33], v[28:29], v[38:41]
	s_nop 6
	v_add_co_u32_e32 v38, vcc, s15, v44
	v_addc_co_u32_e32 v39, vcc, v49, v45, vcc
	global_load_dword v40, v[38:39], off
	v_or_b32_e32 v38, 0x80, v46
	v_add_u32_e32 v39, s11, v38
	v_ashrrev_i32_e32 v39, 5, v39
	v_cmp_gt_i32_e32 vcc, s33, v38
	v_cndmask_b32_e32 v38, v47, v39, vcc
	v_ashrrev_i32_e32 v39, 31, v38
	s_waitcnt vmcnt(6)
	v_mfma_f32_16x16x16f16 v[30:33], v[14:15], v[22:23], v[30:33]
	v_lshlrev_b64 v[14:15], 2, v[38:39]
	v_mov_b32_e32 v38, s16
	v_add_co_u32_e32 v14, vcc, s15, v14
	v_addc_co_u32_e32 v15, vcc, v38, v15, vcc
	global_load_dword v41, v[14:15], off
	v_mfma_f32_16x16x16f16 v[30:33], v[16:17], v[24:25], v[30:33]
	v_or_b32_e32 v38, 0xc0, v46
	v_cmp_gt_i32_e32 vcc, s33, v38
	v_mov_b32_e32 v44, s16
	s_waitcnt vmcnt(6)
	v_mfma_f32_16x16x16f16 v[14:17], v[10:11], v[26:27], 0
	v_add_u32_e32 v10, s11, v38
	v_ashrrev_i32_e32 v10, 5, v10
	v_cndmask_b32_e32 v10, v47, v10, vcc
	v_ashrrev_i32_e32 v11, 31, v10
	v_lshlrev_b64 v[38:39], 2, v[10:11]
	s_nop 0
	v_pk_mul_f32 v[46:47], s[10:11], v[30:31] op_sel_hi:[0,1]
	v_mfma_f32_16x16x16f16 v[10:13], v[12:13], v[28:29], v[14:17]
	s_nop 6
	v_add_co_u32_e32 v14, vcc, s15, v38
	s_waitcnt vmcnt(5)
	v_mfma_f32_16x16x16f16 v[10:13], v[6:7], v[22:23], v[10:13]
	v_addc_co_u32_e32 v15, vcc, v44, v39, vcc
	global_load_dword v51, v[14:15], off
	v_and_b32_e32 v14, 16, v0
	v_lshlrev_b32_e32 v14, 1, v14
	v_mov_b32_e32 v6, s3
	v_add_co_u32_e32 v7, vcc, s2, v14
	v_lshlrev_b32_e32 v14, 6, v52
	v_addc_co_u32_e32 v6, vcc, 0, v6, vcc
	v_lshl_or_b32 v14, v53, 10, v14
	v_add_co_u32_e32 v55, vcc, v7, v14
	v_addc_co_u32_e32 v60, vcc, 0, v6, vcc
	v_mfma_f32_16x16x16f16 v[56:59], v[8:9], v[24:25], v[10:13]
	s_waitcnt vmcnt(3)
	v_mad_i64_i32 v[6:7], s[2:3], v48, s45, 0
	v_pk_mul_f32 v[48:49], s[10:11], v[36:37] op_sel_hi:[0,1]
	v_pk_mul_f32 v[44:45], s[10:11], v[32:33] op_sel_hi:[0,1]
	s_waitcnt vmcnt(1)
	v_mad_i64_i32 v[38:39], s[2:3], v41, s45, 0
	s_nop 0
	v_lshlrev_b64 v[10:11], 1, v[6:7]
	v_mfma_f32_16x16x16f16 v[6:9], v[2:3], v[26:27], 0
	v_add_co_u32_e32 v2, vcc, v55, v10
	v_addc_co_u32_e32 v3, vcc, v60, v11, vcc
	global_load_dwordx4 v[14:17], v[2:3], off
	global_load_dwordx4 v[10:13], v[2:3], off offset:16
	v_mad_i64_i32 v[2:3], s[2:3], v40, s45, 0
	v_mfma_f32_16x16x16f16 v[26:29], v[4:5], v[28:29], v[6:9]
	v_lshlrev_b64 v[2:3], 1, v[2:3]
	v_add_co_u32_e32 v2, vcc, v55, v2
	v_addc_co_u32_e32 v3, vcc, v60, v3, vcc
	v_lshlrev_b64 v[38:39], 1, v[38:39]
	v_pk_mul_f32 v[40:41], s[10:11], v[56:57] op_sel_hi:[0,1]
	v_mfma_f32_16x16x16f16 v[26:29], v[18:19], v[22:23], v[26:29]
	v_pk_mul_f32 v[18:19], s[10:11], v[34:35] op_sel_hi:[0,1]
	v_add_co_u32_e32 v22, vcc, v55, v38
	v_addc_co_u32_e32 v23, vcc, v60, v39, vcc
	v_pk_mul_f32 v[38:39], s[10:11], v[58:59] op_sel_hi:[0,1]
	global_load_dwordx4 v[6:9], v[2:3], off
	s_nop 0
	global_load_dwordx4 v[2:5], v[2:3], off offset:16
	v_mfma_f32_16x16x16f16 v[24:27], v[20:21], v[24:25], v[26:29]
	v_and_b32_e32 v20, 0xc0, v0
	v_add_u32_e32 v20, s14, v20
	v_lshl_or_b32 v20, v1, 2, v20
	v_or_b32_e32 v21, 1, v20
	v_cmp_gt_i32_e64 s[30:31], s33, v20
	v_cmp_gt_i32_e64 s[34:35], s33, v21
	s_nop 4
	v_pk_mul_f32 v[36:37], s[10:11], v[24:25] op_sel_hi:[0,1]
	v_subrev_u32_e32 v24, s33, v21
	v_pk_mul_f32 v[34:35], s[10:11], v[26:27] op_sel_hi:[0,1]
	v_add_u32_e32 v26, 1, v24
	v_add_u32_e32 v27, 2, v24
	v_cvt_f32_i32_e32 v25, v24
	v_cvt_f32_i32_e32 v26, v26
	;; [unrolled: 1-line block ×3, first 2 shown]
	v_add_u32_e32 v28, 3, v24
	v_fma_f32 v18, v50, v25, v18
	v_fmac_f32_e32 v19, v50, v26
	v_fma_f32 v48, v50, v27, v48
	v_add_u32_e32 v25, 16, v24
	v_add_u32_e32 v26, 17, v24
	;; [unrolled: 1-line block ×3, first 2 shown]
	v_cvt_f32_i32_e32 v28, v28
	v_cvt_f32_i32_e32 v25, v25
	;; [unrolled: 1-line block ×4, first 2 shown]
	v_fmac_f32_e32 v49, v50, v28
	v_add_u32_e32 v28, 19, v24
	v_fma_f32 v46, v50, v25, v46
	v_fmac_f32_e32 v47, v50, v26
	v_fma_f32 v44, v50, v27, v44
	v_add_u32_e32 v25, 32, v24
	v_add_u32_e32 v26, 33, v24
	;; [unrolled: 1-line block ×3, first 2 shown]
	v_cvt_f32_i32_e32 v28, v28
	v_cvt_f32_i32_e32 v25, v25
	;; [unrolled: 1-line block ×4, first 2 shown]
	v_fmac_f32_e32 v45, v50, v28
	v_add_u32_e32 v28, 35, v24
	v_fma_f32 v40, v50, v25, v40
	v_fmac_f32_e32 v41, v50, v26
	v_fma_f32 v38, v50, v27, v38
	v_add_u32_e32 v25, 48, v24
	v_add_u32_e32 v26, 49, v24
	;; [unrolled: 1-line block ×4, first 2 shown]
	v_cvt_f32_i32_e32 v24, v24
	v_cvt_f32_i32_e32 v25, v25
	v_cvt_f32_i32_e32 v26, v26
	v_cvt_f32_i32_e32 v28, v28
	v_fmac_f32_e32 v35, v50, v24
	v_mov_b32_e32 v24, 0xff7fffff
	v_fma_f32 v36, v50, v25, v36
	v_cndmask_b32_e64 v25, v24, v18, s[30:31]
	v_cndmask_b32_e64 v21, v24, v19, s[34:35]
	v_fmac_f32_e32 v37, v50, v26
	v_max3_f32 v21, v25, s42, v21
	v_or_b32_e32 v25, 2, v20
	v_or_b32_e32 v26, 3, v20
	v_cmp_gt_i32_e64 s[36:37], s33, v25
	v_cmp_gt_i32_e64 s[38:39], s33, v26
	v_cndmask_b32_e64 v25, v24, v48, s[36:37]
	v_cndmask_b32_e64 v26, v24, v49, s[38:39]
	v_max3_f32 v21, v21, v25, v26
	v_or_b32_e32 v25, 16, v20
	v_or_b32_e32 v26, 17, v20
	v_cmp_gt_i32_e64 s[24:25], s33, v25
	v_cmp_gt_i32_e64 s[26:27], s33, v26
	v_cndmask_b32_e64 v25, v24, v46, s[24:25]
	v_cndmask_b32_e64 v26, v24, v47, s[26:27]
	;; [unrolled: 7-line block ×4, first 2 shown]
	v_max3_f32 v21, v21, v25, v26
	v_or_b32_e32 v25, 34, v20
	v_or_b32_e32 v26, 35, v20
	v_fmac_f32_e32 v39, v50, v28
	v_cmp_gt_i32_e64 s[12:13], s33, v25
	v_cmp_gt_i32_e64 s[14:15], s33, v26
	v_cndmask_b32_e64 v25, v24, v38, s[12:13]
	v_cndmask_b32_e64 v26, v24, v39, s[14:15]
	v_cvt_f32_i32_e32 v27, v27
	v_max3_f32 v21, v21, v25, v26
	v_or_b32_e32 v25, 48, v20
	v_or_b32_e32 v26, 49, v20
	v_cmp_gt_i32_e64 s[8:9], s33, v25
	v_cmp_gt_i32_e64 s[10:11], s33, v26
	v_cndmask_b32_e64 v25, v24, v36, s[8:9]
	v_cndmask_b32_e64 v26, v24, v37, s[10:11]
	v_max3_f32 v21, v21, v25, v26
	v_or_b32_e32 v25, 50, v20
	v_or_b32_e32 v20, 51, v20
	v_fma_f32 v34, v50, v27, v34
	v_cmp_gt_i32_e32 vcc, s33, v25
	v_cmp_gt_i32_e64 s[2:3], s33, v20
	v_cndmask_b32_e32 v25, v24, v34, vcc
	v_cndmask_b32_e64 v20, v24, v35, s[2:3]
	v_max3_f32 v26, v21, v25, v20
	v_mbcnt_lo_u32_b32 v20, -1, 0
	v_mbcnt_hi_u32_b32 v27, -1, v20
	v_and_b32_e32 v20, 64, v27
	v_add_u32_e32 v28, 64, v20
	v_xor_b32_e32 v20, 32, v27
	v_cmp_lt_i32_e64 s[40:41], v20, v28
	v_cndmask_b32_e64 v20, v27, v20, s[40:41]
	v_lshlrev_b32_e32 v56, 2, v20
	ds_bpermute_b32 v29, v56, v26
	s_waitcnt vmcnt(4)
	v_mad_i64_i32 v[20:21], s[40:41], v51, s45, 0
	v_lshlrev_b64 v[20:21], 1, v[20:21]
	global_load_dwordx4 v[30:33], v[22:23], off
	s_nop 0
	global_load_dwordx4 v[22:25], v[22:23], off offset:16
	s_waitcnt lgkmcnt(0)
	v_max_f32_e32 v29, v29, v29
	v_max_f32_e32 v26, v26, v29
	v_xor_b32_e32 v29, 16, v27
	v_cmp_lt_i32_e64 s[40:41], v29, v28
	v_cndmask_b32_e64 v27, v27, v29, s[40:41]
	v_lshlrev_b32_e32 v58, 2, v27
	ds_bpermute_b32 v27, v58, v26
	v_add_co_u32_e64 v20, s[40:41], v55, v20
	v_addc_co_u32_e64 v21, s[40:41], v60, v21, s[40:41]
	s_waitcnt lgkmcnt(0)
	v_max_f32_e32 v27, v27, v27
	v_max_f32_e32 v55, v26, v27
	v_sub_f32_e32 v18, v18, v55
	v_mul_f32_e32 v18, 0x3fb8aa3b, v18
	v_exp_f32_e32 v50, v18
	v_sub_f32_e32 v18, v19, v55
	v_mul_f32_e32 v18, 0x3fb8aa3b, v18
	v_exp_f32_e32 v51, v18
	global_load_dwordx4 v[26:29], v[20:21], off
	s_nop 0
	global_load_dwordx4 v[18:21], v[20:21], off offset:16
	v_sub_f32_e32 v48, v48, v55
	v_mul_f32_e32 v48, 0x3fb8aa3b, v48
	v_sub_f32_e32 v49, v49, v55
	v_exp_f32_e32 v48, v48
	v_mul_f32_e32 v49, 0x3fb8aa3b, v49
	v_sub_f32_e32 v46, v46, v55
	v_exp_f32_e32 v49, v49
	v_mul_f32_e32 v46, 0x3fb8aa3b, v46
	v_sub_f32_e32 v47, v47, v55
	v_cndmask_b32_e64 v50, 0, v50, s[30:31]
	v_exp_f32_e32 v46, v46
	v_mul_f32_e32 v47, 0x3fb8aa3b, v47
	v_sub_f32_e32 v44, v44, v55
	v_add_f32_e32 v57, 0, v50
	v_cndmask_b32_e64 v51, 0, v51, s[34:35]
	v_exp_f32_e32 v47, v47
	v_mul_f32_e32 v44, 0x3fb8aa3b, v44
	v_sub_f32_e32 v45, v45, v55
	v_add_f32_e32 v57, v57, v51
	;; [unrolled: 5-line block ×10, first 2 shown]
	v_cndmask_b32_e64 v38, 0, v38, s[12:13]
	v_exp_f32_e32 v34, v34
	v_mul_f32_e32 v35, 0x3fb8aa3b, v35
	v_add_f32_e32 v57, v57, v38
	v_cndmask_b32_e64 v39, 0, v39, s[14:15]
	v_exp_f32_e32 v35, v35
	v_add_f32_e32 v57, v57, v39
	v_cndmask_b32_e64 v36, 0, v36, s[8:9]
	v_add_f32_e32 v57, v57, v36
	v_cndmask_b32_e64 v37, 0, v37, s[10:11]
	v_add_f32_e32 v57, v57, v37
	v_cndmask_b32_e32 v34, 0, v34, vcc
	v_add_f32_e32 v57, v57, v34
	v_cndmask_b32_e64 v35, 0, v35, s[2:3]
	v_add_f32_e32 v57, v57, v35
	ds_bpermute_b32 v56, v56, v57
	s_load_dword s9, s[4:5], 0x98
	v_cmp_gt_u32_e32 vcc, 16, v54
	s_waitcnt lgkmcnt(0)
	s_barrier
	v_add_f32_e32 v57, v57, v56
	ds_bpermute_b32 v58, v58, v57
	v_lshlrev_b32_e32 v56, 2, v52
	s_waitcnt lgkmcnt(0)
	s_and_saveexec_b64 s[2:3], vcc
	s_cbranch_execz .LBB65_17
; %bb.16:
	v_add_f32_e32 v54, v57, v58
	v_lshl_or_b32 v57, v53, 6, v56
	ds_write2st64_b32 v57, v55, v54 offset1:1
.LBB65_17:
	s_or_b64 exec, exec, s[2:3]
	s_load_dword s8, s[4:5], 0x94
	s_waitcnt lgkmcnt(0)
	s_barrier
	ds_read2_b32 v[58:59], v56 offset1:16
	ds_read2_b32 v[60:61], v56 offset0:32 offset1:48
	ds_read2_b32 v[62:63], v56 offset0:64 offset1:80
	;; [unrolled: 1-line block ×3, first 2 shown]
	s_waitcnt lgkmcnt(0)
	v_max3_f32 v54, v58, s42, v59
	v_max3_f32 v54, v54, v60, v61
	v_sub_f32_e32 v55, v58, v54
	v_mul_f32_e32 v55, 0x3fb8aa3b, v55
	v_exp_f32_e32 v58, v55
	v_sub_f32_e32 v55, v59, v54
	v_mul_f32_e32 v55, 0x3fb8aa3b, v55
	v_exp_f32_e32 v59, v55
	;; [unrolled: 3-line block ×4, first 2 shown]
	v_fma_f32 v55, v58, v62, 0
	v_fmac_f32_e32 v55, v59, v63
	v_fmac_f32_e32 v55, v60, v56
	;; [unrolled: 1-line block ×3, first 2 shown]
	v_add_f32_e32 v56, 0x358637bd, v55
	v_div_scale_f32 v57, s[2:3], v56, v56, 1.0
	v_rcp_f32_e32 v62, v57
	s_barrier
	s_mul_i32 s9, s9, 10
	v_fma_f32 v63, -v57, v62, 1.0
	v_fmac_f32_e32 v62, v63, v62
	v_div_scale_f32 v63, vcc, 1.0, v56, 1.0
	v_mul_f32_e32 v64, v63, v62
	v_fma_f32 v65, -v57, v64, v63
	v_fmac_f32_e32 v64, v65, v62
	v_fma_f32 v57, -v57, v64, v63
	v_div_fmas_f32 v57, v57, v62, v64
	v_cmp_eq_u32_e32 vcc, 1, v53
	v_div_fixup_f32 v56, v57, v56, 1.0
	v_cndmask_b32_e32 v57, v58, v59, vcc
	v_cmp_eq_u32_e32 vcc, 2, v53
	v_cndmask_b32_e32 v57, v57, v60, vcc
	v_cmp_eq_u32_e32 vcc, 3, v53
	v_cndmask_b32_e32 v57, v57, v61, vcc
	v_mul_f32_e32 v56, v57, v56
	v_pk_mul_f32 v[48:49], v[56:57], v[48:49] op_sel_hi:[0,1]
	v_pk_mul_f32 v[50:51], v[56:57], v[50:51] op_sel_hi:[0,1]
	v_cvt_f16_f32_e32 v50, v50
	v_cvt_f16_f32_e32 v51, v51
	;; [unrolled: 1-line block ×4, first 2 shown]
	v_pk_mul_f32 v[44:45], v[56:57], v[44:45] op_sel_hi:[0,1]
	v_pk_mul_f32 v[46:47], v[56:57], v[46:47] op_sel_hi:[0,1]
	v_cvt_f16_f32_e32 v46, v46
	v_cvt_f16_f32_e32 v47, v47
	;; [unrolled: 1-line block ×4, first 2 shown]
	v_pack_b32_f16 v50, v50, v51
	v_pack_b32_f16 v51, v48, v49
	v_lshlrev_b32_e32 v49, 3, v1
	v_lshlrev_b32_e32 v48, 5, v52
	;; [unrolled: 1-line block ×3, first 2 shown]
	v_or3_b32 v44, v44, v48, v49
	v_pack_b32_f16 v46, v46, v47
	v_pack_b32_f16 v47, v57, v45
	v_pk_mul_f32 v[38:39], v[56:57], v[38:39] op_sel_hi:[0,1]
	v_pk_mul_f32 v[40:41], v[56:57], v[40:41] op_sel_hi:[0,1]
	;; [unrolled: 1-line block ×4, first 2 shown]
	ds_write2st64_b64 v44, v[50:51], v[46:47] offset1:1
	v_cvt_f16_f32_e32 v40, v40
	v_cvt_f16_f32_e32 v41, v41
	;; [unrolled: 1-line block ×8, first 2 shown]
	v_pack_b32_f16 v34, v40, v41
	v_pack_b32_f16 v35, v38, v39
	;; [unrolled: 1-line block ×4, first 2 shown]
	v_cmp_gt_u32_e32 vcc, 10, v0
	ds_write2st64_b64 v44, v[34:35], v[36:37] offset0:2 offset1:3
	s_and_saveexec_b64 s[2:3], vcc
	s_cbranch_execz .LBB65_19
; %bb.18:
	v_add_co_u32_e32 v36, vcc, s29, v52
	v_addc_co_u32_e64 v37, s[10:11], 0, 0, vcc
	v_mov_b32_e32 v34, s9
	v_mov_b32_e32 v35, 0
	v_mad_u64_u32 v[36:37], s[10:11], s6, v34, v[36:37]
	v_mov_b32_e32 v34, s28
	s_load_dwordx4 s[12:15], s[4:5], 0x58
	s_mul_i32 s7, s7, s9
	v_mad_u64_u32 v[34:35], s[10:11], v36, s8, v[34:35]
	v_add_u32_e32 v37, s7, v37
	v_mov_b32_e32 v36, v35
	v_mad_u64_u32 v[36:37], s[10:11], v37, s8, v[36:37]
	v_mov_b32_e32 v35, v36
	v_lshlrev_b64 v[34:35], 2, v[34:35]
	s_waitcnt lgkmcnt(0)
	v_mov_b32_e32 v37, s15
	v_add_co_u32_e32 v36, vcc, s14, v34
	v_addc_co_u32_e32 v37, vcc, v37, v35, vcc
	global_store_dword v[36:37], v54, off
	v_mov_b32_e32 v36, s13
	v_add_co_u32_e32 v34, vcc, s12, v34
	v_addc_co_u32_e32 v35, vcc, v36, v35, vcc
	global_store_dword v[34:35], v55, off
.LBB65_19:
	s_or_b64 exec, exec, s[2:3]
	v_lshl_or_b32 v45, v1, 9, v48
	s_waitcnt lgkmcnt(0)
	s_barrier
	ds_read_b128 v[34:37], v45
	ds_read_b128 v[38:41], v45 offset:16
	s_waitcnt vmcnt(7) lgkmcnt(1)
	v_mfma_f32_16x16x16f16 v[46:49], v[14:15], v[34:35], 0
	v_cmp_gt_u32_e32 vcc, 64, v0
	s_mov_b32 s3, 0
	s_and_b64 s[0:1], vcc, s[0:1]
	v_mfma_f32_16x16x16f16 v[14:17], v[16:17], v[36:37], v[46:49]
	s_waitcnt vmcnt(6) lgkmcnt(0)
	v_mfma_f32_16x16x16f16 v[14:17], v[10:11], v[38:39], v[14:17]
	v_mfma_f32_16x16x16f16 v[10:13], v[12:13], v[40:41], v[14:17]
	s_nop 7
	s_nop 1
	ds_read_b128 v[14:17], v45 offset:2048
	ds_read_b128 v[34:37], v45 offset:2064
	s_waitcnt vmcnt(5) lgkmcnt(1)
	v_mfma_f32_16x16x16f16 v[10:13], v[6:7], v[14:15], v[10:13]
	v_mfma_f32_16x16x16f16 v[6:9], v[8:9], v[16:17], v[10:13]
	s_waitcnt vmcnt(4) lgkmcnt(0)
	v_mfma_f32_16x16x16f16 v[6:9], v[2:3], v[34:35], v[6:9]
	v_mfma_f32_16x16x16f16 v[2:5], v[4:5], v[36:37], v[6:9]
	s_nop 7
	s_nop 1
	ds_read_b128 v[6:9], v45 offset:4096
	ds_read_b128 v[10:13], v45 offset:4112
	s_waitcnt vmcnt(3) lgkmcnt(1)
	v_mfma_f32_16x16x16f16 v[2:5], v[30:31], v[6:7], v[2:5]
	v_mfma_f32_16x16x16f16 v[2:5], v[32:33], v[8:9], v[2:5]
	s_waitcnt vmcnt(2) lgkmcnt(0)
	v_mfma_f32_16x16x16f16 v[2:5], v[22:23], v[10:11], v[2:5]
	v_mfma_f32_16x16x16f16 v[2:5], v[24:25], v[12:13], v[2:5]
	ds_read_b128 v[6:9], v45 offset:6144
	ds_read_b128 v[10:13], v45 offset:6160
	s_waitcnt lgkmcnt(0)
	s_barrier
	s_waitcnt vmcnt(1)
	v_mfma_f32_16x16x16f16 v[2:5], v[26:27], v[6:7], v[2:5]
	v_mfma_f32_16x16x16f16 v[2:5], v[28:29], v[8:9], v[2:5]
	s_waitcnt vmcnt(0)
	v_mfma_f32_16x16x16f16 v[2:5], v[18:19], v[10:11], v[2:5]
	v_mfma_f32_16x16x16f16 v[2:5], v[20:21], v[12:13], v[2:5]
	s_nop 7
	s_nop 2
	v_cvt_f16_f32_e32 v2, v2
	v_cvt_f16_f32_e32 v3, v3
	;; [unrolled: 1-line block ×4, first 2 shown]
	v_pack_b32_f16 v2, v2, v3
	v_pack_b32_f16 v3, v4, v5
	ds_write_b64 v44, v[2:3]
	s_waitcnt lgkmcnt(0)
	s_barrier
	s_and_saveexec_b64 s[10:11], s[0:1]
	s_cbranch_execz .LBB65_22
; %bb.20:
	s_load_dwordx2 s[4:5], s[4:5], 0x68
	s_lshl_b32 s0, s8, 6
	s_mul_i32 s1, s9, s6
	s_mul_hi_u32 s7, s1, s0
	s_mul_i32 s6, s1, s0
	s_lshl_b64 s[6:7], s[6:7], 1
	s_waitcnt lgkmcnt(0)
	s_add_u32 s1, s4, s6
	v_lshlrev_b32_e32 v2, 10, v0
	v_lshlrev_b32_e32 v0, 4, v0
	s_addc_u32 s4, s5, s7
	s_lshl_b32 s2, s28, 6
	v_and_b32_e32 v2, 0x1800, v2
	v_lshlrev_b32_e32 v3, 5, v1
	v_and_b32_e32 v0, 16, v0
	s_lshl_b64 s[2:3], s[2:3], 1
	v_or3_b32 v0, v2, v3, v0
	s_add_u32 s1, s1, s2
	v_or_b32_e32 v2, 8, v1
	s_addc_u32 s2, s4, s3
	ds_read_b128 v[6:9], v0 offset:128
	ds_read_b128 v[10:13], v0
	v_add_u32_e32 v1, s29, v1
	v_mov_b32_e32 v4, s2
	v_add_co_u32_e32 v3, vcc, s1, v42
	v_mad_u64_u32 v[14:15], s[2:3], v1, s0, 0
	v_addc_co_u32_e32 v4, vcc, v4, v43, vcc
	v_lshlrev_b64 v[14:15], 1, v[14:15]
	v_add_co_u32_e32 v14, vcc, v3, v14
	v_addc_co_u32_e32 v15, vcc, v4, v15, vcc
	v_add_u32_e32 v1, 4, v1
	s_waitcnt lgkmcnt(0)
	global_store_dwordx4 v[14:15], v[10:13], off
	s_nop 0
	v_mad_u64_u32 v[10:11], s[2:3], v1, s0, 0
	v_lshlrev_b64 v[10:11], 1, v[10:11]
	v_add_co_u32_e32 v10, vcc, v3, v10
	v_addc_co_u32_e32 v11, vcc, v4, v11, vcc
	v_cmp_gt_u32_e32 vcc, 10, v2
	global_store_dwordx4 v[10:11], v[6:9], off
	s_and_b64 exec, exec, vcc
	s_cbranch_execz .LBB65_22
; %bb.21:
	ds_read_b128 v[6:9], v0 offset:256
	v_add_u32_e32 v0, s29, v2
	v_mad_u64_u32 v[0:1], s[0:1], v0, s0, 0
	v_lshlrev_b64 v[0:1], 1, v[0:1]
	v_add_co_u32_e32 v0, vcc, v3, v0
	v_addc_co_u32_e32 v1, vcc, v4, v1, vcc
	s_waitcnt lgkmcnt(0)
	global_store_dwordx4 v[0:1], v[6:9], off
.LBB65_22:
	s_endpgm
	.section	.rodata,"a",@progbits
	.p2align	6, 0x0
	.amdhsa_kernel _Z39paged_attention_ll4mi_QKV_mfma16_kernelIDF16_DF16_LN4vllm18Fp8KVCacheDataTypeE0EDF16_Li32ELi64ELi256ELb1ELi10EL8MFMAType0EEvPKT_PKT0_S8_ifPKiSA_SA_iPKfiiiPfSD_PS3_PT2_iSC_SC_
		.amdhsa_group_segment_fixed_size 8192
		.amdhsa_private_segment_fixed_size 0
		.amdhsa_kernarg_size 400
		.amdhsa_user_sgpr_count 6
		.amdhsa_user_sgpr_private_segment_buffer 1
		.amdhsa_user_sgpr_dispatch_ptr 0
		.amdhsa_user_sgpr_queue_ptr 0
		.amdhsa_user_sgpr_kernarg_segment_ptr 1
		.amdhsa_user_sgpr_dispatch_id 0
		.amdhsa_user_sgpr_flat_scratch_init 0
		.amdhsa_user_sgpr_kernarg_preload_length 0
		.amdhsa_user_sgpr_kernarg_preload_offset 0
		.amdhsa_user_sgpr_private_segment_size 0
		.amdhsa_uses_dynamic_stack 0
		.amdhsa_system_sgpr_private_segment_wavefront_offset 0
		.amdhsa_system_sgpr_workgroup_id_x 1
		.amdhsa_system_sgpr_workgroup_id_y 1
		.amdhsa_system_sgpr_workgroup_id_z 1
		.amdhsa_system_sgpr_workgroup_info 0
		.amdhsa_system_vgpr_workitem_id 0
		.amdhsa_next_free_vgpr 66
		.amdhsa_next_free_sgpr 48
		.amdhsa_accum_offset 68
		.amdhsa_reserve_vcc 1
		.amdhsa_reserve_flat_scratch 0
		.amdhsa_float_round_mode_32 0
		.amdhsa_float_round_mode_16_64 0
		.amdhsa_float_denorm_mode_32 3
		.amdhsa_float_denorm_mode_16_64 3
		.amdhsa_dx10_clamp 1
		.amdhsa_ieee_mode 1
		.amdhsa_fp16_overflow 0
		.amdhsa_tg_split 0
		.amdhsa_exception_fp_ieee_invalid_op 0
		.amdhsa_exception_fp_denorm_src 0
		.amdhsa_exception_fp_ieee_div_zero 0
		.amdhsa_exception_fp_ieee_overflow 0
		.amdhsa_exception_fp_ieee_underflow 0
		.amdhsa_exception_fp_ieee_inexact 0
		.amdhsa_exception_int_div_zero 0
	.end_amdhsa_kernel
	.section	.text._Z39paged_attention_ll4mi_QKV_mfma16_kernelIDF16_DF16_LN4vllm18Fp8KVCacheDataTypeE0EDF16_Li32ELi64ELi256ELb1ELi10EL8MFMAType0EEvPKT_PKT0_S8_ifPKiSA_SA_iPKfiiiPfSD_PS3_PT2_iSC_SC_,"axG",@progbits,_Z39paged_attention_ll4mi_QKV_mfma16_kernelIDF16_DF16_LN4vllm18Fp8KVCacheDataTypeE0EDF16_Li32ELi64ELi256ELb1ELi10EL8MFMAType0EEvPKT_PKT0_S8_ifPKiSA_SA_iPKfiiiPfSD_PS3_PT2_iSC_SC_,comdat
.Lfunc_end65:
	.size	_Z39paged_attention_ll4mi_QKV_mfma16_kernelIDF16_DF16_LN4vllm18Fp8KVCacheDataTypeE0EDF16_Li32ELi64ELi256ELb1ELi10EL8MFMAType0EEvPKT_PKT0_S8_ifPKiSA_SA_iPKfiiiPfSD_PS3_PT2_iSC_SC_, .Lfunc_end65-_Z39paged_attention_ll4mi_QKV_mfma16_kernelIDF16_DF16_LN4vllm18Fp8KVCacheDataTypeE0EDF16_Li32ELi64ELi256ELb1ELi10EL8MFMAType0EEvPKT_PKT0_S8_ifPKiSA_SA_iPKfiiiPfSD_PS3_PT2_iSC_SC_
                                        ; -- End function
	.section	.AMDGPU.csdata,"",@progbits
; Kernel info:
; codeLenInByte = 4408
; NumSgprs: 52
; NumVgprs: 66
; NumAgprs: 0
; TotalNumVgprs: 66
; ScratchSize: 0
; MemoryBound: 0
; FloatMode: 240
; IeeeMode: 1
; LDSByteSize: 8192 bytes/workgroup (compile time only)
; SGPRBlocks: 6
; VGPRBlocks: 8
; NumSGPRsForWavesPerEU: 52
; NumVGPRsForWavesPerEU: 66
; AccumOffset: 68
; Occupancy: 7
; WaveLimiterHint : 1
; COMPUTE_PGM_RSRC2:SCRATCH_EN: 0
; COMPUTE_PGM_RSRC2:USER_SGPR: 6
; COMPUTE_PGM_RSRC2:TRAP_HANDLER: 0
; COMPUTE_PGM_RSRC2:TGID_X_EN: 1
; COMPUTE_PGM_RSRC2:TGID_Y_EN: 1
; COMPUTE_PGM_RSRC2:TGID_Z_EN: 1
; COMPUTE_PGM_RSRC2:TIDIG_COMP_CNT: 0
; COMPUTE_PGM_RSRC3_GFX90A:ACCUM_OFFSET: 16
; COMPUTE_PGM_RSRC3_GFX90A:TG_SPLIT: 0
	.section	.text._Z39paged_attention_ll4mi_QKV_mfma16_kernelIDF16_DF16_LN4vllm18Fp8KVCacheDataTypeE0EDF16_Li32ELi64ELi256ELb1ELi11EL8MFMAType0EEvPKT_PKT0_S8_ifPKiSA_SA_iPKfiiiPfSD_PS3_PT2_iSC_SC_,"axG",@progbits,_Z39paged_attention_ll4mi_QKV_mfma16_kernelIDF16_DF16_LN4vllm18Fp8KVCacheDataTypeE0EDF16_Li32ELi64ELi256ELb1ELi11EL8MFMAType0EEvPKT_PKT0_S8_ifPKiSA_SA_iPKfiiiPfSD_PS3_PT2_iSC_SC_,comdat
	.protected	_Z39paged_attention_ll4mi_QKV_mfma16_kernelIDF16_DF16_LN4vllm18Fp8KVCacheDataTypeE0EDF16_Li32ELi64ELi256ELb1ELi11EL8MFMAType0EEvPKT_PKT0_S8_ifPKiSA_SA_iPKfiiiPfSD_PS3_PT2_iSC_SC_ ; -- Begin function _Z39paged_attention_ll4mi_QKV_mfma16_kernelIDF16_DF16_LN4vllm18Fp8KVCacheDataTypeE0EDF16_Li32ELi64ELi256ELb1ELi11EL8MFMAType0EEvPKT_PKT0_S8_ifPKiSA_SA_iPKfiiiPfSD_PS3_PT2_iSC_SC_
	.globl	_Z39paged_attention_ll4mi_QKV_mfma16_kernelIDF16_DF16_LN4vllm18Fp8KVCacheDataTypeE0EDF16_Li32ELi64ELi256ELb1ELi11EL8MFMAType0EEvPKT_PKT0_S8_ifPKiSA_SA_iPKfiiiPfSD_PS3_PT2_iSC_SC_
	.p2align	8
	.type	_Z39paged_attention_ll4mi_QKV_mfma16_kernelIDF16_DF16_LN4vllm18Fp8KVCacheDataTypeE0EDF16_Li32ELi64ELi256ELb1ELi11EL8MFMAType0EEvPKT_PKT0_S8_ifPKiSA_SA_iPKfiiiPfSD_PS3_PT2_iSC_SC_,@function
_Z39paged_attention_ll4mi_QKV_mfma16_kernelIDF16_DF16_LN4vllm18Fp8KVCacheDataTypeE0EDF16_Li32ELi64ELi256ELb1ELi11EL8MFMAType0EEvPKT_PKT0_S8_ifPKiSA_SA_iPKfiiiPfSD_PS3_PT2_iSC_SC_: ; @_Z39paged_attention_ll4mi_QKV_mfma16_kernelIDF16_DF16_LN4vllm18Fp8KVCacheDataTypeE0EDF16_Li32ELi64ELi256ELb1ELi11EL8MFMAType0EEvPKT_PKT0_S8_ifPKiSA_SA_iPKfiiiPfSD_PS3_PT2_iSC_SC_
; %bb.0:
	s_load_dwordx2 s[0:1], s[4:5], 0x30
	s_mov_b32 s28, s7
	s_mov_b64 s[10:11], 0
	s_waitcnt lgkmcnt(0)
	s_cmp_lg_u64 s[0:1], 0
	s_cselect_b64 s[2:3], -1, 0
	s_and_b64 vcc, exec, s[2:3]
	s_cbranch_vccz .LBB66_7
; %bb.1:
	s_add_i32 s12, s6, 1
	s_mov_b32 s13, 0
	s_lshl_b64 s[14:15], s[12:13], 2
	s_add_u32 s14, s0, s14
	s_mov_b32 s7, s13
	s_addc_u32 s15, s1, s15
	s_lshl_b64 s[12:13], s[6:7], 2
	s_add_u32 s12, s0, s12
	s_addc_u32 s13, s1, s13
	s_load_dword s9, s[14:15], 0x0
	s_load_dword s16, s[12:13], 0x0
	s_waitcnt lgkmcnt(0)
	s_sub_i32 s9, s9, s16
	s_cmp_eq_u32 s9, 1
	s_cselect_b64 s[12:13], -1, 0
	s_andn2_b64 vcc, exec, s[10:11]
	s_cbranch_vccnz .LBB66_3
.LBB66_2:
	s_mov_b32 s7, 0
	s_mov_b64 s[12:13], -1
.LBB66_3:
	s_andn2_b64 vcc, exec, s[12:13]
	s_cbranch_vccnz .LBB66_22
; %bb.4:
	s_load_dwordx2 s[12:13], s[4:5], 0x28
	s_lshl_b64 s[10:11], s[6:7], 2
	s_waitcnt lgkmcnt(0)
	s_add_u32 s12, s12, s10
	s_addc_u32 s13, s13, s11
	s_load_dword s33, s[12:13], 0x0
	s_lshl_b32 s14, s28, 8
	s_waitcnt lgkmcnt(0)
	s_cmp_ge_i32 s14, s33
	s_cbranch_scc1 .LBB66_22
; %bb.5:
	s_add_i32 s15, s33, 31
	s_load_dwordx2 s[12:13], s[4:5], 0x20
	s_load_dword s9, s[4:5], 0x38
	s_ashr_i32 s16, s15, 31
	v_and_b32_e32 v1, 0xcf, v0
	s_lshr_b32 s16, s16, 27
	v_add_u32_e32 v1, s14, v1
	s_add_i32 s15, s15, s16
	v_ashrrev_i32_e32 v2, 31, v1
	s_ashr_i32 s17, s15, 5
	v_lshrrev_b32_e32 v6, 27, v2
	s_add_i32 s17, s17, -1
	v_add_u32_e32 v2, v1, v6
	s_waitcnt lgkmcnt(0)
	s_mul_i32 s18, s6, s9
	s_mov_b32 s19, 0
	v_ashrrev_i32_e32 v2, 5, v2
	v_mov_b32_e32 v7, s17
	v_cmp_gt_i32_e32 vcc, s33, v1
	s_lshl_b64 s[18:19], s[18:19], 2
	v_cndmask_b32_e32 v2, v7, v2, vcc
	s_add_u32 s15, s12, s18
	v_ashrrev_i32_e32 v3, 31, v2
	s_addc_u32 s16, s13, s19
	v_lshlrev_b64 v[2:3], 2, v[2:3]
	v_mov_b32_e32 v4, s16
	v_add_co_u32_e32 v2, vcc, s15, v2
	v_addc_co_u32_e32 v3, vcc, v4, v3, vcc
	v_or_b32_e32 v4, 16, v1
	v_add_u32_e32 v5, v4, v6
	v_ashrrev_i32_e32 v5, 5, v5
	v_cmp_gt_i32_e32 vcc, s33, v4
	v_cndmask_b32_e32 v4, v7, v5, vcc
	v_ashrrev_i32_e32 v5, 31, v4
	v_lshlrev_b64 v[4:5], 2, v[4:5]
	v_mov_b32_e32 v9, s16
	v_add_co_u32_e32 v8, vcc, s15, v4
	v_or_b32_e32 v4, 32, v1
	v_addc_co_u32_e32 v9, vcc, v9, v5, vcc
	v_add_u32_e32 v5, v4, v6
	v_ashrrev_i32_e32 v5, 5, v5
	v_cmp_gt_i32_e32 vcc, s33, v4
	v_cndmask_b32_e32 v4, v7, v5, vcc
	v_ashrrev_i32_e32 v5, 31, v4
	v_lshlrev_b64 v[4:5], 2, v[4:5]
	v_mov_b32_e32 v11, s16
	v_add_co_u32_e32 v10, vcc, s15, v4
	v_or_b32_e32 v1, 48, v1
	v_addc_co_u32_e32 v11, vcc, v11, v5, vcc
	v_add_u32_e32 v4, v1, v6
	v_ashrrev_i32_e32 v4, 5, v4
	v_cmp_gt_i32_e32 vcc, s33, v1
	v_cndmask_b32_e32 v4, v7, v4, vcc
	v_ashrrev_i32_e32 v5, 31, v4
	v_lshlrev_b64 v[4:5], 2, v[4:5]
	v_mov_b32_e32 v1, s16
	v_add_co_u32_e32 v12, vcc, s15, v4
	v_addc_co_u32_e32 v13, vcc, v1, v5, vcc
	global_load_dword v7, v[2:3], off
	global_load_dword v6, v[8:9], off
	;; [unrolled: 1-line block ×4, first 2 shown]
	s_andn2_b64 vcc, exec, s[2:3]
	s_cbranch_vccnz .LBB66_8
; %bb.6:
	s_add_u32 s0, s0, s10
	s_addc_u32 s1, s1, s11
	s_load_dword s9, s[0:1], 0x0
	s_branch .LBB66_9
.LBB66_7:
	s_mov_b64 s[12:13], 0
	s_branch .LBB66_2
.LBB66_8:
	s_mov_b32 s9, s6
.LBB66_9:
	s_load_dwordx2 s[10:11], s[4:5], 0x8
	s_load_dwordx4 s[44:47], s[4:5], 0x48
	v_lshrrev_b32_e32 v53, 6, v0
	v_bfe_u32 v1, v0, 4, 2
	v_lshl_or_b32 v8, v53, 2, v1
	v_and_b32_e32 v52, 15, v0
	v_cmp_lt_u32_e32 vcc, 10, v8
	v_cmp_lt_u32_e64 s[2:3], 7, v52
	v_lshlrev_b32_e32 v2, 3, v52
	v_cmp_gt_u32_e64 s[0:1], 8, v52
	s_or_b64 s[2:3], s[2:3], vcc
	s_and_saveexec_b64 s[12:13], s[2:3]
	s_xor_b64 s[2:3], exec, s[12:13]
; %bb.10:
	v_mov_b32_e32 v3, 0
                                        ; implicit-def: $vgpr8
; %bb.11:
	s_or_saveexec_b64 s[12:13], s[2:3]
	s_load_dwordx2 s[2:3], s[4:5], 0x10
	s_mul_i32 s29, s8, 11
	s_xor_b64 exec, exec, s[12:13]
	s_cbranch_execz .LBB66_13
; %bb.12:
	s_load_dwordx2 s[18:19], s[4:5], 0x0
	s_waitcnt lgkmcnt(0)
	s_ashr_i32 s20, s44, 31
	s_mul_hi_u32 s21, s9, s44
	s_mul_i32 s20, s9, s20
	s_add_i32 s21, s21, s20
	s_mul_i32 s20, s9, s44
	s_lshl_b64 s[20:21], s[20:21], 1
	v_add_lshl_u32 v10, v8, s29, 6
	s_add_u32 s9, s18, s20
	v_ashrrev_i32_e32 v11, 31, v10
	s_addc_u32 s18, s19, s21
	v_lshlrev_b64 v[10:11], 1, v[10:11]
	v_mov_b32_e32 v3, s18
	v_add_co_u32_e32 v9, vcc, s9, v10
	v_addc_co_u32_e32 v3, vcc, v3, v11, vcc
	v_lshlrev_b32_e32 v10, 1, v2
	v_add_co_u32_e32 v10, vcc, v9, v10
	v_addc_co_u32_e32 v11, vcc, 0, v3, vcc
	global_load_dwordx4 v[10:13], v[10:11], off
	v_and_b32_e32 v9, 3, v0
	v_lshlrev_b32_e32 v14, 9, v52
	v_lshlrev_b32_e32 v8, 5, v8
	;; [unrolled: 1-line block ×3, first 2 shown]
	v_and_b32_e32 v14, 0x1800, v14
	v_mov_b32_e32 v3, 0
	v_or3_b32 v8, v14, v9, v8
	s_waitcnt vmcnt(0)
	ds_write_b128 v8, v[10:13]
.LBB66_13:
	s_or_b64 exec, exec, s[12:13]
	s_waitcnt lgkmcnt(0)
	s_mul_i32 s8, s8, s46
	s_mov_b32 s9, 0
	s_lshl_b64 s[8:9], s[8:9], 1
	s_add_u32 s12, s10, s8
	s_addc_u32 s13, s11, s9
	s_waitcnt vmcnt(3)
	v_mad_i64_i32 v[8:9], s[10:11], v7, s45, 0
	v_lshlrev_b64 v[8:9], 1, v[8:9]
	v_mov_b32_e32 v7, s13
	v_add_co_u32_e32 v8, vcc, s12, v8
	v_addc_co_u32_e32 v7, vcc, v7, v9, vcc
	v_lshlrev_b64 v[42:43], 1, v[2:3]
	v_add_co_u32_e32 v2, vcc, v8, v42
	v_lshlrev_b32_e32 v24, 9, v1
	v_addc_co_u32_e32 v3, vcc, v7, v43, vcc
	v_add_co_u32_e32 v2, vcc, v2, v24
	v_addc_co_u32_e32 v3, vcc, 0, v3, vcc
	s_barrier
	global_load_dwordx4 v[38:41], v[2:3], off
	global_load_dwordx4 v[34:37], v[2:3], off offset:2048
	s_waitcnt vmcnt(4)
	v_mad_i64_i32 v[2:3], s[10:11], v6, s45, 0
	v_lshlrev_b64 v[2:3], 1, v[2:3]
	v_mov_b32_e32 v6, s13
	v_add_co_u32_e32 v2, vcc, s12, v2
	v_addc_co_u32_e32 v3, vcc, v6, v3, vcc
	v_mov_b32_e32 v6, 0x100
	v_lshl_or_b32 v18, v52, 4, v6
	v_add_co_u32_e32 v2, vcc, v2, v18
	v_addc_co_u32_e32 v3, vcc, 0, v3, vcc
	v_add_co_u32_e32 v2, vcc, v2, v24
	v_addc_co_u32_e32 v3, vcc, 0, v3, vcc
	global_load_dwordx4 v[30:33], v[2:3], off
	global_load_dwordx4 v[14:17], v[2:3], off offset:2048
	s_waitcnt vmcnt(5)
	v_mad_i64_i32 v[2:3], s[10:11], v5, s45, 0
	v_lshlrev_b64 v[2:3], 1, v[2:3]
	v_mov_b32_e32 v5, s13
	v_add_co_u32_e32 v2, vcc, s12, v2
	v_addc_co_u32_e32 v3, vcc, v5, v3, vcc
	v_add_co_u32_e32 v2, vcc, v2, v42
	v_addc_co_u32_e32 v3, vcc, v3, v43, vcc
	;; [unrolled: 2-line block ×3, first 2 shown]
	global_load_dwordx4 v[10:13], v[2:3], off
	global_load_dwordx4 v[6:9], v[2:3], off offset:2048
	s_waitcnt vmcnt(6)
	v_mad_i64_i32 v[2:3], s[10:11], v4, s45, 0
	v_lshlrev_b64 v[2:3], 1, v[2:3]
	v_mov_b32_e32 v4, s13
	v_add_co_u32_e32 v2, vcc, s12, v2
	v_addc_co_u32_e32 v3, vcc, v4, v3, vcc
	v_add_co_u32_e32 v2, vcc, v2, v18
	v_addc_co_u32_e32 v3, vcc, 0, v3, vcc
	;; [unrolled: 2-line block ×3, first 2 shown]
	global_load_dwordx4 v[2:5], v[22:23], off
	global_load_dwordx4 v[18:21], v[22:23], off offset:2048
	v_add_u32_e32 v22, -11, v52
	v_cmp_gt_u32_e32 vcc, 11, v52
	v_cndmask_b32_e32 v22, v22, v52, vcc
	v_lshl_add_u32 v22, v22, 5, v24
	ds_read_b128 v[26:29], v22
	ds_read_b128 v[22:25], v22 offset:2048
	v_and_b32_e32 v54, 63, v0
	v_mov_b32_e32 v50, 0
	s_and_saveexec_b64 s[10:11], vcc
	s_cbranch_execz .LBB66_15
; %bb.14:
	s_load_dwordx2 s[12:13], s[4:5], 0x40
	v_add_u32_e32 v44, s29, v52
	v_ashrrev_i32_e32 v45, 31, v44
	v_lshlrev_b64 v[44:45], 2, v[44:45]
	s_waitcnt lgkmcnt(0)
	v_mov_b32_e32 v46, s13
	v_add_co_u32_e32 v44, vcc, s12, v44
	v_addc_co_u32_e32 v45, vcc, v46, v45, vcc
	global_load_dword v50, v[44:45], off
.LBB66_15:
	s_or_b64 exec, exec, s[10:11]
	s_waitcnt vmcnt(7) lgkmcnt(1)
	v_mfma_f32_16x16x16f16 v[44:47], v[38:39], v[26:27], 0
	s_ashr_i32 s10, s14, 31
	s_lshr_b32 s11, s10, 27
	v_mov_b32_e32 v49, s16
	s_add_u32 s2, s2, s8
	s_addc_u32 s3, s3, s9
	s_load_dword s10, s[4:5], 0x1c
	s_mov_b32 s42, 0xff7fffff
	v_mfma_f32_16x16x16f16 v[38:41], v[40:41], v[28:29], v[44:47]
	s_waitcnt vmcnt(6) lgkmcnt(0)
	v_mfma_f32_16x16x16f16 v[38:41], v[34:35], v[22:23], v[38:41]
	s_nop 4
	v_and_or_b32 v46, v0, 48, s14
	v_add_u32_e32 v34, s11, v46
	v_ashrrev_i32_e32 v34, 5, v34
	v_mov_b32_e32 v47, s17
	v_cmp_gt_i32_e32 vcc, s33, v46
	v_cndmask_b32_e32 v34, v47, v34, vcc
	v_ashrrev_i32_e32 v35, 31, v34
	v_lshlrev_b64 v[44:45], 2, v[34:35]
	v_mfma_f32_16x16x16f16 v[34:37], v[36:37], v[24:25], v[38:41]
	s_nop 6
	v_mov_b32_e32 v39, s16
	v_add_co_u32_e32 v38, vcc, s15, v44
	v_addc_co_u32_e32 v39, vcc, v39, v45, vcc
	global_load_dword v48, v[38:39], off
	s_waitcnt vmcnt(6)
	v_mfma_f32_16x16x16f16 v[38:41], v[30:31], v[26:27], 0
	v_or_b32_e32 v44, 64, v46
	v_add_u32_e32 v30, s11, v44
	v_ashrrev_i32_e32 v30, 5, v30
	v_cmp_gt_i32_e32 vcc, s33, v44
	v_cndmask_b32_e32 v30, v47, v30, vcc
	v_ashrrev_i32_e32 v31, 31, v30
	v_lshlrev_b64 v[44:45], 2, v[30:31]
	v_mfma_f32_16x16x16f16 v[30:33], v[32:33], v[28:29], v[38:41]
	s_nop 6
	v_add_co_u32_e32 v38, vcc, s15, v44
	v_addc_co_u32_e32 v39, vcc, v49, v45, vcc
	global_load_dword v40, v[38:39], off
	v_or_b32_e32 v38, 0x80, v46
	v_add_u32_e32 v39, s11, v38
	v_ashrrev_i32_e32 v39, 5, v39
	v_cmp_gt_i32_e32 vcc, s33, v38
	v_cndmask_b32_e32 v38, v47, v39, vcc
	v_ashrrev_i32_e32 v39, 31, v38
	s_waitcnt vmcnt(6)
	v_mfma_f32_16x16x16f16 v[30:33], v[14:15], v[22:23], v[30:33]
	v_lshlrev_b64 v[14:15], 2, v[38:39]
	v_mov_b32_e32 v38, s16
	v_add_co_u32_e32 v14, vcc, s15, v14
	v_addc_co_u32_e32 v15, vcc, v38, v15, vcc
	global_load_dword v41, v[14:15], off
	v_mfma_f32_16x16x16f16 v[30:33], v[16:17], v[24:25], v[30:33]
	v_or_b32_e32 v38, 0xc0, v46
	v_cmp_gt_i32_e32 vcc, s33, v38
	v_mov_b32_e32 v44, s16
	s_waitcnt vmcnt(6)
	v_mfma_f32_16x16x16f16 v[14:17], v[10:11], v[26:27], 0
	v_add_u32_e32 v10, s11, v38
	v_ashrrev_i32_e32 v10, 5, v10
	v_cndmask_b32_e32 v10, v47, v10, vcc
	v_ashrrev_i32_e32 v11, 31, v10
	v_lshlrev_b64 v[38:39], 2, v[10:11]
	s_nop 0
	v_pk_mul_f32 v[46:47], s[10:11], v[30:31] op_sel_hi:[0,1]
	v_mfma_f32_16x16x16f16 v[10:13], v[12:13], v[28:29], v[14:17]
	s_nop 6
	v_add_co_u32_e32 v14, vcc, s15, v38
	s_waitcnt vmcnt(5)
	v_mfma_f32_16x16x16f16 v[10:13], v[6:7], v[22:23], v[10:13]
	v_addc_co_u32_e32 v15, vcc, v44, v39, vcc
	global_load_dword v51, v[14:15], off
	v_and_b32_e32 v14, 16, v0
	v_lshlrev_b32_e32 v14, 1, v14
	v_mov_b32_e32 v6, s3
	v_add_co_u32_e32 v7, vcc, s2, v14
	v_lshlrev_b32_e32 v14, 6, v52
	v_addc_co_u32_e32 v6, vcc, 0, v6, vcc
	v_lshl_or_b32 v14, v53, 10, v14
	v_add_co_u32_e32 v55, vcc, v7, v14
	v_addc_co_u32_e32 v60, vcc, 0, v6, vcc
	v_mfma_f32_16x16x16f16 v[56:59], v[8:9], v[24:25], v[10:13]
	s_waitcnt vmcnt(3)
	v_mad_i64_i32 v[6:7], s[2:3], v48, s45, 0
	v_pk_mul_f32 v[48:49], s[10:11], v[36:37] op_sel_hi:[0,1]
	v_pk_mul_f32 v[44:45], s[10:11], v[32:33] op_sel_hi:[0,1]
	s_waitcnt vmcnt(1)
	v_mad_i64_i32 v[38:39], s[2:3], v41, s45, 0
	s_nop 0
	v_lshlrev_b64 v[10:11], 1, v[6:7]
	v_mfma_f32_16x16x16f16 v[6:9], v[2:3], v[26:27], 0
	v_add_co_u32_e32 v2, vcc, v55, v10
	v_addc_co_u32_e32 v3, vcc, v60, v11, vcc
	global_load_dwordx4 v[14:17], v[2:3], off
	global_load_dwordx4 v[10:13], v[2:3], off offset:16
	v_mad_i64_i32 v[2:3], s[2:3], v40, s45, 0
	v_mfma_f32_16x16x16f16 v[26:29], v[4:5], v[28:29], v[6:9]
	v_lshlrev_b64 v[2:3], 1, v[2:3]
	v_add_co_u32_e32 v2, vcc, v55, v2
	v_addc_co_u32_e32 v3, vcc, v60, v3, vcc
	v_lshlrev_b64 v[38:39], 1, v[38:39]
	v_pk_mul_f32 v[40:41], s[10:11], v[56:57] op_sel_hi:[0,1]
	v_mfma_f32_16x16x16f16 v[26:29], v[18:19], v[22:23], v[26:29]
	v_pk_mul_f32 v[18:19], s[10:11], v[34:35] op_sel_hi:[0,1]
	v_add_co_u32_e32 v22, vcc, v55, v38
	v_addc_co_u32_e32 v23, vcc, v60, v39, vcc
	v_pk_mul_f32 v[38:39], s[10:11], v[58:59] op_sel_hi:[0,1]
	global_load_dwordx4 v[6:9], v[2:3], off
	s_nop 0
	global_load_dwordx4 v[2:5], v[2:3], off offset:16
	v_mfma_f32_16x16x16f16 v[24:27], v[20:21], v[24:25], v[26:29]
	v_and_b32_e32 v20, 0xc0, v0
	v_add_u32_e32 v20, s14, v20
	v_lshl_or_b32 v20, v1, 2, v20
	v_or_b32_e32 v21, 1, v20
	v_cmp_gt_i32_e64 s[30:31], s33, v20
	v_cmp_gt_i32_e64 s[34:35], s33, v21
	s_nop 4
	v_pk_mul_f32 v[36:37], s[10:11], v[24:25] op_sel_hi:[0,1]
	v_subrev_u32_e32 v24, s33, v21
	v_pk_mul_f32 v[34:35], s[10:11], v[26:27] op_sel_hi:[0,1]
	v_add_u32_e32 v26, 1, v24
	v_add_u32_e32 v27, 2, v24
	v_cvt_f32_i32_e32 v25, v24
	v_cvt_f32_i32_e32 v26, v26
	;; [unrolled: 1-line block ×3, first 2 shown]
	v_add_u32_e32 v28, 3, v24
	v_fma_f32 v18, v50, v25, v18
	v_fmac_f32_e32 v19, v50, v26
	v_fma_f32 v48, v50, v27, v48
	v_add_u32_e32 v25, 16, v24
	v_add_u32_e32 v26, 17, v24
	;; [unrolled: 1-line block ×3, first 2 shown]
	v_cvt_f32_i32_e32 v28, v28
	v_cvt_f32_i32_e32 v25, v25
	;; [unrolled: 1-line block ×4, first 2 shown]
	v_fmac_f32_e32 v49, v50, v28
	v_add_u32_e32 v28, 19, v24
	v_fma_f32 v46, v50, v25, v46
	v_fmac_f32_e32 v47, v50, v26
	v_fma_f32 v44, v50, v27, v44
	v_add_u32_e32 v25, 32, v24
	v_add_u32_e32 v26, 33, v24
	;; [unrolled: 1-line block ×3, first 2 shown]
	v_cvt_f32_i32_e32 v28, v28
	v_cvt_f32_i32_e32 v25, v25
	;; [unrolled: 1-line block ×4, first 2 shown]
	v_fmac_f32_e32 v45, v50, v28
	v_add_u32_e32 v28, 35, v24
	v_fma_f32 v40, v50, v25, v40
	v_fmac_f32_e32 v41, v50, v26
	v_fma_f32 v38, v50, v27, v38
	v_add_u32_e32 v25, 48, v24
	v_add_u32_e32 v26, 49, v24
	;; [unrolled: 1-line block ×4, first 2 shown]
	v_cvt_f32_i32_e32 v24, v24
	v_cvt_f32_i32_e32 v25, v25
	;; [unrolled: 1-line block ×4, first 2 shown]
	v_fmac_f32_e32 v35, v50, v24
	v_mov_b32_e32 v24, 0xff7fffff
	v_fma_f32 v36, v50, v25, v36
	v_cndmask_b32_e64 v25, v24, v18, s[30:31]
	v_cndmask_b32_e64 v21, v24, v19, s[34:35]
	v_fmac_f32_e32 v37, v50, v26
	v_max3_f32 v21, v25, s42, v21
	v_or_b32_e32 v25, 2, v20
	v_or_b32_e32 v26, 3, v20
	v_cmp_gt_i32_e64 s[36:37], s33, v25
	v_cmp_gt_i32_e64 s[38:39], s33, v26
	v_cndmask_b32_e64 v25, v24, v48, s[36:37]
	v_cndmask_b32_e64 v26, v24, v49, s[38:39]
	v_max3_f32 v21, v21, v25, v26
	v_or_b32_e32 v25, 16, v20
	v_or_b32_e32 v26, 17, v20
	v_cmp_gt_i32_e64 s[24:25], s33, v25
	v_cmp_gt_i32_e64 s[26:27], s33, v26
	v_cndmask_b32_e64 v25, v24, v46, s[24:25]
	v_cndmask_b32_e64 v26, v24, v47, s[26:27]
	;; [unrolled: 7-line block ×4, first 2 shown]
	v_max3_f32 v21, v21, v25, v26
	v_or_b32_e32 v25, 34, v20
	v_or_b32_e32 v26, 35, v20
	v_fmac_f32_e32 v39, v50, v28
	v_cmp_gt_i32_e64 s[12:13], s33, v25
	v_cmp_gt_i32_e64 s[14:15], s33, v26
	v_cndmask_b32_e64 v25, v24, v38, s[12:13]
	v_cndmask_b32_e64 v26, v24, v39, s[14:15]
	v_cvt_f32_i32_e32 v27, v27
	v_max3_f32 v21, v21, v25, v26
	v_or_b32_e32 v25, 48, v20
	v_or_b32_e32 v26, 49, v20
	v_cmp_gt_i32_e64 s[8:9], s33, v25
	v_cmp_gt_i32_e64 s[10:11], s33, v26
	v_cndmask_b32_e64 v25, v24, v36, s[8:9]
	v_cndmask_b32_e64 v26, v24, v37, s[10:11]
	v_max3_f32 v21, v21, v25, v26
	v_or_b32_e32 v25, 50, v20
	v_or_b32_e32 v20, 51, v20
	v_fma_f32 v34, v50, v27, v34
	v_cmp_gt_i32_e32 vcc, s33, v25
	v_cmp_gt_i32_e64 s[2:3], s33, v20
	v_cndmask_b32_e32 v25, v24, v34, vcc
	v_cndmask_b32_e64 v20, v24, v35, s[2:3]
	v_max3_f32 v26, v21, v25, v20
	v_mbcnt_lo_u32_b32 v20, -1, 0
	v_mbcnt_hi_u32_b32 v27, -1, v20
	v_and_b32_e32 v20, 64, v27
	v_add_u32_e32 v28, 64, v20
	v_xor_b32_e32 v20, 32, v27
	v_cmp_lt_i32_e64 s[40:41], v20, v28
	v_cndmask_b32_e64 v20, v27, v20, s[40:41]
	v_lshlrev_b32_e32 v56, 2, v20
	ds_bpermute_b32 v29, v56, v26
	s_waitcnt vmcnt(4)
	v_mad_i64_i32 v[20:21], s[40:41], v51, s45, 0
	v_lshlrev_b64 v[20:21], 1, v[20:21]
	global_load_dwordx4 v[30:33], v[22:23], off
	s_nop 0
	global_load_dwordx4 v[22:25], v[22:23], off offset:16
	s_waitcnt lgkmcnt(0)
	v_max_f32_e32 v29, v29, v29
	v_max_f32_e32 v26, v26, v29
	v_xor_b32_e32 v29, 16, v27
	v_cmp_lt_i32_e64 s[40:41], v29, v28
	v_cndmask_b32_e64 v27, v27, v29, s[40:41]
	v_lshlrev_b32_e32 v58, 2, v27
	ds_bpermute_b32 v27, v58, v26
	v_add_co_u32_e64 v20, s[40:41], v55, v20
	v_addc_co_u32_e64 v21, s[40:41], v60, v21, s[40:41]
	s_waitcnt lgkmcnt(0)
	v_max_f32_e32 v27, v27, v27
	v_max_f32_e32 v55, v26, v27
	v_sub_f32_e32 v18, v18, v55
	v_mul_f32_e32 v18, 0x3fb8aa3b, v18
	v_exp_f32_e32 v50, v18
	v_sub_f32_e32 v18, v19, v55
	v_mul_f32_e32 v18, 0x3fb8aa3b, v18
	v_exp_f32_e32 v51, v18
	global_load_dwordx4 v[26:29], v[20:21], off
	s_nop 0
	global_load_dwordx4 v[18:21], v[20:21], off offset:16
	v_sub_f32_e32 v48, v48, v55
	v_mul_f32_e32 v48, 0x3fb8aa3b, v48
	v_sub_f32_e32 v49, v49, v55
	v_exp_f32_e32 v48, v48
	v_mul_f32_e32 v49, 0x3fb8aa3b, v49
	v_sub_f32_e32 v46, v46, v55
	v_exp_f32_e32 v49, v49
	v_mul_f32_e32 v46, 0x3fb8aa3b, v46
	v_sub_f32_e32 v47, v47, v55
	v_cndmask_b32_e64 v50, 0, v50, s[30:31]
	v_exp_f32_e32 v46, v46
	v_mul_f32_e32 v47, 0x3fb8aa3b, v47
	v_sub_f32_e32 v44, v44, v55
	v_add_f32_e32 v57, 0, v50
	v_cndmask_b32_e64 v51, 0, v51, s[34:35]
	v_exp_f32_e32 v47, v47
	v_mul_f32_e32 v44, 0x3fb8aa3b, v44
	v_sub_f32_e32 v45, v45, v55
	v_add_f32_e32 v57, v57, v51
	;; [unrolled: 5-line block ×10, first 2 shown]
	v_cndmask_b32_e64 v38, 0, v38, s[12:13]
	v_exp_f32_e32 v34, v34
	v_mul_f32_e32 v35, 0x3fb8aa3b, v35
	v_add_f32_e32 v57, v57, v38
	v_cndmask_b32_e64 v39, 0, v39, s[14:15]
	v_exp_f32_e32 v35, v35
	v_add_f32_e32 v57, v57, v39
	v_cndmask_b32_e64 v36, 0, v36, s[8:9]
	v_add_f32_e32 v57, v57, v36
	v_cndmask_b32_e64 v37, 0, v37, s[10:11]
	v_add_f32_e32 v57, v57, v37
	v_cndmask_b32_e32 v34, 0, v34, vcc
	v_add_f32_e32 v57, v57, v34
	v_cndmask_b32_e64 v35, 0, v35, s[2:3]
	v_add_f32_e32 v57, v57, v35
	ds_bpermute_b32 v56, v56, v57
	s_load_dword s9, s[4:5], 0x98
	v_cmp_gt_u32_e32 vcc, 16, v54
	s_waitcnt lgkmcnt(0)
	s_barrier
	v_add_f32_e32 v57, v57, v56
	ds_bpermute_b32 v58, v58, v57
	v_lshlrev_b32_e32 v56, 2, v52
	s_waitcnt lgkmcnt(0)
	s_and_saveexec_b64 s[2:3], vcc
	s_cbranch_execz .LBB66_17
; %bb.16:
	v_add_f32_e32 v54, v57, v58
	v_lshl_or_b32 v57, v53, 6, v56
	ds_write2st64_b32 v57, v55, v54 offset1:1
.LBB66_17:
	s_or_b64 exec, exec, s[2:3]
	s_load_dword s8, s[4:5], 0x94
	s_waitcnt lgkmcnt(0)
	s_barrier
	ds_read2_b32 v[58:59], v56 offset1:16
	ds_read2_b32 v[60:61], v56 offset0:32 offset1:48
	ds_read2_b32 v[62:63], v56 offset0:64 offset1:80
	;; [unrolled: 1-line block ×3, first 2 shown]
	s_waitcnt lgkmcnt(0)
	v_max3_f32 v54, v58, s42, v59
	v_max3_f32 v54, v54, v60, v61
	v_sub_f32_e32 v55, v58, v54
	v_mul_f32_e32 v55, 0x3fb8aa3b, v55
	v_exp_f32_e32 v58, v55
	v_sub_f32_e32 v55, v59, v54
	v_mul_f32_e32 v55, 0x3fb8aa3b, v55
	v_exp_f32_e32 v59, v55
	;; [unrolled: 3-line block ×4, first 2 shown]
	v_fma_f32 v55, v58, v62, 0
	v_fmac_f32_e32 v55, v59, v63
	v_fmac_f32_e32 v55, v60, v56
	;; [unrolled: 1-line block ×3, first 2 shown]
	v_add_f32_e32 v56, 0x358637bd, v55
	v_div_scale_f32 v57, s[2:3], v56, v56, 1.0
	v_rcp_f32_e32 v62, v57
	s_barrier
	s_mul_i32 s9, s9, 11
	v_fma_f32 v63, -v57, v62, 1.0
	v_fmac_f32_e32 v62, v63, v62
	v_div_scale_f32 v63, vcc, 1.0, v56, 1.0
	v_mul_f32_e32 v64, v63, v62
	v_fma_f32 v65, -v57, v64, v63
	v_fmac_f32_e32 v64, v65, v62
	v_fma_f32 v57, -v57, v64, v63
	v_div_fmas_f32 v57, v57, v62, v64
	v_cmp_eq_u32_e32 vcc, 1, v53
	v_div_fixup_f32 v56, v57, v56, 1.0
	v_cndmask_b32_e32 v57, v58, v59, vcc
	v_cmp_eq_u32_e32 vcc, 2, v53
	v_cndmask_b32_e32 v57, v57, v60, vcc
	v_cmp_eq_u32_e32 vcc, 3, v53
	v_cndmask_b32_e32 v57, v57, v61, vcc
	v_mul_f32_e32 v56, v57, v56
	v_pk_mul_f32 v[48:49], v[56:57], v[48:49] op_sel_hi:[0,1]
	v_pk_mul_f32 v[50:51], v[56:57], v[50:51] op_sel_hi:[0,1]
	v_cvt_f16_f32_e32 v50, v50
	v_cvt_f16_f32_e32 v51, v51
	;; [unrolled: 1-line block ×4, first 2 shown]
	v_pk_mul_f32 v[44:45], v[56:57], v[44:45] op_sel_hi:[0,1]
	v_pk_mul_f32 v[46:47], v[56:57], v[46:47] op_sel_hi:[0,1]
	v_cvt_f16_f32_e32 v46, v46
	v_cvt_f16_f32_e32 v47, v47
	;; [unrolled: 1-line block ×4, first 2 shown]
	v_pack_b32_f16 v50, v50, v51
	v_pack_b32_f16 v51, v48, v49
	v_lshlrev_b32_e32 v49, 3, v1
	v_lshlrev_b32_e32 v48, 5, v52
	;; [unrolled: 1-line block ×3, first 2 shown]
	v_or3_b32 v44, v44, v48, v49
	v_pack_b32_f16 v46, v46, v47
	v_pack_b32_f16 v47, v57, v45
	v_pk_mul_f32 v[38:39], v[56:57], v[38:39] op_sel_hi:[0,1]
	v_pk_mul_f32 v[40:41], v[56:57], v[40:41] op_sel_hi:[0,1]
	;; [unrolled: 1-line block ×4, first 2 shown]
	ds_write2st64_b64 v44, v[50:51], v[46:47] offset1:1
	v_cvt_f16_f32_e32 v40, v40
	v_cvt_f16_f32_e32 v41, v41
	;; [unrolled: 1-line block ×8, first 2 shown]
	v_pack_b32_f16 v34, v40, v41
	v_pack_b32_f16 v35, v38, v39
	;; [unrolled: 1-line block ×4, first 2 shown]
	v_cmp_gt_u32_e32 vcc, 11, v0
	ds_write2st64_b64 v44, v[34:35], v[36:37] offset0:2 offset1:3
	s_and_saveexec_b64 s[2:3], vcc
	s_cbranch_execz .LBB66_19
; %bb.18:
	v_add_co_u32_e32 v36, vcc, s29, v52
	v_addc_co_u32_e64 v37, s[10:11], 0, 0, vcc
	v_mov_b32_e32 v34, s9
	v_mov_b32_e32 v35, 0
	v_mad_u64_u32 v[36:37], s[10:11], s6, v34, v[36:37]
	v_mov_b32_e32 v34, s28
	s_load_dwordx4 s[12:15], s[4:5], 0x58
	s_mul_i32 s7, s7, s9
	v_mad_u64_u32 v[34:35], s[10:11], v36, s8, v[34:35]
	v_add_u32_e32 v37, s7, v37
	v_mov_b32_e32 v36, v35
	v_mad_u64_u32 v[36:37], s[10:11], v37, s8, v[36:37]
	v_mov_b32_e32 v35, v36
	v_lshlrev_b64 v[34:35], 2, v[34:35]
	s_waitcnt lgkmcnt(0)
	v_mov_b32_e32 v37, s15
	v_add_co_u32_e32 v36, vcc, s14, v34
	v_addc_co_u32_e32 v37, vcc, v37, v35, vcc
	global_store_dword v[36:37], v54, off
	v_mov_b32_e32 v36, s13
	v_add_co_u32_e32 v34, vcc, s12, v34
	v_addc_co_u32_e32 v35, vcc, v36, v35, vcc
	global_store_dword v[34:35], v55, off
.LBB66_19:
	s_or_b64 exec, exec, s[2:3]
	v_lshl_or_b32 v45, v1, 9, v48
	s_waitcnt lgkmcnt(0)
	s_barrier
	ds_read_b128 v[34:37], v45
	ds_read_b128 v[38:41], v45 offset:16
	s_waitcnt vmcnt(7) lgkmcnt(1)
	v_mfma_f32_16x16x16f16 v[46:49], v[14:15], v[34:35], 0
	v_cmp_gt_u32_e32 vcc, 64, v0
	s_mov_b32 s3, 0
	s_and_b64 s[0:1], vcc, s[0:1]
	v_mfma_f32_16x16x16f16 v[14:17], v[16:17], v[36:37], v[46:49]
	s_waitcnt vmcnt(6) lgkmcnt(0)
	v_mfma_f32_16x16x16f16 v[14:17], v[10:11], v[38:39], v[14:17]
	v_mfma_f32_16x16x16f16 v[10:13], v[12:13], v[40:41], v[14:17]
	s_nop 7
	s_nop 1
	ds_read_b128 v[14:17], v45 offset:2048
	ds_read_b128 v[34:37], v45 offset:2064
	s_waitcnt vmcnt(5) lgkmcnt(1)
	v_mfma_f32_16x16x16f16 v[10:13], v[6:7], v[14:15], v[10:13]
	v_mfma_f32_16x16x16f16 v[6:9], v[8:9], v[16:17], v[10:13]
	s_waitcnt vmcnt(4) lgkmcnt(0)
	v_mfma_f32_16x16x16f16 v[6:9], v[2:3], v[34:35], v[6:9]
	v_mfma_f32_16x16x16f16 v[2:5], v[4:5], v[36:37], v[6:9]
	s_nop 7
	s_nop 1
	ds_read_b128 v[6:9], v45 offset:4096
	ds_read_b128 v[10:13], v45 offset:4112
	s_waitcnt vmcnt(3) lgkmcnt(1)
	v_mfma_f32_16x16x16f16 v[2:5], v[30:31], v[6:7], v[2:5]
	v_mfma_f32_16x16x16f16 v[2:5], v[32:33], v[8:9], v[2:5]
	s_waitcnt vmcnt(2) lgkmcnt(0)
	v_mfma_f32_16x16x16f16 v[2:5], v[22:23], v[10:11], v[2:5]
	v_mfma_f32_16x16x16f16 v[2:5], v[24:25], v[12:13], v[2:5]
	ds_read_b128 v[6:9], v45 offset:6144
	ds_read_b128 v[10:13], v45 offset:6160
	s_waitcnt lgkmcnt(0)
	s_barrier
	s_waitcnt vmcnt(1)
	v_mfma_f32_16x16x16f16 v[2:5], v[26:27], v[6:7], v[2:5]
	v_mfma_f32_16x16x16f16 v[2:5], v[28:29], v[8:9], v[2:5]
	s_waitcnt vmcnt(0)
	v_mfma_f32_16x16x16f16 v[2:5], v[18:19], v[10:11], v[2:5]
	v_mfma_f32_16x16x16f16 v[2:5], v[20:21], v[12:13], v[2:5]
	s_nop 7
	s_nop 2
	v_cvt_f16_f32_e32 v2, v2
	v_cvt_f16_f32_e32 v3, v3
	;; [unrolled: 1-line block ×4, first 2 shown]
	v_pack_b32_f16 v2, v2, v3
	v_pack_b32_f16 v3, v4, v5
	ds_write_b64 v44, v[2:3]
	s_waitcnt lgkmcnt(0)
	s_barrier
	s_and_saveexec_b64 s[10:11], s[0:1]
	s_cbranch_execz .LBB66_22
; %bb.20:
	s_load_dwordx2 s[4:5], s[4:5], 0x68
	s_lshl_b32 s0, s8, 6
	s_mul_i32 s1, s9, s6
	s_mul_hi_u32 s7, s1, s0
	s_mul_i32 s6, s1, s0
	s_lshl_b64 s[6:7], s[6:7], 1
	s_waitcnt lgkmcnt(0)
	s_add_u32 s1, s4, s6
	v_lshlrev_b32_e32 v2, 10, v0
	v_lshlrev_b32_e32 v0, 4, v0
	s_addc_u32 s4, s5, s7
	s_lshl_b32 s2, s28, 6
	v_and_b32_e32 v2, 0x1800, v2
	v_lshlrev_b32_e32 v3, 5, v1
	v_and_b32_e32 v0, 16, v0
	s_lshl_b64 s[2:3], s[2:3], 1
	v_or3_b32 v0, v2, v3, v0
	s_add_u32 s1, s1, s2
	s_addc_u32 s2, s4, s3
	ds_read_b128 v[4:7], v0 offset:128
	ds_read_b128 v[8:11], v0
	v_add_u32_e32 v14, s29, v1
	v_mov_b32_e32 v3, s2
	v_add_co_u32_e32 v2, vcc, s1, v42
	v_mad_u64_u32 v[12:13], s[2:3], v14, s0, 0
	v_addc_co_u32_e32 v3, vcc, v3, v43, vcc
	v_lshlrev_b64 v[12:13], 1, v[12:13]
	v_add_co_u32_e32 v12, vcc, v2, v12
	v_addc_co_u32_e32 v13, vcc, v3, v13, vcc
	s_waitcnt lgkmcnt(0)
	global_store_dwordx4 v[12:13], v[8:11], off
	s_nop 0
	v_add_u32_e32 v8, 4, v14
	v_mad_u64_u32 v[8:9], s[2:3], v8, s0, 0
	v_lshlrev_b64 v[8:9], 1, v[8:9]
	v_add_co_u32_e32 v8, vcc, v2, v8
	v_addc_co_u32_e32 v9, vcc, v3, v9, vcc
	v_cmp_ne_u32_e32 vcc, 3, v1
	global_store_dwordx4 v[8:9], v[4:7], off
	s_and_b64 exec, exec, vcc
	s_cbranch_execz .LBB66_22
; %bb.21:
	ds_read_b128 v[4:7], v0 offset:256
	v_add3_u32 v0, s29, v1, 8
	v_mad_u64_u32 v[0:1], s[0:1], v0, s0, 0
	v_lshlrev_b64 v[0:1], 1, v[0:1]
	v_add_co_u32_e32 v0, vcc, v2, v0
	v_addc_co_u32_e32 v1, vcc, v3, v1, vcc
	s_waitcnt lgkmcnt(0)
	global_store_dwordx4 v[0:1], v[4:7], off
.LBB66_22:
	s_endpgm
	.section	.rodata,"a",@progbits
	.p2align	6, 0x0
	.amdhsa_kernel _Z39paged_attention_ll4mi_QKV_mfma16_kernelIDF16_DF16_LN4vllm18Fp8KVCacheDataTypeE0EDF16_Li32ELi64ELi256ELb1ELi11EL8MFMAType0EEvPKT_PKT0_S8_ifPKiSA_SA_iPKfiiiPfSD_PS3_PT2_iSC_SC_
		.amdhsa_group_segment_fixed_size 8192
		.amdhsa_private_segment_fixed_size 0
		.amdhsa_kernarg_size 400
		.amdhsa_user_sgpr_count 6
		.amdhsa_user_sgpr_private_segment_buffer 1
		.amdhsa_user_sgpr_dispatch_ptr 0
		.amdhsa_user_sgpr_queue_ptr 0
		.amdhsa_user_sgpr_kernarg_segment_ptr 1
		.amdhsa_user_sgpr_dispatch_id 0
		.amdhsa_user_sgpr_flat_scratch_init 0
		.amdhsa_user_sgpr_kernarg_preload_length 0
		.amdhsa_user_sgpr_kernarg_preload_offset 0
		.amdhsa_user_sgpr_private_segment_size 0
		.amdhsa_uses_dynamic_stack 0
		.amdhsa_system_sgpr_private_segment_wavefront_offset 0
		.amdhsa_system_sgpr_workgroup_id_x 1
		.amdhsa_system_sgpr_workgroup_id_y 1
		.amdhsa_system_sgpr_workgroup_id_z 1
		.amdhsa_system_sgpr_workgroup_info 0
		.amdhsa_system_vgpr_workitem_id 0
		.amdhsa_next_free_vgpr 66
		.amdhsa_next_free_sgpr 48
		.amdhsa_accum_offset 68
		.amdhsa_reserve_vcc 1
		.amdhsa_reserve_flat_scratch 0
		.amdhsa_float_round_mode_32 0
		.amdhsa_float_round_mode_16_64 0
		.amdhsa_float_denorm_mode_32 3
		.amdhsa_float_denorm_mode_16_64 3
		.amdhsa_dx10_clamp 1
		.amdhsa_ieee_mode 1
		.amdhsa_fp16_overflow 0
		.amdhsa_tg_split 0
		.amdhsa_exception_fp_ieee_invalid_op 0
		.amdhsa_exception_fp_denorm_src 0
		.amdhsa_exception_fp_ieee_div_zero 0
		.amdhsa_exception_fp_ieee_overflow 0
		.amdhsa_exception_fp_ieee_underflow 0
		.amdhsa_exception_fp_ieee_inexact 0
		.amdhsa_exception_int_div_zero 0
	.end_amdhsa_kernel
	.section	.text._Z39paged_attention_ll4mi_QKV_mfma16_kernelIDF16_DF16_LN4vllm18Fp8KVCacheDataTypeE0EDF16_Li32ELi64ELi256ELb1ELi11EL8MFMAType0EEvPKT_PKT0_S8_ifPKiSA_SA_iPKfiiiPfSD_PS3_PT2_iSC_SC_,"axG",@progbits,_Z39paged_attention_ll4mi_QKV_mfma16_kernelIDF16_DF16_LN4vllm18Fp8KVCacheDataTypeE0EDF16_Li32ELi64ELi256ELb1ELi11EL8MFMAType0EEvPKT_PKT0_S8_ifPKiSA_SA_iPKfiiiPfSD_PS3_PT2_iSC_SC_,comdat
.Lfunc_end66:
	.size	_Z39paged_attention_ll4mi_QKV_mfma16_kernelIDF16_DF16_LN4vllm18Fp8KVCacheDataTypeE0EDF16_Li32ELi64ELi256ELb1ELi11EL8MFMAType0EEvPKT_PKT0_S8_ifPKiSA_SA_iPKfiiiPfSD_PS3_PT2_iSC_SC_, .Lfunc_end66-_Z39paged_attention_ll4mi_QKV_mfma16_kernelIDF16_DF16_LN4vllm18Fp8KVCacheDataTypeE0EDF16_Li32ELi64ELi256ELb1ELi11EL8MFMAType0EEvPKT_PKT0_S8_ifPKiSA_SA_iPKfiiiPfSD_PS3_PT2_iSC_SC_
                                        ; -- End function
	.section	.AMDGPU.csdata,"",@progbits
; Kernel info:
; codeLenInByte = 4408
; NumSgprs: 52
; NumVgprs: 66
; NumAgprs: 0
; TotalNumVgprs: 66
; ScratchSize: 0
; MemoryBound: 0
; FloatMode: 240
; IeeeMode: 1
; LDSByteSize: 8192 bytes/workgroup (compile time only)
; SGPRBlocks: 6
; VGPRBlocks: 8
; NumSGPRsForWavesPerEU: 52
; NumVGPRsForWavesPerEU: 66
; AccumOffset: 68
; Occupancy: 7
; WaveLimiterHint : 1
; COMPUTE_PGM_RSRC2:SCRATCH_EN: 0
; COMPUTE_PGM_RSRC2:USER_SGPR: 6
; COMPUTE_PGM_RSRC2:TRAP_HANDLER: 0
; COMPUTE_PGM_RSRC2:TGID_X_EN: 1
; COMPUTE_PGM_RSRC2:TGID_Y_EN: 1
; COMPUTE_PGM_RSRC2:TGID_Z_EN: 1
; COMPUTE_PGM_RSRC2:TIDIG_COMP_CNT: 0
; COMPUTE_PGM_RSRC3_GFX90A:ACCUM_OFFSET: 16
; COMPUTE_PGM_RSRC3_GFX90A:TG_SPLIT: 0
	.section	.text._Z39paged_attention_ll4mi_QKV_mfma16_kernelIDF16_DF16_LN4vllm18Fp8KVCacheDataTypeE0EDF16_Li32ELi64ELi256ELb1ELi12EL8MFMAType0EEvPKT_PKT0_S8_ifPKiSA_SA_iPKfiiiPfSD_PS3_PT2_iSC_SC_,"axG",@progbits,_Z39paged_attention_ll4mi_QKV_mfma16_kernelIDF16_DF16_LN4vllm18Fp8KVCacheDataTypeE0EDF16_Li32ELi64ELi256ELb1ELi12EL8MFMAType0EEvPKT_PKT0_S8_ifPKiSA_SA_iPKfiiiPfSD_PS3_PT2_iSC_SC_,comdat
	.protected	_Z39paged_attention_ll4mi_QKV_mfma16_kernelIDF16_DF16_LN4vllm18Fp8KVCacheDataTypeE0EDF16_Li32ELi64ELi256ELb1ELi12EL8MFMAType0EEvPKT_PKT0_S8_ifPKiSA_SA_iPKfiiiPfSD_PS3_PT2_iSC_SC_ ; -- Begin function _Z39paged_attention_ll4mi_QKV_mfma16_kernelIDF16_DF16_LN4vllm18Fp8KVCacheDataTypeE0EDF16_Li32ELi64ELi256ELb1ELi12EL8MFMAType0EEvPKT_PKT0_S8_ifPKiSA_SA_iPKfiiiPfSD_PS3_PT2_iSC_SC_
	.globl	_Z39paged_attention_ll4mi_QKV_mfma16_kernelIDF16_DF16_LN4vllm18Fp8KVCacheDataTypeE0EDF16_Li32ELi64ELi256ELb1ELi12EL8MFMAType0EEvPKT_PKT0_S8_ifPKiSA_SA_iPKfiiiPfSD_PS3_PT2_iSC_SC_
	.p2align	8
	.type	_Z39paged_attention_ll4mi_QKV_mfma16_kernelIDF16_DF16_LN4vllm18Fp8KVCacheDataTypeE0EDF16_Li32ELi64ELi256ELb1ELi12EL8MFMAType0EEvPKT_PKT0_S8_ifPKiSA_SA_iPKfiiiPfSD_PS3_PT2_iSC_SC_,@function
_Z39paged_attention_ll4mi_QKV_mfma16_kernelIDF16_DF16_LN4vllm18Fp8KVCacheDataTypeE0EDF16_Li32ELi64ELi256ELb1ELi12EL8MFMAType0EEvPKT_PKT0_S8_ifPKiSA_SA_iPKfiiiPfSD_PS3_PT2_iSC_SC_: ; @_Z39paged_attention_ll4mi_QKV_mfma16_kernelIDF16_DF16_LN4vllm18Fp8KVCacheDataTypeE0EDF16_Li32ELi64ELi256ELb1ELi12EL8MFMAType0EEvPKT_PKT0_S8_ifPKiSA_SA_iPKfiiiPfSD_PS3_PT2_iSC_SC_
; %bb.0:
	s_load_dwordx2 s[0:1], s[4:5], 0x30
	s_mov_b32 s28, s7
	s_mov_b64 s[10:11], 0
	s_waitcnt lgkmcnt(0)
	s_cmp_lg_u64 s[0:1], 0
	s_cselect_b64 s[2:3], -1, 0
	s_and_b64 vcc, exec, s[2:3]
	s_cbranch_vccz .LBB67_7
; %bb.1:
	s_add_i32 s12, s6, 1
	s_mov_b32 s13, 0
	s_lshl_b64 s[14:15], s[12:13], 2
	s_add_u32 s14, s0, s14
	s_mov_b32 s7, s13
	s_addc_u32 s15, s1, s15
	s_lshl_b64 s[12:13], s[6:7], 2
	s_add_u32 s12, s0, s12
	s_addc_u32 s13, s1, s13
	s_load_dword s9, s[14:15], 0x0
	s_load_dword s16, s[12:13], 0x0
	s_waitcnt lgkmcnt(0)
	s_sub_i32 s9, s9, s16
	s_cmp_eq_u32 s9, 1
	s_cselect_b64 s[12:13], -1, 0
	s_andn2_b64 vcc, exec, s[10:11]
	s_cbranch_vccnz .LBB67_3
.LBB67_2:
	s_mov_b32 s7, 0
	s_mov_b64 s[12:13], -1
.LBB67_3:
	s_andn2_b64 vcc, exec, s[12:13]
	s_cbranch_vccnz .LBB67_21
; %bb.4:
	s_load_dwordx2 s[12:13], s[4:5], 0x28
	s_lshl_b64 s[10:11], s[6:7], 2
	s_waitcnt lgkmcnt(0)
	s_add_u32 s12, s12, s10
	s_addc_u32 s13, s13, s11
	s_load_dword s33, s[12:13], 0x0
	s_lshl_b32 s14, s28, 8
	s_waitcnt lgkmcnt(0)
	s_cmp_ge_i32 s14, s33
	s_cbranch_scc1 .LBB67_21
; %bb.5:
	s_add_i32 s15, s33, 31
	s_load_dwordx2 s[12:13], s[4:5], 0x20
	s_load_dword s9, s[4:5], 0x38
	s_ashr_i32 s16, s15, 31
	v_and_b32_e32 v1, 0xcf, v0
	s_lshr_b32 s16, s16, 27
	v_add_u32_e32 v1, s14, v1
	s_add_i32 s15, s15, s16
	v_ashrrev_i32_e32 v2, 31, v1
	s_ashr_i32 s17, s15, 5
	v_lshrrev_b32_e32 v6, 27, v2
	s_add_i32 s17, s17, -1
	v_add_u32_e32 v2, v1, v6
	s_waitcnt lgkmcnt(0)
	s_mul_i32 s18, s6, s9
	s_mov_b32 s19, 0
	v_ashrrev_i32_e32 v2, 5, v2
	v_mov_b32_e32 v7, s17
	v_cmp_gt_i32_e32 vcc, s33, v1
	s_lshl_b64 s[18:19], s[18:19], 2
	v_cndmask_b32_e32 v2, v7, v2, vcc
	s_add_u32 s15, s12, s18
	v_ashrrev_i32_e32 v3, 31, v2
	s_addc_u32 s16, s13, s19
	v_lshlrev_b64 v[2:3], 2, v[2:3]
	v_mov_b32_e32 v4, s16
	v_add_co_u32_e32 v2, vcc, s15, v2
	v_addc_co_u32_e32 v3, vcc, v4, v3, vcc
	v_or_b32_e32 v4, 16, v1
	v_add_u32_e32 v5, v4, v6
	v_ashrrev_i32_e32 v5, 5, v5
	v_cmp_gt_i32_e32 vcc, s33, v4
	v_cndmask_b32_e32 v4, v7, v5, vcc
	v_ashrrev_i32_e32 v5, 31, v4
	v_lshlrev_b64 v[4:5], 2, v[4:5]
	v_mov_b32_e32 v9, s16
	v_add_co_u32_e32 v8, vcc, s15, v4
	v_or_b32_e32 v4, 32, v1
	v_addc_co_u32_e32 v9, vcc, v9, v5, vcc
	v_add_u32_e32 v5, v4, v6
	v_ashrrev_i32_e32 v5, 5, v5
	v_cmp_gt_i32_e32 vcc, s33, v4
	v_cndmask_b32_e32 v4, v7, v5, vcc
	v_ashrrev_i32_e32 v5, 31, v4
	v_lshlrev_b64 v[4:5], 2, v[4:5]
	v_mov_b32_e32 v11, s16
	v_add_co_u32_e32 v10, vcc, s15, v4
	v_or_b32_e32 v1, 48, v1
	v_addc_co_u32_e32 v11, vcc, v11, v5, vcc
	v_add_u32_e32 v4, v1, v6
	v_ashrrev_i32_e32 v4, 5, v4
	v_cmp_gt_i32_e32 vcc, s33, v1
	v_cndmask_b32_e32 v4, v7, v4, vcc
	v_ashrrev_i32_e32 v5, 31, v4
	v_lshlrev_b64 v[4:5], 2, v[4:5]
	v_mov_b32_e32 v1, s16
	v_add_co_u32_e32 v12, vcc, s15, v4
	v_addc_co_u32_e32 v13, vcc, v1, v5, vcc
	global_load_dword v7, v[2:3], off
	global_load_dword v6, v[8:9], off
	;; [unrolled: 1-line block ×4, first 2 shown]
	s_andn2_b64 vcc, exec, s[2:3]
	s_cbranch_vccnz .LBB67_8
; %bb.6:
	s_add_u32 s0, s0, s10
	s_addc_u32 s1, s1, s11
	s_load_dword s9, s[0:1], 0x0
	s_branch .LBB67_9
.LBB67_7:
	s_mov_b64 s[12:13], 0
	s_branch .LBB67_2
.LBB67_8:
	s_mov_b32 s9, s6
.LBB67_9:
	s_load_dwordx2 s[10:11], s[4:5], 0x8
	s_load_dwordx4 s[44:47], s[4:5], 0x48
	v_and_b32_e32 v52, 15, v0
	s_movk_i32 s0, 0xbf
	v_cmp_lt_u32_e32 vcc, s0, v0
	v_cmp_lt_u32_e64 s[2:3], 7, v52
	v_lshlrev_b32_e32 v2, 3, v52
	v_cmp_gt_u32_e64 s[0:1], 8, v52
	s_or_b64 s[2:3], vcc, s[2:3]
	s_and_saveexec_b64 s[12:13], s[2:3]
	s_xor_b64 s[2:3], exec, s[12:13]
; %bb.10:
	v_mov_b32_e32 v3, 0
; %bb.11:
	s_or_saveexec_b64 s[12:13], s[2:3]
	s_load_dwordx2 s[2:3], s[4:5], 0x10
	v_lshrrev_b32_e32 v53, 6, v0
	v_bfe_u32 v1, v0, 4, 2
	s_mul_i32 s29, s8, 12
	s_xor_b64 exec, exec, s[12:13]
	s_cbranch_execz .LBB67_13
; %bb.12:
	s_load_dwordx2 s[18:19], s[4:5], 0x0
	s_waitcnt lgkmcnt(0)
	s_ashr_i32 s20, s44, 31
	s_mul_hi_u32 s21, s9, s44
	s_mul_i32 s20, s9, s20
	v_lshl_or_b32 v12, v53, 2, v1
	s_add_i32 s21, s21, s20
	s_mul_i32 s20, s9, s44
	s_lshl_b64 s[20:21], s[20:21], 1
	v_add_lshl_u32 v8, v12, s29, 6
	s_add_u32 s9, s18, s20
	v_ashrrev_i32_e32 v9, 31, v8
	s_addc_u32 s18, s19, s21
	v_lshlrev_b64 v[8:9], 1, v[8:9]
	v_mov_b32_e32 v3, s18
	v_add_co_u32_e32 v8, vcc, s9, v8
	v_addc_co_u32_e32 v3, vcc, v3, v9, vcc
	v_lshlrev_b32_e32 v9, 1, v2
	v_add_co_u32_e32 v8, vcc, v8, v9
	v_addc_co_u32_e32 v9, vcc, 0, v3, vcc
	global_load_dwordx4 v[8:11], v[8:9], off
	v_and_b32_e32 v13, 3, v0
	v_lshlrev_b32_e32 v14, 9, v52
	v_lshlrev_b32_e32 v12, 5, v12
	;; [unrolled: 1-line block ×3, first 2 shown]
	v_and_b32_e32 v14, 0x1800, v14
	v_mov_b32_e32 v3, 0
	v_or3_b32 v12, v14, v13, v12
	s_waitcnt vmcnt(0)
	ds_write_b128 v12, v[8:11]
.LBB67_13:
	s_or_b64 exec, exec, s[12:13]
	s_waitcnt lgkmcnt(0)
	s_mul_i32 s8, s8, s46
	s_mov_b32 s9, 0
	s_lshl_b64 s[8:9], s[8:9], 1
	s_add_u32 s12, s10, s8
	s_addc_u32 s13, s11, s9
	s_waitcnt vmcnt(3)
	v_mad_i64_i32 v[8:9], s[10:11], v7, s45, 0
	v_lshlrev_b64 v[8:9], 1, v[8:9]
	v_mov_b32_e32 v7, s13
	v_add_co_u32_e32 v8, vcc, s12, v8
	v_addc_co_u32_e32 v7, vcc, v7, v9, vcc
	v_lshlrev_b64 v[42:43], 1, v[2:3]
	v_add_co_u32_e32 v2, vcc, v8, v42
	v_lshlrev_b32_e32 v24, 9, v1
	v_addc_co_u32_e32 v3, vcc, v7, v43, vcc
	v_add_co_u32_e32 v2, vcc, v2, v24
	v_addc_co_u32_e32 v3, vcc, 0, v3, vcc
	s_barrier
	global_load_dwordx4 v[38:41], v[2:3], off
	global_load_dwordx4 v[34:37], v[2:3], off offset:2048
	s_waitcnt vmcnt(4)
	v_mad_i64_i32 v[2:3], s[10:11], v6, s45, 0
	v_lshlrev_b64 v[2:3], 1, v[2:3]
	v_mov_b32_e32 v6, s13
	v_add_co_u32_e32 v2, vcc, s12, v2
	v_addc_co_u32_e32 v3, vcc, v6, v3, vcc
	v_mov_b32_e32 v6, 0x100
	v_lshl_or_b32 v18, v52, 4, v6
	v_add_co_u32_e32 v2, vcc, v2, v18
	v_addc_co_u32_e32 v3, vcc, 0, v3, vcc
	v_add_co_u32_e32 v2, vcc, v2, v24
	v_addc_co_u32_e32 v3, vcc, 0, v3, vcc
	global_load_dwordx4 v[30:33], v[2:3], off
	global_load_dwordx4 v[14:17], v[2:3], off offset:2048
	s_waitcnt vmcnt(5)
	v_mad_i64_i32 v[2:3], s[10:11], v5, s45, 0
	v_lshlrev_b64 v[2:3], 1, v[2:3]
	v_mov_b32_e32 v5, s13
	v_add_co_u32_e32 v2, vcc, s12, v2
	v_addc_co_u32_e32 v3, vcc, v5, v3, vcc
	v_add_co_u32_e32 v2, vcc, v2, v42
	v_addc_co_u32_e32 v3, vcc, v3, v43, vcc
	;; [unrolled: 2-line block ×3, first 2 shown]
	global_load_dwordx4 v[10:13], v[2:3], off
	global_load_dwordx4 v[6:9], v[2:3], off offset:2048
	s_waitcnt vmcnt(6)
	v_mad_i64_i32 v[2:3], s[10:11], v4, s45, 0
	v_lshlrev_b64 v[2:3], 1, v[2:3]
	v_mov_b32_e32 v4, s13
	v_add_co_u32_e32 v2, vcc, s12, v2
	v_addc_co_u32_e32 v3, vcc, v4, v3, vcc
	v_add_co_u32_e32 v2, vcc, v2, v18
	v_addc_co_u32_e32 v3, vcc, 0, v3, vcc
	;; [unrolled: 2-line block ×3, first 2 shown]
	global_load_dwordx4 v[2:5], v[22:23], off
	global_load_dwordx4 v[18:21], v[22:23], off offset:2048
	v_add_u32_e32 v22, -12, v52
	v_cmp_gt_u32_e32 vcc, 12, v52
	v_cndmask_b32_e32 v22, v22, v52, vcc
	v_lshl_add_u32 v22, v22, 5, v24
	ds_read_b128 v[26:29], v22
	ds_read_b128 v[22:25], v22 offset:2048
	v_and_b32_e32 v54, 63, v0
	v_mov_b32_e32 v50, 0
	s_and_saveexec_b64 s[10:11], vcc
	s_cbranch_execz .LBB67_15
; %bb.14:
	s_load_dwordx2 s[12:13], s[4:5], 0x40
	v_add_u32_e32 v44, s29, v52
	v_ashrrev_i32_e32 v45, 31, v44
	v_lshlrev_b64 v[44:45], 2, v[44:45]
	s_waitcnt lgkmcnt(0)
	v_mov_b32_e32 v46, s13
	v_add_co_u32_e32 v44, vcc, s12, v44
	v_addc_co_u32_e32 v45, vcc, v46, v45, vcc
	global_load_dword v50, v[44:45], off
.LBB67_15:
	s_or_b64 exec, exec, s[10:11]
	s_waitcnt vmcnt(7) lgkmcnt(1)
	v_mfma_f32_16x16x16f16 v[44:47], v[38:39], v[26:27], 0
	s_ashr_i32 s10, s14, 31
	s_lshr_b32 s11, s10, 27
	v_mov_b32_e32 v49, s16
	s_add_u32 s2, s2, s8
	s_addc_u32 s3, s3, s9
	s_load_dword s10, s[4:5], 0x1c
	s_mov_b32 s42, 0xff7fffff
	v_mfma_f32_16x16x16f16 v[38:41], v[40:41], v[28:29], v[44:47]
	s_waitcnt vmcnt(6) lgkmcnt(0)
	v_mfma_f32_16x16x16f16 v[38:41], v[34:35], v[22:23], v[38:41]
	s_nop 4
	v_and_or_b32 v46, v0, 48, s14
	v_add_u32_e32 v34, s11, v46
	v_ashrrev_i32_e32 v34, 5, v34
	v_mov_b32_e32 v47, s17
	v_cmp_gt_i32_e32 vcc, s33, v46
	v_cndmask_b32_e32 v34, v47, v34, vcc
	v_ashrrev_i32_e32 v35, 31, v34
	v_lshlrev_b64 v[44:45], 2, v[34:35]
	v_mfma_f32_16x16x16f16 v[34:37], v[36:37], v[24:25], v[38:41]
	s_nop 6
	v_mov_b32_e32 v39, s16
	v_add_co_u32_e32 v38, vcc, s15, v44
	v_addc_co_u32_e32 v39, vcc, v39, v45, vcc
	global_load_dword v48, v[38:39], off
	s_waitcnt vmcnt(6)
	v_mfma_f32_16x16x16f16 v[38:41], v[30:31], v[26:27], 0
	v_or_b32_e32 v44, 64, v46
	v_add_u32_e32 v30, s11, v44
	v_ashrrev_i32_e32 v30, 5, v30
	v_cmp_gt_i32_e32 vcc, s33, v44
	v_cndmask_b32_e32 v30, v47, v30, vcc
	v_ashrrev_i32_e32 v31, 31, v30
	v_lshlrev_b64 v[44:45], 2, v[30:31]
	v_mfma_f32_16x16x16f16 v[30:33], v[32:33], v[28:29], v[38:41]
	s_nop 6
	v_add_co_u32_e32 v38, vcc, s15, v44
	v_addc_co_u32_e32 v39, vcc, v49, v45, vcc
	global_load_dword v40, v[38:39], off
	v_or_b32_e32 v38, 0x80, v46
	v_add_u32_e32 v39, s11, v38
	v_ashrrev_i32_e32 v39, 5, v39
	v_cmp_gt_i32_e32 vcc, s33, v38
	v_cndmask_b32_e32 v38, v47, v39, vcc
	v_ashrrev_i32_e32 v39, 31, v38
	s_waitcnt vmcnt(6)
	v_mfma_f32_16x16x16f16 v[30:33], v[14:15], v[22:23], v[30:33]
	v_lshlrev_b64 v[14:15], 2, v[38:39]
	v_mov_b32_e32 v38, s16
	v_add_co_u32_e32 v14, vcc, s15, v14
	v_addc_co_u32_e32 v15, vcc, v38, v15, vcc
	global_load_dword v41, v[14:15], off
	v_mfma_f32_16x16x16f16 v[30:33], v[16:17], v[24:25], v[30:33]
	v_or_b32_e32 v38, 0xc0, v46
	v_cmp_gt_i32_e32 vcc, s33, v38
	v_mov_b32_e32 v44, s16
	s_waitcnt vmcnt(6)
	v_mfma_f32_16x16x16f16 v[14:17], v[10:11], v[26:27], 0
	v_add_u32_e32 v10, s11, v38
	v_ashrrev_i32_e32 v10, 5, v10
	v_cndmask_b32_e32 v10, v47, v10, vcc
	v_ashrrev_i32_e32 v11, 31, v10
	v_lshlrev_b64 v[38:39], 2, v[10:11]
	s_nop 0
	v_pk_mul_f32 v[46:47], s[10:11], v[30:31] op_sel_hi:[0,1]
	v_mfma_f32_16x16x16f16 v[10:13], v[12:13], v[28:29], v[14:17]
	s_nop 6
	v_add_co_u32_e32 v14, vcc, s15, v38
	s_waitcnt vmcnt(5)
	v_mfma_f32_16x16x16f16 v[10:13], v[6:7], v[22:23], v[10:13]
	v_addc_co_u32_e32 v15, vcc, v44, v39, vcc
	global_load_dword v51, v[14:15], off
	v_and_b32_e32 v14, 16, v0
	v_lshlrev_b32_e32 v14, 1, v14
	v_mov_b32_e32 v6, s3
	v_add_co_u32_e32 v7, vcc, s2, v14
	v_lshlrev_b32_e32 v14, 6, v52
	v_addc_co_u32_e32 v6, vcc, 0, v6, vcc
	v_lshl_or_b32 v14, v53, 10, v14
	v_add_co_u32_e32 v55, vcc, v7, v14
	v_addc_co_u32_e32 v60, vcc, 0, v6, vcc
	v_mfma_f32_16x16x16f16 v[56:59], v[8:9], v[24:25], v[10:13]
	s_waitcnt vmcnt(3)
	v_mad_i64_i32 v[6:7], s[2:3], v48, s45, 0
	v_pk_mul_f32 v[48:49], s[10:11], v[36:37] op_sel_hi:[0,1]
	v_pk_mul_f32 v[44:45], s[10:11], v[32:33] op_sel_hi:[0,1]
	s_waitcnt vmcnt(1)
	v_mad_i64_i32 v[38:39], s[2:3], v41, s45, 0
	s_nop 0
	v_lshlrev_b64 v[10:11], 1, v[6:7]
	v_mfma_f32_16x16x16f16 v[6:9], v[2:3], v[26:27], 0
	v_add_co_u32_e32 v2, vcc, v55, v10
	v_addc_co_u32_e32 v3, vcc, v60, v11, vcc
	global_load_dwordx4 v[14:17], v[2:3], off
	global_load_dwordx4 v[10:13], v[2:3], off offset:16
	v_mad_i64_i32 v[2:3], s[2:3], v40, s45, 0
	v_mfma_f32_16x16x16f16 v[26:29], v[4:5], v[28:29], v[6:9]
	v_lshlrev_b64 v[2:3], 1, v[2:3]
	v_add_co_u32_e32 v2, vcc, v55, v2
	v_addc_co_u32_e32 v3, vcc, v60, v3, vcc
	v_lshlrev_b64 v[38:39], 1, v[38:39]
	v_pk_mul_f32 v[40:41], s[10:11], v[56:57] op_sel_hi:[0,1]
	v_mfma_f32_16x16x16f16 v[26:29], v[18:19], v[22:23], v[26:29]
	v_pk_mul_f32 v[18:19], s[10:11], v[34:35] op_sel_hi:[0,1]
	v_add_co_u32_e32 v22, vcc, v55, v38
	v_addc_co_u32_e32 v23, vcc, v60, v39, vcc
	v_pk_mul_f32 v[38:39], s[10:11], v[58:59] op_sel_hi:[0,1]
	global_load_dwordx4 v[6:9], v[2:3], off
	s_nop 0
	global_load_dwordx4 v[2:5], v[2:3], off offset:16
	v_mfma_f32_16x16x16f16 v[24:27], v[20:21], v[24:25], v[26:29]
	v_and_b32_e32 v20, 0xc0, v0
	v_add_u32_e32 v20, s14, v20
	v_lshl_or_b32 v20, v1, 2, v20
	v_or_b32_e32 v21, 1, v20
	v_cmp_gt_i32_e64 s[30:31], s33, v20
	v_cmp_gt_i32_e64 s[34:35], s33, v21
	s_nop 4
	v_pk_mul_f32 v[36:37], s[10:11], v[24:25] op_sel_hi:[0,1]
	v_subrev_u32_e32 v24, s33, v21
	v_pk_mul_f32 v[34:35], s[10:11], v[26:27] op_sel_hi:[0,1]
	v_add_u32_e32 v26, 1, v24
	v_add_u32_e32 v27, 2, v24
	v_cvt_f32_i32_e32 v25, v24
	v_cvt_f32_i32_e32 v26, v26
	;; [unrolled: 1-line block ×3, first 2 shown]
	v_add_u32_e32 v28, 3, v24
	v_fma_f32 v18, v50, v25, v18
	v_fmac_f32_e32 v19, v50, v26
	v_fma_f32 v48, v50, v27, v48
	v_add_u32_e32 v25, 16, v24
	v_add_u32_e32 v26, 17, v24
	;; [unrolled: 1-line block ×3, first 2 shown]
	v_cvt_f32_i32_e32 v28, v28
	v_cvt_f32_i32_e32 v25, v25
	v_cvt_f32_i32_e32 v26, v26
	v_cvt_f32_i32_e32 v27, v27
	v_fmac_f32_e32 v49, v50, v28
	v_add_u32_e32 v28, 19, v24
	v_fma_f32 v46, v50, v25, v46
	v_fmac_f32_e32 v47, v50, v26
	v_fma_f32 v44, v50, v27, v44
	v_add_u32_e32 v25, 32, v24
	v_add_u32_e32 v26, 33, v24
	;; [unrolled: 1-line block ×3, first 2 shown]
	v_cvt_f32_i32_e32 v28, v28
	v_cvt_f32_i32_e32 v25, v25
	;; [unrolled: 1-line block ×4, first 2 shown]
	v_fmac_f32_e32 v45, v50, v28
	v_add_u32_e32 v28, 35, v24
	v_fma_f32 v40, v50, v25, v40
	v_fmac_f32_e32 v41, v50, v26
	v_fma_f32 v38, v50, v27, v38
	v_add_u32_e32 v25, 48, v24
	v_add_u32_e32 v26, 49, v24
	;; [unrolled: 1-line block ×4, first 2 shown]
	v_cvt_f32_i32_e32 v24, v24
	v_cvt_f32_i32_e32 v25, v25
	;; [unrolled: 1-line block ×4, first 2 shown]
	v_fmac_f32_e32 v35, v50, v24
	v_mov_b32_e32 v24, 0xff7fffff
	v_fma_f32 v36, v50, v25, v36
	v_cndmask_b32_e64 v25, v24, v18, s[30:31]
	v_cndmask_b32_e64 v21, v24, v19, s[34:35]
	v_fmac_f32_e32 v37, v50, v26
	v_max3_f32 v21, v25, s42, v21
	v_or_b32_e32 v25, 2, v20
	v_or_b32_e32 v26, 3, v20
	v_cmp_gt_i32_e64 s[36:37], s33, v25
	v_cmp_gt_i32_e64 s[38:39], s33, v26
	v_cndmask_b32_e64 v25, v24, v48, s[36:37]
	v_cndmask_b32_e64 v26, v24, v49, s[38:39]
	v_max3_f32 v21, v21, v25, v26
	v_or_b32_e32 v25, 16, v20
	v_or_b32_e32 v26, 17, v20
	v_cmp_gt_i32_e64 s[24:25], s33, v25
	v_cmp_gt_i32_e64 s[26:27], s33, v26
	v_cndmask_b32_e64 v25, v24, v46, s[24:25]
	v_cndmask_b32_e64 v26, v24, v47, s[26:27]
	;; [unrolled: 7-line block ×4, first 2 shown]
	v_max3_f32 v21, v21, v25, v26
	v_or_b32_e32 v25, 34, v20
	v_or_b32_e32 v26, 35, v20
	v_fmac_f32_e32 v39, v50, v28
	v_cmp_gt_i32_e64 s[12:13], s33, v25
	v_cmp_gt_i32_e64 s[14:15], s33, v26
	v_cndmask_b32_e64 v25, v24, v38, s[12:13]
	v_cndmask_b32_e64 v26, v24, v39, s[14:15]
	v_cvt_f32_i32_e32 v27, v27
	v_max3_f32 v21, v21, v25, v26
	v_or_b32_e32 v25, 48, v20
	v_or_b32_e32 v26, 49, v20
	v_cmp_gt_i32_e64 s[8:9], s33, v25
	v_cmp_gt_i32_e64 s[10:11], s33, v26
	v_cndmask_b32_e64 v25, v24, v36, s[8:9]
	v_cndmask_b32_e64 v26, v24, v37, s[10:11]
	v_max3_f32 v21, v21, v25, v26
	v_or_b32_e32 v25, 50, v20
	v_or_b32_e32 v20, 51, v20
	v_fma_f32 v34, v50, v27, v34
	v_cmp_gt_i32_e32 vcc, s33, v25
	v_cmp_gt_i32_e64 s[2:3], s33, v20
	v_cndmask_b32_e32 v25, v24, v34, vcc
	v_cndmask_b32_e64 v20, v24, v35, s[2:3]
	v_max3_f32 v26, v21, v25, v20
	v_mbcnt_lo_u32_b32 v20, -1, 0
	v_mbcnt_hi_u32_b32 v27, -1, v20
	v_and_b32_e32 v20, 64, v27
	v_add_u32_e32 v28, 64, v20
	v_xor_b32_e32 v20, 32, v27
	v_cmp_lt_i32_e64 s[40:41], v20, v28
	v_cndmask_b32_e64 v20, v27, v20, s[40:41]
	v_lshlrev_b32_e32 v56, 2, v20
	ds_bpermute_b32 v29, v56, v26
	s_waitcnt vmcnt(4)
	v_mad_i64_i32 v[20:21], s[40:41], v51, s45, 0
	v_lshlrev_b64 v[20:21], 1, v[20:21]
	global_load_dwordx4 v[30:33], v[22:23], off
	s_nop 0
	global_load_dwordx4 v[22:25], v[22:23], off offset:16
	s_waitcnt lgkmcnt(0)
	v_max_f32_e32 v29, v29, v29
	v_max_f32_e32 v26, v26, v29
	v_xor_b32_e32 v29, 16, v27
	v_cmp_lt_i32_e64 s[40:41], v29, v28
	v_cndmask_b32_e64 v27, v27, v29, s[40:41]
	v_lshlrev_b32_e32 v58, 2, v27
	ds_bpermute_b32 v27, v58, v26
	v_add_co_u32_e64 v20, s[40:41], v55, v20
	v_addc_co_u32_e64 v21, s[40:41], v60, v21, s[40:41]
	s_waitcnt lgkmcnt(0)
	v_max_f32_e32 v27, v27, v27
	v_max_f32_e32 v55, v26, v27
	v_sub_f32_e32 v18, v18, v55
	v_mul_f32_e32 v18, 0x3fb8aa3b, v18
	v_exp_f32_e32 v50, v18
	v_sub_f32_e32 v18, v19, v55
	v_mul_f32_e32 v18, 0x3fb8aa3b, v18
	v_exp_f32_e32 v51, v18
	global_load_dwordx4 v[26:29], v[20:21], off
	s_nop 0
	global_load_dwordx4 v[18:21], v[20:21], off offset:16
	v_sub_f32_e32 v48, v48, v55
	v_mul_f32_e32 v48, 0x3fb8aa3b, v48
	v_sub_f32_e32 v49, v49, v55
	v_exp_f32_e32 v48, v48
	v_mul_f32_e32 v49, 0x3fb8aa3b, v49
	v_sub_f32_e32 v46, v46, v55
	v_exp_f32_e32 v49, v49
	v_mul_f32_e32 v46, 0x3fb8aa3b, v46
	v_sub_f32_e32 v47, v47, v55
	v_cndmask_b32_e64 v50, 0, v50, s[30:31]
	v_exp_f32_e32 v46, v46
	v_mul_f32_e32 v47, 0x3fb8aa3b, v47
	v_sub_f32_e32 v44, v44, v55
	v_add_f32_e32 v57, 0, v50
	v_cndmask_b32_e64 v51, 0, v51, s[34:35]
	v_exp_f32_e32 v47, v47
	v_mul_f32_e32 v44, 0x3fb8aa3b, v44
	v_sub_f32_e32 v45, v45, v55
	v_add_f32_e32 v57, v57, v51
	;; [unrolled: 5-line block ×10, first 2 shown]
	v_cndmask_b32_e64 v38, 0, v38, s[12:13]
	v_exp_f32_e32 v34, v34
	v_mul_f32_e32 v35, 0x3fb8aa3b, v35
	v_add_f32_e32 v57, v57, v38
	v_cndmask_b32_e64 v39, 0, v39, s[14:15]
	v_exp_f32_e32 v35, v35
	v_add_f32_e32 v57, v57, v39
	v_cndmask_b32_e64 v36, 0, v36, s[8:9]
	v_add_f32_e32 v57, v57, v36
	v_cndmask_b32_e64 v37, 0, v37, s[10:11]
	v_add_f32_e32 v57, v57, v37
	v_cndmask_b32_e32 v34, 0, v34, vcc
	v_add_f32_e32 v57, v57, v34
	v_cndmask_b32_e64 v35, 0, v35, s[2:3]
	v_add_f32_e32 v57, v57, v35
	ds_bpermute_b32 v56, v56, v57
	s_load_dword s9, s[4:5], 0x98
	v_cmp_gt_u32_e32 vcc, 16, v54
	s_waitcnt lgkmcnt(0)
	s_barrier
	v_add_f32_e32 v57, v57, v56
	ds_bpermute_b32 v58, v58, v57
	v_lshlrev_b32_e32 v56, 2, v52
	s_waitcnt lgkmcnt(0)
	s_and_saveexec_b64 s[2:3], vcc
	s_cbranch_execz .LBB67_17
; %bb.16:
	v_add_f32_e32 v54, v57, v58
	v_lshl_or_b32 v57, v53, 6, v56
	ds_write2st64_b32 v57, v55, v54 offset1:1
.LBB67_17:
	s_or_b64 exec, exec, s[2:3]
	s_load_dword s8, s[4:5], 0x94
	s_waitcnt lgkmcnt(0)
	s_barrier
	ds_read2_b32 v[58:59], v56 offset1:16
	ds_read2_b32 v[60:61], v56 offset0:32 offset1:48
	ds_read2_b32 v[62:63], v56 offset0:64 offset1:80
	;; [unrolled: 1-line block ×3, first 2 shown]
	s_waitcnt lgkmcnt(0)
	v_max3_f32 v54, v58, s42, v59
	v_max3_f32 v54, v54, v60, v61
	v_sub_f32_e32 v55, v58, v54
	v_mul_f32_e32 v55, 0x3fb8aa3b, v55
	v_exp_f32_e32 v58, v55
	v_sub_f32_e32 v55, v59, v54
	v_mul_f32_e32 v55, 0x3fb8aa3b, v55
	v_exp_f32_e32 v59, v55
	;; [unrolled: 3-line block ×4, first 2 shown]
	v_fma_f32 v55, v58, v62, 0
	v_fmac_f32_e32 v55, v59, v63
	v_fmac_f32_e32 v55, v60, v56
	;; [unrolled: 1-line block ×3, first 2 shown]
	v_add_f32_e32 v56, 0x358637bd, v55
	v_div_scale_f32 v57, s[2:3], v56, v56, 1.0
	v_rcp_f32_e32 v62, v57
	s_barrier
	s_mul_i32 s9, s9, 12
	v_fma_f32 v63, -v57, v62, 1.0
	v_fmac_f32_e32 v62, v63, v62
	v_div_scale_f32 v63, vcc, 1.0, v56, 1.0
	v_mul_f32_e32 v64, v63, v62
	v_fma_f32 v65, -v57, v64, v63
	v_fmac_f32_e32 v64, v65, v62
	v_fma_f32 v57, -v57, v64, v63
	v_div_fmas_f32 v57, v57, v62, v64
	v_cmp_eq_u32_e32 vcc, 1, v53
	v_div_fixup_f32 v56, v57, v56, 1.0
	v_cndmask_b32_e32 v57, v58, v59, vcc
	v_cmp_eq_u32_e32 vcc, 2, v53
	v_cndmask_b32_e32 v57, v57, v60, vcc
	v_cmp_eq_u32_e32 vcc, 3, v53
	v_cndmask_b32_e32 v57, v57, v61, vcc
	v_mul_f32_e32 v56, v57, v56
	v_pk_mul_f32 v[48:49], v[56:57], v[48:49] op_sel_hi:[0,1]
	v_pk_mul_f32 v[50:51], v[56:57], v[50:51] op_sel_hi:[0,1]
	v_cvt_f16_f32_e32 v50, v50
	v_cvt_f16_f32_e32 v51, v51
	;; [unrolled: 1-line block ×4, first 2 shown]
	v_pk_mul_f32 v[44:45], v[56:57], v[44:45] op_sel_hi:[0,1]
	v_pk_mul_f32 v[46:47], v[56:57], v[46:47] op_sel_hi:[0,1]
	v_cvt_f16_f32_e32 v46, v46
	v_cvt_f16_f32_e32 v47, v47
	;; [unrolled: 1-line block ×4, first 2 shown]
	v_pack_b32_f16 v50, v50, v51
	v_pack_b32_f16 v51, v48, v49
	v_lshlrev_b32_e32 v49, 3, v1
	v_lshlrev_b32_e32 v48, 5, v52
	;; [unrolled: 1-line block ×3, first 2 shown]
	v_or3_b32 v44, v44, v48, v49
	v_pack_b32_f16 v46, v46, v47
	v_pack_b32_f16 v47, v57, v45
	v_pk_mul_f32 v[38:39], v[56:57], v[38:39] op_sel_hi:[0,1]
	v_pk_mul_f32 v[40:41], v[56:57], v[40:41] op_sel_hi:[0,1]
	;; [unrolled: 1-line block ×4, first 2 shown]
	ds_write2st64_b64 v44, v[50:51], v[46:47] offset1:1
	v_cvt_f16_f32_e32 v40, v40
	v_cvt_f16_f32_e32 v41, v41
	v_cvt_f16_f32_e32 v38, v38
	v_cvt_f16_f32_e32 v39, v39
	v_cvt_f16_f32_e32 v36, v36
	v_cvt_f16_f32_e32 v37, v37
	v_cvt_f16_f32_e32 v45, v34
	v_cvt_f16_f32_e32 v46, v35
	v_pack_b32_f16 v34, v40, v41
	v_pack_b32_f16 v35, v38, v39
	;; [unrolled: 1-line block ×4, first 2 shown]
	v_cmp_gt_u32_e32 vcc, 12, v0
	ds_write2st64_b64 v44, v[34:35], v[36:37] offset0:2 offset1:3
	s_and_saveexec_b64 s[2:3], vcc
	s_cbranch_execz .LBB67_19
; %bb.18:
	v_add_co_u32_e32 v36, vcc, s29, v52
	v_addc_co_u32_e64 v37, s[10:11], 0, 0, vcc
	v_mov_b32_e32 v34, s9
	v_mov_b32_e32 v35, 0
	v_mad_u64_u32 v[36:37], s[10:11], s6, v34, v[36:37]
	v_mov_b32_e32 v34, s28
	s_load_dwordx4 s[12:15], s[4:5], 0x58
	s_mul_i32 s7, s7, s9
	v_mad_u64_u32 v[34:35], s[10:11], v36, s8, v[34:35]
	v_add_u32_e32 v37, s7, v37
	v_mov_b32_e32 v36, v35
	v_mad_u64_u32 v[36:37], s[10:11], v37, s8, v[36:37]
	v_mov_b32_e32 v35, v36
	v_lshlrev_b64 v[34:35], 2, v[34:35]
	s_waitcnt lgkmcnt(0)
	v_mov_b32_e32 v37, s15
	v_add_co_u32_e32 v36, vcc, s14, v34
	v_addc_co_u32_e32 v37, vcc, v37, v35, vcc
	global_store_dword v[36:37], v54, off
	v_mov_b32_e32 v36, s13
	v_add_co_u32_e32 v34, vcc, s12, v34
	v_addc_co_u32_e32 v35, vcc, v36, v35, vcc
	global_store_dword v[34:35], v55, off
.LBB67_19:
	s_or_b64 exec, exec, s[2:3]
	v_lshl_or_b32 v45, v1, 9, v48
	s_waitcnt lgkmcnt(0)
	s_barrier
	ds_read_b128 v[34:37], v45
	ds_read_b128 v[38:41], v45 offset:16
	s_waitcnt vmcnt(7) lgkmcnt(1)
	v_mfma_f32_16x16x16f16 v[46:49], v[14:15], v[34:35], 0
	v_cmp_gt_u32_e32 vcc, 64, v0
	s_mov_b32 s3, 0
	s_and_b64 s[0:1], vcc, s[0:1]
	v_mfma_f32_16x16x16f16 v[14:17], v[16:17], v[36:37], v[46:49]
	s_waitcnt vmcnt(6) lgkmcnt(0)
	v_mfma_f32_16x16x16f16 v[14:17], v[10:11], v[38:39], v[14:17]
	v_mfma_f32_16x16x16f16 v[10:13], v[12:13], v[40:41], v[14:17]
	s_nop 7
	s_nop 1
	ds_read_b128 v[14:17], v45 offset:2048
	ds_read_b128 v[34:37], v45 offset:2064
	s_waitcnt vmcnt(5) lgkmcnt(1)
	v_mfma_f32_16x16x16f16 v[10:13], v[6:7], v[14:15], v[10:13]
	v_mfma_f32_16x16x16f16 v[6:9], v[8:9], v[16:17], v[10:13]
	s_waitcnt vmcnt(4) lgkmcnt(0)
	v_mfma_f32_16x16x16f16 v[6:9], v[2:3], v[34:35], v[6:9]
	v_mfma_f32_16x16x16f16 v[2:5], v[4:5], v[36:37], v[6:9]
	s_nop 7
	s_nop 1
	ds_read_b128 v[6:9], v45 offset:4096
	ds_read_b128 v[10:13], v45 offset:4112
	s_waitcnt vmcnt(3) lgkmcnt(1)
	v_mfma_f32_16x16x16f16 v[2:5], v[30:31], v[6:7], v[2:5]
	v_mfma_f32_16x16x16f16 v[2:5], v[32:33], v[8:9], v[2:5]
	s_waitcnt vmcnt(2) lgkmcnt(0)
	v_mfma_f32_16x16x16f16 v[2:5], v[22:23], v[10:11], v[2:5]
	v_mfma_f32_16x16x16f16 v[2:5], v[24:25], v[12:13], v[2:5]
	ds_read_b128 v[6:9], v45 offset:6144
	ds_read_b128 v[10:13], v45 offset:6160
	s_waitcnt lgkmcnt(0)
	s_barrier
	s_waitcnt vmcnt(1)
	v_mfma_f32_16x16x16f16 v[2:5], v[26:27], v[6:7], v[2:5]
	v_mfma_f32_16x16x16f16 v[2:5], v[28:29], v[8:9], v[2:5]
	s_waitcnt vmcnt(0)
	v_mfma_f32_16x16x16f16 v[2:5], v[18:19], v[10:11], v[2:5]
	v_mfma_f32_16x16x16f16 v[2:5], v[20:21], v[12:13], v[2:5]
	s_nop 7
	s_nop 2
	v_cvt_f16_f32_e32 v2, v2
	v_cvt_f16_f32_e32 v3, v3
	v_cvt_f16_f32_e32 v4, v4
	v_cvt_f16_f32_e32 v5, v5
	v_pack_b32_f16 v2, v2, v3
	v_pack_b32_f16 v3, v4, v5
	ds_write_b64 v44, v[2:3]
	s_waitcnt lgkmcnt(0)
	s_barrier
	s_and_saveexec_b64 s[10:11], s[0:1]
	s_cbranch_execz .LBB67_21
; %bb.20:
	s_load_dwordx2 s[0:1], s[4:5], 0x68
	s_lshl_b32 s7, s8, 6
	s_mul_i32 s2, s9, s6
	s_mul_hi_u32 s5, s2, s7
	s_mul_i32 s4, s2, s7
	s_lshl_b64 s[4:5], s[4:5], 1
	s_waitcnt lgkmcnt(0)
	s_add_u32 s4, s0, s4
	s_addc_u32 s5, s1, s5
	s_lshl_b32 s2, s28, 6
	v_lshlrev_b32_e32 v2, 10, v0
	v_lshlrev_b32_e32 v0, 4, v0
	s_lshl_b64 s[0:1], s[2:3], 1
	v_and_b32_e32 v2, 0x1800, v2
	v_lshlrev_b32_e32 v3, 5, v1
	v_and_b32_e32 v0, 16, v0
	s_add_u32 s0, s4, s0
	v_or3_b32 v0, v2, v3, v0
	s_addc_u32 s1, s5, s1
	ds_read_b128 v[2:5], v0
	ds_read_b128 v[6:9], v0 offset:128
	ds_read_b128 v[10:13], v0 offset:256
	v_or_b32_e32 v14, s29, v1
	v_mov_b32_e32 v0, s1
	v_add_co_u32_e32 v15, vcc, s0, v42
	v_addc_co_u32_e32 v16, vcc, v0, v43, vcc
	v_mad_u64_u32 v[0:1], s[0:1], v14, s7, 0
	v_lshlrev_b64 v[0:1], 1, v[0:1]
	v_add_co_u32_e32 v0, vcc, v15, v0
	v_addc_co_u32_e32 v1, vcc, v16, v1, vcc
	s_waitcnt lgkmcnt(2)
	global_store_dwordx4 v[0:1], v[2:5], off
	v_add_u32_e32 v0, 4, v14
	v_mad_u64_u32 v[0:1], s[0:1], v0, s7, 0
	v_lshlrev_b64 v[0:1], 1, v[0:1]
	v_add_co_u32_e32 v0, vcc, v15, v0
	v_addc_co_u32_e32 v1, vcc, v16, v1, vcc
	s_waitcnt lgkmcnt(1)
	global_store_dwordx4 v[0:1], v[6:9], off
	v_add_u32_e32 v0, 8, v14
	v_mad_u64_u32 v[0:1], s[0:1], v0, s7, 0
	v_lshlrev_b64 v[0:1], 1, v[0:1]
	v_add_co_u32_e32 v0, vcc, v15, v0
	v_addc_co_u32_e32 v1, vcc, v16, v1, vcc
	s_waitcnt lgkmcnt(0)
	global_store_dwordx4 v[0:1], v[10:13], off
.LBB67_21:
	s_endpgm
	.section	.rodata,"a",@progbits
	.p2align	6, 0x0
	.amdhsa_kernel _Z39paged_attention_ll4mi_QKV_mfma16_kernelIDF16_DF16_LN4vllm18Fp8KVCacheDataTypeE0EDF16_Li32ELi64ELi256ELb1ELi12EL8MFMAType0EEvPKT_PKT0_S8_ifPKiSA_SA_iPKfiiiPfSD_PS3_PT2_iSC_SC_
		.amdhsa_group_segment_fixed_size 8192
		.amdhsa_private_segment_fixed_size 0
		.amdhsa_kernarg_size 400
		.amdhsa_user_sgpr_count 6
		.amdhsa_user_sgpr_private_segment_buffer 1
		.amdhsa_user_sgpr_dispatch_ptr 0
		.amdhsa_user_sgpr_queue_ptr 0
		.amdhsa_user_sgpr_kernarg_segment_ptr 1
		.amdhsa_user_sgpr_dispatch_id 0
		.amdhsa_user_sgpr_flat_scratch_init 0
		.amdhsa_user_sgpr_kernarg_preload_length 0
		.amdhsa_user_sgpr_kernarg_preload_offset 0
		.amdhsa_user_sgpr_private_segment_size 0
		.amdhsa_uses_dynamic_stack 0
		.amdhsa_system_sgpr_private_segment_wavefront_offset 0
		.amdhsa_system_sgpr_workgroup_id_x 1
		.amdhsa_system_sgpr_workgroup_id_y 1
		.amdhsa_system_sgpr_workgroup_id_z 1
		.amdhsa_system_sgpr_workgroup_info 0
		.amdhsa_system_vgpr_workitem_id 0
		.amdhsa_next_free_vgpr 66
		.amdhsa_next_free_sgpr 48
		.amdhsa_accum_offset 68
		.amdhsa_reserve_vcc 1
		.amdhsa_reserve_flat_scratch 0
		.amdhsa_float_round_mode_32 0
		.amdhsa_float_round_mode_16_64 0
		.amdhsa_float_denorm_mode_32 3
		.amdhsa_float_denorm_mode_16_64 3
		.amdhsa_dx10_clamp 1
		.amdhsa_ieee_mode 1
		.amdhsa_fp16_overflow 0
		.amdhsa_tg_split 0
		.amdhsa_exception_fp_ieee_invalid_op 0
		.amdhsa_exception_fp_denorm_src 0
		.amdhsa_exception_fp_ieee_div_zero 0
		.amdhsa_exception_fp_ieee_overflow 0
		.amdhsa_exception_fp_ieee_underflow 0
		.amdhsa_exception_fp_ieee_inexact 0
		.amdhsa_exception_int_div_zero 0
	.end_amdhsa_kernel
	.section	.text._Z39paged_attention_ll4mi_QKV_mfma16_kernelIDF16_DF16_LN4vllm18Fp8KVCacheDataTypeE0EDF16_Li32ELi64ELi256ELb1ELi12EL8MFMAType0EEvPKT_PKT0_S8_ifPKiSA_SA_iPKfiiiPfSD_PS3_PT2_iSC_SC_,"axG",@progbits,_Z39paged_attention_ll4mi_QKV_mfma16_kernelIDF16_DF16_LN4vllm18Fp8KVCacheDataTypeE0EDF16_Li32ELi64ELi256ELb1ELi12EL8MFMAType0EEvPKT_PKT0_S8_ifPKiSA_SA_iPKfiiiPfSD_PS3_PT2_iSC_SC_,comdat
.Lfunc_end67:
	.size	_Z39paged_attention_ll4mi_QKV_mfma16_kernelIDF16_DF16_LN4vllm18Fp8KVCacheDataTypeE0EDF16_Li32ELi64ELi256ELb1ELi12EL8MFMAType0EEvPKT_PKT0_S8_ifPKiSA_SA_iPKfiiiPfSD_PS3_PT2_iSC_SC_, .Lfunc_end67-_Z39paged_attention_ll4mi_QKV_mfma16_kernelIDF16_DF16_LN4vllm18Fp8KVCacheDataTypeE0EDF16_Li32ELi64ELi256ELb1ELi12EL8MFMAType0EEvPKT_PKT0_S8_ifPKiSA_SA_iPKfiiiPfSD_PS3_PT2_iSC_SC_
                                        ; -- End function
	.section	.AMDGPU.csdata,"",@progbits
; Kernel info:
; codeLenInByte = 4396
; NumSgprs: 52
; NumVgprs: 66
; NumAgprs: 0
; TotalNumVgprs: 66
; ScratchSize: 0
; MemoryBound: 0
; FloatMode: 240
; IeeeMode: 1
; LDSByteSize: 8192 bytes/workgroup (compile time only)
; SGPRBlocks: 6
; VGPRBlocks: 8
; NumSGPRsForWavesPerEU: 52
; NumVGPRsForWavesPerEU: 66
; AccumOffset: 68
; Occupancy: 7
; WaveLimiterHint : 1
; COMPUTE_PGM_RSRC2:SCRATCH_EN: 0
; COMPUTE_PGM_RSRC2:USER_SGPR: 6
; COMPUTE_PGM_RSRC2:TRAP_HANDLER: 0
; COMPUTE_PGM_RSRC2:TGID_X_EN: 1
; COMPUTE_PGM_RSRC2:TGID_Y_EN: 1
; COMPUTE_PGM_RSRC2:TGID_Z_EN: 1
; COMPUTE_PGM_RSRC2:TIDIG_COMP_CNT: 0
; COMPUTE_PGM_RSRC3_GFX90A:ACCUM_OFFSET: 16
; COMPUTE_PGM_RSRC3_GFX90A:TG_SPLIT: 0
	.section	.text._Z39paged_attention_ll4mi_QKV_mfma16_kernelIDF16_DF16_LN4vllm18Fp8KVCacheDataTypeE0EDF16_Li32ELi64ELi256ELb1ELi13EL8MFMAType0EEvPKT_PKT0_S8_ifPKiSA_SA_iPKfiiiPfSD_PS3_PT2_iSC_SC_,"axG",@progbits,_Z39paged_attention_ll4mi_QKV_mfma16_kernelIDF16_DF16_LN4vllm18Fp8KVCacheDataTypeE0EDF16_Li32ELi64ELi256ELb1ELi13EL8MFMAType0EEvPKT_PKT0_S8_ifPKiSA_SA_iPKfiiiPfSD_PS3_PT2_iSC_SC_,comdat
	.protected	_Z39paged_attention_ll4mi_QKV_mfma16_kernelIDF16_DF16_LN4vllm18Fp8KVCacheDataTypeE0EDF16_Li32ELi64ELi256ELb1ELi13EL8MFMAType0EEvPKT_PKT0_S8_ifPKiSA_SA_iPKfiiiPfSD_PS3_PT2_iSC_SC_ ; -- Begin function _Z39paged_attention_ll4mi_QKV_mfma16_kernelIDF16_DF16_LN4vllm18Fp8KVCacheDataTypeE0EDF16_Li32ELi64ELi256ELb1ELi13EL8MFMAType0EEvPKT_PKT0_S8_ifPKiSA_SA_iPKfiiiPfSD_PS3_PT2_iSC_SC_
	.globl	_Z39paged_attention_ll4mi_QKV_mfma16_kernelIDF16_DF16_LN4vllm18Fp8KVCacheDataTypeE0EDF16_Li32ELi64ELi256ELb1ELi13EL8MFMAType0EEvPKT_PKT0_S8_ifPKiSA_SA_iPKfiiiPfSD_PS3_PT2_iSC_SC_
	.p2align	8
	.type	_Z39paged_attention_ll4mi_QKV_mfma16_kernelIDF16_DF16_LN4vllm18Fp8KVCacheDataTypeE0EDF16_Li32ELi64ELi256ELb1ELi13EL8MFMAType0EEvPKT_PKT0_S8_ifPKiSA_SA_iPKfiiiPfSD_PS3_PT2_iSC_SC_,@function
_Z39paged_attention_ll4mi_QKV_mfma16_kernelIDF16_DF16_LN4vllm18Fp8KVCacheDataTypeE0EDF16_Li32ELi64ELi256ELb1ELi13EL8MFMAType0EEvPKT_PKT0_S8_ifPKiSA_SA_iPKfiiiPfSD_PS3_PT2_iSC_SC_: ; @_Z39paged_attention_ll4mi_QKV_mfma16_kernelIDF16_DF16_LN4vllm18Fp8KVCacheDataTypeE0EDF16_Li32ELi64ELi256ELb1ELi13EL8MFMAType0EEvPKT_PKT0_S8_ifPKiSA_SA_iPKfiiiPfSD_PS3_PT2_iSC_SC_
; %bb.0:
	s_load_dwordx2 s[0:1], s[4:5], 0x30
	s_mov_b32 s28, s7
	s_mov_b64 s[10:11], 0
	s_waitcnt lgkmcnt(0)
	s_cmp_lg_u64 s[0:1], 0
	s_cselect_b64 s[2:3], -1, 0
	s_and_b64 vcc, exec, s[2:3]
	s_cbranch_vccz .LBB68_7
; %bb.1:
	s_add_i32 s12, s6, 1
	s_mov_b32 s13, 0
	s_lshl_b64 s[14:15], s[12:13], 2
	s_add_u32 s14, s0, s14
	s_mov_b32 s7, s13
	s_addc_u32 s15, s1, s15
	s_lshl_b64 s[12:13], s[6:7], 2
	s_add_u32 s12, s0, s12
	s_addc_u32 s13, s1, s13
	s_load_dword s9, s[14:15], 0x0
	s_load_dword s16, s[12:13], 0x0
	s_waitcnt lgkmcnt(0)
	s_sub_i32 s9, s9, s16
	s_cmp_eq_u32 s9, 1
	s_cselect_b64 s[12:13], -1, 0
	s_andn2_b64 vcc, exec, s[10:11]
	s_cbranch_vccnz .LBB68_3
.LBB68_2:
	s_mov_b32 s7, 0
	s_mov_b64 s[12:13], -1
.LBB68_3:
	s_andn2_b64 vcc, exec, s[12:13]
	s_cbranch_vccnz .LBB68_22
; %bb.4:
	s_load_dwordx2 s[12:13], s[4:5], 0x28
	s_lshl_b64 s[10:11], s[6:7], 2
	s_waitcnt lgkmcnt(0)
	s_add_u32 s12, s12, s10
	s_addc_u32 s13, s13, s11
	s_load_dword s33, s[12:13], 0x0
	s_lshl_b32 s14, s28, 8
	s_waitcnt lgkmcnt(0)
	s_cmp_ge_i32 s14, s33
	s_cbranch_scc1 .LBB68_22
; %bb.5:
	s_add_i32 s15, s33, 31
	s_load_dwordx2 s[12:13], s[4:5], 0x20
	s_load_dword s9, s[4:5], 0x38
	s_ashr_i32 s16, s15, 31
	v_and_b32_e32 v1, 0xcf, v0
	s_lshr_b32 s16, s16, 27
	v_add_u32_e32 v1, s14, v1
	s_add_i32 s15, s15, s16
	v_ashrrev_i32_e32 v2, 31, v1
	s_ashr_i32 s17, s15, 5
	v_lshrrev_b32_e32 v6, 27, v2
	s_add_i32 s17, s17, -1
	v_add_u32_e32 v2, v1, v6
	s_waitcnt lgkmcnt(0)
	s_mul_i32 s18, s6, s9
	s_mov_b32 s19, 0
	v_ashrrev_i32_e32 v2, 5, v2
	v_mov_b32_e32 v7, s17
	v_cmp_gt_i32_e32 vcc, s33, v1
	s_lshl_b64 s[18:19], s[18:19], 2
	v_cndmask_b32_e32 v2, v7, v2, vcc
	s_add_u32 s15, s12, s18
	v_ashrrev_i32_e32 v3, 31, v2
	s_addc_u32 s16, s13, s19
	v_lshlrev_b64 v[2:3], 2, v[2:3]
	v_mov_b32_e32 v4, s16
	v_add_co_u32_e32 v2, vcc, s15, v2
	v_addc_co_u32_e32 v3, vcc, v4, v3, vcc
	v_or_b32_e32 v4, 16, v1
	v_add_u32_e32 v5, v4, v6
	v_ashrrev_i32_e32 v5, 5, v5
	v_cmp_gt_i32_e32 vcc, s33, v4
	v_cndmask_b32_e32 v4, v7, v5, vcc
	v_ashrrev_i32_e32 v5, 31, v4
	v_lshlrev_b64 v[4:5], 2, v[4:5]
	v_mov_b32_e32 v9, s16
	v_add_co_u32_e32 v8, vcc, s15, v4
	v_or_b32_e32 v4, 32, v1
	v_addc_co_u32_e32 v9, vcc, v9, v5, vcc
	v_add_u32_e32 v5, v4, v6
	v_ashrrev_i32_e32 v5, 5, v5
	v_cmp_gt_i32_e32 vcc, s33, v4
	v_cndmask_b32_e32 v4, v7, v5, vcc
	v_ashrrev_i32_e32 v5, 31, v4
	v_lshlrev_b64 v[4:5], 2, v[4:5]
	v_mov_b32_e32 v11, s16
	v_add_co_u32_e32 v10, vcc, s15, v4
	v_or_b32_e32 v1, 48, v1
	v_addc_co_u32_e32 v11, vcc, v11, v5, vcc
	v_add_u32_e32 v4, v1, v6
	v_ashrrev_i32_e32 v4, 5, v4
	v_cmp_gt_i32_e32 vcc, s33, v1
	v_cndmask_b32_e32 v4, v7, v4, vcc
	v_ashrrev_i32_e32 v5, 31, v4
	v_lshlrev_b64 v[4:5], 2, v[4:5]
	v_mov_b32_e32 v1, s16
	v_add_co_u32_e32 v12, vcc, s15, v4
	v_addc_co_u32_e32 v13, vcc, v1, v5, vcc
	global_load_dword v7, v[2:3], off
	global_load_dword v6, v[8:9], off
	;; [unrolled: 1-line block ×4, first 2 shown]
	s_andn2_b64 vcc, exec, s[2:3]
	s_cbranch_vccnz .LBB68_8
; %bb.6:
	s_add_u32 s0, s0, s10
	s_addc_u32 s1, s1, s11
	s_load_dword s9, s[0:1], 0x0
	s_branch .LBB68_9
.LBB68_7:
	s_mov_b64 s[12:13], 0
	s_branch .LBB68_2
.LBB68_8:
	s_mov_b32 s9, s6
.LBB68_9:
	s_load_dwordx2 s[10:11], s[4:5], 0x8
	s_load_dwordx4 s[44:47], s[4:5], 0x48
	v_lshrrev_b32_e32 v53, 6, v0
	v_bfe_u32 v1, v0, 4, 2
	v_lshl_or_b32 v8, v53, 2, v1
	v_and_b32_e32 v52, 15, v0
	v_cmp_lt_u32_e32 vcc, 12, v8
	v_cmp_lt_u32_e64 s[2:3], 7, v52
	v_lshlrev_b32_e32 v2, 3, v52
	v_cmp_gt_u32_e64 s[0:1], 8, v52
	s_or_b64 s[2:3], s[2:3], vcc
	s_and_saveexec_b64 s[12:13], s[2:3]
	s_xor_b64 s[2:3], exec, s[12:13]
; %bb.10:
	v_mov_b32_e32 v3, 0
                                        ; implicit-def: $vgpr8
; %bb.11:
	s_or_saveexec_b64 s[12:13], s[2:3]
	s_load_dwordx2 s[2:3], s[4:5], 0x10
	s_mul_i32 s29, s8, 13
	s_xor_b64 exec, exec, s[12:13]
	s_cbranch_execz .LBB68_13
; %bb.12:
	s_load_dwordx2 s[18:19], s[4:5], 0x0
	s_waitcnt lgkmcnt(0)
	s_ashr_i32 s20, s44, 31
	s_mul_hi_u32 s21, s9, s44
	s_mul_i32 s20, s9, s20
	s_add_i32 s21, s21, s20
	s_mul_i32 s20, s9, s44
	s_lshl_b64 s[20:21], s[20:21], 1
	v_add_lshl_u32 v10, v8, s29, 6
	s_add_u32 s9, s18, s20
	v_ashrrev_i32_e32 v11, 31, v10
	s_addc_u32 s18, s19, s21
	v_lshlrev_b64 v[10:11], 1, v[10:11]
	v_mov_b32_e32 v3, s18
	v_add_co_u32_e32 v9, vcc, s9, v10
	v_addc_co_u32_e32 v3, vcc, v3, v11, vcc
	v_lshlrev_b32_e32 v10, 1, v2
	v_add_co_u32_e32 v10, vcc, v9, v10
	v_addc_co_u32_e32 v11, vcc, 0, v3, vcc
	global_load_dwordx4 v[10:13], v[10:11], off
	v_and_b32_e32 v9, 3, v0
	v_lshlrev_b32_e32 v14, 9, v52
	v_lshlrev_b32_e32 v8, 5, v8
	;; [unrolled: 1-line block ×3, first 2 shown]
	v_and_b32_e32 v14, 0x1800, v14
	v_mov_b32_e32 v3, 0
	v_or3_b32 v8, v14, v9, v8
	s_waitcnt vmcnt(0)
	ds_write_b128 v8, v[10:13]
.LBB68_13:
	s_or_b64 exec, exec, s[12:13]
	s_waitcnt lgkmcnt(0)
	s_mul_i32 s8, s8, s46
	s_mov_b32 s9, 0
	s_lshl_b64 s[8:9], s[8:9], 1
	s_add_u32 s12, s10, s8
	s_addc_u32 s13, s11, s9
	s_waitcnt vmcnt(3)
	v_mad_i64_i32 v[8:9], s[10:11], v7, s45, 0
	v_lshlrev_b64 v[8:9], 1, v[8:9]
	v_mov_b32_e32 v7, s13
	v_add_co_u32_e32 v8, vcc, s12, v8
	v_addc_co_u32_e32 v7, vcc, v7, v9, vcc
	v_lshlrev_b64 v[42:43], 1, v[2:3]
	v_add_co_u32_e32 v2, vcc, v8, v42
	v_lshlrev_b32_e32 v24, 9, v1
	v_addc_co_u32_e32 v3, vcc, v7, v43, vcc
	v_add_co_u32_e32 v2, vcc, v2, v24
	v_addc_co_u32_e32 v3, vcc, 0, v3, vcc
	s_barrier
	global_load_dwordx4 v[38:41], v[2:3], off
	global_load_dwordx4 v[34:37], v[2:3], off offset:2048
	s_waitcnt vmcnt(4)
	v_mad_i64_i32 v[2:3], s[10:11], v6, s45, 0
	v_lshlrev_b64 v[2:3], 1, v[2:3]
	v_mov_b32_e32 v6, s13
	v_add_co_u32_e32 v2, vcc, s12, v2
	v_addc_co_u32_e32 v3, vcc, v6, v3, vcc
	v_mov_b32_e32 v6, 0x100
	v_lshl_or_b32 v18, v52, 4, v6
	v_add_co_u32_e32 v2, vcc, v2, v18
	v_addc_co_u32_e32 v3, vcc, 0, v3, vcc
	v_add_co_u32_e32 v2, vcc, v2, v24
	v_addc_co_u32_e32 v3, vcc, 0, v3, vcc
	global_load_dwordx4 v[30:33], v[2:3], off
	global_load_dwordx4 v[14:17], v[2:3], off offset:2048
	s_waitcnt vmcnt(5)
	v_mad_i64_i32 v[2:3], s[10:11], v5, s45, 0
	v_lshlrev_b64 v[2:3], 1, v[2:3]
	v_mov_b32_e32 v5, s13
	v_add_co_u32_e32 v2, vcc, s12, v2
	v_addc_co_u32_e32 v3, vcc, v5, v3, vcc
	v_add_co_u32_e32 v2, vcc, v2, v42
	v_addc_co_u32_e32 v3, vcc, v3, v43, vcc
	;; [unrolled: 2-line block ×3, first 2 shown]
	global_load_dwordx4 v[10:13], v[2:3], off
	global_load_dwordx4 v[6:9], v[2:3], off offset:2048
	s_waitcnt vmcnt(6)
	v_mad_i64_i32 v[2:3], s[10:11], v4, s45, 0
	v_lshlrev_b64 v[2:3], 1, v[2:3]
	v_mov_b32_e32 v4, s13
	v_add_co_u32_e32 v2, vcc, s12, v2
	v_addc_co_u32_e32 v3, vcc, v4, v3, vcc
	v_add_co_u32_e32 v2, vcc, v2, v18
	v_addc_co_u32_e32 v3, vcc, 0, v3, vcc
	;; [unrolled: 2-line block ×3, first 2 shown]
	global_load_dwordx4 v[2:5], v[22:23], off
	global_load_dwordx4 v[18:21], v[22:23], off offset:2048
	v_add_u32_e32 v22, -13, v52
	v_cmp_gt_u32_e32 vcc, 13, v52
	v_cndmask_b32_e32 v22, v22, v52, vcc
	v_lshl_add_u32 v22, v22, 5, v24
	ds_read_b128 v[26:29], v22
	ds_read_b128 v[22:25], v22 offset:2048
	v_and_b32_e32 v54, 63, v0
	v_mov_b32_e32 v50, 0
	s_and_saveexec_b64 s[10:11], vcc
	s_cbranch_execz .LBB68_15
; %bb.14:
	s_load_dwordx2 s[12:13], s[4:5], 0x40
	v_add_u32_e32 v44, s29, v52
	v_ashrrev_i32_e32 v45, 31, v44
	v_lshlrev_b64 v[44:45], 2, v[44:45]
	s_waitcnt lgkmcnt(0)
	v_mov_b32_e32 v46, s13
	v_add_co_u32_e32 v44, vcc, s12, v44
	v_addc_co_u32_e32 v45, vcc, v46, v45, vcc
	global_load_dword v50, v[44:45], off
.LBB68_15:
	s_or_b64 exec, exec, s[10:11]
	s_waitcnt vmcnt(7) lgkmcnt(1)
	v_mfma_f32_16x16x16f16 v[44:47], v[38:39], v[26:27], 0
	s_ashr_i32 s10, s14, 31
	s_lshr_b32 s11, s10, 27
	v_mov_b32_e32 v49, s16
	s_add_u32 s2, s2, s8
	s_addc_u32 s3, s3, s9
	s_load_dword s10, s[4:5], 0x1c
	s_mov_b32 s42, 0xff7fffff
	v_mfma_f32_16x16x16f16 v[38:41], v[40:41], v[28:29], v[44:47]
	s_waitcnt vmcnt(6) lgkmcnt(0)
	v_mfma_f32_16x16x16f16 v[38:41], v[34:35], v[22:23], v[38:41]
	s_nop 4
	v_and_or_b32 v46, v0, 48, s14
	v_add_u32_e32 v34, s11, v46
	v_ashrrev_i32_e32 v34, 5, v34
	v_mov_b32_e32 v47, s17
	v_cmp_gt_i32_e32 vcc, s33, v46
	v_cndmask_b32_e32 v34, v47, v34, vcc
	v_ashrrev_i32_e32 v35, 31, v34
	v_lshlrev_b64 v[44:45], 2, v[34:35]
	v_mfma_f32_16x16x16f16 v[34:37], v[36:37], v[24:25], v[38:41]
	s_nop 6
	v_mov_b32_e32 v39, s16
	v_add_co_u32_e32 v38, vcc, s15, v44
	v_addc_co_u32_e32 v39, vcc, v39, v45, vcc
	global_load_dword v48, v[38:39], off
	s_waitcnt vmcnt(6)
	v_mfma_f32_16x16x16f16 v[38:41], v[30:31], v[26:27], 0
	v_or_b32_e32 v44, 64, v46
	v_add_u32_e32 v30, s11, v44
	v_ashrrev_i32_e32 v30, 5, v30
	v_cmp_gt_i32_e32 vcc, s33, v44
	v_cndmask_b32_e32 v30, v47, v30, vcc
	v_ashrrev_i32_e32 v31, 31, v30
	v_lshlrev_b64 v[44:45], 2, v[30:31]
	v_mfma_f32_16x16x16f16 v[30:33], v[32:33], v[28:29], v[38:41]
	s_nop 6
	v_add_co_u32_e32 v38, vcc, s15, v44
	v_addc_co_u32_e32 v39, vcc, v49, v45, vcc
	global_load_dword v40, v[38:39], off
	v_or_b32_e32 v38, 0x80, v46
	v_add_u32_e32 v39, s11, v38
	v_ashrrev_i32_e32 v39, 5, v39
	v_cmp_gt_i32_e32 vcc, s33, v38
	v_cndmask_b32_e32 v38, v47, v39, vcc
	v_ashrrev_i32_e32 v39, 31, v38
	s_waitcnt vmcnt(6)
	v_mfma_f32_16x16x16f16 v[30:33], v[14:15], v[22:23], v[30:33]
	v_lshlrev_b64 v[14:15], 2, v[38:39]
	v_mov_b32_e32 v38, s16
	v_add_co_u32_e32 v14, vcc, s15, v14
	v_addc_co_u32_e32 v15, vcc, v38, v15, vcc
	global_load_dword v41, v[14:15], off
	v_mfma_f32_16x16x16f16 v[30:33], v[16:17], v[24:25], v[30:33]
	v_or_b32_e32 v38, 0xc0, v46
	v_cmp_gt_i32_e32 vcc, s33, v38
	v_mov_b32_e32 v44, s16
	s_waitcnt vmcnt(6)
	v_mfma_f32_16x16x16f16 v[14:17], v[10:11], v[26:27], 0
	v_add_u32_e32 v10, s11, v38
	v_ashrrev_i32_e32 v10, 5, v10
	v_cndmask_b32_e32 v10, v47, v10, vcc
	v_ashrrev_i32_e32 v11, 31, v10
	v_lshlrev_b64 v[38:39], 2, v[10:11]
	s_nop 0
	v_pk_mul_f32 v[46:47], s[10:11], v[30:31] op_sel_hi:[0,1]
	v_mfma_f32_16x16x16f16 v[10:13], v[12:13], v[28:29], v[14:17]
	s_nop 6
	v_add_co_u32_e32 v14, vcc, s15, v38
	s_waitcnt vmcnt(5)
	v_mfma_f32_16x16x16f16 v[10:13], v[6:7], v[22:23], v[10:13]
	v_addc_co_u32_e32 v15, vcc, v44, v39, vcc
	global_load_dword v51, v[14:15], off
	v_and_b32_e32 v14, 16, v0
	v_lshlrev_b32_e32 v14, 1, v14
	v_mov_b32_e32 v6, s3
	v_add_co_u32_e32 v7, vcc, s2, v14
	v_lshlrev_b32_e32 v14, 6, v52
	v_addc_co_u32_e32 v6, vcc, 0, v6, vcc
	v_lshl_or_b32 v14, v53, 10, v14
	v_add_co_u32_e32 v55, vcc, v7, v14
	v_addc_co_u32_e32 v60, vcc, 0, v6, vcc
	v_mfma_f32_16x16x16f16 v[56:59], v[8:9], v[24:25], v[10:13]
	s_waitcnt vmcnt(3)
	v_mad_i64_i32 v[6:7], s[2:3], v48, s45, 0
	v_pk_mul_f32 v[48:49], s[10:11], v[36:37] op_sel_hi:[0,1]
	v_pk_mul_f32 v[44:45], s[10:11], v[32:33] op_sel_hi:[0,1]
	s_waitcnt vmcnt(1)
	v_mad_i64_i32 v[38:39], s[2:3], v41, s45, 0
	s_nop 0
	v_lshlrev_b64 v[10:11], 1, v[6:7]
	v_mfma_f32_16x16x16f16 v[6:9], v[2:3], v[26:27], 0
	v_add_co_u32_e32 v2, vcc, v55, v10
	v_addc_co_u32_e32 v3, vcc, v60, v11, vcc
	global_load_dwordx4 v[14:17], v[2:3], off
	global_load_dwordx4 v[10:13], v[2:3], off offset:16
	v_mad_i64_i32 v[2:3], s[2:3], v40, s45, 0
	v_mfma_f32_16x16x16f16 v[26:29], v[4:5], v[28:29], v[6:9]
	v_lshlrev_b64 v[2:3], 1, v[2:3]
	v_add_co_u32_e32 v2, vcc, v55, v2
	v_addc_co_u32_e32 v3, vcc, v60, v3, vcc
	v_lshlrev_b64 v[38:39], 1, v[38:39]
	v_pk_mul_f32 v[40:41], s[10:11], v[56:57] op_sel_hi:[0,1]
	v_mfma_f32_16x16x16f16 v[26:29], v[18:19], v[22:23], v[26:29]
	v_pk_mul_f32 v[18:19], s[10:11], v[34:35] op_sel_hi:[0,1]
	v_add_co_u32_e32 v22, vcc, v55, v38
	v_addc_co_u32_e32 v23, vcc, v60, v39, vcc
	v_pk_mul_f32 v[38:39], s[10:11], v[58:59] op_sel_hi:[0,1]
	global_load_dwordx4 v[6:9], v[2:3], off
	s_nop 0
	global_load_dwordx4 v[2:5], v[2:3], off offset:16
	v_mfma_f32_16x16x16f16 v[24:27], v[20:21], v[24:25], v[26:29]
	v_and_b32_e32 v20, 0xc0, v0
	v_add_u32_e32 v20, s14, v20
	v_lshl_or_b32 v20, v1, 2, v20
	v_or_b32_e32 v21, 1, v20
	v_cmp_gt_i32_e64 s[30:31], s33, v20
	v_cmp_gt_i32_e64 s[34:35], s33, v21
	s_nop 4
	v_pk_mul_f32 v[36:37], s[10:11], v[24:25] op_sel_hi:[0,1]
	v_subrev_u32_e32 v24, s33, v21
	v_pk_mul_f32 v[34:35], s[10:11], v[26:27] op_sel_hi:[0,1]
	v_add_u32_e32 v26, 1, v24
	v_add_u32_e32 v27, 2, v24
	v_cvt_f32_i32_e32 v25, v24
	v_cvt_f32_i32_e32 v26, v26
	;; [unrolled: 1-line block ×3, first 2 shown]
	v_add_u32_e32 v28, 3, v24
	v_fma_f32 v18, v50, v25, v18
	v_fmac_f32_e32 v19, v50, v26
	v_fma_f32 v48, v50, v27, v48
	v_add_u32_e32 v25, 16, v24
	v_add_u32_e32 v26, 17, v24
	;; [unrolled: 1-line block ×3, first 2 shown]
	v_cvt_f32_i32_e32 v28, v28
	v_cvt_f32_i32_e32 v25, v25
	;; [unrolled: 1-line block ×4, first 2 shown]
	v_fmac_f32_e32 v49, v50, v28
	v_add_u32_e32 v28, 19, v24
	v_fma_f32 v46, v50, v25, v46
	v_fmac_f32_e32 v47, v50, v26
	v_fma_f32 v44, v50, v27, v44
	v_add_u32_e32 v25, 32, v24
	v_add_u32_e32 v26, 33, v24
	;; [unrolled: 1-line block ×3, first 2 shown]
	v_cvt_f32_i32_e32 v28, v28
	v_cvt_f32_i32_e32 v25, v25
	;; [unrolled: 1-line block ×4, first 2 shown]
	v_fmac_f32_e32 v45, v50, v28
	v_add_u32_e32 v28, 35, v24
	v_fma_f32 v40, v50, v25, v40
	v_fmac_f32_e32 v41, v50, v26
	v_fma_f32 v38, v50, v27, v38
	v_add_u32_e32 v25, 48, v24
	v_add_u32_e32 v26, 49, v24
	;; [unrolled: 1-line block ×4, first 2 shown]
	v_cvt_f32_i32_e32 v24, v24
	v_cvt_f32_i32_e32 v25, v25
	;; [unrolled: 1-line block ×4, first 2 shown]
	v_fmac_f32_e32 v35, v50, v24
	v_mov_b32_e32 v24, 0xff7fffff
	v_fma_f32 v36, v50, v25, v36
	v_cndmask_b32_e64 v25, v24, v18, s[30:31]
	v_cndmask_b32_e64 v21, v24, v19, s[34:35]
	v_fmac_f32_e32 v37, v50, v26
	v_max3_f32 v21, v25, s42, v21
	v_or_b32_e32 v25, 2, v20
	v_or_b32_e32 v26, 3, v20
	v_cmp_gt_i32_e64 s[36:37], s33, v25
	v_cmp_gt_i32_e64 s[38:39], s33, v26
	v_cndmask_b32_e64 v25, v24, v48, s[36:37]
	v_cndmask_b32_e64 v26, v24, v49, s[38:39]
	v_max3_f32 v21, v21, v25, v26
	v_or_b32_e32 v25, 16, v20
	v_or_b32_e32 v26, 17, v20
	v_cmp_gt_i32_e64 s[24:25], s33, v25
	v_cmp_gt_i32_e64 s[26:27], s33, v26
	v_cndmask_b32_e64 v25, v24, v46, s[24:25]
	v_cndmask_b32_e64 v26, v24, v47, s[26:27]
	;; [unrolled: 7-line block ×4, first 2 shown]
	v_max3_f32 v21, v21, v25, v26
	v_or_b32_e32 v25, 34, v20
	v_or_b32_e32 v26, 35, v20
	v_fmac_f32_e32 v39, v50, v28
	v_cmp_gt_i32_e64 s[12:13], s33, v25
	v_cmp_gt_i32_e64 s[14:15], s33, v26
	v_cndmask_b32_e64 v25, v24, v38, s[12:13]
	v_cndmask_b32_e64 v26, v24, v39, s[14:15]
	v_cvt_f32_i32_e32 v27, v27
	v_max3_f32 v21, v21, v25, v26
	v_or_b32_e32 v25, 48, v20
	v_or_b32_e32 v26, 49, v20
	v_cmp_gt_i32_e64 s[8:9], s33, v25
	v_cmp_gt_i32_e64 s[10:11], s33, v26
	v_cndmask_b32_e64 v25, v24, v36, s[8:9]
	v_cndmask_b32_e64 v26, v24, v37, s[10:11]
	v_max3_f32 v21, v21, v25, v26
	v_or_b32_e32 v25, 50, v20
	v_or_b32_e32 v20, 51, v20
	v_fma_f32 v34, v50, v27, v34
	v_cmp_gt_i32_e32 vcc, s33, v25
	v_cmp_gt_i32_e64 s[2:3], s33, v20
	v_cndmask_b32_e32 v25, v24, v34, vcc
	v_cndmask_b32_e64 v20, v24, v35, s[2:3]
	v_max3_f32 v26, v21, v25, v20
	v_mbcnt_lo_u32_b32 v20, -1, 0
	v_mbcnt_hi_u32_b32 v27, -1, v20
	v_and_b32_e32 v20, 64, v27
	v_add_u32_e32 v28, 64, v20
	v_xor_b32_e32 v20, 32, v27
	v_cmp_lt_i32_e64 s[40:41], v20, v28
	v_cndmask_b32_e64 v20, v27, v20, s[40:41]
	v_lshlrev_b32_e32 v56, 2, v20
	ds_bpermute_b32 v29, v56, v26
	s_waitcnt vmcnt(4)
	v_mad_i64_i32 v[20:21], s[40:41], v51, s45, 0
	v_lshlrev_b64 v[20:21], 1, v[20:21]
	global_load_dwordx4 v[30:33], v[22:23], off
	s_nop 0
	global_load_dwordx4 v[22:25], v[22:23], off offset:16
	s_waitcnt lgkmcnt(0)
	v_max_f32_e32 v29, v29, v29
	v_max_f32_e32 v26, v26, v29
	v_xor_b32_e32 v29, 16, v27
	v_cmp_lt_i32_e64 s[40:41], v29, v28
	v_cndmask_b32_e64 v27, v27, v29, s[40:41]
	v_lshlrev_b32_e32 v58, 2, v27
	ds_bpermute_b32 v27, v58, v26
	v_add_co_u32_e64 v20, s[40:41], v55, v20
	v_addc_co_u32_e64 v21, s[40:41], v60, v21, s[40:41]
	s_waitcnt lgkmcnt(0)
	v_max_f32_e32 v27, v27, v27
	v_max_f32_e32 v55, v26, v27
	v_sub_f32_e32 v18, v18, v55
	v_mul_f32_e32 v18, 0x3fb8aa3b, v18
	v_exp_f32_e32 v50, v18
	v_sub_f32_e32 v18, v19, v55
	v_mul_f32_e32 v18, 0x3fb8aa3b, v18
	v_exp_f32_e32 v51, v18
	global_load_dwordx4 v[26:29], v[20:21], off
	s_nop 0
	global_load_dwordx4 v[18:21], v[20:21], off offset:16
	v_sub_f32_e32 v48, v48, v55
	v_mul_f32_e32 v48, 0x3fb8aa3b, v48
	v_sub_f32_e32 v49, v49, v55
	v_exp_f32_e32 v48, v48
	v_mul_f32_e32 v49, 0x3fb8aa3b, v49
	v_sub_f32_e32 v46, v46, v55
	v_exp_f32_e32 v49, v49
	v_mul_f32_e32 v46, 0x3fb8aa3b, v46
	v_sub_f32_e32 v47, v47, v55
	v_cndmask_b32_e64 v50, 0, v50, s[30:31]
	v_exp_f32_e32 v46, v46
	v_mul_f32_e32 v47, 0x3fb8aa3b, v47
	v_sub_f32_e32 v44, v44, v55
	v_add_f32_e32 v57, 0, v50
	v_cndmask_b32_e64 v51, 0, v51, s[34:35]
	v_exp_f32_e32 v47, v47
	v_mul_f32_e32 v44, 0x3fb8aa3b, v44
	v_sub_f32_e32 v45, v45, v55
	v_add_f32_e32 v57, v57, v51
	;; [unrolled: 5-line block ×10, first 2 shown]
	v_cndmask_b32_e64 v38, 0, v38, s[12:13]
	v_exp_f32_e32 v34, v34
	v_mul_f32_e32 v35, 0x3fb8aa3b, v35
	v_add_f32_e32 v57, v57, v38
	v_cndmask_b32_e64 v39, 0, v39, s[14:15]
	v_exp_f32_e32 v35, v35
	v_add_f32_e32 v57, v57, v39
	v_cndmask_b32_e64 v36, 0, v36, s[8:9]
	v_add_f32_e32 v57, v57, v36
	v_cndmask_b32_e64 v37, 0, v37, s[10:11]
	v_add_f32_e32 v57, v57, v37
	v_cndmask_b32_e32 v34, 0, v34, vcc
	v_add_f32_e32 v57, v57, v34
	v_cndmask_b32_e64 v35, 0, v35, s[2:3]
	v_add_f32_e32 v57, v57, v35
	ds_bpermute_b32 v56, v56, v57
	s_load_dword s11, s[4:5], 0x98
	v_cmp_gt_u32_e64 s[2:3], 16, v54
	s_waitcnt lgkmcnt(0)
	s_barrier
	v_add_f32_e32 v57, v57, v56
	ds_bpermute_b32 v58, v58, v57
	v_lshlrev_b32_e32 v56, 2, v52
	s_waitcnt lgkmcnt(0)
	s_and_saveexec_b64 s[8:9], s[2:3]
	s_cbranch_execz .LBB68_17
; %bb.16:
	v_add_f32_e32 v54, v57, v58
	v_lshl_or_b32 v57, v53, 6, v56
	ds_write2st64_b32 v57, v55, v54 offset1:1
.LBB68_17:
	s_or_b64 exec, exec, s[8:9]
	s_load_dword s10, s[4:5], 0x94
	s_waitcnt lgkmcnt(0)
	s_barrier
	ds_read2_b32 v[58:59], v56 offset1:16
	ds_read2_b32 v[60:61], v56 offset0:32 offset1:48
	ds_read2_b32 v[62:63], v56 offset0:64 offset1:80
	;; [unrolled: 1-line block ×3, first 2 shown]
	s_waitcnt lgkmcnt(0)
	v_max3_f32 v54, v58, s42, v59
	v_max3_f32 v54, v54, v60, v61
	v_sub_f32_e32 v55, v58, v54
	v_mul_f32_e32 v55, 0x3fb8aa3b, v55
	v_exp_f32_e32 v58, v55
	v_sub_f32_e32 v55, v59, v54
	v_mul_f32_e32 v55, 0x3fb8aa3b, v55
	v_exp_f32_e32 v59, v55
	;; [unrolled: 3-line block ×4, first 2 shown]
	v_fma_f32 v55, v58, v62, 0
	v_fmac_f32_e32 v55, v59, v63
	v_fmac_f32_e32 v55, v60, v56
	;; [unrolled: 1-line block ×3, first 2 shown]
	v_add_f32_e32 v56, 0x358637bd, v55
	v_div_scale_f32 v57, s[8:9], v56, v56, 1.0
	v_rcp_f32_e32 v62, v57
	s_barrier
	s_mul_i32 s11, s11, 13
	v_fma_f32 v63, -v57, v62, 1.0
	v_fmac_f32_e32 v62, v63, v62
	v_div_scale_f32 v63, vcc, 1.0, v56, 1.0
	v_mul_f32_e32 v64, v63, v62
	v_fma_f32 v65, -v57, v64, v63
	v_fmac_f32_e32 v64, v65, v62
	v_fma_f32 v57, -v57, v64, v63
	v_div_fmas_f32 v57, v57, v62, v64
	v_cmp_eq_u32_e32 vcc, 1, v53
	v_div_fixup_f32 v56, v57, v56, 1.0
	v_cndmask_b32_e32 v57, v58, v59, vcc
	v_cmp_eq_u32_e32 vcc, 2, v53
	v_cndmask_b32_e32 v57, v57, v60, vcc
	v_cmp_eq_u32_e32 vcc, 3, v53
	v_cndmask_b32_e32 v57, v57, v61, vcc
	v_mul_f32_e32 v56, v57, v56
	v_pk_mul_f32 v[48:49], v[56:57], v[48:49] op_sel_hi:[0,1]
	v_pk_mul_f32 v[50:51], v[56:57], v[50:51] op_sel_hi:[0,1]
	v_cvt_f16_f32_e32 v50, v50
	v_cvt_f16_f32_e32 v51, v51
	;; [unrolled: 1-line block ×4, first 2 shown]
	v_pk_mul_f32 v[44:45], v[56:57], v[44:45] op_sel_hi:[0,1]
	v_pk_mul_f32 v[46:47], v[56:57], v[46:47] op_sel_hi:[0,1]
	v_cvt_f16_f32_e32 v46, v46
	v_cvt_f16_f32_e32 v47, v47
	;; [unrolled: 1-line block ×4, first 2 shown]
	v_pack_b32_f16 v50, v50, v51
	v_pack_b32_f16 v51, v48, v49
	v_lshlrev_b32_e32 v49, 3, v1
	v_lshlrev_b32_e32 v48, 5, v52
	;; [unrolled: 1-line block ×3, first 2 shown]
	v_or3_b32 v44, v44, v48, v49
	v_pack_b32_f16 v46, v46, v47
	v_pack_b32_f16 v47, v57, v45
	v_pk_mul_f32 v[38:39], v[56:57], v[38:39] op_sel_hi:[0,1]
	v_pk_mul_f32 v[40:41], v[56:57], v[40:41] op_sel_hi:[0,1]
	;; [unrolled: 1-line block ×4, first 2 shown]
	ds_write2st64_b64 v44, v[50:51], v[46:47] offset1:1
	v_cvt_f16_f32_e32 v40, v40
	v_cvt_f16_f32_e32 v41, v41
	;; [unrolled: 1-line block ×8, first 2 shown]
	v_pack_b32_f16 v34, v40, v41
	v_pack_b32_f16 v35, v38, v39
	;; [unrolled: 1-line block ×4, first 2 shown]
	v_cmp_gt_u32_e32 vcc, 13, v0
	ds_write2st64_b64 v44, v[34:35], v[36:37] offset0:2 offset1:3
	s_and_saveexec_b64 s[8:9], vcc
	s_cbranch_execz .LBB68_19
; %bb.18:
	v_add_co_u32_e32 v36, vcc, s29, v52
	v_addc_co_u32_e64 v37, s[16:17], 0, 0, vcc
	v_mov_b32_e32 v34, s11
	v_mov_b32_e32 v35, 0
	v_mad_u64_u32 v[36:37], s[16:17], s6, v34, v[36:37]
	v_mov_b32_e32 v34, s28
	s_load_dwordx4 s[12:15], s[4:5], 0x58
	s_mul_i32 s7, s7, s11
	v_mad_u64_u32 v[34:35], s[16:17], v36, s10, v[34:35]
	v_add_u32_e32 v37, s7, v37
	v_mov_b32_e32 v36, v35
	v_mad_u64_u32 v[36:37], s[16:17], v37, s10, v[36:37]
	v_mov_b32_e32 v35, v36
	v_lshlrev_b64 v[34:35], 2, v[34:35]
	s_waitcnt lgkmcnt(0)
	v_mov_b32_e32 v37, s15
	v_add_co_u32_e32 v36, vcc, s14, v34
	v_addc_co_u32_e32 v37, vcc, v37, v35, vcc
	global_store_dword v[36:37], v54, off
	v_mov_b32_e32 v36, s13
	v_add_co_u32_e32 v34, vcc, s12, v34
	v_addc_co_u32_e32 v35, vcc, v36, v35, vcc
	global_store_dword v[34:35], v55, off
.LBB68_19:
	s_or_b64 exec, exec, s[8:9]
	v_lshl_or_b32 v45, v1, 9, v48
	s_waitcnt lgkmcnt(0)
	s_barrier
	ds_read_b128 v[34:37], v45
	ds_read_b128 v[38:41], v45 offset:16
	s_waitcnt vmcnt(7) lgkmcnt(1)
	v_mfma_f32_16x16x16f16 v[46:49], v[14:15], v[34:35], 0
	v_cmp_gt_u32_e32 vcc, 64, v0
	s_mov_b32 s7, 0
	s_and_b64 s[0:1], vcc, s[0:1]
	v_mfma_f32_16x16x16f16 v[14:17], v[16:17], v[36:37], v[46:49]
	s_waitcnt vmcnt(6) lgkmcnt(0)
	v_mfma_f32_16x16x16f16 v[14:17], v[10:11], v[38:39], v[14:17]
	v_mfma_f32_16x16x16f16 v[10:13], v[12:13], v[40:41], v[14:17]
	s_nop 7
	s_nop 1
	ds_read_b128 v[14:17], v45 offset:2048
	ds_read_b128 v[34:37], v45 offset:2064
	s_waitcnt vmcnt(5) lgkmcnt(1)
	v_mfma_f32_16x16x16f16 v[10:13], v[6:7], v[14:15], v[10:13]
	v_mfma_f32_16x16x16f16 v[6:9], v[8:9], v[16:17], v[10:13]
	s_waitcnt vmcnt(4) lgkmcnt(0)
	v_mfma_f32_16x16x16f16 v[6:9], v[2:3], v[34:35], v[6:9]
	v_mfma_f32_16x16x16f16 v[2:5], v[4:5], v[36:37], v[6:9]
	s_nop 7
	s_nop 1
	ds_read_b128 v[6:9], v45 offset:4096
	ds_read_b128 v[10:13], v45 offset:4112
	s_waitcnt vmcnt(3) lgkmcnt(1)
	v_mfma_f32_16x16x16f16 v[2:5], v[30:31], v[6:7], v[2:5]
	v_mfma_f32_16x16x16f16 v[2:5], v[32:33], v[8:9], v[2:5]
	s_waitcnt vmcnt(2) lgkmcnt(0)
	v_mfma_f32_16x16x16f16 v[2:5], v[22:23], v[10:11], v[2:5]
	v_mfma_f32_16x16x16f16 v[2:5], v[24:25], v[12:13], v[2:5]
	ds_read_b128 v[6:9], v45 offset:6144
	ds_read_b128 v[10:13], v45 offset:6160
	s_waitcnt lgkmcnt(0)
	s_barrier
	s_waitcnt vmcnt(1)
	v_mfma_f32_16x16x16f16 v[2:5], v[26:27], v[6:7], v[2:5]
	v_mfma_f32_16x16x16f16 v[2:5], v[28:29], v[8:9], v[2:5]
	s_waitcnt vmcnt(0)
	v_mfma_f32_16x16x16f16 v[2:5], v[18:19], v[10:11], v[2:5]
	v_mfma_f32_16x16x16f16 v[2:5], v[20:21], v[12:13], v[2:5]
	s_nop 7
	s_nop 2
	v_cvt_f16_f32_e32 v2, v2
	v_cvt_f16_f32_e32 v3, v3
	v_cvt_f16_f32_e32 v4, v4
	v_cvt_f16_f32_e32 v5, v5
	v_pack_b32_f16 v2, v2, v3
	v_pack_b32_f16 v3, v4, v5
	ds_write_b64 v44, v[2:3]
	s_waitcnt lgkmcnt(0)
	s_barrier
	s_and_saveexec_b64 s[8:9], s[0:1]
	s_cbranch_execz .LBB68_22
; %bb.20:
	s_load_dwordx2 s[4:5], s[4:5], 0x68
	s_lshl_b32 s0, s10, 6
	s_mul_i32 s1, s11, s6
	s_mul_hi_u32 s9, s1, s0
	s_mul_i32 s8, s1, s0
	s_lshl_b64 s[8:9], s[8:9], 1
	s_waitcnt lgkmcnt(0)
	s_add_u32 s1, s4, s8
	v_lshlrev_b32_e32 v2, 10, v0
	v_lshlrev_b32_e32 v0, 4, v0
	s_addc_u32 s8, s5, s9
	s_lshl_b32 s6, s28, 6
	v_and_b32_e32 v2, 0x1800, v2
	v_lshlrev_b32_e32 v3, 5, v1
	v_and_b32_e32 v0, 16, v0
	s_lshl_b64 s[4:5], s[6:7], 1
	v_or3_b32 v0, v2, v3, v0
	s_add_u32 s1, s1, s4
	ds_read_b128 v[4:7], v0 offset:256
	s_addc_u32 s4, s8, s5
	ds_read_b128 v[8:11], v0 offset:128
	ds_read_b128 v[12:15], v0
	v_add_u32_e32 v18, s29, v1
	v_mov_b32_e32 v3, s4
	v_add_co_u32_e32 v2, vcc, s1, v42
	v_mad_u64_u32 v[16:17], s[4:5], v18, s0, 0
	v_addc_co_u32_e32 v3, vcc, v3, v43, vcc
	v_lshlrev_b64 v[16:17], 1, v[16:17]
	v_add_co_u32_e32 v16, vcc, v2, v16
	v_addc_co_u32_e32 v17, vcc, v3, v17, vcc
	s_waitcnt lgkmcnt(0)
	global_store_dwordx4 v[16:17], v[12:15], off
	s_nop 0
	v_add_u32_e32 v12, 4, v18
	v_mad_u64_u32 v[12:13], s[4:5], v12, s0, 0
	v_lshlrev_b64 v[12:13], 1, v[12:13]
	v_add_co_u32_e32 v12, vcc, v2, v12
	v_addc_co_u32_e32 v13, vcc, v3, v13, vcc
	global_store_dwordx4 v[12:13], v[8:11], off
	s_nop 0
	v_add_u32_e32 v8, 8, v18
	v_mad_u64_u32 v[8:9], s[4:5], v8, s0, 0
	v_lshlrev_b64 v[8:9], 1, v[8:9]
	v_add_co_u32_e32 v8, vcc, v2, v8
	v_addc_co_u32_e32 v9, vcc, v3, v9, vcc
	global_store_dwordx4 v[8:9], v[4:7], off
	s_and_b64 exec, exec, s[2:3]
	s_cbranch_execz .LBB68_22
; %bb.21:
	ds_read_b128 v[4:7], v0 offset:384
	v_add3_u32 v0, s29, v1, 12
	v_mad_u64_u32 v[0:1], s[0:1], v0, s0, 0
	v_lshlrev_b64 v[0:1], 1, v[0:1]
	v_add_co_u32_e32 v0, vcc, v2, v0
	v_addc_co_u32_e32 v1, vcc, v3, v1, vcc
	s_waitcnt lgkmcnt(0)
	global_store_dwordx4 v[0:1], v[4:7], off
.LBB68_22:
	s_endpgm
	.section	.rodata,"a",@progbits
	.p2align	6, 0x0
	.amdhsa_kernel _Z39paged_attention_ll4mi_QKV_mfma16_kernelIDF16_DF16_LN4vllm18Fp8KVCacheDataTypeE0EDF16_Li32ELi64ELi256ELb1ELi13EL8MFMAType0EEvPKT_PKT0_S8_ifPKiSA_SA_iPKfiiiPfSD_PS3_PT2_iSC_SC_
		.amdhsa_group_segment_fixed_size 8192
		.amdhsa_private_segment_fixed_size 0
		.amdhsa_kernarg_size 400
		.amdhsa_user_sgpr_count 6
		.amdhsa_user_sgpr_private_segment_buffer 1
		.amdhsa_user_sgpr_dispatch_ptr 0
		.amdhsa_user_sgpr_queue_ptr 0
		.amdhsa_user_sgpr_kernarg_segment_ptr 1
		.amdhsa_user_sgpr_dispatch_id 0
		.amdhsa_user_sgpr_flat_scratch_init 0
		.amdhsa_user_sgpr_kernarg_preload_length 0
		.amdhsa_user_sgpr_kernarg_preload_offset 0
		.amdhsa_user_sgpr_private_segment_size 0
		.amdhsa_uses_dynamic_stack 0
		.amdhsa_system_sgpr_private_segment_wavefront_offset 0
		.amdhsa_system_sgpr_workgroup_id_x 1
		.amdhsa_system_sgpr_workgroup_id_y 1
		.amdhsa_system_sgpr_workgroup_id_z 1
		.amdhsa_system_sgpr_workgroup_info 0
		.amdhsa_system_vgpr_workitem_id 0
		.amdhsa_next_free_vgpr 66
		.amdhsa_next_free_sgpr 48
		.amdhsa_accum_offset 68
		.amdhsa_reserve_vcc 1
		.amdhsa_reserve_flat_scratch 0
		.amdhsa_float_round_mode_32 0
		.amdhsa_float_round_mode_16_64 0
		.amdhsa_float_denorm_mode_32 3
		.amdhsa_float_denorm_mode_16_64 3
		.amdhsa_dx10_clamp 1
		.amdhsa_ieee_mode 1
		.amdhsa_fp16_overflow 0
		.amdhsa_tg_split 0
		.amdhsa_exception_fp_ieee_invalid_op 0
		.amdhsa_exception_fp_denorm_src 0
		.amdhsa_exception_fp_ieee_div_zero 0
		.amdhsa_exception_fp_ieee_overflow 0
		.amdhsa_exception_fp_ieee_underflow 0
		.amdhsa_exception_fp_ieee_inexact 0
		.amdhsa_exception_int_div_zero 0
	.end_amdhsa_kernel
	.section	.text._Z39paged_attention_ll4mi_QKV_mfma16_kernelIDF16_DF16_LN4vllm18Fp8KVCacheDataTypeE0EDF16_Li32ELi64ELi256ELb1ELi13EL8MFMAType0EEvPKT_PKT0_S8_ifPKiSA_SA_iPKfiiiPfSD_PS3_PT2_iSC_SC_,"axG",@progbits,_Z39paged_attention_ll4mi_QKV_mfma16_kernelIDF16_DF16_LN4vllm18Fp8KVCacheDataTypeE0EDF16_Li32ELi64ELi256ELb1ELi13EL8MFMAType0EEvPKT_PKT0_S8_ifPKiSA_SA_iPKfiiiPfSD_PS3_PT2_iSC_SC_,comdat
.Lfunc_end68:
	.size	_Z39paged_attention_ll4mi_QKV_mfma16_kernelIDF16_DF16_LN4vllm18Fp8KVCacheDataTypeE0EDF16_Li32ELi64ELi256ELb1ELi13EL8MFMAType0EEvPKT_PKT0_S8_ifPKiSA_SA_iPKfiiiPfSD_PS3_PT2_iSC_SC_, .Lfunc_end68-_Z39paged_attention_ll4mi_QKV_mfma16_kernelIDF16_DF16_LN4vllm18Fp8KVCacheDataTypeE0EDF16_Li32ELi64ELi256ELb1ELi13EL8MFMAType0EEvPKT_PKT0_S8_ifPKiSA_SA_iPKfiiiPfSD_PS3_PT2_iSC_SC_
                                        ; -- End function
	.section	.AMDGPU.csdata,"",@progbits
; Kernel info:
; codeLenInByte = 4456
; NumSgprs: 52
; NumVgprs: 66
; NumAgprs: 0
; TotalNumVgprs: 66
; ScratchSize: 0
; MemoryBound: 0
; FloatMode: 240
; IeeeMode: 1
; LDSByteSize: 8192 bytes/workgroup (compile time only)
; SGPRBlocks: 6
; VGPRBlocks: 8
; NumSGPRsForWavesPerEU: 52
; NumVGPRsForWavesPerEU: 66
; AccumOffset: 68
; Occupancy: 7
; WaveLimiterHint : 1
; COMPUTE_PGM_RSRC2:SCRATCH_EN: 0
; COMPUTE_PGM_RSRC2:USER_SGPR: 6
; COMPUTE_PGM_RSRC2:TRAP_HANDLER: 0
; COMPUTE_PGM_RSRC2:TGID_X_EN: 1
; COMPUTE_PGM_RSRC2:TGID_Y_EN: 1
; COMPUTE_PGM_RSRC2:TGID_Z_EN: 1
; COMPUTE_PGM_RSRC2:TIDIG_COMP_CNT: 0
; COMPUTE_PGM_RSRC3_GFX90A:ACCUM_OFFSET: 16
; COMPUTE_PGM_RSRC3_GFX90A:TG_SPLIT: 0
	.section	.text._Z39paged_attention_ll4mi_QKV_mfma16_kernelIDF16_DF16_LN4vllm18Fp8KVCacheDataTypeE0EDF16_Li32ELi64ELi256ELb1ELi14EL8MFMAType0EEvPKT_PKT0_S8_ifPKiSA_SA_iPKfiiiPfSD_PS3_PT2_iSC_SC_,"axG",@progbits,_Z39paged_attention_ll4mi_QKV_mfma16_kernelIDF16_DF16_LN4vllm18Fp8KVCacheDataTypeE0EDF16_Li32ELi64ELi256ELb1ELi14EL8MFMAType0EEvPKT_PKT0_S8_ifPKiSA_SA_iPKfiiiPfSD_PS3_PT2_iSC_SC_,comdat
	.protected	_Z39paged_attention_ll4mi_QKV_mfma16_kernelIDF16_DF16_LN4vllm18Fp8KVCacheDataTypeE0EDF16_Li32ELi64ELi256ELb1ELi14EL8MFMAType0EEvPKT_PKT0_S8_ifPKiSA_SA_iPKfiiiPfSD_PS3_PT2_iSC_SC_ ; -- Begin function _Z39paged_attention_ll4mi_QKV_mfma16_kernelIDF16_DF16_LN4vllm18Fp8KVCacheDataTypeE0EDF16_Li32ELi64ELi256ELb1ELi14EL8MFMAType0EEvPKT_PKT0_S8_ifPKiSA_SA_iPKfiiiPfSD_PS3_PT2_iSC_SC_
	.globl	_Z39paged_attention_ll4mi_QKV_mfma16_kernelIDF16_DF16_LN4vllm18Fp8KVCacheDataTypeE0EDF16_Li32ELi64ELi256ELb1ELi14EL8MFMAType0EEvPKT_PKT0_S8_ifPKiSA_SA_iPKfiiiPfSD_PS3_PT2_iSC_SC_
	.p2align	8
	.type	_Z39paged_attention_ll4mi_QKV_mfma16_kernelIDF16_DF16_LN4vllm18Fp8KVCacheDataTypeE0EDF16_Li32ELi64ELi256ELb1ELi14EL8MFMAType0EEvPKT_PKT0_S8_ifPKiSA_SA_iPKfiiiPfSD_PS3_PT2_iSC_SC_,@function
_Z39paged_attention_ll4mi_QKV_mfma16_kernelIDF16_DF16_LN4vllm18Fp8KVCacheDataTypeE0EDF16_Li32ELi64ELi256ELb1ELi14EL8MFMAType0EEvPKT_PKT0_S8_ifPKiSA_SA_iPKfiiiPfSD_PS3_PT2_iSC_SC_: ; @_Z39paged_attention_ll4mi_QKV_mfma16_kernelIDF16_DF16_LN4vllm18Fp8KVCacheDataTypeE0EDF16_Li32ELi64ELi256ELb1ELi14EL8MFMAType0EEvPKT_PKT0_S8_ifPKiSA_SA_iPKfiiiPfSD_PS3_PT2_iSC_SC_
; %bb.0:
	s_load_dwordx2 s[0:1], s[4:5], 0x30
	s_mov_b32 s28, s7
	s_mov_b64 s[10:11], 0
	s_waitcnt lgkmcnt(0)
	s_cmp_lg_u64 s[0:1], 0
	s_cselect_b64 s[2:3], -1, 0
	s_and_b64 vcc, exec, s[2:3]
	s_cbranch_vccz .LBB69_7
; %bb.1:
	s_add_i32 s12, s6, 1
	s_mov_b32 s13, 0
	s_lshl_b64 s[14:15], s[12:13], 2
	s_add_u32 s14, s0, s14
	s_mov_b32 s7, s13
	s_addc_u32 s15, s1, s15
	s_lshl_b64 s[12:13], s[6:7], 2
	s_add_u32 s12, s0, s12
	s_addc_u32 s13, s1, s13
	s_load_dword s9, s[14:15], 0x0
	s_load_dword s16, s[12:13], 0x0
	s_waitcnt lgkmcnt(0)
	s_sub_i32 s9, s9, s16
	s_cmp_eq_u32 s9, 1
	s_cselect_b64 s[12:13], -1, 0
	s_andn2_b64 vcc, exec, s[10:11]
	s_cbranch_vccnz .LBB69_3
.LBB69_2:
	s_mov_b32 s7, 0
	s_mov_b64 s[12:13], -1
.LBB69_3:
	s_andn2_b64 vcc, exec, s[12:13]
	s_cbranch_vccnz .LBB69_22
; %bb.4:
	s_load_dwordx2 s[12:13], s[4:5], 0x28
	s_lshl_b64 s[10:11], s[6:7], 2
	s_waitcnt lgkmcnt(0)
	s_add_u32 s12, s12, s10
	s_addc_u32 s13, s13, s11
	s_load_dword s33, s[12:13], 0x0
	s_lshl_b32 s14, s28, 8
	s_waitcnt lgkmcnt(0)
	s_cmp_ge_i32 s14, s33
	s_cbranch_scc1 .LBB69_22
; %bb.5:
	s_add_i32 s15, s33, 31
	s_load_dwordx2 s[12:13], s[4:5], 0x20
	s_load_dword s9, s[4:5], 0x38
	s_ashr_i32 s16, s15, 31
	v_and_b32_e32 v1, 0xcf, v0
	s_lshr_b32 s16, s16, 27
	v_add_u32_e32 v1, s14, v1
	s_add_i32 s15, s15, s16
	v_ashrrev_i32_e32 v2, 31, v1
	s_ashr_i32 s17, s15, 5
	v_lshrrev_b32_e32 v6, 27, v2
	s_add_i32 s17, s17, -1
	v_add_u32_e32 v2, v1, v6
	s_waitcnt lgkmcnt(0)
	s_mul_i32 s18, s6, s9
	s_mov_b32 s19, 0
	v_ashrrev_i32_e32 v2, 5, v2
	v_mov_b32_e32 v7, s17
	v_cmp_gt_i32_e32 vcc, s33, v1
	s_lshl_b64 s[18:19], s[18:19], 2
	v_cndmask_b32_e32 v2, v7, v2, vcc
	s_add_u32 s15, s12, s18
	v_ashrrev_i32_e32 v3, 31, v2
	s_addc_u32 s16, s13, s19
	v_lshlrev_b64 v[2:3], 2, v[2:3]
	v_mov_b32_e32 v4, s16
	v_add_co_u32_e32 v2, vcc, s15, v2
	v_addc_co_u32_e32 v3, vcc, v4, v3, vcc
	v_or_b32_e32 v4, 16, v1
	v_add_u32_e32 v5, v4, v6
	v_ashrrev_i32_e32 v5, 5, v5
	v_cmp_gt_i32_e32 vcc, s33, v4
	v_cndmask_b32_e32 v4, v7, v5, vcc
	v_ashrrev_i32_e32 v5, 31, v4
	v_lshlrev_b64 v[4:5], 2, v[4:5]
	v_mov_b32_e32 v9, s16
	v_add_co_u32_e32 v8, vcc, s15, v4
	v_or_b32_e32 v4, 32, v1
	v_addc_co_u32_e32 v9, vcc, v9, v5, vcc
	v_add_u32_e32 v5, v4, v6
	v_ashrrev_i32_e32 v5, 5, v5
	v_cmp_gt_i32_e32 vcc, s33, v4
	v_cndmask_b32_e32 v4, v7, v5, vcc
	v_ashrrev_i32_e32 v5, 31, v4
	v_lshlrev_b64 v[4:5], 2, v[4:5]
	v_mov_b32_e32 v11, s16
	v_add_co_u32_e32 v10, vcc, s15, v4
	v_or_b32_e32 v1, 48, v1
	v_addc_co_u32_e32 v11, vcc, v11, v5, vcc
	v_add_u32_e32 v4, v1, v6
	v_ashrrev_i32_e32 v4, 5, v4
	v_cmp_gt_i32_e32 vcc, s33, v1
	v_cndmask_b32_e32 v4, v7, v4, vcc
	v_ashrrev_i32_e32 v5, 31, v4
	v_lshlrev_b64 v[4:5], 2, v[4:5]
	v_mov_b32_e32 v1, s16
	v_add_co_u32_e32 v12, vcc, s15, v4
	v_addc_co_u32_e32 v13, vcc, v1, v5, vcc
	global_load_dword v7, v[2:3], off
	global_load_dword v6, v[8:9], off
	;; [unrolled: 1-line block ×4, first 2 shown]
	s_andn2_b64 vcc, exec, s[2:3]
	s_cbranch_vccnz .LBB69_8
; %bb.6:
	s_add_u32 s0, s0, s10
	s_addc_u32 s1, s1, s11
	s_load_dword s9, s[0:1], 0x0
	s_branch .LBB69_9
.LBB69_7:
	s_mov_b64 s[12:13], 0
	s_branch .LBB69_2
.LBB69_8:
	s_mov_b32 s9, s6
.LBB69_9:
	s_load_dwordx2 s[10:11], s[4:5], 0x8
	s_load_dwordx4 s[44:47], s[4:5], 0x48
	v_lshrrev_b32_e32 v53, 6, v0
	v_bfe_u32 v1, v0, 4, 2
	v_lshl_or_b32 v8, v53, 2, v1
	v_and_b32_e32 v52, 15, v0
	v_cmp_lt_u32_e32 vcc, 13, v8
	v_cmp_lt_u32_e64 s[2:3], 7, v52
	v_lshlrev_b32_e32 v2, 3, v52
	v_cmp_gt_u32_e64 s[0:1], 8, v52
	s_or_b64 s[2:3], s[2:3], vcc
	s_and_saveexec_b64 s[12:13], s[2:3]
	s_xor_b64 s[2:3], exec, s[12:13]
; %bb.10:
	v_mov_b32_e32 v3, 0
                                        ; implicit-def: $vgpr8
; %bb.11:
	s_or_saveexec_b64 s[12:13], s[2:3]
	s_load_dwordx2 s[2:3], s[4:5], 0x10
	s_mul_i32 s29, s8, 14
	s_xor_b64 exec, exec, s[12:13]
	s_cbranch_execz .LBB69_13
; %bb.12:
	s_load_dwordx2 s[18:19], s[4:5], 0x0
	s_waitcnt lgkmcnt(0)
	s_ashr_i32 s20, s44, 31
	s_mul_hi_u32 s21, s9, s44
	s_mul_i32 s20, s9, s20
	s_add_i32 s21, s21, s20
	s_mul_i32 s20, s9, s44
	s_lshl_b64 s[20:21], s[20:21], 1
	v_add_lshl_u32 v10, v8, s29, 6
	s_add_u32 s9, s18, s20
	v_ashrrev_i32_e32 v11, 31, v10
	s_addc_u32 s18, s19, s21
	v_lshlrev_b64 v[10:11], 1, v[10:11]
	v_mov_b32_e32 v3, s18
	v_add_co_u32_e32 v9, vcc, s9, v10
	v_addc_co_u32_e32 v3, vcc, v3, v11, vcc
	v_lshlrev_b32_e32 v10, 1, v2
	v_add_co_u32_e32 v10, vcc, v9, v10
	v_addc_co_u32_e32 v11, vcc, 0, v3, vcc
	global_load_dwordx4 v[10:13], v[10:11], off
	v_and_b32_e32 v9, 3, v0
	v_lshlrev_b32_e32 v14, 9, v52
	v_lshlrev_b32_e32 v8, 5, v8
	;; [unrolled: 1-line block ×3, first 2 shown]
	v_and_b32_e32 v14, 0x1800, v14
	v_mov_b32_e32 v3, 0
	v_or3_b32 v8, v14, v9, v8
	s_waitcnt vmcnt(0)
	ds_write_b128 v8, v[10:13]
.LBB69_13:
	s_or_b64 exec, exec, s[12:13]
	s_waitcnt lgkmcnt(0)
	s_mul_i32 s8, s8, s46
	s_mov_b32 s9, 0
	s_lshl_b64 s[8:9], s[8:9], 1
	s_add_u32 s12, s10, s8
	s_addc_u32 s13, s11, s9
	s_waitcnt vmcnt(3)
	v_mad_i64_i32 v[8:9], s[10:11], v7, s45, 0
	v_lshlrev_b64 v[8:9], 1, v[8:9]
	v_mov_b32_e32 v7, s13
	v_add_co_u32_e32 v8, vcc, s12, v8
	v_addc_co_u32_e32 v7, vcc, v7, v9, vcc
	v_lshlrev_b64 v[42:43], 1, v[2:3]
	v_add_co_u32_e32 v2, vcc, v8, v42
	v_lshlrev_b32_e32 v24, 9, v1
	v_addc_co_u32_e32 v3, vcc, v7, v43, vcc
	v_add_co_u32_e32 v2, vcc, v2, v24
	v_addc_co_u32_e32 v3, vcc, 0, v3, vcc
	s_barrier
	global_load_dwordx4 v[38:41], v[2:3], off
	global_load_dwordx4 v[34:37], v[2:3], off offset:2048
	s_waitcnt vmcnt(4)
	v_mad_i64_i32 v[2:3], s[10:11], v6, s45, 0
	v_lshlrev_b64 v[2:3], 1, v[2:3]
	v_mov_b32_e32 v6, s13
	v_add_co_u32_e32 v2, vcc, s12, v2
	v_addc_co_u32_e32 v3, vcc, v6, v3, vcc
	v_mov_b32_e32 v6, 0x100
	v_lshl_or_b32 v18, v52, 4, v6
	v_add_co_u32_e32 v2, vcc, v2, v18
	v_addc_co_u32_e32 v3, vcc, 0, v3, vcc
	v_add_co_u32_e32 v2, vcc, v2, v24
	v_addc_co_u32_e32 v3, vcc, 0, v3, vcc
	global_load_dwordx4 v[30:33], v[2:3], off
	global_load_dwordx4 v[14:17], v[2:3], off offset:2048
	s_waitcnt vmcnt(5)
	v_mad_i64_i32 v[2:3], s[10:11], v5, s45, 0
	v_lshlrev_b64 v[2:3], 1, v[2:3]
	v_mov_b32_e32 v5, s13
	v_add_co_u32_e32 v2, vcc, s12, v2
	v_addc_co_u32_e32 v3, vcc, v5, v3, vcc
	v_add_co_u32_e32 v2, vcc, v2, v42
	v_addc_co_u32_e32 v3, vcc, v3, v43, vcc
	;; [unrolled: 2-line block ×3, first 2 shown]
	global_load_dwordx4 v[10:13], v[2:3], off
	global_load_dwordx4 v[6:9], v[2:3], off offset:2048
	s_waitcnt vmcnt(6)
	v_mad_i64_i32 v[2:3], s[10:11], v4, s45, 0
	v_lshlrev_b64 v[2:3], 1, v[2:3]
	v_mov_b32_e32 v4, s13
	v_add_co_u32_e32 v2, vcc, s12, v2
	v_addc_co_u32_e32 v3, vcc, v4, v3, vcc
	v_add_co_u32_e32 v2, vcc, v2, v18
	v_addc_co_u32_e32 v3, vcc, 0, v3, vcc
	;; [unrolled: 2-line block ×3, first 2 shown]
	global_load_dwordx4 v[2:5], v[22:23], off
	global_load_dwordx4 v[18:21], v[22:23], off offset:2048
	v_add_u32_e32 v22, -14, v52
	v_cmp_gt_u32_e32 vcc, 14, v52
	v_cndmask_b32_e32 v22, v22, v52, vcc
	v_lshl_add_u32 v22, v22, 5, v24
	ds_read_b128 v[26:29], v22
	ds_read_b128 v[22:25], v22 offset:2048
	v_and_b32_e32 v54, 63, v0
	v_mov_b32_e32 v50, 0
	s_and_saveexec_b64 s[10:11], vcc
	s_cbranch_execz .LBB69_15
; %bb.14:
	s_load_dwordx2 s[12:13], s[4:5], 0x40
	v_add_u32_e32 v44, s29, v52
	v_ashrrev_i32_e32 v45, 31, v44
	v_lshlrev_b64 v[44:45], 2, v[44:45]
	s_waitcnt lgkmcnt(0)
	v_mov_b32_e32 v46, s13
	v_add_co_u32_e32 v44, vcc, s12, v44
	v_addc_co_u32_e32 v45, vcc, v46, v45, vcc
	global_load_dword v50, v[44:45], off
.LBB69_15:
	s_or_b64 exec, exec, s[10:11]
	s_waitcnt vmcnt(7) lgkmcnt(1)
	v_mfma_f32_16x16x16f16 v[44:47], v[38:39], v[26:27], 0
	s_ashr_i32 s10, s14, 31
	s_lshr_b32 s11, s10, 27
	v_mov_b32_e32 v49, s16
	s_add_u32 s2, s2, s8
	s_addc_u32 s3, s3, s9
	s_load_dword s10, s[4:5], 0x1c
	s_mov_b32 s42, 0xff7fffff
	v_mfma_f32_16x16x16f16 v[38:41], v[40:41], v[28:29], v[44:47]
	s_waitcnt vmcnt(6) lgkmcnt(0)
	v_mfma_f32_16x16x16f16 v[38:41], v[34:35], v[22:23], v[38:41]
	s_nop 4
	v_and_or_b32 v46, v0, 48, s14
	v_add_u32_e32 v34, s11, v46
	v_ashrrev_i32_e32 v34, 5, v34
	v_mov_b32_e32 v47, s17
	v_cmp_gt_i32_e32 vcc, s33, v46
	v_cndmask_b32_e32 v34, v47, v34, vcc
	v_ashrrev_i32_e32 v35, 31, v34
	v_lshlrev_b64 v[44:45], 2, v[34:35]
	v_mfma_f32_16x16x16f16 v[34:37], v[36:37], v[24:25], v[38:41]
	s_nop 6
	v_mov_b32_e32 v39, s16
	v_add_co_u32_e32 v38, vcc, s15, v44
	v_addc_co_u32_e32 v39, vcc, v39, v45, vcc
	global_load_dword v48, v[38:39], off
	s_waitcnt vmcnt(6)
	v_mfma_f32_16x16x16f16 v[38:41], v[30:31], v[26:27], 0
	v_or_b32_e32 v44, 64, v46
	v_add_u32_e32 v30, s11, v44
	v_ashrrev_i32_e32 v30, 5, v30
	v_cmp_gt_i32_e32 vcc, s33, v44
	v_cndmask_b32_e32 v30, v47, v30, vcc
	v_ashrrev_i32_e32 v31, 31, v30
	v_lshlrev_b64 v[44:45], 2, v[30:31]
	v_mfma_f32_16x16x16f16 v[30:33], v[32:33], v[28:29], v[38:41]
	s_nop 6
	v_add_co_u32_e32 v38, vcc, s15, v44
	v_addc_co_u32_e32 v39, vcc, v49, v45, vcc
	global_load_dword v40, v[38:39], off
	v_or_b32_e32 v38, 0x80, v46
	v_add_u32_e32 v39, s11, v38
	v_ashrrev_i32_e32 v39, 5, v39
	v_cmp_gt_i32_e32 vcc, s33, v38
	v_cndmask_b32_e32 v38, v47, v39, vcc
	v_ashrrev_i32_e32 v39, 31, v38
	s_waitcnt vmcnt(6)
	v_mfma_f32_16x16x16f16 v[30:33], v[14:15], v[22:23], v[30:33]
	v_lshlrev_b64 v[14:15], 2, v[38:39]
	v_mov_b32_e32 v38, s16
	v_add_co_u32_e32 v14, vcc, s15, v14
	v_addc_co_u32_e32 v15, vcc, v38, v15, vcc
	global_load_dword v41, v[14:15], off
	v_mfma_f32_16x16x16f16 v[30:33], v[16:17], v[24:25], v[30:33]
	v_or_b32_e32 v38, 0xc0, v46
	v_cmp_gt_i32_e32 vcc, s33, v38
	v_mov_b32_e32 v44, s16
	s_waitcnt vmcnt(6)
	v_mfma_f32_16x16x16f16 v[14:17], v[10:11], v[26:27], 0
	v_add_u32_e32 v10, s11, v38
	v_ashrrev_i32_e32 v10, 5, v10
	v_cndmask_b32_e32 v10, v47, v10, vcc
	v_ashrrev_i32_e32 v11, 31, v10
	v_lshlrev_b64 v[38:39], 2, v[10:11]
	s_nop 0
	v_pk_mul_f32 v[46:47], s[10:11], v[30:31] op_sel_hi:[0,1]
	v_mfma_f32_16x16x16f16 v[10:13], v[12:13], v[28:29], v[14:17]
	s_nop 6
	v_add_co_u32_e32 v14, vcc, s15, v38
	s_waitcnt vmcnt(5)
	v_mfma_f32_16x16x16f16 v[10:13], v[6:7], v[22:23], v[10:13]
	v_addc_co_u32_e32 v15, vcc, v44, v39, vcc
	global_load_dword v51, v[14:15], off
	v_and_b32_e32 v14, 16, v0
	v_lshlrev_b32_e32 v14, 1, v14
	v_mov_b32_e32 v6, s3
	v_add_co_u32_e32 v7, vcc, s2, v14
	v_lshlrev_b32_e32 v14, 6, v52
	v_addc_co_u32_e32 v6, vcc, 0, v6, vcc
	v_lshl_or_b32 v14, v53, 10, v14
	v_add_co_u32_e32 v55, vcc, v7, v14
	v_addc_co_u32_e32 v60, vcc, 0, v6, vcc
	v_mfma_f32_16x16x16f16 v[56:59], v[8:9], v[24:25], v[10:13]
	s_waitcnt vmcnt(3)
	v_mad_i64_i32 v[6:7], s[2:3], v48, s45, 0
	v_pk_mul_f32 v[48:49], s[10:11], v[36:37] op_sel_hi:[0,1]
	v_pk_mul_f32 v[44:45], s[10:11], v[32:33] op_sel_hi:[0,1]
	s_waitcnt vmcnt(1)
	v_mad_i64_i32 v[38:39], s[2:3], v41, s45, 0
	s_nop 0
	v_lshlrev_b64 v[10:11], 1, v[6:7]
	v_mfma_f32_16x16x16f16 v[6:9], v[2:3], v[26:27], 0
	v_add_co_u32_e32 v2, vcc, v55, v10
	v_addc_co_u32_e32 v3, vcc, v60, v11, vcc
	global_load_dwordx4 v[14:17], v[2:3], off
	global_load_dwordx4 v[10:13], v[2:3], off offset:16
	v_mad_i64_i32 v[2:3], s[2:3], v40, s45, 0
	v_mfma_f32_16x16x16f16 v[26:29], v[4:5], v[28:29], v[6:9]
	v_lshlrev_b64 v[2:3], 1, v[2:3]
	v_add_co_u32_e32 v2, vcc, v55, v2
	v_addc_co_u32_e32 v3, vcc, v60, v3, vcc
	v_lshlrev_b64 v[38:39], 1, v[38:39]
	v_pk_mul_f32 v[40:41], s[10:11], v[56:57] op_sel_hi:[0,1]
	v_mfma_f32_16x16x16f16 v[26:29], v[18:19], v[22:23], v[26:29]
	v_pk_mul_f32 v[18:19], s[10:11], v[34:35] op_sel_hi:[0,1]
	v_add_co_u32_e32 v22, vcc, v55, v38
	v_addc_co_u32_e32 v23, vcc, v60, v39, vcc
	v_pk_mul_f32 v[38:39], s[10:11], v[58:59] op_sel_hi:[0,1]
	global_load_dwordx4 v[6:9], v[2:3], off
	s_nop 0
	global_load_dwordx4 v[2:5], v[2:3], off offset:16
	v_mfma_f32_16x16x16f16 v[24:27], v[20:21], v[24:25], v[26:29]
	v_and_b32_e32 v20, 0xc0, v0
	v_add_u32_e32 v20, s14, v20
	v_lshl_or_b32 v20, v1, 2, v20
	v_or_b32_e32 v21, 1, v20
	v_cmp_gt_i32_e64 s[30:31], s33, v20
	v_cmp_gt_i32_e64 s[34:35], s33, v21
	s_nop 4
	v_pk_mul_f32 v[36:37], s[10:11], v[24:25] op_sel_hi:[0,1]
	v_subrev_u32_e32 v24, s33, v21
	v_pk_mul_f32 v[34:35], s[10:11], v[26:27] op_sel_hi:[0,1]
	v_add_u32_e32 v26, 1, v24
	v_add_u32_e32 v27, 2, v24
	v_cvt_f32_i32_e32 v25, v24
	v_cvt_f32_i32_e32 v26, v26
	;; [unrolled: 1-line block ×3, first 2 shown]
	v_add_u32_e32 v28, 3, v24
	v_fma_f32 v18, v50, v25, v18
	v_fmac_f32_e32 v19, v50, v26
	v_fma_f32 v48, v50, v27, v48
	v_add_u32_e32 v25, 16, v24
	v_add_u32_e32 v26, 17, v24
	;; [unrolled: 1-line block ×3, first 2 shown]
	v_cvt_f32_i32_e32 v28, v28
	v_cvt_f32_i32_e32 v25, v25
	;; [unrolled: 1-line block ×4, first 2 shown]
	v_fmac_f32_e32 v49, v50, v28
	v_add_u32_e32 v28, 19, v24
	v_fma_f32 v46, v50, v25, v46
	v_fmac_f32_e32 v47, v50, v26
	v_fma_f32 v44, v50, v27, v44
	v_add_u32_e32 v25, 32, v24
	v_add_u32_e32 v26, 33, v24
	;; [unrolled: 1-line block ×3, first 2 shown]
	v_cvt_f32_i32_e32 v28, v28
	v_cvt_f32_i32_e32 v25, v25
	;; [unrolled: 1-line block ×4, first 2 shown]
	v_fmac_f32_e32 v45, v50, v28
	v_add_u32_e32 v28, 35, v24
	v_fma_f32 v40, v50, v25, v40
	v_fmac_f32_e32 v41, v50, v26
	v_fma_f32 v38, v50, v27, v38
	v_add_u32_e32 v25, 48, v24
	v_add_u32_e32 v26, 49, v24
	;; [unrolled: 1-line block ×4, first 2 shown]
	v_cvt_f32_i32_e32 v24, v24
	v_cvt_f32_i32_e32 v25, v25
	;; [unrolled: 1-line block ×4, first 2 shown]
	v_fmac_f32_e32 v35, v50, v24
	v_mov_b32_e32 v24, 0xff7fffff
	v_fma_f32 v36, v50, v25, v36
	v_cndmask_b32_e64 v25, v24, v18, s[30:31]
	v_cndmask_b32_e64 v21, v24, v19, s[34:35]
	v_fmac_f32_e32 v37, v50, v26
	v_max3_f32 v21, v25, s42, v21
	v_or_b32_e32 v25, 2, v20
	v_or_b32_e32 v26, 3, v20
	v_cmp_gt_i32_e64 s[36:37], s33, v25
	v_cmp_gt_i32_e64 s[38:39], s33, v26
	v_cndmask_b32_e64 v25, v24, v48, s[36:37]
	v_cndmask_b32_e64 v26, v24, v49, s[38:39]
	v_max3_f32 v21, v21, v25, v26
	v_or_b32_e32 v25, 16, v20
	v_or_b32_e32 v26, 17, v20
	v_cmp_gt_i32_e64 s[24:25], s33, v25
	v_cmp_gt_i32_e64 s[26:27], s33, v26
	v_cndmask_b32_e64 v25, v24, v46, s[24:25]
	v_cndmask_b32_e64 v26, v24, v47, s[26:27]
	;; [unrolled: 7-line block ×4, first 2 shown]
	v_max3_f32 v21, v21, v25, v26
	v_or_b32_e32 v25, 34, v20
	v_or_b32_e32 v26, 35, v20
	v_fmac_f32_e32 v39, v50, v28
	v_cmp_gt_i32_e64 s[12:13], s33, v25
	v_cmp_gt_i32_e64 s[14:15], s33, v26
	v_cndmask_b32_e64 v25, v24, v38, s[12:13]
	v_cndmask_b32_e64 v26, v24, v39, s[14:15]
	v_cvt_f32_i32_e32 v27, v27
	v_max3_f32 v21, v21, v25, v26
	v_or_b32_e32 v25, 48, v20
	v_or_b32_e32 v26, 49, v20
	v_cmp_gt_i32_e64 s[8:9], s33, v25
	v_cmp_gt_i32_e64 s[10:11], s33, v26
	v_cndmask_b32_e64 v25, v24, v36, s[8:9]
	v_cndmask_b32_e64 v26, v24, v37, s[10:11]
	v_max3_f32 v21, v21, v25, v26
	v_or_b32_e32 v25, 50, v20
	v_or_b32_e32 v20, 51, v20
	v_fma_f32 v34, v50, v27, v34
	v_cmp_gt_i32_e32 vcc, s33, v25
	v_cmp_gt_i32_e64 s[2:3], s33, v20
	v_cndmask_b32_e32 v25, v24, v34, vcc
	v_cndmask_b32_e64 v20, v24, v35, s[2:3]
	v_max3_f32 v26, v21, v25, v20
	v_mbcnt_lo_u32_b32 v20, -1, 0
	v_mbcnt_hi_u32_b32 v27, -1, v20
	v_and_b32_e32 v20, 64, v27
	v_add_u32_e32 v28, 64, v20
	v_xor_b32_e32 v20, 32, v27
	v_cmp_lt_i32_e64 s[40:41], v20, v28
	v_cndmask_b32_e64 v20, v27, v20, s[40:41]
	v_lshlrev_b32_e32 v56, 2, v20
	ds_bpermute_b32 v29, v56, v26
	s_waitcnt vmcnt(4)
	v_mad_i64_i32 v[20:21], s[40:41], v51, s45, 0
	v_lshlrev_b64 v[20:21], 1, v[20:21]
	global_load_dwordx4 v[30:33], v[22:23], off
	s_nop 0
	global_load_dwordx4 v[22:25], v[22:23], off offset:16
	s_waitcnt lgkmcnt(0)
	v_max_f32_e32 v29, v29, v29
	v_max_f32_e32 v26, v26, v29
	v_xor_b32_e32 v29, 16, v27
	v_cmp_lt_i32_e64 s[40:41], v29, v28
	v_cndmask_b32_e64 v27, v27, v29, s[40:41]
	v_lshlrev_b32_e32 v58, 2, v27
	ds_bpermute_b32 v27, v58, v26
	v_add_co_u32_e64 v20, s[40:41], v55, v20
	v_addc_co_u32_e64 v21, s[40:41], v60, v21, s[40:41]
	s_waitcnt lgkmcnt(0)
	v_max_f32_e32 v27, v27, v27
	v_max_f32_e32 v55, v26, v27
	v_sub_f32_e32 v18, v18, v55
	v_mul_f32_e32 v18, 0x3fb8aa3b, v18
	v_exp_f32_e32 v50, v18
	v_sub_f32_e32 v18, v19, v55
	v_mul_f32_e32 v18, 0x3fb8aa3b, v18
	v_exp_f32_e32 v51, v18
	global_load_dwordx4 v[26:29], v[20:21], off
	s_nop 0
	global_load_dwordx4 v[18:21], v[20:21], off offset:16
	v_sub_f32_e32 v48, v48, v55
	v_mul_f32_e32 v48, 0x3fb8aa3b, v48
	v_sub_f32_e32 v49, v49, v55
	v_exp_f32_e32 v48, v48
	v_mul_f32_e32 v49, 0x3fb8aa3b, v49
	v_sub_f32_e32 v46, v46, v55
	v_exp_f32_e32 v49, v49
	v_mul_f32_e32 v46, 0x3fb8aa3b, v46
	v_sub_f32_e32 v47, v47, v55
	v_cndmask_b32_e64 v50, 0, v50, s[30:31]
	v_exp_f32_e32 v46, v46
	v_mul_f32_e32 v47, 0x3fb8aa3b, v47
	v_sub_f32_e32 v44, v44, v55
	v_add_f32_e32 v57, 0, v50
	v_cndmask_b32_e64 v51, 0, v51, s[34:35]
	v_exp_f32_e32 v47, v47
	v_mul_f32_e32 v44, 0x3fb8aa3b, v44
	v_sub_f32_e32 v45, v45, v55
	v_add_f32_e32 v57, v57, v51
	;; [unrolled: 5-line block ×10, first 2 shown]
	v_cndmask_b32_e64 v38, 0, v38, s[12:13]
	v_exp_f32_e32 v34, v34
	v_mul_f32_e32 v35, 0x3fb8aa3b, v35
	v_add_f32_e32 v57, v57, v38
	v_cndmask_b32_e64 v39, 0, v39, s[14:15]
	v_exp_f32_e32 v35, v35
	v_add_f32_e32 v57, v57, v39
	v_cndmask_b32_e64 v36, 0, v36, s[8:9]
	v_add_f32_e32 v57, v57, v36
	v_cndmask_b32_e64 v37, 0, v37, s[10:11]
	v_add_f32_e32 v57, v57, v37
	v_cndmask_b32_e32 v34, 0, v34, vcc
	v_add_f32_e32 v57, v57, v34
	v_cndmask_b32_e64 v35, 0, v35, s[2:3]
	v_add_f32_e32 v57, v57, v35
	ds_bpermute_b32 v56, v56, v57
	s_load_dword s9, s[4:5], 0x98
	v_cmp_gt_u32_e32 vcc, 16, v54
	s_waitcnt lgkmcnt(0)
	s_barrier
	v_add_f32_e32 v57, v57, v56
	ds_bpermute_b32 v58, v58, v57
	v_lshlrev_b32_e32 v56, 2, v52
	s_waitcnt lgkmcnt(0)
	s_and_saveexec_b64 s[2:3], vcc
	s_cbranch_execz .LBB69_17
; %bb.16:
	v_add_f32_e32 v54, v57, v58
	v_lshl_or_b32 v57, v53, 6, v56
	ds_write2st64_b32 v57, v55, v54 offset1:1
.LBB69_17:
	s_or_b64 exec, exec, s[2:3]
	s_load_dword s8, s[4:5], 0x94
	s_waitcnt lgkmcnt(0)
	s_barrier
	ds_read2_b32 v[58:59], v56 offset1:16
	ds_read2_b32 v[60:61], v56 offset0:32 offset1:48
	ds_read2_b32 v[62:63], v56 offset0:64 offset1:80
	;; [unrolled: 1-line block ×3, first 2 shown]
	s_waitcnt lgkmcnt(0)
	v_max3_f32 v54, v58, s42, v59
	v_max3_f32 v54, v54, v60, v61
	v_sub_f32_e32 v55, v58, v54
	v_mul_f32_e32 v55, 0x3fb8aa3b, v55
	v_exp_f32_e32 v58, v55
	v_sub_f32_e32 v55, v59, v54
	v_mul_f32_e32 v55, 0x3fb8aa3b, v55
	v_exp_f32_e32 v59, v55
	;; [unrolled: 3-line block ×4, first 2 shown]
	v_fma_f32 v55, v58, v62, 0
	v_fmac_f32_e32 v55, v59, v63
	v_fmac_f32_e32 v55, v60, v56
	;; [unrolled: 1-line block ×3, first 2 shown]
	v_add_f32_e32 v56, 0x358637bd, v55
	v_div_scale_f32 v57, s[2:3], v56, v56, 1.0
	v_rcp_f32_e32 v62, v57
	s_barrier
	s_mul_i32 s9, s9, 14
	v_fma_f32 v63, -v57, v62, 1.0
	v_fmac_f32_e32 v62, v63, v62
	v_div_scale_f32 v63, vcc, 1.0, v56, 1.0
	v_mul_f32_e32 v64, v63, v62
	v_fma_f32 v65, -v57, v64, v63
	v_fmac_f32_e32 v64, v65, v62
	v_fma_f32 v57, -v57, v64, v63
	v_div_fmas_f32 v57, v57, v62, v64
	v_cmp_eq_u32_e32 vcc, 1, v53
	v_div_fixup_f32 v56, v57, v56, 1.0
	v_cndmask_b32_e32 v57, v58, v59, vcc
	v_cmp_eq_u32_e32 vcc, 2, v53
	v_cndmask_b32_e32 v57, v57, v60, vcc
	v_cmp_eq_u32_e32 vcc, 3, v53
	v_cndmask_b32_e32 v57, v57, v61, vcc
	v_mul_f32_e32 v56, v57, v56
	v_pk_mul_f32 v[48:49], v[56:57], v[48:49] op_sel_hi:[0,1]
	v_pk_mul_f32 v[50:51], v[56:57], v[50:51] op_sel_hi:[0,1]
	v_cvt_f16_f32_e32 v50, v50
	v_cvt_f16_f32_e32 v51, v51
	;; [unrolled: 1-line block ×4, first 2 shown]
	v_pk_mul_f32 v[44:45], v[56:57], v[44:45] op_sel_hi:[0,1]
	v_pk_mul_f32 v[46:47], v[56:57], v[46:47] op_sel_hi:[0,1]
	v_cvt_f16_f32_e32 v46, v46
	v_cvt_f16_f32_e32 v47, v47
	;; [unrolled: 1-line block ×4, first 2 shown]
	v_pack_b32_f16 v50, v50, v51
	v_pack_b32_f16 v51, v48, v49
	v_lshlrev_b32_e32 v49, 3, v1
	v_lshlrev_b32_e32 v48, 5, v52
	;; [unrolled: 1-line block ×3, first 2 shown]
	v_or3_b32 v44, v44, v48, v49
	v_pack_b32_f16 v46, v46, v47
	v_pack_b32_f16 v47, v57, v45
	v_pk_mul_f32 v[38:39], v[56:57], v[38:39] op_sel_hi:[0,1]
	v_pk_mul_f32 v[40:41], v[56:57], v[40:41] op_sel_hi:[0,1]
	;; [unrolled: 1-line block ×4, first 2 shown]
	ds_write2st64_b64 v44, v[50:51], v[46:47] offset1:1
	v_cvt_f16_f32_e32 v40, v40
	v_cvt_f16_f32_e32 v41, v41
	;; [unrolled: 1-line block ×8, first 2 shown]
	v_pack_b32_f16 v34, v40, v41
	v_pack_b32_f16 v35, v38, v39
	;; [unrolled: 1-line block ×4, first 2 shown]
	v_cmp_gt_u32_e32 vcc, 14, v0
	ds_write2st64_b64 v44, v[34:35], v[36:37] offset0:2 offset1:3
	s_and_saveexec_b64 s[2:3], vcc
	s_cbranch_execz .LBB69_19
; %bb.18:
	v_add_co_u32_e32 v36, vcc, s29, v52
	v_addc_co_u32_e64 v37, s[10:11], 0, 0, vcc
	v_mov_b32_e32 v34, s9
	v_mov_b32_e32 v35, 0
	v_mad_u64_u32 v[36:37], s[10:11], s6, v34, v[36:37]
	v_mov_b32_e32 v34, s28
	s_load_dwordx4 s[12:15], s[4:5], 0x58
	s_mul_i32 s7, s7, s9
	v_mad_u64_u32 v[34:35], s[10:11], v36, s8, v[34:35]
	v_add_u32_e32 v37, s7, v37
	v_mov_b32_e32 v36, v35
	v_mad_u64_u32 v[36:37], s[10:11], v37, s8, v[36:37]
	v_mov_b32_e32 v35, v36
	v_lshlrev_b64 v[34:35], 2, v[34:35]
	s_waitcnt lgkmcnt(0)
	v_mov_b32_e32 v37, s15
	v_add_co_u32_e32 v36, vcc, s14, v34
	v_addc_co_u32_e32 v37, vcc, v37, v35, vcc
	global_store_dword v[36:37], v54, off
	v_mov_b32_e32 v36, s13
	v_add_co_u32_e32 v34, vcc, s12, v34
	v_addc_co_u32_e32 v35, vcc, v36, v35, vcc
	global_store_dword v[34:35], v55, off
.LBB69_19:
	s_or_b64 exec, exec, s[2:3]
	v_lshl_or_b32 v45, v1, 9, v48
	s_waitcnt lgkmcnt(0)
	s_barrier
	ds_read_b128 v[34:37], v45
	ds_read_b128 v[38:41], v45 offset:16
	s_waitcnt vmcnt(7) lgkmcnt(1)
	v_mfma_f32_16x16x16f16 v[46:49], v[14:15], v[34:35], 0
	v_cmp_gt_u32_e32 vcc, 64, v0
	s_mov_b32 s3, 0
	s_and_b64 s[0:1], vcc, s[0:1]
	v_mfma_f32_16x16x16f16 v[14:17], v[16:17], v[36:37], v[46:49]
	s_waitcnt vmcnt(6) lgkmcnt(0)
	v_mfma_f32_16x16x16f16 v[14:17], v[10:11], v[38:39], v[14:17]
	v_mfma_f32_16x16x16f16 v[10:13], v[12:13], v[40:41], v[14:17]
	s_nop 7
	s_nop 1
	ds_read_b128 v[14:17], v45 offset:2048
	ds_read_b128 v[34:37], v45 offset:2064
	s_waitcnt vmcnt(5) lgkmcnt(1)
	v_mfma_f32_16x16x16f16 v[10:13], v[6:7], v[14:15], v[10:13]
	v_mfma_f32_16x16x16f16 v[6:9], v[8:9], v[16:17], v[10:13]
	s_waitcnt vmcnt(4) lgkmcnt(0)
	v_mfma_f32_16x16x16f16 v[6:9], v[2:3], v[34:35], v[6:9]
	v_mfma_f32_16x16x16f16 v[2:5], v[4:5], v[36:37], v[6:9]
	s_nop 7
	s_nop 1
	ds_read_b128 v[6:9], v45 offset:4096
	ds_read_b128 v[10:13], v45 offset:4112
	s_waitcnt vmcnt(3) lgkmcnt(1)
	v_mfma_f32_16x16x16f16 v[2:5], v[30:31], v[6:7], v[2:5]
	v_mfma_f32_16x16x16f16 v[2:5], v[32:33], v[8:9], v[2:5]
	s_waitcnt vmcnt(2) lgkmcnt(0)
	v_mfma_f32_16x16x16f16 v[2:5], v[22:23], v[10:11], v[2:5]
	v_mfma_f32_16x16x16f16 v[2:5], v[24:25], v[12:13], v[2:5]
	ds_read_b128 v[6:9], v45 offset:6144
	ds_read_b128 v[10:13], v45 offset:6160
	s_waitcnt lgkmcnt(0)
	s_barrier
	s_waitcnt vmcnt(1)
	v_mfma_f32_16x16x16f16 v[2:5], v[26:27], v[6:7], v[2:5]
	v_mfma_f32_16x16x16f16 v[2:5], v[28:29], v[8:9], v[2:5]
	s_waitcnt vmcnt(0)
	v_mfma_f32_16x16x16f16 v[2:5], v[18:19], v[10:11], v[2:5]
	v_mfma_f32_16x16x16f16 v[2:5], v[20:21], v[12:13], v[2:5]
	s_nop 7
	s_nop 2
	v_cvt_f16_f32_e32 v2, v2
	v_cvt_f16_f32_e32 v3, v3
	;; [unrolled: 1-line block ×4, first 2 shown]
	v_pack_b32_f16 v2, v2, v3
	v_pack_b32_f16 v3, v4, v5
	ds_write_b64 v44, v[2:3]
	s_waitcnt lgkmcnt(0)
	s_barrier
	s_and_saveexec_b64 s[10:11], s[0:1]
	s_cbranch_execz .LBB69_22
; %bb.20:
	s_load_dwordx2 s[4:5], s[4:5], 0x68
	s_lshl_b32 s0, s8, 6
	s_mul_i32 s1, s9, s6
	s_mul_hi_u32 s7, s1, s0
	s_mul_i32 s6, s1, s0
	s_lshl_b64 s[6:7], s[6:7], 1
	s_waitcnt lgkmcnt(0)
	s_add_u32 s1, s4, s6
	v_lshlrev_b32_e32 v2, 10, v0
	v_lshlrev_b32_e32 v0, 4, v0
	s_addc_u32 s4, s5, s7
	s_lshl_b32 s2, s28, 6
	v_and_b32_e32 v2, 0x1800, v2
	v_lshlrev_b32_e32 v3, 5, v1
	v_and_b32_e32 v0, 16, v0
	s_lshl_b64 s[2:3], s[2:3], 1
	v_or3_b32 v0, v2, v3, v0
	s_add_u32 s1, s1, s2
	ds_read_b128 v[6:9], v0 offset:256
	v_or_b32_e32 v2, 12, v1
	s_addc_u32 s2, s4, s3
	ds_read_b128 v[10:13], v0 offset:128
	ds_read_b128 v[14:17], v0
	v_add_u32_e32 v1, s29, v1
	v_mov_b32_e32 v4, s2
	v_add_co_u32_e32 v3, vcc, s1, v42
	v_mad_u64_u32 v[18:19], s[2:3], v1, s0, 0
	v_addc_co_u32_e32 v4, vcc, v4, v43, vcc
	v_lshlrev_b64 v[18:19], 1, v[18:19]
	v_add_co_u32_e32 v18, vcc, v3, v18
	v_addc_co_u32_e32 v19, vcc, v4, v19, vcc
	v_add_u32_e32 v5, 4, v1
	s_waitcnt lgkmcnt(0)
	global_store_dwordx4 v[18:19], v[14:17], off
	v_add_u32_e32 v1, 8, v1
	v_mad_u64_u32 v[14:15], s[2:3], v5, s0, 0
	v_lshlrev_b64 v[14:15], 1, v[14:15]
	v_add_co_u32_e32 v14, vcc, v3, v14
	v_addc_co_u32_e32 v15, vcc, v4, v15, vcc
	global_store_dwordx4 v[14:15], v[10:13], off
	s_nop 0
	v_mad_u64_u32 v[10:11], s[2:3], v1, s0, 0
	v_lshlrev_b64 v[10:11], 1, v[10:11]
	v_add_co_u32_e32 v10, vcc, v3, v10
	v_addc_co_u32_e32 v11, vcc, v4, v11, vcc
	v_cmp_gt_u32_e32 vcc, 14, v2
	global_store_dwordx4 v[10:11], v[6:9], off
	s_and_b64 exec, exec, vcc
	s_cbranch_execz .LBB69_22
; %bb.21:
	ds_read_b128 v[6:9], v0 offset:384
	v_add_u32_e32 v0, s29, v2
	v_mad_u64_u32 v[0:1], s[0:1], v0, s0, 0
	v_lshlrev_b64 v[0:1], 1, v[0:1]
	v_add_co_u32_e32 v0, vcc, v3, v0
	v_addc_co_u32_e32 v1, vcc, v4, v1, vcc
	s_waitcnt lgkmcnt(0)
	global_store_dwordx4 v[0:1], v[6:9], off
.LBB69_22:
	s_endpgm
	.section	.rodata,"a",@progbits
	.p2align	6, 0x0
	.amdhsa_kernel _Z39paged_attention_ll4mi_QKV_mfma16_kernelIDF16_DF16_LN4vllm18Fp8KVCacheDataTypeE0EDF16_Li32ELi64ELi256ELb1ELi14EL8MFMAType0EEvPKT_PKT0_S8_ifPKiSA_SA_iPKfiiiPfSD_PS3_PT2_iSC_SC_
		.amdhsa_group_segment_fixed_size 8192
		.amdhsa_private_segment_fixed_size 0
		.amdhsa_kernarg_size 400
		.amdhsa_user_sgpr_count 6
		.amdhsa_user_sgpr_private_segment_buffer 1
		.amdhsa_user_sgpr_dispatch_ptr 0
		.amdhsa_user_sgpr_queue_ptr 0
		.amdhsa_user_sgpr_kernarg_segment_ptr 1
		.amdhsa_user_sgpr_dispatch_id 0
		.amdhsa_user_sgpr_flat_scratch_init 0
		.amdhsa_user_sgpr_kernarg_preload_length 0
		.amdhsa_user_sgpr_kernarg_preload_offset 0
		.amdhsa_user_sgpr_private_segment_size 0
		.amdhsa_uses_dynamic_stack 0
		.amdhsa_system_sgpr_private_segment_wavefront_offset 0
		.amdhsa_system_sgpr_workgroup_id_x 1
		.amdhsa_system_sgpr_workgroup_id_y 1
		.amdhsa_system_sgpr_workgroup_id_z 1
		.amdhsa_system_sgpr_workgroup_info 0
		.amdhsa_system_vgpr_workitem_id 0
		.amdhsa_next_free_vgpr 66
		.amdhsa_next_free_sgpr 48
		.amdhsa_accum_offset 68
		.amdhsa_reserve_vcc 1
		.amdhsa_reserve_flat_scratch 0
		.amdhsa_float_round_mode_32 0
		.amdhsa_float_round_mode_16_64 0
		.amdhsa_float_denorm_mode_32 3
		.amdhsa_float_denorm_mode_16_64 3
		.amdhsa_dx10_clamp 1
		.amdhsa_ieee_mode 1
		.amdhsa_fp16_overflow 0
		.amdhsa_tg_split 0
		.amdhsa_exception_fp_ieee_invalid_op 0
		.amdhsa_exception_fp_denorm_src 0
		.amdhsa_exception_fp_ieee_div_zero 0
		.amdhsa_exception_fp_ieee_overflow 0
		.amdhsa_exception_fp_ieee_underflow 0
		.amdhsa_exception_fp_ieee_inexact 0
		.amdhsa_exception_int_div_zero 0
	.end_amdhsa_kernel
	.section	.text._Z39paged_attention_ll4mi_QKV_mfma16_kernelIDF16_DF16_LN4vllm18Fp8KVCacheDataTypeE0EDF16_Li32ELi64ELi256ELb1ELi14EL8MFMAType0EEvPKT_PKT0_S8_ifPKiSA_SA_iPKfiiiPfSD_PS3_PT2_iSC_SC_,"axG",@progbits,_Z39paged_attention_ll4mi_QKV_mfma16_kernelIDF16_DF16_LN4vllm18Fp8KVCacheDataTypeE0EDF16_Li32ELi64ELi256ELb1ELi14EL8MFMAType0EEvPKT_PKT0_S8_ifPKiSA_SA_iPKfiiiPfSD_PS3_PT2_iSC_SC_,comdat
.Lfunc_end69:
	.size	_Z39paged_attention_ll4mi_QKV_mfma16_kernelIDF16_DF16_LN4vllm18Fp8KVCacheDataTypeE0EDF16_Li32ELi64ELi256ELb1ELi14EL8MFMAType0EEvPKT_PKT0_S8_ifPKiSA_SA_iPKfiiiPfSD_PS3_PT2_iSC_SC_, .Lfunc_end69-_Z39paged_attention_ll4mi_QKV_mfma16_kernelIDF16_DF16_LN4vllm18Fp8KVCacheDataTypeE0EDF16_Li32ELi64ELi256ELb1ELi14EL8MFMAType0EEvPKT_PKT0_S8_ifPKiSA_SA_iPKfiiiPfSD_PS3_PT2_iSC_SC_
                                        ; -- End function
	.section	.AMDGPU.csdata,"",@progbits
; Kernel info:
; codeLenInByte = 4452
; NumSgprs: 52
; NumVgprs: 66
; NumAgprs: 0
; TotalNumVgprs: 66
; ScratchSize: 0
; MemoryBound: 0
; FloatMode: 240
; IeeeMode: 1
; LDSByteSize: 8192 bytes/workgroup (compile time only)
; SGPRBlocks: 6
; VGPRBlocks: 8
; NumSGPRsForWavesPerEU: 52
; NumVGPRsForWavesPerEU: 66
; AccumOffset: 68
; Occupancy: 7
; WaveLimiterHint : 1
; COMPUTE_PGM_RSRC2:SCRATCH_EN: 0
; COMPUTE_PGM_RSRC2:USER_SGPR: 6
; COMPUTE_PGM_RSRC2:TRAP_HANDLER: 0
; COMPUTE_PGM_RSRC2:TGID_X_EN: 1
; COMPUTE_PGM_RSRC2:TGID_Y_EN: 1
; COMPUTE_PGM_RSRC2:TGID_Z_EN: 1
; COMPUTE_PGM_RSRC2:TIDIG_COMP_CNT: 0
; COMPUTE_PGM_RSRC3_GFX90A:ACCUM_OFFSET: 16
; COMPUTE_PGM_RSRC3_GFX90A:TG_SPLIT: 0
	.section	.text._Z39paged_attention_ll4mi_QKV_mfma16_kernelIDF16_DF16_LN4vllm18Fp8KVCacheDataTypeE0EDF16_Li32ELi64ELi256ELb1ELi15EL8MFMAType0EEvPKT_PKT0_S8_ifPKiSA_SA_iPKfiiiPfSD_PS3_PT2_iSC_SC_,"axG",@progbits,_Z39paged_attention_ll4mi_QKV_mfma16_kernelIDF16_DF16_LN4vllm18Fp8KVCacheDataTypeE0EDF16_Li32ELi64ELi256ELb1ELi15EL8MFMAType0EEvPKT_PKT0_S8_ifPKiSA_SA_iPKfiiiPfSD_PS3_PT2_iSC_SC_,comdat
	.protected	_Z39paged_attention_ll4mi_QKV_mfma16_kernelIDF16_DF16_LN4vllm18Fp8KVCacheDataTypeE0EDF16_Li32ELi64ELi256ELb1ELi15EL8MFMAType0EEvPKT_PKT0_S8_ifPKiSA_SA_iPKfiiiPfSD_PS3_PT2_iSC_SC_ ; -- Begin function _Z39paged_attention_ll4mi_QKV_mfma16_kernelIDF16_DF16_LN4vllm18Fp8KVCacheDataTypeE0EDF16_Li32ELi64ELi256ELb1ELi15EL8MFMAType0EEvPKT_PKT0_S8_ifPKiSA_SA_iPKfiiiPfSD_PS3_PT2_iSC_SC_
	.globl	_Z39paged_attention_ll4mi_QKV_mfma16_kernelIDF16_DF16_LN4vllm18Fp8KVCacheDataTypeE0EDF16_Li32ELi64ELi256ELb1ELi15EL8MFMAType0EEvPKT_PKT0_S8_ifPKiSA_SA_iPKfiiiPfSD_PS3_PT2_iSC_SC_
	.p2align	8
	.type	_Z39paged_attention_ll4mi_QKV_mfma16_kernelIDF16_DF16_LN4vllm18Fp8KVCacheDataTypeE0EDF16_Li32ELi64ELi256ELb1ELi15EL8MFMAType0EEvPKT_PKT0_S8_ifPKiSA_SA_iPKfiiiPfSD_PS3_PT2_iSC_SC_,@function
_Z39paged_attention_ll4mi_QKV_mfma16_kernelIDF16_DF16_LN4vllm18Fp8KVCacheDataTypeE0EDF16_Li32ELi64ELi256ELb1ELi15EL8MFMAType0EEvPKT_PKT0_S8_ifPKiSA_SA_iPKfiiiPfSD_PS3_PT2_iSC_SC_: ; @_Z39paged_attention_ll4mi_QKV_mfma16_kernelIDF16_DF16_LN4vllm18Fp8KVCacheDataTypeE0EDF16_Li32ELi64ELi256ELb1ELi15EL8MFMAType0EEvPKT_PKT0_S8_ifPKiSA_SA_iPKfiiiPfSD_PS3_PT2_iSC_SC_
; %bb.0:
	s_load_dwordx2 s[0:1], s[4:5], 0x30
	s_mov_b32 s28, s7
	s_mov_b64 s[10:11], 0
	s_waitcnt lgkmcnt(0)
	s_cmp_lg_u64 s[0:1], 0
	s_cselect_b64 s[2:3], -1, 0
	s_and_b64 vcc, exec, s[2:3]
	s_cbranch_vccz .LBB70_7
; %bb.1:
	s_add_i32 s12, s6, 1
	s_mov_b32 s13, 0
	s_lshl_b64 s[14:15], s[12:13], 2
	s_add_u32 s14, s0, s14
	s_mov_b32 s7, s13
	s_addc_u32 s15, s1, s15
	s_lshl_b64 s[12:13], s[6:7], 2
	s_add_u32 s12, s0, s12
	s_addc_u32 s13, s1, s13
	s_load_dword s9, s[14:15], 0x0
	s_load_dword s16, s[12:13], 0x0
	s_waitcnt lgkmcnt(0)
	s_sub_i32 s9, s9, s16
	s_cmp_eq_u32 s9, 1
	s_cselect_b64 s[12:13], -1, 0
	s_andn2_b64 vcc, exec, s[10:11]
	s_cbranch_vccnz .LBB70_3
.LBB70_2:
	s_mov_b32 s7, 0
	s_mov_b64 s[12:13], -1
.LBB70_3:
	s_andn2_b64 vcc, exec, s[12:13]
	s_cbranch_vccnz .LBB70_22
; %bb.4:
	s_load_dwordx2 s[12:13], s[4:5], 0x28
	s_lshl_b64 s[10:11], s[6:7], 2
	s_waitcnt lgkmcnt(0)
	s_add_u32 s12, s12, s10
	s_addc_u32 s13, s13, s11
	s_load_dword s33, s[12:13], 0x0
	s_lshl_b32 s14, s28, 8
	s_waitcnt lgkmcnt(0)
	s_cmp_ge_i32 s14, s33
	s_cbranch_scc1 .LBB70_22
; %bb.5:
	s_add_i32 s15, s33, 31
	s_load_dwordx2 s[12:13], s[4:5], 0x20
	s_load_dword s9, s[4:5], 0x38
	s_ashr_i32 s16, s15, 31
	v_and_b32_e32 v1, 0xcf, v0
	s_lshr_b32 s16, s16, 27
	v_add_u32_e32 v1, s14, v1
	s_add_i32 s15, s15, s16
	v_ashrrev_i32_e32 v2, 31, v1
	s_ashr_i32 s17, s15, 5
	v_lshrrev_b32_e32 v6, 27, v2
	s_add_i32 s17, s17, -1
	v_add_u32_e32 v2, v1, v6
	s_waitcnt lgkmcnt(0)
	s_mul_i32 s18, s6, s9
	s_mov_b32 s19, 0
	v_ashrrev_i32_e32 v2, 5, v2
	v_mov_b32_e32 v7, s17
	v_cmp_gt_i32_e32 vcc, s33, v1
	s_lshl_b64 s[18:19], s[18:19], 2
	v_cndmask_b32_e32 v2, v7, v2, vcc
	s_add_u32 s15, s12, s18
	v_ashrrev_i32_e32 v3, 31, v2
	s_addc_u32 s16, s13, s19
	v_lshlrev_b64 v[2:3], 2, v[2:3]
	v_mov_b32_e32 v4, s16
	v_add_co_u32_e32 v2, vcc, s15, v2
	v_addc_co_u32_e32 v3, vcc, v4, v3, vcc
	v_or_b32_e32 v4, 16, v1
	v_add_u32_e32 v5, v4, v6
	v_ashrrev_i32_e32 v5, 5, v5
	v_cmp_gt_i32_e32 vcc, s33, v4
	v_cndmask_b32_e32 v4, v7, v5, vcc
	v_ashrrev_i32_e32 v5, 31, v4
	v_lshlrev_b64 v[4:5], 2, v[4:5]
	v_mov_b32_e32 v9, s16
	v_add_co_u32_e32 v8, vcc, s15, v4
	v_or_b32_e32 v4, 32, v1
	v_addc_co_u32_e32 v9, vcc, v9, v5, vcc
	v_add_u32_e32 v5, v4, v6
	v_ashrrev_i32_e32 v5, 5, v5
	v_cmp_gt_i32_e32 vcc, s33, v4
	v_cndmask_b32_e32 v4, v7, v5, vcc
	v_ashrrev_i32_e32 v5, 31, v4
	v_lshlrev_b64 v[4:5], 2, v[4:5]
	v_mov_b32_e32 v11, s16
	v_add_co_u32_e32 v10, vcc, s15, v4
	v_or_b32_e32 v1, 48, v1
	v_addc_co_u32_e32 v11, vcc, v11, v5, vcc
	v_add_u32_e32 v4, v1, v6
	v_ashrrev_i32_e32 v4, 5, v4
	v_cmp_gt_i32_e32 vcc, s33, v1
	v_cndmask_b32_e32 v4, v7, v4, vcc
	v_ashrrev_i32_e32 v5, 31, v4
	v_lshlrev_b64 v[4:5], 2, v[4:5]
	v_mov_b32_e32 v1, s16
	v_add_co_u32_e32 v12, vcc, s15, v4
	v_addc_co_u32_e32 v13, vcc, v1, v5, vcc
	global_load_dword v7, v[2:3], off
	global_load_dword v6, v[8:9], off
	;; [unrolled: 1-line block ×4, first 2 shown]
	s_andn2_b64 vcc, exec, s[2:3]
	s_cbranch_vccnz .LBB70_8
; %bb.6:
	s_add_u32 s0, s0, s10
	s_addc_u32 s1, s1, s11
	s_load_dword s9, s[0:1], 0x0
	s_branch .LBB70_9
.LBB70_7:
	s_mov_b64 s[12:13], 0
	s_branch .LBB70_2
.LBB70_8:
	s_mov_b32 s9, s6
.LBB70_9:
	s_load_dwordx2 s[10:11], s[4:5], 0x8
	s_load_dwordx4 s[44:47], s[4:5], 0x48
	v_lshrrev_b32_e32 v53, 6, v0
	v_bfe_u32 v1, v0, 4, 2
	v_lshl_or_b32 v8, v53, 2, v1
	v_and_b32_e32 v52, 15, v0
	v_cmp_lt_u32_e32 vcc, 14, v8
	v_cmp_lt_u32_e64 s[2:3], 7, v52
	v_lshlrev_b32_e32 v2, 3, v52
	v_cmp_gt_u32_e64 s[0:1], 8, v52
	s_or_b64 s[2:3], s[2:3], vcc
	s_and_saveexec_b64 s[12:13], s[2:3]
	s_xor_b64 s[2:3], exec, s[12:13]
; %bb.10:
	v_mov_b32_e32 v3, 0
                                        ; implicit-def: $vgpr8
; %bb.11:
	s_or_saveexec_b64 s[12:13], s[2:3]
	s_load_dwordx2 s[2:3], s[4:5], 0x10
	s_mul_i32 s29, s8, 15
	s_xor_b64 exec, exec, s[12:13]
	s_cbranch_execz .LBB70_13
; %bb.12:
	s_load_dwordx2 s[18:19], s[4:5], 0x0
	s_waitcnt lgkmcnt(0)
	s_ashr_i32 s20, s44, 31
	s_mul_hi_u32 s21, s9, s44
	s_mul_i32 s20, s9, s20
	s_add_i32 s21, s21, s20
	s_mul_i32 s20, s9, s44
	s_lshl_b64 s[20:21], s[20:21], 1
	v_add_lshl_u32 v10, v8, s29, 6
	s_add_u32 s9, s18, s20
	v_ashrrev_i32_e32 v11, 31, v10
	s_addc_u32 s18, s19, s21
	v_lshlrev_b64 v[10:11], 1, v[10:11]
	v_mov_b32_e32 v3, s18
	v_add_co_u32_e32 v9, vcc, s9, v10
	v_addc_co_u32_e32 v3, vcc, v3, v11, vcc
	v_lshlrev_b32_e32 v10, 1, v2
	v_add_co_u32_e32 v10, vcc, v9, v10
	v_addc_co_u32_e32 v11, vcc, 0, v3, vcc
	global_load_dwordx4 v[10:13], v[10:11], off
	v_and_b32_e32 v9, 3, v0
	v_lshlrev_b32_e32 v14, 9, v52
	v_lshlrev_b32_e32 v8, 5, v8
	;; [unrolled: 1-line block ×3, first 2 shown]
	v_and_b32_e32 v14, 0x1800, v14
	v_mov_b32_e32 v3, 0
	v_or3_b32 v8, v14, v9, v8
	s_waitcnt vmcnt(0)
	ds_write_b128 v8, v[10:13]
.LBB70_13:
	s_or_b64 exec, exec, s[12:13]
	s_waitcnt lgkmcnt(0)
	s_mov_b32 s9, 0
	s_mul_i32 s8, s8, s46
	s_lshl_b64 s[8:9], s[8:9], 1
	s_add_u32 s12, s10, s8
	s_addc_u32 s13, s11, s9
	s_waitcnt vmcnt(3)
	v_mad_i64_i32 v[8:9], s[10:11], v7, s45, 0
	v_lshlrev_b64 v[8:9], 1, v[8:9]
	v_mov_b32_e32 v7, s13
	v_add_co_u32_e32 v8, vcc, s12, v8
	v_addc_co_u32_e32 v7, vcc, v7, v9, vcc
	v_lshlrev_b64 v[42:43], 1, v[2:3]
	v_add_co_u32_e32 v2, vcc, v8, v42
	v_lshlrev_b32_e32 v24, 9, v1
	v_addc_co_u32_e32 v3, vcc, v7, v43, vcc
	v_add_co_u32_e32 v2, vcc, v2, v24
	v_addc_co_u32_e32 v3, vcc, 0, v3, vcc
	s_barrier
	global_load_dwordx4 v[38:41], v[2:3], off
	global_load_dwordx4 v[34:37], v[2:3], off offset:2048
	s_waitcnt vmcnt(4)
	v_mad_i64_i32 v[2:3], s[10:11], v6, s45, 0
	v_lshlrev_b64 v[2:3], 1, v[2:3]
	v_mov_b32_e32 v6, s13
	v_add_co_u32_e32 v2, vcc, s12, v2
	v_addc_co_u32_e32 v3, vcc, v6, v3, vcc
	v_mov_b32_e32 v6, 0x100
	v_lshl_or_b32 v18, v52, 4, v6
	v_add_co_u32_e32 v2, vcc, v2, v18
	v_addc_co_u32_e32 v3, vcc, 0, v3, vcc
	v_add_co_u32_e32 v2, vcc, v2, v24
	v_addc_co_u32_e32 v3, vcc, 0, v3, vcc
	global_load_dwordx4 v[30:33], v[2:3], off
	global_load_dwordx4 v[14:17], v[2:3], off offset:2048
	s_waitcnt vmcnt(5)
	v_mad_i64_i32 v[2:3], s[10:11], v5, s45, 0
	v_lshlrev_b64 v[2:3], 1, v[2:3]
	v_mov_b32_e32 v5, s13
	v_add_co_u32_e32 v2, vcc, s12, v2
	v_addc_co_u32_e32 v3, vcc, v5, v3, vcc
	v_add_co_u32_e32 v2, vcc, v2, v42
	v_addc_co_u32_e32 v3, vcc, v3, v43, vcc
	;; [unrolled: 2-line block ×3, first 2 shown]
	global_load_dwordx4 v[10:13], v[2:3], off
	global_load_dwordx4 v[6:9], v[2:3], off offset:2048
	s_waitcnt vmcnt(6)
	v_mad_i64_i32 v[2:3], s[10:11], v4, s45, 0
	v_lshlrev_b64 v[2:3], 1, v[2:3]
	v_mov_b32_e32 v4, s13
	v_add_co_u32_e32 v2, vcc, s12, v2
	v_addc_co_u32_e32 v3, vcc, v4, v3, vcc
	v_add_co_u32_e32 v2, vcc, v2, v18
	v_addc_co_u32_e32 v3, vcc, 0, v3, vcc
	;; [unrolled: 2-line block ×3, first 2 shown]
	global_load_dwordx4 v[2:5], v[22:23], off
	global_load_dwordx4 v[18:21], v[22:23], off offset:2048
	v_cmp_ne_u32_e32 vcc, 15, v52
	v_cndmask_b32_e32 v22, 0, v52, vcc
	v_lshl_or_b32 v22, v22, 5, v24
	ds_read_b128 v[26:29], v22
	ds_read_b128 v[22:25], v22 offset:2048
	v_and_b32_e32 v54, 63, v0
	v_mov_b32_e32 v50, 0
	s_and_saveexec_b64 s[10:11], vcc
	s_cbranch_execz .LBB70_15
; %bb.14:
	s_load_dwordx2 s[12:13], s[4:5], 0x40
	v_add_u32_e32 v44, s29, v52
	v_ashrrev_i32_e32 v45, 31, v44
	v_lshlrev_b64 v[44:45], 2, v[44:45]
	s_waitcnt lgkmcnt(0)
	v_mov_b32_e32 v46, s13
	v_add_co_u32_e32 v44, vcc, s12, v44
	v_addc_co_u32_e32 v45, vcc, v46, v45, vcc
	global_load_dword v50, v[44:45], off
.LBB70_15:
	s_or_b64 exec, exec, s[10:11]
	s_waitcnt vmcnt(7) lgkmcnt(1)
	v_mfma_f32_16x16x16f16 v[44:47], v[38:39], v[26:27], 0
	s_ashr_i32 s10, s14, 31
	s_lshr_b32 s11, s10, 27
	v_mov_b32_e32 v49, s16
	s_add_u32 s2, s2, s8
	s_addc_u32 s3, s3, s9
	s_load_dword s10, s[4:5], 0x1c
	s_mov_b32 s42, 0xff7fffff
	v_mfma_f32_16x16x16f16 v[38:41], v[40:41], v[28:29], v[44:47]
	s_waitcnt vmcnt(6) lgkmcnt(0)
	v_mfma_f32_16x16x16f16 v[38:41], v[34:35], v[22:23], v[38:41]
	s_nop 4
	v_and_or_b32 v46, v0, 48, s14
	v_add_u32_e32 v34, s11, v46
	v_ashrrev_i32_e32 v34, 5, v34
	v_mov_b32_e32 v47, s17
	v_cmp_gt_i32_e32 vcc, s33, v46
	v_cndmask_b32_e32 v34, v47, v34, vcc
	v_ashrrev_i32_e32 v35, 31, v34
	v_lshlrev_b64 v[44:45], 2, v[34:35]
	v_mfma_f32_16x16x16f16 v[34:37], v[36:37], v[24:25], v[38:41]
	s_nop 6
	v_mov_b32_e32 v39, s16
	v_add_co_u32_e32 v38, vcc, s15, v44
	v_addc_co_u32_e32 v39, vcc, v39, v45, vcc
	global_load_dword v48, v[38:39], off
	s_waitcnt vmcnt(6)
	v_mfma_f32_16x16x16f16 v[38:41], v[30:31], v[26:27], 0
	v_or_b32_e32 v44, 64, v46
	v_add_u32_e32 v30, s11, v44
	v_ashrrev_i32_e32 v30, 5, v30
	v_cmp_gt_i32_e32 vcc, s33, v44
	v_cndmask_b32_e32 v30, v47, v30, vcc
	v_ashrrev_i32_e32 v31, 31, v30
	v_lshlrev_b64 v[44:45], 2, v[30:31]
	v_mfma_f32_16x16x16f16 v[30:33], v[32:33], v[28:29], v[38:41]
	s_nop 6
	v_add_co_u32_e32 v38, vcc, s15, v44
	v_addc_co_u32_e32 v39, vcc, v49, v45, vcc
	global_load_dword v40, v[38:39], off
	v_or_b32_e32 v38, 0x80, v46
	v_add_u32_e32 v39, s11, v38
	v_ashrrev_i32_e32 v39, 5, v39
	v_cmp_gt_i32_e32 vcc, s33, v38
	v_cndmask_b32_e32 v38, v47, v39, vcc
	v_ashrrev_i32_e32 v39, 31, v38
	s_waitcnt vmcnt(6)
	v_mfma_f32_16x16x16f16 v[30:33], v[14:15], v[22:23], v[30:33]
	v_lshlrev_b64 v[14:15], 2, v[38:39]
	v_mov_b32_e32 v38, s16
	v_add_co_u32_e32 v14, vcc, s15, v14
	v_addc_co_u32_e32 v15, vcc, v38, v15, vcc
	global_load_dword v41, v[14:15], off
	v_mfma_f32_16x16x16f16 v[30:33], v[16:17], v[24:25], v[30:33]
	v_or_b32_e32 v38, 0xc0, v46
	v_cmp_gt_i32_e32 vcc, s33, v38
	v_mov_b32_e32 v44, s16
	s_waitcnt vmcnt(6)
	v_mfma_f32_16x16x16f16 v[14:17], v[10:11], v[26:27], 0
	v_add_u32_e32 v10, s11, v38
	v_ashrrev_i32_e32 v10, 5, v10
	v_cndmask_b32_e32 v10, v47, v10, vcc
	v_ashrrev_i32_e32 v11, 31, v10
	v_lshlrev_b64 v[38:39], 2, v[10:11]
	s_nop 0
	v_pk_mul_f32 v[46:47], s[10:11], v[30:31] op_sel_hi:[0,1]
	v_mfma_f32_16x16x16f16 v[10:13], v[12:13], v[28:29], v[14:17]
	s_nop 6
	v_add_co_u32_e32 v14, vcc, s15, v38
	s_waitcnt vmcnt(5)
	v_mfma_f32_16x16x16f16 v[10:13], v[6:7], v[22:23], v[10:13]
	v_addc_co_u32_e32 v15, vcc, v44, v39, vcc
	global_load_dword v51, v[14:15], off
	v_and_b32_e32 v14, 16, v0
	v_lshlrev_b32_e32 v14, 1, v14
	v_mov_b32_e32 v6, s3
	v_add_co_u32_e32 v7, vcc, s2, v14
	v_lshlrev_b32_e32 v14, 6, v52
	v_addc_co_u32_e32 v6, vcc, 0, v6, vcc
	v_lshl_or_b32 v14, v53, 10, v14
	v_add_co_u32_e32 v55, vcc, v7, v14
	v_addc_co_u32_e32 v60, vcc, 0, v6, vcc
	v_mfma_f32_16x16x16f16 v[56:59], v[8:9], v[24:25], v[10:13]
	s_waitcnt vmcnt(3)
	v_mad_i64_i32 v[6:7], s[2:3], v48, s45, 0
	v_pk_mul_f32 v[48:49], s[10:11], v[36:37] op_sel_hi:[0,1]
	v_pk_mul_f32 v[44:45], s[10:11], v[32:33] op_sel_hi:[0,1]
	s_waitcnt vmcnt(1)
	v_mad_i64_i32 v[38:39], s[2:3], v41, s45, 0
	s_nop 0
	v_lshlrev_b64 v[10:11], 1, v[6:7]
	v_mfma_f32_16x16x16f16 v[6:9], v[2:3], v[26:27], 0
	v_add_co_u32_e32 v2, vcc, v55, v10
	v_addc_co_u32_e32 v3, vcc, v60, v11, vcc
	global_load_dwordx4 v[14:17], v[2:3], off
	global_load_dwordx4 v[10:13], v[2:3], off offset:16
	v_mad_i64_i32 v[2:3], s[2:3], v40, s45, 0
	v_mfma_f32_16x16x16f16 v[26:29], v[4:5], v[28:29], v[6:9]
	v_lshlrev_b64 v[2:3], 1, v[2:3]
	v_add_co_u32_e32 v2, vcc, v55, v2
	v_addc_co_u32_e32 v3, vcc, v60, v3, vcc
	v_lshlrev_b64 v[38:39], 1, v[38:39]
	v_pk_mul_f32 v[40:41], s[10:11], v[56:57] op_sel_hi:[0,1]
	v_mfma_f32_16x16x16f16 v[26:29], v[18:19], v[22:23], v[26:29]
	v_pk_mul_f32 v[18:19], s[10:11], v[34:35] op_sel_hi:[0,1]
	v_add_co_u32_e32 v22, vcc, v55, v38
	v_addc_co_u32_e32 v23, vcc, v60, v39, vcc
	v_pk_mul_f32 v[38:39], s[10:11], v[58:59] op_sel_hi:[0,1]
	global_load_dwordx4 v[6:9], v[2:3], off
	s_nop 0
	global_load_dwordx4 v[2:5], v[2:3], off offset:16
	v_mfma_f32_16x16x16f16 v[24:27], v[20:21], v[24:25], v[26:29]
	v_and_b32_e32 v20, 0xc0, v0
	v_add_u32_e32 v20, s14, v20
	v_lshl_or_b32 v20, v1, 2, v20
	v_or_b32_e32 v21, 1, v20
	v_cmp_gt_i32_e64 s[30:31], s33, v20
	v_cmp_gt_i32_e64 s[34:35], s33, v21
	s_nop 4
	v_pk_mul_f32 v[36:37], s[10:11], v[24:25] op_sel_hi:[0,1]
	v_subrev_u32_e32 v24, s33, v21
	v_pk_mul_f32 v[34:35], s[10:11], v[26:27] op_sel_hi:[0,1]
	v_add_u32_e32 v26, 1, v24
	v_add_u32_e32 v27, 2, v24
	v_cvt_f32_i32_e32 v25, v24
	v_cvt_f32_i32_e32 v26, v26
	;; [unrolled: 1-line block ×3, first 2 shown]
	v_add_u32_e32 v28, 3, v24
	v_fma_f32 v18, v50, v25, v18
	v_fmac_f32_e32 v19, v50, v26
	v_fma_f32 v48, v50, v27, v48
	v_add_u32_e32 v25, 16, v24
	v_add_u32_e32 v26, 17, v24
	;; [unrolled: 1-line block ×3, first 2 shown]
	v_cvt_f32_i32_e32 v28, v28
	v_cvt_f32_i32_e32 v25, v25
	;; [unrolled: 1-line block ×4, first 2 shown]
	v_fmac_f32_e32 v49, v50, v28
	v_add_u32_e32 v28, 19, v24
	v_fma_f32 v46, v50, v25, v46
	v_fmac_f32_e32 v47, v50, v26
	v_fma_f32 v44, v50, v27, v44
	v_add_u32_e32 v25, 32, v24
	v_add_u32_e32 v26, 33, v24
	;; [unrolled: 1-line block ×3, first 2 shown]
	v_cvt_f32_i32_e32 v28, v28
	v_cvt_f32_i32_e32 v25, v25
	;; [unrolled: 1-line block ×4, first 2 shown]
	v_fmac_f32_e32 v45, v50, v28
	v_add_u32_e32 v28, 35, v24
	v_fma_f32 v40, v50, v25, v40
	v_fmac_f32_e32 v41, v50, v26
	v_fma_f32 v38, v50, v27, v38
	v_add_u32_e32 v25, 48, v24
	v_add_u32_e32 v26, 49, v24
	;; [unrolled: 1-line block ×4, first 2 shown]
	v_cvt_f32_i32_e32 v24, v24
	v_cvt_f32_i32_e32 v25, v25
	;; [unrolled: 1-line block ×4, first 2 shown]
	v_fmac_f32_e32 v35, v50, v24
	v_mov_b32_e32 v24, 0xff7fffff
	v_fma_f32 v36, v50, v25, v36
	v_cndmask_b32_e64 v25, v24, v18, s[30:31]
	v_cndmask_b32_e64 v21, v24, v19, s[34:35]
	v_fmac_f32_e32 v37, v50, v26
	v_max3_f32 v21, v25, s42, v21
	v_or_b32_e32 v25, 2, v20
	v_or_b32_e32 v26, 3, v20
	v_cmp_gt_i32_e64 s[36:37], s33, v25
	v_cmp_gt_i32_e64 s[38:39], s33, v26
	v_cndmask_b32_e64 v25, v24, v48, s[36:37]
	v_cndmask_b32_e64 v26, v24, v49, s[38:39]
	v_max3_f32 v21, v21, v25, v26
	v_or_b32_e32 v25, 16, v20
	v_or_b32_e32 v26, 17, v20
	v_cmp_gt_i32_e64 s[24:25], s33, v25
	v_cmp_gt_i32_e64 s[26:27], s33, v26
	v_cndmask_b32_e64 v25, v24, v46, s[24:25]
	v_cndmask_b32_e64 v26, v24, v47, s[26:27]
	;; [unrolled: 7-line block ×4, first 2 shown]
	v_max3_f32 v21, v21, v25, v26
	v_or_b32_e32 v25, 34, v20
	v_or_b32_e32 v26, 35, v20
	v_fmac_f32_e32 v39, v50, v28
	v_cmp_gt_i32_e64 s[12:13], s33, v25
	v_cmp_gt_i32_e64 s[14:15], s33, v26
	v_cndmask_b32_e64 v25, v24, v38, s[12:13]
	v_cndmask_b32_e64 v26, v24, v39, s[14:15]
	v_cvt_f32_i32_e32 v27, v27
	v_max3_f32 v21, v21, v25, v26
	v_or_b32_e32 v25, 48, v20
	v_or_b32_e32 v26, 49, v20
	v_cmp_gt_i32_e64 s[8:9], s33, v25
	v_cmp_gt_i32_e64 s[10:11], s33, v26
	v_cndmask_b32_e64 v25, v24, v36, s[8:9]
	v_cndmask_b32_e64 v26, v24, v37, s[10:11]
	v_max3_f32 v21, v21, v25, v26
	v_or_b32_e32 v25, 50, v20
	v_or_b32_e32 v20, 51, v20
	v_fma_f32 v34, v50, v27, v34
	v_cmp_gt_i32_e32 vcc, s33, v25
	v_cmp_gt_i32_e64 s[2:3], s33, v20
	v_cndmask_b32_e32 v25, v24, v34, vcc
	v_cndmask_b32_e64 v20, v24, v35, s[2:3]
	v_max3_f32 v26, v21, v25, v20
	v_mbcnt_lo_u32_b32 v20, -1, 0
	v_mbcnt_hi_u32_b32 v27, -1, v20
	v_and_b32_e32 v20, 64, v27
	v_add_u32_e32 v28, 64, v20
	v_xor_b32_e32 v20, 32, v27
	v_cmp_lt_i32_e64 s[40:41], v20, v28
	v_cndmask_b32_e64 v20, v27, v20, s[40:41]
	v_lshlrev_b32_e32 v56, 2, v20
	ds_bpermute_b32 v29, v56, v26
	s_waitcnt vmcnt(4)
	v_mad_i64_i32 v[20:21], s[40:41], v51, s45, 0
	v_lshlrev_b64 v[20:21], 1, v[20:21]
	global_load_dwordx4 v[30:33], v[22:23], off
	s_nop 0
	global_load_dwordx4 v[22:25], v[22:23], off offset:16
	s_waitcnt lgkmcnt(0)
	v_max_f32_e32 v29, v29, v29
	v_max_f32_e32 v26, v26, v29
	v_xor_b32_e32 v29, 16, v27
	v_cmp_lt_i32_e64 s[40:41], v29, v28
	v_cndmask_b32_e64 v27, v27, v29, s[40:41]
	v_lshlrev_b32_e32 v58, 2, v27
	ds_bpermute_b32 v27, v58, v26
	v_add_co_u32_e64 v20, s[40:41], v55, v20
	v_addc_co_u32_e64 v21, s[40:41], v60, v21, s[40:41]
	s_waitcnt lgkmcnt(0)
	v_max_f32_e32 v27, v27, v27
	v_max_f32_e32 v55, v26, v27
	v_sub_f32_e32 v18, v18, v55
	v_mul_f32_e32 v18, 0x3fb8aa3b, v18
	v_exp_f32_e32 v50, v18
	v_sub_f32_e32 v18, v19, v55
	v_mul_f32_e32 v18, 0x3fb8aa3b, v18
	v_exp_f32_e32 v51, v18
	global_load_dwordx4 v[26:29], v[20:21], off
	s_nop 0
	global_load_dwordx4 v[18:21], v[20:21], off offset:16
	v_sub_f32_e32 v48, v48, v55
	v_mul_f32_e32 v48, 0x3fb8aa3b, v48
	v_sub_f32_e32 v49, v49, v55
	v_exp_f32_e32 v48, v48
	v_mul_f32_e32 v49, 0x3fb8aa3b, v49
	v_sub_f32_e32 v46, v46, v55
	v_exp_f32_e32 v49, v49
	v_mul_f32_e32 v46, 0x3fb8aa3b, v46
	v_sub_f32_e32 v47, v47, v55
	v_cndmask_b32_e64 v50, 0, v50, s[30:31]
	v_exp_f32_e32 v46, v46
	v_mul_f32_e32 v47, 0x3fb8aa3b, v47
	v_sub_f32_e32 v44, v44, v55
	v_add_f32_e32 v57, 0, v50
	v_cndmask_b32_e64 v51, 0, v51, s[34:35]
	v_exp_f32_e32 v47, v47
	v_mul_f32_e32 v44, 0x3fb8aa3b, v44
	v_sub_f32_e32 v45, v45, v55
	v_add_f32_e32 v57, v57, v51
	;; [unrolled: 5-line block ×10, first 2 shown]
	v_cndmask_b32_e64 v38, 0, v38, s[12:13]
	v_exp_f32_e32 v34, v34
	v_mul_f32_e32 v35, 0x3fb8aa3b, v35
	v_add_f32_e32 v57, v57, v38
	v_cndmask_b32_e64 v39, 0, v39, s[14:15]
	v_exp_f32_e32 v35, v35
	v_add_f32_e32 v57, v57, v39
	v_cndmask_b32_e64 v36, 0, v36, s[8:9]
	v_add_f32_e32 v57, v57, v36
	v_cndmask_b32_e64 v37, 0, v37, s[10:11]
	v_add_f32_e32 v57, v57, v37
	v_cndmask_b32_e32 v34, 0, v34, vcc
	v_add_f32_e32 v57, v57, v34
	v_cndmask_b32_e64 v35, 0, v35, s[2:3]
	v_add_f32_e32 v57, v57, v35
	ds_bpermute_b32 v56, v56, v57
	s_load_dword s9, s[4:5], 0x98
	v_cmp_gt_u32_e32 vcc, 16, v54
	s_waitcnt lgkmcnt(0)
	s_barrier
	v_add_f32_e32 v57, v57, v56
	ds_bpermute_b32 v58, v58, v57
	v_lshlrev_b32_e32 v56, 2, v52
	s_waitcnt lgkmcnt(0)
	s_and_saveexec_b64 s[2:3], vcc
	s_cbranch_execz .LBB70_17
; %bb.16:
	v_add_f32_e32 v54, v57, v58
	v_lshl_or_b32 v57, v53, 6, v56
	ds_write2st64_b32 v57, v55, v54 offset1:1
.LBB70_17:
	s_or_b64 exec, exec, s[2:3]
	s_load_dword s8, s[4:5], 0x94
	s_waitcnt lgkmcnt(0)
	s_barrier
	ds_read2_b32 v[58:59], v56 offset1:16
	ds_read2_b32 v[60:61], v56 offset0:32 offset1:48
	ds_read2_b32 v[62:63], v56 offset0:64 offset1:80
	;; [unrolled: 1-line block ×3, first 2 shown]
	s_waitcnt lgkmcnt(0)
	v_max3_f32 v54, v58, s42, v59
	v_max3_f32 v54, v54, v60, v61
	v_sub_f32_e32 v55, v58, v54
	v_mul_f32_e32 v55, 0x3fb8aa3b, v55
	v_exp_f32_e32 v58, v55
	v_sub_f32_e32 v55, v59, v54
	v_mul_f32_e32 v55, 0x3fb8aa3b, v55
	v_exp_f32_e32 v59, v55
	;; [unrolled: 3-line block ×4, first 2 shown]
	v_fma_f32 v55, v58, v62, 0
	v_fmac_f32_e32 v55, v59, v63
	v_fmac_f32_e32 v55, v60, v56
	;; [unrolled: 1-line block ×3, first 2 shown]
	v_add_f32_e32 v56, 0x358637bd, v55
	v_div_scale_f32 v57, s[2:3], v56, v56, 1.0
	v_rcp_f32_e32 v62, v57
	s_barrier
	s_mul_i32 s9, s9, 15
	v_fma_f32 v63, -v57, v62, 1.0
	v_fmac_f32_e32 v62, v63, v62
	v_div_scale_f32 v63, vcc, 1.0, v56, 1.0
	v_mul_f32_e32 v64, v63, v62
	v_fma_f32 v65, -v57, v64, v63
	v_fmac_f32_e32 v64, v65, v62
	v_fma_f32 v57, -v57, v64, v63
	v_div_fmas_f32 v57, v57, v62, v64
	v_cmp_eq_u32_e32 vcc, 1, v53
	v_div_fixup_f32 v56, v57, v56, 1.0
	v_cndmask_b32_e32 v57, v58, v59, vcc
	v_cmp_eq_u32_e32 vcc, 2, v53
	v_cndmask_b32_e32 v57, v57, v60, vcc
	v_cmp_eq_u32_e32 vcc, 3, v53
	v_cndmask_b32_e32 v57, v57, v61, vcc
	v_mul_f32_e32 v56, v57, v56
	v_pk_mul_f32 v[48:49], v[56:57], v[48:49] op_sel_hi:[0,1]
	v_pk_mul_f32 v[50:51], v[56:57], v[50:51] op_sel_hi:[0,1]
	v_cvt_f16_f32_e32 v50, v50
	v_cvt_f16_f32_e32 v51, v51
	;; [unrolled: 1-line block ×4, first 2 shown]
	v_pk_mul_f32 v[44:45], v[56:57], v[44:45] op_sel_hi:[0,1]
	v_pk_mul_f32 v[46:47], v[56:57], v[46:47] op_sel_hi:[0,1]
	v_cvt_f16_f32_e32 v46, v46
	v_cvt_f16_f32_e32 v47, v47
	;; [unrolled: 1-line block ×4, first 2 shown]
	v_pack_b32_f16 v50, v50, v51
	v_pack_b32_f16 v51, v48, v49
	v_lshlrev_b32_e32 v49, 3, v1
	v_lshlrev_b32_e32 v48, 5, v52
	;; [unrolled: 1-line block ×3, first 2 shown]
	v_or3_b32 v44, v44, v48, v49
	v_pack_b32_f16 v46, v46, v47
	v_pack_b32_f16 v47, v57, v45
	v_pk_mul_f32 v[38:39], v[56:57], v[38:39] op_sel_hi:[0,1]
	v_pk_mul_f32 v[40:41], v[56:57], v[40:41] op_sel_hi:[0,1]
	;; [unrolled: 1-line block ×4, first 2 shown]
	ds_write2st64_b64 v44, v[50:51], v[46:47] offset1:1
	v_cvt_f16_f32_e32 v40, v40
	v_cvt_f16_f32_e32 v41, v41
	;; [unrolled: 1-line block ×8, first 2 shown]
	v_pack_b32_f16 v34, v40, v41
	v_pack_b32_f16 v35, v38, v39
	;; [unrolled: 1-line block ×4, first 2 shown]
	v_cmp_gt_u32_e32 vcc, 15, v0
	ds_write2st64_b64 v44, v[34:35], v[36:37] offset0:2 offset1:3
	s_and_saveexec_b64 s[2:3], vcc
	s_cbranch_execz .LBB70_19
; %bb.18:
	v_add_co_u32_e32 v36, vcc, s29, v52
	v_addc_co_u32_e64 v37, s[10:11], 0, 0, vcc
	v_mov_b32_e32 v34, s9
	v_mov_b32_e32 v35, 0
	v_mad_u64_u32 v[36:37], s[10:11], s6, v34, v[36:37]
	v_mov_b32_e32 v34, s28
	s_load_dwordx4 s[12:15], s[4:5], 0x58
	s_mul_i32 s7, s7, s9
	v_mad_u64_u32 v[34:35], s[10:11], v36, s8, v[34:35]
	v_add_u32_e32 v37, s7, v37
	v_mov_b32_e32 v36, v35
	v_mad_u64_u32 v[36:37], s[10:11], v37, s8, v[36:37]
	v_mov_b32_e32 v35, v36
	v_lshlrev_b64 v[34:35], 2, v[34:35]
	s_waitcnt lgkmcnt(0)
	v_mov_b32_e32 v37, s15
	v_add_co_u32_e32 v36, vcc, s14, v34
	v_addc_co_u32_e32 v37, vcc, v37, v35, vcc
	global_store_dword v[36:37], v54, off
	v_mov_b32_e32 v36, s13
	v_add_co_u32_e32 v34, vcc, s12, v34
	v_addc_co_u32_e32 v35, vcc, v36, v35, vcc
	global_store_dword v[34:35], v55, off
.LBB70_19:
	s_or_b64 exec, exec, s[2:3]
	v_lshl_or_b32 v45, v1, 9, v48
	s_waitcnt lgkmcnt(0)
	s_barrier
	ds_read_b128 v[34:37], v45
	ds_read_b128 v[38:41], v45 offset:16
	s_waitcnt vmcnt(7) lgkmcnt(1)
	v_mfma_f32_16x16x16f16 v[46:49], v[14:15], v[34:35], 0
	v_cmp_gt_u32_e32 vcc, 64, v0
	s_mov_b32 s3, 0
	s_and_b64 s[0:1], vcc, s[0:1]
	v_mfma_f32_16x16x16f16 v[14:17], v[16:17], v[36:37], v[46:49]
	s_waitcnt vmcnt(6) lgkmcnt(0)
	v_mfma_f32_16x16x16f16 v[14:17], v[10:11], v[38:39], v[14:17]
	v_mfma_f32_16x16x16f16 v[10:13], v[12:13], v[40:41], v[14:17]
	s_nop 7
	s_nop 1
	ds_read_b128 v[14:17], v45 offset:2048
	ds_read_b128 v[34:37], v45 offset:2064
	s_waitcnt vmcnt(5) lgkmcnt(1)
	v_mfma_f32_16x16x16f16 v[10:13], v[6:7], v[14:15], v[10:13]
	v_mfma_f32_16x16x16f16 v[6:9], v[8:9], v[16:17], v[10:13]
	s_waitcnt vmcnt(4) lgkmcnt(0)
	v_mfma_f32_16x16x16f16 v[6:9], v[2:3], v[34:35], v[6:9]
	v_mfma_f32_16x16x16f16 v[2:5], v[4:5], v[36:37], v[6:9]
	s_nop 7
	s_nop 1
	ds_read_b128 v[6:9], v45 offset:4096
	ds_read_b128 v[10:13], v45 offset:4112
	s_waitcnt vmcnt(3) lgkmcnt(1)
	v_mfma_f32_16x16x16f16 v[2:5], v[30:31], v[6:7], v[2:5]
	v_mfma_f32_16x16x16f16 v[2:5], v[32:33], v[8:9], v[2:5]
	s_waitcnt vmcnt(2) lgkmcnt(0)
	v_mfma_f32_16x16x16f16 v[2:5], v[22:23], v[10:11], v[2:5]
	v_mfma_f32_16x16x16f16 v[2:5], v[24:25], v[12:13], v[2:5]
	ds_read_b128 v[6:9], v45 offset:6144
	ds_read_b128 v[10:13], v45 offset:6160
	s_waitcnt lgkmcnt(0)
	s_barrier
	s_waitcnt vmcnt(1)
	v_mfma_f32_16x16x16f16 v[2:5], v[26:27], v[6:7], v[2:5]
	v_mfma_f32_16x16x16f16 v[2:5], v[28:29], v[8:9], v[2:5]
	s_waitcnt vmcnt(0)
	v_mfma_f32_16x16x16f16 v[2:5], v[18:19], v[10:11], v[2:5]
	v_mfma_f32_16x16x16f16 v[2:5], v[20:21], v[12:13], v[2:5]
	s_nop 7
	s_nop 2
	v_cvt_f16_f32_e32 v2, v2
	v_cvt_f16_f32_e32 v3, v3
	;; [unrolled: 1-line block ×4, first 2 shown]
	v_pack_b32_f16 v2, v2, v3
	v_pack_b32_f16 v3, v4, v5
	ds_write_b64 v44, v[2:3]
	s_waitcnt lgkmcnt(0)
	s_barrier
	s_and_saveexec_b64 s[10:11], s[0:1]
	s_cbranch_execz .LBB70_22
; %bb.20:
	s_load_dwordx2 s[4:5], s[4:5], 0x68
	s_lshl_b32 s0, s8, 6
	s_mul_i32 s1, s9, s6
	s_mul_hi_u32 s7, s1, s0
	s_mul_i32 s6, s1, s0
	s_lshl_b64 s[6:7], s[6:7], 1
	s_waitcnt lgkmcnt(0)
	s_add_u32 s1, s4, s6
	v_lshlrev_b32_e32 v2, 10, v0
	v_lshlrev_b32_e32 v0, 4, v0
	s_addc_u32 s4, s5, s7
	s_lshl_b32 s2, s28, 6
	v_and_b32_e32 v2, 0x1800, v2
	v_lshlrev_b32_e32 v3, 5, v1
	v_and_b32_e32 v0, 16, v0
	s_lshl_b64 s[2:3], s[2:3], 1
	v_or3_b32 v0, v2, v3, v0
	s_add_u32 s1, s1, s2
	ds_read_b128 v[4:7], v0 offset:256
	s_addc_u32 s2, s4, s3
	ds_read_b128 v[8:11], v0 offset:128
	ds_read_b128 v[12:15], v0
	v_add_u32_e32 v18, s29, v1
	v_mov_b32_e32 v3, s2
	v_add_co_u32_e32 v2, vcc, s1, v42
	v_mad_u64_u32 v[16:17], s[2:3], v18, s0, 0
	v_addc_co_u32_e32 v3, vcc, v3, v43, vcc
	v_lshlrev_b64 v[16:17], 1, v[16:17]
	v_add_co_u32_e32 v16, vcc, v2, v16
	v_addc_co_u32_e32 v17, vcc, v3, v17, vcc
	s_waitcnt lgkmcnt(0)
	global_store_dwordx4 v[16:17], v[12:15], off
	s_nop 0
	v_add_u32_e32 v12, 4, v18
	v_mad_u64_u32 v[12:13], s[2:3], v12, s0, 0
	v_lshlrev_b64 v[12:13], 1, v[12:13]
	v_add_co_u32_e32 v12, vcc, v2, v12
	v_addc_co_u32_e32 v13, vcc, v3, v13, vcc
	global_store_dwordx4 v[12:13], v[8:11], off
	s_nop 0
	v_add_u32_e32 v8, 8, v18
	v_mad_u64_u32 v[8:9], s[2:3], v8, s0, 0
	v_lshlrev_b64 v[8:9], 1, v[8:9]
	v_add_co_u32_e32 v8, vcc, v2, v8
	v_addc_co_u32_e32 v9, vcc, v3, v9, vcc
	v_cmp_ne_u32_e32 vcc, 3, v1
	global_store_dwordx4 v[8:9], v[4:7], off
	s_and_b64 exec, exec, vcc
	s_cbranch_execz .LBB70_22
; %bb.21:
	ds_read_b128 v[4:7], v0 offset:384
	v_add3_u32 v0, s29, v1, 12
	v_mad_u64_u32 v[0:1], s[0:1], v0, s0, 0
	v_lshlrev_b64 v[0:1], 1, v[0:1]
	v_add_co_u32_e32 v0, vcc, v2, v0
	v_addc_co_u32_e32 v1, vcc, v3, v1, vcc
	s_waitcnt lgkmcnt(0)
	global_store_dwordx4 v[0:1], v[4:7], off
.LBB70_22:
	s_endpgm
	.section	.rodata,"a",@progbits
	.p2align	6, 0x0
	.amdhsa_kernel _Z39paged_attention_ll4mi_QKV_mfma16_kernelIDF16_DF16_LN4vllm18Fp8KVCacheDataTypeE0EDF16_Li32ELi64ELi256ELb1ELi15EL8MFMAType0EEvPKT_PKT0_S8_ifPKiSA_SA_iPKfiiiPfSD_PS3_PT2_iSC_SC_
		.amdhsa_group_segment_fixed_size 8192
		.amdhsa_private_segment_fixed_size 0
		.amdhsa_kernarg_size 400
		.amdhsa_user_sgpr_count 6
		.amdhsa_user_sgpr_private_segment_buffer 1
		.amdhsa_user_sgpr_dispatch_ptr 0
		.amdhsa_user_sgpr_queue_ptr 0
		.amdhsa_user_sgpr_kernarg_segment_ptr 1
		.amdhsa_user_sgpr_dispatch_id 0
		.amdhsa_user_sgpr_flat_scratch_init 0
		.amdhsa_user_sgpr_kernarg_preload_length 0
		.amdhsa_user_sgpr_kernarg_preload_offset 0
		.amdhsa_user_sgpr_private_segment_size 0
		.amdhsa_uses_dynamic_stack 0
		.amdhsa_system_sgpr_private_segment_wavefront_offset 0
		.amdhsa_system_sgpr_workgroup_id_x 1
		.amdhsa_system_sgpr_workgroup_id_y 1
		.amdhsa_system_sgpr_workgroup_id_z 1
		.amdhsa_system_sgpr_workgroup_info 0
		.amdhsa_system_vgpr_workitem_id 0
		.amdhsa_next_free_vgpr 66
		.amdhsa_next_free_sgpr 48
		.amdhsa_accum_offset 68
		.amdhsa_reserve_vcc 1
		.amdhsa_reserve_flat_scratch 0
		.amdhsa_float_round_mode_32 0
		.amdhsa_float_round_mode_16_64 0
		.amdhsa_float_denorm_mode_32 3
		.amdhsa_float_denorm_mode_16_64 3
		.amdhsa_dx10_clamp 1
		.amdhsa_ieee_mode 1
		.amdhsa_fp16_overflow 0
		.amdhsa_tg_split 0
		.amdhsa_exception_fp_ieee_invalid_op 0
		.amdhsa_exception_fp_denorm_src 0
		.amdhsa_exception_fp_ieee_div_zero 0
		.amdhsa_exception_fp_ieee_overflow 0
		.amdhsa_exception_fp_ieee_underflow 0
		.amdhsa_exception_fp_ieee_inexact 0
		.amdhsa_exception_int_div_zero 0
	.end_amdhsa_kernel
	.section	.text._Z39paged_attention_ll4mi_QKV_mfma16_kernelIDF16_DF16_LN4vllm18Fp8KVCacheDataTypeE0EDF16_Li32ELi64ELi256ELb1ELi15EL8MFMAType0EEvPKT_PKT0_S8_ifPKiSA_SA_iPKfiiiPfSD_PS3_PT2_iSC_SC_,"axG",@progbits,_Z39paged_attention_ll4mi_QKV_mfma16_kernelIDF16_DF16_LN4vllm18Fp8KVCacheDataTypeE0EDF16_Li32ELi64ELi256ELb1ELi15EL8MFMAType0EEvPKT_PKT0_S8_ifPKiSA_SA_iPKfiiiPfSD_PS3_PT2_iSC_SC_,comdat
.Lfunc_end70:
	.size	_Z39paged_attention_ll4mi_QKV_mfma16_kernelIDF16_DF16_LN4vllm18Fp8KVCacheDataTypeE0EDF16_Li32ELi64ELi256ELb1ELi15EL8MFMAType0EEvPKT_PKT0_S8_ifPKiSA_SA_iPKfiiiPfSD_PS3_PT2_iSC_SC_, .Lfunc_end70-_Z39paged_attention_ll4mi_QKV_mfma16_kernelIDF16_DF16_LN4vllm18Fp8KVCacheDataTypeE0EDF16_Li32ELi64ELi256ELb1ELi15EL8MFMAType0EEvPKT_PKT0_S8_ifPKiSA_SA_iPKfiiiPfSD_PS3_PT2_iSC_SC_
                                        ; -- End function
	.section	.AMDGPU.csdata,"",@progbits
; Kernel info:
; codeLenInByte = 4452
; NumSgprs: 52
; NumVgprs: 66
; NumAgprs: 0
; TotalNumVgprs: 66
; ScratchSize: 0
; MemoryBound: 0
; FloatMode: 240
; IeeeMode: 1
; LDSByteSize: 8192 bytes/workgroup (compile time only)
; SGPRBlocks: 6
; VGPRBlocks: 8
; NumSGPRsForWavesPerEU: 52
; NumVGPRsForWavesPerEU: 66
; AccumOffset: 68
; Occupancy: 7
; WaveLimiterHint : 1
; COMPUTE_PGM_RSRC2:SCRATCH_EN: 0
; COMPUTE_PGM_RSRC2:USER_SGPR: 6
; COMPUTE_PGM_RSRC2:TRAP_HANDLER: 0
; COMPUTE_PGM_RSRC2:TGID_X_EN: 1
; COMPUTE_PGM_RSRC2:TGID_Y_EN: 1
; COMPUTE_PGM_RSRC2:TGID_Z_EN: 1
; COMPUTE_PGM_RSRC2:TIDIG_COMP_CNT: 0
; COMPUTE_PGM_RSRC3_GFX90A:ACCUM_OFFSET: 16
; COMPUTE_PGM_RSRC3_GFX90A:TG_SPLIT: 0
	.section	.text._Z39paged_attention_ll4mi_QKV_mfma16_kernelIDF16_DF16_LN4vllm18Fp8KVCacheDataTypeE0EDF16_Li32ELi64ELi256ELb1ELi16EL8MFMAType0EEvPKT_PKT0_S8_ifPKiSA_SA_iPKfiiiPfSD_PS3_PT2_iSC_SC_,"axG",@progbits,_Z39paged_attention_ll4mi_QKV_mfma16_kernelIDF16_DF16_LN4vllm18Fp8KVCacheDataTypeE0EDF16_Li32ELi64ELi256ELb1ELi16EL8MFMAType0EEvPKT_PKT0_S8_ifPKiSA_SA_iPKfiiiPfSD_PS3_PT2_iSC_SC_,comdat
	.protected	_Z39paged_attention_ll4mi_QKV_mfma16_kernelIDF16_DF16_LN4vllm18Fp8KVCacheDataTypeE0EDF16_Li32ELi64ELi256ELb1ELi16EL8MFMAType0EEvPKT_PKT0_S8_ifPKiSA_SA_iPKfiiiPfSD_PS3_PT2_iSC_SC_ ; -- Begin function _Z39paged_attention_ll4mi_QKV_mfma16_kernelIDF16_DF16_LN4vllm18Fp8KVCacheDataTypeE0EDF16_Li32ELi64ELi256ELb1ELi16EL8MFMAType0EEvPKT_PKT0_S8_ifPKiSA_SA_iPKfiiiPfSD_PS3_PT2_iSC_SC_
	.globl	_Z39paged_attention_ll4mi_QKV_mfma16_kernelIDF16_DF16_LN4vllm18Fp8KVCacheDataTypeE0EDF16_Li32ELi64ELi256ELb1ELi16EL8MFMAType0EEvPKT_PKT0_S8_ifPKiSA_SA_iPKfiiiPfSD_PS3_PT2_iSC_SC_
	.p2align	8
	.type	_Z39paged_attention_ll4mi_QKV_mfma16_kernelIDF16_DF16_LN4vllm18Fp8KVCacheDataTypeE0EDF16_Li32ELi64ELi256ELb1ELi16EL8MFMAType0EEvPKT_PKT0_S8_ifPKiSA_SA_iPKfiiiPfSD_PS3_PT2_iSC_SC_,@function
_Z39paged_attention_ll4mi_QKV_mfma16_kernelIDF16_DF16_LN4vllm18Fp8KVCacheDataTypeE0EDF16_Li32ELi64ELi256ELb1ELi16EL8MFMAType0EEvPKT_PKT0_S8_ifPKiSA_SA_iPKfiiiPfSD_PS3_PT2_iSC_SC_: ; @_Z39paged_attention_ll4mi_QKV_mfma16_kernelIDF16_DF16_LN4vllm18Fp8KVCacheDataTypeE0EDF16_Li32ELi64ELi256ELb1ELi16EL8MFMAType0EEvPKT_PKT0_S8_ifPKiSA_SA_iPKfiiiPfSD_PS3_PT2_iSC_SC_
; %bb.0:
	s_load_dwordx2 s[0:1], s[4:5], 0x30
	s_mov_b32 s28, s7
	s_mov_b64 s[10:11], 0
	s_waitcnt lgkmcnt(0)
	s_cmp_lg_u64 s[0:1], 0
	s_cselect_b64 s[2:3], -1, 0
	s_and_b64 vcc, exec, s[2:3]
	s_cbranch_vccz .LBB71_7
; %bb.1:
	s_add_i32 s12, s6, 1
	s_mov_b32 s13, 0
	s_lshl_b64 s[14:15], s[12:13], 2
	s_add_u32 s14, s0, s14
	s_mov_b32 s7, s13
	s_addc_u32 s15, s1, s15
	s_lshl_b64 s[12:13], s[6:7], 2
	s_add_u32 s12, s0, s12
	s_addc_u32 s13, s1, s13
	s_load_dword s9, s[14:15], 0x0
	s_load_dword s16, s[12:13], 0x0
	s_waitcnt lgkmcnt(0)
	s_sub_i32 s9, s9, s16
	s_cmp_eq_u32 s9, 1
	s_cselect_b64 s[12:13], -1, 0
	s_andn2_b64 vcc, exec, s[10:11]
	s_cbranch_vccnz .LBB71_3
.LBB71_2:
	s_mov_b32 s7, 0
	s_mov_b64 s[12:13], -1
.LBB71_3:
	s_andn2_b64 vcc, exec, s[12:13]
	s_cbranch_vccnz .LBB71_19
; %bb.4:
	s_load_dwordx2 s[12:13], s[4:5], 0x28
	s_lshl_b64 s[10:11], s[6:7], 2
	s_waitcnt lgkmcnt(0)
	s_add_u32 s12, s12, s10
	s_addc_u32 s13, s13, s11
	s_load_dword s33, s[12:13], 0x0
	s_lshl_b32 s16, s28, 8
	s_waitcnt lgkmcnt(0)
	s_cmp_ge_i32 s16, s33
	s_cbranch_scc1 .LBB71_19
; %bb.5:
	s_add_i32 s14, s33, 31
	s_load_dwordx2 s[12:13], s[4:5], 0x20
	s_load_dword s9, s[4:5], 0x38
	s_ashr_i32 s15, s14, 31
	v_and_b32_e32 v1, 0xcf, v0
	s_lshr_b32 s15, s15, 27
	v_add_u32_e32 v1, s16, v1
	s_add_i32 s14, s14, s15
	v_ashrrev_i32_e32 v2, 31, v1
	s_ashr_i32 s19, s14, 5
	v_lshrrev_b32_e32 v6, 27, v2
	s_add_i32 s19, s19, -1
	v_add_u32_e32 v2, v1, v6
	s_waitcnt lgkmcnt(0)
	s_mul_i32 s14, s6, s9
	s_mov_b32 s15, 0
	v_ashrrev_i32_e32 v2, 5, v2
	v_mov_b32_e32 v7, s19
	v_cmp_gt_i32_e32 vcc, s33, v1
	s_lshl_b64 s[14:15], s[14:15], 2
	v_cndmask_b32_e32 v2, v7, v2, vcc
	s_add_u32 s17, s12, s14
	v_ashrrev_i32_e32 v3, 31, v2
	s_addc_u32 s18, s13, s15
	v_lshlrev_b64 v[2:3], 2, v[2:3]
	v_mov_b32_e32 v4, s18
	v_add_co_u32_e32 v2, vcc, s17, v2
	v_addc_co_u32_e32 v3, vcc, v4, v3, vcc
	v_or_b32_e32 v4, 16, v1
	v_add_u32_e32 v5, v4, v6
	v_ashrrev_i32_e32 v5, 5, v5
	v_cmp_gt_i32_e32 vcc, s33, v4
	v_cndmask_b32_e32 v4, v7, v5, vcc
	v_ashrrev_i32_e32 v5, 31, v4
	v_lshlrev_b64 v[4:5], 2, v[4:5]
	v_mov_b32_e32 v9, s18
	v_add_co_u32_e32 v8, vcc, s17, v4
	v_or_b32_e32 v4, 32, v1
	v_addc_co_u32_e32 v9, vcc, v9, v5, vcc
	v_add_u32_e32 v5, v4, v6
	v_ashrrev_i32_e32 v5, 5, v5
	v_cmp_gt_i32_e32 vcc, s33, v4
	v_cndmask_b32_e32 v4, v7, v5, vcc
	v_ashrrev_i32_e32 v5, 31, v4
	v_lshlrev_b64 v[4:5], 2, v[4:5]
	v_mov_b32_e32 v11, s18
	v_add_co_u32_e32 v10, vcc, s17, v4
	v_or_b32_e32 v1, 48, v1
	v_addc_co_u32_e32 v11, vcc, v11, v5, vcc
	v_add_u32_e32 v4, v1, v6
	v_ashrrev_i32_e32 v4, 5, v4
	v_cmp_gt_i32_e32 vcc, s33, v1
	v_cndmask_b32_e32 v4, v7, v4, vcc
	v_ashrrev_i32_e32 v5, 31, v4
	v_lshlrev_b64 v[4:5], 2, v[4:5]
	v_mov_b32_e32 v1, s18
	v_add_co_u32_e32 v12, vcc, s17, v4
	v_addc_co_u32_e32 v13, vcc, v1, v5, vcc
	global_load_dword v4, v[2:3], off
	global_load_dword v6, v[8:9], off
	;; [unrolled: 1-line block ×4, first 2 shown]
	s_andn2_b64 vcc, exec, s[2:3]
	s_cbranch_vccnz .LBB71_8
; %bb.6:
	s_add_u32 s0, s0, s10
	s_addc_u32 s1, s1, s11
	s_load_dword s9, s[0:1], 0x0
	s_branch .LBB71_9
.LBB71_7:
	s_mov_b64 s[12:13], 0
	s_branch .LBB71_2
.LBB71_8:
	s_mov_b32 s9, s6
.LBB71_9:
	s_load_dwordx2 s[10:11], s[4:5], 0x40
	s_load_dwordx4 s[12:15], s[4:5], 0x8
	s_load_dwordx4 s[44:47], s[4:5], 0x48
	v_and_b32_e32 v54, 15, v0
	s_movk_i32 s0, 0xff
	v_cmp_lt_u32_e32 vcc, s0, v0
	v_cmp_lt_u32_e64 s[2:3], 7, v54
	v_lshlrev_b32_e32 v2, 3, v54
	v_cmp_gt_u32_e64 s[0:1], 8, v54
	s_or_b64 s[2:3], vcc, s[2:3]
	s_and_saveexec_b64 s[20:21], s[2:3]
	s_xor_b64 s[2:3], exec, s[20:21]
; %bb.10:
	v_mov_b32_e32 v3, 0
; %bb.11:
	s_or_saveexec_b64 s[2:3], s[2:3]
	v_lshrrev_b32_e32 v55, 6, v0
	v_and_b32_e32 v57, 63, v0
	s_lshl_b32 s29, s8, 4
	v_bfe_u32 v1, v0, 4, 2
	s_xor_b64 exec, exec, s[2:3]
	s_cbranch_execz .LBB71_13
; %bb.12:
	s_load_dwordx2 s[20:21], s[4:5], 0x0
	s_waitcnt lgkmcnt(0)
	s_ashr_i32 s22, s44, 31
	s_mul_hi_u32 s23, s9, s44
	s_mul_i32 s22, s9, s22
	v_lshl_or_b32 v5, v55, 2, v1
	s_add_i32 s23, s23, s22
	s_mul_i32 s22, s9, s44
	s_lshl_b64 s[22:23], s[22:23], 1
	v_add_lshl_u32 v8, v5, s29, 6
	s_add_u32 s9, s20, s22
	v_ashrrev_i32_e32 v9, 31, v8
	s_addc_u32 s20, s21, s23
	v_lshlrev_b64 v[8:9], 1, v[8:9]
	v_mov_b32_e32 v3, s20
	v_add_co_u32_e32 v7, vcc, s9, v8
	v_addc_co_u32_e32 v3, vcc, v3, v9, vcc
	v_lshlrev_b32_e32 v8, 1, v2
	v_add_co_u32_e32 v8, vcc, v7, v8
	v_addc_co_u32_e32 v9, vcc, 0, v3, vcc
	global_load_dwordx4 v[8:11], v[8:9], off
	v_and_b32_e32 v7, 3, v0
	v_lshlrev_b32_e32 v12, 9, v54
	v_lshlrev_b32_e32 v5, 5, v5
	;; [unrolled: 1-line block ×3, first 2 shown]
	v_and_b32_e32 v12, 0x1800, v12
	v_mov_b32_e32 v3, 0
	v_or3_b32 v5, v12, v7, v5
	s_waitcnt vmcnt(0)
	ds_write_b128 v5, v[8:11]
.LBB71_13:
	s_or_b64 exec, exec, s[2:3]
	s_waitcnt lgkmcnt(0)
	s_mul_i32 s8, s8, s46
	s_mov_b32 s9, 0
	s_lshl_b64 s[8:9], s[8:9], 1
	s_add_u32 s3, s12, s8
	s_addc_u32 s20, s13, s9
	s_waitcnt vmcnt(3)
	v_mad_i64_i32 v[4:5], s[12:13], v4, s45, 0
	v_lshlrev_b64 v[4:5], 1, v[4:5]
	v_mov_b32_e32 v7, s20
	v_add_co_u32_e32 v4, vcc, s3, v4
	v_addc_co_u32_e32 v5, vcc, v7, v5, vcc
	v_lshlrev_b64 v[38:39], 1, v[2:3]
	v_add_co_u32_e32 v2, vcc, v4, v38
	v_lshlrev_b32_e32 v34, 9, v1
	v_addc_co_u32_e32 v3, vcc, v5, v39, vcc
	v_add_co_u32_e32 v8, vcc, v2, v34
	v_addc_co_u32_e32 v9, vcc, 0, v3, vcc
	s_load_dword s42, s[4:5], 0x98
	s_load_dword s2, s[4:5], 0x1c
	s_waitcnt lgkmcnt(0)
	s_barrier
	global_load_dwordx4 v[10:13], v[8:9], off
	global_load_dwordx4 v[2:5], v[8:9], off offset:2048
	s_waitcnt vmcnt(4)
	v_mad_i64_i32 v[6:7], s[12:13], v6, s45, 0
	v_lshlrev_b64 v[6:7], 1, v[6:7]
	v_mov_b32_e32 v8, s20
	v_add_co_u32_e32 v6, vcc, s3, v6
	v_addc_co_u32_e32 v7, vcc, v8, v7, vcc
	v_mov_b32_e32 v8, 0x100
	v_lshl_or_b32 v35, v54, 4, v8
	v_add_co_u32_e32 v6, vcc, v6, v35
	v_addc_co_u32_e32 v7, vcc, 0, v7, vcc
	v_add_co_u32_e32 v16, vcc, v6, v34
	v_addc_co_u32_e32 v17, vcc, 0, v7, vcc
	global_load_dwordx4 v[6:9], v[16:17], off
	s_waitcnt vmcnt(4)
	v_mad_i64_i32 v[18:19], s[12:13], v14, s45, 0
	global_load_dwordx4 v[14:17], v[16:17], off offset:2048
	v_lshlrev_b64 v[26:27], 1, v[18:19]
	v_mov_b32_e32 v28, s20
	v_add_co_u32_e32 v26, vcc, s3, v26
	v_addc_co_u32_e32 v27, vcc, v28, v27, vcc
	v_add_co_u32_e32 v26, vcc, v26, v38
	v_addc_co_u32_e32 v27, vcc, v27, v39, vcc
	v_add_co_u32_e32 v32, vcc, v26, v34
	s_waitcnt vmcnt(4)
	v_mad_i64_i32 v[20:21], s[12:13], v20, s45, 0
	v_lshl_or_b32 v56, v54, 5, v34
	v_addc_co_u32_e32 v33, vcc, 0, v27, vcc
	v_lshlrev_b64 v[30:31], 1, v[20:21]
	ds_read_b128 v[22:25], v56
	ds_read_b128 v[18:21], v56 offset:2048
	global_load_dwordx4 v[26:29], v[32:33], off
	v_mov_b32_e32 v37, s20
	s_ashr_i32 s12, s16, 31
	v_and_or_b32 v43, v0, 48, s16
	s_lshr_b32 s12, s12, 27
	v_or_b32_e32 v36, 64, v43
	v_mov_b32_e32 v42, s19
	v_mov_b32_e32 v52, s18
	;; [unrolled: 1-line block ×3, first 2 shown]
	s_mov_b32 s43, 0xff7fffff
	s_waitcnt vmcnt(4) lgkmcnt(1)
	v_mfma_f32_16x16x16f16 v[44:47], v[10:11], v[22:23], 0
	v_add_co_u32_e32 v10, vcc, s3, v30
	v_addc_co_u32_e32 v11, vcc, v37, v31, vcc
	v_add_co_u32_e32 v35, vcc, v10, v35
	v_addc_co_u32_e32 v37, vcc, 0, v11, vcc
	v_mfma_f32_16x16x16f16 v[10:13], v[12:13], v[24:25], v[44:47]
	v_add_u32_e32 v30, s12, v43
	v_add_u32_e32 v31, s12, v36
	v_ashrrev_i32_e32 v40, 5, v30
	v_add_co_u32_e32 v30, vcc, v35, v34
	v_ashrrev_i32_e32 v41, 5, v31
	s_nop 1
	global_load_dwordx4 v[44:47], v[32:33], off offset:2048
	s_waitcnt vmcnt(4) lgkmcnt(0)
	v_mfma_f32_16x16x16f16 v[10:13], v[2:3], v[18:19], v[10:13]
	v_addc_co_u32_e32 v31, vcc, 0, v37, vcc
	v_cmp_gt_i32_e32 vcc, s33, v43
	v_cndmask_b32_e32 v2, v42, v40, vcc
	v_ashrrev_i32_e32 v3, 31, v2
	v_cmp_gt_i32_e32 vcc, s33, v36
	v_lshlrev_b64 v[2:3], 2, v[2:3]
	v_cndmask_b32_e32 v40, v42, v41, vcc
	v_add_co_u32_e32 v2, vcc, s17, v2
	v_addc_co_u32_e32 v3, vcc, v52, v3, vcc
	global_load_dwordx4 v[48:51], v[30:31], off
	s_nop 0
	global_load_dwordx4 v[30:33], v[30:31], off offset:2048
	v_mfma_f32_16x16x16f16 v[34:37], v[4:5], v[20:21], v[10:13]
	v_ashrrev_i32_e32 v41, 31, v40
	s_add_u32 s3, s14, s8
	s_addc_u32 s8, s15, s9
	s_nop 3
	global_load_dword v12, v[2:3], off
	s_waitcnt vmcnt(6)
	v_mfma_f32_16x16x16f16 v[2:5], v[6:7], v[22:23], 0
	v_lshlrev_b64 v[10:11], 2, v[40:41]
	v_add_co_u32_e32 v6, vcc, s17, v10
	v_addc_co_u32_e32 v7, vcc, v53, v11, vcc
	global_load_dword v52, v[6:7], off
	v_or_b32_e32 v6, 0x80, v43
	v_mfma_f32_16x16x16f16 v[2:5], v[8:9], v[24:25], v[2:5]
	v_add_u32_e32 v7, s12, v6
	v_ashrrev_i32_e32 v7, 5, v7
	v_cmp_gt_i32_e32 vcc, s33, v6
	v_cndmask_b32_e32 v6, v42, v7, vcc
	v_ashrrev_i32_e32 v7, 31, v6
	v_lshlrev_b64 v[6:7], 2, v[6:7]
	v_mov_b32_e32 v8, s18
	s_waitcnt vmcnt(6)
	v_mfma_f32_16x16x16f16 v[2:5], v[14:15], v[18:19], v[2:5]
	v_add_co_u32_e32 v6, vcc, s17, v6
	v_or_b32_e32 v40, s29, v54
	v_addc_co_u32_e32 v7, vcc, v8, v7, vcc
	v_ashrrev_i32_e32 v41, 31, v40
	global_load_dword v53, v[6:7], off
	v_lshlrev_b64 v[6:7], 2, v[40:41]
	v_mfma_f32_16x16x16f16 v[58:61], v[16:17], v[20:21], v[2:5]
	s_nop 6
	v_mov_b32_e32 v3, s11
	v_add_co_u32_e32 v2, vcc, s10, v6
	v_addc_co_u32_e32 v3, vcc, v3, v7, vcc
	global_load_dword v41, v[2:3], off
	s_waitcnt vmcnt(7)
	v_mfma_f32_16x16x16f16 v[2:5], v[26:27], v[22:23], 0
	v_or_b32_e32 v6, 0xc0, v43
	v_add_u32_e32 v7, s12, v6
	v_ashrrev_i32_e32 v7, 5, v7
	v_cmp_gt_i32_e32 vcc, s33, v6
	v_cndmask_b32_e32 v6, v42, v7, vcc
	v_ashrrev_i32_e32 v7, 31, v6
	v_lshlrev_b64 v[6:7], 2, v[6:7]
	v_mfma_f32_16x16x16f16 v[2:5], v[28:29], v[24:25], v[2:5]
	v_add_co_u32_e32 v6, vcc, s17, v6
	v_addc_co_u32_e32 v7, vcc, v8, v7, vcc
	global_load_dword v66, v[6:7], off
	v_and_b32_e32 v6, 16, v0
	v_lshlrev_b32_e32 v6, 1, v6
	s_waitcnt vmcnt(7)
	v_mfma_f32_16x16x16f16 v[2:5], v[44:45], v[18:19], v[2:5]
	v_mov_b32_e32 v7, s8
	v_add_co_u32_e32 v6, vcc, s3, v6
	v_lshlrev_b32_e32 v8, 6, v54
	v_addc_co_u32_e32 v7, vcc, 0, v7, vcc
	v_lshl_or_b32 v8, v55, 10, v8
	v_mfma_f32_16x16x16f16 v[26:29], v[46:47], v[20:21], v[2:5]
	v_add_co_u32_e32 v67, vcc, v6, v8
	v_addc_co_u32_e32 v68, vcc, 0, v7, vcc
	v_pk_mul_f32 v[46:47], s[2:3], v[60:61] op_sel_hi:[0,1]
	s_nop 7
	v_pk_mul_f32 v[44:45], s[2:3], v[26:27] op_sel_hi:[0,1]
	s_waitcnt vmcnt(4)
	v_mad_i64_i32 v[2:3], s[8:9], v12, s45, 0
	v_lshlrev_b64 v[6:7], 1, v[2:3]
	v_mfma_f32_16x16x16f16 v[2:5], v[48:49], v[22:23], 0
	v_add_co_u32_e32 v6, vcc, v67, v6
	v_addc_co_u32_e32 v7, vcc, v68, v7, vcc
	global_load_dwordx4 v[14:17], v[6:7], off
	global_load_dwordx4 v[10:13], v[6:7], off offset:16
	s_waitcnt vmcnt(5)
	v_mad_i64_i32 v[6:7], s[8:9], v52, s45, 0
	v_mfma_f32_16x16x16f16 v[22:25], v[50:51], v[24:25], v[2:5]
	v_pk_mul_f32 v[50:51], s[2:3], v[36:37] op_sel_hi:[0,1]
	v_lshlrev_b64 v[6:7], 1, v[6:7]
	v_pk_mul_f32 v[48:49], s[2:3], v[58:59] op_sel_hi:[0,1]
	s_waitcnt vmcnt(4)
	v_mad_i64_i32 v[42:43], s[8:9], v53, s45, 0
	v_mfma_f32_16x16x16f16 v[62:65], v[30:31], v[18:19], v[22:25]
	v_pk_mul_f32 v[18:19], s[2:3], v[34:35] op_sel_hi:[0,1]
	v_add_co_u32_e32 v2, vcc, v67, v6
	v_addc_co_u32_e32 v3, vcc, v68, v7, vcc
	v_lshlrev_b64 v[42:43], 1, v[42:43]
	s_nop 2
	v_add_co_u32_e32 v22, vcc, v67, v42
	v_mfma_f32_16x16x16f16 v[24:27], v[32:33], v[20:21], v[62:65]
	v_and_b32_e32 v20, 0xc0, v0
	v_add_u32_e32 v20, s16, v20
	v_lshl_or_b32 v20, v1, 2, v20
	v_or_b32_e32 v21, 1, v20
	v_addc_co_u32_e32 v23, vcc, v68, v43, vcc
	v_pk_mul_f32 v[42:43], s[2:3], v[28:29] op_sel_hi:[0,1]
	s_nop 4
	v_pk_mul_f32 v[36:37], s[2:3], v[24:25] op_sel_hi:[0,1]
	v_subrev_u32_e32 v24, s33, v21
	v_pk_mul_f32 v[34:35], s[2:3], v[26:27] op_sel_hi:[0,1]
	v_add_u32_e32 v26, 1, v24
	v_add_u32_e32 v27, 2, v24
	v_cvt_f32_i32_e32 v25, v24
	v_cvt_f32_i32_e32 v26, v26
	;; [unrolled: 1-line block ×3, first 2 shown]
	v_add_u32_e32 v28, 3, v24
	s_waitcnt vmcnt(3)
	v_fma_f32 v18, v41, v25, v18
	v_fmac_f32_e32 v19, v41, v26
	v_fma_f32 v50, v41, v27, v50
	v_add_u32_e32 v25, 16, v24
	v_add_u32_e32 v26, 17, v24
	;; [unrolled: 1-line block ×3, first 2 shown]
	v_cvt_f32_i32_e32 v28, v28
	v_cvt_f32_i32_e32 v25, v25
	v_cvt_f32_i32_e32 v26, v26
	v_cvt_f32_i32_e32 v27, v27
	v_fmac_f32_e32 v51, v41, v28
	v_add_u32_e32 v28, 19, v24
	v_fma_f32 v48, v41, v25, v48
	v_fmac_f32_e32 v49, v41, v26
	v_fma_f32 v46, v41, v27, v46
	v_add_u32_e32 v25, 32, v24
	v_add_u32_e32 v26, 33, v24
	;; [unrolled: 1-line block ×3, first 2 shown]
	v_cvt_f32_i32_e32 v28, v28
	v_cvt_f32_i32_e32 v25, v25
	;; [unrolled: 1-line block ×4, first 2 shown]
	v_fmac_f32_e32 v47, v41, v28
	v_add_u32_e32 v28, 35, v24
	v_fma_f32 v44, v41, v25, v44
	v_fmac_f32_e32 v45, v41, v26
	v_fma_f32 v42, v41, v27, v42
	v_add_u32_e32 v25, 48, v24
	v_add_u32_e32 v26, 49, v24
	;; [unrolled: 1-line block ×4, first 2 shown]
	v_cvt_f32_i32_e32 v24, v24
	v_cvt_f32_i32_e32 v25, v25
	;; [unrolled: 1-line block ×3, first 2 shown]
	v_cmp_gt_i32_e64 s[30:31], s33, v20
	v_fmac_f32_e32 v35, v41, v24
	v_mov_b32_e32 v24, 0xff7fffff
	v_cmp_gt_i32_e64 s[34:35], s33, v21
	v_fma_f32 v36, v41, v25, v36
	v_cndmask_b32_e64 v25, v24, v18, s[30:31]
	v_cndmask_b32_e64 v21, v24, v19, s[34:35]
	v_fmac_f32_e32 v37, v41, v26
	v_max3_f32 v21, v25, s43, v21
	v_or_b32_e32 v25, 2, v20
	v_or_b32_e32 v26, 3, v20
	v_cmp_gt_i32_e64 s[36:37], s33, v25
	v_cmp_gt_i32_e64 s[38:39], s33, v26
	v_cndmask_b32_e64 v25, v24, v50, s[36:37]
	v_cndmask_b32_e64 v26, v24, v51, s[38:39]
	v_max3_f32 v21, v21, v25, v26
	v_or_b32_e32 v25, 16, v20
	v_or_b32_e32 v26, 17, v20
	v_cmp_gt_i32_e64 s[24:25], s33, v25
	v_cmp_gt_i32_e64 s[26:27], s33, v26
	v_cndmask_b32_e64 v25, v24, v48, s[24:25]
	v_cndmask_b32_e64 v26, v24, v49, s[26:27]
	;; [unrolled: 7-line block ×3, first 2 shown]
	v_cvt_f32_i32_e32 v28, v28
	v_max3_f32 v21, v21, v25, v26
	v_or_b32_e32 v25, 32, v20
	v_or_b32_e32 v26, 33, v20
	v_cmp_gt_i32_e64 s[16:17], s33, v25
	v_cmp_gt_i32_e64 s[18:19], s33, v26
	v_cndmask_b32_e64 v25, v24, v44, s[16:17]
	v_cndmask_b32_e64 v26, v24, v45, s[18:19]
	v_max3_f32 v21, v21, v25, v26
	v_or_b32_e32 v25, 34, v20
	v_or_b32_e32 v26, 35, v20
	v_fmac_f32_e32 v43, v41, v28
	v_cmp_gt_i32_e64 s[12:13], s33, v25
	v_cmp_gt_i32_e64 s[14:15], s33, v26
	v_cndmask_b32_e64 v25, v24, v42, s[12:13]
	v_cndmask_b32_e64 v26, v24, v43, s[14:15]
	v_cvt_f32_i32_e32 v27, v27
	v_max3_f32 v21, v21, v25, v26
	v_or_b32_e32 v25, 48, v20
	v_or_b32_e32 v26, 49, v20
	v_cmp_gt_i32_e64 s[8:9], s33, v25
	v_cmp_gt_i32_e64 s[10:11], s33, v26
	v_cndmask_b32_e64 v25, v24, v36, s[8:9]
	v_cndmask_b32_e64 v26, v24, v37, s[10:11]
	v_max3_f32 v21, v21, v25, v26
	v_or_b32_e32 v25, 50, v20
	v_or_b32_e32 v20, 51, v20
	v_fma_f32 v34, v41, v27, v34
	v_cmp_gt_i32_e32 vcc, s33, v25
	v_cmp_gt_i32_e64 s[2:3], s33, v20
	v_cndmask_b32_e32 v25, v24, v34, vcc
	v_cndmask_b32_e64 v20, v24, v35, s[2:3]
	v_max3_f32 v26, v21, v25, v20
	v_mbcnt_lo_u32_b32 v20, -1, 0
	v_mbcnt_hi_u32_b32 v27, -1, v20
	v_and_b32_e32 v20, 64, v27
	v_add_u32_e32 v28, 64, v20
	v_xor_b32_e32 v20, 32, v27
	v_cmp_lt_i32_e64 s[40:41], v20, v28
	v_cndmask_b32_e64 v20, v27, v20, s[40:41]
	v_lshlrev_b32_e32 v58, 2, v20
	ds_bpermute_b32 v29, v58, v26
	s_waitcnt vmcnt(2)
	v_mad_i64_i32 v[20:21], s[40:41], v66, s45, 0
	v_lshlrev_b64 v[20:21], 1, v[20:21]
	global_load_dwordx4 v[6:9], v[2:3], off
	s_nop 0
	global_load_dwordx4 v[2:5], v[2:3], off offset:16
	s_waitcnt lgkmcnt(0)
	v_max_f32_e32 v29, v29, v29
	v_max_f32_e32 v26, v26, v29
	v_xor_b32_e32 v29, 16, v27
	v_cmp_lt_i32_e64 s[40:41], v29, v28
	v_cndmask_b32_e64 v27, v27, v29, s[40:41]
	v_lshlrev_b32_e32 v60, 2, v27
	ds_bpermute_b32 v27, v60, v26
	v_add_co_u32_e64 v20, s[40:41], v67, v20
	v_addc_co_u32_e64 v21, s[40:41], v68, v21, s[40:41]
	s_waitcnt lgkmcnt(0)
	v_max_f32_e32 v27, v27, v27
	v_max_f32_e32 v41, v26, v27
	v_sub_f32_e32 v18, v18, v41
	v_mul_f32_e32 v18, 0x3fb8aa3b, v18
	v_exp_f32_e32 v52, v18
	v_sub_f32_e32 v18, v19, v41
	v_mul_f32_e32 v18, 0x3fb8aa3b, v18
	global_load_dwordx4 v[30:33], v[22:23], off
	s_nop 0
	global_load_dwordx4 v[22:25], v[22:23], off offset:16
	v_exp_f32_e32 v53, v18
	global_load_dwordx4 v[26:29], v[20:21], off
	s_nop 0
	global_load_dwordx4 v[18:21], v[20:21], off offset:16
	v_sub_f32_e32 v50, v50, v41
	v_mul_f32_e32 v50, 0x3fb8aa3b, v50
	v_sub_f32_e32 v51, v51, v41
	v_exp_f32_e32 v50, v50
	v_mul_f32_e32 v51, 0x3fb8aa3b, v51
	v_sub_f32_e32 v48, v48, v41
	v_exp_f32_e32 v51, v51
	v_mul_f32_e32 v48, 0x3fb8aa3b, v48
	v_sub_f32_e32 v49, v49, v41
	v_cndmask_b32_e64 v52, 0, v52, s[30:31]
	v_exp_f32_e32 v48, v48
	v_mul_f32_e32 v49, 0x3fb8aa3b, v49
	v_sub_f32_e32 v46, v46, v41
	v_add_f32_e32 v59, 0, v52
	v_cndmask_b32_e64 v53, 0, v53, s[34:35]
	v_exp_f32_e32 v49, v49
	v_mul_f32_e32 v46, 0x3fb8aa3b, v46
	v_sub_f32_e32 v47, v47, v41
	v_add_f32_e32 v59, v59, v53
	;; [unrolled: 5-line block ×10, first 2 shown]
	v_cndmask_b32_e64 v42, 0, v42, s[12:13]
	v_exp_f32_e32 v34, v34
	v_mul_f32_e32 v35, 0x3fb8aa3b, v35
	v_add_f32_e32 v59, v59, v42
	v_cndmask_b32_e64 v43, 0, v43, s[14:15]
	v_exp_f32_e32 v35, v35
	v_add_f32_e32 v59, v59, v43
	v_cndmask_b32_e64 v36, 0, v36, s[8:9]
	v_add_f32_e32 v59, v59, v36
	v_cndmask_b32_e64 v37, 0, v37, s[10:11]
	v_add_f32_e32 v59, v59, v37
	v_cndmask_b32_e32 v34, 0, v34, vcc
	v_add_f32_e32 v59, v59, v34
	v_cndmask_b32_e64 v35, 0, v35, s[2:3]
	v_add_f32_e32 v59, v59, v35
	ds_bpermute_b32 v58, v58, v59
	v_cmp_gt_u32_e32 vcc, 16, v57
	s_waitcnt lgkmcnt(0)
	s_barrier
	v_add_f32_e32 v59, v59, v58
	ds_bpermute_b32 v60, v60, v59
	v_lshlrev_b32_e32 v58, 2, v54
	s_and_saveexec_b64 s[2:3], vcc
	s_cbranch_execz .LBB71_15
; %bb.14:
	s_waitcnt lgkmcnt(0)
	v_add_f32_e32 v57, v59, v60
	v_lshl_or_b32 v59, v55, 6, v58
	ds_write2st64_b32 v59, v41, v57 offset1:1
.LBB71_15:
	s_or_b64 exec, exec, s[2:3]
	s_load_dword s8, s[4:5], 0x94
	s_waitcnt lgkmcnt(0)
	s_barrier
	ds_read2_b32 v[60:61], v58 offset1:16
	ds_read2_b32 v[62:63], v58 offset0:32 offset1:48
	ds_read2_b32 v[64:65], v58 offset0:64 offset1:80
	s_lshl_b32 s9, s42, 4
	s_waitcnt lgkmcnt(2)
	v_max3_f32 v41, v60, s43, v61
	s_waitcnt lgkmcnt(1)
	v_max3_f32 v57, v41, v62, v63
	v_sub_f32_e32 v41, v60, v57
	v_mul_f32_e32 v41, 0x3fb8aa3b, v41
	v_sub_f32_e32 v59, v61, v57
	v_sub_f32_e32 v60, v62, v57
	v_exp_f32_e32 v41, v41
	v_mul_f32_e32 v59, 0x3fb8aa3b, v59
	v_mul_f32_e32 v60, 0x3fb8aa3b, v60
	v_exp_f32_e32 v59, v59
	v_exp_f32_e32 v62, v60
	ds_read2_b32 v[60:61], v58 offset0:96 offset1:112
	v_sub_f32_e32 v58, v63, v57
	v_mul_f32_e32 v58, 0x3fb8aa3b, v58
	v_exp_f32_e32 v63, v58
	s_waitcnt lgkmcnt(1)
	v_fma_f32 v58, v41, v64, 0
	v_fmac_f32_e32 v58, v59, v65
	s_waitcnt lgkmcnt(0)
	v_fmac_f32_e32 v58, v62, v60
	v_fmac_f32_e32 v58, v63, v61
	v_add_f32_e32 v60, 0x358637bd, v58
	v_div_scale_f32 v61, s[2:3], v60, v60, 1.0
	v_rcp_f32_e32 v64, v61
	s_barrier
	v_fma_f32 v65, -v61, v64, 1.0
	v_fmac_f32_e32 v64, v65, v64
	v_div_scale_f32 v65, vcc, 1.0, v60, 1.0
	v_mul_f32_e32 v66, v65, v64
	v_fma_f32 v67, -v61, v66, v65
	v_fmac_f32_e32 v66, v67, v64
	v_fma_f32 v61, -v61, v66, v65
	v_div_fmas_f32 v61, v61, v64, v66
	v_cmp_eq_u32_e32 vcc, 1, v55
	v_cndmask_b32_e32 v41, v41, v59, vcc
	v_cmp_eq_u32_e32 vcc, 2, v55
	v_cndmask_b32_e32 v41, v41, v62, vcc
	v_cmp_eq_u32_e32 vcc, 3, v55
	v_div_fixup_f32 v60, v61, v60, 1.0
	v_cndmask_b32_e32 v41, v41, v63, vcc
	v_mul_f32_e32 v60, v41, v60
	v_pk_mul_f32 v[50:51], v[60:61], v[50:51] op_sel_hi:[0,1]
	v_pk_mul_f32 v[52:53], v[60:61], v[52:53] op_sel_hi:[0,1]
	v_cvt_f16_f32_e32 v41, v52
	v_cvt_f16_f32_e32 v52, v53
	;; [unrolled: 1-line block ×4, first 2 shown]
	v_pk_mul_f32 v[46:47], v[60:61], v[46:47] op_sel_hi:[0,1]
	v_pk_mul_f32 v[48:49], v[60:61], v[48:49] op_sel_hi:[0,1]
	v_cvt_f16_f32_e32 v48, v48
	v_pack_b32_f16 v51, v53, v51
	v_cvt_f16_f32_e32 v49, v49
	v_cvt_f16_f32_e32 v53, v46
	;; [unrolled: 1-line block ×3, first 2 shown]
	v_pack_b32_f16 v50, v41, v52
	v_lshlrev_b32_e32 v41, 3, v1
	v_lshlrev_b32_e32 v52, 5, v54
	;; [unrolled: 1-line block ×3, first 2 shown]
	v_pk_mul_f32 v[42:43], v[60:61], v[42:43] op_sel_hi:[0,1]
	v_pk_mul_f32 v[44:45], v[60:61], v[44:45] op_sel_hi:[0,1]
	v_pk_mul_f32 v[34:35], v[60:61], v[34:35] op_sel_hi:[0,1]
	v_pk_mul_f32 v[36:37], v[60:61], v[36:37] op_sel_hi:[0,1]
	v_or3_b32 v46, v46, v52, v41
	v_pack_b32_f16 v48, v48, v49
	v_pack_b32_f16 v49, v53, v47
	v_cvt_f16_f32_e32 v41, v44
	v_cvt_f16_f32_e32 v44, v45
	;; [unrolled: 1-line block ×8, first 2 shown]
	v_pack_b32_f16 v34, v41, v44
	v_pack_b32_f16 v35, v42, v43
	v_pack_b32_f16 v36, v36, v37
	v_pack_b32_f16 v37, v45, v47
	v_cmp_gt_u32_e32 vcc, 16, v0
	ds_write2st64_b64 v46, v[50:51], v[48:49] offset1:1
	ds_write2st64_b64 v46, v[34:35], v[36:37] offset0:2 offset1:3
	s_and_saveexec_b64 s[2:3], vcc
	s_cbranch_execz .LBB71_17
; %bb.16:
	v_mov_b32_e32 v41, 0
	v_mov_b32_e32 v34, s9
	s_mul_i32 s7, s7, s9
	v_mad_u64_u32 v[34:35], s[10:11], s6, v34, v[40:41]
	v_mov_b32_e32 v40, s28
	s_load_dwordx4 s[12:15], s[4:5], 0x58
	v_add_u32_e32 v37, s7, v35
	v_mad_u64_u32 v[34:35], s[10:11], v34, s8, v[40:41]
	v_mov_b32_e32 v36, v35
	v_mad_u64_u32 v[36:37], s[10:11], v37, s8, v[36:37]
	v_mov_b32_e32 v35, v36
	v_lshlrev_b64 v[34:35], 2, v[34:35]
	s_waitcnt lgkmcnt(0)
	v_mov_b32_e32 v37, s15
	v_add_co_u32_e32 v36, vcc, s14, v34
	v_addc_co_u32_e32 v37, vcc, v37, v35, vcc
	global_store_dword v[36:37], v57, off
	v_mov_b32_e32 v36, s13
	v_add_co_u32_e32 v34, vcc, s12, v34
	v_addc_co_u32_e32 v35, vcc, v36, v35, vcc
	global_store_dword v[34:35], v58, off
.LBB71_17:
	s_or_b64 exec, exec, s[2:3]
	s_waitcnt lgkmcnt(0)
	s_barrier
	ds_read_b128 v[34:37], v56
	ds_read_b128 v[40:43], v56 offset:16
	s_waitcnt vmcnt(7) lgkmcnt(1)
	v_mfma_f32_16x16x16f16 v[48:51], v[14:15], v[34:35], 0
	v_cmp_gt_u32_e32 vcc, 64, v0
	s_mov_b32 s3, 0
	s_and_b64 s[0:1], vcc, s[0:1]
	v_mfma_f32_16x16x16f16 v[14:17], v[16:17], v[36:37], v[48:51]
	s_waitcnt vmcnt(6) lgkmcnt(0)
	v_mfma_f32_16x16x16f16 v[14:17], v[10:11], v[40:41], v[14:17]
	v_mfma_f32_16x16x16f16 v[10:13], v[12:13], v[42:43], v[14:17]
	s_nop 7
	s_nop 1
	ds_read_b128 v[14:17], v56 offset:2048
	ds_read_b128 v[34:37], v56 offset:2064
	s_waitcnt vmcnt(5) lgkmcnt(1)
	v_mfma_f32_16x16x16f16 v[10:13], v[6:7], v[14:15], v[10:13]
	v_mfma_f32_16x16x16f16 v[6:9], v[8:9], v[16:17], v[10:13]
	s_waitcnt vmcnt(4) lgkmcnt(0)
	v_mfma_f32_16x16x16f16 v[6:9], v[2:3], v[34:35], v[6:9]
	v_mfma_f32_16x16x16f16 v[2:5], v[4:5], v[36:37], v[6:9]
	s_nop 7
	s_nop 1
	ds_read_b128 v[6:9], v56 offset:4096
	ds_read_b128 v[10:13], v56 offset:4112
	s_waitcnt vmcnt(3) lgkmcnt(1)
	v_mfma_f32_16x16x16f16 v[2:5], v[30:31], v[6:7], v[2:5]
	v_mfma_f32_16x16x16f16 v[2:5], v[32:33], v[8:9], v[2:5]
	s_waitcnt vmcnt(2) lgkmcnt(0)
	v_mfma_f32_16x16x16f16 v[2:5], v[22:23], v[10:11], v[2:5]
	v_mfma_f32_16x16x16f16 v[2:5], v[24:25], v[12:13], v[2:5]
	ds_read_b128 v[6:9], v56 offset:6144
	ds_read_b128 v[10:13], v56 offset:6160
	s_waitcnt lgkmcnt(0)
	s_barrier
	s_waitcnt vmcnt(1)
	v_mfma_f32_16x16x16f16 v[2:5], v[26:27], v[6:7], v[2:5]
	v_mfma_f32_16x16x16f16 v[2:5], v[28:29], v[8:9], v[2:5]
	s_waitcnt vmcnt(0)
	v_mfma_f32_16x16x16f16 v[2:5], v[18:19], v[10:11], v[2:5]
	v_mfma_f32_16x16x16f16 v[2:5], v[20:21], v[12:13], v[2:5]
	s_nop 7
	s_nop 2
	v_cvt_f16_f32_e32 v2, v2
	v_cvt_f16_f32_e32 v3, v3
	;; [unrolled: 1-line block ×4, first 2 shown]
	v_pack_b32_f16 v2, v2, v3
	v_pack_b32_f16 v3, v4, v5
	ds_write_b64 v46, v[2:3]
	s_waitcnt lgkmcnt(0)
	s_barrier
	s_and_saveexec_b64 s[10:11], s[0:1]
	s_cbranch_execz .LBB71_19
; %bb.18:
	s_load_dwordx2 s[0:1], s[4:5], 0x68
	s_lshl_b32 s7, s8, 6
	s_mul_i32 s2, s9, s6
	s_mul_hi_u32 s5, s2, s7
	s_mul_i32 s4, s2, s7
	s_lshl_b64 s[4:5], s[4:5], 1
	s_waitcnt lgkmcnt(0)
	s_add_u32 s4, s0, s4
	s_addc_u32 s5, s1, s5
	s_lshl_b32 s2, s28, 6
	v_lshlrev_b32_e32 v2, 10, v0
	v_lshlrev_b32_e32 v0, 4, v0
	s_lshl_b64 s[0:1], s[2:3], 1
	v_and_b32_e32 v2, 0x1800, v2
	v_lshlrev_b32_e32 v3, 5, v1
	v_and_b32_e32 v0, 16, v0
	s_add_u32 s0, s4, s0
	v_or3_b32 v0, v2, v3, v0
	s_addc_u32 s1, s5, s1
	ds_read_b128 v[2:5], v0
	ds_read_b128 v[6:9], v0 offset:128
	ds_read_b128 v[10:13], v0 offset:256
	;; [unrolled: 1-line block ×3, first 2 shown]
	v_mov_b32_e32 v0, s1
	v_add_co_u32_e32 v18, vcc, s0, v38
	v_or_b32_e32 v20, s29, v1
	v_addc_co_u32_e32 v19, vcc, v0, v39, vcc
	v_mad_u64_u32 v[0:1], s[0:1], v20, s7, 0
	v_lshlrev_b64 v[0:1], 1, v[0:1]
	v_add_co_u32_e32 v0, vcc, v18, v0
	v_addc_co_u32_e32 v1, vcc, v19, v1, vcc
	s_waitcnt lgkmcnt(3)
	global_store_dwordx4 v[0:1], v[2:5], off
	v_or_b32_e32 v0, 4, v20
	v_mad_u64_u32 v[0:1], s[0:1], v0, s7, 0
	v_lshlrev_b64 v[0:1], 1, v[0:1]
	v_add_co_u32_e32 v0, vcc, v18, v0
	v_addc_co_u32_e32 v1, vcc, v19, v1, vcc
	s_waitcnt lgkmcnt(2)
	global_store_dwordx4 v[0:1], v[6:9], off
	v_or_b32_e32 v0, 8, v20
	;; [unrolled: 7-line block ×3, first 2 shown]
	v_mad_u64_u32 v[0:1], s[0:1], v0, s7, 0
	v_lshlrev_b64 v[0:1], 1, v[0:1]
	v_add_co_u32_e32 v0, vcc, v18, v0
	v_addc_co_u32_e32 v1, vcc, v19, v1, vcc
	s_waitcnt lgkmcnt(0)
	global_store_dwordx4 v[0:1], v[14:17], off
.LBB71_19:
	s_endpgm
	.section	.rodata,"a",@progbits
	.p2align	6, 0x0
	.amdhsa_kernel _Z39paged_attention_ll4mi_QKV_mfma16_kernelIDF16_DF16_LN4vllm18Fp8KVCacheDataTypeE0EDF16_Li32ELi64ELi256ELb1ELi16EL8MFMAType0EEvPKT_PKT0_S8_ifPKiSA_SA_iPKfiiiPfSD_PS3_PT2_iSC_SC_
		.amdhsa_group_segment_fixed_size 8192
		.amdhsa_private_segment_fixed_size 0
		.amdhsa_kernarg_size 400
		.amdhsa_user_sgpr_count 6
		.amdhsa_user_sgpr_private_segment_buffer 1
		.amdhsa_user_sgpr_dispatch_ptr 0
		.amdhsa_user_sgpr_queue_ptr 0
		.amdhsa_user_sgpr_kernarg_segment_ptr 1
		.amdhsa_user_sgpr_dispatch_id 0
		.amdhsa_user_sgpr_flat_scratch_init 0
		.amdhsa_user_sgpr_kernarg_preload_length 0
		.amdhsa_user_sgpr_kernarg_preload_offset 0
		.amdhsa_user_sgpr_private_segment_size 0
		.amdhsa_uses_dynamic_stack 0
		.amdhsa_system_sgpr_private_segment_wavefront_offset 0
		.amdhsa_system_sgpr_workgroup_id_x 1
		.amdhsa_system_sgpr_workgroup_id_y 1
		.amdhsa_system_sgpr_workgroup_id_z 1
		.amdhsa_system_sgpr_workgroup_info 0
		.amdhsa_system_vgpr_workitem_id 0
		.amdhsa_next_free_vgpr 69
		.amdhsa_next_free_sgpr 48
		.amdhsa_accum_offset 72
		.amdhsa_reserve_vcc 1
		.amdhsa_reserve_flat_scratch 0
		.amdhsa_float_round_mode_32 0
		.amdhsa_float_round_mode_16_64 0
		.amdhsa_float_denorm_mode_32 3
		.amdhsa_float_denorm_mode_16_64 3
		.amdhsa_dx10_clamp 1
		.amdhsa_ieee_mode 1
		.amdhsa_fp16_overflow 0
		.amdhsa_tg_split 0
		.amdhsa_exception_fp_ieee_invalid_op 0
		.amdhsa_exception_fp_denorm_src 0
		.amdhsa_exception_fp_ieee_div_zero 0
		.amdhsa_exception_fp_ieee_overflow 0
		.amdhsa_exception_fp_ieee_underflow 0
		.amdhsa_exception_fp_ieee_inexact 0
		.amdhsa_exception_int_div_zero 0
	.end_amdhsa_kernel
	.section	.text._Z39paged_attention_ll4mi_QKV_mfma16_kernelIDF16_DF16_LN4vllm18Fp8KVCacheDataTypeE0EDF16_Li32ELi64ELi256ELb1ELi16EL8MFMAType0EEvPKT_PKT0_S8_ifPKiSA_SA_iPKfiiiPfSD_PS3_PT2_iSC_SC_,"axG",@progbits,_Z39paged_attention_ll4mi_QKV_mfma16_kernelIDF16_DF16_LN4vllm18Fp8KVCacheDataTypeE0EDF16_Li32ELi64ELi256ELb1ELi16EL8MFMAType0EEvPKT_PKT0_S8_ifPKiSA_SA_iPKfiiiPfSD_PS3_PT2_iSC_SC_,comdat
.Lfunc_end71:
	.size	_Z39paged_attention_ll4mi_QKV_mfma16_kernelIDF16_DF16_LN4vllm18Fp8KVCacheDataTypeE0EDF16_Li32ELi64ELi256ELb1ELi16EL8MFMAType0EEvPKT_PKT0_S8_ifPKiSA_SA_iPKfiiiPfSD_PS3_PT2_iSC_SC_, .Lfunc_end71-_Z39paged_attention_ll4mi_QKV_mfma16_kernelIDF16_DF16_LN4vllm18Fp8KVCacheDataTypeE0EDF16_Li32ELi64ELi256ELb1ELi16EL8MFMAType0EEvPKT_PKT0_S8_ifPKiSA_SA_iPKfiiiPfSD_PS3_PT2_iSC_SC_
                                        ; -- End function
	.section	.AMDGPU.csdata,"",@progbits
; Kernel info:
; codeLenInByte = 4404
; NumSgprs: 52
; NumVgprs: 69
; NumAgprs: 0
; TotalNumVgprs: 69
; ScratchSize: 0
; MemoryBound: 0
; FloatMode: 240
; IeeeMode: 1
; LDSByteSize: 8192 bytes/workgroup (compile time only)
; SGPRBlocks: 6
; VGPRBlocks: 8
; NumSGPRsForWavesPerEU: 52
; NumVGPRsForWavesPerEU: 69
; AccumOffset: 72
; Occupancy: 7
; WaveLimiterHint : 1
; COMPUTE_PGM_RSRC2:SCRATCH_EN: 0
; COMPUTE_PGM_RSRC2:USER_SGPR: 6
; COMPUTE_PGM_RSRC2:TRAP_HANDLER: 0
; COMPUTE_PGM_RSRC2:TGID_X_EN: 1
; COMPUTE_PGM_RSRC2:TGID_Y_EN: 1
; COMPUTE_PGM_RSRC2:TGID_Z_EN: 1
; COMPUTE_PGM_RSRC2:TIDIG_COMP_CNT: 0
; COMPUTE_PGM_RSRC3_GFX90A:ACCUM_OFFSET: 17
; COMPUTE_PGM_RSRC3_GFX90A:TG_SPLIT: 0
	.section	.text._Z39paged_attention_ll4mi_QKV_mfma16_kernelIDF16_DF16_LN4vllm18Fp8KVCacheDataTypeE0EDF16_Li32ELi64ELi256ELb1ELi1EL8MFMAType0EEvPKT_PKT0_S8_ifPKiSA_SA_iPKfiiiPfSD_PS3_PT2_iSC_SC_,"axG",@progbits,_Z39paged_attention_ll4mi_QKV_mfma16_kernelIDF16_DF16_LN4vllm18Fp8KVCacheDataTypeE0EDF16_Li32ELi64ELi256ELb1ELi1EL8MFMAType0EEvPKT_PKT0_S8_ifPKiSA_SA_iPKfiiiPfSD_PS3_PT2_iSC_SC_,comdat
	.protected	_Z39paged_attention_ll4mi_QKV_mfma16_kernelIDF16_DF16_LN4vllm18Fp8KVCacheDataTypeE0EDF16_Li32ELi64ELi256ELb1ELi1EL8MFMAType0EEvPKT_PKT0_S8_ifPKiSA_SA_iPKfiiiPfSD_PS3_PT2_iSC_SC_ ; -- Begin function _Z39paged_attention_ll4mi_QKV_mfma16_kernelIDF16_DF16_LN4vllm18Fp8KVCacheDataTypeE0EDF16_Li32ELi64ELi256ELb1ELi1EL8MFMAType0EEvPKT_PKT0_S8_ifPKiSA_SA_iPKfiiiPfSD_PS3_PT2_iSC_SC_
	.globl	_Z39paged_attention_ll4mi_QKV_mfma16_kernelIDF16_DF16_LN4vllm18Fp8KVCacheDataTypeE0EDF16_Li32ELi64ELi256ELb1ELi1EL8MFMAType0EEvPKT_PKT0_S8_ifPKiSA_SA_iPKfiiiPfSD_PS3_PT2_iSC_SC_
	.p2align	8
	.type	_Z39paged_attention_ll4mi_QKV_mfma16_kernelIDF16_DF16_LN4vllm18Fp8KVCacheDataTypeE0EDF16_Li32ELi64ELi256ELb1ELi1EL8MFMAType0EEvPKT_PKT0_S8_ifPKiSA_SA_iPKfiiiPfSD_PS3_PT2_iSC_SC_,@function
_Z39paged_attention_ll4mi_QKV_mfma16_kernelIDF16_DF16_LN4vllm18Fp8KVCacheDataTypeE0EDF16_Li32ELi64ELi256ELb1ELi1EL8MFMAType0EEvPKT_PKT0_S8_ifPKiSA_SA_iPKfiiiPfSD_PS3_PT2_iSC_SC_: ; @_Z39paged_attention_ll4mi_QKV_mfma16_kernelIDF16_DF16_LN4vllm18Fp8KVCacheDataTypeE0EDF16_Li32ELi64ELi256ELb1ELi1EL8MFMAType0EEvPKT_PKT0_S8_ifPKiSA_SA_iPKfiiiPfSD_PS3_PT2_iSC_SC_
; %bb.0:
	s_load_dwordx2 s[0:1], s[4:5], 0x30
	s_mov_b32 s30, s7
	s_mov_b64 s[10:11], 0
	s_waitcnt lgkmcnt(0)
	s_cmp_lg_u64 s[0:1], 0
	s_cselect_b64 s[2:3], -1, 0
	s_and_b64 vcc, exec, s[2:3]
	s_cbranch_vccz .LBB72_7
; %bb.1:
	s_add_i32 s12, s6, 1
	s_mov_b32 s13, 0
	s_lshl_b64 s[14:15], s[12:13], 2
	s_add_u32 s14, s0, s14
	s_mov_b32 s7, s13
	s_addc_u32 s15, s1, s15
	s_lshl_b64 s[12:13], s[6:7], 2
	s_add_u32 s12, s0, s12
	s_addc_u32 s13, s1, s13
	s_load_dword s9, s[14:15], 0x0
	s_load_dword s16, s[12:13], 0x0
	s_waitcnt lgkmcnt(0)
	s_sub_i32 s9, s9, s16
	s_cmp_eq_u32 s9, 1
	s_cselect_b64 s[12:13], -1, 0
	s_andn2_b64 vcc, exec, s[10:11]
	s_cbranch_vccnz .LBB72_3
.LBB72_2:
	s_mov_b32 s7, 0
	s_mov_b64 s[12:13], -1
.LBB72_3:
	s_andn2_b64 vcc, exec, s[12:13]
	s_cbranch_vccnz .LBB72_21
; %bb.4:
	s_load_dwordx2 s[12:13], s[4:5], 0x28
	s_lshl_b64 s[10:11], s[6:7], 2
	s_waitcnt lgkmcnt(0)
	s_add_u32 s12, s12, s10
	s_addc_u32 s13, s13, s11
	s_load_dword s31, s[12:13], 0x0
	s_lshl_b32 s14, s30, 8
	s_waitcnt lgkmcnt(0)
	s_cmp_ge_i32 s14, s31
	s_cbranch_scc1 .LBB72_21
; %bb.5:
	s_add_i32 s15, s31, 31
	s_load_dwordx2 s[12:13], s[4:5], 0x20
	s_load_dword s9, s[4:5], 0x38
	s_ashr_i32 s16, s15, 31
	v_and_b32_e32 v1, 0xcf, v0
	s_lshr_b32 s16, s16, 27
	v_add_u32_e32 v1, s14, v1
	s_add_i32 s15, s15, s16
	v_ashrrev_i32_e32 v2, 31, v1
	s_ashr_i32 s17, s15, 5
	v_lshrrev_b32_e32 v6, 27, v2
	s_add_i32 s17, s17, -1
	v_add_u32_e32 v2, v1, v6
	s_waitcnt lgkmcnt(0)
	s_mul_i32 s18, s6, s9
	s_mov_b32 s19, 0
	v_ashrrev_i32_e32 v2, 5, v2
	v_mov_b32_e32 v7, s17
	v_cmp_gt_i32_e32 vcc, s31, v1
	s_lshl_b64 s[18:19], s[18:19], 2
	v_cndmask_b32_e32 v2, v7, v2, vcc
	s_add_u32 s15, s12, s18
	v_ashrrev_i32_e32 v3, 31, v2
	s_addc_u32 s16, s13, s19
	v_lshlrev_b64 v[2:3], 2, v[2:3]
	v_mov_b32_e32 v4, s16
	v_add_co_u32_e32 v2, vcc, s15, v2
	v_addc_co_u32_e32 v3, vcc, v4, v3, vcc
	v_or_b32_e32 v4, 16, v1
	v_add_u32_e32 v5, v4, v6
	v_ashrrev_i32_e32 v5, 5, v5
	v_cmp_gt_i32_e32 vcc, s31, v4
	v_cndmask_b32_e32 v4, v7, v5, vcc
	v_ashrrev_i32_e32 v5, 31, v4
	v_lshlrev_b64 v[4:5], 2, v[4:5]
	v_mov_b32_e32 v9, s16
	v_add_co_u32_e32 v8, vcc, s15, v4
	v_or_b32_e32 v4, 32, v1
	v_addc_co_u32_e32 v9, vcc, v9, v5, vcc
	v_add_u32_e32 v5, v4, v6
	v_ashrrev_i32_e32 v5, 5, v5
	v_cmp_gt_i32_e32 vcc, s31, v4
	v_cndmask_b32_e32 v4, v7, v5, vcc
	v_ashrrev_i32_e32 v5, 31, v4
	v_lshlrev_b64 v[4:5], 2, v[4:5]
	v_mov_b32_e32 v11, s16
	v_add_co_u32_e32 v10, vcc, s15, v4
	v_or_b32_e32 v1, 48, v1
	v_addc_co_u32_e32 v11, vcc, v11, v5, vcc
	v_add_u32_e32 v4, v1, v6
	v_ashrrev_i32_e32 v4, 5, v4
	v_cmp_gt_i32_e32 vcc, s31, v1
	v_cndmask_b32_e32 v4, v7, v4, vcc
	v_ashrrev_i32_e32 v5, 31, v4
	v_lshlrev_b64 v[4:5], 2, v[4:5]
	v_mov_b32_e32 v1, s16
	v_add_co_u32_e32 v12, vcc, s15, v4
	v_addc_co_u32_e32 v13, vcc, v1, v5, vcc
	global_load_dword v7, v[2:3], off
	global_load_dword v6, v[8:9], off
	;; [unrolled: 1-line block ×4, first 2 shown]
	s_andn2_b64 vcc, exec, s[2:3]
	s_cbranch_vccnz .LBB72_8
; %bb.6:
	s_add_u32 s0, s0, s10
	s_addc_u32 s1, s1, s11
	s_load_dword s9, s[0:1], 0x0
	s_branch .LBB72_9
.LBB72_7:
	s_mov_b64 s[12:13], 0
	s_branch .LBB72_2
.LBB72_8:
	s_mov_b32 s9, s6
.LBB72_9:
	s_load_dwordx2 s[12:13], s[4:5], 0x8
	s_load_dwordx4 s[44:47], s[4:5], 0x48
	v_lshrrev_b32_e32 v52, 6, v0
	v_bfe_u32 v1, v0, 4, 2
	v_lshl_or_b32 v3, v52, 2, v1
	v_and_b32_e32 v53, 15, v0
	v_cmp_ne_u32_e32 vcc, 0, v3
	v_cmp_lt_u32_e64 s[2:3], 7, v53
	v_lshlrev_b32_e32 v2, 3, v53
	v_cmp_gt_u32_e64 s[0:1], 8, v53
	s_or_b64 s[2:3], s[2:3], vcc
	s_and_saveexec_b64 s[10:11], s[2:3]
	s_xor_b64 s[2:3], exec, s[10:11]
; %bb.10:
	v_mov_b32_e32 v3, 0
; %bb.11:
	s_or_saveexec_b64 s[10:11], s[2:3]
	s_load_dwordx2 s[2:3], s[4:5], 0x10
	s_xor_b64 exec, exec, s[10:11]
	s_cbranch_execz .LBB72_13
; %bb.12:
	s_load_dwordx2 s[18:19], s[4:5], 0x0
	s_waitcnt lgkmcnt(0)
	s_ashr_i32 s20, s44, 31
	s_mul_hi_u32 s21, s9, s44
	s_mul_i32 s20, s9, s20
	s_add_i32 s21, s21, s20
	s_mul_i32 s20, s9, s44
	s_lshl_b64 s[20:21], s[20:21], 1
	s_add_u32 s9, s18, s20
	s_addc_u32 s20, s19, s21
	s_lshl_b32 s18, s8, 6
	s_ashr_i32 s19, s18, 31
	s_lshl_b64 s[18:19], s[18:19], 1
	s_add_u32 s18, s9, s18
	s_addc_u32 s19, s20, s19
	v_lshlrev_b32_e32 v3, 1, v2
	global_load_dwordx4 v[8:11], v3, s[18:19]
	v_and_b32_e32 v12, 3, v0
	v_lshlrev_b32_e32 v13, 9, v53
	v_lshlrev_b32_e32 v12, 9, v12
	s_movk_i32 s9, 0x1800
	v_mov_b32_e32 v3, 0
	v_and_or_b32 v12, v13, s9, v12
	s_waitcnt vmcnt(0)
	ds_write_b128 v12, v[8:11]
.LBB72_13:
	s_or_b64 exec, exec, s[10:11]
	s_waitcnt lgkmcnt(0)
	s_mul_i32 s10, s8, s46
	s_mov_b32 s11, 0
	s_lshl_b64 s[10:11], s[10:11], 1
	s_add_u32 s9, s12, s10
	s_addc_u32 s18, s13, s11
	s_waitcnt vmcnt(3)
	v_mad_i64_i32 v[8:9], s[12:13], v7, s45, 0
	v_lshlrev_b64 v[8:9], 1, v[8:9]
	v_mov_b32_e32 v7, s18
	v_add_co_u32_e32 v8, vcc, s9, v8
	v_addc_co_u32_e32 v7, vcc, v7, v9, vcc
	v_lshlrev_b64 v[42:43], 1, v[2:3]
	v_add_co_u32_e32 v2, vcc, v8, v42
	v_lshlrev_b32_e32 v24, 9, v1
	v_addc_co_u32_e32 v3, vcc, v7, v43, vcc
	v_add_co_u32_e32 v2, vcc, v2, v24
	v_addc_co_u32_e32 v3, vcc, 0, v3, vcc
	s_barrier
	global_load_dwordx4 v[38:41], v[2:3], off
	global_load_dwordx4 v[34:37], v[2:3], off offset:2048
	s_waitcnt vmcnt(4)
	v_mad_i64_i32 v[2:3], s[12:13], v6, s45, 0
	v_lshlrev_b64 v[2:3], 1, v[2:3]
	v_mov_b32_e32 v6, s18
	v_add_co_u32_e32 v2, vcc, s9, v2
	v_addc_co_u32_e32 v3, vcc, v6, v3, vcc
	v_mov_b32_e32 v6, 0x100
	v_lshl_or_b32 v18, v53, 4, v6
	v_add_co_u32_e32 v2, vcc, v2, v18
	v_addc_co_u32_e32 v3, vcc, 0, v3, vcc
	v_add_co_u32_e32 v2, vcc, v2, v24
	v_addc_co_u32_e32 v3, vcc, 0, v3, vcc
	global_load_dwordx4 v[30:33], v[2:3], off
	global_load_dwordx4 v[14:17], v[2:3], off offset:2048
	s_waitcnt vmcnt(5)
	v_mad_i64_i32 v[2:3], s[12:13], v5, s45, 0
	v_lshlrev_b64 v[2:3], 1, v[2:3]
	v_mov_b32_e32 v5, s18
	v_add_co_u32_e32 v2, vcc, s9, v2
	v_addc_co_u32_e32 v3, vcc, v5, v3, vcc
	v_add_co_u32_e32 v2, vcc, v2, v42
	v_addc_co_u32_e32 v3, vcc, v3, v43, vcc
	;; [unrolled: 2-line block ×3, first 2 shown]
	global_load_dwordx4 v[10:13], v[2:3], off
	global_load_dwordx4 v[6:9], v[2:3], off offset:2048
	s_waitcnt vmcnt(6)
	v_mad_i64_i32 v[2:3], s[12:13], v4, s45, 0
	v_lshlrev_b64 v[2:3], 1, v[2:3]
	v_mov_b32_e32 v4, s18
	v_add_co_u32_e32 v2, vcc, s9, v2
	v_addc_co_u32_e32 v3, vcc, v4, v3, vcc
	v_add_co_u32_e32 v2, vcc, v2, v18
	v_addc_co_u32_e32 v3, vcc, 0, v3, vcc
	;; [unrolled: 2-line block ×3, first 2 shown]
	global_load_dwordx4 v[2:5], v[22:23], off
	global_load_dwordx4 v[18:21], v[22:23], off offset:2048
	ds_read_b128 v[26:29], v24
	ds_read_b128 v[22:25], v24 offset:2048
	v_and_b32_e32 v54, 63, v0
	v_cmp_eq_u32_e32 vcc, 0, v53
	v_mov_b32_e32 v50, 0
	s_and_saveexec_b64 s[12:13], vcc
	s_cbranch_execz .LBB72_15
; %bb.14:
	s_load_dwordx2 s[18:19], s[4:5], 0x40
	s_ashr_i32 s9, s8, 31
	s_lshl_b64 s[20:21], s[8:9], 2
	s_waitcnt lgkmcnt(0)
	s_add_u32 s18, s18, s20
	s_addc_u32 s19, s19, s21
	s_load_dword s9, s[18:19], 0x0
	s_waitcnt lgkmcnt(0)
	v_mov_b32_e32 v50, s9
.LBB72_15:
	s_or_b64 exec, exec, s[12:13]
	s_waitcnt vmcnt(7) lgkmcnt(1)
	v_mfma_f32_16x16x16f16 v[44:47], v[38:39], v[26:27], 0
	s_ashr_i32 s9, s14, 31
	s_lshr_b32 s9, s9, 27
	v_mov_b32_e32 v49, s16
	s_add_u32 s2, s2, s10
	s_addc_u32 s3, s3, s11
	s_load_dword s12, s[4:5], 0x1c
	v_mfma_f32_16x16x16f16 v[38:41], v[40:41], v[28:29], v[44:47]
	s_waitcnt vmcnt(6) lgkmcnt(0)
	v_mfma_f32_16x16x16f16 v[38:41], v[34:35], v[22:23], v[38:41]
	s_nop 4
	v_and_or_b32 v46, v0, 48, s14
	v_add_u32_e32 v34, s9, v46
	v_ashrrev_i32_e32 v34, 5, v34
	v_mov_b32_e32 v47, s17
	v_cmp_gt_i32_e32 vcc, s31, v46
	v_cndmask_b32_e32 v34, v47, v34, vcc
	v_ashrrev_i32_e32 v35, 31, v34
	v_lshlrev_b64 v[44:45], 2, v[34:35]
	v_mfma_f32_16x16x16f16 v[34:37], v[36:37], v[24:25], v[38:41]
	s_nop 6
	v_mov_b32_e32 v39, s16
	v_add_co_u32_e32 v38, vcc, s15, v44
	v_addc_co_u32_e32 v39, vcc, v39, v45, vcc
	global_load_dword v48, v[38:39], off
	s_waitcnt vmcnt(6)
	v_mfma_f32_16x16x16f16 v[38:41], v[30:31], v[26:27], 0
	v_or_b32_e32 v44, 64, v46
	v_add_u32_e32 v30, s9, v44
	v_ashrrev_i32_e32 v30, 5, v30
	v_cmp_gt_i32_e32 vcc, s31, v44
	v_cndmask_b32_e32 v30, v47, v30, vcc
	v_ashrrev_i32_e32 v31, 31, v30
	v_lshlrev_b64 v[44:45], 2, v[30:31]
	v_mfma_f32_16x16x16f16 v[30:33], v[32:33], v[28:29], v[38:41]
	s_nop 6
	v_add_co_u32_e32 v38, vcc, s15, v44
	v_addc_co_u32_e32 v39, vcc, v49, v45, vcc
	global_load_dword v40, v[38:39], off
	v_or_b32_e32 v38, 0x80, v46
	v_add_u32_e32 v39, s9, v38
	v_ashrrev_i32_e32 v39, 5, v39
	v_cmp_gt_i32_e32 vcc, s31, v38
	v_cndmask_b32_e32 v38, v47, v39, vcc
	v_ashrrev_i32_e32 v39, 31, v38
	s_waitcnt vmcnt(6)
	v_mfma_f32_16x16x16f16 v[30:33], v[14:15], v[22:23], v[30:33]
	v_lshlrev_b64 v[14:15], 2, v[38:39]
	v_mov_b32_e32 v38, s16
	v_add_co_u32_e32 v14, vcc, s15, v14
	v_addc_co_u32_e32 v15, vcc, v38, v15, vcc
	global_load_dword v41, v[14:15], off
	v_mfma_f32_16x16x16f16 v[30:33], v[16:17], v[24:25], v[30:33]
	v_or_b32_e32 v38, 0xc0, v46
	v_cmp_gt_i32_e32 vcc, s31, v38
	v_mov_b32_e32 v44, s16
	s_waitcnt vmcnt(6)
	v_mfma_f32_16x16x16f16 v[14:17], v[10:11], v[26:27], 0
	v_add_u32_e32 v10, s9, v38
	v_ashrrev_i32_e32 v10, 5, v10
	v_cndmask_b32_e32 v10, v47, v10, vcc
	v_ashrrev_i32_e32 v11, 31, v10
	v_lshlrev_b64 v[38:39], 2, v[10:11]
	s_nop 0
	v_pk_mul_f32 v[46:47], s[12:13], v[30:31] op_sel_hi:[0,1]
	s_mov_b32 s9, 0xff7fffff
	v_mfma_f32_16x16x16f16 v[10:13], v[12:13], v[28:29], v[14:17]
	s_nop 6
	v_add_co_u32_e32 v14, vcc, s15, v38
	s_waitcnt vmcnt(5)
	v_mfma_f32_16x16x16f16 v[10:13], v[6:7], v[22:23], v[10:13]
	v_addc_co_u32_e32 v15, vcc, v44, v39, vcc
	global_load_dword v51, v[14:15], off
	v_and_b32_e32 v14, 16, v0
	v_lshlrev_b32_e32 v14, 1, v14
	v_mov_b32_e32 v6, s3
	v_add_co_u32_e32 v7, vcc, s2, v14
	v_lshlrev_b32_e32 v14, 6, v53
	v_addc_co_u32_e32 v6, vcc, 0, v6, vcc
	v_lshl_or_b32 v14, v52, 10, v14
	v_add_co_u32_e32 v55, vcc, v7, v14
	v_addc_co_u32_e32 v60, vcc, 0, v6, vcc
	v_mfma_f32_16x16x16f16 v[56:59], v[8:9], v[24:25], v[10:13]
	s_waitcnt vmcnt(3)
	v_mad_i64_i32 v[6:7], s[2:3], v48, s45, 0
	v_pk_mul_f32 v[48:49], s[12:13], v[36:37] op_sel_hi:[0,1]
	v_pk_mul_f32 v[44:45], s[12:13], v[32:33] op_sel_hi:[0,1]
	s_waitcnt vmcnt(1)
	v_mad_i64_i32 v[38:39], s[2:3], v41, s45, 0
	s_nop 0
	v_lshlrev_b64 v[10:11], 1, v[6:7]
	v_mfma_f32_16x16x16f16 v[6:9], v[2:3], v[26:27], 0
	v_add_co_u32_e32 v2, vcc, v55, v10
	v_addc_co_u32_e32 v3, vcc, v60, v11, vcc
	global_load_dwordx4 v[14:17], v[2:3], off
	global_load_dwordx4 v[10:13], v[2:3], off offset:16
	v_mad_i64_i32 v[2:3], s[2:3], v40, s45, 0
	v_mfma_f32_16x16x16f16 v[26:29], v[4:5], v[28:29], v[6:9]
	v_lshlrev_b64 v[2:3], 1, v[2:3]
	v_add_co_u32_e32 v2, vcc, v55, v2
	v_addc_co_u32_e32 v3, vcc, v60, v3, vcc
	v_lshlrev_b64 v[38:39], 1, v[38:39]
	v_pk_mul_f32 v[40:41], s[12:13], v[56:57] op_sel_hi:[0,1]
	v_mfma_f32_16x16x16f16 v[26:29], v[18:19], v[22:23], v[26:29]
	v_pk_mul_f32 v[18:19], s[12:13], v[34:35] op_sel_hi:[0,1]
	v_add_co_u32_e32 v22, vcc, v55, v38
	v_addc_co_u32_e32 v23, vcc, v60, v39, vcc
	v_pk_mul_f32 v[38:39], s[12:13], v[58:59] op_sel_hi:[0,1]
	global_load_dwordx4 v[6:9], v[2:3], off
	s_nop 0
	global_load_dwordx4 v[2:5], v[2:3], off offset:16
	v_mfma_f32_16x16x16f16 v[24:27], v[20:21], v[24:25], v[26:29]
	v_and_b32_e32 v20, 0xc0, v0
	v_add_u32_e32 v20, s14, v20
	v_lshl_or_b32 v20, v1, 2, v20
	v_or_b32_e32 v21, 1, v20
	v_cmp_gt_i32_e64 s[34:35], s31, v20
	v_cmp_gt_i32_e64 s[36:37], s31, v21
	s_nop 4
	v_pk_mul_f32 v[36:37], s[12:13], v[24:25] op_sel_hi:[0,1]
	v_subrev_u32_e32 v24, s31, v21
	v_pk_mul_f32 v[34:35], s[12:13], v[26:27] op_sel_hi:[0,1]
	v_add_u32_e32 v26, 1, v24
	v_add_u32_e32 v27, 2, v24
	v_cvt_f32_i32_e32 v25, v24
	v_cvt_f32_i32_e32 v26, v26
	;; [unrolled: 1-line block ×3, first 2 shown]
	v_add_u32_e32 v28, 3, v24
	v_fma_f32 v18, v50, v25, v18
	v_fmac_f32_e32 v19, v50, v26
	v_fma_f32 v48, v50, v27, v48
	v_add_u32_e32 v25, 16, v24
	v_add_u32_e32 v26, 17, v24
	;; [unrolled: 1-line block ×3, first 2 shown]
	v_cvt_f32_i32_e32 v28, v28
	v_cvt_f32_i32_e32 v25, v25
	;; [unrolled: 1-line block ×4, first 2 shown]
	v_fmac_f32_e32 v49, v50, v28
	v_add_u32_e32 v28, 19, v24
	v_fma_f32 v46, v50, v25, v46
	v_fmac_f32_e32 v47, v50, v26
	v_fma_f32 v44, v50, v27, v44
	v_add_u32_e32 v25, 32, v24
	v_add_u32_e32 v26, 33, v24
	v_add_u32_e32 v27, 34, v24
	v_cvt_f32_i32_e32 v28, v28
	v_cvt_f32_i32_e32 v25, v25
	;; [unrolled: 1-line block ×4, first 2 shown]
	v_fmac_f32_e32 v45, v50, v28
	v_add_u32_e32 v28, 35, v24
	v_fma_f32 v40, v50, v25, v40
	v_fmac_f32_e32 v41, v50, v26
	v_fma_f32 v38, v50, v27, v38
	v_add_u32_e32 v25, 48, v24
	v_add_u32_e32 v26, 49, v24
	;; [unrolled: 1-line block ×4, first 2 shown]
	v_cvt_f32_i32_e32 v24, v24
	v_cvt_f32_i32_e32 v25, v25
	;; [unrolled: 1-line block ×4, first 2 shown]
	v_fmac_f32_e32 v35, v50, v24
	v_mov_b32_e32 v24, 0xff7fffff
	v_fma_f32 v36, v50, v25, v36
	v_cndmask_b32_e64 v25, v24, v18, s[34:35]
	v_cndmask_b32_e64 v21, v24, v19, s[36:37]
	v_fmac_f32_e32 v37, v50, v26
	v_max3_f32 v21, v25, s9, v21
	v_or_b32_e32 v25, 2, v20
	v_or_b32_e32 v26, 3, v20
	v_cmp_gt_i32_e64 s[38:39], s31, v25
	v_cmp_gt_i32_e64 s[40:41], s31, v26
	v_cndmask_b32_e64 v25, v24, v48, s[38:39]
	v_cndmask_b32_e64 v26, v24, v49, s[40:41]
	v_max3_f32 v21, v21, v25, v26
	v_or_b32_e32 v25, 16, v20
	v_or_b32_e32 v26, 17, v20
	v_cmp_gt_i32_e64 s[26:27], s31, v25
	v_cmp_gt_i32_e64 s[28:29], s31, v26
	v_cndmask_b32_e64 v25, v24, v46, s[26:27]
	v_cndmask_b32_e64 v26, v24, v47, s[28:29]
	;; [unrolled: 7-line block ×4, first 2 shown]
	v_max3_f32 v21, v21, v25, v26
	v_or_b32_e32 v25, 34, v20
	v_or_b32_e32 v26, 35, v20
	v_fmac_f32_e32 v39, v50, v28
	v_cmp_gt_i32_e64 s[14:15], s31, v25
	v_cmp_gt_i32_e64 s[16:17], s31, v26
	v_cndmask_b32_e64 v25, v24, v38, s[14:15]
	v_cndmask_b32_e64 v26, v24, v39, s[16:17]
	v_cvt_f32_i32_e32 v27, v27
	v_max3_f32 v21, v21, v25, v26
	v_or_b32_e32 v25, 48, v20
	v_or_b32_e32 v26, 49, v20
	v_cmp_gt_i32_e64 s[10:11], s31, v25
	v_cmp_gt_i32_e64 s[12:13], s31, v26
	v_cndmask_b32_e64 v25, v24, v36, s[10:11]
	v_cndmask_b32_e64 v26, v24, v37, s[12:13]
	v_max3_f32 v21, v21, v25, v26
	v_or_b32_e32 v25, 50, v20
	v_or_b32_e32 v20, 51, v20
	v_fma_f32 v34, v50, v27, v34
	v_cmp_gt_i32_e32 vcc, s31, v25
	v_cmp_gt_i32_e64 s[2:3], s31, v20
	v_cndmask_b32_e32 v25, v24, v34, vcc
	v_cndmask_b32_e64 v20, v24, v35, s[2:3]
	v_max3_f32 v26, v21, v25, v20
	v_mbcnt_lo_u32_b32 v20, -1, 0
	v_mbcnt_hi_u32_b32 v27, -1, v20
	v_and_b32_e32 v20, 64, v27
	v_add_u32_e32 v28, 64, v20
	v_xor_b32_e32 v20, 32, v27
	v_cmp_lt_i32_e64 s[42:43], v20, v28
	v_cndmask_b32_e64 v20, v27, v20, s[42:43]
	v_lshlrev_b32_e32 v56, 2, v20
	ds_bpermute_b32 v29, v56, v26
	s_waitcnt vmcnt(4)
	v_mad_i64_i32 v[20:21], s[42:43], v51, s45, 0
	v_lshlrev_b64 v[20:21], 1, v[20:21]
	global_load_dwordx4 v[30:33], v[22:23], off
	s_nop 0
	global_load_dwordx4 v[22:25], v[22:23], off offset:16
	s_waitcnt lgkmcnt(0)
	v_max_f32_e32 v29, v29, v29
	v_max_f32_e32 v26, v26, v29
	v_xor_b32_e32 v29, 16, v27
	v_cmp_lt_i32_e64 s[42:43], v29, v28
	v_cndmask_b32_e64 v27, v27, v29, s[42:43]
	v_lshlrev_b32_e32 v58, 2, v27
	ds_bpermute_b32 v27, v58, v26
	v_add_co_u32_e64 v20, s[42:43], v55, v20
	v_addc_co_u32_e64 v21, s[42:43], v60, v21, s[42:43]
	s_waitcnt lgkmcnt(0)
	v_max_f32_e32 v27, v27, v27
	v_max_f32_e32 v55, v26, v27
	v_sub_f32_e32 v18, v18, v55
	v_mul_f32_e32 v18, 0x3fb8aa3b, v18
	v_exp_f32_e32 v50, v18
	v_sub_f32_e32 v18, v19, v55
	v_mul_f32_e32 v18, 0x3fb8aa3b, v18
	v_exp_f32_e32 v51, v18
	global_load_dwordx4 v[26:29], v[20:21], off
	s_nop 0
	global_load_dwordx4 v[18:21], v[20:21], off offset:16
	v_sub_f32_e32 v48, v48, v55
	v_mul_f32_e32 v48, 0x3fb8aa3b, v48
	v_sub_f32_e32 v49, v49, v55
	v_exp_f32_e32 v48, v48
	v_mul_f32_e32 v49, 0x3fb8aa3b, v49
	v_sub_f32_e32 v46, v46, v55
	v_exp_f32_e32 v49, v49
	v_mul_f32_e32 v46, 0x3fb8aa3b, v46
	v_sub_f32_e32 v47, v47, v55
	v_cndmask_b32_e64 v50, 0, v50, s[34:35]
	v_exp_f32_e32 v46, v46
	v_mul_f32_e32 v47, 0x3fb8aa3b, v47
	v_sub_f32_e32 v44, v44, v55
	v_add_f32_e32 v57, 0, v50
	v_cndmask_b32_e64 v51, 0, v51, s[36:37]
	v_exp_f32_e32 v47, v47
	v_mul_f32_e32 v44, 0x3fb8aa3b, v44
	v_sub_f32_e32 v45, v45, v55
	v_add_f32_e32 v57, v57, v51
	;; [unrolled: 5-line block ×10, first 2 shown]
	v_cndmask_b32_e64 v38, 0, v38, s[14:15]
	v_exp_f32_e32 v34, v34
	v_mul_f32_e32 v35, 0x3fb8aa3b, v35
	v_add_f32_e32 v57, v57, v38
	v_cndmask_b32_e64 v39, 0, v39, s[16:17]
	v_exp_f32_e32 v35, v35
	v_add_f32_e32 v57, v57, v39
	v_cndmask_b32_e64 v36, 0, v36, s[10:11]
	v_add_f32_e32 v57, v57, v36
	v_cndmask_b32_e64 v37, 0, v37, s[12:13]
	v_add_f32_e32 v57, v57, v37
	v_cndmask_b32_e32 v34, 0, v34, vcc
	v_add_f32_e32 v57, v57, v34
	v_cndmask_b32_e64 v35, 0, v35, s[2:3]
	v_add_f32_e32 v57, v57, v35
	ds_bpermute_b32 v56, v56, v57
	v_cmp_gt_u32_e64 s[2:3], 16, v54
	s_waitcnt lgkmcnt(0)
	s_barrier
	v_add_f32_e32 v57, v57, v56
	ds_bpermute_b32 v58, v58, v57
	v_lshlrev_b32_e32 v56, 2, v53
	s_and_saveexec_b64 s[10:11], s[2:3]
	s_cbranch_execz .LBB72_17
; %bb.16:
	s_waitcnt lgkmcnt(0)
	v_add_f32_e32 v54, v57, v58
	v_lshl_or_b32 v57, v52, 6, v56
	ds_write2st64_b32 v57, v55, v54 offset1:1
.LBB72_17:
	s_or_b64 exec, exec, s[10:11]
	s_load_dwordx2 s[10:11], s[4:5], 0x94
	s_waitcnt lgkmcnt(0)
	s_barrier
	ds_read2_b32 v[58:59], v56 offset1:16
	ds_read2_b32 v[60:61], v56 offset0:32 offset1:48
	ds_read2_b32 v[62:63], v56 offset0:64 offset1:80
	;; [unrolled: 1-line block ×3, first 2 shown]
	s_waitcnt lgkmcnt(0)
	v_max3_f32 v54, v58, s9, v59
	v_max3_f32 v54, v54, v60, v61
	v_sub_f32_e32 v55, v58, v54
	v_mul_f32_e32 v55, 0x3fb8aa3b, v55
	v_exp_f32_e32 v58, v55
	v_sub_f32_e32 v55, v59, v54
	v_mul_f32_e32 v55, 0x3fb8aa3b, v55
	v_exp_f32_e32 v59, v55
	;; [unrolled: 3-line block ×4, first 2 shown]
	v_fma_f32 v55, v58, v62, 0
	v_fmac_f32_e32 v55, v59, v63
	v_fmac_f32_e32 v55, v60, v56
	;; [unrolled: 1-line block ×3, first 2 shown]
	v_add_f32_e32 v57, 0x358637bd, v55
	v_div_scale_f32 v62, s[12:13], v57, v57, 1.0
	v_rcp_f32_e32 v63, v62
	s_barrier
	v_mov_b32_e32 v56, 0
	v_fma_f32 v64, -v62, v63, 1.0
	v_fmac_f32_e32 v63, v64, v63
	v_div_scale_f32 v64, vcc, 1.0, v57, 1.0
	v_mul_f32_e32 v65, v64, v63
	v_fma_f32 v66, -v62, v65, v64
	v_fmac_f32_e32 v65, v66, v63
	v_fma_f32 v62, -v62, v65, v64
	v_div_fmas_f32 v62, v62, v63, v65
	v_cmp_eq_u32_e32 vcc, 1, v52
	v_cndmask_b32_e32 v58, v58, v59, vcc
	v_cmp_eq_u32_e32 vcc, 2, v52
	v_cndmask_b32_e32 v58, v58, v60, vcc
	v_cmp_eq_u32_e32 vcc, 3, v52
	v_div_fixup_f32 v57, v62, v57, 1.0
	v_cndmask_b32_e32 v58, v58, v61, vcc
	v_mul_f32_e32 v58, v58, v57
	v_pk_mul_f32 v[48:49], v[58:59], v[48:49] op_sel_hi:[0,1]
	v_pk_mul_f32 v[50:51], v[58:59], v[50:51] op_sel_hi:[0,1]
	v_cvt_f16_f32_e32 v50, v50
	v_cvt_f16_f32_e32 v51, v51
	;; [unrolled: 1-line block ×4, first 2 shown]
	v_pk_mul_f32 v[44:45], v[58:59], v[44:45] op_sel_hi:[0,1]
	v_pk_mul_f32 v[46:47], v[58:59], v[46:47] op_sel_hi:[0,1]
	v_pack_b32_f16 v50, v50, v51
	v_pack_b32_f16 v51, v48, v49
	v_lshlrev_b32_e32 v48, 5, v53
	v_cvt_f16_f32_e32 v46, v46
	v_cvt_f16_f32_e32 v47, v47
	;; [unrolled: 1-line block ×4, first 2 shown]
	v_lshlrev_b32_e32 v49, 3, v1
	v_lshlrev_b32_e32 v44, 11, v52
	v_or3_b32 v44, v44, v48, v49
	v_pack_b32_f16 v46, v46, v47
	v_pack_b32_f16 v47, v53, v45
	v_pk_mul_f32 v[38:39], v[58:59], v[38:39] op_sel_hi:[0,1]
	v_pk_mul_f32 v[40:41], v[58:59], v[40:41] op_sel_hi:[0,1]
	;; [unrolled: 1-line block ×4, first 2 shown]
	ds_write2st64_b64 v44, v[50:51], v[46:47] offset1:1
	v_cvt_f16_f32_e32 v40, v40
	v_cvt_f16_f32_e32 v41, v41
	v_cvt_f16_f32_e32 v38, v38
	v_cvt_f16_f32_e32 v39, v39
	v_cvt_f16_f32_e32 v36, v36
	v_cvt_f16_f32_e32 v37, v37
	v_cvt_f16_f32_e32 v45, v34
	v_cvt_f16_f32_e32 v46, v35
	v_pack_b32_f16 v34, v40, v41
	v_pack_b32_f16 v35, v38, v39
	;; [unrolled: 1-line block ×4, first 2 shown]
	v_cmp_eq_u32_e32 vcc, 0, v0
	ds_write2st64_b64 v44, v[34:35], v[36:37] offset0:2 offset1:3
	s_and_saveexec_b64 s[12:13], vcc
	s_cbranch_execz .LBB72_19
; %bb.18:
	s_mul_i32 s7, s7, s11
	s_mul_hi_u32 s9, s6, s11
	s_add_i32 s9, s9, s7
	s_mul_i32 s7, s6, s11
	s_add_u32 s7, s7, s8
	s_addc_u32 s9, s9, 0
	s_load_dwordx4 s[16:19], s[4:5], 0x58
	s_mul_i32 s9, s9, s10
	s_mul_hi_u32 s14, s7, s10
	s_add_i32 s9, s14, s9
	s_mul_i32 s7, s7, s10
	s_add_u32 s14, s7, s30
	s_addc_u32 s15, s9, 0
	s_lshl_b64 s[14:15], s[14:15], 2
	s_waitcnt lgkmcnt(0)
	s_add_u32 s18, s18, s14
	s_addc_u32 s19, s19, s15
	s_add_u32 s14, s16, s14
	s_addc_u32 s15, s17, s15
	global_store_dword v56, v54, s[18:19]
	global_store_dword v56, v55, s[14:15]
.LBB72_19:
	s_or_b64 exec, exec, s[12:13]
	v_lshl_or_b32 v45, v1, 9, v48
	s_waitcnt lgkmcnt(0)
	s_barrier
	ds_read_b128 v[34:37], v45
	ds_read_b128 v[38:41], v45 offset:16
	s_waitcnt vmcnt(7) lgkmcnt(1)
	v_mfma_f32_16x16x16f16 v[46:49], v[14:15], v[34:35], 0
	v_cmp_gt_u32_e32 vcc, 64, v0
	s_and_b64 s[0:1], s[0:1], vcc
	s_mov_b32 s7, 0
	s_and_b64 s[0:1], s[0:1], s[2:3]
	v_mfma_f32_16x16x16f16 v[14:17], v[16:17], v[36:37], v[46:49]
	s_waitcnt vmcnt(6) lgkmcnt(0)
	v_mfma_f32_16x16x16f16 v[14:17], v[10:11], v[38:39], v[14:17]
	v_mfma_f32_16x16x16f16 v[10:13], v[12:13], v[40:41], v[14:17]
	s_nop 7
	s_nop 1
	ds_read_b128 v[14:17], v45 offset:2048
	ds_read_b128 v[34:37], v45 offset:2064
	s_waitcnt vmcnt(5) lgkmcnt(1)
	v_mfma_f32_16x16x16f16 v[10:13], v[6:7], v[14:15], v[10:13]
	v_mfma_f32_16x16x16f16 v[6:9], v[8:9], v[16:17], v[10:13]
	s_waitcnt vmcnt(4) lgkmcnt(0)
	v_mfma_f32_16x16x16f16 v[6:9], v[2:3], v[34:35], v[6:9]
	v_mfma_f32_16x16x16f16 v[2:5], v[4:5], v[36:37], v[6:9]
	s_nop 7
	s_nop 1
	ds_read_b128 v[6:9], v45 offset:4096
	ds_read_b128 v[10:13], v45 offset:4112
	s_waitcnt vmcnt(3) lgkmcnt(1)
	v_mfma_f32_16x16x16f16 v[2:5], v[30:31], v[6:7], v[2:5]
	v_mfma_f32_16x16x16f16 v[2:5], v[32:33], v[8:9], v[2:5]
	s_waitcnt vmcnt(2) lgkmcnt(0)
	v_mfma_f32_16x16x16f16 v[2:5], v[22:23], v[10:11], v[2:5]
	v_mfma_f32_16x16x16f16 v[2:5], v[24:25], v[12:13], v[2:5]
	ds_read_b128 v[6:9], v45 offset:6144
	ds_read_b128 v[10:13], v45 offset:6160
	s_waitcnt lgkmcnt(0)
	s_barrier
	s_waitcnt vmcnt(1)
	v_mfma_f32_16x16x16f16 v[2:5], v[26:27], v[6:7], v[2:5]
	v_mfma_f32_16x16x16f16 v[2:5], v[28:29], v[8:9], v[2:5]
	s_waitcnt vmcnt(0)
	v_mfma_f32_16x16x16f16 v[2:5], v[18:19], v[10:11], v[2:5]
	v_mfma_f32_16x16x16f16 v[2:5], v[20:21], v[12:13], v[2:5]
	s_nop 7
	s_nop 2
	v_cvt_f16_f32_e32 v2, v2
	v_cvt_f16_f32_e32 v3, v3
	;; [unrolled: 1-line block ×4, first 2 shown]
	v_pack_b32_f16 v2, v2, v3
	v_pack_b32_f16 v3, v4, v5
	ds_write_b64 v44, v[2:3]
	s_waitcnt lgkmcnt(0)
	s_barrier
	s_and_saveexec_b64 s[2:3], s[0:1]
	s_cbranch_execz .LBB72_21
; %bb.20:
	s_load_dwordx2 s[0:1], s[4:5], 0x68
	s_mul_i32 s2, s11, s6
	s_lshl_b32 s4, s10, 6
	s_mul_hi_u32 s3, s2, s4
	s_mul_i32 s2, s2, s4
	s_lshl_b64 s[2:3], s[2:3], 1
	s_waitcnt lgkmcnt(0)
	s_add_u32 s2, s0, s2
	s_addc_u32 s3, s1, s3
	s_lshl_b32 s6, s30, 6
	v_lshlrev_b32_e32 v2, 10, v0
	v_lshlrev_b32_e32 v0, 4, v0
	s_lshl_b64 s[0:1], s[6:7], 1
	v_and_b32_e32 v2, 0x1800, v2
	v_lshlrev_b32_e32 v1, 5, v1
	v_and_b32_e32 v0, 16, v0
	s_add_u32 s2, s2, s0
	v_or3_b32 v0, v2, v1, v0
	s_addc_u32 s3, s3, s1
	s_mul_hi_u32 s1, s4, s8
	s_mul_i32 s0, s4, s8
	ds_read_b128 v[0:3], v0
	s_lshl_b64 s[0:1], s[0:1], 1
	s_add_u32 s0, s2, s0
	s_addc_u32 s1, s3, s1
	v_mov_b32_e32 v5, s1
	v_add_co_u32_e32 v4, vcc, s0, v42
	v_addc_co_u32_e32 v5, vcc, v5, v43, vcc
	s_waitcnt lgkmcnt(0)
	global_store_dwordx4 v[4:5], v[0:3], off
.LBB72_21:
	s_endpgm
	.section	.rodata,"a",@progbits
	.p2align	6, 0x0
	.amdhsa_kernel _Z39paged_attention_ll4mi_QKV_mfma16_kernelIDF16_DF16_LN4vllm18Fp8KVCacheDataTypeE0EDF16_Li32ELi64ELi256ELb1ELi1EL8MFMAType0EEvPKT_PKT0_S8_ifPKiSA_SA_iPKfiiiPfSD_PS3_PT2_iSC_SC_
		.amdhsa_group_segment_fixed_size 8192
		.amdhsa_private_segment_fixed_size 0
		.amdhsa_kernarg_size 400
		.amdhsa_user_sgpr_count 6
		.amdhsa_user_sgpr_private_segment_buffer 1
		.amdhsa_user_sgpr_dispatch_ptr 0
		.amdhsa_user_sgpr_queue_ptr 0
		.amdhsa_user_sgpr_kernarg_segment_ptr 1
		.amdhsa_user_sgpr_dispatch_id 0
		.amdhsa_user_sgpr_flat_scratch_init 0
		.amdhsa_user_sgpr_kernarg_preload_length 0
		.amdhsa_user_sgpr_kernarg_preload_offset 0
		.amdhsa_user_sgpr_private_segment_size 0
		.amdhsa_uses_dynamic_stack 0
		.amdhsa_system_sgpr_private_segment_wavefront_offset 0
		.amdhsa_system_sgpr_workgroup_id_x 1
		.amdhsa_system_sgpr_workgroup_id_y 1
		.amdhsa_system_sgpr_workgroup_id_z 1
		.amdhsa_system_sgpr_workgroup_info 0
		.amdhsa_system_vgpr_workitem_id 0
		.amdhsa_next_free_vgpr 67
		.amdhsa_next_free_sgpr 48
		.amdhsa_accum_offset 68
		.amdhsa_reserve_vcc 1
		.amdhsa_reserve_flat_scratch 0
		.amdhsa_float_round_mode_32 0
		.amdhsa_float_round_mode_16_64 0
		.amdhsa_float_denorm_mode_32 3
		.amdhsa_float_denorm_mode_16_64 3
		.amdhsa_dx10_clamp 1
		.amdhsa_ieee_mode 1
		.amdhsa_fp16_overflow 0
		.amdhsa_tg_split 0
		.amdhsa_exception_fp_ieee_invalid_op 0
		.amdhsa_exception_fp_denorm_src 0
		.amdhsa_exception_fp_ieee_div_zero 0
		.amdhsa_exception_fp_ieee_overflow 0
		.amdhsa_exception_fp_ieee_underflow 0
		.amdhsa_exception_fp_ieee_inexact 0
		.amdhsa_exception_int_div_zero 0
	.end_amdhsa_kernel
	.section	.text._Z39paged_attention_ll4mi_QKV_mfma16_kernelIDF16_DF16_LN4vllm18Fp8KVCacheDataTypeE0EDF16_Li32ELi64ELi256ELb1ELi1EL8MFMAType0EEvPKT_PKT0_S8_ifPKiSA_SA_iPKfiiiPfSD_PS3_PT2_iSC_SC_,"axG",@progbits,_Z39paged_attention_ll4mi_QKV_mfma16_kernelIDF16_DF16_LN4vllm18Fp8KVCacheDataTypeE0EDF16_Li32ELi64ELi256ELb1ELi1EL8MFMAType0EEvPKT_PKT0_S8_ifPKiSA_SA_iPKfiiiPfSD_PS3_PT2_iSC_SC_,comdat
.Lfunc_end72:
	.size	_Z39paged_attention_ll4mi_QKV_mfma16_kernelIDF16_DF16_LN4vllm18Fp8KVCacheDataTypeE0EDF16_Li32ELi64ELi256ELb1ELi1EL8MFMAType0EEvPKT_PKT0_S8_ifPKiSA_SA_iPKfiiiPfSD_PS3_PT2_iSC_SC_, .Lfunc_end72-_Z39paged_attention_ll4mi_QKV_mfma16_kernelIDF16_DF16_LN4vllm18Fp8KVCacheDataTypeE0EDF16_Li32ELi64ELi256ELb1ELi1EL8MFMAType0EEvPKT_PKT0_S8_ifPKiSA_SA_iPKfiiiPfSD_PS3_PT2_iSC_SC_
                                        ; -- End function
	.section	.AMDGPU.csdata,"",@progbits
; Kernel info:
; codeLenInByte = 4208
; NumSgprs: 52
; NumVgprs: 67
; NumAgprs: 0
; TotalNumVgprs: 67
; ScratchSize: 0
; MemoryBound: 0
; FloatMode: 240
; IeeeMode: 1
; LDSByteSize: 8192 bytes/workgroup (compile time only)
; SGPRBlocks: 6
; VGPRBlocks: 8
; NumSGPRsForWavesPerEU: 52
; NumVGPRsForWavesPerEU: 67
; AccumOffset: 68
; Occupancy: 7
; WaveLimiterHint : 1
; COMPUTE_PGM_RSRC2:SCRATCH_EN: 0
; COMPUTE_PGM_RSRC2:USER_SGPR: 6
; COMPUTE_PGM_RSRC2:TRAP_HANDLER: 0
; COMPUTE_PGM_RSRC2:TGID_X_EN: 1
; COMPUTE_PGM_RSRC2:TGID_Y_EN: 1
; COMPUTE_PGM_RSRC2:TGID_Z_EN: 1
; COMPUTE_PGM_RSRC2:TIDIG_COMP_CNT: 0
; COMPUTE_PGM_RSRC3_GFX90A:ACCUM_OFFSET: 16
; COMPUTE_PGM_RSRC3_GFX90A:TG_SPLIT: 0
	.section	.text._Z39paged_attention_ll4mi_QKV_mfma16_kernelIDF16_DF16_LN4vllm18Fp8KVCacheDataTypeE0EDF16_Li32ELi64ELi256ELb1ELi2EL8MFMAType0EEvPKT_PKT0_S8_ifPKiSA_SA_iPKfiiiPfSD_PS3_PT2_iSC_SC_,"axG",@progbits,_Z39paged_attention_ll4mi_QKV_mfma16_kernelIDF16_DF16_LN4vllm18Fp8KVCacheDataTypeE0EDF16_Li32ELi64ELi256ELb1ELi2EL8MFMAType0EEvPKT_PKT0_S8_ifPKiSA_SA_iPKfiiiPfSD_PS3_PT2_iSC_SC_,comdat
	.protected	_Z39paged_attention_ll4mi_QKV_mfma16_kernelIDF16_DF16_LN4vllm18Fp8KVCacheDataTypeE0EDF16_Li32ELi64ELi256ELb1ELi2EL8MFMAType0EEvPKT_PKT0_S8_ifPKiSA_SA_iPKfiiiPfSD_PS3_PT2_iSC_SC_ ; -- Begin function _Z39paged_attention_ll4mi_QKV_mfma16_kernelIDF16_DF16_LN4vllm18Fp8KVCacheDataTypeE0EDF16_Li32ELi64ELi256ELb1ELi2EL8MFMAType0EEvPKT_PKT0_S8_ifPKiSA_SA_iPKfiiiPfSD_PS3_PT2_iSC_SC_
	.globl	_Z39paged_attention_ll4mi_QKV_mfma16_kernelIDF16_DF16_LN4vllm18Fp8KVCacheDataTypeE0EDF16_Li32ELi64ELi256ELb1ELi2EL8MFMAType0EEvPKT_PKT0_S8_ifPKiSA_SA_iPKfiiiPfSD_PS3_PT2_iSC_SC_
	.p2align	8
	.type	_Z39paged_attention_ll4mi_QKV_mfma16_kernelIDF16_DF16_LN4vllm18Fp8KVCacheDataTypeE0EDF16_Li32ELi64ELi256ELb1ELi2EL8MFMAType0EEvPKT_PKT0_S8_ifPKiSA_SA_iPKfiiiPfSD_PS3_PT2_iSC_SC_,@function
_Z39paged_attention_ll4mi_QKV_mfma16_kernelIDF16_DF16_LN4vllm18Fp8KVCacheDataTypeE0EDF16_Li32ELi64ELi256ELb1ELi2EL8MFMAType0EEvPKT_PKT0_S8_ifPKiSA_SA_iPKfiiiPfSD_PS3_PT2_iSC_SC_: ; @_Z39paged_attention_ll4mi_QKV_mfma16_kernelIDF16_DF16_LN4vllm18Fp8KVCacheDataTypeE0EDF16_Li32ELi64ELi256ELb1ELi2EL8MFMAType0EEvPKT_PKT0_S8_ifPKiSA_SA_iPKfiiiPfSD_PS3_PT2_iSC_SC_
; %bb.0:
	s_load_dwordx2 s[0:1], s[4:5], 0x30
	s_mov_b32 s28, s7
	s_mov_b64 s[10:11], 0
	s_waitcnt lgkmcnt(0)
	s_cmp_lg_u64 s[0:1], 0
	s_cselect_b64 s[2:3], -1, 0
	s_and_b64 vcc, exec, s[2:3]
	s_cbranch_vccz .LBB73_7
; %bb.1:
	s_add_i32 s12, s6, 1
	s_mov_b32 s13, 0
	s_lshl_b64 s[14:15], s[12:13], 2
	s_add_u32 s14, s0, s14
	s_mov_b32 s7, s13
	s_addc_u32 s15, s1, s15
	s_lshl_b64 s[12:13], s[6:7], 2
	s_add_u32 s12, s0, s12
	s_addc_u32 s13, s1, s13
	s_load_dword s9, s[14:15], 0x0
	s_load_dword s16, s[12:13], 0x0
	s_waitcnt lgkmcnt(0)
	s_sub_i32 s9, s9, s16
	s_cmp_eq_u32 s9, 1
	s_cselect_b64 s[12:13], -1, 0
	s_andn2_b64 vcc, exec, s[10:11]
	s_cbranch_vccnz .LBB73_3
.LBB73_2:
	s_mov_b32 s7, 0
	s_mov_b64 s[12:13], -1
.LBB73_3:
	s_andn2_b64 vcc, exec, s[12:13]
	s_cbranch_vccnz .LBB73_21
; %bb.4:
	s_load_dwordx2 s[12:13], s[4:5], 0x28
	s_lshl_b64 s[10:11], s[6:7], 2
	s_waitcnt lgkmcnt(0)
	s_add_u32 s12, s12, s10
	s_addc_u32 s13, s13, s11
	s_load_dword s33, s[12:13], 0x0
	s_lshl_b32 s14, s28, 8
	s_waitcnt lgkmcnt(0)
	s_cmp_ge_i32 s14, s33
	s_cbranch_scc1 .LBB73_21
; %bb.5:
	s_add_i32 s15, s33, 31
	s_load_dwordx2 s[12:13], s[4:5], 0x20
	s_load_dword s9, s[4:5], 0x38
	s_ashr_i32 s16, s15, 31
	v_and_b32_e32 v1, 0xcf, v0
	s_lshr_b32 s16, s16, 27
	v_add_u32_e32 v1, s14, v1
	s_add_i32 s15, s15, s16
	v_ashrrev_i32_e32 v2, 31, v1
	s_ashr_i32 s17, s15, 5
	v_lshrrev_b32_e32 v6, 27, v2
	s_add_i32 s17, s17, -1
	v_add_u32_e32 v2, v1, v6
	s_waitcnt lgkmcnt(0)
	s_mul_i32 s18, s6, s9
	s_mov_b32 s19, 0
	v_ashrrev_i32_e32 v2, 5, v2
	v_mov_b32_e32 v7, s17
	v_cmp_gt_i32_e32 vcc, s33, v1
	s_lshl_b64 s[18:19], s[18:19], 2
	v_cndmask_b32_e32 v2, v7, v2, vcc
	s_add_u32 s15, s12, s18
	v_ashrrev_i32_e32 v3, 31, v2
	s_addc_u32 s16, s13, s19
	v_lshlrev_b64 v[2:3], 2, v[2:3]
	v_mov_b32_e32 v4, s16
	v_add_co_u32_e32 v2, vcc, s15, v2
	v_addc_co_u32_e32 v3, vcc, v4, v3, vcc
	v_or_b32_e32 v4, 16, v1
	v_add_u32_e32 v5, v4, v6
	v_ashrrev_i32_e32 v5, 5, v5
	v_cmp_gt_i32_e32 vcc, s33, v4
	v_cndmask_b32_e32 v4, v7, v5, vcc
	v_ashrrev_i32_e32 v5, 31, v4
	v_lshlrev_b64 v[4:5], 2, v[4:5]
	v_mov_b32_e32 v9, s16
	v_add_co_u32_e32 v8, vcc, s15, v4
	v_or_b32_e32 v4, 32, v1
	v_addc_co_u32_e32 v9, vcc, v9, v5, vcc
	v_add_u32_e32 v5, v4, v6
	v_ashrrev_i32_e32 v5, 5, v5
	v_cmp_gt_i32_e32 vcc, s33, v4
	v_cndmask_b32_e32 v4, v7, v5, vcc
	v_ashrrev_i32_e32 v5, 31, v4
	v_lshlrev_b64 v[4:5], 2, v[4:5]
	v_mov_b32_e32 v11, s16
	v_add_co_u32_e32 v10, vcc, s15, v4
	v_or_b32_e32 v1, 48, v1
	v_addc_co_u32_e32 v11, vcc, v11, v5, vcc
	v_add_u32_e32 v4, v1, v6
	v_ashrrev_i32_e32 v4, 5, v4
	v_cmp_gt_i32_e32 vcc, s33, v1
	v_cndmask_b32_e32 v4, v7, v4, vcc
	v_ashrrev_i32_e32 v5, 31, v4
	v_lshlrev_b64 v[4:5], 2, v[4:5]
	v_mov_b32_e32 v1, s16
	v_add_co_u32_e32 v12, vcc, s15, v4
	v_addc_co_u32_e32 v13, vcc, v1, v5, vcc
	global_load_dword v7, v[2:3], off
	global_load_dword v6, v[8:9], off
	;; [unrolled: 1-line block ×4, first 2 shown]
	s_andn2_b64 vcc, exec, s[2:3]
	s_cbranch_vccnz .LBB73_8
; %bb.6:
	s_add_u32 s0, s0, s10
	s_addc_u32 s1, s1, s11
	s_load_dword s9, s[0:1], 0x0
	s_branch .LBB73_9
.LBB73_7:
	s_mov_b64 s[12:13], 0
	s_branch .LBB73_2
.LBB73_8:
	s_mov_b32 s9, s6
.LBB73_9:
	s_load_dwordx2 s[10:11], s[4:5], 0x8
	s_load_dwordx4 s[44:47], s[4:5], 0x48
	v_lshrrev_b32_e32 v53, 6, v0
	v_bfe_u32 v1, v0, 4, 2
	v_lshl_or_b32 v8, v53, 2, v1
	v_and_b32_e32 v54, 15, v0
	v_cmp_lt_u32_e32 vcc, 1, v8
	v_cmp_lt_u32_e64 s[2:3], 7, v54
	v_lshlrev_b32_e32 v2, 3, v54
	v_cmp_gt_u32_e64 s[0:1], 8, v54
	s_or_b64 s[2:3], s[2:3], vcc
	s_and_saveexec_b64 s[12:13], s[2:3]
	s_xor_b64 s[2:3], exec, s[12:13]
; %bb.10:
	v_mov_b32_e32 v3, 0
                                        ; implicit-def: $vgpr8
; %bb.11:
	s_or_saveexec_b64 s[12:13], s[2:3]
	s_load_dwordx2 s[2:3], s[4:5], 0x10
	s_lshl_b32 s29, s8, 1
	s_xor_b64 exec, exec, s[12:13]
	s_cbranch_execz .LBB73_13
; %bb.12:
	s_load_dwordx2 s[18:19], s[4:5], 0x0
	s_waitcnt lgkmcnt(0)
	s_ashr_i32 s20, s44, 31
	s_mul_hi_u32 s21, s9, s44
	s_mul_i32 s20, s9, s20
	s_add_i32 s21, s21, s20
	s_mul_i32 s20, s9, s44
	s_lshl_b64 s[20:21], s[20:21], 1
	v_add_lshl_u32 v10, v1, s29, 6
	s_add_u32 s9, s18, s20
	v_ashrrev_i32_e32 v11, 31, v10
	s_addc_u32 s18, s19, s21
	v_lshlrev_b64 v[10:11], 1, v[10:11]
	v_mov_b32_e32 v3, s18
	v_add_co_u32_e32 v9, vcc, s9, v10
	v_addc_co_u32_e32 v3, vcc, v3, v11, vcc
	v_lshlrev_b32_e32 v10, 1, v2
	v_add_co_u32_e32 v10, vcc, v9, v10
	v_addc_co_u32_e32 v11, vcc, 0, v3, vcc
	global_load_dwordx4 v[10:13], v[10:11], off
	v_and_b32_e32 v9, 3, v0
	v_lshlrev_b32_e32 v14, 9, v54
	v_lshlrev_b32_e32 v8, 5, v8
	;; [unrolled: 1-line block ×3, first 2 shown]
	v_and_b32_e32 v14, 0x1800, v14
	v_mov_b32_e32 v3, 0
	v_or3_b32 v8, v14, v9, v8
	s_waitcnt vmcnt(0)
	ds_write_b128 v8, v[10:13]
.LBB73_13:
	s_or_b64 exec, exec, s[12:13]
	s_waitcnt lgkmcnt(0)
	s_mul_i32 s8, s8, s46
	s_mov_b32 s9, 0
	s_lshl_b64 s[8:9], s[8:9], 1
	s_add_u32 s12, s10, s8
	s_addc_u32 s13, s11, s9
	s_waitcnt vmcnt(3)
	v_mad_i64_i32 v[8:9], s[10:11], v7, s45, 0
	v_lshlrev_b64 v[8:9], 1, v[8:9]
	v_mov_b32_e32 v7, s13
	v_add_co_u32_e32 v8, vcc, s12, v8
	v_addc_co_u32_e32 v7, vcc, v7, v9, vcc
	v_lshlrev_b64 v[42:43], 1, v[2:3]
	v_add_co_u32_e32 v2, vcc, v8, v42
	v_lshlrev_b32_e32 v24, 9, v1
	v_addc_co_u32_e32 v3, vcc, v7, v43, vcc
	v_add_co_u32_e32 v2, vcc, v2, v24
	v_addc_co_u32_e32 v3, vcc, 0, v3, vcc
	s_barrier
	global_load_dwordx4 v[38:41], v[2:3], off
	global_load_dwordx4 v[34:37], v[2:3], off offset:2048
	s_waitcnt vmcnt(4)
	v_mad_i64_i32 v[2:3], s[10:11], v6, s45, 0
	v_lshlrev_b64 v[2:3], 1, v[2:3]
	v_mov_b32_e32 v6, s13
	v_add_co_u32_e32 v2, vcc, s12, v2
	v_addc_co_u32_e32 v3, vcc, v6, v3, vcc
	v_mov_b32_e32 v6, 0x100
	v_lshl_or_b32 v18, v54, 4, v6
	v_add_co_u32_e32 v2, vcc, v2, v18
	v_addc_co_u32_e32 v3, vcc, 0, v3, vcc
	v_add_co_u32_e32 v2, vcc, v2, v24
	v_addc_co_u32_e32 v3, vcc, 0, v3, vcc
	global_load_dwordx4 v[30:33], v[2:3], off
	global_load_dwordx4 v[14:17], v[2:3], off offset:2048
	s_waitcnt vmcnt(5)
	v_mad_i64_i32 v[2:3], s[10:11], v5, s45, 0
	v_lshlrev_b64 v[2:3], 1, v[2:3]
	v_mov_b32_e32 v5, s13
	v_add_co_u32_e32 v2, vcc, s12, v2
	v_addc_co_u32_e32 v3, vcc, v5, v3, vcc
	v_add_co_u32_e32 v2, vcc, v2, v42
	v_addc_co_u32_e32 v3, vcc, v3, v43, vcc
	;; [unrolled: 2-line block ×3, first 2 shown]
	global_load_dwordx4 v[10:13], v[2:3], off
	global_load_dwordx4 v[6:9], v[2:3], off offset:2048
	s_waitcnt vmcnt(6)
	v_mad_i64_i32 v[2:3], s[10:11], v4, s45, 0
	v_lshlrev_b64 v[2:3], 1, v[2:3]
	v_mov_b32_e32 v4, s13
	v_add_co_u32_e32 v2, vcc, s12, v2
	v_addc_co_u32_e32 v3, vcc, v4, v3, vcc
	v_add_co_u32_e32 v2, vcc, v2, v18
	v_addc_co_u32_e32 v3, vcc, 0, v3, vcc
	;; [unrolled: 2-line block ×3, first 2 shown]
	global_load_dwordx4 v[2:5], v[22:23], off
	global_load_dwordx4 v[18:21], v[22:23], off offset:2048
	v_and_b32_e32 v22, 1, v0
	v_lshl_or_b32 v22, v22, 5, v24
	ds_read_b128 v[26:29], v22
	ds_read_b128 v[22:25], v22 offset:2048
	v_and_b32_e32 v52, 63, v0
	v_cmp_gt_u32_e32 vcc, 2, v54
	v_mov_b32_e32 v50, 0
	s_and_saveexec_b64 s[10:11], vcc
	s_cbranch_execz .LBB73_15
; %bb.14:
	s_load_dwordx2 s[12:13], s[4:5], 0x40
	v_or_b32_e32 v44, s29, v54
	v_ashrrev_i32_e32 v45, 31, v44
	v_lshlrev_b64 v[44:45], 2, v[44:45]
	s_waitcnt lgkmcnt(0)
	v_mov_b32_e32 v46, s13
	v_add_co_u32_e32 v44, vcc, s12, v44
	v_addc_co_u32_e32 v45, vcc, v46, v45, vcc
	global_load_dword v50, v[44:45], off
.LBB73_15:
	s_or_b64 exec, exec, s[10:11]
	s_waitcnt vmcnt(7) lgkmcnt(1)
	v_mfma_f32_16x16x16f16 v[44:47], v[38:39], v[26:27], 0
	s_ashr_i32 s10, s14, 31
	s_lshr_b32 s11, s10, 27
	v_mov_b32_e32 v49, s16
	s_add_u32 s2, s2, s8
	s_addc_u32 s3, s3, s9
	s_load_dword s10, s[4:5], 0x1c
	s_mov_b32 s42, 0xff7fffff
	v_mfma_f32_16x16x16f16 v[38:41], v[40:41], v[28:29], v[44:47]
	s_waitcnt vmcnt(6) lgkmcnt(0)
	v_mfma_f32_16x16x16f16 v[38:41], v[34:35], v[22:23], v[38:41]
	s_nop 4
	v_and_or_b32 v46, v0, 48, s14
	v_add_u32_e32 v34, s11, v46
	v_ashrrev_i32_e32 v34, 5, v34
	v_mov_b32_e32 v47, s17
	v_cmp_gt_i32_e32 vcc, s33, v46
	v_cndmask_b32_e32 v34, v47, v34, vcc
	v_ashrrev_i32_e32 v35, 31, v34
	v_lshlrev_b64 v[44:45], 2, v[34:35]
	v_mfma_f32_16x16x16f16 v[34:37], v[36:37], v[24:25], v[38:41]
	s_nop 6
	v_mov_b32_e32 v39, s16
	v_add_co_u32_e32 v38, vcc, s15, v44
	v_addc_co_u32_e32 v39, vcc, v39, v45, vcc
	global_load_dword v48, v[38:39], off
	s_waitcnt vmcnt(6)
	v_mfma_f32_16x16x16f16 v[38:41], v[30:31], v[26:27], 0
	v_or_b32_e32 v44, 64, v46
	v_add_u32_e32 v30, s11, v44
	v_ashrrev_i32_e32 v30, 5, v30
	v_cmp_gt_i32_e32 vcc, s33, v44
	v_cndmask_b32_e32 v30, v47, v30, vcc
	v_ashrrev_i32_e32 v31, 31, v30
	v_lshlrev_b64 v[44:45], 2, v[30:31]
	v_mfma_f32_16x16x16f16 v[30:33], v[32:33], v[28:29], v[38:41]
	s_nop 6
	v_add_co_u32_e32 v38, vcc, s15, v44
	v_addc_co_u32_e32 v39, vcc, v49, v45, vcc
	global_load_dword v40, v[38:39], off
	v_or_b32_e32 v38, 0x80, v46
	v_add_u32_e32 v39, s11, v38
	v_ashrrev_i32_e32 v39, 5, v39
	v_cmp_gt_i32_e32 vcc, s33, v38
	v_cndmask_b32_e32 v38, v47, v39, vcc
	v_ashrrev_i32_e32 v39, 31, v38
	s_waitcnt vmcnt(6)
	v_mfma_f32_16x16x16f16 v[30:33], v[14:15], v[22:23], v[30:33]
	v_lshlrev_b64 v[14:15], 2, v[38:39]
	v_mov_b32_e32 v38, s16
	v_add_co_u32_e32 v14, vcc, s15, v14
	v_addc_co_u32_e32 v15, vcc, v38, v15, vcc
	global_load_dword v41, v[14:15], off
	v_mfma_f32_16x16x16f16 v[30:33], v[16:17], v[24:25], v[30:33]
	v_or_b32_e32 v38, 0xc0, v46
	v_cmp_gt_i32_e32 vcc, s33, v38
	v_mov_b32_e32 v44, s16
	s_waitcnt vmcnt(6)
	v_mfma_f32_16x16x16f16 v[14:17], v[10:11], v[26:27], 0
	v_add_u32_e32 v10, s11, v38
	v_ashrrev_i32_e32 v10, 5, v10
	v_cndmask_b32_e32 v10, v47, v10, vcc
	v_ashrrev_i32_e32 v11, 31, v10
	v_lshlrev_b64 v[38:39], 2, v[10:11]
	s_nop 0
	v_pk_mul_f32 v[46:47], s[10:11], v[30:31] op_sel_hi:[0,1]
	v_mfma_f32_16x16x16f16 v[10:13], v[12:13], v[28:29], v[14:17]
	s_nop 6
	v_add_co_u32_e32 v14, vcc, s15, v38
	s_waitcnt vmcnt(5)
	v_mfma_f32_16x16x16f16 v[10:13], v[6:7], v[22:23], v[10:13]
	v_addc_co_u32_e32 v15, vcc, v44, v39, vcc
	global_load_dword v51, v[14:15], off
	v_and_b32_e32 v14, 16, v0
	v_lshlrev_b32_e32 v14, 1, v14
	v_mov_b32_e32 v6, s3
	v_add_co_u32_e32 v7, vcc, s2, v14
	v_lshlrev_b32_e32 v14, 6, v54
	v_addc_co_u32_e32 v6, vcc, 0, v6, vcc
	v_lshl_or_b32 v14, v53, 10, v14
	v_add_co_u32_e32 v55, vcc, v7, v14
	v_addc_co_u32_e32 v60, vcc, 0, v6, vcc
	v_mfma_f32_16x16x16f16 v[56:59], v[8:9], v[24:25], v[10:13]
	s_waitcnt vmcnt(3)
	v_mad_i64_i32 v[6:7], s[2:3], v48, s45, 0
	v_pk_mul_f32 v[48:49], s[10:11], v[36:37] op_sel_hi:[0,1]
	v_pk_mul_f32 v[44:45], s[10:11], v[32:33] op_sel_hi:[0,1]
	s_waitcnt vmcnt(1)
	v_mad_i64_i32 v[38:39], s[2:3], v41, s45, 0
	s_nop 0
	v_lshlrev_b64 v[10:11], 1, v[6:7]
	v_mfma_f32_16x16x16f16 v[6:9], v[2:3], v[26:27], 0
	v_add_co_u32_e32 v2, vcc, v55, v10
	v_addc_co_u32_e32 v3, vcc, v60, v11, vcc
	global_load_dwordx4 v[14:17], v[2:3], off
	global_load_dwordx4 v[10:13], v[2:3], off offset:16
	v_mad_i64_i32 v[2:3], s[2:3], v40, s45, 0
	v_mfma_f32_16x16x16f16 v[26:29], v[4:5], v[28:29], v[6:9]
	v_lshlrev_b64 v[2:3], 1, v[2:3]
	v_add_co_u32_e32 v2, vcc, v55, v2
	v_addc_co_u32_e32 v3, vcc, v60, v3, vcc
	v_lshlrev_b64 v[38:39], 1, v[38:39]
	v_pk_mul_f32 v[40:41], s[10:11], v[56:57] op_sel_hi:[0,1]
	v_mfma_f32_16x16x16f16 v[26:29], v[18:19], v[22:23], v[26:29]
	v_pk_mul_f32 v[18:19], s[10:11], v[34:35] op_sel_hi:[0,1]
	v_add_co_u32_e32 v22, vcc, v55, v38
	v_addc_co_u32_e32 v23, vcc, v60, v39, vcc
	v_pk_mul_f32 v[38:39], s[10:11], v[58:59] op_sel_hi:[0,1]
	global_load_dwordx4 v[6:9], v[2:3], off
	s_nop 0
	global_load_dwordx4 v[2:5], v[2:3], off offset:16
	v_mfma_f32_16x16x16f16 v[24:27], v[20:21], v[24:25], v[26:29]
	v_and_b32_e32 v20, 0xc0, v0
	v_add_u32_e32 v20, s14, v20
	v_lshl_or_b32 v20, v1, 2, v20
	v_or_b32_e32 v21, 1, v20
	v_cmp_gt_i32_e64 s[30:31], s33, v20
	v_cmp_gt_i32_e64 s[34:35], s33, v21
	s_nop 4
	v_pk_mul_f32 v[36:37], s[10:11], v[24:25] op_sel_hi:[0,1]
	v_subrev_u32_e32 v24, s33, v21
	v_pk_mul_f32 v[34:35], s[10:11], v[26:27] op_sel_hi:[0,1]
	v_add_u32_e32 v26, 1, v24
	v_add_u32_e32 v27, 2, v24
	v_cvt_f32_i32_e32 v25, v24
	v_cvt_f32_i32_e32 v26, v26
	;; [unrolled: 1-line block ×3, first 2 shown]
	v_add_u32_e32 v28, 3, v24
	v_fma_f32 v18, v50, v25, v18
	v_fmac_f32_e32 v19, v50, v26
	v_fma_f32 v48, v50, v27, v48
	v_add_u32_e32 v25, 16, v24
	v_add_u32_e32 v26, 17, v24
	;; [unrolled: 1-line block ×3, first 2 shown]
	v_cvt_f32_i32_e32 v28, v28
	v_cvt_f32_i32_e32 v25, v25
	;; [unrolled: 1-line block ×4, first 2 shown]
	v_fmac_f32_e32 v49, v50, v28
	v_add_u32_e32 v28, 19, v24
	v_fma_f32 v46, v50, v25, v46
	v_fmac_f32_e32 v47, v50, v26
	v_fma_f32 v44, v50, v27, v44
	v_add_u32_e32 v25, 32, v24
	v_add_u32_e32 v26, 33, v24
	;; [unrolled: 1-line block ×3, first 2 shown]
	v_cvt_f32_i32_e32 v28, v28
	v_cvt_f32_i32_e32 v25, v25
	;; [unrolled: 1-line block ×4, first 2 shown]
	v_fmac_f32_e32 v45, v50, v28
	v_add_u32_e32 v28, 35, v24
	v_fma_f32 v40, v50, v25, v40
	v_fmac_f32_e32 v41, v50, v26
	v_fma_f32 v38, v50, v27, v38
	v_add_u32_e32 v25, 48, v24
	v_add_u32_e32 v26, 49, v24
	;; [unrolled: 1-line block ×4, first 2 shown]
	v_cvt_f32_i32_e32 v24, v24
	v_cvt_f32_i32_e32 v25, v25
	;; [unrolled: 1-line block ×4, first 2 shown]
	v_fmac_f32_e32 v35, v50, v24
	v_mov_b32_e32 v24, 0xff7fffff
	v_fma_f32 v36, v50, v25, v36
	v_cndmask_b32_e64 v25, v24, v18, s[30:31]
	v_cndmask_b32_e64 v21, v24, v19, s[34:35]
	v_fmac_f32_e32 v37, v50, v26
	v_max3_f32 v21, v25, s42, v21
	v_or_b32_e32 v25, 2, v20
	v_or_b32_e32 v26, 3, v20
	v_cmp_gt_i32_e64 s[36:37], s33, v25
	v_cmp_gt_i32_e64 s[38:39], s33, v26
	v_cndmask_b32_e64 v25, v24, v48, s[36:37]
	v_cndmask_b32_e64 v26, v24, v49, s[38:39]
	v_max3_f32 v21, v21, v25, v26
	v_or_b32_e32 v25, 16, v20
	v_or_b32_e32 v26, 17, v20
	v_cmp_gt_i32_e64 s[24:25], s33, v25
	v_cmp_gt_i32_e64 s[26:27], s33, v26
	v_cndmask_b32_e64 v25, v24, v46, s[24:25]
	v_cndmask_b32_e64 v26, v24, v47, s[26:27]
	;; [unrolled: 7-line block ×4, first 2 shown]
	v_max3_f32 v21, v21, v25, v26
	v_or_b32_e32 v25, 34, v20
	v_or_b32_e32 v26, 35, v20
	v_fmac_f32_e32 v39, v50, v28
	v_cmp_gt_i32_e64 s[12:13], s33, v25
	v_cmp_gt_i32_e64 s[14:15], s33, v26
	v_cndmask_b32_e64 v25, v24, v38, s[12:13]
	v_cndmask_b32_e64 v26, v24, v39, s[14:15]
	v_cvt_f32_i32_e32 v27, v27
	v_max3_f32 v21, v21, v25, v26
	v_or_b32_e32 v25, 48, v20
	v_or_b32_e32 v26, 49, v20
	v_cmp_gt_i32_e64 s[8:9], s33, v25
	v_cmp_gt_i32_e64 s[10:11], s33, v26
	v_cndmask_b32_e64 v25, v24, v36, s[8:9]
	v_cndmask_b32_e64 v26, v24, v37, s[10:11]
	v_max3_f32 v21, v21, v25, v26
	v_or_b32_e32 v25, 50, v20
	v_or_b32_e32 v20, 51, v20
	v_fma_f32 v34, v50, v27, v34
	v_cmp_gt_i32_e32 vcc, s33, v25
	v_cmp_gt_i32_e64 s[2:3], s33, v20
	v_cndmask_b32_e32 v25, v24, v34, vcc
	v_cndmask_b32_e64 v20, v24, v35, s[2:3]
	v_max3_f32 v26, v21, v25, v20
	v_mbcnt_lo_u32_b32 v20, -1, 0
	v_mbcnt_hi_u32_b32 v27, -1, v20
	v_and_b32_e32 v20, 64, v27
	v_add_u32_e32 v28, 64, v20
	v_xor_b32_e32 v20, 32, v27
	v_cmp_lt_i32_e64 s[40:41], v20, v28
	v_cndmask_b32_e64 v20, v27, v20, s[40:41]
	v_lshlrev_b32_e32 v56, 2, v20
	ds_bpermute_b32 v29, v56, v26
	s_waitcnt vmcnt(4)
	v_mad_i64_i32 v[20:21], s[40:41], v51, s45, 0
	v_lshlrev_b64 v[20:21], 1, v[20:21]
	global_load_dwordx4 v[30:33], v[22:23], off
	s_nop 0
	global_load_dwordx4 v[22:25], v[22:23], off offset:16
	s_waitcnt lgkmcnt(0)
	v_max_f32_e32 v29, v29, v29
	v_max_f32_e32 v26, v26, v29
	v_xor_b32_e32 v29, 16, v27
	v_cmp_lt_i32_e64 s[40:41], v29, v28
	v_cndmask_b32_e64 v27, v27, v29, s[40:41]
	v_lshlrev_b32_e32 v58, 2, v27
	ds_bpermute_b32 v27, v58, v26
	v_add_co_u32_e64 v20, s[40:41], v55, v20
	v_addc_co_u32_e64 v21, s[40:41], v60, v21, s[40:41]
	s_waitcnt lgkmcnt(0)
	v_max_f32_e32 v27, v27, v27
	v_max_f32_e32 v55, v26, v27
	v_sub_f32_e32 v18, v18, v55
	v_mul_f32_e32 v18, 0x3fb8aa3b, v18
	v_exp_f32_e32 v50, v18
	v_sub_f32_e32 v18, v19, v55
	v_mul_f32_e32 v18, 0x3fb8aa3b, v18
	v_exp_f32_e32 v51, v18
	global_load_dwordx4 v[26:29], v[20:21], off
	s_nop 0
	global_load_dwordx4 v[18:21], v[20:21], off offset:16
	v_sub_f32_e32 v48, v48, v55
	v_mul_f32_e32 v48, 0x3fb8aa3b, v48
	v_sub_f32_e32 v49, v49, v55
	v_exp_f32_e32 v48, v48
	v_mul_f32_e32 v49, 0x3fb8aa3b, v49
	v_sub_f32_e32 v46, v46, v55
	v_exp_f32_e32 v49, v49
	v_mul_f32_e32 v46, 0x3fb8aa3b, v46
	v_sub_f32_e32 v47, v47, v55
	v_cndmask_b32_e64 v50, 0, v50, s[30:31]
	v_exp_f32_e32 v46, v46
	v_mul_f32_e32 v47, 0x3fb8aa3b, v47
	v_sub_f32_e32 v44, v44, v55
	v_add_f32_e32 v57, 0, v50
	v_cndmask_b32_e64 v51, 0, v51, s[34:35]
	v_exp_f32_e32 v47, v47
	v_mul_f32_e32 v44, 0x3fb8aa3b, v44
	v_sub_f32_e32 v45, v45, v55
	v_add_f32_e32 v57, v57, v51
	;; [unrolled: 5-line block ×10, first 2 shown]
	v_cndmask_b32_e64 v38, 0, v38, s[12:13]
	v_exp_f32_e32 v34, v34
	v_mul_f32_e32 v35, 0x3fb8aa3b, v35
	v_add_f32_e32 v57, v57, v38
	v_cndmask_b32_e64 v39, 0, v39, s[14:15]
	v_exp_f32_e32 v35, v35
	v_add_f32_e32 v57, v57, v39
	v_cndmask_b32_e64 v36, 0, v36, s[8:9]
	v_add_f32_e32 v57, v57, v36
	v_cndmask_b32_e64 v37, 0, v37, s[10:11]
	v_add_f32_e32 v57, v57, v37
	v_cndmask_b32_e32 v34, 0, v34, vcc
	v_add_f32_e32 v57, v57, v34
	v_cndmask_b32_e64 v35, 0, v35, s[2:3]
	v_add_f32_e32 v57, v57, v35
	ds_bpermute_b32 v56, v56, v57
	s_load_dword s9, s[4:5], 0x98
	v_cmp_gt_u32_e32 vcc, 16, v52
	s_waitcnt lgkmcnt(0)
	s_barrier
	v_add_f32_e32 v57, v57, v56
	ds_bpermute_b32 v58, v58, v57
	v_lshlrev_b32_e32 v56, 2, v54
	s_waitcnt lgkmcnt(0)
	s_and_saveexec_b64 s[2:3], vcc
	s_cbranch_execz .LBB73_17
; %bb.16:
	v_add_f32_e32 v57, v57, v58
	v_lshl_or_b32 v58, v53, 6, v56
	ds_write2st64_b32 v58, v55, v57 offset1:1
.LBB73_17:
	s_or_b64 exec, exec, s[2:3]
	s_load_dword s8, s[4:5], 0x94
	s_waitcnt lgkmcnt(0)
	s_barrier
	ds_read2_b32 v[58:59], v56 offset1:16
	ds_read2_b32 v[60:61], v56 offset0:32 offset1:48
	ds_read2_b32 v[62:63], v56 offset0:64 offset1:80
	s_lshl_b32 s9, s9, 1
	s_waitcnt lgkmcnt(2)
	v_max3_f32 v55, v58, s42, v59
	s_waitcnt lgkmcnt(1)
	v_max3_f32 v55, v55, v60, v61
	v_sub_f32_e32 v57, v58, v55
	v_sub_f32_e32 v58, v59, v55
	v_mul_f32_e32 v58, 0x3fb8aa3b, v58
	v_mul_f32_e32 v57, 0x3fb8aa3b, v57
	v_exp_f32_e32 v64, v58
	v_sub_f32_e32 v58, v60, v55
	v_exp_f32_e32 v57, v57
	v_mul_f32_e32 v58, 0x3fb8aa3b, v58
	v_exp_f32_e32 v60, v58
	ds_read2_b32 v[58:59], v56 offset0:96 offset1:112
	v_sub_f32_e32 v56, v61, v55
	v_mul_f32_e32 v56, 0x3fb8aa3b, v56
	v_exp_f32_e32 v61, v56
	s_waitcnt lgkmcnt(1)
	v_fma_f32 v56, v57, v62, 0
	v_fmac_f32_e32 v56, v64, v63
	s_waitcnt lgkmcnt(0)
	v_fmac_f32_e32 v56, v60, v58
	v_fmac_f32_e32 v56, v61, v59
	v_add_f32_e32 v58, 0x358637bd, v56
	v_div_scale_f32 v59, s[2:3], v58, v58, 1.0
	v_rcp_f32_e32 v62, v59
	s_barrier
	v_fma_f32 v63, -v59, v62, 1.0
	v_fmac_f32_e32 v62, v63, v62
	v_div_scale_f32 v63, vcc, 1.0, v58, 1.0
	v_mul_f32_e32 v65, v63, v62
	v_fma_f32 v66, -v59, v65, v63
	v_fmac_f32_e32 v65, v66, v62
	v_fma_f32 v59, -v59, v65, v63
	v_div_fmas_f32 v59, v59, v62, v65
	v_cmp_eq_u32_e32 vcc, 1, v53
	v_cndmask_b32_e32 v57, v57, v64, vcc
	v_cmp_eq_u32_e32 vcc, 2, v53
	v_cndmask_b32_e32 v57, v57, v60, vcc
	v_cmp_eq_u32_e32 vcc, 3, v53
	v_div_fixup_f32 v58, v59, v58, 1.0
	v_cndmask_b32_e32 v57, v57, v61, vcc
	v_mul_f32_e32 v58, v57, v58
	v_pk_mul_f32 v[48:49], v[58:59], v[48:49] op_sel_hi:[0,1]
	v_pk_mul_f32 v[50:51], v[58:59], v[50:51] op_sel_hi:[0,1]
	v_cvt_f16_f32_e32 v50, v50
	v_cvt_f16_f32_e32 v51, v51
	;; [unrolled: 1-line block ×4, first 2 shown]
	v_pk_mul_f32 v[44:45], v[58:59], v[44:45] op_sel_hi:[0,1]
	v_pk_mul_f32 v[46:47], v[58:59], v[46:47] op_sel_hi:[0,1]
	v_pack_b32_f16 v50, v50, v51
	v_pack_b32_f16 v51, v48, v49
	v_lshlrev_b32_e32 v48, 5, v54
	v_cvt_f16_f32_e32 v46, v46
	v_cvt_f16_f32_e32 v47, v47
	;; [unrolled: 1-line block ×4, first 2 shown]
	v_lshlrev_b32_e32 v49, 3, v1
	v_lshlrev_b32_e32 v44, 11, v53
	v_or3_b32 v44, v44, v48, v49
	v_pack_b32_f16 v46, v46, v47
	v_pack_b32_f16 v47, v54, v45
	v_pk_mul_f32 v[38:39], v[58:59], v[38:39] op_sel_hi:[0,1]
	v_pk_mul_f32 v[40:41], v[58:59], v[40:41] op_sel_hi:[0,1]
	;; [unrolled: 1-line block ×4, first 2 shown]
	ds_write2st64_b64 v44, v[50:51], v[46:47] offset1:1
	v_cvt_f16_f32_e32 v40, v40
	v_cvt_f16_f32_e32 v41, v41
	;; [unrolled: 1-line block ×8, first 2 shown]
	v_pack_b32_f16 v34, v40, v41
	v_pack_b32_f16 v35, v38, v39
	;; [unrolled: 1-line block ×4, first 2 shown]
	v_cmp_gt_u32_e32 vcc, 2, v0
	ds_write2st64_b64 v44, v[34:35], v[36:37] offset0:2 offset1:3
	s_and_saveexec_b64 s[2:3], vcc
	s_cbranch_execz .LBB73_19
; %bb.18:
	v_or_b32_e32 v34, s29, v0
	v_mov_b32_e32 v35, 0
	v_mov_b32_e32 v36, s9
	v_mad_u64_u32 v[36:37], s[10:11], s6, v36, v[34:35]
	v_mov_b32_e32 v34, s28
	s_load_dwordx4 s[12:15], s[4:5], 0x58
	s_mul_i32 s7, s7, s9
	v_mad_u64_u32 v[34:35], s[10:11], v36, s8, v[34:35]
	v_add_u32_e32 v37, s7, v37
	v_mov_b32_e32 v36, v35
	v_mad_u64_u32 v[36:37], s[10:11], v37, s8, v[36:37]
	v_mov_b32_e32 v35, v36
	v_lshlrev_b64 v[34:35], 2, v[34:35]
	s_waitcnt lgkmcnt(0)
	v_mov_b32_e32 v37, s15
	v_add_co_u32_e32 v36, vcc, s14, v34
	v_addc_co_u32_e32 v37, vcc, v37, v35, vcc
	global_store_dword v[36:37], v55, off
	v_mov_b32_e32 v36, s13
	v_add_co_u32_e32 v34, vcc, s12, v34
	v_addc_co_u32_e32 v35, vcc, v36, v35, vcc
	global_store_dword v[34:35], v56, off
.LBB73_19:
	s_or_b64 exec, exec, s[2:3]
	v_lshl_or_b32 v45, v1, 9, v48
	s_waitcnt lgkmcnt(0)
	s_barrier
	ds_read_b128 v[34:37], v45
	ds_read_b128 v[38:41], v45 offset:16
	s_waitcnt vmcnt(7) lgkmcnt(1)
	v_mfma_f32_16x16x16f16 v[46:49], v[14:15], v[34:35], 0
	v_cmp_gt_u32_e32 vcc, 64, v0
	v_cmp_gt_u32_e64 s[2:3], 32, v52
	s_and_b64 s[2:3], s[2:3], vcc
	s_mov_b32 s7, 0
	s_and_b64 s[0:1], s[2:3], s[0:1]
	v_mfma_f32_16x16x16f16 v[14:17], v[16:17], v[36:37], v[46:49]
	s_waitcnt vmcnt(6) lgkmcnt(0)
	v_mfma_f32_16x16x16f16 v[14:17], v[10:11], v[38:39], v[14:17]
	v_mfma_f32_16x16x16f16 v[10:13], v[12:13], v[40:41], v[14:17]
	s_nop 7
	s_nop 1
	ds_read_b128 v[14:17], v45 offset:2048
	ds_read_b128 v[34:37], v45 offset:2064
	s_waitcnt vmcnt(5) lgkmcnt(1)
	v_mfma_f32_16x16x16f16 v[10:13], v[6:7], v[14:15], v[10:13]
	v_mfma_f32_16x16x16f16 v[6:9], v[8:9], v[16:17], v[10:13]
	s_waitcnt vmcnt(4) lgkmcnt(0)
	v_mfma_f32_16x16x16f16 v[6:9], v[2:3], v[34:35], v[6:9]
	v_mfma_f32_16x16x16f16 v[2:5], v[4:5], v[36:37], v[6:9]
	s_nop 7
	s_nop 1
	ds_read_b128 v[6:9], v45 offset:4096
	ds_read_b128 v[10:13], v45 offset:4112
	s_waitcnt vmcnt(3) lgkmcnt(1)
	v_mfma_f32_16x16x16f16 v[2:5], v[30:31], v[6:7], v[2:5]
	v_mfma_f32_16x16x16f16 v[2:5], v[32:33], v[8:9], v[2:5]
	s_waitcnt vmcnt(2) lgkmcnt(0)
	v_mfma_f32_16x16x16f16 v[2:5], v[22:23], v[10:11], v[2:5]
	v_mfma_f32_16x16x16f16 v[2:5], v[24:25], v[12:13], v[2:5]
	ds_read_b128 v[6:9], v45 offset:6144
	ds_read_b128 v[10:13], v45 offset:6160
	s_waitcnt lgkmcnt(0)
	s_barrier
	s_waitcnt vmcnt(1)
	v_mfma_f32_16x16x16f16 v[2:5], v[26:27], v[6:7], v[2:5]
	v_mfma_f32_16x16x16f16 v[2:5], v[28:29], v[8:9], v[2:5]
	s_waitcnt vmcnt(0)
	v_mfma_f32_16x16x16f16 v[2:5], v[18:19], v[10:11], v[2:5]
	v_mfma_f32_16x16x16f16 v[2:5], v[20:21], v[12:13], v[2:5]
	s_nop 7
	s_nop 2
	v_cvt_f16_f32_e32 v2, v2
	v_cvt_f16_f32_e32 v3, v3
	;; [unrolled: 1-line block ×4, first 2 shown]
	v_pack_b32_f16 v2, v2, v3
	v_pack_b32_f16 v3, v4, v5
	ds_write_b64 v44, v[2:3]
	s_waitcnt lgkmcnt(0)
	s_barrier
	s_and_saveexec_b64 s[2:3], s[0:1]
	s_cbranch_execz .LBB73_21
; %bb.20:
	s_load_dwordx2 s[0:1], s[4:5], 0x68
	s_mul_i32 s2, s9, s6
	s_lshl_b32 s4, s8, 6
	s_mul_hi_u32 s3, s2, s4
	s_mul_i32 s2, s2, s4
	s_lshl_b64 s[2:3], s[2:3], 1
	v_lshlrev_b32_e32 v2, 10, v0
	v_lshlrev_b32_e32 v0, 4, v0
	s_waitcnt lgkmcnt(0)
	s_add_u32 s2, s0, s2
	v_and_b32_e32 v2, 0x1800, v2
	v_lshlrev_b32_e32 v3, 5, v1
	v_and_b32_e32 v0, 16, v0
	s_addc_u32 s3, s1, s3
	s_lshl_b32 s6, s28, 6
	v_or3_b32 v0, v2, v3, v0
	s_lshl_b64 s[0:1], s[6:7], 1
	ds_read_b128 v[2:5], v0
	s_add_u32 s2, s2, s0
	v_or_b32_e32 v0, s29, v1
	s_addc_u32 s3, s3, s1
	v_mad_u64_u32 v[0:1], s[0:1], s4, v0, 0
	v_lshlrev_b64 v[0:1], 1, v[0:1]
	v_mov_b32_e32 v6, s3
	v_add_co_u32_e32 v0, vcc, s2, v0
	v_addc_co_u32_e32 v1, vcc, v6, v1, vcc
	v_add_co_u32_e32 v0, vcc, v0, v42
	v_addc_co_u32_e32 v1, vcc, v1, v43, vcc
	s_waitcnt lgkmcnt(0)
	global_store_dwordx4 v[0:1], v[2:5], off
.LBB73_21:
	s_endpgm
	.section	.rodata,"a",@progbits
	.p2align	6, 0x0
	.amdhsa_kernel _Z39paged_attention_ll4mi_QKV_mfma16_kernelIDF16_DF16_LN4vllm18Fp8KVCacheDataTypeE0EDF16_Li32ELi64ELi256ELb1ELi2EL8MFMAType0EEvPKT_PKT0_S8_ifPKiSA_SA_iPKfiiiPfSD_PS3_PT2_iSC_SC_
		.amdhsa_group_segment_fixed_size 8192
		.amdhsa_private_segment_fixed_size 0
		.amdhsa_kernarg_size 400
		.amdhsa_user_sgpr_count 6
		.amdhsa_user_sgpr_private_segment_buffer 1
		.amdhsa_user_sgpr_dispatch_ptr 0
		.amdhsa_user_sgpr_queue_ptr 0
		.amdhsa_user_sgpr_kernarg_segment_ptr 1
		.amdhsa_user_sgpr_dispatch_id 0
		.amdhsa_user_sgpr_flat_scratch_init 0
		.amdhsa_user_sgpr_kernarg_preload_length 0
		.amdhsa_user_sgpr_kernarg_preload_offset 0
		.amdhsa_user_sgpr_private_segment_size 0
		.amdhsa_uses_dynamic_stack 0
		.amdhsa_system_sgpr_private_segment_wavefront_offset 0
		.amdhsa_system_sgpr_workgroup_id_x 1
		.amdhsa_system_sgpr_workgroup_id_y 1
		.amdhsa_system_sgpr_workgroup_id_z 1
		.amdhsa_system_sgpr_workgroup_info 0
		.amdhsa_system_vgpr_workitem_id 0
		.amdhsa_next_free_vgpr 67
		.amdhsa_next_free_sgpr 48
		.amdhsa_accum_offset 68
		.amdhsa_reserve_vcc 1
		.amdhsa_reserve_flat_scratch 0
		.amdhsa_float_round_mode_32 0
		.amdhsa_float_round_mode_16_64 0
		.amdhsa_float_denorm_mode_32 3
		.amdhsa_float_denorm_mode_16_64 3
		.amdhsa_dx10_clamp 1
		.amdhsa_ieee_mode 1
		.amdhsa_fp16_overflow 0
		.amdhsa_tg_split 0
		.amdhsa_exception_fp_ieee_invalid_op 0
		.amdhsa_exception_fp_denorm_src 0
		.amdhsa_exception_fp_ieee_div_zero 0
		.amdhsa_exception_fp_ieee_overflow 0
		.amdhsa_exception_fp_ieee_underflow 0
		.amdhsa_exception_fp_ieee_inexact 0
		.amdhsa_exception_int_div_zero 0
	.end_amdhsa_kernel
	.section	.text._Z39paged_attention_ll4mi_QKV_mfma16_kernelIDF16_DF16_LN4vllm18Fp8KVCacheDataTypeE0EDF16_Li32ELi64ELi256ELb1ELi2EL8MFMAType0EEvPKT_PKT0_S8_ifPKiSA_SA_iPKfiiiPfSD_PS3_PT2_iSC_SC_,"axG",@progbits,_Z39paged_attention_ll4mi_QKV_mfma16_kernelIDF16_DF16_LN4vllm18Fp8KVCacheDataTypeE0EDF16_Li32ELi64ELi256ELb1ELi2EL8MFMAType0EEvPKT_PKT0_S8_ifPKiSA_SA_iPKfiiiPfSD_PS3_PT2_iSC_SC_,comdat
.Lfunc_end73:
	.size	_Z39paged_attention_ll4mi_QKV_mfma16_kernelIDF16_DF16_LN4vllm18Fp8KVCacheDataTypeE0EDF16_Li32ELi64ELi256ELb1ELi2EL8MFMAType0EEvPKT_PKT0_S8_ifPKiSA_SA_iPKfiiiPfSD_PS3_PT2_iSC_SC_, .Lfunc_end73-_Z39paged_attention_ll4mi_QKV_mfma16_kernelIDF16_DF16_LN4vllm18Fp8KVCacheDataTypeE0EDF16_Li32ELi64ELi256ELb1ELi2EL8MFMAType0EEvPKT_PKT0_S8_ifPKiSA_SA_iPKfiiiPfSD_PS3_PT2_iSC_SC_
                                        ; -- End function
	.section	.AMDGPU.csdata,"",@progbits
; Kernel info:
; codeLenInByte = 4308
; NumSgprs: 52
; NumVgprs: 67
; NumAgprs: 0
; TotalNumVgprs: 67
; ScratchSize: 0
; MemoryBound: 0
; FloatMode: 240
; IeeeMode: 1
; LDSByteSize: 8192 bytes/workgroup (compile time only)
; SGPRBlocks: 6
; VGPRBlocks: 8
; NumSGPRsForWavesPerEU: 52
; NumVGPRsForWavesPerEU: 67
; AccumOffset: 68
; Occupancy: 7
; WaveLimiterHint : 1
; COMPUTE_PGM_RSRC2:SCRATCH_EN: 0
; COMPUTE_PGM_RSRC2:USER_SGPR: 6
; COMPUTE_PGM_RSRC2:TRAP_HANDLER: 0
; COMPUTE_PGM_RSRC2:TGID_X_EN: 1
; COMPUTE_PGM_RSRC2:TGID_Y_EN: 1
; COMPUTE_PGM_RSRC2:TGID_Z_EN: 1
; COMPUTE_PGM_RSRC2:TIDIG_COMP_CNT: 0
; COMPUTE_PGM_RSRC3_GFX90A:ACCUM_OFFSET: 16
; COMPUTE_PGM_RSRC3_GFX90A:TG_SPLIT: 0
	.section	.text._Z39paged_attention_ll4mi_QKV_mfma16_kernelIDF16_DF16_LN4vllm18Fp8KVCacheDataTypeE0EDF16_Li32ELi64ELi256ELb1ELi3EL8MFMAType0EEvPKT_PKT0_S8_ifPKiSA_SA_iPKfiiiPfSD_PS3_PT2_iSC_SC_,"axG",@progbits,_Z39paged_attention_ll4mi_QKV_mfma16_kernelIDF16_DF16_LN4vllm18Fp8KVCacheDataTypeE0EDF16_Li32ELi64ELi256ELb1ELi3EL8MFMAType0EEvPKT_PKT0_S8_ifPKiSA_SA_iPKfiiiPfSD_PS3_PT2_iSC_SC_,comdat
	.protected	_Z39paged_attention_ll4mi_QKV_mfma16_kernelIDF16_DF16_LN4vllm18Fp8KVCacheDataTypeE0EDF16_Li32ELi64ELi256ELb1ELi3EL8MFMAType0EEvPKT_PKT0_S8_ifPKiSA_SA_iPKfiiiPfSD_PS3_PT2_iSC_SC_ ; -- Begin function _Z39paged_attention_ll4mi_QKV_mfma16_kernelIDF16_DF16_LN4vllm18Fp8KVCacheDataTypeE0EDF16_Li32ELi64ELi256ELb1ELi3EL8MFMAType0EEvPKT_PKT0_S8_ifPKiSA_SA_iPKfiiiPfSD_PS3_PT2_iSC_SC_
	.globl	_Z39paged_attention_ll4mi_QKV_mfma16_kernelIDF16_DF16_LN4vllm18Fp8KVCacheDataTypeE0EDF16_Li32ELi64ELi256ELb1ELi3EL8MFMAType0EEvPKT_PKT0_S8_ifPKiSA_SA_iPKfiiiPfSD_PS3_PT2_iSC_SC_
	.p2align	8
	.type	_Z39paged_attention_ll4mi_QKV_mfma16_kernelIDF16_DF16_LN4vllm18Fp8KVCacheDataTypeE0EDF16_Li32ELi64ELi256ELb1ELi3EL8MFMAType0EEvPKT_PKT0_S8_ifPKiSA_SA_iPKfiiiPfSD_PS3_PT2_iSC_SC_,@function
_Z39paged_attention_ll4mi_QKV_mfma16_kernelIDF16_DF16_LN4vllm18Fp8KVCacheDataTypeE0EDF16_Li32ELi64ELi256ELb1ELi3EL8MFMAType0EEvPKT_PKT0_S8_ifPKiSA_SA_iPKfiiiPfSD_PS3_PT2_iSC_SC_: ; @_Z39paged_attention_ll4mi_QKV_mfma16_kernelIDF16_DF16_LN4vllm18Fp8KVCacheDataTypeE0EDF16_Li32ELi64ELi256ELb1ELi3EL8MFMAType0EEvPKT_PKT0_S8_ifPKiSA_SA_iPKfiiiPfSD_PS3_PT2_iSC_SC_
; %bb.0:
	s_load_dwordx2 s[0:1], s[4:5], 0x30
	s_mov_b32 s28, s7
	s_mov_b64 s[10:11], 0
	s_waitcnt lgkmcnt(0)
	s_cmp_lg_u64 s[0:1], 0
	s_cselect_b64 s[2:3], -1, 0
	s_and_b64 vcc, exec, s[2:3]
	s_cbranch_vccz .LBB74_7
; %bb.1:
	s_add_i32 s12, s6, 1
	s_mov_b32 s13, 0
	s_lshl_b64 s[14:15], s[12:13], 2
	s_add_u32 s14, s0, s14
	s_mov_b32 s7, s13
	s_addc_u32 s15, s1, s15
	s_lshl_b64 s[12:13], s[6:7], 2
	s_add_u32 s12, s0, s12
	s_addc_u32 s13, s1, s13
	s_load_dword s9, s[14:15], 0x0
	s_load_dword s16, s[12:13], 0x0
	s_waitcnt lgkmcnt(0)
	s_sub_i32 s9, s9, s16
	s_cmp_eq_u32 s9, 1
	s_cselect_b64 s[12:13], -1, 0
	s_andn2_b64 vcc, exec, s[10:11]
	s_cbranch_vccnz .LBB74_3
.LBB74_2:
	s_mov_b32 s7, 0
	s_mov_b64 s[12:13], -1
.LBB74_3:
	s_andn2_b64 vcc, exec, s[12:13]
	s_cbranch_vccnz .LBB74_21
; %bb.4:
	s_load_dwordx2 s[12:13], s[4:5], 0x28
	s_lshl_b64 s[10:11], s[6:7], 2
	s_waitcnt lgkmcnt(0)
	s_add_u32 s12, s12, s10
	s_addc_u32 s13, s13, s11
	s_load_dword s33, s[12:13], 0x0
	s_lshl_b32 s14, s28, 8
	s_waitcnt lgkmcnt(0)
	s_cmp_ge_i32 s14, s33
	s_cbranch_scc1 .LBB74_21
; %bb.5:
	s_add_i32 s15, s33, 31
	s_load_dwordx2 s[12:13], s[4:5], 0x20
	s_load_dword s9, s[4:5], 0x38
	s_ashr_i32 s16, s15, 31
	v_and_b32_e32 v1, 0xcf, v0
	s_lshr_b32 s16, s16, 27
	v_add_u32_e32 v1, s14, v1
	s_add_i32 s15, s15, s16
	v_ashrrev_i32_e32 v2, 31, v1
	s_ashr_i32 s17, s15, 5
	v_lshrrev_b32_e32 v6, 27, v2
	s_add_i32 s17, s17, -1
	v_add_u32_e32 v2, v1, v6
	s_waitcnt lgkmcnt(0)
	s_mul_i32 s18, s6, s9
	s_mov_b32 s19, 0
	v_ashrrev_i32_e32 v2, 5, v2
	v_mov_b32_e32 v7, s17
	v_cmp_gt_i32_e32 vcc, s33, v1
	s_lshl_b64 s[18:19], s[18:19], 2
	v_cndmask_b32_e32 v2, v7, v2, vcc
	s_add_u32 s15, s12, s18
	v_ashrrev_i32_e32 v3, 31, v2
	s_addc_u32 s16, s13, s19
	v_lshlrev_b64 v[2:3], 2, v[2:3]
	v_mov_b32_e32 v4, s16
	v_add_co_u32_e32 v2, vcc, s15, v2
	v_addc_co_u32_e32 v3, vcc, v4, v3, vcc
	v_or_b32_e32 v4, 16, v1
	v_add_u32_e32 v5, v4, v6
	v_ashrrev_i32_e32 v5, 5, v5
	v_cmp_gt_i32_e32 vcc, s33, v4
	v_cndmask_b32_e32 v4, v7, v5, vcc
	v_ashrrev_i32_e32 v5, 31, v4
	v_lshlrev_b64 v[4:5], 2, v[4:5]
	v_mov_b32_e32 v9, s16
	v_add_co_u32_e32 v8, vcc, s15, v4
	v_or_b32_e32 v4, 32, v1
	v_addc_co_u32_e32 v9, vcc, v9, v5, vcc
	v_add_u32_e32 v5, v4, v6
	v_ashrrev_i32_e32 v5, 5, v5
	v_cmp_gt_i32_e32 vcc, s33, v4
	v_cndmask_b32_e32 v4, v7, v5, vcc
	v_ashrrev_i32_e32 v5, 31, v4
	v_lshlrev_b64 v[4:5], 2, v[4:5]
	v_mov_b32_e32 v11, s16
	v_add_co_u32_e32 v10, vcc, s15, v4
	v_or_b32_e32 v1, 48, v1
	v_addc_co_u32_e32 v11, vcc, v11, v5, vcc
	v_add_u32_e32 v4, v1, v6
	v_ashrrev_i32_e32 v4, 5, v4
	v_cmp_gt_i32_e32 vcc, s33, v1
	v_cndmask_b32_e32 v4, v7, v4, vcc
	v_ashrrev_i32_e32 v5, 31, v4
	v_lshlrev_b64 v[4:5], 2, v[4:5]
	v_mov_b32_e32 v1, s16
	v_add_co_u32_e32 v12, vcc, s15, v4
	v_addc_co_u32_e32 v13, vcc, v1, v5, vcc
	global_load_dword v7, v[2:3], off
	global_load_dword v6, v[8:9], off
	;; [unrolled: 1-line block ×4, first 2 shown]
	s_andn2_b64 vcc, exec, s[2:3]
	s_cbranch_vccnz .LBB74_8
; %bb.6:
	s_add_u32 s0, s0, s10
	s_addc_u32 s1, s1, s11
	s_load_dword s9, s[0:1], 0x0
	s_branch .LBB74_9
.LBB74_7:
	s_mov_b64 s[12:13], 0
	s_branch .LBB74_2
.LBB74_8:
	s_mov_b32 s9, s6
.LBB74_9:
	s_load_dwordx2 s[10:11], s[4:5], 0x8
	s_load_dwordx4 s[44:47], s[4:5], 0x48
	v_lshrrev_b32_e32 v54, 6, v0
	v_bfe_u32 v1, v0, 4, 2
	v_lshl_or_b32 v8, v54, 2, v1
	v_and_b32_e32 v53, 15, v0
	v_cmp_lt_u32_e32 vcc, 2, v8
	v_cmp_lt_u32_e64 s[2:3], 7, v53
	s_mul_i32 s29, s8, 3
	v_lshlrev_b32_e32 v2, 3, v53
	v_cmp_gt_u32_e64 s[0:1], 8, v53
	s_or_b64 s[2:3], s[2:3], vcc
	s_and_saveexec_b64 s[12:13], s[2:3]
	s_xor_b64 s[2:3], exec, s[12:13]
; %bb.10:
	v_mov_b32_e32 v3, 0
                                        ; implicit-def: $vgpr8
; %bb.11:
	s_or_saveexec_b64 s[12:13], s[2:3]
	s_load_dwordx2 s[2:3], s[4:5], 0x10
	v_add_u32_e32 v52, s29, v1
	s_xor_b64 exec, exec, s[12:13]
	s_cbranch_execz .LBB74_13
; %bb.12:
	s_load_dwordx2 s[18:19], s[4:5], 0x0
	s_waitcnt lgkmcnt(0)
	s_ashr_i32 s20, s44, 31
	s_mul_hi_u32 s21, s9, s44
	s_mul_i32 s20, s9, s20
	s_add_i32 s21, s21, s20
	s_mul_i32 s20, s9, s44
	s_lshl_b64 s[20:21], s[20:21], 1
	v_lshlrev_b32_e32 v10, 6, v52
	s_add_u32 s9, s18, s20
	v_ashrrev_i32_e32 v11, 31, v10
	s_addc_u32 s18, s19, s21
	v_lshlrev_b64 v[10:11], 1, v[10:11]
	v_mov_b32_e32 v3, s18
	v_add_co_u32_e32 v9, vcc, s9, v10
	v_addc_co_u32_e32 v3, vcc, v3, v11, vcc
	v_lshlrev_b32_e32 v10, 1, v2
	v_add_co_u32_e32 v10, vcc, v9, v10
	v_addc_co_u32_e32 v11, vcc, 0, v3, vcc
	global_load_dwordx4 v[10:13], v[10:11], off
	v_and_b32_e32 v9, 3, v0
	v_lshlrev_b32_e32 v14, 9, v53
	v_lshlrev_b32_e32 v8, 5, v8
	;; [unrolled: 1-line block ×3, first 2 shown]
	v_and_b32_e32 v14, 0x1800, v14
	v_mov_b32_e32 v3, 0
	v_or3_b32 v8, v14, v9, v8
	s_waitcnt vmcnt(0)
	ds_write_b128 v8, v[10:13]
.LBB74_13:
	s_or_b64 exec, exec, s[12:13]
	s_waitcnt lgkmcnt(0)
	s_mul_i32 s8, s8, s46
	s_mov_b32 s9, 0
	s_lshl_b64 s[8:9], s[8:9], 1
	s_add_u32 s12, s10, s8
	s_addc_u32 s13, s11, s9
	s_waitcnt vmcnt(3)
	v_mad_i64_i32 v[8:9], s[10:11], v7, s45, 0
	v_lshlrev_b64 v[8:9], 1, v[8:9]
	v_mov_b32_e32 v7, s13
	v_add_co_u32_e32 v8, vcc, s12, v8
	v_addc_co_u32_e32 v7, vcc, v7, v9, vcc
	v_lshlrev_b64 v[42:43], 1, v[2:3]
	v_add_co_u32_e32 v2, vcc, v8, v42
	v_lshlrev_b32_e32 v24, 9, v1
	v_addc_co_u32_e32 v3, vcc, v7, v43, vcc
	v_add_co_u32_e32 v2, vcc, v2, v24
	v_addc_co_u32_e32 v3, vcc, 0, v3, vcc
	s_barrier
	global_load_dwordx4 v[38:41], v[2:3], off
	global_load_dwordx4 v[34:37], v[2:3], off offset:2048
	s_waitcnt vmcnt(4)
	v_mad_i64_i32 v[2:3], s[10:11], v6, s45, 0
	v_lshlrev_b64 v[2:3], 1, v[2:3]
	v_mov_b32_e32 v6, s13
	v_add_co_u32_e32 v2, vcc, s12, v2
	v_addc_co_u32_e32 v3, vcc, v6, v3, vcc
	v_mov_b32_e32 v6, 0x100
	v_lshl_or_b32 v18, v53, 4, v6
	v_add_co_u32_e32 v2, vcc, v2, v18
	v_addc_co_u32_e32 v3, vcc, 0, v3, vcc
	v_add_co_u32_e32 v2, vcc, v2, v24
	v_addc_co_u32_e32 v3, vcc, 0, v3, vcc
	global_load_dwordx4 v[30:33], v[2:3], off
	global_load_dwordx4 v[14:17], v[2:3], off offset:2048
	s_waitcnt vmcnt(5)
	v_mad_i64_i32 v[2:3], s[10:11], v5, s45, 0
	v_lshlrev_b64 v[2:3], 1, v[2:3]
	v_mov_b32_e32 v5, s13
	v_add_co_u32_e32 v2, vcc, s12, v2
	v_addc_co_u32_e32 v3, vcc, v5, v3, vcc
	v_add_co_u32_e32 v2, vcc, v2, v42
	v_addc_co_u32_e32 v3, vcc, v3, v43, vcc
	;; [unrolled: 2-line block ×3, first 2 shown]
	global_load_dwordx4 v[10:13], v[2:3], off
	global_load_dwordx4 v[6:9], v[2:3], off offset:2048
	s_waitcnt vmcnt(6)
	v_mad_i64_i32 v[2:3], s[10:11], v4, s45, 0
	v_lshlrev_b64 v[2:3], 1, v[2:3]
	v_mov_b32_e32 v4, s13
	v_add_co_u32_e32 v2, vcc, s12, v2
	v_addc_co_u32_e32 v3, vcc, v4, v3, vcc
	v_add_co_u32_e32 v2, vcc, v2, v18
	v_addc_co_u32_e32 v3, vcc, 0, v3, vcc
	;; [unrolled: 2-line block ×3, first 2 shown]
	global_load_dwordx4 v[2:5], v[22:23], off
	global_load_dwordx4 v[18:21], v[22:23], off offset:2048
	v_mul_lo_u16_e32 v22, 0x56, v53
	v_mov_b32_e32 v23, 3
	v_mul_lo_u16_sdwa v22, v22, v23 dst_sel:DWORD dst_unused:UNUSED_PAD src0_sel:BYTE_1 src1_sel:DWORD
	v_sub_u16_e32 v22, v53, v22
	v_and_b32_e32 v22, 0xff, v22
	v_lshl_add_u32 v22, v22, 5, v24
	ds_read_b128 v[26:29], v22
	ds_read_b128 v[22:25], v22 offset:2048
	v_and_b32_e32 v55, 63, v0
	v_cmp_gt_u32_e32 vcc, 3, v53
	v_mov_b32_e32 v50, 0
	s_and_saveexec_b64 s[10:11], vcc
	s_cbranch_execz .LBB74_15
; %bb.14:
	s_load_dwordx2 s[12:13], s[4:5], 0x40
	v_add_u32_e32 v44, s29, v53
	v_ashrrev_i32_e32 v45, 31, v44
	v_lshlrev_b64 v[44:45], 2, v[44:45]
	s_waitcnt lgkmcnt(0)
	v_mov_b32_e32 v46, s13
	v_add_co_u32_e32 v44, vcc, s12, v44
	v_addc_co_u32_e32 v45, vcc, v46, v45, vcc
	global_load_dword v50, v[44:45], off
.LBB74_15:
	s_or_b64 exec, exec, s[10:11]
	s_waitcnt vmcnt(7) lgkmcnt(1)
	v_mfma_f32_16x16x16f16 v[44:47], v[38:39], v[26:27], 0
	s_ashr_i32 s10, s14, 31
	s_lshr_b32 s11, s10, 27
	v_mov_b32_e32 v49, s16
	s_add_u32 s2, s2, s8
	s_addc_u32 s3, s3, s9
	s_load_dword s10, s[4:5], 0x1c
	s_mov_b32 s42, 0xff7fffff
	v_mfma_f32_16x16x16f16 v[38:41], v[40:41], v[28:29], v[44:47]
	s_waitcnt vmcnt(6) lgkmcnt(0)
	v_mfma_f32_16x16x16f16 v[38:41], v[34:35], v[22:23], v[38:41]
	s_nop 4
	v_and_or_b32 v46, v0, 48, s14
	v_add_u32_e32 v34, s11, v46
	v_ashrrev_i32_e32 v34, 5, v34
	v_mov_b32_e32 v47, s17
	v_cmp_gt_i32_e32 vcc, s33, v46
	v_cndmask_b32_e32 v34, v47, v34, vcc
	v_ashrrev_i32_e32 v35, 31, v34
	v_lshlrev_b64 v[44:45], 2, v[34:35]
	v_mfma_f32_16x16x16f16 v[34:37], v[36:37], v[24:25], v[38:41]
	s_nop 6
	v_mov_b32_e32 v39, s16
	v_add_co_u32_e32 v38, vcc, s15, v44
	v_addc_co_u32_e32 v39, vcc, v39, v45, vcc
	global_load_dword v48, v[38:39], off
	s_waitcnt vmcnt(6)
	v_mfma_f32_16x16x16f16 v[38:41], v[30:31], v[26:27], 0
	v_or_b32_e32 v44, 64, v46
	v_add_u32_e32 v30, s11, v44
	v_ashrrev_i32_e32 v30, 5, v30
	v_cmp_gt_i32_e32 vcc, s33, v44
	v_cndmask_b32_e32 v30, v47, v30, vcc
	v_ashrrev_i32_e32 v31, 31, v30
	v_lshlrev_b64 v[44:45], 2, v[30:31]
	v_mfma_f32_16x16x16f16 v[30:33], v[32:33], v[28:29], v[38:41]
	s_nop 6
	v_add_co_u32_e32 v38, vcc, s15, v44
	v_addc_co_u32_e32 v39, vcc, v49, v45, vcc
	global_load_dword v40, v[38:39], off
	v_or_b32_e32 v38, 0x80, v46
	v_add_u32_e32 v39, s11, v38
	v_ashrrev_i32_e32 v39, 5, v39
	v_cmp_gt_i32_e32 vcc, s33, v38
	v_cndmask_b32_e32 v38, v47, v39, vcc
	v_ashrrev_i32_e32 v39, 31, v38
	s_waitcnt vmcnt(6)
	v_mfma_f32_16x16x16f16 v[30:33], v[14:15], v[22:23], v[30:33]
	v_lshlrev_b64 v[14:15], 2, v[38:39]
	v_mov_b32_e32 v38, s16
	v_add_co_u32_e32 v14, vcc, s15, v14
	v_addc_co_u32_e32 v15, vcc, v38, v15, vcc
	global_load_dword v41, v[14:15], off
	v_mfma_f32_16x16x16f16 v[30:33], v[16:17], v[24:25], v[30:33]
	v_or_b32_e32 v38, 0xc0, v46
	v_cmp_gt_i32_e32 vcc, s33, v38
	v_mov_b32_e32 v44, s16
	s_waitcnt vmcnt(6)
	v_mfma_f32_16x16x16f16 v[14:17], v[10:11], v[26:27], 0
	v_add_u32_e32 v10, s11, v38
	v_ashrrev_i32_e32 v10, 5, v10
	v_cndmask_b32_e32 v10, v47, v10, vcc
	v_ashrrev_i32_e32 v11, 31, v10
	v_lshlrev_b64 v[38:39], 2, v[10:11]
	s_nop 0
	v_pk_mul_f32 v[46:47], s[10:11], v[30:31] op_sel_hi:[0,1]
	v_mfma_f32_16x16x16f16 v[10:13], v[12:13], v[28:29], v[14:17]
	s_nop 6
	v_add_co_u32_e32 v14, vcc, s15, v38
	s_waitcnt vmcnt(5)
	v_mfma_f32_16x16x16f16 v[10:13], v[6:7], v[22:23], v[10:13]
	v_addc_co_u32_e32 v15, vcc, v44, v39, vcc
	global_load_dword v51, v[14:15], off
	v_and_b32_e32 v14, 16, v0
	v_lshlrev_b32_e32 v14, 1, v14
	v_mov_b32_e32 v6, s3
	v_add_co_u32_e32 v7, vcc, s2, v14
	v_lshlrev_b32_e32 v14, 6, v53
	v_addc_co_u32_e32 v6, vcc, 0, v6, vcc
	v_lshl_or_b32 v14, v54, 10, v14
	v_add_co_u32_e32 v60, vcc, v7, v14
	v_addc_co_u32_e32 v61, vcc, 0, v6, vcc
	v_mfma_f32_16x16x16f16 v[56:59], v[8:9], v[24:25], v[10:13]
	s_waitcnt vmcnt(3)
	v_mad_i64_i32 v[6:7], s[2:3], v48, s45, 0
	v_pk_mul_f32 v[48:49], s[10:11], v[36:37] op_sel_hi:[0,1]
	v_pk_mul_f32 v[44:45], s[10:11], v[32:33] op_sel_hi:[0,1]
	s_waitcnt vmcnt(1)
	v_mad_i64_i32 v[38:39], s[2:3], v41, s45, 0
	s_nop 0
	v_lshlrev_b64 v[10:11], 1, v[6:7]
	v_mfma_f32_16x16x16f16 v[6:9], v[2:3], v[26:27], 0
	v_add_co_u32_e32 v2, vcc, v60, v10
	v_addc_co_u32_e32 v3, vcc, v61, v11, vcc
	global_load_dwordx4 v[14:17], v[2:3], off
	global_load_dwordx4 v[10:13], v[2:3], off offset:16
	v_mad_i64_i32 v[2:3], s[2:3], v40, s45, 0
	v_mfma_f32_16x16x16f16 v[26:29], v[4:5], v[28:29], v[6:9]
	v_lshlrev_b64 v[2:3], 1, v[2:3]
	v_add_co_u32_e32 v2, vcc, v60, v2
	v_addc_co_u32_e32 v3, vcc, v61, v3, vcc
	v_lshlrev_b64 v[38:39], 1, v[38:39]
	v_pk_mul_f32 v[40:41], s[10:11], v[56:57] op_sel_hi:[0,1]
	v_mfma_f32_16x16x16f16 v[26:29], v[18:19], v[22:23], v[26:29]
	v_pk_mul_f32 v[18:19], s[10:11], v[34:35] op_sel_hi:[0,1]
	v_add_co_u32_e32 v22, vcc, v60, v38
	v_addc_co_u32_e32 v23, vcc, v61, v39, vcc
	v_pk_mul_f32 v[38:39], s[10:11], v[58:59] op_sel_hi:[0,1]
	global_load_dwordx4 v[6:9], v[2:3], off
	s_nop 0
	global_load_dwordx4 v[2:5], v[2:3], off offset:16
	v_mfma_f32_16x16x16f16 v[24:27], v[20:21], v[24:25], v[26:29]
	v_and_b32_e32 v20, 0xc0, v0
	v_add_u32_e32 v20, s14, v20
	v_lshl_or_b32 v20, v1, 2, v20
	v_or_b32_e32 v21, 1, v20
	v_cmp_gt_i32_e64 s[30:31], s33, v20
	v_cmp_gt_i32_e64 s[34:35], s33, v21
	s_nop 4
	v_pk_mul_f32 v[36:37], s[10:11], v[24:25] op_sel_hi:[0,1]
	v_subrev_u32_e32 v24, s33, v21
	v_pk_mul_f32 v[34:35], s[10:11], v[26:27] op_sel_hi:[0,1]
	v_add_u32_e32 v26, 1, v24
	v_add_u32_e32 v27, 2, v24
	v_cvt_f32_i32_e32 v25, v24
	v_cvt_f32_i32_e32 v26, v26
	;; [unrolled: 1-line block ×3, first 2 shown]
	v_add_u32_e32 v28, 3, v24
	v_fma_f32 v18, v50, v25, v18
	v_fmac_f32_e32 v19, v50, v26
	v_fma_f32 v48, v50, v27, v48
	v_add_u32_e32 v25, 16, v24
	v_add_u32_e32 v26, 17, v24
	;; [unrolled: 1-line block ×3, first 2 shown]
	v_cvt_f32_i32_e32 v28, v28
	v_cvt_f32_i32_e32 v25, v25
	;; [unrolled: 1-line block ×4, first 2 shown]
	v_fmac_f32_e32 v49, v50, v28
	v_add_u32_e32 v28, 19, v24
	v_fma_f32 v46, v50, v25, v46
	v_fmac_f32_e32 v47, v50, v26
	v_fma_f32 v44, v50, v27, v44
	v_add_u32_e32 v25, 32, v24
	v_add_u32_e32 v26, 33, v24
	;; [unrolled: 1-line block ×3, first 2 shown]
	v_cvt_f32_i32_e32 v28, v28
	v_cvt_f32_i32_e32 v25, v25
	;; [unrolled: 1-line block ×4, first 2 shown]
	v_fmac_f32_e32 v45, v50, v28
	v_add_u32_e32 v28, 35, v24
	v_fma_f32 v40, v50, v25, v40
	v_fmac_f32_e32 v41, v50, v26
	v_fma_f32 v38, v50, v27, v38
	v_add_u32_e32 v25, 48, v24
	v_add_u32_e32 v26, 49, v24
	;; [unrolled: 1-line block ×4, first 2 shown]
	v_cvt_f32_i32_e32 v24, v24
	v_cvt_f32_i32_e32 v25, v25
	;; [unrolled: 1-line block ×4, first 2 shown]
	v_fmac_f32_e32 v35, v50, v24
	v_mov_b32_e32 v24, 0xff7fffff
	v_fma_f32 v36, v50, v25, v36
	v_cndmask_b32_e64 v25, v24, v18, s[30:31]
	v_cndmask_b32_e64 v21, v24, v19, s[34:35]
	v_fmac_f32_e32 v37, v50, v26
	v_max3_f32 v21, v25, s42, v21
	v_or_b32_e32 v25, 2, v20
	v_or_b32_e32 v26, 3, v20
	v_cmp_gt_i32_e64 s[36:37], s33, v25
	v_cmp_gt_i32_e64 s[38:39], s33, v26
	v_cndmask_b32_e64 v25, v24, v48, s[36:37]
	v_cndmask_b32_e64 v26, v24, v49, s[38:39]
	v_max3_f32 v21, v21, v25, v26
	v_or_b32_e32 v25, 16, v20
	v_or_b32_e32 v26, 17, v20
	v_cmp_gt_i32_e64 s[24:25], s33, v25
	v_cmp_gt_i32_e64 s[26:27], s33, v26
	v_cndmask_b32_e64 v25, v24, v46, s[24:25]
	v_cndmask_b32_e64 v26, v24, v47, s[26:27]
	;; [unrolled: 7-line block ×4, first 2 shown]
	v_max3_f32 v21, v21, v25, v26
	v_or_b32_e32 v25, 34, v20
	v_or_b32_e32 v26, 35, v20
	v_fmac_f32_e32 v39, v50, v28
	v_cmp_gt_i32_e64 s[12:13], s33, v25
	v_cmp_gt_i32_e64 s[14:15], s33, v26
	v_cndmask_b32_e64 v25, v24, v38, s[12:13]
	v_cndmask_b32_e64 v26, v24, v39, s[14:15]
	v_cvt_f32_i32_e32 v27, v27
	v_max3_f32 v21, v21, v25, v26
	v_or_b32_e32 v25, 48, v20
	v_or_b32_e32 v26, 49, v20
	v_cmp_gt_i32_e64 s[8:9], s33, v25
	v_cmp_gt_i32_e64 s[10:11], s33, v26
	v_cndmask_b32_e64 v25, v24, v36, s[8:9]
	v_cndmask_b32_e64 v26, v24, v37, s[10:11]
	v_max3_f32 v21, v21, v25, v26
	v_or_b32_e32 v25, 50, v20
	v_or_b32_e32 v20, 51, v20
	v_fma_f32 v34, v50, v27, v34
	v_cmp_gt_i32_e32 vcc, s33, v25
	v_cmp_gt_i32_e64 s[2:3], s33, v20
	v_cndmask_b32_e32 v25, v24, v34, vcc
	v_cndmask_b32_e64 v20, v24, v35, s[2:3]
	v_max3_f32 v26, v21, v25, v20
	v_mbcnt_lo_u32_b32 v20, -1, 0
	v_mbcnt_hi_u32_b32 v27, -1, v20
	v_and_b32_e32 v20, 64, v27
	v_add_u32_e32 v28, 64, v20
	v_xor_b32_e32 v20, 32, v27
	v_cmp_lt_i32_e64 s[40:41], v20, v28
	v_cndmask_b32_e64 v20, v27, v20, s[40:41]
	v_lshlrev_b32_e32 v57, 2, v20
	ds_bpermute_b32 v29, v57, v26
	s_waitcnt vmcnt(4)
	v_mad_i64_i32 v[20:21], s[40:41], v51, s45, 0
	v_lshlrev_b64 v[20:21], 1, v[20:21]
	global_load_dwordx4 v[30:33], v[22:23], off
	s_nop 0
	global_load_dwordx4 v[22:25], v[22:23], off offset:16
	s_waitcnt lgkmcnt(0)
	v_max_f32_e32 v29, v29, v29
	v_max_f32_e32 v26, v26, v29
	v_xor_b32_e32 v29, 16, v27
	v_cmp_lt_i32_e64 s[40:41], v29, v28
	v_cndmask_b32_e64 v27, v27, v29, s[40:41]
	v_lshlrev_b32_e32 v59, 2, v27
	ds_bpermute_b32 v27, v59, v26
	v_add_co_u32_e64 v20, s[40:41], v60, v20
	v_addc_co_u32_e64 v21, s[40:41], v61, v21, s[40:41]
	s_waitcnt lgkmcnt(0)
	v_max_f32_e32 v27, v27, v27
	v_max_f32_e32 v56, v26, v27
	v_sub_f32_e32 v18, v18, v56
	v_mul_f32_e32 v18, 0x3fb8aa3b, v18
	v_exp_f32_e32 v50, v18
	v_sub_f32_e32 v18, v19, v56
	v_mul_f32_e32 v18, 0x3fb8aa3b, v18
	v_exp_f32_e32 v51, v18
	global_load_dwordx4 v[26:29], v[20:21], off
	s_nop 0
	global_load_dwordx4 v[18:21], v[20:21], off offset:16
	v_sub_f32_e32 v48, v48, v56
	v_mul_f32_e32 v48, 0x3fb8aa3b, v48
	v_sub_f32_e32 v49, v49, v56
	v_exp_f32_e32 v48, v48
	v_mul_f32_e32 v49, 0x3fb8aa3b, v49
	v_sub_f32_e32 v46, v46, v56
	v_exp_f32_e32 v49, v49
	v_mul_f32_e32 v46, 0x3fb8aa3b, v46
	v_sub_f32_e32 v47, v47, v56
	v_cndmask_b32_e64 v50, 0, v50, s[30:31]
	v_exp_f32_e32 v46, v46
	v_mul_f32_e32 v47, 0x3fb8aa3b, v47
	v_sub_f32_e32 v44, v44, v56
	v_add_f32_e32 v58, 0, v50
	v_cndmask_b32_e64 v51, 0, v51, s[34:35]
	v_exp_f32_e32 v47, v47
	v_mul_f32_e32 v44, 0x3fb8aa3b, v44
	v_sub_f32_e32 v45, v45, v56
	v_add_f32_e32 v58, v58, v51
	;; [unrolled: 5-line block ×10, first 2 shown]
	v_cndmask_b32_e64 v38, 0, v38, s[12:13]
	v_exp_f32_e32 v34, v34
	v_mul_f32_e32 v35, 0x3fb8aa3b, v35
	v_add_f32_e32 v58, v58, v38
	v_cndmask_b32_e64 v39, 0, v39, s[14:15]
	v_exp_f32_e32 v35, v35
	v_add_f32_e32 v58, v58, v39
	v_cndmask_b32_e64 v36, 0, v36, s[8:9]
	v_add_f32_e32 v58, v58, v36
	v_cndmask_b32_e64 v37, 0, v37, s[10:11]
	v_add_f32_e32 v58, v58, v37
	v_cndmask_b32_e32 v34, 0, v34, vcc
	v_add_f32_e32 v58, v58, v34
	v_cndmask_b32_e64 v35, 0, v35, s[2:3]
	v_add_f32_e32 v58, v58, v35
	ds_bpermute_b32 v57, v57, v58
	s_load_dword s9, s[4:5], 0x98
	v_cmp_gt_u32_e32 vcc, 16, v55
	s_waitcnt lgkmcnt(0)
	s_barrier
	v_add_f32_e32 v58, v58, v57
	ds_bpermute_b32 v59, v59, v58
	v_lshlrev_b32_e32 v57, 2, v53
	s_waitcnt lgkmcnt(0)
	s_and_saveexec_b64 s[2:3], vcc
	s_cbranch_execz .LBB74_17
; %bb.16:
	v_add_f32_e32 v55, v58, v59
	v_lshl_or_b32 v58, v54, 6, v57
	ds_write2st64_b32 v58, v56, v55 offset1:1
.LBB74_17:
	s_or_b64 exec, exec, s[2:3]
	s_load_dword s8, s[4:5], 0x94
	s_waitcnt lgkmcnt(0)
	s_barrier
	ds_read2_b32 v[58:59], v57 offset1:16
	ds_read2_b32 v[60:61], v57 offset0:32 offset1:48
	ds_read2_b32 v[62:63], v57 offset0:64 offset1:80
	s_mul_i32 s9, s9, 3
	s_waitcnt lgkmcnt(2)
	v_max3_f32 v55, v58, s42, v59
	s_waitcnt lgkmcnt(1)
	v_max3_f32 v55, v55, v60, v61
	v_sub_f32_e32 v56, v58, v55
	v_mul_f32_e32 v56, 0x3fb8aa3b, v56
	v_exp_f32_e32 v64, v56
	v_sub_f32_e32 v56, v59, v55
	v_mul_f32_e32 v56, 0x3fb8aa3b, v56
	v_exp_f32_e32 v65, v56
	;; [unrolled: 3-line block ×3, first 2 shown]
	ds_read2_b32 v[58:59], v57 offset0:96 offset1:112
	v_sub_f32_e32 v56, v61, v55
	v_mul_f32_e32 v56, 0x3fb8aa3b, v56
	v_exp_f32_e32 v57, v56
	s_waitcnt lgkmcnt(1)
	v_fma_f32 v56, v64, v62, 0
	v_fmac_f32_e32 v56, v65, v63
	s_waitcnt lgkmcnt(0)
	v_fmac_f32_e32 v56, v60, v58
	v_fmac_f32_e32 v56, v57, v59
	v_add_f32_e32 v58, 0x358637bd, v56
	v_div_scale_f32 v59, s[2:3], v58, v58, 1.0
	v_rcp_f32_e32 v61, v59
	s_barrier
	v_fma_f32 v62, -v59, v61, 1.0
	v_fmac_f32_e32 v61, v62, v61
	v_div_scale_f32 v62, vcc, 1.0, v58, 1.0
	v_mul_f32_e32 v63, v62, v61
	v_fma_f32 v66, -v59, v63, v62
	v_fmac_f32_e32 v63, v66, v61
	v_fma_f32 v59, -v59, v63, v62
	v_div_fmas_f32 v59, v59, v61, v63
	v_cmp_eq_u32_e32 vcc, 1, v54
	v_div_fixup_f32 v58, v59, v58, 1.0
	v_cndmask_b32_e32 v59, v64, v65, vcc
	v_cmp_eq_u32_e32 vcc, 2, v54
	v_cndmask_b32_e32 v59, v59, v60, vcc
	v_cmp_eq_u32_e32 vcc, 3, v54
	v_cndmask_b32_e32 v57, v59, v57, vcc
	v_mul_f32_e32 v58, v57, v58
	v_pk_mul_f32 v[48:49], v[58:59], v[48:49] op_sel_hi:[0,1]
	v_pk_mul_f32 v[50:51], v[58:59], v[50:51] op_sel_hi:[0,1]
	v_cvt_f16_f32_e32 v50, v50
	v_cvt_f16_f32_e32 v51, v51
	;; [unrolled: 1-line block ×4, first 2 shown]
	v_pk_mul_f32 v[44:45], v[58:59], v[44:45] op_sel_hi:[0,1]
	v_pk_mul_f32 v[46:47], v[58:59], v[46:47] op_sel_hi:[0,1]
	v_cvt_f16_f32_e32 v46, v46
	v_cvt_f16_f32_e32 v47, v47
	v_cvt_f16_f32_e32 v57, v44
	v_cvt_f16_f32_e32 v45, v45
	v_pack_b32_f16 v50, v50, v51
	v_pack_b32_f16 v51, v48, v49
	v_lshlrev_b32_e32 v49, 3, v1
	v_lshlrev_b32_e32 v48, 5, v53
	;; [unrolled: 1-line block ×3, first 2 shown]
	v_or3_b32 v44, v44, v48, v49
	v_pack_b32_f16 v46, v46, v47
	v_pack_b32_f16 v47, v57, v45
	v_pk_mul_f32 v[38:39], v[58:59], v[38:39] op_sel_hi:[0,1]
	v_pk_mul_f32 v[40:41], v[58:59], v[40:41] op_sel_hi:[0,1]
	v_pk_mul_f32 v[34:35], v[58:59], v[34:35] op_sel_hi:[0,1]
	v_pk_mul_f32 v[36:37], v[58:59], v[36:37] op_sel_hi:[0,1]
	ds_write2st64_b64 v44, v[50:51], v[46:47] offset1:1
	v_cvt_f16_f32_e32 v40, v40
	v_cvt_f16_f32_e32 v41, v41
	;; [unrolled: 1-line block ×8, first 2 shown]
	v_pack_b32_f16 v34, v40, v41
	v_pack_b32_f16 v35, v38, v39
	v_pack_b32_f16 v36, v36, v37
	v_pack_b32_f16 v37, v45, v46
	v_cmp_gt_u32_e32 vcc, 3, v0
	ds_write2st64_b64 v44, v[34:35], v[36:37] offset0:2 offset1:3
	s_and_saveexec_b64 s[2:3], vcc
	s_cbranch_execz .LBB74_19
; %bb.18:
	v_add_co_u32_e32 v36, vcc, s29, v53
	v_addc_co_u32_e64 v37, s[10:11], 0, 0, vcc
	v_mov_b32_e32 v34, s9
	v_mov_b32_e32 v35, 0
	v_mad_u64_u32 v[36:37], s[10:11], s6, v34, v[36:37]
	v_mov_b32_e32 v34, s28
	s_load_dwordx4 s[12:15], s[4:5], 0x58
	s_mul_i32 s7, s7, s9
	v_mad_u64_u32 v[34:35], s[10:11], v36, s8, v[34:35]
	v_add_u32_e32 v37, s7, v37
	v_mov_b32_e32 v36, v35
	v_mad_u64_u32 v[36:37], s[10:11], v37, s8, v[36:37]
	v_mov_b32_e32 v35, v36
	v_lshlrev_b64 v[34:35], 2, v[34:35]
	s_waitcnt lgkmcnt(0)
	v_mov_b32_e32 v37, s15
	v_add_co_u32_e32 v36, vcc, s14, v34
	v_addc_co_u32_e32 v37, vcc, v37, v35, vcc
	global_store_dword v[36:37], v55, off
	v_mov_b32_e32 v36, s13
	v_add_co_u32_e32 v34, vcc, s12, v34
	v_addc_co_u32_e32 v35, vcc, v36, v35, vcc
	global_store_dword v[34:35], v56, off
.LBB74_19:
	s_or_b64 exec, exec, s[2:3]
	v_lshl_or_b32 v45, v1, 9, v48
	s_waitcnt lgkmcnt(0)
	s_barrier
	ds_read_b128 v[34:37], v45
	ds_read_b128 v[38:41], v45 offset:16
	s_waitcnt vmcnt(7) lgkmcnt(1)
	v_mfma_f32_16x16x16f16 v[46:49], v[14:15], v[34:35], 0
	v_cmp_gt_u32_e32 vcc, 64, v0
	v_cmp_ne_u32_e64 s[2:3], 3, v1
	s_and_b64 s[2:3], s[2:3], vcc
	s_mov_b32 s7, 0
	s_and_b64 s[0:1], s[2:3], s[0:1]
	v_mfma_f32_16x16x16f16 v[14:17], v[16:17], v[36:37], v[46:49]
	s_waitcnt vmcnt(6) lgkmcnt(0)
	v_mfma_f32_16x16x16f16 v[14:17], v[10:11], v[38:39], v[14:17]
	v_mfma_f32_16x16x16f16 v[10:13], v[12:13], v[40:41], v[14:17]
	s_nop 7
	s_nop 1
	ds_read_b128 v[14:17], v45 offset:2048
	ds_read_b128 v[34:37], v45 offset:2064
	s_waitcnt vmcnt(5) lgkmcnt(1)
	v_mfma_f32_16x16x16f16 v[10:13], v[6:7], v[14:15], v[10:13]
	v_mfma_f32_16x16x16f16 v[6:9], v[8:9], v[16:17], v[10:13]
	s_waitcnt vmcnt(4) lgkmcnt(0)
	v_mfma_f32_16x16x16f16 v[6:9], v[2:3], v[34:35], v[6:9]
	v_mfma_f32_16x16x16f16 v[2:5], v[4:5], v[36:37], v[6:9]
	s_nop 7
	s_nop 1
	ds_read_b128 v[6:9], v45 offset:4096
	ds_read_b128 v[10:13], v45 offset:4112
	s_waitcnt vmcnt(3) lgkmcnt(1)
	v_mfma_f32_16x16x16f16 v[2:5], v[30:31], v[6:7], v[2:5]
	v_mfma_f32_16x16x16f16 v[2:5], v[32:33], v[8:9], v[2:5]
	s_waitcnt vmcnt(2) lgkmcnt(0)
	v_mfma_f32_16x16x16f16 v[2:5], v[22:23], v[10:11], v[2:5]
	v_mfma_f32_16x16x16f16 v[2:5], v[24:25], v[12:13], v[2:5]
	ds_read_b128 v[6:9], v45 offset:6144
	ds_read_b128 v[10:13], v45 offset:6160
	s_waitcnt lgkmcnt(0)
	s_barrier
	s_waitcnt vmcnt(1)
	v_mfma_f32_16x16x16f16 v[2:5], v[26:27], v[6:7], v[2:5]
	v_mfma_f32_16x16x16f16 v[2:5], v[28:29], v[8:9], v[2:5]
	s_waitcnt vmcnt(0)
	v_mfma_f32_16x16x16f16 v[2:5], v[18:19], v[10:11], v[2:5]
	v_mfma_f32_16x16x16f16 v[2:5], v[20:21], v[12:13], v[2:5]
	s_nop 7
	s_nop 2
	v_cvt_f16_f32_e32 v2, v2
	v_cvt_f16_f32_e32 v3, v3
	;; [unrolled: 1-line block ×4, first 2 shown]
	v_pack_b32_f16 v2, v2, v3
	v_pack_b32_f16 v3, v4, v5
	ds_write_b64 v44, v[2:3]
	s_waitcnt lgkmcnt(0)
	s_barrier
	s_and_saveexec_b64 s[2:3], s[0:1]
	s_cbranch_execz .LBB74_21
; %bb.20:
	s_load_dwordx2 s[0:1], s[4:5], 0x68
	s_mul_i32 s2, s9, s6
	s_lshl_b32 s4, s8, 6
	s_mul_hi_u32 s3, s2, s4
	s_mul_i32 s2, s2, s4
	s_lshl_b64 s[2:3], s[2:3], 1
	s_waitcnt lgkmcnt(0)
	s_add_u32 s2, s0, s2
	s_addc_u32 s3, s1, s3
	s_lshl_b32 s6, s28, 6
	v_lshlrev_b32_e32 v2, 10, v0
	v_lshlrev_b32_e32 v0, 4, v0
	s_lshl_b64 s[0:1], s[6:7], 1
	v_and_b32_e32 v2, 0x1800, v2
	v_lshlrev_b32_e32 v1, 5, v1
	v_and_b32_e32 v0, 16, v0
	s_add_u32 s2, s2, s0
	v_or3_b32 v0, v2, v1, v0
	s_addc_u32 s3, s3, s1
	v_mad_u64_u32 v[4:5], s[0:1], s4, v52, 0
	ds_read_b128 v[0:3], v0
	v_lshlrev_b64 v[4:5], 1, v[4:5]
	v_mov_b32_e32 v6, s3
	v_add_co_u32_e32 v4, vcc, s2, v4
	v_addc_co_u32_e32 v5, vcc, v6, v5, vcc
	v_add_co_u32_e32 v4, vcc, v4, v42
	v_addc_co_u32_e32 v5, vcc, v5, v43, vcc
	s_waitcnt lgkmcnt(0)
	global_store_dwordx4 v[4:5], v[0:3], off
.LBB74_21:
	s_endpgm
	.section	.rodata,"a",@progbits
	.p2align	6, 0x0
	.amdhsa_kernel _Z39paged_attention_ll4mi_QKV_mfma16_kernelIDF16_DF16_LN4vllm18Fp8KVCacheDataTypeE0EDF16_Li32ELi64ELi256ELb1ELi3EL8MFMAType0EEvPKT_PKT0_S8_ifPKiSA_SA_iPKfiiiPfSD_PS3_PT2_iSC_SC_
		.amdhsa_group_segment_fixed_size 8192
		.amdhsa_private_segment_fixed_size 0
		.amdhsa_kernarg_size 400
		.amdhsa_user_sgpr_count 6
		.amdhsa_user_sgpr_private_segment_buffer 1
		.amdhsa_user_sgpr_dispatch_ptr 0
		.amdhsa_user_sgpr_queue_ptr 0
		.amdhsa_user_sgpr_kernarg_segment_ptr 1
		.amdhsa_user_sgpr_dispatch_id 0
		.amdhsa_user_sgpr_flat_scratch_init 0
		.amdhsa_user_sgpr_kernarg_preload_length 0
		.amdhsa_user_sgpr_kernarg_preload_offset 0
		.amdhsa_user_sgpr_private_segment_size 0
		.amdhsa_uses_dynamic_stack 0
		.amdhsa_system_sgpr_private_segment_wavefront_offset 0
		.amdhsa_system_sgpr_workgroup_id_x 1
		.amdhsa_system_sgpr_workgroup_id_y 1
		.amdhsa_system_sgpr_workgroup_id_z 1
		.amdhsa_system_sgpr_workgroup_info 0
		.amdhsa_system_vgpr_workitem_id 0
		.amdhsa_next_free_vgpr 67
		.amdhsa_next_free_sgpr 48
		.amdhsa_accum_offset 68
		.amdhsa_reserve_vcc 1
		.amdhsa_reserve_flat_scratch 0
		.amdhsa_float_round_mode_32 0
		.amdhsa_float_round_mode_16_64 0
		.amdhsa_float_denorm_mode_32 3
		.amdhsa_float_denorm_mode_16_64 3
		.amdhsa_dx10_clamp 1
		.amdhsa_ieee_mode 1
		.amdhsa_fp16_overflow 0
		.amdhsa_tg_split 0
		.amdhsa_exception_fp_ieee_invalid_op 0
		.amdhsa_exception_fp_denorm_src 0
		.amdhsa_exception_fp_ieee_div_zero 0
		.amdhsa_exception_fp_ieee_overflow 0
		.amdhsa_exception_fp_ieee_underflow 0
		.amdhsa_exception_fp_ieee_inexact 0
		.amdhsa_exception_int_div_zero 0
	.end_amdhsa_kernel
	.section	.text._Z39paged_attention_ll4mi_QKV_mfma16_kernelIDF16_DF16_LN4vllm18Fp8KVCacheDataTypeE0EDF16_Li32ELi64ELi256ELb1ELi3EL8MFMAType0EEvPKT_PKT0_S8_ifPKiSA_SA_iPKfiiiPfSD_PS3_PT2_iSC_SC_,"axG",@progbits,_Z39paged_attention_ll4mi_QKV_mfma16_kernelIDF16_DF16_LN4vllm18Fp8KVCacheDataTypeE0EDF16_Li32ELi64ELi256ELb1ELi3EL8MFMAType0EEvPKT_PKT0_S8_ifPKiSA_SA_iPKfiiiPfSD_PS3_PT2_iSC_SC_,comdat
.Lfunc_end74:
	.size	_Z39paged_attention_ll4mi_QKV_mfma16_kernelIDF16_DF16_LN4vllm18Fp8KVCacheDataTypeE0EDF16_Li32ELi64ELi256ELb1ELi3EL8MFMAType0EEvPKT_PKT0_S8_ifPKiSA_SA_iPKfiiiPfSD_PS3_PT2_iSC_SC_, .Lfunc_end74-_Z39paged_attention_ll4mi_QKV_mfma16_kernelIDF16_DF16_LN4vllm18Fp8KVCacheDataTypeE0EDF16_Li32ELi64ELi256ELb1ELi3EL8MFMAType0EEvPKT_PKT0_S8_ifPKiSA_SA_iPKfiiiPfSD_PS3_PT2_iSC_SC_
                                        ; -- End function
	.section	.AMDGPU.csdata,"",@progbits
; Kernel info:
; codeLenInByte = 4340
; NumSgprs: 52
; NumVgprs: 67
; NumAgprs: 0
; TotalNumVgprs: 67
; ScratchSize: 0
; MemoryBound: 0
; FloatMode: 240
; IeeeMode: 1
; LDSByteSize: 8192 bytes/workgroup (compile time only)
; SGPRBlocks: 6
; VGPRBlocks: 8
; NumSGPRsForWavesPerEU: 52
; NumVGPRsForWavesPerEU: 67
; AccumOffset: 68
; Occupancy: 7
; WaveLimiterHint : 1
; COMPUTE_PGM_RSRC2:SCRATCH_EN: 0
; COMPUTE_PGM_RSRC2:USER_SGPR: 6
; COMPUTE_PGM_RSRC2:TRAP_HANDLER: 0
; COMPUTE_PGM_RSRC2:TGID_X_EN: 1
; COMPUTE_PGM_RSRC2:TGID_Y_EN: 1
; COMPUTE_PGM_RSRC2:TGID_Z_EN: 1
; COMPUTE_PGM_RSRC2:TIDIG_COMP_CNT: 0
; COMPUTE_PGM_RSRC3_GFX90A:ACCUM_OFFSET: 16
; COMPUTE_PGM_RSRC3_GFX90A:TG_SPLIT: 0
	.section	.text._Z39paged_attention_ll4mi_QKV_mfma16_kernelIDF16_DF16_LN4vllm18Fp8KVCacheDataTypeE0EDF16_Li32ELi64ELi256ELb1ELi4EL8MFMAType0EEvPKT_PKT0_S8_ifPKiSA_SA_iPKfiiiPfSD_PS3_PT2_iSC_SC_,"axG",@progbits,_Z39paged_attention_ll4mi_QKV_mfma16_kernelIDF16_DF16_LN4vllm18Fp8KVCacheDataTypeE0EDF16_Li32ELi64ELi256ELb1ELi4EL8MFMAType0EEvPKT_PKT0_S8_ifPKiSA_SA_iPKfiiiPfSD_PS3_PT2_iSC_SC_,comdat
	.protected	_Z39paged_attention_ll4mi_QKV_mfma16_kernelIDF16_DF16_LN4vllm18Fp8KVCacheDataTypeE0EDF16_Li32ELi64ELi256ELb1ELi4EL8MFMAType0EEvPKT_PKT0_S8_ifPKiSA_SA_iPKfiiiPfSD_PS3_PT2_iSC_SC_ ; -- Begin function _Z39paged_attention_ll4mi_QKV_mfma16_kernelIDF16_DF16_LN4vllm18Fp8KVCacheDataTypeE0EDF16_Li32ELi64ELi256ELb1ELi4EL8MFMAType0EEvPKT_PKT0_S8_ifPKiSA_SA_iPKfiiiPfSD_PS3_PT2_iSC_SC_
	.globl	_Z39paged_attention_ll4mi_QKV_mfma16_kernelIDF16_DF16_LN4vllm18Fp8KVCacheDataTypeE0EDF16_Li32ELi64ELi256ELb1ELi4EL8MFMAType0EEvPKT_PKT0_S8_ifPKiSA_SA_iPKfiiiPfSD_PS3_PT2_iSC_SC_
	.p2align	8
	.type	_Z39paged_attention_ll4mi_QKV_mfma16_kernelIDF16_DF16_LN4vllm18Fp8KVCacheDataTypeE0EDF16_Li32ELi64ELi256ELb1ELi4EL8MFMAType0EEvPKT_PKT0_S8_ifPKiSA_SA_iPKfiiiPfSD_PS3_PT2_iSC_SC_,@function
_Z39paged_attention_ll4mi_QKV_mfma16_kernelIDF16_DF16_LN4vllm18Fp8KVCacheDataTypeE0EDF16_Li32ELi64ELi256ELb1ELi4EL8MFMAType0EEvPKT_PKT0_S8_ifPKiSA_SA_iPKfiiiPfSD_PS3_PT2_iSC_SC_: ; @_Z39paged_attention_ll4mi_QKV_mfma16_kernelIDF16_DF16_LN4vllm18Fp8KVCacheDataTypeE0EDF16_Li32ELi64ELi256ELb1ELi4EL8MFMAType0EEvPKT_PKT0_S8_ifPKiSA_SA_iPKfiiiPfSD_PS3_PT2_iSC_SC_
; %bb.0:
	s_load_dwordx2 s[0:1], s[4:5], 0x30
	s_mov_b32 s26, s7
	s_mov_b64 s[10:11], 0
	s_waitcnt lgkmcnt(0)
	s_cmp_lg_u64 s[0:1], 0
	s_cselect_b64 s[2:3], -1, 0
	s_and_b64 vcc, exec, s[2:3]
	s_cbranch_vccz .LBB75_7
; %bb.1:
	s_add_i32 s12, s6, 1
	s_mov_b32 s13, 0
	s_lshl_b64 s[14:15], s[12:13], 2
	s_add_u32 s14, s0, s14
	s_mov_b32 s7, s13
	s_addc_u32 s15, s1, s15
	s_lshl_b64 s[12:13], s[6:7], 2
	s_add_u32 s12, s0, s12
	s_addc_u32 s13, s1, s13
	s_load_dword s9, s[14:15], 0x0
	s_load_dword s16, s[12:13], 0x0
	s_waitcnt lgkmcnt(0)
	s_sub_i32 s9, s9, s16
	s_cmp_eq_u32 s9, 1
	s_cselect_b64 s[12:13], -1, 0
	s_andn2_b64 vcc, exec, s[10:11]
	s_cbranch_vccnz .LBB75_3
.LBB75_2:
	s_mov_b32 s7, 0
	s_mov_b64 s[12:13], -1
.LBB75_3:
	s_andn2_b64 vcc, exec, s[12:13]
	s_cbranch_vccnz .LBB75_21
; %bb.4:
	s_load_dwordx2 s[12:13], s[4:5], 0x28
	s_lshl_b64 s[10:11], s[6:7], 2
	s_waitcnt lgkmcnt(0)
	s_add_u32 s12, s12, s10
	s_addc_u32 s13, s13, s11
	s_load_dword s33, s[12:13], 0x0
	s_lshl_b32 s12, s26, 8
	s_waitcnt lgkmcnt(0)
	s_cmp_ge_i32 s12, s33
	s_cbranch_scc1 .LBB75_21
; %bb.5:
	s_add_i32 s13, s33, 31
	s_load_dwordx2 s[16:17], s[4:5], 0x20
	s_load_dword s9, s[4:5], 0x38
	s_ashr_i32 s14, s13, 31
	v_and_b32_e32 v1, 0xcf, v0
	s_lshr_b32 s14, s14, 27
	v_add_u32_e32 v1, s12, v1
	s_add_i32 s13, s13, s14
	v_ashrrev_i32_e32 v2, 31, v1
	s_ashr_i32 s15, s13, 5
	v_lshrrev_b32_e32 v6, 27, v2
	s_add_i32 s15, s15, -1
	v_add_u32_e32 v2, v1, v6
	s_waitcnt lgkmcnt(0)
	s_mul_i32 s18, s6, s9
	s_mov_b32 s19, 0
	v_ashrrev_i32_e32 v2, 5, v2
	v_mov_b32_e32 v7, s15
	v_cmp_gt_i32_e32 vcc, s33, v1
	s_lshl_b64 s[18:19], s[18:19], 2
	v_cndmask_b32_e32 v2, v7, v2, vcc
	s_add_u32 s13, s16, s18
	v_ashrrev_i32_e32 v3, 31, v2
	s_addc_u32 s14, s17, s19
	v_lshlrev_b64 v[2:3], 2, v[2:3]
	v_mov_b32_e32 v4, s14
	v_add_co_u32_e32 v2, vcc, s13, v2
	v_addc_co_u32_e32 v3, vcc, v4, v3, vcc
	v_or_b32_e32 v4, 16, v1
	v_add_u32_e32 v5, v4, v6
	v_ashrrev_i32_e32 v5, 5, v5
	v_cmp_gt_i32_e32 vcc, s33, v4
	v_cndmask_b32_e32 v4, v7, v5, vcc
	v_ashrrev_i32_e32 v5, 31, v4
	v_lshlrev_b64 v[4:5], 2, v[4:5]
	v_mov_b32_e32 v9, s14
	v_add_co_u32_e32 v8, vcc, s13, v4
	v_or_b32_e32 v4, 32, v1
	v_addc_co_u32_e32 v9, vcc, v9, v5, vcc
	v_add_u32_e32 v5, v4, v6
	v_ashrrev_i32_e32 v5, 5, v5
	v_cmp_gt_i32_e32 vcc, s33, v4
	v_cndmask_b32_e32 v4, v7, v5, vcc
	v_ashrrev_i32_e32 v5, 31, v4
	v_lshlrev_b64 v[4:5], 2, v[4:5]
	v_mov_b32_e32 v11, s14
	v_add_co_u32_e32 v10, vcc, s13, v4
	v_or_b32_e32 v1, 48, v1
	v_addc_co_u32_e32 v11, vcc, v11, v5, vcc
	v_add_u32_e32 v4, v1, v6
	v_ashrrev_i32_e32 v4, 5, v4
	v_cmp_gt_i32_e32 vcc, s33, v1
	v_cndmask_b32_e32 v4, v7, v4, vcc
	v_ashrrev_i32_e32 v5, 31, v4
	v_lshlrev_b64 v[4:5], 2, v[4:5]
	v_mov_b32_e32 v1, s14
	v_add_co_u32_e32 v12, vcc, s13, v4
	v_addc_co_u32_e32 v13, vcc, v1, v5, vcc
	global_load_dword v7, v[2:3], off
	global_load_dword v6, v[8:9], off
	;; [unrolled: 1-line block ×4, first 2 shown]
	s_andn2_b64 vcc, exec, s[2:3]
	s_cbranch_vccnz .LBB75_8
; %bb.6:
	s_add_u32 s0, s0, s10
	s_addc_u32 s1, s1, s11
	s_load_dword s9, s[0:1], 0x0
	s_branch .LBB75_9
.LBB75_7:
	s_mov_b64 s[12:13], 0
	s_branch .LBB75_2
.LBB75_8:
	s_mov_b32 s9, s6
.LBB75_9:
	s_load_dwordx2 s[10:11], s[4:5], 0x8
	s_load_dwordx4 s[40:43], s[4:5], 0x48
	v_and_b32_e32 v54, 15, v0
	v_cmp_gt_u32_e32 vcc, 64, v0
	v_cmp_gt_u32_e64 s[0:1], 8, v54
	s_and_b64 s[44:45], vcc, s[0:1]
	v_bfe_u32 v53, v0, 4, 2
	s_lshl_b32 s27, s8, 2
	v_lshlrev_b32_e32 v2, 3, v54
	s_xor_b64 s[0:1], s[44:45], -1
	s_and_saveexec_b64 s[2:3], s[0:1]
	s_xor_b64 s[0:1], exec, s[2:3]
; %bb.10:
	v_mov_b32_e32 v3, 0
; %bb.11:
	s_or_saveexec_b64 s[2:3], s[0:1]
	s_load_dwordx2 s[0:1], s[4:5], 0x10
	v_lshrrev_b32_e32 v55, 6, v0
	v_or_b32_e32 v1, s27, v53
	v_and_b32_e32 v22, 3, v0
	v_lshlrev_b32_e32 v52, 5, v53
	s_xor_b64 exec, exec, s[2:3]
	s_cbranch_execz .LBB75_13
; %bb.12:
	s_load_dwordx2 s[16:17], s[4:5], 0x0
	s_waitcnt lgkmcnt(0)
	s_ashr_i32 s18, s40, 31
	s_mul_hi_u32 s19, s9, s40
	s_mul_i32 s18, s9, s18
	s_add_i32 s19, s19, s18
	s_mul_i32 s18, s9, s40
	s_lshl_b64 s[18:19], s[18:19], 1
	v_lshlrev_b32_e32 v8, 6, v1
	s_add_u32 s9, s16, s18
	v_ashrrev_i32_e32 v9, 31, v8
	s_addc_u32 s16, s17, s19
	v_lshlrev_b64 v[8:9], 1, v[8:9]
	v_mov_b32_e32 v3, s16
	v_add_co_u32_e32 v8, vcc, s9, v8
	v_addc_co_u32_e32 v3, vcc, v3, v9, vcc
	v_lshlrev_b32_e32 v9, 1, v2
	v_add_co_u32_e32 v8, vcc, v8, v9
	v_addc_co_u32_e32 v9, vcc, 0, v3, vcc
	global_load_dwordx4 v[8:11], v[8:9], off
	v_lshlrev_b32_e32 v14, 9, v54
	v_lshl_or_b32 v12, v55, 7, v52
	v_lshlrev_b32_e32 v13, 9, v22
	v_and_b32_e32 v14, 0x1800, v14
	v_mov_b32_e32 v3, 0
	v_or3_b32 v12, v14, v13, v12
	s_waitcnt vmcnt(0)
	ds_write_b128 v12, v[8:11]
.LBB75_13:
	s_or_b64 exec, exec, s[2:3]
	s_waitcnt lgkmcnt(0)
	s_mul_i32 s2, s8, s42
	s_mov_b32 s3, 0
	s_lshl_b64 s[2:3], s[2:3], 1
	s_add_u32 s10, s10, s2
	s_waitcnt vmcnt(3)
	v_mad_i64_i32 v[8:9], s[8:9], v7, s41, 0
	s_addc_u32 s11, s11, s3
	v_lshlrev_b64 v[8:9], 1, v[8:9]
	v_mov_b32_e32 v7, s11
	v_add_co_u32_e32 v8, vcc, s10, v8
	v_addc_co_u32_e32 v7, vcc, v7, v9, vcc
	v_lshlrev_b64 v[42:43], 1, v[2:3]
	v_add_co_u32_e32 v2, vcc, v8, v42
	v_lshlrev_b32_e32 v23, 9, v53
	v_addc_co_u32_e32 v3, vcc, v7, v43, vcc
	v_add_co_u32_e32 v2, vcc, v2, v23
	v_addc_co_u32_e32 v3, vcc, 0, v3, vcc
	s_barrier
	global_load_dwordx4 v[38:41], v[2:3], off
	global_load_dwordx4 v[34:37], v[2:3], off offset:2048
	s_waitcnt vmcnt(4)
	v_mad_i64_i32 v[2:3], s[8:9], v6, s41, 0
	v_lshlrev_b64 v[2:3], 1, v[2:3]
	v_mov_b32_e32 v6, s11
	v_add_co_u32_e32 v2, vcc, s10, v2
	v_addc_co_u32_e32 v3, vcc, v6, v3, vcc
	v_mov_b32_e32 v6, 0x100
	v_lshl_or_b32 v18, v54, 4, v6
	v_add_co_u32_e32 v2, vcc, v2, v18
	v_addc_co_u32_e32 v3, vcc, 0, v3, vcc
	v_add_co_u32_e32 v2, vcc, v2, v23
	v_addc_co_u32_e32 v3, vcc, 0, v3, vcc
	global_load_dwordx4 v[30:33], v[2:3], off
	global_load_dwordx4 v[14:17], v[2:3], off offset:2048
	s_waitcnt vmcnt(5)
	v_mad_i64_i32 v[2:3], s[8:9], v5, s41, 0
	v_lshlrev_b64 v[2:3], 1, v[2:3]
	v_mov_b32_e32 v5, s11
	v_add_co_u32_e32 v2, vcc, s10, v2
	v_addc_co_u32_e32 v3, vcc, v5, v3, vcc
	v_add_co_u32_e32 v2, vcc, v2, v42
	v_addc_co_u32_e32 v3, vcc, v3, v43, vcc
	;; [unrolled: 2-line block ×3, first 2 shown]
	global_load_dwordx4 v[10:13], v[2:3], off
	global_load_dwordx4 v[6:9], v[2:3], off offset:2048
	s_waitcnt vmcnt(6)
	v_mad_i64_i32 v[2:3], s[8:9], v4, s41, 0
	v_lshlrev_b64 v[2:3], 1, v[2:3]
	v_mov_b32_e32 v4, s11
	v_add_co_u32_e32 v2, vcc, s10, v2
	v_addc_co_u32_e32 v3, vcc, v4, v3, vcc
	v_add_co_u32_e32 v2, vcc, v2, v18
	v_addc_co_u32_e32 v3, vcc, 0, v3, vcc
	;; [unrolled: 2-line block ×3, first 2 shown]
	global_load_dwordx4 v[2:5], v[24:25], off
	global_load_dwordx4 v[18:21], v[24:25], off offset:2048
	v_lshl_or_b32 v22, v22, 5, v23
	ds_read_b128 v[26:29], v22
	ds_read_b128 v[22:25], v22 offset:2048
	v_and_b32_e32 v56, 63, v0
	v_cmp_gt_u32_e32 vcc, 4, v54
	v_mov_b32_e32 v50, 0
	s_and_saveexec_b64 s[8:9], vcc
	s_cbranch_execz .LBB75_15
; %bb.14:
	s_load_dwordx2 s[10:11], s[4:5], 0x40
	v_or_b32_e32 v44, s27, v54
	v_ashrrev_i32_e32 v45, 31, v44
	v_lshlrev_b64 v[44:45], 2, v[44:45]
	s_waitcnt lgkmcnt(0)
	v_mov_b32_e32 v46, s11
	v_add_co_u32_e32 v44, vcc, s10, v44
	v_addc_co_u32_e32 v45, vcc, v46, v45, vcc
	global_load_dword v50, v[44:45], off
.LBB75_15:
	s_or_b64 exec, exec, s[8:9]
	s_waitcnt vmcnt(7) lgkmcnt(1)
	v_mfma_f32_16x16x16f16 v[44:47], v[38:39], v[26:27], 0
	s_ashr_i32 s8, s12, 31
	s_lshr_b32 s9, s8, 27
	v_mov_b32_e32 v49, s14
	s_add_u32 s0, s0, s2
	s_addc_u32 s1, s1, s3
	s_load_dword s8, s[4:5], 0x1c
	s_mov_b32 s40, 0xff7fffff
	v_mfma_f32_16x16x16f16 v[38:41], v[40:41], v[28:29], v[44:47]
	s_waitcnt vmcnt(6) lgkmcnt(0)
	v_mfma_f32_16x16x16f16 v[38:41], v[34:35], v[22:23], v[38:41]
	s_nop 4
	v_and_or_b32 v46, v0, 48, s12
	v_add_u32_e32 v34, s9, v46
	v_ashrrev_i32_e32 v34, 5, v34
	v_mov_b32_e32 v47, s15
	v_cmp_gt_i32_e32 vcc, s33, v46
	v_cndmask_b32_e32 v34, v47, v34, vcc
	v_ashrrev_i32_e32 v35, 31, v34
	v_lshlrev_b64 v[44:45], 2, v[34:35]
	v_mfma_f32_16x16x16f16 v[34:37], v[36:37], v[24:25], v[38:41]
	s_nop 6
	v_mov_b32_e32 v39, s14
	v_add_co_u32_e32 v38, vcc, s13, v44
	v_addc_co_u32_e32 v39, vcc, v39, v45, vcc
	global_load_dword v48, v[38:39], off
	s_waitcnt vmcnt(6)
	v_mfma_f32_16x16x16f16 v[38:41], v[30:31], v[26:27], 0
	v_or_b32_e32 v44, 64, v46
	v_add_u32_e32 v30, s9, v44
	v_ashrrev_i32_e32 v30, 5, v30
	v_cmp_gt_i32_e32 vcc, s33, v44
	v_cndmask_b32_e32 v30, v47, v30, vcc
	v_ashrrev_i32_e32 v31, 31, v30
	v_lshlrev_b64 v[44:45], 2, v[30:31]
	v_mfma_f32_16x16x16f16 v[30:33], v[32:33], v[28:29], v[38:41]
	s_nop 6
	v_add_co_u32_e32 v38, vcc, s13, v44
	v_addc_co_u32_e32 v39, vcc, v49, v45, vcc
	global_load_dword v40, v[38:39], off
	v_or_b32_e32 v38, 0x80, v46
	v_add_u32_e32 v39, s9, v38
	v_ashrrev_i32_e32 v39, 5, v39
	v_cmp_gt_i32_e32 vcc, s33, v38
	v_cndmask_b32_e32 v38, v47, v39, vcc
	v_ashrrev_i32_e32 v39, 31, v38
	s_waitcnt vmcnt(6)
	v_mfma_f32_16x16x16f16 v[30:33], v[14:15], v[22:23], v[30:33]
	v_lshlrev_b64 v[14:15], 2, v[38:39]
	v_mov_b32_e32 v38, s14
	v_add_co_u32_e32 v14, vcc, s13, v14
	v_addc_co_u32_e32 v15, vcc, v38, v15, vcc
	global_load_dword v41, v[14:15], off
	v_mfma_f32_16x16x16f16 v[30:33], v[16:17], v[24:25], v[30:33]
	v_or_b32_e32 v38, 0xc0, v46
	v_cmp_gt_i32_e32 vcc, s33, v38
	v_mov_b32_e32 v44, s14
	s_waitcnt vmcnt(6)
	v_mfma_f32_16x16x16f16 v[14:17], v[10:11], v[26:27], 0
	v_add_u32_e32 v10, s9, v38
	v_ashrrev_i32_e32 v10, 5, v10
	v_cndmask_b32_e32 v10, v47, v10, vcc
	v_ashrrev_i32_e32 v11, 31, v10
	v_lshlrev_b64 v[38:39], 2, v[10:11]
	s_nop 0
	v_pk_mul_f32 v[46:47], s[8:9], v[30:31] op_sel_hi:[0,1]
	v_mfma_f32_16x16x16f16 v[10:13], v[12:13], v[28:29], v[14:17]
	s_nop 6
	v_add_co_u32_e32 v14, vcc, s13, v38
	s_waitcnt vmcnt(5)
	v_mfma_f32_16x16x16f16 v[10:13], v[6:7], v[22:23], v[10:13]
	v_addc_co_u32_e32 v15, vcc, v44, v39, vcc
	global_load_dword v51, v[14:15], off
	v_and_b32_e32 v14, 16, v0
	v_lshlrev_b32_e32 v14, 1, v14
	v_mov_b32_e32 v6, s1
	v_add_co_u32_e32 v7, vcc, s0, v14
	v_lshlrev_b32_e32 v14, 6, v54
	v_addc_co_u32_e32 v6, vcc, 0, v6, vcc
	v_lshl_or_b32 v14, v55, 10, v14
	v_add_co_u32_e32 v57, vcc, v7, v14
	v_addc_co_u32_e32 v62, vcc, 0, v6, vcc
	v_mfma_f32_16x16x16f16 v[58:61], v[8:9], v[24:25], v[10:13]
	s_waitcnt vmcnt(3)
	v_mad_i64_i32 v[6:7], s[0:1], v48, s41, 0
	v_pk_mul_f32 v[48:49], s[8:9], v[36:37] op_sel_hi:[0,1]
	v_pk_mul_f32 v[44:45], s[8:9], v[32:33] op_sel_hi:[0,1]
	s_waitcnt vmcnt(1)
	v_mad_i64_i32 v[38:39], s[0:1], v41, s41, 0
	s_nop 0
	v_lshlrev_b64 v[10:11], 1, v[6:7]
	v_mfma_f32_16x16x16f16 v[6:9], v[2:3], v[26:27], 0
	v_add_co_u32_e32 v2, vcc, v57, v10
	v_addc_co_u32_e32 v3, vcc, v62, v11, vcc
	global_load_dwordx4 v[14:17], v[2:3], off
	global_load_dwordx4 v[10:13], v[2:3], off offset:16
	v_mad_i64_i32 v[2:3], s[0:1], v40, s41, 0
	v_mfma_f32_16x16x16f16 v[26:29], v[4:5], v[28:29], v[6:9]
	v_lshlrev_b64 v[2:3], 1, v[2:3]
	v_add_co_u32_e32 v2, vcc, v57, v2
	v_addc_co_u32_e32 v3, vcc, v62, v3, vcc
	v_lshlrev_b64 v[38:39], 1, v[38:39]
	v_pk_mul_f32 v[40:41], s[8:9], v[58:59] op_sel_hi:[0,1]
	v_mfma_f32_16x16x16f16 v[26:29], v[18:19], v[22:23], v[26:29]
	v_pk_mul_f32 v[18:19], s[8:9], v[34:35] op_sel_hi:[0,1]
	v_add_co_u32_e32 v22, vcc, v57, v38
	v_addc_co_u32_e32 v23, vcc, v62, v39, vcc
	v_pk_mul_f32 v[38:39], s[8:9], v[60:61] op_sel_hi:[0,1]
	global_load_dwordx4 v[6:9], v[2:3], off
	s_nop 0
	global_load_dwordx4 v[2:5], v[2:3], off offset:16
	v_mfma_f32_16x16x16f16 v[24:27], v[20:21], v[24:25], v[26:29]
	v_and_b32_e32 v20, 0xc0, v0
	v_add_u32_e32 v20, s12, v20
	v_lshl_or_b32 v20, v53, 2, v20
	v_or_b32_e32 v21, 1, v20
	v_cmp_gt_i32_e64 s[28:29], s33, v20
	v_cmp_gt_i32_e64 s[30:31], s33, v21
	s_nop 4
	v_pk_mul_f32 v[36:37], s[8:9], v[24:25] op_sel_hi:[0,1]
	v_subrev_u32_e32 v24, s33, v21
	v_pk_mul_f32 v[34:35], s[8:9], v[26:27] op_sel_hi:[0,1]
	v_add_u32_e32 v26, 1, v24
	v_add_u32_e32 v27, 2, v24
	v_cvt_f32_i32_e32 v25, v24
	v_cvt_f32_i32_e32 v26, v26
	;; [unrolled: 1-line block ×3, first 2 shown]
	v_add_u32_e32 v28, 3, v24
	v_fma_f32 v18, v50, v25, v18
	v_fmac_f32_e32 v19, v50, v26
	v_fma_f32 v48, v50, v27, v48
	v_add_u32_e32 v25, 16, v24
	v_add_u32_e32 v26, 17, v24
	;; [unrolled: 1-line block ×3, first 2 shown]
	v_cvt_f32_i32_e32 v28, v28
	v_cvt_f32_i32_e32 v25, v25
	;; [unrolled: 1-line block ×4, first 2 shown]
	v_fmac_f32_e32 v49, v50, v28
	v_add_u32_e32 v28, 19, v24
	v_fma_f32 v46, v50, v25, v46
	v_fmac_f32_e32 v47, v50, v26
	v_fma_f32 v44, v50, v27, v44
	v_add_u32_e32 v25, 32, v24
	v_add_u32_e32 v26, 33, v24
	v_add_u32_e32 v27, 34, v24
	v_cvt_f32_i32_e32 v28, v28
	v_cvt_f32_i32_e32 v25, v25
	;; [unrolled: 1-line block ×4, first 2 shown]
	v_fmac_f32_e32 v45, v50, v28
	v_add_u32_e32 v28, 35, v24
	v_fma_f32 v40, v50, v25, v40
	v_fmac_f32_e32 v41, v50, v26
	v_fma_f32 v38, v50, v27, v38
	v_add_u32_e32 v25, 48, v24
	v_add_u32_e32 v26, 49, v24
	;; [unrolled: 1-line block ×4, first 2 shown]
	v_cvt_f32_i32_e32 v24, v24
	v_cvt_f32_i32_e32 v25, v25
	;; [unrolled: 1-line block ×4, first 2 shown]
	v_fmac_f32_e32 v35, v50, v24
	v_mov_b32_e32 v24, 0xff7fffff
	v_fma_f32 v36, v50, v25, v36
	v_cndmask_b32_e64 v25, v24, v18, s[28:29]
	v_cndmask_b32_e64 v21, v24, v19, s[30:31]
	v_fmac_f32_e32 v37, v50, v26
	v_max3_f32 v21, v25, s40, v21
	v_or_b32_e32 v25, 2, v20
	v_or_b32_e32 v26, 3, v20
	v_cmp_gt_i32_e64 s[34:35], s33, v25
	v_cmp_gt_i32_e64 s[36:37], s33, v26
	v_cndmask_b32_e64 v25, v24, v48, s[34:35]
	v_cndmask_b32_e64 v26, v24, v49, s[36:37]
	v_max3_f32 v21, v21, v25, v26
	v_or_b32_e32 v25, 16, v20
	v_or_b32_e32 v26, 17, v20
	v_cmp_gt_i32_e64 s[22:23], s33, v25
	v_cmp_gt_i32_e64 s[24:25], s33, v26
	v_cndmask_b32_e64 v25, v24, v46, s[22:23]
	v_cndmask_b32_e64 v26, v24, v47, s[24:25]
	;; [unrolled: 7-line block ×4, first 2 shown]
	v_max3_f32 v21, v21, v25, v26
	v_or_b32_e32 v25, 34, v20
	v_or_b32_e32 v26, 35, v20
	v_fmac_f32_e32 v39, v50, v28
	v_cmp_gt_i32_e64 s[10:11], s33, v25
	v_cmp_gt_i32_e64 s[12:13], s33, v26
	v_cndmask_b32_e64 v25, v24, v38, s[10:11]
	v_cndmask_b32_e64 v26, v24, v39, s[12:13]
	v_cvt_f32_i32_e32 v27, v27
	v_max3_f32 v21, v21, v25, v26
	v_or_b32_e32 v25, 48, v20
	v_or_b32_e32 v26, 49, v20
	v_cmp_gt_i32_e64 s[2:3], s33, v25
	v_cmp_gt_i32_e64 s[8:9], s33, v26
	v_cndmask_b32_e64 v25, v24, v36, s[2:3]
	v_cndmask_b32_e64 v26, v24, v37, s[8:9]
	v_max3_f32 v21, v21, v25, v26
	v_or_b32_e32 v25, 50, v20
	v_or_b32_e32 v20, 51, v20
	v_fma_f32 v34, v50, v27, v34
	v_cmp_gt_i32_e32 vcc, s33, v25
	v_cmp_gt_i32_e64 s[0:1], s33, v20
	v_cndmask_b32_e32 v25, v24, v34, vcc
	v_cndmask_b32_e64 v20, v24, v35, s[0:1]
	v_max3_f32 v26, v21, v25, v20
	v_mbcnt_lo_u32_b32 v20, -1, 0
	v_mbcnt_hi_u32_b32 v27, -1, v20
	v_and_b32_e32 v20, 64, v27
	v_add_u32_e32 v28, 64, v20
	v_xor_b32_e32 v20, 32, v27
	v_cmp_lt_i32_e64 s[38:39], v20, v28
	v_cndmask_b32_e64 v20, v27, v20, s[38:39]
	v_lshlrev_b32_e32 v58, 2, v20
	ds_bpermute_b32 v29, v58, v26
	s_waitcnt vmcnt(4)
	v_mad_i64_i32 v[20:21], s[38:39], v51, s41, 0
	v_lshlrev_b64 v[20:21], 1, v[20:21]
	global_load_dwordx4 v[30:33], v[22:23], off
	s_nop 0
	global_load_dwordx4 v[22:25], v[22:23], off offset:16
	s_waitcnt lgkmcnt(0)
	v_max_f32_e32 v29, v29, v29
	v_max_f32_e32 v26, v26, v29
	v_xor_b32_e32 v29, 16, v27
	v_cmp_lt_i32_e64 s[38:39], v29, v28
	v_cndmask_b32_e64 v27, v27, v29, s[38:39]
	v_lshlrev_b32_e32 v60, 2, v27
	ds_bpermute_b32 v27, v60, v26
	v_add_co_u32_e64 v20, s[38:39], v57, v20
	v_addc_co_u32_e64 v21, s[38:39], v62, v21, s[38:39]
	s_waitcnt lgkmcnt(0)
	v_max_f32_e32 v27, v27, v27
	v_max_f32_e32 v57, v26, v27
	v_sub_f32_e32 v18, v18, v57
	v_mul_f32_e32 v18, 0x3fb8aa3b, v18
	v_exp_f32_e32 v50, v18
	v_sub_f32_e32 v18, v19, v57
	v_mul_f32_e32 v18, 0x3fb8aa3b, v18
	v_exp_f32_e32 v51, v18
	global_load_dwordx4 v[26:29], v[20:21], off
	s_nop 0
	global_load_dwordx4 v[18:21], v[20:21], off offset:16
	v_sub_f32_e32 v48, v48, v57
	v_mul_f32_e32 v48, 0x3fb8aa3b, v48
	v_sub_f32_e32 v49, v49, v57
	v_exp_f32_e32 v48, v48
	v_mul_f32_e32 v49, 0x3fb8aa3b, v49
	v_sub_f32_e32 v46, v46, v57
	v_exp_f32_e32 v49, v49
	v_mul_f32_e32 v46, 0x3fb8aa3b, v46
	v_sub_f32_e32 v47, v47, v57
	v_cndmask_b32_e64 v50, 0, v50, s[28:29]
	v_exp_f32_e32 v46, v46
	v_mul_f32_e32 v47, 0x3fb8aa3b, v47
	v_sub_f32_e32 v44, v44, v57
	v_add_f32_e32 v59, 0, v50
	v_cndmask_b32_e64 v51, 0, v51, s[30:31]
	v_exp_f32_e32 v47, v47
	v_mul_f32_e32 v44, 0x3fb8aa3b, v44
	v_sub_f32_e32 v45, v45, v57
	v_add_f32_e32 v59, v59, v51
	;; [unrolled: 5-line block ×10, first 2 shown]
	v_cndmask_b32_e64 v38, 0, v38, s[10:11]
	v_exp_f32_e32 v34, v34
	v_mul_f32_e32 v35, 0x3fb8aa3b, v35
	v_add_f32_e32 v59, v59, v38
	v_cndmask_b32_e64 v39, 0, v39, s[12:13]
	v_exp_f32_e32 v35, v35
	v_add_f32_e32 v59, v59, v39
	v_cndmask_b32_e64 v36, 0, v36, s[2:3]
	v_add_f32_e32 v59, v59, v36
	v_cndmask_b32_e64 v37, 0, v37, s[8:9]
	v_add_f32_e32 v59, v59, v37
	v_cndmask_b32_e32 v34, 0, v34, vcc
	v_add_f32_e32 v59, v59, v34
	v_cndmask_b32_e64 v35, 0, v35, s[0:1]
	v_add_f32_e32 v59, v59, v35
	ds_bpermute_b32 v58, v58, v59
	s_load_dword s3, s[4:5], 0x98
	v_cmp_gt_u32_e32 vcc, 16, v56
	s_waitcnt lgkmcnt(0)
	s_barrier
	v_add_f32_e32 v59, v59, v58
	ds_bpermute_b32 v60, v60, v59
	v_lshlrev_b32_e32 v58, 2, v54
	s_waitcnt lgkmcnt(0)
	s_and_saveexec_b64 s[0:1], vcc
	s_cbranch_execz .LBB75_17
; %bb.16:
	v_add_f32_e32 v56, v59, v60
	v_lshl_or_b32 v59, v55, 6, v58
	ds_write2st64_b32 v59, v57, v56 offset1:1
.LBB75_17:
	s_or_b64 exec, exec, s[0:1]
	s_load_dword s2, s[4:5], 0x94
	s_waitcnt lgkmcnt(0)
	s_barrier
	ds_read2_b32 v[60:61], v58 offset1:16
	ds_read2_b32 v[62:63], v58 offset0:32 offset1:48
	ds_read2_b32 v[64:65], v58 offset0:64 offset1:80
	;; [unrolled: 1-line block ×3, first 2 shown]
	s_waitcnt lgkmcnt(0)
	v_max3_f32 v56, v60, s40, v61
	v_max3_f32 v56, v56, v62, v63
	v_sub_f32_e32 v57, v60, v56
	v_mul_f32_e32 v57, 0x3fb8aa3b, v57
	v_exp_f32_e32 v60, v57
	v_sub_f32_e32 v57, v61, v56
	v_mul_f32_e32 v57, 0x3fb8aa3b, v57
	v_exp_f32_e32 v61, v57
	;; [unrolled: 3-line block ×4, first 2 shown]
	v_fma_f32 v57, v60, v64, 0
	v_fmac_f32_e32 v57, v61, v65
	v_fmac_f32_e32 v57, v62, v58
	;; [unrolled: 1-line block ×3, first 2 shown]
	v_add_f32_e32 v58, 0x358637bd, v57
	v_div_scale_f32 v59, s[0:1], v58, v58, 1.0
	v_rcp_f32_e32 v64, v59
	s_barrier
	s_lshl_b32 s3, s3, 2
	v_fma_f32 v65, -v59, v64, 1.0
	v_fmac_f32_e32 v64, v65, v64
	v_div_scale_f32 v65, vcc, 1.0, v58, 1.0
	v_mul_f32_e32 v66, v65, v64
	v_fma_f32 v67, -v59, v66, v65
	v_fmac_f32_e32 v66, v67, v64
	v_fma_f32 v59, -v59, v66, v65
	v_div_fmas_f32 v59, v59, v64, v66
	v_cmp_eq_u32_e32 vcc, 1, v55
	v_div_fixup_f32 v58, v59, v58, 1.0
	v_cndmask_b32_e32 v59, v60, v61, vcc
	v_cmp_eq_u32_e32 vcc, 2, v55
	v_cndmask_b32_e32 v59, v59, v62, vcc
	v_cmp_eq_u32_e32 vcc, 3, v55
	v_cndmask_b32_e32 v59, v59, v63, vcc
	v_mul_f32_e32 v58, v59, v58
	v_pk_mul_f32 v[48:49], v[58:59], v[48:49] op_sel_hi:[0,1]
	v_pk_mul_f32 v[50:51], v[58:59], v[50:51] op_sel_hi:[0,1]
	v_cvt_f16_f32_e32 v50, v50
	v_cvt_f16_f32_e32 v51, v51
	;; [unrolled: 1-line block ×4, first 2 shown]
	v_pk_mul_f32 v[44:45], v[58:59], v[44:45] op_sel_hi:[0,1]
	v_pk_mul_f32 v[46:47], v[58:59], v[46:47] op_sel_hi:[0,1]
	v_pack_b32_f16 v50, v50, v51
	v_pack_b32_f16 v51, v48, v49
	v_lshlrev_b32_e32 v48, 5, v54
	v_cvt_f16_f32_e32 v46, v46
	v_cvt_f16_f32_e32 v47, v47
	;; [unrolled: 1-line block ×4, first 2 shown]
	v_lshlrev_b32_e32 v49, 3, v53
	v_lshlrev_b32_e32 v44, 11, v55
	v_or3_b32 v44, v44, v48, v49
	v_pack_b32_f16 v46, v46, v47
	v_pack_b32_f16 v47, v54, v45
	v_pk_mul_f32 v[38:39], v[58:59], v[38:39] op_sel_hi:[0,1]
	v_pk_mul_f32 v[40:41], v[58:59], v[40:41] op_sel_hi:[0,1]
	;; [unrolled: 1-line block ×4, first 2 shown]
	ds_write2st64_b64 v44, v[50:51], v[46:47] offset1:1
	v_cvt_f16_f32_e32 v40, v40
	v_cvt_f16_f32_e32 v41, v41
	;; [unrolled: 1-line block ×8, first 2 shown]
	v_pack_b32_f16 v34, v40, v41
	v_pack_b32_f16 v35, v38, v39
	;; [unrolled: 1-line block ×4, first 2 shown]
	v_cmp_gt_u32_e32 vcc, 4, v0
	ds_write2st64_b64 v44, v[34:35], v[36:37] offset0:2 offset1:3
	s_and_saveexec_b64 s[0:1], vcc
	s_cbranch_execz .LBB75_19
; %bb.18:
	v_or_b32_e32 v34, s27, v0
	v_mov_b32_e32 v35, 0
	v_mov_b32_e32 v36, s3
	v_mad_u64_u32 v[36:37], s[12:13], s6, v36, v[34:35]
	v_mov_b32_e32 v34, s26
	s_load_dwordx4 s[8:11], s[4:5], 0x58
	s_mul_i32 s7, s7, s3
	v_mad_u64_u32 v[34:35], s[12:13], v36, s2, v[34:35]
	v_add_u32_e32 v37, s7, v37
	v_mov_b32_e32 v36, v35
	v_mad_u64_u32 v[36:37], s[12:13], v37, s2, v[36:37]
	v_mov_b32_e32 v35, v36
	v_lshlrev_b64 v[34:35], 2, v[34:35]
	s_waitcnt lgkmcnt(0)
	v_mov_b32_e32 v37, s11
	v_add_co_u32_e32 v36, vcc, s10, v34
	v_addc_co_u32_e32 v37, vcc, v37, v35, vcc
	global_store_dword v[36:37], v56, off
	v_mov_b32_e32 v36, s9
	v_add_co_u32_e32 v34, vcc, s8, v34
	v_addc_co_u32_e32 v35, vcc, v36, v35, vcc
	global_store_dword v[34:35], v57, off
.LBB75_19:
	s_or_b64 exec, exec, s[0:1]
	v_lshl_or_b32 v45, v53, 9, v48
	s_waitcnt lgkmcnt(0)
	s_barrier
	ds_read_b128 v[34:37], v45
	ds_read_b128 v[38:41], v45 offset:16
	s_waitcnt vmcnt(7) lgkmcnt(1)
	v_mfma_f32_16x16x16f16 v[46:49], v[14:15], v[34:35], 0
	s_mov_b32 s1, 0
	v_mfma_f32_16x16x16f16 v[14:17], v[16:17], v[36:37], v[46:49]
	s_waitcnt vmcnt(6) lgkmcnt(0)
	v_mfma_f32_16x16x16f16 v[14:17], v[10:11], v[38:39], v[14:17]
	v_mfma_f32_16x16x16f16 v[10:13], v[12:13], v[40:41], v[14:17]
	s_nop 7
	s_nop 1
	ds_read_b128 v[14:17], v45 offset:2048
	ds_read_b128 v[34:37], v45 offset:2064
	s_waitcnt vmcnt(5) lgkmcnt(1)
	v_mfma_f32_16x16x16f16 v[10:13], v[6:7], v[14:15], v[10:13]
	v_mfma_f32_16x16x16f16 v[6:9], v[8:9], v[16:17], v[10:13]
	s_waitcnt vmcnt(4) lgkmcnt(0)
	v_mfma_f32_16x16x16f16 v[6:9], v[2:3], v[34:35], v[6:9]
	v_mfma_f32_16x16x16f16 v[2:5], v[4:5], v[36:37], v[6:9]
	s_nop 7
	s_nop 1
	ds_read_b128 v[6:9], v45 offset:4096
	ds_read_b128 v[10:13], v45 offset:4112
	s_waitcnt vmcnt(3) lgkmcnt(1)
	v_mfma_f32_16x16x16f16 v[2:5], v[30:31], v[6:7], v[2:5]
	v_mfma_f32_16x16x16f16 v[2:5], v[32:33], v[8:9], v[2:5]
	s_waitcnt vmcnt(2) lgkmcnt(0)
	v_mfma_f32_16x16x16f16 v[2:5], v[22:23], v[10:11], v[2:5]
	v_mfma_f32_16x16x16f16 v[2:5], v[24:25], v[12:13], v[2:5]
	ds_read_b128 v[6:9], v45 offset:6144
	ds_read_b128 v[10:13], v45 offset:6160
	s_waitcnt lgkmcnt(0)
	s_barrier
	s_waitcnt vmcnt(1)
	v_mfma_f32_16x16x16f16 v[2:5], v[26:27], v[6:7], v[2:5]
	v_mfma_f32_16x16x16f16 v[2:5], v[28:29], v[8:9], v[2:5]
	s_waitcnt vmcnt(0)
	v_mfma_f32_16x16x16f16 v[2:5], v[18:19], v[10:11], v[2:5]
	v_mfma_f32_16x16x16f16 v[2:5], v[20:21], v[12:13], v[2:5]
	s_nop 7
	s_nop 2
	v_cvt_f16_f32_e32 v2, v2
	v_cvt_f16_f32_e32 v3, v3
	;; [unrolled: 1-line block ×4, first 2 shown]
	v_pack_b32_f16 v2, v2, v3
	v_pack_b32_f16 v3, v4, v5
	ds_write_b64 v44, v[2:3]
	s_waitcnt lgkmcnt(0)
	s_barrier
	s_and_saveexec_b64 s[8:9], s[44:45]
	s_cbranch_execz .LBB75_21
; %bb.20:
	s_load_dwordx2 s[4:5], s[4:5], 0x68
	s_lshl_b32 s7, s2, 6
	s_mul_i32 s0, s3, s6
	s_mul_hi_u32 s3, s0, s7
	s_mul_i32 s2, s0, s7
	s_lshl_b64 s[2:3], s[2:3], 1
	s_waitcnt lgkmcnt(0)
	s_add_u32 s2, s4, s2
	v_lshlrev_b32_e32 v2, 10, v0
	v_lshlrev_b32_e32 v0, 4, v0
	s_addc_u32 s3, s5, s3
	s_lshl_b32 s0, s26, 6
	v_and_b32_e32 v2, 0x1800, v2
	v_and_b32_e32 v0, 16, v0
	s_lshl_b64 s[0:1], s[0:1], 1
	v_or3_b32 v0, v2, v52, v0
	s_add_u32 s2, s2, s0
	ds_read_b128 v[2:5], v0
	s_addc_u32 s3, s3, s1
	v_mad_u64_u32 v[0:1], s[0:1], s7, v1, 0
	v_lshlrev_b64 v[0:1], 1, v[0:1]
	v_mov_b32_e32 v6, s3
	v_add_co_u32_e32 v0, vcc, s2, v0
	v_addc_co_u32_e32 v1, vcc, v6, v1, vcc
	v_add_co_u32_e32 v0, vcc, v0, v42
	v_addc_co_u32_e32 v1, vcc, v1, v43, vcc
	s_waitcnt lgkmcnt(0)
	global_store_dwordx4 v[0:1], v[2:5], off
.LBB75_21:
	s_endpgm
	.section	.rodata,"a",@progbits
	.p2align	6, 0x0
	.amdhsa_kernel _Z39paged_attention_ll4mi_QKV_mfma16_kernelIDF16_DF16_LN4vllm18Fp8KVCacheDataTypeE0EDF16_Li32ELi64ELi256ELb1ELi4EL8MFMAType0EEvPKT_PKT0_S8_ifPKiSA_SA_iPKfiiiPfSD_PS3_PT2_iSC_SC_
		.amdhsa_group_segment_fixed_size 8192
		.amdhsa_private_segment_fixed_size 0
		.amdhsa_kernarg_size 400
		.amdhsa_user_sgpr_count 6
		.amdhsa_user_sgpr_private_segment_buffer 1
		.amdhsa_user_sgpr_dispatch_ptr 0
		.amdhsa_user_sgpr_queue_ptr 0
		.amdhsa_user_sgpr_kernarg_segment_ptr 1
		.amdhsa_user_sgpr_dispatch_id 0
		.amdhsa_user_sgpr_flat_scratch_init 0
		.amdhsa_user_sgpr_kernarg_preload_length 0
		.amdhsa_user_sgpr_kernarg_preload_offset 0
		.amdhsa_user_sgpr_private_segment_size 0
		.amdhsa_uses_dynamic_stack 0
		.amdhsa_system_sgpr_private_segment_wavefront_offset 0
		.amdhsa_system_sgpr_workgroup_id_x 1
		.amdhsa_system_sgpr_workgroup_id_y 1
		.amdhsa_system_sgpr_workgroup_id_z 1
		.amdhsa_system_sgpr_workgroup_info 0
		.amdhsa_system_vgpr_workitem_id 0
		.amdhsa_next_free_vgpr 68
		.amdhsa_next_free_sgpr 46
		.amdhsa_accum_offset 68
		.amdhsa_reserve_vcc 1
		.amdhsa_reserve_flat_scratch 0
		.amdhsa_float_round_mode_32 0
		.amdhsa_float_round_mode_16_64 0
		.amdhsa_float_denorm_mode_32 3
		.amdhsa_float_denorm_mode_16_64 3
		.amdhsa_dx10_clamp 1
		.amdhsa_ieee_mode 1
		.amdhsa_fp16_overflow 0
		.amdhsa_tg_split 0
		.amdhsa_exception_fp_ieee_invalid_op 0
		.amdhsa_exception_fp_denorm_src 0
		.amdhsa_exception_fp_ieee_div_zero 0
		.amdhsa_exception_fp_ieee_overflow 0
		.amdhsa_exception_fp_ieee_underflow 0
		.amdhsa_exception_fp_ieee_inexact 0
		.amdhsa_exception_int_div_zero 0
	.end_amdhsa_kernel
	.section	.text._Z39paged_attention_ll4mi_QKV_mfma16_kernelIDF16_DF16_LN4vllm18Fp8KVCacheDataTypeE0EDF16_Li32ELi64ELi256ELb1ELi4EL8MFMAType0EEvPKT_PKT0_S8_ifPKiSA_SA_iPKfiiiPfSD_PS3_PT2_iSC_SC_,"axG",@progbits,_Z39paged_attention_ll4mi_QKV_mfma16_kernelIDF16_DF16_LN4vllm18Fp8KVCacheDataTypeE0EDF16_Li32ELi64ELi256ELb1ELi4EL8MFMAType0EEvPKT_PKT0_S8_ifPKiSA_SA_iPKfiiiPfSD_PS3_PT2_iSC_SC_,comdat
.Lfunc_end75:
	.size	_Z39paged_attention_ll4mi_QKV_mfma16_kernelIDF16_DF16_LN4vllm18Fp8KVCacheDataTypeE0EDF16_Li32ELi64ELi256ELb1ELi4EL8MFMAType0EEvPKT_PKT0_S8_ifPKiSA_SA_iPKfiiiPfSD_PS3_PT2_iSC_SC_, .Lfunc_end75-_Z39paged_attention_ll4mi_QKV_mfma16_kernelIDF16_DF16_LN4vllm18Fp8KVCacheDataTypeE0EDF16_Li32ELi64ELi256ELb1ELi4EL8MFMAType0EEvPKT_PKT0_S8_ifPKiSA_SA_iPKfiiiPfSD_PS3_PT2_iSC_SC_
                                        ; -- End function
	.section	.AMDGPU.csdata,"",@progbits
; Kernel info:
; codeLenInByte = 4260
; NumSgprs: 50
; NumVgprs: 68
; NumAgprs: 0
; TotalNumVgprs: 68
; ScratchSize: 0
; MemoryBound: 0
; FloatMode: 240
; IeeeMode: 1
; LDSByteSize: 8192 bytes/workgroup (compile time only)
; SGPRBlocks: 6
; VGPRBlocks: 8
; NumSGPRsForWavesPerEU: 50
; NumVGPRsForWavesPerEU: 68
; AccumOffset: 68
; Occupancy: 7
; WaveLimiterHint : 1
; COMPUTE_PGM_RSRC2:SCRATCH_EN: 0
; COMPUTE_PGM_RSRC2:USER_SGPR: 6
; COMPUTE_PGM_RSRC2:TRAP_HANDLER: 0
; COMPUTE_PGM_RSRC2:TGID_X_EN: 1
; COMPUTE_PGM_RSRC2:TGID_Y_EN: 1
; COMPUTE_PGM_RSRC2:TGID_Z_EN: 1
; COMPUTE_PGM_RSRC2:TIDIG_COMP_CNT: 0
; COMPUTE_PGM_RSRC3_GFX90A:ACCUM_OFFSET: 16
; COMPUTE_PGM_RSRC3_GFX90A:TG_SPLIT: 0
	.section	.text._Z38paged_attention_ll4mi_QKV_mfma4_kernelIDF16_DF16_LN4vllm18Fp8KVCacheDataTypeE0EDF16_Li32ELi64ELi256ELb0ELi1EEvPKT_PKT0_S7_ifPKiS9_S9_iPKfiiiPfSC_PS2_PT2_iSB_SB_,"axG",@progbits,_Z38paged_attention_ll4mi_QKV_mfma4_kernelIDF16_DF16_LN4vllm18Fp8KVCacheDataTypeE0EDF16_Li32ELi64ELi256ELb0ELi1EEvPKT_PKT0_S7_ifPKiS9_S9_iPKfiiiPfSC_PS2_PT2_iSB_SB_,comdat
	.protected	_Z38paged_attention_ll4mi_QKV_mfma4_kernelIDF16_DF16_LN4vllm18Fp8KVCacheDataTypeE0EDF16_Li32ELi64ELi256ELb0ELi1EEvPKT_PKT0_S7_ifPKiS9_S9_iPKfiiiPfSC_PS2_PT2_iSB_SB_ ; -- Begin function _Z38paged_attention_ll4mi_QKV_mfma4_kernelIDF16_DF16_LN4vllm18Fp8KVCacheDataTypeE0EDF16_Li32ELi64ELi256ELb0ELi1EEvPKT_PKT0_S7_ifPKiS9_S9_iPKfiiiPfSC_PS2_PT2_iSB_SB_
	.globl	_Z38paged_attention_ll4mi_QKV_mfma4_kernelIDF16_DF16_LN4vllm18Fp8KVCacheDataTypeE0EDF16_Li32ELi64ELi256ELb0ELi1EEvPKT_PKT0_S7_ifPKiS9_S9_iPKfiiiPfSC_PS2_PT2_iSB_SB_
	.p2align	8
	.type	_Z38paged_attention_ll4mi_QKV_mfma4_kernelIDF16_DF16_LN4vllm18Fp8KVCacheDataTypeE0EDF16_Li32ELi64ELi256ELb0ELi1EEvPKT_PKT0_S7_ifPKiS9_S9_iPKfiiiPfSC_PS2_PT2_iSB_SB_,@function
_Z38paged_attention_ll4mi_QKV_mfma4_kernelIDF16_DF16_LN4vllm18Fp8KVCacheDataTypeE0EDF16_Li32ELi64ELi256ELb0ELi1EEvPKT_PKT0_S7_ifPKiS9_S9_iPKfiiiPfSC_PS2_PT2_iSB_SB_: ; @_Z38paged_attention_ll4mi_QKV_mfma4_kernelIDF16_DF16_LN4vllm18Fp8KVCacheDataTypeE0EDF16_Li32ELi64ELi256ELb0ELi1EEvPKT_PKT0_S7_ifPKiS9_S9_iPKfiiiPfSC_PS2_PT2_iSB_SB_
; %bb.0:
	s_load_dwordx2 s[2:3], s[4:5], 0x30
	s_mov_b32 s24, s7
	s_mov_b64 s[0:1], 0
	s_waitcnt lgkmcnt(0)
	s_cmp_lg_u64 s[2:3], 0
	s_cselect_b64 s[10:11], -1, 0
	s_and_b64 vcc, exec, s[10:11]
	s_cbranch_vccz .LBB76_10
; %bb.1:
	s_add_i32 s12, s6, 1
	s_mov_b32 s13, 0
	s_lshl_b64 s[14:15], s[12:13], 2
	s_add_u32 s14, s2, s14
	s_mov_b32 s7, s13
	s_addc_u32 s15, s3, s15
	s_lshl_b64 s[12:13], s[6:7], 2
	s_add_u32 s12, s2, s12
	s_addc_u32 s13, s3, s13
	s_load_dword s9, s[14:15], 0x0
	s_load_dword s16, s[12:13], 0x0
	s_waitcnt lgkmcnt(0)
	s_sub_i32 s9, s9, s16
	s_cmp_eq_u32 s9, 1
	s_cselect_b64 s[12:13], -1, 0
	s_andn2_b64 vcc, exec, s[0:1]
	s_cbranch_vccnz .LBB76_3
.LBB76_2:
	s_mov_b32 s7, 0
	s_mov_b64 s[12:13], -1
.LBB76_3:
	s_andn2_b64 vcc, exec, s[12:13]
	s_cbranch_vccnz .LBB76_23
; %bb.4:
	s_load_dword s9, s[4:5], 0x9c
	s_load_dwordx2 s[0:1], s[4:5], 0x28
	s_add_u32 s28, s4, 0x90
	s_addc_u32 s29, s5, 0
	s_lshl_b64 s[20:21], s[6:7], 2
	s_waitcnt lgkmcnt(0)
	s_and_b32 s12, s9, 0xffff
	s_add_u32 s0, s0, s20
	s_addc_u32 s1, s1, s21
	s_load_dword s9, s[0:1], 0x0
	s_mul_i32 s16, s24, s12
	s_waitcnt lgkmcnt(0)
	s_cmp_ge_i32 s16, s9
	s_cbranch_scc1 .LBB76_23
; %bb.5:
	v_and_b32_e32 v2, 0xc0, v0
	v_add_u32_e32 v2, s16, v2
	v_lshrrev_b32_e32 v1, 6, v0
	v_cmp_gt_i32_e64 s[0:1], s9, v2
	v_cmp_le_i32_e32 vcc, s9, v2
                                        ; implicit-def: $sgpr18
                                        ; implicit-def: $sgpr17
	s_and_saveexec_b64 s[12:13], vcc
	s_xor_b64 s[12:13], exec, s[12:13]
	s_cbranch_execz .LBB76_7
; %bb.6:
	v_mul_u32_u24_e32 v2, 20, v1
	v_or_b32_e32 v2, 0xa00, v2
	v_mov_b32_e32 v3, 0xa50
	v_mov_b32_e32 v4, 0xff7fffff
	v_mad_u32_u24 v3, v1, 20, v3
	ds_write2_b32 v2, v4, v4 offset1:1
	v_mov_b32_e32 v2, 0
	ds_write2_b32 v3, v2, v2 offset1:1
	v_mov_b32_e32 v3, 0xa08
	s_mov_b32 s17, 0xff7fffff
	s_mov_b32 s18, 0
	v_mad_u32_u24 v3, v1, 20, v3
	v_mov_b32_e32 v5, 0xa58
	v_mad_u32_u24 v5, v1, 20, v5
	ds_write2_b32 v3, v4, v4 offset1:1
	ds_write2_b32 v5, v2, v2 offset1:1
                                        ; implicit-def: $vgpr2
.LBB76_7:
	s_or_saveexec_b64 s[30:31], s[12:13]
	s_load_dwordx2 s[26:27], s[4:5], 0x68
	s_load_dwordx4 s[12:15], s[4:5], 0x58
	s_load_dword s7, s[28:29], 0x4
	v_and_b32_e32 v40, 63, v0
	v_and_b32_e32 v39, 3, v0
	v_mov_b32_e32 v37, s18
	v_mov_b32_e32 v41, s17
	;; [unrolled: 1-line block ×5, first 2 shown]
                                        ; implicit-def: $vgpr3
                                        ; implicit-def: $vgpr7
                                        ; implicit-def: $vgpr11
                                        ; implicit-def: $vgpr15
                                        ; implicit-def: $vgpr19
                                        ; implicit-def: $vgpr23
                                        ; implicit-def: $vgpr27
                                        ; implicit-def: $vgpr31
	s_xor_b64 exec, exec, s[30:31]
	s_cbranch_execz .LBB76_17
; %bb.8:
	s_add_i32 s22, s9, 31
	s_load_dwordx2 s[18:19], s[4:5], 0x20
	s_load_dword s17, s[4:5], 0x38
	s_ashr_i32 s23, s22, 31
	s_lshr_b32 s23, s23, 27
	v_add_u32_e32 v38, s16, v0
	s_add_i32 s22, s22, s23
	v_ashrrev_i32_e32 v3, 31, v38
	s_ashr_i32 s22, s22, 5
	v_lshrrev_b32_e32 v3, 27, v3
	s_add_i32 s25, s22, -1
	v_add_u32_e32 v3, v38, v3
	s_waitcnt lgkmcnt(0)
	s_mul_i32 s22, s6, s17
	s_mov_b32 s23, 0
	v_ashrrev_i32_e32 v3, 5, v3
	v_mov_b32_e32 v4, s25
	v_cmp_gt_i32_e32 vcc, s9, v38
	s_lshl_b64 s[22:23], s[22:23], 2
	v_cndmask_b32_e32 v4, v4, v3, vcc
	s_add_u32 s17, s18, s22
	v_ashrrev_i32_e32 v5, 31, v4
	s_addc_u32 s18, s19, s23
	v_lshlrev_b64 v[4:5], 2, v[4:5]
	v_mov_b32_e32 v3, s18
	v_add_co_u32_e32 v6, vcc, s17, v4
	v_addc_co_u32_e32 v7, vcc, v3, v5, vcc
	v_ashrrev_i32_e32 v3, 31, v2
	v_lshrrev_b32_e32 v3, 27, v3
	v_add_u32_e32 v2, v2, v3
	v_ashrrev_i32_e32 v4, 5, v2
	v_min_i32_e32 v2, s25, v4
	v_ashrrev_i32_e32 v3, 31, v2
	v_lshlrev_b64 v[2:3], 2, v[2:3]
	v_add_co_u32_e32 v8, vcc, s17, v2
	v_add_u32_e32 v2, 1, v4
	v_mov_b32_e32 v5, s18
	v_min_i32_e32 v2, s25, v2
	v_addc_co_u32_e32 v9, vcc, v5, v3, vcc
	v_ashrrev_i32_e32 v3, 31, v2
	v_lshlrev_b64 v[2:3], 2, v[2:3]
	v_mov_b32_e32 v4, s18
	v_add_co_u32_e32 v10, vcc, s17, v2
	v_addc_co_u32_e32 v11, vcc, v4, v3, vcc
	global_load_dword v2, v[6:7], off
	global_load_dword v5, v[8:9], off
	;; [unrolled: 1-line block ×3, first 2 shown]
	s_load_dwordx4 s[16:19], s[4:5], 0x8
	s_andn2_b64 vcc, exec, s[10:11]
	s_cbranch_vccnz .LBB76_11
; %bb.9:
	s_add_u32 s2, s2, s20
	s_addc_u32 s3, s3, s21
	s_load_dword s2, s[2:3], 0x0
	s_branch .LBB76_12
.LBB76_10:
	s_mov_b64 s[12:13], 0
	s_branch .LBB76_2
.LBB76_11:
	s_mov_b32 s2, s6
.LBB76_12:
	s_load_dwordx4 s[20:23], s[4:5], 0x48
	v_cmp_eq_u32_e32 vcc, 0, v39
	s_mov_b32 s3, 0
	v_mov_b32_e32 v41, 0
	v_mov_b32_e32 v3, 0
	;; [unrolled: 1-line block ×6, first 2 shown]
	s_and_saveexec_b64 s[10:11], vcc
	s_cbranch_execz .LBB76_14
; %bb.13:
	s_load_dwordx2 s[34:35], s[4:5], 0x0
	s_waitcnt lgkmcnt(0)
	s_ashr_i32 s23, s20, 31
	s_mul_hi_u32 s25, s2, s20
	s_mul_i32 s23, s2, s23
	s_add_i32 s37, s25, s23
	s_mul_i32 s36, s2, s20
	s_lshl_b64 s[36:37], s[36:37], 1
	s_add_u32 s20, s34, s36
	s_addc_u32 s23, s35, s37
	s_lshl_b32 s2, s8, 6
	s_lshl_b64 s[34:35], s[2:3], 1
	s_add_u32 s34, s20, s34
	s_addc_u32 s35, s23, s35
	v_lshlrev_b32_e32 v6, 2, v40
	global_load_dwordx4 v[34:37], v6, s[34:35]
	v_mov_b32_e32 v41, 1.0
.LBB76_14:
	s_or_b64 exec, exec, s[10:11]
	s_waitcnt lgkmcnt(0)
	s_mul_i32 s2, s8, s22
	s_waitcnt vmcnt(2)
	v_mad_i64_i32 v[6:7], s[10:11], v2, s21, 0
	s_lshl_b64 s[2:3], s[2:3], 1
	s_add_u32 s10, s2, s16
	v_lshlrev_b64 v[6:7], 1, v[6:7]
	s_addc_u32 s11, s3, s17
	v_mov_b32_e32 v2, s11
	v_add_co_u32_e32 v6, vcc, s10, v6
	v_addc_co_u32_e32 v2, vcc, v2, v7, vcc
	v_and_b32_e32 v7, 31, v0
	v_lshlrev_b32_e32 v7, 4, v7
	v_add_co_u32_e32 v30, vcc, v6, v7
	v_addc_co_u32_e32 v31, vcc, 0, v2, vcc
	global_load_dwordx4 v[6:9], v[30:31], off
	global_load_dwordx4 v[10:13], v[30:31], off offset:512
	global_load_dwordx4 v[14:17], v[30:31], off offset:1024
	;; [unrolled: 1-line block ×7, first 2 shown]
	s_waitcnt vmcnt(9)
	v_mul_hi_i32 v2, v5, s21
	v_cmp_eq_u32_e32 vcc, 1, v39
	v_ashrrev_i32_e32 v2, 31, v2
	s_waitcnt vmcnt(8)
	v_mul_hi_i32 v30, v4, s21
	v_cndmask_b32_e64 v52, 0, 1.0, vcc
	v_cmp_eq_u32_e32 vcc, 2, v39
	v_lshrrev_b32_e32 v2, 29, v2
	s_add_u32 s2, s18, s2
	v_lshlrev_b32_e32 v32, 6, v40
	v_cndmask_b32_e64 v53, 0, 1.0, vcc
	v_cmp_eq_u32_e32 vcc, 3, v39
	v_ashrrev_i32_e32 v33, 31, v30
	v_mad_i64_i32 v[30:31], s[10:11], v5, s21, v[2:3]
	s_addc_u32 s3, s19, s3
	v_cndmask_b32_e64 v54, 0, 1.0, vcc
	v_lshrrev_b32_e32 v2, 29, v33
	v_lshlrev_b64 v[30:31], 1, v[30:31]
	v_mov_b32_e32 v5, s3
	v_mad_i64_i32 v[2:3], s[10:11], v4, s21, v[2:3]
	v_and_b32_e32 v4, -16, v30
	v_lshlrev_b64 v[2:3], 1, v[2:3]
	v_and_b32_e32 v2, -16, v2
	s_load_dword s4, s[4:5], 0x1c
	v_and_b32_e32 v55, -4, v38
	v_or_b32_e32 v38, 3, v38
	v_cmp_gt_i32_e64 s[10:11], s9, v38
	v_lshlrev_b32_e32 v56, 2, v0
	s_waitcnt vmcnt(7)
	v_mfma_f32_4x4x4f16 a[0:3], v[34:35], v[6:7], 0 cbsz:4
	v_add_co_u32_e32 v6, vcc, s2, v32
	v_mfma_f32_4x4x4f16 a[0:3], v[36:37], v[8:9], a[0:3] cbsz:4
	v_addc_co_u32_e32 v5, vcc, 0, v5, vcc
	s_waitcnt vmcnt(6)
	v_mfma_f32_4x4x4f16 a[0:3], v[34:35], v[10:11], a[0:3] cbsz:4 abid:1
	v_mfma_f32_4x4x4f16 a[0:3], v[36:37], v[12:13], a[0:3] cbsz:4 abid:1
	s_waitcnt vmcnt(5)
	v_mfma_f32_4x4x4f16 a[0:3], v[34:35], v[14:15], a[0:3] cbsz:4 abid:2
	v_mfma_f32_4x4x4f16 a[0:3], v[36:37], v[16:17], a[0:3] cbsz:4 abid:2
	s_waitcnt vmcnt(4)
	v_mfma_f32_4x4x4f16 a[0:3], v[34:35], v[18:19], a[0:3] cbsz:4 abid:3
	v_add_co_u32_e32 v18, vcc, v6, v4
	v_mfma_f32_4x4x4f16 a[0:3], v[36:37], v[20:21], a[0:3] cbsz:4 abid:3
	v_addc_co_u32_e32 v19, vcc, v5, v31, vcc
	s_waitcnt vmcnt(3)
	v_mfma_f32_4x4x4f16 a[0:3], v[34:35], v[22:23], a[0:3] cbsz:4 abid:4
	v_add_co_u32_e32 v50, vcc, v6, v2
	v_mfma_f32_4x4x4f16 a[0:3], v[36:37], v[24:25], a[0:3] cbsz:4 abid:4
	v_addc_co_u32_e32 v51, vcc, v5, v3, vcc
	s_waitcnt vmcnt(2)
	v_mfma_f32_4x4x4f16 a[0:3], v[34:35], v[26:27], a[0:3] cbsz:4 abid:5
	global_load_dwordx4 v[2:5], v[18:19], off
	global_load_dwordx4 v[6:9], v[18:19], off offset:16
	global_load_dwordx4 v[10:13], v[18:19], off offset:32
	;; [unrolled: 1-line block ×3, first 2 shown]
	v_mfma_f32_4x4x4f16 a[0:3], v[36:37], v[28:29], a[0:3] cbsz:4 abid:5
	global_load_dwordx4 v[18:21], v[50:51], off
	global_load_dwordx4 v[22:25], v[50:51], off offset:16
	global_load_dwordx4 v[26:29], v[50:51], off offset:32
	;; [unrolled: 1-line block ×3, first 2 shown]
	s_waitcnt vmcnt(9)
	v_mfma_f32_4x4x4f16 a[0:3], v[34:35], v[42:43], a[0:3] cbsz:4 abid:6
	v_mov_b32_e32 v42, 0xff7fffff
	v_mfma_f32_4x4x4f16 a[0:3], v[36:37], v[44:45], a[0:3] cbsz:4 abid:6
	v_cmp_gt_i32_e32 vcc, s9, v55
	s_waitcnt vmcnt(8)
	v_mfma_f32_4x4x4f16 a[0:3], v[34:35], v[46:47], a[0:3] cbsz:4 abid:7
	v_and_or_b32 v43, v56, 48, v39
	v_mfma_f32_4x4x4f16 a[0:3], v[36:37], v[48:49], a[0:3] cbsz:4 abid:7
	v_lshlrev_b32_e32 v43, 2, v43
	s_nop 3
	v_accvgpr_read_b32 v35, a1
	v_accvgpr_read_b32 v34, a0
	s_waitcnt lgkmcnt(0)
	v_pk_mul_f32 v[34:35], s[4:5], v[34:35] op_sel_hi:[0,1]
	v_accvgpr_read_b32 v37, a3
	v_accvgpr_read_b32 v36, a2
	v_pk_mul_f32 v[36:37], s[4:5], v[36:37] op_sel_hi:[0,1]
	v_mfma_f32_4x4x1f32 a[0:3], v34, v41, 0
	v_or_b32_e32 v34, 1, v55
	v_mfma_f32_4x4x1f32 a[0:3], v35, v52, a[0:3]
	v_cmp_gt_i32_e64 s[2:3], s9, v34
	v_mfma_f32_4x4x1f32 a[0:3], v36, v53, a[0:3]
	v_or_b32_e32 v35, 2, v55
	v_mfma_f32_4x4x1f32 a[0:3], v37, v54, a[0:3]
	v_cmp_gt_i32_e64 s[4:5], s9, v35
	s_nop 3
	v_accvgpr_read_b32 v36, a0
	v_max_f32_e32 v41, v36, v36
	v_accvgpr_read_b32 v37, a1
	v_max_f32_e32 v41, 0xff7fffff, v41
	v_max_f32_e32 v46, v37, v37
	v_cndmask_b32_e32 v41, v42, v41, vcc
	v_accvgpr_read_b32 v44, a2
	v_max_f32_e32 v42, v41, v46
	v_max_f32_e32 v47, v44, v44
	v_cndmask_b32_e64 v34, v41, v42, s[2:3]
	v_accvgpr_read_b32 v45, a3
	v_max_f32_e32 v41, v34, v47
	v_max_f32_e32 v48, v45, v45
	v_cndmask_b32_e64 v34, v34, v41, s[4:5]
	v_max_f32_e32 v35, v34, v48
	v_cndmask_b32_e64 v34, v34, v35, s[10:11]
	;;#ASMSTART
	v_nop
 v_nop
 v_max_f32_dpp v34, v34, v34 row_ror:4
	;;#ASMEND
	;;#ASMSTART
	v_nop
 v_nop
 v_max_f32_dpp v34, v34, v34 row_ror:8
	;;#ASMEND
	ds_bpermute_b32 v34, v43, v34
	s_waitcnt lgkmcnt(0)
	;;#ASMSTART
	v_nop
 v_nop
 v_max_f32_dpp v34, v34, v34 row_ror:4
	;;#ASMEND
	;;#ASMSTART
	v_nop
 v_nop
 v_max_f32_dpp v41, v34, v34 row_ror:8
	;;#ASMEND
	v_sub_f32_e32 v34, v36, v41
	v_sub_f32_e32 v35, v37, v41
	v_mul_f32_e32 v34, 0x3fb8aa3b, v34
	v_sub_f32_e32 v36, v44, v41
	v_mul_f32_e32 v35, 0x3fb8aa3b, v35
	v_exp_f32_e32 v34, v34
	v_sub_f32_e32 v37, v45, v41
	v_mul_f32_e32 v36, 0x3fb8aa3b, v36
	v_exp_f32_e32 v35, v35
	v_mul_f32_e32 v37, 0x3fb8aa3b, v37
	v_exp_f32_e32 v36, v36
	v_exp_f32_e32 v37, v37
	v_cndmask_b32_e32 v34, 0, v34, vcc
	v_cndmask_b32_e64 v35, 0, v35, s[2:3]
	v_add_f32_e32 v38, 0, v34
	v_cndmask_b32_e64 v36, 0, v36, s[4:5]
	v_add_f32_e32 v38, v38, v35
	;; [unrolled: 2-line block ×3, first 2 shown]
	v_add_f32_e32 v38, v38, v37
	;;#ASMSTART
	v_nop
 v_nop
 v_add_f32_dpp v38, v38, v38 row_ror:4
	;;#ASMEND
	;;#ASMSTART
	v_nop
 v_nop
 v_add_f32_dpp v38, v38, v38 row_ror:8
	;;#ASMEND
	ds_bpermute_b32 v38, v43, v38
	s_waitcnt lgkmcnt(0)
	;;#ASMSTART
	v_nop
 v_nop
 v_add_f32_dpp v38, v38, v38 row_ror:4
	;;#ASMEND
	v_cmp_gt_u32_e32 vcc, 4, v40
	;;#ASMSTART
	v_nop
 v_nop
 v_add_f32_dpp v38, v38, v38 row_ror:8
	;;#ASMEND
	s_and_saveexec_b64 s[2:3], vcc
	s_cbranch_execz .LBB76_16
; %bb.15:
	v_mul_u32_u24_e32 v42, 20, v1
	v_lshl_add_u32 v42, v39, 2, v42
	v_add_u32_e32 v42, 0x800, v42
	ds_write2_b32 v42, v41, v38 offset0:128 offset1:148
.LBB76_16:
	s_or_b64 exec, exec, s[2:3]
.LBB76_17:
	s_or_b64 exec, exec, s[30:31]
	s_waitcnt lgkmcnt(0)
	s_barrier
	s_load_dword s2, s[28:29], 0x8
	v_lshlrev_b32_e32 v38, 2, v39
	v_add_u32_e32 v43, 0x800, v38
	ds_read2_b32 v[44:45], v43 offset0:128 offset1:133
	ds_read2_b32 v[46:47], v43 offset0:138 offset1:143
	s_mul_i32 s3, s7, s6
	s_waitcnt lgkmcnt(0)
	s_mul_i32 s2, s3, s2
	s_mov_b32 s3, 0xff7fffff
	v_max3_f32 v38, v44, s3, v45
	v_max3_f32 v42, v38, v46, v47
	v_sub_f32_e32 v38, v44, v42
	v_sub_f32_e32 v44, v45, v42
	v_mul_f32_e32 v44, 0x3fb8aa3b, v44
	ds_read2_b32 v[48:49], v43 offset0:148 offset1:153
	v_mul_f32_e32 v38, 0x3fb8aa3b, v38
	v_exp_f32_e32 v51, v44
	ds_read2_b32 v[44:45], v43 offset0:158 offset1:163
	v_sub_f32_e32 v43, v46, v42
	v_exp_f32_e32 v50, v38
	v_mul_f32_e32 v43, 0x3fb8aa3b, v43
	v_exp_f32_e32 v46, v43
	v_sub_f32_e32 v43, v47, v42
	v_mul_f32_e32 v43, 0x3fb8aa3b, v43
	v_exp_f32_e32 v47, v43
	s_waitcnt lgkmcnt(1)
	v_fma_f32 v43, v50, v48, 0
	v_fmac_f32_e32 v43, v51, v49
	s_waitcnt lgkmcnt(0)
	v_fmac_f32_e32 v43, v46, v44
	v_mov_b32_e32 v38, 0
	v_fmac_f32_e32 v43, v47, v45
	s_mov_b32 s3, 0
	v_cmp_eq_u32_e32 vcc, 0, v39
	s_and_saveexec_b64 s[4:5], vcc
	s_cbranch_execz .LBB76_19
; %bb.18:
	s_lshl_b64 s[10:11], s[2:3], 2
	s_add_u32 s6, s12, s10
	s_mov_b32 s25, s3
	s_addc_u32 s9, s13, s11
	s_lshl_b64 s[12:13], s[24:25], 2
	s_add_u32 s6, s6, s12
	s_addc_u32 s9, s9, s13
	s_add_u32 s10, s14, s10
	s_addc_u32 s11, s15, s11
	;; [unrolled: 2-line block ×3, first 2 shown]
	s_mul_i32 s10, s7, s8
	s_mov_b32 s11, s3
	s_lshl_b64 s[10:11], s[10:11], 2
	s_add_u32 s12, s6, s10
	s_addc_u32 s13, s9, s11
	s_add_u32 s10, s14, s10
	s_addc_u32 s11, s15, s11
	global_store_dword v38, v42, s[10:11]
	global_store_dword v38, v43, s[12:13]
.LBB76_19:
	s_or_b64 exec, exec, s[4:5]
	v_mov_b32_e32 v39, 0
	s_and_saveexec_b64 s[4:5], s[0:1]
	s_cbranch_execz .LBB76_21
; %bb.20:
	v_add_f32_e32 v38, 0x358637bd, v43
	v_div_scale_f32 v39, s[0:1], v38, v38, 1.0
	v_rcp_f32_e32 v43, v39
	v_div_scale_f32 v44, vcc, 1.0, v38, 1.0
	v_sub_f32_e32 v41, v41, v42
	v_fma_f32 v45, -v39, v43, 1.0
	v_fmac_f32_e32 v43, v45, v43
	v_mul_f32_e32 v45, v44, v43
	v_fma_f32 v46, -v39, v45, v44
	v_mul_f32_e32 v41, 0x3fb8aa3b, v41
	v_fmac_f32_e32 v45, v46, v43
	v_exp_f32_e32 v41, v41
	v_fma_f32 v39, -v39, v45, v44
	v_div_fmas_f32 v39, v39, v43, v45
	v_div_fixup_f32 v38, v39, v38, 1.0
	v_mul_f32_e32 v38, v41, v38
	v_pk_mul_f32 v[36:37], v[36:37], v[38:39] op_sel_hi:[1,0]
	v_pk_mul_f32 v[34:35], v[34:35], v[38:39] op_sel_hi:[1,0]
	v_cvt_f16_f32_e32 v34, v34
	v_cvt_f16_f32_e32 v35, v35
	;; [unrolled: 1-line block ×4, first 2 shown]
	s_mov_b32 s0, 0x5040100
	v_pack_b32_f16 v34, v34, v35
	v_pack_b32_f16 v35, v36, v37
	s_waitcnt vmcnt(7)
	s_nop 0
	v_mfma_f32_4x4x4f16 a[0:3], v[34:35], v[2:3], 0 cbsz:4
	v_mfma_f32_4x4x4f16 a[0:3], v[34:35], v[4:5], a[0:3] cbsz:4 abid:1
	s_waitcnt vmcnt(6)
	v_mfma_f32_4x4x4f16 a[0:3], v[34:35], v[6:7], a[0:3] cbsz:4 abid:2
	v_mfma_f32_4x4x4f16 a[0:3], v[34:35], v[8:9], a[0:3] cbsz:4 abid:3
	s_waitcnt vmcnt(5)
	v_mfma_f32_4x4x4f16 a[0:3], v[34:35], v[10:11], a[0:3] cbsz:4 abid:4
	;; [unrolled: 3-line block ×7, first 2 shown]
	v_mfma_f32_4x4x4f16 a[0:3], v[34:35], v[32:33], a[0:3] cbsz:4 abid:15
	s_nop 4
	v_accvgpr_read_b32 v2, a0
	v_accvgpr_read_b32 v3, a1
	v_accvgpr_read_b32 v4, a2
	v_accvgpr_read_b32 v5, a3
	v_cvt_f16_f32_e32 v2, v2
	v_cvt_f16_f32_e32 v3, v3
	v_cvt_f16_f32_e32 v4, v4
	v_cvt_f16_f32_e32 v5, v5
	v_perm_b32 v38, v3, v2, s0
	v_perm_b32 v39, v5, v4, s0
.LBB76_21:
	s_or_b64 exec, exec, s[4:5]
	v_lshlrev_b32_e32 v1, 3, v1
	v_mad_u32_u24 v1, v40, 40, v1
	v_cmp_gt_u32_e32 vcc, 64, v0
	ds_write_b64 v1, v[38:39]
	s_waitcnt lgkmcnt(0)
	s_barrier
	s_and_saveexec_b64 s[0:1], vcc
	s_cbranch_execz .LBB76_23
; %bb.22:
	s_mul_i32 s8, s8, s7
	s_lshl_b32 s0, s2, 6
	s_mov_b32 s1, 0
	v_lshl_or_b32 v0, s8, 6, v0
	v_mov_b32_e32 v1, 0
	s_waitcnt vmcnt(7)
	v_mul_u32_u24_e32 v4, 40, v40
	s_lshl_b64 s[2:3], s[0:1], 1
	s_waitcnt vmcnt(6)
	v_lshlrev_b64 v[8:9], 1, v[0:1]
	ds_read2_b64 v[0:3], v4 offset1:1
	ds_read2_b64 v[4:7], v4 offset0:2 offset1:3
	s_add_u32 s2, s26, s2
	s_addc_u32 s3, s27, s3
	s_lshl_b32 s0, s24, 6
	s_lshl_b64 s[0:1], s[0:1], 1
	s_add_u32 s0, s2, s0
	s_waitcnt lgkmcnt(1)
	v_pk_add_f16 v0, v0, 0
	s_addc_u32 s1, s3, s1
	v_pk_add_f16 v0, v0, v2
	s_waitcnt vmcnt(5)
	v_mov_b32_e32 v10, s1
	v_add_co_u32_e32 v8, vcc, s0, v8
	s_waitcnt lgkmcnt(0)
	v_pk_add_f16 v0, v0, v4
	v_addc_co_u32_e32 v9, vcc, v10, v9, vcc
	v_pk_add_f16 v0, v0, v6
	global_store_short v[8:9], v0, off
.LBB76_23:
	s_endpgm
	.section	.rodata,"a",@progbits
	.p2align	6, 0x0
	.amdhsa_kernel _Z38paged_attention_ll4mi_QKV_mfma4_kernelIDF16_DF16_LN4vllm18Fp8KVCacheDataTypeE0EDF16_Li32ELi64ELi256ELb0ELi1EEvPKT_PKT0_S7_ifPKiS9_S9_iPKfiiiPfSC_PS2_PT2_iSB_SB_
		.amdhsa_group_segment_fixed_size 2720
		.amdhsa_private_segment_fixed_size 0
		.amdhsa_kernarg_size 400
		.amdhsa_user_sgpr_count 6
		.amdhsa_user_sgpr_private_segment_buffer 1
		.amdhsa_user_sgpr_dispatch_ptr 0
		.amdhsa_user_sgpr_queue_ptr 0
		.amdhsa_user_sgpr_kernarg_segment_ptr 1
		.amdhsa_user_sgpr_dispatch_id 0
		.amdhsa_user_sgpr_flat_scratch_init 0
		.amdhsa_user_sgpr_kernarg_preload_length 0
		.amdhsa_user_sgpr_kernarg_preload_offset 0
		.amdhsa_user_sgpr_private_segment_size 0
		.amdhsa_uses_dynamic_stack 0
		.amdhsa_system_sgpr_private_segment_wavefront_offset 0
		.amdhsa_system_sgpr_workgroup_id_x 1
		.amdhsa_system_sgpr_workgroup_id_y 1
		.amdhsa_system_sgpr_workgroup_id_z 1
		.amdhsa_system_sgpr_workgroup_info 0
		.amdhsa_system_vgpr_workitem_id 0
		.amdhsa_next_free_vgpr 64
		.amdhsa_next_free_sgpr 38
		.amdhsa_accum_offset 60
		.amdhsa_reserve_vcc 1
		.amdhsa_reserve_flat_scratch 0
		.amdhsa_float_round_mode_32 0
		.amdhsa_float_round_mode_16_64 0
		.amdhsa_float_denorm_mode_32 3
		.amdhsa_float_denorm_mode_16_64 3
		.amdhsa_dx10_clamp 1
		.amdhsa_ieee_mode 1
		.amdhsa_fp16_overflow 0
		.amdhsa_tg_split 0
		.amdhsa_exception_fp_ieee_invalid_op 0
		.amdhsa_exception_fp_denorm_src 0
		.amdhsa_exception_fp_ieee_div_zero 0
		.amdhsa_exception_fp_ieee_overflow 0
		.amdhsa_exception_fp_ieee_underflow 0
		.amdhsa_exception_fp_ieee_inexact 0
		.amdhsa_exception_int_div_zero 0
	.end_amdhsa_kernel
	.section	.text._Z38paged_attention_ll4mi_QKV_mfma4_kernelIDF16_DF16_LN4vllm18Fp8KVCacheDataTypeE0EDF16_Li32ELi64ELi256ELb0ELi1EEvPKT_PKT0_S7_ifPKiS9_S9_iPKfiiiPfSC_PS2_PT2_iSB_SB_,"axG",@progbits,_Z38paged_attention_ll4mi_QKV_mfma4_kernelIDF16_DF16_LN4vllm18Fp8KVCacheDataTypeE0EDF16_Li32ELi64ELi256ELb0ELi1EEvPKT_PKT0_S7_ifPKiS9_S9_iPKfiiiPfSC_PS2_PT2_iSB_SB_,comdat
.Lfunc_end76:
	.size	_Z38paged_attention_ll4mi_QKV_mfma4_kernelIDF16_DF16_LN4vllm18Fp8KVCacheDataTypeE0EDF16_Li32ELi64ELi256ELb0ELi1EEvPKT_PKT0_S7_ifPKiS9_S9_iPKfiiiPfSC_PS2_PT2_iSB_SB_, .Lfunc_end76-_Z38paged_attention_ll4mi_QKV_mfma4_kernelIDF16_DF16_LN4vllm18Fp8KVCacheDataTypeE0EDF16_Li32ELi64ELi256ELb0ELi1EEvPKT_PKT0_S7_ifPKiS9_S9_iPKfiiiPfSC_PS2_PT2_iSB_SB_
                                        ; -- End function
	.section	.AMDGPU.csdata,"",@progbits
; Kernel info:
; codeLenInByte = 2868
; NumSgprs: 42
; NumVgprs: 57
; NumAgprs: 4
; TotalNumVgprs: 64
; ScratchSize: 0
; MemoryBound: 0
; FloatMode: 240
; IeeeMode: 1
; LDSByteSize: 2720 bytes/workgroup (compile time only)
; SGPRBlocks: 5
; VGPRBlocks: 7
; NumSGPRsForWavesPerEU: 42
; NumVGPRsForWavesPerEU: 64
; AccumOffset: 60
; Occupancy: 8
; WaveLimiterHint : 1
; COMPUTE_PGM_RSRC2:SCRATCH_EN: 0
; COMPUTE_PGM_RSRC2:USER_SGPR: 6
; COMPUTE_PGM_RSRC2:TRAP_HANDLER: 0
; COMPUTE_PGM_RSRC2:TGID_X_EN: 1
; COMPUTE_PGM_RSRC2:TGID_Y_EN: 1
; COMPUTE_PGM_RSRC2:TGID_Z_EN: 1
; COMPUTE_PGM_RSRC2:TIDIG_COMP_CNT: 0
; COMPUTE_PGM_RSRC3_GFX90A:ACCUM_OFFSET: 14
; COMPUTE_PGM_RSRC3_GFX90A:TG_SPLIT: 0
	.section	.text._Z38paged_attention_ll4mi_QKV_mfma4_kernelIDF16_DF16_LN4vllm18Fp8KVCacheDataTypeE0EDF16_Li32ELi64ELi256ELb0ELi2EEvPKT_PKT0_S7_ifPKiS9_S9_iPKfiiiPfSC_PS2_PT2_iSB_SB_,"axG",@progbits,_Z38paged_attention_ll4mi_QKV_mfma4_kernelIDF16_DF16_LN4vllm18Fp8KVCacheDataTypeE0EDF16_Li32ELi64ELi256ELb0ELi2EEvPKT_PKT0_S7_ifPKiS9_S9_iPKfiiiPfSC_PS2_PT2_iSB_SB_,comdat
	.protected	_Z38paged_attention_ll4mi_QKV_mfma4_kernelIDF16_DF16_LN4vllm18Fp8KVCacheDataTypeE0EDF16_Li32ELi64ELi256ELb0ELi2EEvPKT_PKT0_S7_ifPKiS9_S9_iPKfiiiPfSC_PS2_PT2_iSB_SB_ ; -- Begin function _Z38paged_attention_ll4mi_QKV_mfma4_kernelIDF16_DF16_LN4vllm18Fp8KVCacheDataTypeE0EDF16_Li32ELi64ELi256ELb0ELi2EEvPKT_PKT0_S7_ifPKiS9_S9_iPKfiiiPfSC_PS2_PT2_iSB_SB_
	.globl	_Z38paged_attention_ll4mi_QKV_mfma4_kernelIDF16_DF16_LN4vllm18Fp8KVCacheDataTypeE0EDF16_Li32ELi64ELi256ELb0ELi2EEvPKT_PKT0_S7_ifPKiS9_S9_iPKfiiiPfSC_PS2_PT2_iSB_SB_
	.p2align	8
	.type	_Z38paged_attention_ll4mi_QKV_mfma4_kernelIDF16_DF16_LN4vllm18Fp8KVCacheDataTypeE0EDF16_Li32ELi64ELi256ELb0ELi2EEvPKT_PKT0_S7_ifPKiS9_S9_iPKfiiiPfSC_PS2_PT2_iSB_SB_,@function
_Z38paged_attention_ll4mi_QKV_mfma4_kernelIDF16_DF16_LN4vllm18Fp8KVCacheDataTypeE0EDF16_Li32ELi64ELi256ELb0ELi2EEvPKT_PKT0_S7_ifPKiS9_S9_iPKfiiiPfSC_PS2_PT2_iSB_SB_: ; @_Z38paged_attention_ll4mi_QKV_mfma4_kernelIDF16_DF16_LN4vllm18Fp8KVCacheDataTypeE0EDF16_Li32ELi64ELi256ELb0ELi2EEvPKT_PKT0_S7_ifPKiS9_S9_iPKfiiiPfSC_PS2_PT2_iSB_SB_
; %bb.0:
	s_load_dwordx2 s[2:3], s[4:5], 0x30
	s_mov_b32 s24, s7
	s_mov_b64 s[0:1], 0
	s_waitcnt lgkmcnt(0)
	s_cmp_lg_u64 s[2:3], 0
	s_cselect_b64 s[10:11], -1, 0
	s_and_b64 vcc, exec, s[10:11]
	s_cbranch_vccz .LBB77_10
; %bb.1:
	s_add_i32 s12, s6, 1
	s_mov_b32 s13, 0
	s_lshl_b64 s[14:15], s[12:13], 2
	s_add_u32 s14, s2, s14
	s_mov_b32 s7, s13
	s_addc_u32 s15, s3, s15
	s_lshl_b64 s[12:13], s[6:7], 2
	s_add_u32 s12, s2, s12
	s_addc_u32 s13, s3, s13
	s_load_dword s9, s[14:15], 0x0
	s_load_dword s16, s[12:13], 0x0
	s_waitcnt lgkmcnt(0)
	s_sub_i32 s9, s9, s16
	s_cmp_eq_u32 s9, 1
	s_cselect_b64 s[12:13], -1, 0
	s_andn2_b64 vcc, exec, s[0:1]
	s_cbranch_vccnz .LBB77_3
.LBB77_2:
	s_mov_b32 s7, 0
	s_mov_b64 s[12:13], -1
.LBB77_3:
	s_andn2_b64 vcc, exec, s[12:13]
	s_cbranch_vccnz .LBB77_23
; %bb.4:
	s_load_dword s9, s[4:5], 0x9c
	s_load_dwordx2 s[0:1], s[4:5], 0x28
	s_add_u32 s28, s4, 0x90
	s_addc_u32 s29, s5, 0
	s_lshl_b64 s[20:21], s[6:7], 2
	s_waitcnt lgkmcnt(0)
	s_and_b32 s12, s9, 0xffff
	s_add_u32 s0, s0, s20
	s_addc_u32 s1, s1, s21
	s_load_dword s9, s[0:1], 0x0
	s_mul_i32 s16, s24, s12
	s_waitcnt lgkmcnt(0)
	s_cmp_ge_i32 s16, s9
	s_cbranch_scc1 .LBB77_23
; %bb.5:
	v_and_b32_e32 v2, 0xc0, v0
	v_add_u32_e32 v2, s16, v2
	v_lshrrev_b32_e32 v1, 6, v0
	v_cmp_gt_i32_e64 s[0:1], s9, v2
	v_cmp_le_i32_e32 vcc, s9, v2
                                        ; implicit-def: $sgpr18
                                        ; implicit-def: $sgpr17
	s_and_saveexec_b64 s[12:13], vcc
	s_xor_b64 s[12:13], exec, s[12:13]
	s_cbranch_execz .LBB77_7
; %bb.6:
	v_mul_u32_u24_e32 v2, 20, v1
	v_or_b32_e32 v2, 0xa00, v2
	v_mov_b32_e32 v3, 0xa50
	v_mov_b32_e32 v4, 0xff7fffff
	v_mad_u32_u24 v3, v1, 20, v3
	ds_write2_b32 v2, v4, v4 offset1:1
	v_mov_b32_e32 v2, 0
	ds_write2_b32 v3, v2, v2 offset1:1
	v_mov_b32_e32 v3, 0xa08
	s_mov_b32 s17, 0xff7fffff
	s_mov_b32 s18, 0
	v_mad_u32_u24 v3, v1, 20, v3
	v_mov_b32_e32 v5, 0xa58
	v_mad_u32_u24 v5, v1, 20, v5
	ds_write2_b32 v3, v4, v4 offset1:1
	ds_write2_b32 v5, v2, v2 offset1:1
                                        ; implicit-def: $vgpr2
.LBB77_7:
	s_or_saveexec_b64 s[30:31], s[12:13]
	s_load_dwordx2 s[26:27], s[4:5], 0x68
	s_load_dwordx4 s[12:15], s[4:5], 0x58
	s_load_dword s7, s[28:29], 0x4
	v_and_b32_e32 v40, 63, v0
	v_and_b32_e32 v38, 3, v0
	v_mov_b32_e32 v37, s18
	v_mov_b32_e32 v41, s17
	;; [unrolled: 1-line block ×5, first 2 shown]
                                        ; implicit-def: $vgpr3
                                        ; implicit-def: $vgpr7
                                        ; implicit-def: $vgpr11
                                        ; implicit-def: $vgpr15
                                        ; implicit-def: $vgpr19
                                        ; implicit-def: $vgpr23
                                        ; implicit-def: $vgpr27
                                        ; implicit-def: $vgpr31
	s_xor_b64 exec, exec, s[30:31]
	s_cbranch_execz .LBB77_17
; %bb.8:
	s_add_i32 s22, s9, 31
	s_load_dwordx2 s[18:19], s[4:5], 0x20
	s_load_dword s17, s[4:5], 0x38
	s_ashr_i32 s23, s22, 31
	s_lshr_b32 s23, s23, 27
	v_add_u32_e32 v39, s16, v0
	s_add_i32 s22, s22, s23
	v_ashrrev_i32_e32 v3, 31, v39
	s_ashr_i32 s22, s22, 5
	v_lshrrev_b32_e32 v3, 27, v3
	s_add_i32 s25, s22, -1
	v_add_u32_e32 v3, v39, v3
	s_waitcnt lgkmcnt(0)
	s_mul_i32 s22, s6, s17
	s_mov_b32 s23, 0
	v_ashrrev_i32_e32 v3, 5, v3
	v_mov_b32_e32 v4, s25
	v_cmp_gt_i32_e32 vcc, s9, v39
	s_lshl_b64 s[22:23], s[22:23], 2
	v_cndmask_b32_e32 v4, v4, v3, vcc
	s_add_u32 s17, s18, s22
	v_ashrrev_i32_e32 v5, 31, v4
	s_addc_u32 s18, s19, s23
	v_lshlrev_b64 v[4:5], 2, v[4:5]
	v_mov_b32_e32 v3, s18
	v_add_co_u32_e32 v6, vcc, s17, v4
	v_addc_co_u32_e32 v7, vcc, v3, v5, vcc
	v_ashrrev_i32_e32 v3, 31, v2
	v_lshrrev_b32_e32 v3, 27, v3
	v_add_u32_e32 v2, v2, v3
	v_ashrrev_i32_e32 v4, 5, v2
	v_min_i32_e32 v2, s25, v4
	v_ashrrev_i32_e32 v3, 31, v2
	v_lshlrev_b64 v[2:3], 2, v[2:3]
	v_add_co_u32_e32 v8, vcc, s17, v2
	v_add_u32_e32 v2, 1, v4
	v_mov_b32_e32 v5, s18
	v_min_i32_e32 v2, s25, v2
	v_addc_co_u32_e32 v9, vcc, v5, v3, vcc
	v_ashrrev_i32_e32 v3, 31, v2
	v_lshlrev_b64 v[2:3], 2, v[2:3]
	v_mov_b32_e32 v4, s18
	v_add_co_u32_e32 v10, vcc, s17, v2
	v_addc_co_u32_e32 v11, vcc, v4, v3, vcc
	global_load_dword v2, v[6:7], off
	global_load_dword v5, v[8:9], off
	;; [unrolled: 1-line block ×3, first 2 shown]
	s_load_dwordx4 s[16:19], s[4:5], 0x8
	s_andn2_b64 vcc, exec, s[10:11]
	s_cbranch_vccnz .LBB77_11
; %bb.9:
	s_add_u32 s2, s2, s20
	s_addc_u32 s3, s3, s21
	s_load_dword s2, s[2:3], 0x0
	s_branch .LBB77_12
.LBB77_10:
	s_mov_b64 s[12:13], 0
	s_branch .LBB77_2
.LBB77_11:
	s_mov_b32 s2, s6
.LBB77_12:
	s_load_dwordx4 s[20:23], s[4:5], 0x48
	v_cmp_gt_u32_e32 vcc, 2, v38
	s_mov_b32 s3, 0
	v_mov_b32_e32 v3, 0
	v_mov_b32_e32 v34, 0
	;; [unrolled: 1-line block ×5, first 2 shown]
	s_and_saveexec_b64 s[10:11], vcc
	s_cbranch_execz .LBB77_14
; %bb.13:
	s_load_dwordx2 s[34:35], s[4:5], 0x0
	s_waitcnt lgkmcnt(0)
	s_ashr_i32 s23, s20, 31
	s_mul_hi_u32 s25, s2, s20
	s_mul_i32 s23, s2, s23
	s_add_i32 s37, s25, s23
	s_mul_i32 s36, s2, s20
	s_lshl_b64 s[36:37], s[36:37], 1
	s_add_u32 s20, s34, s36
	s_addc_u32 s23, s35, s37
	s_lshl_b32 s2, s8, 7
	s_lshl_b64 s[34:35], s[2:3], 1
	s_add_u32 s34, s20, s34
	v_lshlrev_b32_e32 v6, 3, v38
	v_lshrrev_b32_e32 v7, 2, v40
	s_addc_u32 s35, s23, s35
	v_add_lshl_u32 v6, v6, v7, 4
	global_load_dwordx4 v[34:37], v6, s[34:35]
.LBB77_14:
	s_or_b64 exec, exec, s[10:11]
	s_waitcnt lgkmcnt(0)
	s_mul_i32 s2, s8, s22
	s_waitcnt vmcnt(2)
	v_mad_i64_i32 v[6:7], s[10:11], v2, s21, 0
	s_lshl_b64 s[2:3], s[2:3], 1
	s_add_u32 s10, s2, s16
	v_lshlrev_b64 v[6:7], 1, v[6:7]
	s_addc_u32 s11, s3, s17
	v_mov_b32_e32 v2, s11
	v_add_co_u32_e32 v6, vcc, s10, v6
	v_addc_co_u32_e32 v2, vcc, v2, v7, vcc
	v_and_b32_e32 v7, 31, v0
	v_lshlrev_b32_e32 v7, 4, v7
	v_add_co_u32_e32 v30, vcc, v6, v7
	v_addc_co_u32_e32 v31, vcc, 0, v2, vcc
	global_load_dwordx4 v[6:9], v[30:31], off
	global_load_dwordx4 v[10:13], v[30:31], off offset:512
	global_load_dwordx4 v[14:17], v[30:31], off offset:1024
	;; [unrolled: 1-line block ×7, first 2 shown]
	s_waitcnt vmcnt(9)
	v_mul_hi_i32 v2, v5, s21
	v_cmp_eq_u32_e32 vcc, 0, v38
	v_cndmask_b32_e64 v41, 0, 1.0, vcc
	v_cmp_eq_u32_e32 vcc, 1, v38
	v_ashrrev_i32_e32 v2, 31, v2
	s_waitcnt vmcnt(8)
	v_mul_hi_i32 v30, v4, s21
	v_cndmask_b32_e64 v52, 0, 1.0, vcc
	v_cmp_eq_u32_e32 vcc, 2, v38
	v_lshrrev_b32_e32 v2, 29, v2
	s_add_u32 s2, s18, s2
	v_lshlrev_b32_e32 v32, 6, v40
	v_cndmask_b32_e64 v53, 0, 1.0, vcc
	v_cmp_eq_u32_e32 vcc, 3, v38
	v_ashrrev_i32_e32 v33, 31, v30
	v_mad_i64_i32 v[30:31], s[10:11], v5, s21, v[2:3]
	s_addc_u32 s3, s19, s3
	v_cndmask_b32_e64 v54, 0, 1.0, vcc
	v_lshrrev_b32_e32 v2, 29, v33
	v_lshlrev_b64 v[30:31], 1, v[30:31]
	v_mov_b32_e32 v5, s3
	v_mad_i64_i32 v[2:3], s[10:11], v4, s21, v[2:3]
	v_and_b32_e32 v4, -16, v30
	v_lshlrev_b64 v[2:3], 1, v[2:3]
	v_and_b32_e32 v2, -16, v2
	s_load_dword s4, s[4:5], 0x1c
	v_and_b32_e32 v55, -4, v39
	v_or_b32_e32 v39, 3, v39
	v_cmp_gt_i32_e64 s[10:11], s9, v39
	v_lshlrev_b32_e32 v56, 2, v0
	s_waitcnt vmcnt(7)
	v_mfma_f32_4x4x4f16 a[0:3], v[34:35], v[6:7], 0 cbsz:4
	v_add_co_u32_e32 v6, vcc, s2, v32
	v_mfma_f32_4x4x4f16 a[0:3], v[36:37], v[8:9], a[0:3] cbsz:4
	v_addc_co_u32_e32 v5, vcc, 0, v5, vcc
	s_waitcnt vmcnt(6)
	v_mfma_f32_4x4x4f16 a[0:3], v[34:35], v[10:11], a[0:3] cbsz:4 abid:1
	v_mfma_f32_4x4x4f16 a[0:3], v[36:37], v[12:13], a[0:3] cbsz:4 abid:1
	s_waitcnt vmcnt(5)
	v_mfma_f32_4x4x4f16 a[0:3], v[34:35], v[14:15], a[0:3] cbsz:4 abid:2
	v_mfma_f32_4x4x4f16 a[0:3], v[36:37], v[16:17], a[0:3] cbsz:4 abid:2
	s_waitcnt vmcnt(4)
	v_mfma_f32_4x4x4f16 a[0:3], v[34:35], v[18:19], a[0:3] cbsz:4 abid:3
	v_add_co_u32_e32 v18, vcc, v6, v4
	v_mfma_f32_4x4x4f16 a[0:3], v[36:37], v[20:21], a[0:3] cbsz:4 abid:3
	v_addc_co_u32_e32 v19, vcc, v5, v31, vcc
	s_waitcnt vmcnt(3)
	v_mfma_f32_4x4x4f16 a[0:3], v[34:35], v[22:23], a[0:3] cbsz:4 abid:4
	v_add_co_u32_e32 v50, vcc, v6, v2
	v_mfma_f32_4x4x4f16 a[0:3], v[36:37], v[24:25], a[0:3] cbsz:4 abid:4
	v_addc_co_u32_e32 v51, vcc, v5, v3, vcc
	s_waitcnt vmcnt(2)
	v_mfma_f32_4x4x4f16 a[0:3], v[34:35], v[26:27], a[0:3] cbsz:4 abid:5
	global_load_dwordx4 v[2:5], v[18:19], off
	global_load_dwordx4 v[6:9], v[18:19], off offset:16
	global_load_dwordx4 v[10:13], v[18:19], off offset:32
	;; [unrolled: 1-line block ×3, first 2 shown]
	v_mfma_f32_4x4x4f16 a[0:3], v[36:37], v[28:29], a[0:3] cbsz:4 abid:5
	global_load_dwordx4 v[18:21], v[50:51], off
	global_load_dwordx4 v[22:25], v[50:51], off offset:16
	global_load_dwordx4 v[26:29], v[50:51], off offset:32
	;; [unrolled: 1-line block ×3, first 2 shown]
	s_waitcnt vmcnt(9)
	v_mfma_f32_4x4x4f16 a[0:3], v[34:35], v[42:43], a[0:3] cbsz:4 abid:6
	v_mov_b32_e32 v42, 0xff7fffff
	v_mfma_f32_4x4x4f16 a[0:3], v[36:37], v[44:45], a[0:3] cbsz:4 abid:6
	v_cmp_gt_i32_e32 vcc, s9, v55
	s_waitcnt vmcnt(8)
	v_mfma_f32_4x4x4f16 a[0:3], v[34:35], v[46:47], a[0:3] cbsz:4 abid:7
	v_and_or_b32 v43, v56, 48, v38
	v_mfma_f32_4x4x4f16 a[0:3], v[36:37], v[48:49], a[0:3] cbsz:4 abid:7
	v_lshlrev_b32_e32 v43, 2, v43
	s_nop 3
	v_accvgpr_read_b32 v35, a1
	v_accvgpr_read_b32 v34, a0
	s_waitcnt lgkmcnt(0)
	v_pk_mul_f32 v[34:35], s[4:5], v[34:35] op_sel_hi:[0,1]
	v_accvgpr_read_b32 v37, a3
	v_accvgpr_read_b32 v36, a2
	v_pk_mul_f32 v[36:37], s[4:5], v[36:37] op_sel_hi:[0,1]
	v_mfma_f32_4x4x1f32 a[0:3], v34, v41, 0
	v_or_b32_e32 v34, 1, v55
	v_mfma_f32_4x4x1f32 a[0:3], v35, v52, a[0:3]
	v_cmp_gt_i32_e64 s[2:3], s9, v34
	v_mfma_f32_4x4x1f32 a[0:3], v36, v53, a[0:3]
	v_or_b32_e32 v35, 2, v55
	v_mfma_f32_4x4x1f32 a[0:3], v37, v54, a[0:3]
	v_cmp_gt_i32_e64 s[4:5], s9, v35
	s_nop 3
	v_accvgpr_read_b32 v36, a0
	v_max_f32_e32 v41, v36, v36
	v_accvgpr_read_b32 v37, a1
	v_max_f32_e32 v41, 0xff7fffff, v41
	v_max_f32_e32 v46, v37, v37
	v_cndmask_b32_e32 v41, v42, v41, vcc
	v_accvgpr_read_b32 v44, a2
	v_max_f32_e32 v42, v41, v46
	v_max_f32_e32 v47, v44, v44
	v_cndmask_b32_e64 v34, v41, v42, s[2:3]
	v_accvgpr_read_b32 v45, a3
	v_max_f32_e32 v41, v34, v47
	v_max_f32_e32 v48, v45, v45
	v_cndmask_b32_e64 v34, v34, v41, s[4:5]
	v_max_f32_e32 v35, v34, v48
	v_cndmask_b32_e64 v34, v34, v35, s[10:11]
	;;#ASMSTART
	v_nop
 v_nop
 v_max_f32_dpp v34, v34, v34 row_ror:4
	;;#ASMEND
	;;#ASMSTART
	v_nop
 v_nop
 v_max_f32_dpp v34, v34, v34 row_ror:8
	;;#ASMEND
	ds_bpermute_b32 v34, v43, v34
	s_waitcnt lgkmcnt(0)
	;;#ASMSTART
	v_nop
 v_nop
 v_max_f32_dpp v34, v34, v34 row_ror:4
	;;#ASMEND
	;;#ASMSTART
	v_nop
 v_nop
 v_max_f32_dpp v41, v34, v34 row_ror:8
	;;#ASMEND
	v_sub_f32_e32 v34, v36, v41
	v_sub_f32_e32 v35, v37, v41
	v_mul_f32_e32 v34, 0x3fb8aa3b, v34
	v_sub_f32_e32 v36, v44, v41
	v_mul_f32_e32 v35, 0x3fb8aa3b, v35
	v_exp_f32_e32 v34, v34
	v_sub_f32_e32 v37, v45, v41
	v_mul_f32_e32 v36, 0x3fb8aa3b, v36
	v_exp_f32_e32 v35, v35
	v_mul_f32_e32 v37, 0x3fb8aa3b, v37
	v_exp_f32_e32 v36, v36
	v_exp_f32_e32 v37, v37
	v_cndmask_b32_e32 v34, 0, v34, vcc
	v_cndmask_b32_e64 v35, 0, v35, s[2:3]
	v_add_f32_e32 v39, 0, v34
	v_cndmask_b32_e64 v36, 0, v36, s[4:5]
	v_add_f32_e32 v39, v39, v35
	;; [unrolled: 2-line block ×3, first 2 shown]
	v_add_f32_e32 v39, v39, v37
	;;#ASMSTART
	v_nop
 v_nop
 v_add_f32_dpp v39, v39, v39 row_ror:4
	;;#ASMEND
	;;#ASMSTART
	v_nop
 v_nop
 v_add_f32_dpp v39, v39, v39 row_ror:8
	;;#ASMEND
	ds_bpermute_b32 v39, v43, v39
	s_waitcnt lgkmcnt(0)
	;;#ASMSTART
	v_nop
 v_nop
 v_add_f32_dpp v39, v39, v39 row_ror:4
	;;#ASMEND
	v_cmp_gt_u32_e32 vcc, 4, v40
	;;#ASMSTART
	v_nop
 v_nop
 v_add_f32_dpp v39, v39, v39 row_ror:8
	;;#ASMEND
	s_and_saveexec_b64 s[2:3], vcc
	s_cbranch_execz .LBB77_16
; %bb.15:
	v_mul_u32_u24_e32 v42, 20, v1
	v_lshl_add_u32 v42, v38, 2, v42
	v_add_u32_e32 v42, 0x800, v42
	ds_write2_b32 v42, v41, v39 offset0:128 offset1:148
.LBB77_16:
	s_or_b64 exec, exec, s[2:3]
.LBB77_17:
	s_or_b64 exec, exec, s[30:31]
	s_waitcnt lgkmcnt(0)
	s_barrier
	s_load_dword s2, s[28:29], 0x8
	v_lshlrev_b32_e32 v39, 2, v38
	v_add_u32_e32 v39, 0x800, v39
	ds_read2_b32 v[44:45], v39 offset0:128 offset1:133
	ds_read2_b32 v[46:47], v39 offset0:138 offset1:143
	s_mul_i32 s3, s6, s7
	s_waitcnt lgkmcnt(0)
	s_mul_i32 s3, s3, s2
	s_lshl_b32 s2, s3, 1
	s_mov_b32 s3, 0xff7fffff
	v_max3_f32 v42, v44, s3, v45
	v_max3_f32 v42, v42, v46, v47
	v_sub_f32_e32 v43, v44, v42
	v_sub_f32_e32 v44, v45, v42
	ds_read2_b32 v[48:49], v39 offset0:148 offset1:153
	v_mul_f32_e32 v43, 0x3fb8aa3b, v43
	v_mul_f32_e32 v44, 0x3fb8aa3b, v44
	v_exp_f32_e32 v43, v43
	v_exp_f32_e32 v50, v44
	ds_read2_b32 v[44:45], v39 offset0:158 offset1:163
	v_sub_f32_e32 v39, v46, v42
	v_mul_f32_e32 v39, 0x3fb8aa3b, v39
	v_sub_f32_e32 v46, v47, v42
	v_exp_f32_e32 v39, v39
	v_mul_f32_e32 v46, 0x3fb8aa3b, v46
	v_exp_f32_e32 v46, v46
	s_waitcnt lgkmcnt(1)
	v_fma_f32 v43, v43, v48, 0
	v_fmac_f32_e32 v43, v50, v49
	s_waitcnt lgkmcnt(0)
	v_fmac_f32_e32 v43, v39, v44
	s_lshl_b32 s8, s8, 1
	v_fmac_f32_e32 v43, v46, v45
	v_cmp_gt_u32_e32 vcc, 2, v38
	s_and_saveexec_b64 s[4:5], vcc
	s_cbranch_execz .LBB77_19
; %bb.18:
	s_mov_b32 s3, 0
	s_lshl_b64 s[10:11], s[2:3], 2
	s_add_u32 s6, s12, s10
	s_mov_b32 s25, s3
	s_addc_u32 s9, s13, s11
	s_lshl_b64 s[12:13], s[24:25], 2
	s_add_u32 s3, s6, s12
	s_addc_u32 s6, s9, s13
	v_or_b32_e32 v38, s8, v38
	s_add_u32 s9, s14, s10
	v_mul_lo_u32 v38, s7, v38
	v_mov_b32_e32 v39, 0
	s_addc_u32 s10, s15, s11
	v_lshlrev_b64 v[38:39], 2, v[38:39]
	s_add_u32 s9, s9, s12
	v_mov_b32_e32 v45, s6
	v_add_co_u32_e32 v44, vcc, s3, v38
	s_addc_u32 s10, s10, s13
	v_addc_co_u32_e32 v45, vcc, v45, v39, vcc
	v_mov_b32_e32 v46, s10
	v_add_co_u32_e32 v38, vcc, s9, v38
	v_addc_co_u32_e32 v39, vcc, v46, v39, vcc
	global_store_dword v[38:39], v42, off
	global_store_dword v[44:45], v43, off
.LBB77_19:
	s_or_b64 exec, exec, s[4:5]
	v_mov_b32_e32 v38, 0
	v_mov_b32_e32 v39, 0
	s_and_saveexec_b64 s[4:5], s[0:1]
	s_cbranch_execz .LBB77_21
; %bb.20:
	v_add_f32_e32 v38, 0x358637bd, v43
	v_div_scale_f32 v39, s[0:1], v38, v38, 1.0
	v_rcp_f32_e32 v43, v39
	v_div_scale_f32 v44, vcc, 1.0, v38, 1.0
	v_sub_f32_e32 v41, v41, v42
	v_fma_f32 v45, -v39, v43, 1.0
	v_fmac_f32_e32 v43, v45, v43
	v_mul_f32_e32 v45, v44, v43
	v_fma_f32 v46, -v39, v45, v44
	v_mul_f32_e32 v41, 0x3fb8aa3b, v41
	v_fmac_f32_e32 v45, v46, v43
	v_exp_f32_e32 v41, v41
	v_fma_f32 v39, -v39, v45, v44
	v_div_fmas_f32 v39, v39, v43, v45
	v_div_fixup_f32 v38, v39, v38, 1.0
	v_mul_f32_e32 v38, v41, v38
	v_pk_mul_f32 v[36:37], v[36:37], v[38:39] op_sel_hi:[1,0]
	v_pk_mul_f32 v[34:35], v[34:35], v[38:39] op_sel_hi:[1,0]
	v_cvt_f16_f32_e32 v34, v34
	v_cvt_f16_f32_e32 v35, v35
	;; [unrolled: 1-line block ×4, first 2 shown]
	s_mov_b32 s0, 0x5040100
	v_pack_b32_f16 v34, v34, v35
	v_pack_b32_f16 v35, v36, v37
	s_waitcnt vmcnt(7)
	s_nop 0
	v_mfma_f32_4x4x4f16 a[0:3], v[34:35], v[2:3], 0 cbsz:4
	v_mfma_f32_4x4x4f16 a[0:3], v[34:35], v[4:5], a[0:3] cbsz:4 abid:1
	s_waitcnt vmcnt(6)
	v_mfma_f32_4x4x4f16 a[0:3], v[34:35], v[6:7], a[0:3] cbsz:4 abid:2
	v_mfma_f32_4x4x4f16 a[0:3], v[34:35], v[8:9], a[0:3] cbsz:4 abid:3
	s_waitcnt vmcnt(5)
	v_mfma_f32_4x4x4f16 a[0:3], v[34:35], v[10:11], a[0:3] cbsz:4 abid:4
	;; [unrolled: 3-line block ×7, first 2 shown]
	v_mfma_f32_4x4x4f16 a[0:3], v[34:35], v[32:33], a[0:3] cbsz:4 abid:15
	s_nop 4
	v_accvgpr_read_b32 v2, a0
	v_accvgpr_read_b32 v3, a1
	;; [unrolled: 1-line block ×4, first 2 shown]
	v_cvt_f16_f32_e32 v2, v2
	v_cvt_f16_f32_e32 v3, v3
	;; [unrolled: 1-line block ×4, first 2 shown]
	v_perm_b32 v38, v3, v2, s0
	v_perm_b32 v39, v5, v4, s0
.LBB77_21:
	s_or_b64 exec, exec, s[4:5]
	v_lshlrev_b32_e32 v1, 3, v1
	v_mad_u32_u24 v1, v40, 40, v1
	v_cmp_gt_u32_e32 vcc, 64, v0
	ds_write_b64 v1, v[38:39]
	s_waitcnt lgkmcnt(0)
	s_barrier
	s_and_saveexec_b64 s[0:1], vcc
	s_cbranch_execz .LBB77_23
; %bb.22:
	s_mov_b32 s1, 0
	s_lshl_b32 s0, s2, 6
	v_mul_u32_u24_e32 v1, 40, v40
	s_lshl_b64 s[2:3], s[0:1], 1
	s_waitcnt vmcnt(7)
	ds_read2_b64 v[2:5], v1 offset1:1
	s_waitcnt vmcnt(6)
	ds_read2_b64 v[6:9], v1 offset0:2 offset1:3
	s_add_u32 s2, s26, s2
	s_addc_u32 s3, s27, s3
	s_lshl_b32 s0, s24, 6
	s_lshl_b64 s[0:1], s[0:1], 1
	s_add_u32 s0, s2, s0
	s_addc_u32 s1, s3, s1
	s_lshl_b32 s2, s7, 6
	s_waitcnt lgkmcnt(1)
	v_pk_add_f16 v1, v2, 0
	s_mul_i32 s3, s2, s8
	v_pk_add_f16 v1, v1, v4
	v_or_b32_e32 v2, s3, v0
	v_mov_b32_e32 v3, 0
	s_waitcnt lgkmcnt(0)
	v_pk_add_f16 v1, v1, v6
	v_lshlrev_b64 v[4:5], 1, v[2:3]
	s_add_i32 s3, s3, s2
	v_pk_add_f16 v6, v1, v8
	v_mov_b32_e32 v1, s1
	v_add_co_u32_e32 v4, vcc, s0, v4
	v_or_b32_e32 v2, s3, v0
	v_addc_co_u32_e32 v5, vcc, v1, v5, vcc
	v_lshlrev_b64 v[0:1], 1, v[2:3]
	v_mov_b32_e32 v2, s1
	v_add_co_u32_e32 v0, vcc, s0, v0
	v_addc_co_u32_e32 v1, vcc, v2, v1, vcc
	global_store_short v[4:5], v6, off
	global_store_short_d16_hi v[0:1], v6, off
.LBB77_23:
	s_endpgm
	.section	.rodata,"a",@progbits
	.p2align	6, 0x0
	.amdhsa_kernel _Z38paged_attention_ll4mi_QKV_mfma4_kernelIDF16_DF16_LN4vllm18Fp8KVCacheDataTypeE0EDF16_Li32ELi64ELi256ELb0ELi2EEvPKT_PKT0_S7_ifPKiS9_S9_iPKfiiiPfSC_PS2_PT2_iSB_SB_
		.amdhsa_group_segment_fixed_size 2720
		.amdhsa_private_segment_fixed_size 0
		.amdhsa_kernarg_size 400
		.amdhsa_user_sgpr_count 6
		.amdhsa_user_sgpr_private_segment_buffer 1
		.amdhsa_user_sgpr_dispatch_ptr 0
		.amdhsa_user_sgpr_queue_ptr 0
		.amdhsa_user_sgpr_kernarg_segment_ptr 1
		.amdhsa_user_sgpr_dispatch_id 0
		.amdhsa_user_sgpr_flat_scratch_init 0
		.amdhsa_user_sgpr_kernarg_preload_length 0
		.amdhsa_user_sgpr_kernarg_preload_offset 0
		.amdhsa_user_sgpr_private_segment_size 0
		.amdhsa_uses_dynamic_stack 0
		.amdhsa_system_sgpr_private_segment_wavefront_offset 0
		.amdhsa_system_sgpr_workgroup_id_x 1
		.amdhsa_system_sgpr_workgroup_id_y 1
		.amdhsa_system_sgpr_workgroup_id_z 1
		.amdhsa_system_sgpr_workgroup_info 0
		.amdhsa_system_vgpr_workitem_id 0
		.amdhsa_next_free_vgpr 64
		.amdhsa_next_free_sgpr 38
		.amdhsa_accum_offset 60
		.amdhsa_reserve_vcc 1
		.amdhsa_reserve_flat_scratch 0
		.amdhsa_float_round_mode_32 0
		.amdhsa_float_round_mode_16_64 0
		.amdhsa_float_denorm_mode_32 3
		.amdhsa_float_denorm_mode_16_64 3
		.amdhsa_dx10_clamp 1
		.amdhsa_ieee_mode 1
		.amdhsa_fp16_overflow 0
		.amdhsa_tg_split 0
		.amdhsa_exception_fp_ieee_invalid_op 0
		.amdhsa_exception_fp_denorm_src 0
		.amdhsa_exception_fp_ieee_div_zero 0
		.amdhsa_exception_fp_ieee_overflow 0
		.amdhsa_exception_fp_ieee_underflow 0
		.amdhsa_exception_fp_ieee_inexact 0
		.amdhsa_exception_int_div_zero 0
	.end_amdhsa_kernel
	.section	.text._Z38paged_attention_ll4mi_QKV_mfma4_kernelIDF16_DF16_LN4vllm18Fp8KVCacheDataTypeE0EDF16_Li32ELi64ELi256ELb0ELi2EEvPKT_PKT0_S7_ifPKiS9_S9_iPKfiiiPfSC_PS2_PT2_iSB_SB_,"axG",@progbits,_Z38paged_attention_ll4mi_QKV_mfma4_kernelIDF16_DF16_LN4vllm18Fp8KVCacheDataTypeE0EDF16_Li32ELi64ELi256ELb0ELi2EEvPKT_PKT0_S7_ifPKiS9_S9_iPKfiiiPfSC_PS2_PT2_iSB_SB_,comdat
.Lfunc_end77:
	.size	_Z38paged_attention_ll4mi_QKV_mfma4_kernelIDF16_DF16_LN4vllm18Fp8KVCacheDataTypeE0EDF16_Li32ELi64ELi256ELb0ELi2EEvPKT_PKT0_S7_ifPKiS9_S9_iPKfiiiPfSC_PS2_PT2_iSB_SB_, .Lfunc_end77-_Z38paged_attention_ll4mi_QKV_mfma4_kernelIDF16_DF16_LN4vllm18Fp8KVCacheDataTypeE0EDF16_Li32ELi64ELi256ELb0ELi2EEvPKT_PKT0_S7_ifPKiS9_S9_iPKfiiiPfSC_PS2_PT2_iSB_SB_
                                        ; -- End function
	.section	.AMDGPU.csdata,"",@progbits
; Kernel info:
; codeLenInByte = 2944
; NumSgprs: 42
; NumVgprs: 57
; NumAgprs: 4
; TotalNumVgprs: 64
; ScratchSize: 0
; MemoryBound: 0
; FloatMode: 240
; IeeeMode: 1
; LDSByteSize: 2720 bytes/workgroup (compile time only)
; SGPRBlocks: 5
; VGPRBlocks: 7
; NumSGPRsForWavesPerEU: 42
; NumVGPRsForWavesPerEU: 64
; AccumOffset: 60
; Occupancy: 8
; WaveLimiterHint : 1
; COMPUTE_PGM_RSRC2:SCRATCH_EN: 0
; COMPUTE_PGM_RSRC2:USER_SGPR: 6
; COMPUTE_PGM_RSRC2:TRAP_HANDLER: 0
; COMPUTE_PGM_RSRC2:TGID_X_EN: 1
; COMPUTE_PGM_RSRC2:TGID_Y_EN: 1
; COMPUTE_PGM_RSRC2:TGID_Z_EN: 1
; COMPUTE_PGM_RSRC2:TIDIG_COMP_CNT: 0
; COMPUTE_PGM_RSRC3_GFX90A:ACCUM_OFFSET: 14
; COMPUTE_PGM_RSRC3_GFX90A:TG_SPLIT: 0
	.section	.text._Z38paged_attention_ll4mi_QKV_mfma4_kernelIDF16_DF16_LN4vllm18Fp8KVCacheDataTypeE0EDF16_Li32ELi64ELi256ELb0ELi3EEvPKT_PKT0_S7_ifPKiS9_S9_iPKfiiiPfSC_PS2_PT2_iSB_SB_,"axG",@progbits,_Z38paged_attention_ll4mi_QKV_mfma4_kernelIDF16_DF16_LN4vllm18Fp8KVCacheDataTypeE0EDF16_Li32ELi64ELi256ELb0ELi3EEvPKT_PKT0_S7_ifPKiS9_S9_iPKfiiiPfSC_PS2_PT2_iSB_SB_,comdat
	.protected	_Z38paged_attention_ll4mi_QKV_mfma4_kernelIDF16_DF16_LN4vllm18Fp8KVCacheDataTypeE0EDF16_Li32ELi64ELi256ELb0ELi3EEvPKT_PKT0_S7_ifPKiS9_S9_iPKfiiiPfSC_PS2_PT2_iSB_SB_ ; -- Begin function _Z38paged_attention_ll4mi_QKV_mfma4_kernelIDF16_DF16_LN4vllm18Fp8KVCacheDataTypeE0EDF16_Li32ELi64ELi256ELb0ELi3EEvPKT_PKT0_S7_ifPKiS9_S9_iPKfiiiPfSC_PS2_PT2_iSB_SB_
	.globl	_Z38paged_attention_ll4mi_QKV_mfma4_kernelIDF16_DF16_LN4vllm18Fp8KVCacheDataTypeE0EDF16_Li32ELi64ELi256ELb0ELi3EEvPKT_PKT0_S7_ifPKiS9_S9_iPKfiiiPfSC_PS2_PT2_iSB_SB_
	.p2align	8
	.type	_Z38paged_attention_ll4mi_QKV_mfma4_kernelIDF16_DF16_LN4vllm18Fp8KVCacheDataTypeE0EDF16_Li32ELi64ELi256ELb0ELi3EEvPKT_PKT0_S7_ifPKiS9_S9_iPKfiiiPfSC_PS2_PT2_iSB_SB_,@function
_Z38paged_attention_ll4mi_QKV_mfma4_kernelIDF16_DF16_LN4vllm18Fp8KVCacheDataTypeE0EDF16_Li32ELi64ELi256ELb0ELi3EEvPKT_PKT0_S7_ifPKiS9_S9_iPKfiiiPfSC_PS2_PT2_iSB_SB_: ; @_Z38paged_attention_ll4mi_QKV_mfma4_kernelIDF16_DF16_LN4vllm18Fp8KVCacheDataTypeE0EDF16_Li32ELi64ELi256ELb0ELi3EEvPKT_PKT0_S7_ifPKiS9_S9_iPKfiiiPfSC_PS2_PT2_iSB_SB_
; %bb.0:
	s_load_dwordx2 s[2:3], s[4:5], 0x30
	s_mov_b32 s24, s7
	s_mov_b64 s[0:1], 0
	s_waitcnt lgkmcnt(0)
	s_cmp_lg_u64 s[2:3], 0
	s_cselect_b64 s[10:11], -1, 0
	s_and_b64 vcc, exec, s[10:11]
	s_cbranch_vccz .LBB78_10
; %bb.1:
	s_add_i32 s12, s6, 1
	s_mov_b32 s13, 0
	s_lshl_b64 s[14:15], s[12:13], 2
	s_add_u32 s14, s2, s14
	s_mov_b32 s7, s13
	s_addc_u32 s15, s3, s15
	s_lshl_b64 s[12:13], s[6:7], 2
	s_add_u32 s12, s2, s12
	s_addc_u32 s13, s3, s13
	s_load_dword s9, s[14:15], 0x0
	s_load_dword s16, s[12:13], 0x0
	s_waitcnt lgkmcnt(0)
	s_sub_i32 s9, s9, s16
	s_cmp_eq_u32 s9, 1
	s_cselect_b64 s[12:13], -1, 0
	s_andn2_b64 vcc, exec, s[0:1]
	s_cbranch_vccnz .LBB78_3
.LBB78_2:
	s_mov_b32 s7, 0
	s_mov_b64 s[12:13], -1
.LBB78_3:
	s_andn2_b64 vcc, exec, s[12:13]
	s_cbranch_vccnz .LBB78_23
; %bb.4:
	s_load_dword s9, s[4:5], 0x9c
	s_load_dwordx2 s[0:1], s[4:5], 0x28
	s_add_u32 s28, s4, 0x90
	s_addc_u32 s29, s5, 0
	s_lshl_b64 s[20:21], s[6:7], 2
	s_waitcnt lgkmcnt(0)
	s_and_b32 s12, s9, 0xffff
	s_add_u32 s0, s0, s20
	s_addc_u32 s1, s1, s21
	s_load_dword s9, s[0:1], 0x0
	s_mul_i32 s16, s24, s12
	s_waitcnt lgkmcnt(0)
	s_cmp_ge_i32 s16, s9
	s_cbranch_scc1 .LBB78_23
; %bb.5:
	v_and_b32_e32 v2, 0xc0, v0
	v_add_u32_e32 v2, s16, v2
	v_lshrrev_b32_e32 v1, 6, v0
	v_cmp_gt_i32_e64 s[0:1], s9, v2
	v_cmp_le_i32_e32 vcc, s9, v2
                                        ; implicit-def: $sgpr18
                                        ; implicit-def: $sgpr17
	s_and_saveexec_b64 s[12:13], vcc
	s_xor_b64 s[12:13], exec, s[12:13]
	s_cbranch_execz .LBB78_7
; %bb.6:
	v_mul_u32_u24_e32 v2, 20, v1
	v_or_b32_e32 v2, 0xa00, v2
	v_mov_b32_e32 v3, 0xa50
	v_mov_b32_e32 v4, 0xff7fffff
	v_mad_u32_u24 v3, v1, 20, v3
	ds_write2_b32 v2, v4, v4 offset1:1
	v_mov_b32_e32 v2, 0
	ds_write2_b32 v3, v2, v2 offset1:1
	v_mov_b32_e32 v3, 0xa08
	s_mov_b32 s17, 0xff7fffff
	s_mov_b32 s18, 0
	v_mad_u32_u24 v3, v1, 20, v3
	v_mov_b32_e32 v5, 0xa58
	v_mad_u32_u24 v5, v1, 20, v5
	ds_write2_b32 v3, v4, v4 offset1:1
	ds_write2_b32 v5, v2, v2 offset1:1
                                        ; implicit-def: $vgpr2
.LBB78_7:
	s_or_saveexec_b64 s[30:31], s[12:13]
	s_load_dwordx2 s[26:27], s[4:5], 0x68
	s_load_dwordx4 s[12:15], s[4:5], 0x58
	s_load_dword s7, s[28:29], 0x4
	v_and_b32_e32 v40, 63, v0
	v_and_b32_e32 v38, 3, v0
	v_mov_b32_e32 v37, s18
	v_mov_b32_e32 v41, s17
	v_mov_b32_e32 v36, s18
	v_mov_b32_e32 v35, s18
	v_mov_b32_e32 v34, s18
                                        ; implicit-def: $vgpr3
                                        ; implicit-def: $vgpr7
                                        ; implicit-def: $vgpr11
                                        ; implicit-def: $vgpr15
                                        ; implicit-def: $vgpr19
                                        ; implicit-def: $vgpr23
                                        ; implicit-def: $vgpr27
                                        ; implicit-def: $vgpr31
	s_xor_b64 exec, exec, s[30:31]
	s_cbranch_execz .LBB78_17
; %bb.8:
	s_add_i32 s22, s9, 31
	s_load_dwordx2 s[18:19], s[4:5], 0x20
	s_load_dword s17, s[4:5], 0x38
	s_ashr_i32 s23, s22, 31
	s_lshr_b32 s23, s23, 27
	v_add_u32_e32 v39, s16, v0
	s_add_i32 s22, s22, s23
	v_ashrrev_i32_e32 v3, 31, v39
	s_ashr_i32 s22, s22, 5
	v_lshrrev_b32_e32 v3, 27, v3
	s_add_i32 s25, s22, -1
	v_add_u32_e32 v3, v39, v3
	s_waitcnt lgkmcnt(0)
	s_mul_i32 s22, s6, s17
	s_mov_b32 s23, 0
	v_ashrrev_i32_e32 v3, 5, v3
	v_mov_b32_e32 v4, s25
	v_cmp_gt_i32_e32 vcc, s9, v39
	s_lshl_b64 s[22:23], s[22:23], 2
	v_cndmask_b32_e32 v4, v4, v3, vcc
	s_add_u32 s17, s18, s22
	v_ashrrev_i32_e32 v5, 31, v4
	s_addc_u32 s18, s19, s23
	v_lshlrev_b64 v[4:5], 2, v[4:5]
	v_mov_b32_e32 v3, s18
	v_add_co_u32_e32 v6, vcc, s17, v4
	v_addc_co_u32_e32 v7, vcc, v3, v5, vcc
	v_ashrrev_i32_e32 v3, 31, v2
	v_lshrrev_b32_e32 v3, 27, v3
	v_add_u32_e32 v2, v2, v3
	v_ashrrev_i32_e32 v4, 5, v2
	v_min_i32_e32 v2, s25, v4
	v_ashrrev_i32_e32 v3, 31, v2
	v_lshlrev_b64 v[2:3], 2, v[2:3]
	v_add_co_u32_e32 v8, vcc, s17, v2
	v_add_u32_e32 v2, 1, v4
	v_mov_b32_e32 v5, s18
	v_min_i32_e32 v2, s25, v2
	v_addc_co_u32_e32 v9, vcc, v5, v3, vcc
	v_ashrrev_i32_e32 v3, 31, v2
	v_lshlrev_b64 v[2:3], 2, v[2:3]
	v_mov_b32_e32 v4, s18
	v_add_co_u32_e32 v10, vcc, s17, v2
	v_addc_co_u32_e32 v11, vcc, v4, v3, vcc
	global_load_dword v2, v[6:7], off
	global_load_dword v5, v[8:9], off
	;; [unrolled: 1-line block ×3, first 2 shown]
	s_load_dwordx4 s[16:19], s[4:5], 0x8
	s_andn2_b64 vcc, exec, s[10:11]
	s_cbranch_vccnz .LBB78_11
; %bb.9:
	s_add_u32 s2, s2, s20
	s_addc_u32 s3, s3, s21
	s_load_dword s2, s[2:3], 0x0
	s_branch .LBB78_12
.LBB78_10:
	s_mov_b64 s[12:13], 0
	s_branch .LBB78_2
.LBB78_11:
	s_mov_b32 s2, s6
.LBB78_12:
	s_load_dwordx4 s[20:23], s[4:5], 0x48
	v_cmp_ne_u32_e32 vcc, 3, v38
	s_mov_b32 s3, 0
	v_mov_b32_e32 v41, 1.0
	v_mov_b32_e32 v3, 0
	v_mov_b32_e32 v34, 0
	;; [unrolled: 1-line block ×5, first 2 shown]
	s_and_saveexec_b64 s[10:11], vcc
	s_cbranch_execz .LBB78_14
; %bb.13:
	s_load_dwordx2 s[34:35], s[4:5], 0x0
	s_waitcnt lgkmcnt(0)
	s_ashr_i32 s23, s20, 31
	s_mul_hi_u32 s25, s2, s20
	s_mul_i32 s23, s2, s23
	s_add_i32 s37, s25, s23
	s_mul_i32 s36, s2, s20
	s_lshl_b64 s[36:37], s[36:37], 1
	s_add_u32 s20, s34, s36
	s_mul_i32 s2, s8, 0xc0
	s_addc_u32 s23, s35, s37
	s_lshl_b64 s[34:35], s[2:3], 1
	s_add_u32 s34, s20, s34
	v_lshlrev_b32_e32 v6, 3, v38
	v_lshrrev_b32_e32 v7, 2, v40
	s_addc_u32 s35, s23, s35
	v_add_lshl_u32 v6, v6, v7, 4
	global_load_dwordx4 v[34:37], v6, s[34:35]
	v_mov_b32_e32 v41, 0
.LBB78_14:
	s_or_b64 exec, exec, s[10:11]
	s_waitcnt lgkmcnt(0)
	s_mul_i32 s2, s8, s22
	s_waitcnt vmcnt(2)
	v_mad_i64_i32 v[6:7], s[10:11], v2, s21, 0
	s_lshl_b64 s[2:3], s[2:3], 1
	s_add_u32 s10, s2, s16
	v_lshlrev_b64 v[6:7], 1, v[6:7]
	s_addc_u32 s11, s3, s17
	v_mov_b32_e32 v2, s11
	v_add_co_u32_e32 v6, vcc, s10, v6
	v_addc_co_u32_e32 v2, vcc, v2, v7, vcc
	v_and_b32_e32 v7, 31, v0
	v_lshlrev_b32_e32 v7, 4, v7
	v_add_co_u32_e32 v30, vcc, v6, v7
	v_addc_co_u32_e32 v31, vcc, 0, v2, vcc
	global_load_dwordx4 v[6:9], v[30:31], off
	global_load_dwordx4 v[10:13], v[30:31], off offset:512
	global_load_dwordx4 v[14:17], v[30:31], off offset:1024
	global_load_dwordx4 v[18:21], v[30:31], off offset:1536
	global_load_dwordx4 v[22:25], v[30:31], off offset:2048
	global_load_dwordx4 v[26:29], v[30:31], off offset:2560
	global_load_dwordx4 v[42:45], v[30:31], off offset:3072
	global_load_dwordx4 v[46:49], v[30:31], off offset:3584
	s_waitcnt vmcnt(9)
	v_mul_hi_i32 v2, v5, s21
	v_cmp_eq_u32_e32 vcc, 0, v38
	v_ashrrev_i32_e32 v2, 31, v2
	s_waitcnt vmcnt(8)
	v_mul_hi_i32 v30, v4, s21
	v_cndmask_b32_e64 v52, 0, 1.0, vcc
	v_cmp_eq_u32_e32 vcc, 1, v38
	v_lshrrev_b32_e32 v2, 29, v2
	s_add_u32 s2, s18, s2
	v_lshlrev_b32_e32 v32, 6, v40
	v_cndmask_b32_e64 v53, 0, 1.0, vcc
	v_cmp_eq_u32_e32 vcc, 2, v38
	v_ashrrev_i32_e32 v33, 31, v30
	v_mad_i64_i32 v[30:31], s[10:11], v5, s21, v[2:3]
	s_addc_u32 s3, s19, s3
	v_cndmask_b32_e64 v54, 0, 1.0, vcc
	v_lshrrev_b32_e32 v2, 29, v33
	v_lshlrev_b64 v[30:31], 1, v[30:31]
	v_mov_b32_e32 v5, s3
	v_mad_i64_i32 v[2:3], s[10:11], v4, s21, v[2:3]
	v_and_b32_e32 v4, -16, v30
	v_lshlrev_b64 v[2:3], 1, v[2:3]
	v_and_b32_e32 v2, -16, v2
	s_load_dword s4, s[4:5], 0x1c
	v_and_b32_e32 v55, -4, v39
	v_or_b32_e32 v39, 3, v39
	v_cmp_gt_i32_e64 s[10:11], s9, v39
	v_lshlrev_b32_e32 v56, 2, v0
	s_waitcnt vmcnt(7)
	v_mfma_f32_4x4x4f16 a[0:3], v[34:35], v[6:7], 0 cbsz:4
	v_add_co_u32_e32 v6, vcc, s2, v32
	v_mfma_f32_4x4x4f16 a[0:3], v[36:37], v[8:9], a[0:3] cbsz:4
	v_addc_co_u32_e32 v5, vcc, 0, v5, vcc
	s_waitcnt vmcnt(6)
	v_mfma_f32_4x4x4f16 a[0:3], v[34:35], v[10:11], a[0:3] cbsz:4 abid:1
	v_mfma_f32_4x4x4f16 a[0:3], v[36:37], v[12:13], a[0:3] cbsz:4 abid:1
	s_waitcnt vmcnt(5)
	v_mfma_f32_4x4x4f16 a[0:3], v[34:35], v[14:15], a[0:3] cbsz:4 abid:2
	v_mfma_f32_4x4x4f16 a[0:3], v[36:37], v[16:17], a[0:3] cbsz:4 abid:2
	s_waitcnt vmcnt(4)
	v_mfma_f32_4x4x4f16 a[0:3], v[34:35], v[18:19], a[0:3] cbsz:4 abid:3
	v_add_co_u32_e32 v18, vcc, v6, v4
	v_mfma_f32_4x4x4f16 a[0:3], v[36:37], v[20:21], a[0:3] cbsz:4 abid:3
	v_addc_co_u32_e32 v19, vcc, v5, v31, vcc
	s_waitcnt vmcnt(3)
	v_mfma_f32_4x4x4f16 a[0:3], v[34:35], v[22:23], a[0:3] cbsz:4 abid:4
	v_add_co_u32_e32 v50, vcc, v6, v2
	v_mfma_f32_4x4x4f16 a[0:3], v[36:37], v[24:25], a[0:3] cbsz:4 abid:4
	v_addc_co_u32_e32 v51, vcc, v5, v3, vcc
	s_waitcnt vmcnt(2)
	v_mfma_f32_4x4x4f16 a[0:3], v[34:35], v[26:27], a[0:3] cbsz:4 abid:5
	global_load_dwordx4 v[2:5], v[18:19], off
	global_load_dwordx4 v[6:9], v[18:19], off offset:16
	global_load_dwordx4 v[10:13], v[18:19], off offset:32
	;; [unrolled: 1-line block ×3, first 2 shown]
	v_mfma_f32_4x4x4f16 a[0:3], v[36:37], v[28:29], a[0:3] cbsz:4 abid:5
	global_load_dwordx4 v[18:21], v[50:51], off
	global_load_dwordx4 v[22:25], v[50:51], off offset:16
	global_load_dwordx4 v[26:29], v[50:51], off offset:32
	;; [unrolled: 1-line block ×3, first 2 shown]
	s_waitcnt vmcnt(9)
	v_mfma_f32_4x4x4f16 a[0:3], v[34:35], v[42:43], a[0:3] cbsz:4 abid:6
	v_mov_b32_e32 v42, 0xff7fffff
	v_mfma_f32_4x4x4f16 a[0:3], v[36:37], v[44:45], a[0:3] cbsz:4 abid:6
	v_cmp_gt_i32_e32 vcc, s9, v55
	s_waitcnt vmcnt(8)
	v_mfma_f32_4x4x4f16 a[0:3], v[34:35], v[46:47], a[0:3] cbsz:4 abid:7
	v_and_or_b32 v43, v56, 48, v38
	v_mfma_f32_4x4x4f16 a[0:3], v[36:37], v[48:49], a[0:3] cbsz:4 abid:7
	v_lshlrev_b32_e32 v43, 2, v43
	s_nop 3
	v_accvgpr_read_b32 v35, a1
	v_accvgpr_read_b32 v34, a0
	s_waitcnt lgkmcnt(0)
	v_pk_mul_f32 v[34:35], s[4:5], v[34:35] op_sel_hi:[0,1]
	v_accvgpr_read_b32 v37, a3
	v_accvgpr_read_b32 v36, a2
	v_pk_mul_f32 v[36:37], s[4:5], v[36:37] op_sel_hi:[0,1]
	v_mfma_f32_4x4x1f32 a[0:3], v34, v52, 0
	v_or_b32_e32 v34, 1, v55
	v_mfma_f32_4x4x1f32 a[0:3], v35, v53, a[0:3]
	v_cmp_gt_i32_e64 s[2:3], s9, v34
	v_mfma_f32_4x4x1f32 a[0:3], v36, v54, a[0:3]
	v_or_b32_e32 v35, 2, v55
	v_mfma_f32_4x4x1f32 a[0:3], v37, v41, a[0:3]
	v_cmp_gt_i32_e64 s[4:5], s9, v35
	s_nop 3
	v_accvgpr_read_b32 v36, a0
	v_max_f32_e32 v41, v36, v36
	v_accvgpr_read_b32 v37, a1
	v_max_f32_e32 v41, 0xff7fffff, v41
	v_max_f32_e32 v46, v37, v37
	v_cndmask_b32_e32 v41, v42, v41, vcc
	v_accvgpr_read_b32 v44, a2
	v_max_f32_e32 v42, v41, v46
	v_max_f32_e32 v47, v44, v44
	v_cndmask_b32_e64 v34, v41, v42, s[2:3]
	v_accvgpr_read_b32 v45, a3
	v_max_f32_e32 v41, v34, v47
	v_max_f32_e32 v48, v45, v45
	v_cndmask_b32_e64 v34, v34, v41, s[4:5]
	v_max_f32_e32 v35, v34, v48
	v_cndmask_b32_e64 v34, v34, v35, s[10:11]
	;;#ASMSTART
	v_nop
 v_nop
 v_max_f32_dpp v34, v34, v34 row_ror:4
	;;#ASMEND
	;;#ASMSTART
	v_nop
 v_nop
 v_max_f32_dpp v34, v34, v34 row_ror:8
	;;#ASMEND
	ds_bpermute_b32 v34, v43, v34
	s_waitcnt lgkmcnt(0)
	;;#ASMSTART
	v_nop
 v_nop
 v_max_f32_dpp v34, v34, v34 row_ror:4
	;;#ASMEND
	;;#ASMSTART
	v_nop
 v_nop
 v_max_f32_dpp v41, v34, v34 row_ror:8
	;;#ASMEND
	v_sub_f32_e32 v34, v36, v41
	v_sub_f32_e32 v35, v37, v41
	v_mul_f32_e32 v34, 0x3fb8aa3b, v34
	v_sub_f32_e32 v36, v44, v41
	v_mul_f32_e32 v35, 0x3fb8aa3b, v35
	v_exp_f32_e32 v34, v34
	v_sub_f32_e32 v37, v45, v41
	v_mul_f32_e32 v36, 0x3fb8aa3b, v36
	v_exp_f32_e32 v35, v35
	v_mul_f32_e32 v37, 0x3fb8aa3b, v37
	v_exp_f32_e32 v36, v36
	v_exp_f32_e32 v37, v37
	v_cndmask_b32_e32 v34, 0, v34, vcc
	v_cndmask_b32_e64 v35, 0, v35, s[2:3]
	v_add_f32_e32 v39, 0, v34
	v_cndmask_b32_e64 v36, 0, v36, s[4:5]
	v_add_f32_e32 v39, v39, v35
	;; [unrolled: 2-line block ×3, first 2 shown]
	v_add_f32_e32 v39, v39, v37
	;;#ASMSTART
	v_nop
 v_nop
 v_add_f32_dpp v39, v39, v39 row_ror:4
	;;#ASMEND
	;;#ASMSTART
	v_nop
 v_nop
 v_add_f32_dpp v39, v39, v39 row_ror:8
	;;#ASMEND
	ds_bpermute_b32 v39, v43, v39
	s_waitcnt lgkmcnt(0)
	;;#ASMSTART
	v_nop
 v_nop
 v_add_f32_dpp v39, v39, v39 row_ror:4
	;;#ASMEND
	v_cmp_gt_u32_e32 vcc, 4, v40
	;;#ASMSTART
	v_nop
 v_nop
 v_add_f32_dpp v39, v39, v39 row_ror:8
	;;#ASMEND
	s_and_saveexec_b64 s[2:3], vcc
	s_cbranch_execz .LBB78_16
; %bb.15:
	v_mul_u32_u24_e32 v42, 20, v1
	v_lshl_add_u32 v42, v38, 2, v42
	v_add_u32_e32 v42, 0x800, v42
	ds_write2_b32 v42, v41, v39 offset0:128 offset1:148
.LBB78_16:
	s_or_b64 exec, exec, s[2:3]
.LBB78_17:
	s_or_b64 exec, exec, s[30:31]
	s_waitcnt lgkmcnt(0)
	s_barrier
	s_load_dword s2, s[28:29], 0x8
	v_lshlrev_b32_e32 v39, 2, v38
	v_add_u32_e32 v39, 0x800, v39
	ds_read2_b32 v[44:45], v39 offset0:128 offset1:133
	ds_read2_b32 v[46:47], v39 offset0:138 offset1:143
	s_mul_i32 s3, s6, s7
	s_waitcnt lgkmcnt(0)
	s_mul_i32 s2, s3, s2
	s_mov_b32 s3, 0xff7fffff
	v_max3_f32 v42, v44, s3, v45
	v_max3_f32 v42, v42, v46, v47
	v_sub_f32_e32 v43, v44, v42
	v_sub_f32_e32 v44, v45, v42
	ds_read2_b32 v[48:49], v39 offset0:148 offset1:153
	v_mul_f32_e32 v43, 0x3fb8aa3b, v43
	v_mul_f32_e32 v44, 0x3fb8aa3b, v44
	v_exp_f32_e32 v43, v43
	v_exp_f32_e32 v50, v44
	ds_read2_b32 v[44:45], v39 offset0:158 offset1:163
	v_sub_f32_e32 v39, v46, v42
	v_mul_f32_e32 v39, 0x3fb8aa3b, v39
	v_sub_f32_e32 v46, v47, v42
	v_exp_f32_e32 v39, v39
	v_mul_f32_e32 v46, 0x3fb8aa3b, v46
	v_exp_f32_e32 v46, v46
	s_waitcnt lgkmcnt(1)
	v_fma_f32 v43, v43, v48, 0
	v_fmac_f32_e32 v43, v50, v49
	s_waitcnt lgkmcnt(0)
	v_fmac_f32_e32 v43, v39, v44
	s_mul_i32 s8, s8, 3
	s_mul_i32 s2, s2, 3
	v_fmac_f32_e32 v43, v46, v45
	v_cmp_ne_u32_e32 vcc, 3, v38
	s_and_saveexec_b64 s[4:5], vcc
	s_cbranch_execz .LBB78_19
; %bb.18:
	s_mov_b32 s3, 0
	s_lshl_b64 s[10:11], s[2:3], 2
	s_add_u32 s6, s12, s10
	s_mov_b32 s25, s3
	s_addc_u32 s9, s13, s11
	s_lshl_b64 s[12:13], s[24:25], 2
	s_add_u32 s3, s6, s12
	s_addc_u32 s6, s9, s13
	v_add_u32_e32 v38, s8, v38
	s_add_u32 s9, s14, s10
	v_mul_lo_u32 v38, s7, v38
	v_mov_b32_e32 v39, 0
	s_addc_u32 s10, s15, s11
	v_lshlrev_b64 v[38:39], 2, v[38:39]
	s_add_u32 s9, s9, s12
	v_mov_b32_e32 v45, s6
	v_add_co_u32_e32 v44, vcc, s3, v38
	s_addc_u32 s10, s10, s13
	v_addc_co_u32_e32 v45, vcc, v45, v39, vcc
	v_mov_b32_e32 v46, s10
	v_add_co_u32_e32 v38, vcc, s9, v38
	v_addc_co_u32_e32 v39, vcc, v46, v39, vcc
	global_store_dword v[38:39], v42, off
	global_store_dword v[44:45], v43, off
.LBB78_19:
	s_or_b64 exec, exec, s[4:5]
	v_mov_b32_e32 v38, 0
	v_mov_b32_e32 v39, 0
	s_and_saveexec_b64 s[4:5], s[0:1]
	s_cbranch_execz .LBB78_21
; %bb.20:
	v_add_f32_e32 v38, 0x358637bd, v43
	v_div_scale_f32 v39, s[0:1], v38, v38, 1.0
	v_rcp_f32_e32 v43, v39
	v_div_scale_f32 v44, vcc, 1.0, v38, 1.0
	v_sub_f32_e32 v41, v41, v42
	v_fma_f32 v45, -v39, v43, 1.0
	v_fmac_f32_e32 v43, v45, v43
	v_mul_f32_e32 v45, v44, v43
	v_fma_f32 v46, -v39, v45, v44
	v_mul_f32_e32 v41, 0x3fb8aa3b, v41
	v_fmac_f32_e32 v45, v46, v43
	v_exp_f32_e32 v41, v41
	v_fma_f32 v39, -v39, v45, v44
	v_div_fmas_f32 v39, v39, v43, v45
	v_div_fixup_f32 v38, v39, v38, 1.0
	v_mul_f32_e32 v38, v41, v38
	v_pk_mul_f32 v[36:37], v[36:37], v[38:39] op_sel_hi:[1,0]
	v_pk_mul_f32 v[34:35], v[34:35], v[38:39] op_sel_hi:[1,0]
	v_cvt_f16_f32_e32 v34, v34
	v_cvt_f16_f32_e32 v35, v35
	;; [unrolled: 1-line block ×4, first 2 shown]
	s_mov_b32 s0, 0x5040100
	v_pack_b32_f16 v34, v34, v35
	v_pack_b32_f16 v35, v36, v37
	s_waitcnt vmcnt(7)
	s_nop 0
	v_mfma_f32_4x4x4f16 a[0:3], v[34:35], v[2:3], 0 cbsz:4
	v_mfma_f32_4x4x4f16 a[0:3], v[34:35], v[4:5], a[0:3] cbsz:4 abid:1
	s_waitcnt vmcnt(6)
	v_mfma_f32_4x4x4f16 a[0:3], v[34:35], v[6:7], a[0:3] cbsz:4 abid:2
	v_mfma_f32_4x4x4f16 a[0:3], v[34:35], v[8:9], a[0:3] cbsz:4 abid:3
	s_waitcnt vmcnt(5)
	v_mfma_f32_4x4x4f16 a[0:3], v[34:35], v[10:11], a[0:3] cbsz:4 abid:4
	;; [unrolled: 3-line block ×7, first 2 shown]
	v_mfma_f32_4x4x4f16 a[0:3], v[34:35], v[32:33], a[0:3] cbsz:4 abid:15
	s_nop 4
	v_accvgpr_read_b32 v2, a0
	v_accvgpr_read_b32 v3, a1
	;; [unrolled: 1-line block ×4, first 2 shown]
	v_cvt_f16_f32_e32 v2, v2
	v_cvt_f16_f32_e32 v3, v3
	;; [unrolled: 1-line block ×4, first 2 shown]
	v_perm_b32 v38, v3, v2, s0
	v_perm_b32 v39, v5, v4, s0
.LBB78_21:
	s_or_b64 exec, exec, s[4:5]
	v_lshlrev_b32_e32 v1, 3, v1
	v_mad_u32_u24 v1, v40, 40, v1
	v_cmp_gt_u32_e32 vcc, 64, v0
	ds_write_b64 v1, v[38:39]
	s_waitcnt lgkmcnt(0)
	s_barrier
	s_and_saveexec_b64 s[0:1], vcc
	s_cbranch_execz .LBB78_23
; %bb.22:
	v_mul_u32_u24_e32 v1, 40, v40
	s_waitcnt vmcnt(7)
	ds_read2_b64 v[2:5], v1 offset1:1
	s_waitcnt vmcnt(6)
	ds_read2_b64 v[6:9], v1 offset0:2 offset1:3
	s_mov_b32 s1, 0
	s_lshl_b32 s0, s2, 6
	s_lshl_b64 s[2:3], s[0:1], 1
	s_add_u32 s2, s26, s2
	s_addc_u32 s3, s27, s3
	s_lshl_b32 s0, s24, 6
	s_lshl_b64 s[0:1], s[0:1], 1
	s_waitcnt lgkmcnt(1)
	v_pk_add_f16 v1, v2, 0
	v_pk_add_f16 v2, v3, 0
	s_add_u32 s0, s2, s0
	v_pk_add_f16 v2, v2, v5
	s_addc_u32 s1, s3, s1
	s_lshl_b32 s2, s7, 6
	v_pk_add_f16 v1, v1, v4
	s_waitcnt lgkmcnt(0)
	v_pk_add_f16 v2, v2, v7
	s_mul_i32 s3, s2, s8
	v_pk_add_f16 v1, v1, v6
	v_pk_add_f16 v6, v2, v9
	v_or_b32_e32 v2, s3, v0
	v_mov_b32_e32 v3, 0
	v_lshlrev_b64 v[4:5], 1, v[2:3]
	v_mov_b32_e32 v2, s1
	v_add_co_u32_e32 v4, vcc, s0, v4
	s_add_i32 s3, s3, s2
	v_pk_add_f16 v1, v1, v8
	v_addc_co_u32_e32 v5, vcc, v2, v5, vcc
	v_or_b32_e32 v2, s3, v0
	global_store_short v[4:5], v1, off
	v_lshlrev_b64 v[4:5], 1, v[2:3]
	v_mov_b32_e32 v2, s1
	v_add_co_u32_e32 v4, vcc, s0, v4
	s_add_i32 s3, s3, s2
	v_addc_co_u32_e32 v5, vcc, v2, v5, vcc
	v_or_b32_e32 v2, s3, v0
	global_store_short_d16_hi v[4:5], v1, off
	v_lshlrev_b64 v[0:1], 1, v[2:3]
	v_mov_b32_e32 v2, s1
	v_add_co_u32_e32 v0, vcc, s0, v0
	v_addc_co_u32_e32 v1, vcc, v2, v1, vcc
	global_store_short v[0:1], v6, off
.LBB78_23:
	s_endpgm
	.section	.rodata,"a",@progbits
	.p2align	6, 0x0
	.amdhsa_kernel _Z38paged_attention_ll4mi_QKV_mfma4_kernelIDF16_DF16_LN4vllm18Fp8KVCacheDataTypeE0EDF16_Li32ELi64ELi256ELb0ELi3EEvPKT_PKT0_S7_ifPKiS9_S9_iPKfiiiPfSC_PS2_PT2_iSB_SB_
		.amdhsa_group_segment_fixed_size 2720
		.amdhsa_private_segment_fixed_size 0
		.amdhsa_kernarg_size 400
		.amdhsa_user_sgpr_count 6
		.amdhsa_user_sgpr_private_segment_buffer 1
		.amdhsa_user_sgpr_dispatch_ptr 0
		.amdhsa_user_sgpr_queue_ptr 0
		.amdhsa_user_sgpr_kernarg_segment_ptr 1
		.amdhsa_user_sgpr_dispatch_id 0
		.amdhsa_user_sgpr_flat_scratch_init 0
		.amdhsa_user_sgpr_kernarg_preload_length 0
		.amdhsa_user_sgpr_kernarg_preload_offset 0
		.amdhsa_user_sgpr_private_segment_size 0
		.amdhsa_uses_dynamic_stack 0
		.amdhsa_system_sgpr_private_segment_wavefront_offset 0
		.amdhsa_system_sgpr_workgroup_id_x 1
		.amdhsa_system_sgpr_workgroup_id_y 1
		.amdhsa_system_sgpr_workgroup_id_z 1
		.amdhsa_system_sgpr_workgroup_info 0
		.amdhsa_system_vgpr_workitem_id 0
		.amdhsa_next_free_vgpr 64
		.amdhsa_next_free_sgpr 38
		.amdhsa_accum_offset 60
		.amdhsa_reserve_vcc 1
		.amdhsa_reserve_flat_scratch 0
		.amdhsa_float_round_mode_32 0
		.amdhsa_float_round_mode_16_64 0
		.amdhsa_float_denorm_mode_32 3
		.amdhsa_float_denorm_mode_16_64 3
		.amdhsa_dx10_clamp 1
		.amdhsa_ieee_mode 1
		.amdhsa_fp16_overflow 0
		.amdhsa_tg_split 0
		.amdhsa_exception_fp_ieee_invalid_op 0
		.amdhsa_exception_fp_denorm_src 0
		.amdhsa_exception_fp_ieee_div_zero 0
		.amdhsa_exception_fp_ieee_overflow 0
		.amdhsa_exception_fp_ieee_underflow 0
		.amdhsa_exception_fp_ieee_inexact 0
		.amdhsa_exception_int_div_zero 0
	.end_amdhsa_kernel
	.section	.text._Z38paged_attention_ll4mi_QKV_mfma4_kernelIDF16_DF16_LN4vllm18Fp8KVCacheDataTypeE0EDF16_Li32ELi64ELi256ELb0ELi3EEvPKT_PKT0_S7_ifPKiS9_S9_iPKfiiiPfSC_PS2_PT2_iSB_SB_,"axG",@progbits,_Z38paged_attention_ll4mi_QKV_mfma4_kernelIDF16_DF16_LN4vllm18Fp8KVCacheDataTypeE0EDF16_Li32ELi64ELi256ELb0ELi3EEvPKT_PKT0_S7_ifPKiS9_S9_iPKfiiiPfSC_PS2_PT2_iSB_SB_,comdat
.Lfunc_end78:
	.size	_Z38paged_attention_ll4mi_QKV_mfma4_kernelIDF16_DF16_LN4vllm18Fp8KVCacheDataTypeE0EDF16_Li32ELi64ELi256ELb0ELi3EEvPKT_PKT0_S7_ifPKiS9_S9_iPKfiiiPfSC_PS2_PT2_iSB_SB_, .Lfunc_end78-_Z38paged_attention_ll4mi_QKV_mfma4_kernelIDF16_DF16_LN4vllm18Fp8KVCacheDataTypeE0EDF16_Li32ELi64ELi256ELb0ELi3EEvPKT_PKT0_S7_ifPKiS9_S9_iPKfiiiPfSC_PS2_PT2_iSB_SB_
                                        ; -- End function
	.section	.AMDGPU.csdata,"",@progbits
; Kernel info:
; codeLenInByte = 3012
; NumSgprs: 42
; NumVgprs: 57
; NumAgprs: 4
; TotalNumVgprs: 64
; ScratchSize: 0
; MemoryBound: 0
; FloatMode: 240
; IeeeMode: 1
; LDSByteSize: 2720 bytes/workgroup (compile time only)
; SGPRBlocks: 5
; VGPRBlocks: 7
; NumSGPRsForWavesPerEU: 42
; NumVGPRsForWavesPerEU: 64
; AccumOffset: 60
; Occupancy: 8
; WaveLimiterHint : 1
; COMPUTE_PGM_RSRC2:SCRATCH_EN: 0
; COMPUTE_PGM_RSRC2:USER_SGPR: 6
; COMPUTE_PGM_RSRC2:TRAP_HANDLER: 0
; COMPUTE_PGM_RSRC2:TGID_X_EN: 1
; COMPUTE_PGM_RSRC2:TGID_Y_EN: 1
; COMPUTE_PGM_RSRC2:TGID_Z_EN: 1
; COMPUTE_PGM_RSRC2:TIDIG_COMP_CNT: 0
; COMPUTE_PGM_RSRC3_GFX90A:ACCUM_OFFSET: 14
; COMPUTE_PGM_RSRC3_GFX90A:TG_SPLIT: 0
	.section	.text._Z38paged_attention_ll4mi_QKV_mfma4_kernelIDF16_DF16_LN4vllm18Fp8KVCacheDataTypeE0EDF16_Li32ELi64ELi256ELb0ELi4EEvPKT_PKT0_S7_ifPKiS9_S9_iPKfiiiPfSC_PS2_PT2_iSB_SB_,"axG",@progbits,_Z38paged_attention_ll4mi_QKV_mfma4_kernelIDF16_DF16_LN4vllm18Fp8KVCacheDataTypeE0EDF16_Li32ELi64ELi256ELb0ELi4EEvPKT_PKT0_S7_ifPKiS9_S9_iPKfiiiPfSC_PS2_PT2_iSB_SB_,comdat
	.protected	_Z38paged_attention_ll4mi_QKV_mfma4_kernelIDF16_DF16_LN4vllm18Fp8KVCacheDataTypeE0EDF16_Li32ELi64ELi256ELb0ELi4EEvPKT_PKT0_S7_ifPKiS9_S9_iPKfiiiPfSC_PS2_PT2_iSB_SB_ ; -- Begin function _Z38paged_attention_ll4mi_QKV_mfma4_kernelIDF16_DF16_LN4vllm18Fp8KVCacheDataTypeE0EDF16_Li32ELi64ELi256ELb0ELi4EEvPKT_PKT0_S7_ifPKiS9_S9_iPKfiiiPfSC_PS2_PT2_iSB_SB_
	.globl	_Z38paged_attention_ll4mi_QKV_mfma4_kernelIDF16_DF16_LN4vllm18Fp8KVCacheDataTypeE0EDF16_Li32ELi64ELi256ELb0ELi4EEvPKT_PKT0_S7_ifPKiS9_S9_iPKfiiiPfSC_PS2_PT2_iSB_SB_
	.p2align	8
	.type	_Z38paged_attention_ll4mi_QKV_mfma4_kernelIDF16_DF16_LN4vllm18Fp8KVCacheDataTypeE0EDF16_Li32ELi64ELi256ELb0ELi4EEvPKT_PKT0_S7_ifPKiS9_S9_iPKfiiiPfSC_PS2_PT2_iSB_SB_,@function
_Z38paged_attention_ll4mi_QKV_mfma4_kernelIDF16_DF16_LN4vllm18Fp8KVCacheDataTypeE0EDF16_Li32ELi64ELi256ELb0ELi4EEvPKT_PKT0_S7_ifPKiS9_S9_iPKfiiiPfSC_PS2_PT2_iSB_SB_: ; @_Z38paged_attention_ll4mi_QKV_mfma4_kernelIDF16_DF16_LN4vllm18Fp8KVCacheDataTypeE0EDF16_Li32ELi64ELi256ELb0ELi4EEvPKT_PKT0_S7_ifPKiS9_S9_iPKfiiiPfSC_PS2_PT2_iSB_SB_
; %bb.0:
	s_load_dwordx2 s[2:3], s[4:5], 0x30
	s_mov_b32 s24, s7
	s_mov_b64 s[0:1], 0
	s_waitcnt lgkmcnt(0)
	s_cmp_lg_u64 s[2:3], 0
	s_cselect_b64 s[10:11], -1, 0
	s_and_b64 vcc, exec, s[10:11]
	s_cbranch_vccz .LBB79_18
; %bb.1:
	s_add_i32 s12, s6, 1
	s_mov_b32 s13, 0
	s_lshl_b64 s[14:15], s[12:13], 2
	s_add_u32 s14, s2, s14
	s_mov_b32 s7, s13
	s_addc_u32 s15, s3, s15
	s_lshl_b64 s[12:13], s[6:7], 2
	s_add_u32 s12, s2, s12
	s_addc_u32 s13, s3, s13
	s_load_dword s9, s[14:15], 0x0
	s_load_dword s16, s[12:13], 0x0
	s_mov_b64 s[36:37], s[6:7]
	s_waitcnt lgkmcnt(0)
	s_sub_i32 s9, s9, s16
	s_cmp_eq_u32 s9, 1
	s_cselect_b64 s[12:13], -1, 0
	s_andn2_b64 vcc, exec, s[0:1]
	s_cbranch_vccnz .LBB79_3
.LBB79_2:
	s_mov_b32 s7, 0
	s_mov_b64 s[12:13], -1
	s_mov_b64 s[36:37], s[6:7]
.LBB79_3:
	s_andn2_b64 vcc, exec, s[12:13]
	s_cbranch_vccnz .LBB79_17
; %bb.4:
	s_load_dword s7, s[4:5], 0x9c
	s_load_dwordx2 s[0:1], s[4:5], 0x28
	s_add_u32 s28, s4, 0x90
	s_addc_u32 s29, s5, 0
	s_lshl_b64 s[16:17], s[36:37], 2
	s_waitcnt lgkmcnt(0)
	s_and_b32 s7, s7, 0xffff
	s_add_u32 s0, s0, s16
	s_addc_u32 s1, s1, s17
	s_load_dword s9, s[0:1], 0x0
	s_mul_i32 s18, s24, s7
	s_waitcnt lgkmcnt(0)
	s_cmp_ge_i32 s18, s9
	s_cbranch_scc1 .LBB79_17
; %bb.5:
	v_and_b32_e32 v2, 0xc0, v0
	v_add_u32_e32 v2, s18, v2
	v_lshrrev_b32_e32 v1, 6, v0
	v_cmp_gt_i32_e64 s[0:1], s9, v2
	v_cmp_le_i32_e32 vcc, s9, v2
                                        ; implicit-def: $sgpr20
                                        ; implicit-def: $sgpr19
	s_and_saveexec_b64 s[12:13], vcc
	s_xor_b64 s[12:13], exec, s[12:13]
	s_cbranch_execz .LBB79_7
; %bb.6:
	v_mul_u32_u24_e32 v2, 20, v1
	v_or_b32_e32 v2, 0xa00, v2
	v_mov_b32_e32 v3, 0xa50
	v_mov_b32_e32 v4, 0xff7fffff
	v_mad_u32_u24 v3, v1, 20, v3
	ds_write2_b32 v2, v4, v4 offset1:1
	v_mov_b32_e32 v2, 0
	ds_write2_b32 v3, v2, v2 offset1:1
	v_mov_b32_e32 v3, 0xa08
	s_mov_b32 s19, 0xff7fffff
	s_mov_b32 s20, 0
	v_mad_u32_u24 v3, v1, 20, v3
	v_mov_b32_e32 v5, 0xa58
	v_mad_u32_u24 v5, v1, 20, v5
	ds_write2_b32 v3, v4, v4 offset1:1
	ds_write2_b32 v5, v2, v2 offset1:1
                                        ; implicit-def: $vgpr2
.LBB79_7:
	s_or_saveexec_b64 s[30:31], s[12:13]
	s_load_dwordx2 s[26:27], s[4:5], 0x68
	s_load_dwordx4 s[12:15], s[4:5], 0x58
	s_load_dword s7, s[28:29], 0x4
	v_and_b32_e32 v40, 63, v0
	v_and_b32_e32 v38, 3, v0
	v_mov_b32_e32 v37, s20
	v_mov_b32_e32 v41, s19
	;; [unrolled: 1-line block ×5, first 2 shown]
                                        ; implicit-def: $vgpr3
                                        ; implicit-def: $vgpr7
                                        ; implicit-def: $vgpr11
                                        ; implicit-def: $vgpr15
                                        ; implicit-def: $vgpr19
                                        ; implicit-def: $vgpr23
                                        ; implicit-def: $vgpr27
                                        ; implicit-def: $vgpr31
	s_xor_b64 exec, exec, s[30:31]
	s_cbranch_execz .LBB79_13
; %bb.8:
	s_add_i32 s22, s9, 31
	s_load_dwordx2 s[20:21], s[4:5], 0x20
	s_load_dword s19, s[4:5], 0x38
	s_ashr_i32 s23, s22, 31
	s_lshr_b32 s23, s23, 27
	v_add_u32_e32 v34, s18, v0
	s_add_i32 s22, s22, s23
	v_ashrrev_i32_e32 v3, 31, v34
	s_ashr_i32 s22, s22, 5
	v_lshrrev_b32_e32 v3, 27, v3
	s_add_i32 s25, s22, -1
	v_add_u32_e32 v3, v34, v3
	s_waitcnt lgkmcnt(0)
	s_mul_i32 s38, s6, s19
	s_mov_b32 s39, 0
	v_ashrrev_i32_e32 v3, 5, v3
	v_mov_b32_e32 v4, s25
	v_cmp_gt_i32_e32 vcc, s9, v34
	s_lshl_b64 s[22:23], s[38:39], 2
	v_cndmask_b32_e32 v4, v4, v3, vcc
	s_add_u32 s19, s20, s22
	v_ashrrev_i32_e32 v5, 31, v4
	s_addc_u32 s20, s21, s23
	v_lshlrev_b64 v[4:5], 2, v[4:5]
	v_mov_b32_e32 v3, s20
	v_add_co_u32_e32 v6, vcc, s19, v4
	v_addc_co_u32_e32 v7, vcc, v3, v5, vcc
	v_ashrrev_i32_e32 v3, 31, v2
	v_lshrrev_b32_e32 v3, 27, v3
	v_add_u32_e32 v2, v2, v3
	v_ashrrev_i32_e32 v4, 5, v2
	v_min_i32_e32 v2, s25, v4
	v_ashrrev_i32_e32 v3, 31, v2
	v_lshlrev_b64 v[2:3], 2, v[2:3]
	v_add_co_u32_e32 v8, vcc, s19, v2
	v_add_u32_e32 v2, 1, v4
	v_mov_b32_e32 v5, s20
	v_min_i32_e32 v2, s25, v2
	v_addc_co_u32_e32 v9, vcc, v5, v3, vcc
	v_ashrrev_i32_e32 v3, 31, v2
	v_lshlrev_b64 v[2:3], 2, v[2:3]
	v_mov_b32_e32 v4, s20
	v_add_co_u32_e32 v10, vcc, s19, v2
	v_addc_co_u32_e32 v11, vcc, v4, v3, vcc
	global_load_dword v4, v[6:7], off
	global_load_dword v2, v[8:9], off
	;; [unrolled: 1-line block ×3, first 2 shown]
	s_load_dwordx4 s[20:23], s[4:5], 0x0
	s_load_dwordx2 s[34:35], s[4:5], 0x10
	s_andn2_b64 vcc, exec, s[10:11]
	s_cbranch_vccnz .LBB79_10
; %bb.9:
	s_add_u32 s2, s2, s16
	s_addc_u32 s3, s3, s17
	s_load_dword s38, s[2:3], 0x0
	s_waitcnt lgkmcnt(0)
	s_mov_b64 s[36:37], s[38:39]
.LBB79_10:
	s_load_dwordx4 s[16:19], s[4:5], 0x48
	v_lshrrev_b32_e32 v5, 2, v40
	v_lshlrev_b32_e32 v6, 3, v38
	v_add_lshl_u32 v5, v6, v5, 4
	v_lshlrev_b32_e32 v32, 6, v40
	s_waitcnt lgkmcnt(0)
	s_ashr_i32 s3, s16, 31
	s_mul_hi_u32 s10, s36, s16
	s_mul_i32 s3, s36, s3
	s_mul_i32 s11, s37, s16
	s_add_i32 s3, s10, s3
	s_mul_i32 s2, s36, s16
	s_add_i32 s3, s3, s11
	s_lshl_b64 s[2:3], s[2:3], 1
	s_add_u32 s10, s20, s2
	s_addc_u32 s11, s21, s3
	s_lshl_b32 s38, s8, 8
	s_lshl_b64 s[2:3], s[38:39], 1
	s_add_u32 s2, s10, s2
	s_addc_u32 s3, s11, s3
	global_load_dwordx4 v[42:45], v5, s[2:3]
	s_waitcnt vmcnt(3)
	v_mad_i64_i32 v[4:5], s[2:3], v4, s17, 0
	s_mul_i32 s38, s8, s18
	s_lshl_b64 s[2:3], s[38:39], 1
	s_add_u32 s10, s2, s22
	v_lshlrev_b64 v[4:5], 1, v[4:5]
	s_addc_u32 s11, s3, s23
	v_mov_b32_e32 v6, s11
	v_add_co_u32_e32 v4, vcc, s10, v4
	v_addc_co_u32_e32 v5, vcc, v6, v5, vcc
	v_and_b32_e32 v6, 31, v0
	v_lshlrev_b32_e32 v6, 4, v6
	v_add_co_u32_e32 v28, vcc, v4, v6
	v_addc_co_u32_e32 v29, vcc, 0, v5, vcc
	global_load_dwordx4 v[4:7], v[28:29], off
	global_load_dwordx4 v[8:11], v[28:29], off offset:512
	global_load_dwordx4 v[12:15], v[28:29], off offset:1024
	;; [unrolled: 1-line block ×7, first 2 shown]
	v_cmp_eq_u32_e32 vcc, 0, v38
	s_waitcnt vmcnt(10)
	v_mul_hi_i32 v28, v2, s17
	v_cndmask_b32_e64 v39, 0, 1.0, vcc
	v_cmp_eq_u32_e32 vcc, 1, v38
	v_ashrrev_i32_e32 v28, 31, v28
	v_mov_b32_e32 v29, 0
	v_cndmask_b32_e64 v41, 0, 1.0, vcc
	v_cmp_eq_u32_e32 vcc, 2, v38
	s_waitcnt vmcnt(9)
	v_mul_hi_i32 v30, v3, s17
	v_lshrrev_b32_e32 v28, 29, v28
	s_add_u32 s2, s34, s2
	v_cndmask_b32_e64 v54, 0, 1.0, vcc
	v_cmp_eq_u32_e32 vcc, 3, v38
	v_ashrrev_i32_e32 v33, 31, v30
	v_mad_i64_i32 v[30:31], s[10:11], v2, s17, v[28:29]
	s_addc_u32 s3, s35, s3
	v_cndmask_b32_e64 v55, 0, 1.0, vcc
	v_lshrrev_b32_e32 v28, 29, v33
	v_lshlrev_b64 v[30:31], 1, v[30:31]
	v_mad_i64_i32 v[2:3], s[10:11], v3, s17, v[28:29]
	v_lshlrev_b64 v[2:3], 1, v[2:3]
	v_and_b32_e32 v2, -16, v2
	s_load_dword s4, s[4:5], 0x1c
	v_and_b32_e32 v56, -4, v34
	v_lshlrev_b32_e32 v57, 2, v0
	s_waitcnt vmcnt(7)
	v_mfma_f32_4x4x4f16 a[0:3], v[42:43], v[4:5], 0 cbsz:4
	v_mov_b32_e32 v5, s3
	v_mfma_f32_4x4x4f16 a[0:3], v[44:45], v[6:7], a[0:3] cbsz:4
	v_add_co_u32_e32 v6, vcc, s2, v32
	s_waitcnt vmcnt(6)
	v_mfma_f32_4x4x4f16 a[0:3], v[42:43], v[8:9], a[0:3] cbsz:4 abid:1
	v_and_b32_e32 v4, -16, v30
	v_mfma_f32_4x4x4f16 a[0:3], v[44:45], v[10:11], a[0:3] cbsz:4 abid:1
	v_addc_co_u32_e32 v5, vcc, 0, v5, vcc
	s_waitcnt vmcnt(5)
	v_mfma_f32_4x4x4f16 a[0:3], v[42:43], v[12:13], a[0:3] cbsz:4 abid:2
	v_mfma_f32_4x4x4f16 a[0:3], v[44:45], v[14:15], a[0:3] cbsz:4 abid:2
	s_waitcnt vmcnt(4)
	v_mfma_f32_4x4x4f16 a[0:3], v[42:43], v[16:17], a[0:3] cbsz:4 abid:3
	v_mfma_f32_4x4x4f16 a[0:3], v[44:45], v[18:19], a[0:3] cbsz:4 abid:3
	v_add_co_u32_e32 v18, vcc, v6, v4
	s_waitcnt vmcnt(3)
	v_mfma_f32_4x4x4f16 a[0:3], v[42:43], v[20:21], a[0:3] cbsz:4 abid:4
	v_addc_co_u32_e32 v19, vcc, v5, v31, vcc
	v_mfma_f32_4x4x4f16 a[0:3], v[44:45], v[22:23], a[0:3] cbsz:4 abid:4
	v_add_co_u32_e32 v36, vcc, v6, v2
	s_waitcnt vmcnt(2)
	v_mfma_f32_4x4x4f16 a[0:3], v[42:43], v[24:25], a[0:3] cbsz:4 abid:5
	v_addc_co_u32_e32 v37, vcc, v5, v3, vcc
	global_load_dwordx4 v[2:5], v[18:19], off
	global_load_dwordx4 v[6:9], v[18:19], off offset:16
	global_load_dwordx4 v[10:13], v[18:19], off offset:32
	;; [unrolled: 1-line block ×3, first 2 shown]
	v_mfma_f32_4x4x4f16 a[0:3], v[44:45], v[26:27], a[0:3] cbsz:4 abid:5
	global_load_dwordx4 v[18:21], v[36:37], off
	global_load_dwordx4 v[22:25], v[36:37], off offset:16
	global_load_dwordx4 v[26:29], v[36:37], off offset:32
	;; [unrolled: 1-line block ×3, first 2 shown]
	s_waitcnt vmcnt(9)
	v_mfma_f32_4x4x4f16 a[0:3], v[42:43], v[46:47], a[0:3] cbsz:4 abid:6
	v_mov_b32_e32 v46, 0xff7fffff
	v_mfma_f32_4x4x4f16 a[0:3], v[44:45], v[48:49], a[0:3] cbsz:4 abid:6
	v_cmp_gt_i32_e32 vcc, s9, v56
	s_waitcnt vmcnt(8)
	v_mfma_f32_4x4x4f16 a[0:3], v[42:43], v[50:51], a[0:3] cbsz:4 abid:7
	v_or_b32_e32 v42, 3, v34
	v_mfma_f32_4x4x4f16 a[0:3], v[44:45], v[52:53], a[0:3] cbsz:4 abid:7
	v_and_or_b32 v43, v57, 48, v38
	v_cmp_gt_i32_e64 s[10:11], s9, v42
	s_nop 2
	v_accvgpr_read_b32 v35, a1
	v_accvgpr_read_b32 v34, a0
	s_waitcnt lgkmcnt(0)
	v_pk_mul_f32 v[34:35], s[4:5], v[34:35] op_sel_hi:[0,1]
	v_accvgpr_read_b32 v37, a3
	v_accvgpr_read_b32 v36, a2
	v_pk_mul_f32 v[36:37], s[4:5], v[36:37] op_sel_hi:[0,1]
	v_mfma_f32_4x4x1f32 a[0:3], v34, v39, 0
	v_or_b32_e32 v34, 1, v56
	v_mfma_f32_4x4x1f32 a[0:3], v35, v41, a[0:3]
	v_lshlrev_b32_e32 v39, 2, v43
	v_mfma_f32_4x4x1f32 a[0:3], v36, v54, a[0:3]
	v_cmp_gt_i32_e64 s[2:3], s9, v34
	v_mfma_f32_4x4x1f32 a[0:3], v37, v55, a[0:3]
	v_or_b32_e32 v35, 2, v56
	v_cmp_gt_i32_e64 s[4:5], s9, v35
	s_nop 2
	v_accvgpr_read_b32 v36, a0
	v_max_f32_e32 v41, v36, v36
	v_accvgpr_read_b32 v37, a1
	v_max_f32_e32 v41, 0xff7fffff, v41
	v_max_f32_e32 v45, v37, v37
	v_cndmask_b32_e32 v41, v46, v41, vcc
	v_accvgpr_read_b32 v43, a2
	v_max_f32_e32 v45, v41, v45
	v_max_f32_e32 v47, v43, v43
	v_cndmask_b32_e64 v34, v41, v45, s[2:3]
	v_accvgpr_read_b32 v44, a3
	v_max_f32_e32 v41, v34, v47
	v_max_f32_e32 v48, v44, v44
	v_cndmask_b32_e64 v34, v34, v41, s[4:5]
	v_max_f32_e32 v35, v34, v48
	v_cndmask_b32_e64 v34, v34, v35, s[10:11]
	;;#ASMSTART
	v_nop
 v_nop
 v_max_f32_dpp v34, v34, v34 row_ror:4
	;;#ASMEND
	;;#ASMSTART
	v_nop
 v_nop
 v_max_f32_dpp v34, v34, v34 row_ror:8
	;;#ASMEND
	ds_bpermute_b32 v34, v39, v34
	s_waitcnt lgkmcnt(0)
	;;#ASMSTART
	v_nop
 v_nop
 v_max_f32_dpp v34, v34, v34 row_ror:4
	;;#ASMEND
	;;#ASMSTART
	v_nop
 v_nop
 v_max_f32_dpp v41, v34, v34 row_ror:8
	;;#ASMEND
	v_sub_f32_e32 v34, v36, v41
	v_sub_f32_e32 v35, v37, v41
	v_mul_f32_e32 v34, 0x3fb8aa3b, v34
	v_sub_f32_e32 v36, v43, v41
	v_mul_f32_e32 v35, 0x3fb8aa3b, v35
	v_exp_f32_e32 v34, v34
	v_sub_f32_e32 v37, v44, v41
	v_mul_f32_e32 v36, 0x3fb8aa3b, v36
	v_exp_f32_e32 v35, v35
	v_mul_f32_e32 v37, 0x3fb8aa3b, v37
	v_exp_f32_e32 v36, v36
	v_exp_f32_e32 v37, v37
	v_cndmask_b32_e32 v34, 0, v34, vcc
	v_cndmask_b32_e64 v35, 0, v35, s[2:3]
	v_add_f32_e32 v42, 0, v34
	v_cndmask_b32_e64 v36, 0, v36, s[4:5]
	v_add_f32_e32 v42, v42, v35
	;; [unrolled: 2-line block ×3, first 2 shown]
	v_add_f32_e32 v42, v42, v37
	;;#ASMSTART
	v_nop
 v_nop
 v_add_f32_dpp v42, v42, v42 row_ror:4
	;;#ASMEND
	;;#ASMSTART
	v_nop
 v_nop
 v_add_f32_dpp v42, v42, v42 row_ror:8
	;;#ASMEND
	ds_bpermute_b32 v39, v39, v42
	s_waitcnt lgkmcnt(0)
	;;#ASMSTART
	v_nop
 v_nop
 v_add_f32_dpp v39, v39, v39 row_ror:4
	;;#ASMEND
	v_cmp_gt_u32_e32 vcc, 4, v40
	;;#ASMSTART
	v_nop
 v_nop
 v_add_f32_dpp v39, v39, v39 row_ror:8
	;;#ASMEND
	s_and_saveexec_b64 s[2:3], vcc
	s_cbranch_execz .LBB79_12
; %bb.11:
	v_mul_u32_u24_e32 v42, 20, v1
	v_lshl_add_u32 v42, v38, 2, v42
	v_add_u32_e32 v42, 0x800, v42
	ds_write2_b32 v42, v41, v39 offset0:128 offset1:148
.LBB79_12:
	s_or_b64 exec, exec, s[2:3]
.LBB79_13:
	s_or_b64 exec, exec, s[30:31]
	v_lshlrev_b32_e32 v39, 2, v38
	v_add_u32_e32 v39, 0x800, v39
	s_waitcnt lgkmcnt(0)
	s_barrier
	s_load_dword s2, s[28:29], 0x8
	ds_read2_b32 v[44:45], v39 offset0:128 offset1:133
	ds_read2_b32 v[46:47], v39 offset0:138 offset1:143
	s_mov_b32 s9, 0xff7fffff
	s_mul_i32 s3, s6, s7
	ds_read2_b32 v[48:49], v39 offset0:148 offset1:153
	s_waitcnt lgkmcnt(0)
	v_max3_f32 v42, v44, s9, v45
	v_max3_f32 v42, v42, v46, v47
	v_sub_f32_e32 v43, v44, v42
	v_sub_f32_e32 v44, v45, v42
	s_mul_i32 s3, s3, s2
	v_mul_f32_e32 v43, 0x3fb8aa3b, v43
	v_mul_f32_e32 v44, 0x3fb8aa3b, v44
	s_lshl_b32 s2, s3, 2
	s_mov_b32 s3, 0
	v_exp_f32_e32 v43, v43
	v_exp_f32_e32 v50, v44
	ds_read2_b32 v[44:45], v39 offset0:158 offset1:163
	v_sub_f32_e32 v39, v46, v42
	s_lshl_b32 s8, s8, 2
	s_lshl_b64 s[4:5], s[2:3], 2
	v_mul_f32_e32 v39, 0x3fb8aa3b, v39
	v_sub_f32_e32 v46, v47, v42
	s_mov_b32 s25, s3
	s_add_u32 s3, s12, s4
	v_exp_f32_e32 v39, v39
	v_mul_f32_e32 v46, 0x3fb8aa3b, v46
	s_addc_u32 s6, s13, s5
	v_exp_f32_e32 v46, v46
	s_add_u32 s9, s14, s4
	v_fma_f32 v43, v43, v48, 0
	s_addc_u32 s10, s15, s5
	s_lshl_b64 s[4:5], s[24:25], 2
	v_fmac_f32_e32 v43, v50, v49
	v_or_b32_e32 v38, s8, v38
	s_add_u32 s9, s9, s4
	s_waitcnt lgkmcnt(0)
	v_fmac_f32_e32 v43, v39, v44
	v_mul_lo_u32 v38, s7, v38
	v_mov_b32_e32 v39, 0
	s_addc_u32 s10, s10, s5
	v_fmac_f32_e32 v43, v46, v45
	v_lshlrev_b64 v[44:45], 2, v[38:39]
	s_add_u32 s3, s3, s4
	v_mov_b32_e32 v38, s10
	v_add_co_u32_e32 v46, vcc, s9, v44
	s_addc_u32 s4, s6, s5
	v_addc_co_u32_e32 v47, vcc, v38, v45, vcc
	v_mov_b32_e32 v38, s4
	v_add_co_u32_e32 v44, vcc, s3, v44
	v_addc_co_u32_e32 v45, vcc, v38, v45, vcc
	v_mov_b32_e32 v38, v39
	global_store_dword v[46:47], v42, off
	global_store_dword v[44:45], v43, off
	s_and_saveexec_b64 s[4:5], s[0:1]
	s_cbranch_execz .LBB79_15
; %bb.14:
	v_add_f32_e32 v38, 0x358637bd, v43
	v_div_scale_f32 v39, s[0:1], v38, v38, 1.0
	v_rcp_f32_e32 v43, v39
	v_div_scale_f32 v44, vcc, 1.0, v38, 1.0
	v_sub_f32_e32 v41, v41, v42
	v_fma_f32 v45, -v39, v43, 1.0
	v_fmac_f32_e32 v43, v45, v43
	v_mul_f32_e32 v45, v44, v43
	v_fma_f32 v46, -v39, v45, v44
	v_mul_f32_e32 v41, 0x3fb8aa3b, v41
	v_fmac_f32_e32 v45, v46, v43
	v_exp_f32_e32 v41, v41
	v_fma_f32 v39, -v39, v45, v44
	v_div_fmas_f32 v39, v39, v43, v45
	v_div_fixup_f32 v38, v39, v38, 1.0
	v_mul_f32_e32 v38, v41, v38
	v_pk_mul_f32 v[36:37], v[36:37], v[38:39] op_sel_hi:[1,0]
	v_pk_mul_f32 v[34:35], v[34:35], v[38:39] op_sel_hi:[1,0]
	v_cvt_f16_f32_e32 v34, v34
	v_cvt_f16_f32_e32 v35, v35
	v_cvt_f16_f32_e32 v36, v36
	v_cvt_f16_f32_e32 v37, v37
	s_mov_b32 s0, 0x5040100
	v_pack_b32_f16 v34, v34, v35
	v_pack_b32_f16 v35, v36, v37
	s_waitcnt vmcnt(9)
	s_nop 0
	v_mfma_f32_4x4x4f16 a[0:3], v[34:35], v[2:3], 0 cbsz:4
	v_mfma_f32_4x4x4f16 a[0:3], v[34:35], v[4:5], a[0:3] cbsz:4 abid:1
	s_waitcnt vmcnt(8)
	v_mfma_f32_4x4x4f16 a[0:3], v[34:35], v[6:7], a[0:3] cbsz:4 abid:2
	v_mfma_f32_4x4x4f16 a[0:3], v[34:35], v[8:9], a[0:3] cbsz:4 abid:3
	s_waitcnt vmcnt(7)
	v_mfma_f32_4x4x4f16 a[0:3], v[34:35], v[10:11], a[0:3] cbsz:4 abid:4
	;; [unrolled: 3-line block ×7, first 2 shown]
	v_mfma_f32_4x4x4f16 a[0:3], v[34:35], v[32:33], a[0:3] cbsz:4 abid:15
	s_nop 4
	v_accvgpr_read_b32 v2, a0
	v_accvgpr_read_b32 v3, a1
	;; [unrolled: 1-line block ×4, first 2 shown]
	v_cvt_f16_f32_e32 v2, v2
	v_cvt_f16_f32_e32 v3, v3
	;; [unrolled: 1-line block ×4, first 2 shown]
	v_perm_b32 v38, v3, v2, s0
	v_perm_b32 v39, v5, v4, s0
.LBB79_15:
	s_or_b64 exec, exec, s[4:5]
	v_lshlrev_b32_e32 v1, 3, v1
	v_mad_u32_u24 v1, v40, 40, v1
	v_cmp_gt_u32_e32 vcc, 64, v0
	ds_write_b64 v1, v[38:39]
	s_waitcnt lgkmcnt(0)
	s_barrier
	s_and_saveexec_b64 s[0:1], vcc
	s_cbranch_execz .LBB79_17
; %bb.16:
	v_mul_u32_u24_e32 v1, 40, v40
	s_waitcnt vmcnt(9)
	ds_read2_b64 v[2:5], v1 offset1:1
	s_waitcnt vmcnt(8)
	ds_read2_b64 v[6:9], v1 offset0:2 offset1:3
	s_mov_b32 s1, 0
	s_lshl_b32 s0, s2, 6
	s_lshl_b64 s[2:3], s[0:1], 1
	s_add_u32 s2, s26, s2
	s_addc_u32 s3, s27, s3
	s_lshl_b32 s0, s24, 6
	s_lshl_b64 s[0:1], s[0:1], 1
	s_waitcnt lgkmcnt(1)
	v_pk_add_f16 v1, v2, 0
	v_pk_add_f16 v2, v3, 0
	s_add_u32 s0, s2, s0
	v_pk_add_f16 v2, v2, v5
	s_addc_u32 s1, s3, s1
	s_lshl_b32 s2, s7, 6
	v_pk_add_f16 v1, v1, v4
	s_waitcnt lgkmcnt(0)
	v_pk_add_f16 v2, v2, v7
	s_mul_i32 s3, s2, s8
	v_pk_add_f16 v1, v1, v6
	v_pk_add_f16 v6, v2, v9
	v_or_b32_e32 v2, s3, v0
	v_mov_b32_e32 v3, 0
	v_lshlrev_b64 v[4:5], 1, v[2:3]
	v_mov_b32_e32 v2, s1
	v_add_co_u32_e32 v4, vcc, s0, v4
	s_add_i32 s3, s3, s2
	v_pk_add_f16 v1, v1, v8
	v_addc_co_u32_e32 v5, vcc, v2, v5, vcc
	v_or_b32_e32 v2, s3, v0
	global_store_short v[4:5], v1, off
	v_lshlrev_b64 v[4:5], 1, v[2:3]
	v_mov_b32_e32 v2, s1
	v_add_co_u32_e32 v4, vcc, s0, v4
	s_add_i32 s3, s3, s2
	v_addc_co_u32_e32 v5, vcc, v2, v5, vcc
	v_or_b32_e32 v2, s3, v0
	global_store_short_d16_hi v[4:5], v1, off
	v_lshlrev_b64 v[4:5], 1, v[2:3]
	s_add_i32 s3, s3, s2
	v_mov_b32_e32 v1, s1
	v_add_co_u32_e32 v4, vcc, s0, v4
	v_or_b32_e32 v2, s3, v0
	v_addc_co_u32_e32 v5, vcc, v1, v5, vcc
	v_lshlrev_b64 v[0:1], 1, v[2:3]
	v_mov_b32_e32 v2, s1
	v_add_co_u32_e32 v0, vcc, s0, v0
	v_addc_co_u32_e32 v1, vcc, v2, v1, vcc
	global_store_short v[4:5], v6, off
	global_store_short_d16_hi v[0:1], v6, off
.LBB79_17:
	s_endpgm
.LBB79_18:
	s_mov_b64 s[12:13], 0
                                        ; implicit-def: $sgpr36_sgpr37
	s_branch .LBB79_2
	.section	.rodata,"a",@progbits
	.p2align	6, 0x0
	.amdhsa_kernel _Z38paged_attention_ll4mi_QKV_mfma4_kernelIDF16_DF16_LN4vllm18Fp8KVCacheDataTypeE0EDF16_Li32ELi64ELi256ELb0ELi4EEvPKT_PKT0_S7_ifPKiS9_S9_iPKfiiiPfSC_PS2_PT2_iSB_SB_
		.amdhsa_group_segment_fixed_size 2720
		.amdhsa_private_segment_fixed_size 0
		.amdhsa_kernarg_size 400
		.amdhsa_user_sgpr_count 6
		.amdhsa_user_sgpr_private_segment_buffer 1
		.amdhsa_user_sgpr_dispatch_ptr 0
		.amdhsa_user_sgpr_queue_ptr 0
		.amdhsa_user_sgpr_kernarg_segment_ptr 1
		.amdhsa_user_sgpr_dispatch_id 0
		.amdhsa_user_sgpr_flat_scratch_init 0
		.amdhsa_user_sgpr_kernarg_preload_length 0
		.amdhsa_user_sgpr_kernarg_preload_offset 0
		.amdhsa_user_sgpr_private_segment_size 0
		.amdhsa_uses_dynamic_stack 0
		.amdhsa_system_sgpr_private_segment_wavefront_offset 0
		.amdhsa_system_sgpr_workgroup_id_x 1
		.amdhsa_system_sgpr_workgroup_id_y 1
		.amdhsa_system_sgpr_workgroup_id_z 1
		.amdhsa_system_sgpr_workgroup_info 0
		.amdhsa_system_vgpr_workitem_id 0
		.amdhsa_next_free_vgpr 64
		.amdhsa_next_free_sgpr 40
		.amdhsa_accum_offset 60
		.amdhsa_reserve_vcc 1
		.amdhsa_reserve_flat_scratch 0
		.amdhsa_float_round_mode_32 0
		.amdhsa_float_round_mode_16_64 0
		.amdhsa_float_denorm_mode_32 3
		.amdhsa_float_denorm_mode_16_64 3
		.amdhsa_dx10_clamp 1
		.amdhsa_ieee_mode 1
		.amdhsa_fp16_overflow 0
		.amdhsa_tg_split 0
		.amdhsa_exception_fp_ieee_invalid_op 0
		.amdhsa_exception_fp_denorm_src 0
		.amdhsa_exception_fp_ieee_div_zero 0
		.amdhsa_exception_fp_ieee_overflow 0
		.amdhsa_exception_fp_ieee_underflow 0
		.amdhsa_exception_fp_ieee_inexact 0
		.amdhsa_exception_int_div_zero 0
	.end_amdhsa_kernel
	.section	.text._Z38paged_attention_ll4mi_QKV_mfma4_kernelIDF16_DF16_LN4vllm18Fp8KVCacheDataTypeE0EDF16_Li32ELi64ELi256ELb0ELi4EEvPKT_PKT0_S7_ifPKiS9_S9_iPKfiiiPfSC_PS2_PT2_iSB_SB_,"axG",@progbits,_Z38paged_attention_ll4mi_QKV_mfma4_kernelIDF16_DF16_LN4vllm18Fp8KVCacheDataTypeE0EDF16_Li32ELi64ELi256ELb0ELi4EEvPKT_PKT0_S7_ifPKiS9_S9_iPKfiiiPfSC_PS2_PT2_iSB_SB_,comdat
.Lfunc_end79:
	.size	_Z38paged_attention_ll4mi_QKV_mfma4_kernelIDF16_DF16_LN4vllm18Fp8KVCacheDataTypeE0EDF16_Li32ELi64ELi256ELb0ELi4EEvPKT_PKT0_S7_ifPKiS9_S9_iPKfiiiPfSC_PS2_PT2_iSB_SB_, .Lfunc_end79-_Z38paged_attention_ll4mi_QKV_mfma4_kernelIDF16_DF16_LN4vllm18Fp8KVCacheDataTypeE0EDF16_Li32ELi64ELi256ELb0ELi4EEvPKT_PKT0_S7_ifPKiS9_S9_iPKfiiiPfSC_PS2_PT2_iSB_SB_
                                        ; -- End function
	.section	.AMDGPU.csdata,"",@progbits
; Kernel info:
; codeLenInByte = 3000
; NumSgprs: 44
; NumVgprs: 58
; NumAgprs: 4
; TotalNumVgprs: 64
; ScratchSize: 0
; MemoryBound: 0
; FloatMode: 240
; IeeeMode: 1
; LDSByteSize: 2720 bytes/workgroup (compile time only)
; SGPRBlocks: 5
; VGPRBlocks: 7
; NumSGPRsForWavesPerEU: 44
; NumVGPRsForWavesPerEU: 64
; AccumOffset: 60
; Occupancy: 8
; WaveLimiterHint : 1
; COMPUTE_PGM_RSRC2:SCRATCH_EN: 0
; COMPUTE_PGM_RSRC2:USER_SGPR: 6
; COMPUTE_PGM_RSRC2:TRAP_HANDLER: 0
; COMPUTE_PGM_RSRC2:TGID_X_EN: 1
; COMPUTE_PGM_RSRC2:TGID_Y_EN: 1
; COMPUTE_PGM_RSRC2:TGID_Z_EN: 1
; COMPUTE_PGM_RSRC2:TIDIG_COMP_CNT: 0
; COMPUTE_PGM_RSRC3_GFX90A:ACCUM_OFFSET: 14
; COMPUTE_PGM_RSRC3_GFX90A:TG_SPLIT: 0
	.section	.text._Z39paged_attention_ll4mi_QKV_mfma16_kernelIDF16_DF16_LN4vllm18Fp8KVCacheDataTypeE0EDF16_Li32ELi64ELi256ELb0ELi5EL8MFMAType0EEvPKT_PKT0_S8_ifPKiSA_SA_iPKfiiiPfSD_PS3_PT2_iSC_SC_,"axG",@progbits,_Z39paged_attention_ll4mi_QKV_mfma16_kernelIDF16_DF16_LN4vllm18Fp8KVCacheDataTypeE0EDF16_Li32ELi64ELi256ELb0ELi5EL8MFMAType0EEvPKT_PKT0_S8_ifPKiSA_SA_iPKfiiiPfSD_PS3_PT2_iSC_SC_,comdat
	.protected	_Z39paged_attention_ll4mi_QKV_mfma16_kernelIDF16_DF16_LN4vllm18Fp8KVCacheDataTypeE0EDF16_Li32ELi64ELi256ELb0ELi5EL8MFMAType0EEvPKT_PKT0_S8_ifPKiSA_SA_iPKfiiiPfSD_PS3_PT2_iSC_SC_ ; -- Begin function _Z39paged_attention_ll4mi_QKV_mfma16_kernelIDF16_DF16_LN4vllm18Fp8KVCacheDataTypeE0EDF16_Li32ELi64ELi256ELb0ELi5EL8MFMAType0EEvPKT_PKT0_S8_ifPKiSA_SA_iPKfiiiPfSD_PS3_PT2_iSC_SC_
	.globl	_Z39paged_attention_ll4mi_QKV_mfma16_kernelIDF16_DF16_LN4vllm18Fp8KVCacheDataTypeE0EDF16_Li32ELi64ELi256ELb0ELi5EL8MFMAType0EEvPKT_PKT0_S8_ifPKiSA_SA_iPKfiiiPfSD_PS3_PT2_iSC_SC_
	.p2align	8
	.type	_Z39paged_attention_ll4mi_QKV_mfma16_kernelIDF16_DF16_LN4vllm18Fp8KVCacheDataTypeE0EDF16_Li32ELi64ELi256ELb0ELi5EL8MFMAType0EEvPKT_PKT0_S8_ifPKiSA_SA_iPKfiiiPfSD_PS3_PT2_iSC_SC_,@function
_Z39paged_attention_ll4mi_QKV_mfma16_kernelIDF16_DF16_LN4vllm18Fp8KVCacheDataTypeE0EDF16_Li32ELi64ELi256ELb0ELi5EL8MFMAType0EEvPKT_PKT0_S8_ifPKiSA_SA_iPKfiiiPfSD_PS3_PT2_iSC_SC_: ; @_Z39paged_attention_ll4mi_QKV_mfma16_kernelIDF16_DF16_LN4vllm18Fp8KVCacheDataTypeE0EDF16_Li32ELi64ELi256ELb0ELi5EL8MFMAType0EEvPKT_PKT0_S8_ifPKiSA_SA_iPKfiiiPfSD_PS3_PT2_iSC_SC_
; %bb.0:
	s_load_dwordx2 s[0:1], s[4:5], 0x30
	s_mov_b32 s28, s7
	s_mov_b64 s[10:11], 0
	s_waitcnt lgkmcnt(0)
	s_cmp_lg_u64 s[0:1], 0
	s_cselect_b64 s[2:3], -1, 0
	s_and_b64 vcc, exec, s[2:3]
	s_cbranch_vccz .LBB80_7
; %bb.1:
	s_add_i32 s12, s6, 1
	s_mov_b32 s13, 0
	s_lshl_b64 s[14:15], s[12:13], 2
	s_add_u32 s14, s0, s14
	s_mov_b32 s7, s13
	s_addc_u32 s15, s1, s15
	s_lshl_b64 s[12:13], s[6:7], 2
	s_add_u32 s12, s0, s12
	s_addc_u32 s13, s1, s13
	s_load_dword s9, s[14:15], 0x0
	s_load_dword s16, s[12:13], 0x0
	s_waitcnt lgkmcnt(0)
	s_sub_i32 s9, s9, s16
	s_cmp_eq_u32 s9, 1
	s_cselect_b64 s[12:13], -1, 0
	s_andn2_b64 vcc, exec, s[10:11]
	s_cbranch_vccnz .LBB80_3
.LBB80_2:
	s_mov_b32 s7, 0
	s_mov_b64 s[12:13], -1
.LBB80_3:
	s_andn2_b64 vcc, exec, s[12:13]
	s_cbranch_vccnz .LBB80_20
; %bb.4:
	s_load_dwordx2 s[12:13], s[4:5], 0x28
	s_lshl_b64 s[10:11], s[6:7], 2
	s_waitcnt lgkmcnt(0)
	s_add_u32 s12, s12, s10
	s_addc_u32 s13, s13, s11
	s_load_dword s33, s[12:13], 0x0
	s_lshl_b32 s16, s28, 8
	s_waitcnt lgkmcnt(0)
	s_cmp_ge_i32 s16, s33
	s_cbranch_scc1 .LBB80_20
; %bb.5:
	s_add_i32 s14, s33, 31
	s_load_dwordx2 s[12:13], s[4:5], 0x20
	s_load_dword s9, s[4:5], 0x38
	s_ashr_i32 s15, s14, 31
	v_and_b32_e32 v1, 0xcf, v0
	s_lshr_b32 s15, s15, 27
	v_add_u32_e32 v1, s16, v1
	s_add_i32 s14, s14, s15
	v_ashrrev_i32_e32 v2, 31, v1
	s_ashr_i32 s19, s14, 5
	v_lshrrev_b32_e32 v6, 27, v2
	s_add_i32 s19, s19, -1
	v_add_u32_e32 v2, v1, v6
	s_waitcnt lgkmcnt(0)
	s_mul_i32 s14, s6, s9
	s_mov_b32 s15, 0
	v_ashrrev_i32_e32 v2, 5, v2
	v_mov_b32_e32 v7, s19
	v_cmp_gt_i32_e32 vcc, s33, v1
	s_lshl_b64 s[14:15], s[14:15], 2
	v_cndmask_b32_e32 v2, v7, v2, vcc
	s_add_u32 s17, s12, s14
	v_ashrrev_i32_e32 v3, 31, v2
	s_addc_u32 s18, s13, s15
	v_lshlrev_b64 v[2:3], 2, v[2:3]
	v_mov_b32_e32 v4, s18
	v_add_co_u32_e32 v2, vcc, s17, v2
	v_addc_co_u32_e32 v3, vcc, v4, v3, vcc
	v_or_b32_e32 v4, 16, v1
	v_add_u32_e32 v5, v4, v6
	v_ashrrev_i32_e32 v5, 5, v5
	v_cmp_gt_i32_e32 vcc, s33, v4
	v_cndmask_b32_e32 v4, v7, v5, vcc
	v_ashrrev_i32_e32 v5, 31, v4
	v_lshlrev_b64 v[4:5], 2, v[4:5]
	v_mov_b32_e32 v9, s18
	v_add_co_u32_e32 v8, vcc, s17, v4
	v_or_b32_e32 v4, 32, v1
	v_addc_co_u32_e32 v9, vcc, v9, v5, vcc
	v_add_u32_e32 v5, v4, v6
	v_ashrrev_i32_e32 v5, 5, v5
	v_cmp_gt_i32_e32 vcc, s33, v4
	v_cndmask_b32_e32 v4, v7, v5, vcc
	v_ashrrev_i32_e32 v5, 31, v4
	v_lshlrev_b64 v[4:5], 2, v[4:5]
	v_mov_b32_e32 v11, s18
	v_add_co_u32_e32 v10, vcc, s17, v4
	v_or_b32_e32 v1, 48, v1
	v_addc_co_u32_e32 v11, vcc, v11, v5, vcc
	v_add_u32_e32 v4, v1, v6
	v_ashrrev_i32_e32 v4, 5, v4
	v_cmp_gt_i32_e32 vcc, s33, v1
	v_cndmask_b32_e32 v4, v7, v4, vcc
	v_ashrrev_i32_e32 v5, 31, v4
	v_lshlrev_b64 v[4:5], 2, v[4:5]
	v_mov_b32_e32 v1, s18
	v_add_co_u32_e32 v12, vcc, s17, v4
	v_addc_co_u32_e32 v13, vcc, v1, v5, vcc
	global_load_dword v4, v[2:3], off
	global_load_dword v6, v[8:9], off
	;; [unrolled: 1-line block ×4, first 2 shown]
	s_andn2_b64 vcc, exec, s[2:3]
	s_cbranch_vccnz .LBB80_8
; %bb.6:
	s_add_u32 s0, s0, s10
	s_addc_u32 s1, s1, s11
	s_load_dword s9, s[0:1], 0x0
	s_branch .LBB80_9
.LBB80_7:
	s_mov_b64 s[12:13], 0
	s_branch .LBB80_2
.LBB80_8:
	s_mov_b32 s9, s6
.LBB80_9:
	s_load_dwordx4 s[12:15], s[4:5], 0x8
	s_load_dwordx4 s[44:47], s[4:5], 0x48
	v_lshrrev_b32_e32 v53, 6, v0
	v_bfe_u32 v1, v0, 4, 2
	v_lshl_or_b32 v5, v53, 2, v1
	v_and_b32_e32 v52, 15, v0
	v_cmp_lt_u32_e32 vcc, 4, v5
	v_cmp_lt_u32_e64 s[2:3], 7, v52
	v_lshlrev_b32_e32 v2, 3, v52
	v_cmp_gt_u32_e64 s[0:1], 8, v52
	s_or_b64 s[2:3], s[2:3], vcc
	s_and_saveexec_b64 s[10:11], s[2:3]
	s_xor_b64 s[2:3], exec, s[10:11]
; %bb.10:
	v_mov_b32_e32 v3, 0
                                        ; implicit-def: $vgpr5
; %bb.11:
	s_or_saveexec_b64 s[2:3], s[2:3]
	v_and_b32_e32 v54, 63, v0
	s_mul_i32 s29, s8, 5
	s_xor_b64 exec, exec, s[2:3]
	s_cbranch_execz .LBB80_13
; %bb.12:
	s_load_dwordx2 s[10:11], s[4:5], 0x0
	s_waitcnt lgkmcnt(0)
	s_ashr_i32 s20, s44, 31
	s_mul_hi_u32 s21, s9, s44
	s_mul_i32 s20, s9, s20
	s_add_i32 s21, s21, s20
	s_mul_i32 s20, s9, s44
	s_lshl_b64 s[20:21], s[20:21], 1
	v_add_lshl_u32 v8, v5, s29, 6
	s_add_u32 s9, s10, s20
	v_ashrrev_i32_e32 v9, 31, v8
	s_addc_u32 s10, s11, s21
	v_lshlrev_b64 v[8:9], 1, v[8:9]
	v_mov_b32_e32 v3, s10
	v_add_co_u32_e32 v7, vcc, s9, v8
	v_addc_co_u32_e32 v3, vcc, v3, v9, vcc
	v_lshlrev_b32_e32 v8, 1, v2
	v_add_co_u32_e32 v8, vcc, v7, v8
	v_addc_co_u32_e32 v9, vcc, 0, v3, vcc
	global_load_dwordx4 v[8:11], v[8:9], off
	v_and_b32_e32 v7, 3, v0
	v_lshlrev_b32_e32 v12, 9, v52
	v_lshlrev_b32_e32 v5, 5, v5
	;; [unrolled: 1-line block ×3, first 2 shown]
	v_and_b32_e32 v12, 0x1800, v12
	v_mov_b32_e32 v3, 0
	v_or3_b32 v5, v12, v7, v5
	s_waitcnt vmcnt(0)
	ds_write_b128 v5, v[8:11]
.LBB80_13:
	s_or_b64 exec, exec, s[2:3]
	s_waitcnt lgkmcnt(0)
	s_mul_i32 s8, s8, s46
	s_mov_b32 s9, 0
	s_lshl_b64 s[8:9], s[8:9], 1
	s_add_u32 s3, s12, s8
	s_waitcnt vmcnt(3)
	v_mad_i64_i32 v[4:5], s[10:11], v4, s45, 0
	s_addc_u32 s12, s13, s9
	v_lshlrev_b64 v[4:5], 1, v[4:5]
	v_mov_b32_e32 v7, s12
	v_add_co_u32_e32 v4, vcc, s3, v4
	v_addc_co_u32_e32 v5, vcc, v7, v5, vcc
	v_lshlrev_b64 v[34:35], 1, v[2:3]
	v_add_co_u32_e32 v2, vcc, v4, v34
	v_lshlrev_b32_e32 v28, 9, v1
	v_addc_co_u32_e32 v3, vcc, v5, v35, vcc
	v_add_co_u32_e32 v8, vcc, v2, v28
	s_waitcnt vmcnt(2)
	v_mad_i64_i32 v[6:7], s[10:11], v6, s45, 0
	v_addc_co_u32_e32 v9, vcc, 0, v3, vcc
	v_lshlrev_b64 v[6:7], 1, v[6:7]
	s_load_dword s42, s[4:5], 0x98
	s_load_dword s2, s[4:5], 0x1c
	s_waitcnt lgkmcnt(0)
	s_barrier
	global_load_dwordx4 v[2:5], v[8:9], off
	v_mov_b32_e32 v10, s12
	v_add_co_u32_e32 v6, vcc, s3, v6
	v_addc_co_u32_e32 v7, vcc, v10, v7, vcc
	v_mov_b32_e32 v10, 0x100
	v_lshl_or_b32 v29, v52, 4, v10
	v_add_co_u32_e32 v6, vcc, v6, v29
	v_addc_co_u32_e32 v7, vcc, 0, v7, vcc
	v_add_co_u32_e32 v6, vcc, v6, v28
	v_addc_co_u32_e32 v7, vcc, 0, v7, vcc
	global_load_dwordx4 v[10:13], v[6:7], off
	global_load_dwordx4 v[14:17], v[8:9], off offset:2048
	s_waitcnt vmcnt(4)
	v_mad_i64_i32 v[20:21], s[10:11], v19, s45, 0
	global_load_dwordx4 v[6:9], v[6:7], off offset:2048
	v_lshlrev_b64 v[32:33], 1, v[20:21]
	v_mov_b32_e32 v36, s12
	v_add_co_u32_e32 v32, vcc, s3, v32
	v_mul_lo_u16_e32 v22, 52, v52
	v_mov_b32_e32 v23, 5
	v_addc_co_u32_e32 v33, vcc, v36, v33, vcc
	s_waitcnt vmcnt(4)
	v_mad_i64_i32 v[18:19], s[10:11], v18, s45, 0
	v_mul_lo_u16_sdwa v22, v22, v23 dst_sel:DWORD dst_unused:UNUSED_PAD src0_sel:BYTE_1 src1_sel:DWORD
	v_add_co_u32_e32 v32, vcc, v32, v34
	v_lshlrev_b64 v[26:27], 1, v[18:19]
	v_sub_u16_e32 v18, v52, v22
	v_addc_co_u32_e32 v33, vcc, v33, v35, vcc
	v_and_b32_e32 v18, 0xff, v18
	v_add_co_u32_e32 v32, vcc, v32, v28
	v_lshl_add_u32 v18, v18, 5, v28
	v_addc_co_u32_e32 v33, vcc, 0, v33, vcc
	ds_read_b128 v[22:25], v18
	ds_read_b128 v[18:21], v18 offset:2048
	global_load_dwordx4 v[40:43], v[32:33], off
	v_mov_b32_e32 v44, s12
	s_ashr_i32 s10, s16, 31
	v_and_or_b32 v31, v0, 48, s16
	s_lshr_b32 s10, s10, 27
	v_mov_b32_e32 v30, s19
	v_mov_b32_e32 v50, s18
	v_or_b32_e32 v51, 64, v31
	v_add_u32_e32 v55, s10, v51
	s_mov_b32 s43, 0xff7fffff
	s_waitcnt vmcnt(4) lgkmcnt(1)
	v_mfma_f32_16x16x16f16 v[36:39], v[2:3], v[22:23], 0
	v_add_co_u32_e32 v2, vcc, s3, v26
	v_addc_co_u32_e32 v3, vcc, v44, v27, vcc
	s_add_u32 s3, s14, s8
	s_addc_u32 s8, s15, s9
	s_waitcnt vmcnt(3)
	v_mfma_f32_16x16x16f16 v[44:47], v[10:11], v[22:23], 0
	v_add_co_u32_e32 v11, vcc, v2, v29
	v_add_u32_e32 v10, s10, v31
	v_addc_co_u32_e32 v26, vcc, 0, v3, vcc
	v_ashrrev_i32_e32 v27, 5, v10
	v_add_co_u32_e32 v10, vcc, v11, v28
	v_addc_co_u32_e32 v11, vcc, 0, v26, vcc
	v_cmp_gt_i32_e32 vcc, s33, v31
	v_cndmask_b32_e32 v48, v30, v27, vcc
	global_load_dwordx4 v[26:29], v[32:33], off offset:2048
	v_mfma_f32_16x16x16f16 v[2:5], v[4:5], v[24:25], v[36:39]
	v_ashrrev_i32_e32 v49, 31, v48
	s_nop 5
	global_load_dwordx4 v[36:39], v[10:11], off
	global_load_dwordx4 v[56:59], v[10:11], off offset:2048
	v_lshlrev_b64 v[10:11], 2, v[48:49]
	v_add_co_u32_e32 v10, vcc, s17, v10
	v_addc_co_u32_e32 v11, vcc, v50, v11, vcc
	s_waitcnt vmcnt(5) lgkmcnt(0)
	v_mfma_f32_16x16x16f16 v[2:5], v[14:15], v[18:19], v[2:5]
	global_load_dword v14, v[10:11], off
	v_cmp_gt_i32_e32 vcc, s33, v51
	v_mov_b32_e32 v15, s18
	v_mfma_f32_16x16x16f16 v[60:63], v[16:17], v[20:21], v[2:5]
	s_nop 6
	v_ashrrev_i32_e32 v2, 5, v55
	v_cndmask_b32_e32 v2, v30, v2, vcc
	v_ashrrev_i32_e32 v3, 31, v2
	v_lshlrev_b64 v[10:11], 2, v[2:3]
	v_mfma_f32_16x16x16f16 v[2:5], v[12:13], v[24:25], v[44:47]
	v_add_co_u32_e32 v10, vcc, s17, v10
	v_addc_co_u32_e32 v11, vcc, v15, v11, vcc
	global_load_dword v32, v[10:11], off
	v_or_b32_e32 v10, 0x80, v31
	v_add_u32_e32 v11, s10, v10
	v_ashrrev_i32_e32 v11, 5, v11
	v_cmp_gt_i32_e32 vcc, s33, v10
	s_waitcnt vmcnt(6)
	v_mfma_f32_16x16x16f16 v[2:5], v[6:7], v[18:19], v[2:5]
	v_cndmask_b32_e32 v10, v30, v11, vcc
	v_ashrrev_i32_e32 v11, 31, v10
	v_lshlrev_b64 v[6:7], 2, v[10:11]
	v_mov_b32_e32 v10, s18
	v_add_co_u32_e32 v6, vcc, s17, v6
	v_addc_co_u32_e32 v7, vcc, v10, v7, vcc
	global_load_dword v33, v[6:7], off
	v_mfma_f32_16x16x16f16 v[44:47], v[8:9], v[20:21], v[2:5]
	v_or_b32_e32 v6, 0xc0, v31
	v_add_u32_e32 v7, s10, v6
	v_ashrrev_i32_e32 v7, 5, v7
	v_cmp_gt_i32_e32 vcc, s33, v6
	v_cndmask_b32_e32 v6, v30, v7, vcc
	v_ashrrev_i32_e32 v7, 31, v6
	v_lshlrev_b64 v[6:7], 2, v[6:7]
	s_waitcnt vmcnt(6)
	v_mfma_f32_16x16x16f16 v[2:5], v[40:41], v[22:23], 0
	v_mov_b32_e32 v8, s18
	v_add_co_u32_e32 v6, vcc, s17, v6
	v_addc_co_u32_e32 v7, vcc, v8, v7, vcc
	global_load_dword v55, v[6:7], off
	v_and_b32_e32 v6, 16, v0
	v_mfma_f32_16x16x16f16 v[2:5], v[42:43], v[24:25], v[2:5]
	v_lshlrev_b32_e32 v6, 1, v6
	v_mov_b32_e32 v7, s8
	v_add_co_u32_e32 v6, vcc, s3, v6
	v_lshlrev_b32_e32 v8, 6, v52
	v_addc_co_u32_e32 v7, vcc, 0, v7, vcc
	s_waitcnt vmcnt(6)
	v_mfma_f32_16x16x16f16 v[2:5], v[26:27], v[18:19], v[2:5]
	v_lshl_or_b32 v8, v53, 10, v8
	v_add_co_u32_e32 v64, vcc, v6, v8
	v_addc_co_u32_e32 v65, vcc, 0, v7, vcc
	v_pk_mul_f32 v[48:49], s[2:3], v[62:63] op_sel_hi:[0,1]
	v_pk_mul_f32 v[40:41], s[2:3], v[44:45] op_sel_hi:[0,1]
	v_mfma_f32_16x16x16f16 v[26:29], v[28:29], v[20:21], v[2:5]
	v_pk_mul_f32 v[50:51], s[2:3], v[46:47] op_sel_hi:[0,1]
	s_waitcnt vmcnt(1)
	v_mad_i64_i32 v[30:31], s[8:9], v33, s45, 0
	s_nop 3
	v_mad_i64_i32 v[2:3], s[8:9], v14, s45, 0
	v_lshlrev_b64 v[6:7], 1, v[2:3]
	v_mfma_f32_16x16x16f16 v[2:5], v[36:37], v[22:23], 0
	s_nop 0
	v_pk_mul_f32 v[44:45], s[2:3], v[26:27] op_sel_hi:[0,1]
	v_add_co_u32_e32 v6, vcc, v64, v6
	v_addc_co_u32_e32 v7, vcc, v65, v7, vcc
	global_load_dwordx4 v[14:17], v[6:7], off
	global_load_dwordx4 v[10:13], v[6:7], off offset:16
	v_mad_i64_i32 v[6:7], s[8:9], v32, s45, 0
	v_mfma_f32_16x16x16f16 v[22:25], v[38:39], v[24:25], v[2:5]
	v_pk_mul_f32 v[46:47], s[2:3], v[28:29] op_sel_hi:[0,1]
	v_lshlrev_b64 v[6:7], 1, v[6:7]
	v_lshlrev_b64 v[30:31], 1, v[30:31]
	v_mfma_f32_16x16x16f16 v[22:25], v[56:57], v[18:19], v[22:25]
	v_pk_mul_f32 v[18:19], s[2:3], v[60:61] op_sel_hi:[0,1]
	s_nop 1
	v_add_co_u32_e32 v2, vcc, v64, v6
	v_addc_co_u32_e32 v3, vcc, v65, v7, vcc
	v_add_co_u32_e32 v38, vcc, v64, v30
	v_mfma_f32_16x16x16f16 v[20:23], v[58:59], v[20:21], v[22:25]
	v_addc_co_u32_e32 v39, vcc, v65, v31, vcc
	global_load_dwordx4 v[6:9], v[2:3], off
	s_nop 0
	global_load_dwordx4 v[2:5], v[2:3], off offset:16
	s_nop 6
	v_pk_mul_f32 v[42:43], s[2:3], v[20:21] op_sel_hi:[0,1]
	v_and_b32_e32 v20, 0xc0, v0
	v_add_u32_e32 v20, s16, v20
	v_lshl_or_b32 v20, v1, 2, v20
	v_pk_mul_f32 v[36:37], s[2:3], v[22:23] op_sel_hi:[0,1]
	v_or_b32_e32 v23, 1, v20
	v_mov_b32_e32 v21, 0xff7fffff
	v_cmp_gt_i32_e64 s[30:31], s33, v20
	v_cmp_gt_i32_e64 s[34:35], s33, v23
	v_cndmask_b32_e64 v22, v21, v18, s[30:31]
	v_cndmask_b32_e64 v23, v21, v19, s[34:35]
	v_max3_f32 v22, v22, s43, v23
	v_or_b32_e32 v23, 2, v20
	v_or_b32_e32 v24, 3, v20
	v_cmp_gt_i32_e64 s[36:37], s33, v23
	v_cmp_gt_i32_e64 s[38:39], s33, v24
	v_cndmask_b32_e64 v23, v21, v48, s[36:37]
	v_cndmask_b32_e64 v24, v21, v49, s[38:39]
	v_max3_f32 v22, v22, v23, v24
	v_or_b32_e32 v23, 16, v20
	v_or_b32_e32 v24, 17, v20
	;; [unrolled: 7-line block ×7, first 2 shown]
	v_cmp_gt_i32_e32 vcc, s33, v23
	v_cmp_gt_i32_e64 s[2:3], s33, v20
	v_cndmask_b32_e32 v23, v21, v36, vcc
	v_cndmask_b32_e64 v20, v21, v37, s[2:3]
	v_max3_f32 v26, v22, v23, v20
	v_mbcnt_lo_u32_b32 v20, -1, 0
	v_mbcnt_hi_u32_b32 v27, -1, v20
	v_and_b32_e32 v20, 64, v27
	v_add_u32_e32 v28, 64, v20
	v_xor_b32_e32 v20, 32, v27
	v_cmp_lt_i32_e64 s[40:41], v20, v28
	v_cndmask_b32_e64 v20, v27, v20, s[40:41]
	v_lshlrev_b32_e32 v56, 2, v20
	ds_bpermute_b32 v29, v56, v26
	s_waitcnt vmcnt(4)
	v_mad_i64_i32 v[20:21], s[40:41], v55, s45, 0
	v_lshlrev_b64 v[20:21], 1, v[20:21]
	global_load_dwordx4 v[30:33], v[38:39], off
	global_load_dwordx4 v[22:25], v[38:39], off offset:16
	s_waitcnt lgkmcnt(0)
	v_max_f32_e32 v29, v29, v29
	v_max_f32_e32 v26, v26, v29
	v_xor_b32_e32 v29, 16, v27
	v_cmp_lt_i32_e64 s[40:41], v29, v28
	v_cndmask_b32_e64 v27, v27, v29, s[40:41]
	v_lshlrev_b32_e32 v58, 2, v27
	ds_bpermute_b32 v27, v58, v26
	v_add_co_u32_e64 v20, s[40:41], v64, v20
	v_addc_co_u32_e64 v21, s[40:41], v65, v21, s[40:41]
	s_waitcnt lgkmcnt(0)
	v_max_f32_e32 v27, v27, v27
	v_max_f32_e32 v55, v26, v27
	v_sub_f32_e32 v18, v18, v55
	v_mul_f32_e32 v18, 0x3fb8aa3b, v18
	v_exp_f32_e32 v38, v18
	v_sub_f32_e32 v18, v19, v55
	v_mul_f32_e32 v18, 0x3fb8aa3b, v18
	v_exp_f32_e32 v39, v18
	global_load_dwordx4 v[26:29], v[20:21], off
	s_nop 0
	global_load_dwordx4 v[18:21], v[20:21], off offset:16
	v_sub_f32_e32 v48, v48, v55
	v_mul_f32_e32 v48, 0x3fb8aa3b, v48
	v_sub_f32_e32 v49, v49, v55
	v_exp_f32_e32 v48, v48
	v_mul_f32_e32 v49, 0x3fb8aa3b, v49
	v_sub_f32_e32 v40, v40, v55
	v_exp_f32_e32 v49, v49
	v_mul_f32_e32 v40, 0x3fb8aa3b, v40
	v_sub_f32_e32 v41, v41, v55
	v_cndmask_b32_e64 v38, 0, v38, s[30:31]
	v_exp_f32_e32 v40, v40
	v_mul_f32_e32 v41, 0x3fb8aa3b, v41
	v_sub_f32_e32 v50, v50, v55
	v_add_f32_e32 v57, 0, v38
	v_cndmask_b32_e64 v39, 0, v39, s[34:35]
	v_exp_f32_e32 v41, v41
	v_mul_f32_e32 v50, 0x3fb8aa3b, v50
	v_sub_f32_e32 v51, v51, v55
	v_add_f32_e32 v57, v57, v39
	;; [unrolled: 5-line block ×10, first 2 shown]
	v_cndmask_b32_e64 v46, 0, v46, s[12:13]
	v_exp_f32_e32 v36, v36
	v_mul_f32_e32 v37, 0x3fb8aa3b, v37
	v_add_f32_e32 v57, v57, v46
	v_cndmask_b32_e64 v47, 0, v47, s[14:15]
	v_exp_f32_e32 v37, v37
	v_add_f32_e32 v57, v57, v47
	v_cndmask_b32_e64 v42, 0, v42, s[8:9]
	v_add_f32_e32 v57, v57, v42
	v_cndmask_b32_e64 v43, 0, v43, s[10:11]
	v_add_f32_e32 v57, v57, v43
	v_cndmask_b32_e32 v36, 0, v36, vcc
	v_add_f32_e32 v57, v57, v36
	v_cndmask_b32_e64 v37, 0, v37, s[2:3]
	v_add_f32_e32 v57, v57, v37
	ds_bpermute_b32 v56, v56, v57
	v_cmp_gt_u32_e64 s[2:3], 16, v54
	s_waitcnt lgkmcnt(0)
	s_barrier
	v_add_f32_e32 v57, v57, v56
	ds_bpermute_b32 v58, v58, v57
	v_lshlrev_b32_e32 v56, 2, v52
	s_and_saveexec_b64 s[8:9], s[2:3]
	s_cbranch_execz .LBB80_15
; %bb.14:
	s_waitcnt lgkmcnt(0)
	v_add_f32_e32 v54, v57, v58
	v_lshl_or_b32 v57, v53, 6, v56
	ds_write2st64_b32 v57, v55, v54 offset1:1
.LBB80_15:
	s_or_b64 exec, exec, s[8:9]
	s_load_dword s10, s[4:5], 0x94
	s_waitcnt lgkmcnt(0)
	s_barrier
	ds_read2_b32 v[58:59], v56 offset1:16
	ds_read2_b32 v[60:61], v56 offset0:32 offset1:48
	ds_read2_b32 v[62:63], v56 offset0:64 offset1:80
	;; [unrolled: 1-line block ×3, first 2 shown]
	s_waitcnt lgkmcnt(0)
	v_max3_f32 v54, v58, s43, v59
	v_max3_f32 v54, v54, v60, v61
	v_sub_f32_e32 v55, v58, v54
	v_mul_f32_e32 v55, 0x3fb8aa3b, v55
	v_exp_f32_e32 v58, v55
	v_sub_f32_e32 v55, v59, v54
	v_mul_f32_e32 v55, 0x3fb8aa3b, v55
	v_exp_f32_e32 v59, v55
	;; [unrolled: 3-line block ×4, first 2 shown]
	v_fma_f32 v55, v58, v62, 0
	v_fmac_f32_e32 v55, v59, v63
	v_fmac_f32_e32 v55, v60, v56
	;; [unrolled: 1-line block ×3, first 2 shown]
	v_add_f32_e32 v56, 0x358637bd, v55
	v_div_scale_f32 v57, s[8:9], v56, v56, 1.0
	v_rcp_f32_e32 v62, v57
	s_barrier
	s_mul_i32 s11, s42, 5
	v_fma_f32 v63, -v57, v62, 1.0
	v_fmac_f32_e32 v62, v63, v62
	v_div_scale_f32 v63, vcc, 1.0, v56, 1.0
	v_mul_f32_e32 v64, v63, v62
	v_fma_f32 v65, -v57, v64, v63
	v_fmac_f32_e32 v64, v65, v62
	v_fma_f32 v57, -v57, v64, v63
	v_div_fmas_f32 v57, v57, v62, v64
	v_cmp_eq_u32_e32 vcc, 1, v53
	v_div_fixup_f32 v56, v57, v56, 1.0
	v_cndmask_b32_e32 v57, v58, v59, vcc
	v_cmp_eq_u32_e32 vcc, 2, v53
	v_cndmask_b32_e32 v57, v57, v60, vcc
	v_cmp_eq_u32_e32 vcc, 3, v53
	v_cndmask_b32_e32 v57, v57, v61, vcc
	v_mul_f32_e32 v56, v57, v56
	v_pk_mul_f32 v[48:49], v[56:57], v[48:49] op_sel_hi:[0,1]
	v_pk_mul_f32 v[38:39], v[56:57], v[38:39] op_sel_hi:[0,1]
	v_cvt_f16_f32_e32 v57, v48
	v_cvt_f16_f32_e32 v38, v38
	;; [unrolled: 1-line block ×4, first 2 shown]
	v_pk_mul_f32 v[50:51], v[56:57], v[50:51] op_sel_hi:[0,1]
	v_pk_mul_f32 v[40:41], v[56:57], v[40:41] op_sel_hi:[0,1]
	v_cvt_f16_f32_e32 v40, v40
	v_cvt_f16_f32_e32 v41, v41
	;; [unrolled: 1-line block ×4, first 2 shown]
	v_pack_b32_f16 v48, v38, v39
	v_lshlrev_b32_e32 v38, 3, v1
	v_lshlrev_b32_e32 v39, 5, v52
	;; [unrolled: 1-line block ×3, first 2 shown]
	v_pack_b32_f16 v49, v57, v49
	v_or3_b32 v38, v53, v39, v38
	v_pack_b32_f16 v40, v40, v41
	v_pack_b32_f16 v41, v50, v51
	ds_write2st64_b64 v38, v[48:49], v[40:41] offset1:1
	v_pk_mul_f32 v[40:41], v[56:57], v[46:47] op_sel_hi:[0,1]
	v_pk_mul_f32 v[44:45], v[56:57], v[44:45] op_sel_hi:[0,1]
	v_cvt_f16_f32_e32 v46, v40
	v_cvt_f16_f32_e32 v47, v41
	v_pk_mul_f32 v[36:37], v[56:57], v[36:37] op_sel_hi:[0,1]
	v_pk_mul_f32 v[40:41], v[56:57], v[42:43] op_sel_hi:[0,1]
	v_cvt_f16_f32_e32 v44, v44
	v_cvt_f16_f32_e32 v45, v45
	;; [unrolled: 1-line block ×6, first 2 shown]
	v_pack_b32_f16 v36, v44, v45
	v_pack_b32_f16 v37, v46, v47
	;; [unrolled: 1-line block ×4, first 2 shown]
	v_cmp_gt_u32_e32 vcc, 5, v0
	ds_write2st64_b64 v38, v[36:37], v[40:41] offset0:2 offset1:3
	s_and_saveexec_b64 s[8:9], vcc
	s_cbranch_execz .LBB80_17
; %bb.16:
	v_add_co_u32_e32 v40, vcc, s29, v52
	v_addc_co_u32_e64 v41, s[16:17], 0, 0, vcc
	v_mov_b32_e32 v36, s11
	v_mov_b32_e32 v37, 0
	v_mad_u64_u32 v[40:41], s[16:17], s6, v36, v[40:41]
	v_mov_b32_e32 v36, s28
	s_load_dwordx4 s[12:15], s[4:5], 0x58
	s_mul_i32 s7, s7, s11
	v_mad_u64_u32 v[36:37], s[16:17], v40, s10, v[36:37]
	v_add_u32_e32 v41, s7, v41
	v_mov_b32_e32 v40, v37
	v_mad_u64_u32 v[40:41], s[16:17], v41, s10, v[40:41]
	v_mov_b32_e32 v37, v40
	v_lshlrev_b64 v[36:37], 2, v[36:37]
	s_waitcnt lgkmcnt(0)
	v_mov_b32_e32 v41, s15
	v_add_co_u32_e32 v40, vcc, s14, v36
	v_addc_co_u32_e32 v41, vcc, v41, v37, vcc
	global_store_dword v[40:41], v54, off
	v_mov_b32_e32 v40, s13
	v_add_co_u32_e32 v36, vcc, s12, v36
	v_addc_co_u32_e32 v37, vcc, v40, v37, vcc
	global_store_dword v[36:37], v55, off
.LBB80_17:
	s_or_b64 exec, exec, s[8:9]
	v_lshl_or_b32 v36, v1, 9, v39
	s_waitcnt lgkmcnt(0)
	s_barrier
	ds_read_b128 v[40:43], v36
	ds_read_b128 v[44:47], v36 offset:16
	s_waitcnt vmcnt(7) lgkmcnt(1)
	v_mfma_f32_16x16x16f16 v[48:51], v[14:15], v[40:41], 0
	v_cmp_gt_u32_e32 vcc, 64, v0
	s_mov_b32 s7, 0
	s_and_b64 s[0:1], vcc, s[0:1]
	v_mfma_f32_16x16x16f16 v[14:17], v[16:17], v[42:43], v[48:51]
	s_waitcnt vmcnt(6) lgkmcnt(0)
	v_mfma_f32_16x16x16f16 v[14:17], v[10:11], v[44:45], v[14:17]
	v_mfma_f32_16x16x16f16 v[10:13], v[12:13], v[46:47], v[14:17]
	s_nop 7
	s_nop 1
	ds_read_b128 v[14:17], v36 offset:2048
	ds_read_b128 v[40:43], v36 offset:2064
	s_waitcnt vmcnt(5) lgkmcnt(1)
	v_mfma_f32_16x16x16f16 v[10:13], v[6:7], v[14:15], v[10:13]
	v_mfma_f32_16x16x16f16 v[6:9], v[8:9], v[16:17], v[10:13]
	s_waitcnt vmcnt(4) lgkmcnt(0)
	v_mfma_f32_16x16x16f16 v[6:9], v[2:3], v[40:41], v[6:9]
	v_mfma_f32_16x16x16f16 v[2:5], v[4:5], v[42:43], v[6:9]
	s_nop 7
	s_nop 1
	ds_read_b128 v[6:9], v36 offset:4096
	ds_read_b128 v[10:13], v36 offset:4112
	s_waitcnt vmcnt(3) lgkmcnt(1)
	v_mfma_f32_16x16x16f16 v[2:5], v[30:31], v[6:7], v[2:5]
	v_mfma_f32_16x16x16f16 v[2:5], v[32:33], v[8:9], v[2:5]
	s_waitcnt vmcnt(2) lgkmcnt(0)
	v_mfma_f32_16x16x16f16 v[2:5], v[22:23], v[10:11], v[2:5]
	v_mfma_f32_16x16x16f16 v[2:5], v[24:25], v[12:13], v[2:5]
	ds_read_b128 v[6:9], v36 offset:6144
	ds_read_b128 v[10:13], v36 offset:6160
	s_waitcnt lgkmcnt(0)
	s_barrier
	s_waitcnt vmcnt(1)
	v_mfma_f32_16x16x16f16 v[2:5], v[26:27], v[6:7], v[2:5]
	v_mfma_f32_16x16x16f16 v[2:5], v[28:29], v[8:9], v[2:5]
	s_waitcnt vmcnt(0)
	v_mfma_f32_16x16x16f16 v[2:5], v[18:19], v[10:11], v[2:5]
	v_mfma_f32_16x16x16f16 v[2:5], v[20:21], v[12:13], v[2:5]
	s_nop 7
	s_nop 2
	v_cvt_f16_f32_e32 v2, v2
	v_cvt_f16_f32_e32 v3, v3
	;; [unrolled: 1-line block ×4, first 2 shown]
	v_pack_b32_f16 v2, v2, v3
	v_pack_b32_f16 v3, v4, v5
	ds_write_b64 v38, v[2:3]
	s_waitcnt lgkmcnt(0)
	s_barrier
	s_and_saveexec_b64 s[8:9], s[0:1]
	s_cbranch_execz .LBB80_20
; %bb.18:
	s_load_dwordx2 s[4:5], s[4:5], 0x68
	s_lshl_b32 s0, s10, 6
	s_mul_i32 s1, s11, s6
	s_mul_hi_u32 s9, s1, s0
	s_mul_i32 s8, s1, s0
	s_lshl_b64 s[8:9], s[8:9], 1
	s_waitcnt lgkmcnt(0)
	s_add_u32 s1, s4, s8
	v_lshlrev_b32_e32 v2, 10, v0
	v_lshlrev_b32_e32 v0, 4, v0
	s_addc_u32 s8, s5, s9
	s_lshl_b32 s6, s28, 6
	v_and_b32_e32 v2, 0x1800, v2
	v_lshlrev_b32_e32 v3, 5, v1
	v_and_b32_e32 v0, 16, v0
	s_lshl_b64 s[4:5], s[6:7], 1
	v_or3_b32 v0, v2, v3, v0
	s_add_u32 s1, s1, s4
	s_addc_u32 s4, s8, s5
	ds_read_b128 v[4:7], v0
	v_add_u32_e32 v8, s29, v1
	v_mov_b32_e32 v3, s4
	v_add_co_u32_e32 v2, vcc, s1, v34
	v_mad_u64_u32 v[8:9], s[4:5], v8, s0, 0
	v_addc_co_u32_e32 v3, vcc, v3, v35, vcc
	v_lshlrev_b64 v[8:9], 1, v[8:9]
	v_add_co_u32_e32 v8, vcc, v2, v8
	v_addc_co_u32_e32 v9, vcc, v3, v9, vcc
	s_waitcnt lgkmcnt(0)
	global_store_dwordx4 v[8:9], v[4:7], off
	s_and_b64 exec, exec, s[2:3]
	s_cbranch_execz .LBB80_20
; %bb.19:
	ds_read_b128 v[4:7], v0 offset:128
	v_add3_u32 v0, s29, v1, 4
	v_mad_u64_u32 v[0:1], s[0:1], v0, s0, 0
	v_lshlrev_b64 v[0:1], 1, v[0:1]
	v_add_co_u32_e32 v0, vcc, v2, v0
	v_addc_co_u32_e32 v1, vcc, v3, v1, vcc
	s_waitcnt lgkmcnt(0)
	global_store_dwordx4 v[0:1], v[4:7], off
.LBB80_20:
	s_endpgm
	.section	.rodata,"a",@progbits
	.p2align	6, 0x0
	.amdhsa_kernel _Z39paged_attention_ll4mi_QKV_mfma16_kernelIDF16_DF16_LN4vllm18Fp8KVCacheDataTypeE0EDF16_Li32ELi64ELi256ELb0ELi5EL8MFMAType0EEvPKT_PKT0_S8_ifPKiSA_SA_iPKfiiiPfSD_PS3_PT2_iSC_SC_
		.amdhsa_group_segment_fixed_size 8192
		.amdhsa_private_segment_fixed_size 0
		.amdhsa_kernarg_size 400
		.amdhsa_user_sgpr_count 6
		.amdhsa_user_sgpr_private_segment_buffer 1
		.amdhsa_user_sgpr_dispatch_ptr 0
		.amdhsa_user_sgpr_queue_ptr 0
		.amdhsa_user_sgpr_kernarg_segment_ptr 1
		.amdhsa_user_sgpr_dispatch_id 0
		.amdhsa_user_sgpr_flat_scratch_init 0
		.amdhsa_user_sgpr_kernarg_preload_length 0
		.amdhsa_user_sgpr_kernarg_preload_offset 0
		.amdhsa_user_sgpr_private_segment_size 0
		.amdhsa_uses_dynamic_stack 0
		.amdhsa_system_sgpr_private_segment_wavefront_offset 0
		.amdhsa_system_sgpr_workgroup_id_x 1
		.amdhsa_system_sgpr_workgroup_id_y 1
		.amdhsa_system_sgpr_workgroup_id_z 1
		.amdhsa_system_sgpr_workgroup_info 0
		.amdhsa_system_vgpr_workitem_id 0
		.amdhsa_next_free_vgpr 66
		.amdhsa_next_free_sgpr 48
		.amdhsa_accum_offset 68
		.amdhsa_reserve_vcc 1
		.amdhsa_reserve_flat_scratch 0
		.amdhsa_float_round_mode_32 0
		.amdhsa_float_round_mode_16_64 0
		.amdhsa_float_denorm_mode_32 3
		.amdhsa_float_denorm_mode_16_64 3
		.amdhsa_dx10_clamp 1
		.amdhsa_ieee_mode 1
		.amdhsa_fp16_overflow 0
		.amdhsa_tg_split 0
		.amdhsa_exception_fp_ieee_invalid_op 0
		.amdhsa_exception_fp_denorm_src 0
		.amdhsa_exception_fp_ieee_div_zero 0
		.amdhsa_exception_fp_ieee_overflow 0
		.amdhsa_exception_fp_ieee_underflow 0
		.amdhsa_exception_fp_ieee_inexact 0
		.amdhsa_exception_int_div_zero 0
	.end_amdhsa_kernel
	.section	.text._Z39paged_attention_ll4mi_QKV_mfma16_kernelIDF16_DF16_LN4vllm18Fp8KVCacheDataTypeE0EDF16_Li32ELi64ELi256ELb0ELi5EL8MFMAType0EEvPKT_PKT0_S8_ifPKiSA_SA_iPKfiiiPfSD_PS3_PT2_iSC_SC_,"axG",@progbits,_Z39paged_attention_ll4mi_QKV_mfma16_kernelIDF16_DF16_LN4vllm18Fp8KVCacheDataTypeE0EDF16_Li32ELi64ELi256ELb0ELi5EL8MFMAType0EEvPKT_PKT0_S8_ifPKiSA_SA_iPKfiiiPfSD_PS3_PT2_iSC_SC_,comdat
.Lfunc_end80:
	.size	_Z39paged_attention_ll4mi_QKV_mfma16_kernelIDF16_DF16_LN4vllm18Fp8KVCacheDataTypeE0EDF16_Li32ELi64ELi256ELb0ELi5EL8MFMAType0EEvPKT_PKT0_S8_ifPKiSA_SA_iPKfiiiPfSD_PS3_PT2_iSC_SC_, .Lfunc_end80-_Z39paged_attention_ll4mi_QKV_mfma16_kernelIDF16_DF16_LN4vllm18Fp8KVCacheDataTypeE0EDF16_Li32ELi64ELi256ELb0ELi5EL8MFMAType0EEvPKT_PKT0_S8_ifPKiSA_SA_iPKfiiiPfSD_PS3_PT2_iSC_SC_
                                        ; -- End function
	.section	.AMDGPU.csdata,"",@progbits
; Kernel info:
; codeLenInByte = 4072
; NumSgprs: 52
; NumVgprs: 66
; NumAgprs: 0
; TotalNumVgprs: 66
; ScratchSize: 0
; MemoryBound: 0
; FloatMode: 240
; IeeeMode: 1
; LDSByteSize: 8192 bytes/workgroup (compile time only)
; SGPRBlocks: 6
; VGPRBlocks: 8
; NumSGPRsForWavesPerEU: 52
; NumVGPRsForWavesPerEU: 66
; AccumOffset: 68
; Occupancy: 7
; WaveLimiterHint : 1
; COMPUTE_PGM_RSRC2:SCRATCH_EN: 0
; COMPUTE_PGM_RSRC2:USER_SGPR: 6
; COMPUTE_PGM_RSRC2:TRAP_HANDLER: 0
; COMPUTE_PGM_RSRC2:TGID_X_EN: 1
; COMPUTE_PGM_RSRC2:TGID_Y_EN: 1
; COMPUTE_PGM_RSRC2:TGID_Z_EN: 1
; COMPUTE_PGM_RSRC2:TIDIG_COMP_CNT: 0
; COMPUTE_PGM_RSRC3_GFX90A:ACCUM_OFFSET: 16
; COMPUTE_PGM_RSRC3_GFX90A:TG_SPLIT: 0
	.section	.text._Z39paged_attention_ll4mi_QKV_mfma16_kernelIDF16_DF16_LN4vllm18Fp8KVCacheDataTypeE0EDF16_Li32ELi64ELi256ELb0ELi6EL8MFMAType0EEvPKT_PKT0_S8_ifPKiSA_SA_iPKfiiiPfSD_PS3_PT2_iSC_SC_,"axG",@progbits,_Z39paged_attention_ll4mi_QKV_mfma16_kernelIDF16_DF16_LN4vllm18Fp8KVCacheDataTypeE0EDF16_Li32ELi64ELi256ELb0ELi6EL8MFMAType0EEvPKT_PKT0_S8_ifPKiSA_SA_iPKfiiiPfSD_PS3_PT2_iSC_SC_,comdat
	.protected	_Z39paged_attention_ll4mi_QKV_mfma16_kernelIDF16_DF16_LN4vllm18Fp8KVCacheDataTypeE0EDF16_Li32ELi64ELi256ELb0ELi6EL8MFMAType0EEvPKT_PKT0_S8_ifPKiSA_SA_iPKfiiiPfSD_PS3_PT2_iSC_SC_ ; -- Begin function _Z39paged_attention_ll4mi_QKV_mfma16_kernelIDF16_DF16_LN4vllm18Fp8KVCacheDataTypeE0EDF16_Li32ELi64ELi256ELb0ELi6EL8MFMAType0EEvPKT_PKT0_S8_ifPKiSA_SA_iPKfiiiPfSD_PS3_PT2_iSC_SC_
	.globl	_Z39paged_attention_ll4mi_QKV_mfma16_kernelIDF16_DF16_LN4vllm18Fp8KVCacheDataTypeE0EDF16_Li32ELi64ELi256ELb0ELi6EL8MFMAType0EEvPKT_PKT0_S8_ifPKiSA_SA_iPKfiiiPfSD_PS3_PT2_iSC_SC_
	.p2align	8
	.type	_Z39paged_attention_ll4mi_QKV_mfma16_kernelIDF16_DF16_LN4vllm18Fp8KVCacheDataTypeE0EDF16_Li32ELi64ELi256ELb0ELi6EL8MFMAType0EEvPKT_PKT0_S8_ifPKiSA_SA_iPKfiiiPfSD_PS3_PT2_iSC_SC_,@function
_Z39paged_attention_ll4mi_QKV_mfma16_kernelIDF16_DF16_LN4vllm18Fp8KVCacheDataTypeE0EDF16_Li32ELi64ELi256ELb0ELi6EL8MFMAType0EEvPKT_PKT0_S8_ifPKiSA_SA_iPKfiiiPfSD_PS3_PT2_iSC_SC_: ; @_Z39paged_attention_ll4mi_QKV_mfma16_kernelIDF16_DF16_LN4vllm18Fp8KVCacheDataTypeE0EDF16_Li32ELi64ELi256ELb0ELi6EL8MFMAType0EEvPKT_PKT0_S8_ifPKiSA_SA_iPKfiiiPfSD_PS3_PT2_iSC_SC_
; %bb.0:
	s_load_dwordx2 s[0:1], s[4:5], 0x30
	s_mov_b32 s28, s7
	s_mov_b64 s[10:11], 0
	s_waitcnt lgkmcnt(0)
	s_cmp_lg_u64 s[0:1], 0
	s_cselect_b64 s[2:3], -1, 0
	s_and_b64 vcc, exec, s[2:3]
	s_cbranch_vccz .LBB81_7
; %bb.1:
	s_add_i32 s12, s6, 1
	s_mov_b32 s13, 0
	s_lshl_b64 s[14:15], s[12:13], 2
	s_add_u32 s14, s0, s14
	s_mov_b32 s7, s13
	s_addc_u32 s15, s1, s15
	s_lshl_b64 s[12:13], s[6:7], 2
	s_add_u32 s12, s0, s12
	s_addc_u32 s13, s1, s13
	s_load_dword s9, s[14:15], 0x0
	s_load_dword s16, s[12:13], 0x0
	s_waitcnt lgkmcnt(0)
	s_sub_i32 s9, s9, s16
	s_cmp_eq_u32 s9, 1
	s_cselect_b64 s[12:13], -1, 0
	s_andn2_b64 vcc, exec, s[10:11]
	s_cbranch_vccnz .LBB81_3
.LBB81_2:
	s_mov_b32 s7, 0
	s_mov_b64 s[12:13], -1
.LBB81_3:
	s_andn2_b64 vcc, exec, s[12:13]
	s_cbranch_vccnz .LBB81_20
; %bb.4:
	s_load_dwordx2 s[12:13], s[4:5], 0x28
	s_lshl_b64 s[10:11], s[6:7], 2
	s_waitcnt lgkmcnt(0)
	s_add_u32 s12, s12, s10
	s_addc_u32 s13, s13, s11
	s_load_dword s33, s[12:13], 0x0
	s_lshl_b32 s16, s28, 8
	s_waitcnt lgkmcnt(0)
	s_cmp_ge_i32 s16, s33
	s_cbranch_scc1 .LBB81_20
; %bb.5:
	s_add_i32 s14, s33, 31
	s_load_dwordx2 s[12:13], s[4:5], 0x20
	s_load_dword s9, s[4:5], 0x38
	s_ashr_i32 s15, s14, 31
	v_and_b32_e32 v1, 0xcf, v0
	s_lshr_b32 s15, s15, 27
	v_add_u32_e32 v1, s16, v1
	s_add_i32 s14, s14, s15
	v_ashrrev_i32_e32 v2, 31, v1
	s_ashr_i32 s19, s14, 5
	v_lshrrev_b32_e32 v6, 27, v2
	s_add_i32 s19, s19, -1
	v_add_u32_e32 v2, v1, v6
	s_waitcnt lgkmcnt(0)
	s_mul_i32 s14, s6, s9
	s_mov_b32 s15, 0
	v_ashrrev_i32_e32 v2, 5, v2
	v_mov_b32_e32 v7, s19
	v_cmp_gt_i32_e32 vcc, s33, v1
	s_lshl_b64 s[14:15], s[14:15], 2
	v_cndmask_b32_e32 v2, v7, v2, vcc
	s_add_u32 s17, s12, s14
	v_ashrrev_i32_e32 v3, 31, v2
	s_addc_u32 s18, s13, s15
	v_lshlrev_b64 v[2:3], 2, v[2:3]
	v_mov_b32_e32 v4, s18
	v_add_co_u32_e32 v2, vcc, s17, v2
	v_addc_co_u32_e32 v3, vcc, v4, v3, vcc
	v_or_b32_e32 v4, 16, v1
	v_add_u32_e32 v5, v4, v6
	v_ashrrev_i32_e32 v5, 5, v5
	v_cmp_gt_i32_e32 vcc, s33, v4
	v_cndmask_b32_e32 v4, v7, v5, vcc
	v_ashrrev_i32_e32 v5, 31, v4
	v_lshlrev_b64 v[4:5], 2, v[4:5]
	v_mov_b32_e32 v9, s18
	v_add_co_u32_e32 v8, vcc, s17, v4
	v_or_b32_e32 v4, 32, v1
	v_addc_co_u32_e32 v9, vcc, v9, v5, vcc
	v_add_u32_e32 v5, v4, v6
	v_ashrrev_i32_e32 v5, 5, v5
	v_cmp_gt_i32_e32 vcc, s33, v4
	v_cndmask_b32_e32 v4, v7, v5, vcc
	v_ashrrev_i32_e32 v5, 31, v4
	v_lshlrev_b64 v[4:5], 2, v[4:5]
	v_mov_b32_e32 v11, s18
	v_add_co_u32_e32 v10, vcc, s17, v4
	v_or_b32_e32 v1, 48, v1
	v_addc_co_u32_e32 v11, vcc, v11, v5, vcc
	v_add_u32_e32 v4, v1, v6
	v_ashrrev_i32_e32 v4, 5, v4
	v_cmp_gt_i32_e32 vcc, s33, v1
	v_cndmask_b32_e32 v4, v7, v4, vcc
	v_ashrrev_i32_e32 v5, 31, v4
	v_lshlrev_b64 v[4:5], 2, v[4:5]
	v_mov_b32_e32 v1, s18
	v_add_co_u32_e32 v12, vcc, s17, v4
	v_addc_co_u32_e32 v13, vcc, v1, v5, vcc
	global_load_dword v4, v[2:3], off
	global_load_dword v6, v[8:9], off
	;; [unrolled: 1-line block ×4, first 2 shown]
	s_andn2_b64 vcc, exec, s[2:3]
	s_cbranch_vccnz .LBB81_8
; %bb.6:
	s_add_u32 s0, s0, s10
	s_addc_u32 s1, s1, s11
	s_load_dword s9, s[0:1], 0x0
	s_branch .LBB81_9
.LBB81_7:
	s_mov_b64 s[12:13], 0
	s_branch .LBB81_2
.LBB81_8:
	s_mov_b32 s9, s6
.LBB81_9:
	s_load_dwordx4 s[12:15], s[4:5], 0x8
	s_load_dwordx4 s[44:47], s[4:5], 0x48
	v_lshrrev_b32_e32 v53, 6, v0
	v_bfe_u32 v1, v0, 4, 2
	v_lshl_or_b32 v5, v53, 2, v1
	v_and_b32_e32 v52, 15, v0
	v_cmp_lt_u32_e32 vcc, 5, v5
	v_cmp_lt_u32_e64 s[2:3], 7, v52
	v_lshlrev_b32_e32 v2, 3, v52
	v_cmp_gt_u32_e64 s[0:1], 8, v52
	s_or_b64 s[2:3], s[2:3], vcc
	s_and_saveexec_b64 s[10:11], s[2:3]
	s_xor_b64 s[2:3], exec, s[10:11]
; %bb.10:
	v_mov_b32_e32 v3, 0
                                        ; implicit-def: $vgpr5
; %bb.11:
	s_or_saveexec_b64 s[2:3], s[2:3]
	v_and_b32_e32 v54, 63, v0
	s_mul_i32 s29, s8, 6
	s_xor_b64 exec, exec, s[2:3]
	s_cbranch_execz .LBB81_13
; %bb.12:
	s_load_dwordx2 s[10:11], s[4:5], 0x0
	s_waitcnt lgkmcnt(0)
	s_ashr_i32 s20, s44, 31
	s_mul_hi_u32 s21, s9, s44
	s_mul_i32 s20, s9, s20
	s_add_i32 s21, s21, s20
	s_mul_i32 s20, s9, s44
	s_lshl_b64 s[20:21], s[20:21], 1
	v_add_lshl_u32 v8, v5, s29, 6
	s_add_u32 s9, s10, s20
	v_ashrrev_i32_e32 v9, 31, v8
	s_addc_u32 s10, s11, s21
	v_lshlrev_b64 v[8:9], 1, v[8:9]
	v_mov_b32_e32 v3, s10
	v_add_co_u32_e32 v7, vcc, s9, v8
	v_addc_co_u32_e32 v3, vcc, v3, v9, vcc
	v_lshlrev_b32_e32 v8, 1, v2
	v_add_co_u32_e32 v8, vcc, v7, v8
	v_addc_co_u32_e32 v9, vcc, 0, v3, vcc
	global_load_dwordx4 v[8:11], v[8:9], off
	v_and_b32_e32 v7, 3, v0
	v_lshlrev_b32_e32 v12, 9, v52
	v_lshlrev_b32_e32 v5, 5, v5
	;; [unrolled: 1-line block ×3, first 2 shown]
	v_and_b32_e32 v12, 0x1800, v12
	v_mov_b32_e32 v3, 0
	v_or3_b32 v5, v12, v7, v5
	s_waitcnt vmcnt(0)
	ds_write_b128 v5, v[8:11]
.LBB81_13:
	s_or_b64 exec, exec, s[2:3]
	s_waitcnt lgkmcnt(0)
	s_mul_i32 s8, s8, s46
	s_mov_b32 s9, 0
	s_lshl_b64 s[8:9], s[8:9], 1
	s_add_u32 s3, s12, s8
	s_waitcnt vmcnt(3)
	v_mad_i64_i32 v[4:5], s[10:11], v4, s45, 0
	s_addc_u32 s12, s13, s9
	v_lshlrev_b64 v[4:5], 1, v[4:5]
	v_mov_b32_e32 v7, s12
	v_add_co_u32_e32 v4, vcc, s3, v4
	v_addc_co_u32_e32 v5, vcc, v7, v5, vcc
	v_lshlrev_b64 v[34:35], 1, v[2:3]
	v_add_co_u32_e32 v2, vcc, v4, v34
	v_lshlrev_b32_e32 v28, 9, v1
	v_addc_co_u32_e32 v3, vcc, v5, v35, vcc
	v_add_co_u32_e32 v8, vcc, v2, v28
	s_waitcnt vmcnt(2)
	v_mad_i64_i32 v[6:7], s[10:11], v6, s45, 0
	v_addc_co_u32_e32 v9, vcc, 0, v3, vcc
	v_lshlrev_b64 v[6:7], 1, v[6:7]
	s_load_dword s42, s[4:5], 0x98
	s_load_dword s2, s[4:5], 0x1c
	s_waitcnt lgkmcnt(0)
	s_barrier
	global_load_dwordx4 v[2:5], v[8:9], off
	v_mov_b32_e32 v10, s12
	v_add_co_u32_e32 v6, vcc, s3, v6
	v_addc_co_u32_e32 v7, vcc, v10, v7, vcc
	v_mov_b32_e32 v10, 0x100
	v_lshl_or_b32 v29, v52, 4, v10
	v_add_co_u32_e32 v6, vcc, v6, v29
	v_addc_co_u32_e32 v7, vcc, 0, v7, vcc
	v_add_co_u32_e32 v6, vcc, v6, v28
	v_addc_co_u32_e32 v7, vcc, 0, v7, vcc
	global_load_dwordx4 v[10:13], v[6:7], off
	global_load_dwordx4 v[14:17], v[8:9], off offset:2048
	s_waitcnt vmcnt(4)
	v_mad_i64_i32 v[20:21], s[10:11], v19, s45, 0
	global_load_dwordx4 v[6:9], v[6:7], off offset:2048
	v_lshlrev_b64 v[32:33], 1, v[20:21]
	v_mov_b32_e32 v36, s12
	v_add_co_u32_e32 v32, vcc, s3, v32
	v_mul_lo_u16_e32 v22, 43, v52
	v_mov_b32_e32 v23, 6
	v_addc_co_u32_e32 v33, vcc, v36, v33, vcc
	s_waitcnt vmcnt(4)
	v_mad_i64_i32 v[18:19], s[10:11], v18, s45, 0
	v_mul_lo_u16_sdwa v22, v22, v23 dst_sel:DWORD dst_unused:UNUSED_PAD src0_sel:BYTE_1 src1_sel:DWORD
	v_add_co_u32_e32 v32, vcc, v32, v34
	v_lshlrev_b64 v[26:27], 1, v[18:19]
	v_sub_u16_e32 v18, v52, v22
	v_addc_co_u32_e32 v33, vcc, v33, v35, vcc
	v_and_b32_e32 v18, 0xff, v18
	v_add_co_u32_e32 v32, vcc, v32, v28
	v_lshl_add_u32 v18, v18, 5, v28
	v_addc_co_u32_e32 v33, vcc, 0, v33, vcc
	ds_read_b128 v[22:25], v18
	ds_read_b128 v[18:21], v18 offset:2048
	global_load_dwordx4 v[40:43], v[32:33], off
	v_mov_b32_e32 v44, s12
	s_ashr_i32 s10, s16, 31
	v_and_or_b32 v31, v0, 48, s16
	s_lshr_b32 s10, s10, 27
	v_mov_b32_e32 v30, s19
	v_mov_b32_e32 v50, s18
	v_or_b32_e32 v51, 64, v31
	v_add_u32_e32 v55, s10, v51
	s_mov_b32 s43, 0xff7fffff
	s_waitcnt vmcnt(4) lgkmcnt(1)
	v_mfma_f32_16x16x16f16 v[36:39], v[2:3], v[22:23], 0
	v_add_co_u32_e32 v2, vcc, s3, v26
	v_addc_co_u32_e32 v3, vcc, v44, v27, vcc
	s_add_u32 s3, s14, s8
	s_addc_u32 s8, s15, s9
	s_waitcnt vmcnt(3)
	v_mfma_f32_16x16x16f16 v[44:47], v[10:11], v[22:23], 0
	v_add_co_u32_e32 v11, vcc, v2, v29
	v_add_u32_e32 v10, s10, v31
	v_addc_co_u32_e32 v26, vcc, 0, v3, vcc
	v_ashrrev_i32_e32 v27, 5, v10
	v_add_co_u32_e32 v10, vcc, v11, v28
	v_addc_co_u32_e32 v11, vcc, 0, v26, vcc
	v_cmp_gt_i32_e32 vcc, s33, v31
	v_cndmask_b32_e32 v48, v30, v27, vcc
	global_load_dwordx4 v[26:29], v[32:33], off offset:2048
	v_mfma_f32_16x16x16f16 v[2:5], v[4:5], v[24:25], v[36:39]
	v_ashrrev_i32_e32 v49, 31, v48
	s_nop 5
	global_load_dwordx4 v[36:39], v[10:11], off
	global_load_dwordx4 v[56:59], v[10:11], off offset:2048
	v_lshlrev_b64 v[10:11], 2, v[48:49]
	v_add_co_u32_e32 v10, vcc, s17, v10
	v_addc_co_u32_e32 v11, vcc, v50, v11, vcc
	s_waitcnt vmcnt(5) lgkmcnt(0)
	v_mfma_f32_16x16x16f16 v[2:5], v[14:15], v[18:19], v[2:5]
	global_load_dword v14, v[10:11], off
	v_cmp_gt_i32_e32 vcc, s33, v51
	v_mov_b32_e32 v15, s18
	v_mfma_f32_16x16x16f16 v[60:63], v[16:17], v[20:21], v[2:5]
	s_nop 6
	v_ashrrev_i32_e32 v2, 5, v55
	v_cndmask_b32_e32 v2, v30, v2, vcc
	v_ashrrev_i32_e32 v3, 31, v2
	v_lshlrev_b64 v[10:11], 2, v[2:3]
	v_mfma_f32_16x16x16f16 v[2:5], v[12:13], v[24:25], v[44:47]
	v_add_co_u32_e32 v10, vcc, s17, v10
	v_addc_co_u32_e32 v11, vcc, v15, v11, vcc
	global_load_dword v32, v[10:11], off
	v_or_b32_e32 v10, 0x80, v31
	v_add_u32_e32 v11, s10, v10
	v_ashrrev_i32_e32 v11, 5, v11
	v_cmp_gt_i32_e32 vcc, s33, v10
	s_waitcnt vmcnt(6)
	v_mfma_f32_16x16x16f16 v[2:5], v[6:7], v[18:19], v[2:5]
	v_cndmask_b32_e32 v10, v30, v11, vcc
	v_ashrrev_i32_e32 v11, 31, v10
	v_lshlrev_b64 v[6:7], 2, v[10:11]
	v_mov_b32_e32 v10, s18
	v_add_co_u32_e32 v6, vcc, s17, v6
	v_addc_co_u32_e32 v7, vcc, v10, v7, vcc
	global_load_dword v33, v[6:7], off
	v_mfma_f32_16x16x16f16 v[44:47], v[8:9], v[20:21], v[2:5]
	v_or_b32_e32 v6, 0xc0, v31
	v_add_u32_e32 v7, s10, v6
	v_ashrrev_i32_e32 v7, 5, v7
	v_cmp_gt_i32_e32 vcc, s33, v6
	v_cndmask_b32_e32 v6, v30, v7, vcc
	v_ashrrev_i32_e32 v7, 31, v6
	v_lshlrev_b64 v[6:7], 2, v[6:7]
	s_waitcnt vmcnt(6)
	v_mfma_f32_16x16x16f16 v[2:5], v[40:41], v[22:23], 0
	v_mov_b32_e32 v8, s18
	v_add_co_u32_e32 v6, vcc, s17, v6
	v_addc_co_u32_e32 v7, vcc, v8, v7, vcc
	global_load_dword v55, v[6:7], off
	v_and_b32_e32 v6, 16, v0
	v_mfma_f32_16x16x16f16 v[2:5], v[42:43], v[24:25], v[2:5]
	v_lshlrev_b32_e32 v6, 1, v6
	v_mov_b32_e32 v7, s8
	v_add_co_u32_e32 v6, vcc, s3, v6
	v_lshlrev_b32_e32 v8, 6, v52
	v_addc_co_u32_e32 v7, vcc, 0, v7, vcc
	s_waitcnt vmcnt(6)
	v_mfma_f32_16x16x16f16 v[2:5], v[26:27], v[18:19], v[2:5]
	v_lshl_or_b32 v8, v53, 10, v8
	v_add_co_u32_e32 v64, vcc, v6, v8
	v_addc_co_u32_e32 v65, vcc, 0, v7, vcc
	v_pk_mul_f32 v[48:49], s[2:3], v[62:63] op_sel_hi:[0,1]
	v_pk_mul_f32 v[40:41], s[2:3], v[44:45] op_sel_hi:[0,1]
	v_mfma_f32_16x16x16f16 v[26:29], v[28:29], v[20:21], v[2:5]
	v_pk_mul_f32 v[50:51], s[2:3], v[46:47] op_sel_hi:[0,1]
	s_waitcnt vmcnt(1)
	v_mad_i64_i32 v[30:31], s[8:9], v33, s45, 0
	s_nop 3
	v_mad_i64_i32 v[2:3], s[8:9], v14, s45, 0
	v_lshlrev_b64 v[6:7], 1, v[2:3]
	v_mfma_f32_16x16x16f16 v[2:5], v[36:37], v[22:23], 0
	s_nop 0
	v_pk_mul_f32 v[44:45], s[2:3], v[26:27] op_sel_hi:[0,1]
	v_add_co_u32_e32 v6, vcc, v64, v6
	v_addc_co_u32_e32 v7, vcc, v65, v7, vcc
	global_load_dwordx4 v[14:17], v[6:7], off
	global_load_dwordx4 v[10:13], v[6:7], off offset:16
	v_mad_i64_i32 v[6:7], s[8:9], v32, s45, 0
	v_mfma_f32_16x16x16f16 v[22:25], v[38:39], v[24:25], v[2:5]
	v_pk_mul_f32 v[46:47], s[2:3], v[28:29] op_sel_hi:[0,1]
	v_lshlrev_b64 v[6:7], 1, v[6:7]
	v_lshlrev_b64 v[30:31], 1, v[30:31]
	v_mfma_f32_16x16x16f16 v[22:25], v[56:57], v[18:19], v[22:25]
	v_pk_mul_f32 v[18:19], s[2:3], v[60:61] op_sel_hi:[0,1]
	s_nop 1
	v_add_co_u32_e32 v2, vcc, v64, v6
	v_addc_co_u32_e32 v3, vcc, v65, v7, vcc
	v_add_co_u32_e32 v38, vcc, v64, v30
	v_mfma_f32_16x16x16f16 v[20:23], v[58:59], v[20:21], v[22:25]
	v_addc_co_u32_e32 v39, vcc, v65, v31, vcc
	global_load_dwordx4 v[6:9], v[2:3], off
	s_nop 0
	global_load_dwordx4 v[2:5], v[2:3], off offset:16
	s_nop 6
	v_pk_mul_f32 v[42:43], s[2:3], v[20:21] op_sel_hi:[0,1]
	v_and_b32_e32 v20, 0xc0, v0
	v_add_u32_e32 v20, s16, v20
	v_lshl_or_b32 v20, v1, 2, v20
	v_pk_mul_f32 v[36:37], s[2:3], v[22:23] op_sel_hi:[0,1]
	v_or_b32_e32 v23, 1, v20
	v_mov_b32_e32 v21, 0xff7fffff
	v_cmp_gt_i32_e64 s[30:31], s33, v20
	v_cmp_gt_i32_e64 s[34:35], s33, v23
	v_cndmask_b32_e64 v22, v21, v18, s[30:31]
	v_cndmask_b32_e64 v23, v21, v19, s[34:35]
	v_max3_f32 v22, v22, s43, v23
	v_or_b32_e32 v23, 2, v20
	v_or_b32_e32 v24, 3, v20
	v_cmp_gt_i32_e64 s[36:37], s33, v23
	v_cmp_gt_i32_e64 s[38:39], s33, v24
	v_cndmask_b32_e64 v23, v21, v48, s[36:37]
	v_cndmask_b32_e64 v24, v21, v49, s[38:39]
	v_max3_f32 v22, v22, v23, v24
	v_or_b32_e32 v23, 16, v20
	v_or_b32_e32 v24, 17, v20
	;; [unrolled: 7-line block ×7, first 2 shown]
	v_cmp_gt_i32_e32 vcc, s33, v23
	v_cmp_gt_i32_e64 s[2:3], s33, v20
	v_cndmask_b32_e32 v23, v21, v36, vcc
	v_cndmask_b32_e64 v20, v21, v37, s[2:3]
	v_max3_f32 v26, v22, v23, v20
	v_mbcnt_lo_u32_b32 v20, -1, 0
	v_mbcnt_hi_u32_b32 v27, -1, v20
	v_and_b32_e32 v20, 64, v27
	v_add_u32_e32 v28, 64, v20
	v_xor_b32_e32 v20, 32, v27
	v_cmp_lt_i32_e64 s[40:41], v20, v28
	v_cndmask_b32_e64 v20, v27, v20, s[40:41]
	v_lshlrev_b32_e32 v56, 2, v20
	ds_bpermute_b32 v29, v56, v26
	s_waitcnt vmcnt(4)
	v_mad_i64_i32 v[20:21], s[40:41], v55, s45, 0
	v_lshlrev_b64 v[20:21], 1, v[20:21]
	global_load_dwordx4 v[30:33], v[38:39], off
	global_load_dwordx4 v[22:25], v[38:39], off offset:16
	s_waitcnt lgkmcnt(0)
	v_max_f32_e32 v29, v29, v29
	v_max_f32_e32 v26, v26, v29
	v_xor_b32_e32 v29, 16, v27
	v_cmp_lt_i32_e64 s[40:41], v29, v28
	v_cndmask_b32_e64 v27, v27, v29, s[40:41]
	v_lshlrev_b32_e32 v58, 2, v27
	ds_bpermute_b32 v27, v58, v26
	v_add_co_u32_e64 v20, s[40:41], v64, v20
	v_addc_co_u32_e64 v21, s[40:41], v65, v21, s[40:41]
	s_waitcnt lgkmcnt(0)
	v_max_f32_e32 v27, v27, v27
	v_max_f32_e32 v55, v26, v27
	v_sub_f32_e32 v18, v18, v55
	v_mul_f32_e32 v18, 0x3fb8aa3b, v18
	v_exp_f32_e32 v38, v18
	v_sub_f32_e32 v18, v19, v55
	v_mul_f32_e32 v18, 0x3fb8aa3b, v18
	v_exp_f32_e32 v39, v18
	global_load_dwordx4 v[26:29], v[20:21], off
	s_nop 0
	global_load_dwordx4 v[18:21], v[20:21], off offset:16
	v_sub_f32_e32 v48, v48, v55
	v_mul_f32_e32 v48, 0x3fb8aa3b, v48
	v_sub_f32_e32 v49, v49, v55
	v_exp_f32_e32 v48, v48
	v_mul_f32_e32 v49, 0x3fb8aa3b, v49
	v_sub_f32_e32 v40, v40, v55
	v_exp_f32_e32 v49, v49
	v_mul_f32_e32 v40, 0x3fb8aa3b, v40
	v_sub_f32_e32 v41, v41, v55
	v_cndmask_b32_e64 v38, 0, v38, s[30:31]
	v_exp_f32_e32 v40, v40
	v_mul_f32_e32 v41, 0x3fb8aa3b, v41
	v_sub_f32_e32 v50, v50, v55
	v_add_f32_e32 v57, 0, v38
	v_cndmask_b32_e64 v39, 0, v39, s[34:35]
	v_exp_f32_e32 v41, v41
	v_mul_f32_e32 v50, 0x3fb8aa3b, v50
	v_sub_f32_e32 v51, v51, v55
	v_add_f32_e32 v57, v57, v39
	;; [unrolled: 5-line block ×10, first 2 shown]
	v_cndmask_b32_e64 v46, 0, v46, s[12:13]
	v_exp_f32_e32 v36, v36
	v_mul_f32_e32 v37, 0x3fb8aa3b, v37
	v_add_f32_e32 v57, v57, v46
	v_cndmask_b32_e64 v47, 0, v47, s[14:15]
	v_exp_f32_e32 v37, v37
	v_add_f32_e32 v57, v57, v47
	v_cndmask_b32_e64 v42, 0, v42, s[8:9]
	v_add_f32_e32 v57, v57, v42
	v_cndmask_b32_e64 v43, 0, v43, s[10:11]
	v_add_f32_e32 v57, v57, v43
	v_cndmask_b32_e32 v36, 0, v36, vcc
	v_add_f32_e32 v57, v57, v36
	v_cndmask_b32_e64 v37, 0, v37, s[2:3]
	v_add_f32_e32 v57, v57, v37
	ds_bpermute_b32 v56, v56, v57
	v_cmp_gt_u32_e32 vcc, 16, v54
	s_waitcnt lgkmcnt(0)
	s_barrier
	v_add_f32_e32 v57, v57, v56
	ds_bpermute_b32 v58, v58, v57
	v_lshlrev_b32_e32 v56, 2, v52
	s_and_saveexec_b64 s[2:3], vcc
	s_cbranch_execz .LBB81_15
; %bb.14:
	s_waitcnt lgkmcnt(0)
	v_add_f32_e32 v54, v57, v58
	v_lshl_or_b32 v57, v53, 6, v56
	ds_write2st64_b32 v57, v55, v54 offset1:1
.LBB81_15:
	s_or_b64 exec, exec, s[2:3]
	s_load_dword s8, s[4:5], 0x94
	s_waitcnt lgkmcnt(0)
	s_barrier
	ds_read2_b32 v[58:59], v56 offset1:16
	ds_read2_b32 v[60:61], v56 offset0:32 offset1:48
	ds_read2_b32 v[62:63], v56 offset0:64 offset1:80
	;; [unrolled: 1-line block ×3, first 2 shown]
	s_waitcnt lgkmcnt(0)
	v_max3_f32 v54, v58, s43, v59
	v_max3_f32 v54, v54, v60, v61
	v_sub_f32_e32 v55, v58, v54
	v_mul_f32_e32 v55, 0x3fb8aa3b, v55
	v_exp_f32_e32 v58, v55
	v_sub_f32_e32 v55, v59, v54
	v_mul_f32_e32 v55, 0x3fb8aa3b, v55
	v_exp_f32_e32 v59, v55
	;; [unrolled: 3-line block ×4, first 2 shown]
	v_fma_f32 v55, v58, v62, 0
	v_fmac_f32_e32 v55, v59, v63
	v_fmac_f32_e32 v55, v60, v56
	v_fmac_f32_e32 v55, v61, v57
	v_add_f32_e32 v56, 0x358637bd, v55
	v_div_scale_f32 v57, s[2:3], v56, v56, 1.0
	v_rcp_f32_e32 v62, v57
	s_barrier
	s_mul_i32 s9, s42, 6
	v_fma_f32 v63, -v57, v62, 1.0
	v_fmac_f32_e32 v62, v63, v62
	v_div_scale_f32 v63, vcc, 1.0, v56, 1.0
	v_mul_f32_e32 v64, v63, v62
	v_fma_f32 v65, -v57, v64, v63
	v_fmac_f32_e32 v64, v65, v62
	v_fma_f32 v57, -v57, v64, v63
	v_div_fmas_f32 v57, v57, v62, v64
	v_cmp_eq_u32_e32 vcc, 1, v53
	v_div_fixup_f32 v56, v57, v56, 1.0
	v_cndmask_b32_e32 v57, v58, v59, vcc
	v_cmp_eq_u32_e32 vcc, 2, v53
	v_cndmask_b32_e32 v57, v57, v60, vcc
	v_cmp_eq_u32_e32 vcc, 3, v53
	v_cndmask_b32_e32 v57, v57, v61, vcc
	v_mul_f32_e32 v56, v57, v56
	v_pk_mul_f32 v[48:49], v[56:57], v[48:49] op_sel_hi:[0,1]
	v_pk_mul_f32 v[38:39], v[56:57], v[38:39] op_sel_hi:[0,1]
	v_cvt_f16_f32_e32 v57, v48
	v_cvt_f16_f32_e32 v38, v38
	;; [unrolled: 1-line block ×4, first 2 shown]
	v_pk_mul_f32 v[50:51], v[56:57], v[50:51] op_sel_hi:[0,1]
	v_pk_mul_f32 v[40:41], v[56:57], v[40:41] op_sel_hi:[0,1]
	v_cvt_f16_f32_e32 v40, v40
	v_cvt_f16_f32_e32 v41, v41
	;; [unrolled: 1-line block ×4, first 2 shown]
	v_pack_b32_f16 v48, v38, v39
	v_lshlrev_b32_e32 v38, 3, v1
	v_lshlrev_b32_e32 v39, 5, v52
	;; [unrolled: 1-line block ×3, first 2 shown]
	v_pack_b32_f16 v49, v57, v49
	v_or3_b32 v38, v53, v39, v38
	v_pack_b32_f16 v40, v40, v41
	v_pack_b32_f16 v41, v50, v51
	ds_write2st64_b64 v38, v[48:49], v[40:41] offset1:1
	v_pk_mul_f32 v[40:41], v[56:57], v[46:47] op_sel_hi:[0,1]
	v_pk_mul_f32 v[44:45], v[56:57], v[44:45] op_sel_hi:[0,1]
	v_cvt_f16_f32_e32 v46, v40
	v_cvt_f16_f32_e32 v47, v41
	v_pk_mul_f32 v[36:37], v[56:57], v[36:37] op_sel_hi:[0,1]
	v_pk_mul_f32 v[40:41], v[56:57], v[42:43] op_sel_hi:[0,1]
	v_cvt_f16_f32_e32 v44, v44
	v_cvt_f16_f32_e32 v45, v45
	;; [unrolled: 1-line block ×6, first 2 shown]
	v_pack_b32_f16 v36, v44, v45
	v_pack_b32_f16 v37, v46, v47
	;; [unrolled: 1-line block ×4, first 2 shown]
	v_cmp_gt_u32_e32 vcc, 6, v0
	ds_write2st64_b64 v38, v[36:37], v[40:41] offset0:2 offset1:3
	s_and_saveexec_b64 s[2:3], vcc
	s_cbranch_execz .LBB81_17
; %bb.16:
	v_add_co_u32_e32 v40, vcc, s29, v52
	v_addc_co_u32_e64 v41, s[10:11], 0, 0, vcc
	v_mov_b32_e32 v36, s9
	v_mov_b32_e32 v37, 0
	v_mad_u64_u32 v[40:41], s[10:11], s6, v36, v[40:41]
	v_mov_b32_e32 v36, s28
	s_load_dwordx4 s[12:15], s[4:5], 0x58
	s_mul_i32 s7, s7, s9
	v_mad_u64_u32 v[36:37], s[10:11], v40, s8, v[36:37]
	v_add_u32_e32 v41, s7, v41
	v_mov_b32_e32 v40, v37
	v_mad_u64_u32 v[40:41], s[10:11], v41, s8, v[40:41]
	v_mov_b32_e32 v37, v40
	v_lshlrev_b64 v[36:37], 2, v[36:37]
	s_waitcnt lgkmcnt(0)
	v_mov_b32_e32 v41, s15
	v_add_co_u32_e32 v40, vcc, s14, v36
	v_addc_co_u32_e32 v41, vcc, v41, v37, vcc
	global_store_dword v[40:41], v54, off
	v_mov_b32_e32 v40, s13
	v_add_co_u32_e32 v36, vcc, s12, v36
	v_addc_co_u32_e32 v37, vcc, v40, v37, vcc
	global_store_dword v[36:37], v55, off
.LBB81_17:
	s_or_b64 exec, exec, s[2:3]
	v_lshl_or_b32 v36, v1, 9, v39
	s_waitcnt lgkmcnt(0)
	s_barrier
	ds_read_b128 v[40:43], v36
	ds_read_b128 v[44:47], v36 offset:16
	s_waitcnt vmcnt(7) lgkmcnt(1)
	v_mfma_f32_16x16x16f16 v[48:51], v[14:15], v[40:41], 0
	v_cmp_gt_u32_e32 vcc, 64, v0
	s_mov_b32 s3, 0
	s_and_b64 s[0:1], vcc, s[0:1]
	v_mfma_f32_16x16x16f16 v[14:17], v[16:17], v[42:43], v[48:51]
	s_waitcnt vmcnt(6) lgkmcnt(0)
	v_mfma_f32_16x16x16f16 v[14:17], v[10:11], v[44:45], v[14:17]
	v_mfma_f32_16x16x16f16 v[10:13], v[12:13], v[46:47], v[14:17]
	s_nop 7
	s_nop 1
	ds_read_b128 v[14:17], v36 offset:2048
	ds_read_b128 v[40:43], v36 offset:2064
	s_waitcnt vmcnt(5) lgkmcnt(1)
	v_mfma_f32_16x16x16f16 v[10:13], v[6:7], v[14:15], v[10:13]
	v_mfma_f32_16x16x16f16 v[6:9], v[8:9], v[16:17], v[10:13]
	s_waitcnt vmcnt(4) lgkmcnt(0)
	v_mfma_f32_16x16x16f16 v[6:9], v[2:3], v[40:41], v[6:9]
	v_mfma_f32_16x16x16f16 v[2:5], v[4:5], v[42:43], v[6:9]
	s_nop 7
	s_nop 1
	ds_read_b128 v[6:9], v36 offset:4096
	ds_read_b128 v[10:13], v36 offset:4112
	s_waitcnt vmcnt(3) lgkmcnt(1)
	v_mfma_f32_16x16x16f16 v[2:5], v[30:31], v[6:7], v[2:5]
	v_mfma_f32_16x16x16f16 v[2:5], v[32:33], v[8:9], v[2:5]
	s_waitcnt vmcnt(2) lgkmcnt(0)
	v_mfma_f32_16x16x16f16 v[2:5], v[22:23], v[10:11], v[2:5]
	v_mfma_f32_16x16x16f16 v[2:5], v[24:25], v[12:13], v[2:5]
	ds_read_b128 v[6:9], v36 offset:6144
	ds_read_b128 v[10:13], v36 offset:6160
	s_waitcnt lgkmcnt(0)
	s_barrier
	s_waitcnt vmcnt(1)
	v_mfma_f32_16x16x16f16 v[2:5], v[26:27], v[6:7], v[2:5]
	v_mfma_f32_16x16x16f16 v[2:5], v[28:29], v[8:9], v[2:5]
	s_waitcnt vmcnt(0)
	v_mfma_f32_16x16x16f16 v[2:5], v[18:19], v[10:11], v[2:5]
	v_mfma_f32_16x16x16f16 v[2:5], v[20:21], v[12:13], v[2:5]
	s_nop 7
	s_nop 2
	v_cvt_f16_f32_e32 v2, v2
	v_cvt_f16_f32_e32 v3, v3
	;; [unrolled: 1-line block ×4, first 2 shown]
	v_pack_b32_f16 v2, v2, v3
	v_pack_b32_f16 v3, v4, v5
	ds_write_b64 v38, v[2:3]
	s_waitcnt lgkmcnt(0)
	s_barrier
	s_and_saveexec_b64 s[10:11], s[0:1]
	s_cbranch_execz .LBB81_20
; %bb.18:
	s_load_dwordx2 s[4:5], s[4:5], 0x68
	s_lshl_b32 s0, s8, 6
	s_mul_i32 s1, s9, s6
	s_mul_hi_u32 s7, s1, s0
	s_mul_i32 s6, s1, s0
	s_lshl_b64 s[6:7], s[6:7], 1
	s_waitcnt lgkmcnt(0)
	s_add_u32 s1, s4, s6
	s_addc_u32 s4, s5, s7
	s_lshl_b32 s2, s28, 6
	v_lshlrev_b32_e32 v2, 10, v0
	v_lshlrev_b32_e32 v0, 4, v0
	s_lshl_b64 s[2:3], s[2:3], 1
	v_and_b32_e32 v3, 0x1800, v2
	v_lshlrev_b32_e32 v4, 5, v1
	v_and_b32_e32 v0, 16, v0
	s_add_u32 s1, s1, s2
	v_or_b32_e32 v2, 4, v1
	v_or3_b32 v0, v3, v4, v0
	s_addc_u32 s2, s4, s3
	v_add_u32_e32 v1, s29, v1
	v_mov_b32_e32 v4, s2
	v_add_co_u32_e32 v3, vcc, s1, v34
	ds_read_b128 v[6:9], v0
	v_mad_u64_u32 v[10:11], s[2:3], v1, s0, 0
	v_addc_co_u32_e32 v4, vcc, v4, v35, vcc
	v_lshlrev_b64 v[10:11], 1, v[10:11]
	v_add_co_u32_e32 v10, vcc, v3, v10
	v_addc_co_u32_e32 v11, vcc, v4, v11, vcc
	v_cmp_gt_u32_e32 vcc, 6, v2
	s_waitcnt lgkmcnt(0)
	global_store_dwordx4 v[10:11], v[6:9], off
	s_and_b64 exec, exec, vcc
	s_cbranch_execz .LBB81_20
; %bb.19:
	ds_read_b128 v[6:9], v0 offset:128
	v_add_u32_e32 v0, s29, v2
	v_mad_u64_u32 v[0:1], s[0:1], v0, s0, 0
	v_lshlrev_b64 v[0:1], 1, v[0:1]
	v_add_co_u32_e32 v0, vcc, v3, v0
	v_addc_co_u32_e32 v1, vcc, v4, v1, vcc
	s_waitcnt lgkmcnt(0)
	global_store_dwordx4 v[0:1], v[6:9], off
.LBB81_20:
	s_endpgm
	.section	.rodata,"a",@progbits
	.p2align	6, 0x0
	.amdhsa_kernel _Z39paged_attention_ll4mi_QKV_mfma16_kernelIDF16_DF16_LN4vllm18Fp8KVCacheDataTypeE0EDF16_Li32ELi64ELi256ELb0ELi6EL8MFMAType0EEvPKT_PKT0_S8_ifPKiSA_SA_iPKfiiiPfSD_PS3_PT2_iSC_SC_
		.amdhsa_group_segment_fixed_size 8192
		.amdhsa_private_segment_fixed_size 0
		.amdhsa_kernarg_size 400
		.amdhsa_user_sgpr_count 6
		.amdhsa_user_sgpr_private_segment_buffer 1
		.amdhsa_user_sgpr_dispatch_ptr 0
		.amdhsa_user_sgpr_queue_ptr 0
		.amdhsa_user_sgpr_kernarg_segment_ptr 1
		.amdhsa_user_sgpr_dispatch_id 0
		.amdhsa_user_sgpr_flat_scratch_init 0
		.amdhsa_user_sgpr_kernarg_preload_length 0
		.amdhsa_user_sgpr_kernarg_preload_offset 0
		.amdhsa_user_sgpr_private_segment_size 0
		.amdhsa_uses_dynamic_stack 0
		.amdhsa_system_sgpr_private_segment_wavefront_offset 0
		.amdhsa_system_sgpr_workgroup_id_x 1
		.amdhsa_system_sgpr_workgroup_id_y 1
		.amdhsa_system_sgpr_workgroup_id_z 1
		.amdhsa_system_sgpr_workgroup_info 0
		.amdhsa_system_vgpr_workitem_id 0
		.amdhsa_next_free_vgpr 66
		.amdhsa_next_free_sgpr 48
		.amdhsa_accum_offset 68
		.amdhsa_reserve_vcc 1
		.amdhsa_reserve_flat_scratch 0
		.amdhsa_float_round_mode_32 0
		.amdhsa_float_round_mode_16_64 0
		.amdhsa_float_denorm_mode_32 3
		.amdhsa_float_denorm_mode_16_64 3
		.amdhsa_dx10_clamp 1
		.amdhsa_ieee_mode 1
		.amdhsa_fp16_overflow 0
		.amdhsa_tg_split 0
		.amdhsa_exception_fp_ieee_invalid_op 0
		.amdhsa_exception_fp_denorm_src 0
		.amdhsa_exception_fp_ieee_div_zero 0
		.amdhsa_exception_fp_ieee_overflow 0
		.amdhsa_exception_fp_ieee_underflow 0
		.amdhsa_exception_fp_ieee_inexact 0
		.amdhsa_exception_int_div_zero 0
	.end_amdhsa_kernel
	.section	.text._Z39paged_attention_ll4mi_QKV_mfma16_kernelIDF16_DF16_LN4vllm18Fp8KVCacheDataTypeE0EDF16_Li32ELi64ELi256ELb0ELi6EL8MFMAType0EEvPKT_PKT0_S8_ifPKiSA_SA_iPKfiiiPfSD_PS3_PT2_iSC_SC_,"axG",@progbits,_Z39paged_attention_ll4mi_QKV_mfma16_kernelIDF16_DF16_LN4vllm18Fp8KVCacheDataTypeE0EDF16_Li32ELi64ELi256ELb0ELi6EL8MFMAType0EEvPKT_PKT0_S8_ifPKiSA_SA_iPKfiiiPfSD_PS3_PT2_iSC_SC_,comdat
.Lfunc_end81:
	.size	_Z39paged_attention_ll4mi_QKV_mfma16_kernelIDF16_DF16_LN4vllm18Fp8KVCacheDataTypeE0EDF16_Li32ELi64ELi256ELb0ELi6EL8MFMAType0EEvPKT_PKT0_S8_ifPKiSA_SA_iPKfiiiPfSD_PS3_PT2_iSC_SC_, .Lfunc_end81-_Z39paged_attention_ll4mi_QKV_mfma16_kernelIDF16_DF16_LN4vllm18Fp8KVCacheDataTypeE0EDF16_Li32ELi64ELi256ELb0ELi6EL8MFMAType0EEvPKT_PKT0_S8_ifPKiSA_SA_iPKfiiiPfSD_PS3_PT2_iSC_SC_
                                        ; -- End function
	.section	.AMDGPU.csdata,"",@progbits
; Kernel info:
; codeLenInByte = 4072
; NumSgprs: 52
; NumVgprs: 66
; NumAgprs: 0
; TotalNumVgprs: 66
; ScratchSize: 0
; MemoryBound: 0
; FloatMode: 240
; IeeeMode: 1
; LDSByteSize: 8192 bytes/workgroup (compile time only)
; SGPRBlocks: 6
; VGPRBlocks: 8
; NumSGPRsForWavesPerEU: 52
; NumVGPRsForWavesPerEU: 66
; AccumOffset: 68
; Occupancy: 7
; WaveLimiterHint : 1
; COMPUTE_PGM_RSRC2:SCRATCH_EN: 0
; COMPUTE_PGM_RSRC2:USER_SGPR: 6
; COMPUTE_PGM_RSRC2:TRAP_HANDLER: 0
; COMPUTE_PGM_RSRC2:TGID_X_EN: 1
; COMPUTE_PGM_RSRC2:TGID_Y_EN: 1
; COMPUTE_PGM_RSRC2:TGID_Z_EN: 1
; COMPUTE_PGM_RSRC2:TIDIG_COMP_CNT: 0
; COMPUTE_PGM_RSRC3_GFX90A:ACCUM_OFFSET: 16
; COMPUTE_PGM_RSRC3_GFX90A:TG_SPLIT: 0
	.section	.text._Z39paged_attention_ll4mi_QKV_mfma16_kernelIDF16_DF16_LN4vllm18Fp8KVCacheDataTypeE0EDF16_Li32ELi64ELi256ELb0ELi7EL8MFMAType0EEvPKT_PKT0_S8_ifPKiSA_SA_iPKfiiiPfSD_PS3_PT2_iSC_SC_,"axG",@progbits,_Z39paged_attention_ll4mi_QKV_mfma16_kernelIDF16_DF16_LN4vllm18Fp8KVCacheDataTypeE0EDF16_Li32ELi64ELi256ELb0ELi7EL8MFMAType0EEvPKT_PKT0_S8_ifPKiSA_SA_iPKfiiiPfSD_PS3_PT2_iSC_SC_,comdat
	.protected	_Z39paged_attention_ll4mi_QKV_mfma16_kernelIDF16_DF16_LN4vllm18Fp8KVCacheDataTypeE0EDF16_Li32ELi64ELi256ELb0ELi7EL8MFMAType0EEvPKT_PKT0_S8_ifPKiSA_SA_iPKfiiiPfSD_PS3_PT2_iSC_SC_ ; -- Begin function _Z39paged_attention_ll4mi_QKV_mfma16_kernelIDF16_DF16_LN4vllm18Fp8KVCacheDataTypeE0EDF16_Li32ELi64ELi256ELb0ELi7EL8MFMAType0EEvPKT_PKT0_S8_ifPKiSA_SA_iPKfiiiPfSD_PS3_PT2_iSC_SC_
	.globl	_Z39paged_attention_ll4mi_QKV_mfma16_kernelIDF16_DF16_LN4vllm18Fp8KVCacheDataTypeE0EDF16_Li32ELi64ELi256ELb0ELi7EL8MFMAType0EEvPKT_PKT0_S8_ifPKiSA_SA_iPKfiiiPfSD_PS3_PT2_iSC_SC_
	.p2align	8
	.type	_Z39paged_attention_ll4mi_QKV_mfma16_kernelIDF16_DF16_LN4vllm18Fp8KVCacheDataTypeE0EDF16_Li32ELi64ELi256ELb0ELi7EL8MFMAType0EEvPKT_PKT0_S8_ifPKiSA_SA_iPKfiiiPfSD_PS3_PT2_iSC_SC_,@function
_Z39paged_attention_ll4mi_QKV_mfma16_kernelIDF16_DF16_LN4vllm18Fp8KVCacheDataTypeE0EDF16_Li32ELi64ELi256ELb0ELi7EL8MFMAType0EEvPKT_PKT0_S8_ifPKiSA_SA_iPKfiiiPfSD_PS3_PT2_iSC_SC_: ; @_Z39paged_attention_ll4mi_QKV_mfma16_kernelIDF16_DF16_LN4vllm18Fp8KVCacheDataTypeE0EDF16_Li32ELi64ELi256ELb0ELi7EL8MFMAType0EEvPKT_PKT0_S8_ifPKiSA_SA_iPKfiiiPfSD_PS3_PT2_iSC_SC_
; %bb.0:
	s_load_dwordx2 s[0:1], s[4:5], 0x30
	s_mov_b32 s28, s7
	s_mov_b64 s[10:11], 0
	s_waitcnt lgkmcnt(0)
	s_cmp_lg_u64 s[0:1], 0
	s_cselect_b64 s[2:3], -1, 0
	s_and_b64 vcc, exec, s[2:3]
	s_cbranch_vccz .LBB82_7
; %bb.1:
	s_add_i32 s12, s6, 1
	s_mov_b32 s13, 0
	s_lshl_b64 s[14:15], s[12:13], 2
	s_add_u32 s14, s0, s14
	s_mov_b32 s7, s13
	s_addc_u32 s15, s1, s15
	s_lshl_b64 s[12:13], s[6:7], 2
	s_add_u32 s12, s0, s12
	s_addc_u32 s13, s1, s13
	s_load_dword s9, s[14:15], 0x0
	s_load_dword s16, s[12:13], 0x0
	s_waitcnt lgkmcnt(0)
	s_sub_i32 s9, s9, s16
	s_cmp_eq_u32 s9, 1
	s_cselect_b64 s[12:13], -1, 0
	s_andn2_b64 vcc, exec, s[10:11]
	s_cbranch_vccnz .LBB82_3
.LBB82_2:
	s_mov_b32 s7, 0
	s_mov_b64 s[12:13], -1
.LBB82_3:
	s_andn2_b64 vcc, exec, s[12:13]
	s_cbranch_vccnz .LBB82_20
; %bb.4:
	s_load_dwordx2 s[12:13], s[4:5], 0x28
	s_lshl_b64 s[10:11], s[6:7], 2
	s_waitcnt lgkmcnt(0)
	s_add_u32 s12, s12, s10
	s_addc_u32 s13, s13, s11
	s_load_dword s33, s[12:13], 0x0
	s_lshl_b32 s16, s28, 8
	s_waitcnt lgkmcnt(0)
	s_cmp_ge_i32 s16, s33
	s_cbranch_scc1 .LBB82_20
; %bb.5:
	s_add_i32 s14, s33, 31
	s_load_dwordx2 s[12:13], s[4:5], 0x20
	s_load_dword s9, s[4:5], 0x38
	s_ashr_i32 s15, s14, 31
	v_and_b32_e32 v1, 0xcf, v0
	s_lshr_b32 s15, s15, 27
	v_add_u32_e32 v1, s16, v1
	s_add_i32 s14, s14, s15
	v_ashrrev_i32_e32 v2, 31, v1
	s_ashr_i32 s19, s14, 5
	v_lshrrev_b32_e32 v6, 27, v2
	s_add_i32 s19, s19, -1
	v_add_u32_e32 v2, v1, v6
	s_waitcnt lgkmcnt(0)
	s_mul_i32 s14, s6, s9
	s_mov_b32 s15, 0
	v_ashrrev_i32_e32 v2, 5, v2
	v_mov_b32_e32 v7, s19
	v_cmp_gt_i32_e32 vcc, s33, v1
	s_lshl_b64 s[14:15], s[14:15], 2
	v_cndmask_b32_e32 v2, v7, v2, vcc
	s_add_u32 s17, s12, s14
	v_ashrrev_i32_e32 v3, 31, v2
	s_addc_u32 s18, s13, s15
	v_lshlrev_b64 v[2:3], 2, v[2:3]
	v_mov_b32_e32 v4, s18
	v_add_co_u32_e32 v2, vcc, s17, v2
	v_addc_co_u32_e32 v3, vcc, v4, v3, vcc
	v_or_b32_e32 v4, 16, v1
	v_add_u32_e32 v5, v4, v6
	v_ashrrev_i32_e32 v5, 5, v5
	v_cmp_gt_i32_e32 vcc, s33, v4
	v_cndmask_b32_e32 v4, v7, v5, vcc
	v_ashrrev_i32_e32 v5, 31, v4
	v_lshlrev_b64 v[4:5], 2, v[4:5]
	v_mov_b32_e32 v9, s18
	v_add_co_u32_e32 v8, vcc, s17, v4
	v_or_b32_e32 v4, 32, v1
	v_addc_co_u32_e32 v9, vcc, v9, v5, vcc
	v_add_u32_e32 v5, v4, v6
	v_ashrrev_i32_e32 v5, 5, v5
	v_cmp_gt_i32_e32 vcc, s33, v4
	v_cndmask_b32_e32 v4, v7, v5, vcc
	v_ashrrev_i32_e32 v5, 31, v4
	v_lshlrev_b64 v[4:5], 2, v[4:5]
	v_mov_b32_e32 v11, s18
	v_add_co_u32_e32 v10, vcc, s17, v4
	v_or_b32_e32 v1, 48, v1
	v_addc_co_u32_e32 v11, vcc, v11, v5, vcc
	v_add_u32_e32 v4, v1, v6
	v_ashrrev_i32_e32 v4, 5, v4
	v_cmp_gt_i32_e32 vcc, s33, v1
	v_cndmask_b32_e32 v4, v7, v4, vcc
	v_ashrrev_i32_e32 v5, 31, v4
	v_lshlrev_b64 v[4:5], 2, v[4:5]
	v_mov_b32_e32 v1, s18
	v_add_co_u32_e32 v12, vcc, s17, v4
	v_addc_co_u32_e32 v13, vcc, v1, v5, vcc
	global_load_dword v4, v[2:3], off
	global_load_dword v6, v[8:9], off
	;; [unrolled: 1-line block ×4, first 2 shown]
	s_andn2_b64 vcc, exec, s[2:3]
	s_cbranch_vccnz .LBB82_8
; %bb.6:
	s_add_u32 s0, s0, s10
	s_addc_u32 s1, s1, s11
	s_load_dword s9, s[0:1], 0x0
	s_branch .LBB82_9
.LBB82_7:
	s_mov_b64 s[12:13], 0
	s_branch .LBB82_2
.LBB82_8:
	s_mov_b32 s9, s6
.LBB82_9:
	s_load_dwordx4 s[12:15], s[4:5], 0x8
	s_load_dwordx4 s[44:47], s[4:5], 0x48
	v_lshrrev_b32_e32 v53, 6, v0
	v_bfe_u32 v1, v0, 4, 2
	v_lshl_or_b32 v5, v53, 2, v1
	v_and_b32_e32 v52, 15, v0
	v_cmp_lt_u32_e32 vcc, 6, v5
	v_cmp_lt_u32_e64 s[2:3], 7, v52
	v_lshlrev_b32_e32 v2, 3, v52
	v_cmp_gt_u32_e64 s[0:1], 8, v52
	s_or_b64 s[2:3], s[2:3], vcc
	s_and_saveexec_b64 s[10:11], s[2:3]
	s_xor_b64 s[2:3], exec, s[10:11]
; %bb.10:
	v_mov_b32_e32 v3, 0
                                        ; implicit-def: $vgpr5
; %bb.11:
	s_or_saveexec_b64 s[2:3], s[2:3]
	v_and_b32_e32 v54, 63, v0
	s_mul_i32 s29, s8, 7
	s_xor_b64 exec, exec, s[2:3]
	s_cbranch_execz .LBB82_13
; %bb.12:
	s_load_dwordx2 s[10:11], s[4:5], 0x0
	s_waitcnt lgkmcnt(0)
	s_ashr_i32 s20, s44, 31
	s_mul_hi_u32 s21, s9, s44
	s_mul_i32 s20, s9, s20
	s_add_i32 s21, s21, s20
	s_mul_i32 s20, s9, s44
	s_lshl_b64 s[20:21], s[20:21], 1
	v_add_lshl_u32 v8, v5, s29, 6
	s_add_u32 s9, s10, s20
	v_ashrrev_i32_e32 v9, 31, v8
	s_addc_u32 s10, s11, s21
	v_lshlrev_b64 v[8:9], 1, v[8:9]
	v_mov_b32_e32 v3, s10
	v_add_co_u32_e32 v7, vcc, s9, v8
	v_addc_co_u32_e32 v3, vcc, v3, v9, vcc
	v_lshlrev_b32_e32 v8, 1, v2
	v_add_co_u32_e32 v8, vcc, v7, v8
	v_addc_co_u32_e32 v9, vcc, 0, v3, vcc
	global_load_dwordx4 v[8:11], v[8:9], off
	v_and_b32_e32 v7, 3, v0
	v_lshlrev_b32_e32 v12, 9, v52
	v_lshlrev_b32_e32 v5, 5, v5
	;; [unrolled: 1-line block ×3, first 2 shown]
	v_and_b32_e32 v12, 0x1800, v12
	v_mov_b32_e32 v3, 0
	v_or3_b32 v5, v12, v7, v5
	s_waitcnt vmcnt(0)
	ds_write_b128 v5, v[8:11]
.LBB82_13:
	s_or_b64 exec, exec, s[2:3]
	s_waitcnt lgkmcnt(0)
	s_mul_i32 s8, s8, s46
	s_mov_b32 s9, 0
	s_lshl_b64 s[8:9], s[8:9], 1
	s_add_u32 s3, s12, s8
	s_waitcnt vmcnt(3)
	v_mad_i64_i32 v[4:5], s[10:11], v4, s45, 0
	s_addc_u32 s12, s13, s9
	v_lshlrev_b64 v[4:5], 1, v[4:5]
	v_mov_b32_e32 v7, s12
	v_add_co_u32_e32 v4, vcc, s3, v4
	v_addc_co_u32_e32 v5, vcc, v7, v5, vcc
	v_lshlrev_b64 v[34:35], 1, v[2:3]
	v_add_co_u32_e32 v2, vcc, v4, v34
	v_lshlrev_b32_e32 v28, 9, v1
	v_addc_co_u32_e32 v3, vcc, v5, v35, vcc
	v_add_co_u32_e32 v8, vcc, v2, v28
	s_waitcnt vmcnt(2)
	v_mad_i64_i32 v[6:7], s[10:11], v6, s45, 0
	v_addc_co_u32_e32 v9, vcc, 0, v3, vcc
	v_lshlrev_b64 v[6:7], 1, v[6:7]
	s_load_dword s42, s[4:5], 0x98
	s_load_dword s2, s[4:5], 0x1c
	s_waitcnt lgkmcnt(0)
	s_barrier
	global_load_dwordx4 v[2:5], v[8:9], off
	v_mov_b32_e32 v10, s12
	v_add_co_u32_e32 v6, vcc, s3, v6
	v_addc_co_u32_e32 v7, vcc, v10, v7, vcc
	v_mov_b32_e32 v10, 0x100
	v_lshl_or_b32 v29, v52, 4, v10
	v_add_co_u32_e32 v6, vcc, v6, v29
	v_addc_co_u32_e32 v7, vcc, 0, v7, vcc
	v_add_co_u32_e32 v6, vcc, v6, v28
	v_addc_co_u32_e32 v7, vcc, 0, v7, vcc
	global_load_dwordx4 v[10:13], v[6:7], off
	global_load_dwordx4 v[14:17], v[8:9], off offset:2048
	s_waitcnt vmcnt(4)
	v_mad_i64_i32 v[20:21], s[10:11], v19, s45, 0
	global_load_dwordx4 v[6:9], v[6:7], off offset:2048
	v_lshlrev_b64 v[32:33], 1, v[20:21]
	v_mov_b32_e32 v36, s12
	v_add_co_u32_e32 v32, vcc, s3, v32
	v_mul_lo_u16_e32 v22, 37, v52
	v_mov_b32_e32 v23, 7
	v_addc_co_u32_e32 v33, vcc, v36, v33, vcc
	s_waitcnt vmcnt(4)
	v_mad_i64_i32 v[18:19], s[10:11], v18, s45, 0
	v_mul_lo_u16_sdwa v22, v22, v23 dst_sel:DWORD dst_unused:UNUSED_PAD src0_sel:BYTE_1 src1_sel:DWORD
	v_add_co_u32_e32 v32, vcc, v32, v34
	v_lshlrev_b64 v[26:27], 1, v[18:19]
	v_sub_u16_e32 v18, v52, v22
	v_addc_co_u32_e32 v33, vcc, v33, v35, vcc
	v_and_b32_e32 v18, 0xff, v18
	v_add_co_u32_e32 v32, vcc, v32, v28
	v_lshl_add_u32 v18, v18, 5, v28
	v_addc_co_u32_e32 v33, vcc, 0, v33, vcc
	ds_read_b128 v[22:25], v18
	ds_read_b128 v[18:21], v18 offset:2048
	global_load_dwordx4 v[40:43], v[32:33], off
	v_mov_b32_e32 v44, s12
	s_ashr_i32 s10, s16, 31
	v_and_or_b32 v31, v0, 48, s16
	s_lshr_b32 s10, s10, 27
	v_mov_b32_e32 v30, s19
	v_mov_b32_e32 v50, s18
	v_or_b32_e32 v51, 64, v31
	v_add_u32_e32 v55, s10, v51
	s_mov_b32 s43, 0xff7fffff
	s_waitcnt vmcnt(4) lgkmcnt(1)
	v_mfma_f32_16x16x16f16 v[36:39], v[2:3], v[22:23], 0
	v_add_co_u32_e32 v2, vcc, s3, v26
	v_addc_co_u32_e32 v3, vcc, v44, v27, vcc
	s_add_u32 s3, s14, s8
	s_addc_u32 s8, s15, s9
	s_waitcnt vmcnt(3)
	v_mfma_f32_16x16x16f16 v[44:47], v[10:11], v[22:23], 0
	v_add_co_u32_e32 v11, vcc, v2, v29
	v_add_u32_e32 v10, s10, v31
	v_addc_co_u32_e32 v26, vcc, 0, v3, vcc
	v_ashrrev_i32_e32 v27, 5, v10
	v_add_co_u32_e32 v10, vcc, v11, v28
	v_addc_co_u32_e32 v11, vcc, 0, v26, vcc
	v_cmp_gt_i32_e32 vcc, s33, v31
	v_cndmask_b32_e32 v48, v30, v27, vcc
	global_load_dwordx4 v[26:29], v[32:33], off offset:2048
	v_mfma_f32_16x16x16f16 v[2:5], v[4:5], v[24:25], v[36:39]
	v_ashrrev_i32_e32 v49, 31, v48
	s_nop 5
	global_load_dwordx4 v[36:39], v[10:11], off
	global_load_dwordx4 v[56:59], v[10:11], off offset:2048
	v_lshlrev_b64 v[10:11], 2, v[48:49]
	v_add_co_u32_e32 v10, vcc, s17, v10
	v_addc_co_u32_e32 v11, vcc, v50, v11, vcc
	s_waitcnt vmcnt(5) lgkmcnt(0)
	v_mfma_f32_16x16x16f16 v[2:5], v[14:15], v[18:19], v[2:5]
	global_load_dword v14, v[10:11], off
	v_cmp_gt_i32_e32 vcc, s33, v51
	v_mov_b32_e32 v15, s18
	v_mfma_f32_16x16x16f16 v[60:63], v[16:17], v[20:21], v[2:5]
	s_nop 6
	v_ashrrev_i32_e32 v2, 5, v55
	v_cndmask_b32_e32 v2, v30, v2, vcc
	v_ashrrev_i32_e32 v3, 31, v2
	v_lshlrev_b64 v[10:11], 2, v[2:3]
	v_mfma_f32_16x16x16f16 v[2:5], v[12:13], v[24:25], v[44:47]
	v_add_co_u32_e32 v10, vcc, s17, v10
	v_addc_co_u32_e32 v11, vcc, v15, v11, vcc
	global_load_dword v32, v[10:11], off
	v_or_b32_e32 v10, 0x80, v31
	v_add_u32_e32 v11, s10, v10
	v_ashrrev_i32_e32 v11, 5, v11
	v_cmp_gt_i32_e32 vcc, s33, v10
	s_waitcnt vmcnt(6)
	v_mfma_f32_16x16x16f16 v[2:5], v[6:7], v[18:19], v[2:5]
	v_cndmask_b32_e32 v10, v30, v11, vcc
	v_ashrrev_i32_e32 v11, 31, v10
	v_lshlrev_b64 v[6:7], 2, v[10:11]
	v_mov_b32_e32 v10, s18
	v_add_co_u32_e32 v6, vcc, s17, v6
	v_addc_co_u32_e32 v7, vcc, v10, v7, vcc
	global_load_dword v33, v[6:7], off
	v_mfma_f32_16x16x16f16 v[44:47], v[8:9], v[20:21], v[2:5]
	v_or_b32_e32 v6, 0xc0, v31
	v_add_u32_e32 v7, s10, v6
	v_ashrrev_i32_e32 v7, 5, v7
	v_cmp_gt_i32_e32 vcc, s33, v6
	v_cndmask_b32_e32 v6, v30, v7, vcc
	v_ashrrev_i32_e32 v7, 31, v6
	v_lshlrev_b64 v[6:7], 2, v[6:7]
	s_waitcnt vmcnt(6)
	v_mfma_f32_16x16x16f16 v[2:5], v[40:41], v[22:23], 0
	v_mov_b32_e32 v8, s18
	v_add_co_u32_e32 v6, vcc, s17, v6
	v_addc_co_u32_e32 v7, vcc, v8, v7, vcc
	global_load_dword v55, v[6:7], off
	v_and_b32_e32 v6, 16, v0
	v_mfma_f32_16x16x16f16 v[2:5], v[42:43], v[24:25], v[2:5]
	v_lshlrev_b32_e32 v6, 1, v6
	v_mov_b32_e32 v7, s8
	v_add_co_u32_e32 v6, vcc, s3, v6
	v_lshlrev_b32_e32 v8, 6, v52
	v_addc_co_u32_e32 v7, vcc, 0, v7, vcc
	s_waitcnt vmcnt(6)
	v_mfma_f32_16x16x16f16 v[2:5], v[26:27], v[18:19], v[2:5]
	v_lshl_or_b32 v8, v53, 10, v8
	v_add_co_u32_e32 v64, vcc, v6, v8
	v_addc_co_u32_e32 v65, vcc, 0, v7, vcc
	v_pk_mul_f32 v[48:49], s[2:3], v[62:63] op_sel_hi:[0,1]
	v_pk_mul_f32 v[40:41], s[2:3], v[44:45] op_sel_hi:[0,1]
	v_mfma_f32_16x16x16f16 v[26:29], v[28:29], v[20:21], v[2:5]
	v_pk_mul_f32 v[50:51], s[2:3], v[46:47] op_sel_hi:[0,1]
	s_waitcnt vmcnt(1)
	v_mad_i64_i32 v[30:31], s[8:9], v33, s45, 0
	s_nop 3
	v_mad_i64_i32 v[2:3], s[8:9], v14, s45, 0
	v_lshlrev_b64 v[6:7], 1, v[2:3]
	v_mfma_f32_16x16x16f16 v[2:5], v[36:37], v[22:23], 0
	s_nop 0
	v_pk_mul_f32 v[44:45], s[2:3], v[26:27] op_sel_hi:[0,1]
	v_add_co_u32_e32 v6, vcc, v64, v6
	v_addc_co_u32_e32 v7, vcc, v65, v7, vcc
	global_load_dwordx4 v[14:17], v[6:7], off
	global_load_dwordx4 v[10:13], v[6:7], off offset:16
	v_mad_i64_i32 v[6:7], s[8:9], v32, s45, 0
	v_mfma_f32_16x16x16f16 v[22:25], v[38:39], v[24:25], v[2:5]
	v_pk_mul_f32 v[46:47], s[2:3], v[28:29] op_sel_hi:[0,1]
	v_lshlrev_b64 v[6:7], 1, v[6:7]
	v_lshlrev_b64 v[30:31], 1, v[30:31]
	v_mfma_f32_16x16x16f16 v[22:25], v[56:57], v[18:19], v[22:25]
	v_pk_mul_f32 v[18:19], s[2:3], v[60:61] op_sel_hi:[0,1]
	s_nop 1
	v_add_co_u32_e32 v2, vcc, v64, v6
	v_addc_co_u32_e32 v3, vcc, v65, v7, vcc
	v_add_co_u32_e32 v38, vcc, v64, v30
	v_mfma_f32_16x16x16f16 v[20:23], v[58:59], v[20:21], v[22:25]
	v_addc_co_u32_e32 v39, vcc, v65, v31, vcc
	global_load_dwordx4 v[6:9], v[2:3], off
	s_nop 0
	global_load_dwordx4 v[2:5], v[2:3], off offset:16
	s_nop 6
	v_pk_mul_f32 v[42:43], s[2:3], v[20:21] op_sel_hi:[0,1]
	v_and_b32_e32 v20, 0xc0, v0
	v_add_u32_e32 v20, s16, v20
	v_lshl_or_b32 v20, v1, 2, v20
	v_pk_mul_f32 v[36:37], s[2:3], v[22:23] op_sel_hi:[0,1]
	v_or_b32_e32 v23, 1, v20
	v_mov_b32_e32 v21, 0xff7fffff
	v_cmp_gt_i32_e64 s[30:31], s33, v20
	v_cmp_gt_i32_e64 s[34:35], s33, v23
	v_cndmask_b32_e64 v22, v21, v18, s[30:31]
	v_cndmask_b32_e64 v23, v21, v19, s[34:35]
	v_max3_f32 v22, v22, s43, v23
	v_or_b32_e32 v23, 2, v20
	v_or_b32_e32 v24, 3, v20
	v_cmp_gt_i32_e64 s[36:37], s33, v23
	v_cmp_gt_i32_e64 s[38:39], s33, v24
	v_cndmask_b32_e64 v23, v21, v48, s[36:37]
	v_cndmask_b32_e64 v24, v21, v49, s[38:39]
	v_max3_f32 v22, v22, v23, v24
	v_or_b32_e32 v23, 16, v20
	v_or_b32_e32 v24, 17, v20
	;; [unrolled: 7-line block ×7, first 2 shown]
	v_cmp_gt_i32_e32 vcc, s33, v23
	v_cmp_gt_i32_e64 s[2:3], s33, v20
	v_cndmask_b32_e32 v23, v21, v36, vcc
	v_cndmask_b32_e64 v20, v21, v37, s[2:3]
	v_max3_f32 v26, v22, v23, v20
	v_mbcnt_lo_u32_b32 v20, -1, 0
	v_mbcnt_hi_u32_b32 v27, -1, v20
	v_and_b32_e32 v20, 64, v27
	v_add_u32_e32 v28, 64, v20
	v_xor_b32_e32 v20, 32, v27
	v_cmp_lt_i32_e64 s[40:41], v20, v28
	v_cndmask_b32_e64 v20, v27, v20, s[40:41]
	v_lshlrev_b32_e32 v56, 2, v20
	ds_bpermute_b32 v29, v56, v26
	s_waitcnt vmcnt(4)
	v_mad_i64_i32 v[20:21], s[40:41], v55, s45, 0
	v_lshlrev_b64 v[20:21], 1, v[20:21]
	global_load_dwordx4 v[30:33], v[38:39], off
	global_load_dwordx4 v[22:25], v[38:39], off offset:16
	s_waitcnt lgkmcnt(0)
	v_max_f32_e32 v29, v29, v29
	v_max_f32_e32 v26, v26, v29
	v_xor_b32_e32 v29, 16, v27
	v_cmp_lt_i32_e64 s[40:41], v29, v28
	v_cndmask_b32_e64 v27, v27, v29, s[40:41]
	v_lshlrev_b32_e32 v58, 2, v27
	ds_bpermute_b32 v27, v58, v26
	v_add_co_u32_e64 v20, s[40:41], v64, v20
	v_addc_co_u32_e64 v21, s[40:41], v65, v21, s[40:41]
	s_waitcnt lgkmcnt(0)
	v_max_f32_e32 v27, v27, v27
	v_max_f32_e32 v55, v26, v27
	v_sub_f32_e32 v18, v18, v55
	v_mul_f32_e32 v18, 0x3fb8aa3b, v18
	v_exp_f32_e32 v38, v18
	v_sub_f32_e32 v18, v19, v55
	v_mul_f32_e32 v18, 0x3fb8aa3b, v18
	v_exp_f32_e32 v39, v18
	global_load_dwordx4 v[26:29], v[20:21], off
	s_nop 0
	global_load_dwordx4 v[18:21], v[20:21], off offset:16
	v_sub_f32_e32 v48, v48, v55
	v_mul_f32_e32 v48, 0x3fb8aa3b, v48
	v_sub_f32_e32 v49, v49, v55
	v_exp_f32_e32 v48, v48
	v_mul_f32_e32 v49, 0x3fb8aa3b, v49
	v_sub_f32_e32 v40, v40, v55
	v_exp_f32_e32 v49, v49
	v_mul_f32_e32 v40, 0x3fb8aa3b, v40
	v_sub_f32_e32 v41, v41, v55
	v_cndmask_b32_e64 v38, 0, v38, s[30:31]
	v_exp_f32_e32 v40, v40
	v_mul_f32_e32 v41, 0x3fb8aa3b, v41
	v_sub_f32_e32 v50, v50, v55
	v_add_f32_e32 v57, 0, v38
	v_cndmask_b32_e64 v39, 0, v39, s[34:35]
	v_exp_f32_e32 v41, v41
	v_mul_f32_e32 v50, 0x3fb8aa3b, v50
	v_sub_f32_e32 v51, v51, v55
	v_add_f32_e32 v57, v57, v39
	;; [unrolled: 5-line block ×10, first 2 shown]
	v_cndmask_b32_e64 v46, 0, v46, s[12:13]
	v_exp_f32_e32 v36, v36
	v_mul_f32_e32 v37, 0x3fb8aa3b, v37
	v_add_f32_e32 v57, v57, v46
	v_cndmask_b32_e64 v47, 0, v47, s[14:15]
	v_exp_f32_e32 v37, v37
	v_add_f32_e32 v57, v57, v47
	v_cndmask_b32_e64 v42, 0, v42, s[8:9]
	v_add_f32_e32 v57, v57, v42
	v_cndmask_b32_e64 v43, 0, v43, s[10:11]
	v_add_f32_e32 v57, v57, v43
	v_cndmask_b32_e32 v36, 0, v36, vcc
	v_add_f32_e32 v57, v57, v36
	v_cndmask_b32_e64 v37, 0, v37, s[2:3]
	v_add_f32_e32 v57, v57, v37
	ds_bpermute_b32 v56, v56, v57
	v_cmp_gt_u32_e32 vcc, 16, v54
	s_waitcnt lgkmcnt(0)
	s_barrier
	v_add_f32_e32 v57, v57, v56
	ds_bpermute_b32 v58, v58, v57
	v_lshlrev_b32_e32 v56, 2, v52
	s_and_saveexec_b64 s[2:3], vcc
	s_cbranch_execz .LBB82_15
; %bb.14:
	s_waitcnt lgkmcnt(0)
	v_add_f32_e32 v54, v57, v58
	v_lshl_or_b32 v57, v53, 6, v56
	ds_write2st64_b32 v57, v55, v54 offset1:1
.LBB82_15:
	s_or_b64 exec, exec, s[2:3]
	s_load_dword s8, s[4:5], 0x94
	s_waitcnt lgkmcnt(0)
	s_barrier
	ds_read2_b32 v[58:59], v56 offset1:16
	ds_read2_b32 v[60:61], v56 offset0:32 offset1:48
	ds_read2_b32 v[62:63], v56 offset0:64 offset1:80
	;; [unrolled: 1-line block ×3, first 2 shown]
	s_waitcnt lgkmcnt(0)
	v_max3_f32 v54, v58, s43, v59
	v_max3_f32 v54, v54, v60, v61
	v_sub_f32_e32 v55, v58, v54
	v_mul_f32_e32 v55, 0x3fb8aa3b, v55
	v_exp_f32_e32 v58, v55
	v_sub_f32_e32 v55, v59, v54
	v_mul_f32_e32 v55, 0x3fb8aa3b, v55
	v_exp_f32_e32 v59, v55
	;; [unrolled: 3-line block ×4, first 2 shown]
	v_fma_f32 v55, v58, v62, 0
	v_fmac_f32_e32 v55, v59, v63
	v_fmac_f32_e32 v55, v60, v56
	;; [unrolled: 1-line block ×3, first 2 shown]
	v_add_f32_e32 v56, 0x358637bd, v55
	v_div_scale_f32 v57, s[2:3], v56, v56, 1.0
	v_rcp_f32_e32 v62, v57
	s_barrier
	s_mul_i32 s9, s42, 7
	v_fma_f32 v63, -v57, v62, 1.0
	v_fmac_f32_e32 v62, v63, v62
	v_div_scale_f32 v63, vcc, 1.0, v56, 1.0
	v_mul_f32_e32 v64, v63, v62
	v_fma_f32 v65, -v57, v64, v63
	v_fmac_f32_e32 v64, v65, v62
	v_fma_f32 v57, -v57, v64, v63
	v_div_fmas_f32 v57, v57, v62, v64
	v_cmp_eq_u32_e32 vcc, 1, v53
	v_div_fixup_f32 v56, v57, v56, 1.0
	v_cndmask_b32_e32 v57, v58, v59, vcc
	v_cmp_eq_u32_e32 vcc, 2, v53
	v_cndmask_b32_e32 v57, v57, v60, vcc
	v_cmp_eq_u32_e32 vcc, 3, v53
	v_cndmask_b32_e32 v57, v57, v61, vcc
	v_mul_f32_e32 v56, v57, v56
	v_pk_mul_f32 v[48:49], v[56:57], v[48:49] op_sel_hi:[0,1]
	v_pk_mul_f32 v[38:39], v[56:57], v[38:39] op_sel_hi:[0,1]
	v_cvt_f16_f32_e32 v57, v48
	v_cvt_f16_f32_e32 v38, v38
	;; [unrolled: 1-line block ×4, first 2 shown]
	v_pk_mul_f32 v[50:51], v[56:57], v[50:51] op_sel_hi:[0,1]
	v_pk_mul_f32 v[40:41], v[56:57], v[40:41] op_sel_hi:[0,1]
	v_cvt_f16_f32_e32 v40, v40
	v_cvt_f16_f32_e32 v41, v41
	;; [unrolled: 1-line block ×4, first 2 shown]
	v_pack_b32_f16 v48, v38, v39
	v_lshlrev_b32_e32 v38, 3, v1
	v_lshlrev_b32_e32 v39, 5, v52
	;; [unrolled: 1-line block ×3, first 2 shown]
	v_pack_b32_f16 v49, v57, v49
	v_or3_b32 v38, v53, v39, v38
	v_pack_b32_f16 v40, v40, v41
	v_pack_b32_f16 v41, v50, v51
	ds_write2st64_b64 v38, v[48:49], v[40:41] offset1:1
	v_pk_mul_f32 v[40:41], v[56:57], v[46:47] op_sel_hi:[0,1]
	v_pk_mul_f32 v[44:45], v[56:57], v[44:45] op_sel_hi:[0,1]
	v_cvt_f16_f32_e32 v46, v40
	v_cvt_f16_f32_e32 v47, v41
	v_pk_mul_f32 v[36:37], v[56:57], v[36:37] op_sel_hi:[0,1]
	v_pk_mul_f32 v[40:41], v[56:57], v[42:43] op_sel_hi:[0,1]
	v_cvt_f16_f32_e32 v44, v44
	v_cvt_f16_f32_e32 v45, v45
	;; [unrolled: 1-line block ×6, first 2 shown]
	v_pack_b32_f16 v36, v44, v45
	v_pack_b32_f16 v37, v46, v47
	;; [unrolled: 1-line block ×4, first 2 shown]
	v_cmp_gt_u32_e32 vcc, 7, v0
	ds_write2st64_b64 v38, v[36:37], v[40:41] offset0:2 offset1:3
	s_and_saveexec_b64 s[2:3], vcc
	s_cbranch_execz .LBB82_17
; %bb.16:
	v_add_co_u32_e32 v40, vcc, s29, v52
	v_addc_co_u32_e64 v41, s[10:11], 0, 0, vcc
	v_mov_b32_e32 v36, s9
	v_mov_b32_e32 v37, 0
	v_mad_u64_u32 v[40:41], s[10:11], s6, v36, v[40:41]
	v_mov_b32_e32 v36, s28
	s_load_dwordx4 s[12:15], s[4:5], 0x58
	s_mul_i32 s7, s7, s9
	v_mad_u64_u32 v[36:37], s[10:11], v40, s8, v[36:37]
	v_add_u32_e32 v41, s7, v41
	v_mov_b32_e32 v40, v37
	v_mad_u64_u32 v[40:41], s[10:11], v41, s8, v[40:41]
	v_mov_b32_e32 v37, v40
	v_lshlrev_b64 v[36:37], 2, v[36:37]
	s_waitcnt lgkmcnt(0)
	v_mov_b32_e32 v41, s15
	v_add_co_u32_e32 v40, vcc, s14, v36
	v_addc_co_u32_e32 v41, vcc, v41, v37, vcc
	global_store_dword v[40:41], v54, off
	v_mov_b32_e32 v40, s13
	v_add_co_u32_e32 v36, vcc, s12, v36
	v_addc_co_u32_e32 v37, vcc, v40, v37, vcc
	global_store_dword v[36:37], v55, off
.LBB82_17:
	s_or_b64 exec, exec, s[2:3]
	v_lshl_or_b32 v36, v1, 9, v39
	s_waitcnt lgkmcnt(0)
	s_barrier
	ds_read_b128 v[40:43], v36
	ds_read_b128 v[44:47], v36 offset:16
	s_waitcnt vmcnt(7) lgkmcnt(1)
	v_mfma_f32_16x16x16f16 v[48:51], v[14:15], v[40:41], 0
	v_cmp_gt_u32_e32 vcc, 64, v0
	s_mov_b32 s3, 0
	s_and_b64 s[0:1], vcc, s[0:1]
	v_mfma_f32_16x16x16f16 v[14:17], v[16:17], v[42:43], v[48:51]
	s_waitcnt vmcnt(6) lgkmcnt(0)
	v_mfma_f32_16x16x16f16 v[14:17], v[10:11], v[44:45], v[14:17]
	v_mfma_f32_16x16x16f16 v[10:13], v[12:13], v[46:47], v[14:17]
	s_nop 7
	s_nop 1
	ds_read_b128 v[14:17], v36 offset:2048
	ds_read_b128 v[40:43], v36 offset:2064
	s_waitcnt vmcnt(5) lgkmcnt(1)
	v_mfma_f32_16x16x16f16 v[10:13], v[6:7], v[14:15], v[10:13]
	v_mfma_f32_16x16x16f16 v[6:9], v[8:9], v[16:17], v[10:13]
	s_waitcnt vmcnt(4) lgkmcnt(0)
	v_mfma_f32_16x16x16f16 v[6:9], v[2:3], v[40:41], v[6:9]
	v_mfma_f32_16x16x16f16 v[2:5], v[4:5], v[42:43], v[6:9]
	s_nop 7
	s_nop 1
	ds_read_b128 v[6:9], v36 offset:4096
	ds_read_b128 v[10:13], v36 offset:4112
	s_waitcnt vmcnt(3) lgkmcnt(1)
	v_mfma_f32_16x16x16f16 v[2:5], v[30:31], v[6:7], v[2:5]
	v_mfma_f32_16x16x16f16 v[2:5], v[32:33], v[8:9], v[2:5]
	s_waitcnt vmcnt(2) lgkmcnt(0)
	v_mfma_f32_16x16x16f16 v[2:5], v[22:23], v[10:11], v[2:5]
	v_mfma_f32_16x16x16f16 v[2:5], v[24:25], v[12:13], v[2:5]
	ds_read_b128 v[6:9], v36 offset:6144
	ds_read_b128 v[10:13], v36 offset:6160
	s_waitcnt lgkmcnt(0)
	s_barrier
	s_waitcnt vmcnt(1)
	v_mfma_f32_16x16x16f16 v[2:5], v[26:27], v[6:7], v[2:5]
	v_mfma_f32_16x16x16f16 v[2:5], v[28:29], v[8:9], v[2:5]
	s_waitcnt vmcnt(0)
	v_mfma_f32_16x16x16f16 v[2:5], v[18:19], v[10:11], v[2:5]
	v_mfma_f32_16x16x16f16 v[2:5], v[20:21], v[12:13], v[2:5]
	s_nop 7
	s_nop 2
	v_cvt_f16_f32_e32 v2, v2
	v_cvt_f16_f32_e32 v3, v3
	;; [unrolled: 1-line block ×4, first 2 shown]
	v_pack_b32_f16 v2, v2, v3
	v_pack_b32_f16 v3, v4, v5
	ds_write_b64 v38, v[2:3]
	s_waitcnt lgkmcnt(0)
	s_barrier
	s_and_saveexec_b64 s[10:11], s[0:1]
	s_cbranch_execz .LBB82_20
; %bb.18:
	s_load_dwordx2 s[4:5], s[4:5], 0x68
	s_lshl_b32 s0, s8, 6
	s_mul_i32 s1, s9, s6
	s_mul_hi_u32 s7, s1, s0
	s_mul_i32 s6, s1, s0
	s_lshl_b64 s[6:7], s[6:7], 1
	s_waitcnt lgkmcnt(0)
	s_add_u32 s1, s4, s6
	s_addc_u32 s4, s5, s7
	s_lshl_b32 s2, s28, 6
	v_lshlrev_b32_e32 v2, 10, v0
	v_lshlrev_b32_e32 v0, 4, v0
	s_lshl_b64 s[2:3], s[2:3], 1
	v_and_b32_e32 v2, 0x1800, v2
	v_lshlrev_b32_e32 v3, 5, v1
	v_and_b32_e32 v0, 16, v0
	s_add_u32 s1, s1, s2
	v_or3_b32 v0, v2, v3, v0
	s_addc_u32 s2, s4, s3
	v_add_u32_e32 v8, s29, v1
	v_mov_b32_e32 v3, s2
	v_add_co_u32_e32 v2, vcc, s1, v34
	ds_read_b128 v[4:7], v0
	v_mad_u64_u32 v[8:9], s[2:3], v8, s0, 0
	v_addc_co_u32_e32 v3, vcc, v3, v35, vcc
	v_lshlrev_b64 v[8:9], 1, v[8:9]
	v_add_co_u32_e32 v8, vcc, v2, v8
	v_addc_co_u32_e32 v9, vcc, v3, v9, vcc
	v_cmp_ne_u32_e32 vcc, 3, v1
	s_waitcnt lgkmcnt(0)
	global_store_dwordx4 v[8:9], v[4:7], off
	s_and_b64 exec, exec, vcc
	s_cbranch_execz .LBB82_20
; %bb.19:
	ds_read_b128 v[4:7], v0 offset:128
	v_add3_u32 v0, s29, v1, 4
	v_mad_u64_u32 v[0:1], s[0:1], v0, s0, 0
	v_lshlrev_b64 v[0:1], 1, v[0:1]
	v_add_co_u32_e32 v0, vcc, v2, v0
	v_addc_co_u32_e32 v1, vcc, v3, v1, vcc
	s_waitcnt lgkmcnt(0)
	global_store_dwordx4 v[0:1], v[4:7], off
.LBB82_20:
	s_endpgm
	.section	.rodata,"a",@progbits
	.p2align	6, 0x0
	.amdhsa_kernel _Z39paged_attention_ll4mi_QKV_mfma16_kernelIDF16_DF16_LN4vllm18Fp8KVCacheDataTypeE0EDF16_Li32ELi64ELi256ELb0ELi7EL8MFMAType0EEvPKT_PKT0_S8_ifPKiSA_SA_iPKfiiiPfSD_PS3_PT2_iSC_SC_
		.amdhsa_group_segment_fixed_size 8192
		.amdhsa_private_segment_fixed_size 0
		.amdhsa_kernarg_size 400
		.amdhsa_user_sgpr_count 6
		.amdhsa_user_sgpr_private_segment_buffer 1
		.amdhsa_user_sgpr_dispatch_ptr 0
		.amdhsa_user_sgpr_queue_ptr 0
		.amdhsa_user_sgpr_kernarg_segment_ptr 1
		.amdhsa_user_sgpr_dispatch_id 0
		.amdhsa_user_sgpr_flat_scratch_init 0
		.amdhsa_user_sgpr_kernarg_preload_length 0
		.amdhsa_user_sgpr_kernarg_preload_offset 0
		.amdhsa_user_sgpr_private_segment_size 0
		.amdhsa_uses_dynamic_stack 0
		.amdhsa_system_sgpr_private_segment_wavefront_offset 0
		.amdhsa_system_sgpr_workgroup_id_x 1
		.amdhsa_system_sgpr_workgroup_id_y 1
		.amdhsa_system_sgpr_workgroup_id_z 1
		.amdhsa_system_sgpr_workgroup_info 0
		.amdhsa_system_vgpr_workitem_id 0
		.amdhsa_next_free_vgpr 66
		.amdhsa_next_free_sgpr 48
		.amdhsa_accum_offset 68
		.amdhsa_reserve_vcc 1
		.amdhsa_reserve_flat_scratch 0
		.amdhsa_float_round_mode_32 0
		.amdhsa_float_round_mode_16_64 0
		.amdhsa_float_denorm_mode_32 3
		.amdhsa_float_denorm_mode_16_64 3
		.amdhsa_dx10_clamp 1
		.amdhsa_ieee_mode 1
		.amdhsa_fp16_overflow 0
		.amdhsa_tg_split 0
		.amdhsa_exception_fp_ieee_invalid_op 0
		.amdhsa_exception_fp_denorm_src 0
		.amdhsa_exception_fp_ieee_div_zero 0
		.amdhsa_exception_fp_ieee_overflow 0
		.amdhsa_exception_fp_ieee_underflow 0
		.amdhsa_exception_fp_ieee_inexact 0
		.amdhsa_exception_int_div_zero 0
	.end_amdhsa_kernel
	.section	.text._Z39paged_attention_ll4mi_QKV_mfma16_kernelIDF16_DF16_LN4vllm18Fp8KVCacheDataTypeE0EDF16_Li32ELi64ELi256ELb0ELi7EL8MFMAType0EEvPKT_PKT0_S8_ifPKiSA_SA_iPKfiiiPfSD_PS3_PT2_iSC_SC_,"axG",@progbits,_Z39paged_attention_ll4mi_QKV_mfma16_kernelIDF16_DF16_LN4vllm18Fp8KVCacheDataTypeE0EDF16_Li32ELi64ELi256ELb0ELi7EL8MFMAType0EEvPKT_PKT0_S8_ifPKiSA_SA_iPKfiiiPfSD_PS3_PT2_iSC_SC_,comdat
.Lfunc_end82:
	.size	_Z39paged_attention_ll4mi_QKV_mfma16_kernelIDF16_DF16_LN4vllm18Fp8KVCacheDataTypeE0EDF16_Li32ELi64ELi256ELb0ELi7EL8MFMAType0EEvPKT_PKT0_S8_ifPKiSA_SA_iPKfiiiPfSD_PS3_PT2_iSC_SC_, .Lfunc_end82-_Z39paged_attention_ll4mi_QKV_mfma16_kernelIDF16_DF16_LN4vllm18Fp8KVCacheDataTypeE0EDF16_Li32ELi64ELi256ELb0ELi7EL8MFMAType0EEvPKT_PKT0_S8_ifPKiSA_SA_iPKfiiiPfSD_PS3_PT2_iSC_SC_
                                        ; -- End function
	.section	.AMDGPU.csdata,"",@progbits
; Kernel info:
; codeLenInByte = 4072
; NumSgprs: 52
; NumVgprs: 66
; NumAgprs: 0
; TotalNumVgprs: 66
; ScratchSize: 0
; MemoryBound: 0
; FloatMode: 240
; IeeeMode: 1
; LDSByteSize: 8192 bytes/workgroup (compile time only)
; SGPRBlocks: 6
; VGPRBlocks: 8
; NumSGPRsForWavesPerEU: 52
; NumVGPRsForWavesPerEU: 66
; AccumOffset: 68
; Occupancy: 7
; WaveLimiterHint : 1
; COMPUTE_PGM_RSRC2:SCRATCH_EN: 0
; COMPUTE_PGM_RSRC2:USER_SGPR: 6
; COMPUTE_PGM_RSRC2:TRAP_HANDLER: 0
; COMPUTE_PGM_RSRC2:TGID_X_EN: 1
; COMPUTE_PGM_RSRC2:TGID_Y_EN: 1
; COMPUTE_PGM_RSRC2:TGID_Z_EN: 1
; COMPUTE_PGM_RSRC2:TIDIG_COMP_CNT: 0
; COMPUTE_PGM_RSRC3_GFX90A:ACCUM_OFFSET: 16
; COMPUTE_PGM_RSRC3_GFX90A:TG_SPLIT: 0
	.section	.text._Z39paged_attention_ll4mi_QKV_mfma16_kernelIDF16_DF16_LN4vllm18Fp8KVCacheDataTypeE0EDF16_Li32ELi64ELi256ELb0ELi8EL8MFMAType0EEvPKT_PKT0_S8_ifPKiSA_SA_iPKfiiiPfSD_PS3_PT2_iSC_SC_,"axG",@progbits,_Z39paged_attention_ll4mi_QKV_mfma16_kernelIDF16_DF16_LN4vllm18Fp8KVCacheDataTypeE0EDF16_Li32ELi64ELi256ELb0ELi8EL8MFMAType0EEvPKT_PKT0_S8_ifPKiSA_SA_iPKfiiiPfSD_PS3_PT2_iSC_SC_,comdat
	.protected	_Z39paged_attention_ll4mi_QKV_mfma16_kernelIDF16_DF16_LN4vllm18Fp8KVCacheDataTypeE0EDF16_Li32ELi64ELi256ELb0ELi8EL8MFMAType0EEvPKT_PKT0_S8_ifPKiSA_SA_iPKfiiiPfSD_PS3_PT2_iSC_SC_ ; -- Begin function _Z39paged_attention_ll4mi_QKV_mfma16_kernelIDF16_DF16_LN4vllm18Fp8KVCacheDataTypeE0EDF16_Li32ELi64ELi256ELb0ELi8EL8MFMAType0EEvPKT_PKT0_S8_ifPKiSA_SA_iPKfiiiPfSD_PS3_PT2_iSC_SC_
	.globl	_Z39paged_attention_ll4mi_QKV_mfma16_kernelIDF16_DF16_LN4vllm18Fp8KVCacheDataTypeE0EDF16_Li32ELi64ELi256ELb0ELi8EL8MFMAType0EEvPKT_PKT0_S8_ifPKiSA_SA_iPKfiiiPfSD_PS3_PT2_iSC_SC_
	.p2align	8
	.type	_Z39paged_attention_ll4mi_QKV_mfma16_kernelIDF16_DF16_LN4vllm18Fp8KVCacheDataTypeE0EDF16_Li32ELi64ELi256ELb0ELi8EL8MFMAType0EEvPKT_PKT0_S8_ifPKiSA_SA_iPKfiiiPfSD_PS3_PT2_iSC_SC_,@function
_Z39paged_attention_ll4mi_QKV_mfma16_kernelIDF16_DF16_LN4vllm18Fp8KVCacheDataTypeE0EDF16_Li32ELi64ELi256ELb0ELi8EL8MFMAType0EEvPKT_PKT0_S8_ifPKiSA_SA_iPKfiiiPfSD_PS3_PT2_iSC_SC_: ; @_Z39paged_attention_ll4mi_QKV_mfma16_kernelIDF16_DF16_LN4vllm18Fp8KVCacheDataTypeE0EDF16_Li32ELi64ELi256ELb0ELi8EL8MFMAType0EEvPKT_PKT0_S8_ifPKiSA_SA_iPKfiiiPfSD_PS3_PT2_iSC_SC_
; %bb.0:
	s_load_dwordx2 s[0:1], s[4:5], 0x30
	s_mov_b32 s28, s7
	s_mov_b64 s[10:11], 0
	s_waitcnt lgkmcnt(0)
	s_cmp_lg_u64 s[0:1], 0
	s_cselect_b64 s[2:3], -1, 0
	s_and_b64 vcc, exec, s[2:3]
	s_cbranch_vccz .LBB83_7
; %bb.1:
	s_add_i32 s12, s6, 1
	s_mov_b32 s13, 0
	s_lshl_b64 s[14:15], s[12:13], 2
	s_add_u32 s14, s0, s14
	s_mov_b32 s7, s13
	s_addc_u32 s15, s1, s15
	s_lshl_b64 s[12:13], s[6:7], 2
	s_add_u32 s12, s0, s12
	s_addc_u32 s13, s1, s13
	s_load_dword s9, s[14:15], 0x0
	s_load_dword s16, s[12:13], 0x0
	s_waitcnt lgkmcnt(0)
	s_sub_i32 s9, s9, s16
	s_cmp_eq_u32 s9, 1
	s_cselect_b64 s[12:13], -1, 0
	s_andn2_b64 vcc, exec, s[10:11]
	s_cbranch_vccnz .LBB83_3
.LBB83_2:
	s_mov_b32 s7, 0
	s_mov_b64 s[12:13], -1
.LBB83_3:
	s_andn2_b64 vcc, exec, s[12:13]
	s_cbranch_vccnz .LBB83_19
; %bb.4:
	s_load_dwordx2 s[12:13], s[4:5], 0x28
	s_lshl_b64 s[10:11], s[6:7], 2
	s_waitcnt lgkmcnt(0)
	s_add_u32 s12, s12, s10
	s_addc_u32 s13, s13, s11
	s_load_dword s33, s[12:13], 0x0
	s_lshl_b32 s16, s28, 8
	s_waitcnt lgkmcnt(0)
	s_cmp_ge_i32 s16, s33
	s_cbranch_scc1 .LBB83_19
; %bb.5:
	s_add_i32 s14, s33, 31
	s_load_dwordx2 s[12:13], s[4:5], 0x20
	s_load_dword s9, s[4:5], 0x38
	s_ashr_i32 s15, s14, 31
	v_and_b32_e32 v1, 0xcf, v0
	s_lshr_b32 s15, s15, 27
	v_add_u32_e32 v1, s16, v1
	s_add_i32 s14, s14, s15
	v_ashrrev_i32_e32 v2, 31, v1
	s_ashr_i32 s19, s14, 5
	v_lshrrev_b32_e32 v6, 27, v2
	s_add_i32 s19, s19, -1
	v_add_u32_e32 v2, v1, v6
	s_waitcnt lgkmcnt(0)
	s_mul_i32 s14, s6, s9
	s_mov_b32 s15, 0
	v_ashrrev_i32_e32 v2, 5, v2
	v_mov_b32_e32 v7, s19
	v_cmp_gt_i32_e32 vcc, s33, v1
	s_lshl_b64 s[14:15], s[14:15], 2
	v_cndmask_b32_e32 v2, v7, v2, vcc
	s_add_u32 s17, s12, s14
	v_ashrrev_i32_e32 v3, 31, v2
	s_addc_u32 s18, s13, s15
	v_lshlrev_b64 v[2:3], 2, v[2:3]
	v_mov_b32_e32 v4, s18
	v_add_co_u32_e32 v2, vcc, s17, v2
	v_addc_co_u32_e32 v3, vcc, v4, v3, vcc
	v_or_b32_e32 v4, 16, v1
	v_add_u32_e32 v5, v4, v6
	v_ashrrev_i32_e32 v5, 5, v5
	v_cmp_gt_i32_e32 vcc, s33, v4
	v_cndmask_b32_e32 v4, v7, v5, vcc
	v_ashrrev_i32_e32 v5, 31, v4
	v_lshlrev_b64 v[4:5], 2, v[4:5]
	v_mov_b32_e32 v9, s18
	v_add_co_u32_e32 v8, vcc, s17, v4
	v_or_b32_e32 v4, 32, v1
	v_addc_co_u32_e32 v9, vcc, v9, v5, vcc
	v_add_u32_e32 v5, v4, v6
	v_ashrrev_i32_e32 v5, 5, v5
	v_cmp_gt_i32_e32 vcc, s33, v4
	v_cndmask_b32_e32 v4, v7, v5, vcc
	v_ashrrev_i32_e32 v5, 31, v4
	v_lshlrev_b64 v[4:5], 2, v[4:5]
	v_mov_b32_e32 v11, s18
	v_add_co_u32_e32 v10, vcc, s17, v4
	v_or_b32_e32 v1, 48, v1
	v_addc_co_u32_e32 v11, vcc, v11, v5, vcc
	v_add_u32_e32 v4, v1, v6
	v_ashrrev_i32_e32 v4, 5, v4
	v_cmp_gt_i32_e32 vcc, s33, v1
	v_cndmask_b32_e32 v4, v7, v4, vcc
	v_ashrrev_i32_e32 v5, 31, v4
	v_lshlrev_b64 v[4:5], 2, v[4:5]
	v_mov_b32_e32 v1, s18
	v_add_co_u32_e32 v12, vcc, s17, v4
	v_addc_co_u32_e32 v13, vcc, v1, v5, vcc
	global_load_dword v4, v[2:3], off
	global_load_dword v6, v[8:9], off
	;; [unrolled: 1-line block ×4, first 2 shown]
	s_andn2_b64 vcc, exec, s[2:3]
	s_cbranch_vccnz .LBB83_8
; %bb.6:
	s_add_u32 s0, s0, s10
	s_addc_u32 s1, s1, s11
	s_load_dword s9, s[0:1], 0x0
	s_branch .LBB83_9
.LBB83_7:
	s_mov_b64 s[12:13], 0
	s_branch .LBB83_2
.LBB83_8:
	s_mov_b32 s9, s6
.LBB83_9:
	s_load_dwordx4 s[12:15], s[4:5], 0x8
	s_load_dwordx4 s[44:47], s[4:5], 0x48
	v_and_b32_e32 v52, 15, v0
	s_movk_i32 s0, 0x7f
	v_cmp_lt_u32_e32 vcc, s0, v0
	v_cmp_lt_u32_e64 s[2:3], 7, v52
	v_lshlrev_b32_e32 v2, 3, v52
	v_cmp_gt_u32_e64 s[0:1], 8, v52
	s_or_b64 s[2:3], vcc, s[2:3]
	s_and_saveexec_b64 s[10:11], s[2:3]
	s_xor_b64 s[2:3], exec, s[10:11]
; %bb.10:
	v_mov_b32_e32 v3, 0
; %bb.11:
	s_or_saveexec_b64 s[2:3], s[2:3]
	v_lshrrev_b32_e32 v53, 6, v0
	v_and_b32_e32 v54, 63, v0
	s_lshl_b32 s29, s8, 3
	v_bfe_u32 v1, v0, 4, 2
	s_xor_b64 exec, exec, s[2:3]
	s_cbranch_execz .LBB83_13
; %bb.12:
	s_load_dwordx2 s[10:11], s[4:5], 0x0
	s_waitcnt lgkmcnt(0)
	s_ashr_i32 s20, s44, 31
	s_mul_hi_u32 s21, s9, s44
	s_mul_i32 s20, s9, s20
	v_lshl_or_b32 v5, v53, 2, v1
	s_add_i32 s21, s21, s20
	s_mul_i32 s20, s9, s44
	s_lshl_b64 s[20:21], s[20:21], 1
	v_add_lshl_u32 v8, v5, s29, 6
	s_add_u32 s9, s10, s20
	v_ashrrev_i32_e32 v9, 31, v8
	s_addc_u32 s10, s11, s21
	v_lshlrev_b64 v[8:9], 1, v[8:9]
	v_mov_b32_e32 v3, s10
	v_add_co_u32_e32 v7, vcc, s9, v8
	v_addc_co_u32_e32 v3, vcc, v3, v9, vcc
	v_lshlrev_b32_e32 v8, 1, v2
	v_add_co_u32_e32 v8, vcc, v7, v8
	v_addc_co_u32_e32 v9, vcc, 0, v3, vcc
	global_load_dwordx4 v[8:11], v[8:9], off
	v_and_b32_e32 v7, 3, v0
	v_lshlrev_b32_e32 v12, 9, v52
	v_lshlrev_b32_e32 v5, 5, v5
	;; [unrolled: 1-line block ×3, first 2 shown]
	v_and_b32_e32 v12, 0x1800, v12
	v_mov_b32_e32 v3, 0
	v_or3_b32 v5, v12, v7, v5
	s_waitcnt vmcnt(0)
	ds_write_b128 v5, v[8:11]
.LBB83_13:
	s_or_b64 exec, exec, s[2:3]
	s_waitcnt lgkmcnt(0)
	s_mul_i32 s8, s8, s46
	s_mov_b32 s9, 0
	s_lshl_b64 s[8:9], s[8:9], 1
	s_add_u32 s3, s12, s8
	s_waitcnt vmcnt(3)
	v_mad_i64_i32 v[4:5], s[10:11], v4, s45, 0
	s_addc_u32 s12, s13, s9
	v_lshlrev_b64 v[4:5], 1, v[4:5]
	v_mov_b32_e32 v7, s12
	v_add_co_u32_e32 v4, vcc, s3, v4
	v_addc_co_u32_e32 v5, vcc, v7, v5, vcc
	v_lshlrev_b64 v[34:35], 1, v[2:3]
	v_add_co_u32_e32 v2, vcc, v4, v34
	v_lshlrev_b32_e32 v28, 9, v1
	v_addc_co_u32_e32 v3, vcc, v5, v35, vcc
	v_add_co_u32_e32 v20, vcc, v2, v28
	v_addc_co_u32_e32 v21, vcc, 0, v3, vcc
	s_load_dword s42, s[4:5], 0x98
	s_load_dword s2, s[4:5], 0x1c
	s_waitcnt lgkmcnt(0)
	s_barrier
	global_load_dwordx4 v[2:5], v[20:21], off
	s_waitcnt vmcnt(3)
	v_mad_i64_i32 v[6:7], s[10:11], v6, s45, 0
	v_lshlrev_b64 v[6:7], 1, v[6:7]
	v_mov_b32_e32 v8, s12
	v_add_co_u32_e32 v6, vcc, s3, v6
	v_addc_co_u32_e32 v7, vcc, v8, v7, vcc
	v_mov_b32_e32 v8, 0x100
	v_lshl_or_b32 v29, v52, 4, v8
	v_add_co_u32_e32 v6, vcc, v6, v29
	v_addc_co_u32_e32 v7, vcc, 0, v7, vcc
	v_add_co_u32_e32 v22, vcc, v6, v28
	v_addc_co_u32_e32 v23, vcc, 0, v7, vcc
	global_load_dwordx4 v[10:13], v[22:23], off
	global_load_dwordx4 v[14:17], v[20:21], off offset:2048
	global_load_dwordx4 v[6:9], v[22:23], off offset:2048
	v_and_b32_e32 v22, 7, v0
	s_waitcnt vmcnt(5)
	v_mad_i64_i32 v[20:21], s[10:11], v19, s45, 0
	s_waitcnt vmcnt(4)
	v_mad_i64_i32 v[18:19], s[10:11], v18, s45, 0
	v_lshl_or_b32 v32, v22, 5, v28
	v_lshlrev_b64 v[30:31], 1, v[20:21]
	v_lshlrev_b64 v[26:27], 1, v[18:19]
	ds_read_b128 v[22:25], v32
	ds_read_b128 v[18:21], v32 offset:2048
	v_mov_b32_e32 v32, s12
	v_add_co_u32_e32 v30, vcc, s3, v30
	v_addc_co_u32_e32 v31, vcc, v32, v31, vcc
	v_add_co_u32_e32 v36, vcc, v30, v34
	v_addc_co_u32_e32 v37, vcc, v31, v35, vcc
	;; [unrolled: 2-line block ×3, first 2 shown]
	global_load_dwordx4 v[36:39], v[44:45], off
	v_mov_b32_e32 v40, s12
	v_and_or_b32 v48, v0, 48, s16
	s_ashr_i32 s10, s16, 31
	v_or_b32_e32 v46, 64, v48
	s_lshr_b32 s10, s10, 27
	v_mov_b32_e32 v49, s19
	v_mov_b32_e32 v50, s18
	s_mov_b32 s43, 0xff7fffff
	s_waitcnt vmcnt(4) lgkmcnt(1)
	v_mfma_f32_16x16x16f16 v[30:33], v[2:3], v[22:23], 0
	v_add_co_u32_e32 v2, vcc, s3, v26
	v_addc_co_u32_e32 v3, vcc, v40, v27, vcc
	v_add_u32_e32 v26, s10, v48
	v_ashrrev_i32_e32 v47, 5, v26
	s_add_u32 s3, s14, s8
	s_waitcnt vmcnt(3)
	v_mfma_f32_16x16x16f16 v[40:43], v[10:11], v[22:23], 0
	v_add_co_u32_e32 v11, vcc, v2, v29
	v_addc_co_u32_e32 v27, vcc, 0, v3, vcc
	v_add_u32_e32 v10, s10, v46
	v_ashrrev_i32_e32 v51, 5, v10
	v_add_co_u32_e32 v10, vcc, v11, v28
	v_mfma_f32_16x16x16f16 v[2:5], v[4:5], v[24:25], v[30:33]
	v_addc_co_u32_e32 v11, vcc, 0, v27, vcc
	global_load_dwordx4 v[26:29], v[44:45], off offset:2048
	v_cmp_gt_i32_e32 vcc, s33, v48
	v_cndmask_b32_e32 v44, v49, v47, vcc
	v_ashrrev_i32_e32 v45, 31, v44
	v_cmp_gt_i32_e32 vcc, s33, v46
	s_waitcnt vmcnt(3) lgkmcnt(0)
	v_mfma_f32_16x16x16f16 v[2:5], v[14:15], v[18:19], v[2:5]
	global_load_dwordx4 v[30:33], v[10:11], off
	global_load_dwordx4 v[56:59], v[10:11], off offset:2048
	v_lshlrev_b64 v[10:11], 2, v[44:45]
	v_cndmask_b32_e32 v14, v49, v51, vcc
	v_ashrrev_i32_e32 v15, 31, v14
	s_addc_u32 s8, s15, s9
	v_mfma_f32_16x16x16f16 v[44:47], v[16:17], v[20:21], v[2:5]
	s_nop 6
	v_add_co_u32_e32 v2, vcc, s17, v10
	v_addc_co_u32_e32 v3, vcc, v50, v11, vcc
	global_load_dword v16, v[2:3], off
	v_lshlrev_b64 v[10:11], 2, v[14:15]
	v_mov_b32_e32 v14, s18
	v_add_co_u32_e32 v10, vcc, s17, v10
	v_addc_co_u32_e32 v11, vcc, v14, v11, vcc
	global_load_dword v50, v[10:11], off
	v_mfma_f32_16x16x16f16 v[2:5], v[12:13], v[24:25], v[40:43]
	v_or_b32_e32 v10, 0x80, v48
	v_add_u32_e32 v11, s10, v10
	v_ashrrev_i32_e32 v11, 5, v11
	v_cmp_gt_i32_e32 vcc, s33, v10
	v_cndmask_b32_e32 v10, v49, v11, vcc
	v_ashrrev_i32_e32 v11, 31, v10
	s_waitcnt vmcnt(6)
	v_mfma_f32_16x16x16f16 v[2:5], v[6:7], v[18:19], v[2:5]
	v_lshlrev_b64 v[6:7], 2, v[10:11]
	v_mov_b32_e32 v10, s18
	v_add_co_u32_e32 v6, vcc, s17, v6
	v_addc_co_u32_e32 v7, vcc, v10, v7, vcc
	global_load_dword v51, v[6:7], off
	v_mfma_f32_16x16x16f16 v[40:43], v[8:9], v[20:21], v[2:5]
	v_or_b32_e32 v6, 0xc0, v48
	v_add_u32_e32 v7, s10, v6
	v_ashrrev_i32_e32 v7, 5, v7
	v_cmp_gt_i32_e32 vcc, s33, v6
	v_cndmask_b32_e32 v6, v49, v7, vcc
	v_ashrrev_i32_e32 v7, 31, v6
	v_lshlrev_b64 v[6:7], 2, v[6:7]
	s_waitcnt vmcnt(6)
	v_mfma_f32_16x16x16f16 v[2:5], v[36:37], v[22:23], 0
	v_mov_b32_e32 v8, s18
	v_add_co_u32_e32 v6, vcc, s17, v6
	v_addc_co_u32_e32 v7, vcc, v8, v7, vcc
	global_load_dword v55, v[6:7], off
	v_and_b32_e32 v6, 16, v0
	v_mfma_f32_16x16x16f16 v[2:5], v[38:39], v[24:25], v[2:5]
	v_lshlrev_b32_e32 v6, 1, v6
	v_mov_b32_e32 v7, s8
	v_add_co_u32_e32 v6, vcc, s3, v6
	v_lshlrev_b32_e32 v8, 6, v52
	v_addc_co_u32_e32 v7, vcc, 0, v7, vcc
	s_waitcnt vmcnt(6)
	v_mfma_f32_16x16x16f16 v[2:5], v[26:27], v[18:19], v[2:5]
	v_lshl_or_b32 v8, v53, 10, v8
	v_add_co_u32_e32 v60, vcc, v6, v8
	v_addc_co_u32_e32 v61, vcc, 0, v7, vcc
	v_pk_mul_f32 v[48:49], s[2:3], v[46:47] op_sel_hi:[0,1]
	v_pk_mul_f32 v[40:41], s[2:3], v[40:41] op_sel_hi:[0,1]
	v_mfma_f32_16x16x16f16 v[26:29], v[28:29], v[20:21], v[2:5]
	s_waitcnt vmcnt(3)
	s_nop 5
	v_mad_i64_i32 v[2:3], s[8:9], v16, s45, 0
	v_lshlrev_b64 v[6:7], 1, v[2:3]
	v_mfma_f32_16x16x16f16 v[2:5], v[30:31], v[22:23], 0
	v_add_co_u32_e32 v6, vcc, v60, v6
	v_addc_co_u32_e32 v7, vcc, v61, v7, vcc
	global_load_dwordx4 v[14:17], v[6:7], off
	global_load_dwordx4 v[10:13], v[6:7], off offset:16
	s_waitcnt vmcnt(4)
	v_mad_i64_i32 v[6:7], s[8:9], v50, s45, 0
	v_mfma_f32_16x16x16f16 v[22:25], v[32:33], v[24:25], v[2:5]
	v_pk_mul_f32 v[46:47], s[2:3], v[28:29] op_sel_hi:[0,1]
	v_lshlrev_b64 v[6:7], 1, v[6:7]
	s_waitcnt vmcnt(3)
	v_mad_i64_i32 v[30:31], s[8:9], v51, s45, 0
	v_mfma_f32_16x16x16f16 v[22:25], v[56:57], v[18:19], v[22:25]
	v_pk_mul_f32 v[50:51], s[2:3], v[42:43] op_sel_hi:[0,1]
	v_pk_mul_f32 v[18:19], s[2:3], v[44:45] op_sel_hi:[0,1]
	;; [unrolled: 1-line block ×3, first 2 shown]
	v_add_co_u32_e32 v2, vcc, v60, v6
	v_addc_co_u32_e32 v3, vcc, v61, v7, vcc
	v_mfma_f32_16x16x16f16 v[20:23], v[58:59], v[20:21], v[22:25]
	v_lshlrev_b64 v[30:31], 1, v[30:31]
	v_add_co_u32_e32 v38, vcc, v60, v30
	v_addc_co_u32_e32 v39, vcc, v61, v31, vcc
	global_load_dwordx4 v[6:9], v[2:3], off
	s_nop 0
	global_load_dwordx4 v[2:5], v[2:3], off offset:16
	s_nop 4
	v_pk_mul_f32 v[42:43], s[2:3], v[20:21] op_sel_hi:[0,1]
	v_and_b32_e32 v20, 0xc0, v0
	v_add_u32_e32 v20, s16, v20
	v_lshl_or_b32 v20, v1, 2, v20
	v_pk_mul_f32 v[36:37], s[2:3], v[22:23] op_sel_hi:[0,1]
	v_or_b32_e32 v23, 1, v20
	v_mov_b32_e32 v21, 0xff7fffff
	v_cmp_gt_i32_e64 s[30:31], s33, v20
	v_cmp_gt_i32_e64 s[34:35], s33, v23
	v_cndmask_b32_e64 v22, v21, v18, s[30:31]
	v_cndmask_b32_e64 v23, v21, v19, s[34:35]
	v_max3_f32 v22, v22, s43, v23
	v_or_b32_e32 v23, 2, v20
	v_or_b32_e32 v24, 3, v20
	v_cmp_gt_i32_e64 s[36:37], s33, v23
	v_cmp_gt_i32_e64 s[38:39], s33, v24
	v_cndmask_b32_e64 v23, v21, v48, s[36:37]
	v_cndmask_b32_e64 v24, v21, v49, s[38:39]
	v_max3_f32 v22, v22, v23, v24
	v_or_b32_e32 v23, 16, v20
	v_or_b32_e32 v24, 17, v20
	;; [unrolled: 7-line block ×7, first 2 shown]
	v_cmp_gt_i32_e32 vcc, s33, v23
	v_cmp_gt_i32_e64 s[2:3], s33, v20
	v_cndmask_b32_e32 v23, v21, v36, vcc
	v_cndmask_b32_e64 v20, v21, v37, s[2:3]
	v_max3_f32 v26, v22, v23, v20
	v_mbcnt_lo_u32_b32 v20, -1, 0
	v_mbcnt_hi_u32_b32 v27, -1, v20
	v_and_b32_e32 v20, 64, v27
	v_add_u32_e32 v28, 64, v20
	v_xor_b32_e32 v20, 32, v27
	v_cmp_lt_i32_e64 s[40:41], v20, v28
	v_cndmask_b32_e64 v20, v27, v20, s[40:41]
	v_lshlrev_b32_e32 v56, 2, v20
	ds_bpermute_b32 v29, v56, v26
	s_waitcnt vmcnt(4)
	v_mad_i64_i32 v[20:21], s[40:41], v55, s45, 0
	v_lshlrev_b64 v[20:21], 1, v[20:21]
	global_load_dwordx4 v[30:33], v[38:39], off
	global_load_dwordx4 v[22:25], v[38:39], off offset:16
	s_waitcnt lgkmcnt(0)
	v_max_f32_e32 v29, v29, v29
	v_max_f32_e32 v26, v26, v29
	v_xor_b32_e32 v29, 16, v27
	v_cmp_lt_i32_e64 s[40:41], v29, v28
	v_cndmask_b32_e64 v27, v27, v29, s[40:41]
	v_lshlrev_b32_e32 v58, 2, v27
	ds_bpermute_b32 v27, v58, v26
	v_add_co_u32_e64 v20, s[40:41], v60, v20
	v_addc_co_u32_e64 v21, s[40:41], v61, v21, s[40:41]
	s_waitcnt lgkmcnt(0)
	v_max_f32_e32 v27, v27, v27
	v_max_f32_e32 v55, v26, v27
	v_sub_f32_e32 v18, v18, v55
	v_mul_f32_e32 v18, 0x3fb8aa3b, v18
	v_exp_f32_e32 v38, v18
	v_sub_f32_e32 v18, v19, v55
	v_mul_f32_e32 v18, 0x3fb8aa3b, v18
	v_exp_f32_e32 v39, v18
	global_load_dwordx4 v[26:29], v[20:21], off
	s_nop 0
	global_load_dwordx4 v[18:21], v[20:21], off offset:16
	v_sub_f32_e32 v48, v48, v55
	v_mul_f32_e32 v48, 0x3fb8aa3b, v48
	v_sub_f32_e32 v49, v49, v55
	v_exp_f32_e32 v48, v48
	v_mul_f32_e32 v49, 0x3fb8aa3b, v49
	v_sub_f32_e32 v40, v40, v55
	v_exp_f32_e32 v49, v49
	v_mul_f32_e32 v40, 0x3fb8aa3b, v40
	v_sub_f32_e32 v41, v41, v55
	v_cndmask_b32_e64 v38, 0, v38, s[30:31]
	v_exp_f32_e32 v40, v40
	v_mul_f32_e32 v41, 0x3fb8aa3b, v41
	v_sub_f32_e32 v50, v50, v55
	v_add_f32_e32 v57, 0, v38
	v_cndmask_b32_e64 v39, 0, v39, s[34:35]
	v_exp_f32_e32 v41, v41
	v_mul_f32_e32 v50, 0x3fb8aa3b, v50
	v_sub_f32_e32 v51, v51, v55
	v_add_f32_e32 v57, v57, v39
	;; [unrolled: 5-line block ×10, first 2 shown]
	v_cndmask_b32_e64 v46, 0, v46, s[12:13]
	v_exp_f32_e32 v36, v36
	v_mul_f32_e32 v37, 0x3fb8aa3b, v37
	v_add_f32_e32 v57, v57, v46
	v_cndmask_b32_e64 v47, 0, v47, s[14:15]
	v_exp_f32_e32 v37, v37
	v_add_f32_e32 v57, v57, v47
	v_cndmask_b32_e64 v42, 0, v42, s[8:9]
	v_add_f32_e32 v57, v57, v42
	v_cndmask_b32_e64 v43, 0, v43, s[10:11]
	v_add_f32_e32 v57, v57, v43
	v_cndmask_b32_e32 v36, 0, v36, vcc
	v_add_f32_e32 v57, v57, v36
	v_cndmask_b32_e64 v37, 0, v37, s[2:3]
	v_add_f32_e32 v57, v57, v37
	ds_bpermute_b32 v56, v56, v57
	v_cmp_gt_u32_e32 vcc, 16, v54
	s_waitcnt lgkmcnt(0)
	s_barrier
	v_add_f32_e32 v57, v57, v56
	ds_bpermute_b32 v58, v58, v57
	v_lshlrev_b32_e32 v56, 2, v52
	s_and_saveexec_b64 s[2:3], vcc
	s_cbranch_execz .LBB83_15
; %bb.14:
	s_waitcnt lgkmcnt(0)
	v_add_f32_e32 v54, v57, v58
	v_lshl_or_b32 v57, v53, 6, v56
	ds_write2st64_b32 v57, v55, v54 offset1:1
.LBB83_15:
	s_or_b64 exec, exec, s[2:3]
	s_load_dword s8, s[4:5], 0x94
	s_waitcnt lgkmcnt(0)
	s_barrier
	ds_read2_b32 v[58:59], v56 offset1:16
	ds_read2_b32 v[60:61], v56 offset0:32 offset1:48
	ds_read2_b32 v[62:63], v56 offset0:64 offset1:80
	;; [unrolled: 1-line block ×3, first 2 shown]
	s_waitcnt lgkmcnt(0)
	v_max3_f32 v54, v58, s43, v59
	v_max3_f32 v54, v54, v60, v61
	v_sub_f32_e32 v55, v58, v54
	v_mul_f32_e32 v55, 0x3fb8aa3b, v55
	v_exp_f32_e32 v58, v55
	v_sub_f32_e32 v55, v59, v54
	v_mul_f32_e32 v55, 0x3fb8aa3b, v55
	v_exp_f32_e32 v59, v55
	;; [unrolled: 3-line block ×4, first 2 shown]
	v_fma_f32 v55, v58, v62, 0
	v_fmac_f32_e32 v55, v59, v63
	v_fmac_f32_e32 v55, v60, v56
	;; [unrolled: 1-line block ×3, first 2 shown]
	v_add_f32_e32 v56, 0x358637bd, v55
	v_div_scale_f32 v57, s[2:3], v56, v56, 1.0
	v_rcp_f32_e32 v62, v57
	s_barrier
	s_lshl_b32 s9, s42, 3
	v_fma_f32 v63, -v57, v62, 1.0
	v_fmac_f32_e32 v62, v63, v62
	v_div_scale_f32 v63, vcc, 1.0, v56, 1.0
	v_mul_f32_e32 v64, v63, v62
	v_fma_f32 v65, -v57, v64, v63
	v_fmac_f32_e32 v64, v65, v62
	v_fma_f32 v57, -v57, v64, v63
	v_div_fmas_f32 v57, v57, v62, v64
	v_cmp_eq_u32_e32 vcc, 1, v53
	v_div_fixup_f32 v56, v57, v56, 1.0
	v_cndmask_b32_e32 v57, v58, v59, vcc
	v_cmp_eq_u32_e32 vcc, 2, v53
	v_cndmask_b32_e32 v57, v57, v60, vcc
	v_cmp_eq_u32_e32 vcc, 3, v53
	v_cndmask_b32_e32 v57, v57, v61, vcc
	v_mul_f32_e32 v56, v57, v56
	v_pk_mul_f32 v[48:49], v[56:57], v[48:49] op_sel_hi:[0,1]
	v_pk_mul_f32 v[38:39], v[56:57], v[38:39] op_sel_hi:[0,1]
	v_cvt_f16_f32_e32 v57, v48
	v_cvt_f16_f32_e32 v38, v38
	;; [unrolled: 1-line block ×4, first 2 shown]
	v_pk_mul_f32 v[50:51], v[56:57], v[50:51] op_sel_hi:[0,1]
	v_pk_mul_f32 v[40:41], v[56:57], v[40:41] op_sel_hi:[0,1]
	v_cvt_f16_f32_e32 v40, v40
	v_cvt_f16_f32_e32 v41, v41
	;; [unrolled: 1-line block ×4, first 2 shown]
	v_pack_b32_f16 v48, v38, v39
	v_lshlrev_b32_e32 v38, 3, v1
	v_lshlrev_b32_e32 v39, 5, v52
	;; [unrolled: 1-line block ×3, first 2 shown]
	v_pack_b32_f16 v49, v57, v49
	v_or3_b32 v38, v52, v39, v38
	v_pack_b32_f16 v40, v40, v41
	v_pack_b32_f16 v41, v50, v51
	ds_write2st64_b64 v38, v[48:49], v[40:41] offset1:1
	v_pk_mul_f32 v[40:41], v[56:57], v[46:47] op_sel_hi:[0,1]
	v_pk_mul_f32 v[44:45], v[56:57], v[44:45] op_sel_hi:[0,1]
	v_cvt_f16_f32_e32 v46, v40
	v_cvt_f16_f32_e32 v47, v41
	v_pk_mul_f32 v[36:37], v[56:57], v[36:37] op_sel_hi:[0,1]
	v_pk_mul_f32 v[40:41], v[56:57], v[42:43] op_sel_hi:[0,1]
	v_cvt_f16_f32_e32 v44, v44
	v_cvt_f16_f32_e32 v45, v45
	;; [unrolled: 1-line block ×6, first 2 shown]
	v_pack_b32_f16 v36, v44, v45
	v_pack_b32_f16 v37, v46, v47
	;; [unrolled: 1-line block ×4, first 2 shown]
	v_cmp_gt_u32_e32 vcc, 8, v0
	ds_write2st64_b64 v38, v[36:37], v[40:41] offset0:2 offset1:3
	s_and_saveexec_b64 s[2:3], vcc
	s_cbranch_execz .LBB83_17
; %bb.16:
	v_or_b32_e32 v36, s29, v0
	v_mov_b32_e32 v37, 0
	v_mov_b32_e32 v40, s9
	v_mad_u64_u32 v[40:41], s[10:11], s6, v40, v[36:37]
	v_mov_b32_e32 v36, s28
	s_load_dwordx4 s[12:15], s[4:5], 0x58
	s_mul_i32 s7, s7, s9
	v_mad_u64_u32 v[36:37], s[10:11], v40, s8, v[36:37]
	v_add_u32_e32 v41, s7, v41
	v_mov_b32_e32 v40, v37
	v_mad_u64_u32 v[40:41], s[10:11], v41, s8, v[40:41]
	v_mov_b32_e32 v37, v40
	v_lshlrev_b64 v[36:37], 2, v[36:37]
	s_waitcnt lgkmcnt(0)
	v_mov_b32_e32 v41, s15
	v_add_co_u32_e32 v40, vcc, s14, v36
	v_addc_co_u32_e32 v41, vcc, v41, v37, vcc
	global_store_dword v[40:41], v54, off
	v_mov_b32_e32 v40, s13
	v_add_co_u32_e32 v36, vcc, s12, v36
	v_addc_co_u32_e32 v37, vcc, v40, v37, vcc
	global_store_dword v[36:37], v55, off
.LBB83_17:
	s_or_b64 exec, exec, s[2:3]
	v_lshl_or_b32 v36, v1, 9, v39
	s_waitcnt lgkmcnt(0)
	s_barrier
	ds_read_b128 v[40:43], v36
	ds_read_b128 v[44:47], v36 offset:16
	s_waitcnt vmcnt(7) lgkmcnt(1)
	v_mfma_f32_16x16x16f16 v[48:51], v[14:15], v[40:41], 0
	v_cmp_gt_u32_e32 vcc, 64, v0
	s_mov_b32 s3, 0
	s_and_b64 s[0:1], vcc, s[0:1]
	v_mfma_f32_16x16x16f16 v[14:17], v[16:17], v[42:43], v[48:51]
	s_waitcnt vmcnt(6) lgkmcnt(0)
	v_mfma_f32_16x16x16f16 v[14:17], v[10:11], v[44:45], v[14:17]
	v_mfma_f32_16x16x16f16 v[10:13], v[12:13], v[46:47], v[14:17]
	s_nop 7
	s_nop 1
	ds_read_b128 v[14:17], v36 offset:2048
	ds_read_b128 v[40:43], v36 offset:2064
	s_waitcnt vmcnt(5) lgkmcnt(1)
	v_mfma_f32_16x16x16f16 v[10:13], v[6:7], v[14:15], v[10:13]
	v_mfma_f32_16x16x16f16 v[6:9], v[8:9], v[16:17], v[10:13]
	s_waitcnt vmcnt(4) lgkmcnt(0)
	v_mfma_f32_16x16x16f16 v[6:9], v[2:3], v[40:41], v[6:9]
	v_mfma_f32_16x16x16f16 v[2:5], v[4:5], v[42:43], v[6:9]
	s_nop 7
	s_nop 1
	ds_read_b128 v[6:9], v36 offset:4096
	ds_read_b128 v[10:13], v36 offset:4112
	s_waitcnt vmcnt(3) lgkmcnt(1)
	v_mfma_f32_16x16x16f16 v[2:5], v[30:31], v[6:7], v[2:5]
	v_mfma_f32_16x16x16f16 v[2:5], v[32:33], v[8:9], v[2:5]
	s_waitcnt vmcnt(2) lgkmcnt(0)
	v_mfma_f32_16x16x16f16 v[2:5], v[22:23], v[10:11], v[2:5]
	v_mfma_f32_16x16x16f16 v[2:5], v[24:25], v[12:13], v[2:5]
	ds_read_b128 v[6:9], v36 offset:6144
	ds_read_b128 v[10:13], v36 offset:6160
	s_waitcnt lgkmcnt(0)
	s_barrier
	s_waitcnt vmcnt(1)
	v_mfma_f32_16x16x16f16 v[2:5], v[26:27], v[6:7], v[2:5]
	v_mfma_f32_16x16x16f16 v[2:5], v[28:29], v[8:9], v[2:5]
	s_waitcnt vmcnt(0)
	v_mfma_f32_16x16x16f16 v[2:5], v[18:19], v[10:11], v[2:5]
	v_mfma_f32_16x16x16f16 v[2:5], v[20:21], v[12:13], v[2:5]
	s_nop 7
	s_nop 2
	v_cvt_f16_f32_e32 v2, v2
	v_cvt_f16_f32_e32 v3, v3
	;; [unrolled: 1-line block ×4, first 2 shown]
	v_pack_b32_f16 v2, v2, v3
	v_pack_b32_f16 v3, v4, v5
	ds_write_b64 v38, v[2:3]
	s_waitcnt lgkmcnt(0)
	s_barrier
	s_and_saveexec_b64 s[10:11], s[0:1]
	s_cbranch_execz .LBB83_19
; %bb.18:
	s_load_dwordx2 s[0:1], s[4:5], 0x68
	s_lshl_b32 s7, s8, 6
	s_mul_i32 s2, s9, s6
	s_mul_hi_u32 s5, s2, s7
	s_mul_i32 s4, s2, s7
	s_lshl_b64 s[4:5], s[4:5], 1
	s_waitcnt lgkmcnt(0)
	s_add_u32 s4, s0, s4
	s_addc_u32 s5, s1, s5
	s_lshl_b32 s2, s28, 6
	v_lshlrev_b32_e32 v2, 10, v0
	v_lshlrev_b32_e32 v0, 4, v0
	s_lshl_b64 s[0:1], s[2:3], 1
	v_and_b32_e32 v2, 0x1800, v2
	v_lshlrev_b32_e32 v3, 5, v1
	v_and_b32_e32 v0, 16, v0
	s_add_u32 s0, s4, s0
	v_or3_b32 v0, v2, v3, v0
	s_addc_u32 s1, s5, s1
	ds_read_b128 v[2:5], v0
	ds_read_b128 v[6:9], v0 offset:128
	v_mov_b32_e32 v0, s1
	v_add_co_u32_e32 v10, vcc, s0, v34
	v_or_b32_e32 v12, s29, v1
	v_addc_co_u32_e32 v11, vcc, v0, v35, vcc
	v_mad_u64_u32 v[0:1], s[0:1], v12, s7, 0
	v_lshlrev_b64 v[0:1], 1, v[0:1]
	v_add_co_u32_e32 v0, vcc, v10, v0
	v_addc_co_u32_e32 v1, vcc, v11, v1, vcc
	s_waitcnt lgkmcnt(1)
	global_store_dwordx4 v[0:1], v[2:5], off
	v_or_b32_e32 v0, 4, v12
	v_mad_u64_u32 v[0:1], s[0:1], v0, s7, 0
	v_lshlrev_b64 v[0:1], 1, v[0:1]
	v_add_co_u32_e32 v0, vcc, v10, v0
	v_addc_co_u32_e32 v1, vcc, v11, v1, vcc
	s_waitcnt lgkmcnt(0)
	global_store_dwordx4 v[0:1], v[6:9], off
.LBB83_19:
	s_endpgm
	.section	.rodata,"a",@progbits
	.p2align	6, 0x0
	.amdhsa_kernel _Z39paged_attention_ll4mi_QKV_mfma16_kernelIDF16_DF16_LN4vllm18Fp8KVCacheDataTypeE0EDF16_Li32ELi64ELi256ELb0ELi8EL8MFMAType0EEvPKT_PKT0_S8_ifPKiSA_SA_iPKfiiiPfSD_PS3_PT2_iSC_SC_
		.amdhsa_group_segment_fixed_size 8192
		.amdhsa_private_segment_fixed_size 0
		.amdhsa_kernarg_size 400
		.amdhsa_user_sgpr_count 6
		.amdhsa_user_sgpr_private_segment_buffer 1
		.amdhsa_user_sgpr_dispatch_ptr 0
		.amdhsa_user_sgpr_queue_ptr 0
		.amdhsa_user_sgpr_kernarg_segment_ptr 1
		.amdhsa_user_sgpr_dispatch_id 0
		.amdhsa_user_sgpr_flat_scratch_init 0
		.amdhsa_user_sgpr_kernarg_preload_length 0
		.amdhsa_user_sgpr_kernarg_preload_offset 0
		.amdhsa_user_sgpr_private_segment_size 0
		.amdhsa_uses_dynamic_stack 0
		.amdhsa_system_sgpr_private_segment_wavefront_offset 0
		.amdhsa_system_sgpr_workgroup_id_x 1
		.amdhsa_system_sgpr_workgroup_id_y 1
		.amdhsa_system_sgpr_workgroup_id_z 1
		.amdhsa_system_sgpr_workgroup_info 0
		.amdhsa_system_vgpr_workitem_id 0
		.amdhsa_next_free_vgpr 66
		.amdhsa_next_free_sgpr 48
		.amdhsa_accum_offset 68
		.amdhsa_reserve_vcc 1
		.amdhsa_reserve_flat_scratch 0
		.amdhsa_float_round_mode_32 0
		.amdhsa_float_round_mode_16_64 0
		.amdhsa_float_denorm_mode_32 3
		.amdhsa_float_denorm_mode_16_64 3
		.amdhsa_dx10_clamp 1
		.amdhsa_ieee_mode 1
		.amdhsa_fp16_overflow 0
		.amdhsa_tg_split 0
		.amdhsa_exception_fp_ieee_invalid_op 0
		.amdhsa_exception_fp_denorm_src 0
		.amdhsa_exception_fp_ieee_div_zero 0
		.amdhsa_exception_fp_ieee_overflow 0
		.amdhsa_exception_fp_ieee_underflow 0
		.amdhsa_exception_fp_ieee_inexact 0
		.amdhsa_exception_int_div_zero 0
	.end_amdhsa_kernel
	.section	.text._Z39paged_attention_ll4mi_QKV_mfma16_kernelIDF16_DF16_LN4vllm18Fp8KVCacheDataTypeE0EDF16_Li32ELi64ELi256ELb0ELi8EL8MFMAType0EEvPKT_PKT0_S8_ifPKiSA_SA_iPKfiiiPfSD_PS3_PT2_iSC_SC_,"axG",@progbits,_Z39paged_attention_ll4mi_QKV_mfma16_kernelIDF16_DF16_LN4vllm18Fp8KVCacheDataTypeE0EDF16_Li32ELi64ELi256ELb0ELi8EL8MFMAType0EEvPKT_PKT0_S8_ifPKiSA_SA_iPKfiiiPfSD_PS3_PT2_iSC_SC_,comdat
.Lfunc_end83:
	.size	_Z39paged_attention_ll4mi_QKV_mfma16_kernelIDF16_DF16_LN4vllm18Fp8KVCacheDataTypeE0EDF16_Li32ELi64ELi256ELb0ELi8EL8MFMAType0EEvPKT_PKT0_S8_ifPKiSA_SA_iPKfiiiPfSD_PS3_PT2_iSC_SC_, .Lfunc_end83-_Z39paged_attention_ll4mi_QKV_mfma16_kernelIDF16_DF16_LN4vllm18Fp8KVCacheDataTypeE0EDF16_Li32ELi64ELi256ELb0ELi8EL8MFMAType0EEvPKT_PKT0_S8_ifPKiSA_SA_iPKfiiiPfSD_PS3_PT2_iSC_SC_
                                        ; -- End function
	.section	.AMDGPU.csdata,"",@progbits
; Kernel info:
; codeLenInByte = 4024
; NumSgprs: 52
; NumVgprs: 66
; NumAgprs: 0
; TotalNumVgprs: 66
; ScratchSize: 0
; MemoryBound: 0
; FloatMode: 240
; IeeeMode: 1
; LDSByteSize: 8192 bytes/workgroup (compile time only)
; SGPRBlocks: 6
; VGPRBlocks: 8
; NumSGPRsForWavesPerEU: 52
; NumVGPRsForWavesPerEU: 66
; AccumOffset: 68
; Occupancy: 7
; WaveLimiterHint : 1
; COMPUTE_PGM_RSRC2:SCRATCH_EN: 0
; COMPUTE_PGM_RSRC2:USER_SGPR: 6
; COMPUTE_PGM_RSRC2:TRAP_HANDLER: 0
; COMPUTE_PGM_RSRC2:TGID_X_EN: 1
; COMPUTE_PGM_RSRC2:TGID_Y_EN: 1
; COMPUTE_PGM_RSRC2:TGID_Z_EN: 1
; COMPUTE_PGM_RSRC2:TIDIG_COMP_CNT: 0
; COMPUTE_PGM_RSRC3_GFX90A:ACCUM_OFFSET: 16
; COMPUTE_PGM_RSRC3_GFX90A:TG_SPLIT: 0
	.section	.text._Z39paged_attention_ll4mi_QKV_mfma16_kernelIDF16_DF16_LN4vllm18Fp8KVCacheDataTypeE0EDF16_Li32ELi64ELi256ELb0ELi9EL8MFMAType0EEvPKT_PKT0_S8_ifPKiSA_SA_iPKfiiiPfSD_PS3_PT2_iSC_SC_,"axG",@progbits,_Z39paged_attention_ll4mi_QKV_mfma16_kernelIDF16_DF16_LN4vllm18Fp8KVCacheDataTypeE0EDF16_Li32ELi64ELi256ELb0ELi9EL8MFMAType0EEvPKT_PKT0_S8_ifPKiSA_SA_iPKfiiiPfSD_PS3_PT2_iSC_SC_,comdat
	.protected	_Z39paged_attention_ll4mi_QKV_mfma16_kernelIDF16_DF16_LN4vllm18Fp8KVCacheDataTypeE0EDF16_Li32ELi64ELi256ELb0ELi9EL8MFMAType0EEvPKT_PKT0_S8_ifPKiSA_SA_iPKfiiiPfSD_PS3_PT2_iSC_SC_ ; -- Begin function _Z39paged_attention_ll4mi_QKV_mfma16_kernelIDF16_DF16_LN4vllm18Fp8KVCacheDataTypeE0EDF16_Li32ELi64ELi256ELb0ELi9EL8MFMAType0EEvPKT_PKT0_S8_ifPKiSA_SA_iPKfiiiPfSD_PS3_PT2_iSC_SC_
	.globl	_Z39paged_attention_ll4mi_QKV_mfma16_kernelIDF16_DF16_LN4vllm18Fp8KVCacheDataTypeE0EDF16_Li32ELi64ELi256ELb0ELi9EL8MFMAType0EEvPKT_PKT0_S8_ifPKiSA_SA_iPKfiiiPfSD_PS3_PT2_iSC_SC_
	.p2align	8
	.type	_Z39paged_attention_ll4mi_QKV_mfma16_kernelIDF16_DF16_LN4vllm18Fp8KVCacheDataTypeE0EDF16_Li32ELi64ELi256ELb0ELi9EL8MFMAType0EEvPKT_PKT0_S8_ifPKiSA_SA_iPKfiiiPfSD_PS3_PT2_iSC_SC_,@function
_Z39paged_attention_ll4mi_QKV_mfma16_kernelIDF16_DF16_LN4vllm18Fp8KVCacheDataTypeE0EDF16_Li32ELi64ELi256ELb0ELi9EL8MFMAType0EEvPKT_PKT0_S8_ifPKiSA_SA_iPKfiiiPfSD_PS3_PT2_iSC_SC_: ; @_Z39paged_attention_ll4mi_QKV_mfma16_kernelIDF16_DF16_LN4vllm18Fp8KVCacheDataTypeE0EDF16_Li32ELi64ELi256ELb0ELi9EL8MFMAType0EEvPKT_PKT0_S8_ifPKiSA_SA_iPKfiiiPfSD_PS3_PT2_iSC_SC_
; %bb.0:
	s_load_dwordx2 s[0:1], s[4:5], 0x30
	s_mov_b32 s28, s7
	s_mov_b64 s[10:11], 0
	s_waitcnt lgkmcnt(0)
	s_cmp_lg_u64 s[0:1], 0
	s_cselect_b64 s[2:3], -1, 0
	s_and_b64 vcc, exec, s[2:3]
	s_cbranch_vccz .LBB84_7
; %bb.1:
	s_add_i32 s12, s6, 1
	s_mov_b32 s13, 0
	s_lshl_b64 s[14:15], s[12:13], 2
	s_add_u32 s14, s0, s14
	s_mov_b32 s7, s13
	s_addc_u32 s15, s1, s15
	s_lshl_b64 s[12:13], s[6:7], 2
	s_add_u32 s12, s0, s12
	s_addc_u32 s13, s1, s13
	s_load_dword s9, s[14:15], 0x0
	s_load_dword s16, s[12:13], 0x0
	s_waitcnt lgkmcnt(0)
	s_sub_i32 s9, s9, s16
	s_cmp_eq_u32 s9, 1
	s_cselect_b64 s[12:13], -1, 0
	s_andn2_b64 vcc, exec, s[10:11]
	s_cbranch_vccnz .LBB84_3
.LBB84_2:
	s_mov_b32 s7, 0
	s_mov_b64 s[12:13], -1
.LBB84_3:
	s_andn2_b64 vcc, exec, s[12:13]
	s_cbranch_vccnz .LBB84_20
; %bb.4:
	s_load_dwordx2 s[12:13], s[4:5], 0x28
	s_lshl_b64 s[10:11], s[6:7], 2
	s_waitcnt lgkmcnt(0)
	s_add_u32 s12, s12, s10
	s_addc_u32 s13, s13, s11
	s_load_dword s33, s[12:13], 0x0
	s_lshl_b32 s16, s28, 8
	s_waitcnt lgkmcnt(0)
	s_cmp_ge_i32 s16, s33
	s_cbranch_scc1 .LBB84_20
; %bb.5:
	s_add_i32 s14, s33, 31
	s_load_dwordx2 s[12:13], s[4:5], 0x20
	s_load_dword s9, s[4:5], 0x38
	s_ashr_i32 s15, s14, 31
	v_and_b32_e32 v1, 0xcf, v0
	s_lshr_b32 s15, s15, 27
	v_add_u32_e32 v1, s16, v1
	s_add_i32 s14, s14, s15
	v_ashrrev_i32_e32 v2, 31, v1
	s_ashr_i32 s19, s14, 5
	v_lshrrev_b32_e32 v6, 27, v2
	s_add_i32 s19, s19, -1
	v_add_u32_e32 v2, v1, v6
	s_waitcnt lgkmcnt(0)
	s_mul_i32 s14, s6, s9
	s_mov_b32 s15, 0
	v_ashrrev_i32_e32 v2, 5, v2
	v_mov_b32_e32 v7, s19
	v_cmp_gt_i32_e32 vcc, s33, v1
	s_lshl_b64 s[14:15], s[14:15], 2
	v_cndmask_b32_e32 v2, v7, v2, vcc
	s_add_u32 s17, s12, s14
	v_ashrrev_i32_e32 v3, 31, v2
	s_addc_u32 s18, s13, s15
	v_lshlrev_b64 v[2:3], 2, v[2:3]
	v_mov_b32_e32 v4, s18
	v_add_co_u32_e32 v2, vcc, s17, v2
	v_addc_co_u32_e32 v3, vcc, v4, v3, vcc
	v_or_b32_e32 v4, 16, v1
	v_add_u32_e32 v5, v4, v6
	v_ashrrev_i32_e32 v5, 5, v5
	v_cmp_gt_i32_e32 vcc, s33, v4
	v_cndmask_b32_e32 v4, v7, v5, vcc
	v_ashrrev_i32_e32 v5, 31, v4
	v_lshlrev_b64 v[4:5], 2, v[4:5]
	v_mov_b32_e32 v9, s18
	v_add_co_u32_e32 v8, vcc, s17, v4
	v_or_b32_e32 v4, 32, v1
	v_addc_co_u32_e32 v9, vcc, v9, v5, vcc
	v_add_u32_e32 v5, v4, v6
	v_ashrrev_i32_e32 v5, 5, v5
	v_cmp_gt_i32_e32 vcc, s33, v4
	v_cndmask_b32_e32 v4, v7, v5, vcc
	v_ashrrev_i32_e32 v5, 31, v4
	v_lshlrev_b64 v[4:5], 2, v[4:5]
	v_mov_b32_e32 v11, s18
	v_add_co_u32_e32 v10, vcc, s17, v4
	v_or_b32_e32 v1, 48, v1
	v_addc_co_u32_e32 v11, vcc, v11, v5, vcc
	v_add_u32_e32 v4, v1, v6
	v_ashrrev_i32_e32 v4, 5, v4
	v_cmp_gt_i32_e32 vcc, s33, v1
	v_cndmask_b32_e32 v4, v7, v4, vcc
	v_ashrrev_i32_e32 v5, 31, v4
	v_lshlrev_b64 v[4:5], 2, v[4:5]
	v_mov_b32_e32 v1, s18
	v_add_co_u32_e32 v12, vcc, s17, v4
	v_addc_co_u32_e32 v13, vcc, v1, v5, vcc
	global_load_dword v4, v[2:3], off
	global_load_dword v6, v[8:9], off
	;; [unrolled: 1-line block ×4, first 2 shown]
	s_andn2_b64 vcc, exec, s[2:3]
	s_cbranch_vccnz .LBB84_8
; %bb.6:
	s_add_u32 s0, s0, s10
	s_addc_u32 s1, s1, s11
	s_load_dword s9, s[0:1], 0x0
	s_branch .LBB84_9
.LBB84_7:
	s_mov_b64 s[12:13], 0
	s_branch .LBB84_2
.LBB84_8:
	s_mov_b32 s9, s6
.LBB84_9:
	s_load_dwordx4 s[12:15], s[4:5], 0x8
	s_load_dwordx4 s[44:47], s[4:5], 0x48
	v_lshrrev_b32_e32 v53, 6, v0
	v_bfe_u32 v1, v0, 4, 2
	v_lshl_or_b32 v5, v53, 2, v1
	v_and_b32_e32 v52, 15, v0
	v_cmp_lt_u32_e32 vcc, 8, v5
	v_cmp_lt_u32_e64 s[2:3], 7, v52
	v_lshlrev_b32_e32 v2, 3, v52
	v_cmp_gt_u32_e64 s[0:1], 8, v52
	s_or_b64 s[2:3], s[2:3], vcc
	s_and_saveexec_b64 s[10:11], s[2:3]
	s_xor_b64 s[2:3], exec, s[10:11]
; %bb.10:
	v_mov_b32_e32 v3, 0
                                        ; implicit-def: $vgpr5
; %bb.11:
	s_or_saveexec_b64 s[2:3], s[2:3]
	v_and_b32_e32 v54, 63, v0
	s_mul_i32 s29, s8, 9
	s_xor_b64 exec, exec, s[2:3]
	s_cbranch_execz .LBB84_13
; %bb.12:
	s_load_dwordx2 s[10:11], s[4:5], 0x0
	s_waitcnt lgkmcnt(0)
	s_ashr_i32 s20, s44, 31
	s_mul_hi_u32 s21, s9, s44
	s_mul_i32 s20, s9, s20
	s_add_i32 s21, s21, s20
	s_mul_i32 s20, s9, s44
	s_lshl_b64 s[20:21], s[20:21], 1
	v_add_lshl_u32 v8, v5, s29, 6
	s_add_u32 s9, s10, s20
	v_ashrrev_i32_e32 v9, 31, v8
	s_addc_u32 s10, s11, s21
	v_lshlrev_b64 v[8:9], 1, v[8:9]
	v_mov_b32_e32 v3, s10
	v_add_co_u32_e32 v7, vcc, s9, v8
	v_addc_co_u32_e32 v3, vcc, v3, v9, vcc
	v_lshlrev_b32_e32 v8, 1, v2
	v_add_co_u32_e32 v8, vcc, v7, v8
	v_addc_co_u32_e32 v9, vcc, 0, v3, vcc
	global_load_dwordx4 v[8:11], v[8:9], off
	v_and_b32_e32 v7, 3, v0
	v_lshlrev_b32_e32 v12, 9, v52
	v_lshlrev_b32_e32 v5, 5, v5
	;; [unrolled: 1-line block ×3, first 2 shown]
	v_and_b32_e32 v12, 0x1800, v12
	v_mov_b32_e32 v3, 0
	v_or3_b32 v5, v12, v7, v5
	s_waitcnt vmcnt(0)
	ds_write_b128 v5, v[8:11]
.LBB84_13:
	s_or_b64 exec, exec, s[2:3]
	s_waitcnt lgkmcnt(0)
	s_mul_i32 s8, s8, s46
	s_mov_b32 s9, 0
	s_lshl_b64 s[8:9], s[8:9], 1
	s_add_u32 s3, s12, s8
	s_waitcnt vmcnt(3)
	v_mad_i64_i32 v[4:5], s[10:11], v4, s45, 0
	s_addc_u32 s12, s13, s9
	v_lshlrev_b64 v[4:5], 1, v[4:5]
	v_mov_b32_e32 v7, s12
	v_add_co_u32_e32 v4, vcc, s3, v4
	v_addc_co_u32_e32 v5, vcc, v7, v5, vcc
	v_lshlrev_b64 v[34:35], 1, v[2:3]
	v_add_co_u32_e32 v2, vcc, v4, v34
	v_lshlrev_b32_e32 v28, 9, v1
	v_addc_co_u32_e32 v3, vcc, v5, v35, vcc
	v_add_co_u32_e32 v20, vcc, v2, v28
	v_addc_co_u32_e32 v21, vcc, 0, v3, vcc
	s_load_dword s42, s[4:5], 0x98
	s_load_dword s2, s[4:5], 0x1c
	s_waitcnt lgkmcnt(0)
	s_barrier
	global_load_dwordx4 v[2:5], v[20:21], off
	s_waitcnt vmcnt(3)
	v_mad_i64_i32 v[6:7], s[10:11], v6, s45, 0
	v_lshlrev_b64 v[6:7], 1, v[6:7]
	v_mov_b32_e32 v8, s12
	v_add_co_u32_e32 v6, vcc, s3, v6
	v_addc_co_u32_e32 v7, vcc, v8, v7, vcc
	v_mov_b32_e32 v8, 0x100
	v_lshl_or_b32 v29, v52, 4, v8
	v_add_co_u32_e32 v6, vcc, v6, v29
	v_addc_co_u32_e32 v7, vcc, 0, v7, vcc
	v_add_co_u32_e32 v22, vcc, v6, v28
	v_addc_co_u32_e32 v23, vcc, 0, v7, vcc
	global_load_dwordx4 v[10:13], v[22:23], off
	global_load_dwordx4 v[14:17], v[20:21], off offset:2048
	global_load_dwordx4 v[6:9], v[22:23], off offset:2048
	v_add_u32_e32 v22, -9, v52
	v_cmp_gt_u32_e32 vcc, 9, v52
	s_waitcnt vmcnt(5)
	v_mad_i64_i32 v[20:21], s[10:11], v19, s45, 0
	s_waitcnt vmcnt(4)
	v_mad_i64_i32 v[18:19], s[10:11], v18, s45, 0
	v_cndmask_b32_e32 v22, v22, v52, vcc
	v_lshlrev_b64 v[26:27], 1, v[18:19]
	v_lshl_add_u32 v18, v22, 5, v28
	v_lshlrev_b64 v[32:33], 1, v[20:21]
	ds_read_b128 v[22:25], v18
	ds_read_b128 v[18:21], v18 offset:2048
	v_mov_b32_e32 v36, s12
	v_add_co_u32_e32 v32, vcc, s3, v32
	v_addc_co_u32_e32 v33, vcc, v36, v33, vcc
	v_mov_b32_e32 v50, s12
	v_and_or_b32 v31, v0, 48, s16
	s_ashr_i32 s10, s16, 31
	v_or_b32_e32 v49, 64, v31
	s_lshr_b32 s10, s10, 27
	v_mov_b32_e32 v30, s19
	v_mov_b32_e32 v48, s18
	s_mov_b32 s43, 0xff7fffff
	s_waitcnt vmcnt(3) lgkmcnt(1)
	v_mfma_f32_16x16x16f16 v[36:39], v[2:3], v[22:23], 0
	v_add_co_u32_e32 v2, vcc, v32, v34
	v_addc_co_u32_e32 v3, vcc, v33, v35, vcc
	v_add_co_u32_e32 v32, vcc, v2, v28
	v_addc_co_u32_e32 v33, vcc, 0, v3, vcc
	global_load_dwordx4 v[44:47], v[32:33], off
	v_mfma_f32_16x16x16f16 v[2:5], v[4:5], v[24:25], v[36:39]
	s_waitcnt vmcnt(3)
	v_mfma_f32_16x16x16f16 v[40:43], v[10:11], v[22:23], 0
	v_add_co_u32_e32 v10, vcc, s3, v26
	v_addc_co_u32_e32 v11, vcc, v50, v27, vcc
	v_add_co_u32_e32 v10, vcc, v10, v29
	v_add_u32_e32 v26, s10, v31
	v_add_u32_e32 v27, s10, v49
	v_addc_co_u32_e32 v11, vcc, 0, v11, vcc
	v_ashrrev_i32_e32 v36, 5, v26
	v_ashrrev_i32_e32 v50, 5, v27
	v_add_co_u32_e32 v10, vcc, v10, v28
	global_load_dwordx4 v[26:29], v[32:33], off offset:2048
	s_waitcnt vmcnt(3) lgkmcnt(0)
	v_mfma_f32_16x16x16f16 v[2:5], v[14:15], v[18:19], v[2:5]
	v_addc_co_u32_e32 v11, vcc, 0, v11, vcc
	v_cmp_gt_i32_e32 vcc, s33, v31
	v_cndmask_b32_e32 v14, v30, v36, vcc
	v_ashrrev_i32_e32 v15, 31, v14
	global_load_dwordx4 v[36:39], v[10:11], off
	global_load_dwordx4 v[56:59], v[10:11], off offset:2048
	v_lshlrev_b64 v[10:11], 2, v[14:15]
	v_mfma_f32_16x16x16f16 v[60:63], v[16:17], v[20:21], v[2:5]
	v_mov_b32_e32 v15, s18
	s_add_u32 s3, s14, s8
	s_addc_u32 s8, s15, s9
	s_nop 3
	v_add_co_u32_e32 v2, vcc, s17, v10
	v_addc_co_u32_e32 v3, vcc, v48, v11, vcc
	global_load_dword v14, v[2:3], off
	v_cmp_gt_i32_e32 vcc, s33, v49
	v_cndmask_b32_e32 v2, v30, v50, vcc
	v_ashrrev_i32_e32 v3, 31, v2
	v_lshlrev_b64 v[10:11], 2, v[2:3]
	v_mfma_f32_16x16x16f16 v[2:5], v[12:13], v[24:25], v[40:43]
	v_add_co_u32_e32 v10, vcc, s17, v10
	v_addc_co_u32_e32 v11, vcc, v15, v11, vcc
	global_load_dword v32, v[10:11], off
	v_or_b32_e32 v10, 0x80, v31
	v_add_u32_e32 v11, s10, v10
	v_ashrrev_i32_e32 v11, 5, v11
	v_cmp_gt_i32_e32 vcc, s33, v10
	s_waitcnt vmcnt(6)
	v_mfma_f32_16x16x16f16 v[2:5], v[6:7], v[18:19], v[2:5]
	v_cndmask_b32_e32 v10, v30, v11, vcc
	v_ashrrev_i32_e32 v11, 31, v10
	v_lshlrev_b64 v[6:7], 2, v[10:11]
	v_mov_b32_e32 v10, s18
	v_add_co_u32_e32 v6, vcc, s17, v6
	v_addc_co_u32_e32 v7, vcc, v10, v7, vcc
	global_load_dword v33, v[6:7], off
	v_mfma_f32_16x16x16f16 v[40:43], v[8:9], v[20:21], v[2:5]
	v_or_b32_e32 v6, 0xc0, v31
	v_add_u32_e32 v7, s10, v6
	v_ashrrev_i32_e32 v7, 5, v7
	v_cmp_gt_i32_e32 vcc, s33, v6
	v_cndmask_b32_e32 v6, v30, v7, vcc
	v_ashrrev_i32_e32 v7, 31, v6
	v_lshlrev_b64 v[6:7], 2, v[6:7]
	s_waitcnt vmcnt(6)
	v_mfma_f32_16x16x16f16 v[2:5], v[44:45], v[22:23], 0
	v_mov_b32_e32 v8, s18
	v_add_co_u32_e32 v6, vcc, s17, v6
	v_addc_co_u32_e32 v7, vcc, v8, v7, vcc
	global_load_dword v55, v[6:7], off
	v_and_b32_e32 v6, 16, v0
	v_mfma_f32_16x16x16f16 v[2:5], v[46:47], v[24:25], v[2:5]
	v_lshlrev_b32_e32 v6, 1, v6
	v_mov_b32_e32 v7, s8
	v_add_co_u32_e32 v6, vcc, s3, v6
	v_lshlrev_b32_e32 v8, 6, v52
	v_addc_co_u32_e32 v7, vcc, 0, v7, vcc
	s_waitcnt vmcnt(6)
	v_mfma_f32_16x16x16f16 v[2:5], v[26:27], v[18:19], v[2:5]
	v_lshl_or_b32 v8, v53, 10, v8
	v_add_co_u32_e32 v64, vcc, v6, v8
	v_addc_co_u32_e32 v65, vcc, 0, v7, vcc
	v_pk_mul_f32 v[50:51], s[2:3], v[42:43] op_sel_hi:[0,1]
	v_pk_mul_f32 v[48:49], s[2:3], v[62:63] op_sel_hi:[0,1]
	v_mfma_f32_16x16x16f16 v[26:29], v[28:29], v[20:21], v[2:5]
	v_pk_mul_f32 v[40:41], s[2:3], v[40:41] op_sel_hi:[0,1]
	s_waitcnt vmcnt(1)
	v_mad_i64_i32 v[30:31], s[8:9], v33, s45, 0
	s_nop 3
	v_mad_i64_i32 v[2:3], s[8:9], v14, s45, 0
	v_lshlrev_b64 v[6:7], 1, v[2:3]
	v_mfma_f32_16x16x16f16 v[2:5], v[36:37], v[22:23], 0
	s_nop 0
	v_pk_mul_f32 v[44:45], s[2:3], v[26:27] op_sel_hi:[0,1]
	v_add_co_u32_e32 v6, vcc, v64, v6
	v_addc_co_u32_e32 v7, vcc, v65, v7, vcc
	global_load_dwordx4 v[14:17], v[6:7], off
	global_load_dwordx4 v[10:13], v[6:7], off offset:16
	v_mad_i64_i32 v[6:7], s[8:9], v32, s45, 0
	v_mfma_f32_16x16x16f16 v[22:25], v[38:39], v[24:25], v[2:5]
	v_pk_mul_f32 v[46:47], s[2:3], v[28:29] op_sel_hi:[0,1]
	v_lshlrev_b64 v[6:7], 1, v[6:7]
	v_lshlrev_b64 v[30:31], 1, v[30:31]
	v_mfma_f32_16x16x16f16 v[22:25], v[56:57], v[18:19], v[22:25]
	v_pk_mul_f32 v[18:19], s[2:3], v[60:61] op_sel_hi:[0,1]
	s_nop 1
	v_add_co_u32_e32 v2, vcc, v64, v6
	v_addc_co_u32_e32 v3, vcc, v65, v7, vcc
	v_add_co_u32_e32 v38, vcc, v64, v30
	v_mfma_f32_16x16x16f16 v[20:23], v[58:59], v[20:21], v[22:25]
	v_addc_co_u32_e32 v39, vcc, v65, v31, vcc
	global_load_dwordx4 v[6:9], v[2:3], off
	s_nop 0
	global_load_dwordx4 v[2:5], v[2:3], off offset:16
	s_nop 6
	v_pk_mul_f32 v[42:43], s[2:3], v[20:21] op_sel_hi:[0,1]
	v_and_b32_e32 v20, 0xc0, v0
	v_add_u32_e32 v20, s16, v20
	v_lshl_or_b32 v20, v1, 2, v20
	v_pk_mul_f32 v[36:37], s[2:3], v[22:23] op_sel_hi:[0,1]
	v_or_b32_e32 v23, 1, v20
	v_mov_b32_e32 v21, 0xff7fffff
	v_cmp_gt_i32_e64 s[30:31], s33, v20
	v_cmp_gt_i32_e64 s[34:35], s33, v23
	v_cndmask_b32_e64 v22, v21, v18, s[30:31]
	v_cndmask_b32_e64 v23, v21, v19, s[34:35]
	v_max3_f32 v22, v22, s43, v23
	v_or_b32_e32 v23, 2, v20
	v_or_b32_e32 v24, 3, v20
	v_cmp_gt_i32_e64 s[36:37], s33, v23
	v_cmp_gt_i32_e64 s[38:39], s33, v24
	v_cndmask_b32_e64 v23, v21, v48, s[36:37]
	v_cndmask_b32_e64 v24, v21, v49, s[38:39]
	v_max3_f32 v22, v22, v23, v24
	v_or_b32_e32 v23, 16, v20
	v_or_b32_e32 v24, 17, v20
	v_cmp_gt_i32_e64 s[24:25], s33, v23
	v_cmp_gt_i32_e64 s[26:27], s33, v24
	v_cndmask_b32_e64 v23, v21, v40, s[24:25]
	v_cndmask_b32_e64 v24, v21, v41, s[26:27]
	v_max3_f32 v22, v22, v23, v24
	v_or_b32_e32 v23, 18, v20
	v_or_b32_e32 v24, 19, v20
	v_cmp_gt_i32_e64 s[20:21], s33, v23
	v_cmp_gt_i32_e64 s[22:23], s33, v24
	v_cndmask_b32_e64 v23, v21, v50, s[20:21]
	v_cndmask_b32_e64 v24, v21, v51, s[22:23]
	v_max3_f32 v22, v22, v23, v24
	v_or_b32_e32 v23, 32, v20
	v_or_b32_e32 v24, 33, v20
	v_cmp_gt_i32_e64 s[16:17], s33, v23
	v_cmp_gt_i32_e64 s[18:19], s33, v24
	v_cndmask_b32_e64 v23, v21, v44, s[16:17]
	v_cndmask_b32_e64 v24, v21, v45, s[18:19]
	v_max3_f32 v22, v22, v23, v24
	v_or_b32_e32 v23, 34, v20
	v_or_b32_e32 v24, 35, v20
	v_cmp_gt_i32_e64 s[12:13], s33, v23
	v_cmp_gt_i32_e64 s[14:15], s33, v24
	v_cndmask_b32_e64 v23, v21, v46, s[12:13]
	v_cndmask_b32_e64 v24, v21, v47, s[14:15]
	v_max3_f32 v22, v22, v23, v24
	v_or_b32_e32 v23, 48, v20
	v_or_b32_e32 v24, 49, v20
	v_cmp_gt_i32_e64 s[8:9], s33, v23
	v_cmp_gt_i32_e64 s[10:11], s33, v24
	v_cndmask_b32_e64 v23, v21, v42, s[8:9]
	v_cndmask_b32_e64 v24, v21, v43, s[10:11]
	v_max3_f32 v22, v22, v23, v24
	v_or_b32_e32 v23, 50, v20
	v_or_b32_e32 v20, 51, v20
	v_cmp_gt_i32_e32 vcc, s33, v23
	v_cmp_gt_i32_e64 s[2:3], s33, v20
	v_cndmask_b32_e32 v23, v21, v36, vcc
	v_cndmask_b32_e64 v20, v21, v37, s[2:3]
	v_max3_f32 v26, v22, v23, v20
	v_mbcnt_lo_u32_b32 v20, -1, 0
	v_mbcnt_hi_u32_b32 v27, -1, v20
	v_and_b32_e32 v20, 64, v27
	v_add_u32_e32 v28, 64, v20
	v_xor_b32_e32 v20, 32, v27
	v_cmp_lt_i32_e64 s[40:41], v20, v28
	v_cndmask_b32_e64 v20, v27, v20, s[40:41]
	v_lshlrev_b32_e32 v56, 2, v20
	ds_bpermute_b32 v29, v56, v26
	s_waitcnt vmcnt(4)
	v_mad_i64_i32 v[20:21], s[40:41], v55, s45, 0
	v_lshlrev_b64 v[20:21], 1, v[20:21]
	global_load_dwordx4 v[30:33], v[38:39], off
	global_load_dwordx4 v[22:25], v[38:39], off offset:16
	s_waitcnt lgkmcnt(0)
	v_max_f32_e32 v29, v29, v29
	v_max_f32_e32 v26, v26, v29
	v_xor_b32_e32 v29, 16, v27
	v_cmp_lt_i32_e64 s[40:41], v29, v28
	v_cndmask_b32_e64 v27, v27, v29, s[40:41]
	v_lshlrev_b32_e32 v58, 2, v27
	ds_bpermute_b32 v27, v58, v26
	v_add_co_u32_e64 v20, s[40:41], v64, v20
	v_addc_co_u32_e64 v21, s[40:41], v65, v21, s[40:41]
	s_waitcnt lgkmcnt(0)
	v_max_f32_e32 v27, v27, v27
	v_max_f32_e32 v55, v26, v27
	v_sub_f32_e32 v18, v18, v55
	v_mul_f32_e32 v18, 0x3fb8aa3b, v18
	v_exp_f32_e32 v38, v18
	v_sub_f32_e32 v18, v19, v55
	v_mul_f32_e32 v18, 0x3fb8aa3b, v18
	v_exp_f32_e32 v39, v18
	global_load_dwordx4 v[26:29], v[20:21], off
	s_nop 0
	global_load_dwordx4 v[18:21], v[20:21], off offset:16
	v_sub_f32_e32 v48, v48, v55
	v_mul_f32_e32 v48, 0x3fb8aa3b, v48
	v_sub_f32_e32 v49, v49, v55
	v_exp_f32_e32 v48, v48
	v_mul_f32_e32 v49, 0x3fb8aa3b, v49
	v_sub_f32_e32 v40, v40, v55
	v_exp_f32_e32 v49, v49
	v_mul_f32_e32 v40, 0x3fb8aa3b, v40
	v_sub_f32_e32 v41, v41, v55
	v_cndmask_b32_e64 v38, 0, v38, s[30:31]
	v_exp_f32_e32 v40, v40
	v_mul_f32_e32 v41, 0x3fb8aa3b, v41
	v_sub_f32_e32 v50, v50, v55
	v_add_f32_e32 v57, 0, v38
	v_cndmask_b32_e64 v39, 0, v39, s[34:35]
	v_exp_f32_e32 v41, v41
	v_mul_f32_e32 v50, 0x3fb8aa3b, v50
	v_sub_f32_e32 v51, v51, v55
	v_add_f32_e32 v57, v57, v39
	;; [unrolled: 5-line block ×10, first 2 shown]
	v_cndmask_b32_e64 v46, 0, v46, s[12:13]
	v_exp_f32_e32 v36, v36
	v_mul_f32_e32 v37, 0x3fb8aa3b, v37
	v_add_f32_e32 v57, v57, v46
	v_cndmask_b32_e64 v47, 0, v47, s[14:15]
	v_exp_f32_e32 v37, v37
	v_add_f32_e32 v57, v57, v47
	v_cndmask_b32_e64 v42, 0, v42, s[8:9]
	v_add_f32_e32 v57, v57, v42
	v_cndmask_b32_e64 v43, 0, v43, s[10:11]
	v_add_f32_e32 v57, v57, v43
	v_cndmask_b32_e32 v36, 0, v36, vcc
	v_add_f32_e32 v57, v57, v36
	v_cndmask_b32_e64 v37, 0, v37, s[2:3]
	v_add_f32_e32 v57, v57, v37
	ds_bpermute_b32 v56, v56, v57
	v_cmp_gt_u32_e64 s[2:3], 16, v54
	s_waitcnt lgkmcnt(0)
	s_barrier
	v_add_f32_e32 v57, v57, v56
	ds_bpermute_b32 v58, v58, v57
	v_lshlrev_b32_e32 v56, 2, v52
	s_and_saveexec_b64 s[8:9], s[2:3]
	s_cbranch_execz .LBB84_15
; %bb.14:
	s_waitcnt lgkmcnt(0)
	v_add_f32_e32 v54, v57, v58
	v_lshl_or_b32 v57, v53, 6, v56
	ds_write2st64_b32 v57, v55, v54 offset1:1
.LBB84_15:
	s_or_b64 exec, exec, s[8:9]
	s_load_dword s10, s[4:5], 0x94
	s_waitcnt lgkmcnt(0)
	s_barrier
	ds_read2_b32 v[58:59], v56 offset1:16
	ds_read2_b32 v[60:61], v56 offset0:32 offset1:48
	ds_read2_b32 v[62:63], v56 offset0:64 offset1:80
	;; [unrolled: 1-line block ×3, first 2 shown]
	s_waitcnt lgkmcnt(0)
	v_max3_f32 v54, v58, s43, v59
	v_max3_f32 v54, v54, v60, v61
	v_sub_f32_e32 v55, v58, v54
	v_mul_f32_e32 v55, 0x3fb8aa3b, v55
	v_exp_f32_e32 v58, v55
	v_sub_f32_e32 v55, v59, v54
	v_mul_f32_e32 v55, 0x3fb8aa3b, v55
	v_exp_f32_e32 v59, v55
	;; [unrolled: 3-line block ×4, first 2 shown]
	v_fma_f32 v55, v58, v62, 0
	v_fmac_f32_e32 v55, v59, v63
	v_fmac_f32_e32 v55, v60, v56
	;; [unrolled: 1-line block ×3, first 2 shown]
	v_add_f32_e32 v56, 0x358637bd, v55
	v_div_scale_f32 v57, s[8:9], v56, v56, 1.0
	v_rcp_f32_e32 v62, v57
	s_barrier
	s_mul_i32 s11, s42, 9
	v_fma_f32 v63, -v57, v62, 1.0
	v_fmac_f32_e32 v62, v63, v62
	v_div_scale_f32 v63, vcc, 1.0, v56, 1.0
	v_mul_f32_e32 v64, v63, v62
	v_fma_f32 v65, -v57, v64, v63
	v_fmac_f32_e32 v64, v65, v62
	v_fma_f32 v57, -v57, v64, v63
	v_div_fmas_f32 v57, v57, v62, v64
	v_cmp_eq_u32_e32 vcc, 1, v53
	v_div_fixup_f32 v56, v57, v56, 1.0
	v_cndmask_b32_e32 v57, v58, v59, vcc
	v_cmp_eq_u32_e32 vcc, 2, v53
	v_cndmask_b32_e32 v57, v57, v60, vcc
	v_cmp_eq_u32_e32 vcc, 3, v53
	v_cndmask_b32_e32 v57, v57, v61, vcc
	v_mul_f32_e32 v56, v57, v56
	v_pk_mul_f32 v[48:49], v[56:57], v[48:49] op_sel_hi:[0,1]
	v_pk_mul_f32 v[38:39], v[56:57], v[38:39] op_sel_hi:[0,1]
	v_cvt_f16_f32_e32 v57, v48
	v_cvt_f16_f32_e32 v38, v38
	;; [unrolled: 1-line block ×4, first 2 shown]
	v_pk_mul_f32 v[50:51], v[56:57], v[50:51] op_sel_hi:[0,1]
	v_pk_mul_f32 v[40:41], v[56:57], v[40:41] op_sel_hi:[0,1]
	v_cvt_f16_f32_e32 v40, v40
	v_cvt_f16_f32_e32 v41, v41
	;; [unrolled: 1-line block ×4, first 2 shown]
	v_pack_b32_f16 v48, v38, v39
	v_lshlrev_b32_e32 v38, 3, v1
	v_lshlrev_b32_e32 v39, 5, v52
	;; [unrolled: 1-line block ×3, first 2 shown]
	v_pack_b32_f16 v49, v57, v49
	v_or3_b32 v38, v53, v39, v38
	v_pack_b32_f16 v40, v40, v41
	v_pack_b32_f16 v41, v50, v51
	ds_write2st64_b64 v38, v[48:49], v[40:41] offset1:1
	v_pk_mul_f32 v[40:41], v[56:57], v[46:47] op_sel_hi:[0,1]
	v_pk_mul_f32 v[44:45], v[56:57], v[44:45] op_sel_hi:[0,1]
	v_cvt_f16_f32_e32 v46, v40
	v_cvt_f16_f32_e32 v47, v41
	v_pk_mul_f32 v[36:37], v[56:57], v[36:37] op_sel_hi:[0,1]
	v_pk_mul_f32 v[40:41], v[56:57], v[42:43] op_sel_hi:[0,1]
	v_cvt_f16_f32_e32 v44, v44
	v_cvt_f16_f32_e32 v45, v45
	;; [unrolled: 1-line block ×6, first 2 shown]
	v_pack_b32_f16 v36, v44, v45
	v_pack_b32_f16 v37, v46, v47
	;; [unrolled: 1-line block ×4, first 2 shown]
	v_cmp_gt_u32_e32 vcc, 9, v0
	ds_write2st64_b64 v38, v[36:37], v[40:41] offset0:2 offset1:3
	s_and_saveexec_b64 s[8:9], vcc
	s_cbranch_execz .LBB84_17
; %bb.16:
	v_add_co_u32_e32 v40, vcc, s29, v52
	v_addc_co_u32_e64 v41, s[16:17], 0, 0, vcc
	v_mov_b32_e32 v36, s11
	v_mov_b32_e32 v37, 0
	v_mad_u64_u32 v[40:41], s[16:17], s6, v36, v[40:41]
	v_mov_b32_e32 v36, s28
	s_load_dwordx4 s[12:15], s[4:5], 0x58
	s_mul_i32 s7, s7, s11
	v_mad_u64_u32 v[36:37], s[16:17], v40, s10, v[36:37]
	v_add_u32_e32 v41, s7, v41
	v_mov_b32_e32 v40, v37
	v_mad_u64_u32 v[40:41], s[16:17], v41, s10, v[40:41]
	v_mov_b32_e32 v37, v40
	v_lshlrev_b64 v[36:37], 2, v[36:37]
	s_waitcnt lgkmcnt(0)
	v_mov_b32_e32 v41, s15
	v_add_co_u32_e32 v40, vcc, s14, v36
	v_addc_co_u32_e32 v41, vcc, v41, v37, vcc
	global_store_dword v[40:41], v54, off
	v_mov_b32_e32 v40, s13
	v_add_co_u32_e32 v36, vcc, s12, v36
	v_addc_co_u32_e32 v37, vcc, v40, v37, vcc
	global_store_dword v[36:37], v55, off
.LBB84_17:
	s_or_b64 exec, exec, s[8:9]
	v_lshl_or_b32 v36, v1, 9, v39
	s_waitcnt lgkmcnt(0)
	s_barrier
	ds_read_b128 v[40:43], v36
	ds_read_b128 v[44:47], v36 offset:16
	s_waitcnt vmcnt(7) lgkmcnt(1)
	v_mfma_f32_16x16x16f16 v[48:51], v[14:15], v[40:41], 0
	v_cmp_gt_u32_e32 vcc, 64, v0
	s_mov_b32 s7, 0
	s_and_b64 s[0:1], vcc, s[0:1]
	v_mfma_f32_16x16x16f16 v[14:17], v[16:17], v[42:43], v[48:51]
	s_waitcnt vmcnt(6) lgkmcnt(0)
	v_mfma_f32_16x16x16f16 v[14:17], v[10:11], v[44:45], v[14:17]
	v_mfma_f32_16x16x16f16 v[10:13], v[12:13], v[46:47], v[14:17]
	s_nop 7
	s_nop 1
	ds_read_b128 v[14:17], v36 offset:2048
	ds_read_b128 v[40:43], v36 offset:2064
	s_waitcnt vmcnt(5) lgkmcnt(1)
	v_mfma_f32_16x16x16f16 v[10:13], v[6:7], v[14:15], v[10:13]
	v_mfma_f32_16x16x16f16 v[6:9], v[8:9], v[16:17], v[10:13]
	s_waitcnt vmcnt(4) lgkmcnt(0)
	v_mfma_f32_16x16x16f16 v[6:9], v[2:3], v[40:41], v[6:9]
	v_mfma_f32_16x16x16f16 v[2:5], v[4:5], v[42:43], v[6:9]
	s_nop 7
	s_nop 1
	ds_read_b128 v[6:9], v36 offset:4096
	ds_read_b128 v[10:13], v36 offset:4112
	s_waitcnt vmcnt(3) lgkmcnt(1)
	v_mfma_f32_16x16x16f16 v[2:5], v[30:31], v[6:7], v[2:5]
	v_mfma_f32_16x16x16f16 v[2:5], v[32:33], v[8:9], v[2:5]
	s_waitcnt vmcnt(2) lgkmcnt(0)
	v_mfma_f32_16x16x16f16 v[2:5], v[22:23], v[10:11], v[2:5]
	v_mfma_f32_16x16x16f16 v[2:5], v[24:25], v[12:13], v[2:5]
	ds_read_b128 v[6:9], v36 offset:6144
	ds_read_b128 v[10:13], v36 offset:6160
	s_waitcnt lgkmcnt(0)
	s_barrier
	s_waitcnt vmcnt(1)
	v_mfma_f32_16x16x16f16 v[2:5], v[26:27], v[6:7], v[2:5]
	v_mfma_f32_16x16x16f16 v[2:5], v[28:29], v[8:9], v[2:5]
	s_waitcnt vmcnt(0)
	v_mfma_f32_16x16x16f16 v[2:5], v[18:19], v[10:11], v[2:5]
	v_mfma_f32_16x16x16f16 v[2:5], v[20:21], v[12:13], v[2:5]
	s_nop 7
	s_nop 2
	v_cvt_f16_f32_e32 v2, v2
	v_cvt_f16_f32_e32 v3, v3
	;; [unrolled: 1-line block ×4, first 2 shown]
	v_pack_b32_f16 v2, v2, v3
	v_pack_b32_f16 v3, v4, v5
	ds_write_b64 v38, v[2:3]
	s_waitcnt lgkmcnt(0)
	s_barrier
	s_and_saveexec_b64 s[8:9], s[0:1]
	s_cbranch_execz .LBB84_20
; %bb.18:
	s_load_dwordx2 s[4:5], s[4:5], 0x68
	s_lshl_b32 s0, s10, 6
	s_mul_i32 s1, s11, s6
	s_mul_hi_u32 s9, s1, s0
	s_mul_i32 s8, s1, s0
	s_lshl_b64 s[8:9], s[8:9], 1
	s_waitcnt lgkmcnt(0)
	s_add_u32 s1, s4, s8
	v_lshlrev_b32_e32 v2, 10, v0
	v_lshlrev_b32_e32 v0, 4, v0
	s_addc_u32 s8, s5, s9
	s_lshl_b32 s6, s28, 6
	v_and_b32_e32 v2, 0x1800, v2
	v_lshlrev_b32_e32 v3, 5, v1
	v_and_b32_e32 v0, 16, v0
	s_lshl_b64 s[4:5], s[6:7], 1
	v_or3_b32 v0, v2, v3, v0
	s_add_u32 s1, s1, s4
	s_addc_u32 s4, s8, s5
	ds_read_b128 v[4:7], v0 offset:128
	ds_read_b128 v[8:11], v0
	v_add_u32_e32 v14, s29, v1
	v_mov_b32_e32 v3, s4
	v_add_co_u32_e32 v2, vcc, s1, v34
	v_mad_u64_u32 v[12:13], s[4:5], v14, s0, 0
	v_addc_co_u32_e32 v3, vcc, v3, v35, vcc
	v_lshlrev_b64 v[12:13], 1, v[12:13]
	v_add_co_u32_e32 v12, vcc, v2, v12
	v_addc_co_u32_e32 v13, vcc, v3, v13, vcc
	s_waitcnt lgkmcnt(0)
	global_store_dwordx4 v[12:13], v[8:11], off
	s_nop 0
	v_add_u32_e32 v8, 4, v14
	v_mad_u64_u32 v[8:9], s[4:5], v8, s0, 0
	v_lshlrev_b64 v[8:9], 1, v[8:9]
	v_add_co_u32_e32 v8, vcc, v2, v8
	v_addc_co_u32_e32 v9, vcc, v3, v9, vcc
	global_store_dwordx4 v[8:9], v[4:7], off
	s_and_b64 exec, exec, s[2:3]
	s_cbranch_execz .LBB84_20
; %bb.19:
	ds_read_b128 v[4:7], v0 offset:256
	v_add3_u32 v0, s29, v1, 8
	v_mad_u64_u32 v[0:1], s[0:1], v0, s0, 0
	v_lshlrev_b64 v[0:1], 1, v[0:1]
	v_add_co_u32_e32 v0, vcc, v2, v0
	v_addc_co_u32_e32 v1, vcc, v3, v1, vcc
	s_waitcnt lgkmcnt(0)
	global_store_dwordx4 v[0:1], v[4:7], off
.LBB84_20:
	s_endpgm
	.section	.rodata,"a",@progbits
	.p2align	6, 0x0
	.amdhsa_kernel _Z39paged_attention_ll4mi_QKV_mfma16_kernelIDF16_DF16_LN4vllm18Fp8KVCacheDataTypeE0EDF16_Li32ELi64ELi256ELb0ELi9EL8MFMAType0EEvPKT_PKT0_S8_ifPKiSA_SA_iPKfiiiPfSD_PS3_PT2_iSC_SC_
		.amdhsa_group_segment_fixed_size 8192
		.amdhsa_private_segment_fixed_size 0
		.amdhsa_kernarg_size 400
		.amdhsa_user_sgpr_count 6
		.amdhsa_user_sgpr_private_segment_buffer 1
		.amdhsa_user_sgpr_dispatch_ptr 0
		.amdhsa_user_sgpr_queue_ptr 0
		.amdhsa_user_sgpr_kernarg_segment_ptr 1
		.amdhsa_user_sgpr_dispatch_id 0
		.amdhsa_user_sgpr_flat_scratch_init 0
		.amdhsa_user_sgpr_kernarg_preload_length 0
		.amdhsa_user_sgpr_kernarg_preload_offset 0
		.amdhsa_user_sgpr_private_segment_size 0
		.amdhsa_uses_dynamic_stack 0
		.amdhsa_system_sgpr_private_segment_wavefront_offset 0
		.amdhsa_system_sgpr_workgroup_id_x 1
		.amdhsa_system_sgpr_workgroup_id_y 1
		.amdhsa_system_sgpr_workgroup_id_z 1
		.amdhsa_system_sgpr_workgroup_info 0
		.amdhsa_system_vgpr_workitem_id 0
		.amdhsa_next_free_vgpr 66
		.amdhsa_next_free_sgpr 48
		.amdhsa_accum_offset 68
		.amdhsa_reserve_vcc 1
		.amdhsa_reserve_flat_scratch 0
		.amdhsa_float_round_mode_32 0
		.amdhsa_float_round_mode_16_64 0
		.amdhsa_float_denorm_mode_32 3
		.amdhsa_float_denorm_mode_16_64 3
		.amdhsa_dx10_clamp 1
		.amdhsa_ieee_mode 1
		.amdhsa_fp16_overflow 0
		.amdhsa_tg_split 0
		.amdhsa_exception_fp_ieee_invalid_op 0
		.amdhsa_exception_fp_denorm_src 0
		.amdhsa_exception_fp_ieee_div_zero 0
		.amdhsa_exception_fp_ieee_overflow 0
		.amdhsa_exception_fp_ieee_underflow 0
		.amdhsa_exception_fp_ieee_inexact 0
		.amdhsa_exception_int_div_zero 0
	.end_amdhsa_kernel
	.section	.text._Z39paged_attention_ll4mi_QKV_mfma16_kernelIDF16_DF16_LN4vllm18Fp8KVCacheDataTypeE0EDF16_Li32ELi64ELi256ELb0ELi9EL8MFMAType0EEvPKT_PKT0_S8_ifPKiSA_SA_iPKfiiiPfSD_PS3_PT2_iSC_SC_,"axG",@progbits,_Z39paged_attention_ll4mi_QKV_mfma16_kernelIDF16_DF16_LN4vllm18Fp8KVCacheDataTypeE0EDF16_Li32ELi64ELi256ELb0ELi9EL8MFMAType0EEvPKT_PKT0_S8_ifPKiSA_SA_iPKfiiiPfSD_PS3_PT2_iSC_SC_,comdat
.Lfunc_end84:
	.size	_Z39paged_attention_ll4mi_QKV_mfma16_kernelIDF16_DF16_LN4vllm18Fp8KVCacheDataTypeE0EDF16_Li32ELi64ELi256ELb0ELi9EL8MFMAType0EEvPKT_PKT0_S8_ifPKiSA_SA_iPKfiiiPfSD_PS3_PT2_iSC_SC_, .Lfunc_end84-_Z39paged_attention_ll4mi_QKV_mfma16_kernelIDF16_DF16_LN4vllm18Fp8KVCacheDataTypeE0EDF16_Li32ELi64ELi256ELb0ELi9EL8MFMAType0EEvPKT_PKT0_S8_ifPKiSA_SA_iPKfiiiPfSD_PS3_PT2_iSC_SC_
                                        ; -- End function
	.section	.AMDGPU.csdata,"",@progbits
; Kernel info:
; codeLenInByte = 4100
; NumSgprs: 52
; NumVgprs: 66
; NumAgprs: 0
; TotalNumVgprs: 66
; ScratchSize: 0
; MemoryBound: 0
; FloatMode: 240
; IeeeMode: 1
; LDSByteSize: 8192 bytes/workgroup (compile time only)
; SGPRBlocks: 6
; VGPRBlocks: 8
; NumSGPRsForWavesPerEU: 52
; NumVGPRsForWavesPerEU: 66
; AccumOffset: 68
; Occupancy: 7
; WaveLimiterHint : 1
; COMPUTE_PGM_RSRC2:SCRATCH_EN: 0
; COMPUTE_PGM_RSRC2:USER_SGPR: 6
; COMPUTE_PGM_RSRC2:TRAP_HANDLER: 0
; COMPUTE_PGM_RSRC2:TGID_X_EN: 1
; COMPUTE_PGM_RSRC2:TGID_Y_EN: 1
; COMPUTE_PGM_RSRC2:TGID_Z_EN: 1
; COMPUTE_PGM_RSRC2:TIDIG_COMP_CNT: 0
; COMPUTE_PGM_RSRC3_GFX90A:ACCUM_OFFSET: 16
; COMPUTE_PGM_RSRC3_GFX90A:TG_SPLIT: 0
	.section	.text._Z39paged_attention_ll4mi_QKV_mfma16_kernelIDF16_DF16_LN4vllm18Fp8KVCacheDataTypeE0EDF16_Li32ELi64ELi256ELb0ELi10EL8MFMAType0EEvPKT_PKT0_S8_ifPKiSA_SA_iPKfiiiPfSD_PS3_PT2_iSC_SC_,"axG",@progbits,_Z39paged_attention_ll4mi_QKV_mfma16_kernelIDF16_DF16_LN4vllm18Fp8KVCacheDataTypeE0EDF16_Li32ELi64ELi256ELb0ELi10EL8MFMAType0EEvPKT_PKT0_S8_ifPKiSA_SA_iPKfiiiPfSD_PS3_PT2_iSC_SC_,comdat
	.protected	_Z39paged_attention_ll4mi_QKV_mfma16_kernelIDF16_DF16_LN4vllm18Fp8KVCacheDataTypeE0EDF16_Li32ELi64ELi256ELb0ELi10EL8MFMAType0EEvPKT_PKT0_S8_ifPKiSA_SA_iPKfiiiPfSD_PS3_PT2_iSC_SC_ ; -- Begin function _Z39paged_attention_ll4mi_QKV_mfma16_kernelIDF16_DF16_LN4vllm18Fp8KVCacheDataTypeE0EDF16_Li32ELi64ELi256ELb0ELi10EL8MFMAType0EEvPKT_PKT0_S8_ifPKiSA_SA_iPKfiiiPfSD_PS3_PT2_iSC_SC_
	.globl	_Z39paged_attention_ll4mi_QKV_mfma16_kernelIDF16_DF16_LN4vllm18Fp8KVCacheDataTypeE0EDF16_Li32ELi64ELi256ELb0ELi10EL8MFMAType0EEvPKT_PKT0_S8_ifPKiSA_SA_iPKfiiiPfSD_PS3_PT2_iSC_SC_
	.p2align	8
	.type	_Z39paged_attention_ll4mi_QKV_mfma16_kernelIDF16_DF16_LN4vllm18Fp8KVCacheDataTypeE0EDF16_Li32ELi64ELi256ELb0ELi10EL8MFMAType0EEvPKT_PKT0_S8_ifPKiSA_SA_iPKfiiiPfSD_PS3_PT2_iSC_SC_,@function
_Z39paged_attention_ll4mi_QKV_mfma16_kernelIDF16_DF16_LN4vllm18Fp8KVCacheDataTypeE0EDF16_Li32ELi64ELi256ELb0ELi10EL8MFMAType0EEvPKT_PKT0_S8_ifPKiSA_SA_iPKfiiiPfSD_PS3_PT2_iSC_SC_: ; @_Z39paged_attention_ll4mi_QKV_mfma16_kernelIDF16_DF16_LN4vllm18Fp8KVCacheDataTypeE0EDF16_Li32ELi64ELi256ELb0ELi10EL8MFMAType0EEvPKT_PKT0_S8_ifPKiSA_SA_iPKfiiiPfSD_PS3_PT2_iSC_SC_
; %bb.0:
	s_load_dwordx2 s[0:1], s[4:5], 0x30
	s_mov_b32 s28, s7
	s_mov_b64 s[10:11], 0
	s_waitcnt lgkmcnt(0)
	s_cmp_lg_u64 s[0:1], 0
	s_cselect_b64 s[2:3], -1, 0
	s_and_b64 vcc, exec, s[2:3]
	s_cbranch_vccz .LBB85_7
; %bb.1:
	s_add_i32 s12, s6, 1
	s_mov_b32 s13, 0
	s_lshl_b64 s[14:15], s[12:13], 2
	s_add_u32 s14, s0, s14
	s_mov_b32 s7, s13
	s_addc_u32 s15, s1, s15
	s_lshl_b64 s[12:13], s[6:7], 2
	s_add_u32 s12, s0, s12
	s_addc_u32 s13, s1, s13
	s_load_dword s9, s[14:15], 0x0
	s_load_dword s16, s[12:13], 0x0
	s_waitcnt lgkmcnt(0)
	s_sub_i32 s9, s9, s16
	s_cmp_eq_u32 s9, 1
	s_cselect_b64 s[12:13], -1, 0
	s_andn2_b64 vcc, exec, s[10:11]
	s_cbranch_vccnz .LBB85_3
.LBB85_2:
	s_mov_b32 s7, 0
	s_mov_b64 s[12:13], -1
.LBB85_3:
	s_andn2_b64 vcc, exec, s[12:13]
	s_cbranch_vccnz .LBB85_20
; %bb.4:
	s_load_dwordx2 s[12:13], s[4:5], 0x28
	s_lshl_b64 s[10:11], s[6:7], 2
	s_waitcnt lgkmcnt(0)
	s_add_u32 s12, s12, s10
	s_addc_u32 s13, s13, s11
	s_load_dword s33, s[12:13], 0x0
	s_lshl_b32 s16, s28, 8
	s_waitcnt lgkmcnt(0)
	s_cmp_ge_i32 s16, s33
	s_cbranch_scc1 .LBB85_20
; %bb.5:
	s_add_i32 s14, s33, 31
	s_load_dwordx2 s[12:13], s[4:5], 0x20
	s_load_dword s9, s[4:5], 0x38
	s_ashr_i32 s15, s14, 31
	v_and_b32_e32 v1, 0xcf, v0
	s_lshr_b32 s15, s15, 27
	v_add_u32_e32 v1, s16, v1
	s_add_i32 s14, s14, s15
	v_ashrrev_i32_e32 v2, 31, v1
	s_ashr_i32 s19, s14, 5
	v_lshrrev_b32_e32 v6, 27, v2
	s_add_i32 s19, s19, -1
	v_add_u32_e32 v2, v1, v6
	s_waitcnt lgkmcnt(0)
	s_mul_i32 s14, s6, s9
	s_mov_b32 s15, 0
	v_ashrrev_i32_e32 v2, 5, v2
	v_mov_b32_e32 v7, s19
	v_cmp_gt_i32_e32 vcc, s33, v1
	s_lshl_b64 s[14:15], s[14:15], 2
	v_cndmask_b32_e32 v2, v7, v2, vcc
	s_add_u32 s17, s12, s14
	v_ashrrev_i32_e32 v3, 31, v2
	s_addc_u32 s18, s13, s15
	v_lshlrev_b64 v[2:3], 2, v[2:3]
	v_mov_b32_e32 v4, s18
	v_add_co_u32_e32 v2, vcc, s17, v2
	v_addc_co_u32_e32 v3, vcc, v4, v3, vcc
	v_or_b32_e32 v4, 16, v1
	v_add_u32_e32 v5, v4, v6
	v_ashrrev_i32_e32 v5, 5, v5
	v_cmp_gt_i32_e32 vcc, s33, v4
	v_cndmask_b32_e32 v4, v7, v5, vcc
	v_ashrrev_i32_e32 v5, 31, v4
	v_lshlrev_b64 v[4:5], 2, v[4:5]
	v_mov_b32_e32 v9, s18
	v_add_co_u32_e32 v8, vcc, s17, v4
	v_or_b32_e32 v4, 32, v1
	v_addc_co_u32_e32 v9, vcc, v9, v5, vcc
	v_add_u32_e32 v5, v4, v6
	v_ashrrev_i32_e32 v5, 5, v5
	v_cmp_gt_i32_e32 vcc, s33, v4
	v_cndmask_b32_e32 v4, v7, v5, vcc
	v_ashrrev_i32_e32 v5, 31, v4
	v_lshlrev_b64 v[4:5], 2, v[4:5]
	v_mov_b32_e32 v11, s18
	v_add_co_u32_e32 v10, vcc, s17, v4
	v_or_b32_e32 v1, 48, v1
	v_addc_co_u32_e32 v11, vcc, v11, v5, vcc
	v_add_u32_e32 v4, v1, v6
	v_ashrrev_i32_e32 v4, 5, v4
	v_cmp_gt_i32_e32 vcc, s33, v1
	v_cndmask_b32_e32 v4, v7, v4, vcc
	v_ashrrev_i32_e32 v5, 31, v4
	v_lshlrev_b64 v[4:5], 2, v[4:5]
	v_mov_b32_e32 v1, s18
	v_add_co_u32_e32 v12, vcc, s17, v4
	v_addc_co_u32_e32 v13, vcc, v1, v5, vcc
	global_load_dword v4, v[2:3], off
	global_load_dword v6, v[8:9], off
	;; [unrolled: 1-line block ×4, first 2 shown]
	s_andn2_b64 vcc, exec, s[2:3]
	s_cbranch_vccnz .LBB85_8
; %bb.6:
	s_add_u32 s0, s0, s10
	s_addc_u32 s1, s1, s11
	s_load_dword s9, s[0:1], 0x0
	s_branch .LBB85_9
.LBB85_7:
	s_mov_b64 s[12:13], 0
	s_branch .LBB85_2
.LBB85_8:
	s_mov_b32 s9, s6
.LBB85_9:
	s_load_dwordx4 s[12:15], s[4:5], 0x8
	s_load_dwordx4 s[44:47], s[4:5], 0x48
	v_lshrrev_b32_e32 v53, 6, v0
	v_bfe_u32 v1, v0, 4, 2
	v_lshl_or_b32 v5, v53, 2, v1
	v_and_b32_e32 v52, 15, v0
	v_cmp_lt_u32_e32 vcc, 9, v5
	v_cmp_lt_u32_e64 s[2:3], 7, v52
	v_lshlrev_b32_e32 v2, 3, v52
	v_cmp_gt_u32_e64 s[0:1], 8, v52
	s_or_b64 s[2:3], s[2:3], vcc
	s_and_saveexec_b64 s[10:11], s[2:3]
	s_xor_b64 s[2:3], exec, s[10:11]
; %bb.10:
	v_mov_b32_e32 v3, 0
                                        ; implicit-def: $vgpr5
; %bb.11:
	s_or_saveexec_b64 s[2:3], s[2:3]
	v_and_b32_e32 v54, 63, v0
	s_mul_i32 s29, s8, 10
	s_xor_b64 exec, exec, s[2:3]
	s_cbranch_execz .LBB85_13
; %bb.12:
	s_load_dwordx2 s[10:11], s[4:5], 0x0
	s_waitcnt lgkmcnt(0)
	s_ashr_i32 s20, s44, 31
	s_mul_hi_u32 s21, s9, s44
	s_mul_i32 s20, s9, s20
	s_add_i32 s21, s21, s20
	s_mul_i32 s20, s9, s44
	s_lshl_b64 s[20:21], s[20:21], 1
	v_add_lshl_u32 v8, v5, s29, 6
	s_add_u32 s9, s10, s20
	v_ashrrev_i32_e32 v9, 31, v8
	s_addc_u32 s10, s11, s21
	v_lshlrev_b64 v[8:9], 1, v[8:9]
	v_mov_b32_e32 v3, s10
	v_add_co_u32_e32 v7, vcc, s9, v8
	v_addc_co_u32_e32 v3, vcc, v3, v9, vcc
	v_lshlrev_b32_e32 v8, 1, v2
	v_add_co_u32_e32 v8, vcc, v7, v8
	v_addc_co_u32_e32 v9, vcc, 0, v3, vcc
	global_load_dwordx4 v[8:11], v[8:9], off
	v_and_b32_e32 v7, 3, v0
	v_lshlrev_b32_e32 v12, 9, v52
	v_lshlrev_b32_e32 v5, 5, v5
	;; [unrolled: 1-line block ×3, first 2 shown]
	v_and_b32_e32 v12, 0x1800, v12
	v_mov_b32_e32 v3, 0
	v_or3_b32 v5, v12, v7, v5
	s_waitcnt vmcnt(0)
	ds_write_b128 v5, v[8:11]
.LBB85_13:
	s_or_b64 exec, exec, s[2:3]
	s_waitcnt lgkmcnt(0)
	s_mul_i32 s8, s8, s46
	s_mov_b32 s9, 0
	s_lshl_b64 s[8:9], s[8:9], 1
	s_add_u32 s3, s12, s8
	s_waitcnt vmcnt(3)
	v_mad_i64_i32 v[4:5], s[10:11], v4, s45, 0
	s_addc_u32 s12, s13, s9
	v_lshlrev_b64 v[4:5], 1, v[4:5]
	v_mov_b32_e32 v7, s12
	v_add_co_u32_e32 v4, vcc, s3, v4
	v_addc_co_u32_e32 v5, vcc, v7, v5, vcc
	v_lshlrev_b64 v[34:35], 1, v[2:3]
	v_add_co_u32_e32 v2, vcc, v4, v34
	v_lshlrev_b32_e32 v28, 9, v1
	v_addc_co_u32_e32 v3, vcc, v5, v35, vcc
	v_add_co_u32_e32 v20, vcc, v2, v28
	v_addc_co_u32_e32 v21, vcc, 0, v3, vcc
	s_load_dword s42, s[4:5], 0x98
	s_load_dword s2, s[4:5], 0x1c
	s_waitcnt lgkmcnt(0)
	s_barrier
	global_load_dwordx4 v[2:5], v[20:21], off
	s_waitcnt vmcnt(3)
	v_mad_i64_i32 v[6:7], s[10:11], v6, s45, 0
	v_lshlrev_b64 v[6:7], 1, v[6:7]
	v_mov_b32_e32 v8, s12
	v_add_co_u32_e32 v6, vcc, s3, v6
	v_addc_co_u32_e32 v7, vcc, v8, v7, vcc
	v_mov_b32_e32 v8, 0x100
	v_lshl_or_b32 v29, v52, 4, v8
	v_add_co_u32_e32 v6, vcc, v6, v29
	v_addc_co_u32_e32 v7, vcc, 0, v7, vcc
	v_add_co_u32_e32 v22, vcc, v6, v28
	v_addc_co_u32_e32 v23, vcc, 0, v7, vcc
	global_load_dwordx4 v[10:13], v[22:23], off
	global_load_dwordx4 v[14:17], v[20:21], off offset:2048
	global_load_dwordx4 v[6:9], v[22:23], off offset:2048
	v_add_u32_e32 v22, -10, v52
	v_cmp_gt_u32_e32 vcc, 10, v52
	s_waitcnt vmcnt(5)
	v_mad_i64_i32 v[20:21], s[10:11], v19, s45, 0
	s_waitcnt vmcnt(4)
	v_mad_i64_i32 v[18:19], s[10:11], v18, s45, 0
	v_cndmask_b32_e32 v22, v22, v52, vcc
	v_lshlrev_b64 v[26:27], 1, v[18:19]
	v_lshl_add_u32 v18, v22, 5, v28
	v_lshlrev_b64 v[32:33], 1, v[20:21]
	ds_read_b128 v[22:25], v18
	ds_read_b128 v[18:21], v18 offset:2048
	v_mov_b32_e32 v36, s12
	v_add_co_u32_e32 v32, vcc, s3, v32
	v_addc_co_u32_e32 v33, vcc, v36, v33, vcc
	v_mov_b32_e32 v50, s12
	v_and_or_b32 v31, v0, 48, s16
	s_ashr_i32 s10, s16, 31
	v_or_b32_e32 v49, 64, v31
	s_lshr_b32 s10, s10, 27
	v_mov_b32_e32 v30, s19
	v_mov_b32_e32 v48, s18
	s_mov_b32 s43, 0xff7fffff
	s_waitcnt vmcnt(3) lgkmcnt(1)
	v_mfma_f32_16x16x16f16 v[36:39], v[2:3], v[22:23], 0
	v_add_co_u32_e32 v2, vcc, v32, v34
	v_addc_co_u32_e32 v3, vcc, v33, v35, vcc
	v_add_co_u32_e32 v32, vcc, v2, v28
	v_addc_co_u32_e32 v33, vcc, 0, v3, vcc
	global_load_dwordx4 v[44:47], v[32:33], off
	v_mfma_f32_16x16x16f16 v[2:5], v[4:5], v[24:25], v[36:39]
	s_waitcnt vmcnt(3)
	v_mfma_f32_16x16x16f16 v[40:43], v[10:11], v[22:23], 0
	v_add_co_u32_e32 v10, vcc, s3, v26
	v_addc_co_u32_e32 v11, vcc, v50, v27, vcc
	v_add_co_u32_e32 v10, vcc, v10, v29
	v_add_u32_e32 v26, s10, v31
	v_add_u32_e32 v27, s10, v49
	v_addc_co_u32_e32 v11, vcc, 0, v11, vcc
	v_ashrrev_i32_e32 v36, 5, v26
	v_ashrrev_i32_e32 v50, 5, v27
	v_add_co_u32_e32 v10, vcc, v10, v28
	global_load_dwordx4 v[26:29], v[32:33], off offset:2048
	s_waitcnt vmcnt(3) lgkmcnt(0)
	v_mfma_f32_16x16x16f16 v[2:5], v[14:15], v[18:19], v[2:5]
	v_addc_co_u32_e32 v11, vcc, 0, v11, vcc
	v_cmp_gt_i32_e32 vcc, s33, v31
	v_cndmask_b32_e32 v14, v30, v36, vcc
	v_ashrrev_i32_e32 v15, 31, v14
	global_load_dwordx4 v[36:39], v[10:11], off
	global_load_dwordx4 v[56:59], v[10:11], off offset:2048
	v_lshlrev_b64 v[10:11], 2, v[14:15]
	v_mfma_f32_16x16x16f16 v[60:63], v[16:17], v[20:21], v[2:5]
	v_mov_b32_e32 v15, s18
	s_add_u32 s3, s14, s8
	s_addc_u32 s8, s15, s9
	s_nop 3
	v_add_co_u32_e32 v2, vcc, s17, v10
	v_addc_co_u32_e32 v3, vcc, v48, v11, vcc
	global_load_dword v14, v[2:3], off
	v_cmp_gt_i32_e32 vcc, s33, v49
	v_cndmask_b32_e32 v2, v30, v50, vcc
	v_ashrrev_i32_e32 v3, 31, v2
	v_lshlrev_b64 v[10:11], 2, v[2:3]
	v_mfma_f32_16x16x16f16 v[2:5], v[12:13], v[24:25], v[40:43]
	v_add_co_u32_e32 v10, vcc, s17, v10
	v_addc_co_u32_e32 v11, vcc, v15, v11, vcc
	global_load_dword v32, v[10:11], off
	v_or_b32_e32 v10, 0x80, v31
	v_add_u32_e32 v11, s10, v10
	v_ashrrev_i32_e32 v11, 5, v11
	v_cmp_gt_i32_e32 vcc, s33, v10
	s_waitcnt vmcnt(6)
	v_mfma_f32_16x16x16f16 v[2:5], v[6:7], v[18:19], v[2:5]
	v_cndmask_b32_e32 v10, v30, v11, vcc
	v_ashrrev_i32_e32 v11, 31, v10
	v_lshlrev_b64 v[6:7], 2, v[10:11]
	v_mov_b32_e32 v10, s18
	v_add_co_u32_e32 v6, vcc, s17, v6
	v_addc_co_u32_e32 v7, vcc, v10, v7, vcc
	global_load_dword v33, v[6:7], off
	v_mfma_f32_16x16x16f16 v[40:43], v[8:9], v[20:21], v[2:5]
	v_or_b32_e32 v6, 0xc0, v31
	v_add_u32_e32 v7, s10, v6
	v_ashrrev_i32_e32 v7, 5, v7
	v_cmp_gt_i32_e32 vcc, s33, v6
	v_cndmask_b32_e32 v6, v30, v7, vcc
	v_ashrrev_i32_e32 v7, 31, v6
	v_lshlrev_b64 v[6:7], 2, v[6:7]
	s_waitcnt vmcnt(6)
	v_mfma_f32_16x16x16f16 v[2:5], v[44:45], v[22:23], 0
	v_mov_b32_e32 v8, s18
	v_add_co_u32_e32 v6, vcc, s17, v6
	v_addc_co_u32_e32 v7, vcc, v8, v7, vcc
	global_load_dword v55, v[6:7], off
	v_and_b32_e32 v6, 16, v0
	v_mfma_f32_16x16x16f16 v[2:5], v[46:47], v[24:25], v[2:5]
	v_lshlrev_b32_e32 v6, 1, v6
	v_mov_b32_e32 v7, s8
	v_add_co_u32_e32 v6, vcc, s3, v6
	v_lshlrev_b32_e32 v8, 6, v52
	v_addc_co_u32_e32 v7, vcc, 0, v7, vcc
	s_waitcnt vmcnt(6)
	v_mfma_f32_16x16x16f16 v[2:5], v[26:27], v[18:19], v[2:5]
	v_lshl_or_b32 v8, v53, 10, v8
	v_add_co_u32_e32 v64, vcc, v6, v8
	v_addc_co_u32_e32 v65, vcc, 0, v7, vcc
	v_pk_mul_f32 v[50:51], s[2:3], v[42:43] op_sel_hi:[0,1]
	v_pk_mul_f32 v[48:49], s[2:3], v[62:63] op_sel_hi:[0,1]
	v_mfma_f32_16x16x16f16 v[26:29], v[28:29], v[20:21], v[2:5]
	v_pk_mul_f32 v[40:41], s[2:3], v[40:41] op_sel_hi:[0,1]
	s_waitcnt vmcnt(1)
	v_mad_i64_i32 v[30:31], s[8:9], v33, s45, 0
	s_nop 3
	v_mad_i64_i32 v[2:3], s[8:9], v14, s45, 0
	v_lshlrev_b64 v[6:7], 1, v[2:3]
	v_mfma_f32_16x16x16f16 v[2:5], v[36:37], v[22:23], 0
	s_nop 0
	v_pk_mul_f32 v[44:45], s[2:3], v[26:27] op_sel_hi:[0,1]
	v_add_co_u32_e32 v6, vcc, v64, v6
	v_addc_co_u32_e32 v7, vcc, v65, v7, vcc
	global_load_dwordx4 v[14:17], v[6:7], off
	global_load_dwordx4 v[10:13], v[6:7], off offset:16
	v_mad_i64_i32 v[6:7], s[8:9], v32, s45, 0
	v_mfma_f32_16x16x16f16 v[22:25], v[38:39], v[24:25], v[2:5]
	v_pk_mul_f32 v[46:47], s[2:3], v[28:29] op_sel_hi:[0,1]
	v_lshlrev_b64 v[6:7], 1, v[6:7]
	v_lshlrev_b64 v[30:31], 1, v[30:31]
	v_mfma_f32_16x16x16f16 v[22:25], v[56:57], v[18:19], v[22:25]
	v_pk_mul_f32 v[18:19], s[2:3], v[60:61] op_sel_hi:[0,1]
	s_nop 1
	v_add_co_u32_e32 v2, vcc, v64, v6
	v_addc_co_u32_e32 v3, vcc, v65, v7, vcc
	v_add_co_u32_e32 v38, vcc, v64, v30
	v_mfma_f32_16x16x16f16 v[20:23], v[58:59], v[20:21], v[22:25]
	v_addc_co_u32_e32 v39, vcc, v65, v31, vcc
	global_load_dwordx4 v[6:9], v[2:3], off
	s_nop 0
	global_load_dwordx4 v[2:5], v[2:3], off offset:16
	s_nop 6
	v_pk_mul_f32 v[42:43], s[2:3], v[20:21] op_sel_hi:[0,1]
	v_and_b32_e32 v20, 0xc0, v0
	v_add_u32_e32 v20, s16, v20
	v_lshl_or_b32 v20, v1, 2, v20
	v_pk_mul_f32 v[36:37], s[2:3], v[22:23] op_sel_hi:[0,1]
	v_or_b32_e32 v23, 1, v20
	v_mov_b32_e32 v21, 0xff7fffff
	v_cmp_gt_i32_e64 s[30:31], s33, v20
	v_cmp_gt_i32_e64 s[34:35], s33, v23
	v_cndmask_b32_e64 v22, v21, v18, s[30:31]
	v_cndmask_b32_e64 v23, v21, v19, s[34:35]
	v_max3_f32 v22, v22, s43, v23
	v_or_b32_e32 v23, 2, v20
	v_or_b32_e32 v24, 3, v20
	v_cmp_gt_i32_e64 s[36:37], s33, v23
	v_cmp_gt_i32_e64 s[38:39], s33, v24
	v_cndmask_b32_e64 v23, v21, v48, s[36:37]
	v_cndmask_b32_e64 v24, v21, v49, s[38:39]
	v_max3_f32 v22, v22, v23, v24
	v_or_b32_e32 v23, 16, v20
	v_or_b32_e32 v24, 17, v20
	;; [unrolled: 7-line block ×7, first 2 shown]
	v_cmp_gt_i32_e32 vcc, s33, v23
	v_cmp_gt_i32_e64 s[2:3], s33, v20
	v_cndmask_b32_e32 v23, v21, v36, vcc
	v_cndmask_b32_e64 v20, v21, v37, s[2:3]
	v_max3_f32 v26, v22, v23, v20
	v_mbcnt_lo_u32_b32 v20, -1, 0
	v_mbcnt_hi_u32_b32 v27, -1, v20
	v_and_b32_e32 v20, 64, v27
	v_add_u32_e32 v28, 64, v20
	v_xor_b32_e32 v20, 32, v27
	v_cmp_lt_i32_e64 s[40:41], v20, v28
	v_cndmask_b32_e64 v20, v27, v20, s[40:41]
	v_lshlrev_b32_e32 v56, 2, v20
	ds_bpermute_b32 v29, v56, v26
	s_waitcnt vmcnt(4)
	v_mad_i64_i32 v[20:21], s[40:41], v55, s45, 0
	v_lshlrev_b64 v[20:21], 1, v[20:21]
	global_load_dwordx4 v[30:33], v[38:39], off
	global_load_dwordx4 v[22:25], v[38:39], off offset:16
	s_waitcnt lgkmcnt(0)
	v_max_f32_e32 v29, v29, v29
	v_max_f32_e32 v26, v26, v29
	v_xor_b32_e32 v29, 16, v27
	v_cmp_lt_i32_e64 s[40:41], v29, v28
	v_cndmask_b32_e64 v27, v27, v29, s[40:41]
	v_lshlrev_b32_e32 v58, 2, v27
	ds_bpermute_b32 v27, v58, v26
	v_add_co_u32_e64 v20, s[40:41], v64, v20
	v_addc_co_u32_e64 v21, s[40:41], v65, v21, s[40:41]
	s_waitcnt lgkmcnt(0)
	v_max_f32_e32 v27, v27, v27
	v_max_f32_e32 v55, v26, v27
	v_sub_f32_e32 v18, v18, v55
	v_mul_f32_e32 v18, 0x3fb8aa3b, v18
	v_exp_f32_e32 v38, v18
	v_sub_f32_e32 v18, v19, v55
	v_mul_f32_e32 v18, 0x3fb8aa3b, v18
	v_exp_f32_e32 v39, v18
	global_load_dwordx4 v[26:29], v[20:21], off
	s_nop 0
	global_load_dwordx4 v[18:21], v[20:21], off offset:16
	v_sub_f32_e32 v48, v48, v55
	v_mul_f32_e32 v48, 0x3fb8aa3b, v48
	v_sub_f32_e32 v49, v49, v55
	v_exp_f32_e32 v48, v48
	v_mul_f32_e32 v49, 0x3fb8aa3b, v49
	v_sub_f32_e32 v40, v40, v55
	v_exp_f32_e32 v49, v49
	v_mul_f32_e32 v40, 0x3fb8aa3b, v40
	v_sub_f32_e32 v41, v41, v55
	v_cndmask_b32_e64 v38, 0, v38, s[30:31]
	v_exp_f32_e32 v40, v40
	v_mul_f32_e32 v41, 0x3fb8aa3b, v41
	v_sub_f32_e32 v50, v50, v55
	v_add_f32_e32 v57, 0, v38
	v_cndmask_b32_e64 v39, 0, v39, s[34:35]
	v_exp_f32_e32 v41, v41
	v_mul_f32_e32 v50, 0x3fb8aa3b, v50
	v_sub_f32_e32 v51, v51, v55
	v_add_f32_e32 v57, v57, v39
	;; [unrolled: 5-line block ×10, first 2 shown]
	v_cndmask_b32_e64 v46, 0, v46, s[12:13]
	v_exp_f32_e32 v36, v36
	v_mul_f32_e32 v37, 0x3fb8aa3b, v37
	v_add_f32_e32 v57, v57, v46
	v_cndmask_b32_e64 v47, 0, v47, s[14:15]
	v_exp_f32_e32 v37, v37
	v_add_f32_e32 v57, v57, v47
	v_cndmask_b32_e64 v42, 0, v42, s[8:9]
	v_add_f32_e32 v57, v57, v42
	v_cndmask_b32_e64 v43, 0, v43, s[10:11]
	v_add_f32_e32 v57, v57, v43
	v_cndmask_b32_e32 v36, 0, v36, vcc
	v_add_f32_e32 v57, v57, v36
	v_cndmask_b32_e64 v37, 0, v37, s[2:3]
	v_add_f32_e32 v57, v57, v37
	ds_bpermute_b32 v56, v56, v57
	v_cmp_gt_u32_e32 vcc, 16, v54
	s_waitcnt lgkmcnt(0)
	s_barrier
	v_add_f32_e32 v57, v57, v56
	ds_bpermute_b32 v58, v58, v57
	v_lshlrev_b32_e32 v56, 2, v52
	s_and_saveexec_b64 s[2:3], vcc
	s_cbranch_execz .LBB85_15
; %bb.14:
	s_waitcnt lgkmcnt(0)
	v_add_f32_e32 v54, v57, v58
	v_lshl_or_b32 v57, v53, 6, v56
	ds_write2st64_b32 v57, v55, v54 offset1:1
.LBB85_15:
	s_or_b64 exec, exec, s[2:3]
	s_load_dword s8, s[4:5], 0x94
	s_waitcnt lgkmcnt(0)
	s_barrier
	ds_read2_b32 v[58:59], v56 offset1:16
	ds_read2_b32 v[60:61], v56 offset0:32 offset1:48
	ds_read2_b32 v[62:63], v56 offset0:64 offset1:80
	;; [unrolled: 1-line block ×3, first 2 shown]
	s_waitcnt lgkmcnt(0)
	v_max3_f32 v54, v58, s43, v59
	v_max3_f32 v54, v54, v60, v61
	v_sub_f32_e32 v55, v58, v54
	v_mul_f32_e32 v55, 0x3fb8aa3b, v55
	v_exp_f32_e32 v58, v55
	v_sub_f32_e32 v55, v59, v54
	v_mul_f32_e32 v55, 0x3fb8aa3b, v55
	v_exp_f32_e32 v59, v55
	v_sub_f32_e32 v55, v60, v54
	v_mul_f32_e32 v55, 0x3fb8aa3b, v55
	v_exp_f32_e32 v60, v55
	v_sub_f32_e32 v55, v61, v54
	v_mul_f32_e32 v55, 0x3fb8aa3b, v55
	v_exp_f32_e32 v61, v55
	v_fma_f32 v55, v58, v62, 0
	v_fmac_f32_e32 v55, v59, v63
	v_fmac_f32_e32 v55, v60, v56
	;; [unrolled: 1-line block ×3, first 2 shown]
	v_add_f32_e32 v56, 0x358637bd, v55
	v_div_scale_f32 v57, s[2:3], v56, v56, 1.0
	v_rcp_f32_e32 v62, v57
	s_barrier
	s_mul_i32 s9, s42, 10
	v_fma_f32 v63, -v57, v62, 1.0
	v_fmac_f32_e32 v62, v63, v62
	v_div_scale_f32 v63, vcc, 1.0, v56, 1.0
	v_mul_f32_e32 v64, v63, v62
	v_fma_f32 v65, -v57, v64, v63
	v_fmac_f32_e32 v64, v65, v62
	v_fma_f32 v57, -v57, v64, v63
	v_div_fmas_f32 v57, v57, v62, v64
	v_cmp_eq_u32_e32 vcc, 1, v53
	v_div_fixup_f32 v56, v57, v56, 1.0
	v_cndmask_b32_e32 v57, v58, v59, vcc
	v_cmp_eq_u32_e32 vcc, 2, v53
	v_cndmask_b32_e32 v57, v57, v60, vcc
	v_cmp_eq_u32_e32 vcc, 3, v53
	v_cndmask_b32_e32 v57, v57, v61, vcc
	v_mul_f32_e32 v56, v57, v56
	v_pk_mul_f32 v[48:49], v[56:57], v[48:49] op_sel_hi:[0,1]
	v_pk_mul_f32 v[38:39], v[56:57], v[38:39] op_sel_hi:[0,1]
	v_cvt_f16_f32_e32 v57, v48
	v_cvt_f16_f32_e32 v38, v38
	;; [unrolled: 1-line block ×4, first 2 shown]
	v_pk_mul_f32 v[50:51], v[56:57], v[50:51] op_sel_hi:[0,1]
	v_pk_mul_f32 v[40:41], v[56:57], v[40:41] op_sel_hi:[0,1]
	v_cvt_f16_f32_e32 v40, v40
	v_cvt_f16_f32_e32 v41, v41
	;; [unrolled: 1-line block ×4, first 2 shown]
	v_pack_b32_f16 v48, v38, v39
	v_lshlrev_b32_e32 v38, 3, v1
	v_lshlrev_b32_e32 v39, 5, v52
	;; [unrolled: 1-line block ×3, first 2 shown]
	v_pack_b32_f16 v49, v57, v49
	v_or3_b32 v38, v53, v39, v38
	v_pack_b32_f16 v40, v40, v41
	v_pack_b32_f16 v41, v50, v51
	ds_write2st64_b64 v38, v[48:49], v[40:41] offset1:1
	v_pk_mul_f32 v[40:41], v[56:57], v[46:47] op_sel_hi:[0,1]
	v_pk_mul_f32 v[44:45], v[56:57], v[44:45] op_sel_hi:[0,1]
	v_cvt_f16_f32_e32 v46, v40
	v_cvt_f16_f32_e32 v47, v41
	v_pk_mul_f32 v[36:37], v[56:57], v[36:37] op_sel_hi:[0,1]
	v_pk_mul_f32 v[40:41], v[56:57], v[42:43] op_sel_hi:[0,1]
	v_cvt_f16_f32_e32 v44, v44
	v_cvt_f16_f32_e32 v45, v45
	;; [unrolled: 1-line block ×6, first 2 shown]
	v_pack_b32_f16 v36, v44, v45
	v_pack_b32_f16 v37, v46, v47
	;; [unrolled: 1-line block ×4, first 2 shown]
	v_cmp_gt_u32_e32 vcc, 10, v0
	ds_write2st64_b64 v38, v[36:37], v[40:41] offset0:2 offset1:3
	s_and_saveexec_b64 s[2:3], vcc
	s_cbranch_execz .LBB85_17
; %bb.16:
	v_add_co_u32_e32 v40, vcc, s29, v52
	v_addc_co_u32_e64 v41, s[10:11], 0, 0, vcc
	v_mov_b32_e32 v36, s9
	v_mov_b32_e32 v37, 0
	v_mad_u64_u32 v[40:41], s[10:11], s6, v36, v[40:41]
	v_mov_b32_e32 v36, s28
	s_load_dwordx4 s[12:15], s[4:5], 0x58
	s_mul_i32 s7, s7, s9
	v_mad_u64_u32 v[36:37], s[10:11], v40, s8, v[36:37]
	v_add_u32_e32 v41, s7, v41
	v_mov_b32_e32 v40, v37
	v_mad_u64_u32 v[40:41], s[10:11], v41, s8, v[40:41]
	v_mov_b32_e32 v37, v40
	v_lshlrev_b64 v[36:37], 2, v[36:37]
	s_waitcnt lgkmcnt(0)
	v_mov_b32_e32 v41, s15
	v_add_co_u32_e32 v40, vcc, s14, v36
	v_addc_co_u32_e32 v41, vcc, v41, v37, vcc
	global_store_dword v[40:41], v54, off
	v_mov_b32_e32 v40, s13
	v_add_co_u32_e32 v36, vcc, s12, v36
	v_addc_co_u32_e32 v37, vcc, v40, v37, vcc
	global_store_dword v[36:37], v55, off
.LBB85_17:
	s_or_b64 exec, exec, s[2:3]
	v_lshl_or_b32 v36, v1, 9, v39
	s_waitcnt lgkmcnt(0)
	s_barrier
	ds_read_b128 v[40:43], v36
	ds_read_b128 v[44:47], v36 offset:16
	s_waitcnt vmcnt(7) lgkmcnt(1)
	v_mfma_f32_16x16x16f16 v[48:51], v[14:15], v[40:41], 0
	v_cmp_gt_u32_e32 vcc, 64, v0
	s_mov_b32 s3, 0
	s_and_b64 s[0:1], vcc, s[0:1]
	v_mfma_f32_16x16x16f16 v[14:17], v[16:17], v[42:43], v[48:51]
	s_waitcnt vmcnt(6) lgkmcnt(0)
	v_mfma_f32_16x16x16f16 v[14:17], v[10:11], v[44:45], v[14:17]
	v_mfma_f32_16x16x16f16 v[10:13], v[12:13], v[46:47], v[14:17]
	s_nop 7
	s_nop 1
	ds_read_b128 v[14:17], v36 offset:2048
	ds_read_b128 v[40:43], v36 offset:2064
	s_waitcnt vmcnt(5) lgkmcnt(1)
	v_mfma_f32_16x16x16f16 v[10:13], v[6:7], v[14:15], v[10:13]
	v_mfma_f32_16x16x16f16 v[6:9], v[8:9], v[16:17], v[10:13]
	s_waitcnt vmcnt(4) lgkmcnt(0)
	v_mfma_f32_16x16x16f16 v[6:9], v[2:3], v[40:41], v[6:9]
	v_mfma_f32_16x16x16f16 v[2:5], v[4:5], v[42:43], v[6:9]
	s_nop 7
	s_nop 1
	ds_read_b128 v[6:9], v36 offset:4096
	ds_read_b128 v[10:13], v36 offset:4112
	s_waitcnt vmcnt(3) lgkmcnt(1)
	v_mfma_f32_16x16x16f16 v[2:5], v[30:31], v[6:7], v[2:5]
	v_mfma_f32_16x16x16f16 v[2:5], v[32:33], v[8:9], v[2:5]
	s_waitcnt vmcnt(2) lgkmcnt(0)
	v_mfma_f32_16x16x16f16 v[2:5], v[22:23], v[10:11], v[2:5]
	v_mfma_f32_16x16x16f16 v[2:5], v[24:25], v[12:13], v[2:5]
	ds_read_b128 v[6:9], v36 offset:6144
	ds_read_b128 v[10:13], v36 offset:6160
	s_waitcnt lgkmcnt(0)
	s_barrier
	s_waitcnt vmcnt(1)
	v_mfma_f32_16x16x16f16 v[2:5], v[26:27], v[6:7], v[2:5]
	v_mfma_f32_16x16x16f16 v[2:5], v[28:29], v[8:9], v[2:5]
	s_waitcnt vmcnt(0)
	v_mfma_f32_16x16x16f16 v[2:5], v[18:19], v[10:11], v[2:5]
	v_mfma_f32_16x16x16f16 v[2:5], v[20:21], v[12:13], v[2:5]
	s_nop 7
	s_nop 2
	v_cvt_f16_f32_e32 v2, v2
	v_cvt_f16_f32_e32 v3, v3
	v_cvt_f16_f32_e32 v4, v4
	v_cvt_f16_f32_e32 v5, v5
	v_pack_b32_f16 v2, v2, v3
	v_pack_b32_f16 v3, v4, v5
	ds_write_b64 v38, v[2:3]
	s_waitcnt lgkmcnt(0)
	s_barrier
	s_and_saveexec_b64 s[10:11], s[0:1]
	s_cbranch_execz .LBB85_20
; %bb.18:
	s_load_dwordx2 s[4:5], s[4:5], 0x68
	s_lshl_b32 s0, s8, 6
	s_mul_i32 s1, s9, s6
	s_mul_hi_u32 s7, s1, s0
	s_mul_i32 s6, s1, s0
	s_lshl_b64 s[6:7], s[6:7], 1
	s_waitcnt lgkmcnt(0)
	s_add_u32 s1, s4, s6
	v_lshlrev_b32_e32 v2, 10, v0
	v_lshlrev_b32_e32 v0, 4, v0
	s_addc_u32 s4, s5, s7
	s_lshl_b32 s2, s28, 6
	v_and_b32_e32 v2, 0x1800, v2
	v_lshlrev_b32_e32 v3, 5, v1
	v_and_b32_e32 v0, 16, v0
	s_lshl_b64 s[2:3], s[2:3], 1
	v_or3_b32 v0, v2, v3, v0
	s_add_u32 s1, s1, s2
	v_or_b32_e32 v2, 8, v1
	s_addc_u32 s2, s4, s3
	ds_read_b128 v[6:9], v0 offset:128
	ds_read_b128 v[10:13], v0
	v_add_u32_e32 v1, s29, v1
	v_mov_b32_e32 v4, s2
	v_add_co_u32_e32 v3, vcc, s1, v34
	v_mad_u64_u32 v[14:15], s[2:3], v1, s0, 0
	v_addc_co_u32_e32 v4, vcc, v4, v35, vcc
	v_lshlrev_b64 v[14:15], 1, v[14:15]
	v_add_co_u32_e32 v14, vcc, v3, v14
	v_addc_co_u32_e32 v15, vcc, v4, v15, vcc
	v_add_u32_e32 v1, 4, v1
	s_waitcnt lgkmcnt(0)
	global_store_dwordx4 v[14:15], v[10:13], off
	s_nop 0
	v_mad_u64_u32 v[10:11], s[2:3], v1, s0, 0
	v_lshlrev_b64 v[10:11], 1, v[10:11]
	v_add_co_u32_e32 v10, vcc, v3, v10
	v_addc_co_u32_e32 v11, vcc, v4, v11, vcc
	v_cmp_gt_u32_e32 vcc, 10, v2
	global_store_dwordx4 v[10:11], v[6:9], off
	s_and_b64 exec, exec, vcc
	s_cbranch_execz .LBB85_20
; %bb.19:
	ds_read_b128 v[6:9], v0 offset:256
	v_add_u32_e32 v0, s29, v2
	v_mad_u64_u32 v[0:1], s[0:1], v0, s0, 0
	v_lshlrev_b64 v[0:1], 1, v[0:1]
	v_add_co_u32_e32 v0, vcc, v3, v0
	v_addc_co_u32_e32 v1, vcc, v4, v1, vcc
	s_waitcnt lgkmcnt(0)
	global_store_dwordx4 v[0:1], v[6:9], off
.LBB85_20:
	s_endpgm
	.section	.rodata,"a",@progbits
	.p2align	6, 0x0
	.amdhsa_kernel _Z39paged_attention_ll4mi_QKV_mfma16_kernelIDF16_DF16_LN4vllm18Fp8KVCacheDataTypeE0EDF16_Li32ELi64ELi256ELb0ELi10EL8MFMAType0EEvPKT_PKT0_S8_ifPKiSA_SA_iPKfiiiPfSD_PS3_PT2_iSC_SC_
		.amdhsa_group_segment_fixed_size 8192
		.amdhsa_private_segment_fixed_size 0
		.amdhsa_kernarg_size 400
		.amdhsa_user_sgpr_count 6
		.amdhsa_user_sgpr_private_segment_buffer 1
		.amdhsa_user_sgpr_dispatch_ptr 0
		.amdhsa_user_sgpr_queue_ptr 0
		.amdhsa_user_sgpr_kernarg_segment_ptr 1
		.amdhsa_user_sgpr_dispatch_id 0
		.amdhsa_user_sgpr_flat_scratch_init 0
		.amdhsa_user_sgpr_kernarg_preload_length 0
		.amdhsa_user_sgpr_kernarg_preload_offset 0
		.amdhsa_user_sgpr_private_segment_size 0
		.amdhsa_uses_dynamic_stack 0
		.amdhsa_system_sgpr_private_segment_wavefront_offset 0
		.amdhsa_system_sgpr_workgroup_id_x 1
		.amdhsa_system_sgpr_workgroup_id_y 1
		.amdhsa_system_sgpr_workgroup_id_z 1
		.amdhsa_system_sgpr_workgroup_info 0
		.amdhsa_system_vgpr_workitem_id 0
		.amdhsa_next_free_vgpr 66
		.amdhsa_next_free_sgpr 48
		.amdhsa_accum_offset 68
		.amdhsa_reserve_vcc 1
		.amdhsa_reserve_flat_scratch 0
		.amdhsa_float_round_mode_32 0
		.amdhsa_float_round_mode_16_64 0
		.amdhsa_float_denorm_mode_32 3
		.amdhsa_float_denorm_mode_16_64 3
		.amdhsa_dx10_clamp 1
		.amdhsa_ieee_mode 1
		.amdhsa_fp16_overflow 0
		.amdhsa_tg_split 0
		.amdhsa_exception_fp_ieee_invalid_op 0
		.amdhsa_exception_fp_denorm_src 0
		.amdhsa_exception_fp_ieee_div_zero 0
		.amdhsa_exception_fp_ieee_overflow 0
		.amdhsa_exception_fp_ieee_underflow 0
		.amdhsa_exception_fp_ieee_inexact 0
		.amdhsa_exception_int_div_zero 0
	.end_amdhsa_kernel
	.section	.text._Z39paged_attention_ll4mi_QKV_mfma16_kernelIDF16_DF16_LN4vllm18Fp8KVCacheDataTypeE0EDF16_Li32ELi64ELi256ELb0ELi10EL8MFMAType0EEvPKT_PKT0_S8_ifPKiSA_SA_iPKfiiiPfSD_PS3_PT2_iSC_SC_,"axG",@progbits,_Z39paged_attention_ll4mi_QKV_mfma16_kernelIDF16_DF16_LN4vllm18Fp8KVCacheDataTypeE0EDF16_Li32ELi64ELi256ELb0ELi10EL8MFMAType0EEvPKT_PKT0_S8_ifPKiSA_SA_iPKfiiiPfSD_PS3_PT2_iSC_SC_,comdat
.Lfunc_end85:
	.size	_Z39paged_attention_ll4mi_QKV_mfma16_kernelIDF16_DF16_LN4vllm18Fp8KVCacheDataTypeE0EDF16_Li32ELi64ELi256ELb0ELi10EL8MFMAType0EEvPKT_PKT0_S8_ifPKiSA_SA_iPKfiiiPfSD_PS3_PT2_iSC_SC_, .Lfunc_end85-_Z39paged_attention_ll4mi_QKV_mfma16_kernelIDF16_DF16_LN4vllm18Fp8KVCacheDataTypeE0EDF16_Li32ELi64ELi256ELb0ELi10EL8MFMAType0EEvPKT_PKT0_S8_ifPKiSA_SA_iPKfiiiPfSD_PS3_PT2_iSC_SC_
                                        ; -- End function
	.section	.AMDGPU.csdata,"",@progbits
; Kernel info:
; codeLenInByte = 4100
; NumSgprs: 52
; NumVgprs: 66
; NumAgprs: 0
; TotalNumVgprs: 66
; ScratchSize: 0
; MemoryBound: 0
; FloatMode: 240
; IeeeMode: 1
; LDSByteSize: 8192 bytes/workgroup (compile time only)
; SGPRBlocks: 6
; VGPRBlocks: 8
; NumSGPRsForWavesPerEU: 52
; NumVGPRsForWavesPerEU: 66
; AccumOffset: 68
; Occupancy: 7
; WaveLimiterHint : 1
; COMPUTE_PGM_RSRC2:SCRATCH_EN: 0
; COMPUTE_PGM_RSRC2:USER_SGPR: 6
; COMPUTE_PGM_RSRC2:TRAP_HANDLER: 0
; COMPUTE_PGM_RSRC2:TGID_X_EN: 1
; COMPUTE_PGM_RSRC2:TGID_Y_EN: 1
; COMPUTE_PGM_RSRC2:TGID_Z_EN: 1
; COMPUTE_PGM_RSRC2:TIDIG_COMP_CNT: 0
; COMPUTE_PGM_RSRC3_GFX90A:ACCUM_OFFSET: 16
; COMPUTE_PGM_RSRC3_GFX90A:TG_SPLIT: 0
	.section	.text._Z39paged_attention_ll4mi_QKV_mfma16_kernelIDF16_DF16_LN4vllm18Fp8KVCacheDataTypeE0EDF16_Li32ELi64ELi256ELb0ELi11EL8MFMAType0EEvPKT_PKT0_S8_ifPKiSA_SA_iPKfiiiPfSD_PS3_PT2_iSC_SC_,"axG",@progbits,_Z39paged_attention_ll4mi_QKV_mfma16_kernelIDF16_DF16_LN4vllm18Fp8KVCacheDataTypeE0EDF16_Li32ELi64ELi256ELb0ELi11EL8MFMAType0EEvPKT_PKT0_S8_ifPKiSA_SA_iPKfiiiPfSD_PS3_PT2_iSC_SC_,comdat
	.protected	_Z39paged_attention_ll4mi_QKV_mfma16_kernelIDF16_DF16_LN4vllm18Fp8KVCacheDataTypeE0EDF16_Li32ELi64ELi256ELb0ELi11EL8MFMAType0EEvPKT_PKT0_S8_ifPKiSA_SA_iPKfiiiPfSD_PS3_PT2_iSC_SC_ ; -- Begin function _Z39paged_attention_ll4mi_QKV_mfma16_kernelIDF16_DF16_LN4vllm18Fp8KVCacheDataTypeE0EDF16_Li32ELi64ELi256ELb0ELi11EL8MFMAType0EEvPKT_PKT0_S8_ifPKiSA_SA_iPKfiiiPfSD_PS3_PT2_iSC_SC_
	.globl	_Z39paged_attention_ll4mi_QKV_mfma16_kernelIDF16_DF16_LN4vllm18Fp8KVCacheDataTypeE0EDF16_Li32ELi64ELi256ELb0ELi11EL8MFMAType0EEvPKT_PKT0_S8_ifPKiSA_SA_iPKfiiiPfSD_PS3_PT2_iSC_SC_
	.p2align	8
	.type	_Z39paged_attention_ll4mi_QKV_mfma16_kernelIDF16_DF16_LN4vllm18Fp8KVCacheDataTypeE0EDF16_Li32ELi64ELi256ELb0ELi11EL8MFMAType0EEvPKT_PKT0_S8_ifPKiSA_SA_iPKfiiiPfSD_PS3_PT2_iSC_SC_,@function
_Z39paged_attention_ll4mi_QKV_mfma16_kernelIDF16_DF16_LN4vllm18Fp8KVCacheDataTypeE0EDF16_Li32ELi64ELi256ELb0ELi11EL8MFMAType0EEvPKT_PKT0_S8_ifPKiSA_SA_iPKfiiiPfSD_PS3_PT2_iSC_SC_: ; @_Z39paged_attention_ll4mi_QKV_mfma16_kernelIDF16_DF16_LN4vllm18Fp8KVCacheDataTypeE0EDF16_Li32ELi64ELi256ELb0ELi11EL8MFMAType0EEvPKT_PKT0_S8_ifPKiSA_SA_iPKfiiiPfSD_PS3_PT2_iSC_SC_
; %bb.0:
	s_load_dwordx2 s[0:1], s[4:5], 0x30
	s_mov_b32 s28, s7
	s_mov_b64 s[10:11], 0
	s_waitcnt lgkmcnt(0)
	s_cmp_lg_u64 s[0:1], 0
	s_cselect_b64 s[2:3], -1, 0
	s_and_b64 vcc, exec, s[2:3]
	s_cbranch_vccz .LBB86_7
; %bb.1:
	s_add_i32 s12, s6, 1
	s_mov_b32 s13, 0
	s_lshl_b64 s[14:15], s[12:13], 2
	s_add_u32 s14, s0, s14
	s_mov_b32 s7, s13
	s_addc_u32 s15, s1, s15
	s_lshl_b64 s[12:13], s[6:7], 2
	s_add_u32 s12, s0, s12
	s_addc_u32 s13, s1, s13
	s_load_dword s9, s[14:15], 0x0
	s_load_dword s16, s[12:13], 0x0
	s_waitcnt lgkmcnt(0)
	s_sub_i32 s9, s9, s16
	s_cmp_eq_u32 s9, 1
	s_cselect_b64 s[12:13], -1, 0
	s_andn2_b64 vcc, exec, s[10:11]
	s_cbranch_vccnz .LBB86_3
.LBB86_2:
	s_mov_b32 s7, 0
	s_mov_b64 s[12:13], -1
.LBB86_3:
	s_andn2_b64 vcc, exec, s[12:13]
	s_cbranch_vccnz .LBB86_20
; %bb.4:
	s_load_dwordx2 s[12:13], s[4:5], 0x28
	s_lshl_b64 s[10:11], s[6:7], 2
	s_waitcnt lgkmcnt(0)
	s_add_u32 s12, s12, s10
	s_addc_u32 s13, s13, s11
	s_load_dword s33, s[12:13], 0x0
	s_lshl_b32 s16, s28, 8
	s_waitcnt lgkmcnt(0)
	s_cmp_ge_i32 s16, s33
	s_cbranch_scc1 .LBB86_20
; %bb.5:
	s_add_i32 s14, s33, 31
	s_load_dwordx2 s[12:13], s[4:5], 0x20
	s_load_dword s9, s[4:5], 0x38
	s_ashr_i32 s15, s14, 31
	v_and_b32_e32 v1, 0xcf, v0
	s_lshr_b32 s15, s15, 27
	v_add_u32_e32 v1, s16, v1
	s_add_i32 s14, s14, s15
	v_ashrrev_i32_e32 v2, 31, v1
	s_ashr_i32 s19, s14, 5
	v_lshrrev_b32_e32 v6, 27, v2
	s_add_i32 s19, s19, -1
	v_add_u32_e32 v2, v1, v6
	s_waitcnt lgkmcnt(0)
	s_mul_i32 s14, s6, s9
	s_mov_b32 s15, 0
	v_ashrrev_i32_e32 v2, 5, v2
	v_mov_b32_e32 v7, s19
	v_cmp_gt_i32_e32 vcc, s33, v1
	s_lshl_b64 s[14:15], s[14:15], 2
	v_cndmask_b32_e32 v2, v7, v2, vcc
	s_add_u32 s17, s12, s14
	v_ashrrev_i32_e32 v3, 31, v2
	s_addc_u32 s18, s13, s15
	v_lshlrev_b64 v[2:3], 2, v[2:3]
	v_mov_b32_e32 v4, s18
	v_add_co_u32_e32 v2, vcc, s17, v2
	v_addc_co_u32_e32 v3, vcc, v4, v3, vcc
	v_or_b32_e32 v4, 16, v1
	v_add_u32_e32 v5, v4, v6
	v_ashrrev_i32_e32 v5, 5, v5
	v_cmp_gt_i32_e32 vcc, s33, v4
	v_cndmask_b32_e32 v4, v7, v5, vcc
	v_ashrrev_i32_e32 v5, 31, v4
	v_lshlrev_b64 v[4:5], 2, v[4:5]
	v_mov_b32_e32 v9, s18
	v_add_co_u32_e32 v8, vcc, s17, v4
	v_or_b32_e32 v4, 32, v1
	v_addc_co_u32_e32 v9, vcc, v9, v5, vcc
	v_add_u32_e32 v5, v4, v6
	v_ashrrev_i32_e32 v5, 5, v5
	v_cmp_gt_i32_e32 vcc, s33, v4
	v_cndmask_b32_e32 v4, v7, v5, vcc
	v_ashrrev_i32_e32 v5, 31, v4
	v_lshlrev_b64 v[4:5], 2, v[4:5]
	v_mov_b32_e32 v11, s18
	v_add_co_u32_e32 v10, vcc, s17, v4
	v_or_b32_e32 v1, 48, v1
	v_addc_co_u32_e32 v11, vcc, v11, v5, vcc
	v_add_u32_e32 v4, v1, v6
	v_ashrrev_i32_e32 v4, 5, v4
	v_cmp_gt_i32_e32 vcc, s33, v1
	v_cndmask_b32_e32 v4, v7, v4, vcc
	v_ashrrev_i32_e32 v5, 31, v4
	v_lshlrev_b64 v[4:5], 2, v[4:5]
	v_mov_b32_e32 v1, s18
	v_add_co_u32_e32 v12, vcc, s17, v4
	v_addc_co_u32_e32 v13, vcc, v1, v5, vcc
	global_load_dword v4, v[2:3], off
	global_load_dword v6, v[8:9], off
	global_load_dword v19, v[10:11], off
	global_load_dword v18, v[12:13], off
	s_andn2_b64 vcc, exec, s[2:3]
	s_cbranch_vccnz .LBB86_8
; %bb.6:
	s_add_u32 s0, s0, s10
	s_addc_u32 s1, s1, s11
	s_load_dword s9, s[0:1], 0x0
	s_branch .LBB86_9
.LBB86_7:
	s_mov_b64 s[12:13], 0
	s_branch .LBB86_2
.LBB86_8:
	s_mov_b32 s9, s6
.LBB86_9:
	s_load_dwordx4 s[12:15], s[4:5], 0x8
	s_load_dwordx4 s[44:47], s[4:5], 0x48
	v_lshrrev_b32_e32 v53, 6, v0
	v_bfe_u32 v1, v0, 4, 2
	v_lshl_or_b32 v5, v53, 2, v1
	v_and_b32_e32 v52, 15, v0
	v_cmp_lt_u32_e32 vcc, 10, v5
	v_cmp_lt_u32_e64 s[2:3], 7, v52
	v_lshlrev_b32_e32 v2, 3, v52
	v_cmp_gt_u32_e64 s[0:1], 8, v52
	s_or_b64 s[2:3], s[2:3], vcc
	s_and_saveexec_b64 s[10:11], s[2:3]
	s_xor_b64 s[2:3], exec, s[10:11]
; %bb.10:
	v_mov_b32_e32 v3, 0
                                        ; implicit-def: $vgpr5
; %bb.11:
	s_or_saveexec_b64 s[2:3], s[2:3]
	v_and_b32_e32 v54, 63, v0
	s_mul_i32 s29, s8, 11
	s_xor_b64 exec, exec, s[2:3]
	s_cbranch_execz .LBB86_13
; %bb.12:
	s_load_dwordx2 s[10:11], s[4:5], 0x0
	s_waitcnt lgkmcnt(0)
	s_ashr_i32 s20, s44, 31
	s_mul_hi_u32 s21, s9, s44
	s_mul_i32 s20, s9, s20
	s_add_i32 s21, s21, s20
	s_mul_i32 s20, s9, s44
	s_lshl_b64 s[20:21], s[20:21], 1
	v_add_lshl_u32 v8, v5, s29, 6
	s_add_u32 s9, s10, s20
	v_ashrrev_i32_e32 v9, 31, v8
	s_addc_u32 s10, s11, s21
	v_lshlrev_b64 v[8:9], 1, v[8:9]
	v_mov_b32_e32 v3, s10
	v_add_co_u32_e32 v7, vcc, s9, v8
	v_addc_co_u32_e32 v3, vcc, v3, v9, vcc
	v_lshlrev_b32_e32 v8, 1, v2
	v_add_co_u32_e32 v8, vcc, v7, v8
	v_addc_co_u32_e32 v9, vcc, 0, v3, vcc
	global_load_dwordx4 v[8:11], v[8:9], off
	v_and_b32_e32 v7, 3, v0
	v_lshlrev_b32_e32 v12, 9, v52
	v_lshlrev_b32_e32 v5, 5, v5
	;; [unrolled: 1-line block ×3, first 2 shown]
	v_and_b32_e32 v12, 0x1800, v12
	v_mov_b32_e32 v3, 0
	v_or3_b32 v5, v12, v7, v5
	s_waitcnt vmcnt(0)
	ds_write_b128 v5, v[8:11]
.LBB86_13:
	s_or_b64 exec, exec, s[2:3]
	s_waitcnt lgkmcnt(0)
	s_mul_i32 s8, s8, s46
	s_mov_b32 s9, 0
	s_lshl_b64 s[8:9], s[8:9], 1
	s_add_u32 s3, s12, s8
	s_waitcnt vmcnt(3)
	v_mad_i64_i32 v[4:5], s[10:11], v4, s45, 0
	s_addc_u32 s12, s13, s9
	v_lshlrev_b64 v[4:5], 1, v[4:5]
	v_mov_b32_e32 v7, s12
	v_add_co_u32_e32 v4, vcc, s3, v4
	v_addc_co_u32_e32 v5, vcc, v7, v5, vcc
	v_lshlrev_b64 v[34:35], 1, v[2:3]
	v_add_co_u32_e32 v2, vcc, v4, v34
	v_lshlrev_b32_e32 v28, 9, v1
	v_addc_co_u32_e32 v3, vcc, v5, v35, vcc
	v_add_co_u32_e32 v20, vcc, v2, v28
	v_addc_co_u32_e32 v21, vcc, 0, v3, vcc
	s_load_dword s42, s[4:5], 0x98
	s_load_dword s2, s[4:5], 0x1c
	s_waitcnt lgkmcnt(0)
	s_barrier
	global_load_dwordx4 v[2:5], v[20:21], off
	s_waitcnt vmcnt(3)
	v_mad_i64_i32 v[6:7], s[10:11], v6, s45, 0
	v_lshlrev_b64 v[6:7], 1, v[6:7]
	v_mov_b32_e32 v8, s12
	v_add_co_u32_e32 v6, vcc, s3, v6
	v_addc_co_u32_e32 v7, vcc, v8, v7, vcc
	v_mov_b32_e32 v8, 0x100
	v_lshl_or_b32 v29, v52, 4, v8
	v_add_co_u32_e32 v6, vcc, v6, v29
	v_addc_co_u32_e32 v7, vcc, 0, v7, vcc
	v_add_co_u32_e32 v22, vcc, v6, v28
	v_addc_co_u32_e32 v23, vcc, 0, v7, vcc
	global_load_dwordx4 v[10:13], v[22:23], off
	global_load_dwordx4 v[14:17], v[20:21], off offset:2048
	global_load_dwordx4 v[6:9], v[22:23], off offset:2048
	v_add_u32_e32 v22, -11, v52
	v_cmp_gt_u32_e32 vcc, 11, v52
	s_waitcnt vmcnt(5)
	v_mad_i64_i32 v[20:21], s[10:11], v19, s45, 0
	s_waitcnt vmcnt(4)
	v_mad_i64_i32 v[18:19], s[10:11], v18, s45, 0
	v_cndmask_b32_e32 v22, v22, v52, vcc
	v_lshlrev_b64 v[26:27], 1, v[18:19]
	v_lshl_add_u32 v18, v22, 5, v28
	v_lshlrev_b64 v[32:33], 1, v[20:21]
	ds_read_b128 v[22:25], v18
	ds_read_b128 v[18:21], v18 offset:2048
	v_mov_b32_e32 v36, s12
	v_add_co_u32_e32 v32, vcc, s3, v32
	v_addc_co_u32_e32 v33, vcc, v36, v33, vcc
	v_mov_b32_e32 v50, s12
	v_and_or_b32 v31, v0, 48, s16
	s_ashr_i32 s10, s16, 31
	v_or_b32_e32 v49, 64, v31
	s_lshr_b32 s10, s10, 27
	v_mov_b32_e32 v30, s19
	v_mov_b32_e32 v48, s18
	s_mov_b32 s43, 0xff7fffff
	s_waitcnt vmcnt(3) lgkmcnt(1)
	v_mfma_f32_16x16x16f16 v[36:39], v[2:3], v[22:23], 0
	v_add_co_u32_e32 v2, vcc, v32, v34
	v_addc_co_u32_e32 v3, vcc, v33, v35, vcc
	v_add_co_u32_e32 v32, vcc, v2, v28
	v_addc_co_u32_e32 v33, vcc, 0, v3, vcc
	global_load_dwordx4 v[44:47], v[32:33], off
	v_mfma_f32_16x16x16f16 v[2:5], v[4:5], v[24:25], v[36:39]
	s_waitcnt vmcnt(3)
	v_mfma_f32_16x16x16f16 v[40:43], v[10:11], v[22:23], 0
	v_add_co_u32_e32 v10, vcc, s3, v26
	v_addc_co_u32_e32 v11, vcc, v50, v27, vcc
	v_add_co_u32_e32 v10, vcc, v10, v29
	v_add_u32_e32 v26, s10, v31
	v_add_u32_e32 v27, s10, v49
	v_addc_co_u32_e32 v11, vcc, 0, v11, vcc
	v_ashrrev_i32_e32 v36, 5, v26
	v_ashrrev_i32_e32 v50, 5, v27
	v_add_co_u32_e32 v10, vcc, v10, v28
	global_load_dwordx4 v[26:29], v[32:33], off offset:2048
	s_waitcnt vmcnt(3) lgkmcnt(0)
	v_mfma_f32_16x16x16f16 v[2:5], v[14:15], v[18:19], v[2:5]
	v_addc_co_u32_e32 v11, vcc, 0, v11, vcc
	v_cmp_gt_i32_e32 vcc, s33, v31
	v_cndmask_b32_e32 v14, v30, v36, vcc
	v_ashrrev_i32_e32 v15, 31, v14
	global_load_dwordx4 v[36:39], v[10:11], off
	global_load_dwordx4 v[56:59], v[10:11], off offset:2048
	v_lshlrev_b64 v[10:11], 2, v[14:15]
	v_mfma_f32_16x16x16f16 v[60:63], v[16:17], v[20:21], v[2:5]
	v_mov_b32_e32 v15, s18
	s_add_u32 s3, s14, s8
	s_addc_u32 s8, s15, s9
	s_nop 3
	v_add_co_u32_e32 v2, vcc, s17, v10
	v_addc_co_u32_e32 v3, vcc, v48, v11, vcc
	global_load_dword v14, v[2:3], off
	v_cmp_gt_i32_e32 vcc, s33, v49
	v_cndmask_b32_e32 v2, v30, v50, vcc
	v_ashrrev_i32_e32 v3, 31, v2
	v_lshlrev_b64 v[10:11], 2, v[2:3]
	v_mfma_f32_16x16x16f16 v[2:5], v[12:13], v[24:25], v[40:43]
	v_add_co_u32_e32 v10, vcc, s17, v10
	v_addc_co_u32_e32 v11, vcc, v15, v11, vcc
	global_load_dword v32, v[10:11], off
	v_or_b32_e32 v10, 0x80, v31
	v_add_u32_e32 v11, s10, v10
	v_ashrrev_i32_e32 v11, 5, v11
	v_cmp_gt_i32_e32 vcc, s33, v10
	s_waitcnt vmcnt(6)
	v_mfma_f32_16x16x16f16 v[2:5], v[6:7], v[18:19], v[2:5]
	v_cndmask_b32_e32 v10, v30, v11, vcc
	v_ashrrev_i32_e32 v11, 31, v10
	v_lshlrev_b64 v[6:7], 2, v[10:11]
	v_mov_b32_e32 v10, s18
	v_add_co_u32_e32 v6, vcc, s17, v6
	v_addc_co_u32_e32 v7, vcc, v10, v7, vcc
	global_load_dword v33, v[6:7], off
	v_mfma_f32_16x16x16f16 v[40:43], v[8:9], v[20:21], v[2:5]
	v_or_b32_e32 v6, 0xc0, v31
	v_add_u32_e32 v7, s10, v6
	v_ashrrev_i32_e32 v7, 5, v7
	v_cmp_gt_i32_e32 vcc, s33, v6
	v_cndmask_b32_e32 v6, v30, v7, vcc
	v_ashrrev_i32_e32 v7, 31, v6
	v_lshlrev_b64 v[6:7], 2, v[6:7]
	s_waitcnt vmcnt(6)
	v_mfma_f32_16x16x16f16 v[2:5], v[44:45], v[22:23], 0
	v_mov_b32_e32 v8, s18
	v_add_co_u32_e32 v6, vcc, s17, v6
	v_addc_co_u32_e32 v7, vcc, v8, v7, vcc
	global_load_dword v55, v[6:7], off
	v_and_b32_e32 v6, 16, v0
	v_mfma_f32_16x16x16f16 v[2:5], v[46:47], v[24:25], v[2:5]
	v_lshlrev_b32_e32 v6, 1, v6
	v_mov_b32_e32 v7, s8
	v_add_co_u32_e32 v6, vcc, s3, v6
	v_lshlrev_b32_e32 v8, 6, v52
	v_addc_co_u32_e32 v7, vcc, 0, v7, vcc
	s_waitcnt vmcnt(6)
	v_mfma_f32_16x16x16f16 v[2:5], v[26:27], v[18:19], v[2:5]
	v_lshl_or_b32 v8, v53, 10, v8
	v_add_co_u32_e32 v64, vcc, v6, v8
	v_addc_co_u32_e32 v65, vcc, 0, v7, vcc
	v_pk_mul_f32 v[50:51], s[2:3], v[42:43] op_sel_hi:[0,1]
	v_pk_mul_f32 v[48:49], s[2:3], v[62:63] op_sel_hi:[0,1]
	v_mfma_f32_16x16x16f16 v[26:29], v[28:29], v[20:21], v[2:5]
	v_pk_mul_f32 v[40:41], s[2:3], v[40:41] op_sel_hi:[0,1]
	s_waitcnt vmcnt(1)
	v_mad_i64_i32 v[30:31], s[8:9], v33, s45, 0
	s_nop 3
	v_mad_i64_i32 v[2:3], s[8:9], v14, s45, 0
	v_lshlrev_b64 v[6:7], 1, v[2:3]
	v_mfma_f32_16x16x16f16 v[2:5], v[36:37], v[22:23], 0
	s_nop 0
	v_pk_mul_f32 v[44:45], s[2:3], v[26:27] op_sel_hi:[0,1]
	v_add_co_u32_e32 v6, vcc, v64, v6
	v_addc_co_u32_e32 v7, vcc, v65, v7, vcc
	global_load_dwordx4 v[14:17], v[6:7], off
	global_load_dwordx4 v[10:13], v[6:7], off offset:16
	v_mad_i64_i32 v[6:7], s[8:9], v32, s45, 0
	v_mfma_f32_16x16x16f16 v[22:25], v[38:39], v[24:25], v[2:5]
	v_pk_mul_f32 v[46:47], s[2:3], v[28:29] op_sel_hi:[0,1]
	v_lshlrev_b64 v[6:7], 1, v[6:7]
	v_lshlrev_b64 v[30:31], 1, v[30:31]
	v_mfma_f32_16x16x16f16 v[22:25], v[56:57], v[18:19], v[22:25]
	v_pk_mul_f32 v[18:19], s[2:3], v[60:61] op_sel_hi:[0,1]
	s_nop 1
	v_add_co_u32_e32 v2, vcc, v64, v6
	v_addc_co_u32_e32 v3, vcc, v65, v7, vcc
	v_add_co_u32_e32 v38, vcc, v64, v30
	v_mfma_f32_16x16x16f16 v[20:23], v[58:59], v[20:21], v[22:25]
	v_addc_co_u32_e32 v39, vcc, v65, v31, vcc
	global_load_dwordx4 v[6:9], v[2:3], off
	s_nop 0
	global_load_dwordx4 v[2:5], v[2:3], off offset:16
	s_nop 6
	v_pk_mul_f32 v[42:43], s[2:3], v[20:21] op_sel_hi:[0,1]
	v_and_b32_e32 v20, 0xc0, v0
	v_add_u32_e32 v20, s16, v20
	v_lshl_or_b32 v20, v1, 2, v20
	v_pk_mul_f32 v[36:37], s[2:3], v[22:23] op_sel_hi:[0,1]
	v_or_b32_e32 v23, 1, v20
	v_mov_b32_e32 v21, 0xff7fffff
	v_cmp_gt_i32_e64 s[30:31], s33, v20
	v_cmp_gt_i32_e64 s[34:35], s33, v23
	v_cndmask_b32_e64 v22, v21, v18, s[30:31]
	v_cndmask_b32_e64 v23, v21, v19, s[34:35]
	v_max3_f32 v22, v22, s43, v23
	v_or_b32_e32 v23, 2, v20
	v_or_b32_e32 v24, 3, v20
	v_cmp_gt_i32_e64 s[36:37], s33, v23
	v_cmp_gt_i32_e64 s[38:39], s33, v24
	v_cndmask_b32_e64 v23, v21, v48, s[36:37]
	v_cndmask_b32_e64 v24, v21, v49, s[38:39]
	v_max3_f32 v22, v22, v23, v24
	v_or_b32_e32 v23, 16, v20
	v_or_b32_e32 v24, 17, v20
	;; [unrolled: 7-line block ×7, first 2 shown]
	v_cmp_gt_i32_e32 vcc, s33, v23
	v_cmp_gt_i32_e64 s[2:3], s33, v20
	v_cndmask_b32_e32 v23, v21, v36, vcc
	v_cndmask_b32_e64 v20, v21, v37, s[2:3]
	v_max3_f32 v26, v22, v23, v20
	v_mbcnt_lo_u32_b32 v20, -1, 0
	v_mbcnt_hi_u32_b32 v27, -1, v20
	v_and_b32_e32 v20, 64, v27
	v_add_u32_e32 v28, 64, v20
	v_xor_b32_e32 v20, 32, v27
	v_cmp_lt_i32_e64 s[40:41], v20, v28
	v_cndmask_b32_e64 v20, v27, v20, s[40:41]
	v_lshlrev_b32_e32 v56, 2, v20
	ds_bpermute_b32 v29, v56, v26
	s_waitcnt vmcnt(4)
	v_mad_i64_i32 v[20:21], s[40:41], v55, s45, 0
	v_lshlrev_b64 v[20:21], 1, v[20:21]
	global_load_dwordx4 v[30:33], v[38:39], off
	global_load_dwordx4 v[22:25], v[38:39], off offset:16
	s_waitcnt lgkmcnt(0)
	v_max_f32_e32 v29, v29, v29
	v_max_f32_e32 v26, v26, v29
	v_xor_b32_e32 v29, 16, v27
	v_cmp_lt_i32_e64 s[40:41], v29, v28
	v_cndmask_b32_e64 v27, v27, v29, s[40:41]
	v_lshlrev_b32_e32 v58, 2, v27
	ds_bpermute_b32 v27, v58, v26
	v_add_co_u32_e64 v20, s[40:41], v64, v20
	v_addc_co_u32_e64 v21, s[40:41], v65, v21, s[40:41]
	s_waitcnt lgkmcnt(0)
	v_max_f32_e32 v27, v27, v27
	v_max_f32_e32 v55, v26, v27
	v_sub_f32_e32 v18, v18, v55
	v_mul_f32_e32 v18, 0x3fb8aa3b, v18
	v_exp_f32_e32 v38, v18
	v_sub_f32_e32 v18, v19, v55
	v_mul_f32_e32 v18, 0x3fb8aa3b, v18
	v_exp_f32_e32 v39, v18
	global_load_dwordx4 v[26:29], v[20:21], off
	s_nop 0
	global_load_dwordx4 v[18:21], v[20:21], off offset:16
	v_sub_f32_e32 v48, v48, v55
	v_mul_f32_e32 v48, 0x3fb8aa3b, v48
	v_sub_f32_e32 v49, v49, v55
	v_exp_f32_e32 v48, v48
	v_mul_f32_e32 v49, 0x3fb8aa3b, v49
	v_sub_f32_e32 v40, v40, v55
	v_exp_f32_e32 v49, v49
	v_mul_f32_e32 v40, 0x3fb8aa3b, v40
	v_sub_f32_e32 v41, v41, v55
	v_cndmask_b32_e64 v38, 0, v38, s[30:31]
	v_exp_f32_e32 v40, v40
	v_mul_f32_e32 v41, 0x3fb8aa3b, v41
	v_sub_f32_e32 v50, v50, v55
	v_add_f32_e32 v57, 0, v38
	v_cndmask_b32_e64 v39, 0, v39, s[34:35]
	v_exp_f32_e32 v41, v41
	v_mul_f32_e32 v50, 0x3fb8aa3b, v50
	v_sub_f32_e32 v51, v51, v55
	v_add_f32_e32 v57, v57, v39
	v_cndmask_b32_e64 v48, 0, v48, s[36:37]
	v_exp_f32_e32 v50, v50
	v_mul_f32_e32 v51, 0x3fb8aa3b, v51
	v_sub_f32_e32 v44, v44, v55
	v_add_f32_e32 v57, v57, v48
	v_cndmask_b32_e64 v49, 0, v49, s[38:39]
	v_exp_f32_e32 v51, v51
	v_mul_f32_e32 v44, 0x3fb8aa3b, v44
	v_sub_f32_e32 v45, v45, v55
	v_add_f32_e32 v57, v57, v49
	v_cndmask_b32_e64 v40, 0, v40, s[24:25]
	v_exp_f32_e32 v44, v44
	v_mul_f32_e32 v45, 0x3fb8aa3b, v45
	v_sub_f32_e32 v46, v46, v55
	v_add_f32_e32 v57, v57, v40
	v_cndmask_b32_e64 v41, 0, v41, s[26:27]
	v_exp_f32_e32 v45, v45
	v_mul_f32_e32 v46, 0x3fb8aa3b, v46
	v_sub_f32_e32 v47, v47, v55
	v_add_f32_e32 v57, v57, v41
	v_cndmask_b32_e64 v50, 0, v50, s[20:21]
	v_exp_f32_e32 v46, v46
	v_mul_f32_e32 v47, 0x3fb8aa3b, v47
	v_sub_f32_e32 v42, v42, v55
	v_add_f32_e32 v57, v57, v50
	v_cndmask_b32_e64 v51, 0, v51, s[22:23]
	v_exp_f32_e32 v47, v47
	v_mul_f32_e32 v42, 0x3fb8aa3b, v42
	v_sub_f32_e32 v43, v43, v55
	v_add_f32_e32 v57, v57, v51
	v_cndmask_b32_e64 v44, 0, v44, s[16:17]
	v_exp_f32_e32 v42, v42
	v_mul_f32_e32 v43, 0x3fb8aa3b, v43
	v_sub_f32_e32 v36, v36, v55
	v_add_f32_e32 v57, v57, v44
	v_cndmask_b32_e64 v45, 0, v45, s[18:19]
	v_exp_f32_e32 v43, v43
	v_mul_f32_e32 v36, 0x3fb8aa3b, v36
	v_sub_f32_e32 v37, v37, v55
	v_add_f32_e32 v57, v57, v45
	v_cndmask_b32_e64 v46, 0, v46, s[12:13]
	v_exp_f32_e32 v36, v36
	v_mul_f32_e32 v37, 0x3fb8aa3b, v37
	v_add_f32_e32 v57, v57, v46
	v_cndmask_b32_e64 v47, 0, v47, s[14:15]
	v_exp_f32_e32 v37, v37
	v_add_f32_e32 v57, v57, v47
	v_cndmask_b32_e64 v42, 0, v42, s[8:9]
	v_add_f32_e32 v57, v57, v42
	v_cndmask_b32_e64 v43, 0, v43, s[10:11]
	v_add_f32_e32 v57, v57, v43
	v_cndmask_b32_e32 v36, 0, v36, vcc
	v_add_f32_e32 v57, v57, v36
	v_cndmask_b32_e64 v37, 0, v37, s[2:3]
	v_add_f32_e32 v57, v57, v37
	ds_bpermute_b32 v56, v56, v57
	v_cmp_gt_u32_e32 vcc, 16, v54
	s_waitcnt lgkmcnt(0)
	s_barrier
	v_add_f32_e32 v57, v57, v56
	ds_bpermute_b32 v58, v58, v57
	v_lshlrev_b32_e32 v56, 2, v52
	s_and_saveexec_b64 s[2:3], vcc
	s_cbranch_execz .LBB86_15
; %bb.14:
	s_waitcnt lgkmcnt(0)
	v_add_f32_e32 v54, v57, v58
	v_lshl_or_b32 v57, v53, 6, v56
	ds_write2st64_b32 v57, v55, v54 offset1:1
.LBB86_15:
	s_or_b64 exec, exec, s[2:3]
	s_load_dword s8, s[4:5], 0x94
	s_waitcnt lgkmcnt(0)
	s_barrier
	ds_read2_b32 v[58:59], v56 offset1:16
	ds_read2_b32 v[60:61], v56 offset0:32 offset1:48
	ds_read2_b32 v[62:63], v56 offset0:64 offset1:80
	;; [unrolled: 1-line block ×3, first 2 shown]
	s_waitcnt lgkmcnt(0)
	v_max3_f32 v54, v58, s43, v59
	v_max3_f32 v54, v54, v60, v61
	v_sub_f32_e32 v55, v58, v54
	v_mul_f32_e32 v55, 0x3fb8aa3b, v55
	v_exp_f32_e32 v58, v55
	v_sub_f32_e32 v55, v59, v54
	v_mul_f32_e32 v55, 0x3fb8aa3b, v55
	v_exp_f32_e32 v59, v55
	;; [unrolled: 3-line block ×4, first 2 shown]
	v_fma_f32 v55, v58, v62, 0
	v_fmac_f32_e32 v55, v59, v63
	v_fmac_f32_e32 v55, v60, v56
	;; [unrolled: 1-line block ×3, first 2 shown]
	v_add_f32_e32 v56, 0x358637bd, v55
	v_div_scale_f32 v57, s[2:3], v56, v56, 1.0
	v_rcp_f32_e32 v62, v57
	s_barrier
	s_mul_i32 s9, s42, 11
	v_fma_f32 v63, -v57, v62, 1.0
	v_fmac_f32_e32 v62, v63, v62
	v_div_scale_f32 v63, vcc, 1.0, v56, 1.0
	v_mul_f32_e32 v64, v63, v62
	v_fma_f32 v65, -v57, v64, v63
	v_fmac_f32_e32 v64, v65, v62
	v_fma_f32 v57, -v57, v64, v63
	v_div_fmas_f32 v57, v57, v62, v64
	v_cmp_eq_u32_e32 vcc, 1, v53
	v_div_fixup_f32 v56, v57, v56, 1.0
	v_cndmask_b32_e32 v57, v58, v59, vcc
	v_cmp_eq_u32_e32 vcc, 2, v53
	v_cndmask_b32_e32 v57, v57, v60, vcc
	v_cmp_eq_u32_e32 vcc, 3, v53
	v_cndmask_b32_e32 v57, v57, v61, vcc
	v_mul_f32_e32 v56, v57, v56
	v_pk_mul_f32 v[48:49], v[56:57], v[48:49] op_sel_hi:[0,1]
	v_pk_mul_f32 v[38:39], v[56:57], v[38:39] op_sel_hi:[0,1]
	v_cvt_f16_f32_e32 v57, v48
	v_cvt_f16_f32_e32 v38, v38
	;; [unrolled: 1-line block ×4, first 2 shown]
	v_pk_mul_f32 v[50:51], v[56:57], v[50:51] op_sel_hi:[0,1]
	v_pk_mul_f32 v[40:41], v[56:57], v[40:41] op_sel_hi:[0,1]
	v_cvt_f16_f32_e32 v40, v40
	v_cvt_f16_f32_e32 v41, v41
	;; [unrolled: 1-line block ×4, first 2 shown]
	v_pack_b32_f16 v48, v38, v39
	v_lshlrev_b32_e32 v38, 3, v1
	v_lshlrev_b32_e32 v39, 5, v52
	;; [unrolled: 1-line block ×3, first 2 shown]
	v_pack_b32_f16 v49, v57, v49
	v_or3_b32 v38, v53, v39, v38
	v_pack_b32_f16 v40, v40, v41
	v_pack_b32_f16 v41, v50, v51
	ds_write2st64_b64 v38, v[48:49], v[40:41] offset1:1
	v_pk_mul_f32 v[40:41], v[56:57], v[46:47] op_sel_hi:[0,1]
	v_pk_mul_f32 v[44:45], v[56:57], v[44:45] op_sel_hi:[0,1]
	v_cvt_f16_f32_e32 v46, v40
	v_cvt_f16_f32_e32 v47, v41
	v_pk_mul_f32 v[36:37], v[56:57], v[36:37] op_sel_hi:[0,1]
	v_pk_mul_f32 v[40:41], v[56:57], v[42:43] op_sel_hi:[0,1]
	v_cvt_f16_f32_e32 v44, v44
	v_cvt_f16_f32_e32 v45, v45
	;; [unrolled: 1-line block ×6, first 2 shown]
	v_pack_b32_f16 v36, v44, v45
	v_pack_b32_f16 v37, v46, v47
	;; [unrolled: 1-line block ×4, first 2 shown]
	v_cmp_gt_u32_e32 vcc, 11, v0
	ds_write2st64_b64 v38, v[36:37], v[40:41] offset0:2 offset1:3
	s_and_saveexec_b64 s[2:3], vcc
	s_cbranch_execz .LBB86_17
; %bb.16:
	v_add_co_u32_e32 v40, vcc, s29, v52
	v_addc_co_u32_e64 v41, s[10:11], 0, 0, vcc
	v_mov_b32_e32 v36, s9
	v_mov_b32_e32 v37, 0
	v_mad_u64_u32 v[40:41], s[10:11], s6, v36, v[40:41]
	v_mov_b32_e32 v36, s28
	s_load_dwordx4 s[12:15], s[4:5], 0x58
	s_mul_i32 s7, s7, s9
	v_mad_u64_u32 v[36:37], s[10:11], v40, s8, v[36:37]
	v_add_u32_e32 v41, s7, v41
	v_mov_b32_e32 v40, v37
	v_mad_u64_u32 v[40:41], s[10:11], v41, s8, v[40:41]
	v_mov_b32_e32 v37, v40
	v_lshlrev_b64 v[36:37], 2, v[36:37]
	s_waitcnt lgkmcnt(0)
	v_mov_b32_e32 v41, s15
	v_add_co_u32_e32 v40, vcc, s14, v36
	v_addc_co_u32_e32 v41, vcc, v41, v37, vcc
	global_store_dword v[40:41], v54, off
	v_mov_b32_e32 v40, s13
	v_add_co_u32_e32 v36, vcc, s12, v36
	v_addc_co_u32_e32 v37, vcc, v40, v37, vcc
	global_store_dword v[36:37], v55, off
.LBB86_17:
	s_or_b64 exec, exec, s[2:3]
	v_lshl_or_b32 v36, v1, 9, v39
	s_waitcnt lgkmcnt(0)
	s_barrier
	ds_read_b128 v[40:43], v36
	ds_read_b128 v[44:47], v36 offset:16
	s_waitcnt vmcnt(7) lgkmcnt(1)
	v_mfma_f32_16x16x16f16 v[48:51], v[14:15], v[40:41], 0
	v_cmp_gt_u32_e32 vcc, 64, v0
	s_mov_b32 s3, 0
	s_and_b64 s[0:1], vcc, s[0:1]
	v_mfma_f32_16x16x16f16 v[14:17], v[16:17], v[42:43], v[48:51]
	s_waitcnt vmcnt(6) lgkmcnt(0)
	v_mfma_f32_16x16x16f16 v[14:17], v[10:11], v[44:45], v[14:17]
	v_mfma_f32_16x16x16f16 v[10:13], v[12:13], v[46:47], v[14:17]
	s_nop 7
	s_nop 1
	ds_read_b128 v[14:17], v36 offset:2048
	ds_read_b128 v[40:43], v36 offset:2064
	s_waitcnt vmcnt(5) lgkmcnt(1)
	v_mfma_f32_16x16x16f16 v[10:13], v[6:7], v[14:15], v[10:13]
	v_mfma_f32_16x16x16f16 v[6:9], v[8:9], v[16:17], v[10:13]
	s_waitcnt vmcnt(4) lgkmcnt(0)
	v_mfma_f32_16x16x16f16 v[6:9], v[2:3], v[40:41], v[6:9]
	v_mfma_f32_16x16x16f16 v[2:5], v[4:5], v[42:43], v[6:9]
	s_nop 7
	s_nop 1
	ds_read_b128 v[6:9], v36 offset:4096
	ds_read_b128 v[10:13], v36 offset:4112
	s_waitcnt vmcnt(3) lgkmcnt(1)
	v_mfma_f32_16x16x16f16 v[2:5], v[30:31], v[6:7], v[2:5]
	v_mfma_f32_16x16x16f16 v[2:5], v[32:33], v[8:9], v[2:5]
	s_waitcnt vmcnt(2) lgkmcnt(0)
	v_mfma_f32_16x16x16f16 v[2:5], v[22:23], v[10:11], v[2:5]
	v_mfma_f32_16x16x16f16 v[2:5], v[24:25], v[12:13], v[2:5]
	ds_read_b128 v[6:9], v36 offset:6144
	ds_read_b128 v[10:13], v36 offset:6160
	s_waitcnt lgkmcnt(0)
	s_barrier
	s_waitcnt vmcnt(1)
	v_mfma_f32_16x16x16f16 v[2:5], v[26:27], v[6:7], v[2:5]
	v_mfma_f32_16x16x16f16 v[2:5], v[28:29], v[8:9], v[2:5]
	s_waitcnt vmcnt(0)
	v_mfma_f32_16x16x16f16 v[2:5], v[18:19], v[10:11], v[2:5]
	v_mfma_f32_16x16x16f16 v[2:5], v[20:21], v[12:13], v[2:5]
	s_nop 7
	s_nop 2
	v_cvt_f16_f32_e32 v2, v2
	v_cvt_f16_f32_e32 v3, v3
	;; [unrolled: 1-line block ×4, first 2 shown]
	v_pack_b32_f16 v2, v2, v3
	v_pack_b32_f16 v3, v4, v5
	ds_write_b64 v38, v[2:3]
	s_waitcnt lgkmcnt(0)
	s_barrier
	s_and_saveexec_b64 s[10:11], s[0:1]
	s_cbranch_execz .LBB86_20
; %bb.18:
	s_load_dwordx2 s[4:5], s[4:5], 0x68
	s_lshl_b32 s0, s8, 6
	s_mul_i32 s1, s9, s6
	s_mul_hi_u32 s7, s1, s0
	s_mul_i32 s6, s1, s0
	s_lshl_b64 s[6:7], s[6:7], 1
	s_waitcnt lgkmcnt(0)
	s_add_u32 s1, s4, s6
	v_lshlrev_b32_e32 v2, 10, v0
	v_lshlrev_b32_e32 v0, 4, v0
	s_addc_u32 s4, s5, s7
	s_lshl_b32 s2, s28, 6
	v_and_b32_e32 v2, 0x1800, v2
	v_lshlrev_b32_e32 v3, 5, v1
	v_and_b32_e32 v0, 16, v0
	s_lshl_b64 s[2:3], s[2:3], 1
	v_or3_b32 v0, v2, v3, v0
	s_add_u32 s1, s1, s2
	s_addc_u32 s2, s4, s3
	ds_read_b128 v[4:7], v0 offset:128
	ds_read_b128 v[8:11], v0
	v_add_u32_e32 v14, s29, v1
	v_mov_b32_e32 v3, s2
	v_add_co_u32_e32 v2, vcc, s1, v34
	v_mad_u64_u32 v[12:13], s[2:3], v14, s0, 0
	v_addc_co_u32_e32 v3, vcc, v3, v35, vcc
	v_lshlrev_b64 v[12:13], 1, v[12:13]
	v_add_co_u32_e32 v12, vcc, v2, v12
	v_addc_co_u32_e32 v13, vcc, v3, v13, vcc
	s_waitcnt lgkmcnt(0)
	global_store_dwordx4 v[12:13], v[8:11], off
	s_nop 0
	v_add_u32_e32 v8, 4, v14
	v_mad_u64_u32 v[8:9], s[2:3], v8, s0, 0
	v_lshlrev_b64 v[8:9], 1, v[8:9]
	v_add_co_u32_e32 v8, vcc, v2, v8
	v_addc_co_u32_e32 v9, vcc, v3, v9, vcc
	v_cmp_ne_u32_e32 vcc, 3, v1
	global_store_dwordx4 v[8:9], v[4:7], off
	s_and_b64 exec, exec, vcc
	s_cbranch_execz .LBB86_20
; %bb.19:
	ds_read_b128 v[4:7], v0 offset:256
	v_add3_u32 v0, s29, v1, 8
	v_mad_u64_u32 v[0:1], s[0:1], v0, s0, 0
	v_lshlrev_b64 v[0:1], 1, v[0:1]
	v_add_co_u32_e32 v0, vcc, v2, v0
	v_addc_co_u32_e32 v1, vcc, v3, v1, vcc
	s_waitcnt lgkmcnt(0)
	global_store_dwordx4 v[0:1], v[4:7], off
.LBB86_20:
	s_endpgm
	.section	.rodata,"a",@progbits
	.p2align	6, 0x0
	.amdhsa_kernel _Z39paged_attention_ll4mi_QKV_mfma16_kernelIDF16_DF16_LN4vllm18Fp8KVCacheDataTypeE0EDF16_Li32ELi64ELi256ELb0ELi11EL8MFMAType0EEvPKT_PKT0_S8_ifPKiSA_SA_iPKfiiiPfSD_PS3_PT2_iSC_SC_
		.amdhsa_group_segment_fixed_size 8192
		.amdhsa_private_segment_fixed_size 0
		.amdhsa_kernarg_size 400
		.amdhsa_user_sgpr_count 6
		.amdhsa_user_sgpr_private_segment_buffer 1
		.amdhsa_user_sgpr_dispatch_ptr 0
		.amdhsa_user_sgpr_queue_ptr 0
		.amdhsa_user_sgpr_kernarg_segment_ptr 1
		.amdhsa_user_sgpr_dispatch_id 0
		.amdhsa_user_sgpr_flat_scratch_init 0
		.amdhsa_user_sgpr_kernarg_preload_length 0
		.amdhsa_user_sgpr_kernarg_preload_offset 0
		.amdhsa_user_sgpr_private_segment_size 0
		.amdhsa_uses_dynamic_stack 0
		.amdhsa_system_sgpr_private_segment_wavefront_offset 0
		.amdhsa_system_sgpr_workgroup_id_x 1
		.amdhsa_system_sgpr_workgroup_id_y 1
		.amdhsa_system_sgpr_workgroup_id_z 1
		.amdhsa_system_sgpr_workgroup_info 0
		.amdhsa_system_vgpr_workitem_id 0
		.amdhsa_next_free_vgpr 66
		.amdhsa_next_free_sgpr 48
		.amdhsa_accum_offset 68
		.amdhsa_reserve_vcc 1
		.amdhsa_reserve_flat_scratch 0
		.amdhsa_float_round_mode_32 0
		.amdhsa_float_round_mode_16_64 0
		.amdhsa_float_denorm_mode_32 3
		.amdhsa_float_denorm_mode_16_64 3
		.amdhsa_dx10_clamp 1
		.amdhsa_ieee_mode 1
		.amdhsa_fp16_overflow 0
		.amdhsa_tg_split 0
		.amdhsa_exception_fp_ieee_invalid_op 0
		.amdhsa_exception_fp_denorm_src 0
		.amdhsa_exception_fp_ieee_div_zero 0
		.amdhsa_exception_fp_ieee_overflow 0
		.amdhsa_exception_fp_ieee_underflow 0
		.amdhsa_exception_fp_ieee_inexact 0
		.amdhsa_exception_int_div_zero 0
	.end_amdhsa_kernel
	.section	.text._Z39paged_attention_ll4mi_QKV_mfma16_kernelIDF16_DF16_LN4vllm18Fp8KVCacheDataTypeE0EDF16_Li32ELi64ELi256ELb0ELi11EL8MFMAType0EEvPKT_PKT0_S8_ifPKiSA_SA_iPKfiiiPfSD_PS3_PT2_iSC_SC_,"axG",@progbits,_Z39paged_attention_ll4mi_QKV_mfma16_kernelIDF16_DF16_LN4vllm18Fp8KVCacheDataTypeE0EDF16_Li32ELi64ELi256ELb0ELi11EL8MFMAType0EEvPKT_PKT0_S8_ifPKiSA_SA_iPKfiiiPfSD_PS3_PT2_iSC_SC_,comdat
.Lfunc_end86:
	.size	_Z39paged_attention_ll4mi_QKV_mfma16_kernelIDF16_DF16_LN4vllm18Fp8KVCacheDataTypeE0EDF16_Li32ELi64ELi256ELb0ELi11EL8MFMAType0EEvPKT_PKT0_S8_ifPKiSA_SA_iPKfiiiPfSD_PS3_PT2_iSC_SC_, .Lfunc_end86-_Z39paged_attention_ll4mi_QKV_mfma16_kernelIDF16_DF16_LN4vllm18Fp8KVCacheDataTypeE0EDF16_Li32ELi64ELi256ELb0ELi11EL8MFMAType0EEvPKT_PKT0_S8_ifPKiSA_SA_iPKfiiiPfSD_PS3_PT2_iSC_SC_
                                        ; -- End function
	.section	.AMDGPU.csdata,"",@progbits
; Kernel info:
; codeLenInByte = 4100
; NumSgprs: 52
; NumVgprs: 66
; NumAgprs: 0
; TotalNumVgprs: 66
; ScratchSize: 0
; MemoryBound: 0
; FloatMode: 240
; IeeeMode: 1
; LDSByteSize: 8192 bytes/workgroup (compile time only)
; SGPRBlocks: 6
; VGPRBlocks: 8
; NumSGPRsForWavesPerEU: 52
; NumVGPRsForWavesPerEU: 66
; AccumOffset: 68
; Occupancy: 7
; WaveLimiterHint : 1
; COMPUTE_PGM_RSRC2:SCRATCH_EN: 0
; COMPUTE_PGM_RSRC2:USER_SGPR: 6
; COMPUTE_PGM_RSRC2:TRAP_HANDLER: 0
; COMPUTE_PGM_RSRC2:TGID_X_EN: 1
; COMPUTE_PGM_RSRC2:TGID_Y_EN: 1
; COMPUTE_PGM_RSRC2:TGID_Z_EN: 1
; COMPUTE_PGM_RSRC2:TIDIG_COMP_CNT: 0
; COMPUTE_PGM_RSRC3_GFX90A:ACCUM_OFFSET: 16
; COMPUTE_PGM_RSRC3_GFX90A:TG_SPLIT: 0
	.section	.text._Z39paged_attention_ll4mi_QKV_mfma16_kernelIDF16_DF16_LN4vllm18Fp8KVCacheDataTypeE0EDF16_Li32ELi64ELi256ELb0ELi12EL8MFMAType0EEvPKT_PKT0_S8_ifPKiSA_SA_iPKfiiiPfSD_PS3_PT2_iSC_SC_,"axG",@progbits,_Z39paged_attention_ll4mi_QKV_mfma16_kernelIDF16_DF16_LN4vllm18Fp8KVCacheDataTypeE0EDF16_Li32ELi64ELi256ELb0ELi12EL8MFMAType0EEvPKT_PKT0_S8_ifPKiSA_SA_iPKfiiiPfSD_PS3_PT2_iSC_SC_,comdat
	.protected	_Z39paged_attention_ll4mi_QKV_mfma16_kernelIDF16_DF16_LN4vllm18Fp8KVCacheDataTypeE0EDF16_Li32ELi64ELi256ELb0ELi12EL8MFMAType0EEvPKT_PKT0_S8_ifPKiSA_SA_iPKfiiiPfSD_PS3_PT2_iSC_SC_ ; -- Begin function _Z39paged_attention_ll4mi_QKV_mfma16_kernelIDF16_DF16_LN4vllm18Fp8KVCacheDataTypeE0EDF16_Li32ELi64ELi256ELb0ELi12EL8MFMAType0EEvPKT_PKT0_S8_ifPKiSA_SA_iPKfiiiPfSD_PS3_PT2_iSC_SC_
	.globl	_Z39paged_attention_ll4mi_QKV_mfma16_kernelIDF16_DF16_LN4vllm18Fp8KVCacheDataTypeE0EDF16_Li32ELi64ELi256ELb0ELi12EL8MFMAType0EEvPKT_PKT0_S8_ifPKiSA_SA_iPKfiiiPfSD_PS3_PT2_iSC_SC_
	.p2align	8
	.type	_Z39paged_attention_ll4mi_QKV_mfma16_kernelIDF16_DF16_LN4vllm18Fp8KVCacheDataTypeE0EDF16_Li32ELi64ELi256ELb0ELi12EL8MFMAType0EEvPKT_PKT0_S8_ifPKiSA_SA_iPKfiiiPfSD_PS3_PT2_iSC_SC_,@function
_Z39paged_attention_ll4mi_QKV_mfma16_kernelIDF16_DF16_LN4vllm18Fp8KVCacheDataTypeE0EDF16_Li32ELi64ELi256ELb0ELi12EL8MFMAType0EEvPKT_PKT0_S8_ifPKiSA_SA_iPKfiiiPfSD_PS3_PT2_iSC_SC_: ; @_Z39paged_attention_ll4mi_QKV_mfma16_kernelIDF16_DF16_LN4vllm18Fp8KVCacheDataTypeE0EDF16_Li32ELi64ELi256ELb0ELi12EL8MFMAType0EEvPKT_PKT0_S8_ifPKiSA_SA_iPKfiiiPfSD_PS3_PT2_iSC_SC_
; %bb.0:
	s_load_dwordx2 s[0:1], s[4:5], 0x30
	s_mov_b32 s28, s7
	s_mov_b64 s[10:11], 0
	s_waitcnt lgkmcnt(0)
	s_cmp_lg_u64 s[0:1], 0
	s_cselect_b64 s[2:3], -1, 0
	s_and_b64 vcc, exec, s[2:3]
	s_cbranch_vccz .LBB87_7
; %bb.1:
	s_add_i32 s12, s6, 1
	s_mov_b32 s13, 0
	s_lshl_b64 s[14:15], s[12:13], 2
	s_add_u32 s14, s0, s14
	s_mov_b32 s7, s13
	s_addc_u32 s15, s1, s15
	s_lshl_b64 s[12:13], s[6:7], 2
	s_add_u32 s12, s0, s12
	s_addc_u32 s13, s1, s13
	s_load_dword s9, s[14:15], 0x0
	s_load_dword s16, s[12:13], 0x0
	s_waitcnt lgkmcnt(0)
	s_sub_i32 s9, s9, s16
	s_cmp_eq_u32 s9, 1
	s_cselect_b64 s[12:13], -1, 0
	s_andn2_b64 vcc, exec, s[10:11]
	s_cbranch_vccnz .LBB87_3
.LBB87_2:
	s_mov_b32 s7, 0
	s_mov_b64 s[12:13], -1
.LBB87_3:
	s_andn2_b64 vcc, exec, s[12:13]
	s_cbranch_vccnz .LBB87_19
; %bb.4:
	s_load_dwordx2 s[12:13], s[4:5], 0x28
	s_lshl_b64 s[10:11], s[6:7], 2
	s_waitcnt lgkmcnt(0)
	s_add_u32 s12, s12, s10
	s_addc_u32 s13, s13, s11
	s_load_dword s33, s[12:13], 0x0
	s_lshl_b32 s16, s28, 8
	s_waitcnt lgkmcnt(0)
	s_cmp_ge_i32 s16, s33
	s_cbranch_scc1 .LBB87_19
; %bb.5:
	s_add_i32 s14, s33, 31
	s_load_dwordx2 s[12:13], s[4:5], 0x20
	s_load_dword s9, s[4:5], 0x38
	s_ashr_i32 s15, s14, 31
	v_and_b32_e32 v1, 0xcf, v0
	s_lshr_b32 s15, s15, 27
	v_add_u32_e32 v1, s16, v1
	s_add_i32 s14, s14, s15
	v_ashrrev_i32_e32 v2, 31, v1
	s_ashr_i32 s19, s14, 5
	v_lshrrev_b32_e32 v6, 27, v2
	s_add_i32 s19, s19, -1
	v_add_u32_e32 v2, v1, v6
	s_waitcnt lgkmcnt(0)
	s_mul_i32 s14, s6, s9
	s_mov_b32 s15, 0
	v_ashrrev_i32_e32 v2, 5, v2
	v_mov_b32_e32 v7, s19
	v_cmp_gt_i32_e32 vcc, s33, v1
	s_lshl_b64 s[14:15], s[14:15], 2
	v_cndmask_b32_e32 v2, v7, v2, vcc
	s_add_u32 s17, s12, s14
	v_ashrrev_i32_e32 v3, 31, v2
	s_addc_u32 s18, s13, s15
	v_lshlrev_b64 v[2:3], 2, v[2:3]
	v_mov_b32_e32 v4, s18
	v_add_co_u32_e32 v2, vcc, s17, v2
	v_addc_co_u32_e32 v3, vcc, v4, v3, vcc
	v_or_b32_e32 v4, 16, v1
	v_add_u32_e32 v5, v4, v6
	v_ashrrev_i32_e32 v5, 5, v5
	v_cmp_gt_i32_e32 vcc, s33, v4
	v_cndmask_b32_e32 v4, v7, v5, vcc
	v_ashrrev_i32_e32 v5, 31, v4
	v_lshlrev_b64 v[4:5], 2, v[4:5]
	v_mov_b32_e32 v9, s18
	v_add_co_u32_e32 v8, vcc, s17, v4
	v_or_b32_e32 v4, 32, v1
	v_addc_co_u32_e32 v9, vcc, v9, v5, vcc
	v_add_u32_e32 v5, v4, v6
	v_ashrrev_i32_e32 v5, 5, v5
	v_cmp_gt_i32_e32 vcc, s33, v4
	v_cndmask_b32_e32 v4, v7, v5, vcc
	v_ashrrev_i32_e32 v5, 31, v4
	v_lshlrev_b64 v[4:5], 2, v[4:5]
	v_mov_b32_e32 v11, s18
	v_add_co_u32_e32 v10, vcc, s17, v4
	v_or_b32_e32 v1, 48, v1
	v_addc_co_u32_e32 v11, vcc, v11, v5, vcc
	v_add_u32_e32 v4, v1, v6
	v_ashrrev_i32_e32 v4, 5, v4
	v_cmp_gt_i32_e32 vcc, s33, v1
	v_cndmask_b32_e32 v4, v7, v4, vcc
	v_ashrrev_i32_e32 v5, 31, v4
	v_lshlrev_b64 v[4:5], 2, v[4:5]
	v_mov_b32_e32 v1, s18
	v_add_co_u32_e32 v12, vcc, s17, v4
	v_addc_co_u32_e32 v13, vcc, v1, v5, vcc
	global_load_dword v4, v[2:3], off
	global_load_dword v6, v[8:9], off
	;; [unrolled: 1-line block ×4, first 2 shown]
	s_andn2_b64 vcc, exec, s[2:3]
	s_cbranch_vccnz .LBB87_8
; %bb.6:
	s_add_u32 s0, s0, s10
	s_addc_u32 s1, s1, s11
	s_load_dword s9, s[0:1], 0x0
	s_branch .LBB87_9
.LBB87_7:
	s_mov_b64 s[12:13], 0
	s_branch .LBB87_2
.LBB87_8:
	s_mov_b32 s9, s6
.LBB87_9:
	s_load_dwordx4 s[12:15], s[4:5], 0x8
	s_load_dwordx4 s[44:47], s[4:5], 0x48
	v_and_b32_e32 v52, 15, v0
	s_movk_i32 s0, 0xbf
	v_cmp_lt_u32_e32 vcc, s0, v0
	v_cmp_lt_u32_e64 s[2:3], 7, v52
	v_lshlrev_b32_e32 v2, 3, v52
	v_cmp_gt_u32_e64 s[0:1], 8, v52
	s_or_b64 s[2:3], vcc, s[2:3]
	s_and_saveexec_b64 s[10:11], s[2:3]
	s_xor_b64 s[2:3], exec, s[10:11]
; %bb.10:
	v_mov_b32_e32 v3, 0
; %bb.11:
	s_or_saveexec_b64 s[2:3], s[2:3]
	v_lshrrev_b32_e32 v53, 6, v0
	v_and_b32_e32 v54, 63, v0
	v_bfe_u32 v1, v0, 4, 2
	s_mul_i32 s29, s8, 12
	s_xor_b64 exec, exec, s[2:3]
	s_cbranch_execz .LBB87_13
; %bb.12:
	s_load_dwordx2 s[10:11], s[4:5], 0x0
	s_waitcnt lgkmcnt(0)
	s_ashr_i32 s20, s44, 31
	s_mul_hi_u32 s21, s9, s44
	s_mul_i32 s20, s9, s20
	v_lshl_or_b32 v5, v53, 2, v1
	s_add_i32 s21, s21, s20
	s_mul_i32 s20, s9, s44
	s_lshl_b64 s[20:21], s[20:21], 1
	v_add_lshl_u32 v8, v5, s29, 6
	s_add_u32 s9, s10, s20
	v_ashrrev_i32_e32 v9, 31, v8
	s_addc_u32 s10, s11, s21
	v_lshlrev_b64 v[8:9], 1, v[8:9]
	v_mov_b32_e32 v3, s10
	v_add_co_u32_e32 v7, vcc, s9, v8
	v_addc_co_u32_e32 v3, vcc, v3, v9, vcc
	v_lshlrev_b32_e32 v8, 1, v2
	v_add_co_u32_e32 v8, vcc, v7, v8
	v_addc_co_u32_e32 v9, vcc, 0, v3, vcc
	global_load_dwordx4 v[8:11], v[8:9], off
	v_and_b32_e32 v7, 3, v0
	v_lshlrev_b32_e32 v12, 9, v52
	v_lshlrev_b32_e32 v5, 5, v5
	;; [unrolled: 1-line block ×3, first 2 shown]
	v_and_b32_e32 v12, 0x1800, v12
	v_mov_b32_e32 v3, 0
	v_or3_b32 v5, v12, v7, v5
	s_waitcnt vmcnt(0)
	ds_write_b128 v5, v[8:11]
.LBB87_13:
	s_or_b64 exec, exec, s[2:3]
	s_waitcnt lgkmcnt(0)
	s_mul_i32 s8, s8, s46
	s_mov_b32 s9, 0
	s_lshl_b64 s[8:9], s[8:9], 1
	s_add_u32 s3, s12, s8
	s_waitcnt vmcnt(3)
	v_mad_i64_i32 v[4:5], s[10:11], v4, s45, 0
	s_addc_u32 s12, s13, s9
	v_lshlrev_b64 v[4:5], 1, v[4:5]
	v_mov_b32_e32 v7, s12
	v_add_co_u32_e32 v4, vcc, s3, v4
	v_addc_co_u32_e32 v5, vcc, v7, v5, vcc
	v_lshlrev_b64 v[34:35], 1, v[2:3]
	v_add_co_u32_e32 v2, vcc, v4, v34
	v_lshlrev_b32_e32 v28, 9, v1
	v_addc_co_u32_e32 v3, vcc, v5, v35, vcc
	v_add_co_u32_e32 v20, vcc, v2, v28
	v_addc_co_u32_e32 v21, vcc, 0, v3, vcc
	s_load_dword s42, s[4:5], 0x98
	s_load_dword s2, s[4:5], 0x1c
	s_waitcnt lgkmcnt(0)
	s_barrier
	global_load_dwordx4 v[2:5], v[20:21], off
	s_waitcnt vmcnt(3)
	v_mad_i64_i32 v[6:7], s[10:11], v6, s45, 0
	v_lshlrev_b64 v[6:7], 1, v[6:7]
	v_mov_b32_e32 v8, s12
	v_add_co_u32_e32 v6, vcc, s3, v6
	v_addc_co_u32_e32 v7, vcc, v8, v7, vcc
	v_mov_b32_e32 v8, 0x100
	v_lshl_or_b32 v29, v52, 4, v8
	v_add_co_u32_e32 v6, vcc, v6, v29
	v_addc_co_u32_e32 v7, vcc, 0, v7, vcc
	v_add_co_u32_e32 v22, vcc, v6, v28
	v_addc_co_u32_e32 v23, vcc, 0, v7, vcc
	global_load_dwordx4 v[10:13], v[22:23], off
	global_load_dwordx4 v[14:17], v[20:21], off offset:2048
	global_load_dwordx4 v[6:9], v[22:23], off offset:2048
	v_add_u32_e32 v22, -12, v52
	v_cmp_gt_u32_e32 vcc, 12, v52
	s_waitcnt vmcnt(5)
	v_mad_i64_i32 v[20:21], s[10:11], v19, s45, 0
	s_waitcnt vmcnt(4)
	v_mad_i64_i32 v[18:19], s[10:11], v18, s45, 0
	v_cndmask_b32_e32 v22, v22, v52, vcc
	v_lshlrev_b64 v[26:27], 1, v[18:19]
	v_lshl_add_u32 v18, v22, 5, v28
	v_lshlrev_b64 v[32:33], 1, v[20:21]
	ds_read_b128 v[22:25], v18
	ds_read_b128 v[18:21], v18 offset:2048
	v_mov_b32_e32 v36, s12
	v_add_co_u32_e32 v32, vcc, s3, v32
	v_addc_co_u32_e32 v33, vcc, v36, v33, vcc
	v_mov_b32_e32 v50, s12
	v_and_or_b32 v31, v0, 48, s16
	s_ashr_i32 s10, s16, 31
	v_or_b32_e32 v49, 64, v31
	s_lshr_b32 s10, s10, 27
	v_mov_b32_e32 v30, s19
	v_mov_b32_e32 v48, s18
	s_mov_b32 s43, 0xff7fffff
	s_waitcnt vmcnt(3) lgkmcnt(1)
	v_mfma_f32_16x16x16f16 v[36:39], v[2:3], v[22:23], 0
	v_add_co_u32_e32 v2, vcc, v32, v34
	v_addc_co_u32_e32 v3, vcc, v33, v35, vcc
	v_add_co_u32_e32 v32, vcc, v2, v28
	v_addc_co_u32_e32 v33, vcc, 0, v3, vcc
	global_load_dwordx4 v[44:47], v[32:33], off
	v_mfma_f32_16x16x16f16 v[2:5], v[4:5], v[24:25], v[36:39]
	s_waitcnt vmcnt(3)
	v_mfma_f32_16x16x16f16 v[40:43], v[10:11], v[22:23], 0
	v_add_co_u32_e32 v10, vcc, s3, v26
	v_addc_co_u32_e32 v11, vcc, v50, v27, vcc
	v_add_co_u32_e32 v10, vcc, v10, v29
	v_add_u32_e32 v26, s10, v31
	v_add_u32_e32 v27, s10, v49
	v_addc_co_u32_e32 v11, vcc, 0, v11, vcc
	v_ashrrev_i32_e32 v36, 5, v26
	v_ashrrev_i32_e32 v50, 5, v27
	v_add_co_u32_e32 v10, vcc, v10, v28
	global_load_dwordx4 v[26:29], v[32:33], off offset:2048
	s_waitcnt vmcnt(3) lgkmcnt(0)
	v_mfma_f32_16x16x16f16 v[2:5], v[14:15], v[18:19], v[2:5]
	v_addc_co_u32_e32 v11, vcc, 0, v11, vcc
	v_cmp_gt_i32_e32 vcc, s33, v31
	v_cndmask_b32_e32 v14, v30, v36, vcc
	v_ashrrev_i32_e32 v15, 31, v14
	global_load_dwordx4 v[36:39], v[10:11], off
	global_load_dwordx4 v[56:59], v[10:11], off offset:2048
	v_lshlrev_b64 v[10:11], 2, v[14:15]
	v_mfma_f32_16x16x16f16 v[60:63], v[16:17], v[20:21], v[2:5]
	v_mov_b32_e32 v15, s18
	s_add_u32 s3, s14, s8
	s_addc_u32 s8, s15, s9
	s_nop 3
	v_add_co_u32_e32 v2, vcc, s17, v10
	v_addc_co_u32_e32 v3, vcc, v48, v11, vcc
	global_load_dword v14, v[2:3], off
	v_cmp_gt_i32_e32 vcc, s33, v49
	v_cndmask_b32_e32 v2, v30, v50, vcc
	v_ashrrev_i32_e32 v3, 31, v2
	v_lshlrev_b64 v[10:11], 2, v[2:3]
	v_mfma_f32_16x16x16f16 v[2:5], v[12:13], v[24:25], v[40:43]
	v_add_co_u32_e32 v10, vcc, s17, v10
	v_addc_co_u32_e32 v11, vcc, v15, v11, vcc
	global_load_dword v32, v[10:11], off
	v_or_b32_e32 v10, 0x80, v31
	v_add_u32_e32 v11, s10, v10
	v_ashrrev_i32_e32 v11, 5, v11
	v_cmp_gt_i32_e32 vcc, s33, v10
	s_waitcnt vmcnt(6)
	v_mfma_f32_16x16x16f16 v[2:5], v[6:7], v[18:19], v[2:5]
	v_cndmask_b32_e32 v10, v30, v11, vcc
	v_ashrrev_i32_e32 v11, 31, v10
	v_lshlrev_b64 v[6:7], 2, v[10:11]
	v_mov_b32_e32 v10, s18
	v_add_co_u32_e32 v6, vcc, s17, v6
	v_addc_co_u32_e32 v7, vcc, v10, v7, vcc
	global_load_dword v33, v[6:7], off
	v_mfma_f32_16x16x16f16 v[40:43], v[8:9], v[20:21], v[2:5]
	v_or_b32_e32 v6, 0xc0, v31
	v_add_u32_e32 v7, s10, v6
	v_ashrrev_i32_e32 v7, 5, v7
	v_cmp_gt_i32_e32 vcc, s33, v6
	v_cndmask_b32_e32 v6, v30, v7, vcc
	v_ashrrev_i32_e32 v7, 31, v6
	v_lshlrev_b64 v[6:7], 2, v[6:7]
	s_waitcnt vmcnt(6)
	v_mfma_f32_16x16x16f16 v[2:5], v[44:45], v[22:23], 0
	v_mov_b32_e32 v8, s18
	v_add_co_u32_e32 v6, vcc, s17, v6
	v_addc_co_u32_e32 v7, vcc, v8, v7, vcc
	global_load_dword v55, v[6:7], off
	v_and_b32_e32 v6, 16, v0
	v_mfma_f32_16x16x16f16 v[2:5], v[46:47], v[24:25], v[2:5]
	v_lshlrev_b32_e32 v6, 1, v6
	v_mov_b32_e32 v7, s8
	v_add_co_u32_e32 v6, vcc, s3, v6
	v_lshlrev_b32_e32 v8, 6, v52
	v_addc_co_u32_e32 v7, vcc, 0, v7, vcc
	s_waitcnt vmcnt(6)
	v_mfma_f32_16x16x16f16 v[2:5], v[26:27], v[18:19], v[2:5]
	v_lshl_or_b32 v8, v53, 10, v8
	v_add_co_u32_e32 v64, vcc, v6, v8
	v_addc_co_u32_e32 v65, vcc, 0, v7, vcc
	v_pk_mul_f32 v[50:51], s[2:3], v[42:43] op_sel_hi:[0,1]
	v_pk_mul_f32 v[48:49], s[2:3], v[62:63] op_sel_hi:[0,1]
	v_mfma_f32_16x16x16f16 v[26:29], v[28:29], v[20:21], v[2:5]
	v_pk_mul_f32 v[40:41], s[2:3], v[40:41] op_sel_hi:[0,1]
	s_waitcnt vmcnt(1)
	v_mad_i64_i32 v[30:31], s[8:9], v33, s45, 0
	s_nop 3
	v_mad_i64_i32 v[2:3], s[8:9], v14, s45, 0
	v_lshlrev_b64 v[6:7], 1, v[2:3]
	v_mfma_f32_16x16x16f16 v[2:5], v[36:37], v[22:23], 0
	s_nop 0
	v_pk_mul_f32 v[44:45], s[2:3], v[26:27] op_sel_hi:[0,1]
	v_add_co_u32_e32 v6, vcc, v64, v6
	v_addc_co_u32_e32 v7, vcc, v65, v7, vcc
	global_load_dwordx4 v[14:17], v[6:7], off
	global_load_dwordx4 v[10:13], v[6:7], off offset:16
	v_mad_i64_i32 v[6:7], s[8:9], v32, s45, 0
	v_mfma_f32_16x16x16f16 v[22:25], v[38:39], v[24:25], v[2:5]
	v_pk_mul_f32 v[46:47], s[2:3], v[28:29] op_sel_hi:[0,1]
	v_lshlrev_b64 v[6:7], 1, v[6:7]
	v_lshlrev_b64 v[30:31], 1, v[30:31]
	v_mfma_f32_16x16x16f16 v[22:25], v[56:57], v[18:19], v[22:25]
	v_pk_mul_f32 v[18:19], s[2:3], v[60:61] op_sel_hi:[0,1]
	s_nop 1
	v_add_co_u32_e32 v2, vcc, v64, v6
	v_addc_co_u32_e32 v3, vcc, v65, v7, vcc
	v_add_co_u32_e32 v38, vcc, v64, v30
	v_mfma_f32_16x16x16f16 v[20:23], v[58:59], v[20:21], v[22:25]
	v_addc_co_u32_e32 v39, vcc, v65, v31, vcc
	global_load_dwordx4 v[6:9], v[2:3], off
	s_nop 0
	global_load_dwordx4 v[2:5], v[2:3], off offset:16
	s_nop 6
	v_pk_mul_f32 v[42:43], s[2:3], v[20:21] op_sel_hi:[0,1]
	v_and_b32_e32 v20, 0xc0, v0
	v_add_u32_e32 v20, s16, v20
	v_lshl_or_b32 v20, v1, 2, v20
	v_pk_mul_f32 v[36:37], s[2:3], v[22:23] op_sel_hi:[0,1]
	v_or_b32_e32 v23, 1, v20
	v_mov_b32_e32 v21, 0xff7fffff
	v_cmp_gt_i32_e64 s[30:31], s33, v20
	v_cmp_gt_i32_e64 s[34:35], s33, v23
	v_cndmask_b32_e64 v22, v21, v18, s[30:31]
	v_cndmask_b32_e64 v23, v21, v19, s[34:35]
	v_max3_f32 v22, v22, s43, v23
	v_or_b32_e32 v23, 2, v20
	v_or_b32_e32 v24, 3, v20
	v_cmp_gt_i32_e64 s[36:37], s33, v23
	v_cmp_gt_i32_e64 s[38:39], s33, v24
	v_cndmask_b32_e64 v23, v21, v48, s[36:37]
	v_cndmask_b32_e64 v24, v21, v49, s[38:39]
	v_max3_f32 v22, v22, v23, v24
	v_or_b32_e32 v23, 16, v20
	v_or_b32_e32 v24, 17, v20
	;; [unrolled: 7-line block ×7, first 2 shown]
	v_cmp_gt_i32_e32 vcc, s33, v23
	v_cmp_gt_i32_e64 s[2:3], s33, v20
	v_cndmask_b32_e32 v23, v21, v36, vcc
	v_cndmask_b32_e64 v20, v21, v37, s[2:3]
	v_max3_f32 v26, v22, v23, v20
	v_mbcnt_lo_u32_b32 v20, -1, 0
	v_mbcnt_hi_u32_b32 v27, -1, v20
	v_and_b32_e32 v20, 64, v27
	v_add_u32_e32 v28, 64, v20
	v_xor_b32_e32 v20, 32, v27
	v_cmp_lt_i32_e64 s[40:41], v20, v28
	v_cndmask_b32_e64 v20, v27, v20, s[40:41]
	v_lshlrev_b32_e32 v56, 2, v20
	ds_bpermute_b32 v29, v56, v26
	s_waitcnt vmcnt(4)
	v_mad_i64_i32 v[20:21], s[40:41], v55, s45, 0
	v_lshlrev_b64 v[20:21], 1, v[20:21]
	global_load_dwordx4 v[30:33], v[38:39], off
	global_load_dwordx4 v[22:25], v[38:39], off offset:16
	s_waitcnt lgkmcnt(0)
	v_max_f32_e32 v29, v29, v29
	v_max_f32_e32 v26, v26, v29
	v_xor_b32_e32 v29, 16, v27
	v_cmp_lt_i32_e64 s[40:41], v29, v28
	v_cndmask_b32_e64 v27, v27, v29, s[40:41]
	v_lshlrev_b32_e32 v58, 2, v27
	ds_bpermute_b32 v27, v58, v26
	v_add_co_u32_e64 v20, s[40:41], v64, v20
	v_addc_co_u32_e64 v21, s[40:41], v65, v21, s[40:41]
	s_waitcnt lgkmcnt(0)
	v_max_f32_e32 v27, v27, v27
	v_max_f32_e32 v55, v26, v27
	v_sub_f32_e32 v18, v18, v55
	v_mul_f32_e32 v18, 0x3fb8aa3b, v18
	v_exp_f32_e32 v38, v18
	v_sub_f32_e32 v18, v19, v55
	v_mul_f32_e32 v18, 0x3fb8aa3b, v18
	v_exp_f32_e32 v39, v18
	global_load_dwordx4 v[26:29], v[20:21], off
	s_nop 0
	global_load_dwordx4 v[18:21], v[20:21], off offset:16
	v_sub_f32_e32 v48, v48, v55
	v_mul_f32_e32 v48, 0x3fb8aa3b, v48
	v_sub_f32_e32 v49, v49, v55
	v_exp_f32_e32 v48, v48
	v_mul_f32_e32 v49, 0x3fb8aa3b, v49
	v_sub_f32_e32 v40, v40, v55
	v_exp_f32_e32 v49, v49
	v_mul_f32_e32 v40, 0x3fb8aa3b, v40
	v_sub_f32_e32 v41, v41, v55
	v_cndmask_b32_e64 v38, 0, v38, s[30:31]
	v_exp_f32_e32 v40, v40
	v_mul_f32_e32 v41, 0x3fb8aa3b, v41
	v_sub_f32_e32 v50, v50, v55
	v_add_f32_e32 v57, 0, v38
	v_cndmask_b32_e64 v39, 0, v39, s[34:35]
	v_exp_f32_e32 v41, v41
	v_mul_f32_e32 v50, 0x3fb8aa3b, v50
	v_sub_f32_e32 v51, v51, v55
	v_add_f32_e32 v57, v57, v39
	;; [unrolled: 5-line block ×10, first 2 shown]
	v_cndmask_b32_e64 v46, 0, v46, s[12:13]
	v_exp_f32_e32 v36, v36
	v_mul_f32_e32 v37, 0x3fb8aa3b, v37
	v_add_f32_e32 v57, v57, v46
	v_cndmask_b32_e64 v47, 0, v47, s[14:15]
	v_exp_f32_e32 v37, v37
	v_add_f32_e32 v57, v57, v47
	v_cndmask_b32_e64 v42, 0, v42, s[8:9]
	v_add_f32_e32 v57, v57, v42
	v_cndmask_b32_e64 v43, 0, v43, s[10:11]
	v_add_f32_e32 v57, v57, v43
	v_cndmask_b32_e32 v36, 0, v36, vcc
	v_add_f32_e32 v57, v57, v36
	v_cndmask_b32_e64 v37, 0, v37, s[2:3]
	v_add_f32_e32 v57, v57, v37
	ds_bpermute_b32 v56, v56, v57
	v_cmp_gt_u32_e32 vcc, 16, v54
	s_waitcnt lgkmcnt(0)
	s_barrier
	v_add_f32_e32 v57, v57, v56
	ds_bpermute_b32 v58, v58, v57
	v_lshlrev_b32_e32 v56, 2, v52
	s_and_saveexec_b64 s[2:3], vcc
	s_cbranch_execz .LBB87_15
; %bb.14:
	s_waitcnt lgkmcnt(0)
	v_add_f32_e32 v54, v57, v58
	v_lshl_or_b32 v57, v53, 6, v56
	ds_write2st64_b32 v57, v55, v54 offset1:1
.LBB87_15:
	s_or_b64 exec, exec, s[2:3]
	s_load_dword s8, s[4:5], 0x94
	s_waitcnt lgkmcnt(0)
	s_barrier
	ds_read2_b32 v[58:59], v56 offset1:16
	ds_read2_b32 v[60:61], v56 offset0:32 offset1:48
	ds_read2_b32 v[62:63], v56 offset0:64 offset1:80
	;; [unrolled: 1-line block ×3, first 2 shown]
	s_waitcnt lgkmcnt(0)
	v_max3_f32 v54, v58, s43, v59
	v_max3_f32 v54, v54, v60, v61
	v_sub_f32_e32 v55, v58, v54
	v_mul_f32_e32 v55, 0x3fb8aa3b, v55
	v_exp_f32_e32 v58, v55
	v_sub_f32_e32 v55, v59, v54
	v_mul_f32_e32 v55, 0x3fb8aa3b, v55
	v_exp_f32_e32 v59, v55
	;; [unrolled: 3-line block ×4, first 2 shown]
	v_fma_f32 v55, v58, v62, 0
	v_fmac_f32_e32 v55, v59, v63
	v_fmac_f32_e32 v55, v60, v56
	;; [unrolled: 1-line block ×3, first 2 shown]
	v_add_f32_e32 v56, 0x358637bd, v55
	v_div_scale_f32 v57, s[2:3], v56, v56, 1.0
	v_rcp_f32_e32 v62, v57
	s_barrier
	s_mul_i32 s9, s42, 12
	v_fma_f32 v63, -v57, v62, 1.0
	v_fmac_f32_e32 v62, v63, v62
	v_div_scale_f32 v63, vcc, 1.0, v56, 1.0
	v_mul_f32_e32 v64, v63, v62
	v_fma_f32 v65, -v57, v64, v63
	v_fmac_f32_e32 v64, v65, v62
	v_fma_f32 v57, -v57, v64, v63
	v_div_fmas_f32 v57, v57, v62, v64
	v_cmp_eq_u32_e32 vcc, 1, v53
	v_div_fixup_f32 v56, v57, v56, 1.0
	v_cndmask_b32_e32 v57, v58, v59, vcc
	v_cmp_eq_u32_e32 vcc, 2, v53
	v_cndmask_b32_e32 v57, v57, v60, vcc
	v_cmp_eq_u32_e32 vcc, 3, v53
	v_cndmask_b32_e32 v57, v57, v61, vcc
	v_mul_f32_e32 v56, v57, v56
	v_pk_mul_f32 v[48:49], v[56:57], v[48:49] op_sel_hi:[0,1]
	v_pk_mul_f32 v[38:39], v[56:57], v[38:39] op_sel_hi:[0,1]
	v_cvt_f16_f32_e32 v57, v48
	v_cvt_f16_f32_e32 v38, v38
	;; [unrolled: 1-line block ×4, first 2 shown]
	v_pk_mul_f32 v[50:51], v[56:57], v[50:51] op_sel_hi:[0,1]
	v_pk_mul_f32 v[40:41], v[56:57], v[40:41] op_sel_hi:[0,1]
	v_cvt_f16_f32_e32 v40, v40
	v_cvt_f16_f32_e32 v41, v41
	;; [unrolled: 1-line block ×4, first 2 shown]
	v_pack_b32_f16 v48, v38, v39
	v_lshlrev_b32_e32 v38, 3, v1
	v_lshlrev_b32_e32 v39, 5, v52
	;; [unrolled: 1-line block ×3, first 2 shown]
	v_pack_b32_f16 v49, v57, v49
	v_or3_b32 v38, v53, v39, v38
	v_pack_b32_f16 v40, v40, v41
	v_pack_b32_f16 v41, v50, v51
	ds_write2st64_b64 v38, v[48:49], v[40:41] offset1:1
	v_pk_mul_f32 v[40:41], v[56:57], v[46:47] op_sel_hi:[0,1]
	v_pk_mul_f32 v[44:45], v[56:57], v[44:45] op_sel_hi:[0,1]
	v_cvt_f16_f32_e32 v46, v40
	v_cvt_f16_f32_e32 v47, v41
	v_pk_mul_f32 v[36:37], v[56:57], v[36:37] op_sel_hi:[0,1]
	v_pk_mul_f32 v[40:41], v[56:57], v[42:43] op_sel_hi:[0,1]
	v_cvt_f16_f32_e32 v44, v44
	v_cvt_f16_f32_e32 v45, v45
	;; [unrolled: 1-line block ×6, first 2 shown]
	v_pack_b32_f16 v36, v44, v45
	v_pack_b32_f16 v37, v46, v47
	;; [unrolled: 1-line block ×4, first 2 shown]
	v_cmp_gt_u32_e32 vcc, 12, v0
	ds_write2st64_b64 v38, v[36:37], v[40:41] offset0:2 offset1:3
	s_and_saveexec_b64 s[2:3], vcc
	s_cbranch_execz .LBB87_17
; %bb.16:
	v_add_co_u32_e32 v40, vcc, s29, v52
	v_addc_co_u32_e64 v41, s[10:11], 0, 0, vcc
	v_mov_b32_e32 v36, s9
	v_mov_b32_e32 v37, 0
	v_mad_u64_u32 v[40:41], s[10:11], s6, v36, v[40:41]
	v_mov_b32_e32 v36, s28
	s_load_dwordx4 s[12:15], s[4:5], 0x58
	s_mul_i32 s7, s7, s9
	v_mad_u64_u32 v[36:37], s[10:11], v40, s8, v[36:37]
	v_add_u32_e32 v41, s7, v41
	v_mov_b32_e32 v40, v37
	v_mad_u64_u32 v[40:41], s[10:11], v41, s8, v[40:41]
	v_mov_b32_e32 v37, v40
	v_lshlrev_b64 v[36:37], 2, v[36:37]
	s_waitcnt lgkmcnt(0)
	v_mov_b32_e32 v41, s15
	v_add_co_u32_e32 v40, vcc, s14, v36
	v_addc_co_u32_e32 v41, vcc, v41, v37, vcc
	global_store_dword v[40:41], v54, off
	v_mov_b32_e32 v40, s13
	v_add_co_u32_e32 v36, vcc, s12, v36
	v_addc_co_u32_e32 v37, vcc, v40, v37, vcc
	global_store_dword v[36:37], v55, off
.LBB87_17:
	s_or_b64 exec, exec, s[2:3]
	v_lshl_or_b32 v36, v1, 9, v39
	s_waitcnt lgkmcnt(0)
	s_barrier
	ds_read_b128 v[40:43], v36
	ds_read_b128 v[44:47], v36 offset:16
	s_waitcnt vmcnt(7) lgkmcnt(1)
	v_mfma_f32_16x16x16f16 v[48:51], v[14:15], v[40:41], 0
	v_cmp_gt_u32_e32 vcc, 64, v0
	s_mov_b32 s3, 0
	s_and_b64 s[0:1], vcc, s[0:1]
	v_mfma_f32_16x16x16f16 v[14:17], v[16:17], v[42:43], v[48:51]
	s_waitcnt vmcnt(6) lgkmcnt(0)
	v_mfma_f32_16x16x16f16 v[14:17], v[10:11], v[44:45], v[14:17]
	v_mfma_f32_16x16x16f16 v[10:13], v[12:13], v[46:47], v[14:17]
	s_nop 7
	s_nop 1
	ds_read_b128 v[14:17], v36 offset:2048
	ds_read_b128 v[40:43], v36 offset:2064
	s_waitcnt vmcnt(5) lgkmcnt(1)
	v_mfma_f32_16x16x16f16 v[10:13], v[6:7], v[14:15], v[10:13]
	v_mfma_f32_16x16x16f16 v[6:9], v[8:9], v[16:17], v[10:13]
	s_waitcnt vmcnt(4) lgkmcnt(0)
	v_mfma_f32_16x16x16f16 v[6:9], v[2:3], v[40:41], v[6:9]
	v_mfma_f32_16x16x16f16 v[2:5], v[4:5], v[42:43], v[6:9]
	s_nop 7
	s_nop 1
	ds_read_b128 v[6:9], v36 offset:4096
	ds_read_b128 v[10:13], v36 offset:4112
	s_waitcnt vmcnt(3) lgkmcnt(1)
	v_mfma_f32_16x16x16f16 v[2:5], v[30:31], v[6:7], v[2:5]
	v_mfma_f32_16x16x16f16 v[2:5], v[32:33], v[8:9], v[2:5]
	s_waitcnt vmcnt(2) lgkmcnt(0)
	v_mfma_f32_16x16x16f16 v[2:5], v[22:23], v[10:11], v[2:5]
	v_mfma_f32_16x16x16f16 v[2:5], v[24:25], v[12:13], v[2:5]
	ds_read_b128 v[6:9], v36 offset:6144
	ds_read_b128 v[10:13], v36 offset:6160
	s_waitcnt lgkmcnt(0)
	s_barrier
	s_waitcnt vmcnt(1)
	v_mfma_f32_16x16x16f16 v[2:5], v[26:27], v[6:7], v[2:5]
	v_mfma_f32_16x16x16f16 v[2:5], v[28:29], v[8:9], v[2:5]
	s_waitcnt vmcnt(0)
	v_mfma_f32_16x16x16f16 v[2:5], v[18:19], v[10:11], v[2:5]
	v_mfma_f32_16x16x16f16 v[2:5], v[20:21], v[12:13], v[2:5]
	s_nop 7
	s_nop 2
	v_cvt_f16_f32_e32 v2, v2
	v_cvt_f16_f32_e32 v3, v3
	;; [unrolled: 1-line block ×4, first 2 shown]
	v_pack_b32_f16 v2, v2, v3
	v_pack_b32_f16 v3, v4, v5
	ds_write_b64 v38, v[2:3]
	s_waitcnt lgkmcnt(0)
	s_barrier
	s_and_saveexec_b64 s[10:11], s[0:1]
	s_cbranch_execz .LBB87_19
; %bb.18:
	s_load_dwordx2 s[0:1], s[4:5], 0x68
	s_lshl_b32 s7, s8, 6
	s_mul_i32 s2, s9, s6
	s_mul_hi_u32 s5, s2, s7
	s_mul_i32 s4, s2, s7
	s_lshl_b64 s[4:5], s[4:5], 1
	s_waitcnt lgkmcnt(0)
	s_add_u32 s4, s0, s4
	s_addc_u32 s5, s1, s5
	s_lshl_b32 s2, s28, 6
	v_lshlrev_b32_e32 v2, 10, v0
	v_lshlrev_b32_e32 v0, 4, v0
	s_lshl_b64 s[0:1], s[2:3], 1
	v_and_b32_e32 v2, 0x1800, v2
	v_lshlrev_b32_e32 v3, 5, v1
	v_and_b32_e32 v0, 16, v0
	s_add_u32 s0, s4, s0
	v_or3_b32 v0, v2, v3, v0
	s_addc_u32 s1, s5, s1
	ds_read_b128 v[2:5], v0
	ds_read_b128 v[6:9], v0 offset:128
	ds_read_b128 v[10:13], v0 offset:256
	v_or_b32_e32 v14, s29, v1
	v_mov_b32_e32 v0, s1
	v_add_co_u32_e32 v15, vcc, s0, v34
	v_addc_co_u32_e32 v16, vcc, v0, v35, vcc
	v_mad_u64_u32 v[0:1], s[0:1], v14, s7, 0
	v_lshlrev_b64 v[0:1], 1, v[0:1]
	v_add_co_u32_e32 v0, vcc, v15, v0
	v_addc_co_u32_e32 v1, vcc, v16, v1, vcc
	s_waitcnt lgkmcnt(2)
	global_store_dwordx4 v[0:1], v[2:5], off
	v_add_u32_e32 v0, 4, v14
	v_mad_u64_u32 v[0:1], s[0:1], v0, s7, 0
	v_lshlrev_b64 v[0:1], 1, v[0:1]
	v_add_co_u32_e32 v0, vcc, v15, v0
	v_addc_co_u32_e32 v1, vcc, v16, v1, vcc
	s_waitcnt lgkmcnt(1)
	global_store_dwordx4 v[0:1], v[6:9], off
	v_add_u32_e32 v0, 8, v14
	v_mad_u64_u32 v[0:1], s[0:1], v0, s7, 0
	v_lshlrev_b64 v[0:1], 1, v[0:1]
	v_add_co_u32_e32 v0, vcc, v15, v0
	v_addc_co_u32_e32 v1, vcc, v16, v1, vcc
	s_waitcnt lgkmcnt(0)
	global_store_dwordx4 v[0:1], v[10:13], off
.LBB87_19:
	s_endpgm
	.section	.rodata,"a",@progbits
	.p2align	6, 0x0
	.amdhsa_kernel _Z39paged_attention_ll4mi_QKV_mfma16_kernelIDF16_DF16_LN4vllm18Fp8KVCacheDataTypeE0EDF16_Li32ELi64ELi256ELb0ELi12EL8MFMAType0EEvPKT_PKT0_S8_ifPKiSA_SA_iPKfiiiPfSD_PS3_PT2_iSC_SC_
		.amdhsa_group_segment_fixed_size 8192
		.amdhsa_private_segment_fixed_size 0
		.amdhsa_kernarg_size 400
		.amdhsa_user_sgpr_count 6
		.amdhsa_user_sgpr_private_segment_buffer 1
		.amdhsa_user_sgpr_dispatch_ptr 0
		.amdhsa_user_sgpr_queue_ptr 0
		.amdhsa_user_sgpr_kernarg_segment_ptr 1
		.amdhsa_user_sgpr_dispatch_id 0
		.amdhsa_user_sgpr_flat_scratch_init 0
		.amdhsa_user_sgpr_kernarg_preload_length 0
		.amdhsa_user_sgpr_kernarg_preload_offset 0
		.amdhsa_user_sgpr_private_segment_size 0
		.amdhsa_uses_dynamic_stack 0
		.amdhsa_system_sgpr_private_segment_wavefront_offset 0
		.amdhsa_system_sgpr_workgroup_id_x 1
		.amdhsa_system_sgpr_workgroup_id_y 1
		.amdhsa_system_sgpr_workgroup_id_z 1
		.amdhsa_system_sgpr_workgroup_info 0
		.amdhsa_system_vgpr_workitem_id 0
		.amdhsa_next_free_vgpr 66
		.amdhsa_next_free_sgpr 48
		.amdhsa_accum_offset 68
		.amdhsa_reserve_vcc 1
		.amdhsa_reserve_flat_scratch 0
		.amdhsa_float_round_mode_32 0
		.amdhsa_float_round_mode_16_64 0
		.amdhsa_float_denorm_mode_32 3
		.amdhsa_float_denorm_mode_16_64 3
		.amdhsa_dx10_clamp 1
		.amdhsa_ieee_mode 1
		.amdhsa_fp16_overflow 0
		.amdhsa_tg_split 0
		.amdhsa_exception_fp_ieee_invalid_op 0
		.amdhsa_exception_fp_denorm_src 0
		.amdhsa_exception_fp_ieee_div_zero 0
		.amdhsa_exception_fp_ieee_overflow 0
		.amdhsa_exception_fp_ieee_underflow 0
		.amdhsa_exception_fp_ieee_inexact 0
		.amdhsa_exception_int_div_zero 0
	.end_amdhsa_kernel
	.section	.text._Z39paged_attention_ll4mi_QKV_mfma16_kernelIDF16_DF16_LN4vllm18Fp8KVCacheDataTypeE0EDF16_Li32ELi64ELi256ELb0ELi12EL8MFMAType0EEvPKT_PKT0_S8_ifPKiSA_SA_iPKfiiiPfSD_PS3_PT2_iSC_SC_,"axG",@progbits,_Z39paged_attention_ll4mi_QKV_mfma16_kernelIDF16_DF16_LN4vllm18Fp8KVCacheDataTypeE0EDF16_Li32ELi64ELi256ELb0ELi12EL8MFMAType0EEvPKT_PKT0_S8_ifPKiSA_SA_iPKfiiiPfSD_PS3_PT2_iSC_SC_,comdat
.Lfunc_end87:
	.size	_Z39paged_attention_ll4mi_QKV_mfma16_kernelIDF16_DF16_LN4vllm18Fp8KVCacheDataTypeE0EDF16_Li32ELi64ELi256ELb0ELi12EL8MFMAType0EEvPKT_PKT0_S8_ifPKiSA_SA_iPKfiiiPfSD_PS3_PT2_iSC_SC_, .Lfunc_end87-_Z39paged_attention_ll4mi_QKV_mfma16_kernelIDF16_DF16_LN4vllm18Fp8KVCacheDataTypeE0EDF16_Li32ELi64ELi256ELb0ELi12EL8MFMAType0EEvPKT_PKT0_S8_ifPKiSA_SA_iPKfiiiPfSD_PS3_PT2_iSC_SC_
                                        ; -- End function
	.section	.AMDGPU.csdata,"",@progbits
; Kernel info:
; codeLenInByte = 4088
; NumSgprs: 52
; NumVgprs: 66
; NumAgprs: 0
; TotalNumVgprs: 66
; ScratchSize: 0
; MemoryBound: 0
; FloatMode: 240
; IeeeMode: 1
; LDSByteSize: 8192 bytes/workgroup (compile time only)
; SGPRBlocks: 6
; VGPRBlocks: 8
; NumSGPRsForWavesPerEU: 52
; NumVGPRsForWavesPerEU: 66
; AccumOffset: 68
; Occupancy: 7
; WaveLimiterHint : 1
; COMPUTE_PGM_RSRC2:SCRATCH_EN: 0
; COMPUTE_PGM_RSRC2:USER_SGPR: 6
; COMPUTE_PGM_RSRC2:TRAP_HANDLER: 0
; COMPUTE_PGM_RSRC2:TGID_X_EN: 1
; COMPUTE_PGM_RSRC2:TGID_Y_EN: 1
; COMPUTE_PGM_RSRC2:TGID_Z_EN: 1
; COMPUTE_PGM_RSRC2:TIDIG_COMP_CNT: 0
; COMPUTE_PGM_RSRC3_GFX90A:ACCUM_OFFSET: 16
; COMPUTE_PGM_RSRC3_GFX90A:TG_SPLIT: 0
	.section	.text._Z39paged_attention_ll4mi_QKV_mfma16_kernelIDF16_DF16_LN4vllm18Fp8KVCacheDataTypeE0EDF16_Li32ELi64ELi256ELb0ELi13EL8MFMAType0EEvPKT_PKT0_S8_ifPKiSA_SA_iPKfiiiPfSD_PS3_PT2_iSC_SC_,"axG",@progbits,_Z39paged_attention_ll4mi_QKV_mfma16_kernelIDF16_DF16_LN4vllm18Fp8KVCacheDataTypeE0EDF16_Li32ELi64ELi256ELb0ELi13EL8MFMAType0EEvPKT_PKT0_S8_ifPKiSA_SA_iPKfiiiPfSD_PS3_PT2_iSC_SC_,comdat
	.protected	_Z39paged_attention_ll4mi_QKV_mfma16_kernelIDF16_DF16_LN4vllm18Fp8KVCacheDataTypeE0EDF16_Li32ELi64ELi256ELb0ELi13EL8MFMAType0EEvPKT_PKT0_S8_ifPKiSA_SA_iPKfiiiPfSD_PS3_PT2_iSC_SC_ ; -- Begin function _Z39paged_attention_ll4mi_QKV_mfma16_kernelIDF16_DF16_LN4vllm18Fp8KVCacheDataTypeE0EDF16_Li32ELi64ELi256ELb0ELi13EL8MFMAType0EEvPKT_PKT0_S8_ifPKiSA_SA_iPKfiiiPfSD_PS3_PT2_iSC_SC_
	.globl	_Z39paged_attention_ll4mi_QKV_mfma16_kernelIDF16_DF16_LN4vllm18Fp8KVCacheDataTypeE0EDF16_Li32ELi64ELi256ELb0ELi13EL8MFMAType0EEvPKT_PKT0_S8_ifPKiSA_SA_iPKfiiiPfSD_PS3_PT2_iSC_SC_
	.p2align	8
	.type	_Z39paged_attention_ll4mi_QKV_mfma16_kernelIDF16_DF16_LN4vllm18Fp8KVCacheDataTypeE0EDF16_Li32ELi64ELi256ELb0ELi13EL8MFMAType0EEvPKT_PKT0_S8_ifPKiSA_SA_iPKfiiiPfSD_PS3_PT2_iSC_SC_,@function
_Z39paged_attention_ll4mi_QKV_mfma16_kernelIDF16_DF16_LN4vllm18Fp8KVCacheDataTypeE0EDF16_Li32ELi64ELi256ELb0ELi13EL8MFMAType0EEvPKT_PKT0_S8_ifPKiSA_SA_iPKfiiiPfSD_PS3_PT2_iSC_SC_: ; @_Z39paged_attention_ll4mi_QKV_mfma16_kernelIDF16_DF16_LN4vllm18Fp8KVCacheDataTypeE0EDF16_Li32ELi64ELi256ELb0ELi13EL8MFMAType0EEvPKT_PKT0_S8_ifPKiSA_SA_iPKfiiiPfSD_PS3_PT2_iSC_SC_
; %bb.0:
	s_load_dwordx2 s[0:1], s[4:5], 0x30
	s_mov_b32 s28, s7
	s_mov_b64 s[10:11], 0
	s_waitcnt lgkmcnt(0)
	s_cmp_lg_u64 s[0:1], 0
	s_cselect_b64 s[2:3], -1, 0
	s_and_b64 vcc, exec, s[2:3]
	s_cbranch_vccz .LBB88_7
; %bb.1:
	s_add_i32 s12, s6, 1
	s_mov_b32 s13, 0
	s_lshl_b64 s[14:15], s[12:13], 2
	s_add_u32 s14, s0, s14
	s_mov_b32 s7, s13
	s_addc_u32 s15, s1, s15
	s_lshl_b64 s[12:13], s[6:7], 2
	s_add_u32 s12, s0, s12
	s_addc_u32 s13, s1, s13
	s_load_dword s9, s[14:15], 0x0
	s_load_dword s16, s[12:13], 0x0
	s_waitcnt lgkmcnt(0)
	s_sub_i32 s9, s9, s16
	s_cmp_eq_u32 s9, 1
	s_cselect_b64 s[12:13], -1, 0
	s_andn2_b64 vcc, exec, s[10:11]
	s_cbranch_vccnz .LBB88_3
.LBB88_2:
	s_mov_b32 s7, 0
	s_mov_b64 s[12:13], -1
.LBB88_3:
	s_andn2_b64 vcc, exec, s[12:13]
	s_cbranch_vccnz .LBB88_20
; %bb.4:
	s_load_dwordx2 s[12:13], s[4:5], 0x28
	s_lshl_b64 s[10:11], s[6:7], 2
	s_waitcnt lgkmcnt(0)
	s_add_u32 s12, s12, s10
	s_addc_u32 s13, s13, s11
	s_load_dword s33, s[12:13], 0x0
	s_lshl_b32 s16, s28, 8
	s_waitcnt lgkmcnt(0)
	s_cmp_ge_i32 s16, s33
	s_cbranch_scc1 .LBB88_20
; %bb.5:
	s_add_i32 s14, s33, 31
	s_load_dwordx2 s[12:13], s[4:5], 0x20
	s_load_dword s9, s[4:5], 0x38
	s_ashr_i32 s15, s14, 31
	v_and_b32_e32 v1, 0xcf, v0
	s_lshr_b32 s15, s15, 27
	v_add_u32_e32 v1, s16, v1
	s_add_i32 s14, s14, s15
	v_ashrrev_i32_e32 v2, 31, v1
	s_ashr_i32 s19, s14, 5
	v_lshrrev_b32_e32 v6, 27, v2
	s_add_i32 s19, s19, -1
	v_add_u32_e32 v2, v1, v6
	s_waitcnt lgkmcnt(0)
	s_mul_i32 s14, s6, s9
	s_mov_b32 s15, 0
	v_ashrrev_i32_e32 v2, 5, v2
	v_mov_b32_e32 v7, s19
	v_cmp_gt_i32_e32 vcc, s33, v1
	s_lshl_b64 s[14:15], s[14:15], 2
	v_cndmask_b32_e32 v2, v7, v2, vcc
	s_add_u32 s17, s12, s14
	v_ashrrev_i32_e32 v3, 31, v2
	s_addc_u32 s18, s13, s15
	v_lshlrev_b64 v[2:3], 2, v[2:3]
	v_mov_b32_e32 v4, s18
	v_add_co_u32_e32 v2, vcc, s17, v2
	v_addc_co_u32_e32 v3, vcc, v4, v3, vcc
	v_or_b32_e32 v4, 16, v1
	v_add_u32_e32 v5, v4, v6
	v_ashrrev_i32_e32 v5, 5, v5
	v_cmp_gt_i32_e32 vcc, s33, v4
	v_cndmask_b32_e32 v4, v7, v5, vcc
	v_ashrrev_i32_e32 v5, 31, v4
	v_lshlrev_b64 v[4:5], 2, v[4:5]
	v_mov_b32_e32 v9, s18
	v_add_co_u32_e32 v8, vcc, s17, v4
	v_or_b32_e32 v4, 32, v1
	v_addc_co_u32_e32 v9, vcc, v9, v5, vcc
	v_add_u32_e32 v5, v4, v6
	v_ashrrev_i32_e32 v5, 5, v5
	v_cmp_gt_i32_e32 vcc, s33, v4
	v_cndmask_b32_e32 v4, v7, v5, vcc
	v_ashrrev_i32_e32 v5, 31, v4
	v_lshlrev_b64 v[4:5], 2, v[4:5]
	v_mov_b32_e32 v11, s18
	v_add_co_u32_e32 v10, vcc, s17, v4
	v_or_b32_e32 v1, 48, v1
	v_addc_co_u32_e32 v11, vcc, v11, v5, vcc
	v_add_u32_e32 v4, v1, v6
	v_ashrrev_i32_e32 v4, 5, v4
	v_cmp_gt_i32_e32 vcc, s33, v1
	v_cndmask_b32_e32 v4, v7, v4, vcc
	v_ashrrev_i32_e32 v5, 31, v4
	v_lshlrev_b64 v[4:5], 2, v[4:5]
	v_mov_b32_e32 v1, s18
	v_add_co_u32_e32 v12, vcc, s17, v4
	v_addc_co_u32_e32 v13, vcc, v1, v5, vcc
	global_load_dword v4, v[2:3], off
	global_load_dword v6, v[8:9], off
	;; [unrolled: 1-line block ×4, first 2 shown]
	s_andn2_b64 vcc, exec, s[2:3]
	s_cbranch_vccnz .LBB88_8
; %bb.6:
	s_add_u32 s0, s0, s10
	s_addc_u32 s1, s1, s11
	s_load_dword s9, s[0:1], 0x0
	s_branch .LBB88_9
.LBB88_7:
	s_mov_b64 s[12:13], 0
	s_branch .LBB88_2
.LBB88_8:
	s_mov_b32 s9, s6
.LBB88_9:
	s_load_dwordx4 s[12:15], s[4:5], 0x8
	s_load_dwordx4 s[44:47], s[4:5], 0x48
	v_lshrrev_b32_e32 v53, 6, v0
	v_bfe_u32 v1, v0, 4, 2
	v_lshl_or_b32 v5, v53, 2, v1
	v_and_b32_e32 v52, 15, v0
	v_cmp_lt_u32_e32 vcc, 12, v5
	v_cmp_lt_u32_e64 s[2:3], 7, v52
	v_lshlrev_b32_e32 v2, 3, v52
	v_cmp_gt_u32_e64 s[0:1], 8, v52
	s_or_b64 s[2:3], s[2:3], vcc
	s_and_saveexec_b64 s[10:11], s[2:3]
	s_xor_b64 s[2:3], exec, s[10:11]
; %bb.10:
	v_mov_b32_e32 v3, 0
                                        ; implicit-def: $vgpr5
; %bb.11:
	s_or_saveexec_b64 s[2:3], s[2:3]
	v_and_b32_e32 v54, 63, v0
	s_mul_i32 s29, s8, 13
	s_xor_b64 exec, exec, s[2:3]
	s_cbranch_execz .LBB88_13
; %bb.12:
	s_load_dwordx2 s[10:11], s[4:5], 0x0
	s_waitcnt lgkmcnt(0)
	s_ashr_i32 s20, s44, 31
	s_mul_hi_u32 s21, s9, s44
	s_mul_i32 s20, s9, s20
	s_add_i32 s21, s21, s20
	s_mul_i32 s20, s9, s44
	s_lshl_b64 s[20:21], s[20:21], 1
	v_add_lshl_u32 v8, v5, s29, 6
	s_add_u32 s9, s10, s20
	v_ashrrev_i32_e32 v9, 31, v8
	s_addc_u32 s10, s11, s21
	v_lshlrev_b64 v[8:9], 1, v[8:9]
	v_mov_b32_e32 v3, s10
	v_add_co_u32_e32 v7, vcc, s9, v8
	v_addc_co_u32_e32 v3, vcc, v3, v9, vcc
	v_lshlrev_b32_e32 v8, 1, v2
	v_add_co_u32_e32 v8, vcc, v7, v8
	v_addc_co_u32_e32 v9, vcc, 0, v3, vcc
	global_load_dwordx4 v[8:11], v[8:9], off
	v_and_b32_e32 v7, 3, v0
	v_lshlrev_b32_e32 v12, 9, v52
	v_lshlrev_b32_e32 v5, 5, v5
	;; [unrolled: 1-line block ×3, first 2 shown]
	v_and_b32_e32 v12, 0x1800, v12
	v_mov_b32_e32 v3, 0
	v_or3_b32 v5, v12, v7, v5
	s_waitcnt vmcnt(0)
	ds_write_b128 v5, v[8:11]
.LBB88_13:
	s_or_b64 exec, exec, s[2:3]
	s_waitcnt lgkmcnt(0)
	s_mul_i32 s8, s8, s46
	s_mov_b32 s9, 0
	s_lshl_b64 s[8:9], s[8:9], 1
	s_add_u32 s3, s12, s8
	s_waitcnt vmcnt(3)
	v_mad_i64_i32 v[4:5], s[10:11], v4, s45, 0
	s_addc_u32 s12, s13, s9
	v_lshlrev_b64 v[4:5], 1, v[4:5]
	v_mov_b32_e32 v7, s12
	v_add_co_u32_e32 v4, vcc, s3, v4
	v_addc_co_u32_e32 v5, vcc, v7, v5, vcc
	v_lshlrev_b64 v[34:35], 1, v[2:3]
	v_add_co_u32_e32 v2, vcc, v4, v34
	v_lshlrev_b32_e32 v28, 9, v1
	v_addc_co_u32_e32 v3, vcc, v5, v35, vcc
	v_add_co_u32_e32 v20, vcc, v2, v28
	v_addc_co_u32_e32 v21, vcc, 0, v3, vcc
	s_load_dword s42, s[4:5], 0x98
	s_load_dword s2, s[4:5], 0x1c
	s_waitcnt lgkmcnt(0)
	s_barrier
	global_load_dwordx4 v[2:5], v[20:21], off
	s_waitcnt vmcnt(3)
	v_mad_i64_i32 v[6:7], s[10:11], v6, s45, 0
	v_lshlrev_b64 v[6:7], 1, v[6:7]
	v_mov_b32_e32 v8, s12
	v_add_co_u32_e32 v6, vcc, s3, v6
	v_addc_co_u32_e32 v7, vcc, v8, v7, vcc
	v_mov_b32_e32 v8, 0x100
	v_lshl_or_b32 v29, v52, 4, v8
	v_add_co_u32_e32 v6, vcc, v6, v29
	v_addc_co_u32_e32 v7, vcc, 0, v7, vcc
	v_add_co_u32_e32 v22, vcc, v6, v28
	v_addc_co_u32_e32 v23, vcc, 0, v7, vcc
	global_load_dwordx4 v[10:13], v[22:23], off
	global_load_dwordx4 v[14:17], v[20:21], off offset:2048
	global_load_dwordx4 v[6:9], v[22:23], off offset:2048
	v_add_u32_e32 v22, -13, v52
	v_cmp_gt_u32_e32 vcc, 13, v52
	s_waitcnt vmcnt(5)
	v_mad_i64_i32 v[20:21], s[10:11], v19, s45, 0
	s_waitcnt vmcnt(4)
	v_mad_i64_i32 v[18:19], s[10:11], v18, s45, 0
	v_cndmask_b32_e32 v22, v22, v52, vcc
	v_lshlrev_b64 v[26:27], 1, v[18:19]
	v_lshl_add_u32 v18, v22, 5, v28
	v_lshlrev_b64 v[32:33], 1, v[20:21]
	ds_read_b128 v[22:25], v18
	ds_read_b128 v[18:21], v18 offset:2048
	v_mov_b32_e32 v36, s12
	v_add_co_u32_e32 v32, vcc, s3, v32
	v_addc_co_u32_e32 v33, vcc, v36, v33, vcc
	v_mov_b32_e32 v50, s12
	v_and_or_b32 v31, v0, 48, s16
	s_ashr_i32 s10, s16, 31
	v_or_b32_e32 v49, 64, v31
	s_lshr_b32 s10, s10, 27
	v_mov_b32_e32 v30, s19
	v_mov_b32_e32 v48, s18
	s_mov_b32 s43, 0xff7fffff
	s_waitcnt vmcnt(3) lgkmcnt(1)
	v_mfma_f32_16x16x16f16 v[36:39], v[2:3], v[22:23], 0
	v_add_co_u32_e32 v2, vcc, v32, v34
	v_addc_co_u32_e32 v3, vcc, v33, v35, vcc
	v_add_co_u32_e32 v32, vcc, v2, v28
	v_addc_co_u32_e32 v33, vcc, 0, v3, vcc
	global_load_dwordx4 v[44:47], v[32:33], off
	v_mfma_f32_16x16x16f16 v[2:5], v[4:5], v[24:25], v[36:39]
	s_waitcnt vmcnt(3)
	v_mfma_f32_16x16x16f16 v[40:43], v[10:11], v[22:23], 0
	v_add_co_u32_e32 v10, vcc, s3, v26
	v_addc_co_u32_e32 v11, vcc, v50, v27, vcc
	v_add_co_u32_e32 v10, vcc, v10, v29
	v_add_u32_e32 v26, s10, v31
	v_add_u32_e32 v27, s10, v49
	v_addc_co_u32_e32 v11, vcc, 0, v11, vcc
	v_ashrrev_i32_e32 v36, 5, v26
	v_ashrrev_i32_e32 v50, 5, v27
	v_add_co_u32_e32 v10, vcc, v10, v28
	global_load_dwordx4 v[26:29], v[32:33], off offset:2048
	s_waitcnt vmcnt(3) lgkmcnt(0)
	v_mfma_f32_16x16x16f16 v[2:5], v[14:15], v[18:19], v[2:5]
	v_addc_co_u32_e32 v11, vcc, 0, v11, vcc
	v_cmp_gt_i32_e32 vcc, s33, v31
	v_cndmask_b32_e32 v14, v30, v36, vcc
	v_ashrrev_i32_e32 v15, 31, v14
	global_load_dwordx4 v[36:39], v[10:11], off
	global_load_dwordx4 v[56:59], v[10:11], off offset:2048
	v_lshlrev_b64 v[10:11], 2, v[14:15]
	v_mfma_f32_16x16x16f16 v[60:63], v[16:17], v[20:21], v[2:5]
	v_mov_b32_e32 v15, s18
	s_add_u32 s3, s14, s8
	s_addc_u32 s8, s15, s9
	s_nop 3
	v_add_co_u32_e32 v2, vcc, s17, v10
	v_addc_co_u32_e32 v3, vcc, v48, v11, vcc
	global_load_dword v14, v[2:3], off
	v_cmp_gt_i32_e32 vcc, s33, v49
	v_cndmask_b32_e32 v2, v30, v50, vcc
	v_ashrrev_i32_e32 v3, 31, v2
	v_lshlrev_b64 v[10:11], 2, v[2:3]
	v_mfma_f32_16x16x16f16 v[2:5], v[12:13], v[24:25], v[40:43]
	v_add_co_u32_e32 v10, vcc, s17, v10
	v_addc_co_u32_e32 v11, vcc, v15, v11, vcc
	global_load_dword v32, v[10:11], off
	v_or_b32_e32 v10, 0x80, v31
	v_add_u32_e32 v11, s10, v10
	v_ashrrev_i32_e32 v11, 5, v11
	v_cmp_gt_i32_e32 vcc, s33, v10
	s_waitcnt vmcnt(6)
	v_mfma_f32_16x16x16f16 v[2:5], v[6:7], v[18:19], v[2:5]
	v_cndmask_b32_e32 v10, v30, v11, vcc
	v_ashrrev_i32_e32 v11, 31, v10
	v_lshlrev_b64 v[6:7], 2, v[10:11]
	v_mov_b32_e32 v10, s18
	v_add_co_u32_e32 v6, vcc, s17, v6
	v_addc_co_u32_e32 v7, vcc, v10, v7, vcc
	global_load_dword v33, v[6:7], off
	v_mfma_f32_16x16x16f16 v[40:43], v[8:9], v[20:21], v[2:5]
	v_or_b32_e32 v6, 0xc0, v31
	v_add_u32_e32 v7, s10, v6
	v_ashrrev_i32_e32 v7, 5, v7
	v_cmp_gt_i32_e32 vcc, s33, v6
	v_cndmask_b32_e32 v6, v30, v7, vcc
	v_ashrrev_i32_e32 v7, 31, v6
	v_lshlrev_b64 v[6:7], 2, v[6:7]
	s_waitcnt vmcnt(6)
	v_mfma_f32_16x16x16f16 v[2:5], v[44:45], v[22:23], 0
	v_mov_b32_e32 v8, s18
	v_add_co_u32_e32 v6, vcc, s17, v6
	v_addc_co_u32_e32 v7, vcc, v8, v7, vcc
	global_load_dword v55, v[6:7], off
	v_and_b32_e32 v6, 16, v0
	v_mfma_f32_16x16x16f16 v[2:5], v[46:47], v[24:25], v[2:5]
	v_lshlrev_b32_e32 v6, 1, v6
	v_mov_b32_e32 v7, s8
	v_add_co_u32_e32 v6, vcc, s3, v6
	v_lshlrev_b32_e32 v8, 6, v52
	v_addc_co_u32_e32 v7, vcc, 0, v7, vcc
	s_waitcnt vmcnt(6)
	v_mfma_f32_16x16x16f16 v[2:5], v[26:27], v[18:19], v[2:5]
	v_lshl_or_b32 v8, v53, 10, v8
	v_add_co_u32_e32 v64, vcc, v6, v8
	v_addc_co_u32_e32 v65, vcc, 0, v7, vcc
	v_pk_mul_f32 v[50:51], s[2:3], v[42:43] op_sel_hi:[0,1]
	v_pk_mul_f32 v[48:49], s[2:3], v[62:63] op_sel_hi:[0,1]
	v_mfma_f32_16x16x16f16 v[26:29], v[28:29], v[20:21], v[2:5]
	v_pk_mul_f32 v[40:41], s[2:3], v[40:41] op_sel_hi:[0,1]
	s_waitcnt vmcnt(1)
	v_mad_i64_i32 v[30:31], s[8:9], v33, s45, 0
	s_nop 3
	v_mad_i64_i32 v[2:3], s[8:9], v14, s45, 0
	v_lshlrev_b64 v[6:7], 1, v[2:3]
	v_mfma_f32_16x16x16f16 v[2:5], v[36:37], v[22:23], 0
	s_nop 0
	v_pk_mul_f32 v[44:45], s[2:3], v[26:27] op_sel_hi:[0,1]
	v_add_co_u32_e32 v6, vcc, v64, v6
	v_addc_co_u32_e32 v7, vcc, v65, v7, vcc
	global_load_dwordx4 v[14:17], v[6:7], off
	global_load_dwordx4 v[10:13], v[6:7], off offset:16
	v_mad_i64_i32 v[6:7], s[8:9], v32, s45, 0
	v_mfma_f32_16x16x16f16 v[22:25], v[38:39], v[24:25], v[2:5]
	v_pk_mul_f32 v[46:47], s[2:3], v[28:29] op_sel_hi:[0,1]
	v_lshlrev_b64 v[6:7], 1, v[6:7]
	v_lshlrev_b64 v[30:31], 1, v[30:31]
	v_mfma_f32_16x16x16f16 v[22:25], v[56:57], v[18:19], v[22:25]
	v_pk_mul_f32 v[18:19], s[2:3], v[60:61] op_sel_hi:[0,1]
	s_nop 1
	v_add_co_u32_e32 v2, vcc, v64, v6
	v_addc_co_u32_e32 v3, vcc, v65, v7, vcc
	v_add_co_u32_e32 v38, vcc, v64, v30
	v_mfma_f32_16x16x16f16 v[20:23], v[58:59], v[20:21], v[22:25]
	v_addc_co_u32_e32 v39, vcc, v65, v31, vcc
	global_load_dwordx4 v[6:9], v[2:3], off
	s_nop 0
	global_load_dwordx4 v[2:5], v[2:3], off offset:16
	s_nop 6
	v_pk_mul_f32 v[42:43], s[2:3], v[20:21] op_sel_hi:[0,1]
	v_and_b32_e32 v20, 0xc0, v0
	v_add_u32_e32 v20, s16, v20
	v_lshl_or_b32 v20, v1, 2, v20
	v_pk_mul_f32 v[36:37], s[2:3], v[22:23] op_sel_hi:[0,1]
	v_or_b32_e32 v23, 1, v20
	v_mov_b32_e32 v21, 0xff7fffff
	v_cmp_gt_i32_e64 s[30:31], s33, v20
	v_cmp_gt_i32_e64 s[34:35], s33, v23
	v_cndmask_b32_e64 v22, v21, v18, s[30:31]
	v_cndmask_b32_e64 v23, v21, v19, s[34:35]
	v_max3_f32 v22, v22, s43, v23
	v_or_b32_e32 v23, 2, v20
	v_or_b32_e32 v24, 3, v20
	v_cmp_gt_i32_e64 s[36:37], s33, v23
	v_cmp_gt_i32_e64 s[38:39], s33, v24
	v_cndmask_b32_e64 v23, v21, v48, s[36:37]
	v_cndmask_b32_e64 v24, v21, v49, s[38:39]
	v_max3_f32 v22, v22, v23, v24
	v_or_b32_e32 v23, 16, v20
	v_or_b32_e32 v24, 17, v20
	;; [unrolled: 7-line block ×7, first 2 shown]
	v_cmp_gt_i32_e32 vcc, s33, v23
	v_cmp_gt_i32_e64 s[2:3], s33, v20
	v_cndmask_b32_e32 v23, v21, v36, vcc
	v_cndmask_b32_e64 v20, v21, v37, s[2:3]
	v_max3_f32 v26, v22, v23, v20
	v_mbcnt_lo_u32_b32 v20, -1, 0
	v_mbcnt_hi_u32_b32 v27, -1, v20
	v_and_b32_e32 v20, 64, v27
	v_add_u32_e32 v28, 64, v20
	v_xor_b32_e32 v20, 32, v27
	v_cmp_lt_i32_e64 s[40:41], v20, v28
	v_cndmask_b32_e64 v20, v27, v20, s[40:41]
	v_lshlrev_b32_e32 v56, 2, v20
	ds_bpermute_b32 v29, v56, v26
	s_waitcnt vmcnt(4)
	v_mad_i64_i32 v[20:21], s[40:41], v55, s45, 0
	v_lshlrev_b64 v[20:21], 1, v[20:21]
	global_load_dwordx4 v[30:33], v[38:39], off
	global_load_dwordx4 v[22:25], v[38:39], off offset:16
	s_waitcnt lgkmcnt(0)
	v_max_f32_e32 v29, v29, v29
	v_max_f32_e32 v26, v26, v29
	v_xor_b32_e32 v29, 16, v27
	v_cmp_lt_i32_e64 s[40:41], v29, v28
	v_cndmask_b32_e64 v27, v27, v29, s[40:41]
	v_lshlrev_b32_e32 v58, 2, v27
	ds_bpermute_b32 v27, v58, v26
	v_add_co_u32_e64 v20, s[40:41], v64, v20
	v_addc_co_u32_e64 v21, s[40:41], v65, v21, s[40:41]
	s_waitcnt lgkmcnt(0)
	v_max_f32_e32 v27, v27, v27
	v_max_f32_e32 v55, v26, v27
	v_sub_f32_e32 v18, v18, v55
	v_mul_f32_e32 v18, 0x3fb8aa3b, v18
	v_exp_f32_e32 v38, v18
	v_sub_f32_e32 v18, v19, v55
	v_mul_f32_e32 v18, 0x3fb8aa3b, v18
	v_exp_f32_e32 v39, v18
	global_load_dwordx4 v[26:29], v[20:21], off
	s_nop 0
	global_load_dwordx4 v[18:21], v[20:21], off offset:16
	v_sub_f32_e32 v48, v48, v55
	v_mul_f32_e32 v48, 0x3fb8aa3b, v48
	v_sub_f32_e32 v49, v49, v55
	v_exp_f32_e32 v48, v48
	v_mul_f32_e32 v49, 0x3fb8aa3b, v49
	v_sub_f32_e32 v40, v40, v55
	v_exp_f32_e32 v49, v49
	v_mul_f32_e32 v40, 0x3fb8aa3b, v40
	v_sub_f32_e32 v41, v41, v55
	v_cndmask_b32_e64 v38, 0, v38, s[30:31]
	v_exp_f32_e32 v40, v40
	v_mul_f32_e32 v41, 0x3fb8aa3b, v41
	v_sub_f32_e32 v50, v50, v55
	v_add_f32_e32 v57, 0, v38
	v_cndmask_b32_e64 v39, 0, v39, s[34:35]
	v_exp_f32_e32 v41, v41
	v_mul_f32_e32 v50, 0x3fb8aa3b, v50
	v_sub_f32_e32 v51, v51, v55
	v_add_f32_e32 v57, v57, v39
	;; [unrolled: 5-line block ×10, first 2 shown]
	v_cndmask_b32_e64 v46, 0, v46, s[12:13]
	v_exp_f32_e32 v36, v36
	v_mul_f32_e32 v37, 0x3fb8aa3b, v37
	v_add_f32_e32 v57, v57, v46
	v_cndmask_b32_e64 v47, 0, v47, s[14:15]
	v_exp_f32_e32 v37, v37
	v_add_f32_e32 v57, v57, v47
	v_cndmask_b32_e64 v42, 0, v42, s[8:9]
	v_add_f32_e32 v57, v57, v42
	v_cndmask_b32_e64 v43, 0, v43, s[10:11]
	v_add_f32_e32 v57, v57, v43
	v_cndmask_b32_e32 v36, 0, v36, vcc
	v_add_f32_e32 v57, v57, v36
	v_cndmask_b32_e64 v37, 0, v37, s[2:3]
	v_add_f32_e32 v57, v57, v37
	ds_bpermute_b32 v56, v56, v57
	v_cmp_gt_u32_e64 s[2:3], 16, v54
	s_waitcnt lgkmcnt(0)
	s_barrier
	v_add_f32_e32 v57, v57, v56
	ds_bpermute_b32 v58, v58, v57
	v_lshlrev_b32_e32 v56, 2, v52
	s_and_saveexec_b64 s[8:9], s[2:3]
	s_cbranch_execz .LBB88_15
; %bb.14:
	s_waitcnt lgkmcnt(0)
	v_add_f32_e32 v54, v57, v58
	v_lshl_or_b32 v57, v53, 6, v56
	ds_write2st64_b32 v57, v55, v54 offset1:1
.LBB88_15:
	s_or_b64 exec, exec, s[8:9]
	s_load_dword s10, s[4:5], 0x94
	s_waitcnt lgkmcnt(0)
	s_barrier
	ds_read2_b32 v[58:59], v56 offset1:16
	ds_read2_b32 v[60:61], v56 offset0:32 offset1:48
	ds_read2_b32 v[62:63], v56 offset0:64 offset1:80
	;; [unrolled: 1-line block ×3, first 2 shown]
	s_waitcnt lgkmcnt(0)
	v_max3_f32 v54, v58, s43, v59
	v_max3_f32 v54, v54, v60, v61
	v_sub_f32_e32 v55, v58, v54
	v_mul_f32_e32 v55, 0x3fb8aa3b, v55
	v_exp_f32_e32 v58, v55
	v_sub_f32_e32 v55, v59, v54
	v_mul_f32_e32 v55, 0x3fb8aa3b, v55
	v_exp_f32_e32 v59, v55
	;; [unrolled: 3-line block ×4, first 2 shown]
	v_fma_f32 v55, v58, v62, 0
	v_fmac_f32_e32 v55, v59, v63
	v_fmac_f32_e32 v55, v60, v56
	;; [unrolled: 1-line block ×3, first 2 shown]
	v_add_f32_e32 v56, 0x358637bd, v55
	v_div_scale_f32 v57, s[8:9], v56, v56, 1.0
	v_rcp_f32_e32 v62, v57
	s_barrier
	s_mul_i32 s11, s42, 13
	v_fma_f32 v63, -v57, v62, 1.0
	v_fmac_f32_e32 v62, v63, v62
	v_div_scale_f32 v63, vcc, 1.0, v56, 1.0
	v_mul_f32_e32 v64, v63, v62
	v_fma_f32 v65, -v57, v64, v63
	v_fmac_f32_e32 v64, v65, v62
	v_fma_f32 v57, -v57, v64, v63
	v_div_fmas_f32 v57, v57, v62, v64
	v_cmp_eq_u32_e32 vcc, 1, v53
	v_div_fixup_f32 v56, v57, v56, 1.0
	v_cndmask_b32_e32 v57, v58, v59, vcc
	v_cmp_eq_u32_e32 vcc, 2, v53
	v_cndmask_b32_e32 v57, v57, v60, vcc
	v_cmp_eq_u32_e32 vcc, 3, v53
	v_cndmask_b32_e32 v57, v57, v61, vcc
	v_mul_f32_e32 v56, v57, v56
	v_pk_mul_f32 v[48:49], v[56:57], v[48:49] op_sel_hi:[0,1]
	v_pk_mul_f32 v[38:39], v[56:57], v[38:39] op_sel_hi:[0,1]
	v_cvt_f16_f32_e32 v57, v48
	v_cvt_f16_f32_e32 v38, v38
	;; [unrolled: 1-line block ×4, first 2 shown]
	v_pk_mul_f32 v[50:51], v[56:57], v[50:51] op_sel_hi:[0,1]
	v_pk_mul_f32 v[40:41], v[56:57], v[40:41] op_sel_hi:[0,1]
	v_cvt_f16_f32_e32 v40, v40
	v_cvt_f16_f32_e32 v41, v41
	;; [unrolled: 1-line block ×4, first 2 shown]
	v_pack_b32_f16 v48, v38, v39
	v_lshlrev_b32_e32 v38, 3, v1
	v_lshlrev_b32_e32 v39, 5, v52
	;; [unrolled: 1-line block ×3, first 2 shown]
	v_pack_b32_f16 v49, v57, v49
	v_or3_b32 v38, v53, v39, v38
	v_pack_b32_f16 v40, v40, v41
	v_pack_b32_f16 v41, v50, v51
	ds_write2st64_b64 v38, v[48:49], v[40:41] offset1:1
	v_pk_mul_f32 v[40:41], v[56:57], v[46:47] op_sel_hi:[0,1]
	v_pk_mul_f32 v[44:45], v[56:57], v[44:45] op_sel_hi:[0,1]
	v_cvt_f16_f32_e32 v46, v40
	v_cvt_f16_f32_e32 v47, v41
	v_pk_mul_f32 v[36:37], v[56:57], v[36:37] op_sel_hi:[0,1]
	v_pk_mul_f32 v[40:41], v[56:57], v[42:43] op_sel_hi:[0,1]
	v_cvt_f16_f32_e32 v44, v44
	v_cvt_f16_f32_e32 v45, v45
	;; [unrolled: 1-line block ×6, first 2 shown]
	v_pack_b32_f16 v36, v44, v45
	v_pack_b32_f16 v37, v46, v47
	;; [unrolled: 1-line block ×4, first 2 shown]
	v_cmp_gt_u32_e32 vcc, 13, v0
	ds_write2st64_b64 v38, v[36:37], v[40:41] offset0:2 offset1:3
	s_and_saveexec_b64 s[8:9], vcc
	s_cbranch_execz .LBB88_17
; %bb.16:
	v_add_co_u32_e32 v40, vcc, s29, v52
	v_addc_co_u32_e64 v41, s[16:17], 0, 0, vcc
	v_mov_b32_e32 v36, s11
	v_mov_b32_e32 v37, 0
	v_mad_u64_u32 v[40:41], s[16:17], s6, v36, v[40:41]
	v_mov_b32_e32 v36, s28
	s_load_dwordx4 s[12:15], s[4:5], 0x58
	s_mul_i32 s7, s7, s11
	v_mad_u64_u32 v[36:37], s[16:17], v40, s10, v[36:37]
	v_add_u32_e32 v41, s7, v41
	v_mov_b32_e32 v40, v37
	v_mad_u64_u32 v[40:41], s[16:17], v41, s10, v[40:41]
	v_mov_b32_e32 v37, v40
	v_lshlrev_b64 v[36:37], 2, v[36:37]
	s_waitcnt lgkmcnt(0)
	v_mov_b32_e32 v41, s15
	v_add_co_u32_e32 v40, vcc, s14, v36
	v_addc_co_u32_e32 v41, vcc, v41, v37, vcc
	global_store_dword v[40:41], v54, off
	v_mov_b32_e32 v40, s13
	v_add_co_u32_e32 v36, vcc, s12, v36
	v_addc_co_u32_e32 v37, vcc, v40, v37, vcc
	global_store_dword v[36:37], v55, off
.LBB88_17:
	s_or_b64 exec, exec, s[8:9]
	v_lshl_or_b32 v36, v1, 9, v39
	s_waitcnt lgkmcnt(0)
	s_barrier
	ds_read_b128 v[40:43], v36
	ds_read_b128 v[44:47], v36 offset:16
	s_waitcnt vmcnt(7) lgkmcnt(1)
	v_mfma_f32_16x16x16f16 v[48:51], v[14:15], v[40:41], 0
	v_cmp_gt_u32_e32 vcc, 64, v0
	s_mov_b32 s7, 0
	s_and_b64 s[0:1], vcc, s[0:1]
	v_mfma_f32_16x16x16f16 v[14:17], v[16:17], v[42:43], v[48:51]
	s_waitcnt vmcnt(6) lgkmcnt(0)
	v_mfma_f32_16x16x16f16 v[14:17], v[10:11], v[44:45], v[14:17]
	v_mfma_f32_16x16x16f16 v[10:13], v[12:13], v[46:47], v[14:17]
	s_nop 7
	s_nop 1
	ds_read_b128 v[14:17], v36 offset:2048
	ds_read_b128 v[40:43], v36 offset:2064
	s_waitcnt vmcnt(5) lgkmcnt(1)
	v_mfma_f32_16x16x16f16 v[10:13], v[6:7], v[14:15], v[10:13]
	v_mfma_f32_16x16x16f16 v[6:9], v[8:9], v[16:17], v[10:13]
	s_waitcnt vmcnt(4) lgkmcnt(0)
	v_mfma_f32_16x16x16f16 v[6:9], v[2:3], v[40:41], v[6:9]
	v_mfma_f32_16x16x16f16 v[2:5], v[4:5], v[42:43], v[6:9]
	s_nop 7
	s_nop 1
	ds_read_b128 v[6:9], v36 offset:4096
	ds_read_b128 v[10:13], v36 offset:4112
	s_waitcnt vmcnt(3) lgkmcnt(1)
	v_mfma_f32_16x16x16f16 v[2:5], v[30:31], v[6:7], v[2:5]
	v_mfma_f32_16x16x16f16 v[2:5], v[32:33], v[8:9], v[2:5]
	s_waitcnt vmcnt(2) lgkmcnt(0)
	v_mfma_f32_16x16x16f16 v[2:5], v[22:23], v[10:11], v[2:5]
	v_mfma_f32_16x16x16f16 v[2:5], v[24:25], v[12:13], v[2:5]
	ds_read_b128 v[6:9], v36 offset:6144
	ds_read_b128 v[10:13], v36 offset:6160
	s_waitcnt lgkmcnt(0)
	s_barrier
	s_waitcnt vmcnt(1)
	v_mfma_f32_16x16x16f16 v[2:5], v[26:27], v[6:7], v[2:5]
	v_mfma_f32_16x16x16f16 v[2:5], v[28:29], v[8:9], v[2:5]
	s_waitcnt vmcnt(0)
	v_mfma_f32_16x16x16f16 v[2:5], v[18:19], v[10:11], v[2:5]
	v_mfma_f32_16x16x16f16 v[2:5], v[20:21], v[12:13], v[2:5]
	s_nop 7
	s_nop 2
	v_cvt_f16_f32_e32 v2, v2
	v_cvt_f16_f32_e32 v3, v3
	;; [unrolled: 1-line block ×4, first 2 shown]
	v_pack_b32_f16 v2, v2, v3
	v_pack_b32_f16 v3, v4, v5
	ds_write_b64 v38, v[2:3]
	s_waitcnt lgkmcnt(0)
	s_barrier
	s_and_saveexec_b64 s[8:9], s[0:1]
	s_cbranch_execz .LBB88_20
; %bb.18:
	s_load_dwordx2 s[4:5], s[4:5], 0x68
	s_lshl_b32 s0, s10, 6
	s_mul_i32 s1, s11, s6
	s_mul_hi_u32 s9, s1, s0
	s_mul_i32 s8, s1, s0
	s_lshl_b64 s[8:9], s[8:9], 1
	s_waitcnt lgkmcnt(0)
	s_add_u32 s1, s4, s8
	v_lshlrev_b32_e32 v2, 10, v0
	v_lshlrev_b32_e32 v0, 4, v0
	s_addc_u32 s8, s5, s9
	s_lshl_b32 s6, s28, 6
	v_and_b32_e32 v2, 0x1800, v2
	v_lshlrev_b32_e32 v3, 5, v1
	v_and_b32_e32 v0, 16, v0
	s_lshl_b64 s[4:5], s[6:7], 1
	v_or3_b32 v0, v2, v3, v0
	s_add_u32 s1, s1, s4
	ds_read_b128 v[4:7], v0 offset:256
	s_addc_u32 s4, s8, s5
	ds_read_b128 v[8:11], v0 offset:128
	ds_read_b128 v[12:15], v0
	v_add_u32_e32 v18, s29, v1
	v_mov_b32_e32 v3, s4
	v_add_co_u32_e32 v2, vcc, s1, v34
	v_mad_u64_u32 v[16:17], s[4:5], v18, s0, 0
	v_addc_co_u32_e32 v3, vcc, v3, v35, vcc
	v_lshlrev_b64 v[16:17], 1, v[16:17]
	v_add_co_u32_e32 v16, vcc, v2, v16
	v_addc_co_u32_e32 v17, vcc, v3, v17, vcc
	s_waitcnt lgkmcnt(0)
	global_store_dwordx4 v[16:17], v[12:15], off
	s_nop 0
	v_add_u32_e32 v12, 4, v18
	v_mad_u64_u32 v[12:13], s[4:5], v12, s0, 0
	v_lshlrev_b64 v[12:13], 1, v[12:13]
	v_add_co_u32_e32 v12, vcc, v2, v12
	v_addc_co_u32_e32 v13, vcc, v3, v13, vcc
	global_store_dwordx4 v[12:13], v[8:11], off
	s_nop 0
	v_add_u32_e32 v8, 8, v18
	v_mad_u64_u32 v[8:9], s[4:5], v8, s0, 0
	v_lshlrev_b64 v[8:9], 1, v[8:9]
	v_add_co_u32_e32 v8, vcc, v2, v8
	v_addc_co_u32_e32 v9, vcc, v3, v9, vcc
	global_store_dwordx4 v[8:9], v[4:7], off
	s_and_b64 exec, exec, s[2:3]
	s_cbranch_execz .LBB88_20
; %bb.19:
	ds_read_b128 v[4:7], v0 offset:384
	v_add3_u32 v0, s29, v1, 12
	v_mad_u64_u32 v[0:1], s[0:1], v0, s0, 0
	v_lshlrev_b64 v[0:1], 1, v[0:1]
	v_add_co_u32_e32 v0, vcc, v2, v0
	v_addc_co_u32_e32 v1, vcc, v3, v1, vcc
	s_waitcnt lgkmcnt(0)
	global_store_dwordx4 v[0:1], v[4:7], off
.LBB88_20:
	s_endpgm
	.section	.rodata,"a",@progbits
	.p2align	6, 0x0
	.amdhsa_kernel _Z39paged_attention_ll4mi_QKV_mfma16_kernelIDF16_DF16_LN4vllm18Fp8KVCacheDataTypeE0EDF16_Li32ELi64ELi256ELb0ELi13EL8MFMAType0EEvPKT_PKT0_S8_ifPKiSA_SA_iPKfiiiPfSD_PS3_PT2_iSC_SC_
		.amdhsa_group_segment_fixed_size 8192
		.amdhsa_private_segment_fixed_size 0
		.amdhsa_kernarg_size 400
		.amdhsa_user_sgpr_count 6
		.amdhsa_user_sgpr_private_segment_buffer 1
		.amdhsa_user_sgpr_dispatch_ptr 0
		.amdhsa_user_sgpr_queue_ptr 0
		.amdhsa_user_sgpr_kernarg_segment_ptr 1
		.amdhsa_user_sgpr_dispatch_id 0
		.amdhsa_user_sgpr_flat_scratch_init 0
		.amdhsa_user_sgpr_kernarg_preload_length 0
		.amdhsa_user_sgpr_kernarg_preload_offset 0
		.amdhsa_user_sgpr_private_segment_size 0
		.amdhsa_uses_dynamic_stack 0
		.amdhsa_system_sgpr_private_segment_wavefront_offset 0
		.amdhsa_system_sgpr_workgroup_id_x 1
		.amdhsa_system_sgpr_workgroup_id_y 1
		.amdhsa_system_sgpr_workgroup_id_z 1
		.amdhsa_system_sgpr_workgroup_info 0
		.amdhsa_system_vgpr_workitem_id 0
		.amdhsa_next_free_vgpr 66
		.amdhsa_next_free_sgpr 48
		.amdhsa_accum_offset 68
		.amdhsa_reserve_vcc 1
		.amdhsa_reserve_flat_scratch 0
		.amdhsa_float_round_mode_32 0
		.amdhsa_float_round_mode_16_64 0
		.amdhsa_float_denorm_mode_32 3
		.amdhsa_float_denorm_mode_16_64 3
		.amdhsa_dx10_clamp 1
		.amdhsa_ieee_mode 1
		.amdhsa_fp16_overflow 0
		.amdhsa_tg_split 0
		.amdhsa_exception_fp_ieee_invalid_op 0
		.amdhsa_exception_fp_denorm_src 0
		.amdhsa_exception_fp_ieee_div_zero 0
		.amdhsa_exception_fp_ieee_overflow 0
		.amdhsa_exception_fp_ieee_underflow 0
		.amdhsa_exception_fp_ieee_inexact 0
		.amdhsa_exception_int_div_zero 0
	.end_amdhsa_kernel
	.section	.text._Z39paged_attention_ll4mi_QKV_mfma16_kernelIDF16_DF16_LN4vllm18Fp8KVCacheDataTypeE0EDF16_Li32ELi64ELi256ELb0ELi13EL8MFMAType0EEvPKT_PKT0_S8_ifPKiSA_SA_iPKfiiiPfSD_PS3_PT2_iSC_SC_,"axG",@progbits,_Z39paged_attention_ll4mi_QKV_mfma16_kernelIDF16_DF16_LN4vllm18Fp8KVCacheDataTypeE0EDF16_Li32ELi64ELi256ELb0ELi13EL8MFMAType0EEvPKT_PKT0_S8_ifPKiSA_SA_iPKfiiiPfSD_PS3_PT2_iSC_SC_,comdat
.Lfunc_end88:
	.size	_Z39paged_attention_ll4mi_QKV_mfma16_kernelIDF16_DF16_LN4vllm18Fp8KVCacheDataTypeE0EDF16_Li32ELi64ELi256ELb0ELi13EL8MFMAType0EEvPKT_PKT0_S8_ifPKiSA_SA_iPKfiiiPfSD_PS3_PT2_iSC_SC_, .Lfunc_end88-_Z39paged_attention_ll4mi_QKV_mfma16_kernelIDF16_DF16_LN4vllm18Fp8KVCacheDataTypeE0EDF16_Li32ELi64ELi256ELb0ELi13EL8MFMAType0EEvPKT_PKT0_S8_ifPKiSA_SA_iPKfiiiPfSD_PS3_PT2_iSC_SC_
                                        ; -- End function
	.section	.AMDGPU.csdata,"",@progbits
; Kernel info:
; codeLenInByte = 4148
; NumSgprs: 52
; NumVgprs: 66
; NumAgprs: 0
; TotalNumVgprs: 66
; ScratchSize: 0
; MemoryBound: 0
; FloatMode: 240
; IeeeMode: 1
; LDSByteSize: 8192 bytes/workgroup (compile time only)
; SGPRBlocks: 6
; VGPRBlocks: 8
; NumSGPRsForWavesPerEU: 52
; NumVGPRsForWavesPerEU: 66
; AccumOffset: 68
; Occupancy: 7
; WaveLimiterHint : 1
; COMPUTE_PGM_RSRC2:SCRATCH_EN: 0
; COMPUTE_PGM_RSRC2:USER_SGPR: 6
; COMPUTE_PGM_RSRC2:TRAP_HANDLER: 0
; COMPUTE_PGM_RSRC2:TGID_X_EN: 1
; COMPUTE_PGM_RSRC2:TGID_Y_EN: 1
; COMPUTE_PGM_RSRC2:TGID_Z_EN: 1
; COMPUTE_PGM_RSRC2:TIDIG_COMP_CNT: 0
; COMPUTE_PGM_RSRC3_GFX90A:ACCUM_OFFSET: 16
; COMPUTE_PGM_RSRC3_GFX90A:TG_SPLIT: 0
	.section	.text._Z39paged_attention_ll4mi_QKV_mfma16_kernelIDF16_DF16_LN4vllm18Fp8KVCacheDataTypeE0EDF16_Li32ELi64ELi256ELb0ELi14EL8MFMAType0EEvPKT_PKT0_S8_ifPKiSA_SA_iPKfiiiPfSD_PS3_PT2_iSC_SC_,"axG",@progbits,_Z39paged_attention_ll4mi_QKV_mfma16_kernelIDF16_DF16_LN4vllm18Fp8KVCacheDataTypeE0EDF16_Li32ELi64ELi256ELb0ELi14EL8MFMAType0EEvPKT_PKT0_S8_ifPKiSA_SA_iPKfiiiPfSD_PS3_PT2_iSC_SC_,comdat
	.protected	_Z39paged_attention_ll4mi_QKV_mfma16_kernelIDF16_DF16_LN4vllm18Fp8KVCacheDataTypeE0EDF16_Li32ELi64ELi256ELb0ELi14EL8MFMAType0EEvPKT_PKT0_S8_ifPKiSA_SA_iPKfiiiPfSD_PS3_PT2_iSC_SC_ ; -- Begin function _Z39paged_attention_ll4mi_QKV_mfma16_kernelIDF16_DF16_LN4vllm18Fp8KVCacheDataTypeE0EDF16_Li32ELi64ELi256ELb0ELi14EL8MFMAType0EEvPKT_PKT0_S8_ifPKiSA_SA_iPKfiiiPfSD_PS3_PT2_iSC_SC_
	.globl	_Z39paged_attention_ll4mi_QKV_mfma16_kernelIDF16_DF16_LN4vllm18Fp8KVCacheDataTypeE0EDF16_Li32ELi64ELi256ELb0ELi14EL8MFMAType0EEvPKT_PKT0_S8_ifPKiSA_SA_iPKfiiiPfSD_PS3_PT2_iSC_SC_
	.p2align	8
	.type	_Z39paged_attention_ll4mi_QKV_mfma16_kernelIDF16_DF16_LN4vllm18Fp8KVCacheDataTypeE0EDF16_Li32ELi64ELi256ELb0ELi14EL8MFMAType0EEvPKT_PKT0_S8_ifPKiSA_SA_iPKfiiiPfSD_PS3_PT2_iSC_SC_,@function
_Z39paged_attention_ll4mi_QKV_mfma16_kernelIDF16_DF16_LN4vllm18Fp8KVCacheDataTypeE0EDF16_Li32ELi64ELi256ELb0ELi14EL8MFMAType0EEvPKT_PKT0_S8_ifPKiSA_SA_iPKfiiiPfSD_PS3_PT2_iSC_SC_: ; @_Z39paged_attention_ll4mi_QKV_mfma16_kernelIDF16_DF16_LN4vllm18Fp8KVCacheDataTypeE0EDF16_Li32ELi64ELi256ELb0ELi14EL8MFMAType0EEvPKT_PKT0_S8_ifPKiSA_SA_iPKfiiiPfSD_PS3_PT2_iSC_SC_
; %bb.0:
	s_load_dwordx2 s[0:1], s[4:5], 0x30
	s_mov_b32 s28, s7
	s_mov_b64 s[10:11], 0
	s_waitcnt lgkmcnt(0)
	s_cmp_lg_u64 s[0:1], 0
	s_cselect_b64 s[2:3], -1, 0
	s_and_b64 vcc, exec, s[2:3]
	s_cbranch_vccz .LBB89_7
; %bb.1:
	s_add_i32 s12, s6, 1
	s_mov_b32 s13, 0
	s_lshl_b64 s[14:15], s[12:13], 2
	s_add_u32 s14, s0, s14
	s_mov_b32 s7, s13
	s_addc_u32 s15, s1, s15
	s_lshl_b64 s[12:13], s[6:7], 2
	s_add_u32 s12, s0, s12
	s_addc_u32 s13, s1, s13
	s_load_dword s9, s[14:15], 0x0
	s_load_dword s16, s[12:13], 0x0
	s_waitcnt lgkmcnt(0)
	s_sub_i32 s9, s9, s16
	s_cmp_eq_u32 s9, 1
	s_cselect_b64 s[12:13], -1, 0
	s_andn2_b64 vcc, exec, s[10:11]
	s_cbranch_vccnz .LBB89_3
.LBB89_2:
	s_mov_b32 s7, 0
	s_mov_b64 s[12:13], -1
.LBB89_3:
	s_andn2_b64 vcc, exec, s[12:13]
	s_cbranch_vccnz .LBB89_20
; %bb.4:
	s_load_dwordx2 s[12:13], s[4:5], 0x28
	s_lshl_b64 s[10:11], s[6:7], 2
	s_waitcnt lgkmcnt(0)
	s_add_u32 s12, s12, s10
	s_addc_u32 s13, s13, s11
	s_load_dword s33, s[12:13], 0x0
	s_lshl_b32 s16, s28, 8
	s_waitcnt lgkmcnt(0)
	s_cmp_ge_i32 s16, s33
	s_cbranch_scc1 .LBB89_20
; %bb.5:
	s_add_i32 s14, s33, 31
	s_load_dwordx2 s[12:13], s[4:5], 0x20
	s_load_dword s9, s[4:5], 0x38
	s_ashr_i32 s15, s14, 31
	v_and_b32_e32 v1, 0xcf, v0
	s_lshr_b32 s15, s15, 27
	v_add_u32_e32 v1, s16, v1
	s_add_i32 s14, s14, s15
	v_ashrrev_i32_e32 v2, 31, v1
	s_ashr_i32 s19, s14, 5
	v_lshrrev_b32_e32 v6, 27, v2
	s_add_i32 s19, s19, -1
	v_add_u32_e32 v2, v1, v6
	s_waitcnt lgkmcnt(0)
	s_mul_i32 s14, s6, s9
	s_mov_b32 s15, 0
	v_ashrrev_i32_e32 v2, 5, v2
	v_mov_b32_e32 v7, s19
	v_cmp_gt_i32_e32 vcc, s33, v1
	s_lshl_b64 s[14:15], s[14:15], 2
	v_cndmask_b32_e32 v2, v7, v2, vcc
	s_add_u32 s17, s12, s14
	v_ashrrev_i32_e32 v3, 31, v2
	s_addc_u32 s18, s13, s15
	v_lshlrev_b64 v[2:3], 2, v[2:3]
	v_mov_b32_e32 v4, s18
	v_add_co_u32_e32 v2, vcc, s17, v2
	v_addc_co_u32_e32 v3, vcc, v4, v3, vcc
	v_or_b32_e32 v4, 16, v1
	v_add_u32_e32 v5, v4, v6
	v_ashrrev_i32_e32 v5, 5, v5
	v_cmp_gt_i32_e32 vcc, s33, v4
	v_cndmask_b32_e32 v4, v7, v5, vcc
	v_ashrrev_i32_e32 v5, 31, v4
	v_lshlrev_b64 v[4:5], 2, v[4:5]
	v_mov_b32_e32 v9, s18
	v_add_co_u32_e32 v8, vcc, s17, v4
	v_or_b32_e32 v4, 32, v1
	v_addc_co_u32_e32 v9, vcc, v9, v5, vcc
	v_add_u32_e32 v5, v4, v6
	v_ashrrev_i32_e32 v5, 5, v5
	v_cmp_gt_i32_e32 vcc, s33, v4
	v_cndmask_b32_e32 v4, v7, v5, vcc
	v_ashrrev_i32_e32 v5, 31, v4
	v_lshlrev_b64 v[4:5], 2, v[4:5]
	v_mov_b32_e32 v11, s18
	v_add_co_u32_e32 v10, vcc, s17, v4
	v_or_b32_e32 v1, 48, v1
	v_addc_co_u32_e32 v11, vcc, v11, v5, vcc
	v_add_u32_e32 v4, v1, v6
	v_ashrrev_i32_e32 v4, 5, v4
	v_cmp_gt_i32_e32 vcc, s33, v1
	v_cndmask_b32_e32 v4, v7, v4, vcc
	v_ashrrev_i32_e32 v5, 31, v4
	v_lshlrev_b64 v[4:5], 2, v[4:5]
	v_mov_b32_e32 v1, s18
	v_add_co_u32_e32 v12, vcc, s17, v4
	v_addc_co_u32_e32 v13, vcc, v1, v5, vcc
	global_load_dword v4, v[2:3], off
	global_load_dword v6, v[8:9], off
	;; [unrolled: 1-line block ×4, first 2 shown]
	s_andn2_b64 vcc, exec, s[2:3]
	s_cbranch_vccnz .LBB89_8
; %bb.6:
	s_add_u32 s0, s0, s10
	s_addc_u32 s1, s1, s11
	s_load_dword s9, s[0:1], 0x0
	s_branch .LBB89_9
.LBB89_7:
	s_mov_b64 s[12:13], 0
	s_branch .LBB89_2
.LBB89_8:
	s_mov_b32 s9, s6
.LBB89_9:
	s_load_dwordx4 s[12:15], s[4:5], 0x8
	s_load_dwordx4 s[44:47], s[4:5], 0x48
	v_lshrrev_b32_e32 v53, 6, v0
	v_bfe_u32 v1, v0, 4, 2
	v_lshl_or_b32 v5, v53, 2, v1
	v_and_b32_e32 v52, 15, v0
	v_cmp_lt_u32_e32 vcc, 13, v5
	v_cmp_lt_u32_e64 s[2:3], 7, v52
	v_lshlrev_b32_e32 v2, 3, v52
	v_cmp_gt_u32_e64 s[0:1], 8, v52
	s_or_b64 s[2:3], s[2:3], vcc
	s_and_saveexec_b64 s[10:11], s[2:3]
	s_xor_b64 s[2:3], exec, s[10:11]
; %bb.10:
	v_mov_b32_e32 v3, 0
                                        ; implicit-def: $vgpr5
; %bb.11:
	s_or_saveexec_b64 s[2:3], s[2:3]
	v_and_b32_e32 v54, 63, v0
	s_mul_i32 s29, s8, 14
	s_xor_b64 exec, exec, s[2:3]
	s_cbranch_execz .LBB89_13
; %bb.12:
	s_load_dwordx2 s[10:11], s[4:5], 0x0
	s_waitcnt lgkmcnt(0)
	s_ashr_i32 s20, s44, 31
	s_mul_hi_u32 s21, s9, s44
	s_mul_i32 s20, s9, s20
	s_add_i32 s21, s21, s20
	s_mul_i32 s20, s9, s44
	s_lshl_b64 s[20:21], s[20:21], 1
	v_add_lshl_u32 v8, v5, s29, 6
	s_add_u32 s9, s10, s20
	v_ashrrev_i32_e32 v9, 31, v8
	s_addc_u32 s10, s11, s21
	v_lshlrev_b64 v[8:9], 1, v[8:9]
	v_mov_b32_e32 v3, s10
	v_add_co_u32_e32 v7, vcc, s9, v8
	v_addc_co_u32_e32 v3, vcc, v3, v9, vcc
	v_lshlrev_b32_e32 v8, 1, v2
	v_add_co_u32_e32 v8, vcc, v7, v8
	v_addc_co_u32_e32 v9, vcc, 0, v3, vcc
	global_load_dwordx4 v[8:11], v[8:9], off
	v_and_b32_e32 v7, 3, v0
	v_lshlrev_b32_e32 v12, 9, v52
	v_lshlrev_b32_e32 v5, 5, v5
	;; [unrolled: 1-line block ×3, first 2 shown]
	v_and_b32_e32 v12, 0x1800, v12
	v_mov_b32_e32 v3, 0
	v_or3_b32 v5, v12, v7, v5
	s_waitcnt vmcnt(0)
	ds_write_b128 v5, v[8:11]
.LBB89_13:
	s_or_b64 exec, exec, s[2:3]
	s_waitcnt lgkmcnt(0)
	s_mul_i32 s8, s8, s46
	s_mov_b32 s9, 0
	s_lshl_b64 s[8:9], s[8:9], 1
	s_add_u32 s3, s12, s8
	s_waitcnt vmcnt(3)
	v_mad_i64_i32 v[4:5], s[10:11], v4, s45, 0
	s_addc_u32 s12, s13, s9
	v_lshlrev_b64 v[4:5], 1, v[4:5]
	v_mov_b32_e32 v7, s12
	v_add_co_u32_e32 v4, vcc, s3, v4
	v_addc_co_u32_e32 v5, vcc, v7, v5, vcc
	v_lshlrev_b64 v[34:35], 1, v[2:3]
	v_add_co_u32_e32 v2, vcc, v4, v34
	v_lshlrev_b32_e32 v28, 9, v1
	v_addc_co_u32_e32 v3, vcc, v5, v35, vcc
	v_add_co_u32_e32 v20, vcc, v2, v28
	v_addc_co_u32_e32 v21, vcc, 0, v3, vcc
	s_load_dword s42, s[4:5], 0x98
	s_load_dword s2, s[4:5], 0x1c
	s_waitcnt lgkmcnt(0)
	s_barrier
	global_load_dwordx4 v[2:5], v[20:21], off
	s_waitcnt vmcnt(3)
	v_mad_i64_i32 v[6:7], s[10:11], v6, s45, 0
	v_lshlrev_b64 v[6:7], 1, v[6:7]
	v_mov_b32_e32 v8, s12
	v_add_co_u32_e32 v6, vcc, s3, v6
	v_addc_co_u32_e32 v7, vcc, v8, v7, vcc
	v_mov_b32_e32 v8, 0x100
	v_lshl_or_b32 v29, v52, 4, v8
	v_add_co_u32_e32 v6, vcc, v6, v29
	v_addc_co_u32_e32 v7, vcc, 0, v7, vcc
	v_add_co_u32_e32 v22, vcc, v6, v28
	v_addc_co_u32_e32 v23, vcc, 0, v7, vcc
	global_load_dwordx4 v[10:13], v[22:23], off
	global_load_dwordx4 v[14:17], v[20:21], off offset:2048
	global_load_dwordx4 v[6:9], v[22:23], off offset:2048
	v_add_u32_e32 v22, -14, v52
	v_cmp_gt_u32_e32 vcc, 14, v52
	s_waitcnt vmcnt(5)
	v_mad_i64_i32 v[20:21], s[10:11], v19, s45, 0
	s_waitcnt vmcnt(4)
	v_mad_i64_i32 v[18:19], s[10:11], v18, s45, 0
	v_cndmask_b32_e32 v22, v22, v52, vcc
	v_lshlrev_b64 v[26:27], 1, v[18:19]
	v_lshl_add_u32 v18, v22, 5, v28
	v_lshlrev_b64 v[32:33], 1, v[20:21]
	ds_read_b128 v[22:25], v18
	ds_read_b128 v[18:21], v18 offset:2048
	v_mov_b32_e32 v36, s12
	v_add_co_u32_e32 v32, vcc, s3, v32
	v_addc_co_u32_e32 v33, vcc, v36, v33, vcc
	v_mov_b32_e32 v50, s12
	v_and_or_b32 v31, v0, 48, s16
	s_ashr_i32 s10, s16, 31
	v_or_b32_e32 v49, 64, v31
	s_lshr_b32 s10, s10, 27
	v_mov_b32_e32 v30, s19
	v_mov_b32_e32 v48, s18
	s_mov_b32 s43, 0xff7fffff
	s_waitcnt vmcnt(3) lgkmcnt(1)
	v_mfma_f32_16x16x16f16 v[36:39], v[2:3], v[22:23], 0
	v_add_co_u32_e32 v2, vcc, v32, v34
	v_addc_co_u32_e32 v3, vcc, v33, v35, vcc
	v_add_co_u32_e32 v32, vcc, v2, v28
	v_addc_co_u32_e32 v33, vcc, 0, v3, vcc
	global_load_dwordx4 v[44:47], v[32:33], off
	v_mfma_f32_16x16x16f16 v[2:5], v[4:5], v[24:25], v[36:39]
	s_waitcnt vmcnt(3)
	v_mfma_f32_16x16x16f16 v[40:43], v[10:11], v[22:23], 0
	v_add_co_u32_e32 v10, vcc, s3, v26
	v_addc_co_u32_e32 v11, vcc, v50, v27, vcc
	v_add_co_u32_e32 v10, vcc, v10, v29
	v_add_u32_e32 v26, s10, v31
	v_add_u32_e32 v27, s10, v49
	v_addc_co_u32_e32 v11, vcc, 0, v11, vcc
	v_ashrrev_i32_e32 v36, 5, v26
	v_ashrrev_i32_e32 v50, 5, v27
	v_add_co_u32_e32 v10, vcc, v10, v28
	global_load_dwordx4 v[26:29], v[32:33], off offset:2048
	s_waitcnt vmcnt(3) lgkmcnt(0)
	v_mfma_f32_16x16x16f16 v[2:5], v[14:15], v[18:19], v[2:5]
	v_addc_co_u32_e32 v11, vcc, 0, v11, vcc
	v_cmp_gt_i32_e32 vcc, s33, v31
	v_cndmask_b32_e32 v14, v30, v36, vcc
	v_ashrrev_i32_e32 v15, 31, v14
	global_load_dwordx4 v[36:39], v[10:11], off
	global_load_dwordx4 v[56:59], v[10:11], off offset:2048
	v_lshlrev_b64 v[10:11], 2, v[14:15]
	v_mfma_f32_16x16x16f16 v[60:63], v[16:17], v[20:21], v[2:5]
	v_mov_b32_e32 v15, s18
	s_add_u32 s3, s14, s8
	s_addc_u32 s8, s15, s9
	s_nop 3
	v_add_co_u32_e32 v2, vcc, s17, v10
	v_addc_co_u32_e32 v3, vcc, v48, v11, vcc
	global_load_dword v14, v[2:3], off
	v_cmp_gt_i32_e32 vcc, s33, v49
	v_cndmask_b32_e32 v2, v30, v50, vcc
	v_ashrrev_i32_e32 v3, 31, v2
	v_lshlrev_b64 v[10:11], 2, v[2:3]
	v_mfma_f32_16x16x16f16 v[2:5], v[12:13], v[24:25], v[40:43]
	v_add_co_u32_e32 v10, vcc, s17, v10
	v_addc_co_u32_e32 v11, vcc, v15, v11, vcc
	global_load_dword v32, v[10:11], off
	v_or_b32_e32 v10, 0x80, v31
	v_add_u32_e32 v11, s10, v10
	v_ashrrev_i32_e32 v11, 5, v11
	v_cmp_gt_i32_e32 vcc, s33, v10
	s_waitcnt vmcnt(6)
	v_mfma_f32_16x16x16f16 v[2:5], v[6:7], v[18:19], v[2:5]
	v_cndmask_b32_e32 v10, v30, v11, vcc
	v_ashrrev_i32_e32 v11, 31, v10
	v_lshlrev_b64 v[6:7], 2, v[10:11]
	v_mov_b32_e32 v10, s18
	v_add_co_u32_e32 v6, vcc, s17, v6
	v_addc_co_u32_e32 v7, vcc, v10, v7, vcc
	global_load_dword v33, v[6:7], off
	v_mfma_f32_16x16x16f16 v[40:43], v[8:9], v[20:21], v[2:5]
	v_or_b32_e32 v6, 0xc0, v31
	v_add_u32_e32 v7, s10, v6
	v_ashrrev_i32_e32 v7, 5, v7
	v_cmp_gt_i32_e32 vcc, s33, v6
	v_cndmask_b32_e32 v6, v30, v7, vcc
	v_ashrrev_i32_e32 v7, 31, v6
	v_lshlrev_b64 v[6:7], 2, v[6:7]
	s_waitcnt vmcnt(6)
	v_mfma_f32_16x16x16f16 v[2:5], v[44:45], v[22:23], 0
	v_mov_b32_e32 v8, s18
	v_add_co_u32_e32 v6, vcc, s17, v6
	v_addc_co_u32_e32 v7, vcc, v8, v7, vcc
	global_load_dword v55, v[6:7], off
	v_and_b32_e32 v6, 16, v0
	v_mfma_f32_16x16x16f16 v[2:5], v[46:47], v[24:25], v[2:5]
	v_lshlrev_b32_e32 v6, 1, v6
	v_mov_b32_e32 v7, s8
	v_add_co_u32_e32 v6, vcc, s3, v6
	v_lshlrev_b32_e32 v8, 6, v52
	v_addc_co_u32_e32 v7, vcc, 0, v7, vcc
	s_waitcnt vmcnt(6)
	v_mfma_f32_16x16x16f16 v[2:5], v[26:27], v[18:19], v[2:5]
	v_lshl_or_b32 v8, v53, 10, v8
	v_add_co_u32_e32 v64, vcc, v6, v8
	v_addc_co_u32_e32 v65, vcc, 0, v7, vcc
	v_pk_mul_f32 v[50:51], s[2:3], v[42:43] op_sel_hi:[0,1]
	v_pk_mul_f32 v[48:49], s[2:3], v[62:63] op_sel_hi:[0,1]
	v_mfma_f32_16x16x16f16 v[26:29], v[28:29], v[20:21], v[2:5]
	v_pk_mul_f32 v[40:41], s[2:3], v[40:41] op_sel_hi:[0,1]
	s_waitcnt vmcnt(1)
	v_mad_i64_i32 v[30:31], s[8:9], v33, s45, 0
	s_nop 3
	v_mad_i64_i32 v[2:3], s[8:9], v14, s45, 0
	v_lshlrev_b64 v[6:7], 1, v[2:3]
	v_mfma_f32_16x16x16f16 v[2:5], v[36:37], v[22:23], 0
	s_nop 0
	v_pk_mul_f32 v[44:45], s[2:3], v[26:27] op_sel_hi:[0,1]
	v_add_co_u32_e32 v6, vcc, v64, v6
	v_addc_co_u32_e32 v7, vcc, v65, v7, vcc
	global_load_dwordx4 v[14:17], v[6:7], off
	global_load_dwordx4 v[10:13], v[6:7], off offset:16
	v_mad_i64_i32 v[6:7], s[8:9], v32, s45, 0
	v_mfma_f32_16x16x16f16 v[22:25], v[38:39], v[24:25], v[2:5]
	v_pk_mul_f32 v[46:47], s[2:3], v[28:29] op_sel_hi:[0,1]
	v_lshlrev_b64 v[6:7], 1, v[6:7]
	v_lshlrev_b64 v[30:31], 1, v[30:31]
	v_mfma_f32_16x16x16f16 v[22:25], v[56:57], v[18:19], v[22:25]
	v_pk_mul_f32 v[18:19], s[2:3], v[60:61] op_sel_hi:[0,1]
	s_nop 1
	v_add_co_u32_e32 v2, vcc, v64, v6
	v_addc_co_u32_e32 v3, vcc, v65, v7, vcc
	v_add_co_u32_e32 v38, vcc, v64, v30
	v_mfma_f32_16x16x16f16 v[20:23], v[58:59], v[20:21], v[22:25]
	v_addc_co_u32_e32 v39, vcc, v65, v31, vcc
	global_load_dwordx4 v[6:9], v[2:3], off
	s_nop 0
	global_load_dwordx4 v[2:5], v[2:3], off offset:16
	s_nop 6
	v_pk_mul_f32 v[42:43], s[2:3], v[20:21] op_sel_hi:[0,1]
	v_and_b32_e32 v20, 0xc0, v0
	v_add_u32_e32 v20, s16, v20
	v_lshl_or_b32 v20, v1, 2, v20
	v_pk_mul_f32 v[36:37], s[2:3], v[22:23] op_sel_hi:[0,1]
	v_or_b32_e32 v23, 1, v20
	v_mov_b32_e32 v21, 0xff7fffff
	v_cmp_gt_i32_e64 s[30:31], s33, v20
	v_cmp_gt_i32_e64 s[34:35], s33, v23
	v_cndmask_b32_e64 v22, v21, v18, s[30:31]
	v_cndmask_b32_e64 v23, v21, v19, s[34:35]
	v_max3_f32 v22, v22, s43, v23
	v_or_b32_e32 v23, 2, v20
	v_or_b32_e32 v24, 3, v20
	v_cmp_gt_i32_e64 s[36:37], s33, v23
	v_cmp_gt_i32_e64 s[38:39], s33, v24
	v_cndmask_b32_e64 v23, v21, v48, s[36:37]
	v_cndmask_b32_e64 v24, v21, v49, s[38:39]
	v_max3_f32 v22, v22, v23, v24
	v_or_b32_e32 v23, 16, v20
	v_or_b32_e32 v24, 17, v20
	;; [unrolled: 7-line block ×7, first 2 shown]
	v_cmp_gt_i32_e32 vcc, s33, v23
	v_cmp_gt_i32_e64 s[2:3], s33, v20
	v_cndmask_b32_e32 v23, v21, v36, vcc
	v_cndmask_b32_e64 v20, v21, v37, s[2:3]
	v_max3_f32 v26, v22, v23, v20
	v_mbcnt_lo_u32_b32 v20, -1, 0
	v_mbcnt_hi_u32_b32 v27, -1, v20
	v_and_b32_e32 v20, 64, v27
	v_add_u32_e32 v28, 64, v20
	v_xor_b32_e32 v20, 32, v27
	v_cmp_lt_i32_e64 s[40:41], v20, v28
	v_cndmask_b32_e64 v20, v27, v20, s[40:41]
	v_lshlrev_b32_e32 v56, 2, v20
	ds_bpermute_b32 v29, v56, v26
	s_waitcnt vmcnt(4)
	v_mad_i64_i32 v[20:21], s[40:41], v55, s45, 0
	v_lshlrev_b64 v[20:21], 1, v[20:21]
	global_load_dwordx4 v[30:33], v[38:39], off
	global_load_dwordx4 v[22:25], v[38:39], off offset:16
	s_waitcnt lgkmcnt(0)
	v_max_f32_e32 v29, v29, v29
	v_max_f32_e32 v26, v26, v29
	v_xor_b32_e32 v29, 16, v27
	v_cmp_lt_i32_e64 s[40:41], v29, v28
	v_cndmask_b32_e64 v27, v27, v29, s[40:41]
	v_lshlrev_b32_e32 v58, 2, v27
	ds_bpermute_b32 v27, v58, v26
	v_add_co_u32_e64 v20, s[40:41], v64, v20
	v_addc_co_u32_e64 v21, s[40:41], v65, v21, s[40:41]
	s_waitcnt lgkmcnt(0)
	v_max_f32_e32 v27, v27, v27
	v_max_f32_e32 v55, v26, v27
	v_sub_f32_e32 v18, v18, v55
	v_mul_f32_e32 v18, 0x3fb8aa3b, v18
	v_exp_f32_e32 v38, v18
	v_sub_f32_e32 v18, v19, v55
	v_mul_f32_e32 v18, 0x3fb8aa3b, v18
	v_exp_f32_e32 v39, v18
	global_load_dwordx4 v[26:29], v[20:21], off
	s_nop 0
	global_load_dwordx4 v[18:21], v[20:21], off offset:16
	v_sub_f32_e32 v48, v48, v55
	v_mul_f32_e32 v48, 0x3fb8aa3b, v48
	v_sub_f32_e32 v49, v49, v55
	v_exp_f32_e32 v48, v48
	v_mul_f32_e32 v49, 0x3fb8aa3b, v49
	v_sub_f32_e32 v40, v40, v55
	v_exp_f32_e32 v49, v49
	v_mul_f32_e32 v40, 0x3fb8aa3b, v40
	v_sub_f32_e32 v41, v41, v55
	v_cndmask_b32_e64 v38, 0, v38, s[30:31]
	v_exp_f32_e32 v40, v40
	v_mul_f32_e32 v41, 0x3fb8aa3b, v41
	v_sub_f32_e32 v50, v50, v55
	v_add_f32_e32 v57, 0, v38
	v_cndmask_b32_e64 v39, 0, v39, s[34:35]
	v_exp_f32_e32 v41, v41
	v_mul_f32_e32 v50, 0x3fb8aa3b, v50
	v_sub_f32_e32 v51, v51, v55
	v_add_f32_e32 v57, v57, v39
	;; [unrolled: 5-line block ×10, first 2 shown]
	v_cndmask_b32_e64 v46, 0, v46, s[12:13]
	v_exp_f32_e32 v36, v36
	v_mul_f32_e32 v37, 0x3fb8aa3b, v37
	v_add_f32_e32 v57, v57, v46
	v_cndmask_b32_e64 v47, 0, v47, s[14:15]
	v_exp_f32_e32 v37, v37
	v_add_f32_e32 v57, v57, v47
	v_cndmask_b32_e64 v42, 0, v42, s[8:9]
	v_add_f32_e32 v57, v57, v42
	v_cndmask_b32_e64 v43, 0, v43, s[10:11]
	v_add_f32_e32 v57, v57, v43
	v_cndmask_b32_e32 v36, 0, v36, vcc
	v_add_f32_e32 v57, v57, v36
	v_cndmask_b32_e64 v37, 0, v37, s[2:3]
	v_add_f32_e32 v57, v57, v37
	ds_bpermute_b32 v56, v56, v57
	v_cmp_gt_u32_e32 vcc, 16, v54
	s_waitcnt lgkmcnt(0)
	s_barrier
	v_add_f32_e32 v57, v57, v56
	ds_bpermute_b32 v58, v58, v57
	v_lshlrev_b32_e32 v56, 2, v52
	s_and_saveexec_b64 s[2:3], vcc
	s_cbranch_execz .LBB89_15
; %bb.14:
	s_waitcnt lgkmcnt(0)
	v_add_f32_e32 v54, v57, v58
	v_lshl_or_b32 v57, v53, 6, v56
	ds_write2st64_b32 v57, v55, v54 offset1:1
.LBB89_15:
	s_or_b64 exec, exec, s[2:3]
	s_load_dword s8, s[4:5], 0x94
	s_waitcnt lgkmcnt(0)
	s_barrier
	ds_read2_b32 v[58:59], v56 offset1:16
	ds_read2_b32 v[60:61], v56 offset0:32 offset1:48
	ds_read2_b32 v[62:63], v56 offset0:64 offset1:80
	;; [unrolled: 1-line block ×3, first 2 shown]
	s_waitcnt lgkmcnt(0)
	v_max3_f32 v54, v58, s43, v59
	v_max3_f32 v54, v54, v60, v61
	v_sub_f32_e32 v55, v58, v54
	v_mul_f32_e32 v55, 0x3fb8aa3b, v55
	v_exp_f32_e32 v58, v55
	v_sub_f32_e32 v55, v59, v54
	v_mul_f32_e32 v55, 0x3fb8aa3b, v55
	v_exp_f32_e32 v59, v55
	;; [unrolled: 3-line block ×4, first 2 shown]
	v_fma_f32 v55, v58, v62, 0
	v_fmac_f32_e32 v55, v59, v63
	v_fmac_f32_e32 v55, v60, v56
	;; [unrolled: 1-line block ×3, first 2 shown]
	v_add_f32_e32 v56, 0x358637bd, v55
	v_div_scale_f32 v57, s[2:3], v56, v56, 1.0
	v_rcp_f32_e32 v62, v57
	s_barrier
	s_mul_i32 s9, s42, 14
	v_fma_f32 v63, -v57, v62, 1.0
	v_fmac_f32_e32 v62, v63, v62
	v_div_scale_f32 v63, vcc, 1.0, v56, 1.0
	v_mul_f32_e32 v64, v63, v62
	v_fma_f32 v65, -v57, v64, v63
	v_fmac_f32_e32 v64, v65, v62
	v_fma_f32 v57, -v57, v64, v63
	v_div_fmas_f32 v57, v57, v62, v64
	v_cmp_eq_u32_e32 vcc, 1, v53
	v_div_fixup_f32 v56, v57, v56, 1.0
	v_cndmask_b32_e32 v57, v58, v59, vcc
	v_cmp_eq_u32_e32 vcc, 2, v53
	v_cndmask_b32_e32 v57, v57, v60, vcc
	v_cmp_eq_u32_e32 vcc, 3, v53
	v_cndmask_b32_e32 v57, v57, v61, vcc
	v_mul_f32_e32 v56, v57, v56
	v_pk_mul_f32 v[48:49], v[56:57], v[48:49] op_sel_hi:[0,1]
	v_pk_mul_f32 v[38:39], v[56:57], v[38:39] op_sel_hi:[0,1]
	v_cvt_f16_f32_e32 v57, v48
	v_cvt_f16_f32_e32 v38, v38
	;; [unrolled: 1-line block ×4, first 2 shown]
	v_pk_mul_f32 v[50:51], v[56:57], v[50:51] op_sel_hi:[0,1]
	v_pk_mul_f32 v[40:41], v[56:57], v[40:41] op_sel_hi:[0,1]
	v_cvt_f16_f32_e32 v40, v40
	v_cvt_f16_f32_e32 v41, v41
	;; [unrolled: 1-line block ×4, first 2 shown]
	v_pack_b32_f16 v48, v38, v39
	v_lshlrev_b32_e32 v38, 3, v1
	v_lshlrev_b32_e32 v39, 5, v52
	;; [unrolled: 1-line block ×3, first 2 shown]
	v_pack_b32_f16 v49, v57, v49
	v_or3_b32 v38, v53, v39, v38
	v_pack_b32_f16 v40, v40, v41
	v_pack_b32_f16 v41, v50, v51
	ds_write2st64_b64 v38, v[48:49], v[40:41] offset1:1
	v_pk_mul_f32 v[40:41], v[56:57], v[46:47] op_sel_hi:[0,1]
	v_pk_mul_f32 v[44:45], v[56:57], v[44:45] op_sel_hi:[0,1]
	v_cvt_f16_f32_e32 v46, v40
	v_cvt_f16_f32_e32 v47, v41
	v_pk_mul_f32 v[36:37], v[56:57], v[36:37] op_sel_hi:[0,1]
	v_pk_mul_f32 v[40:41], v[56:57], v[42:43] op_sel_hi:[0,1]
	v_cvt_f16_f32_e32 v44, v44
	v_cvt_f16_f32_e32 v45, v45
	;; [unrolled: 1-line block ×6, first 2 shown]
	v_pack_b32_f16 v36, v44, v45
	v_pack_b32_f16 v37, v46, v47
	;; [unrolled: 1-line block ×4, first 2 shown]
	v_cmp_gt_u32_e32 vcc, 14, v0
	ds_write2st64_b64 v38, v[36:37], v[40:41] offset0:2 offset1:3
	s_and_saveexec_b64 s[2:3], vcc
	s_cbranch_execz .LBB89_17
; %bb.16:
	v_add_co_u32_e32 v40, vcc, s29, v52
	v_addc_co_u32_e64 v41, s[10:11], 0, 0, vcc
	v_mov_b32_e32 v36, s9
	v_mov_b32_e32 v37, 0
	v_mad_u64_u32 v[40:41], s[10:11], s6, v36, v[40:41]
	v_mov_b32_e32 v36, s28
	s_load_dwordx4 s[12:15], s[4:5], 0x58
	s_mul_i32 s7, s7, s9
	v_mad_u64_u32 v[36:37], s[10:11], v40, s8, v[36:37]
	v_add_u32_e32 v41, s7, v41
	v_mov_b32_e32 v40, v37
	v_mad_u64_u32 v[40:41], s[10:11], v41, s8, v[40:41]
	v_mov_b32_e32 v37, v40
	v_lshlrev_b64 v[36:37], 2, v[36:37]
	s_waitcnt lgkmcnt(0)
	v_mov_b32_e32 v41, s15
	v_add_co_u32_e32 v40, vcc, s14, v36
	v_addc_co_u32_e32 v41, vcc, v41, v37, vcc
	global_store_dword v[40:41], v54, off
	v_mov_b32_e32 v40, s13
	v_add_co_u32_e32 v36, vcc, s12, v36
	v_addc_co_u32_e32 v37, vcc, v40, v37, vcc
	global_store_dword v[36:37], v55, off
.LBB89_17:
	s_or_b64 exec, exec, s[2:3]
	v_lshl_or_b32 v36, v1, 9, v39
	s_waitcnt lgkmcnt(0)
	s_barrier
	ds_read_b128 v[40:43], v36
	ds_read_b128 v[44:47], v36 offset:16
	s_waitcnt vmcnt(7) lgkmcnt(1)
	v_mfma_f32_16x16x16f16 v[48:51], v[14:15], v[40:41], 0
	v_cmp_gt_u32_e32 vcc, 64, v0
	s_mov_b32 s3, 0
	s_and_b64 s[0:1], vcc, s[0:1]
	v_mfma_f32_16x16x16f16 v[14:17], v[16:17], v[42:43], v[48:51]
	s_waitcnt vmcnt(6) lgkmcnt(0)
	v_mfma_f32_16x16x16f16 v[14:17], v[10:11], v[44:45], v[14:17]
	v_mfma_f32_16x16x16f16 v[10:13], v[12:13], v[46:47], v[14:17]
	s_nop 7
	s_nop 1
	ds_read_b128 v[14:17], v36 offset:2048
	ds_read_b128 v[40:43], v36 offset:2064
	s_waitcnt vmcnt(5) lgkmcnt(1)
	v_mfma_f32_16x16x16f16 v[10:13], v[6:7], v[14:15], v[10:13]
	v_mfma_f32_16x16x16f16 v[6:9], v[8:9], v[16:17], v[10:13]
	s_waitcnt vmcnt(4) lgkmcnt(0)
	v_mfma_f32_16x16x16f16 v[6:9], v[2:3], v[40:41], v[6:9]
	v_mfma_f32_16x16x16f16 v[2:5], v[4:5], v[42:43], v[6:9]
	s_nop 7
	s_nop 1
	ds_read_b128 v[6:9], v36 offset:4096
	ds_read_b128 v[10:13], v36 offset:4112
	s_waitcnt vmcnt(3) lgkmcnt(1)
	v_mfma_f32_16x16x16f16 v[2:5], v[30:31], v[6:7], v[2:5]
	v_mfma_f32_16x16x16f16 v[2:5], v[32:33], v[8:9], v[2:5]
	s_waitcnt vmcnt(2) lgkmcnt(0)
	v_mfma_f32_16x16x16f16 v[2:5], v[22:23], v[10:11], v[2:5]
	v_mfma_f32_16x16x16f16 v[2:5], v[24:25], v[12:13], v[2:5]
	ds_read_b128 v[6:9], v36 offset:6144
	ds_read_b128 v[10:13], v36 offset:6160
	s_waitcnt lgkmcnt(0)
	s_barrier
	s_waitcnt vmcnt(1)
	v_mfma_f32_16x16x16f16 v[2:5], v[26:27], v[6:7], v[2:5]
	v_mfma_f32_16x16x16f16 v[2:5], v[28:29], v[8:9], v[2:5]
	s_waitcnt vmcnt(0)
	v_mfma_f32_16x16x16f16 v[2:5], v[18:19], v[10:11], v[2:5]
	v_mfma_f32_16x16x16f16 v[2:5], v[20:21], v[12:13], v[2:5]
	s_nop 7
	s_nop 2
	v_cvt_f16_f32_e32 v2, v2
	v_cvt_f16_f32_e32 v3, v3
	;; [unrolled: 1-line block ×4, first 2 shown]
	v_pack_b32_f16 v2, v2, v3
	v_pack_b32_f16 v3, v4, v5
	ds_write_b64 v38, v[2:3]
	s_waitcnt lgkmcnt(0)
	s_barrier
	s_and_saveexec_b64 s[10:11], s[0:1]
	s_cbranch_execz .LBB89_20
; %bb.18:
	s_load_dwordx2 s[4:5], s[4:5], 0x68
	s_lshl_b32 s0, s8, 6
	s_mul_i32 s1, s9, s6
	s_mul_hi_u32 s7, s1, s0
	s_mul_i32 s6, s1, s0
	s_lshl_b64 s[6:7], s[6:7], 1
	s_waitcnt lgkmcnt(0)
	s_add_u32 s1, s4, s6
	v_lshlrev_b32_e32 v2, 10, v0
	v_lshlrev_b32_e32 v0, 4, v0
	s_addc_u32 s4, s5, s7
	s_lshl_b32 s2, s28, 6
	v_and_b32_e32 v2, 0x1800, v2
	v_lshlrev_b32_e32 v3, 5, v1
	v_and_b32_e32 v0, 16, v0
	s_lshl_b64 s[2:3], s[2:3], 1
	v_or3_b32 v0, v2, v3, v0
	s_add_u32 s1, s1, s2
	ds_read_b128 v[6:9], v0 offset:256
	v_or_b32_e32 v2, 12, v1
	s_addc_u32 s2, s4, s3
	ds_read_b128 v[10:13], v0 offset:128
	ds_read_b128 v[14:17], v0
	v_add_u32_e32 v1, s29, v1
	v_mov_b32_e32 v4, s2
	v_add_co_u32_e32 v3, vcc, s1, v34
	v_mad_u64_u32 v[18:19], s[2:3], v1, s0, 0
	v_addc_co_u32_e32 v4, vcc, v4, v35, vcc
	v_lshlrev_b64 v[18:19], 1, v[18:19]
	v_add_co_u32_e32 v18, vcc, v3, v18
	v_addc_co_u32_e32 v19, vcc, v4, v19, vcc
	v_add_u32_e32 v5, 4, v1
	s_waitcnt lgkmcnt(0)
	global_store_dwordx4 v[18:19], v[14:17], off
	v_add_u32_e32 v1, 8, v1
	v_mad_u64_u32 v[14:15], s[2:3], v5, s0, 0
	v_lshlrev_b64 v[14:15], 1, v[14:15]
	v_add_co_u32_e32 v14, vcc, v3, v14
	v_addc_co_u32_e32 v15, vcc, v4, v15, vcc
	global_store_dwordx4 v[14:15], v[10:13], off
	s_nop 0
	v_mad_u64_u32 v[10:11], s[2:3], v1, s0, 0
	v_lshlrev_b64 v[10:11], 1, v[10:11]
	v_add_co_u32_e32 v10, vcc, v3, v10
	v_addc_co_u32_e32 v11, vcc, v4, v11, vcc
	v_cmp_gt_u32_e32 vcc, 14, v2
	global_store_dwordx4 v[10:11], v[6:9], off
	s_and_b64 exec, exec, vcc
	s_cbranch_execz .LBB89_20
; %bb.19:
	ds_read_b128 v[6:9], v0 offset:384
	v_add_u32_e32 v0, s29, v2
	v_mad_u64_u32 v[0:1], s[0:1], v0, s0, 0
	v_lshlrev_b64 v[0:1], 1, v[0:1]
	v_add_co_u32_e32 v0, vcc, v3, v0
	v_addc_co_u32_e32 v1, vcc, v4, v1, vcc
	s_waitcnt lgkmcnt(0)
	global_store_dwordx4 v[0:1], v[6:9], off
.LBB89_20:
	s_endpgm
	.section	.rodata,"a",@progbits
	.p2align	6, 0x0
	.amdhsa_kernel _Z39paged_attention_ll4mi_QKV_mfma16_kernelIDF16_DF16_LN4vllm18Fp8KVCacheDataTypeE0EDF16_Li32ELi64ELi256ELb0ELi14EL8MFMAType0EEvPKT_PKT0_S8_ifPKiSA_SA_iPKfiiiPfSD_PS3_PT2_iSC_SC_
		.amdhsa_group_segment_fixed_size 8192
		.amdhsa_private_segment_fixed_size 0
		.amdhsa_kernarg_size 400
		.amdhsa_user_sgpr_count 6
		.amdhsa_user_sgpr_private_segment_buffer 1
		.amdhsa_user_sgpr_dispatch_ptr 0
		.amdhsa_user_sgpr_queue_ptr 0
		.amdhsa_user_sgpr_kernarg_segment_ptr 1
		.amdhsa_user_sgpr_dispatch_id 0
		.amdhsa_user_sgpr_flat_scratch_init 0
		.amdhsa_user_sgpr_kernarg_preload_length 0
		.amdhsa_user_sgpr_kernarg_preload_offset 0
		.amdhsa_user_sgpr_private_segment_size 0
		.amdhsa_uses_dynamic_stack 0
		.amdhsa_system_sgpr_private_segment_wavefront_offset 0
		.amdhsa_system_sgpr_workgroup_id_x 1
		.amdhsa_system_sgpr_workgroup_id_y 1
		.amdhsa_system_sgpr_workgroup_id_z 1
		.amdhsa_system_sgpr_workgroup_info 0
		.amdhsa_system_vgpr_workitem_id 0
		.amdhsa_next_free_vgpr 66
		.amdhsa_next_free_sgpr 48
		.amdhsa_accum_offset 68
		.amdhsa_reserve_vcc 1
		.amdhsa_reserve_flat_scratch 0
		.amdhsa_float_round_mode_32 0
		.amdhsa_float_round_mode_16_64 0
		.amdhsa_float_denorm_mode_32 3
		.amdhsa_float_denorm_mode_16_64 3
		.amdhsa_dx10_clamp 1
		.amdhsa_ieee_mode 1
		.amdhsa_fp16_overflow 0
		.amdhsa_tg_split 0
		.amdhsa_exception_fp_ieee_invalid_op 0
		.amdhsa_exception_fp_denorm_src 0
		.amdhsa_exception_fp_ieee_div_zero 0
		.amdhsa_exception_fp_ieee_overflow 0
		.amdhsa_exception_fp_ieee_underflow 0
		.amdhsa_exception_fp_ieee_inexact 0
		.amdhsa_exception_int_div_zero 0
	.end_amdhsa_kernel
	.section	.text._Z39paged_attention_ll4mi_QKV_mfma16_kernelIDF16_DF16_LN4vllm18Fp8KVCacheDataTypeE0EDF16_Li32ELi64ELi256ELb0ELi14EL8MFMAType0EEvPKT_PKT0_S8_ifPKiSA_SA_iPKfiiiPfSD_PS3_PT2_iSC_SC_,"axG",@progbits,_Z39paged_attention_ll4mi_QKV_mfma16_kernelIDF16_DF16_LN4vllm18Fp8KVCacheDataTypeE0EDF16_Li32ELi64ELi256ELb0ELi14EL8MFMAType0EEvPKT_PKT0_S8_ifPKiSA_SA_iPKfiiiPfSD_PS3_PT2_iSC_SC_,comdat
.Lfunc_end89:
	.size	_Z39paged_attention_ll4mi_QKV_mfma16_kernelIDF16_DF16_LN4vllm18Fp8KVCacheDataTypeE0EDF16_Li32ELi64ELi256ELb0ELi14EL8MFMAType0EEvPKT_PKT0_S8_ifPKiSA_SA_iPKfiiiPfSD_PS3_PT2_iSC_SC_, .Lfunc_end89-_Z39paged_attention_ll4mi_QKV_mfma16_kernelIDF16_DF16_LN4vllm18Fp8KVCacheDataTypeE0EDF16_Li32ELi64ELi256ELb0ELi14EL8MFMAType0EEvPKT_PKT0_S8_ifPKiSA_SA_iPKfiiiPfSD_PS3_PT2_iSC_SC_
                                        ; -- End function
	.section	.AMDGPU.csdata,"",@progbits
; Kernel info:
; codeLenInByte = 4144
; NumSgprs: 52
; NumVgprs: 66
; NumAgprs: 0
; TotalNumVgprs: 66
; ScratchSize: 0
; MemoryBound: 0
; FloatMode: 240
; IeeeMode: 1
; LDSByteSize: 8192 bytes/workgroup (compile time only)
; SGPRBlocks: 6
; VGPRBlocks: 8
; NumSGPRsForWavesPerEU: 52
; NumVGPRsForWavesPerEU: 66
; AccumOffset: 68
; Occupancy: 7
; WaveLimiterHint : 1
; COMPUTE_PGM_RSRC2:SCRATCH_EN: 0
; COMPUTE_PGM_RSRC2:USER_SGPR: 6
; COMPUTE_PGM_RSRC2:TRAP_HANDLER: 0
; COMPUTE_PGM_RSRC2:TGID_X_EN: 1
; COMPUTE_PGM_RSRC2:TGID_Y_EN: 1
; COMPUTE_PGM_RSRC2:TGID_Z_EN: 1
; COMPUTE_PGM_RSRC2:TIDIG_COMP_CNT: 0
; COMPUTE_PGM_RSRC3_GFX90A:ACCUM_OFFSET: 16
; COMPUTE_PGM_RSRC3_GFX90A:TG_SPLIT: 0
	.section	.text._Z39paged_attention_ll4mi_QKV_mfma16_kernelIDF16_DF16_LN4vllm18Fp8KVCacheDataTypeE0EDF16_Li32ELi64ELi256ELb0ELi15EL8MFMAType0EEvPKT_PKT0_S8_ifPKiSA_SA_iPKfiiiPfSD_PS3_PT2_iSC_SC_,"axG",@progbits,_Z39paged_attention_ll4mi_QKV_mfma16_kernelIDF16_DF16_LN4vllm18Fp8KVCacheDataTypeE0EDF16_Li32ELi64ELi256ELb0ELi15EL8MFMAType0EEvPKT_PKT0_S8_ifPKiSA_SA_iPKfiiiPfSD_PS3_PT2_iSC_SC_,comdat
	.protected	_Z39paged_attention_ll4mi_QKV_mfma16_kernelIDF16_DF16_LN4vllm18Fp8KVCacheDataTypeE0EDF16_Li32ELi64ELi256ELb0ELi15EL8MFMAType0EEvPKT_PKT0_S8_ifPKiSA_SA_iPKfiiiPfSD_PS3_PT2_iSC_SC_ ; -- Begin function _Z39paged_attention_ll4mi_QKV_mfma16_kernelIDF16_DF16_LN4vllm18Fp8KVCacheDataTypeE0EDF16_Li32ELi64ELi256ELb0ELi15EL8MFMAType0EEvPKT_PKT0_S8_ifPKiSA_SA_iPKfiiiPfSD_PS3_PT2_iSC_SC_
	.globl	_Z39paged_attention_ll4mi_QKV_mfma16_kernelIDF16_DF16_LN4vllm18Fp8KVCacheDataTypeE0EDF16_Li32ELi64ELi256ELb0ELi15EL8MFMAType0EEvPKT_PKT0_S8_ifPKiSA_SA_iPKfiiiPfSD_PS3_PT2_iSC_SC_
	.p2align	8
	.type	_Z39paged_attention_ll4mi_QKV_mfma16_kernelIDF16_DF16_LN4vllm18Fp8KVCacheDataTypeE0EDF16_Li32ELi64ELi256ELb0ELi15EL8MFMAType0EEvPKT_PKT0_S8_ifPKiSA_SA_iPKfiiiPfSD_PS3_PT2_iSC_SC_,@function
_Z39paged_attention_ll4mi_QKV_mfma16_kernelIDF16_DF16_LN4vllm18Fp8KVCacheDataTypeE0EDF16_Li32ELi64ELi256ELb0ELi15EL8MFMAType0EEvPKT_PKT0_S8_ifPKiSA_SA_iPKfiiiPfSD_PS3_PT2_iSC_SC_: ; @_Z39paged_attention_ll4mi_QKV_mfma16_kernelIDF16_DF16_LN4vllm18Fp8KVCacheDataTypeE0EDF16_Li32ELi64ELi256ELb0ELi15EL8MFMAType0EEvPKT_PKT0_S8_ifPKiSA_SA_iPKfiiiPfSD_PS3_PT2_iSC_SC_
; %bb.0:
	s_load_dwordx2 s[0:1], s[4:5], 0x30
	s_mov_b32 s28, s7
	s_mov_b64 s[10:11], 0
	s_waitcnt lgkmcnt(0)
	s_cmp_lg_u64 s[0:1], 0
	s_cselect_b64 s[2:3], -1, 0
	s_and_b64 vcc, exec, s[2:3]
	s_cbranch_vccz .LBB90_7
; %bb.1:
	s_add_i32 s12, s6, 1
	s_mov_b32 s13, 0
	s_lshl_b64 s[14:15], s[12:13], 2
	s_add_u32 s14, s0, s14
	s_mov_b32 s7, s13
	s_addc_u32 s15, s1, s15
	s_lshl_b64 s[12:13], s[6:7], 2
	s_add_u32 s12, s0, s12
	s_addc_u32 s13, s1, s13
	s_load_dword s9, s[14:15], 0x0
	s_load_dword s16, s[12:13], 0x0
	s_waitcnt lgkmcnt(0)
	s_sub_i32 s9, s9, s16
	s_cmp_eq_u32 s9, 1
	s_cselect_b64 s[12:13], -1, 0
	s_andn2_b64 vcc, exec, s[10:11]
	s_cbranch_vccnz .LBB90_3
.LBB90_2:
	s_mov_b32 s7, 0
	s_mov_b64 s[12:13], -1
.LBB90_3:
	s_andn2_b64 vcc, exec, s[12:13]
	s_cbranch_vccnz .LBB90_20
; %bb.4:
	s_load_dwordx2 s[12:13], s[4:5], 0x28
	s_lshl_b64 s[10:11], s[6:7], 2
	s_waitcnt lgkmcnt(0)
	s_add_u32 s12, s12, s10
	s_addc_u32 s13, s13, s11
	s_load_dword s33, s[12:13], 0x0
	s_lshl_b32 s16, s28, 8
	s_waitcnt lgkmcnt(0)
	s_cmp_ge_i32 s16, s33
	s_cbranch_scc1 .LBB90_20
; %bb.5:
	s_add_i32 s14, s33, 31
	s_load_dwordx2 s[12:13], s[4:5], 0x20
	s_load_dword s9, s[4:5], 0x38
	s_ashr_i32 s15, s14, 31
	v_and_b32_e32 v1, 0xcf, v0
	s_lshr_b32 s15, s15, 27
	v_add_u32_e32 v1, s16, v1
	s_add_i32 s14, s14, s15
	v_ashrrev_i32_e32 v2, 31, v1
	s_ashr_i32 s19, s14, 5
	v_lshrrev_b32_e32 v6, 27, v2
	s_add_i32 s19, s19, -1
	v_add_u32_e32 v2, v1, v6
	s_waitcnt lgkmcnt(0)
	s_mul_i32 s14, s6, s9
	s_mov_b32 s15, 0
	v_ashrrev_i32_e32 v2, 5, v2
	v_mov_b32_e32 v7, s19
	v_cmp_gt_i32_e32 vcc, s33, v1
	s_lshl_b64 s[14:15], s[14:15], 2
	v_cndmask_b32_e32 v2, v7, v2, vcc
	s_add_u32 s17, s12, s14
	v_ashrrev_i32_e32 v3, 31, v2
	s_addc_u32 s18, s13, s15
	v_lshlrev_b64 v[2:3], 2, v[2:3]
	v_mov_b32_e32 v4, s18
	v_add_co_u32_e32 v2, vcc, s17, v2
	v_addc_co_u32_e32 v3, vcc, v4, v3, vcc
	v_or_b32_e32 v4, 16, v1
	v_add_u32_e32 v5, v4, v6
	v_ashrrev_i32_e32 v5, 5, v5
	v_cmp_gt_i32_e32 vcc, s33, v4
	v_cndmask_b32_e32 v4, v7, v5, vcc
	v_ashrrev_i32_e32 v5, 31, v4
	v_lshlrev_b64 v[4:5], 2, v[4:5]
	v_mov_b32_e32 v9, s18
	v_add_co_u32_e32 v8, vcc, s17, v4
	v_or_b32_e32 v4, 32, v1
	v_addc_co_u32_e32 v9, vcc, v9, v5, vcc
	v_add_u32_e32 v5, v4, v6
	v_ashrrev_i32_e32 v5, 5, v5
	v_cmp_gt_i32_e32 vcc, s33, v4
	v_cndmask_b32_e32 v4, v7, v5, vcc
	v_ashrrev_i32_e32 v5, 31, v4
	v_lshlrev_b64 v[4:5], 2, v[4:5]
	v_mov_b32_e32 v11, s18
	v_add_co_u32_e32 v10, vcc, s17, v4
	v_or_b32_e32 v1, 48, v1
	v_addc_co_u32_e32 v11, vcc, v11, v5, vcc
	v_add_u32_e32 v4, v1, v6
	v_ashrrev_i32_e32 v4, 5, v4
	v_cmp_gt_i32_e32 vcc, s33, v1
	v_cndmask_b32_e32 v4, v7, v4, vcc
	v_ashrrev_i32_e32 v5, 31, v4
	v_lshlrev_b64 v[4:5], 2, v[4:5]
	v_mov_b32_e32 v1, s18
	v_add_co_u32_e32 v12, vcc, s17, v4
	v_addc_co_u32_e32 v13, vcc, v1, v5, vcc
	global_load_dword v4, v[2:3], off
	global_load_dword v6, v[8:9], off
	;; [unrolled: 1-line block ×4, first 2 shown]
	s_andn2_b64 vcc, exec, s[2:3]
	s_cbranch_vccnz .LBB90_8
; %bb.6:
	s_add_u32 s0, s0, s10
	s_addc_u32 s1, s1, s11
	s_load_dword s9, s[0:1], 0x0
	s_branch .LBB90_9
.LBB90_7:
	s_mov_b64 s[12:13], 0
	s_branch .LBB90_2
.LBB90_8:
	s_mov_b32 s9, s6
.LBB90_9:
	s_load_dwordx4 s[12:15], s[4:5], 0x8
	s_load_dwordx4 s[44:47], s[4:5], 0x48
	v_lshrrev_b32_e32 v53, 6, v0
	v_bfe_u32 v1, v0, 4, 2
	v_lshl_or_b32 v5, v53, 2, v1
	v_and_b32_e32 v52, 15, v0
	v_cmp_lt_u32_e32 vcc, 14, v5
	v_cmp_lt_u32_e64 s[2:3], 7, v52
	v_lshlrev_b32_e32 v2, 3, v52
	v_cmp_gt_u32_e64 s[0:1], 8, v52
	s_or_b64 s[2:3], s[2:3], vcc
	s_and_saveexec_b64 s[10:11], s[2:3]
	s_xor_b64 s[2:3], exec, s[10:11]
; %bb.10:
	v_mov_b32_e32 v3, 0
                                        ; implicit-def: $vgpr5
; %bb.11:
	s_or_saveexec_b64 s[2:3], s[2:3]
	v_and_b32_e32 v54, 63, v0
	s_mul_i32 s29, s8, 15
	s_xor_b64 exec, exec, s[2:3]
	s_cbranch_execz .LBB90_13
; %bb.12:
	s_load_dwordx2 s[10:11], s[4:5], 0x0
	s_waitcnt lgkmcnt(0)
	s_ashr_i32 s20, s44, 31
	s_mul_hi_u32 s21, s9, s44
	s_mul_i32 s20, s9, s20
	s_add_i32 s21, s21, s20
	s_mul_i32 s20, s9, s44
	s_lshl_b64 s[20:21], s[20:21], 1
	v_add_lshl_u32 v8, v5, s29, 6
	s_add_u32 s9, s10, s20
	v_ashrrev_i32_e32 v9, 31, v8
	s_addc_u32 s10, s11, s21
	v_lshlrev_b64 v[8:9], 1, v[8:9]
	v_mov_b32_e32 v3, s10
	v_add_co_u32_e32 v7, vcc, s9, v8
	v_addc_co_u32_e32 v3, vcc, v3, v9, vcc
	v_lshlrev_b32_e32 v8, 1, v2
	v_add_co_u32_e32 v8, vcc, v7, v8
	v_addc_co_u32_e32 v9, vcc, 0, v3, vcc
	global_load_dwordx4 v[8:11], v[8:9], off
	v_and_b32_e32 v7, 3, v0
	v_lshlrev_b32_e32 v12, 9, v52
	v_lshlrev_b32_e32 v5, 5, v5
	;; [unrolled: 1-line block ×3, first 2 shown]
	v_and_b32_e32 v12, 0x1800, v12
	v_mov_b32_e32 v3, 0
	v_or3_b32 v5, v12, v7, v5
	s_waitcnt vmcnt(0)
	ds_write_b128 v5, v[8:11]
.LBB90_13:
	s_or_b64 exec, exec, s[2:3]
	s_waitcnt lgkmcnt(0)
	s_mov_b32 s9, 0
	s_mul_i32 s8, s8, s46
	s_lshl_b64 s[8:9], s[8:9], 1
	s_add_u32 s3, s12, s8
	s_waitcnt vmcnt(3)
	v_mad_i64_i32 v[4:5], s[10:11], v4, s45, 0
	s_addc_u32 s12, s13, s9
	v_lshlrev_b64 v[4:5], 1, v[4:5]
	v_mov_b32_e32 v7, s12
	v_add_co_u32_e32 v4, vcc, s3, v4
	v_addc_co_u32_e32 v5, vcc, v7, v5, vcc
	v_lshlrev_b64 v[34:35], 1, v[2:3]
	v_add_co_u32_e32 v2, vcc, v4, v34
	v_lshlrev_b32_e32 v28, 9, v1
	v_addc_co_u32_e32 v3, vcc, v5, v35, vcc
	v_add_co_u32_e32 v20, vcc, v2, v28
	v_addc_co_u32_e32 v21, vcc, 0, v3, vcc
	s_load_dword s42, s[4:5], 0x98
	s_load_dword s2, s[4:5], 0x1c
	s_waitcnt lgkmcnt(0)
	s_barrier
	global_load_dwordx4 v[2:5], v[20:21], off
	s_waitcnt vmcnt(3)
	v_mad_i64_i32 v[6:7], s[10:11], v6, s45, 0
	v_lshlrev_b64 v[6:7], 1, v[6:7]
	v_mov_b32_e32 v8, s12
	v_add_co_u32_e32 v6, vcc, s3, v6
	v_addc_co_u32_e32 v7, vcc, v8, v7, vcc
	v_mov_b32_e32 v8, 0x100
	v_lshl_or_b32 v29, v52, 4, v8
	v_add_co_u32_e32 v6, vcc, v6, v29
	v_addc_co_u32_e32 v7, vcc, 0, v7, vcc
	v_add_co_u32_e32 v22, vcc, v6, v28
	v_addc_co_u32_e32 v23, vcc, 0, v7, vcc
	global_load_dwordx4 v[10:13], v[22:23], off
	global_load_dwordx4 v[14:17], v[20:21], off offset:2048
	global_load_dwordx4 v[6:9], v[22:23], off offset:2048
	v_cmp_ne_u32_e32 vcc, 15, v52
	v_cndmask_b32_e32 v22, 0, v52, vcc
	s_waitcnt vmcnt(5)
	v_mad_i64_i32 v[20:21], s[10:11], v19, s45, 0
	s_waitcnt vmcnt(4)
	v_mad_i64_i32 v[18:19], s[10:11], v18, s45, 0
	v_lshl_or_b32 v32, v22, 5, v28
	v_lshlrev_b64 v[30:31], 1, v[20:21]
	v_lshlrev_b64 v[26:27], 1, v[18:19]
	ds_read_b128 v[22:25], v32
	ds_read_b128 v[18:21], v32 offset:2048
	v_mov_b32_e32 v32, s12
	v_add_co_u32_e32 v36, vcc, s3, v30
	v_addc_co_u32_e32 v37, vcc, v32, v31, vcc
	v_mov_b32_e32 v47, s12
	s_ashr_i32 s10, s16, 31
	v_and_or_b32 v50, v0, 48, s16
	s_lshr_b32 s10, s10, 27
	v_or_b32_e32 v46, 64, v50
	v_mov_b32_e32 v51, s19
	v_mov_b32_e32 v49, s18
	s_mov_b32 s43, 0xff7fffff
	s_waitcnt vmcnt(3) lgkmcnt(1)
	v_mfma_f32_16x16x16f16 v[30:33], v[2:3], v[22:23], 0
	v_add_co_u32_e32 v2, vcc, v36, v34
	v_addc_co_u32_e32 v3, vcc, v37, v35, vcc
	v_add_co_u32_e32 v44, vcc, v2, v28
	v_addc_co_u32_e32 v45, vcc, 0, v3, vcc
	global_load_dwordx4 v[36:39], v[44:45], off
	v_add_co_u32_e32 v2, vcc, s3, v26
	v_addc_co_u32_e32 v3, vcc, v47, v27, vcc
	v_add_co_u32_e32 v26, vcc, v2, v29
	v_addc_co_u32_e32 v27, vcc, 0, v3, vcc
	v_mfma_f32_16x16x16f16 v[2:5], v[4:5], v[24:25], v[30:33]
	s_add_u32 s3, s14, s8
	s_addc_u32 s8, s15, s9
	s_waitcnt vmcnt(3)
	v_mfma_f32_16x16x16f16 v[40:43], v[10:11], v[22:23], 0
	v_add_u32_e32 v10, s10, v50
	v_add_u32_e32 v11, s10, v46
	s_nop 0
	v_ashrrev_i32_e32 v30, 5, v10
	v_add_co_u32_e32 v10, vcc, v26, v28
	v_ashrrev_i32_e32 v31, 5, v11
	v_addc_co_u32_e32 v11, vcc, 0, v27, vcc
	global_load_dwordx4 v[26:29], v[44:45], off offset:2048
	s_waitcnt vmcnt(3) lgkmcnt(0)
	v_mfma_f32_16x16x16f16 v[2:5], v[14:15], v[18:19], v[2:5]
	v_cmp_gt_i32_e32 vcc, s33, v50
	v_cndmask_b32_e32 v14, v51, v30, vcc
	v_cmp_gt_i32_e32 vcc, s33, v46
	v_ashrrev_i32_e32 v15, 31, v14
	v_cndmask_b32_e32 v48, v51, v31, vcc
	global_load_dwordx4 v[30:33], v[10:11], off
	global_load_dwordx4 v[56:59], v[10:11], off offset:2048
	v_lshlrev_b64 v[10:11], 2, v[14:15]
	v_mfma_f32_16x16x16f16 v[44:47], v[16:17], v[20:21], v[2:5]
	v_mov_b32_e32 v15, s18
	s_nop 5
	v_add_co_u32_e32 v2, vcc, s17, v10
	v_addc_co_u32_e32 v3, vcc, v49, v11, vcc
	global_load_dword v14, v[2:3], off
	v_ashrrev_i32_e32 v49, 31, v48
	v_lshlrev_b64 v[10:11], 2, v[48:49]
	v_add_co_u32_e32 v10, vcc, s17, v10
	v_addc_co_u32_e32 v11, vcc, v15, v11, vcc
	global_load_dword v48, v[10:11], off
	v_mfma_f32_16x16x16f16 v[2:5], v[12:13], v[24:25], v[40:43]
	v_or_b32_e32 v10, 0x80, v50
	v_add_u32_e32 v11, s10, v10
	v_ashrrev_i32_e32 v11, 5, v11
	v_cmp_gt_i32_e32 vcc, s33, v10
	v_cndmask_b32_e32 v10, v51, v11, vcc
	v_ashrrev_i32_e32 v11, 31, v10
	s_waitcnt vmcnt(6)
	v_mfma_f32_16x16x16f16 v[2:5], v[6:7], v[18:19], v[2:5]
	v_lshlrev_b64 v[6:7], 2, v[10:11]
	v_mov_b32_e32 v10, s18
	v_add_co_u32_e32 v6, vcc, s17, v6
	v_addc_co_u32_e32 v7, vcc, v10, v7, vcc
	global_load_dword v49, v[6:7], off
	v_mfma_f32_16x16x16f16 v[40:43], v[8:9], v[20:21], v[2:5]
	v_or_b32_e32 v6, 0xc0, v50
	v_add_u32_e32 v7, s10, v6
	v_ashrrev_i32_e32 v7, 5, v7
	v_cmp_gt_i32_e32 vcc, s33, v6
	v_cndmask_b32_e32 v6, v51, v7, vcc
	v_ashrrev_i32_e32 v7, 31, v6
	v_lshlrev_b64 v[6:7], 2, v[6:7]
	s_waitcnt vmcnt(6)
	v_mfma_f32_16x16x16f16 v[2:5], v[36:37], v[22:23], 0
	v_mov_b32_e32 v8, s18
	v_add_co_u32_e32 v6, vcc, s17, v6
	v_addc_co_u32_e32 v7, vcc, v8, v7, vcc
	global_load_dword v55, v[6:7], off
	v_and_b32_e32 v6, 16, v0
	v_mfma_f32_16x16x16f16 v[2:5], v[38:39], v[24:25], v[2:5]
	v_lshlrev_b32_e32 v6, 1, v6
	v_mov_b32_e32 v7, s8
	v_add_co_u32_e32 v6, vcc, s3, v6
	v_lshlrev_b32_e32 v8, 6, v52
	v_addc_co_u32_e32 v7, vcc, 0, v7, vcc
	s_waitcnt vmcnt(6)
	v_mfma_f32_16x16x16f16 v[2:5], v[26:27], v[18:19], v[2:5]
	v_lshl_or_b32 v8, v53, 10, v8
	v_add_co_u32_e32 v60, vcc, v6, v8
	v_addc_co_u32_e32 v61, vcc, 0, v7, vcc
	v_pk_mul_f32 v[50:51], s[2:3], v[42:43] op_sel_hi:[0,1]
	v_pk_mul_f32 v[40:41], s[2:3], v[40:41] op_sel_hi:[0,1]
	v_mfma_f32_16x16x16f16 v[26:29], v[28:29], v[20:21], v[2:5]
	s_waitcnt vmcnt(3)
	s_nop 5
	v_mad_i64_i32 v[2:3], s[8:9], v14, s45, 0
	v_lshlrev_b64 v[6:7], 1, v[2:3]
	v_mfma_f32_16x16x16f16 v[2:5], v[30:31], v[22:23], 0
	v_add_co_u32_e32 v6, vcc, v60, v6
	v_addc_co_u32_e32 v7, vcc, v61, v7, vcc
	global_load_dwordx4 v[14:17], v[6:7], off
	global_load_dwordx4 v[10:13], v[6:7], off offset:16
	s_waitcnt vmcnt(4)
	v_mad_i64_i32 v[6:7], s[8:9], v48, s45, 0
	v_mfma_f32_16x16x16f16 v[22:25], v[32:33], v[24:25], v[2:5]
	v_lshlrev_b64 v[6:7], 1, v[6:7]
	s_waitcnt vmcnt(3)
	v_mad_i64_i32 v[30:31], s[8:9], v49, s45, 0
	v_mfma_f32_16x16x16f16 v[22:25], v[56:57], v[18:19], v[22:25]
	v_pk_mul_f32 v[18:19], s[2:3], v[44:45] op_sel_hi:[0,1]
	v_pk_mul_f32 v[48:49], s[2:3], v[46:47] op_sel_hi:[0,1]
	;; [unrolled: 1-line block ×4, first 2 shown]
	v_add_co_u32_e32 v2, vcc, v60, v6
	v_addc_co_u32_e32 v3, vcc, v61, v7, vcc
	v_mfma_f32_16x16x16f16 v[20:23], v[58:59], v[20:21], v[22:25]
	v_lshlrev_b64 v[30:31], 1, v[30:31]
	v_add_co_u32_e32 v38, vcc, v60, v30
	v_addc_co_u32_e32 v39, vcc, v61, v31, vcc
	global_load_dwordx4 v[6:9], v[2:3], off
	s_nop 0
	global_load_dwordx4 v[2:5], v[2:3], off offset:16
	s_nop 4
	v_pk_mul_f32 v[42:43], s[2:3], v[20:21] op_sel_hi:[0,1]
	v_and_b32_e32 v20, 0xc0, v0
	v_add_u32_e32 v20, s16, v20
	v_lshl_or_b32 v20, v1, 2, v20
	v_pk_mul_f32 v[36:37], s[2:3], v[22:23] op_sel_hi:[0,1]
	v_or_b32_e32 v23, 1, v20
	v_mov_b32_e32 v21, 0xff7fffff
	v_cmp_gt_i32_e64 s[30:31], s33, v20
	v_cmp_gt_i32_e64 s[34:35], s33, v23
	v_cndmask_b32_e64 v22, v21, v18, s[30:31]
	v_cndmask_b32_e64 v23, v21, v19, s[34:35]
	v_max3_f32 v22, v22, s43, v23
	v_or_b32_e32 v23, 2, v20
	v_or_b32_e32 v24, 3, v20
	v_cmp_gt_i32_e64 s[36:37], s33, v23
	v_cmp_gt_i32_e64 s[38:39], s33, v24
	v_cndmask_b32_e64 v23, v21, v48, s[36:37]
	v_cndmask_b32_e64 v24, v21, v49, s[38:39]
	v_max3_f32 v22, v22, v23, v24
	v_or_b32_e32 v23, 16, v20
	v_or_b32_e32 v24, 17, v20
	;; [unrolled: 7-line block ×7, first 2 shown]
	v_cmp_gt_i32_e32 vcc, s33, v23
	v_cmp_gt_i32_e64 s[2:3], s33, v20
	v_cndmask_b32_e32 v23, v21, v36, vcc
	v_cndmask_b32_e64 v20, v21, v37, s[2:3]
	v_max3_f32 v26, v22, v23, v20
	v_mbcnt_lo_u32_b32 v20, -1, 0
	v_mbcnt_hi_u32_b32 v27, -1, v20
	v_and_b32_e32 v20, 64, v27
	v_add_u32_e32 v28, 64, v20
	v_xor_b32_e32 v20, 32, v27
	v_cmp_lt_i32_e64 s[40:41], v20, v28
	v_cndmask_b32_e64 v20, v27, v20, s[40:41]
	v_lshlrev_b32_e32 v56, 2, v20
	ds_bpermute_b32 v29, v56, v26
	s_waitcnt vmcnt(4)
	v_mad_i64_i32 v[20:21], s[40:41], v55, s45, 0
	v_lshlrev_b64 v[20:21], 1, v[20:21]
	global_load_dwordx4 v[30:33], v[38:39], off
	global_load_dwordx4 v[22:25], v[38:39], off offset:16
	s_waitcnt lgkmcnt(0)
	v_max_f32_e32 v29, v29, v29
	v_max_f32_e32 v26, v26, v29
	v_xor_b32_e32 v29, 16, v27
	v_cmp_lt_i32_e64 s[40:41], v29, v28
	v_cndmask_b32_e64 v27, v27, v29, s[40:41]
	v_lshlrev_b32_e32 v58, 2, v27
	ds_bpermute_b32 v27, v58, v26
	v_add_co_u32_e64 v20, s[40:41], v60, v20
	v_addc_co_u32_e64 v21, s[40:41], v61, v21, s[40:41]
	s_waitcnt lgkmcnt(0)
	v_max_f32_e32 v27, v27, v27
	v_max_f32_e32 v55, v26, v27
	v_sub_f32_e32 v18, v18, v55
	v_mul_f32_e32 v18, 0x3fb8aa3b, v18
	v_exp_f32_e32 v38, v18
	v_sub_f32_e32 v18, v19, v55
	v_mul_f32_e32 v18, 0x3fb8aa3b, v18
	v_exp_f32_e32 v39, v18
	global_load_dwordx4 v[26:29], v[20:21], off
	s_nop 0
	global_load_dwordx4 v[18:21], v[20:21], off offset:16
	v_sub_f32_e32 v48, v48, v55
	v_mul_f32_e32 v48, 0x3fb8aa3b, v48
	v_sub_f32_e32 v49, v49, v55
	v_exp_f32_e32 v48, v48
	v_mul_f32_e32 v49, 0x3fb8aa3b, v49
	v_sub_f32_e32 v40, v40, v55
	v_exp_f32_e32 v49, v49
	v_mul_f32_e32 v40, 0x3fb8aa3b, v40
	v_sub_f32_e32 v41, v41, v55
	v_cndmask_b32_e64 v38, 0, v38, s[30:31]
	v_exp_f32_e32 v40, v40
	v_mul_f32_e32 v41, 0x3fb8aa3b, v41
	v_sub_f32_e32 v50, v50, v55
	v_add_f32_e32 v57, 0, v38
	v_cndmask_b32_e64 v39, 0, v39, s[34:35]
	v_exp_f32_e32 v41, v41
	v_mul_f32_e32 v50, 0x3fb8aa3b, v50
	v_sub_f32_e32 v51, v51, v55
	v_add_f32_e32 v57, v57, v39
	;; [unrolled: 5-line block ×10, first 2 shown]
	v_cndmask_b32_e64 v46, 0, v46, s[12:13]
	v_exp_f32_e32 v36, v36
	v_mul_f32_e32 v37, 0x3fb8aa3b, v37
	v_add_f32_e32 v57, v57, v46
	v_cndmask_b32_e64 v47, 0, v47, s[14:15]
	v_exp_f32_e32 v37, v37
	v_add_f32_e32 v57, v57, v47
	v_cndmask_b32_e64 v42, 0, v42, s[8:9]
	v_add_f32_e32 v57, v57, v42
	v_cndmask_b32_e64 v43, 0, v43, s[10:11]
	v_add_f32_e32 v57, v57, v43
	v_cndmask_b32_e32 v36, 0, v36, vcc
	v_add_f32_e32 v57, v57, v36
	v_cndmask_b32_e64 v37, 0, v37, s[2:3]
	v_add_f32_e32 v57, v57, v37
	ds_bpermute_b32 v56, v56, v57
	v_cmp_gt_u32_e32 vcc, 16, v54
	s_waitcnt lgkmcnt(0)
	s_barrier
	v_add_f32_e32 v57, v57, v56
	ds_bpermute_b32 v58, v58, v57
	v_lshlrev_b32_e32 v56, 2, v52
	s_and_saveexec_b64 s[2:3], vcc
	s_cbranch_execz .LBB90_15
; %bb.14:
	s_waitcnt lgkmcnt(0)
	v_add_f32_e32 v54, v57, v58
	v_lshl_or_b32 v57, v53, 6, v56
	ds_write2st64_b32 v57, v55, v54 offset1:1
.LBB90_15:
	s_or_b64 exec, exec, s[2:3]
	s_load_dword s8, s[4:5], 0x94
	s_waitcnt lgkmcnt(0)
	s_barrier
	ds_read2_b32 v[58:59], v56 offset1:16
	ds_read2_b32 v[60:61], v56 offset0:32 offset1:48
	ds_read2_b32 v[62:63], v56 offset0:64 offset1:80
	ds_read2_b32 v[56:57], v56 offset0:96 offset1:112
	s_waitcnt lgkmcnt(0)
	v_max3_f32 v54, v58, s43, v59
	v_max3_f32 v54, v54, v60, v61
	v_sub_f32_e32 v55, v58, v54
	v_mul_f32_e32 v55, 0x3fb8aa3b, v55
	v_exp_f32_e32 v58, v55
	v_sub_f32_e32 v55, v59, v54
	v_mul_f32_e32 v55, 0x3fb8aa3b, v55
	v_exp_f32_e32 v59, v55
	;; [unrolled: 3-line block ×4, first 2 shown]
	v_fma_f32 v55, v58, v62, 0
	v_fmac_f32_e32 v55, v59, v63
	v_fmac_f32_e32 v55, v60, v56
	;; [unrolled: 1-line block ×3, first 2 shown]
	v_add_f32_e32 v56, 0x358637bd, v55
	v_div_scale_f32 v57, s[2:3], v56, v56, 1.0
	v_rcp_f32_e32 v62, v57
	s_barrier
	s_mul_i32 s9, s42, 15
	v_fma_f32 v63, -v57, v62, 1.0
	v_fmac_f32_e32 v62, v63, v62
	v_div_scale_f32 v63, vcc, 1.0, v56, 1.0
	v_mul_f32_e32 v64, v63, v62
	v_fma_f32 v65, -v57, v64, v63
	v_fmac_f32_e32 v64, v65, v62
	v_fma_f32 v57, -v57, v64, v63
	v_div_fmas_f32 v57, v57, v62, v64
	v_cmp_eq_u32_e32 vcc, 1, v53
	v_div_fixup_f32 v56, v57, v56, 1.0
	v_cndmask_b32_e32 v57, v58, v59, vcc
	v_cmp_eq_u32_e32 vcc, 2, v53
	v_cndmask_b32_e32 v57, v57, v60, vcc
	v_cmp_eq_u32_e32 vcc, 3, v53
	v_cndmask_b32_e32 v57, v57, v61, vcc
	v_mul_f32_e32 v56, v57, v56
	v_pk_mul_f32 v[48:49], v[56:57], v[48:49] op_sel_hi:[0,1]
	v_pk_mul_f32 v[38:39], v[56:57], v[38:39] op_sel_hi:[0,1]
	v_cvt_f16_f32_e32 v57, v48
	v_cvt_f16_f32_e32 v38, v38
	;; [unrolled: 1-line block ×4, first 2 shown]
	v_pk_mul_f32 v[50:51], v[56:57], v[50:51] op_sel_hi:[0,1]
	v_pk_mul_f32 v[40:41], v[56:57], v[40:41] op_sel_hi:[0,1]
	v_cvt_f16_f32_e32 v40, v40
	v_cvt_f16_f32_e32 v41, v41
	;; [unrolled: 1-line block ×4, first 2 shown]
	v_pack_b32_f16 v48, v38, v39
	v_lshlrev_b32_e32 v38, 3, v1
	v_lshlrev_b32_e32 v39, 5, v52
	;; [unrolled: 1-line block ×3, first 2 shown]
	v_pack_b32_f16 v49, v57, v49
	v_or3_b32 v38, v53, v39, v38
	v_pack_b32_f16 v40, v40, v41
	v_pack_b32_f16 v41, v50, v51
	ds_write2st64_b64 v38, v[48:49], v[40:41] offset1:1
	v_pk_mul_f32 v[40:41], v[56:57], v[46:47] op_sel_hi:[0,1]
	v_pk_mul_f32 v[44:45], v[56:57], v[44:45] op_sel_hi:[0,1]
	v_cvt_f16_f32_e32 v46, v40
	v_cvt_f16_f32_e32 v47, v41
	v_pk_mul_f32 v[36:37], v[56:57], v[36:37] op_sel_hi:[0,1]
	v_pk_mul_f32 v[40:41], v[56:57], v[42:43] op_sel_hi:[0,1]
	v_cvt_f16_f32_e32 v44, v44
	v_cvt_f16_f32_e32 v45, v45
	;; [unrolled: 1-line block ×6, first 2 shown]
	v_pack_b32_f16 v36, v44, v45
	v_pack_b32_f16 v37, v46, v47
	v_pack_b32_f16 v40, v40, v41
	v_pack_b32_f16 v41, v42, v43
	v_cmp_gt_u32_e32 vcc, 15, v0
	ds_write2st64_b64 v38, v[36:37], v[40:41] offset0:2 offset1:3
	s_and_saveexec_b64 s[2:3], vcc
	s_cbranch_execz .LBB90_17
; %bb.16:
	v_add_co_u32_e32 v40, vcc, s29, v52
	v_addc_co_u32_e64 v41, s[10:11], 0, 0, vcc
	v_mov_b32_e32 v36, s9
	v_mov_b32_e32 v37, 0
	v_mad_u64_u32 v[40:41], s[10:11], s6, v36, v[40:41]
	v_mov_b32_e32 v36, s28
	s_load_dwordx4 s[12:15], s[4:5], 0x58
	s_mul_i32 s7, s7, s9
	v_mad_u64_u32 v[36:37], s[10:11], v40, s8, v[36:37]
	v_add_u32_e32 v41, s7, v41
	v_mov_b32_e32 v40, v37
	v_mad_u64_u32 v[40:41], s[10:11], v41, s8, v[40:41]
	v_mov_b32_e32 v37, v40
	v_lshlrev_b64 v[36:37], 2, v[36:37]
	s_waitcnt lgkmcnt(0)
	v_mov_b32_e32 v41, s15
	v_add_co_u32_e32 v40, vcc, s14, v36
	v_addc_co_u32_e32 v41, vcc, v41, v37, vcc
	global_store_dword v[40:41], v54, off
	v_mov_b32_e32 v40, s13
	v_add_co_u32_e32 v36, vcc, s12, v36
	v_addc_co_u32_e32 v37, vcc, v40, v37, vcc
	global_store_dword v[36:37], v55, off
.LBB90_17:
	s_or_b64 exec, exec, s[2:3]
	v_lshl_or_b32 v36, v1, 9, v39
	s_waitcnt lgkmcnt(0)
	s_barrier
	ds_read_b128 v[40:43], v36
	ds_read_b128 v[44:47], v36 offset:16
	s_waitcnt vmcnt(7) lgkmcnt(1)
	v_mfma_f32_16x16x16f16 v[48:51], v[14:15], v[40:41], 0
	v_cmp_gt_u32_e32 vcc, 64, v0
	s_mov_b32 s3, 0
	s_and_b64 s[0:1], vcc, s[0:1]
	v_mfma_f32_16x16x16f16 v[14:17], v[16:17], v[42:43], v[48:51]
	s_waitcnt vmcnt(6) lgkmcnt(0)
	v_mfma_f32_16x16x16f16 v[14:17], v[10:11], v[44:45], v[14:17]
	v_mfma_f32_16x16x16f16 v[10:13], v[12:13], v[46:47], v[14:17]
	s_nop 7
	s_nop 1
	ds_read_b128 v[14:17], v36 offset:2048
	ds_read_b128 v[40:43], v36 offset:2064
	s_waitcnt vmcnt(5) lgkmcnt(1)
	v_mfma_f32_16x16x16f16 v[10:13], v[6:7], v[14:15], v[10:13]
	v_mfma_f32_16x16x16f16 v[6:9], v[8:9], v[16:17], v[10:13]
	s_waitcnt vmcnt(4) lgkmcnt(0)
	v_mfma_f32_16x16x16f16 v[6:9], v[2:3], v[40:41], v[6:9]
	v_mfma_f32_16x16x16f16 v[2:5], v[4:5], v[42:43], v[6:9]
	s_nop 7
	s_nop 1
	ds_read_b128 v[6:9], v36 offset:4096
	ds_read_b128 v[10:13], v36 offset:4112
	s_waitcnt vmcnt(3) lgkmcnt(1)
	v_mfma_f32_16x16x16f16 v[2:5], v[30:31], v[6:7], v[2:5]
	v_mfma_f32_16x16x16f16 v[2:5], v[32:33], v[8:9], v[2:5]
	s_waitcnt vmcnt(2) lgkmcnt(0)
	v_mfma_f32_16x16x16f16 v[2:5], v[22:23], v[10:11], v[2:5]
	v_mfma_f32_16x16x16f16 v[2:5], v[24:25], v[12:13], v[2:5]
	ds_read_b128 v[6:9], v36 offset:6144
	ds_read_b128 v[10:13], v36 offset:6160
	s_waitcnt lgkmcnt(0)
	s_barrier
	s_waitcnt vmcnt(1)
	v_mfma_f32_16x16x16f16 v[2:5], v[26:27], v[6:7], v[2:5]
	v_mfma_f32_16x16x16f16 v[2:5], v[28:29], v[8:9], v[2:5]
	s_waitcnt vmcnt(0)
	v_mfma_f32_16x16x16f16 v[2:5], v[18:19], v[10:11], v[2:5]
	v_mfma_f32_16x16x16f16 v[2:5], v[20:21], v[12:13], v[2:5]
	s_nop 7
	s_nop 2
	v_cvt_f16_f32_e32 v2, v2
	v_cvt_f16_f32_e32 v3, v3
	;; [unrolled: 1-line block ×4, first 2 shown]
	v_pack_b32_f16 v2, v2, v3
	v_pack_b32_f16 v3, v4, v5
	ds_write_b64 v38, v[2:3]
	s_waitcnt lgkmcnt(0)
	s_barrier
	s_and_saveexec_b64 s[10:11], s[0:1]
	s_cbranch_execz .LBB90_20
; %bb.18:
	s_load_dwordx2 s[4:5], s[4:5], 0x68
	s_lshl_b32 s0, s8, 6
	s_mul_i32 s1, s9, s6
	s_mul_hi_u32 s7, s1, s0
	s_mul_i32 s6, s1, s0
	s_lshl_b64 s[6:7], s[6:7], 1
	s_waitcnt lgkmcnt(0)
	s_add_u32 s1, s4, s6
	v_lshlrev_b32_e32 v2, 10, v0
	v_lshlrev_b32_e32 v0, 4, v0
	s_addc_u32 s4, s5, s7
	s_lshl_b32 s2, s28, 6
	v_and_b32_e32 v2, 0x1800, v2
	v_lshlrev_b32_e32 v3, 5, v1
	v_and_b32_e32 v0, 16, v0
	s_lshl_b64 s[2:3], s[2:3], 1
	v_or3_b32 v0, v2, v3, v0
	s_add_u32 s1, s1, s2
	ds_read_b128 v[4:7], v0 offset:256
	s_addc_u32 s2, s4, s3
	ds_read_b128 v[8:11], v0 offset:128
	ds_read_b128 v[12:15], v0
	v_add_u32_e32 v18, s29, v1
	v_mov_b32_e32 v3, s2
	v_add_co_u32_e32 v2, vcc, s1, v34
	v_mad_u64_u32 v[16:17], s[2:3], v18, s0, 0
	v_addc_co_u32_e32 v3, vcc, v3, v35, vcc
	v_lshlrev_b64 v[16:17], 1, v[16:17]
	v_add_co_u32_e32 v16, vcc, v2, v16
	v_addc_co_u32_e32 v17, vcc, v3, v17, vcc
	s_waitcnt lgkmcnt(0)
	global_store_dwordx4 v[16:17], v[12:15], off
	s_nop 0
	v_add_u32_e32 v12, 4, v18
	v_mad_u64_u32 v[12:13], s[2:3], v12, s0, 0
	v_lshlrev_b64 v[12:13], 1, v[12:13]
	v_add_co_u32_e32 v12, vcc, v2, v12
	v_addc_co_u32_e32 v13, vcc, v3, v13, vcc
	global_store_dwordx4 v[12:13], v[8:11], off
	s_nop 0
	v_add_u32_e32 v8, 8, v18
	v_mad_u64_u32 v[8:9], s[2:3], v8, s0, 0
	v_lshlrev_b64 v[8:9], 1, v[8:9]
	v_add_co_u32_e32 v8, vcc, v2, v8
	v_addc_co_u32_e32 v9, vcc, v3, v9, vcc
	v_cmp_ne_u32_e32 vcc, 3, v1
	global_store_dwordx4 v[8:9], v[4:7], off
	s_and_b64 exec, exec, vcc
	s_cbranch_execz .LBB90_20
; %bb.19:
	ds_read_b128 v[4:7], v0 offset:384
	v_add3_u32 v0, s29, v1, 12
	v_mad_u64_u32 v[0:1], s[0:1], v0, s0, 0
	v_lshlrev_b64 v[0:1], 1, v[0:1]
	v_add_co_u32_e32 v0, vcc, v2, v0
	v_addc_co_u32_e32 v1, vcc, v3, v1, vcc
	s_waitcnt lgkmcnt(0)
	global_store_dwordx4 v[0:1], v[4:7], off
.LBB90_20:
	s_endpgm
	.section	.rodata,"a",@progbits
	.p2align	6, 0x0
	.amdhsa_kernel _Z39paged_attention_ll4mi_QKV_mfma16_kernelIDF16_DF16_LN4vllm18Fp8KVCacheDataTypeE0EDF16_Li32ELi64ELi256ELb0ELi15EL8MFMAType0EEvPKT_PKT0_S8_ifPKiSA_SA_iPKfiiiPfSD_PS3_PT2_iSC_SC_
		.amdhsa_group_segment_fixed_size 8192
		.amdhsa_private_segment_fixed_size 0
		.amdhsa_kernarg_size 400
		.amdhsa_user_sgpr_count 6
		.amdhsa_user_sgpr_private_segment_buffer 1
		.amdhsa_user_sgpr_dispatch_ptr 0
		.amdhsa_user_sgpr_queue_ptr 0
		.amdhsa_user_sgpr_kernarg_segment_ptr 1
		.amdhsa_user_sgpr_dispatch_id 0
		.amdhsa_user_sgpr_flat_scratch_init 0
		.amdhsa_user_sgpr_kernarg_preload_length 0
		.amdhsa_user_sgpr_kernarg_preload_offset 0
		.amdhsa_user_sgpr_private_segment_size 0
		.amdhsa_uses_dynamic_stack 0
		.amdhsa_system_sgpr_private_segment_wavefront_offset 0
		.amdhsa_system_sgpr_workgroup_id_x 1
		.amdhsa_system_sgpr_workgroup_id_y 1
		.amdhsa_system_sgpr_workgroup_id_z 1
		.amdhsa_system_sgpr_workgroup_info 0
		.amdhsa_system_vgpr_workitem_id 0
		.amdhsa_next_free_vgpr 66
		.amdhsa_next_free_sgpr 48
		.amdhsa_accum_offset 68
		.amdhsa_reserve_vcc 1
		.amdhsa_reserve_flat_scratch 0
		.amdhsa_float_round_mode_32 0
		.amdhsa_float_round_mode_16_64 0
		.amdhsa_float_denorm_mode_32 3
		.amdhsa_float_denorm_mode_16_64 3
		.amdhsa_dx10_clamp 1
		.amdhsa_ieee_mode 1
		.amdhsa_fp16_overflow 0
		.amdhsa_tg_split 0
		.amdhsa_exception_fp_ieee_invalid_op 0
		.amdhsa_exception_fp_denorm_src 0
		.amdhsa_exception_fp_ieee_div_zero 0
		.amdhsa_exception_fp_ieee_overflow 0
		.amdhsa_exception_fp_ieee_underflow 0
		.amdhsa_exception_fp_ieee_inexact 0
		.amdhsa_exception_int_div_zero 0
	.end_amdhsa_kernel
	.section	.text._Z39paged_attention_ll4mi_QKV_mfma16_kernelIDF16_DF16_LN4vllm18Fp8KVCacheDataTypeE0EDF16_Li32ELi64ELi256ELb0ELi15EL8MFMAType0EEvPKT_PKT0_S8_ifPKiSA_SA_iPKfiiiPfSD_PS3_PT2_iSC_SC_,"axG",@progbits,_Z39paged_attention_ll4mi_QKV_mfma16_kernelIDF16_DF16_LN4vllm18Fp8KVCacheDataTypeE0EDF16_Li32ELi64ELi256ELb0ELi15EL8MFMAType0EEvPKT_PKT0_S8_ifPKiSA_SA_iPKfiiiPfSD_PS3_PT2_iSC_SC_,comdat
.Lfunc_end90:
	.size	_Z39paged_attention_ll4mi_QKV_mfma16_kernelIDF16_DF16_LN4vllm18Fp8KVCacheDataTypeE0EDF16_Li32ELi64ELi256ELb0ELi15EL8MFMAType0EEvPKT_PKT0_S8_ifPKiSA_SA_iPKfiiiPfSD_PS3_PT2_iSC_SC_, .Lfunc_end90-_Z39paged_attention_ll4mi_QKV_mfma16_kernelIDF16_DF16_LN4vllm18Fp8KVCacheDataTypeE0EDF16_Li32ELi64ELi256ELb0ELi15EL8MFMAType0EEvPKT_PKT0_S8_ifPKiSA_SA_iPKfiiiPfSD_PS3_PT2_iSC_SC_
                                        ; -- End function
	.section	.AMDGPU.csdata,"",@progbits
; Kernel info:
; codeLenInByte = 4148
; NumSgprs: 52
; NumVgprs: 66
; NumAgprs: 0
; TotalNumVgprs: 66
; ScratchSize: 0
; MemoryBound: 0
; FloatMode: 240
; IeeeMode: 1
; LDSByteSize: 8192 bytes/workgroup (compile time only)
; SGPRBlocks: 6
; VGPRBlocks: 8
; NumSGPRsForWavesPerEU: 52
; NumVGPRsForWavesPerEU: 66
; AccumOffset: 68
; Occupancy: 7
; WaveLimiterHint : 1
; COMPUTE_PGM_RSRC2:SCRATCH_EN: 0
; COMPUTE_PGM_RSRC2:USER_SGPR: 6
; COMPUTE_PGM_RSRC2:TRAP_HANDLER: 0
; COMPUTE_PGM_RSRC2:TGID_X_EN: 1
; COMPUTE_PGM_RSRC2:TGID_Y_EN: 1
; COMPUTE_PGM_RSRC2:TGID_Z_EN: 1
; COMPUTE_PGM_RSRC2:TIDIG_COMP_CNT: 0
; COMPUTE_PGM_RSRC3_GFX90A:ACCUM_OFFSET: 16
; COMPUTE_PGM_RSRC3_GFX90A:TG_SPLIT: 0
	.section	.text._Z39paged_attention_ll4mi_QKV_mfma16_kernelIDF16_DF16_LN4vllm18Fp8KVCacheDataTypeE0EDF16_Li32ELi64ELi256ELb0ELi16EL8MFMAType0EEvPKT_PKT0_S8_ifPKiSA_SA_iPKfiiiPfSD_PS3_PT2_iSC_SC_,"axG",@progbits,_Z39paged_attention_ll4mi_QKV_mfma16_kernelIDF16_DF16_LN4vllm18Fp8KVCacheDataTypeE0EDF16_Li32ELi64ELi256ELb0ELi16EL8MFMAType0EEvPKT_PKT0_S8_ifPKiSA_SA_iPKfiiiPfSD_PS3_PT2_iSC_SC_,comdat
	.protected	_Z39paged_attention_ll4mi_QKV_mfma16_kernelIDF16_DF16_LN4vllm18Fp8KVCacheDataTypeE0EDF16_Li32ELi64ELi256ELb0ELi16EL8MFMAType0EEvPKT_PKT0_S8_ifPKiSA_SA_iPKfiiiPfSD_PS3_PT2_iSC_SC_ ; -- Begin function _Z39paged_attention_ll4mi_QKV_mfma16_kernelIDF16_DF16_LN4vllm18Fp8KVCacheDataTypeE0EDF16_Li32ELi64ELi256ELb0ELi16EL8MFMAType0EEvPKT_PKT0_S8_ifPKiSA_SA_iPKfiiiPfSD_PS3_PT2_iSC_SC_
	.globl	_Z39paged_attention_ll4mi_QKV_mfma16_kernelIDF16_DF16_LN4vllm18Fp8KVCacheDataTypeE0EDF16_Li32ELi64ELi256ELb0ELi16EL8MFMAType0EEvPKT_PKT0_S8_ifPKiSA_SA_iPKfiiiPfSD_PS3_PT2_iSC_SC_
	.p2align	8
	.type	_Z39paged_attention_ll4mi_QKV_mfma16_kernelIDF16_DF16_LN4vllm18Fp8KVCacheDataTypeE0EDF16_Li32ELi64ELi256ELb0ELi16EL8MFMAType0EEvPKT_PKT0_S8_ifPKiSA_SA_iPKfiiiPfSD_PS3_PT2_iSC_SC_,@function
_Z39paged_attention_ll4mi_QKV_mfma16_kernelIDF16_DF16_LN4vllm18Fp8KVCacheDataTypeE0EDF16_Li32ELi64ELi256ELb0ELi16EL8MFMAType0EEvPKT_PKT0_S8_ifPKiSA_SA_iPKfiiiPfSD_PS3_PT2_iSC_SC_: ; @_Z39paged_attention_ll4mi_QKV_mfma16_kernelIDF16_DF16_LN4vllm18Fp8KVCacheDataTypeE0EDF16_Li32ELi64ELi256ELb0ELi16EL8MFMAType0EEvPKT_PKT0_S8_ifPKiSA_SA_iPKfiiiPfSD_PS3_PT2_iSC_SC_
; %bb.0:
	s_load_dwordx2 s[0:1], s[4:5], 0x30
	s_mov_b32 s28, s7
	s_mov_b64 s[10:11], 0
	s_waitcnt lgkmcnt(0)
	s_cmp_lg_u64 s[0:1], 0
	s_cselect_b64 s[2:3], -1, 0
	s_and_b64 vcc, exec, s[2:3]
	s_cbranch_vccz .LBB91_7
; %bb.1:
	s_add_i32 s12, s6, 1
	s_mov_b32 s13, 0
	s_lshl_b64 s[14:15], s[12:13], 2
	s_add_u32 s14, s0, s14
	s_mov_b32 s7, s13
	s_addc_u32 s15, s1, s15
	s_lshl_b64 s[12:13], s[6:7], 2
	s_add_u32 s12, s0, s12
	s_addc_u32 s13, s1, s13
	s_load_dword s9, s[14:15], 0x0
	s_load_dword s16, s[12:13], 0x0
	s_waitcnt lgkmcnt(0)
	s_sub_i32 s9, s9, s16
	s_cmp_eq_u32 s9, 1
	s_cselect_b64 s[12:13], -1, 0
	s_andn2_b64 vcc, exec, s[10:11]
	s_cbranch_vccnz .LBB91_3
.LBB91_2:
	s_mov_b32 s7, 0
	s_mov_b64 s[12:13], -1
.LBB91_3:
	s_andn2_b64 vcc, exec, s[12:13]
	s_cbranch_vccnz .LBB91_19
; %bb.4:
	s_load_dwordx2 s[12:13], s[4:5], 0x28
	s_lshl_b64 s[10:11], s[6:7], 2
	s_waitcnt lgkmcnt(0)
	s_add_u32 s12, s12, s10
	s_addc_u32 s13, s13, s11
	s_load_dword s33, s[12:13], 0x0
	s_lshl_b32 s16, s28, 8
	s_waitcnt lgkmcnt(0)
	s_cmp_ge_i32 s16, s33
	s_cbranch_scc1 .LBB91_19
; %bb.5:
	s_add_i32 s14, s33, 31
	s_load_dwordx2 s[12:13], s[4:5], 0x20
	s_load_dword s9, s[4:5], 0x38
	s_ashr_i32 s15, s14, 31
	v_and_b32_e32 v1, 0xcf, v0
	s_lshr_b32 s15, s15, 27
	v_add_u32_e32 v1, s16, v1
	s_add_i32 s14, s14, s15
	v_ashrrev_i32_e32 v2, 31, v1
	s_ashr_i32 s19, s14, 5
	v_lshrrev_b32_e32 v6, 27, v2
	s_add_i32 s19, s19, -1
	v_add_u32_e32 v2, v1, v6
	s_waitcnt lgkmcnt(0)
	s_mul_i32 s14, s6, s9
	s_mov_b32 s15, 0
	v_ashrrev_i32_e32 v2, 5, v2
	v_mov_b32_e32 v7, s19
	v_cmp_gt_i32_e32 vcc, s33, v1
	s_lshl_b64 s[14:15], s[14:15], 2
	v_cndmask_b32_e32 v2, v7, v2, vcc
	s_add_u32 s17, s12, s14
	v_ashrrev_i32_e32 v3, 31, v2
	s_addc_u32 s18, s13, s15
	v_lshlrev_b64 v[2:3], 2, v[2:3]
	v_mov_b32_e32 v4, s18
	v_add_co_u32_e32 v2, vcc, s17, v2
	v_addc_co_u32_e32 v3, vcc, v4, v3, vcc
	v_or_b32_e32 v4, 16, v1
	v_add_u32_e32 v5, v4, v6
	v_ashrrev_i32_e32 v5, 5, v5
	v_cmp_gt_i32_e32 vcc, s33, v4
	v_cndmask_b32_e32 v4, v7, v5, vcc
	v_ashrrev_i32_e32 v5, 31, v4
	v_lshlrev_b64 v[4:5], 2, v[4:5]
	v_mov_b32_e32 v9, s18
	v_add_co_u32_e32 v8, vcc, s17, v4
	v_or_b32_e32 v4, 32, v1
	v_addc_co_u32_e32 v9, vcc, v9, v5, vcc
	v_add_u32_e32 v5, v4, v6
	v_ashrrev_i32_e32 v5, 5, v5
	v_cmp_gt_i32_e32 vcc, s33, v4
	v_cndmask_b32_e32 v4, v7, v5, vcc
	v_ashrrev_i32_e32 v5, 31, v4
	v_lshlrev_b64 v[4:5], 2, v[4:5]
	v_mov_b32_e32 v11, s18
	v_add_co_u32_e32 v10, vcc, s17, v4
	v_or_b32_e32 v1, 48, v1
	v_addc_co_u32_e32 v11, vcc, v11, v5, vcc
	v_add_u32_e32 v4, v1, v6
	v_ashrrev_i32_e32 v4, 5, v4
	v_cmp_gt_i32_e32 vcc, s33, v1
	v_cndmask_b32_e32 v4, v7, v4, vcc
	v_ashrrev_i32_e32 v5, 31, v4
	v_lshlrev_b64 v[4:5], 2, v[4:5]
	v_mov_b32_e32 v1, s18
	v_add_co_u32_e32 v12, vcc, s17, v4
	v_addc_co_u32_e32 v13, vcc, v1, v5, vcc
	global_load_dword v4, v[2:3], off
	global_load_dword v6, v[8:9], off
	;; [unrolled: 1-line block ×4, first 2 shown]
	s_andn2_b64 vcc, exec, s[2:3]
	s_cbranch_vccnz .LBB91_8
; %bb.6:
	s_add_u32 s0, s0, s10
	s_addc_u32 s1, s1, s11
	s_load_dword s9, s[0:1], 0x0
	s_branch .LBB91_9
.LBB91_7:
	s_mov_b64 s[12:13], 0
	s_branch .LBB91_2
.LBB91_8:
	s_mov_b32 s9, s6
.LBB91_9:
	s_load_dwordx4 s[12:15], s[4:5], 0x8
	s_load_dwordx4 s[44:47], s[4:5], 0x48
	v_and_b32_e32 v52, 15, v0
	s_movk_i32 s0, 0xff
	v_cmp_lt_u32_e32 vcc, s0, v0
	v_cmp_lt_u32_e64 s[2:3], 7, v52
	v_lshlrev_b32_e32 v2, 3, v52
	v_cmp_gt_u32_e64 s[0:1], 8, v52
	s_or_b64 s[2:3], vcc, s[2:3]
	s_and_saveexec_b64 s[10:11], s[2:3]
	s_xor_b64 s[2:3], exec, s[10:11]
; %bb.10:
	v_mov_b32_e32 v3, 0
; %bb.11:
	s_or_saveexec_b64 s[2:3], s[2:3]
	v_lshrrev_b32_e32 v53, 6, v0
	v_and_b32_e32 v55, 63, v0
	s_lshl_b32 s29, s8, 4
	v_bfe_u32 v1, v0, 4, 2
	s_xor_b64 exec, exec, s[2:3]
	s_cbranch_execz .LBB91_13
; %bb.12:
	s_load_dwordx2 s[10:11], s[4:5], 0x0
	s_waitcnt lgkmcnt(0)
	s_ashr_i32 s20, s44, 31
	s_mul_hi_u32 s21, s9, s44
	s_mul_i32 s20, s9, s20
	v_lshl_or_b32 v5, v53, 2, v1
	s_add_i32 s21, s21, s20
	s_mul_i32 s20, s9, s44
	s_lshl_b64 s[20:21], s[20:21], 1
	v_add_lshl_u32 v8, v5, s29, 6
	s_add_u32 s9, s10, s20
	v_ashrrev_i32_e32 v9, 31, v8
	s_addc_u32 s10, s11, s21
	v_lshlrev_b64 v[8:9], 1, v[8:9]
	v_mov_b32_e32 v3, s10
	v_add_co_u32_e32 v7, vcc, s9, v8
	v_addc_co_u32_e32 v3, vcc, v3, v9, vcc
	v_lshlrev_b32_e32 v8, 1, v2
	v_add_co_u32_e32 v8, vcc, v7, v8
	v_addc_co_u32_e32 v9, vcc, 0, v3, vcc
	global_load_dwordx4 v[8:11], v[8:9], off
	v_and_b32_e32 v7, 3, v0
	v_lshlrev_b32_e32 v12, 9, v52
	v_lshlrev_b32_e32 v5, 5, v5
	;; [unrolled: 1-line block ×3, first 2 shown]
	v_and_b32_e32 v12, 0x1800, v12
	v_mov_b32_e32 v3, 0
	v_or3_b32 v5, v12, v7, v5
	s_waitcnt vmcnt(0)
	ds_write_b128 v5, v[8:11]
.LBB91_13:
	s_or_b64 exec, exec, s[2:3]
	s_waitcnt lgkmcnt(0)
	s_mul_i32 s8, s8, s46
	s_mov_b32 s9, 0
	s_lshl_b64 s[8:9], s[8:9], 1
	s_add_u32 s3, s12, s8
	s_waitcnt vmcnt(3)
	v_mad_i64_i32 v[4:5], s[10:11], v4, s45, 0
	s_addc_u32 s12, s13, s9
	v_lshlrev_b64 v[4:5], 1, v[4:5]
	v_mov_b32_e32 v7, s12
	v_add_co_u32_e32 v4, vcc, s3, v4
	v_addc_co_u32_e32 v5, vcc, v7, v5, vcc
	v_lshlrev_b64 v[34:35], 1, v[2:3]
	v_add_co_u32_e32 v2, vcc, v4, v34
	v_lshlrev_b32_e32 v28, 9, v1
	v_addc_co_u32_e32 v3, vcc, v5, v35, vcc
	v_add_co_u32_e32 v20, vcc, v2, v28
	v_addc_co_u32_e32 v21, vcc, 0, v3, vcc
	s_load_dword s42, s[4:5], 0x98
	s_load_dword s2, s[4:5], 0x1c
	s_waitcnt lgkmcnt(0)
	s_barrier
	global_load_dwordx4 v[2:5], v[20:21], off
	s_waitcnt vmcnt(3)
	v_mad_i64_i32 v[6:7], s[10:11], v6, s45, 0
	v_lshlrev_b64 v[6:7], 1, v[6:7]
	v_mov_b32_e32 v8, s12
	v_add_co_u32_e32 v6, vcc, s3, v6
	v_addc_co_u32_e32 v7, vcc, v8, v7, vcc
	v_mov_b32_e32 v8, 0x100
	v_lshl_or_b32 v29, v52, 4, v8
	v_add_co_u32_e32 v6, vcc, v6, v29
	v_addc_co_u32_e32 v7, vcc, 0, v7, vcc
	v_add_co_u32_e32 v22, vcc, v6, v28
	v_addc_co_u32_e32 v23, vcc, 0, v7, vcc
	global_load_dwordx4 v[10:13], v[22:23], off
	global_load_dwordx4 v[14:17], v[20:21], off offset:2048
	global_load_dwordx4 v[6:9], v[22:23], off offset:2048
	s_waitcnt vmcnt(5)
	v_mad_i64_i32 v[20:21], s[10:11], v19, s45, 0
	v_lshlrev_b64 v[30:31], 1, v[20:21]
	v_mov_b32_e32 v32, s12
	v_add_co_u32_e32 v30, vcc, s3, v30
	v_addc_co_u32_e32 v31, vcc, v32, v31, vcc
	v_add_co_u32_e32 v36, vcc, v30, v34
	s_waitcnt vmcnt(4)
	v_mad_i64_i32 v[18:19], s[10:11], v18, s45, 0
	v_lshl_or_b32 v54, v52, 5, v28
	v_addc_co_u32_e32 v37, vcc, v31, v35, vcc
	v_lshlrev_b64 v[26:27], 1, v[18:19]
	ds_read_b128 v[22:25], v54
	ds_read_b128 v[18:21], v54 offset:2048
	v_add_co_u32_e32 v44, vcc, v36, v28
	v_addc_co_u32_e32 v45, vcc, 0, v37, vcc
	global_load_dwordx4 v[36:39], v[44:45], off
	v_mov_b32_e32 v40, s12
	v_and_or_b32 v48, v0, 48, s16
	s_ashr_i32 s10, s16, 31
	v_or_b32_e32 v46, 64, v48
	s_lshr_b32 s10, s10, 27
	v_mov_b32_e32 v49, s19
	v_mov_b32_e32 v50, s18
	s_mov_b32 s43, 0xff7fffff
	s_waitcnt vmcnt(4) lgkmcnt(1)
	v_mfma_f32_16x16x16f16 v[30:33], v[2:3], v[22:23], 0
	v_add_co_u32_e32 v2, vcc, s3, v26
	v_addc_co_u32_e32 v3, vcc, v40, v27, vcc
	v_add_u32_e32 v26, s10, v48
	v_ashrrev_i32_e32 v47, 5, v26
	s_add_u32 s3, s14, s8
	s_waitcnt vmcnt(3)
	v_mfma_f32_16x16x16f16 v[40:43], v[10:11], v[22:23], 0
	v_add_co_u32_e32 v11, vcc, v2, v29
	v_addc_co_u32_e32 v27, vcc, 0, v3, vcc
	v_add_u32_e32 v10, s10, v46
	v_ashrrev_i32_e32 v51, 5, v10
	v_add_co_u32_e32 v10, vcc, v11, v28
	v_mfma_f32_16x16x16f16 v[2:5], v[4:5], v[24:25], v[30:33]
	v_addc_co_u32_e32 v11, vcc, 0, v27, vcc
	global_load_dwordx4 v[26:29], v[44:45], off offset:2048
	v_cmp_gt_i32_e32 vcc, s33, v48
	v_cndmask_b32_e32 v44, v49, v47, vcc
	v_ashrrev_i32_e32 v45, 31, v44
	v_cmp_gt_i32_e32 vcc, s33, v46
	s_waitcnt vmcnt(3) lgkmcnt(0)
	v_mfma_f32_16x16x16f16 v[2:5], v[14:15], v[18:19], v[2:5]
	global_load_dwordx4 v[30:33], v[10:11], off
	global_load_dwordx4 v[56:59], v[10:11], off offset:2048
	v_lshlrev_b64 v[10:11], 2, v[44:45]
	v_cndmask_b32_e32 v14, v49, v51, vcc
	v_ashrrev_i32_e32 v15, 31, v14
	v_lshlrev_b64 v[14:15], 2, v[14:15]
	s_addc_u32 s8, s15, s9
	v_mfma_f32_16x16x16f16 v[44:47], v[16:17], v[20:21], v[2:5]
	s_nop 6
	v_add_co_u32_e32 v2, vcc, s17, v10
	v_addc_co_u32_e32 v3, vcc, v50, v11, vcc
	global_load_dword v16, v[2:3], off
	v_mov_b32_e32 v11, s18
	v_add_co_u32_e32 v10, vcc, s17, v14
	v_addc_co_u32_e32 v11, vcc, v11, v15, vcc
	global_load_dword v50, v[10:11], off
	v_mfma_f32_16x16x16f16 v[2:5], v[12:13], v[24:25], v[40:43]
	v_or_b32_e32 v10, 0x80, v48
	v_add_u32_e32 v11, s10, v10
	v_ashrrev_i32_e32 v11, 5, v11
	v_cmp_gt_i32_e32 vcc, s33, v10
	v_cndmask_b32_e32 v10, v49, v11, vcc
	v_ashrrev_i32_e32 v11, 31, v10
	s_waitcnt vmcnt(6)
	v_mfma_f32_16x16x16f16 v[2:5], v[6:7], v[18:19], v[2:5]
	v_lshlrev_b64 v[6:7], 2, v[10:11]
	v_mov_b32_e32 v10, s18
	v_add_co_u32_e32 v6, vcc, s17, v6
	v_addc_co_u32_e32 v7, vcc, v10, v7, vcc
	global_load_dword v51, v[6:7], off
	v_mfma_f32_16x16x16f16 v[40:43], v[8:9], v[20:21], v[2:5]
	v_or_b32_e32 v6, 0xc0, v48
	v_add_u32_e32 v7, s10, v6
	v_ashrrev_i32_e32 v7, 5, v7
	v_cmp_gt_i32_e32 vcc, s33, v6
	v_cndmask_b32_e32 v6, v49, v7, vcc
	v_ashrrev_i32_e32 v7, 31, v6
	v_lshlrev_b64 v[6:7], 2, v[6:7]
	s_waitcnt vmcnt(6)
	v_mfma_f32_16x16x16f16 v[2:5], v[36:37], v[22:23], 0
	v_mov_b32_e32 v8, s18
	v_add_co_u32_e32 v6, vcc, s17, v6
	v_addc_co_u32_e32 v7, vcc, v8, v7, vcc
	global_load_dword v60, v[6:7], off
	v_and_b32_e32 v6, 16, v0
	v_mfma_f32_16x16x16f16 v[2:5], v[38:39], v[24:25], v[2:5]
	v_lshlrev_b32_e32 v6, 1, v6
	v_mov_b32_e32 v7, s8
	v_add_co_u32_e32 v6, vcc, s3, v6
	v_lshlrev_b32_e32 v8, 6, v52
	v_addc_co_u32_e32 v7, vcc, 0, v7, vcc
	s_waitcnt vmcnt(6)
	v_mfma_f32_16x16x16f16 v[2:5], v[26:27], v[18:19], v[2:5]
	v_lshl_or_b32 v8, v53, 10, v8
	v_add_co_u32_e32 v61, vcc, v6, v8
	v_addc_co_u32_e32 v62, vcc, 0, v7, vcc
	v_pk_mul_f32 v[48:49], s[2:3], v[46:47] op_sel_hi:[0,1]
	v_pk_mul_f32 v[40:41], s[2:3], v[40:41] op_sel_hi:[0,1]
	v_mfma_f32_16x16x16f16 v[26:29], v[28:29], v[20:21], v[2:5]
	s_waitcnt vmcnt(3)
	s_nop 5
	v_mad_i64_i32 v[2:3], s[8:9], v16, s45, 0
	v_lshlrev_b64 v[6:7], 1, v[2:3]
	v_mfma_f32_16x16x16f16 v[2:5], v[30:31], v[22:23], 0
	v_add_co_u32_e32 v6, vcc, v61, v6
	v_addc_co_u32_e32 v7, vcc, v62, v7, vcc
	global_load_dwordx4 v[14:17], v[6:7], off
	global_load_dwordx4 v[10:13], v[6:7], off offset:16
	s_waitcnt vmcnt(4)
	v_mad_i64_i32 v[6:7], s[8:9], v50, s45, 0
	v_mfma_f32_16x16x16f16 v[22:25], v[32:33], v[24:25], v[2:5]
	v_pk_mul_f32 v[46:47], s[2:3], v[28:29] op_sel_hi:[0,1]
	v_lshlrev_b64 v[6:7], 1, v[6:7]
	s_waitcnt vmcnt(3)
	v_mad_i64_i32 v[30:31], s[8:9], v51, s45, 0
	v_mfma_f32_16x16x16f16 v[22:25], v[56:57], v[18:19], v[22:25]
	v_pk_mul_f32 v[50:51], s[2:3], v[42:43] op_sel_hi:[0,1]
	v_pk_mul_f32 v[18:19], s[2:3], v[44:45] op_sel_hi:[0,1]
	;; [unrolled: 1-line block ×3, first 2 shown]
	v_add_co_u32_e32 v2, vcc, v61, v6
	v_addc_co_u32_e32 v3, vcc, v62, v7, vcc
	v_mfma_f32_16x16x16f16 v[20:23], v[58:59], v[20:21], v[22:25]
	v_lshlrev_b64 v[30:31], 1, v[30:31]
	v_add_co_u32_e32 v38, vcc, v61, v30
	v_addc_co_u32_e32 v39, vcc, v62, v31, vcc
	global_load_dwordx4 v[6:9], v[2:3], off
	s_nop 0
	global_load_dwordx4 v[2:5], v[2:3], off offset:16
	s_nop 4
	v_pk_mul_f32 v[42:43], s[2:3], v[20:21] op_sel_hi:[0,1]
	v_and_b32_e32 v20, 0xc0, v0
	v_add_u32_e32 v20, s16, v20
	v_lshl_or_b32 v20, v1, 2, v20
	v_pk_mul_f32 v[36:37], s[2:3], v[22:23] op_sel_hi:[0,1]
	v_or_b32_e32 v23, 1, v20
	v_mov_b32_e32 v21, 0xff7fffff
	v_cmp_gt_i32_e64 s[30:31], s33, v20
	v_cmp_gt_i32_e64 s[34:35], s33, v23
	v_cndmask_b32_e64 v22, v21, v18, s[30:31]
	v_cndmask_b32_e64 v23, v21, v19, s[34:35]
	v_max3_f32 v22, v22, s43, v23
	v_or_b32_e32 v23, 2, v20
	v_or_b32_e32 v24, 3, v20
	v_cmp_gt_i32_e64 s[36:37], s33, v23
	v_cmp_gt_i32_e64 s[38:39], s33, v24
	v_cndmask_b32_e64 v23, v21, v48, s[36:37]
	v_cndmask_b32_e64 v24, v21, v49, s[38:39]
	v_max3_f32 v22, v22, v23, v24
	v_or_b32_e32 v23, 16, v20
	v_or_b32_e32 v24, 17, v20
	v_cmp_gt_i32_e64 s[24:25], s33, v23
	v_cmp_gt_i32_e64 s[26:27], s33, v24
	v_cndmask_b32_e64 v23, v21, v40, s[24:25]
	v_cndmask_b32_e64 v24, v21, v41, s[26:27]
	v_max3_f32 v22, v22, v23, v24
	v_or_b32_e32 v23, 18, v20
	v_or_b32_e32 v24, 19, v20
	v_cmp_gt_i32_e64 s[20:21], s33, v23
	v_cmp_gt_i32_e64 s[22:23], s33, v24
	v_cndmask_b32_e64 v23, v21, v50, s[20:21]
	v_cndmask_b32_e64 v24, v21, v51, s[22:23]
	v_max3_f32 v22, v22, v23, v24
	v_or_b32_e32 v23, 32, v20
	v_or_b32_e32 v24, 33, v20
	v_cmp_gt_i32_e64 s[16:17], s33, v23
	v_cmp_gt_i32_e64 s[18:19], s33, v24
	v_cndmask_b32_e64 v23, v21, v44, s[16:17]
	v_cndmask_b32_e64 v24, v21, v45, s[18:19]
	v_max3_f32 v22, v22, v23, v24
	v_or_b32_e32 v23, 34, v20
	v_or_b32_e32 v24, 35, v20
	v_cmp_gt_i32_e64 s[12:13], s33, v23
	v_cmp_gt_i32_e64 s[14:15], s33, v24
	v_cndmask_b32_e64 v23, v21, v46, s[12:13]
	v_cndmask_b32_e64 v24, v21, v47, s[14:15]
	v_max3_f32 v22, v22, v23, v24
	v_or_b32_e32 v23, 48, v20
	v_or_b32_e32 v24, 49, v20
	v_cmp_gt_i32_e64 s[8:9], s33, v23
	v_cmp_gt_i32_e64 s[10:11], s33, v24
	v_cndmask_b32_e64 v23, v21, v42, s[8:9]
	v_cndmask_b32_e64 v24, v21, v43, s[10:11]
	v_max3_f32 v22, v22, v23, v24
	v_or_b32_e32 v23, 50, v20
	v_or_b32_e32 v20, 51, v20
	v_cmp_gt_i32_e32 vcc, s33, v23
	v_cmp_gt_i32_e64 s[2:3], s33, v20
	v_cndmask_b32_e32 v23, v21, v36, vcc
	v_cndmask_b32_e64 v20, v21, v37, s[2:3]
	v_max3_f32 v26, v22, v23, v20
	v_mbcnt_lo_u32_b32 v20, -1, 0
	v_mbcnt_hi_u32_b32 v27, -1, v20
	v_and_b32_e32 v20, 64, v27
	v_add_u32_e32 v28, 64, v20
	v_xor_b32_e32 v20, 32, v27
	v_cmp_lt_i32_e64 s[40:41], v20, v28
	v_cndmask_b32_e64 v20, v27, v20, s[40:41]
	v_lshlrev_b32_e32 v57, 2, v20
	ds_bpermute_b32 v29, v57, v26
	s_waitcnt vmcnt(4)
	v_mad_i64_i32 v[20:21], s[40:41], v60, s45, 0
	v_lshlrev_b64 v[20:21], 1, v[20:21]
	global_load_dwordx4 v[30:33], v[38:39], off
	global_load_dwordx4 v[22:25], v[38:39], off offset:16
	s_waitcnt lgkmcnt(0)
	v_max_f32_e32 v29, v29, v29
	v_max_f32_e32 v26, v26, v29
	v_xor_b32_e32 v29, 16, v27
	v_cmp_lt_i32_e64 s[40:41], v29, v28
	v_cndmask_b32_e64 v27, v27, v29, s[40:41]
	v_lshlrev_b32_e32 v59, 2, v27
	ds_bpermute_b32 v27, v59, v26
	v_add_co_u32_e64 v20, s[40:41], v61, v20
	v_addc_co_u32_e64 v21, s[40:41], v62, v21, s[40:41]
	s_waitcnt lgkmcnt(0)
	v_max_f32_e32 v27, v27, v27
	v_max_f32_e32 v56, v26, v27
	v_sub_f32_e32 v18, v18, v56
	v_mul_f32_e32 v18, 0x3fb8aa3b, v18
	v_exp_f32_e32 v38, v18
	v_sub_f32_e32 v18, v19, v56
	v_mul_f32_e32 v18, 0x3fb8aa3b, v18
	v_exp_f32_e32 v39, v18
	global_load_dwordx4 v[26:29], v[20:21], off
	s_nop 0
	global_load_dwordx4 v[18:21], v[20:21], off offset:16
	v_sub_f32_e32 v48, v48, v56
	v_mul_f32_e32 v48, 0x3fb8aa3b, v48
	v_sub_f32_e32 v49, v49, v56
	v_exp_f32_e32 v48, v48
	v_mul_f32_e32 v49, 0x3fb8aa3b, v49
	v_sub_f32_e32 v40, v40, v56
	v_exp_f32_e32 v49, v49
	v_mul_f32_e32 v40, 0x3fb8aa3b, v40
	v_sub_f32_e32 v41, v41, v56
	v_cndmask_b32_e64 v38, 0, v38, s[30:31]
	v_exp_f32_e32 v40, v40
	v_mul_f32_e32 v41, 0x3fb8aa3b, v41
	v_sub_f32_e32 v50, v50, v56
	v_add_f32_e32 v58, 0, v38
	v_cndmask_b32_e64 v39, 0, v39, s[34:35]
	v_exp_f32_e32 v41, v41
	v_mul_f32_e32 v50, 0x3fb8aa3b, v50
	v_sub_f32_e32 v51, v51, v56
	v_add_f32_e32 v58, v58, v39
	;; [unrolled: 5-line block ×10, first 2 shown]
	v_cndmask_b32_e64 v46, 0, v46, s[12:13]
	v_exp_f32_e32 v36, v36
	v_mul_f32_e32 v37, 0x3fb8aa3b, v37
	v_add_f32_e32 v58, v58, v46
	v_cndmask_b32_e64 v47, 0, v47, s[14:15]
	v_exp_f32_e32 v37, v37
	v_add_f32_e32 v58, v58, v47
	v_cndmask_b32_e64 v42, 0, v42, s[8:9]
	v_add_f32_e32 v58, v58, v42
	v_cndmask_b32_e64 v43, 0, v43, s[10:11]
	v_add_f32_e32 v58, v58, v43
	v_cndmask_b32_e32 v36, 0, v36, vcc
	v_add_f32_e32 v58, v58, v36
	v_cndmask_b32_e64 v37, 0, v37, s[2:3]
	v_add_f32_e32 v58, v58, v37
	ds_bpermute_b32 v57, v57, v58
	v_cmp_gt_u32_e32 vcc, 16, v55
	s_waitcnt lgkmcnt(0)
	s_barrier
	v_add_f32_e32 v58, v58, v57
	ds_bpermute_b32 v59, v59, v58
	v_lshlrev_b32_e32 v57, 2, v52
	s_and_saveexec_b64 s[2:3], vcc
	s_cbranch_execz .LBB91_15
; %bb.14:
	s_waitcnt lgkmcnt(0)
	v_add_f32_e32 v55, v58, v59
	v_lshl_or_b32 v58, v53, 6, v57
	ds_write2st64_b32 v58, v56, v55 offset1:1
.LBB91_15:
	s_or_b64 exec, exec, s[2:3]
	s_load_dword s8, s[4:5], 0x94
	s_waitcnt lgkmcnt(0)
	s_barrier
	ds_read2_b32 v[58:59], v57 offset1:16
	ds_read2_b32 v[60:61], v57 offset0:32 offset1:48
	ds_read2_b32 v[62:63], v57 offset0:64 offset1:80
	v_lshlrev_b32_e32 v52, 5, v52
	s_lshl_b32 s9, s42, 4
	s_waitcnt lgkmcnt(2)
	v_max3_f32 v55, v58, s43, v59
	s_waitcnt lgkmcnt(1)
	v_max3_f32 v55, v55, v60, v61
	v_sub_f32_e32 v56, v58, v55
	v_mul_f32_e32 v56, 0x3fb8aa3b, v56
	v_exp_f32_e32 v64, v56
	v_sub_f32_e32 v56, v59, v55
	v_mul_f32_e32 v56, 0x3fb8aa3b, v56
	v_exp_f32_e32 v65, v56
	;; [unrolled: 3-line block ×3, first 2 shown]
	ds_read2_b32 v[58:59], v57 offset0:96 offset1:112
	v_sub_f32_e32 v56, v61, v55
	v_mul_f32_e32 v56, 0x3fb8aa3b, v56
	v_exp_f32_e32 v57, v56
	s_waitcnt lgkmcnt(1)
	v_fma_f32 v56, v64, v62, 0
	v_fmac_f32_e32 v56, v65, v63
	s_waitcnt lgkmcnt(0)
	v_fmac_f32_e32 v56, v60, v58
	v_fmac_f32_e32 v56, v57, v59
	v_add_f32_e32 v58, 0x358637bd, v56
	v_div_scale_f32 v59, s[2:3], v58, v58, 1.0
	v_rcp_f32_e32 v61, v59
	s_barrier
	v_fma_f32 v62, -v59, v61, 1.0
	v_fmac_f32_e32 v61, v62, v61
	v_div_scale_f32 v62, vcc, 1.0, v58, 1.0
	v_mul_f32_e32 v63, v62, v61
	v_fma_f32 v66, -v59, v63, v62
	v_fmac_f32_e32 v63, v66, v61
	v_fma_f32 v59, -v59, v63, v62
	v_div_fmas_f32 v59, v59, v61, v63
	v_cmp_eq_u32_e32 vcc, 1, v53
	v_div_fixup_f32 v58, v59, v58, 1.0
	v_cndmask_b32_e32 v59, v64, v65, vcc
	v_cmp_eq_u32_e32 vcc, 2, v53
	v_cndmask_b32_e32 v59, v59, v60, vcc
	v_cmp_eq_u32_e32 vcc, 3, v53
	v_cndmask_b32_e32 v57, v59, v57, vcc
	v_mul_f32_e32 v58, v57, v58
	v_pk_mul_f32 v[38:39], v[58:59], v[38:39] op_sel_hi:[0,1]
	v_cvt_f16_f32_e32 v38, v38
	v_cvt_f16_f32_e32 v39, v39
	v_pk_mul_f32 v[48:49], v[58:59], v[48:49] op_sel_hi:[0,1]
	v_cvt_f16_f32_e32 v57, v48
	v_cvt_f16_f32_e32 v49, v49
	v_pack_b32_f16 v48, v38, v39
	v_pk_mul_f32 v[38:39], v[58:59], v[50:51] op_sel_hi:[0,1]
	v_pk_mul_f32 v[40:41], v[58:59], v[40:41] op_sel_hi:[0,1]
	v_cvt_f16_f32_e32 v40, v40
	v_cvt_f16_f32_e32 v41, v41
	;; [unrolled: 1-line block ×4, first 2 shown]
	v_pack_b32_f16 v49, v57, v49
	v_lshlrev_b32_e32 v57, 3, v1
	v_lshlrev_b32_e32 v38, 11, v53
	v_or3_b32 v38, v38, v52, v57
	v_pack_b32_f16 v40, v40, v41
	v_pack_b32_f16 v41, v50, v39
	ds_write2st64_b64 v38, v[48:49], v[40:41] offset1:1
	v_pk_mul_f32 v[40:41], v[58:59], v[46:47] op_sel_hi:[0,1]
	v_pk_mul_f32 v[44:45], v[58:59], v[44:45] op_sel_hi:[0,1]
	v_cvt_f16_f32_e32 v39, v44
	v_cvt_f16_f32_e32 v44, v45
	v_cvt_f16_f32_e32 v45, v40
	v_cvt_f16_f32_e32 v46, v41
	v_pk_mul_f32 v[36:37], v[58:59], v[36:37] op_sel_hi:[0,1]
	v_pk_mul_f32 v[40:41], v[58:59], v[42:43] op_sel_hi:[0,1]
	v_cvt_f16_f32_e32 v40, v40
	v_cvt_f16_f32_e32 v41, v41
	;; [unrolled: 1-line block ×4, first 2 shown]
	v_pack_b32_f16 v36, v39, v44
	v_pack_b32_f16 v37, v45, v46
	;; [unrolled: 1-line block ×4, first 2 shown]
	v_cmp_gt_u32_e32 vcc, 16, v0
	ds_write2st64_b64 v38, v[36:37], v[40:41] offset0:2 offset1:3
	s_and_saveexec_b64 s[2:3], vcc
	s_cbranch_execz .LBB91_17
; %bb.16:
	v_or_b32_e32 v36, s29, v0
	v_mov_b32_e32 v37, 0
	v_mov_b32_e32 v39, s9
	v_mad_u64_u32 v[40:41], s[10:11], s6, v39, v[36:37]
	v_mov_b32_e32 v36, s28
	s_load_dwordx4 s[12:15], s[4:5], 0x58
	s_mul_i32 s7, s7, s9
	v_mad_u64_u32 v[36:37], s[10:11], v40, s8, v[36:37]
	v_add_u32_e32 v39, s7, v41
	v_mov_b32_e32 v40, v37
	v_mad_u64_u32 v[40:41], s[10:11], v39, s8, v[40:41]
	v_mov_b32_e32 v37, v40
	v_lshlrev_b64 v[36:37], 2, v[36:37]
	s_waitcnt lgkmcnt(0)
	v_mov_b32_e32 v39, s15
	v_add_co_u32_e32 v40, vcc, s14, v36
	v_addc_co_u32_e32 v41, vcc, v39, v37, vcc
	v_mov_b32_e32 v39, s13
	v_add_co_u32_e32 v36, vcc, s12, v36
	v_addc_co_u32_e32 v37, vcc, v39, v37, vcc
	global_store_dword v[40:41], v55, off
	global_store_dword v[36:37], v56, off
.LBB91_17:
	s_or_b64 exec, exec, s[2:3]
	s_waitcnt lgkmcnt(0)
	s_barrier
	ds_read_b128 v[40:43], v54
	ds_read_b128 v[44:47], v54 offset:16
	s_waitcnt vmcnt(7) lgkmcnt(1)
	v_mfma_f32_16x16x16f16 v[48:51], v[14:15], v[40:41], 0
	v_cmp_gt_u32_e32 vcc, 64, v0
	s_mov_b32 s3, 0
	s_and_b64 s[0:1], vcc, s[0:1]
	v_mfma_f32_16x16x16f16 v[14:17], v[16:17], v[42:43], v[48:51]
	s_waitcnt vmcnt(6) lgkmcnt(0)
	v_mfma_f32_16x16x16f16 v[14:17], v[10:11], v[44:45], v[14:17]
	v_mfma_f32_16x16x16f16 v[10:13], v[12:13], v[46:47], v[14:17]
	s_nop 7
	s_nop 1
	ds_read_b128 v[14:17], v54 offset:2048
	ds_read_b128 v[40:43], v54 offset:2064
	s_waitcnt vmcnt(5) lgkmcnt(1)
	v_mfma_f32_16x16x16f16 v[10:13], v[6:7], v[14:15], v[10:13]
	v_mfma_f32_16x16x16f16 v[6:9], v[8:9], v[16:17], v[10:13]
	s_waitcnt vmcnt(4) lgkmcnt(0)
	v_mfma_f32_16x16x16f16 v[6:9], v[2:3], v[40:41], v[6:9]
	v_mfma_f32_16x16x16f16 v[2:5], v[4:5], v[42:43], v[6:9]
	s_nop 7
	s_nop 1
	ds_read_b128 v[6:9], v54 offset:4096
	ds_read_b128 v[10:13], v54 offset:4112
	s_waitcnt vmcnt(3) lgkmcnt(1)
	v_mfma_f32_16x16x16f16 v[2:5], v[30:31], v[6:7], v[2:5]
	v_mfma_f32_16x16x16f16 v[2:5], v[32:33], v[8:9], v[2:5]
	s_waitcnt vmcnt(2) lgkmcnt(0)
	v_mfma_f32_16x16x16f16 v[2:5], v[22:23], v[10:11], v[2:5]
	v_mfma_f32_16x16x16f16 v[2:5], v[24:25], v[12:13], v[2:5]
	ds_read_b128 v[6:9], v54 offset:6144
	ds_read_b128 v[10:13], v54 offset:6160
	s_waitcnt lgkmcnt(0)
	s_barrier
	s_waitcnt vmcnt(1)
	v_mfma_f32_16x16x16f16 v[2:5], v[26:27], v[6:7], v[2:5]
	v_mfma_f32_16x16x16f16 v[2:5], v[28:29], v[8:9], v[2:5]
	s_waitcnt vmcnt(0)
	v_mfma_f32_16x16x16f16 v[2:5], v[18:19], v[10:11], v[2:5]
	v_mfma_f32_16x16x16f16 v[2:5], v[20:21], v[12:13], v[2:5]
	s_nop 7
	s_nop 2
	v_cvt_f16_f32_e32 v2, v2
	v_cvt_f16_f32_e32 v3, v3
	v_cvt_f16_f32_e32 v4, v4
	v_cvt_f16_f32_e32 v5, v5
	v_pack_b32_f16 v2, v2, v3
	v_pack_b32_f16 v3, v4, v5
	ds_write_b64 v38, v[2:3]
	s_waitcnt lgkmcnt(0)
	s_barrier
	s_and_saveexec_b64 s[10:11], s[0:1]
	s_cbranch_execz .LBB91_19
; %bb.18:
	s_load_dwordx2 s[0:1], s[4:5], 0x68
	s_lshl_b32 s7, s8, 6
	s_mul_i32 s2, s9, s6
	s_mul_hi_u32 s5, s2, s7
	s_mul_i32 s4, s2, s7
	s_lshl_b64 s[4:5], s[4:5], 1
	s_waitcnt lgkmcnt(0)
	s_add_u32 s4, s0, s4
	s_addc_u32 s5, s1, s5
	s_lshl_b32 s2, s28, 6
	v_lshlrev_b32_e32 v2, 10, v0
	v_lshlrev_b32_e32 v0, 4, v0
	s_lshl_b64 s[0:1], s[2:3], 1
	v_and_b32_e32 v2, 0x1800, v2
	v_lshlrev_b32_e32 v3, 5, v1
	v_and_b32_e32 v0, 16, v0
	s_add_u32 s0, s4, s0
	v_or3_b32 v0, v2, v3, v0
	s_addc_u32 s1, s5, s1
	ds_read_b128 v[2:5], v0
	ds_read_b128 v[6:9], v0 offset:128
	ds_read_b128 v[10:13], v0 offset:256
	;; [unrolled: 1-line block ×3, first 2 shown]
	v_mov_b32_e32 v0, s1
	v_add_co_u32_e32 v18, vcc, s0, v34
	v_or_b32_e32 v20, s29, v1
	v_addc_co_u32_e32 v19, vcc, v0, v35, vcc
	v_mad_u64_u32 v[0:1], s[0:1], v20, s7, 0
	v_lshlrev_b64 v[0:1], 1, v[0:1]
	v_add_co_u32_e32 v0, vcc, v18, v0
	v_addc_co_u32_e32 v1, vcc, v19, v1, vcc
	s_waitcnt lgkmcnt(3)
	global_store_dwordx4 v[0:1], v[2:5], off
	v_or_b32_e32 v0, 4, v20
	v_mad_u64_u32 v[0:1], s[0:1], v0, s7, 0
	v_lshlrev_b64 v[0:1], 1, v[0:1]
	v_add_co_u32_e32 v0, vcc, v18, v0
	v_addc_co_u32_e32 v1, vcc, v19, v1, vcc
	s_waitcnt lgkmcnt(2)
	global_store_dwordx4 v[0:1], v[6:9], off
	v_or_b32_e32 v0, 8, v20
	;; [unrolled: 7-line block ×3, first 2 shown]
	v_mad_u64_u32 v[0:1], s[0:1], v0, s7, 0
	v_lshlrev_b64 v[0:1], 1, v[0:1]
	v_add_co_u32_e32 v0, vcc, v18, v0
	v_addc_co_u32_e32 v1, vcc, v19, v1, vcc
	s_waitcnt lgkmcnt(0)
	global_store_dwordx4 v[0:1], v[14:17], off
.LBB91_19:
	s_endpgm
	.section	.rodata,"a",@progbits
	.p2align	6, 0x0
	.amdhsa_kernel _Z39paged_attention_ll4mi_QKV_mfma16_kernelIDF16_DF16_LN4vllm18Fp8KVCacheDataTypeE0EDF16_Li32ELi64ELi256ELb0ELi16EL8MFMAType0EEvPKT_PKT0_S8_ifPKiSA_SA_iPKfiiiPfSD_PS3_PT2_iSC_SC_
		.amdhsa_group_segment_fixed_size 8192
		.amdhsa_private_segment_fixed_size 0
		.amdhsa_kernarg_size 400
		.amdhsa_user_sgpr_count 6
		.amdhsa_user_sgpr_private_segment_buffer 1
		.amdhsa_user_sgpr_dispatch_ptr 0
		.amdhsa_user_sgpr_queue_ptr 0
		.amdhsa_user_sgpr_kernarg_segment_ptr 1
		.amdhsa_user_sgpr_dispatch_id 0
		.amdhsa_user_sgpr_flat_scratch_init 0
		.amdhsa_user_sgpr_kernarg_preload_length 0
		.amdhsa_user_sgpr_kernarg_preload_offset 0
		.amdhsa_user_sgpr_private_segment_size 0
		.amdhsa_uses_dynamic_stack 0
		.amdhsa_system_sgpr_private_segment_wavefront_offset 0
		.amdhsa_system_sgpr_workgroup_id_x 1
		.amdhsa_system_sgpr_workgroup_id_y 1
		.amdhsa_system_sgpr_workgroup_id_z 1
		.amdhsa_system_sgpr_workgroup_info 0
		.amdhsa_system_vgpr_workitem_id 0
		.amdhsa_next_free_vgpr 67
		.amdhsa_next_free_sgpr 48
		.amdhsa_accum_offset 68
		.amdhsa_reserve_vcc 1
		.amdhsa_reserve_flat_scratch 0
		.amdhsa_float_round_mode_32 0
		.amdhsa_float_round_mode_16_64 0
		.amdhsa_float_denorm_mode_32 3
		.amdhsa_float_denorm_mode_16_64 3
		.amdhsa_dx10_clamp 1
		.amdhsa_ieee_mode 1
		.amdhsa_fp16_overflow 0
		.amdhsa_tg_split 0
		.amdhsa_exception_fp_ieee_invalid_op 0
		.amdhsa_exception_fp_denorm_src 0
		.amdhsa_exception_fp_ieee_div_zero 0
		.amdhsa_exception_fp_ieee_overflow 0
		.amdhsa_exception_fp_ieee_underflow 0
		.amdhsa_exception_fp_ieee_inexact 0
		.amdhsa_exception_int_div_zero 0
	.end_amdhsa_kernel
	.section	.text._Z39paged_attention_ll4mi_QKV_mfma16_kernelIDF16_DF16_LN4vllm18Fp8KVCacheDataTypeE0EDF16_Li32ELi64ELi256ELb0ELi16EL8MFMAType0EEvPKT_PKT0_S8_ifPKiSA_SA_iPKfiiiPfSD_PS3_PT2_iSC_SC_,"axG",@progbits,_Z39paged_attention_ll4mi_QKV_mfma16_kernelIDF16_DF16_LN4vllm18Fp8KVCacheDataTypeE0EDF16_Li32ELi64ELi256ELb0ELi16EL8MFMAType0EEvPKT_PKT0_S8_ifPKiSA_SA_iPKfiiiPfSD_PS3_PT2_iSC_SC_,comdat
.Lfunc_end91:
	.size	_Z39paged_attention_ll4mi_QKV_mfma16_kernelIDF16_DF16_LN4vllm18Fp8KVCacheDataTypeE0EDF16_Li32ELi64ELi256ELb0ELi16EL8MFMAType0EEvPKT_PKT0_S8_ifPKiSA_SA_iPKfiiiPfSD_PS3_PT2_iSC_SC_, .Lfunc_end91-_Z39paged_attention_ll4mi_QKV_mfma16_kernelIDF16_DF16_LN4vllm18Fp8KVCacheDataTypeE0EDF16_Li32ELi64ELi256ELb0ELi16EL8MFMAType0EEvPKT_PKT0_S8_ifPKiSA_SA_iPKfiiiPfSD_PS3_PT2_iSC_SC_
                                        ; -- End function
	.section	.AMDGPU.csdata,"",@progbits
; Kernel info:
; codeLenInByte = 4120
; NumSgprs: 52
; NumVgprs: 67
; NumAgprs: 0
; TotalNumVgprs: 67
; ScratchSize: 0
; MemoryBound: 0
; FloatMode: 240
; IeeeMode: 1
; LDSByteSize: 8192 bytes/workgroup (compile time only)
; SGPRBlocks: 6
; VGPRBlocks: 8
; NumSGPRsForWavesPerEU: 52
; NumVGPRsForWavesPerEU: 67
; AccumOffset: 68
; Occupancy: 7
; WaveLimiterHint : 1
; COMPUTE_PGM_RSRC2:SCRATCH_EN: 0
; COMPUTE_PGM_RSRC2:USER_SGPR: 6
; COMPUTE_PGM_RSRC2:TRAP_HANDLER: 0
; COMPUTE_PGM_RSRC2:TGID_X_EN: 1
; COMPUTE_PGM_RSRC2:TGID_Y_EN: 1
; COMPUTE_PGM_RSRC2:TGID_Z_EN: 1
; COMPUTE_PGM_RSRC2:TIDIG_COMP_CNT: 0
; COMPUTE_PGM_RSRC3_GFX90A:ACCUM_OFFSET: 16
; COMPUTE_PGM_RSRC3_GFX90A:TG_SPLIT: 0
	.section	.text._Z39paged_attention_ll4mi_QKV_mfma16_kernelIDF16_DF16_LN4vllm18Fp8KVCacheDataTypeE0EDF16_Li32ELi64ELi256ELb0ELi1EL8MFMAType0EEvPKT_PKT0_S8_ifPKiSA_SA_iPKfiiiPfSD_PS3_PT2_iSC_SC_,"axG",@progbits,_Z39paged_attention_ll4mi_QKV_mfma16_kernelIDF16_DF16_LN4vllm18Fp8KVCacheDataTypeE0EDF16_Li32ELi64ELi256ELb0ELi1EL8MFMAType0EEvPKT_PKT0_S8_ifPKiSA_SA_iPKfiiiPfSD_PS3_PT2_iSC_SC_,comdat
	.protected	_Z39paged_attention_ll4mi_QKV_mfma16_kernelIDF16_DF16_LN4vllm18Fp8KVCacheDataTypeE0EDF16_Li32ELi64ELi256ELb0ELi1EL8MFMAType0EEvPKT_PKT0_S8_ifPKiSA_SA_iPKfiiiPfSD_PS3_PT2_iSC_SC_ ; -- Begin function _Z39paged_attention_ll4mi_QKV_mfma16_kernelIDF16_DF16_LN4vllm18Fp8KVCacheDataTypeE0EDF16_Li32ELi64ELi256ELb0ELi1EL8MFMAType0EEvPKT_PKT0_S8_ifPKiSA_SA_iPKfiiiPfSD_PS3_PT2_iSC_SC_
	.globl	_Z39paged_attention_ll4mi_QKV_mfma16_kernelIDF16_DF16_LN4vllm18Fp8KVCacheDataTypeE0EDF16_Li32ELi64ELi256ELb0ELi1EL8MFMAType0EEvPKT_PKT0_S8_ifPKiSA_SA_iPKfiiiPfSD_PS3_PT2_iSC_SC_
	.p2align	8
	.type	_Z39paged_attention_ll4mi_QKV_mfma16_kernelIDF16_DF16_LN4vllm18Fp8KVCacheDataTypeE0EDF16_Li32ELi64ELi256ELb0ELi1EL8MFMAType0EEvPKT_PKT0_S8_ifPKiSA_SA_iPKfiiiPfSD_PS3_PT2_iSC_SC_,@function
_Z39paged_attention_ll4mi_QKV_mfma16_kernelIDF16_DF16_LN4vllm18Fp8KVCacheDataTypeE0EDF16_Li32ELi64ELi256ELb0ELi1EL8MFMAType0EEvPKT_PKT0_S8_ifPKiSA_SA_iPKfiiiPfSD_PS3_PT2_iSC_SC_: ; @_Z39paged_attention_ll4mi_QKV_mfma16_kernelIDF16_DF16_LN4vllm18Fp8KVCacheDataTypeE0EDF16_Li32ELi64ELi256ELb0ELi1EL8MFMAType0EEvPKT_PKT0_S8_ifPKiSA_SA_iPKfiiiPfSD_PS3_PT2_iSC_SC_
; %bb.0:
	s_load_dwordx2 s[0:1], s[4:5], 0x30
	s_mov_b32 s9, s7
	s_mov_b64 s[10:11], 0
	s_waitcnt lgkmcnt(0)
	s_cmp_lg_u64 s[0:1], 0
	s_cselect_b64 s[2:3], -1, 0
	s_and_b64 vcc, exec, s[2:3]
	s_cbranch_vccz .LBB92_7
; %bb.1:
	s_add_i32 s12, s6, 1
	s_mov_b32 s13, 0
	s_lshl_b64 s[14:15], s[12:13], 2
	s_add_u32 s14, s0, s14
	s_mov_b32 s7, s13
	s_addc_u32 s15, s1, s15
	s_lshl_b64 s[12:13], s[6:7], 2
	s_add_u32 s12, s0, s12
	s_addc_u32 s13, s1, s13
	s_load_dword s16, s[14:15], 0x0
	s_load_dword s17, s[12:13], 0x0
	s_waitcnt lgkmcnt(0)
	s_sub_i32 s12, s16, s17
	s_cmp_eq_u32 s12, 1
	s_cselect_b64 s[12:13], -1, 0
	s_andn2_b64 vcc, exec, s[10:11]
	s_cbranch_vccnz .LBB92_3
.LBB92_2:
	s_mov_b32 s7, 0
	s_mov_b64 s[12:13], -1
.LBB92_3:
	s_andn2_b64 vcc, exec, s[12:13]
	s_cbranch_vccnz .LBB92_19
; %bb.4:
	s_load_dwordx2 s[12:13], s[4:5], 0x28
	s_lshl_b64 s[10:11], s[6:7], 2
	s_waitcnt lgkmcnt(0)
	s_add_u32 s12, s12, s10
	s_addc_u32 s13, s13, s11
	s_load_dword s33, s[12:13], 0x0
	s_lshl_b32 s16, s9, 8
	s_waitcnt lgkmcnt(0)
	s_cmp_ge_i32 s16, s33
	s_cbranch_scc1 .LBB92_19
; %bb.5:
	s_add_i32 s15, s33, 31
	s_load_dwordx2 s[12:13], s[4:5], 0x20
	s_load_dword s14, s[4:5], 0x38
	s_ashr_i32 s17, s15, 31
	v_and_b32_e32 v1, 0xcf, v0
	s_lshr_b32 s17, s17, 27
	v_add_u32_e32 v1, s16, v1
	s_add_i32 s15, s15, s17
	v_ashrrev_i32_e32 v2, 31, v1
	s_ashr_i32 s19, s15, 5
	v_lshrrev_b32_e32 v6, 27, v2
	s_add_i32 s19, s19, -1
	v_add_u32_e32 v2, v1, v6
	s_waitcnt lgkmcnt(0)
	s_mul_i32 s14, s6, s14
	s_mov_b32 s15, 0
	v_ashrrev_i32_e32 v2, 5, v2
	v_mov_b32_e32 v7, s19
	v_cmp_gt_i32_e32 vcc, s33, v1
	s_lshl_b64 s[14:15], s[14:15], 2
	v_cndmask_b32_e32 v2, v7, v2, vcc
	s_add_u32 s17, s12, s14
	v_ashrrev_i32_e32 v3, 31, v2
	s_addc_u32 s18, s13, s15
	v_lshlrev_b64 v[2:3], 2, v[2:3]
	v_mov_b32_e32 v4, s18
	v_add_co_u32_e32 v2, vcc, s17, v2
	v_addc_co_u32_e32 v3, vcc, v4, v3, vcc
	v_or_b32_e32 v4, 16, v1
	v_add_u32_e32 v5, v4, v6
	v_ashrrev_i32_e32 v5, 5, v5
	v_cmp_gt_i32_e32 vcc, s33, v4
	v_cndmask_b32_e32 v4, v7, v5, vcc
	v_ashrrev_i32_e32 v5, 31, v4
	v_lshlrev_b64 v[4:5], 2, v[4:5]
	v_mov_b32_e32 v9, s18
	v_add_co_u32_e32 v8, vcc, s17, v4
	v_or_b32_e32 v4, 32, v1
	v_addc_co_u32_e32 v9, vcc, v9, v5, vcc
	v_add_u32_e32 v5, v4, v6
	v_ashrrev_i32_e32 v5, 5, v5
	v_cmp_gt_i32_e32 vcc, s33, v4
	v_cndmask_b32_e32 v4, v7, v5, vcc
	v_ashrrev_i32_e32 v5, 31, v4
	v_lshlrev_b64 v[4:5], 2, v[4:5]
	v_mov_b32_e32 v11, s18
	v_add_co_u32_e32 v10, vcc, s17, v4
	v_or_b32_e32 v1, 48, v1
	v_addc_co_u32_e32 v11, vcc, v11, v5, vcc
	v_add_u32_e32 v4, v1, v6
	v_ashrrev_i32_e32 v4, 5, v4
	v_cmp_gt_i32_e32 vcc, s33, v1
	v_cndmask_b32_e32 v4, v7, v4, vcc
	v_ashrrev_i32_e32 v5, 31, v4
	v_lshlrev_b64 v[4:5], 2, v[4:5]
	v_mov_b32_e32 v1, s18
	v_add_co_u32_e32 v12, vcc, s17, v4
	v_addc_co_u32_e32 v13, vcc, v1, v5, vcc
	global_load_dword v4, v[2:3], off
	global_load_dword v6, v[8:9], off
	;; [unrolled: 1-line block ×4, first 2 shown]
	s_andn2_b64 vcc, exec, s[2:3]
	s_cbranch_vccnz .LBB92_8
; %bb.6:
	s_add_u32 s0, s0, s10
	s_addc_u32 s1, s1, s11
	s_load_dword s10, s[0:1], 0x0
	s_branch .LBB92_9
.LBB92_7:
	s_mov_b64 s[12:13], 0
	s_branch .LBB92_2
.LBB92_8:
	s_mov_b32 s10, s6
.LBB92_9:
	s_load_dwordx4 s[12:15], s[4:5], 0x8
	s_load_dwordx4 s[44:47], s[4:5], 0x48
	v_lshrrev_b32_e32 v52, 6, v0
	v_bfe_u32 v1, v0, 4, 2
	v_lshl_or_b32 v3, v52, 2, v1
	v_and_b32_e32 v53, 15, v0
	v_cmp_ne_u32_e32 vcc, 0, v3
	v_cmp_lt_u32_e64 s[2:3], 7, v53
	v_lshlrev_b32_e32 v2, 3, v53
	v_cmp_gt_u32_e64 s[0:1], 8, v53
	s_or_b64 s[2:3], s[2:3], vcc
	s_and_saveexec_b64 s[20:21], s[2:3]
	s_xor_b64 s[2:3], exec, s[20:21]
; %bb.10:
	v_mov_b32_e32 v3, 0
; %bb.11:
	s_or_saveexec_b64 s[2:3], s[2:3]
	v_and_b32_e32 v54, 63, v0
	s_xor_b64 exec, exec, s[2:3]
	s_cbranch_execz .LBB92_13
; %bb.12:
	s_load_dwordx2 s[20:21], s[4:5], 0x0
	s_waitcnt lgkmcnt(0)
	s_ashr_i32 s11, s44, 31
	s_mul_hi_u32 s22, s10, s44
	s_mul_i32 s11, s10, s11
	s_add_i32 s11, s22, s11
	s_mul_i32 s10, s10, s44
	s_lshl_b64 s[10:11], s[10:11], 1
	s_add_u32 s20, s20, s10
	s_addc_u32 s21, s21, s11
	s_lshl_b32 s10, s8, 6
	s_ashr_i32 s11, s10, 31
	s_lshl_b64 s[10:11], s[10:11], 1
	s_add_u32 s10, s20, s10
	s_addc_u32 s11, s21, s11
	v_lshlrev_b32_e32 v3, 1, v2
	global_load_dwordx4 v[8:11], v3, s[10:11]
	v_and_b32_e32 v5, 3, v0
	v_lshlrev_b32_e32 v7, 9, v53
	v_lshlrev_b32_e32 v5, 9, v5
	s_movk_i32 s10, 0x1800
	v_mov_b32_e32 v3, 0
	v_and_or_b32 v5, v7, s10, v5
	s_waitcnt vmcnt(0)
	ds_write_b128 v5, v[8:11]
.LBB92_13:
	s_or_b64 exec, exec, s[2:3]
	s_waitcnt lgkmcnt(0)
	s_mul_i32 s2, s8, s46
	s_mov_b32 s3, 0
	s_lshl_b64 s[2:3], s[2:3], 1
	s_add_u32 s10, s12, s2
	s_addc_u32 s11, s13, s3
	s_waitcnt vmcnt(3)
	v_mad_i64_i32 v[4:5], s[12:13], v4, s45, 0
	v_lshlrev_b64 v[4:5], 1, v[4:5]
	v_mov_b32_e32 v7, s11
	v_add_co_u32_e32 v4, vcc, s10, v4
	v_addc_co_u32_e32 v5, vcc, v7, v5, vcc
	v_lshlrev_b64 v[34:35], 1, v[2:3]
	v_add_co_u32_e32 v2, vcc, v4, v34
	v_lshlrev_b32_e32 v28, 9, v1
	v_addc_co_u32_e32 v3, vcc, v5, v35, vcc
	v_add_co_u32_e32 v20, vcc, v2, v28
	v_addc_co_u32_e32 v21, vcc, 0, v3, vcc
	s_barrier
	global_load_dwordx4 v[2:5], v[20:21], off
	s_waitcnt vmcnt(3)
	v_mad_i64_i32 v[6:7], s[12:13], v6, s45, 0
	v_lshlrev_b64 v[6:7], 1, v[6:7]
	v_mov_b32_e32 v8, s11
	v_add_co_u32_e32 v6, vcc, s10, v6
	v_addc_co_u32_e32 v7, vcc, v8, v7, vcc
	v_mov_b32_e32 v8, 0x100
	v_lshl_or_b32 v29, v53, 4, v8
	v_add_co_u32_e32 v6, vcc, v6, v29
	v_addc_co_u32_e32 v7, vcc, 0, v7, vcc
	v_add_co_u32_e32 v22, vcc, v6, v28
	v_addc_co_u32_e32 v23, vcc, 0, v7, vcc
	global_load_dwordx4 v[14:17], v[22:23], off
	global_load_dwordx4 v[10:13], v[20:21], off offset:2048
	global_load_dwordx4 v[6:9], v[22:23], off offset:2048
	s_waitcnt vmcnt(5)
	v_mad_i64_i32 v[26:27], s[12:13], v19, s45, 0
	s_waitcnt vmcnt(4)
	v_mad_i64_i32 v[30:31], s[12:13], v18, s45, 0
	ds_read_b128 v[22:25], v28
	ds_read_b128 v[18:21], v28 offset:2048
	v_lshlrev_b64 v[32:33], 1, v[26:27]
	v_lshlrev_b64 v[26:27], 1, v[30:31]
	v_mov_b32_e32 v30, s11
	v_add_co_u32_e32 v36, vcc, s10, v32
	v_addc_co_u32_e32 v37, vcc, v30, v33, vcc
	v_mov_b32_e32 v46, s11
	s_ashr_i32 s12, s16, 31
	v_and_or_b32 v50, v0, 48, s16
	s_lshr_b32 s11, s12, 27
	v_mov_b32_e32 v51, s19
	v_or_b32_e32 v48, 64, v50
	v_mov_b32_e32 v55, s18
	v_mov_b32_e32 v56, s18
	s_add_u32 s2, s14, s2
	s_addc_u32 s3, s15, s3
	s_mov_b32 s42, 0xff7fffff
	s_waitcnt vmcnt(3) lgkmcnt(1)
	v_mfma_f32_16x16x16f16 v[30:33], v[2:3], v[22:23], 0
	v_add_co_u32_e32 v2, vcc, v36, v34
	v_addc_co_u32_e32 v3, vcc, v37, v35, vcc
	v_add_co_u32_e32 v44, vcc, v2, v28
	v_addc_co_u32_e32 v45, vcc, 0, v3, vcc
	global_load_dwordx4 v[36:39], v[44:45], off
	v_add_co_u32_e32 v2, vcc, s10, v26
	v_addc_co_u32_e32 v3, vcc, v46, v27, vcc
	v_add_co_u32_e32 v26, vcc, v2, v29
	v_addc_co_u32_e32 v27, vcc, 0, v3, vcc
	;; [unrolled: 2-line block ×3, first 2 shown]
	global_load_dwordx4 v[26:29], v[44:45], off offset:2048
	v_mfma_f32_16x16x16f16 v[2:5], v[4:5], v[24:25], v[30:33]
	v_cmp_gt_i32_e32 vcc, s33, v50
	s_load_dword s10, s[4:5], 0x1c
	s_waitcnt vmcnt(4)
	v_mfma_f32_16x16x16f16 v[40:43], v[14:15], v[22:23], 0
	v_add_u32_e32 v14, s11, v50
	s_nop 1
	v_ashrrev_i32_e32 v30, 5, v14
	v_cndmask_b32_e32 v44, v51, v30, vcc
	v_add_u32_e32 v15, s11, v48
	v_ashrrev_i32_e32 v45, 31, v44
	v_ashrrev_i32_e32 v31, 5, v15
	v_cmp_gt_i32_e32 vcc, s33, v48
	s_waitcnt vmcnt(3) lgkmcnt(0)
	v_mfma_f32_16x16x16f16 v[2:5], v[10:11], v[18:19], v[2:5]
	v_lshlrev_b64 v[10:11], 2, v[44:45]
	v_cndmask_b32_e32 v48, v51, v31, vcc
	v_add_co_u32_e32 v10, vcc, s17, v10
	v_addc_co_u32_e32 v11, vcc, v55, v11, vcc
	v_ashrrev_i32_e32 v49, 31, v48
	v_mfma_f32_16x16x16f16 v[14:17], v[16:17], v[24:25], v[40:43]
	global_load_dwordx4 v[30:33], v[46:47], off
	s_nop 5
	global_load_dwordx4 v[40:43], v[46:47], off offset:2048
	global_load_dword v55, v[10:11], off
	v_lshlrev_b64 v[48:49], 2, v[48:49]
	v_mfma_f32_16x16x16f16 v[44:47], v[12:13], v[20:21], v[2:5]
	s_nop 6
	v_add_co_u32_e32 v2, vcc, s17, v48
	v_addc_co_u32_e32 v3, vcc, v56, v49, vcc
	global_load_dword v48, v[2:3], off
	v_or_b32_e32 v2, 0x80, v50
	v_add_u32_e32 v3, s11, v2
	v_ashrrev_i32_e32 v3, 5, v3
	v_cmp_gt_i32_e32 vcc, s33, v2
	v_cndmask_b32_e32 v10, v51, v3, vcc
	v_ashrrev_i32_e32 v11, 31, v10
	s_waitcnt vmcnt(6)
	v_mfma_f32_16x16x16f16 v[2:5], v[6:7], v[18:19], v[14:17]
	v_lshlrev_b64 v[6:7], 2, v[10:11]
	v_mov_b32_e32 v10, s18
	v_add_co_u32_e32 v6, vcc, s17, v6
	v_addc_co_u32_e32 v7, vcc, v10, v7, vcc
	global_load_dword v49, v[6:7], off
	v_mfma_f32_16x16x16f16 v[56:59], v[8:9], v[20:21], v[2:5]
	v_or_b32_e32 v6, 0xc0, v50
	v_add_u32_e32 v7, s11, v6
	v_ashrrev_i32_e32 v7, 5, v7
	v_cmp_gt_i32_e32 vcc, s33, v6
	v_cndmask_b32_e32 v6, v51, v7, vcc
	v_ashrrev_i32_e32 v7, 31, v6
	v_lshlrev_b64 v[6:7], 2, v[6:7]
	s_waitcnt vmcnt(6)
	v_mfma_f32_16x16x16f16 v[2:5], v[36:37], v[22:23], 0
	v_mov_b32_e32 v8, s18
	v_add_co_u32_e32 v6, vcc, s17, v6
	v_addc_co_u32_e32 v7, vcc, v8, v7, vcc
	global_load_dword v60, v[6:7], off
	v_and_b32_e32 v6, 16, v0
	v_mfma_f32_16x16x16f16 v[2:5], v[38:39], v[24:25], v[2:5]
	v_lshlrev_b32_e32 v6, 1, v6
	v_mov_b32_e32 v7, s3
	v_add_co_u32_e32 v6, vcc, s2, v6
	v_lshlrev_b32_e32 v8, 6, v53
	v_addc_co_u32_e32 v7, vcc, 0, v7, vcc
	s_waitcnt vmcnt(6)
	v_mfma_f32_16x16x16f16 v[2:5], v[26:27], v[18:19], v[2:5]
	v_lshl_or_b32 v8, v52, 10, v8
	v_add_co_u32_e32 v61, vcc, v6, v8
	v_addc_co_u32_e32 v62, vcc, 0, v7, vcc
	v_pk_mul_f32 v[50:51], s[10:11], v[58:59] op_sel_hi:[0,1]
	v_mfma_f32_16x16x16f16 v[26:29], v[28:29], v[20:21], v[2:5]
	s_waitcnt vmcnt(3)
	s_nop 5
	v_mad_i64_i32 v[2:3], s[2:3], v55, s45, 0
	v_lshlrev_b64 v[6:7], 1, v[2:3]
	v_mfma_f32_16x16x16f16 v[2:5], v[30:31], v[22:23], 0
	v_add_co_u32_e32 v6, vcc, v61, v6
	v_addc_co_u32_e32 v7, vcc, v62, v7, vcc
	global_load_dwordx4 v[14:17], v[6:7], off
	global_load_dwordx4 v[10:13], v[6:7], off offset:16
	s_waitcnt vmcnt(4)
	v_mad_i64_i32 v[6:7], s[2:3], v48, s45, 0
	v_mfma_f32_16x16x16f16 v[22:25], v[32:33], v[24:25], v[2:5]
	v_lshlrev_b64 v[6:7], 1, v[6:7]
	s_waitcnt vmcnt(3)
	v_mad_i64_i32 v[30:31], s[2:3], v49, s45, 0
	v_mfma_f32_16x16x16f16 v[22:25], v[40:41], v[18:19], v[22:25]
	v_pk_mul_f32 v[18:19], s[10:11], v[44:45] op_sel_hi:[0,1]
	v_pk_mul_f32 v[48:49], s[10:11], v[46:47] op_sel_hi:[0,1]
	;; [unrolled: 1-line block ×5, first 2 shown]
	v_add_co_u32_e32 v2, vcc, v61, v6
	v_mfma_f32_16x16x16f16 v[20:23], v[42:43], v[20:21], v[22:25]
	v_addc_co_u32_e32 v3, vcc, v62, v7, vcc
	v_lshlrev_b64 v[30:31], 1, v[30:31]
	v_add_co_u32_e32 v38, vcc, v61, v30
	v_addc_co_u32_e32 v39, vcc, v62, v31, vcc
	s_nop 6
	v_pk_mul_f32 v[42:43], s[10:11], v[20:21] op_sel_hi:[0,1]
	v_and_b32_e32 v20, 0xc0, v0
	v_add_u32_e32 v20, s16, v20
	v_lshl_or_b32 v20, v1, 2, v20
	v_pk_mul_f32 v[36:37], s[10:11], v[22:23] op_sel_hi:[0,1]
	v_or_b32_e32 v23, 1, v20
	v_mov_b32_e32 v21, 0xff7fffff
	v_cmp_gt_i32_e64 s[30:31], s33, v20
	v_cmp_gt_i32_e64 s[34:35], s33, v23
	v_cndmask_b32_e64 v22, v21, v18, s[30:31]
	v_cndmask_b32_e64 v23, v21, v19, s[34:35]
	v_max3_f32 v22, v22, s42, v23
	v_or_b32_e32 v23, 2, v20
	v_or_b32_e32 v24, 3, v20
	v_cmp_gt_i32_e64 s[36:37], s33, v23
	v_cmp_gt_i32_e64 s[38:39], s33, v24
	v_cndmask_b32_e64 v23, v21, v48, s[36:37]
	v_cndmask_b32_e64 v24, v21, v49, s[38:39]
	v_max3_f32 v22, v22, v23, v24
	v_or_b32_e32 v23, 16, v20
	v_or_b32_e32 v24, 17, v20
	;; [unrolled: 7-line block ×7, first 2 shown]
	v_cmp_gt_i32_e32 vcc, s33, v23
	v_cmp_gt_i32_e64 s[2:3], s33, v20
	v_cndmask_b32_e32 v23, v21, v36, vcc
	v_cndmask_b32_e64 v20, v21, v37, s[2:3]
	v_max3_f32 v26, v22, v23, v20
	v_mbcnt_lo_u32_b32 v20, -1, 0
	v_mbcnt_hi_u32_b32 v27, -1, v20
	v_and_b32_e32 v20, 64, v27
	v_add_u32_e32 v28, 64, v20
	v_xor_b32_e32 v20, 32, v27
	v_cmp_lt_i32_e64 s[40:41], v20, v28
	v_cndmask_b32_e64 v20, v27, v20, s[40:41]
	v_lshlrev_b32_e32 v56, 2, v20
	ds_bpermute_b32 v29, v56, v26
	s_waitcnt vmcnt(2)
	v_mad_i64_i32 v[20:21], s[40:41], v60, s45, 0
	v_lshlrev_b64 v[20:21], 1, v[20:21]
	global_load_dwordx4 v[6:9], v[2:3], off
	s_nop 0
	global_load_dwordx4 v[2:5], v[2:3], off offset:16
	s_waitcnt lgkmcnt(0)
	v_max_f32_e32 v29, v29, v29
	v_max_f32_e32 v26, v26, v29
	v_xor_b32_e32 v29, 16, v27
	v_cmp_lt_i32_e64 s[40:41], v29, v28
	v_cndmask_b32_e64 v27, v27, v29, s[40:41]
	v_lshlrev_b32_e32 v58, 2, v27
	ds_bpermute_b32 v27, v58, v26
	global_load_dwordx4 v[30:33], v[38:39], off
	global_load_dwordx4 v[22:25], v[38:39], off offset:16
	v_add_co_u32_e64 v20, s[40:41], v61, v20
	v_addc_co_u32_e64 v21, s[40:41], v62, v21, s[40:41]
	s_waitcnt lgkmcnt(0)
	v_max_f32_e32 v27, v27, v27
	v_max_f32_e32 v55, v26, v27
	v_sub_f32_e32 v18, v18, v55
	v_mul_f32_e32 v18, 0x3fb8aa3b, v18
	v_exp_f32_e32 v38, v18
	v_sub_f32_e32 v18, v19, v55
	v_mul_f32_e32 v18, 0x3fb8aa3b, v18
	v_exp_f32_e32 v39, v18
	global_load_dwordx4 v[26:29], v[20:21], off
	s_nop 0
	global_load_dwordx4 v[18:21], v[20:21], off offset:16
	v_sub_f32_e32 v48, v48, v55
	v_mul_f32_e32 v48, 0x3fb8aa3b, v48
	v_sub_f32_e32 v49, v49, v55
	v_exp_f32_e32 v48, v48
	v_mul_f32_e32 v49, 0x3fb8aa3b, v49
	v_sub_f32_e32 v40, v40, v55
	v_exp_f32_e32 v49, v49
	v_mul_f32_e32 v40, 0x3fb8aa3b, v40
	v_sub_f32_e32 v41, v41, v55
	v_cndmask_b32_e64 v38, 0, v38, s[30:31]
	v_exp_f32_e32 v40, v40
	v_mul_f32_e32 v41, 0x3fb8aa3b, v41
	v_sub_f32_e32 v50, v50, v55
	v_add_f32_e32 v57, 0, v38
	v_cndmask_b32_e64 v39, 0, v39, s[34:35]
	v_exp_f32_e32 v41, v41
	v_mul_f32_e32 v50, 0x3fb8aa3b, v50
	v_sub_f32_e32 v51, v51, v55
	v_add_f32_e32 v57, v57, v39
	;; [unrolled: 5-line block ×10, first 2 shown]
	v_cndmask_b32_e64 v46, 0, v46, s[12:13]
	v_exp_f32_e32 v36, v36
	v_mul_f32_e32 v37, 0x3fb8aa3b, v37
	v_add_f32_e32 v57, v57, v46
	v_cndmask_b32_e64 v47, 0, v47, s[14:15]
	v_exp_f32_e32 v37, v37
	v_add_f32_e32 v57, v57, v47
	v_cndmask_b32_e64 v42, 0, v42, s[28:29]
	v_add_f32_e32 v57, v57, v42
	v_cndmask_b32_e64 v43, 0, v43, s[10:11]
	v_add_f32_e32 v57, v57, v43
	v_cndmask_b32_e32 v36, 0, v36, vcc
	v_add_f32_e32 v57, v57, v36
	v_cndmask_b32_e64 v37, 0, v37, s[2:3]
	v_add_f32_e32 v57, v57, v37
	ds_bpermute_b32 v56, v56, v57
	v_cmp_gt_u32_e64 s[2:3], 16, v54
	s_waitcnt lgkmcnt(0)
	s_barrier
	v_add_f32_e32 v57, v57, v56
	ds_bpermute_b32 v58, v58, v57
	v_lshlrev_b32_e32 v56, 2, v53
	s_and_saveexec_b64 s[10:11], s[2:3]
	s_cbranch_execz .LBB92_15
; %bb.14:
	s_waitcnt lgkmcnt(0)
	v_add_f32_e32 v54, v57, v58
	v_lshl_or_b32 v57, v52, 6, v56
	ds_write2st64_b32 v57, v55, v54 offset1:1
.LBB92_15:
	s_or_b64 exec, exec, s[10:11]
	s_load_dwordx2 s[10:11], s[4:5], 0x94
	s_waitcnt lgkmcnt(0)
	s_barrier
	ds_read2_b32 v[58:59], v56 offset1:16
	ds_read2_b32 v[60:61], v56 offset0:32 offset1:48
	ds_read2_b32 v[62:63], v56 offset0:64 offset1:80
	ds_read2_b32 v[56:57], v56 offset0:96 offset1:112
	s_waitcnt lgkmcnt(0)
	v_max3_f32 v54, v58, s42, v59
	v_max3_f32 v54, v54, v60, v61
	v_sub_f32_e32 v55, v58, v54
	v_mul_f32_e32 v55, 0x3fb8aa3b, v55
	v_exp_f32_e32 v58, v55
	v_sub_f32_e32 v55, v59, v54
	v_mul_f32_e32 v55, 0x3fb8aa3b, v55
	v_exp_f32_e32 v59, v55
	;; [unrolled: 3-line block ×4, first 2 shown]
	v_fma_f32 v55, v58, v62, 0
	v_fmac_f32_e32 v55, v59, v63
	v_fmac_f32_e32 v55, v60, v56
	;; [unrolled: 1-line block ×3, first 2 shown]
	v_add_f32_e32 v57, 0x358637bd, v55
	v_div_scale_f32 v62, s[12:13], v57, v57, 1.0
	v_rcp_f32_e32 v63, v62
	s_barrier
	v_mov_b32_e32 v56, 0
	v_fma_f32 v64, -v62, v63, 1.0
	v_fmac_f32_e32 v63, v64, v63
	v_div_scale_f32 v64, vcc, 1.0, v57, 1.0
	v_mul_f32_e32 v65, v64, v63
	v_fma_f32 v66, -v62, v65, v64
	v_fmac_f32_e32 v65, v66, v63
	v_fma_f32 v62, -v62, v65, v64
	v_div_fmas_f32 v62, v62, v63, v65
	v_cmp_eq_u32_e32 vcc, 1, v52
	v_cndmask_b32_e32 v58, v58, v59, vcc
	v_cmp_eq_u32_e32 vcc, 2, v52
	v_cndmask_b32_e32 v58, v58, v60, vcc
	v_cmp_eq_u32_e32 vcc, 3, v52
	v_div_fixup_f32 v57, v62, v57, 1.0
	v_cndmask_b32_e32 v58, v58, v61, vcc
	v_mul_f32_e32 v58, v58, v57
	v_pk_mul_f32 v[38:39], v[58:59], v[38:39] op_sel_hi:[0,1]
	v_pk_mul_f32 v[48:49], v[58:59], v[48:49] op_sel_hi:[0,1]
	v_cvt_f16_f32_e32 v38, v38
	v_cvt_f16_f32_e32 v39, v39
	v_pk_mul_f32 v[50:51], v[58:59], v[50:51] op_sel_hi:[0,1]
	v_pk_mul_f32 v[40:41], v[58:59], v[40:41] op_sel_hi:[0,1]
	v_cvt_f16_f32_e32 v57, v48
	v_cvt_f16_f32_e32 v49, v49
	;; [unrolled: 1-line block ×6, first 2 shown]
	v_pack_b32_f16 v48, v38, v39
	v_lshlrev_b32_e32 v38, 3, v1
	v_lshlrev_b32_e32 v39, 5, v53
	;; [unrolled: 1-line block ×3, first 2 shown]
	v_pack_b32_f16 v49, v57, v49
	v_or3_b32 v38, v52, v39, v38
	v_pack_b32_f16 v40, v40, v41
	v_pack_b32_f16 v41, v50, v51
	ds_write2st64_b64 v38, v[48:49], v[40:41] offset1:1
	v_pk_mul_f32 v[40:41], v[58:59], v[46:47] op_sel_hi:[0,1]
	v_pk_mul_f32 v[44:45], v[58:59], v[44:45] op_sel_hi:[0,1]
	v_cvt_f16_f32_e32 v46, v40
	v_cvt_f16_f32_e32 v47, v41
	v_pk_mul_f32 v[36:37], v[58:59], v[36:37] op_sel_hi:[0,1]
	v_pk_mul_f32 v[40:41], v[58:59], v[42:43] op_sel_hi:[0,1]
	v_cvt_f16_f32_e32 v44, v44
	v_cvt_f16_f32_e32 v45, v45
	;; [unrolled: 1-line block ×6, first 2 shown]
	v_pack_b32_f16 v36, v44, v45
	v_pack_b32_f16 v37, v46, v47
	v_pack_b32_f16 v40, v40, v41
	v_pack_b32_f16 v41, v42, v43
	v_cmp_eq_u32_e32 vcc, 0, v0
	ds_write2st64_b64 v38, v[36:37], v[40:41] offset0:2 offset1:3
	s_and_saveexec_b64 s[12:13], vcc
	s_cbranch_execz .LBB92_17
; %bb.16:
	s_mul_i32 s7, s7, s11
	s_mul_hi_u32 s14, s6, s11
	s_add_i32 s14, s14, s7
	s_mul_i32 s7, s6, s11
	s_add_u32 s7, s7, s8
	s_addc_u32 s14, s14, 0
	s_load_dwordx4 s[16:19], s[4:5], 0x58
	s_mul_i32 s14, s14, s10
	s_mul_hi_u32 s15, s7, s10
	s_add_i32 s15, s15, s14
	s_mul_i32 s7, s7, s10
	s_add_u32 s14, s7, s9
	s_addc_u32 s15, s15, 0
	s_lshl_b64 s[14:15], s[14:15], 2
	s_waitcnt lgkmcnt(0)
	s_add_u32 s18, s18, s14
	s_addc_u32 s19, s19, s15
	s_add_u32 s14, s16, s14
	s_addc_u32 s15, s17, s15
	global_store_dword v56, v54, s[18:19]
	global_store_dword v56, v55, s[14:15]
.LBB92_17:
	s_or_b64 exec, exec, s[12:13]
	v_lshl_or_b32 v36, v1, 9, v39
	s_waitcnt lgkmcnt(0)
	s_barrier
	ds_read_b128 v[40:43], v36
	ds_read_b128 v[44:47], v36 offset:16
	s_waitcnt vmcnt(7) lgkmcnt(1)
	v_mfma_f32_16x16x16f16 v[48:51], v[14:15], v[40:41], 0
	v_cmp_gt_u32_e32 vcc, 64, v0
	s_and_b64 s[0:1], s[0:1], vcc
	s_mov_b32 s7, 0
	s_and_b64 s[0:1], s[0:1], s[2:3]
	v_mfma_f32_16x16x16f16 v[14:17], v[16:17], v[42:43], v[48:51]
	s_waitcnt vmcnt(6) lgkmcnt(0)
	v_mfma_f32_16x16x16f16 v[14:17], v[10:11], v[44:45], v[14:17]
	v_mfma_f32_16x16x16f16 v[10:13], v[12:13], v[46:47], v[14:17]
	s_nop 7
	s_nop 1
	ds_read_b128 v[14:17], v36 offset:2048
	ds_read_b128 v[40:43], v36 offset:2064
	s_waitcnt vmcnt(5) lgkmcnt(1)
	v_mfma_f32_16x16x16f16 v[10:13], v[6:7], v[14:15], v[10:13]
	v_mfma_f32_16x16x16f16 v[6:9], v[8:9], v[16:17], v[10:13]
	s_waitcnt vmcnt(4) lgkmcnt(0)
	v_mfma_f32_16x16x16f16 v[6:9], v[2:3], v[40:41], v[6:9]
	v_mfma_f32_16x16x16f16 v[2:5], v[4:5], v[42:43], v[6:9]
	s_nop 7
	s_nop 1
	ds_read_b128 v[6:9], v36 offset:4096
	ds_read_b128 v[10:13], v36 offset:4112
	s_waitcnt vmcnt(3) lgkmcnt(1)
	v_mfma_f32_16x16x16f16 v[2:5], v[30:31], v[6:7], v[2:5]
	v_mfma_f32_16x16x16f16 v[2:5], v[32:33], v[8:9], v[2:5]
	s_waitcnt vmcnt(2) lgkmcnt(0)
	v_mfma_f32_16x16x16f16 v[2:5], v[22:23], v[10:11], v[2:5]
	v_mfma_f32_16x16x16f16 v[2:5], v[24:25], v[12:13], v[2:5]
	ds_read_b128 v[6:9], v36 offset:6144
	ds_read_b128 v[10:13], v36 offset:6160
	s_waitcnt lgkmcnt(0)
	s_barrier
	s_waitcnt vmcnt(1)
	v_mfma_f32_16x16x16f16 v[2:5], v[26:27], v[6:7], v[2:5]
	v_mfma_f32_16x16x16f16 v[2:5], v[28:29], v[8:9], v[2:5]
	s_waitcnt vmcnt(0)
	v_mfma_f32_16x16x16f16 v[2:5], v[18:19], v[10:11], v[2:5]
	v_mfma_f32_16x16x16f16 v[2:5], v[20:21], v[12:13], v[2:5]
	s_nop 7
	s_nop 2
	v_cvt_f16_f32_e32 v2, v2
	v_cvt_f16_f32_e32 v3, v3
	;; [unrolled: 1-line block ×4, first 2 shown]
	v_pack_b32_f16 v2, v2, v3
	v_pack_b32_f16 v3, v4, v5
	ds_write_b64 v38, v[2:3]
	s_waitcnt lgkmcnt(0)
	s_barrier
	s_and_saveexec_b64 s[2:3], s[0:1]
	s_cbranch_execz .LBB92_19
; %bb.18:
	s_load_dwordx2 s[0:1], s[4:5], 0x68
	s_mul_i32 s2, s11, s6
	s_lshl_b32 s4, s10, 6
	s_mul_hi_u32 s3, s2, s4
	s_mul_i32 s2, s2, s4
	s_lshl_b64 s[2:3], s[2:3], 1
	s_waitcnt lgkmcnt(0)
	s_add_u32 s2, s0, s2
	s_addc_u32 s3, s1, s3
	s_lshl_b32 s6, s9, 6
	v_lshlrev_b32_e32 v2, 10, v0
	v_lshlrev_b32_e32 v0, 4, v0
	s_lshl_b64 s[0:1], s[6:7], 1
	v_and_b32_e32 v2, 0x1800, v2
	v_lshlrev_b32_e32 v1, 5, v1
	v_and_b32_e32 v0, 16, v0
	s_add_u32 s2, s2, s0
	v_or3_b32 v0, v2, v1, v0
	s_addc_u32 s3, s3, s1
	s_mul_hi_u32 s1, s4, s8
	s_mul_i32 s0, s4, s8
	ds_read_b128 v[0:3], v0
	s_lshl_b64 s[0:1], s[0:1], 1
	s_add_u32 s0, s2, s0
	s_addc_u32 s1, s3, s1
	v_mov_b32_e32 v5, s1
	v_add_co_u32_e32 v4, vcc, s0, v34
	v_addc_co_u32_e32 v5, vcc, v5, v35, vcc
	s_waitcnt lgkmcnt(0)
	global_store_dwordx4 v[4:5], v[0:3], off
.LBB92_19:
	s_endpgm
	.section	.rodata,"a",@progbits
	.p2align	6, 0x0
	.amdhsa_kernel _Z39paged_attention_ll4mi_QKV_mfma16_kernelIDF16_DF16_LN4vllm18Fp8KVCacheDataTypeE0EDF16_Li32ELi64ELi256ELb0ELi1EL8MFMAType0EEvPKT_PKT0_S8_ifPKiSA_SA_iPKfiiiPfSD_PS3_PT2_iSC_SC_
		.amdhsa_group_segment_fixed_size 8192
		.amdhsa_private_segment_fixed_size 0
		.amdhsa_kernarg_size 400
		.amdhsa_user_sgpr_count 6
		.amdhsa_user_sgpr_private_segment_buffer 1
		.amdhsa_user_sgpr_dispatch_ptr 0
		.amdhsa_user_sgpr_queue_ptr 0
		.amdhsa_user_sgpr_kernarg_segment_ptr 1
		.amdhsa_user_sgpr_dispatch_id 0
		.amdhsa_user_sgpr_flat_scratch_init 0
		.amdhsa_user_sgpr_kernarg_preload_length 0
		.amdhsa_user_sgpr_kernarg_preload_offset 0
		.amdhsa_user_sgpr_private_segment_size 0
		.amdhsa_uses_dynamic_stack 0
		.amdhsa_system_sgpr_private_segment_wavefront_offset 0
		.amdhsa_system_sgpr_workgroup_id_x 1
		.amdhsa_system_sgpr_workgroup_id_y 1
		.amdhsa_system_sgpr_workgroup_id_z 1
		.amdhsa_system_sgpr_workgroup_info 0
		.amdhsa_system_vgpr_workitem_id 0
		.amdhsa_next_free_vgpr 67
		.amdhsa_next_free_sgpr 48
		.amdhsa_accum_offset 68
		.amdhsa_reserve_vcc 1
		.amdhsa_reserve_flat_scratch 0
		.amdhsa_float_round_mode_32 0
		.amdhsa_float_round_mode_16_64 0
		.amdhsa_float_denorm_mode_32 3
		.amdhsa_float_denorm_mode_16_64 3
		.amdhsa_dx10_clamp 1
		.amdhsa_ieee_mode 1
		.amdhsa_fp16_overflow 0
		.amdhsa_tg_split 0
		.amdhsa_exception_fp_ieee_invalid_op 0
		.amdhsa_exception_fp_denorm_src 0
		.amdhsa_exception_fp_ieee_div_zero 0
		.amdhsa_exception_fp_ieee_overflow 0
		.amdhsa_exception_fp_ieee_underflow 0
		.amdhsa_exception_fp_ieee_inexact 0
		.amdhsa_exception_int_div_zero 0
	.end_amdhsa_kernel
	.section	.text._Z39paged_attention_ll4mi_QKV_mfma16_kernelIDF16_DF16_LN4vllm18Fp8KVCacheDataTypeE0EDF16_Li32ELi64ELi256ELb0ELi1EL8MFMAType0EEvPKT_PKT0_S8_ifPKiSA_SA_iPKfiiiPfSD_PS3_PT2_iSC_SC_,"axG",@progbits,_Z39paged_attention_ll4mi_QKV_mfma16_kernelIDF16_DF16_LN4vllm18Fp8KVCacheDataTypeE0EDF16_Li32ELi64ELi256ELb0ELi1EL8MFMAType0EEvPKT_PKT0_S8_ifPKiSA_SA_iPKfiiiPfSD_PS3_PT2_iSC_SC_,comdat
.Lfunc_end92:
	.size	_Z39paged_attention_ll4mi_QKV_mfma16_kernelIDF16_DF16_LN4vllm18Fp8KVCacheDataTypeE0EDF16_Li32ELi64ELi256ELb0ELi1EL8MFMAType0EEvPKT_PKT0_S8_ifPKiSA_SA_iPKfiiiPfSD_PS3_PT2_iSC_SC_, .Lfunc_end92-_Z39paged_attention_ll4mi_QKV_mfma16_kernelIDF16_DF16_LN4vllm18Fp8KVCacheDataTypeE0EDF16_Li32ELi64ELi256ELb0ELi1EL8MFMAType0EEvPKT_PKT0_S8_ifPKiSA_SA_iPKfiiiPfSD_PS3_PT2_iSC_SC_
                                        ; -- End function
	.section	.AMDGPU.csdata,"",@progbits
; Kernel info:
; codeLenInByte = 3904
; NumSgprs: 52
; NumVgprs: 67
; NumAgprs: 0
; TotalNumVgprs: 67
; ScratchSize: 0
; MemoryBound: 0
; FloatMode: 240
; IeeeMode: 1
; LDSByteSize: 8192 bytes/workgroup (compile time only)
; SGPRBlocks: 6
; VGPRBlocks: 8
; NumSGPRsForWavesPerEU: 52
; NumVGPRsForWavesPerEU: 67
; AccumOffset: 68
; Occupancy: 7
; WaveLimiterHint : 1
; COMPUTE_PGM_RSRC2:SCRATCH_EN: 0
; COMPUTE_PGM_RSRC2:USER_SGPR: 6
; COMPUTE_PGM_RSRC2:TRAP_HANDLER: 0
; COMPUTE_PGM_RSRC2:TGID_X_EN: 1
; COMPUTE_PGM_RSRC2:TGID_Y_EN: 1
; COMPUTE_PGM_RSRC2:TGID_Z_EN: 1
; COMPUTE_PGM_RSRC2:TIDIG_COMP_CNT: 0
; COMPUTE_PGM_RSRC3_GFX90A:ACCUM_OFFSET: 16
; COMPUTE_PGM_RSRC3_GFX90A:TG_SPLIT: 0
	.section	.text._Z39paged_attention_ll4mi_QKV_mfma16_kernelIDF16_DF16_LN4vllm18Fp8KVCacheDataTypeE0EDF16_Li32ELi64ELi256ELb0ELi2EL8MFMAType0EEvPKT_PKT0_S8_ifPKiSA_SA_iPKfiiiPfSD_PS3_PT2_iSC_SC_,"axG",@progbits,_Z39paged_attention_ll4mi_QKV_mfma16_kernelIDF16_DF16_LN4vllm18Fp8KVCacheDataTypeE0EDF16_Li32ELi64ELi256ELb0ELi2EL8MFMAType0EEvPKT_PKT0_S8_ifPKiSA_SA_iPKfiiiPfSD_PS3_PT2_iSC_SC_,comdat
	.protected	_Z39paged_attention_ll4mi_QKV_mfma16_kernelIDF16_DF16_LN4vllm18Fp8KVCacheDataTypeE0EDF16_Li32ELi64ELi256ELb0ELi2EL8MFMAType0EEvPKT_PKT0_S8_ifPKiSA_SA_iPKfiiiPfSD_PS3_PT2_iSC_SC_ ; -- Begin function _Z39paged_attention_ll4mi_QKV_mfma16_kernelIDF16_DF16_LN4vllm18Fp8KVCacheDataTypeE0EDF16_Li32ELi64ELi256ELb0ELi2EL8MFMAType0EEvPKT_PKT0_S8_ifPKiSA_SA_iPKfiiiPfSD_PS3_PT2_iSC_SC_
	.globl	_Z39paged_attention_ll4mi_QKV_mfma16_kernelIDF16_DF16_LN4vllm18Fp8KVCacheDataTypeE0EDF16_Li32ELi64ELi256ELb0ELi2EL8MFMAType0EEvPKT_PKT0_S8_ifPKiSA_SA_iPKfiiiPfSD_PS3_PT2_iSC_SC_
	.p2align	8
	.type	_Z39paged_attention_ll4mi_QKV_mfma16_kernelIDF16_DF16_LN4vllm18Fp8KVCacheDataTypeE0EDF16_Li32ELi64ELi256ELb0ELi2EL8MFMAType0EEvPKT_PKT0_S8_ifPKiSA_SA_iPKfiiiPfSD_PS3_PT2_iSC_SC_,@function
_Z39paged_attention_ll4mi_QKV_mfma16_kernelIDF16_DF16_LN4vllm18Fp8KVCacheDataTypeE0EDF16_Li32ELi64ELi256ELb0ELi2EL8MFMAType0EEvPKT_PKT0_S8_ifPKiSA_SA_iPKfiiiPfSD_PS3_PT2_iSC_SC_: ; @_Z39paged_attention_ll4mi_QKV_mfma16_kernelIDF16_DF16_LN4vllm18Fp8KVCacheDataTypeE0EDF16_Li32ELi64ELi256ELb0ELi2EL8MFMAType0EEvPKT_PKT0_S8_ifPKiSA_SA_iPKfiiiPfSD_PS3_PT2_iSC_SC_
; %bb.0:
	s_load_dwordx2 s[0:1], s[4:5], 0x30
	s_mov_b32 s28, s7
	s_mov_b64 s[10:11], 0
	s_waitcnt lgkmcnt(0)
	s_cmp_lg_u64 s[0:1], 0
	s_cselect_b64 s[2:3], -1, 0
	s_and_b64 vcc, exec, s[2:3]
	s_cbranch_vccz .LBB93_7
; %bb.1:
	s_add_i32 s12, s6, 1
	s_mov_b32 s13, 0
	s_lshl_b64 s[14:15], s[12:13], 2
	s_add_u32 s14, s0, s14
	s_mov_b32 s7, s13
	s_addc_u32 s15, s1, s15
	s_lshl_b64 s[12:13], s[6:7], 2
	s_add_u32 s12, s0, s12
	s_addc_u32 s13, s1, s13
	s_load_dword s9, s[14:15], 0x0
	s_load_dword s16, s[12:13], 0x0
	s_waitcnt lgkmcnt(0)
	s_sub_i32 s9, s9, s16
	s_cmp_eq_u32 s9, 1
	s_cselect_b64 s[12:13], -1, 0
	s_andn2_b64 vcc, exec, s[10:11]
	s_cbranch_vccnz .LBB93_3
.LBB93_2:
	s_mov_b32 s7, 0
	s_mov_b64 s[12:13], -1
.LBB93_3:
	s_andn2_b64 vcc, exec, s[12:13]
	s_cbranch_vccnz .LBB93_19
; %bb.4:
	s_load_dwordx2 s[12:13], s[4:5], 0x28
	s_lshl_b64 s[10:11], s[6:7], 2
	s_waitcnt lgkmcnt(0)
	s_add_u32 s12, s12, s10
	s_addc_u32 s13, s13, s11
	s_load_dword s33, s[12:13], 0x0
	s_lshl_b32 s16, s28, 8
	s_waitcnt lgkmcnt(0)
	s_cmp_ge_i32 s16, s33
	s_cbranch_scc1 .LBB93_19
; %bb.5:
	s_add_i32 s14, s33, 31
	s_load_dwordx2 s[12:13], s[4:5], 0x20
	s_load_dword s9, s[4:5], 0x38
	s_ashr_i32 s15, s14, 31
	v_and_b32_e32 v1, 0xcf, v0
	s_lshr_b32 s15, s15, 27
	v_add_u32_e32 v1, s16, v1
	s_add_i32 s14, s14, s15
	v_ashrrev_i32_e32 v2, 31, v1
	s_ashr_i32 s19, s14, 5
	v_lshrrev_b32_e32 v6, 27, v2
	s_add_i32 s19, s19, -1
	v_add_u32_e32 v2, v1, v6
	s_waitcnt lgkmcnt(0)
	s_mul_i32 s14, s6, s9
	s_mov_b32 s15, 0
	v_ashrrev_i32_e32 v2, 5, v2
	v_mov_b32_e32 v7, s19
	v_cmp_gt_i32_e32 vcc, s33, v1
	s_lshl_b64 s[14:15], s[14:15], 2
	v_cndmask_b32_e32 v2, v7, v2, vcc
	s_add_u32 s17, s12, s14
	v_ashrrev_i32_e32 v3, 31, v2
	s_addc_u32 s18, s13, s15
	v_lshlrev_b64 v[2:3], 2, v[2:3]
	v_mov_b32_e32 v4, s18
	v_add_co_u32_e32 v2, vcc, s17, v2
	v_addc_co_u32_e32 v3, vcc, v4, v3, vcc
	v_or_b32_e32 v4, 16, v1
	v_add_u32_e32 v5, v4, v6
	v_ashrrev_i32_e32 v5, 5, v5
	v_cmp_gt_i32_e32 vcc, s33, v4
	v_cndmask_b32_e32 v4, v7, v5, vcc
	v_ashrrev_i32_e32 v5, 31, v4
	v_lshlrev_b64 v[4:5], 2, v[4:5]
	v_mov_b32_e32 v9, s18
	v_add_co_u32_e32 v8, vcc, s17, v4
	v_or_b32_e32 v4, 32, v1
	v_addc_co_u32_e32 v9, vcc, v9, v5, vcc
	v_add_u32_e32 v5, v4, v6
	v_ashrrev_i32_e32 v5, 5, v5
	v_cmp_gt_i32_e32 vcc, s33, v4
	v_cndmask_b32_e32 v4, v7, v5, vcc
	v_ashrrev_i32_e32 v5, 31, v4
	v_lshlrev_b64 v[4:5], 2, v[4:5]
	v_mov_b32_e32 v11, s18
	v_add_co_u32_e32 v10, vcc, s17, v4
	v_or_b32_e32 v1, 48, v1
	v_addc_co_u32_e32 v11, vcc, v11, v5, vcc
	v_add_u32_e32 v4, v1, v6
	v_ashrrev_i32_e32 v4, 5, v4
	v_cmp_gt_i32_e32 vcc, s33, v1
	v_cndmask_b32_e32 v4, v7, v4, vcc
	v_ashrrev_i32_e32 v5, 31, v4
	v_lshlrev_b64 v[4:5], 2, v[4:5]
	v_mov_b32_e32 v1, s18
	v_add_co_u32_e32 v12, vcc, s17, v4
	v_addc_co_u32_e32 v13, vcc, v1, v5, vcc
	global_load_dword v4, v[2:3], off
	global_load_dword v6, v[8:9], off
	;; [unrolled: 1-line block ×4, first 2 shown]
	s_andn2_b64 vcc, exec, s[2:3]
	s_cbranch_vccnz .LBB93_8
; %bb.6:
	s_add_u32 s0, s0, s10
	s_addc_u32 s1, s1, s11
	s_load_dword s9, s[0:1], 0x0
	s_branch .LBB93_9
.LBB93_7:
	s_mov_b64 s[12:13], 0
	s_branch .LBB93_2
.LBB93_8:
	s_mov_b32 s9, s6
.LBB93_9:
	s_load_dwordx4 s[12:15], s[4:5], 0x8
	s_load_dwordx4 s[44:47], s[4:5], 0x48
	v_lshrrev_b32_e32 v53, 6, v0
	v_bfe_u32 v1, v0, 4, 2
	v_lshl_or_b32 v5, v53, 2, v1
	v_and_b32_e32 v54, 15, v0
	v_cmp_lt_u32_e32 vcc, 1, v5
	v_cmp_lt_u32_e64 s[2:3], 7, v54
	v_lshlrev_b32_e32 v2, 3, v54
	v_cmp_gt_u32_e64 s[0:1], 8, v54
	s_or_b64 s[2:3], s[2:3], vcc
	s_and_saveexec_b64 s[10:11], s[2:3]
	s_xor_b64 s[2:3], exec, s[10:11]
; %bb.10:
	v_mov_b32_e32 v3, 0
                                        ; implicit-def: $vgpr5
; %bb.11:
	s_or_saveexec_b64 s[2:3], s[2:3]
	s_lshl_b32 s29, s8, 1
	v_and_b32_e32 v52, 63, v0
	s_xor_b64 exec, exec, s[2:3]
	s_cbranch_execz .LBB93_13
; %bb.12:
	s_load_dwordx2 s[10:11], s[4:5], 0x0
	s_waitcnt lgkmcnt(0)
	s_ashr_i32 s20, s44, 31
	s_mul_hi_u32 s21, s9, s44
	s_mul_i32 s20, s9, s20
	s_add_i32 s21, s21, s20
	s_mul_i32 s20, s9, s44
	s_lshl_b64 s[20:21], s[20:21], 1
	v_add_lshl_u32 v8, v1, s29, 6
	s_add_u32 s9, s10, s20
	v_ashrrev_i32_e32 v9, 31, v8
	s_addc_u32 s10, s11, s21
	v_lshlrev_b64 v[8:9], 1, v[8:9]
	v_mov_b32_e32 v3, s10
	v_add_co_u32_e32 v7, vcc, s9, v8
	v_addc_co_u32_e32 v3, vcc, v3, v9, vcc
	v_lshlrev_b32_e32 v8, 1, v2
	v_add_co_u32_e32 v8, vcc, v7, v8
	v_addc_co_u32_e32 v9, vcc, 0, v3, vcc
	global_load_dwordx4 v[8:11], v[8:9], off
	v_and_b32_e32 v7, 3, v0
	v_lshlrev_b32_e32 v12, 9, v54
	v_lshlrev_b32_e32 v5, 5, v5
	;; [unrolled: 1-line block ×3, first 2 shown]
	v_and_b32_e32 v12, 0x1800, v12
	v_mov_b32_e32 v3, 0
	v_or3_b32 v5, v12, v7, v5
	s_waitcnt vmcnt(0)
	ds_write_b128 v5, v[8:11]
.LBB93_13:
	s_or_b64 exec, exec, s[2:3]
	s_waitcnt lgkmcnt(0)
	s_mul_i32 s8, s8, s46
	s_mov_b32 s9, 0
	s_lshl_b64 s[8:9], s[8:9], 1
	s_add_u32 s3, s12, s8
	s_waitcnt vmcnt(3)
	v_mad_i64_i32 v[4:5], s[10:11], v4, s45, 0
	s_addc_u32 s12, s13, s9
	v_lshlrev_b64 v[4:5], 1, v[4:5]
	v_mov_b32_e32 v7, s12
	v_add_co_u32_e32 v4, vcc, s3, v4
	v_addc_co_u32_e32 v5, vcc, v7, v5, vcc
	v_lshlrev_b64 v[34:35], 1, v[2:3]
	v_add_co_u32_e32 v2, vcc, v4, v34
	v_lshlrev_b32_e32 v28, 9, v1
	v_addc_co_u32_e32 v3, vcc, v5, v35, vcc
	v_add_co_u32_e32 v20, vcc, v2, v28
	v_addc_co_u32_e32 v21, vcc, 0, v3, vcc
	s_load_dword s42, s[4:5], 0x98
	s_load_dword s2, s[4:5], 0x1c
	s_waitcnt lgkmcnt(0)
	s_barrier
	global_load_dwordx4 v[2:5], v[20:21], off
	s_waitcnt vmcnt(3)
	v_mad_i64_i32 v[6:7], s[10:11], v6, s45, 0
	v_lshlrev_b64 v[6:7], 1, v[6:7]
	v_mov_b32_e32 v8, s12
	v_add_co_u32_e32 v6, vcc, s3, v6
	v_addc_co_u32_e32 v7, vcc, v8, v7, vcc
	v_mov_b32_e32 v8, 0x100
	v_lshl_or_b32 v29, v54, 4, v8
	v_add_co_u32_e32 v6, vcc, v6, v29
	v_addc_co_u32_e32 v7, vcc, 0, v7, vcc
	v_add_co_u32_e32 v22, vcc, v6, v28
	v_addc_co_u32_e32 v23, vcc, 0, v7, vcc
	global_load_dwordx4 v[10:13], v[22:23], off
	global_load_dwordx4 v[14:17], v[20:21], off offset:2048
	global_load_dwordx4 v[6:9], v[22:23], off offset:2048
	v_and_b32_e32 v22, 1, v0
	s_waitcnt vmcnt(5)
	v_mad_i64_i32 v[20:21], s[10:11], v19, s45, 0
	s_waitcnt vmcnt(4)
	v_mad_i64_i32 v[18:19], s[10:11], v18, s45, 0
	v_lshl_or_b32 v32, v22, 5, v28
	v_lshlrev_b64 v[30:31], 1, v[20:21]
	v_lshlrev_b64 v[26:27], 1, v[18:19]
	ds_read_b128 v[22:25], v32
	ds_read_b128 v[18:21], v32 offset:2048
	v_mov_b32_e32 v32, s12
	v_add_co_u32_e32 v30, vcc, s3, v30
	v_addc_co_u32_e32 v31, vcc, v32, v31, vcc
	v_add_co_u32_e32 v36, vcc, v30, v34
	v_addc_co_u32_e32 v37, vcc, v31, v35, vcc
	;; [unrolled: 2-line block ×3, first 2 shown]
	global_load_dwordx4 v[36:39], v[44:45], off
	v_mov_b32_e32 v40, s12
	v_and_or_b32 v48, v0, 48, s16
	s_ashr_i32 s10, s16, 31
	v_or_b32_e32 v46, 64, v48
	s_lshr_b32 s10, s10, 27
	v_mov_b32_e32 v49, s19
	v_mov_b32_e32 v50, s18
	s_mov_b32 s43, 0xff7fffff
	s_waitcnt vmcnt(4) lgkmcnt(1)
	v_mfma_f32_16x16x16f16 v[30:33], v[2:3], v[22:23], 0
	v_add_co_u32_e32 v2, vcc, s3, v26
	v_addc_co_u32_e32 v3, vcc, v40, v27, vcc
	v_add_u32_e32 v26, s10, v48
	v_ashrrev_i32_e32 v47, 5, v26
	s_add_u32 s3, s14, s8
	s_waitcnt vmcnt(3)
	v_mfma_f32_16x16x16f16 v[40:43], v[10:11], v[22:23], 0
	v_add_co_u32_e32 v11, vcc, v2, v29
	v_addc_co_u32_e32 v27, vcc, 0, v3, vcc
	v_add_u32_e32 v10, s10, v46
	v_ashrrev_i32_e32 v51, 5, v10
	v_add_co_u32_e32 v10, vcc, v11, v28
	v_mfma_f32_16x16x16f16 v[2:5], v[4:5], v[24:25], v[30:33]
	v_addc_co_u32_e32 v11, vcc, 0, v27, vcc
	global_load_dwordx4 v[26:29], v[44:45], off offset:2048
	v_cmp_gt_i32_e32 vcc, s33, v48
	v_cndmask_b32_e32 v44, v49, v47, vcc
	v_ashrrev_i32_e32 v45, 31, v44
	v_cmp_gt_i32_e32 vcc, s33, v46
	s_waitcnt vmcnt(3) lgkmcnt(0)
	v_mfma_f32_16x16x16f16 v[2:5], v[14:15], v[18:19], v[2:5]
	global_load_dwordx4 v[30:33], v[10:11], off
	global_load_dwordx4 v[56:59], v[10:11], off offset:2048
	v_lshlrev_b64 v[10:11], 2, v[44:45]
	v_cndmask_b32_e32 v14, v49, v51, vcc
	v_ashrrev_i32_e32 v15, 31, v14
	s_addc_u32 s8, s15, s9
	v_mfma_f32_16x16x16f16 v[44:47], v[16:17], v[20:21], v[2:5]
	s_nop 6
	v_add_co_u32_e32 v2, vcc, s17, v10
	v_addc_co_u32_e32 v3, vcc, v50, v11, vcc
	global_load_dword v16, v[2:3], off
	v_lshlrev_b64 v[10:11], 2, v[14:15]
	v_mov_b32_e32 v14, s18
	v_add_co_u32_e32 v10, vcc, s17, v10
	v_addc_co_u32_e32 v11, vcc, v14, v11, vcc
	global_load_dword v50, v[10:11], off
	v_mfma_f32_16x16x16f16 v[2:5], v[12:13], v[24:25], v[40:43]
	v_or_b32_e32 v10, 0x80, v48
	v_add_u32_e32 v11, s10, v10
	v_ashrrev_i32_e32 v11, 5, v11
	v_cmp_gt_i32_e32 vcc, s33, v10
	v_cndmask_b32_e32 v10, v49, v11, vcc
	v_ashrrev_i32_e32 v11, 31, v10
	s_waitcnt vmcnt(6)
	v_mfma_f32_16x16x16f16 v[2:5], v[6:7], v[18:19], v[2:5]
	v_lshlrev_b64 v[6:7], 2, v[10:11]
	v_mov_b32_e32 v10, s18
	v_add_co_u32_e32 v6, vcc, s17, v6
	v_addc_co_u32_e32 v7, vcc, v10, v7, vcc
	global_load_dword v51, v[6:7], off
	v_mfma_f32_16x16x16f16 v[40:43], v[8:9], v[20:21], v[2:5]
	v_or_b32_e32 v6, 0xc0, v48
	v_add_u32_e32 v7, s10, v6
	v_ashrrev_i32_e32 v7, 5, v7
	v_cmp_gt_i32_e32 vcc, s33, v6
	v_cndmask_b32_e32 v6, v49, v7, vcc
	v_ashrrev_i32_e32 v7, 31, v6
	v_lshlrev_b64 v[6:7], 2, v[6:7]
	s_waitcnt vmcnt(6)
	v_mfma_f32_16x16x16f16 v[2:5], v[36:37], v[22:23], 0
	v_mov_b32_e32 v8, s18
	v_add_co_u32_e32 v6, vcc, s17, v6
	v_addc_co_u32_e32 v7, vcc, v8, v7, vcc
	global_load_dword v55, v[6:7], off
	v_and_b32_e32 v6, 16, v0
	v_mfma_f32_16x16x16f16 v[2:5], v[38:39], v[24:25], v[2:5]
	v_lshlrev_b32_e32 v6, 1, v6
	v_mov_b32_e32 v7, s8
	v_add_co_u32_e32 v6, vcc, s3, v6
	v_lshlrev_b32_e32 v8, 6, v54
	v_addc_co_u32_e32 v7, vcc, 0, v7, vcc
	s_waitcnt vmcnt(6)
	v_mfma_f32_16x16x16f16 v[2:5], v[26:27], v[18:19], v[2:5]
	v_lshl_or_b32 v8, v53, 10, v8
	v_add_co_u32_e32 v60, vcc, v6, v8
	v_addc_co_u32_e32 v61, vcc, 0, v7, vcc
	v_pk_mul_f32 v[48:49], s[2:3], v[46:47] op_sel_hi:[0,1]
	v_pk_mul_f32 v[40:41], s[2:3], v[40:41] op_sel_hi:[0,1]
	v_mfma_f32_16x16x16f16 v[26:29], v[28:29], v[20:21], v[2:5]
	s_waitcnt vmcnt(3)
	s_nop 5
	v_mad_i64_i32 v[2:3], s[8:9], v16, s45, 0
	v_lshlrev_b64 v[6:7], 1, v[2:3]
	v_mfma_f32_16x16x16f16 v[2:5], v[30:31], v[22:23], 0
	v_add_co_u32_e32 v6, vcc, v60, v6
	v_addc_co_u32_e32 v7, vcc, v61, v7, vcc
	global_load_dwordx4 v[14:17], v[6:7], off
	global_load_dwordx4 v[10:13], v[6:7], off offset:16
	s_waitcnt vmcnt(4)
	v_mad_i64_i32 v[6:7], s[8:9], v50, s45, 0
	v_mfma_f32_16x16x16f16 v[22:25], v[32:33], v[24:25], v[2:5]
	v_pk_mul_f32 v[46:47], s[2:3], v[28:29] op_sel_hi:[0,1]
	v_lshlrev_b64 v[6:7], 1, v[6:7]
	s_waitcnt vmcnt(3)
	v_mad_i64_i32 v[30:31], s[8:9], v51, s45, 0
	v_mfma_f32_16x16x16f16 v[22:25], v[56:57], v[18:19], v[22:25]
	v_pk_mul_f32 v[50:51], s[2:3], v[42:43] op_sel_hi:[0,1]
	v_pk_mul_f32 v[18:19], s[2:3], v[44:45] op_sel_hi:[0,1]
	;; [unrolled: 1-line block ×3, first 2 shown]
	v_add_co_u32_e32 v2, vcc, v60, v6
	v_addc_co_u32_e32 v3, vcc, v61, v7, vcc
	v_mfma_f32_16x16x16f16 v[20:23], v[58:59], v[20:21], v[22:25]
	v_lshlrev_b64 v[30:31], 1, v[30:31]
	v_add_co_u32_e32 v38, vcc, v60, v30
	v_addc_co_u32_e32 v39, vcc, v61, v31, vcc
	global_load_dwordx4 v[6:9], v[2:3], off
	s_nop 0
	global_load_dwordx4 v[2:5], v[2:3], off offset:16
	s_nop 4
	v_pk_mul_f32 v[42:43], s[2:3], v[20:21] op_sel_hi:[0,1]
	v_and_b32_e32 v20, 0xc0, v0
	v_add_u32_e32 v20, s16, v20
	v_lshl_or_b32 v20, v1, 2, v20
	v_pk_mul_f32 v[36:37], s[2:3], v[22:23] op_sel_hi:[0,1]
	v_or_b32_e32 v23, 1, v20
	v_mov_b32_e32 v21, 0xff7fffff
	v_cmp_gt_i32_e64 s[30:31], s33, v20
	v_cmp_gt_i32_e64 s[34:35], s33, v23
	v_cndmask_b32_e64 v22, v21, v18, s[30:31]
	v_cndmask_b32_e64 v23, v21, v19, s[34:35]
	v_max3_f32 v22, v22, s43, v23
	v_or_b32_e32 v23, 2, v20
	v_or_b32_e32 v24, 3, v20
	v_cmp_gt_i32_e64 s[36:37], s33, v23
	v_cmp_gt_i32_e64 s[38:39], s33, v24
	v_cndmask_b32_e64 v23, v21, v48, s[36:37]
	v_cndmask_b32_e64 v24, v21, v49, s[38:39]
	v_max3_f32 v22, v22, v23, v24
	v_or_b32_e32 v23, 16, v20
	v_or_b32_e32 v24, 17, v20
	v_cmp_gt_i32_e64 s[24:25], s33, v23
	v_cmp_gt_i32_e64 s[26:27], s33, v24
	v_cndmask_b32_e64 v23, v21, v40, s[24:25]
	v_cndmask_b32_e64 v24, v21, v41, s[26:27]
	v_max3_f32 v22, v22, v23, v24
	v_or_b32_e32 v23, 18, v20
	v_or_b32_e32 v24, 19, v20
	v_cmp_gt_i32_e64 s[20:21], s33, v23
	v_cmp_gt_i32_e64 s[22:23], s33, v24
	v_cndmask_b32_e64 v23, v21, v50, s[20:21]
	v_cndmask_b32_e64 v24, v21, v51, s[22:23]
	v_max3_f32 v22, v22, v23, v24
	v_or_b32_e32 v23, 32, v20
	v_or_b32_e32 v24, 33, v20
	v_cmp_gt_i32_e64 s[16:17], s33, v23
	v_cmp_gt_i32_e64 s[18:19], s33, v24
	v_cndmask_b32_e64 v23, v21, v44, s[16:17]
	v_cndmask_b32_e64 v24, v21, v45, s[18:19]
	v_max3_f32 v22, v22, v23, v24
	v_or_b32_e32 v23, 34, v20
	v_or_b32_e32 v24, 35, v20
	v_cmp_gt_i32_e64 s[12:13], s33, v23
	v_cmp_gt_i32_e64 s[14:15], s33, v24
	v_cndmask_b32_e64 v23, v21, v46, s[12:13]
	v_cndmask_b32_e64 v24, v21, v47, s[14:15]
	v_max3_f32 v22, v22, v23, v24
	v_or_b32_e32 v23, 48, v20
	v_or_b32_e32 v24, 49, v20
	v_cmp_gt_i32_e64 s[8:9], s33, v23
	v_cmp_gt_i32_e64 s[10:11], s33, v24
	v_cndmask_b32_e64 v23, v21, v42, s[8:9]
	v_cndmask_b32_e64 v24, v21, v43, s[10:11]
	v_max3_f32 v22, v22, v23, v24
	v_or_b32_e32 v23, 50, v20
	v_or_b32_e32 v20, 51, v20
	v_cmp_gt_i32_e32 vcc, s33, v23
	v_cmp_gt_i32_e64 s[2:3], s33, v20
	v_cndmask_b32_e32 v23, v21, v36, vcc
	v_cndmask_b32_e64 v20, v21, v37, s[2:3]
	v_max3_f32 v26, v22, v23, v20
	v_mbcnt_lo_u32_b32 v20, -1, 0
	v_mbcnt_hi_u32_b32 v27, -1, v20
	v_and_b32_e32 v20, 64, v27
	v_add_u32_e32 v28, 64, v20
	v_xor_b32_e32 v20, 32, v27
	v_cmp_lt_i32_e64 s[40:41], v20, v28
	v_cndmask_b32_e64 v20, v27, v20, s[40:41]
	v_lshlrev_b32_e32 v56, 2, v20
	ds_bpermute_b32 v29, v56, v26
	s_waitcnt vmcnt(4)
	v_mad_i64_i32 v[20:21], s[40:41], v55, s45, 0
	v_lshlrev_b64 v[20:21], 1, v[20:21]
	global_load_dwordx4 v[30:33], v[38:39], off
	global_load_dwordx4 v[22:25], v[38:39], off offset:16
	s_waitcnt lgkmcnt(0)
	v_max_f32_e32 v29, v29, v29
	v_max_f32_e32 v26, v26, v29
	v_xor_b32_e32 v29, 16, v27
	v_cmp_lt_i32_e64 s[40:41], v29, v28
	v_cndmask_b32_e64 v27, v27, v29, s[40:41]
	v_lshlrev_b32_e32 v58, 2, v27
	ds_bpermute_b32 v27, v58, v26
	v_add_co_u32_e64 v20, s[40:41], v60, v20
	v_addc_co_u32_e64 v21, s[40:41], v61, v21, s[40:41]
	s_waitcnt lgkmcnt(0)
	v_max_f32_e32 v27, v27, v27
	v_max_f32_e32 v55, v26, v27
	v_sub_f32_e32 v18, v18, v55
	v_mul_f32_e32 v18, 0x3fb8aa3b, v18
	v_exp_f32_e32 v38, v18
	v_sub_f32_e32 v18, v19, v55
	v_mul_f32_e32 v18, 0x3fb8aa3b, v18
	v_exp_f32_e32 v39, v18
	global_load_dwordx4 v[26:29], v[20:21], off
	s_nop 0
	global_load_dwordx4 v[18:21], v[20:21], off offset:16
	v_sub_f32_e32 v48, v48, v55
	v_mul_f32_e32 v48, 0x3fb8aa3b, v48
	v_sub_f32_e32 v49, v49, v55
	v_exp_f32_e32 v48, v48
	v_mul_f32_e32 v49, 0x3fb8aa3b, v49
	v_sub_f32_e32 v40, v40, v55
	v_exp_f32_e32 v49, v49
	v_mul_f32_e32 v40, 0x3fb8aa3b, v40
	v_sub_f32_e32 v41, v41, v55
	v_cndmask_b32_e64 v38, 0, v38, s[30:31]
	v_exp_f32_e32 v40, v40
	v_mul_f32_e32 v41, 0x3fb8aa3b, v41
	v_sub_f32_e32 v50, v50, v55
	v_add_f32_e32 v57, 0, v38
	v_cndmask_b32_e64 v39, 0, v39, s[34:35]
	v_exp_f32_e32 v41, v41
	v_mul_f32_e32 v50, 0x3fb8aa3b, v50
	v_sub_f32_e32 v51, v51, v55
	v_add_f32_e32 v57, v57, v39
	;; [unrolled: 5-line block ×10, first 2 shown]
	v_cndmask_b32_e64 v46, 0, v46, s[12:13]
	v_exp_f32_e32 v36, v36
	v_mul_f32_e32 v37, 0x3fb8aa3b, v37
	v_add_f32_e32 v57, v57, v46
	v_cndmask_b32_e64 v47, 0, v47, s[14:15]
	v_exp_f32_e32 v37, v37
	v_add_f32_e32 v57, v57, v47
	v_cndmask_b32_e64 v42, 0, v42, s[8:9]
	v_add_f32_e32 v57, v57, v42
	v_cndmask_b32_e64 v43, 0, v43, s[10:11]
	v_add_f32_e32 v57, v57, v43
	v_cndmask_b32_e32 v36, 0, v36, vcc
	v_add_f32_e32 v57, v57, v36
	v_cndmask_b32_e64 v37, 0, v37, s[2:3]
	v_add_f32_e32 v57, v57, v37
	ds_bpermute_b32 v56, v56, v57
	v_cmp_gt_u32_e32 vcc, 16, v52
	s_waitcnt lgkmcnt(0)
	s_barrier
	v_add_f32_e32 v57, v57, v56
	ds_bpermute_b32 v58, v58, v57
	v_lshlrev_b32_e32 v56, 2, v54
	s_and_saveexec_b64 s[2:3], vcc
	s_cbranch_execz .LBB93_15
; %bb.14:
	s_waitcnt lgkmcnt(0)
	v_add_f32_e32 v57, v57, v58
	v_lshl_or_b32 v58, v53, 6, v56
	ds_write2st64_b32 v58, v55, v57 offset1:1
.LBB93_15:
	s_or_b64 exec, exec, s[2:3]
	s_load_dword s8, s[4:5], 0x94
	s_waitcnt lgkmcnt(0)
	s_barrier
	ds_read2_b32 v[58:59], v56 offset1:16
	ds_read2_b32 v[60:61], v56 offset0:32 offset1:48
	ds_read2_b32 v[62:63], v56 offset0:64 offset1:80
	s_lshl_b32 s9, s42, 1
	s_waitcnt lgkmcnt(2)
	v_max3_f32 v55, v58, s43, v59
	s_waitcnt lgkmcnt(1)
	v_max3_f32 v55, v55, v60, v61
	v_sub_f32_e32 v57, v58, v55
	v_sub_f32_e32 v58, v59, v55
	v_mul_f32_e32 v58, 0x3fb8aa3b, v58
	v_mul_f32_e32 v57, 0x3fb8aa3b, v57
	v_exp_f32_e32 v64, v58
	v_sub_f32_e32 v58, v60, v55
	v_exp_f32_e32 v57, v57
	v_mul_f32_e32 v58, 0x3fb8aa3b, v58
	v_exp_f32_e32 v60, v58
	ds_read2_b32 v[58:59], v56 offset0:96 offset1:112
	v_sub_f32_e32 v56, v61, v55
	v_mul_f32_e32 v56, 0x3fb8aa3b, v56
	v_exp_f32_e32 v61, v56
	s_waitcnt lgkmcnt(1)
	v_fma_f32 v56, v57, v62, 0
	v_fmac_f32_e32 v56, v64, v63
	s_waitcnt lgkmcnt(0)
	v_fmac_f32_e32 v56, v60, v58
	v_fmac_f32_e32 v56, v61, v59
	v_add_f32_e32 v58, 0x358637bd, v56
	v_div_scale_f32 v59, s[2:3], v58, v58, 1.0
	v_rcp_f32_e32 v62, v59
	s_barrier
	v_fma_f32 v63, -v59, v62, 1.0
	v_fmac_f32_e32 v62, v63, v62
	v_div_scale_f32 v63, vcc, 1.0, v58, 1.0
	v_mul_f32_e32 v65, v63, v62
	v_fma_f32 v66, -v59, v65, v63
	v_fmac_f32_e32 v65, v66, v62
	v_fma_f32 v59, -v59, v65, v63
	v_div_fmas_f32 v59, v59, v62, v65
	v_cmp_eq_u32_e32 vcc, 1, v53
	v_cndmask_b32_e32 v57, v57, v64, vcc
	v_cmp_eq_u32_e32 vcc, 2, v53
	v_cndmask_b32_e32 v57, v57, v60, vcc
	v_cmp_eq_u32_e32 vcc, 3, v53
	v_div_fixup_f32 v58, v59, v58, 1.0
	v_cndmask_b32_e32 v57, v57, v61, vcc
	v_mul_f32_e32 v58, v57, v58
	v_pk_mul_f32 v[38:39], v[58:59], v[38:39] op_sel_hi:[0,1]
	v_pk_mul_f32 v[48:49], v[58:59], v[48:49] op_sel_hi:[0,1]
	v_cvt_f16_f32_e32 v38, v38
	v_cvt_f16_f32_e32 v39, v39
	v_pk_mul_f32 v[50:51], v[58:59], v[50:51] op_sel_hi:[0,1]
	v_pk_mul_f32 v[40:41], v[58:59], v[40:41] op_sel_hi:[0,1]
	v_cvt_f16_f32_e32 v57, v48
	v_cvt_f16_f32_e32 v49, v49
	;; [unrolled: 1-line block ×6, first 2 shown]
	v_pack_b32_f16 v48, v38, v39
	v_lshlrev_b32_e32 v38, 3, v1
	v_lshlrev_b32_e32 v39, 5, v54
	;; [unrolled: 1-line block ×3, first 2 shown]
	v_pack_b32_f16 v49, v57, v49
	v_or3_b32 v38, v53, v39, v38
	v_pack_b32_f16 v40, v40, v41
	v_pack_b32_f16 v41, v50, v51
	ds_write2st64_b64 v38, v[48:49], v[40:41] offset1:1
	v_pk_mul_f32 v[40:41], v[58:59], v[46:47] op_sel_hi:[0,1]
	v_pk_mul_f32 v[44:45], v[58:59], v[44:45] op_sel_hi:[0,1]
	v_cvt_f16_f32_e32 v46, v40
	v_cvt_f16_f32_e32 v47, v41
	v_pk_mul_f32 v[36:37], v[58:59], v[36:37] op_sel_hi:[0,1]
	v_pk_mul_f32 v[40:41], v[58:59], v[42:43] op_sel_hi:[0,1]
	v_cvt_f16_f32_e32 v44, v44
	v_cvt_f16_f32_e32 v45, v45
	;; [unrolled: 1-line block ×6, first 2 shown]
	v_pack_b32_f16 v36, v44, v45
	v_pack_b32_f16 v37, v46, v47
	;; [unrolled: 1-line block ×4, first 2 shown]
	v_cmp_gt_u32_e32 vcc, 2, v0
	ds_write2st64_b64 v38, v[36:37], v[40:41] offset0:2 offset1:3
	s_and_saveexec_b64 s[2:3], vcc
	s_cbranch_execz .LBB93_17
; %bb.16:
	v_or_b32_e32 v36, s29, v0
	v_mov_b32_e32 v37, 0
	v_mov_b32_e32 v40, s9
	v_mad_u64_u32 v[40:41], s[10:11], s6, v40, v[36:37]
	v_mov_b32_e32 v36, s28
	s_load_dwordx4 s[12:15], s[4:5], 0x58
	s_mul_i32 s7, s7, s9
	v_mad_u64_u32 v[36:37], s[10:11], v40, s8, v[36:37]
	v_add_u32_e32 v41, s7, v41
	v_mov_b32_e32 v40, v37
	v_mad_u64_u32 v[40:41], s[10:11], v41, s8, v[40:41]
	v_mov_b32_e32 v37, v40
	v_lshlrev_b64 v[36:37], 2, v[36:37]
	s_waitcnt lgkmcnt(0)
	v_mov_b32_e32 v41, s15
	v_add_co_u32_e32 v40, vcc, s14, v36
	v_addc_co_u32_e32 v41, vcc, v41, v37, vcc
	global_store_dword v[40:41], v55, off
	v_mov_b32_e32 v40, s13
	v_add_co_u32_e32 v36, vcc, s12, v36
	v_addc_co_u32_e32 v37, vcc, v40, v37, vcc
	global_store_dword v[36:37], v56, off
.LBB93_17:
	s_or_b64 exec, exec, s[2:3]
	v_lshl_or_b32 v36, v1, 9, v39
	s_waitcnt lgkmcnt(0)
	s_barrier
	ds_read_b128 v[40:43], v36
	ds_read_b128 v[44:47], v36 offset:16
	s_waitcnt vmcnt(7) lgkmcnt(1)
	v_mfma_f32_16x16x16f16 v[48:51], v[14:15], v[40:41], 0
	v_cmp_gt_u32_e32 vcc, 64, v0
	v_cmp_gt_u32_e64 s[2:3], 32, v52
	s_and_b64 s[2:3], s[2:3], vcc
	s_mov_b32 s7, 0
	s_and_b64 s[0:1], s[2:3], s[0:1]
	v_mfma_f32_16x16x16f16 v[14:17], v[16:17], v[42:43], v[48:51]
	s_waitcnt vmcnt(6) lgkmcnt(0)
	v_mfma_f32_16x16x16f16 v[14:17], v[10:11], v[44:45], v[14:17]
	v_mfma_f32_16x16x16f16 v[10:13], v[12:13], v[46:47], v[14:17]
	s_nop 7
	s_nop 1
	ds_read_b128 v[14:17], v36 offset:2048
	ds_read_b128 v[40:43], v36 offset:2064
	s_waitcnt vmcnt(5) lgkmcnt(1)
	v_mfma_f32_16x16x16f16 v[10:13], v[6:7], v[14:15], v[10:13]
	v_mfma_f32_16x16x16f16 v[6:9], v[8:9], v[16:17], v[10:13]
	s_waitcnt vmcnt(4) lgkmcnt(0)
	v_mfma_f32_16x16x16f16 v[6:9], v[2:3], v[40:41], v[6:9]
	v_mfma_f32_16x16x16f16 v[2:5], v[4:5], v[42:43], v[6:9]
	s_nop 7
	s_nop 1
	ds_read_b128 v[6:9], v36 offset:4096
	ds_read_b128 v[10:13], v36 offset:4112
	s_waitcnt vmcnt(3) lgkmcnt(1)
	v_mfma_f32_16x16x16f16 v[2:5], v[30:31], v[6:7], v[2:5]
	v_mfma_f32_16x16x16f16 v[2:5], v[32:33], v[8:9], v[2:5]
	s_waitcnt vmcnt(2) lgkmcnt(0)
	v_mfma_f32_16x16x16f16 v[2:5], v[22:23], v[10:11], v[2:5]
	v_mfma_f32_16x16x16f16 v[2:5], v[24:25], v[12:13], v[2:5]
	ds_read_b128 v[6:9], v36 offset:6144
	ds_read_b128 v[10:13], v36 offset:6160
	s_waitcnt lgkmcnt(0)
	s_barrier
	s_waitcnt vmcnt(1)
	v_mfma_f32_16x16x16f16 v[2:5], v[26:27], v[6:7], v[2:5]
	v_mfma_f32_16x16x16f16 v[2:5], v[28:29], v[8:9], v[2:5]
	s_waitcnt vmcnt(0)
	v_mfma_f32_16x16x16f16 v[2:5], v[18:19], v[10:11], v[2:5]
	v_mfma_f32_16x16x16f16 v[2:5], v[20:21], v[12:13], v[2:5]
	s_nop 7
	s_nop 2
	v_cvt_f16_f32_e32 v2, v2
	v_cvt_f16_f32_e32 v3, v3
	;; [unrolled: 1-line block ×4, first 2 shown]
	v_pack_b32_f16 v2, v2, v3
	v_pack_b32_f16 v3, v4, v5
	ds_write_b64 v38, v[2:3]
	s_waitcnt lgkmcnt(0)
	s_barrier
	s_and_saveexec_b64 s[2:3], s[0:1]
	s_cbranch_execz .LBB93_19
; %bb.18:
	s_load_dwordx2 s[0:1], s[4:5], 0x68
	s_mul_i32 s2, s9, s6
	s_lshl_b32 s4, s8, 6
	s_mul_hi_u32 s3, s2, s4
	s_mul_i32 s2, s2, s4
	s_lshl_b64 s[2:3], s[2:3], 1
	v_lshlrev_b32_e32 v2, 10, v0
	v_lshlrev_b32_e32 v0, 4, v0
	s_waitcnt lgkmcnt(0)
	s_add_u32 s2, s0, s2
	v_and_b32_e32 v2, 0x1800, v2
	v_lshlrev_b32_e32 v3, 5, v1
	v_and_b32_e32 v0, 16, v0
	s_addc_u32 s3, s1, s3
	s_lshl_b32 s6, s28, 6
	v_or3_b32 v0, v2, v3, v0
	s_lshl_b64 s[0:1], s[6:7], 1
	ds_read_b128 v[2:5], v0
	s_add_u32 s2, s2, s0
	v_or_b32_e32 v0, s29, v1
	s_addc_u32 s3, s3, s1
	v_mad_u64_u32 v[0:1], s[0:1], s4, v0, 0
	v_lshlrev_b64 v[0:1], 1, v[0:1]
	v_mov_b32_e32 v6, s3
	v_add_co_u32_e32 v0, vcc, s2, v0
	v_addc_co_u32_e32 v1, vcc, v6, v1, vcc
	v_add_co_u32_e32 v0, vcc, v0, v34
	v_addc_co_u32_e32 v1, vcc, v1, v35, vcc
	s_waitcnt lgkmcnt(0)
	global_store_dwordx4 v[0:1], v[2:5], off
.LBB93_19:
	s_endpgm
	.section	.rodata,"a",@progbits
	.p2align	6, 0x0
	.amdhsa_kernel _Z39paged_attention_ll4mi_QKV_mfma16_kernelIDF16_DF16_LN4vllm18Fp8KVCacheDataTypeE0EDF16_Li32ELi64ELi256ELb0ELi2EL8MFMAType0EEvPKT_PKT0_S8_ifPKiSA_SA_iPKfiiiPfSD_PS3_PT2_iSC_SC_
		.amdhsa_group_segment_fixed_size 8192
		.amdhsa_private_segment_fixed_size 0
		.amdhsa_kernarg_size 400
		.amdhsa_user_sgpr_count 6
		.amdhsa_user_sgpr_private_segment_buffer 1
		.amdhsa_user_sgpr_dispatch_ptr 0
		.amdhsa_user_sgpr_queue_ptr 0
		.amdhsa_user_sgpr_kernarg_segment_ptr 1
		.amdhsa_user_sgpr_dispatch_id 0
		.amdhsa_user_sgpr_flat_scratch_init 0
		.amdhsa_user_sgpr_kernarg_preload_length 0
		.amdhsa_user_sgpr_kernarg_preload_offset 0
		.amdhsa_user_sgpr_private_segment_size 0
		.amdhsa_uses_dynamic_stack 0
		.amdhsa_system_sgpr_private_segment_wavefront_offset 0
		.amdhsa_system_sgpr_workgroup_id_x 1
		.amdhsa_system_sgpr_workgroup_id_y 1
		.amdhsa_system_sgpr_workgroup_id_z 1
		.amdhsa_system_sgpr_workgroup_info 0
		.amdhsa_system_vgpr_workitem_id 0
		.amdhsa_next_free_vgpr 67
		.amdhsa_next_free_sgpr 48
		.amdhsa_accum_offset 68
		.amdhsa_reserve_vcc 1
		.amdhsa_reserve_flat_scratch 0
		.amdhsa_float_round_mode_32 0
		.amdhsa_float_round_mode_16_64 0
		.amdhsa_float_denorm_mode_32 3
		.amdhsa_float_denorm_mode_16_64 3
		.amdhsa_dx10_clamp 1
		.amdhsa_ieee_mode 1
		.amdhsa_fp16_overflow 0
		.amdhsa_tg_split 0
		.amdhsa_exception_fp_ieee_invalid_op 0
		.amdhsa_exception_fp_denorm_src 0
		.amdhsa_exception_fp_ieee_div_zero 0
		.amdhsa_exception_fp_ieee_overflow 0
		.amdhsa_exception_fp_ieee_underflow 0
		.amdhsa_exception_fp_ieee_inexact 0
		.amdhsa_exception_int_div_zero 0
	.end_amdhsa_kernel
	.section	.text._Z39paged_attention_ll4mi_QKV_mfma16_kernelIDF16_DF16_LN4vllm18Fp8KVCacheDataTypeE0EDF16_Li32ELi64ELi256ELb0ELi2EL8MFMAType0EEvPKT_PKT0_S8_ifPKiSA_SA_iPKfiiiPfSD_PS3_PT2_iSC_SC_,"axG",@progbits,_Z39paged_attention_ll4mi_QKV_mfma16_kernelIDF16_DF16_LN4vllm18Fp8KVCacheDataTypeE0EDF16_Li32ELi64ELi256ELb0ELi2EL8MFMAType0EEvPKT_PKT0_S8_ifPKiSA_SA_iPKfiiiPfSD_PS3_PT2_iSC_SC_,comdat
.Lfunc_end93:
	.size	_Z39paged_attention_ll4mi_QKV_mfma16_kernelIDF16_DF16_LN4vllm18Fp8KVCacheDataTypeE0EDF16_Li32ELi64ELi256ELb0ELi2EL8MFMAType0EEvPKT_PKT0_S8_ifPKiSA_SA_iPKfiiiPfSD_PS3_PT2_iSC_SC_, .Lfunc_end93-_Z39paged_attention_ll4mi_QKV_mfma16_kernelIDF16_DF16_LN4vllm18Fp8KVCacheDataTypeE0EDF16_Li32ELi64ELi256ELb0ELi2EL8MFMAType0EEvPKT_PKT0_S8_ifPKiSA_SA_iPKfiiiPfSD_PS3_PT2_iSC_SC_
                                        ; -- End function
	.section	.AMDGPU.csdata,"",@progbits
; Kernel info:
; codeLenInByte = 3996
; NumSgprs: 52
; NumVgprs: 67
; NumAgprs: 0
; TotalNumVgprs: 67
; ScratchSize: 0
; MemoryBound: 0
; FloatMode: 240
; IeeeMode: 1
; LDSByteSize: 8192 bytes/workgroup (compile time only)
; SGPRBlocks: 6
; VGPRBlocks: 8
; NumSGPRsForWavesPerEU: 52
; NumVGPRsForWavesPerEU: 67
; AccumOffset: 68
; Occupancy: 7
; WaveLimiterHint : 1
; COMPUTE_PGM_RSRC2:SCRATCH_EN: 0
; COMPUTE_PGM_RSRC2:USER_SGPR: 6
; COMPUTE_PGM_RSRC2:TRAP_HANDLER: 0
; COMPUTE_PGM_RSRC2:TGID_X_EN: 1
; COMPUTE_PGM_RSRC2:TGID_Y_EN: 1
; COMPUTE_PGM_RSRC2:TGID_Z_EN: 1
; COMPUTE_PGM_RSRC2:TIDIG_COMP_CNT: 0
; COMPUTE_PGM_RSRC3_GFX90A:ACCUM_OFFSET: 16
; COMPUTE_PGM_RSRC3_GFX90A:TG_SPLIT: 0
	.section	.text._Z39paged_attention_ll4mi_QKV_mfma16_kernelIDF16_DF16_LN4vllm18Fp8KVCacheDataTypeE0EDF16_Li32ELi64ELi256ELb0ELi3EL8MFMAType0EEvPKT_PKT0_S8_ifPKiSA_SA_iPKfiiiPfSD_PS3_PT2_iSC_SC_,"axG",@progbits,_Z39paged_attention_ll4mi_QKV_mfma16_kernelIDF16_DF16_LN4vllm18Fp8KVCacheDataTypeE0EDF16_Li32ELi64ELi256ELb0ELi3EL8MFMAType0EEvPKT_PKT0_S8_ifPKiSA_SA_iPKfiiiPfSD_PS3_PT2_iSC_SC_,comdat
	.protected	_Z39paged_attention_ll4mi_QKV_mfma16_kernelIDF16_DF16_LN4vllm18Fp8KVCacheDataTypeE0EDF16_Li32ELi64ELi256ELb0ELi3EL8MFMAType0EEvPKT_PKT0_S8_ifPKiSA_SA_iPKfiiiPfSD_PS3_PT2_iSC_SC_ ; -- Begin function _Z39paged_attention_ll4mi_QKV_mfma16_kernelIDF16_DF16_LN4vllm18Fp8KVCacheDataTypeE0EDF16_Li32ELi64ELi256ELb0ELi3EL8MFMAType0EEvPKT_PKT0_S8_ifPKiSA_SA_iPKfiiiPfSD_PS3_PT2_iSC_SC_
	.globl	_Z39paged_attention_ll4mi_QKV_mfma16_kernelIDF16_DF16_LN4vllm18Fp8KVCacheDataTypeE0EDF16_Li32ELi64ELi256ELb0ELi3EL8MFMAType0EEvPKT_PKT0_S8_ifPKiSA_SA_iPKfiiiPfSD_PS3_PT2_iSC_SC_
	.p2align	8
	.type	_Z39paged_attention_ll4mi_QKV_mfma16_kernelIDF16_DF16_LN4vllm18Fp8KVCacheDataTypeE0EDF16_Li32ELi64ELi256ELb0ELi3EL8MFMAType0EEvPKT_PKT0_S8_ifPKiSA_SA_iPKfiiiPfSD_PS3_PT2_iSC_SC_,@function
_Z39paged_attention_ll4mi_QKV_mfma16_kernelIDF16_DF16_LN4vllm18Fp8KVCacheDataTypeE0EDF16_Li32ELi64ELi256ELb0ELi3EL8MFMAType0EEvPKT_PKT0_S8_ifPKiSA_SA_iPKfiiiPfSD_PS3_PT2_iSC_SC_: ; @_Z39paged_attention_ll4mi_QKV_mfma16_kernelIDF16_DF16_LN4vllm18Fp8KVCacheDataTypeE0EDF16_Li32ELi64ELi256ELb0ELi3EL8MFMAType0EEvPKT_PKT0_S8_ifPKiSA_SA_iPKfiiiPfSD_PS3_PT2_iSC_SC_
; %bb.0:
	s_load_dwordx2 s[0:1], s[4:5], 0x30
	s_mov_b32 s28, s7
	s_mov_b64 s[10:11], 0
	s_waitcnt lgkmcnt(0)
	s_cmp_lg_u64 s[0:1], 0
	s_cselect_b64 s[2:3], -1, 0
	s_and_b64 vcc, exec, s[2:3]
	s_cbranch_vccz .LBB94_7
; %bb.1:
	s_add_i32 s12, s6, 1
	s_mov_b32 s13, 0
	s_lshl_b64 s[14:15], s[12:13], 2
	s_add_u32 s14, s0, s14
	s_mov_b32 s7, s13
	s_addc_u32 s15, s1, s15
	s_lshl_b64 s[12:13], s[6:7], 2
	s_add_u32 s12, s0, s12
	s_addc_u32 s13, s1, s13
	s_load_dword s9, s[14:15], 0x0
	s_load_dword s16, s[12:13], 0x0
	s_waitcnt lgkmcnt(0)
	s_sub_i32 s9, s9, s16
	s_cmp_eq_u32 s9, 1
	s_cselect_b64 s[12:13], -1, 0
	s_andn2_b64 vcc, exec, s[10:11]
	s_cbranch_vccnz .LBB94_3
.LBB94_2:
	s_mov_b32 s7, 0
	s_mov_b64 s[12:13], -1
.LBB94_3:
	s_andn2_b64 vcc, exec, s[12:13]
	s_cbranch_vccnz .LBB94_19
; %bb.4:
	s_load_dwordx2 s[12:13], s[4:5], 0x28
	s_lshl_b64 s[10:11], s[6:7], 2
	s_waitcnt lgkmcnt(0)
	s_add_u32 s12, s12, s10
	s_addc_u32 s13, s13, s11
	s_load_dword s33, s[12:13], 0x0
	s_lshl_b32 s16, s28, 8
	s_waitcnt lgkmcnt(0)
	s_cmp_ge_i32 s16, s33
	s_cbranch_scc1 .LBB94_19
; %bb.5:
	s_add_i32 s14, s33, 31
	s_load_dwordx2 s[12:13], s[4:5], 0x20
	s_load_dword s9, s[4:5], 0x38
	s_ashr_i32 s15, s14, 31
	v_and_b32_e32 v1, 0xcf, v0
	s_lshr_b32 s15, s15, 27
	v_add_u32_e32 v1, s16, v1
	s_add_i32 s14, s14, s15
	v_ashrrev_i32_e32 v2, 31, v1
	s_ashr_i32 s19, s14, 5
	v_lshrrev_b32_e32 v6, 27, v2
	s_add_i32 s19, s19, -1
	v_add_u32_e32 v2, v1, v6
	s_waitcnt lgkmcnt(0)
	s_mul_i32 s14, s6, s9
	s_mov_b32 s15, 0
	v_ashrrev_i32_e32 v2, 5, v2
	v_mov_b32_e32 v7, s19
	v_cmp_gt_i32_e32 vcc, s33, v1
	s_lshl_b64 s[14:15], s[14:15], 2
	v_cndmask_b32_e32 v2, v7, v2, vcc
	s_add_u32 s17, s12, s14
	v_ashrrev_i32_e32 v3, 31, v2
	s_addc_u32 s18, s13, s15
	v_lshlrev_b64 v[2:3], 2, v[2:3]
	v_mov_b32_e32 v4, s18
	v_add_co_u32_e32 v2, vcc, s17, v2
	v_addc_co_u32_e32 v3, vcc, v4, v3, vcc
	v_or_b32_e32 v4, 16, v1
	v_add_u32_e32 v5, v4, v6
	v_ashrrev_i32_e32 v5, 5, v5
	v_cmp_gt_i32_e32 vcc, s33, v4
	v_cndmask_b32_e32 v4, v7, v5, vcc
	v_ashrrev_i32_e32 v5, 31, v4
	v_lshlrev_b64 v[4:5], 2, v[4:5]
	v_mov_b32_e32 v9, s18
	v_add_co_u32_e32 v8, vcc, s17, v4
	v_or_b32_e32 v4, 32, v1
	v_addc_co_u32_e32 v9, vcc, v9, v5, vcc
	v_add_u32_e32 v5, v4, v6
	v_ashrrev_i32_e32 v5, 5, v5
	v_cmp_gt_i32_e32 vcc, s33, v4
	v_cndmask_b32_e32 v4, v7, v5, vcc
	v_ashrrev_i32_e32 v5, 31, v4
	v_lshlrev_b64 v[4:5], 2, v[4:5]
	v_mov_b32_e32 v11, s18
	v_add_co_u32_e32 v10, vcc, s17, v4
	v_or_b32_e32 v1, 48, v1
	v_addc_co_u32_e32 v11, vcc, v11, v5, vcc
	v_add_u32_e32 v4, v1, v6
	v_ashrrev_i32_e32 v4, 5, v4
	v_cmp_gt_i32_e32 vcc, s33, v1
	v_cndmask_b32_e32 v4, v7, v4, vcc
	v_ashrrev_i32_e32 v5, 31, v4
	v_lshlrev_b64 v[4:5], 2, v[4:5]
	v_mov_b32_e32 v1, s18
	v_add_co_u32_e32 v12, vcc, s17, v4
	v_addc_co_u32_e32 v13, vcc, v1, v5, vcc
	global_load_dword v4, v[2:3], off
	global_load_dword v6, v[8:9], off
	;; [unrolled: 1-line block ×4, first 2 shown]
	s_andn2_b64 vcc, exec, s[2:3]
	s_cbranch_vccnz .LBB94_8
; %bb.6:
	s_add_u32 s0, s0, s10
	s_addc_u32 s1, s1, s11
	s_load_dword s9, s[0:1], 0x0
	s_branch .LBB94_9
.LBB94_7:
	s_mov_b64 s[12:13], 0
	s_branch .LBB94_2
.LBB94_8:
	s_mov_b32 s9, s6
.LBB94_9:
	s_load_dwordx4 s[12:15], s[4:5], 0x8
	s_load_dwordx4 s[44:47], s[4:5], 0x48
	v_lshrrev_b32_e32 v54, 6, v0
	v_bfe_u32 v1, v0, 4, 2
	v_lshl_or_b32 v5, v54, 2, v1
	v_and_b32_e32 v53, 15, v0
	v_cmp_lt_u32_e32 vcc, 2, v5
	v_cmp_lt_u32_e64 s[2:3], 7, v53
	s_mul_i32 s29, s8, 3
	v_lshlrev_b32_e32 v2, 3, v53
	v_cmp_gt_u32_e64 s[0:1], 8, v53
	s_or_b64 s[2:3], s[2:3], vcc
	s_and_saveexec_b64 s[10:11], s[2:3]
	s_xor_b64 s[2:3], exec, s[10:11]
; %bb.10:
	v_mov_b32_e32 v3, 0
                                        ; implicit-def: $vgpr5
; %bb.11:
	s_or_saveexec_b64 s[2:3], s[2:3]
	v_and_b32_e32 v55, 63, v0
	v_add_u32_e32 v52, s29, v1
	s_xor_b64 exec, exec, s[2:3]
	s_cbranch_execz .LBB94_13
; %bb.12:
	s_load_dwordx2 s[10:11], s[4:5], 0x0
	s_waitcnt lgkmcnt(0)
	s_ashr_i32 s20, s44, 31
	s_mul_hi_u32 s21, s9, s44
	s_mul_i32 s20, s9, s20
	s_add_i32 s21, s21, s20
	s_mul_i32 s20, s9, s44
	s_lshl_b64 s[20:21], s[20:21], 1
	v_lshlrev_b32_e32 v8, 6, v52
	s_add_u32 s9, s10, s20
	v_ashrrev_i32_e32 v9, 31, v8
	s_addc_u32 s10, s11, s21
	v_lshlrev_b64 v[8:9], 1, v[8:9]
	v_mov_b32_e32 v3, s10
	v_add_co_u32_e32 v7, vcc, s9, v8
	v_addc_co_u32_e32 v3, vcc, v3, v9, vcc
	v_lshlrev_b32_e32 v8, 1, v2
	v_add_co_u32_e32 v8, vcc, v7, v8
	v_addc_co_u32_e32 v9, vcc, 0, v3, vcc
	global_load_dwordx4 v[8:11], v[8:9], off
	v_and_b32_e32 v7, 3, v0
	v_lshlrev_b32_e32 v12, 9, v53
	v_lshlrev_b32_e32 v5, 5, v5
	;; [unrolled: 1-line block ×3, first 2 shown]
	v_and_b32_e32 v12, 0x1800, v12
	v_mov_b32_e32 v3, 0
	v_or3_b32 v5, v12, v7, v5
	s_waitcnt vmcnt(0)
	ds_write_b128 v5, v[8:11]
.LBB94_13:
	s_or_b64 exec, exec, s[2:3]
	s_waitcnt lgkmcnt(0)
	s_mul_i32 s8, s8, s46
	s_mov_b32 s9, 0
	s_lshl_b64 s[8:9], s[8:9], 1
	s_add_u32 s3, s12, s8
	s_waitcnt vmcnt(3)
	v_mad_i64_i32 v[4:5], s[10:11], v4, s45, 0
	s_addc_u32 s12, s13, s9
	v_lshlrev_b64 v[4:5], 1, v[4:5]
	v_mov_b32_e32 v7, s12
	v_add_co_u32_e32 v4, vcc, s3, v4
	v_addc_co_u32_e32 v5, vcc, v7, v5, vcc
	v_lshlrev_b64 v[34:35], 1, v[2:3]
	v_add_co_u32_e32 v2, vcc, v4, v34
	v_lshlrev_b32_e32 v28, 9, v1
	v_addc_co_u32_e32 v3, vcc, v5, v35, vcc
	v_add_co_u32_e32 v8, vcc, v2, v28
	s_waitcnt vmcnt(2)
	v_mad_i64_i32 v[6:7], s[10:11], v6, s45, 0
	v_addc_co_u32_e32 v9, vcc, 0, v3, vcc
	v_lshlrev_b64 v[6:7], 1, v[6:7]
	s_load_dword s42, s[4:5], 0x98
	s_load_dword s2, s[4:5], 0x1c
	s_waitcnt lgkmcnt(0)
	s_barrier
	global_load_dwordx4 v[2:5], v[8:9], off
	v_mov_b32_e32 v10, s12
	v_add_co_u32_e32 v6, vcc, s3, v6
	v_addc_co_u32_e32 v7, vcc, v10, v7, vcc
	v_mov_b32_e32 v10, 0x100
	v_lshl_or_b32 v29, v53, 4, v10
	v_add_co_u32_e32 v6, vcc, v6, v29
	v_addc_co_u32_e32 v7, vcc, 0, v7, vcc
	v_add_co_u32_e32 v6, vcc, v6, v28
	v_addc_co_u32_e32 v7, vcc, 0, v7, vcc
	global_load_dwordx4 v[10:13], v[6:7], off
	global_load_dwordx4 v[14:17], v[8:9], off offset:2048
	s_waitcnt vmcnt(4)
	v_mad_i64_i32 v[20:21], s[10:11], v19, s45, 0
	global_load_dwordx4 v[6:9], v[6:7], off offset:2048
	v_lshlrev_b64 v[32:33], 1, v[20:21]
	v_mov_b32_e32 v36, s12
	v_add_co_u32_e32 v32, vcc, s3, v32
	v_mul_lo_u16_e32 v22, 0x56, v53
	v_mov_b32_e32 v23, 3
	v_addc_co_u32_e32 v33, vcc, v36, v33, vcc
	s_waitcnt vmcnt(4)
	v_mad_i64_i32 v[18:19], s[10:11], v18, s45, 0
	v_mul_lo_u16_sdwa v22, v22, v23 dst_sel:DWORD dst_unused:UNUSED_PAD src0_sel:BYTE_1 src1_sel:DWORD
	v_add_co_u32_e32 v32, vcc, v32, v34
	v_lshlrev_b64 v[26:27], 1, v[18:19]
	v_sub_u16_e32 v18, v53, v22
	v_addc_co_u32_e32 v33, vcc, v33, v35, vcc
	v_and_b32_e32 v18, 0xff, v18
	v_add_co_u32_e32 v32, vcc, v32, v28
	v_lshl_add_u32 v18, v18, 5, v28
	v_addc_co_u32_e32 v33, vcc, 0, v33, vcc
	ds_read_b128 v[22:25], v18
	ds_read_b128 v[18:21], v18 offset:2048
	global_load_dwordx4 v[40:43], v[32:33], off
	v_mov_b32_e32 v44, s12
	s_ashr_i32 s10, s16, 31
	v_and_or_b32 v31, v0, 48, s16
	s_lshr_b32 s10, s10, 27
	v_mov_b32_e32 v30, s19
	v_mov_b32_e32 v50, s18
	v_or_b32_e32 v51, 64, v31
	v_add_u32_e32 v64, s10, v51
	s_mov_b32 s43, 0xff7fffff
	s_waitcnt vmcnt(4) lgkmcnt(1)
	v_mfma_f32_16x16x16f16 v[36:39], v[2:3], v[22:23], 0
	v_add_co_u32_e32 v2, vcc, s3, v26
	v_addc_co_u32_e32 v3, vcc, v44, v27, vcc
	s_add_u32 s3, s14, s8
	s_addc_u32 s8, s15, s9
	s_waitcnt vmcnt(3)
	v_mfma_f32_16x16x16f16 v[44:47], v[10:11], v[22:23], 0
	v_add_co_u32_e32 v11, vcc, v2, v29
	v_add_u32_e32 v10, s10, v31
	v_addc_co_u32_e32 v26, vcc, 0, v3, vcc
	v_ashrrev_i32_e32 v27, 5, v10
	v_add_co_u32_e32 v10, vcc, v11, v28
	v_addc_co_u32_e32 v11, vcc, 0, v26, vcc
	v_cmp_gt_i32_e32 vcc, s33, v31
	v_cndmask_b32_e32 v48, v30, v27, vcc
	global_load_dwordx4 v[26:29], v[32:33], off offset:2048
	v_mfma_f32_16x16x16f16 v[2:5], v[4:5], v[24:25], v[36:39]
	v_ashrrev_i32_e32 v49, 31, v48
	s_nop 5
	global_load_dwordx4 v[36:39], v[10:11], off
	global_load_dwordx4 v[56:59], v[10:11], off offset:2048
	v_lshlrev_b64 v[10:11], 2, v[48:49]
	v_add_co_u32_e32 v10, vcc, s17, v10
	v_addc_co_u32_e32 v11, vcc, v50, v11, vcc
	s_waitcnt vmcnt(5) lgkmcnt(0)
	v_mfma_f32_16x16x16f16 v[2:5], v[14:15], v[18:19], v[2:5]
	global_load_dword v14, v[10:11], off
	v_cmp_gt_i32_e32 vcc, s33, v51
	v_mov_b32_e32 v15, s18
	v_mfma_f32_16x16x16f16 v[60:63], v[16:17], v[20:21], v[2:5]
	s_nop 6
	v_ashrrev_i32_e32 v2, 5, v64
	v_cndmask_b32_e32 v2, v30, v2, vcc
	v_ashrrev_i32_e32 v3, 31, v2
	v_lshlrev_b64 v[10:11], 2, v[2:3]
	v_mfma_f32_16x16x16f16 v[2:5], v[12:13], v[24:25], v[44:47]
	v_add_co_u32_e32 v10, vcc, s17, v10
	v_addc_co_u32_e32 v11, vcc, v15, v11, vcc
	global_load_dword v32, v[10:11], off
	v_or_b32_e32 v10, 0x80, v31
	v_add_u32_e32 v11, s10, v10
	v_ashrrev_i32_e32 v11, 5, v11
	v_cmp_gt_i32_e32 vcc, s33, v10
	s_waitcnt vmcnt(6)
	v_mfma_f32_16x16x16f16 v[2:5], v[6:7], v[18:19], v[2:5]
	v_cndmask_b32_e32 v10, v30, v11, vcc
	v_ashrrev_i32_e32 v11, 31, v10
	v_lshlrev_b64 v[6:7], 2, v[10:11]
	v_mov_b32_e32 v10, s18
	v_add_co_u32_e32 v6, vcc, s17, v6
	v_addc_co_u32_e32 v7, vcc, v10, v7, vcc
	global_load_dword v33, v[6:7], off
	v_mfma_f32_16x16x16f16 v[44:47], v[8:9], v[20:21], v[2:5]
	v_or_b32_e32 v6, 0xc0, v31
	v_add_u32_e32 v7, s10, v6
	v_ashrrev_i32_e32 v7, 5, v7
	v_cmp_gt_i32_e32 vcc, s33, v6
	v_cndmask_b32_e32 v6, v30, v7, vcc
	v_ashrrev_i32_e32 v7, 31, v6
	v_lshlrev_b64 v[6:7], 2, v[6:7]
	s_waitcnt vmcnt(6)
	v_mfma_f32_16x16x16f16 v[2:5], v[40:41], v[22:23], 0
	v_mov_b32_e32 v8, s18
	v_add_co_u32_e32 v6, vcc, s17, v6
	v_addc_co_u32_e32 v7, vcc, v8, v7, vcc
	global_load_dword v64, v[6:7], off
	v_and_b32_e32 v6, 16, v0
	v_mfma_f32_16x16x16f16 v[2:5], v[42:43], v[24:25], v[2:5]
	v_lshlrev_b32_e32 v6, 1, v6
	v_mov_b32_e32 v7, s8
	v_add_co_u32_e32 v6, vcc, s3, v6
	v_lshlrev_b32_e32 v8, 6, v53
	v_addc_co_u32_e32 v7, vcc, 0, v7, vcc
	s_waitcnt vmcnt(6)
	v_mfma_f32_16x16x16f16 v[2:5], v[26:27], v[18:19], v[2:5]
	v_lshl_or_b32 v8, v54, 10, v8
	v_add_co_u32_e32 v65, vcc, v6, v8
	v_addc_co_u32_e32 v66, vcc, 0, v7, vcc
	v_pk_mul_f32 v[48:49], s[2:3], v[62:63] op_sel_hi:[0,1]
	v_pk_mul_f32 v[40:41], s[2:3], v[44:45] op_sel_hi:[0,1]
	v_mfma_f32_16x16x16f16 v[26:29], v[28:29], v[20:21], v[2:5]
	v_pk_mul_f32 v[50:51], s[2:3], v[46:47] op_sel_hi:[0,1]
	s_waitcnt vmcnt(1)
	v_mad_i64_i32 v[30:31], s[8:9], v33, s45, 0
	s_nop 3
	v_mad_i64_i32 v[2:3], s[8:9], v14, s45, 0
	v_lshlrev_b64 v[6:7], 1, v[2:3]
	v_mfma_f32_16x16x16f16 v[2:5], v[36:37], v[22:23], 0
	s_nop 0
	v_pk_mul_f32 v[44:45], s[2:3], v[26:27] op_sel_hi:[0,1]
	v_add_co_u32_e32 v6, vcc, v65, v6
	v_addc_co_u32_e32 v7, vcc, v66, v7, vcc
	global_load_dwordx4 v[14:17], v[6:7], off
	global_load_dwordx4 v[10:13], v[6:7], off offset:16
	v_mad_i64_i32 v[6:7], s[8:9], v32, s45, 0
	v_mfma_f32_16x16x16f16 v[22:25], v[38:39], v[24:25], v[2:5]
	v_pk_mul_f32 v[46:47], s[2:3], v[28:29] op_sel_hi:[0,1]
	v_lshlrev_b64 v[6:7], 1, v[6:7]
	v_lshlrev_b64 v[30:31], 1, v[30:31]
	v_mfma_f32_16x16x16f16 v[22:25], v[56:57], v[18:19], v[22:25]
	v_pk_mul_f32 v[18:19], s[2:3], v[60:61] op_sel_hi:[0,1]
	s_nop 1
	v_add_co_u32_e32 v2, vcc, v65, v6
	v_addc_co_u32_e32 v3, vcc, v66, v7, vcc
	v_add_co_u32_e32 v38, vcc, v65, v30
	v_mfma_f32_16x16x16f16 v[20:23], v[58:59], v[20:21], v[22:25]
	v_addc_co_u32_e32 v39, vcc, v66, v31, vcc
	global_load_dwordx4 v[6:9], v[2:3], off
	s_nop 0
	global_load_dwordx4 v[2:5], v[2:3], off offset:16
	s_nop 6
	v_pk_mul_f32 v[42:43], s[2:3], v[20:21] op_sel_hi:[0,1]
	v_and_b32_e32 v20, 0xc0, v0
	v_add_u32_e32 v20, s16, v20
	v_lshl_or_b32 v20, v1, 2, v20
	v_pk_mul_f32 v[36:37], s[2:3], v[22:23] op_sel_hi:[0,1]
	v_or_b32_e32 v23, 1, v20
	v_mov_b32_e32 v21, 0xff7fffff
	v_cmp_gt_i32_e64 s[30:31], s33, v20
	v_cmp_gt_i32_e64 s[34:35], s33, v23
	v_cndmask_b32_e64 v22, v21, v18, s[30:31]
	v_cndmask_b32_e64 v23, v21, v19, s[34:35]
	v_max3_f32 v22, v22, s43, v23
	v_or_b32_e32 v23, 2, v20
	v_or_b32_e32 v24, 3, v20
	v_cmp_gt_i32_e64 s[36:37], s33, v23
	v_cmp_gt_i32_e64 s[38:39], s33, v24
	v_cndmask_b32_e64 v23, v21, v48, s[36:37]
	v_cndmask_b32_e64 v24, v21, v49, s[38:39]
	v_max3_f32 v22, v22, v23, v24
	v_or_b32_e32 v23, 16, v20
	v_or_b32_e32 v24, 17, v20
	;; [unrolled: 7-line block ×7, first 2 shown]
	v_cmp_gt_i32_e32 vcc, s33, v23
	v_cmp_gt_i32_e64 s[2:3], s33, v20
	v_cndmask_b32_e32 v23, v21, v36, vcc
	v_cndmask_b32_e64 v20, v21, v37, s[2:3]
	v_max3_f32 v26, v22, v23, v20
	v_mbcnt_lo_u32_b32 v20, -1, 0
	v_mbcnt_hi_u32_b32 v27, -1, v20
	v_and_b32_e32 v20, 64, v27
	v_add_u32_e32 v28, 64, v20
	v_xor_b32_e32 v20, 32, v27
	v_cmp_lt_i32_e64 s[40:41], v20, v28
	v_cndmask_b32_e64 v20, v27, v20, s[40:41]
	v_lshlrev_b32_e32 v57, 2, v20
	ds_bpermute_b32 v29, v57, v26
	s_waitcnt vmcnt(4)
	v_mad_i64_i32 v[20:21], s[40:41], v64, s45, 0
	v_lshlrev_b64 v[20:21], 1, v[20:21]
	global_load_dwordx4 v[30:33], v[38:39], off
	global_load_dwordx4 v[22:25], v[38:39], off offset:16
	s_waitcnt lgkmcnt(0)
	v_max_f32_e32 v29, v29, v29
	v_max_f32_e32 v26, v26, v29
	v_xor_b32_e32 v29, 16, v27
	v_cmp_lt_i32_e64 s[40:41], v29, v28
	v_cndmask_b32_e64 v27, v27, v29, s[40:41]
	v_lshlrev_b32_e32 v59, 2, v27
	ds_bpermute_b32 v27, v59, v26
	v_add_co_u32_e64 v20, s[40:41], v65, v20
	v_addc_co_u32_e64 v21, s[40:41], v66, v21, s[40:41]
	s_waitcnt lgkmcnt(0)
	v_max_f32_e32 v27, v27, v27
	v_max_f32_e32 v56, v26, v27
	v_sub_f32_e32 v18, v18, v56
	v_mul_f32_e32 v18, 0x3fb8aa3b, v18
	v_exp_f32_e32 v38, v18
	v_sub_f32_e32 v18, v19, v56
	v_mul_f32_e32 v18, 0x3fb8aa3b, v18
	v_exp_f32_e32 v39, v18
	global_load_dwordx4 v[26:29], v[20:21], off
	s_nop 0
	global_load_dwordx4 v[18:21], v[20:21], off offset:16
	v_sub_f32_e32 v48, v48, v56
	v_mul_f32_e32 v48, 0x3fb8aa3b, v48
	v_sub_f32_e32 v49, v49, v56
	v_exp_f32_e32 v48, v48
	v_mul_f32_e32 v49, 0x3fb8aa3b, v49
	v_sub_f32_e32 v40, v40, v56
	v_exp_f32_e32 v49, v49
	v_mul_f32_e32 v40, 0x3fb8aa3b, v40
	v_sub_f32_e32 v41, v41, v56
	v_cndmask_b32_e64 v38, 0, v38, s[30:31]
	v_exp_f32_e32 v40, v40
	v_mul_f32_e32 v41, 0x3fb8aa3b, v41
	v_sub_f32_e32 v50, v50, v56
	v_add_f32_e32 v58, 0, v38
	v_cndmask_b32_e64 v39, 0, v39, s[34:35]
	v_exp_f32_e32 v41, v41
	v_mul_f32_e32 v50, 0x3fb8aa3b, v50
	v_sub_f32_e32 v51, v51, v56
	v_add_f32_e32 v58, v58, v39
	;; [unrolled: 5-line block ×10, first 2 shown]
	v_cndmask_b32_e64 v46, 0, v46, s[12:13]
	v_exp_f32_e32 v36, v36
	v_mul_f32_e32 v37, 0x3fb8aa3b, v37
	v_add_f32_e32 v58, v58, v46
	v_cndmask_b32_e64 v47, 0, v47, s[14:15]
	v_exp_f32_e32 v37, v37
	v_add_f32_e32 v58, v58, v47
	v_cndmask_b32_e64 v42, 0, v42, s[8:9]
	v_add_f32_e32 v58, v58, v42
	v_cndmask_b32_e64 v43, 0, v43, s[10:11]
	v_add_f32_e32 v58, v58, v43
	v_cndmask_b32_e32 v36, 0, v36, vcc
	v_add_f32_e32 v58, v58, v36
	v_cndmask_b32_e64 v37, 0, v37, s[2:3]
	v_add_f32_e32 v58, v58, v37
	ds_bpermute_b32 v57, v57, v58
	v_cmp_gt_u32_e32 vcc, 16, v55
	s_waitcnt lgkmcnt(0)
	s_barrier
	v_add_f32_e32 v58, v58, v57
	ds_bpermute_b32 v59, v59, v58
	v_lshlrev_b32_e32 v57, 2, v53
	s_and_saveexec_b64 s[2:3], vcc
	s_cbranch_execz .LBB94_15
; %bb.14:
	s_waitcnt lgkmcnt(0)
	v_add_f32_e32 v55, v58, v59
	v_lshl_or_b32 v58, v54, 6, v57
	ds_write2st64_b32 v58, v56, v55 offset1:1
.LBB94_15:
	s_or_b64 exec, exec, s[2:3]
	s_load_dword s8, s[4:5], 0x94
	s_waitcnt lgkmcnt(0)
	s_barrier
	ds_read2_b32 v[58:59], v57 offset1:16
	ds_read2_b32 v[60:61], v57 offset0:32 offset1:48
	ds_read2_b32 v[62:63], v57 offset0:64 offset1:80
	s_mul_i32 s9, s42, 3
	s_waitcnt lgkmcnt(2)
	v_max3_f32 v55, v58, s43, v59
	s_waitcnt lgkmcnt(1)
	v_max3_f32 v55, v55, v60, v61
	v_sub_f32_e32 v56, v58, v55
	v_mul_f32_e32 v56, 0x3fb8aa3b, v56
	v_exp_f32_e32 v64, v56
	v_sub_f32_e32 v56, v59, v55
	v_mul_f32_e32 v56, 0x3fb8aa3b, v56
	v_exp_f32_e32 v65, v56
	;; [unrolled: 3-line block ×3, first 2 shown]
	ds_read2_b32 v[58:59], v57 offset0:96 offset1:112
	v_sub_f32_e32 v56, v61, v55
	v_mul_f32_e32 v56, 0x3fb8aa3b, v56
	v_exp_f32_e32 v57, v56
	s_waitcnt lgkmcnt(1)
	v_fma_f32 v56, v64, v62, 0
	v_fmac_f32_e32 v56, v65, v63
	s_waitcnt lgkmcnt(0)
	v_fmac_f32_e32 v56, v60, v58
	v_fmac_f32_e32 v56, v57, v59
	v_add_f32_e32 v58, 0x358637bd, v56
	v_div_scale_f32 v59, s[2:3], v58, v58, 1.0
	v_rcp_f32_e32 v61, v59
	s_barrier
	v_fma_f32 v62, -v59, v61, 1.0
	v_fmac_f32_e32 v61, v62, v61
	v_div_scale_f32 v62, vcc, 1.0, v58, 1.0
	v_mul_f32_e32 v63, v62, v61
	v_fma_f32 v66, -v59, v63, v62
	v_fmac_f32_e32 v63, v66, v61
	v_fma_f32 v59, -v59, v63, v62
	v_div_fmas_f32 v59, v59, v61, v63
	v_cmp_eq_u32_e32 vcc, 1, v54
	v_div_fixup_f32 v58, v59, v58, 1.0
	v_cndmask_b32_e32 v59, v64, v65, vcc
	v_cmp_eq_u32_e32 vcc, 2, v54
	v_cndmask_b32_e32 v59, v59, v60, vcc
	v_cmp_eq_u32_e32 vcc, 3, v54
	v_cndmask_b32_e32 v57, v59, v57, vcc
	v_mul_f32_e32 v58, v57, v58
	v_pk_mul_f32 v[38:39], v[58:59], v[38:39] op_sel_hi:[0,1]
	v_pk_mul_f32 v[48:49], v[58:59], v[48:49] op_sel_hi:[0,1]
	v_cvt_f16_f32_e32 v38, v38
	v_cvt_f16_f32_e32 v39, v39
	v_pk_mul_f32 v[50:51], v[58:59], v[50:51] op_sel_hi:[0,1]
	v_pk_mul_f32 v[40:41], v[58:59], v[40:41] op_sel_hi:[0,1]
	v_cvt_f16_f32_e32 v57, v48
	v_cvt_f16_f32_e32 v49, v49
	;; [unrolled: 1-line block ×6, first 2 shown]
	v_pack_b32_f16 v48, v38, v39
	v_lshlrev_b32_e32 v38, 3, v1
	v_lshlrev_b32_e32 v39, 5, v53
	;; [unrolled: 1-line block ×3, first 2 shown]
	v_pack_b32_f16 v49, v57, v49
	v_or3_b32 v38, v54, v39, v38
	v_pack_b32_f16 v40, v40, v41
	v_pack_b32_f16 v41, v50, v51
	ds_write2st64_b64 v38, v[48:49], v[40:41] offset1:1
	v_pk_mul_f32 v[40:41], v[58:59], v[46:47] op_sel_hi:[0,1]
	v_pk_mul_f32 v[44:45], v[58:59], v[44:45] op_sel_hi:[0,1]
	v_cvt_f16_f32_e32 v46, v40
	v_cvt_f16_f32_e32 v47, v41
	v_pk_mul_f32 v[36:37], v[58:59], v[36:37] op_sel_hi:[0,1]
	v_pk_mul_f32 v[40:41], v[58:59], v[42:43] op_sel_hi:[0,1]
	v_cvt_f16_f32_e32 v44, v44
	v_cvt_f16_f32_e32 v45, v45
	;; [unrolled: 1-line block ×6, first 2 shown]
	v_pack_b32_f16 v36, v44, v45
	v_pack_b32_f16 v37, v46, v47
	;; [unrolled: 1-line block ×4, first 2 shown]
	v_cmp_gt_u32_e32 vcc, 3, v0
	ds_write2st64_b64 v38, v[36:37], v[40:41] offset0:2 offset1:3
	s_and_saveexec_b64 s[2:3], vcc
	s_cbranch_execz .LBB94_17
; %bb.16:
	v_add_co_u32_e32 v40, vcc, s29, v53
	v_addc_co_u32_e64 v41, s[10:11], 0, 0, vcc
	v_mov_b32_e32 v36, s9
	v_mov_b32_e32 v37, 0
	v_mad_u64_u32 v[40:41], s[10:11], s6, v36, v[40:41]
	v_mov_b32_e32 v36, s28
	s_load_dwordx4 s[12:15], s[4:5], 0x58
	s_mul_i32 s7, s7, s9
	v_mad_u64_u32 v[36:37], s[10:11], v40, s8, v[36:37]
	v_add_u32_e32 v41, s7, v41
	v_mov_b32_e32 v40, v37
	v_mad_u64_u32 v[40:41], s[10:11], v41, s8, v[40:41]
	v_mov_b32_e32 v37, v40
	v_lshlrev_b64 v[36:37], 2, v[36:37]
	s_waitcnt lgkmcnt(0)
	v_mov_b32_e32 v41, s15
	v_add_co_u32_e32 v40, vcc, s14, v36
	v_addc_co_u32_e32 v41, vcc, v41, v37, vcc
	global_store_dword v[40:41], v55, off
	v_mov_b32_e32 v40, s13
	v_add_co_u32_e32 v36, vcc, s12, v36
	v_addc_co_u32_e32 v37, vcc, v40, v37, vcc
	global_store_dword v[36:37], v56, off
.LBB94_17:
	s_or_b64 exec, exec, s[2:3]
	v_lshl_or_b32 v36, v1, 9, v39
	s_waitcnt lgkmcnt(0)
	s_barrier
	ds_read_b128 v[40:43], v36
	ds_read_b128 v[44:47], v36 offset:16
	s_waitcnt vmcnt(7) lgkmcnt(1)
	v_mfma_f32_16x16x16f16 v[48:51], v[14:15], v[40:41], 0
	v_cmp_gt_u32_e32 vcc, 64, v0
	v_cmp_ne_u32_e64 s[2:3], 3, v1
	s_and_b64 s[2:3], s[2:3], vcc
	s_mov_b32 s7, 0
	s_and_b64 s[0:1], s[2:3], s[0:1]
	v_mfma_f32_16x16x16f16 v[14:17], v[16:17], v[42:43], v[48:51]
	s_waitcnt vmcnt(6) lgkmcnt(0)
	v_mfma_f32_16x16x16f16 v[14:17], v[10:11], v[44:45], v[14:17]
	v_mfma_f32_16x16x16f16 v[10:13], v[12:13], v[46:47], v[14:17]
	s_nop 7
	s_nop 1
	ds_read_b128 v[14:17], v36 offset:2048
	ds_read_b128 v[40:43], v36 offset:2064
	s_waitcnt vmcnt(5) lgkmcnt(1)
	v_mfma_f32_16x16x16f16 v[10:13], v[6:7], v[14:15], v[10:13]
	v_mfma_f32_16x16x16f16 v[6:9], v[8:9], v[16:17], v[10:13]
	s_waitcnt vmcnt(4) lgkmcnt(0)
	v_mfma_f32_16x16x16f16 v[6:9], v[2:3], v[40:41], v[6:9]
	v_mfma_f32_16x16x16f16 v[2:5], v[4:5], v[42:43], v[6:9]
	s_nop 7
	s_nop 1
	ds_read_b128 v[6:9], v36 offset:4096
	ds_read_b128 v[10:13], v36 offset:4112
	s_waitcnt vmcnt(3) lgkmcnt(1)
	v_mfma_f32_16x16x16f16 v[2:5], v[30:31], v[6:7], v[2:5]
	v_mfma_f32_16x16x16f16 v[2:5], v[32:33], v[8:9], v[2:5]
	s_waitcnt vmcnt(2) lgkmcnt(0)
	v_mfma_f32_16x16x16f16 v[2:5], v[22:23], v[10:11], v[2:5]
	v_mfma_f32_16x16x16f16 v[2:5], v[24:25], v[12:13], v[2:5]
	ds_read_b128 v[6:9], v36 offset:6144
	ds_read_b128 v[10:13], v36 offset:6160
	s_waitcnt lgkmcnt(0)
	s_barrier
	s_waitcnt vmcnt(1)
	v_mfma_f32_16x16x16f16 v[2:5], v[26:27], v[6:7], v[2:5]
	v_mfma_f32_16x16x16f16 v[2:5], v[28:29], v[8:9], v[2:5]
	s_waitcnt vmcnt(0)
	v_mfma_f32_16x16x16f16 v[2:5], v[18:19], v[10:11], v[2:5]
	v_mfma_f32_16x16x16f16 v[2:5], v[20:21], v[12:13], v[2:5]
	s_nop 7
	s_nop 2
	v_cvt_f16_f32_e32 v2, v2
	v_cvt_f16_f32_e32 v3, v3
	v_cvt_f16_f32_e32 v4, v4
	v_cvt_f16_f32_e32 v5, v5
	v_pack_b32_f16 v2, v2, v3
	v_pack_b32_f16 v3, v4, v5
	ds_write_b64 v38, v[2:3]
	s_waitcnt lgkmcnt(0)
	s_barrier
	s_and_saveexec_b64 s[2:3], s[0:1]
	s_cbranch_execz .LBB94_19
; %bb.18:
	s_load_dwordx2 s[0:1], s[4:5], 0x68
	s_mul_i32 s2, s9, s6
	s_lshl_b32 s4, s8, 6
	s_mul_hi_u32 s3, s2, s4
	s_mul_i32 s2, s2, s4
	s_lshl_b64 s[2:3], s[2:3], 1
	s_waitcnt lgkmcnt(0)
	s_add_u32 s2, s0, s2
	s_addc_u32 s3, s1, s3
	s_lshl_b32 s6, s28, 6
	v_lshlrev_b32_e32 v2, 10, v0
	v_lshlrev_b32_e32 v0, 4, v0
	s_lshl_b64 s[0:1], s[6:7], 1
	v_and_b32_e32 v2, 0x1800, v2
	v_lshlrev_b32_e32 v1, 5, v1
	v_and_b32_e32 v0, 16, v0
	s_add_u32 s2, s2, s0
	v_or3_b32 v0, v2, v1, v0
	s_addc_u32 s3, s3, s1
	v_mad_u64_u32 v[4:5], s[0:1], s4, v52, 0
	ds_read_b128 v[0:3], v0
	v_lshlrev_b64 v[4:5], 1, v[4:5]
	v_mov_b32_e32 v6, s3
	v_add_co_u32_e32 v4, vcc, s2, v4
	v_addc_co_u32_e32 v5, vcc, v6, v5, vcc
	v_add_co_u32_e32 v4, vcc, v4, v34
	v_addc_co_u32_e32 v5, vcc, v5, v35, vcc
	s_waitcnt lgkmcnt(0)
	global_store_dwordx4 v[4:5], v[0:3], off
.LBB94_19:
	s_endpgm
	.section	.rodata,"a",@progbits
	.p2align	6, 0x0
	.amdhsa_kernel _Z39paged_attention_ll4mi_QKV_mfma16_kernelIDF16_DF16_LN4vllm18Fp8KVCacheDataTypeE0EDF16_Li32ELi64ELi256ELb0ELi3EL8MFMAType0EEvPKT_PKT0_S8_ifPKiSA_SA_iPKfiiiPfSD_PS3_PT2_iSC_SC_
		.amdhsa_group_segment_fixed_size 8192
		.amdhsa_private_segment_fixed_size 0
		.amdhsa_kernarg_size 400
		.amdhsa_user_sgpr_count 6
		.amdhsa_user_sgpr_private_segment_buffer 1
		.amdhsa_user_sgpr_dispatch_ptr 0
		.amdhsa_user_sgpr_queue_ptr 0
		.amdhsa_user_sgpr_kernarg_segment_ptr 1
		.amdhsa_user_sgpr_dispatch_id 0
		.amdhsa_user_sgpr_flat_scratch_init 0
		.amdhsa_user_sgpr_kernarg_preload_length 0
		.amdhsa_user_sgpr_kernarg_preload_offset 0
		.amdhsa_user_sgpr_private_segment_size 0
		.amdhsa_uses_dynamic_stack 0
		.amdhsa_system_sgpr_private_segment_wavefront_offset 0
		.amdhsa_system_sgpr_workgroup_id_x 1
		.amdhsa_system_sgpr_workgroup_id_y 1
		.amdhsa_system_sgpr_workgroup_id_z 1
		.amdhsa_system_sgpr_workgroup_info 0
		.amdhsa_system_vgpr_workitem_id 0
		.amdhsa_next_free_vgpr 67
		.amdhsa_next_free_sgpr 48
		.amdhsa_accum_offset 68
		.amdhsa_reserve_vcc 1
		.amdhsa_reserve_flat_scratch 0
		.amdhsa_float_round_mode_32 0
		.amdhsa_float_round_mode_16_64 0
		.amdhsa_float_denorm_mode_32 3
		.amdhsa_float_denorm_mode_16_64 3
		.amdhsa_dx10_clamp 1
		.amdhsa_ieee_mode 1
		.amdhsa_fp16_overflow 0
		.amdhsa_tg_split 0
		.amdhsa_exception_fp_ieee_invalid_op 0
		.amdhsa_exception_fp_denorm_src 0
		.amdhsa_exception_fp_ieee_div_zero 0
		.amdhsa_exception_fp_ieee_overflow 0
		.amdhsa_exception_fp_ieee_underflow 0
		.amdhsa_exception_fp_ieee_inexact 0
		.amdhsa_exception_int_div_zero 0
	.end_amdhsa_kernel
	.section	.text._Z39paged_attention_ll4mi_QKV_mfma16_kernelIDF16_DF16_LN4vllm18Fp8KVCacheDataTypeE0EDF16_Li32ELi64ELi256ELb0ELi3EL8MFMAType0EEvPKT_PKT0_S8_ifPKiSA_SA_iPKfiiiPfSD_PS3_PT2_iSC_SC_,"axG",@progbits,_Z39paged_attention_ll4mi_QKV_mfma16_kernelIDF16_DF16_LN4vllm18Fp8KVCacheDataTypeE0EDF16_Li32ELi64ELi256ELb0ELi3EL8MFMAType0EEvPKT_PKT0_S8_ifPKiSA_SA_iPKfiiiPfSD_PS3_PT2_iSC_SC_,comdat
.Lfunc_end94:
	.size	_Z39paged_attention_ll4mi_QKV_mfma16_kernelIDF16_DF16_LN4vllm18Fp8KVCacheDataTypeE0EDF16_Li32ELi64ELi256ELb0ELi3EL8MFMAType0EEvPKT_PKT0_S8_ifPKiSA_SA_iPKfiiiPfSD_PS3_PT2_iSC_SC_, .Lfunc_end94-_Z39paged_attention_ll4mi_QKV_mfma16_kernelIDF16_DF16_LN4vllm18Fp8KVCacheDataTypeE0EDF16_Li32ELi64ELi256ELb0ELi3EL8MFMAType0EEvPKT_PKT0_S8_ifPKiSA_SA_iPKfiiiPfSD_PS3_PT2_iSC_SC_
                                        ; -- End function
	.section	.AMDGPU.csdata,"",@progbits
; Kernel info:
; codeLenInByte = 4032
; NumSgprs: 52
; NumVgprs: 67
; NumAgprs: 0
; TotalNumVgprs: 67
; ScratchSize: 0
; MemoryBound: 0
; FloatMode: 240
; IeeeMode: 1
; LDSByteSize: 8192 bytes/workgroup (compile time only)
; SGPRBlocks: 6
; VGPRBlocks: 8
; NumSGPRsForWavesPerEU: 52
; NumVGPRsForWavesPerEU: 67
; AccumOffset: 68
; Occupancy: 7
; WaveLimiterHint : 1
; COMPUTE_PGM_RSRC2:SCRATCH_EN: 0
; COMPUTE_PGM_RSRC2:USER_SGPR: 6
; COMPUTE_PGM_RSRC2:TRAP_HANDLER: 0
; COMPUTE_PGM_RSRC2:TGID_X_EN: 1
; COMPUTE_PGM_RSRC2:TGID_Y_EN: 1
; COMPUTE_PGM_RSRC2:TGID_Z_EN: 1
; COMPUTE_PGM_RSRC2:TIDIG_COMP_CNT: 0
; COMPUTE_PGM_RSRC3_GFX90A:ACCUM_OFFSET: 16
; COMPUTE_PGM_RSRC3_GFX90A:TG_SPLIT: 0
	.section	.text._Z39paged_attention_ll4mi_QKV_mfma16_kernelIDF16_DF16_LN4vllm18Fp8KVCacheDataTypeE0EDF16_Li32ELi64ELi256ELb0ELi4EL8MFMAType0EEvPKT_PKT0_S8_ifPKiSA_SA_iPKfiiiPfSD_PS3_PT2_iSC_SC_,"axG",@progbits,_Z39paged_attention_ll4mi_QKV_mfma16_kernelIDF16_DF16_LN4vllm18Fp8KVCacheDataTypeE0EDF16_Li32ELi64ELi256ELb0ELi4EL8MFMAType0EEvPKT_PKT0_S8_ifPKiSA_SA_iPKfiiiPfSD_PS3_PT2_iSC_SC_,comdat
	.protected	_Z39paged_attention_ll4mi_QKV_mfma16_kernelIDF16_DF16_LN4vllm18Fp8KVCacheDataTypeE0EDF16_Li32ELi64ELi256ELb0ELi4EL8MFMAType0EEvPKT_PKT0_S8_ifPKiSA_SA_iPKfiiiPfSD_PS3_PT2_iSC_SC_ ; -- Begin function _Z39paged_attention_ll4mi_QKV_mfma16_kernelIDF16_DF16_LN4vllm18Fp8KVCacheDataTypeE0EDF16_Li32ELi64ELi256ELb0ELi4EL8MFMAType0EEvPKT_PKT0_S8_ifPKiSA_SA_iPKfiiiPfSD_PS3_PT2_iSC_SC_
	.globl	_Z39paged_attention_ll4mi_QKV_mfma16_kernelIDF16_DF16_LN4vllm18Fp8KVCacheDataTypeE0EDF16_Li32ELi64ELi256ELb0ELi4EL8MFMAType0EEvPKT_PKT0_S8_ifPKiSA_SA_iPKfiiiPfSD_PS3_PT2_iSC_SC_
	.p2align	8
	.type	_Z39paged_attention_ll4mi_QKV_mfma16_kernelIDF16_DF16_LN4vllm18Fp8KVCacheDataTypeE0EDF16_Li32ELi64ELi256ELb0ELi4EL8MFMAType0EEvPKT_PKT0_S8_ifPKiSA_SA_iPKfiiiPfSD_PS3_PT2_iSC_SC_,@function
_Z39paged_attention_ll4mi_QKV_mfma16_kernelIDF16_DF16_LN4vllm18Fp8KVCacheDataTypeE0EDF16_Li32ELi64ELi256ELb0ELi4EL8MFMAType0EEvPKT_PKT0_S8_ifPKiSA_SA_iPKfiiiPfSD_PS3_PT2_iSC_SC_: ; @_Z39paged_attention_ll4mi_QKV_mfma16_kernelIDF16_DF16_LN4vllm18Fp8KVCacheDataTypeE0EDF16_Li32ELi64ELi256ELb0ELi4EL8MFMAType0EEvPKT_PKT0_S8_ifPKiSA_SA_iPKfiiiPfSD_PS3_PT2_iSC_SC_
; %bb.0:
	s_load_dwordx2 s[0:1], s[4:5], 0x30
	s_mov_b32 s26, s7
	s_mov_b64 s[10:11], 0
	s_waitcnt lgkmcnt(0)
	s_cmp_lg_u64 s[0:1], 0
	s_cselect_b64 s[2:3], -1, 0
	s_and_b64 vcc, exec, s[2:3]
	s_cbranch_vccz .LBB95_7
; %bb.1:
	s_add_i32 s12, s6, 1
	s_mov_b32 s13, 0
	s_lshl_b64 s[14:15], s[12:13], 2
	s_add_u32 s14, s0, s14
	s_mov_b32 s7, s13
	s_addc_u32 s15, s1, s15
	s_lshl_b64 s[12:13], s[6:7], 2
	s_add_u32 s12, s0, s12
	s_addc_u32 s13, s1, s13
	s_load_dword s9, s[14:15], 0x0
	s_load_dword s16, s[12:13], 0x0
	s_waitcnt lgkmcnt(0)
	s_sub_i32 s9, s9, s16
	s_cmp_eq_u32 s9, 1
	s_cselect_b64 s[12:13], -1, 0
	s_andn2_b64 vcc, exec, s[10:11]
	s_cbranch_vccnz .LBB95_3
.LBB95_2:
	s_mov_b32 s7, 0
	s_mov_b64 s[12:13], -1
.LBB95_3:
	s_andn2_b64 vcc, exec, s[12:13]
	s_cbranch_vccnz .LBB95_19
; %bb.4:
	s_load_dwordx2 s[12:13], s[4:5], 0x28
	s_lshl_b64 s[10:11], s[6:7], 2
	s_waitcnt lgkmcnt(0)
	s_add_u32 s12, s12, s10
	s_addc_u32 s13, s13, s11
	s_load_dword s33, s[12:13], 0x0
	s_lshl_b32 s9, s26, 8
	s_waitcnt lgkmcnt(0)
	s_cmp_ge_i32 s9, s33
	s_cbranch_scc1 .LBB95_19
; %bb.5:
	s_add_i32 s15, s33, 31
	s_load_dwordx2 s[12:13], s[4:5], 0x20
	s_load_dword s14, s[4:5], 0x38
	s_ashr_i32 s16, s15, 31
	v_and_b32_e32 v1, 0xcf, v0
	s_lshr_b32 s16, s16, 27
	v_add_u32_e32 v1, s9, v1
	s_add_i32 s15, s15, s16
	v_ashrrev_i32_e32 v2, 31, v1
	s_ashr_i32 s18, s15, 5
	v_lshrrev_b32_e32 v6, 27, v2
	s_add_i32 s18, s18, -1
	v_add_u32_e32 v2, v1, v6
	s_waitcnt lgkmcnt(0)
	s_mul_i32 s14, s6, s14
	s_mov_b32 s15, 0
	v_ashrrev_i32_e32 v2, 5, v2
	v_mov_b32_e32 v7, s18
	v_cmp_gt_i32_e32 vcc, s33, v1
	s_lshl_b64 s[14:15], s[14:15], 2
	v_cndmask_b32_e32 v2, v7, v2, vcc
	s_add_u32 s16, s12, s14
	v_ashrrev_i32_e32 v3, 31, v2
	s_addc_u32 s17, s13, s15
	v_lshlrev_b64 v[2:3], 2, v[2:3]
	v_mov_b32_e32 v4, s17
	v_add_co_u32_e32 v2, vcc, s16, v2
	v_addc_co_u32_e32 v3, vcc, v4, v3, vcc
	v_or_b32_e32 v4, 16, v1
	v_add_u32_e32 v5, v4, v6
	v_ashrrev_i32_e32 v5, 5, v5
	v_cmp_gt_i32_e32 vcc, s33, v4
	v_cndmask_b32_e32 v4, v7, v5, vcc
	v_ashrrev_i32_e32 v5, 31, v4
	v_lshlrev_b64 v[4:5], 2, v[4:5]
	v_mov_b32_e32 v9, s17
	v_add_co_u32_e32 v8, vcc, s16, v4
	v_or_b32_e32 v4, 32, v1
	v_addc_co_u32_e32 v9, vcc, v9, v5, vcc
	v_add_u32_e32 v5, v4, v6
	v_ashrrev_i32_e32 v5, 5, v5
	v_cmp_gt_i32_e32 vcc, s33, v4
	v_cndmask_b32_e32 v4, v7, v5, vcc
	v_ashrrev_i32_e32 v5, 31, v4
	v_lshlrev_b64 v[4:5], 2, v[4:5]
	v_mov_b32_e32 v11, s17
	v_add_co_u32_e32 v10, vcc, s16, v4
	v_or_b32_e32 v1, 48, v1
	v_addc_co_u32_e32 v11, vcc, v11, v5, vcc
	v_add_u32_e32 v4, v1, v6
	v_ashrrev_i32_e32 v4, 5, v4
	v_cmp_gt_i32_e32 vcc, s33, v1
	v_cndmask_b32_e32 v4, v7, v4, vcc
	v_ashrrev_i32_e32 v5, 31, v4
	v_lshlrev_b64 v[4:5], 2, v[4:5]
	v_mov_b32_e32 v1, s17
	v_add_co_u32_e32 v12, vcc, s16, v4
	v_addc_co_u32_e32 v13, vcc, v1, v5, vcc
	global_load_dword v4, v[2:3], off
	global_load_dword v6, v[8:9], off
	global_load_dword v20, v[10:11], off
	global_load_dword v18, v[12:13], off
	s_andn2_b64 vcc, exec, s[2:3]
	s_cbranch_vccnz .LBB95_8
; %bb.6:
	s_add_u32 s0, s0, s10
	s_addc_u32 s1, s1, s11
	s_load_dword s2, s[0:1], 0x0
	s_branch .LBB95_9
.LBB95_7:
	s_mov_b64 s[12:13], 0
	s_branch .LBB95_2
.LBB95_8:
	s_mov_b32 s2, s6
.LBB95_9:
	s_load_dwordx4 s[12:15], s[4:5], 0x8
	s_load_dwordx4 s[40:43], s[4:5], 0x48
	v_and_b32_e32 v54, 15, v0
	v_cmp_gt_u32_e32 vcc, 64, v0
	v_cmp_gt_u32_e64 s[0:1], 8, v54
	s_and_b64 s[44:45], vcc, s[0:1]
	v_bfe_u32 v53, v0, 4, 2
	s_lshl_b32 s27, s8, 2
	v_lshlrev_b32_e32 v2, 3, v54
	s_xor_b64 s[0:1], s[44:45], -1
	s_and_saveexec_b64 s[10:11], s[0:1]
	s_xor_b64 s[0:1], exec, s[10:11]
; %bb.10:
	v_mov_b32_e32 v3, 0
; %bb.11:
	s_or_saveexec_b64 s[0:1], s[0:1]
	v_lshrrev_b32_e32 v55, 6, v0
	v_and_b32_e32 v56, 63, v0
	v_or_b32_e32 v1, s27, v53
	v_and_b32_e32 v19, 3, v0
	v_lshlrev_b32_e32 v52, 5, v53
	s_xor_b64 exec, exec, s[0:1]
	s_cbranch_execz .LBB95_13
; %bb.12:
	s_load_dwordx2 s[10:11], s[4:5], 0x0
	s_waitcnt lgkmcnt(0)
	s_ashr_i32 s3, s40, 31
	s_mul_hi_u32 s19, s2, s40
	s_mul_i32 s3, s2, s3
	s_add_i32 s3, s19, s3
	s_mul_i32 s2, s2, s40
	s_lshl_b64 s[2:3], s[2:3], 1
	v_lshlrev_b32_e32 v8, 6, v1
	s_add_u32 s2, s10, s2
	v_ashrrev_i32_e32 v9, 31, v8
	s_addc_u32 s3, s11, s3
	v_lshlrev_b64 v[8:9], 1, v[8:9]
	v_mov_b32_e32 v3, s3
	v_add_co_u32_e32 v5, vcc, s2, v8
	v_addc_co_u32_e32 v3, vcc, v3, v9, vcc
	v_lshlrev_b32_e32 v7, 1, v2
	v_add_co_u32_e32 v8, vcc, v5, v7
	v_addc_co_u32_e32 v9, vcc, 0, v3, vcc
	global_load_dwordx4 v[8:11], v[8:9], off
	v_lshlrev_b32_e32 v12, 9, v54
	v_lshl_or_b32 v5, v55, 7, v52
	v_lshlrev_b32_e32 v7, 9, v19
	v_and_b32_e32 v12, 0x1800, v12
	v_mov_b32_e32 v3, 0
	v_or3_b32 v5, v12, v7, v5
	s_waitcnt vmcnt(0)
	ds_write_b128 v5, v[8:11]
.LBB95_13:
	s_or_b64 exec, exec, s[0:1]
	s_waitcnt lgkmcnt(0)
	s_mul_i32 s2, s8, s42
	s_mov_b32 s3, 0
	s_lshl_b64 s[2:3], s[2:3], 1
	s_add_u32 s1, s12, s2
	s_waitcnt vmcnt(3)
	v_mad_i64_i32 v[4:5], s[10:11], v4, s41, 0
	s_addc_u32 s8, s13, s3
	v_lshlrev_b64 v[4:5], 1, v[4:5]
	v_mov_b32_e32 v7, s8
	v_add_co_u32_e32 v4, vcc, s1, v4
	v_addc_co_u32_e32 v5, vcc, v7, v5, vcc
	v_lshlrev_b64 v[34:35], 1, v[2:3]
	v_add_co_u32_e32 v2, vcc, v4, v34
	v_lshlrev_b32_e32 v28, 9, v53
	v_addc_co_u32_e32 v3, vcc, v5, v35, vcc
	v_add_co_u32_e32 v22, vcc, v2, v28
	v_addc_co_u32_e32 v23, vcc, 0, v3, vcc
	s_load_dword s40, s[4:5], 0x98
	s_load_dword s0, s[4:5], 0x1c
	s_waitcnt lgkmcnt(0)
	s_barrier
	global_load_dwordx4 v[2:5], v[22:23], off
	s_waitcnt vmcnt(3)
	v_mad_i64_i32 v[6:7], s[10:11], v6, s41, 0
	v_lshlrev_b64 v[6:7], 1, v[6:7]
	v_mov_b32_e32 v8, s8
	v_add_co_u32_e32 v6, vcc, s1, v6
	v_addc_co_u32_e32 v7, vcc, v8, v7, vcc
	v_mov_b32_e32 v8, 0x100
	v_lshl_or_b32 v29, v54, 4, v8
	v_add_co_u32_e32 v6, vcc, v6, v29
	v_addc_co_u32_e32 v7, vcc, 0, v7, vcc
	v_add_co_u32_e32 v24, vcc, v6, v28
	v_addc_co_u32_e32 v25, vcc, 0, v7, vcc
	global_load_dwordx4 v[10:13], v[24:25], off
	global_load_dwordx4 v[14:17], v[22:23], off offset:2048
	global_load_dwordx4 v[6:9], v[24:25], off offset:2048
	s_waitcnt vmcnt(5)
	v_mad_i64_i32 v[20:21], s[10:11], v20, s41, 0
	v_lshlrev_b64 v[30:31], 1, v[20:21]
	v_mov_b32_e32 v32, s8
	v_add_co_u32_e32 v30, vcc, s1, v30
	v_addc_co_u32_e32 v31, vcc, v32, v31, vcc
	v_add_co_u32_e32 v36, vcc, v30, v34
	s_waitcnt vmcnt(4)
	v_mad_i64_i32 v[22:23], s[10:11], v18, s41, 0
	v_lshl_or_b32 v18, v19, 5, v28
	v_addc_co_u32_e32 v37, vcc, v31, v35, vcc
	v_lshlrev_b64 v[26:27], 1, v[22:23]
	ds_read_b128 v[22:25], v18
	ds_read_b128 v[18:21], v18 offset:2048
	v_add_co_u32_e32 v44, vcc, v36, v28
	v_addc_co_u32_e32 v45, vcc, 0, v37, vcc
	global_load_dwordx4 v[36:39], v[44:45], off
	v_mov_b32_e32 v40, s8
	v_and_or_b32 v48, v0, 48, s9
	s_ashr_i32 s10, s9, 31
	v_or_b32_e32 v46, 64, v48
	s_lshr_b32 s8, s10, 27
	v_mov_b32_e32 v49, s18
	v_mov_b32_e32 v50, s17
	s_mov_b32 s42, 0xff7fffff
	s_waitcnt vmcnt(4) lgkmcnt(1)
	v_mfma_f32_16x16x16f16 v[30:33], v[2:3], v[22:23], 0
	v_add_co_u32_e32 v2, vcc, s1, v26
	v_addc_co_u32_e32 v3, vcc, v40, v27, vcc
	v_add_u32_e32 v26, s8, v48
	v_ashrrev_i32_e32 v47, 5, v26
	s_add_u32 s1, s14, s2
	s_waitcnt vmcnt(3)
	v_mfma_f32_16x16x16f16 v[40:43], v[10:11], v[22:23], 0
	v_add_co_u32_e32 v11, vcc, v2, v29
	v_addc_co_u32_e32 v27, vcc, 0, v3, vcc
	v_add_u32_e32 v10, s8, v46
	v_ashrrev_i32_e32 v51, 5, v10
	v_add_co_u32_e32 v10, vcc, v11, v28
	v_mfma_f32_16x16x16f16 v[2:5], v[4:5], v[24:25], v[30:33]
	v_addc_co_u32_e32 v11, vcc, 0, v27, vcc
	global_load_dwordx4 v[26:29], v[44:45], off offset:2048
	v_cmp_gt_i32_e32 vcc, s33, v48
	v_cndmask_b32_e32 v44, v49, v47, vcc
	v_ashrrev_i32_e32 v45, 31, v44
	v_cmp_gt_i32_e32 vcc, s33, v46
	s_waitcnt vmcnt(3) lgkmcnt(0)
	v_mfma_f32_16x16x16f16 v[2:5], v[14:15], v[18:19], v[2:5]
	global_load_dwordx4 v[30:33], v[10:11], off
	global_load_dwordx4 v[58:61], v[10:11], off offset:2048
	v_lshlrev_b64 v[10:11], 2, v[44:45]
	v_cndmask_b32_e32 v14, v49, v51, vcc
	v_ashrrev_i32_e32 v15, 31, v14
	v_lshlrev_b64 v[14:15], 2, v[14:15]
	s_addc_u32 s2, s15, s3
	v_mfma_f32_16x16x16f16 v[44:47], v[16:17], v[20:21], v[2:5]
	s_nop 6
	v_add_co_u32_e32 v2, vcc, s16, v10
	v_addc_co_u32_e32 v3, vcc, v50, v11, vcc
	global_load_dword v16, v[2:3], off
	v_mov_b32_e32 v11, s17
	v_add_co_u32_e32 v10, vcc, s16, v14
	v_addc_co_u32_e32 v11, vcc, v11, v15, vcc
	global_load_dword v50, v[10:11], off
	v_mfma_f32_16x16x16f16 v[2:5], v[12:13], v[24:25], v[40:43]
	v_or_b32_e32 v10, 0x80, v48
	v_add_u32_e32 v11, s8, v10
	v_ashrrev_i32_e32 v11, 5, v11
	v_cmp_gt_i32_e32 vcc, s33, v10
	v_cndmask_b32_e32 v10, v49, v11, vcc
	v_ashrrev_i32_e32 v11, 31, v10
	s_waitcnt vmcnt(6)
	v_mfma_f32_16x16x16f16 v[2:5], v[6:7], v[18:19], v[2:5]
	v_lshlrev_b64 v[6:7], 2, v[10:11]
	v_mov_b32_e32 v10, s17
	v_add_co_u32_e32 v6, vcc, s16, v6
	v_addc_co_u32_e32 v7, vcc, v10, v7, vcc
	global_load_dword v51, v[6:7], off
	v_mfma_f32_16x16x16f16 v[40:43], v[8:9], v[20:21], v[2:5]
	v_or_b32_e32 v6, 0xc0, v48
	v_add_u32_e32 v7, s8, v6
	v_ashrrev_i32_e32 v7, 5, v7
	v_cmp_gt_i32_e32 vcc, s33, v6
	v_cndmask_b32_e32 v6, v49, v7, vcc
	v_ashrrev_i32_e32 v7, 31, v6
	v_lshlrev_b64 v[6:7], 2, v[6:7]
	s_waitcnt vmcnt(6)
	v_mfma_f32_16x16x16f16 v[2:5], v[36:37], v[22:23], 0
	v_mov_b32_e32 v8, s17
	v_add_co_u32_e32 v6, vcc, s16, v6
	v_addc_co_u32_e32 v7, vcc, v8, v7, vcc
	global_load_dword v57, v[6:7], off
	v_and_b32_e32 v6, 16, v0
	v_mfma_f32_16x16x16f16 v[2:5], v[38:39], v[24:25], v[2:5]
	v_lshlrev_b32_e32 v6, 1, v6
	v_mov_b32_e32 v7, s2
	v_add_co_u32_e32 v6, vcc, s1, v6
	v_lshlrev_b32_e32 v8, 6, v54
	v_addc_co_u32_e32 v7, vcc, 0, v7, vcc
	s_waitcnt vmcnt(6)
	v_mfma_f32_16x16x16f16 v[2:5], v[26:27], v[18:19], v[2:5]
	v_lshl_or_b32 v8, v55, 10, v8
	v_add_co_u32_e32 v62, vcc, v6, v8
	v_addc_co_u32_e32 v63, vcc, 0, v7, vcc
	v_pk_mul_f32 v[48:49], s[0:1], v[46:47] op_sel_hi:[0,1]
	v_pk_mul_f32 v[40:41], s[0:1], v[40:41] op_sel_hi:[0,1]
	v_mfma_f32_16x16x16f16 v[26:29], v[28:29], v[20:21], v[2:5]
	s_waitcnt vmcnt(3)
	s_nop 5
	v_mad_i64_i32 v[2:3], s[2:3], v16, s41, 0
	v_lshlrev_b64 v[6:7], 1, v[2:3]
	v_mfma_f32_16x16x16f16 v[2:5], v[30:31], v[22:23], 0
	v_add_co_u32_e32 v6, vcc, v62, v6
	v_addc_co_u32_e32 v7, vcc, v63, v7, vcc
	global_load_dwordx4 v[14:17], v[6:7], off
	global_load_dwordx4 v[10:13], v[6:7], off offset:16
	s_waitcnt vmcnt(4)
	v_mad_i64_i32 v[6:7], s[2:3], v50, s41, 0
	v_mfma_f32_16x16x16f16 v[22:25], v[32:33], v[24:25], v[2:5]
	v_pk_mul_f32 v[46:47], s[0:1], v[28:29] op_sel_hi:[0,1]
	v_lshlrev_b64 v[6:7], 1, v[6:7]
	s_waitcnt vmcnt(3)
	v_mad_i64_i32 v[30:31], s[2:3], v51, s41, 0
	v_mfma_f32_16x16x16f16 v[22:25], v[58:59], v[18:19], v[22:25]
	v_pk_mul_f32 v[50:51], s[0:1], v[42:43] op_sel_hi:[0,1]
	v_pk_mul_f32 v[18:19], s[0:1], v[44:45] op_sel_hi:[0,1]
	;; [unrolled: 1-line block ×3, first 2 shown]
	v_add_co_u32_e32 v2, vcc, v62, v6
	v_addc_co_u32_e32 v3, vcc, v63, v7, vcc
	v_mfma_f32_16x16x16f16 v[20:23], v[60:61], v[20:21], v[22:25]
	v_lshlrev_b64 v[30:31], 1, v[30:31]
	v_add_co_u32_e32 v38, vcc, v62, v30
	v_addc_co_u32_e32 v39, vcc, v63, v31, vcc
	global_load_dwordx4 v[6:9], v[2:3], off
	s_nop 0
	global_load_dwordx4 v[2:5], v[2:3], off offset:16
	s_nop 4
	v_pk_mul_f32 v[42:43], s[0:1], v[20:21] op_sel_hi:[0,1]
	v_and_b32_e32 v20, 0xc0, v0
	v_add_u32_e32 v20, s9, v20
	v_lshl_or_b32 v20, v53, 2, v20
	v_pk_mul_f32 v[36:37], s[0:1], v[22:23] op_sel_hi:[0,1]
	v_or_b32_e32 v23, 1, v20
	v_mov_b32_e32 v21, 0xff7fffff
	v_cmp_gt_i32_e64 s[28:29], s33, v20
	v_cmp_gt_i32_e64 s[30:31], s33, v23
	v_cndmask_b32_e64 v22, v21, v18, s[28:29]
	v_cndmask_b32_e64 v23, v21, v19, s[30:31]
	v_max3_f32 v22, v22, s42, v23
	v_or_b32_e32 v23, 2, v20
	v_or_b32_e32 v24, 3, v20
	v_cmp_gt_i32_e64 s[34:35], s33, v23
	v_cmp_gt_i32_e64 s[36:37], s33, v24
	v_cndmask_b32_e64 v23, v21, v48, s[34:35]
	v_cndmask_b32_e64 v24, v21, v49, s[36:37]
	v_max3_f32 v22, v22, v23, v24
	v_or_b32_e32 v23, 16, v20
	v_or_b32_e32 v24, 17, v20
	;; [unrolled: 7-line block ×7, first 2 shown]
	v_cmp_gt_i32_e32 vcc, s33, v23
	v_cmp_gt_i32_e64 s[0:1], s33, v20
	v_cndmask_b32_e32 v23, v21, v36, vcc
	v_cndmask_b32_e64 v20, v21, v37, s[0:1]
	v_max3_f32 v26, v22, v23, v20
	v_mbcnt_lo_u32_b32 v20, -1, 0
	v_mbcnt_hi_u32_b32 v27, -1, v20
	v_and_b32_e32 v20, 64, v27
	v_add_u32_e32 v28, 64, v20
	v_xor_b32_e32 v20, 32, v27
	v_cmp_lt_i32_e64 s[38:39], v20, v28
	v_cndmask_b32_e64 v20, v27, v20, s[38:39]
	v_lshlrev_b32_e32 v58, 2, v20
	ds_bpermute_b32 v29, v58, v26
	s_waitcnt vmcnt(4)
	v_mad_i64_i32 v[20:21], s[38:39], v57, s41, 0
	v_lshlrev_b64 v[20:21], 1, v[20:21]
	global_load_dwordx4 v[30:33], v[38:39], off
	global_load_dwordx4 v[22:25], v[38:39], off offset:16
	s_waitcnt lgkmcnt(0)
	v_max_f32_e32 v29, v29, v29
	v_max_f32_e32 v26, v26, v29
	v_xor_b32_e32 v29, 16, v27
	v_cmp_lt_i32_e64 s[38:39], v29, v28
	v_cndmask_b32_e64 v27, v27, v29, s[38:39]
	v_lshlrev_b32_e32 v60, 2, v27
	ds_bpermute_b32 v27, v60, v26
	v_add_co_u32_e64 v20, s[38:39], v62, v20
	v_addc_co_u32_e64 v21, s[38:39], v63, v21, s[38:39]
	s_waitcnt lgkmcnt(0)
	v_max_f32_e32 v27, v27, v27
	v_max_f32_e32 v57, v26, v27
	v_sub_f32_e32 v18, v18, v57
	v_mul_f32_e32 v18, 0x3fb8aa3b, v18
	v_exp_f32_e32 v38, v18
	v_sub_f32_e32 v18, v19, v57
	v_mul_f32_e32 v18, 0x3fb8aa3b, v18
	v_exp_f32_e32 v39, v18
	global_load_dwordx4 v[26:29], v[20:21], off
	s_nop 0
	global_load_dwordx4 v[18:21], v[20:21], off offset:16
	v_sub_f32_e32 v48, v48, v57
	v_mul_f32_e32 v48, 0x3fb8aa3b, v48
	v_sub_f32_e32 v49, v49, v57
	v_exp_f32_e32 v48, v48
	v_mul_f32_e32 v49, 0x3fb8aa3b, v49
	v_sub_f32_e32 v40, v40, v57
	v_exp_f32_e32 v49, v49
	v_mul_f32_e32 v40, 0x3fb8aa3b, v40
	v_sub_f32_e32 v41, v41, v57
	v_cndmask_b32_e64 v38, 0, v38, s[28:29]
	v_exp_f32_e32 v40, v40
	v_mul_f32_e32 v41, 0x3fb8aa3b, v41
	v_sub_f32_e32 v50, v50, v57
	v_add_f32_e32 v59, 0, v38
	v_cndmask_b32_e64 v39, 0, v39, s[30:31]
	v_exp_f32_e32 v41, v41
	v_mul_f32_e32 v50, 0x3fb8aa3b, v50
	v_sub_f32_e32 v51, v51, v57
	v_add_f32_e32 v59, v59, v39
	;; [unrolled: 5-line block ×10, first 2 shown]
	v_cndmask_b32_e64 v46, 0, v46, s[10:11]
	v_exp_f32_e32 v36, v36
	v_mul_f32_e32 v37, 0x3fb8aa3b, v37
	v_add_f32_e32 v59, v59, v46
	v_cndmask_b32_e64 v47, 0, v47, s[12:13]
	v_exp_f32_e32 v37, v37
	v_add_f32_e32 v59, v59, v47
	v_cndmask_b32_e64 v42, 0, v42, s[2:3]
	v_add_f32_e32 v59, v59, v42
	v_cndmask_b32_e64 v43, 0, v43, s[8:9]
	v_add_f32_e32 v59, v59, v43
	v_cndmask_b32_e32 v36, 0, v36, vcc
	v_add_f32_e32 v59, v59, v36
	v_cndmask_b32_e64 v37, 0, v37, s[0:1]
	v_add_f32_e32 v59, v59, v37
	ds_bpermute_b32 v58, v58, v59
	v_cmp_gt_u32_e32 vcc, 16, v56
	s_waitcnt lgkmcnt(0)
	s_barrier
	v_add_f32_e32 v59, v59, v58
	ds_bpermute_b32 v60, v60, v59
	v_lshlrev_b32_e32 v58, 2, v54
	s_and_saveexec_b64 s[0:1], vcc
	s_cbranch_execz .LBB95_15
; %bb.14:
	s_waitcnt lgkmcnt(0)
	v_add_f32_e32 v56, v59, v60
	v_lshl_or_b32 v59, v55, 6, v58
	ds_write2st64_b32 v59, v57, v56 offset1:1
.LBB95_15:
	s_or_b64 exec, exec, s[0:1]
	s_load_dword s2, s[4:5], 0x94
	s_waitcnt lgkmcnt(0)
	s_barrier
	ds_read2_b32 v[60:61], v58 offset1:16
	ds_read2_b32 v[62:63], v58 offset0:32 offset1:48
	ds_read2_b32 v[64:65], v58 offset0:64 offset1:80
	;; [unrolled: 1-line block ×3, first 2 shown]
	s_waitcnt lgkmcnt(0)
	v_max3_f32 v56, v60, s42, v61
	v_max3_f32 v56, v56, v62, v63
	v_sub_f32_e32 v57, v60, v56
	v_mul_f32_e32 v57, 0x3fb8aa3b, v57
	v_exp_f32_e32 v60, v57
	v_sub_f32_e32 v57, v61, v56
	v_mul_f32_e32 v57, 0x3fb8aa3b, v57
	v_exp_f32_e32 v61, v57
	;; [unrolled: 3-line block ×4, first 2 shown]
	v_fma_f32 v57, v60, v64, 0
	v_fmac_f32_e32 v57, v61, v65
	v_fmac_f32_e32 v57, v62, v58
	;; [unrolled: 1-line block ×3, first 2 shown]
	v_add_f32_e32 v58, 0x358637bd, v57
	v_div_scale_f32 v59, s[0:1], v58, v58, 1.0
	v_rcp_f32_e32 v64, v59
	s_barrier
	s_lshl_b32 s3, s40, 2
	v_fma_f32 v65, -v59, v64, 1.0
	v_fmac_f32_e32 v64, v65, v64
	v_div_scale_f32 v65, vcc, 1.0, v58, 1.0
	v_mul_f32_e32 v66, v65, v64
	v_fma_f32 v67, -v59, v66, v65
	v_fmac_f32_e32 v66, v67, v64
	v_fma_f32 v59, -v59, v66, v65
	v_div_fmas_f32 v59, v59, v64, v66
	v_cmp_eq_u32_e32 vcc, 1, v55
	v_div_fixup_f32 v58, v59, v58, 1.0
	v_cndmask_b32_e32 v59, v60, v61, vcc
	v_cmp_eq_u32_e32 vcc, 2, v55
	v_cndmask_b32_e32 v59, v59, v62, vcc
	v_cmp_eq_u32_e32 vcc, 3, v55
	v_cndmask_b32_e32 v59, v59, v63, vcc
	v_mul_f32_e32 v58, v59, v58
	v_pk_mul_f32 v[48:49], v[58:59], v[48:49] op_sel_hi:[0,1]
	v_pk_mul_f32 v[38:39], v[58:59], v[38:39] op_sel_hi:[0,1]
	v_cvt_f16_f32_e32 v59, v48
	v_cvt_f16_f32_e32 v38, v38
	;; [unrolled: 1-line block ×4, first 2 shown]
	v_pk_mul_f32 v[50:51], v[58:59], v[50:51] op_sel_hi:[0,1]
	v_pk_mul_f32 v[40:41], v[58:59], v[40:41] op_sel_hi:[0,1]
	v_cvt_f16_f32_e32 v40, v40
	v_cvt_f16_f32_e32 v41, v41
	;; [unrolled: 1-line block ×4, first 2 shown]
	v_pack_b32_f16 v48, v38, v39
	v_lshlrev_b32_e32 v38, 3, v53
	v_lshlrev_b32_e32 v39, 5, v54
	;; [unrolled: 1-line block ×3, first 2 shown]
	v_pack_b32_f16 v49, v59, v49
	v_or3_b32 v38, v54, v39, v38
	v_pack_b32_f16 v40, v40, v41
	v_pack_b32_f16 v41, v50, v51
	ds_write2st64_b64 v38, v[48:49], v[40:41] offset1:1
	v_pk_mul_f32 v[40:41], v[58:59], v[46:47] op_sel_hi:[0,1]
	v_pk_mul_f32 v[44:45], v[58:59], v[44:45] op_sel_hi:[0,1]
	v_cvt_f16_f32_e32 v46, v40
	v_cvt_f16_f32_e32 v47, v41
	v_pk_mul_f32 v[36:37], v[58:59], v[36:37] op_sel_hi:[0,1]
	v_pk_mul_f32 v[40:41], v[58:59], v[42:43] op_sel_hi:[0,1]
	v_cvt_f16_f32_e32 v44, v44
	v_cvt_f16_f32_e32 v45, v45
	;; [unrolled: 1-line block ×6, first 2 shown]
	v_pack_b32_f16 v36, v44, v45
	v_pack_b32_f16 v37, v46, v47
	;; [unrolled: 1-line block ×4, first 2 shown]
	v_cmp_gt_u32_e32 vcc, 4, v0
	ds_write2st64_b64 v38, v[36:37], v[40:41] offset0:2 offset1:3
	s_and_saveexec_b64 s[0:1], vcc
	s_cbranch_execz .LBB95_17
; %bb.16:
	v_or_b32_e32 v36, s27, v0
	v_mov_b32_e32 v37, 0
	v_mov_b32_e32 v40, s3
	v_mad_u64_u32 v[40:41], s[12:13], s6, v40, v[36:37]
	v_mov_b32_e32 v36, s26
	s_load_dwordx4 s[8:11], s[4:5], 0x58
	s_mul_i32 s7, s7, s3
	v_mad_u64_u32 v[36:37], s[12:13], v40, s2, v[36:37]
	v_add_u32_e32 v41, s7, v41
	v_mov_b32_e32 v40, v37
	v_mad_u64_u32 v[40:41], s[12:13], v41, s2, v[40:41]
	v_mov_b32_e32 v37, v40
	v_lshlrev_b64 v[36:37], 2, v[36:37]
	s_waitcnt lgkmcnt(0)
	v_mov_b32_e32 v41, s11
	v_add_co_u32_e32 v40, vcc, s10, v36
	v_addc_co_u32_e32 v41, vcc, v41, v37, vcc
	global_store_dword v[40:41], v56, off
	v_mov_b32_e32 v40, s9
	v_add_co_u32_e32 v36, vcc, s8, v36
	v_addc_co_u32_e32 v37, vcc, v40, v37, vcc
	global_store_dword v[36:37], v57, off
.LBB95_17:
	s_or_b64 exec, exec, s[0:1]
	v_lshl_or_b32 v36, v53, 9, v39
	s_waitcnt lgkmcnt(0)
	s_barrier
	ds_read_b128 v[40:43], v36
	ds_read_b128 v[44:47], v36 offset:16
	s_waitcnt vmcnt(7) lgkmcnt(1)
	v_mfma_f32_16x16x16f16 v[48:51], v[14:15], v[40:41], 0
	s_mov_b32 s1, 0
	v_mfma_f32_16x16x16f16 v[14:17], v[16:17], v[42:43], v[48:51]
	s_waitcnt vmcnt(6) lgkmcnt(0)
	v_mfma_f32_16x16x16f16 v[14:17], v[10:11], v[44:45], v[14:17]
	v_mfma_f32_16x16x16f16 v[10:13], v[12:13], v[46:47], v[14:17]
	s_nop 7
	s_nop 1
	ds_read_b128 v[14:17], v36 offset:2048
	ds_read_b128 v[40:43], v36 offset:2064
	s_waitcnt vmcnt(5) lgkmcnt(1)
	v_mfma_f32_16x16x16f16 v[10:13], v[6:7], v[14:15], v[10:13]
	v_mfma_f32_16x16x16f16 v[6:9], v[8:9], v[16:17], v[10:13]
	s_waitcnt vmcnt(4) lgkmcnt(0)
	v_mfma_f32_16x16x16f16 v[6:9], v[2:3], v[40:41], v[6:9]
	v_mfma_f32_16x16x16f16 v[2:5], v[4:5], v[42:43], v[6:9]
	s_nop 7
	s_nop 1
	ds_read_b128 v[6:9], v36 offset:4096
	ds_read_b128 v[10:13], v36 offset:4112
	s_waitcnt vmcnt(3) lgkmcnt(1)
	v_mfma_f32_16x16x16f16 v[2:5], v[30:31], v[6:7], v[2:5]
	v_mfma_f32_16x16x16f16 v[2:5], v[32:33], v[8:9], v[2:5]
	s_waitcnt vmcnt(2) lgkmcnt(0)
	v_mfma_f32_16x16x16f16 v[2:5], v[22:23], v[10:11], v[2:5]
	v_mfma_f32_16x16x16f16 v[2:5], v[24:25], v[12:13], v[2:5]
	ds_read_b128 v[6:9], v36 offset:6144
	ds_read_b128 v[10:13], v36 offset:6160
	s_waitcnt lgkmcnt(0)
	s_barrier
	s_waitcnt vmcnt(1)
	v_mfma_f32_16x16x16f16 v[2:5], v[26:27], v[6:7], v[2:5]
	v_mfma_f32_16x16x16f16 v[2:5], v[28:29], v[8:9], v[2:5]
	s_waitcnt vmcnt(0)
	v_mfma_f32_16x16x16f16 v[2:5], v[18:19], v[10:11], v[2:5]
	v_mfma_f32_16x16x16f16 v[2:5], v[20:21], v[12:13], v[2:5]
	s_nop 7
	s_nop 2
	v_cvt_f16_f32_e32 v2, v2
	v_cvt_f16_f32_e32 v3, v3
	;; [unrolled: 1-line block ×4, first 2 shown]
	v_pack_b32_f16 v2, v2, v3
	v_pack_b32_f16 v3, v4, v5
	ds_write_b64 v38, v[2:3]
	s_waitcnt lgkmcnt(0)
	s_barrier
	s_and_saveexec_b64 s[8:9], s[44:45]
	s_cbranch_execz .LBB95_19
; %bb.18:
	s_load_dwordx2 s[4:5], s[4:5], 0x68
	s_lshl_b32 s7, s2, 6
	s_mul_i32 s0, s3, s6
	s_mul_hi_u32 s3, s0, s7
	s_mul_i32 s2, s0, s7
	s_lshl_b64 s[2:3], s[2:3], 1
	s_waitcnt lgkmcnt(0)
	s_add_u32 s2, s4, s2
	v_lshlrev_b32_e32 v2, 10, v0
	v_lshlrev_b32_e32 v0, 4, v0
	s_addc_u32 s3, s5, s3
	s_lshl_b32 s0, s26, 6
	v_and_b32_e32 v2, 0x1800, v2
	v_and_b32_e32 v0, 16, v0
	s_lshl_b64 s[0:1], s[0:1], 1
	v_or3_b32 v0, v2, v52, v0
	s_add_u32 s2, s2, s0
	ds_read_b128 v[2:5], v0
	s_addc_u32 s3, s3, s1
	v_mad_u64_u32 v[0:1], s[0:1], s7, v1, 0
	v_lshlrev_b64 v[0:1], 1, v[0:1]
	v_mov_b32_e32 v6, s3
	v_add_co_u32_e32 v0, vcc, s2, v0
	v_addc_co_u32_e32 v1, vcc, v6, v1, vcc
	v_add_co_u32_e32 v0, vcc, v0, v34
	v_addc_co_u32_e32 v1, vcc, v1, v35, vcc
	s_waitcnt lgkmcnt(0)
	global_store_dwordx4 v[0:1], v[2:5], off
.LBB95_19:
	s_endpgm
	.section	.rodata,"a",@progbits
	.p2align	6, 0x0
	.amdhsa_kernel _Z39paged_attention_ll4mi_QKV_mfma16_kernelIDF16_DF16_LN4vllm18Fp8KVCacheDataTypeE0EDF16_Li32ELi64ELi256ELb0ELi4EL8MFMAType0EEvPKT_PKT0_S8_ifPKiSA_SA_iPKfiiiPfSD_PS3_PT2_iSC_SC_
		.amdhsa_group_segment_fixed_size 8192
		.amdhsa_private_segment_fixed_size 0
		.amdhsa_kernarg_size 400
		.amdhsa_user_sgpr_count 6
		.amdhsa_user_sgpr_private_segment_buffer 1
		.amdhsa_user_sgpr_dispatch_ptr 0
		.amdhsa_user_sgpr_queue_ptr 0
		.amdhsa_user_sgpr_kernarg_segment_ptr 1
		.amdhsa_user_sgpr_dispatch_id 0
		.amdhsa_user_sgpr_flat_scratch_init 0
		.amdhsa_user_sgpr_kernarg_preload_length 0
		.amdhsa_user_sgpr_kernarg_preload_offset 0
		.amdhsa_user_sgpr_private_segment_size 0
		.amdhsa_uses_dynamic_stack 0
		.amdhsa_system_sgpr_private_segment_wavefront_offset 0
		.amdhsa_system_sgpr_workgroup_id_x 1
		.amdhsa_system_sgpr_workgroup_id_y 1
		.amdhsa_system_sgpr_workgroup_id_z 1
		.amdhsa_system_sgpr_workgroup_info 0
		.amdhsa_system_vgpr_workitem_id 0
		.amdhsa_next_free_vgpr 68
		.amdhsa_next_free_sgpr 46
		.amdhsa_accum_offset 68
		.amdhsa_reserve_vcc 1
		.amdhsa_reserve_flat_scratch 0
		.amdhsa_float_round_mode_32 0
		.amdhsa_float_round_mode_16_64 0
		.amdhsa_float_denorm_mode_32 3
		.amdhsa_float_denorm_mode_16_64 3
		.amdhsa_dx10_clamp 1
		.amdhsa_ieee_mode 1
		.amdhsa_fp16_overflow 0
		.amdhsa_tg_split 0
		.amdhsa_exception_fp_ieee_invalid_op 0
		.amdhsa_exception_fp_denorm_src 0
		.amdhsa_exception_fp_ieee_div_zero 0
		.amdhsa_exception_fp_ieee_overflow 0
		.amdhsa_exception_fp_ieee_underflow 0
		.amdhsa_exception_fp_ieee_inexact 0
		.amdhsa_exception_int_div_zero 0
	.end_amdhsa_kernel
	.section	.text._Z39paged_attention_ll4mi_QKV_mfma16_kernelIDF16_DF16_LN4vllm18Fp8KVCacheDataTypeE0EDF16_Li32ELi64ELi256ELb0ELi4EL8MFMAType0EEvPKT_PKT0_S8_ifPKiSA_SA_iPKfiiiPfSD_PS3_PT2_iSC_SC_,"axG",@progbits,_Z39paged_attention_ll4mi_QKV_mfma16_kernelIDF16_DF16_LN4vllm18Fp8KVCacheDataTypeE0EDF16_Li32ELi64ELi256ELb0ELi4EL8MFMAType0EEvPKT_PKT0_S8_ifPKiSA_SA_iPKfiiiPfSD_PS3_PT2_iSC_SC_,comdat
.Lfunc_end95:
	.size	_Z39paged_attention_ll4mi_QKV_mfma16_kernelIDF16_DF16_LN4vllm18Fp8KVCacheDataTypeE0EDF16_Li32ELi64ELi256ELb0ELi4EL8MFMAType0EEvPKT_PKT0_S8_ifPKiSA_SA_iPKfiiiPfSD_PS3_PT2_iSC_SC_, .Lfunc_end95-_Z39paged_attention_ll4mi_QKV_mfma16_kernelIDF16_DF16_LN4vllm18Fp8KVCacheDataTypeE0EDF16_Li32ELi64ELi256ELb0ELi4EL8MFMAType0EEvPKT_PKT0_S8_ifPKiSA_SA_iPKfiiiPfSD_PS3_PT2_iSC_SC_
                                        ; -- End function
	.section	.AMDGPU.csdata,"",@progbits
; Kernel info:
; codeLenInByte = 3948
; NumSgprs: 50
; NumVgprs: 68
; NumAgprs: 0
; TotalNumVgprs: 68
; ScratchSize: 0
; MemoryBound: 0
; FloatMode: 240
; IeeeMode: 1
; LDSByteSize: 8192 bytes/workgroup (compile time only)
; SGPRBlocks: 6
; VGPRBlocks: 8
; NumSGPRsForWavesPerEU: 50
; NumVGPRsForWavesPerEU: 68
; AccumOffset: 68
; Occupancy: 7
; WaveLimiterHint : 1
; COMPUTE_PGM_RSRC2:SCRATCH_EN: 0
; COMPUTE_PGM_RSRC2:USER_SGPR: 6
; COMPUTE_PGM_RSRC2:TRAP_HANDLER: 0
; COMPUTE_PGM_RSRC2:TGID_X_EN: 1
; COMPUTE_PGM_RSRC2:TGID_Y_EN: 1
; COMPUTE_PGM_RSRC2:TGID_Z_EN: 1
; COMPUTE_PGM_RSRC2:TIDIG_COMP_CNT: 0
; COMPUTE_PGM_RSRC3_GFX90A:ACCUM_OFFSET: 16
; COMPUTE_PGM_RSRC3_GFX90A:TG_SPLIT: 0
	.section	.text._Z38paged_attention_ll4mi_QKV_mfma4_kernelIDF16_DF16_LN4vllm18Fp8KVCacheDataTypeE0EDF16_Li16ELi128ELi256ELb1ELi1EEvPKT_PKT0_S7_ifPKiS9_S9_iPKfiiiPfSC_PS2_PT2_iSB_SB_,"axG",@progbits,_Z38paged_attention_ll4mi_QKV_mfma4_kernelIDF16_DF16_LN4vllm18Fp8KVCacheDataTypeE0EDF16_Li16ELi128ELi256ELb1ELi1EEvPKT_PKT0_S7_ifPKiS9_S9_iPKfiiiPfSC_PS2_PT2_iSB_SB_,comdat
	.protected	_Z38paged_attention_ll4mi_QKV_mfma4_kernelIDF16_DF16_LN4vllm18Fp8KVCacheDataTypeE0EDF16_Li16ELi128ELi256ELb1ELi1EEvPKT_PKT0_S7_ifPKiS9_S9_iPKfiiiPfSC_PS2_PT2_iSB_SB_ ; -- Begin function _Z38paged_attention_ll4mi_QKV_mfma4_kernelIDF16_DF16_LN4vllm18Fp8KVCacheDataTypeE0EDF16_Li16ELi128ELi256ELb1ELi1EEvPKT_PKT0_S7_ifPKiS9_S9_iPKfiiiPfSC_PS2_PT2_iSB_SB_
	.globl	_Z38paged_attention_ll4mi_QKV_mfma4_kernelIDF16_DF16_LN4vllm18Fp8KVCacheDataTypeE0EDF16_Li16ELi128ELi256ELb1ELi1EEvPKT_PKT0_S7_ifPKiS9_S9_iPKfiiiPfSC_PS2_PT2_iSB_SB_
	.p2align	8
	.type	_Z38paged_attention_ll4mi_QKV_mfma4_kernelIDF16_DF16_LN4vllm18Fp8KVCacheDataTypeE0EDF16_Li16ELi128ELi256ELb1ELi1EEvPKT_PKT0_S7_ifPKiS9_S9_iPKfiiiPfSC_PS2_PT2_iSB_SB_,@function
_Z38paged_attention_ll4mi_QKV_mfma4_kernelIDF16_DF16_LN4vllm18Fp8KVCacheDataTypeE0EDF16_Li16ELi128ELi256ELb1ELi1EEvPKT_PKT0_S7_ifPKiS9_S9_iPKfiiiPfSC_PS2_PT2_iSB_SB_: ; @_Z38paged_attention_ll4mi_QKV_mfma4_kernelIDF16_DF16_LN4vllm18Fp8KVCacheDataTypeE0EDF16_Li16ELi128ELi256ELb1ELi1EEvPKT_PKT0_S7_ifPKiS9_S9_iPKfiiiPfSC_PS2_PT2_iSB_SB_
; %bb.0:
	s_load_dwordx2 s[2:3], s[4:5], 0x30
	s_mov_b32 s20, s7
	s_mov_b64 s[0:1], 0
	s_waitcnt lgkmcnt(0)
	s_cmp_lg_u64 s[2:3], 0
	s_cselect_b64 s[10:11], -1, 0
	s_and_b64 vcc, exec, s[10:11]
	s_cbranch_vccz .LBB96_10
; %bb.1:
	s_add_i32 s12, s6, 1
	s_mov_b32 s13, 0
	s_lshl_b64 s[14:15], s[12:13], 2
	s_add_u32 s14, s2, s14
	s_mov_b32 s7, s13
	s_addc_u32 s15, s3, s15
	s_lshl_b64 s[12:13], s[6:7], 2
	s_add_u32 s12, s2, s12
	s_addc_u32 s13, s3, s13
	s_load_dword s9, s[14:15], 0x0
	s_load_dword s16, s[12:13], 0x0
	s_waitcnt lgkmcnt(0)
	s_sub_i32 s9, s9, s16
	s_cmp_eq_u32 s9, 1
	s_cselect_b64 s[12:13], -1, 0
	s_andn2_b64 vcc, exec, s[0:1]
	s_cbranch_vccnz .LBB96_3
.LBB96_2:
	s_mov_b32 s7, 0
	s_mov_b64 s[12:13], -1
.LBB96_3:
	s_andn2_b64 vcc, exec, s[12:13]
	s_cbranch_vccnz .LBB96_27
; %bb.4:
	s_load_dword s9, s[4:5], 0x9c
	s_load_dwordx2 s[0:1], s[4:5], 0x28
	s_add_u32 s24, s4, 0x90
	s_addc_u32 s25, s5, 0
	s_lshl_b64 s[16:17], s[6:7], 2
	s_waitcnt lgkmcnt(0)
	s_and_b32 s9, s9, 0xffff
	s_add_u32 s0, s0, s16
	s_addc_u32 s1, s1, s17
	s_load_dword s21, s[0:1], 0x0
	s_mul_i32 s9, s20, s9
	s_waitcnt lgkmcnt(0)
	s_cmp_ge_i32 s9, s21
	s_cbranch_scc1 .LBB96_27
; %bb.5:
	v_and_b32_e32 v1, 0xc0, v0
	v_add_u32_e32 v2, s9, v1
	v_lshrrev_b32_e32 v86, 6, v0
	v_cmp_le_i32_e64 s[0:1], s21, v2
                                        ; implicit-def: $sgpr19
                                        ; implicit-def: $sgpr18
	s_and_saveexec_b64 s[12:13], s[0:1]
	s_xor_b64 s[12:13], exec, s[12:13]
	s_cbranch_execz .LBB96_7
; %bb.6:
	v_mul_u32_u24_e32 v1, 20, v86
	v_or_b32_e32 v1, 0x1400, v1
	v_mov_b32_e32 v2, 0x1450
	v_mov_b32_e32 v3, 0xff7fffff
	v_mad_u32_u24 v2, v86, 20, v2
	ds_write2_b32 v1, v3, v3 offset1:1
	v_mov_b32_e32 v1, 0
	ds_write2_b32 v2, v1, v1 offset1:1
	v_mov_b32_e32 v2, 0x1408
	s_mov_b32 s18, 0xff7fffff
	s_mov_b32 s19, 0
	v_mad_u32_u24 v2, v86, 20, v2
	v_mov_b32_e32 v4, 0x1458
	v_mad_u32_u24 v4, v86, 20, v4
	ds_write2_b32 v2, v3, v3 offset1:1
	ds_write2_b32 v4, v1, v1 offset1:1
                                        ; implicit-def: $vgpr2
.LBB96_7:
	s_or_saveexec_b64 s[26:27], s[12:13]
	s_load_dwordx2 s[22:23], s[4:5], 0x68
	s_load_dwordx4 s[12:15], s[4:5], 0x58
	s_load_dword s7, s[24:25], 0x4
	v_and_b32_e32 v1, 63, v0
	v_and_b32_e32 v87, 3, v0
	v_mov_b32_e32 v69, s19
	v_mov_b32_e32 v70, s18
	;; [unrolled: 1-line block ×5, first 2 shown]
                                        ; implicit-def: $vgpr7
                                        ; implicit-def: $vgpr3
                                        ; implicit-def: $vgpr19
                                        ; implicit-def: $vgpr23
                                        ; implicit-def: $vgpr27
                                        ; implicit-def: $vgpr31
                                        ; implicit-def: $vgpr43
                                        ; implicit-def: $vgpr47
                                        ; implicit-def: $vgpr11
                                        ; implicit-def: $vgpr15
                                        ; implicit-def: $vgpr35
                                        ; implicit-def: $vgpr39
                                        ; implicit-def: $vgpr51
                                        ; implicit-def: $vgpr55
                                        ; implicit-def: $vgpr59
                                        ; implicit-def: $vgpr63
	s_xor_b64 exec, exec, s[26:27]
	s_cbranch_execz .LBB96_19
; %bb.8:
	s_add_i32 s29, s21, 15
	s_load_dwordx2 s[18:19], s[4:5], 0x20
	s_load_dword s28, s[4:5], 0x38
	s_ashr_i32 s30, s29, 31
	s_lshr_b32 s30, s30, 28
	v_add_u32_e32 v88, s9, v0
	s_add_i32 s29, s29, s30
	v_ashrrev_i32_e32 v3, 31, v88
	s_ashr_i32 s29, s29, 4
	v_lshrrev_b32_e32 v3, 28, v3
	s_add_i32 s30, s29, -1
	v_add_u32_e32 v3, v88, v3
	s_waitcnt lgkmcnt(0)
	s_mul_i32 s28, s6, s28
	s_mov_b32 s29, 0
	v_ashrrev_i32_e32 v3, 4, v3
	v_mov_b32_e32 v4, s30
	v_cmp_gt_i32_e32 vcc, s21, v88
	s_lshl_b64 s[28:29], s[28:29], 2
	v_cndmask_b32_e32 v4, v4, v3, vcc
	s_add_u32 s18, s18, s28
	v_ashrrev_i32_e32 v5, 31, v4
	s_addc_u32 s19, s19, s29
	v_lshlrev_b64 v[4:5], 2, v[4:5]
	v_mov_b32_e32 v3, s19
	v_add_co_u32_e32 v4, vcc, s18, v4
	v_addc_co_u32_e32 v5, vcc, v3, v5, vcc
	v_ashrrev_i32_e32 v3, 31, v2
	v_lshrrev_b32_e32 v3, 28, v3
	v_add_u32_e32 v2, v2, v3
	v_ashrrev_i32_e32 v12, 4, v2
	v_min_i32_e32 v2, s30, v12
	v_ashrrev_i32_e32 v3, 31, v2
	v_lshlrev_b64 v[2:3], 2, v[2:3]
	v_add_co_u32_e32 v6, vcc, s18, v2
	v_add_u32_e32 v2, 1, v12
	v_mov_b32_e32 v7, s19
	v_min_i32_e32 v2, s30, v2
	v_addc_co_u32_e32 v7, vcc, v7, v3, vcc
	v_ashrrev_i32_e32 v3, 31, v2
	v_lshlrev_b64 v[2:3], 2, v[2:3]
	v_add_co_u32_e32 v8, vcc, s18, v2
	v_add_u32_e32 v2, 2, v12
	v_mov_b32_e32 v9, s19
	v_min_i32_e32 v2, s30, v2
	v_addc_co_u32_e32 v9, vcc, v9, v3, vcc
	;; [unrolled: 7-line block ×3, first 2 shown]
	v_ashrrev_i32_e32 v3, 31, v2
	v_lshlrev_b64 v[2:3], 2, v[2:3]
	v_mov_b32_e32 v13, s19
	v_add_co_u32_e32 v12, vcc, s18, v2
	v_addc_co_u32_e32 v13, vcc, v13, v3, vcc
	global_load_dword v3, v[4:5], off
	global_load_dword v2, v[6:7], off
	;; [unrolled: 1-line block ×5, first 2 shown]
	s_load_dwordx2 s[30:31], s[4:5], 0x8
	s_andn2_b64 vcc, exec, s[10:11]
	s_cbranch_vccnz .LBB96_11
; %bb.9:
	s_add_u32 s2, s2, s16
	s_addc_u32 s3, s3, s17
	s_load_dword s9, s[2:3], 0x0
	s_branch .LBB96_12
.LBB96_10:
	s_mov_b64 s[12:13], 0
	s_branch .LBB96_2
.LBB96_11:
	s_mov_b32 s9, s6
.LBB96_12:
	s_load_dwordx2 s[10:11], s[4:5], 0x10
	s_load_dwordx4 s[16:19], s[4:5], 0x48
	v_cmp_eq_u32_e32 vcc, 0, v87
	s_mov_b32 s29, 0
	v_mov_b32_e32 v90, 0
	v_mov_b32_e32 v58, 0
	;; [unrolled: 1-line block ×5, first 2 shown]
	s_and_saveexec_b64 s[2:3], vcc
	s_cbranch_execz .LBB96_14
; %bb.13:
	s_load_dwordx2 s[34:35], s[4:5], 0x0
	s_waitcnt lgkmcnt(0)
	s_ashr_i32 s19, s16, 31
	s_mul_hi_u32 s28, s9, s16
	s_mul_i32 s19, s9, s19
	s_add_i32 s37, s28, s19
	s_mul_i32 s36, s9, s16
	s_lshl_b64 s[36:37], s[36:37], 1
	s_add_u32 s9, s34, s36
	s_addc_u32 s16, s35, s37
	s_lshl_b32 s28, s8, 7
	s_lshl_b64 s[34:35], s[28:29], 1
	s_add_u32 s34, s9, s34
	s_addc_u32 s35, s16, s35
	v_lshlrev_b32_e32 v4, 2, v1
	global_load_dwordx4 v[58:61], v4, s[34:35]
.LBB96_14:
	s_or_b64 exec, exec, s[2:3]
	s_waitcnt lgkmcnt(0)
	s_mul_i32 s28, s8, s18
	s_waitcnt vmcnt(4)
	v_mad_i64_i32 v[4:5], s[2:3], v3, s17, 0
	s_lshl_b64 s[18:19], s[28:29], 1
	s_add_u32 s2, s18, s30
	v_lshlrev_b64 v[4:5], 1, v[4:5]
	s_addc_u32 s3, s19, s31
	v_mov_b32_e32 v3, s3
	v_add_co_u32_e64 v4, s[2:3], s2, v4
	v_addc_co_u32_e64 v3, s[2:3], v3, v5, s[2:3]
	v_and_b32_e32 v5, 15, v0
	v_lshlrev_b32_e32 v5, 4, v5
	v_add_co_u32_e64 v4, s[2:3], v4, v5
	v_addc_co_u32_e64 v5, s[2:3], 0, v3, s[2:3]
	global_load_dwordx4 v[82:85], v[4:5], off
	global_load_dwordx4 v[38:41], v[4:5], off offset:256
	global_load_dwordx4 v[22:25], v[4:5], off offset:512
	;; [unrolled: 1-line block ×15, first 2 shown]
	v_mov_b32_e32 v93, 0
	s_and_saveexec_b64 s[2:3], vcc
	s_cbranch_execz .LBB96_16
; %bb.15:
	s_load_dwordx2 s[30:31], s[4:5], 0x40
	s_mov_b32 s9, s29
	s_lshl_b64 s[28:29], s[8:9], 2
	v_mov_b32_e32 v90, 1.0
	s_waitcnt lgkmcnt(0)
	s_add_u32 s28, s30, s28
	s_addc_u32 s29, s31, s29
	s_load_dword s9, s[28:29], 0x0
	s_waitcnt lgkmcnt(0)
	v_mov_b32_e32 v93, s9
.LBB96_16:
	s_or_b64 exec, exec, s[2:3]
	s_waitcnt vmcnt(15)
	v_mfma_f32_4x4x4f16 a[0:3], v[58:59], v[82:83], 0 cbsz:4
	v_mul_hi_i32 v3, v2, s17
	v_mfma_f32_4x4x4f16 a[0:3], v[60:61], v[84:85], a[0:3] cbsz:4
	v_ashrrev_i32_e32 v3, 31, v3
	s_waitcnt vmcnt(14)
	v_mfma_f32_4x4x4f16 a[0:3], v[58:59], v[38:39], a[0:3] cbsz:4 abid:1
	v_lshrrev_b32_e32 v94, 29, v3
	v_mfma_f32_4x4x4f16 a[0:3], v[60:61], v[40:41], a[0:3] cbsz:4 abid:1
	v_mov_b32_e32 v95, 0
	s_waitcnt vmcnt(13)
	v_mfma_f32_4x4x4f16 a[0:3], v[58:59], v[22:23], a[0:3] cbsz:4 abid:2
	s_load_dword s2, s[4:5], 0x1c
	v_mfma_f32_4x4x4f16 a[0:3], v[60:61], v[24:25], a[0:3] cbsz:4 abid:2
	v_mad_i64_i32 v[2:3], s[4:5], v2, s17, v[94:95]
	s_waitcnt vmcnt(12)
	v_mfma_f32_4x4x4f16 a[0:3], v[58:59], v[18:19], a[0:3] cbsz:4 abid:3
	s_add_u32 s3, s10, s18
	v_mfma_f32_4x4x4f16 a[0:3], v[60:61], v[20:21], a[0:3] cbsz:4 abid:3
	v_lshlrev_b64 v[2:3], 1, v[2:3]
	s_waitcnt vmcnt(11)
	v_mfma_f32_4x4x4f16 a[0:3], v[58:59], v[34:35], a[0:3] cbsz:4 abid:4
	v_mul_hi_i32 v94, v92, s17
	v_mfma_f32_4x4x4f16 a[0:3], v[60:61], v[36:37], a[0:3] cbsz:4 abid:4
	s_addc_u32 s9, s11, s19
	s_waitcnt vmcnt(10)
	v_mfma_f32_4x4x4f16 a[0:3], v[58:59], v[78:79], a[0:3] cbsz:4 abid:5
	v_and_b32_e32 v2, -16, v2
	v_mfma_f32_4x4x4f16 a[0:3], v[60:61], v[80:81], a[0:3] cbsz:4 abid:5
	v_ashrrev_i32_e32 v82, 31, v94
	s_waitcnt vmcnt(9)
	v_mfma_f32_4x4x4f16 a[0:3], v[58:59], v[54:55], a[0:3] cbsz:4 abid:6
	v_mov_b32_e32 v4, s9
	v_mfma_f32_4x4x4f16 a[0:3], v[60:61], v[56:57], a[0:3] cbsz:4 abid:6
	v_add_co_u32_e32 v2, vcc, s3, v2
	s_waitcnt vmcnt(8)
	v_mfma_f32_4x4x4f16 a[0:3], v[58:59], v[50:51], a[0:3] cbsz:4 abid:7
	v_lshrrev_b32_e32 v94, 29, v82
	v_mfma_f32_4x4x4f16 a[0:3], v[60:61], v[52:53], a[0:3] cbsz:4 abid:7
	v_addc_co_u32_e32 v3, vcc, v4, v3, vcc
	s_waitcnt vmcnt(7)
	v_mfma_f32_4x4x4f16 a[0:3], v[58:59], v[30:31], a[0:3] cbsz:4 abid:8
	v_lshlrev_b32_e32 v98, 5, v1
	v_mfma_f32_4x4x4f16 a[0:3], v[60:61], v[32:33], a[0:3] cbsz:4 abid:8
	v_mad_i64_i32 v[38:39], s[4:5], v92, s17, v[94:95]
	s_waitcnt vmcnt(6)
	v_mfma_f32_4x4x4f16 a[0:3], v[58:59], v[26:27], a[0:3] cbsz:4 abid:9
	v_add_co_u32_e32 v96, vcc, v2, v98
	v_mfma_f32_4x4x4f16 a[0:3], v[60:61], v[28:29], a[0:3] cbsz:4 abid:9
	v_lshlrev_b64 v[38:39], 1, v[38:39]
	s_waitcnt vmcnt(5)
	v_mfma_f32_4x4x4f16 a[0:3], v[58:59], v[74:75], a[0:3] cbsz:4 abid:10
	v_mul_hi_i32 v78, v91, s17
	v_mfma_f32_4x4x4f16 a[0:3], v[60:61], v[76:77], a[0:3] cbsz:4 abid:10
	v_addc_co_u32_e32 v97, vcc, 0, v3, vcc
	s_waitcnt vmcnt(4)
	v_mfma_f32_4x4x4f16 a[0:3], v[58:59], v[70:71], a[0:3] cbsz:4 abid:11
	v_and_b32_e32 v22, -16, v38
	v_mfma_f32_4x4x4f16 a[0:3], v[60:61], v[72:73], a[0:3] cbsz:4 abid:11
	v_ashrrev_i32_e32 v78, 31, v78
	s_waitcnt vmcnt(3)
	v_mfma_f32_4x4x4f16 a[0:3], v[58:59], v[66:67], a[0:3] cbsz:4 abid:12
	v_mov_b32_e32 v23, s9
	v_mfma_f32_4x4x4f16 a[0:3], v[60:61], v[68:69], a[0:3] cbsz:4 abid:12
	v_add_co_u32_e32 v18, vcc, s3, v22
	s_waitcnt vmcnt(2)
	v_mfma_f32_4x4x4f16 a[0:3], v[58:59], v[46:47], a[0:3] cbsz:4 abid:13
	v_lshrrev_b32_e32 v94, 29, v78
	v_mfma_f32_4x4x4f16 a[0:3], v[60:61], v[48:49], a[0:3] cbsz:4 abid:13
	v_addc_co_u32_e32 v19, vcc, v23, v39, vcc
	v_mad_i64_i32 v[54:55], s[4:5], v91, s17, v[94:95]
	v_add_co_u32_e32 v82, vcc, v18, v98
	v_lshlrev_b64 v[50:51], 1, v[54:55]
	v_mul_hi_i32 v74, v89, s17
	s_waitcnt vmcnt(1)
	v_mfma_f32_4x4x4f16 a[0:3], v[58:59], v[42:43], a[0:3] cbsz:4 abid:14
	v_addc_co_u32_e32 v83, vcc, 0, v19, vcc
	v_and_b32_e32 v50, -16, v50
	v_ashrrev_i32_e32 v70, 31, v74
	v_mov_b32_e32 v30, s9
	v_add_co_u32_e32 v31, vcc, s3, v50
	v_lshrrev_b32_e32 v94, 29, v70
	v_mfma_f32_4x4x4f16 a[0:3], v[60:61], v[44:45], a[0:3] cbsz:4 abid:14
	v_addc_co_u32_e32 v30, vcc, v30, v51, vcc
	v_mad_i64_i32 v[66:67], s[4:5], v89, s17, v[94:95]
	v_add_co_u32_e32 v78, vcc, v31, v98
	v_lshlrev_b64 v[66:67], 1, v[66:67]
	s_waitcnt vmcnt(0)
	v_mfma_f32_4x4x4f16 a[0:3], v[58:59], v[62:63], a[0:3] cbsz:4 abid:15
	v_addc_co_u32_e32 v79, vcc, 0, v30, vcc
	v_and_b32_e32 v46, -16, v66
	v_mov_b32_e32 v47, s9
	v_add_co_u32_e32 v42, vcc, s3, v46
	v_mfma_f32_4x4x4f16 a[0:3], v[60:61], v[64:65], a[0:3] cbsz:4 abid:15
	v_addc_co_u32_e32 v43, vcc, v47, v67, vcc
	global_load_dwordx4 v[6:9], v[96:97], off
	global_load_dwordx4 v[2:5], v[96:97], off offset:16
	global_load_dwordx4 v[10:13], v[96:97], off offset:2048
	global_load_dwordx4 v[14:17], v[96:97], off offset:2064
	v_add_co_u32_e32 v66, vcc, v42, v98
	v_accvgpr_read_b32 v59, a1
	v_addc_co_u32_e32 v67, vcc, 0, v43, vcc
	v_accvgpr_read_b32 v58, a0
	global_load_dwordx4 v[18:21], v[82:83], off
	global_load_dwordx4 v[22:25], v[82:83], off offset:16
	global_load_dwordx4 v[34:37], v[82:83], off offset:2048
	;; [unrolled: 1-line block ×3, first 2 shown]
	global_load_dwordx4 v[26:29], v[78:79], off
	global_load_dwordx4 v[30:33], v[78:79], off offset:16
	global_load_dwordx4 v[50:53], v[78:79], off offset:2048
	;; [unrolled: 1-line block ×3, first 2 shown]
	global_load_dwordx4 v[42:45], v[66:67], off
	global_load_dwordx4 v[46:49], v[66:67], off offset:16
	s_waitcnt lgkmcnt(0)
	v_pk_mul_f32 v[68:69], s[2:3], v[58:59] op_sel_hi:[0,1]
	global_load_dwordx4 v[58:61], v[66:67], off offset:2048
	global_load_dwordx4 v[62:65], v[66:67], off offset:2064
	v_accvgpr_read_b32 v67, a3
	v_accvgpr_read_b32 v66, a2
	v_pk_mul_f32 v[66:67], s[2:3], v[66:67] op_sel_hi:[0,1]
	v_mfma_f32_4x4x1f32 a[0:3], v68, v90, 0
	v_cmp_eq_u32_e32 vcc, 1, v87
	v_cndmask_b32_e64 v68, 0, 1.0, vcc
	v_cmp_eq_u32_e32 vcc, 2, v87
	v_mov_b32_e32 v73, 0xff7fffff
	v_mfma_f32_4x4x1f32 a[0:3], v69, v68, a[0:3]
	v_cndmask_b32_e64 v68, 0, 1.0, vcc
	v_cmp_eq_u32_e32 vcc, 3, v87
	s_nop 0
	v_mfma_f32_4x4x1f32 a[0:3], v66, v68, a[0:3]
	v_cndmask_b32_e64 v66, 0, 1.0, vcc
	s_nop 1
	v_mfma_f32_4x4x1f32 a[0:3], v67, v66, a[0:3]
	v_and_b32_e32 v66, -4, v88
	v_subrev_u32_e32 v67, s21, v66
	v_add_u32_e32 v68, 1, v67
	v_cvt_f32_i32_e32 v68, v68
	v_add_u32_e32 v69, 2, v67
	v_cvt_f32_i32_e32 v69, v69
	v_accvgpr_read_b32 v70, a0
	v_fma_f32 v68, v93, v68, v70
	v_accvgpr_read_b32 v70, a1
	v_fma_f32 v69, v93, v69, v70
	v_add_u32_e32 v70, 3, v67
	v_cvt_f32_i32_e32 v70, v70
	v_accvgpr_read_b32 v71, a2
	v_add_u32_e32 v67, 4, v67
	v_cmp_gt_i32_e32 vcc, s21, v66
	v_fma_f32 v71, v93, v70, v71
	v_max_f32_e32 v70, 0xff7fffff, v68
	v_cvt_f32_i32_e32 v67, v67
	v_cndmask_b32_e32 v70, v73, v70, vcc
	v_or_b32_e32 v73, 1, v66
	v_max_f32_e32 v74, v70, v69
	v_cmp_gt_i32_e64 s[2:3], s21, v73
	v_cndmask_b32_e64 v70, v70, v74, s[2:3]
	v_or_b32_e32 v66, 2, v66
	v_accvgpr_read_b32 v72, a3
	v_max_f32_e32 v73, v70, v71
	v_cmp_gt_i32_e64 s[4:5], s21, v66
	v_fmac_f32_e32 v72, v93, v67
	v_cndmask_b32_e64 v66, v70, v73, s[4:5]
	v_or_b32_e32 v70, 3, v88
	v_max_f32_e32 v73, v66, v72
	v_cmp_gt_i32_e64 s[10:11], s21, v70
	v_lshlrev_b32_e32 v67, 2, v0
	v_cndmask_b32_e64 v66, v66, v73, s[10:11]
	v_and_or_b32 v67, v67, 48, v87
	;;#ASMSTART
	v_nop
 v_nop
 v_max_f32_dpp v66, v66, v66 row_ror:4
	;;#ASMEND
	v_lshlrev_b32_e32 v73, 2, v67
	;;#ASMSTART
	v_nop
 v_nop
 v_max_f32_dpp v66, v66, v66 row_ror:8
	;;#ASMEND
	ds_bpermute_b32 v66, v73, v66
	s_waitcnt lgkmcnt(0)
	;;#ASMSTART
	v_nop
 v_nop
 v_max_f32_dpp v66, v66, v66 row_ror:4
	;;#ASMEND
	;;#ASMSTART
	v_nop
 v_nop
 v_max_f32_dpp v70, v66, v66 row_ror:8
	;;#ASMEND
	v_sub_f32_e32 v66, v68, v70
	v_mul_f32_e32 v66, 0x3fb8aa3b, v66
	v_sub_f32_e32 v67, v69, v70
	v_exp_f32_e32 v66, v66
	v_mul_f32_e32 v67, 0x3fb8aa3b, v67
	v_sub_f32_e32 v69, v71, v70
	v_exp_f32_e32 v67, v67
	;; [unrolled: 3-line block ×3, first 2 shown]
	v_mul_f32_e32 v71, 0x3fb8aa3b, v71
	v_exp_f32_e32 v71, v71
	v_cndmask_b32_e32 v66, 0, v66, vcc
	v_add_f32_e32 v68, 0, v66
	v_cndmask_b32_e64 v67, 0, v67, s[2:3]
	v_add_f32_e32 v72, v68, v67
	v_cndmask_b32_e64 v68, 0, v69, s[4:5]
	;; [unrolled: 2-line block ×3, first 2 shown]
	v_add_f32_e32 v71, v72, v69
	;;#ASMSTART
	v_nop
 v_nop
 v_add_f32_dpp v71, v71, v71 row_ror:4
	;;#ASMEND
	;;#ASMSTART
	v_nop
 v_nop
 v_add_f32_dpp v71, v71, v71 row_ror:8
	;;#ASMEND
	ds_bpermute_b32 v71, v73, v71
	s_waitcnt lgkmcnt(0)
	;;#ASMSTART
	v_nop
 v_nop
 v_add_f32_dpp v71, v71, v71 row_ror:4
	;;#ASMEND
	v_cmp_gt_u32_e32 vcc, 4, v1
	;;#ASMSTART
	v_nop
 v_nop
 v_add_f32_dpp v71, v71, v71 row_ror:8
	;;#ASMEND
	s_and_saveexec_b64 s[2:3], vcc
	s_cbranch_execz .LBB96_18
; %bb.17:
	v_mul_u32_u24_e32 v72, 20, v86
	v_lshl_add_u32 v72, v87, 2, v72
	v_add_u32_e32 v72, 0x1400, v72
	ds_write2_b32 v72, v70, v71 offset1:20
.LBB96_18:
	s_or_b64 exec, exec, s[2:3]
.LBB96_19:
	s_or_b64 exec, exec, s[26:27]
	s_waitcnt lgkmcnt(0)
	s_barrier
	s_load_dword s2, s[24:25], 0x8
	v_lshlrev_b32_e32 v71, 2, v87
	v_add_u32_e32 v73, 0x1400, v71
	ds_read2_b32 v[74:75], v73 offset1:5
	ds_read2_b32 v[76:77], v73 offset0:10 offset1:15
	s_mul_i32 s3, s7, s6
	s_waitcnt lgkmcnt(0)
	s_mul_i32 s2, s3, s2
	s_mov_b32 s3, 0xff7fffff
	v_max3_f32 v71, v74, s3, v75
	v_max3_f32 v72, v71, v76, v77
	v_sub_f32_e32 v71, v74, v72
	v_sub_f32_e32 v74, v75, v72
	v_mul_f32_e32 v74, 0x3fb8aa3b, v74
	ds_read2_b32 v[78:79], v73 offset0:20 offset1:25
	v_mul_f32_e32 v71, 0x3fb8aa3b, v71
	v_exp_f32_e32 v81, v74
	ds_read2_b32 v[74:75], v73 offset0:30 offset1:35
	v_sub_f32_e32 v73, v76, v72
	v_exp_f32_e32 v80, v71
	v_mul_f32_e32 v73, 0x3fb8aa3b, v73
	v_exp_f32_e32 v76, v73
	v_sub_f32_e32 v73, v77, v72
	v_mul_f32_e32 v73, 0x3fb8aa3b, v73
	v_exp_f32_e32 v77, v73
	s_waitcnt lgkmcnt(1)
	v_fma_f32 v73, v80, v78, 0
	v_fmac_f32_e32 v73, v81, v79
	s_waitcnt lgkmcnt(0)
	v_fmac_f32_e32 v73, v76, v74
	v_mov_b32_e32 v71, 0
	v_fmac_f32_e32 v73, v77, v75
	s_mov_b32 s3, 0
	v_cmp_eq_u32_e32 vcc, 0, v87
	s_and_saveexec_b64 s[4:5], vcc
	s_cbranch_execz .LBB96_21
; %bb.20:
	s_lshl_b64 s[10:11], s[2:3], 2
	s_add_u32 s6, s12, s10
	s_mov_b32 s21, s3
	s_addc_u32 s9, s13, s11
	s_lshl_b64 s[12:13], s[20:21], 2
	s_add_u32 s6, s6, s12
	s_addc_u32 s9, s9, s13
	s_add_u32 s10, s14, s10
	s_addc_u32 s11, s15, s11
	;; [unrolled: 2-line block ×3, first 2 shown]
	s_mul_i32 s10, s7, s8
	s_mov_b32 s11, s3
	s_lshl_b64 s[10:11], s[10:11], 2
	s_add_u32 s12, s6, s10
	s_addc_u32 s13, s9, s11
	s_add_u32 s10, s14, s10
	s_addc_u32 s11, s15, s11
	global_store_dword v71, v72, s[10:11]
	global_store_dword v71, v73, s[12:13]
.LBB96_21:
	s_or_b64 exec, exec, s[4:5]
	v_lshlrev_b32_e32 v71, 3, v86
	s_and_saveexec_b64 s[4:5], s[0:1]
	s_xor_b64 s[0:1], exec, s[4:5]
	s_cbranch_execz .LBB96_23
; %bb.22:
	s_mov_b32 s4, 0
	s_mov_b32 s5, s4
	s_waitcnt vmcnt(14)
	v_mad_u32_u24 v4, v1, 40, v71
	v_pk_mov_b32 v[2:3], s[4:5], s[4:5] op_sel:[0,1]
	ds_write2st64_b64 v4, v[2:3], v[2:3] offset1:5
                                        ; implicit-def: $vgpr69
                                        ; implicit-def: $vgpr67
                                        ; implicit-def: $vgpr7
                                        ; implicit-def: $vgpr3
                                        ; implicit-def: $vgpr19
                                        ; implicit-def: $vgpr23
                                        ; implicit-def: $vgpr27
                                        ; implicit-def: $vgpr31
                                        ; implicit-def: $vgpr43
                                        ; implicit-def: $vgpr47
                                        ; implicit-def: $vgpr11
                                        ; implicit-def: $vgpr15
                                        ; implicit-def: $vgpr35
                                        ; implicit-def: $vgpr39
                                        ; implicit-def: $vgpr51
                                        ; implicit-def: $vgpr55
                                        ; implicit-def: $vgpr59
                                        ; implicit-def: $vgpr63
                                        ; implicit-def: $vgpr70
                                        ; implicit-def: $vgpr72
                                        ; implicit-def: $vgpr73
                                        ; implicit-def: $vgpr71
.LBB96_23:
	s_andn2_saveexec_b64 s[0:1], s[0:1]
	s_cbranch_execz .LBB96_25
; %bb.24:
	v_add_f32_e32 v73, 0x358637bd, v73
	v_div_scale_f32 v74, s[4:5], v73, v73, 1.0
	v_rcp_f32_e32 v75, v74
	v_sub_f32_e32 v70, v70, v72
	v_mul_f32_e32 v70, 0x3fb8aa3b, v70
	v_exp_f32_e32 v70, v70
	v_fma_f32 v72, -v74, v75, 1.0
	v_fmac_f32_e32 v75, v72, v75
	v_div_scale_f32 v72, vcc, 1.0, v73, 1.0
	v_mul_f32_e32 v76, v72, v75
	v_fma_f32 v77, -v74, v76, v72
	v_fmac_f32_e32 v76, v77, v75
	v_fma_f32 v72, -v74, v76, v72
	v_div_fmas_f32 v72, v72, v75, v76
	v_div_fixup_f32 v72, v72, v73, 1.0
	v_mul_f32_e32 v70, v70, v72
	v_pk_mul_f32 v[68:69], v[68:69], v[70:71] op_sel_hi:[1,0]
	v_pk_mul_f32 v[66:67], v[66:67], v[70:71] op_sel_hi:[1,0]
	v_cvt_f16_f32_e32 v66, v66
	v_cvt_f16_f32_e32 v67, v67
	;; [unrolled: 1-line block ×4, first 2 shown]
	v_pack_b32_f16 v66, v66, v67
	v_pack_b32_f16 v67, v68, v69
	s_waitcnt vmcnt(15)
	s_nop 0
	v_mfma_f32_4x4x4f16 a[0:3], v[66:67], v[6:7], 0 cbsz:4
	v_mfma_f32_4x4x4f16 a[0:3], v[66:67], v[8:9], a[0:3] cbsz:4 abid:1
	v_mad_u32_u24 v9, v1, 40, v71
	s_waitcnt vmcnt(14)
	v_mfma_f32_4x4x4f16 a[0:3], v[66:67], v[2:3], a[0:3] cbsz:4 abid:2
	s_waitcnt vmcnt(13)
	v_mfma_f32_4x4x4f16 a[4:7], v[66:67], v[10:11], 0 cbsz:4
	v_mfma_f32_4x4x4f16 a[0:3], v[66:67], v[4:5], a[0:3] cbsz:4 abid:3
	v_mfma_f32_4x4x4f16 a[4:7], v[66:67], v[12:13], a[4:7] cbsz:4 abid:1
	s_waitcnt vmcnt(11)
	v_mfma_f32_4x4x4f16 a[0:3], v[66:67], v[18:19], a[0:3] cbsz:4 abid:4
	v_mfma_f32_4x4x4f16 a[4:7], v[66:67], v[14:15], a[4:7] cbsz:4 abid:2
	;; [unrolled: 1-line block ×4, first 2 shown]
	s_waitcnt vmcnt(10)
	v_mfma_f32_4x4x4f16 a[0:3], v[66:67], v[22:23], a[0:3] cbsz:4 abid:6
	s_waitcnt vmcnt(9)
	v_mfma_f32_4x4x4f16 a[4:7], v[66:67], v[34:35], a[4:7] cbsz:4 abid:4
	v_mfma_f32_4x4x4f16 a[0:3], v[66:67], v[24:25], a[0:3] cbsz:4 abid:7
	;; [unrolled: 1-line block ×3, first 2 shown]
	s_waitcnt vmcnt(7)
	v_mfma_f32_4x4x4f16 a[0:3], v[66:67], v[26:27], a[0:3] cbsz:4 abid:8
	v_mfma_f32_4x4x4f16 a[4:7], v[66:67], v[38:39], a[4:7] cbsz:4 abid:6
	;; [unrolled: 1-line block ×4, first 2 shown]
	s_waitcnt vmcnt(6)
	v_mfma_f32_4x4x4f16 a[0:3], v[66:67], v[30:31], a[0:3] cbsz:4 abid:10
	s_waitcnt vmcnt(5)
	v_mfma_f32_4x4x4f16 a[4:7], v[66:67], v[50:51], a[4:7] cbsz:4 abid:8
	v_mfma_f32_4x4x4f16 a[0:3], v[66:67], v[32:33], a[0:3] cbsz:4 abid:11
	;; [unrolled: 1-line block ×3, first 2 shown]
	s_waitcnt vmcnt(3)
	v_mfma_f32_4x4x4f16 a[0:3], v[66:67], v[42:43], a[0:3] cbsz:4 abid:12
	v_mfma_f32_4x4x4f16 a[4:7], v[66:67], v[54:55], a[4:7] cbsz:4 abid:10
	;; [unrolled: 1-line block ×4, first 2 shown]
	s_waitcnt vmcnt(2)
	v_mfma_f32_4x4x4f16 a[0:3], v[66:67], v[46:47], a[0:3] cbsz:4 abid:14
	v_mfma_f32_4x4x4f16 a[0:3], v[66:67], v[48:49], a[0:3] cbsz:4 abid:15
	s_waitcnt vmcnt(1)
	v_mfma_f32_4x4x4f16 a[4:7], v[66:67], v[58:59], a[4:7] cbsz:4 abid:12
	s_nop 2
	v_accvgpr_read_b32 v2, a0
	v_accvgpr_read_b32 v3, a1
	;; [unrolled: 1-line block ×4, first 2 shown]
	v_mfma_f32_4x4x4f16 a[0:3], v[66:67], v[60:61], a[4:7] cbsz:4 abid:13
	v_cvt_f16_f32_e32 v2, v2
	v_cvt_f16_f32_e32 v3, v3
	s_waitcnt vmcnt(0)
	v_mfma_f32_4x4x4f16 a[0:3], v[66:67], v[62:63], a[0:3] cbsz:4 abid:14
	v_pack_b32_f16 v2, v2, v3
	v_mfma_f32_4x4x4f16 a[0:3], v[66:67], v[64:65], a[0:3] cbsz:4 abid:15
	v_cvt_f16_f32_e32 v3, v4
	v_cvt_f16_f32_e32 v4, v5
	v_pack_b32_f16 v3, v3, v4
	s_nop 1
	v_accvgpr_read_b32 v5, a0
	v_accvgpr_read_b32 v6, a1
	;; [unrolled: 1-line block ×4, first 2 shown]
	v_cvt_f16_f32_e32 v5, v5
	v_cvt_f16_f32_e32 v6, v6
	;; [unrolled: 1-line block ×4, first 2 shown]
	v_pack_b32_f16 v4, v5, v6
	v_pack_b32_f16 v5, v7, v8
	ds_write2st64_b64 v9, v[2:3], v[4:5] offset1:5
.LBB96_25:
	s_or_b64 exec, exec, s[0:1]
	v_cmp_gt_u32_e32 vcc, 64, v0
	s_waitcnt lgkmcnt(0)
	s_barrier
	s_and_saveexec_b64 s[0:1], vcc
	s_cbranch_execz .LBB96_27
; %bb.26:
	s_waitcnt vmcnt(14)
	v_mov_b32_e32 v2, 0xa00
	v_mad_u32_u24 v2, v1, 40, v2
	v_mov_b32_e32 v6, 0xa10
	ds_read2_b64 v[2:5], v2 offset1:1
	s_waitcnt lgkmcnt(0)
	v_mad_u32_u24 v3, v1, 40, v6
	ds_read2_b64 v[6:9], v3 offset1:1
	s_mov_b32 s1, 0
	s_lshl_b32 s0, s2, 7
	s_lshl_b64 s[2:3], s[0:1], 1
	s_add_u32 s2, s22, s2
	v_mul_u32_u24_e32 v5, 40, v1
	v_pk_add_f16 v1, v2, 0
	s_addc_u32 s3, s23, s3
	s_lshl_b32 s0, s20, 7
	v_pk_add_f16 v1, v1, v4
	s_lshl_b64 s[0:1], s[0:1], 1
	s_waitcnt lgkmcnt(0)
	v_pk_add_f16 v1, v1, v6
	s_add_u32 s0, s2, s0
	s_mul_i32 s2, s8, s7
	s_waitcnt vmcnt(13)
	v_pk_add_f16 v10, v1, v8
	v_lshl_or_b32 v0, s2, 7, v0
	v_mov_b32_e32 v1, 0
	v_lshlrev_b64 v[8:9], 1, v[0:1]
	ds_read2_b64 v[0:3], v5 offset1:1
	ds_read2_b64 v[4:7], v5 offset0:2 offset1:3
	s_addc_u32 s1, s3, s1
	v_mov_b32_e32 v11, s1
	v_add_co_u32_e32 v8, vcc, s0, v8
	s_waitcnt lgkmcnt(1)
	v_pk_add_f16 v0, v0, 0
	v_pk_add_f16 v0, v0, v2
	s_waitcnt lgkmcnt(0)
	v_pk_add_f16 v0, v0, v4
	v_addc_co_u32_e32 v9, vcc, v11, v9, vcc
	v_pk_add_f16 v0, v0, v6
	global_store_short v[8:9], v0, off
	global_store_short v[8:9], v10, off offset:128
.LBB96_27:
	s_endpgm
	.section	.rodata,"a",@progbits
	.p2align	6, 0x0
	.amdhsa_kernel _Z38paged_attention_ll4mi_QKV_mfma4_kernelIDF16_DF16_LN4vllm18Fp8KVCacheDataTypeE0EDF16_Li16ELi128ELi256ELb1ELi1EEvPKT_PKT0_S7_ifPKiS9_S9_iPKfiiiPfSC_PS2_PT2_iSB_SB_
		.amdhsa_group_segment_fixed_size 5280
		.amdhsa_private_segment_fixed_size 0
		.amdhsa_kernarg_size 400
		.amdhsa_user_sgpr_count 6
		.amdhsa_user_sgpr_private_segment_buffer 1
		.amdhsa_user_sgpr_dispatch_ptr 0
		.amdhsa_user_sgpr_queue_ptr 0
		.amdhsa_user_sgpr_kernarg_segment_ptr 1
		.amdhsa_user_sgpr_dispatch_id 0
		.amdhsa_user_sgpr_flat_scratch_init 0
		.amdhsa_user_sgpr_kernarg_preload_length 0
		.amdhsa_user_sgpr_kernarg_preload_offset 0
		.amdhsa_user_sgpr_private_segment_size 0
		.amdhsa_uses_dynamic_stack 0
		.amdhsa_system_sgpr_private_segment_wavefront_offset 0
		.amdhsa_system_sgpr_workgroup_id_x 1
		.amdhsa_system_sgpr_workgroup_id_y 1
		.amdhsa_system_sgpr_workgroup_id_z 1
		.amdhsa_system_sgpr_workgroup_info 0
		.amdhsa_system_vgpr_workitem_id 0
		.amdhsa_next_free_vgpr 108
		.amdhsa_next_free_sgpr 38
		.amdhsa_accum_offset 100
		.amdhsa_reserve_vcc 1
		.amdhsa_reserve_flat_scratch 0
		.amdhsa_float_round_mode_32 0
		.amdhsa_float_round_mode_16_64 0
		.amdhsa_float_denorm_mode_32 3
		.amdhsa_float_denorm_mode_16_64 3
		.amdhsa_dx10_clamp 1
		.amdhsa_ieee_mode 1
		.amdhsa_fp16_overflow 0
		.amdhsa_tg_split 0
		.amdhsa_exception_fp_ieee_invalid_op 0
		.amdhsa_exception_fp_denorm_src 0
		.amdhsa_exception_fp_ieee_div_zero 0
		.amdhsa_exception_fp_ieee_overflow 0
		.amdhsa_exception_fp_ieee_underflow 0
		.amdhsa_exception_fp_ieee_inexact 0
		.amdhsa_exception_int_div_zero 0
	.end_amdhsa_kernel
	.section	.text._Z38paged_attention_ll4mi_QKV_mfma4_kernelIDF16_DF16_LN4vllm18Fp8KVCacheDataTypeE0EDF16_Li16ELi128ELi256ELb1ELi1EEvPKT_PKT0_S7_ifPKiS9_S9_iPKfiiiPfSC_PS2_PT2_iSB_SB_,"axG",@progbits,_Z38paged_attention_ll4mi_QKV_mfma4_kernelIDF16_DF16_LN4vllm18Fp8KVCacheDataTypeE0EDF16_Li16ELi128ELi256ELb1ELi1EEvPKT_PKT0_S7_ifPKiS9_S9_iPKfiiiPfSC_PS2_PT2_iSB_SB_,comdat
.Lfunc_end96:
	.size	_Z38paged_attention_ll4mi_QKV_mfma4_kernelIDF16_DF16_LN4vllm18Fp8KVCacheDataTypeE0EDF16_Li16ELi128ELi256ELb1ELi1EEvPKT_PKT0_S7_ifPKiS9_S9_iPKfiiiPfSC_PS2_PT2_iSB_SB_, .Lfunc_end96-_Z38paged_attention_ll4mi_QKV_mfma4_kernelIDF16_DF16_LN4vllm18Fp8KVCacheDataTypeE0EDF16_Li16ELi128ELi256ELb1ELi1EEvPKT_PKT0_S7_ifPKiS9_S9_iPKfiiiPfSC_PS2_PT2_iSB_SB_
                                        ; -- End function
	.section	.AMDGPU.csdata,"",@progbits
; Kernel info:
; codeLenInByte = 3824
; NumSgprs: 42
; NumVgprs: 99
; NumAgprs: 8
; TotalNumVgprs: 108
; ScratchSize: 0
; MemoryBound: 0
; FloatMode: 240
; IeeeMode: 1
; LDSByteSize: 5280 bytes/workgroup (compile time only)
; SGPRBlocks: 5
; VGPRBlocks: 13
; NumSGPRsForWavesPerEU: 42
; NumVGPRsForWavesPerEU: 108
; AccumOffset: 100
; Occupancy: 4
; WaveLimiterHint : 1
; COMPUTE_PGM_RSRC2:SCRATCH_EN: 0
; COMPUTE_PGM_RSRC2:USER_SGPR: 6
; COMPUTE_PGM_RSRC2:TRAP_HANDLER: 0
; COMPUTE_PGM_RSRC2:TGID_X_EN: 1
; COMPUTE_PGM_RSRC2:TGID_Y_EN: 1
; COMPUTE_PGM_RSRC2:TGID_Z_EN: 1
; COMPUTE_PGM_RSRC2:TIDIG_COMP_CNT: 0
; COMPUTE_PGM_RSRC3_GFX90A:ACCUM_OFFSET: 24
; COMPUTE_PGM_RSRC3_GFX90A:TG_SPLIT: 0
	.section	.text._Z38paged_attention_ll4mi_QKV_mfma4_kernelIDF16_DF16_LN4vllm18Fp8KVCacheDataTypeE0EDF16_Li16ELi128ELi256ELb1ELi2EEvPKT_PKT0_S7_ifPKiS9_S9_iPKfiiiPfSC_PS2_PT2_iSB_SB_,"axG",@progbits,_Z38paged_attention_ll4mi_QKV_mfma4_kernelIDF16_DF16_LN4vllm18Fp8KVCacheDataTypeE0EDF16_Li16ELi128ELi256ELb1ELi2EEvPKT_PKT0_S7_ifPKiS9_S9_iPKfiiiPfSC_PS2_PT2_iSB_SB_,comdat
	.protected	_Z38paged_attention_ll4mi_QKV_mfma4_kernelIDF16_DF16_LN4vllm18Fp8KVCacheDataTypeE0EDF16_Li16ELi128ELi256ELb1ELi2EEvPKT_PKT0_S7_ifPKiS9_S9_iPKfiiiPfSC_PS2_PT2_iSB_SB_ ; -- Begin function _Z38paged_attention_ll4mi_QKV_mfma4_kernelIDF16_DF16_LN4vllm18Fp8KVCacheDataTypeE0EDF16_Li16ELi128ELi256ELb1ELi2EEvPKT_PKT0_S7_ifPKiS9_S9_iPKfiiiPfSC_PS2_PT2_iSB_SB_
	.globl	_Z38paged_attention_ll4mi_QKV_mfma4_kernelIDF16_DF16_LN4vllm18Fp8KVCacheDataTypeE0EDF16_Li16ELi128ELi256ELb1ELi2EEvPKT_PKT0_S7_ifPKiS9_S9_iPKfiiiPfSC_PS2_PT2_iSB_SB_
	.p2align	8
	.type	_Z38paged_attention_ll4mi_QKV_mfma4_kernelIDF16_DF16_LN4vllm18Fp8KVCacheDataTypeE0EDF16_Li16ELi128ELi256ELb1ELi2EEvPKT_PKT0_S7_ifPKiS9_S9_iPKfiiiPfSC_PS2_PT2_iSB_SB_,@function
_Z38paged_attention_ll4mi_QKV_mfma4_kernelIDF16_DF16_LN4vllm18Fp8KVCacheDataTypeE0EDF16_Li16ELi128ELi256ELb1ELi2EEvPKT_PKT0_S7_ifPKiS9_S9_iPKfiiiPfSC_PS2_PT2_iSB_SB_: ; @_Z38paged_attention_ll4mi_QKV_mfma4_kernelIDF16_DF16_LN4vllm18Fp8KVCacheDataTypeE0EDF16_Li16ELi128ELi256ELb1ELi2EEvPKT_PKT0_S7_ifPKiS9_S9_iPKfiiiPfSC_PS2_PT2_iSB_SB_
; %bb.0:
	s_load_dwordx2 s[2:3], s[4:5], 0x30
	s_mov_b32 s10, s7
	s_mov_b64 s[0:1], 0
	s_waitcnt lgkmcnt(0)
	s_cmp_lg_u64 s[2:3], 0
	s_cselect_b64 s[16:17], -1, 0
	s_and_b64 vcc, exec, s[16:17]
	s_cbranch_vccz .LBB97_10
; %bb.1:
	s_add_i32 s12, s6, 1
	s_mov_b32 s13, 0
	s_lshl_b64 s[14:15], s[12:13], 2
	s_add_u32 s14, s2, s14
	s_mov_b32 s7, s13
	s_addc_u32 s15, s3, s15
	s_lshl_b64 s[12:13], s[6:7], 2
	s_add_u32 s12, s2, s12
	s_addc_u32 s13, s3, s13
	s_load_dword s9, s[14:15], 0x0
	s_load_dword s11, s[12:13], 0x0
	s_waitcnt lgkmcnt(0)
	s_sub_i32 s9, s9, s11
	s_cmp_eq_u32 s9, 1
	s_cselect_b64 s[12:13], -1, 0
	s_andn2_b64 vcc, exec, s[0:1]
	s_cbranch_vccnz .LBB97_3
.LBB97_2:
	s_mov_b32 s7, 0
	s_mov_b64 s[12:13], -1
.LBB97_3:
	s_andn2_b64 vcc, exec, s[12:13]
	s_cbranch_vccnz .LBB97_27
; %bb.4:
	s_load_dword s9, s[4:5], 0x9c
	s_load_dwordx2 s[0:1], s[4:5], 0x28
	s_add_u32 s22, s4, 0x90
	s_addc_u32 s23, s5, 0
	s_lshl_b64 s[18:19], s[6:7], 2
	s_waitcnt lgkmcnt(0)
	s_and_b32 s9, s9, 0xffff
	s_add_u32 s0, s0, s18
	s_addc_u32 s1, s1, s19
	s_load_dword s11, s[0:1], 0x0
	s_mul_i32 s9, s10, s9
	s_waitcnt lgkmcnt(0)
	s_cmp_ge_i32 s9, s11
	s_cbranch_scc1 .LBB97_27
; %bb.5:
	v_and_b32_e32 v1, 0xc0, v0
	v_add_u32_e32 v2, s9, v1
	v_lshrrev_b32_e32 v88, 6, v0
	v_cmp_le_i32_e64 s[0:1], s11, v2
                                        ; implicit-def: $sgpr27
                                        ; implicit-def: $sgpr26
	s_and_saveexec_b64 s[12:13], s[0:1]
	s_xor_b64 s[12:13], exec, s[12:13]
	s_cbranch_execz .LBB97_7
; %bb.6:
	v_mul_u32_u24_e32 v1, 20, v88
	v_or_b32_e32 v1, 0x1400, v1
	v_mov_b32_e32 v2, 0x1450
	v_mov_b32_e32 v3, 0xff7fffff
	v_mad_u32_u24 v2, v88, 20, v2
	ds_write2_b32 v1, v3, v3 offset1:1
	v_mov_b32_e32 v1, 0
	ds_write2_b32 v2, v1, v1 offset1:1
	v_mov_b32_e32 v2, 0x1408
	s_mov_b32 s26, 0xff7fffff
	s_mov_b32 s27, 0
	v_mad_u32_u24 v2, v88, 20, v2
	v_mov_b32_e32 v4, 0x1458
	v_mad_u32_u24 v4, v88, 20, v4
	ds_write2_b32 v2, v3, v3 offset1:1
	ds_write2_b32 v4, v1, v1 offset1:1
                                        ; implicit-def: $vgpr2
.LBB97_7:
	s_or_saveexec_b64 s[24:25], s[12:13]
	s_load_dwordx2 s[20:21], s[4:5], 0x68
	s_load_dwordx4 s[12:15], s[4:5], 0x58
	s_load_dword s7, s[22:23], 0x4
	v_and_b32_e32 v1, 63, v0
	v_and_b32_e32 v89, 3, v0
	s_lshl_b32 s33, s8, 1
	v_mov_b32_e32 v69, s27
	v_mov_b32_e32 v70, s26
	;; [unrolled: 1-line block ×5, first 2 shown]
                                        ; implicit-def: $vgpr7
                                        ; implicit-def: $vgpr3
                                        ; implicit-def: $vgpr19
                                        ; implicit-def: $vgpr23
                                        ; implicit-def: $vgpr27
                                        ; implicit-def: $vgpr31
                                        ; implicit-def: $vgpr43
                                        ; implicit-def: $vgpr47
                                        ; implicit-def: $vgpr11
                                        ; implicit-def: $vgpr15
                                        ; implicit-def: $vgpr35
                                        ; implicit-def: $vgpr39
                                        ; implicit-def: $vgpr51
                                        ; implicit-def: $vgpr55
                                        ; implicit-def: $vgpr59
                                        ; implicit-def: $vgpr63
	s_xor_b64 exec, exec, s[24:25]
	s_cbranch_execz .LBB97_19
; %bb.8:
	s_add_i32 s29, s11, 15
	s_load_dwordx2 s[26:27], s[4:5], 0x20
	s_load_dword s28, s[4:5], 0x38
	s_ashr_i32 s30, s29, 31
	s_lshr_b32 s30, s30, 28
	v_add_u32_e32 v90, s9, v0
	s_add_i32 s29, s29, s30
	v_ashrrev_i32_e32 v3, 31, v90
	s_ashr_i32 s29, s29, 4
	v_lshrrev_b32_e32 v3, 28, v3
	s_add_i32 s30, s29, -1
	v_add_u32_e32 v3, v90, v3
	s_waitcnt lgkmcnt(0)
	s_mul_i32 s28, s6, s28
	s_mov_b32 s29, 0
	v_ashrrev_i32_e32 v3, 4, v3
	v_mov_b32_e32 v4, s30
	v_cmp_gt_i32_e32 vcc, s11, v90
	s_lshl_b64 s[28:29], s[28:29], 2
	v_cndmask_b32_e32 v4, v4, v3, vcc
	s_add_u32 s26, s26, s28
	v_ashrrev_i32_e32 v5, 31, v4
	s_addc_u32 s27, s27, s29
	v_lshlrev_b64 v[4:5], 2, v[4:5]
	v_mov_b32_e32 v3, s27
	v_add_co_u32_e32 v4, vcc, s26, v4
	v_addc_co_u32_e32 v5, vcc, v3, v5, vcc
	v_ashrrev_i32_e32 v3, 31, v2
	v_lshrrev_b32_e32 v3, 28, v3
	v_add_u32_e32 v2, v2, v3
	v_ashrrev_i32_e32 v12, 4, v2
	v_min_i32_e32 v2, s30, v12
	v_ashrrev_i32_e32 v3, 31, v2
	v_lshlrev_b64 v[2:3], 2, v[2:3]
	v_add_co_u32_e32 v6, vcc, s26, v2
	v_add_u32_e32 v2, 1, v12
	v_mov_b32_e32 v7, s27
	v_min_i32_e32 v2, s30, v2
	v_addc_co_u32_e32 v7, vcc, v7, v3, vcc
	v_ashrrev_i32_e32 v3, 31, v2
	v_lshlrev_b64 v[2:3], 2, v[2:3]
	v_add_co_u32_e32 v8, vcc, s26, v2
	v_add_u32_e32 v2, 2, v12
	v_mov_b32_e32 v9, s27
	v_min_i32_e32 v2, s30, v2
	v_addc_co_u32_e32 v9, vcc, v9, v3, vcc
	;; [unrolled: 7-line block ×3, first 2 shown]
	v_ashrrev_i32_e32 v3, 31, v2
	v_lshlrev_b64 v[2:3], 2, v[2:3]
	v_mov_b32_e32 v13, s27
	v_add_co_u32_e32 v12, vcc, s26, v2
	v_addc_co_u32_e32 v13, vcc, v13, v3, vcc
	global_load_dword v3, v[4:5], off
	global_load_dword v2, v[6:7], off
	;; [unrolled: 1-line block ×5, first 2 shown]
	s_load_dwordx2 s[28:29], s[4:5], 0x8
	s_andn2_b64 vcc, exec, s[16:17]
	s_cbranch_vccnz .LBB97_11
; %bb.9:
	s_add_u32 s2, s2, s18
	s_addc_u32 s3, s3, s19
	s_load_dword s2, s[2:3], 0x0
	s_branch .LBB97_12
.LBB97_10:
	s_mov_b64 s[12:13], 0
	s_branch .LBB97_2
.LBB97_11:
	s_mov_b32 s2, s6
.LBB97_12:
	s_load_dwordx2 s[26:27], s[4:5], 0x10
	s_load_dwordx4 s[16:19], s[4:5], 0x48
	v_cmp_gt_u32_e32 vcc, 2, v89
	s_mov_b32 s3, 0
	v_mov_b32_e32 v91, 0
	v_mov_b32_e32 v64, 0
	;; [unrolled: 1-line block ×5, first 2 shown]
	s_and_saveexec_b64 s[30:31], vcc
	s_cbranch_execz .LBB97_14
; %bb.13:
	s_load_dwordx2 s[34:35], s[4:5], 0x0
	s_waitcnt lgkmcnt(0)
	s_ashr_i32 s9, s16, 31
	s_mul_hi_u32 s19, s2, s16
	s_mul_i32 s9, s2, s9
	s_add_i32 s37, s19, s9
	s_mul_i32 s36, s2, s16
	s_lshl_b64 s[36:37], s[36:37], 1
	s_add_u32 s9, s34, s36
	s_addc_u32 s16, s35, s37
	s_lshl_b32 s2, s8, 8
	s_lshl_b64 s[34:35], s[2:3], 1
	v_lshlrev_b32_e32 v4, 2, v1
	s_add_u32 s34, s9, s34
	v_and_b32_e32 v4, 0xf0, v4
	s_addc_u32 s35, s16, s35
	v_lshl_or_b32 v4, v89, 8, v4
	global_load_dwordx4 v[64:67], v4, s[34:35]
.LBB97_14:
	s_or_b64 exec, exec, s[30:31]
	s_waitcnt lgkmcnt(0)
	s_mul_i32 s2, s8, s18
	s_lshl_b64 s[8:9], s[2:3], 1
	s_waitcnt vmcnt(4)
	v_mad_i64_i32 v[4:5], s[30:31], v3, s17, 0
	s_add_u32 s2, s8, s28
	v_lshlrev_b64 v[4:5], 1, v[4:5]
	s_addc_u32 s3, s9, s29
	v_mov_b32_e32 v3, s3
	v_add_co_u32_e64 v4, s[2:3], s2, v4
	v_addc_co_u32_e64 v3, s[2:3], v3, v5, s[2:3]
	v_and_b32_e32 v5, 15, v0
	v_lshlrev_b32_e32 v5, 4, v5
	v_add_co_u32_e64 v4, s[2:3], v4, v5
	v_addc_co_u32_e64 v5, s[2:3], 0, v3, s[2:3]
	global_load_dwordx4 v[38:41], v[4:5], off
	global_load_dwordx4 v[34:37], v[4:5], off offset:256
	global_load_dwordx4 v[22:25], v[4:5], off offset:512
	;; [unrolled: 1-line block ×15, first 2 shown]
	s_and_saveexec_b64 s[2:3], vcc
	s_cbranch_execz .LBB97_16
; %bb.15:
	s_load_dwordx2 s[18:19], s[4:5], 0x40
	v_or_b32_e32 v4, s33, v89
	v_mov_b32_e32 v5, 0
	v_lshlrev_b64 v[4:5], 2, v[4:5]
	s_waitcnt lgkmcnt(0)
	v_mov_b32_e32 v3, s19
	v_add_co_u32_e32 v4, vcc, s18, v4
	v_addc_co_u32_e32 v5, vcc, v3, v5, vcc
	global_load_dword v91, v[4:5], off
.LBB97_16:
	s_or_b64 exec, exec, s[2:3]
	s_waitcnt vmcnt(15)
	v_mfma_f32_4x4x4f16 a[0:3], v[64:65], v[38:39], 0 cbsz:4
	v_mul_hi_i32 v3, v2, s17
	v_mfma_f32_4x4x4f16 a[0:3], v[66:67], v[40:41], a[0:3] cbsz:4
	v_ashrrev_i32_e32 v3, 31, v3
	s_waitcnt vmcnt(14)
	v_mfma_f32_4x4x4f16 a[0:3], v[64:65], v[34:35], a[0:3] cbsz:4 abid:1
	v_lshrrev_b32_e32 v94, 29, v3
	v_mfma_f32_4x4x4f16 a[0:3], v[66:67], v[36:37], a[0:3] cbsz:4 abid:1
	v_mov_b32_e32 v95, 0
	s_waitcnt vmcnt(13)
	v_mfma_f32_4x4x4f16 a[0:3], v[64:65], v[22:23], a[0:3] cbsz:4 abid:2
	s_load_dword s2, s[4:5], 0x1c
	v_mfma_f32_4x4x4f16 a[0:3], v[66:67], v[24:25], a[0:3] cbsz:4 abid:2
	v_mad_i64_i32 v[2:3], s[4:5], v2, s17, v[94:95]
	s_waitcnt vmcnt(12)
	v_mfma_f32_4x4x4f16 a[0:3], v[64:65], v[18:19], a[0:3] cbsz:4 abid:3
	s_add_u32 s3, s26, s8
	v_mfma_f32_4x4x4f16 a[0:3], v[66:67], v[20:21], a[0:3] cbsz:4 abid:3
	v_lshlrev_b64 v[2:3], 1, v[2:3]
	s_waitcnt vmcnt(11)
	v_mfma_f32_4x4x4f16 a[0:3], v[64:65], v[84:85], a[0:3] cbsz:4 abid:4
	v_mul_hi_i32 v93, v92, s17
	v_mfma_f32_4x4x4f16 a[0:3], v[66:67], v[86:87], a[0:3] cbsz:4 abid:4
	s_addc_u32 s8, s27, s9
	s_waitcnt vmcnt(10)
	v_mfma_f32_4x4x4f16 a[0:3], v[64:65], v[80:81], a[0:3] cbsz:4 abid:5
	v_and_b32_e32 v2, -16, v2
	v_mfma_f32_4x4x4f16 a[0:3], v[66:67], v[82:83], a[0:3] cbsz:4 abid:5
	v_ashrrev_i32_e32 v93, 31, v93
	s_waitcnt vmcnt(9)
	v_mfma_f32_4x4x4f16 a[0:3], v[64:65], v[54:55], a[0:3] cbsz:4 abid:6
	v_mov_b32_e32 v4, s8
	v_mfma_f32_4x4x4f16 a[0:3], v[66:67], v[56:57], a[0:3] cbsz:4 abid:6
	v_add_co_u32_e32 v2, vcc, s3, v2
	s_waitcnt vmcnt(8)
	v_mfma_f32_4x4x4f16 a[0:3], v[64:65], v[30:31], a[0:3] cbsz:4 abid:7
	v_lshrrev_b32_e32 v94, 29, v93
	v_mfma_f32_4x4x4f16 a[0:3], v[66:67], v[32:33], a[0:3] cbsz:4 abid:7
	v_addc_co_u32_e32 v3, vcc, v4, v3, vcc
	s_waitcnt vmcnt(7)
	v_mfma_f32_4x4x4f16 a[0:3], v[64:65], v[26:27], a[0:3] cbsz:4 abid:8
	v_lshlrev_b32_e32 v98, 5, v1
	v_mfma_f32_4x4x4f16 a[0:3], v[66:67], v[28:29], a[0:3] cbsz:4 abid:8
	v_mad_i64_i32 v[38:39], s[4:5], v92, s17, v[94:95]
	s_waitcnt vmcnt(6)
	v_mfma_f32_4x4x4f16 a[0:3], v[64:65], v[50:51], a[0:3] cbsz:4 abid:9
	v_add_co_u32_e32 v96, vcc, v2, v98
	v_mfma_f32_4x4x4f16 a[0:3], v[66:67], v[52:53], a[0:3] cbsz:4 abid:9
	v_lshlrev_b64 v[34:35], 1, v[38:39]
	s_waitcnt vmcnt(5)
	v_mfma_f32_4x4x4f16 a[0:3], v[64:65], v[76:77], a[0:3] cbsz:4 abid:10
	v_mul_hi_i32 v84, v63, s17
	v_mfma_f32_4x4x4f16 a[0:3], v[66:67], v[78:79], a[0:3] cbsz:4 abid:10
	v_addc_co_u32_e32 v97, vcc, 0, v3, vcc
	s_waitcnt vmcnt(4)
	v_mfma_f32_4x4x4f16 a[0:3], v[64:65], v[72:73], a[0:3] cbsz:4 abid:11
	v_and_b32_e32 v34, -16, v34
	v_mfma_f32_4x4x4f16 a[0:3], v[66:67], v[74:75], a[0:3] cbsz:4 abid:11
	v_ashrrev_i32_e32 v80, 31, v84
	v_mov_b32_e32 v22, s8
	v_add_co_u32_e32 v23, vcc, s3, v34
	v_lshrrev_b32_e32 v94, 29, v80
	s_waitcnt vmcnt(3)
	v_mfma_f32_4x4x4f16 a[0:3], v[64:65], v[58:59], a[0:3] cbsz:4 abid:12
	v_addc_co_u32_e32 v22, vcc, v22, v35, vcc
	v_mad_i64_i32 v[54:55], s[4:5], v63, s17, v[94:95]
	v_add_co_u32_e32 v92, vcc, v23, v98
	v_lshlrev_b64 v[54:55], 1, v[54:55]
	v_mul_hi_i32 v63, v62, s17
	v_mfma_f32_4x4x4f16 a[0:3], v[66:67], v[60:61], a[0:3] cbsz:4 abid:12
	v_addc_co_u32_e32 v93, vcc, 0, v22, vcc
	v_and_b32_e32 v30, -16, v54
	v_ashrrev_i32_e32 v63, 31, v63
	v_mov_b32_e32 v31, s8
	v_add_co_u32_e32 v26, vcc, s3, v30
	v_lshrrev_b32_e32 v94, 29, v63
	s_waitcnt vmcnt(2)
	v_mfma_f32_4x4x4f16 a[0:3], v[64:65], v[46:47], a[0:3] cbsz:4 abid:13
	v_addc_co_u32_e32 v27, vcc, v31, v55, vcc
	v_mad_i64_i32 v[62:63], s[4:5], v62, s17, v[94:95]
	v_add_co_u32_e32 v80, vcc, v26, v98
	v_lshlrev_b64 v[58:59], 1, v[62:63]
	v_mfma_f32_4x4x4f16 a[0:3], v[66:67], v[48:49], a[0:3] cbsz:4 abid:13
	v_addc_co_u32_e32 v81, vcc, 0, v27, vcc
	v_and_b32_e32 v58, -16, v58
	v_mov_b32_e32 v46, s8
	v_add_co_u32_e32 v47, vcc, s3, v58
	s_waitcnt vmcnt(1)
	v_mfma_f32_4x4x4f16 a[0:3], v[64:65], v[42:43], a[0:3] cbsz:4 abid:14
	v_addc_co_u32_e32 v46, vcc, v46, v59, vcc
	global_load_dwordx4 v[6:9], v[96:97], off
	global_load_dwordx4 v[2:5], v[96:97], off offset:16
	global_load_dwordx4 v[10:13], v[96:97], off offset:2048
	;; [unrolled: 1-line block ×3, first 2 shown]
	v_add_co_u32_e32 v72, vcc, v47, v98
	v_mfma_f32_4x4x4f16 a[0:3], v[66:67], v[44:45], a[0:3] cbsz:4 abid:14
	v_addc_co_u32_e32 v73, vcc, 0, v46, vcc
	global_load_dwordx4 v[18:21], v[92:93], off
	global_load_dwordx4 v[22:25], v[92:93], off offset:16
	global_load_dwordx4 v[34:37], v[92:93], off offset:2048
	;; [unrolled: 1-line block ×3, first 2 shown]
	global_load_dwordx4 v[26:29], v[80:81], off
	global_load_dwordx4 v[30:33], v[80:81], off offset:16
	global_load_dwordx4 v[50:53], v[80:81], off offset:2048
	global_load_dwordx4 v[54:57], v[80:81], off offset:2064
	global_load_dwordx4 v[42:45], v[72:73], off
	global_load_dwordx4 v[46:49], v[72:73], off offset:16
	s_waitcnt vmcnt(14)
	v_mfma_f32_4x4x4f16 a[0:3], v[64:65], v[68:69], a[0:3] cbsz:4 abid:15
	global_load_dwordx4 v[58:61], v[72:73], off offset:2048
	global_load_dwordx4 v[62:65], v[72:73], off offset:2064
	v_mfma_f32_4x4x4f16 a[0:3], v[66:67], v[70:71], a[0:3] cbsz:4 abid:15
	v_cmp_eq_u32_e32 vcc, 0, v89
	v_cndmask_b32_e64 v70, 0, 1.0, vcc
	v_cmp_eq_u32_e32 vcc, 1, v89
	v_mov_b32_e32 v73, 0xff7fffff
	s_nop 0
	v_accvgpr_read_b32 v69, a1
	v_accvgpr_read_b32 v68, a0
	s_waitcnt lgkmcnt(0)
	v_pk_mul_f32 v[68:69], s[2:3], v[68:69] op_sel_hi:[0,1]
	v_accvgpr_read_b32 v67, a3
	v_accvgpr_read_b32 v66, a2
	v_pk_mul_f32 v[66:67], s[2:3], v[66:67] op_sel_hi:[0,1]
	v_mfma_f32_4x4x1f32 a[0:3], v68, v70, 0
	v_cndmask_b32_e64 v68, 0, 1.0, vcc
	v_cmp_eq_u32_e32 vcc, 2, v89
	s_nop 0
	v_mfma_f32_4x4x1f32 a[0:3], v69, v68, a[0:3]
	v_cndmask_b32_e64 v68, 0, 1.0, vcc
	v_cmp_eq_u32_e32 vcc, 3, v89
	s_nop 0
	v_mfma_f32_4x4x1f32 a[0:3], v66, v68, a[0:3]
	v_cndmask_b32_e64 v66, 0, 1.0, vcc
	s_nop 1
	v_mfma_f32_4x4x1f32 a[0:3], v67, v66, a[0:3]
	v_and_b32_e32 v66, -4, v90
	v_subrev_u32_e32 v67, s11, v66
	v_add_u32_e32 v68, 1, v67
	v_cvt_f32_i32_e32 v68, v68
	v_add_u32_e32 v69, 2, v67
	v_cvt_f32_i32_e32 v69, v69
	v_accvgpr_read_b32 v70, a0
	v_fma_f32 v68, v91, v68, v70
	v_accvgpr_read_b32 v70, a1
	v_fma_f32 v69, v91, v69, v70
	v_add_u32_e32 v70, 3, v67
	v_cvt_f32_i32_e32 v70, v70
	v_accvgpr_read_b32 v71, a2
	v_add_u32_e32 v67, 4, v67
	v_cmp_gt_i32_e32 vcc, s11, v66
	v_fma_f32 v71, v91, v70, v71
	v_max_f32_e32 v70, 0xff7fffff, v68
	v_cvt_f32_i32_e32 v67, v67
	v_cndmask_b32_e32 v70, v73, v70, vcc
	v_or_b32_e32 v73, 1, v66
	v_max_f32_e32 v74, v70, v69
	v_cmp_gt_i32_e64 s[2:3], s11, v73
	v_cndmask_b32_e64 v70, v70, v74, s[2:3]
	v_or_b32_e32 v66, 2, v66
	v_accvgpr_read_b32 v72, a3
	v_max_f32_e32 v73, v70, v71
	v_cmp_gt_i32_e64 s[4:5], s11, v66
	v_fmac_f32_e32 v72, v91, v67
	v_cndmask_b32_e64 v66, v70, v73, s[4:5]
	v_or_b32_e32 v70, 3, v90
	v_max_f32_e32 v73, v66, v72
	v_cmp_gt_i32_e64 s[8:9], s11, v70
	v_lshlrev_b32_e32 v67, 2, v0
	v_cndmask_b32_e64 v66, v66, v73, s[8:9]
	v_and_or_b32 v67, v67, 48, v89
	;;#ASMSTART
	v_nop
 v_nop
 v_max_f32_dpp v66, v66, v66 row_ror:4
	;;#ASMEND
	v_lshlrev_b32_e32 v73, 2, v67
	;;#ASMSTART
	v_nop
 v_nop
 v_max_f32_dpp v66, v66, v66 row_ror:8
	;;#ASMEND
	ds_bpermute_b32 v66, v73, v66
	s_waitcnt lgkmcnt(0)
	;;#ASMSTART
	v_nop
 v_nop
 v_max_f32_dpp v66, v66, v66 row_ror:4
	;;#ASMEND
	;;#ASMSTART
	v_nop
 v_nop
 v_max_f32_dpp v70, v66, v66 row_ror:8
	;;#ASMEND
	v_sub_f32_e32 v66, v68, v70
	v_mul_f32_e32 v66, 0x3fb8aa3b, v66
	v_sub_f32_e32 v67, v69, v70
	v_exp_f32_e32 v66, v66
	v_mul_f32_e32 v67, 0x3fb8aa3b, v67
	v_sub_f32_e32 v69, v71, v70
	v_exp_f32_e32 v67, v67
	v_mul_f32_e32 v69, 0x3fb8aa3b, v69
	v_sub_f32_e32 v71, v72, v70
	v_exp_f32_e32 v69, v69
	v_mul_f32_e32 v71, 0x3fb8aa3b, v71
	v_exp_f32_e32 v71, v71
	v_cndmask_b32_e32 v66, 0, v66, vcc
	v_add_f32_e32 v68, 0, v66
	v_cndmask_b32_e64 v67, 0, v67, s[2:3]
	v_add_f32_e32 v72, v68, v67
	v_cndmask_b32_e64 v68, 0, v69, s[4:5]
	;; [unrolled: 2-line block ×3, first 2 shown]
	v_add_f32_e32 v71, v72, v69
	;;#ASMSTART
	v_nop
 v_nop
 v_add_f32_dpp v71, v71, v71 row_ror:4
	;;#ASMEND
	;;#ASMSTART
	v_nop
 v_nop
 v_add_f32_dpp v71, v71, v71 row_ror:8
	;;#ASMEND
	ds_bpermute_b32 v71, v73, v71
	s_waitcnt lgkmcnt(0)
	;;#ASMSTART
	v_nop
 v_nop
 v_add_f32_dpp v71, v71, v71 row_ror:4
	;;#ASMEND
	v_cmp_gt_u32_e32 vcc, 4, v1
	;;#ASMSTART
	v_nop
 v_nop
 v_add_f32_dpp v71, v71, v71 row_ror:8
	;;#ASMEND
	s_and_saveexec_b64 s[2:3], vcc
	s_cbranch_execz .LBB97_18
; %bb.17:
	v_mul_u32_u24_e32 v72, 20, v88
	v_lshl_add_u32 v72, v89, 2, v72
	v_add_u32_e32 v72, 0x1400, v72
	ds_write2_b32 v72, v70, v71 offset1:20
.LBB97_18:
	s_or_b64 exec, exec, s[2:3]
.LBB97_19:
	s_or_b64 exec, exec, s[24:25]
	s_waitcnt lgkmcnt(0)
	s_barrier
	s_load_dword s2, s[22:23], 0x8
	v_lshlrev_b32_e32 v71, 2, v89
	v_add_u32_e32 v71, 0x1400, v71
	ds_read2_b32 v[74:75], v71 offset1:5
	ds_read2_b32 v[76:77], v71 offset0:10 offset1:15
	s_mul_i32 s3, s6, s7
	s_waitcnt lgkmcnt(0)
	s_mul_i32 s3, s3, s2
	s_lshl_b32 s2, s3, 1
	s_mov_b32 s3, 0xff7fffff
	v_max3_f32 v72, v74, s3, v75
	v_max3_f32 v72, v72, v76, v77
	v_sub_f32_e32 v73, v74, v72
	v_sub_f32_e32 v74, v75, v72
	ds_read2_b32 v[78:79], v71 offset0:20 offset1:25
	v_mul_f32_e32 v73, 0x3fb8aa3b, v73
	v_mul_f32_e32 v74, 0x3fb8aa3b, v74
	v_exp_f32_e32 v73, v73
	v_exp_f32_e32 v80, v74
	ds_read2_b32 v[74:75], v71 offset0:30 offset1:35
	v_sub_f32_e32 v71, v76, v72
	v_mul_f32_e32 v71, 0x3fb8aa3b, v71
	v_sub_f32_e32 v76, v77, v72
	v_exp_f32_e32 v71, v71
	v_mul_f32_e32 v76, 0x3fb8aa3b, v76
	v_exp_f32_e32 v76, v76
	s_waitcnt lgkmcnt(1)
	v_fma_f32 v73, v73, v78, 0
	v_fmac_f32_e32 v73, v80, v79
	s_waitcnt lgkmcnt(0)
	v_fmac_f32_e32 v73, v71, v74
	v_fmac_f32_e32 v73, v76, v75
	v_cmp_gt_u32_e32 vcc, 2, v89
	s_and_saveexec_b64 s[4:5], vcc
	s_cbranch_execz .LBB97_21
; %bb.20:
	s_mov_b32 s3, 0
	s_lshl_b64 s[8:9], s[2:3], 2
	s_add_u32 s6, s12, s8
	s_mov_b32 s11, s3
	s_addc_u32 s16, s13, s9
	s_lshl_b64 s[12:13], s[10:11], 2
	s_add_u32 s3, s6, s12
	s_addc_u32 s6, s16, s13
	v_or_b32_e32 v71, s33, v89
	s_add_u32 s8, s14, s8
	v_mul_lo_u32 v74, s7, v71
	v_mov_b32_e32 v75, 0
	s_addc_u32 s9, s15, s9
	v_lshlrev_b64 v[74:75], 2, v[74:75]
	s_add_u32 s8, s8, s12
	v_mov_b32_e32 v71, s6
	v_add_co_u32_e32 v76, vcc, s3, v74
	s_addc_u32 s9, s9, s13
	v_addc_co_u32_e32 v77, vcc, v71, v75, vcc
	v_mov_b32_e32 v71, s9
	v_add_co_u32_e32 v74, vcc, s8, v74
	v_addc_co_u32_e32 v75, vcc, v71, v75, vcc
	global_store_dword v[74:75], v72, off
	global_store_dword v[76:77], v73, off
.LBB97_21:
	s_or_b64 exec, exec, s[4:5]
	v_lshlrev_b32_e32 v71, 3, v88
	s_and_saveexec_b64 s[4:5], s[0:1]
	s_xor_b64 s[0:1], exec, s[4:5]
	s_cbranch_execz .LBB97_23
; %bb.22:
	s_mov_b32 s4, 0
	s_mov_b32 s5, s4
	s_waitcnt vmcnt(14)
	v_mad_u32_u24 v4, v1, 40, v71
	v_pk_mov_b32 v[2:3], s[4:5], s[4:5] op_sel:[0,1]
	ds_write2st64_b64 v4, v[2:3], v[2:3] offset1:5
                                        ; implicit-def: $vgpr69
                                        ; implicit-def: $vgpr67
                                        ; implicit-def: $vgpr7
                                        ; implicit-def: $vgpr3
                                        ; implicit-def: $vgpr19
                                        ; implicit-def: $vgpr23
                                        ; implicit-def: $vgpr27
                                        ; implicit-def: $vgpr31
                                        ; implicit-def: $vgpr43
                                        ; implicit-def: $vgpr47
                                        ; implicit-def: $vgpr11
                                        ; implicit-def: $vgpr15
                                        ; implicit-def: $vgpr35
                                        ; implicit-def: $vgpr39
                                        ; implicit-def: $vgpr51
                                        ; implicit-def: $vgpr55
                                        ; implicit-def: $vgpr59
                                        ; implicit-def: $vgpr63
                                        ; implicit-def: $vgpr70
                                        ; implicit-def: $vgpr72
                                        ; implicit-def: $vgpr73
                                        ; implicit-def: $vgpr71
.LBB97_23:
	s_andn2_saveexec_b64 s[0:1], s[0:1]
	s_cbranch_execz .LBB97_25
; %bb.24:
	v_add_f32_e32 v73, 0x358637bd, v73
	v_div_scale_f32 v74, s[4:5], v73, v73, 1.0
	v_rcp_f32_e32 v75, v74
	v_sub_f32_e32 v70, v70, v72
	v_mul_f32_e32 v70, 0x3fb8aa3b, v70
	v_exp_f32_e32 v70, v70
	v_fma_f32 v72, -v74, v75, 1.0
	v_fmac_f32_e32 v75, v72, v75
	v_div_scale_f32 v72, vcc, 1.0, v73, 1.0
	v_mul_f32_e32 v76, v72, v75
	v_fma_f32 v77, -v74, v76, v72
	v_fmac_f32_e32 v76, v77, v75
	v_fma_f32 v72, -v74, v76, v72
	v_div_fmas_f32 v72, v72, v75, v76
	v_div_fixup_f32 v72, v72, v73, 1.0
	v_mul_f32_e32 v70, v70, v72
	v_pk_mul_f32 v[68:69], v[68:69], v[70:71] op_sel_hi:[1,0]
	v_pk_mul_f32 v[66:67], v[66:67], v[70:71] op_sel_hi:[1,0]
	v_cvt_f16_f32_e32 v66, v66
	v_cvt_f16_f32_e32 v67, v67
	;; [unrolled: 1-line block ×4, first 2 shown]
	v_pack_b32_f16 v66, v66, v67
	v_pack_b32_f16 v67, v68, v69
	s_waitcnt vmcnt(15)
	s_nop 0
	v_mfma_f32_4x4x4f16 a[0:3], v[66:67], v[6:7], 0 cbsz:4
	v_mfma_f32_4x4x4f16 a[0:3], v[66:67], v[8:9], a[0:3] cbsz:4 abid:1
	v_mad_u32_u24 v9, v1, 40, v71
	s_waitcnt vmcnt(14)
	v_mfma_f32_4x4x4f16 a[0:3], v[66:67], v[2:3], a[0:3] cbsz:4 abid:2
	s_waitcnt vmcnt(13)
	v_mfma_f32_4x4x4f16 a[4:7], v[66:67], v[10:11], 0 cbsz:4
	v_mfma_f32_4x4x4f16 a[0:3], v[66:67], v[4:5], a[0:3] cbsz:4 abid:3
	v_mfma_f32_4x4x4f16 a[4:7], v[66:67], v[12:13], a[4:7] cbsz:4 abid:1
	s_waitcnt vmcnt(11)
	v_mfma_f32_4x4x4f16 a[0:3], v[66:67], v[18:19], a[0:3] cbsz:4 abid:4
	v_mfma_f32_4x4x4f16 a[4:7], v[66:67], v[14:15], a[4:7] cbsz:4 abid:2
	;; [unrolled: 1-line block ×4, first 2 shown]
	s_waitcnt vmcnt(10)
	v_mfma_f32_4x4x4f16 a[0:3], v[66:67], v[22:23], a[0:3] cbsz:4 abid:6
	s_waitcnt vmcnt(9)
	v_mfma_f32_4x4x4f16 a[4:7], v[66:67], v[34:35], a[4:7] cbsz:4 abid:4
	v_mfma_f32_4x4x4f16 a[0:3], v[66:67], v[24:25], a[0:3] cbsz:4 abid:7
	;; [unrolled: 1-line block ×3, first 2 shown]
	s_waitcnt vmcnt(7)
	v_mfma_f32_4x4x4f16 a[0:3], v[66:67], v[26:27], a[0:3] cbsz:4 abid:8
	v_mfma_f32_4x4x4f16 a[4:7], v[66:67], v[38:39], a[4:7] cbsz:4 abid:6
	;; [unrolled: 1-line block ×4, first 2 shown]
	s_waitcnt vmcnt(6)
	v_mfma_f32_4x4x4f16 a[0:3], v[66:67], v[30:31], a[0:3] cbsz:4 abid:10
	s_waitcnt vmcnt(5)
	v_mfma_f32_4x4x4f16 a[4:7], v[66:67], v[50:51], a[4:7] cbsz:4 abid:8
	v_mfma_f32_4x4x4f16 a[0:3], v[66:67], v[32:33], a[0:3] cbsz:4 abid:11
	;; [unrolled: 1-line block ×3, first 2 shown]
	s_waitcnt vmcnt(3)
	v_mfma_f32_4x4x4f16 a[0:3], v[66:67], v[42:43], a[0:3] cbsz:4 abid:12
	v_mfma_f32_4x4x4f16 a[4:7], v[66:67], v[54:55], a[4:7] cbsz:4 abid:10
	;; [unrolled: 1-line block ×4, first 2 shown]
	s_waitcnt vmcnt(2)
	v_mfma_f32_4x4x4f16 a[0:3], v[66:67], v[46:47], a[0:3] cbsz:4 abid:14
	v_mfma_f32_4x4x4f16 a[0:3], v[66:67], v[48:49], a[0:3] cbsz:4 abid:15
	s_waitcnt vmcnt(1)
	v_mfma_f32_4x4x4f16 a[4:7], v[66:67], v[58:59], a[4:7] cbsz:4 abid:12
	s_nop 2
	v_accvgpr_read_b32 v2, a0
	v_accvgpr_read_b32 v3, a1
	;; [unrolled: 1-line block ×4, first 2 shown]
	v_mfma_f32_4x4x4f16 a[0:3], v[66:67], v[60:61], a[4:7] cbsz:4 abid:13
	v_cvt_f16_f32_e32 v2, v2
	v_cvt_f16_f32_e32 v3, v3
	s_waitcnt vmcnt(0)
	v_mfma_f32_4x4x4f16 a[0:3], v[66:67], v[62:63], a[0:3] cbsz:4 abid:14
	v_pack_b32_f16 v2, v2, v3
	v_mfma_f32_4x4x4f16 a[0:3], v[66:67], v[64:65], a[0:3] cbsz:4 abid:15
	v_cvt_f16_f32_e32 v3, v4
	v_cvt_f16_f32_e32 v4, v5
	v_pack_b32_f16 v3, v3, v4
	s_nop 1
	v_accvgpr_read_b32 v5, a0
	v_accvgpr_read_b32 v6, a1
	;; [unrolled: 1-line block ×4, first 2 shown]
	v_cvt_f16_f32_e32 v5, v5
	v_cvt_f16_f32_e32 v6, v6
	v_cvt_f16_f32_e32 v7, v7
	v_cvt_f16_f32_e32 v8, v8
	v_pack_b32_f16 v4, v5, v6
	v_pack_b32_f16 v5, v7, v8
	ds_write2st64_b64 v9, v[2:3], v[4:5] offset1:5
.LBB97_25:
	s_or_b64 exec, exec, s[0:1]
	v_cmp_gt_u32_e32 vcc, 64, v0
	s_waitcnt lgkmcnt(0)
	s_barrier
	s_and_saveexec_b64 s[0:1], vcc
	s_cbranch_execz .LBB97_27
; %bb.26:
	s_waitcnt vmcnt(15)
	v_mul_u32_u24_e32 v6, 40, v1
	s_waitcnt vmcnt(14)
	ds_read2_b64 v[2:5], v6 offset1:1
	s_mov_b32 s1, 0
	s_waitcnt lgkmcnt(0)
	v_mov_b32_e32 v3, 0xa00
	s_lshl_b32 s0, s2, 7
	ds_read2_b64 v[6:9], v6 offset0:2 offset1:3
	v_mad_u32_u24 v3, v1, 40, v3
	v_pk_add_f16 v2, v2, 0
	s_lshl_b64 s[2:3], s[0:1], 1
	s_waitcnt lgkmcnt(0)
	v_pk_add_f16 v7, v2, v4
	v_mov_b32_e32 v9, 0xa10
	ds_read2_b64 v[2:5], v3 offset1:1
	s_add_u32 s2, s20, s2
	v_mad_u32_u24 v1, v1, 40, v9
	s_waitcnt vmcnt(13)
	ds_read2_b64 v[10:13], v1 offset1:1
	s_addc_u32 s3, s21, s3
	s_lshl_b32 s0, s10, 7
	s_lshl_b64 s[0:1], s[0:1], 1
	s_add_u32 s0, s2, s0
	v_pk_add_f16 v1, v7, v6
	s_addc_u32 s1, s3, s1
	s_lshl_b32 s2, s7, 7
	v_pk_add_f16 v6, v1, v8
	s_waitcnt lgkmcnt(1)
	v_pk_add_f16 v1, v2, 0
	s_mul_i32 s3, s2, s33
	v_pk_add_f16 v1, v1, v4
	v_or_b32_e32 v2, s3, v0
	v_mov_b32_e32 v3, 0
	s_waitcnt lgkmcnt(0)
	v_pk_add_f16 v1, v1, v10
	v_lshlrev_b64 v[4:5], 1, v[2:3]
	s_add_i32 s3, s3, s2
	v_pk_add_f16 v7, v1, v12
	v_mov_b32_e32 v1, s1
	v_add_co_u32_e32 v4, vcc, s0, v4
	v_or_b32_e32 v2, s3, v0
	v_addc_co_u32_e32 v5, vcc, v1, v5, vcc
	v_lshlrev_b64 v[0:1], 1, v[2:3]
	v_mov_b32_e32 v2, s1
	v_add_co_u32_e32 v0, vcc, s0, v0
	v_addc_co_u32_e32 v1, vcc, v2, v1, vcc
	global_store_short v[4:5], v6, off
	global_store_short_d16_hi v[0:1], v6, off
	global_store_short v[4:5], v7, off offset:128
	global_store_short_d16_hi v[0:1], v7, off offset:128
.LBB97_27:
	s_endpgm
	.section	.rodata,"a",@progbits
	.p2align	6, 0x0
	.amdhsa_kernel _Z38paged_attention_ll4mi_QKV_mfma4_kernelIDF16_DF16_LN4vllm18Fp8KVCacheDataTypeE0EDF16_Li16ELi128ELi256ELb1ELi2EEvPKT_PKT0_S7_ifPKiS9_S9_iPKfiiiPfSC_PS2_PT2_iSB_SB_
		.amdhsa_group_segment_fixed_size 5280
		.amdhsa_private_segment_fixed_size 0
		.amdhsa_kernarg_size 400
		.amdhsa_user_sgpr_count 6
		.amdhsa_user_sgpr_private_segment_buffer 1
		.amdhsa_user_sgpr_dispatch_ptr 0
		.amdhsa_user_sgpr_queue_ptr 0
		.amdhsa_user_sgpr_kernarg_segment_ptr 1
		.amdhsa_user_sgpr_dispatch_id 0
		.amdhsa_user_sgpr_flat_scratch_init 0
		.amdhsa_user_sgpr_kernarg_preload_length 0
		.amdhsa_user_sgpr_kernarg_preload_offset 0
		.amdhsa_user_sgpr_private_segment_size 0
		.amdhsa_uses_dynamic_stack 0
		.amdhsa_system_sgpr_private_segment_wavefront_offset 0
		.amdhsa_system_sgpr_workgroup_id_x 1
		.amdhsa_system_sgpr_workgroup_id_y 1
		.amdhsa_system_sgpr_workgroup_id_z 1
		.amdhsa_system_sgpr_workgroup_info 0
		.amdhsa_system_vgpr_workitem_id 0
		.amdhsa_next_free_vgpr 108
		.amdhsa_next_free_sgpr 38
		.amdhsa_accum_offset 100
		.amdhsa_reserve_vcc 1
		.amdhsa_reserve_flat_scratch 0
		.amdhsa_float_round_mode_32 0
		.amdhsa_float_round_mode_16_64 0
		.amdhsa_float_denorm_mode_32 3
		.amdhsa_float_denorm_mode_16_64 3
		.amdhsa_dx10_clamp 1
		.amdhsa_ieee_mode 1
		.amdhsa_fp16_overflow 0
		.amdhsa_tg_split 0
		.amdhsa_exception_fp_ieee_invalid_op 0
		.amdhsa_exception_fp_denorm_src 0
		.amdhsa_exception_fp_ieee_div_zero 0
		.amdhsa_exception_fp_ieee_overflow 0
		.amdhsa_exception_fp_ieee_underflow 0
		.amdhsa_exception_fp_ieee_inexact 0
		.amdhsa_exception_int_div_zero 0
	.end_amdhsa_kernel
	.section	.text._Z38paged_attention_ll4mi_QKV_mfma4_kernelIDF16_DF16_LN4vllm18Fp8KVCacheDataTypeE0EDF16_Li16ELi128ELi256ELb1ELi2EEvPKT_PKT0_S7_ifPKiS9_S9_iPKfiiiPfSC_PS2_PT2_iSB_SB_,"axG",@progbits,_Z38paged_attention_ll4mi_QKV_mfma4_kernelIDF16_DF16_LN4vllm18Fp8KVCacheDataTypeE0EDF16_Li16ELi128ELi256ELb1ELi2EEvPKT_PKT0_S7_ifPKiS9_S9_iPKfiiiPfSC_PS2_PT2_iSB_SB_,comdat
.Lfunc_end97:
	.size	_Z38paged_attention_ll4mi_QKV_mfma4_kernelIDF16_DF16_LN4vllm18Fp8KVCacheDataTypeE0EDF16_Li16ELi128ELi256ELb1ELi2EEvPKT_PKT0_S7_ifPKiS9_S9_iPKfiiiPfSC_PS2_PT2_iSB_SB_, .Lfunc_end97-_Z38paged_attention_ll4mi_QKV_mfma4_kernelIDF16_DF16_LN4vllm18Fp8KVCacheDataTypeE0EDF16_Li16ELi128ELi256ELb1ELi2EEvPKT_PKT0_S7_ifPKiS9_S9_iPKfiiiPfSC_PS2_PT2_iSB_SB_
                                        ; -- End function
	.section	.AMDGPU.csdata,"",@progbits
; Kernel info:
; codeLenInByte = 3928
; NumSgprs: 42
; NumVgprs: 99
; NumAgprs: 8
; TotalNumVgprs: 108
; ScratchSize: 0
; MemoryBound: 0
; FloatMode: 240
; IeeeMode: 1
; LDSByteSize: 5280 bytes/workgroup (compile time only)
; SGPRBlocks: 5
; VGPRBlocks: 13
; NumSGPRsForWavesPerEU: 42
; NumVGPRsForWavesPerEU: 108
; AccumOffset: 100
; Occupancy: 4
; WaveLimiterHint : 1
; COMPUTE_PGM_RSRC2:SCRATCH_EN: 0
; COMPUTE_PGM_RSRC2:USER_SGPR: 6
; COMPUTE_PGM_RSRC2:TRAP_HANDLER: 0
; COMPUTE_PGM_RSRC2:TGID_X_EN: 1
; COMPUTE_PGM_RSRC2:TGID_Y_EN: 1
; COMPUTE_PGM_RSRC2:TGID_Z_EN: 1
; COMPUTE_PGM_RSRC2:TIDIG_COMP_CNT: 0
; COMPUTE_PGM_RSRC3_GFX90A:ACCUM_OFFSET: 24
; COMPUTE_PGM_RSRC3_GFX90A:TG_SPLIT: 0
	.section	.text._Z38paged_attention_ll4mi_QKV_mfma4_kernelIDF16_DF16_LN4vllm18Fp8KVCacheDataTypeE0EDF16_Li16ELi128ELi256ELb1ELi3EEvPKT_PKT0_S7_ifPKiS9_S9_iPKfiiiPfSC_PS2_PT2_iSB_SB_,"axG",@progbits,_Z38paged_attention_ll4mi_QKV_mfma4_kernelIDF16_DF16_LN4vllm18Fp8KVCacheDataTypeE0EDF16_Li16ELi128ELi256ELb1ELi3EEvPKT_PKT0_S7_ifPKiS9_S9_iPKfiiiPfSC_PS2_PT2_iSB_SB_,comdat
	.protected	_Z38paged_attention_ll4mi_QKV_mfma4_kernelIDF16_DF16_LN4vllm18Fp8KVCacheDataTypeE0EDF16_Li16ELi128ELi256ELb1ELi3EEvPKT_PKT0_S7_ifPKiS9_S9_iPKfiiiPfSC_PS2_PT2_iSB_SB_ ; -- Begin function _Z38paged_attention_ll4mi_QKV_mfma4_kernelIDF16_DF16_LN4vllm18Fp8KVCacheDataTypeE0EDF16_Li16ELi128ELi256ELb1ELi3EEvPKT_PKT0_S7_ifPKiS9_S9_iPKfiiiPfSC_PS2_PT2_iSB_SB_
	.globl	_Z38paged_attention_ll4mi_QKV_mfma4_kernelIDF16_DF16_LN4vllm18Fp8KVCacheDataTypeE0EDF16_Li16ELi128ELi256ELb1ELi3EEvPKT_PKT0_S7_ifPKiS9_S9_iPKfiiiPfSC_PS2_PT2_iSB_SB_
	.p2align	8
	.type	_Z38paged_attention_ll4mi_QKV_mfma4_kernelIDF16_DF16_LN4vllm18Fp8KVCacheDataTypeE0EDF16_Li16ELi128ELi256ELb1ELi3EEvPKT_PKT0_S7_ifPKiS9_S9_iPKfiiiPfSC_PS2_PT2_iSB_SB_,@function
_Z38paged_attention_ll4mi_QKV_mfma4_kernelIDF16_DF16_LN4vllm18Fp8KVCacheDataTypeE0EDF16_Li16ELi128ELi256ELb1ELi3EEvPKT_PKT0_S7_ifPKiS9_S9_iPKfiiiPfSC_PS2_PT2_iSB_SB_: ; @_Z38paged_attention_ll4mi_QKV_mfma4_kernelIDF16_DF16_LN4vllm18Fp8KVCacheDataTypeE0EDF16_Li16ELi128ELi256ELb1ELi3EEvPKT_PKT0_S7_ifPKiS9_S9_iPKfiiiPfSC_PS2_PT2_iSB_SB_
; %bb.0:
	s_load_dwordx2 s[2:3], s[4:5], 0x30
	s_mov_b32 s10, s7
	s_mov_b64 s[0:1], 0
	s_waitcnt lgkmcnt(0)
	s_cmp_lg_u64 s[2:3], 0
	s_cselect_b64 s[16:17], -1, 0
	s_and_b64 vcc, exec, s[16:17]
	s_cbranch_vccz .LBB98_10
; %bb.1:
	s_add_i32 s12, s6, 1
	s_mov_b32 s13, 0
	s_lshl_b64 s[14:15], s[12:13], 2
	s_add_u32 s14, s2, s14
	s_mov_b32 s7, s13
	s_addc_u32 s15, s3, s15
	s_lshl_b64 s[12:13], s[6:7], 2
	s_add_u32 s12, s2, s12
	s_addc_u32 s13, s3, s13
	s_load_dword s9, s[14:15], 0x0
	s_load_dword s11, s[12:13], 0x0
	s_waitcnt lgkmcnt(0)
	s_sub_i32 s9, s9, s11
	s_cmp_eq_u32 s9, 1
	s_cselect_b64 s[12:13], -1, 0
	s_andn2_b64 vcc, exec, s[0:1]
	s_cbranch_vccnz .LBB98_3
.LBB98_2:
	s_mov_b32 s7, 0
	s_mov_b64 s[12:13], -1
.LBB98_3:
	s_andn2_b64 vcc, exec, s[12:13]
	s_cbranch_vccnz .LBB98_27
; %bb.4:
	s_load_dword s9, s[4:5], 0x9c
	s_load_dwordx2 s[0:1], s[4:5], 0x28
	s_add_u32 s22, s4, 0x90
	s_addc_u32 s23, s5, 0
	s_lshl_b64 s[18:19], s[6:7], 2
	s_waitcnt lgkmcnt(0)
	s_and_b32 s9, s9, 0xffff
	s_add_u32 s0, s0, s18
	s_addc_u32 s1, s1, s19
	s_load_dword s11, s[0:1], 0x0
	s_mul_i32 s9, s10, s9
	s_waitcnt lgkmcnt(0)
	s_cmp_ge_i32 s9, s11
	s_cbranch_scc1 .LBB98_27
; %bb.5:
	v_and_b32_e32 v1, 0xc0, v0
	v_add_u32_e32 v2, s9, v1
	v_lshrrev_b32_e32 v88, 6, v0
	v_cmp_le_i32_e64 s[0:1], s11, v2
                                        ; implicit-def: $sgpr27
                                        ; implicit-def: $sgpr26
	s_and_saveexec_b64 s[12:13], s[0:1]
	s_xor_b64 s[12:13], exec, s[12:13]
	s_cbranch_execz .LBB98_7
; %bb.6:
	v_mul_u32_u24_e32 v1, 20, v88
	v_or_b32_e32 v1, 0x1400, v1
	v_mov_b32_e32 v2, 0x1450
	v_mov_b32_e32 v3, 0xff7fffff
	v_mad_u32_u24 v2, v88, 20, v2
	ds_write2_b32 v1, v3, v3 offset1:1
	v_mov_b32_e32 v1, 0
	ds_write2_b32 v2, v1, v1 offset1:1
	v_mov_b32_e32 v2, 0x1408
	s_mov_b32 s26, 0xff7fffff
	s_mov_b32 s27, 0
	v_mad_u32_u24 v2, v88, 20, v2
	v_mov_b32_e32 v4, 0x1458
	v_mad_u32_u24 v4, v88, 20, v4
	ds_write2_b32 v2, v3, v3 offset1:1
	ds_write2_b32 v4, v1, v1 offset1:1
                                        ; implicit-def: $vgpr2
.LBB98_7:
	s_or_saveexec_b64 s[24:25], s[12:13]
	s_load_dwordx2 s[20:21], s[4:5], 0x68
	s_load_dwordx4 s[12:15], s[4:5], 0x58
	s_load_dword s7, s[22:23], 0x4
	v_and_b32_e32 v1, 63, v0
	v_and_b32_e32 v89, 3, v0
	s_mul_i32 s33, s8, 3
	v_mov_b32_e32 v69, s27
	v_mov_b32_e32 v70, s26
	;; [unrolled: 1-line block ×5, first 2 shown]
                                        ; implicit-def: $vgpr7
                                        ; implicit-def: $vgpr3
                                        ; implicit-def: $vgpr19
                                        ; implicit-def: $vgpr23
                                        ; implicit-def: $vgpr27
                                        ; implicit-def: $vgpr31
                                        ; implicit-def: $vgpr43
                                        ; implicit-def: $vgpr47
                                        ; implicit-def: $vgpr11
                                        ; implicit-def: $vgpr15
                                        ; implicit-def: $vgpr35
                                        ; implicit-def: $vgpr39
                                        ; implicit-def: $vgpr51
                                        ; implicit-def: $vgpr55
                                        ; implicit-def: $vgpr59
                                        ; implicit-def: $vgpr63
	s_xor_b64 exec, exec, s[24:25]
	s_cbranch_execz .LBB98_19
; %bb.8:
	s_add_i32 s29, s11, 15
	s_load_dwordx2 s[26:27], s[4:5], 0x20
	s_load_dword s28, s[4:5], 0x38
	s_ashr_i32 s30, s29, 31
	s_lshr_b32 s30, s30, 28
	v_add_u32_e32 v90, s9, v0
	s_add_i32 s29, s29, s30
	v_ashrrev_i32_e32 v3, 31, v90
	s_ashr_i32 s29, s29, 4
	v_lshrrev_b32_e32 v3, 28, v3
	s_add_i32 s30, s29, -1
	v_add_u32_e32 v3, v90, v3
	s_waitcnt lgkmcnt(0)
	s_mul_i32 s28, s6, s28
	s_mov_b32 s29, 0
	v_ashrrev_i32_e32 v3, 4, v3
	v_mov_b32_e32 v4, s30
	v_cmp_gt_i32_e32 vcc, s11, v90
	s_lshl_b64 s[28:29], s[28:29], 2
	v_cndmask_b32_e32 v4, v4, v3, vcc
	s_add_u32 s26, s26, s28
	v_ashrrev_i32_e32 v5, 31, v4
	s_addc_u32 s27, s27, s29
	v_lshlrev_b64 v[4:5], 2, v[4:5]
	v_mov_b32_e32 v3, s27
	v_add_co_u32_e32 v4, vcc, s26, v4
	v_addc_co_u32_e32 v5, vcc, v3, v5, vcc
	v_ashrrev_i32_e32 v3, 31, v2
	v_lshrrev_b32_e32 v3, 28, v3
	v_add_u32_e32 v2, v2, v3
	v_ashrrev_i32_e32 v12, 4, v2
	v_min_i32_e32 v2, s30, v12
	v_ashrrev_i32_e32 v3, 31, v2
	v_lshlrev_b64 v[2:3], 2, v[2:3]
	v_add_co_u32_e32 v6, vcc, s26, v2
	v_add_u32_e32 v2, 1, v12
	v_mov_b32_e32 v7, s27
	v_min_i32_e32 v2, s30, v2
	v_addc_co_u32_e32 v7, vcc, v7, v3, vcc
	v_ashrrev_i32_e32 v3, 31, v2
	v_lshlrev_b64 v[2:3], 2, v[2:3]
	v_add_co_u32_e32 v8, vcc, s26, v2
	v_add_u32_e32 v2, 2, v12
	v_mov_b32_e32 v9, s27
	v_min_i32_e32 v2, s30, v2
	v_addc_co_u32_e32 v9, vcc, v9, v3, vcc
	v_ashrrev_i32_e32 v3, 31, v2
	v_lshlrev_b64 v[2:3], 2, v[2:3]
	v_add_co_u32_e32 v10, vcc, s26, v2
	v_add_u32_e32 v2, 3, v12
	v_mov_b32_e32 v11, s27
	v_min_i32_e32 v2, s30, v2
	v_addc_co_u32_e32 v11, vcc, v11, v3, vcc
	v_ashrrev_i32_e32 v3, 31, v2
	v_lshlrev_b64 v[2:3], 2, v[2:3]
	v_mov_b32_e32 v13, s27
	v_add_co_u32_e32 v12, vcc, s26, v2
	v_addc_co_u32_e32 v13, vcc, v13, v3, vcc
	global_load_dword v3, v[4:5], off
	global_load_dword v2, v[6:7], off
	;; [unrolled: 1-line block ×5, first 2 shown]
	s_load_dwordx2 s[28:29], s[4:5], 0x8
	s_andn2_b64 vcc, exec, s[16:17]
	s_cbranch_vccnz .LBB98_11
; %bb.9:
	s_add_u32 s2, s2, s18
	s_addc_u32 s3, s3, s19
	s_load_dword s2, s[2:3], 0x0
	s_branch .LBB98_12
.LBB98_10:
	s_mov_b64 s[12:13], 0
	s_branch .LBB98_2
.LBB98_11:
	s_mov_b32 s2, s6
.LBB98_12:
	s_load_dwordx2 s[26:27], s[4:5], 0x10
	s_load_dwordx4 s[16:19], s[4:5], 0x48
	v_cmp_ne_u32_e32 vcc, 3, v89
	s_mov_b32 s3, 0
	v_mov_b32_e32 v86, 0
	v_mov_b32_e32 v58, 0
	;; [unrolled: 1-line block ×5, first 2 shown]
	s_and_saveexec_b64 s[30:31], vcc
	s_cbranch_execz .LBB98_14
; %bb.13:
	s_load_dwordx2 s[34:35], s[4:5], 0x0
	s_waitcnt lgkmcnt(0)
	s_ashr_i32 s9, s16, 31
	s_mul_hi_u32 s19, s2, s16
	s_mul_i32 s9, s2, s9
	s_add_i32 s37, s19, s9
	s_mul_i32 s36, s2, s16
	s_lshl_b64 s[36:37], s[36:37], 1
	s_add_u32 s9, s34, s36
	s_mul_i32 s2, s8, 0x180
	s_addc_u32 s16, s35, s37
	s_lshl_b64 s[34:35], s[2:3], 1
	v_lshlrev_b32_e32 v4, 2, v1
	s_add_u32 s34, s9, s34
	v_and_b32_e32 v4, 0xf0, v4
	s_addc_u32 s35, s16, s35
	v_lshl_or_b32 v4, v89, 8, v4
	global_load_dwordx4 v[58:61], v4, s[34:35]
.LBB98_14:
	s_or_b64 exec, exec, s[30:31]
	s_waitcnt lgkmcnt(0)
	s_mul_i32 s2, s8, s18
	s_lshl_b64 s[8:9], s[2:3], 1
	s_waitcnt vmcnt(4)
	v_mad_i64_i32 v[4:5], s[30:31], v3, s17, 0
	s_add_u32 s2, s8, s28
	v_lshlrev_b64 v[4:5], 1, v[4:5]
	s_addc_u32 s3, s9, s29
	v_mov_b32_e32 v3, s3
	v_add_co_u32_e64 v4, s[2:3], s2, v4
	v_addc_co_u32_e64 v3, s[2:3], v3, v5, s[2:3]
	v_and_b32_e32 v5, 15, v0
	v_lshlrev_b32_e32 v5, 4, v5
	v_add_co_u32_e64 v4, s[2:3], v4, v5
	v_addc_co_u32_e64 v5, s[2:3], 0, v3, s[2:3]
	global_load_dwordx4 v[82:85], v[4:5], off
	global_load_dwordx4 v[38:41], v[4:5], off offset:256
	global_load_dwordx4 v[22:25], v[4:5], off offset:512
	global_load_dwordx4 v[18:21], v[4:5], off offset:768
	global_load_dwordx4 v[34:37], v[4:5], off offset:1024
	global_load_dwordx4 v[78:81], v[4:5], off offset:1280
	global_load_dwordx4 v[54:57], v[4:5], off offset:1536
	global_load_dwordx4 v[50:53], v[4:5], off offset:1792
	global_load_dwordx4 v[30:33], v[4:5], off offset:2048
	global_load_dwordx4 v[26:29], v[4:5], off offset:2304
	global_load_dwordx4 v[74:77], v[4:5], off offset:2560
	global_load_dwordx4 v[70:73], v[4:5], off offset:2816
	global_load_dwordx4 v[66:69], v[4:5], off offset:3072
	global_load_dwordx4 v[46:49], v[4:5], off offset:3328
	global_load_dwordx4 v[42:45], v[4:5], off offset:3584
	global_load_dwordx4 v[62:65], v[4:5], off offset:3840
	v_mov_b32_e32 v87, 1.0
	s_and_saveexec_b64 s[2:3], vcc
	s_cbranch_execz .LBB98_16
; %bb.15:
	s_load_dwordx2 s[18:19], s[4:5], 0x40
	v_add_u32_e32 v86, s33, v89
	v_mov_b32_e32 v87, 0
	v_lshlrev_b64 v[4:5], 2, v[86:87]
	s_waitcnt lgkmcnt(0)
	v_mov_b32_e32 v3, s19
	v_add_co_u32_e32 v4, vcc, s18, v4
	v_addc_co_u32_e32 v5, vcc, v3, v5, vcc
	global_load_dword v86, v[4:5], off
.LBB98_16:
	s_or_b64 exec, exec, s[2:3]
	s_waitcnt vmcnt(15)
	v_mfma_f32_4x4x4f16 a[0:3], v[58:59], v[82:83], 0 cbsz:4
	v_mul_hi_i32 v3, v2, s17
	v_mfma_f32_4x4x4f16 a[0:3], v[60:61], v[84:85], a[0:3] cbsz:4
	v_ashrrev_i32_e32 v3, 31, v3
	s_waitcnt vmcnt(14)
	v_mfma_f32_4x4x4f16 a[0:3], v[58:59], v[38:39], a[0:3] cbsz:4 abid:1
	v_lshrrev_b32_e32 v94, 29, v3
	v_mfma_f32_4x4x4f16 a[0:3], v[60:61], v[40:41], a[0:3] cbsz:4 abid:1
	v_mov_b32_e32 v95, 0
	s_waitcnt vmcnt(13)
	v_mfma_f32_4x4x4f16 a[0:3], v[58:59], v[22:23], a[0:3] cbsz:4 abid:2
	s_load_dword s2, s[4:5], 0x1c
	v_mfma_f32_4x4x4f16 a[0:3], v[60:61], v[24:25], a[0:3] cbsz:4 abid:2
	v_mad_i64_i32 v[2:3], s[4:5], v2, s17, v[94:95]
	s_waitcnt vmcnt(12)
	v_mfma_f32_4x4x4f16 a[0:3], v[58:59], v[18:19], a[0:3] cbsz:4 abid:3
	s_add_u32 s3, s26, s8
	v_mfma_f32_4x4x4f16 a[0:3], v[60:61], v[20:21], a[0:3] cbsz:4 abid:3
	v_lshlrev_b64 v[2:3], 1, v[2:3]
	s_waitcnt vmcnt(11)
	v_mfma_f32_4x4x4f16 a[0:3], v[58:59], v[34:35], a[0:3] cbsz:4 abid:4
	v_mul_hi_i32 v94, v93, s17
	v_mfma_f32_4x4x4f16 a[0:3], v[60:61], v[36:37], a[0:3] cbsz:4 abid:4
	s_addc_u32 s8, s27, s9
	s_waitcnt vmcnt(10)
	v_mfma_f32_4x4x4f16 a[0:3], v[58:59], v[78:79], a[0:3] cbsz:4 abid:5
	v_and_b32_e32 v2, -16, v2
	v_mfma_f32_4x4x4f16 a[0:3], v[60:61], v[80:81], a[0:3] cbsz:4 abid:5
	v_ashrrev_i32_e32 v82, 31, v94
	s_waitcnt vmcnt(9)
	v_mfma_f32_4x4x4f16 a[0:3], v[58:59], v[54:55], a[0:3] cbsz:4 abid:6
	v_mov_b32_e32 v4, s8
	v_mfma_f32_4x4x4f16 a[0:3], v[60:61], v[56:57], a[0:3] cbsz:4 abid:6
	v_add_co_u32_e32 v2, vcc, s3, v2
	s_waitcnt vmcnt(8)
	v_mfma_f32_4x4x4f16 a[0:3], v[58:59], v[50:51], a[0:3] cbsz:4 abid:7
	v_lshrrev_b32_e32 v94, 29, v82
	v_mfma_f32_4x4x4f16 a[0:3], v[60:61], v[52:53], a[0:3] cbsz:4 abid:7
	v_addc_co_u32_e32 v3, vcc, v4, v3, vcc
	s_waitcnt vmcnt(7)
	v_mfma_f32_4x4x4f16 a[0:3], v[58:59], v[30:31], a[0:3] cbsz:4 abid:8
	v_lshlrev_b32_e32 v98, 5, v1
	v_mfma_f32_4x4x4f16 a[0:3], v[60:61], v[32:33], a[0:3] cbsz:4 abid:8
	v_mad_i64_i32 v[38:39], s[4:5], v93, s17, v[94:95]
	s_waitcnt vmcnt(6)
	v_mfma_f32_4x4x4f16 a[0:3], v[58:59], v[26:27], a[0:3] cbsz:4 abid:9
	v_add_co_u32_e32 v96, vcc, v2, v98
	v_mfma_f32_4x4x4f16 a[0:3], v[60:61], v[28:29], a[0:3] cbsz:4 abid:9
	v_lshlrev_b64 v[38:39], 1, v[38:39]
	s_waitcnt vmcnt(5)
	v_mfma_f32_4x4x4f16 a[0:3], v[58:59], v[74:75], a[0:3] cbsz:4 abid:10
	v_mul_hi_i32 v78, v92, s17
	v_mfma_f32_4x4x4f16 a[0:3], v[60:61], v[76:77], a[0:3] cbsz:4 abid:10
	v_addc_co_u32_e32 v97, vcc, 0, v3, vcc
	s_waitcnt vmcnt(4)
	v_mfma_f32_4x4x4f16 a[0:3], v[58:59], v[70:71], a[0:3] cbsz:4 abid:11
	v_and_b32_e32 v22, -16, v38
	v_mfma_f32_4x4x4f16 a[0:3], v[60:61], v[72:73], a[0:3] cbsz:4 abid:11
	v_ashrrev_i32_e32 v78, 31, v78
	s_waitcnt vmcnt(3)
	v_mfma_f32_4x4x4f16 a[0:3], v[58:59], v[66:67], a[0:3] cbsz:4 abid:12
	v_mov_b32_e32 v23, s8
	v_mfma_f32_4x4x4f16 a[0:3], v[60:61], v[68:69], a[0:3] cbsz:4 abid:12
	v_add_co_u32_e32 v18, vcc, s3, v22
	s_waitcnt vmcnt(2)
	v_mfma_f32_4x4x4f16 a[0:3], v[58:59], v[46:47], a[0:3] cbsz:4 abid:13
	v_lshrrev_b32_e32 v94, 29, v78
	v_mfma_f32_4x4x4f16 a[0:3], v[60:61], v[48:49], a[0:3] cbsz:4 abid:13
	v_addc_co_u32_e32 v19, vcc, v23, v39, vcc
	s_waitcnt vmcnt(1)
	v_mfma_f32_4x4x4f16 a[0:3], v[58:59], v[42:43], a[0:3] cbsz:4 abid:14
	v_mad_i64_i32 v[54:55], s[4:5], v92, s17, v[94:95]
	v_mfma_f32_4x4x4f16 a[0:3], v[60:61], v[44:45], a[0:3] cbsz:4 abid:14
	v_add_co_u32_e32 v82, vcc, v18, v98
	v_lshlrev_b64 v[50:51], 1, v[54:55]
	v_mul_hi_i32 v74, v91, s17
	v_addc_co_u32_e32 v83, vcc, 0, v19, vcc
	v_and_b32_e32 v50, -16, v50
	v_ashrrev_i32_e32 v70, 31, v74
	s_waitcnt vmcnt(0)
	v_mfma_f32_4x4x4f16 a[0:3], v[58:59], v[62:63], a[0:3] cbsz:4 abid:15
	v_mov_b32_e32 v30, s8
	v_add_co_u32_e32 v31, vcc, s3, v50
	v_lshrrev_b32_e32 v94, 29, v70
	v_addc_co_u32_e32 v30, vcc, v30, v51, vcc
	v_mad_i64_i32 v[66:67], s[4:5], v91, s17, v[94:95]
	v_mfma_f32_4x4x4f16 a[0:3], v[60:61], v[64:65], a[0:3] cbsz:4 abid:15
	v_add_co_u32_e32 v78, vcc, v31, v98
	v_lshlrev_b64 v[66:67], 1, v[66:67]
	v_addc_co_u32_e32 v79, vcc, 0, v30, vcc
	v_and_b32_e32 v46, -16, v66
	s_nop 0
	v_accvgpr_read_b32 v61, a1
	v_mov_b32_e32 v47, s8
	v_add_co_u32_e32 v42, vcc, s3, v46
	v_accvgpr_read_b32 v60, a0
	v_addc_co_u32_e32 v43, vcc, v47, v67, vcc
	s_waitcnt lgkmcnt(0)
	v_pk_mul_f32 v[60:61], s[2:3], v[60:61] op_sel_hi:[0,1]
	v_add_co_u32_e32 v66, vcc, v42, v98
	v_addc_co_u32_e32 v67, vcc, 0, v43, vcc
	v_accvgpr_read_b32 v59, a3
	v_accvgpr_read_b32 v58, a2
	v_cmp_eq_u32_e32 vcc, 0, v89
	v_pk_mul_f32 v[68:69], s[2:3], v[58:59] op_sel_hi:[0,1]
	v_cndmask_b32_e64 v58, 0, 1.0, vcc
	v_cmp_eq_u32_e32 vcc, 1, v89
	global_load_dwordx4 v[6:9], v[96:97], off
	global_load_dwordx4 v[2:5], v[96:97], off offset:16
	global_load_dwordx4 v[10:13], v[96:97], off offset:2048
	;; [unrolled: 1-line block ×3, first 2 shown]
	v_mfma_f32_4x4x1f32 a[0:3], v60, v58, 0
	v_cndmask_b32_e64 v58, 0, 1.0, vcc
	v_cmp_eq_u32_e32 vcc, 2, v89
	global_load_dwordx4 v[18:21], v[82:83], off
	global_load_dwordx4 v[22:25], v[82:83], off offset:16
	v_mfma_f32_4x4x1f32 a[0:3], v61, v58, a[0:3]
	v_cndmask_b32_e64 v58, 0, 1.0, vcc
	global_load_dwordx4 v[34:37], v[82:83], off offset:2048
	global_load_dwordx4 v[38:41], v[82:83], off offset:2064
	global_load_dwordx4 v[26:29], v[78:79], off
	global_load_dwordx4 v[30:33], v[78:79], off offset:16
	global_load_dwordx4 v[50:53], v[78:79], off offset:2048
	;; [unrolled: 1-line block ×3, first 2 shown]
	global_load_dwordx4 v[42:45], v[66:67], off
	global_load_dwordx4 v[46:49], v[66:67], off offset:16
	v_mfma_f32_4x4x1f32 a[0:3], v68, v58, a[0:3]
	global_load_dwordx4 v[58:61], v[66:67], off offset:2048
	global_load_dwordx4 v[62:65], v[66:67], off offset:2064
	v_and_b32_e32 v66, -4, v90
	v_subrev_u32_e32 v67, s11, v66
	v_add_u32_e32 v68, 1, v67
	v_mfma_f32_4x4x1f32 a[0:3], v69, v87, a[0:3]
	v_cvt_f32_i32_e32 v68, v68
	v_add_u32_e32 v69, 2, v67
	v_cvt_f32_i32_e32 v69, v69
	v_mov_b32_e32 v73, 0xff7fffff
	v_cmp_gt_i32_e32 vcc, s11, v66
	v_accvgpr_read_b32 v70, a0
	v_fma_f32 v68, v86, v68, v70
	v_accvgpr_read_b32 v70, a1
	v_fma_f32 v69, v86, v69, v70
	v_add_u32_e32 v70, 3, v67
	v_cvt_f32_i32_e32 v70, v70
	v_accvgpr_read_b32 v71, a2
	v_add_u32_e32 v67, 4, v67
	v_cvt_f32_i32_e32 v67, v67
	v_fma_f32 v71, v86, v70, v71
	v_max_f32_e32 v70, 0xff7fffff, v68
	v_cndmask_b32_e32 v70, v73, v70, vcc
	v_or_b32_e32 v73, 1, v66
	v_max_f32_e32 v74, v70, v69
	v_cmp_gt_i32_e64 s[2:3], s11, v73
	v_cndmask_b32_e64 v70, v70, v74, s[2:3]
	v_or_b32_e32 v66, 2, v66
	v_accvgpr_read_b32 v72, a3
	v_max_f32_e32 v73, v70, v71
	v_cmp_gt_i32_e64 s[4:5], s11, v66
	v_fmac_f32_e32 v72, v86, v67
	v_cndmask_b32_e64 v66, v70, v73, s[4:5]
	v_or_b32_e32 v70, 3, v90
	v_max_f32_e32 v73, v66, v72
	v_cmp_gt_i32_e64 s[8:9], s11, v70
	v_lshlrev_b32_e32 v67, 2, v0
	v_cndmask_b32_e64 v66, v66, v73, s[8:9]
	v_and_or_b32 v67, v67, 48, v89
	;;#ASMSTART
	v_nop
 v_nop
 v_max_f32_dpp v66, v66, v66 row_ror:4
	;;#ASMEND
	v_lshlrev_b32_e32 v73, 2, v67
	;;#ASMSTART
	v_nop
 v_nop
 v_max_f32_dpp v66, v66, v66 row_ror:8
	;;#ASMEND
	ds_bpermute_b32 v66, v73, v66
	s_waitcnt lgkmcnt(0)
	;;#ASMSTART
	v_nop
 v_nop
 v_max_f32_dpp v66, v66, v66 row_ror:4
	;;#ASMEND
	;;#ASMSTART
	v_nop
 v_nop
 v_max_f32_dpp v70, v66, v66 row_ror:8
	;;#ASMEND
	v_sub_f32_e32 v66, v68, v70
	v_mul_f32_e32 v66, 0x3fb8aa3b, v66
	v_sub_f32_e32 v67, v69, v70
	v_exp_f32_e32 v66, v66
	v_mul_f32_e32 v67, 0x3fb8aa3b, v67
	v_sub_f32_e32 v69, v71, v70
	v_exp_f32_e32 v67, v67
	;; [unrolled: 3-line block ×3, first 2 shown]
	v_mul_f32_e32 v71, 0x3fb8aa3b, v71
	v_exp_f32_e32 v71, v71
	v_cndmask_b32_e32 v66, 0, v66, vcc
	v_add_f32_e32 v68, 0, v66
	v_cndmask_b32_e64 v67, 0, v67, s[2:3]
	v_add_f32_e32 v72, v68, v67
	v_cndmask_b32_e64 v68, 0, v69, s[4:5]
	;; [unrolled: 2-line block ×3, first 2 shown]
	v_add_f32_e32 v71, v72, v69
	;;#ASMSTART
	v_nop
 v_nop
 v_add_f32_dpp v71, v71, v71 row_ror:4
	;;#ASMEND
	;;#ASMSTART
	v_nop
 v_nop
 v_add_f32_dpp v71, v71, v71 row_ror:8
	;;#ASMEND
	ds_bpermute_b32 v71, v73, v71
	s_waitcnt lgkmcnt(0)
	;;#ASMSTART
	v_nop
 v_nop
 v_add_f32_dpp v71, v71, v71 row_ror:4
	;;#ASMEND
	v_cmp_gt_u32_e32 vcc, 4, v1
	;;#ASMSTART
	v_nop
 v_nop
 v_add_f32_dpp v71, v71, v71 row_ror:8
	;;#ASMEND
	s_and_saveexec_b64 s[2:3], vcc
	s_cbranch_execz .LBB98_18
; %bb.17:
	v_mul_u32_u24_e32 v72, 20, v88
	v_lshl_add_u32 v72, v89, 2, v72
	v_add_u32_e32 v72, 0x1400, v72
	ds_write2_b32 v72, v70, v71 offset1:20
.LBB98_18:
	s_or_b64 exec, exec, s[2:3]
.LBB98_19:
	s_or_b64 exec, exec, s[24:25]
	s_waitcnt lgkmcnt(0)
	s_barrier
	s_load_dword s2, s[22:23], 0x8
	v_lshlrev_b32_e32 v71, 2, v89
	v_add_u32_e32 v71, 0x1400, v71
	ds_read2_b32 v[74:75], v71 offset1:5
	ds_read2_b32 v[76:77], v71 offset0:10 offset1:15
	s_mul_i32 s3, s6, s7
	s_waitcnt lgkmcnt(0)
	s_mul_i32 s2, s3, s2
	s_mov_b32 s3, 0xff7fffff
	v_max3_f32 v72, v74, s3, v75
	v_max3_f32 v72, v72, v76, v77
	v_sub_f32_e32 v73, v74, v72
	v_sub_f32_e32 v74, v75, v72
	ds_read2_b32 v[78:79], v71 offset0:20 offset1:25
	v_mul_f32_e32 v73, 0x3fb8aa3b, v73
	v_mul_f32_e32 v74, 0x3fb8aa3b, v74
	v_exp_f32_e32 v73, v73
	v_exp_f32_e32 v80, v74
	ds_read2_b32 v[74:75], v71 offset0:30 offset1:35
	v_sub_f32_e32 v71, v76, v72
	v_mul_f32_e32 v71, 0x3fb8aa3b, v71
	v_sub_f32_e32 v76, v77, v72
	v_exp_f32_e32 v71, v71
	v_mul_f32_e32 v76, 0x3fb8aa3b, v76
	v_exp_f32_e32 v76, v76
	s_waitcnt lgkmcnt(1)
	v_fma_f32 v73, v73, v78, 0
	v_fmac_f32_e32 v73, v80, v79
	s_waitcnt lgkmcnt(0)
	v_fmac_f32_e32 v73, v71, v74
	s_mul_i32 s2, s2, 3
	v_fmac_f32_e32 v73, v76, v75
	v_cmp_ne_u32_e32 vcc, 3, v89
	s_and_saveexec_b64 s[4:5], vcc
	s_cbranch_execz .LBB98_21
; %bb.20:
	s_mov_b32 s3, 0
	s_lshl_b64 s[8:9], s[2:3], 2
	s_add_u32 s6, s12, s8
	s_mov_b32 s11, s3
	s_addc_u32 s16, s13, s9
	s_lshl_b64 s[12:13], s[10:11], 2
	s_add_u32 s3, s6, s12
	s_addc_u32 s6, s16, s13
	v_add_u32_e32 v71, s33, v89
	s_add_u32 s8, s14, s8
	v_mul_lo_u32 v74, s7, v71
	v_mov_b32_e32 v75, 0
	s_addc_u32 s9, s15, s9
	v_lshlrev_b64 v[74:75], 2, v[74:75]
	s_add_u32 s8, s8, s12
	v_mov_b32_e32 v71, s6
	v_add_co_u32_e32 v76, vcc, s3, v74
	s_addc_u32 s9, s9, s13
	v_addc_co_u32_e32 v77, vcc, v71, v75, vcc
	v_mov_b32_e32 v71, s9
	v_add_co_u32_e32 v74, vcc, s8, v74
	v_addc_co_u32_e32 v75, vcc, v71, v75, vcc
	global_store_dword v[74:75], v72, off
	global_store_dword v[76:77], v73, off
.LBB98_21:
	s_or_b64 exec, exec, s[4:5]
	v_lshlrev_b32_e32 v71, 3, v88
	s_and_saveexec_b64 s[4:5], s[0:1]
	s_xor_b64 s[0:1], exec, s[4:5]
	s_cbranch_execz .LBB98_23
; %bb.22:
	s_mov_b32 s4, 0
	s_mov_b32 s5, s4
	s_waitcnt vmcnt(14)
	v_mad_u32_u24 v4, v1, 40, v71
	v_pk_mov_b32 v[2:3], s[4:5], s[4:5] op_sel:[0,1]
	ds_write2st64_b64 v4, v[2:3], v[2:3] offset1:5
                                        ; implicit-def: $vgpr69
                                        ; implicit-def: $vgpr67
                                        ; implicit-def: $vgpr7
                                        ; implicit-def: $vgpr3
                                        ; implicit-def: $vgpr19
                                        ; implicit-def: $vgpr23
                                        ; implicit-def: $vgpr27
                                        ; implicit-def: $vgpr31
                                        ; implicit-def: $vgpr43
                                        ; implicit-def: $vgpr47
                                        ; implicit-def: $vgpr11
                                        ; implicit-def: $vgpr15
                                        ; implicit-def: $vgpr35
                                        ; implicit-def: $vgpr39
                                        ; implicit-def: $vgpr51
                                        ; implicit-def: $vgpr55
                                        ; implicit-def: $vgpr59
                                        ; implicit-def: $vgpr63
                                        ; implicit-def: $vgpr70
                                        ; implicit-def: $vgpr72
                                        ; implicit-def: $vgpr73
                                        ; implicit-def: $vgpr71
.LBB98_23:
	s_andn2_saveexec_b64 s[0:1], s[0:1]
	s_cbranch_execz .LBB98_25
; %bb.24:
	v_add_f32_e32 v73, 0x358637bd, v73
	v_div_scale_f32 v74, s[4:5], v73, v73, 1.0
	v_rcp_f32_e32 v75, v74
	v_sub_f32_e32 v70, v70, v72
	v_mul_f32_e32 v70, 0x3fb8aa3b, v70
	v_exp_f32_e32 v70, v70
	v_fma_f32 v72, -v74, v75, 1.0
	v_fmac_f32_e32 v75, v72, v75
	v_div_scale_f32 v72, vcc, 1.0, v73, 1.0
	v_mul_f32_e32 v76, v72, v75
	v_fma_f32 v77, -v74, v76, v72
	v_fmac_f32_e32 v76, v77, v75
	v_fma_f32 v72, -v74, v76, v72
	v_div_fmas_f32 v72, v72, v75, v76
	v_div_fixup_f32 v72, v72, v73, 1.0
	v_mul_f32_e32 v70, v70, v72
	v_pk_mul_f32 v[68:69], v[68:69], v[70:71] op_sel_hi:[1,0]
	v_pk_mul_f32 v[66:67], v[66:67], v[70:71] op_sel_hi:[1,0]
	v_cvt_f16_f32_e32 v66, v66
	v_cvt_f16_f32_e32 v67, v67
	;; [unrolled: 1-line block ×4, first 2 shown]
	v_pack_b32_f16 v66, v66, v67
	v_pack_b32_f16 v67, v68, v69
	s_waitcnt vmcnt(15)
	s_nop 0
	v_mfma_f32_4x4x4f16 a[0:3], v[66:67], v[6:7], 0 cbsz:4
	v_mfma_f32_4x4x4f16 a[0:3], v[66:67], v[8:9], a[0:3] cbsz:4 abid:1
	v_mad_u32_u24 v9, v1, 40, v71
	s_waitcnt vmcnt(14)
	v_mfma_f32_4x4x4f16 a[0:3], v[66:67], v[2:3], a[0:3] cbsz:4 abid:2
	s_waitcnt vmcnt(13)
	v_mfma_f32_4x4x4f16 a[4:7], v[66:67], v[10:11], 0 cbsz:4
	v_mfma_f32_4x4x4f16 a[0:3], v[66:67], v[4:5], a[0:3] cbsz:4 abid:3
	v_mfma_f32_4x4x4f16 a[4:7], v[66:67], v[12:13], a[4:7] cbsz:4 abid:1
	s_waitcnt vmcnt(11)
	v_mfma_f32_4x4x4f16 a[0:3], v[66:67], v[18:19], a[0:3] cbsz:4 abid:4
	v_mfma_f32_4x4x4f16 a[4:7], v[66:67], v[14:15], a[4:7] cbsz:4 abid:2
	v_mfma_f32_4x4x4f16 a[0:3], v[66:67], v[20:21], a[0:3] cbsz:4 abid:5
	v_mfma_f32_4x4x4f16 a[4:7], v[66:67], v[16:17], a[4:7] cbsz:4 abid:3
	s_waitcnt vmcnt(10)
	v_mfma_f32_4x4x4f16 a[0:3], v[66:67], v[22:23], a[0:3] cbsz:4 abid:6
	s_waitcnt vmcnt(9)
	v_mfma_f32_4x4x4f16 a[4:7], v[66:67], v[34:35], a[4:7] cbsz:4 abid:4
	v_mfma_f32_4x4x4f16 a[0:3], v[66:67], v[24:25], a[0:3] cbsz:4 abid:7
	;; [unrolled: 1-line block ×3, first 2 shown]
	s_waitcnt vmcnt(7)
	v_mfma_f32_4x4x4f16 a[0:3], v[66:67], v[26:27], a[0:3] cbsz:4 abid:8
	v_mfma_f32_4x4x4f16 a[4:7], v[66:67], v[38:39], a[4:7] cbsz:4 abid:6
	;; [unrolled: 1-line block ×4, first 2 shown]
	s_waitcnt vmcnt(6)
	v_mfma_f32_4x4x4f16 a[0:3], v[66:67], v[30:31], a[0:3] cbsz:4 abid:10
	s_waitcnt vmcnt(5)
	v_mfma_f32_4x4x4f16 a[4:7], v[66:67], v[50:51], a[4:7] cbsz:4 abid:8
	v_mfma_f32_4x4x4f16 a[0:3], v[66:67], v[32:33], a[0:3] cbsz:4 abid:11
	;; [unrolled: 1-line block ×3, first 2 shown]
	s_waitcnt vmcnt(3)
	v_mfma_f32_4x4x4f16 a[0:3], v[66:67], v[42:43], a[0:3] cbsz:4 abid:12
	v_mfma_f32_4x4x4f16 a[4:7], v[66:67], v[54:55], a[4:7] cbsz:4 abid:10
	;; [unrolled: 1-line block ×4, first 2 shown]
	s_waitcnt vmcnt(2)
	v_mfma_f32_4x4x4f16 a[0:3], v[66:67], v[46:47], a[0:3] cbsz:4 abid:14
	v_mfma_f32_4x4x4f16 a[0:3], v[66:67], v[48:49], a[0:3] cbsz:4 abid:15
	s_waitcnt vmcnt(1)
	v_mfma_f32_4x4x4f16 a[4:7], v[66:67], v[58:59], a[4:7] cbsz:4 abid:12
	s_nop 2
	v_accvgpr_read_b32 v2, a0
	v_accvgpr_read_b32 v3, a1
	;; [unrolled: 1-line block ×4, first 2 shown]
	v_mfma_f32_4x4x4f16 a[0:3], v[66:67], v[60:61], a[4:7] cbsz:4 abid:13
	v_cvt_f16_f32_e32 v2, v2
	v_cvt_f16_f32_e32 v3, v3
	s_waitcnt vmcnt(0)
	v_mfma_f32_4x4x4f16 a[0:3], v[66:67], v[62:63], a[0:3] cbsz:4 abid:14
	v_pack_b32_f16 v2, v2, v3
	v_mfma_f32_4x4x4f16 a[0:3], v[66:67], v[64:65], a[0:3] cbsz:4 abid:15
	v_cvt_f16_f32_e32 v3, v4
	v_cvt_f16_f32_e32 v4, v5
	v_pack_b32_f16 v3, v3, v4
	s_nop 1
	v_accvgpr_read_b32 v5, a0
	v_accvgpr_read_b32 v6, a1
	;; [unrolled: 1-line block ×4, first 2 shown]
	v_cvt_f16_f32_e32 v5, v5
	v_cvt_f16_f32_e32 v6, v6
	;; [unrolled: 1-line block ×4, first 2 shown]
	v_pack_b32_f16 v4, v5, v6
	v_pack_b32_f16 v5, v7, v8
	ds_write2st64_b64 v9, v[2:3], v[4:5] offset1:5
.LBB98_25:
	s_or_b64 exec, exec, s[0:1]
	v_cmp_gt_u32_e32 vcc, 64, v0
	s_waitcnt lgkmcnt(0)
	s_barrier
	s_and_saveexec_b64 s[0:1], vcc
	s_cbranch_execz .LBB98_27
; %bb.26:
	s_waitcnt vmcnt(15)
	v_mul_u32_u24_e32 v6, 40, v1
	s_waitcnt vmcnt(14)
	ds_read2_b64 v[2:5], v6 offset1:1
	ds_read2_b64 v[6:9], v6 offset0:2 offset1:3
	s_mov_b32 s1, 0
	s_lshl_b32 s0, s2, 7
	s_lshl_b64 s[2:3], s[0:1], 1
	s_waitcnt lgkmcnt(1)
	v_pk_add_f16 v2, v2, 0
	v_pk_add_f16 v2, v2, v4
	;; [unrolled: 1-line block ×3, first 2 shown]
	s_waitcnt lgkmcnt(0)
	v_pk_add_f16 v2, v2, v6
	v_pk_add_f16 v3, v3, v5
	s_waitcnt vmcnt(13)
	v_pk_add_f16 v10, v2, v8
	v_mov_b32_e32 v2, 0xa00
	v_pk_add_f16 v6, v3, v7
	v_mad_u32_u24 v2, v1, 40, v2
	ds_read2_b64 v[2:5], v2 offset1:1
	v_pk_add_f16 v11, v6, v9
	v_mov_b32_e32 v6, 0xa10
	v_mad_u32_u24 v1, v1, 40, v6
	ds_read2_b64 v[6:9], v1 offset1:1
	s_add_u32 s2, s20, s2
	s_addc_u32 s3, s21, s3
	s_lshl_b32 s0, s10, 7
	s_lshl_b64 s[0:1], s[0:1], 1
	s_waitcnt lgkmcnt(1)
	v_pk_add_f16 v1, v2, 0
	v_pk_add_f16 v2, v3, 0
	s_add_u32 s0, s2, s0
	v_pk_add_f16 v2, v2, v5
	s_addc_u32 s1, s3, s1
	s_lshl_b32 s2, s7, 7
	s_waitcnt lgkmcnt(0)
	v_pk_add_f16 v2, v2, v7
	s_mul_i32 s3, s2, s33
	v_pk_add_f16 v1, v1, v4
	v_pk_add_f16 v9, v2, v9
	v_or_b32_e32 v2, s3, v0
	v_mov_b32_e32 v3, 0
	v_pk_add_f16 v1, v1, v6
	v_lshlrev_b64 v[4:5], 1, v[2:3]
	s_add_i32 s3, s3, s2
	v_pk_add_f16 v8, v1, v8
	v_mov_b32_e32 v1, s1
	v_add_co_u32_e32 v4, vcc, s0, v4
	v_or_b32_e32 v2, s3, v0
	v_addc_co_u32_e32 v5, vcc, v1, v5, vcc
	v_lshlrev_b64 v[6:7], 1, v[2:3]
	s_add_i32 s3, s3, s2
	v_add_co_u32_e32 v6, vcc, s0, v6
	v_or_b32_e32 v2, s3, v0
	v_addc_co_u32_e32 v7, vcc, v1, v7, vcc
	v_lshlrev_b64 v[0:1], 1, v[2:3]
	v_mov_b32_e32 v2, s1
	v_add_co_u32_e32 v0, vcc, s0, v0
	v_addc_co_u32_e32 v1, vcc, v2, v1, vcc
	global_store_short v[4:5], v10, off
	global_store_short_d16_hi v[6:7], v10, off
	global_store_short v[0:1], v11, off
	global_store_short v[4:5], v8, off offset:128
	global_store_short_d16_hi v[6:7], v8, off offset:128
	global_store_short v[0:1], v9, off offset:128
.LBB98_27:
	s_endpgm
	.section	.rodata,"a",@progbits
	.p2align	6, 0x0
	.amdhsa_kernel _Z38paged_attention_ll4mi_QKV_mfma4_kernelIDF16_DF16_LN4vllm18Fp8KVCacheDataTypeE0EDF16_Li16ELi128ELi256ELb1ELi3EEvPKT_PKT0_S7_ifPKiS9_S9_iPKfiiiPfSC_PS2_PT2_iSB_SB_
		.amdhsa_group_segment_fixed_size 5280
		.amdhsa_private_segment_fixed_size 0
		.amdhsa_kernarg_size 400
		.amdhsa_user_sgpr_count 6
		.amdhsa_user_sgpr_private_segment_buffer 1
		.amdhsa_user_sgpr_dispatch_ptr 0
		.amdhsa_user_sgpr_queue_ptr 0
		.amdhsa_user_sgpr_kernarg_segment_ptr 1
		.amdhsa_user_sgpr_dispatch_id 0
		.amdhsa_user_sgpr_flat_scratch_init 0
		.amdhsa_user_sgpr_kernarg_preload_length 0
		.amdhsa_user_sgpr_kernarg_preload_offset 0
		.amdhsa_user_sgpr_private_segment_size 0
		.amdhsa_uses_dynamic_stack 0
		.amdhsa_system_sgpr_private_segment_wavefront_offset 0
		.amdhsa_system_sgpr_workgroup_id_x 1
		.amdhsa_system_sgpr_workgroup_id_y 1
		.amdhsa_system_sgpr_workgroup_id_z 1
		.amdhsa_system_sgpr_workgroup_info 0
		.amdhsa_system_vgpr_workitem_id 0
		.amdhsa_next_free_vgpr 108
		.amdhsa_next_free_sgpr 38
		.amdhsa_accum_offset 100
		.amdhsa_reserve_vcc 1
		.amdhsa_reserve_flat_scratch 0
		.amdhsa_float_round_mode_32 0
		.amdhsa_float_round_mode_16_64 0
		.amdhsa_float_denorm_mode_32 3
		.amdhsa_float_denorm_mode_16_64 3
		.amdhsa_dx10_clamp 1
		.amdhsa_ieee_mode 1
		.amdhsa_fp16_overflow 0
		.amdhsa_tg_split 0
		.amdhsa_exception_fp_ieee_invalid_op 0
		.amdhsa_exception_fp_denorm_src 0
		.amdhsa_exception_fp_ieee_div_zero 0
		.amdhsa_exception_fp_ieee_overflow 0
		.amdhsa_exception_fp_ieee_underflow 0
		.amdhsa_exception_fp_ieee_inexact 0
		.amdhsa_exception_int_div_zero 0
	.end_amdhsa_kernel
	.section	.text._Z38paged_attention_ll4mi_QKV_mfma4_kernelIDF16_DF16_LN4vllm18Fp8KVCacheDataTypeE0EDF16_Li16ELi128ELi256ELb1ELi3EEvPKT_PKT0_S7_ifPKiS9_S9_iPKfiiiPfSC_PS2_PT2_iSB_SB_,"axG",@progbits,_Z38paged_attention_ll4mi_QKV_mfma4_kernelIDF16_DF16_LN4vllm18Fp8KVCacheDataTypeE0EDF16_Li16ELi128ELi256ELb1ELi3EEvPKT_PKT0_S7_ifPKiS9_S9_iPKfiiiPfSC_PS2_PT2_iSB_SB_,comdat
.Lfunc_end98:
	.size	_Z38paged_attention_ll4mi_QKV_mfma4_kernelIDF16_DF16_LN4vllm18Fp8KVCacheDataTypeE0EDF16_Li16ELi128ELi256ELb1ELi3EEvPKT_PKT0_S7_ifPKiS9_S9_iPKfiiiPfSC_PS2_PT2_iSB_SB_, .Lfunc_end98-_Z38paged_attention_ll4mi_QKV_mfma4_kernelIDF16_DF16_LN4vllm18Fp8KVCacheDataTypeE0EDF16_Li16ELi128ELi256ELb1ELi3EEvPKT_PKT0_S7_ifPKiS9_S9_iPKfiiiPfSC_PS2_PT2_iSB_SB_
                                        ; -- End function
	.section	.AMDGPU.csdata,"",@progbits
; Kernel info:
; codeLenInByte = 4016
; NumSgprs: 42
; NumVgprs: 99
; NumAgprs: 8
; TotalNumVgprs: 108
; ScratchSize: 0
; MemoryBound: 0
; FloatMode: 240
; IeeeMode: 1
; LDSByteSize: 5280 bytes/workgroup (compile time only)
; SGPRBlocks: 5
; VGPRBlocks: 13
; NumSGPRsForWavesPerEU: 42
; NumVGPRsForWavesPerEU: 108
; AccumOffset: 100
; Occupancy: 4
; WaveLimiterHint : 1
; COMPUTE_PGM_RSRC2:SCRATCH_EN: 0
; COMPUTE_PGM_RSRC2:USER_SGPR: 6
; COMPUTE_PGM_RSRC2:TRAP_HANDLER: 0
; COMPUTE_PGM_RSRC2:TGID_X_EN: 1
; COMPUTE_PGM_RSRC2:TGID_Y_EN: 1
; COMPUTE_PGM_RSRC2:TGID_Z_EN: 1
; COMPUTE_PGM_RSRC2:TIDIG_COMP_CNT: 0
; COMPUTE_PGM_RSRC3_GFX90A:ACCUM_OFFSET: 24
; COMPUTE_PGM_RSRC3_GFX90A:TG_SPLIT: 0
	.section	.text._Z38paged_attention_ll4mi_QKV_mfma4_kernelIDF16_DF16_LN4vllm18Fp8KVCacheDataTypeE0EDF16_Li16ELi128ELi256ELb1ELi4EEvPKT_PKT0_S7_ifPKiS9_S9_iPKfiiiPfSC_PS2_PT2_iSB_SB_,"axG",@progbits,_Z38paged_attention_ll4mi_QKV_mfma4_kernelIDF16_DF16_LN4vllm18Fp8KVCacheDataTypeE0EDF16_Li16ELi128ELi256ELb1ELi4EEvPKT_PKT0_S7_ifPKiS9_S9_iPKfiiiPfSC_PS2_PT2_iSB_SB_,comdat
	.protected	_Z38paged_attention_ll4mi_QKV_mfma4_kernelIDF16_DF16_LN4vllm18Fp8KVCacheDataTypeE0EDF16_Li16ELi128ELi256ELb1ELi4EEvPKT_PKT0_S7_ifPKiS9_S9_iPKfiiiPfSC_PS2_PT2_iSB_SB_ ; -- Begin function _Z38paged_attention_ll4mi_QKV_mfma4_kernelIDF16_DF16_LN4vllm18Fp8KVCacheDataTypeE0EDF16_Li16ELi128ELi256ELb1ELi4EEvPKT_PKT0_S7_ifPKiS9_S9_iPKfiiiPfSC_PS2_PT2_iSB_SB_
	.globl	_Z38paged_attention_ll4mi_QKV_mfma4_kernelIDF16_DF16_LN4vllm18Fp8KVCacheDataTypeE0EDF16_Li16ELi128ELi256ELb1ELi4EEvPKT_PKT0_S7_ifPKiS9_S9_iPKfiiiPfSC_PS2_PT2_iSB_SB_
	.p2align	8
	.type	_Z38paged_attention_ll4mi_QKV_mfma4_kernelIDF16_DF16_LN4vllm18Fp8KVCacheDataTypeE0EDF16_Li16ELi128ELi256ELb1ELi4EEvPKT_PKT0_S7_ifPKiS9_S9_iPKfiiiPfSC_PS2_PT2_iSB_SB_,@function
_Z38paged_attention_ll4mi_QKV_mfma4_kernelIDF16_DF16_LN4vllm18Fp8KVCacheDataTypeE0EDF16_Li16ELi128ELi256ELb1ELi4EEvPKT_PKT0_S7_ifPKiS9_S9_iPKfiiiPfSC_PS2_PT2_iSB_SB_: ; @_Z38paged_attention_ll4mi_QKV_mfma4_kernelIDF16_DF16_LN4vllm18Fp8KVCacheDataTypeE0EDF16_Li16ELi128ELi256ELb1ELi4EEvPKT_PKT0_S7_ifPKiS9_S9_iPKfiiiPfSC_PS2_PT2_iSB_SB_
; %bb.0:
	s_load_dwordx2 s[2:3], s[4:5], 0x30
	s_mov_b32 s10, s7
	s_mov_b64 s[0:1], 0
	s_waitcnt lgkmcnt(0)
	s_cmp_lg_u64 s[2:3], 0
	s_cselect_b64 s[16:17], -1, 0
	s_and_b64 vcc, exec, s[16:17]
	s_cbranch_vccz .LBB99_20
; %bb.1:
	s_add_i32 s12, s6, 1
	s_mov_b32 s13, 0
	s_lshl_b64 s[14:15], s[12:13], 2
	s_add_u32 s14, s2, s14
	s_mov_b32 s7, s13
	s_addc_u32 s15, s3, s15
	s_lshl_b64 s[12:13], s[6:7], 2
	s_add_u32 s12, s2, s12
	s_addc_u32 s13, s3, s13
	s_load_dword s9, s[14:15], 0x0
	s_load_dword s11, s[12:13], 0x0
	s_mov_b64 s[30:31], s[6:7]
	s_waitcnt lgkmcnt(0)
	s_sub_i32 s9, s9, s11
	s_cmp_eq_u32 s9, 1
	s_cselect_b64 s[12:13], -1, 0
	s_andn2_b64 vcc, exec, s[0:1]
	s_cbranch_vccnz .LBB99_3
.LBB99_2:
	s_mov_b32 s7, 0
	s_mov_b64 s[12:13], -1
	s_mov_b64 s[30:31], s[6:7]
.LBB99_3:
	s_andn2_b64 vcc, exec, s[12:13]
	s_cbranch_vccnz .LBB99_19
; %bb.4:
	s_load_dword s7, s[4:5], 0x9c
	s_load_dwordx2 s[0:1], s[4:5], 0x28
	s_add_u32 s26, s4, 0x90
	s_addc_u32 s27, s5, 0
	s_lshl_b64 s[18:19], s[30:31], 2
	s_waitcnt lgkmcnt(0)
	s_and_b32 s7, s7, 0xffff
	s_add_u32 s0, s0, s18
	s_addc_u32 s1, s1, s19
	s_load_dword s11, s[0:1], 0x0
	s_mul_i32 s9, s10, s7
	s_waitcnt lgkmcnt(0)
	s_cmp_ge_i32 s9, s11
	s_cbranch_scc1 .LBB99_19
; %bb.5:
	v_and_b32_e32 v1, 0xc0, v0
	v_and_b32_e32 v73, 3, v0
	s_lshl_b32 s7, s8, 2
	v_add_u32_e32 v2, s9, v1
	v_lshrrev_b32_e32 v72, 6, v0
	v_cmp_le_i32_e64 s[0:1], s11, v2
	v_or_b32_e32 v66, s7, v73
                                        ; implicit-def: $sgpr21
                                        ; implicit-def: $sgpr20
	s_and_saveexec_b64 s[12:13], s[0:1]
	s_xor_b64 s[12:13], exec, s[12:13]
	s_cbranch_execz .LBB99_7
; %bb.6:
	v_mul_u32_u24_e32 v1, 20, v72
	v_or_b32_e32 v1, 0x1400, v1
	v_mov_b32_e32 v2, 0x1450
	v_mov_b32_e32 v3, 0xff7fffff
	v_mad_u32_u24 v2, v72, 20, v2
	ds_write2_b32 v1, v3, v3 offset1:1
	v_mov_b32_e32 v1, 0
	ds_write2_b32 v2, v1, v1 offset1:1
	v_mov_b32_e32 v2, 0x1408
	s_mov_b32 s20, 0xff7fffff
	s_mov_b32 s21, 0
	v_mad_u32_u24 v2, v72, 20, v2
	v_mov_b32_e32 v4, 0x1458
	v_or_b32_e32 v66, s7, v73
	v_mad_u32_u24 v4, v72, 20, v4
	ds_write2_b32 v2, v3, v3 offset1:1
	ds_write2_b32 v4, v1, v1 offset1:1
                                        ; implicit-def: $vgpr2
.LBB99_7:
	s_or_saveexec_b64 s[28:29], s[12:13]
	s_load_dwordx2 s[24:25], s[4:5], 0x68
	s_load_dwordx4 s[12:15], s[4:5], 0x58
	s_load_dword s33, s[26:27], 0x4
	v_and_b32_e32 v1, 63, v0
	v_mov_b32_e32 v71, s21
	v_mov_b32_e32 v67, s20
	;; [unrolled: 1-line block ×5, first 2 shown]
                                        ; implicit-def: $vgpr15
                                        ; implicit-def: $vgpr3
                                        ; implicit-def: $vgpr7
                                        ; implicit-def: $vgpr11
                                        ; implicit-def: $vgpr19
                                        ; implicit-def: $vgpr23
                                        ; implicit-def: $vgpr43
                                        ; implicit-def: $vgpr47
                                        ; implicit-def: $vgpr27
                                        ; implicit-def: $vgpr31
                                        ; implicit-def: $vgpr35
                                        ; implicit-def: $vgpr39
                                        ; implicit-def: $vgpr51
                                        ; implicit-def: $vgpr55
                                        ; implicit-def: $vgpr59
                                        ; implicit-def: $vgpr63
	s_xor_b64 exec, exec, s[28:29]
	s_cbranch_execz .LBB99_13
; %bb.8:
	s_add_i32 s23, s11, 15
	s_load_dwordx2 s[20:21], s[4:5], 0x20
	s_load_dword s22, s[4:5], 0x38
	s_ashr_i32 s34, s23, 31
	s_lshr_b32 s34, s34, 28
	v_add_u32_e32 v68, s9, v0
	s_add_i32 s23, s23, s34
	v_ashrrev_i32_e32 v3, 31, v68
	s_ashr_i32 s23, s23, 4
	v_lshrrev_b32_e32 v3, 28, v3
	s_add_i32 s34, s23, -1
	v_add_u32_e32 v3, v68, v3
	s_waitcnt lgkmcnt(0)
	s_mul_i32 s38, s6, s22
	s_mov_b32 s39, 0
	v_ashrrev_i32_e32 v3, 4, v3
	v_mov_b32_e32 v4, s34
	v_cmp_gt_i32_e32 vcc, s11, v68
	s_lshl_b64 s[22:23], s[38:39], 2
	v_cndmask_b32_e32 v4, v4, v3, vcc
	s_add_u32 s20, s20, s22
	v_ashrrev_i32_e32 v5, 31, v4
	s_addc_u32 s21, s21, s23
	v_lshlrev_b64 v[4:5], 2, v[4:5]
	v_mov_b32_e32 v3, s21
	v_add_co_u32_e32 v6, vcc, s20, v4
	v_addc_co_u32_e32 v7, vcc, v3, v5, vcc
	v_ashrrev_i32_e32 v3, 31, v2
	v_lshrrev_b32_e32 v3, 28, v3
	v_add_u32_e32 v2, v2, v3
	v_ashrrev_i32_e32 v4, 4, v2
	v_min_i32_e32 v2, s34, v4
	v_ashrrev_i32_e32 v3, 31, v2
	v_lshlrev_b64 v[2:3], 2, v[2:3]
	v_add_co_u32_e32 v8, vcc, s20, v2
	v_add_u32_e32 v2, 1, v4
	v_mov_b32_e32 v5, s21
	v_min_i32_e32 v2, s34, v2
	v_addc_co_u32_e32 v9, vcc, v5, v3, vcc
	v_ashrrev_i32_e32 v3, 31, v2
	v_lshlrev_b64 v[2:3], 2, v[2:3]
	v_add_co_u32_e32 v10, vcc, s20, v2
	v_add_u32_e32 v2, 2, v4
	v_min_i32_e32 v2, s34, v2
	v_addc_co_u32_e32 v11, vcc, v5, v3, vcc
	v_ashrrev_i32_e32 v3, 31, v2
	v_lshlrev_b64 v[2:3], 2, v[2:3]
	v_add_co_u32_e32 v12, vcc, s20, v2
	v_add_u32_e32 v2, 3, v4
	v_min_i32_e32 v2, s34, v2
	v_addc_co_u32_e32 v13, vcc, v5, v3, vcc
	v_ashrrev_i32_e32 v3, 31, v2
	v_lshlrev_b64 v[2:3], 2, v[2:3]
	v_mov_b32_e32 v4, s21
	v_add_co_u32_e32 v14, vcc, s20, v2
	v_addc_co_u32_e32 v15, vcc, v4, v3, vcc
	global_load_dword v2, v[6:7], off
	global_load_dword v5, v[8:9], off
	;; [unrolled: 1-line block ×5, first 2 shown]
	s_load_dwordx2 s[36:37], s[4:5], 0x40
	s_load_dwordx4 s[20:23], s[4:5], 0x0
	s_load_dwordx2 s[34:35], s[4:5], 0x10
	s_andn2_b64 vcc, exec, s[16:17]
	s_cbranch_vccnz .LBB99_10
; %bb.9:
	s_add_u32 s2, s2, s18
	s_addc_u32 s3, s3, s19
	s_load_dword s38, s[2:3], 0x0
	s_waitcnt lgkmcnt(0)
	s_mov_b64 s[30:31], s[38:39]
.LBB99_10:
	s_load_dwordx4 s[16:19], s[4:5], 0x48
	v_lshlrev_b32_e32 v3, 2, v1
	v_and_b32_e32 v3, 0xf0, v3
	v_lshl_or_b32 v3, v73, 8, v3
	v_mov_b32_e32 v67, 0
	s_waitcnt lgkmcnt(0)
	s_ashr_i32 s3, s16, 31
	s_mul_hi_u32 s9, s30, s16
	s_mul_i32 s3, s30, s3
	s_mul_i32 s19, s31, s16
	s_add_i32 s3, s9, s3
	s_mul_i32 s2, s30, s16
	s_add_i32 s3, s3, s19
	s_lshl_b64 s[2:3], s[2:3], 1
	s_add_u32 s9, s20, s2
	s_addc_u32 s16, s21, s3
	s_lshl_b32 s38, s8, 9
	s_lshl_b64 s[2:3], s[38:39], 1
	s_add_u32 s2, s9, s2
	s_addc_u32 s3, s16, s3
	global_load_dwordx4 v[74:77], v3, s[2:3]
	s_mul_i32 s38, s8, s18
	s_waitcnt vmcnt(5)
	v_mad_i64_i32 v[2:3], s[2:3], v2, s17, 0
	s_lshl_b64 s[8:9], s[38:39], 1
	s_add_u32 s2, s8, s22
	v_lshlrev_b64 v[2:3], 1, v[2:3]
	s_addc_u32 s3, s9, s23
	v_mov_b32_e32 v6, s3
	v_add_co_u32_e32 v2, vcc, s2, v2
	v_addc_co_u32_e32 v3, vcc, v6, v3, vcc
	v_and_b32_e32 v6, 15, v0
	v_lshlrev_b32_e32 v6, 4, v6
	v_add_co_u32_e32 v2, vcc, v2, v6
	v_addc_co_u32_e32 v3, vcc, 0, v3, vcc
	global_load_dwordx4 v[6:9], v[2:3], off
	global_load_dwordx4 v[10:13], v[2:3], off offset:256
	global_load_dwordx4 v[14:17], v[2:3], off offset:512
	;; [unrolled: 1-line block ×13, first 2 shown]
	v_lshlrev_b64 v[24:25], 2, v[66:67]
	v_mov_b32_e32 v19, s37
	v_add_co_u32_e32 v24, vcc, s36, v24
	v_addc_co_u32_e32 v25, vcc, v19, v25, vcc
	global_load_dword v102, v[24:25], off
	global_load_dwordx4 v[94:97], v[2:3], off offset:3584
	global_load_dwordx4 v[98:101], v[2:3], off offset:3840
	s_waitcnt vmcnt(21)
	v_mul_hi_i32 v19, v5, s17
	s_waitcnt vmcnt(20)
	v_mul_hi_i32 v24, v4, s17
	;; [unrolled: 2-line block ×3, first 2 shown]
	v_ashrrev_i32_e32 v19, 31, v19
	v_mov_b32_e32 v27, v67
	v_ashrrev_i32_e32 v24, 31, v24
	v_ashrrev_i32_e32 v25, 31, v25
	v_lshrrev_b32_e32 v26, 29, v19
	s_load_dword s2, s[4:5], 0x1c
	v_lshrrev_b32_e32 v28, 29, v24
	v_lshrrev_b32_e32 v64, 29, v25
	v_mad_i64_i32 v[24:25], s[4:5], v5, s17, v[26:27]
	v_mov_b32_e32 v29, v67
	v_lshlrev_b64 v[24:25], 1, v[24:25]
	s_add_u32 s3, s34, s8
	v_mad_i64_i32 v[4:5], s[4:5], v4, s17, v[28:29]
	v_and_b32_e32 v19, -16, v24
	s_addc_u32 s8, s35, s9
	v_lshlrev_b64 v[4:5], 1, v[4:5]
	v_add_co_u32_e32 v2, vcc, s3, v19
	v_and_b32_e32 v4, -16, v4
	v_lshlrev_b32_e32 v69, 5, v1
	v_mov_b32_e32 v65, v67
	v_mad_i64_i32 v[18:19], s[4:5], v18, s17, v[64:65]
	v_lshlrev_b64 v[18:19], 1, v[18:19]
	v_and_b32_e32 v18, -16, v18
	s_waitcnt vmcnt(18)
	v_mul_hi_i32 v43, v42, s17
	v_ashrrev_i32_e32 v43, 31, v43
	s_waitcnt vmcnt(16)
	v_mfma_f32_4x4x4f16 a[0:3], v[74:75], v[6:7], 0 cbsz:4
	v_mov_b32_e32 v6, s8
	v_mfma_f32_4x4x4f16 a[0:3], v[76:77], v[8:9], a[0:3] cbsz:4
	v_addc_co_u32_e32 v3, vcc, v6, v25, vcc
	s_waitcnt vmcnt(15)
	v_mfma_f32_4x4x4f16 a[0:3], v[74:75], v[10:11], a[0:3] cbsz:4 abid:1
	v_mov_b32_e32 v7, s8
	v_mfma_f32_4x4x4f16 a[0:3], v[76:77], v[12:13], a[0:3] cbsz:4 abid:1
	v_add_co_u32_e32 v4, vcc, s3, v4
	s_waitcnt vmcnt(14)
	v_mfma_f32_4x4x4f16 a[0:3], v[74:75], v[14:15], a[0:3] cbsz:4 abid:2
	v_addc_co_u32_e32 v5, vcc, v7, v5, vcc
	v_mfma_f32_4x4x4f16 a[0:3], v[76:77], v[16:17], a[0:3] cbsz:4 abid:2
	v_add_co_u32_e32 v6, vcc, v2, v69
	s_waitcnt vmcnt(13)
	v_mfma_f32_4x4x4f16 a[0:3], v[74:75], v[20:21], a[0:3] cbsz:4 abid:3
	v_addc_co_u32_e32 v7, vcc, 0, v3, vcc
	;; [unrolled: 5-line block ×3, first 2 shown]
	v_mfma_f32_4x4x4f16 a[0:3], v[76:77], v[34:35], a[0:3] cbsz:4 abid:4
	global_load_dwordx4 v[14:17], v[6:7], off
	global_load_dwordx4 v[2:5], v[6:7], off offset:16
	s_waitcnt vmcnt(13)
	v_mfma_f32_4x4x4f16 a[0:3], v[74:75], v[44:45], a[0:3] cbsz:4 abid:5
	global_load_dwordx4 v[26:29], v[6:7], off offset:2048
	global_load_dwordx4 v[30:33], v[6:7], off offset:2064
	v_mfma_f32_4x4x4f16 a[0:3], v[76:77], v[46:47], a[0:3] cbsz:4 abid:5
	global_load_dwordx4 v[6:9], v[20:21], off
	global_load_dwordx4 v[10:13], v[20:21], off offset:16
	s_waitcnt vmcnt(16)
	v_mfma_f32_4x4x4f16 a[0:3], v[74:75], v[48:49], a[0:3] cbsz:4 abid:6
	global_load_dwordx4 v[34:37], v[20:21], off offset:2048
	global_load_dwordx4 v[38:41], v[20:21], off offset:2064
	v_mfma_f32_4x4x4f16 a[0:3], v[76:77], v[50:51], a[0:3] cbsz:4 abid:6
	v_mov_b32_e32 v20, s8
	s_waitcnt vmcnt(17)
	v_mfma_f32_4x4x4f16 a[0:3], v[74:75], v[52:53], a[0:3] cbsz:4 abid:7
	v_add_co_u32_e32 v18, vcc, s3, v18
	v_addc_co_u32_e32 v19, vcc, v20, v19, vcc
	v_mfma_f32_4x4x4f16 a[0:3], v[76:77], v[54:55], a[0:3] cbsz:4 abid:7
	v_add_co_u32_e32 v44, vcc, v18, v69
	v_addc_co_u32_e32 v45, vcc, 0, v19, vcc
	s_waitcnt vmcnt(16)
	v_mfma_f32_4x4x4f16 a[0:3], v[74:75], v[56:57], a[0:3] cbsz:4 abid:8
	global_load_dwordx4 v[18:21], v[44:45], off
	global_load_dwordx4 v[22:25], v[44:45], off offset:16
	global_load_dwordx4 v[50:53], v[44:45], off offset:2048
	;; [unrolled: 1-line block ×3, first 2 shown]
	v_lshrrev_b32_e32 v44, 29, v43
	v_mov_b32_e32 v45, v67
	v_mad_i64_i32 v[42:43], s[4:5], v42, s17, v[44:45]
	v_lshlrev_b64 v[42:43], 1, v[42:43]
	v_and_b32_e32 v42, -16, v42
	v_mfma_f32_4x4x4f16 a[0:3], v[76:77], v[58:59], a[0:3] cbsz:4 abid:8
	v_mov_b32_e32 v44, s8
	v_add_co_u32_e32 v42, vcc, s3, v42
	v_addc_co_u32_e32 v43, vcc, v44, v43, vcc
	s_waitcnt vmcnt(19)
	v_mfma_f32_4x4x4f16 a[0:3], v[74:75], v[60:61], a[0:3] cbsz:4 abid:9
	v_add_co_u32_e32 v70, vcc, v42, v69
	v_addc_co_u32_e32 v71, vcc, 0, v43, vcc
	v_mfma_f32_4x4x4f16 a[0:3], v[76:77], v[62:63], a[0:3] cbsz:4 abid:9
	global_load_dwordx4 v[42:45], v[70:71], off
	global_load_dwordx4 v[46:49], v[70:71], off offset:16
	global_load_dwordx4 v[58:61], v[70:71], off offset:2048
	;; [unrolled: 1-line block ×3, first 2 shown]
	s_waitcnt vmcnt(22)
	v_mfma_f32_4x4x4f16 a[0:3], v[74:75], v[78:79], a[0:3] cbsz:4 abid:10
	v_cmp_eq_u32_e32 vcc, 0, v73
	v_mfma_f32_4x4x4f16 a[0:3], v[76:77], v[80:81], a[0:3] cbsz:4 abid:10
	v_cndmask_b32_e64 v67, 0, 1.0, vcc
	s_waitcnt vmcnt(21)
	v_mfma_f32_4x4x4f16 a[0:3], v[74:75], v[82:83], a[0:3] cbsz:4 abid:11
	v_cmp_eq_u32_e32 vcc, 1, v73
	v_mfma_f32_4x4x4f16 a[0:3], v[76:77], v[84:85], a[0:3] cbsz:4 abid:11
	s_waitcnt vmcnt(20)
	v_mfma_f32_4x4x4f16 a[0:3], v[74:75], v[86:87], a[0:3] cbsz:4 abid:12
	v_mfma_f32_4x4x4f16 a[0:3], v[76:77], v[88:89], a[0:3] cbsz:4 abid:12
	s_waitcnt vmcnt(19)
	v_mfma_f32_4x4x4f16 a[0:3], v[74:75], v[90:91], a[0:3] cbsz:4 abid:13
	;; [unrolled: 3-line block ×4, first 2 shown]
	v_mfma_f32_4x4x4f16 a[0:3], v[76:77], v[100:101], a[0:3] cbsz:4 abid:15
	v_mov_b32_e32 v77, 0xff7fffff
	s_nop 3
	v_accvgpr_read_b32 v75, a1
	v_accvgpr_read_b32 v74, a0
	s_waitcnt lgkmcnt(0)
	v_pk_mul_f32 v[74:75], s[2:3], v[74:75] op_sel_hi:[0,1]
	v_accvgpr_read_b32 v71, a3
	v_accvgpr_read_b32 v70, a2
	v_pk_mul_f32 v[70:71], s[2:3], v[70:71] op_sel_hi:[0,1]
	v_mfma_f32_4x4x1f32 a[0:3], v74, v67, 0
	v_cndmask_b32_e64 v67, 0, 1.0, vcc
	v_cmp_eq_u32_e32 vcc, 2, v73
	s_nop 0
	v_mfma_f32_4x4x1f32 a[0:3], v75, v67, a[0:3]
	v_cndmask_b32_e64 v67, 0, 1.0, vcc
	v_cmp_eq_u32_e32 vcc, 3, v73
	s_nop 0
	v_mfma_f32_4x4x1f32 a[0:3], v70, v67, a[0:3]
	v_cndmask_b32_e64 v67, 0, 1.0, vcc
	s_nop 1
	v_mfma_f32_4x4x1f32 a[0:3], v71, v67, a[0:3]
	v_and_b32_e32 v67, -4, v68
	v_subrev_u32_e32 v69, s11, v67
	v_add_u32_e32 v70, 1, v69
	v_cvt_f32_i32_e32 v70, v70
	v_add_u32_e32 v71, 2, v69
	v_cvt_f32_i32_e32 v71, v71
	v_accvgpr_read_b32 v74, a0
	v_fma_f32 v70, v102, v70, v74
	v_accvgpr_read_b32 v74, a1
	v_fma_f32 v71, v102, v71, v74
	v_add_u32_e32 v74, 3, v69
	v_cvt_f32_i32_e32 v74, v74
	v_add_u32_e32 v69, 4, v69
	v_max_f32_e32 v76, 0xff7fffff, v70
	v_cmp_gt_i32_e32 vcc, s11, v67
	v_cvt_f32_i32_e32 v69, v69
	v_cndmask_b32_e32 v76, v77, v76, vcc
	v_or_b32_e32 v77, 1, v67
	v_accvgpr_read_b32 v75, a2
	v_max_f32_e32 v78, v76, v71
	v_cmp_gt_i32_e64 s[2:3], s11, v77
	v_fma_f32 v74, v102, v74, v75
	v_cndmask_b32_e64 v76, v76, v78, s[2:3]
	v_or_b32_e32 v67, 2, v67
	v_accvgpr_read_b32 v75, a3
	v_max_f32_e32 v77, v76, v74
	v_cmp_gt_i32_e64 s[4:5], s11, v67
	v_fmac_f32_e32 v75, v102, v69
	v_cndmask_b32_e64 v67, v76, v77, s[4:5]
	v_or_b32_e32 v68, 3, v68
	v_max_f32_e32 v76, v67, v75
	v_cmp_gt_i32_e64 s[8:9], s11, v68
	v_lshlrev_b32_e32 v69, 2, v0
	v_cndmask_b32_e64 v67, v67, v76, s[8:9]
	v_and_or_b32 v69, v69, 48, v73
	;;#ASMSTART
	v_nop
 v_nop
 v_max_f32_dpp v67, v67, v67 row_ror:4
	;;#ASMEND
	v_lshlrev_b32_e32 v76, 2, v69
	;;#ASMSTART
	v_nop
 v_nop
 v_max_f32_dpp v67, v67, v67 row_ror:8
	;;#ASMEND
	ds_bpermute_b32 v67, v76, v67
	s_waitcnt lgkmcnt(0)
	;;#ASMSTART
	v_nop
 v_nop
 v_max_f32_dpp v67, v67, v67 row_ror:4
	;;#ASMEND
	;;#ASMSTART
	v_nop
 v_nop
 v_max_f32_dpp v67, v67, v67 row_ror:8
	;;#ASMEND
	v_sub_f32_e32 v68, v70, v67
	v_mul_f32_e32 v68, 0x3fb8aa3b, v68
	v_sub_f32_e32 v69, v71, v67
	v_exp_f32_e32 v68, v68
	v_mul_f32_e32 v69, 0x3fb8aa3b, v69
	v_sub_f32_e32 v71, v74, v67
	v_exp_f32_e32 v69, v69
	;; [unrolled: 3-line block ×3, first 2 shown]
	v_mul_f32_e32 v74, 0x3fb8aa3b, v74
	v_exp_f32_e32 v74, v74
	v_cndmask_b32_e32 v68, 0, v68, vcc
	v_add_f32_e32 v70, 0, v68
	v_cndmask_b32_e64 v69, 0, v69, s[2:3]
	v_add_f32_e32 v75, v70, v69
	v_cndmask_b32_e64 v70, 0, v71, s[4:5]
	;; [unrolled: 2-line block ×3, first 2 shown]
	v_add_f32_e32 v74, v75, v71
	;;#ASMSTART
	v_nop
 v_nop
 v_add_f32_dpp v74, v74, v74 row_ror:4
	;;#ASMEND
	;;#ASMSTART
	v_nop
 v_nop
 v_add_f32_dpp v74, v74, v74 row_ror:8
	;;#ASMEND
	ds_bpermute_b32 v74, v76, v74
	s_waitcnt lgkmcnt(0)
	;;#ASMSTART
	v_nop
 v_nop
 v_add_f32_dpp v74, v74, v74 row_ror:4
	;;#ASMEND
	v_cmp_gt_u32_e32 vcc, 4, v1
	;;#ASMSTART
	v_nop
 v_nop
 v_add_f32_dpp v74, v74, v74 row_ror:8
	;;#ASMEND
	s_and_saveexec_b64 s[2:3], vcc
	s_cbranch_execz .LBB99_12
; %bb.11:
	v_mul_u32_u24_e32 v75, 20, v72
	v_lshl_add_u32 v75, v73, 2, v75
	v_add_u32_e32 v75, 0x1400, v75
	ds_write2_b32 v75, v67, v74 offset1:20
.LBB99_12:
	s_or_b64 exec, exec, s[2:3]
.LBB99_13:
	s_or_b64 exec, exec, s[28:29]
	v_lshlrev_b32_e32 v73, 2, v73
	v_add_u32_e32 v80, 0x1400, v73
	s_waitcnt lgkmcnt(0)
	s_barrier
	s_load_dword s2, s[26:27], 0x8
	ds_read2_b32 v[74:75], v80 offset1:5
	ds_read2_b32 v[76:77], v80 offset0:10 offset1:15
	s_mov_b32 s9, 0xff7fffff
	s_mul_i32 s3, s6, s33
	ds_read2_b32 v[78:79], v80 offset0:20 offset1:25
	s_waitcnt lgkmcnt(0)
	v_max3_f32 v73, v74, s9, v75
	v_max3_f32 v73, v73, v76, v77
	v_sub_f32_e32 v74, v74, v73
	v_mul_f32_e32 v74, 0x3fb8aa3b, v74
	v_sub_f32_e32 v75, v75, v73
	s_mul_i32 s3, s3, s2
	v_exp_f32_e32 v74, v74
	v_mul_f32_e32 v75, 0x3fb8aa3b, v75
	v_sub_f32_e32 v76, v76, v73
	s_lshl_b32 s2, s3, 2
	s_mov_b32 s3, 0
	v_exp_f32_e32 v75, v75
	ds_read2_b32 v[80:81], v80 offset0:30 offset1:35
	v_mul_f32_e32 v76, 0x3fb8aa3b, v76
	v_sub_f32_e32 v77, v77, v73
	s_lshl_b64 s[4:5], s[2:3], 2
	v_exp_f32_e32 v76, v76
	v_mul_f32_e32 v77, 0x3fb8aa3b, v77
	s_add_u32 s6, s12, s4
	v_exp_f32_e32 v77, v77
	s_addc_u32 s8, s13, s5
	v_fma_f32 v74, v74, v78, 0
	s_mov_b32 s11, s3
	s_add_u32 s9, s14, s4
	v_fmac_f32_e32 v74, v75, v79
	s_addc_u32 s12, s15, s5
	s_lshl_b64 s[4:5], s[10:11], 2
	s_waitcnt lgkmcnt(0)
	v_fmac_f32_e32 v74, v76, v80
	s_add_u32 s9, s9, s4
	v_fmac_f32_e32 v74, v77, v81
	v_mul_lo_u32 v76, s33, v66
	v_mov_b32_e32 v77, 0
	s_addc_u32 s11, s12, s5
	v_lshlrev_b64 v[76:77], 2, v[76:77]
	s_add_u32 s4, s6, s4
	v_mov_b32_e32 v66, s11
	v_add_co_u32_e32 v78, vcc, s9, v76
	s_addc_u32 s5, s8, s5
	v_addc_co_u32_e32 v79, vcc, v66, v77, vcc
	v_mov_b32_e32 v66, s5
	v_add_co_u32_e32 v76, vcc, s4, v76
	v_addc_co_u32_e32 v77, vcc, v66, v77, vcc
	v_lshlrev_b32_e32 v66, 3, v72
	global_store_dword v[78:79], v73, off
	global_store_dword v[76:77], v74, off
	s_and_saveexec_b64 s[4:5], s[0:1]
	s_xor_b64 s[0:1], exec, s[4:5]
	s_cbranch_execz .LBB99_15
; %bb.14:
	s_mov_b32 s4, s3
	s_mov_b32 s5, s3
	s_waitcnt vmcnt(16)
	v_mad_u32_u24 v4, v1, 40, v66
	v_pk_mov_b32 v[2:3], s[4:5], s[4:5] op_sel:[0,1]
	ds_write2st64_b64 v4, v[2:3], v[2:3] offset1:5
                                        ; implicit-def: $vgpr71
                                        ; implicit-def: $vgpr69
                                        ; implicit-def: $vgpr15
                                        ; implicit-def: $vgpr3
                                        ; implicit-def: $vgpr7
                                        ; implicit-def: $vgpr11
                                        ; implicit-def: $vgpr19
                                        ; implicit-def: $vgpr23
                                        ; implicit-def: $vgpr43
                                        ; implicit-def: $vgpr47
                                        ; implicit-def: $vgpr27
                                        ; implicit-def: $vgpr31
                                        ; implicit-def: $vgpr35
                                        ; implicit-def: $vgpr39
                                        ; implicit-def: $vgpr51
                                        ; implicit-def: $vgpr55
                                        ; implicit-def: $vgpr59
                                        ; implicit-def: $vgpr63
                                        ; implicit-def: $vgpr67
                                        ; implicit-def: $vgpr73
                                        ; implicit-def: $vgpr74
                                        ; implicit-def: $vgpr66
.LBB99_15:
	s_andn2_saveexec_b64 s[0:1], s[0:1]
	s_cbranch_execz .LBB99_17
; %bb.16:
	v_add_f32_e32 v72, 0x358637bd, v74
	v_div_scale_f32 v74, s[4:5], v72, v72, 1.0
	v_rcp_f32_e32 v75, v74
	v_sub_f32_e32 v67, v67, v73
	v_mul_f32_e32 v67, 0x3fb8aa3b, v67
	v_exp_f32_e32 v67, v67
	v_fma_f32 v73, -v74, v75, 1.0
	v_fmac_f32_e32 v75, v73, v75
	v_div_scale_f32 v73, vcc, 1.0, v72, 1.0
	v_mul_f32_e32 v76, v73, v75
	v_fma_f32 v77, -v74, v76, v73
	v_fmac_f32_e32 v76, v77, v75
	v_fma_f32 v73, -v74, v76, v73
	v_div_fmas_f32 v73, v73, v75, v76
	v_div_fixup_f32 v72, v73, v72, 1.0
	v_mul_f32_e32 v72, v67, v72
	v_pk_mul_f32 v[70:71], v[70:71], v[72:73] op_sel_hi:[1,0]
	v_pk_mul_f32 v[68:69], v[68:69], v[72:73] op_sel_hi:[1,0]
	v_cvt_f16_f32_e32 v67, v68
	v_cvt_f16_f32_e32 v68, v69
	;; [unrolled: 1-line block ×4, first 2 shown]
	v_pack_b32_f16 v68, v67, v68
	v_pack_b32_f16 v69, v69, v70
	s_waitcnt vmcnt(17)
	s_nop 0
	v_mfma_f32_4x4x4f16 a[0:3], v[68:69], v[14:15], 0 cbsz:4
	v_mfma_f32_4x4x4f16 a[0:3], v[68:69], v[16:17], a[0:3] cbsz:4 abid:1
	s_waitcnt vmcnt(16)
	v_mfma_f32_4x4x4f16 a[0:3], v[68:69], v[2:3], a[0:3] cbsz:4 abid:2
	s_waitcnt vmcnt(15)
	v_mfma_f32_4x4x4f16 a[4:7], v[68:69], v[26:27], 0 cbsz:4
	v_mfma_f32_4x4x4f16 a[0:3], v[68:69], v[4:5], a[0:3] cbsz:4 abid:3
	v_mfma_f32_4x4x4f16 a[4:7], v[68:69], v[28:29], a[4:7] cbsz:4 abid:1
	s_waitcnt vmcnt(13)
	v_mfma_f32_4x4x4f16 a[0:3], v[68:69], v[6:7], a[0:3] cbsz:4 abid:4
	v_mfma_f32_4x4x4f16 a[4:7], v[68:69], v[30:31], a[4:7] cbsz:4 abid:2
	;; [unrolled: 1-line block ×3, first 2 shown]
	v_mad_u32_u24 v9, v1, 40, v66
	v_mfma_f32_4x4x4f16 a[4:7], v[68:69], v[32:33], a[4:7] cbsz:4 abid:3
	s_waitcnt vmcnt(12)
	v_mfma_f32_4x4x4f16 a[0:3], v[68:69], v[10:11], a[0:3] cbsz:4 abid:6
	s_waitcnt vmcnt(11)
	v_mfma_f32_4x4x4f16 a[4:7], v[68:69], v[34:35], a[4:7] cbsz:4 abid:4
	v_mfma_f32_4x4x4f16 a[0:3], v[68:69], v[12:13], a[0:3] cbsz:4 abid:7
	;; [unrolled: 1-line block ×3, first 2 shown]
	s_waitcnt vmcnt(9)
	v_mfma_f32_4x4x4f16 a[0:3], v[68:69], v[18:19], a[0:3] cbsz:4 abid:8
	v_mfma_f32_4x4x4f16 a[4:7], v[68:69], v[38:39], a[4:7] cbsz:4 abid:6
	;; [unrolled: 1-line block ×4, first 2 shown]
	s_waitcnt vmcnt(8)
	v_mfma_f32_4x4x4f16 a[0:3], v[68:69], v[22:23], a[0:3] cbsz:4 abid:10
	s_waitcnt vmcnt(7)
	v_mfma_f32_4x4x4f16 a[4:7], v[68:69], v[50:51], a[4:7] cbsz:4 abid:8
	v_mfma_f32_4x4x4f16 a[0:3], v[68:69], v[24:25], a[0:3] cbsz:4 abid:11
	;; [unrolled: 1-line block ×3, first 2 shown]
	s_waitcnt vmcnt(5)
	v_mfma_f32_4x4x4f16 a[0:3], v[68:69], v[42:43], a[0:3] cbsz:4 abid:12
	v_mfma_f32_4x4x4f16 a[4:7], v[68:69], v[54:55], a[4:7] cbsz:4 abid:10
	;; [unrolled: 1-line block ×4, first 2 shown]
	s_waitcnt vmcnt(4)
	v_mfma_f32_4x4x4f16 a[0:3], v[68:69], v[46:47], a[0:3] cbsz:4 abid:14
	v_mfma_f32_4x4x4f16 a[0:3], v[68:69], v[48:49], a[0:3] cbsz:4 abid:15
	s_waitcnt vmcnt(3)
	v_mfma_f32_4x4x4f16 a[4:7], v[68:69], v[58:59], a[4:7] cbsz:4 abid:12
	s_nop 2
	v_accvgpr_read_b32 v2, a0
	v_accvgpr_read_b32 v3, a1
	;; [unrolled: 1-line block ×4, first 2 shown]
	v_mfma_f32_4x4x4f16 a[0:3], v[68:69], v[60:61], a[4:7] cbsz:4 abid:13
	v_cvt_f16_f32_e32 v2, v2
	v_cvt_f16_f32_e32 v3, v3
	s_waitcnt vmcnt(2)
	v_mfma_f32_4x4x4f16 a[0:3], v[68:69], v[62:63], a[0:3] cbsz:4 abid:14
	v_pack_b32_f16 v2, v2, v3
	v_mfma_f32_4x4x4f16 a[0:3], v[68:69], v[64:65], a[0:3] cbsz:4 abid:15
	v_cvt_f16_f32_e32 v3, v4
	v_cvt_f16_f32_e32 v4, v5
	v_pack_b32_f16 v3, v3, v4
	s_nop 1
	v_accvgpr_read_b32 v5, a0
	v_accvgpr_read_b32 v6, a1
	;; [unrolled: 1-line block ×4, first 2 shown]
	v_cvt_f16_f32_e32 v5, v5
	v_cvt_f16_f32_e32 v6, v6
	;; [unrolled: 1-line block ×4, first 2 shown]
	v_pack_b32_f16 v4, v5, v6
	v_pack_b32_f16 v5, v7, v8
	ds_write2st64_b64 v9, v[2:3], v[4:5] offset1:5
.LBB99_17:
	s_or_b64 exec, exec, s[0:1]
	v_cmp_gt_u32_e32 vcc, 64, v0
	s_waitcnt lgkmcnt(0)
	s_barrier
	s_and_saveexec_b64 s[0:1], vcc
	s_cbranch_execz .LBB99_19
; %bb.18:
	s_waitcnt vmcnt(13)
	v_mul_u32_u24_e32 v6, 40, v1
	ds_read2_b64 v[2:5], v6 offset1:1
	ds_read2_b64 v[6:9], v6 offset0:2 offset1:3
	s_mov_b32 s1, 0
	s_lshl_b32 s0, s2, 7
	s_lshl_b64 s[2:3], s[0:1], 1
	s_waitcnt lgkmcnt(1)
	v_pk_add_f16 v2, v2, 0
	v_pk_add_f16 v2, v2, v4
	;; [unrolled: 1-line block ×3, first 2 shown]
	s_waitcnt lgkmcnt(0)
	v_pk_add_f16 v2, v2, v6
	v_pk_add_f16 v3, v3, v5
	s_waitcnt vmcnt(12)
	v_pk_add_f16 v10, v2, v8
	v_mov_b32_e32 v2, 0xa00
	v_pk_add_f16 v6, v3, v7
	v_mad_u32_u24 v2, v1, 40, v2
	ds_read2_b64 v[2:5], v2 offset1:1
	v_pk_add_f16 v11, v6, v9
	v_mov_b32_e32 v6, 0xa10
	v_mad_u32_u24 v1, v1, 40, v6
	ds_read2_b64 v[6:9], v1 offset1:1
	s_add_u32 s2, s24, s2
	s_addc_u32 s3, s25, s3
	s_lshl_b32 s0, s10, 7
	s_lshl_b64 s[0:1], s[0:1], 1
	s_waitcnt lgkmcnt(1)
	v_pk_add_f16 v1, v2, 0
	v_pk_add_f16 v2, v3, 0
	s_add_u32 s0, s2, s0
	v_pk_add_f16 v2, v2, v5
	s_addc_u32 s1, s3, s1
	s_lshl_b32 s2, s33, 7
	s_waitcnt lgkmcnt(0)
	v_pk_add_f16 v2, v2, v7
	s_mul_i32 s3, s2, s7
	v_pk_add_f16 v1, v1, v4
	v_pk_add_f16 v13, v2, v9
	v_or_b32_e32 v2, s3, v0
	v_mov_b32_e32 v3, 0
	v_pk_add_f16 v1, v1, v6
	v_lshlrev_b64 v[4:5], 1, v[2:3]
	s_add_i32 s3, s3, s2
	v_pk_add_f16 v12, v1, v8
	v_mov_b32_e32 v1, s1
	v_add_co_u32_e32 v4, vcc, s0, v4
	v_or_b32_e32 v2, s3, v0
	v_addc_co_u32_e32 v5, vcc, v1, v5, vcc
	v_lshlrev_b64 v[6:7], 1, v[2:3]
	s_add_i32 s3, s3, s2
	v_add_co_u32_e32 v6, vcc, s0, v6
	v_or_b32_e32 v2, s3, v0
	v_addc_co_u32_e32 v7, vcc, v1, v7, vcc
	v_lshlrev_b64 v[8:9], 1, v[2:3]
	s_add_i32 s3, s3, s2
	v_add_co_u32_e32 v8, vcc, s0, v8
	v_or_b32_e32 v2, s3, v0
	v_addc_co_u32_e32 v9, vcc, v1, v9, vcc
	v_lshlrev_b64 v[0:1], 1, v[2:3]
	v_mov_b32_e32 v2, s1
	v_add_co_u32_e32 v0, vcc, s0, v0
	v_addc_co_u32_e32 v1, vcc, v2, v1, vcc
	global_store_short v[4:5], v10, off
	global_store_short_d16_hi v[6:7], v10, off
	global_store_short v[8:9], v11, off
	global_store_short_d16_hi v[0:1], v11, off
	global_store_short v[4:5], v12, off offset:128
	global_store_short_d16_hi v[6:7], v12, off offset:128
	global_store_short v[8:9], v13, off offset:128
	global_store_short_d16_hi v[0:1], v13, off offset:128
.LBB99_19:
	s_endpgm
.LBB99_20:
	s_mov_b64 s[12:13], 0
                                        ; implicit-def: $sgpr30_sgpr31
	s_branch .LBB99_2
	.section	.rodata,"a",@progbits
	.p2align	6, 0x0
	.amdhsa_kernel _Z38paged_attention_ll4mi_QKV_mfma4_kernelIDF16_DF16_LN4vllm18Fp8KVCacheDataTypeE0EDF16_Li16ELi128ELi256ELb1ELi4EEvPKT_PKT0_S7_ifPKiS9_S9_iPKfiiiPfSC_PS2_PT2_iSB_SB_
		.amdhsa_group_segment_fixed_size 5280
		.amdhsa_private_segment_fixed_size 0
		.amdhsa_kernarg_size 400
		.amdhsa_user_sgpr_count 6
		.amdhsa_user_sgpr_private_segment_buffer 1
		.amdhsa_user_sgpr_dispatch_ptr 0
		.amdhsa_user_sgpr_queue_ptr 0
		.amdhsa_user_sgpr_kernarg_segment_ptr 1
		.amdhsa_user_sgpr_dispatch_id 0
		.amdhsa_user_sgpr_flat_scratch_init 0
		.amdhsa_user_sgpr_kernarg_preload_length 0
		.amdhsa_user_sgpr_kernarg_preload_offset 0
		.amdhsa_user_sgpr_private_segment_size 0
		.amdhsa_uses_dynamic_stack 0
		.amdhsa_system_sgpr_private_segment_wavefront_offset 0
		.amdhsa_system_sgpr_workgroup_id_x 1
		.amdhsa_system_sgpr_workgroup_id_y 1
		.amdhsa_system_sgpr_workgroup_id_z 1
		.amdhsa_system_sgpr_workgroup_info 0
		.amdhsa_system_vgpr_workitem_id 0
		.amdhsa_next_free_vgpr 112
		.amdhsa_next_free_sgpr 40
		.amdhsa_accum_offset 104
		.amdhsa_reserve_vcc 1
		.amdhsa_reserve_flat_scratch 0
		.amdhsa_float_round_mode_32 0
		.amdhsa_float_round_mode_16_64 0
		.amdhsa_float_denorm_mode_32 3
		.amdhsa_float_denorm_mode_16_64 3
		.amdhsa_dx10_clamp 1
		.amdhsa_ieee_mode 1
		.amdhsa_fp16_overflow 0
		.amdhsa_tg_split 0
		.amdhsa_exception_fp_ieee_invalid_op 0
		.amdhsa_exception_fp_denorm_src 0
		.amdhsa_exception_fp_ieee_div_zero 0
		.amdhsa_exception_fp_ieee_overflow 0
		.amdhsa_exception_fp_ieee_underflow 0
		.amdhsa_exception_fp_ieee_inexact 0
		.amdhsa_exception_int_div_zero 0
	.end_amdhsa_kernel
	.section	.text._Z38paged_attention_ll4mi_QKV_mfma4_kernelIDF16_DF16_LN4vllm18Fp8KVCacheDataTypeE0EDF16_Li16ELi128ELi256ELb1ELi4EEvPKT_PKT0_S7_ifPKiS9_S9_iPKfiiiPfSC_PS2_PT2_iSB_SB_,"axG",@progbits,_Z38paged_attention_ll4mi_QKV_mfma4_kernelIDF16_DF16_LN4vllm18Fp8KVCacheDataTypeE0EDF16_Li16ELi128ELi256ELb1ELi4EEvPKT_PKT0_S7_ifPKiS9_S9_iPKfiiiPfSC_PS2_PT2_iSB_SB_,comdat
.Lfunc_end99:
	.size	_Z38paged_attention_ll4mi_QKV_mfma4_kernelIDF16_DF16_LN4vllm18Fp8KVCacheDataTypeE0EDF16_Li16ELi128ELi256ELb1ELi4EEvPKT_PKT0_S7_ifPKiS9_S9_iPKfiiiPfSC_PS2_PT2_iSB_SB_, .Lfunc_end99-_Z38paged_attention_ll4mi_QKV_mfma4_kernelIDF16_DF16_LN4vllm18Fp8KVCacheDataTypeE0EDF16_Li16ELi128ELi256ELb1ELi4EEvPKT_PKT0_S7_ifPKiS9_S9_iPKfiiiPfSC_PS2_PT2_iSB_SB_
                                        ; -- End function
	.section	.AMDGPU.csdata,"",@progbits
; Kernel info:
; codeLenInByte = 4000
; NumSgprs: 44
; NumVgprs: 103
; NumAgprs: 8
; TotalNumVgprs: 112
; ScratchSize: 0
; MemoryBound: 0
; FloatMode: 240
; IeeeMode: 1
; LDSByteSize: 5280 bytes/workgroup (compile time only)
; SGPRBlocks: 5
; VGPRBlocks: 13
; NumSGPRsForWavesPerEU: 44
; NumVGPRsForWavesPerEU: 112
; AccumOffset: 104
; Occupancy: 4
; WaveLimiterHint : 1
; COMPUTE_PGM_RSRC2:SCRATCH_EN: 0
; COMPUTE_PGM_RSRC2:USER_SGPR: 6
; COMPUTE_PGM_RSRC2:TRAP_HANDLER: 0
; COMPUTE_PGM_RSRC2:TGID_X_EN: 1
; COMPUTE_PGM_RSRC2:TGID_Y_EN: 1
; COMPUTE_PGM_RSRC2:TGID_Z_EN: 1
; COMPUTE_PGM_RSRC2:TIDIG_COMP_CNT: 0
; COMPUTE_PGM_RSRC3_GFX90A:ACCUM_OFFSET: 25
; COMPUTE_PGM_RSRC3_GFX90A:TG_SPLIT: 0
	.section	.text._Z39paged_attention_ll4mi_QKV_mfma16_kernelIDF16_DF16_LN4vllm18Fp8KVCacheDataTypeE0EDF16_Li16ELi128ELi256ELb1ELi5EL8MFMAType0EEvPKT_PKT0_S8_ifPKiSA_SA_iPKfiiiPfSD_PS3_PT2_iSC_SC_,"axG",@progbits,_Z39paged_attention_ll4mi_QKV_mfma16_kernelIDF16_DF16_LN4vllm18Fp8KVCacheDataTypeE0EDF16_Li16ELi128ELi256ELb1ELi5EL8MFMAType0EEvPKT_PKT0_S8_ifPKiSA_SA_iPKfiiiPfSD_PS3_PT2_iSC_SC_,comdat
	.protected	_Z39paged_attention_ll4mi_QKV_mfma16_kernelIDF16_DF16_LN4vllm18Fp8KVCacheDataTypeE0EDF16_Li16ELi128ELi256ELb1ELi5EL8MFMAType0EEvPKT_PKT0_S8_ifPKiSA_SA_iPKfiiiPfSD_PS3_PT2_iSC_SC_ ; -- Begin function _Z39paged_attention_ll4mi_QKV_mfma16_kernelIDF16_DF16_LN4vllm18Fp8KVCacheDataTypeE0EDF16_Li16ELi128ELi256ELb1ELi5EL8MFMAType0EEvPKT_PKT0_S8_ifPKiSA_SA_iPKfiiiPfSD_PS3_PT2_iSC_SC_
	.globl	_Z39paged_attention_ll4mi_QKV_mfma16_kernelIDF16_DF16_LN4vllm18Fp8KVCacheDataTypeE0EDF16_Li16ELi128ELi256ELb1ELi5EL8MFMAType0EEvPKT_PKT0_S8_ifPKiSA_SA_iPKfiiiPfSD_PS3_PT2_iSC_SC_
	.p2align	8
	.type	_Z39paged_attention_ll4mi_QKV_mfma16_kernelIDF16_DF16_LN4vllm18Fp8KVCacheDataTypeE0EDF16_Li16ELi128ELi256ELb1ELi5EL8MFMAType0EEvPKT_PKT0_S8_ifPKiSA_SA_iPKfiiiPfSD_PS3_PT2_iSC_SC_,@function
_Z39paged_attention_ll4mi_QKV_mfma16_kernelIDF16_DF16_LN4vllm18Fp8KVCacheDataTypeE0EDF16_Li16ELi128ELi256ELb1ELi5EL8MFMAType0EEvPKT_PKT0_S8_ifPKiSA_SA_iPKfiiiPfSD_PS3_PT2_iSC_SC_: ; @_Z39paged_attention_ll4mi_QKV_mfma16_kernelIDF16_DF16_LN4vllm18Fp8KVCacheDataTypeE0EDF16_Li16ELi128ELi256ELb1ELi5EL8MFMAType0EEvPKT_PKT0_S8_ifPKiSA_SA_iPKfiiiPfSD_PS3_PT2_iSC_SC_
; %bb.0:
	s_mov_b64 s[46:47], s[2:3]
	s_mov_b64 s[44:45], s[0:1]
	s_load_dwordx2 s[0:1], s[4:5], 0x30
	s_add_u32 s44, s44, s9
	s_addc_u32 s45, s45, 0
	s_mov_b32 s26, s7
	s_mov_b64 s[10:11], 0
	s_waitcnt lgkmcnt(0)
	s_cmp_lg_u64 s[0:1], 0
	s_cselect_b64 s[2:3], -1, 0
	s_and_b64 vcc, exec, s[2:3]
	s_cbranch_vccz .LBB100_7
; %bb.1:
	s_add_i32 s12, s6, 1
	s_mov_b32 s13, 0
	s_lshl_b64 s[14:15], s[12:13], 2
	s_add_u32 s14, s0, s14
	s_mov_b32 s7, s13
	s_addc_u32 s15, s1, s15
	s_lshl_b64 s[12:13], s[6:7], 2
	s_add_u32 s12, s0, s12
	s_addc_u32 s13, s1, s13
	s_load_dword s9, s[14:15], 0x0
	s_load_dword s16, s[12:13], 0x0
	s_waitcnt lgkmcnt(0)
	s_sub_i32 s9, s9, s16
	s_cmp_eq_u32 s9, 1
	s_cselect_b64 s[12:13], -1, 0
	s_andn2_b64 vcc, exec, s[10:11]
	s_cbranch_vccnz .LBB100_3
.LBB100_2:
	s_mov_b32 s7, 0
	s_mov_b64 s[12:13], -1
.LBB100_3:
	s_andn2_b64 vcc, exec, s[12:13]
	s_cbranch_vccnz .LBB100_20
; %bb.4:
	s_load_dwordx2 s[12:13], s[4:5], 0x28
	s_lshl_b64 s[10:11], s[6:7], 2
	s_waitcnt lgkmcnt(0)
	s_add_u32 s12, s12, s10
	s_addc_u32 s13, s13, s11
	s_load_dword s33, s[12:13], 0x0
	s_lshl_b32 s16, s26, 8
	s_waitcnt lgkmcnt(0)
	s_cmp_ge_i32 s16, s33
	s_cbranch_scc1 .LBB100_20
; %bb.5:
	s_add_i32 s14, s33, 15
	s_load_dwordx2 s[12:13], s[4:5], 0x20
	s_load_dword s9, s[4:5], 0x38
	s_ashr_i32 s15, s14, 31
	v_and_b32_e32 v1, 0xcf, v0
	s_lshr_b32 s15, s15, 28
	v_add_u32_e32 v1, s16, v1
	s_add_i32 s14, s14, s15
	v_ashrrev_i32_e32 v2, 31, v1
	s_ashr_i32 s19, s14, 4
	v_lshrrev_b32_e32 v4, 28, v2
	s_add_i32 s19, s19, -1
	v_add_u32_e32 v2, v1, v4
	s_waitcnt lgkmcnt(0)
	s_mul_i32 s14, s6, s9
	s_mov_b32 s15, 0
	v_ashrrev_i32_e32 v2, 4, v2
	v_mov_b32_e32 v5, s19
	v_cmp_gt_i32_e32 vcc, s33, v1
	s_lshl_b64 s[14:15], s[14:15], 2
	v_cndmask_b32_e32 v2, v5, v2, vcc
	s_add_u32 s17, s12, s14
	v_ashrrev_i32_e32 v3, 31, v2
	s_addc_u32 s18, s13, s15
	v_lshlrev_b64 v[2:3], 2, v[2:3]
	v_mov_b32_e32 v7, s18
	v_add_co_u32_e32 v6, vcc, s17, v2
	v_or_b32_e32 v2, 16, v1
	v_addc_co_u32_e32 v7, vcc, v7, v3, vcc
	v_add_u32_e32 v3, v2, v4
	v_ashrrev_i32_e32 v3, 4, v3
	v_cmp_gt_i32_e32 vcc, s33, v2
	v_cndmask_b32_e32 v2, v5, v3, vcc
	v_ashrrev_i32_e32 v3, 31, v2
	v_lshlrev_b64 v[2:3], 2, v[2:3]
	v_mov_b32_e32 v9, s18
	v_add_co_u32_e32 v8, vcc, s17, v2
	v_or_b32_e32 v2, 32, v1
	v_addc_co_u32_e32 v9, vcc, v9, v3, vcc
	v_add_u32_e32 v3, v2, v4
	v_ashrrev_i32_e32 v3, 4, v3
	v_cmp_gt_i32_e32 vcc, s33, v2
	v_cndmask_b32_e32 v2, v5, v3, vcc
	v_ashrrev_i32_e32 v3, 31, v2
	;; [unrolled: 10-line block ×3, first 2 shown]
	v_lshlrev_b64 v[2:3], 2, v[2:3]
	v_mov_b32_e32 v1, s18
	v_add_co_u32_e32 v12, vcc, s17, v2
	v_addc_co_u32_e32 v13, vcc, v1, v3, vcc
	global_load_dword v5, v[6:7], off
	global_load_dword v4, v[8:9], off
	;; [unrolled: 1-line block ×4, first 2 shown]
	s_load_dwordx2 s[12:13], s[4:5], 0x8
	s_andn2_b64 vcc, exec, s[2:3]
	s_cbranch_vccnz .LBB100_8
; %bb.6:
	s_add_u32 s0, s0, s10
	s_addc_u32 s1, s1, s11
	s_load_dword s9, s[0:1], 0x0
	s_branch .LBB100_9
.LBB100_7:
	s_mov_b64 s[12:13], 0
	s_branch .LBB100_2
.LBB100_8:
	s_mov_b32 s9, s6
.LBB100_9:
	s_load_dwordx2 s[10:11], s[4:5], 0x10
	s_load_dwordx4 s[0:3], s[4:5], 0x48
	v_lshrrev_b32_e32 v87, 6, v0
	v_bfe_u32 v1, v0, 4, 2
	v_and_b32_e32 v85, 15, v0
	v_lshl_or_b32 v6, v87, 2, v1
	v_lshlrev_b32_e32 v7, 3, v85
	s_mul_i32 s27, s8, 5
	v_cmp_gt_u32_e32 vcc, 5, v6
	v_lshlrev_b32_e32 v7, 1, v7
	buffer_store_dword v7, off, s[44:47], 0 ; 4-byte Folded Spill
	s_and_saveexec_b64 s[14:15], vcc
	s_cbranch_execz .LBB100_11
; %bb.10:
	s_load_dwordx2 s[20:21], s[4:5], 0x0
	s_waitcnt lgkmcnt(0)
	s_ashr_i32 s3, s0, 31
	s_mul_hi_u32 s22, s9, s0
	s_mul_i32 s3, s9, s3
	s_add_i32 s23, s22, s3
	s_mul_i32 s22, s9, s0
	s_lshl_b64 s[22:23], s[22:23], 1
	v_add_lshl_u32 v8, v6, s27, 7
	s_add_u32 s0, s20, s22
	v_ashrrev_i32_e32 v9, 31, v8
	s_addc_u32 s3, s21, s23
	v_lshlrev_b64 v[8:9], 1, v[8:9]
	v_mov_b32_e32 v7, s3
	v_add_co_u32_e32 v8, vcc, s0, v8
	v_addc_co_u32_e32 v7, vcc, v7, v9, vcc
	buffer_load_dword v9, off, s[44:47], 0  ; 4-byte Folded Reload
	v_lshlrev_b32_e32 v12, 9, v85
	v_lshlrev_b32_e32 v6, 5, v6
	v_and_b32_e32 v12, 0x1800, v12
	s_waitcnt vmcnt(0)
	v_add_co_u32_e32 v8, vcc, v8, v9
	v_addc_co_u32_e32 v9, vcc, 0, v7, vcc
	global_load_dwordx4 v[8:11], v[8:9], off
	v_and_b32_e32 v7, 3, v0
	v_lshlrev_b32_e32 v7, 9, v7
	v_or3_b32 v6, v12, v7, v6
	s_waitcnt vmcnt(0)
	ds_write_b128 v6, v[8:11]
.LBB100_11:
	s_or_b64 exec, exec, s[14:15]
	s_waitcnt lgkmcnt(0)
	s_mul_i32 s2, s8, s2
	s_mov_b32 s3, 0
	s_lshl_b64 s[2:3], s[2:3], 1
	s_add_u32 s0, s12, s2
	v_lshlrev_b32_e32 v10, 4, v0
	s_addc_u32 s8, s13, s3
	v_and_b32_e32 v6, 0xf0, v10
	v_mov_b32_e32 v7, s8
	v_add_co_u32_e32 v8, vcc, s0, v6
	v_addc_co_u32_e32 v9, vcc, 0, v7, vcc
	s_waitcnt vmcnt(4)
	v_mad_i64_i32 v[6:7], s[8:9], v5, s1, 0
	v_lshlrev_b64 v[6:7], 1, v[6:7]
	v_add_co_u32_e32 v5, vcc, v8, v6
	v_addc_co_u32_e32 v7, vcc, v9, v7, vcc
	v_and_b32_e32 v10, 0x300, v10
	v_add_co_u32_e32 v6, vcc, v5, v10
	s_waitcnt vmcnt(3)
	v_mad_i64_i32 v[4:5], s[8:9], v4, s1, 0
	v_addc_co_u32_e32 v7, vcc, 0, v7, vcc
	v_lshlrev_b64 v[4:5], 1, v[4:5]
	v_add_co_u32_e32 v4, vcc, v8, v4
	v_addc_co_u32_e32 v5, vcc, v9, v5, vcc
	v_add_co_u32_e32 v4, vcc, v4, v10
	v_addc_co_u32_e32 v5, vcc, 0, v5, vcc
	s_barrier
	global_load_dwordx4 v[74:77], v[6:7], off
	global_load_dwordx4 v[66:69], v[6:7], off offset:1024
	global_load_dwordx4 v[58:61], v[6:7], off offset:2048
	;; [unrolled: 1-line block ×3, first 2 shown]
	global_load_dwordx4 v[78:81], v[4:5], off
	global_load_dwordx4 v[70:73], v[4:5], off offset:1024
	global_load_dwordx4 v[62:65], v[4:5], off offset:2048
	;; [unrolled: 1-line block ×3, first 2 shown]
	s_waitcnt vmcnt(10)
	v_mad_i64_i32 v[4:5], s[8:9], v3, s1, 0
	v_lshlrev_b64 v[4:5], 1, v[4:5]
	v_add_co_u32_e32 v3, vcc, v8, v4
	v_addc_co_u32_e32 v5, vcc, v9, v5, vcc
	v_add_co_u32_e32 v4, vcc, v3, v10
	s_waitcnt vmcnt(9)
	v_mad_i64_i32 v[2:3], s[8:9], v2, s1, 0
	v_addc_co_u32_e32 v5, vcc, 0, v5, vcc
	v_lshlrev_b64 v[2:3], 1, v[2:3]
	v_add_co_u32_e32 v2, vcc, v8, v2
	v_addc_co_u32_e32 v3, vcc, v9, v3, vcc
	v_add_co_u32_e32 v6, vcc, v2, v10
	v_addc_co_u32_e32 v7, vcc, 0, v3, vcc
	global_load_dwordx4 v[38:41], v[4:5], off
	global_load_dwordx4 v[34:37], v[4:5], off offset:1024
	global_load_dwordx4 v[30:33], v[4:5], off offset:2048
	;; [unrolled: 1-line block ×3, first 2 shown]
	global_load_dwordx4 v[18:21], v[6:7], off
	global_load_dwordx4 v[10:13], v[6:7], off offset:1024
	s_nop 0
	global_load_dwordx4 v[2:5], v[6:7], off offset:2048
	global_load_dwordx4 v[50:53], v[6:7], off offset:3072
	v_mul_lo_u16_e32 v6, 52, v85
	v_mov_b32_e32 v7, 5
	v_mul_lo_u16_sdwa v6, v6, v7 dst_sel:DWORD dst_unused:UNUSED_PAD src0_sel:BYTE_1 src1_sel:DWORD
	v_sub_u16_e32 v6, v85, v6
	v_lshlrev_b32_sdwa v6, v7, v6 dst_sel:DWORD dst_unused:UNUSED_PAD src0_sel:DWORD src1_sel:BYTE_0
	v_lshl_add_u32 v54, v1, 9, v6
	ds_read_b128 v[26:29], v54
	ds_read_b128 v[14:17], v54 offset:2048
	ds_read_b128 v[6:9], v54 offset:4096
	;; [unrolled: 1-line block ×3, first 2 shown]
	v_and_b32_e32 v88, 63, v0
	v_cmp_gt_u32_e32 vcc, 5, v85
	v_mov_b32_e32 v89, 0
	s_and_saveexec_b64 s[8:9], vcc
	s_cbranch_execz .LBB100_13
; %bb.12:
	s_load_dwordx2 s[12:13], s[4:5], 0x40
	v_add_u32_e32 v82, s27, v85
	v_ashrrev_i32_e32 v83, 31, v82
	v_lshlrev_b64 v[82:83], 2, v[82:83]
	s_waitcnt lgkmcnt(0)
	v_mov_b32_e32 v89, s13
	v_add_co_u32_e32 v82, vcc, s12, v82
	v_addc_co_u32_e32 v83, vcc, v89, v83, vcc
	global_load_dword v89, v[82:83], off
.LBB100_13:
	s_or_b64 exec, exec, s[8:9]
	s_waitcnt vmcnt(15) lgkmcnt(3)
	v_mfma_f32_16x16x16f16 v[90:93], v[74:75], v[26:27], 0
	s_add_u32 s8, s10, s2
	s_addc_u32 s9, s11, s3
	s_load_dword s0, s[4:5], 0x1c
	s_mov_b32 s40, 0xff7fffff
	v_mfma_f32_16x16x16f16 v[74:77], v[76:77], v[28:29], v[90:93]
	s_waitcnt vmcnt(14) lgkmcnt(0)
	v_mfma_f32_16x16x16f16 v[74:77], v[66:67], v[14:15], v[74:77]
	s_nop 4
	v_lshl_or_b32 v90, v87, 4, v85
	v_mfma_f32_16x16x16f16 v[66:69], v[68:69], v[16:17], v[74:77]
	s_waitcnt vmcnt(13)
	v_mfma_f32_16x16x16f16 v[66:69], v[58:59], v[6:7], v[66:69]
	s_nop 4
	v_lshlrev_b32_e32 v76, 5, v90
	v_mfma_f32_16x16x16f16 v[58:61], v[60:61], v[8:9], v[66:69]
	s_waitcnt vmcnt(12)
	v_mfma_f32_16x16x16f16 v[58:61], v[42:43], v[54:55], v[58:61]
	s_nop 4
	v_mov_b32_e32 v66, s18
	v_mfma_f32_16x16x16f16 v[58:61], v[44:45], v[56:57], v[58:61]
	s_waitcnt vmcnt(11)
	v_mfma_f32_16x16x16f16 v[42:45], v[78:79], v[26:27], 0
	s_nop 7
	s_nop 0
	v_pk_mul_f32 v[58:59], s[0:1], v[58:59] op_sel_hi:[0,1]
	v_mfma_f32_16x16x16f16 v[42:45], v[80:81], v[28:29], v[42:45]
	s_waitcnt vmcnt(10)
	v_mfma_f32_16x16x16f16 v[42:45], v[70:71], v[14:15], v[42:45]
	v_mfma_f32_16x16x16f16 v[42:45], v[72:73], v[16:17], v[42:45]
	s_waitcnt vmcnt(9)
	v_mfma_f32_16x16x16f16 v[42:45], v[62:63], v[6:7], v[42:45]
	;; [unrolled: 3-line block ×3, first 2 shown]
	v_mfma_f32_16x16x16f16 v[62:65], v[48:49], v[56:57], v[42:45]
	v_and_or_b32 v48, v0, 48, s16
	v_mov_b32_e32 v49, s19
	v_cmp_gt_i32_e32 vcc, s33, v48
	s_waitcnt vmcnt(7)
	v_mfma_f32_16x16x16f16 v[42:45], v[38:39], v[26:27], 0
	v_ashrrev_i32_e32 v38, 4, v48
	v_cndmask_b32_e32 v38, v49, v38, vcc
	v_ashrrev_i32_e32 v39, 31, v38
	v_lshlrev_b64 v[46:47], 2, v[38:39]
	v_mfma_f32_16x16x16f16 v[38:41], v[40:41], v[28:29], v[42:45]
	s_nop 6
	v_add_co_u32_e32 v42, vcc, s17, v46
	v_addc_co_u32_e32 v43, vcc, v66, v47, vcc
	global_load_dword v44, v[42:43], off
	v_or_b32_e32 v42, 64, v48
	v_ashrrev_i32_e32 v43, 4, v42
	v_cmp_gt_i32_e32 vcc, s33, v42
	v_cndmask_b32_e32 v42, v49, v43, vcc
	s_waitcnt vmcnt(7)
	v_mfma_f32_16x16x16f16 v[38:41], v[34:35], v[14:15], v[38:41]
	v_ashrrev_i32_e32 v43, 31, v42
	v_lshlrev_b64 v[34:35], 2, v[42:43]
	v_mov_b32_e32 v42, s18
	v_add_co_u32_e32 v34, vcc, s17, v34
	v_addc_co_u32_e32 v35, vcc, v42, v35, vcc
	global_load_dword v72, v[34:35], off
	v_mfma_f32_16x16x16f16 v[34:37], v[36:37], v[16:17], v[38:41]
	s_nop 6
	v_or_b32_e32 v38, 0x80, v48
	v_ashrrev_i32_e32 v39, 4, v38
	v_cmp_gt_i32_e32 vcc, s33, v38
	v_cndmask_b32_e32 v38, v49, v39, vcc
	v_ashrrev_i32_e32 v39, 31, v38
	v_lshlrev_b64 v[38:39], 2, v[38:39]
	v_mov_b32_e32 v40, s18
	s_waitcnt vmcnt(7)
	v_mfma_f32_16x16x16f16 v[34:37], v[30:31], v[6:7], v[34:37]
	v_add_co_u32_e32 v30, vcc, s17, v38
	v_addc_co_u32_e32 v31, vcc, v40, v39, vcc
	global_load_dword v74, v[30:31], off
	v_or_b32_e32 v30, 0xc0, v48
	v_ashrrev_i32_e32 v31, 4, v30
	v_cmp_gt_i32_e32 vcc, s33, v30
	v_cndmask_b32_e32 v38, v49, v31, vcc
	v_ashrrev_i32_e32 v39, 31, v38
	v_mfma_f32_16x16x16f16 v[30:33], v[32:33], v[8:9], v[34:37]
	s_nop 6
	v_lshlrev_b64 v[34:35], 2, v[38:39]
	v_mov_b32_e32 v36, s18
	v_add_co_u32_e32 v34, vcc, s17, v34
	v_addc_co_u32_e32 v35, vcc, v36, v35, vcc
	global_load_dword v75, v[34:35], off
	s_waitcnt vmcnt(8)
	v_mfma_f32_16x16x16f16 v[30:33], v[22:23], v[54:55], v[30:33]
	v_mov_b32_e32 v22, s9
	v_add_co_u32_e32 v77, vcc, s8, v76
	v_addc_co_u32_e32 v78, vcc, 0, v22, vcc
	s_waitcnt vmcnt(3)
	v_mad_i64_i32 v[22:23], s[2:3], v44, s1, 0
	v_mfma_f32_16x16x16f16 v[66:69], v[24:25], v[56:57], v[30:33]
	v_lshlrev_b64 v[70:71], 1, v[22:23]
	v_mfma_f32_16x16x16f16 v[22:25], v[18:19], v[26:27], 0
	v_add_co_u32_e32 v18, vcc, v77, v70
	v_addc_co_u32_e32 v19, vcc, v78, v71, vcc
	global_load_dwordx4 v[46:49], v[18:19], off
	global_load_dwordx4 v[42:45], v[18:19], off offset:16
	s_waitcnt vmcnt(4)
	v_mad_i64_i32 v[18:19], s[2:3], v72, s1, 0
	v_lshlrev_b64 v[72:73], 1, v[18:19]
	v_mfma_f32_16x16x16f16 v[18:21], v[20:21], v[28:29], v[22:25]
	v_mfma_f32_16x16x16f16 v[18:21], v[10:11], v[14:15], v[18:21]
	s_nop 5
	v_add_co_u32_e32 v22, vcc, v77, v72
	v_addc_co_u32_e32 v23, vcc, v78, v73, vcc
	global_load_dwordx4 v[38:41], v[22:23], off
	global_load_dwordx4 v[34:37], v[22:23], off offset:16
	s_waitcnt vmcnt(5)
	v_mad_i64_i32 v[22:23], s[2:3], v74, s1, 0
	v_lshlrev_b64 v[82:83], 1, v[22:23]
	v_add_co_u32_e32 v10, vcc, v77, v82
	v_addc_co_u32_e32 v11, vcc, v78, v83, vcc
	global_load_dwordx4 v[30:33], v[10:11], off
	global_load_dwordx4 v[26:29], v[10:11], off offset:16
	v_mfma_f32_16x16x16f16 v[10:13], v[12:13], v[16:17], v[18:21]
	s_waitcnt vmcnt(6)
	v_mad_i64_i32 v[14:15], s[2:3], v75, s1, 0
	v_mfma_f32_16x16x16f16 v[10:13], v[2:3], v[6:7], v[10:13]
	v_lshlrev_b64 v[80:81], 1, v[14:15]
	v_add_co_u32_e32 v14, vcc, v77, v80
	v_addc_co_u32_e32 v15, vcc, v78, v81, vcc
	v_or_b32_e32 v2, 0x800, v76
	v_mov_b32_e32 v3, s9
	v_mfma_f32_16x16x16f16 v[10:13], v[4:5], v[8:9], v[10:13]
	v_add_co_u32_e32 v91, vcc, s8, v2
	v_addc_co_u32_e32 v84, vcc, 0, v3, vcc
	v_add_co_u32_e32 v2, vcc, v91, v70
	v_addc_co_u32_e32 v3, vcc, v84, v71, vcc
	v_mfma_f32_16x16x16f16 v[92:95], v[50:51], v[54:55], v[10:13]
	v_add_co_u32_e32 v70, vcc, v91, v72
	v_addc_co_u32_e32 v71, vcc, v84, v73, vcc
	global_load_dwordx4 v[22:25], v[14:15], off
	global_load_dwordx4 v[18:21], v[14:15], off offset:16
	global_load_dwordx4 v[6:9], v[2:3], off
	s_nop 0
	global_load_dwordx4 v[2:5], v[2:3], off offset:16
	s_nop 0
	global_load_dwordx4 v[14:17], v[70:71], off
	global_load_dwordx4 v[10:13], v[70:71], off offset:16
	v_mfma_f32_16x16x16f16 v[50:53], v[52:53], v[56:57], v[92:95]
	v_pk_mul_f32 v[70:71], s[0:1], v[68:69] op_sel_hi:[0,1]
	v_pk_mul_f32 v[72:73], s[0:1], v[66:67] op_sel_hi:[0,1]
	;; [unrolled: 1-line block ×5, first 2 shown]
	s_nop 5
	v_pk_mul_f32 v[68:69], s[0:1], v[50:51] op_sel_hi:[0,1]
	v_and_b32_e32 v50, 0xc0, v0
	v_add_u32_e32 v50, s16, v50
	v_lshl_or_b32 v50, v1, 2, v50
	v_or_b32_e32 v51, 1, v50
	v_pk_mul_f32 v[66:67], s[0:1], v[52:53] op_sel_hi:[0,1]
	v_subrev_u32_e32 v52, s33, v51
	v_add_u32_e32 v54, 1, v52
	v_add_u32_e32 v55, 2, v52
	v_cvt_f32_i32_e32 v53, v52
	v_cvt_f32_i32_e32 v54, v54
	;; [unrolled: 1-line block ×3, first 2 shown]
	v_add_u32_e32 v56, 3, v52
	v_fma_f32 v58, v89, v53, v58
	v_fmac_f32_e32 v59, v89, v54
	v_fma_f32 v78, v89, v55, v78
	v_add_u32_e32 v53, 16, v52
	v_add_u32_e32 v54, 17, v52
	v_add_u32_e32 v55, 18, v52
	v_cvt_f32_i32_e32 v56, v56
	v_cvt_f32_i32_e32 v53, v53
	;; [unrolled: 1-line block ×4, first 2 shown]
	v_fmac_f32_e32 v79, v89, v56
	v_add_u32_e32 v56, 19, v52
	v_fma_f32 v76, v89, v53, v76
	v_fmac_f32_e32 v77, v89, v54
	v_fma_f32 v74, v89, v55, v74
	v_add_u32_e32 v53, 32, v52
	v_add_u32_e32 v54, 33, v52
	;; [unrolled: 1-line block ×3, first 2 shown]
	v_cvt_f32_i32_e32 v56, v56
	v_cvt_f32_i32_e32 v53, v53
	;; [unrolled: 1-line block ×4, first 2 shown]
	v_fmac_f32_e32 v75, v89, v56
	v_add_u32_e32 v56, 35, v52
	v_fma_f32 v72, v89, v53, v72
	v_fmac_f32_e32 v73, v89, v54
	v_fma_f32 v70, v89, v55, v70
	v_add_u32_e32 v53, 48, v52
	v_add_u32_e32 v54, 49, v52
	;; [unrolled: 1-line block ×4, first 2 shown]
	v_cvt_f32_i32_e32 v52, v52
	v_cvt_f32_i32_e32 v53, v53
	;; [unrolled: 1-line block ×3, first 2 shown]
	v_cmp_gt_i32_e64 s[28:29], s33, v50
	v_fmac_f32_e32 v67, v89, v52
	v_mov_b32_e32 v52, 0xff7fffff
	v_cmp_gt_i32_e64 s[30:31], s33, v51
	v_fma_f32 v68, v89, v53, v68
	v_cndmask_b32_e64 v53, v52, v58, s[28:29]
	v_cndmask_b32_e64 v51, v52, v59, s[30:31]
	v_fmac_f32_e32 v69, v89, v54
	v_max3_f32 v51, v53, s40, v51
	v_or_b32_e32 v53, 2, v50
	v_or_b32_e32 v54, 3, v50
	v_cmp_gt_i32_e64 s[34:35], s33, v53
	v_cmp_gt_i32_e64 s[36:37], s33, v54
	v_cndmask_b32_e64 v53, v52, v78, s[34:35]
	v_cndmask_b32_e64 v54, v52, v79, s[36:37]
	v_max3_f32 v51, v51, v53, v54
	v_or_b32_e32 v53, 16, v50
	v_or_b32_e32 v54, 17, v50
	v_cmp_gt_i32_e64 s[22:23], s33, v53
	v_cmp_gt_i32_e64 s[24:25], s33, v54
	v_cndmask_b32_e64 v53, v52, v76, s[22:23]
	v_cndmask_b32_e64 v54, v52, v77, s[24:25]
	;; [unrolled: 7-line block ×3, first 2 shown]
	v_cvt_f32_i32_e32 v56, v56
	v_max3_f32 v51, v51, v53, v54
	v_or_b32_e32 v53, 32, v50
	v_or_b32_e32 v54, 33, v50
	v_cmp_gt_i32_e64 s[14:15], s33, v53
	v_cmp_gt_i32_e64 s[16:17], s33, v54
	v_cndmask_b32_e64 v53, v52, v72, s[14:15]
	v_cndmask_b32_e64 v54, v52, v73, s[16:17]
	v_max3_f32 v51, v51, v53, v54
	v_or_b32_e32 v53, 34, v50
	v_or_b32_e32 v54, 35, v50
	v_fmac_f32_e32 v71, v89, v56
	v_cmp_gt_i32_e64 s[10:11], s33, v53
	v_cmp_gt_i32_e64 s[12:13], s33, v54
	v_cndmask_b32_e64 v53, v52, v70, s[10:11]
	v_cndmask_b32_e64 v54, v52, v71, s[12:13]
	v_cvt_f32_i32_e32 v55, v55
	v_max3_f32 v51, v51, v53, v54
	v_or_b32_e32 v53, 48, v50
	v_or_b32_e32 v54, 49, v50
	v_cmp_gt_i32_e64 s[2:3], s33, v53
	v_cmp_gt_i32_e64 s[8:9], s33, v54
	v_cndmask_b32_e64 v53, v52, v68, s[2:3]
	v_cndmask_b32_e64 v54, v52, v69, s[8:9]
	v_max3_f32 v51, v51, v53, v54
	v_or_b32_e32 v53, 50, v50
	v_or_b32_e32 v50, 51, v50
	v_fma_f32 v66, v89, v55, v66
	v_cmp_gt_i32_e32 vcc, s33, v53
	v_cmp_gt_i32_e64 s[0:1], s33, v50
	v_cndmask_b32_e32 v53, v52, v66, vcc
	v_cndmask_b32_e64 v50, v52, v67, s[0:1]
	v_max3_f32 v60, v51, v53, v50
	v_mbcnt_lo_u32_b32 v50, -1, 0
	v_mbcnt_hi_u32_b32 v61, -1, v50
	v_and_b32_e32 v50, 64, v61
	v_add_u32_e32 v62, 64, v50
	v_xor_b32_e32 v50, 32, v61
	v_cmp_lt_i32_e64 s[38:39], v50, v62
	v_cndmask_b32_e64 v50, v61, v50, s[38:39]
	v_lshlrev_b32_e32 v89, 2, v50
	ds_bpermute_b32 v63, v89, v60
	v_add_co_u32_e64 v50, s[38:39], v91, v82
	v_addc_co_u32_e64 v51, s[38:39], v84, v83, s[38:39]
	s_waitcnt lgkmcnt(0)
	v_max_f32_e32 v63, v63, v63
	v_max_f32_e32 v63, v60, v63
	v_xor_b32_e32 v60, 16, v61
	v_cmp_lt_i32_e64 s[38:39], v60, v62
	v_cndmask_b32_e64 v60, v61, v60, s[38:39]
	v_lshlrev_b32_e32 v92, 2, v60
	ds_bpermute_b32 v62, v92, v63
	v_add_co_u32_e64 v60, s[38:39], v91, v80
	v_addc_co_u32_e64 v61, s[38:39], v84, v81, s[38:39]
	s_waitcnt lgkmcnt(0)
	v_max_f32_e32 v62, v62, v62
	v_max_f32_e32 v82, v63, v62
	v_sub_f32_e32 v58, v58, v82
	v_mul_f32_e32 v58, 0x3fb8aa3b, v58
	v_exp_f32_e32 v80, v58
	v_sub_f32_e32 v58, v59, v82
	v_mul_f32_e32 v58, 0x3fb8aa3b, v58
	global_load_dwordx4 v[54:57], v[50:51], off
	s_nop 0
	global_load_dwordx4 v[50:53], v[50:51], off offset:16
	v_exp_f32_e32 v81, v58
	global_load_dwordx4 v[62:65], v[60:61], off
	s_nop 0
	global_load_dwordx4 v[58:61], v[60:61], off offset:16
	v_sub_f32_e32 v78, v78, v82
	v_mul_f32_e32 v78, 0x3fb8aa3b, v78
	v_sub_f32_e32 v79, v79, v82
	v_exp_f32_e32 v78, v78
	v_mul_f32_e32 v79, 0x3fb8aa3b, v79
	v_sub_f32_e32 v76, v76, v82
	v_exp_f32_e32 v79, v79
	v_mul_f32_e32 v76, 0x3fb8aa3b, v76
	v_sub_f32_e32 v77, v77, v82
	v_cndmask_b32_e64 v80, 0, v80, s[28:29]
	v_exp_f32_e32 v76, v76
	v_mul_f32_e32 v77, 0x3fb8aa3b, v77
	v_sub_f32_e32 v74, v74, v82
	v_add_f32_e32 v83, 0, v80
	v_cndmask_b32_e64 v81, 0, v81, s[30:31]
	v_exp_f32_e32 v77, v77
	v_mul_f32_e32 v74, 0x3fb8aa3b, v74
	v_sub_f32_e32 v75, v75, v82
	v_add_f32_e32 v83, v83, v81
	;; [unrolled: 5-line block ×10, first 2 shown]
	v_cndmask_b32_e64 v70, 0, v70, s[10:11]
	v_exp_f32_e32 v66, v66
	v_mul_f32_e32 v67, 0x3fb8aa3b, v67
	v_add_f32_e32 v83, v83, v70
	v_cndmask_b32_e64 v71, 0, v71, s[12:13]
	v_exp_f32_e32 v67, v67
	v_add_f32_e32 v83, v83, v71
	v_cndmask_b32_e64 v68, 0, v68, s[2:3]
	v_add_f32_e32 v83, v83, v68
	v_cndmask_b32_e64 v69, 0, v69, s[8:9]
	v_add_f32_e32 v83, v83, v69
	v_cndmask_b32_e32 v66, 0, v66, vcc
	v_add_f32_e32 v83, v83, v66
	v_cndmask_b32_e64 v67, 0, v67, s[0:1]
	v_add_f32_e32 v83, v83, v67
	ds_bpermute_b32 v84, v89, v83
	s_load_dword s9, s[4:5], 0x98
	v_cmp_gt_u32_e64 s[0:1], 16, v88
	s_waitcnt lgkmcnt(0)
	s_barrier
	v_add_f32_e32 v83, v83, v84
	ds_bpermute_b32 v89, v92, v83
	s_waitcnt lgkmcnt(0)
	s_and_saveexec_b64 s[2:3], s[0:1]
	s_cbranch_execz .LBB100_15
; %bb.14:
	v_add_f32_e32 v83, v83, v89
	v_lshlrev_b32_e32 v84, 2, v90
	ds_write2st64_b32 v84, v82, v83 offset1:1
.LBB100_15:
	s_or_b64 exec, exec, s[2:3]
	v_lshlrev_b32_e32 v83, 2, v85
	s_load_dword s8, s[4:5], 0x94
	s_waitcnt lgkmcnt(0)
	s_barrier
	ds_read2_b32 v[88:89], v83 offset1:16
	ds_read2_b32 v[90:91], v83 offset0:32 offset1:48
	ds_read2_b32 v[92:93], v83 offset0:64 offset1:80
	s_mul_i32 s9, s9, 5
	s_waitcnt lgkmcnt(2)
	v_max3_f32 v82, v88, s40, v89
	s_waitcnt lgkmcnt(1)
	v_max3_f32 v82, v82, v90, v91
	v_sub_f32_e32 v84, v88, v82
	v_sub_f32_e32 v88, v89, v82
	v_mul_f32_e32 v88, 0x3fb8aa3b, v88
	v_mul_f32_e32 v84, 0x3fb8aa3b, v84
	v_exp_f32_e32 v94, v88
	v_sub_f32_e32 v88, v90, v82
	v_exp_f32_e32 v84, v84
	v_mul_f32_e32 v88, 0x3fb8aa3b, v88
	v_exp_f32_e32 v90, v88
	ds_read2_b32 v[88:89], v83 offset0:96 offset1:112
	v_sub_f32_e32 v83, v91, v82
	v_mul_f32_e32 v83, 0x3fb8aa3b, v83
	v_exp_f32_e32 v91, v83
	s_waitcnt lgkmcnt(1)
	v_fma_f32 v83, v84, v92, 0
	v_fmac_f32_e32 v83, v94, v93
	s_waitcnt lgkmcnt(0)
	v_fmac_f32_e32 v83, v90, v88
	v_fmac_f32_e32 v83, v91, v89
	v_add_f32_e32 v88, 0x358637bd, v83
	v_div_scale_f32 v89, s[2:3], v88, v88, 1.0
	v_rcp_f32_e32 v92, v89
	s_barrier
	v_fma_f32 v93, -v89, v92, 1.0
	v_fmac_f32_e32 v92, v93, v92
	v_div_scale_f32 v93, vcc, 1.0, v88, 1.0
	v_mul_f32_e32 v95, v93, v92
	v_fma_f32 v86, -v89, v95, v93
	v_fmac_f32_e32 v95, v86, v92
	v_fma_f32 v86, -v89, v95, v93
	v_div_fmas_f32 v86, v86, v92, v95
	v_cmp_eq_u32_e32 vcc, 1, v87
	v_cndmask_b32_e32 v84, v84, v94, vcc
	v_cmp_eq_u32_e32 vcc, 2, v87
	v_cndmask_b32_e32 v84, v84, v90, vcc
	v_cmp_eq_u32_e32 vcc, 3, v87
	v_div_fixup_f32 v86, v86, v88, 1.0
	v_cndmask_b32_e32 v84, v84, v91, vcc
	v_mul_f32_e32 v88, v84, v86
	v_pk_mul_f32 v[78:79], v[88:89], v[78:79] op_sel_hi:[0,1]
	v_pk_mul_f32 v[80:81], v[88:89], v[80:81] op_sel_hi:[0,1]
	v_cvt_f16_f32_e32 v80, v80
	v_cvt_f16_f32_e32 v81, v81
	;; [unrolled: 1-line block ×4, first 2 shown]
	v_pk_mul_f32 v[74:75], v[88:89], v[74:75] op_sel_hi:[0,1]
	v_pk_mul_f32 v[76:77], v[88:89], v[76:77] op_sel_hi:[0,1]
	v_cvt_f16_f32_e32 v76, v76
	v_cvt_f16_f32_e32 v77, v77
	;; [unrolled: 1-line block ×4, first 2 shown]
	v_pack_b32_f16 v80, v80, v81
	v_pack_b32_f16 v81, v78, v79
	v_lshlrev_b32_e32 v79, 3, v1
	v_lshlrev_b32_e32 v78, 5, v85
	;; [unrolled: 1-line block ×3, first 2 shown]
	v_or3_b32 v74, v74, v78, v79
	v_pack_b32_f16 v76, v76, v77
	v_pack_b32_f16 v77, v84, v75
	v_pk_mul_f32 v[70:71], v[88:89], v[70:71] op_sel_hi:[0,1]
	v_pk_mul_f32 v[72:73], v[88:89], v[72:73] op_sel_hi:[0,1]
	;; [unrolled: 1-line block ×4, first 2 shown]
	ds_write2st64_b64 v74, v[80:81], v[76:77] offset1:1
	v_cvt_f16_f32_e32 v72, v72
	v_cvt_f16_f32_e32 v73, v73
	;; [unrolled: 1-line block ×8, first 2 shown]
	v_pack_b32_f16 v66, v72, v73
	v_pack_b32_f16 v67, v70, v71
	;; [unrolled: 1-line block ×4, first 2 shown]
	v_cmp_gt_u32_e32 vcc, 5, v0
	ds_write2st64_b64 v74, v[66:67], v[68:69] offset0:2 offset1:3
	s_and_saveexec_b64 s[2:3], vcc
	s_cbranch_execz .LBB100_17
; %bb.16:
	v_add_co_u32_e32 v68, vcc, s27, v85
	v_addc_co_u32_e64 v69, s[10:11], 0, 0, vcc
	v_mov_b32_e32 v66, s9
	v_mov_b32_e32 v67, 0
	v_mad_u64_u32 v[68:69], s[10:11], s6, v66, v[68:69]
	v_mov_b32_e32 v66, s26
	s_load_dwordx4 s[12:15], s[4:5], 0x58
	s_mul_i32 s7, s7, s9
	v_mad_u64_u32 v[66:67], s[10:11], v68, s8, v[66:67]
	v_add_u32_e32 v69, s7, v69
	v_mov_b32_e32 v68, v67
	v_mad_u64_u32 v[68:69], s[10:11], v69, s8, v[68:69]
	v_mov_b32_e32 v67, v68
	v_lshlrev_b64 v[66:67], 2, v[66:67]
	s_waitcnt lgkmcnt(0)
	v_mov_b32_e32 v69, s15
	v_add_co_u32_e32 v68, vcc, s14, v66
	v_addc_co_u32_e32 v69, vcc, v69, v67, vcc
	global_store_dword v[68:69], v82, off
	v_mov_b32_e32 v68, s13
	v_add_co_u32_e32 v66, vcc, s12, v66
	v_addc_co_u32_e32 v67, vcc, v68, v67, vcc
	global_store_dword v[66:67], v83, off
.LBB100_17:
	s_or_b64 exec, exec, s[2:3]
	v_lshl_or_b32 v75, v1, 9, v78
	s_waitcnt lgkmcnt(0)
	s_barrier
	ds_read_b128 v[70:73], v75
	ds_read_b128 v[66:69], v75 offset:16
	s_waitcnt vmcnt(15) lgkmcnt(1)
	v_mfma_f32_16x16x16f16 v[76:79], v[46:47], v[70:71], 0
	s_mov_b32 s3, 0
	v_cmp_gt_u32_e32 vcc, 64, v0
	v_mfma_f32_16x16x16f16 v[46:49], v[48:49], v[72:73], v[76:79]
	s_waitcnt vmcnt(14) lgkmcnt(0)
	v_mfma_f32_16x16x16f16 v[46:49], v[42:43], v[66:67], v[46:49]
	v_mfma_f32_16x16x16f16 v[42:45], v[44:45], v[68:69], v[46:49]
	s_nop 7
	s_nop 1
	ds_read_b128 v[46:49], v75 offset:2048
	ds_read_b128 v[76:79], v75 offset:2064
	s_waitcnt vmcnt(13) lgkmcnt(1)
	v_mfma_f32_16x16x16f16 v[42:45], v[38:39], v[46:47], v[42:45]
	v_mfma_f32_16x16x16f16 v[38:41], v[40:41], v[48:49], v[42:45]
	s_waitcnt vmcnt(12) lgkmcnt(0)
	v_mfma_f32_16x16x16f16 v[38:41], v[34:35], v[76:77], v[38:41]
	v_mfma_f32_16x16x16f16 v[34:37], v[36:37], v[78:79], v[38:41]
	s_nop 7
	s_nop 1
	ds_read_b128 v[38:41], v75 offset:4096
	ds_read_b128 v[42:45], v75 offset:4112
	s_waitcnt vmcnt(11) lgkmcnt(1)
	v_mfma_f32_16x16x16f16 v[34:37], v[30:31], v[38:39], v[34:37]
	v_mfma_f32_16x16x16f16 v[30:33], v[32:33], v[40:41], v[34:37]
	s_waitcnt vmcnt(10) lgkmcnt(0)
	v_mfma_f32_16x16x16f16 v[30:33], v[26:27], v[42:43], v[30:33]
	v_mfma_f32_16x16x16f16 v[26:29], v[28:29], v[44:45], v[30:33]
	s_nop 7
	s_nop 1
	ds_read_b128 v[30:33], v75 offset:6144
	ds_read_b128 v[34:37], v75 offset:6160
	s_waitcnt lgkmcnt(0)
	s_barrier
	s_waitcnt vmcnt(9)
	v_mfma_f32_16x16x16f16 v[26:29], v[22:23], v[30:31], v[26:29]
	v_mfma_f32_16x16x16f16 v[22:25], v[24:25], v[32:33], v[26:29]
	s_waitcnt vmcnt(8)
	v_mfma_f32_16x16x16f16 v[22:25], v[18:19], v[34:35], v[22:25]
	v_mfma_f32_16x16x16f16 v[18:21], v[20:21], v[36:37], v[22:25]
	;; [unrolled: 3-line block ×4, first 2 shown]
	s_waitcnt vmcnt(5)
	v_mfma_f32_16x16x16f16 v[2:5], v[14:15], v[46:47], v[2:5]
	s_nop 7
	v_cvt_f16_f32_e32 v6, v18
	v_cvt_f16_f32_e32 v7, v19
	;; [unrolled: 1-line block ×4, first 2 shown]
	v_mfma_f32_16x16x16f16 v[2:5], v[16:17], v[48:49], v[2:5]
	s_waitcnt vmcnt(4)
	v_mfma_f32_16x16x16f16 v[2:5], v[10:11], v[76:77], v[2:5]
	v_mfma_f32_16x16x16f16 v[2:5], v[12:13], v[78:79], v[2:5]
	s_waitcnt vmcnt(3)
	v_mfma_f32_16x16x16f16 v[2:5], v[54:55], v[38:39], v[2:5]
	;; [unrolled: 3-line block ×5, first 2 shown]
	v_mfma_f32_16x16x16f16 v[2:5], v[60:61], v[36:37], v[2:5]
	s_nop 7
	s_nop 2
	v_cvt_f16_f32_e32 v10, v2
	v_cvt_f16_f32_e32 v11, v3
	;; [unrolled: 1-line block ×4, first 2 shown]
	v_pack_b32_f16 v2, v6, v7
	v_pack_b32_f16 v3, v8, v9
	;; [unrolled: 1-line block ×4, first 2 shown]
	ds_write2st64_b64 v74, v[2:3], v[4:5] offset1:1
	s_waitcnt lgkmcnt(0)
	s_barrier
	s_and_saveexec_b64 s[10:11], vcc
	s_cbranch_execz .LBB100_20
; %bb.18:
	v_lshlrev_b32_e32 v4, 6, v85
	v_lshlrev_b32_e32 v3, 4, v0
	v_lshl_or_b32 v0, v0, 10, v4
	v_lshlrev_b32_e32 v2, 5, v1
	v_and_b32_e32 v3, 16, v3
	v_and_b32_e32 v0, 0x1a00, v0
	v_or3_b32 v0, v0, v2, v3
	buffer_load_dword v2, off, s[44:47], 0  ; 4-byte Folded Reload
	s_load_dwordx2 s[10:11], s[4:5], 0x68
	s_lshl_b32 s4, s8, 7
	s_mul_i32 s2, s9, s6
	s_mul_hi_u32 s7, s2, s4
	s_mul_i32 s6, s2, s4
	s_lshl_b64 s[6:7], s[6:7], 1
	s_waitcnt lgkmcnt(0)
	s_add_u32 s5, s10, s6
	s_addc_u32 s6, s11, s7
	s_lshl_b32 s2, s26, 7
	s_lshl_b64 s[2:3], s[2:3], 1
	s_add_u32 s2, s5, s2
	s_addc_u32 s3, s6, s3
	ds_read_b128 v[4:7], v0
	v_add_u32_e32 v8, s27, v1
	v_mov_b32_e32 v3, s3
	s_waitcnt vmcnt(0)
	v_add_co_u32_e32 v2, vcc, s2, v2
	v_mad_u64_u32 v[8:9], s[2:3], v8, s4, 0
	v_addc_co_u32_e32 v3, vcc, 0, v3, vcc
	v_lshlrev_b64 v[8:9], 1, v[8:9]
	v_add_co_u32_e32 v8, vcc, v2, v8
	v_addc_co_u32_e32 v9, vcc, v3, v9, vcc
	s_waitcnt lgkmcnt(0)
	global_store_dwordx4 v[8:9], v[4:7], off
	s_and_b64 exec, exec, s[0:1]
	s_cbranch_execz .LBB100_20
; %bb.19:
	ds_read_b128 v[4:7], v0 offset:128
	v_add3_u32 v0, s27, v1, 4
	v_mad_u64_u32 v[0:1], s[0:1], v0, s4, 0
	v_lshlrev_b64 v[0:1], 1, v[0:1]
	v_add_co_u32_e32 v0, vcc, v2, v0
	v_addc_co_u32_e32 v1, vcc, v3, v1, vcc
	s_waitcnt lgkmcnt(0)
	global_store_dwordx4 v[0:1], v[4:7], off
.LBB100_20:
	s_endpgm
	.section	.rodata,"a",@progbits
	.p2align	6, 0x0
	.amdhsa_kernel _Z39paged_attention_ll4mi_QKV_mfma16_kernelIDF16_DF16_LN4vllm18Fp8KVCacheDataTypeE0EDF16_Li16ELi128ELi256ELb1ELi5EL8MFMAType0EEvPKT_PKT0_S8_ifPKiSA_SA_iPKfiiiPfSD_PS3_PT2_iSC_SC_
		.amdhsa_group_segment_fixed_size 8192
		.amdhsa_private_segment_fixed_size 8
		.amdhsa_kernarg_size 400
		.amdhsa_user_sgpr_count 6
		.amdhsa_user_sgpr_private_segment_buffer 1
		.amdhsa_user_sgpr_dispatch_ptr 0
		.amdhsa_user_sgpr_queue_ptr 0
		.amdhsa_user_sgpr_kernarg_segment_ptr 1
		.amdhsa_user_sgpr_dispatch_id 0
		.amdhsa_user_sgpr_flat_scratch_init 0
		.amdhsa_user_sgpr_kernarg_preload_length 0
		.amdhsa_user_sgpr_kernarg_preload_offset 0
		.amdhsa_user_sgpr_private_segment_size 0
		.amdhsa_uses_dynamic_stack 0
		.amdhsa_system_sgpr_private_segment_wavefront_offset 1
		.amdhsa_system_sgpr_workgroup_id_x 1
		.amdhsa_system_sgpr_workgroup_id_y 1
		.amdhsa_system_sgpr_workgroup_id_z 1
		.amdhsa_system_sgpr_workgroup_info 0
		.amdhsa_system_vgpr_workitem_id 0
		.amdhsa_next_free_vgpr 96
		.amdhsa_next_free_sgpr 48
		.amdhsa_accum_offset 96
		.amdhsa_reserve_vcc 1
		.amdhsa_reserve_flat_scratch 0
		.amdhsa_float_round_mode_32 0
		.amdhsa_float_round_mode_16_64 0
		.amdhsa_float_denorm_mode_32 3
		.amdhsa_float_denorm_mode_16_64 3
		.amdhsa_dx10_clamp 1
		.amdhsa_ieee_mode 1
		.amdhsa_fp16_overflow 0
		.amdhsa_tg_split 0
		.amdhsa_exception_fp_ieee_invalid_op 0
		.amdhsa_exception_fp_denorm_src 0
		.amdhsa_exception_fp_ieee_div_zero 0
		.amdhsa_exception_fp_ieee_overflow 0
		.amdhsa_exception_fp_ieee_underflow 0
		.amdhsa_exception_fp_ieee_inexact 0
		.amdhsa_exception_int_div_zero 0
	.end_amdhsa_kernel
	.section	.text._Z39paged_attention_ll4mi_QKV_mfma16_kernelIDF16_DF16_LN4vllm18Fp8KVCacheDataTypeE0EDF16_Li16ELi128ELi256ELb1ELi5EL8MFMAType0EEvPKT_PKT0_S8_ifPKiSA_SA_iPKfiiiPfSD_PS3_PT2_iSC_SC_,"axG",@progbits,_Z39paged_attention_ll4mi_QKV_mfma16_kernelIDF16_DF16_LN4vllm18Fp8KVCacheDataTypeE0EDF16_Li16ELi128ELi256ELb1ELi5EL8MFMAType0EEvPKT_PKT0_S8_ifPKiSA_SA_iPKfiiiPfSD_PS3_PT2_iSC_SC_,comdat
.Lfunc_end100:
	.size	_Z39paged_attention_ll4mi_QKV_mfma16_kernelIDF16_DF16_LN4vllm18Fp8KVCacheDataTypeE0EDF16_Li16ELi128ELi256ELb1ELi5EL8MFMAType0EEvPKT_PKT0_S8_ifPKiSA_SA_iPKfiiiPfSD_PS3_PT2_iSC_SC_, .Lfunc_end100-_Z39paged_attention_ll4mi_QKV_mfma16_kernelIDF16_DF16_LN4vllm18Fp8KVCacheDataTypeE0EDF16_Li16ELi128ELi256ELb1ELi5EL8MFMAType0EEvPKT_PKT0_S8_ifPKiSA_SA_iPKfiiiPfSD_PS3_PT2_iSC_SC_
                                        ; -- End function
	.section	.AMDGPU.csdata,"",@progbits
; Kernel info:
; codeLenInByte = 4900
; NumSgprs: 52
; NumVgprs: 96
; NumAgprs: 0
; TotalNumVgprs: 96
; ScratchSize: 8
; MemoryBound: 0
; FloatMode: 240
; IeeeMode: 1
; LDSByteSize: 8192 bytes/workgroup (compile time only)
; SGPRBlocks: 6
; VGPRBlocks: 11
; NumSGPRsForWavesPerEU: 52
; NumVGPRsForWavesPerEU: 96
; AccumOffset: 96
; Occupancy: 5
; WaveLimiterHint : 1
; COMPUTE_PGM_RSRC2:SCRATCH_EN: 1
; COMPUTE_PGM_RSRC2:USER_SGPR: 6
; COMPUTE_PGM_RSRC2:TRAP_HANDLER: 0
; COMPUTE_PGM_RSRC2:TGID_X_EN: 1
; COMPUTE_PGM_RSRC2:TGID_Y_EN: 1
; COMPUTE_PGM_RSRC2:TGID_Z_EN: 1
; COMPUTE_PGM_RSRC2:TIDIG_COMP_CNT: 0
; COMPUTE_PGM_RSRC3_GFX90A:ACCUM_OFFSET: 23
; COMPUTE_PGM_RSRC3_GFX90A:TG_SPLIT: 0
	.section	.text._Z39paged_attention_ll4mi_QKV_mfma16_kernelIDF16_DF16_LN4vllm18Fp8KVCacheDataTypeE0EDF16_Li16ELi128ELi256ELb1ELi6EL8MFMAType0EEvPKT_PKT0_S8_ifPKiSA_SA_iPKfiiiPfSD_PS3_PT2_iSC_SC_,"axG",@progbits,_Z39paged_attention_ll4mi_QKV_mfma16_kernelIDF16_DF16_LN4vllm18Fp8KVCacheDataTypeE0EDF16_Li16ELi128ELi256ELb1ELi6EL8MFMAType0EEvPKT_PKT0_S8_ifPKiSA_SA_iPKfiiiPfSD_PS3_PT2_iSC_SC_,comdat
	.protected	_Z39paged_attention_ll4mi_QKV_mfma16_kernelIDF16_DF16_LN4vllm18Fp8KVCacheDataTypeE0EDF16_Li16ELi128ELi256ELb1ELi6EL8MFMAType0EEvPKT_PKT0_S8_ifPKiSA_SA_iPKfiiiPfSD_PS3_PT2_iSC_SC_ ; -- Begin function _Z39paged_attention_ll4mi_QKV_mfma16_kernelIDF16_DF16_LN4vllm18Fp8KVCacheDataTypeE0EDF16_Li16ELi128ELi256ELb1ELi6EL8MFMAType0EEvPKT_PKT0_S8_ifPKiSA_SA_iPKfiiiPfSD_PS3_PT2_iSC_SC_
	.globl	_Z39paged_attention_ll4mi_QKV_mfma16_kernelIDF16_DF16_LN4vllm18Fp8KVCacheDataTypeE0EDF16_Li16ELi128ELi256ELb1ELi6EL8MFMAType0EEvPKT_PKT0_S8_ifPKiSA_SA_iPKfiiiPfSD_PS3_PT2_iSC_SC_
	.p2align	8
	.type	_Z39paged_attention_ll4mi_QKV_mfma16_kernelIDF16_DF16_LN4vllm18Fp8KVCacheDataTypeE0EDF16_Li16ELi128ELi256ELb1ELi6EL8MFMAType0EEvPKT_PKT0_S8_ifPKiSA_SA_iPKfiiiPfSD_PS3_PT2_iSC_SC_,@function
_Z39paged_attention_ll4mi_QKV_mfma16_kernelIDF16_DF16_LN4vllm18Fp8KVCacheDataTypeE0EDF16_Li16ELi128ELi256ELb1ELi6EL8MFMAType0EEvPKT_PKT0_S8_ifPKiSA_SA_iPKfiiiPfSD_PS3_PT2_iSC_SC_: ; @_Z39paged_attention_ll4mi_QKV_mfma16_kernelIDF16_DF16_LN4vllm18Fp8KVCacheDataTypeE0EDF16_Li16ELi128ELi256ELb1ELi6EL8MFMAType0EEvPKT_PKT0_S8_ifPKiSA_SA_iPKfiiiPfSD_PS3_PT2_iSC_SC_
; %bb.0:
	s_mov_b64 s[46:47], s[2:3]
	s_mov_b64 s[44:45], s[0:1]
	s_load_dwordx2 s[0:1], s[4:5], 0x30
	s_add_u32 s44, s44, s9
	s_addc_u32 s45, s45, 0
	s_mov_b32 s26, s7
	s_mov_b64 s[10:11], 0
	s_waitcnt lgkmcnt(0)
	s_cmp_lg_u64 s[0:1], 0
	s_cselect_b64 s[2:3], -1, 0
	s_and_b64 vcc, exec, s[2:3]
	s_cbranch_vccz .LBB101_7
; %bb.1:
	s_add_i32 s12, s6, 1
	s_mov_b32 s13, 0
	s_lshl_b64 s[14:15], s[12:13], 2
	s_add_u32 s14, s0, s14
	s_mov_b32 s7, s13
	s_addc_u32 s15, s1, s15
	s_lshl_b64 s[12:13], s[6:7], 2
	s_add_u32 s12, s0, s12
	s_addc_u32 s13, s1, s13
	s_load_dword s9, s[14:15], 0x0
	s_load_dword s16, s[12:13], 0x0
	s_waitcnt lgkmcnt(0)
	s_sub_i32 s9, s9, s16
	s_cmp_eq_u32 s9, 1
	s_cselect_b64 s[12:13], -1, 0
	s_andn2_b64 vcc, exec, s[10:11]
	s_cbranch_vccnz .LBB101_3
.LBB101_2:
	s_mov_b32 s7, 0
	s_mov_b64 s[12:13], -1
.LBB101_3:
	s_andn2_b64 vcc, exec, s[12:13]
	s_cbranch_vccnz .LBB101_20
; %bb.4:
	s_load_dwordx2 s[12:13], s[4:5], 0x28
	s_lshl_b64 s[10:11], s[6:7], 2
	s_waitcnt lgkmcnt(0)
	s_add_u32 s12, s12, s10
	s_addc_u32 s13, s13, s11
	s_load_dword s33, s[12:13], 0x0
	s_lshl_b32 s16, s26, 8
	s_waitcnt lgkmcnt(0)
	s_cmp_ge_i32 s16, s33
	s_cbranch_scc1 .LBB101_20
; %bb.5:
	s_add_i32 s14, s33, 15
	s_load_dwordx2 s[12:13], s[4:5], 0x20
	s_load_dword s9, s[4:5], 0x38
	s_ashr_i32 s15, s14, 31
	v_and_b32_e32 v1, 0xcf, v0
	s_lshr_b32 s15, s15, 28
	v_add_u32_e32 v1, s16, v1
	s_add_i32 s14, s14, s15
	v_ashrrev_i32_e32 v2, 31, v1
	s_ashr_i32 s19, s14, 4
	v_lshrrev_b32_e32 v4, 28, v2
	s_add_i32 s19, s19, -1
	v_add_u32_e32 v2, v1, v4
	s_waitcnt lgkmcnt(0)
	s_mul_i32 s14, s6, s9
	s_mov_b32 s15, 0
	v_ashrrev_i32_e32 v2, 4, v2
	v_mov_b32_e32 v5, s19
	v_cmp_gt_i32_e32 vcc, s33, v1
	s_lshl_b64 s[14:15], s[14:15], 2
	v_cndmask_b32_e32 v2, v5, v2, vcc
	s_add_u32 s17, s12, s14
	v_ashrrev_i32_e32 v3, 31, v2
	s_addc_u32 s18, s13, s15
	v_lshlrev_b64 v[2:3], 2, v[2:3]
	v_mov_b32_e32 v7, s18
	v_add_co_u32_e32 v6, vcc, s17, v2
	v_or_b32_e32 v2, 16, v1
	v_addc_co_u32_e32 v7, vcc, v7, v3, vcc
	v_add_u32_e32 v3, v2, v4
	v_ashrrev_i32_e32 v3, 4, v3
	v_cmp_gt_i32_e32 vcc, s33, v2
	v_cndmask_b32_e32 v2, v5, v3, vcc
	v_ashrrev_i32_e32 v3, 31, v2
	v_lshlrev_b64 v[2:3], 2, v[2:3]
	v_mov_b32_e32 v9, s18
	v_add_co_u32_e32 v8, vcc, s17, v2
	v_or_b32_e32 v2, 32, v1
	v_addc_co_u32_e32 v9, vcc, v9, v3, vcc
	v_add_u32_e32 v3, v2, v4
	v_ashrrev_i32_e32 v3, 4, v3
	v_cmp_gt_i32_e32 vcc, s33, v2
	v_cndmask_b32_e32 v2, v5, v3, vcc
	v_ashrrev_i32_e32 v3, 31, v2
	;; [unrolled: 10-line block ×3, first 2 shown]
	v_lshlrev_b64 v[2:3], 2, v[2:3]
	v_mov_b32_e32 v1, s18
	v_add_co_u32_e32 v12, vcc, s17, v2
	v_addc_co_u32_e32 v13, vcc, v1, v3, vcc
	global_load_dword v5, v[6:7], off
	global_load_dword v4, v[8:9], off
	;; [unrolled: 1-line block ×4, first 2 shown]
	s_load_dwordx2 s[12:13], s[4:5], 0x8
	s_andn2_b64 vcc, exec, s[2:3]
	s_cbranch_vccnz .LBB101_8
; %bb.6:
	s_add_u32 s0, s0, s10
	s_addc_u32 s1, s1, s11
	s_load_dword s9, s[0:1], 0x0
	s_branch .LBB101_9
.LBB101_7:
	s_mov_b64 s[12:13], 0
	s_branch .LBB101_2
.LBB101_8:
	s_mov_b32 s9, s6
.LBB101_9:
	s_load_dwordx2 s[10:11], s[4:5], 0x10
	s_load_dwordx4 s[0:3], s[4:5], 0x48
	v_lshrrev_b32_e32 v87, 6, v0
	v_bfe_u32 v1, v0, 4, 2
	v_and_b32_e32 v85, 15, v0
	v_lshl_or_b32 v6, v87, 2, v1
	v_lshlrev_b32_e32 v7, 3, v85
	s_mul_i32 s27, s8, 6
	v_cmp_gt_u32_e32 vcc, 6, v6
	v_lshlrev_b32_e32 v7, 1, v7
	buffer_store_dword v7, off, s[44:47], 0 ; 4-byte Folded Spill
	s_and_saveexec_b64 s[14:15], vcc
	s_cbranch_execz .LBB101_11
; %bb.10:
	s_load_dwordx2 s[20:21], s[4:5], 0x0
	s_waitcnt lgkmcnt(0)
	s_ashr_i32 s3, s0, 31
	s_mul_hi_u32 s22, s9, s0
	s_mul_i32 s3, s9, s3
	s_add_i32 s23, s22, s3
	s_mul_i32 s22, s9, s0
	s_lshl_b64 s[22:23], s[22:23], 1
	v_add_lshl_u32 v8, v6, s27, 7
	s_add_u32 s0, s20, s22
	v_ashrrev_i32_e32 v9, 31, v8
	s_addc_u32 s3, s21, s23
	v_lshlrev_b64 v[8:9], 1, v[8:9]
	v_mov_b32_e32 v7, s3
	v_add_co_u32_e32 v8, vcc, s0, v8
	v_addc_co_u32_e32 v7, vcc, v7, v9, vcc
	buffer_load_dword v9, off, s[44:47], 0  ; 4-byte Folded Reload
	v_lshlrev_b32_e32 v12, 9, v85
	v_lshlrev_b32_e32 v6, 5, v6
	v_and_b32_e32 v12, 0x1800, v12
	s_waitcnt vmcnt(0)
	v_add_co_u32_e32 v8, vcc, v8, v9
	v_addc_co_u32_e32 v9, vcc, 0, v7, vcc
	global_load_dwordx4 v[8:11], v[8:9], off
	v_and_b32_e32 v7, 3, v0
	v_lshlrev_b32_e32 v7, 9, v7
	v_or3_b32 v6, v12, v7, v6
	s_waitcnt vmcnt(0)
	ds_write_b128 v6, v[8:11]
.LBB101_11:
	s_or_b64 exec, exec, s[14:15]
	s_waitcnt lgkmcnt(0)
	s_mul_i32 s2, s8, s2
	s_mov_b32 s3, 0
	s_lshl_b64 s[2:3], s[2:3], 1
	s_add_u32 s0, s12, s2
	v_lshlrev_b32_e32 v10, 4, v0
	s_addc_u32 s8, s13, s3
	v_and_b32_e32 v6, 0xf0, v10
	v_mov_b32_e32 v7, s8
	v_add_co_u32_e32 v8, vcc, s0, v6
	v_addc_co_u32_e32 v9, vcc, 0, v7, vcc
	s_waitcnt vmcnt(4)
	v_mad_i64_i32 v[6:7], s[8:9], v5, s1, 0
	v_lshlrev_b64 v[6:7], 1, v[6:7]
	v_add_co_u32_e32 v5, vcc, v8, v6
	v_addc_co_u32_e32 v7, vcc, v9, v7, vcc
	v_and_b32_e32 v10, 0x300, v10
	v_add_co_u32_e32 v6, vcc, v5, v10
	s_waitcnt vmcnt(3)
	v_mad_i64_i32 v[4:5], s[8:9], v4, s1, 0
	v_addc_co_u32_e32 v7, vcc, 0, v7, vcc
	v_lshlrev_b64 v[4:5], 1, v[4:5]
	v_add_co_u32_e32 v4, vcc, v8, v4
	v_addc_co_u32_e32 v5, vcc, v9, v5, vcc
	v_add_co_u32_e32 v4, vcc, v4, v10
	v_addc_co_u32_e32 v5, vcc, 0, v5, vcc
	s_barrier
	global_load_dwordx4 v[74:77], v[6:7], off
	global_load_dwordx4 v[66:69], v[6:7], off offset:1024
	global_load_dwordx4 v[58:61], v[6:7], off offset:2048
	;; [unrolled: 1-line block ×3, first 2 shown]
	global_load_dwordx4 v[78:81], v[4:5], off
	global_load_dwordx4 v[70:73], v[4:5], off offset:1024
	global_load_dwordx4 v[62:65], v[4:5], off offset:2048
	;; [unrolled: 1-line block ×3, first 2 shown]
	s_waitcnt vmcnt(10)
	v_mad_i64_i32 v[4:5], s[8:9], v3, s1, 0
	v_lshlrev_b64 v[4:5], 1, v[4:5]
	v_add_co_u32_e32 v3, vcc, v8, v4
	v_addc_co_u32_e32 v5, vcc, v9, v5, vcc
	v_add_co_u32_e32 v4, vcc, v3, v10
	s_waitcnt vmcnt(9)
	v_mad_i64_i32 v[2:3], s[8:9], v2, s1, 0
	v_addc_co_u32_e32 v5, vcc, 0, v5, vcc
	v_lshlrev_b64 v[2:3], 1, v[2:3]
	v_add_co_u32_e32 v2, vcc, v8, v2
	v_addc_co_u32_e32 v3, vcc, v9, v3, vcc
	v_add_co_u32_e32 v6, vcc, v2, v10
	v_addc_co_u32_e32 v7, vcc, 0, v3, vcc
	global_load_dwordx4 v[38:41], v[4:5], off
	global_load_dwordx4 v[34:37], v[4:5], off offset:1024
	global_load_dwordx4 v[30:33], v[4:5], off offset:2048
	;; [unrolled: 1-line block ×3, first 2 shown]
	global_load_dwordx4 v[18:21], v[6:7], off
	global_load_dwordx4 v[10:13], v[6:7], off offset:1024
	s_nop 0
	global_load_dwordx4 v[2:5], v[6:7], off offset:2048
	global_load_dwordx4 v[50:53], v[6:7], off offset:3072
	v_mul_lo_u16_e32 v6, 43, v85
	v_mov_b32_e32 v7, 6
	v_mul_lo_u16_sdwa v6, v6, v7 dst_sel:DWORD dst_unused:UNUSED_PAD src0_sel:BYTE_1 src1_sel:DWORD
	v_sub_u16_e32 v6, v85, v6
	v_mov_b32_e32 v7, 5
	v_lshlrev_b32_sdwa v6, v7, v6 dst_sel:DWORD dst_unused:UNUSED_PAD src0_sel:DWORD src1_sel:BYTE_0
	v_lshl_add_u32 v54, v1, 9, v6
	ds_read_b128 v[26:29], v54
	ds_read_b128 v[14:17], v54 offset:2048
	ds_read_b128 v[6:9], v54 offset:4096
	;; [unrolled: 1-line block ×3, first 2 shown]
	v_and_b32_e32 v88, 63, v0
	v_cmp_gt_u32_e32 vcc, 6, v85
	v_mov_b32_e32 v89, 0
	s_and_saveexec_b64 s[8:9], vcc
	s_cbranch_execz .LBB101_13
; %bb.12:
	s_load_dwordx2 s[12:13], s[4:5], 0x40
	v_add_u32_e32 v82, s27, v85
	v_ashrrev_i32_e32 v83, 31, v82
	v_lshlrev_b64 v[82:83], 2, v[82:83]
	s_waitcnt lgkmcnt(0)
	v_mov_b32_e32 v89, s13
	v_add_co_u32_e32 v82, vcc, s12, v82
	v_addc_co_u32_e32 v83, vcc, v89, v83, vcc
	global_load_dword v89, v[82:83], off
.LBB101_13:
	s_or_b64 exec, exec, s[8:9]
	s_waitcnt vmcnt(15) lgkmcnt(3)
	v_mfma_f32_16x16x16f16 v[90:93], v[74:75], v[26:27], 0
	s_add_u32 s8, s10, s2
	s_addc_u32 s9, s11, s3
	s_load_dword s0, s[4:5], 0x1c
	s_mov_b32 s40, 0xff7fffff
	v_mfma_f32_16x16x16f16 v[74:77], v[76:77], v[28:29], v[90:93]
	s_waitcnt vmcnt(14) lgkmcnt(0)
	v_mfma_f32_16x16x16f16 v[74:77], v[66:67], v[14:15], v[74:77]
	s_nop 4
	v_lshl_or_b32 v90, v87, 4, v85
	v_mfma_f32_16x16x16f16 v[66:69], v[68:69], v[16:17], v[74:77]
	s_waitcnt vmcnt(13)
	v_mfma_f32_16x16x16f16 v[66:69], v[58:59], v[6:7], v[66:69]
	s_nop 4
	v_lshlrev_b32_e32 v76, 5, v90
	v_mfma_f32_16x16x16f16 v[58:61], v[60:61], v[8:9], v[66:69]
	s_waitcnt vmcnt(12)
	v_mfma_f32_16x16x16f16 v[58:61], v[42:43], v[54:55], v[58:61]
	s_nop 4
	v_mov_b32_e32 v66, s18
	v_mfma_f32_16x16x16f16 v[58:61], v[44:45], v[56:57], v[58:61]
	s_waitcnt vmcnt(11)
	v_mfma_f32_16x16x16f16 v[42:45], v[78:79], v[26:27], 0
	s_nop 7
	s_nop 0
	v_pk_mul_f32 v[58:59], s[0:1], v[58:59] op_sel_hi:[0,1]
	v_mfma_f32_16x16x16f16 v[42:45], v[80:81], v[28:29], v[42:45]
	s_waitcnt vmcnt(10)
	v_mfma_f32_16x16x16f16 v[42:45], v[70:71], v[14:15], v[42:45]
	v_mfma_f32_16x16x16f16 v[42:45], v[72:73], v[16:17], v[42:45]
	s_waitcnt vmcnt(9)
	v_mfma_f32_16x16x16f16 v[42:45], v[62:63], v[6:7], v[42:45]
	;; [unrolled: 3-line block ×3, first 2 shown]
	v_mfma_f32_16x16x16f16 v[62:65], v[48:49], v[56:57], v[42:45]
	v_and_or_b32 v48, v0, 48, s16
	v_mov_b32_e32 v49, s19
	v_cmp_gt_i32_e32 vcc, s33, v48
	s_waitcnt vmcnt(7)
	v_mfma_f32_16x16x16f16 v[42:45], v[38:39], v[26:27], 0
	v_ashrrev_i32_e32 v38, 4, v48
	v_cndmask_b32_e32 v38, v49, v38, vcc
	v_ashrrev_i32_e32 v39, 31, v38
	v_lshlrev_b64 v[46:47], 2, v[38:39]
	v_mfma_f32_16x16x16f16 v[38:41], v[40:41], v[28:29], v[42:45]
	s_nop 6
	v_add_co_u32_e32 v42, vcc, s17, v46
	v_addc_co_u32_e32 v43, vcc, v66, v47, vcc
	global_load_dword v44, v[42:43], off
	v_or_b32_e32 v42, 64, v48
	v_ashrrev_i32_e32 v43, 4, v42
	v_cmp_gt_i32_e32 vcc, s33, v42
	v_cndmask_b32_e32 v42, v49, v43, vcc
	s_waitcnt vmcnt(7)
	v_mfma_f32_16x16x16f16 v[38:41], v[34:35], v[14:15], v[38:41]
	v_ashrrev_i32_e32 v43, 31, v42
	v_lshlrev_b64 v[34:35], 2, v[42:43]
	v_mov_b32_e32 v42, s18
	v_add_co_u32_e32 v34, vcc, s17, v34
	v_addc_co_u32_e32 v35, vcc, v42, v35, vcc
	global_load_dword v72, v[34:35], off
	v_mfma_f32_16x16x16f16 v[34:37], v[36:37], v[16:17], v[38:41]
	s_nop 6
	v_or_b32_e32 v38, 0x80, v48
	v_ashrrev_i32_e32 v39, 4, v38
	v_cmp_gt_i32_e32 vcc, s33, v38
	v_cndmask_b32_e32 v38, v49, v39, vcc
	v_ashrrev_i32_e32 v39, 31, v38
	v_lshlrev_b64 v[38:39], 2, v[38:39]
	v_mov_b32_e32 v40, s18
	s_waitcnt vmcnt(7)
	v_mfma_f32_16x16x16f16 v[34:37], v[30:31], v[6:7], v[34:37]
	v_add_co_u32_e32 v30, vcc, s17, v38
	v_addc_co_u32_e32 v31, vcc, v40, v39, vcc
	global_load_dword v74, v[30:31], off
	v_or_b32_e32 v30, 0xc0, v48
	v_ashrrev_i32_e32 v31, 4, v30
	v_cmp_gt_i32_e32 vcc, s33, v30
	v_cndmask_b32_e32 v38, v49, v31, vcc
	v_ashrrev_i32_e32 v39, 31, v38
	v_mfma_f32_16x16x16f16 v[30:33], v[32:33], v[8:9], v[34:37]
	s_nop 6
	v_lshlrev_b64 v[34:35], 2, v[38:39]
	v_mov_b32_e32 v36, s18
	v_add_co_u32_e32 v34, vcc, s17, v34
	v_addc_co_u32_e32 v35, vcc, v36, v35, vcc
	global_load_dword v75, v[34:35], off
	s_waitcnt vmcnt(8)
	v_mfma_f32_16x16x16f16 v[30:33], v[22:23], v[54:55], v[30:33]
	v_mov_b32_e32 v22, s9
	v_add_co_u32_e32 v77, vcc, s8, v76
	v_addc_co_u32_e32 v78, vcc, 0, v22, vcc
	s_waitcnt vmcnt(3)
	v_mad_i64_i32 v[22:23], s[2:3], v44, s1, 0
	v_mfma_f32_16x16x16f16 v[66:69], v[24:25], v[56:57], v[30:33]
	v_lshlrev_b64 v[70:71], 1, v[22:23]
	v_mfma_f32_16x16x16f16 v[22:25], v[18:19], v[26:27], 0
	v_add_co_u32_e32 v18, vcc, v77, v70
	v_addc_co_u32_e32 v19, vcc, v78, v71, vcc
	global_load_dwordx4 v[46:49], v[18:19], off
	global_load_dwordx4 v[42:45], v[18:19], off offset:16
	s_waitcnt vmcnt(4)
	v_mad_i64_i32 v[18:19], s[2:3], v72, s1, 0
	v_lshlrev_b64 v[72:73], 1, v[18:19]
	v_mfma_f32_16x16x16f16 v[18:21], v[20:21], v[28:29], v[22:25]
	v_mfma_f32_16x16x16f16 v[18:21], v[10:11], v[14:15], v[18:21]
	s_nop 5
	v_add_co_u32_e32 v22, vcc, v77, v72
	v_addc_co_u32_e32 v23, vcc, v78, v73, vcc
	global_load_dwordx4 v[38:41], v[22:23], off
	global_load_dwordx4 v[34:37], v[22:23], off offset:16
	s_waitcnt vmcnt(5)
	v_mad_i64_i32 v[22:23], s[2:3], v74, s1, 0
	v_lshlrev_b64 v[82:83], 1, v[22:23]
	v_add_co_u32_e32 v10, vcc, v77, v82
	v_addc_co_u32_e32 v11, vcc, v78, v83, vcc
	global_load_dwordx4 v[30:33], v[10:11], off
	global_load_dwordx4 v[26:29], v[10:11], off offset:16
	v_mfma_f32_16x16x16f16 v[10:13], v[12:13], v[16:17], v[18:21]
	s_waitcnt vmcnt(6)
	v_mad_i64_i32 v[14:15], s[2:3], v75, s1, 0
	v_mfma_f32_16x16x16f16 v[10:13], v[2:3], v[6:7], v[10:13]
	v_lshlrev_b64 v[80:81], 1, v[14:15]
	v_add_co_u32_e32 v14, vcc, v77, v80
	v_addc_co_u32_e32 v15, vcc, v78, v81, vcc
	v_or_b32_e32 v2, 0x800, v76
	v_mov_b32_e32 v3, s9
	v_mfma_f32_16x16x16f16 v[10:13], v[4:5], v[8:9], v[10:13]
	v_add_co_u32_e32 v91, vcc, s8, v2
	v_addc_co_u32_e32 v84, vcc, 0, v3, vcc
	v_add_co_u32_e32 v2, vcc, v91, v70
	v_addc_co_u32_e32 v3, vcc, v84, v71, vcc
	v_mfma_f32_16x16x16f16 v[92:95], v[50:51], v[54:55], v[10:13]
	v_add_co_u32_e32 v70, vcc, v91, v72
	v_addc_co_u32_e32 v71, vcc, v84, v73, vcc
	global_load_dwordx4 v[22:25], v[14:15], off
	global_load_dwordx4 v[18:21], v[14:15], off offset:16
	global_load_dwordx4 v[6:9], v[2:3], off
	s_nop 0
	global_load_dwordx4 v[2:5], v[2:3], off offset:16
	s_nop 0
	global_load_dwordx4 v[14:17], v[70:71], off
	global_load_dwordx4 v[10:13], v[70:71], off offset:16
	v_mfma_f32_16x16x16f16 v[50:53], v[52:53], v[56:57], v[92:95]
	v_pk_mul_f32 v[70:71], s[0:1], v[68:69] op_sel_hi:[0,1]
	v_pk_mul_f32 v[72:73], s[0:1], v[66:67] op_sel_hi:[0,1]
	;; [unrolled: 1-line block ×5, first 2 shown]
	s_nop 5
	v_pk_mul_f32 v[68:69], s[0:1], v[50:51] op_sel_hi:[0,1]
	v_and_b32_e32 v50, 0xc0, v0
	v_add_u32_e32 v50, s16, v50
	v_lshl_or_b32 v50, v1, 2, v50
	v_or_b32_e32 v51, 1, v50
	v_pk_mul_f32 v[66:67], s[0:1], v[52:53] op_sel_hi:[0,1]
	v_subrev_u32_e32 v52, s33, v51
	v_add_u32_e32 v54, 1, v52
	v_add_u32_e32 v55, 2, v52
	v_cvt_f32_i32_e32 v53, v52
	v_cvt_f32_i32_e32 v54, v54
	v_cvt_f32_i32_e32 v55, v55
	v_add_u32_e32 v56, 3, v52
	v_fma_f32 v58, v89, v53, v58
	v_fmac_f32_e32 v59, v89, v54
	v_fma_f32 v78, v89, v55, v78
	v_add_u32_e32 v53, 16, v52
	v_add_u32_e32 v54, 17, v52
	;; [unrolled: 1-line block ×3, first 2 shown]
	v_cvt_f32_i32_e32 v56, v56
	v_cvt_f32_i32_e32 v53, v53
	;; [unrolled: 1-line block ×4, first 2 shown]
	v_fmac_f32_e32 v79, v89, v56
	v_add_u32_e32 v56, 19, v52
	v_fma_f32 v76, v89, v53, v76
	v_fmac_f32_e32 v77, v89, v54
	v_fma_f32 v74, v89, v55, v74
	v_add_u32_e32 v53, 32, v52
	v_add_u32_e32 v54, 33, v52
	;; [unrolled: 1-line block ×3, first 2 shown]
	v_cvt_f32_i32_e32 v56, v56
	v_cvt_f32_i32_e32 v53, v53
	;; [unrolled: 1-line block ×4, first 2 shown]
	v_fmac_f32_e32 v75, v89, v56
	v_add_u32_e32 v56, 35, v52
	v_fma_f32 v72, v89, v53, v72
	v_fmac_f32_e32 v73, v89, v54
	v_fma_f32 v70, v89, v55, v70
	v_add_u32_e32 v53, 48, v52
	v_add_u32_e32 v54, 49, v52
	;; [unrolled: 1-line block ×4, first 2 shown]
	v_cvt_f32_i32_e32 v52, v52
	v_cvt_f32_i32_e32 v53, v53
	;; [unrolled: 1-line block ×3, first 2 shown]
	v_cmp_gt_i32_e64 s[28:29], s33, v50
	v_fmac_f32_e32 v67, v89, v52
	v_mov_b32_e32 v52, 0xff7fffff
	v_cmp_gt_i32_e64 s[30:31], s33, v51
	v_fma_f32 v68, v89, v53, v68
	v_cndmask_b32_e64 v53, v52, v58, s[28:29]
	v_cndmask_b32_e64 v51, v52, v59, s[30:31]
	v_fmac_f32_e32 v69, v89, v54
	v_max3_f32 v51, v53, s40, v51
	v_or_b32_e32 v53, 2, v50
	v_or_b32_e32 v54, 3, v50
	v_cmp_gt_i32_e64 s[34:35], s33, v53
	v_cmp_gt_i32_e64 s[36:37], s33, v54
	v_cndmask_b32_e64 v53, v52, v78, s[34:35]
	v_cndmask_b32_e64 v54, v52, v79, s[36:37]
	v_max3_f32 v51, v51, v53, v54
	v_or_b32_e32 v53, 16, v50
	v_or_b32_e32 v54, 17, v50
	v_cmp_gt_i32_e64 s[22:23], s33, v53
	v_cmp_gt_i32_e64 s[24:25], s33, v54
	v_cndmask_b32_e64 v53, v52, v76, s[22:23]
	v_cndmask_b32_e64 v54, v52, v77, s[24:25]
	;; [unrolled: 7-line block ×3, first 2 shown]
	v_cvt_f32_i32_e32 v56, v56
	v_max3_f32 v51, v51, v53, v54
	v_or_b32_e32 v53, 32, v50
	v_or_b32_e32 v54, 33, v50
	v_cmp_gt_i32_e64 s[14:15], s33, v53
	v_cmp_gt_i32_e64 s[16:17], s33, v54
	v_cndmask_b32_e64 v53, v52, v72, s[14:15]
	v_cndmask_b32_e64 v54, v52, v73, s[16:17]
	v_max3_f32 v51, v51, v53, v54
	v_or_b32_e32 v53, 34, v50
	v_or_b32_e32 v54, 35, v50
	v_fmac_f32_e32 v71, v89, v56
	v_cmp_gt_i32_e64 s[10:11], s33, v53
	v_cmp_gt_i32_e64 s[12:13], s33, v54
	v_cndmask_b32_e64 v53, v52, v70, s[10:11]
	v_cndmask_b32_e64 v54, v52, v71, s[12:13]
	v_cvt_f32_i32_e32 v55, v55
	v_max3_f32 v51, v51, v53, v54
	v_or_b32_e32 v53, 48, v50
	v_or_b32_e32 v54, 49, v50
	v_cmp_gt_i32_e64 s[2:3], s33, v53
	v_cmp_gt_i32_e64 s[8:9], s33, v54
	v_cndmask_b32_e64 v53, v52, v68, s[2:3]
	v_cndmask_b32_e64 v54, v52, v69, s[8:9]
	v_max3_f32 v51, v51, v53, v54
	v_or_b32_e32 v53, 50, v50
	v_or_b32_e32 v50, 51, v50
	v_fma_f32 v66, v89, v55, v66
	v_cmp_gt_i32_e32 vcc, s33, v53
	v_cmp_gt_i32_e64 s[0:1], s33, v50
	v_cndmask_b32_e32 v53, v52, v66, vcc
	v_cndmask_b32_e64 v50, v52, v67, s[0:1]
	v_max3_f32 v60, v51, v53, v50
	v_mbcnt_lo_u32_b32 v50, -1, 0
	v_mbcnt_hi_u32_b32 v61, -1, v50
	v_and_b32_e32 v50, 64, v61
	v_add_u32_e32 v62, 64, v50
	v_xor_b32_e32 v50, 32, v61
	v_cmp_lt_i32_e64 s[38:39], v50, v62
	v_cndmask_b32_e64 v50, v61, v50, s[38:39]
	v_lshlrev_b32_e32 v89, 2, v50
	ds_bpermute_b32 v63, v89, v60
	v_add_co_u32_e64 v50, s[38:39], v91, v82
	v_addc_co_u32_e64 v51, s[38:39], v84, v83, s[38:39]
	s_waitcnt lgkmcnt(0)
	v_max_f32_e32 v63, v63, v63
	v_max_f32_e32 v63, v60, v63
	v_xor_b32_e32 v60, 16, v61
	v_cmp_lt_i32_e64 s[38:39], v60, v62
	v_cndmask_b32_e64 v60, v61, v60, s[38:39]
	v_lshlrev_b32_e32 v92, 2, v60
	ds_bpermute_b32 v62, v92, v63
	v_add_co_u32_e64 v60, s[38:39], v91, v80
	v_addc_co_u32_e64 v61, s[38:39], v84, v81, s[38:39]
	s_waitcnt lgkmcnt(0)
	v_max_f32_e32 v62, v62, v62
	v_max_f32_e32 v82, v63, v62
	v_sub_f32_e32 v58, v58, v82
	v_mul_f32_e32 v58, 0x3fb8aa3b, v58
	v_exp_f32_e32 v80, v58
	v_sub_f32_e32 v58, v59, v82
	v_mul_f32_e32 v58, 0x3fb8aa3b, v58
	global_load_dwordx4 v[54:57], v[50:51], off
	s_nop 0
	global_load_dwordx4 v[50:53], v[50:51], off offset:16
	v_exp_f32_e32 v81, v58
	global_load_dwordx4 v[62:65], v[60:61], off
	s_nop 0
	global_load_dwordx4 v[58:61], v[60:61], off offset:16
	v_sub_f32_e32 v78, v78, v82
	v_mul_f32_e32 v78, 0x3fb8aa3b, v78
	v_sub_f32_e32 v79, v79, v82
	v_exp_f32_e32 v78, v78
	v_mul_f32_e32 v79, 0x3fb8aa3b, v79
	v_sub_f32_e32 v76, v76, v82
	v_exp_f32_e32 v79, v79
	v_mul_f32_e32 v76, 0x3fb8aa3b, v76
	v_sub_f32_e32 v77, v77, v82
	v_cndmask_b32_e64 v80, 0, v80, s[28:29]
	v_exp_f32_e32 v76, v76
	v_mul_f32_e32 v77, 0x3fb8aa3b, v77
	v_sub_f32_e32 v74, v74, v82
	v_add_f32_e32 v83, 0, v80
	v_cndmask_b32_e64 v81, 0, v81, s[30:31]
	v_exp_f32_e32 v77, v77
	v_mul_f32_e32 v74, 0x3fb8aa3b, v74
	v_sub_f32_e32 v75, v75, v82
	v_add_f32_e32 v83, v83, v81
	v_cndmask_b32_e64 v78, 0, v78, s[34:35]
	v_exp_f32_e32 v74, v74
	v_mul_f32_e32 v75, 0x3fb8aa3b, v75
	v_sub_f32_e32 v72, v72, v82
	v_add_f32_e32 v83, v83, v78
	v_cndmask_b32_e64 v79, 0, v79, s[36:37]
	v_exp_f32_e32 v75, v75
	v_mul_f32_e32 v72, 0x3fb8aa3b, v72
	v_sub_f32_e32 v73, v73, v82
	v_add_f32_e32 v83, v83, v79
	v_cndmask_b32_e64 v76, 0, v76, s[22:23]
	v_exp_f32_e32 v72, v72
	v_mul_f32_e32 v73, 0x3fb8aa3b, v73
	v_sub_f32_e32 v70, v70, v82
	v_add_f32_e32 v83, v83, v76
	v_cndmask_b32_e64 v77, 0, v77, s[24:25]
	v_exp_f32_e32 v73, v73
	v_mul_f32_e32 v70, 0x3fb8aa3b, v70
	v_sub_f32_e32 v71, v71, v82
	v_add_f32_e32 v83, v83, v77
	v_cndmask_b32_e64 v74, 0, v74, s[18:19]
	v_exp_f32_e32 v70, v70
	v_mul_f32_e32 v71, 0x3fb8aa3b, v71
	v_sub_f32_e32 v68, v68, v82
	v_add_f32_e32 v83, v83, v74
	v_cndmask_b32_e64 v75, 0, v75, s[20:21]
	v_exp_f32_e32 v71, v71
	v_mul_f32_e32 v68, 0x3fb8aa3b, v68
	v_sub_f32_e32 v69, v69, v82
	v_add_f32_e32 v83, v83, v75
	v_cndmask_b32_e64 v72, 0, v72, s[14:15]
	v_exp_f32_e32 v68, v68
	v_mul_f32_e32 v69, 0x3fb8aa3b, v69
	v_sub_f32_e32 v66, v66, v82
	v_add_f32_e32 v83, v83, v72
	v_cndmask_b32_e64 v73, 0, v73, s[16:17]
	v_exp_f32_e32 v69, v69
	v_mul_f32_e32 v66, 0x3fb8aa3b, v66
	v_sub_f32_e32 v67, v67, v82
	v_add_f32_e32 v83, v83, v73
	v_cndmask_b32_e64 v70, 0, v70, s[10:11]
	v_exp_f32_e32 v66, v66
	v_mul_f32_e32 v67, 0x3fb8aa3b, v67
	v_add_f32_e32 v83, v83, v70
	v_cndmask_b32_e64 v71, 0, v71, s[12:13]
	v_exp_f32_e32 v67, v67
	v_add_f32_e32 v83, v83, v71
	v_cndmask_b32_e64 v68, 0, v68, s[2:3]
	v_add_f32_e32 v83, v83, v68
	v_cndmask_b32_e64 v69, 0, v69, s[8:9]
	v_add_f32_e32 v83, v83, v69
	v_cndmask_b32_e32 v66, 0, v66, vcc
	v_add_f32_e32 v83, v83, v66
	v_cndmask_b32_e64 v67, 0, v67, s[0:1]
	v_add_f32_e32 v83, v83, v67
	ds_bpermute_b32 v84, v89, v83
	s_load_dword s3, s[4:5], 0x98
	v_cmp_gt_u32_e32 vcc, 16, v88
	s_waitcnt lgkmcnt(0)
	s_barrier
	v_add_f32_e32 v83, v83, v84
	ds_bpermute_b32 v89, v92, v83
	s_waitcnt lgkmcnt(0)
	s_and_saveexec_b64 s[0:1], vcc
	s_cbranch_execz .LBB101_15
; %bb.14:
	v_add_f32_e32 v83, v83, v89
	v_lshlrev_b32_e32 v84, 2, v90
	ds_write2st64_b32 v84, v82, v83 offset1:1
.LBB101_15:
	s_or_b64 exec, exec, s[0:1]
	v_lshlrev_b32_e32 v83, 2, v85
	s_load_dword s2, s[4:5], 0x94
	s_waitcnt lgkmcnt(0)
	s_barrier
	ds_read2_b32 v[88:89], v83 offset1:16
	ds_read2_b32 v[90:91], v83 offset0:32 offset1:48
	ds_read2_b32 v[92:93], v83 offset0:64 offset1:80
	s_mul_i32 s3, s3, 6
	s_waitcnt lgkmcnt(2)
	v_max3_f32 v82, v88, s40, v89
	s_waitcnt lgkmcnt(1)
	v_max3_f32 v82, v82, v90, v91
	v_sub_f32_e32 v84, v88, v82
	v_sub_f32_e32 v88, v89, v82
	v_mul_f32_e32 v88, 0x3fb8aa3b, v88
	v_mul_f32_e32 v84, 0x3fb8aa3b, v84
	v_exp_f32_e32 v94, v88
	v_sub_f32_e32 v88, v90, v82
	v_exp_f32_e32 v84, v84
	v_mul_f32_e32 v88, 0x3fb8aa3b, v88
	v_exp_f32_e32 v90, v88
	ds_read2_b32 v[88:89], v83 offset0:96 offset1:112
	v_sub_f32_e32 v83, v91, v82
	v_mul_f32_e32 v83, 0x3fb8aa3b, v83
	v_exp_f32_e32 v91, v83
	s_waitcnt lgkmcnt(1)
	v_fma_f32 v83, v84, v92, 0
	v_fmac_f32_e32 v83, v94, v93
	s_waitcnt lgkmcnt(0)
	v_fmac_f32_e32 v83, v90, v88
	v_fmac_f32_e32 v83, v91, v89
	v_add_f32_e32 v88, 0x358637bd, v83
	v_div_scale_f32 v89, s[0:1], v88, v88, 1.0
	v_rcp_f32_e32 v92, v89
	s_barrier
	v_fma_f32 v93, -v89, v92, 1.0
	v_fmac_f32_e32 v92, v93, v92
	v_div_scale_f32 v93, vcc, 1.0, v88, 1.0
	v_mul_f32_e32 v95, v93, v92
	v_fma_f32 v86, -v89, v95, v93
	v_fmac_f32_e32 v95, v86, v92
	v_fma_f32 v86, -v89, v95, v93
	v_div_fmas_f32 v86, v86, v92, v95
	v_cmp_eq_u32_e32 vcc, 1, v87
	v_cndmask_b32_e32 v84, v84, v94, vcc
	v_cmp_eq_u32_e32 vcc, 2, v87
	v_cndmask_b32_e32 v84, v84, v90, vcc
	v_cmp_eq_u32_e32 vcc, 3, v87
	v_div_fixup_f32 v86, v86, v88, 1.0
	v_cndmask_b32_e32 v84, v84, v91, vcc
	v_mul_f32_e32 v88, v84, v86
	v_pk_mul_f32 v[78:79], v[88:89], v[78:79] op_sel_hi:[0,1]
	v_pk_mul_f32 v[80:81], v[88:89], v[80:81] op_sel_hi:[0,1]
	v_cvt_f16_f32_e32 v80, v80
	v_cvt_f16_f32_e32 v81, v81
	;; [unrolled: 1-line block ×4, first 2 shown]
	v_pk_mul_f32 v[74:75], v[88:89], v[74:75] op_sel_hi:[0,1]
	v_pk_mul_f32 v[76:77], v[88:89], v[76:77] op_sel_hi:[0,1]
	v_cvt_f16_f32_e32 v76, v76
	v_cvt_f16_f32_e32 v77, v77
	;; [unrolled: 1-line block ×4, first 2 shown]
	v_pack_b32_f16 v80, v80, v81
	v_pack_b32_f16 v81, v78, v79
	v_lshlrev_b32_e32 v79, 3, v1
	v_lshlrev_b32_e32 v78, 5, v85
	;; [unrolled: 1-line block ×3, first 2 shown]
	v_or3_b32 v74, v74, v78, v79
	v_pack_b32_f16 v76, v76, v77
	v_pack_b32_f16 v77, v84, v75
	v_pk_mul_f32 v[70:71], v[88:89], v[70:71] op_sel_hi:[0,1]
	v_pk_mul_f32 v[72:73], v[88:89], v[72:73] op_sel_hi:[0,1]
	v_pk_mul_f32 v[66:67], v[88:89], v[66:67] op_sel_hi:[0,1]
	v_pk_mul_f32 v[68:69], v[88:89], v[68:69] op_sel_hi:[0,1]
	ds_write2st64_b64 v74, v[80:81], v[76:77] offset1:1
	v_cvt_f16_f32_e32 v72, v72
	v_cvt_f16_f32_e32 v73, v73
	;; [unrolled: 1-line block ×8, first 2 shown]
	v_pack_b32_f16 v66, v72, v73
	v_pack_b32_f16 v67, v70, v71
	;; [unrolled: 1-line block ×4, first 2 shown]
	v_cmp_gt_u32_e32 vcc, 6, v0
	ds_write2st64_b64 v74, v[66:67], v[68:69] offset0:2 offset1:3
	s_and_saveexec_b64 s[0:1], vcc
	s_cbranch_execz .LBB101_17
; %bb.16:
	v_add_co_u32_e32 v68, vcc, s27, v85
	v_addc_co_u32_e64 v69, s[12:13], 0, 0, vcc
	v_mov_b32_e32 v66, s3
	v_mov_b32_e32 v67, 0
	v_mad_u64_u32 v[68:69], s[12:13], s6, v66, v[68:69]
	v_mov_b32_e32 v66, s26
	s_load_dwordx4 s[8:11], s[4:5], 0x58
	s_mul_i32 s7, s7, s3
	v_mad_u64_u32 v[66:67], s[12:13], v68, s2, v[66:67]
	v_add_u32_e32 v69, s7, v69
	v_mov_b32_e32 v68, v67
	v_mad_u64_u32 v[68:69], s[12:13], v69, s2, v[68:69]
	v_mov_b32_e32 v67, v68
	v_lshlrev_b64 v[66:67], 2, v[66:67]
	s_waitcnt lgkmcnt(0)
	v_mov_b32_e32 v69, s11
	v_add_co_u32_e32 v68, vcc, s10, v66
	v_addc_co_u32_e32 v69, vcc, v69, v67, vcc
	global_store_dword v[68:69], v82, off
	v_mov_b32_e32 v68, s9
	v_add_co_u32_e32 v66, vcc, s8, v66
	v_addc_co_u32_e32 v67, vcc, v68, v67, vcc
	global_store_dword v[66:67], v83, off
.LBB101_17:
	s_or_b64 exec, exec, s[0:1]
	v_lshl_or_b32 v75, v1, 9, v78
	s_waitcnt lgkmcnt(0)
	s_barrier
	ds_read_b128 v[70:73], v75
	ds_read_b128 v[66:69], v75 offset:16
	s_waitcnt vmcnt(15) lgkmcnt(1)
	v_mfma_f32_16x16x16f16 v[76:79], v[46:47], v[70:71], 0
	s_mov_b32 s1, 0
	v_cmp_gt_u32_e32 vcc, 64, v0
	v_mfma_f32_16x16x16f16 v[46:49], v[48:49], v[72:73], v[76:79]
	s_waitcnt vmcnt(14) lgkmcnt(0)
	v_mfma_f32_16x16x16f16 v[46:49], v[42:43], v[66:67], v[46:49]
	v_mfma_f32_16x16x16f16 v[42:45], v[44:45], v[68:69], v[46:49]
	s_nop 7
	s_nop 1
	ds_read_b128 v[46:49], v75 offset:2048
	ds_read_b128 v[76:79], v75 offset:2064
	s_waitcnt vmcnt(13) lgkmcnt(1)
	v_mfma_f32_16x16x16f16 v[42:45], v[38:39], v[46:47], v[42:45]
	v_mfma_f32_16x16x16f16 v[38:41], v[40:41], v[48:49], v[42:45]
	s_waitcnt vmcnt(12) lgkmcnt(0)
	v_mfma_f32_16x16x16f16 v[38:41], v[34:35], v[76:77], v[38:41]
	v_mfma_f32_16x16x16f16 v[34:37], v[36:37], v[78:79], v[38:41]
	s_nop 7
	s_nop 1
	ds_read_b128 v[38:41], v75 offset:4096
	ds_read_b128 v[42:45], v75 offset:4112
	s_waitcnt vmcnt(11) lgkmcnt(1)
	v_mfma_f32_16x16x16f16 v[34:37], v[30:31], v[38:39], v[34:37]
	v_mfma_f32_16x16x16f16 v[30:33], v[32:33], v[40:41], v[34:37]
	s_waitcnt vmcnt(10) lgkmcnt(0)
	v_mfma_f32_16x16x16f16 v[30:33], v[26:27], v[42:43], v[30:33]
	v_mfma_f32_16x16x16f16 v[26:29], v[28:29], v[44:45], v[30:33]
	s_nop 7
	s_nop 1
	ds_read_b128 v[30:33], v75 offset:6144
	ds_read_b128 v[34:37], v75 offset:6160
	s_waitcnt lgkmcnt(0)
	s_barrier
	s_waitcnt vmcnt(9)
	v_mfma_f32_16x16x16f16 v[26:29], v[22:23], v[30:31], v[26:29]
	v_mfma_f32_16x16x16f16 v[22:25], v[24:25], v[32:33], v[26:29]
	s_waitcnt vmcnt(8)
	v_mfma_f32_16x16x16f16 v[22:25], v[18:19], v[34:35], v[22:25]
	v_mfma_f32_16x16x16f16 v[18:21], v[20:21], v[36:37], v[22:25]
	;; [unrolled: 3-line block ×4, first 2 shown]
	s_waitcnt vmcnt(5)
	v_mfma_f32_16x16x16f16 v[2:5], v[14:15], v[46:47], v[2:5]
	s_nop 7
	v_cvt_f16_f32_e32 v6, v18
	v_cvt_f16_f32_e32 v7, v19
	;; [unrolled: 1-line block ×4, first 2 shown]
	v_mfma_f32_16x16x16f16 v[2:5], v[16:17], v[48:49], v[2:5]
	s_waitcnt vmcnt(4)
	v_mfma_f32_16x16x16f16 v[2:5], v[10:11], v[76:77], v[2:5]
	v_mfma_f32_16x16x16f16 v[2:5], v[12:13], v[78:79], v[2:5]
	s_waitcnt vmcnt(3)
	v_mfma_f32_16x16x16f16 v[2:5], v[54:55], v[38:39], v[2:5]
	;; [unrolled: 3-line block ×5, first 2 shown]
	v_mfma_f32_16x16x16f16 v[2:5], v[60:61], v[36:37], v[2:5]
	s_nop 7
	s_nop 2
	v_cvt_f16_f32_e32 v10, v2
	v_cvt_f16_f32_e32 v11, v3
	;; [unrolled: 1-line block ×4, first 2 shown]
	v_pack_b32_f16 v2, v6, v7
	v_pack_b32_f16 v3, v8, v9
	;; [unrolled: 1-line block ×4, first 2 shown]
	ds_write2st64_b64 v74, v[2:3], v[4:5] offset1:1
	s_waitcnt lgkmcnt(0)
	s_barrier
	s_and_saveexec_b64 s[8:9], vcc
	s_cbranch_execz .LBB101_20
; %bb.18:
	v_lshlrev_b32_e32 v5, 6, v85
	v_lshlrev_b32_e32 v4, 4, v0
	v_lshl_or_b32 v0, v0, 10, v5
	v_lshlrev_b32_e32 v3, 5, v1
	v_and_b32_e32 v4, 16, v4
	v_and_b32_e32 v0, 0x1a00, v0
	v_or3_b32 v0, v0, v3, v4
	buffer_load_dword v3, off, s[44:47], 0  ; 4-byte Folded Reload
	s_load_dwordx2 s[4:5], s[4:5], 0x68
	s_lshl_b32 s2, s2, 7
	s_mul_i32 s0, s3, s6
	s_mul_hi_u32 s7, s0, s2
	s_mul_i32 s6, s0, s2
	s_lshl_b64 s[6:7], s[6:7], 1
	s_waitcnt lgkmcnt(0)
	s_add_u32 s3, s4, s6
	s_addc_u32 s4, s5, s7
	s_lshl_b32 s0, s26, 7
	s_lshl_b64 s[0:1], s[0:1], 1
	s_add_u32 s0, s3, s0
	v_or_b32_e32 v2, 4, v1
	s_addc_u32 s1, s4, s1
	v_add_u32_e32 v1, s27, v1
	v_mov_b32_e32 v4, s1
	ds_read_b128 v[6:9], v0
	s_waitcnt vmcnt(0)
	v_add_co_u32_e32 v3, vcc, s0, v3
	v_mad_u64_u32 v[10:11], s[0:1], v1, s2, 0
	v_addc_co_u32_e32 v4, vcc, 0, v4, vcc
	v_lshlrev_b64 v[10:11], 1, v[10:11]
	v_add_co_u32_e32 v10, vcc, v3, v10
	v_addc_co_u32_e32 v11, vcc, v4, v11, vcc
	v_cmp_gt_u32_e32 vcc, 6, v2
	s_waitcnt lgkmcnt(0)
	global_store_dwordx4 v[10:11], v[6:9], off
	s_and_b64 exec, exec, vcc
	s_cbranch_execz .LBB101_20
; %bb.19:
	ds_read_b128 v[6:9], v0 offset:128
	v_add_u32_e32 v0, s27, v2
	v_mad_u64_u32 v[0:1], s[0:1], v0, s2, 0
	v_lshlrev_b64 v[0:1], 1, v[0:1]
	v_add_co_u32_e32 v0, vcc, v3, v0
	v_addc_co_u32_e32 v1, vcc, v4, v1, vcc
	s_waitcnt lgkmcnt(0)
	global_store_dwordx4 v[0:1], v[6:9], off
.LBB101_20:
	s_endpgm
	.section	.rodata,"a",@progbits
	.p2align	6, 0x0
	.amdhsa_kernel _Z39paged_attention_ll4mi_QKV_mfma16_kernelIDF16_DF16_LN4vllm18Fp8KVCacheDataTypeE0EDF16_Li16ELi128ELi256ELb1ELi6EL8MFMAType0EEvPKT_PKT0_S8_ifPKiSA_SA_iPKfiiiPfSD_PS3_PT2_iSC_SC_
		.amdhsa_group_segment_fixed_size 8192
		.amdhsa_private_segment_fixed_size 8
		.amdhsa_kernarg_size 400
		.amdhsa_user_sgpr_count 6
		.amdhsa_user_sgpr_private_segment_buffer 1
		.amdhsa_user_sgpr_dispatch_ptr 0
		.amdhsa_user_sgpr_queue_ptr 0
		.amdhsa_user_sgpr_kernarg_segment_ptr 1
		.amdhsa_user_sgpr_dispatch_id 0
		.amdhsa_user_sgpr_flat_scratch_init 0
		.amdhsa_user_sgpr_kernarg_preload_length 0
		.amdhsa_user_sgpr_kernarg_preload_offset 0
		.amdhsa_user_sgpr_private_segment_size 0
		.amdhsa_uses_dynamic_stack 0
		.amdhsa_system_sgpr_private_segment_wavefront_offset 1
		.amdhsa_system_sgpr_workgroup_id_x 1
		.amdhsa_system_sgpr_workgroup_id_y 1
		.amdhsa_system_sgpr_workgroup_id_z 1
		.amdhsa_system_sgpr_workgroup_info 0
		.amdhsa_system_vgpr_workitem_id 0
		.amdhsa_next_free_vgpr 96
		.amdhsa_next_free_sgpr 48
		.amdhsa_accum_offset 96
		.amdhsa_reserve_vcc 1
		.amdhsa_reserve_flat_scratch 0
		.amdhsa_float_round_mode_32 0
		.amdhsa_float_round_mode_16_64 0
		.amdhsa_float_denorm_mode_32 3
		.amdhsa_float_denorm_mode_16_64 3
		.amdhsa_dx10_clamp 1
		.amdhsa_ieee_mode 1
		.amdhsa_fp16_overflow 0
		.amdhsa_tg_split 0
		.amdhsa_exception_fp_ieee_invalid_op 0
		.amdhsa_exception_fp_denorm_src 0
		.amdhsa_exception_fp_ieee_div_zero 0
		.amdhsa_exception_fp_ieee_overflow 0
		.amdhsa_exception_fp_ieee_underflow 0
		.amdhsa_exception_fp_ieee_inexact 0
		.amdhsa_exception_int_div_zero 0
	.end_amdhsa_kernel
	.section	.text._Z39paged_attention_ll4mi_QKV_mfma16_kernelIDF16_DF16_LN4vllm18Fp8KVCacheDataTypeE0EDF16_Li16ELi128ELi256ELb1ELi6EL8MFMAType0EEvPKT_PKT0_S8_ifPKiSA_SA_iPKfiiiPfSD_PS3_PT2_iSC_SC_,"axG",@progbits,_Z39paged_attention_ll4mi_QKV_mfma16_kernelIDF16_DF16_LN4vllm18Fp8KVCacheDataTypeE0EDF16_Li16ELi128ELi256ELb1ELi6EL8MFMAType0EEvPKT_PKT0_S8_ifPKiSA_SA_iPKfiiiPfSD_PS3_PT2_iSC_SC_,comdat
.Lfunc_end101:
	.size	_Z39paged_attention_ll4mi_QKV_mfma16_kernelIDF16_DF16_LN4vllm18Fp8KVCacheDataTypeE0EDF16_Li16ELi128ELi256ELb1ELi6EL8MFMAType0EEvPKT_PKT0_S8_ifPKiSA_SA_iPKfiiiPfSD_PS3_PT2_iSC_SC_, .Lfunc_end101-_Z39paged_attention_ll4mi_QKV_mfma16_kernelIDF16_DF16_LN4vllm18Fp8KVCacheDataTypeE0EDF16_Li16ELi128ELi256ELb1ELi6EL8MFMAType0EEvPKT_PKT0_S8_ifPKiSA_SA_iPKfiiiPfSD_PS3_PT2_iSC_SC_
                                        ; -- End function
	.section	.AMDGPU.csdata,"",@progbits
; Kernel info:
; codeLenInByte = 4904
; NumSgprs: 52
; NumVgprs: 96
; NumAgprs: 0
; TotalNumVgprs: 96
; ScratchSize: 8
; MemoryBound: 0
; FloatMode: 240
; IeeeMode: 1
; LDSByteSize: 8192 bytes/workgroup (compile time only)
; SGPRBlocks: 6
; VGPRBlocks: 11
; NumSGPRsForWavesPerEU: 52
; NumVGPRsForWavesPerEU: 96
; AccumOffset: 96
; Occupancy: 5
; WaveLimiterHint : 1
; COMPUTE_PGM_RSRC2:SCRATCH_EN: 1
; COMPUTE_PGM_RSRC2:USER_SGPR: 6
; COMPUTE_PGM_RSRC2:TRAP_HANDLER: 0
; COMPUTE_PGM_RSRC2:TGID_X_EN: 1
; COMPUTE_PGM_RSRC2:TGID_Y_EN: 1
; COMPUTE_PGM_RSRC2:TGID_Z_EN: 1
; COMPUTE_PGM_RSRC2:TIDIG_COMP_CNT: 0
; COMPUTE_PGM_RSRC3_GFX90A:ACCUM_OFFSET: 23
; COMPUTE_PGM_RSRC3_GFX90A:TG_SPLIT: 0
	.section	.text._Z39paged_attention_ll4mi_QKV_mfma16_kernelIDF16_DF16_LN4vllm18Fp8KVCacheDataTypeE0EDF16_Li16ELi128ELi256ELb1ELi7EL8MFMAType0EEvPKT_PKT0_S8_ifPKiSA_SA_iPKfiiiPfSD_PS3_PT2_iSC_SC_,"axG",@progbits,_Z39paged_attention_ll4mi_QKV_mfma16_kernelIDF16_DF16_LN4vllm18Fp8KVCacheDataTypeE0EDF16_Li16ELi128ELi256ELb1ELi7EL8MFMAType0EEvPKT_PKT0_S8_ifPKiSA_SA_iPKfiiiPfSD_PS3_PT2_iSC_SC_,comdat
	.protected	_Z39paged_attention_ll4mi_QKV_mfma16_kernelIDF16_DF16_LN4vllm18Fp8KVCacheDataTypeE0EDF16_Li16ELi128ELi256ELb1ELi7EL8MFMAType0EEvPKT_PKT0_S8_ifPKiSA_SA_iPKfiiiPfSD_PS3_PT2_iSC_SC_ ; -- Begin function _Z39paged_attention_ll4mi_QKV_mfma16_kernelIDF16_DF16_LN4vllm18Fp8KVCacheDataTypeE0EDF16_Li16ELi128ELi256ELb1ELi7EL8MFMAType0EEvPKT_PKT0_S8_ifPKiSA_SA_iPKfiiiPfSD_PS3_PT2_iSC_SC_
	.globl	_Z39paged_attention_ll4mi_QKV_mfma16_kernelIDF16_DF16_LN4vllm18Fp8KVCacheDataTypeE0EDF16_Li16ELi128ELi256ELb1ELi7EL8MFMAType0EEvPKT_PKT0_S8_ifPKiSA_SA_iPKfiiiPfSD_PS3_PT2_iSC_SC_
	.p2align	8
	.type	_Z39paged_attention_ll4mi_QKV_mfma16_kernelIDF16_DF16_LN4vllm18Fp8KVCacheDataTypeE0EDF16_Li16ELi128ELi256ELb1ELi7EL8MFMAType0EEvPKT_PKT0_S8_ifPKiSA_SA_iPKfiiiPfSD_PS3_PT2_iSC_SC_,@function
_Z39paged_attention_ll4mi_QKV_mfma16_kernelIDF16_DF16_LN4vllm18Fp8KVCacheDataTypeE0EDF16_Li16ELi128ELi256ELb1ELi7EL8MFMAType0EEvPKT_PKT0_S8_ifPKiSA_SA_iPKfiiiPfSD_PS3_PT2_iSC_SC_: ; @_Z39paged_attention_ll4mi_QKV_mfma16_kernelIDF16_DF16_LN4vllm18Fp8KVCacheDataTypeE0EDF16_Li16ELi128ELi256ELb1ELi7EL8MFMAType0EEvPKT_PKT0_S8_ifPKiSA_SA_iPKfiiiPfSD_PS3_PT2_iSC_SC_
; %bb.0:
	s_mov_b64 s[46:47], s[2:3]
	s_mov_b64 s[44:45], s[0:1]
	s_load_dwordx2 s[0:1], s[4:5], 0x30
	s_add_u32 s44, s44, s9
	s_addc_u32 s45, s45, 0
	s_mov_b32 s26, s7
	s_mov_b64 s[10:11], 0
	s_waitcnt lgkmcnt(0)
	s_cmp_lg_u64 s[0:1], 0
	s_cselect_b64 s[2:3], -1, 0
	s_and_b64 vcc, exec, s[2:3]
	s_cbranch_vccz .LBB102_7
; %bb.1:
	s_add_i32 s12, s6, 1
	s_mov_b32 s13, 0
	s_lshl_b64 s[14:15], s[12:13], 2
	s_add_u32 s14, s0, s14
	s_mov_b32 s7, s13
	s_addc_u32 s15, s1, s15
	s_lshl_b64 s[12:13], s[6:7], 2
	s_add_u32 s12, s0, s12
	s_addc_u32 s13, s1, s13
	s_load_dword s9, s[14:15], 0x0
	s_load_dword s16, s[12:13], 0x0
	s_waitcnt lgkmcnt(0)
	s_sub_i32 s9, s9, s16
	s_cmp_eq_u32 s9, 1
	s_cselect_b64 s[12:13], -1, 0
	s_andn2_b64 vcc, exec, s[10:11]
	s_cbranch_vccnz .LBB102_3
.LBB102_2:
	s_mov_b32 s7, 0
	s_mov_b64 s[12:13], -1
.LBB102_3:
	s_andn2_b64 vcc, exec, s[12:13]
	s_cbranch_vccnz .LBB102_20
; %bb.4:
	s_load_dwordx2 s[12:13], s[4:5], 0x28
	s_lshl_b64 s[10:11], s[6:7], 2
	s_waitcnt lgkmcnt(0)
	s_add_u32 s12, s12, s10
	s_addc_u32 s13, s13, s11
	s_load_dword s33, s[12:13], 0x0
	s_lshl_b32 s16, s26, 8
	s_waitcnt lgkmcnt(0)
	s_cmp_ge_i32 s16, s33
	s_cbranch_scc1 .LBB102_20
; %bb.5:
	s_add_i32 s14, s33, 15
	s_load_dwordx2 s[12:13], s[4:5], 0x20
	s_load_dword s9, s[4:5], 0x38
	s_ashr_i32 s15, s14, 31
	v_and_b32_e32 v1, 0xcf, v0
	s_lshr_b32 s15, s15, 28
	v_add_u32_e32 v1, s16, v1
	s_add_i32 s14, s14, s15
	v_ashrrev_i32_e32 v2, 31, v1
	s_ashr_i32 s19, s14, 4
	v_lshrrev_b32_e32 v4, 28, v2
	s_add_i32 s19, s19, -1
	v_add_u32_e32 v2, v1, v4
	s_waitcnt lgkmcnt(0)
	s_mul_i32 s14, s6, s9
	s_mov_b32 s15, 0
	v_ashrrev_i32_e32 v2, 4, v2
	v_mov_b32_e32 v5, s19
	v_cmp_gt_i32_e32 vcc, s33, v1
	s_lshl_b64 s[14:15], s[14:15], 2
	v_cndmask_b32_e32 v2, v5, v2, vcc
	s_add_u32 s17, s12, s14
	v_ashrrev_i32_e32 v3, 31, v2
	s_addc_u32 s18, s13, s15
	v_lshlrev_b64 v[2:3], 2, v[2:3]
	v_mov_b32_e32 v7, s18
	v_add_co_u32_e32 v6, vcc, s17, v2
	v_or_b32_e32 v2, 16, v1
	v_addc_co_u32_e32 v7, vcc, v7, v3, vcc
	v_add_u32_e32 v3, v2, v4
	v_ashrrev_i32_e32 v3, 4, v3
	v_cmp_gt_i32_e32 vcc, s33, v2
	v_cndmask_b32_e32 v2, v5, v3, vcc
	v_ashrrev_i32_e32 v3, 31, v2
	v_lshlrev_b64 v[2:3], 2, v[2:3]
	v_mov_b32_e32 v9, s18
	v_add_co_u32_e32 v8, vcc, s17, v2
	v_or_b32_e32 v2, 32, v1
	v_addc_co_u32_e32 v9, vcc, v9, v3, vcc
	v_add_u32_e32 v3, v2, v4
	v_ashrrev_i32_e32 v3, 4, v3
	v_cmp_gt_i32_e32 vcc, s33, v2
	v_cndmask_b32_e32 v2, v5, v3, vcc
	v_ashrrev_i32_e32 v3, 31, v2
	;; [unrolled: 10-line block ×3, first 2 shown]
	v_lshlrev_b64 v[2:3], 2, v[2:3]
	v_mov_b32_e32 v1, s18
	v_add_co_u32_e32 v12, vcc, s17, v2
	v_addc_co_u32_e32 v13, vcc, v1, v3, vcc
	global_load_dword v5, v[6:7], off
	global_load_dword v4, v[8:9], off
	;; [unrolled: 1-line block ×4, first 2 shown]
	s_load_dwordx2 s[12:13], s[4:5], 0x8
	s_andn2_b64 vcc, exec, s[2:3]
	s_cbranch_vccnz .LBB102_8
; %bb.6:
	s_add_u32 s0, s0, s10
	s_addc_u32 s1, s1, s11
	s_load_dword s9, s[0:1], 0x0
	s_branch .LBB102_9
.LBB102_7:
	s_mov_b64 s[12:13], 0
	s_branch .LBB102_2
.LBB102_8:
	s_mov_b32 s9, s6
.LBB102_9:
	s_load_dwordx2 s[10:11], s[4:5], 0x10
	s_load_dwordx4 s[0:3], s[4:5], 0x48
	v_lshrrev_b32_e32 v87, 6, v0
	v_bfe_u32 v1, v0, 4, 2
	v_and_b32_e32 v85, 15, v0
	v_lshl_or_b32 v6, v87, 2, v1
	v_lshlrev_b32_e32 v7, 3, v85
	s_mul_i32 s27, s8, 7
	v_cmp_gt_u32_e32 vcc, 7, v6
	v_lshlrev_b32_e32 v7, 1, v7
	buffer_store_dword v7, off, s[44:47], 0 ; 4-byte Folded Spill
	s_and_saveexec_b64 s[14:15], vcc
	s_cbranch_execz .LBB102_11
; %bb.10:
	s_load_dwordx2 s[20:21], s[4:5], 0x0
	s_waitcnt lgkmcnt(0)
	s_ashr_i32 s3, s0, 31
	s_mul_hi_u32 s22, s9, s0
	s_mul_i32 s3, s9, s3
	s_add_i32 s23, s22, s3
	s_mul_i32 s22, s9, s0
	s_lshl_b64 s[22:23], s[22:23], 1
	v_add_lshl_u32 v8, v6, s27, 7
	s_add_u32 s0, s20, s22
	v_ashrrev_i32_e32 v9, 31, v8
	s_addc_u32 s3, s21, s23
	v_lshlrev_b64 v[8:9], 1, v[8:9]
	v_mov_b32_e32 v7, s3
	v_add_co_u32_e32 v8, vcc, s0, v8
	v_addc_co_u32_e32 v7, vcc, v7, v9, vcc
	buffer_load_dword v9, off, s[44:47], 0  ; 4-byte Folded Reload
	v_lshlrev_b32_e32 v12, 9, v85
	v_lshlrev_b32_e32 v6, 5, v6
	v_and_b32_e32 v12, 0x1800, v12
	s_waitcnt vmcnt(0)
	v_add_co_u32_e32 v8, vcc, v8, v9
	v_addc_co_u32_e32 v9, vcc, 0, v7, vcc
	global_load_dwordx4 v[8:11], v[8:9], off
	v_and_b32_e32 v7, 3, v0
	v_lshlrev_b32_e32 v7, 9, v7
	v_or3_b32 v6, v12, v7, v6
	s_waitcnt vmcnt(0)
	ds_write_b128 v6, v[8:11]
.LBB102_11:
	s_or_b64 exec, exec, s[14:15]
	s_waitcnt lgkmcnt(0)
	s_mul_i32 s2, s8, s2
	s_mov_b32 s3, 0
	s_lshl_b64 s[2:3], s[2:3], 1
	s_add_u32 s0, s12, s2
	v_lshlrev_b32_e32 v10, 4, v0
	s_addc_u32 s8, s13, s3
	v_and_b32_e32 v6, 0xf0, v10
	v_mov_b32_e32 v7, s8
	v_add_co_u32_e32 v8, vcc, s0, v6
	v_addc_co_u32_e32 v9, vcc, 0, v7, vcc
	s_waitcnt vmcnt(4)
	v_mad_i64_i32 v[6:7], s[8:9], v5, s1, 0
	v_lshlrev_b64 v[6:7], 1, v[6:7]
	v_add_co_u32_e32 v5, vcc, v8, v6
	v_addc_co_u32_e32 v7, vcc, v9, v7, vcc
	v_and_b32_e32 v10, 0x300, v10
	v_add_co_u32_e32 v6, vcc, v5, v10
	s_waitcnt vmcnt(3)
	v_mad_i64_i32 v[4:5], s[8:9], v4, s1, 0
	v_addc_co_u32_e32 v7, vcc, 0, v7, vcc
	v_lshlrev_b64 v[4:5], 1, v[4:5]
	v_add_co_u32_e32 v4, vcc, v8, v4
	v_addc_co_u32_e32 v5, vcc, v9, v5, vcc
	v_add_co_u32_e32 v4, vcc, v4, v10
	v_addc_co_u32_e32 v5, vcc, 0, v5, vcc
	s_barrier
	global_load_dwordx4 v[74:77], v[6:7], off
	global_load_dwordx4 v[66:69], v[6:7], off offset:1024
	global_load_dwordx4 v[58:61], v[6:7], off offset:2048
	global_load_dwordx4 v[42:45], v[6:7], off offset:3072
	global_load_dwordx4 v[78:81], v[4:5], off
	global_load_dwordx4 v[70:73], v[4:5], off offset:1024
	global_load_dwordx4 v[62:65], v[4:5], off offset:2048
	;; [unrolled: 1-line block ×3, first 2 shown]
	s_waitcnt vmcnt(10)
	v_mad_i64_i32 v[4:5], s[8:9], v3, s1, 0
	v_lshlrev_b64 v[4:5], 1, v[4:5]
	v_add_co_u32_e32 v3, vcc, v8, v4
	v_addc_co_u32_e32 v5, vcc, v9, v5, vcc
	v_add_co_u32_e32 v4, vcc, v3, v10
	s_waitcnt vmcnt(9)
	v_mad_i64_i32 v[2:3], s[8:9], v2, s1, 0
	v_addc_co_u32_e32 v5, vcc, 0, v5, vcc
	v_lshlrev_b64 v[2:3], 1, v[2:3]
	v_add_co_u32_e32 v2, vcc, v8, v2
	v_addc_co_u32_e32 v3, vcc, v9, v3, vcc
	v_add_co_u32_e32 v6, vcc, v2, v10
	v_addc_co_u32_e32 v7, vcc, 0, v3, vcc
	global_load_dwordx4 v[38:41], v[4:5], off
	global_load_dwordx4 v[34:37], v[4:5], off offset:1024
	global_load_dwordx4 v[30:33], v[4:5], off offset:2048
	;; [unrolled: 1-line block ×3, first 2 shown]
	global_load_dwordx4 v[18:21], v[6:7], off
	global_load_dwordx4 v[10:13], v[6:7], off offset:1024
	s_nop 0
	global_load_dwordx4 v[2:5], v[6:7], off offset:2048
	global_load_dwordx4 v[50:53], v[6:7], off offset:3072
	v_mul_lo_u16_e32 v6, 37, v85
	v_mov_b32_e32 v7, 7
	v_mul_lo_u16_sdwa v6, v6, v7 dst_sel:DWORD dst_unused:UNUSED_PAD src0_sel:BYTE_1 src1_sel:DWORD
	v_sub_u16_e32 v6, v85, v6
	v_mov_b32_e32 v7, 5
	v_lshlrev_b32_sdwa v6, v7, v6 dst_sel:DWORD dst_unused:UNUSED_PAD src0_sel:DWORD src1_sel:BYTE_0
	v_lshl_add_u32 v54, v1, 9, v6
	ds_read_b128 v[26:29], v54
	ds_read_b128 v[14:17], v54 offset:2048
	ds_read_b128 v[6:9], v54 offset:4096
	;; [unrolled: 1-line block ×3, first 2 shown]
	v_and_b32_e32 v88, 63, v0
	v_cmp_gt_u32_e32 vcc, 7, v85
	v_mov_b32_e32 v89, 0
	s_and_saveexec_b64 s[8:9], vcc
	s_cbranch_execz .LBB102_13
; %bb.12:
	s_load_dwordx2 s[12:13], s[4:5], 0x40
	v_add_u32_e32 v82, s27, v85
	v_ashrrev_i32_e32 v83, 31, v82
	v_lshlrev_b64 v[82:83], 2, v[82:83]
	s_waitcnt lgkmcnt(0)
	v_mov_b32_e32 v89, s13
	v_add_co_u32_e32 v82, vcc, s12, v82
	v_addc_co_u32_e32 v83, vcc, v89, v83, vcc
	global_load_dword v89, v[82:83], off
.LBB102_13:
	s_or_b64 exec, exec, s[8:9]
	s_waitcnt vmcnt(15) lgkmcnt(3)
	v_mfma_f32_16x16x16f16 v[90:93], v[74:75], v[26:27], 0
	s_add_u32 s8, s10, s2
	s_addc_u32 s9, s11, s3
	s_load_dword s0, s[4:5], 0x1c
	s_mov_b32 s40, 0xff7fffff
	v_mfma_f32_16x16x16f16 v[74:77], v[76:77], v[28:29], v[90:93]
	s_waitcnt vmcnt(14) lgkmcnt(0)
	v_mfma_f32_16x16x16f16 v[74:77], v[66:67], v[14:15], v[74:77]
	s_nop 4
	v_lshl_or_b32 v90, v87, 4, v85
	v_mfma_f32_16x16x16f16 v[66:69], v[68:69], v[16:17], v[74:77]
	s_waitcnt vmcnt(13)
	v_mfma_f32_16x16x16f16 v[66:69], v[58:59], v[6:7], v[66:69]
	s_nop 4
	v_lshlrev_b32_e32 v76, 5, v90
	v_mfma_f32_16x16x16f16 v[58:61], v[60:61], v[8:9], v[66:69]
	s_waitcnt vmcnt(12)
	v_mfma_f32_16x16x16f16 v[58:61], v[42:43], v[54:55], v[58:61]
	s_nop 4
	v_mov_b32_e32 v66, s18
	v_mfma_f32_16x16x16f16 v[58:61], v[44:45], v[56:57], v[58:61]
	s_waitcnt vmcnt(11)
	v_mfma_f32_16x16x16f16 v[42:45], v[78:79], v[26:27], 0
	s_nop 7
	s_nop 0
	v_pk_mul_f32 v[58:59], s[0:1], v[58:59] op_sel_hi:[0,1]
	v_mfma_f32_16x16x16f16 v[42:45], v[80:81], v[28:29], v[42:45]
	s_waitcnt vmcnt(10)
	v_mfma_f32_16x16x16f16 v[42:45], v[70:71], v[14:15], v[42:45]
	v_mfma_f32_16x16x16f16 v[42:45], v[72:73], v[16:17], v[42:45]
	s_waitcnt vmcnt(9)
	v_mfma_f32_16x16x16f16 v[42:45], v[62:63], v[6:7], v[42:45]
	;; [unrolled: 3-line block ×3, first 2 shown]
	v_mfma_f32_16x16x16f16 v[62:65], v[48:49], v[56:57], v[42:45]
	v_and_or_b32 v48, v0, 48, s16
	v_mov_b32_e32 v49, s19
	v_cmp_gt_i32_e32 vcc, s33, v48
	s_waitcnt vmcnt(7)
	v_mfma_f32_16x16x16f16 v[42:45], v[38:39], v[26:27], 0
	v_ashrrev_i32_e32 v38, 4, v48
	v_cndmask_b32_e32 v38, v49, v38, vcc
	v_ashrrev_i32_e32 v39, 31, v38
	v_lshlrev_b64 v[46:47], 2, v[38:39]
	v_mfma_f32_16x16x16f16 v[38:41], v[40:41], v[28:29], v[42:45]
	s_nop 6
	v_add_co_u32_e32 v42, vcc, s17, v46
	v_addc_co_u32_e32 v43, vcc, v66, v47, vcc
	global_load_dword v44, v[42:43], off
	v_or_b32_e32 v42, 64, v48
	v_ashrrev_i32_e32 v43, 4, v42
	v_cmp_gt_i32_e32 vcc, s33, v42
	v_cndmask_b32_e32 v42, v49, v43, vcc
	s_waitcnt vmcnt(7)
	v_mfma_f32_16x16x16f16 v[38:41], v[34:35], v[14:15], v[38:41]
	v_ashrrev_i32_e32 v43, 31, v42
	v_lshlrev_b64 v[34:35], 2, v[42:43]
	v_mov_b32_e32 v42, s18
	v_add_co_u32_e32 v34, vcc, s17, v34
	v_addc_co_u32_e32 v35, vcc, v42, v35, vcc
	global_load_dword v72, v[34:35], off
	v_mfma_f32_16x16x16f16 v[34:37], v[36:37], v[16:17], v[38:41]
	s_nop 6
	v_or_b32_e32 v38, 0x80, v48
	v_ashrrev_i32_e32 v39, 4, v38
	v_cmp_gt_i32_e32 vcc, s33, v38
	v_cndmask_b32_e32 v38, v49, v39, vcc
	v_ashrrev_i32_e32 v39, 31, v38
	v_lshlrev_b64 v[38:39], 2, v[38:39]
	v_mov_b32_e32 v40, s18
	s_waitcnt vmcnt(7)
	v_mfma_f32_16x16x16f16 v[34:37], v[30:31], v[6:7], v[34:37]
	v_add_co_u32_e32 v30, vcc, s17, v38
	v_addc_co_u32_e32 v31, vcc, v40, v39, vcc
	global_load_dword v74, v[30:31], off
	v_or_b32_e32 v30, 0xc0, v48
	v_ashrrev_i32_e32 v31, 4, v30
	v_cmp_gt_i32_e32 vcc, s33, v30
	v_cndmask_b32_e32 v38, v49, v31, vcc
	v_ashrrev_i32_e32 v39, 31, v38
	v_mfma_f32_16x16x16f16 v[30:33], v[32:33], v[8:9], v[34:37]
	s_nop 6
	v_lshlrev_b64 v[34:35], 2, v[38:39]
	v_mov_b32_e32 v36, s18
	v_add_co_u32_e32 v34, vcc, s17, v34
	v_addc_co_u32_e32 v35, vcc, v36, v35, vcc
	global_load_dword v75, v[34:35], off
	s_waitcnt vmcnt(8)
	v_mfma_f32_16x16x16f16 v[30:33], v[22:23], v[54:55], v[30:33]
	v_mov_b32_e32 v22, s9
	v_add_co_u32_e32 v77, vcc, s8, v76
	v_addc_co_u32_e32 v78, vcc, 0, v22, vcc
	s_waitcnt vmcnt(3)
	v_mad_i64_i32 v[22:23], s[2:3], v44, s1, 0
	v_mfma_f32_16x16x16f16 v[66:69], v[24:25], v[56:57], v[30:33]
	v_lshlrev_b64 v[70:71], 1, v[22:23]
	v_mfma_f32_16x16x16f16 v[22:25], v[18:19], v[26:27], 0
	v_add_co_u32_e32 v18, vcc, v77, v70
	v_addc_co_u32_e32 v19, vcc, v78, v71, vcc
	global_load_dwordx4 v[46:49], v[18:19], off
	global_load_dwordx4 v[42:45], v[18:19], off offset:16
	s_waitcnt vmcnt(4)
	v_mad_i64_i32 v[18:19], s[2:3], v72, s1, 0
	v_lshlrev_b64 v[72:73], 1, v[18:19]
	v_mfma_f32_16x16x16f16 v[18:21], v[20:21], v[28:29], v[22:25]
	v_mfma_f32_16x16x16f16 v[18:21], v[10:11], v[14:15], v[18:21]
	s_nop 5
	v_add_co_u32_e32 v22, vcc, v77, v72
	v_addc_co_u32_e32 v23, vcc, v78, v73, vcc
	global_load_dwordx4 v[38:41], v[22:23], off
	global_load_dwordx4 v[34:37], v[22:23], off offset:16
	s_waitcnt vmcnt(5)
	v_mad_i64_i32 v[22:23], s[2:3], v74, s1, 0
	v_lshlrev_b64 v[82:83], 1, v[22:23]
	v_add_co_u32_e32 v10, vcc, v77, v82
	v_addc_co_u32_e32 v11, vcc, v78, v83, vcc
	global_load_dwordx4 v[30:33], v[10:11], off
	global_load_dwordx4 v[26:29], v[10:11], off offset:16
	v_mfma_f32_16x16x16f16 v[10:13], v[12:13], v[16:17], v[18:21]
	s_waitcnt vmcnt(6)
	v_mad_i64_i32 v[14:15], s[2:3], v75, s1, 0
	v_mfma_f32_16x16x16f16 v[10:13], v[2:3], v[6:7], v[10:13]
	v_lshlrev_b64 v[80:81], 1, v[14:15]
	v_add_co_u32_e32 v14, vcc, v77, v80
	v_addc_co_u32_e32 v15, vcc, v78, v81, vcc
	v_or_b32_e32 v2, 0x800, v76
	v_mov_b32_e32 v3, s9
	v_mfma_f32_16x16x16f16 v[10:13], v[4:5], v[8:9], v[10:13]
	v_add_co_u32_e32 v91, vcc, s8, v2
	v_addc_co_u32_e32 v84, vcc, 0, v3, vcc
	v_add_co_u32_e32 v2, vcc, v91, v70
	v_addc_co_u32_e32 v3, vcc, v84, v71, vcc
	v_mfma_f32_16x16x16f16 v[92:95], v[50:51], v[54:55], v[10:13]
	v_add_co_u32_e32 v70, vcc, v91, v72
	v_addc_co_u32_e32 v71, vcc, v84, v73, vcc
	global_load_dwordx4 v[22:25], v[14:15], off
	global_load_dwordx4 v[18:21], v[14:15], off offset:16
	global_load_dwordx4 v[6:9], v[2:3], off
	s_nop 0
	global_load_dwordx4 v[2:5], v[2:3], off offset:16
	s_nop 0
	global_load_dwordx4 v[14:17], v[70:71], off
	global_load_dwordx4 v[10:13], v[70:71], off offset:16
	v_mfma_f32_16x16x16f16 v[50:53], v[52:53], v[56:57], v[92:95]
	v_pk_mul_f32 v[70:71], s[0:1], v[68:69] op_sel_hi:[0,1]
	v_pk_mul_f32 v[72:73], s[0:1], v[66:67] op_sel_hi:[0,1]
	;; [unrolled: 1-line block ×5, first 2 shown]
	s_nop 5
	v_pk_mul_f32 v[68:69], s[0:1], v[50:51] op_sel_hi:[0,1]
	v_and_b32_e32 v50, 0xc0, v0
	v_add_u32_e32 v50, s16, v50
	v_lshl_or_b32 v50, v1, 2, v50
	v_or_b32_e32 v51, 1, v50
	v_pk_mul_f32 v[66:67], s[0:1], v[52:53] op_sel_hi:[0,1]
	v_subrev_u32_e32 v52, s33, v51
	v_add_u32_e32 v54, 1, v52
	v_add_u32_e32 v55, 2, v52
	v_cvt_f32_i32_e32 v53, v52
	v_cvt_f32_i32_e32 v54, v54
	v_cvt_f32_i32_e32 v55, v55
	v_add_u32_e32 v56, 3, v52
	v_fma_f32 v58, v89, v53, v58
	v_fmac_f32_e32 v59, v89, v54
	v_fma_f32 v78, v89, v55, v78
	v_add_u32_e32 v53, 16, v52
	v_add_u32_e32 v54, 17, v52
	;; [unrolled: 1-line block ×3, first 2 shown]
	v_cvt_f32_i32_e32 v56, v56
	v_cvt_f32_i32_e32 v53, v53
	;; [unrolled: 1-line block ×4, first 2 shown]
	v_fmac_f32_e32 v79, v89, v56
	v_add_u32_e32 v56, 19, v52
	v_fma_f32 v76, v89, v53, v76
	v_fmac_f32_e32 v77, v89, v54
	v_fma_f32 v74, v89, v55, v74
	v_add_u32_e32 v53, 32, v52
	v_add_u32_e32 v54, 33, v52
	;; [unrolled: 1-line block ×3, first 2 shown]
	v_cvt_f32_i32_e32 v56, v56
	v_cvt_f32_i32_e32 v53, v53
	;; [unrolled: 1-line block ×4, first 2 shown]
	v_fmac_f32_e32 v75, v89, v56
	v_add_u32_e32 v56, 35, v52
	v_fma_f32 v72, v89, v53, v72
	v_fmac_f32_e32 v73, v89, v54
	v_fma_f32 v70, v89, v55, v70
	v_add_u32_e32 v53, 48, v52
	v_add_u32_e32 v54, 49, v52
	;; [unrolled: 1-line block ×4, first 2 shown]
	v_cvt_f32_i32_e32 v52, v52
	v_cvt_f32_i32_e32 v53, v53
	;; [unrolled: 1-line block ×3, first 2 shown]
	v_cmp_gt_i32_e64 s[28:29], s33, v50
	v_fmac_f32_e32 v67, v89, v52
	v_mov_b32_e32 v52, 0xff7fffff
	v_cmp_gt_i32_e64 s[30:31], s33, v51
	v_fma_f32 v68, v89, v53, v68
	v_cndmask_b32_e64 v53, v52, v58, s[28:29]
	v_cndmask_b32_e64 v51, v52, v59, s[30:31]
	v_fmac_f32_e32 v69, v89, v54
	v_max3_f32 v51, v53, s40, v51
	v_or_b32_e32 v53, 2, v50
	v_or_b32_e32 v54, 3, v50
	v_cmp_gt_i32_e64 s[34:35], s33, v53
	v_cmp_gt_i32_e64 s[36:37], s33, v54
	v_cndmask_b32_e64 v53, v52, v78, s[34:35]
	v_cndmask_b32_e64 v54, v52, v79, s[36:37]
	v_max3_f32 v51, v51, v53, v54
	v_or_b32_e32 v53, 16, v50
	v_or_b32_e32 v54, 17, v50
	v_cmp_gt_i32_e64 s[22:23], s33, v53
	v_cmp_gt_i32_e64 s[24:25], s33, v54
	v_cndmask_b32_e64 v53, v52, v76, s[22:23]
	v_cndmask_b32_e64 v54, v52, v77, s[24:25]
	;; [unrolled: 7-line block ×3, first 2 shown]
	v_cvt_f32_i32_e32 v56, v56
	v_max3_f32 v51, v51, v53, v54
	v_or_b32_e32 v53, 32, v50
	v_or_b32_e32 v54, 33, v50
	v_cmp_gt_i32_e64 s[14:15], s33, v53
	v_cmp_gt_i32_e64 s[16:17], s33, v54
	v_cndmask_b32_e64 v53, v52, v72, s[14:15]
	v_cndmask_b32_e64 v54, v52, v73, s[16:17]
	v_max3_f32 v51, v51, v53, v54
	v_or_b32_e32 v53, 34, v50
	v_or_b32_e32 v54, 35, v50
	v_fmac_f32_e32 v71, v89, v56
	v_cmp_gt_i32_e64 s[10:11], s33, v53
	v_cmp_gt_i32_e64 s[12:13], s33, v54
	v_cndmask_b32_e64 v53, v52, v70, s[10:11]
	v_cndmask_b32_e64 v54, v52, v71, s[12:13]
	v_cvt_f32_i32_e32 v55, v55
	v_max3_f32 v51, v51, v53, v54
	v_or_b32_e32 v53, 48, v50
	v_or_b32_e32 v54, 49, v50
	v_cmp_gt_i32_e64 s[2:3], s33, v53
	v_cmp_gt_i32_e64 s[8:9], s33, v54
	v_cndmask_b32_e64 v53, v52, v68, s[2:3]
	v_cndmask_b32_e64 v54, v52, v69, s[8:9]
	v_max3_f32 v51, v51, v53, v54
	v_or_b32_e32 v53, 50, v50
	v_or_b32_e32 v50, 51, v50
	v_fma_f32 v66, v89, v55, v66
	v_cmp_gt_i32_e32 vcc, s33, v53
	v_cmp_gt_i32_e64 s[0:1], s33, v50
	v_cndmask_b32_e32 v53, v52, v66, vcc
	v_cndmask_b32_e64 v50, v52, v67, s[0:1]
	v_max3_f32 v60, v51, v53, v50
	v_mbcnt_lo_u32_b32 v50, -1, 0
	v_mbcnt_hi_u32_b32 v61, -1, v50
	v_and_b32_e32 v50, 64, v61
	v_add_u32_e32 v62, 64, v50
	v_xor_b32_e32 v50, 32, v61
	v_cmp_lt_i32_e64 s[38:39], v50, v62
	v_cndmask_b32_e64 v50, v61, v50, s[38:39]
	v_lshlrev_b32_e32 v89, 2, v50
	ds_bpermute_b32 v63, v89, v60
	v_add_co_u32_e64 v50, s[38:39], v91, v82
	v_addc_co_u32_e64 v51, s[38:39], v84, v83, s[38:39]
	s_waitcnt lgkmcnt(0)
	v_max_f32_e32 v63, v63, v63
	v_max_f32_e32 v63, v60, v63
	v_xor_b32_e32 v60, 16, v61
	v_cmp_lt_i32_e64 s[38:39], v60, v62
	v_cndmask_b32_e64 v60, v61, v60, s[38:39]
	v_lshlrev_b32_e32 v92, 2, v60
	ds_bpermute_b32 v62, v92, v63
	v_add_co_u32_e64 v60, s[38:39], v91, v80
	v_addc_co_u32_e64 v61, s[38:39], v84, v81, s[38:39]
	s_waitcnt lgkmcnt(0)
	v_max_f32_e32 v62, v62, v62
	v_max_f32_e32 v82, v63, v62
	v_sub_f32_e32 v58, v58, v82
	v_mul_f32_e32 v58, 0x3fb8aa3b, v58
	v_exp_f32_e32 v80, v58
	v_sub_f32_e32 v58, v59, v82
	v_mul_f32_e32 v58, 0x3fb8aa3b, v58
	global_load_dwordx4 v[54:57], v[50:51], off
	s_nop 0
	global_load_dwordx4 v[50:53], v[50:51], off offset:16
	v_exp_f32_e32 v81, v58
	global_load_dwordx4 v[62:65], v[60:61], off
	s_nop 0
	global_load_dwordx4 v[58:61], v[60:61], off offset:16
	v_sub_f32_e32 v78, v78, v82
	v_mul_f32_e32 v78, 0x3fb8aa3b, v78
	v_sub_f32_e32 v79, v79, v82
	v_exp_f32_e32 v78, v78
	v_mul_f32_e32 v79, 0x3fb8aa3b, v79
	v_sub_f32_e32 v76, v76, v82
	v_exp_f32_e32 v79, v79
	v_mul_f32_e32 v76, 0x3fb8aa3b, v76
	v_sub_f32_e32 v77, v77, v82
	v_cndmask_b32_e64 v80, 0, v80, s[28:29]
	v_exp_f32_e32 v76, v76
	v_mul_f32_e32 v77, 0x3fb8aa3b, v77
	v_sub_f32_e32 v74, v74, v82
	v_add_f32_e32 v83, 0, v80
	v_cndmask_b32_e64 v81, 0, v81, s[30:31]
	v_exp_f32_e32 v77, v77
	v_mul_f32_e32 v74, 0x3fb8aa3b, v74
	v_sub_f32_e32 v75, v75, v82
	v_add_f32_e32 v83, v83, v81
	;; [unrolled: 5-line block ×10, first 2 shown]
	v_cndmask_b32_e64 v70, 0, v70, s[10:11]
	v_exp_f32_e32 v66, v66
	v_mul_f32_e32 v67, 0x3fb8aa3b, v67
	v_add_f32_e32 v83, v83, v70
	v_cndmask_b32_e64 v71, 0, v71, s[12:13]
	v_exp_f32_e32 v67, v67
	v_add_f32_e32 v83, v83, v71
	v_cndmask_b32_e64 v68, 0, v68, s[2:3]
	v_add_f32_e32 v83, v83, v68
	v_cndmask_b32_e64 v69, 0, v69, s[8:9]
	v_add_f32_e32 v83, v83, v69
	v_cndmask_b32_e32 v66, 0, v66, vcc
	v_add_f32_e32 v83, v83, v66
	v_cndmask_b32_e64 v67, 0, v67, s[0:1]
	v_add_f32_e32 v83, v83, v67
	ds_bpermute_b32 v84, v89, v83
	s_load_dword s3, s[4:5], 0x98
	v_cmp_gt_u32_e32 vcc, 16, v88
	s_waitcnt lgkmcnt(0)
	s_barrier
	v_add_f32_e32 v83, v83, v84
	ds_bpermute_b32 v89, v92, v83
	s_waitcnt lgkmcnt(0)
	s_and_saveexec_b64 s[0:1], vcc
	s_cbranch_execz .LBB102_15
; %bb.14:
	v_add_f32_e32 v83, v83, v89
	v_lshlrev_b32_e32 v84, 2, v90
	ds_write2st64_b32 v84, v82, v83 offset1:1
.LBB102_15:
	s_or_b64 exec, exec, s[0:1]
	v_lshlrev_b32_e32 v83, 2, v85
	s_load_dword s2, s[4:5], 0x94
	s_waitcnt lgkmcnt(0)
	s_barrier
	ds_read2_b32 v[88:89], v83 offset1:16
	ds_read2_b32 v[90:91], v83 offset0:32 offset1:48
	ds_read2_b32 v[92:93], v83 offset0:64 offset1:80
	s_mul_i32 s3, s3, 7
	s_waitcnt lgkmcnt(2)
	v_max3_f32 v82, v88, s40, v89
	s_waitcnt lgkmcnt(1)
	v_max3_f32 v82, v82, v90, v91
	v_sub_f32_e32 v84, v88, v82
	v_sub_f32_e32 v88, v89, v82
	v_mul_f32_e32 v88, 0x3fb8aa3b, v88
	v_mul_f32_e32 v84, 0x3fb8aa3b, v84
	v_exp_f32_e32 v94, v88
	v_sub_f32_e32 v88, v90, v82
	v_exp_f32_e32 v84, v84
	v_mul_f32_e32 v88, 0x3fb8aa3b, v88
	v_exp_f32_e32 v90, v88
	ds_read2_b32 v[88:89], v83 offset0:96 offset1:112
	v_sub_f32_e32 v83, v91, v82
	v_mul_f32_e32 v83, 0x3fb8aa3b, v83
	v_exp_f32_e32 v91, v83
	s_waitcnt lgkmcnt(1)
	v_fma_f32 v83, v84, v92, 0
	v_fmac_f32_e32 v83, v94, v93
	s_waitcnt lgkmcnt(0)
	v_fmac_f32_e32 v83, v90, v88
	v_fmac_f32_e32 v83, v91, v89
	v_add_f32_e32 v88, 0x358637bd, v83
	v_div_scale_f32 v89, s[0:1], v88, v88, 1.0
	v_rcp_f32_e32 v92, v89
	s_barrier
	v_fma_f32 v93, -v89, v92, 1.0
	v_fmac_f32_e32 v92, v93, v92
	v_div_scale_f32 v93, vcc, 1.0, v88, 1.0
	v_mul_f32_e32 v95, v93, v92
	v_fma_f32 v86, -v89, v95, v93
	v_fmac_f32_e32 v95, v86, v92
	v_fma_f32 v86, -v89, v95, v93
	v_div_fmas_f32 v86, v86, v92, v95
	v_cmp_eq_u32_e32 vcc, 1, v87
	v_cndmask_b32_e32 v84, v84, v94, vcc
	v_cmp_eq_u32_e32 vcc, 2, v87
	v_cndmask_b32_e32 v84, v84, v90, vcc
	v_cmp_eq_u32_e32 vcc, 3, v87
	v_div_fixup_f32 v86, v86, v88, 1.0
	v_cndmask_b32_e32 v84, v84, v91, vcc
	v_mul_f32_e32 v88, v84, v86
	v_pk_mul_f32 v[78:79], v[88:89], v[78:79] op_sel_hi:[0,1]
	v_pk_mul_f32 v[80:81], v[88:89], v[80:81] op_sel_hi:[0,1]
	v_cvt_f16_f32_e32 v80, v80
	v_cvt_f16_f32_e32 v81, v81
	;; [unrolled: 1-line block ×4, first 2 shown]
	v_pk_mul_f32 v[74:75], v[88:89], v[74:75] op_sel_hi:[0,1]
	v_pk_mul_f32 v[76:77], v[88:89], v[76:77] op_sel_hi:[0,1]
	v_cvt_f16_f32_e32 v76, v76
	v_cvt_f16_f32_e32 v77, v77
	;; [unrolled: 1-line block ×4, first 2 shown]
	v_pack_b32_f16 v80, v80, v81
	v_pack_b32_f16 v81, v78, v79
	v_lshlrev_b32_e32 v79, 3, v1
	v_lshlrev_b32_e32 v78, 5, v85
	;; [unrolled: 1-line block ×3, first 2 shown]
	v_or3_b32 v74, v74, v78, v79
	v_pack_b32_f16 v76, v76, v77
	v_pack_b32_f16 v77, v84, v75
	v_pk_mul_f32 v[70:71], v[88:89], v[70:71] op_sel_hi:[0,1]
	v_pk_mul_f32 v[72:73], v[88:89], v[72:73] op_sel_hi:[0,1]
	;; [unrolled: 1-line block ×4, first 2 shown]
	ds_write2st64_b64 v74, v[80:81], v[76:77] offset1:1
	v_cvt_f16_f32_e32 v72, v72
	v_cvt_f16_f32_e32 v73, v73
	;; [unrolled: 1-line block ×8, first 2 shown]
	v_pack_b32_f16 v66, v72, v73
	v_pack_b32_f16 v67, v70, v71
	v_pack_b32_f16 v68, v68, v69
	v_pack_b32_f16 v69, v75, v76
	v_cmp_gt_u32_e32 vcc, 7, v0
	ds_write2st64_b64 v74, v[66:67], v[68:69] offset0:2 offset1:3
	s_and_saveexec_b64 s[0:1], vcc
	s_cbranch_execz .LBB102_17
; %bb.16:
	v_add_co_u32_e32 v68, vcc, s27, v85
	v_addc_co_u32_e64 v69, s[12:13], 0, 0, vcc
	v_mov_b32_e32 v66, s3
	v_mov_b32_e32 v67, 0
	v_mad_u64_u32 v[68:69], s[12:13], s6, v66, v[68:69]
	v_mov_b32_e32 v66, s26
	s_load_dwordx4 s[8:11], s[4:5], 0x58
	s_mul_i32 s7, s7, s3
	v_mad_u64_u32 v[66:67], s[12:13], v68, s2, v[66:67]
	v_add_u32_e32 v69, s7, v69
	v_mov_b32_e32 v68, v67
	v_mad_u64_u32 v[68:69], s[12:13], v69, s2, v[68:69]
	v_mov_b32_e32 v67, v68
	v_lshlrev_b64 v[66:67], 2, v[66:67]
	s_waitcnt lgkmcnt(0)
	v_mov_b32_e32 v69, s11
	v_add_co_u32_e32 v68, vcc, s10, v66
	v_addc_co_u32_e32 v69, vcc, v69, v67, vcc
	global_store_dword v[68:69], v82, off
	v_mov_b32_e32 v68, s9
	v_add_co_u32_e32 v66, vcc, s8, v66
	v_addc_co_u32_e32 v67, vcc, v68, v67, vcc
	global_store_dword v[66:67], v83, off
.LBB102_17:
	s_or_b64 exec, exec, s[0:1]
	v_lshl_or_b32 v75, v1, 9, v78
	s_waitcnt lgkmcnt(0)
	s_barrier
	ds_read_b128 v[70:73], v75
	ds_read_b128 v[66:69], v75 offset:16
	s_waitcnt vmcnt(15) lgkmcnt(1)
	v_mfma_f32_16x16x16f16 v[76:79], v[46:47], v[70:71], 0
	s_mov_b32 s1, 0
	v_cmp_gt_u32_e32 vcc, 64, v0
	v_mfma_f32_16x16x16f16 v[46:49], v[48:49], v[72:73], v[76:79]
	s_waitcnt vmcnt(14) lgkmcnt(0)
	v_mfma_f32_16x16x16f16 v[46:49], v[42:43], v[66:67], v[46:49]
	v_mfma_f32_16x16x16f16 v[42:45], v[44:45], v[68:69], v[46:49]
	s_nop 7
	s_nop 1
	ds_read_b128 v[46:49], v75 offset:2048
	ds_read_b128 v[76:79], v75 offset:2064
	s_waitcnt vmcnt(13) lgkmcnt(1)
	v_mfma_f32_16x16x16f16 v[42:45], v[38:39], v[46:47], v[42:45]
	v_mfma_f32_16x16x16f16 v[38:41], v[40:41], v[48:49], v[42:45]
	s_waitcnt vmcnt(12) lgkmcnt(0)
	v_mfma_f32_16x16x16f16 v[38:41], v[34:35], v[76:77], v[38:41]
	v_mfma_f32_16x16x16f16 v[34:37], v[36:37], v[78:79], v[38:41]
	s_nop 7
	s_nop 1
	ds_read_b128 v[38:41], v75 offset:4096
	ds_read_b128 v[42:45], v75 offset:4112
	s_waitcnt vmcnt(11) lgkmcnt(1)
	v_mfma_f32_16x16x16f16 v[34:37], v[30:31], v[38:39], v[34:37]
	v_mfma_f32_16x16x16f16 v[30:33], v[32:33], v[40:41], v[34:37]
	s_waitcnt vmcnt(10) lgkmcnt(0)
	v_mfma_f32_16x16x16f16 v[30:33], v[26:27], v[42:43], v[30:33]
	v_mfma_f32_16x16x16f16 v[26:29], v[28:29], v[44:45], v[30:33]
	s_nop 7
	s_nop 1
	ds_read_b128 v[30:33], v75 offset:6144
	ds_read_b128 v[34:37], v75 offset:6160
	s_waitcnt lgkmcnt(0)
	s_barrier
	s_waitcnt vmcnt(9)
	v_mfma_f32_16x16x16f16 v[26:29], v[22:23], v[30:31], v[26:29]
	v_mfma_f32_16x16x16f16 v[22:25], v[24:25], v[32:33], v[26:29]
	s_waitcnt vmcnt(8)
	v_mfma_f32_16x16x16f16 v[22:25], v[18:19], v[34:35], v[22:25]
	v_mfma_f32_16x16x16f16 v[18:21], v[20:21], v[36:37], v[22:25]
	;; [unrolled: 3-line block ×4, first 2 shown]
	s_waitcnt vmcnt(5)
	v_mfma_f32_16x16x16f16 v[2:5], v[14:15], v[46:47], v[2:5]
	s_nop 7
	v_cvt_f16_f32_e32 v6, v18
	v_cvt_f16_f32_e32 v7, v19
	v_cvt_f16_f32_e32 v8, v20
	v_cvt_f16_f32_e32 v9, v21
	v_mfma_f32_16x16x16f16 v[2:5], v[16:17], v[48:49], v[2:5]
	s_waitcnt vmcnt(4)
	v_mfma_f32_16x16x16f16 v[2:5], v[10:11], v[76:77], v[2:5]
	v_mfma_f32_16x16x16f16 v[2:5], v[12:13], v[78:79], v[2:5]
	s_waitcnt vmcnt(3)
	v_mfma_f32_16x16x16f16 v[2:5], v[54:55], v[38:39], v[2:5]
	;; [unrolled: 3-line block ×5, first 2 shown]
	v_mfma_f32_16x16x16f16 v[2:5], v[60:61], v[36:37], v[2:5]
	s_nop 7
	s_nop 2
	v_cvt_f16_f32_e32 v10, v2
	v_cvt_f16_f32_e32 v11, v3
	;; [unrolled: 1-line block ×4, first 2 shown]
	v_pack_b32_f16 v2, v6, v7
	v_pack_b32_f16 v3, v8, v9
	;; [unrolled: 1-line block ×4, first 2 shown]
	ds_write2st64_b64 v74, v[2:3], v[4:5] offset1:1
	s_waitcnt lgkmcnt(0)
	s_barrier
	s_and_saveexec_b64 s[8:9], vcc
	s_cbranch_execz .LBB102_20
; %bb.18:
	v_lshlrev_b32_e32 v4, 6, v85
	v_lshlrev_b32_e32 v3, 4, v0
	v_lshl_or_b32 v0, v0, 10, v4
	v_lshlrev_b32_e32 v2, 5, v1
	v_and_b32_e32 v3, 16, v3
	v_and_b32_e32 v0, 0x1a00, v0
	v_or3_b32 v0, v0, v2, v3
	buffer_load_dword v2, off, s[44:47], 0  ; 4-byte Folded Reload
	s_load_dwordx2 s[4:5], s[4:5], 0x68
	s_lshl_b32 s2, s2, 7
	s_mul_i32 s0, s3, s6
	s_mul_hi_u32 s7, s0, s2
	s_mul_i32 s6, s0, s2
	s_lshl_b64 s[6:7], s[6:7], 1
	s_waitcnt lgkmcnt(0)
	s_add_u32 s3, s4, s6
	s_addc_u32 s4, s5, s7
	s_lshl_b32 s0, s26, 7
	s_lshl_b64 s[0:1], s[0:1], 1
	s_add_u32 s0, s3, s0
	s_addc_u32 s1, s4, s1
	v_add_u32_e32 v8, s27, v1
	v_mov_b32_e32 v3, s1
	ds_read_b128 v[4:7], v0
	s_waitcnt vmcnt(0)
	v_add_co_u32_e32 v2, vcc, s0, v2
	v_mad_u64_u32 v[8:9], s[0:1], v8, s2, 0
	v_addc_co_u32_e32 v3, vcc, 0, v3, vcc
	v_lshlrev_b64 v[8:9], 1, v[8:9]
	v_add_co_u32_e32 v8, vcc, v2, v8
	v_addc_co_u32_e32 v9, vcc, v3, v9, vcc
	v_cmp_ne_u32_e32 vcc, 3, v1
	s_waitcnt lgkmcnt(0)
	global_store_dwordx4 v[8:9], v[4:7], off
	s_and_b64 exec, exec, vcc
	s_cbranch_execz .LBB102_20
; %bb.19:
	ds_read_b128 v[4:7], v0 offset:128
	v_add3_u32 v0, s27, v1, 4
	v_mad_u64_u32 v[0:1], s[0:1], v0, s2, 0
	v_lshlrev_b64 v[0:1], 1, v[0:1]
	v_add_co_u32_e32 v0, vcc, v2, v0
	v_addc_co_u32_e32 v1, vcc, v3, v1, vcc
	s_waitcnt lgkmcnt(0)
	global_store_dwordx4 v[0:1], v[4:7], off
.LBB102_20:
	s_endpgm
	.section	.rodata,"a",@progbits
	.p2align	6, 0x0
	.amdhsa_kernel _Z39paged_attention_ll4mi_QKV_mfma16_kernelIDF16_DF16_LN4vllm18Fp8KVCacheDataTypeE0EDF16_Li16ELi128ELi256ELb1ELi7EL8MFMAType0EEvPKT_PKT0_S8_ifPKiSA_SA_iPKfiiiPfSD_PS3_PT2_iSC_SC_
		.amdhsa_group_segment_fixed_size 8192
		.amdhsa_private_segment_fixed_size 8
		.amdhsa_kernarg_size 400
		.amdhsa_user_sgpr_count 6
		.amdhsa_user_sgpr_private_segment_buffer 1
		.amdhsa_user_sgpr_dispatch_ptr 0
		.amdhsa_user_sgpr_queue_ptr 0
		.amdhsa_user_sgpr_kernarg_segment_ptr 1
		.amdhsa_user_sgpr_dispatch_id 0
		.amdhsa_user_sgpr_flat_scratch_init 0
		.amdhsa_user_sgpr_kernarg_preload_length 0
		.amdhsa_user_sgpr_kernarg_preload_offset 0
		.amdhsa_user_sgpr_private_segment_size 0
		.amdhsa_uses_dynamic_stack 0
		.amdhsa_system_sgpr_private_segment_wavefront_offset 1
		.amdhsa_system_sgpr_workgroup_id_x 1
		.amdhsa_system_sgpr_workgroup_id_y 1
		.amdhsa_system_sgpr_workgroup_id_z 1
		.amdhsa_system_sgpr_workgroup_info 0
		.amdhsa_system_vgpr_workitem_id 0
		.amdhsa_next_free_vgpr 96
		.amdhsa_next_free_sgpr 48
		.amdhsa_accum_offset 96
		.amdhsa_reserve_vcc 1
		.amdhsa_reserve_flat_scratch 0
		.amdhsa_float_round_mode_32 0
		.amdhsa_float_round_mode_16_64 0
		.amdhsa_float_denorm_mode_32 3
		.amdhsa_float_denorm_mode_16_64 3
		.amdhsa_dx10_clamp 1
		.amdhsa_ieee_mode 1
		.amdhsa_fp16_overflow 0
		.amdhsa_tg_split 0
		.amdhsa_exception_fp_ieee_invalid_op 0
		.amdhsa_exception_fp_denorm_src 0
		.amdhsa_exception_fp_ieee_div_zero 0
		.amdhsa_exception_fp_ieee_overflow 0
		.amdhsa_exception_fp_ieee_underflow 0
		.amdhsa_exception_fp_ieee_inexact 0
		.amdhsa_exception_int_div_zero 0
	.end_amdhsa_kernel
	.section	.text._Z39paged_attention_ll4mi_QKV_mfma16_kernelIDF16_DF16_LN4vllm18Fp8KVCacheDataTypeE0EDF16_Li16ELi128ELi256ELb1ELi7EL8MFMAType0EEvPKT_PKT0_S8_ifPKiSA_SA_iPKfiiiPfSD_PS3_PT2_iSC_SC_,"axG",@progbits,_Z39paged_attention_ll4mi_QKV_mfma16_kernelIDF16_DF16_LN4vllm18Fp8KVCacheDataTypeE0EDF16_Li16ELi128ELi256ELb1ELi7EL8MFMAType0EEvPKT_PKT0_S8_ifPKiSA_SA_iPKfiiiPfSD_PS3_PT2_iSC_SC_,comdat
.Lfunc_end102:
	.size	_Z39paged_attention_ll4mi_QKV_mfma16_kernelIDF16_DF16_LN4vllm18Fp8KVCacheDataTypeE0EDF16_Li16ELi128ELi256ELb1ELi7EL8MFMAType0EEvPKT_PKT0_S8_ifPKiSA_SA_iPKfiiiPfSD_PS3_PT2_iSC_SC_, .Lfunc_end102-_Z39paged_attention_ll4mi_QKV_mfma16_kernelIDF16_DF16_LN4vllm18Fp8KVCacheDataTypeE0EDF16_Li16ELi128ELi256ELb1ELi7EL8MFMAType0EEvPKT_PKT0_S8_ifPKiSA_SA_iPKfiiiPfSD_PS3_PT2_iSC_SC_
                                        ; -- End function
	.section	.AMDGPU.csdata,"",@progbits
; Kernel info:
; codeLenInByte = 4904
; NumSgprs: 52
; NumVgprs: 96
; NumAgprs: 0
; TotalNumVgprs: 96
; ScratchSize: 8
; MemoryBound: 0
; FloatMode: 240
; IeeeMode: 1
; LDSByteSize: 8192 bytes/workgroup (compile time only)
; SGPRBlocks: 6
; VGPRBlocks: 11
; NumSGPRsForWavesPerEU: 52
; NumVGPRsForWavesPerEU: 96
; AccumOffset: 96
; Occupancy: 5
; WaveLimiterHint : 1
; COMPUTE_PGM_RSRC2:SCRATCH_EN: 1
; COMPUTE_PGM_RSRC2:USER_SGPR: 6
; COMPUTE_PGM_RSRC2:TRAP_HANDLER: 0
; COMPUTE_PGM_RSRC2:TGID_X_EN: 1
; COMPUTE_PGM_RSRC2:TGID_Y_EN: 1
; COMPUTE_PGM_RSRC2:TGID_Z_EN: 1
; COMPUTE_PGM_RSRC2:TIDIG_COMP_CNT: 0
; COMPUTE_PGM_RSRC3_GFX90A:ACCUM_OFFSET: 23
; COMPUTE_PGM_RSRC3_GFX90A:TG_SPLIT: 0
	.section	.text._Z39paged_attention_ll4mi_QKV_mfma16_kernelIDF16_DF16_LN4vllm18Fp8KVCacheDataTypeE0EDF16_Li16ELi128ELi256ELb1ELi8EL8MFMAType0EEvPKT_PKT0_S8_ifPKiSA_SA_iPKfiiiPfSD_PS3_PT2_iSC_SC_,"axG",@progbits,_Z39paged_attention_ll4mi_QKV_mfma16_kernelIDF16_DF16_LN4vllm18Fp8KVCacheDataTypeE0EDF16_Li16ELi128ELi256ELb1ELi8EL8MFMAType0EEvPKT_PKT0_S8_ifPKiSA_SA_iPKfiiiPfSD_PS3_PT2_iSC_SC_,comdat
	.protected	_Z39paged_attention_ll4mi_QKV_mfma16_kernelIDF16_DF16_LN4vllm18Fp8KVCacheDataTypeE0EDF16_Li16ELi128ELi256ELb1ELi8EL8MFMAType0EEvPKT_PKT0_S8_ifPKiSA_SA_iPKfiiiPfSD_PS3_PT2_iSC_SC_ ; -- Begin function _Z39paged_attention_ll4mi_QKV_mfma16_kernelIDF16_DF16_LN4vllm18Fp8KVCacheDataTypeE0EDF16_Li16ELi128ELi256ELb1ELi8EL8MFMAType0EEvPKT_PKT0_S8_ifPKiSA_SA_iPKfiiiPfSD_PS3_PT2_iSC_SC_
	.globl	_Z39paged_attention_ll4mi_QKV_mfma16_kernelIDF16_DF16_LN4vllm18Fp8KVCacheDataTypeE0EDF16_Li16ELi128ELi256ELb1ELi8EL8MFMAType0EEvPKT_PKT0_S8_ifPKiSA_SA_iPKfiiiPfSD_PS3_PT2_iSC_SC_
	.p2align	8
	.type	_Z39paged_attention_ll4mi_QKV_mfma16_kernelIDF16_DF16_LN4vllm18Fp8KVCacheDataTypeE0EDF16_Li16ELi128ELi256ELb1ELi8EL8MFMAType0EEvPKT_PKT0_S8_ifPKiSA_SA_iPKfiiiPfSD_PS3_PT2_iSC_SC_,@function
_Z39paged_attention_ll4mi_QKV_mfma16_kernelIDF16_DF16_LN4vllm18Fp8KVCacheDataTypeE0EDF16_Li16ELi128ELi256ELb1ELi8EL8MFMAType0EEvPKT_PKT0_S8_ifPKiSA_SA_iPKfiiiPfSD_PS3_PT2_iSC_SC_: ; @_Z39paged_attention_ll4mi_QKV_mfma16_kernelIDF16_DF16_LN4vllm18Fp8KVCacheDataTypeE0EDF16_Li16ELi128ELi256ELb1ELi8EL8MFMAType0EEvPKT_PKT0_S8_ifPKiSA_SA_iPKfiiiPfSD_PS3_PT2_iSC_SC_
; %bb.0:
	s_mov_b64 s[46:47], s[2:3]
	s_mov_b64 s[44:45], s[0:1]
	s_load_dwordx2 s[0:1], s[4:5], 0x30
	s_add_u32 s44, s44, s9
	s_addc_u32 s45, s45, 0
	s_mov_b32 s26, s7
	s_mov_b64 s[10:11], 0
	s_waitcnt lgkmcnt(0)
	s_cmp_lg_u64 s[0:1], 0
	s_cselect_b64 s[2:3], -1, 0
	s_and_b64 vcc, exec, s[2:3]
	s_cbranch_vccz .LBB103_7
; %bb.1:
	s_add_i32 s12, s6, 1
	s_mov_b32 s13, 0
	s_lshl_b64 s[14:15], s[12:13], 2
	s_add_u32 s14, s0, s14
	s_mov_b32 s7, s13
	s_addc_u32 s15, s1, s15
	s_lshl_b64 s[12:13], s[6:7], 2
	s_add_u32 s12, s0, s12
	s_addc_u32 s13, s1, s13
	s_load_dword s9, s[14:15], 0x0
	s_load_dword s16, s[12:13], 0x0
	s_waitcnt lgkmcnt(0)
	s_sub_i32 s9, s9, s16
	s_cmp_eq_u32 s9, 1
	s_cselect_b64 s[12:13], -1, 0
	s_andn2_b64 vcc, exec, s[10:11]
	s_cbranch_vccnz .LBB103_3
.LBB103_2:
	s_mov_b32 s7, 0
	s_mov_b64 s[12:13], -1
.LBB103_3:
	s_andn2_b64 vcc, exec, s[12:13]
	s_cbranch_vccnz .LBB103_19
; %bb.4:
	s_load_dwordx2 s[12:13], s[4:5], 0x28
	s_lshl_b64 s[10:11], s[6:7], 2
	s_waitcnt lgkmcnt(0)
	s_add_u32 s12, s12, s10
	s_addc_u32 s13, s13, s11
	s_load_dword s33, s[12:13], 0x0
	s_lshl_b32 s16, s26, 8
	s_waitcnt lgkmcnt(0)
	s_cmp_ge_i32 s16, s33
	s_cbranch_scc1 .LBB103_19
; %bb.5:
	s_add_i32 s14, s33, 15
	s_load_dwordx2 s[12:13], s[4:5], 0x20
	s_load_dword s9, s[4:5], 0x38
	s_ashr_i32 s15, s14, 31
	v_and_b32_e32 v1, 0xcf, v0
	s_lshr_b32 s15, s15, 28
	v_add_u32_e32 v1, s16, v1
	s_add_i32 s14, s14, s15
	v_ashrrev_i32_e32 v2, 31, v1
	s_ashr_i32 s19, s14, 4
	v_lshrrev_b32_e32 v4, 28, v2
	s_add_i32 s19, s19, -1
	v_add_u32_e32 v2, v1, v4
	s_waitcnt lgkmcnt(0)
	s_mul_i32 s14, s6, s9
	s_mov_b32 s15, 0
	v_ashrrev_i32_e32 v2, 4, v2
	v_mov_b32_e32 v5, s19
	v_cmp_gt_i32_e32 vcc, s33, v1
	s_lshl_b64 s[14:15], s[14:15], 2
	v_cndmask_b32_e32 v2, v5, v2, vcc
	s_add_u32 s17, s12, s14
	v_ashrrev_i32_e32 v3, 31, v2
	s_addc_u32 s18, s13, s15
	v_lshlrev_b64 v[2:3], 2, v[2:3]
	v_mov_b32_e32 v7, s18
	v_add_co_u32_e32 v6, vcc, s17, v2
	v_or_b32_e32 v2, 16, v1
	v_addc_co_u32_e32 v7, vcc, v7, v3, vcc
	v_add_u32_e32 v3, v2, v4
	v_ashrrev_i32_e32 v3, 4, v3
	v_cmp_gt_i32_e32 vcc, s33, v2
	v_cndmask_b32_e32 v2, v5, v3, vcc
	v_ashrrev_i32_e32 v3, 31, v2
	v_lshlrev_b64 v[2:3], 2, v[2:3]
	v_mov_b32_e32 v9, s18
	v_add_co_u32_e32 v8, vcc, s17, v2
	v_or_b32_e32 v2, 32, v1
	v_addc_co_u32_e32 v9, vcc, v9, v3, vcc
	v_add_u32_e32 v3, v2, v4
	v_ashrrev_i32_e32 v3, 4, v3
	v_cmp_gt_i32_e32 vcc, s33, v2
	v_cndmask_b32_e32 v2, v5, v3, vcc
	v_ashrrev_i32_e32 v3, 31, v2
	;; [unrolled: 10-line block ×3, first 2 shown]
	v_lshlrev_b64 v[2:3], 2, v[2:3]
	v_mov_b32_e32 v1, s18
	v_add_co_u32_e32 v12, vcc, s17, v2
	v_addc_co_u32_e32 v13, vcc, v1, v3, vcc
	global_load_dword v5, v[6:7], off
	global_load_dword v4, v[8:9], off
	;; [unrolled: 1-line block ×4, first 2 shown]
	s_load_dwordx2 s[12:13], s[4:5], 0x8
	s_andn2_b64 vcc, exec, s[2:3]
	s_cbranch_vccnz .LBB103_8
; %bb.6:
	s_add_u32 s0, s0, s10
	s_addc_u32 s1, s1, s11
	s_load_dword s9, s[0:1], 0x0
	s_branch .LBB103_9
.LBB103_7:
	s_mov_b64 s[12:13], 0
	s_branch .LBB103_2
.LBB103_8:
	s_mov_b32 s9, s6
.LBB103_9:
	s_load_dwordx2 s[10:11], s[4:5], 0x10
	s_load_dwordx4 s[0:3], s[4:5], 0x48
	v_and_b32_e32 v85, 15, v0
	v_lshlrev_b32_e32 v6, 3, v85
	s_waitcnt lgkmcnt(0)
	s_movk_i32 s3, 0x80
	v_lshrrev_b32_e32 v87, 6, v0
	v_bfe_u32 v1, v0, 4, 2
	s_lshl_b32 s27, s8, 3
	v_cmp_gt_u32_e32 vcc, s3, v0
	v_lshlrev_b32_e32 v6, 1, v6
	buffer_store_dword v6, off, s[44:47], 0 ; 4-byte Folded Spill
	s_and_saveexec_b64 s[14:15], vcc
	s_cbranch_execz .LBB103_11
; %bb.10:
	s_load_dwordx2 s[20:21], s[4:5], 0x0
	s_ashr_i32 s3, s0, 31
	s_mul_hi_u32 s22, s9, s0
	s_mul_i32 s3, s9, s3
	v_lshl_or_b32 v10, v87, 2, v1
	s_add_i32 s23, s22, s3
	s_mul_i32 s22, s9, s0
	s_lshl_b64 s[22:23], s[22:23], 1
	v_add_lshl_u32 v6, v10, s27, 7
	s_waitcnt lgkmcnt(0)
	s_add_u32 s0, s20, s22
	v_ashrrev_i32_e32 v7, 31, v6
	s_addc_u32 s3, s21, s23
	v_lshlrev_b64 v[6:7], 1, v[6:7]
	v_mov_b32_e32 v8, s3
	v_add_co_u32_e32 v6, vcc, s0, v6
	v_addc_co_u32_e32 v7, vcc, v8, v7, vcc
	buffer_load_dword v8, off, s[44:47], 0  ; 4-byte Folded Reload
	v_and_b32_e32 v11, 3, v0
	v_lshlrev_b32_e32 v12, 9, v85
	v_lshlrev_b32_e32 v10, 5, v10
	;; [unrolled: 1-line block ×3, first 2 shown]
	v_and_b32_e32 v12, 0x1800, v12
	v_or3_b32 v10, v12, v11, v10
	s_waitcnt vmcnt(0)
	v_add_co_u32_e32 v6, vcc, v6, v8
	v_addc_co_u32_e32 v7, vcc, 0, v7, vcc
	global_load_dwordx4 v[6:9], v[6:7], off
	s_waitcnt vmcnt(0)
	ds_write_b128 v10, v[6:9]
.LBB103_11:
	s_or_b64 exec, exec, s[14:15]
	s_mul_i32 s2, s8, s2
	s_mov_b32 s3, 0
	s_lshl_b64 s[2:3], s[2:3], 1
	s_add_u32 s0, s12, s2
	v_lshlrev_b32_e32 v10, 4, v0
	s_addc_u32 s8, s13, s3
	v_and_b32_e32 v6, 0xf0, v10
	v_mov_b32_e32 v7, s8
	v_add_co_u32_e32 v8, vcc, s0, v6
	v_addc_co_u32_e32 v9, vcc, 0, v7, vcc
	s_waitcnt vmcnt(4)
	v_mad_i64_i32 v[6:7], s[8:9], v5, s1, 0
	v_lshlrev_b64 v[6:7], 1, v[6:7]
	v_add_co_u32_e32 v5, vcc, v8, v6
	v_addc_co_u32_e32 v7, vcc, v9, v7, vcc
	v_and_b32_e32 v10, 0x300, v10
	v_add_co_u32_e32 v6, vcc, v5, v10
	s_waitcnt vmcnt(3)
	v_mad_i64_i32 v[4:5], s[8:9], v4, s1, 0
	v_addc_co_u32_e32 v7, vcc, 0, v7, vcc
	v_lshlrev_b64 v[4:5], 1, v[4:5]
	v_add_co_u32_e32 v4, vcc, v8, v4
	v_addc_co_u32_e32 v5, vcc, v9, v5, vcc
	v_add_co_u32_e32 v4, vcc, v4, v10
	v_addc_co_u32_e32 v5, vcc, 0, v5, vcc
	s_waitcnt lgkmcnt(0)
	s_barrier
	global_load_dwordx4 v[74:77], v[6:7], off
	global_load_dwordx4 v[66:69], v[6:7], off offset:1024
	global_load_dwordx4 v[58:61], v[6:7], off offset:2048
	;; [unrolled: 1-line block ×3, first 2 shown]
	global_load_dwordx4 v[78:81], v[4:5], off
	global_load_dwordx4 v[70:73], v[4:5], off offset:1024
	global_load_dwordx4 v[62:65], v[4:5], off offset:2048
	;; [unrolled: 1-line block ×3, first 2 shown]
	s_waitcnt vmcnt(10)
	v_mad_i64_i32 v[4:5], s[8:9], v3, s1, 0
	v_lshlrev_b64 v[4:5], 1, v[4:5]
	v_add_co_u32_e32 v3, vcc, v8, v4
	v_addc_co_u32_e32 v5, vcc, v9, v5, vcc
	v_add_co_u32_e32 v4, vcc, v3, v10
	s_waitcnt vmcnt(9)
	v_mad_i64_i32 v[2:3], s[8:9], v2, s1, 0
	v_addc_co_u32_e32 v5, vcc, 0, v5, vcc
	v_lshlrev_b64 v[2:3], 1, v[2:3]
	v_add_co_u32_e32 v2, vcc, v8, v2
	v_addc_co_u32_e32 v3, vcc, v9, v3, vcc
	v_add_co_u32_e32 v6, vcc, v2, v10
	v_addc_co_u32_e32 v7, vcc, 0, v3, vcc
	global_load_dwordx4 v[38:41], v[4:5], off
	global_load_dwordx4 v[34:37], v[4:5], off offset:1024
	global_load_dwordx4 v[30:33], v[4:5], off offset:2048
	;; [unrolled: 1-line block ×3, first 2 shown]
	global_load_dwordx4 v[18:21], v[6:7], off
	global_load_dwordx4 v[10:13], v[6:7], off offset:1024
	s_nop 0
	global_load_dwordx4 v[2:5], v[6:7], off offset:2048
	global_load_dwordx4 v[50:53], v[6:7], off offset:3072
	v_and_b32_e32 v6, 7, v0
	v_lshlrev_b32_e32 v6, 5, v6
	v_lshl_or_b32 v54, v1, 9, v6
	ds_read_b128 v[22:25], v54
	ds_read_b128 v[14:17], v54 offset:2048
	ds_read_b128 v[6:9], v54 offset:4096
	;; [unrolled: 1-line block ×3, first 2 shown]
	v_and_b32_e32 v88, 63, v0
	v_cmp_gt_u32_e32 vcc, 8, v85
	v_mov_b32_e32 v89, 0
	s_and_saveexec_b64 s[8:9], vcc
	s_cbranch_execz .LBB103_13
; %bb.12:
	s_load_dwordx2 s[12:13], s[4:5], 0x40
	v_or_b32_e32 v82, s27, v85
	v_ashrrev_i32_e32 v83, 31, v82
	v_lshlrev_b64 v[82:83], 2, v[82:83]
	s_waitcnt lgkmcnt(0)
	v_mov_b32_e32 v89, s13
	v_add_co_u32_e32 v82, vcc, s12, v82
	v_addc_co_u32_e32 v83, vcc, v89, v83, vcc
	global_load_dword v89, v[82:83], off
.LBB103_13:
	s_or_b64 exec, exec, s[8:9]
	s_waitcnt vmcnt(15) lgkmcnt(3)
	v_mfma_f32_16x16x16f16 v[90:93], v[74:75], v[22:23], 0
	s_add_u32 s8, s10, s2
	s_addc_u32 s9, s11, s3
	s_load_dword s0, s[4:5], 0x1c
	s_mov_b32 s40, 0xff7fffff
	v_mfma_f32_16x16x16f16 v[74:77], v[76:77], v[24:25], v[90:93]
	s_waitcnt vmcnt(14) lgkmcnt(0)
	v_mfma_f32_16x16x16f16 v[74:77], v[66:67], v[14:15], v[74:77]
	s_nop 4
	v_lshl_or_b32 v90, v87, 4, v85
	v_mfma_f32_16x16x16f16 v[66:69], v[68:69], v[16:17], v[74:77]
	s_waitcnt vmcnt(13)
	v_mfma_f32_16x16x16f16 v[66:69], v[58:59], v[6:7], v[66:69]
	s_nop 4
	v_lshlrev_b32_e32 v76, 5, v90
	v_mfma_f32_16x16x16f16 v[58:61], v[60:61], v[8:9], v[66:69]
	s_waitcnt vmcnt(12)
	v_mfma_f32_16x16x16f16 v[58:61], v[42:43], v[54:55], v[58:61]
	s_nop 4
	v_mov_b32_e32 v66, s18
	v_mfma_f32_16x16x16f16 v[58:61], v[44:45], v[56:57], v[58:61]
	s_waitcnt vmcnt(11)
	v_mfma_f32_16x16x16f16 v[42:45], v[78:79], v[22:23], 0
	s_nop 7
	s_nop 0
	v_pk_mul_f32 v[58:59], s[0:1], v[58:59] op_sel_hi:[0,1]
	v_mfma_f32_16x16x16f16 v[42:45], v[80:81], v[24:25], v[42:45]
	s_waitcnt vmcnt(10)
	v_mfma_f32_16x16x16f16 v[42:45], v[70:71], v[14:15], v[42:45]
	v_mfma_f32_16x16x16f16 v[42:45], v[72:73], v[16:17], v[42:45]
	s_waitcnt vmcnt(9)
	v_mfma_f32_16x16x16f16 v[42:45], v[62:63], v[6:7], v[42:45]
	;; [unrolled: 3-line block ×3, first 2 shown]
	v_mfma_f32_16x16x16f16 v[62:65], v[48:49], v[56:57], v[42:45]
	v_and_or_b32 v48, v0, 48, s16
	v_mov_b32_e32 v49, s19
	v_cmp_gt_i32_e32 vcc, s33, v48
	s_waitcnt vmcnt(7)
	v_mfma_f32_16x16x16f16 v[42:45], v[38:39], v[22:23], 0
	v_ashrrev_i32_e32 v38, 4, v48
	v_cndmask_b32_e32 v38, v49, v38, vcc
	v_ashrrev_i32_e32 v39, 31, v38
	v_lshlrev_b64 v[46:47], 2, v[38:39]
	v_mfma_f32_16x16x16f16 v[38:41], v[40:41], v[24:25], v[42:45]
	s_nop 6
	v_add_co_u32_e32 v42, vcc, s17, v46
	v_addc_co_u32_e32 v43, vcc, v66, v47, vcc
	global_load_dword v44, v[42:43], off
	v_or_b32_e32 v42, 64, v48
	v_ashrrev_i32_e32 v43, 4, v42
	v_cmp_gt_i32_e32 vcc, s33, v42
	v_cndmask_b32_e32 v42, v49, v43, vcc
	s_waitcnt vmcnt(7)
	v_mfma_f32_16x16x16f16 v[38:41], v[34:35], v[14:15], v[38:41]
	v_ashrrev_i32_e32 v43, 31, v42
	v_lshlrev_b64 v[34:35], 2, v[42:43]
	v_mov_b32_e32 v42, s18
	v_add_co_u32_e32 v34, vcc, s17, v34
	v_addc_co_u32_e32 v35, vcc, v42, v35, vcc
	global_load_dword v72, v[34:35], off
	v_mfma_f32_16x16x16f16 v[34:37], v[36:37], v[16:17], v[38:41]
	s_nop 6
	v_or_b32_e32 v38, 0x80, v48
	v_ashrrev_i32_e32 v39, 4, v38
	v_cmp_gt_i32_e32 vcc, s33, v38
	v_cndmask_b32_e32 v38, v49, v39, vcc
	v_ashrrev_i32_e32 v39, 31, v38
	v_lshlrev_b64 v[38:39], 2, v[38:39]
	v_mov_b32_e32 v40, s18
	s_waitcnt vmcnt(7)
	v_mfma_f32_16x16x16f16 v[34:37], v[30:31], v[6:7], v[34:37]
	v_add_co_u32_e32 v30, vcc, s17, v38
	v_addc_co_u32_e32 v31, vcc, v40, v39, vcc
	global_load_dword v74, v[30:31], off
	v_or_b32_e32 v30, 0xc0, v48
	v_ashrrev_i32_e32 v31, 4, v30
	v_cmp_gt_i32_e32 vcc, s33, v30
	v_cndmask_b32_e32 v38, v49, v31, vcc
	v_ashrrev_i32_e32 v39, 31, v38
	v_mfma_f32_16x16x16f16 v[30:33], v[32:33], v[8:9], v[34:37]
	s_nop 6
	v_lshlrev_b64 v[34:35], 2, v[38:39]
	v_mov_b32_e32 v36, s18
	v_add_co_u32_e32 v34, vcc, s17, v34
	v_addc_co_u32_e32 v35, vcc, v36, v35, vcc
	global_load_dword v75, v[34:35], off
	s_waitcnt vmcnt(8)
	v_mfma_f32_16x16x16f16 v[30:33], v[26:27], v[54:55], v[30:33]
	v_mov_b32_e32 v26, s9
	v_add_co_u32_e32 v77, vcc, s8, v76
	v_addc_co_u32_e32 v78, vcc, 0, v26, vcc
	s_waitcnt vmcnt(3)
	v_mad_i64_i32 v[26:27], s[2:3], v44, s1, 0
	v_mfma_f32_16x16x16f16 v[66:69], v[28:29], v[56:57], v[30:33]
	v_lshlrev_b64 v[70:71], 1, v[26:27]
	v_mfma_f32_16x16x16f16 v[26:29], v[18:19], v[22:23], 0
	v_add_co_u32_e32 v18, vcc, v77, v70
	v_addc_co_u32_e32 v19, vcc, v78, v71, vcc
	global_load_dwordx4 v[46:49], v[18:19], off
	global_load_dwordx4 v[42:45], v[18:19], off offset:16
	s_waitcnt vmcnt(4)
	v_mad_i64_i32 v[18:19], s[2:3], v72, s1, 0
	v_lshlrev_b64 v[72:73], 1, v[18:19]
	v_mfma_f32_16x16x16f16 v[18:21], v[20:21], v[24:25], v[26:29]
	v_add_co_u32_e32 v22, vcc, v77, v72
	v_addc_co_u32_e32 v23, vcc, v78, v73, vcc
	global_load_dwordx4 v[38:41], v[22:23], off
	global_load_dwordx4 v[34:37], v[22:23], off offset:16
	s_waitcnt vmcnt(5)
	v_mad_i64_i32 v[22:23], s[2:3], v74, s1, 0
	v_mfma_f32_16x16x16f16 v[18:21], v[10:11], v[14:15], v[18:21]
	v_lshlrev_b64 v[82:83], 1, v[22:23]
	v_add_co_u32_e32 v10, vcc, v77, v82
	v_addc_co_u32_e32 v11, vcc, v78, v83, vcc
	global_load_dwordx4 v[30:33], v[10:11], off
	global_load_dwordx4 v[26:29], v[10:11], off offset:16
	s_waitcnt vmcnt(6)
	v_mad_i64_i32 v[14:15], s[2:3], v75, s1, 0
	v_mfma_f32_16x16x16f16 v[10:13], v[12:13], v[16:17], v[18:21]
	v_lshlrev_b64 v[80:81], 1, v[14:15]
	v_add_co_u32_e32 v14, vcc, v77, v80
	v_addc_co_u32_e32 v15, vcc, v78, v81, vcc
	global_load_dwordx4 v[22:25], v[14:15], off
	s_nop 2
	global_load_dwordx4 v[18:21], v[14:15], off offset:16
	v_pk_mul_f32 v[78:79], s[0:1], v[60:61] op_sel_hi:[0,1]
	v_mfma_f32_16x16x16f16 v[10:13], v[2:3], v[6:7], v[10:13]
	v_or_b32_e32 v2, 0x800, v76
	v_mov_b32_e32 v3, s9
	v_add_co_u32_e32 v91, vcc, s8, v2
	v_addc_co_u32_e32 v84, vcc, 0, v3, vcc
	v_add_co_u32_e32 v2, vcc, v91, v70
	v_mfma_f32_16x16x16f16 v[10:13], v[4:5], v[8:9], v[10:13]
	v_addc_co_u32_e32 v3, vcc, v84, v71, vcc
	v_add_co_u32_e32 v70, vcc, v91, v72
	v_addc_co_u32_e32 v71, vcc, v84, v73, vcc
	global_load_dwordx4 v[6:9], v[2:3], off
	s_nop 0
	global_load_dwordx4 v[2:5], v[2:3], off offset:16
	v_mfma_f32_16x16x16f16 v[92:95], v[50:51], v[54:55], v[10:13]
	global_load_dwordx4 v[14:17], v[70:71], off
	s_nop 5
	global_load_dwordx4 v[10:13], v[70:71], off offset:16
	v_pk_mul_f32 v[70:71], s[0:1], v[68:69] op_sel_hi:[0,1]
	v_pk_mul_f32 v[72:73], s[0:1], v[66:67] op_sel_hi:[0,1]
	;; [unrolled: 1-line block ×4, first 2 shown]
	v_mfma_f32_16x16x16f16 v[50:53], v[52:53], v[56:57], v[92:95]
	s_nop 7
	s_nop 2
	v_pk_mul_f32 v[68:69], s[0:1], v[50:51] op_sel_hi:[0,1]
	v_and_b32_e32 v50, 0xc0, v0
	v_add_u32_e32 v50, s16, v50
	v_lshl_or_b32 v50, v1, 2, v50
	v_or_b32_e32 v51, 1, v50
	v_pk_mul_f32 v[66:67], s[0:1], v[52:53] op_sel_hi:[0,1]
	v_subrev_u32_e32 v52, s33, v51
	v_add_u32_e32 v54, 1, v52
	v_add_u32_e32 v55, 2, v52
	v_cvt_f32_i32_e32 v53, v52
	v_cvt_f32_i32_e32 v54, v54
	;; [unrolled: 1-line block ×3, first 2 shown]
	v_add_u32_e32 v56, 3, v52
	v_fma_f32 v58, v89, v53, v58
	v_fmac_f32_e32 v59, v89, v54
	v_fma_f32 v78, v89, v55, v78
	v_add_u32_e32 v53, 16, v52
	v_add_u32_e32 v54, 17, v52
	;; [unrolled: 1-line block ×3, first 2 shown]
	v_cvt_f32_i32_e32 v56, v56
	v_cvt_f32_i32_e32 v53, v53
	;; [unrolled: 1-line block ×4, first 2 shown]
	v_fmac_f32_e32 v79, v89, v56
	v_add_u32_e32 v56, 19, v52
	v_fma_f32 v76, v89, v53, v76
	v_fmac_f32_e32 v77, v89, v54
	v_fma_f32 v74, v89, v55, v74
	v_add_u32_e32 v53, 32, v52
	v_add_u32_e32 v54, 33, v52
	;; [unrolled: 1-line block ×3, first 2 shown]
	v_cvt_f32_i32_e32 v56, v56
	v_cvt_f32_i32_e32 v53, v53
	;; [unrolled: 1-line block ×4, first 2 shown]
	v_fmac_f32_e32 v75, v89, v56
	v_add_u32_e32 v56, 35, v52
	v_fma_f32 v72, v89, v53, v72
	v_fmac_f32_e32 v73, v89, v54
	v_fma_f32 v70, v89, v55, v70
	v_add_u32_e32 v53, 48, v52
	v_add_u32_e32 v54, 49, v52
	;; [unrolled: 1-line block ×4, first 2 shown]
	v_cvt_f32_i32_e32 v52, v52
	v_cvt_f32_i32_e32 v53, v53
	;; [unrolled: 1-line block ×3, first 2 shown]
	v_cmp_gt_i32_e64 s[28:29], s33, v50
	v_fmac_f32_e32 v67, v89, v52
	v_mov_b32_e32 v52, 0xff7fffff
	v_cmp_gt_i32_e64 s[30:31], s33, v51
	v_fma_f32 v68, v89, v53, v68
	v_cndmask_b32_e64 v53, v52, v58, s[28:29]
	v_cndmask_b32_e64 v51, v52, v59, s[30:31]
	v_fmac_f32_e32 v69, v89, v54
	v_max3_f32 v51, v53, s40, v51
	v_or_b32_e32 v53, 2, v50
	v_or_b32_e32 v54, 3, v50
	v_cmp_gt_i32_e64 s[34:35], s33, v53
	v_cmp_gt_i32_e64 s[36:37], s33, v54
	v_cndmask_b32_e64 v53, v52, v78, s[34:35]
	v_cndmask_b32_e64 v54, v52, v79, s[36:37]
	v_max3_f32 v51, v51, v53, v54
	v_or_b32_e32 v53, 16, v50
	v_or_b32_e32 v54, 17, v50
	v_cmp_gt_i32_e64 s[22:23], s33, v53
	v_cmp_gt_i32_e64 s[24:25], s33, v54
	v_cndmask_b32_e64 v53, v52, v76, s[22:23]
	v_cndmask_b32_e64 v54, v52, v77, s[24:25]
	;; [unrolled: 7-line block ×3, first 2 shown]
	v_cvt_f32_i32_e32 v56, v56
	v_max3_f32 v51, v51, v53, v54
	v_or_b32_e32 v53, 32, v50
	v_or_b32_e32 v54, 33, v50
	v_cmp_gt_i32_e64 s[14:15], s33, v53
	v_cmp_gt_i32_e64 s[16:17], s33, v54
	v_cndmask_b32_e64 v53, v52, v72, s[14:15]
	v_cndmask_b32_e64 v54, v52, v73, s[16:17]
	v_max3_f32 v51, v51, v53, v54
	v_or_b32_e32 v53, 34, v50
	v_or_b32_e32 v54, 35, v50
	v_fmac_f32_e32 v71, v89, v56
	v_cmp_gt_i32_e64 s[10:11], s33, v53
	v_cmp_gt_i32_e64 s[12:13], s33, v54
	v_cndmask_b32_e64 v53, v52, v70, s[10:11]
	v_cndmask_b32_e64 v54, v52, v71, s[12:13]
	v_cvt_f32_i32_e32 v55, v55
	v_max3_f32 v51, v51, v53, v54
	v_or_b32_e32 v53, 48, v50
	v_or_b32_e32 v54, 49, v50
	v_cmp_gt_i32_e64 s[2:3], s33, v53
	v_cmp_gt_i32_e64 s[8:9], s33, v54
	v_cndmask_b32_e64 v53, v52, v68, s[2:3]
	v_cndmask_b32_e64 v54, v52, v69, s[8:9]
	v_max3_f32 v51, v51, v53, v54
	v_or_b32_e32 v53, 50, v50
	v_or_b32_e32 v50, 51, v50
	v_fma_f32 v66, v89, v55, v66
	v_cmp_gt_i32_e32 vcc, s33, v53
	v_cmp_gt_i32_e64 s[0:1], s33, v50
	v_cndmask_b32_e32 v53, v52, v66, vcc
	v_cndmask_b32_e64 v50, v52, v67, s[0:1]
	v_max3_f32 v60, v51, v53, v50
	v_mbcnt_lo_u32_b32 v50, -1, 0
	v_mbcnt_hi_u32_b32 v61, -1, v50
	v_and_b32_e32 v50, 64, v61
	v_add_u32_e32 v62, 64, v50
	v_xor_b32_e32 v50, 32, v61
	v_cmp_lt_i32_e64 s[38:39], v50, v62
	v_cndmask_b32_e64 v50, v61, v50, s[38:39]
	v_lshlrev_b32_e32 v89, 2, v50
	ds_bpermute_b32 v63, v89, v60
	v_add_co_u32_e64 v50, s[38:39], v91, v82
	v_addc_co_u32_e64 v51, s[38:39], v84, v83, s[38:39]
	s_waitcnt lgkmcnt(0)
	v_max_f32_e32 v63, v63, v63
	v_max_f32_e32 v63, v60, v63
	v_xor_b32_e32 v60, 16, v61
	v_cmp_lt_i32_e64 s[38:39], v60, v62
	v_cndmask_b32_e64 v60, v61, v60, s[38:39]
	v_lshlrev_b32_e32 v92, 2, v60
	ds_bpermute_b32 v62, v92, v63
	v_add_co_u32_e64 v60, s[38:39], v91, v80
	v_addc_co_u32_e64 v61, s[38:39], v84, v81, s[38:39]
	s_waitcnt lgkmcnt(0)
	v_max_f32_e32 v62, v62, v62
	v_max_f32_e32 v82, v63, v62
	v_sub_f32_e32 v58, v58, v82
	v_mul_f32_e32 v58, 0x3fb8aa3b, v58
	v_exp_f32_e32 v80, v58
	v_sub_f32_e32 v58, v59, v82
	v_mul_f32_e32 v58, 0x3fb8aa3b, v58
	global_load_dwordx4 v[54:57], v[50:51], off
	s_nop 0
	global_load_dwordx4 v[50:53], v[50:51], off offset:16
	v_exp_f32_e32 v81, v58
	global_load_dwordx4 v[62:65], v[60:61], off
	s_nop 0
	global_load_dwordx4 v[58:61], v[60:61], off offset:16
	v_sub_f32_e32 v78, v78, v82
	v_mul_f32_e32 v78, 0x3fb8aa3b, v78
	v_sub_f32_e32 v79, v79, v82
	v_exp_f32_e32 v78, v78
	v_mul_f32_e32 v79, 0x3fb8aa3b, v79
	v_sub_f32_e32 v76, v76, v82
	v_exp_f32_e32 v79, v79
	v_mul_f32_e32 v76, 0x3fb8aa3b, v76
	v_sub_f32_e32 v77, v77, v82
	v_cndmask_b32_e64 v80, 0, v80, s[28:29]
	v_exp_f32_e32 v76, v76
	v_mul_f32_e32 v77, 0x3fb8aa3b, v77
	v_sub_f32_e32 v74, v74, v82
	v_add_f32_e32 v83, 0, v80
	v_cndmask_b32_e64 v81, 0, v81, s[30:31]
	v_exp_f32_e32 v77, v77
	v_mul_f32_e32 v74, 0x3fb8aa3b, v74
	v_sub_f32_e32 v75, v75, v82
	v_add_f32_e32 v83, v83, v81
	;; [unrolled: 5-line block ×10, first 2 shown]
	v_cndmask_b32_e64 v70, 0, v70, s[10:11]
	v_exp_f32_e32 v66, v66
	v_mul_f32_e32 v67, 0x3fb8aa3b, v67
	v_add_f32_e32 v83, v83, v70
	v_cndmask_b32_e64 v71, 0, v71, s[12:13]
	v_exp_f32_e32 v67, v67
	v_add_f32_e32 v83, v83, v71
	v_cndmask_b32_e64 v68, 0, v68, s[2:3]
	v_add_f32_e32 v83, v83, v68
	v_cndmask_b32_e64 v69, 0, v69, s[8:9]
	v_add_f32_e32 v83, v83, v69
	v_cndmask_b32_e32 v66, 0, v66, vcc
	v_add_f32_e32 v83, v83, v66
	v_cndmask_b32_e64 v67, 0, v67, s[0:1]
	v_add_f32_e32 v83, v83, v67
	ds_bpermute_b32 v84, v89, v83
	s_load_dword s3, s[4:5], 0x98
	v_cmp_gt_u32_e32 vcc, 16, v88
	s_waitcnt lgkmcnt(0)
	s_barrier
	v_add_f32_e32 v83, v83, v84
	ds_bpermute_b32 v89, v92, v83
	s_waitcnt lgkmcnt(0)
	s_and_saveexec_b64 s[0:1], vcc
	s_cbranch_execz .LBB103_15
; %bb.14:
	v_add_f32_e32 v83, v83, v89
	v_lshlrev_b32_e32 v84, 2, v90
	ds_write2st64_b32 v84, v82, v83 offset1:1
.LBB103_15:
	s_or_b64 exec, exec, s[0:1]
	v_lshlrev_b32_e32 v83, 2, v85
	s_load_dword s2, s[4:5], 0x94
	s_waitcnt lgkmcnt(0)
	s_barrier
	ds_read2_b32 v[88:89], v83 offset1:16
	ds_read2_b32 v[90:91], v83 offset0:32 offset1:48
	ds_read2_b32 v[92:93], v83 offset0:64 offset1:80
	s_lshl_b32 s3, s3, 3
	s_waitcnt lgkmcnt(2)
	v_max3_f32 v82, v88, s40, v89
	s_waitcnt lgkmcnt(1)
	v_max3_f32 v82, v82, v90, v91
	v_sub_f32_e32 v84, v88, v82
	v_sub_f32_e32 v88, v89, v82
	v_mul_f32_e32 v88, 0x3fb8aa3b, v88
	v_mul_f32_e32 v84, 0x3fb8aa3b, v84
	v_exp_f32_e32 v94, v88
	v_sub_f32_e32 v88, v90, v82
	v_exp_f32_e32 v84, v84
	v_mul_f32_e32 v88, 0x3fb8aa3b, v88
	v_exp_f32_e32 v90, v88
	ds_read2_b32 v[88:89], v83 offset0:96 offset1:112
	v_sub_f32_e32 v83, v91, v82
	v_mul_f32_e32 v83, 0x3fb8aa3b, v83
	v_exp_f32_e32 v91, v83
	s_waitcnt lgkmcnt(1)
	v_fma_f32 v83, v84, v92, 0
	v_fmac_f32_e32 v83, v94, v93
	s_waitcnt lgkmcnt(0)
	v_fmac_f32_e32 v83, v90, v88
	v_fmac_f32_e32 v83, v91, v89
	v_add_f32_e32 v88, 0x358637bd, v83
	v_div_scale_f32 v89, s[0:1], v88, v88, 1.0
	v_rcp_f32_e32 v92, v89
	s_barrier
	v_fma_f32 v93, -v89, v92, 1.0
	v_fmac_f32_e32 v92, v93, v92
	v_div_scale_f32 v93, vcc, 1.0, v88, 1.0
	v_mul_f32_e32 v95, v93, v92
	v_fma_f32 v86, -v89, v95, v93
	v_fmac_f32_e32 v95, v86, v92
	v_fma_f32 v86, -v89, v95, v93
	v_div_fmas_f32 v86, v86, v92, v95
	v_cmp_eq_u32_e32 vcc, 1, v87
	v_cndmask_b32_e32 v84, v84, v94, vcc
	v_cmp_eq_u32_e32 vcc, 2, v87
	v_cndmask_b32_e32 v84, v84, v90, vcc
	v_cmp_eq_u32_e32 vcc, 3, v87
	v_div_fixup_f32 v86, v86, v88, 1.0
	v_cndmask_b32_e32 v84, v84, v91, vcc
	v_mul_f32_e32 v88, v84, v86
	v_pk_mul_f32 v[78:79], v[88:89], v[78:79] op_sel_hi:[0,1]
	v_pk_mul_f32 v[80:81], v[88:89], v[80:81] op_sel_hi:[0,1]
	v_cvt_f16_f32_e32 v80, v80
	v_cvt_f16_f32_e32 v81, v81
	;; [unrolled: 1-line block ×4, first 2 shown]
	v_pk_mul_f32 v[74:75], v[88:89], v[74:75] op_sel_hi:[0,1]
	v_pk_mul_f32 v[76:77], v[88:89], v[76:77] op_sel_hi:[0,1]
	v_cvt_f16_f32_e32 v76, v76
	v_cvt_f16_f32_e32 v77, v77
	v_cvt_f16_f32_e32 v84, v74
	v_cvt_f16_f32_e32 v75, v75
	v_pack_b32_f16 v80, v80, v81
	v_pack_b32_f16 v81, v78, v79
	v_lshlrev_b32_e32 v79, 3, v1
	v_lshlrev_b32_e32 v78, 5, v85
	;; [unrolled: 1-line block ×3, first 2 shown]
	v_or3_b32 v74, v74, v78, v79
	v_pack_b32_f16 v76, v76, v77
	v_pack_b32_f16 v77, v84, v75
	v_pk_mul_f32 v[70:71], v[88:89], v[70:71] op_sel_hi:[0,1]
	v_pk_mul_f32 v[72:73], v[88:89], v[72:73] op_sel_hi:[0,1]
	;; [unrolled: 1-line block ×4, first 2 shown]
	ds_write2st64_b64 v74, v[80:81], v[76:77] offset1:1
	v_cvt_f16_f32_e32 v72, v72
	v_cvt_f16_f32_e32 v73, v73
	;; [unrolled: 1-line block ×8, first 2 shown]
	v_pack_b32_f16 v66, v72, v73
	v_pack_b32_f16 v67, v70, v71
	v_pack_b32_f16 v68, v68, v69
	v_pack_b32_f16 v69, v75, v76
	v_cmp_gt_u32_e32 vcc, 8, v0
	ds_write2st64_b64 v74, v[66:67], v[68:69] offset0:2 offset1:3
	s_and_saveexec_b64 s[0:1], vcc
	s_cbranch_execz .LBB103_17
; %bb.16:
	v_or_b32_e32 v66, s27, v0
	v_mov_b32_e32 v67, 0
	v_mov_b32_e32 v68, s3
	v_mad_u64_u32 v[68:69], s[12:13], s6, v68, v[66:67]
	v_mov_b32_e32 v66, s26
	s_load_dwordx4 s[8:11], s[4:5], 0x58
	s_mul_i32 s7, s7, s3
	v_mad_u64_u32 v[66:67], s[12:13], v68, s2, v[66:67]
	v_add_u32_e32 v69, s7, v69
	v_mov_b32_e32 v68, v67
	v_mad_u64_u32 v[68:69], s[12:13], v69, s2, v[68:69]
	v_mov_b32_e32 v67, v68
	v_lshlrev_b64 v[66:67], 2, v[66:67]
	s_waitcnt lgkmcnt(0)
	v_mov_b32_e32 v69, s11
	v_add_co_u32_e32 v68, vcc, s10, v66
	v_addc_co_u32_e32 v69, vcc, v69, v67, vcc
	global_store_dword v[68:69], v82, off
	v_mov_b32_e32 v68, s9
	v_add_co_u32_e32 v66, vcc, s8, v66
	v_addc_co_u32_e32 v67, vcc, v68, v67, vcc
	global_store_dword v[66:67], v83, off
.LBB103_17:
	s_or_b64 exec, exec, s[0:1]
	v_lshl_or_b32 v75, v1, 9, v78
	s_waitcnt lgkmcnt(0)
	s_barrier
	ds_read_b128 v[70:73], v75
	ds_read_b128 v[66:69], v75 offset:16
	s_waitcnt vmcnt(15) lgkmcnt(1)
	v_mfma_f32_16x16x16f16 v[76:79], v[46:47], v[70:71], 0
	s_mov_b32 s1, 0
	v_cmp_gt_u32_e32 vcc, 64, v0
	v_mfma_f32_16x16x16f16 v[46:49], v[48:49], v[72:73], v[76:79]
	s_waitcnt vmcnt(14) lgkmcnt(0)
	v_mfma_f32_16x16x16f16 v[46:49], v[42:43], v[66:67], v[46:49]
	v_mfma_f32_16x16x16f16 v[42:45], v[44:45], v[68:69], v[46:49]
	s_nop 7
	s_nop 1
	ds_read_b128 v[46:49], v75 offset:2048
	ds_read_b128 v[76:79], v75 offset:2064
	s_waitcnt vmcnt(13) lgkmcnt(1)
	v_mfma_f32_16x16x16f16 v[42:45], v[38:39], v[46:47], v[42:45]
	v_mfma_f32_16x16x16f16 v[38:41], v[40:41], v[48:49], v[42:45]
	s_waitcnt vmcnt(12) lgkmcnt(0)
	v_mfma_f32_16x16x16f16 v[38:41], v[34:35], v[76:77], v[38:41]
	v_mfma_f32_16x16x16f16 v[34:37], v[36:37], v[78:79], v[38:41]
	s_nop 7
	s_nop 1
	ds_read_b128 v[38:41], v75 offset:4096
	ds_read_b128 v[42:45], v75 offset:4112
	s_waitcnt vmcnt(11) lgkmcnt(1)
	v_mfma_f32_16x16x16f16 v[34:37], v[30:31], v[38:39], v[34:37]
	v_mfma_f32_16x16x16f16 v[30:33], v[32:33], v[40:41], v[34:37]
	s_waitcnt vmcnt(10) lgkmcnt(0)
	v_mfma_f32_16x16x16f16 v[30:33], v[26:27], v[42:43], v[30:33]
	v_mfma_f32_16x16x16f16 v[26:29], v[28:29], v[44:45], v[30:33]
	s_nop 7
	s_nop 1
	ds_read_b128 v[30:33], v75 offset:6144
	ds_read_b128 v[34:37], v75 offset:6160
	s_waitcnt lgkmcnt(0)
	s_barrier
	s_waitcnt vmcnt(9)
	v_mfma_f32_16x16x16f16 v[26:29], v[22:23], v[30:31], v[26:29]
	v_mfma_f32_16x16x16f16 v[22:25], v[24:25], v[32:33], v[26:29]
	s_waitcnt vmcnt(8)
	v_mfma_f32_16x16x16f16 v[22:25], v[18:19], v[34:35], v[22:25]
	v_mfma_f32_16x16x16f16 v[18:21], v[20:21], v[36:37], v[22:25]
	;; [unrolled: 3-line block ×4, first 2 shown]
	s_waitcnt vmcnt(5)
	v_mfma_f32_16x16x16f16 v[2:5], v[14:15], v[46:47], v[2:5]
	s_nop 7
	v_cvt_f16_f32_e32 v6, v18
	v_cvt_f16_f32_e32 v7, v19
	;; [unrolled: 1-line block ×4, first 2 shown]
	v_mfma_f32_16x16x16f16 v[2:5], v[16:17], v[48:49], v[2:5]
	s_waitcnt vmcnt(4)
	v_mfma_f32_16x16x16f16 v[2:5], v[10:11], v[76:77], v[2:5]
	v_mfma_f32_16x16x16f16 v[2:5], v[12:13], v[78:79], v[2:5]
	s_waitcnt vmcnt(3)
	v_mfma_f32_16x16x16f16 v[2:5], v[54:55], v[38:39], v[2:5]
	;; [unrolled: 3-line block ×5, first 2 shown]
	v_mfma_f32_16x16x16f16 v[2:5], v[60:61], v[36:37], v[2:5]
	s_nop 7
	s_nop 2
	v_cvt_f16_f32_e32 v10, v2
	v_cvt_f16_f32_e32 v11, v3
	;; [unrolled: 1-line block ×4, first 2 shown]
	v_pack_b32_f16 v2, v6, v7
	v_pack_b32_f16 v3, v8, v9
	;; [unrolled: 1-line block ×4, first 2 shown]
	ds_write2st64_b64 v74, v[2:3], v[4:5] offset1:1
	s_waitcnt lgkmcnt(0)
	s_barrier
	s_and_saveexec_b64 s[8:9], vcc
	s_cbranch_execz .LBB103_19
; %bb.18:
	v_lshlrev_b32_e32 v4, 6, v85
	v_lshlrev_b32_e32 v3, 4, v0
	v_lshl_or_b32 v0, v0, 10, v4
	v_lshlrev_b32_e32 v2, 5, v1
	v_and_b32_e32 v3, 16, v3
	v_and_b32_e32 v0, 0x1a00, v0
	v_or3_b32 v0, v0, v2, v3
	ds_read_b128 v[2:5], v0
	ds_read_b128 v[6:9], v0 offset:128
	buffer_load_dword v10, off, s[44:47], 0 ; 4-byte Folded Reload
	s_load_dwordx2 s[4:5], s[4:5], 0x68
	s_lshl_b32 s7, s2, 7
	s_mul_i32 s0, s3, s6
	s_mul_hi_u32 s3, s0, s7
	s_mul_i32 s2, s0, s7
	s_lshl_b64 s[2:3], s[2:3], 1
	s_waitcnt lgkmcnt(0)
	s_add_u32 s2, s4, s2
	s_addc_u32 s3, s5, s3
	s_lshl_b32 s0, s26, 7
	s_lshl_b64 s[0:1], s[0:1], 1
	s_add_u32 s0, s2, s0
	s_addc_u32 s1, s3, s1
	v_mov_b32_e32 v0, s1
	v_or_b32_e32 v12, s27, v1
	s_waitcnt vmcnt(0)
	v_add_co_u32_e32 v10, vcc, s0, v10
	v_addc_co_u32_e32 v11, vcc, 0, v0, vcc
	v_mad_u64_u32 v[0:1], s[0:1], v12, s7, 0
	v_lshlrev_b64 v[0:1], 1, v[0:1]
	v_add_co_u32_e32 v0, vcc, v10, v0
	v_addc_co_u32_e32 v1, vcc, v11, v1, vcc
	global_store_dwordx4 v[0:1], v[2:5], off
	v_or_b32_e32 v0, 4, v12
	v_mad_u64_u32 v[0:1], s[0:1], v0, s7, 0
	v_lshlrev_b64 v[0:1], 1, v[0:1]
	v_add_co_u32_e32 v0, vcc, v10, v0
	v_addc_co_u32_e32 v1, vcc, v11, v1, vcc
	global_store_dwordx4 v[0:1], v[6:9], off
.LBB103_19:
	s_endpgm
	.section	.rodata,"a",@progbits
	.p2align	6, 0x0
	.amdhsa_kernel _Z39paged_attention_ll4mi_QKV_mfma16_kernelIDF16_DF16_LN4vllm18Fp8KVCacheDataTypeE0EDF16_Li16ELi128ELi256ELb1ELi8EL8MFMAType0EEvPKT_PKT0_S8_ifPKiSA_SA_iPKfiiiPfSD_PS3_PT2_iSC_SC_
		.amdhsa_group_segment_fixed_size 8192
		.amdhsa_private_segment_fixed_size 8
		.amdhsa_kernarg_size 400
		.amdhsa_user_sgpr_count 6
		.amdhsa_user_sgpr_private_segment_buffer 1
		.amdhsa_user_sgpr_dispatch_ptr 0
		.amdhsa_user_sgpr_queue_ptr 0
		.amdhsa_user_sgpr_kernarg_segment_ptr 1
		.amdhsa_user_sgpr_dispatch_id 0
		.amdhsa_user_sgpr_flat_scratch_init 0
		.amdhsa_user_sgpr_kernarg_preload_length 0
		.amdhsa_user_sgpr_kernarg_preload_offset 0
		.amdhsa_user_sgpr_private_segment_size 0
		.amdhsa_uses_dynamic_stack 0
		.amdhsa_system_sgpr_private_segment_wavefront_offset 1
		.amdhsa_system_sgpr_workgroup_id_x 1
		.amdhsa_system_sgpr_workgroup_id_y 1
		.amdhsa_system_sgpr_workgroup_id_z 1
		.amdhsa_system_sgpr_workgroup_info 0
		.amdhsa_system_vgpr_workitem_id 0
		.amdhsa_next_free_vgpr 96
		.amdhsa_next_free_sgpr 48
		.amdhsa_accum_offset 96
		.amdhsa_reserve_vcc 1
		.amdhsa_reserve_flat_scratch 0
		.amdhsa_float_round_mode_32 0
		.amdhsa_float_round_mode_16_64 0
		.amdhsa_float_denorm_mode_32 3
		.amdhsa_float_denorm_mode_16_64 3
		.amdhsa_dx10_clamp 1
		.amdhsa_ieee_mode 1
		.amdhsa_fp16_overflow 0
		.amdhsa_tg_split 0
		.amdhsa_exception_fp_ieee_invalid_op 0
		.amdhsa_exception_fp_denorm_src 0
		.amdhsa_exception_fp_ieee_div_zero 0
		.amdhsa_exception_fp_ieee_overflow 0
		.amdhsa_exception_fp_ieee_underflow 0
		.amdhsa_exception_fp_ieee_inexact 0
		.amdhsa_exception_int_div_zero 0
	.end_amdhsa_kernel
	.section	.text._Z39paged_attention_ll4mi_QKV_mfma16_kernelIDF16_DF16_LN4vllm18Fp8KVCacheDataTypeE0EDF16_Li16ELi128ELi256ELb1ELi8EL8MFMAType0EEvPKT_PKT0_S8_ifPKiSA_SA_iPKfiiiPfSD_PS3_PT2_iSC_SC_,"axG",@progbits,_Z39paged_attention_ll4mi_QKV_mfma16_kernelIDF16_DF16_LN4vllm18Fp8KVCacheDataTypeE0EDF16_Li16ELi128ELi256ELb1ELi8EL8MFMAType0EEvPKT_PKT0_S8_ifPKiSA_SA_iPKfiiiPfSD_PS3_PT2_iSC_SC_,comdat
.Lfunc_end103:
	.size	_Z39paged_attention_ll4mi_QKV_mfma16_kernelIDF16_DF16_LN4vllm18Fp8KVCacheDataTypeE0EDF16_Li16ELi128ELi256ELb1ELi8EL8MFMAType0EEvPKT_PKT0_S8_ifPKiSA_SA_iPKfiiiPfSD_PS3_PT2_iSC_SC_, .Lfunc_end103-_Z39paged_attention_ll4mi_QKV_mfma16_kernelIDF16_DF16_LN4vllm18Fp8KVCacheDataTypeE0EDF16_Li16ELi128ELi256ELb1ELi8EL8MFMAType0EEvPKT_PKT0_S8_ifPKiSA_SA_iPKfiiiPfSD_PS3_PT2_iSC_SC_
                                        ; -- End function
	.section	.AMDGPU.csdata,"",@progbits
; Kernel info:
; codeLenInByte = 4860
; NumSgprs: 52
; NumVgprs: 96
; NumAgprs: 0
; TotalNumVgprs: 96
; ScratchSize: 8
; MemoryBound: 0
; FloatMode: 240
; IeeeMode: 1
; LDSByteSize: 8192 bytes/workgroup (compile time only)
; SGPRBlocks: 6
; VGPRBlocks: 11
; NumSGPRsForWavesPerEU: 52
; NumVGPRsForWavesPerEU: 96
; AccumOffset: 96
; Occupancy: 5
; WaveLimiterHint : 1
; COMPUTE_PGM_RSRC2:SCRATCH_EN: 1
; COMPUTE_PGM_RSRC2:USER_SGPR: 6
; COMPUTE_PGM_RSRC2:TRAP_HANDLER: 0
; COMPUTE_PGM_RSRC2:TGID_X_EN: 1
; COMPUTE_PGM_RSRC2:TGID_Y_EN: 1
; COMPUTE_PGM_RSRC2:TGID_Z_EN: 1
; COMPUTE_PGM_RSRC2:TIDIG_COMP_CNT: 0
; COMPUTE_PGM_RSRC3_GFX90A:ACCUM_OFFSET: 23
; COMPUTE_PGM_RSRC3_GFX90A:TG_SPLIT: 0
	.section	.text._Z39paged_attention_ll4mi_QKV_mfma16_kernelIDF16_DF16_LN4vllm18Fp8KVCacheDataTypeE0EDF16_Li16ELi128ELi256ELb1ELi9EL8MFMAType0EEvPKT_PKT0_S8_ifPKiSA_SA_iPKfiiiPfSD_PS3_PT2_iSC_SC_,"axG",@progbits,_Z39paged_attention_ll4mi_QKV_mfma16_kernelIDF16_DF16_LN4vllm18Fp8KVCacheDataTypeE0EDF16_Li16ELi128ELi256ELb1ELi9EL8MFMAType0EEvPKT_PKT0_S8_ifPKiSA_SA_iPKfiiiPfSD_PS3_PT2_iSC_SC_,comdat
	.protected	_Z39paged_attention_ll4mi_QKV_mfma16_kernelIDF16_DF16_LN4vllm18Fp8KVCacheDataTypeE0EDF16_Li16ELi128ELi256ELb1ELi9EL8MFMAType0EEvPKT_PKT0_S8_ifPKiSA_SA_iPKfiiiPfSD_PS3_PT2_iSC_SC_ ; -- Begin function _Z39paged_attention_ll4mi_QKV_mfma16_kernelIDF16_DF16_LN4vllm18Fp8KVCacheDataTypeE0EDF16_Li16ELi128ELi256ELb1ELi9EL8MFMAType0EEvPKT_PKT0_S8_ifPKiSA_SA_iPKfiiiPfSD_PS3_PT2_iSC_SC_
	.globl	_Z39paged_attention_ll4mi_QKV_mfma16_kernelIDF16_DF16_LN4vllm18Fp8KVCacheDataTypeE0EDF16_Li16ELi128ELi256ELb1ELi9EL8MFMAType0EEvPKT_PKT0_S8_ifPKiSA_SA_iPKfiiiPfSD_PS3_PT2_iSC_SC_
	.p2align	8
	.type	_Z39paged_attention_ll4mi_QKV_mfma16_kernelIDF16_DF16_LN4vllm18Fp8KVCacheDataTypeE0EDF16_Li16ELi128ELi256ELb1ELi9EL8MFMAType0EEvPKT_PKT0_S8_ifPKiSA_SA_iPKfiiiPfSD_PS3_PT2_iSC_SC_,@function
_Z39paged_attention_ll4mi_QKV_mfma16_kernelIDF16_DF16_LN4vllm18Fp8KVCacheDataTypeE0EDF16_Li16ELi128ELi256ELb1ELi9EL8MFMAType0EEvPKT_PKT0_S8_ifPKiSA_SA_iPKfiiiPfSD_PS3_PT2_iSC_SC_: ; @_Z39paged_attention_ll4mi_QKV_mfma16_kernelIDF16_DF16_LN4vllm18Fp8KVCacheDataTypeE0EDF16_Li16ELi128ELi256ELb1ELi9EL8MFMAType0EEvPKT_PKT0_S8_ifPKiSA_SA_iPKfiiiPfSD_PS3_PT2_iSC_SC_
; %bb.0:
	s_mov_b64 s[46:47], s[2:3]
	s_mov_b64 s[44:45], s[0:1]
	s_load_dwordx2 s[0:1], s[4:5], 0x30
	s_add_u32 s44, s44, s9
	s_addc_u32 s45, s45, 0
	s_mov_b32 s26, s7
	s_mov_b64 s[10:11], 0
	s_waitcnt lgkmcnt(0)
	s_cmp_lg_u64 s[0:1], 0
	s_cselect_b64 s[2:3], -1, 0
	s_and_b64 vcc, exec, s[2:3]
	s_cbranch_vccz .LBB104_7
; %bb.1:
	s_add_i32 s12, s6, 1
	s_mov_b32 s13, 0
	s_lshl_b64 s[14:15], s[12:13], 2
	s_add_u32 s14, s0, s14
	s_mov_b32 s7, s13
	s_addc_u32 s15, s1, s15
	s_lshl_b64 s[12:13], s[6:7], 2
	s_add_u32 s12, s0, s12
	s_addc_u32 s13, s1, s13
	s_load_dword s9, s[14:15], 0x0
	s_load_dword s16, s[12:13], 0x0
	s_waitcnt lgkmcnt(0)
	s_sub_i32 s9, s9, s16
	s_cmp_eq_u32 s9, 1
	s_cselect_b64 s[12:13], -1, 0
	s_andn2_b64 vcc, exec, s[10:11]
	s_cbranch_vccnz .LBB104_3
.LBB104_2:
	s_mov_b32 s7, 0
	s_mov_b64 s[12:13], -1
.LBB104_3:
	s_andn2_b64 vcc, exec, s[12:13]
	s_cbranch_vccnz .LBB104_20
; %bb.4:
	s_load_dwordx2 s[12:13], s[4:5], 0x28
	s_lshl_b64 s[10:11], s[6:7], 2
	s_waitcnt lgkmcnt(0)
	s_add_u32 s12, s12, s10
	s_addc_u32 s13, s13, s11
	s_load_dword s33, s[12:13], 0x0
	s_lshl_b32 s16, s26, 8
	s_waitcnt lgkmcnt(0)
	s_cmp_ge_i32 s16, s33
	s_cbranch_scc1 .LBB104_20
; %bb.5:
	s_add_i32 s14, s33, 15
	s_load_dwordx2 s[12:13], s[4:5], 0x20
	s_load_dword s9, s[4:5], 0x38
	s_ashr_i32 s15, s14, 31
	v_and_b32_e32 v1, 0xcf, v0
	s_lshr_b32 s15, s15, 28
	v_add_u32_e32 v1, s16, v1
	s_add_i32 s14, s14, s15
	v_ashrrev_i32_e32 v2, 31, v1
	s_ashr_i32 s19, s14, 4
	v_lshrrev_b32_e32 v4, 28, v2
	s_add_i32 s19, s19, -1
	v_add_u32_e32 v2, v1, v4
	s_waitcnt lgkmcnt(0)
	s_mul_i32 s14, s6, s9
	s_mov_b32 s15, 0
	v_ashrrev_i32_e32 v2, 4, v2
	v_mov_b32_e32 v5, s19
	v_cmp_gt_i32_e32 vcc, s33, v1
	s_lshl_b64 s[14:15], s[14:15], 2
	v_cndmask_b32_e32 v2, v5, v2, vcc
	s_add_u32 s17, s12, s14
	v_ashrrev_i32_e32 v3, 31, v2
	s_addc_u32 s18, s13, s15
	v_lshlrev_b64 v[2:3], 2, v[2:3]
	v_mov_b32_e32 v7, s18
	v_add_co_u32_e32 v6, vcc, s17, v2
	v_or_b32_e32 v2, 16, v1
	v_addc_co_u32_e32 v7, vcc, v7, v3, vcc
	v_add_u32_e32 v3, v2, v4
	v_ashrrev_i32_e32 v3, 4, v3
	v_cmp_gt_i32_e32 vcc, s33, v2
	v_cndmask_b32_e32 v2, v5, v3, vcc
	v_ashrrev_i32_e32 v3, 31, v2
	v_lshlrev_b64 v[2:3], 2, v[2:3]
	v_mov_b32_e32 v9, s18
	v_add_co_u32_e32 v8, vcc, s17, v2
	v_or_b32_e32 v2, 32, v1
	v_addc_co_u32_e32 v9, vcc, v9, v3, vcc
	v_add_u32_e32 v3, v2, v4
	v_ashrrev_i32_e32 v3, 4, v3
	v_cmp_gt_i32_e32 vcc, s33, v2
	v_cndmask_b32_e32 v2, v5, v3, vcc
	v_ashrrev_i32_e32 v3, 31, v2
	;; [unrolled: 10-line block ×3, first 2 shown]
	v_lshlrev_b64 v[2:3], 2, v[2:3]
	v_mov_b32_e32 v1, s18
	v_add_co_u32_e32 v12, vcc, s17, v2
	v_addc_co_u32_e32 v13, vcc, v1, v3, vcc
	global_load_dword v5, v[6:7], off
	global_load_dword v4, v[8:9], off
	;; [unrolled: 1-line block ×4, first 2 shown]
	s_load_dwordx2 s[12:13], s[4:5], 0x8
	s_andn2_b64 vcc, exec, s[2:3]
	s_cbranch_vccnz .LBB104_8
; %bb.6:
	s_add_u32 s0, s0, s10
	s_addc_u32 s1, s1, s11
	s_load_dword s9, s[0:1], 0x0
	s_branch .LBB104_9
.LBB104_7:
	s_mov_b64 s[12:13], 0
	s_branch .LBB104_2
.LBB104_8:
	s_mov_b32 s9, s6
.LBB104_9:
	s_load_dwordx2 s[10:11], s[4:5], 0x10
	s_load_dwordx4 s[0:3], s[4:5], 0x48
	v_lshrrev_b32_e32 v87, 6, v0
	v_bfe_u32 v1, v0, 4, 2
	v_and_b32_e32 v85, 15, v0
	v_lshl_or_b32 v6, v87, 2, v1
	v_lshlrev_b32_e32 v7, 3, v85
	s_mul_i32 s27, s8, 9
	v_cmp_gt_u32_e32 vcc, 9, v6
	v_lshlrev_b32_e32 v7, 1, v7
	buffer_store_dword v7, off, s[44:47], 0 ; 4-byte Folded Spill
	s_and_saveexec_b64 s[14:15], vcc
	s_cbranch_execz .LBB104_11
; %bb.10:
	s_load_dwordx2 s[20:21], s[4:5], 0x0
	s_waitcnt lgkmcnt(0)
	s_ashr_i32 s3, s0, 31
	s_mul_hi_u32 s22, s9, s0
	s_mul_i32 s3, s9, s3
	s_add_i32 s23, s22, s3
	s_mul_i32 s22, s9, s0
	s_lshl_b64 s[22:23], s[22:23], 1
	v_add_lshl_u32 v8, v6, s27, 7
	s_add_u32 s0, s20, s22
	v_ashrrev_i32_e32 v9, 31, v8
	s_addc_u32 s3, s21, s23
	v_lshlrev_b64 v[8:9], 1, v[8:9]
	v_mov_b32_e32 v7, s3
	v_add_co_u32_e32 v8, vcc, s0, v8
	v_addc_co_u32_e32 v7, vcc, v7, v9, vcc
	buffer_load_dword v9, off, s[44:47], 0  ; 4-byte Folded Reload
	v_lshlrev_b32_e32 v12, 9, v85
	v_lshlrev_b32_e32 v6, 5, v6
	v_and_b32_e32 v12, 0x1800, v12
	s_waitcnt vmcnt(0)
	v_add_co_u32_e32 v8, vcc, v8, v9
	v_addc_co_u32_e32 v9, vcc, 0, v7, vcc
	global_load_dwordx4 v[8:11], v[8:9], off
	v_and_b32_e32 v7, 3, v0
	v_lshlrev_b32_e32 v7, 9, v7
	v_or3_b32 v6, v12, v7, v6
	s_waitcnt vmcnt(0)
	ds_write_b128 v6, v[8:11]
.LBB104_11:
	s_or_b64 exec, exec, s[14:15]
	s_waitcnt lgkmcnt(0)
	s_mul_i32 s2, s8, s2
	s_mov_b32 s3, 0
	s_lshl_b64 s[2:3], s[2:3], 1
	s_add_u32 s0, s12, s2
	v_lshlrev_b32_e32 v10, 4, v0
	s_addc_u32 s8, s13, s3
	v_and_b32_e32 v6, 0xf0, v10
	v_mov_b32_e32 v7, s8
	v_add_co_u32_e32 v8, vcc, s0, v6
	v_addc_co_u32_e32 v9, vcc, 0, v7, vcc
	s_waitcnt vmcnt(4)
	v_mad_i64_i32 v[6:7], s[8:9], v5, s1, 0
	v_lshlrev_b64 v[6:7], 1, v[6:7]
	v_add_co_u32_e32 v5, vcc, v8, v6
	v_addc_co_u32_e32 v7, vcc, v9, v7, vcc
	v_and_b32_e32 v10, 0x300, v10
	v_add_co_u32_e32 v6, vcc, v5, v10
	s_waitcnt vmcnt(3)
	v_mad_i64_i32 v[4:5], s[8:9], v4, s1, 0
	v_addc_co_u32_e32 v7, vcc, 0, v7, vcc
	v_lshlrev_b64 v[4:5], 1, v[4:5]
	v_add_co_u32_e32 v4, vcc, v8, v4
	v_addc_co_u32_e32 v5, vcc, v9, v5, vcc
	v_add_co_u32_e32 v4, vcc, v4, v10
	v_addc_co_u32_e32 v5, vcc, 0, v5, vcc
	s_barrier
	global_load_dwordx4 v[74:77], v[6:7], off
	global_load_dwordx4 v[66:69], v[6:7], off offset:1024
	global_load_dwordx4 v[58:61], v[6:7], off offset:2048
	;; [unrolled: 1-line block ×3, first 2 shown]
	global_load_dwordx4 v[78:81], v[4:5], off
	global_load_dwordx4 v[70:73], v[4:5], off offset:1024
	global_load_dwordx4 v[62:65], v[4:5], off offset:2048
	;; [unrolled: 1-line block ×3, first 2 shown]
	s_waitcnt vmcnt(10)
	v_mad_i64_i32 v[4:5], s[8:9], v3, s1, 0
	v_lshlrev_b64 v[4:5], 1, v[4:5]
	v_add_co_u32_e32 v3, vcc, v8, v4
	v_addc_co_u32_e32 v5, vcc, v9, v5, vcc
	v_add_co_u32_e32 v4, vcc, v3, v10
	s_waitcnt vmcnt(9)
	v_mad_i64_i32 v[2:3], s[8:9], v2, s1, 0
	v_addc_co_u32_e32 v5, vcc, 0, v5, vcc
	v_lshlrev_b64 v[2:3], 1, v[2:3]
	v_add_co_u32_e32 v2, vcc, v8, v2
	v_addc_co_u32_e32 v3, vcc, v9, v3, vcc
	v_add_co_u32_e32 v6, vcc, v2, v10
	v_addc_co_u32_e32 v7, vcc, 0, v3, vcc
	global_load_dwordx4 v[38:41], v[4:5], off
	global_load_dwordx4 v[34:37], v[4:5], off offset:1024
	global_load_dwordx4 v[30:33], v[4:5], off offset:2048
	;; [unrolled: 1-line block ×3, first 2 shown]
	global_load_dwordx4 v[18:21], v[6:7], off
	global_load_dwordx4 v[10:13], v[6:7], off offset:1024
	s_nop 0
	global_load_dwordx4 v[2:5], v[6:7], off offset:2048
	global_load_dwordx4 v[50:53], v[6:7], off offset:3072
	v_add_u32_e32 v6, -9, v85
	v_cmp_gt_u32_e32 vcc, 9, v85
	v_cndmask_b32_e32 v6, v6, v85, vcc
	v_lshlrev_b32_e32 v6, 5, v6
	v_lshl_add_u32 v54, v1, 9, v6
	ds_read_b128 v[26:29], v54
	ds_read_b128 v[14:17], v54 offset:2048
	ds_read_b128 v[6:9], v54 offset:4096
	ds_read_b128 v[54:57], v54 offset:6144
	v_and_b32_e32 v88, 63, v0
	v_mov_b32_e32 v89, 0
	s_and_saveexec_b64 s[8:9], vcc
	s_cbranch_execz .LBB104_13
; %bb.12:
	s_load_dwordx2 s[12:13], s[4:5], 0x40
	v_add_u32_e32 v82, s27, v85
	v_ashrrev_i32_e32 v83, 31, v82
	v_lshlrev_b64 v[82:83], 2, v[82:83]
	s_waitcnt lgkmcnt(0)
	v_mov_b32_e32 v89, s13
	v_add_co_u32_e32 v82, vcc, s12, v82
	v_addc_co_u32_e32 v83, vcc, v89, v83, vcc
	global_load_dword v89, v[82:83], off
.LBB104_13:
	s_or_b64 exec, exec, s[8:9]
	s_waitcnt vmcnt(15) lgkmcnt(3)
	v_mfma_f32_16x16x16f16 v[90:93], v[74:75], v[26:27], 0
	s_add_u32 s8, s10, s2
	s_addc_u32 s9, s11, s3
	s_load_dword s0, s[4:5], 0x1c
	s_mov_b32 s40, 0xff7fffff
	v_mfma_f32_16x16x16f16 v[74:77], v[76:77], v[28:29], v[90:93]
	s_waitcnt vmcnt(14) lgkmcnt(0)
	v_mfma_f32_16x16x16f16 v[74:77], v[66:67], v[14:15], v[74:77]
	s_nop 4
	v_lshl_or_b32 v90, v87, 4, v85
	v_mfma_f32_16x16x16f16 v[66:69], v[68:69], v[16:17], v[74:77]
	s_waitcnt vmcnt(13)
	v_mfma_f32_16x16x16f16 v[66:69], v[58:59], v[6:7], v[66:69]
	s_nop 4
	v_lshlrev_b32_e32 v76, 5, v90
	v_mfma_f32_16x16x16f16 v[58:61], v[60:61], v[8:9], v[66:69]
	s_waitcnt vmcnt(12)
	v_mfma_f32_16x16x16f16 v[58:61], v[42:43], v[54:55], v[58:61]
	s_nop 4
	v_mov_b32_e32 v66, s18
	v_mfma_f32_16x16x16f16 v[58:61], v[44:45], v[56:57], v[58:61]
	s_waitcnt vmcnt(11)
	v_mfma_f32_16x16x16f16 v[42:45], v[78:79], v[26:27], 0
	s_nop 7
	s_nop 0
	v_pk_mul_f32 v[58:59], s[0:1], v[58:59] op_sel_hi:[0,1]
	v_mfma_f32_16x16x16f16 v[42:45], v[80:81], v[28:29], v[42:45]
	s_waitcnt vmcnt(10)
	v_mfma_f32_16x16x16f16 v[42:45], v[70:71], v[14:15], v[42:45]
	v_mfma_f32_16x16x16f16 v[42:45], v[72:73], v[16:17], v[42:45]
	s_waitcnt vmcnt(9)
	v_mfma_f32_16x16x16f16 v[42:45], v[62:63], v[6:7], v[42:45]
	;; [unrolled: 3-line block ×3, first 2 shown]
	v_mfma_f32_16x16x16f16 v[62:65], v[48:49], v[56:57], v[42:45]
	v_and_or_b32 v48, v0, 48, s16
	v_mov_b32_e32 v49, s19
	v_cmp_gt_i32_e32 vcc, s33, v48
	s_waitcnt vmcnt(7)
	v_mfma_f32_16x16x16f16 v[42:45], v[38:39], v[26:27], 0
	v_ashrrev_i32_e32 v38, 4, v48
	v_cndmask_b32_e32 v38, v49, v38, vcc
	v_ashrrev_i32_e32 v39, 31, v38
	v_lshlrev_b64 v[46:47], 2, v[38:39]
	v_mfma_f32_16x16x16f16 v[38:41], v[40:41], v[28:29], v[42:45]
	s_nop 6
	v_add_co_u32_e32 v42, vcc, s17, v46
	v_addc_co_u32_e32 v43, vcc, v66, v47, vcc
	global_load_dword v44, v[42:43], off
	v_or_b32_e32 v42, 64, v48
	v_ashrrev_i32_e32 v43, 4, v42
	v_cmp_gt_i32_e32 vcc, s33, v42
	v_cndmask_b32_e32 v42, v49, v43, vcc
	s_waitcnt vmcnt(7)
	v_mfma_f32_16x16x16f16 v[38:41], v[34:35], v[14:15], v[38:41]
	v_ashrrev_i32_e32 v43, 31, v42
	v_lshlrev_b64 v[34:35], 2, v[42:43]
	v_mov_b32_e32 v42, s18
	v_add_co_u32_e32 v34, vcc, s17, v34
	v_addc_co_u32_e32 v35, vcc, v42, v35, vcc
	global_load_dword v72, v[34:35], off
	v_mfma_f32_16x16x16f16 v[34:37], v[36:37], v[16:17], v[38:41]
	s_nop 6
	v_or_b32_e32 v38, 0x80, v48
	v_ashrrev_i32_e32 v39, 4, v38
	v_cmp_gt_i32_e32 vcc, s33, v38
	v_cndmask_b32_e32 v38, v49, v39, vcc
	v_ashrrev_i32_e32 v39, 31, v38
	v_lshlrev_b64 v[38:39], 2, v[38:39]
	v_mov_b32_e32 v40, s18
	s_waitcnt vmcnt(7)
	v_mfma_f32_16x16x16f16 v[34:37], v[30:31], v[6:7], v[34:37]
	v_add_co_u32_e32 v30, vcc, s17, v38
	v_addc_co_u32_e32 v31, vcc, v40, v39, vcc
	global_load_dword v74, v[30:31], off
	v_or_b32_e32 v30, 0xc0, v48
	v_ashrrev_i32_e32 v31, 4, v30
	v_cmp_gt_i32_e32 vcc, s33, v30
	v_cndmask_b32_e32 v38, v49, v31, vcc
	v_ashrrev_i32_e32 v39, 31, v38
	v_mfma_f32_16x16x16f16 v[30:33], v[32:33], v[8:9], v[34:37]
	s_nop 6
	v_lshlrev_b64 v[34:35], 2, v[38:39]
	v_mov_b32_e32 v36, s18
	v_add_co_u32_e32 v34, vcc, s17, v34
	v_addc_co_u32_e32 v35, vcc, v36, v35, vcc
	global_load_dword v75, v[34:35], off
	s_waitcnt vmcnt(8)
	v_mfma_f32_16x16x16f16 v[30:33], v[22:23], v[54:55], v[30:33]
	v_mov_b32_e32 v22, s9
	v_add_co_u32_e32 v77, vcc, s8, v76
	v_addc_co_u32_e32 v78, vcc, 0, v22, vcc
	s_waitcnt vmcnt(3)
	v_mad_i64_i32 v[22:23], s[2:3], v44, s1, 0
	v_mfma_f32_16x16x16f16 v[66:69], v[24:25], v[56:57], v[30:33]
	v_lshlrev_b64 v[70:71], 1, v[22:23]
	v_mfma_f32_16x16x16f16 v[22:25], v[18:19], v[26:27], 0
	v_add_co_u32_e32 v18, vcc, v77, v70
	v_addc_co_u32_e32 v19, vcc, v78, v71, vcc
	global_load_dwordx4 v[46:49], v[18:19], off
	global_load_dwordx4 v[42:45], v[18:19], off offset:16
	s_waitcnt vmcnt(4)
	v_mad_i64_i32 v[18:19], s[2:3], v72, s1, 0
	v_lshlrev_b64 v[72:73], 1, v[18:19]
	v_mfma_f32_16x16x16f16 v[18:21], v[20:21], v[28:29], v[22:25]
	v_mfma_f32_16x16x16f16 v[18:21], v[10:11], v[14:15], v[18:21]
	s_nop 5
	v_add_co_u32_e32 v22, vcc, v77, v72
	v_addc_co_u32_e32 v23, vcc, v78, v73, vcc
	global_load_dwordx4 v[38:41], v[22:23], off
	global_load_dwordx4 v[34:37], v[22:23], off offset:16
	s_waitcnt vmcnt(5)
	v_mad_i64_i32 v[22:23], s[2:3], v74, s1, 0
	v_lshlrev_b64 v[82:83], 1, v[22:23]
	v_add_co_u32_e32 v10, vcc, v77, v82
	v_addc_co_u32_e32 v11, vcc, v78, v83, vcc
	global_load_dwordx4 v[30:33], v[10:11], off
	global_load_dwordx4 v[26:29], v[10:11], off offset:16
	v_mfma_f32_16x16x16f16 v[10:13], v[12:13], v[16:17], v[18:21]
	s_waitcnt vmcnt(6)
	v_mad_i64_i32 v[14:15], s[2:3], v75, s1, 0
	v_mfma_f32_16x16x16f16 v[10:13], v[2:3], v[6:7], v[10:13]
	v_lshlrev_b64 v[80:81], 1, v[14:15]
	v_add_co_u32_e32 v14, vcc, v77, v80
	v_addc_co_u32_e32 v15, vcc, v78, v81, vcc
	v_or_b32_e32 v2, 0x800, v76
	v_mov_b32_e32 v3, s9
	v_mfma_f32_16x16x16f16 v[10:13], v[4:5], v[8:9], v[10:13]
	v_add_co_u32_e32 v91, vcc, s8, v2
	v_addc_co_u32_e32 v84, vcc, 0, v3, vcc
	v_add_co_u32_e32 v2, vcc, v91, v70
	v_addc_co_u32_e32 v3, vcc, v84, v71, vcc
	v_mfma_f32_16x16x16f16 v[92:95], v[50:51], v[54:55], v[10:13]
	v_add_co_u32_e32 v70, vcc, v91, v72
	v_addc_co_u32_e32 v71, vcc, v84, v73, vcc
	global_load_dwordx4 v[22:25], v[14:15], off
	global_load_dwordx4 v[18:21], v[14:15], off offset:16
	global_load_dwordx4 v[6:9], v[2:3], off
	s_nop 0
	global_load_dwordx4 v[2:5], v[2:3], off offset:16
	s_nop 0
	global_load_dwordx4 v[14:17], v[70:71], off
	global_load_dwordx4 v[10:13], v[70:71], off offset:16
	v_mfma_f32_16x16x16f16 v[50:53], v[52:53], v[56:57], v[92:95]
	v_pk_mul_f32 v[70:71], s[0:1], v[68:69] op_sel_hi:[0,1]
	v_pk_mul_f32 v[72:73], s[0:1], v[66:67] op_sel_hi:[0,1]
	;; [unrolled: 1-line block ×5, first 2 shown]
	s_nop 5
	v_pk_mul_f32 v[68:69], s[0:1], v[50:51] op_sel_hi:[0,1]
	v_and_b32_e32 v50, 0xc0, v0
	v_add_u32_e32 v50, s16, v50
	v_lshl_or_b32 v50, v1, 2, v50
	v_or_b32_e32 v51, 1, v50
	v_pk_mul_f32 v[66:67], s[0:1], v[52:53] op_sel_hi:[0,1]
	v_subrev_u32_e32 v52, s33, v51
	v_add_u32_e32 v54, 1, v52
	v_add_u32_e32 v55, 2, v52
	v_cvt_f32_i32_e32 v53, v52
	v_cvt_f32_i32_e32 v54, v54
	;; [unrolled: 1-line block ×3, first 2 shown]
	v_add_u32_e32 v56, 3, v52
	v_fma_f32 v58, v89, v53, v58
	v_fmac_f32_e32 v59, v89, v54
	v_fma_f32 v78, v89, v55, v78
	v_add_u32_e32 v53, 16, v52
	v_add_u32_e32 v54, 17, v52
	;; [unrolled: 1-line block ×3, first 2 shown]
	v_cvt_f32_i32_e32 v56, v56
	v_cvt_f32_i32_e32 v53, v53
	;; [unrolled: 1-line block ×4, first 2 shown]
	v_fmac_f32_e32 v79, v89, v56
	v_add_u32_e32 v56, 19, v52
	v_fma_f32 v76, v89, v53, v76
	v_fmac_f32_e32 v77, v89, v54
	v_fma_f32 v74, v89, v55, v74
	v_add_u32_e32 v53, 32, v52
	v_add_u32_e32 v54, 33, v52
	;; [unrolled: 1-line block ×3, first 2 shown]
	v_cvt_f32_i32_e32 v56, v56
	v_cvt_f32_i32_e32 v53, v53
	;; [unrolled: 1-line block ×4, first 2 shown]
	v_fmac_f32_e32 v75, v89, v56
	v_add_u32_e32 v56, 35, v52
	v_fma_f32 v72, v89, v53, v72
	v_fmac_f32_e32 v73, v89, v54
	v_fma_f32 v70, v89, v55, v70
	v_add_u32_e32 v53, 48, v52
	v_add_u32_e32 v54, 49, v52
	;; [unrolled: 1-line block ×4, first 2 shown]
	v_cvt_f32_i32_e32 v52, v52
	v_cvt_f32_i32_e32 v53, v53
	;; [unrolled: 1-line block ×3, first 2 shown]
	v_cmp_gt_i32_e64 s[28:29], s33, v50
	v_fmac_f32_e32 v67, v89, v52
	v_mov_b32_e32 v52, 0xff7fffff
	v_cmp_gt_i32_e64 s[30:31], s33, v51
	v_fma_f32 v68, v89, v53, v68
	v_cndmask_b32_e64 v53, v52, v58, s[28:29]
	v_cndmask_b32_e64 v51, v52, v59, s[30:31]
	v_fmac_f32_e32 v69, v89, v54
	v_max3_f32 v51, v53, s40, v51
	v_or_b32_e32 v53, 2, v50
	v_or_b32_e32 v54, 3, v50
	v_cmp_gt_i32_e64 s[34:35], s33, v53
	v_cmp_gt_i32_e64 s[36:37], s33, v54
	v_cndmask_b32_e64 v53, v52, v78, s[34:35]
	v_cndmask_b32_e64 v54, v52, v79, s[36:37]
	v_max3_f32 v51, v51, v53, v54
	v_or_b32_e32 v53, 16, v50
	v_or_b32_e32 v54, 17, v50
	v_cmp_gt_i32_e64 s[22:23], s33, v53
	v_cmp_gt_i32_e64 s[24:25], s33, v54
	v_cndmask_b32_e64 v53, v52, v76, s[22:23]
	v_cndmask_b32_e64 v54, v52, v77, s[24:25]
	;; [unrolled: 7-line block ×3, first 2 shown]
	v_cvt_f32_i32_e32 v56, v56
	v_max3_f32 v51, v51, v53, v54
	v_or_b32_e32 v53, 32, v50
	v_or_b32_e32 v54, 33, v50
	v_cmp_gt_i32_e64 s[14:15], s33, v53
	v_cmp_gt_i32_e64 s[16:17], s33, v54
	v_cndmask_b32_e64 v53, v52, v72, s[14:15]
	v_cndmask_b32_e64 v54, v52, v73, s[16:17]
	v_max3_f32 v51, v51, v53, v54
	v_or_b32_e32 v53, 34, v50
	v_or_b32_e32 v54, 35, v50
	v_fmac_f32_e32 v71, v89, v56
	v_cmp_gt_i32_e64 s[10:11], s33, v53
	v_cmp_gt_i32_e64 s[12:13], s33, v54
	v_cndmask_b32_e64 v53, v52, v70, s[10:11]
	v_cndmask_b32_e64 v54, v52, v71, s[12:13]
	v_cvt_f32_i32_e32 v55, v55
	v_max3_f32 v51, v51, v53, v54
	v_or_b32_e32 v53, 48, v50
	v_or_b32_e32 v54, 49, v50
	v_cmp_gt_i32_e64 s[2:3], s33, v53
	v_cmp_gt_i32_e64 s[8:9], s33, v54
	v_cndmask_b32_e64 v53, v52, v68, s[2:3]
	v_cndmask_b32_e64 v54, v52, v69, s[8:9]
	v_max3_f32 v51, v51, v53, v54
	v_or_b32_e32 v53, 50, v50
	v_or_b32_e32 v50, 51, v50
	v_fma_f32 v66, v89, v55, v66
	v_cmp_gt_i32_e32 vcc, s33, v53
	v_cmp_gt_i32_e64 s[0:1], s33, v50
	v_cndmask_b32_e32 v53, v52, v66, vcc
	v_cndmask_b32_e64 v50, v52, v67, s[0:1]
	v_max3_f32 v60, v51, v53, v50
	v_mbcnt_lo_u32_b32 v50, -1, 0
	v_mbcnt_hi_u32_b32 v61, -1, v50
	v_and_b32_e32 v50, 64, v61
	v_add_u32_e32 v62, 64, v50
	v_xor_b32_e32 v50, 32, v61
	v_cmp_lt_i32_e64 s[38:39], v50, v62
	v_cndmask_b32_e64 v50, v61, v50, s[38:39]
	v_lshlrev_b32_e32 v89, 2, v50
	ds_bpermute_b32 v63, v89, v60
	v_add_co_u32_e64 v50, s[38:39], v91, v82
	v_addc_co_u32_e64 v51, s[38:39], v84, v83, s[38:39]
	s_waitcnt lgkmcnt(0)
	v_max_f32_e32 v63, v63, v63
	v_max_f32_e32 v63, v60, v63
	v_xor_b32_e32 v60, 16, v61
	v_cmp_lt_i32_e64 s[38:39], v60, v62
	v_cndmask_b32_e64 v60, v61, v60, s[38:39]
	v_lshlrev_b32_e32 v92, 2, v60
	ds_bpermute_b32 v62, v92, v63
	v_add_co_u32_e64 v60, s[38:39], v91, v80
	v_addc_co_u32_e64 v61, s[38:39], v84, v81, s[38:39]
	s_waitcnt lgkmcnt(0)
	v_max_f32_e32 v62, v62, v62
	v_max_f32_e32 v82, v63, v62
	v_sub_f32_e32 v58, v58, v82
	v_mul_f32_e32 v58, 0x3fb8aa3b, v58
	v_exp_f32_e32 v80, v58
	v_sub_f32_e32 v58, v59, v82
	v_mul_f32_e32 v58, 0x3fb8aa3b, v58
	global_load_dwordx4 v[54:57], v[50:51], off
	s_nop 0
	global_load_dwordx4 v[50:53], v[50:51], off offset:16
	v_exp_f32_e32 v81, v58
	global_load_dwordx4 v[62:65], v[60:61], off
	s_nop 0
	global_load_dwordx4 v[58:61], v[60:61], off offset:16
	v_sub_f32_e32 v78, v78, v82
	v_mul_f32_e32 v78, 0x3fb8aa3b, v78
	v_sub_f32_e32 v79, v79, v82
	v_exp_f32_e32 v78, v78
	v_mul_f32_e32 v79, 0x3fb8aa3b, v79
	v_sub_f32_e32 v76, v76, v82
	v_exp_f32_e32 v79, v79
	v_mul_f32_e32 v76, 0x3fb8aa3b, v76
	v_sub_f32_e32 v77, v77, v82
	v_cndmask_b32_e64 v80, 0, v80, s[28:29]
	v_exp_f32_e32 v76, v76
	v_mul_f32_e32 v77, 0x3fb8aa3b, v77
	v_sub_f32_e32 v74, v74, v82
	v_add_f32_e32 v83, 0, v80
	v_cndmask_b32_e64 v81, 0, v81, s[30:31]
	v_exp_f32_e32 v77, v77
	v_mul_f32_e32 v74, 0x3fb8aa3b, v74
	v_sub_f32_e32 v75, v75, v82
	v_add_f32_e32 v83, v83, v81
	;; [unrolled: 5-line block ×10, first 2 shown]
	v_cndmask_b32_e64 v70, 0, v70, s[10:11]
	v_exp_f32_e32 v66, v66
	v_mul_f32_e32 v67, 0x3fb8aa3b, v67
	v_add_f32_e32 v83, v83, v70
	v_cndmask_b32_e64 v71, 0, v71, s[12:13]
	v_exp_f32_e32 v67, v67
	v_add_f32_e32 v83, v83, v71
	v_cndmask_b32_e64 v68, 0, v68, s[2:3]
	v_add_f32_e32 v83, v83, v68
	v_cndmask_b32_e64 v69, 0, v69, s[8:9]
	v_add_f32_e32 v83, v83, v69
	v_cndmask_b32_e32 v66, 0, v66, vcc
	v_add_f32_e32 v83, v83, v66
	v_cndmask_b32_e64 v67, 0, v67, s[0:1]
	v_add_f32_e32 v83, v83, v67
	ds_bpermute_b32 v84, v89, v83
	s_load_dword s9, s[4:5], 0x98
	v_cmp_gt_u32_e64 s[0:1], 16, v88
	s_waitcnt lgkmcnt(0)
	s_barrier
	v_add_f32_e32 v83, v83, v84
	ds_bpermute_b32 v89, v92, v83
	s_waitcnt lgkmcnt(0)
	s_and_saveexec_b64 s[2:3], s[0:1]
	s_cbranch_execz .LBB104_15
; %bb.14:
	v_add_f32_e32 v83, v83, v89
	v_lshlrev_b32_e32 v84, 2, v90
	ds_write2st64_b32 v84, v82, v83 offset1:1
.LBB104_15:
	s_or_b64 exec, exec, s[2:3]
	v_lshlrev_b32_e32 v83, 2, v85
	s_load_dword s8, s[4:5], 0x94
	s_waitcnt lgkmcnt(0)
	s_barrier
	ds_read2_b32 v[88:89], v83 offset1:16
	ds_read2_b32 v[90:91], v83 offset0:32 offset1:48
	ds_read2_b32 v[92:93], v83 offset0:64 offset1:80
	s_mul_i32 s9, s9, 9
	s_waitcnt lgkmcnt(2)
	v_max3_f32 v82, v88, s40, v89
	s_waitcnt lgkmcnt(1)
	v_max3_f32 v82, v82, v90, v91
	v_sub_f32_e32 v84, v88, v82
	v_sub_f32_e32 v88, v89, v82
	v_mul_f32_e32 v88, 0x3fb8aa3b, v88
	v_mul_f32_e32 v84, 0x3fb8aa3b, v84
	v_exp_f32_e32 v94, v88
	v_sub_f32_e32 v88, v90, v82
	v_exp_f32_e32 v84, v84
	v_mul_f32_e32 v88, 0x3fb8aa3b, v88
	v_exp_f32_e32 v90, v88
	ds_read2_b32 v[88:89], v83 offset0:96 offset1:112
	v_sub_f32_e32 v83, v91, v82
	v_mul_f32_e32 v83, 0x3fb8aa3b, v83
	v_exp_f32_e32 v91, v83
	s_waitcnt lgkmcnt(1)
	v_fma_f32 v83, v84, v92, 0
	v_fmac_f32_e32 v83, v94, v93
	s_waitcnt lgkmcnt(0)
	v_fmac_f32_e32 v83, v90, v88
	v_fmac_f32_e32 v83, v91, v89
	v_add_f32_e32 v88, 0x358637bd, v83
	v_div_scale_f32 v89, s[2:3], v88, v88, 1.0
	v_rcp_f32_e32 v92, v89
	s_barrier
	v_fma_f32 v93, -v89, v92, 1.0
	v_fmac_f32_e32 v92, v93, v92
	v_div_scale_f32 v93, vcc, 1.0, v88, 1.0
	v_mul_f32_e32 v95, v93, v92
	v_fma_f32 v86, -v89, v95, v93
	v_fmac_f32_e32 v95, v86, v92
	v_fma_f32 v86, -v89, v95, v93
	v_div_fmas_f32 v86, v86, v92, v95
	v_cmp_eq_u32_e32 vcc, 1, v87
	v_cndmask_b32_e32 v84, v84, v94, vcc
	v_cmp_eq_u32_e32 vcc, 2, v87
	v_cndmask_b32_e32 v84, v84, v90, vcc
	v_cmp_eq_u32_e32 vcc, 3, v87
	v_div_fixup_f32 v86, v86, v88, 1.0
	v_cndmask_b32_e32 v84, v84, v91, vcc
	v_mul_f32_e32 v88, v84, v86
	v_pk_mul_f32 v[78:79], v[88:89], v[78:79] op_sel_hi:[0,1]
	v_pk_mul_f32 v[80:81], v[88:89], v[80:81] op_sel_hi:[0,1]
	v_cvt_f16_f32_e32 v80, v80
	v_cvt_f16_f32_e32 v81, v81
	;; [unrolled: 1-line block ×4, first 2 shown]
	v_pk_mul_f32 v[74:75], v[88:89], v[74:75] op_sel_hi:[0,1]
	v_pk_mul_f32 v[76:77], v[88:89], v[76:77] op_sel_hi:[0,1]
	v_cvt_f16_f32_e32 v76, v76
	v_cvt_f16_f32_e32 v77, v77
	v_cvt_f16_f32_e32 v84, v74
	v_cvt_f16_f32_e32 v75, v75
	v_pack_b32_f16 v80, v80, v81
	v_pack_b32_f16 v81, v78, v79
	v_lshlrev_b32_e32 v79, 3, v1
	v_lshlrev_b32_e32 v78, 5, v85
	;; [unrolled: 1-line block ×3, first 2 shown]
	v_or3_b32 v74, v74, v78, v79
	v_pack_b32_f16 v76, v76, v77
	v_pack_b32_f16 v77, v84, v75
	v_pk_mul_f32 v[70:71], v[88:89], v[70:71] op_sel_hi:[0,1]
	v_pk_mul_f32 v[72:73], v[88:89], v[72:73] op_sel_hi:[0,1]
	;; [unrolled: 1-line block ×4, first 2 shown]
	ds_write2st64_b64 v74, v[80:81], v[76:77] offset1:1
	v_cvt_f16_f32_e32 v72, v72
	v_cvt_f16_f32_e32 v73, v73
	;; [unrolled: 1-line block ×8, first 2 shown]
	v_pack_b32_f16 v66, v72, v73
	v_pack_b32_f16 v67, v70, v71
	;; [unrolled: 1-line block ×4, first 2 shown]
	v_cmp_gt_u32_e32 vcc, 9, v0
	ds_write2st64_b64 v74, v[66:67], v[68:69] offset0:2 offset1:3
	s_and_saveexec_b64 s[2:3], vcc
	s_cbranch_execz .LBB104_17
; %bb.16:
	v_add_co_u32_e32 v68, vcc, s27, v85
	v_addc_co_u32_e64 v69, s[10:11], 0, 0, vcc
	v_mov_b32_e32 v66, s9
	v_mov_b32_e32 v67, 0
	v_mad_u64_u32 v[68:69], s[10:11], s6, v66, v[68:69]
	v_mov_b32_e32 v66, s26
	s_load_dwordx4 s[12:15], s[4:5], 0x58
	s_mul_i32 s7, s7, s9
	v_mad_u64_u32 v[66:67], s[10:11], v68, s8, v[66:67]
	v_add_u32_e32 v69, s7, v69
	v_mov_b32_e32 v68, v67
	v_mad_u64_u32 v[68:69], s[10:11], v69, s8, v[68:69]
	v_mov_b32_e32 v67, v68
	v_lshlrev_b64 v[66:67], 2, v[66:67]
	s_waitcnt lgkmcnt(0)
	v_mov_b32_e32 v69, s15
	v_add_co_u32_e32 v68, vcc, s14, v66
	v_addc_co_u32_e32 v69, vcc, v69, v67, vcc
	global_store_dword v[68:69], v82, off
	v_mov_b32_e32 v68, s13
	v_add_co_u32_e32 v66, vcc, s12, v66
	v_addc_co_u32_e32 v67, vcc, v68, v67, vcc
	global_store_dword v[66:67], v83, off
.LBB104_17:
	s_or_b64 exec, exec, s[2:3]
	v_lshl_or_b32 v75, v1, 9, v78
	s_waitcnt lgkmcnt(0)
	s_barrier
	ds_read_b128 v[70:73], v75
	ds_read_b128 v[66:69], v75 offset:16
	s_waitcnt vmcnt(15) lgkmcnt(1)
	v_mfma_f32_16x16x16f16 v[76:79], v[46:47], v[70:71], 0
	s_mov_b32 s3, 0
	v_cmp_gt_u32_e32 vcc, 64, v0
	v_mfma_f32_16x16x16f16 v[46:49], v[48:49], v[72:73], v[76:79]
	s_waitcnt vmcnt(14) lgkmcnt(0)
	v_mfma_f32_16x16x16f16 v[46:49], v[42:43], v[66:67], v[46:49]
	v_mfma_f32_16x16x16f16 v[42:45], v[44:45], v[68:69], v[46:49]
	s_nop 7
	s_nop 1
	ds_read_b128 v[46:49], v75 offset:2048
	ds_read_b128 v[76:79], v75 offset:2064
	s_waitcnt vmcnt(13) lgkmcnt(1)
	v_mfma_f32_16x16x16f16 v[42:45], v[38:39], v[46:47], v[42:45]
	v_mfma_f32_16x16x16f16 v[38:41], v[40:41], v[48:49], v[42:45]
	s_waitcnt vmcnt(12) lgkmcnt(0)
	v_mfma_f32_16x16x16f16 v[38:41], v[34:35], v[76:77], v[38:41]
	v_mfma_f32_16x16x16f16 v[34:37], v[36:37], v[78:79], v[38:41]
	s_nop 7
	s_nop 1
	ds_read_b128 v[38:41], v75 offset:4096
	ds_read_b128 v[42:45], v75 offset:4112
	s_waitcnt vmcnt(11) lgkmcnt(1)
	v_mfma_f32_16x16x16f16 v[34:37], v[30:31], v[38:39], v[34:37]
	v_mfma_f32_16x16x16f16 v[30:33], v[32:33], v[40:41], v[34:37]
	s_waitcnt vmcnt(10) lgkmcnt(0)
	v_mfma_f32_16x16x16f16 v[30:33], v[26:27], v[42:43], v[30:33]
	v_mfma_f32_16x16x16f16 v[26:29], v[28:29], v[44:45], v[30:33]
	s_nop 7
	s_nop 1
	ds_read_b128 v[30:33], v75 offset:6144
	ds_read_b128 v[34:37], v75 offset:6160
	s_waitcnt lgkmcnt(0)
	s_barrier
	s_waitcnt vmcnt(9)
	v_mfma_f32_16x16x16f16 v[26:29], v[22:23], v[30:31], v[26:29]
	v_mfma_f32_16x16x16f16 v[22:25], v[24:25], v[32:33], v[26:29]
	s_waitcnt vmcnt(8)
	v_mfma_f32_16x16x16f16 v[22:25], v[18:19], v[34:35], v[22:25]
	v_mfma_f32_16x16x16f16 v[18:21], v[20:21], v[36:37], v[22:25]
	;; [unrolled: 3-line block ×4, first 2 shown]
	s_waitcnt vmcnt(5)
	v_mfma_f32_16x16x16f16 v[2:5], v[14:15], v[46:47], v[2:5]
	s_nop 7
	v_cvt_f16_f32_e32 v6, v18
	v_cvt_f16_f32_e32 v7, v19
	;; [unrolled: 1-line block ×4, first 2 shown]
	v_mfma_f32_16x16x16f16 v[2:5], v[16:17], v[48:49], v[2:5]
	s_waitcnt vmcnt(4)
	v_mfma_f32_16x16x16f16 v[2:5], v[10:11], v[76:77], v[2:5]
	v_mfma_f32_16x16x16f16 v[2:5], v[12:13], v[78:79], v[2:5]
	s_waitcnt vmcnt(3)
	v_mfma_f32_16x16x16f16 v[2:5], v[54:55], v[38:39], v[2:5]
	;; [unrolled: 3-line block ×5, first 2 shown]
	v_mfma_f32_16x16x16f16 v[2:5], v[60:61], v[36:37], v[2:5]
	s_nop 7
	s_nop 2
	v_cvt_f16_f32_e32 v10, v2
	v_cvt_f16_f32_e32 v11, v3
	;; [unrolled: 1-line block ×4, first 2 shown]
	v_pack_b32_f16 v2, v6, v7
	v_pack_b32_f16 v3, v8, v9
	;; [unrolled: 1-line block ×4, first 2 shown]
	ds_write2st64_b64 v74, v[2:3], v[4:5] offset1:1
	s_waitcnt lgkmcnt(0)
	s_barrier
	s_and_saveexec_b64 s[10:11], vcc
	s_cbranch_execz .LBB104_20
; %bb.18:
	v_lshlrev_b32_e32 v4, 6, v85
	v_lshlrev_b32_e32 v3, 4, v0
	v_lshl_or_b32 v0, v0, 10, v4
	v_lshlrev_b32_e32 v2, 5, v1
	v_and_b32_e32 v3, 16, v3
	v_and_b32_e32 v0, 0x1a00, v0
	v_or3_b32 v0, v0, v2, v3
	buffer_load_dword v2, off, s[44:47], 0  ; 4-byte Folded Reload
	s_load_dwordx2 s[10:11], s[4:5], 0x68
	s_lshl_b32 s4, s8, 7
	s_mul_i32 s2, s9, s6
	s_mul_hi_u32 s7, s2, s4
	s_mul_i32 s6, s2, s4
	s_lshl_b64 s[6:7], s[6:7], 1
	s_waitcnt lgkmcnt(0)
	s_add_u32 s5, s10, s6
	s_addc_u32 s6, s11, s7
	s_lshl_b32 s2, s26, 7
	s_lshl_b64 s[2:3], s[2:3], 1
	s_add_u32 s2, s5, s2
	s_addc_u32 s3, s6, s3
	ds_read_b128 v[4:7], v0 offset:128
	ds_read_b128 v[8:11], v0
	v_add_u32_e32 v14, s27, v1
	v_mov_b32_e32 v3, s3
	s_waitcnt vmcnt(0)
	v_add_co_u32_e32 v2, vcc, s2, v2
	v_mad_u64_u32 v[12:13], s[2:3], v14, s4, 0
	v_addc_co_u32_e32 v3, vcc, 0, v3, vcc
	v_lshlrev_b64 v[12:13], 1, v[12:13]
	v_add_co_u32_e32 v12, vcc, v2, v12
	v_addc_co_u32_e32 v13, vcc, v3, v13, vcc
	s_waitcnt lgkmcnt(0)
	global_store_dwordx4 v[12:13], v[8:11], off
	s_nop 0
	v_add_u32_e32 v8, 4, v14
	v_mad_u64_u32 v[8:9], s[2:3], v8, s4, 0
	v_lshlrev_b64 v[8:9], 1, v[8:9]
	v_add_co_u32_e32 v8, vcc, v2, v8
	v_addc_co_u32_e32 v9, vcc, v3, v9, vcc
	global_store_dwordx4 v[8:9], v[4:7], off
	s_and_b64 exec, exec, s[0:1]
	s_cbranch_execz .LBB104_20
; %bb.19:
	ds_read_b128 v[4:7], v0 offset:256
	v_add3_u32 v0, s27, v1, 8
	v_mad_u64_u32 v[0:1], s[0:1], v0, s4, 0
	v_lshlrev_b64 v[0:1], 1, v[0:1]
	v_add_co_u32_e32 v0, vcc, v2, v0
	v_addc_co_u32_e32 v1, vcc, v3, v1, vcc
	s_waitcnt lgkmcnt(0)
	global_store_dwordx4 v[0:1], v[4:7], off
.LBB104_20:
	s_endpgm
	.section	.rodata,"a",@progbits
	.p2align	6, 0x0
	.amdhsa_kernel _Z39paged_attention_ll4mi_QKV_mfma16_kernelIDF16_DF16_LN4vllm18Fp8KVCacheDataTypeE0EDF16_Li16ELi128ELi256ELb1ELi9EL8MFMAType0EEvPKT_PKT0_S8_ifPKiSA_SA_iPKfiiiPfSD_PS3_PT2_iSC_SC_
		.amdhsa_group_segment_fixed_size 8192
		.amdhsa_private_segment_fixed_size 8
		.amdhsa_kernarg_size 400
		.amdhsa_user_sgpr_count 6
		.amdhsa_user_sgpr_private_segment_buffer 1
		.amdhsa_user_sgpr_dispatch_ptr 0
		.amdhsa_user_sgpr_queue_ptr 0
		.amdhsa_user_sgpr_kernarg_segment_ptr 1
		.amdhsa_user_sgpr_dispatch_id 0
		.amdhsa_user_sgpr_flat_scratch_init 0
		.amdhsa_user_sgpr_kernarg_preload_length 0
		.amdhsa_user_sgpr_kernarg_preload_offset 0
		.amdhsa_user_sgpr_private_segment_size 0
		.amdhsa_uses_dynamic_stack 0
		.amdhsa_system_sgpr_private_segment_wavefront_offset 1
		.amdhsa_system_sgpr_workgroup_id_x 1
		.amdhsa_system_sgpr_workgroup_id_y 1
		.amdhsa_system_sgpr_workgroup_id_z 1
		.amdhsa_system_sgpr_workgroup_info 0
		.amdhsa_system_vgpr_workitem_id 0
		.amdhsa_next_free_vgpr 96
		.amdhsa_next_free_sgpr 48
		.amdhsa_accum_offset 96
		.amdhsa_reserve_vcc 1
		.amdhsa_reserve_flat_scratch 0
		.amdhsa_float_round_mode_32 0
		.amdhsa_float_round_mode_16_64 0
		.amdhsa_float_denorm_mode_32 3
		.amdhsa_float_denorm_mode_16_64 3
		.amdhsa_dx10_clamp 1
		.amdhsa_ieee_mode 1
		.amdhsa_fp16_overflow 0
		.amdhsa_tg_split 0
		.amdhsa_exception_fp_ieee_invalid_op 0
		.amdhsa_exception_fp_denorm_src 0
		.amdhsa_exception_fp_ieee_div_zero 0
		.amdhsa_exception_fp_ieee_overflow 0
		.amdhsa_exception_fp_ieee_underflow 0
		.amdhsa_exception_fp_ieee_inexact 0
		.amdhsa_exception_int_div_zero 0
	.end_amdhsa_kernel
	.section	.text._Z39paged_attention_ll4mi_QKV_mfma16_kernelIDF16_DF16_LN4vllm18Fp8KVCacheDataTypeE0EDF16_Li16ELi128ELi256ELb1ELi9EL8MFMAType0EEvPKT_PKT0_S8_ifPKiSA_SA_iPKfiiiPfSD_PS3_PT2_iSC_SC_,"axG",@progbits,_Z39paged_attention_ll4mi_QKV_mfma16_kernelIDF16_DF16_LN4vllm18Fp8KVCacheDataTypeE0EDF16_Li16ELi128ELi256ELb1ELi9EL8MFMAType0EEvPKT_PKT0_S8_ifPKiSA_SA_iPKfiiiPfSD_PS3_PT2_iSC_SC_,comdat
.Lfunc_end104:
	.size	_Z39paged_attention_ll4mi_QKV_mfma16_kernelIDF16_DF16_LN4vllm18Fp8KVCacheDataTypeE0EDF16_Li16ELi128ELi256ELb1ELi9EL8MFMAType0EEvPKT_PKT0_S8_ifPKiSA_SA_iPKfiiiPfSD_PS3_PT2_iSC_SC_, .Lfunc_end104-_Z39paged_attention_ll4mi_QKV_mfma16_kernelIDF16_DF16_LN4vllm18Fp8KVCacheDataTypeE0EDF16_Li16ELi128ELi256ELb1ELi9EL8MFMAType0EEvPKT_PKT0_S8_ifPKiSA_SA_iPKfiiiPfSD_PS3_PT2_iSC_SC_
                                        ; -- End function
	.section	.AMDGPU.csdata,"",@progbits
; Kernel info:
; codeLenInByte = 4932
; NumSgprs: 52
; NumVgprs: 96
; NumAgprs: 0
; TotalNumVgprs: 96
; ScratchSize: 8
; MemoryBound: 0
; FloatMode: 240
; IeeeMode: 1
; LDSByteSize: 8192 bytes/workgroup (compile time only)
; SGPRBlocks: 6
; VGPRBlocks: 11
; NumSGPRsForWavesPerEU: 52
; NumVGPRsForWavesPerEU: 96
; AccumOffset: 96
; Occupancy: 5
; WaveLimiterHint : 1
; COMPUTE_PGM_RSRC2:SCRATCH_EN: 1
; COMPUTE_PGM_RSRC2:USER_SGPR: 6
; COMPUTE_PGM_RSRC2:TRAP_HANDLER: 0
; COMPUTE_PGM_RSRC2:TGID_X_EN: 1
; COMPUTE_PGM_RSRC2:TGID_Y_EN: 1
; COMPUTE_PGM_RSRC2:TGID_Z_EN: 1
; COMPUTE_PGM_RSRC2:TIDIG_COMP_CNT: 0
; COMPUTE_PGM_RSRC3_GFX90A:ACCUM_OFFSET: 23
; COMPUTE_PGM_RSRC3_GFX90A:TG_SPLIT: 0
	.section	.text._Z39paged_attention_ll4mi_QKV_mfma16_kernelIDF16_DF16_LN4vllm18Fp8KVCacheDataTypeE0EDF16_Li16ELi128ELi256ELb1ELi10EL8MFMAType0EEvPKT_PKT0_S8_ifPKiSA_SA_iPKfiiiPfSD_PS3_PT2_iSC_SC_,"axG",@progbits,_Z39paged_attention_ll4mi_QKV_mfma16_kernelIDF16_DF16_LN4vllm18Fp8KVCacheDataTypeE0EDF16_Li16ELi128ELi256ELb1ELi10EL8MFMAType0EEvPKT_PKT0_S8_ifPKiSA_SA_iPKfiiiPfSD_PS3_PT2_iSC_SC_,comdat
	.protected	_Z39paged_attention_ll4mi_QKV_mfma16_kernelIDF16_DF16_LN4vllm18Fp8KVCacheDataTypeE0EDF16_Li16ELi128ELi256ELb1ELi10EL8MFMAType0EEvPKT_PKT0_S8_ifPKiSA_SA_iPKfiiiPfSD_PS3_PT2_iSC_SC_ ; -- Begin function _Z39paged_attention_ll4mi_QKV_mfma16_kernelIDF16_DF16_LN4vllm18Fp8KVCacheDataTypeE0EDF16_Li16ELi128ELi256ELb1ELi10EL8MFMAType0EEvPKT_PKT0_S8_ifPKiSA_SA_iPKfiiiPfSD_PS3_PT2_iSC_SC_
	.globl	_Z39paged_attention_ll4mi_QKV_mfma16_kernelIDF16_DF16_LN4vllm18Fp8KVCacheDataTypeE0EDF16_Li16ELi128ELi256ELb1ELi10EL8MFMAType0EEvPKT_PKT0_S8_ifPKiSA_SA_iPKfiiiPfSD_PS3_PT2_iSC_SC_
	.p2align	8
	.type	_Z39paged_attention_ll4mi_QKV_mfma16_kernelIDF16_DF16_LN4vllm18Fp8KVCacheDataTypeE0EDF16_Li16ELi128ELi256ELb1ELi10EL8MFMAType0EEvPKT_PKT0_S8_ifPKiSA_SA_iPKfiiiPfSD_PS3_PT2_iSC_SC_,@function
_Z39paged_attention_ll4mi_QKV_mfma16_kernelIDF16_DF16_LN4vllm18Fp8KVCacheDataTypeE0EDF16_Li16ELi128ELi256ELb1ELi10EL8MFMAType0EEvPKT_PKT0_S8_ifPKiSA_SA_iPKfiiiPfSD_PS3_PT2_iSC_SC_: ; @_Z39paged_attention_ll4mi_QKV_mfma16_kernelIDF16_DF16_LN4vllm18Fp8KVCacheDataTypeE0EDF16_Li16ELi128ELi256ELb1ELi10EL8MFMAType0EEvPKT_PKT0_S8_ifPKiSA_SA_iPKfiiiPfSD_PS3_PT2_iSC_SC_
; %bb.0:
	s_mov_b64 s[46:47], s[2:3]
	s_mov_b64 s[44:45], s[0:1]
	s_load_dwordx2 s[0:1], s[4:5], 0x30
	s_add_u32 s44, s44, s9
	s_addc_u32 s45, s45, 0
	s_mov_b32 s26, s7
	s_mov_b64 s[10:11], 0
	s_waitcnt lgkmcnt(0)
	s_cmp_lg_u64 s[0:1], 0
	s_cselect_b64 s[2:3], -1, 0
	s_and_b64 vcc, exec, s[2:3]
	s_cbranch_vccz .LBB105_7
; %bb.1:
	s_add_i32 s12, s6, 1
	s_mov_b32 s13, 0
	s_lshl_b64 s[14:15], s[12:13], 2
	s_add_u32 s14, s0, s14
	s_mov_b32 s7, s13
	s_addc_u32 s15, s1, s15
	s_lshl_b64 s[12:13], s[6:7], 2
	s_add_u32 s12, s0, s12
	s_addc_u32 s13, s1, s13
	s_load_dword s9, s[14:15], 0x0
	s_load_dword s16, s[12:13], 0x0
	s_waitcnt lgkmcnt(0)
	s_sub_i32 s9, s9, s16
	s_cmp_eq_u32 s9, 1
	s_cselect_b64 s[12:13], -1, 0
	s_andn2_b64 vcc, exec, s[10:11]
	s_cbranch_vccnz .LBB105_3
.LBB105_2:
	s_mov_b32 s7, 0
	s_mov_b64 s[12:13], -1
.LBB105_3:
	s_andn2_b64 vcc, exec, s[12:13]
	s_cbranch_vccnz .LBB105_20
; %bb.4:
	s_load_dwordx2 s[12:13], s[4:5], 0x28
	s_lshl_b64 s[10:11], s[6:7], 2
	s_waitcnt lgkmcnt(0)
	s_add_u32 s12, s12, s10
	s_addc_u32 s13, s13, s11
	s_load_dword s33, s[12:13], 0x0
	s_lshl_b32 s16, s26, 8
	s_waitcnt lgkmcnt(0)
	s_cmp_ge_i32 s16, s33
	s_cbranch_scc1 .LBB105_20
; %bb.5:
	s_add_i32 s14, s33, 15
	s_load_dwordx2 s[12:13], s[4:5], 0x20
	s_load_dword s9, s[4:5], 0x38
	s_ashr_i32 s15, s14, 31
	v_and_b32_e32 v1, 0xcf, v0
	s_lshr_b32 s15, s15, 28
	v_add_u32_e32 v1, s16, v1
	s_add_i32 s14, s14, s15
	v_ashrrev_i32_e32 v2, 31, v1
	s_ashr_i32 s19, s14, 4
	v_lshrrev_b32_e32 v4, 28, v2
	s_add_i32 s19, s19, -1
	v_add_u32_e32 v2, v1, v4
	s_waitcnt lgkmcnt(0)
	s_mul_i32 s14, s6, s9
	s_mov_b32 s15, 0
	v_ashrrev_i32_e32 v2, 4, v2
	v_mov_b32_e32 v5, s19
	v_cmp_gt_i32_e32 vcc, s33, v1
	s_lshl_b64 s[14:15], s[14:15], 2
	v_cndmask_b32_e32 v2, v5, v2, vcc
	s_add_u32 s17, s12, s14
	v_ashrrev_i32_e32 v3, 31, v2
	s_addc_u32 s18, s13, s15
	v_lshlrev_b64 v[2:3], 2, v[2:3]
	v_mov_b32_e32 v7, s18
	v_add_co_u32_e32 v6, vcc, s17, v2
	v_or_b32_e32 v2, 16, v1
	v_addc_co_u32_e32 v7, vcc, v7, v3, vcc
	v_add_u32_e32 v3, v2, v4
	v_ashrrev_i32_e32 v3, 4, v3
	v_cmp_gt_i32_e32 vcc, s33, v2
	v_cndmask_b32_e32 v2, v5, v3, vcc
	v_ashrrev_i32_e32 v3, 31, v2
	v_lshlrev_b64 v[2:3], 2, v[2:3]
	v_mov_b32_e32 v9, s18
	v_add_co_u32_e32 v8, vcc, s17, v2
	v_or_b32_e32 v2, 32, v1
	v_addc_co_u32_e32 v9, vcc, v9, v3, vcc
	v_add_u32_e32 v3, v2, v4
	v_ashrrev_i32_e32 v3, 4, v3
	v_cmp_gt_i32_e32 vcc, s33, v2
	v_cndmask_b32_e32 v2, v5, v3, vcc
	v_ashrrev_i32_e32 v3, 31, v2
	;; [unrolled: 10-line block ×3, first 2 shown]
	v_lshlrev_b64 v[2:3], 2, v[2:3]
	v_mov_b32_e32 v1, s18
	v_add_co_u32_e32 v12, vcc, s17, v2
	v_addc_co_u32_e32 v13, vcc, v1, v3, vcc
	global_load_dword v5, v[6:7], off
	global_load_dword v4, v[8:9], off
	;; [unrolled: 1-line block ×4, first 2 shown]
	s_load_dwordx2 s[12:13], s[4:5], 0x8
	s_andn2_b64 vcc, exec, s[2:3]
	s_cbranch_vccnz .LBB105_8
; %bb.6:
	s_add_u32 s0, s0, s10
	s_addc_u32 s1, s1, s11
	s_load_dword s9, s[0:1], 0x0
	s_branch .LBB105_9
.LBB105_7:
	s_mov_b64 s[12:13], 0
	s_branch .LBB105_2
.LBB105_8:
	s_mov_b32 s9, s6
.LBB105_9:
	s_load_dwordx2 s[10:11], s[4:5], 0x10
	s_load_dwordx4 s[0:3], s[4:5], 0x48
	v_lshrrev_b32_e32 v87, 6, v0
	v_bfe_u32 v1, v0, 4, 2
	v_and_b32_e32 v85, 15, v0
	v_lshl_or_b32 v6, v87, 2, v1
	v_lshlrev_b32_e32 v7, 3, v85
	s_mul_i32 s27, s8, 10
	v_cmp_gt_u32_e32 vcc, 10, v6
	v_lshlrev_b32_e32 v7, 1, v7
	buffer_store_dword v7, off, s[44:47], 0 ; 4-byte Folded Spill
	s_and_saveexec_b64 s[14:15], vcc
	s_cbranch_execz .LBB105_11
; %bb.10:
	s_load_dwordx2 s[20:21], s[4:5], 0x0
	s_waitcnt lgkmcnt(0)
	s_ashr_i32 s3, s0, 31
	s_mul_hi_u32 s22, s9, s0
	s_mul_i32 s3, s9, s3
	s_add_i32 s23, s22, s3
	s_mul_i32 s22, s9, s0
	s_lshl_b64 s[22:23], s[22:23], 1
	v_add_lshl_u32 v8, v6, s27, 7
	s_add_u32 s0, s20, s22
	v_ashrrev_i32_e32 v9, 31, v8
	s_addc_u32 s3, s21, s23
	v_lshlrev_b64 v[8:9], 1, v[8:9]
	v_mov_b32_e32 v7, s3
	v_add_co_u32_e32 v8, vcc, s0, v8
	v_addc_co_u32_e32 v7, vcc, v7, v9, vcc
	buffer_load_dword v9, off, s[44:47], 0  ; 4-byte Folded Reload
	v_lshlrev_b32_e32 v12, 9, v85
	v_lshlrev_b32_e32 v6, 5, v6
	v_and_b32_e32 v12, 0x1800, v12
	s_waitcnt vmcnt(0)
	v_add_co_u32_e32 v8, vcc, v8, v9
	v_addc_co_u32_e32 v9, vcc, 0, v7, vcc
	global_load_dwordx4 v[8:11], v[8:9], off
	v_and_b32_e32 v7, 3, v0
	v_lshlrev_b32_e32 v7, 9, v7
	v_or3_b32 v6, v12, v7, v6
	s_waitcnt vmcnt(0)
	ds_write_b128 v6, v[8:11]
.LBB105_11:
	s_or_b64 exec, exec, s[14:15]
	s_waitcnt lgkmcnt(0)
	s_mul_i32 s2, s8, s2
	s_mov_b32 s3, 0
	s_lshl_b64 s[2:3], s[2:3], 1
	s_add_u32 s0, s12, s2
	v_lshlrev_b32_e32 v10, 4, v0
	s_addc_u32 s8, s13, s3
	v_and_b32_e32 v6, 0xf0, v10
	v_mov_b32_e32 v7, s8
	v_add_co_u32_e32 v8, vcc, s0, v6
	v_addc_co_u32_e32 v9, vcc, 0, v7, vcc
	s_waitcnt vmcnt(4)
	v_mad_i64_i32 v[6:7], s[8:9], v5, s1, 0
	v_lshlrev_b64 v[6:7], 1, v[6:7]
	v_add_co_u32_e32 v5, vcc, v8, v6
	v_addc_co_u32_e32 v7, vcc, v9, v7, vcc
	v_and_b32_e32 v10, 0x300, v10
	v_add_co_u32_e32 v6, vcc, v5, v10
	s_waitcnt vmcnt(3)
	v_mad_i64_i32 v[4:5], s[8:9], v4, s1, 0
	v_addc_co_u32_e32 v7, vcc, 0, v7, vcc
	v_lshlrev_b64 v[4:5], 1, v[4:5]
	v_add_co_u32_e32 v4, vcc, v8, v4
	v_addc_co_u32_e32 v5, vcc, v9, v5, vcc
	v_add_co_u32_e32 v4, vcc, v4, v10
	v_addc_co_u32_e32 v5, vcc, 0, v5, vcc
	s_barrier
	global_load_dwordx4 v[74:77], v[6:7], off
	global_load_dwordx4 v[66:69], v[6:7], off offset:1024
	global_load_dwordx4 v[58:61], v[6:7], off offset:2048
	;; [unrolled: 1-line block ×3, first 2 shown]
	global_load_dwordx4 v[78:81], v[4:5], off
	global_load_dwordx4 v[70:73], v[4:5], off offset:1024
	global_load_dwordx4 v[62:65], v[4:5], off offset:2048
	global_load_dwordx4 v[46:49], v[4:5], off offset:3072
	s_waitcnt vmcnt(10)
	v_mad_i64_i32 v[4:5], s[8:9], v3, s1, 0
	v_lshlrev_b64 v[4:5], 1, v[4:5]
	v_add_co_u32_e32 v3, vcc, v8, v4
	v_addc_co_u32_e32 v5, vcc, v9, v5, vcc
	v_add_co_u32_e32 v4, vcc, v3, v10
	s_waitcnt vmcnt(9)
	v_mad_i64_i32 v[2:3], s[8:9], v2, s1, 0
	v_addc_co_u32_e32 v5, vcc, 0, v5, vcc
	v_lshlrev_b64 v[2:3], 1, v[2:3]
	v_add_co_u32_e32 v2, vcc, v8, v2
	v_addc_co_u32_e32 v3, vcc, v9, v3, vcc
	v_add_co_u32_e32 v6, vcc, v2, v10
	v_addc_co_u32_e32 v7, vcc, 0, v3, vcc
	global_load_dwordx4 v[38:41], v[4:5], off
	global_load_dwordx4 v[34:37], v[4:5], off offset:1024
	global_load_dwordx4 v[30:33], v[4:5], off offset:2048
	;; [unrolled: 1-line block ×3, first 2 shown]
	global_load_dwordx4 v[18:21], v[6:7], off
	global_load_dwordx4 v[10:13], v[6:7], off offset:1024
	s_nop 0
	global_load_dwordx4 v[2:5], v[6:7], off offset:2048
	global_load_dwordx4 v[50:53], v[6:7], off offset:3072
	v_add_u32_e32 v6, -10, v85
	v_cmp_gt_u32_e32 vcc, 10, v85
	v_cndmask_b32_e32 v6, v6, v85, vcc
	v_lshlrev_b32_e32 v6, 5, v6
	v_lshl_add_u32 v54, v1, 9, v6
	ds_read_b128 v[26:29], v54
	ds_read_b128 v[14:17], v54 offset:2048
	ds_read_b128 v[6:9], v54 offset:4096
	;; [unrolled: 1-line block ×3, first 2 shown]
	v_and_b32_e32 v88, 63, v0
	v_mov_b32_e32 v89, 0
	s_and_saveexec_b64 s[8:9], vcc
	s_cbranch_execz .LBB105_13
; %bb.12:
	s_load_dwordx2 s[12:13], s[4:5], 0x40
	v_add_u32_e32 v82, s27, v85
	v_ashrrev_i32_e32 v83, 31, v82
	v_lshlrev_b64 v[82:83], 2, v[82:83]
	s_waitcnt lgkmcnt(0)
	v_mov_b32_e32 v89, s13
	v_add_co_u32_e32 v82, vcc, s12, v82
	v_addc_co_u32_e32 v83, vcc, v89, v83, vcc
	global_load_dword v89, v[82:83], off
.LBB105_13:
	s_or_b64 exec, exec, s[8:9]
	s_waitcnt vmcnt(15) lgkmcnt(3)
	v_mfma_f32_16x16x16f16 v[90:93], v[74:75], v[26:27], 0
	s_add_u32 s8, s10, s2
	s_addc_u32 s9, s11, s3
	s_load_dword s0, s[4:5], 0x1c
	s_mov_b32 s40, 0xff7fffff
	v_mfma_f32_16x16x16f16 v[74:77], v[76:77], v[28:29], v[90:93]
	s_waitcnt vmcnt(14) lgkmcnt(0)
	v_mfma_f32_16x16x16f16 v[74:77], v[66:67], v[14:15], v[74:77]
	s_nop 4
	v_lshl_or_b32 v90, v87, 4, v85
	v_mfma_f32_16x16x16f16 v[66:69], v[68:69], v[16:17], v[74:77]
	s_waitcnt vmcnt(13)
	v_mfma_f32_16x16x16f16 v[66:69], v[58:59], v[6:7], v[66:69]
	s_nop 4
	v_lshlrev_b32_e32 v76, 5, v90
	v_mfma_f32_16x16x16f16 v[58:61], v[60:61], v[8:9], v[66:69]
	s_waitcnt vmcnt(12)
	v_mfma_f32_16x16x16f16 v[58:61], v[42:43], v[54:55], v[58:61]
	s_nop 4
	v_mov_b32_e32 v66, s18
	v_mfma_f32_16x16x16f16 v[58:61], v[44:45], v[56:57], v[58:61]
	s_waitcnt vmcnt(11)
	v_mfma_f32_16x16x16f16 v[42:45], v[78:79], v[26:27], 0
	s_nop 7
	s_nop 0
	v_pk_mul_f32 v[58:59], s[0:1], v[58:59] op_sel_hi:[0,1]
	v_mfma_f32_16x16x16f16 v[42:45], v[80:81], v[28:29], v[42:45]
	s_waitcnt vmcnt(10)
	v_mfma_f32_16x16x16f16 v[42:45], v[70:71], v[14:15], v[42:45]
	v_mfma_f32_16x16x16f16 v[42:45], v[72:73], v[16:17], v[42:45]
	s_waitcnt vmcnt(9)
	v_mfma_f32_16x16x16f16 v[42:45], v[62:63], v[6:7], v[42:45]
	;; [unrolled: 3-line block ×3, first 2 shown]
	v_mfma_f32_16x16x16f16 v[62:65], v[48:49], v[56:57], v[42:45]
	v_and_or_b32 v48, v0, 48, s16
	v_mov_b32_e32 v49, s19
	v_cmp_gt_i32_e32 vcc, s33, v48
	s_waitcnt vmcnt(7)
	v_mfma_f32_16x16x16f16 v[42:45], v[38:39], v[26:27], 0
	v_ashrrev_i32_e32 v38, 4, v48
	v_cndmask_b32_e32 v38, v49, v38, vcc
	v_ashrrev_i32_e32 v39, 31, v38
	v_lshlrev_b64 v[46:47], 2, v[38:39]
	v_mfma_f32_16x16x16f16 v[38:41], v[40:41], v[28:29], v[42:45]
	s_nop 6
	v_add_co_u32_e32 v42, vcc, s17, v46
	v_addc_co_u32_e32 v43, vcc, v66, v47, vcc
	global_load_dword v44, v[42:43], off
	v_or_b32_e32 v42, 64, v48
	v_ashrrev_i32_e32 v43, 4, v42
	v_cmp_gt_i32_e32 vcc, s33, v42
	v_cndmask_b32_e32 v42, v49, v43, vcc
	s_waitcnt vmcnt(7)
	v_mfma_f32_16x16x16f16 v[38:41], v[34:35], v[14:15], v[38:41]
	v_ashrrev_i32_e32 v43, 31, v42
	v_lshlrev_b64 v[34:35], 2, v[42:43]
	v_mov_b32_e32 v42, s18
	v_add_co_u32_e32 v34, vcc, s17, v34
	v_addc_co_u32_e32 v35, vcc, v42, v35, vcc
	global_load_dword v72, v[34:35], off
	v_mfma_f32_16x16x16f16 v[34:37], v[36:37], v[16:17], v[38:41]
	s_nop 6
	v_or_b32_e32 v38, 0x80, v48
	v_ashrrev_i32_e32 v39, 4, v38
	v_cmp_gt_i32_e32 vcc, s33, v38
	v_cndmask_b32_e32 v38, v49, v39, vcc
	v_ashrrev_i32_e32 v39, 31, v38
	v_lshlrev_b64 v[38:39], 2, v[38:39]
	v_mov_b32_e32 v40, s18
	s_waitcnt vmcnt(7)
	v_mfma_f32_16x16x16f16 v[34:37], v[30:31], v[6:7], v[34:37]
	v_add_co_u32_e32 v30, vcc, s17, v38
	v_addc_co_u32_e32 v31, vcc, v40, v39, vcc
	global_load_dword v74, v[30:31], off
	v_or_b32_e32 v30, 0xc0, v48
	v_ashrrev_i32_e32 v31, 4, v30
	v_cmp_gt_i32_e32 vcc, s33, v30
	v_cndmask_b32_e32 v38, v49, v31, vcc
	v_ashrrev_i32_e32 v39, 31, v38
	v_mfma_f32_16x16x16f16 v[30:33], v[32:33], v[8:9], v[34:37]
	s_nop 6
	v_lshlrev_b64 v[34:35], 2, v[38:39]
	v_mov_b32_e32 v36, s18
	v_add_co_u32_e32 v34, vcc, s17, v34
	v_addc_co_u32_e32 v35, vcc, v36, v35, vcc
	global_load_dword v75, v[34:35], off
	s_waitcnt vmcnt(8)
	v_mfma_f32_16x16x16f16 v[30:33], v[22:23], v[54:55], v[30:33]
	v_mov_b32_e32 v22, s9
	v_add_co_u32_e32 v77, vcc, s8, v76
	v_addc_co_u32_e32 v78, vcc, 0, v22, vcc
	s_waitcnt vmcnt(3)
	v_mad_i64_i32 v[22:23], s[2:3], v44, s1, 0
	v_mfma_f32_16x16x16f16 v[66:69], v[24:25], v[56:57], v[30:33]
	v_lshlrev_b64 v[70:71], 1, v[22:23]
	v_mfma_f32_16x16x16f16 v[22:25], v[18:19], v[26:27], 0
	v_add_co_u32_e32 v18, vcc, v77, v70
	v_addc_co_u32_e32 v19, vcc, v78, v71, vcc
	global_load_dwordx4 v[46:49], v[18:19], off
	global_load_dwordx4 v[42:45], v[18:19], off offset:16
	s_waitcnt vmcnt(4)
	v_mad_i64_i32 v[18:19], s[2:3], v72, s1, 0
	v_lshlrev_b64 v[72:73], 1, v[18:19]
	v_mfma_f32_16x16x16f16 v[18:21], v[20:21], v[28:29], v[22:25]
	v_mfma_f32_16x16x16f16 v[18:21], v[10:11], v[14:15], v[18:21]
	s_nop 5
	v_add_co_u32_e32 v22, vcc, v77, v72
	v_addc_co_u32_e32 v23, vcc, v78, v73, vcc
	global_load_dwordx4 v[38:41], v[22:23], off
	global_load_dwordx4 v[34:37], v[22:23], off offset:16
	s_waitcnt vmcnt(5)
	v_mad_i64_i32 v[22:23], s[2:3], v74, s1, 0
	v_lshlrev_b64 v[82:83], 1, v[22:23]
	v_add_co_u32_e32 v10, vcc, v77, v82
	v_addc_co_u32_e32 v11, vcc, v78, v83, vcc
	global_load_dwordx4 v[30:33], v[10:11], off
	global_load_dwordx4 v[26:29], v[10:11], off offset:16
	v_mfma_f32_16x16x16f16 v[10:13], v[12:13], v[16:17], v[18:21]
	s_waitcnt vmcnt(6)
	v_mad_i64_i32 v[14:15], s[2:3], v75, s1, 0
	v_mfma_f32_16x16x16f16 v[10:13], v[2:3], v[6:7], v[10:13]
	v_lshlrev_b64 v[80:81], 1, v[14:15]
	v_add_co_u32_e32 v14, vcc, v77, v80
	v_addc_co_u32_e32 v15, vcc, v78, v81, vcc
	v_or_b32_e32 v2, 0x800, v76
	v_mov_b32_e32 v3, s9
	v_mfma_f32_16x16x16f16 v[10:13], v[4:5], v[8:9], v[10:13]
	v_add_co_u32_e32 v91, vcc, s8, v2
	v_addc_co_u32_e32 v84, vcc, 0, v3, vcc
	v_add_co_u32_e32 v2, vcc, v91, v70
	v_addc_co_u32_e32 v3, vcc, v84, v71, vcc
	v_mfma_f32_16x16x16f16 v[92:95], v[50:51], v[54:55], v[10:13]
	v_add_co_u32_e32 v70, vcc, v91, v72
	v_addc_co_u32_e32 v71, vcc, v84, v73, vcc
	global_load_dwordx4 v[22:25], v[14:15], off
	global_load_dwordx4 v[18:21], v[14:15], off offset:16
	global_load_dwordx4 v[6:9], v[2:3], off
	s_nop 0
	global_load_dwordx4 v[2:5], v[2:3], off offset:16
	s_nop 0
	global_load_dwordx4 v[14:17], v[70:71], off
	global_load_dwordx4 v[10:13], v[70:71], off offset:16
	v_mfma_f32_16x16x16f16 v[50:53], v[52:53], v[56:57], v[92:95]
	v_pk_mul_f32 v[70:71], s[0:1], v[68:69] op_sel_hi:[0,1]
	v_pk_mul_f32 v[72:73], s[0:1], v[66:67] op_sel_hi:[0,1]
	;; [unrolled: 1-line block ×5, first 2 shown]
	s_nop 5
	v_pk_mul_f32 v[68:69], s[0:1], v[50:51] op_sel_hi:[0,1]
	v_and_b32_e32 v50, 0xc0, v0
	v_add_u32_e32 v50, s16, v50
	v_lshl_or_b32 v50, v1, 2, v50
	v_or_b32_e32 v51, 1, v50
	v_pk_mul_f32 v[66:67], s[0:1], v[52:53] op_sel_hi:[0,1]
	v_subrev_u32_e32 v52, s33, v51
	v_add_u32_e32 v54, 1, v52
	v_add_u32_e32 v55, 2, v52
	v_cvt_f32_i32_e32 v53, v52
	v_cvt_f32_i32_e32 v54, v54
	;; [unrolled: 1-line block ×3, first 2 shown]
	v_add_u32_e32 v56, 3, v52
	v_fma_f32 v58, v89, v53, v58
	v_fmac_f32_e32 v59, v89, v54
	v_fma_f32 v78, v89, v55, v78
	v_add_u32_e32 v53, 16, v52
	v_add_u32_e32 v54, 17, v52
	;; [unrolled: 1-line block ×3, first 2 shown]
	v_cvt_f32_i32_e32 v56, v56
	v_cvt_f32_i32_e32 v53, v53
	;; [unrolled: 1-line block ×4, first 2 shown]
	v_fmac_f32_e32 v79, v89, v56
	v_add_u32_e32 v56, 19, v52
	v_fma_f32 v76, v89, v53, v76
	v_fmac_f32_e32 v77, v89, v54
	v_fma_f32 v74, v89, v55, v74
	v_add_u32_e32 v53, 32, v52
	v_add_u32_e32 v54, 33, v52
	;; [unrolled: 1-line block ×3, first 2 shown]
	v_cvt_f32_i32_e32 v56, v56
	v_cvt_f32_i32_e32 v53, v53
	;; [unrolled: 1-line block ×4, first 2 shown]
	v_fmac_f32_e32 v75, v89, v56
	v_add_u32_e32 v56, 35, v52
	v_fma_f32 v72, v89, v53, v72
	v_fmac_f32_e32 v73, v89, v54
	v_fma_f32 v70, v89, v55, v70
	v_add_u32_e32 v53, 48, v52
	v_add_u32_e32 v54, 49, v52
	;; [unrolled: 1-line block ×4, first 2 shown]
	v_cvt_f32_i32_e32 v52, v52
	v_cvt_f32_i32_e32 v53, v53
	;; [unrolled: 1-line block ×3, first 2 shown]
	v_cmp_gt_i32_e64 s[28:29], s33, v50
	v_fmac_f32_e32 v67, v89, v52
	v_mov_b32_e32 v52, 0xff7fffff
	v_cmp_gt_i32_e64 s[30:31], s33, v51
	v_fma_f32 v68, v89, v53, v68
	v_cndmask_b32_e64 v53, v52, v58, s[28:29]
	v_cndmask_b32_e64 v51, v52, v59, s[30:31]
	v_fmac_f32_e32 v69, v89, v54
	v_max3_f32 v51, v53, s40, v51
	v_or_b32_e32 v53, 2, v50
	v_or_b32_e32 v54, 3, v50
	v_cmp_gt_i32_e64 s[34:35], s33, v53
	v_cmp_gt_i32_e64 s[36:37], s33, v54
	v_cndmask_b32_e64 v53, v52, v78, s[34:35]
	v_cndmask_b32_e64 v54, v52, v79, s[36:37]
	v_max3_f32 v51, v51, v53, v54
	v_or_b32_e32 v53, 16, v50
	v_or_b32_e32 v54, 17, v50
	v_cmp_gt_i32_e64 s[22:23], s33, v53
	v_cmp_gt_i32_e64 s[24:25], s33, v54
	v_cndmask_b32_e64 v53, v52, v76, s[22:23]
	v_cndmask_b32_e64 v54, v52, v77, s[24:25]
	;; [unrolled: 7-line block ×3, first 2 shown]
	v_cvt_f32_i32_e32 v56, v56
	v_max3_f32 v51, v51, v53, v54
	v_or_b32_e32 v53, 32, v50
	v_or_b32_e32 v54, 33, v50
	v_cmp_gt_i32_e64 s[14:15], s33, v53
	v_cmp_gt_i32_e64 s[16:17], s33, v54
	v_cndmask_b32_e64 v53, v52, v72, s[14:15]
	v_cndmask_b32_e64 v54, v52, v73, s[16:17]
	v_max3_f32 v51, v51, v53, v54
	v_or_b32_e32 v53, 34, v50
	v_or_b32_e32 v54, 35, v50
	v_fmac_f32_e32 v71, v89, v56
	v_cmp_gt_i32_e64 s[10:11], s33, v53
	v_cmp_gt_i32_e64 s[12:13], s33, v54
	v_cndmask_b32_e64 v53, v52, v70, s[10:11]
	v_cndmask_b32_e64 v54, v52, v71, s[12:13]
	v_cvt_f32_i32_e32 v55, v55
	v_max3_f32 v51, v51, v53, v54
	v_or_b32_e32 v53, 48, v50
	v_or_b32_e32 v54, 49, v50
	v_cmp_gt_i32_e64 s[2:3], s33, v53
	v_cmp_gt_i32_e64 s[8:9], s33, v54
	v_cndmask_b32_e64 v53, v52, v68, s[2:3]
	v_cndmask_b32_e64 v54, v52, v69, s[8:9]
	v_max3_f32 v51, v51, v53, v54
	v_or_b32_e32 v53, 50, v50
	v_or_b32_e32 v50, 51, v50
	v_fma_f32 v66, v89, v55, v66
	v_cmp_gt_i32_e32 vcc, s33, v53
	v_cmp_gt_i32_e64 s[0:1], s33, v50
	v_cndmask_b32_e32 v53, v52, v66, vcc
	v_cndmask_b32_e64 v50, v52, v67, s[0:1]
	v_max3_f32 v60, v51, v53, v50
	v_mbcnt_lo_u32_b32 v50, -1, 0
	v_mbcnt_hi_u32_b32 v61, -1, v50
	v_and_b32_e32 v50, 64, v61
	v_add_u32_e32 v62, 64, v50
	v_xor_b32_e32 v50, 32, v61
	v_cmp_lt_i32_e64 s[38:39], v50, v62
	v_cndmask_b32_e64 v50, v61, v50, s[38:39]
	v_lshlrev_b32_e32 v89, 2, v50
	ds_bpermute_b32 v63, v89, v60
	v_add_co_u32_e64 v50, s[38:39], v91, v82
	v_addc_co_u32_e64 v51, s[38:39], v84, v83, s[38:39]
	s_waitcnt lgkmcnt(0)
	v_max_f32_e32 v63, v63, v63
	v_max_f32_e32 v63, v60, v63
	v_xor_b32_e32 v60, 16, v61
	v_cmp_lt_i32_e64 s[38:39], v60, v62
	v_cndmask_b32_e64 v60, v61, v60, s[38:39]
	v_lshlrev_b32_e32 v92, 2, v60
	ds_bpermute_b32 v62, v92, v63
	v_add_co_u32_e64 v60, s[38:39], v91, v80
	v_addc_co_u32_e64 v61, s[38:39], v84, v81, s[38:39]
	s_waitcnt lgkmcnt(0)
	v_max_f32_e32 v62, v62, v62
	v_max_f32_e32 v82, v63, v62
	v_sub_f32_e32 v58, v58, v82
	v_mul_f32_e32 v58, 0x3fb8aa3b, v58
	v_exp_f32_e32 v80, v58
	v_sub_f32_e32 v58, v59, v82
	v_mul_f32_e32 v58, 0x3fb8aa3b, v58
	global_load_dwordx4 v[54:57], v[50:51], off
	s_nop 0
	global_load_dwordx4 v[50:53], v[50:51], off offset:16
	v_exp_f32_e32 v81, v58
	global_load_dwordx4 v[62:65], v[60:61], off
	s_nop 0
	global_load_dwordx4 v[58:61], v[60:61], off offset:16
	v_sub_f32_e32 v78, v78, v82
	v_mul_f32_e32 v78, 0x3fb8aa3b, v78
	v_sub_f32_e32 v79, v79, v82
	v_exp_f32_e32 v78, v78
	v_mul_f32_e32 v79, 0x3fb8aa3b, v79
	v_sub_f32_e32 v76, v76, v82
	v_exp_f32_e32 v79, v79
	v_mul_f32_e32 v76, 0x3fb8aa3b, v76
	v_sub_f32_e32 v77, v77, v82
	v_cndmask_b32_e64 v80, 0, v80, s[28:29]
	v_exp_f32_e32 v76, v76
	v_mul_f32_e32 v77, 0x3fb8aa3b, v77
	v_sub_f32_e32 v74, v74, v82
	v_add_f32_e32 v83, 0, v80
	v_cndmask_b32_e64 v81, 0, v81, s[30:31]
	v_exp_f32_e32 v77, v77
	v_mul_f32_e32 v74, 0x3fb8aa3b, v74
	v_sub_f32_e32 v75, v75, v82
	v_add_f32_e32 v83, v83, v81
	;; [unrolled: 5-line block ×10, first 2 shown]
	v_cndmask_b32_e64 v70, 0, v70, s[10:11]
	v_exp_f32_e32 v66, v66
	v_mul_f32_e32 v67, 0x3fb8aa3b, v67
	v_add_f32_e32 v83, v83, v70
	v_cndmask_b32_e64 v71, 0, v71, s[12:13]
	v_exp_f32_e32 v67, v67
	v_add_f32_e32 v83, v83, v71
	v_cndmask_b32_e64 v68, 0, v68, s[2:3]
	v_add_f32_e32 v83, v83, v68
	v_cndmask_b32_e64 v69, 0, v69, s[8:9]
	v_add_f32_e32 v83, v83, v69
	v_cndmask_b32_e32 v66, 0, v66, vcc
	v_add_f32_e32 v83, v83, v66
	v_cndmask_b32_e64 v67, 0, v67, s[0:1]
	v_add_f32_e32 v83, v83, v67
	ds_bpermute_b32 v84, v89, v83
	s_load_dword s3, s[4:5], 0x98
	v_cmp_gt_u32_e32 vcc, 16, v88
	s_waitcnt lgkmcnt(0)
	s_barrier
	v_add_f32_e32 v83, v83, v84
	ds_bpermute_b32 v89, v92, v83
	s_waitcnt lgkmcnt(0)
	s_and_saveexec_b64 s[0:1], vcc
	s_cbranch_execz .LBB105_15
; %bb.14:
	v_add_f32_e32 v83, v83, v89
	v_lshlrev_b32_e32 v84, 2, v90
	ds_write2st64_b32 v84, v82, v83 offset1:1
.LBB105_15:
	s_or_b64 exec, exec, s[0:1]
	v_lshlrev_b32_e32 v83, 2, v85
	s_load_dword s2, s[4:5], 0x94
	s_waitcnt lgkmcnt(0)
	s_barrier
	ds_read2_b32 v[88:89], v83 offset1:16
	ds_read2_b32 v[90:91], v83 offset0:32 offset1:48
	ds_read2_b32 v[92:93], v83 offset0:64 offset1:80
	s_mul_i32 s3, s3, 10
	s_waitcnt lgkmcnt(2)
	v_max3_f32 v82, v88, s40, v89
	s_waitcnt lgkmcnt(1)
	v_max3_f32 v82, v82, v90, v91
	v_sub_f32_e32 v84, v88, v82
	v_sub_f32_e32 v88, v89, v82
	v_mul_f32_e32 v88, 0x3fb8aa3b, v88
	v_mul_f32_e32 v84, 0x3fb8aa3b, v84
	v_exp_f32_e32 v94, v88
	v_sub_f32_e32 v88, v90, v82
	v_exp_f32_e32 v84, v84
	v_mul_f32_e32 v88, 0x3fb8aa3b, v88
	v_exp_f32_e32 v90, v88
	ds_read2_b32 v[88:89], v83 offset0:96 offset1:112
	v_sub_f32_e32 v83, v91, v82
	v_mul_f32_e32 v83, 0x3fb8aa3b, v83
	v_exp_f32_e32 v91, v83
	s_waitcnt lgkmcnt(1)
	v_fma_f32 v83, v84, v92, 0
	v_fmac_f32_e32 v83, v94, v93
	s_waitcnt lgkmcnt(0)
	v_fmac_f32_e32 v83, v90, v88
	v_fmac_f32_e32 v83, v91, v89
	v_add_f32_e32 v88, 0x358637bd, v83
	v_div_scale_f32 v89, s[0:1], v88, v88, 1.0
	v_rcp_f32_e32 v92, v89
	s_barrier
	v_fma_f32 v93, -v89, v92, 1.0
	v_fmac_f32_e32 v92, v93, v92
	v_div_scale_f32 v93, vcc, 1.0, v88, 1.0
	v_mul_f32_e32 v95, v93, v92
	v_fma_f32 v86, -v89, v95, v93
	v_fmac_f32_e32 v95, v86, v92
	v_fma_f32 v86, -v89, v95, v93
	v_div_fmas_f32 v86, v86, v92, v95
	v_cmp_eq_u32_e32 vcc, 1, v87
	v_cndmask_b32_e32 v84, v84, v94, vcc
	v_cmp_eq_u32_e32 vcc, 2, v87
	v_cndmask_b32_e32 v84, v84, v90, vcc
	v_cmp_eq_u32_e32 vcc, 3, v87
	v_div_fixup_f32 v86, v86, v88, 1.0
	v_cndmask_b32_e32 v84, v84, v91, vcc
	v_mul_f32_e32 v88, v84, v86
	v_pk_mul_f32 v[78:79], v[88:89], v[78:79] op_sel_hi:[0,1]
	v_pk_mul_f32 v[80:81], v[88:89], v[80:81] op_sel_hi:[0,1]
	v_cvt_f16_f32_e32 v80, v80
	v_cvt_f16_f32_e32 v81, v81
	;; [unrolled: 1-line block ×4, first 2 shown]
	v_pk_mul_f32 v[74:75], v[88:89], v[74:75] op_sel_hi:[0,1]
	v_pk_mul_f32 v[76:77], v[88:89], v[76:77] op_sel_hi:[0,1]
	v_cvt_f16_f32_e32 v76, v76
	v_cvt_f16_f32_e32 v77, v77
	;; [unrolled: 1-line block ×4, first 2 shown]
	v_pack_b32_f16 v80, v80, v81
	v_pack_b32_f16 v81, v78, v79
	v_lshlrev_b32_e32 v79, 3, v1
	v_lshlrev_b32_e32 v78, 5, v85
	;; [unrolled: 1-line block ×3, first 2 shown]
	v_or3_b32 v74, v74, v78, v79
	v_pack_b32_f16 v76, v76, v77
	v_pack_b32_f16 v77, v84, v75
	v_pk_mul_f32 v[70:71], v[88:89], v[70:71] op_sel_hi:[0,1]
	v_pk_mul_f32 v[72:73], v[88:89], v[72:73] op_sel_hi:[0,1]
	v_pk_mul_f32 v[66:67], v[88:89], v[66:67] op_sel_hi:[0,1]
	v_pk_mul_f32 v[68:69], v[88:89], v[68:69] op_sel_hi:[0,1]
	ds_write2st64_b64 v74, v[80:81], v[76:77] offset1:1
	v_cvt_f16_f32_e32 v72, v72
	v_cvt_f16_f32_e32 v73, v73
	;; [unrolled: 1-line block ×8, first 2 shown]
	v_pack_b32_f16 v66, v72, v73
	v_pack_b32_f16 v67, v70, v71
	;; [unrolled: 1-line block ×4, first 2 shown]
	v_cmp_gt_u32_e32 vcc, 10, v0
	ds_write2st64_b64 v74, v[66:67], v[68:69] offset0:2 offset1:3
	s_and_saveexec_b64 s[0:1], vcc
	s_cbranch_execz .LBB105_17
; %bb.16:
	v_add_co_u32_e32 v68, vcc, s27, v85
	v_addc_co_u32_e64 v69, s[12:13], 0, 0, vcc
	v_mov_b32_e32 v66, s3
	v_mov_b32_e32 v67, 0
	v_mad_u64_u32 v[68:69], s[12:13], s6, v66, v[68:69]
	v_mov_b32_e32 v66, s26
	s_load_dwordx4 s[8:11], s[4:5], 0x58
	s_mul_i32 s7, s7, s3
	v_mad_u64_u32 v[66:67], s[12:13], v68, s2, v[66:67]
	v_add_u32_e32 v69, s7, v69
	v_mov_b32_e32 v68, v67
	v_mad_u64_u32 v[68:69], s[12:13], v69, s2, v[68:69]
	v_mov_b32_e32 v67, v68
	v_lshlrev_b64 v[66:67], 2, v[66:67]
	s_waitcnt lgkmcnt(0)
	v_mov_b32_e32 v69, s11
	v_add_co_u32_e32 v68, vcc, s10, v66
	v_addc_co_u32_e32 v69, vcc, v69, v67, vcc
	global_store_dword v[68:69], v82, off
	v_mov_b32_e32 v68, s9
	v_add_co_u32_e32 v66, vcc, s8, v66
	v_addc_co_u32_e32 v67, vcc, v68, v67, vcc
	global_store_dword v[66:67], v83, off
.LBB105_17:
	s_or_b64 exec, exec, s[0:1]
	v_lshl_or_b32 v75, v1, 9, v78
	s_waitcnt lgkmcnt(0)
	s_barrier
	ds_read_b128 v[70:73], v75
	ds_read_b128 v[66:69], v75 offset:16
	s_waitcnt vmcnt(15) lgkmcnt(1)
	v_mfma_f32_16x16x16f16 v[76:79], v[46:47], v[70:71], 0
	s_mov_b32 s1, 0
	v_cmp_gt_u32_e32 vcc, 64, v0
	v_mfma_f32_16x16x16f16 v[46:49], v[48:49], v[72:73], v[76:79]
	s_waitcnt vmcnt(14) lgkmcnt(0)
	v_mfma_f32_16x16x16f16 v[46:49], v[42:43], v[66:67], v[46:49]
	v_mfma_f32_16x16x16f16 v[42:45], v[44:45], v[68:69], v[46:49]
	s_nop 7
	s_nop 1
	ds_read_b128 v[46:49], v75 offset:2048
	ds_read_b128 v[76:79], v75 offset:2064
	s_waitcnt vmcnt(13) lgkmcnt(1)
	v_mfma_f32_16x16x16f16 v[42:45], v[38:39], v[46:47], v[42:45]
	v_mfma_f32_16x16x16f16 v[38:41], v[40:41], v[48:49], v[42:45]
	s_waitcnt vmcnt(12) lgkmcnt(0)
	v_mfma_f32_16x16x16f16 v[38:41], v[34:35], v[76:77], v[38:41]
	v_mfma_f32_16x16x16f16 v[34:37], v[36:37], v[78:79], v[38:41]
	s_nop 7
	s_nop 1
	ds_read_b128 v[38:41], v75 offset:4096
	ds_read_b128 v[42:45], v75 offset:4112
	s_waitcnt vmcnt(11) lgkmcnt(1)
	v_mfma_f32_16x16x16f16 v[34:37], v[30:31], v[38:39], v[34:37]
	v_mfma_f32_16x16x16f16 v[30:33], v[32:33], v[40:41], v[34:37]
	s_waitcnt vmcnt(10) lgkmcnt(0)
	v_mfma_f32_16x16x16f16 v[30:33], v[26:27], v[42:43], v[30:33]
	v_mfma_f32_16x16x16f16 v[26:29], v[28:29], v[44:45], v[30:33]
	s_nop 7
	s_nop 1
	ds_read_b128 v[30:33], v75 offset:6144
	ds_read_b128 v[34:37], v75 offset:6160
	s_waitcnt lgkmcnt(0)
	s_barrier
	s_waitcnt vmcnt(9)
	v_mfma_f32_16x16x16f16 v[26:29], v[22:23], v[30:31], v[26:29]
	v_mfma_f32_16x16x16f16 v[22:25], v[24:25], v[32:33], v[26:29]
	s_waitcnt vmcnt(8)
	v_mfma_f32_16x16x16f16 v[22:25], v[18:19], v[34:35], v[22:25]
	v_mfma_f32_16x16x16f16 v[18:21], v[20:21], v[36:37], v[22:25]
	;; [unrolled: 3-line block ×4, first 2 shown]
	s_waitcnt vmcnt(5)
	v_mfma_f32_16x16x16f16 v[2:5], v[14:15], v[46:47], v[2:5]
	s_nop 7
	v_cvt_f16_f32_e32 v6, v18
	v_cvt_f16_f32_e32 v7, v19
	;; [unrolled: 1-line block ×4, first 2 shown]
	v_mfma_f32_16x16x16f16 v[2:5], v[16:17], v[48:49], v[2:5]
	s_waitcnt vmcnt(4)
	v_mfma_f32_16x16x16f16 v[2:5], v[10:11], v[76:77], v[2:5]
	v_mfma_f32_16x16x16f16 v[2:5], v[12:13], v[78:79], v[2:5]
	s_waitcnt vmcnt(3)
	v_mfma_f32_16x16x16f16 v[2:5], v[54:55], v[38:39], v[2:5]
	;; [unrolled: 3-line block ×5, first 2 shown]
	v_mfma_f32_16x16x16f16 v[2:5], v[60:61], v[36:37], v[2:5]
	s_nop 7
	s_nop 2
	v_cvt_f16_f32_e32 v10, v2
	v_cvt_f16_f32_e32 v11, v3
	;; [unrolled: 1-line block ×4, first 2 shown]
	v_pack_b32_f16 v2, v6, v7
	v_pack_b32_f16 v3, v8, v9
	v_pack_b32_f16 v4, v10, v11
	v_pack_b32_f16 v5, v12, v5
	ds_write2st64_b64 v74, v[2:3], v[4:5] offset1:1
	s_waitcnt lgkmcnt(0)
	s_barrier
	s_and_saveexec_b64 s[8:9], vcc
	s_cbranch_execz .LBB105_20
; %bb.18:
	v_lshlrev_b32_e32 v4, 6, v85
	v_lshlrev_b32_e32 v3, 4, v0
	v_lshl_or_b32 v0, v0, 10, v4
	v_lshlrev_b32_e32 v2, 5, v1
	v_and_b32_e32 v3, 16, v3
	v_and_b32_e32 v0, 0x1a00, v0
	v_or3_b32 v0, v0, v2, v3
	buffer_load_dword v3, off, s[44:47], 0  ; 4-byte Folded Reload
	s_load_dwordx2 s[4:5], s[4:5], 0x68
	s_lshl_b32 s2, s2, 7
	s_mul_i32 s0, s3, s6
	s_mul_hi_u32 s7, s0, s2
	s_mul_i32 s6, s0, s2
	s_lshl_b64 s[6:7], s[6:7], 1
	s_waitcnt lgkmcnt(0)
	s_add_u32 s3, s4, s6
	s_addc_u32 s4, s5, s7
	s_lshl_b32 s0, s26, 7
	s_lshl_b64 s[0:1], s[0:1], 1
	s_add_u32 s0, s3, s0
	v_or_b32_e32 v2, 8, v1
	s_addc_u32 s1, s4, s1
	ds_read_b128 v[6:9], v0 offset:128
	ds_read_b128 v[10:13], v0
	v_add_u32_e32 v1, s27, v1
	v_mov_b32_e32 v4, s1
	s_waitcnt vmcnt(0)
	v_add_co_u32_e32 v3, vcc, s0, v3
	v_mad_u64_u32 v[14:15], s[0:1], v1, s2, 0
	v_addc_co_u32_e32 v4, vcc, 0, v4, vcc
	v_lshlrev_b64 v[14:15], 1, v[14:15]
	v_add_co_u32_e32 v14, vcc, v3, v14
	v_addc_co_u32_e32 v15, vcc, v4, v15, vcc
	v_add_u32_e32 v1, 4, v1
	s_waitcnt lgkmcnt(0)
	global_store_dwordx4 v[14:15], v[10:13], off
	s_nop 0
	v_mad_u64_u32 v[10:11], s[0:1], v1, s2, 0
	v_lshlrev_b64 v[10:11], 1, v[10:11]
	v_add_co_u32_e32 v10, vcc, v3, v10
	v_addc_co_u32_e32 v11, vcc, v4, v11, vcc
	v_cmp_gt_u32_e32 vcc, 10, v2
	global_store_dwordx4 v[10:11], v[6:9], off
	s_and_b64 exec, exec, vcc
	s_cbranch_execz .LBB105_20
; %bb.19:
	ds_read_b128 v[6:9], v0 offset:256
	v_add_u32_e32 v0, s27, v2
	v_mad_u64_u32 v[0:1], s[0:1], v0, s2, 0
	v_lshlrev_b64 v[0:1], 1, v[0:1]
	v_add_co_u32_e32 v0, vcc, v3, v0
	v_addc_co_u32_e32 v1, vcc, v4, v1, vcc
	s_waitcnt lgkmcnt(0)
	global_store_dwordx4 v[0:1], v[6:9], off
.LBB105_20:
	s_endpgm
	.section	.rodata,"a",@progbits
	.p2align	6, 0x0
	.amdhsa_kernel _Z39paged_attention_ll4mi_QKV_mfma16_kernelIDF16_DF16_LN4vllm18Fp8KVCacheDataTypeE0EDF16_Li16ELi128ELi256ELb1ELi10EL8MFMAType0EEvPKT_PKT0_S8_ifPKiSA_SA_iPKfiiiPfSD_PS3_PT2_iSC_SC_
		.amdhsa_group_segment_fixed_size 8192
		.amdhsa_private_segment_fixed_size 8
		.amdhsa_kernarg_size 400
		.amdhsa_user_sgpr_count 6
		.amdhsa_user_sgpr_private_segment_buffer 1
		.amdhsa_user_sgpr_dispatch_ptr 0
		.amdhsa_user_sgpr_queue_ptr 0
		.amdhsa_user_sgpr_kernarg_segment_ptr 1
		.amdhsa_user_sgpr_dispatch_id 0
		.amdhsa_user_sgpr_flat_scratch_init 0
		.amdhsa_user_sgpr_kernarg_preload_length 0
		.amdhsa_user_sgpr_kernarg_preload_offset 0
		.amdhsa_user_sgpr_private_segment_size 0
		.amdhsa_uses_dynamic_stack 0
		.amdhsa_system_sgpr_private_segment_wavefront_offset 1
		.amdhsa_system_sgpr_workgroup_id_x 1
		.amdhsa_system_sgpr_workgroup_id_y 1
		.amdhsa_system_sgpr_workgroup_id_z 1
		.amdhsa_system_sgpr_workgroup_info 0
		.amdhsa_system_vgpr_workitem_id 0
		.amdhsa_next_free_vgpr 96
		.amdhsa_next_free_sgpr 48
		.amdhsa_accum_offset 96
		.amdhsa_reserve_vcc 1
		.amdhsa_reserve_flat_scratch 0
		.amdhsa_float_round_mode_32 0
		.amdhsa_float_round_mode_16_64 0
		.amdhsa_float_denorm_mode_32 3
		.amdhsa_float_denorm_mode_16_64 3
		.amdhsa_dx10_clamp 1
		.amdhsa_ieee_mode 1
		.amdhsa_fp16_overflow 0
		.amdhsa_tg_split 0
		.amdhsa_exception_fp_ieee_invalid_op 0
		.amdhsa_exception_fp_denorm_src 0
		.amdhsa_exception_fp_ieee_div_zero 0
		.amdhsa_exception_fp_ieee_overflow 0
		.amdhsa_exception_fp_ieee_underflow 0
		.amdhsa_exception_fp_ieee_inexact 0
		.amdhsa_exception_int_div_zero 0
	.end_amdhsa_kernel
	.section	.text._Z39paged_attention_ll4mi_QKV_mfma16_kernelIDF16_DF16_LN4vllm18Fp8KVCacheDataTypeE0EDF16_Li16ELi128ELi256ELb1ELi10EL8MFMAType0EEvPKT_PKT0_S8_ifPKiSA_SA_iPKfiiiPfSD_PS3_PT2_iSC_SC_,"axG",@progbits,_Z39paged_attention_ll4mi_QKV_mfma16_kernelIDF16_DF16_LN4vllm18Fp8KVCacheDataTypeE0EDF16_Li16ELi128ELi256ELb1ELi10EL8MFMAType0EEvPKT_PKT0_S8_ifPKiSA_SA_iPKfiiiPfSD_PS3_PT2_iSC_SC_,comdat
.Lfunc_end105:
	.size	_Z39paged_attention_ll4mi_QKV_mfma16_kernelIDF16_DF16_LN4vllm18Fp8KVCacheDataTypeE0EDF16_Li16ELi128ELi256ELb1ELi10EL8MFMAType0EEvPKT_PKT0_S8_ifPKiSA_SA_iPKfiiiPfSD_PS3_PT2_iSC_SC_, .Lfunc_end105-_Z39paged_attention_ll4mi_QKV_mfma16_kernelIDF16_DF16_LN4vllm18Fp8KVCacheDataTypeE0EDF16_Li16ELi128ELi256ELb1ELi10EL8MFMAType0EEvPKT_PKT0_S8_ifPKiSA_SA_iPKfiiiPfSD_PS3_PT2_iSC_SC_
                                        ; -- End function
	.section	.AMDGPU.csdata,"",@progbits
; Kernel info:
; codeLenInByte = 4932
; NumSgprs: 52
; NumVgprs: 96
; NumAgprs: 0
; TotalNumVgprs: 96
; ScratchSize: 8
; MemoryBound: 0
; FloatMode: 240
; IeeeMode: 1
; LDSByteSize: 8192 bytes/workgroup (compile time only)
; SGPRBlocks: 6
; VGPRBlocks: 11
; NumSGPRsForWavesPerEU: 52
; NumVGPRsForWavesPerEU: 96
; AccumOffset: 96
; Occupancy: 5
; WaveLimiterHint : 1
; COMPUTE_PGM_RSRC2:SCRATCH_EN: 1
; COMPUTE_PGM_RSRC2:USER_SGPR: 6
; COMPUTE_PGM_RSRC2:TRAP_HANDLER: 0
; COMPUTE_PGM_RSRC2:TGID_X_EN: 1
; COMPUTE_PGM_RSRC2:TGID_Y_EN: 1
; COMPUTE_PGM_RSRC2:TGID_Z_EN: 1
; COMPUTE_PGM_RSRC2:TIDIG_COMP_CNT: 0
; COMPUTE_PGM_RSRC3_GFX90A:ACCUM_OFFSET: 23
; COMPUTE_PGM_RSRC3_GFX90A:TG_SPLIT: 0
	.section	.text._Z39paged_attention_ll4mi_QKV_mfma16_kernelIDF16_DF16_LN4vllm18Fp8KVCacheDataTypeE0EDF16_Li16ELi128ELi256ELb1ELi11EL8MFMAType0EEvPKT_PKT0_S8_ifPKiSA_SA_iPKfiiiPfSD_PS3_PT2_iSC_SC_,"axG",@progbits,_Z39paged_attention_ll4mi_QKV_mfma16_kernelIDF16_DF16_LN4vllm18Fp8KVCacheDataTypeE0EDF16_Li16ELi128ELi256ELb1ELi11EL8MFMAType0EEvPKT_PKT0_S8_ifPKiSA_SA_iPKfiiiPfSD_PS3_PT2_iSC_SC_,comdat
	.protected	_Z39paged_attention_ll4mi_QKV_mfma16_kernelIDF16_DF16_LN4vllm18Fp8KVCacheDataTypeE0EDF16_Li16ELi128ELi256ELb1ELi11EL8MFMAType0EEvPKT_PKT0_S8_ifPKiSA_SA_iPKfiiiPfSD_PS3_PT2_iSC_SC_ ; -- Begin function _Z39paged_attention_ll4mi_QKV_mfma16_kernelIDF16_DF16_LN4vllm18Fp8KVCacheDataTypeE0EDF16_Li16ELi128ELi256ELb1ELi11EL8MFMAType0EEvPKT_PKT0_S8_ifPKiSA_SA_iPKfiiiPfSD_PS3_PT2_iSC_SC_
	.globl	_Z39paged_attention_ll4mi_QKV_mfma16_kernelIDF16_DF16_LN4vllm18Fp8KVCacheDataTypeE0EDF16_Li16ELi128ELi256ELb1ELi11EL8MFMAType0EEvPKT_PKT0_S8_ifPKiSA_SA_iPKfiiiPfSD_PS3_PT2_iSC_SC_
	.p2align	8
	.type	_Z39paged_attention_ll4mi_QKV_mfma16_kernelIDF16_DF16_LN4vllm18Fp8KVCacheDataTypeE0EDF16_Li16ELi128ELi256ELb1ELi11EL8MFMAType0EEvPKT_PKT0_S8_ifPKiSA_SA_iPKfiiiPfSD_PS3_PT2_iSC_SC_,@function
_Z39paged_attention_ll4mi_QKV_mfma16_kernelIDF16_DF16_LN4vllm18Fp8KVCacheDataTypeE0EDF16_Li16ELi128ELi256ELb1ELi11EL8MFMAType0EEvPKT_PKT0_S8_ifPKiSA_SA_iPKfiiiPfSD_PS3_PT2_iSC_SC_: ; @_Z39paged_attention_ll4mi_QKV_mfma16_kernelIDF16_DF16_LN4vllm18Fp8KVCacheDataTypeE0EDF16_Li16ELi128ELi256ELb1ELi11EL8MFMAType0EEvPKT_PKT0_S8_ifPKiSA_SA_iPKfiiiPfSD_PS3_PT2_iSC_SC_
; %bb.0:
	s_mov_b64 s[46:47], s[2:3]
	s_mov_b64 s[44:45], s[0:1]
	s_load_dwordx2 s[0:1], s[4:5], 0x30
	s_add_u32 s44, s44, s9
	s_addc_u32 s45, s45, 0
	s_mov_b32 s26, s7
	s_mov_b64 s[10:11], 0
	s_waitcnt lgkmcnt(0)
	s_cmp_lg_u64 s[0:1], 0
	s_cselect_b64 s[2:3], -1, 0
	s_and_b64 vcc, exec, s[2:3]
	s_cbranch_vccz .LBB106_7
; %bb.1:
	s_add_i32 s12, s6, 1
	s_mov_b32 s13, 0
	s_lshl_b64 s[14:15], s[12:13], 2
	s_add_u32 s14, s0, s14
	s_mov_b32 s7, s13
	s_addc_u32 s15, s1, s15
	s_lshl_b64 s[12:13], s[6:7], 2
	s_add_u32 s12, s0, s12
	s_addc_u32 s13, s1, s13
	s_load_dword s9, s[14:15], 0x0
	s_load_dword s16, s[12:13], 0x0
	s_waitcnt lgkmcnt(0)
	s_sub_i32 s9, s9, s16
	s_cmp_eq_u32 s9, 1
	s_cselect_b64 s[12:13], -1, 0
	s_andn2_b64 vcc, exec, s[10:11]
	s_cbranch_vccnz .LBB106_3
.LBB106_2:
	s_mov_b32 s7, 0
	s_mov_b64 s[12:13], -1
.LBB106_3:
	s_andn2_b64 vcc, exec, s[12:13]
	s_cbranch_vccnz .LBB106_20
; %bb.4:
	s_load_dwordx2 s[12:13], s[4:5], 0x28
	s_lshl_b64 s[10:11], s[6:7], 2
	s_waitcnt lgkmcnt(0)
	s_add_u32 s12, s12, s10
	s_addc_u32 s13, s13, s11
	s_load_dword s33, s[12:13], 0x0
	s_lshl_b32 s16, s26, 8
	s_waitcnt lgkmcnt(0)
	s_cmp_ge_i32 s16, s33
	s_cbranch_scc1 .LBB106_20
; %bb.5:
	s_add_i32 s14, s33, 15
	s_load_dwordx2 s[12:13], s[4:5], 0x20
	s_load_dword s9, s[4:5], 0x38
	s_ashr_i32 s15, s14, 31
	v_and_b32_e32 v1, 0xcf, v0
	s_lshr_b32 s15, s15, 28
	v_add_u32_e32 v1, s16, v1
	s_add_i32 s14, s14, s15
	v_ashrrev_i32_e32 v2, 31, v1
	s_ashr_i32 s19, s14, 4
	v_lshrrev_b32_e32 v4, 28, v2
	s_add_i32 s19, s19, -1
	v_add_u32_e32 v2, v1, v4
	s_waitcnt lgkmcnt(0)
	s_mul_i32 s14, s6, s9
	s_mov_b32 s15, 0
	v_ashrrev_i32_e32 v2, 4, v2
	v_mov_b32_e32 v5, s19
	v_cmp_gt_i32_e32 vcc, s33, v1
	s_lshl_b64 s[14:15], s[14:15], 2
	v_cndmask_b32_e32 v2, v5, v2, vcc
	s_add_u32 s17, s12, s14
	v_ashrrev_i32_e32 v3, 31, v2
	s_addc_u32 s18, s13, s15
	v_lshlrev_b64 v[2:3], 2, v[2:3]
	v_mov_b32_e32 v7, s18
	v_add_co_u32_e32 v6, vcc, s17, v2
	v_or_b32_e32 v2, 16, v1
	v_addc_co_u32_e32 v7, vcc, v7, v3, vcc
	v_add_u32_e32 v3, v2, v4
	v_ashrrev_i32_e32 v3, 4, v3
	v_cmp_gt_i32_e32 vcc, s33, v2
	v_cndmask_b32_e32 v2, v5, v3, vcc
	v_ashrrev_i32_e32 v3, 31, v2
	v_lshlrev_b64 v[2:3], 2, v[2:3]
	v_mov_b32_e32 v9, s18
	v_add_co_u32_e32 v8, vcc, s17, v2
	v_or_b32_e32 v2, 32, v1
	v_addc_co_u32_e32 v9, vcc, v9, v3, vcc
	v_add_u32_e32 v3, v2, v4
	v_ashrrev_i32_e32 v3, 4, v3
	v_cmp_gt_i32_e32 vcc, s33, v2
	v_cndmask_b32_e32 v2, v5, v3, vcc
	v_ashrrev_i32_e32 v3, 31, v2
	v_lshlrev_b64 v[2:3], 2, v[2:3]
	v_mov_b32_e32 v11, s18
	v_add_co_u32_e32 v10, vcc, s17, v2
	v_or_b32_e32 v1, 48, v1
	v_addc_co_u32_e32 v11, vcc, v11, v3, vcc
	v_add_u32_e32 v2, v1, v4
	v_ashrrev_i32_e32 v2, 4, v2
	v_cmp_gt_i32_e32 vcc, s33, v1
	v_cndmask_b32_e32 v2, v5, v2, vcc
	v_ashrrev_i32_e32 v3, 31, v2
	v_lshlrev_b64 v[2:3], 2, v[2:3]
	v_mov_b32_e32 v1, s18
	v_add_co_u32_e32 v12, vcc, s17, v2
	v_addc_co_u32_e32 v13, vcc, v1, v3, vcc
	global_load_dword v5, v[6:7], off
	global_load_dword v4, v[8:9], off
	;; [unrolled: 1-line block ×4, first 2 shown]
	s_load_dwordx2 s[12:13], s[4:5], 0x8
	s_andn2_b64 vcc, exec, s[2:3]
	s_cbranch_vccnz .LBB106_8
; %bb.6:
	s_add_u32 s0, s0, s10
	s_addc_u32 s1, s1, s11
	s_load_dword s9, s[0:1], 0x0
	s_branch .LBB106_9
.LBB106_7:
	s_mov_b64 s[12:13], 0
	s_branch .LBB106_2
.LBB106_8:
	s_mov_b32 s9, s6
.LBB106_9:
	s_load_dwordx2 s[10:11], s[4:5], 0x10
	s_load_dwordx4 s[0:3], s[4:5], 0x48
	v_lshrrev_b32_e32 v87, 6, v0
	v_bfe_u32 v1, v0, 4, 2
	v_and_b32_e32 v85, 15, v0
	v_lshl_or_b32 v6, v87, 2, v1
	v_lshlrev_b32_e32 v7, 3, v85
	s_mul_i32 s27, s8, 11
	v_cmp_gt_u32_e32 vcc, 11, v6
	v_lshlrev_b32_e32 v7, 1, v7
	buffer_store_dword v7, off, s[44:47], 0 ; 4-byte Folded Spill
	s_and_saveexec_b64 s[14:15], vcc
	s_cbranch_execz .LBB106_11
; %bb.10:
	s_load_dwordx2 s[20:21], s[4:5], 0x0
	s_waitcnt lgkmcnt(0)
	s_ashr_i32 s3, s0, 31
	s_mul_hi_u32 s22, s9, s0
	s_mul_i32 s3, s9, s3
	s_add_i32 s23, s22, s3
	s_mul_i32 s22, s9, s0
	s_lshl_b64 s[22:23], s[22:23], 1
	v_add_lshl_u32 v8, v6, s27, 7
	s_add_u32 s0, s20, s22
	v_ashrrev_i32_e32 v9, 31, v8
	s_addc_u32 s3, s21, s23
	v_lshlrev_b64 v[8:9], 1, v[8:9]
	v_mov_b32_e32 v7, s3
	v_add_co_u32_e32 v8, vcc, s0, v8
	v_addc_co_u32_e32 v7, vcc, v7, v9, vcc
	buffer_load_dword v9, off, s[44:47], 0  ; 4-byte Folded Reload
	v_lshlrev_b32_e32 v12, 9, v85
	v_lshlrev_b32_e32 v6, 5, v6
	v_and_b32_e32 v12, 0x1800, v12
	s_waitcnt vmcnt(0)
	v_add_co_u32_e32 v8, vcc, v8, v9
	v_addc_co_u32_e32 v9, vcc, 0, v7, vcc
	global_load_dwordx4 v[8:11], v[8:9], off
	v_and_b32_e32 v7, 3, v0
	v_lshlrev_b32_e32 v7, 9, v7
	v_or3_b32 v6, v12, v7, v6
	s_waitcnt vmcnt(0)
	ds_write_b128 v6, v[8:11]
.LBB106_11:
	s_or_b64 exec, exec, s[14:15]
	s_waitcnt lgkmcnt(0)
	s_mul_i32 s2, s8, s2
	s_mov_b32 s3, 0
	s_lshl_b64 s[2:3], s[2:3], 1
	s_add_u32 s0, s12, s2
	v_lshlrev_b32_e32 v10, 4, v0
	s_addc_u32 s8, s13, s3
	v_and_b32_e32 v6, 0xf0, v10
	v_mov_b32_e32 v7, s8
	v_add_co_u32_e32 v8, vcc, s0, v6
	v_addc_co_u32_e32 v9, vcc, 0, v7, vcc
	s_waitcnt vmcnt(4)
	v_mad_i64_i32 v[6:7], s[8:9], v5, s1, 0
	v_lshlrev_b64 v[6:7], 1, v[6:7]
	v_add_co_u32_e32 v5, vcc, v8, v6
	v_addc_co_u32_e32 v7, vcc, v9, v7, vcc
	v_and_b32_e32 v10, 0x300, v10
	v_add_co_u32_e32 v6, vcc, v5, v10
	s_waitcnt vmcnt(3)
	v_mad_i64_i32 v[4:5], s[8:9], v4, s1, 0
	v_addc_co_u32_e32 v7, vcc, 0, v7, vcc
	v_lshlrev_b64 v[4:5], 1, v[4:5]
	v_add_co_u32_e32 v4, vcc, v8, v4
	v_addc_co_u32_e32 v5, vcc, v9, v5, vcc
	v_add_co_u32_e32 v4, vcc, v4, v10
	v_addc_co_u32_e32 v5, vcc, 0, v5, vcc
	s_barrier
	global_load_dwordx4 v[74:77], v[6:7], off
	global_load_dwordx4 v[66:69], v[6:7], off offset:1024
	global_load_dwordx4 v[58:61], v[6:7], off offset:2048
	;; [unrolled: 1-line block ×3, first 2 shown]
	global_load_dwordx4 v[78:81], v[4:5], off
	global_load_dwordx4 v[70:73], v[4:5], off offset:1024
	global_load_dwordx4 v[62:65], v[4:5], off offset:2048
	;; [unrolled: 1-line block ×3, first 2 shown]
	s_waitcnt vmcnt(10)
	v_mad_i64_i32 v[4:5], s[8:9], v3, s1, 0
	v_lshlrev_b64 v[4:5], 1, v[4:5]
	v_add_co_u32_e32 v3, vcc, v8, v4
	v_addc_co_u32_e32 v5, vcc, v9, v5, vcc
	v_add_co_u32_e32 v4, vcc, v3, v10
	s_waitcnt vmcnt(9)
	v_mad_i64_i32 v[2:3], s[8:9], v2, s1, 0
	v_addc_co_u32_e32 v5, vcc, 0, v5, vcc
	v_lshlrev_b64 v[2:3], 1, v[2:3]
	v_add_co_u32_e32 v2, vcc, v8, v2
	v_addc_co_u32_e32 v3, vcc, v9, v3, vcc
	v_add_co_u32_e32 v6, vcc, v2, v10
	v_addc_co_u32_e32 v7, vcc, 0, v3, vcc
	global_load_dwordx4 v[38:41], v[4:5], off
	global_load_dwordx4 v[34:37], v[4:5], off offset:1024
	global_load_dwordx4 v[30:33], v[4:5], off offset:2048
	;; [unrolled: 1-line block ×3, first 2 shown]
	global_load_dwordx4 v[18:21], v[6:7], off
	global_load_dwordx4 v[10:13], v[6:7], off offset:1024
	s_nop 0
	global_load_dwordx4 v[2:5], v[6:7], off offset:2048
	global_load_dwordx4 v[50:53], v[6:7], off offset:3072
	v_add_u32_e32 v6, -11, v85
	v_cmp_gt_u32_e32 vcc, 11, v85
	v_cndmask_b32_e32 v6, v6, v85, vcc
	v_lshlrev_b32_e32 v6, 5, v6
	v_lshl_add_u32 v54, v1, 9, v6
	ds_read_b128 v[26:29], v54
	ds_read_b128 v[14:17], v54 offset:2048
	ds_read_b128 v[6:9], v54 offset:4096
	;; [unrolled: 1-line block ×3, first 2 shown]
	v_and_b32_e32 v88, 63, v0
	v_mov_b32_e32 v89, 0
	s_and_saveexec_b64 s[8:9], vcc
	s_cbranch_execz .LBB106_13
; %bb.12:
	s_load_dwordx2 s[12:13], s[4:5], 0x40
	v_add_u32_e32 v82, s27, v85
	v_ashrrev_i32_e32 v83, 31, v82
	v_lshlrev_b64 v[82:83], 2, v[82:83]
	s_waitcnt lgkmcnt(0)
	v_mov_b32_e32 v89, s13
	v_add_co_u32_e32 v82, vcc, s12, v82
	v_addc_co_u32_e32 v83, vcc, v89, v83, vcc
	global_load_dword v89, v[82:83], off
.LBB106_13:
	s_or_b64 exec, exec, s[8:9]
	s_waitcnt vmcnt(15) lgkmcnt(3)
	v_mfma_f32_16x16x16f16 v[90:93], v[74:75], v[26:27], 0
	s_add_u32 s8, s10, s2
	s_addc_u32 s9, s11, s3
	s_load_dword s0, s[4:5], 0x1c
	s_mov_b32 s40, 0xff7fffff
	v_mfma_f32_16x16x16f16 v[74:77], v[76:77], v[28:29], v[90:93]
	s_waitcnt vmcnt(14) lgkmcnt(0)
	v_mfma_f32_16x16x16f16 v[74:77], v[66:67], v[14:15], v[74:77]
	s_nop 4
	v_lshl_or_b32 v90, v87, 4, v85
	v_mfma_f32_16x16x16f16 v[66:69], v[68:69], v[16:17], v[74:77]
	s_waitcnt vmcnt(13)
	v_mfma_f32_16x16x16f16 v[66:69], v[58:59], v[6:7], v[66:69]
	s_nop 4
	v_lshlrev_b32_e32 v76, 5, v90
	v_mfma_f32_16x16x16f16 v[58:61], v[60:61], v[8:9], v[66:69]
	s_waitcnt vmcnt(12)
	v_mfma_f32_16x16x16f16 v[58:61], v[42:43], v[54:55], v[58:61]
	s_nop 4
	v_mov_b32_e32 v66, s18
	v_mfma_f32_16x16x16f16 v[58:61], v[44:45], v[56:57], v[58:61]
	s_waitcnt vmcnt(11)
	v_mfma_f32_16x16x16f16 v[42:45], v[78:79], v[26:27], 0
	s_nop 7
	s_nop 0
	v_pk_mul_f32 v[58:59], s[0:1], v[58:59] op_sel_hi:[0,1]
	v_mfma_f32_16x16x16f16 v[42:45], v[80:81], v[28:29], v[42:45]
	s_waitcnt vmcnt(10)
	v_mfma_f32_16x16x16f16 v[42:45], v[70:71], v[14:15], v[42:45]
	v_mfma_f32_16x16x16f16 v[42:45], v[72:73], v[16:17], v[42:45]
	s_waitcnt vmcnt(9)
	v_mfma_f32_16x16x16f16 v[42:45], v[62:63], v[6:7], v[42:45]
	;; [unrolled: 3-line block ×3, first 2 shown]
	v_mfma_f32_16x16x16f16 v[62:65], v[48:49], v[56:57], v[42:45]
	v_and_or_b32 v48, v0, 48, s16
	v_mov_b32_e32 v49, s19
	v_cmp_gt_i32_e32 vcc, s33, v48
	s_waitcnt vmcnt(7)
	v_mfma_f32_16x16x16f16 v[42:45], v[38:39], v[26:27], 0
	v_ashrrev_i32_e32 v38, 4, v48
	v_cndmask_b32_e32 v38, v49, v38, vcc
	v_ashrrev_i32_e32 v39, 31, v38
	v_lshlrev_b64 v[46:47], 2, v[38:39]
	v_mfma_f32_16x16x16f16 v[38:41], v[40:41], v[28:29], v[42:45]
	s_nop 6
	v_add_co_u32_e32 v42, vcc, s17, v46
	v_addc_co_u32_e32 v43, vcc, v66, v47, vcc
	global_load_dword v44, v[42:43], off
	v_or_b32_e32 v42, 64, v48
	v_ashrrev_i32_e32 v43, 4, v42
	v_cmp_gt_i32_e32 vcc, s33, v42
	v_cndmask_b32_e32 v42, v49, v43, vcc
	s_waitcnt vmcnt(7)
	v_mfma_f32_16x16x16f16 v[38:41], v[34:35], v[14:15], v[38:41]
	v_ashrrev_i32_e32 v43, 31, v42
	v_lshlrev_b64 v[34:35], 2, v[42:43]
	v_mov_b32_e32 v42, s18
	v_add_co_u32_e32 v34, vcc, s17, v34
	v_addc_co_u32_e32 v35, vcc, v42, v35, vcc
	global_load_dword v72, v[34:35], off
	v_mfma_f32_16x16x16f16 v[34:37], v[36:37], v[16:17], v[38:41]
	s_nop 6
	v_or_b32_e32 v38, 0x80, v48
	v_ashrrev_i32_e32 v39, 4, v38
	v_cmp_gt_i32_e32 vcc, s33, v38
	v_cndmask_b32_e32 v38, v49, v39, vcc
	v_ashrrev_i32_e32 v39, 31, v38
	v_lshlrev_b64 v[38:39], 2, v[38:39]
	v_mov_b32_e32 v40, s18
	s_waitcnt vmcnt(7)
	v_mfma_f32_16x16x16f16 v[34:37], v[30:31], v[6:7], v[34:37]
	v_add_co_u32_e32 v30, vcc, s17, v38
	v_addc_co_u32_e32 v31, vcc, v40, v39, vcc
	global_load_dword v74, v[30:31], off
	v_or_b32_e32 v30, 0xc0, v48
	v_ashrrev_i32_e32 v31, 4, v30
	v_cmp_gt_i32_e32 vcc, s33, v30
	v_cndmask_b32_e32 v38, v49, v31, vcc
	v_ashrrev_i32_e32 v39, 31, v38
	v_mfma_f32_16x16x16f16 v[30:33], v[32:33], v[8:9], v[34:37]
	s_nop 6
	v_lshlrev_b64 v[34:35], 2, v[38:39]
	v_mov_b32_e32 v36, s18
	v_add_co_u32_e32 v34, vcc, s17, v34
	v_addc_co_u32_e32 v35, vcc, v36, v35, vcc
	global_load_dword v75, v[34:35], off
	s_waitcnt vmcnt(8)
	v_mfma_f32_16x16x16f16 v[30:33], v[22:23], v[54:55], v[30:33]
	v_mov_b32_e32 v22, s9
	v_add_co_u32_e32 v77, vcc, s8, v76
	v_addc_co_u32_e32 v78, vcc, 0, v22, vcc
	s_waitcnt vmcnt(3)
	v_mad_i64_i32 v[22:23], s[2:3], v44, s1, 0
	v_mfma_f32_16x16x16f16 v[66:69], v[24:25], v[56:57], v[30:33]
	v_lshlrev_b64 v[70:71], 1, v[22:23]
	v_mfma_f32_16x16x16f16 v[22:25], v[18:19], v[26:27], 0
	v_add_co_u32_e32 v18, vcc, v77, v70
	v_addc_co_u32_e32 v19, vcc, v78, v71, vcc
	global_load_dwordx4 v[46:49], v[18:19], off
	global_load_dwordx4 v[42:45], v[18:19], off offset:16
	s_waitcnt vmcnt(4)
	v_mad_i64_i32 v[18:19], s[2:3], v72, s1, 0
	v_lshlrev_b64 v[72:73], 1, v[18:19]
	v_mfma_f32_16x16x16f16 v[18:21], v[20:21], v[28:29], v[22:25]
	v_mfma_f32_16x16x16f16 v[18:21], v[10:11], v[14:15], v[18:21]
	s_nop 5
	v_add_co_u32_e32 v22, vcc, v77, v72
	v_addc_co_u32_e32 v23, vcc, v78, v73, vcc
	global_load_dwordx4 v[38:41], v[22:23], off
	global_load_dwordx4 v[34:37], v[22:23], off offset:16
	s_waitcnt vmcnt(5)
	v_mad_i64_i32 v[22:23], s[2:3], v74, s1, 0
	v_lshlrev_b64 v[82:83], 1, v[22:23]
	v_add_co_u32_e32 v10, vcc, v77, v82
	v_addc_co_u32_e32 v11, vcc, v78, v83, vcc
	global_load_dwordx4 v[30:33], v[10:11], off
	global_load_dwordx4 v[26:29], v[10:11], off offset:16
	v_mfma_f32_16x16x16f16 v[10:13], v[12:13], v[16:17], v[18:21]
	s_waitcnt vmcnt(6)
	v_mad_i64_i32 v[14:15], s[2:3], v75, s1, 0
	v_mfma_f32_16x16x16f16 v[10:13], v[2:3], v[6:7], v[10:13]
	v_lshlrev_b64 v[80:81], 1, v[14:15]
	v_add_co_u32_e32 v14, vcc, v77, v80
	v_addc_co_u32_e32 v15, vcc, v78, v81, vcc
	v_or_b32_e32 v2, 0x800, v76
	v_mov_b32_e32 v3, s9
	v_mfma_f32_16x16x16f16 v[10:13], v[4:5], v[8:9], v[10:13]
	v_add_co_u32_e32 v91, vcc, s8, v2
	v_addc_co_u32_e32 v84, vcc, 0, v3, vcc
	v_add_co_u32_e32 v2, vcc, v91, v70
	v_addc_co_u32_e32 v3, vcc, v84, v71, vcc
	v_mfma_f32_16x16x16f16 v[92:95], v[50:51], v[54:55], v[10:13]
	v_add_co_u32_e32 v70, vcc, v91, v72
	v_addc_co_u32_e32 v71, vcc, v84, v73, vcc
	global_load_dwordx4 v[22:25], v[14:15], off
	global_load_dwordx4 v[18:21], v[14:15], off offset:16
	global_load_dwordx4 v[6:9], v[2:3], off
	s_nop 0
	global_load_dwordx4 v[2:5], v[2:3], off offset:16
	s_nop 0
	global_load_dwordx4 v[14:17], v[70:71], off
	global_load_dwordx4 v[10:13], v[70:71], off offset:16
	v_mfma_f32_16x16x16f16 v[50:53], v[52:53], v[56:57], v[92:95]
	v_pk_mul_f32 v[70:71], s[0:1], v[68:69] op_sel_hi:[0,1]
	v_pk_mul_f32 v[72:73], s[0:1], v[66:67] op_sel_hi:[0,1]
	v_pk_mul_f32 v[78:79], s[0:1], v[60:61] op_sel_hi:[0,1]
	v_pk_mul_f32 v[74:75], s[0:1], v[64:65] op_sel_hi:[0,1]
	v_pk_mul_f32 v[76:77], s[0:1], v[62:63] op_sel_hi:[0,1]
	s_nop 5
	v_pk_mul_f32 v[68:69], s[0:1], v[50:51] op_sel_hi:[0,1]
	v_and_b32_e32 v50, 0xc0, v0
	v_add_u32_e32 v50, s16, v50
	v_lshl_or_b32 v50, v1, 2, v50
	v_or_b32_e32 v51, 1, v50
	v_pk_mul_f32 v[66:67], s[0:1], v[52:53] op_sel_hi:[0,1]
	v_subrev_u32_e32 v52, s33, v51
	v_add_u32_e32 v54, 1, v52
	v_add_u32_e32 v55, 2, v52
	v_cvt_f32_i32_e32 v53, v52
	v_cvt_f32_i32_e32 v54, v54
	;; [unrolled: 1-line block ×3, first 2 shown]
	v_add_u32_e32 v56, 3, v52
	v_fma_f32 v58, v89, v53, v58
	v_fmac_f32_e32 v59, v89, v54
	v_fma_f32 v78, v89, v55, v78
	v_add_u32_e32 v53, 16, v52
	v_add_u32_e32 v54, 17, v52
	;; [unrolled: 1-line block ×3, first 2 shown]
	v_cvt_f32_i32_e32 v56, v56
	v_cvt_f32_i32_e32 v53, v53
	;; [unrolled: 1-line block ×4, first 2 shown]
	v_fmac_f32_e32 v79, v89, v56
	v_add_u32_e32 v56, 19, v52
	v_fma_f32 v76, v89, v53, v76
	v_fmac_f32_e32 v77, v89, v54
	v_fma_f32 v74, v89, v55, v74
	v_add_u32_e32 v53, 32, v52
	v_add_u32_e32 v54, 33, v52
	;; [unrolled: 1-line block ×3, first 2 shown]
	v_cvt_f32_i32_e32 v56, v56
	v_cvt_f32_i32_e32 v53, v53
	;; [unrolled: 1-line block ×4, first 2 shown]
	v_fmac_f32_e32 v75, v89, v56
	v_add_u32_e32 v56, 35, v52
	v_fma_f32 v72, v89, v53, v72
	v_fmac_f32_e32 v73, v89, v54
	v_fma_f32 v70, v89, v55, v70
	v_add_u32_e32 v53, 48, v52
	v_add_u32_e32 v54, 49, v52
	;; [unrolled: 1-line block ×4, first 2 shown]
	v_cvt_f32_i32_e32 v52, v52
	v_cvt_f32_i32_e32 v53, v53
	;; [unrolled: 1-line block ×3, first 2 shown]
	v_cmp_gt_i32_e64 s[28:29], s33, v50
	v_fmac_f32_e32 v67, v89, v52
	v_mov_b32_e32 v52, 0xff7fffff
	v_cmp_gt_i32_e64 s[30:31], s33, v51
	v_fma_f32 v68, v89, v53, v68
	v_cndmask_b32_e64 v53, v52, v58, s[28:29]
	v_cndmask_b32_e64 v51, v52, v59, s[30:31]
	v_fmac_f32_e32 v69, v89, v54
	v_max3_f32 v51, v53, s40, v51
	v_or_b32_e32 v53, 2, v50
	v_or_b32_e32 v54, 3, v50
	v_cmp_gt_i32_e64 s[34:35], s33, v53
	v_cmp_gt_i32_e64 s[36:37], s33, v54
	v_cndmask_b32_e64 v53, v52, v78, s[34:35]
	v_cndmask_b32_e64 v54, v52, v79, s[36:37]
	v_max3_f32 v51, v51, v53, v54
	v_or_b32_e32 v53, 16, v50
	v_or_b32_e32 v54, 17, v50
	v_cmp_gt_i32_e64 s[22:23], s33, v53
	v_cmp_gt_i32_e64 s[24:25], s33, v54
	v_cndmask_b32_e64 v53, v52, v76, s[22:23]
	v_cndmask_b32_e64 v54, v52, v77, s[24:25]
	;; [unrolled: 7-line block ×3, first 2 shown]
	v_cvt_f32_i32_e32 v56, v56
	v_max3_f32 v51, v51, v53, v54
	v_or_b32_e32 v53, 32, v50
	v_or_b32_e32 v54, 33, v50
	v_cmp_gt_i32_e64 s[14:15], s33, v53
	v_cmp_gt_i32_e64 s[16:17], s33, v54
	v_cndmask_b32_e64 v53, v52, v72, s[14:15]
	v_cndmask_b32_e64 v54, v52, v73, s[16:17]
	v_max3_f32 v51, v51, v53, v54
	v_or_b32_e32 v53, 34, v50
	v_or_b32_e32 v54, 35, v50
	v_fmac_f32_e32 v71, v89, v56
	v_cmp_gt_i32_e64 s[10:11], s33, v53
	v_cmp_gt_i32_e64 s[12:13], s33, v54
	v_cndmask_b32_e64 v53, v52, v70, s[10:11]
	v_cndmask_b32_e64 v54, v52, v71, s[12:13]
	v_cvt_f32_i32_e32 v55, v55
	v_max3_f32 v51, v51, v53, v54
	v_or_b32_e32 v53, 48, v50
	v_or_b32_e32 v54, 49, v50
	v_cmp_gt_i32_e64 s[2:3], s33, v53
	v_cmp_gt_i32_e64 s[8:9], s33, v54
	v_cndmask_b32_e64 v53, v52, v68, s[2:3]
	v_cndmask_b32_e64 v54, v52, v69, s[8:9]
	v_max3_f32 v51, v51, v53, v54
	v_or_b32_e32 v53, 50, v50
	v_or_b32_e32 v50, 51, v50
	v_fma_f32 v66, v89, v55, v66
	v_cmp_gt_i32_e32 vcc, s33, v53
	v_cmp_gt_i32_e64 s[0:1], s33, v50
	v_cndmask_b32_e32 v53, v52, v66, vcc
	v_cndmask_b32_e64 v50, v52, v67, s[0:1]
	v_max3_f32 v60, v51, v53, v50
	v_mbcnt_lo_u32_b32 v50, -1, 0
	v_mbcnt_hi_u32_b32 v61, -1, v50
	v_and_b32_e32 v50, 64, v61
	v_add_u32_e32 v62, 64, v50
	v_xor_b32_e32 v50, 32, v61
	v_cmp_lt_i32_e64 s[38:39], v50, v62
	v_cndmask_b32_e64 v50, v61, v50, s[38:39]
	v_lshlrev_b32_e32 v89, 2, v50
	ds_bpermute_b32 v63, v89, v60
	v_add_co_u32_e64 v50, s[38:39], v91, v82
	v_addc_co_u32_e64 v51, s[38:39], v84, v83, s[38:39]
	s_waitcnt lgkmcnt(0)
	v_max_f32_e32 v63, v63, v63
	v_max_f32_e32 v63, v60, v63
	v_xor_b32_e32 v60, 16, v61
	v_cmp_lt_i32_e64 s[38:39], v60, v62
	v_cndmask_b32_e64 v60, v61, v60, s[38:39]
	v_lshlrev_b32_e32 v92, 2, v60
	ds_bpermute_b32 v62, v92, v63
	v_add_co_u32_e64 v60, s[38:39], v91, v80
	v_addc_co_u32_e64 v61, s[38:39], v84, v81, s[38:39]
	s_waitcnt lgkmcnt(0)
	v_max_f32_e32 v62, v62, v62
	v_max_f32_e32 v82, v63, v62
	v_sub_f32_e32 v58, v58, v82
	v_mul_f32_e32 v58, 0x3fb8aa3b, v58
	v_exp_f32_e32 v80, v58
	v_sub_f32_e32 v58, v59, v82
	v_mul_f32_e32 v58, 0x3fb8aa3b, v58
	global_load_dwordx4 v[54:57], v[50:51], off
	s_nop 0
	global_load_dwordx4 v[50:53], v[50:51], off offset:16
	v_exp_f32_e32 v81, v58
	global_load_dwordx4 v[62:65], v[60:61], off
	s_nop 0
	global_load_dwordx4 v[58:61], v[60:61], off offset:16
	v_sub_f32_e32 v78, v78, v82
	v_mul_f32_e32 v78, 0x3fb8aa3b, v78
	v_sub_f32_e32 v79, v79, v82
	v_exp_f32_e32 v78, v78
	v_mul_f32_e32 v79, 0x3fb8aa3b, v79
	v_sub_f32_e32 v76, v76, v82
	v_exp_f32_e32 v79, v79
	v_mul_f32_e32 v76, 0x3fb8aa3b, v76
	v_sub_f32_e32 v77, v77, v82
	v_cndmask_b32_e64 v80, 0, v80, s[28:29]
	v_exp_f32_e32 v76, v76
	v_mul_f32_e32 v77, 0x3fb8aa3b, v77
	v_sub_f32_e32 v74, v74, v82
	v_add_f32_e32 v83, 0, v80
	v_cndmask_b32_e64 v81, 0, v81, s[30:31]
	v_exp_f32_e32 v77, v77
	v_mul_f32_e32 v74, 0x3fb8aa3b, v74
	v_sub_f32_e32 v75, v75, v82
	v_add_f32_e32 v83, v83, v81
	;; [unrolled: 5-line block ×10, first 2 shown]
	v_cndmask_b32_e64 v70, 0, v70, s[10:11]
	v_exp_f32_e32 v66, v66
	v_mul_f32_e32 v67, 0x3fb8aa3b, v67
	v_add_f32_e32 v83, v83, v70
	v_cndmask_b32_e64 v71, 0, v71, s[12:13]
	v_exp_f32_e32 v67, v67
	v_add_f32_e32 v83, v83, v71
	v_cndmask_b32_e64 v68, 0, v68, s[2:3]
	v_add_f32_e32 v83, v83, v68
	v_cndmask_b32_e64 v69, 0, v69, s[8:9]
	v_add_f32_e32 v83, v83, v69
	v_cndmask_b32_e32 v66, 0, v66, vcc
	v_add_f32_e32 v83, v83, v66
	v_cndmask_b32_e64 v67, 0, v67, s[0:1]
	v_add_f32_e32 v83, v83, v67
	ds_bpermute_b32 v84, v89, v83
	s_load_dword s3, s[4:5], 0x98
	v_cmp_gt_u32_e32 vcc, 16, v88
	s_waitcnt lgkmcnt(0)
	s_barrier
	v_add_f32_e32 v83, v83, v84
	ds_bpermute_b32 v89, v92, v83
	s_waitcnt lgkmcnt(0)
	s_and_saveexec_b64 s[0:1], vcc
	s_cbranch_execz .LBB106_15
; %bb.14:
	v_add_f32_e32 v83, v83, v89
	v_lshlrev_b32_e32 v84, 2, v90
	ds_write2st64_b32 v84, v82, v83 offset1:1
.LBB106_15:
	s_or_b64 exec, exec, s[0:1]
	v_lshlrev_b32_e32 v83, 2, v85
	s_load_dword s2, s[4:5], 0x94
	s_waitcnt lgkmcnt(0)
	s_barrier
	ds_read2_b32 v[88:89], v83 offset1:16
	ds_read2_b32 v[90:91], v83 offset0:32 offset1:48
	ds_read2_b32 v[92:93], v83 offset0:64 offset1:80
	s_mul_i32 s3, s3, 11
	s_waitcnt lgkmcnt(2)
	v_max3_f32 v82, v88, s40, v89
	s_waitcnt lgkmcnt(1)
	v_max3_f32 v82, v82, v90, v91
	v_sub_f32_e32 v84, v88, v82
	v_sub_f32_e32 v88, v89, v82
	v_mul_f32_e32 v88, 0x3fb8aa3b, v88
	v_mul_f32_e32 v84, 0x3fb8aa3b, v84
	v_exp_f32_e32 v94, v88
	v_sub_f32_e32 v88, v90, v82
	v_exp_f32_e32 v84, v84
	v_mul_f32_e32 v88, 0x3fb8aa3b, v88
	v_exp_f32_e32 v90, v88
	ds_read2_b32 v[88:89], v83 offset0:96 offset1:112
	v_sub_f32_e32 v83, v91, v82
	v_mul_f32_e32 v83, 0x3fb8aa3b, v83
	v_exp_f32_e32 v91, v83
	s_waitcnt lgkmcnt(1)
	v_fma_f32 v83, v84, v92, 0
	v_fmac_f32_e32 v83, v94, v93
	s_waitcnt lgkmcnt(0)
	v_fmac_f32_e32 v83, v90, v88
	v_fmac_f32_e32 v83, v91, v89
	v_add_f32_e32 v88, 0x358637bd, v83
	v_div_scale_f32 v89, s[0:1], v88, v88, 1.0
	v_rcp_f32_e32 v92, v89
	s_barrier
	v_fma_f32 v93, -v89, v92, 1.0
	v_fmac_f32_e32 v92, v93, v92
	v_div_scale_f32 v93, vcc, 1.0, v88, 1.0
	v_mul_f32_e32 v95, v93, v92
	v_fma_f32 v86, -v89, v95, v93
	v_fmac_f32_e32 v95, v86, v92
	v_fma_f32 v86, -v89, v95, v93
	v_div_fmas_f32 v86, v86, v92, v95
	v_cmp_eq_u32_e32 vcc, 1, v87
	v_cndmask_b32_e32 v84, v84, v94, vcc
	v_cmp_eq_u32_e32 vcc, 2, v87
	v_cndmask_b32_e32 v84, v84, v90, vcc
	v_cmp_eq_u32_e32 vcc, 3, v87
	v_div_fixup_f32 v86, v86, v88, 1.0
	v_cndmask_b32_e32 v84, v84, v91, vcc
	v_mul_f32_e32 v88, v84, v86
	v_pk_mul_f32 v[78:79], v[88:89], v[78:79] op_sel_hi:[0,1]
	v_pk_mul_f32 v[80:81], v[88:89], v[80:81] op_sel_hi:[0,1]
	v_cvt_f16_f32_e32 v80, v80
	v_cvt_f16_f32_e32 v81, v81
	v_cvt_f16_f32_e32 v78, v78
	v_cvt_f16_f32_e32 v79, v79
	v_pk_mul_f32 v[74:75], v[88:89], v[74:75] op_sel_hi:[0,1]
	v_pk_mul_f32 v[76:77], v[88:89], v[76:77] op_sel_hi:[0,1]
	v_cvt_f16_f32_e32 v76, v76
	v_cvt_f16_f32_e32 v77, v77
	;; [unrolled: 1-line block ×4, first 2 shown]
	v_pack_b32_f16 v80, v80, v81
	v_pack_b32_f16 v81, v78, v79
	v_lshlrev_b32_e32 v79, 3, v1
	v_lshlrev_b32_e32 v78, 5, v85
	;; [unrolled: 1-line block ×3, first 2 shown]
	v_or3_b32 v74, v74, v78, v79
	v_pack_b32_f16 v76, v76, v77
	v_pack_b32_f16 v77, v84, v75
	v_pk_mul_f32 v[70:71], v[88:89], v[70:71] op_sel_hi:[0,1]
	v_pk_mul_f32 v[72:73], v[88:89], v[72:73] op_sel_hi:[0,1]
	;; [unrolled: 1-line block ×4, first 2 shown]
	ds_write2st64_b64 v74, v[80:81], v[76:77] offset1:1
	v_cvt_f16_f32_e32 v72, v72
	v_cvt_f16_f32_e32 v73, v73
	;; [unrolled: 1-line block ×8, first 2 shown]
	v_pack_b32_f16 v66, v72, v73
	v_pack_b32_f16 v67, v70, v71
	v_pack_b32_f16 v68, v68, v69
	v_pack_b32_f16 v69, v75, v76
	v_cmp_gt_u32_e32 vcc, 11, v0
	ds_write2st64_b64 v74, v[66:67], v[68:69] offset0:2 offset1:3
	s_and_saveexec_b64 s[0:1], vcc
	s_cbranch_execz .LBB106_17
; %bb.16:
	v_add_co_u32_e32 v68, vcc, s27, v85
	v_addc_co_u32_e64 v69, s[12:13], 0, 0, vcc
	v_mov_b32_e32 v66, s3
	v_mov_b32_e32 v67, 0
	v_mad_u64_u32 v[68:69], s[12:13], s6, v66, v[68:69]
	v_mov_b32_e32 v66, s26
	s_load_dwordx4 s[8:11], s[4:5], 0x58
	s_mul_i32 s7, s7, s3
	v_mad_u64_u32 v[66:67], s[12:13], v68, s2, v[66:67]
	v_add_u32_e32 v69, s7, v69
	v_mov_b32_e32 v68, v67
	v_mad_u64_u32 v[68:69], s[12:13], v69, s2, v[68:69]
	v_mov_b32_e32 v67, v68
	v_lshlrev_b64 v[66:67], 2, v[66:67]
	s_waitcnt lgkmcnt(0)
	v_mov_b32_e32 v69, s11
	v_add_co_u32_e32 v68, vcc, s10, v66
	v_addc_co_u32_e32 v69, vcc, v69, v67, vcc
	global_store_dword v[68:69], v82, off
	v_mov_b32_e32 v68, s9
	v_add_co_u32_e32 v66, vcc, s8, v66
	v_addc_co_u32_e32 v67, vcc, v68, v67, vcc
	global_store_dword v[66:67], v83, off
.LBB106_17:
	s_or_b64 exec, exec, s[0:1]
	v_lshl_or_b32 v75, v1, 9, v78
	s_waitcnt lgkmcnt(0)
	s_barrier
	ds_read_b128 v[70:73], v75
	ds_read_b128 v[66:69], v75 offset:16
	s_waitcnt vmcnt(15) lgkmcnt(1)
	v_mfma_f32_16x16x16f16 v[76:79], v[46:47], v[70:71], 0
	s_mov_b32 s1, 0
	v_cmp_gt_u32_e32 vcc, 64, v0
	v_mfma_f32_16x16x16f16 v[46:49], v[48:49], v[72:73], v[76:79]
	s_waitcnt vmcnt(14) lgkmcnt(0)
	v_mfma_f32_16x16x16f16 v[46:49], v[42:43], v[66:67], v[46:49]
	v_mfma_f32_16x16x16f16 v[42:45], v[44:45], v[68:69], v[46:49]
	s_nop 7
	s_nop 1
	ds_read_b128 v[46:49], v75 offset:2048
	ds_read_b128 v[76:79], v75 offset:2064
	s_waitcnt vmcnt(13) lgkmcnt(1)
	v_mfma_f32_16x16x16f16 v[42:45], v[38:39], v[46:47], v[42:45]
	v_mfma_f32_16x16x16f16 v[38:41], v[40:41], v[48:49], v[42:45]
	s_waitcnt vmcnt(12) lgkmcnt(0)
	v_mfma_f32_16x16x16f16 v[38:41], v[34:35], v[76:77], v[38:41]
	v_mfma_f32_16x16x16f16 v[34:37], v[36:37], v[78:79], v[38:41]
	s_nop 7
	s_nop 1
	ds_read_b128 v[38:41], v75 offset:4096
	ds_read_b128 v[42:45], v75 offset:4112
	s_waitcnt vmcnt(11) lgkmcnt(1)
	v_mfma_f32_16x16x16f16 v[34:37], v[30:31], v[38:39], v[34:37]
	v_mfma_f32_16x16x16f16 v[30:33], v[32:33], v[40:41], v[34:37]
	s_waitcnt vmcnt(10) lgkmcnt(0)
	v_mfma_f32_16x16x16f16 v[30:33], v[26:27], v[42:43], v[30:33]
	v_mfma_f32_16x16x16f16 v[26:29], v[28:29], v[44:45], v[30:33]
	s_nop 7
	s_nop 1
	ds_read_b128 v[30:33], v75 offset:6144
	ds_read_b128 v[34:37], v75 offset:6160
	s_waitcnt lgkmcnt(0)
	s_barrier
	s_waitcnt vmcnt(9)
	v_mfma_f32_16x16x16f16 v[26:29], v[22:23], v[30:31], v[26:29]
	v_mfma_f32_16x16x16f16 v[22:25], v[24:25], v[32:33], v[26:29]
	s_waitcnt vmcnt(8)
	v_mfma_f32_16x16x16f16 v[22:25], v[18:19], v[34:35], v[22:25]
	v_mfma_f32_16x16x16f16 v[18:21], v[20:21], v[36:37], v[22:25]
	;; [unrolled: 3-line block ×4, first 2 shown]
	s_waitcnt vmcnt(5)
	v_mfma_f32_16x16x16f16 v[2:5], v[14:15], v[46:47], v[2:5]
	s_nop 7
	v_cvt_f16_f32_e32 v6, v18
	v_cvt_f16_f32_e32 v7, v19
	;; [unrolled: 1-line block ×4, first 2 shown]
	v_mfma_f32_16x16x16f16 v[2:5], v[16:17], v[48:49], v[2:5]
	s_waitcnt vmcnt(4)
	v_mfma_f32_16x16x16f16 v[2:5], v[10:11], v[76:77], v[2:5]
	v_mfma_f32_16x16x16f16 v[2:5], v[12:13], v[78:79], v[2:5]
	s_waitcnt vmcnt(3)
	v_mfma_f32_16x16x16f16 v[2:5], v[54:55], v[38:39], v[2:5]
	;; [unrolled: 3-line block ×5, first 2 shown]
	v_mfma_f32_16x16x16f16 v[2:5], v[60:61], v[36:37], v[2:5]
	s_nop 7
	s_nop 2
	v_cvt_f16_f32_e32 v10, v2
	v_cvt_f16_f32_e32 v11, v3
	;; [unrolled: 1-line block ×4, first 2 shown]
	v_pack_b32_f16 v2, v6, v7
	v_pack_b32_f16 v3, v8, v9
	;; [unrolled: 1-line block ×4, first 2 shown]
	ds_write2st64_b64 v74, v[2:3], v[4:5] offset1:1
	s_waitcnt lgkmcnt(0)
	s_barrier
	s_and_saveexec_b64 s[8:9], vcc
	s_cbranch_execz .LBB106_20
; %bb.18:
	v_lshlrev_b32_e32 v4, 6, v85
	v_lshlrev_b32_e32 v3, 4, v0
	v_lshl_or_b32 v0, v0, 10, v4
	v_lshlrev_b32_e32 v2, 5, v1
	v_and_b32_e32 v3, 16, v3
	v_and_b32_e32 v0, 0x1a00, v0
	v_or3_b32 v0, v0, v2, v3
	buffer_load_dword v2, off, s[44:47], 0  ; 4-byte Folded Reload
	s_load_dwordx2 s[4:5], s[4:5], 0x68
	s_lshl_b32 s2, s2, 7
	s_mul_i32 s0, s3, s6
	s_mul_hi_u32 s7, s0, s2
	s_mul_i32 s6, s0, s2
	s_lshl_b64 s[6:7], s[6:7], 1
	s_waitcnt lgkmcnt(0)
	s_add_u32 s3, s4, s6
	s_addc_u32 s4, s5, s7
	s_lshl_b32 s0, s26, 7
	s_lshl_b64 s[0:1], s[0:1], 1
	s_add_u32 s0, s3, s0
	s_addc_u32 s1, s4, s1
	ds_read_b128 v[4:7], v0 offset:128
	ds_read_b128 v[8:11], v0
	v_add_u32_e32 v14, s27, v1
	v_mov_b32_e32 v3, s1
	s_waitcnt vmcnt(0)
	v_add_co_u32_e32 v2, vcc, s0, v2
	v_mad_u64_u32 v[12:13], s[0:1], v14, s2, 0
	v_addc_co_u32_e32 v3, vcc, 0, v3, vcc
	v_lshlrev_b64 v[12:13], 1, v[12:13]
	v_add_co_u32_e32 v12, vcc, v2, v12
	v_addc_co_u32_e32 v13, vcc, v3, v13, vcc
	s_waitcnt lgkmcnt(0)
	global_store_dwordx4 v[12:13], v[8:11], off
	s_nop 0
	v_add_u32_e32 v8, 4, v14
	v_mad_u64_u32 v[8:9], s[0:1], v8, s2, 0
	v_lshlrev_b64 v[8:9], 1, v[8:9]
	v_add_co_u32_e32 v8, vcc, v2, v8
	v_addc_co_u32_e32 v9, vcc, v3, v9, vcc
	v_cmp_ne_u32_e32 vcc, 3, v1
	global_store_dwordx4 v[8:9], v[4:7], off
	s_and_b64 exec, exec, vcc
	s_cbranch_execz .LBB106_20
; %bb.19:
	ds_read_b128 v[4:7], v0 offset:256
	v_add3_u32 v0, s27, v1, 8
	v_mad_u64_u32 v[0:1], s[0:1], v0, s2, 0
	v_lshlrev_b64 v[0:1], 1, v[0:1]
	v_add_co_u32_e32 v0, vcc, v2, v0
	v_addc_co_u32_e32 v1, vcc, v3, v1, vcc
	s_waitcnt lgkmcnt(0)
	global_store_dwordx4 v[0:1], v[4:7], off
.LBB106_20:
	s_endpgm
	.section	.rodata,"a",@progbits
	.p2align	6, 0x0
	.amdhsa_kernel _Z39paged_attention_ll4mi_QKV_mfma16_kernelIDF16_DF16_LN4vllm18Fp8KVCacheDataTypeE0EDF16_Li16ELi128ELi256ELb1ELi11EL8MFMAType0EEvPKT_PKT0_S8_ifPKiSA_SA_iPKfiiiPfSD_PS3_PT2_iSC_SC_
		.amdhsa_group_segment_fixed_size 8192
		.amdhsa_private_segment_fixed_size 8
		.amdhsa_kernarg_size 400
		.amdhsa_user_sgpr_count 6
		.amdhsa_user_sgpr_private_segment_buffer 1
		.amdhsa_user_sgpr_dispatch_ptr 0
		.amdhsa_user_sgpr_queue_ptr 0
		.amdhsa_user_sgpr_kernarg_segment_ptr 1
		.amdhsa_user_sgpr_dispatch_id 0
		.amdhsa_user_sgpr_flat_scratch_init 0
		.amdhsa_user_sgpr_kernarg_preload_length 0
		.amdhsa_user_sgpr_kernarg_preload_offset 0
		.amdhsa_user_sgpr_private_segment_size 0
		.amdhsa_uses_dynamic_stack 0
		.amdhsa_system_sgpr_private_segment_wavefront_offset 1
		.amdhsa_system_sgpr_workgroup_id_x 1
		.amdhsa_system_sgpr_workgroup_id_y 1
		.amdhsa_system_sgpr_workgroup_id_z 1
		.amdhsa_system_sgpr_workgroup_info 0
		.amdhsa_system_vgpr_workitem_id 0
		.amdhsa_next_free_vgpr 96
		.amdhsa_next_free_sgpr 48
		.amdhsa_accum_offset 96
		.amdhsa_reserve_vcc 1
		.amdhsa_reserve_flat_scratch 0
		.amdhsa_float_round_mode_32 0
		.amdhsa_float_round_mode_16_64 0
		.amdhsa_float_denorm_mode_32 3
		.amdhsa_float_denorm_mode_16_64 3
		.amdhsa_dx10_clamp 1
		.amdhsa_ieee_mode 1
		.amdhsa_fp16_overflow 0
		.amdhsa_tg_split 0
		.amdhsa_exception_fp_ieee_invalid_op 0
		.amdhsa_exception_fp_denorm_src 0
		.amdhsa_exception_fp_ieee_div_zero 0
		.amdhsa_exception_fp_ieee_overflow 0
		.amdhsa_exception_fp_ieee_underflow 0
		.amdhsa_exception_fp_ieee_inexact 0
		.amdhsa_exception_int_div_zero 0
	.end_amdhsa_kernel
	.section	.text._Z39paged_attention_ll4mi_QKV_mfma16_kernelIDF16_DF16_LN4vllm18Fp8KVCacheDataTypeE0EDF16_Li16ELi128ELi256ELb1ELi11EL8MFMAType0EEvPKT_PKT0_S8_ifPKiSA_SA_iPKfiiiPfSD_PS3_PT2_iSC_SC_,"axG",@progbits,_Z39paged_attention_ll4mi_QKV_mfma16_kernelIDF16_DF16_LN4vllm18Fp8KVCacheDataTypeE0EDF16_Li16ELi128ELi256ELb1ELi11EL8MFMAType0EEvPKT_PKT0_S8_ifPKiSA_SA_iPKfiiiPfSD_PS3_PT2_iSC_SC_,comdat
.Lfunc_end106:
	.size	_Z39paged_attention_ll4mi_QKV_mfma16_kernelIDF16_DF16_LN4vllm18Fp8KVCacheDataTypeE0EDF16_Li16ELi128ELi256ELb1ELi11EL8MFMAType0EEvPKT_PKT0_S8_ifPKiSA_SA_iPKfiiiPfSD_PS3_PT2_iSC_SC_, .Lfunc_end106-_Z39paged_attention_ll4mi_QKV_mfma16_kernelIDF16_DF16_LN4vllm18Fp8KVCacheDataTypeE0EDF16_Li16ELi128ELi256ELb1ELi11EL8MFMAType0EEvPKT_PKT0_S8_ifPKiSA_SA_iPKfiiiPfSD_PS3_PT2_iSC_SC_
                                        ; -- End function
	.section	.AMDGPU.csdata,"",@progbits
; Kernel info:
; codeLenInByte = 4932
; NumSgprs: 52
; NumVgprs: 96
; NumAgprs: 0
; TotalNumVgprs: 96
; ScratchSize: 8
; MemoryBound: 0
; FloatMode: 240
; IeeeMode: 1
; LDSByteSize: 8192 bytes/workgroup (compile time only)
; SGPRBlocks: 6
; VGPRBlocks: 11
; NumSGPRsForWavesPerEU: 52
; NumVGPRsForWavesPerEU: 96
; AccumOffset: 96
; Occupancy: 5
; WaveLimiterHint : 1
; COMPUTE_PGM_RSRC2:SCRATCH_EN: 1
; COMPUTE_PGM_RSRC2:USER_SGPR: 6
; COMPUTE_PGM_RSRC2:TRAP_HANDLER: 0
; COMPUTE_PGM_RSRC2:TGID_X_EN: 1
; COMPUTE_PGM_RSRC2:TGID_Y_EN: 1
; COMPUTE_PGM_RSRC2:TGID_Z_EN: 1
; COMPUTE_PGM_RSRC2:TIDIG_COMP_CNT: 0
; COMPUTE_PGM_RSRC3_GFX90A:ACCUM_OFFSET: 23
; COMPUTE_PGM_RSRC3_GFX90A:TG_SPLIT: 0
	.section	.text._Z39paged_attention_ll4mi_QKV_mfma16_kernelIDF16_DF16_LN4vllm18Fp8KVCacheDataTypeE0EDF16_Li16ELi128ELi256ELb1ELi12EL8MFMAType0EEvPKT_PKT0_S8_ifPKiSA_SA_iPKfiiiPfSD_PS3_PT2_iSC_SC_,"axG",@progbits,_Z39paged_attention_ll4mi_QKV_mfma16_kernelIDF16_DF16_LN4vllm18Fp8KVCacheDataTypeE0EDF16_Li16ELi128ELi256ELb1ELi12EL8MFMAType0EEvPKT_PKT0_S8_ifPKiSA_SA_iPKfiiiPfSD_PS3_PT2_iSC_SC_,comdat
	.protected	_Z39paged_attention_ll4mi_QKV_mfma16_kernelIDF16_DF16_LN4vllm18Fp8KVCacheDataTypeE0EDF16_Li16ELi128ELi256ELb1ELi12EL8MFMAType0EEvPKT_PKT0_S8_ifPKiSA_SA_iPKfiiiPfSD_PS3_PT2_iSC_SC_ ; -- Begin function _Z39paged_attention_ll4mi_QKV_mfma16_kernelIDF16_DF16_LN4vllm18Fp8KVCacheDataTypeE0EDF16_Li16ELi128ELi256ELb1ELi12EL8MFMAType0EEvPKT_PKT0_S8_ifPKiSA_SA_iPKfiiiPfSD_PS3_PT2_iSC_SC_
	.globl	_Z39paged_attention_ll4mi_QKV_mfma16_kernelIDF16_DF16_LN4vllm18Fp8KVCacheDataTypeE0EDF16_Li16ELi128ELi256ELb1ELi12EL8MFMAType0EEvPKT_PKT0_S8_ifPKiSA_SA_iPKfiiiPfSD_PS3_PT2_iSC_SC_
	.p2align	8
	.type	_Z39paged_attention_ll4mi_QKV_mfma16_kernelIDF16_DF16_LN4vllm18Fp8KVCacheDataTypeE0EDF16_Li16ELi128ELi256ELb1ELi12EL8MFMAType0EEvPKT_PKT0_S8_ifPKiSA_SA_iPKfiiiPfSD_PS3_PT2_iSC_SC_,@function
_Z39paged_attention_ll4mi_QKV_mfma16_kernelIDF16_DF16_LN4vllm18Fp8KVCacheDataTypeE0EDF16_Li16ELi128ELi256ELb1ELi12EL8MFMAType0EEvPKT_PKT0_S8_ifPKiSA_SA_iPKfiiiPfSD_PS3_PT2_iSC_SC_: ; @_Z39paged_attention_ll4mi_QKV_mfma16_kernelIDF16_DF16_LN4vllm18Fp8KVCacheDataTypeE0EDF16_Li16ELi128ELi256ELb1ELi12EL8MFMAType0EEvPKT_PKT0_S8_ifPKiSA_SA_iPKfiiiPfSD_PS3_PT2_iSC_SC_
; %bb.0:
	s_mov_b64 s[46:47], s[2:3]
	s_mov_b64 s[44:45], s[0:1]
	s_load_dwordx2 s[0:1], s[4:5], 0x30
	s_add_u32 s44, s44, s9
	s_addc_u32 s45, s45, 0
	s_mov_b32 s26, s7
	s_mov_b64 s[10:11], 0
	s_waitcnt lgkmcnt(0)
	s_cmp_lg_u64 s[0:1], 0
	s_cselect_b64 s[2:3], -1, 0
	s_and_b64 vcc, exec, s[2:3]
	s_cbranch_vccz .LBB107_7
; %bb.1:
	s_add_i32 s12, s6, 1
	s_mov_b32 s13, 0
	s_lshl_b64 s[14:15], s[12:13], 2
	s_add_u32 s14, s0, s14
	s_mov_b32 s7, s13
	s_addc_u32 s15, s1, s15
	s_lshl_b64 s[12:13], s[6:7], 2
	s_add_u32 s12, s0, s12
	s_addc_u32 s13, s1, s13
	s_load_dword s9, s[14:15], 0x0
	s_load_dword s16, s[12:13], 0x0
	s_waitcnt lgkmcnt(0)
	s_sub_i32 s9, s9, s16
	s_cmp_eq_u32 s9, 1
	s_cselect_b64 s[12:13], -1, 0
	s_andn2_b64 vcc, exec, s[10:11]
	s_cbranch_vccnz .LBB107_3
.LBB107_2:
	s_mov_b32 s7, 0
	s_mov_b64 s[12:13], -1
.LBB107_3:
	s_andn2_b64 vcc, exec, s[12:13]
	s_cbranch_vccnz .LBB107_19
; %bb.4:
	s_load_dwordx2 s[12:13], s[4:5], 0x28
	s_lshl_b64 s[10:11], s[6:7], 2
	s_waitcnt lgkmcnt(0)
	s_add_u32 s12, s12, s10
	s_addc_u32 s13, s13, s11
	s_load_dword s33, s[12:13], 0x0
	s_lshl_b32 s16, s26, 8
	s_waitcnt lgkmcnt(0)
	s_cmp_ge_i32 s16, s33
	s_cbranch_scc1 .LBB107_19
; %bb.5:
	s_add_i32 s14, s33, 15
	s_load_dwordx2 s[12:13], s[4:5], 0x20
	s_load_dword s9, s[4:5], 0x38
	s_ashr_i32 s15, s14, 31
	v_and_b32_e32 v1, 0xcf, v0
	s_lshr_b32 s15, s15, 28
	v_add_u32_e32 v1, s16, v1
	s_add_i32 s14, s14, s15
	v_ashrrev_i32_e32 v2, 31, v1
	s_ashr_i32 s19, s14, 4
	v_lshrrev_b32_e32 v4, 28, v2
	s_add_i32 s19, s19, -1
	v_add_u32_e32 v2, v1, v4
	s_waitcnt lgkmcnt(0)
	s_mul_i32 s14, s6, s9
	s_mov_b32 s15, 0
	v_ashrrev_i32_e32 v2, 4, v2
	v_mov_b32_e32 v5, s19
	v_cmp_gt_i32_e32 vcc, s33, v1
	s_lshl_b64 s[14:15], s[14:15], 2
	v_cndmask_b32_e32 v2, v5, v2, vcc
	s_add_u32 s17, s12, s14
	v_ashrrev_i32_e32 v3, 31, v2
	s_addc_u32 s18, s13, s15
	v_lshlrev_b64 v[2:3], 2, v[2:3]
	v_mov_b32_e32 v7, s18
	v_add_co_u32_e32 v6, vcc, s17, v2
	v_or_b32_e32 v2, 16, v1
	v_addc_co_u32_e32 v7, vcc, v7, v3, vcc
	v_add_u32_e32 v3, v2, v4
	v_ashrrev_i32_e32 v3, 4, v3
	v_cmp_gt_i32_e32 vcc, s33, v2
	v_cndmask_b32_e32 v2, v5, v3, vcc
	v_ashrrev_i32_e32 v3, 31, v2
	v_lshlrev_b64 v[2:3], 2, v[2:3]
	v_mov_b32_e32 v9, s18
	v_add_co_u32_e32 v8, vcc, s17, v2
	v_or_b32_e32 v2, 32, v1
	v_addc_co_u32_e32 v9, vcc, v9, v3, vcc
	v_add_u32_e32 v3, v2, v4
	v_ashrrev_i32_e32 v3, 4, v3
	v_cmp_gt_i32_e32 vcc, s33, v2
	v_cndmask_b32_e32 v2, v5, v3, vcc
	v_ashrrev_i32_e32 v3, 31, v2
	;; [unrolled: 10-line block ×3, first 2 shown]
	v_lshlrev_b64 v[2:3], 2, v[2:3]
	v_mov_b32_e32 v1, s18
	v_add_co_u32_e32 v12, vcc, s17, v2
	v_addc_co_u32_e32 v13, vcc, v1, v3, vcc
	global_load_dword v5, v[6:7], off
	global_load_dword v4, v[8:9], off
	global_load_dword v3, v[10:11], off
	global_load_dword v2, v[12:13], off
	s_load_dwordx2 s[12:13], s[4:5], 0x8
	s_andn2_b64 vcc, exec, s[2:3]
	s_cbranch_vccnz .LBB107_8
; %bb.6:
	s_add_u32 s0, s0, s10
	s_addc_u32 s1, s1, s11
	s_load_dword s9, s[0:1], 0x0
	s_branch .LBB107_9
.LBB107_7:
	s_mov_b64 s[12:13], 0
	s_branch .LBB107_2
.LBB107_8:
	s_mov_b32 s9, s6
.LBB107_9:
	s_load_dwordx2 s[10:11], s[4:5], 0x10
	s_load_dwordx4 s[0:3], s[4:5], 0x48
	v_and_b32_e32 v85, 15, v0
	v_lshlrev_b32_e32 v6, 3, v85
	s_waitcnt lgkmcnt(0)
	s_movk_i32 s3, 0xc0
	v_lshrrev_b32_e32 v87, 6, v0
	v_bfe_u32 v1, v0, 4, 2
	s_mul_i32 s27, s8, 12
	v_cmp_gt_u32_e32 vcc, s3, v0
	v_lshlrev_b32_e32 v6, 1, v6
	buffer_store_dword v6, off, s[44:47], 0 ; 4-byte Folded Spill
	s_and_saveexec_b64 s[14:15], vcc
	s_cbranch_execz .LBB107_11
; %bb.10:
	s_load_dwordx2 s[20:21], s[4:5], 0x0
	s_ashr_i32 s3, s0, 31
	s_mul_hi_u32 s22, s9, s0
	s_mul_i32 s3, s9, s3
	v_lshl_or_b32 v10, v87, 2, v1
	s_add_i32 s23, s22, s3
	s_mul_i32 s22, s9, s0
	s_lshl_b64 s[22:23], s[22:23], 1
	v_add_lshl_u32 v6, v10, s27, 7
	s_waitcnt lgkmcnt(0)
	s_add_u32 s0, s20, s22
	v_ashrrev_i32_e32 v7, 31, v6
	s_addc_u32 s3, s21, s23
	v_lshlrev_b64 v[6:7], 1, v[6:7]
	v_mov_b32_e32 v8, s3
	v_add_co_u32_e32 v6, vcc, s0, v6
	v_addc_co_u32_e32 v7, vcc, v8, v7, vcc
	buffer_load_dword v8, off, s[44:47], 0  ; 4-byte Folded Reload
	v_and_b32_e32 v11, 3, v0
	v_lshlrev_b32_e32 v12, 9, v85
	v_lshlrev_b32_e32 v10, 5, v10
	;; [unrolled: 1-line block ×3, first 2 shown]
	v_and_b32_e32 v12, 0x1800, v12
	v_or3_b32 v10, v12, v11, v10
	s_waitcnt vmcnt(0)
	v_add_co_u32_e32 v6, vcc, v6, v8
	v_addc_co_u32_e32 v7, vcc, 0, v7, vcc
	global_load_dwordx4 v[6:9], v[6:7], off
	s_waitcnt vmcnt(0)
	ds_write_b128 v10, v[6:9]
.LBB107_11:
	s_or_b64 exec, exec, s[14:15]
	s_mul_i32 s2, s8, s2
	s_mov_b32 s3, 0
	s_lshl_b64 s[2:3], s[2:3], 1
	s_add_u32 s0, s12, s2
	v_lshlrev_b32_e32 v10, 4, v0
	s_addc_u32 s8, s13, s3
	v_and_b32_e32 v6, 0xf0, v10
	v_mov_b32_e32 v7, s8
	v_add_co_u32_e32 v8, vcc, s0, v6
	v_addc_co_u32_e32 v9, vcc, 0, v7, vcc
	s_waitcnt vmcnt(4)
	v_mad_i64_i32 v[6:7], s[8:9], v5, s1, 0
	v_lshlrev_b64 v[6:7], 1, v[6:7]
	v_add_co_u32_e32 v5, vcc, v8, v6
	v_addc_co_u32_e32 v7, vcc, v9, v7, vcc
	v_and_b32_e32 v10, 0x300, v10
	v_add_co_u32_e32 v6, vcc, v5, v10
	s_waitcnt vmcnt(3)
	v_mad_i64_i32 v[4:5], s[8:9], v4, s1, 0
	v_addc_co_u32_e32 v7, vcc, 0, v7, vcc
	v_lshlrev_b64 v[4:5], 1, v[4:5]
	v_add_co_u32_e32 v4, vcc, v8, v4
	v_addc_co_u32_e32 v5, vcc, v9, v5, vcc
	v_add_co_u32_e32 v4, vcc, v4, v10
	v_addc_co_u32_e32 v5, vcc, 0, v5, vcc
	s_waitcnt lgkmcnt(0)
	s_barrier
	global_load_dwordx4 v[74:77], v[6:7], off
	global_load_dwordx4 v[66:69], v[6:7], off offset:1024
	global_load_dwordx4 v[58:61], v[6:7], off offset:2048
	;; [unrolled: 1-line block ×3, first 2 shown]
	global_load_dwordx4 v[78:81], v[4:5], off
	global_load_dwordx4 v[70:73], v[4:5], off offset:1024
	global_load_dwordx4 v[62:65], v[4:5], off offset:2048
	;; [unrolled: 1-line block ×3, first 2 shown]
	s_waitcnt vmcnt(10)
	v_mad_i64_i32 v[4:5], s[8:9], v3, s1, 0
	v_lshlrev_b64 v[4:5], 1, v[4:5]
	v_add_co_u32_e32 v3, vcc, v8, v4
	v_addc_co_u32_e32 v5, vcc, v9, v5, vcc
	v_add_co_u32_e32 v4, vcc, v3, v10
	s_waitcnt vmcnt(9)
	v_mad_i64_i32 v[2:3], s[8:9], v2, s1, 0
	v_addc_co_u32_e32 v5, vcc, 0, v5, vcc
	v_lshlrev_b64 v[2:3], 1, v[2:3]
	v_add_co_u32_e32 v2, vcc, v8, v2
	v_addc_co_u32_e32 v3, vcc, v9, v3, vcc
	v_add_co_u32_e32 v6, vcc, v2, v10
	v_addc_co_u32_e32 v7, vcc, 0, v3, vcc
	global_load_dwordx4 v[38:41], v[4:5], off
	global_load_dwordx4 v[34:37], v[4:5], off offset:1024
	global_load_dwordx4 v[30:33], v[4:5], off offset:2048
	;; [unrolled: 1-line block ×3, first 2 shown]
	global_load_dwordx4 v[18:21], v[6:7], off
	global_load_dwordx4 v[10:13], v[6:7], off offset:1024
	s_nop 0
	global_load_dwordx4 v[2:5], v[6:7], off offset:2048
	global_load_dwordx4 v[50:53], v[6:7], off offset:3072
	v_add_u32_e32 v6, -12, v85
	v_cmp_gt_u32_e32 vcc, 12, v85
	v_cndmask_b32_e32 v6, v6, v85, vcc
	v_lshlrev_b32_e32 v6, 5, v6
	v_lshl_add_u32 v54, v1, 9, v6
	ds_read_b128 v[26:29], v54
	ds_read_b128 v[14:17], v54 offset:2048
	ds_read_b128 v[6:9], v54 offset:4096
	;; [unrolled: 1-line block ×3, first 2 shown]
	v_and_b32_e32 v88, 63, v0
	v_mov_b32_e32 v89, 0
	s_and_saveexec_b64 s[8:9], vcc
	s_cbranch_execz .LBB107_13
; %bb.12:
	s_load_dwordx2 s[12:13], s[4:5], 0x40
	v_add_u32_e32 v82, s27, v85
	v_ashrrev_i32_e32 v83, 31, v82
	v_lshlrev_b64 v[82:83], 2, v[82:83]
	s_waitcnt lgkmcnt(0)
	v_mov_b32_e32 v89, s13
	v_add_co_u32_e32 v82, vcc, s12, v82
	v_addc_co_u32_e32 v83, vcc, v89, v83, vcc
	global_load_dword v89, v[82:83], off
.LBB107_13:
	s_or_b64 exec, exec, s[8:9]
	s_waitcnt vmcnt(15) lgkmcnt(3)
	v_mfma_f32_16x16x16f16 v[90:93], v[74:75], v[26:27], 0
	s_add_u32 s8, s10, s2
	s_addc_u32 s9, s11, s3
	s_load_dword s0, s[4:5], 0x1c
	s_mov_b32 s40, 0xff7fffff
	v_mfma_f32_16x16x16f16 v[74:77], v[76:77], v[28:29], v[90:93]
	s_waitcnt vmcnt(14) lgkmcnt(0)
	v_mfma_f32_16x16x16f16 v[74:77], v[66:67], v[14:15], v[74:77]
	s_nop 4
	v_lshl_or_b32 v90, v87, 4, v85
	v_mfma_f32_16x16x16f16 v[66:69], v[68:69], v[16:17], v[74:77]
	s_waitcnt vmcnt(13)
	v_mfma_f32_16x16x16f16 v[66:69], v[58:59], v[6:7], v[66:69]
	s_nop 4
	v_lshlrev_b32_e32 v76, 5, v90
	v_mfma_f32_16x16x16f16 v[58:61], v[60:61], v[8:9], v[66:69]
	s_waitcnt vmcnt(12)
	v_mfma_f32_16x16x16f16 v[58:61], v[42:43], v[54:55], v[58:61]
	s_nop 4
	v_mov_b32_e32 v66, s18
	v_mfma_f32_16x16x16f16 v[58:61], v[44:45], v[56:57], v[58:61]
	s_waitcnt vmcnt(11)
	v_mfma_f32_16x16x16f16 v[42:45], v[78:79], v[26:27], 0
	s_nop 7
	s_nop 0
	v_pk_mul_f32 v[58:59], s[0:1], v[58:59] op_sel_hi:[0,1]
	v_mfma_f32_16x16x16f16 v[42:45], v[80:81], v[28:29], v[42:45]
	s_waitcnt vmcnt(10)
	v_mfma_f32_16x16x16f16 v[42:45], v[70:71], v[14:15], v[42:45]
	v_mfma_f32_16x16x16f16 v[42:45], v[72:73], v[16:17], v[42:45]
	s_waitcnt vmcnt(9)
	v_mfma_f32_16x16x16f16 v[42:45], v[62:63], v[6:7], v[42:45]
	;; [unrolled: 3-line block ×3, first 2 shown]
	v_mfma_f32_16x16x16f16 v[62:65], v[48:49], v[56:57], v[42:45]
	v_and_or_b32 v48, v0, 48, s16
	v_mov_b32_e32 v49, s19
	v_cmp_gt_i32_e32 vcc, s33, v48
	s_waitcnt vmcnt(7)
	v_mfma_f32_16x16x16f16 v[42:45], v[38:39], v[26:27], 0
	v_ashrrev_i32_e32 v38, 4, v48
	v_cndmask_b32_e32 v38, v49, v38, vcc
	v_ashrrev_i32_e32 v39, 31, v38
	v_lshlrev_b64 v[46:47], 2, v[38:39]
	v_mfma_f32_16x16x16f16 v[38:41], v[40:41], v[28:29], v[42:45]
	s_nop 6
	v_add_co_u32_e32 v42, vcc, s17, v46
	v_addc_co_u32_e32 v43, vcc, v66, v47, vcc
	global_load_dword v44, v[42:43], off
	v_or_b32_e32 v42, 64, v48
	v_ashrrev_i32_e32 v43, 4, v42
	v_cmp_gt_i32_e32 vcc, s33, v42
	v_cndmask_b32_e32 v42, v49, v43, vcc
	s_waitcnt vmcnt(7)
	v_mfma_f32_16x16x16f16 v[38:41], v[34:35], v[14:15], v[38:41]
	v_ashrrev_i32_e32 v43, 31, v42
	v_lshlrev_b64 v[34:35], 2, v[42:43]
	v_mov_b32_e32 v42, s18
	v_add_co_u32_e32 v34, vcc, s17, v34
	v_addc_co_u32_e32 v35, vcc, v42, v35, vcc
	global_load_dword v72, v[34:35], off
	v_mfma_f32_16x16x16f16 v[34:37], v[36:37], v[16:17], v[38:41]
	s_nop 6
	v_or_b32_e32 v38, 0x80, v48
	v_ashrrev_i32_e32 v39, 4, v38
	v_cmp_gt_i32_e32 vcc, s33, v38
	v_cndmask_b32_e32 v38, v49, v39, vcc
	v_ashrrev_i32_e32 v39, 31, v38
	v_lshlrev_b64 v[38:39], 2, v[38:39]
	v_mov_b32_e32 v40, s18
	s_waitcnt vmcnt(7)
	v_mfma_f32_16x16x16f16 v[34:37], v[30:31], v[6:7], v[34:37]
	v_add_co_u32_e32 v30, vcc, s17, v38
	v_addc_co_u32_e32 v31, vcc, v40, v39, vcc
	global_load_dword v74, v[30:31], off
	v_or_b32_e32 v30, 0xc0, v48
	v_ashrrev_i32_e32 v31, 4, v30
	v_cmp_gt_i32_e32 vcc, s33, v30
	v_cndmask_b32_e32 v38, v49, v31, vcc
	v_ashrrev_i32_e32 v39, 31, v38
	v_mfma_f32_16x16x16f16 v[30:33], v[32:33], v[8:9], v[34:37]
	s_nop 6
	v_lshlrev_b64 v[34:35], 2, v[38:39]
	v_mov_b32_e32 v36, s18
	v_add_co_u32_e32 v34, vcc, s17, v34
	v_addc_co_u32_e32 v35, vcc, v36, v35, vcc
	global_load_dword v75, v[34:35], off
	s_waitcnt vmcnt(8)
	v_mfma_f32_16x16x16f16 v[30:33], v[22:23], v[54:55], v[30:33]
	v_mov_b32_e32 v22, s9
	v_add_co_u32_e32 v77, vcc, s8, v76
	v_addc_co_u32_e32 v78, vcc, 0, v22, vcc
	s_waitcnt vmcnt(3)
	v_mad_i64_i32 v[22:23], s[2:3], v44, s1, 0
	v_mfma_f32_16x16x16f16 v[66:69], v[24:25], v[56:57], v[30:33]
	v_lshlrev_b64 v[70:71], 1, v[22:23]
	v_mfma_f32_16x16x16f16 v[22:25], v[18:19], v[26:27], 0
	v_add_co_u32_e32 v18, vcc, v77, v70
	v_addc_co_u32_e32 v19, vcc, v78, v71, vcc
	global_load_dwordx4 v[46:49], v[18:19], off
	global_load_dwordx4 v[42:45], v[18:19], off offset:16
	s_waitcnt vmcnt(4)
	v_mad_i64_i32 v[18:19], s[2:3], v72, s1, 0
	v_lshlrev_b64 v[72:73], 1, v[18:19]
	v_mfma_f32_16x16x16f16 v[18:21], v[20:21], v[28:29], v[22:25]
	v_mfma_f32_16x16x16f16 v[18:21], v[10:11], v[14:15], v[18:21]
	s_nop 5
	v_add_co_u32_e32 v22, vcc, v77, v72
	v_addc_co_u32_e32 v23, vcc, v78, v73, vcc
	global_load_dwordx4 v[38:41], v[22:23], off
	global_load_dwordx4 v[34:37], v[22:23], off offset:16
	s_waitcnt vmcnt(5)
	v_mad_i64_i32 v[22:23], s[2:3], v74, s1, 0
	v_lshlrev_b64 v[82:83], 1, v[22:23]
	v_add_co_u32_e32 v10, vcc, v77, v82
	v_addc_co_u32_e32 v11, vcc, v78, v83, vcc
	global_load_dwordx4 v[30:33], v[10:11], off
	global_load_dwordx4 v[26:29], v[10:11], off offset:16
	v_mfma_f32_16x16x16f16 v[10:13], v[12:13], v[16:17], v[18:21]
	s_waitcnt vmcnt(6)
	v_mad_i64_i32 v[14:15], s[2:3], v75, s1, 0
	v_mfma_f32_16x16x16f16 v[10:13], v[2:3], v[6:7], v[10:13]
	v_lshlrev_b64 v[80:81], 1, v[14:15]
	v_add_co_u32_e32 v14, vcc, v77, v80
	v_addc_co_u32_e32 v15, vcc, v78, v81, vcc
	v_or_b32_e32 v2, 0x800, v76
	v_mov_b32_e32 v3, s9
	v_mfma_f32_16x16x16f16 v[10:13], v[4:5], v[8:9], v[10:13]
	v_add_co_u32_e32 v91, vcc, s8, v2
	v_addc_co_u32_e32 v84, vcc, 0, v3, vcc
	v_add_co_u32_e32 v2, vcc, v91, v70
	v_addc_co_u32_e32 v3, vcc, v84, v71, vcc
	v_mfma_f32_16x16x16f16 v[92:95], v[50:51], v[54:55], v[10:13]
	v_add_co_u32_e32 v70, vcc, v91, v72
	v_addc_co_u32_e32 v71, vcc, v84, v73, vcc
	global_load_dwordx4 v[22:25], v[14:15], off
	global_load_dwordx4 v[18:21], v[14:15], off offset:16
	global_load_dwordx4 v[6:9], v[2:3], off
	s_nop 0
	global_load_dwordx4 v[2:5], v[2:3], off offset:16
	s_nop 0
	global_load_dwordx4 v[14:17], v[70:71], off
	global_load_dwordx4 v[10:13], v[70:71], off offset:16
	v_mfma_f32_16x16x16f16 v[50:53], v[52:53], v[56:57], v[92:95]
	v_pk_mul_f32 v[70:71], s[0:1], v[68:69] op_sel_hi:[0,1]
	v_pk_mul_f32 v[72:73], s[0:1], v[66:67] op_sel_hi:[0,1]
	;; [unrolled: 1-line block ×5, first 2 shown]
	s_nop 5
	v_pk_mul_f32 v[68:69], s[0:1], v[50:51] op_sel_hi:[0,1]
	v_and_b32_e32 v50, 0xc0, v0
	v_add_u32_e32 v50, s16, v50
	v_lshl_or_b32 v50, v1, 2, v50
	v_or_b32_e32 v51, 1, v50
	v_pk_mul_f32 v[66:67], s[0:1], v[52:53] op_sel_hi:[0,1]
	v_subrev_u32_e32 v52, s33, v51
	v_add_u32_e32 v54, 1, v52
	v_add_u32_e32 v55, 2, v52
	v_cvt_f32_i32_e32 v53, v52
	v_cvt_f32_i32_e32 v54, v54
	;; [unrolled: 1-line block ×3, first 2 shown]
	v_add_u32_e32 v56, 3, v52
	v_fma_f32 v58, v89, v53, v58
	v_fmac_f32_e32 v59, v89, v54
	v_fma_f32 v78, v89, v55, v78
	v_add_u32_e32 v53, 16, v52
	v_add_u32_e32 v54, 17, v52
	;; [unrolled: 1-line block ×3, first 2 shown]
	v_cvt_f32_i32_e32 v56, v56
	v_cvt_f32_i32_e32 v53, v53
	;; [unrolled: 1-line block ×4, first 2 shown]
	v_fmac_f32_e32 v79, v89, v56
	v_add_u32_e32 v56, 19, v52
	v_fma_f32 v76, v89, v53, v76
	v_fmac_f32_e32 v77, v89, v54
	v_fma_f32 v74, v89, v55, v74
	v_add_u32_e32 v53, 32, v52
	v_add_u32_e32 v54, 33, v52
	;; [unrolled: 1-line block ×3, first 2 shown]
	v_cvt_f32_i32_e32 v56, v56
	v_cvt_f32_i32_e32 v53, v53
	;; [unrolled: 1-line block ×4, first 2 shown]
	v_fmac_f32_e32 v75, v89, v56
	v_add_u32_e32 v56, 35, v52
	v_fma_f32 v72, v89, v53, v72
	v_fmac_f32_e32 v73, v89, v54
	v_fma_f32 v70, v89, v55, v70
	v_add_u32_e32 v53, 48, v52
	v_add_u32_e32 v54, 49, v52
	;; [unrolled: 1-line block ×4, first 2 shown]
	v_cvt_f32_i32_e32 v52, v52
	v_cvt_f32_i32_e32 v53, v53
	;; [unrolled: 1-line block ×3, first 2 shown]
	v_cmp_gt_i32_e64 s[28:29], s33, v50
	v_fmac_f32_e32 v67, v89, v52
	v_mov_b32_e32 v52, 0xff7fffff
	v_cmp_gt_i32_e64 s[30:31], s33, v51
	v_fma_f32 v68, v89, v53, v68
	v_cndmask_b32_e64 v53, v52, v58, s[28:29]
	v_cndmask_b32_e64 v51, v52, v59, s[30:31]
	v_fmac_f32_e32 v69, v89, v54
	v_max3_f32 v51, v53, s40, v51
	v_or_b32_e32 v53, 2, v50
	v_or_b32_e32 v54, 3, v50
	v_cmp_gt_i32_e64 s[34:35], s33, v53
	v_cmp_gt_i32_e64 s[36:37], s33, v54
	v_cndmask_b32_e64 v53, v52, v78, s[34:35]
	v_cndmask_b32_e64 v54, v52, v79, s[36:37]
	v_max3_f32 v51, v51, v53, v54
	v_or_b32_e32 v53, 16, v50
	v_or_b32_e32 v54, 17, v50
	v_cmp_gt_i32_e64 s[22:23], s33, v53
	v_cmp_gt_i32_e64 s[24:25], s33, v54
	v_cndmask_b32_e64 v53, v52, v76, s[22:23]
	v_cndmask_b32_e64 v54, v52, v77, s[24:25]
	;; [unrolled: 7-line block ×3, first 2 shown]
	v_cvt_f32_i32_e32 v56, v56
	v_max3_f32 v51, v51, v53, v54
	v_or_b32_e32 v53, 32, v50
	v_or_b32_e32 v54, 33, v50
	v_cmp_gt_i32_e64 s[14:15], s33, v53
	v_cmp_gt_i32_e64 s[16:17], s33, v54
	v_cndmask_b32_e64 v53, v52, v72, s[14:15]
	v_cndmask_b32_e64 v54, v52, v73, s[16:17]
	v_max3_f32 v51, v51, v53, v54
	v_or_b32_e32 v53, 34, v50
	v_or_b32_e32 v54, 35, v50
	v_fmac_f32_e32 v71, v89, v56
	v_cmp_gt_i32_e64 s[10:11], s33, v53
	v_cmp_gt_i32_e64 s[12:13], s33, v54
	v_cndmask_b32_e64 v53, v52, v70, s[10:11]
	v_cndmask_b32_e64 v54, v52, v71, s[12:13]
	v_cvt_f32_i32_e32 v55, v55
	v_max3_f32 v51, v51, v53, v54
	v_or_b32_e32 v53, 48, v50
	v_or_b32_e32 v54, 49, v50
	v_cmp_gt_i32_e64 s[2:3], s33, v53
	v_cmp_gt_i32_e64 s[8:9], s33, v54
	v_cndmask_b32_e64 v53, v52, v68, s[2:3]
	v_cndmask_b32_e64 v54, v52, v69, s[8:9]
	v_max3_f32 v51, v51, v53, v54
	v_or_b32_e32 v53, 50, v50
	v_or_b32_e32 v50, 51, v50
	v_fma_f32 v66, v89, v55, v66
	v_cmp_gt_i32_e32 vcc, s33, v53
	v_cmp_gt_i32_e64 s[0:1], s33, v50
	v_cndmask_b32_e32 v53, v52, v66, vcc
	v_cndmask_b32_e64 v50, v52, v67, s[0:1]
	v_max3_f32 v60, v51, v53, v50
	v_mbcnt_lo_u32_b32 v50, -1, 0
	v_mbcnt_hi_u32_b32 v61, -1, v50
	v_and_b32_e32 v50, 64, v61
	v_add_u32_e32 v62, 64, v50
	v_xor_b32_e32 v50, 32, v61
	v_cmp_lt_i32_e64 s[38:39], v50, v62
	v_cndmask_b32_e64 v50, v61, v50, s[38:39]
	v_lshlrev_b32_e32 v89, 2, v50
	ds_bpermute_b32 v63, v89, v60
	v_add_co_u32_e64 v50, s[38:39], v91, v82
	v_addc_co_u32_e64 v51, s[38:39], v84, v83, s[38:39]
	s_waitcnt lgkmcnt(0)
	v_max_f32_e32 v63, v63, v63
	v_max_f32_e32 v63, v60, v63
	v_xor_b32_e32 v60, 16, v61
	v_cmp_lt_i32_e64 s[38:39], v60, v62
	v_cndmask_b32_e64 v60, v61, v60, s[38:39]
	v_lshlrev_b32_e32 v92, 2, v60
	ds_bpermute_b32 v62, v92, v63
	v_add_co_u32_e64 v60, s[38:39], v91, v80
	v_addc_co_u32_e64 v61, s[38:39], v84, v81, s[38:39]
	s_waitcnt lgkmcnt(0)
	v_max_f32_e32 v62, v62, v62
	v_max_f32_e32 v82, v63, v62
	v_sub_f32_e32 v58, v58, v82
	v_mul_f32_e32 v58, 0x3fb8aa3b, v58
	v_exp_f32_e32 v80, v58
	v_sub_f32_e32 v58, v59, v82
	v_mul_f32_e32 v58, 0x3fb8aa3b, v58
	global_load_dwordx4 v[54:57], v[50:51], off
	s_nop 0
	global_load_dwordx4 v[50:53], v[50:51], off offset:16
	v_exp_f32_e32 v81, v58
	global_load_dwordx4 v[62:65], v[60:61], off
	s_nop 0
	global_load_dwordx4 v[58:61], v[60:61], off offset:16
	v_sub_f32_e32 v78, v78, v82
	v_mul_f32_e32 v78, 0x3fb8aa3b, v78
	v_sub_f32_e32 v79, v79, v82
	v_exp_f32_e32 v78, v78
	v_mul_f32_e32 v79, 0x3fb8aa3b, v79
	v_sub_f32_e32 v76, v76, v82
	v_exp_f32_e32 v79, v79
	v_mul_f32_e32 v76, 0x3fb8aa3b, v76
	v_sub_f32_e32 v77, v77, v82
	v_cndmask_b32_e64 v80, 0, v80, s[28:29]
	v_exp_f32_e32 v76, v76
	v_mul_f32_e32 v77, 0x3fb8aa3b, v77
	v_sub_f32_e32 v74, v74, v82
	v_add_f32_e32 v83, 0, v80
	v_cndmask_b32_e64 v81, 0, v81, s[30:31]
	v_exp_f32_e32 v77, v77
	v_mul_f32_e32 v74, 0x3fb8aa3b, v74
	v_sub_f32_e32 v75, v75, v82
	v_add_f32_e32 v83, v83, v81
	;; [unrolled: 5-line block ×10, first 2 shown]
	v_cndmask_b32_e64 v70, 0, v70, s[10:11]
	v_exp_f32_e32 v66, v66
	v_mul_f32_e32 v67, 0x3fb8aa3b, v67
	v_add_f32_e32 v83, v83, v70
	v_cndmask_b32_e64 v71, 0, v71, s[12:13]
	v_exp_f32_e32 v67, v67
	v_add_f32_e32 v83, v83, v71
	v_cndmask_b32_e64 v68, 0, v68, s[2:3]
	v_add_f32_e32 v83, v83, v68
	v_cndmask_b32_e64 v69, 0, v69, s[8:9]
	v_add_f32_e32 v83, v83, v69
	v_cndmask_b32_e32 v66, 0, v66, vcc
	v_add_f32_e32 v83, v83, v66
	v_cndmask_b32_e64 v67, 0, v67, s[0:1]
	v_add_f32_e32 v83, v83, v67
	ds_bpermute_b32 v84, v89, v83
	s_load_dword s3, s[4:5], 0x98
	v_cmp_gt_u32_e32 vcc, 16, v88
	s_waitcnt lgkmcnt(0)
	s_barrier
	v_add_f32_e32 v83, v83, v84
	ds_bpermute_b32 v89, v92, v83
	s_waitcnt lgkmcnt(0)
	s_and_saveexec_b64 s[0:1], vcc
	s_cbranch_execz .LBB107_15
; %bb.14:
	v_add_f32_e32 v83, v83, v89
	v_lshlrev_b32_e32 v84, 2, v90
	ds_write2st64_b32 v84, v82, v83 offset1:1
.LBB107_15:
	s_or_b64 exec, exec, s[0:1]
	v_lshlrev_b32_e32 v83, 2, v85
	s_load_dword s2, s[4:5], 0x94
	s_waitcnt lgkmcnt(0)
	s_barrier
	ds_read2_b32 v[88:89], v83 offset1:16
	ds_read2_b32 v[90:91], v83 offset0:32 offset1:48
	ds_read2_b32 v[92:93], v83 offset0:64 offset1:80
	s_mul_i32 s3, s3, 12
	s_waitcnt lgkmcnt(2)
	v_max3_f32 v82, v88, s40, v89
	s_waitcnt lgkmcnt(1)
	v_max3_f32 v82, v82, v90, v91
	v_sub_f32_e32 v84, v88, v82
	v_sub_f32_e32 v88, v89, v82
	v_mul_f32_e32 v88, 0x3fb8aa3b, v88
	v_mul_f32_e32 v84, 0x3fb8aa3b, v84
	v_exp_f32_e32 v94, v88
	v_sub_f32_e32 v88, v90, v82
	v_exp_f32_e32 v84, v84
	v_mul_f32_e32 v88, 0x3fb8aa3b, v88
	v_exp_f32_e32 v90, v88
	ds_read2_b32 v[88:89], v83 offset0:96 offset1:112
	v_sub_f32_e32 v83, v91, v82
	v_mul_f32_e32 v83, 0x3fb8aa3b, v83
	v_exp_f32_e32 v91, v83
	s_waitcnt lgkmcnt(1)
	v_fma_f32 v83, v84, v92, 0
	v_fmac_f32_e32 v83, v94, v93
	s_waitcnt lgkmcnt(0)
	v_fmac_f32_e32 v83, v90, v88
	v_fmac_f32_e32 v83, v91, v89
	v_add_f32_e32 v88, 0x358637bd, v83
	v_div_scale_f32 v89, s[0:1], v88, v88, 1.0
	v_rcp_f32_e32 v92, v89
	s_barrier
	v_fma_f32 v93, -v89, v92, 1.0
	v_fmac_f32_e32 v92, v93, v92
	v_div_scale_f32 v93, vcc, 1.0, v88, 1.0
	v_mul_f32_e32 v95, v93, v92
	v_fma_f32 v86, -v89, v95, v93
	v_fmac_f32_e32 v95, v86, v92
	v_fma_f32 v86, -v89, v95, v93
	v_div_fmas_f32 v86, v86, v92, v95
	v_cmp_eq_u32_e32 vcc, 1, v87
	v_cndmask_b32_e32 v84, v84, v94, vcc
	v_cmp_eq_u32_e32 vcc, 2, v87
	v_cndmask_b32_e32 v84, v84, v90, vcc
	v_cmp_eq_u32_e32 vcc, 3, v87
	v_div_fixup_f32 v86, v86, v88, 1.0
	v_cndmask_b32_e32 v84, v84, v91, vcc
	v_mul_f32_e32 v88, v84, v86
	v_pk_mul_f32 v[78:79], v[88:89], v[78:79] op_sel_hi:[0,1]
	v_pk_mul_f32 v[80:81], v[88:89], v[80:81] op_sel_hi:[0,1]
	v_cvt_f16_f32_e32 v80, v80
	v_cvt_f16_f32_e32 v81, v81
	;; [unrolled: 1-line block ×4, first 2 shown]
	v_pk_mul_f32 v[74:75], v[88:89], v[74:75] op_sel_hi:[0,1]
	v_pk_mul_f32 v[76:77], v[88:89], v[76:77] op_sel_hi:[0,1]
	v_cvt_f16_f32_e32 v76, v76
	v_cvt_f16_f32_e32 v77, v77
	v_cvt_f16_f32_e32 v84, v74
	v_cvt_f16_f32_e32 v75, v75
	v_pack_b32_f16 v80, v80, v81
	v_pack_b32_f16 v81, v78, v79
	v_lshlrev_b32_e32 v79, 3, v1
	v_lshlrev_b32_e32 v78, 5, v85
	;; [unrolled: 1-line block ×3, first 2 shown]
	v_or3_b32 v74, v74, v78, v79
	v_pack_b32_f16 v76, v76, v77
	v_pack_b32_f16 v77, v84, v75
	v_pk_mul_f32 v[70:71], v[88:89], v[70:71] op_sel_hi:[0,1]
	v_pk_mul_f32 v[72:73], v[88:89], v[72:73] op_sel_hi:[0,1]
	;; [unrolled: 1-line block ×4, first 2 shown]
	ds_write2st64_b64 v74, v[80:81], v[76:77] offset1:1
	v_cvt_f16_f32_e32 v72, v72
	v_cvt_f16_f32_e32 v73, v73
	;; [unrolled: 1-line block ×8, first 2 shown]
	v_pack_b32_f16 v66, v72, v73
	v_pack_b32_f16 v67, v70, v71
	;; [unrolled: 1-line block ×4, first 2 shown]
	v_cmp_gt_u32_e32 vcc, 12, v0
	ds_write2st64_b64 v74, v[66:67], v[68:69] offset0:2 offset1:3
	s_and_saveexec_b64 s[0:1], vcc
	s_cbranch_execz .LBB107_17
; %bb.16:
	v_add_co_u32_e32 v68, vcc, s27, v85
	v_addc_co_u32_e64 v69, s[12:13], 0, 0, vcc
	v_mov_b32_e32 v66, s3
	v_mov_b32_e32 v67, 0
	v_mad_u64_u32 v[68:69], s[12:13], s6, v66, v[68:69]
	v_mov_b32_e32 v66, s26
	s_load_dwordx4 s[8:11], s[4:5], 0x58
	s_mul_i32 s7, s7, s3
	v_mad_u64_u32 v[66:67], s[12:13], v68, s2, v[66:67]
	v_add_u32_e32 v69, s7, v69
	v_mov_b32_e32 v68, v67
	v_mad_u64_u32 v[68:69], s[12:13], v69, s2, v[68:69]
	v_mov_b32_e32 v67, v68
	v_lshlrev_b64 v[66:67], 2, v[66:67]
	s_waitcnt lgkmcnt(0)
	v_mov_b32_e32 v69, s11
	v_add_co_u32_e32 v68, vcc, s10, v66
	v_addc_co_u32_e32 v69, vcc, v69, v67, vcc
	global_store_dword v[68:69], v82, off
	v_mov_b32_e32 v68, s9
	v_add_co_u32_e32 v66, vcc, s8, v66
	v_addc_co_u32_e32 v67, vcc, v68, v67, vcc
	global_store_dword v[66:67], v83, off
.LBB107_17:
	s_or_b64 exec, exec, s[0:1]
	v_lshl_or_b32 v75, v1, 9, v78
	s_waitcnt lgkmcnt(0)
	s_barrier
	ds_read_b128 v[70:73], v75
	ds_read_b128 v[66:69], v75 offset:16
	s_waitcnt vmcnt(15) lgkmcnt(1)
	v_mfma_f32_16x16x16f16 v[76:79], v[46:47], v[70:71], 0
	s_mov_b32 s1, 0
	v_cmp_gt_u32_e32 vcc, 64, v0
	v_mfma_f32_16x16x16f16 v[46:49], v[48:49], v[72:73], v[76:79]
	s_waitcnt vmcnt(14) lgkmcnt(0)
	v_mfma_f32_16x16x16f16 v[46:49], v[42:43], v[66:67], v[46:49]
	v_mfma_f32_16x16x16f16 v[42:45], v[44:45], v[68:69], v[46:49]
	s_nop 7
	s_nop 1
	ds_read_b128 v[46:49], v75 offset:2048
	ds_read_b128 v[76:79], v75 offset:2064
	s_waitcnt vmcnt(13) lgkmcnt(1)
	v_mfma_f32_16x16x16f16 v[42:45], v[38:39], v[46:47], v[42:45]
	v_mfma_f32_16x16x16f16 v[38:41], v[40:41], v[48:49], v[42:45]
	s_waitcnt vmcnt(12) lgkmcnt(0)
	v_mfma_f32_16x16x16f16 v[38:41], v[34:35], v[76:77], v[38:41]
	v_mfma_f32_16x16x16f16 v[34:37], v[36:37], v[78:79], v[38:41]
	s_nop 7
	s_nop 1
	ds_read_b128 v[38:41], v75 offset:4096
	ds_read_b128 v[42:45], v75 offset:4112
	s_waitcnt vmcnt(11) lgkmcnt(1)
	v_mfma_f32_16x16x16f16 v[34:37], v[30:31], v[38:39], v[34:37]
	v_mfma_f32_16x16x16f16 v[30:33], v[32:33], v[40:41], v[34:37]
	s_waitcnt vmcnt(10) lgkmcnt(0)
	v_mfma_f32_16x16x16f16 v[30:33], v[26:27], v[42:43], v[30:33]
	v_mfma_f32_16x16x16f16 v[26:29], v[28:29], v[44:45], v[30:33]
	s_nop 7
	s_nop 1
	ds_read_b128 v[30:33], v75 offset:6144
	ds_read_b128 v[34:37], v75 offset:6160
	s_waitcnt lgkmcnt(0)
	s_barrier
	s_waitcnt vmcnt(9)
	v_mfma_f32_16x16x16f16 v[26:29], v[22:23], v[30:31], v[26:29]
	v_mfma_f32_16x16x16f16 v[22:25], v[24:25], v[32:33], v[26:29]
	s_waitcnt vmcnt(8)
	v_mfma_f32_16x16x16f16 v[22:25], v[18:19], v[34:35], v[22:25]
	v_mfma_f32_16x16x16f16 v[18:21], v[20:21], v[36:37], v[22:25]
	;; [unrolled: 3-line block ×4, first 2 shown]
	s_waitcnt vmcnt(5)
	v_mfma_f32_16x16x16f16 v[2:5], v[14:15], v[46:47], v[2:5]
	s_nop 7
	v_cvt_f16_f32_e32 v6, v18
	v_cvt_f16_f32_e32 v7, v19
	;; [unrolled: 1-line block ×4, first 2 shown]
	v_mfma_f32_16x16x16f16 v[2:5], v[16:17], v[48:49], v[2:5]
	s_waitcnt vmcnt(4)
	v_mfma_f32_16x16x16f16 v[2:5], v[10:11], v[76:77], v[2:5]
	v_mfma_f32_16x16x16f16 v[2:5], v[12:13], v[78:79], v[2:5]
	s_waitcnt vmcnt(3)
	v_mfma_f32_16x16x16f16 v[2:5], v[54:55], v[38:39], v[2:5]
	;; [unrolled: 3-line block ×5, first 2 shown]
	v_mfma_f32_16x16x16f16 v[2:5], v[60:61], v[36:37], v[2:5]
	s_nop 7
	s_nop 2
	v_cvt_f16_f32_e32 v10, v2
	v_cvt_f16_f32_e32 v11, v3
	;; [unrolled: 1-line block ×4, first 2 shown]
	v_pack_b32_f16 v2, v6, v7
	v_pack_b32_f16 v3, v8, v9
	;; [unrolled: 1-line block ×4, first 2 shown]
	ds_write2st64_b64 v74, v[2:3], v[4:5] offset1:1
	s_waitcnt lgkmcnt(0)
	s_barrier
	s_and_saveexec_b64 s[8:9], vcc
	s_cbranch_execz .LBB107_19
; %bb.18:
	v_lshlrev_b32_e32 v4, 6, v85
	v_lshlrev_b32_e32 v3, 4, v0
	v_lshl_or_b32 v0, v0, 10, v4
	v_lshlrev_b32_e32 v2, 5, v1
	v_and_b32_e32 v3, 16, v3
	v_and_b32_e32 v0, 0x1a00, v0
	v_or3_b32 v0, v0, v2, v3
	ds_read_b128 v[2:5], v0
	ds_read_b128 v[6:9], v0 offset:128
	ds_read_b128 v[10:13], v0 offset:256
	v_or_b32_e32 v14, s27, v1
	buffer_load_dword v1, off, s[44:47], 0  ; 4-byte Folded Reload
	s_load_dwordx2 s[4:5], s[4:5], 0x68
	s_lshl_b32 s7, s2, 7
	s_mul_i32 s0, s3, s6
	s_mul_hi_u32 s3, s0, s7
	s_mul_i32 s2, s0, s7
	s_lshl_b64 s[2:3], s[2:3], 1
	s_waitcnt lgkmcnt(0)
	s_add_u32 s2, s4, s2
	s_addc_u32 s3, s5, s3
	s_lshl_b32 s0, s26, 7
	s_lshl_b64 s[0:1], s[0:1], 1
	s_add_u32 s0, s2, s0
	s_addc_u32 s1, s3, s1
	v_mov_b32_e32 v0, s1
	s_waitcnt vmcnt(0)
	v_add_co_u32_e32 v15, vcc, s0, v1
	v_addc_co_u32_e32 v16, vcc, 0, v0, vcc
	v_mad_u64_u32 v[0:1], s[0:1], v14, s7, 0
	v_lshlrev_b64 v[0:1], 1, v[0:1]
	v_add_co_u32_e32 v0, vcc, v15, v0
	v_addc_co_u32_e32 v1, vcc, v16, v1, vcc
	global_store_dwordx4 v[0:1], v[2:5], off
	v_add_u32_e32 v0, 4, v14
	v_mad_u64_u32 v[0:1], s[0:1], v0, s7, 0
	v_lshlrev_b64 v[0:1], 1, v[0:1]
	v_add_co_u32_e32 v0, vcc, v15, v0
	v_addc_co_u32_e32 v1, vcc, v16, v1, vcc
	global_store_dwordx4 v[0:1], v[6:9], off
	v_add_u32_e32 v0, 8, v14
	v_mad_u64_u32 v[0:1], s[0:1], v0, s7, 0
	v_lshlrev_b64 v[0:1], 1, v[0:1]
	v_add_co_u32_e32 v0, vcc, v15, v0
	v_addc_co_u32_e32 v1, vcc, v16, v1, vcc
	global_store_dwordx4 v[0:1], v[10:13], off
.LBB107_19:
	s_endpgm
	.section	.rodata,"a",@progbits
	.p2align	6, 0x0
	.amdhsa_kernel _Z39paged_attention_ll4mi_QKV_mfma16_kernelIDF16_DF16_LN4vllm18Fp8KVCacheDataTypeE0EDF16_Li16ELi128ELi256ELb1ELi12EL8MFMAType0EEvPKT_PKT0_S8_ifPKiSA_SA_iPKfiiiPfSD_PS3_PT2_iSC_SC_
		.amdhsa_group_segment_fixed_size 8192
		.amdhsa_private_segment_fixed_size 8
		.amdhsa_kernarg_size 400
		.amdhsa_user_sgpr_count 6
		.amdhsa_user_sgpr_private_segment_buffer 1
		.amdhsa_user_sgpr_dispatch_ptr 0
		.amdhsa_user_sgpr_queue_ptr 0
		.amdhsa_user_sgpr_kernarg_segment_ptr 1
		.amdhsa_user_sgpr_dispatch_id 0
		.amdhsa_user_sgpr_flat_scratch_init 0
		.amdhsa_user_sgpr_kernarg_preload_length 0
		.amdhsa_user_sgpr_kernarg_preload_offset 0
		.amdhsa_user_sgpr_private_segment_size 0
		.amdhsa_uses_dynamic_stack 0
		.amdhsa_system_sgpr_private_segment_wavefront_offset 1
		.amdhsa_system_sgpr_workgroup_id_x 1
		.amdhsa_system_sgpr_workgroup_id_y 1
		.amdhsa_system_sgpr_workgroup_id_z 1
		.amdhsa_system_sgpr_workgroup_info 0
		.amdhsa_system_vgpr_workitem_id 0
		.amdhsa_next_free_vgpr 96
		.amdhsa_next_free_sgpr 48
		.amdhsa_accum_offset 96
		.amdhsa_reserve_vcc 1
		.amdhsa_reserve_flat_scratch 0
		.amdhsa_float_round_mode_32 0
		.amdhsa_float_round_mode_16_64 0
		.amdhsa_float_denorm_mode_32 3
		.amdhsa_float_denorm_mode_16_64 3
		.amdhsa_dx10_clamp 1
		.amdhsa_ieee_mode 1
		.amdhsa_fp16_overflow 0
		.amdhsa_tg_split 0
		.amdhsa_exception_fp_ieee_invalid_op 0
		.amdhsa_exception_fp_denorm_src 0
		.amdhsa_exception_fp_ieee_div_zero 0
		.amdhsa_exception_fp_ieee_overflow 0
		.amdhsa_exception_fp_ieee_underflow 0
		.amdhsa_exception_fp_ieee_inexact 0
		.amdhsa_exception_int_div_zero 0
	.end_amdhsa_kernel
	.section	.text._Z39paged_attention_ll4mi_QKV_mfma16_kernelIDF16_DF16_LN4vllm18Fp8KVCacheDataTypeE0EDF16_Li16ELi128ELi256ELb1ELi12EL8MFMAType0EEvPKT_PKT0_S8_ifPKiSA_SA_iPKfiiiPfSD_PS3_PT2_iSC_SC_,"axG",@progbits,_Z39paged_attention_ll4mi_QKV_mfma16_kernelIDF16_DF16_LN4vllm18Fp8KVCacheDataTypeE0EDF16_Li16ELi128ELi256ELb1ELi12EL8MFMAType0EEvPKT_PKT0_S8_ifPKiSA_SA_iPKfiiiPfSD_PS3_PT2_iSC_SC_,comdat
.Lfunc_end107:
	.size	_Z39paged_attention_ll4mi_QKV_mfma16_kernelIDF16_DF16_LN4vllm18Fp8KVCacheDataTypeE0EDF16_Li16ELi128ELi256ELb1ELi12EL8MFMAType0EEvPKT_PKT0_S8_ifPKiSA_SA_iPKfiiiPfSD_PS3_PT2_iSC_SC_, .Lfunc_end107-_Z39paged_attention_ll4mi_QKV_mfma16_kernelIDF16_DF16_LN4vllm18Fp8KVCacheDataTypeE0EDF16_Li16ELi128ELi256ELb1ELi12EL8MFMAType0EEvPKT_PKT0_S8_ifPKiSA_SA_iPKfiiiPfSD_PS3_PT2_iSC_SC_
                                        ; -- End function
	.section	.AMDGPU.csdata,"",@progbits
; Kernel info:
; codeLenInByte = 4912
; NumSgprs: 52
; NumVgprs: 96
; NumAgprs: 0
; TotalNumVgprs: 96
; ScratchSize: 8
; MemoryBound: 0
; FloatMode: 240
; IeeeMode: 1
; LDSByteSize: 8192 bytes/workgroup (compile time only)
; SGPRBlocks: 6
; VGPRBlocks: 11
; NumSGPRsForWavesPerEU: 52
; NumVGPRsForWavesPerEU: 96
; AccumOffset: 96
; Occupancy: 5
; WaveLimiterHint : 1
; COMPUTE_PGM_RSRC2:SCRATCH_EN: 1
; COMPUTE_PGM_RSRC2:USER_SGPR: 6
; COMPUTE_PGM_RSRC2:TRAP_HANDLER: 0
; COMPUTE_PGM_RSRC2:TGID_X_EN: 1
; COMPUTE_PGM_RSRC2:TGID_Y_EN: 1
; COMPUTE_PGM_RSRC2:TGID_Z_EN: 1
; COMPUTE_PGM_RSRC2:TIDIG_COMP_CNT: 0
; COMPUTE_PGM_RSRC3_GFX90A:ACCUM_OFFSET: 23
; COMPUTE_PGM_RSRC3_GFX90A:TG_SPLIT: 0
	.section	.text._Z39paged_attention_ll4mi_QKV_mfma16_kernelIDF16_DF16_LN4vllm18Fp8KVCacheDataTypeE0EDF16_Li16ELi128ELi256ELb1ELi13EL8MFMAType0EEvPKT_PKT0_S8_ifPKiSA_SA_iPKfiiiPfSD_PS3_PT2_iSC_SC_,"axG",@progbits,_Z39paged_attention_ll4mi_QKV_mfma16_kernelIDF16_DF16_LN4vllm18Fp8KVCacheDataTypeE0EDF16_Li16ELi128ELi256ELb1ELi13EL8MFMAType0EEvPKT_PKT0_S8_ifPKiSA_SA_iPKfiiiPfSD_PS3_PT2_iSC_SC_,comdat
	.protected	_Z39paged_attention_ll4mi_QKV_mfma16_kernelIDF16_DF16_LN4vllm18Fp8KVCacheDataTypeE0EDF16_Li16ELi128ELi256ELb1ELi13EL8MFMAType0EEvPKT_PKT0_S8_ifPKiSA_SA_iPKfiiiPfSD_PS3_PT2_iSC_SC_ ; -- Begin function _Z39paged_attention_ll4mi_QKV_mfma16_kernelIDF16_DF16_LN4vllm18Fp8KVCacheDataTypeE0EDF16_Li16ELi128ELi256ELb1ELi13EL8MFMAType0EEvPKT_PKT0_S8_ifPKiSA_SA_iPKfiiiPfSD_PS3_PT2_iSC_SC_
	.globl	_Z39paged_attention_ll4mi_QKV_mfma16_kernelIDF16_DF16_LN4vllm18Fp8KVCacheDataTypeE0EDF16_Li16ELi128ELi256ELb1ELi13EL8MFMAType0EEvPKT_PKT0_S8_ifPKiSA_SA_iPKfiiiPfSD_PS3_PT2_iSC_SC_
	.p2align	8
	.type	_Z39paged_attention_ll4mi_QKV_mfma16_kernelIDF16_DF16_LN4vllm18Fp8KVCacheDataTypeE0EDF16_Li16ELi128ELi256ELb1ELi13EL8MFMAType0EEvPKT_PKT0_S8_ifPKiSA_SA_iPKfiiiPfSD_PS3_PT2_iSC_SC_,@function
_Z39paged_attention_ll4mi_QKV_mfma16_kernelIDF16_DF16_LN4vllm18Fp8KVCacheDataTypeE0EDF16_Li16ELi128ELi256ELb1ELi13EL8MFMAType0EEvPKT_PKT0_S8_ifPKiSA_SA_iPKfiiiPfSD_PS3_PT2_iSC_SC_: ; @_Z39paged_attention_ll4mi_QKV_mfma16_kernelIDF16_DF16_LN4vllm18Fp8KVCacheDataTypeE0EDF16_Li16ELi128ELi256ELb1ELi13EL8MFMAType0EEvPKT_PKT0_S8_ifPKiSA_SA_iPKfiiiPfSD_PS3_PT2_iSC_SC_
; %bb.0:
	s_mov_b64 s[46:47], s[2:3]
	s_mov_b64 s[44:45], s[0:1]
	s_load_dwordx2 s[0:1], s[4:5], 0x30
	s_add_u32 s44, s44, s9
	s_addc_u32 s45, s45, 0
	s_mov_b32 s26, s7
	s_mov_b64 s[10:11], 0
	s_waitcnt lgkmcnt(0)
	s_cmp_lg_u64 s[0:1], 0
	s_cselect_b64 s[2:3], -1, 0
	s_and_b64 vcc, exec, s[2:3]
	s_cbranch_vccz .LBB108_7
; %bb.1:
	s_add_i32 s12, s6, 1
	s_mov_b32 s13, 0
	s_lshl_b64 s[14:15], s[12:13], 2
	s_add_u32 s14, s0, s14
	s_mov_b32 s7, s13
	s_addc_u32 s15, s1, s15
	s_lshl_b64 s[12:13], s[6:7], 2
	s_add_u32 s12, s0, s12
	s_addc_u32 s13, s1, s13
	s_load_dword s9, s[14:15], 0x0
	s_load_dword s16, s[12:13], 0x0
	s_waitcnt lgkmcnt(0)
	s_sub_i32 s9, s9, s16
	s_cmp_eq_u32 s9, 1
	s_cselect_b64 s[12:13], -1, 0
	s_andn2_b64 vcc, exec, s[10:11]
	s_cbranch_vccnz .LBB108_3
.LBB108_2:
	s_mov_b32 s7, 0
	s_mov_b64 s[12:13], -1
.LBB108_3:
	s_andn2_b64 vcc, exec, s[12:13]
	s_cbranch_vccnz .LBB108_20
; %bb.4:
	s_load_dwordx2 s[12:13], s[4:5], 0x28
	s_lshl_b64 s[10:11], s[6:7], 2
	s_waitcnt lgkmcnt(0)
	s_add_u32 s12, s12, s10
	s_addc_u32 s13, s13, s11
	s_load_dword s33, s[12:13], 0x0
	s_lshl_b32 s16, s26, 8
	s_waitcnt lgkmcnt(0)
	s_cmp_ge_i32 s16, s33
	s_cbranch_scc1 .LBB108_20
; %bb.5:
	s_add_i32 s14, s33, 15
	s_load_dwordx2 s[12:13], s[4:5], 0x20
	s_load_dword s9, s[4:5], 0x38
	s_ashr_i32 s15, s14, 31
	v_and_b32_e32 v1, 0xcf, v0
	s_lshr_b32 s15, s15, 28
	v_add_u32_e32 v1, s16, v1
	s_add_i32 s14, s14, s15
	v_ashrrev_i32_e32 v2, 31, v1
	s_ashr_i32 s19, s14, 4
	v_lshrrev_b32_e32 v4, 28, v2
	s_add_i32 s19, s19, -1
	v_add_u32_e32 v2, v1, v4
	s_waitcnt lgkmcnt(0)
	s_mul_i32 s14, s6, s9
	s_mov_b32 s15, 0
	v_ashrrev_i32_e32 v2, 4, v2
	v_mov_b32_e32 v5, s19
	v_cmp_gt_i32_e32 vcc, s33, v1
	s_lshl_b64 s[14:15], s[14:15], 2
	v_cndmask_b32_e32 v2, v5, v2, vcc
	s_add_u32 s17, s12, s14
	v_ashrrev_i32_e32 v3, 31, v2
	s_addc_u32 s18, s13, s15
	v_lshlrev_b64 v[2:3], 2, v[2:3]
	v_mov_b32_e32 v7, s18
	v_add_co_u32_e32 v6, vcc, s17, v2
	v_or_b32_e32 v2, 16, v1
	v_addc_co_u32_e32 v7, vcc, v7, v3, vcc
	v_add_u32_e32 v3, v2, v4
	v_ashrrev_i32_e32 v3, 4, v3
	v_cmp_gt_i32_e32 vcc, s33, v2
	v_cndmask_b32_e32 v2, v5, v3, vcc
	v_ashrrev_i32_e32 v3, 31, v2
	v_lshlrev_b64 v[2:3], 2, v[2:3]
	v_mov_b32_e32 v9, s18
	v_add_co_u32_e32 v8, vcc, s17, v2
	v_or_b32_e32 v2, 32, v1
	v_addc_co_u32_e32 v9, vcc, v9, v3, vcc
	v_add_u32_e32 v3, v2, v4
	v_ashrrev_i32_e32 v3, 4, v3
	v_cmp_gt_i32_e32 vcc, s33, v2
	v_cndmask_b32_e32 v2, v5, v3, vcc
	v_ashrrev_i32_e32 v3, 31, v2
	;; [unrolled: 10-line block ×3, first 2 shown]
	v_lshlrev_b64 v[2:3], 2, v[2:3]
	v_mov_b32_e32 v1, s18
	v_add_co_u32_e32 v12, vcc, s17, v2
	v_addc_co_u32_e32 v13, vcc, v1, v3, vcc
	global_load_dword v5, v[6:7], off
	global_load_dword v4, v[8:9], off
	global_load_dword v3, v[10:11], off
	global_load_dword v2, v[12:13], off
	s_load_dwordx2 s[12:13], s[4:5], 0x8
	s_andn2_b64 vcc, exec, s[2:3]
	s_cbranch_vccnz .LBB108_8
; %bb.6:
	s_add_u32 s0, s0, s10
	s_addc_u32 s1, s1, s11
	s_load_dword s9, s[0:1], 0x0
	s_branch .LBB108_9
.LBB108_7:
	s_mov_b64 s[12:13], 0
	s_branch .LBB108_2
.LBB108_8:
	s_mov_b32 s9, s6
.LBB108_9:
	s_load_dwordx2 s[10:11], s[4:5], 0x10
	s_load_dwordx4 s[0:3], s[4:5], 0x48
	v_lshrrev_b32_e32 v87, 6, v0
	v_bfe_u32 v1, v0, 4, 2
	v_and_b32_e32 v85, 15, v0
	v_lshl_or_b32 v6, v87, 2, v1
	v_lshlrev_b32_e32 v7, 3, v85
	s_mul_i32 s27, s8, 13
	v_cmp_gt_u32_e32 vcc, 13, v6
	v_lshlrev_b32_e32 v7, 1, v7
	buffer_store_dword v7, off, s[44:47], 0 ; 4-byte Folded Spill
	s_and_saveexec_b64 s[14:15], vcc
	s_cbranch_execz .LBB108_11
; %bb.10:
	s_load_dwordx2 s[20:21], s[4:5], 0x0
	s_waitcnt lgkmcnt(0)
	s_ashr_i32 s3, s0, 31
	s_mul_hi_u32 s22, s9, s0
	s_mul_i32 s3, s9, s3
	s_add_i32 s23, s22, s3
	s_mul_i32 s22, s9, s0
	s_lshl_b64 s[22:23], s[22:23], 1
	v_add_lshl_u32 v8, v6, s27, 7
	s_add_u32 s0, s20, s22
	v_ashrrev_i32_e32 v9, 31, v8
	s_addc_u32 s3, s21, s23
	v_lshlrev_b64 v[8:9], 1, v[8:9]
	v_mov_b32_e32 v7, s3
	v_add_co_u32_e32 v8, vcc, s0, v8
	v_addc_co_u32_e32 v7, vcc, v7, v9, vcc
	buffer_load_dword v9, off, s[44:47], 0  ; 4-byte Folded Reload
	v_lshlrev_b32_e32 v12, 9, v85
	v_lshlrev_b32_e32 v6, 5, v6
	v_and_b32_e32 v12, 0x1800, v12
	s_waitcnt vmcnt(0)
	v_add_co_u32_e32 v8, vcc, v8, v9
	v_addc_co_u32_e32 v9, vcc, 0, v7, vcc
	global_load_dwordx4 v[8:11], v[8:9], off
	v_and_b32_e32 v7, 3, v0
	v_lshlrev_b32_e32 v7, 9, v7
	v_or3_b32 v6, v12, v7, v6
	s_waitcnt vmcnt(0)
	ds_write_b128 v6, v[8:11]
.LBB108_11:
	s_or_b64 exec, exec, s[14:15]
	s_waitcnt lgkmcnt(0)
	s_mul_i32 s2, s8, s2
	s_mov_b32 s3, 0
	s_lshl_b64 s[2:3], s[2:3], 1
	s_add_u32 s0, s12, s2
	v_lshlrev_b32_e32 v10, 4, v0
	s_addc_u32 s8, s13, s3
	v_and_b32_e32 v6, 0xf0, v10
	v_mov_b32_e32 v7, s8
	v_add_co_u32_e32 v8, vcc, s0, v6
	v_addc_co_u32_e32 v9, vcc, 0, v7, vcc
	s_waitcnt vmcnt(4)
	v_mad_i64_i32 v[6:7], s[8:9], v5, s1, 0
	v_lshlrev_b64 v[6:7], 1, v[6:7]
	v_add_co_u32_e32 v5, vcc, v8, v6
	v_addc_co_u32_e32 v7, vcc, v9, v7, vcc
	v_and_b32_e32 v10, 0x300, v10
	v_add_co_u32_e32 v6, vcc, v5, v10
	s_waitcnt vmcnt(3)
	v_mad_i64_i32 v[4:5], s[8:9], v4, s1, 0
	v_addc_co_u32_e32 v7, vcc, 0, v7, vcc
	v_lshlrev_b64 v[4:5], 1, v[4:5]
	v_add_co_u32_e32 v4, vcc, v8, v4
	v_addc_co_u32_e32 v5, vcc, v9, v5, vcc
	v_add_co_u32_e32 v4, vcc, v4, v10
	v_addc_co_u32_e32 v5, vcc, 0, v5, vcc
	s_barrier
	global_load_dwordx4 v[74:77], v[6:7], off
	global_load_dwordx4 v[66:69], v[6:7], off offset:1024
	global_load_dwordx4 v[58:61], v[6:7], off offset:2048
	;; [unrolled: 1-line block ×3, first 2 shown]
	global_load_dwordx4 v[78:81], v[4:5], off
	global_load_dwordx4 v[70:73], v[4:5], off offset:1024
	global_load_dwordx4 v[62:65], v[4:5], off offset:2048
	;; [unrolled: 1-line block ×3, first 2 shown]
	s_waitcnt vmcnt(10)
	v_mad_i64_i32 v[4:5], s[8:9], v3, s1, 0
	v_lshlrev_b64 v[4:5], 1, v[4:5]
	v_add_co_u32_e32 v3, vcc, v8, v4
	v_addc_co_u32_e32 v5, vcc, v9, v5, vcc
	v_add_co_u32_e32 v4, vcc, v3, v10
	s_waitcnt vmcnt(9)
	v_mad_i64_i32 v[2:3], s[8:9], v2, s1, 0
	v_addc_co_u32_e32 v5, vcc, 0, v5, vcc
	v_lshlrev_b64 v[2:3], 1, v[2:3]
	v_add_co_u32_e32 v2, vcc, v8, v2
	v_addc_co_u32_e32 v3, vcc, v9, v3, vcc
	v_add_co_u32_e32 v6, vcc, v2, v10
	v_addc_co_u32_e32 v7, vcc, 0, v3, vcc
	global_load_dwordx4 v[38:41], v[4:5], off
	global_load_dwordx4 v[34:37], v[4:5], off offset:1024
	global_load_dwordx4 v[30:33], v[4:5], off offset:2048
	global_load_dwordx4 v[22:25], v[4:5], off offset:3072
	global_load_dwordx4 v[18:21], v[6:7], off
	global_load_dwordx4 v[10:13], v[6:7], off offset:1024
	s_nop 0
	global_load_dwordx4 v[2:5], v[6:7], off offset:2048
	global_load_dwordx4 v[50:53], v[6:7], off offset:3072
	v_add_u32_e32 v6, -13, v85
	v_cmp_gt_u32_e32 vcc, 13, v85
	v_cndmask_b32_e32 v6, v6, v85, vcc
	v_lshlrev_b32_e32 v6, 5, v6
	v_lshl_add_u32 v54, v1, 9, v6
	ds_read_b128 v[26:29], v54
	ds_read_b128 v[14:17], v54 offset:2048
	ds_read_b128 v[6:9], v54 offset:4096
	;; [unrolled: 1-line block ×3, first 2 shown]
	v_and_b32_e32 v88, 63, v0
	v_mov_b32_e32 v89, 0
	s_and_saveexec_b64 s[8:9], vcc
	s_cbranch_execz .LBB108_13
; %bb.12:
	s_load_dwordx2 s[12:13], s[4:5], 0x40
	v_add_u32_e32 v82, s27, v85
	v_ashrrev_i32_e32 v83, 31, v82
	v_lshlrev_b64 v[82:83], 2, v[82:83]
	s_waitcnt lgkmcnt(0)
	v_mov_b32_e32 v89, s13
	v_add_co_u32_e32 v82, vcc, s12, v82
	v_addc_co_u32_e32 v83, vcc, v89, v83, vcc
	global_load_dword v89, v[82:83], off
.LBB108_13:
	s_or_b64 exec, exec, s[8:9]
	s_waitcnt vmcnt(15) lgkmcnt(3)
	v_mfma_f32_16x16x16f16 v[90:93], v[74:75], v[26:27], 0
	s_add_u32 s8, s10, s2
	s_addc_u32 s9, s11, s3
	s_load_dword s0, s[4:5], 0x1c
	s_mov_b32 s40, 0xff7fffff
	v_mfma_f32_16x16x16f16 v[74:77], v[76:77], v[28:29], v[90:93]
	s_waitcnt vmcnt(14) lgkmcnt(0)
	v_mfma_f32_16x16x16f16 v[74:77], v[66:67], v[14:15], v[74:77]
	s_nop 4
	v_lshl_or_b32 v90, v87, 4, v85
	v_mfma_f32_16x16x16f16 v[66:69], v[68:69], v[16:17], v[74:77]
	s_waitcnt vmcnt(13)
	v_mfma_f32_16x16x16f16 v[66:69], v[58:59], v[6:7], v[66:69]
	s_nop 4
	v_lshlrev_b32_e32 v76, 5, v90
	v_mfma_f32_16x16x16f16 v[58:61], v[60:61], v[8:9], v[66:69]
	s_waitcnt vmcnt(12)
	v_mfma_f32_16x16x16f16 v[58:61], v[42:43], v[54:55], v[58:61]
	s_nop 4
	v_mov_b32_e32 v66, s18
	v_mfma_f32_16x16x16f16 v[58:61], v[44:45], v[56:57], v[58:61]
	s_waitcnt vmcnt(11)
	v_mfma_f32_16x16x16f16 v[42:45], v[78:79], v[26:27], 0
	s_nop 7
	s_nop 0
	v_pk_mul_f32 v[58:59], s[0:1], v[58:59] op_sel_hi:[0,1]
	v_mfma_f32_16x16x16f16 v[42:45], v[80:81], v[28:29], v[42:45]
	s_waitcnt vmcnt(10)
	v_mfma_f32_16x16x16f16 v[42:45], v[70:71], v[14:15], v[42:45]
	v_mfma_f32_16x16x16f16 v[42:45], v[72:73], v[16:17], v[42:45]
	s_waitcnt vmcnt(9)
	v_mfma_f32_16x16x16f16 v[42:45], v[62:63], v[6:7], v[42:45]
	v_mfma_f32_16x16x16f16 v[42:45], v[64:65], v[8:9], v[42:45]
	s_waitcnt vmcnt(8)
	v_mfma_f32_16x16x16f16 v[42:45], v[46:47], v[54:55], v[42:45]
	v_mfma_f32_16x16x16f16 v[62:65], v[48:49], v[56:57], v[42:45]
	v_and_or_b32 v48, v0, 48, s16
	v_mov_b32_e32 v49, s19
	v_cmp_gt_i32_e32 vcc, s33, v48
	s_waitcnt vmcnt(7)
	v_mfma_f32_16x16x16f16 v[42:45], v[38:39], v[26:27], 0
	v_ashrrev_i32_e32 v38, 4, v48
	v_cndmask_b32_e32 v38, v49, v38, vcc
	v_ashrrev_i32_e32 v39, 31, v38
	v_lshlrev_b64 v[46:47], 2, v[38:39]
	v_mfma_f32_16x16x16f16 v[38:41], v[40:41], v[28:29], v[42:45]
	s_nop 6
	v_add_co_u32_e32 v42, vcc, s17, v46
	v_addc_co_u32_e32 v43, vcc, v66, v47, vcc
	global_load_dword v44, v[42:43], off
	v_or_b32_e32 v42, 64, v48
	v_ashrrev_i32_e32 v43, 4, v42
	v_cmp_gt_i32_e32 vcc, s33, v42
	v_cndmask_b32_e32 v42, v49, v43, vcc
	s_waitcnt vmcnt(7)
	v_mfma_f32_16x16x16f16 v[38:41], v[34:35], v[14:15], v[38:41]
	v_ashrrev_i32_e32 v43, 31, v42
	v_lshlrev_b64 v[34:35], 2, v[42:43]
	v_mov_b32_e32 v42, s18
	v_add_co_u32_e32 v34, vcc, s17, v34
	v_addc_co_u32_e32 v35, vcc, v42, v35, vcc
	global_load_dword v72, v[34:35], off
	v_mfma_f32_16x16x16f16 v[34:37], v[36:37], v[16:17], v[38:41]
	s_nop 6
	v_or_b32_e32 v38, 0x80, v48
	v_ashrrev_i32_e32 v39, 4, v38
	v_cmp_gt_i32_e32 vcc, s33, v38
	v_cndmask_b32_e32 v38, v49, v39, vcc
	v_ashrrev_i32_e32 v39, 31, v38
	v_lshlrev_b64 v[38:39], 2, v[38:39]
	v_mov_b32_e32 v40, s18
	s_waitcnt vmcnt(7)
	v_mfma_f32_16x16x16f16 v[34:37], v[30:31], v[6:7], v[34:37]
	v_add_co_u32_e32 v30, vcc, s17, v38
	v_addc_co_u32_e32 v31, vcc, v40, v39, vcc
	global_load_dword v74, v[30:31], off
	v_or_b32_e32 v30, 0xc0, v48
	v_ashrrev_i32_e32 v31, 4, v30
	v_cmp_gt_i32_e32 vcc, s33, v30
	v_cndmask_b32_e32 v38, v49, v31, vcc
	v_ashrrev_i32_e32 v39, 31, v38
	v_mfma_f32_16x16x16f16 v[30:33], v[32:33], v[8:9], v[34:37]
	s_nop 6
	v_lshlrev_b64 v[34:35], 2, v[38:39]
	v_mov_b32_e32 v36, s18
	v_add_co_u32_e32 v34, vcc, s17, v34
	v_addc_co_u32_e32 v35, vcc, v36, v35, vcc
	global_load_dword v75, v[34:35], off
	s_waitcnt vmcnt(8)
	v_mfma_f32_16x16x16f16 v[30:33], v[22:23], v[54:55], v[30:33]
	v_mov_b32_e32 v22, s9
	v_add_co_u32_e32 v77, vcc, s8, v76
	v_addc_co_u32_e32 v78, vcc, 0, v22, vcc
	s_waitcnt vmcnt(3)
	v_mad_i64_i32 v[22:23], s[2:3], v44, s1, 0
	v_mfma_f32_16x16x16f16 v[66:69], v[24:25], v[56:57], v[30:33]
	v_lshlrev_b64 v[70:71], 1, v[22:23]
	v_mfma_f32_16x16x16f16 v[22:25], v[18:19], v[26:27], 0
	v_add_co_u32_e32 v18, vcc, v77, v70
	v_addc_co_u32_e32 v19, vcc, v78, v71, vcc
	global_load_dwordx4 v[46:49], v[18:19], off
	global_load_dwordx4 v[42:45], v[18:19], off offset:16
	s_waitcnt vmcnt(4)
	v_mad_i64_i32 v[18:19], s[2:3], v72, s1, 0
	v_lshlrev_b64 v[72:73], 1, v[18:19]
	v_mfma_f32_16x16x16f16 v[18:21], v[20:21], v[28:29], v[22:25]
	v_mfma_f32_16x16x16f16 v[18:21], v[10:11], v[14:15], v[18:21]
	s_nop 5
	v_add_co_u32_e32 v22, vcc, v77, v72
	v_addc_co_u32_e32 v23, vcc, v78, v73, vcc
	global_load_dwordx4 v[38:41], v[22:23], off
	global_load_dwordx4 v[34:37], v[22:23], off offset:16
	s_waitcnt vmcnt(5)
	v_mad_i64_i32 v[22:23], s[2:3], v74, s1, 0
	v_lshlrev_b64 v[82:83], 1, v[22:23]
	v_add_co_u32_e32 v10, vcc, v77, v82
	v_addc_co_u32_e32 v11, vcc, v78, v83, vcc
	global_load_dwordx4 v[30:33], v[10:11], off
	global_load_dwordx4 v[26:29], v[10:11], off offset:16
	v_mfma_f32_16x16x16f16 v[10:13], v[12:13], v[16:17], v[18:21]
	s_waitcnt vmcnt(6)
	v_mad_i64_i32 v[14:15], s[2:3], v75, s1, 0
	v_mfma_f32_16x16x16f16 v[10:13], v[2:3], v[6:7], v[10:13]
	v_lshlrev_b64 v[80:81], 1, v[14:15]
	v_add_co_u32_e32 v14, vcc, v77, v80
	v_addc_co_u32_e32 v15, vcc, v78, v81, vcc
	v_or_b32_e32 v2, 0x800, v76
	v_mov_b32_e32 v3, s9
	v_mfma_f32_16x16x16f16 v[10:13], v[4:5], v[8:9], v[10:13]
	v_add_co_u32_e32 v91, vcc, s8, v2
	v_addc_co_u32_e32 v84, vcc, 0, v3, vcc
	v_add_co_u32_e32 v2, vcc, v91, v70
	v_addc_co_u32_e32 v3, vcc, v84, v71, vcc
	v_mfma_f32_16x16x16f16 v[92:95], v[50:51], v[54:55], v[10:13]
	v_add_co_u32_e32 v70, vcc, v91, v72
	v_addc_co_u32_e32 v71, vcc, v84, v73, vcc
	global_load_dwordx4 v[22:25], v[14:15], off
	global_load_dwordx4 v[18:21], v[14:15], off offset:16
	global_load_dwordx4 v[6:9], v[2:3], off
	s_nop 0
	global_load_dwordx4 v[2:5], v[2:3], off offset:16
	s_nop 0
	global_load_dwordx4 v[14:17], v[70:71], off
	global_load_dwordx4 v[10:13], v[70:71], off offset:16
	v_mfma_f32_16x16x16f16 v[50:53], v[52:53], v[56:57], v[92:95]
	v_pk_mul_f32 v[70:71], s[0:1], v[68:69] op_sel_hi:[0,1]
	v_pk_mul_f32 v[72:73], s[0:1], v[66:67] op_sel_hi:[0,1]
	v_pk_mul_f32 v[78:79], s[0:1], v[60:61] op_sel_hi:[0,1]
	v_pk_mul_f32 v[74:75], s[0:1], v[64:65] op_sel_hi:[0,1]
	v_pk_mul_f32 v[76:77], s[0:1], v[62:63] op_sel_hi:[0,1]
	s_nop 5
	v_pk_mul_f32 v[68:69], s[0:1], v[50:51] op_sel_hi:[0,1]
	v_and_b32_e32 v50, 0xc0, v0
	v_add_u32_e32 v50, s16, v50
	v_lshl_or_b32 v50, v1, 2, v50
	v_or_b32_e32 v51, 1, v50
	v_pk_mul_f32 v[66:67], s[0:1], v[52:53] op_sel_hi:[0,1]
	v_subrev_u32_e32 v52, s33, v51
	v_add_u32_e32 v54, 1, v52
	v_add_u32_e32 v55, 2, v52
	v_cvt_f32_i32_e32 v53, v52
	v_cvt_f32_i32_e32 v54, v54
	v_cvt_f32_i32_e32 v55, v55
	v_add_u32_e32 v56, 3, v52
	v_fma_f32 v58, v89, v53, v58
	v_fmac_f32_e32 v59, v89, v54
	v_fma_f32 v78, v89, v55, v78
	v_add_u32_e32 v53, 16, v52
	v_add_u32_e32 v54, 17, v52
	;; [unrolled: 1-line block ×3, first 2 shown]
	v_cvt_f32_i32_e32 v56, v56
	v_cvt_f32_i32_e32 v53, v53
	;; [unrolled: 1-line block ×4, first 2 shown]
	v_fmac_f32_e32 v79, v89, v56
	v_add_u32_e32 v56, 19, v52
	v_fma_f32 v76, v89, v53, v76
	v_fmac_f32_e32 v77, v89, v54
	v_fma_f32 v74, v89, v55, v74
	v_add_u32_e32 v53, 32, v52
	v_add_u32_e32 v54, 33, v52
	;; [unrolled: 1-line block ×3, first 2 shown]
	v_cvt_f32_i32_e32 v56, v56
	v_cvt_f32_i32_e32 v53, v53
	;; [unrolled: 1-line block ×4, first 2 shown]
	v_fmac_f32_e32 v75, v89, v56
	v_add_u32_e32 v56, 35, v52
	v_fma_f32 v72, v89, v53, v72
	v_fmac_f32_e32 v73, v89, v54
	v_fma_f32 v70, v89, v55, v70
	v_add_u32_e32 v53, 48, v52
	v_add_u32_e32 v54, 49, v52
	;; [unrolled: 1-line block ×4, first 2 shown]
	v_cvt_f32_i32_e32 v52, v52
	v_cvt_f32_i32_e32 v53, v53
	;; [unrolled: 1-line block ×3, first 2 shown]
	v_cmp_gt_i32_e64 s[28:29], s33, v50
	v_fmac_f32_e32 v67, v89, v52
	v_mov_b32_e32 v52, 0xff7fffff
	v_cmp_gt_i32_e64 s[30:31], s33, v51
	v_fma_f32 v68, v89, v53, v68
	v_cndmask_b32_e64 v53, v52, v58, s[28:29]
	v_cndmask_b32_e64 v51, v52, v59, s[30:31]
	v_fmac_f32_e32 v69, v89, v54
	v_max3_f32 v51, v53, s40, v51
	v_or_b32_e32 v53, 2, v50
	v_or_b32_e32 v54, 3, v50
	v_cmp_gt_i32_e64 s[34:35], s33, v53
	v_cmp_gt_i32_e64 s[36:37], s33, v54
	v_cndmask_b32_e64 v53, v52, v78, s[34:35]
	v_cndmask_b32_e64 v54, v52, v79, s[36:37]
	v_max3_f32 v51, v51, v53, v54
	v_or_b32_e32 v53, 16, v50
	v_or_b32_e32 v54, 17, v50
	v_cmp_gt_i32_e64 s[22:23], s33, v53
	v_cmp_gt_i32_e64 s[24:25], s33, v54
	v_cndmask_b32_e64 v53, v52, v76, s[22:23]
	v_cndmask_b32_e64 v54, v52, v77, s[24:25]
	;; [unrolled: 7-line block ×3, first 2 shown]
	v_cvt_f32_i32_e32 v56, v56
	v_max3_f32 v51, v51, v53, v54
	v_or_b32_e32 v53, 32, v50
	v_or_b32_e32 v54, 33, v50
	v_cmp_gt_i32_e64 s[14:15], s33, v53
	v_cmp_gt_i32_e64 s[16:17], s33, v54
	v_cndmask_b32_e64 v53, v52, v72, s[14:15]
	v_cndmask_b32_e64 v54, v52, v73, s[16:17]
	v_max3_f32 v51, v51, v53, v54
	v_or_b32_e32 v53, 34, v50
	v_or_b32_e32 v54, 35, v50
	v_fmac_f32_e32 v71, v89, v56
	v_cmp_gt_i32_e64 s[10:11], s33, v53
	v_cmp_gt_i32_e64 s[12:13], s33, v54
	v_cndmask_b32_e64 v53, v52, v70, s[10:11]
	v_cndmask_b32_e64 v54, v52, v71, s[12:13]
	v_cvt_f32_i32_e32 v55, v55
	v_max3_f32 v51, v51, v53, v54
	v_or_b32_e32 v53, 48, v50
	v_or_b32_e32 v54, 49, v50
	v_cmp_gt_i32_e64 s[2:3], s33, v53
	v_cmp_gt_i32_e64 s[8:9], s33, v54
	v_cndmask_b32_e64 v53, v52, v68, s[2:3]
	v_cndmask_b32_e64 v54, v52, v69, s[8:9]
	v_max3_f32 v51, v51, v53, v54
	v_or_b32_e32 v53, 50, v50
	v_or_b32_e32 v50, 51, v50
	v_fma_f32 v66, v89, v55, v66
	v_cmp_gt_i32_e32 vcc, s33, v53
	v_cmp_gt_i32_e64 s[0:1], s33, v50
	v_cndmask_b32_e32 v53, v52, v66, vcc
	v_cndmask_b32_e64 v50, v52, v67, s[0:1]
	v_max3_f32 v60, v51, v53, v50
	v_mbcnt_lo_u32_b32 v50, -1, 0
	v_mbcnt_hi_u32_b32 v61, -1, v50
	v_and_b32_e32 v50, 64, v61
	v_add_u32_e32 v62, 64, v50
	v_xor_b32_e32 v50, 32, v61
	v_cmp_lt_i32_e64 s[38:39], v50, v62
	v_cndmask_b32_e64 v50, v61, v50, s[38:39]
	v_lshlrev_b32_e32 v89, 2, v50
	ds_bpermute_b32 v63, v89, v60
	v_add_co_u32_e64 v50, s[38:39], v91, v82
	v_addc_co_u32_e64 v51, s[38:39], v84, v83, s[38:39]
	s_waitcnt lgkmcnt(0)
	v_max_f32_e32 v63, v63, v63
	v_max_f32_e32 v63, v60, v63
	v_xor_b32_e32 v60, 16, v61
	v_cmp_lt_i32_e64 s[38:39], v60, v62
	v_cndmask_b32_e64 v60, v61, v60, s[38:39]
	v_lshlrev_b32_e32 v92, 2, v60
	ds_bpermute_b32 v62, v92, v63
	v_add_co_u32_e64 v60, s[38:39], v91, v80
	v_addc_co_u32_e64 v61, s[38:39], v84, v81, s[38:39]
	s_waitcnt lgkmcnt(0)
	v_max_f32_e32 v62, v62, v62
	v_max_f32_e32 v82, v63, v62
	v_sub_f32_e32 v58, v58, v82
	v_mul_f32_e32 v58, 0x3fb8aa3b, v58
	v_exp_f32_e32 v80, v58
	v_sub_f32_e32 v58, v59, v82
	v_mul_f32_e32 v58, 0x3fb8aa3b, v58
	global_load_dwordx4 v[54:57], v[50:51], off
	s_nop 0
	global_load_dwordx4 v[50:53], v[50:51], off offset:16
	v_exp_f32_e32 v81, v58
	global_load_dwordx4 v[62:65], v[60:61], off
	s_nop 0
	global_load_dwordx4 v[58:61], v[60:61], off offset:16
	v_sub_f32_e32 v78, v78, v82
	v_mul_f32_e32 v78, 0x3fb8aa3b, v78
	v_sub_f32_e32 v79, v79, v82
	v_exp_f32_e32 v78, v78
	v_mul_f32_e32 v79, 0x3fb8aa3b, v79
	v_sub_f32_e32 v76, v76, v82
	v_exp_f32_e32 v79, v79
	v_mul_f32_e32 v76, 0x3fb8aa3b, v76
	v_sub_f32_e32 v77, v77, v82
	v_cndmask_b32_e64 v80, 0, v80, s[28:29]
	v_exp_f32_e32 v76, v76
	v_mul_f32_e32 v77, 0x3fb8aa3b, v77
	v_sub_f32_e32 v74, v74, v82
	v_add_f32_e32 v83, 0, v80
	v_cndmask_b32_e64 v81, 0, v81, s[30:31]
	v_exp_f32_e32 v77, v77
	v_mul_f32_e32 v74, 0x3fb8aa3b, v74
	v_sub_f32_e32 v75, v75, v82
	v_add_f32_e32 v83, v83, v81
	;; [unrolled: 5-line block ×10, first 2 shown]
	v_cndmask_b32_e64 v70, 0, v70, s[10:11]
	v_exp_f32_e32 v66, v66
	v_mul_f32_e32 v67, 0x3fb8aa3b, v67
	v_add_f32_e32 v83, v83, v70
	v_cndmask_b32_e64 v71, 0, v71, s[12:13]
	v_exp_f32_e32 v67, v67
	v_add_f32_e32 v83, v83, v71
	v_cndmask_b32_e64 v68, 0, v68, s[2:3]
	v_add_f32_e32 v83, v83, v68
	v_cndmask_b32_e64 v69, 0, v69, s[8:9]
	v_add_f32_e32 v83, v83, v69
	v_cndmask_b32_e32 v66, 0, v66, vcc
	v_add_f32_e32 v83, v83, v66
	v_cndmask_b32_e64 v67, 0, v67, s[0:1]
	v_add_f32_e32 v83, v83, v67
	ds_bpermute_b32 v84, v89, v83
	s_load_dword s9, s[4:5], 0x98
	v_cmp_gt_u32_e64 s[0:1], 16, v88
	s_waitcnt lgkmcnt(0)
	s_barrier
	v_add_f32_e32 v83, v83, v84
	ds_bpermute_b32 v89, v92, v83
	s_waitcnt lgkmcnt(0)
	s_and_saveexec_b64 s[2:3], s[0:1]
	s_cbranch_execz .LBB108_15
; %bb.14:
	v_add_f32_e32 v83, v83, v89
	v_lshlrev_b32_e32 v84, 2, v90
	ds_write2st64_b32 v84, v82, v83 offset1:1
.LBB108_15:
	s_or_b64 exec, exec, s[2:3]
	v_lshlrev_b32_e32 v83, 2, v85
	s_load_dword s8, s[4:5], 0x94
	s_waitcnt lgkmcnt(0)
	s_barrier
	ds_read2_b32 v[88:89], v83 offset1:16
	ds_read2_b32 v[90:91], v83 offset0:32 offset1:48
	ds_read2_b32 v[92:93], v83 offset0:64 offset1:80
	s_mul_i32 s9, s9, 13
	s_waitcnt lgkmcnt(2)
	v_max3_f32 v82, v88, s40, v89
	s_waitcnt lgkmcnt(1)
	v_max3_f32 v82, v82, v90, v91
	v_sub_f32_e32 v84, v88, v82
	v_sub_f32_e32 v88, v89, v82
	v_mul_f32_e32 v88, 0x3fb8aa3b, v88
	v_mul_f32_e32 v84, 0x3fb8aa3b, v84
	v_exp_f32_e32 v94, v88
	v_sub_f32_e32 v88, v90, v82
	v_exp_f32_e32 v84, v84
	v_mul_f32_e32 v88, 0x3fb8aa3b, v88
	v_exp_f32_e32 v90, v88
	ds_read2_b32 v[88:89], v83 offset0:96 offset1:112
	v_sub_f32_e32 v83, v91, v82
	v_mul_f32_e32 v83, 0x3fb8aa3b, v83
	v_exp_f32_e32 v91, v83
	s_waitcnt lgkmcnt(1)
	v_fma_f32 v83, v84, v92, 0
	v_fmac_f32_e32 v83, v94, v93
	s_waitcnt lgkmcnt(0)
	v_fmac_f32_e32 v83, v90, v88
	v_fmac_f32_e32 v83, v91, v89
	v_add_f32_e32 v88, 0x358637bd, v83
	v_div_scale_f32 v89, s[2:3], v88, v88, 1.0
	v_rcp_f32_e32 v92, v89
	s_barrier
	v_fma_f32 v93, -v89, v92, 1.0
	v_fmac_f32_e32 v92, v93, v92
	v_div_scale_f32 v93, vcc, 1.0, v88, 1.0
	v_mul_f32_e32 v95, v93, v92
	v_fma_f32 v86, -v89, v95, v93
	v_fmac_f32_e32 v95, v86, v92
	v_fma_f32 v86, -v89, v95, v93
	v_div_fmas_f32 v86, v86, v92, v95
	v_cmp_eq_u32_e32 vcc, 1, v87
	v_cndmask_b32_e32 v84, v84, v94, vcc
	v_cmp_eq_u32_e32 vcc, 2, v87
	v_cndmask_b32_e32 v84, v84, v90, vcc
	v_cmp_eq_u32_e32 vcc, 3, v87
	v_div_fixup_f32 v86, v86, v88, 1.0
	v_cndmask_b32_e32 v84, v84, v91, vcc
	v_mul_f32_e32 v88, v84, v86
	v_pk_mul_f32 v[78:79], v[88:89], v[78:79] op_sel_hi:[0,1]
	v_pk_mul_f32 v[80:81], v[88:89], v[80:81] op_sel_hi:[0,1]
	v_cvt_f16_f32_e32 v80, v80
	v_cvt_f16_f32_e32 v81, v81
	;; [unrolled: 1-line block ×4, first 2 shown]
	v_pk_mul_f32 v[74:75], v[88:89], v[74:75] op_sel_hi:[0,1]
	v_pk_mul_f32 v[76:77], v[88:89], v[76:77] op_sel_hi:[0,1]
	v_cvt_f16_f32_e32 v76, v76
	v_cvt_f16_f32_e32 v77, v77
	;; [unrolled: 1-line block ×4, first 2 shown]
	v_pack_b32_f16 v80, v80, v81
	v_pack_b32_f16 v81, v78, v79
	v_lshlrev_b32_e32 v79, 3, v1
	v_lshlrev_b32_e32 v78, 5, v85
	v_lshlrev_b32_e32 v74, 11, v87
	v_or3_b32 v74, v74, v78, v79
	v_pack_b32_f16 v76, v76, v77
	v_pack_b32_f16 v77, v84, v75
	v_pk_mul_f32 v[70:71], v[88:89], v[70:71] op_sel_hi:[0,1]
	v_pk_mul_f32 v[72:73], v[88:89], v[72:73] op_sel_hi:[0,1]
	;; [unrolled: 1-line block ×4, first 2 shown]
	ds_write2st64_b64 v74, v[80:81], v[76:77] offset1:1
	v_cvt_f16_f32_e32 v72, v72
	v_cvt_f16_f32_e32 v73, v73
	;; [unrolled: 1-line block ×8, first 2 shown]
	v_pack_b32_f16 v66, v72, v73
	v_pack_b32_f16 v67, v70, v71
	;; [unrolled: 1-line block ×4, first 2 shown]
	v_cmp_gt_u32_e32 vcc, 13, v0
	ds_write2st64_b64 v74, v[66:67], v[68:69] offset0:2 offset1:3
	s_and_saveexec_b64 s[2:3], vcc
	s_cbranch_execz .LBB108_17
; %bb.16:
	v_add_co_u32_e32 v68, vcc, s27, v85
	v_addc_co_u32_e64 v69, s[10:11], 0, 0, vcc
	v_mov_b32_e32 v66, s9
	v_mov_b32_e32 v67, 0
	v_mad_u64_u32 v[68:69], s[10:11], s6, v66, v[68:69]
	v_mov_b32_e32 v66, s26
	s_load_dwordx4 s[12:15], s[4:5], 0x58
	s_mul_i32 s7, s7, s9
	v_mad_u64_u32 v[66:67], s[10:11], v68, s8, v[66:67]
	v_add_u32_e32 v69, s7, v69
	v_mov_b32_e32 v68, v67
	v_mad_u64_u32 v[68:69], s[10:11], v69, s8, v[68:69]
	v_mov_b32_e32 v67, v68
	v_lshlrev_b64 v[66:67], 2, v[66:67]
	s_waitcnt lgkmcnt(0)
	v_mov_b32_e32 v69, s15
	v_add_co_u32_e32 v68, vcc, s14, v66
	v_addc_co_u32_e32 v69, vcc, v69, v67, vcc
	global_store_dword v[68:69], v82, off
	v_mov_b32_e32 v68, s13
	v_add_co_u32_e32 v66, vcc, s12, v66
	v_addc_co_u32_e32 v67, vcc, v68, v67, vcc
	global_store_dword v[66:67], v83, off
.LBB108_17:
	s_or_b64 exec, exec, s[2:3]
	v_lshl_or_b32 v75, v1, 9, v78
	s_waitcnt lgkmcnt(0)
	s_barrier
	ds_read_b128 v[70:73], v75
	ds_read_b128 v[66:69], v75 offset:16
	s_waitcnt vmcnt(15) lgkmcnt(1)
	v_mfma_f32_16x16x16f16 v[76:79], v[46:47], v[70:71], 0
	s_mov_b32 s3, 0
	v_cmp_gt_u32_e32 vcc, 64, v0
	v_mfma_f32_16x16x16f16 v[46:49], v[48:49], v[72:73], v[76:79]
	s_waitcnt vmcnt(14) lgkmcnt(0)
	v_mfma_f32_16x16x16f16 v[46:49], v[42:43], v[66:67], v[46:49]
	v_mfma_f32_16x16x16f16 v[42:45], v[44:45], v[68:69], v[46:49]
	s_nop 7
	s_nop 1
	ds_read_b128 v[46:49], v75 offset:2048
	ds_read_b128 v[76:79], v75 offset:2064
	s_waitcnt vmcnt(13) lgkmcnt(1)
	v_mfma_f32_16x16x16f16 v[42:45], v[38:39], v[46:47], v[42:45]
	v_mfma_f32_16x16x16f16 v[38:41], v[40:41], v[48:49], v[42:45]
	s_waitcnt vmcnt(12) lgkmcnt(0)
	v_mfma_f32_16x16x16f16 v[38:41], v[34:35], v[76:77], v[38:41]
	v_mfma_f32_16x16x16f16 v[34:37], v[36:37], v[78:79], v[38:41]
	s_nop 7
	s_nop 1
	ds_read_b128 v[38:41], v75 offset:4096
	ds_read_b128 v[42:45], v75 offset:4112
	s_waitcnt vmcnt(11) lgkmcnt(1)
	v_mfma_f32_16x16x16f16 v[34:37], v[30:31], v[38:39], v[34:37]
	v_mfma_f32_16x16x16f16 v[30:33], v[32:33], v[40:41], v[34:37]
	s_waitcnt vmcnt(10) lgkmcnt(0)
	v_mfma_f32_16x16x16f16 v[30:33], v[26:27], v[42:43], v[30:33]
	v_mfma_f32_16x16x16f16 v[26:29], v[28:29], v[44:45], v[30:33]
	s_nop 7
	s_nop 1
	ds_read_b128 v[30:33], v75 offset:6144
	ds_read_b128 v[34:37], v75 offset:6160
	s_waitcnt lgkmcnt(0)
	s_barrier
	s_waitcnt vmcnt(9)
	v_mfma_f32_16x16x16f16 v[26:29], v[22:23], v[30:31], v[26:29]
	v_mfma_f32_16x16x16f16 v[22:25], v[24:25], v[32:33], v[26:29]
	s_waitcnt vmcnt(8)
	v_mfma_f32_16x16x16f16 v[22:25], v[18:19], v[34:35], v[22:25]
	v_mfma_f32_16x16x16f16 v[18:21], v[20:21], v[36:37], v[22:25]
	;; [unrolled: 3-line block ×4, first 2 shown]
	s_waitcnt vmcnt(5)
	v_mfma_f32_16x16x16f16 v[2:5], v[14:15], v[46:47], v[2:5]
	s_nop 7
	v_cvt_f16_f32_e32 v6, v18
	v_cvt_f16_f32_e32 v7, v19
	;; [unrolled: 1-line block ×4, first 2 shown]
	v_mfma_f32_16x16x16f16 v[2:5], v[16:17], v[48:49], v[2:5]
	s_waitcnt vmcnt(4)
	v_mfma_f32_16x16x16f16 v[2:5], v[10:11], v[76:77], v[2:5]
	v_mfma_f32_16x16x16f16 v[2:5], v[12:13], v[78:79], v[2:5]
	s_waitcnt vmcnt(3)
	v_mfma_f32_16x16x16f16 v[2:5], v[54:55], v[38:39], v[2:5]
	;; [unrolled: 3-line block ×5, first 2 shown]
	v_mfma_f32_16x16x16f16 v[2:5], v[60:61], v[36:37], v[2:5]
	s_nop 7
	s_nop 2
	v_cvt_f16_f32_e32 v10, v2
	v_cvt_f16_f32_e32 v11, v3
	v_cvt_f16_f32_e32 v12, v4
	v_cvt_f16_f32_e32 v5, v5
	v_pack_b32_f16 v2, v6, v7
	v_pack_b32_f16 v3, v8, v9
	;; [unrolled: 1-line block ×4, first 2 shown]
	ds_write2st64_b64 v74, v[2:3], v[4:5] offset1:1
	s_waitcnt lgkmcnt(0)
	s_barrier
	s_and_saveexec_b64 s[10:11], vcc
	s_cbranch_execz .LBB108_20
; %bb.18:
	v_lshlrev_b32_e32 v4, 6, v85
	v_lshlrev_b32_e32 v3, 4, v0
	v_lshl_or_b32 v0, v0, 10, v4
	v_lshlrev_b32_e32 v2, 5, v1
	v_and_b32_e32 v3, 16, v3
	v_and_b32_e32 v0, 0x1a00, v0
	v_or3_b32 v0, v0, v2, v3
	buffer_load_dword v2, off, s[44:47], 0  ; 4-byte Folded Reload
	s_load_dwordx2 s[10:11], s[4:5], 0x68
	s_lshl_b32 s4, s8, 7
	s_mul_i32 s2, s9, s6
	s_mul_hi_u32 s7, s2, s4
	s_mul_i32 s6, s2, s4
	s_lshl_b64 s[6:7], s[6:7], 1
	s_waitcnt lgkmcnt(0)
	s_add_u32 s5, s10, s6
	s_addc_u32 s6, s11, s7
	s_lshl_b32 s2, s26, 7
	s_lshl_b64 s[2:3], s[2:3], 1
	s_add_u32 s2, s5, s2
	ds_read_b128 v[4:7], v0 offset:256
	s_addc_u32 s3, s6, s3
	ds_read_b128 v[8:11], v0 offset:128
	ds_read_b128 v[12:15], v0
	v_add_u32_e32 v18, s27, v1
	v_mov_b32_e32 v3, s3
	s_waitcnt vmcnt(0)
	v_add_co_u32_e32 v2, vcc, s2, v2
	v_mad_u64_u32 v[16:17], s[2:3], v18, s4, 0
	v_addc_co_u32_e32 v3, vcc, 0, v3, vcc
	v_lshlrev_b64 v[16:17], 1, v[16:17]
	v_add_co_u32_e32 v16, vcc, v2, v16
	v_addc_co_u32_e32 v17, vcc, v3, v17, vcc
	s_waitcnt lgkmcnt(0)
	global_store_dwordx4 v[16:17], v[12:15], off
	s_nop 0
	v_add_u32_e32 v12, 4, v18
	v_mad_u64_u32 v[12:13], s[2:3], v12, s4, 0
	v_lshlrev_b64 v[12:13], 1, v[12:13]
	v_add_co_u32_e32 v12, vcc, v2, v12
	v_addc_co_u32_e32 v13, vcc, v3, v13, vcc
	global_store_dwordx4 v[12:13], v[8:11], off
	s_nop 0
	v_add_u32_e32 v8, 8, v18
	v_mad_u64_u32 v[8:9], s[2:3], v8, s4, 0
	v_lshlrev_b64 v[8:9], 1, v[8:9]
	v_add_co_u32_e32 v8, vcc, v2, v8
	v_addc_co_u32_e32 v9, vcc, v3, v9, vcc
	global_store_dwordx4 v[8:9], v[4:7], off
	s_and_b64 exec, exec, s[0:1]
	s_cbranch_execz .LBB108_20
; %bb.19:
	ds_read_b128 v[4:7], v0 offset:384
	v_add3_u32 v0, s27, v1, 12
	v_mad_u64_u32 v[0:1], s[0:1], v0, s4, 0
	v_lshlrev_b64 v[0:1], 1, v[0:1]
	v_add_co_u32_e32 v0, vcc, v2, v0
	v_addc_co_u32_e32 v1, vcc, v3, v1, vcc
	s_waitcnt lgkmcnt(0)
	global_store_dwordx4 v[0:1], v[4:7], off
.LBB108_20:
	s_endpgm
	.section	.rodata,"a",@progbits
	.p2align	6, 0x0
	.amdhsa_kernel _Z39paged_attention_ll4mi_QKV_mfma16_kernelIDF16_DF16_LN4vllm18Fp8KVCacheDataTypeE0EDF16_Li16ELi128ELi256ELb1ELi13EL8MFMAType0EEvPKT_PKT0_S8_ifPKiSA_SA_iPKfiiiPfSD_PS3_PT2_iSC_SC_
		.amdhsa_group_segment_fixed_size 8192
		.amdhsa_private_segment_fixed_size 8
		.amdhsa_kernarg_size 400
		.amdhsa_user_sgpr_count 6
		.amdhsa_user_sgpr_private_segment_buffer 1
		.amdhsa_user_sgpr_dispatch_ptr 0
		.amdhsa_user_sgpr_queue_ptr 0
		.amdhsa_user_sgpr_kernarg_segment_ptr 1
		.amdhsa_user_sgpr_dispatch_id 0
		.amdhsa_user_sgpr_flat_scratch_init 0
		.amdhsa_user_sgpr_kernarg_preload_length 0
		.amdhsa_user_sgpr_kernarg_preload_offset 0
		.amdhsa_user_sgpr_private_segment_size 0
		.amdhsa_uses_dynamic_stack 0
		.amdhsa_system_sgpr_private_segment_wavefront_offset 1
		.amdhsa_system_sgpr_workgroup_id_x 1
		.amdhsa_system_sgpr_workgroup_id_y 1
		.amdhsa_system_sgpr_workgroup_id_z 1
		.amdhsa_system_sgpr_workgroup_info 0
		.amdhsa_system_vgpr_workitem_id 0
		.amdhsa_next_free_vgpr 96
		.amdhsa_next_free_sgpr 48
		.amdhsa_accum_offset 96
		.amdhsa_reserve_vcc 1
		.amdhsa_reserve_flat_scratch 0
		.amdhsa_float_round_mode_32 0
		.amdhsa_float_round_mode_16_64 0
		.amdhsa_float_denorm_mode_32 3
		.amdhsa_float_denorm_mode_16_64 3
		.amdhsa_dx10_clamp 1
		.amdhsa_ieee_mode 1
		.amdhsa_fp16_overflow 0
		.amdhsa_tg_split 0
		.amdhsa_exception_fp_ieee_invalid_op 0
		.amdhsa_exception_fp_denorm_src 0
		.amdhsa_exception_fp_ieee_div_zero 0
		.amdhsa_exception_fp_ieee_overflow 0
		.amdhsa_exception_fp_ieee_underflow 0
		.amdhsa_exception_fp_ieee_inexact 0
		.amdhsa_exception_int_div_zero 0
	.end_amdhsa_kernel
	.section	.text._Z39paged_attention_ll4mi_QKV_mfma16_kernelIDF16_DF16_LN4vllm18Fp8KVCacheDataTypeE0EDF16_Li16ELi128ELi256ELb1ELi13EL8MFMAType0EEvPKT_PKT0_S8_ifPKiSA_SA_iPKfiiiPfSD_PS3_PT2_iSC_SC_,"axG",@progbits,_Z39paged_attention_ll4mi_QKV_mfma16_kernelIDF16_DF16_LN4vllm18Fp8KVCacheDataTypeE0EDF16_Li16ELi128ELi256ELb1ELi13EL8MFMAType0EEvPKT_PKT0_S8_ifPKiSA_SA_iPKfiiiPfSD_PS3_PT2_iSC_SC_,comdat
.Lfunc_end108:
	.size	_Z39paged_attention_ll4mi_QKV_mfma16_kernelIDF16_DF16_LN4vllm18Fp8KVCacheDataTypeE0EDF16_Li16ELi128ELi256ELb1ELi13EL8MFMAType0EEvPKT_PKT0_S8_ifPKiSA_SA_iPKfiiiPfSD_PS3_PT2_iSC_SC_, .Lfunc_end108-_Z39paged_attention_ll4mi_QKV_mfma16_kernelIDF16_DF16_LN4vllm18Fp8KVCacheDataTypeE0EDF16_Li16ELi128ELi256ELb1ELi13EL8MFMAType0EEvPKT_PKT0_S8_ifPKiSA_SA_iPKfiiiPfSD_PS3_PT2_iSC_SC_
                                        ; -- End function
	.section	.AMDGPU.csdata,"",@progbits
; Kernel info:
; codeLenInByte = 4980
; NumSgprs: 52
; NumVgprs: 96
; NumAgprs: 0
; TotalNumVgprs: 96
; ScratchSize: 8
; MemoryBound: 0
; FloatMode: 240
; IeeeMode: 1
; LDSByteSize: 8192 bytes/workgroup (compile time only)
; SGPRBlocks: 6
; VGPRBlocks: 11
; NumSGPRsForWavesPerEU: 52
; NumVGPRsForWavesPerEU: 96
; AccumOffset: 96
; Occupancy: 5
; WaveLimiterHint : 1
; COMPUTE_PGM_RSRC2:SCRATCH_EN: 1
; COMPUTE_PGM_RSRC2:USER_SGPR: 6
; COMPUTE_PGM_RSRC2:TRAP_HANDLER: 0
; COMPUTE_PGM_RSRC2:TGID_X_EN: 1
; COMPUTE_PGM_RSRC2:TGID_Y_EN: 1
; COMPUTE_PGM_RSRC2:TGID_Z_EN: 1
; COMPUTE_PGM_RSRC2:TIDIG_COMP_CNT: 0
; COMPUTE_PGM_RSRC3_GFX90A:ACCUM_OFFSET: 23
; COMPUTE_PGM_RSRC3_GFX90A:TG_SPLIT: 0
	.section	.text._Z39paged_attention_ll4mi_QKV_mfma16_kernelIDF16_DF16_LN4vllm18Fp8KVCacheDataTypeE0EDF16_Li16ELi128ELi256ELb1ELi14EL8MFMAType0EEvPKT_PKT0_S8_ifPKiSA_SA_iPKfiiiPfSD_PS3_PT2_iSC_SC_,"axG",@progbits,_Z39paged_attention_ll4mi_QKV_mfma16_kernelIDF16_DF16_LN4vllm18Fp8KVCacheDataTypeE0EDF16_Li16ELi128ELi256ELb1ELi14EL8MFMAType0EEvPKT_PKT0_S8_ifPKiSA_SA_iPKfiiiPfSD_PS3_PT2_iSC_SC_,comdat
	.protected	_Z39paged_attention_ll4mi_QKV_mfma16_kernelIDF16_DF16_LN4vllm18Fp8KVCacheDataTypeE0EDF16_Li16ELi128ELi256ELb1ELi14EL8MFMAType0EEvPKT_PKT0_S8_ifPKiSA_SA_iPKfiiiPfSD_PS3_PT2_iSC_SC_ ; -- Begin function _Z39paged_attention_ll4mi_QKV_mfma16_kernelIDF16_DF16_LN4vllm18Fp8KVCacheDataTypeE0EDF16_Li16ELi128ELi256ELb1ELi14EL8MFMAType0EEvPKT_PKT0_S8_ifPKiSA_SA_iPKfiiiPfSD_PS3_PT2_iSC_SC_
	.globl	_Z39paged_attention_ll4mi_QKV_mfma16_kernelIDF16_DF16_LN4vllm18Fp8KVCacheDataTypeE0EDF16_Li16ELi128ELi256ELb1ELi14EL8MFMAType0EEvPKT_PKT0_S8_ifPKiSA_SA_iPKfiiiPfSD_PS3_PT2_iSC_SC_
	.p2align	8
	.type	_Z39paged_attention_ll4mi_QKV_mfma16_kernelIDF16_DF16_LN4vllm18Fp8KVCacheDataTypeE0EDF16_Li16ELi128ELi256ELb1ELi14EL8MFMAType0EEvPKT_PKT0_S8_ifPKiSA_SA_iPKfiiiPfSD_PS3_PT2_iSC_SC_,@function
_Z39paged_attention_ll4mi_QKV_mfma16_kernelIDF16_DF16_LN4vllm18Fp8KVCacheDataTypeE0EDF16_Li16ELi128ELi256ELb1ELi14EL8MFMAType0EEvPKT_PKT0_S8_ifPKiSA_SA_iPKfiiiPfSD_PS3_PT2_iSC_SC_: ; @_Z39paged_attention_ll4mi_QKV_mfma16_kernelIDF16_DF16_LN4vllm18Fp8KVCacheDataTypeE0EDF16_Li16ELi128ELi256ELb1ELi14EL8MFMAType0EEvPKT_PKT0_S8_ifPKiSA_SA_iPKfiiiPfSD_PS3_PT2_iSC_SC_
; %bb.0:
	s_mov_b64 s[46:47], s[2:3]
	s_mov_b64 s[44:45], s[0:1]
	s_load_dwordx2 s[0:1], s[4:5], 0x30
	s_add_u32 s44, s44, s9
	s_addc_u32 s45, s45, 0
	s_mov_b32 s26, s7
	s_mov_b64 s[10:11], 0
	s_waitcnt lgkmcnt(0)
	s_cmp_lg_u64 s[0:1], 0
	s_cselect_b64 s[2:3], -1, 0
	s_and_b64 vcc, exec, s[2:3]
	s_cbranch_vccz .LBB109_7
; %bb.1:
	s_add_i32 s12, s6, 1
	s_mov_b32 s13, 0
	s_lshl_b64 s[14:15], s[12:13], 2
	s_add_u32 s14, s0, s14
	s_mov_b32 s7, s13
	s_addc_u32 s15, s1, s15
	s_lshl_b64 s[12:13], s[6:7], 2
	s_add_u32 s12, s0, s12
	s_addc_u32 s13, s1, s13
	s_load_dword s9, s[14:15], 0x0
	s_load_dword s16, s[12:13], 0x0
	s_waitcnt lgkmcnt(0)
	s_sub_i32 s9, s9, s16
	s_cmp_eq_u32 s9, 1
	s_cselect_b64 s[12:13], -1, 0
	s_andn2_b64 vcc, exec, s[10:11]
	s_cbranch_vccnz .LBB109_3
.LBB109_2:
	s_mov_b32 s7, 0
	s_mov_b64 s[12:13], -1
.LBB109_3:
	s_andn2_b64 vcc, exec, s[12:13]
	s_cbranch_vccnz .LBB109_20
; %bb.4:
	s_load_dwordx2 s[12:13], s[4:5], 0x28
	s_lshl_b64 s[10:11], s[6:7], 2
	s_waitcnt lgkmcnt(0)
	s_add_u32 s12, s12, s10
	s_addc_u32 s13, s13, s11
	s_load_dword s33, s[12:13], 0x0
	s_lshl_b32 s16, s26, 8
	s_waitcnt lgkmcnt(0)
	s_cmp_ge_i32 s16, s33
	s_cbranch_scc1 .LBB109_20
; %bb.5:
	s_add_i32 s14, s33, 15
	s_load_dwordx2 s[12:13], s[4:5], 0x20
	s_load_dword s9, s[4:5], 0x38
	s_ashr_i32 s15, s14, 31
	v_and_b32_e32 v1, 0xcf, v0
	s_lshr_b32 s15, s15, 28
	v_add_u32_e32 v1, s16, v1
	s_add_i32 s14, s14, s15
	v_ashrrev_i32_e32 v2, 31, v1
	s_ashr_i32 s19, s14, 4
	v_lshrrev_b32_e32 v4, 28, v2
	s_add_i32 s19, s19, -1
	v_add_u32_e32 v2, v1, v4
	s_waitcnt lgkmcnt(0)
	s_mul_i32 s14, s6, s9
	s_mov_b32 s15, 0
	v_ashrrev_i32_e32 v2, 4, v2
	v_mov_b32_e32 v5, s19
	v_cmp_gt_i32_e32 vcc, s33, v1
	s_lshl_b64 s[14:15], s[14:15], 2
	v_cndmask_b32_e32 v2, v5, v2, vcc
	s_add_u32 s17, s12, s14
	v_ashrrev_i32_e32 v3, 31, v2
	s_addc_u32 s18, s13, s15
	v_lshlrev_b64 v[2:3], 2, v[2:3]
	v_mov_b32_e32 v7, s18
	v_add_co_u32_e32 v6, vcc, s17, v2
	v_or_b32_e32 v2, 16, v1
	v_addc_co_u32_e32 v7, vcc, v7, v3, vcc
	v_add_u32_e32 v3, v2, v4
	v_ashrrev_i32_e32 v3, 4, v3
	v_cmp_gt_i32_e32 vcc, s33, v2
	v_cndmask_b32_e32 v2, v5, v3, vcc
	v_ashrrev_i32_e32 v3, 31, v2
	v_lshlrev_b64 v[2:3], 2, v[2:3]
	v_mov_b32_e32 v9, s18
	v_add_co_u32_e32 v8, vcc, s17, v2
	v_or_b32_e32 v2, 32, v1
	v_addc_co_u32_e32 v9, vcc, v9, v3, vcc
	v_add_u32_e32 v3, v2, v4
	v_ashrrev_i32_e32 v3, 4, v3
	v_cmp_gt_i32_e32 vcc, s33, v2
	v_cndmask_b32_e32 v2, v5, v3, vcc
	v_ashrrev_i32_e32 v3, 31, v2
	;; [unrolled: 10-line block ×3, first 2 shown]
	v_lshlrev_b64 v[2:3], 2, v[2:3]
	v_mov_b32_e32 v1, s18
	v_add_co_u32_e32 v12, vcc, s17, v2
	v_addc_co_u32_e32 v13, vcc, v1, v3, vcc
	global_load_dword v5, v[6:7], off
	global_load_dword v4, v[8:9], off
	;; [unrolled: 1-line block ×4, first 2 shown]
	s_load_dwordx2 s[12:13], s[4:5], 0x8
	s_andn2_b64 vcc, exec, s[2:3]
	s_cbranch_vccnz .LBB109_8
; %bb.6:
	s_add_u32 s0, s0, s10
	s_addc_u32 s1, s1, s11
	s_load_dword s9, s[0:1], 0x0
	s_branch .LBB109_9
.LBB109_7:
	s_mov_b64 s[12:13], 0
	s_branch .LBB109_2
.LBB109_8:
	s_mov_b32 s9, s6
.LBB109_9:
	s_load_dwordx2 s[10:11], s[4:5], 0x10
	s_load_dwordx4 s[0:3], s[4:5], 0x48
	v_lshrrev_b32_e32 v87, 6, v0
	v_bfe_u32 v1, v0, 4, 2
	v_and_b32_e32 v85, 15, v0
	v_lshl_or_b32 v6, v87, 2, v1
	v_lshlrev_b32_e32 v7, 3, v85
	s_mul_i32 s27, s8, 14
	v_cmp_gt_u32_e32 vcc, 14, v6
	v_lshlrev_b32_e32 v7, 1, v7
	buffer_store_dword v7, off, s[44:47], 0 ; 4-byte Folded Spill
	s_and_saveexec_b64 s[14:15], vcc
	s_cbranch_execz .LBB109_11
; %bb.10:
	s_load_dwordx2 s[20:21], s[4:5], 0x0
	s_waitcnt lgkmcnt(0)
	s_ashr_i32 s3, s0, 31
	s_mul_hi_u32 s22, s9, s0
	s_mul_i32 s3, s9, s3
	s_add_i32 s23, s22, s3
	s_mul_i32 s22, s9, s0
	s_lshl_b64 s[22:23], s[22:23], 1
	v_add_lshl_u32 v8, v6, s27, 7
	s_add_u32 s0, s20, s22
	v_ashrrev_i32_e32 v9, 31, v8
	s_addc_u32 s3, s21, s23
	v_lshlrev_b64 v[8:9], 1, v[8:9]
	v_mov_b32_e32 v7, s3
	v_add_co_u32_e32 v8, vcc, s0, v8
	v_addc_co_u32_e32 v7, vcc, v7, v9, vcc
	buffer_load_dword v9, off, s[44:47], 0  ; 4-byte Folded Reload
	v_lshlrev_b32_e32 v12, 9, v85
	v_lshlrev_b32_e32 v6, 5, v6
	v_and_b32_e32 v12, 0x1800, v12
	s_waitcnt vmcnt(0)
	v_add_co_u32_e32 v8, vcc, v8, v9
	v_addc_co_u32_e32 v9, vcc, 0, v7, vcc
	global_load_dwordx4 v[8:11], v[8:9], off
	v_and_b32_e32 v7, 3, v0
	v_lshlrev_b32_e32 v7, 9, v7
	v_or3_b32 v6, v12, v7, v6
	s_waitcnt vmcnt(0)
	ds_write_b128 v6, v[8:11]
.LBB109_11:
	s_or_b64 exec, exec, s[14:15]
	s_waitcnt lgkmcnt(0)
	s_mul_i32 s2, s8, s2
	s_mov_b32 s3, 0
	s_lshl_b64 s[2:3], s[2:3], 1
	s_add_u32 s0, s12, s2
	v_lshlrev_b32_e32 v10, 4, v0
	s_addc_u32 s8, s13, s3
	v_and_b32_e32 v6, 0xf0, v10
	v_mov_b32_e32 v7, s8
	v_add_co_u32_e32 v8, vcc, s0, v6
	v_addc_co_u32_e32 v9, vcc, 0, v7, vcc
	s_waitcnt vmcnt(4)
	v_mad_i64_i32 v[6:7], s[8:9], v5, s1, 0
	v_lshlrev_b64 v[6:7], 1, v[6:7]
	v_add_co_u32_e32 v5, vcc, v8, v6
	v_addc_co_u32_e32 v7, vcc, v9, v7, vcc
	v_and_b32_e32 v10, 0x300, v10
	v_add_co_u32_e32 v6, vcc, v5, v10
	s_waitcnt vmcnt(3)
	v_mad_i64_i32 v[4:5], s[8:9], v4, s1, 0
	v_addc_co_u32_e32 v7, vcc, 0, v7, vcc
	v_lshlrev_b64 v[4:5], 1, v[4:5]
	v_add_co_u32_e32 v4, vcc, v8, v4
	v_addc_co_u32_e32 v5, vcc, v9, v5, vcc
	v_add_co_u32_e32 v4, vcc, v4, v10
	v_addc_co_u32_e32 v5, vcc, 0, v5, vcc
	s_barrier
	global_load_dwordx4 v[74:77], v[6:7], off
	global_load_dwordx4 v[66:69], v[6:7], off offset:1024
	global_load_dwordx4 v[58:61], v[6:7], off offset:2048
	global_load_dwordx4 v[42:45], v[6:7], off offset:3072
	global_load_dwordx4 v[78:81], v[4:5], off
	global_load_dwordx4 v[70:73], v[4:5], off offset:1024
	global_load_dwordx4 v[62:65], v[4:5], off offset:2048
	;; [unrolled: 1-line block ×3, first 2 shown]
	s_waitcnt vmcnt(10)
	v_mad_i64_i32 v[4:5], s[8:9], v3, s1, 0
	v_lshlrev_b64 v[4:5], 1, v[4:5]
	v_add_co_u32_e32 v3, vcc, v8, v4
	v_addc_co_u32_e32 v5, vcc, v9, v5, vcc
	v_add_co_u32_e32 v4, vcc, v3, v10
	s_waitcnt vmcnt(9)
	v_mad_i64_i32 v[2:3], s[8:9], v2, s1, 0
	v_addc_co_u32_e32 v5, vcc, 0, v5, vcc
	v_lshlrev_b64 v[2:3], 1, v[2:3]
	v_add_co_u32_e32 v2, vcc, v8, v2
	v_addc_co_u32_e32 v3, vcc, v9, v3, vcc
	v_add_co_u32_e32 v6, vcc, v2, v10
	v_addc_co_u32_e32 v7, vcc, 0, v3, vcc
	global_load_dwordx4 v[38:41], v[4:5], off
	global_load_dwordx4 v[34:37], v[4:5], off offset:1024
	global_load_dwordx4 v[30:33], v[4:5], off offset:2048
	;; [unrolled: 1-line block ×3, first 2 shown]
	global_load_dwordx4 v[18:21], v[6:7], off
	global_load_dwordx4 v[10:13], v[6:7], off offset:1024
	s_nop 0
	global_load_dwordx4 v[2:5], v[6:7], off offset:2048
	global_load_dwordx4 v[50:53], v[6:7], off offset:3072
	v_add_u32_e32 v6, -14, v85
	v_cmp_gt_u32_e32 vcc, 14, v85
	v_cndmask_b32_e32 v6, v6, v85, vcc
	v_lshlrev_b32_e32 v6, 5, v6
	v_lshl_add_u32 v54, v1, 9, v6
	ds_read_b128 v[26:29], v54
	ds_read_b128 v[14:17], v54 offset:2048
	ds_read_b128 v[6:9], v54 offset:4096
	;; [unrolled: 1-line block ×3, first 2 shown]
	v_and_b32_e32 v88, 63, v0
	v_mov_b32_e32 v89, 0
	s_and_saveexec_b64 s[8:9], vcc
	s_cbranch_execz .LBB109_13
; %bb.12:
	s_load_dwordx2 s[12:13], s[4:5], 0x40
	v_add_u32_e32 v82, s27, v85
	v_ashrrev_i32_e32 v83, 31, v82
	v_lshlrev_b64 v[82:83], 2, v[82:83]
	s_waitcnt lgkmcnt(0)
	v_mov_b32_e32 v89, s13
	v_add_co_u32_e32 v82, vcc, s12, v82
	v_addc_co_u32_e32 v83, vcc, v89, v83, vcc
	global_load_dword v89, v[82:83], off
.LBB109_13:
	s_or_b64 exec, exec, s[8:9]
	s_waitcnt vmcnt(15) lgkmcnt(3)
	v_mfma_f32_16x16x16f16 v[90:93], v[74:75], v[26:27], 0
	s_add_u32 s8, s10, s2
	s_addc_u32 s9, s11, s3
	s_load_dword s0, s[4:5], 0x1c
	s_mov_b32 s40, 0xff7fffff
	v_mfma_f32_16x16x16f16 v[74:77], v[76:77], v[28:29], v[90:93]
	s_waitcnt vmcnt(14) lgkmcnt(0)
	v_mfma_f32_16x16x16f16 v[74:77], v[66:67], v[14:15], v[74:77]
	s_nop 4
	v_lshl_or_b32 v90, v87, 4, v85
	v_mfma_f32_16x16x16f16 v[66:69], v[68:69], v[16:17], v[74:77]
	s_waitcnt vmcnt(13)
	v_mfma_f32_16x16x16f16 v[66:69], v[58:59], v[6:7], v[66:69]
	s_nop 4
	v_lshlrev_b32_e32 v76, 5, v90
	v_mfma_f32_16x16x16f16 v[58:61], v[60:61], v[8:9], v[66:69]
	s_waitcnt vmcnt(12)
	v_mfma_f32_16x16x16f16 v[58:61], v[42:43], v[54:55], v[58:61]
	s_nop 4
	v_mov_b32_e32 v66, s18
	v_mfma_f32_16x16x16f16 v[58:61], v[44:45], v[56:57], v[58:61]
	s_waitcnt vmcnt(11)
	v_mfma_f32_16x16x16f16 v[42:45], v[78:79], v[26:27], 0
	s_nop 7
	s_nop 0
	v_pk_mul_f32 v[58:59], s[0:1], v[58:59] op_sel_hi:[0,1]
	v_mfma_f32_16x16x16f16 v[42:45], v[80:81], v[28:29], v[42:45]
	s_waitcnt vmcnt(10)
	v_mfma_f32_16x16x16f16 v[42:45], v[70:71], v[14:15], v[42:45]
	v_mfma_f32_16x16x16f16 v[42:45], v[72:73], v[16:17], v[42:45]
	s_waitcnt vmcnt(9)
	v_mfma_f32_16x16x16f16 v[42:45], v[62:63], v[6:7], v[42:45]
	;; [unrolled: 3-line block ×3, first 2 shown]
	v_mfma_f32_16x16x16f16 v[62:65], v[48:49], v[56:57], v[42:45]
	v_and_or_b32 v48, v0, 48, s16
	v_mov_b32_e32 v49, s19
	v_cmp_gt_i32_e32 vcc, s33, v48
	s_waitcnt vmcnt(7)
	v_mfma_f32_16x16x16f16 v[42:45], v[38:39], v[26:27], 0
	v_ashrrev_i32_e32 v38, 4, v48
	v_cndmask_b32_e32 v38, v49, v38, vcc
	v_ashrrev_i32_e32 v39, 31, v38
	v_lshlrev_b64 v[46:47], 2, v[38:39]
	v_mfma_f32_16x16x16f16 v[38:41], v[40:41], v[28:29], v[42:45]
	s_nop 6
	v_add_co_u32_e32 v42, vcc, s17, v46
	v_addc_co_u32_e32 v43, vcc, v66, v47, vcc
	global_load_dword v44, v[42:43], off
	v_or_b32_e32 v42, 64, v48
	v_ashrrev_i32_e32 v43, 4, v42
	v_cmp_gt_i32_e32 vcc, s33, v42
	v_cndmask_b32_e32 v42, v49, v43, vcc
	s_waitcnt vmcnt(7)
	v_mfma_f32_16x16x16f16 v[38:41], v[34:35], v[14:15], v[38:41]
	v_ashrrev_i32_e32 v43, 31, v42
	v_lshlrev_b64 v[34:35], 2, v[42:43]
	v_mov_b32_e32 v42, s18
	v_add_co_u32_e32 v34, vcc, s17, v34
	v_addc_co_u32_e32 v35, vcc, v42, v35, vcc
	global_load_dword v72, v[34:35], off
	v_mfma_f32_16x16x16f16 v[34:37], v[36:37], v[16:17], v[38:41]
	s_nop 6
	v_or_b32_e32 v38, 0x80, v48
	v_ashrrev_i32_e32 v39, 4, v38
	v_cmp_gt_i32_e32 vcc, s33, v38
	v_cndmask_b32_e32 v38, v49, v39, vcc
	v_ashrrev_i32_e32 v39, 31, v38
	v_lshlrev_b64 v[38:39], 2, v[38:39]
	v_mov_b32_e32 v40, s18
	s_waitcnt vmcnt(7)
	v_mfma_f32_16x16x16f16 v[34:37], v[30:31], v[6:7], v[34:37]
	v_add_co_u32_e32 v30, vcc, s17, v38
	v_addc_co_u32_e32 v31, vcc, v40, v39, vcc
	global_load_dword v74, v[30:31], off
	v_or_b32_e32 v30, 0xc0, v48
	v_ashrrev_i32_e32 v31, 4, v30
	v_cmp_gt_i32_e32 vcc, s33, v30
	v_cndmask_b32_e32 v38, v49, v31, vcc
	v_ashrrev_i32_e32 v39, 31, v38
	v_mfma_f32_16x16x16f16 v[30:33], v[32:33], v[8:9], v[34:37]
	s_nop 6
	v_lshlrev_b64 v[34:35], 2, v[38:39]
	v_mov_b32_e32 v36, s18
	v_add_co_u32_e32 v34, vcc, s17, v34
	v_addc_co_u32_e32 v35, vcc, v36, v35, vcc
	global_load_dword v75, v[34:35], off
	s_waitcnt vmcnt(8)
	v_mfma_f32_16x16x16f16 v[30:33], v[22:23], v[54:55], v[30:33]
	v_mov_b32_e32 v22, s9
	v_add_co_u32_e32 v77, vcc, s8, v76
	v_addc_co_u32_e32 v78, vcc, 0, v22, vcc
	s_waitcnt vmcnt(3)
	v_mad_i64_i32 v[22:23], s[2:3], v44, s1, 0
	v_mfma_f32_16x16x16f16 v[66:69], v[24:25], v[56:57], v[30:33]
	v_lshlrev_b64 v[70:71], 1, v[22:23]
	v_mfma_f32_16x16x16f16 v[22:25], v[18:19], v[26:27], 0
	v_add_co_u32_e32 v18, vcc, v77, v70
	v_addc_co_u32_e32 v19, vcc, v78, v71, vcc
	global_load_dwordx4 v[46:49], v[18:19], off
	global_load_dwordx4 v[42:45], v[18:19], off offset:16
	s_waitcnt vmcnt(4)
	v_mad_i64_i32 v[18:19], s[2:3], v72, s1, 0
	v_lshlrev_b64 v[72:73], 1, v[18:19]
	v_mfma_f32_16x16x16f16 v[18:21], v[20:21], v[28:29], v[22:25]
	v_mfma_f32_16x16x16f16 v[18:21], v[10:11], v[14:15], v[18:21]
	s_nop 5
	v_add_co_u32_e32 v22, vcc, v77, v72
	v_addc_co_u32_e32 v23, vcc, v78, v73, vcc
	global_load_dwordx4 v[38:41], v[22:23], off
	global_load_dwordx4 v[34:37], v[22:23], off offset:16
	s_waitcnt vmcnt(5)
	v_mad_i64_i32 v[22:23], s[2:3], v74, s1, 0
	v_lshlrev_b64 v[82:83], 1, v[22:23]
	v_add_co_u32_e32 v10, vcc, v77, v82
	v_addc_co_u32_e32 v11, vcc, v78, v83, vcc
	global_load_dwordx4 v[30:33], v[10:11], off
	global_load_dwordx4 v[26:29], v[10:11], off offset:16
	v_mfma_f32_16x16x16f16 v[10:13], v[12:13], v[16:17], v[18:21]
	s_waitcnt vmcnt(6)
	v_mad_i64_i32 v[14:15], s[2:3], v75, s1, 0
	v_mfma_f32_16x16x16f16 v[10:13], v[2:3], v[6:7], v[10:13]
	v_lshlrev_b64 v[80:81], 1, v[14:15]
	v_add_co_u32_e32 v14, vcc, v77, v80
	v_addc_co_u32_e32 v15, vcc, v78, v81, vcc
	v_or_b32_e32 v2, 0x800, v76
	v_mov_b32_e32 v3, s9
	v_mfma_f32_16x16x16f16 v[10:13], v[4:5], v[8:9], v[10:13]
	v_add_co_u32_e32 v91, vcc, s8, v2
	v_addc_co_u32_e32 v84, vcc, 0, v3, vcc
	v_add_co_u32_e32 v2, vcc, v91, v70
	v_addc_co_u32_e32 v3, vcc, v84, v71, vcc
	v_mfma_f32_16x16x16f16 v[92:95], v[50:51], v[54:55], v[10:13]
	v_add_co_u32_e32 v70, vcc, v91, v72
	v_addc_co_u32_e32 v71, vcc, v84, v73, vcc
	global_load_dwordx4 v[22:25], v[14:15], off
	global_load_dwordx4 v[18:21], v[14:15], off offset:16
	global_load_dwordx4 v[6:9], v[2:3], off
	s_nop 0
	global_load_dwordx4 v[2:5], v[2:3], off offset:16
	s_nop 0
	global_load_dwordx4 v[14:17], v[70:71], off
	global_load_dwordx4 v[10:13], v[70:71], off offset:16
	v_mfma_f32_16x16x16f16 v[50:53], v[52:53], v[56:57], v[92:95]
	v_pk_mul_f32 v[70:71], s[0:1], v[68:69] op_sel_hi:[0,1]
	v_pk_mul_f32 v[72:73], s[0:1], v[66:67] op_sel_hi:[0,1]
	;; [unrolled: 1-line block ×5, first 2 shown]
	s_nop 5
	v_pk_mul_f32 v[68:69], s[0:1], v[50:51] op_sel_hi:[0,1]
	v_and_b32_e32 v50, 0xc0, v0
	v_add_u32_e32 v50, s16, v50
	v_lshl_or_b32 v50, v1, 2, v50
	v_or_b32_e32 v51, 1, v50
	v_pk_mul_f32 v[66:67], s[0:1], v[52:53] op_sel_hi:[0,1]
	v_subrev_u32_e32 v52, s33, v51
	v_add_u32_e32 v54, 1, v52
	v_add_u32_e32 v55, 2, v52
	v_cvt_f32_i32_e32 v53, v52
	v_cvt_f32_i32_e32 v54, v54
	;; [unrolled: 1-line block ×3, first 2 shown]
	v_add_u32_e32 v56, 3, v52
	v_fma_f32 v58, v89, v53, v58
	v_fmac_f32_e32 v59, v89, v54
	v_fma_f32 v78, v89, v55, v78
	v_add_u32_e32 v53, 16, v52
	v_add_u32_e32 v54, 17, v52
	;; [unrolled: 1-line block ×3, first 2 shown]
	v_cvt_f32_i32_e32 v56, v56
	v_cvt_f32_i32_e32 v53, v53
	v_cvt_f32_i32_e32 v54, v54
	v_cvt_f32_i32_e32 v55, v55
	v_fmac_f32_e32 v79, v89, v56
	v_add_u32_e32 v56, 19, v52
	v_fma_f32 v76, v89, v53, v76
	v_fmac_f32_e32 v77, v89, v54
	v_fma_f32 v74, v89, v55, v74
	v_add_u32_e32 v53, 32, v52
	v_add_u32_e32 v54, 33, v52
	v_add_u32_e32 v55, 34, v52
	v_cvt_f32_i32_e32 v56, v56
	v_cvt_f32_i32_e32 v53, v53
	;; [unrolled: 1-line block ×4, first 2 shown]
	v_fmac_f32_e32 v75, v89, v56
	v_add_u32_e32 v56, 35, v52
	v_fma_f32 v72, v89, v53, v72
	v_fmac_f32_e32 v73, v89, v54
	v_fma_f32 v70, v89, v55, v70
	v_add_u32_e32 v53, 48, v52
	v_add_u32_e32 v54, 49, v52
	;; [unrolled: 1-line block ×4, first 2 shown]
	v_cvt_f32_i32_e32 v52, v52
	v_cvt_f32_i32_e32 v53, v53
	v_cvt_f32_i32_e32 v54, v54
	v_cmp_gt_i32_e64 s[28:29], s33, v50
	v_fmac_f32_e32 v67, v89, v52
	v_mov_b32_e32 v52, 0xff7fffff
	v_cmp_gt_i32_e64 s[30:31], s33, v51
	v_fma_f32 v68, v89, v53, v68
	v_cndmask_b32_e64 v53, v52, v58, s[28:29]
	v_cndmask_b32_e64 v51, v52, v59, s[30:31]
	v_fmac_f32_e32 v69, v89, v54
	v_max3_f32 v51, v53, s40, v51
	v_or_b32_e32 v53, 2, v50
	v_or_b32_e32 v54, 3, v50
	v_cmp_gt_i32_e64 s[34:35], s33, v53
	v_cmp_gt_i32_e64 s[36:37], s33, v54
	v_cndmask_b32_e64 v53, v52, v78, s[34:35]
	v_cndmask_b32_e64 v54, v52, v79, s[36:37]
	v_max3_f32 v51, v51, v53, v54
	v_or_b32_e32 v53, 16, v50
	v_or_b32_e32 v54, 17, v50
	v_cmp_gt_i32_e64 s[22:23], s33, v53
	v_cmp_gt_i32_e64 s[24:25], s33, v54
	v_cndmask_b32_e64 v53, v52, v76, s[22:23]
	v_cndmask_b32_e64 v54, v52, v77, s[24:25]
	;; [unrolled: 7-line block ×3, first 2 shown]
	v_cvt_f32_i32_e32 v56, v56
	v_max3_f32 v51, v51, v53, v54
	v_or_b32_e32 v53, 32, v50
	v_or_b32_e32 v54, 33, v50
	v_cmp_gt_i32_e64 s[14:15], s33, v53
	v_cmp_gt_i32_e64 s[16:17], s33, v54
	v_cndmask_b32_e64 v53, v52, v72, s[14:15]
	v_cndmask_b32_e64 v54, v52, v73, s[16:17]
	v_max3_f32 v51, v51, v53, v54
	v_or_b32_e32 v53, 34, v50
	v_or_b32_e32 v54, 35, v50
	v_fmac_f32_e32 v71, v89, v56
	v_cmp_gt_i32_e64 s[10:11], s33, v53
	v_cmp_gt_i32_e64 s[12:13], s33, v54
	v_cndmask_b32_e64 v53, v52, v70, s[10:11]
	v_cndmask_b32_e64 v54, v52, v71, s[12:13]
	v_cvt_f32_i32_e32 v55, v55
	v_max3_f32 v51, v51, v53, v54
	v_or_b32_e32 v53, 48, v50
	v_or_b32_e32 v54, 49, v50
	v_cmp_gt_i32_e64 s[2:3], s33, v53
	v_cmp_gt_i32_e64 s[8:9], s33, v54
	v_cndmask_b32_e64 v53, v52, v68, s[2:3]
	v_cndmask_b32_e64 v54, v52, v69, s[8:9]
	v_max3_f32 v51, v51, v53, v54
	v_or_b32_e32 v53, 50, v50
	v_or_b32_e32 v50, 51, v50
	v_fma_f32 v66, v89, v55, v66
	v_cmp_gt_i32_e32 vcc, s33, v53
	v_cmp_gt_i32_e64 s[0:1], s33, v50
	v_cndmask_b32_e32 v53, v52, v66, vcc
	v_cndmask_b32_e64 v50, v52, v67, s[0:1]
	v_max3_f32 v60, v51, v53, v50
	v_mbcnt_lo_u32_b32 v50, -1, 0
	v_mbcnt_hi_u32_b32 v61, -1, v50
	v_and_b32_e32 v50, 64, v61
	v_add_u32_e32 v62, 64, v50
	v_xor_b32_e32 v50, 32, v61
	v_cmp_lt_i32_e64 s[38:39], v50, v62
	v_cndmask_b32_e64 v50, v61, v50, s[38:39]
	v_lshlrev_b32_e32 v89, 2, v50
	ds_bpermute_b32 v63, v89, v60
	v_add_co_u32_e64 v50, s[38:39], v91, v82
	v_addc_co_u32_e64 v51, s[38:39], v84, v83, s[38:39]
	s_waitcnt lgkmcnt(0)
	v_max_f32_e32 v63, v63, v63
	v_max_f32_e32 v63, v60, v63
	v_xor_b32_e32 v60, 16, v61
	v_cmp_lt_i32_e64 s[38:39], v60, v62
	v_cndmask_b32_e64 v60, v61, v60, s[38:39]
	v_lshlrev_b32_e32 v92, 2, v60
	ds_bpermute_b32 v62, v92, v63
	v_add_co_u32_e64 v60, s[38:39], v91, v80
	v_addc_co_u32_e64 v61, s[38:39], v84, v81, s[38:39]
	s_waitcnt lgkmcnt(0)
	v_max_f32_e32 v62, v62, v62
	v_max_f32_e32 v82, v63, v62
	v_sub_f32_e32 v58, v58, v82
	v_mul_f32_e32 v58, 0x3fb8aa3b, v58
	v_exp_f32_e32 v80, v58
	v_sub_f32_e32 v58, v59, v82
	v_mul_f32_e32 v58, 0x3fb8aa3b, v58
	global_load_dwordx4 v[54:57], v[50:51], off
	s_nop 0
	global_load_dwordx4 v[50:53], v[50:51], off offset:16
	v_exp_f32_e32 v81, v58
	global_load_dwordx4 v[62:65], v[60:61], off
	s_nop 0
	global_load_dwordx4 v[58:61], v[60:61], off offset:16
	v_sub_f32_e32 v78, v78, v82
	v_mul_f32_e32 v78, 0x3fb8aa3b, v78
	v_sub_f32_e32 v79, v79, v82
	v_exp_f32_e32 v78, v78
	v_mul_f32_e32 v79, 0x3fb8aa3b, v79
	v_sub_f32_e32 v76, v76, v82
	v_exp_f32_e32 v79, v79
	v_mul_f32_e32 v76, 0x3fb8aa3b, v76
	v_sub_f32_e32 v77, v77, v82
	v_cndmask_b32_e64 v80, 0, v80, s[28:29]
	v_exp_f32_e32 v76, v76
	v_mul_f32_e32 v77, 0x3fb8aa3b, v77
	v_sub_f32_e32 v74, v74, v82
	v_add_f32_e32 v83, 0, v80
	v_cndmask_b32_e64 v81, 0, v81, s[30:31]
	v_exp_f32_e32 v77, v77
	v_mul_f32_e32 v74, 0x3fb8aa3b, v74
	v_sub_f32_e32 v75, v75, v82
	v_add_f32_e32 v83, v83, v81
	;; [unrolled: 5-line block ×10, first 2 shown]
	v_cndmask_b32_e64 v70, 0, v70, s[10:11]
	v_exp_f32_e32 v66, v66
	v_mul_f32_e32 v67, 0x3fb8aa3b, v67
	v_add_f32_e32 v83, v83, v70
	v_cndmask_b32_e64 v71, 0, v71, s[12:13]
	v_exp_f32_e32 v67, v67
	v_add_f32_e32 v83, v83, v71
	v_cndmask_b32_e64 v68, 0, v68, s[2:3]
	v_add_f32_e32 v83, v83, v68
	v_cndmask_b32_e64 v69, 0, v69, s[8:9]
	v_add_f32_e32 v83, v83, v69
	v_cndmask_b32_e32 v66, 0, v66, vcc
	v_add_f32_e32 v83, v83, v66
	v_cndmask_b32_e64 v67, 0, v67, s[0:1]
	v_add_f32_e32 v83, v83, v67
	ds_bpermute_b32 v84, v89, v83
	s_load_dword s3, s[4:5], 0x98
	v_cmp_gt_u32_e32 vcc, 16, v88
	s_waitcnt lgkmcnt(0)
	s_barrier
	v_add_f32_e32 v83, v83, v84
	ds_bpermute_b32 v89, v92, v83
	s_waitcnt lgkmcnt(0)
	s_and_saveexec_b64 s[0:1], vcc
	s_cbranch_execz .LBB109_15
; %bb.14:
	v_add_f32_e32 v83, v83, v89
	v_lshlrev_b32_e32 v84, 2, v90
	ds_write2st64_b32 v84, v82, v83 offset1:1
.LBB109_15:
	s_or_b64 exec, exec, s[0:1]
	v_lshlrev_b32_e32 v83, 2, v85
	s_load_dword s2, s[4:5], 0x94
	s_waitcnt lgkmcnt(0)
	s_barrier
	ds_read2_b32 v[88:89], v83 offset1:16
	ds_read2_b32 v[90:91], v83 offset0:32 offset1:48
	ds_read2_b32 v[92:93], v83 offset0:64 offset1:80
	s_mul_i32 s3, s3, 14
	s_waitcnt lgkmcnt(2)
	v_max3_f32 v82, v88, s40, v89
	s_waitcnt lgkmcnt(1)
	v_max3_f32 v82, v82, v90, v91
	v_sub_f32_e32 v84, v88, v82
	v_sub_f32_e32 v88, v89, v82
	v_mul_f32_e32 v88, 0x3fb8aa3b, v88
	v_mul_f32_e32 v84, 0x3fb8aa3b, v84
	v_exp_f32_e32 v94, v88
	v_sub_f32_e32 v88, v90, v82
	v_exp_f32_e32 v84, v84
	v_mul_f32_e32 v88, 0x3fb8aa3b, v88
	v_exp_f32_e32 v90, v88
	ds_read2_b32 v[88:89], v83 offset0:96 offset1:112
	v_sub_f32_e32 v83, v91, v82
	v_mul_f32_e32 v83, 0x3fb8aa3b, v83
	v_exp_f32_e32 v91, v83
	s_waitcnt lgkmcnt(1)
	v_fma_f32 v83, v84, v92, 0
	v_fmac_f32_e32 v83, v94, v93
	s_waitcnt lgkmcnt(0)
	v_fmac_f32_e32 v83, v90, v88
	v_fmac_f32_e32 v83, v91, v89
	v_add_f32_e32 v88, 0x358637bd, v83
	v_div_scale_f32 v89, s[0:1], v88, v88, 1.0
	v_rcp_f32_e32 v92, v89
	s_barrier
	v_fma_f32 v93, -v89, v92, 1.0
	v_fmac_f32_e32 v92, v93, v92
	v_div_scale_f32 v93, vcc, 1.0, v88, 1.0
	v_mul_f32_e32 v95, v93, v92
	v_fma_f32 v86, -v89, v95, v93
	v_fmac_f32_e32 v95, v86, v92
	v_fma_f32 v86, -v89, v95, v93
	v_div_fmas_f32 v86, v86, v92, v95
	v_cmp_eq_u32_e32 vcc, 1, v87
	v_cndmask_b32_e32 v84, v84, v94, vcc
	v_cmp_eq_u32_e32 vcc, 2, v87
	v_cndmask_b32_e32 v84, v84, v90, vcc
	v_cmp_eq_u32_e32 vcc, 3, v87
	v_div_fixup_f32 v86, v86, v88, 1.0
	v_cndmask_b32_e32 v84, v84, v91, vcc
	v_mul_f32_e32 v88, v84, v86
	v_pk_mul_f32 v[78:79], v[88:89], v[78:79] op_sel_hi:[0,1]
	v_pk_mul_f32 v[80:81], v[88:89], v[80:81] op_sel_hi:[0,1]
	v_cvt_f16_f32_e32 v80, v80
	v_cvt_f16_f32_e32 v81, v81
	;; [unrolled: 1-line block ×4, first 2 shown]
	v_pk_mul_f32 v[74:75], v[88:89], v[74:75] op_sel_hi:[0,1]
	v_pk_mul_f32 v[76:77], v[88:89], v[76:77] op_sel_hi:[0,1]
	v_cvt_f16_f32_e32 v76, v76
	v_cvt_f16_f32_e32 v77, v77
	;; [unrolled: 1-line block ×4, first 2 shown]
	v_pack_b32_f16 v80, v80, v81
	v_pack_b32_f16 v81, v78, v79
	v_lshlrev_b32_e32 v79, 3, v1
	v_lshlrev_b32_e32 v78, 5, v85
	;; [unrolled: 1-line block ×3, first 2 shown]
	v_or3_b32 v74, v74, v78, v79
	v_pack_b32_f16 v76, v76, v77
	v_pack_b32_f16 v77, v84, v75
	v_pk_mul_f32 v[70:71], v[88:89], v[70:71] op_sel_hi:[0,1]
	v_pk_mul_f32 v[72:73], v[88:89], v[72:73] op_sel_hi:[0,1]
	;; [unrolled: 1-line block ×4, first 2 shown]
	ds_write2st64_b64 v74, v[80:81], v[76:77] offset1:1
	v_cvt_f16_f32_e32 v72, v72
	v_cvt_f16_f32_e32 v73, v73
	;; [unrolled: 1-line block ×8, first 2 shown]
	v_pack_b32_f16 v66, v72, v73
	v_pack_b32_f16 v67, v70, v71
	;; [unrolled: 1-line block ×4, first 2 shown]
	v_cmp_gt_u32_e32 vcc, 14, v0
	ds_write2st64_b64 v74, v[66:67], v[68:69] offset0:2 offset1:3
	s_and_saveexec_b64 s[0:1], vcc
	s_cbranch_execz .LBB109_17
; %bb.16:
	v_add_co_u32_e32 v68, vcc, s27, v85
	v_addc_co_u32_e64 v69, s[12:13], 0, 0, vcc
	v_mov_b32_e32 v66, s3
	v_mov_b32_e32 v67, 0
	v_mad_u64_u32 v[68:69], s[12:13], s6, v66, v[68:69]
	v_mov_b32_e32 v66, s26
	s_load_dwordx4 s[8:11], s[4:5], 0x58
	s_mul_i32 s7, s7, s3
	v_mad_u64_u32 v[66:67], s[12:13], v68, s2, v[66:67]
	v_add_u32_e32 v69, s7, v69
	v_mov_b32_e32 v68, v67
	v_mad_u64_u32 v[68:69], s[12:13], v69, s2, v[68:69]
	v_mov_b32_e32 v67, v68
	v_lshlrev_b64 v[66:67], 2, v[66:67]
	s_waitcnt lgkmcnt(0)
	v_mov_b32_e32 v69, s11
	v_add_co_u32_e32 v68, vcc, s10, v66
	v_addc_co_u32_e32 v69, vcc, v69, v67, vcc
	global_store_dword v[68:69], v82, off
	v_mov_b32_e32 v68, s9
	v_add_co_u32_e32 v66, vcc, s8, v66
	v_addc_co_u32_e32 v67, vcc, v68, v67, vcc
	global_store_dword v[66:67], v83, off
.LBB109_17:
	s_or_b64 exec, exec, s[0:1]
	v_lshl_or_b32 v75, v1, 9, v78
	s_waitcnt lgkmcnt(0)
	s_barrier
	ds_read_b128 v[70:73], v75
	ds_read_b128 v[66:69], v75 offset:16
	s_waitcnt vmcnt(15) lgkmcnt(1)
	v_mfma_f32_16x16x16f16 v[76:79], v[46:47], v[70:71], 0
	s_mov_b32 s1, 0
	v_cmp_gt_u32_e32 vcc, 64, v0
	v_mfma_f32_16x16x16f16 v[46:49], v[48:49], v[72:73], v[76:79]
	s_waitcnt vmcnt(14) lgkmcnt(0)
	v_mfma_f32_16x16x16f16 v[46:49], v[42:43], v[66:67], v[46:49]
	v_mfma_f32_16x16x16f16 v[42:45], v[44:45], v[68:69], v[46:49]
	s_nop 7
	s_nop 1
	ds_read_b128 v[46:49], v75 offset:2048
	ds_read_b128 v[76:79], v75 offset:2064
	s_waitcnt vmcnt(13) lgkmcnt(1)
	v_mfma_f32_16x16x16f16 v[42:45], v[38:39], v[46:47], v[42:45]
	v_mfma_f32_16x16x16f16 v[38:41], v[40:41], v[48:49], v[42:45]
	s_waitcnt vmcnt(12) lgkmcnt(0)
	v_mfma_f32_16x16x16f16 v[38:41], v[34:35], v[76:77], v[38:41]
	v_mfma_f32_16x16x16f16 v[34:37], v[36:37], v[78:79], v[38:41]
	s_nop 7
	s_nop 1
	ds_read_b128 v[38:41], v75 offset:4096
	ds_read_b128 v[42:45], v75 offset:4112
	s_waitcnt vmcnt(11) lgkmcnt(1)
	v_mfma_f32_16x16x16f16 v[34:37], v[30:31], v[38:39], v[34:37]
	v_mfma_f32_16x16x16f16 v[30:33], v[32:33], v[40:41], v[34:37]
	s_waitcnt vmcnt(10) lgkmcnt(0)
	v_mfma_f32_16x16x16f16 v[30:33], v[26:27], v[42:43], v[30:33]
	v_mfma_f32_16x16x16f16 v[26:29], v[28:29], v[44:45], v[30:33]
	s_nop 7
	s_nop 1
	ds_read_b128 v[30:33], v75 offset:6144
	ds_read_b128 v[34:37], v75 offset:6160
	s_waitcnt lgkmcnt(0)
	s_barrier
	s_waitcnt vmcnt(9)
	v_mfma_f32_16x16x16f16 v[26:29], v[22:23], v[30:31], v[26:29]
	v_mfma_f32_16x16x16f16 v[22:25], v[24:25], v[32:33], v[26:29]
	s_waitcnt vmcnt(8)
	v_mfma_f32_16x16x16f16 v[22:25], v[18:19], v[34:35], v[22:25]
	v_mfma_f32_16x16x16f16 v[18:21], v[20:21], v[36:37], v[22:25]
	;; [unrolled: 3-line block ×4, first 2 shown]
	s_waitcnt vmcnt(5)
	v_mfma_f32_16x16x16f16 v[2:5], v[14:15], v[46:47], v[2:5]
	s_nop 7
	v_cvt_f16_f32_e32 v6, v18
	v_cvt_f16_f32_e32 v7, v19
	;; [unrolled: 1-line block ×4, first 2 shown]
	v_mfma_f32_16x16x16f16 v[2:5], v[16:17], v[48:49], v[2:5]
	s_waitcnt vmcnt(4)
	v_mfma_f32_16x16x16f16 v[2:5], v[10:11], v[76:77], v[2:5]
	v_mfma_f32_16x16x16f16 v[2:5], v[12:13], v[78:79], v[2:5]
	s_waitcnt vmcnt(3)
	v_mfma_f32_16x16x16f16 v[2:5], v[54:55], v[38:39], v[2:5]
	;; [unrolled: 3-line block ×5, first 2 shown]
	v_mfma_f32_16x16x16f16 v[2:5], v[60:61], v[36:37], v[2:5]
	s_nop 7
	s_nop 2
	v_cvt_f16_f32_e32 v10, v2
	v_cvt_f16_f32_e32 v11, v3
	;; [unrolled: 1-line block ×4, first 2 shown]
	v_pack_b32_f16 v2, v6, v7
	v_pack_b32_f16 v3, v8, v9
	;; [unrolled: 1-line block ×4, first 2 shown]
	ds_write2st64_b64 v74, v[2:3], v[4:5] offset1:1
	s_waitcnt lgkmcnt(0)
	s_barrier
	s_and_saveexec_b64 s[8:9], vcc
	s_cbranch_execz .LBB109_20
; %bb.18:
	v_lshlrev_b32_e32 v4, 6, v85
	v_lshlrev_b32_e32 v3, 4, v0
	v_lshl_or_b32 v0, v0, 10, v4
	v_lshlrev_b32_e32 v2, 5, v1
	v_and_b32_e32 v3, 16, v3
	v_and_b32_e32 v0, 0x1a00, v0
	v_or3_b32 v0, v0, v2, v3
	buffer_load_dword v3, off, s[44:47], 0  ; 4-byte Folded Reload
	s_load_dwordx2 s[4:5], s[4:5], 0x68
	s_lshl_b32 s2, s2, 7
	s_mul_i32 s0, s3, s6
	s_mul_hi_u32 s7, s0, s2
	s_mul_i32 s6, s0, s2
	s_lshl_b64 s[6:7], s[6:7], 1
	s_waitcnt lgkmcnt(0)
	s_add_u32 s3, s4, s6
	s_addc_u32 s4, s5, s7
	s_lshl_b32 s0, s26, 7
	s_lshl_b64 s[0:1], s[0:1], 1
	s_add_u32 s0, s3, s0
	ds_read_b128 v[6:9], v0 offset:256
	v_or_b32_e32 v2, 12, v1
	s_addc_u32 s1, s4, s1
	ds_read_b128 v[10:13], v0 offset:128
	ds_read_b128 v[14:17], v0
	v_add_u32_e32 v1, s27, v1
	v_mov_b32_e32 v4, s1
	v_add_u32_e32 v5, 4, v1
	s_waitcnt vmcnt(0)
	v_add_co_u32_e32 v3, vcc, s0, v3
	v_mad_u64_u32 v[18:19], s[0:1], v1, s2, 0
	v_addc_co_u32_e32 v4, vcc, 0, v4, vcc
	v_lshlrev_b64 v[18:19], 1, v[18:19]
	v_add_co_u32_e32 v18, vcc, v3, v18
	v_addc_co_u32_e32 v19, vcc, v4, v19, vcc
	s_waitcnt lgkmcnt(0)
	global_store_dwordx4 v[18:19], v[14:17], off
	v_add_u32_e32 v1, 8, v1
	v_mad_u64_u32 v[14:15], s[0:1], v5, s2, 0
	v_lshlrev_b64 v[14:15], 1, v[14:15]
	v_add_co_u32_e32 v14, vcc, v3, v14
	v_addc_co_u32_e32 v15, vcc, v4, v15, vcc
	global_store_dwordx4 v[14:15], v[10:13], off
	s_nop 0
	v_mad_u64_u32 v[10:11], s[0:1], v1, s2, 0
	v_lshlrev_b64 v[10:11], 1, v[10:11]
	v_add_co_u32_e32 v10, vcc, v3, v10
	v_addc_co_u32_e32 v11, vcc, v4, v11, vcc
	v_cmp_gt_u32_e32 vcc, 14, v2
	global_store_dwordx4 v[10:11], v[6:9], off
	s_and_b64 exec, exec, vcc
	s_cbranch_execz .LBB109_20
; %bb.19:
	ds_read_b128 v[6:9], v0 offset:384
	v_add_u32_e32 v0, s27, v2
	v_mad_u64_u32 v[0:1], s[0:1], v0, s2, 0
	v_lshlrev_b64 v[0:1], 1, v[0:1]
	v_add_co_u32_e32 v0, vcc, v3, v0
	v_addc_co_u32_e32 v1, vcc, v4, v1, vcc
	s_waitcnt lgkmcnt(0)
	global_store_dwordx4 v[0:1], v[6:9], off
.LBB109_20:
	s_endpgm
	.section	.rodata,"a",@progbits
	.p2align	6, 0x0
	.amdhsa_kernel _Z39paged_attention_ll4mi_QKV_mfma16_kernelIDF16_DF16_LN4vllm18Fp8KVCacheDataTypeE0EDF16_Li16ELi128ELi256ELb1ELi14EL8MFMAType0EEvPKT_PKT0_S8_ifPKiSA_SA_iPKfiiiPfSD_PS3_PT2_iSC_SC_
		.amdhsa_group_segment_fixed_size 8192
		.amdhsa_private_segment_fixed_size 8
		.amdhsa_kernarg_size 400
		.amdhsa_user_sgpr_count 6
		.amdhsa_user_sgpr_private_segment_buffer 1
		.amdhsa_user_sgpr_dispatch_ptr 0
		.amdhsa_user_sgpr_queue_ptr 0
		.amdhsa_user_sgpr_kernarg_segment_ptr 1
		.amdhsa_user_sgpr_dispatch_id 0
		.amdhsa_user_sgpr_flat_scratch_init 0
		.amdhsa_user_sgpr_kernarg_preload_length 0
		.amdhsa_user_sgpr_kernarg_preload_offset 0
		.amdhsa_user_sgpr_private_segment_size 0
		.amdhsa_uses_dynamic_stack 0
		.amdhsa_system_sgpr_private_segment_wavefront_offset 1
		.amdhsa_system_sgpr_workgroup_id_x 1
		.amdhsa_system_sgpr_workgroup_id_y 1
		.amdhsa_system_sgpr_workgroup_id_z 1
		.amdhsa_system_sgpr_workgroup_info 0
		.amdhsa_system_vgpr_workitem_id 0
		.amdhsa_next_free_vgpr 96
		.amdhsa_next_free_sgpr 48
		.amdhsa_accum_offset 96
		.amdhsa_reserve_vcc 1
		.amdhsa_reserve_flat_scratch 0
		.amdhsa_float_round_mode_32 0
		.amdhsa_float_round_mode_16_64 0
		.amdhsa_float_denorm_mode_32 3
		.amdhsa_float_denorm_mode_16_64 3
		.amdhsa_dx10_clamp 1
		.amdhsa_ieee_mode 1
		.amdhsa_fp16_overflow 0
		.amdhsa_tg_split 0
		.amdhsa_exception_fp_ieee_invalid_op 0
		.amdhsa_exception_fp_denorm_src 0
		.amdhsa_exception_fp_ieee_div_zero 0
		.amdhsa_exception_fp_ieee_overflow 0
		.amdhsa_exception_fp_ieee_underflow 0
		.amdhsa_exception_fp_ieee_inexact 0
		.amdhsa_exception_int_div_zero 0
	.end_amdhsa_kernel
	.section	.text._Z39paged_attention_ll4mi_QKV_mfma16_kernelIDF16_DF16_LN4vllm18Fp8KVCacheDataTypeE0EDF16_Li16ELi128ELi256ELb1ELi14EL8MFMAType0EEvPKT_PKT0_S8_ifPKiSA_SA_iPKfiiiPfSD_PS3_PT2_iSC_SC_,"axG",@progbits,_Z39paged_attention_ll4mi_QKV_mfma16_kernelIDF16_DF16_LN4vllm18Fp8KVCacheDataTypeE0EDF16_Li16ELi128ELi256ELb1ELi14EL8MFMAType0EEvPKT_PKT0_S8_ifPKiSA_SA_iPKfiiiPfSD_PS3_PT2_iSC_SC_,comdat
.Lfunc_end109:
	.size	_Z39paged_attention_ll4mi_QKV_mfma16_kernelIDF16_DF16_LN4vllm18Fp8KVCacheDataTypeE0EDF16_Li16ELi128ELi256ELb1ELi14EL8MFMAType0EEvPKT_PKT0_S8_ifPKiSA_SA_iPKfiiiPfSD_PS3_PT2_iSC_SC_, .Lfunc_end109-_Z39paged_attention_ll4mi_QKV_mfma16_kernelIDF16_DF16_LN4vllm18Fp8KVCacheDataTypeE0EDF16_Li16ELi128ELi256ELb1ELi14EL8MFMAType0EEvPKT_PKT0_S8_ifPKiSA_SA_iPKfiiiPfSD_PS3_PT2_iSC_SC_
                                        ; -- End function
	.section	.AMDGPU.csdata,"",@progbits
; Kernel info:
; codeLenInByte = 4976
; NumSgprs: 52
; NumVgprs: 96
; NumAgprs: 0
; TotalNumVgprs: 96
; ScratchSize: 8
; MemoryBound: 0
; FloatMode: 240
; IeeeMode: 1
; LDSByteSize: 8192 bytes/workgroup (compile time only)
; SGPRBlocks: 6
; VGPRBlocks: 11
; NumSGPRsForWavesPerEU: 52
; NumVGPRsForWavesPerEU: 96
; AccumOffset: 96
; Occupancy: 5
; WaveLimiterHint : 1
; COMPUTE_PGM_RSRC2:SCRATCH_EN: 1
; COMPUTE_PGM_RSRC2:USER_SGPR: 6
; COMPUTE_PGM_RSRC2:TRAP_HANDLER: 0
; COMPUTE_PGM_RSRC2:TGID_X_EN: 1
; COMPUTE_PGM_RSRC2:TGID_Y_EN: 1
; COMPUTE_PGM_RSRC2:TGID_Z_EN: 1
; COMPUTE_PGM_RSRC2:TIDIG_COMP_CNT: 0
; COMPUTE_PGM_RSRC3_GFX90A:ACCUM_OFFSET: 23
; COMPUTE_PGM_RSRC3_GFX90A:TG_SPLIT: 0
	.section	.text._Z39paged_attention_ll4mi_QKV_mfma16_kernelIDF16_DF16_LN4vllm18Fp8KVCacheDataTypeE0EDF16_Li16ELi128ELi256ELb1ELi15EL8MFMAType0EEvPKT_PKT0_S8_ifPKiSA_SA_iPKfiiiPfSD_PS3_PT2_iSC_SC_,"axG",@progbits,_Z39paged_attention_ll4mi_QKV_mfma16_kernelIDF16_DF16_LN4vllm18Fp8KVCacheDataTypeE0EDF16_Li16ELi128ELi256ELb1ELi15EL8MFMAType0EEvPKT_PKT0_S8_ifPKiSA_SA_iPKfiiiPfSD_PS3_PT2_iSC_SC_,comdat
	.protected	_Z39paged_attention_ll4mi_QKV_mfma16_kernelIDF16_DF16_LN4vllm18Fp8KVCacheDataTypeE0EDF16_Li16ELi128ELi256ELb1ELi15EL8MFMAType0EEvPKT_PKT0_S8_ifPKiSA_SA_iPKfiiiPfSD_PS3_PT2_iSC_SC_ ; -- Begin function _Z39paged_attention_ll4mi_QKV_mfma16_kernelIDF16_DF16_LN4vllm18Fp8KVCacheDataTypeE0EDF16_Li16ELi128ELi256ELb1ELi15EL8MFMAType0EEvPKT_PKT0_S8_ifPKiSA_SA_iPKfiiiPfSD_PS3_PT2_iSC_SC_
	.globl	_Z39paged_attention_ll4mi_QKV_mfma16_kernelIDF16_DF16_LN4vllm18Fp8KVCacheDataTypeE0EDF16_Li16ELi128ELi256ELb1ELi15EL8MFMAType0EEvPKT_PKT0_S8_ifPKiSA_SA_iPKfiiiPfSD_PS3_PT2_iSC_SC_
	.p2align	8
	.type	_Z39paged_attention_ll4mi_QKV_mfma16_kernelIDF16_DF16_LN4vllm18Fp8KVCacheDataTypeE0EDF16_Li16ELi128ELi256ELb1ELi15EL8MFMAType0EEvPKT_PKT0_S8_ifPKiSA_SA_iPKfiiiPfSD_PS3_PT2_iSC_SC_,@function
_Z39paged_attention_ll4mi_QKV_mfma16_kernelIDF16_DF16_LN4vllm18Fp8KVCacheDataTypeE0EDF16_Li16ELi128ELi256ELb1ELi15EL8MFMAType0EEvPKT_PKT0_S8_ifPKiSA_SA_iPKfiiiPfSD_PS3_PT2_iSC_SC_: ; @_Z39paged_attention_ll4mi_QKV_mfma16_kernelIDF16_DF16_LN4vllm18Fp8KVCacheDataTypeE0EDF16_Li16ELi128ELi256ELb1ELi15EL8MFMAType0EEvPKT_PKT0_S8_ifPKiSA_SA_iPKfiiiPfSD_PS3_PT2_iSC_SC_
; %bb.0:
	s_mov_b64 s[46:47], s[2:3]
	s_mov_b64 s[44:45], s[0:1]
	s_load_dwordx2 s[0:1], s[4:5], 0x30
	s_add_u32 s44, s44, s9
	s_addc_u32 s45, s45, 0
	s_mov_b32 s26, s7
	s_mov_b64 s[10:11], 0
	s_waitcnt lgkmcnt(0)
	s_cmp_lg_u64 s[0:1], 0
	s_cselect_b64 s[2:3], -1, 0
	s_and_b64 vcc, exec, s[2:3]
	s_cbranch_vccz .LBB110_7
; %bb.1:
	s_add_i32 s12, s6, 1
	s_mov_b32 s13, 0
	s_lshl_b64 s[14:15], s[12:13], 2
	s_add_u32 s14, s0, s14
	s_mov_b32 s7, s13
	s_addc_u32 s15, s1, s15
	s_lshl_b64 s[12:13], s[6:7], 2
	s_add_u32 s12, s0, s12
	s_addc_u32 s13, s1, s13
	s_load_dword s9, s[14:15], 0x0
	s_load_dword s16, s[12:13], 0x0
	s_waitcnt lgkmcnt(0)
	s_sub_i32 s9, s9, s16
	s_cmp_eq_u32 s9, 1
	s_cselect_b64 s[12:13], -1, 0
	s_andn2_b64 vcc, exec, s[10:11]
	s_cbranch_vccnz .LBB110_3
.LBB110_2:
	s_mov_b32 s7, 0
	s_mov_b64 s[12:13], -1
.LBB110_3:
	s_andn2_b64 vcc, exec, s[12:13]
	s_cbranch_vccnz .LBB110_20
; %bb.4:
	s_load_dwordx2 s[12:13], s[4:5], 0x28
	s_lshl_b64 s[10:11], s[6:7], 2
	s_waitcnt lgkmcnt(0)
	s_add_u32 s12, s12, s10
	s_addc_u32 s13, s13, s11
	s_load_dword s33, s[12:13], 0x0
	s_lshl_b32 s16, s26, 8
	s_waitcnt lgkmcnt(0)
	s_cmp_ge_i32 s16, s33
	s_cbranch_scc1 .LBB110_20
; %bb.5:
	s_add_i32 s14, s33, 15
	s_load_dwordx2 s[12:13], s[4:5], 0x20
	s_load_dword s9, s[4:5], 0x38
	s_ashr_i32 s15, s14, 31
	v_and_b32_e32 v1, 0xcf, v0
	s_lshr_b32 s15, s15, 28
	v_add_u32_e32 v1, s16, v1
	s_add_i32 s14, s14, s15
	v_ashrrev_i32_e32 v2, 31, v1
	s_ashr_i32 s19, s14, 4
	v_lshrrev_b32_e32 v4, 28, v2
	s_add_i32 s19, s19, -1
	v_add_u32_e32 v2, v1, v4
	s_waitcnt lgkmcnt(0)
	s_mul_i32 s14, s6, s9
	s_mov_b32 s15, 0
	v_ashrrev_i32_e32 v2, 4, v2
	v_mov_b32_e32 v5, s19
	v_cmp_gt_i32_e32 vcc, s33, v1
	s_lshl_b64 s[14:15], s[14:15], 2
	v_cndmask_b32_e32 v2, v5, v2, vcc
	s_add_u32 s17, s12, s14
	v_ashrrev_i32_e32 v3, 31, v2
	s_addc_u32 s18, s13, s15
	v_lshlrev_b64 v[2:3], 2, v[2:3]
	v_mov_b32_e32 v7, s18
	v_add_co_u32_e32 v6, vcc, s17, v2
	v_or_b32_e32 v2, 16, v1
	v_addc_co_u32_e32 v7, vcc, v7, v3, vcc
	v_add_u32_e32 v3, v2, v4
	v_ashrrev_i32_e32 v3, 4, v3
	v_cmp_gt_i32_e32 vcc, s33, v2
	v_cndmask_b32_e32 v2, v5, v3, vcc
	v_ashrrev_i32_e32 v3, 31, v2
	v_lshlrev_b64 v[2:3], 2, v[2:3]
	v_mov_b32_e32 v9, s18
	v_add_co_u32_e32 v8, vcc, s17, v2
	v_or_b32_e32 v2, 32, v1
	v_addc_co_u32_e32 v9, vcc, v9, v3, vcc
	v_add_u32_e32 v3, v2, v4
	v_ashrrev_i32_e32 v3, 4, v3
	v_cmp_gt_i32_e32 vcc, s33, v2
	v_cndmask_b32_e32 v2, v5, v3, vcc
	v_ashrrev_i32_e32 v3, 31, v2
	;; [unrolled: 10-line block ×3, first 2 shown]
	v_lshlrev_b64 v[2:3], 2, v[2:3]
	v_mov_b32_e32 v1, s18
	v_add_co_u32_e32 v12, vcc, s17, v2
	v_addc_co_u32_e32 v13, vcc, v1, v3, vcc
	global_load_dword v5, v[6:7], off
	global_load_dword v4, v[8:9], off
	;; [unrolled: 1-line block ×4, first 2 shown]
	s_load_dwordx2 s[12:13], s[4:5], 0x8
	s_andn2_b64 vcc, exec, s[2:3]
	s_cbranch_vccnz .LBB110_8
; %bb.6:
	s_add_u32 s0, s0, s10
	s_addc_u32 s1, s1, s11
	s_load_dword s9, s[0:1], 0x0
	s_branch .LBB110_9
.LBB110_7:
	s_mov_b64 s[12:13], 0
	s_branch .LBB110_2
.LBB110_8:
	s_mov_b32 s9, s6
.LBB110_9:
	s_load_dwordx2 s[10:11], s[4:5], 0x10
	s_load_dwordx4 s[0:3], s[4:5], 0x48
	v_lshrrev_b32_e32 v87, 6, v0
	v_bfe_u32 v1, v0, 4, 2
	v_and_b32_e32 v85, 15, v0
	v_lshl_or_b32 v6, v87, 2, v1
	v_lshlrev_b32_e32 v7, 3, v85
	s_mul_i32 s27, s8, 15
	v_cmp_gt_u32_e32 vcc, 15, v6
	v_lshlrev_b32_e32 v7, 1, v7
	buffer_store_dword v7, off, s[44:47], 0 ; 4-byte Folded Spill
	s_and_saveexec_b64 s[14:15], vcc
	s_cbranch_execz .LBB110_11
; %bb.10:
	s_load_dwordx2 s[20:21], s[4:5], 0x0
	s_waitcnt lgkmcnt(0)
	s_ashr_i32 s3, s0, 31
	s_mul_hi_u32 s22, s9, s0
	s_mul_i32 s3, s9, s3
	s_add_i32 s23, s22, s3
	s_mul_i32 s22, s9, s0
	s_lshl_b64 s[22:23], s[22:23], 1
	v_add_lshl_u32 v8, v6, s27, 7
	s_add_u32 s0, s20, s22
	v_ashrrev_i32_e32 v9, 31, v8
	s_addc_u32 s3, s21, s23
	v_lshlrev_b64 v[8:9], 1, v[8:9]
	v_mov_b32_e32 v7, s3
	v_add_co_u32_e32 v8, vcc, s0, v8
	v_addc_co_u32_e32 v7, vcc, v7, v9, vcc
	buffer_load_dword v9, off, s[44:47], 0  ; 4-byte Folded Reload
	v_lshlrev_b32_e32 v12, 9, v85
	v_lshlrev_b32_e32 v6, 5, v6
	v_and_b32_e32 v12, 0x1800, v12
	s_waitcnt vmcnt(0)
	v_add_co_u32_e32 v8, vcc, v8, v9
	v_addc_co_u32_e32 v9, vcc, 0, v7, vcc
	global_load_dwordx4 v[8:11], v[8:9], off
	v_and_b32_e32 v7, 3, v0
	v_lshlrev_b32_e32 v7, 9, v7
	v_or3_b32 v6, v12, v7, v6
	s_waitcnt vmcnt(0)
	ds_write_b128 v6, v[8:11]
.LBB110_11:
	s_or_b64 exec, exec, s[14:15]
	s_waitcnt lgkmcnt(0)
	s_mov_b32 s3, 0
	s_mul_i32 s2, s8, s2
	s_lshl_b64 s[2:3], s[2:3], 1
	s_add_u32 s0, s12, s2
	v_lshlrev_b32_e32 v10, 4, v0
	s_addc_u32 s8, s13, s3
	v_and_b32_e32 v6, 0xf0, v10
	v_mov_b32_e32 v7, s8
	v_add_co_u32_e32 v8, vcc, s0, v6
	v_addc_co_u32_e32 v9, vcc, 0, v7, vcc
	s_waitcnt vmcnt(4)
	v_mad_i64_i32 v[6:7], s[8:9], v5, s1, 0
	v_lshlrev_b64 v[6:7], 1, v[6:7]
	v_add_co_u32_e32 v5, vcc, v8, v6
	v_addc_co_u32_e32 v7, vcc, v9, v7, vcc
	v_and_b32_e32 v10, 0x300, v10
	v_add_co_u32_e32 v6, vcc, v5, v10
	s_waitcnt vmcnt(3)
	v_mad_i64_i32 v[4:5], s[8:9], v4, s1, 0
	v_addc_co_u32_e32 v7, vcc, 0, v7, vcc
	v_lshlrev_b64 v[4:5], 1, v[4:5]
	v_add_co_u32_e32 v4, vcc, v8, v4
	v_addc_co_u32_e32 v5, vcc, v9, v5, vcc
	v_add_co_u32_e32 v4, vcc, v4, v10
	v_addc_co_u32_e32 v5, vcc, 0, v5, vcc
	s_barrier
	global_load_dwordx4 v[74:77], v[6:7], off
	global_load_dwordx4 v[66:69], v[6:7], off offset:1024
	global_load_dwordx4 v[58:61], v[6:7], off offset:2048
	global_load_dwordx4 v[42:45], v[6:7], off offset:3072
	global_load_dwordx4 v[78:81], v[4:5], off
	global_load_dwordx4 v[70:73], v[4:5], off offset:1024
	global_load_dwordx4 v[62:65], v[4:5], off offset:2048
	;; [unrolled: 1-line block ×3, first 2 shown]
	s_waitcnt vmcnt(10)
	v_mad_i64_i32 v[4:5], s[8:9], v3, s1, 0
	v_lshlrev_b64 v[4:5], 1, v[4:5]
	v_add_co_u32_e32 v3, vcc, v8, v4
	v_addc_co_u32_e32 v5, vcc, v9, v5, vcc
	v_add_co_u32_e32 v4, vcc, v3, v10
	s_waitcnt vmcnt(9)
	v_mad_i64_i32 v[2:3], s[8:9], v2, s1, 0
	v_addc_co_u32_e32 v5, vcc, 0, v5, vcc
	v_lshlrev_b64 v[2:3], 1, v[2:3]
	v_add_co_u32_e32 v2, vcc, v8, v2
	v_addc_co_u32_e32 v3, vcc, v9, v3, vcc
	v_add_co_u32_e32 v6, vcc, v2, v10
	v_addc_co_u32_e32 v7, vcc, 0, v3, vcc
	global_load_dwordx4 v[38:41], v[4:5], off
	global_load_dwordx4 v[34:37], v[4:5], off offset:1024
	global_load_dwordx4 v[30:33], v[4:5], off offset:2048
	;; [unrolled: 1-line block ×3, first 2 shown]
	global_load_dwordx4 v[18:21], v[6:7], off
	global_load_dwordx4 v[10:13], v[6:7], off offset:1024
	s_nop 0
	global_load_dwordx4 v[2:5], v[6:7], off offset:2048
	global_load_dwordx4 v[50:53], v[6:7], off offset:3072
	v_cmp_ne_u32_e32 vcc, 15, v85
	v_cndmask_b32_e32 v6, 0, v85, vcc
	v_lshlrev_b32_e32 v6, 5, v6
	v_lshl_or_b32 v54, v1, 9, v6
	ds_read_b128 v[26:29], v54
	ds_read_b128 v[14:17], v54 offset:2048
	ds_read_b128 v[6:9], v54 offset:4096
	;; [unrolled: 1-line block ×3, first 2 shown]
	v_and_b32_e32 v88, 63, v0
	v_mov_b32_e32 v89, 0
	s_and_saveexec_b64 s[8:9], vcc
	s_cbranch_execz .LBB110_13
; %bb.12:
	s_load_dwordx2 s[12:13], s[4:5], 0x40
	v_add_u32_e32 v82, s27, v85
	v_ashrrev_i32_e32 v83, 31, v82
	v_lshlrev_b64 v[82:83], 2, v[82:83]
	s_waitcnt lgkmcnt(0)
	v_mov_b32_e32 v89, s13
	v_add_co_u32_e32 v82, vcc, s12, v82
	v_addc_co_u32_e32 v83, vcc, v89, v83, vcc
	global_load_dword v89, v[82:83], off
.LBB110_13:
	s_or_b64 exec, exec, s[8:9]
	s_waitcnt vmcnt(15) lgkmcnt(3)
	v_mfma_f32_16x16x16f16 v[90:93], v[74:75], v[26:27], 0
	s_add_u32 s8, s10, s2
	s_addc_u32 s9, s11, s3
	s_load_dword s0, s[4:5], 0x1c
	s_mov_b32 s40, 0xff7fffff
	v_mfma_f32_16x16x16f16 v[74:77], v[76:77], v[28:29], v[90:93]
	s_waitcnt vmcnt(14) lgkmcnt(0)
	v_mfma_f32_16x16x16f16 v[74:77], v[66:67], v[14:15], v[74:77]
	s_nop 4
	v_lshl_or_b32 v90, v87, 4, v85
	v_mfma_f32_16x16x16f16 v[66:69], v[68:69], v[16:17], v[74:77]
	s_waitcnt vmcnt(13)
	v_mfma_f32_16x16x16f16 v[66:69], v[58:59], v[6:7], v[66:69]
	s_nop 4
	v_lshlrev_b32_e32 v76, 5, v90
	v_mfma_f32_16x16x16f16 v[58:61], v[60:61], v[8:9], v[66:69]
	s_waitcnt vmcnt(12)
	v_mfma_f32_16x16x16f16 v[58:61], v[42:43], v[54:55], v[58:61]
	s_nop 4
	v_mov_b32_e32 v66, s18
	v_mfma_f32_16x16x16f16 v[58:61], v[44:45], v[56:57], v[58:61]
	s_waitcnt vmcnt(11)
	v_mfma_f32_16x16x16f16 v[42:45], v[78:79], v[26:27], 0
	s_nop 7
	s_nop 0
	v_pk_mul_f32 v[58:59], s[0:1], v[58:59] op_sel_hi:[0,1]
	v_mfma_f32_16x16x16f16 v[42:45], v[80:81], v[28:29], v[42:45]
	s_waitcnt vmcnt(10)
	v_mfma_f32_16x16x16f16 v[42:45], v[70:71], v[14:15], v[42:45]
	v_mfma_f32_16x16x16f16 v[42:45], v[72:73], v[16:17], v[42:45]
	s_waitcnt vmcnt(9)
	v_mfma_f32_16x16x16f16 v[42:45], v[62:63], v[6:7], v[42:45]
	;; [unrolled: 3-line block ×3, first 2 shown]
	v_mfma_f32_16x16x16f16 v[62:65], v[48:49], v[56:57], v[42:45]
	v_and_or_b32 v48, v0, 48, s16
	v_mov_b32_e32 v49, s19
	v_cmp_gt_i32_e32 vcc, s33, v48
	s_waitcnt vmcnt(7)
	v_mfma_f32_16x16x16f16 v[42:45], v[38:39], v[26:27], 0
	v_ashrrev_i32_e32 v38, 4, v48
	v_cndmask_b32_e32 v38, v49, v38, vcc
	v_ashrrev_i32_e32 v39, 31, v38
	v_lshlrev_b64 v[46:47], 2, v[38:39]
	v_mfma_f32_16x16x16f16 v[38:41], v[40:41], v[28:29], v[42:45]
	s_nop 6
	v_add_co_u32_e32 v42, vcc, s17, v46
	v_addc_co_u32_e32 v43, vcc, v66, v47, vcc
	global_load_dword v44, v[42:43], off
	v_or_b32_e32 v42, 64, v48
	v_ashrrev_i32_e32 v43, 4, v42
	v_cmp_gt_i32_e32 vcc, s33, v42
	v_cndmask_b32_e32 v42, v49, v43, vcc
	s_waitcnt vmcnt(7)
	v_mfma_f32_16x16x16f16 v[38:41], v[34:35], v[14:15], v[38:41]
	v_ashrrev_i32_e32 v43, 31, v42
	v_lshlrev_b64 v[34:35], 2, v[42:43]
	v_mov_b32_e32 v42, s18
	v_add_co_u32_e32 v34, vcc, s17, v34
	v_addc_co_u32_e32 v35, vcc, v42, v35, vcc
	global_load_dword v72, v[34:35], off
	v_mfma_f32_16x16x16f16 v[34:37], v[36:37], v[16:17], v[38:41]
	s_nop 6
	v_or_b32_e32 v38, 0x80, v48
	v_ashrrev_i32_e32 v39, 4, v38
	v_cmp_gt_i32_e32 vcc, s33, v38
	v_cndmask_b32_e32 v38, v49, v39, vcc
	v_ashrrev_i32_e32 v39, 31, v38
	v_lshlrev_b64 v[38:39], 2, v[38:39]
	v_mov_b32_e32 v40, s18
	s_waitcnt vmcnt(7)
	v_mfma_f32_16x16x16f16 v[34:37], v[30:31], v[6:7], v[34:37]
	v_add_co_u32_e32 v30, vcc, s17, v38
	v_addc_co_u32_e32 v31, vcc, v40, v39, vcc
	global_load_dword v74, v[30:31], off
	v_or_b32_e32 v30, 0xc0, v48
	v_ashrrev_i32_e32 v31, 4, v30
	v_cmp_gt_i32_e32 vcc, s33, v30
	v_cndmask_b32_e32 v38, v49, v31, vcc
	v_ashrrev_i32_e32 v39, 31, v38
	v_mfma_f32_16x16x16f16 v[30:33], v[32:33], v[8:9], v[34:37]
	s_nop 6
	v_lshlrev_b64 v[34:35], 2, v[38:39]
	v_mov_b32_e32 v36, s18
	v_add_co_u32_e32 v34, vcc, s17, v34
	v_addc_co_u32_e32 v35, vcc, v36, v35, vcc
	global_load_dword v75, v[34:35], off
	s_waitcnt vmcnt(8)
	v_mfma_f32_16x16x16f16 v[30:33], v[22:23], v[54:55], v[30:33]
	v_mov_b32_e32 v22, s9
	v_add_co_u32_e32 v77, vcc, s8, v76
	v_addc_co_u32_e32 v78, vcc, 0, v22, vcc
	s_waitcnt vmcnt(3)
	v_mad_i64_i32 v[22:23], s[2:3], v44, s1, 0
	v_mfma_f32_16x16x16f16 v[66:69], v[24:25], v[56:57], v[30:33]
	v_lshlrev_b64 v[70:71], 1, v[22:23]
	v_mfma_f32_16x16x16f16 v[22:25], v[18:19], v[26:27], 0
	v_add_co_u32_e32 v18, vcc, v77, v70
	v_addc_co_u32_e32 v19, vcc, v78, v71, vcc
	global_load_dwordx4 v[46:49], v[18:19], off
	global_load_dwordx4 v[42:45], v[18:19], off offset:16
	s_waitcnt vmcnt(4)
	v_mad_i64_i32 v[18:19], s[2:3], v72, s1, 0
	v_lshlrev_b64 v[72:73], 1, v[18:19]
	v_mfma_f32_16x16x16f16 v[18:21], v[20:21], v[28:29], v[22:25]
	v_mfma_f32_16x16x16f16 v[18:21], v[10:11], v[14:15], v[18:21]
	s_nop 5
	v_add_co_u32_e32 v22, vcc, v77, v72
	v_addc_co_u32_e32 v23, vcc, v78, v73, vcc
	global_load_dwordx4 v[38:41], v[22:23], off
	global_load_dwordx4 v[34:37], v[22:23], off offset:16
	s_waitcnt vmcnt(5)
	v_mad_i64_i32 v[22:23], s[2:3], v74, s1, 0
	v_lshlrev_b64 v[82:83], 1, v[22:23]
	v_add_co_u32_e32 v10, vcc, v77, v82
	v_addc_co_u32_e32 v11, vcc, v78, v83, vcc
	global_load_dwordx4 v[30:33], v[10:11], off
	global_load_dwordx4 v[26:29], v[10:11], off offset:16
	v_mfma_f32_16x16x16f16 v[10:13], v[12:13], v[16:17], v[18:21]
	s_waitcnt vmcnt(6)
	v_mad_i64_i32 v[14:15], s[2:3], v75, s1, 0
	v_mfma_f32_16x16x16f16 v[10:13], v[2:3], v[6:7], v[10:13]
	v_lshlrev_b64 v[80:81], 1, v[14:15]
	v_add_co_u32_e32 v14, vcc, v77, v80
	v_addc_co_u32_e32 v15, vcc, v78, v81, vcc
	v_or_b32_e32 v2, 0x800, v76
	v_mov_b32_e32 v3, s9
	v_mfma_f32_16x16x16f16 v[10:13], v[4:5], v[8:9], v[10:13]
	v_add_co_u32_e32 v91, vcc, s8, v2
	v_addc_co_u32_e32 v84, vcc, 0, v3, vcc
	v_add_co_u32_e32 v2, vcc, v91, v70
	v_addc_co_u32_e32 v3, vcc, v84, v71, vcc
	v_mfma_f32_16x16x16f16 v[92:95], v[50:51], v[54:55], v[10:13]
	v_add_co_u32_e32 v70, vcc, v91, v72
	v_addc_co_u32_e32 v71, vcc, v84, v73, vcc
	global_load_dwordx4 v[22:25], v[14:15], off
	global_load_dwordx4 v[18:21], v[14:15], off offset:16
	global_load_dwordx4 v[6:9], v[2:3], off
	s_nop 0
	global_load_dwordx4 v[2:5], v[2:3], off offset:16
	s_nop 0
	global_load_dwordx4 v[14:17], v[70:71], off
	global_load_dwordx4 v[10:13], v[70:71], off offset:16
	v_mfma_f32_16x16x16f16 v[50:53], v[52:53], v[56:57], v[92:95]
	v_pk_mul_f32 v[70:71], s[0:1], v[68:69] op_sel_hi:[0,1]
	v_pk_mul_f32 v[72:73], s[0:1], v[66:67] op_sel_hi:[0,1]
	;; [unrolled: 1-line block ×5, first 2 shown]
	s_nop 5
	v_pk_mul_f32 v[68:69], s[0:1], v[50:51] op_sel_hi:[0,1]
	v_and_b32_e32 v50, 0xc0, v0
	v_add_u32_e32 v50, s16, v50
	v_lshl_or_b32 v50, v1, 2, v50
	v_or_b32_e32 v51, 1, v50
	v_pk_mul_f32 v[66:67], s[0:1], v[52:53] op_sel_hi:[0,1]
	v_subrev_u32_e32 v52, s33, v51
	v_add_u32_e32 v54, 1, v52
	v_add_u32_e32 v55, 2, v52
	v_cvt_f32_i32_e32 v53, v52
	v_cvt_f32_i32_e32 v54, v54
	;; [unrolled: 1-line block ×3, first 2 shown]
	v_add_u32_e32 v56, 3, v52
	v_fma_f32 v58, v89, v53, v58
	v_fmac_f32_e32 v59, v89, v54
	v_fma_f32 v78, v89, v55, v78
	v_add_u32_e32 v53, 16, v52
	v_add_u32_e32 v54, 17, v52
	;; [unrolled: 1-line block ×3, first 2 shown]
	v_cvt_f32_i32_e32 v56, v56
	v_cvt_f32_i32_e32 v53, v53
	;; [unrolled: 1-line block ×4, first 2 shown]
	v_fmac_f32_e32 v79, v89, v56
	v_add_u32_e32 v56, 19, v52
	v_fma_f32 v76, v89, v53, v76
	v_fmac_f32_e32 v77, v89, v54
	v_fma_f32 v74, v89, v55, v74
	v_add_u32_e32 v53, 32, v52
	v_add_u32_e32 v54, 33, v52
	;; [unrolled: 1-line block ×3, first 2 shown]
	v_cvt_f32_i32_e32 v56, v56
	v_cvt_f32_i32_e32 v53, v53
	;; [unrolled: 1-line block ×4, first 2 shown]
	v_fmac_f32_e32 v75, v89, v56
	v_add_u32_e32 v56, 35, v52
	v_fma_f32 v72, v89, v53, v72
	v_fmac_f32_e32 v73, v89, v54
	v_fma_f32 v70, v89, v55, v70
	v_add_u32_e32 v53, 48, v52
	v_add_u32_e32 v54, 49, v52
	;; [unrolled: 1-line block ×4, first 2 shown]
	v_cvt_f32_i32_e32 v52, v52
	v_cvt_f32_i32_e32 v53, v53
	;; [unrolled: 1-line block ×3, first 2 shown]
	v_cmp_gt_i32_e64 s[28:29], s33, v50
	v_fmac_f32_e32 v67, v89, v52
	v_mov_b32_e32 v52, 0xff7fffff
	v_cmp_gt_i32_e64 s[30:31], s33, v51
	v_fma_f32 v68, v89, v53, v68
	v_cndmask_b32_e64 v53, v52, v58, s[28:29]
	v_cndmask_b32_e64 v51, v52, v59, s[30:31]
	v_fmac_f32_e32 v69, v89, v54
	v_max3_f32 v51, v53, s40, v51
	v_or_b32_e32 v53, 2, v50
	v_or_b32_e32 v54, 3, v50
	v_cmp_gt_i32_e64 s[34:35], s33, v53
	v_cmp_gt_i32_e64 s[36:37], s33, v54
	v_cndmask_b32_e64 v53, v52, v78, s[34:35]
	v_cndmask_b32_e64 v54, v52, v79, s[36:37]
	v_max3_f32 v51, v51, v53, v54
	v_or_b32_e32 v53, 16, v50
	v_or_b32_e32 v54, 17, v50
	v_cmp_gt_i32_e64 s[22:23], s33, v53
	v_cmp_gt_i32_e64 s[24:25], s33, v54
	v_cndmask_b32_e64 v53, v52, v76, s[22:23]
	v_cndmask_b32_e64 v54, v52, v77, s[24:25]
	;; [unrolled: 7-line block ×3, first 2 shown]
	v_cvt_f32_i32_e32 v56, v56
	v_max3_f32 v51, v51, v53, v54
	v_or_b32_e32 v53, 32, v50
	v_or_b32_e32 v54, 33, v50
	v_cmp_gt_i32_e64 s[14:15], s33, v53
	v_cmp_gt_i32_e64 s[16:17], s33, v54
	v_cndmask_b32_e64 v53, v52, v72, s[14:15]
	v_cndmask_b32_e64 v54, v52, v73, s[16:17]
	v_max3_f32 v51, v51, v53, v54
	v_or_b32_e32 v53, 34, v50
	v_or_b32_e32 v54, 35, v50
	v_fmac_f32_e32 v71, v89, v56
	v_cmp_gt_i32_e64 s[10:11], s33, v53
	v_cmp_gt_i32_e64 s[12:13], s33, v54
	v_cndmask_b32_e64 v53, v52, v70, s[10:11]
	v_cndmask_b32_e64 v54, v52, v71, s[12:13]
	v_cvt_f32_i32_e32 v55, v55
	v_max3_f32 v51, v51, v53, v54
	v_or_b32_e32 v53, 48, v50
	v_or_b32_e32 v54, 49, v50
	v_cmp_gt_i32_e64 s[2:3], s33, v53
	v_cmp_gt_i32_e64 s[8:9], s33, v54
	v_cndmask_b32_e64 v53, v52, v68, s[2:3]
	v_cndmask_b32_e64 v54, v52, v69, s[8:9]
	v_max3_f32 v51, v51, v53, v54
	v_or_b32_e32 v53, 50, v50
	v_or_b32_e32 v50, 51, v50
	v_fma_f32 v66, v89, v55, v66
	v_cmp_gt_i32_e32 vcc, s33, v53
	v_cmp_gt_i32_e64 s[0:1], s33, v50
	v_cndmask_b32_e32 v53, v52, v66, vcc
	v_cndmask_b32_e64 v50, v52, v67, s[0:1]
	v_max3_f32 v60, v51, v53, v50
	v_mbcnt_lo_u32_b32 v50, -1, 0
	v_mbcnt_hi_u32_b32 v61, -1, v50
	v_and_b32_e32 v50, 64, v61
	v_add_u32_e32 v62, 64, v50
	v_xor_b32_e32 v50, 32, v61
	v_cmp_lt_i32_e64 s[38:39], v50, v62
	v_cndmask_b32_e64 v50, v61, v50, s[38:39]
	v_lshlrev_b32_e32 v89, 2, v50
	ds_bpermute_b32 v63, v89, v60
	v_add_co_u32_e64 v50, s[38:39], v91, v82
	v_addc_co_u32_e64 v51, s[38:39], v84, v83, s[38:39]
	s_waitcnt lgkmcnt(0)
	v_max_f32_e32 v63, v63, v63
	v_max_f32_e32 v63, v60, v63
	v_xor_b32_e32 v60, 16, v61
	v_cmp_lt_i32_e64 s[38:39], v60, v62
	v_cndmask_b32_e64 v60, v61, v60, s[38:39]
	v_lshlrev_b32_e32 v92, 2, v60
	ds_bpermute_b32 v62, v92, v63
	v_add_co_u32_e64 v60, s[38:39], v91, v80
	v_addc_co_u32_e64 v61, s[38:39], v84, v81, s[38:39]
	s_waitcnt lgkmcnt(0)
	v_max_f32_e32 v62, v62, v62
	v_max_f32_e32 v82, v63, v62
	v_sub_f32_e32 v58, v58, v82
	v_mul_f32_e32 v58, 0x3fb8aa3b, v58
	v_exp_f32_e32 v80, v58
	v_sub_f32_e32 v58, v59, v82
	v_mul_f32_e32 v58, 0x3fb8aa3b, v58
	global_load_dwordx4 v[54:57], v[50:51], off
	s_nop 0
	global_load_dwordx4 v[50:53], v[50:51], off offset:16
	v_exp_f32_e32 v81, v58
	global_load_dwordx4 v[62:65], v[60:61], off
	s_nop 0
	global_load_dwordx4 v[58:61], v[60:61], off offset:16
	v_sub_f32_e32 v78, v78, v82
	v_mul_f32_e32 v78, 0x3fb8aa3b, v78
	v_sub_f32_e32 v79, v79, v82
	v_exp_f32_e32 v78, v78
	v_mul_f32_e32 v79, 0x3fb8aa3b, v79
	v_sub_f32_e32 v76, v76, v82
	v_exp_f32_e32 v79, v79
	v_mul_f32_e32 v76, 0x3fb8aa3b, v76
	v_sub_f32_e32 v77, v77, v82
	v_cndmask_b32_e64 v80, 0, v80, s[28:29]
	v_exp_f32_e32 v76, v76
	v_mul_f32_e32 v77, 0x3fb8aa3b, v77
	v_sub_f32_e32 v74, v74, v82
	v_add_f32_e32 v83, 0, v80
	v_cndmask_b32_e64 v81, 0, v81, s[30:31]
	v_exp_f32_e32 v77, v77
	v_mul_f32_e32 v74, 0x3fb8aa3b, v74
	v_sub_f32_e32 v75, v75, v82
	v_add_f32_e32 v83, v83, v81
	v_cndmask_b32_e64 v78, 0, v78, s[34:35]
	v_exp_f32_e32 v74, v74
	v_mul_f32_e32 v75, 0x3fb8aa3b, v75
	v_sub_f32_e32 v72, v72, v82
	v_add_f32_e32 v83, v83, v78
	v_cndmask_b32_e64 v79, 0, v79, s[36:37]
	v_exp_f32_e32 v75, v75
	v_mul_f32_e32 v72, 0x3fb8aa3b, v72
	v_sub_f32_e32 v73, v73, v82
	v_add_f32_e32 v83, v83, v79
	v_cndmask_b32_e64 v76, 0, v76, s[22:23]
	v_exp_f32_e32 v72, v72
	v_mul_f32_e32 v73, 0x3fb8aa3b, v73
	v_sub_f32_e32 v70, v70, v82
	v_add_f32_e32 v83, v83, v76
	v_cndmask_b32_e64 v77, 0, v77, s[24:25]
	v_exp_f32_e32 v73, v73
	v_mul_f32_e32 v70, 0x3fb8aa3b, v70
	v_sub_f32_e32 v71, v71, v82
	v_add_f32_e32 v83, v83, v77
	v_cndmask_b32_e64 v74, 0, v74, s[18:19]
	v_exp_f32_e32 v70, v70
	v_mul_f32_e32 v71, 0x3fb8aa3b, v71
	v_sub_f32_e32 v68, v68, v82
	v_add_f32_e32 v83, v83, v74
	v_cndmask_b32_e64 v75, 0, v75, s[20:21]
	v_exp_f32_e32 v71, v71
	v_mul_f32_e32 v68, 0x3fb8aa3b, v68
	v_sub_f32_e32 v69, v69, v82
	v_add_f32_e32 v83, v83, v75
	v_cndmask_b32_e64 v72, 0, v72, s[14:15]
	v_exp_f32_e32 v68, v68
	v_mul_f32_e32 v69, 0x3fb8aa3b, v69
	v_sub_f32_e32 v66, v66, v82
	v_add_f32_e32 v83, v83, v72
	v_cndmask_b32_e64 v73, 0, v73, s[16:17]
	v_exp_f32_e32 v69, v69
	v_mul_f32_e32 v66, 0x3fb8aa3b, v66
	v_sub_f32_e32 v67, v67, v82
	v_add_f32_e32 v83, v83, v73
	v_cndmask_b32_e64 v70, 0, v70, s[10:11]
	v_exp_f32_e32 v66, v66
	v_mul_f32_e32 v67, 0x3fb8aa3b, v67
	v_add_f32_e32 v83, v83, v70
	v_cndmask_b32_e64 v71, 0, v71, s[12:13]
	v_exp_f32_e32 v67, v67
	v_add_f32_e32 v83, v83, v71
	v_cndmask_b32_e64 v68, 0, v68, s[2:3]
	v_add_f32_e32 v83, v83, v68
	v_cndmask_b32_e64 v69, 0, v69, s[8:9]
	v_add_f32_e32 v83, v83, v69
	v_cndmask_b32_e32 v66, 0, v66, vcc
	v_add_f32_e32 v83, v83, v66
	v_cndmask_b32_e64 v67, 0, v67, s[0:1]
	v_add_f32_e32 v83, v83, v67
	ds_bpermute_b32 v84, v89, v83
	s_load_dword s3, s[4:5], 0x98
	v_cmp_gt_u32_e32 vcc, 16, v88
	s_waitcnt lgkmcnt(0)
	s_barrier
	v_add_f32_e32 v83, v83, v84
	ds_bpermute_b32 v89, v92, v83
	s_waitcnt lgkmcnt(0)
	s_and_saveexec_b64 s[0:1], vcc
	s_cbranch_execz .LBB110_15
; %bb.14:
	v_add_f32_e32 v83, v83, v89
	v_lshlrev_b32_e32 v84, 2, v90
	ds_write2st64_b32 v84, v82, v83 offset1:1
.LBB110_15:
	s_or_b64 exec, exec, s[0:1]
	v_lshlrev_b32_e32 v83, 2, v85
	s_load_dword s2, s[4:5], 0x94
	s_waitcnt lgkmcnt(0)
	s_barrier
	ds_read2_b32 v[88:89], v83 offset1:16
	ds_read2_b32 v[90:91], v83 offset0:32 offset1:48
	ds_read2_b32 v[92:93], v83 offset0:64 offset1:80
	s_mul_i32 s3, s3, 15
	s_waitcnt lgkmcnt(2)
	v_max3_f32 v82, v88, s40, v89
	s_waitcnt lgkmcnt(1)
	v_max3_f32 v82, v82, v90, v91
	v_sub_f32_e32 v84, v88, v82
	v_sub_f32_e32 v88, v89, v82
	v_mul_f32_e32 v88, 0x3fb8aa3b, v88
	v_mul_f32_e32 v84, 0x3fb8aa3b, v84
	v_exp_f32_e32 v94, v88
	v_sub_f32_e32 v88, v90, v82
	v_exp_f32_e32 v84, v84
	v_mul_f32_e32 v88, 0x3fb8aa3b, v88
	v_exp_f32_e32 v90, v88
	ds_read2_b32 v[88:89], v83 offset0:96 offset1:112
	v_sub_f32_e32 v83, v91, v82
	v_mul_f32_e32 v83, 0x3fb8aa3b, v83
	v_exp_f32_e32 v91, v83
	s_waitcnt lgkmcnt(1)
	v_fma_f32 v83, v84, v92, 0
	v_fmac_f32_e32 v83, v94, v93
	s_waitcnt lgkmcnt(0)
	v_fmac_f32_e32 v83, v90, v88
	v_fmac_f32_e32 v83, v91, v89
	v_add_f32_e32 v88, 0x358637bd, v83
	v_div_scale_f32 v89, s[0:1], v88, v88, 1.0
	v_rcp_f32_e32 v92, v89
	s_barrier
	v_fma_f32 v93, -v89, v92, 1.0
	v_fmac_f32_e32 v92, v93, v92
	v_div_scale_f32 v93, vcc, 1.0, v88, 1.0
	v_mul_f32_e32 v95, v93, v92
	v_fma_f32 v86, -v89, v95, v93
	v_fmac_f32_e32 v95, v86, v92
	v_fma_f32 v86, -v89, v95, v93
	v_div_fmas_f32 v86, v86, v92, v95
	v_cmp_eq_u32_e32 vcc, 1, v87
	v_cndmask_b32_e32 v84, v84, v94, vcc
	v_cmp_eq_u32_e32 vcc, 2, v87
	v_cndmask_b32_e32 v84, v84, v90, vcc
	v_cmp_eq_u32_e32 vcc, 3, v87
	v_div_fixup_f32 v86, v86, v88, 1.0
	v_cndmask_b32_e32 v84, v84, v91, vcc
	v_mul_f32_e32 v88, v84, v86
	v_pk_mul_f32 v[78:79], v[88:89], v[78:79] op_sel_hi:[0,1]
	v_pk_mul_f32 v[80:81], v[88:89], v[80:81] op_sel_hi:[0,1]
	v_cvt_f16_f32_e32 v80, v80
	v_cvt_f16_f32_e32 v81, v81
	;; [unrolled: 1-line block ×4, first 2 shown]
	v_pk_mul_f32 v[74:75], v[88:89], v[74:75] op_sel_hi:[0,1]
	v_pk_mul_f32 v[76:77], v[88:89], v[76:77] op_sel_hi:[0,1]
	v_cvt_f16_f32_e32 v76, v76
	v_cvt_f16_f32_e32 v77, v77
	;; [unrolled: 1-line block ×4, first 2 shown]
	v_pack_b32_f16 v80, v80, v81
	v_pack_b32_f16 v81, v78, v79
	v_lshlrev_b32_e32 v79, 3, v1
	v_lshlrev_b32_e32 v78, 5, v85
	;; [unrolled: 1-line block ×3, first 2 shown]
	v_or3_b32 v74, v74, v78, v79
	v_pack_b32_f16 v76, v76, v77
	v_pack_b32_f16 v77, v84, v75
	v_pk_mul_f32 v[70:71], v[88:89], v[70:71] op_sel_hi:[0,1]
	v_pk_mul_f32 v[72:73], v[88:89], v[72:73] op_sel_hi:[0,1]
	;; [unrolled: 1-line block ×4, first 2 shown]
	ds_write2st64_b64 v74, v[80:81], v[76:77] offset1:1
	v_cvt_f16_f32_e32 v72, v72
	v_cvt_f16_f32_e32 v73, v73
	;; [unrolled: 1-line block ×8, first 2 shown]
	v_pack_b32_f16 v66, v72, v73
	v_pack_b32_f16 v67, v70, v71
	;; [unrolled: 1-line block ×4, first 2 shown]
	v_cmp_gt_u32_e32 vcc, 15, v0
	ds_write2st64_b64 v74, v[66:67], v[68:69] offset0:2 offset1:3
	s_and_saveexec_b64 s[0:1], vcc
	s_cbranch_execz .LBB110_17
; %bb.16:
	v_add_co_u32_e32 v68, vcc, s27, v85
	v_addc_co_u32_e64 v69, s[12:13], 0, 0, vcc
	v_mov_b32_e32 v66, s3
	v_mov_b32_e32 v67, 0
	v_mad_u64_u32 v[68:69], s[12:13], s6, v66, v[68:69]
	v_mov_b32_e32 v66, s26
	s_load_dwordx4 s[8:11], s[4:5], 0x58
	s_mul_i32 s7, s7, s3
	v_mad_u64_u32 v[66:67], s[12:13], v68, s2, v[66:67]
	v_add_u32_e32 v69, s7, v69
	v_mov_b32_e32 v68, v67
	v_mad_u64_u32 v[68:69], s[12:13], v69, s2, v[68:69]
	v_mov_b32_e32 v67, v68
	v_lshlrev_b64 v[66:67], 2, v[66:67]
	s_waitcnt lgkmcnt(0)
	v_mov_b32_e32 v69, s11
	v_add_co_u32_e32 v68, vcc, s10, v66
	v_addc_co_u32_e32 v69, vcc, v69, v67, vcc
	global_store_dword v[68:69], v82, off
	v_mov_b32_e32 v68, s9
	v_add_co_u32_e32 v66, vcc, s8, v66
	v_addc_co_u32_e32 v67, vcc, v68, v67, vcc
	global_store_dword v[66:67], v83, off
.LBB110_17:
	s_or_b64 exec, exec, s[0:1]
	v_lshl_or_b32 v75, v1, 9, v78
	s_waitcnt lgkmcnt(0)
	s_barrier
	ds_read_b128 v[70:73], v75
	ds_read_b128 v[66:69], v75 offset:16
	s_waitcnt vmcnt(15) lgkmcnt(1)
	v_mfma_f32_16x16x16f16 v[76:79], v[46:47], v[70:71], 0
	s_mov_b32 s1, 0
	v_cmp_gt_u32_e32 vcc, 64, v0
	v_mfma_f32_16x16x16f16 v[46:49], v[48:49], v[72:73], v[76:79]
	s_waitcnt vmcnt(14) lgkmcnt(0)
	v_mfma_f32_16x16x16f16 v[46:49], v[42:43], v[66:67], v[46:49]
	v_mfma_f32_16x16x16f16 v[42:45], v[44:45], v[68:69], v[46:49]
	s_nop 7
	s_nop 1
	ds_read_b128 v[46:49], v75 offset:2048
	ds_read_b128 v[76:79], v75 offset:2064
	s_waitcnt vmcnt(13) lgkmcnt(1)
	v_mfma_f32_16x16x16f16 v[42:45], v[38:39], v[46:47], v[42:45]
	v_mfma_f32_16x16x16f16 v[38:41], v[40:41], v[48:49], v[42:45]
	s_waitcnt vmcnt(12) lgkmcnt(0)
	v_mfma_f32_16x16x16f16 v[38:41], v[34:35], v[76:77], v[38:41]
	v_mfma_f32_16x16x16f16 v[34:37], v[36:37], v[78:79], v[38:41]
	s_nop 7
	s_nop 1
	ds_read_b128 v[38:41], v75 offset:4096
	ds_read_b128 v[42:45], v75 offset:4112
	s_waitcnt vmcnt(11) lgkmcnt(1)
	v_mfma_f32_16x16x16f16 v[34:37], v[30:31], v[38:39], v[34:37]
	v_mfma_f32_16x16x16f16 v[30:33], v[32:33], v[40:41], v[34:37]
	s_waitcnt vmcnt(10) lgkmcnt(0)
	v_mfma_f32_16x16x16f16 v[30:33], v[26:27], v[42:43], v[30:33]
	v_mfma_f32_16x16x16f16 v[26:29], v[28:29], v[44:45], v[30:33]
	s_nop 7
	s_nop 1
	ds_read_b128 v[30:33], v75 offset:6144
	ds_read_b128 v[34:37], v75 offset:6160
	s_waitcnt lgkmcnt(0)
	s_barrier
	s_waitcnt vmcnt(9)
	v_mfma_f32_16x16x16f16 v[26:29], v[22:23], v[30:31], v[26:29]
	v_mfma_f32_16x16x16f16 v[22:25], v[24:25], v[32:33], v[26:29]
	s_waitcnt vmcnt(8)
	v_mfma_f32_16x16x16f16 v[22:25], v[18:19], v[34:35], v[22:25]
	v_mfma_f32_16x16x16f16 v[18:21], v[20:21], v[36:37], v[22:25]
	;; [unrolled: 3-line block ×4, first 2 shown]
	s_waitcnt vmcnt(5)
	v_mfma_f32_16x16x16f16 v[2:5], v[14:15], v[46:47], v[2:5]
	s_nop 7
	v_cvt_f16_f32_e32 v6, v18
	v_cvt_f16_f32_e32 v7, v19
	;; [unrolled: 1-line block ×4, first 2 shown]
	v_mfma_f32_16x16x16f16 v[2:5], v[16:17], v[48:49], v[2:5]
	s_waitcnt vmcnt(4)
	v_mfma_f32_16x16x16f16 v[2:5], v[10:11], v[76:77], v[2:5]
	v_mfma_f32_16x16x16f16 v[2:5], v[12:13], v[78:79], v[2:5]
	s_waitcnt vmcnt(3)
	v_mfma_f32_16x16x16f16 v[2:5], v[54:55], v[38:39], v[2:5]
	;; [unrolled: 3-line block ×5, first 2 shown]
	v_mfma_f32_16x16x16f16 v[2:5], v[60:61], v[36:37], v[2:5]
	s_nop 7
	s_nop 2
	v_cvt_f16_f32_e32 v10, v2
	v_cvt_f16_f32_e32 v11, v3
	;; [unrolled: 1-line block ×4, first 2 shown]
	v_pack_b32_f16 v2, v6, v7
	v_pack_b32_f16 v3, v8, v9
	;; [unrolled: 1-line block ×4, first 2 shown]
	ds_write2st64_b64 v74, v[2:3], v[4:5] offset1:1
	s_waitcnt lgkmcnt(0)
	s_barrier
	s_and_saveexec_b64 s[8:9], vcc
	s_cbranch_execz .LBB110_20
; %bb.18:
	v_lshlrev_b32_e32 v4, 6, v85
	v_lshlrev_b32_e32 v3, 4, v0
	v_lshl_or_b32 v0, v0, 10, v4
	v_lshlrev_b32_e32 v2, 5, v1
	v_and_b32_e32 v3, 16, v3
	v_and_b32_e32 v0, 0x1a00, v0
	v_or3_b32 v0, v0, v2, v3
	buffer_load_dword v2, off, s[44:47], 0  ; 4-byte Folded Reload
	s_load_dwordx2 s[4:5], s[4:5], 0x68
	s_lshl_b32 s2, s2, 7
	s_mul_i32 s0, s3, s6
	s_mul_hi_u32 s7, s0, s2
	s_mul_i32 s6, s0, s2
	s_lshl_b64 s[6:7], s[6:7], 1
	s_waitcnt lgkmcnt(0)
	s_add_u32 s3, s4, s6
	s_addc_u32 s4, s5, s7
	s_lshl_b32 s0, s26, 7
	s_lshl_b64 s[0:1], s[0:1], 1
	s_add_u32 s0, s3, s0
	ds_read_b128 v[4:7], v0 offset:256
	s_addc_u32 s1, s4, s1
	ds_read_b128 v[8:11], v0 offset:128
	ds_read_b128 v[12:15], v0
	v_add_u32_e32 v18, s27, v1
	v_mov_b32_e32 v3, s1
	s_waitcnt vmcnt(0)
	v_add_co_u32_e32 v2, vcc, s0, v2
	v_mad_u64_u32 v[16:17], s[0:1], v18, s2, 0
	v_addc_co_u32_e32 v3, vcc, 0, v3, vcc
	v_lshlrev_b64 v[16:17], 1, v[16:17]
	v_add_co_u32_e32 v16, vcc, v2, v16
	v_addc_co_u32_e32 v17, vcc, v3, v17, vcc
	s_waitcnt lgkmcnt(0)
	global_store_dwordx4 v[16:17], v[12:15], off
	s_nop 0
	v_add_u32_e32 v12, 4, v18
	v_mad_u64_u32 v[12:13], s[0:1], v12, s2, 0
	v_lshlrev_b64 v[12:13], 1, v[12:13]
	v_add_co_u32_e32 v12, vcc, v2, v12
	v_addc_co_u32_e32 v13, vcc, v3, v13, vcc
	global_store_dwordx4 v[12:13], v[8:11], off
	s_nop 0
	v_add_u32_e32 v8, 8, v18
	v_mad_u64_u32 v[8:9], s[0:1], v8, s2, 0
	v_lshlrev_b64 v[8:9], 1, v[8:9]
	v_add_co_u32_e32 v8, vcc, v2, v8
	v_addc_co_u32_e32 v9, vcc, v3, v9, vcc
	v_cmp_ne_u32_e32 vcc, 3, v1
	global_store_dwordx4 v[8:9], v[4:7], off
	s_and_b64 exec, exec, vcc
	s_cbranch_execz .LBB110_20
; %bb.19:
	ds_read_b128 v[4:7], v0 offset:384
	v_add3_u32 v0, s27, v1, 12
	v_mad_u64_u32 v[0:1], s[0:1], v0, s2, 0
	v_lshlrev_b64 v[0:1], 1, v[0:1]
	v_add_co_u32_e32 v0, vcc, v2, v0
	v_addc_co_u32_e32 v1, vcc, v3, v1, vcc
	s_waitcnt lgkmcnt(0)
	global_store_dwordx4 v[0:1], v[4:7], off
.LBB110_20:
	s_endpgm
	.section	.rodata,"a",@progbits
	.p2align	6, 0x0
	.amdhsa_kernel _Z39paged_attention_ll4mi_QKV_mfma16_kernelIDF16_DF16_LN4vllm18Fp8KVCacheDataTypeE0EDF16_Li16ELi128ELi256ELb1ELi15EL8MFMAType0EEvPKT_PKT0_S8_ifPKiSA_SA_iPKfiiiPfSD_PS3_PT2_iSC_SC_
		.amdhsa_group_segment_fixed_size 8192
		.amdhsa_private_segment_fixed_size 8
		.amdhsa_kernarg_size 400
		.amdhsa_user_sgpr_count 6
		.amdhsa_user_sgpr_private_segment_buffer 1
		.amdhsa_user_sgpr_dispatch_ptr 0
		.amdhsa_user_sgpr_queue_ptr 0
		.amdhsa_user_sgpr_kernarg_segment_ptr 1
		.amdhsa_user_sgpr_dispatch_id 0
		.amdhsa_user_sgpr_flat_scratch_init 0
		.amdhsa_user_sgpr_kernarg_preload_length 0
		.amdhsa_user_sgpr_kernarg_preload_offset 0
		.amdhsa_user_sgpr_private_segment_size 0
		.amdhsa_uses_dynamic_stack 0
		.amdhsa_system_sgpr_private_segment_wavefront_offset 1
		.amdhsa_system_sgpr_workgroup_id_x 1
		.amdhsa_system_sgpr_workgroup_id_y 1
		.amdhsa_system_sgpr_workgroup_id_z 1
		.amdhsa_system_sgpr_workgroup_info 0
		.amdhsa_system_vgpr_workitem_id 0
		.amdhsa_next_free_vgpr 96
		.amdhsa_next_free_sgpr 48
		.amdhsa_accum_offset 96
		.amdhsa_reserve_vcc 1
		.amdhsa_reserve_flat_scratch 0
		.amdhsa_float_round_mode_32 0
		.amdhsa_float_round_mode_16_64 0
		.amdhsa_float_denorm_mode_32 3
		.amdhsa_float_denorm_mode_16_64 3
		.amdhsa_dx10_clamp 1
		.amdhsa_ieee_mode 1
		.amdhsa_fp16_overflow 0
		.amdhsa_tg_split 0
		.amdhsa_exception_fp_ieee_invalid_op 0
		.amdhsa_exception_fp_denorm_src 0
		.amdhsa_exception_fp_ieee_div_zero 0
		.amdhsa_exception_fp_ieee_overflow 0
		.amdhsa_exception_fp_ieee_underflow 0
		.amdhsa_exception_fp_ieee_inexact 0
		.amdhsa_exception_int_div_zero 0
	.end_amdhsa_kernel
	.section	.text._Z39paged_attention_ll4mi_QKV_mfma16_kernelIDF16_DF16_LN4vllm18Fp8KVCacheDataTypeE0EDF16_Li16ELi128ELi256ELb1ELi15EL8MFMAType0EEvPKT_PKT0_S8_ifPKiSA_SA_iPKfiiiPfSD_PS3_PT2_iSC_SC_,"axG",@progbits,_Z39paged_attention_ll4mi_QKV_mfma16_kernelIDF16_DF16_LN4vllm18Fp8KVCacheDataTypeE0EDF16_Li16ELi128ELi256ELb1ELi15EL8MFMAType0EEvPKT_PKT0_S8_ifPKiSA_SA_iPKfiiiPfSD_PS3_PT2_iSC_SC_,comdat
.Lfunc_end110:
	.size	_Z39paged_attention_ll4mi_QKV_mfma16_kernelIDF16_DF16_LN4vllm18Fp8KVCacheDataTypeE0EDF16_Li16ELi128ELi256ELb1ELi15EL8MFMAType0EEvPKT_PKT0_S8_ifPKiSA_SA_iPKfiiiPfSD_PS3_PT2_iSC_SC_, .Lfunc_end110-_Z39paged_attention_ll4mi_QKV_mfma16_kernelIDF16_DF16_LN4vllm18Fp8KVCacheDataTypeE0EDF16_Li16ELi128ELi256ELb1ELi15EL8MFMAType0EEvPKT_PKT0_S8_ifPKiSA_SA_iPKfiiiPfSD_PS3_PT2_iSC_SC_
                                        ; -- End function
	.section	.AMDGPU.csdata,"",@progbits
; Kernel info:
; codeLenInByte = 4976
; NumSgprs: 52
; NumVgprs: 96
; NumAgprs: 0
; TotalNumVgprs: 96
; ScratchSize: 8
; MemoryBound: 0
; FloatMode: 240
; IeeeMode: 1
; LDSByteSize: 8192 bytes/workgroup (compile time only)
; SGPRBlocks: 6
; VGPRBlocks: 11
; NumSGPRsForWavesPerEU: 52
; NumVGPRsForWavesPerEU: 96
; AccumOffset: 96
; Occupancy: 5
; WaveLimiterHint : 1
; COMPUTE_PGM_RSRC2:SCRATCH_EN: 1
; COMPUTE_PGM_RSRC2:USER_SGPR: 6
; COMPUTE_PGM_RSRC2:TRAP_HANDLER: 0
; COMPUTE_PGM_RSRC2:TGID_X_EN: 1
; COMPUTE_PGM_RSRC2:TGID_Y_EN: 1
; COMPUTE_PGM_RSRC2:TGID_Z_EN: 1
; COMPUTE_PGM_RSRC2:TIDIG_COMP_CNT: 0
; COMPUTE_PGM_RSRC3_GFX90A:ACCUM_OFFSET: 23
; COMPUTE_PGM_RSRC3_GFX90A:TG_SPLIT: 0
	.section	.text._Z39paged_attention_ll4mi_QKV_mfma16_kernelIDF16_DF16_LN4vllm18Fp8KVCacheDataTypeE0EDF16_Li16ELi128ELi256ELb1ELi16EL8MFMAType0EEvPKT_PKT0_S8_ifPKiSA_SA_iPKfiiiPfSD_PS3_PT2_iSC_SC_,"axG",@progbits,_Z39paged_attention_ll4mi_QKV_mfma16_kernelIDF16_DF16_LN4vllm18Fp8KVCacheDataTypeE0EDF16_Li16ELi128ELi256ELb1ELi16EL8MFMAType0EEvPKT_PKT0_S8_ifPKiSA_SA_iPKfiiiPfSD_PS3_PT2_iSC_SC_,comdat
	.protected	_Z39paged_attention_ll4mi_QKV_mfma16_kernelIDF16_DF16_LN4vllm18Fp8KVCacheDataTypeE0EDF16_Li16ELi128ELi256ELb1ELi16EL8MFMAType0EEvPKT_PKT0_S8_ifPKiSA_SA_iPKfiiiPfSD_PS3_PT2_iSC_SC_ ; -- Begin function _Z39paged_attention_ll4mi_QKV_mfma16_kernelIDF16_DF16_LN4vllm18Fp8KVCacheDataTypeE0EDF16_Li16ELi128ELi256ELb1ELi16EL8MFMAType0EEvPKT_PKT0_S8_ifPKiSA_SA_iPKfiiiPfSD_PS3_PT2_iSC_SC_
	.globl	_Z39paged_attention_ll4mi_QKV_mfma16_kernelIDF16_DF16_LN4vllm18Fp8KVCacheDataTypeE0EDF16_Li16ELi128ELi256ELb1ELi16EL8MFMAType0EEvPKT_PKT0_S8_ifPKiSA_SA_iPKfiiiPfSD_PS3_PT2_iSC_SC_
	.p2align	8
	.type	_Z39paged_attention_ll4mi_QKV_mfma16_kernelIDF16_DF16_LN4vllm18Fp8KVCacheDataTypeE0EDF16_Li16ELi128ELi256ELb1ELi16EL8MFMAType0EEvPKT_PKT0_S8_ifPKiSA_SA_iPKfiiiPfSD_PS3_PT2_iSC_SC_,@function
_Z39paged_attention_ll4mi_QKV_mfma16_kernelIDF16_DF16_LN4vllm18Fp8KVCacheDataTypeE0EDF16_Li16ELi128ELi256ELb1ELi16EL8MFMAType0EEvPKT_PKT0_S8_ifPKiSA_SA_iPKfiiiPfSD_PS3_PT2_iSC_SC_: ; @_Z39paged_attention_ll4mi_QKV_mfma16_kernelIDF16_DF16_LN4vllm18Fp8KVCacheDataTypeE0EDF16_Li16ELi128ELi256ELb1ELi16EL8MFMAType0EEvPKT_PKT0_S8_ifPKiSA_SA_iPKfiiiPfSD_PS3_PT2_iSC_SC_
; %bb.0:
	s_mov_b64 s[46:47], s[2:3]
	s_mov_b64 s[44:45], s[0:1]
	s_load_dwordx2 s[0:1], s[4:5], 0x30
	s_add_u32 s44, s44, s9
	s_addc_u32 s45, s45, 0
	s_mov_b32 s26, s7
	s_mov_b64 s[10:11], 0
	s_waitcnt lgkmcnt(0)
	s_cmp_lg_u64 s[0:1], 0
	s_cselect_b64 s[2:3], -1, 0
	s_and_b64 vcc, exec, s[2:3]
	s_cbranch_vccz .LBB111_7
; %bb.1:
	s_add_i32 s12, s6, 1
	s_mov_b32 s13, 0
	s_lshl_b64 s[14:15], s[12:13], 2
	s_add_u32 s14, s0, s14
	s_mov_b32 s7, s13
	s_addc_u32 s15, s1, s15
	s_lshl_b64 s[12:13], s[6:7], 2
	s_add_u32 s12, s0, s12
	s_addc_u32 s13, s1, s13
	s_load_dword s9, s[14:15], 0x0
	s_load_dword s16, s[12:13], 0x0
	s_waitcnt lgkmcnt(0)
	s_sub_i32 s9, s9, s16
	s_cmp_eq_u32 s9, 1
	s_cselect_b64 s[12:13], -1, 0
	s_andn2_b64 vcc, exec, s[10:11]
	s_cbranch_vccnz .LBB111_3
.LBB111_2:
	s_mov_b32 s7, 0
	s_mov_b64 s[12:13], -1
.LBB111_3:
	s_andn2_b64 vcc, exec, s[12:13]
	s_cbranch_vccnz .LBB111_17
; %bb.4:
	s_load_dwordx2 s[10:11], s[4:5], 0x28
	s_lshl_b64 s[16:17], s[6:7], 2
	s_waitcnt lgkmcnt(0)
	s_add_u32 s10, s10, s16
	s_addc_u32 s11, s11, s17
	s_load_dword s38, s[10:11], 0x0
	s_lshl_b32 s9, s26, 8
	s_waitcnt lgkmcnt(0)
	s_cmp_ge_i32 s9, s38
	s_cbranch_scc1 .LBB111_17
; %bb.5:
	s_add_i32 s13, s38, 15
	s_load_dwordx2 s[10:11], s[4:5], 0x20
	s_load_dword s12, s[4:5], 0x38
	s_ashr_i32 s14, s13, 31
	v_and_b32_e32 v1, 0xcf, v0
	s_lshr_b32 s14, s14, 28
	v_add_u32_e32 v1, s9, v1
	s_add_i32 s13, s13, s14
	v_ashrrev_i32_e32 v2, 31, v1
	s_ashr_i32 s20, s13, 4
	v_lshrrev_b32_e32 v6, 28, v2
	s_add_i32 s20, s20, -1
	v_add_u32_e32 v2, v1, v6
	s_waitcnt lgkmcnt(0)
	s_mul_i32 s12, s6, s12
	s_mov_b32 s13, 0
	v_ashrrev_i32_e32 v2, 4, v2
	v_mov_b32_e32 v7, s20
	v_cmp_gt_i32_e32 vcc, s38, v1
	s_lshl_b64 s[12:13], s[12:13], 2
	v_cndmask_b32_e32 v2, v7, v2, vcc
	s_add_u32 s18, s10, s12
	v_ashrrev_i32_e32 v3, 31, v2
	s_addc_u32 s19, s11, s13
	v_lshlrev_b64 v[2:3], 2, v[2:3]
	v_mov_b32_e32 v5, s19
	v_add_co_u32_e32 v4, vcc, s18, v2
	v_or_b32_e32 v2, 16, v1
	v_addc_co_u32_e32 v5, vcc, v5, v3, vcc
	v_add_u32_e32 v3, v2, v6
	v_ashrrev_i32_e32 v3, 4, v3
	v_cmp_gt_i32_e32 vcc, s38, v2
	v_cndmask_b32_e32 v2, v7, v3, vcc
	v_ashrrev_i32_e32 v3, 31, v2
	v_lshlrev_b64 v[2:3], 2, v[2:3]
	v_mov_b32_e32 v9, s19
	v_add_co_u32_e32 v8, vcc, s18, v2
	v_or_b32_e32 v2, 32, v1
	v_addc_co_u32_e32 v9, vcc, v9, v3, vcc
	v_add_u32_e32 v3, v2, v6
	v_ashrrev_i32_e32 v3, 4, v3
	v_cmp_gt_i32_e32 vcc, s38, v2
	v_cndmask_b32_e32 v2, v7, v3, vcc
	v_ashrrev_i32_e32 v3, 31, v2
	;; [unrolled: 10-line block ×3, first 2 shown]
	v_lshlrev_b64 v[2:3], 2, v[2:3]
	v_mov_b32_e32 v1, s19
	v_add_co_u32_e32 v12, vcc, s18, v2
	v_addc_co_u32_e32 v13, vcc, v1, v3, vcc
	global_load_dword v3, v[4:5], off
	global_load_dword v2, v[8:9], off
	global_load_dword v6, v[10:11], off
	global_load_dword v28, v[12:13], off
	s_load_dwordx2 s[10:11], s[4:5], 0x40
	s_load_dwordx4 s[12:15], s[4:5], 0x8
	s_andn2_b64 vcc, exec, s[2:3]
	s_cbranch_vccnz .LBB111_8
; %bb.6:
	s_add_u32 s0, s0, s16
	s_addc_u32 s1, s1, s17
	s_load_dword s21, s[0:1], 0x0
	s_branch .LBB111_9
.LBB111_7:
	s_mov_b64 s[12:13], 0
	s_branch .LBB111_2
.LBB111_8:
	s_mov_b32 s21, s6
.LBB111_9:
	s_load_dwordx4 s[0:3], s[4:5], 0x48
	v_and_b32_e32 v86, 15, v0
	v_lshlrev_b32_e32 v4, 3, v86
	s_waitcnt lgkmcnt(0)
	s_movk_i32 s3, 0x100
	v_lshrrev_b32_e32 v88, 6, v0
	v_bfe_u32 v1, v0, 4, 2
	s_lshl_b32 s27, s8, 4
	v_cmp_gt_u32_e32 vcc, s3, v0
	v_lshlrev_b32_e32 v4, 1, v4
	buffer_store_dword v4, off, s[44:47], 0 ; 4-byte Folded Spill
	s_and_saveexec_b64 s[16:17], vcc
	s_cbranch_execz .LBB111_11
; %bb.10:
	s_load_dwordx2 s[22:23], s[4:5], 0x0
	s_ashr_i32 s3, s0, 31
	s_mul_hi_u32 s24, s21, s0
	s_mul_i32 s3, s21, s3
	v_lshl_or_b32 v7, v88, 2, v1
	s_add_i32 s25, s24, s3
	s_mul_i32 s24, s21, s0
	s_lshl_b64 s[24:25], s[24:25], 1
	v_add_lshl_u32 v4, v7, s27, 7
	s_waitcnt lgkmcnt(0)
	s_add_u32 s0, s22, s24
	v_ashrrev_i32_e32 v5, 31, v4
	s_addc_u32 s3, s23, s25
	v_lshlrev_b64 v[4:5], 1, v[4:5]
	v_mov_b32_e32 v8, s3
	v_add_co_u32_e32 v4, vcc, s0, v4
	v_addc_co_u32_e32 v5, vcc, v8, v5, vcc
	buffer_load_dword v8, off, s[44:47], 0  ; 4-byte Folded Reload
	s_waitcnt vmcnt(0)
	v_add_co_u32_e32 v4, vcc, v4, v8
	v_addc_co_u32_e32 v5, vcc, 0, v5, vcc
	global_load_dwordx4 v[8:11], v[4:5], off
	v_and_b32_e32 v4, 3, v0
	v_lshlrev_b32_e32 v5, 5, v7
	v_lshlrev_b32_e32 v7, 9, v86
	;; [unrolled: 1-line block ×3, first 2 shown]
	v_and_b32_e32 v7, 0x1800, v7
	v_or3_b32 v4, v7, v4, v5
	s_waitcnt vmcnt(0)
	ds_write_b128 v4, v[8:11]
.LBB111_11:
	s_or_b64 exec, exec, s[16:17]
	s_mul_i32 s2, s8, s2
	s_mov_b32 s3, 0
	s_lshl_b64 s[2:3], s[2:3], 1
	s_add_u32 s8, s12, s2
	v_lshlrev_b32_e32 v7, 4, v0
	s_addc_u32 s12, s13, s3
	v_and_b32_e32 v4, 0xf0, v7
	v_mov_b32_e32 v5, s12
	v_add_co_u32_e32 v29, vcc, s8, v4
	v_addc_co_u32_e32 v30, vcc, 0, v5, vcc
	s_waitcnt vmcnt(4)
	v_mad_i64_i32 v[4:5], s[12:13], v3, s1, 0
	v_lshlrev_b64 v[4:5], 1, v[4:5]
	v_add_co_u32_e32 v3, vcc, v29, v4
	v_addc_co_u32_e32 v4, vcc, v30, v5, vcc
	v_and_b32_e32 v31, 0x300, v7
	v_add_co_u32_e32 v22, vcc, v3, v31
	v_addc_co_u32_e32 v23, vcc, 0, v4, vcc
	s_load_dword s33, s[4:5], 0x98
	s_load_dword s0, s[4:5], 0x1c
	s_waitcnt lgkmcnt(0)
	s_barrier
	global_load_dwordx4 v[10:13], v[22:23], off
	global_load_dwordx4 v[18:21], v[22:23], off offset:1024
	s_waitcnt vmcnt(5)
	v_mad_i64_i32 v[2:3], s[12:13], v2, s1, 0
	v_lshlrev_b64 v[2:3], 1, v[2:3]
	v_add_co_u32_e32 v2, vcc, v29, v2
	v_addc_co_u32_e32 v3, vcc, v30, v3, vcc
	v_add_co_u32_e32 v24, vcc, v2, v31
	v_lshlrev_b32_e32 v2, 5, v86
	v_addc_co_u32_e32 v25, vcc, 0, v3, vcc
	v_lshl_or_b32 v87, v1, 9, v2
	global_load_dwordx4 v[14:17], v[24:25], off
	global_load_dwordx4 v[36:39], v[24:25], off offset:1024
	s_waitcnt vmcnt(6)
	v_mad_i64_i32 v[6:7], s[12:13], v6, s1, 0
	buffer_store_dword v2, off, s[44:47], 0 offset:4 ; 4-byte Folded Spill
	ds_read_b128 v[2:5], v87
	v_lshlrev_b64 v[26:27], 1, v[6:7]
	ds_read_b128 v[6:9], v87 offset:2048
	v_mov_b32_e32 v66, s19
	v_mov_b32_e32 v67, s19
	s_add_u32 s8, s14, s2
	s_mov_b32 s40, 0xff7fffff
	s_waitcnt vmcnt(4) lgkmcnt(1)
	v_mfma_f32_16x16x16f16 v[32:35], v[10:11], v[2:3], 0
	v_add_co_u32_e32 v10, vcc, v29, v26
	v_addc_co_u32_e32 v11, vcc, v30, v27, vcc
	v_add_co_u32_e32 v26, vcc, v10, v31
	v_addc_co_u32_e32 v27, vcc, 0, v11, vcc
	global_load_dwordx4 v[44:47], v[26:27], off
	global_load_dwordx4 v[58:61], v[26:27], off offset:1024
	s_waitcnt vmcnt(4)
	v_mfma_f32_16x16x16f16 v[40:43], v[14:15], v[2:3], 0
	v_mfma_f32_16x16x16f16 v[14:17], v[16:17], v[4:5], v[40:43]
	s_nop 7
	s_nop 1
	global_load_dwordx4 v[40:43], v[22:23], off offset:2048
	v_mfma_f32_16x16x16f16 v[10:13], v[12:13], v[4:5], v[32:35]
	s_waitcnt vmcnt(4) lgkmcnt(0)
	v_mfma_f32_16x16x16f16 v[14:17], v[36:37], v[6:7], v[14:17]
	v_mfma_f32_16x16x16f16 v[10:13], v[18:19], v[6:7], v[10:13]
	;; [unrolled: 1-line block ×3, first 2 shown]
	global_load_dwordx4 v[36:39], v[22:23], off offset:3072
	v_mfma_f32_16x16x16f16 v[18:21], v[20:21], v[8:9], v[10:13]
	s_waitcnt vmcnt(3)
	v_mfma_f32_16x16x16f16 v[48:51], v[44:45], v[2:3], 0
	v_mfma_f32_16x16x16f16 v[32:35], v[46:47], v[4:5], v[48:51]
	global_load_dwordx4 v[44:47], v[24:25], off offset:2048
	s_nop 3
	ds_read_b128 v[10:13], v87 offset:4096
	s_nop 3
	ds_read_b128 v[50:53], v87 offset:6144
	global_load_dwordx4 v[22:25], v[24:25], off offset:3072
	v_and_or_b32 v48, v0, 48, s9
	global_load_dwordx4 v[62:65], v[26:27], off offset:2048
	v_mov_b32_e32 v49, s20
	v_cmp_gt_i32_e32 vcc, s38, v48
	s_waitcnt vmcnt(4) lgkmcnt(1)
	v_mfma_f32_16x16x16f16 v[18:21], v[40:41], v[10:11], v[18:21]
	v_mad_i64_i32 v[40:41], s[12:13], v28, s1, 0
	v_or_b32_e32 v54, 64, v48
	v_ashrrev_i32_e32 v55, 4, v54
	v_mov_b32_e32 v28, s19
	v_or_b32_e32 v68, 0x80, v48
	v_ashrrev_i32_e32 v69, 4, v68
	v_mfma_f32_16x16x16f16 v[18:21], v[42:43], v[12:13], v[18:21]
	s_waitcnt vmcnt(3) lgkmcnt(0)
	v_mfma_f32_16x16x16f16 v[18:21], v[36:37], v[50:51], v[18:21]
	s_waitcnt vmcnt(2)
	v_mfma_f32_16x16x16f16 v[14:17], v[44:45], v[10:11], v[14:17]
	v_lshlrev_b64 v[44:45], 1, v[40:41]
	v_ashrrev_i32_e32 v40, 4, v48
	v_mfma_f32_16x16x16f16 v[14:17], v[46:47], v[12:13], v[14:17]
	v_cndmask_b32_e32 v46, v49, v40, vcc
	global_load_dwordx4 v[40:43], v[26:27], off offset:3072
	v_ashrrev_i32_e32 v47, 31, v46
	v_cmp_gt_i32_e32 vcc, s38, v54
	v_lshlrev_b64 v[36:37], 2, v[46:47]
	v_cndmask_b32_e32 v26, v49, v55, vcc
	v_add_co_u32_e32 v36, vcc, s18, v36
	v_addc_co_u32_e32 v37, vcc, v28, v37, vcc
	s_waitcnt vmcnt(2)
	v_mfma_f32_16x16x16f16 v[14:17], v[22:23], v[50:51], v[14:17]
	v_add_co_u32_e32 v22, vcc, v29, v44
	v_addc_co_u32_e32 v23, vcc, v30, v45, vcc
	v_add_co_u32_e32 v28, vcc, v22, v31
	v_addc_co_u32_e32 v29, vcc, 0, v23, vcc
	v_mfma_f32_16x16x16f16 v[54:57], v[38:39], v[52:53], v[18:21]
	s_nop 6
	global_load_dwordx4 v[18:21], v[28:29], off
	global_load_dword v30, v[36:37], off
	v_ashrrev_i32_e32 v27, 31, v26
	v_cmp_gt_i32_e32 vcc, s38, v68
	v_lshlrev_b64 v[26:27], 2, v[26:27]
	v_cndmask_b32_e32 v22, v49, v69, vcc
	v_ashrrev_i32_e32 v23, 31, v22
	global_load_dwordx4 v[72:75], v[28:29], off offset:2048
	v_mfma_f32_16x16x16f16 v[68:71], v[24:25], v[52:53], v[14:17]
	s_nop 6
	v_add_co_u32_e32 v14, vcc, s18, v26
	v_addc_co_u32_e32 v15, vcc, v66, v27, vcc
	global_load_dword v31, v[14:15], off
	v_lshlrev_b64 v[26:27], 2, v[22:23]
	v_add_co_u32_e32 v26, vcc, s18, v26
	v_addc_co_u32_e32 v27, vcc, v67, v27, vcc
	v_mfma_f32_16x16x16f16 v[22:25], v[58:59], v[6:7], v[32:35]
	v_or_b32_e32 v66, s27, v86
	v_ashrrev_i32_e32 v67, 31, v66
	s_nop 4
	global_load_dword v32, v[26:27], off
	global_load_dwordx4 v[14:17], v[28:29], off offset:1024
	v_mfma_f32_16x16x16f16 v[22:25], v[60:61], v[8:9], v[22:25]
	v_or_b32_e32 v26, 0xc0, v48
	v_ashrrev_i32_e32 v27, 4, v26
	v_cmp_gt_i32_e32 vcc, s38, v26
	v_cndmask_b32_e32 v26, v49, v27, vcc
	v_ashrrev_i32_e32 v27, 31, v26
	v_lshlrev_b64 v[26:27], 2, v[26:27]
	v_mov_b32_e32 v33, s19
	s_waitcnt vmcnt(7)
	v_mfma_f32_16x16x16f16 v[22:25], v[62:63], v[10:11], v[22:25]
	v_add_co_u32_e32 v26, vcc, s18, v26
	v_addc_co_u32_e32 v27, vcc, v33, v27, vcc
	global_load_dword v58, v[26:27], off
	v_lshlrev_b64 v[26:27], 2, v[66:67]
	v_add_co_u32_e32 v26, vcc, s10, v26
	v_mfma_f32_16x16x16f16 v[22:25], v[64:65], v[12:13], v[22:25]
	global_load_dwordx4 v[62:65], v[28:29], off offset:3072
	v_mov_b32_e32 v28, s11
	v_addc_co_u32_e32 v27, vcc, v28, v27, vcc
	global_load_dword v91, v[26:27], off
	s_addc_u32 s10, s15, s3
	v_lshl_or_b32 v67, v88, 4, v86
	s_waitcnt vmcnt(9)
	v_mfma_f32_16x16x16f16 v[22:25], v[40:41], v[50:51], v[22:25]
	v_lshlrev_b32_e32 v80, 5, v67
	v_mov_b32_e32 v26, s10
	v_add_co_u32_e32 v81, vcc, s8, v80
	v_addc_co_u32_e32 v82, vcc, 0, v26, vcc
	v_mfma_f32_16x16x16f16 v[92:95], v[42:43], v[52:53], v[22:25]
	s_waitcnt vmcnt(7)
	s_nop 5
	v_mad_i64_i32 v[22:23], s[2:3], v30, s1, 0
	v_lshlrev_b64 v[76:77], 1, v[22:23]
	v_mfma_f32_16x16x16f16 v[22:25], v[18:19], v[2:3], 0
	v_add_co_u32_e32 v2, vcc, v81, v76
	v_addc_co_u32_e32 v3, vcc, v82, v77, vcc
	global_load_dwordx4 v[46:49], v[2:3], off
	global_load_dwordx4 v[42:45], v[2:3], off offset:16
	s_waitcnt vmcnt(7)
	v_mad_i64_i32 v[2:3], s[2:3], v31, s1, 0
	v_lshlrev_b64 v[78:79], 1, v[2:3]
	v_mfma_f32_16x16x16f16 v[2:5], v[20:21], v[4:5], v[22:25]
	v_add_co_u32_e32 v18, vcc, v81, v78
	v_addc_co_u32_e32 v19, vcc, v82, v79, vcc
	global_load_dwordx4 v[38:41], v[18:19], off
	global_load_dwordx4 v[34:37], v[18:19], off offset:16
	s_waitcnt vmcnt(8)
	v_mad_i64_i32 v[18:19], s[2:3], v32, s1, 0
	s_waitcnt vmcnt(7)
	v_mfma_f32_16x16x16f16 v[2:5], v[14:15], v[6:7], v[2:5]
	v_lshlrev_b64 v[60:61], 1, v[18:19]
	v_add_co_u32_e32 v6, vcc, v81, v60
	v_addc_co_u32_e32 v7, vcc, v82, v61, vcc
	global_load_dwordx4 v[30:33], v[6:7], off
	global_load_dwordx4 v[26:29], v[6:7], off offset:16
	s_waitcnt vmcnt(8)
	v_mad_i64_i32 v[6:7], s[2:3], v58, s1, 0
	v_mfma_f32_16x16x16f16 v[2:5], v[16:17], v[8:9], v[2:5]
	v_lshlrev_b64 v[58:59], 1, v[6:7]
	v_add_co_u32_e32 v6, vcc, v81, v58
	v_addc_co_u32_e32 v7, vcc, v82, v59, vcc
	global_load_dwordx4 v[22:25], v[6:7], off
	global_load_dwordx4 v[18:21], v[6:7], off offset:16
	v_or_b32_e32 v6, 0x800, v80
	v_mfma_f32_16x16x16f16 v[2:5], v[72:73], v[10:11], v[2:5]
	v_mov_b32_e32 v7, s10
	v_add_co_u32_e32 v89, vcc, s8, v6
	v_addc_co_u32_e32 v90, vcc, 0, v7, vcc
	v_pk_mul_f32 v[80:81], s[0:1], v[56:57] op_sel_hi:[0,1]
	v_mfma_f32_16x16x16f16 v[10:13], v[74:75], v[12:13], v[2:5]
	v_pk_mul_f32 v[74:75], s[0:1], v[92:93] op_sel_hi:[0,1]
	s_waitcnt vmcnt(9)
	v_mfma_f32_16x16x16f16 v[82:85], v[62:63], v[50:51], v[10:13]
	s_nop 3
	v_add_co_u32_e32 v2, vcc, v89, v76
	v_addc_co_u32_e32 v3, vcc, v90, v77, vcc
	v_pk_mul_f32 v[76:77], s[0:1], v[70:71] op_sel_hi:[0,1]
	v_add_co_u32_e32 v72, vcc, v89, v78
	v_mfma_f32_16x16x16f16 v[50:53], v[64:65], v[52:53], v[82:85]
	v_addc_co_u32_e32 v73, vcc, v90, v79, vcc
	v_pk_mul_f32 v[78:79], s[0:1], v[68:69] op_sel_hi:[0,1]
	v_pk_mul_f32 v[62:63], s[0:1], v[54:55] op_sel_hi:[0,1]
	global_load_dwordx4 v[6:9], v[2:3], off
	s_nop 0
	global_load_dwordx4 v[2:5], v[2:3], off offset:16
	s_nop 0
	global_load_dwordx4 v[14:17], v[72:73], off
	global_load_dwordx4 v[10:13], v[72:73], off offset:16
	v_pk_mul_f32 v[72:73], s[0:1], v[94:95] op_sel_hi:[0,1]
	s_nop 0
	v_pk_mul_f32 v[70:71], s[0:1], v[50:51] op_sel_hi:[0,1]
	v_and_b32_e32 v50, 0xc0, v0
	v_add_u32_e32 v50, s9, v50
	v_lshl_or_b32 v50, v1, 2, v50
	v_or_b32_e32 v51, 1, v50
	v_pk_mul_f32 v[68:69], s[0:1], v[52:53] op_sel_hi:[0,1]
	v_subrev_u32_e32 v52, s38, v51
	v_add_u32_e32 v54, 1, v52
	v_add_u32_e32 v55, 2, v52
	v_cvt_f32_i32_e32 v53, v52
	v_cvt_f32_i32_e32 v54, v54
	;; [unrolled: 1-line block ×3, first 2 shown]
	v_add_u32_e32 v56, 3, v52
	s_waitcnt vmcnt(12)
	v_fma_f32 v62, v91, v53, v62
	v_fmac_f32_e32 v63, v91, v54
	v_fma_f32 v80, v91, v55, v80
	v_add_u32_e32 v53, 16, v52
	v_add_u32_e32 v54, 17, v52
	;; [unrolled: 1-line block ×3, first 2 shown]
	v_cvt_f32_i32_e32 v56, v56
	v_cvt_f32_i32_e32 v53, v53
	v_cvt_f32_i32_e32 v54, v54
	v_cvt_f32_i32_e32 v55, v55
	v_fmac_f32_e32 v81, v91, v56
	v_add_u32_e32 v56, 19, v52
	v_fma_f32 v78, v91, v53, v78
	v_fmac_f32_e32 v79, v91, v54
	v_fma_f32 v76, v91, v55, v76
	v_add_u32_e32 v53, 32, v52
	v_add_u32_e32 v54, 33, v52
	v_add_u32_e32 v55, 34, v52
	v_cvt_f32_i32_e32 v56, v56
	v_cvt_f32_i32_e32 v53, v53
	;; [unrolled: 1-line block ×4, first 2 shown]
	v_fmac_f32_e32 v77, v91, v56
	v_add_u32_e32 v56, 35, v52
	v_fma_f32 v74, v91, v53, v74
	v_fmac_f32_e32 v75, v91, v54
	v_fma_f32 v72, v91, v55, v72
	v_add_u32_e32 v53, 48, v52
	v_add_u32_e32 v54, 49, v52
	;; [unrolled: 1-line block ×4, first 2 shown]
	v_cvt_f32_i32_e32 v52, v52
	v_cvt_f32_i32_e32 v53, v53
	v_cvt_f32_i32_e32 v54, v54
	v_cmp_gt_i32_e64 s[28:29], s38, v50
	v_fmac_f32_e32 v69, v91, v52
	v_mov_b32_e32 v52, 0xff7fffff
	v_cmp_gt_i32_e64 s[30:31], s38, v51
	v_fma_f32 v70, v91, v53, v70
	v_cndmask_b32_e64 v53, v52, v62, s[28:29]
	v_cndmask_b32_e64 v51, v52, v63, s[30:31]
	v_fmac_f32_e32 v71, v91, v54
	v_max3_f32 v51, v53, s40, v51
	v_or_b32_e32 v53, 2, v50
	v_or_b32_e32 v54, 3, v50
	v_cmp_gt_i32_e64 s[34:35], s38, v53
	v_cmp_gt_i32_e64 s[36:37], s38, v54
	v_cndmask_b32_e64 v53, v52, v80, s[34:35]
	v_cndmask_b32_e64 v54, v52, v81, s[36:37]
	v_max3_f32 v51, v51, v53, v54
	v_or_b32_e32 v53, 16, v50
	v_or_b32_e32 v54, 17, v50
	v_cmp_gt_i32_e64 s[22:23], s38, v53
	v_cmp_gt_i32_e64 s[24:25], s38, v54
	v_cndmask_b32_e64 v53, v52, v78, s[22:23]
	v_cndmask_b32_e64 v54, v52, v79, s[24:25]
	;; [unrolled: 7-line block ×3, first 2 shown]
	v_cvt_f32_i32_e32 v56, v56
	v_max3_f32 v51, v51, v53, v54
	v_or_b32_e32 v53, 32, v50
	v_or_b32_e32 v54, 33, v50
	v_cmp_gt_i32_e64 s[14:15], s38, v53
	v_cmp_gt_i32_e64 s[16:17], s38, v54
	v_cndmask_b32_e64 v53, v52, v74, s[14:15]
	v_cndmask_b32_e64 v54, v52, v75, s[16:17]
	v_max3_f32 v51, v51, v53, v54
	v_or_b32_e32 v53, 34, v50
	v_or_b32_e32 v54, 35, v50
	v_fmac_f32_e32 v73, v91, v56
	v_cmp_gt_i32_e64 s[10:11], s38, v53
	v_cmp_gt_i32_e64 s[12:13], s38, v54
	v_cndmask_b32_e64 v53, v52, v72, s[10:11]
	v_cndmask_b32_e64 v54, v52, v73, s[12:13]
	v_cvt_f32_i32_e32 v55, v55
	v_max3_f32 v51, v51, v53, v54
	v_or_b32_e32 v53, 48, v50
	v_or_b32_e32 v54, 49, v50
	v_cmp_gt_i32_e64 s[2:3], s38, v53
	v_cmp_gt_i32_e64 s[8:9], s38, v54
	v_cndmask_b32_e64 v53, v52, v70, s[2:3]
	v_cndmask_b32_e64 v54, v52, v71, s[8:9]
	v_max3_f32 v51, v51, v53, v54
	v_or_b32_e32 v53, 50, v50
	v_or_b32_e32 v50, 51, v50
	v_fma_f32 v68, v91, v55, v68
	v_cmp_gt_i32_e32 vcc, s38, v53
	v_cmp_gt_i32_e64 s[0:1], s38, v50
	v_cndmask_b32_e32 v53, v52, v68, vcc
	v_cndmask_b32_e64 v50, v52, v69, s[0:1]
	v_max3_f32 v64, v51, v53, v50
	v_mbcnt_lo_u32_b32 v50, -1, 0
	v_mbcnt_hi_u32_b32 v65, -1, v50
	v_and_b32_e32 v50, 64, v65
	v_add_u32_e32 v82, 64, v50
	v_xor_b32_e32 v50, 32, v65
	v_cmp_lt_i32_e64 s[38:39], v50, v82
	v_cndmask_b32_e64 v50, v65, v50, s[38:39]
	v_lshlrev_b32_e32 v84, 2, v50
	ds_bpermute_b32 v83, v84, v64
	v_add_co_u32_e64 v50, s[38:39], v89, v60
	v_addc_co_u32_e64 v51, s[38:39], v90, v61, s[38:39]
	v_xor_b32_e32 v61, 16, v65
	v_cmp_lt_i32_e64 s[38:39], v61, v82
	s_waitcnt lgkmcnt(0)
	v_max_f32_e32 v60, v83, v83
	v_cndmask_b32_e64 v61, v65, v61, s[38:39]
	v_max_f32_e32 v60, v64, v60
	v_lshlrev_b32_e32 v85, 2, v61
	ds_bpermute_b32 v61, v85, v60
	v_add_co_u32_e64 v58, s[38:39], v89, v58
	v_addc_co_u32_e64 v59, s[38:39], v90, v59, s[38:39]
	s_waitcnt lgkmcnt(0)
	v_max_f32_e32 v61, v61, v61
	v_max_f32_e32 v91, v60, v61
	v_sub_f32_e32 v60, v62, v91
	v_mul_f32_e32 v60, 0x3fb8aa3b, v60
	v_exp_f32_e32 v82, v60
	v_sub_f32_e32 v60, v63, v91
	v_mul_f32_e32 v60, 0x3fb8aa3b, v60
	global_load_dwordx4 v[54:57], v[50:51], off
	s_nop 0
	global_load_dwordx4 v[50:53], v[50:51], off offset:16
	v_exp_f32_e32 v83, v60
	global_load_dwordx4 v[62:65], v[58:59], off
	s_nop 0
	global_load_dwordx4 v[58:61], v[58:59], off offset:16
	v_sub_f32_e32 v80, v80, v91
	v_mul_f32_e32 v80, 0x3fb8aa3b, v80
	v_sub_f32_e32 v81, v81, v91
	v_exp_f32_e32 v80, v80
	v_mul_f32_e32 v81, 0x3fb8aa3b, v81
	v_sub_f32_e32 v78, v78, v91
	v_exp_f32_e32 v81, v81
	v_mul_f32_e32 v78, 0x3fb8aa3b, v78
	v_sub_f32_e32 v79, v79, v91
	v_cndmask_b32_e64 v82, 0, v82, s[28:29]
	v_exp_f32_e32 v78, v78
	v_mul_f32_e32 v79, 0x3fb8aa3b, v79
	v_sub_f32_e32 v76, v76, v91
	v_add_f32_e32 v89, 0, v82
	v_cndmask_b32_e64 v83, 0, v83, s[30:31]
	v_exp_f32_e32 v79, v79
	v_mul_f32_e32 v76, 0x3fb8aa3b, v76
	v_sub_f32_e32 v77, v77, v91
	v_add_f32_e32 v89, v89, v83
	;; [unrolled: 5-line block ×10, first 2 shown]
	v_cndmask_b32_e64 v72, 0, v72, s[10:11]
	v_exp_f32_e32 v68, v68
	v_mul_f32_e32 v69, 0x3fb8aa3b, v69
	v_add_f32_e32 v89, v89, v72
	v_cndmask_b32_e64 v73, 0, v73, s[12:13]
	v_exp_f32_e32 v69, v69
	v_add_f32_e32 v89, v89, v73
	v_cndmask_b32_e64 v70, 0, v70, s[2:3]
	v_add_f32_e32 v89, v89, v70
	v_cndmask_b32_e64 v71, 0, v71, s[8:9]
	v_add_f32_e32 v89, v89, v71
	v_cndmask_b32_e32 v68, 0, v68, vcc
	v_add_f32_e32 v89, v89, v68
	v_cndmask_b32_e64 v69, 0, v69, s[0:1]
	v_add_f32_e32 v89, v89, v69
	ds_bpermute_b32 v84, v84, v89
	v_and_b32_e32 v1, 63, v0
	v_cmp_gt_u32_e32 vcc, 16, v1
	s_waitcnt lgkmcnt(0)
	s_barrier
	v_add_f32_e32 v92, v89, v84
	ds_bpermute_b32 v93, v85, v92
	s_waitcnt lgkmcnt(0)
	s_and_saveexec_b64 s[0:1], vcc
	s_cbranch_execz .LBB111_13
; %bb.12:
	v_add_f32_e32 v84, v92, v93
	v_lshlrev_b32_e32 v67, 2, v67
	ds_write2st64_b32 v67, v91, v84 offset1:1
.LBB111_13:
	s_or_b64 exec, exec, s[0:1]
	v_lshlrev_b32_e32 v67, 2, v86
	s_load_dword s2, s[4:5], 0x94
	s_waitcnt lgkmcnt(0)
	s_barrier
	ds_read2_b32 v[84:85], v67 offset1:16
	ds_read2_b32 v[92:93], v67 offset0:32 offset1:48
	ds_read2_b32 v[94:95], v67 offset0:64 offset1:80
	s_lshl_b32 s3, s33, 4
	s_waitcnt lgkmcnt(2)
	v_max3_f32 v89, v84, s40, v85
	s_waitcnt lgkmcnt(1)
	v_max3_f32 v89, v89, v92, v93
	v_sub_f32_e32 v84, v84, v89
	v_mul_f32_e32 v84, 0x3fb8aa3b, v84
	v_exp_f32_e32 v90, v84
	v_sub_f32_e32 v84, v85, v89
	v_mul_f32_e32 v84, 0x3fb8aa3b, v84
	v_exp_f32_e32 v1, v84
	;; [unrolled: 3-line block ×3, first 2 shown]
	ds_read2_b32 v[84:85], v67 offset0:96 offset1:112
	v_sub_f32_e32 v67, v93, v89
	v_mul_f32_e32 v67, 0x3fb8aa3b, v67
	v_exp_f32_e32 v67, v67
	s_waitcnt lgkmcnt(1)
	v_fma_f32 v91, v90, v94, 0
	v_fmac_f32_e32 v91, v1, v95
	s_waitcnt lgkmcnt(0)
	v_fmac_f32_e32 v91, v92, v84
	v_fmac_f32_e32 v91, v67, v85
	v_add_f32_e32 v84, 0x358637bd, v91
	v_div_scale_f32 v85, s[0:1], v84, v84, 1.0
	v_rcp_f32_e32 v93, v85
	s_barrier
	v_fma_f32 v94, -v85, v93, 1.0
	v_fmac_f32_e32 v93, v94, v93
	v_div_scale_f32 v94, vcc, 1.0, v84, 1.0
	v_mul_f32_e32 v95, v94, v93
	v_fma_f32 v86, -v85, v95, v94
	v_fmac_f32_e32 v95, v86, v93
	v_fma_f32 v85, -v85, v95, v94
	v_div_fmas_f32 v85, v85, v93, v95
	v_cmp_eq_u32_e32 vcc, 1, v88
	v_cndmask_b32_e32 v1, v90, v1, vcc
	v_cmp_eq_u32_e32 vcc, 2, v88
	v_cndmask_b32_e32 v1, v1, v92, vcc
	v_cmp_eq_u32_e32 vcc, 3, v88
	v_div_fixup_f32 v84, v85, v84, 1.0
	v_cndmask_b32_e32 v1, v1, v67, vcc
	v_mul_f32_e32 v84, v1, v84
	v_pk_mul_f32 v[82:83], v[84:85], v[82:83] op_sel_hi:[0,1]
	v_cvt_f16_f32_e32 v67, v83
	buffer_load_dword v83, off, s[44:47], 0 offset:4 ; 4-byte Folded Reload
	v_cvt_f16_f32_e32 v1, v82
	v_pk_mul_f32 v[80:81], v[84:85], v[80:81] op_sel_hi:[0,1]
	v_cvt_f16_f32_e32 v82, v80
	v_cvt_f16_f32_e32 v81, v81
	v_pk_mul_f32 v[78:79], v[84:85], v[78:79] op_sel_hi:[0,1]
	v_pack_b32_f16 v80, v1, v67
	v_cvt_f16_f32_e32 v67, v78
	v_cvt_f16_f32_e32 v78, v79
	v_pack_b32_f16 v81, v82, v81
	v_bfe_u32 v82, v0, 4, 2
	v_pk_mul_f32 v[76:77], v[84:85], v[76:77] op_sel_hi:[0,1]
	v_lshlrev_b32_e32 v1, 3, v82
	v_cvt_f16_f32_e32 v79, v76
	v_lshlrev_b32_e32 v76, 11, v88
	v_pk_mul_f32 v[72:73], v[84:85], v[72:73] op_sel_hi:[0,1]
	v_pk_mul_f32 v[74:75], v[84:85], v[74:75] op_sel_hi:[0,1]
	;; [unrolled: 1-line block ×4, first 2 shown]
	v_cvt_f16_f32_e32 v77, v77
	v_pack_b32_f16 v78, v67, v78
	v_cvt_f16_f32_e32 v67, v75
	v_cvt_f16_f32_e32 v72, v72
	;; [unrolled: 1-line block ×6, first 2 shown]
	v_pack_b32_f16 v79, v79, v77
	v_pack_b32_f16 v69, v72, v73
	;; [unrolled: 1-line block ×3, first 2 shown]
	v_cmp_gt_u32_e32 vcc, 16, v0
	s_waitcnt vmcnt(0)
	v_or3_b32 v76, v76, v83, v1
	v_cvt_f16_f32_e32 v1, v74
	v_cvt_f16_f32_e32 v74, v68
	ds_write2st64_b64 v76, v[80:81], v[78:79] offset1:1
	v_pack_b32_f16 v68, v1, v67
	v_pack_b32_f16 v71, v74, v75
	ds_write2st64_b64 v76, v[68:69], v[70:71] offset0:2 offset1:3
	s_and_saveexec_b64 s[0:1], vcc
	s_cbranch_execz .LBB111_15
; %bb.14:
	v_mov_b32_e32 v67, 0
	v_mov_b32_e32 v1, s3
	v_mad_u64_u32 v[68:69], s[12:13], s6, v1, v[66:67]
	v_mov_b32_e32 v66, s26
	s_load_dwordx4 s[8:11], s[4:5], 0x58
	s_mul_i32 s7, s7, s3
	v_mad_u64_u32 v[66:67], s[12:13], v68, s2, v[66:67]
	v_add_u32_e32 v1, s7, v69
	v_mov_b32_e32 v68, v67
	v_mad_u64_u32 v[68:69], s[12:13], v1, s2, v[68:69]
	v_mov_b32_e32 v67, v68
	v_lshlrev_b64 v[66:67], 2, v[66:67]
	s_waitcnt lgkmcnt(0)
	v_mov_b32_e32 v1, s11
	v_add_co_u32_e32 v68, vcc, s10, v66
	v_addc_co_u32_e32 v69, vcc, v1, v67, vcc
	v_mov_b32_e32 v1, s9
	v_add_co_u32_e32 v66, vcc, s8, v66
	v_addc_co_u32_e32 v67, vcc, v1, v67, vcc
	global_store_dword v[68:69], v89, off
	global_store_dword v[66:67], v91, off
.LBB111_15:
	s_or_b64 exec, exec, s[0:1]
	s_waitcnt lgkmcnt(0)
	s_barrier
	ds_read_b128 v[70:73], v87
	ds_read_b128 v[66:69], v87 offset:16
	s_waitcnt lgkmcnt(1)
	v_mfma_f32_16x16x16f16 v[78:81], v[46:47], v[70:71], 0
	s_mov_b32 s1, 0
	v_cmp_gt_u32_e32 vcc, 64, v0
	v_mfma_f32_16x16x16f16 v[46:49], v[48:49], v[72:73], v[78:81]
	s_waitcnt lgkmcnt(0)
	v_mfma_f32_16x16x16f16 v[46:49], v[42:43], v[66:67], v[46:49]
	v_mfma_f32_16x16x16f16 v[42:45], v[44:45], v[68:69], v[46:49]
	s_nop 7
	s_nop 1
	ds_read_b128 v[46:49], v87 offset:2048
	ds_read_b128 v[78:81], v87 offset:2064
	s_waitcnt lgkmcnt(1)
	v_mfma_f32_16x16x16f16 v[42:45], v[38:39], v[46:47], v[42:45]
	v_mfma_f32_16x16x16f16 v[38:41], v[40:41], v[48:49], v[42:45]
	s_waitcnt lgkmcnt(0)
	v_mfma_f32_16x16x16f16 v[38:41], v[34:35], v[78:79], v[38:41]
	v_mfma_f32_16x16x16f16 v[34:37], v[36:37], v[80:81], v[38:41]
	s_nop 7
	s_nop 1
	ds_read_b128 v[38:41], v87 offset:4096
	ds_read_b128 v[42:45], v87 offset:4112
	s_waitcnt lgkmcnt(1)
	v_mfma_f32_16x16x16f16 v[34:37], v[30:31], v[38:39], v[34:37]
	v_mfma_f32_16x16x16f16 v[30:33], v[32:33], v[40:41], v[34:37]
	s_waitcnt lgkmcnt(0)
	v_mfma_f32_16x16x16f16 v[30:33], v[26:27], v[42:43], v[30:33]
	v_mfma_f32_16x16x16f16 v[26:29], v[28:29], v[44:45], v[30:33]
	s_nop 7
	s_nop 1
	ds_read_b128 v[30:33], v87 offset:6144
	ds_read_b128 v[34:37], v87 offset:6160
	s_waitcnt lgkmcnt(0)
	s_barrier
	v_mfma_f32_16x16x16f16 v[26:29], v[22:23], v[30:31], v[26:29]
	v_mfma_f32_16x16x16f16 v[22:25], v[24:25], v[32:33], v[26:29]
	;; [unrolled: 1-line block ×5, first 2 shown]
	s_nop 7
	s_nop 1
	v_cvt_f16_f32_e32 v1, v18
	v_mfma_f32_16x16x16f16 v[6:9], v[8:9], v[72:73], v[22:25]
	v_mfma_f32_16x16x16f16 v[6:9], v[2:3], v[66:67], v[6:9]
	;; [unrolled: 1-line block ×4, first 2 shown]
	s_nop 7
	s_nop 0
	v_cvt_f16_f32_e32 v6, v19
	v_cvt_f16_f32_e32 v7, v20
	;; [unrolled: 1-line block ×3, first 2 shown]
	v_mfma_f32_16x16x16f16 v[2:5], v[16:17], v[48:49], v[2:5]
	v_mfma_f32_16x16x16f16 v[2:5], v[10:11], v[78:79], v[2:5]
	;; [unrolled: 1-line block ×11, first 2 shown]
	s_nop 7
	s_nop 2
	v_cvt_f16_f32_e32 v9, v2
	v_cvt_f16_f32_e32 v10, v3
	v_cvt_f16_f32_e32 v11, v4
	v_cvt_f16_f32_e32 v5, v5
	v_pack_b32_f16 v2, v1, v6
	v_pack_b32_f16 v3, v7, v8
	;; [unrolled: 1-line block ×4, first 2 shown]
	ds_write2st64_b64 v76, v[2:3], v[4:5] offset1:1
	s_waitcnt lgkmcnt(0)
	s_barrier
	s_and_saveexec_b64 s[8:9], vcc
	s_cbranch_execz .LBB111_17
; %bb.16:
	v_and_b32_e32 v3, 15, v0
	v_lshlrev_b32_e32 v3, 6, v3
	v_lshlrev_b32_e32 v2, 4, v0
	v_lshl_or_b32 v0, v0, 10, v3
	v_lshlrev_b32_e32 v1, 5, v82
	v_and_b32_e32 v2, 16, v2
	v_and_b32_e32 v0, 0x1a00, v0
	v_or3_b32 v0, v0, v1, v2
	ds_read_b128 v[2:5], v0
	ds_read_b128 v[6:9], v0 offset:128
	ds_read_b128 v[10:13], v0 offset:256
	;; [unrolled: 1-line block ×3, first 2 shown]
	buffer_load_dword v1, off, s[44:47], 0  ; 4-byte Folded Reload
	s_load_dwordx2 s[4:5], s[4:5], 0x68
	s_lshl_b32 s7, s2, 7
	s_mul_i32 s0, s3, s6
	s_mul_hi_u32 s3, s0, s7
	s_mul_i32 s2, s0, s7
	s_lshl_b64 s[2:3], s[2:3], 1
	s_waitcnt lgkmcnt(0)
	s_add_u32 s2, s4, s2
	s_addc_u32 s3, s5, s3
	s_lshl_b32 s0, s26, 7
	s_lshl_b64 s[0:1], s[0:1], 1
	s_add_u32 s0, s2, s0
	s_addc_u32 s1, s3, s1
	v_mov_b32_e32 v0, s1
	v_or_b32_e32 v20, s27, v82
	s_waitcnt vmcnt(0)
	v_add_co_u32_e32 v18, vcc, s0, v1
	v_addc_co_u32_e32 v19, vcc, 0, v0, vcc
	v_mad_u64_u32 v[0:1], s[0:1], v20, s7, 0
	v_lshlrev_b64 v[0:1], 1, v[0:1]
	v_add_co_u32_e32 v0, vcc, v18, v0
	v_addc_co_u32_e32 v1, vcc, v19, v1, vcc
	global_store_dwordx4 v[0:1], v[2:5], off
	v_or_b32_e32 v0, 4, v20
	v_mad_u64_u32 v[0:1], s[0:1], v0, s7, 0
	v_lshlrev_b64 v[0:1], 1, v[0:1]
	v_add_co_u32_e32 v0, vcc, v18, v0
	v_addc_co_u32_e32 v1, vcc, v19, v1, vcc
	global_store_dwordx4 v[0:1], v[6:9], off
	v_or_b32_e32 v0, 8, v20
	;; [unrolled: 6-line block ×3, first 2 shown]
	v_mad_u64_u32 v[0:1], s[0:1], v0, s7, 0
	v_lshlrev_b64 v[0:1], 1, v[0:1]
	v_add_co_u32_e32 v0, vcc, v18, v0
	v_addc_co_u32_e32 v1, vcc, v19, v1, vcc
	global_store_dwordx4 v[0:1], v[14:17], off
.LBB111_17:
	s_endpgm
	.section	.rodata,"a",@progbits
	.p2align	6, 0x0
	.amdhsa_kernel _Z39paged_attention_ll4mi_QKV_mfma16_kernelIDF16_DF16_LN4vllm18Fp8KVCacheDataTypeE0EDF16_Li16ELi128ELi256ELb1ELi16EL8MFMAType0EEvPKT_PKT0_S8_ifPKiSA_SA_iPKfiiiPfSD_PS3_PT2_iSC_SC_
		.amdhsa_group_segment_fixed_size 8192
		.amdhsa_private_segment_fixed_size 12
		.amdhsa_kernarg_size 400
		.amdhsa_user_sgpr_count 6
		.amdhsa_user_sgpr_private_segment_buffer 1
		.amdhsa_user_sgpr_dispatch_ptr 0
		.amdhsa_user_sgpr_queue_ptr 0
		.amdhsa_user_sgpr_kernarg_segment_ptr 1
		.amdhsa_user_sgpr_dispatch_id 0
		.amdhsa_user_sgpr_flat_scratch_init 0
		.amdhsa_user_sgpr_kernarg_preload_length 0
		.amdhsa_user_sgpr_kernarg_preload_offset 0
		.amdhsa_user_sgpr_private_segment_size 0
		.amdhsa_uses_dynamic_stack 0
		.amdhsa_system_sgpr_private_segment_wavefront_offset 1
		.amdhsa_system_sgpr_workgroup_id_x 1
		.amdhsa_system_sgpr_workgroup_id_y 1
		.amdhsa_system_sgpr_workgroup_id_z 1
		.amdhsa_system_sgpr_workgroup_info 0
		.amdhsa_system_vgpr_workitem_id 0
		.amdhsa_next_free_vgpr 96
		.amdhsa_next_free_sgpr 48
		.amdhsa_accum_offset 96
		.amdhsa_reserve_vcc 1
		.amdhsa_reserve_flat_scratch 0
		.amdhsa_float_round_mode_32 0
		.amdhsa_float_round_mode_16_64 0
		.amdhsa_float_denorm_mode_32 3
		.amdhsa_float_denorm_mode_16_64 3
		.amdhsa_dx10_clamp 1
		.amdhsa_ieee_mode 1
		.amdhsa_fp16_overflow 0
		.amdhsa_tg_split 0
		.amdhsa_exception_fp_ieee_invalid_op 0
		.amdhsa_exception_fp_denorm_src 0
		.amdhsa_exception_fp_ieee_div_zero 0
		.amdhsa_exception_fp_ieee_overflow 0
		.amdhsa_exception_fp_ieee_underflow 0
		.amdhsa_exception_fp_ieee_inexact 0
		.amdhsa_exception_int_div_zero 0
	.end_amdhsa_kernel
	.section	.text._Z39paged_attention_ll4mi_QKV_mfma16_kernelIDF16_DF16_LN4vllm18Fp8KVCacheDataTypeE0EDF16_Li16ELi128ELi256ELb1ELi16EL8MFMAType0EEvPKT_PKT0_S8_ifPKiSA_SA_iPKfiiiPfSD_PS3_PT2_iSC_SC_,"axG",@progbits,_Z39paged_attention_ll4mi_QKV_mfma16_kernelIDF16_DF16_LN4vllm18Fp8KVCacheDataTypeE0EDF16_Li16ELi128ELi256ELb1ELi16EL8MFMAType0EEvPKT_PKT0_S8_ifPKiSA_SA_iPKfiiiPfSD_PS3_PT2_iSC_SC_,comdat
.Lfunc_end111:
	.size	_Z39paged_attention_ll4mi_QKV_mfma16_kernelIDF16_DF16_LN4vllm18Fp8KVCacheDataTypeE0EDF16_Li16ELi128ELi256ELb1ELi16EL8MFMAType0EEvPKT_PKT0_S8_ifPKiSA_SA_iPKfiiiPfSD_PS3_PT2_iSC_SC_, .Lfunc_end111-_Z39paged_attention_ll4mi_QKV_mfma16_kernelIDF16_DF16_LN4vllm18Fp8KVCacheDataTypeE0EDF16_Li16ELi128ELi256ELb1ELi16EL8MFMAType0EEvPKT_PKT0_S8_ifPKiSA_SA_iPKfiiiPfSD_PS3_PT2_iSC_SC_
                                        ; -- End function
	.section	.AMDGPU.csdata,"",@progbits
; Kernel info:
; codeLenInByte = 4892
; NumSgprs: 52
; NumVgprs: 96
; NumAgprs: 0
; TotalNumVgprs: 96
; ScratchSize: 12
; MemoryBound: 0
; FloatMode: 240
; IeeeMode: 1
; LDSByteSize: 8192 bytes/workgroup (compile time only)
; SGPRBlocks: 6
; VGPRBlocks: 11
; NumSGPRsForWavesPerEU: 52
; NumVGPRsForWavesPerEU: 96
; AccumOffset: 96
; Occupancy: 5
; WaveLimiterHint : 1
; COMPUTE_PGM_RSRC2:SCRATCH_EN: 1
; COMPUTE_PGM_RSRC2:USER_SGPR: 6
; COMPUTE_PGM_RSRC2:TRAP_HANDLER: 0
; COMPUTE_PGM_RSRC2:TGID_X_EN: 1
; COMPUTE_PGM_RSRC2:TGID_Y_EN: 1
; COMPUTE_PGM_RSRC2:TGID_Z_EN: 1
; COMPUTE_PGM_RSRC2:TIDIG_COMP_CNT: 0
; COMPUTE_PGM_RSRC3_GFX90A:ACCUM_OFFSET: 23
; COMPUTE_PGM_RSRC3_GFX90A:TG_SPLIT: 0
	.section	.text._Z35paged_attention_ll4mi_reduce_kernelIDF16_DF16_Li128ELi128ELi256ELi1EEvPT0_PKfS3_PKT_PKiS8_iS3_,"axG",@progbits,_Z35paged_attention_ll4mi_reduce_kernelIDF16_DF16_Li128ELi128ELi256ELi1EEvPT0_PKfS3_PKT_PKiS8_iS3_,comdat
	.protected	_Z35paged_attention_ll4mi_reduce_kernelIDF16_DF16_Li128ELi128ELi256ELi1EEvPT0_PKfS3_PKT_PKiS8_iS3_ ; -- Begin function _Z35paged_attention_ll4mi_reduce_kernelIDF16_DF16_Li128ELi128ELi256ELi1EEvPT0_PKfS3_PKT_PKiS8_iS3_
	.globl	_Z35paged_attention_ll4mi_reduce_kernelIDF16_DF16_Li128ELi128ELi256ELi1EEvPT0_PKfS3_PKT_PKiS8_iS3_
	.p2align	8
	.type	_Z35paged_attention_ll4mi_reduce_kernelIDF16_DF16_Li128ELi128ELi256ELi1EEvPT0_PKfS3_PKT_PKiS8_iS3_,@function
_Z35paged_attention_ll4mi_reduce_kernelIDF16_DF16_Li128ELi128ELi256ELi1EEvPT0_PKfS3_PKT_PKiS8_iS3_: ; @_Z35paged_attention_ll4mi_reduce_kernelIDF16_DF16_Li128ELi128ELi256ELi1EEvPT0_PKfS3_PKT_PKiS8_iS3_
; %bb.0:
	s_load_dwordx2 s[16:17], s[4:5], 0x28
	s_mov_b32 s2, s7
	s_mov_b64 s[0:1], 0
	s_waitcnt lgkmcnt(0)
	s_cmp_lg_u64 s[16:17], 0
	s_cselect_b64 s[18:19], -1, 0
	s_and_b64 vcc, exec, s[18:19]
	s_cbranch_vccz .LBB112_19
; %bb.1:
	s_add_i32 s8, s2, 1
	s_mov_b32 s9, 0
	s_lshl_b64 s[10:11], s[8:9], 2
	s_add_u32 s10, s16, s10
	s_mov_b32 s3, s9
	s_addc_u32 s11, s17, s11
	s_lshl_b64 s[8:9], s[2:3], 2
	s_add_u32 s8, s16, s8
	s_addc_u32 s9, s17, s9
	s_load_dword s7, s[10:11], 0x0
	s_load_dword s12, s[8:9], 0x0
	s_waitcnt lgkmcnt(0)
	s_sub_i32 s7, s7, s12
	s_cmp_eq_u32 s7, 1
	s_cselect_b64 s[8:9], -1, 0
	s_andn2_b64 vcc, exec, s[0:1]
	s_cbranch_vccnz .LBB112_3
.LBB112_2:
	s_mov_b32 s3, 0
	s_mov_b64 s[8:9], -1
.LBB112_3:
	s_andn2_b64 vcc, exec, s[8:9]
	s_cbranch_vccz .LBB112_5
; %bb.4:
	s_endpgm
.LBB112_5:
	s_load_dwordx4 s[8:11], s[4:5], 0x18
	s_load_dword s13, s[4:5], 0x30
	s_lshl_b64 s[20:21], s[2:3], 2
	v_cmp_lt_u32_e32 vcc, 63, v0
	s_waitcnt lgkmcnt(0)
	s_add_u32 s0, s10, s20
	s_addc_u32 s1, s11, s21
	s_load_dword s26, s[0:1], 0x0
	s_load_dword s7, s[4:5], 0x40
	s_mul_i32 s10, s6, s13
	s_mul_i32 s11, s2, s13
	s_waitcnt lgkmcnt(0)
	s_add_i32 s12, s26, 0xff
	s_ashr_i32 s0, s12, 31
	s_lshr_b32 s0, s0, 24
	s_add_i32 s12, s12, s0
	s_and_saveexec_b64 s[0:1], vcc
	s_xor_b64 s[0:1], exec, s[0:1]
	s_or_saveexec_b64 s[22:23], s[0:1]
	s_ashr_i32 s27, s12, 8
	v_mov_b32_e32 v1, s10
	s_mul_i32 s24, s11, s7
	s_xor_b64 exec, exec, s[22:23]
	s_cbranch_execz .LBB112_9
; %bb.6:
	s_load_dwordx4 s[12:15], s[4:5], 0x8
	s_mov_b32 s25, 0
	s_lshl_b64 s[28:29], s[24:25], 2
	s_mov_b32 s11, s25
	v_cmp_gt_u32_e32 vcc, s27, v0
	s_waitcnt lgkmcnt(0)
	s_add_u32 s0, s14, s28
	s_addc_u32 s1, s15, s29
	s_lshl_b64 s[14:15], s[10:11], 2
	s_add_u32 s0, s0, s14
	s_addc_u32 s1, s1, s15
	s_add_i32 s11, s27, -1
	v_mov_b32_e32 v1, s11
	v_cndmask_b32_e32 v2, v1, v0, vcc
	v_ashrrev_i32_e32 v3, 31, v2
	v_lshlrev_b64 v[2:3], 2, v[2:3]
	v_mov_b32_e32 v1, s1
	v_add_co_u32_e64 v4, s[0:1], s0, v2
	v_addc_co_u32_e64 v5, s[0:1], v1, v3, s[0:1]
	global_load_dword v1, v[4:5], off
	s_add_u32 s0, s12, s28
	s_addc_u32 s1, s13, s29
	s_add_u32 s0, s0, s14
	s_addc_u32 s1, s1, s15
	v_mov_b32_e32 v4, s1
	v_add_co_u32_e64 v2, s[0:1], s0, v2
	v_addc_co_u32_e64 v3, s[0:1], v4, v3, s[0:1]
	global_load_dword v2, v[2:3], off
	v_mbcnt_lo_u32_b32 v3, -1, 0
	v_mbcnt_hi_u32_b32 v3, -1, v3
	v_and_b32_e32 v4, 64, v3
	v_xor_b32_e32 v5, 32, v3
	v_add_u32_e32 v4, 64, v4
	v_cmp_lt_i32_e64 s[0:1], v5, v4
	v_cndmask_b32_e64 v5, v3, v5, s[0:1]
	v_lshlrev_b32_e32 v5, 2, v5
	v_xor_b32_e32 v6, 16, v3
	v_cmp_lt_i32_e64 s[0:1], v6, v4
	v_cndmask_b32_e64 v6, v3, v6, s[0:1]
	v_lshlrev_b32_e32 v6, 2, v6
	v_xor_b32_e32 v9, 8, v3
	;; [unrolled: 4-line block ×5, first 2 shown]
	v_cmp_lt_i32_e64 s[0:1], v12, v4
	v_cndmask_b32_e64 v3, v3, v12, s[0:1]
	v_lshlrev_b32_e32 v3, 2, v3
	s_mov_b32 s0, 0x3fb8aa3b
	s_mov_b32 s11, 0x42b17218
	s_waitcnt vmcnt(1)
	ds_bpermute_b32 v7, v5, v1
	v_max_f32_e32 v8, v1, v1
	s_waitcnt lgkmcnt(0)
	v_max_f32_e32 v7, v7, v7
	v_max_f32_e32 v7, v8, v7
	ds_bpermute_b32 v8, v6, v7
	s_waitcnt lgkmcnt(0)
	v_max_f32_e32 v8, v8, v8
	v_max_f32_e32 v7, v7, v8
	ds_bpermute_b32 v8, v9, v7
	;; [unrolled: 4-line block ×5, first 2 shown]
	s_waitcnt lgkmcnt(0)
	v_max_f32_e32 v7, v7, v7
	v_max_f32_e32 v4, v4, v7
	v_sub_f32_e32 v1, v1, v4
	v_mul_f32_e32 v4, 0x3fb8aa3b, v1
	v_fma_f32 v7, v1, s0, -v4
	v_rndne_f32_e32 v8, v4
	v_fmac_f32_e32 v7, 0x32a5705f, v1
	v_sub_f32_e32 v4, v4, v8
	v_add_f32_e32 v4, v4, v7
	v_cvt_i32_f32_e32 v8, v8
	v_exp_f32_e32 v4, v4
	s_mov_b32 s0, 0xc2ce8ed0
	v_cmp_ngt_f32_e64 s[0:1], s0, v1
	v_mov_b32_e32 v7, 0x7f800000
	v_ldexp_f32 v4, v4, v8
	v_cndmask_b32_e64 v4, 0, v4, s[0:1]
	v_cmp_nlt_f32_e64 s[0:1], s11, v1
	v_cndmask_b32_e64 v1, v7, v4, s[0:1]
	v_cndmask_b32_e32 v1, 0, v1, vcc
	s_waitcnt vmcnt(0)
	v_mul_f32_e32 v4, v1, v2
	ds_bpermute_b32 v1, v5, v4
	v_cmp_eq_u32_e32 vcc, 0, v0
	s_waitcnt lgkmcnt(0)
	v_add_f32_e32 v1, v4, v1
	ds_bpermute_b32 v2, v6, v1
	s_waitcnt lgkmcnt(0)
	v_add_f32_e32 v1, v1, v2
	ds_bpermute_b32 v2, v9, v1
	s_waitcnt lgkmcnt(0)
	v_add_f32_e32 v1, v1, v2
	ds_bpermute_b32 v2, v10, v1
	s_waitcnt lgkmcnt(0)
	v_add_f32_e32 v1, v1, v2
	ds_bpermute_b32 v2, v11, v1
	s_waitcnt lgkmcnt(0)
	v_add_f32_e32 v1, v1, v2
	ds_bpermute_b32 v2, v3, v1
	v_lshlrev_b32_e32 v3, 2, v0
	ds_write_b32 v3, v4
	s_and_saveexec_b64 s[0:1], vcc
	s_cbranch_execz .LBB112_8
; %bb.7:
	s_waitcnt lgkmcnt(1)
	v_add_f32_e32 v1, v1, v2
	v_mov_b32_e32 v2, 0
	ds_write_b32 v2, v1 offset:256
.LBB112_8:
	s_or_b64 exec, exec, s[0:1]
	v_mov_b32_e32 v1, s10
.LBB112_9:
	s_or_b64 exec, exec, s[22:23]
	s_lshl_b32 s0, s24, 7
	s_mov_b32 s1, 0
	s_lshl_b64 s[0:1], s[0:1], 1
	s_add_u32 s0, s8, s0
	s_addc_u32 s1, s9, s1
	s_lshl_b32 s8, s27, 7
	s_waitcnt lgkmcnt(1)
	v_lshlrev_b32_e32 v2, 7, v1
	v_mov_b32_e32 v3, 0
	s_addk_i32 s8, 0xff80
	v_lshlrev_b64 v[4:5], 1, v[2:3]
	s_cmp_lt_i32 s26, 1
	v_mov_b32_e32 v1, s1
	v_add_co_u32_e32 v2, vcc, s0, v4
	s_cselect_b32 s0, s8, 0
	v_addc_co_u32_e32 v1, vcc, v1, v5, vcc
	v_lshlrev_b32_e32 v0, 1, v0
	s_ashr_i32 s1, s0, 31
	v_add_co_u32_e32 v18, vcc, v2, v0
	s_lshl_b64 s[0:1], s[0:1], 1
	v_addc_co_u32_e32 v19, vcc, 0, v1, vcc
	s_cmpk_lt_i32 s26, 0x101
	v_add_co_u32_e32 v10, vcc, s0, v18
	s_cselect_b32 s0, s8, 0x80
	v_mov_b32_e32 v1, s1
	s_ashr_i32 s1, s0, 31
	s_lshl_b64 s[0:1], s[0:1], 1
	v_addc_co_u32_e32 v11, vcc, v19, v1, vcc
	s_cmpk_lt_i32 s26, 0x201
	v_add_co_u32_e32 v12, vcc, s0, v18
	s_cselect_b32 s0, s8, 0x100
	v_mov_b32_e32 v1, s1
	s_ashr_i32 s1, s0, 31
	;; [unrolled: 7-line block ×8, first 2 shown]
	s_lshl_b64 s[0:1], s[0:1], 1
	v_addc_co_u32_e32 v27, vcc, v19, v1, vcc
	s_cmpk_lt_i32 s26, 0x901
	global_load_ushort v1, v[10:11], off
	global_load_ushort v2, v[12:13], off
	;; [unrolled: 1-line block ×8, first 2 shown]
	v_add_co_u32_e32 v20, vcc, s0, v18
	s_cselect_b32 s0, s8, 0x480
	v_mov_b32_e32 v10, s1
	s_ashr_i32 s1, s0, 31
	s_lshl_b64 s[0:1], s[0:1], 1
	v_addc_co_u32_e32 v21, vcc, v19, v10, vcc
	s_cmpk_lt_i32 s26, 0xa01
	v_add_co_u32_e32 v22, vcc, s0, v18
	s_cselect_b32 s0, s8, 0x500
	v_mov_b32_e32 v10, s1
	s_ashr_i32 s1, s0, 31
	s_lshl_b64 s[0:1], s[0:1], 1
	v_addc_co_u32_e32 v23, vcc, v19, v10, vcc
	s_cmpk_lt_i32 s26, 0xb01
	;; [unrolled: 7-line block ×6, first 2 shown]
	v_add_co_u32_e32 v32, vcc, s0, v18
	s_cselect_b32 s0, s8, 0x780
	v_mov_b32_e32 v10, s1
	s_ashr_i32 s1, s0, 31
	v_addc_co_u32_e32 v33, vcc, v19, v10, vcc
	s_lshl_b64 s[0:1], s[0:1], 1
	v_mov_b32_e32 v10, s1
	v_add_co_u32_e32 v34, vcc, s0, v18
	v_addc_co_u32_e32 v35, vcc, v19, v10, vcc
	global_load_ushort v11, v[20:21], off
	global_load_ushort v12, v[22:23], off
	global_load_ushort v13, v[24:25], off
	global_load_ushort v14, v[26:27], off
	global_load_ushort v15, v[28:29], off
	global_load_ushort v16, v[30:31], off
	global_load_ushort v17, v[32:33], off
	global_load_ushort v10, v[34:35], off
	s_cmpk_gt_i32 s26, 0x1000
	s_cselect_b64 s[0:1], -1, 0
	s_cmpk_lt_i32 s26, 0x1001
	v_mov_b32_e32 v36, 0
	v_mov_b32_e32 v37, 0
	;; [unrolled: 1-line block ×48, first 2 shown]
	s_waitcnt lgkmcnt(0)
	s_barrier
	s_cbranch_scc1 .LBB112_12
; %bb.10:
	s_cmpk_lt_u32 s26, 0x1101
	s_cselect_b32 s10, s8, 0x880
	s_ashr_i32 s11, s10, 31
	v_add_co_u32_e32 v28, vcc, 0x1000, v18
	s_lshl_b64 s[10:11], s[10:11], 1
	v_addc_co_u32_e32 v29, vcc, 0, v19, vcc
	s_cmpk_lt_u32 s26, 0x1201
	v_add_co_u32_e32 v30, vcc, s10, v18
	s_cselect_b32 s10, s8, 0x900
	v_mov_b32_e32 v20, s11
	s_ashr_i32 s11, s10, 31
	s_lshl_b64 s[10:11], s[10:11], 1
	v_addc_co_u32_e32 v31, vcc, v19, v20, vcc
	s_cmpk_lt_u32 s26, 0x1301
	v_add_co_u32_e32 v32, vcc, s10, v18
	s_cselect_b32 s10, s8, 0x980
	v_mov_b32_e32 v20, s11
	s_ashr_i32 s11, s10, 31
	;; [unrolled: 7-line block ×7, first 2 shown]
	s_lshl_b64 s[10:11], s[10:11], 1
	v_addc_co_u32_e32 v43, vcc, v19, v20, vcc
	s_cmpk_lt_u32 s26, 0x1901
	global_load_ushort v27, v[28:29], off
	global_load_ushort v26, v[30:31], off
	;; [unrolled: 1-line block ×8, first 2 shown]
	v_add_co_u32_e32 v36, vcc, s10, v18
	s_cselect_b32 s10, s8, 0xc80
	v_mov_b32_e32 v28, s11
	s_ashr_i32 s11, s10, 31
	s_lshl_b64 s[10:11], s[10:11], 1
	v_addc_co_u32_e32 v37, vcc, v19, v28, vcc
	s_cmpk_lt_u32 s26, 0x1a01
	v_add_co_u32_e32 v38, vcc, s10, v18
	s_cselect_b32 s10, s8, 0xd00
	v_mov_b32_e32 v28, s11
	s_ashr_i32 s11, s10, 31
	s_lshl_b64 s[10:11], s[10:11], 1
	v_addc_co_u32_e32 v39, vcc, v19, v28, vcc
	s_cmpk_lt_u32 s26, 0x1b01
	;; [unrolled: 7-line block ×6, first 2 shown]
	v_add_co_u32_e32 v48, vcc, s10, v18
	s_cselect_b32 s10, s8, 0xf80
	v_mov_b32_e32 v28, s11
	s_ashr_i32 s11, s10, 31
	v_addc_co_u32_e32 v49, vcc, v19, v28, vcc
	s_lshl_b64 s[10:11], s[10:11], 1
	v_mov_b32_e32 v28, s11
	v_add_co_u32_e32 v50, vcc, s10, v18
	v_addc_co_u32_e32 v51, vcc, v19, v28, vcc
	global_load_ushort v35, v[36:37], off
	global_load_ushort v34, v[38:39], off
	;; [unrolled: 1-line block ×8, first 2 shown]
	s_cmpk_lt_u32 s26, 0x2001
	v_mov_b32_e32 v67, 0
	v_mov_b32_e32 v66, 0
	;; [unrolled: 1-line block ×32, first 2 shown]
	s_cbranch_scc1 .LBB112_12
; %bb.11:
	s_cmpk_lt_u32 s26, 0x2101
	s_cselect_b32 s10, s8, 0x1080
	s_ashr_i32 s11, s10, 31
	v_add_co_u32_e32 v36, vcc, 0x2000, v18
	s_lshl_b64 s[10:11], s[10:11], 1
	v_addc_co_u32_e32 v37, vcc, 0, v19, vcc
	s_cmpk_lt_u32 s26, 0x2201
	v_add_co_u32_e32 v38, vcc, s10, v18
	s_cselect_b32 s10, s8, 0x1100
	v_mov_b32_e32 v39, s11
	s_ashr_i32 s11, s10, 31
	s_lshl_b64 s[10:11], s[10:11], 1
	v_addc_co_u32_e32 v39, vcc, v19, v39, vcc
	s_cmpk_lt_u32 s26, 0x2301
	v_add_co_u32_e32 v40, vcc, s10, v18
	s_cselect_b32 s10, s8, 0x1180
	v_mov_b32_e32 v41, s11
	s_ashr_i32 s11, s10, 31
	s_lshl_b64 s[10:11], s[10:11], 1
	v_addc_co_u32_e32 v41, vcc, v19, v41, vcc
	s_cmpk_lt_u32 s26, 0x2401
	v_add_co_u32_e32 v42, vcc, s10, v18
	s_cselect_b32 s10, s8, 0x1200
	v_mov_b32_e32 v43, s11
	s_ashr_i32 s11, s10, 31
	s_lshl_b64 s[10:11], s[10:11], 1
	v_addc_co_u32_e32 v43, vcc, v19, v43, vcc
	s_cmpk_lt_u32 s26, 0x2501
	v_add_co_u32_e32 v44, vcc, s10, v18
	s_cselect_b32 s10, s8, 0x1280
	v_mov_b32_e32 v45, s11
	s_ashr_i32 s11, s10, 31
	s_lshl_b64 s[10:11], s[10:11], 1
	v_addc_co_u32_e32 v45, vcc, v19, v45, vcc
	s_cmpk_lt_u32 s26, 0x2601
	v_add_co_u32_e32 v46, vcc, s10, v18
	s_cselect_b32 s10, s8, 0x1300
	v_mov_b32_e32 v47, s11
	s_ashr_i32 s11, s10, 31
	s_lshl_b64 s[10:11], s[10:11], 1
	v_addc_co_u32_e32 v47, vcc, v19, v47, vcc
	s_cmpk_lt_u32 s26, 0x2701
	v_add_co_u32_e32 v48, vcc, s10, v18
	s_cselect_b32 s10, s8, 0x1380
	v_mov_b32_e32 v49, s11
	s_ashr_i32 s11, s10, 31
	s_lshl_b64 s[10:11], s[10:11], 1
	v_addc_co_u32_e32 v49, vcc, v19, v49, vcc
	s_cmpk_lt_u32 s26, 0x2801
	v_add_co_u32_e32 v50, vcc, s10, v18
	s_cselect_b32 s10, s8, 0x1400
	v_mov_b32_e32 v51, s11
	s_ashr_i32 s11, s10, 31
	s_lshl_b64 s[10:11], s[10:11], 1
	v_addc_co_u32_e32 v51, vcc, v19, v51, vcc
	s_cmpk_lt_u32 s26, 0x2901
	global_load_ushort v52, v[36:37], off
	global_load_ushort v53, v[38:39], off
	global_load_ushort v54, v[40:41], off
	global_load_ushort v55, v[42:43], off
	global_load_ushort v56, v[44:45], off
	global_load_ushort v57, v[46:47], off
	global_load_ushort v58, v[48:49], off
	global_load_ushort v59, v[50:51], off
	v_add_co_u32_e32 v36, vcc, s10, v18
	s_cselect_b32 s10, s8, 0x1480
	v_mov_b32_e32 v37, s11
	s_ashr_i32 s11, s10, 31
	s_lshl_b64 s[10:11], s[10:11], 1
	v_addc_co_u32_e32 v37, vcc, v19, v37, vcc
	s_cmpk_lt_u32 s26, 0x2a01
	v_add_co_u32_e32 v38, vcc, s10, v18
	s_cselect_b32 s10, s8, 0x1500
	v_mov_b32_e32 v39, s11
	s_ashr_i32 s11, s10, 31
	s_lshl_b64 s[10:11], s[10:11], 1
	v_addc_co_u32_e32 v39, vcc, v19, v39, vcc
	s_cmpk_lt_u32 s26, 0x2b01
	v_add_co_u32_e32 v40, vcc, s10, v18
	s_cselect_b32 s10, s8, 0x1580
	v_mov_b32_e32 v41, s11
	s_ashr_i32 s11, s10, 31
	s_lshl_b64 s[10:11], s[10:11], 1
	v_addc_co_u32_e32 v41, vcc, v19, v41, vcc
	s_cmpk_lt_u32 s26, 0x2c01
	v_add_co_u32_e32 v42, vcc, s10, v18
	s_cselect_b32 s10, s8, 0x1600
	v_mov_b32_e32 v43, s11
	s_ashr_i32 s11, s10, 31
	s_lshl_b64 s[10:11], s[10:11], 1
	v_addc_co_u32_e32 v43, vcc, v19, v43, vcc
	s_cmpk_lt_u32 s26, 0x2d01
	v_add_co_u32_e32 v44, vcc, s10, v18
	s_cselect_b32 s10, s8, 0x1680
	v_mov_b32_e32 v45, s11
	s_ashr_i32 s11, s10, 31
	s_lshl_b64 s[10:11], s[10:11], 1
	v_addc_co_u32_e32 v45, vcc, v19, v45, vcc
	s_cmpk_lt_u32 s26, 0x2e01
	v_add_co_u32_e32 v46, vcc, s10, v18
	s_cselect_b32 s10, s8, 0x1700
	v_mov_b32_e32 v47, s11
	s_ashr_i32 s11, s10, 31
	s_lshl_b64 s[10:11], s[10:11], 1
	v_addc_co_u32_e32 v47, vcc, v19, v47, vcc
	s_cmpk_lt_u32 s26, 0x2f01
	v_add_co_u32_e32 v48, vcc, s10, v18
	s_cselect_b32 s10, s8, 0x1780
	v_mov_b32_e32 v49, s11
	s_ashr_i32 s11, s10, 31
	s_lshl_b64 s[10:11], s[10:11], 1
	v_addc_co_u32_e32 v49, vcc, v19, v49, vcc
	s_cmpk_lt_u32 s26, 0x3001
	v_add_co_u32_e32 v50, vcc, s10, v18
	s_cselect_b32 s10, s8, 0x1800
	v_mov_b32_e32 v51, s11
	s_ashr_i32 s11, s10, 31
	s_lshl_b64 s[10:11], s[10:11], 1
	v_addc_co_u32_e32 v51, vcc, v19, v51, vcc
	s_cmpk_lt_u32 s26, 0x3101
	global_load_ushort v68, v[36:37], off
	global_load_ushort v69, v[38:39], off
	global_load_ushort v70, v[40:41], off
	global_load_ushort v71, v[42:43], off
	global_load_ushort v72, v[44:45], off
	global_load_ushort v73, v[46:47], off
	global_load_ushort v74, v[48:49], off
	global_load_ushort v75, v[50:51], off
	v_add_co_u32_e32 v36, vcc, s10, v18
	s_cselect_b32 s10, s8, 0x1880
	v_mov_b32_e32 v37, s11
	s_ashr_i32 s11, s10, 31
	;; [unrolled: 64-line block ×3, first 2 shown]
	s_lshl_b64 s[10:11], s[10:11], 1
	v_addc_co_u32_e32 v37, vcc, v19, v37, vcc
	s_cmpk_lt_u32 s26, 0x3a01
	v_add_co_u32_e32 v38, vcc, s10, v18
	s_cselect_b32 s10, s8, 0x1d00
	v_mov_b32_e32 v39, s11
	s_ashr_i32 s11, s10, 31
	s_lshl_b64 s[10:11], s[10:11], 1
	v_addc_co_u32_e32 v39, vcc, v19, v39, vcc
	s_cmpk_lt_u32 s26, 0x3b01
	v_add_co_u32_e32 v40, vcc, s10, v18
	s_cselect_b32 s10, s8, 0x1d80
	v_mov_b32_e32 v41, s11
	s_ashr_i32 s11, s10, 31
	;; [unrolled: 7-line block ×5, first 2 shown]
	s_lshl_b64 s[10:11], s[10:11], 1
	s_cmpk_lt_u32 s26, 0x3f01
	v_addc_co_u32_e32 v47, vcc, v19, v47, vcc
	s_cselect_b32 s8, s8, 0x1f80
	v_mov_b32_e32 v49, s11
	v_add_co_u32_e32 v48, vcc, s10, v18
	s_ashr_i32 s9, s8, 31
	v_addc_co_u32_e32 v49, vcc, v19, v49, vcc
	s_lshl_b64 s[8:9], s[8:9], 1
	v_mov_b32_e32 v50, s9
	v_add_co_u32_e32 v18, vcc, s8, v18
	v_addc_co_u32_e32 v19, vcc, v19, v50, vcc
	global_load_ushort v84, v[36:37], off
	global_load_ushort v85, v[38:39], off
	global_load_ushort v86, v[40:41], off
	global_load_ushort v87, v[42:43], off
	global_load_ushort v88, v[44:45], off
	global_load_ushort v89, v[46:47], off
	global_load_ushort v90, v[48:49], off
	global_load_ushort v91, v[18:19], off
	s_waitcnt vmcnt(31)
	v_cvt_f32_f16_e32 v67, v52
	s_waitcnt vmcnt(30)
	v_cvt_f32_f16_e32 v66, v53
	;; [unrolled: 2-line block ×32, first 2 shown]
.LBB112_12:
	ds_read_b128 v[68:71], v3
	ds_read_b128 v[72:75], v3 offset:16
	ds_read_b128 v[76:79], v3 offset:32
	;; [unrolled: 1-line block ×3, first 2 shown]
	s_load_dwordx2 s[8:9], s[4:5], 0x38
	s_andn2_b64 vcc, exec, s[0:1]
	s_waitcnt vmcnt(15) lgkmcnt(0)
	v_fma_mix_f32 v1, v68, v1, 0 op_sel_hi:[0,1,0]
	s_waitcnt vmcnt(14)
	v_fma_mix_f32 v1, v69, v2, v1 op_sel_hi:[0,1,0]
	s_waitcnt vmcnt(13)
	;; [unrolled: 2-line block ×15, first 2 shown]
	v_fma_mix_f32 v1, v83, v10, v1 op_sel_hi:[0,1,0]
	s_cbranch_vccnz .LBB112_15
; %bb.13:
	ds_read_b128 v[4:7], v3 offset:64
	ds_read_b128 v[8:11], v3 offset:80
	;; [unrolled: 1-line block ×4, first 2 shown]
	s_cmpk_lt_u32 s26, 0x2001
	s_waitcnt lgkmcnt(3)
	v_fma_mix_f32 v1, v4, v27, v1 op_sel_hi:[0,1,0]
	v_fma_mix_f32 v1, v5, v26, v1 op_sel_hi:[0,1,0]
	v_fma_mix_f32 v1, v6, v25, v1 op_sel_hi:[0,1,0]
	v_fma_mix_f32 v1, v7, v24, v1 op_sel_hi:[0,1,0]
	s_waitcnt lgkmcnt(2)
	v_fma_mix_f32 v1, v8, v23, v1 op_sel_hi:[0,1,0]
	v_fma_mix_f32 v1, v9, v22, v1 op_sel_hi:[0,1,0]
	v_fma_mix_f32 v1, v10, v20, v1 op_sel_hi:[0,1,0]
	v_fma_mix_f32 v1, v11, v21, v1 op_sel_hi:[0,1,0]
	;; [unrolled: 5-line block ×4, first 2 shown]
	s_cbranch_scc1 .LBB112_15
; %bb.14:
	v_mov_b32_e32 v2, 0
	ds_read_b128 v[4:7], v2 offset:128
	ds_read_b128 v[8:11], v2 offset:144
	;; [unrolled: 1-line block ×4, first 2 shown]
	s_waitcnt lgkmcnt(3)
	v_fmac_f32_e32 v1, v4, v67
	v_fmac_f32_e32 v1, v5, v66
	v_fmac_f32_e32 v1, v6, v65
	v_fmac_f32_e32 v1, v7, v64
	s_waitcnt lgkmcnt(2)
	v_fmac_f32_e32 v1, v8, v63
	v_fmac_f32_e32 v1, v9, v62
	v_fmac_f32_e32 v1, v10, v61
	v_fmac_f32_e32 v1, v11, v60
	;; [unrolled: 5-line block ×3, first 2 shown]
	ds_read_b128 v[4:7], v2 offset:192
	ds_read_b128 v[8:11], v2 offset:208
	s_waitcnt lgkmcnt(2)
	v_fmac_f32_e32 v1, v16, v55
	v_fmac_f32_e32 v1, v17, v54
	;; [unrolled: 1-line block ×4, first 2 shown]
	s_waitcnt lgkmcnt(1)
	v_fmac_f32_e32 v1, v4, v51
	v_fmac_f32_e32 v1, v5, v50
	;; [unrolled: 1-line block ×4, first 2 shown]
	ds_read_b128 v[4:7], v2 offset:224
	s_waitcnt lgkmcnt(1)
	v_fmac_f32_e32 v1, v8, v47
	v_fmac_f32_e32 v1, v9, v46
	;; [unrolled: 1-line block ×4, first 2 shown]
	ds_read_b128 v[8:11], v2 offset:240
	s_waitcnt lgkmcnt(1)
	v_fmac_f32_e32 v1, v4, v43
	v_fmac_f32_e32 v1, v5, v42
	;; [unrolled: 1-line block ×4, first 2 shown]
	s_waitcnt lgkmcnt(0)
	v_fmac_f32_e32 v1, v8, v39
	v_fmac_f32_e32 v1, v9, v38
	;; [unrolled: 1-line block ×4, first 2 shown]
.LBB112_15:
	s_load_dwordx2 s[0:1], s[4:5], 0x0
	ds_read_b32 v3, v3 offset:256
	s_cmp_eq_u64 s[8:9], 0
	s_cbranch_scc1 .LBB112_20
; %bb.16:
	s_load_dword s8, s[8:9], 0x0
	s_waitcnt lgkmcnt(0)
	v_div_scale_f32 v2, s[4:5], s8, s8, 1.0
	v_rcp_f32_e32 v4, v2
	v_div_scale_f32 v5, vcc, 1.0, s8, 1.0
	v_fma_f32 v6, -v2, v4, 1.0
	v_fmac_f32_e32 v4, v6, v4
	v_mul_f32_e32 v6, v5, v4
	v_fma_f32 v7, -v2, v6, v5
	v_fmac_f32_e32 v6, v7, v4
	v_fma_f32 v2, -v2, v6, v5
	v_div_fmas_f32 v2, v2, v4, v6
	v_div_fixup_f32 v2, v2, s8, 1.0
	s_andn2_b64 vcc, exec, s[18:19]
	s_cbranch_vccnz .LBB112_18
.LBB112_17:
	s_add_u32 s2, s16, s20
	s_addc_u32 s3, s17, s21
	s_load_dword s2, s[2:3], 0x0
	s_mov_b32 s3, 0
.LBB112_18:
	s_waitcnt lgkmcnt(0)
	v_add_f32_e32 v3, 0x358637bd, v3
	v_div_scale_f32 v4, s[4:5], v3, v3, 1.0
	v_rcp_f32_e32 v5, v4
	v_div_scale_f32 v6, vcc, 1.0, v3, 1.0
	s_mul_i32 s3, s7, s3
	v_fma_f32 v7, -v4, v5, 1.0
	v_fmac_f32_e32 v5, v7, v5
	v_mul_f32_e32 v7, v6, v5
	v_fma_f32 v8, -v4, v7, v6
	s_mul_hi_u32 s4, s7, s2
	v_fmac_f32_e32 v7, v8, v5
	s_add_i32 s3, s4, s3
	s_mul_i32 s2, s7, s2
	v_fma_f32 v4, -v4, v7, v6
	s_lshl_b64 s[2:3], s[2:3], 8
	v_div_fmas_f32 v4, v4, v5, v7
	s_add_u32 s2, s0, s2
	s_mov_b32 s7, 0
	v_div_fixup_f32 v3, v4, v3, 1.0
	s_addc_u32 s3, s1, s3
	s_lshl_b64 s[0:1], s[6:7], 8
	v_mul_f32_e32 v1, v1, v3
	s_add_u32 s0, s2, s0
	s_addc_u32 s1, s3, s1
	v_fma_mixlo_f16 v1, v1, v2, 0
	global_store_short v0, v1, s[0:1]
	s_endpgm
.LBB112_19:
	s_mov_b64 s[8:9], 0
	s_branch .LBB112_2
.LBB112_20:
	v_mov_b32_e32 v2, 1.0
	s_andn2_b64 vcc, exec, s[18:19]
	s_cbranch_vccz .LBB112_17
	s_branch .LBB112_18
	.section	.rodata,"a",@progbits
	.p2align	6, 0x0
	.amdhsa_kernel _Z35paged_attention_ll4mi_reduce_kernelIDF16_DF16_Li128ELi128ELi256ELi1EEvPT0_PKfS3_PKT_PKiS8_iS3_
		.amdhsa_group_segment_fixed_size 260
		.amdhsa_private_segment_fixed_size 0
		.amdhsa_kernarg_size 320
		.amdhsa_user_sgpr_count 6
		.amdhsa_user_sgpr_private_segment_buffer 1
		.amdhsa_user_sgpr_dispatch_ptr 0
		.amdhsa_user_sgpr_queue_ptr 0
		.amdhsa_user_sgpr_kernarg_segment_ptr 1
		.amdhsa_user_sgpr_dispatch_id 0
		.amdhsa_user_sgpr_flat_scratch_init 0
		.amdhsa_user_sgpr_kernarg_preload_length 0
		.amdhsa_user_sgpr_kernarg_preload_offset 0
		.amdhsa_user_sgpr_private_segment_size 0
		.amdhsa_uses_dynamic_stack 0
		.amdhsa_system_sgpr_private_segment_wavefront_offset 0
		.amdhsa_system_sgpr_workgroup_id_x 1
		.amdhsa_system_sgpr_workgroup_id_y 1
		.amdhsa_system_sgpr_workgroup_id_z 0
		.amdhsa_system_sgpr_workgroup_info 0
		.amdhsa_system_vgpr_workitem_id 0
		.amdhsa_next_free_vgpr 92
		.amdhsa_next_free_sgpr 30
		.amdhsa_accum_offset 92
		.amdhsa_reserve_vcc 1
		.amdhsa_reserve_flat_scratch 0
		.amdhsa_float_round_mode_32 0
		.amdhsa_float_round_mode_16_64 0
		.amdhsa_float_denorm_mode_32 3
		.amdhsa_float_denorm_mode_16_64 3
		.amdhsa_dx10_clamp 1
		.amdhsa_ieee_mode 1
		.amdhsa_fp16_overflow 0
		.amdhsa_tg_split 0
		.amdhsa_exception_fp_ieee_invalid_op 0
		.amdhsa_exception_fp_denorm_src 0
		.amdhsa_exception_fp_ieee_div_zero 0
		.amdhsa_exception_fp_ieee_overflow 0
		.amdhsa_exception_fp_ieee_underflow 0
		.amdhsa_exception_fp_ieee_inexact 0
		.amdhsa_exception_int_div_zero 0
	.end_amdhsa_kernel
	.section	.text._Z35paged_attention_ll4mi_reduce_kernelIDF16_DF16_Li128ELi128ELi256ELi1EEvPT0_PKfS3_PKT_PKiS8_iS3_,"axG",@progbits,_Z35paged_attention_ll4mi_reduce_kernelIDF16_DF16_Li128ELi128ELi256ELi1EEvPT0_PKfS3_PKT_PKiS8_iS3_,comdat
.Lfunc_end112:
	.size	_Z35paged_attention_ll4mi_reduce_kernelIDF16_DF16_Li128ELi128ELi256ELi1EEvPT0_PKfS3_PKT_PKiS8_iS3_, .Lfunc_end112-_Z35paged_attention_ll4mi_reduce_kernelIDF16_DF16_Li128ELi128ELi256ELi1EEvPT0_PKfS3_PKT_PKiS8_iS3_
                                        ; -- End function
	.section	.AMDGPU.csdata,"",@progbits
; Kernel info:
; codeLenInByte = 5124
; NumSgprs: 34
; NumVgprs: 92
; NumAgprs: 0
; TotalNumVgprs: 92
; ScratchSize: 0
; MemoryBound: 0
; FloatMode: 240
; IeeeMode: 1
; LDSByteSize: 260 bytes/workgroup (compile time only)
; SGPRBlocks: 4
; VGPRBlocks: 11
; NumSGPRsForWavesPerEU: 34
; NumVGPRsForWavesPerEU: 92
; AccumOffset: 92
; Occupancy: 5
; WaveLimiterHint : 1
; COMPUTE_PGM_RSRC2:SCRATCH_EN: 0
; COMPUTE_PGM_RSRC2:USER_SGPR: 6
; COMPUTE_PGM_RSRC2:TRAP_HANDLER: 0
; COMPUTE_PGM_RSRC2:TGID_X_EN: 1
; COMPUTE_PGM_RSRC2:TGID_Y_EN: 1
; COMPUTE_PGM_RSRC2:TGID_Z_EN: 0
; COMPUTE_PGM_RSRC2:TIDIG_COMP_CNT: 0
; COMPUTE_PGM_RSRC3_GFX90A:ACCUM_OFFSET: 22
; COMPUTE_PGM_RSRC3_GFX90A:TG_SPLIT: 0
	.section	.text._Z35paged_attention_ll4mi_reduce_kernelIDF16_DF16_Li128ELi128ELi256ELi2EEvPT0_PKfS3_PKT_PKiS8_iS3_,"axG",@progbits,_Z35paged_attention_ll4mi_reduce_kernelIDF16_DF16_Li128ELi128ELi256ELi2EEvPT0_PKfS3_PKT_PKiS8_iS3_,comdat
	.protected	_Z35paged_attention_ll4mi_reduce_kernelIDF16_DF16_Li128ELi128ELi256ELi2EEvPT0_PKfS3_PKT_PKiS8_iS3_ ; -- Begin function _Z35paged_attention_ll4mi_reduce_kernelIDF16_DF16_Li128ELi128ELi256ELi2EEvPT0_PKfS3_PKT_PKiS8_iS3_
	.globl	_Z35paged_attention_ll4mi_reduce_kernelIDF16_DF16_Li128ELi128ELi256ELi2EEvPT0_PKfS3_PKT_PKiS8_iS3_
	.p2align	8
	.type	_Z35paged_attention_ll4mi_reduce_kernelIDF16_DF16_Li128ELi128ELi256ELi2EEvPT0_PKfS3_PKT_PKiS8_iS3_,@function
_Z35paged_attention_ll4mi_reduce_kernelIDF16_DF16_Li128ELi128ELi256ELi2EEvPT0_PKfS3_PKT_PKiS8_iS3_: ; @_Z35paged_attention_ll4mi_reduce_kernelIDF16_DF16_Li128ELi128ELi256ELi2EEvPT0_PKfS3_PKT_PKiS8_iS3_
; %bb.0:
	s_load_dwordx2 s[18:19], s[4:5], 0x28
	s_mov_b32 s16, s7
	s_mov_b64 s[0:1], 0
	s_waitcnt lgkmcnt(0)
	s_cmp_lg_u64 s[18:19], 0
	s_cselect_b64 s[20:21], -1, 0
	s_and_b64 vcc, exec, s[20:21]
	s_cbranch_vccz .LBB113_21
; %bb.1:
	s_add_i32 s2, s16, 1
	s_mov_b32 s3, 0
	s_lshl_b64 s[8:9], s[2:3], 2
	s_add_u32 s8, s18, s8
	s_mov_b32 s17, s3
	s_addc_u32 s9, s19, s9
	s_lshl_b64 s[2:3], s[16:17], 2
	s_add_u32 s2, s18, s2
	s_addc_u32 s3, s19, s3
	s_load_dword s7, s[8:9], 0x0
	s_load_dword s10, s[2:3], 0x0
	s_waitcnt lgkmcnt(0)
	s_sub_i32 s2, s7, s10
	s_cmp_eq_u32 s2, 1
	s_cselect_b64 s[2:3], -1, 0
	s_andn2_b64 vcc, exec, s[0:1]
	s_cbranch_vccnz .LBB113_3
.LBB113_2:
	s_mov_b32 s17, 0
	s_mov_b64 s[2:3], -1
.LBB113_3:
	s_andn2_b64 vcc, exec, s[2:3]
	s_cbranch_vccz .LBB113_5
; %bb.4:
	s_endpgm
.LBB113_5:
	s_load_dwordx4 s[8:11], s[4:5], 0x18
	s_load_dword s12, s[4:5], 0x30
	s_lshl_b64 s[22:23], s[16:17], 2
	v_cmp_lt_u32_e32 vcc, 63, v0
	s_waitcnt lgkmcnt(0)
	s_add_u32 s0, s10, s22
	s_addc_u32 s1, s11, s23
	s_load_dword s28, s[0:1], 0x0
	s_load_dword s7, s[4:5], 0x40
	s_mul_i32 s10, s6, s12
	s_mul_i32 s2, s16, s12
	s_waitcnt lgkmcnt(0)
	s_add_i32 s3, s28, 0xff
	s_ashr_i32 s0, s3, 31
	s_lshr_b32 s0, s0, 24
	s_add_i32 s3, s3, s0
	s_and_saveexec_b64 s[0:1], vcc
	s_xor_b64 s[0:1], exec, s[0:1]
	s_or_saveexec_b64 s[24:25], s[0:1]
	s_ashr_i32 s29, s3, 8
	v_mov_b32_e32 v1, s10
	s_mul_i32 s26, s2, s7
	s_xor_b64 exec, exec, s[24:25]
	s_cbranch_execz .LBB113_9
; %bb.6:
	s_load_dwordx4 s[12:15], s[4:5], 0x8
	s_mov_b32 s27, 0
	s_add_i32 s0, s29, -1
	s_lshl_b64 s[30:31], s[26:27], 2
	s_mov_b32 s11, s27
	v_mov_b32_e32 v1, s0
	v_cmp_gt_u32_e32 vcc, s29, v0
	v_or_b32_e32 v3, 64, v0
	s_waitcnt lgkmcnt(0)
	s_add_u32 s2, s14, s30
	v_cndmask_b32_e32 v2, v1, v0, vcc
	v_cmp_gt_u32_e64 s[0:1], s29, v3
	s_addc_u32 s3, s15, s31
	s_lshl_b64 s[14:15], s[10:11], 2
	v_cndmask_b32_e64 v4, v1, v3, s[0:1]
	s_add_u32 s11, s2, s14
	v_ashrrev_i32_e32 v3, 31, v2
	s_addc_u32 s27, s3, s15
	v_lshlrev_b64 v[2:3], 2, v[2:3]
	v_mov_b32_e32 v1, s27
	v_add_co_u32_e64 v6, s[2:3], s11, v2
	v_ashrrev_i32_e32 v5, 31, v4
	v_addc_co_u32_e64 v7, s[2:3], v1, v3, s[2:3]
	v_lshlrev_b64 v[4:5], 2, v[4:5]
	v_add_co_u32_e64 v8, s[2:3], s11, v4
	v_addc_co_u32_e64 v9, s[2:3], v1, v5, s[2:3]
	global_load_dword v1, v[8:9], off
	global_load_dword v10, v[6:7], off
	v_mbcnt_lo_u32_b32 v6, -1, 0
	v_mbcnt_hi_u32_b32 v6, -1, v6
	v_and_b32_e32 v7, 64, v6
	v_xor_b32_e32 v8, 32, v6
	v_add_u32_e32 v7, 64, v7
	v_cmp_lt_i32_e64 s[2:3], v8, v7
	v_cndmask_b32_e64 v8, v6, v8, s[2:3]
	s_add_u32 s2, s12, s30
	s_addc_u32 s3, s13, s31
	s_add_u32 s11, s2, s14
	s_addc_u32 s2, s3, s15
	v_mov_b32_e32 v9, s2
	v_mov_b32_e32 v11, s2
	v_add_co_u32_e64 v2, s[2:3], s11, v2
	v_addc_co_u32_e64 v3, s[2:3], v9, v3, s[2:3]
	v_add_co_u32_e64 v4, s[2:3], s11, v4
	v_addc_co_u32_e64 v5, s[2:3], v11, v5, s[2:3]
	global_load_dword v9, v[2:3], off
	global_load_dword v11, v[4:5], off
	v_lshlrev_b32_e32 v2, 2, v8
	v_xor_b32_e32 v5, 16, v6
	v_cmp_lt_i32_e64 s[2:3], v5, v7
	v_cndmask_b32_e64 v5, v6, v5, s[2:3]
	v_lshlrev_b32_e32 v5, 2, v5
	v_xor_b32_e32 v8, 8, v6
	v_cmp_lt_i32_e64 s[2:3], v8, v7
	v_cndmask_b32_e64 v8, v6, v8, s[2:3]
	;; [unrolled: 4-line block ×5, first 2 shown]
	v_lshlrev_b32_e32 v6, 2, v6
	s_mov_b32 s2, 0x3fb8aa3b
	s_mov_b32 s11, 0xc2ce8ed0
	;; [unrolled: 1-line block ×3, first 2 shown]
	s_waitcnt vmcnt(3)
	v_max_f32_e32 v3, v1, v1
	s_waitcnt vmcnt(2)
	v_max_f32_e32 v4, v10, v10
	v_max_f32_e32 v3, v4, v3
	ds_bpermute_b32 v4, v2, v3
	s_waitcnt lgkmcnt(0)
	v_max_f32_e32 v4, v4, v4
	v_max_f32_e32 v3, v3, v4
	ds_bpermute_b32 v4, v5, v3
	s_waitcnt lgkmcnt(0)
	;; [unrolled: 4-line block ×6, first 2 shown]
	v_max_f32_e32 v4, v4, v4
	v_max_f32_e32 v3, v3, v4
	v_sub_f32_e32 v4, v10, v3
	v_sub_f32_e32 v1, v1, v3
	v_mul_f32_e32 v3, 0x3fb8aa3b, v4
	v_mul_f32_e32 v7, 0x3fb8aa3b, v1
	v_fma_f32 v10, v4, s2, -v3
	v_rndne_f32_e32 v14, v3
	v_fma_f32 v15, v1, s2, -v7
	v_rndne_f32_e32 v16, v7
	v_fmac_f32_e32 v10, 0x32a5705f, v4
	v_sub_f32_e32 v3, v3, v14
	v_fmac_f32_e32 v15, 0x32a5705f, v1
	v_sub_f32_e32 v7, v7, v16
	v_add_f32_e32 v3, v3, v10
	v_cvt_i32_f32_e32 v14, v14
	v_add_f32_e32 v7, v7, v15
	v_exp_f32_e32 v3, v3
	v_cvt_i32_f32_e32 v16, v16
	v_exp_f32_e32 v7, v7
	v_cmp_ngt_f32_e64 s[2:3], s11, v4
	v_ldexp_f32 v3, v3, v14
	v_cndmask_b32_e64 v3, 0, v3, s[2:3]
	v_ldexp_f32 v7, v7, v16
	v_cmp_ngt_f32_e64 s[2:3], s11, v1
	v_mov_b32_e32 v10, 0x7f800000
	v_cndmask_b32_e64 v7, 0, v7, s[2:3]
	v_cmp_nlt_f32_e64 s[2:3], s12, v4
	v_cndmask_b32_e64 v3, v10, v3, s[2:3]
	v_cmp_nlt_f32_e64 s[2:3], s12, v1
	v_cndmask_b32_e64 v1, v10, v7, s[2:3]
	v_cndmask_b32_e32 v3, 0, v3, vcc
	v_cndmask_b32_e64 v1, 0, v1, s[0:1]
	v_lshlrev_b32_e32 v15, 2, v0
	s_waitcnt vmcnt(1)
	v_mul_f32_e32 v3, v9, v3
	s_waitcnt vmcnt(0)
	v_mul_f32_e32 v4, v11, v1
	ds_write2st64_b32 v15, v3, v4 offset1:1
	v_fmac_f32_e32 v3, v11, v1
	ds_bpermute_b32 v1, v2, v3
	v_cmp_eq_u32_e32 vcc, 0, v0
	s_waitcnt lgkmcnt(0)
	v_add_f32_e32 v1, v3, v1
	ds_bpermute_b32 v2, v5, v1
	s_waitcnt lgkmcnt(0)
	v_add_f32_e32 v1, v1, v2
	ds_bpermute_b32 v2, v8, v1
	;; [unrolled: 3-line block ×5, first 2 shown]
	s_and_saveexec_b64 s[0:1], vcc
	s_cbranch_execz .LBB113_8
; %bb.7:
	s_waitcnt lgkmcnt(0)
	v_add_f32_e32 v1, v1, v2
	v_mov_b32_e32 v2, 0
	ds_write_b32 v2, v1 offset:512
.LBB113_8:
	s_or_b64 exec, exec, s[0:1]
	v_mov_b32_e32 v1, s10
.LBB113_9:
	s_or_b64 exec, exec, s[24:25]
	s_lshl_b32 s0, s26, 7
	s_mov_b32 s1, 0
	s_lshl_b64 s[0:1], s[0:1], 1
	s_add_u32 s0, s8, s0
	s_addc_u32 s1, s9, s1
	s_lshl_b32 s2, s29, 7
	s_waitcnt lgkmcnt(0)
	v_lshlrev_b32_e32 v2, 7, v1
	v_mov_b32_e32 v3, 0
	s_addk_i32 s2, 0xff80
	v_lshlrev_b64 v[4:5], 1, v[2:3]
	s_cmp_lt_i32 s28, 1
	v_mov_b32_e32 v1, s1
	v_add_co_u32_e32 v2, vcc, s0, v4
	s_cselect_b32 s0, s2, 0
	v_addc_co_u32_e32 v4, vcc, v1, v5, vcc
	v_lshlrev_b32_e32 v0, 1, v0
	s_ashr_i32 s1, s0, 31
	v_add_co_u32_e32 v1, vcc, v2, v0
	s_lshl_b64 s[0:1], s[0:1], 1
	v_addc_co_u32_e32 v2, vcc, 0, v4, vcc
	s_cmpk_lt_i32 s28, 0x101
	v_add_co_u32_e32 v12, vcc, s0, v1
	s_cselect_b32 s0, s2, 0x80
	v_mov_b32_e32 v4, s1
	s_ashr_i32 s1, s0, 31
	s_lshl_b64 s[0:1], s[0:1], 1
	v_addc_co_u32_e32 v13, vcc, v2, v4, vcc
	s_cmpk_lt_i32 s28, 0x201
	v_add_co_u32_e32 v14, vcc, s0, v1
	s_cselect_b32 s0, s2, 0x100
	v_mov_b32_e32 v4, s1
	s_ashr_i32 s1, s0, 31
	;; [unrolled: 7-line block ×8, first 2 shown]
	s_lshl_b64 s[0:1], s[0:1], 1
	v_addc_co_u32_e32 v27, vcc, v2, v4, vcc
	s_cmpk_lt_i32 s28, 0x901
	global_load_ushort v4, v[12:13], off
	global_load_ushort v5, v[14:15], off
	global_load_ushort v6, v[16:17], off
	global_load_ushort v7, v[18:19], off
	global_load_ushort v8, v[20:21], off
	global_load_ushort v9, v[22:23], off
	global_load_ushort v10, v[24:25], off
	global_load_ushort v11, v[26:27], off
	v_add_co_u32_e32 v20, vcc, s0, v1
	s_cselect_b32 s0, s2, 0x480
	v_mov_b32_e32 v12, s1
	s_ashr_i32 s1, s0, 31
	s_lshl_b64 s[0:1], s[0:1], 1
	v_addc_co_u32_e32 v21, vcc, v2, v12, vcc
	s_cmpk_lt_i32 s28, 0xa01
	v_add_co_u32_e32 v22, vcc, s0, v1
	s_cselect_b32 s0, s2, 0x500
	v_mov_b32_e32 v12, s1
	s_ashr_i32 s1, s0, 31
	s_lshl_b64 s[0:1], s[0:1], 1
	v_addc_co_u32_e32 v23, vcc, v2, v12, vcc
	s_cmpk_lt_i32 s28, 0xb01
	;; [unrolled: 7-line block ×6, first 2 shown]
	v_add_co_u32_e32 v32, vcc, s0, v1
	s_cselect_b32 s0, s2, 0x780
	v_mov_b32_e32 v12, s1
	s_ashr_i32 s1, s0, 31
	v_addc_co_u32_e32 v33, vcc, v2, v12, vcc
	s_lshl_b64 s[0:1], s[0:1], 1
	v_mov_b32_e32 v12, s1
	v_add_co_u32_e32 v34, vcc, s0, v1
	v_addc_co_u32_e32 v35, vcc, v2, v12, vcc
	global_load_ushort v12, v[20:21], off
	global_load_ushort v13, v[22:23], off
	;; [unrolled: 1-line block ×8, first 2 shown]
	s_cmpk_gt_i32 s28, 0x1000
	s_cselect_b64 s[0:1], -1, 0
	s_cmpk_lt_i32 s28, 0x1001
	v_mov_b32_e32 v36, 0
	v_mov_b32_e32 v37, 0
	;; [unrolled: 1-line block ×48, first 2 shown]
	s_barrier
	s_cbranch_scc1 .LBB113_12
; %bb.10:
	s_cmpk_lt_u32 s28, 0x1101
	s_cselect_b32 s8, s2, 0x880
	s_ashr_i32 s9, s8, 31
	v_add_co_u32_e32 v28, vcc, 0x1000, v1
	s_lshl_b64 s[8:9], s[8:9], 1
	v_addc_co_u32_e32 v29, vcc, 0, v2, vcc
	s_cmpk_lt_u32 s28, 0x1201
	v_add_co_u32_e32 v30, vcc, s8, v1
	s_cselect_b32 s8, s2, 0x900
	v_mov_b32_e32 v20, s9
	s_ashr_i32 s9, s8, 31
	s_lshl_b64 s[8:9], s[8:9], 1
	v_addc_co_u32_e32 v31, vcc, v2, v20, vcc
	s_cmpk_lt_u32 s28, 0x1301
	v_add_co_u32_e32 v32, vcc, s8, v1
	s_cselect_b32 s8, s2, 0x980
	v_mov_b32_e32 v20, s9
	s_ashr_i32 s9, s8, 31
	;; [unrolled: 7-line block ×7, first 2 shown]
	s_lshl_b64 s[8:9], s[8:9], 1
	v_addc_co_u32_e32 v43, vcc, v2, v20, vcc
	s_cmpk_lt_u32 s28, 0x1901
	global_load_ushort v27, v[28:29], off
	global_load_ushort v26, v[30:31], off
	global_load_ushort v25, v[32:33], off
	global_load_ushort v24, v[34:35], off
	global_load_ushort v23, v[36:37], off
	global_load_ushort v22, v[38:39], off
	global_load_ushort v20, v[40:41], off
	global_load_ushort v21, v[42:43], off
	v_add_co_u32_e32 v36, vcc, s8, v1
	s_cselect_b32 s8, s2, 0xc80
	v_mov_b32_e32 v28, s9
	s_ashr_i32 s9, s8, 31
	s_lshl_b64 s[8:9], s[8:9], 1
	v_addc_co_u32_e32 v37, vcc, v2, v28, vcc
	s_cmpk_lt_u32 s28, 0x1a01
	v_add_co_u32_e32 v38, vcc, s8, v1
	s_cselect_b32 s8, s2, 0xd00
	v_mov_b32_e32 v28, s9
	s_ashr_i32 s9, s8, 31
	s_lshl_b64 s[8:9], s[8:9], 1
	v_addc_co_u32_e32 v39, vcc, v2, v28, vcc
	s_cmpk_lt_u32 s28, 0x1b01
	;; [unrolled: 7-line block ×6, first 2 shown]
	v_add_co_u32_e32 v48, vcc, s8, v1
	s_cselect_b32 s8, s2, 0xf80
	v_mov_b32_e32 v28, s9
	s_ashr_i32 s9, s8, 31
	v_addc_co_u32_e32 v49, vcc, v2, v28, vcc
	s_lshl_b64 s[8:9], s[8:9], 1
	v_mov_b32_e32 v28, s9
	v_add_co_u32_e32 v50, vcc, s8, v1
	v_addc_co_u32_e32 v51, vcc, v2, v28, vcc
	global_load_ushort v35, v[36:37], off
	global_load_ushort v34, v[38:39], off
	global_load_ushort v33, v[40:41], off
	global_load_ushort v32, v[42:43], off
	global_load_ushort v31, v[44:45], off
	global_load_ushort v30, v[46:47], off
	global_load_ushort v29, v[48:49], off
	global_load_ushort v28, v[50:51], off
	s_cmpk_lt_u32 s28, 0x2001
	v_mov_b32_e32 v67, 0
	v_mov_b32_e32 v66, 0
	;; [unrolled: 1-line block ×32, first 2 shown]
	s_cbranch_scc1 .LBB113_12
; %bb.11:
	s_cmpk_lt_u32 s28, 0x2101
	s_cselect_b32 s8, s2, 0x1080
	s_ashr_i32 s9, s8, 31
	v_add_co_u32_e32 v36, vcc, 0x2000, v1
	s_lshl_b64 s[8:9], s[8:9], 1
	v_addc_co_u32_e32 v37, vcc, 0, v2, vcc
	s_cmpk_lt_u32 s28, 0x2201
	v_add_co_u32_e32 v38, vcc, s8, v1
	s_cselect_b32 s8, s2, 0x1100
	v_mov_b32_e32 v39, s9
	s_ashr_i32 s9, s8, 31
	s_lshl_b64 s[8:9], s[8:9], 1
	v_addc_co_u32_e32 v39, vcc, v2, v39, vcc
	s_cmpk_lt_u32 s28, 0x2301
	v_add_co_u32_e32 v40, vcc, s8, v1
	s_cselect_b32 s8, s2, 0x1180
	v_mov_b32_e32 v41, s9
	s_ashr_i32 s9, s8, 31
	s_lshl_b64 s[8:9], s[8:9], 1
	v_addc_co_u32_e32 v41, vcc, v2, v41, vcc
	s_cmpk_lt_u32 s28, 0x2401
	v_add_co_u32_e32 v42, vcc, s8, v1
	s_cselect_b32 s8, s2, 0x1200
	v_mov_b32_e32 v43, s9
	s_ashr_i32 s9, s8, 31
	s_lshl_b64 s[8:9], s[8:9], 1
	v_addc_co_u32_e32 v43, vcc, v2, v43, vcc
	s_cmpk_lt_u32 s28, 0x2501
	v_add_co_u32_e32 v44, vcc, s8, v1
	s_cselect_b32 s8, s2, 0x1280
	v_mov_b32_e32 v45, s9
	s_ashr_i32 s9, s8, 31
	s_lshl_b64 s[8:9], s[8:9], 1
	v_addc_co_u32_e32 v45, vcc, v2, v45, vcc
	s_cmpk_lt_u32 s28, 0x2601
	v_add_co_u32_e32 v46, vcc, s8, v1
	s_cselect_b32 s8, s2, 0x1300
	v_mov_b32_e32 v47, s9
	s_ashr_i32 s9, s8, 31
	s_lshl_b64 s[8:9], s[8:9], 1
	v_addc_co_u32_e32 v47, vcc, v2, v47, vcc
	s_cmpk_lt_u32 s28, 0x2701
	v_add_co_u32_e32 v48, vcc, s8, v1
	s_cselect_b32 s8, s2, 0x1380
	v_mov_b32_e32 v49, s9
	s_ashr_i32 s9, s8, 31
	s_lshl_b64 s[8:9], s[8:9], 1
	v_addc_co_u32_e32 v49, vcc, v2, v49, vcc
	s_cmpk_lt_u32 s28, 0x2801
	v_add_co_u32_e32 v50, vcc, s8, v1
	s_cselect_b32 s8, s2, 0x1400
	v_mov_b32_e32 v51, s9
	s_ashr_i32 s9, s8, 31
	s_lshl_b64 s[8:9], s[8:9], 1
	v_addc_co_u32_e32 v51, vcc, v2, v51, vcc
	s_cmpk_lt_u32 s28, 0x2901
	global_load_ushort v52, v[36:37], off
	global_load_ushort v53, v[38:39], off
	global_load_ushort v54, v[40:41], off
	global_load_ushort v55, v[42:43], off
	global_load_ushort v56, v[44:45], off
	global_load_ushort v57, v[46:47], off
	global_load_ushort v58, v[48:49], off
	global_load_ushort v59, v[50:51], off
	v_add_co_u32_e32 v36, vcc, s8, v1
	s_cselect_b32 s8, s2, 0x1480
	v_mov_b32_e32 v37, s9
	s_ashr_i32 s9, s8, 31
	s_lshl_b64 s[8:9], s[8:9], 1
	v_addc_co_u32_e32 v37, vcc, v2, v37, vcc
	s_cmpk_lt_u32 s28, 0x2a01
	v_add_co_u32_e32 v38, vcc, s8, v1
	s_cselect_b32 s8, s2, 0x1500
	v_mov_b32_e32 v39, s9
	s_ashr_i32 s9, s8, 31
	s_lshl_b64 s[8:9], s[8:9], 1
	v_addc_co_u32_e32 v39, vcc, v2, v39, vcc
	s_cmpk_lt_u32 s28, 0x2b01
	v_add_co_u32_e32 v40, vcc, s8, v1
	s_cselect_b32 s8, s2, 0x1580
	v_mov_b32_e32 v41, s9
	s_ashr_i32 s9, s8, 31
	s_lshl_b64 s[8:9], s[8:9], 1
	v_addc_co_u32_e32 v41, vcc, v2, v41, vcc
	s_cmpk_lt_u32 s28, 0x2c01
	v_add_co_u32_e32 v42, vcc, s8, v1
	s_cselect_b32 s8, s2, 0x1600
	v_mov_b32_e32 v43, s9
	s_ashr_i32 s9, s8, 31
	s_lshl_b64 s[8:9], s[8:9], 1
	v_addc_co_u32_e32 v43, vcc, v2, v43, vcc
	s_cmpk_lt_u32 s28, 0x2d01
	v_add_co_u32_e32 v44, vcc, s8, v1
	s_cselect_b32 s8, s2, 0x1680
	v_mov_b32_e32 v45, s9
	s_ashr_i32 s9, s8, 31
	s_lshl_b64 s[8:9], s[8:9], 1
	v_addc_co_u32_e32 v45, vcc, v2, v45, vcc
	s_cmpk_lt_u32 s28, 0x2e01
	v_add_co_u32_e32 v46, vcc, s8, v1
	s_cselect_b32 s8, s2, 0x1700
	v_mov_b32_e32 v47, s9
	s_ashr_i32 s9, s8, 31
	s_lshl_b64 s[8:9], s[8:9], 1
	v_addc_co_u32_e32 v47, vcc, v2, v47, vcc
	s_cmpk_lt_u32 s28, 0x2f01
	v_add_co_u32_e32 v48, vcc, s8, v1
	s_cselect_b32 s8, s2, 0x1780
	v_mov_b32_e32 v49, s9
	s_ashr_i32 s9, s8, 31
	s_lshl_b64 s[8:9], s[8:9], 1
	v_addc_co_u32_e32 v49, vcc, v2, v49, vcc
	s_cmpk_lt_u32 s28, 0x3001
	v_add_co_u32_e32 v50, vcc, s8, v1
	s_cselect_b32 s8, s2, 0x1800
	v_mov_b32_e32 v51, s9
	s_ashr_i32 s9, s8, 31
	s_lshl_b64 s[8:9], s[8:9], 1
	v_addc_co_u32_e32 v51, vcc, v2, v51, vcc
	s_cmpk_lt_u32 s28, 0x3101
	global_load_ushort v68, v[36:37], off
	global_load_ushort v69, v[38:39], off
	global_load_ushort v70, v[40:41], off
	global_load_ushort v71, v[42:43], off
	global_load_ushort v72, v[44:45], off
	global_load_ushort v73, v[46:47], off
	global_load_ushort v74, v[48:49], off
	global_load_ushort v75, v[50:51], off
	v_add_co_u32_e32 v36, vcc, s8, v1
	s_cselect_b32 s8, s2, 0x1880
	v_mov_b32_e32 v37, s9
	s_ashr_i32 s9, s8, 31
	;; [unrolled: 64-line block ×3, first 2 shown]
	s_lshl_b64 s[8:9], s[8:9], 1
	v_addc_co_u32_e32 v37, vcc, v2, v37, vcc
	s_cmpk_lt_u32 s28, 0x3a01
	v_add_co_u32_e32 v38, vcc, s8, v1
	s_cselect_b32 s8, s2, 0x1d00
	v_mov_b32_e32 v39, s9
	s_ashr_i32 s9, s8, 31
	s_lshl_b64 s[8:9], s[8:9], 1
	v_addc_co_u32_e32 v39, vcc, v2, v39, vcc
	s_cmpk_lt_u32 s28, 0x3b01
	v_add_co_u32_e32 v40, vcc, s8, v1
	s_cselect_b32 s8, s2, 0x1d80
	v_mov_b32_e32 v41, s9
	s_ashr_i32 s9, s8, 31
	;; [unrolled: 7-line block ×6, first 2 shown]
	v_addc_co_u32_e32 v49, vcc, v2, v49, vcc
	s_lshl_b64 s[8:9], s[8:9], 1
	v_mov_b32_e32 v51, s9
	v_add_co_u32_e32 v50, vcc, s8, v1
	v_addc_co_u32_e32 v51, vcc, v2, v51, vcc
	global_load_ushort v84, v[36:37], off
	global_load_ushort v85, v[38:39], off
	;; [unrolled: 1-line block ×8, first 2 shown]
	s_waitcnt vmcnt(31)
	v_cvt_f32_f16_e32 v67, v52
	s_waitcnt vmcnt(30)
	v_cvt_f32_f16_e32 v66, v53
	;; [unrolled: 2-line block ×32, first 2 shown]
.LBB113_12:
	ds_read_b128 v[68:71], v3
	ds_read_b128 v[72:75], v3 offset:16
	ds_read_b128 v[76:79], v3 offset:32
	;; [unrolled: 1-line block ×3, first 2 shown]
	s_andn2_b64 vcc, exec, s[0:1]
	s_waitcnt vmcnt(15) lgkmcnt(3)
	v_fma_mix_f32 v4, v68, v4, 0 op_sel_hi:[0,1,0]
	s_waitcnt vmcnt(14)
	v_fma_mix_f32 v4, v69, v5, v4 op_sel_hi:[0,1,0]
	s_waitcnt vmcnt(13)
	v_fma_mix_f32 v4, v70, v6, v4 op_sel_hi:[0,1,0]
	s_waitcnt vmcnt(12)
	v_fma_mix_f32 v4, v71, v7, v4 op_sel_hi:[0,1,0]
	s_waitcnt vmcnt(11) lgkmcnt(2)
	v_fma_mix_f32 v4, v72, v8, v4 op_sel_hi:[0,1,0]
	s_waitcnt vmcnt(10)
	v_fma_mix_f32 v4, v73, v9, v4 op_sel_hi:[0,1,0]
	s_waitcnt vmcnt(9)
	v_fma_mix_f32 v4, v74, v10, v4 op_sel_hi:[0,1,0]
	s_waitcnt vmcnt(8)
	v_fma_mix_f32 v4, v75, v11, v4 op_sel_hi:[0,1,0]
	;; [unrolled: 8-line block ×4, first 2 shown]
	s_cbranch_vccnz .LBB113_15
; %bb.13:
	ds_read_b128 v[6:9], v3 offset:64
	ds_read_b128 v[10:13], v3 offset:80
	;; [unrolled: 1-line block ×4, first 2 shown]
	s_cmpk_lt_u32 s28, 0x2001
	s_waitcnt lgkmcnt(3)
	v_fma_mix_f32 v3, v6, v27, v4 op_sel_hi:[0,1,0]
	v_fma_mix_f32 v3, v7, v26, v3 op_sel_hi:[0,1,0]
	v_fma_mix_f32 v3, v8, v25, v3 op_sel_hi:[0,1,0]
	v_fma_mix_f32 v3, v9, v24, v3 op_sel_hi:[0,1,0]
	s_waitcnt lgkmcnt(2)
	v_fma_mix_f32 v3, v10, v23, v3 op_sel_hi:[0,1,0]
	v_fma_mix_f32 v3, v11, v22, v3 op_sel_hi:[0,1,0]
	v_fma_mix_f32 v3, v12, v20, v3 op_sel_hi:[0,1,0]
	v_fma_mix_f32 v3, v13, v21, v3 op_sel_hi:[0,1,0]
	;; [unrolled: 5-line block ×4, first 2 shown]
	s_cbranch_scc1 .LBB113_15
; %bb.14:
	v_mov_b32_e32 v3, 0
	ds_read_b128 v[6:9], v3 offset:128
	ds_read_b128 v[10:13], v3 offset:144
	;; [unrolled: 1-line block ×4, first 2 shown]
	s_waitcnt lgkmcnt(3)
	v_fmac_f32_e32 v4, v6, v67
	v_fmac_f32_e32 v4, v7, v66
	v_fmac_f32_e32 v4, v8, v65
	v_fmac_f32_e32 v4, v9, v64
	s_waitcnt lgkmcnt(2)
	v_fmac_f32_e32 v4, v10, v63
	v_fmac_f32_e32 v4, v11, v62
	v_fmac_f32_e32 v4, v12, v61
	v_fmac_f32_e32 v4, v13, v60
	;; [unrolled: 5-line block ×3, first 2 shown]
	ds_read_b128 v[6:9], v3 offset:192
	ds_read_b128 v[10:13], v3 offset:208
	s_waitcnt lgkmcnt(2)
	v_fmac_f32_e32 v4, v18, v55
	v_fmac_f32_e32 v4, v19, v54
	;; [unrolled: 1-line block ×4, first 2 shown]
	s_waitcnt lgkmcnt(1)
	v_fmac_f32_e32 v4, v6, v51
	v_fmac_f32_e32 v4, v7, v50
	;; [unrolled: 1-line block ×4, first 2 shown]
	ds_read_b128 v[6:9], v3 offset:224
	s_waitcnt lgkmcnt(1)
	v_fmac_f32_e32 v4, v10, v47
	v_fmac_f32_e32 v4, v11, v46
	;; [unrolled: 1-line block ×4, first 2 shown]
	ds_read_b128 v[10:13], v3 offset:240
	s_waitcnt lgkmcnt(1)
	v_fmac_f32_e32 v4, v6, v43
	v_fmac_f32_e32 v4, v7, v42
	v_fmac_f32_e32 v4, v8, v41
	v_fmac_f32_e32 v4, v9, v40
	s_waitcnt lgkmcnt(0)
	v_fmac_f32_e32 v4, v10, v39
	v_fmac_f32_e32 v4, v11, v38
	;; [unrolled: 1-line block ×4, first 2 shown]
.LBB113_15:
	s_load_dwordx2 s[0:1], s[4:5], 0x38
	s_cmpk_lt_i32 s28, 0x4001
	s_cbranch_scc1 .LBB113_17
; %bb.16:
	s_cmpk_lt_u32 s28, 0x4101
	s_cselect_b32 s8, s2, 0x2080
	s_ashr_i32 s9, s8, 31
	v_add_co_u32_e32 v12, vcc, 0x4000, v1
	s_lshl_b64 s[8:9], s[8:9], 1
	v_addc_co_u32_e32 v13, vcc, 0, v2, vcc
	s_cmpk_lt_u32 s28, 0x4201
	v_add_co_u32_e32 v14, vcc, s8, v1
	s_cselect_b32 s8, s2, 0x2100
	v_mov_b32_e32 v3, s9
	s_ashr_i32 s9, s8, 31
	s_lshl_b64 s[8:9], s[8:9], 1
	v_addc_co_u32_e32 v15, vcc, v2, v3, vcc
	s_cmpk_lt_u32 s28, 0x4301
	v_add_co_u32_e32 v16, vcc, s8, v1
	s_cselect_b32 s8, s2, 0x2180
	v_mov_b32_e32 v3, s9
	s_ashr_i32 s9, s8, 31
	s_lshl_b64 s[8:9], s[8:9], 1
	v_addc_co_u32_e32 v17, vcc, v2, v3, vcc
	s_cmpk_lt_u32 s28, 0x4401
	v_add_co_u32_e32 v18, vcc, s8, v1
	s_cselect_b32 s8, s2, 0x2200
	v_mov_b32_e32 v3, s9
	s_ashr_i32 s9, s8, 31
	s_lshl_b64 s[8:9], s[8:9], 1
	v_addc_co_u32_e32 v19, vcc, v2, v3, vcc
	s_cmpk_lt_u32 s28, 0x4501
	v_add_co_u32_e32 v20, vcc, s8, v1
	s_cselect_b32 s8, s2, 0x2280
	v_mov_b32_e32 v3, s9
	s_ashr_i32 s9, s8, 31
	s_lshl_b64 s[8:9], s[8:9], 1
	v_addc_co_u32_e32 v21, vcc, v2, v3, vcc
	s_cmpk_lt_u32 s28, 0x4601
	v_add_co_u32_e32 v22, vcc, s8, v1
	s_cselect_b32 s8, s2, 0x2300
	v_mov_b32_e32 v3, s9
	s_ashr_i32 s9, s8, 31
	s_lshl_b64 s[8:9], s[8:9], 1
	v_addc_co_u32_e32 v23, vcc, v2, v3, vcc
	s_cmpk_lt_u32 s28, 0x4701
	v_add_co_u32_e32 v24, vcc, s8, v1
	s_cselect_b32 s8, s2, 0x2380
	v_mov_b32_e32 v3, s9
	s_ashr_i32 s9, s8, 31
	s_lshl_b64 s[8:9], s[8:9], 1
	v_addc_co_u32_e32 v25, vcc, v2, v3, vcc
	s_cmpk_lt_u32 s28, 0x4801
	v_add_co_u32_e32 v26, vcc, s8, v1
	s_cselect_b32 s8, s2, 0x2400
	v_mov_b32_e32 v3, s9
	s_ashr_i32 s9, s8, 31
	s_lshl_b64 s[8:9], s[8:9], 1
	v_addc_co_u32_e32 v27, vcc, v2, v3, vcc
	s_cmpk_lt_u32 s28, 0x4901
	global_load_ushort v3, v[12:13], off
	global_load_ushort v5, v[14:15], off
	global_load_ushort v6, v[16:17], off
	global_load_ushort v7, v[18:19], off
	global_load_ushort v8, v[20:21], off
	global_load_ushort v9, v[22:23], off
	global_load_ushort v10, v[24:25], off
	global_load_ushort v11, v[26:27], off
	v_add_co_u32_e32 v20, vcc, s8, v1
	s_cselect_b32 s8, s2, 0x2480
	v_mov_b32_e32 v12, s9
	s_ashr_i32 s9, s8, 31
	s_lshl_b64 s[8:9], s[8:9], 1
	v_addc_co_u32_e32 v21, vcc, v2, v12, vcc
	s_cmpk_lt_u32 s28, 0x4a01
	v_add_co_u32_e32 v22, vcc, s8, v1
	s_cselect_b32 s8, s2, 0x2500
	v_mov_b32_e32 v12, s9
	s_ashr_i32 s9, s8, 31
	s_lshl_b64 s[8:9], s[8:9], 1
	v_addc_co_u32_e32 v23, vcc, v2, v12, vcc
	s_cmpk_lt_u32 s28, 0x4b01
	v_add_co_u32_e32 v24, vcc, s8, v1
	s_cselect_b32 s8, s2, 0x2580
	v_mov_b32_e32 v12, s9
	s_ashr_i32 s9, s8, 31
	s_lshl_b64 s[8:9], s[8:9], 1
	v_addc_co_u32_e32 v25, vcc, v2, v12, vcc
	s_cmpk_lt_u32 s28, 0x4c01
	v_add_co_u32_e32 v26, vcc, s8, v1
	s_cselect_b32 s8, s2, 0x2600
	v_mov_b32_e32 v12, s9
	s_ashr_i32 s9, s8, 31
	s_lshl_b64 s[8:9], s[8:9], 1
	v_addc_co_u32_e32 v27, vcc, v2, v12, vcc
	s_cmpk_lt_u32 s28, 0x4d01
	v_add_co_u32_e32 v28, vcc, s8, v1
	s_cselect_b32 s8, s2, 0x2680
	v_mov_b32_e32 v12, s9
	s_ashr_i32 s9, s8, 31
	s_lshl_b64 s[8:9], s[8:9], 1
	v_addc_co_u32_e32 v29, vcc, v2, v12, vcc
	s_cmpk_lt_u32 s28, 0x4e01
	v_add_co_u32_e32 v30, vcc, s8, v1
	s_cselect_b32 s8, s2, 0x2700
	v_mov_b32_e32 v12, s9
	s_ashr_i32 s9, s8, 31
	s_lshl_b64 s[8:9], s[8:9], 1
	v_addc_co_u32_e32 v31, vcc, v2, v12, vcc
	s_cmpk_lt_u32 s28, 0x4f01
	v_add_co_u32_e32 v32, vcc, s8, v1
	s_cselect_b32 s8, s2, 0x2780
	v_mov_b32_e32 v12, s9
	s_ashr_i32 s9, s8, 31
	s_lshl_b64 s[8:9], s[8:9], 1
	v_addc_co_u32_e32 v33, vcc, v2, v12, vcc
	s_cmpk_lt_u32 s28, 0x5001
	v_add_co_u32_e32 v34, vcc, s8, v1
	s_cselect_b32 s8, s2, 0x2800
	v_mov_b32_e32 v12, s9
	s_ashr_i32 s9, s8, 31
	s_lshl_b64 s[8:9], s[8:9], 1
	v_addc_co_u32_e32 v35, vcc, v2, v12, vcc
	s_cmpk_lt_u32 s28, 0x5101
	global_load_ushort v15, v[20:21], off
	global_load_ushort v16, v[22:23], off
	global_load_ushort v17, v[24:25], off
	global_load_ushort v18, v[26:27], off
	global_load_ushort v19, v[28:29], off
	global_load_ushort v12, v[30:31], off
	global_load_ushort v13, v[32:33], off
	global_load_ushort v14, v[34:35], off
	v_add_co_u32_e32 v28, vcc, s8, v1
	s_cselect_b32 s8, s2, 0x2880
	v_mov_b32_e32 v20, s9
	s_ashr_i32 s9, s8, 31
	s_lshl_b64 s[8:9], s[8:9], 1
	v_addc_co_u32_e32 v29, vcc, v2, v20, vcc
	s_cmpk_lt_u32 s28, 0x5201
	v_add_co_u32_e32 v30, vcc, s8, v1
	s_cselect_b32 s8, s2, 0x2900
	v_mov_b32_e32 v20, s9
	s_ashr_i32 s9, s8, 31
	s_lshl_b64 s[8:9], s[8:9], 1
	v_addc_co_u32_e32 v31, vcc, v2, v20, vcc
	s_cmpk_lt_u32 s28, 0x5301
	v_add_co_u32_e32 v32, vcc, s8, v1
	s_cselect_b32 s8, s2, 0x2980
	v_mov_b32_e32 v20, s9
	s_ashr_i32 s9, s8, 31
	s_lshl_b64 s[8:9], s[8:9], 1
	v_addc_co_u32_e32 v33, vcc, v2, v20, vcc
	s_cmpk_lt_u32 s28, 0x5401
	v_add_co_u32_e32 v34, vcc, s8, v1
	s_cselect_b32 s8, s2, 0x2a00
	v_mov_b32_e32 v20, s9
	s_ashr_i32 s9, s8, 31
	s_lshl_b64 s[8:9], s[8:9], 1
	v_addc_co_u32_e32 v35, vcc, v2, v20, vcc
	s_cmpk_lt_u32 s28, 0x5501
	v_add_co_u32_e32 v36, vcc, s8, v1
	s_cselect_b32 s8, s2, 0x2a80
	v_mov_b32_e32 v20, s9
	s_ashr_i32 s9, s8, 31
	s_lshl_b64 s[8:9], s[8:9], 1
	v_addc_co_u32_e32 v37, vcc, v2, v20, vcc
	s_cmpk_lt_u32 s28, 0x5601
	v_add_co_u32_e32 v38, vcc, s8, v1
	s_cselect_b32 s8, s2, 0x2b00
	v_mov_b32_e32 v20, s9
	s_ashr_i32 s9, s8, 31
	s_lshl_b64 s[8:9], s[8:9], 1
	v_addc_co_u32_e32 v39, vcc, v2, v20, vcc
	s_cmpk_lt_u32 s28, 0x5701
	v_add_co_u32_e32 v40, vcc, s8, v1
	s_cselect_b32 s8, s2, 0x2b80
	v_mov_b32_e32 v20, s9
	s_ashr_i32 s9, s8, 31
	s_lshl_b64 s[8:9], s[8:9], 1
	v_addc_co_u32_e32 v41, vcc, v2, v20, vcc
	s_cmpk_lt_u32 s28, 0x5801
	v_add_co_u32_e32 v42, vcc, s8, v1
	s_cselect_b32 s8, s2, 0x2c00
	v_mov_b32_e32 v20, s9
	s_ashr_i32 s9, s8, 31
	s_lshl_b64 s[8:9], s[8:9], 1
	v_addc_co_u32_e32 v43, vcc, v2, v20, vcc
	s_cmpk_lt_u32 s28, 0x5901
	global_load_ushort v23, v[28:29], off
	global_load_ushort v24, v[30:31], off
	global_load_ushort v25, v[32:33], off
	global_load_ushort v26, v[34:35], off
	global_load_ushort v27, v[36:37], off
	global_load_ushort v20, v[38:39], off
	global_load_ushort v21, v[40:41], off
	global_load_ushort v22, v[42:43], off
	v_add_co_u32_e32 v36, vcc, s8, v1
	s_cselect_b32 s8, s2, 0x2c80
	v_mov_b32_e32 v28, s9
	s_ashr_i32 s9, s8, 31
	s_lshl_b64 s[8:9], s[8:9], 1
	v_addc_co_u32_e32 v37, vcc, v2, v28, vcc
	s_cmpk_lt_u32 s28, 0x5a01
	v_add_co_u32_e32 v38, vcc, s8, v1
	s_cselect_b32 s8, s2, 0x2d00
	v_mov_b32_e32 v28, s9
	s_ashr_i32 s9, s8, 31
	s_lshl_b64 s[8:9], s[8:9], 1
	v_addc_co_u32_e32 v39, vcc, v2, v28, vcc
	s_cmpk_lt_u32 s28, 0x5b01
	v_add_co_u32_e32 v40, vcc, s8, v1
	s_cselect_b32 s8, s2, 0x2d80
	v_mov_b32_e32 v28, s9
	s_ashr_i32 s9, s8, 31
	s_lshl_b64 s[8:9], s[8:9], 1
	v_addc_co_u32_e32 v41, vcc, v2, v28, vcc
	s_cmpk_lt_u32 s28, 0x5c01
	v_add_co_u32_e32 v42, vcc, s8, v1
	s_cselect_b32 s8, s2, 0x2e00
	v_mov_b32_e32 v28, s9
	s_ashr_i32 s9, s8, 31
	s_lshl_b64 s[8:9], s[8:9], 1
	v_addc_co_u32_e32 v43, vcc, v2, v28, vcc
	s_cmpk_lt_u32 s28, 0x5d01
	v_add_co_u32_e32 v44, vcc, s8, v1
	s_cselect_b32 s8, s2, 0x2e80
	v_mov_b32_e32 v28, s9
	s_ashr_i32 s9, s8, 31
	s_lshl_b64 s[8:9], s[8:9], 1
	v_addc_co_u32_e32 v45, vcc, v2, v28, vcc
	s_cmpk_lt_u32 s28, 0x5e01
	v_add_co_u32_e32 v46, vcc, s8, v1
	s_cselect_b32 s8, s2, 0x2f00
	v_mov_b32_e32 v28, s9
	s_ashr_i32 s9, s8, 31
	s_lshl_b64 s[8:9], s[8:9], 1
	v_addc_co_u32_e32 v47, vcc, v2, v28, vcc
	s_cmpk_lt_u32 s28, 0x5f01
	v_add_co_u32_e32 v48, vcc, s8, v1
	s_cselect_b32 s8, s2, 0x2f80
	v_mov_b32_e32 v28, s9
	s_ashr_i32 s9, s8, 31
	s_lshl_b64 s[8:9], s[8:9], 1
	v_addc_co_u32_e32 v49, vcc, v2, v28, vcc
	s_cmpk_lt_u32 s28, 0x6001
	v_add_co_u32_e32 v50, vcc, s8, v1
	s_cselect_b32 s8, s2, 0x3000
	v_mov_b32_e32 v28, s9
	s_ashr_i32 s9, s8, 31
	s_lshl_b64 s[8:9], s[8:9], 1
	v_addc_co_u32_e32 v51, vcc, v2, v28, vcc
	s_cmpk_lt_u32 s28, 0x6101
	global_load_ushort v31, v[36:37], off
	global_load_ushort v32, v[38:39], off
	global_load_ushort v33, v[40:41], off
	global_load_ushort v34, v[42:43], off
	global_load_ushort v35, v[44:45], off
	global_load_ushort v28, v[46:47], off
	global_load_ushort v29, v[48:49], off
	global_load_ushort v30, v[50:51], off
	v_add_co_u32_e32 v36, vcc, s8, v1
	s_cselect_b32 s8, s2, 0x3080
	v_mov_b32_e32 v37, s9
	s_ashr_i32 s9, s8, 31
	s_lshl_b64 s[8:9], s[8:9], 1
	v_addc_co_u32_e32 v37, vcc, v2, v37, vcc
	s_cmpk_lt_u32 s28, 0x6201
	v_add_co_u32_e32 v38, vcc, s8, v1
	s_cselect_b32 s8, s2, 0x3100
	v_mov_b32_e32 v39, s9
	s_ashr_i32 s9, s8, 31
	s_lshl_b64 s[8:9], s[8:9], 1
	v_addc_co_u32_e32 v39, vcc, v2, v39, vcc
	s_cmpk_lt_u32 s28, 0x6301
	v_add_co_u32_e32 v40, vcc, s8, v1
	s_cselect_b32 s8, s2, 0x3180
	v_mov_b32_e32 v41, s9
	s_ashr_i32 s9, s8, 31
	s_lshl_b64 s[8:9], s[8:9], 1
	v_addc_co_u32_e32 v41, vcc, v2, v41, vcc
	s_cmpk_lt_u32 s28, 0x6401
	v_add_co_u32_e32 v42, vcc, s8, v1
	s_cselect_b32 s8, s2, 0x3200
	v_mov_b32_e32 v43, s9
	s_ashr_i32 s9, s8, 31
	s_lshl_b64 s[8:9], s[8:9], 1
	v_addc_co_u32_e32 v43, vcc, v2, v43, vcc
	s_cmpk_lt_u32 s28, 0x6501
	v_add_co_u32_e32 v44, vcc, s8, v1
	s_cselect_b32 s8, s2, 0x3280
	v_mov_b32_e32 v45, s9
	s_ashr_i32 s9, s8, 31
	s_lshl_b64 s[8:9], s[8:9], 1
	v_addc_co_u32_e32 v45, vcc, v2, v45, vcc
	s_cmpk_lt_u32 s28, 0x6601
	v_add_co_u32_e32 v46, vcc, s8, v1
	s_cselect_b32 s8, s2, 0x3300
	v_mov_b32_e32 v47, s9
	s_ashr_i32 s9, s8, 31
	s_lshl_b64 s[8:9], s[8:9], 1
	v_addc_co_u32_e32 v47, vcc, v2, v47, vcc
	s_cmpk_lt_u32 s28, 0x6701
	v_add_co_u32_e32 v48, vcc, s8, v1
	s_cselect_b32 s8, s2, 0x3380
	v_mov_b32_e32 v49, s9
	s_ashr_i32 s9, s8, 31
	s_lshl_b64 s[8:9], s[8:9], 1
	v_addc_co_u32_e32 v49, vcc, v2, v49, vcc
	s_cmpk_lt_u32 s28, 0x6801
	v_add_co_u32_e32 v50, vcc, s8, v1
	s_cselect_b32 s8, s2, 0x3400
	v_mov_b32_e32 v51, s9
	s_ashr_i32 s9, s8, 31
	s_lshl_b64 s[8:9], s[8:9], 1
	v_addc_co_u32_e32 v51, vcc, v2, v51, vcc
	s_cmpk_lt_u32 s28, 0x6901
	global_load_ushort v52, v[36:37], off
	global_load_ushort v53, v[38:39], off
	global_load_ushort v54, v[40:41], off
	global_load_ushort v55, v[42:43], off
	global_load_ushort v56, v[44:45], off
	global_load_ushort v57, v[46:47], off
	global_load_ushort v58, v[48:49], off
	global_load_ushort v59, v[50:51], off
	v_add_co_u32_e32 v36, vcc, s8, v1
	s_cselect_b32 s8, s2, 0x3480
	v_mov_b32_e32 v37, s9
	s_ashr_i32 s9, s8, 31
	s_lshl_b64 s[8:9], s[8:9], 1
	v_addc_co_u32_e32 v37, vcc, v2, v37, vcc
	s_cmpk_lt_u32 s28, 0x6a01
	v_add_co_u32_e32 v38, vcc, s8, v1
	s_cselect_b32 s8, s2, 0x3500
	v_mov_b32_e32 v39, s9
	s_ashr_i32 s9, s8, 31
	s_lshl_b64 s[8:9], s[8:9], 1
	v_addc_co_u32_e32 v39, vcc, v2, v39, vcc
	s_cmpk_lt_u32 s28, 0x6b01
	v_add_co_u32_e32 v40, vcc, s8, v1
	s_cselect_b32 s8, s2, 0x3580
	v_mov_b32_e32 v41, s9
	s_ashr_i32 s9, s8, 31
	s_lshl_b64 s[8:9], s[8:9], 1
	v_addc_co_u32_e32 v41, vcc, v2, v41, vcc
	s_cmpk_lt_u32 s28, 0x6c01
	v_add_co_u32_e32 v42, vcc, s8, v1
	s_cselect_b32 s8, s2, 0x3600
	v_mov_b32_e32 v43, s9
	s_ashr_i32 s9, s8, 31
	s_lshl_b64 s[8:9], s[8:9], 1
	v_addc_co_u32_e32 v43, vcc, v2, v43, vcc
	s_cmpk_lt_u32 s28, 0x6d01
	v_add_co_u32_e32 v44, vcc, s8, v1
	s_cselect_b32 s8, s2, 0x3680
	v_mov_b32_e32 v45, s9
	s_ashr_i32 s9, s8, 31
	s_lshl_b64 s[8:9], s[8:9], 1
	v_addc_co_u32_e32 v45, vcc, v2, v45, vcc
	s_cmpk_lt_u32 s28, 0x6e01
	v_add_co_u32_e32 v46, vcc, s8, v1
	s_cselect_b32 s8, s2, 0x3700
	v_mov_b32_e32 v47, s9
	s_ashr_i32 s9, s8, 31
	s_lshl_b64 s[8:9], s[8:9], 1
	v_addc_co_u32_e32 v47, vcc, v2, v47, vcc
	s_cmpk_lt_u32 s28, 0x6f01
	v_add_co_u32_e32 v48, vcc, s8, v1
	s_cselect_b32 s8, s2, 0x3780
	v_mov_b32_e32 v49, s9
	s_ashr_i32 s9, s8, 31
	s_lshl_b64 s[8:9], s[8:9], 1
	v_addc_co_u32_e32 v49, vcc, v2, v49, vcc
	s_cmpk_lt_u32 s28, 0x7001
	v_add_co_u32_e32 v50, vcc, s8, v1
	s_cselect_b32 s8, s2, 0x3800
	v_mov_b32_e32 v51, s9
	s_ashr_i32 s9, s8, 31
	s_lshl_b64 s[8:9], s[8:9], 1
	v_addc_co_u32_e32 v51, vcc, v2, v51, vcc
	s_cmpk_lt_u32 s28, 0x7101
	global_load_ushort v60, v[36:37], off
	global_load_ushort v61, v[38:39], off
	global_load_ushort v62, v[40:41], off
	global_load_ushort v63, v[42:43], off
	global_load_ushort v64, v[44:45], off
	global_load_ushort v65, v[46:47], off
	global_load_ushort v66, v[48:49], off
	global_load_ushort v67, v[50:51], off
	v_add_co_u32_e32 v36, vcc, s8, v1
	s_cselect_b32 s8, s2, 0x3880
	v_mov_b32_e32 v37, s9
	s_ashr_i32 s9, s8, 31
	s_lshl_b64 s[8:9], s[8:9], 1
	v_addc_co_u32_e32 v37, vcc, v2, v37, vcc
	s_cmpk_lt_u32 s28, 0x7201
	v_add_co_u32_e32 v38, vcc, s8, v1
	s_cselect_b32 s8, s2, 0x3900
	v_mov_b32_e32 v39, s9
	s_ashr_i32 s9, s8, 31
	s_lshl_b64 s[8:9], s[8:9], 1
	v_addc_co_u32_e32 v39, vcc, v2, v39, vcc
	s_cmpk_lt_u32 s28, 0x7301
	v_add_co_u32_e32 v40, vcc, s8, v1
	s_cselect_b32 s8, s2, 0x3980
	v_mov_b32_e32 v41, s9
	s_ashr_i32 s9, s8, 31
	s_lshl_b64 s[8:9], s[8:9], 1
	v_addc_co_u32_e32 v41, vcc, v2, v41, vcc
	s_cmpk_lt_u32 s28, 0x7401
	v_add_co_u32_e32 v42, vcc, s8, v1
	s_cselect_b32 s8, s2, 0x3a00
	v_mov_b32_e32 v43, s9
	s_ashr_i32 s9, s8, 31
	s_lshl_b64 s[8:9], s[8:9], 1
	v_addc_co_u32_e32 v43, vcc, v2, v43, vcc
	s_cmpk_lt_u32 s28, 0x7501
	v_add_co_u32_e32 v44, vcc, s8, v1
	s_cselect_b32 s8, s2, 0x3a80
	v_mov_b32_e32 v45, s9
	s_ashr_i32 s9, s8, 31
	s_lshl_b64 s[8:9], s[8:9], 1
	v_addc_co_u32_e32 v45, vcc, v2, v45, vcc
	s_cmpk_lt_u32 s28, 0x7601
	v_add_co_u32_e32 v46, vcc, s8, v1
	s_cselect_b32 s8, s2, 0x3b00
	v_mov_b32_e32 v47, s9
	s_ashr_i32 s9, s8, 31
	s_lshl_b64 s[8:9], s[8:9], 1
	v_addc_co_u32_e32 v47, vcc, v2, v47, vcc
	s_cmpk_lt_u32 s28, 0x7701
	v_add_co_u32_e32 v48, vcc, s8, v1
	s_cselect_b32 s8, s2, 0x3b80
	v_mov_b32_e32 v49, s9
	s_ashr_i32 s9, s8, 31
	s_lshl_b64 s[8:9], s[8:9], 1
	v_addc_co_u32_e32 v49, vcc, v2, v49, vcc
	s_cmpk_lt_u32 s28, 0x7801
	v_add_co_u32_e32 v50, vcc, s8, v1
	s_cselect_b32 s8, s2, 0x3c00
	v_mov_b32_e32 v51, s9
	s_ashr_i32 s9, s8, 31
	s_lshl_b64 s[8:9], s[8:9], 1
	v_addc_co_u32_e32 v51, vcc, v2, v51, vcc
	s_cmpk_lt_u32 s28, 0x7901
	global_load_ushort v68, v[36:37], off
	global_load_ushort v69, v[38:39], off
	global_load_ushort v70, v[40:41], off
	global_load_ushort v71, v[42:43], off
	global_load_ushort v72, v[44:45], off
	global_load_ushort v73, v[46:47], off
	global_load_ushort v74, v[48:49], off
	global_load_ushort v75, v[50:51], off
	v_add_co_u32_e32 v36, vcc, s8, v1
	s_cselect_b32 s8, s2, 0x3c80
	v_mov_b32_e32 v37, s9
	s_ashr_i32 s9, s8, 31
	s_lshl_b64 s[8:9], s[8:9], 1
	v_addc_co_u32_e32 v37, vcc, v2, v37, vcc
	s_cmpk_lt_u32 s28, 0x7a01
	v_add_co_u32_e32 v38, vcc, s8, v1
	s_cselect_b32 s8, s2, 0x3d00
	v_mov_b32_e32 v39, s9
	s_ashr_i32 s9, s8, 31
	s_lshl_b64 s[8:9], s[8:9], 1
	v_addc_co_u32_e32 v39, vcc, v2, v39, vcc
	s_cmpk_lt_u32 s28, 0x7b01
	v_add_co_u32_e32 v40, vcc, s8, v1
	s_cselect_b32 s8, s2, 0x3d80
	v_mov_b32_e32 v41, s9
	s_ashr_i32 s9, s8, 31
	;; [unrolled: 7-line block ×5, first 2 shown]
	s_lshl_b64 s[8:9], s[8:9], 1
	s_cmpk_lt_u32 s28, 0x7f01
	v_addc_co_u32_e32 v47, vcc, v2, v47, vcc
	s_cselect_b32 s2, s2, 0x3f80
	v_mov_b32_e32 v49, s9
	v_add_co_u32_e32 v48, vcc, s8, v1
	s_ashr_i32 s3, s2, 31
	v_addc_co_u32_e32 v49, vcc, v2, v49, vcc
	s_lshl_b64 s[2:3], s[2:3], 1
	v_mov_b32_e32 v51, s3
	v_add_co_u32_e32 v50, vcc, s2, v1
	v_addc_co_u32_e32 v51, vcc, v2, v51, vcc
	global_load_ushort v1, v[36:37], off
	global_load_ushort v76, v[38:39], off
	;; [unrolled: 1-line block ×8, first 2 shown]
	v_mov_b32_e32 v83, 0
	ds_read_b128 v[36:39], v83 offset:256
	ds_read_b128 v[40:43], v83 offset:272
	;; [unrolled: 1-line block ×4, first 2 shown]
	s_waitcnt vmcnt(62) lgkmcnt(0)
	v_fma_mix_f32 v2, v36, v3, v4 op_sel_hi:[0,1,0]
	v_fma_mix_f32 v2, v37, v5, v2 op_sel_hi:[0,1,0]
	s_waitcnt vmcnt(61)
	v_fma_mix_f32 v2, v38, v6, v2 op_sel_hi:[0,1,0]
	s_waitcnt vmcnt(60)
	;; [unrolled: 2-line block ×11, first 2 shown]
	v_fma_mix_f32 v6, v48, v19, v2 op_sel_hi:[0,1,0]
	ds_read_b128 v[2:5], v83 offset:320
	s_waitcnt vmcnt(50)
	v_fma_mix_f32 v6, v49, v12, v6 op_sel_hi:[0,1,0]
	s_waitcnt vmcnt(49)
	v_fma_mix_f32 v6, v50, v13, v6 op_sel_hi:[0,1,0]
	s_waitcnt vmcnt(48)
	v_fma_mix_f32 v10, v51, v14, v6 op_sel_hi:[0,1,0]
	ds_read_b128 v[6:9], v83 offset:336
	s_waitcnt vmcnt(47) lgkmcnt(1)
	v_fma_mix_f32 v2, v2, v23, v10 op_sel_hi:[0,1,0]
	s_waitcnt vmcnt(46)
	v_fma_mix_f32 v2, v3, v24, v2 op_sel_hi:[0,1,0]
	s_waitcnt vmcnt(45)
	v_fma_mix_f32 v2, v4, v25, v2 op_sel_hi:[0,1,0]
	s_waitcnt vmcnt(44)
	v_fma_mix_f32 v2, v5, v26, v2 op_sel_hi:[0,1,0]
	s_waitcnt vmcnt(43) lgkmcnt(0)
	v_fma_mix_f32 v6, v6, v27, v2 op_sel_hi:[0,1,0]
	ds_read_b128 v[2:5], v83 offset:352
	s_waitcnt vmcnt(42)
	v_fma_mix_f32 v6, v7, v20, v6 op_sel_hi:[0,1,0]
	s_waitcnt vmcnt(41)
	v_fma_mix_f32 v6, v8, v21, v6 op_sel_hi:[0,1,0]
	s_waitcnt vmcnt(40)
	v_fma_mix_f32 v10, v9, v22, v6 op_sel_hi:[0,1,0]
	ds_read_b128 v[6:9], v83 offset:368
	s_waitcnt vmcnt(39) lgkmcnt(1)
	v_fma_mix_f32 v2, v2, v31, v10 op_sel_hi:[0,1,0]
	s_waitcnt vmcnt(38)
	v_fma_mix_f32 v2, v3, v32, v2 op_sel_hi:[0,1,0]
	s_waitcnt vmcnt(37)
	v_fma_mix_f32 v2, v4, v33, v2 op_sel_hi:[0,1,0]
	s_waitcnt vmcnt(36)
	v_fma_mix_f32 v2, v5, v34, v2 op_sel_hi:[0,1,0]
	s_waitcnt vmcnt(35) lgkmcnt(0)
	;; [unrolled: 18-line block ×6, first 2 shown]
	v_fma_mix_f32 v1, v6, v79, v1 op_sel_hi:[0,1,0]
	s_waitcnt vmcnt(2)
	v_fma_mix_f32 v1, v7, v80, v1 op_sel_hi:[0,1,0]
	s_waitcnt vmcnt(1)
	;; [unrolled: 2-line block ×3, first 2 shown]
	v_fma_mix_f32 v4, v9, v82, v1 op_sel_hi:[0,1,0]
.LBB113_17:
	v_mov_b32_e32 v1, 0
	s_load_dwordx2 s[2:3], s[4:5], 0x0
	ds_read_b32 v2, v1 offset:512
	s_waitcnt lgkmcnt(0)
	s_cmp_eq_u64 s[0:1], 0
	s_cbranch_scc1 .LBB113_22
; %bb.18:
	s_load_dword s4, s[0:1], 0x0
	s_waitcnt lgkmcnt(0)
	v_div_scale_f32 v1, s[0:1], s4, s4, 1.0
	v_rcp_f32_e32 v3, v1
	v_div_scale_f32 v5, vcc, 1.0, s4, 1.0
	v_fma_f32 v6, -v1, v3, 1.0
	v_fmac_f32_e32 v3, v6, v3
	v_mul_f32_e32 v6, v5, v3
	v_fma_f32 v7, -v1, v6, v5
	v_fmac_f32_e32 v6, v7, v3
	v_fma_f32 v1, -v1, v6, v5
	v_div_fmas_f32 v1, v1, v3, v6
	v_div_fixup_f32 v1, v1, s4, 1.0
	s_andn2_b64 vcc, exec, s[20:21]
	s_cbranch_vccnz .LBB113_20
.LBB113_19:
	s_add_u32 s0, s18, s22
	s_addc_u32 s1, s19, s23
	s_load_dword s16, s[0:1], 0x0
	s_mov_b32 s17, 0
.LBB113_20:
	v_add_f32_e32 v2, 0x358637bd, v2
	v_div_scale_f32 v3, s[0:1], v2, v2, 1.0
	v_rcp_f32_e32 v5, v3
	v_div_scale_f32 v6, vcc, 1.0, v2, 1.0
	s_mul_i32 s0, s7, s17
	v_fma_f32 v7, -v3, v5, 1.0
	v_fmac_f32_e32 v5, v7, v5
	v_mul_f32_e32 v7, v6, v5
	v_fma_f32 v8, -v3, v7, v6
	s_waitcnt lgkmcnt(0)
	s_mul_hi_u32 s1, s7, s16
	v_fmac_f32_e32 v7, v8, v5
	s_add_i32 s1, s1, s0
	s_mul_i32 s0, s7, s16
	v_fma_f32 v3, -v3, v7, v6
	s_lshl_b64 s[0:1], s[0:1], 8
	v_div_fmas_f32 v3, v3, v5, v7
	s_add_u32 s2, s2, s0
	s_mov_b32 s7, 0
	v_div_fixup_f32 v2, v3, v2, 1.0
	s_addc_u32 s3, s3, s1
	s_lshl_b64 s[0:1], s[6:7], 8
	v_mul_f32_e32 v2, v4, v2
	s_add_u32 s0, s2, s0
	s_addc_u32 s1, s3, s1
	v_fma_mixlo_f16 v1, v2, v1, 0
	global_store_short v0, v1, s[0:1]
	s_endpgm
.LBB113_21:
	s_mov_b64 s[2:3], 0
	s_branch .LBB113_2
.LBB113_22:
	v_mov_b32_e32 v1, 1.0
	s_andn2_b64 vcc, exec, s[20:21]
	s_cbranch_vccz .LBB113_19
	s_branch .LBB113_20
	.section	.rodata,"a",@progbits
	.p2align	6, 0x0
	.amdhsa_kernel _Z35paged_attention_ll4mi_reduce_kernelIDF16_DF16_Li128ELi128ELi256ELi2EEvPT0_PKfS3_PKT_PKiS8_iS3_
		.amdhsa_group_segment_fixed_size 516
		.amdhsa_private_segment_fixed_size 0
		.amdhsa_kernarg_size 320
		.amdhsa_user_sgpr_count 6
		.amdhsa_user_sgpr_private_segment_buffer 1
		.amdhsa_user_sgpr_dispatch_ptr 0
		.amdhsa_user_sgpr_queue_ptr 0
		.amdhsa_user_sgpr_kernarg_segment_ptr 1
		.amdhsa_user_sgpr_dispatch_id 0
		.amdhsa_user_sgpr_flat_scratch_init 0
		.amdhsa_user_sgpr_kernarg_preload_length 0
		.amdhsa_user_sgpr_kernarg_preload_offset 0
		.amdhsa_user_sgpr_private_segment_size 0
		.amdhsa_uses_dynamic_stack 0
		.amdhsa_system_sgpr_private_segment_wavefront_offset 0
		.amdhsa_system_sgpr_workgroup_id_x 1
		.amdhsa_system_sgpr_workgroup_id_y 1
		.amdhsa_system_sgpr_workgroup_id_z 0
		.amdhsa_system_sgpr_workgroup_info 0
		.amdhsa_system_vgpr_workitem_id 0
		.amdhsa_next_free_vgpr 92
		.amdhsa_next_free_sgpr 32
		.amdhsa_accum_offset 92
		.amdhsa_reserve_vcc 1
		.amdhsa_reserve_flat_scratch 0
		.amdhsa_float_round_mode_32 0
		.amdhsa_float_round_mode_16_64 0
		.amdhsa_float_denorm_mode_32 3
		.amdhsa_float_denorm_mode_16_64 3
		.amdhsa_dx10_clamp 1
		.amdhsa_ieee_mode 1
		.amdhsa_fp16_overflow 0
		.amdhsa_tg_split 0
		.amdhsa_exception_fp_ieee_invalid_op 0
		.amdhsa_exception_fp_denorm_src 0
		.amdhsa_exception_fp_ieee_div_zero 0
		.amdhsa_exception_fp_ieee_overflow 0
		.amdhsa_exception_fp_ieee_underflow 0
		.amdhsa_exception_fp_ieee_inexact 0
		.amdhsa_exception_int_div_zero 0
	.end_amdhsa_kernel
	.section	.text._Z35paged_attention_ll4mi_reduce_kernelIDF16_DF16_Li128ELi128ELi256ELi2EEvPT0_PKfS3_PKT_PKiS8_iS3_,"axG",@progbits,_Z35paged_attention_ll4mi_reduce_kernelIDF16_DF16_Li128ELi128ELi256ELi2EEvPT0_PKfS3_PKT_PKiS8_iS3_,comdat
.Lfunc_end113:
	.size	_Z35paged_attention_ll4mi_reduce_kernelIDF16_DF16_Li128ELi128ELi256ELi2EEvPT0_PKfS3_PKT_PKiS8_iS3_, .Lfunc_end113-_Z35paged_attention_ll4mi_reduce_kernelIDF16_DF16_Li128ELi128ELi256ELi2EEvPT0_PKfS3_PKT_PKiS8_iS3_
                                        ; -- End function
	.section	.AMDGPU.csdata,"",@progbits
; Kernel info:
; codeLenInByte = 8776
; NumSgprs: 36
; NumVgprs: 92
; NumAgprs: 0
; TotalNumVgprs: 92
; ScratchSize: 0
; MemoryBound: 0
; FloatMode: 240
; IeeeMode: 1
; LDSByteSize: 516 bytes/workgroup (compile time only)
; SGPRBlocks: 4
; VGPRBlocks: 11
; NumSGPRsForWavesPerEU: 36
; NumVGPRsForWavesPerEU: 92
; AccumOffset: 92
; Occupancy: 5
; WaveLimiterHint : 1
; COMPUTE_PGM_RSRC2:SCRATCH_EN: 0
; COMPUTE_PGM_RSRC2:USER_SGPR: 6
; COMPUTE_PGM_RSRC2:TRAP_HANDLER: 0
; COMPUTE_PGM_RSRC2:TGID_X_EN: 1
; COMPUTE_PGM_RSRC2:TGID_Y_EN: 1
; COMPUTE_PGM_RSRC2:TGID_Z_EN: 0
; COMPUTE_PGM_RSRC2:TIDIG_COMP_CNT: 0
; COMPUTE_PGM_RSRC3_GFX90A:ACCUM_OFFSET: 22
; COMPUTE_PGM_RSRC3_GFX90A:TG_SPLIT: 0
	.section	.text._Z35paged_attention_ll4mi_reduce_kernelIDF16_DF16_Li128ELi128ELi256ELi3EEvPT0_PKfS3_PKT_PKiS8_iS3_,"axG",@progbits,_Z35paged_attention_ll4mi_reduce_kernelIDF16_DF16_Li128ELi128ELi256ELi3EEvPT0_PKfS3_PKT_PKiS8_iS3_,comdat
	.protected	_Z35paged_attention_ll4mi_reduce_kernelIDF16_DF16_Li128ELi128ELi256ELi3EEvPT0_PKfS3_PKT_PKiS8_iS3_ ; -- Begin function _Z35paged_attention_ll4mi_reduce_kernelIDF16_DF16_Li128ELi128ELi256ELi3EEvPT0_PKfS3_PKT_PKiS8_iS3_
	.globl	_Z35paged_attention_ll4mi_reduce_kernelIDF16_DF16_Li128ELi128ELi256ELi3EEvPT0_PKfS3_PKT_PKiS8_iS3_
	.p2align	8
	.type	_Z35paged_attention_ll4mi_reduce_kernelIDF16_DF16_Li128ELi128ELi256ELi3EEvPT0_PKfS3_PKT_PKiS8_iS3_,@function
_Z35paged_attention_ll4mi_reduce_kernelIDF16_DF16_Li128ELi128ELi256ELi3EEvPT0_PKfS3_PKT_PKiS8_iS3_: ; @_Z35paged_attention_ll4mi_reduce_kernelIDF16_DF16_Li128ELi128ELi256ELi3EEvPT0_PKfS3_PKT_PKiS8_iS3_
; %bb.0:
	s_load_dwordx2 s[20:21], s[4:5], 0x28
	s_mov_b32 s10, s7
	s_mov_b64 s[0:1], 0
	s_waitcnt lgkmcnt(0)
	s_cmp_lg_u64 s[20:21], 0
	s_cselect_b64 s[22:23], -1, 0
	s_and_b64 vcc, exec, s[22:23]
	s_cbranch_vccz .LBB114_23
; %bb.1:
	s_add_i32 s2, s10, 1
	s_mov_b32 s3, 0
	s_lshl_b64 s[8:9], s[2:3], 2
	s_add_u32 s8, s20, s8
	s_mov_b32 s11, s3
	s_addc_u32 s9, s21, s9
	s_lshl_b64 s[2:3], s[10:11], 2
	s_add_u32 s2, s20, s2
	s_addc_u32 s3, s21, s3
	s_load_dword s7, s[8:9], 0x0
	s_load_dword s12, s[2:3], 0x0
	s_waitcnt lgkmcnt(0)
	s_sub_i32 s2, s7, s12
	s_cmp_eq_u32 s2, 1
	s_cselect_b64 s[2:3], -1, 0
	s_andn2_b64 vcc, exec, s[0:1]
	s_cbranch_vccnz .LBB114_3
.LBB114_2:
	s_mov_b32 s11, 0
	s_mov_b64 s[2:3], -1
.LBB114_3:
	s_andn2_b64 vcc, exec, s[2:3]
	s_cbranch_vccz .LBB114_5
; %bb.4:
	s_endpgm
.LBB114_5:
	s_load_dwordx4 s[12:15], s[4:5], 0x18
	s_load_dword s8, s[4:5], 0x30
	s_lshl_b64 s[24:25], s[10:11], 2
	v_cmp_lt_u32_e32 vcc, 63, v0
	s_waitcnt lgkmcnt(0)
	s_add_u32 s0, s14, s24
	s_addc_u32 s1, s15, s25
	s_load_dword s33, s[0:1], 0x0
	s_load_dword s7, s[4:5], 0x40
	s_mul_i32 s14, s6, s8
	s_mul_i32 s2, s10, s8
	s_waitcnt lgkmcnt(0)
	s_add_i32 s3, s33, 0xff
	s_ashr_i32 s0, s3, 31
	s_lshr_b32 s0, s0, 24
	s_add_i32 s3, s3, s0
	s_and_saveexec_b64 s[0:1], vcc
	s_xor_b64 s[0:1], exec, s[0:1]
	s_or_saveexec_b64 s[26:27], s[0:1]
	s_ashr_i32 s34, s3, 8
	v_mov_b32_e32 v1, s14
	s_mul_i32 s28, s2, s7
	s_xor_b64 exec, exec, s[26:27]
	s_cbranch_execz .LBB114_9
; %bb.6:
	s_load_dwordx4 s[16:19], s[4:5], 0x8
	s_mov_b32 s29, 0
	s_add_i32 s0, s34, -1
	v_or_b32_e32 v3, 64, v0
	v_mov_b32_e32 v1, s0
	v_cmp_gt_u32_e64 s[0:1], s34, v3
	s_lshl_b64 s[30:31], s[28:29], 2
	s_mov_b32 s15, s29
	v_cmp_gt_u32_e64 s[2:3], s34, v0
	v_cndmask_b32_e64 v4, v1, v3, s[0:1]
	v_or_b32_e32 v3, 0x80, v0
	s_waitcnt lgkmcnt(0)
	s_add_u32 s8, s18, s30
	v_cndmask_b32_e64 v2, v1, v0, s[2:3]
	v_cmp_gt_u32_e32 vcc, s34, v3
	s_addc_u32 s9, s19, s31
	s_lshl_b64 s[18:19], s[14:15], 2
	v_cndmask_b32_e32 v6, v1, v3, vcc
	s_add_u32 s15, s8, s18
	v_ashrrev_i32_e32 v3, 31, v2
	s_addc_u32 s29, s9, s19
	v_lshlrev_b64 v[2:3], 2, v[2:3]
	v_mov_b32_e32 v1, s29
	v_add_co_u32_e64 v8, s[8:9], s15, v2
	v_ashrrev_i32_e32 v5, 31, v4
	v_addc_co_u32_e64 v9, s[8:9], v1, v3, s[8:9]
	v_lshlrev_b64 v[4:5], 2, v[4:5]
	v_add_co_u32_e64 v10, s[8:9], s15, v4
	v_ashrrev_i32_e32 v7, 31, v6
	v_addc_co_u32_e64 v11, s[8:9], v1, v5, s[8:9]
	v_lshlrev_b64 v[6:7], 2, v[6:7]
	v_add_co_u32_e64 v12, s[8:9], s15, v6
	v_addc_co_u32_e64 v13, s[8:9], v1, v7, s[8:9]
	global_load_dword v1, v[8:9], off
	global_load_dword v14, v[10:11], off
	;; [unrolled: 1-line block ×3, first 2 shown]
	v_mbcnt_lo_u32_b32 v8, -1, 0
	v_mbcnt_hi_u32_b32 v8, -1, v8
	v_and_b32_e32 v9, 64, v8
	v_xor_b32_e32 v10, 32, v8
	v_add_u32_e32 v9, 64, v9
	v_xor_b32_e32 v11, 16, v8
	v_cmp_lt_i32_e64 s[8:9], v10, v9
	v_xor_b32_e32 v12, 8, v8
	v_cndmask_b32_e64 v10, v8, v10, s[8:9]
	v_cmp_lt_i32_e64 s[8:9], v11, v9
	v_cndmask_b32_e64 v11, v8, v11, s[8:9]
	v_cmp_lt_i32_e64 s[8:9], v12, v9
	v_cndmask_b32_e64 v12, v8, v12, s[8:9]
	s_add_u32 s8, s16, s30
	s_addc_u32 s9, s17, s31
	s_add_u32 s15, s8, s18
	s_addc_u32 s16, s9, s19
	v_mov_b32_e32 v13, s16
	v_add_co_u32_e64 v2, s[8:9], s15, v2
	v_addc_co_u32_e64 v3, s[8:9], v13, v3, s[8:9]
	global_load_dword v13, v[2:3], off
	v_lshlrev_b32_e32 v10, 2, v10
	v_mov_b32_e32 v3, s16
	v_add_co_u32_e64 v2, s[8:9], s15, v4
	v_addc_co_u32_e64 v3, s[8:9], v3, v5, s[8:9]
	global_load_dword v4, v[2:3], off
	v_mov_b32_e32 v3, s16
	v_lshlrev_b32_e32 v11, 2, v11
	v_lshlrev_b32_e32 v12, 2, v12
	s_mov_b32 s16, 0x42b17218
	s_waitcnt vmcnt(2)
	v_max3_f32 v16, v1, v14, v15
	ds_bpermute_b32 v17, v10, v16
	s_waitcnt lgkmcnt(0)
	v_max_f32_e32 v2, v17, v17
	v_max_f32_e32 v5, v16, v2
	v_add_co_u32_e64 v2, s[8:9], s15, v6
	v_addc_co_u32_e64 v3, s[8:9], v3, v7, s[8:9]
	global_load_dword v3, v[2:3], off
	ds_bpermute_b32 v16, v11, v5
	v_xor_b32_e32 v6, 4, v8
	v_cmp_lt_i32_e64 s[8:9], v6, v9
	v_cndmask_b32_e64 v6, v8, v6, s[8:9]
	v_lshlrev_b32_e32 v6, 2, v6
	s_waitcnt lgkmcnt(0)
	v_max_f32_e32 v2, v16, v16
	v_max_f32_e32 v2, v5, v2
	ds_bpermute_b32 v5, v12, v2
	v_xor_b32_e32 v7, 2, v8
	v_cmp_lt_i32_e64 s[8:9], v7, v9
	v_cndmask_b32_e64 v7, v8, v7, s[8:9]
	v_lshlrev_b32_e32 v7, 2, v7
	s_waitcnt lgkmcnt(0)
	v_max_f32_e32 v5, v5, v5
	v_max_f32_e32 v2, v2, v5
	;; [unrolled: 8-line block ×3, first 2 shown]
	ds_bpermute_b32 v5, v7, v2
	s_mov_b32 s8, 0x3fb8aa3b
	s_mov_b32 s15, 0xc2ce8ed0
	v_mov_b32_e32 v9, 0x7f800000
	s_waitcnt lgkmcnt(0)
	v_max_f32_e32 v5, v5, v5
	v_max_f32_e32 v2, v2, v5
	ds_bpermute_b32 v5, v8, v2
	s_waitcnt lgkmcnt(0)
	v_max_f32_e32 v5, v5, v5
	v_max_f32_e32 v2, v2, v5
	v_sub_f32_e32 v1, v1, v2
	v_sub_f32_e32 v5, v14, v2
	v_mul_f32_e32 v14, 0x3fb8aa3b, v1
	v_sub_f32_e32 v2, v15, v2
	v_mul_f32_e32 v15, 0x3fb8aa3b, v5
	v_fma_f32 v17, v1, s8, -v14
	v_rndne_f32_e32 v18, v14
	v_fma_f32 v19, v5, s8, -v15
	v_rndne_f32_e32 v20, v15
	v_fmac_f32_e32 v17, 0x32a5705f, v1
	v_sub_f32_e32 v14, v14, v18
	v_fmac_f32_e32 v19, 0x32a5705f, v5
	v_sub_f32_e32 v15, v15, v20
	v_add_f32_e32 v14, v14, v17
	v_cvt_i32_f32_e32 v18, v18
	v_add_f32_e32 v15, v15, v19
	v_exp_f32_e32 v14, v14
	v_cvt_i32_f32_e32 v20, v20
	v_exp_f32_e32 v15, v15
	v_mul_f32_e32 v16, 0x3fb8aa3b, v2
	v_fma_f32 v17, v2, s8, -v16
	v_ldexp_f32 v14, v14, v18
	v_cmp_ngt_f32_e64 s[8:9], s15, v1
	v_ldexp_f32 v15, v15, v20
	v_cndmask_b32_e64 v14, 0, v14, s[8:9]
	v_cmp_ngt_f32_e64 s[8:9], s15, v5
	v_cndmask_b32_e64 v15, 0, v15, s[8:9]
	v_cmp_nlt_f32_e64 s[8:9], s16, v1
	v_cndmask_b32_e64 v1, v9, v14, s[8:9]
	v_cndmask_b32_e64 v1, 0, v1, s[2:3]
	s_waitcnt vmcnt(2)
	v_mul_f32_e32 v1, v13, v1
	v_rndne_f32_e32 v13, v16
	v_fmac_f32_e32 v17, 0x32a5705f, v2
	v_sub_f32_e32 v14, v16, v13
	v_add_f32_e32 v14, v14, v17
	v_exp_f32_e32 v14, v14
	v_cvt_i32_f32_e32 v13, v13
	v_cmp_nlt_f32_e64 s[2:3], s16, v5
	v_cndmask_b32_e64 v5, v9, v15, s[2:3]
	v_cndmask_b32_e64 v5, 0, v5, s[0:1]
	v_ldexp_f32 v13, v14, v13
	v_cmp_ngt_f32_e64 s[0:1], s15, v2
	v_cndmask_b32_e64 v13, 0, v13, s[0:1]
	v_cmp_nlt_f32_e64 s[0:1], s16, v2
	s_waitcnt vmcnt(1)
	v_mul_f32_e32 v15, v4, v5
	v_cndmask_b32_e64 v2, v9, v13, s[0:1]
	v_lshlrev_b32_e32 v13, 2, v0
	v_cndmask_b32_e32 v9, 0, v2, vcc
	ds_write2st64_b32 v13, v1, v15 offset1:1
	v_fmac_f32_e32 v1, v4, v5
	s_waitcnt vmcnt(0)
	v_fmac_f32_e32 v1, v3, v9
	ds_bpermute_b32 v2, v10, v1
	v_mul_f32_e32 v3, v3, v9
	v_cmp_eq_u32_e32 vcc, 0, v0
	ds_write_b32 v13, v3 offset:512
	s_waitcnt lgkmcnt(1)
	v_add_f32_e32 v1, v1, v2
	ds_bpermute_b32 v2, v11, v1
	s_waitcnt lgkmcnt(0)
	v_add_f32_e32 v1, v1, v2
	ds_bpermute_b32 v2, v12, v1
	;; [unrolled: 3-line block ×5, first 2 shown]
	s_and_saveexec_b64 s[0:1], vcc
	s_cbranch_execz .LBB114_8
; %bb.7:
	s_waitcnt lgkmcnt(0)
	v_add_f32_e32 v1, v1, v2
	v_mov_b32_e32 v2, 0
	ds_write_b32 v2, v1 offset:768
.LBB114_8:
	s_or_b64 exec, exec, s[0:1]
	v_mov_b32_e32 v1, s14
.LBB114_9:
	s_or_b64 exec, exec, s[26:27]
	s_lshl_b32 s0, s28, 7
	s_mov_b32 s1, 0
	s_lshl_b64 s[0:1], s[0:1], 1
	s_add_u32 s0, s12, s0
	s_addc_u32 s1, s13, s1
	s_lshl_b32 s2, s34, 7
	s_waitcnt lgkmcnt(0)
	v_lshlrev_b32_e32 v2, 7, v1
	v_mov_b32_e32 v3, 0
	s_addk_i32 s2, 0xff80
	v_lshlrev_b64 v[4:5], 1, v[2:3]
	s_cmp_lt_i32 s33, 1
	v_mov_b32_e32 v1, s1
	v_add_co_u32_e32 v2, vcc, s0, v4
	s_cselect_b32 s0, s2, 0
	v_addc_co_u32_e32 v4, vcc, v1, v5, vcc
	v_lshlrev_b32_e32 v0, 1, v0
	s_ashr_i32 s1, s0, 31
	v_add_co_u32_e32 v1, vcc, v2, v0
	s_lshl_b64 s[0:1], s[0:1], 1
	v_addc_co_u32_e32 v2, vcc, 0, v4, vcc
	s_cmpk_lt_i32 s33, 0x101
	v_add_co_u32_e32 v12, vcc, s0, v1
	s_cselect_b32 s0, s2, 0x80
	v_mov_b32_e32 v4, s1
	s_ashr_i32 s1, s0, 31
	s_lshl_b64 s[0:1], s[0:1], 1
	v_addc_co_u32_e32 v13, vcc, v2, v4, vcc
	s_cmpk_lt_i32 s33, 0x201
	v_add_co_u32_e32 v14, vcc, s0, v1
	s_cselect_b32 s0, s2, 0x100
	v_mov_b32_e32 v4, s1
	s_ashr_i32 s1, s0, 31
	;; [unrolled: 7-line block ×8, first 2 shown]
	s_lshl_b64 s[0:1], s[0:1], 1
	v_addc_co_u32_e32 v27, vcc, v2, v4, vcc
	s_cmpk_lt_i32 s33, 0x901
	global_load_ushort v4, v[12:13], off
	global_load_ushort v5, v[14:15], off
	;; [unrolled: 1-line block ×8, first 2 shown]
	v_add_co_u32_e32 v20, vcc, s0, v1
	s_cselect_b32 s0, s2, 0x480
	v_mov_b32_e32 v12, s1
	s_ashr_i32 s1, s0, 31
	s_lshl_b64 s[0:1], s[0:1], 1
	v_addc_co_u32_e32 v21, vcc, v2, v12, vcc
	s_cmpk_lt_i32 s33, 0xa01
	v_add_co_u32_e32 v22, vcc, s0, v1
	s_cselect_b32 s0, s2, 0x500
	v_mov_b32_e32 v12, s1
	s_ashr_i32 s1, s0, 31
	s_lshl_b64 s[0:1], s[0:1], 1
	v_addc_co_u32_e32 v23, vcc, v2, v12, vcc
	s_cmpk_lt_i32 s33, 0xb01
	;; [unrolled: 7-line block ×6, first 2 shown]
	v_add_co_u32_e32 v32, vcc, s0, v1
	s_cselect_b32 s0, s2, 0x780
	v_mov_b32_e32 v12, s1
	s_ashr_i32 s1, s0, 31
	v_addc_co_u32_e32 v33, vcc, v2, v12, vcc
	s_lshl_b64 s[0:1], s[0:1], 1
	v_mov_b32_e32 v12, s1
	v_add_co_u32_e32 v34, vcc, s0, v1
	v_addc_co_u32_e32 v35, vcc, v2, v12, vcc
	global_load_ushort v12, v[20:21], off
	global_load_ushort v13, v[22:23], off
	;; [unrolled: 1-line block ×8, first 2 shown]
	s_cmpk_gt_i32 s33, 0x1000
	s_cselect_b64 s[0:1], -1, 0
	s_cmpk_lt_i32 s33, 0x1001
	v_mov_b32_e32 v36, 0
	v_mov_b32_e32 v37, 0
	;; [unrolled: 1-line block ×48, first 2 shown]
	s_barrier
	s_cbranch_scc1 .LBB114_12
; %bb.10:
	s_cmpk_lt_u32 s33, 0x1101
	s_cselect_b32 s8, s2, 0x880
	s_ashr_i32 s9, s8, 31
	v_add_co_u32_e32 v28, vcc, 0x1000, v1
	s_lshl_b64 s[8:9], s[8:9], 1
	v_addc_co_u32_e32 v29, vcc, 0, v2, vcc
	s_cmpk_lt_u32 s33, 0x1201
	v_add_co_u32_e32 v30, vcc, s8, v1
	s_cselect_b32 s8, s2, 0x900
	v_mov_b32_e32 v20, s9
	s_ashr_i32 s9, s8, 31
	s_lshl_b64 s[8:9], s[8:9], 1
	v_addc_co_u32_e32 v31, vcc, v2, v20, vcc
	s_cmpk_lt_u32 s33, 0x1301
	v_add_co_u32_e32 v32, vcc, s8, v1
	s_cselect_b32 s8, s2, 0x980
	v_mov_b32_e32 v20, s9
	s_ashr_i32 s9, s8, 31
	;; [unrolled: 7-line block ×7, first 2 shown]
	s_lshl_b64 s[8:9], s[8:9], 1
	v_addc_co_u32_e32 v43, vcc, v2, v20, vcc
	s_cmpk_lt_u32 s33, 0x1901
	global_load_ushort v27, v[28:29], off
	global_load_ushort v26, v[30:31], off
	;; [unrolled: 1-line block ×8, first 2 shown]
	v_add_co_u32_e32 v36, vcc, s8, v1
	s_cselect_b32 s8, s2, 0xc80
	v_mov_b32_e32 v28, s9
	s_ashr_i32 s9, s8, 31
	s_lshl_b64 s[8:9], s[8:9], 1
	v_addc_co_u32_e32 v37, vcc, v2, v28, vcc
	s_cmpk_lt_u32 s33, 0x1a01
	v_add_co_u32_e32 v38, vcc, s8, v1
	s_cselect_b32 s8, s2, 0xd00
	v_mov_b32_e32 v28, s9
	s_ashr_i32 s9, s8, 31
	s_lshl_b64 s[8:9], s[8:9], 1
	v_addc_co_u32_e32 v39, vcc, v2, v28, vcc
	s_cmpk_lt_u32 s33, 0x1b01
	;; [unrolled: 7-line block ×6, first 2 shown]
	v_add_co_u32_e32 v48, vcc, s8, v1
	s_cselect_b32 s8, s2, 0xf80
	v_mov_b32_e32 v28, s9
	s_ashr_i32 s9, s8, 31
	v_addc_co_u32_e32 v49, vcc, v2, v28, vcc
	s_lshl_b64 s[8:9], s[8:9], 1
	v_mov_b32_e32 v28, s9
	v_add_co_u32_e32 v50, vcc, s8, v1
	v_addc_co_u32_e32 v51, vcc, v2, v28, vcc
	global_load_ushort v35, v[36:37], off
	global_load_ushort v34, v[38:39], off
	;; [unrolled: 1-line block ×8, first 2 shown]
	s_cmpk_lt_u32 s33, 0x2001
	v_mov_b32_e32 v67, 0
	v_mov_b32_e32 v66, 0
	;; [unrolled: 1-line block ×32, first 2 shown]
	s_cbranch_scc1 .LBB114_12
; %bb.11:
	s_cmpk_lt_u32 s33, 0x2101
	s_cselect_b32 s8, s2, 0x1080
	s_ashr_i32 s9, s8, 31
	v_add_co_u32_e32 v36, vcc, 0x2000, v1
	s_lshl_b64 s[8:9], s[8:9], 1
	v_addc_co_u32_e32 v37, vcc, 0, v2, vcc
	s_cmpk_lt_u32 s33, 0x2201
	v_add_co_u32_e32 v38, vcc, s8, v1
	s_cselect_b32 s8, s2, 0x1100
	v_mov_b32_e32 v39, s9
	s_ashr_i32 s9, s8, 31
	s_lshl_b64 s[8:9], s[8:9], 1
	v_addc_co_u32_e32 v39, vcc, v2, v39, vcc
	s_cmpk_lt_u32 s33, 0x2301
	v_add_co_u32_e32 v40, vcc, s8, v1
	s_cselect_b32 s8, s2, 0x1180
	v_mov_b32_e32 v41, s9
	s_ashr_i32 s9, s8, 31
	s_lshl_b64 s[8:9], s[8:9], 1
	v_addc_co_u32_e32 v41, vcc, v2, v41, vcc
	s_cmpk_lt_u32 s33, 0x2401
	v_add_co_u32_e32 v42, vcc, s8, v1
	s_cselect_b32 s8, s2, 0x1200
	v_mov_b32_e32 v43, s9
	s_ashr_i32 s9, s8, 31
	s_lshl_b64 s[8:9], s[8:9], 1
	v_addc_co_u32_e32 v43, vcc, v2, v43, vcc
	s_cmpk_lt_u32 s33, 0x2501
	v_add_co_u32_e32 v44, vcc, s8, v1
	s_cselect_b32 s8, s2, 0x1280
	v_mov_b32_e32 v45, s9
	s_ashr_i32 s9, s8, 31
	s_lshl_b64 s[8:9], s[8:9], 1
	v_addc_co_u32_e32 v45, vcc, v2, v45, vcc
	s_cmpk_lt_u32 s33, 0x2601
	v_add_co_u32_e32 v46, vcc, s8, v1
	s_cselect_b32 s8, s2, 0x1300
	v_mov_b32_e32 v47, s9
	s_ashr_i32 s9, s8, 31
	s_lshl_b64 s[8:9], s[8:9], 1
	v_addc_co_u32_e32 v47, vcc, v2, v47, vcc
	s_cmpk_lt_u32 s33, 0x2701
	v_add_co_u32_e32 v48, vcc, s8, v1
	s_cselect_b32 s8, s2, 0x1380
	v_mov_b32_e32 v49, s9
	s_ashr_i32 s9, s8, 31
	s_lshl_b64 s[8:9], s[8:9], 1
	v_addc_co_u32_e32 v49, vcc, v2, v49, vcc
	s_cmpk_lt_u32 s33, 0x2801
	v_add_co_u32_e32 v50, vcc, s8, v1
	s_cselect_b32 s8, s2, 0x1400
	v_mov_b32_e32 v51, s9
	s_ashr_i32 s9, s8, 31
	s_lshl_b64 s[8:9], s[8:9], 1
	v_addc_co_u32_e32 v51, vcc, v2, v51, vcc
	s_cmpk_lt_u32 s33, 0x2901
	global_load_ushort v52, v[36:37], off
	global_load_ushort v53, v[38:39], off
	global_load_ushort v54, v[40:41], off
	global_load_ushort v55, v[42:43], off
	global_load_ushort v56, v[44:45], off
	global_load_ushort v57, v[46:47], off
	global_load_ushort v58, v[48:49], off
	global_load_ushort v59, v[50:51], off
	v_add_co_u32_e32 v36, vcc, s8, v1
	s_cselect_b32 s8, s2, 0x1480
	v_mov_b32_e32 v37, s9
	s_ashr_i32 s9, s8, 31
	s_lshl_b64 s[8:9], s[8:9], 1
	v_addc_co_u32_e32 v37, vcc, v2, v37, vcc
	s_cmpk_lt_u32 s33, 0x2a01
	v_add_co_u32_e32 v38, vcc, s8, v1
	s_cselect_b32 s8, s2, 0x1500
	v_mov_b32_e32 v39, s9
	s_ashr_i32 s9, s8, 31
	s_lshl_b64 s[8:9], s[8:9], 1
	v_addc_co_u32_e32 v39, vcc, v2, v39, vcc
	s_cmpk_lt_u32 s33, 0x2b01
	v_add_co_u32_e32 v40, vcc, s8, v1
	s_cselect_b32 s8, s2, 0x1580
	v_mov_b32_e32 v41, s9
	s_ashr_i32 s9, s8, 31
	s_lshl_b64 s[8:9], s[8:9], 1
	v_addc_co_u32_e32 v41, vcc, v2, v41, vcc
	s_cmpk_lt_u32 s33, 0x2c01
	v_add_co_u32_e32 v42, vcc, s8, v1
	s_cselect_b32 s8, s2, 0x1600
	v_mov_b32_e32 v43, s9
	s_ashr_i32 s9, s8, 31
	s_lshl_b64 s[8:9], s[8:9], 1
	v_addc_co_u32_e32 v43, vcc, v2, v43, vcc
	s_cmpk_lt_u32 s33, 0x2d01
	v_add_co_u32_e32 v44, vcc, s8, v1
	s_cselect_b32 s8, s2, 0x1680
	v_mov_b32_e32 v45, s9
	s_ashr_i32 s9, s8, 31
	s_lshl_b64 s[8:9], s[8:9], 1
	v_addc_co_u32_e32 v45, vcc, v2, v45, vcc
	s_cmpk_lt_u32 s33, 0x2e01
	v_add_co_u32_e32 v46, vcc, s8, v1
	s_cselect_b32 s8, s2, 0x1700
	v_mov_b32_e32 v47, s9
	s_ashr_i32 s9, s8, 31
	s_lshl_b64 s[8:9], s[8:9], 1
	v_addc_co_u32_e32 v47, vcc, v2, v47, vcc
	s_cmpk_lt_u32 s33, 0x2f01
	v_add_co_u32_e32 v48, vcc, s8, v1
	s_cselect_b32 s8, s2, 0x1780
	v_mov_b32_e32 v49, s9
	s_ashr_i32 s9, s8, 31
	s_lshl_b64 s[8:9], s[8:9], 1
	v_addc_co_u32_e32 v49, vcc, v2, v49, vcc
	s_cmpk_lt_u32 s33, 0x3001
	v_add_co_u32_e32 v50, vcc, s8, v1
	s_cselect_b32 s8, s2, 0x1800
	v_mov_b32_e32 v51, s9
	s_ashr_i32 s9, s8, 31
	s_lshl_b64 s[8:9], s[8:9], 1
	v_addc_co_u32_e32 v51, vcc, v2, v51, vcc
	s_cmpk_lt_u32 s33, 0x3101
	global_load_ushort v68, v[36:37], off
	global_load_ushort v69, v[38:39], off
	global_load_ushort v70, v[40:41], off
	global_load_ushort v71, v[42:43], off
	global_load_ushort v72, v[44:45], off
	global_load_ushort v73, v[46:47], off
	global_load_ushort v74, v[48:49], off
	global_load_ushort v75, v[50:51], off
	v_add_co_u32_e32 v36, vcc, s8, v1
	s_cselect_b32 s8, s2, 0x1880
	v_mov_b32_e32 v37, s9
	s_ashr_i32 s9, s8, 31
	;; [unrolled: 64-line block ×3, first 2 shown]
	s_lshl_b64 s[8:9], s[8:9], 1
	v_addc_co_u32_e32 v37, vcc, v2, v37, vcc
	s_cmpk_lt_u32 s33, 0x3a01
	v_add_co_u32_e32 v38, vcc, s8, v1
	s_cselect_b32 s8, s2, 0x1d00
	v_mov_b32_e32 v39, s9
	s_ashr_i32 s9, s8, 31
	s_lshl_b64 s[8:9], s[8:9], 1
	v_addc_co_u32_e32 v39, vcc, v2, v39, vcc
	s_cmpk_lt_u32 s33, 0x3b01
	v_add_co_u32_e32 v40, vcc, s8, v1
	s_cselect_b32 s8, s2, 0x1d80
	v_mov_b32_e32 v41, s9
	s_ashr_i32 s9, s8, 31
	s_lshl_b64 s[8:9], s[8:9], 1
	v_addc_co_u32_e32 v41, vcc, v2, v41, vcc
	s_cmpk_lt_u32 s33, 0x3c01
	v_add_co_u32_e32 v42, vcc, s8, v1
	s_cselect_b32 s8, s2, 0x1e00
	v_mov_b32_e32 v43, s9
	s_ashr_i32 s9, s8, 31
	s_lshl_b64 s[8:9], s[8:9], 1
	v_addc_co_u32_e32 v43, vcc, v2, v43, vcc
	s_cmpk_lt_u32 s33, 0x3d01
	v_add_co_u32_e32 v44, vcc, s8, v1
	s_cselect_b32 s8, s2, 0x1e80
	v_mov_b32_e32 v45, s9
	s_ashr_i32 s9, s8, 31
	s_lshl_b64 s[8:9], s[8:9], 1
	v_addc_co_u32_e32 v45, vcc, v2, v45, vcc
	s_cmpk_lt_u32 s33, 0x3e01
	v_add_co_u32_e32 v46, vcc, s8, v1
	s_cselect_b32 s8, s2, 0x1f00
	v_mov_b32_e32 v47, s9
	s_ashr_i32 s9, s8, 31
	s_lshl_b64 s[8:9], s[8:9], 1
	v_addc_co_u32_e32 v47, vcc, v2, v47, vcc
	s_cmpk_lt_u32 s33, 0x3f01
	v_add_co_u32_e32 v48, vcc, s8, v1
	s_cselect_b32 s8, s2, 0x1f80
	v_mov_b32_e32 v49, s9
	s_ashr_i32 s9, s8, 31
	v_addc_co_u32_e32 v49, vcc, v2, v49, vcc
	s_lshl_b64 s[8:9], s[8:9], 1
	v_mov_b32_e32 v51, s9
	v_add_co_u32_e32 v50, vcc, s8, v1
	v_addc_co_u32_e32 v51, vcc, v2, v51, vcc
	global_load_ushort v84, v[36:37], off
	global_load_ushort v85, v[38:39], off
	;; [unrolled: 1-line block ×8, first 2 shown]
	s_waitcnt vmcnt(31)
	v_cvt_f32_f16_e32 v67, v52
	s_waitcnt vmcnt(30)
	v_cvt_f32_f16_e32 v66, v53
	;; [unrolled: 2-line block ×32, first 2 shown]
.LBB114_12:
	ds_read_b128 v[68:71], v3
	ds_read_b128 v[72:75], v3 offset:16
	ds_read_b128 v[76:79], v3 offset:32
	;; [unrolled: 1-line block ×3, first 2 shown]
	s_andn2_b64 vcc, exec, s[0:1]
	s_waitcnt vmcnt(15) lgkmcnt(3)
	v_fma_mix_f32 v4, v68, v4, 0 op_sel_hi:[0,1,0]
	s_waitcnt vmcnt(14)
	v_fma_mix_f32 v4, v69, v5, v4 op_sel_hi:[0,1,0]
	s_waitcnt vmcnt(13)
	v_fma_mix_f32 v4, v70, v6, v4 op_sel_hi:[0,1,0]
	s_waitcnt vmcnt(12)
	v_fma_mix_f32 v4, v71, v7, v4 op_sel_hi:[0,1,0]
	s_waitcnt vmcnt(11) lgkmcnt(2)
	v_fma_mix_f32 v4, v72, v8, v4 op_sel_hi:[0,1,0]
	s_waitcnt vmcnt(10)
	v_fma_mix_f32 v4, v73, v9, v4 op_sel_hi:[0,1,0]
	s_waitcnt vmcnt(9)
	v_fma_mix_f32 v4, v74, v10, v4 op_sel_hi:[0,1,0]
	s_waitcnt vmcnt(8)
	v_fma_mix_f32 v4, v75, v11, v4 op_sel_hi:[0,1,0]
	;; [unrolled: 8-line block ×4, first 2 shown]
	s_cbranch_vccnz .LBB114_15
; %bb.13:
	ds_read_b128 v[6:9], v3 offset:64
	ds_read_b128 v[10:13], v3 offset:80
	;; [unrolled: 1-line block ×4, first 2 shown]
	s_cmpk_lt_u32 s33, 0x2001
	s_waitcnt lgkmcnt(3)
	v_fma_mix_f32 v3, v6, v27, v4 op_sel_hi:[0,1,0]
	v_fma_mix_f32 v3, v7, v26, v3 op_sel_hi:[0,1,0]
	v_fma_mix_f32 v3, v8, v25, v3 op_sel_hi:[0,1,0]
	v_fma_mix_f32 v3, v9, v24, v3 op_sel_hi:[0,1,0]
	s_waitcnt lgkmcnt(2)
	v_fma_mix_f32 v3, v10, v23, v3 op_sel_hi:[0,1,0]
	v_fma_mix_f32 v3, v11, v22, v3 op_sel_hi:[0,1,0]
	v_fma_mix_f32 v3, v12, v20, v3 op_sel_hi:[0,1,0]
	v_fma_mix_f32 v3, v13, v21, v3 op_sel_hi:[0,1,0]
	s_waitcnt lgkmcnt(1)
	v_fma_mix_f32 v3, v14, v35, v3 op_sel_hi:[0,1,0]
	v_fma_mix_f32 v3, v15, v34, v3 op_sel_hi:[0,1,0]
	v_fma_mix_f32 v3, v16, v33, v3 op_sel_hi:[0,1,0]
	v_fma_mix_f32 v3, v17, v32, v3 op_sel_hi:[0,1,0]
	s_waitcnt lgkmcnt(0)
	v_fma_mix_f32 v3, v68, v31, v3 op_sel_hi:[0,1,0]
	v_fma_mix_f32 v3, v69, v30, v3 op_sel_hi:[0,1,0]
	v_fma_mix_f32 v3, v70, v29, v3 op_sel_hi:[0,1,0]
	v_fma_mix_f32 v4, v71, v28, v3 op_sel_hi:[0,1,0]
	s_cbranch_scc1 .LBB114_15
; %bb.14:
	v_mov_b32_e32 v3, 0
	ds_read_b128 v[6:9], v3 offset:128
	ds_read_b128 v[10:13], v3 offset:144
	;; [unrolled: 1-line block ×4, first 2 shown]
	s_waitcnt lgkmcnt(3)
	v_fmac_f32_e32 v4, v6, v67
	v_fmac_f32_e32 v4, v7, v66
	v_fmac_f32_e32 v4, v8, v65
	v_fmac_f32_e32 v4, v9, v64
	s_waitcnt lgkmcnt(2)
	v_fmac_f32_e32 v4, v10, v63
	v_fmac_f32_e32 v4, v11, v62
	v_fmac_f32_e32 v4, v12, v61
	v_fmac_f32_e32 v4, v13, v60
	;; [unrolled: 5-line block ×3, first 2 shown]
	ds_read_b128 v[6:9], v3 offset:192
	ds_read_b128 v[10:13], v3 offset:208
	s_waitcnt lgkmcnt(2)
	v_fmac_f32_e32 v4, v18, v55
	v_fmac_f32_e32 v4, v19, v54
	;; [unrolled: 1-line block ×4, first 2 shown]
	s_waitcnt lgkmcnt(1)
	v_fmac_f32_e32 v4, v6, v51
	v_fmac_f32_e32 v4, v7, v50
	v_fmac_f32_e32 v4, v8, v49
	v_fmac_f32_e32 v4, v9, v48
	ds_read_b128 v[6:9], v3 offset:224
	s_waitcnt lgkmcnt(1)
	v_fmac_f32_e32 v4, v10, v47
	v_fmac_f32_e32 v4, v11, v46
	;; [unrolled: 1-line block ×4, first 2 shown]
	ds_read_b128 v[10:13], v3 offset:240
	s_waitcnt lgkmcnt(1)
	v_fmac_f32_e32 v4, v6, v43
	v_fmac_f32_e32 v4, v7, v42
	;; [unrolled: 1-line block ×4, first 2 shown]
	s_waitcnt lgkmcnt(0)
	v_fmac_f32_e32 v4, v10, v39
	v_fmac_f32_e32 v4, v11, v38
	;; [unrolled: 1-line block ×4, first 2 shown]
.LBB114_15:
	s_cmpk_lt_i32 s33, 0x4001
	s_cbranch_scc1 .LBB114_17
; %bb.16:
	s_cmpk_lt_i32 s33, 0x4101
	s_cselect_b32 s0, s2, 0x2080
	s_ashr_i32 s1, s0, 31
	v_add_co_u32_e32 v12, vcc, 0x4000, v1
	s_lshl_b64 s[0:1], s[0:1], 1
	v_addc_co_u32_e32 v13, vcc, 0, v2, vcc
	s_cmpk_lt_i32 s33, 0x4201
	v_add_co_u32_e32 v14, vcc, s0, v1
	s_cselect_b32 s0, s2, 0x2100
	v_mov_b32_e32 v3, s1
	s_ashr_i32 s1, s0, 31
	s_lshl_b64 s[0:1], s[0:1], 1
	v_addc_co_u32_e32 v15, vcc, v2, v3, vcc
	s_cmpk_lt_i32 s33, 0x4301
	v_add_co_u32_e32 v16, vcc, s0, v1
	s_cselect_b32 s0, s2, 0x2180
	v_mov_b32_e32 v3, s1
	s_ashr_i32 s1, s0, 31
	s_lshl_b64 s[0:1], s[0:1], 1
	v_addc_co_u32_e32 v17, vcc, v2, v3, vcc
	s_cmpk_lt_i32 s33, 0x4401
	v_add_co_u32_e32 v18, vcc, s0, v1
	s_cselect_b32 s0, s2, 0x2200
	v_mov_b32_e32 v3, s1
	s_ashr_i32 s1, s0, 31
	s_lshl_b64 s[0:1], s[0:1], 1
	v_addc_co_u32_e32 v19, vcc, v2, v3, vcc
	s_cmpk_lt_i32 s33, 0x4501
	v_add_co_u32_e32 v20, vcc, s0, v1
	s_cselect_b32 s0, s2, 0x2280
	v_mov_b32_e32 v3, s1
	s_ashr_i32 s1, s0, 31
	s_lshl_b64 s[0:1], s[0:1], 1
	v_addc_co_u32_e32 v21, vcc, v2, v3, vcc
	s_cmpk_lt_i32 s33, 0x4601
	v_add_co_u32_e32 v22, vcc, s0, v1
	s_cselect_b32 s0, s2, 0x2300
	v_mov_b32_e32 v3, s1
	s_ashr_i32 s1, s0, 31
	s_lshl_b64 s[0:1], s[0:1], 1
	v_addc_co_u32_e32 v23, vcc, v2, v3, vcc
	s_cmpk_lt_i32 s33, 0x4701
	v_add_co_u32_e32 v24, vcc, s0, v1
	s_cselect_b32 s0, s2, 0x2380
	v_mov_b32_e32 v3, s1
	s_ashr_i32 s1, s0, 31
	s_lshl_b64 s[0:1], s[0:1], 1
	v_addc_co_u32_e32 v25, vcc, v2, v3, vcc
	s_cmpk_lt_i32 s33, 0x4801
	v_add_co_u32_e32 v26, vcc, s0, v1
	s_cselect_b32 s0, s2, 0x2400
	v_mov_b32_e32 v3, s1
	s_ashr_i32 s1, s0, 31
	s_lshl_b64 s[0:1], s[0:1], 1
	v_addc_co_u32_e32 v27, vcc, v2, v3, vcc
	s_cmpk_lt_i32 s33, 0x4901
	global_load_ushort v3, v[12:13], off
	global_load_ushort v5, v[14:15], off
	global_load_ushort v6, v[16:17], off
	global_load_ushort v7, v[18:19], off
	global_load_ushort v8, v[20:21], off
	global_load_ushort v9, v[22:23], off
	global_load_ushort v10, v[24:25], off
	global_load_ushort v11, v[26:27], off
	v_add_co_u32_e32 v20, vcc, s0, v1
	s_cselect_b32 s0, s2, 0x2480
	v_mov_b32_e32 v12, s1
	s_ashr_i32 s1, s0, 31
	s_lshl_b64 s[0:1], s[0:1], 1
	v_addc_co_u32_e32 v21, vcc, v2, v12, vcc
	s_cmpk_lt_i32 s33, 0x4a01
	v_add_co_u32_e32 v22, vcc, s0, v1
	s_cselect_b32 s0, s2, 0x2500
	v_mov_b32_e32 v12, s1
	s_ashr_i32 s1, s0, 31
	s_lshl_b64 s[0:1], s[0:1], 1
	v_addc_co_u32_e32 v23, vcc, v2, v12, vcc
	s_cmpk_lt_i32 s33, 0x4b01
	v_add_co_u32_e32 v24, vcc, s0, v1
	s_cselect_b32 s0, s2, 0x2580
	v_mov_b32_e32 v12, s1
	s_ashr_i32 s1, s0, 31
	s_lshl_b64 s[0:1], s[0:1], 1
	v_addc_co_u32_e32 v25, vcc, v2, v12, vcc
	s_cmpk_lt_i32 s33, 0x4c01
	v_add_co_u32_e32 v26, vcc, s0, v1
	s_cselect_b32 s0, s2, 0x2600
	v_mov_b32_e32 v12, s1
	s_ashr_i32 s1, s0, 31
	s_lshl_b64 s[0:1], s[0:1], 1
	v_addc_co_u32_e32 v27, vcc, v2, v12, vcc
	s_cmpk_lt_i32 s33, 0x4d01
	v_add_co_u32_e32 v28, vcc, s0, v1
	s_cselect_b32 s0, s2, 0x2680
	v_mov_b32_e32 v12, s1
	s_ashr_i32 s1, s0, 31
	s_lshl_b64 s[0:1], s[0:1], 1
	v_addc_co_u32_e32 v29, vcc, v2, v12, vcc
	s_cmpk_lt_i32 s33, 0x4e01
	v_add_co_u32_e32 v30, vcc, s0, v1
	s_cselect_b32 s0, s2, 0x2700
	v_mov_b32_e32 v12, s1
	s_ashr_i32 s1, s0, 31
	s_lshl_b64 s[0:1], s[0:1], 1
	v_addc_co_u32_e32 v31, vcc, v2, v12, vcc
	s_cmpk_lt_i32 s33, 0x4f01
	v_add_co_u32_e32 v32, vcc, s0, v1
	s_cselect_b32 s0, s2, 0x2780
	v_mov_b32_e32 v12, s1
	s_ashr_i32 s1, s0, 31
	s_lshl_b64 s[0:1], s[0:1], 1
	v_addc_co_u32_e32 v33, vcc, v2, v12, vcc
	s_cmpk_lt_i32 s33, 0x5001
	v_add_co_u32_e32 v34, vcc, s0, v1
	s_cselect_b32 s0, s2, 0x2800
	v_mov_b32_e32 v12, s1
	s_ashr_i32 s1, s0, 31
	s_lshl_b64 s[0:1], s[0:1], 1
	v_addc_co_u32_e32 v35, vcc, v2, v12, vcc
	s_cmpk_lt_i32 s33, 0x5101
	global_load_ushort v15, v[20:21], off
	global_load_ushort v16, v[22:23], off
	global_load_ushort v17, v[24:25], off
	global_load_ushort v18, v[26:27], off
	global_load_ushort v19, v[28:29], off
	global_load_ushort v12, v[30:31], off
	global_load_ushort v13, v[32:33], off
	global_load_ushort v14, v[34:35], off
	v_add_co_u32_e32 v28, vcc, s0, v1
	s_cselect_b32 s0, s2, 0x2880
	v_mov_b32_e32 v20, s1
	s_ashr_i32 s1, s0, 31
	;; [unrolled: 64-line block ×7, first 2 shown]
	s_lshl_b64 s[0:1], s[0:1], 1
	v_addc_co_u32_e32 v37, vcc, v2, v37, vcc
	s_cmpk_lt_i32 s33, 0x7a01
	v_add_co_u32_e32 v38, vcc, s0, v1
	s_cselect_b32 s0, s2, 0x3d00
	v_mov_b32_e32 v39, s1
	s_ashr_i32 s1, s0, 31
	s_lshl_b64 s[0:1], s[0:1], 1
	v_addc_co_u32_e32 v39, vcc, v2, v39, vcc
	s_cmpk_lt_i32 s33, 0x7b01
	v_add_co_u32_e32 v40, vcc, s0, v1
	s_cselect_b32 s0, s2, 0x3d80
	v_mov_b32_e32 v41, s1
	s_ashr_i32 s1, s0, 31
	s_lshl_b64 s[0:1], s[0:1], 1
	v_addc_co_u32_e32 v41, vcc, v2, v41, vcc
	s_cmpk_lt_i32 s33, 0x7c01
	v_add_co_u32_e32 v42, vcc, s0, v1
	s_cselect_b32 s0, s2, 0x3e00
	v_mov_b32_e32 v43, s1
	s_ashr_i32 s1, s0, 31
	s_lshl_b64 s[0:1], s[0:1], 1
	v_addc_co_u32_e32 v43, vcc, v2, v43, vcc
	s_cmpk_lt_i32 s33, 0x7d01
	v_add_co_u32_e32 v44, vcc, s0, v1
	s_cselect_b32 s0, s2, 0x3e80
	v_mov_b32_e32 v45, s1
	s_ashr_i32 s1, s0, 31
	s_lshl_b64 s[0:1], s[0:1], 1
	v_addc_co_u32_e32 v45, vcc, v2, v45, vcc
	s_cmpk_lt_i32 s33, 0x7e01
	v_add_co_u32_e32 v46, vcc, s0, v1
	s_cselect_b32 s0, s2, 0x3f00
	v_mov_b32_e32 v47, s1
	s_ashr_i32 s1, s0, 31
	s_lshl_b64 s[0:1], s[0:1], 1
	v_addc_co_u32_e32 v47, vcc, v2, v47, vcc
	s_cmpk_lt_i32 s33, 0x7f01
	v_add_co_u32_e32 v48, vcc, s0, v1
	s_cselect_b32 s0, s2, 0x3f80
	v_mov_b32_e32 v49, s1
	s_ashr_i32 s1, s0, 31
	v_addc_co_u32_e32 v49, vcc, v2, v49, vcc
	s_lshl_b64 s[0:1], s[0:1], 1
	v_mov_b32_e32 v51, s1
	v_add_co_u32_e32 v50, vcc, s0, v1
	v_addc_co_u32_e32 v51, vcc, v2, v51, vcc
	global_load_ushort v76, v[36:37], off
	global_load_ushort v77, v[38:39], off
	;; [unrolled: 1-line block ×8, first 2 shown]
	v_mov_b32_e32 v84, 0
	ds_read_b128 v[36:39], v84 offset:256
	ds_read_b128 v[40:43], v84 offset:272
	;; [unrolled: 1-line block ×4, first 2 shown]
	s_waitcnt vmcnt(62) lgkmcnt(3)
	v_fma_mix_f32 v3, v36, v3, v4 op_sel_hi:[0,1,0]
	v_fma_mix_f32 v3, v37, v5, v3 op_sel_hi:[0,1,0]
	s_waitcnt vmcnt(61)
	v_fma_mix_f32 v3, v38, v6, v3 op_sel_hi:[0,1,0]
	s_waitcnt vmcnt(60)
	v_fma_mix_f32 v3, v39, v7, v3 op_sel_hi:[0,1,0]
	s_waitcnt vmcnt(59) lgkmcnt(2)
	v_fma_mix_f32 v3, v40, v8, v3 op_sel_hi:[0,1,0]
	s_waitcnt vmcnt(58)
	v_fma_mix_f32 v3, v41, v9, v3 op_sel_hi:[0,1,0]
	s_waitcnt vmcnt(57)
	;; [unrolled: 2-line block ×3, first 2 shown]
	v_fma_mix_f32 v3, v43, v11, v3 op_sel_hi:[0,1,0]
	s_waitcnt vmcnt(55) lgkmcnt(1)
	v_fma_mix_f32 v3, v44, v15, v3 op_sel_hi:[0,1,0]
	s_waitcnt vmcnt(54)
	v_fma_mix_f32 v3, v45, v16, v3 op_sel_hi:[0,1,0]
	s_waitcnt vmcnt(53)
	;; [unrolled: 2-line block ×3, first 2 shown]
	v_fma_mix_f32 v3, v47, v18, v3 op_sel_hi:[0,1,0]
	ds_read_b128 v[4:7], v84 offset:320
	ds_read_b128 v[8:11], v84 offset:336
	s_waitcnt vmcnt(51) lgkmcnt(2)
	v_fma_mix_f32 v3, v48, v19, v3 op_sel_hi:[0,1,0]
	s_waitcnt vmcnt(50)
	v_fma_mix_f32 v3, v49, v12, v3 op_sel_hi:[0,1,0]
	s_waitcnt vmcnt(49)
	;; [unrolled: 2-line block ×3, first 2 shown]
	v_fma_mix_f32 v3, v51, v14, v3 op_sel_hi:[0,1,0]
	s_waitcnt vmcnt(47) lgkmcnt(1)
	v_fma_mix_f32 v3, v4, v23, v3 op_sel_hi:[0,1,0]
	s_waitcnt vmcnt(46)
	v_fma_mix_f32 v3, v5, v24, v3 op_sel_hi:[0,1,0]
	s_waitcnt vmcnt(45)
	v_fma_mix_f32 v3, v6, v25, v3 op_sel_hi:[0,1,0]
	s_waitcnt vmcnt(44)
	v_fma_mix_f32 v3, v7, v26, v3 op_sel_hi:[0,1,0]
	ds_read_b128 v[4:7], v84 offset:352
	s_waitcnt vmcnt(43) lgkmcnt(1)
	v_fma_mix_f32 v3, v8, v27, v3 op_sel_hi:[0,1,0]
	s_waitcnt vmcnt(42)
	v_fma_mix_f32 v3, v9, v20, v3 op_sel_hi:[0,1,0]
	s_waitcnt vmcnt(41)
	v_fma_mix_f32 v3, v10, v21, v3 op_sel_hi:[0,1,0]
	s_waitcnt vmcnt(40)
	v_fma_mix_f32 v3, v11, v22, v3 op_sel_hi:[0,1,0]
	ds_read_b128 v[8:11], v84 offset:368
	;; [unrolled: 9-line block ×10, first 2 shown]
	s_waitcnt vmcnt(7) lgkmcnt(1)
	v_fma_mix_f32 v3, v4, v76, v3 op_sel_hi:[0,1,0]
	s_waitcnt vmcnt(6)
	v_fma_mix_f32 v3, v5, v77, v3 op_sel_hi:[0,1,0]
	s_waitcnt vmcnt(5)
	;; [unrolled: 2-line block ×3, first 2 shown]
	v_fma_mix_f32 v3, v7, v79, v3 op_sel_hi:[0,1,0]
	s_waitcnt vmcnt(3) lgkmcnt(0)
	v_fma_mix_f32 v3, v8, v80, v3 op_sel_hi:[0,1,0]
	s_waitcnt vmcnt(2)
	v_fma_mix_f32 v3, v9, v81, v3 op_sel_hi:[0,1,0]
	s_waitcnt vmcnt(1)
	;; [unrolled: 2-line block ×3, first 2 shown]
	v_fma_mix_f32 v4, v11, v83, v3 op_sel_hi:[0,1,0]
.LBB114_17:
	s_load_dwordx2 s[0:1], s[4:5], 0x38
	s_cmp_lt_i32 s33, 0x8001
	s_cbranch_scc1 .LBB114_19
; %bb.18:
	s_cmp_lt_i32 s33, 0x8101
	s_cselect_b32 s8, s2, 0x4080
	s_ashr_i32 s9, s8, 31
	v_add_co_u32_e32 v12, vcc, 0x8000, v1
	s_lshl_b64 s[8:9], s[8:9], 1
	v_addc_co_u32_e32 v13, vcc, 0, v2, vcc
	s_cmp_lt_i32 s33, 0x8201
	v_add_co_u32_e32 v14, vcc, s8, v1
	s_cselect_b32 s8, s2, 0x4100
	v_mov_b32_e32 v3, s9
	s_ashr_i32 s9, s8, 31
	s_lshl_b64 s[8:9], s[8:9], 1
	v_addc_co_u32_e32 v15, vcc, v2, v3, vcc
	s_cmp_lt_i32 s33, 0x8301
	v_add_co_u32_e32 v16, vcc, s8, v1
	s_cselect_b32 s8, s2, 0x4180
	v_mov_b32_e32 v3, s9
	s_ashr_i32 s9, s8, 31
	s_lshl_b64 s[8:9], s[8:9], 1
	v_addc_co_u32_e32 v17, vcc, v2, v3, vcc
	s_cmp_lt_i32 s33, 0x8401
	v_add_co_u32_e32 v18, vcc, s8, v1
	s_cselect_b32 s8, s2, 0x4200
	v_mov_b32_e32 v3, s9
	s_ashr_i32 s9, s8, 31
	s_lshl_b64 s[8:9], s[8:9], 1
	v_addc_co_u32_e32 v19, vcc, v2, v3, vcc
	s_cmp_lt_i32 s33, 0x8501
	v_add_co_u32_e32 v20, vcc, s8, v1
	s_cselect_b32 s8, s2, 0x4280
	v_mov_b32_e32 v3, s9
	s_ashr_i32 s9, s8, 31
	s_lshl_b64 s[8:9], s[8:9], 1
	v_addc_co_u32_e32 v21, vcc, v2, v3, vcc
	s_cmp_lt_i32 s33, 0x8601
	v_add_co_u32_e32 v22, vcc, s8, v1
	s_cselect_b32 s8, s2, 0x4300
	v_mov_b32_e32 v3, s9
	s_ashr_i32 s9, s8, 31
	s_lshl_b64 s[8:9], s[8:9], 1
	v_addc_co_u32_e32 v23, vcc, v2, v3, vcc
	s_cmp_lt_i32 s33, 0x8701
	v_add_co_u32_e32 v24, vcc, s8, v1
	s_cselect_b32 s8, s2, 0x4380
	v_mov_b32_e32 v3, s9
	s_ashr_i32 s9, s8, 31
	s_lshl_b64 s[8:9], s[8:9], 1
	v_addc_co_u32_e32 v25, vcc, v2, v3, vcc
	s_cmp_lt_i32 s33, 0x8801
	v_add_co_u32_e32 v26, vcc, s8, v1
	s_cselect_b32 s8, s2, 0x4400
	v_mov_b32_e32 v3, s9
	s_ashr_i32 s9, s8, 31
	s_lshl_b64 s[8:9], s[8:9], 1
	v_addc_co_u32_e32 v27, vcc, v2, v3, vcc
	s_cmp_lt_i32 s33, 0x8901
	global_load_ushort v3, v[12:13], off
	global_load_ushort v5, v[14:15], off
	global_load_ushort v6, v[16:17], off
	global_load_ushort v7, v[18:19], off
	global_load_ushort v8, v[20:21], off
	global_load_ushort v9, v[22:23], off
	global_load_ushort v10, v[24:25], off
	global_load_ushort v11, v[26:27], off
	v_add_co_u32_e32 v20, vcc, s8, v1
	s_cselect_b32 s8, s2, 0x4480
	v_mov_b32_e32 v12, s9
	s_ashr_i32 s9, s8, 31
	s_lshl_b64 s[8:9], s[8:9], 1
	v_addc_co_u32_e32 v21, vcc, v2, v12, vcc
	s_cmp_lt_i32 s33, 0x8a01
	v_add_co_u32_e32 v22, vcc, s8, v1
	s_cselect_b32 s8, s2, 0x4500
	v_mov_b32_e32 v12, s9
	s_ashr_i32 s9, s8, 31
	s_lshl_b64 s[8:9], s[8:9], 1
	v_addc_co_u32_e32 v23, vcc, v2, v12, vcc
	s_cmp_lt_i32 s33, 0x8b01
	v_add_co_u32_e32 v24, vcc, s8, v1
	s_cselect_b32 s8, s2, 0x4580
	v_mov_b32_e32 v12, s9
	s_ashr_i32 s9, s8, 31
	s_lshl_b64 s[8:9], s[8:9], 1
	v_addc_co_u32_e32 v25, vcc, v2, v12, vcc
	s_cmp_lt_i32 s33, 0x8c01
	v_add_co_u32_e32 v26, vcc, s8, v1
	s_cselect_b32 s8, s2, 0x4600
	v_mov_b32_e32 v12, s9
	s_ashr_i32 s9, s8, 31
	s_lshl_b64 s[8:9], s[8:9], 1
	v_addc_co_u32_e32 v27, vcc, v2, v12, vcc
	s_cmp_lt_i32 s33, 0x8d01
	v_add_co_u32_e32 v28, vcc, s8, v1
	s_cselect_b32 s8, s2, 0x4680
	v_mov_b32_e32 v12, s9
	s_ashr_i32 s9, s8, 31
	s_lshl_b64 s[8:9], s[8:9], 1
	v_addc_co_u32_e32 v29, vcc, v2, v12, vcc
	s_cmp_lt_i32 s33, 0x8e01
	v_add_co_u32_e32 v30, vcc, s8, v1
	s_cselect_b32 s8, s2, 0x4700
	v_mov_b32_e32 v12, s9
	s_ashr_i32 s9, s8, 31
	s_lshl_b64 s[8:9], s[8:9], 1
	v_addc_co_u32_e32 v31, vcc, v2, v12, vcc
	s_cmp_lt_i32 s33, 0x8f01
	v_add_co_u32_e32 v32, vcc, s8, v1
	s_cselect_b32 s8, s2, 0x4780
	v_mov_b32_e32 v12, s9
	s_ashr_i32 s9, s8, 31
	s_lshl_b64 s[8:9], s[8:9], 1
	v_addc_co_u32_e32 v33, vcc, v2, v12, vcc
	s_cmp_lt_i32 s33, 0x9001
	v_add_co_u32_e32 v34, vcc, s8, v1
	s_cselect_b32 s8, s2, 0x4800
	v_mov_b32_e32 v12, s9
	s_ashr_i32 s9, s8, 31
	s_lshl_b64 s[8:9], s[8:9], 1
	v_addc_co_u32_e32 v35, vcc, v2, v12, vcc
	s_cmp_lt_i32 s33, 0x9101
	global_load_ushort v15, v[20:21], off
	global_load_ushort v16, v[22:23], off
	global_load_ushort v17, v[24:25], off
	global_load_ushort v18, v[26:27], off
	global_load_ushort v19, v[28:29], off
	global_load_ushort v12, v[30:31], off
	global_load_ushort v13, v[32:33], off
	global_load_ushort v14, v[34:35], off
	v_add_co_u32_e32 v28, vcc, s8, v1
	s_cselect_b32 s8, s2, 0x4880
	v_mov_b32_e32 v20, s9
	s_ashr_i32 s9, s8, 31
	;; [unrolled: 64-line block ×7, first 2 shown]
	s_lshl_b64 s[8:9], s[8:9], 1
	v_addc_co_u32_e32 v37, vcc, v2, v37, vcc
	s_cmp_lt_i32 s33, 0xba01
	v_add_co_u32_e32 v38, vcc, s8, v1
	s_cselect_b32 s8, s2, 0x5d00
	v_mov_b32_e32 v39, s9
	s_ashr_i32 s9, s8, 31
	s_lshl_b64 s[8:9], s[8:9], 1
	v_addc_co_u32_e32 v39, vcc, v2, v39, vcc
	s_cmp_lt_i32 s33, 0xbb01
	v_add_co_u32_e32 v40, vcc, s8, v1
	s_cselect_b32 s8, s2, 0x5d80
	v_mov_b32_e32 v41, s9
	s_ashr_i32 s9, s8, 31
	;; [unrolled: 7-line block ×5, first 2 shown]
	s_lshl_b64 s[8:9], s[8:9], 1
	s_cmp_lt_i32 s33, 0xbf01
	v_addc_co_u32_e32 v47, vcc, v2, v47, vcc
	s_cselect_b32 s2, s2, 0x5f80
	v_mov_b32_e32 v49, s9
	v_add_co_u32_e32 v48, vcc, s8, v1
	s_ashr_i32 s3, s2, 31
	v_addc_co_u32_e32 v49, vcc, v2, v49, vcc
	s_lshl_b64 s[2:3], s[2:3], 1
	v_mov_b32_e32 v51, s3
	v_add_co_u32_e32 v50, vcc, s2, v1
	v_addc_co_u32_e32 v51, vcc, v2, v51, vcc
	global_load_ushort v1, v[36:37], off
	global_load_ushort v76, v[38:39], off
	;; [unrolled: 1-line block ×8, first 2 shown]
	v_mov_b32_e32 v83, 0
	ds_read_b128 v[36:39], v83 offset:512
	ds_read_b128 v[40:43], v83 offset:528
	;; [unrolled: 1-line block ×4, first 2 shown]
	s_waitcnt vmcnt(62) lgkmcnt(0)
	v_fma_mix_f32 v2, v36, v3, v4 op_sel_hi:[0,1,0]
	v_fma_mix_f32 v2, v37, v5, v2 op_sel_hi:[0,1,0]
	s_waitcnt vmcnt(61)
	v_fma_mix_f32 v2, v38, v6, v2 op_sel_hi:[0,1,0]
	s_waitcnt vmcnt(60)
	;; [unrolled: 2-line block ×11, first 2 shown]
	v_fma_mix_f32 v6, v48, v19, v2 op_sel_hi:[0,1,0]
	ds_read_b128 v[2:5], v83 offset:576
	s_waitcnt vmcnt(50)
	v_fma_mix_f32 v6, v49, v12, v6 op_sel_hi:[0,1,0]
	s_waitcnt vmcnt(49)
	v_fma_mix_f32 v6, v50, v13, v6 op_sel_hi:[0,1,0]
	s_waitcnt vmcnt(48)
	v_fma_mix_f32 v10, v51, v14, v6 op_sel_hi:[0,1,0]
	ds_read_b128 v[6:9], v83 offset:592
	s_waitcnt vmcnt(47) lgkmcnt(1)
	v_fma_mix_f32 v2, v2, v23, v10 op_sel_hi:[0,1,0]
	s_waitcnt vmcnt(46)
	v_fma_mix_f32 v2, v3, v24, v2 op_sel_hi:[0,1,0]
	s_waitcnt vmcnt(45)
	v_fma_mix_f32 v2, v4, v25, v2 op_sel_hi:[0,1,0]
	s_waitcnt vmcnt(44)
	v_fma_mix_f32 v2, v5, v26, v2 op_sel_hi:[0,1,0]
	s_waitcnt vmcnt(43) lgkmcnt(0)
	v_fma_mix_f32 v6, v6, v27, v2 op_sel_hi:[0,1,0]
	ds_read_b128 v[2:5], v83 offset:608
	s_waitcnt vmcnt(42)
	v_fma_mix_f32 v6, v7, v20, v6 op_sel_hi:[0,1,0]
	s_waitcnt vmcnt(41)
	v_fma_mix_f32 v6, v8, v21, v6 op_sel_hi:[0,1,0]
	s_waitcnt vmcnt(40)
	v_fma_mix_f32 v10, v9, v22, v6 op_sel_hi:[0,1,0]
	ds_read_b128 v[6:9], v83 offset:624
	s_waitcnt vmcnt(39) lgkmcnt(1)
	v_fma_mix_f32 v2, v2, v31, v10 op_sel_hi:[0,1,0]
	s_waitcnt vmcnt(38)
	v_fma_mix_f32 v2, v3, v32, v2 op_sel_hi:[0,1,0]
	s_waitcnt vmcnt(37)
	v_fma_mix_f32 v2, v4, v33, v2 op_sel_hi:[0,1,0]
	s_waitcnt vmcnt(36)
	v_fma_mix_f32 v2, v5, v34, v2 op_sel_hi:[0,1,0]
	s_waitcnt vmcnt(35) lgkmcnt(0)
	;; [unrolled: 18-line block ×6, first 2 shown]
	v_fma_mix_f32 v1, v6, v79, v1 op_sel_hi:[0,1,0]
	s_waitcnt vmcnt(2)
	v_fma_mix_f32 v1, v7, v80, v1 op_sel_hi:[0,1,0]
	s_waitcnt vmcnt(1)
	;; [unrolled: 2-line block ×3, first 2 shown]
	v_fma_mix_f32 v4, v9, v82, v1 op_sel_hi:[0,1,0]
.LBB114_19:
	v_mov_b32_e32 v1, 0
	s_load_dwordx2 s[2:3], s[4:5], 0x0
	ds_read_b32 v2, v1 offset:768
	s_waitcnt lgkmcnt(0)
	s_cmp_eq_u64 s[0:1], 0
	s_cbranch_scc1 .LBB114_24
; %bb.20:
	s_load_dword s4, s[0:1], 0x0
	s_waitcnt lgkmcnt(0)
	v_div_scale_f32 v1, s[0:1], s4, s4, 1.0
	v_rcp_f32_e32 v3, v1
	v_div_scale_f32 v5, vcc, 1.0, s4, 1.0
	v_fma_f32 v6, -v1, v3, 1.0
	v_fmac_f32_e32 v3, v6, v3
	v_mul_f32_e32 v6, v5, v3
	v_fma_f32 v7, -v1, v6, v5
	v_fmac_f32_e32 v6, v7, v3
	v_fma_f32 v1, -v1, v6, v5
	v_div_fmas_f32 v1, v1, v3, v6
	v_div_fixup_f32 v1, v1, s4, 1.0
	s_andn2_b64 vcc, exec, s[22:23]
	s_cbranch_vccnz .LBB114_22
.LBB114_21:
	s_add_u32 s0, s20, s24
	s_addc_u32 s1, s21, s25
	s_load_dword s10, s[0:1], 0x0
	s_mov_b32 s11, 0
.LBB114_22:
	v_add_f32_e32 v2, 0x358637bd, v2
	v_div_scale_f32 v3, s[0:1], v2, v2, 1.0
	v_rcp_f32_e32 v5, v3
	v_div_scale_f32 v6, vcc, 1.0, v2, 1.0
	s_mul_i32 s0, s7, s11
	v_fma_f32 v7, -v3, v5, 1.0
	v_fmac_f32_e32 v5, v7, v5
	v_mul_f32_e32 v7, v6, v5
	v_fma_f32 v8, -v3, v7, v6
	s_waitcnt lgkmcnt(0)
	s_mul_hi_u32 s1, s7, s10
	v_fmac_f32_e32 v7, v8, v5
	s_add_i32 s1, s1, s0
	s_mul_i32 s0, s7, s10
	v_fma_f32 v3, -v3, v7, v6
	s_lshl_b64 s[0:1], s[0:1], 8
	v_div_fmas_f32 v3, v3, v5, v7
	s_add_u32 s2, s2, s0
	s_mov_b32 s7, 0
	v_div_fixup_f32 v2, v3, v2, 1.0
	s_addc_u32 s3, s3, s1
	s_lshl_b64 s[0:1], s[6:7], 8
	v_mul_f32_e32 v2, v4, v2
	s_add_u32 s0, s2, s0
	s_addc_u32 s1, s3, s1
	v_fma_mixlo_f16 v1, v2, v1, 0
	global_store_short v0, v1, s[0:1]
	s_endpgm
.LBB114_23:
	s_mov_b64 s[2:3], 0
	s_branch .LBB114_2
.LBB114_24:
	v_mov_b32_e32 v1, 1.0
	s_andn2_b64 vcc, exec, s[22:23]
	s_cbranch_vccz .LBB114_21
	s_branch .LBB114_22
	.section	.rodata,"a",@progbits
	.p2align	6, 0x0
	.amdhsa_kernel _Z35paged_attention_ll4mi_reduce_kernelIDF16_DF16_Li128ELi128ELi256ELi3EEvPT0_PKfS3_PKT_PKiS8_iS3_
		.amdhsa_group_segment_fixed_size 772
		.amdhsa_private_segment_fixed_size 0
		.amdhsa_kernarg_size 320
		.amdhsa_user_sgpr_count 6
		.amdhsa_user_sgpr_private_segment_buffer 1
		.amdhsa_user_sgpr_dispatch_ptr 0
		.amdhsa_user_sgpr_queue_ptr 0
		.amdhsa_user_sgpr_kernarg_segment_ptr 1
		.amdhsa_user_sgpr_dispatch_id 0
		.amdhsa_user_sgpr_flat_scratch_init 0
		.amdhsa_user_sgpr_kernarg_preload_length 0
		.amdhsa_user_sgpr_kernarg_preload_offset 0
		.amdhsa_user_sgpr_private_segment_size 0
		.amdhsa_uses_dynamic_stack 0
		.amdhsa_system_sgpr_private_segment_wavefront_offset 0
		.amdhsa_system_sgpr_workgroup_id_x 1
		.amdhsa_system_sgpr_workgroup_id_y 1
		.amdhsa_system_sgpr_workgroup_id_z 0
		.amdhsa_system_sgpr_workgroup_info 0
		.amdhsa_system_vgpr_workitem_id 0
		.amdhsa_next_free_vgpr 92
		.amdhsa_next_free_sgpr 35
		.amdhsa_accum_offset 92
		.amdhsa_reserve_vcc 1
		.amdhsa_reserve_flat_scratch 0
		.amdhsa_float_round_mode_32 0
		.amdhsa_float_round_mode_16_64 0
		.amdhsa_float_denorm_mode_32 3
		.amdhsa_float_denorm_mode_16_64 3
		.amdhsa_dx10_clamp 1
		.amdhsa_ieee_mode 1
		.amdhsa_fp16_overflow 0
		.amdhsa_tg_split 0
		.amdhsa_exception_fp_ieee_invalid_op 0
		.amdhsa_exception_fp_denorm_src 0
		.amdhsa_exception_fp_ieee_div_zero 0
		.amdhsa_exception_fp_ieee_overflow 0
		.amdhsa_exception_fp_ieee_underflow 0
		.amdhsa_exception_fp_ieee_inexact 0
		.amdhsa_exception_int_div_zero 0
	.end_amdhsa_kernel
	.section	.text._Z35paged_attention_ll4mi_reduce_kernelIDF16_DF16_Li128ELi128ELi256ELi3EEvPT0_PKfS3_PKT_PKiS8_iS3_,"axG",@progbits,_Z35paged_attention_ll4mi_reduce_kernelIDF16_DF16_Li128ELi128ELi256ELi3EEvPT0_PKfS3_PKT_PKiS8_iS3_,comdat
.Lfunc_end114:
	.size	_Z35paged_attention_ll4mi_reduce_kernelIDF16_DF16_Li128ELi128ELi256ELi3EEvPT0_PKfS3_PKT_PKiS8_iS3_, .Lfunc_end114-_Z35paged_attention_ll4mi_reduce_kernelIDF16_DF16_Li128ELi128ELi256ELi3EEvPT0_PKfS3_PKT_PKiS8_iS3_
                                        ; -- End function
	.section	.AMDGPU.csdata,"",@progbits
; Kernel info:
; codeLenInByte = 12672
; NumSgprs: 39
; NumVgprs: 92
; NumAgprs: 0
; TotalNumVgprs: 92
; ScratchSize: 0
; MemoryBound: 0
; FloatMode: 240
; IeeeMode: 1
; LDSByteSize: 772 bytes/workgroup (compile time only)
; SGPRBlocks: 4
; VGPRBlocks: 11
; NumSGPRsForWavesPerEU: 39
; NumVGPRsForWavesPerEU: 92
; AccumOffset: 92
; Occupancy: 5
; WaveLimiterHint : 1
; COMPUTE_PGM_RSRC2:SCRATCH_EN: 0
; COMPUTE_PGM_RSRC2:USER_SGPR: 6
; COMPUTE_PGM_RSRC2:TRAP_HANDLER: 0
; COMPUTE_PGM_RSRC2:TGID_X_EN: 1
; COMPUTE_PGM_RSRC2:TGID_Y_EN: 1
; COMPUTE_PGM_RSRC2:TGID_Z_EN: 0
; COMPUTE_PGM_RSRC2:TIDIG_COMP_CNT: 0
; COMPUTE_PGM_RSRC3_GFX90A:ACCUM_OFFSET: 22
; COMPUTE_PGM_RSRC3_GFX90A:TG_SPLIT: 0
	.section	.text._Z35paged_attention_ll4mi_reduce_kernelIDF16_DF16_Li128ELi128ELi256ELi4EEvPT0_PKfS3_PKT_PKiS8_iS3_,"axG",@progbits,_Z35paged_attention_ll4mi_reduce_kernelIDF16_DF16_Li128ELi128ELi256ELi4EEvPT0_PKfS3_PKT_PKiS8_iS3_,comdat
	.protected	_Z35paged_attention_ll4mi_reduce_kernelIDF16_DF16_Li128ELi128ELi256ELi4EEvPT0_PKfS3_PKT_PKiS8_iS3_ ; -- Begin function _Z35paged_attention_ll4mi_reduce_kernelIDF16_DF16_Li128ELi128ELi256ELi4EEvPT0_PKfS3_PKT_PKiS8_iS3_
	.globl	_Z35paged_attention_ll4mi_reduce_kernelIDF16_DF16_Li128ELi128ELi256ELi4EEvPT0_PKfS3_PKT_PKiS8_iS3_
	.p2align	8
	.type	_Z35paged_attention_ll4mi_reduce_kernelIDF16_DF16_Li128ELi128ELi256ELi4EEvPT0_PKfS3_PKT_PKiS8_iS3_,@function
_Z35paged_attention_ll4mi_reduce_kernelIDF16_DF16_Li128ELi128ELi256ELi4EEvPT0_PKfS3_PKT_PKiS8_iS3_: ; @_Z35paged_attention_ll4mi_reduce_kernelIDF16_DF16_Li128ELi128ELi256ELi4EEvPT0_PKfS3_PKT_PKiS8_iS3_
; %bb.0:
	s_load_dwordx2 s[22:23], s[4:5], 0x28
	s_mov_b32 s20, s7
	s_mov_b64 s[0:1], 0
	s_waitcnt lgkmcnt(0)
	s_cmp_lg_u64 s[22:23], 0
	s_cselect_b64 s[24:25], -1, 0
	s_and_b64 vcc, exec, s[24:25]
	s_cbranch_vccz .LBB115_23
; %bb.1:
	s_add_i32 s2, s20, 1
	s_mov_b32 s3, 0
	s_lshl_b64 s[8:9], s[2:3], 2
	s_add_u32 s8, s22, s8
	s_mov_b32 s21, s3
	s_addc_u32 s9, s23, s9
	s_lshl_b64 s[2:3], s[20:21], 2
	s_add_u32 s2, s22, s2
	s_addc_u32 s3, s23, s3
	s_load_dword s7, s[8:9], 0x0
	s_load_dword s10, s[2:3], 0x0
	s_waitcnt lgkmcnt(0)
	s_sub_i32 s2, s7, s10
	s_cmp_eq_u32 s2, 1
	s_cselect_b64 s[2:3], -1, 0
	s_andn2_b64 vcc, exec, s[0:1]
	s_cbranch_vccnz .LBB115_3
.LBB115_2:
	s_mov_b32 s21, 0
	s_mov_b64 s[2:3], -1
.LBB115_3:
	s_andn2_b64 vcc, exec, s[2:3]
	s_cbranch_vccz .LBB115_5
; %bb.4:
	s_endpgm
.LBB115_5:
	s_load_dwordx4 s[12:15], s[4:5], 0x18
	s_load_dword s8, s[4:5], 0x30
	s_lshl_b64 s[26:27], s[20:21], 2
	v_cmp_lt_u32_e32 vcc, 63, v0
	s_waitcnt lgkmcnt(0)
	s_add_u32 s0, s14, s26
	s_addc_u32 s1, s15, s27
	s_load_dword s36, s[0:1], 0x0
	s_load_dword s7, s[4:5], 0x40
	s_mul_i32 s14, s6, s8
	s_mul_i32 s2, s20, s8
	s_waitcnt lgkmcnt(0)
	s_add_i32 s3, s36, 0xff
	s_ashr_i32 s0, s3, 31
	s_lshr_b32 s0, s0, 24
	s_add_i32 s3, s3, s0
	s_and_saveexec_b64 s[0:1], vcc
	s_xor_b64 s[0:1], exec, s[0:1]
	s_or_saveexec_b64 s[28:29], s[0:1]
	s_ashr_i32 s33, s3, 8
	v_mov_b32_e32 v1, s14
	s_mul_i32 s30, s2, s7
	s_xor_b64 exec, exec, s[28:29]
	s_cbranch_execz .LBB115_9
; %bb.6:
	s_load_dwordx4 s[16:19], s[4:5], 0x8
	s_add_i32 s0, s33, -1
	v_or_b32_e32 v3, 64, v0
	v_mov_b32_e32 v1, s0
	v_cmp_gt_u32_e64 s[2:3], s33, v3
	s_mov_b32 s31, 0
	v_cndmask_b32_e64 v4, v1, v3, s[2:3]
	v_or_b32_e32 v3, 0x80, v0
	v_cmp_gt_u32_e64 s[0:1], s33, v3
	s_lshl_b64 s[34:35], s[30:31], 2
	s_mov_b32 s15, s31
	v_cmp_gt_u32_e64 s[8:9], s33, v0
	v_cndmask_b32_e64 v6, v1, v3, s[0:1]
	v_or_b32_e32 v3, 0xc0, v0
	s_waitcnt lgkmcnt(0)
	s_add_u32 s10, s18, s34
	v_cndmask_b32_e64 v2, v1, v0, s[8:9]
	v_cmp_gt_u32_e32 vcc, s33, v3
	s_addc_u32 s11, s19, s35
	s_lshl_b64 s[18:19], s[14:15], 2
	v_cndmask_b32_e32 v8, v1, v3, vcc
	s_add_u32 s15, s10, s18
	v_ashrrev_i32_e32 v3, 31, v2
	s_addc_u32 s31, s11, s19
	v_lshlrev_b64 v[2:3], 2, v[2:3]
	v_mov_b32_e32 v1, s31
	v_add_co_u32_e64 v10, s[10:11], s15, v2
	v_ashrrev_i32_e32 v5, 31, v4
	v_addc_co_u32_e64 v11, s[10:11], v1, v3, s[10:11]
	v_lshlrev_b64 v[4:5], 2, v[4:5]
	v_add_co_u32_e64 v12, s[10:11], s15, v4
	v_ashrrev_i32_e32 v7, 31, v6
	v_addc_co_u32_e64 v13, s[10:11], v1, v5, s[10:11]
	v_lshlrev_b64 v[6:7], 2, v[6:7]
	global_load_dword v1, v[10:11], off
	global_load_dword v14, v[12:13], off
	v_mov_b32_e32 v9, s31
	v_add_co_u32_e64 v10, s[10:11], s15, v6
	v_addc_co_u32_e64 v11, s[10:11], v9, v7, s[10:11]
	v_ashrrev_i32_e32 v9, 31, v8
	v_lshlrev_b64 v[8:9], 2, v[8:9]
	v_mov_b32_e32 v13, s31
	v_add_co_u32_e64 v12, s[10:11], s15, v8
	v_addc_co_u32_e64 v13, s[10:11], v13, v9, s[10:11]
	global_load_dword v15, v[10:11], off
	global_load_dword v16, v[12:13], off
	v_mbcnt_lo_u32_b32 v10, -1, 0
	v_mbcnt_hi_u32_b32 v10, -1, v10
	v_and_b32_e32 v11, 64, v10
	v_xor_b32_e32 v12, 32, v10
	v_add_u32_e32 v11, 64, v11
	v_xor_b32_e32 v13, 16, v10
	v_cmp_lt_i32_e64 s[10:11], v12, v11
	v_xor_b32_e32 v17, 8, v10
	v_cndmask_b32_e64 v12, v10, v12, s[10:11]
	v_cmp_lt_i32_e64 s[10:11], v13, v11
	v_xor_b32_e32 v18, 4, v10
	v_cndmask_b32_e64 v13, v10, v13, s[10:11]
	v_cmp_lt_i32_e64 s[10:11], v17, v11
	v_xor_b32_e32 v19, 2, v10
	v_cndmask_b32_e64 v17, v10, v17, s[10:11]
	v_cmp_lt_i32_e64 s[10:11], v18, v11
	v_cndmask_b32_e64 v18, v10, v18, s[10:11]
	v_cmp_lt_i32_e64 s[10:11], v19, v11
	v_cndmask_b32_e64 v19, v10, v19, s[10:11]
	s_add_u32 s10, s16, s34
	s_addc_u32 s11, s17, s35
	s_add_u32 s15, s10, s18
	s_addc_u32 s16, s11, s19
	v_mov_b32_e32 v21, s16
	v_add_co_u32_e64 v2, s[10:11], s15, v2
	v_addc_co_u32_e64 v3, s[10:11], v21, v3, s[10:11]
	global_load_dword v21, v[2:3], off
	v_lshlrev_b32_e32 v12, 2, v12
	v_mov_b32_e32 v3, s16
	v_lshlrev_b32_e32 v13, 2, v13
	v_xor_b32_e32 v20, 1, v10
	s_mov_b32 s17, 0x42b17218
	s_waitcnt vmcnt(4)
	v_max_f32_e32 v22, v1, v1
	s_waitcnt vmcnt(3)
	v_max_f32_e32 v2, v14, v14
	v_max_f32_e32 v2, v22, v2
	s_waitcnt vmcnt(1)
	v_max3_f32 v22, v2, v15, v16
	ds_bpermute_b32 v23, v12, v22
	v_add_co_u32_e64 v2, s[10:11], s15, v4
	v_addc_co_u32_e64 v3, s[10:11], v3, v5, s[10:11]
	global_load_dword v24, v[2:3], off
	s_waitcnt lgkmcnt(0)
	v_max_f32_e32 v2, v23, v23
	v_max_f32_e32 v2, v22, v2
	ds_bpermute_b32 v3, v13, v2
	v_cmp_lt_i32_e64 s[10:11], v20, v11
	v_cndmask_b32_e64 v4, v10, v20, s[10:11]
	v_lshlrev_b32_e32 v10, 2, v17
	v_lshlrev_b32_e32 v11, 2, v18
	s_waitcnt lgkmcnt(0)
	v_max_f32_e32 v3, v3, v3
	v_max_f32_e32 v2, v2, v3
	ds_bpermute_b32 v3, v10, v2
	v_lshlrev_b32_e32 v17, 2, v19
	v_lshlrev_b32_e32 v18, 2, v4
	v_mov_b32_e32 v4, s16
	v_mov_b32_e32 v5, s16
	s_waitcnt lgkmcnt(0)
	v_max_f32_e32 v3, v3, v3
	v_max_f32_e32 v19, v2, v3
	ds_bpermute_b32 v20, v11, v19
	v_add_co_u32_e64 v2, s[10:11], s15, v6
	v_addc_co_u32_e64 v3, s[10:11], v4, v7, s[10:11]
	s_waitcnt lgkmcnt(0)
	v_max_f32_e32 v4, v20, v20
	v_max_f32_e32 v6, v19, v4
	v_add_co_u32_e64 v4, s[10:11], s15, v8
	v_addc_co_u32_e64 v5, s[10:11], v5, v9, s[10:11]
	global_load_dword v8, v[2:3], off
	global_load_dword v9, v[4:5], off
	ds_bpermute_b32 v7, v17, v6
	s_mov_b32 s15, 0x3fb8aa3b
	s_mov_b32 s16, 0xc2ce8ed0
	s_waitcnt lgkmcnt(0)
	v_max_f32_e32 v2, v7, v7
	v_max_f32_e32 v2, v6, v2
	ds_bpermute_b32 v3, v18, v2
	s_waitcnt lgkmcnt(0)
	v_max_f32_e32 v3, v3, v3
	v_max_f32_e32 v2, v2, v3
	v_sub_f32_e32 v1, v1, v2
	v_mul_f32_e32 v3, 0x3fb8aa3b, v1
	v_fma_f32 v4, v1, s15, -v3
	v_rndne_f32_e32 v5, v3
	v_fmac_f32_e32 v4, 0x32a5705f, v1
	v_sub_f32_e32 v3, v3, v5
	v_add_f32_e32 v3, v3, v4
	v_cvt_i32_f32_e32 v5, v5
	v_exp_f32_e32 v3, v3
	v_cmp_ngt_f32_e64 s[10:11], s16, v1
	v_mov_b32_e32 v4, 0x7f800000
	v_ldexp_f32 v3, v3, v5
	v_sub_f32_e32 v5, v14, v2
	v_mul_f32_e32 v6, 0x3fb8aa3b, v5
	v_fma_f32 v7, v5, s15, -v6
	v_rndne_f32_e32 v14, v6
	v_fmac_f32_e32 v7, 0x32a5705f, v5
	v_sub_f32_e32 v6, v6, v14
	v_add_f32_e32 v6, v6, v7
	v_exp_f32_e32 v6, v6
	v_cvt_i32_f32_e32 v7, v14
	v_cndmask_b32_e64 v3, 0, v3, s[10:11]
	v_cmp_nlt_f32_e64 s[10:11], s17, v1
	v_cndmask_b32_e64 v1, v4, v3, s[10:11]
	v_ldexp_f32 v3, v6, v7
	v_sub_f32_e32 v6, v15, v2
	v_mul_f32_e32 v7, 0x3fb8aa3b, v6
	v_fma_f32 v14, v6, s15, -v7
	v_rndne_f32_e32 v15, v7
	v_fmac_f32_e32 v14, 0x32a5705f, v6
	v_sub_f32_e32 v7, v7, v15
	v_add_f32_e32 v7, v7, v14
	v_exp_f32_e32 v7, v7
	v_cvt_i32_f32_e32 v14, v15
	v_sub_f32_e32 v2, v16, v2
	v_cndmask_b32_e64 v1, 0, v1, s[8:9]
	v_cmp_ngt_f32_e64 s[8:9], s16, v5
	v_ldexp_f32 v7, v7, v14
	v_mul_f32_e32 v14, 0x3fb8aa3b, v2
	v_fma_f32 v15, v2, s15, -v14
	v_rndne_f32_e32 v16, v14
	v_fmac_f32_e32 v15, 0x32a5705f, v2
	v_sub_f32_e32 v14, v14, v16
	v_cndmask_b32_e64 v3, 0, v3, s[8:9]
	v_cmp_nlt_f32_e64 s[8:9], s17, v5
	v_add_f32_e32 v14, v14, v15
	v_cndmask_b32_e64 v3, v4, v3, s[8:9]
	v_exp_f32_e32 v14, v14
	v_cvt_i32_f32_e32 v15, v16
	v_cndmask_b32_e64 v3, 0, v3, s[2:3]
	v_cmp_ngt_f32_e64 s[2:3], s16, v6
	v_cndmask_b32_e64 v7, 0, v7, s[2:3]
	v_cmp_nlt_f32_e64 s[2:3], s17, v6
	v_cndmask_b32_e64 v6, v4, v7, s[2:3]
	v_cndmask_b32_e64 v6, 0, v6, s[0:1]
	v_ldexp_f32 v7, v14, v15
	v_cmp_ngt_f32_e64 s[0:1], s16, v2
	v_cndmask_b32_e64 v7, 0, v7, s[0:1]
	v_cmp_nlt_f32_e64 s[0:1], s17, v2
	s_waitcnt vmcnt(3)
	v_mul_f32_e32 v1, v21, v1
	s_waitcnt vmcnt(2)
	v_mul_f32_e32 v5, v24, v3
	v_cndmask_b32_e64 v2, v4, v7, s[0:1]
	v_lshlrev_b32_e32 v7, 2, v0
	ds_write2st64_b32 v7, v1, v5 offset1:1
	v_fmac_f32_e32 v1, v24, v3
	v_cndmask_b32_e32 v4, 0, v2, vcc
	s_waitcnt vmcnt(1)
	v_fmac_f32_e32 v1, v8, v6
	s_waitcnt vmcnt(0)
	v_fmac_f32_e32 v1, v9, v4
	ds_bpermute_b32 v2, v12, v1
	v_mul_f32_e32 v3, v8, v6
	v_mul_f32_e32 v4, v9, v4
	v_cmp_eq_u32_e32 vcc, 0, v0
	ds_write2st64_b32 v7, v3, v4 offset0:2 offset1:3
	s_waitcnt lgkmcnt(1)
	v_add_f32_e32 v1, v1, v2
	ds_bpermute_b32 v2, v13, v1
	s_waitcnt lgkmcnt(0)
	v_add_f32_e32 v1, v1, v2
	ds_bpermute_b32 v2, v10, v1
	;; [unrolled: 3-line block ×5, first 2 shown]
	s_and_saveexec_b64 s[0:1], vcc
	s_cbranch_execz .LBB115_8
; %bb.7:
	s_waitcnt lgkmcnt(0)
	v_add_f32_e32 v1, v1, v2
	v_mov_b32_e32 v2, 0
	ds_write_b32 v2, v1 offset:1024
.LBB115_8:
	s_or_b64 exec, exec, s[0:1]
	v_mov_b32_e32 v1, s14
.LBB115_9:
	s_or_b64 exec, exec, s[28:29]
	s_lshl_b32 s0, s30, 7
	s_mov_b32 s1, 0
	s_lshl_b64 s[0:1], s[0:1], 1
	s_add_u32 s0, s12, s0
	s_addc_u32 s1, s13, s1
	s_lshl_b32 s10, s33, 7
	s_waitcnt lgkmcnt(0)
	v_lshlrev_b32_e32 v2, 7, v1
	v_mov_b32_e32 v3, 0
	s_add_i32 s11, s10, 0xffffff80
	v_lshlrev_b64 v[4:5], 1, v[2:3]
	s_cmp_lt_i32 s36, 1
	v_mov_b32_e32 v1, s1
	v_add_co_u32_e32 v2, vcc, s0, v4
	s_cselect_b32 s0, s11, 0
	v_addc_co_u32_e32 v4, vcc, v1, v5, vcc
	v_lshlrev_b32_e32 v0, 1, v0
	s_ashr_i32 s1, s0, 31
	v_add_co_u32_e32 v1, vcc, v2, v0
	s_lshl_b64 s[0:1], s[0:1], 1
	v_addc_co_u32_e32 v2, vcc, 0, v4, vcc
	s_cmpk_lt_i32 s36, 0x101
	v_add_co_u32_e32 v12, vcc, s0, v1
	s_cselect_b32 s0, s11, 0x80
	v_mov_b32_e32 v4, s1
	s_ashr_i32 s1, s0, 31
	s_lshl_b64 s[0:1], s[0:1], 1
	v_addc_co_u32_e32 v13, vcc, v2, v4, vcc
	s_cmpk_lt_i32 s36, 0x201
	v_add_co_u32_e32 v14, vcc, s0, v1
	s_cselect_b32 s0, s11, 0x100
	v_mov_b32_e32 v4, s1
	s_ashr_i32 s1, s0, 31
	;; [unrolled: 7-line block ×8, first 2 shown]
	s_lshl_b64 s[0:1], s[0:1], 1
	v_addc_co_u32_e32 v27, vcc, v2, v4, vcc
	s_cmpk_lt_i32 s36, 0x901
	global_load_ushort v4, v[12:13], off
	global_load_ushort v5, v[14:15], off
	;; [unrolled: 1-line block ×8, first 2 shown]
	v_add_co_u32_e32 v20, vcc, s0, v1
	s_cselect_b32 s0, s11, 0x480
	v_mov_b32_e32 v12, s1
	s_ashr_i32 s1, s0, 31
	s_lshl_b64 s[0:1], s[0:1], 1
	v_addc_co_u32_e32 v21, vcc, v2, v12, vcc
	s_cmpk_lt_i32 s36, 0xa01
	v_add_co_u32_e32 v22, vcc, s0, v1
	s_cselect_b32 s0, s11, 0x500
	v_mov_b32_e32 v12, s1
	s_ashr_i32 s1, s0, 31
	s_lshl_b64 s[0:1], s[0:1], 1
	v_addc_co_u32_e32 v23, vcc, v2, v12, vcc
	s_cmpk_lt_i32 s36, 0xb01
	;; [unrolled: 7-line block ×6, first 2 shown]
	v_add_co_u32_e32 v32, vcc, s0, v1
	s_cselect_b32 s0, s11, 0x780
	v_mov_b32_e32 v12, s1
	s_ashr_i32 s1, s0, 31
	v_addc_co_u32_e32 v33, vcc, v2, v12, vcc
	s_lshl_b64 s[0:1], s[0:1], 1
	v_mov_b32_e32 v12, s1
	v_add_co_u32_e32 v34, vcc, s0, v1
	v_addc_co_u32_e32 v35, vcc, v2, v12, vcc
	global_load_ushort v12, v[20:21], off
	global_load_ushort v13, v[22:23], off
	;; [unrolled: 1-line block ×8, first 2 shown]
	s_cmpk_gt_i32 s36, 0x1000
	s_cselect_b64 s[8:9], -1, 0
	s_cmpk_lt_i32 s36, 0x1001
	v_mov_b32_e32 v36, 0
	v_mov_b32_e32 v37, 0
	;; [unrolled: 1-line block ×48, first 2 shown]
	s_barrier
	s_cbranch_scc1 .LBB115_12
; %bb.10:
	s_cmpk_lt_u32 s36, 0x1101
	s_cselect_b32 s0, s11, 0x880
	s_ashr_i32 s1, s0, 31
	v_add_co_u32_e32 v28, vcc, 0x1000, v1
	s_lshl_b64 s[0:1], s[0:1], 1
	v_addc_co_u32_e32 v29, vcc, 0, v2, vcc
	s_cmpk_lt_u32 s36, 0x1201
	v_add_co_u32_e32 v30, vcc, s0, v1
	s_cselect_b32 s0, s11, 0x900
	v_mov_b32_e32 v20, s1
	s_ashr_i32 s1, s0, 31
	s_lshl_b64 s[0:1], s[0:1], 1
	v_addc_co_u32_e32 v31, vcc, v2, v20, vcc
	s_cmpk_lt_u32 s36, 0x1301
	v_add_co_u32_e32 v32, vcc, s0, v1
	s_cselect_b32 s0, s11, 0x980
	v_mov_b32_e32 v20, s1
	s_ashr_i32 s1, s0, 31
	;; [unrolled: 7-line block ×7, first 2 shown]
	s_lshl_b64 s[0:1], s[0:1], 1
	v_addc_co_u32_e32 v43, vcc, v2, v20, vcc
	s_cmpk_lt_u32 s36, 0x1901
	global_load_ushort v27, v[28:29], off
	global_load_ushort v26, v[30:31], off
	;; [unrolled: 1-line block ×8, first 2 shown]
	v_add_co_u32_e32 v36, vcc, s0, v1
	s_cselect_b32 s0, s11, 0xc80
	v_mov_b32_e32 v28, s1
	s_ashr_i32 s1, s0, 31
	s_lshl_b64 s[0:1], s[0:1], 1
	v_addc_co_u32_e32 v37, vcc, v2, v28, vcc
	s_cmpk_lt_u32 s36, 0x1a01
	v_add_co_u32_e32 v38, vcc, s0, v1
	s_cselect_b32 s0, s11, 0xd00
	v_mov_b32_e32 v28, s1
	s_ashr_i32 s1, s0, 31
	s_lshl_b64 s[0:1], s[0:1], 1
	v_addc_co_u32_e32 v39, vcc, v2, v28, vcc
	s_cmpk_lt_u32 s36, 0x1b01
	;; [unrolled: 7-line block ×6, first 2 shown]
	v_add_co_u32_e32 v48, vcc, s0, v1
	s_cselect_b32 s0, s11, 0xf80
	v_mov_b32_e32 v28, s1
	s_ashr_i32 s1, s0, 31
	v_addc_co_u32_e32 v49, vcc, v2, v28, vcc
	s_lshl_b64 s[0:1], s[0:1], 1
	v_mov_b32_e32 v28, s1
	v_add_co_u32_e32 v50, vcc, s0, v1
	v_addc_co_u32_e32 v51, vcc, v2, v28, vcc
	global_load_ushort v35, v[36:37], off
	global_load_ushort v34, v[38:39], off
	;; [unrolled: 1-line block ×8, first 2 shown]
	s_cmpk_lt_u32 s36, 0x2001
	v_mov_b32_e32 v67, 0
	v_mov_b32_e32 v66, 0
	;; [unrolled: 1-line block ×32, first 2 shown]
	s_cbranch_scc1 .LBB115_12
; %bb.11:
	s_cmpk_lt_u32 s36, 0x2101
	s_cselect_b32 s0, s11, 0x1080
	s_ashr_i32 s1, s0, 31
	v_add_co_u32_e32 v36, vcc, 0x2000, v1
	s_lshl_b64 s[0:1], s[0:1], 1
	v_addc_co_u32_e32 v37, vcc, 0, v2, vcc
	s_cmpk_lt_u32 s36, 0x2201
	v_add_co_u32_e32 v38, vcc, s0, v1
	s_cselect_b32 s0, s11, 0x1100
	v_mov_b32_e32 v39, s1
	s_ashr_i32 s1, s0, 31
	s_lshl_b64 s[0:1], s[0:1], 1
	v_addc_co_u32_e32 v39, vcc, v2, v39, vcc
	s_cmpk_lt_u32 s36, 0x2301
	v_add_co_u32_e32 v40, vcc, s0, v1
	s_cselect_b32 s0, s11, 0x1180
	v_mov_b32_e32 v41, s1
	s_ashr_i32 s1, s0, 31
	s_lshl_b64 s[0:1], s[0:1], 1
	v_addc_co_u32_e32 v41, vcc, v2, v41, vcc
	s_cmpk_lt_u32 s36, 0x2401
	v_add_co_u32_e32 v42, vcc, s0, v1
	s_cselect_b32 s0, s11, 0x1200
	v_mov_b32_e32 v43, s1
	s_ashr_i32 s1, s0, 31
	s_lshl_b64 s[0:1], s[0:1], 1
	v_addc_co_u32_e32 v43, vcc, v2, v43, vcc
	s_cmpk_lt_u32 s36, 0x2501
	v_add_co_u32_e32 v44, vcc, s0, v1
	s_cselect_b32 s0, s11, 0x1280
	v_mov_b32_e32 v45, s1
	s_ashr_i32 s1, s0, 31
	s_lshl_b64 s[0:1], s[0:1], 1
	v_addc_co_u32_e32 v45, vcc, v2, v45, vcc
	s_cmpk_lt_u32 s36, 0x2601
	v_add_co_u32_e32 v46, vcc, s0, v1
	s_cselect_b32 s0, s11, 0x1300
	v_mov_b32_e32 v47, s1
	s_ashr_i32 s1, s0, 31
	s_lshl_b64 s[0:1], s[0:1], 1
	v_addc_co_u32_e32 v47, vcc, v2, v47, vcc
	s_cmpk_lt_u32 s36, 0x2701
	v_add_co_u32_e32 v48, vcc, s0, v1
	s_cselect_b32 s0, s11, 0x1380
	v_mov_b32_e32 v49, s1
	s_ashr_i32 s1, s0, 31
	s_lshl_b64 s[0:1], s[0:1], 1
	v_addc_co_u32_e32 v49, vcc, v2, v49, vcc
	s_cmpk_lt_u32 s36, 0x2801
	v_add_co_u32_e32 v50, vcc, s0, v1
	s_cselect_b32 s0, s11, 0x1400
	v_mov_b32_e32 v51, s1
	s_ashr_i32 s1, s0, 31
	s_lshl_b64 s[0:1], s[0:1], 1
	v_addc_co_u32_e32 v51, vcc, v2, v51, vcc
	s_cmpk_lt_u32 s36, 0x2901
	global_load_ushort v52, v[36:37], off
	global_load_ushort v53, v[38:39], off
	global_load_ushort v54, v[40:41], off
	global_load_ushort v55, v[42:43], off
	global_load_ushort v56, v[44:45], off
	global_load_ushort v57, v[46:47], off
	global_load_ushort v58, v[48:49], off
	global_load_ushort v59, v[50:51], off
	v_add_co_u32_e32 v36, vcc, s0, v1
	s_cselect_b32 s0, s11, 0x1480
	v_mov_b32_e32 v37, s1
	s_ashr_i32 s1, s0, 31
	s_lshl_b64 s[0:1], s[0:1], 1
	v_addc_co_u32_e32 v37, vcc, v2, v37, vcc
	s_cmpk_lt_u32 s36, 0x2a01
	v_add_co_u32_e32 v38, vcc, s0, v1
	s_cselect_b32 s0, s11, 0x1500
	v_mov_b32_e32 v39, s1
	s_ashr_i32 s1, s0, 31
	s_lshl_b64 s[0:1], s[0:1], 1
	v_addc_co_u32_e32 v39, vcc, v2, v39, vcc
	s_cmpk_lt_u32 s36, 0x2b01
	v_add_co_u32_e32 v40, vcc, s0, v1
	s_cselect_b32 s0, s11, 0x1580
	v_mov_b32_e32 v41, s1
	s_ashr_i32 s1, s0, 31
	s_lshl_b64 s[0:1], s[0:1], 1
	v_addc_co_u32_e32 v41, vcc, v2, v41, vcc
	s_cmpk_lt_u32 s36, 0x2c01
	v_add_co_u32_e32 v42, vcc, s0, v1
	s_cselect_b32 s0, s11, 0x1600
	v_mov_b32_e32 v43, s1
	s_ashr_i32 s1, s0, 31
	s_lshl_b64 s[0:1], s[0:1], 1
	v_addc_co_u32_e32 v43, vcc, v2, v43, vcc
	s_cmpk_lt_u32 s36, 0x2d01
	v_add_co_u32_e32 v44, vcc, s0, v1
	s_cselect_b32 s0, s11, 0x1680
	v_mov_b32_e32 v45, s1
	s_ashr_i32 s1, s0, 31
	s_lshl_b64 s[0:1], s[0:1], 1
	v_addc_co_u32_e32 v45, vcc, v2, v45, vcc
	s_cmpk_lt_u32 s36, 0x2e01
	v_add_co_u32_e32 v46, vcc, s0, v1
	s_cselect_b32 s0, s11, 0x1700
	v_mov_b32_e32 v47, s1
	s_ashr_i32 s1, s0, 31
	s_lshl_b64 s[0:1], s[0:1], 1
	v_addc_co_u32_e32 v47, vcc, v2, v47, vcc
	s_cmpk_lt_u32 s36, 0x2f01
	v_add_co_u32_e32 v48, vcc, s0, v1
	s_cselect_b32 s0, s11, 0x1780
	v_mov_b32_e32 v49, s1
	s_ashr_i32 s1, s0, 31
	s_lshl_b64 s[0:1], s[0:1], 1
	v_addc_co_u32_e32 v49, vcc, v2, v49, vcc
	s_cmpk_lt_u32 s36, 0x3001
	v_add_co_u32_e32 v50, vcc, s0, v1
	s_cselect_b32 s0, s11, 0x1800
	v_mov_b32_e32 v51, s1
	s_ashr_i32 s1, s0, 31
	s_lshl_b64 s[0:1], s[0:1], 1
	v_addc_co_u32_e32 v51, vcc, v2, v51, vcc
	s_cmpk_lt_u32 s36, 0x3101
	global_load_ushort v68, v[36:37], off
	global_load_ushort v69, v[38:39], off
	global_load_ushort v70, v[40:41], off
	global_load_ushort v71, v[42:43], off
	global_load_ushort v72, v[44:45], off
	global_load_ushort v73, v[46:47], off
	global_load_ushort v74, v[48:49], off
	global_load_ushort v75, v[50:51], off
	v_add_co_u32_e32 v36, vcc, s0, v1
	s_cselect_b32 s0, s11, 0x1880
	v_mov_b32_e32 v37, s1
	s_ashr_i32 s1, s0, 31
	;; [unrolled: 64-line block ×3, first 2 shown]
	s_lshl_b64 s[0:1], s[0:1], 1
	v_addc_co_u32_e32 v37, vcc, v2, v37, vcc
	s_cmpk_lt_u32 s36, 0x3a01
	v_add_co_u32_e32 v38, vcc, s0, v1
	s_cselect_b32 s0, s11, 0x1d00
	v_mov_b32_e32 v39, s1
	s_ashr_i32 s1, s0, 31
	s_lshl_b64 s[0:1], s[0:1], 1
	v_addc_co_u32_e32 v39, vcc, v2, v39, vcc
	s_cmpk_lt_u32 s36, 0x3b01
	v_add_co_u32_e32 v40, vcc, s0, v1
	s_cselect_b32 s0, s11, 0x1d80
	v_mov_b32_e32 v41, s1
	s_ashr_i32 s1, s0, 31
	;; [unrolled: 7-line block ×6, first 2 shown]
	v_addc_co_u32_e32 v49, vcc, v2, v49, vcc
	s_lshl_b64 s[0:1], s[0:1], 1
	v_mov_b32_e32 v51, s1
	v_add_co_u32_e32 v50, vcc, s0, v1
	v_addc_co_u32_e32 v51, vcc, v2, v51, vcc
	global_load_ushort v84, v[36:37], off
	global_load_ushort v85, v[38:39], off
	;; [unrolled: 1-line block ×8, first 2 shown]
	s_waitcnt vmcnt(31)
	v_cvt_f32_f16_e32 v67, v52
	s_waitcnt vmcnt(30)
	v_cvt_f32_f16_e32 v66, v53
	;; [unrolled: 2-line block ×32, first 2 shown]
.LBB115_12:
	ds_read_b128 v[68:71], v3
	s_load_dwordx2 s[0:1], s[4:5], 0x0
	s_load_dwordx2 s[2:3], s[4:5], 0x38
	ds_read_b128 v[72:75], v3 offset:16
	ds_read_b128 v[76:79], v3 offset:32
	;; [unrolled: 1-line block ×3, first 2 shown]
	s_and_b64 vcc, exec, s[8:9]
	s_waitcnt vmcnt(15) lgkmcnt(0)
	v_fma_mix_f32 v4, v68, v4, 0 op_sel_hi:[0,1,0]
	s_waitcnt vmcnt(14)
	v_fma_mix_f32 v4, v69, v5, v4 op_sel_hi:[0,1,0]
	s_waitcnt vmcnt(13)
	;; [unrolled: 2-line block ×15, first 2 shown]
	v_fma_mix_f32 v4, v83, v19, v4 op_sel_hi:[0,1,0]
	s_cbranch_vccz .LBB115_15
; %bb.13:
	ds_read_b128 v[6:9], v3 offset:64
	ds_read_b128 v[10:13], v3 offset:80
	;; [unrolled: 1-line block ×4, first 2 shown]
	s_cmpk_lt_u32 s36, 0x2001
	s_waitcnt lgkmcnt(3)
	v_fma_mix_f32 v3, v6, v27, v4 op_sel_hi:[0,1,0]
	v_fma_mix_f32 v3, v7, v26, v3 op_sel_hi:[0,1,0]
	v_fma_mix_f32 v3, v8, v25, v3 op_sel_hi:[0,1,0]
	v_fma_mix_f32 v3, v9, v24, v3 op_sel_hi:[0,1,0]
	s_waitcnt lgkmcnt(2)
	v_fma_mix_f32 v3, v10, v23, v3 op_sel_hi:[0,1,0]
	v_fma_mix_f32 v3, v11, v22, v3 op_sel_hi:[0,1,0]
	v_fma_mix_f32 v3, v12, v20, v3 op_sel_hi:[0,1,0]
	v_fma_mix_f32 v3, v13, v21, v3 op_sel_hi:[0,1,0]
	;; [unrolled: 5-line block ×4, first 2 shown]
	s_cbranch_scc1 .LBB115_15
; %bb.14:
	v_mov_b32_e32 v3, 0
	ds_read_b128 v[6:9], v3 offset:128
	ds_read_b128 v[10:13], v3 offset:144
	;; [unrolled: 1-line block ×4, first 2 shown]
	s_waitcnt lgkmcnt(3)
	v_fmac_f32_e32 v4, v6, v67
	v_fmac_f32_e32 v4, v7, v66
	v_fmac_f32_e32 v4, v8, v65
	v_fmac_f32_e32 v4, v9, v64
	s_waitcnt lgkmcnt(2)
	v_fmac_f32_e32 v4, v10, v63
	v_fmac_f32_e32 v4, v11, v62
	v_fmac_f32_e32 v4, v12, v61
	v_fmac_f32_e32 v4, v13, v60
	;; [unrolled: 5-line block ×3, first 2 shown]
	ds_read_b128 v[6:9], v3 offset:192
	ds_read_b128 v[10:13], v3 offset:208
	s_waitcnt lgkmcnt(2)
	v_fmac_f32_e32 v4, v18, v55
	v_fmac_f32_e32 v4, v19, v54
	;; [unrolled: 1-line block ×4, first 2 shown]
	s_waitcnt lgkmcnt(1)
	v_fmac_f32_e32 v4, v6, v51
	v_fmac_f32_e32 v4, v7, v50
	;; [unrolled: 1-line block ×4, first 2 shown]
	ds_read_b128 v[6:9], v3 offset:224
	s_waitcnt lgkmcnt(1)
	v_fmac_f32_e32 v4, v10, v47
	v_fmac_f32_e32 v4, v11, v46
	v_fmac_f32_e32 v4, v12, v45
	v_fmac_f32_e32 v4, v13, v44
	ds_read_b128 v[10:13], v3 offset:240
	s_waitcnt lgkmcnt(1)
	v_fmac_f32_e32 v4, v6, v43
	v_fmac_f32_e32 v4, v7, v42
	;; [unrolled: 1-line block ×4, first 2 shown]
	s_waitcnt lgkmcnt(0)
	v_fmac_f32_e32 v4, v10, v39
	v_fmac_f32_e32 v4, v11, v38
	;; [unrolled: 1-line block ×4, first 2 shown]
.LBB115_15:
	s_movk_i32 s4, 0x3f80
	s_movk_i32 s5, 0x100
	s_mov_b32 s8, 64
	s_branch .LBB115_17
.LBB115_16:                             ;   in Loop: Header=BB115_17 Depth=1
	s_addk_i32 s4, 0x2000
	s_addk_i32 s5, 0x100
	s_add_i32 s8, s8, 64
	s_cmpk_eq_u32 s4, 0x9f80
	s_cbranch_scc1 .LBB115_19
.LBB115_17:                             ; =>This Inner Loop Header: Depth=1
	s_cmp_le_i32 s33, s8
	s_cbranch_scc1 .LBB115_16
; %bb.18:                               ;   in Loop: Header=BB115_17 Depth=1
	s_add_i32 s9, s4, 0xffffe080
	s_cmp_lt_i32 s9, s10
	s_cselect_b32 s12, s9, s11
	s_ashr_i32 s13, s12, 31
	s_lshl_b64 s[12:13], s[12:13], 1
	s_add_i32 s9, s4, 0xffffe100
	s_cmp_lt_i32 s9, s10
	v_add_co_u32_e32 v12, vcc, s12, v1
	s_cselect_b32 s12, s9, s11
	v_mov_b32_e32 v3, s13
	s_ashr_i32 s13, s12, 31
	s_lshl_b64 s[12:13], s[12:13], 1
	s_add_i32 s9, s4, 0xffffe180
	v_addc_co_u32_e32 v13, vcc, v2, v3, vcc
	s_cmp_lt_i32 s9, s10
	v_add_co_u32_e32 v14, vcc, s12, v1
	s_cselect_b32 s12, s9, s11
	v_mov_b32_e32 v3, s13
	s_ashr_i32 s13, s12, 31
	s_lshl_b64 s[12:13], s[12:13], 1
	s_add_i32 s9, s4, 0xffffe200
	v_addc_co_u32_e32 v15, vcc, v2, v3, vcc
	s_cmp_lt_i32 s9, s10
	v_add_co_u32_e32 v16, vcc, s12, v1
	s_cselect_b32 s12, s9, s11
	v_mov_b32_e32 v3, s13
	s_ashr_i32 s13, s12, 31
	s_lshl_b64 s[12:13], s[12:13], 1
	s_add_i32 s9, s4, 0xffffe280
	v_addc_co_u32_e32 v17, vcc, v2, v3, vcc
	s_cmp_lt_i32 s9, s10
	v_add_co_u32_e32 v18, vcc, s12, v1
	s_cselect_b32 s12, s9, s11
	v_mov_b32_e32 v3, s13
	s_ashr_i32 s13, s12, 31
	s_lshl_b64 s[12:13], s[12:13], 1
	s_add_i32 s9, s4, 0xffffe300
	v_addc_co_u32_e32 v19, vcc, v2, v3, vcc
	s_cmp_lt_i32 s9, s10
	v_add_co_u32_e32 v20, vcc, s12, v1
	s_cselect_b32 s12, s9, s11
	v_mov_b32_e32 v3, s13
	s_ashr_i32 s13, s12, 31
	s_lshl_b64 s[12:13], s[12:13], 1
	s_add_i32 s9, s4, 0xffffe380
	v_addc_co_u32_e32 v21, vcc, v2, v3, vcc
	s_cmp_lt_i32 s9, s10
	v_add_co_u32_e32 v22, vcc, s12, v1
	s_cselect_b32 s12, s9, s11
	v_mov_b32_e32 v3, s13
	s_ashr_i32 s13, s12, 31
	s_lshl_b64 s[12:13], s[12:13], 1
	s_add_i32 s9, s4, 0xffffe400
	v_addc_co_u32_e32 v23, vcc, v2, v3, vcc
	s_cmp_lt_i32 s9, s10
	v_add_co_u32_e32 v24, vcc, s12, v1
	s_cselect_b32 s12, s9, s11
	v_mov_b32_e32 v3, s13
	s_ashr_i32 s13, s12, 31
	s_lshl_b64 s[12:13], s[12:13], 1
	s_add_i32 s9, s4, 0xffffe480
	v_addc_co_u32_e32 v25, vcc, v2, v3, vcc
	s_cmp_lt_i32 s9, s10
	v_add_co_u32_e32 v26, vcc, s12, v1
	s_cselect_b32 s12, s9, s11
	v_mov_b32_e32 v3, s13
	s_ashr_i32 s13, s12, 31
	s_lshl_b64 s[12:13], s[12:13], 1
	s_add_i32 s9, s4, 0xffffe500
	v_addc_co_u32_e32 v27, vcc, v2, v3, vcc
	s_cmp_lt_i32 s9, s10
	global_load_ushort v3, v[12:13], off
	global_load_ushort v5, v[14:15], off
	;; [unrolled: 1-line block ×8, first 2 shown]
	v_add_co_u32_e32 v20, vcc, s12, v1
	s_cselect_b32 s12, s9, s11
	v_mov_b32_e32 v12, s13
	s_ashr_i32 s13, s12, 31
	s_lshl_b64 s[12:13], s[12:13], 1
	s_add_i32 s9, s4, 0xffffe580
	v_addc_co_u32_e32 v21, vcc, v2, v12, vcc
	s_cmp_lt_i32 s9, s10
	v_add_co_u32_e32 v22, vcc, s12, v1
	s_cselect_b32 s12, s9, s11
	v_mov_b32_e32 v12, s13
	s_ashr_i32 s13, s12, 31
	s_lshl_b64 s[12:13], s[12:13], 1
	s_add_i32 s9, s4, 0xffffe600
	v_addc_co_u32_e32 v23, vcc, v2, v12, vcc
	s_cmp_lt_i32 s9, s10
	;; [unrolled: 8-line block ×8, first 2 shown]
	global_load_ushort v15, v[20:21], off
	global_load_ushort v16, v[22:23], off
	global_load_ushort v17, v[24:25], off
	global_load_ushort v18, v[26:27], off
	global_load_ushort v19, v[28:29], off
	global_load_ushort v12, v[30:31], off
	global_load_ushort v13, v[32:33], off
	global_load_ushort v14, v[34:35], off
	v_add_co_u32_e32 v28, vcc, s12, v1
	s_cselect_b32 s12, s9, s11
	v_mov_b32_e32 v20, s13
	s_ashr_i32 s13, s12, 31
	s_lshl_b64 s[12:13], s[12:13], 1
	s_add_i32 s9, s4, 0xffffe980
	v_addc_co_u32_e32 v29, vcc, v2, v20, vcc
	s_cmp_lt_i32 s9, s10
	v_add_co_u32_e32 v30, vcc, s12, v1
	s_cselect_b32 s12, s9, s11
	v_mov_b32_e32 v20, s13
	s_ashr_i32 s13, s12, 31
	s_lshl_b64 s[12:13], s[12:13], 1
	s_add_i32 s9, s4, 0xffffea00
	v_addc_co_u32_e32 v31, vcc, v2, v20, vcc
	s_cmp_lt_i32 s9, s10
	;; [unrolled: 8-line block ×8, first 2 shown]
	global_load_ushort v23, v[28:29], off
	global_load_ushort v24, v[30:31], off
	;; [unrolled: 1-line block ×8, first 2 shown]
	v_add_co_u32_e32 v36, vcc, s12, v1
	s_cselect_b32 s12, s9, s11
	v_mov_b32_e32 v28, s13
	s_ashr_i32 s13, s12, 31
	s_lshl_b64 s[12:13], s[12:13], 1
	s_add_i32 s9, s4, 0xffffed80
	v_addc_co_u32_e32 v37, vcc, v2, v28, vcc
	s_cmp_lt_i32 s9, s10
	v_add_co_u32_e32 v38, vcc, s12, v1
	s_cselect_b32 s12, s9, s11
	v_mov_b32_e32 v28, s13
	s_ashr_i32 s13, s12, 31
	s_lshl_b64 s[12:13], s[12:13], 1
	s_add_i32 s9, s4, 0xffffee00
	v_addc_co_u32_e32 v39, vcc, v2, v28, vcc
	s_cmp_lt_i32 s9, s10
	;; [unrolled: 8-line block ×8, first 2 shown]
	global_load_ushort v31, v[36:37], off
	global_load_ushort v32, v[38:39], off
	global_load_ushort v33, v[40:41], off
	global_load_ushort v34, v[42:43], off
	global_load_ushort v35, v[44:45], off
	global_load_ushort v28, v[46:47], off
	global_load_ushort v29, v[48:49], off
	global_load_ushort v30, v[50:51], off
	v_add_co_u32_e32 v36, vcc, s12, v1
	s_cselect_b32 s12, s9, s11
	v_mov_b32_e32 v37, s13
	s_ashr_i32 s13, s12, 31
	s_lshl_b64 s[12:13], s[12:13], 1
	s_add_i32 s9, s4, 0xfffff180
	v_addc_co_u32_e32 v37, vcc, v2, v37, vcc
	s_cmp_lt_i32 s9, s10
	v_add_co_u32_e32 v38, vcc, s12, v1
	s_cselect_b32 s12, s9, s11
	v_mov_b32_e32 v39, s13
	s_ashr_i32 s13, s12, 31
	s_lshl_b64 s[12:13], s[12:13], 1
	s_add_i32 s9, s4, 0xfffff200
	v_addc_co_u32_e32 v39, vcc, v2, v39, vcc
	s_cmp_lt_i32 s9, s10
	;; [unrolled: 8-line block ×8, first 2 shown]
	global_load_ushort v52, v[36:37], off
	global_load_ushort v53, v[38:39], off
	;; [unrolled: 1-line block ×8, first 2 shown]
	v_add_co_u32_e32 v36, vcc, s12, v1
	s_cselect_b32 s12, s9, s11
	v_mov_b32_e32 v37, s13
	s_ashr_i32 s13, s12, 31
	s_lshl_b64 s[12:13], s[12:13], 1
	s_add_i32 s9, s4, 0xfffff580
	v_addc_co_u32_e32 v37, vcc, v2, v37, vcc
	s_cmp_lt_i32 s9, s10
	v_add_co_u32_e32 v38, vcc, s12, v1
	s_cselect_b32 s12, s9, s11
	v_mov_b32_e32 v39, s13
	s_ashr_i32 s13, s12, 31
	s_lshl_b64 s[12:13], s[12:13], 1
	s_add_i32 s9, s4, 0xfffff600
	v_addc_co_u32_e32 v39, vcc, v2, v39, vcc
	s_cmp_lt_i32 s9, s10
	;; [unrolled: 8-line block ×8, first 2 shown]
	global_load_ushort v60, v[36:37], off
	global_load_ushort v61, v[38:39], off
	;; [unrolled: 1-line block ×8, first 2 shown]
	v_add_co_u32_e32 v36, vcc, s12, v1
	s_cselect_b32 s12, s9, s11
	v_mov_b32_e32 v37, s13
	s_ashr_i32 s13, s12, 31
	s_lshl_b64 s[12:13], s[12:13], 1
	s_add_i32 s9, s4, 0xfffff980
	v_addc_co_u32_e32 v37, vcc, v2, v37, vcc
	s_cmp_lt_i32 s9, s10
	v_add_co_u32_e32 v38, vcc, s12, v1
	s_cselect_b32 s12, s9, s11
	v_mov_b32_e32 v39, s13
	s_ashr_i32 s13, s12, 31
	s_lshl_b64 s[12:13], s[12:13], 1
	s_add_i32 s9, s4, 0xfffffa00
	v_addc_co_u32_e32 v39, vcc, v2, v39, vcc
	s_cmp_lt_i32 s9, s10
	;; [unrolled: 8-line block ×8, first 2 shown]
	global_load_ushort v68, v[36:37], off
	global_load_ushort v69, v[38:39], off
	;; [unrolled: 1-line block ×8, first 2 shown]
	v_add_co_u32_e32 v36, vcc, s12, v1
	s_cselect_b32 s12, s9, s11
	v_mov_b32_e32 v37, s13
	s_ashr_i32 s13, s12, 31
	s_lshl_b64 s[12:13], s[12:13], 1
	s_add_i32 s9, s4, 0xfffffd80
	v_addc_co_u32_e32 v37, vcc, v2, v37, vcc
	s_cmp_lt_i32 s9, s10
	v_add_co_u32_e32 v38, vcc, s12, v1
	s_cselect_b32 s12, s9, s11
	v_mov_b32_e32 v39, s13
	s_ashr_i32 s13, s12, 31
	s_lshl_b64 s[12:13], s[12:13], 1
	s_add_i32 s9, s4, 0xfffffe00
	v_addc_co_u32_e32 v39, vcc, v2, v39, vcc
	s_cmp_lt_i32 s9, s10
	;; [unrolled: 8-line block ×5, first 2 shown]
	v_add_co_u32_e32 v46, vcc, s12, v1
	s_cselect_b32 s12, s9, s11
	v_mov_b32_e32 v47, s13
	s_ashr_i32 s13, s12, 31
	s_lshl_b64 s[12:13], s[12:13], 1
	v_addc_co_u32_e32 v47, vcc, v2, v47, vcc
	s_cmp_lt_i32 s4, s10
	v_add_co_u32_e32 v48, vcc, s12, v1
	s_cselect_b32 s12, s4, s11
	v_mov_b32_e32 v49, s13
	s_ashr_i32 s13, s12, 31
	v_addc_co_u32_e32 v49, vcc, v2, v49, vcc
	s_lshl_b64 s[12:13], s[12:13], 1
	v_mov_b32_e32 v51, s13
	v_add_co_u32_e32 v50, vcc, s12, v1
	v_addc_co_u32_e32 v51, vcc, v2, v51, vcc
	global_load_ushort v76, v[36:37], off
	global_load_ushort v77, v[38:39], off
	;; [unrolled: 1-line block ×8, first 2 shown]
	v_mov_b32_e32 v84, s5
	ds_read_b128 v[36:39], v84
	ds_read_b128 v[40:43], v84 offset:16
	ds_read_b128 v[44:47], v84 offset:32
	;; [unrolled: 1-line block ×3, first 2 shown]
	s_waitcnt vmcnt(62) lgkmcnt(3)
	v_fma_mix_f32 v3, v36, v3, v4 op_sel_hi:[0,1,0]
	v_fma_mix_f32 v3, v37, v5, v3 op_sel_hi:[0,1,0]
	s_waitcnt vmcnt(61)
	v_fma_mix_f32 v3, v38, v6, v3 op_sel_hi:[0,1,0]
	s_waitcnt vmcnt(60)
	v_fma_mix_f32 v3, v39, v7, v3 op_sel_hi:[0,1,0]
	s_waitcnt vmcnt(59) lgkmcnt(2)
	v_fma_mix_f32 v3, v40, v8, v3 op_sel_hi:[0,1,0]
	s_waitcnt vmcnt(58)
	v_fma_mix_f32 v3, v41, v9, v3 op_sel_hi:[0,1,0]
	s_waitcnt vmcnt(57)
	v_fma_mix_f32 v3, v42, v10, v3 op_sel_hi:[0,1,0]
	s_waitcnt vmcnt(56)
	v_fma_mix_f32 v3, v43, v11, v3 op_sel_hi:[0,1,0]
	s_waitcnt vmcnt(55) lgkmcnt(1)
	v_fma_mix_f32 v3, v44, v15, v3 op_sel_hi:[0,1,0]
	s_waitcnt vmcnt(54)
	v_fma_mix_f32 v3, v45, v16, v3 op_sel_hi:[0,1,0]
	s_waitcnt vmcnt(53)
	v_fma_mix_f32 v3, v46, v17, v3 op_sel_hi:[0,1,0]
	s_waitcnt vmcnt(52)
	v_fma_mix_f32 v3, v47, v18, v3 op_sel_hi:[0,1,0]
	ds_read_b128 v[4:7], v84 offset:64
	ds_read_b128 v[8:11], v84 offset:80
	s_waitcnt vmcnt(51) lgkmcnt(2)
	v_fma_mix_f32 v3, v48, v19, v3 op_sel_hi:[0,1,0]
	s_waitcnt vmcnt(50)
	v_fma_mix_f32 v3, v49, v12, v3 op_sel_hi:[0,1,0]
	s_waitcnt vmcnt(49)
	;; [unrolled: 2-line block ×3, first 2 shown]
	v_fma_mix_f32 v3, v51, v14, v3 op_sel_hi:[0,1,0]
	s_waitcnt vmcnt(47) lgkmcnt(1)
	v_fma_mix_f32 v3, v4, v23, v3 op_sel_hi:[0,1,0]
	s_waitcnt vmcnt(46)
	v_fma_mix_f32 v3, v5, v24, v3 op_sel_hi:[0,1,0]
	s_waitcnt vmcnt(45)
	v_fma_mix_f32 v3, v6, v25, v3 op_sel_hi:[0,1,0]
	s_waitcnt vmcnt(44)
	v_fma_mix_f32 v3, v7, v26, v3 op_sel_hi:[0,1,0]
	ds_read_b128 v[4:7], v84 offset:96
	s_waitcnt vmcnt(43) lgkmcnt(1)
	v_fma_mix_f32 v3, v8, v27, v3 op_sel_hi:[0,1,0]
	s_waitcnt vmcnt(42)
	v_fma_mix_f32 v3, v9, v20, v3 op_sel_hi:[0,1,0]
	s_waitcnt vmcnt(41)
	v_fma_mix_f32 v3, v10, v21, v3 op_sel_hi:[0,1,0]
	s_waitcnt vmcnt(40)
	v_fma_mix_f32 v3, v11, v22, v3 op_sel_hi:[0,1,0]
	ds_read_b128 v[8:11], v84 offset:112
	;; [unrolled: 9-line block ×10, first 2 shown]
	s_waitcnt vmcnt(7) lgkmcnt(1)
	v_fma_mix_f32 v3, v4, v76, v3 op_sel_hi:[0,1,0]
	s_waitcnt vmcnt(6)
	v_fma_mix_f32 v3, v5, v77, v3 op_sel_hi:[0,1,0]
	s_waitcnt vmcnt(5)
	;; [unrolled: 2-line block ×3, first 2 shown]
	v_fma_mix_f32 v3, v7, v79, v3 op_sel_hi:[0,1,0]
	s_waitcnt vmcnt(3) lgkmcnt(0)
	v_fma_mix_f32 v3, v8, v80, v3 op_sel_hi:[0,1,0]
	s_waitcnt vmcnt(2)
	v_fma_mix_f32 v3, v9, v81, v3 op_sel_hi:[0,1,0]
	s_waitcnt vmcnt(1)
	;; [unrolled: 2-line block ×3, first 2 shown]
	v_fma_mix_f32 v4, v11, v83, v3 op_sel_hi:[0,1,0]
	s_branch .LBB115_16
.LBB115_19:
	v_mov_b32_e32 v1, 0
	ds_read_b32 v2, v1 offset:1024
	s_cmp_lg_u64 s[2:3], 0
	s_cbranch_scc0 .LBB115_24
; %bb.20:
	s_load_dword s4, s[2:3], 0x0
	s_waitcnt lgkmcnt(0)
	v_div_scale_f32 v1, s[2:3], s4, s4, 1.0
	v_rcp_f32_e32 v3, v1
	v_div_scale_f32 v5, vcc, 1.0, s4, 1.0
	v_fma_f32 v6, -v1, v3, 1.0
	v_fmac_f32_e32 v3, v6, v3
	v_mul_f32_e32 v6, v5, v3
	v_fma_f32 v7, -v1, v6, v5
	v_fmac_f32_e32 v6, v7, v3
	v_fma_f32 v1, -v1, v6, v5
	v_div_fmas_f32 v1, v1, v3, v6
	v_div_fixup_f32 v1, v1, s4, 1.0
	s_andn2_b64 vcc, exec, s[24:25]
	s_cbranch_vccnz .LBB115_22
.LBB115_21:
	s_add_u32 s2, s22, s26
	s_addc_u32 s3, s23, s27
	s_load_dword s20, s[2:3], 0x0
	s_mov_b32 s21, 0
.LBB115_22:
	s_waitcnt lgkmcnt(0)
	v_add_f32_e32 v2, 0x358637bd, v2
	v_div_scale_f32 v3, s[2:3], v2, v2, 1.0
	v_rcp_f32_e32 v5, v3
	v_div_scale_f32 v6, vcc, 1.0, v2, 1.0
	s_mul_i32 s2, s7, s21
	v_fma_f32 v7, -v3, v5, 1.0
	v_fmac_f32_e32 v5, v7, v5
	v_mul_f32_e32 v7, v6, v5
	v_fma_f32 v8, -v3, v7, v6
	s_mul_hi_u32 s3, s7, s20
	v_fmac_f32_e32 v7, v8, v5
	s_add_i32 s3, s3, s2
	s_mul_i32 s2, s7, s20
	v_fma_f32 v3, -v3, v7, v6
	s_lshl_b64 s[2:3], s[2:3], 8
	v_div_fmas_f32 v3, v3, v5, v7
	s_add_u32 s2, s0, s2
	s_mov_b32 s7, 0
	v_div_fixup_f32 v2, v3, v2, 1.0
	s_addc_u32 s3, s1, s3
	s_lshl_b64 s[0:1], s[6:7], 8
	v_mul_f32_e32 v2, v4, v2
	s_add_u32 s0, s2, s0
	s_addc_u32 s1, s3, s1
	v_fma_mixlo_f16 v1, v2, v1, 0
	global_store_short v0, v1, s[0:1]
	s_endpgm
.LBB115_23:
	s_mov_b64 s[2:3], 0
	s_branch .LBB115_2
.LBB115_24:
	v_mov_b32_e32 v1, 1.0
	s_andn2_b64 vcc, exec, s[24:25]
	s_cbranch_vccz .LBB115_21
	s_branch .LBB115_22
	.section	.rodata,"a",@progbits
	.p2align	6, 0x0
	.amdhsa_kernel _Z35paged_attention_ll4mi_reduce_kernelIDF16_DF16_Li128ELi128ELi256ELi4EEvPT0_PKfS3_PKT_PKiS8_iS3_
		.amdhsa_group_segment_fixed_size 1028
		.amdhsa_private_segment_fixed_size 0
		.amdhsa_kernarg_size 320
		.amdhsa_user_sgpr_count 6
		.amdhsa_user_sgpr_private_segment_buffer 1
		.amdhsa_user_sgpr_dispatch_ptr 0
		.amdhsa_user_sgpr_queue_ptr 0
		.amdhsa_user_sgpr_kernarg_segment_ptr 1
		.amdhsa_user_sgpr_dispatch_id 0
		.amdhsa_user_sgpr_flat_scratch_init 0
		.amdhsa_user_sgpr_kernarg_preload_length 0
		.amdhsa_user_sgpr_kernarg_preload_offset 0
		.amdhsa_user_sgpr_private_segment_size 0
		.amdhsa_uses_dynamic_stack 0
		.amdhsa_system_sgpr_private_segment_wavefront_offset 0
		.amdhsa_system_sgpr_workgroup_id_x 1
		.amdhsa_system_sgpr_workgroup_id_y 1
		.amdhsa_system_sgpr_workgroup_id_z 0
		.amdhsa_system_sgpr_workgroup_info 0
		.amdhsa_system_vgpr_workitem_id 0
		.amdhsa_next_free_vgpr 92
		.amdhsa_next_free_sgpr 37
		.amdhsa_accum_offset 92
		.amdhsa_reserve_vcc 1
		.amdhsa_reserve_flat_scratch 0
		.amdhsa_float_round_mode_32 0
		.amdhsa_float_round_mode_16_64 0
		.amdhsa_float_denorm_mode_32 3
		.amdhsa_float_denorm_mode_16_64 3
		.amdhsa_dx10_clamp 1
		.amdhsa_ieee_mode 1
		.amdhsa_fp16_overflow 0
		.amdhsa_tg_split 0
		.amdhsa_exception_fp_ieee_invalid_op 0
		.amdhsa_exception_fp_denorm_src 0
		.amdhsa_exception_fp_ieee_div_zero 0
		.amdhsa_exception_fp_ieee_overflow 0
		.amdhsa_exception_fp_ieee_underflow 0
		.amdhsa_exception_fp_ieee_inexact 0
		.amdhsa_exception_int_div_zero 0
	.end_amdhsa_kernel
	.section	.text._Z35paged_attention_ll4mi_reduce_kernelIDF16_DF16_Li128ELi128ELi256ELi4EEvPT0_PKfS3_PKT_PKiS8_iS3_,"axG",@progbits,_Z35paged_attention_ll4mi_reduce_kernelIDF16_DF16_Li128ELi128ELi256ELi4EEvPT0_PKfS3_PKT_PKiS8_iS3_,comdat
.Lfunc_end115:
	.size	_Z35paged_attention_ll4mi_reduce_kernelIDF16_DF16_Li128ELi128ELi256ELi4EEvPT0_PKfS3_PKT_PKiS8_iS3_, .Lfunc_end115-_Z35paged_attention_ll4mi_reduce_kernelIDF16_DF16_Li128ELi128ELi256ELi4EEvPT0_PKfS3_PKT_PKiS8_iS3_
                                        ; -- End function
	.section	.AMDGPU.csdata,"",@progbits
; Kernel info:
; codeLenInByte = 9504
; NumSgprs: 41
; NumVgprs: 92
; NumAgprs: 0
; TotalNumVgprs: 92
; ScratchSize: 0
; MemoryBound: 0
; FloatMode: 240
; IeeeMode: 1
; LDSByteSize: 1028 bytes/workgroup (compile time only)
; SGPRBlocks: 5
; VGPRBlocks: 11
; NumSGPRsForWavesPerEU: 41
; NumVGPRsForWavesPerEU: 92
; AccumOffset: 92
; Occupancy: 5
; WaveLimiterHint : 1
; COMPUTE_PGM_RSRC2:SCRATCH_EN: 0
; COMPUTE_PGM_RSRC2:USER_SGPR: 6
; COMPUTE_PGM_RSRC2:TRAP_HANDLER: 0
; COMPUTE_PGM_RSRC2:TGID_X_EN: 1
; COMPUTE_PGM_RSRC2:TGID_Y_EN: 1
; COMPUTE_PGM_RSRC2:TGID_Z_EN: 0
; COMPUTE_PGM_RSRC2:TIDIG_COMP_CNT: 0
; COMPUTE_PGM_RSRC3_GFX90A:ACCUM_OFFSET: 22
; COMPUTE_PGM_RSRC3_GFX90A:TG_SPLIT: 0
	.section	.text._Z35paged_attention_ll4mi_reduce_kernelIDF16_DF16_Li128ELi128ELi256ELi5EEvPT0_PKfS3_PKT_PKiS8_iS3_,"axG",@progbits,_Z35paged_attention_ll4mi_reduce_kernelIDF16_DF16_Li128ELi128ELi256ELi5EEvPT0_PKfS3_PKT_PKiS8_iS3_,comdat
	.protected	_Z35paged_attention_ll4mi_reduce_kernelIDF16_DF16_Li128ELi128ELi256ELi5EEvPT0_PKfS3_PKT_PKiS8_iS3_ ; -- Begin function _Z35paged_attention_ll4mi_reduce_kernelIDF16_DF16_Li128ELi128ELi256ELi5EEvPT0_PKfS3_PKT_PKiS8_iS3_
	.globl	_Z35paged_attention_ll4mi_reduce_kernelIDF16_DF16_Li128ELi128ELi256ELi5EEvPT0_PKfS3_PKT_PKiS8_iS3_
	.p2align	8
	.type	_Z35paged_attention_ll4mi_reduce_kernelIDF16_DF16_Li128ELi128ELi256ELi5EEvPT0_PKfS3_PKT_PKiS8_iS3_,@function
_Z35paged_attention_ll4mi_reduce_kernelIDF16_DF16_Li128ELi128ELi256ELi5EEvPT0_PKfS3_PKT_PKiS8_iS3_: ; @_Z35paged_attention_ll4mi_reduce_kernelIDF16_DF16_Li128ELi128ELi256ELi5EEvPT0_PKfS3_PKT_PKiS8_iS3_
; %bb.0:
	s_load_dwordx2 s[24:25], s[4:5], 0x28
	s_mov_b32 s14, s7
	s_mov_b64 s[0:1], 0
	s_waitcnt lgkmcnt(0)
	s_cmp_lg_u64 s[24:25], 0
	s_cselect_b64 s[26:27], -1, 0
	s_and_b64 vcc, exec, s[26:27]
	s_cbranch_vccz .LBB116_23
; %bb.1:
	s_add_i32 s2, s14, 1
	s_mov_b32 s3, 0
	s_lshl_b64 s[8:9], s[2:3], 2
	s_add_u32 s8, s24, s8
	s_mov_b32 s15, s3
	s_addc_u32 s9, s25, s9
	s_lshl_b64 s[2:3], s[14:15], 2
	s_add_u32 s2, s24, s2
	s_addc_u32 s3, s25, s3
	s_load_dword s7, s[8:9], 0x0
	s_load_dword s10, s[2:3], 0x0
	s_waitcnt lgkmcnt(0)
	s_sub_i32 s2, s7, s10
	s_cmp_eq_u32 s2, 1
	s_cselect_b64 s[2:3], -1, 0
	s_andn2_b64 vcc, exec, s[0:1]
	s_cbranch_vccnz .LBB116_3
.LBB116_2:
	s_mov_b32 s15, 0
	s_mov_b64 s[2:3], -1
.LBB116_3:
	s_andn2_b64 vcc, exec, s[2:3]
	s_cbranch_vccz .LBB116_5
; %bb.4:
	s_endpgm
.LBB116_5:
	s_load_dwordx4 s[16:19], s[4:5], 0x18
	s_load_dword s8, s[4:5], 0x30
	s_lshl_b64 s[28:29], s[14:15], 2
	v_cmp_lt_u32_e32 vcc, 63, v0
	s_waitcnt lgkmcnt(0)
	s_add_u32 s0, s18, s28
	s_addc_u32 s1, s19, s29
	s_load_dword s38, s[0:1], 0x0
	s_load_dword s7, s[4:5], 0x40
	s_mul_i32 s18, s6, s8
	s_mul_i32 s2, s14, s8
	s_waitcnt lgkmcnt(0)
	s_add_i32 s3, s38, 0xff
	s_ashr_i32 s0, s3, 31
	s_lshr_b32 s0, s0, 24
	s_add_i32 s3, s3, s0
	s_and_saveexec_b64 s[0:1], vcc
	s_xor_b64 s[0:1], exec, s[0:1]
	s_or_saveexec_b64 s[30:31], s[0:1]
	s_ashr_i32 s33, s3, 8
	v_mov_b32_e32 v1, s18
	s_mul_i32 s34, s2, s7
	s_xor_b64 exec, exec, s[30:31]
	s_cbranch_execz .LBB116_9
; %bb.6:
	s_add_i32 s0, s33, -1
	v_or_b32_e32 v3, 64, v0
	s_load_dwordx4 s[20:23], s[4:5], 0x8
	v_mov_b32_e32 v1, s0
	v_cmp_gt_u32_e64 s[8:9], s33, v3
	v_cndmask_b32_e64 v4, v1, v3, s[8:9]
	v_or_b32_e32 v3, 0x80, v0
	v_cmp_gt_u32_e64 s[2:3], s33, v3
	s_mov_b32 s35, 0
	v_cndmask_b32_e64 v6, v1, v3, s[2:3]
	v_or_b32_e32 v3, 0xc0, v0
	v_cmp_gt_u32_e64 s[0:1], s33, v3
	s_lshl_b64 s[36:37], s[34:35], 2
	s_mov_b32 s19, s35
	v_cmp_gt_u32_e64 s[10:11], s33, v0
	v_cndmask_b32_e64 v8, v1, v3, s[0:1]
	v_or_b32_e32 v3, 0x100, v0
	s_waitcnt lgkmcnt(0)
	s_add_u32 s12, s22, s36
	v_cndmask_b32_e64 v2, v1, v0, s[10:11]
	v_cmp_gt_u32_e32 vcc, s33, v3
	s_addc_u32 s13, s23, s37
	s_lshl_b64 s[22:23], s[18:19], 2
	v_cndmask_b32_e32 v10, v1, v3, vcc
	s_add_u32 s19, s12, s22
	v_ashrrev_i32_e32 v3, 31, v2
	s_addc_u32 s35, s13, s23
	v_lshlrev_b64 v[2:3], 2, v[2:3]
	v_mov_b32_e32 v1, s35
	v_add_co_u32_e64 v12, s[12:13], s19, v2
	v_ashrrev_i32_e32 v5, 31, v4
	v_addc_co_u32_e64 v13, s[12:13], v1, v3, s[12:13]
	v_lshlrev_b64 v[4:5], 2, v[4:5]
	v_add_co_u32_e64 v14, s[12:13], s19, v4
	v_ashrrev_i32_e32 v7, 31, v6
	v_addc_co_u32_e64 v15, s[12:13], v1, v5, s[12:13]
	v_lshlrev_b64 v[6:7], 2, v[6:7]
	;; [unrolled: 4-line block ×4, first 2 shown]
	v_add_co_u32_e64 v20, s[12:13], s19, v10
	v_addc_co_u32_e64 v21, s[12:13], v1, v11, s[12:13]
	global_load_dword v1, v[12:13], off
	global_load_dword v22, v[14:15], off
	;; [unrolled: 1-line block ×5, first 2 shown]
	v_mbcnt_lo_u32_b32 v12, -1, 0
	v_mbcnt_hi_u32_b32 v12, -1, v12
	v_and_b32_e32 v13, 64, v12
	v_xor_b32_e32 v14, 32, v12
	v_add_u32_e32 v13, 64, v13
	v_xor_b32_e32 v15, 16, v12
	v_cmp_lt_i32_e64 s[12:13], v14, v13
	v_xor_b32_e32 v16, 8, v12
	v_cndmask_b32_e64 v14, v12, v14, s[12:13]
	v_cmp_lt_i32_e64 s[12:13], v15, v13
	v_cndmask_b32_e64 v15, v12, v15, s[12:13]
	v_cmp_lt_i32_e64 s[12:13], v16, v13
	v_cndmask_b32_e64 v16, v12, v16, s[12:13]
	v_lshlrev_b32_e32 v14, 2, v14
	s_add_u32 s12, s20, s36
	s_addc_u32 s13, s21, s37
	s_add_u32 s19, s12, s22
	s_addc_u32 s20, s13, s23
	v_mov_b32_e32 v20, s20
	v_add_co_u32_e64 v2, s[12:13], s19, v2
	v_addc_co_u32_e64 v3, s[12:13], v20, v3, s[12:13]
	global_load_dword v20, v[2:3], off
	v_lshlrev_b32_e32 v15, 2, v15
	v_lshlrev_b32_e32 v16, 2, v16
	v_xor_b32_e32 v17, 4, v12
	v_cmp_lt_i32_e64 s[12:13], v17, v13
	v_cndmask_b32_e64 v17, v12, v17, s[12:13]
	v_lshlrev_b32_e32 v17, 2, v17
	v_xor_b32_e32 v18, 2, v12
	v_xor_b32_e32 v19, 1, v12
	s_mov_b32 s21, 0x42b17218
	s_waitcnt vmcnt(3)
	v_max3_f32 v21, v1, v22, v23
	s_waitcnt vmcnt(1)
	v_max3_f32 v21, v21, v24, v25
	ds_bpermute_b32 v26, v14, v21
	s_waitcnt lgkmcnt(0)
	v_max_f32_e32 v2, v26, v26
	v_max_f32_e32 v2, v21, v2
	ds_bpermute_b32 v3, v15, v2
	v_mov_b32_e32 v21, s20
	s_waitcnt lgkmcnt(0)
	v_max_f32_e32 v3, v3, v3
	v_max_f32_e32 v26, v2, v3
	ds_bpermute_b32 v27, v16, v26
	v_add_co_u32_e64 v2, s[12:13], s19, v4
	v_addc_co_u32_e64 v3, s[12:13], v21, v5, s[12:13]
	s_waitcnt lgkmcnt(0)
	v_max_f32_e32 v4, v27, v27
	v_max_f32_e32 v4, v26, v4
	ds_bpermute_b32 v5, v17, v4
	v_cmp_lt_i32_e64 s[12:13], v18, v13
	global_load_dword v21, v[2:3], off
	v_cndmask_b32_e64 v2, v12, v18, s[12:13]
	v_lshlrev_b32_e32 v18, 2, v2
	s_waitcnt lgkmcnt(0)
	v_max_f32_e32 v2, v5, v5
	v_max_f32_e32 v2, v4, v2
	ds_bpermute_b32 v3, v18, v2
	v_cmp_lt_i32_e64 s[12:13], v19, v13
	v_cndmask_b32_e64 v4, v12, v19, s[12:13]
	v_lshlrev_b32_e32 v12, 2, v4
	v_mov_b32_e32 v4, s20
	s_waitcnt lgkmcnt(0)
	v_max_f32_e32 v3, v3, v3
	v_max_f32_e32 v13, v2, v3
	v_add_co_u32_e64 v2, s[12:13], s19, v6
	v_addc_co_u32_e64 v3, s[12:13], v4, v7, s[12:13]
	v_mov_b32_e32 v5, s20
	v_add_co_u32_e64 v4, s[12:13], s19, v8
	v_addc_co_u32_e64 v5, s[12:13], v5, v9, s[12:13]
	v_mov_b32_e32 v7, s20
	v_add_co_u32_e64 v6, s[12:13], s19, v10
	v_addc_co_u32_e64 v7, s[12:13], v7, v11, s[12:13]
	global_load_dword v8, v[2:3], off
	global_load_dword v9, v[4:5], off
	;; [unrolled: 1-line block ×3, first 2 shown]
	ds_bpermute_b32 v19, v12, v13
	s_mov_b32 s19, 0x3fb8aa3b
	s_mov_b32 s20, 0xc2ce8ed0
	s_waitcnt lgkmcnt(0)
	v_max_f32_e32 v2, v19, v19
	v_max_f32_e32 v2, v13, v2
	v_sub_f32_e32 v1, v1, v2
	v_mul_f32_e32 v3, 0x3fb8aa3b, v1
	v_fma_f32 v4, v1, s19, -v3
	v_rndne_f32_e32 v5, v3
	v_fmac_f32_e32 v4, 0x32a5705f, v1
	v_sub_f32_e32 v3, v3, v5
	v_add_f32_e32 v3, v3, v4
	v_cvt_i32_f32_e32 v4, v5
	v_sub_f32_e32 v5, v22, v2
	v_mul_f32_e32 v6, 0x3fb8aa3b, v5
	v_fma_f32 v7, v5, s19, -v6
	v_rndne_f32_e32 v11, v6
	v_exp_f32_e32 v3, v3
	v_fmac_f32_e32 v7, 0x32a5705f, v5
	v_sub_f32_e32 v6, v6, v11
	v_add_f32_e32 v6, v6, v7
	v_exp_f32_e32 v6, v6
	v_cvt_i32_f32_e32 v7, v11
	v_ldexp_f32 v3, v3, v4
	v_cmp_ngt_f32_e64 s[12:13], s20, v1
	v_cndmask_b32_e64 v3, 0, v3, s[12:13]
	v_mov_b32_e32 v4, 0x7f800000
	v_cmp_nlt_f32_e64 s[12:13], s21, v1
	v_cndmask_b32_e64 v1, v4, v3, s[12:13]
	v_ldexp_f32 v3, v6, v7
	v_sub_f32_e32 v6, v23, v2
	v_mul_f32_e32 v7, 0x3fb8aa3b, v6
	v_fma_f32 v11, v6, s19, -v7
	v_rndne_f32_e32 v13, v7
	v_fmac_f32_e32 v11, 0x32a5705f, v6
	v_sub_f32_e32 v7, v7, v13
	v_add_f32_e32 v7, v7, v11
	v_exp_f32_e32 v7, v7
	v_cvt_i32_f32_e32 v11, v13
	v_cndmask_b32_e64 v1, 0, v1, s[10:11]
	s_waitcnt vmcnt(4)
	v_mul_f32_e32 v1, v20, v1
	v_cmp_ngt_f32_e64 s[10:11], s20, v5
	v_ldexp_f32 v7, v7, v11
	v_sub_f32_e32 v11, v24, v2
	v_mul_f32_e32 v13, 0x3fb8aa3b, v11
	v_fma_f32 v19, v11, s19, -v13
	v_rndne_f32_e32 v20, v13
	v_fmac_f32_e32 v19, 0x32a5705f, v11
	v_sub_f32_e32 v13, v13, v20
	v_add_f32_e32 v13, v13, v19
	v_cndmask_b32_e64 v3, 0, v3, s[10:11]
	v_cmp_nlt_f32_e64 s[10:11], s21, v5
	v_exp_f32_e32 v13, v13
	v_cvt_i32_f32_e32 v19, v20
	v_cndmask_b32_e64 v3, v4, v3, s[10:11]
	v_cndmask_b32_e64 v3, 0, v3, s[8:9]
	v_cmp_ngt_f32_e64 s[8:9], s20, v6
	v_cndmask_b32_e64 v7, 0, v7, s[8:9]
	v_cmp_nlt_f32_e64 s[8:9], s21, v6
	v_sub_f32_e32 v2, v25, v2
	v_cndmask_b32_e64 v6, v4, v7, s[8:9]
	v_ldexp_f32 v7, v13, v19
	v_mul_f32_e32 v13, 0x3fb8aa3b, v2
	v_fma_f32 v19, v2, s19, -v13
	v_rndne_f32_e32 v20, v13
	v_fmac_f32_e32 v19, 0x32a5705f, v2
	v_sub_f32_e32 v13, v13, v20
	v_add_f32_e32 v13, v13, v19
	v_exp_f32_e32 v13, v13
	v_cvt_i32_f32_e32 v19, v20
	v_cndmask_b32_e64 v6, 0, v6, s[2:3]
	v_cmp_ngt_f32_e64 s[2:3], s20, v11
	v_cndmask_b32_e64 v7, 0, v7, s[2:3]
	v_cmp_nlt_f32_e64 s[2:3], s21, v11
	v_cndmask_b32_e64 v7, v4, v7, s[2:3]
	v_cndmask_b32_e64 v7, 0, v7, s[0:1]
	v_ldexp_f32 v11, v13, v19
	v_cmp_ngt_f32_e64 s[0:1], s20, v2
	v_cndmask_b32_e64 v11, 0, v11, s[0:1]
	v_cmp_nlt_f32_e64 s[0:1], s21, v2
	s_waitcnt vmcnt(3)
	v_mul_f32_e32 v5, v21, v3
	v_cndmask_b32_e64 v2, v4, v11, s[0:1]
	v_lshlrev_b32_e32 v11, 2, v0
	ds_write2st64_b32 v11, v1, v5 offset1:1
	v_fmac_f32_e32 v1, v21, v3
	s_waitcnt vmcnt(2)
	v_fmac_f32_e32 v1, v8, v6
	v_cndmask_b32_e32 v4, 0, v2, vcc
	s_waitcnt vmcnt(1)
	v_fmac_f32_e32 v1, v9, v7
	s_waitcnt vmcnt(0)
	v_fmac_f32_e32 v1, v10, v4
	ds_bpermute_b32 v2, v14, v1
	v_mul_f32_e32 v3, v8, v6
	v_mul_f32_e32 v5, v9, v7
	v_cmp_eq_u32_e32 vcc, 0, v0
	v_mul_f32_e32 v4, v10, v4
	s_waitcnt lgkmcnt(0)
	v_add_f32_e32 v1, v1, v2
	ds_bpermute_b32 v2, v15, v1
	ds_write2st64_b32 v11, v3, v5 offset0:2 offset1:3
	ds_write_b32 v11, v4 offset:1024
	s_waitcnt lgkmcnt(2)
	v_add_f32_e32 v1, v1, v2
	ds_bpermute_b32 v2, v16, v1
	s_waitcnt lgkmcnt(0)
	v_add_f32_e32 v1, v1, v2
	ds_bpermute_b32 v2, v17, v1
	;; [unrolled: 3-line block ×4, first 2 shown]
	s_and_saveexec_b64 s[0:1], vcc
	s_cbranch_execz .LBB116_8
; %bb.7:
	s_waitcnt lgkmcnt(0)
	v_add_f32_e32 v1, v1, v2
	v_mov_b32_e32 v2, 0
	ds_write_b32 v2, v1 offset:1280
.LBB116_8:
	s_or_b64 exec, exec, s[0:1]
	v_mov_b32_e32 v1, s18
.LBB116_9:
	s_or_b64 exec, exec, s[30:31]
	s_lshl_b32 s0, s34, 7
	s_mov_b32 s1, 0
	s_lshl_b64 s[0:1], s[0:1], 1
	s_add_u32 s0, s16, s0
	s_addc_u32 s1, s17, s1
	s_lshl_b32 s10, s33, 7
	s_waitcnt lgkmcnt(0)
	v_lshlrev_b32_e32 v2, 7, v1
	v_mov_b32_e32 v3, 0
	s_add_i32 s11, s10, 0xffffff80
	v_lshlrev_b64 v[4:5], 1, v[2:3]
	s_cmp_lt_i32 s38, 1
	v_mov_b32_e32 v1, s1
	v_add_co_u32_e32 v2, vcc, s0, v4
	s_cselect_b32 s0, s11, 0
	v_addc_co_u32_e32 v4, vcc, v1, v5, vcc
	v_lshlrev_b32_e32 v0, 1, v0
	s_ashr_i32 s1, s0, 31
	v_add_co_u32_e32 v1, vcc, v2, v0
	s_lshl_b64 s[0:1], s[0:1], 1
	v_addc_co_u32_e32 v2, vcc, 0, v4, vcc
	s_cmpk_lt_i32 s38, 0x101
	v_add_co_u32_e32 v12, vcc, s0, v1
	s_cselect_b32 s0, s11, 0x80
	v_mov_b32_e32 v4, s1
	s_ashr_i32 s1, s0, 31
	s_lshl_b64 s[0:1], s[0:1], 1
	v_addc_co_u32_e32 v13, vcc, v2, v4, vcc
	s_cmpk_lt_i32 s38, 0x201
	v_add_co_u32_e32 v14, vcc, s0, v1
	s_cselect_b32 s0, s11, 0x100
	v_mov_b32_e32 v4, s1
	s_ashr_i32 s1, s0, 31
	;; [unrolled: 7-line block ×8, first 2 shown]
	s_lshl_b64 s[0:1], s[0:1], 1
	v_addc_co_u32_e32 v27, vcc, v2, v4, vcc
	s_cmpk_lt_i32 s38, 0x901
	global_load_ushort v4, v[12:13], off
	global_load_ushort v5, v[14:15], off
	;; [unrolled: 1-line block ×8, first 2 shown]
	v_add_co_u32_e32 v20, vcc, s0, v1
	s_cselect_b32 s0, s11, 0x480
	v_mov_b32_e32 v12, s1
	s_ashr_i32 s1, s0, 31
	s_lshl_b64 s[0:1], s[0:1], 1
	v_addc_co_u32_e32 v21, vcc, v2, v12, vcc
	s_cmpk_lt_i32 s38, 0xa01
	v_add_co_u32_e32 v22, vcc, s0, v1
	s_cselect_b32 s0, s11, 0x500
	v_mov_b32_e32 v12, s1
	s_ashr_i32 s1, s0, 31
	s_lshl_b64 s[0:1], s[0:1], 1
	v_addc_co_u32_e32 v23, vcc, v2, v12, vcc
	s_cmpk_lt_i32 s38, 0xb01
	;; [unrolled: 7-line block ×6, first 2 shown]
	v_add_co_u32_e32 v32, vcc, s0, v1
	s_cselect_b32 s0, s11, 0x780
	v_mov_b32_e32 v12, s1
	s_ashr_i32 s1, s0, 31
	v_addc_co_u32_e32 v33, vcc, v2, v12, vcc
	s_lshl_b64 s[0:1], s[0:1], 1
	v_mov_b32_e32 v12, s1
	v_add_co_u32_e32 v34, vcc, s0, v1
	v_addc_co_u32_e32 v35, vcc, v2, v12, vcc
	global_load_ushort v12, v[20:21], off
	global_load_ushort v13, v[22:23], off
	global_load_ushort v14, v[24:25], off
	global_load_ushort v15, v[26:27], off
	global_load_ushort v16, v[28:29], off
	global_load_ushort v17, v[30:31], off
	global_load_ushort v18, v[32:33], off
	global_load_ushort v19, v[34:35], off
	s_cmpk_gt_i32 s38, 0x1000
	s_cselect_b64 s[8:9], -1, 0
	s_cmpk_lt_i32 s38, 0x1001
	v_mov_b32_e32 v36, 0
	v_mov_b32_e32 v37, 0
	v_mov_b32_e32 v38, 0
	v_mov_b32_e32 v39, 0
	v_mov_b32_e32 v40, 0
	v_mov_b32_e32 v41, 0
	v_mov_b32_e32 v42, 0
	v_mov_b32_e32 v43, 0
	v_mov_b32_e32 v44, 0
	v_mov_b32_e32 v45, 0
	v_mov_b32_e32 v46, 0
	v_mov_b32_e32 v47, 0
	v_mov_b32_e32 v48, 0
	v_mov_b32_e32 v49, 0
	v_mov_b32_e32 v50, 0
	v_mov_b32_e32 v51, 0
	v_mov_b32_e32 v52, 0
	v_mov_b32_e32 v53, 0
	v_mov_b32_e32 v54, 0
	v_mov_b32_e32 v55, 0
	v_mov_b32_e32 v56, 0
	v_mov_b32_e32 v57, 0
	v_mov_b32_e32 v58, 0
	v_mov_b32_e32 v59, 0
	v_mov_b32_e32 v60, 0
	v_mov_b32_e32 v61, 0
	v_mov_b32_e32 v62, 0
	v_mov_b32_e32 v63, 0
	v_mov_b32_e32 v64, 0
	v_mov_b32_e32 v65, 0
	v_mov_b32_e32 v66, 0
	v_mov_b32_e32 v67, 0
	v_mov_b32_e32 v28, 0
	v_mov_b32_e32 v29, 0
	v_mov_b32_e32 v30, 0
	v_mov_b32_e32 v31, 0
	v_mov_b32_e32 v32, 0
	v_mov_b32_e32 v33, 0
	v_mov_b32_e32 v34, 0
	v_mov_b32_e32 v35, 0
	v_mov_b32_e32 v21, 0
	v_mov_b32_e32 v20, 0
	v_mov_b32_e32 v22, 0
	v_mov_b32_e32 v23, 0
	v_mov_b32_e32 v24, 0
	v_mov_b32_e32 v25, 0
	v_mov_b32_e32 v26, 0
	v_mov_b32_e32 v27, 0
	s_barrier
	s_cbranch_scc1 .LBB116_12
; %bb.10:
	s_cmpk_lt_u32 s38, 0x1101
	s_cselect_b32 s0, s11, 0x880
	s_ashr_i32 s1, s0, 31
	v_add_co_u32_e32 v28, vcc, 0x1000, v1
	s_lshl_b64 s[0:1], s[0:1], 1
	v_addc_co_u32_e32 v29, vcc, 0, v2, vcc
	s_cmpk_lt_u32 s38, 0x1201
	v_add_co_u32_e32 v30, vcc, s0, v1
	s_cselect_b32 s0, s11, 0x900
	v_mov_b32_e32 v20, s1
	s_ashr_i32 s1, s0, 31
	s_lshl_b64 s[0:1], s[0:1], 1
	v_addc_co_u32_e32 v31, vcc, v2, v20, vcc
	s_cmpk_lt_u32 s38, 0x1301
	v_add_co_u32_e32 v32, vcc, s0, v1
	s_cselect_b32 s0, s11, 0x980
	v_mov_b32_e32 v20, s1
	s_ashr_i32 s1, s0, 31
	;; [unrolled: 7-line block ×7, first 2 shown]
	s_lshl_b64 s[0:1], s[0:1], 1
	v_addc_co_u32_e32 v43, vcc, v2, v20, vcc
	s_cmpk_lt_u32 s38, 0x1901
	global_load_ushort v27, v[28:29], off
	global_load_ushort v26, v[30:31], off
	;; [unrolled: 1-line block ×8, first 2 shown]
	v_add_co_u32_e32 v36, vcc, s0, v1
	s_cselect_b32 s0, s11, 0xc80
	v_mov_b32_e32 v28, s1
	s_ashr_i32 s1, s0, 31
	s_lshl_b64 s[0:1], s[0:1], 1
	v_addc_co_u32_e32 v37, vcc, v2, v28, vcc
	s_cmpk_lt_u32 s38, 0x1a01
	v_add_co_u32_e32 v38, vcc, s0, v1
	s_cselect_b32 s0, s11, 0xd00
	v_mov_b32_e32 v28, s1
	s_ashr_i32 s1, s0, 31
	s_lshl_b64 s[0:1], s[0:1], 1
	v_addc_co_u32_e32 v39, vcc, v2, v28, vcc
	s_cmpk_lt_u32 s38, 0x1b01
	;; [unrolled: 7-line block ×6, first 2 shown]
	v_add_co_u32_e32 v48, vcc, s0, v1
	s_cselect_b32 s0, s11, 0xf80
	v_mov_b32_e32 v28, s1
	s_ashr_i32 s1, s0, 31
	v_addc_co_u32_e32 v49, vcc, v2, v28, vcc
	s_lshl_b64 s[0:1], s[0:1], 1
	v_mov_b32_e32 v28, s1
	v_add_co_u32_e32 v50, vcc, s0, v1
	v_addc_co_u32_e32 v51, vcc, v2, v28, vcc
	global_load_ushort v35, v[36:37], off
	global_load_ushort v34, v[38:39], off
	;; [unrolled: 1-line block ×8, first 2 shown]
	s_cmpk_lt_u32 s38, 0x2001
	v_mov_b32_e32 v67, 0
	v_mov_b32_e32 v66, 0
	;; [unrolled: 1-line block ×32, first 2 shown]
	s_cbranch_scc1 .LBB116_12
; %bb.11:
	s_cmpk_lt_u32 s38, 0x2101
	s_cselect_b32 s0, s11, 0x1080
	s_ashr_i32 s1, s0, 31
	v_add_co_u32_e32 v36, vcc, 0x2000, v1
	s_lshl_b64 s[0:1], s[0:1], 1
	v_addc_co_u32_e32 v37, vcc, 0, v2, vcc
	s_cmpk_lt_u32 s38, 0x2201
	v_add_co_u32_e32 v38, vcc, s0, v1
	s_cselect_b32 s0, s11, 0x1100
	v_mov_b32_e32 v39, s1
	s_ashr_i32 s1, s0, 31
	s_lshl_b64 s[0:1], s[0:1], 1
	v_addc_co_u32_e32 v39, vcc, v2, v39, vcc
	s_cmpk_lt_u32 s38, 0x2301
	v_add_co_u32_e32 v40, vcc, s0, v1
	s_cselect_b32 s0, s11, 0x1180
	v_mov_b32_e32 v41, s1
	s_ashr_i32 s1, s0, 31
	s_lshl_b64 s[0:1], s[0:1], 1
	v_addc_co_u32_e32 v41, vcc, v2, v41, vcc
	s_cmpk_lt_u32 s38, 0x2401
	v_add_co_u32_e32 v42, vcc, s0, v1
	s_cselect_b32 s0, s11, 0x1200
	v_mov_b32_e32 v43, s1
	s_ashr_i32 s1, s0, 31
	s_lshl_b64 s[0:1], s[0:1], 1
	v_addc_co_u32_e32 v43, vcc, v2, v43, vcc
	s_cmpk_lt_u32 s38, 0x2501
	v_add_co_u32_e32 v44, vcc, s0, v1
	s_cselect_b32 s0, s11, 0x1280
	v_mov_b32_e32 v45, s1
	s_ashr_i32 s1, s0, 31
	s_lshl_b64 s[0:1], s[0:1], 1
	v_addc_co_u32_e32 v45, vcc, v2, v45, vcc
	s_cmpk_lt_u32 s38, 0x2601
	v_add_co_u32_e32 v46, vcc, s0, v1
	s_cselect_b32 s0, s11, 0x1300
	v_mov_b32_e32 v47, s1
	s_ashr_i32 s1, s0, 31
	s_lshl_b64 s[0:1], s[0:1], 1
	v_addc_co_u32_e32 v47, vcc, v2, v47, vcc
	s_cmpk_lt_u32 s38, 0x2701
	v_add_co_u32_e32 v48, vcc, s0, v1
	s_cselect_b32 s0, s11, 0x1380
	v_mov_b32_e32 v49, s1
	s_ashr_i32 s1, s0, 31
	s_lshl_b64 s[0:1], s[0:1], 1
	v_addc_co_u32_e32 v49, vcc, v2, v49, vcc
	s_cmpk_lt_u32 s38, 0x2801
	v_add_co_u32_e32 v50, vcc, s0, v1
	s_cselect_b32 s0, s11, 0x1400
	v_mov_b32_e32 v51, s1
	s_ashr_i32 s1, s0, 31
	s_lshl_b64 s[0:1], s[0:1], 1
	v_addc_co_u32_e32 v51, vcc, v2, v51, vcc
	s_cmpk_lt_u32 s38, 0x2901
	global_load_ushort v52, v[36:37], off
	global_load_ushort v53, v[38:39], off
	global_load_ushort v54, v[40:41], off
	global_load_ushort v55, v[42:43], off
	global_load_ushort v56, v[44:45], off
	global_load_ushort v57, v[46:47], off
	global_load_ushort v58, v[48:49], off
	global_load_ushort v59, v[50:51], off
	v_add_co_u32_e32 v36, vcc, s0, v1
	s_cselect_b32 s0, s11, 0x1480
	v_mov_b32_e32 v37, s1
	s_ashr_i32 s1, s0, 31
	s_lshl_b64 s[0:1], s[0:1], 1
	v_addc_co_u32_e32 v37, vcc, v2, v37, vcc
	s_cmpk_lt_u32 s38, 0x2a01
	v_add_co_u32_e32 v38, vcc, s0, v1
	s_cselect_b32 s0, s11, 0x1500
	v_mov_b32_e32 v39, s1
	s_ashr_i32 s1, s0, 31
	s_lshl_b64 s[0:1], s[0:1], 1
	v_addc_co_u32_e32 v39, vcc, v2, v39, vcc
	s_cmpk_lt_u32 s38, 0x2b01
	v_add_co_u32_e32 v40, vcc, s0, v1
	s_cselect_b32 s0, s11, 0x1580
	v_mov_b32_e32 v41, s1
	s_ashr_i32 s1, s0, 31
	s_lshl_b64 s[0:1], s[0:1], 1
	v_addc_co_u32_e32 v41, vcc, v2, v41, vcc
	s_cmpk_lt_u32 s38, 0x2c01
	v_add_co_u32_e32 v42, vcc, s0, v1
	s_cselect_b32 s0, s11, 0x1600
	v_mov_b32_e32 v43, s1
	s_ashr_i32 s1, s0, 31
	s_lshl_b64 s[0:1], s[0:1], 1
	v_addc_co_u32_e32 v43, vcc, v2, v43, vcc
	s_cmpk_lt_u32 s38, 0x2d01
	v_add_co_u32_e32 v44, vcc, s0, v1
	s_cselect_b32 s0, s11, 0x1680
	v_mov_b32_e32 v45, s1
	s_ashr_i32 s1, s0, 31
	s_lshl_b64 s[0:1], s[0:1], 1
	v_addc_co_u32_e32 v45, vcc, v2, v45, vcc
	s_cmpk_lt_u32 s38, 0x2e01
	v_add_co_u32_e32 v46, vcc, s0, v1
	s_cselect_b32 s0, s11, 0x1700
	v_mov_b32_e32 v47, s1
	s_ashr_i32 s1, s0, 31
	s_lshl_b64 s[0:1], s[0:1], 1
	v_addc_co_u32_e32 v47, vcc, v2, v47, vcc
	s_cmpk_lt_u32 s38, 0x2f01
	v_add_co_u32_e32 v48, vcc, s0, v1
	s_cselect_b32 s0, s11, 0x1780
	v_mov_b32_e32 v49, s1
	s_ashr_i32 s1, s0, 31
	s_lshl_b64 s[0:1], s[0:1], 1
	v_addc_co_u32_e32 v49, vcc, v2, v49, vcc
	s_cmpk_lt_u32 s38, 0x3001
	v_add_co_u32_e32 v50, vcc, s0, v1
	s_cselect_b32 s0, s11, 0x1800
	v_mov_b32_e32 v51, s1
	s_ashr_i32 s1, s0, 31
	s_lshl_b64 s[0:1], s[0:1], 1
	v_addc_co_u32_e32 v51, vcc, v2, v51, vcc
	s_cmpk_lt_u32 s38, 0x3101
	global_load_ushort v68, v[36:37], off
	global_load_ushort v69, v[38:39], off
	global_load_ushort v70, v[40:41], off
	global_load_ushort v71, v[42:43], off
	global_load_ushort v72, v[44:45], off
	global_load_ushort v73, v[46:47], off
	global_load_ushort v74, v[48:49], off
	global_load_ushort v75, v[50:51], off
	v_add_co_u32_e32 v36, vcc, s0, v1
	s_cselect_b32 s0, s11, 0x1880
	v_mov_b32_e32 v37, s1
	s_ashr_i32 s1, s0, 31
	;; [unrolled: 64-line block ×3, first 2 shown]
	s_lshl_b64 s[0:1], s[0:1], 1
	v_addc_co_u32_e32 v37, vcc, v2, v37, vcc
	s_cmpk_lt_u32 s38, 0x3a01
	v_add_co_u32_e32 v38, vcc, s0, v1
	s_cselect_b32 s0, s11, 0x1d00
	v_mov_b32_e32 v39, s1
	s_ashr_i32 s1, s0, 31
	s_lshl_b64 s[0:1], s[0:1], 1
	v_addc_co_u32_e32 v39, vcc, v2, v39, vcc
	s_cmpk_lt_u32 s38, 0x3b01
	v_add_co_u32_e32 v40, vcc, s0, v1
	s_cselect_b32 s0, s11, 0x1d80
	v_mov_b32_e32 v41, s1
	s_ashr_i32 s1, s0, 31
	;; [unrolled: 7-line block ×6, first 2 shown]
	v_addc_co_u32_e32 v49, vcc, v2, v49, vcc
	s_lshl_b64 s[0:1], s[0:1], 1
	v_mov_b32_e32 v51, s1
	v_add_co_u32_e32 v50, vcc, s0, v1
	v_addc_co_u32_e32 v51, vcc, v2, v51, vcc
	global_load_ushort v84, v[36:37], off
	global_load_ushort v85, v[38:39], off
	;; [unrolled: 1-line block ×8, first 2 shown]
	s_waitcnt vmcnt(31)
	v_cvt_f32_f16_e32 v67, v52
	s_waitcnt vmcnt(30)
	v_cvt_f32_f16_e32 v66, v53
	;; [unrolled: 2-line block ×32, first 2 shown]
.LBB116_12:
	ds_read_b128 v[68:71], v3
	s_load_dwordx2 s[0:1], s[4:5], 0x0
	s_load_dwordx2 s[2:3], s[4:5], 0x38
	ds_read_b128 v[72:75], v3 offset:16
	ds_read_b128 v[76:79], v3 offset:32
	;; [unrolled: 1-line block ×3, first 2 shown]
	s_and_b64 vcc, exec, s[8:9]
	s_waitcnt vmcnt(15) lgkmcnt(0)
	v_fma_mix_f32 v4, v68, v4, 0 op_sel_hi:[0,1,0]
	s_waitcnt vmcnt(14)
	v_fma_mix_f32 v4, v69, v5, v4 op_sel_hi:[0,1,0]
	s_waitcnt vmcnt(13)
	;; [unrolled: 2-line block ×15, first 2 shown]
	v_fma_mix_f32 v4, v83, v19, v4 op_sel_hi:[0,1,0]
	s_cbranch_vccz .LBB116_15
; %bb.13:
	ds_read_b128 v[6:9], v3 offset:64
	ds_read_b128 v[10:13], v3 offset:80
	;; [unrolled: 1-line block ×4, first 2 shown]
	s_cmpk_lt_u32 s38, 0x2001
	s_waitcnt lgkmcnt(3)
	v_fma_mix_f32 v3, v6, v27, v4 op_sel_hi:[0,1,0]
	v_fma_mix_f32 v3, v7, v26, v3 op_sel_hi:[0,1,0]
	v_fma_mix_f32 v3, v8, v25, v3 op_sel_hi:[0,1,0]
	v_fma_mix_f32 v3, v9, v24, v3 op_sel_hi:[0,1,0]
	s_waitcnt lgkmcnt(2)
	v_fma_mix_f32 v3, v10, v23, v3 op_sel_hi:[0,1,0]
	v_fma_mix_f32 v3, v11, v22, v3 op_sel_hi:[0,1,0]
	v_fma_mix_f32 v3, v12, v20, v3 op_sel_hi:[0,1,0]
	v_fma_mix_f32 v3, v13, v21, v3 op_sel_hi:[0,1,0]
	;; [unrolled: 5-line block ×4, first 2 shown]
	s_cbranch_scc1 .LBB116_15
; %bb.14:
	v_mov_b32_e32 v3, 0
	ds_read_b128 v[6:9], v3 offset:128
	ds_read_b128 v[10:13], v3 offset:144
	ds_read_b128 v[14:17], v3 offset:160
	ds_read_b128 v[18:21], v3 offset:176
	s_waitcnt lgkmcnt(3)
	v_fmac_f32_e32 v4, v6, v67
	v_fmac_f32_e32 v4, v7, v66
	v_fmac_f32_e32 v4, v8, v65
	v_fmac_f32_e32 v4, v9, v64
	s_waitcnt lgkmcnt(2)
	v_fmac_f32_e32 v4, v10, v63
	v_fmac_f32_e32 v4, v11, v62
	v_fmac_f32_e32 v4, v12, v61
	v_fmac_f32_e32 v4, v13, v60
	;; [unrolled: 5-line block ×3, first 2 shown]
	ds_read_b128 v[6:9], v3 offset:192
	ds_read_b128 v[10:13], v3 offset:208
	s_waitcnt lgkmcnt(2)
	v_fmac_f32_e32 v4, v18, v55
	v_fmac_f32_e32 v4, v19, v54
	;; [unrolled: 1-line block ×4, first 2 shown]
	s_waitcnt lgkmcnt(1)
	v_fmac_f32_e32 v4, v6, v51
	v_fmac_f32_e32 v4, v7, v50
	;; [unrolled: 1-line block ×4, first 2 shown]
	ds_read_b128 v[6:9], v3 offset:224
	s_waitcnt lgkmcnt(1)
	v_fmac_f32_e32 v4, v10, v47
	v_fmac_f32_e32 v4, v11, v46
	;; [unrolled: 1-line block ×4, first 2 shown]
	ds_read_b128 v[10:13], v3 offset:240
	s_waitcnt lgkmcnt(1)
	v_fmac_f32_e32 v4, v6, v43
	v_fmac_f32_e32 v4, v7, v42
	;; [unrolled: 1-line block ×4, first 2 shown]
	s_waitcnt lgkmcnt(0)
	v_fmac_f32_e32 v4, v10, v39
	v_fmac_f32_e32 v4, v11, v38
	;; [unrolled: 1-line block ×4, first 2 shown]
.LBB116_15:
	s_movk_i32 s4, 0x3f80
	s_movk_i32 s5, 0x100
	s_mov_b32 s8, 64
	s_branch .LBB116_17
.LBB116_16:                             ;   in Loop: Header=BB116_17 Depth=1
	s_addk_i32 s4, 0x2000
	s_addk_i32 s5, 0x100
	s_add_i32 s8, s8, 64
	s_cmpk_eq_u32 s4, 0xbf80
	s_cbranch_scc1 .LBB116_19
.LBB116_17:                             ; =>This Inner Loop Header: Depth=1
	s_cmp_le_i32 s33, s8
	s_cbranch_scc1 .LBB116_16
; %bb.18:                               ;   in Loop: Header=BB116_17 Depth=1
	s_add_i32 s9, s4, 0xffffe080
	s_cmp_lt_i32 s9, s10
	s_cselect_b32 s12, s9, s11
	s_ashr_i32 s13, s12, 31
	s_lshl_b64 s[12:13], s[12:13], 1
	s_add_i32 s9, s4, 0xffffe100
	s_cmp_lt_i32 s9, s10
	v_add_co_u32_e32 v12, vcc, s12, v1
	s_cselect_b32 s12, s9, s11
	v_mov_b32_e32 v3, s13
	s_ashr_i32 s13, s12, 31
	s_lshl_b64 s[12:13], s[12:13], 1
	s_add_i32 s9, s4, 0xffffe180
	v_addc_co_u32_e32 v13, vcc, v2, v3, vcc
	s_cmp_lt_i32 s9, s10
	v_add_co_u32_e32 v14, vcc, s12, v1
	s_cselect_b32 s12, s9, s11
	v_mov_b32_e32 v3, s13
	s_ashr_i32 s13, s12, 31
	s_lshl_b64 s[12:13], s[12:13], 1
	s_add_i32 s9, s4, 0xffffe200
	v_addc_co_u32_e32 v15, vcc, v2, v3, vcc
	;; [unrolled: 8-line block ×8, first 2 shown]
	s_cmp_lt_i32 s9, s10
	global_load_ushort v3, v[12:13], off
	global_load_ushort v5, v[14:15], off
	;; [unrolled: 1-line block ×8, first 2 shown]
	v_add_co_u32_e32 v20, vcc, s12, v1
	s_cselect_b32 s12, s9, s11
	v_mov_b32_e32 v12, s13
	s_ashr_i32 s13, s12, 31
	s_lshl_b64 s[12:13], s[12:13], 1
	s_add_i32 s9, s4, 0xffffe580
	v_addc_co_u32_e32 v21, vcc, v2, v12, vcc
	s_cmp_lt_i32 s9, s10
	v_add_co_u32_e32 v22, vcc, s12, v1
	s_cselect_b32 s12, s9, s11
	v_mov_b32_e32 v12, s13
	s_ashr_i32 s13, s12, 31
	s_lshl_b64 s[12:13], s[12:13], 1
	s_add_i32 s9, s4, 0xffffe600
	v_addc_co_u32_e32 v23, vcc, v2, v12, vcc
	s_cmp_lt_i32 s9, s10
	;; [unrolled: 8-line block ×8, first 2 shown]
	global_load_ushort v15, v[20:21], off
	global_load_ushort v16, v[22:23], off
	;; [unrolled: 1-line block ×8, first 2 shown]
	v_add_co_u32_e32 v28, vcc, s12, v1
	s_cselect_b32 s12, s9, s11
	v_mov_b32_e32 v20, s13
	s_ashr_i32 s13, s12, 31
	s_lshl_b64 s[12:13], s[12:13], 1
	s_add_i32 s9, s4, 0xffffe980
	v_addc_co_u32_e32 v29, vcc, v2, v20, vcc
	s_cmp_lt_i32 s9, s10
	v_add_co_u32_e32 v30, vcc, s12, v1
	s_cselect_b32 s12, s9, s11
	v_mov_b32_e32 v20, s13
	s_ashr_i32 s13, s12, 31
	s_lshl_b64 s[12:13], s[12:13], 1
	s_add_i32 s9, s4, 0xffffea00
	v_addc_co_u32_e32 v31, vcc, v2, v20, vcc
	s_cmp_lt_i32 s9, s10
	v_add_co_u32_e32 v32, vcc, s12, v1
	s_cselect_b32 s12, s9, s11
	v_mov_b32_e32 v20, s13
	s_ashr_i32 s13, s12, 31
	s_lshl_b64 s[12:13], s[12:13], 1
	s_add_i32 s9, s4, 0xffffea80
	v_addc_co_u32_e32 v33, vcc, v2, v20, vcc
	s_cmp_lt_i32 s9, s10
	v_add_co_u32_e32 v34, vcc, s12, v1
	s_cselect_b32 s12, s9, s11
	v_mov_b32_e32 v20, s13
	s_ashr_i32 s13, s12, 31
	s_lshl_b64 s[12:13], s[12:13], 1
	s_add_i32 s9, s4, 0xffffeb00
	v_addc_co_u32_e32 v35, vcc, v2, v20, vcc
	s_cmp_lt_i32 s9, s10
	v_add_co_u32_e32 v36, vcc, s12, v1
	s_cselect_b32 s12, s9, s11
	v_mov_b32_e32 v20, s13
	s_ashr_i32 s13, s12, 31
	s_lshl_b64 s[12:13], s[12:13], 1
	s_add_i32 s9, s4, 0xffffeb80
	v_addc_co_u32_e32 v37, vcc, v2, v20, vcc
	s_cmp_lt_i32 s9, s10
	v_add_co_u32_e32 v38, vcc, s12, v1
	s_cselect_b32 s12, s9, s11
	v_mov_b32_e32 v20, s13
	s_ashr_i32 s13, s12, 31
	s_lshl_b64 s[12:13], s[12:13], 1
	s_add_i32 s9, s4, 0xffffec00
	v_addc_co_u32_e32 v39, vcc, v2, v20, vcc
	s_cmp_lt_i32 s9, s10
	v_add_co_u32_e32 v40, vcc, s12, v1
	s_cselect_b32 s12, s9, s11
	v_mov_b32_e32 v20, s13
	s_ashr_i32 s13, s12, 31
	s_lshl_b64 s[12:13], s[12:13], 1
	s_add_i32 s9, s4, 0xffffec80
	v_addc_co_u32_e32 v41, vcc, v2, v20, vcc
	s_cmp_lt_i32 s9, s10
	v_add_co_u32_e32 v42, vcc, s12, v1
	s_cselect_b32 s12, s9, s11
	v_mov_b32_e32 v20, s13
	s_ashr_i32 s13, s12, 31
	s_lshl_b64 s[12:13], s[12:13], 1
	s_add_i32 s9, s4, 0xffffed00
	v_addc_co_u32_e32 v43, vcc, v2, v20, vcc
	s_cmp_lt_i32 s9, s10
	global_load_ushort v23, v[28:29], off
	global_load_ushort v24, v[30:31], off
	;; [unrolled: 1-line block ×8, first 2 shown]
	v_add_co_u32_e32 v36, vcc, s12, v1
	s_cselect_b32 s12, s9, s11
	v_mov_b32_e32 v28, s13
	s_ashr_i32 s13, s12, 31
	s_lshl_b64 s[12:13], s[12:13], 1
	s_add_i32 s9, s4, 0xffffed80
	v_addc_co_u32_e32 v37, vcc, v2, v28, vcc
	s_cmp_lt_i32 s9, s10
	v_add_co_u32_e32 v38, vcc, s12, v1
	s_cselect_b32 s12, s9, s11
	v_mov_b32_e32 v28, s13
	s_ashr_i32 s13, s12, 31
	s_lshl_b64 s[12:13], s[12:13], 1
	s_add_i32 s9, s4, 0xffffee00
	v_addc_co_u32_e32 v39, vcc, v2, v28, vcc
	s_cmp_lt_i32 s9, s10
	;; [unrolled: 8-line block ×8, first 2 shown]
	global_load_ushort v31, v[36:37], off
	global_load_ushort v32, v[38:39], off
	global_load_ushort v33, v[40:41], off
	global_load_ushort v34, v[42:43], off
	global_load_ushort v35, v[44:45], off
	global_load_ushort v28, v[46:47], off
	global_load_ushort v29, v[48:49], off
	global_load_ushort v30, v[50:51], off
	v_add_co_u32_e32 v36, vcc, s12, v1
	s_cselect_b32 s12, s9, s11
	v_mov_b32_e32 v37, s13
	s_ashr_i32 s13, s12, 31
	s_lshl_b64 s[12:13], s[12:13], 1
	s_add_i32 s9, s4, 0xfffff180
	v_addc_co_u32_e32 v37, vcc, v2, v37, vcc
	s_cmp_lt_i32 s9, s10
	v_add_co_u32_e32 v38, vcc, s12, v1
	s_cselect_b32 s12, s9, s11
	v_mov_b32_e32 v39, s13
	s_ashr_i32 s13, s12, 31
	s_lshl_b64 s[12:13], s[12:13], 1
	s_add_i32 s9, s4, 0xfffff200
	v_addc_co_u32_e32 v39, vcc, v2, v39, vcc
	s_cmp_lt_i32 s9, s10
	;; [unrolled: 8-line block ×8, first 2 shown]
	global_load_ushort v52, v[36:37], off
	global_load_ushort v53, v[38:39], off
	;; [unrolled: 1-line block ×8, first 2 shown]
	v_add_co_u32_e32 v36, vcc, s12, v1
	s_cselect_b32 s12, s9, s11
	v_mov_b32_e32 v37, s13
	s_ashr_i32 s13, s12, 31
	s_lshl_b64 s[12:13], s[12:13], 1
	s_add_i32 s9, s4, 0xfffff580
	v_addc_co_u32_e32 v37, vcc, v2, v37, vcc
	s_cmp_lt_i32 s9, s10
	v_add_co_u32_e32 v38, vcc, s12, v1
	s_cselect_b32 s12, s9, s11
	v_mov_b32_e32 v39, s13
	s_ashr_i32 s13, s12, 31
	s_lshl_b64 s[12:13], s[12:13], 1
	s_add_i32 s9, s4, 0xfffff600
	v_addc_co_u32_e32 v39, vcc, v2, v39, vcc
	s_cmp_lt_i32 s9, s10
	;; [unrolled: 8-line block ×8, first 2 shown]
	global_load_ushort v60, v[36:37], off
	global_load_ushort v61, v[38:39], off
	global_load_ushort v62, v[40:41], off
	global_load_ushort v63, v[42:43], off
	global_load_ushort v64, v[44:45], off
	global_load_ushort v65, v[46:47], off
	global_load_ushort v66, v[48:49], off
	global_load_ushort v67, v[50:51], off
	v_add_co_u32_e32 v36, vcc, s12, v1
	s_cselect_b32 s12, s9, s11
	v_mov_b32_e32 v37, s13
	s_ashr_i32 s13, s12, 31
	s_lshl_b64 s[12:13], s[12:13], 1
	s_add_i32 s9, s4, 0xfffff980
	v_addc_co_u32_e32 v37, vcc, v2, v37, vcc
	s_cmp_lt_i32 s9, s10
	v_add_co_u32_e32 v38, vcc, s12, v1
	s_cselect_b32 s12, s9, s11
	v_mov_b32_e32 v39, s13
	s_ashr_i32 s13, s12, 31
	s_lshl_b64 s[12:13], s[12:13], 1
	s_add_i32 s9, s4, 0xfffffa00
	v_addc_co_u32_e32 v39, vcc, v2, v39, vcc
	s_cmp_lt_i32 s9, s10
	;; [unrolled: 8-line block ×8, first 2 shown]
	global_load_ushort v68, v[36:37], off
	global_load_ushort v69, v[38:39], off
	;; [unrolled: 1-line block ×8, first 2 shown]
	v_add_co_u32_e32 v36, vcc, s12, v1
	s_cselect_b32 s12, s9, s11
	v_mov_b32_e32 v37, s13
	s_ashr_i32 s13, s12, 31
	s_lshl_b64 s[12:13], s[12:13], 1
	s_add_i32 s9, s4, 0xfffffd80
	v_addc_co_u32_e32 v37, vcc, v2, v37, vcc
	s_cmp_lt_i32 s9, s10
	v_add_co_u32_e32 v38, vcc, s12, v1
	s_cselect_b32 s12, s9, s11
	v_mov_b32_e32 v39, s13
	s_ashr_i32 s13, s12, 31
	s_lshl_b64 s[12:13], s[12:13], 1
	s_add_i32 s9, s4, 0xfffffe00
	v_addc_co_u32_e32 v39, vcc, v2, v39, vcc
	s_cmp_lt_i32 s9, s10
	;; [unrolled: 8-line block ×5, first 2 shown]
	v_add_co_u32_e32 v46, vcc, s12, v1
	s_cselect_b32 s12, s9, s11
	v_mov_b32_e32 v47, s13
	s_ashr_i32 s13, s12, 31
	s_lshl_b64 s[12:13], s[12:13], 1
	v_addc_co_u32_e32 v47, vcc, v2, v47, vcc
	s_cmp_lt_i32 s4, s10
	v_add_co_u32_e32 v48, vcc, s12, v1
	s_cselect_b32 s12, s4, s11
	v_mov_b32_e32 v49, s13
	s_ashr_i32 s13, s12, 31
	v_addc_co_u32_e32 v49, vcc, v2, v49, vcc
	s_lshl_b64 s[12:13], s[12:13], 1
	v_mov_b32_e32 v51, s13
	v_add_co_u32_e32 v50, vcc, s12, v1
	v_addc_co_u32_e32 v51, vcc, v2, v51, vcc
	global_load_ushort v76, v[36:37], off
	global_load_ushort v77, v[38:39], off
	;; [unrolled: 1-line block ×8, first 2 shown]
	v_mov_b32_e32 v84, s5
	ds_read_b128 v[36:39], v84
	ds_read_b128 v[40:43], v84 offset:16
	ds_read_b128 v[44:47], v84 offset:32
	;; [unrolled: 1-line block ×3, first 2 shown]
	s_waitcnt vmcnt(62) lgkmcnt(3)
	v_fma_mix_f32 v3, v36, v3, v4 op_sel_hi:[0,1,0]
	v_fma_mix_f32 v3, v37, v5, v3 op_sel_hi:[0,1,0]
	s_waitcnt vmcnt(61)
	v_fma_mix_f32 v3, v38, v6, v3 op_sel_hi:[0,1,0]
	s_waitcnt vmcnt(60)
	v_fma_mix_f32 v3, v39, v7, v3 op_sel_hi:[0,1,0]
	s_waitcnt vmcnt(59) lgkmcnt(2)
	v_fma_mix_f32 v3, v40, v8, v3 op_sel_hi:[0,1,0]
	s_waitcnt vmcnt(58)
	v_fma_mix_f32 v3, v41, v9, v3 op_sel_hi:[0,1,0]
	s_waitcnt vmcnt(57)
	v_fma_mix_f32 v3, v42, v10, v3 op_sel_hi:[0,1,0]
	s_waitcnt vmcnt(56)
	v_fma_mix_f32 v3, v43, v11, v3 op_sel_hi:[0,1,0]
	s_waitcnt vmcnt(55) lgkmcnt(1)
	v_fma_mix_f32 v3, v44, v15, v3 op_sel_hi:[0,1,0]
	s_waitcnt vmcnt(54)
	v_fma_mix_f32 v3, v45, v16, v3 op_sel_hi:[0,1,0]
	s_waitcnt vmcnt(53)
	;; [unrolled: 2-line block ×3, first 2 shown]
	v_fma_mix_f32 v3, v47, v18, v3 op_sel_hi:[0,1,0]
	ds_read_b128 v[4:7], v84 offset:64
	ds_read_b128 v[8:11], v84 offset:80
	s_waitcnt vmcnt(51) lgkmcnt(2)
	v_fma_mix_f32 v3, v48, v19, v3 op_sel_hi:[0,1,0]
	s_waitcnt vmcnt(50)
	v_fma_mix_f32 v3, v49, v12, v3 op_sel_hi:[0,1,0]
	s_waitcnt vmcnt(49)
	;; [unrolled: 2-line block ×3, first 2 shown]
	v_fma_mix_f32 v3, v51, v14, v3 op_sel_hi:[0,1,0]
	s_waitcnt vmcnt(47) lgkmcnt(1)
	v_fma_mix_f32 v3, v4, v23, v3 op_sel_hi:[0,1,0]
	s_waitcnt vmcnt(46)
	v_fma_mix_f32 v3, v5, v24, v3 op_sel_hi:[0,1,0]
	s_waitcnt vmcnt(45)
	v_fma_mix_f32 v3, v6, v25, v3 op_sel_hi:[0,1,0]
	s_waitcnt vmcnt(44)
	v_fma_mix_f32 v3, v7, v26, v3 op_sel_hi:[0,1,0]
	ds_read_b128 v[4:7], v84 offset:96
	s_waitcnt vmcnt(43) lgkmcnt(1)
	v_fma_mix_f32 v3, v8, v27, v3 op_sel_hi:[0,1,0]
	s_waitcnt vmcnt(42)
	v_fma_mix_f32 v3, v9, v20, v3 op_sel_hi:[0,1,0]
	s_waitcnt vmcnt(41)
	v_fma_mix_f32 v3, v10, v21, v3 op_sel_hi:[0,1,0]
	s_waitcnt vmcnt(40)
	v_fma_mix_f32 v3, v11, v22, v3 op_sel_hi:[0,1,0]
	ds_read_b128 v[8:11], v84 offset:112
	;; [unrolled: 9-line block ×10, first 2 shown]
	s_waitcnt vmcnt(7) lgkmcnt(1)
	v_fma_mix_f32 v3, v4, v76, v3 op_sel_hi:[0,1,0]
	s_waitcnt vmcnt(6)
	v_fma_mix_f32 v3, v5, v77, v3 op_sel_hi:[0,1,0]
	s_waitcnt vmcnt(5)
	;; [unrolled: 2-line block ×3, first 2 shown]
	v_fma_mix_f32 v3, v7, v79, v3 op_sel_hi:[0,1,0]
	s_waitcnt vmcnt(3) lgkmcnt(0)
	v_fma_mix_f32 v3, v8, v80, v3 op_sel_hi:[0,1,0]
	s_waitcnt vmcnt(2)
	v_fma_mix_f32 v3, v9, v81, v3 op_sel_hi:[0,1,0]
	s_waitcnt vmcnt(1)
	;; [unrolled: 2-line block ×3, first 2 shown]
	v_fma_mix_f32 v4, v11, v83, v3 op_sel_hi:[0,1,0]
	s_branch .LBB116_16
.LBB116_19:
	v_mov_b32_e32 v1, 0
	ds_read_b32 v2, v1 offset:1280
	s_cmp_lg_u64 s[2:3], 0
	s_cbranch_scc0 .LBB116_24
; %bb.20:
	s_load_dword s4, s[2:3], 0x0
	s_waitcnt lgkmcnt(0)
	v_div_scale_f32 v1, s[2:3], s4, s4, 1.0
	v_rcp_f32_e32 v3, v1
	v_div_scale_f32 v5, vcc, 1.0, s4, 1.0
	v_fma_f32 v6, -v1, v3, 1.0
	v_fmac_f32_e32 v3, v6, v3
	v_mul_f32_e32 v6, v5, v3
	v_fma_f32 v7, -v1, v6, v5
	v_fmac_f32_e32 v6, v7, v3
	v_fma_f32 v1, -v1, v6, v5
	v_div_fmas_f32 v1, v1, v3, v6
	v_div_fixup_f32 v1, v1, s4, 1.0
	s_andn2_b64 vcc, exec, s[26:27]
	s_cbranch_vccnz .LBB116_22
.LBB116_21:
	s_add_u32 s2, s24, s28
	s_addc_u32 s3, s25, s29
	s_load_dword s14, s[2:3], 0x0
	s_mov_b32 s15, 0
.LBB116_22:
	s_waitcnt lgkmcnt(0)
	v_add_f32_e32 v2, 0x358637bd, v2
	v_div_scale_f32 v3, s[2:3], v2, v2, 1.0
	v_rcp_f32_e32 v5, v3
	v_div_scale_f32 v6, vcc, 1.0, v2, 1.0
	s_mul_i32 s2, s7, s15
	v_fma_f32 v7, -v3, v5, 1.0
	v_fmac_f32_e32 v5, v7, v5
	v_mul_f32_e32 v7, v6, v5
	v_fma_f32 v8, -v3, v7, v6
	s_mul_hi_u32 s3, s7, s14
	v_fmac_f32_e32 v7, v8, v5
	s_add_i32 s3, s3, s2
	s_mul_i32 s2, s7, s14
	v_fma_f32 v3, -v3, v7, v6
	s_lshl_b64 s[2:3], s[2:3], 8
	v_div_fmas_f32 v3, v3, v5, v7
	s_add_u32 s2, s0, s2
	s_mov_b32 s7, 0
	v_div_fixup_f32 v2, v3, v2, 1.0
	s_addc_u32 s3, s1, s3
	s_lshl_b64 s[0:1], s[6:7], 8
	v_mul_f32_e32 v2, v4, v2
	s_add_u32 s0, s2, s0
	s_addc_u32 s1, s3, s1
	v_fma_mixlo_f16 v1, v2, v1, 0
	global_store_short v0, v1, s[0:1]
	s_endpgm
.LBB116_23:
	s_mov_b64 s[2:3], 0
	s_branch .LBB116_2
.LBB116_24:
	v_mov_b32_e32 v1, 1.0
	s_andn2_b64 vcc, exec, s[26:27]
	s_cbranch_vccz .LBB116_21
	s_branch .LBB116_22
	.section	.rodata,"a",@progbits
	.p2align	6, 0x0
	.amdhsa_kernel _Z35paged_attention_ll4mi_reduce_kernelIDF16_DF16_Li128ELi128ELi256ELi5EEvPT0_PKfS3_PKT_PKiS8_iS3_
		.amdhsa_group_segment_fixed_size 1284
		.amdhsa_private_segment_fixed_size 0
		.amdhsa_kernarg_size 320
		.amdhsa_user_sgpr_count 6
		.amdhsa_user_sgpr_private_segment_buffer 1
		.amdhsa_user_sgpr_dispatch_ptr 0
		.amdhsa_user_sgpr_queue_ptr 0
		.amdhsa_user_sgpr_kernarg_segment_ptr 1
		.amdhsa_user_sgpr_dispatch_id 0
		.amdhsa_user_sgpr_flat_scratch_init 0
		.amdhsa_user_sgpr_kernarg_preload_length 0
		.amdhsa_user_sgpr_kernarg_preload_offset 0
		.amdhsa_user_sgpr_private_segment_size 0
		.amdhsa_uses_dynamic_stack 0
		.amdhsa_system_sgpr_private_segment_wavefront_offset 0
		.amdhsa_system_sgpr_workgroup_id_x 1
		.amdhsa_system_sgpr_workgroup_id_y 1
		.amdhsa_system_sgpr_workgroup_id_z 0
		.amdhsa_system_sgpr_workgroup_info 0
		.amdhsa_system_vgpr_workitem_id 0
		.amdhsa_next_free_vgpr 92
		.amdhsa_next_free_sgpr 39
		.amdhsa_accum_offset 92
		.amdhsa_reserve_vcc 1
		.amdhsa_reserve_flat_scratch 0
		.amdhsa_float_round_mode_32 0
		.amdhsa_float_round_mode_16_64 0
		.amdhsa_float_denorm_mode_32 3
		.amdhsa_float_denorm_mode_16_64 3
		.amdhsa_dx10_clamp 1
		.amdhsa_ieee_mode 1
		.amdhsa_fp16_overflow 0
		.amdhsa_tg_split 0
		.amdhsa_exception_fp_ieee_invalid_op 0
		.amdhsa_exception_fp_denorm_src 0
		.amdhsa_exception_fp_ieee_div_zero 0
		.amdhsa_exception_fp_ieee_overflow 0
		.amdhsa_exception_fp_ieee_underflow 0
		.amdhsa_exception_fp_ieee_inexact 0
		.amdhsa_exception_int_div_zero 0
	.end_amdhsa_kernel
	.section	.text._Z35paged_attention_ll4mi_reduce_kernelIDF16_DF16_Li128ELi128ELi256ELi5EEvPT0_PKfS3_PKT_PKiS8_iS3_,"axG",@progbits,_Z35paged_attention_ll4mi_reduce_kernelIDF16_DF16_Li128ELi128ELi256ELi5EEvPT0_PKfS3_PKT_PKiS8_iS3_,comdat
.Lfunc_end116:
	.size	_Z35paged_attention_ll4mi_reduce_kernelIDF16_DF16_Li128ELi128ELi256ELi5EEvPT0_PKfS3_PKT_PKiS8_iS3_, .Lfunc_end116-_Z35paged_attention_ll4mi_reduce_kernelIDF16_DF16_Li128ELi128ELi256ELi5EEvPT0_PKfS3_PKT_PKiS8_iS3_
                                        ; -- End function
	.section	.AMDGPU.csdata,"",@progbits
; Kernel info:
; codeLenInByte = 9692
; NumSgprs: 43
; NumVgprs: 92
; NumAgprs: 0
; TotalNumVgprs: 92
; ScratchSize: 0
; MemoryBound: 0
; FloatMode: 240
; IeeeMode: 1
; LDSByteSize: 1284 bytes/workgroup (compile time only)
; SGPRBlocks: 5
; VGPRBlocks: 11
; NumSGPRsForWavesPerEU: 43
; NumVGPRsForWavesPerEU: 92
; AccumOffset: 92
; Occupancy: 5
; WaveLimiterHint : 1
; COMPUTE_PGM_RSRC2:SCRATCH_EN: 0
; COMPUTE_PGM_RSRC2:USER_SGPR: 6
; COMPUTE_PGM_RSRC2:TRAP_HANDLER: 0
; COMPUTE_PGM_RSRC2:TGID_X_EN: 1
; COMPUTE_PGM_RSRC2:TGID_Y_EN: 1
; COMPUTE_PGM_RSRC2:TGID_Z_EN: 0
; COMPUTE_PGM_RSRC2:TIDIG_COMP_CNT: 0
; COMPUTE_PGM_RSRC3_GFX90A:ACCUM_OFFSET: 22
; COMPUTE_PGM_RSRC3_GFX90A:TG_SPLIT: 0
	.section	.text._Z35paged_attention_ll4mi_reduce_kernelIDF16_DF16_Li128ELi128ELi256ELi6EEvPT0_PKfS3_PKT_PKiS8_iS3_,"axG",@progbits,_Z35paged_attention_ll4mi_reduce_kernelIDF16_DF16_Li128ELi128ELi256ELi6EEvPT0_PKfS3_PKT_PKiS8_iS3_,comdat
	.protected	_Z35paged_attention_ll4mi_reduce_kernelIDF16_DF16_Li128ELi128ELi256ELi6EEvPT0_PKfS3_PKT_PKiS8_iS3_ ; -- Begin function _Z35paged_attention_ll4mi_reduce_kernelIDF16_DF16_Li128ELi128ELi256ELi6EEvPT0_PKfS3_PKT_PKiS8_iS3_
	.globl	_Z35paged_attention_ll4mi_reduce_kernelIDF16_DF16_Li128ELi128ELi256ELi6EEvPT0_PKfS3_PKT_PKiS8_iS3_
	.p2align	8
	.type	_Z35paged_attention_ll4mi_reduce_kernelIDF16_DF16_Li128ELi128ELi256ELi6EEvPT0_PKfS3_PKT_PKiS8_iS3_,@function
_Z35paged_attention_ll4mi_reduce_kernelIDF16_DF16_Li128ELi128ELi256ELi6EEvPT0_PKfS3_PKT_PKiS8_iS3_: ; @_Z35paged_attention_ll4mi_reduce_kernelIDF16_DF16_Li128ELi128ELi256ELi6EEvPT0_PKfS3_PKT_PKiS8_iS3_
; %bb.0:
	s_load_dwordx2 s[26:27], s[4:5], 0x28
	s_mov_b32 s24, s7
	s_mov_b64 s[0:1], 0
	s_waitcnt lgkmcnt(0)
	s_cmp_lg_u64 s[26:27], 0
	s_cselect_b64 s[28:29], -1, 0
	s_and_b64 vcc, exec, s[28:29]
	s_cbranch_vccz .LBB117_23
; %bb.1:
	s_add_i32 s2, s24, 1
	s_mov_b32 s3, 0
	s_lshl_b64 s[8:9], s[2:3], 2
	s_add_u32 s8, s26, s8
	s_mov_b32 s25, s3
	s_addc_u32 s9, s27, s9
	s_lshl_b64 s[2:3], s[24:25], 2
	s_add_u32 s2, s26, s2
	s_addc_u32 s3, s27, s3
	s_load_dword s7, s[8:9], 0x0
	s_load_dword s10, s[2:3], 0x0
	s_waitcnt lgkmcnt(0)
	s_sub_i32 s2, s7, s10
	s_cmp_eq_u32 s2, 1
	s_cselect_b64 s[2:3], -1, 0
	s_andn2_b64 vcc, exec, s[0:1]
	s_cbranch_vccnz .LBB117_3
.LBB117_2:
	s_mov_b32 s25, 0
	s_mov_b64 s[2:3], -1
.LBB117_3:
	s_andn2_b64 vcc, exec, s[2:3]
	s_cbranch_vccz .LBB117_5
; %bb.4:
	s_endpgm
.LBB117_5:
	s_load_dwordx4 s[16:19], s[4:5], 0x18
	s_load_dword s8, s[4:5], 0x30
	s_lshl_b64 s[30:31], s[24:25], 2
	v_cmp_lt_u32_e32 vcc, 63, v0
	s_waitcnt lgkmcnt(0)
	s_add_u32 s0, s18, s30
	s_addc_u32 s1, s19, s31
	s_load_dword s40, s[0:1], 0x0
	s_load_dword s7, s[4:5], 0x40
	s_mul_i32 s18, s6, s8
	s_mul_i32 s2, s24, s8
	s_waitcnt lgkmcnt(0)
	s_add_i32 s3, s40, 0xff
	s_ashr_i32 s0, s3, 31
	s_lshr_b32 s0, s0, 24
	s_add_i32 s3, s3, s0
	s_and_saveexec_b64 s[0:1], vcc
	s_xor_b64 s[0:1], exec, s[0:1]
	s_or_saveexec_b64 s[34:35], s[0:1]
	s_ashr_i32 s33, s3, 8
	v_mov_b32_e32 v1, s18
	s_mul_i32 s36, s2, s7
	s_xor_b64 exec, exec, s[34:35]
	s_cbranch_execz .LBB117_9
; %bb.6:
	s_add_i32 s0, s33, -1
	v_or_b32_e32 v3, 64, v0
	v_mov_b32_e32 v1, s0
	v_cmp_gt_u32_e64 s[10:11], s33, v3
	v_cndmask_b32_e64 v4, v1, v3, s[10:11]
	v_or_b32_e32 v3, 0x80, v0
	s_load_dwordx4 s[20:23], s[4:5], 0x8
	v_cmp_gt_u32_e64 s[8:9], s33, v3
	v_cndmask_b32_e64 v6, v1, v3, s[8:9]
	v_or_b32_e32 v3, 0xc0, v0
	v_cmp_gt_u32_e64 s[2:3], s33, v3
	s_mov_b32 s37, 0
	v_cndmask_b32_e64 v8, v1, v3, s[2:3]
	v_or_b32_e32 v3, 0x100, v0
	v_cmp_gt_u32_e64 s[0:1], s33, v3
	s_lshl_b64 s[38:39], s[36:37], 2
	s_mov_b32 s19, s37
	v_cmp_gt_u32_e64 s[12:13], s33, v0
	v_cndmask_b32_e64 v10, v1, v3, s[0:1]
	v_or_b32_e32 v3, 0x140, v0
	s_waitcnt lgkmcnt(0)
	s_add_u32 s14, s22, s38
	v_cndmask_b32_e64 v2, v1, v0, s[12:13]
	v_cmp_gt_u32_e32 vcc, s33, v3
	s_addc_u32 s15, s23, s39
	s_lshl_b64 s[22:23], s[18:19], 2
	v_cndmask_b32_e32 v12, v1, v3, vcc
	s_add_u32 s19, s14, s22
	v_ashrrev_i32_e32 v3, 31, v2
	s_addc_u32 s37, s15, s23
	v_lshlrev_b64 v[2:3], 2, v[2:3]
	v_mov_b32_e32 v1, s37
	v_add_co_u32_e64 v14, s[14:15], s19, v2
	v_ashrrev_i32_e32 v5, 31, v4
	v_addc_co_u32_e64 v15, s[14:15], v1, v3, s[14:15]
	v_lshlrev_b64 v[4:5], 2, v[4:5]
	v_add_co_u32_e64 v16, s[14:15], s19, v4
	v_ashrrev_i32_e32 v7, 31, v6
	v_addc_co_u32_e64 v17, s[14:15], v1, v5, s[14:15]
	v_lshlrev_b64 v[6:7], 2, v[6:7]
	v_add_co_u32_e64 v18, s[14:15], s19, v6
	v_ashrrev_i32_e32 v9, 31, v8
	v_addc_co_u32_e64 v19, s[14:15], v1, v7, s[14:15]
	v_lshlrev_b64 v[8:9], 2, v[8:9]
	v_add_co_u32_e64 v20, s[14:15], s19, v8
	v_ashrrev_i32_e32 v11, 31, v10
	v_addc_co_u32_e64 v21, s[14:15], v1, v9, s[14:15]
	v_lshlrev_b64 v[10:11], 2, v[10:11]
	v_add_co_u32_e64 v22, s[14:15], s19, v10
	v_ashrrev_i32_e32 v13, 31, v12
	v_addc_co_u32_e64 v23, s[14:15], v1, v11, s[14:15]
	v_lshlrev_b64 v[12:13], 2, v[12:13]
	v_add_co_u32_e64 v24, s[14:15], s19, v12
	v_addc_co_u32_e64 v25, s[14:15], v1, v13, s[14:15]
	global_load_dword v1, v[14:15], off
	global_load_dword v26, v[16:17], off
	;; [unrolled: 1-line block ×6, first 2 shown]
	v_mbcnt_lo_u32_b32 v14, -1, 0
	v_mbcnt_hi_u32_b32 v14, -1, v14
	v_and_b32_e32 v15, 64, v14
	v_xor_b32_e32 v16, 32, v14
	v_add_u32_e32 v15, 64, v15
	v_cmp_lt_i32_e64 s[14:15], v16, v15
	v_cndmask_b32_e64 v16, v14, v16, s[14:15]
	v_lshlrev_b32_e32 v16, 2, v16
	v_xor_b32_e32 v17, 16, v14
	v_cmp_lt_i32_e64 s[14:15], v17, v15
	v_cndmask_b32_e64 v17, v14, v17, s[14:15]
	v_lshlrev_b32_e32 v17, 2, v17
	v_xor_b32_e32 v18, 8, v14
	v_cmp_lt_i32_e64 s[14:15], v18, v15
	v_cndmask_b32_e64 v18, v14, v18, s[14:15]
	v_lshlrev_b32_e32 v18, 2, v18
	v_xor_b32_e32 v19, 4, v14
	v_cmp_lt_i32_e64 s[14:15], v19, v15
	v_cndmask_b32_e64 v19, v14, v19, s[14:15]
	s_add_u32 s14, s20, s38
	v_lshlrev_b32_e32 v19, 2, v19
	s_addc_u32 s15, s21, s39
	s_add_u32 s19, s14, s22
	s_addc_u32 s20, s15, s23
	v_mov_b32_e32 v22, s20
	v_add_co_u32_e64 v2, s[14:15], s19, v2
	v_addc_co_u32_e64 v3, s[14:15], v22, v3, s[14:15]
	global_load_dword v22, v[2:3], off
	v_mov_b32_e32 v3, s20
	s_mov_b32 s21, 0x42b17218
	s_waitcnt vmcnt(6)
	v_max_f32_e32 v21, v1, v1
	s_waitcnt vmcnt(5)
	v_max_f32_e32 v20, v26, v26
	v_max_f32_e32 v20, v21, v20
	s_waitcnt vmcnt(3)
	v_max3_f32 v20, v20, v27, v28
	s_waitcnt vmcnt(1)
	v_max3_f32 v20, v20, v29, v30
	ds_bpermute_b32 v21, v16, v20
	s_waitcnt lgkmcnt(0)
	v_max_f32_e32 v21, v21, v21
	v_max_f32_e32 v20, v20, v21
	ds_bpermute_b32 v21, v17, v20
	s_waitcnt lgkmcnt(0)
	v_max_f32_e32 v21, v21, v21
	v_max_f32_e32 v20, v20, v21
	;; [unrolled: 4-line block ×4, first 2 shown]
	v_xor_b32_e32 v2, 2, v14
	v_cmp_lt_i32_e64 s[14:15], v2, v15
	v_cndmask_b32_e64 v2, v14, v2, s[14:15]
	v_lshlrev_b32_e32 v21, 2, v2
	ds_bpermute_b32 v23, v21, v20
	v_add_co_u32_e64 v2, s[14:15], s19, v4
	v_addc_co_u32_e64 v3, s[14:15], v3, v5, s[14:15]
	global_load_dword v24, v[2:3], off
	s_waitcnt lgkmcnt(0)
	v_max_f32_e32 v2, v23, v23
	v_max_f32_e32 v4, v20, v2
	v_xor_b32_e32 v2, 1, v14
	v_cmp_lt_i32_e64 s[14:15], v2, v15
	v_cndmask_b32_e64 v2, v14, v2, s[14:15]
	v_lshlrev_b32_e32 v14, 2, v2
	v_mov_b32_e32 v3, s20
	v_add_co_u32_e64 v2, s[14:15], s19, v6
	v_addc_co_u32_e64 v3, s[14:15], v3, v7, s[14:15]
	global_load_dword v6, v[2:3], off
	ds_bpermute_b32 v5, v14, v4
	v_mov_b32_e32 v3, s20
	v_add_co_u32_e64 v2, s[14:15], s19, v8
	v_addc_co_u32_e64 v3, s[14:15], v3, v9, s[14:15]
	global_load_dword v7, v[2:3], off
	s_waitcnt lgkmcnt(0)
	v_max_f32_e32 v5, v5, v5
	v_max_f32_e32 v9, v4, v5
	v_sub_f32_e32 v1, v1, v9
	v_mov_b32_e32 v3, s20
	v_mov_b32_e32 v8, s20
	s_mov_b32 s20, 0x3fb8aa3b
	v_mul_f32_e32 v4, 0x3fb8aa3b, v1
	v_add_co_u32_e64 v2, s[14:15], s19, v10
	v_fma_f32 v5, v1, s20, -v4
	v_rndne_f32_e32 v10, v4
	v_fmac_f32_e32 v5, 0x32a5705f, v1
	v_sub_f32_e32 v4, v4, v10
	v_addc_co_u32_e64 v3, s[14:15], v3, v11, s[14:15]
	v_add_f32_e32 v4, v4, v5
	v_exp_f32_e32 v11, v4
	v_add_co_u32_e64 v4, s[14:15], s19, v12
	v_addc_co_u32_e64 v5, s[14:15], v8, v13, s[14:15]
	global_load_dword v8, v[2:3], off
	global_load_dword v12, v[4:5], off
	v_cvt_i32_f32_e32 v10, v10
	v_sub_f32_e32 v4, v26, v9
	v_mul_f32_e32 v5, 0x3fb8aa3b, v4
	s_mov_b32 s19, 0xc2ce8ed0
	v_ldexp_f32 v2, v11, v10
	v_fma_f32 v10, v4, s20, -v5
	v_rndne_f32_e32 v11, v5
	v_fmac_f32_e32 v10, 0x32a5705f, v4
	v_sub_f32_e32 v5, v5, v11
	v_add_f32_e32 v5, v5, v10
	v_cmp_ngt_f32_e64 s[14:15], s19, v1
	v_exp_f32_e32 v5, v5
	v_cvt_i32_f32_e32 v10, v11
	v_cndmask_b32_e64 v2, 0, v2, s[14:15]
	v_mov_b32_e32 v3, 0x7f800000
	v_cmp_nlt_f32_e64 s[14:15], s21, v1
	v_cndmask_b32_e64 v1, v3, v2, s[14:15]
	v_cndmask_b32_e64 v1, 0, v1, s[12:13]
	v_sub_f32_e32 v2, v27, v9
	s_waitcnt vmcnt(5)
	v_mul_f32_e32 v11, v22, v1
	v_ldexp_f32 v1, v5, v10
	v_mul_f32_e32 v5, 0x3fb8aa3b, v2
	v_fma_f32 v10, v2, s20, -v5
	v_rndne_f32_e32 v13, v5
	v_fmac_f32_e32 v10, 0x32a5705f, v2
	v_sub_f32_e32 v5, v5, v13
	v_add_f32_e32 v5, v5, v10
	v_cmp_ngt_f32_e64 s[12:13], s19, v4
	v_exp_f32_e32 v5, v5
	v_cvt_i32_f32_e32 v10, v13
	v_cndmask_b32_e64 v1, 0, v1, s[12:13]
	v_cmp_nlt_f32_e64 s[12:13], s21, v4
	v_cndmask_b32_e64 v1, v3, v1, s[12:13]
	v_cndmask_b32_e64 v1, 0, v1, s[10:11]
	v_cmp_ngt_f32_e64 s[10:11], s19, v2
	s_waitcnt vmcnt(4)
	v_mul_f32_e32 v4, v24, v1
	v_ldexp_f32 v1, v5, v10
	v_sub_f32_e32 v5, v28, v9
	v_mul_f32_e32 v10, 0x3fb8aa3b, v5
	v_fma_f32 v13, v5, s20, -v10
	v_rndne_f32_e32 v15, v10
	v_fmac_f32_e32 v13, 0x32a5705f, v5
	v_sub_f32_e32 v10, v10, v15
	v_add_f32_e32 v10, v10, v13
	v_exp_f32_e32 v10, v10
	v_cvt_i32_f32_e32 v13, v15
	v_cndmask_b32_e64 v1, 0, v1, s[10:11]
	v_cmp_nlt_f32_e64 s[10:11], s21, v2
	v_cndmask_b32_e64 v1, v3, v1, s[10:11]
	v_cndmask_b32_e64 v1, 0, v1, s[8:9]
	v_sub_f32_e32 v2, v29, v9
	s_waitcnt vmcnt(3)
	v_mul_f32_e32 v6, v6, v1
	v_ldexp_f32 v1, v10, v13
	v_mul_f32_e32 v10, 0x3fb8aa3b, v2
	v_fma_f32 v13, v2, s20, -v10
	v_rndne_f32_e32 v15, v10
	v_cmp_ngt_f32_e64 s[8:9], s19, v5
	v_fmac_f32_e32 v13, 0x32a5705f, v2
	v_sub_f32_e32 v10, v10, v15
	v_cndmask_b32_e64 v1, 0, v1, s[8:9]
	v_add_f32_e32 v10, v10, v13
	v_cmp_nlt_f32_e64 s[8:9], s21, v5
	v_exp_f32_e32 v10, v10
	v_cvt_i32_f32_e32 v13, v15
	v_cndmask_b32_e64 v1, v3, v1, s[8:9]
	v_cndmask_b32_e64 v1, 0, v1, s[2:3]
	s_waitcnt vmcnt(2)
	v_mul_f32_e32 v5, v7, v1
	v_sub_f32_e32 v7, v30, v9
	v_mul_f32_e32 v9, 0x3fb8aa3b, v7
	v_ldexp_f32 v1, v10, v13
	v_fma_f32 v10, v7, s20, -v9
	v_rndne_f32_e32 v13, v9
	v_fmac_f32_e32 v10, 0x32a5705f, v7
	v_sub_f32_e32 v9, v9, v13
	v_add_f32_e32 v9, v9, v10
	v_cmp_ngt_f32_e64 s[2:3], s19, v2
	v_exp_f32_e32 v9, v9
	v_cvt_i32_f32_e32 v10, v13
	v_cndmask_b32_e64 v1, 0, v1, s[2:3]
	v_cmp_nlt_f32_e64 s[2:3], s21, v2
	v_cndmask_b32_e64 v1, v3, v1, s[2:3]
	v_cndmask_b32_e64 v1, 0, v1, s[0:1]
	s_waitcnt vmcnt(1)
	v_mul_f32_e32 v8, v8, v1
	v_ldexp_f32 v1, v9, v10
	v_cmp_ngt_f32_e64 s[0:1], s19, v7
	v_cndmask_b32_e64 v1, 0, v1, s[0:1]
	v_cmp_nlt_f32_e64 s[0:1], s21, v7
	v_cndmask_b32_e64 v1, v3, v1, s[0:1]
	v_cndmask_b32_e32 v1, 0, v1, vcc
	s_waitcnt vmcnt(0)
	v_mul_f32_e32 v3, v12, v1
	v_add_f32_e32 v1, v11, v4
	v_add_f32_e32 v1, v1, v6
	v_add_f32_e32 v1, v1, v5
	v_add_f32_e32 v1, v1, v8
	v_add_f32_e32 v1, v1, v3
	ds_bpermute_b32 v2, v16, v1
	v_lshlrev_b32_e32 v7, 2, v0
	v_cmp_eq_u32_e32 vcc, 0, v0
	ds_write2st64_b32 v7, v11, v4 offset1:1
	ds_write2st64_b32 v7, v6, v5 offset0:2 offset1:3
	ds_write2st64_b32 v7, v8, v3 offset0:4 offset1:5
	s_waitcnt lgkmcnt(3)
	v_add_f32_e32 v1, v1, v2
	ds_bpermute_b32 v2, v17, v1
	s_waitcnt lgkmcnt(0)
	v_add_f32_e32 v1, v1, v2
	ds_bpermute_b32 v2, v18, v1
	;; [unrolled: 3-line block ×5, first 2 shown]
	s_and_saveexec_b64 s[0:1], vcc
	s_cbranch_execz .LBB117_8
; %bb.7:
	s_waitcnt lgkmcnt(0)
	v_add_f32_e32 v1, v1, v2
	v_mov_b32_e32 v2, 0
	ds_write_b32 v2, v1 offset:1536
.LBB117_8:
	s_or_b64 exec, exec, s[0:1]
	v_mov_b32_e32 v1, s18
.LBB117_9:
	s_or_b64 exec, exec, s[34:35]
	s_lshl_b32 s0, s36, 7
	s_mov_b32 s1, 0
	s_lshl_b64 s[0:1], s[0:1], 1
	s_add_u32 s0, s16, s0
	s_addc_u32 s1, s17, s1
	s_lshl_b32 s10, s33, 7
	s_waitcnt lgkmcnt(0)
	v_lshlrev_b32_e32 v2, 7, v1
	v_mov_b32_e32 v3, 0
	s_add_i32 s11, s10, 0xffffff80
	v_lshlrev_b64 v[4:5], 1, v[2:3]
	s_cmp_lt_i32 s40, 1
	v_mov_b32_e32 v1, s1
	v_add_co_u32_e32 v2, vcc, s0, v4
	s_cselect_b32 s0, s11, 0
	v_addc_co_u32_e32 v4, vcc, v1, v5, vcc
	v_lshlrev_b32_e32 v0, 1, v0
	s_ashr_i32 s1, s0, 31
	v_add_co_u32_e32 v1, vcc, v2, v0
	s_lshl_b64 s[0:1], s[0:1], 1
	v_addc_co_u32_e32 v2, vcc, 0, v4, vcc
	s_cmpk_lt_i32 s40, 0x101
	v_add_co_u32_e32 v12, vcc, s0, v1
	s_cselect_b32 s0, s11, 0x80
	v_mov_b32_e32 v4, s1
	s_ashr_i32 s1, s0, 31
	s_lshl_b64 s[0:1], s[0:1], 1
	v_addc_co_u32_e32 v13, vcc, v2, v4, vcc
	s_cmpk_lt_i32 s40, 0x201
	v_add_co_u32_e32 v14, vcc, s0, v1
	s_cselect_b32 s0, s11, 0x100
	v_mov_b32_e32 v4, s1
	s_ashr_i32 s1, s0, 31
	;; [unrolled: 7-line block ×8, first 2 shown]
	s_lshl_b64 s[0:1], s[0:1], 1
	v_addc_co_u32_e32 v27, vcc, v2, v4, vcc
	s_cmpk_lt_i32 s40, 0x901
	global_load_ushort v4, v[12:13], off
	global_load_ushort v5, v[14:15], off
	;; [unrolled: 1-line block ×8, first 2 shown]
	v_add_co_u32_e32 v20, vcc, s0, v1
	s_cselect_b32 s0, s11, 0x480
	v_mov_b32_e32 v12, s1
	s_ashr_i32 s1, s0, 31
	s_lshl_b64 s[0:1], s[0:1], 1
	v_addc_co_u32_e32 v21, vcc, v2, v12, vcc
	s_cmpk_lt_i32 s40, 0xa01
	v_add_co_u32_e32 v22, vcc, s0, v1
	s_cselect_b32 s0, s11, 0x500
	v_mov_b32_e32 v12, s1
	s_ashr_i32 s1, s0, 31
	s_lshl_b64 s[0:1], s[0:1], 1
	v_addc_co_u32_e32 v23, vcc, v2, v12, vcc
	s_cmpk_lt_i32 s40, 0xb01
	;; [unrolled: 7-line block ×6, first 2 shown]
	v_add_co_u32_e32 v32, vcc, s0, v1
	s_cselect_b32 s0, s11, 0x780
	v_mov_b32_e32 v12, s1
	s_ashr_i32 s1, s0, 31
	v_addc_co_u32_e32 v33, vcc, v2, v12, vcc
	s_lshl_b64 s[0:1], s[0:1], 1
	v_mov_b32_e32 v12, s1
	v_add_co_u32_e32 v34, vcc, s0, v1
	v_addc_co_u32_e32 v35, vcc, v2, v12, vcc
	global_load_ushort v12, v[20:21], off
	global_load_ushort v13, v[22:23], off
	;; [unrolled: 1-line block ×8, first 2 shown]
	s_cmpk_gt_i32 s40, 0x1000
	s_cselect_b64 s[8:9], -1, 0
	s_cmpk_lt_i32 s40, 0x1001
	v_mov_b32_e32 v36, 0
	v_mov_b32_e32 v37, 0
	;; [unrolled: 1-line block ×48, first 2 shown]
	s_barrier
	s_cbranch_scc1 .LBB117_12
; %bb.10:
	s_cmpk_lt_u32 s40, 0x1101
	s_cselect_b32 s0, s11, 0x880
	s_ashr_i32 s1, s0, 31
	v_add_co_u32_e32 v28, vcc, 0x1000, v1
	s_lshl_b64 s[0:1], s[0:1], 1
	v_addc_co_u32_e32 v29, vcc, 0, v2, vcc
	s_cmpk_lt_u32 s40, 0x1201
	v_add_co_u32_e32 v30, vcc, s0, v1
	s_cselect_b32 s0, s11, 0x900
	v_mov_b32_e32 v20, s1
	s_ashr_i32 s1, s0, 31
	s_lshl_b64 s[0:1], s[0:1], 1
	v_addc_co_u32_e32 v31, vcc, v2, v20, vcc
	s_cmpk_lt_u32 s40, 0x1301
	v_add_co_u32_e32 v32, vcc, s0, v1
	s_cselect_b32 s0, s11, 0x980
	v_mov_b32_e32 v20, s1
	s_ashr_i32 s1, s0, 31
	;; [unrolled: 7-line block ×7, first 2 shown]
	s_lshl_b64 s[0:1], s[0:1], 1
	v_addc_co_u32_e32 v43, vcc, v2, v20, vcc
	s_cmpk_lt_u32 s40, 0x1901
	global_load_ushort v27, v[28:29], off
	global_load_ushort v26, v[30:31], off
	;; [unrolled: 1-line block ×8, first 2 shown]
	v_add_co_u32_e32 v36, vcc, s0, v1
	s_cselect_b32 s0, s11, 0xc80
	v_mov_b32_e32 v28, s1
	s_ashr_i32 s1, s0, 31
	s_lshl_b64 s[0:1], s[0:1], 1
	v_addc_co_u32_e32 v37, vcc, v2, v28, vcc
	s_cmpk_lt_u32 s40, 0x1a01
	v_add_co_u32_e32 v38, vcc, s0, v1
	s_cselect_b32 s0, s11, 0xd00
	v_mov_b32_e32 v28, s1
	s_ashr_i32 s1, s0, 31
	s_lshl_b64 s[0:1], s[0:1], 1
	v_addc_co_u32_e32 v39, vcc, v2, v28, vcc
	s_cmpk_lt_u32 s40, 0x1b01
	;; [unrolled: 7-line block ×6, first 2 shown]
	v_add_co_u32_e32 v48, vcc, s0, v1
	s_cselect_b32 s0, s11, 0xf80
	v_mov_b32_e32 v28, s1
	s_ashr_i32 s1, s0, 31
	v_addc_co_u32_e32 v49, vcc, v2, v28, vcc
	s_lshl_b64 s[0:1], s[0:1], 1
	v_mov_b32_e32 v28, s1
	v_add_co_u32_e32 v50, vcc, s0, v1
	v_addc_co_u32_e32 v51, vcc, v2, v28, vcc
	global_load_ushort v35, v[36:37], off
	global_load_ushort v34, v[38:39], off
	;; [unrolled: 1-line block ×8, first 2 shown]
	s_cmpk_lt_u32 s40, 0x2001
	v_mov_b32_e32 v67, 0
	v_mov_b32_e32 v66, 0
	;; [unrolled: 1-line block ×32, first 2 shown]
	s_cbranch_scc1 .LBB117_12
; %bb.11:
	s_cmpk_lt_u32 s40, 0x2101
	s_cselect_b32 s0, s11, 0x1080
	s_ashr_i32 s1, s0, 31
	v_add_co_u32_e32 v36, vcc, 0x2000, v1
	s_lshl_b64 s[0:1], s[0:1], 1
	v_addc_co_u32_e32 v37, vcc, 0, v2, vcc
	s_cmpk_lt_u32 s40, 0x2201
	v_add_co_u32_e32 v38, vcc, s0, v1
	s_cselect_b32 s0, s11, 0x1100
	v_mov_b32_e32 v39, s1
	s_ashr_i32 s1, s0, 31
	s_lshl_b64 s[0:1], s[0:1], 1
	v_addc_co_u32_e32 v39, vcc, v2, v39, vcc
	s_cmpk_lt_u32 s40, 0x2301
	v_add_co_u32_e32 v40, vcc, s0, v1
	s_cselect_b32 s0, s11, 0x1180
	v_mov_b32_e32 v41, s1
	s_ashr_i32 s1, s0, 31
	s_lshl_b64 s[0:1], s[0:1], 1
	v_addc_co_u32_e32 v41, vcc, v2, v41, vcc
	s_cmpk_lt_u32 s40, 0x2401
	v_add_co_u32_e32 v42, vcc, s0, v1
	s_cselect_b32 s0, s11, 0x1200
	v_mov_b32_e32 v43, s1
	s_ashr_i32 s1, s0, 31
	s_lshl_b64 s[0:1], s[0:1], 1
	v_addc_co_u32_e32 v43, vcc, v2, v43, vcc
	s_cmpk_lt_u32 s40, 0x2501
	v_add_co_u32_e32 v44, vcc, s0, v1
	s_cselect_b32 s0, s11, 0x1280
	v_mov_b32_e32 v45, s1
	s_ashr_i32 s1, s0, 31
	s_lshl_b64 s[0:1], s[0:1], 1
	v_addc_co_u32_e32 v45, vcc, v2, v45, vcc
	s_cmpk_lt_u32 s40, 0x2601
	v_add_co_u32_e32 v46, vcc, s0, v1
	s_cselect_b32 s0, s11, 0x1300
	v_mov_b32_e32 v47, s1
	s_ashr_i32 s1, s0, 31
	s_lshl_b64 s[0:1], s[0:1], 1
	v_addc_co_u32_e32 v47, vcc, v2, v47, vcc
	s_cmpk_lt_u32 s40, 0x2701
	v_add_co_u32_e32 v48, vcc, s0, v1
	s_cselect_b32 s0, s11, 0x1380
	v_mov_b32_e32 v49, s1
	s_ashr_i32 s1, s0, 31
	s_lshl_b64 s[0:1], s[0:1], 1
	v_addc_co_u32_e32 v49, vcc, v2, v49, vcc
	s_cmpk_lt_u32 s40, 0x2801
	v_add_co_u32_e32 v50, vcc, s0, v1
	s_cselect_b32 s0, s11, 0x1400
	v_mov_b32_e32 v51, s1
	s_ashr_i32 s1, s0, 31
	s_lshl_b64 s[0:1], s[0:1], 1
	v_addc_co_u32_e32 v51, vcc, v2, v51, vcc
	s_cmpk_lt_u32 s40, 0x2901
	global_load_ushort v52, v[36:37], off
	global_load_ushort v53, v[38:39], off
	global_load_ushort v54, v[40:41], off
	global_load_ushort v55, v[42:43], off
	global_load_ushort v56, v[44:45], off
	global_load_ushort v57, v[46:47], off
	global_load_ushort v58, v[48:49], off
	global_load_ushort v59, v[50:51], off
	v_add_co_u32_e32 v36, vcc, s0, v1
	s_cselect_b32 s0, s11, 0x1480
	v_mov_b32_e32 v37, s1
	s_ashr_i32 s1, s0, 31
	s_lshl_b64 s[0:1], s[0:1], 1
	v_addc_co_u32_e32 v37, vcc, v2, v37, vcc
	s_cmpk_lt_u32 s40, 0x2a01
	v_add_co_u32_e32 v38, vcc, s0, v1
	s_cselect_b32 s0, s11, 0x1500
	v_mov_b32_e32 v39, s1
	s_ashr_i32 s1, s0, 31
	s_lshl_b64 s[0:1], s[0:1], 1
	v_addc_co_u32_e32 v39, vcc, v2, v39, vcc
	s_cmpk_lt_u32 s40, 0x2b01
	v_add_co_u32_e32 v40, vcc, s0, v1
	s_cselect_b32 s0, s11, 0x1580
	v_mov_b32_e32 v41, s1
	s_ashr_i32 s1, s0, 31
	s_lshl_b64 s[0:1], s[0:1], 1
	v_addc_co_u32_e32 v41, vcc, v2, v41, vcc
	s_cmpk_lt_u32 s40, 0x2c01
	v_add_co_u32_e32 v42, vcc, s0, v1
	s_cselect_b32 s0, s11, 0x1600
	v_mov_b32_e32 v43, s1
	s_ashr_i32 s1, s0, 31
	s_lshl_b64 s[0:1], s[0:1], 1
	v_addc_co_u32_e32 v43, vcc, v2, v43, vcc
	s_cmpk_lt_u32 s40, 0x2d01
	v_add_co_u32_e32 v44, vcc, s0, v1
	s_cselect_b32 s0, s11, 0x1680
	v_mov_b32_e32 v45, s1
	s_ashr_i32 s1, s0, 31
	s_lshl_b64 s[0:1], s[0:1], 1
	v_addc_co_u32_e32 v45, vcc, v2, v45, vcc
	s_cmpk_lt_u32 s40, 0x2e01
	v_add_co_u32_e32 v46, vcc, s0, v1
	s_cselect_b32 s0, s11, 0x1700
	v_mov_b32_e32 v47, s1
	s_ashr_i32 s1, s0, 31
	s_lshl_b64 s[0:1], s[0:1], 1
	v_addc_co_u32_e32 v47, vcc, v2, v47, vcc
	s_cmpk_lt_u32 s40, 0x2f01
	v_add_co_u32_e32 v48, vcc, s0, v1
	s_cselect_b32 s0, s11, 0x1780
	v_mov_b32_e32 v49, s1
	s_ashr_i32 s1, s0, 31
	s_lshl_b64 s[0:1], s[0:1], 1
	v_addc_co_u32_e32 v49, vcc, v2, v49, vcc
	s_cmpk_lt_u32 s40, 0x3001
	v_add_co_u32_e32 v50, vcc, s0, v1
	s_cselect_b32 s0, s11, 0x1800
	v_mov_b32_e32 v51, s1
	s_ashr_i32 s1, s0, 31
	s_lshl_b64 s[0:1], s[0:1], 1
	v_addc_co_u32_e32 v51, vcc, v2, v51, vcc
	s_cmpk_lt_u32 s40, 0x3101
	global_load_ushort v68, v[36:37], off
	global_load_ushort v69, v[38:39], off
	global_load_ushort v70, v[40:41], off
	global_load_ushort v71, v[42:43], off
	global_load_ushort v72, v[44:45], off
	global_load_ushort v73, v[46:47], off
	global_load_ushort v74, v[48:49], off
	global_load_ushort v75, v[50:51], off
	v_add_co_u32_e32 v36, vcc, s0, v1
	s_cselect_b32 s0, s11, 0x1880
	v_mov_b32_e32 v37, s1
	s_ashr_i32 s1, s0, 31
	s_lshl_b64 s[0:1], s[0:1], 1
	v_addc_co_u32_e32 v37, vcc, v2, v37, vcc
	s_cmpk_lt_u32 s40, 0x3201
	v_add_co_u32_e32 v38, vcc, s0, v1
	s_cselect_b32 s0, s11, 0x1900
	v_mov_b32_e32 v39, s1
	s_ashr_i32 s1, s0, 31
	s_lshl_b64 s[0:1], s[0:1], 1
	v_addc_co_u32_e32 v39, vcc, v2, v39, vcc
	s_cmpk_lt_u32 s40, 0x3301
	v_add_co_u32_e32 v40, vcc, s0, v1
	s_cselect_b32 s0, s11, 0x1980
	v_mov_b32_e32 v41, s1
	s_ashr_i32 s1, s0, 31
	s_lshl_b64 s[0:1], s[0:1], 1
	v_addc_co_u32_e32 v41, vcc, v2, v41, vcc
	s_cmpk_lt_u32 s40, 0x3401
	v_add_co_u32_e32 v42, vcc, s0, v1
	s_cselect_b32 s0, s11, 0x1a00
	v_mov_b32_e32 v43, s1
	s_ashr_i32 s1, s0, 31
	s_lshl_b64 s[0:1], s[0:1], 1
	v_addc_co_u32_e32 v43, vcc, v2, v43, vcc
	s_cmpk_lt_u32 s40, 0x3501
	v_add_co_u32_e32 v44, vcc, s0, v1
	s_cselect_b32 s0, s11, 0x1a80
	v_mov_b32_e32 v45, s1
	s_ashr_i32 s1, s0, 31
	s_lshl_b64 s[0:1], s[0:1], 1
	v_addc_co_u32_e32 v45, vcc, v2, v45, vcc
	s_cmpk_lt_u32 s40, 0x3601
	v_add_co_u32_e32 v46, vcc, s0, v1
	s_cselect_b32 s0, s11, 0x1b00
	v_mov_b32_e32 v47, s1
	s_ashr_i32 s1, s0, 31
	s_lshl_b64 s[0:1], s[0:1], 1
	v_addc_co_u32_e32 v47, vcc, v2, v47, vcc
	s_cmpk_lt_u32 s40, 0x3701
	v_add_co_u32_e32 v48, vcc, s0, v1
	s_cselect_b32 s0, s11, 0x1b80
	v_mov_b32_e32 v49, s1
	s_ashr_i32 s1, s0, 31
	s_lshl_b64 s[0:1], s[0:1], 1
	v_addc_co_u32_e32 v49, vcc, v2, v49, vcc
	s_cmpk_lt_u32 s40, 0x3801
	v_add_co_u32_e32 v50, vcc, s0, v1
	s_cselect_b32 s0, s11, 0x1c00
	v_mov_b32_e32 v51, s1
	s_ashr_i32 s1, s0, 31
	s_lshl_b64 s[0:1], s[0:1], 1
	v_addc_co_u32_e32 v51, vcc, v2, v51, vcc
	s_cmpk_lt_u32 s40, 0x3901
	global_load_ushort v76, v[36:37], off
	global_load_ushort v77, v[38:39], off
	global_load_ushort v78, v[40:41], off
	global_load_ushort v79, v[42:43], off
	global_load_ushort v80, v[44:45], off
	global_load_ushort v81, v[46:47], off
	global_load_ushort v82, v[48:49], off
	global_load_ushort v83, v[50:51], off
	v_add_co_u32_e32 v36, vcc, s0, v1
	s_cselect_b32 s0, s11, 0x1c80
	v_mov_b32_e32 v37, s1
	s_ashr_i32 s1, s0, 31
	s_lshl_b64 s[0:1], s[0:1], 1
	v_addc_co_u32_e32 v37, vcc, v2, v37, vcc
	s_cmpk_lt_u32 s40, 0x3a01
	v_add_co_u32_e32 v38, vcc, s0, v1
	s_cselect_b32 s0, s11, 0x1d00
	v_mov_b32_e32 v39, s1
	s_ashr_i32 s1, s0, 31
	s_lshl_b64 s[0:1], s[0:1], 1
	v_addc_co_u32_e32 v39, vcc, v2, v39, vcc
	s_cmpk_lt_u32 s40, 0x3b01
	v_add_co_u32_e32 v40, vcc, s0, v1
	s_cselect_b32 s0, s11, 0x1d80
	v_mov_b32_e32 v41, s1
	s_ashr_i32 s1, s0, 31
	;; [unrolled: 7-line block ×6, first 2 shown]
	v_addc_co_u32_e32 v49, vcc, v2, v49, vcc
	s_lshl_b64 s[0:1], s[0:1], 1
	v_mov_b32_e32 v51, s1
	v_add_co_u32_e32 v50, vcc, s0, v1
	v_addc_co_u32_e32 v51, vcc, v2, v51, vcc
	global_load_ushort v84, v[36:37], off
	global_load_ushort v85, v[38:39], off
	;; [unrolled: 1-line block ×8, first 2 shown]
	s_waitcnt vmcnt(31)
	v_cvt_f32_f16_e32 v67, v52
	s_waitcnt vmcnt(30)
	v_cvt_f32_f16_e32 v66, v53
	;; [unrolled: 2-line block ×32, first 2 shown]
.LBB117_12:
	ds_read_b128 v[68:71], v3
	s_load_dwordx2 s[0:1], s[4:5], 0x0
	s_load_dwordx2 s[2:3], s[4:5], 0x38
	ds_read_b128 v[72:75], v3 offset:16
	ds_read_b128 v[76:79], v3 offset:32
	;; [unrolled: 1-line block ×3, first 2 shown]
	s_and_b64 vcc, exec, s[8:9]
	s_waitcnt vmcnt(15) lgkmcnt(0)
	v_fma_mix_f32 v4, v68, v4, 0 op_sel_hi:[0,1,0]
	s_waitcnt vmcnt(14)
	v_fma_mix_f32 v4, v69, v5, v4 op_sel_hi:[0,1,0]
	s_waitcnt vmcnt(13)
	;; [unrolled: 2-line block ×15, first 2 shown]
	v_fma_mix_f32 v4, v83, v19, v4 op_sel_hi:[0,1,0]
	s_cbranch_vccz .LBB117_15
; %bb.13:
	ds_read_b128 v[6:9], v3 offset:64
	ds_read_b128 v[10:13], v3 offset:80
	;; [unrolled: 1-line block ×4, first 2 shown]
	s_cmpk_lt_u32 s40, 0x2001
	s_waitcnt lgkmcnt(3)
	v_fma_mix_f32 v3, v6, v27, v4 op_sel_hi:[0,1,0]
	v_fma_mix_f32 v3, v7, v26, v3 op_sel_hi:[0,1,0]
	v_fma_mix_f32 v3, v8, v25, v3 op_sel_hi:[0,1,0]
	v_fma_mix_f32 v3, v9, v24, v3 op_sel_hi:[0,1,0]
	s_waitcnt lgkmcnt(2)
	v_fma_mix_f32 v3, v10, v23, v3 op_sel_hi:[0,1,0]
	v_fma_mix_f32 v3, v11, v22, v3 op_sel_hi:[0,1,0]
	v_fma_mix_f32 v3, v12, v20, v3 op_sel_hi:[0,1,0]
	v_fma_mix_f32 v3, v13, v21, v3 op_sel_hi:[0,1,0]
	;; [unrolled: 5-line block ×4, first 2 shown]
	s_cbranch_scc1 .LBB117_15
; %bb.14:
	v_mov_b32_e32 v3, 0
	ds_read_b128 v[6:9], v3 offset:128
	ds_read_b128 v[10:13], v3 offset:144
	;; [unrolled: 1-line block ×4, first 2 shown]
	s_waitcnt lgkmcnt(3)
	v_fmac_f32_e32 v4, v6, v67
	v_fmac_f32_e32 v4, v7, v66
	v_fmac_f32_e32 v4, v8, v65
	v_fmac_f32_e32 v4, v9, v64
	s_waitcnt lgkmcnt(2)
	v_fmac_f32_e32 v4, v10, v63
	v_fmac_f32_e32 v4, v11, v62
	v_fmac_f32_e32 v4, v12, v61
	v_fmac_f32_e32 v4, v13, v60
	;; [unrolled: 5-line block ×3, first 2 shown]
	ds_read_b128 v[6:9], v3 offset:192
	ds_read_b128 v[10:13], v3 offset:208
	s_waitcnt lgkmcnt(2)
	v_fmac_f32_e32 v4, v18, v55
	v_fmac_f32_e32 v4, v19, v54
	;; [unrolled: 1-line block ×4, first 2 shown]
	s_waitcnt lgkmcnt(1)
	v_fmac_f32_e32 v4, v6, v51
	v_fmac_f32_e32 v4, v7, v50
	;; [unrolled: 1-line block ×4, first 2 shown]
	ds_read_b128 v[6:9], v3 offset:224
	s_waitcnt lgkmcnt(1)
	v_fmac_f32_e32 v4, v10, v47
	v_fmac_f32_e32 v4, v11, v46
	;; [unrolled: 1-line block ×4, first 2 shown]
	ds_read_b128 v[10:13], v3 offset:240
	s_waitcnt lgkmcnt(1)
	v_fmac_f32_e32 v4, v6, v43
	v_fmac_f32_e32 v4, v7, v42
	;; [unrolled: 1-line block ×4, first 2 shown]
	s_waitcnt lgkmcnt(0)
	v_fmac_f32_e32 v4, v10, v39
	v_fmac_f32_e32 v4, v11, v38
	;; [unrolled: 1-line block ×4, first 2 shown]
.LBB117_15:
	s_movk_i32 s4, 0x3f80
	s_movk_i32 s5, 0x100
	s_mov_b32 s8, 64
	s_branch .LBB117_17
.LBB117_16:                             ;   in Loop: Header=BB117_17 Depth=1
	s_addk_i32 s4, 0x2000
	s_addk_i32 s5, 0x100
	s_add_i32 s8, s8, 64
	s_cmpk_eq_u32 s4, 0xdf80
	s_cbranch_scc1 .LBB117_19
.LBB117_17:                             ; =>This Inner Loop Header: Depth=1
	s_cmp_le_i32 s33, s8
	s_cbranch_scc1 .LBB117_16
; %bb.18:                               ;   in Loop: Header=BB117_17 Depth=1
	s_add_i32 s9, s4, 0xffffe080
	s_cmp_lt_i32 s9, s10
	s_cselect_b32 s12, s9, s11
	s_ashr_i32 s13, s12, 31
	s_lshl_b64 s[12:13], s[12:13], 1
	s_add_i32 s9, s4, 0xffffe100
	s_cmp_lt_i32 s9, s10
	v_add_co_u32_e32 v12, vcc, s12, v1
	s_cselect_b32 s12, s9, s11
	v_mov_b32_e32 v3, s13
	s_ashr_i32 s13, s12, 31
	s_lshl_b64 s[12:13], s[12:13], 1
	s_add_i32 s9, s4, 0xffffe180
	v_addc_co_u32_e32 v13, vcc, v2, v3, vcc
	s_cmp_lt_i32 s9, s10
	v_add_co_u32_e32 v14, vcc, s12, v1
	s_cselect_b32 s12, s9, s11
	v_mov_b32_e32 v3, s13
	s_ashr_i32 s13, s12, 31
	s_lshl_b64 s[12:13], s[12:13], 1
	s_add_i32 s9, s4, 0xffffe200
	v_addc_co_u32_e32 v15, vcc, v2, v3, vcc
	;; [unrolled: 8-line block ×8, first 2 shown]
	s_cmp_lt_i32 s9, s10
	global_load_ushort v3, v[12:13], off
	global_load_ushort v5, v[14:15], off
	global_load_ushort v6, v[16:17], off
	global_load_ushort v7, v[18:19], off
	global_load_ushort v8, v[20:21], off
	global_load_ushort v9, v[22:23], off
	global_load_ushort v10, v[24:25], off
	global_load_ushort v11, v[26:27], off
	v_add_co_u32_e32 v20, vcc, s12, v1
	s_cselect_b32 s12, s9, s11
	v_mov_b32_e32 v12, s13
	s_ashr_i32 s13, s12, 31
	s_lshl_b64 s[12:13], s[12:13], 1
	s_add_i32 s9, s4, 0xffffe580
	v_addc_co_u32_e32 v21, vcc, v2, v12, vcc
	s_cmp_lt_i32 s9, s10
	v_add_co_u32_e32 v22, vcc, s12, v1
	s_cselect_b32 s12, s9, s11
	v_mov_b32_e32 v12, s13
	s_ashr_i32 s13, s12, 31
	s_lshl_b64 s[12:13], s[12:13], 1
	s_add_i32 s9, s4, 0xffffe600
	v_addc_co_u32_e32 v23, vcc, v2, v12, vcc
	s_cmp_lt_i32 s9, s10
	;; [unrolled: 8-line block ×8, first 2 shown]
	global_load_ushort v15, v[20:21], off
	global_load_ushort v16, v[22:23], off
	;; [unrolled: 1-line block ×8, first 2 shown]
	v_add_co_u32_e32 v28, vcc, s12, v1
	s_cselect_b32 s12, s9, s11
	v_mov_b32_e32 v20, s13
	s_ashr_i32 s13, s12, 31
	s_lshl_b64 s[12:13], s[12:13], 1
	s_add_i32 s9, s4, 0xffffe980
	v_addc_co_u32_e32 v29, vcc, v2, v20, vcc
	s_cmp_lt_i32 s9, s10
	v_add_co_u32_e32 v30, vcc, s12, v1
	s_cselect_b32 s12, s9, s11
	v_mov_b32_e32 v20, s13
	s_ashr_i32 s13, s12, 31
	s_lshl_b64 s[12:13], s[12:13], 1
	s_add_i32 s9, s4, 0xffffea00
	v_addc_co_u32_e32 v31, vcc, v2, v20, vcc
	s_cmp_lt_i32 s9, s10
	;; [unrolled: 8-line block ×8, first 2 shown]
	global_load_ushort v23, v[28:29], off
	global_load_ushort v24, v[30:31], off
	;; [unrolled: 1-line block ×8, first 2 shown]
	v_add_co_u32_e32 v36, vcc, s12, v1
	s_cselect_b32 s12, s9, s11
	v_mov_b32_e32 v28, s13
	s_ashr_i32 s13, s12, 31
	s_lshl_b64 s[12:13], s[12:13], 1
	s_add_i32 s9, s4, 0xffffed80
	v_addc_co_u32_e32 v37, vcc, v2, v28, vcc
	s_cmp_lt_i32 s9, s10
	v_add_co_u32_e32 v38, vcc, s12, v1
	s_cselect_b32 s12, s9, s11
	v_mov_b32_e32 v28, s13
	s_ashr_i32 s13, s12, 31
	s_lshl_b64 s[12:13], s[12:13], 1
	s_add_i32 s9, s4, 0xffffee00
	v_addc_co_u32_e32 v39, vcc, v2, v28, vcc
	s_cmp_lt_i32 s9, s10
	;; [unrolled: 8-line block ×8, first 2 shown]
	global_load_ushort v31, v[36:37], off
	global_load_ushort v32, v[38:39], off
	;; [unrolled: 1-line block ×8, first 2 shown]
	v_add_co_u32_e32 v36, vcc, s12, v1
	s_cselect_b32 s12, s9, s11
	v_mov_b32_e32 v37, s13
	s_ashr_i32 s13, s12, 31
	s_lshl_b64 s[12:13], s[12:13], 1
	s_add_i32 s9, s4, 0xfffff180
	v_addc_co_u32_e32 v37, vcc, v2, v37, vcc
	s_cmp_lt_i32 s9, s10
	v_add_co_u32_e32 v38, vcc, s12, v1
	s_cselect_b32 s12, s9, s11
	v_mov_b32_e32 v39, s13
	s_ashr_i32 s13, s12, 31
	s_lshl_b64 s[12:13], s[12:13], 1
	s_add_i32 s9, s4, 0xfffff200
	v_addc_co_u32_e32 v39, vcc, v2, v39, vcc
	s_cmp_lt_i32 s9, s10
	;; [unrolled: 8-line block ×8, first 2 shown]
	global_load_ushort v52, v[36:37], off
	global_load_ushort v53, v[38:39], off
	;; [unrolled: 1-line block ×8, first 2 shown]
	v_add_co_u32_e32 v36, vcc, s12, v1
	s_cselect_b32 s12, s9, s11
	v_mov_b32_e32 v37, s13
	s_ashr_i32 s13, s12, 31
	s_lshl_b64 s[12:13], s[12:13], 1
	s_add_i32 s9, s4, 0xfffff580
	v_addc_co_u32_e32 v37, vcc, v2, v37, vcc
	s_cmp_lt_i32 s9, s10
	v_add_co_u32_e32 v38, vcc, s12, v1
	s_cselect_b32 s12, s9, s11
	v_mov_b32_e32 v39, s13
	s_ashr_i32 s13, s12, 31
	s_lshl_b64 s[12:13], s[12:13], 1
	s_add_i32 s9, s4, 0xfffff600
	v_addc_co_u32_e32 v39, vcc, v2, v39, vcc
	s_cmp_lt_i32 s9, s10
	;; [unrolled: 8-line block ×8, first 2 shown]
	global_load_ushort v60, v[36:37], off
	global_load_ushort v61, v[38:39], off
	;; [unrolled: 1-line block ×8, first 2 shown]
	v_add_co_u32_e32 v36, vcc, s12, v1
	s_cselect_b32 s12, s9, s11
	v_mov_b32_e32 v37, s13
	s_ashr_i32 s13, s12, 31
	s_lshl_b64 s[12:13], s[12:13], 1
	s_add_i32 s9, s4, 0xfffff980
	v_addc_co_u32_e32 v37, vcc, v2, v37, vcc
	s_cmp_lt_i32 s9, s10
	v_add_co_u32_e32 v38, vcc, s12, v1
	s_cselect_b32 s12, s9, s11
	v_mov_b32_e32 v39, s13
	s_ashr_i32 s13, s12, 31
	s_lshl_b64 s[12:13], s[12:13], 1
	s_add_i32 s9, s4, 0xfffffa00
	v_addc_co_u32_e32 v39, vcc, v2, v39, vcc
	s_cmp_lt_i32 s9, s10
	;; [unrolled: 8-line block ×8, first 2 shown]
	global_load_ushort v68, v[36:37], off
	global_load_ushort v69, v[38:39], off
	;; [unrolled: 1-line block ×8, first 2 shown]
	v_add_co_u32_e32 v36, vcc, s12, v1
	s_cselect_b32 s12, s9, s11
	v_mov_b32_e32 v37, s13
	s_ashr_i32 s13, s12, 31
	s_lshl_b64 s[12:13], s[12:13], 1
	s_add_i32 s9, s4, 0xfffffd80
	v_addc_co_u32_e32 v37, vcc, v2, v37, vcc
	s_cmp_lt_i32 s9, s10
	v_add_co_u32_e32 v38, vcc, s12, v1
	s_cselect_b32 s12, s9, s11
	v_mov_b32_e32 v39, s13
	s_ashr_i32 s13, s12, 31
	s_lshl_b64 s[12:13], s[12:13], 1
	s_add_i32 s9, s4, 0xfffffe00
	v_addc_co_u32_e32 v39, vcc, v2, v39, vcc
	s_cmp_lt_i32 s9, s10
	;; [unrolled: 8-line block ×5, first 2 shown]
	v_add_co_u32_e32 v46, vcc, s12, v1
	s_cselect_b32 s12, s9, s11
	v_mov_b32_e32 v47, s13
	s_ashr_i32 s13, s12, 31
	s_lshl_b64 s[12:13], s[12:13], 1
	v_addc_co_u32_e32 v47, vcc, v2, v47, vcc
	s_cmp_lt_i32 s4, s10
	v_add_co_u32_e32 v48, vcc, s12, v1
	s_cselect_b32 s12, s4, s11
	v_mov_b32_e32 v49, s13
	s_ashr_i32 s13, s12, 31
	v_addc_co_u32_e32 v49, vcc, v2, v49, vcc
	s_lshl_b64 s[12:13], s[12:13], 1
	v_mov_b32_e32 v51, s13
	v_add_co_u32_e32 v50, vcc, s12, v1
	v_addc_co_u32_e32 v51, vcc, v2, v51, vcc
	global_load_ushort v76, v[36:37], off
	global_load_ushort v77, v[38:39], off
	;; [unrolled: 1-line block ×8, first 2 shown]
	v_mov_b32_e32 v84, s5
	ds_read_b128 v[36:39], v84
	ds_read_b128 v[40:43], v84 offset:16
	ds_read_b128 v[44:47], v84 offset:32
	;; [unrolled: 1-line block ×3, first 2 shown]
	s_waitcnt vmcnt(62) lgkmcnt(3)
	v_fma_mix_f32 v3, v36, v3, v4 op_sel_hi:[0,1,0]
	v_fma_mix_f32 v3, v37, v5, v3 op_sel_hi:[0,1,0]
	s_waitcnt vmcnt(61)
	v_fma_mix_f32 v3, v38, v6, v3 op_sel_hi:[0,1,0]
	s_waitcnt vmcnt(60)
	v_fma_mix_f32 v3, v39, v7, v3 op_sel_hi:[0,1,0]
	s_waitcnt vmcnt(59) lgkmcnt(2)
	v_fma_mix_f32 v3, v40, v8, v3 op_sel_hi:[0,1,0]
	s_waitcnt vmcnt(58)
	v_fma_mix_f32 v3, v41, v9, v3 op_sel_hi:[0,1,0]
	s_waitcnt vmcnt(57)
	;; [unrolled: 2-line block ×3, first 2 shown]
	v_fma_mix_f32 v3, v43, v11, v3 op_sel_hi:[0,1,0]
	s_waitcnt vmcnt(55) lgkmcnt(1)
	v_fma_mix_f32 v3, v44, v15, v3 op_sel_hi:[0,1,0]
	s_waitcnt vmcnt(54)
	v_fma_mix_f32 v3, v45, v16, v3 op_sel_hi:[0,1,0]
	s_waitcnt vmcnt(53)
	v_fma_mix_f32 v3, v46, v17, v3 op_sel_hi:[0,1,0]
	s_waitcnt vmcnt(52)
	v_fma_mix_f32 v3, v47, v18, v3 op_sel_hi:[0,1,0]
	ds_read_b128 v[4:7], v84 offset:64
	ds_read_b128 v[8:11], v84 offset:80
	s_waitcnt vmcnt(51) lgkmcnt(2)
	v_fma_mix_f32 v3, v48, v19, v3 op_sel_hi:[0,1,0]
	s_waitcnt vmcnt(50)
	v_fma_mix_f32 v3, v49, v12, v3 op_sel_hi:[0,1,0]
	s_waitcnt vmcnt(49)
	;; [unrolled: 2-line block ×3, first 2 shown]
	v_fma_mix_f32 v3, v51, v14, v3 op_sel_hi:[0,1,0]
	s_waitcnt vmcnt(47) lgkmcnt(1)
	v_fma_mix_f32 v3, v4, v23, v3 op_sel_hi:[0,1,0]
	s_waitcnt vmcnt(46)
	v_fma_mix_f32 v3, v5, v24, v3 op_sel_hi:[0,1,0]
	s_waitcnt vmcnt(45)
	v_fma_mix_f32 v3, v6, v25, v3 op_sel_hi:[0,1,0]
	s_waitcnt vmcnt(44)
	v_fma_mix_f32 v3, v7, v26, v3 op_sel_hi:[0,1,0]
	ds_read_b128 v[4:7], v84 offset:96
	s_waitcnt vmcnt(43) lgkmcnt(1)
	v_fma_mix_f32 v3, v8, v27, v3 op_sel_hi:[0,1,0]
	s_waitcnt vmcnt(42)
	v_fma_mix_f32 v3, v9, v20, v3 op_sel_hi:[0,1,0]
	s_waitcnt vmcnt(41)
	v_fma_mix_f32 v3, v10, v21, v3 op_sel_hi:[0,1,0]
	s_waitcnt vmcnt(40)
	v_fma_mix_f32 v3, v11, v22, v3 op_sel_hi:[0,1,0]
	ds_read_b128 v[8:11], v84 offset:112
	;; [unrolled: 9-line block ×10, first 2 shown]
	s_waitcnt vmcnt(7) lgkmcnt(1)
	v_fma_mix_f32 v3, v4, v76, v3 op_sel_hi:[0,1,0]
	s_waitcnt vmcnt(6)
	v_fma_mix_f32 v3, v5, v77, v3 op_sel_hi:[0,1,0]
	s_waitcnt vmcnt(5)
	;; [unrolled: 2-line block ×3, first 2 shown]
	v_fma_mix_f32 v3, v7, v79, v3 op_sel_hi:[0,1,0]
	s_waitcnt vmcnt(3) lgkmcnt(0)
	v_fma_mix_f32 v3, v8, v80, v3 op_sel_hi:[0,1,0]
	s_waitcnt vmcnt(2)
	v_fma_mix_f32 v3, v9, v81, v3 op_sel_hi:[0,1,0]
	s_waitcnt vmcnt(1)
	;; [unrolled: 2-line block ×3, first 2 shown]
	v_fma_mix_f32 v4, v11, v83, v3 op_sel_hi:[0,1,0]
	s_branch .LBB117_16
.LBB117_19:
	v_mov_b32_e32 v1, 0
	ds_read_b32 v2, v1 offset:1536
	s_cmp_lg_u64 s[2:3], 0
	s_cbranch_scc0 .LBB117_24
; %bb.20:
	s_load_dword s4, s[2:3], 0x0
	s_waitcnt lgkmcnt(0)
	v_div_scale_f32 v1, s[2:3], s4, s4, 1.0
	v_rcp_f32_e32 v3, v1
	v_div_scale_f32 v5, vcc, 1.0, s4, 1.0
	v_fma_f32 v6, -v1, v3, 1.0
	v_fmac_f32_e32 v3, v6, v3
	v_mul_f32_e32 v6, v5, v3
	v_fma_f32 v7, -v1, v6, v5
	v_fmac_f32_e32 v6, v7, v3
	v_fma_f32 v1, -v1, v6, v5
	v_div_fmas_f32 v1, v1, v3, v6
	v_div_fixup_f32 v1, v1, s4, 1.0
	s_andn2_b64 vcc, exec, s[28:29]
	s_cbranch_vccnz .LBB117_22
.LBB117_21:
	s_add_u32 s2, s26, s30
	s_addc_u32 s3, s27, s31
	s_load_dword s24, s[2:3], 0x0
	s_mov_b32 s25, 0
.LBB117_22:
	s_waitcnt lgkmcnt(0)
	v_add_f32_e32 v2, 0x358637bd, v2
	v_div_scale_f32 v3, s[2:3], v2, v2, 1.0
	v_rcp_f32_e32 v5, v3
	v_div_scale_f32 v6, vcc, 1.0, v2, 1.0
	s_mul_i32 s2, s7, s25
	v_fma_f32 v7, -v3, v5, 1.0
	v_fmac_f32_e32 v5, v7, v5
	v_mul_f32_e32 v7, v6, v5
	v_fma_f32 v8, -v3, v7, v6
	s_mul_hi_u32 s3, s7, s24
	v_fmac_f32_e32 v7, v8, v5
	s_add_i32 s3, s3, s2
	s_mul_i32 s2, s7, s24
	v_fma_f32 v3, -v3, v7, v6
	s_lshl_b64 s[2:3], s[2:3], 8
	v_div_fmas_f32 v3, v3, v5, v7
	s_add_u32 s2, s0, s2
	s_mov_b32 s7, 0
	v_div_fixup_f32 v2, v3, v2, 1.0
	s_addc_u32 s3, s1, s3
	s_lshl_b64 s[0:1], s[6:7], 8
	v_mul_f32_e32 v2, v4, v2
	s_add_u32 s0, s2, s0
	s_addc_u32 s1, s3, s1
	v_fma_mixlo_f16 v1, v2, v1, 0
	global_store_short v0, v1, s[0:1]
	s_endpgm
.LBB117_23:
	s_mov_b64 s[2:3], 0
	s_branch .LBB117_2
.LBB117_24:
	v_mov_b32_e32 v1, 1.0
	s_andn2_b64 vcc, exec, s[28:29]
	s_cbranch_vccz .LBB117_21
	s_branch .LBB117_22
	.section	.rodata,"a",@progbits
	.p2align	6, 0x0
	.amdhsa_kernel _Z35paged_attention_ll4mi_reduce_kernelIDF16_DF16_Li128ELi128ELi256ELi6EEvPT0_PKfS3_PKT_PKiS8_iS3_
		.amdhsa_group_segment_fixed_size 1540
		.amdhsa_private_segment_fixed_size 0
		.amdhsa_kernarg_size 320
		.amdhsa_user_sgpr_count 6
		.amdhsa_user_sgpr_private_segment_buffer 1
		.amdhsa_user_sgpr_dispatch_ptr 0
		.amdhsa_user_sgpr_queue_ptr 0
		.amdhsa_user_sgpr_kernarg_segment_ptr 1
		.amdhsa_user_sgpr_dispatch_id 0
		.amdhsa_user_sgpr_flat_scratch_init 0
		.amdhsa_user_sgpr_kernarg_preload_length 0
		.amdhsa_user_sgpr_kernarg_preload_offset 0
		.amdhsa_user_sgpr_private_segment_size 0
		.amdhsa_uses_dynamic_stack 0
		.amdhsa_system_sgpr_private_segment_wavefront_offset 0
		.amdhsa_system_sgpr_workgroup_id_x 1
		.amdhsa_system_sgpr_workgroup_id_y 1
		.amdhsa_system_sgpr_workgroup_id_z 0
		.amdhsa_system_sgpr_workgroup_info 0
		.amdhsa_system_vgpr_workitem_id 0
		.amdhsa_next_free_vgpr 92
		.amdhsa_next_free_sgpr 41
		.amdhsa_accum_offset 92
		.amdhsa_reserve_vcc 1
		.amdhsa_reserve_flat_scratch 0
		.amdhsa_float_round_mode_32 0
		.amdhsa_float_round_mode_16_64 0
		.amdhsa_float_denorm_mode_32 3
		.amdhsa_float_denorm_mode_16_64 3
		.amdhsa_dx10_clamp 1
		.amdhsa_ieee_mode 1
		.amdhsa_fp16_overflow 0
		.amdhsa_tg_split 0
		.amdhsa_exception_fp_ieee_invalid_op 0
		.amdhsa_exception_fp_denorm_src 0
		.amdhsa_exception_fp_ieee_div_zero 0
		.amdhsa_exception_fp_ieee_overflow 0
		.amdhsa_exception_fp_ieee_underflow 0
		.amdhsa_exception_fp_ieee_inexact 0
		.amdhsa_exception_int_div_zero 0
	.end_amdhsa_kernel
	.section	.text._Z35paged_attention_ll4mi_reduce_kernelIDF16_DF16_Li128ELi128ELi256ELi6EEvPT0_PKfS3_PKT_PKiS8_iS3_,"axG",@progbits,_Z35paged_attention_ll4mi_reduce_kernelIDF16_DF16_Li128ELi128ELi256ELi6EEvPT0_PKfS3_PKT_PKiS8_iS3_,comdat
.Lfunc_end117:
	.size	_Z35paged_attention_ll4mi_reduce_kernelIDF16_DF16_Li128ELi128ELi256ELi6EEvPT0_PKfS3_PKT_PKiS8_iS3_, .Lfunc_end117-_Z35paged_attention_ll4mi_reduce_kernelIDF16_DF16_Li128ELi128ELi256ELi6EEvPT0_PKfS3_PKT_PKiS8_iS3_
                                        ; -- End function
	.section	.AMDGPU.csdata,"",@progbits
; Kernel info:
; codeLenInByte = 9908
; NumSgprs: 45
; NumVgprs: 92
; NumAgprs: 0
; TotalNumVgprs: 92
; ScratchSize: 0
; MemoryBound: 0
; FloatMode: 240
; IeeeMode: 1
; LDSByteSize: 1540 bytes/workgroup (compile time only)
; SGPRBlocks: 5
; VGPRBlocks: 11
; NumSGPRsForWavesPerEU: 45
; NumVGPRsForWavesPerEU: 92
; AccumOffset: 92
; Occupancy: 5
; WaveLimiterHint : 1
; COMPUTE_PGM_RSRC2:SCRATCH_EN: 0
; COMPUTE_PGM_RSRC2:USER_SGPR: 6
; COMPUTE_PGM_RSRC2:TRAP_HANDLER: 0
; COMPUTE_PGM_RSRC2:TGID_X_EN: 1
; COMPUTE_PGM_RSRC2:TGID_Y_EN: 1
; COMPUTE_PGM_RSRC2:TGID_Z_EN: 0
; COMPUTE_PGM_RSRC2:TIDIG_COMP_CNT: 0
; COMPUTE_PGM_RSRC3_GFX90A:ACCUM_OFFSET: 22
; COMPUTE_PGM_RSRC3_GFX90A:TG_SPLIT: 0
	.section	.text._Z35paged_attention_ll4mi_reduce_kernelIDF16_DF16_Li128ELi128ELi256ELi7EEvPT0_PKfS3_PKT_PKiS8_iS3_,"axG",@progbits,_Z35paged_attention_ll4mi_reduce_kernelIDF16_DF16_Li128ELi128ELi256ELi7EEvPT0_PKfS3_PKT_PKiS8_iS3_,comdat
	.protected	_Z35paged_attention_ll4mi_reduce_kernelIDF16_DF16_Li128ELi128ELi256ELi7EEvPT0_PKfS3_PKT_PKiS8_iS3_ ; -- Begin function _Z35paged_attention_ll4mi_reduce_kernelIDF16_DF16_Li128ELi128ELi256ELi7EEvPT0_PKfS3_PKT_PKiS8_iS3_
	.globl	_Z35paged_attention_ll4mi_reduce_kernelIDF16_DF16_Li128ELi128ELi256ELi7EEvPT0_PKfS3_PKT_PKiS8_iS3_
	.p2align	8
	.type	_Z35paged_attention_ll4mi_reduce_kernelIDF16_DF16_Li128ELi128ELi256ELi7EEvPT0_PKfS3_PKT_PKiS8_iS3_,@function
_Z35paged_attention_ll4mi_reduce_kernelIDF16_DF16_Li128ELi128ELi256ELi7EEvPT0_PKfS3_PKT_PKiS8_iS3_: ; @_Z35paged_attention_ll4mi_reduce_kernelIDF16_DF16_Li128ELi128ELi256ELi7EEvPT0_PKfS3_PKT_PKiS8_iS3_
; %bb.0:
	s_load_dwordx2 s[28:29], s[4:5], 0x28
	s_mov_b32 s18, s7
	s_mov_b64 s[0:1], 0
	s_waitcnt lgkmcnt(0)
	s_cmp_lg_u64 s[28:29], 0
	s_cselect_b64 s[30:31], -1, 0
	s_and_b64 vcc, exec, s[30:31]
	s_cbranch_vccz .LBB118_23
; %bb.1:
	s_add_i32 s2, s18, 1
	s_mov_b32 s3, 0
	s_lshl_b64 s[8:9], s[2:3], 2
	s_add_u32 s8, s28, s8
	s_mov_b32 s19, s3
	s_addc_u32 s9, s29, s9
	s_lshl_b64 s[2:3], s[18:19], 2
	s_add_u32 s2, s28, s2
	s_addc_u32 s3, s29, s3
	s_load_dword s7, s[8:9], 0x0
	s_load_dword s10, s[2:3], 0x0
	s_waitcnt lgkmcnt(0)
	s_sub_i32 s2, s7, s10
	s_cmp_eq_u32 s2, 1
	s_cselect_b64 s[2:3], -1, 0
	s_andn2_b64 vcc, exec, s[0:1]
	s_cbranch_vccnz .LBB118_3
.LBB118_2:
	s_mov_b32 s19, 0
	s_mov_b64 s[2:3], -1
.LBB118_3:
	s_andn2_b64 vcc, exec, s[2:3]
	s_cbranch_vccz .LBB118_5
; %bb.4:
	s_endpgm
.LBB118_5:
	s_load_dwordx4 s[20:23], s[4:5], 0x18
	s_load_dword s8, s[4:5], 0x30
	s_lshl_b64 s[34:35], s[18:19], 2
	v_cmp_lt_u32_e32 vcc, 63, v0
	s_waitcnt lgkmcnt(0)
	s_add_u32 s0, s22, s34
	s_addc_u32 s1, s23, s35
	s_load_dword s42, s[0:1], 0x0
	s_load_dword s7, s[4:5], 0x40
	s_mul_i32 s22, s6, s8
	s_mul_i32 s2, s18, s8
	s_waitcnt lgkmcnt(0)
	s_add_i32 s3, s42, 0xff
	s_ashr_i32 s0, s3, 31
	s_lshr_b32 s0, s0, 24
	s_add_i32 s3, s3, s0
	s_and_saveexec_b64 s[0:1], vcc
	s_xor_b64 s[0:1], exec, s[0:1]
	s_or_saveexec_b64 s[36:37], s[0:1]
	s_ashr_i32 s33, s3, 8
	v_mov_b32_e32 v1, s22
	s_mul_i32 s38, s2, s7
	s_xor_b64 exec, exec, s[36:37]
	s_cbranch_execz .LBB118_9
; %bb.6:
	s_add_i32 s0, s33, -1
	v_or_b32_e32 v3, 64, v0
	v_mov_b32_e32 v1, s0
	v_cmp_gt_u32_e64 s[12:13], s33, v3
	v_cndmask_b32_e64 v4, v1, v3, s[12:13]
	v_or_b32_e32 v3, 0x80, v0
	v_cmp_gt_u32_e64 s[10:11], s33, v3
	v_cndmask_b32_e64 v6, v1, v3, s[10:11]
	v_or_b32_e32 v3, 0xc0, v0
	s_load_dwordx4 s[24:27], s[4:5], 0x8
	v_cmp_gt_u32_e64 s[8:9], s33, v3
	v_cndmask_b32_e64 v8, v1, v3, s[8:9]
	v_or_b32_e32 v3, 0x100, v0
	v_cmp_gt_u32_e64 s[2:3], s33, v3
	s_mov_b32 s39, 0
	v_cndmask_b32_e64 v10, v1, v3, s[2:3]
	v_or_b32_e32 v3, 0x140, v0
	v_cmp_gt_u32_e64 s[0:1], s33, v3
	s_lshl_b64 s[40:41], s[38:39], 2
	s_mov_b32 s23, s39
	v_cmp_gt_u32_e64 s[14:15], s33, v0
	v_cndmask_b32_e64 v12, v1, v3, s[0:1]
	v_or_b32_e32 v3, 0x180, v0
	s_waitcnt lgkmcnt(0)
	s_add_u32 s16, s26, s40
	v_cndmask_b32_e64 v2, v1, v0, s[14:15]
	v_cmp_gt_u32_e32 vcc, s33, v3
	s_addc_u32 s17, s27, s41
	s_lshl_b64 s[26:27], s[22:23], 2
	v_cndmask_b32_e32 v14, v1, v3, vcc
	s_add_u32 s23, s16, s26
	v_ashrrev_i32_e32 v3, 31, v2
	s_addc_u32 s39, s17, s27
	v_lshlrev_b64 v[2:3], 2, v[2:3]
	v_mov_b32_e32 v1, s39
	v_add_co_u32_e64 v16, s[16:17], s23, v2
	v_ashrrev_i32_e32 v5, 31, v4
	v_addc_co_u32_e64 v17, s[16:17], v1, v3, s[16:17]
	v_lshlrev_b64 v[4:5], 2, v[4:5]
	v_add_co_u32_e64 v18, s[16:17], s23, v4
	v_ashrrev_i32_e32 v7, 31, v6
	v_addc_co_u32_e64 v19, s[16:17], v1, v5, s[16:17]
	v_lshlrev_b64 v[6:7], 2, v[6:7]
	;; [unrolled: 4-line block ×6, first 2 shown]
	v_add_co_u32_e64 v28, s[16:17], s23, v14
	v_addc_co_u32_e64 v29, s[16:17], v1, v15, s[16:17]
	global_load_dword v1, v[16:17], off
	global_load_dword v30, v[18:19], off
	;; [unrolled: 1-line block ×7, first 2 shown]
	v_mbcnt_lo_u32_b32 v16, -1, 0
	v_mbcnt_hi_u32_b32 v16, -1, v16
	v_and_b32_e32 v17, 64, v16
	v_add_u32_e32 v17, 64, v17
	v_xor_b32_e32 v19, 32, v16
	v_cmp_lt_i32_e64 s[16:17], v19, v17
	v_cndmask_b32_e64 v19, v16, v19, s[16:17]
	v_lshlrev_b32_e32 v19, 2, v19
	v_xor_b32_e32 v25, 1, v16
	s_waitcnt vmcnt(4)
	v_max3_f32 v18, v1, v30, v31
	s_waitcnt vmcnt(2)
	v_max3_f32 v18, v18, v32, v33
	;; [unrolled: 2-line block ×3, first 2 shown]
	ds_bpermute_b32 v20, v19, v18
	s_waitcnt lgkmcnt(0)
	v_max_f32_e32 v20, v20, v20
	v_max_f32_e32 v18, v18, v20
	v_xor_b32_e32 v20, 16, v16
	v_cmp_lt_i32_e64 s[16:17], v20, v17
	v_cndmask_b32_e64 v20, v16, v20, s[16:17]
	v_lshlrev_b32_e32 v20, 2, v20
	ds_bpermute_b32 v21, v20, v18
	s_waitcnt lgkmcnt(0)
	v_max_f32_e32 v21, v21, v21
	v_max_f32_e32 v18, v18, v21
	v_xor_b32_e32 v21, 8, v16
	v_cmp_lt_i32_e64 s[16:17], v21, v17
	v_cndmask_b32_e64 v21, v16, v21, s[16:17]
	v_lshlrev_b32_e32 v21, 2, v21
	;; [unrolled: 8-line block ×3, first 2 shown]
	ds_bpermute_b32 v23, v22, v18
	s_waitcnt lgkmcnt(0)
	v_max_f32_e32 v23, v23, v23
	v_max_f32_e32 v18, v18, v23
	v_xor_b32_e32 v23, 2, v16
	v_cmp_lt_i32_e64 s[16:17], v23, v17
	v_cndmask_b32_e64 v23, v16, v23, s[16:17]
	s_add_u32 s16, s24, s40
	s_addc_u32 s17, s25, s41
	s_add_u32 s23, s16, s26
	s_addc_u32 s24, s17, s27
	v_mov_b32_e32 v24, s24
	v_add_co_u32_e64 v2, s[16:17], s23, v2
	v_addc_co_u32_e64 v3, s[16:17], v24, v3, s[16:17]
	v_lshlrev_b32_e32 v23, 2, v23
	global_load_dword v24, v[2:3], off
	ds_bpermute_b32 v2, v23, v18
	v_mov_b32_e32 v3, s24
	s_mov_b32 s25, 0x42b17218
	s_waitcnt lgkmcnt(0)
	v_max_f32_e32 v2, v2, v2
	v_max_f32_e32 v18, v18, v2
	v_add_co_u32_e64 v2, s[16:17], s23, v4
	v_addc_co_u32_e64 v3, s[16:17], v3, v5, s[16:17]
	v_cmp_lt_i32_e64 s[16:17], v25, v17
	global_load_dword v26, v[2:3], off
	v_cndmask_b32_e64 v2, v16, v25, s[16:17]
	v_lshlrev_b32_e32 v16, 2, v2
	v_mov_b32_e32 v3, s24
	v_add_co_u32_e64 v2, s[16:17], s23, v6
	v_addc_co_u32_e64 v3, s[16:17], v3, v7, s[16:17]
	global_load_dword v25, v[2:3], off
	v_mov_b32_e32 v3, s24
	v_add_co_u32_e64 v2, s[16:17], s23, v8
	ds_bpermute_b32 v17, v16, v18
	v_addc_co_u32_e64 v3, s[16:17], v3, v9, s[16:17]
	global_load_dword v2, v[2:3], off
	v_mov_b32_e32 v5, s24
	v_add_co_u32_e64 v4, s[16:17], s23, v10
	v_addc_co_u32_e64 v5, s[16:17], v5, v11, s[16:17]
	s_waitcnt lgkmcnt(0)
	v_max_f32_e32 v10, v17, v17
	v_mov_b32_e32 v7, s24
	v_add_co_u32_e64 v6, s[16:17], s23, v12
	v_max_f32_e32 v10, v18, v10
	v_addc_co_u32_e64 v7, s[16:17], v7, v13, s[16:17]
	v_sub_f32_e32 v1, v1, v10
	v_add_co_u32_e64 v8, s[16:17], s23, v14
	s_mov_b32 s23, 0x3fb8aa3b
	v_mul_f32_e32 v3, 0x3fb8aa3b, v1
	v_fma_f32 v11, v1, s23, -v3
	v_rndne_f32_e32 v12, v3
	v_mov_b32_e32 v9, s24
	v_fmac_f32_e32 v11, 0x32a5705f, v1
	v_sub_f32_e32 v3, v3, v12
	v_addc_co_u32_e64 v9, s[16:17], v9, v15, s[16:17]
	v_add_f32_e32 v3, v3, v11
	v_cvt_i32_f32_e32 v11, v12
	global_load_dword v12, v[4:5], off
	global_load_dword v13, v[6:7], off
	;; [unrolled: 1-line block ×3, first 2 shown]
	v_sub_f32_e32 v5, v30, v10
	v_mul_f32_e32 v6, 0x3fb8aa3b, v5
	v_fma_f32 v7, v5, s23, -v6
	v_rndne_f32_e32 v8, v6
	v_exp_f32_e32 v3, v3
	v_fmac_f32_e32 v7, 0x32a5705f, v5
	v_sub_f32_e32 v6, v6, v8
	v_add_f32_e32 v6, v6, v7
	v_exp_f32_e32 v6, v6
	v_cvt_i32_f32_e32 v7, v8
	s_mov_b32 s24, 0xc2ce8ed0
	v_ldexp_f32 v3, v3, v11
	v_cmp_ngt_f32_e64 s[16:17], s24, v1
	v_cndmask_b32_e64 v3, 0, v3, s[16:17]
	v_mov_b32_e32 v4, 0x7f800000
	v_cmp_nlt_f32_e64 s[16:17], s25, v1
	v_cndmask_b32_e64 v1, v4, v3, s[16:17]
	v_ldexp_f32 v3, v6, v7
	v_sub_f32_e32 v6, v31, v10
	v_mul_f32_e32 v7, 0x3fb8aa3b, v6
	v_fma_f32 v8, v6, s23, -v7
	v_rndne_f32_e32 v9, v7
	v_fmac_f32_e32 v8, 0x32a5705f, v6
	v_sub_f32_e32 v7, v7, v9
	v_add_f32_e32 v7, v7, v8
	v_exp_f32_e32 v7, v7
	v_cvt_i32_f32_e32 v8, v9
	v_cndmask_b32_e64 v1, 0, v1, s[14:15]
	v_cmp_ngt_f32_e64 s[14:15], s24, v5
	v_cndmask_b32_e64 v3, 0, v3, s[14:15]
	v_cmp_nlt_f32_e64 s[14:15], s25, v5
	v_ldexp_f32 v5, v7, v8
	v_sub_f32_e32 v7, v32, v10
	v_mul_f32_e32 v8, 0x3fb8aa3b, v7
	v_fma_f32 v9, v7, s23, -v8
	v_rndne_f32_e32 v11, v8
	v_fmac_f32_e32 v9, 0x32a5705f, v7
	v_sub_f32_e32 v8, v8, v11
	v_add_f32_e32 v8, v8, v9
	v_exp_f32_e32 v8, v8
	v_cvt_i32_f32_e32 v9, v11
	v_cndmask_b32_e64 v3, v4, v3, s[14:15]
	v_cndmask_b32_e64 v3, 0, v3, s[12:13]
	v_cmp_ngt_f32_e64 s[12:13], s24, v6
	v_cndmask_b32_e64 v5, 0, v5, s[12:13]
	v_cmp_nlt_f32_e64 s[12:13], s25, v6
	v_ldexp_f32 v6, v8, v9
	v_sub_f32_e32 v8, v33, v10
	v_mul_f32_e32 v9, 0x3fb8aa3b, v8
	v_fma_f32 v11, v8, s23, -v9
	v_rndne_f32_e32 v15, v9
	v_fmac_f32_e32 v11, 0x32a5705f, v8
	v_sub_f32_e32 v9, v9, v15
	v_cndmask_b32_e64 v5, v4, v5, s[12:13]
	v_add_f32_e32 v9, v9, v11
	v_cndmask_b32_e64 v5, 0, v5, s[10:11]
	v_cmp_ngt_f32_e64 s[10:11], s24, v7
	v_exp_f32_e32 v9, v9
	v_cvt_i32_f32_e32 v11, v15
	v_cndmask_b32_e64 v6, 0, v6, s[10:11]
	v_cmp_nlt_f32_e64 s[10:11], s25, v7
	v_cndmask_b32_e64 v6, v4, v6, s[10:11]
	v_cndmask_b32_e64 v6, 0, v6, s[8:9]
	v_sub_f32_e32 v7, v34, v10
	s_waitcnt vmcnt(3)
	v_mul_f32_e32 v6, v2, v6
	v_ldexp_f32 v2, v9, v11
	v_mul_f32_e32 v9, 0x3fb8aa3b, v7
	v_fma_f32 v11, v7, s23, -v9
	v_rndne_f32_e32 v15, v9
	v_fmac_f32_e32 v11, 0x32a5705f, v7
	v_sub_f32_e32 v9, v9, v15
	v_add_f32_e32 v9, v9, v11
	v_cmp_ngt_f32_e64 s[8:9], s24, v8
	v_exp_f32_e32 v9, v9
	v_cvt_i32_f32_e32 v11, v15
	v_cndmask_b32_e64 v2, 0, v2, s[8:9]
	v_cmp_nlt_f32_e64 s[8:9], s25, v8
	v_cndmask_b32_e64 v2, v4, v2, s[8:9]
	v_cndmask_b32_e64 v2, 0, v2, s[2:3]
	s_waitcnt vmcnt(2)
	v_mul_f32_e32 v8, v12, v2
	v_ldexp_f32 v2, v9, v11
	v_sub_f32_e32 v9, v35, v10
	v_mul_f32_e32 v10, 0x3fb8aa3b, v9
	v_fma_f32 v11, v9, s23, -v10
	v_rndne_f32_e32 v12, v10
	v_fmac_f32_e32 v11, 0x32a5705f, v9
	v_sub_f32_e32 v10, v10, v12
	v_add_f32_e32 v10, v10, v11
	v_cmp_ngt_f32_e64 s[2:3], s24, v7
	v_exp_f32_e32 v10, v10
	v_cvt_i32_f32_e32 v11, v12
	v_cndmask_b32_e64 v2, 0, v2, s[2:3]
	v_cmp_nlt_f32_e64 s[2:3], s25, v7
	v_cndmask_b32_e64 v2, v4, v2, s[2:3]
	v_cndmask_b32_e64 v2, 0, v2, s[0:1]
	s_waitcnt vmcnt(1)
	v_mul_f32_e32 v7, v13, v2
	v_ldexp_f32 v2, v10, v11
	v_cmp_ngt_f32_e64 s[0:1], s24, v9
	v_mul_f32_e32 v1, v24, v1
	v_mul_f32_e32 v3, v26, v3
	v_cndmask_b32_e64 v2, 0, v2, s[0:1]
	v_cmp_nlt_f32_e64 s[0:1], s25, v9
	v_mul_f32_e32 v5, v25, v5
	v_cndmask_b32_e64 v2, v4, v2, s[0:1]
	v_add_f32_e32 v4, v1, v3
	v_add_f32_e32 v4, v4, v5
	;; [unrolled: 1-line block ×4, first 2 shown]
	v_cndmask_b32_e32 v2, 0, v2, vcc
	v_add_f32_e32 v4, v4, v7
	s_waitcnt vmcnt(0)
	v_fmac_f32_e32 v4, v14, v2
	ds_bpermute_b32 v9, v19, v4
	v_lshlrev_b32_e32 v11, 2, v0
	ds_write2st64_b32 v11, v1, v3 offset1:1
	v_mul_f32_e32 v10, v14, v2
	v_cmp_eq_u32_e32 vcc, 0, v0
	s_waitcnt lgkmcnt(1)
	v_add_f32_e32 v4, v4, v9
	ds_bpermute_b32 v9, v20, v4
	ds_write2st64_b32 v11, v5, v6 offset0:2 offset1:3
	ds_write2st64_b32 v11, v8, v7 offset0:4 offset1:5
	ds_write_b32 v11, v10 offset:1536
	s_waitcnt lgkmcnt(3)
	v_add_f32_e32 v4, v4, v9
	ds_bpermute_b32 v9, v21, v4
	s_waitcnt lgkmcnt(0)
	v_add_f32_e32 v4, v4, v9
	ds_bpermute_b32 v9, v22, v4
	;; [unrolled: 3-line block ×4, first 2 shown]
	s_and_saveexec_b64 s[0:1], vcc
	s_cbranch_execz .LBB118_8
; %bb.7:
	s_waitcnt lgkmcnt(0)
	v_add_f32_e32 v1, v1, v2
	v_mov_b32_e32 v2, 0
	ds_write_b32 v2, v1 offset:1792
.LBB118_8:
	s_or_b64 exec, exec, s[0:1]
	v_mov_b32_e32 v1, s22
.LBB118_9:
	s_or_b64 exec, exec, s[36:37]
	s_lshl_b32 s0, s38, 7
	s_mov_b32 s1, 0
	s_lshl_b64 s[0:1], s[0:1], 1
	s_add_u32 s0, s20, s0
	s_addc_u32 s1, s21, s1
	s_lshl_b32 s10, s33, 7
	s_waitcnt lgkmcnt(0)
	v_lshlrev_b32_e32 v2, 7, v1
	v_mov_b32_e32 v3, 0
	s_add_i32 s11, s10, 0xffffff80
	v_lshlrev_b64 v[4:5], 1, v[2:3]
	s_cmp_lt_i32 s42, 1
	v_mov_b32_e32 v1, s1
	v_add_co_u32_e32 v2, vcc, s0, v4
	s_cselect_b32 s0, s11, 0
	v_addc_co_u32_e32 v4, vcc, v1, v5, vcc
	v_lshlrev_b32_e32 v0, 1, v0
	s_ashr_i32 s1, s0, 31
	v_add_co_u32_e32 v1, vcc, v2, v0
	s_lshl_b64 s[0:1], s[0:1], 1
	v_addc_co_u32_e32 v2, vcc, 0, v4, vcc
	s_cmpk_lt_i32 s42, 0x101
	v_add_co_u32_e32 v12, vcc, s0, v1
	s_cselect_b32 s0, s11, 0x80
	v_mov_b32_e32 v4, s1
	s_ashr_i32 s1, s0, 31
	s_lshl_b64 s[0:1], s[0:1], 1
	v_addc_co_u32_e32 v13, vcc, v2, v4, vcc
	s_cmpk_lt_i32 s42, 0x201
	v_add_co_u32_e32 v14, vcc, s0, v1
	s_cselect_b32 s0, s11, 0x100
	v_mov_b32_e32 v4, s1
	s_ashr_i32 s1, s0, 31
	;; [unrolled: 7-line block ×8, first 2 shown]
	s_lshl_b64 s[0:1], s[0:1], 1
	v_addc_co_u32_e32 v27, vcc, v2, v4, vcc
	s_cmpk_lt_i32 s42, 0x901
	global_load_ushort v4, v[12:13], off
	global_load_ushort v5, v[14:15], off
	global_load_ushort v6, v[16:17], off
	global_load_ushort v7, v[18:19], off
	global_load_ushort v8, v[20:21], off
	global_load_ushort v9, v[22:23], off
	global_load_ushort v10, v[24:25], off
	global_load_ushort v11, v[26:27], off
	v_add_co_u32_e32 v20, vcc, s0, v1
	s_cselect_b32 s0, s11, 0x480
	v_mov_b32_e32 v12, s1
	s_ashr_i32 s1, s0, 31
	s_lshl_b64 s[0:1], s[0:1], 1
	v_addc_co_u32_e32 v21, vcc, v2, v12, vcc
	s_cmpk_lt_i32 s42, 0xa01
	v_add_co_u32_e32 v22, vcc, s0, v1
	s_cselect_b32 s0, s11, 0x500
	v_mov_b32_e32 v12, s1
	s_ashr_i32 s1, s0, 31
	s_lshl_b64 s[0:1], s[0:1], 1
	v_addc_co_u32_e32 v23, vcc, v2, v12, vcc
	s_cmpk_lt_i32 s42, 0xb01
	;; [unrolled: 7-line block ×6, first 2 shown]
	v_add_co_u32_e32 v32, vcc, s0, v1
	s_cselect_b32 s0, s11, 0x780
	v_mov_b32_e32 v12, s1
	s_ashr_i32 s1, s0, 31
	v_addc_co_u32_e32 v33, vcc, v2, v12, vcc
	s_lshl_b64 s[0:1], s[0:1], 1
	v_mov_b32_e32 v12, s1
	v_add_co_u32_e32 v34, vcc, s0, v1
	v_addc_co_u32_e32 v35, vcc, v2, v12, vcc
	global_load_ushort v12, v[20:21], off
	global_load_ushort v13, v[22:23], off
	global_load_ushort v14, v[24:25], off
	global_load_ushort v15, v[26:27], off
	global_load_ushort v16, v[28:29], off
	global_load_ushort v17, v[30:31], off
	global_load_ushort v18, v[32:33], off
	global_load_ushort v19, v[34:35], off
	s_cmpk_gt_i32 s42, 0x1000
	s_cselect_b64 s[8:9], -1, 0
	s_cmpk_lt_i32 s42, 0x1001
	v_mov_b32_e32 v36, 0
	v_mov_b32_e32 v37, 0
	;; [unrolled: 1-line block ×48, first 2 shown]
	s_barrier
	s_cbranch_scc1 .LBB118_12
; %bb.10:
	s_cmpk_lt_u32 s42, 0x1101
	s_cselect_b32 s0, s11, 0x880
	s_ashr_i32 s1, s0, 31
	v_add_co_u32_e32 v28, vcc, 0x1000, v1
	s_lshl_b64 s[0:1], s[0:1], 1
	v_addc_co_u32_e32 v29, vcc, 0, v2, vcc
	s_cmpk_lt_u32 s42, 0x1201
	v_add_co_u32_e32 v30, vcc, s0, v1
	s_cselect_b32 s0, s11, 0x900
	v_mov_b32_e32 v20, s1
	s_ashr_i32 s1, s0, 31
	s_lshl_b64 s[0:1], s[0:1], 1
	v_addc_co_u32_e32 v31, vcc, v2, v20, vcc
	s_cmpk_lt_u32 s42, 0x1301
	v_add_co_u32_e32 v32, vcc, s0, v1
	s_cselect_b32 s0, s11, 0x980
	v_mov_b32_e32 v20, s1
	s_ashr_i32 s1, s0, 31
	;; [unrolled: 7-line block ×7, first 2 shown]
	s_lshl_b64 s[0:1], s[0:1], 1
	v_addc_co_u32_e32 v43, vcc, v2, v20, vcc
	s_cmpk_lt_u32 s42, 0x1901
	global_load_ushort v27, v[28:29], off
	global_load_ushort v26, v[30:31], off
	;; [unrolled: 1-line block ×8, first 2 shown]
	v_add_co_u32_e32 v36, vcc, s0, v1
	s_cselect_b32 s0, s11, 0xc80
	v_mov_b32_e32 v28, s1
	s_ashr_i32 s1, s0, 31
	s_lshl_b64 s[0:1], s[0:1], 1
	v_addc_co_u32_e32 v37, vcc, v2, v28, vcc
	s_cmpk_lt_u32 s42, 0x1a01
	v_add_co_u32_e32 v38, vcc, s0, v1
	s_cselect_b32 s0, s11, 0xd00
	v_mov_b32_e32 v28, s1
	s_ashr_i32 s1, s0, 31
	s_lshl_b64 s[0:1], s[0:1], 1
	v_addc_co_u32_e32 v39, vcc, v2, v28, vcc
	s_cmpk_lt_u32 s42, 0x1b01
	;; [unrolled: 7-line block ×6, first 2 shown]
	v_add_co_u32_e32 v48, vcc, s0, v1
	s_cselect_b32 s0, s11, 0xf80
	v_mov_b32_e32 v28, s1
	s_ashr_i32 s1, s0, 31
	v_addc_co_u32_e32 v49, vcc, v2, v28, vcc
	s_lshl_b64 s[0:1], s[0:1], 1
	v_mov_b32_e32 v28, s1
	v_add_co_u32_e32 v50, vcc, s0, v1
	v_addc_co_u32_e32 v51, vcc, v2, v28, vcc
	global_load_ushort v35, v[36:37], off
	global_load_ushort v34, v[38:39], off
	;; [unrolled: 1-line block ×8, first 2 shown]
	s_cmpk_lt_u32 s42, 0x2001
	v_mov_b32_e32 v67, 0
	v_mov_b32_e32 v66, 0
	;; [unrolled: 1-line block ×32, first 2 shown]
	s_cbranch_scc1 .LBB118_12
; %bb.11:
	s_cmpk_lt_u32 s42, 0x2101
	s_cselect_b32 s0, s11, 0x1080
	s_ashr_i32 s1, s0, 31
	v_add_co_u32_e32 v36, vcc, 0x2000, v1
	s_lshl_b64 s[0:1], s[0:1], 1
	v_addc_co_u32_e32 v37, vcc, 0, v2, vcc
	s_cmpk_lt_u32 s42, 0x2201
	v_add_co_u32_e32 v38, vcc, s0, v1
	s_cselect_b32 s0, s11, 0x1100
	v_mov_b32_e32 v39, s1
	s_ashr_i32 s1, s0, 31
	s_lshl_b64 s[0:1], s[0:1], 1
	v_addc_co_u32_e32 v39, vcc, v2, v39, vcc
	s_cmpk_lt_u32 s42, 0x2301
	v_add_co_u32_e32 v40, vcc, s0, v1
	s_cselect_b32 s0, s11, 0x1180
	v_mov_b32_e32 v41, s1
	s_ashr_i32 s1, s0, 31
	s_lshl_b64 s[0:1], s[0:1], 1
	v_addc_co_u32_e32 v41, vcc, v2, v41, vcc
	s_cmpk_lt_u32 s42, 0x2401
	v_add_co_u32_e32 v42, vcc, s0, v1
	s_cselect_b32 s0, s11, 0x1200
	v_mov_b32_e32 v43, s1
	s_ashr_i32 s1, s0, 31
	s_lshl_b64 s[0:1], s[0:1], 1
	v_addc_co_u32_e32 v43, vcc, v2, v43, vcc
	s_cmpk_lt_u32 s42, 0x2501
	v_add_co_u32_e32 v44, vcc, s0, v1
	s_cselect_b32 s0, s11, 0x1280
	v_mov_b32_e32 v45, s1
	s_ashr_i32 s1, s0, 31
	s_lshl_b64 s[0:1], s[0:1], 1
	v_addc_co_u32_e32 v45, vcc, v2, v45, vcc
	s_cmpk_lt_u32 s42, 0x2601
	v_add_co_u32_e32 v46, vcc, s0, v1
	s_cselect_b32 s0, s11, 0x1300
	v_mov_b32_e32 v47, s1
	s_ashr_i32 s1, s0, 31
	s_lshl_b64 s[0:1], s[0:1], 1
	v_addc_co_u32_e32 v47, vcc, v2, v47, vcc
	s_cmpk_lt_u32 s42, 0x2701
	v_add_co_u32_e32 v48, vcc, s0, v1
	s_cselect_b32 s0, s11, 0x1380
	v_mov_b32_e32 v49, s1
	s_ashr_i32 s1, s0, 31
	s_lshl_b64 s[0:1], s[0:1], 1
	v_addc_co_u32_e32 v49, vcc, v2, v49, vcc
	s_cmpk_lt_u32 s42, 0x2801
	v_add_co_u32_e32 v50, vcc, s0, v1
	s_cselect_b32 s0, s11, 0x1400
	v_mov_b32_e32 v51, s1
	s_ashr_i32 s1, s0, 31
	s_lshl_b64 s[0:1], s[0:1], 1
	v_addc_co_u32_e32 v51, vcc, v2, v51, vcc
	s_cmpk_lt_u32 s42, 0x2901
	global_load_ushort v52, v[36:37], off
	global_load_ushort v53, v[38:39], off
	global_load_ushort v54, v[40:41], off
	global_load_ushort v55, v[42:43], off
	global_load_ushort v56, v[44:45], off
	global_load_ushort v57, v[46:47], off
	global_load_ushort v58, v[48:49], off
	global_load_ushort v59, v[50:51], off
	v_add_co_u32_e32 v36, vcc, s0, v1
	s_cselect_b32 s0, s11, 0x1480
	v_mov_b32_e32 v37, s1
	s_ashr_i32 s1, s0, 31
	s_lshl_b64 s[0:1], s[0:1], 1
	v_addc_co_u32_e32 v37, vcc, v2, v37, vcc
	s_cmpk_lt_u32 s42, 0x2a01
	v_add_co_u32_e32 v38, vcc, s0, v1
	s_cselect_b32 s0, s11, 0x1500
	v_mov_b32_e32 v39, s1
	s_ashr_i32 s1, s0, 31
	s_lshl_b64 s[0:1], s[0:1], 1
	v_addc_co_u32_e32 v39, vcc, v2, v39, vcc
	s_cmpk_lt_u32 s42, 0x2b01
	v_add_co_u32_e32 v40, vcc, s0, v1
	s_cselect_b32 s0, s11, 0x1580
	v_mov_b32_e32 v41, s1
	s_ashr_i32 s1, s0, 31
	s_lshl_b64 s[0:1], s[0:1], 1
	v_addc_co_u32_e32 v41, vcc, v2, v41, vcc
	s_cmpk_lt_u32 s42, 0x2c01
	v_add_co_u32_e32 v42, vcc, s0, v1
	s_cselect_b32 s0, s11, 0x1600
	v_mov_b32_e32 v43, s1
	s_ashr_i32 s1, s0, 31
	s_lshl_b64 s[0:1], s[0:1], 1
	v_addc_co_u32_e32 v43, vcc, v2, v43, vcc
	s_cmpk_lt_u32 s42, 0x2d01
	v_add_co_u32_e32 v44, vcc, s0, v1
	s_cselect_b32 s0, s11, 0x1680
	v_mov_b32_e32 v45, s1
	s_ashr_i32 s1, s0, 31
	s_lshl_b64 s[0:1], s[0:1], 1
	v_addc_co_u32_e32 v45, vcc, v2, v45, vcc
	s_cmpk_lt_u32 s42, 0x2e01
	v_add_co_u32_e32 v46, vcc, s0, v1
	s_cselect_b32 s0, s11, 0x1700
	v_mov_b32_e32 v47, s1
	s_ashr_i32 s1, s0, 31
	s_lshl_b64 s[0:1], s[0:1], 1
	v_addc_co_u32_e32 v47, vcc, v2, v47, vcc
	s_cmpk_lt_u32 s42, 0x2f01
	v_add_co_u32_e32 v48, vcc, s0, v1
	s_cselect_b32 s0, s11, 0x1780
	v_mov_b32_e32 v49, s1
	s_ashr_i32 s1, s0, 31
	s_lshl_b64 s[0:1], s[0:1], 1
	v_addc_co_u32_e32 v49, vcc, v2, v49, vcc
	s_cmpk_lt_u32 s42, 0x3001
	v_add_co_u32_e32 v50, vcc, s0, v1
	s_cselect_b32 s0, s11, 0x1800
	v_mov_b32_e32 v51, s1
	s_ashr_i32 s1, s0, 31
	s_lshl_b64 s[0:1], s[0:1], 1
	v_addc_co_u32_e32 v51, vcc, v2, v51, vcc
	s_cmpk_lt_u32 s42, 0x3101
	global_load_ushort v68, v[36:37], off
	global_load_ushort v69, v[38:39], off
	global_load_ushort v70, v[40:41], off
	global_load_ushort v71, v[42:43], off
	global_load_ushort v72, v[44:45], off
	global_load_ushort v73, v[46:47], off
	global_load_ushort v74, v[48:49], off
	global_load_ushort v75, v[50:51], off
	v_add_co_u32_e32 v36, vcc, s0, v1
	s_cselect_b32 s0, s11, 0x1880
	v_mov_b32_e32 v37, s1
	s_ashr_i32 s1, s0, 31
	;; [unrolled: 64-line block ×3, first 2 shown]
	s_lshl_b64 s[0:1], s[0:1], 1
	v_addc_co_u32_e32 v37, vcc, v2, v37, vcc
	s_cmpk_lt_u32 s42, 0x3a01
	v_add_co_u32_e32 v38, vcc, s0, v1
	s_cselect_b32 s0, s11, 0x1d00
	v_mov_b32_e32 v39, s1
	s_ashr_i32 s1, s0, 31
	s_lshl_b64 s[0:1], s[0:1], 1
	v_addc_co_u32_e32 v39, vcc, v2, v39, vcc
	s_cmpk_lt_u32 s42, 0x3b01
	v_add_co_u32_e32 v40, vcc, s0, v1
	s_cselect_b32 s0, s11, 0x1d80
	v_mov_b32_e32 v41, s1
	s_ashr_i32 s1, s0, 31
	;; [unrolled: 7-line block ×6, first 2 shown]
	v_addc_co_u32_e32 v49, vcc, v2, v49, vcc
	s_lshl_b64 s[0:1], s[0:1], 1
	v_mov_b32_e32 v51, s1
	v_add_co_u32_e32 v50, vcc, s0, v1
	v_addc_co_u32_e32 v51, vcc, v2, v51, vcc
	global_load_ushort v84, v[36:37], off
	global_load_ushort v85, v[38:39], off
	;; [unrolled: 1-line block ×8, first 2 shown]
	s_waitcnt vmcnt(31)
	v_cvt_f32_f16_e32 v67, v52
	s_waitcnt vmcnt(30)
	v_cvt_f32_f16_e32 v66, v53
	;; [unrolled: 2-line block ×32, first 2 shown]
.LBB118_12:
	ds_read_b128 v[68:71], v3
	s_load_dwordx2 s[0:1], s[4:5], 0x0
	s_load_dwordx2 s[2:3], s[4:5], 0x38
	ds_read_b128 v[72:75], v3 offset:16
	ds_read_b128 v[76:79], v3 offset:32
	;; [unrolled: 1-line block ×3, first 2 shown]
	s_and_b64 vcc, exec, s[8:9]
	s_waitcnt vmcnt(15) lgkmcnt(0)
	v_fma_mix_f32 v4, v68, v4, 0 op_sel_hi:[0,1,0]
	s_waitcnt vmcnt(14)
	v_fma_mix_f32 v4, v69, v5, v4 op_sel_hi:[0,1,0]
	s_waitcnt vmcnt(13)
	;; [unrolled: 2-line block ×15, first 2 shown]
	v_fma_mix_f32 v4, v83, v19, v4 op_sel_hi:[0,1,0]
	s_cbranch_vccz .LBB118_15
; %bb.13:
	ds_read_b128 v[6:9], v3 offset:64
	ds_read_b128 v[10:13], v3 offset:80
	;; [unrolled: 1-line block ×4, first 2 shown]
	s_cmpk_lt_u32 s42, 0x2001
	s_waitcnt lgkmcnt(3)
	v_fma_mix_f32 v3, v6, v27, v4 op_sel_hi:[0,1,0]
	v_fma_mix_f32 v3, v7, v26, v3 op_sel_hi:[0,1,0]
	v_fma_mix_f32 v3, v8, v25, v3 op_sel_hi:[0,1,0]
	v_fma_mix_f32 v3, v9, v24, v3 op_sel_hi:[0,1,0]
	s_waitcnt lgkmcnt(2)
	v_fma_mix_f32 v3, v10, v23, v3 op_sel_hi:[0,1,0]
	v_fma_mix_f32 v3, v11, v22, v3 op_sel_hi:[0,1,0]
	v_fma_mix_f32 v3, v12, v20, v3 op_sel_hi:[0,1,0]
	v_fma_mix_f32 v3, v13, v21, v3 op_sel_hi:[0,1,0]
	;; [unrolled: 5-line block ×4, first 2 shown]
	s_cbranch_scc1 .LBB118_15
; %bb.14:
	v_mov_b32_e32 v3, 0
	ds_read_b128 v[6:9], v3 offset:128
	ds_read_b128 v[10:13], v3 offset:144
	;; [unrolled: 1-line block ×4, first 2 shown]
	s_waitcnt lgkmcnt(3)
	v_fmac_f32_e32 v4, v6, v67
	v_fmac_f32_e32 v4, v7, v66
	v_fmac_f32_e32 v4, v8, v65
	v_fmac_f32_e32 v4, v9, v64
	s_waitcnt lgkmcnt(2)
	v_fmac_f32_e32 v4, v10, v63
	v_fmac_f32_e32 v4, v11, v62
	v_fmac_f32_e32 v4, v12, v61
	v_fmac_f32_e32 v4, v13, v60
	;; [unrolled: 5-line block ×3, first 2 shown]
	ds_read_b128 v[6:9], v3 offset:192
	ds_read_b128 v[10:13], v3 offset:208
	s_waitcnt lgkmcnt(2)
	v_fmac_f32_e32 v4, v18, v55
	v_fmac_f32_e32 v4, v19, v54
	;; [unrolled: 1-line block ×4, first 2 shown]
	s_waitcnt lgkmcnt(1)
	v_fmac_f32_e32 v4, v6, v51
	v_fmac_f32_e32 v4, v7, v50
	;; [unrolled: 1-line block ×4, first 2 shown]
	ds_read_b128 v[6:9], v3 offset:224
	s_waitcnt lgkmcnt(1)
	v_fmac_f32_e32 v4, v10, v47
	v_fmac_f32_e32 v4, v11, v46
	v_fmac_f32_e32 v4, v12, v45
	v_fmac_f32_e32 v4, v13, v44
	ds_read_b128 v[10:13], v3 offset:240
	s_waitcnt lgkmcnt(1)
	v_fmac_f32_e32 v4, v6, v43
	v_fmac_f32_e32 v4, v7, v42
	;; [unrolled: 1-line block ×4, first 2 shown]
	s_waitcnt lgkmcnt(0)
	v_fmac_f32_e32 v4, v10, v39
	v_fmac_f32_e32 v4, v11, v38
	v_fmac_f32_e32 v4, v12, v37
	v_fmac_f32_e32 v4, v13, v36
.LBB118_15:
	s_movk_i32 s4, 0x3f80
	s_movk_i32 s5, 0x100
	s_mov_b32 s8, 64
	s_branch .LBB118_17
.LBB118_16:                             ;   in Loop: Header=BB118_17 Depth=1
	s_addk_i32 s4, 0x2000
	s_addk_i32 s5, 0x100
	s_add_i32 s8, s8, 64
	s_cmpk_eq_u32 s4, 0xff80
	s_cbranch_scc1 .LBB118_19
.LBB118_17:                             ; =>This Inner Loop Header: Depth=1
	s_cmp_le_i32 s33, s8
	s_cbranch_scc1 .LBB118_16
; %bb.18:                               ;   in Loop: Header=BB118_17 Depth=1
	s_add_i32 s9, s4, 0xffffe080
	s_cmp_lt_i32 s9, s10
	s_cselect_b32 s12, s9, s11
	s_ashr_i32 s13, s12, 31
	s_lshl_b64 s[12:13], s[12:13], 1
	s_add_i32 s9, s4, 0xffffe100
	s_cmp_lt_i32 s9, s10
	v_add_co_u32_e32 v12, vcc, s12, v1
	s_cselect_b32 s12, s9, s11
	v_mov_b32_e32 v3, s13
	s_ashr_i32 s13, s12, 31
	s_lshl_b64 s[12:13], s[12:13], 1
	s_add_i32 s9, s4, 0xffffe180
	v_addc_co_u32_e32 v13, vcc, v2, v3, vcc
	s_cmp_lt_i32 s9, s10
	v_add_co_u32_e32 v14, vcc, s12, v1
	s_cselect_b32 s12, s9, s11
	v_mov_b32_e32 v3, s13
	s_ashr_i32 s13, s12, 31
	s_lshl_b64 s[12:13], s[12:13], 1
	s_add_i32 s9, s4, 0xffffe200
	v_addc_co_u32_e32 v15, vcc, v2, v3, vcc
	;; [unrolled: 8-line block ×8, first 2 shown]
	s_cmp_lt_i32 s9, s10
	global_load_ushort v3, v[12:13], off
	global_load_ushort v5, v[14:15], off
	;; [unrolled: 1-line block ×8, first 2 shown]
	v_add_co_u32_e32 v20, vcc, s12, v1
	s_cselect_b32 s12, s9, s11
	v_mov_b32_e32 v12, s13
	s_ashr_i32 s13, s12, 31
	s_lshl_b64 s[12:13], s[12:13], 1
	s_add_i32 s9, s4, 0xffffe580
	v_addc_co_u32_e32 v21, vcc, v2, v12, vcc
	s_cmp_lt_i32 s9, s10
	v_add_co_u32_e32 v22, vcc, s12, v1
	s_cselect_b32 s12, s9, s11
	v_mov_b32_e32 v12, s13
	s_ashr_i32 s13, s12, 31
	s_lshl_b64 s[12:13], s[12:13], 1
	s_add_i32 s9, s4, 0xffffe600
	v_addc_co_u32_e32 v23, vcc, v2, v12, vcc
	s_cmp_lt_i32 s9, s10
	;; [unrolled: 8-line block ×8, first 2 shown]
	global_load_ushort v15, v[20:21], off
	global_load_ushort v16, v[22:23], off
	;; [unrolled: 1-line block ×8, first 2 shown]
	v_add_co_u32_e32 v28, vcc, s12, v1
	s_cselect_b32 s12, s9, s11
	v_mov_b32_e32 v20, s13
	s_ashr_i32 s13, s12, 31
	s_lshl_b64 s[12:13], s[12:13], 1
	s_add_i32 s9, s4, 0xffffe980
	v_addc_co_u32_e32 v29, vcc, v2, v20, vcc
	s_cmp_lt_i32 s9, s10
	v_add_co_u32_e32 v30, vcc, s12, v1
	s_cselect_b32 s12, s9, s11
	v_mov_b32_e32 v20, s13
	s_ashr_i32 s13, s12, 31
	s_lshl_b64 s[12:13], s[12:13], 1
	s_add_i32 s9, s4, 0xffffea00
	v_addc_co_u32_e32 v31, vcc, v2, v20, vcc
	s_cmp_lt_i32 s9, s10
	;; [unrolled: 8-line block ×8, first 2 shown]
	global_load_ushort v23, v[28:29], off
	global_load_ushort v24, v[30:31], off
	;; [unrolled: 1-line block ×8, first 2 shown]
	v_add_co_u32_e32 v36, vcc, s12, v1
	s_cselect_b32 s12, s9, s11
	v_mov_b32_e32 v28, s13
	s_ashr_i32 s13, s12, 31
	s_lshl_b64 s[12:13], s[12:13], 1
	s_add_i32 s9, s4, 0xffffed80
	v_addc_co_u32_e32 v37, vcc, v2, v28, vcc
	s_cmp_lt_i32 s9, s10
	v_add_co_u32_e32 v38, vcc, s12, v1
	s_cselect_b32 s12, s9, s11
	v_mov_b32_e32 v28, s13
	s_ashr_i32 s13, s12, 31
	s_lshl_b64 s[12:13], s[12:13], 1
	s_add_i32 s9, s4, 0xffffee00
	v_addc_co_u32_e32 v39, vcc, v2, v28, vcc
	s_cmp_lt_i32 s9, s10
	;; [unrolled: 8-line block ×8, first 2 shown]
	global_load_ushort v31, v[36:37], off
	global_load_ushort v32, v[38:39], off
	global_load_ushort v33, v[40:41], off
	global_load_ushort v34, v[42:43], off
	global_load_ushort v35, v[44:45], off
	global_load_ushort v28, v[46:47], off
	global_load_ushort v29, v[48:49], off
	global_load_ushort v30, v[50:51], off
	v_add_co_u32_e32 v36, vcc, s12, v1
	s_cselect_b32 s12, s9, s11
	v_mov_b32_e32 v37, s13
	s_ashr_i32 s13, s12, 31
	s_lshl_b64 s[12:13], s[12:13], 1
	s_add_i32 s9, s4, 0xfffff180
	v_addc_co_u32_e32 v37, vcc, v2, v37, vcc
	s_cmp_lt_i32 s9, s10
	v_add_co_u32_e32 v38, vcc, s12, v1
	s_cselect_b32 s12, s9, s11
	v_mov_b32_e32 v39, s13
	s_ashr_i32 s13, s12, 31
	s_lshl_b64 s[12:13], s[12:13], 1
	s_add_i32 s9, s4, 0xfffff200
	v_addc_co_u32_e32 v39, vcc, v2, v39, vcc
	s_cmp_lt_i32 s9, s10
	v_add_co_u32_e32 v40, vcc, s12, v1
	s_cselect_b32 s12, s9, s11
	v_mov_b32_e32 v41, s13
	s_ashr_i32 s13, s12, 31
	s_lshl_b64 s[12:13], s[12:13], 1
	s_add_i32 s9, s4, 0xfffff280
	v_addc_co_u32_e32 v41, vcc, v2, v41, vcc
	s_cmp_lt_i32 s9, s10
	v_add_co_u32_e32 v42, vcc, s12, v1
	s_cselect_b32 s12, s9, s11
	v_mov_b32_e32 v43, s13
	s_ashr_i32 s13, s12, 31
	s_lshl_b64 s[12:13], s[12:13], 1
	s_add_i32 s9, s4, 0xfffff300
	v_addc_co_u32_e32 v43, vcc, v2, v43, vcc
	s_cmp_lt_i32 s9, s10
	v_add_co_u32_e32 v44, vcc, s12, v1
	s_cselect_b32 s12, s9, s11
	v_mov_b32_e32 v45, s13
	s_ashr_i32 s13, s12, 31
	s_lshl_b64 s[12:13], s[12:13], 1
	s_add_i32 s9, s4, 0xfffff380
	v_addc_co_u32_e32 v45, vcc, v2, v45, vcc
	s_cmp_lt_i32 s9, s10
	v_add_co_u32_e32 v46, vcc, s12, v1
	s_cselect_b32 s12, s9, s11
	v_mov_b32_e32 v47, s13
	s_ashr_i32 s13, s12, 31
	s_lshl_b64 s[12:13], s[12:13], 1
	s_add_i32 s9, s4, 0xfffff400
	v_addc_co_u32_e32 v47, vcc, v2, v47, vcc
	s_cmp_lt_i32 s9, s10
	v_add_co_u32_e32 v48, vcc, s12, v1
	s_cselect_b32 s12, s9, s11
	v_mov_b32_e32 v49, s13
	s_ashr_i32 s13, s12, 31
	s_lshl_b64 s[12:13], s[12:13], 1
	s_add_i32 s9, s4, 0xfffff480
	v_addc_co_u32_e32 v49, vcc, v2, v49, vcc
	s_cmp_lt_i32 s9, s10
	v_add_co_u32_e32 v50, vcc, s12, v1
	s_cselect_b32 s12, s9, s11
	v_mov_b32_e32 v51, s13
	s_ashr_i32 s13, s12, 31
	s_lshl_b64 s[12:13], s[12:13], 1
	s_add_i32 s9, s4, 0xfffff500
	v_addc_co_u32_e32 v51, vcc, v2, v51, vcc
	s_cmp_lt_i32 s9, s10
	global_load_ushort v52, v[36:37], off
	global_load_ushort v53, v[38:39], off
	;; [unrolled: 1-line block ×8, first 2 shown]
	v_add_co_u32_e32 v36, vcc, s12, v1
	s_cselect_b32 s12, s9, s11
	v_mov_b32_e32 v37, s13
	s_ashr_i32 s13, s12, 31
	s_lshl_b64 s[12:13], s[12:13], 1
	s_add_i32 s9, s4, 0xfffff580
	v_addc_co_u32_e32 v37, vcc, v2, v37, vcc
	s_cmp_lt_i32 s9, s10
	v_add_co_u32_e32 v38, vcc, s12, v1
	s_cselect_b32 s12, s9, s11
	v_mov_b32_e32 v39, s13
	s_ashr_i32 s13, s12, 31
	s_lshl_b64 s[12:13], s[12:13], 1
	s_add_i32 s9, s4, 0xfffff600
	v_addc_co_u32_e32 v39, vcc, v2, v39, vcc
	s_cmp_lt_i32 s9, s10
	v_add_co_u32_e32 v40, vcc, s12, v1
	s_cselect_b32 s12, s9, s11
	v_mov_b32_e32 v41, s13
	s_ashr_i32 s13, s12, 31
	s_lshl_b64 s[12:13], s[12:13], 1
	s_add_i32 s9, s4, 0xfffff680
	v_addc_co_u32_e32 v41, vcc, v2, v41, vcc
	s_cmp_lt_i32 s9, s10
	v_add_co_u32_e32 v42, vcc, s12, v1
	s_cselect_b32 s12, s9, s11
	v_mov_b32_e32 v43, s13
	s_ashr_i32 s13, s12, 31
	s_lshl_b64 s[12:13], s[12:13], 1
	s_add_i32 s9, s4, 0xfffff700
	v_addc_co_u32_e32 v43, vcc, v2, v43, vcc
	s_cmp_lt_i32 s9, s10
	v_add_co_u32_e32 v44, vcc, s12, v1
	s_cselect_b32 s12, s9, s11
	v_mov_b32_e32 v45, s13
	s_ashr_i32 s13, s12, 31
	s_lshl_b64 s[12:13], s[12:13], 1
	s_add_i32 s9, s4, 0xfffff780
	v_addc_co_u32_e32 v45, vcc, v2, v45, vcc
	s_cmp_lt_i32 s9, s10
	v_add_co_u32_e32 v46, vcc, s12, v1
	s_cselect_b32 s12, s9, s11
	v_mov_b32_e32 v47, s13
	s_ashr_i32 s13, s12, 31
	s_lshl_b64 s[12:13], s[12:13], 1
	s_add_i32 s9, s4, 0xfffff800
	v_addc_co_u32_e32 v47, vcc, v2, v47, vcc
	s_cmp_lt_i32 s9, s10
	v_add_co_u32_e32 v48, vcc, s12, v1
	s_cselect_b32 s12, s9, s11
	v_mov_b32_e32 v49, s13
	s_ashr_i32 s13, s12, 31
	s_lshl_b64 s[12:13], s[12:13], 1
	s_add_i32 s9, s4, 0xfffff880
	v_addc_co_u32_e32 v49, vcc, v2, v49, vcc
	s_cmp_lt_i32 s9, s10
	v_add_co_u32_e32 v50, vcc, s12, v1
	s_cselect_b32 s12, s9, s11
	v_mov_b32_e32 v51, s13
	s_ashr_i32 s13, s12, 31
	s_lshl_b64 s[12:13], s[12:13], 1
	s_add_i32 s9, s4, 0xfffff900
	v_addc_co_u32_e32 v51, vcc, v2, v51, vcc
	s_cmp_lt_i32 s9, s10
	global_load_ushort v60, v[36:37], off
	global_load_ushort v61, v[38:39], off
	;; [unrolled: 1-line block ×8, first 2 shown]
	v_add_co_u32_e32 v36, vcc, s12, v1
	s_cselect_b32 s12, s9, s11
	v_mov_b32_e32 v37, s13
	s_ashr_i32 s13, s12, 31
	s_lshl_b64 s[12:13], s[12:13], 1
	s_add_i32 s9, s4, 0xfffff980
	v_addc_co_u32_e32 v37, vcc, v2, v37, vcc
	s_cmp_lt_i32 s9, s10
	v_add_co_u32_e32 v38, vcc, s12, v1
	s_cselect_b32 s12, s9, s11
	v_mov_b32_e32 v39, s13
	s_ashr_i32 s13, s12, 31
	s_lshl_b64 s[12:13], s[12:13], 1
	s_add_i32 s9, s4, 0xfffffa00
	v_addc_co_u32_e32 v39, vcc, v2, v39, vcc
	s_cmp_lt_i32 s9, s10
	;; [unrolled: 8-line block ×8, first 2 shown]
	global_load_ushort v68, v[36:37], off
	global_load_ushort v69, v[38:39], off
	;; [unrolled: 1-line block ×8, first 2 shown]
	v_add_co_u32_e32 v36, vcc, s12, v1
	s_cselect_b32 s12, s9, s11
	v_mov_b32_e32 v37, s13
	s_ashr_i32 s13, s12, 31
	s_lshl_b64 s[12:13], s[12:13], 1
	s_add_i32 s9, s4, 0xfffffd80
	v_addc_co_u32_e32 v37, vcc, v2, v37, vcc
	s_cmp_lt_i32 s9, s10
	v_add_co_u32_e32 v38, vcc, s12, v1
	s_cselect_b32 s12, s9, s11
	v_mov_b32_e32 v39, s13
	s_ashr_i32 s13, s12, 31
	s_lshl_b64 s[12:13], s[12:13], 1
	s_add_i32 s9, s4, 0xfffffe00
	v_addc_co_u32_e32 v39, vcc, v2, v39, vcc
	s_cmp_lt_i32 s9, s10
	v_add_co_u32_e32 v40, vcc, s12, v1
	s_cselect_b32 s12, s9, s11
	v_mov_b32_e32 v41, s13
	s_ashr_i32 s13, s12, 31
	s_lshl_b64 s[12:13], s[12:13], 1
	s_add_i32 s9, s4, 0xfffffe80
	v_addc_co_u32_e32 v41, vcc, v2, v41, vcc
	s_cmp_lt_i32 s9, s10
	v_add_co_u32_e32 v42, vcc, s12, v1
	s_cselect_b32 s12, s9, s11
	v_mov_b32_e32 v43, s13
	s_ashr_i32 s13, s12, 31
	s_lshl_b64 s[12:13], s[12:13], 1
	s_add_i32 s9, s4, 0xffffff00
	v_addc_co_u32_e32 v43, vcc, v2, v43, vcc
	s_cmp_lt_i32 s9, s10
	v_add_co_u32_e32 v44, vcc, s12, v1
	s_cselect_b32 s12, s9, s11
	v_mov_b32_e32 v45, s13
	s_ashr_i32 s13, s12, 31
	s_lshl_b64 s[12:13], s[12:13], 1
	s_add_i32 s9, s4, 0xffffff80
	v_addc_co_u32_e32 v45, vcc, v2, v45, vcc
	s_cmp_lt_i32 s9, s10
	v_add_co_u32_e32 v46, vcc, s12, v1
	s_cselect_b32 s12, s9, s11
	v_mov_b32_e32 v47, s13
	s_ashr_i32 s13, s12, 31
	s_lshl_b64 s[12:13], s[12:13], 1
	v_addc_co_u32_e32 v47, vcc, v2, v47, vcc
	s_cmp_lt_i32 s4, s10
	v_add_co_u32_e32 v48, vcc, s12, v1
	s_cselect_b32 s12, s4, s11
	v_mov_b32_e32 v49, s13
	s_ashr_i32 s13, s12, 31
	v_addc_co_u32_e32 v49, vcc, v2, v49, vcc
	s_lshl_b64 s[12:13], s[12:13], 1
	v_mov_b32_e32 v51, s13
	v_add_co_u32_e32 v50, vcc, s12, v1
	v_addc_co_u32_e32 v51, vcc, v2, v51, vcc
	global_load_ushort v76, v[36:37], off
	global_load_ushort v77, v[38:39], off
	;; [unrolled: 1-line block ×8, first 2 shown]
	v_mov_b32_e32 v84, s5
	ds_read_b128 v[36:39], v84
	ds_read_b128 v[40:43], v84 offset:16
	ds_read_b128 v[44:47], v84 offset:32
	;; [unrolled: 1-line block ×3, first 2 shown]
	s_waitcnt vmcnt(62) lgkmcnt(3)
	v_fma_mix_f32 v3, v36, v3, v4 op_sel_hi:[0,1,0]
	v_fma_mix_f32 v3, v37, v5, v3 op_sel_hi:[0,1,0]
	s_waitcnt vmcnt(61)
	v_fma_mix_f32 v3, v38, v6, v3 op_sel_hi:[0,1,0]
	s_waitcnt vmcnt(60)
	v_fma_mix_f32 v3, v39, v7, v3 op_sel_hi:[0,1,0]
	s_waitcnt vmcnt(59) lgkmcnt(2)
	v_fma_mix_f32 v3, v40, v8, v3 op_sel_hi:[0,1,0]
	s_waitcnt vmcnt(58)
	v_fma_mix_f32 v3, v41, v9, v3 op_sel_hi:[0,1,0]
	s_waitcnt vmcnt(57)
	;; [unrolled: 2-line block ×3, first 2 shown]
	v_fma_mix_f32 v3, v43, v11, v3 op_sel_hi:[0,1,0]
	s_waitcnt vmcnt(55) lgkmcnt(1)
	v_fma_mix_f32 v3, v44, v15, v3 op_sel_hi:[0,1,0]
	s_waitcnt vmcnt(54)
	v_fma_mix_f32 v3, v45, v16, v3 op_sel_hi:[0,1,0]
	s_waitcnt vmcnt(53)
	;; [unrolled: 2-line block ×3, first 2 shown]
	v_fma_mix_f32 v3, v47, v18, v3 op_sel_hi:[0,1,0]
	ds_read_b128 v[4:7], v84 offset:64
	ds_read_b128 v[8:11], v84 offset:80
	s_waitcnt vmcnt(51) lgkmcnt(2)
	v_fma_mix_f32 v3, v48, v19, v3 op_sel_hi:[0,1,0]
	s_waitcnt vmcnt(50)
	v_fma_mix_f32 v3, v49, v12, v3 op_sel_hi:[0,1,0]
	s_waitcnt vmcnt(49)
	;; [unrolled: 2-line block ×3, first 2 shown]
	v_fma_mix_f32 v3, v51, v14, v3 op_sel_hi:[0,1,0]
	s_waitcnt vmcnt(47) lgkmcnt(1)
	v_fma_mix_f32 v3, v4, v23, v3 op_sel_hi:[0,1,0]
	s_waitcnt vmcnt(46)
	v_fma_mix_f32 v3, v5, v24, v3 op_sel_hi:[0,1,0]
	s_waitcnt vmcnt(45)
	v_fma_mix_f32 v3, v6, v25, v3 op_sel_hi:[0,1,0]
	s_waitcnt vmcnt(44)
	v_fma_mix_f32 v3, v7, v26, v3 op_sel_hi:[0,1,0]
	ds_read_b128 v[4:7], v84 offset:96
	s_waitcnt vmcnt(43) lgkmcnt(1)
	v_fma_mix_f32 v3, v8, v27, v3 op_sel_hi:[0,1,0]
	s_waitcnt vmcnt(42)
	v_fma_mix_f32 v3, v9, v20, v3 op_sel_hi:[0,1,0]
	s_waitcnt vmcnt(41)
	v_fma_mix_f32 v3, v10, v21, v3 op_sel_hi:[0,1,0]
	s_waitcnt vmcnt(40)
	v_fma_mix_f32 v3, v11, v22, v3 op_sel_hi:[0,1,0]
	ds_read_b128 v[8:11], v84 offset:112
	;; [unrolled: 9-line block ×10, first 2 shown]
	s_waitcnt vmcnt(7) lgkmcnt(1)
	v_fma_mix_f32 v3, v4, v76, v3 op_sel_hi:[0,1,0]
	s_waitcnt vmcnt(6)
	v_fma_mix_f32 v3, v5, v77, v3 op_sel_hi:[0,1,0]
	s_waitcnt vmcnt(5)
	;; [unrolled: 2-line block ×3, first 2 shown]
	v_fma_mix_f32 v3, v7, v79, v3 op_sel_hi:[0,1,0]
	s_waitcnt vmcnt(3) lgkmcnt(0)
	v_fma_mix_f32 v3, v8, v80, v3 op_sel_hi:[0,1,0]
	s_waitcnt vmcnt(2)
	v_fma_mix_f32 v3, v9, v81, v3 op_sel_hi:[0,1,0]
	s_waitcnt vmcnt(1)
	;; [unrolled: 2-line block ×3, first 2 shown]
	v_fma_mix_f32 v4, v11, v83, v3 op_sel_hi:[0,1,0]
	s_branch .LBB118_16
.LBB118_19:
	v_mov_b32_e32 v1, 0
	ds_read_b32 v2, v1 offset:1792
	s_cmp_lg_u64 s[2:3], 0
	s_cbranch_scc0 .LBB118_24
; %bb.20:
	s_load_dword s4, s[2:3], 0x0
	s_waitcnt lgkmcnt(0)
	v_div_scale_f32 v1, s[2:3], s4, s4, 1.0
	v_rcp_f32_e32 v3, v1
	v_div_scale_f32 v5, vcc, 1.0, s4, 1.0
	v_fma_f32 v6, -v1, v3, 1.0
	v_fmac_f32_e32 v3, v6, v3
	v_mul_f32_e32 v6, v5, v3
	v_fma_f32 v7, -v1, v6, v5
	v_fmac_f32_e32 v6, v7, v3
	v_fma_f32 v1, -v1, v6, v5
	v_div_fmas_f32 v1, v1, v3, v6
	v_div_fixup_f32 v1, v1, s4, 1.0
	s_andn2_b64 vcc, exec, s[30:31]
	s_cbranch_vccnz .LBB118_22
.LBB118_21:
	s_add_u32 s2, s28, s34
	s_addc_u32 s3, s29, s35
	s_load_dword s18, s[2:3], 0x0
	s_mov_b32 s19, 0
.LBB118_22:
	s_waitcnt lgkmcnt(0)
	v_add_f32_e32 v2, 0x358637bd, v2
	v_div_scale_f32 v3, s[2:3], v2, v2, 1.0
	v_rcp_f32_e32 v5, v3
	v_div_scale_f32 v6, vcc, 1.0, v2, 1.0
	s_mul_i32 s2, s7, s19
	v_fma_f32 v7, -v3, v5, 1.0
	v_fmac_f32_e32 v5, v7, v5
	v_mul_f32_e32 v7, v6, v5
	v_fma_f32 v8, -v3, v7, v6
	s_mul_hi_u32 s3, s7, s18
	v_fmac_f32_e32 v7, v8, v5
	s_add_i32 s3, s3, s2
	s_mul_i32 s2, s7, s18
	v_fma_f32 v3, -v3, v7, v6
	s_lshl_b64 s[2:3], s[2:3], 8
	v_div_fmas_f32 v3, v3, v5, v7
	s_add_u32 s2, s0, s2
	s_mov_b32 s7, 0
	v_div_fixup_f32 v2, v3, v2, 1.0
	s_addc_u32 s3, s1, s3
	s_lshl_b64 s[0:1], s[6:7], 8
	v_mul_f32_e32 v2, v4, v2
	s_add_u32 s0, s2, s0
	s_addc_u32 s1, s3, s1
	v_fma_mixlo_f16 v1, v2, v1, 0
	global_store_short v0, v1, s[0:1]
	s_endpgm
.LBB118_23:
	s_mov_b64 s[2:3], 0
	s_branch .LBB118_2
.LBB118_24:
	v_mov_b32_e32 v1, 1.0
	s_andn2_b64 vcc, exec, s[30:31]
	s_cbranch_vccz .LBB118_21
	s_branch .LBB118_22
	.section	.rodata,"a",@progbits
	.p2align	6, 0x0
	.amdhsa_kernel _Z35paged_attention_ll4mi_reduce_kernelIDF16_DF16_Li128ELi128ELi256ELi7EEvPT0_PKfS3_PKT_PKiS8_iS3_
		.amdhsa_group_segment_fixed_size 1796
		.amdhsa_private_segment_fixed_size 0
		.amdhsa_kernarg_size 320
		.amdhsa_user_sgpr_count 6
		.amdhsa_user_sgpr_private_segment_buffer 1
		.amdhsa_user_sgpr_dispatch_ptr 0
		.amdhsa_user_sgpr_queue_ptr 0
		.amdhsa_user_sgpr_kernarg_segment_ptr 1
		.amdhsa_user_sgpr_dispatch_id 0
		.amdhsa_user_sgpr_flat_scratch_init 0
		.amdhsa_user_sgpr_kernarg_preload_length 0
		.amdhsa_user_sgpr_kernarg_preload_offset 0
		.amdhsa_user_sgpr_private_segment_size 0
		.amdhsa_uses_dynamic_stack 0
		.amdhsa_system_sgpr_private_segment_wavefront_offset 0
		.amdhsa_system_sgpr_workgroup_id_x 1
		.amdhsa_system_sgpr_workgroup_id_y 1
		.amdhsa_system_sgpr_workgroup_id_z 0
		.amdhsa_system_sgpr_workgroup_info 0
		.amdhsa_system_vgpr_workitem_id 0
		.amdhsa_next_free_vgpr 92
		.amdhsa_next_free_sgpr 43
		.amdhsa_accum_offset 92
		.amdhsa_reserve_vcc 1
		.amdhsa_reserve_flat_scratch 0
		.amdhsa_float_round_mode_32 0
		.amdhsa_float_round_mode_16_64 0
		.amdhsa_float_denorm_mode_32 3
		.amdhsa_float_denorm_mode_16_64 3
		.amdhsa_dx10_clamp 1
		.amdhsa_ieee_mode 1
		.amdhsa_fp16_overflow 0
		.amdhsa_tg_split 0
		.amdhsa_exception_fp_ieee_invalid_op 0
		.amdhsa_exception_fp_denorm_src 0
		.amdhsa_exception_fp_ieee_div_zero 0
		.amdhsa_exception_fp_ieee_overflow 0
		.amdhsa_exception_fp_ieee_underflow 0
		.amdhsa_exception_fp_ieee_inexact 0
		.amdhsa_exception_int_div_zero 0
	.end_amdhsa_kernel
	.section	.text._Z35paged_attention_ll4mi_reduce_kernelIDF16_DF16_Li128ELi128ELi256ELi7EEvPT0_PKfS3_PKT_PKiS8_iS3_,"axG",@progbits,_Z35paged_attention_ll4mi_reduce_kernelIDF16_DF16_Li128ELi128ELi256ELi7EEvPT0_PKfS3_PKT_PKiS8_iS3_,comdat
.Lfunc_end118:
	.size	_Z35paged_attention_ll4mi_reduce_kernelIDF16_DF16_Li128ELi128ELi256ELi7EEvPT0_PKfS3_PKT_PKiS8_iS3_, .Lfunc_end118-_Z35paged_attention_ll4mi_reduce_kernelIDF16_DF16_Li128ELi128ELi256ELi7EEvPT0_PKfS3_PKT_PKiS8_iS3_
                                        ; -- End function
	.section	.AMDGPU.csdata,"",@progbits
; Kernel info:
; codeLenInByte = 10092
; NumSgprs: 47
; NumVgprs: 92
; NumAgprs: 0
; TotalNumVgprs: 92
; ScratchSize: 0
; MemoryBound: 0
; FloatMode: 240
; IeeeMode: 1
; LDSByteSize: 1796 bytes/workgroup (compile time only)
; SGPRBlocks: 5
; VGPRBlocks: 11
; NumSGPRsForWavesPerEU: 47
; NumVGPRsForWavesPerEU: 92
; AccumOffset: 92
; Occupancy: 5
; WaveLimiterHint : 1
; COMPUTE_PGM_RSRC2:SCRATCH_EN: 0
; COMPUTE_PGM_RSRC2:USER_SGPR: 6
; COMPUTE_PGM_RSRC2:TRAP_HANDLER: 0
; COMPUTE_PGM_RSRC2:TGID_X_EN: 1
; COMPUTE_PGM_RSRC2:TGID_Y_EN: 1
; COMPUTE_PGM_RSRC2:TGID_Z_EN: 0
; COMPUTE_PGM_RSRC2:TIDIG_COMP_CNT: 0
; COMPUTE_PGM_RSRC3_GFX90A:ACCUM_OFFSET: 22
; COMPUTE_PGM_RSRC3_GFX90A:TG_SPLIT: 0
	.section	.text._Z35paged_attention_ll4mi_reduce_kernelIDF16_DF16_Li128ELi128ELi256ELi8EEvPT0_PKfS3_PKT_PKiS8_iS3_,"axG",@progbits,_Z35paged_attention_ll4mi_reduce_kernelIDF16_DF16_Li128ELi128ELi256ELi8EEvPT0_PKfS3_PKT_PKiS8_iS3_,comdat
	.protected	_Z35paged_attention_ll4mi_reduce_kernelIDF16_DF16_Li128ELi128ELi256ELi8EEvPT0_PKfS3_PKT_PKiS8_iS3_ ; -- Begin function _Z35paged_attention_ll4mi_reduce_kernelIDF16_DF16_Li128ELi128ELi256ELi8EEvPT0_PKfS3_PKT_PKiS8_iS3_
	.globl	_Z35paged_attention_ll4mi_reduce_kernelIDF16_DF16_Li128ELi128ELi256ELi8EEvPT0_PKfS3_PKT_PKiS8_iS3_
	.p2align	8
	.type	_Z35paged_attention_ll4mi_reduce_kernelIDF16_DF16_Li128ELi128ELi256ELi8EEvPT0_PKfS3_PKT_PKiS8_iS3_,@function
_Z35paged_attention_ll4mi_reduce_kernelIDF16_DF16_Li128ELi128ELi256ELi8EEvPT0_PKfS3_PKT_PKiS8_iS3_: ; @_Z35paged_attention_ll4mi_reduce_kernelIDF16_DF16_Li128ELi128ELi256ELi8EEvPT0_PKfS3_PKT_PKiS8_iS3_
; %bb.0:
	s_load_dwordx2 s[30:31], s[4:5], 0x28
	s_mov_b32 s28, s7
	s_mov_b64 s[0:1], 0
	s_waitcnt lgkmcnt(0)
	s_cmp_lg_u64 s[30:31], 0
	s_cselect_b64 s[34:35], -1, 0
	s_and_b64 vcc, exec, s[34:35]
	s_cbranch_vccz .LBB119_23
; %bb.1:
	s_add_i32 s2, s28, 1
	s_mov_b32 s3, 0
	s_lshl_b64 s[8:9], s[2:3], 2
	s_add_u32 s8, s30, s8
	s_mov_b32 s29, s3
	s_addc_u32 s9, s31, s9
	s_lshl_b64 s[2:3], s[28:29], 2
	s_add_u32 s2, s30, s2
	s_addc_u32 s3, s31, s3
	s_load_dword s7, s[8:9], 0x0
	s_load_dword s10, s[2:3], 0x0
	s_waitcnt lgkmcnt(0)
	s_sub_i32 s2, s7, s10
	s_cmp_eq_u32 s2, 1
	s_cselect_b64 s[2:3], -1, 0
	s_andn2_b64 vcc, exec, s[0:1]
	s_cbranch_vccnz .LBB119_3
.LBB119_2:
	s_mov_b32 s29, 0
	s_mov_b64 s[2:3], -1
.LBB119_3:
	s_andn2_b64 vcc, exec, s[2:3]
	s_cbranch_vccz .LBB119_5
; %bb.4:
	s_endpgm
.LBB119_5:
	s_load_dwordx4 s[20:23], s[4:5], 0x18
	s_load_dword s8, s[4:5], 0x30
	s_lshl_b64 s[36:37], s[28:29], 2
	v_cmp_lt_u32_e32 vcc, 63, v0
	s_waitcnt lgkmcnt(0)
	s_add_u32 s0, s22, s36
	s_addc_u32 s1, s23, s37
	s_load_dword s44, s[0:1], 0x0
	s_load_dword s7, s[4:5], 0x40
	s_mul_i32 s22, s6, s8
	s_mul_i32 s2, s28, s8
	s_waitcnt lgkmcnt(0)
	s_add_i32 s3, s44, 0xff
	s_ashr_i32 s0, s3, 31
	s_lshr_b32 s0, s0, 24
	s_add_i32 s3, s3, s0
	s_and_saveexec_b64 s[0:1], vcc
	s_xor_b64 s[0:1], exec, s[0:1]
	s_or_saveexec_b64 s[38:39], s[0:1]
	s_ashr_i32 s33, s3, 8
	v_mov_b32_e32 v1, s22
	s_mul_i32 s40, s2, s7
	s_xor_b64 exec, exec, s[38:39]
	s_cbranch_execz .LBB119_9
; %bb.6:
	s_add_i32 s0, s33, -1
	v_or_b32_e32 v3, 64, v0
	v_mov_b32_e32 v1, s0
	v_cmp_gt_u32_e64 s[14:15], s33, v3
	v_cndmask_b32_e64 v4, v1, v3, s[14:15]
	v_or_b32_e32 v3, 0x80, v0
	v_cmp_gt_u32_e64 s[12:13], s33, v3
	v_cndmask_b32_e64 v6, v1, v3, s[12:13]
	v_or_b32_e32 v3, 0xc0, v0
	;; [unrolled: 3-line block ×3, first 2 shown]
	s_load_dwordx4 s[24:27], s[4:5], 0x8
	v_cmp_gt_u32_e64 s[8:9], s33, v3
	v_cndmask_b32_e64 v10, v1, v3, s[8:9]
	v_or_b32_e32 v3, 0x140, v0
	v_cmp_gt_u32_e64 s[2:3], s33, v3
	s_mov_b32 s41, 0
	v_cndmask_b32_e64 v12, v1, v3, s[2:3]
	v_or_b32_e32 v3, 0x180, v0
	v_cmp_gt_u32_e64 s[0:1], s33, v3
	s_lshl_b64 s[42:43], s[40:41], 2
	s_mov_b32 s23, s41
	v_cmp_gt_u32_e64 s[16:17], s33, v0
	v_cndmask_b32_e64 v14, v1, v3, s[0:1]
	v_or_b32_e32 v3, 0x1c0, v0
	s_waitcnt lgkmcnt(0)
	s_add_u32 s18, s26, s42
	v_cndmask_b32_e64 v2, v1, v0, s[16:17]
	v_cmp_gt_u32_e32 vcc, s33, v3
	s_addc_u32 s19, s27, s43
	s_lshl_b64 s[26:27], s[22:23], 2
	v_cndmask_b32_e32 v16, v1, v3, vcc
	s_add_u32 s23, s18, s26
	v_ashrrev_i32_e32 v3, 31, v2
	s_addc_u32 s41, s19, s27
	v_lshlrev_b64 v[2:3], 2, v[2:3]
	v_mov_b32_e32 v1, s41
	v_add_co_u32_e64 v18, s[18:19], s23, v2
	v_ashrrev_i32_e32 v5, 31, v4
	v_addc_co_u32_e64 v19, s[18:19], v1, v3, s[18:19]
	v_lshlrev_b64 v[4:5], 2, v[4:5]
	v_add_co_u32_e64 v20, s[18:19], s23, v4
	v_ashrrev_i32_e32 v7, 31, v6
	v_addc_co_u32_e64 v21, s[18:19], v1, v5, s[18:19]
	v_lshlrev_b64 v[6:7], 2, v[6:7]
	;; [unrolled: 4-line block ×7, first 2 shown]
	v_add_co_u32_e64 v32, s[18:19], s23, v16
	v_addc_co_u32_e64 v33, s[18:19], v1, v17, s[18:19]
	global_load_dword v1, v[18:19], off
	s_nop 0
	global_load_dword v18, v[20:21], off
	global_load_dword v19, v[22:23], off
	;; [unrolled: 1-line block ×7, first 2 shown]
	s_waitcnt vmcnt(7)
	v_max_f32_e32 v21, v1, v1
	s_waitcnt vmcnt(6)
	v_max_f32_e32 v20, v18, v18
	v_max_f32_e32 v20, v21, v20
	v_mbcnt_lo_u32_b32 v21, -1, 0
	v_mbcnt_hi_u32_b32 v21, -1, v21
	v_and_b32_e32 v22, 64, v21
	v_add_u32_e32 v22, 64, v22
	v_xor_b32_e32 v23, 32, v21
	s_waitcnt vmcnt(4)
	v_max3_f32 v20, v20, v19, v34
	v_cmp_lt_i32_e64 s[18:19], v23, v22
	s_waitcnt vmcnt(2)
	v_max3_f32 v20, v20, v35, v36
	v_cndmask_b32_e64 v23, v21, v23, s[18:19]
	s_waitcnt vmcnt(0)
	v_max3_f32 v20, v20, v37, v38
	v_lshlrev_b32_e32 v23, 2, v23
	ds_bpermute_b32 v24, v23, v20
	s_waitcnt lgkmcnt(0)
	v_max_f32_e32 v24, v24, v24
	v_max_f32_e32 v20, v20, v24
	v_xor_b32_e32 v24, 16, v21
	v_cmp_lt_i32_e64 s[18:19], v24, v22
	v_cndmask_b32_e64 v24, v21, v24, s[18:19]
	v_lshlrev_b32_e32 v24, 2, v24
	ds_bpermute_b32 v25, v24, v20
	s_waitcnt lgkmcnt(0)
	v_max_f32_e32 v25, v25, v25
	v_max_f32_e32 v20, v20, v25
	v_xor_b32_e32 v25, 8, v21
	v_cmp_lt_i32_e64 s[18:19], v25, v22
	v_cndmask_b32_e64 v25, v21, v25, s[18:19]
	;; [unrolled: 8-line block ×4, first 2 shown]
	v_lshlrev_b32_e32 v27, 2, v27
	s_add_u32 s18, s24, s42
	ds_bpermute_b32 v28, v27, v20
	s_addc_u32 s19, s25, s43
	s_add_u32 s23, s18, s26
	s_addc_u32 s24, s19, s27
	v_mov_b32_e32 v29, s24
	v_add_co_u32_e64 v2, s[18:19], s23, v2
	v_addc_co_u32_e64 v3, s[18:19], v29, v3, s[18:19]
	global_load_dword v29, v[2:3], off
	s_waitcnt lgkmcnt(0)
	v_max_f32_e32 v2, v28, v28
	v_max_f32_e32 v20, v20, v2
	v_xor_b32_e32 v2, 1, v21
	v_cmp_lt_i32_e64 s[18:19], v2, v22
	v_cndmask_b32_e64 v2, v21, v2, s[18:19]
	v_lshlrev_b32_e32 v21, 2, v2
	v_mov_b32_e32 v3, s24
	v_add_co_u32_e64 v2, s[18:19], s23, v4
	v_addc_co_u32_e64 v3, s[18:19], v3, v5, s[18:19]
	global_load_dword v28, v[2:3], off
	v_mov_b32_e32 v3, s24
	v_add_co_u32_e64 v2, s[18:19], s23, v6
	v_addc_co_u32_e64 v3, s[18:19], v3, v7, s[18:19]
	global_load_dword v30, v[2:3], off
	v_mov_b32_e32 v3, s24
	v_add_co_u32_e64 v2, s[18:19], s23, v8
	v_addc_co_u32_e64 v3, s[18:19], v3, v9, s[18:19]
	ds_bpermute_b32 v22, v21, v20
	global_load_dword v2, v[2:3], off
	v_mov_b32_e32 v5, s24
	v_add_co_u32_e64 v4, s[18:19], s23, v10
	v_addc_co_u32_e64 v5, s[18:19], v5, v11, s[18:19]
	v_mov_b32_e32 v7, s24
	v_add_co_u32_e64 v6, s[18:19], s23, v12
	v_addc_co_u32_e64 v7, s[18:19], v7, v13, s[18:19]
	s_waitcnt lgkmcnt(0)
	v_max_f32_e32 v12, v22, v22
	v_mov_b32_e32 v9, s24
	v_add_co_u32_e64 v8, s[18:19], s23, v14
	v_max_f32_e32 v12, v20, v12
	v_addc_co_u32_e64 v9, s[18:19], v9, v15, s[18:19]
	v_sub_f32_e32 v1, v1, v12
	v_add_co_u32_e64 v10, s[18:19], s23, v16
	s_mov_b32 s23, 0x3fb8aa3b
	v_mul_f32_e32 v3, 0x3fb8aa3b, v1
	v_fma_f32 v13, v1, s23, -v3
	v_rndne_f32_e32 v14, v3
	v_mov_b32_e32 v11, s24
	v_fmac_f32_e32 v13, 0x32a5705f, v1
	v_sub_f32_e32 v3, v3, v14
	v_addc_co_u32_e64 v11, s[18:19], v11, v17, s[18:19]
	v_add_f32_e32 v3, v3, v13
	v_cvt_i32_f32_e32 v13, v14
	global_load_dword v14, v[4:5], off
	global_load_dword v15, v[6:7], off
	;; [unrolled: 1-line block ×4, first 2 shown]
	v_sub_f32_e32 v5, v18, v12
	v_mul_f32_e32 v6, 0x3fb8aa3b, v5
	v_fma_f32 v7, v5, s23, -v6
	v_rndne_f32_e32 v8, v6
	v_exp_f32_e32 v3, v3
	v_fmac_f32_e32 v7, 0x32a5705f, v5
	v_sub_f32_e32 v6, v6, v8
	v_add_f32_e32 v6, v6, v7
	v_exp_f32_e32 v6, v6
	v_cvt_i32_f32_e32 v7, v8
	s_mov_b32 s24, 0xc2ce8ed0
	v_ldexp_f32 v3, v3, v13
	v_cmp_ngt_f32_e64 s[18:19], s24, v1
	s_mov_b32 s25, 0x42b17218
	v_cndmask_b32_e64 v3, 0, v3, s[18:19]
	v_mov_b32_e32 v4, 0x7f800000
	v_cmp_nlt_f32_e64 s[18:19], s25, v1
	v_cndmask_b32_e64 v1, v4, v3, s[18:19]
	v_ldexp_f32 v3, v6, v7
	v_sub_f32_e32 v6, v19, v12
	v_mul_f32_e32 v7, 0x3fb8aa3b, v6
	v_fma_f32 v8, v6, s23, -v7
	v_rndne_f32_e32 v9, v7
	v_fmac_f32_e32 v8, 0x32a5705f, v6
	v_sub_f32_e32 v7, v7, v9
	v_add_f32_e32 v7, v7, v8
	v_exp_f32_e32 v7, v7
	v_cvt_i32_f32_e32 v8, v9
	v_cndmask_b32_e64 v1, 0, v1, s[16:17]
	v_cmp_ngt_f32_e64 s[16:17], s24, v5
	v_cndmask_b32_e64 v3, 0, v3, s[16:17]
	v_cmp_nlt_f32_e64 s[16:17], s25, v5
	v_ldexp_f32 v5, v7, v8
	v_sub_f32_e32 v7, v34, v12
	v_mul_f32_e32 v8, 0x3fb8aa3b, v7
	v_fma_f32 v9, v7, s23, -v8
	v_rndne_f32_e32 v10, v8
	v_fmac_f32_e32 v9, 0x32a5705f, v7
	v_sub_f32_e32 v8, v8, v10
	v_add_f32_e32 v8, v8, v9
	v_exp_f32_e32 v8, v8
	v_cvt_i32_f32_e32 v9, v10
	v_cndmask_b32_e64 v3, v4, v3, s[16:17]
	v_cndmask_b32_e64 v3, 0, v3, s[14:15]
	v_cmp_ngt_f32_e64 s[14:15], s24, v6
	v_cndmask_b32_e64 v5, 0, v5, s[14:15]
	v_cmp_nlt_f32_e64 s[14:15], s25, v6
	v_ldexp_f32 v6, v8, v9
	v_sub_f32_e32 v8, v35, v12
	v_mul_f32_e32 v9, 0x3fb8aa3b, v8
	v_fma_f32 v10, v8, s23, -v9
	v_rndne_f32_e32 v11, v9
	v_fmac_f32_e32 v10, 0x32a5705f, v8
	v_sub_f32_e32 v9, v9, v11
	v_cndmask_b32_e64 v5, v4, v5, s[14:15]
	v_add_f32_e32 v9, v9, v10
	v_cndmask_b32_e64 v5, 0, v5, s[12:13]
	v_cmp_ngt_f32_e64 s[12:13], s24, v7
	v_exp_f32_e32 v9, v9
	v_cvt_i32_f32_e32 v10, v11
	v_cndmask_b32_e64 v6, 0, v6, s[12:13]
	v_cmp_nlt_f32_e64 s[12:13], s25, v7
	v_cndmask_b32_e64 v6, v4, v6, s[12:13]
	v_cndmask_b32_e64 v6, 0, v6, s[10:11]
	v_sub_f32_e32 v7, v36, v12
	s_waitcnt vmcnt(4)
	v_mul_f32_e32 v6, v2, v6
	v_ldexp_f32 v2, v9, v10
	v_mul_f32_e32 v9, 0x3fb8aa3b, v7
	v_fma_f32 v10, v7, s23, -v9
	v_rndne_f32_e32 v11, v9
	v_fmac_f32_e32 v10, 0x32a5705f, v7
	v_sub_f32_e32 v9, v9, v11
	v_add_f32_e32 v9, v9, v10
	v_cmp_ngt_f32_e64 s[10:11], s24, v8
	v_exp_f32_e32 v9, v9
	v_cvt_i32_f32_e32 v10, v11
	v_cndmask_b32_e64 v2, 0, v2, s[10:11]
	v_cmp_nlt_f32_e64 s[10:11], s25, v8
	v_cndmask_b32_e64 v2, v4, v2, s[10:11]
	v_cndmask_b32_e64 v2, 0, v2, s[8:9]
	s_waitcnt vmcnt(3)
	v_mul_f32_e32 v8, v14, v2
	v_ldexp_f32 v2, v9, v10
	v_sub_f32_e32 v9, v37, v12
	v_mul_f32_e32 v10, 0x3fb8aa3b, v9
	v_fma_f32 v11, v9, s23, -v10
	v_rndne_f32_e32 v13, v10
	v_fmac_f32_e32 v11, 0x32a5705f, v9
	v_sub_f32_e32 v10, v10, v13
	v_add_f32_e32 v10, v10, v11
	v_cmp_ngt_f32_e64 s[8:9], s24, v7
	v_exp_f32_e32 v10, v10
	v_cvt_i32_f32_e32 v11, v13
	v_cndmask_b32_e64 v2, 0, v2, s[8:9]
	v_cmp_nlt_f32_e64 s[8:9], s25, v7
	v_cndmask_b32_e64 v2, v4, v2, s[8:9]
	v_cndmask_b32_e64 v2, 0, v2, s[2:3]
	s_waitcnt vmcnt(2)
	v_mul_f32_e32 v7, v15, v2
	v_ldexp_f32 v2, v10, v11
	v_sub_f32_e32 v10, v38, v12
	v_mul_f32_e32 v11, 0x3fb8aa3b, v10
	v_fma_f32 v12, v10, s23, -v11
	v_rndne_f32_e32 v13, v11
	v_fmac_f32_e32 v12, 0x32a5705f, v10
	v_sub_f32_e32 v11, v11, v13
	v_add_f32_e32 v11, v11, v12
	v_exp_f32_e32 v11, v11
	v_cvt_i32_f32_e32 v12, v13
	v_cmp_ngt_f32_e64 s[2:3], s24, v9
	v_cndmask_b32_e64 v2, 0, v2, s[2:3]
	v_cmp_nlt_f32_e64 s[2:3], s25, v9
	v_cndmask_b32_e64 v2, v4, v2, s[2:3]
	v_cndmask_b32_e64 v2, 0, v2, s[0:1]
	v_ldexp_f32 v9, v11, v12
	v_cmp_ngt_f32_e64 s[0:1], s24, v10
	v_mul_f32_e32 v1, v29, v1
	v_mul_f32_e32 v3, v28, v3
	v_cndmask_b32_e64 v9, 0, v9, s[0:1]
	v_cmp_nlt_f32_e64 s[0:1], s25, v10
	v_mul_f32_e32 v5, v30, v5
	v_cndmask_b32_e64 v4, v4, v9, s[0:1]
	v_add_f32_e32 v9, v1, v3
	v_add_f32_e32 v9, v9, v5
	;; [unrolled: 1-line block ×5, first 2 shown]
	v_cndmask_b32_e32 v4, 0, v4, vcc
	s_waitcnt vmcnt(1)
	v_fmac_f32_e32 v9, v16, v2
	s_waitcnt vmcnt(0)
	v_fmac_f32_e32 v9, v17, v4
	ds_bpermute_b32 v10, v23, v9
	v_lshlrev_b32_e32 v12, 2, v0
	ds_write2st64_b32 v12, v1, v3 offset1:1
	v_mul_f32_e32 v11, v16, v2
	v_cmp_eq_u32_e32 vcc, 0, v0
	s_waitcnt lgkmcnt(1)
	v_add_f32_e32 v9, v9, v10
	ds_bpermute_b32 v10, v24, v9
	v_mul_f32_e32 v4, v17, v4
	ds_write2st64_b32 v12, v5, v6 offset0:2 offset1:3
	ds_write2st64_b32 v12, v8, v7 offset0:4 offset1:5
	;; [unrolled: 1-line block ×3, first 2 shown]
	s_waitcnt lgkmcnt(3)
	v_add_f32_e32 v9, v9, v10
	ds_bpermute_b32 v10, v25, v9
	s_waitcnt lgkmcnt(0)
	v_add_f32_e32 v9, v9, v10
	ds_bpermute_b32 v10, v26, v9
	;; [unrolled: 3-line block ×4, first 2 shown]
	s_and_saveexec_b64 s[0:1], vcc
	s_cbranch_execz .LBB119_8
; %bb.7:
	s_waitcnt lgkmcnt(0)
	v_add_f32_e32 v1, v1, v2
	v_mov_b32_e32 v2, 0
	ds_write_b32 v2, v1 offset:2048
.LBB119_8:
	s_or_b64 exec, exec, s[0:1]
	v_mov_b32_e32 v1, s22
.LBB119_9:
	s_or_b64 exec, exec, s[38:39]
	s_lshl_b32 s0, s40, 7
	s_mov_b32 s1, 0
	s_lshl_b64 s[0:1], s[0:1], 1
	s_add_u32 s0, s20, s0
	s_addc_u32 s1, s21, s1
	s_lshl_b32 s10, s33, 7
	s_waitcnt lgkmcnt(0)
	v_lshlrev_b32_e32 v2, 7, v1
	v_mov_b32_e32 v3, 0
	s_add_i32 s11, s10, 0xffffff80
	v_lshlrev_b64 v[4:5], 1, v[2:3]
	s_cmp_lt_i32 s44, 1
	v_mov_b32_e32 v1, s1
	v_add_co_u32_e32 v2, vcc, s0, v4
	s_cselect_b32 s0, s11, 0
	v_addc_co_u32_e32 v4, vcc, v1, v5, vcc
	v_lshlrev_b32_e32 v0, 1, v0
	s_ashr_i32 s1, s0, 31
	v_add_co_u32_e32 v1, vcc, v2, v0
	s_lshl_b64 s[0:1], s[0:1], 1
	v_addc_co_u32_e32 v2, vcc, 0, v4, vcc
	s_cmpk_lt_i32 s44, 0x101
	v_add_co_u32_e32 v12, vcc, s0, v1
	s_cselect_b32 s0, s11, 0x80
	v_mov_b32_e32 v4, s1
	s_ashr_i32 s1, s0, 31
	s_lshl_b64 s[0:1], s[0:1], 1
	v_addc_co_u32_e32 v13, vcc, v2, v4, vcc
	s_cmpk_lt_i32 s44, 0x201
	v_add_co_u32_e32 v14, vcc, s0, v1
	s_cselect_b32 s0, s11, 0x100
	v_mov_b32_e32 v4, s1
	s_ashr_i32 s1, s0, 31
	;; [unrolled: 7-line block ×8, first 2 shown]
	s_lshl_b64 s[0:1], s[0:1], 1
	v_addc_co_u32_e32 v27, vcc, v2, v4, vcc
	s_cmpk_lt_i32 s44, 0x901
	global_load_ushort v4, v[12:13], off
	global_load_ushort v5, v[14:15], off
	;; [unrolled: 1-line block ×8, first 2 shown]
	v_add_co_u32_e32 v20, vcc, s0, v1
	s_cselect_b32 s0, s11, 0x480
	v_mov_b32_e32 v12, s1
	s_ashr_i32 s1, s0, 31
	s_lshl_b64 s[0:1], s[0:1], 1
	v_addc_co_u32_e32 v21, vcc, v2, v12, vcc
	s_cmpk_lt_i32 s44, 0xa01
	v_add_co_u32_e32 v22, vcc, s0, v1
	s_cselect_b32 s0, s11, 0x500
	v_mov_b32_e32 v12, s1
	s_ashr_i32 s1, s0, 31
	s_lshl_b64 s[0:1], s[0:1], 1
	v_addc_co_u32_e32 v23, vcc, v2, v12, vcc
	s_cmpk_lt_i32 s44, 0xb01
	;; [unrolled: 7-line block ×6, first 2 shown]
	v_add_co_u32_e32 v32, vcc, s0, v1
	s_cselect_b32 s0, s11, 0x780
	v_mov_b32_e32 v12, s1
	s_ashr_i32 s1, s0, 31
	v_addc_co_u32_e32 v33, vcc, v2, v12, vcc
	s_lshl_b64 s[0:1], s[0:1], 1
	v_mov_b32_e32 v12, s1
	v_add_co_u32_e32 v34, vcc, s0, v1
	v_addc_co_u32_e32 v35, vcc, v2, v12, vcc
	global_load_ushort v12, v[20:21], off
	global_load_ushort v13, v[22:23], off
	;; [unrolled: 1-line block ×8, first 2 shown]
	s_cmpk_gt_i32 s44, 0x1000
	s_cselect_b64 s[8:9], -1, 0
	s_cmpk_lt_i32 s44, 0x1001
	v_mov_b32_e32 v36, 0
	v_mov_b32_e32 v37, 0
	;; [unrolled: 1-line block ×48, first 2 shown]
	s_barrier
	s_cbranch_scc1 .LBB119_12
; %bb.10:
	s_cmpk_lt_u32 s44, 0x1101
	s_cselect_b32 s0, s11, 0x880
	s_ashr_i32 s1, s0, 31
	v_add_co_u32_e32 v28, vcc, 0x1000, v1
	s_lshl_b64 s[0:1], s[0:1], 1
	v_addc_co_u32_e32 v29, vcc, 0, v2, vcc
	s_cmpk_lt_u32 s44, 0x1201
	v_add_co_u32_e32 v30, vcc, s0, v1
	s_cselect_b32 s0, s11, 0x900
	v_mov_b32_e32 v20, s1
	s_ashr_i32 s1, s0, 31
	s_lshl_b64 s[0:1], s[0:1], 1
	v_addc_co_u32_e32 v31, vcc, v2, v20, vcc
	s_cmpk_lt_u32 s44, 0x1301
	v_add_co_u32_e32 v32, vcc, s0, v1
	s_cselect_b32 s0, s11, 0x980
	v_mov_b32_e32 v20, s1
	s_ashr_i32 s1, s0, 31
	;; [unrolled: 7-line block ×7, first 2 shown]
	s_lshl_b64 s[0:1], s[0:1], 1
	v_addc_co_u32_e32 v43, vcc, v2, v20, vcc
	s_cmpk_lt_u32 s44, 0x1901
	global_load_ushort v27, v[28:29], off
	global_load_ushort v26, v[30:31], off
	;; [unrolled: 1-line block ×8, first 2 shown]
	v_add_co_u32_e32 v36, vcc, s0, v1
	s_cselect_b32 s0, s11, 0xc80
	v_mov_b32_e32 v28, s1
	s_ashr_i32 s1, s0, 31
	s_lshl_b64 s[0:1], s[0:1], 1
	v_addc_co_u32_e32 v37, vcc, v2, v28, vcc
	s_cmpk_lt_u32 s44, 0x1a01
	v_add_co_u32_e32 v38, vcc, s0, v1
	s_cselect_b32 s0, s11, 0xd00
	v_mov_b32_e32 v28, s1
	s_ashr_i32 s1, s0, 31
	s_lshl_b64 s[0:1], s[0:1], 1
	v_addc_co_u32_e32 v39, vcc, v2, v28, vcc
	s_cmpk_lt_u32 s44, 0x1b01
	v_add_co_u32_e32 v40, vcc, s0, v1
	s_cselect_b32 s0, s11, 0xd80
	v_mov_b32_e32 v28, s1
	s_ashr_i32 s1, s0, 31
	s_lshl_b64 s[0:1], s[0:1], 1
	v_addc_co_u32_e32 v41, vcc, v2, v28, vcc
	s_cmpk_lt_u32 s44, 0x1c01
	v_add_co_u32_e32 v42, vcc, s0, v1
	s_cselect_b32 s0, s11, 0xe00
	v_mov_b32_e32 v28, s1
	s_ashr_i32 s1, s0, 31
	s_lshl_b64 s[0:1], s[0:1], 1
	v_addc_co_u32_e32 v43, vcc, v2, v28, vcc
	s_cmpk_lt_u32 s44, 0x1d01
	v_add_co_u32_e32 v44, vcc, s0, v1
	s_cselect_b32 s0, s11, 0xe80
	v_mov_b32_e32 v28, s1
	s_ashr_i32 s1, s0, 31
	s_lshl_b64 s[0:1], s[0:1], 1
	v_addc_co_u32_e32 v45, vcc, v2, v28, vcc
	s_cmpk_lt_u32 s44, 0x1e01
	v_add_co_u32_e32 v46, vcc, s0, v1
	s_cselect_b32 s0, s11, 0xf00
	v_mov_b32_e32 v28, s1
	s_ashr_i32 s1, s0, 31
	s_lshl_b64 s[0:1], s[0:1], 1
	v_addc_co_u32_e32 v47, vcc, v2, v28, vcc
	s_cmpk_lt_u32 s44, 0x1f01
	v_add_co_u32_e32 v48, vcc, s0, v1
	s_cselect_b32 s0, s11, 0xf80
	v_mov_b32_e32 v28, s1
	s_ashr_i32 s1, s0, 31
	v_addc_co_u32_e32 v49, vcc, v2, v28, vcc
	s_lshl_b64 s[0:1], s[0:1], 1
	v_mov_b32_e32 v28, s1
	v_add_co_u32_e32 v50, vcc, s0, v1
	v_addc_co_u32_e32 v51, vcc, v2, v28, vcc
	global_load_ushort v35, v[36:37], off
	global_load_ushort v34, v[38:39], off
	;; [unrolled: 1-line block ×8, first 2 shown]
	s_cmpk_lt_u32 s44, 0x2001
	v_mov_b32_e32 v67, 0
	v_mov_b32_e32 v66, 0
	;; [unrolled: 1-line block ×32, first 2 shown]
	s_cbranch_scc1 .LBB119_12
; %bb.11:
	s_cmpk_lt_u32 s44, 0x2101
	s_cselect_b32 s0, s11, 0x1080
	s_ashr_i32 s1, s0, 31
	v_add_co_u32_e32 v36, vcc, 0x2000, v1
	s_lshl_b64 s[0:1], s[0:1], 1
	v_addc_co_u32_e32 v37, vcc, 0, v2, vcc
	s_cmpk_lt_u32 s44, 0x2201
	v_add_co_u32_e32 v38, vcc, s0, v1
	s_cselect_b32 s0, s11, 0x1100
	v_mov_b32_e32 v39, s1
	s_ashr_i32 s1, s0, 31
	s_lshl_b64 s[0:1], s[0:1], 1
	v_addc_co_u32_e32 v39, vcc, v2, v39, vcc
	s_cmpk_lt_u32 s44, 0x2301
	v_add_co_u32_e32 v40, vcc, s0, v1
	s_cselect_b32 s0, s11, 0x1180
	v_mov_b32_e32 v41, s1
	s_ashr_i32 s1, s0, 31
	s_lshl_b64 s[0:1], s[0:1], 1
	v_addc_co_u32_e32 v41, vcc, v2, v41, vcc
	s_cmpk_lt_u32 s44, 0x2401
	v_add_co_u32_e32 v42, vcc, s0, v1
	s_cselect_b32 s0, s11, 0x1200
	v_mov_b32_e32 v43, s1
	s_ashr_i32 s1, s0, 31
	s_lshl_b64 s[0:1], s[0:1], 1
	v_addc_co_u32_e32 v43, vcc, v2, v43, vcc
	s_cmpk_lt_u32 s44, 0x2501
	v_add_co_u32_e32 v44, vcc, s0, v1
	s_cselect_b32 s0, s11, 0x1280
	v_mov_b32_e32 v45, s1
	s_ashr_i32 s1, s0, 31
	s_lshl_b64 s[0:1], s[0:1], 1
	v_addc_co_u32_e32 v45, vcc, v2, v45, vcc
	s_cmpk_lt_u32 s44, 0x2601
	v_add_co_u32_e32 v46, vcc, s0, v1
	s_cselect_b32 s0, s11, 0x1300
	v_mov_b32_e32 v47, s1
	s_ashr_i32 s1, s0, 31
	s_lshl_b64 s[0:1], s[0:1], 1
	v_addc_co_u32_e32 v47, vcc, v2, v47, vcc
	s_cmpk_lt_u32 s44, 0x2701
	v_add_co_u32_e32 v48, vcc, s0, v1
	s_cselect_b32 s0, s11, 0x1380
	v_mov_b32_e32 v49, s1
	s_ashr_i32 s1, s0, 31
	s_lshl_b64 s[0:1], s[0:1], 1
	v_addc_co_u32_e32 v49, vcc, v2, v49, vcc
	s_cmpk_lt_u32 s44, 0x2801
	v_add_co_u32_e32 v50, vcc, s0, v1
	s_cselect_b32 s0, s11, 0x1400
	v_mov_b32_e32 v51, s1
	s_ashr_i32 s1, s0, 31
	s_lshl_b64 s[0:1], s[0:1], 1
	v_addc_co_u32_e32 v51, vcc, v2, v51, vcc
	s_cmpk_lt_u32 s44, 0x2901
	global_load_ushort v52, v[36:37], off
	global_load_ushort v53, v[38:39], off
	global_load_ushort v54, v[40:41], off
	global_load_ushort v55, v[42:43], off
	global_load_ushort v56, v[44:45], off
	global_load_ushort v57, v[46:47], off
	global_load_ushort v58, v[48:49], off
	global_load_ushort v59, v[50:51], off
	v_add_co_u32_e32 v36, vcc, s0, v1
	s_cselect_b32 s0, s11, 0x1480
	v_mov_b32_e32 v37, s1
	s_ashr_i32 s1, s0, 31
	s_lshl_b64 s[0:1], s[0:1], 1
	v_addc_co_u32_e32 v37, vcc, v2, v37, vcc
	s_cmpk_lt_u32 s44, 0x2a01
	v_add_co_u32_e32 v38, vcc, s0, v1
	s_cselect_b32 s0, s11, 0x1500
	v_mov_b32_e32 v39, s1
	s_ashr_i32 s1, s0, 31
	s_lshl_b64 s[0:1], s[0:1], 1
	v_addc_co_u32_e32 v39, vcc, v2, v39, vcc
	s_cmpk_lt_u32 s44, 0x2b01
	v_add_co_u32_e32 v40, vcc, s0, v1
	s_cselect_b32 s0, s11, 0x1580
	v_mov_b32_e32 v41, s1
	s_ashr_i32 s1, s0, 31
	s_lshl_b64 s[0:1], s[0:1], 1
	v_addc_co_u32_e32 v41, vcc, v2, v41, vcc
	s_cmpk_lt_u32 s44, 0x2c01
	v_add_co_u32_e32 v42, vcc, s0, v1
	s_cselect_b32 s0, s11, 0x1600
	v_mov_b32_e32 v43, s1
	s_ashr_i32 s1, s0, 31
	s_lshl_b64 s[0:1], s[0:1], 1
	v_addc_co_u32_e32 v43, vcc, v2, v43, vcc
	s_cmpk_lt_u32 s44, 0x2d01
	v_add_co_u32_e32 v44, vcc, s0, v1
	s_cselect_b32 s0, s11, 0x1680
	v_mov_b32_e32 v45, s1
	s_ashr_i32 s1, s0, 31
	s_lshl_b64 s[0:1], s[0:1], 1
	v_addc_co_u32_e32 v45, vcc, v2, v45, vcc
	s_cmpk_lt_u32 s44, 0x2e01
	v_add_co_u32_e32 v46, vcc, s0, v1
	s_cselect_b32 s0, s11, 0x1700
	v_mov_b32_e32 v47, s1
	s_ashr_i32 s1, s0, 31
	s_lshl_b64 s[0:1], s[0:1], 1
	v_addc_co_u32_e32 v47, vcc, v2, v47, vcc
	s_cmpk_lt_u32 s44, 0x2f01
	v_add_co_u32_e32 v48, vcc, s0, v1
	s_cselect_b32 s0, s11, 0x1780
	v_mov_b32_e32 v49, s1
	s_ashr_i32 s1, s0, 31
	s_lshl_b64 s[0:1], s[0:1], 1
	v_addc_co_u32_e32 v49, vcc, v2, v49, vcc
	s_cmpk_lt_u32 s44, 0x3001
	v_add_co_u32_e32 v50, vcc, s0, v1
	s_cselect_b32 s0, s11, 0x1800
	v_mov_b32_e32 v51, s1
	s_ashr_i32 s1, s0, 31
	s_lshl_b64 s[0:1], s[0:1], 1
	v_addc_co_u32_e32 v51, vcc, v2, v51, vcc
	s_cmpk_lt_u32 s44, 0x3101
	global_load_ushort v68, v[36:37], off
	global_load_ushort v69, v[38:39], off
	global_load_ushort v70, v[40:41], off
	global_load_ushort v71, v[42:43], off
	global_load_ushort v72, v[44:45], off
	global_load_ushort v73, v[46:47], off
	global_load_ushort v74, v[48:49], off
	global_load_ushort v75, v[50:51], off
	v_add_co_u32_e32 v36, vcc, s0, v1
	s_cselect_b32 s0, s11, 0x1880
	v_mov_b32_e32 v37, s1
	s_ashr_i32 s1, s0, 31
	;; [unrolled: 64-line block ×3, first 2 shown]
	s_lshl_b64 s[0:1], s[0:1], 1
	v_addc_co_u32_e32 v37, vcc, v2, v37, vcc
	s_cmpk_lt_u32 s44, 0x3a01
	v_add_co_u32_e32 v38, vcc, s0, v1
	s_cselect_b32 s0, s11, 0x1d00
	v_mov_b32_e32 v39, s1
	s_ashr_i32 s1, s0, 31
	s_lshl_b64 s[0:1], s[0:1], 1
	v_addc_co_u32_e32 v39, vcc, v2, v39, vcc
	s_cmpk_lt_u32 s44, 0x3b01
	v_add_co_u32_e32 v40, vcc, s0, v1
	s_cselect_b32 s0, s11, 0x1d80
	v_mov_b32_e32 v41, s1
	s_ashr_i32 s1, s0, 31
	;; [unrolled: 7-line block ×6, first 2 shown]
	v_addc_co_u32_e32 v49, vcc, v2, v49, vcc
	s_lshl_b64 s[0:1], s[0:1], 1
	v_mov_b32_e32 v51, s1
	v_add_co_u32_e32 v50, vcc, s0, v1
	v_addc_co_u32_e32 v51, vcc, v2, v51, vcc
	global_load_ushort v84, v[36:37], off
	global_load_ushort v85, v[38:39], off
	;; [unrolled: 1-line block ×8, first 2 shown]
	s_waitcnt vmcnt(31)
	v_cvt_f32_f16_e32 v67, v52
	s_waitcnt vmcnt(30)
	v_cvt_f32_f16_e32 v66, v53
	s_waitcnt vmcnt(29)
	v_cvt_f32_f16_e32 v65, v54
	s_waitcnt vmcnt(28)
	v_cvt_f32_f16_e32 v64, v55
	s_waitcnt vmcnt(27)
	v_cvt_f32_f16_e32 v63, v56
	s_waitcnt vmcnt(26)
	v_cvt_f32_f16_e32 v62, v57
	s_waitcnt vmcnt(25)
	v_cvt_f32_f16_e32 v61, v58
	s_waitcnt vmcnt(24)
	v_cvt_f32_f16_e32 v60, v59
	s_waitcnt vmcnt(23)
	v_cvt_f32_f16_e32 v59, v68
	s_waitcnt vmcnt(22)
	v_cvt_f32_f16_e32 v58, v69
	s_waitcnt vmcnt(21)
	v_cvt_f32_f16_e32 v57, v70
	s_waitcnt vmcnt(20)
	v_cvt_f32_f16_e32 v56, v71
	s_waitcnt vmcnt(19)
	v_cvt_f32_f16_e32 v55, v72
	s_waitcnt vmcnt(18)
	v_cvt_f32_f16_e32 v54, v73
	s_waitcnt vmcnt(17)
	v_cvt_f32_f16_e32 v53, v74
	s_waitcnt vmcnt(16)
	v_cvt_f32_f16_e32 v52, v75
	s_waitcnt vmcnt(15)
	v_cvt_f32_f16_e32 v51, v76
	s_waitcnt vmcnt(14)
	v_cvt_f32_f16_e32 v50, v77
	s_waitcnt vmcnt(13)
	v_cvt_f32_f16_e32 v49, v78
	s_waitcnt vmcnt(12)
	v_cvt_f32_f16_e32 v48, v79
	s_waitcnt vmcnt(11)
	v_cvt_f32_f16_e32 v47, v80
	s_waitcnt vmcnt(10)
	v_cvt_f32_f16_e32 v46, v81
	s_waitcnt vmcnt(9)
	v_cvt_f32_f16_e32 v45, v82
	s_waitcnt vmcnt(8)
	v_cvt_f32_f16_e32 v44, v83
	s_waitcnt vmcnt(7)
	v_cvt_f32_f16_e32 v43, v84
	s_waitcnt vmcnt(6)
	v_cvt_f32_f16_e32 v42, v85
	s_waitcnt vmcnt(5)
	v_cvt_f32_f16_e32 v41, v86
	s_waitcnt vmcnt(4)
	v_cvt_f32_f16_e32 v40, v87
	s_waitcnt vmcnt(3)
	v_cvt_f32_f16_e32 v39, v88
	s_waitcnt vmcnt(2)
	v_cvt_f32_f16_e32 v38, v89
	s_waitcnt vmcnt(1)
	v_cvt_f32_f16_e32 v37, v90
	s_waitcnt vmcnt(0)
	v_cvt_f32_f16_e32 v36, v91
.LBB119_12:
	ds_read_b128 v[68:71], v3
	s_load_dwordx2 s[0:1], s[4:5], 0x0
	s_load_dwordx2 s[2:3], s[4:5], 0x38
	ds_read_b128 v[72:75], v3 offset:16
	ds_read_b128 v[76:79], v3 offset:32
	;; [unrolled: 1-line block ×3, first 2 shown]
	s_and_b64 vcc, exec, s[8:9]
	s_waitcnt vmcnt(15) lgkmcnt(0)
	v_fma_mix_f32 v4, v68, v4, 0 op_sel_hi:[0,1,0]
	s_waitcnt vmcnt(14)
	v_fma_mix_f32 v4, v69, v5, v4 op_sel_hi:[0,1,0]
	s_waitcnt vmcnt(13)
	;; [unrolled: 2-line block ×15, first 2 shown]
	v_fma_mix_f32 v4, v83, v19, v4 op_sel_hi:[0,1,0]
	s_cbranch_vccz .LBB119_15
; %bb.13:
	ds_read_b128 v[6:9], v3 offset:64
	ds_read_b128 v[10:13], v3 offset:80
	ds_read_b128 v[14:17], v3 offset:96
	ds_read_b128 v[68:71], v3 offset:112
	s_cmpk_lt_u32 s44, 0x2001
	s_waitcnt lgkmcnt(3)
	v_fma_mix_f32 v3, v6, v27, v4 op_sel_hi:[0,1,0]
	v_fma_mix_f32 v3, v7, v26, v3 op_sel_hi:[0,1,0]
	v_fma_mix_f32 v3, v8, v25, v3 op_sel_hi:[0,1,0]
	v_fma_mix_f32 v3, v9, v24, v3 op_sel_hi:[0,1,0]
	s_waitcnt lgkmcnt(2)
	v_fma_mix_f32 v3, v10, v23, v3 op_sel_hi:[0,1,0]
	v_fma_mix_f32 v3, v11, v22, v3 op_sel_hi:[0,1,0]
	v_fma_mix_f32 v3, v12, v20, v3 op_sel_hi:[0,1,0]
	v_fma_mix_f32 v3, v13, v21, v3 op_sel_hi:[0,1,0]
	;; [unrolled: 5-line block ×4, first 2 shown]
	s_cbranch_scc1 .LBB119_15
; %bb.14:
	v_mov_b32_e32 v3, 0
	ds_read_b128 v[6:9], v3 offset:128
	ds_read_b128 v[10:13], v3 offset:144
	;; [unrolled: 1-line block ×4, first 2 shown]
	s_waitcnt lgkmcnt(3)
	v_fmac_f32_e32 v4, v6, v67
	v_fmac_f32_e32 v4, v7, v66
	v_fmac_f32_e32 v4, v8, v65
	v_fmac_f32_e32 v4, v9, v64
	s_waitcnt lgkmcnt(2)
	v_fmac_f32_e32 v4, v10, v63
	v_fmac_f32_e32 v4, v11, v62
	v_fmac_f32_e32 v4, v12, v61
	v_fmac_f32_e32 v4, v13, v60
	;; [unrolled: 5-line block ×3, first 2 shown]
	ds_read_b128 v[6:9], v3 offset:192
	ds_read_b128 v[10:13], v3 offset:208
	s_waitcnt lgkmcnt(2)
	v_fmac_f32_e32 v4, v18, v55
	v_fmac_f32_e32 v4, v19, v54
	;; [unrolled: 1-line block ×4, first 2 shown]
	s_waitcnt lgkmcnt(1)
	v_fmac_f32_e32 v4, v6, v51
	v_fmac_f32_e32 v4, v7, v50
	;; [unrolled: 1-line block ×4, first 2 shown]
	ds_read_b128 v[6:9], v3 offset:224
	s_waitcnt lgkmcnt(1)
	v_fmac_f32_e32 v4, v10, v47
	v_fmac_f32_e32 v4, v11, v46
	;; [unrolled: 1-line block ×4, first 2 shown]
	ds_read_b128 v[10:13], v3 offset:240
	s_waitcnt lgkmcnt(1)
	v_fmac_f32_e32 v4, v6, v43
	v_fmac_f32_e32 v4, v7, v42
	;; [unrolled: 1-line block ×4, first 2 shown]
	s_waitcnt lgkmcnt(0)
	v_fmac_f32_e32 v4, v10, v39
	v_fmac_f32_e32 v4, v11, v38
	v_fmac_f32_e32 v4, v12, v37
	v_fmac_f32_e32 v4, v13, v36
.LBB119_15:
	s_movk_i32 s4, 0x3f80
	s_movk_i32 s5, 0x100
	s_mov_b32 s8, 64
	s_branch .LBB119_17
.LBB119_16:                             ;   in Loop: Header=BB119_17 Depth=1
	s_addk_i32 s4, 0x2000
	s_addk_i32 s5, 0x100
	s_add_i32 s8, s8, 64
	s_cmp_eq_u32 s4, 0x11f80
	s_cbranch_scc1 .LBB119_19
.LBB119_17:                             ; =>This Inner Loop Header: Depth=1
	s_cmp_le_i32 s33, s8
	s_cbranch_scc1 .LBB119_16
; %bb.18:                               ;   in Loop: Header=BB119_17 Depth=1
	s_add_i32 s9, s4, 0xffffe080
	s_cmp_lt_i32 s9, s10
	s_cselect_b32 s12, s9, s11
	s_ashr_i32 s13, s12, 31
	s_lshl_b64 s[12:13], s[12:13], 1
	s_add_i32 s9, s4, 0xffffe100
	s_cmp_lt_i32 s9, s10
	v_add_co_u32_e32 v12, vcc, s12, v1
	s_cselect_b32 s12, s9, s11
	v_mov_b32_e32 v3, s13
	s_ashr_i32 s13, s12, 31
	s_lshl_b64 s[12:13], s[12:13], 1
	s_add_i32 s9, s4, 0xffffe180
	v_addc_co_u32_e32 v13, vcc, v2, v3, vcc
	s_cmp_lt_i32 s9, s10
	v_add_co_u32_e32 v14, vcc, s12, v1
	s_cselect_b32 s12, s9, s11
	v_mov_b32_e32 v3, s13
	s_ashr_i32 s13, s12, 31
	s_lshl_b64 s[12:13], s[12:13], 1
	s_add_i32 s9, s4, 0xffffe200
	v_addc_co_u32_e32 v15, vcc, v2, v3, vcc
	;; [unrolled: 8-line block ×8, first 2 shown]
	s_cmp_lt_i32 s9, s10
	global_load_ushort v3, v[12:13], off
	global_load_ushort v5, v[14:15], off
	;; [unrolled: 1-line block ×8, first 2 shown]
	v_add_co_u32_e32 v20, vcc, s12, v1
	s_cselect_b32 s12, s9, s11
	v_mov_b32_e32 v12, s13
	s_ashr_i32 s13, s12, 31
	s_lshl_b64 s[12:13], s[12:13], 1
	s_add_i32 s9, s4, 0xffffe580
	v_addc_co_u32_e32 v21, vcc, v2, v12, vcc
	s_cmp_lt_i32 s9, s10
	v_add_co_u32_e32 v22, vcc, s12, v1
	s_cselect_b32 s12, s9, s11
	v_mov_b32_e32 v12, s13
	s_ashr_i32 s13, s12, 31
	s_lshl_b64 s[12:13], s[12:13], 1
	s_add_i32 s9, s4, 0xffffe600
	v_addc_co_u32_e32 v23, vcc, v2, v12, vcc
	s_cmp_lt_i32 s9, s10
	;; [unrolled: 8-line block ×8, first 2 shown]
	global_load_ushort v15, v[20:21], off
	global_load_ushort v16, v[22:23], off
	;; [unrolled: 1-line block ×8, first 2 shown]
	v_add_co_u32_e32 v28, vcc, s12, v1
	s_cselect_b32 s12, s9, s11
	v_mov_b32_e32 v20, s13
	s_ashr_i32 s13, s12, 31
	s_lshl_b64 s[12:13], s[12:13], 1
	s_add_i32 s9, s4, 0xffffe980
	v_addc_co_u32_e32 v29, vcc, v2, v20, vcc
	s_cmp_lt_i32 s9, s10
	v_add_co_u32_e32 v30, vcc, s12, v1
	s_cselect_b32 s12, s9, s11
	v_mov_b32_e32 v20, s13
	s_ashr_i32 s13, s12, 31
	s_lshl_b64 s[12:13], s[12:13], 1
	s_add_i32 s9, s4, 0xffffea00
	v_addc_co_u32_e32 v31, vcc, v2, v20, vcc
	s_cmp_lt_i32 s9, s10
	v_add_co_u32_e32 v32, vcc, s12, v1
	s_cselect_b32 s12, s9, s11
	v_mov_b32_e32 v20, s13
	s_ashr_i32 s13, s12, 31
	s_lshl_b64 s[12:13], s[12:13], 1
	s_add_i32 s9, s4, 0xffffea80
	v_addc_co_u32_e32 v33, vcc, v2, v20, vcc
	s_cmp_lt_i32 s9, s10
	v_add_co_u32_e32 v34, vcc, s12, v1
	s_cselect_b32 s12, s9, s11
	v_mov_b32_e32 v20, s13
	s_ashr_i32 s13, s12, 31
	s_lshl_b64 s[12:13], s[12:13], 1
	s_add_i32 s9, s4, 0xffffeb00
	v_addc_co_u32_e32 v35, vcc, v2, v20, vcc
	s_cmp_lt_i32 s9, s10
	v_add_co_u32_e32 v36, vcc, s12, v1
	s_cselect_b32 s12, s9, s11
	v_mov_b32_e32 v20, s13
	s_ashr_i32 s13, s12, 31
	s_lshl_b64 s[12:13], s[12:13], 1
	s_add_i32 s9, s4, 0xffffeb80
	v_addc_co_u32_e32 v37, vcc, v2, v20, vcc
	s_cmp_lt_i32 s9, s10
	v_add_co_u32_e32 v38, vcc, s12, v1
	s_cselect_b32 s12, s9, s11
	v_mov_b32_e32 v20, s13
	s_ashr_i32 s13, s12, 31
	s_lshl_b64 s[12:13], s[12:13], 1
	s_add_i32 s9, s4, 0xffffec00
	v_addc_co_u32_e32 v39, vcc, v2, v20, vcc
	s_cmp_lt_i32 s9, s10
	v_add_co_u32_e32 v40, vcc, s12, v1
	s_cselect_b32 s12, s9, s11
	v_mov_b32_e32 v20, s13
	s_ashr_i32 s13, s12, 31
	s_lshl_b64 s[12:13], s[12:13], 1
	s_add_i32 s9, s4, 0xffffec80
	v_addc_co_u32_e32 v41, vcc, v2, v20, vcc
	s_cmp_lt_i32 s9, s10
	v_add_co_u32_e32 v42, vcc, s12, v1
	s_cselect_b32 s12, s9, s11
	v_mov_b32_e32 v20, s13
	s_ashr_i32 s13, s12, 31
	s_lshl_b64 s[12:13], s[12:13], 1
	s_add_i32 s9, s4, 0xffffed00
	v_addc_co_u32_e32 v43, vcc, v2, v20, vcc
	s_cmp_lt_i32 s9, s10
	global_load_ushort v23, v[28:29], off
	global_load_ushort v24, v[30:31], off
	;; [unrolled: 1-line block ×8, first 2 shown]
	v_add_co_u32_e32 v36, vcc, s12, v1
	s_cselect_b32 s12, s9, s11
	v_mov_b32_e32 v28, s13
	s_ashr_i32 s13, s12, 31
	s_lshl_b64 s[12:13], s[12:13], 1
	s_add_i32 s9, s4, 0xffffed80
	v_addc_co_u32_e32 v37, vcc, v2, v28, vcc
	s_cmp_lt_i32 s9, s10
	v_add_co_u32_e32 v38, vcc, s12, v1
	s_cselect_b32 s12, s9, s11
	v_mov_b32_e32 v28, s13
	s_ashr_i32 s13, s12, 31
	s_lshl_b64 s[12:13], s[12:13], 1
	s_add_i32 s9, s4, 0xffffee00
	v_addc_co_u32_e32 v39, vcc, v2, v28, vcc
	s_cmp_lt_i32 s9, s10
	;; [unrolled: 8-line block ×8, first 2 shown]
	global_load_ushort v31, v[36:37], off
	global_load_ushort v32, v[38:39], off
	;; [unrolled: 1-line block ×8, first 2 shown]
	v_add_co_u32_e32 v36, vcc, s12, v1
	s_cselect_b32 s12, s9, s11
	v_mov_b32_e32 v37, s13
	s_ashr_i32 s13, s12, 31
	s_lshl_b64 s[12:13], s[12:13], 1
	s_add_i32 s9, s4, 0xfffff180
	v_addc_co_u32_e32 v37, vcc, v2, v37, vcc
	s_cmp_lt_i32 s9, s10
	v_add_co_u32_e32 v38, vcc, s12, v1
	s_cselect_b32 s12, s9, s11
	v_mov_b32_e32 v39, s13
	s_ashr_i32 s13, s12, 31
	s_lshl_b64 s[12:13], s[12:13], 1
	s_add_i32 s9, s4, 0xfffff200
	v_addc_co_u32_e32 v39, vcc, v2, v39, vcc
	s_cmp_lt_i32 s9, s10
	;; [unrolled: 8-line block ×8, first 2 shown]
	global_load_ushort v52, v[36:37], off
	global_load_ushort v53, v[38:39], off
	;; [unrolled: 1-line block ×8, first 2 shown]
	v_add_co_u32_e32 v36, vcc, s12, v1
	s_cselect_b32 s12, s9, s11
	v_mov_b32_e32 v37, s13
	s_ashr_i32 s13, s12, 31
	s_lshl_b64 s[12:13], s[12:13], 1
	s_add_i32 s9, s4, 0xfffff580
	v_addc_co_u32_e32 v37, vcc, v2, v37, vcc
	s_cmp_lt_i32 s9, s10
	v_add_co_u32_e32 v38, vcc, s12, v1
	s_cselect_b32 s12, s9, s11
	v_mov_b32_e32 v39, s13
	s_ashr_i32 s13, s12, 31
	s_lshl_b64 s[12:13], s[12:13], 1
	s_add_i32 s9, s4, 0xfffff600
	v_addc_co_u32_e32 v39, vcc, v2, v39, vcc
	s_cmp_lt_i32 s9, s10
	;; [unrolled: 8-line block ×8, first 2 shown]
	global_load_ushort v60, v[36:37], off
	global_load_ushort v61, v[38:39], off
	;; [unrolled: 1-line block ×8, first 2 shown]
	v_add_co_u32_e32 v36, vcc, s12, v1
	s_cselect_b32 s12, s9, s11
	v_mov_b32_e32 v37, s13
	s_ashr_i32 s13, s12, 31
	s_lshl_b64 s[12:13], s[12:13], 1
	s_add_i32 s9, s4, 0xfffff980
	v_addc_co_u32_e32 v37, vcc, v2, v37, vcc
	s_cmp_lt_i32 s9, s10
	v_add_co_u32_e32 v38, vcc, s12, v1
	s_cselect_b32 s12, s9, s11
	v_mov_b32_e32 v39, s13
	s_ashr_i32 s13, s12, 31
	s_lshl_b64 s[12:13], s[12:13], 1
	s_add_i32 s9, s4, 0xfffffa00
	v_addc_co_u32_e32 v39, vcc, v2, v39, vcc
	s_cmp_lt_i32 s9, s10
	;; [unrolled: 8-line block ×8, first 2 shown]
	global_load_ushort v68, v[36:37], off
	global_load_ushort v69, v[38:39], off
	global_load_ushort v70, v[40:41], off
	global_load_ushort v71, v[42:43], off
	global_load_ushort v72, v[44:45], off
	global_load_ushort v73, v[46:47], off
	global_load_ushort v74, v[48:49], off
	global_load_ushort v75, v[50:51], off
	v_add_co_u32_e32 v36, vcc, s12, v1
	s_cselect_b32 s12, s9, s11
	v_mov_b32_e32 v37, s13
	s_ashr_i32 s13, s12, 31
	s_lshl_b64 s[12:13], s[12:13], 1
	s_add_i32 s9, s4, 0xfffffd80
	v_addc_co_u32_e32 v37, vcc, v2, v37, vcc
	s_cmp_lt_i32 s9, s10
	v_add_co_u32_e32 v38, vcc, s12, v1
	s_cselect_b32 s12, s9, s11
	v_mov_b32_e32 v39, s13
	s_ashr_i32 s13, s12, 31
	s_lshl_b64 s[12:13], s[12:13], 1
	s_add_i32 s9, s4, 0xfffffe00
	v_addc_co_u32_e32 v39, vcc, v2, v39, vcc
	s_cmp_lt_i32 s9, s10
	;; [unrolled: 8-line block ×5, first 2 shown]
	v_add_co_u32_e32 v46, vcc, s12, v1
	s_cselect_b32 s12, s9, s11
	v_mov_b32_e32 v47, s13
	s_ashr_i32 s13, s12, 31
	s_lshl_b64 s[12:13], s[12:13], 1
	v_addc_co_u32_e32 v47, vcc, v2, v47, vcc
	s_cmp_lt_i32 s4, s10
	v_add_co_u32_e32 v48, vcc, s12, v1
	s_cselect_b32 s12, s4, s11
	v_mov_b32_e32 v49, s13
	s_ashr_i32 s13, s12, 31
	v_addc_co_u32_e32 v49, vcc, v2, v49, vcc
	s_lshl_b64 s[12:13], s[12:13], 1
	v_mov_b32_e32 v51, s13
	v_add_co_u32_e32 v50, vcc, s12, v1
	v_addc_co_u32_e32 v51, vcc, v2, v51, vcc
	global_load_ushort v76, v[36:37], off
	global_load_ushort v77, v[38:39], off
	;; [unrolled: 1-line block ×8, first 2 shown]
	v_mov_b32_e32 v84, s5
	ds_read_b128 v[36:39], v84
	ds_read_b128 v[40:43], v84 offset:16
	ds_read_b128 v[44:47], v84 offset:32
	;; [unrolled: 1-line block ×3, first 2 shown]
	s_waitcnt vmcnt(62) lgkmcnt(3)
	v_fma_mix_f32 v3, v36, v3, v4 op_sel_hi:[0,1,0]
	v_fma_mix_f32 v3, v37, v5, v3 op_sel_hi:[0,1,0]
	s_waitcnt vmcnt(61)
	v_fma_mix_f32 v3, v38, v6, v3 op_sel_hi:[0,1,0]
	s_waitcnt vmcnt(60)
	v_fma_mix_f32 v3, v39, v7, v3 op_sel_hi:[0,1,0]
	s_waitcnt vmcnt(59) lgkmcnt(2)
	v_fma_mix_f32 v3, v40, v8, v3 op_sel_hi:[0,1,0]
	s_waitcnt vmcnt(58)
	v_fma_mix_f32 v3, v41, v9, v3 op_sel_hi:[0,1,0]
	s_waitcnt vmcnt(57)
	;; [unrolled: 2-line block ×3, first 2 shown]
	v_fma_mix_f32 v3, v43, v11, v3 op_sel_hi:[0,1,0]
	s_waitcnt vmcnt(55) lgkmcnt(1)
	v_fma_mix_f32 v3, v44, v15, v3 op_sel_hi:[0,1,0]
	s_waitcnt vmcnt(54)
	v_fma_mix_f32 v3, v45, v16, v3 op_sel_hi:[0,1,0]
	s_waitcnt vmcnt(53)
	;; [unrolled: 2-line block ×3, first 2 shown]
	v_fma_mix_f32 v3, v47, v18, v3 op_sel_hi:[0,1,0]
	ds_read_b128 v[4:7], v84 offset:64
	ds_read_b128 v[8:11], v84 offset:80
	s_waitcnt vmcnt(51) lgkmcnt(2)
	v_fma_mix_f32 v3, v48, v19, v3 op_sel_hi:[0,1,0]
	s_waitcnt vmcnt(50)
	v_fma_mix_f32 v3, v49, v12, v3 op_sel_hi:[0,1,0]
	s_waitcnt vmcnt(49)
	v_fma_mix_f32 v3, v50, v13, v3 op_sel_hi:[0,1,0]
	s_waitcnt vmcnt(48)
	v_fma_mix_f32 v3, v51, v14, v3 op_sel_hi:[0,1,0]
	s_waitcnt vmcnt(47) lgkmcnt(1)
	v_fma_mix_f32 v3, v4, v23, v3 op_sel_hi:[0,1,0]
	s_waitcnt vmcnt(46)
	v_fma_mix_f32 v3, v5, v24, v3 op_sel_hi:[0,1,0]
	s_waitcnt vmcnt(45)
	v_fma_mix_f32 v3, v6, v25, v3 op_sel_hi:[0,1,0]
	s_waitcnt vmcnt(44)
	v_fma_mix_f32 v3, v7, v26, v3 op_sel_hi:[0,1,0]
	ds_read_b128 v[4:7], v84 offset:96
	s_waitcnt vmcnt(43) lgkmcnt(1)
	v_fma_mix_f32 v3, v8, v27, v3 op_sel_hi:[0,1,0]
	s_waitcnt vmcnt(42)
	v_fma_mix_f32 v3, v9, v20, v3 op_sel_hi:[0,1,0]
	s_waitcnt vmcnt(41)
	v_fma_mix_f32 v3, v10, v21, v3 op_sel_hi:[0,1,0]
	s_waitcnt vmcnt(40)
	v_fma_mix_f32 v3, v11, v22, v3 op_sel_hi:[0,1,0]
	ds_read_b128 v[8:11], v84 offset:112
	s_waitcnt vmcnt(39) lgkmcnt(1)
	v_fma_mix_f32 v3, v4, v31, v3 op_sel_hi:[0,1,0]
	s_waitcnt vmcnt(38)
	v_fma_mix_f32 v3, v5, v32, v3 op_sel_hi:[0,1,0]
	s_waitcnt vmcnt(37)
	v_fma_mix_f32 v3, v6, v33, v3 op_sel_hi:[0,1,0]
	s_waitcnt vmcnt(36)
	v_fma_mix_f32 v3, v7, v34, v3 op_sel_hi:[0,1,0]
	ds_read_b128 v[4:7], v84 offset:128
	s_waitcnt vmcnt(35) lgkmcnt(1)
	v_fma_mix_f32 v3, v8, v35, v3 op_sel_hi:[0,1,0]
	s_waitcnt vmcnt(34)
	v_fma_mix_f32 v3, v9, v28, v3 op_sel_hi:[0,1,0]
	s_waitcnt vmcnt(33)
	v_fma_mix_f32 v3, v10, v29, v3 op_sel_hi:[0,1,0]
	s_waitcnt vmcnt(32)
	v_fma_mix_f32 v3, v11, v30, v3 op_sel_hi:[0,1,0]
	ds_read_b128 v[8:11], v84 offset:144
	s_waitcnt vmcnt(31) lgkmcnt(1)
	v_fma_mix_f32 v3, v4, v52, v3 op_sel_hi:[0,1,0]
	s_waitcnt vmcnt(30)
	v_fma_mix_f32 v3, v5, v53, v3 op_sel_hi:[0,1,0]
	s_waitcnt vmcnt(29)
	v_fma_mix_f32 v3, v6, v54, v3 op_sel_hi:[0,1,0]
	s_waitcnt vmcnt(28)
	v_fma_mix_f32 v3, v7, v55, v3 op_sel_hi:[0,1,0]
	ds_read_b128 v[4:7], v84 offset:160
	s_waitcnt vmcnt(27) lgkmcnt(1)
	v_fma_mix_f32 v3, v8, v56, v3 op_sel_hi:[0,1,0]
	s_waitcnt vmcnt(26)
	v_fma_mix_f32 v3, v9, v57, v3 op_sel_hi:[0,1,0]
	s_waitcnt vmcnt(25)
	v_fma_mix_f32 v3, v10, v58, v3 op_sel_hi:[0,1,0]
	s_waitcnt vmcnt(24)
	v_fma_mix_f32 v3, v11, v59, v3 op_sel_hi:[0,1,0]
	ds_read_b128 v[8:11], v84 offset:176
	s_waitcnt vmcnt(23) lgkmcnt(1)
	v_fma_mix_f32 v3, v4, v60, v3 op_sel_hi:[0,1,0]
	s_waitcnt vmcnt(22)
	v_fma_mix_f32 v3, v5, v61, v3 op_sel_hi:[0,1,0]
	s_waitcnt vmcnt(21)
	v_fma_mix_f32 v3, v6, v62, v3 op_sel_hi:[0,1,0]
	s_waitcnt vmcnt(20)
	v_fma_mix_f32 v3, v7, v63, v3 op_sel_hi:[0,1,0]
	ds_read_b128 v[4:7], v84 offset:192
	s_waitcnt vmcnt(19) lgkmcnt(1)
	v_fma_mix_f32 v3, v8, v64, v3 op_sel_hi:[0,1,0]
	s_waitcnt vmcnt(18)
	v_fma_mix_f32 v3, v9, v65, v3 op_sel_hi:[0,1,0]
	s_waitcnt vmcnt(17)
	v_fma_mix_f32 v3, v10, v66, v3 op_sel_hi:[0,1,0]
	s_waitcnt vmcnt(16)
	v_fma_mix_f32 v3, v11, v67, v3 op_sel_hi:[0,1,0]
	ds_read_b128 v[8:11], v84 offset:208
	s_waitcnt vmcnt(15) lgkmcnt(1)
	v_fma_mix_f32 v3, v4, v68, v3 op_sel_hi:[0,1,0]
	s_waitcnt vmcnt(14)
	v_fma_mix_f32 v3, v5, v69, v3 op_sel_hi:[0,1,0]
	s_waitcnt vmcnt(13)
	v_fma_mix_f32 v3, v6, v70, v3 op_sel_hi:[0,1,0]
	s_waitcnt vmcnt(12)
	v_fma_mix_f32 v3, v7, v71, v3 op_sel_hi:[0,1,0]
	ds_read_b128 v[4:7], v84 offset:224
	s_waitcnt vmcnt(11) lgkmcnt(1)
	v_fma_mix_f32 v3, v8, v72, v3 op_sel_hi:[0,1,0]
	s_waitcnt vmcnt(10)
	v_fma_mix_f32 v3, v9, v73, v3 op_sel_hi:[0,1,0]
	s_waitcnt vmcnt(9)
	v_fma_mix_f32 v3, v10, v74, v3 op_sel_hi:[0,1,0]
	s_waitcnt vmcnt(8)
	v_fma_mix_f32 v3, v11, v75, v3 op_sel_hi:[0,1,0]
	ds_read_b128 v[8:11], v84 offset:240
	s_waitcnt vmcnt(7) lgkmcnt(1)
	v_fma_mix_f32 v3, v4, v76, v3 op_sel_hi:[0,1,0]
	s_waitcnt vmcnt(6)
	v_fma_mix_f32 v3, v5, v77, v3 op_sel_hi:[0,1,0]
	s_waitcnt vmcnt(5)
	;; [unrolled: 2-line block ×3, first 2 shown]
	v_fma_mix_f32 v3, v7, v79, v3 op_sel_hi:[0,1,0]
	s_waitcnt vmcnt(3) lgkmcnt(0)
	v_fma_mix_f32 v3, v8, v80, v3 op_sel_hi:[0,1,0]
	s_waitcnt vmcnt(2)
	v_fma_mix_f32 v3, v9, v81, v3 op_sel_hi:[0,1,0]
	s_waitcnt vmcnt(1)
	;; [unrolled: 2-line block ×3, first 2 shown]
	v_fma_mix_f32 v4, v11, v83, v3 op_sel_hi:[0,1,0]
	s_branch .LBB119_16
.LBB119_19:
	v_mov_b32_e32 v1, 0
	ds_read_b32 v2, v1 offset:2048
	s_cmp_lg_u64 s[2:3], 0
	s_cbranch_scc0 .LBB119_24
; %bb.20:
	s_load_dword s4, s[2:3], 0x0
	s_waitcnt lgkmcnt(0)
	v_div_scale_f32 v1, s[2:3], s4, s4, 1.0
	v_rcp_f32_e32 v3, v1
	v_div_scale_f32 v5, vcc, 1.0, s4, 1.0
	v_fma_f32 v6, -v1, v3, 1.0
	v_fmac_f32_e32 v3, v6, v3
	v_mul_f32_e32 v6, v5, v3
	v_fma_f32 v7, -v1, v6, v5
	v_fmac_f32_e32 v6, v7, v3
	v_fma_f32 v1, -v1, v6, v5
	v_div_fmas_f32 v1, v1, v3, v6
	v_div_fixup_f32 v1, v1, s4, 1.0
	s_andn2_b64 vcc, exec, s[34:35]
	s_cbranch_vccnz .LBB119_22
.LBB119_21:
	s_add_u32 s2, s30, s36
	s_addc_u32 s3, s31, s37
	s_load_dword s28, s[2:3], 0x0
	s_mov_b32 s29, 0
.LBB119_22:
	s_waitcnt lgkmcnt(0)
	v_add_f32_e32 v2, 0x358637bd, v2
	v_div_scale_f32 v3, s[2:3], v2, v2, 1.0
	v_rcp_f32_e32 v5, v3
	v_div_scale_f32 v6, vcc, 1.0, v2, 1.0
	s_mul_i32 s2, s7, s29
	v_fma_f32 v7, -v3, v5, 1.0
	v_fmac_f32_e32 v5, v7, v5
	v_mul_f32_e32 v7, v6, v5
	v_fma_f32 v8, -v3, v7, v6
	s_mul_hi_u32 s3, s7, s28
	v_fmac_f32_e32 v7, v8, v5
	s_add_i32 s3, s3, s2
	s_mul_i32 s2, s7, s28
	v_fma_f32 v3, -v3, v7, v6
	s_lshl_b64 s[2:3], s[2:3], 8
	v_div_fmas_f32 v3, v3, v5, v7
	s_add_u32 s2, s0, s2
	s_mov_b32 s7, 0
	v_div_fixup_f32 v2, v3, v2, 1.0
	s_addc_u32 s3, s1, s3
	s_lshl_b64 s[0:1], s[6:7], 8
	v_mul_f32_e32 v2, v4, v2
	s_add_u32 s0, s2, s0
	s_addc_u32 s1, s3, s1
	v_fma_mixlo_f16 v1, v2, v1, 0
	global_store_short v0, v1, s[0:1]
	s_endpgm
.LBB119_23:
	s_mov_b64 s[2:3], 0
	s_branch .LBB119_2
.LBB119_24:
	v_mov_b32_e32 v1, 1.0
	s_andn2_b64 vcc, exec, s[34:35]
	s_cbranch_vccz .LBB119_21
	s_branch .LBB119_22
	.section	.rodata,"a",@progbits
	.p2align	6, 0x0
	.amdhsa_kernel _Z35paged_attention_ll4mi_reduce_kernelIDF16_DF16_Li128ELi128ELi256ELi8EEvPT0_PKfS3_PKT_PKiS8_iS3_
		.amdhsa_group_segment_fixed_size 2052
		.amdhsa_private_segment_fixed_size 0
		.amdhsa_kernarg_size 320
		.amdhsa_user_sgpr_count 6
		.amdhsa_user_sgpr_private_segment_buffer 1
		.amdhsa_user_sgpr_dispatch_ptr 0
		.amdhsa_user_sgpr_queue_ptr 0
		.amdhsa_user_sgpr_kernarg_segment_ptr 1
		.amdhsa_user_sgpr_dispatch_id 0
		.amdhsa_user_sgpr_flat_scratch_init 0
		.amdhsa_user_sgpr_kernarg_preload_length 0
		.amdhsa_user_sgpr_kernarg_preload_offset 0
		.amdhsa_user_sgpr_private_segment_size 0
		.amdhsa_uses_dynamic_stack 0
		.amdhsa_system_sgpr_private_segment_wavefront_offset 0
		.amdhsa_system_sgpr_workgroup_id_x 1
		.amdhsa_system_sgpr_workgroup_id_y 1
		.amdhsa_system_sgpr_workgroup_id_z 0
		.amdhsa_system_sgpr_workgroup_info 0
		.amdhsa_system_vgpr_workitem_id 0
		.amdhsa_next_free_vgpr 92
		.amdhsa_next_free_sgpr 45
		.amdhsa_accum_offset 92
		.amdhsa_reserve_vcc 1
		.amdhsa_reserve_flat_scratch 0
		.amdhsa_float_round_mode_32 0
		.amdhsa_float_round_mode_16_64 0
		.amdhsa_float_denorm_mode_32 3
		.amdhsa_float_denorm_mode_16_64 3
		.amdhsa_dx10_clamp 1
		.amdhsa_ieee_mode 1
		.amdhsa_fp16_overflow 0
		.amdhsa_tg_split 0
		.amdhsa_exception_fp_ieee_invalid_op 0
		.amdhsa_exception_fp_denorm_src 0
		.amdhsa_exception_fp_ieee_div_zero 0
		.amdhsa_exception_fp_ieee_overflow 0
		.amdhsa_exception_fp_ieee_underflow 0
		.amdhsa_exception_fp_ieee_inexact 0
		.amdhsa_exception_int_div_zero 0
	.end_amdhsa_kernel
	.section	.text._Z35paged_attention_ll4mi_reduce_kernelIDF16_DF16_Li128ELi128ELi256ELi8EEvPT0_PKfS3_PKT_PKiS8_iS3_,"axG",@progbits,_Z35paged_attention_ll4mi_reduce_kernelIDF16_DF16_Li128ELi128ELi256ELi8EEvPT0_PKfS3_PKT_PKiS8_iS3_,comdat
.Lfunc_end119:
	.size	_Z35paged_attention_ll4mi_reduce_kernelIDF16_DF16_Li128ELi128ELi256ELi8EEvPT0_PKfS3_PKT_PKiS8_iS3_, .Lfunc_end119-_Z35paged_attention_ll4mi_reduce_kernelIDF16_DF16_Li128ELi128ELi256ELi8EEvPT0_PKfS3_PKT_PKiS8_iS3_
                                        ; -- End function
	.section	.AMDGPU.csdata,"",@progbits
; Kernel info:
; codeLenInByte = 10316
; NumSgprs: 49
; NumVgprs: 92
; NumAgprs: 0
; TotalNumVgprs: 92
; ScratchSize: 0
; MemoryBound: 0
; FloatMode: 240
; IeeeMode: 1
; LDSByteSize: 2052 bytes/workgroup (compile time only)
; SGPRBlocks: 6
; VGPRBlocks: 11
; NumSGPRsForWavesPerEU: 49
; NumVGPRsForWavesPerEU: 92
; AccumOffset: 92
; Occupancy: 5
; WaveLimiterHint : 1
; COMPUTE_PGM_RSRC2:SCRATCH_EN: 0
; COMPUTE_PGM_RSRC2:USER_SGPR: 6
; COMPUTE_PGM_RSRC2:TRAP_HANDLER: 0
; COMPUTE_PGM_RSRC2:TGID_X_EN: 1
; COMPUTE_PGM_RSRC2:TGID_Y_EN: 1
; COMPUTE_PGM_RSRC2:TGID_Z_EN: 0
; COMPUTE_PGM_RSRC2:TIDIG_COMP_CNT: 0
; COMPUTE_PGM_RSRC3_GFX90A:ACCUM_OFFSET: 22
; COMPUTE_PGM_RSRC3_GFX90A:TG_SPLIT: 0
	.section	.text._Z39paged_attention_ll4mi_QKV_mfma16_kernelIDF16_DF16_LN4vllm18Fp8KVCacheDataTypeE0EDF16_Li16ELi128ELi256ELb1ELi1EL8MFMAType0EEvPKT_PKT0_S8_ifPKiSA_SA_iPKfiiiPfSD_PS3_PT2_iSC_SC_,"axG",@progbits,_Z39paged_attention_ll4mi_QKV_mfma16_kernelIDF16_DF16_LN4vllm18Fp8KVCacheDataTypeE0EDF16_Li16ELi128ELi256ELb1ELi1EL8MFMAType0EEvPKT_PKT0_S8_ifPKiSA_SA_iPKfiiiPfSD_PS3_PT2_iSC_SC_,comdat
	.protected	_Z39paged_attention_ll4mi_QKV_mfma16_kernelIDF16_DF16_LN4vllm18Fp8KVCacheDataTypeE0EDF16_Li16ELi128ELi256ELb1ELi1EL8MFMAType0EEvPKT_PKT0_S8_ifPKiSA_SA_iPKfiiiPfSD_PS3_PT2_iSC_SC_ ; -- Begin function _Z39paged_attention_ll4mi_QKV_mfma16_kernelIDF16_DF16_LN4vllm18Fp8KVCacheDataTypeE0EDF16_Li16ELi128ELi256ELb1ELi1EL8MFMAType0EEvPKT_PKT0_S8_ifPKiSA_SA_iPKfiiiPfSD_PS3_PT2_iSC_SC_
	.globl	_Z39paged_attention_ll4mi_QKV_mfma16_kernelIDF16_DF16_LN4vllm18Fp8KVCacheDataTypeE0EDF16_Li16ELi128ELi256ELb1ELi1EL8MFMAType0EEvPKT_PKT0_S8_ifPKiSA_SA_iPKfiiiPfSD_PS3_PT2_iSC_SC_
	.p2align	8
	.type	_Z39paged_attention_ll4mi_QKV_mfma16_kernelIDF16_DF16_LN4vllm18Fp8KVCacheDataTypeE0EDF16_Li16ELi128ELi256ELb1ELi1EL8MFMAType0EEvPKT_PKT0_S8_ifPKiSA_SA_iPKfiiiPfSD_PS3_PT2_iSC_SC_,@function
_Z39paged_attention_ll4mi_QKV_mfma16_kernelIDF16_DF16_LN4vllm18Fp8KVCacheDataTypeE0EDF16_Li16ELi128ELi256ELb1ELi1EL8MFMAType0EEvPKT_PKT0_S8_ifPKiSA_SA_iPKfiiiPfSD_PS3_PT2_iSC_SC_: ; @_Z39paged_attention_ll4mi_QKV_mfma16_kernelIDF16_DF16_LN4vllm18Fp8KVCacheDataTypeE0EDF16_Li16ELi128ELi256ELb1ELi1EL8MFMAType0EEvPKT_PKT0_S8_ifPKiSA_SA_iPKfiiiPfSD_PS3_PT2_iSC_SC_
; %bb.0:
	s_mov_b64 s[46:47], s[2:3]
	s_mov_b64 s[44:45], s[0:1]
	s_load_dwordx2 s[0:1], s[4:5], 0x30
	s_add_u32 s44, s44, s9
	s_addc_u32 s45, s45, 0
	s_mov_b32 s28, s7
	s_mov_b64 s[10:11], 0
	s_waitcnt lgkmcnt(0)
	s_cmp_lg_u64 s[0:1], 0
	s_cselect_b64 s[2:3], -1, 0
	s_and_b64 vcc, exec, s[2:3]
	s_cbranch_vccz .LBB120_7
; %bb.1:
	s_add_i32 s12, s6, 1
	s_mov_b32 s13, 0
	s_lshl_b64 s[14:15], s[12:13], 2
	s_add_u32 s14, s0, s14
	s_mov_b32 s7, s13
	s_addc_u32 s15, s1, s15
	s_lshl_b64 s[12:13], s[6:7], 2
	s_add_u32 s12, s0, s12
	s_addc_u32 s13, s1, s13
	s_load_dword s9, s[14:15], 0x0
	s_load_dword s16, s[12:13], 0x0
	s_waitcnt lgkmcnt(0)
	s_sub_i32 s9, s9, s16
	s_cmp_eq_u32 s9, 1
	s_cselect_b64 s[12:13], -1, 0
	s_andn2_b64 vcc, exec, s[10:11]
	s_cbranch_vccnz .LBB120_3
.LBB120_2:
	s_mov_b32 s7, 0
	s_mov_b64 s[12:13], -1
.LBB120_3:
	s_andn2_b64 vcc, exec, s[12:13]
	s_cbranch_vccnz .LBB120_19
; %bb.4:
	s_load_dwordx2 s[12:13], s[4:5], 0x28
	s_lshl_b64 s[10:11], s[6:7], 2
	s_waitcnt lgkmcnt(0)
	s_add_u32 s12, s12, s10
	s_addc_u32 s13, s13, s11
	s_load_dword s29, s[12:13], 0x0
	s_lshl_b32 s16, s28, 8
	s_waitcnt lgkmcnt(0)
	s_cmp_ge_i32 s16, s29
	s_cbranch_scc1 .LBB120_19
; %bb.5:
	s_add_i32 s14, s29, 15
	s_load_dwordx2 s[12:13], s[4:5], 0x20
	s_load_dword s9, s[4:5], 0x38
	s_ashr_i32 s15, s14, 31
	v_and_b32_e32 v1, 0xcf, v0
	s_lshr_b32 s15, s15, 28
	v_add_u32_e32 v1, s16, v1
	s_add_i32 s14, s14, s15
	v_ashrrev_i32_e32 v2, 31, v1
	s_ashr_i32 s19, s14, 4
	v_lshrrev_b32_e32 v4, 28, v2
	s_add_i32 s19, s19, -1
	v_add_u32_e32 v2, v1, v4
	s_waitcnt lgkmcnt(0)
	s_mul_i32 s14, s6, s9
	s_mov_b32 s15, 0
	v_ashrrev_i32_e32 v2, 4, v2
	v_mov_b32_e32 v5, s19
	v_cmp_gt_i32_e32 vcc, s29, v1
	s_lshl_b64 s[14:15], s[14:15], 2
	v_cndmask_b32_e32 v2, v5, v2, vcc
	s_add_u32 s17, s12, s14
	v_ashrrev_i32_e32 v3, 31, v2
	s_addc_u32 s18, s13, s15
	v_lshlrev_b64 v[2:3], 2, v[2:3]
	v_mov_b32_e32 v7, s18
	v_add_co_u32_e32 v6, vcc, s17, v2
	v_or_b32_e32 v2, 16, v1
	v_addc_co_u32_e32 v7, vcc, v7, v3, vcc
	v_add_u32_e32 v3, v2, v4
	v_ashrrev_i32_e32 v3, 4, v3
	v_cmp_gt_i32_e32 vcc, s29, v2
	v_cndmask_b32_e32 v2, v5, v3, vcc
	v_ashrrev_i32_e32 v3, 31, v2
	v_lshlrev_b64 v[2:3], 2, v[2:3]
	v_mov_b32_e32 v9, s18
	v_add_co_u32_e32 v8, vcc, s17, v2
	v_or_b32_e32 v2, 32, v1
	v_addc_co_u32_e32 v9, vcc, v9, v3, vcc
	v_add_u32_e32 v3, v2, v4
	v_ashrrev_i32_e32 v3, 4, v3
	v_cmp_gt_i32_e32 vcc, s29, v2
	v_cndmask_b32_e32 v2, v5, v3, vcc
	v_ashrrev_i32_e32 v3, 31, v2
	v_lshlrev_b64 v[2:3], 2, v[2:3]
	v_mov_b32_e32 v11, s18
	v_add_co_u32_e32 v10, vcc, s17, v2
	v_or_b32_e32 v1, 48, v1
	v_addc_co_u32_e32 v11, vcc, v11, v3, vcc
	v_add_u32_e32 v2, v1, v4
	v_ashrrev_i32_e32 v2, 4, v2
	v_cmp_gt_i32_e32 vcc, s29, v1
	v_cndmask_b32_e32 v2, v5, v2, vcc
	v_ashrrev_i32_e32 v3, 31, v2
	v_lshlrev_b64 v[2:3], 2, v[2:3]
	v_mov_b32_e32 v1, s18
	v_add_co_u32_e32 v12, vcc, s17, v2
	v_addc_co_u32_e32 v13, vcc, v1, v3, vcc
	global_load_dword v5, v[6:7], off
	global_load_dword v4, v[8:9], off
	;; [unrolled: 1-line block ×4, first 2 shown]
	s_load_dwordx2 s[12:13], s[4:5], 0x8
	s_andn2_b64 vcc, exec, s[2:3]
	s_cbranch_vccnz .LBB120_8
; %bb.6:
	s_add_u32 s0, s0, s10
	s_addc_u32 s1, s1, s11
	s_load_dword s9, s[0:1], 0x0
	s_branch .LBB120_9
.LBB120_7:
	s_mov_b64 s[12:13], 0
	s_branch .LBB120_2
.LBB120_8:
	s_mov_b32 s9, s6
.LBB120_9:
	s_load_dwordx2 s[10:11], s[4:5], 0x10
	s_load_dwordx4 s[0:3], s[4:5], 0x48
	v_lshrrev_b32_e32 v87, 6, v0
	v_bfe_u32 v84, v0, 4, 2
	v_and_b32_e32 v85, 15, v0
	v_lshl_or_b32 v1, v87, 2, v84
	v_lshlrev_b32_e32 v6, 3, v85
	v_cmp_eq_u32_e32 vcc, 0, v1
	v_lshlrev_b32_e32 v1, 1, v6
	buffer_store_dword v1, off, s[44:47], 0 ; 4-byte Folded Spill
	s_and_saveexec_b64 s[14:15], vcc
	s_cbranch_execz .LBB120_11
; %bb.10:
	buffer_load_dword v1, off, s[44:47], 0  ; 4-byte Folded Reload
	s_load_dwordx2 s[20:21], s[4:5], 0x0
	s_waitcnt lgkmcnt(0)
	s_ashr_i32 s3, s0, 31
	s_mul_hi_u32 s22, s9, s0
	s_mul_i32 s3, s9, s3
	s_add_i32 s23, s22, s3
	s_mul_i32 s22, s9, s0
	s_lshl_b64 s[22:23], s[22:23], 1
	s_add_u32 s0, s20, s22
	s_addc_u32 s3, s21, s23
	s_lshl_b32 s20, s8, 7
	s_ashr_i32 s21, s20, 31
	s_lshl_b64 s[20:21], s[20:21], 1
	s_add_u32 s20, s0, s20
	s_addc_u32 s21, s3, s21
	v_and_b32_e32 v10, 3, v0
	v_lshlrev_b32_e32 v11, 9, v85
	v_lshlrev_b32_e32 v10, 9, v10
	s_movk_i32 s0, 0x1800
	v_and_or_b32 v10, v11, s0, v10
	s_waitcnt vmcnt(0)
	global_load_dwordx4 v[6:9], v1, s[20:21]
	s_waitcnt vmcnt(0)
	ds_write_b128 v10, v[6:9]
.LBB120_11:
	s_or_b64 exec, exec, s[14:15]
	s_waitcnt lgkmcnt(0)
	s_mul_i32 s2, s8, s2
	s_mov_b32 s3, 0
	s_lshl_b64 s[2:3], s[2:3], 1
	s_add_u32 s0, s12, s2
	v_lshlrev_b32_e32 v1, 4, v0
	s_addc_u32 s9, s13, s3
	v_and_b32_e32 v6, 0xf0, v1
	v_mov_b32_e32 v7, s9
	v_add_co_u32_e32 v8, vcc, s0, v6
	v_addc_co_u32_e32 v9, vcc, 0, v7, vcc
	s_waitcnt vmcnt(4)
	v_mad_i64_i32 v[6:7], s[12:13], v5, s1, 0
	v_lshlrev_b64 v[6:7], 1, v[6:7]
	v_add_co_u32_e32 v5, vcc, v8, v6
	v_addc_co_u32_e32 v7, vcc, v9, v7, vcc
	v_and_b32_e32 v10, 0x300, v1
	v_add_co_u32_e32 v6, vcc, v5, v10
	s_waitcnt vmcnt(3)
	v_mad_i64_i32 v[4:5], s[12:13], v4, s1, 0
	v_addc_co_u32_e32 v7, vcc, 0, v7, vcc
	v_lshlrev_b64 v[4:5], 1, v[4:5]
	v_add_co_u32_e32 v4, vcc, v8, v4
	v_addc_co_u32_e32 v5, vcc, v9, v5, vcc
	v_add_co_u32_e32 v4, vcc, v4, v10
	v_addc_co_u32_e32 v5, vcc, 0, v5, vcc
	s_barrier
	global_load_dwordx4 v[74:77], v[6:7], off
	global_load_dwordx4 v[66:69], v[6:7], off offset:1024
	global_load_dwordx4 v[58:61], v[6:7], off offset:2048
	;; [unrolled: 1-line block ×3, first 2 shown]
	global_load_dwordx4 v[78:81], v[4:5], off
	global_load_dwordx4 v[70:73], v[4:5], off offset:1024
	global_load_dwordx4 v[62:65], v[4:5], off offset:2048
	;; [unrolled: 1-line block ×3, first 2 shown]
	s_waitcnt vmcnt(10)
	v_mad_i64_i32 v[4:5], s[12:13], v3, s1, 0
	v_lshlrev_b64 v[4:5], 1, v[4:5]
	v_add_co_u32_e32 v3, vcc, v8, v4
	v_addc_co_u32_e32 v5, vcc, v9, v5, vcc
	v_add_co_u32_e32 v4, vcc, v3, v10
	s_waitcnt vmcnt(9)
	v_mad_i64_i32 v[2:3], s[12:13], v2, s1, 0
	v_addc_co_u32_e32 v5, vcc, 0, v5, vcc
	v_lshlrev_b64 v[2:3], 1, v[2:3]
	v_add_co_u32_e32 v2, vcc, v8, v2
	v_addc_co_u32_e32 v3, vcc, v9, v3, vcc
	v_add_co_u32_e32 v6, vcc, v2, v10
	v_addc_co_u32_e32 v7, vcc, 0, v3, vcc
	global_load_dwordx4 v[38:41], v[4:5], off
	global_load_dwordx4 v[34:37], v[4:5], off offset:1024
	global_load_dwordx4 v[30:33], v[4:5], off offset:2048
	;; [unrolled: 1-line block ×3, first 2 shown]
	global_load_dwordx4 v[18:21], v[6:7], off
	global_load_dwordx4 v[10:13], v[6:7], off offset:1024
	s_nop 0
	global_load_dwordx4 v[2:5], v[6:7], off offset:2048
	global_load_dwordx4 v[50:53], v[6:7], off offset:3072
	v_lshlrev_b32_e32 v54, 9, v84
	ds_read_b128 v[22:25], v54
	ds_read_b128 v[14:17], v54 offset:2048
	ds_read_b128 v[6:9], v54 offset:4096
	;; [unrolled: 1-line block ×3, first 2 shown]
	v_and_b32_e32 v88, 63, v0
	v_cmp_eq_u32_e32 vcc, 0, v85
	v_mov_b32_e32 v89, 0
	s_and_saveexec_b64 s[12:13], vcc
	s_cbranch_execz .LBB120_13
; %bb.12:
	s_load_dwordx2 s[14:15], s[4:5], 0x40
	s_ashr_i32 s9, s8, 31
	s_lshl_b64 s[20:21], s[8:9], 2
	s_waitcnt lgkmcnt(0)
	s_add_u32 s14, s14, s20
	s_addc_u32 s15, s15, s21
	s_load_dword s0, s[14:15], 0x0
	s_waitcnt lgkmcnt(0)
	v_mov_b32_e32 v89, s0
.LBB120_13:
	s_or_b64 exec, exec, s[12:13]
	s_waitcnt vmcnt(15) lgkmcnt(3)
	v_mfma_f32_16x16x16f16 v[90:93], v[74:75], v[22:23], 0
	s_add_u32 s9, s10, s2
	s_addc_u32 s10, s11, s3
	s_load_dword s0, s[4:5], 0x1c
	v_mfma_f32_16x16x16f16 v[74:77], v[76:77], v[24:25], v[90:93]
	s_waitcnt vmcnt(14) lgkmcnt(0)
	v_mfma_f32_16x16x16f16 v[74:77], v[66:67], v[14:15], v[74:77]
	s_nop 4
	v_lshl_or_b32 v90, v87, 4, v85
	v_mfma_f32_16x16x16f16 v[66:69], v[68:69], v[16:17], v[74:77]
	s_waitcnt vmcnt(13)
	v_mfma_f32_16x16x16f16 v[66:69], v[58:59], v[6:7], v[66:69]
	s_nop 4
	v_lshlrev_b32_e32 v76, 5, v90
	v_mfma_f32_16x16x16f16 v[58:61], v[60:61], v[8:9], v[66:69]
	s_waitcnt vmcnt(12)
	v_mfma_f32_16x16x16f16 v[58:61], v[42:43], v[54:55], v[58:61]
	s_nop 4
	v_mov_b32_e32 v66, s18
	v_mfma_f32_16x16x16f16 v[58:61], v[44:45], v[56:57], v[58:61]
	s_waitcnt vmcnt(11)
	v_mfma_f32_16x16x16f16 v[42:45], v[78:79], v[22:23], 0
	s_nop 7
	s_nop 0
	v_pk_mul_f32 v[58:59], s[0:1], v[58:59] op_sel_hi:[0,1]
	v_mfma_f32_16x16x16f16 v[42:45], v[80:81], v[24:25], v[42:45]
	s_waitcnt vmcnt(10)
	v_mfma_f32_16x16x16f16 v[42:45], v[70:71], v[14:15], v[42:45]
	v_mfma_f32_16x16x16f16 v[42:45], v[72:73], v[16:17], v[42:45]
	s_waitcnt vmcnt(9)
	v_mfma_f32_16x16x16f16 v[42:45], v[62:63], v[6:7], v[42:45]
	;; [unrolled: 3-line block ×3, first 2 shown]
	v_mfma_f32_16x16x16f16 v[62:65], v[48:49], v[56:57], v[42:45]
	v_and_or_b32 v48, v0, 48, s16
	v_mov_b32_e32 v49, s19
	v_cmp_gt_i32_e32 vcc, s29, v48
	s_waitcnt vmcnt(7)
	v_mfma_f32_16x16x16f16 v[42:45], v[38:39], v[22:23], 0
	v_ashrrev_i32_e32 v38, 4, v48
	v_cndmask_b32_e32 v38, v49, v38, vcc
	v_ashrrev_i32_e32 v39, 31, v38
	v_lshlrev_b64 v[46:47], 2, v[38:39]
	v_mfma_f32_16x16x16f16 v[38:41], v[40:41], v[24:25], v[42:45]
	s_nop 6
	v_add_co_u32_e32 v42, vcc, s17, v46
	v_addc_co_u32_e32 v43, vcc, v66, v47, vcc
	global_load_dword v44, v[42:43], off
	v_or_b32_e32 v42, 64, v48
	v_ashrrev_i32_e32 v43, 4, v42
	v_cmp_gt_i32_e32 vcc, s29, v42
	v_cndmask_b32_e32 v42, v49, v43, vcc
	s_waitcnt vmcnt(7)
	v_mfma_f32_16x16x16f16 v[38:41], v[34:35], v[14:15], v[38:41]
	v_ashrrev_i32_e32 v43, 31, v42
	v_lshlrev_b64 v[34:35], 2, v[42:43]
	v_mov_b32_e32 v42, s18
	v_add_co_u32_e32 v34, vcc, s17, v34
	v_addc_co_u32_e32 v35, vcc, v42, v35, vcc
	global_load_dword v72, v[34:35], off
	v_mfma_f32_16x16x16f16 v[34:37], v[36:37], v[16:17], v[38:41]
	s_nop 6
	v_or_b32_e32 v38, 0x80, v48
	v_ashrrev_i32_e32 v39, 4, v38
	v_cmp_gt_i32_e32 vcc, s29, v38
	v_cndmask_b32_e32 v38, v49, v39, vcc
	v_ashrrev_i32_e32 v39, 31, v38
	v_lshlrev_b64 v[38:39], 2, v[38:39]
	v_mov_b32_e32 v40, s18
	s_waitcnt vmcnt(7)
	v_mfma_f32_16x16x16f16 v[34:37], v[30:31], v[6:7], v[34:37]
	v_add_co_u32_e32 v30, vcc, s17, v38
	v_addc_co_u32_e32 v31, vcc, v40, v39, vcc
	global_load_dword v74, v[30:31], off
	v_or_b32_e32 v30, 0xc0, v48
	v_ashrrev_i32_e32 v31, 4, v30
	v_cmp_gt_i32_e32 vcc, s29, v30
	v_cndmask_b32_e32 v38, v49, v31, vcc
	v_ashrrev_i32_e32 v39, 31, v38
	v_mfma_f32_16x16x16f16 v[30:33], v[32:33], v[8:9], v[34:37]
	s_nop 6
	v_lshlrev_b64 v[34:35], 2, v[38:39]
	v_mov_b32_e32 v36, s18
	v_add_co_u32_e32 v34, vcc, s17, v34
	v_addc_co_u32_e32 v35, vcc, v36, v35, vcc
	global_load_dword v75, v[34:35], off
	s_waitcnt vmcnt(8)
	v_mfma_f32_16x16x16f16 v[30:33], v[26:27], v[54:55], v[30:33]
	v_mov_b32_e32 v26, s10
	v_add_co_u32_e32 v77, vcc, s9, v76
	v_addc_co_u32_e32 v78, vcc, 0, v26, vcc
	s_waitcnt vmcnt(3)
	v_mad_i64_i32 v[26:27], s[2:3], v44, s1, 0
	v_mfma_f32_16x16x16f16 v[66:69], v[28:29], v[56:57], v[30:33]
	v_lshlrev_b64 v[70:71], 1, v[26:27]
	v_mfma_f32_16x16x16f16 v[26:29], v[18:19], v[22:23], 0
	v_add_co_u32_e32 v18, vcc, v77, v70
	v_addc_co_u32_e32 v19, vcc, v78, v71, vcc
	global_load_dwordx4 v[46:49], v[18:19], off
	global_load_dwordx4 v[42:45], v[18:19], off offset:16
	s_waitcnt vmcnt(4)
	v_mad_i64_i32 v[18:19], s[2:3], v72, s1, 0
	v_lshlrev_b64 v[72:73], 1, v[18:19]
	v_mfma_f32_16x16x16f16 v[18:21], v[20:21], v[24:25], v[26:29]
	v_add_co_u32_e32 v22, vcc, v77, v72
	v_addc_co_u32_e32 v23, vcc, v78, v73, vcc
	global_load_dwordx4 v[38:41], v[22:23], off
	global_load_dwordx4 v[34:37], v[22:23], off offset:16
	s_waitcnt vmcnt(5)
	v_mad_i64_i32 v[22:23], s[2:3], v74, s1, 0
	v_mfma_f32_16x16x16f16 v[18:21], v[10:11], v[14:15], v[18:21]
	v_lshlrev_b64 v[82:83], 1, v[22:23]
	v_add_co_u32_e32 v10, vcc, v77, v82
	v_addc_co_u32_e32 v11, vcc, v78, v83, vcc
	global_load_dwordx4 v[30:33], v[10:11], off
	global_load_dwordx4 v[26:29], v[10:11], off offset:16
	s_waitcnt vmcnt(6)
	v_mad_i64_i32 v[14:15], s[2:3], v75, s1, 0
	v_mfma_f32_16x16x16f16 v[10:13], v[12:13], v[16:17], v[18:21]
	v_lshlrev_b64 v[80:81], 1, v[14:15]
	v_add_co_u32_e32 v14, vcc, v77, v80
	v_addc_co_u32_e32 v15, vcc, v78, v81, vcc
	global_load_dwordx4 v[22:25], v[14:15], off
	s_nop 2
	global_load_dwordx4 v[18:21], v[14:15], off offset:16
	v_pk_mul_f32 v[78:79], s[0:1], v[60:61] op_sel_hi:[0,1]
	v_mfma_f32_16x16x16f16 v[10:13], v[2:3], v[6:7], v[10:13]
	v_or_b32_e32 v2, 0x800, v76
	v_mov_b32_e32 v3, s10
	v_add_co_u32_e32 v91, vcc, s9, v2
	v_addc_co_u32_e32 v1, vcc, 0, v3, vcc
	v_add_co_u32_e32 v2, vcc, v91, v70
	v_mfma_f32_16x16x16f16 v[10:13], v[4:5], v[8:9], v[10:13]
	v_addc_co_u32_e32 v3, vcc, v1, v71, vcc
	v_add_co_u32_e32 v70, vcc, v91, v72
	v_addc_co_u32_e32 v71, vcc, v1, v73, vcc
	global_load_dwordx4 v[6:9], v[2:3], off
	s_nop 0
	global_load_dwordx4 v[2:5], v[2:3], off offset:16
	v_mfma_f32_16x16x16f16 v[92:95], v[50:51], v[54:55], v[10:13]
	global_load_dwordx4 v[14:17], v[70:71], off
	s_nop 5
	global_load_dwordx4 v[10:13], v[70:71], off offset:16
	v_pk_mul_f32 v[70:71], s[0:1], v[68:69] op_sel_hi:[0,1]
	v_pk_mul_f32 v[72:73], s[0:1], v[66:67] op_sel_hi:[0,1]
	v_pk_mul_f32 v[74:75], s[0:1], v[64:65] op_sel_hi:[0,1]
	v_pk_mul_f32 v[76:77], s[0:1], v[62:63] op_sel_hi:[0,1]
	s_mov_b32 s9, 0xff7fffff
	v_mfma_f32_16x16x16f16 v[50:53], v[52:53], v[56:57], v[92:95]
	s_nop 7
	s_nop 2
	v_pk_mul_f32 v[68:69], s[0:1], v[50:51] op_sel_hi:[0,1]
	v_and_b32_e32 v50, 0xc0, v0
	v_add_u32_e32 v50, s16, v50
	v_lshl_or_b32 v50, v84, 2, v50
	v_or_b32_e32 v51, 1, v50
	v_pk_mul_f32 v[66:67], s[0:1], v[52:53] op_sel_hi:[0,1]
	v_subrev_u32_e32 v52, s29, v51
	v_add_u32_e32 v54, 1, v52
	v_add_u32_e32 v55, 2, v52
	v_cvt_f32_i32_e32 v53, v52
	v_cvt_f32_i32_e32 v54, v54
	;; [unrolled: 1-line block ×3, first 2 shown]
	v_add_u32_e32 v56, 3, v52
	v_fma_f32 v58, v89, v53, v58
	v_fmac_f32_e32 v59, v89, v54
	v_fma_f32 v78, v89, v55, v78
	v_add_u32_e32 v53, 16, v52
	v_add_u32_e32 v54, 17, v52
	;; [unrolled: 1-line block ×3, first 2 shown]
	v_cvt_f32_i32_e32 v56, v56
	v_cvt_f32_i32_e32 v53, v53
	;; [unrolled: 1-line block ×4, first 2 shown]
	v_fmac_f32_e32 v79, v89, v56
	v_add_u32_e32 v56, 19, v52
	v_fma_f32 v76, v89, v53, v76
	v_fmac_f32_e32 v77, v89, v54
	v_fma_f32 v74, v89, v55, v74
	v_add_u32_e32 v53, 32, v52
	v_add_u32_e32 v54, 33, v52
	;; [unrolled: 1-line block ×3, first 2 shown]
	v_cvt_f32_i32_e32 v56, v56
	v_cvt_f32_i32_e32 v53, v53
	;; [unrolled: 1-line block ×4, first 2 shown]
	v_fmac_f32_e32 v75, v89, v56
	v_add_u32_e32 v56, 35, v52
	v_fma_f32 v72, v89, v53, v72
	v_fmac_f32_e32 v73, v89, v54
	v_fma_f32 v70, v89, v55, v70
	v_add_u32_e32 v53, 48, v52
	v_add_u32_e32 v54, 49, v52
	;; [unrolled: 1-line block ×4, first 2 shown]
	v_cvt_f32_i32_e32 v52, v52
	v_cvt_f32_i32_e32 v53, v53
	;; [unrolled: 1-line block ×3, first 2 shown]
	v_cmp_gt_i32_e64 s[30:31], s29, v50
	v_fmac_f32_e32 v67, v89, v52
	v_mov_b32_e32 v52, 0xff7fffff
	v_cmp_gt_i32_e64 s[34:35], s29, v51
	v_fma_f32 v68, v89, v53, v68
	v_cndmask_b32_e64 v53, v52, v58, s[30:31]
	v_cndmask_b32_e64 v51, v52, v59, s[34:35]
	v_fmac_f32_e32 v69, v89, v54
	v_max3_f32 v51, v53, s9, v51
	v_or_b32_e32 v53, 2, v50
	v_or_b32_e32 v54, 3, v50
	v_cmp_gt_i32_e64 s[36:37], s29, v53
	v_cmp_gt_i32_e64 s[38:39], s29, v54
	v_cndmask_b32_e64 v53, v52, v78, s[36:37]
	v_cndmask_b32_e64 v54, v52, v79, s[38:39]
	v_max3_f32 v51, v51, v53, v54
	v_or_b32_e32 v53, 16, v50
	v_or_b32_e32 v54, 17, v50
	v_cmp_gt_i32_e64 s[24:25], s29, v53
	v_cmp_gt_i32_e64 s[26:27], s29, v54
	v_cndmask_b32_e64 v53, v52, v76, s[24:25]
	v_cndmask_b32_e64 v54, v52, v77, s[26:27]
	;; [unrolled: 7-line block ×3, first 2 shown]
	v_cvt_f32_i32_e32 v56, v56
	v_max3_f32 v51, v51, v53, v54
	v_or_b32_e32 v53, 32, v50
	v_or_b32_e32 v54, 33, v50
	v_cmp_gt_i32_e64 s[16:17], s29, v53
	v_cmp_gt_i32_e64 s[18:19], s29, v54
	v_cndmask_b32_e64 v53, v52, v72, s[16:17]
	v_cndmask_b32_e64 v54, v52, v73, s[18:19]
	v_max3_f32 v51, v51, v53, v54
	v_or_b32_e32 v53, 34, v50
	v_or_b32_e32 v54, 35, v50
	v_fmac_f32_e32 v71, v89, v56
	v_cmp_gt_i32_e64 s[12:13], s29, v53
	v_cmp_gt_i32_e64 s[14:15], s29, v54
	v_cndmask_b32_e64 v53, v52, v70, s[12:13]
	v_cndmask_b32_e64 v54, v52, v71, s[14:15]
	v_cvt_f32_i32_e32 v55, v55
	v_max3_f32 v51, v51, v53, v54
	v_or_b32_e32 v53, 48, v50
	v_or_b32_e32 v54, 49, v50
	v_cmp_gt_i32_e64 s[2:3], s29, v53
	v_cmp_gt_i32_e64 s[10:11], s29, v54
	v_cndmask_b32_e64 v53, v52, v68, s[2:3]
	v_cndmask_b32_e64 v54, v52, v69, s[10:11]
	v_max3_f32 v51, v51, v53, v54
	v_or_b32_e32 v53, 50, v50
	v_or_b32_e32 v50, 51, v50
	v_fma_f32 v66, v89, v55, v66
	v_cmp_gt_i32_e32 vcc, s29, v53
	v_cmp_gt_i32_e64 s[0:1], s29, v50
	v_cndmask_b32_e32 v53, v52, v66, vcc
	v_cndmask_b32_e64 v50, v52, v67, s[0:1]
	v_max3_f32 v60, v51, v53, v50
	v_mbcnt_lo_u32_b32 v50, -1, 0
	v_mbcnt_hi_u32_b32 v61, -1, v50
	v_and_b32_e32 v50, 64, v61
	v_add_u32_e32 v62, 64, v50
	v_xor_b32_e32 v50, 32, v61
	v_cmp_lt_i32_e64 s[40:41], v50, v62
	v_cndmask_b32_e64 v50, v61, v50, s[40:41]
	v_lshlrev_b32_e32 v89, 2, v50
	ds_bpermute_b32 v63, v89, v60
	v_add_co_u32_e64 v50, s[40:41], v91, v82
	v_addc_co_u32_e64 v51, s[40:41], v1, v83, s[40:41]
	s_waitcnt lgkmcnt(0)
	v_max_f32_e32 v63, v63, v63
	v_max_f32_e32 v63, v60, v63
	v_xor_b32_e32 v60, 16, v61
	v_cmp_lt_i32_e64 s[40:41], v60, v62
	v_cndmask_b32_e64 v60, v61, v60, s[40:41]
	v_lshlrev_b32_e32 v92, 2, v60
	ds_bpermute_b32 v62, v92, v63
	v_add_co_u32_e64 v60, s[40:41], v91, v80
	v_addc_co_u32_e64 v61, s[40:41], v1, v81, s[40:41]
	s_waitcnt lgkmcnt(0)
	v_max_f32_e32 v1, v62, v62
	v_max_f32_e32 v82, v63, v1
	v_sub_f32_e32 v1, v58, v82
	v_sub_f32_e32 v58, v59, v82
	v_mul_f32_e32 v58, 0x3fb8aa3b, v58
	global_load_dwordx4 v[54:57], v[50:51], off
	s_nop 0
	global_load_dwordx4 v[50:53], v[50:51], off offset:16
	v_exp_f32_e32 v81, v58
	global_load_dwordx4 v[62:65], v[60:61], off
	s_nop 0
	global_load_dwordx4 v[58:61], v[60:61], off offset:16
	v_mul_f32_e32 v1, 0x3fb8aa3b, v1
	v_exp_f32_e32 v1, v1
	v_sub_f32_e32 v78, v78, v82
	v_mul_f32_e32 v78, 0x3fb8aa3b, v78
	v_sub_f32_e32 v79, v79, v82
	v_exp_f32_e32 v78, v78
	v_mul_f32_e32 v79, 0x3fb8aa3b, v79
	v_sub_f32_e32 v76, v76, v82
	v_exp_f32_e32 v79, v79
	v_mul_f32_e32 v76, 0x3fb8aa3b, v76
	v_sub_f32_e32 v77, v77, v82
	v_cndmask_b32_e64 v80, 0, v1, s[30:31]
	v_exp_f32_e32 v76, v76
	v_mul_f32_e32 v77, 0x3fb8aa3b, v77
	v_sub_f32_e32 v74, v74, v82
	v_add_f32_e32 v1, 0, v80
	v_cndmask_b32_e64 v81, 0, v81, s[34:35]
	v_exp_f32_e32 v77, v77
	v_mul_f32_e32 v74, 0x3fb8aa3b, v74
	v_sub_f32_e32 v75, v75, v82
	v_add_f32_e32 v1, v1, v81
	;; [unrolled: 5-line block ×10, first 2 shown]
	v_cndmask_b32_e64 v70, 0, v70, s[12:13]
	v_exp_f32_e32 v66, v66
	v_mul_f32_e32 v67, 0x3fb8aa3b, v67
	v_add_f32_e32 v1, v1, v70
	v_cndmask_b32_e64 v71, 0, v71, s[14:15]
	v_exp_f32_e32 v67, v67
	v_add_f32_e32 v1, v1, v71
	v_cndmask_b32_e64 v68, 0, v68, s[2:3]
	v_add_f32_e32 v1, v1, v68
	v_cndmask_b32_e64 v69, 0, v69, s[10:11]
	v_add_f32_e32 v1, v1, v69
	v_cndmask_b32_e32 v66, 0, v66, vcc
	v_add_f32_e32 v1, v1, v66
	v_cndmask_b32_e64 v67, 0, v67, s[0:1]
	v_add_f32_e32 v1, v1, v67
	ds_bpermute_b32 v83, v89, v1
	v_cmp_lt_u32_e64 s[0:1], 15, v88
	v_cmp_gt_u32_e32 vcc, 16, v88
	s_waitcnt lgkmcnt(0)
	s_barrier
	v_add_f32_e32 v83, v1, v83
	ds_bpermute_b32 v89, v92, v83
	s_waitcnt lgkmcnt(0)
	s_and_saveexec_b64 s[2:3], vcc
	s_cbranch_execz .LBB120_15
; %bb.14:
	v_add_f32_e32 v1, v83, v89
	v_lshlrev_b32_e32 v83, 2, v90
	ds_write2st64_b32 v83, v82, v1 offset1:1
.LBB120_15:
	s_or_b64 exec, exec, s[2:3]
	v_lshlrev_b32_e32 v1, 2, v85
	s_load_dwordx2 s[2:3], s[4:5], 0x94
	s_waitcnt lgkmcnt(0)
	s_barrier
	ds_read2_b32 v[88:89], v1 offset1:16
	ds_read2_b32 v[90:91], v1 offset0:32 offset1:48
	ds_read2_b32 v[92:93], v1 offset0:64 offset1:80
	s_waitcnt lgkmcnt(2)
	v_max3_f32 v82, v88, s9, v89
	s_waitcnt lgkmcnt(1)
	v_max3_f32 v82, v82, v90, v91
	v_sub_f32_e32 v83, v88, v82
	v_mul_f32_e32 v83, 0x3fb8aa3b, v83
	v_exp_f32_e32 v94, v83
	v_sub_f32_e32 v83, v89, v82
	v_mul_f32_e32 v83, 0x3fb8aa3b, v83
	v_exp_f32_e32 v95, v83
	v_sub_f32_e32 v83, v90, v82
	v_mul_f32_e32 v83, 0x3fb8aa3b, v83
	ds_read2_b32 v[88:89], v1 offset0:96 offset1:112
	v_sub_f32_e32 v1, v91, v82
	v_exp_f32_e32 v90, v83
	v_mul_f32_e32 v1, 0x3fb8aa3b, v1
	v_exp_f32_e32 v1, v1
	s_waitcnt lgkmcnt(1)
	v_fma_f32 v83, v94, v92, 0
	v_fmac_f32_e32 v83, v95, v93
	s_waitcnt lgkmcnt(0)
	v_fmac_f32_e32 v83, v90, v88
	v_fmac_f32_e32 v83, v1, v89
	v_add_f32_e32 v89, 0x358637bd, v83
	v_div_scale_f32 v91, s[10:11], v89, v89, 1.0
	v_rcp_f32_e32 v92, v91
	v_mov_b32_e32 v88, 0
	s_barrier
	v_fma_f32 v93, -v91, v92, 1.0
	v_fmac_f32_e32 v92, v93, v92
	v_div_scale_f32 v93, vcc, 1.0, v89, 1.0
	v_mul_f32_e32 v86, v93, v92
	v_fma_f32 v84, -v91, v86, v93
	v_fmac_f32_e32 v86, v84, v92
	v_fma_f32 v84, -v91, v86, v93
	v_div_fmas_f32 v84, v84, v92, v86
	v_cmp_eq_u32_e32 vcc, 1, v87
	v_cndmask_b32_e32 v86, v94, v95, vcc
	v_cmp_eq_u32_e32 vcc, 2, v87
	v_cndmask_b32_e32 v86, v86, v90, vcc
	v_cmp_eq_u32_e32 vcc, 3, v87
	v_div_fixup_f32 v84, v84, v89, 1.0
	v_cndmask_b32_e32 v1, v86, v1, vcc
	v_mul_f32_e32 v90, v1, v84
	v_pk_mul_f32 v[78:79], v[90:91], v[78:79] op_sel_hi:[0,1]
	v_cvt_f16_f32_e32 v78, v78
	v_cvt_f16_f32_e32 v79, v79
	v_pk_mul_f32 v[80:81], v[90:91], v[80:81] op_sel_hi:[0,1]
	v_cvt_f16_f32_e32 v1, v80
	v_cvt_f16_f32_e32 v80, v81
	v_pk_mul_f32 v[74:75], v[90:91], v[74:75] op_sel_hi:[0,1]
	v_pk_mul_f32 v[76:77], v[90:91], v[76:77] op_sel_hi:[0,1]
	v_pack_b32_f16 v81, v78, v79
	v_cvt_f16_f32_e32 v76, v76
	v_cvt_f16_f32_e32 v77, v77
	;; [unrolled: 1-line block ×4, first 2 shown]
	v_bfe_u32 v84, v0, 4, 2
	v_pack_b32_f16 v80, v1, v80
	v_lshlrev_b32_e32 v1, 3, v84
	v_lshlrev_b32_e32 v78, 5, v85
	;; [unrolled: 1-line block ×3, first 2 shown]
	v_pk_mul_f32 v[70:71], v[90:91], v[70:71] op_sel_hi:[0,1]
	v_pk_mul_f32 v[72:73], v[90:91], v[72:73] op_sel_hi:[0,1]
	;; [unrolled: 1-line block ×4, first 2 shown]
	v_or3_b32 v74, v74, v78, v1
	v_pack_b32_f16 v76, v76, v77
	v_pack_b32_f16 v77, v79, v75
	v_cvt_f16_f32_e32 v1, v72
	v_cvt_f16_f32_e32 v72, v73
	;; [unrolled: 1-line block ×8, first 2 shown]
	v_pack_b32_f16 v66, v1, v72
	v_pack_b32_f16 v67, v70, v71
	;; [unrolled: 1-line block ×4, first 2 shown]
	v_cmp_eq_u32_e32 vcc, 0, v0
	ds_write2st64_b64 v74, v[80:81], v[76:77] offset1:1
	ds_write2st64_b64 v74, v[66:67], v[68:69] offset0:2 offset1:3
	s_and_saveexec_b64 s[10:11], vcc
	s_cbranch_execz .LBB120_17
; %bb.16:
	s_mul_i32 s7, s7, s3
	s_mul_hi_u32 s9, s6, s3
	s_add_i32 s9, s9, s7
	s_mul_i32 s7, s6, s3
	s_add_u32 s7, s7, s8
	s_addc_u32 s9, s9, 0
	s_load_dwordx4 s[12:15], s[4:5], 0x58
	s_mul_i32 s9, s9, s2
	s_mul_hi_u32 s16, s7, s2
	s_add_i32 s9, s16, s9
	s_mul_i32 s7, s7, s2
	s_add_u32 s16, s7, s28
	s_addc_u32 s17, s9, 0
	s_lshl_b64 s[16:17], s[16:17], 2
	s_waitcnt lgkmcnt(0)
	s_add_u32 s14, s14, s16
	s_addc_u32 s15, s15, s17
	s_add_u32 s12, s12, s16
	s_addc_u32 s13, s13, s17
	global_store_dword v88, v82, s[14:15]
	global_store_dword v88, v83, s[12:13]
.LBB120_17:
	s_or_b64 exec, exec, s[10:11]
	v_lshl_or_b32 v1, v84, 9, v78
	s_waitcnt lgkmcnt(0)
	s_barrier
	ds_read_b128 v[70:73], v1
	ds_read_b128 v[66:69], v1 offset:16
	s_waitcnt vmcnt(15) lgkmcnt(1)
	v_mfma_f32_16x16x16f16 v[76:79], v[46:47], v[70:71], 0
	v_cmp_gt_u32_e32 vcc, 64, v0
	s_xor_b64 s[0:1], s[0:1], -1
	s_mov_b32 s7, 0
	s_and_b64 s[0:1], vcc, s[0:1]
	v_mfma_f32_16x16x16f16 v[46:49], v[48:49], v[72:73], v[76:79]
	s_waitcnt vmcnt(14) lgkmcnt(0)
	v_mfma_f32_16x16x16f16 v[46:49], v[42:43], v[66:67], v[46:49]
	v_mfma_f32_16x16x16f16 v[42:45], v[44:45], v[68:69], v[46:49]
	s_nop 7
	s_nop 1
	ds_read_b128 v[46:49], v1 offset:2048
	ds_read_b128 v[76:79], v1 offset:2064
	s_waitcnt vmcnt(13) lgkmcnt(1)
	v_mfma_f32_16x16x16f16 v[42:45], v[38:39], v[46:47], v[42:45]
	v_mfma_f32_16x16x16f16 v[38:41], v[40:41], v[48:49], v[42:45]
	s_waitcnt vmcnt(12) lgkmcnt(0)
	v_mfma_f32_16x16x16f16 v[38:41], v[34:35], v[76:77], v[38:41]
	v_mfma_f32_16x16x16f16 v[34:37], v[36:37], v[78:79], v[38:41]
	s_nop 7
	s_nop 1
	ds_read_b128 v[38:41], v1 offset:4096
	ds_read_b128 v[42:45], v1 offset:4112
	s_waitcnt vmcnt(11) lgkmcnt(1)
	v_mfma_f32_16x16x16f16 v[34:37], v[30:31], v[38:39], v[34:37]
	v_mfma_f32_16x16x16f16 v[30:33], v[32:33], v[40:41], v[34:37]
	s_waitcnt vmcnt(10) lgkmcnt(0)
	v_mfma_f32_16x16x16f16 v[30:33], v[26:27], v[42:43], v[30:33]
	v_mfma_f32_16x16x16f16 v[26:29], v[28:29], v[44:45], v[30:33]
	s_nop 7
	s_nop 1
	ds_read_b128 v[30:33], v1 offset:6144
	ds_read_b128 v[34:37], v1 offset:6160
	s_waitcnt lgkmcnt(0)
	s_barrier
	s_waitcnt vmcnt(9)
	v_mfma_f32_16x16x16f16 v[26:29], v[22:23], v[30:31], v[26:29]
	v_mfma_f32_16x16x16f16 v[22:25], v[24:25], v[32:33], v[26:29]
	s_waitcnt vmcnt(8)
	v_mfma_f32_16x16x16f16 v[22:25], v[18:19], v[34:35], v[22:25]
	v_mfma_f32_16x16x16f16 v[18:21], v[20:21], v[36:37], v[22:25]
	s_waitcnt vmcnt(7)
	v_mfma_f32_16x16x16f16 v[22:25], v[6:7], v[70:71], 0
	s_nop 7
	s_nop 0
	v_cvt_f16_f32_e32 v1, v18
	v_mfma_f32_16x16x16f16 v[6:9], v[8:9], v[72:73], v[22:25]
	s_waitcnt vmcnt(6)
	v_mfma_f32_16x16x16f16 v[6:9], v[2:3], v[66:67], v[6:9]
	v_mfma_f32_16x16x16f16 v[2:5], v[4:5], v[68:69], v[6:9]
	s_waitcnt vmcnt(5)
	v_mfma_f32_16x16x16f16 v[2:5], v[14:15], v[46:47], v[2:5]
	s_nop 7
	v_cvt_f16_f32_e32 v6, v19
	v_cvt_f16_f32_e32 v7, v20
	;; [unrolled: 1-line block ×3, first 2 shown]
	v_mfma_f32_16x16x16f16 v[2:5], v[16:17], v[48:49], v[2:5]
	s_waitcnt vmcnt(4)
	v_mfma_f32_16x16x16f16 v[2:5], v[10:11], v[76:77], v[2:5]
	v_mfma_f32_16x16x16f16 v[2:5], v[12:13], v[78:79], v[2:5]
	s_waitcnt vmcnt(3)
	v_mfma_f32_16x16x16f16 v[2:5], v[54:55], v[38:39], v[2:5]
	;; [unrolled: 3-line block ×5, first 2 shown]
	v_mfma_f32_16x16x16f16 v[2:5], v[60:61], v[36:37], v[2:5]
	s_nop 7
	s_nop 2
	v_cvt_f16_f32_e32 v9, v2
	v_cvt_f16_f32_e32 v10, v3
	;; [unrolled: 1-line block ×4, first 2 shown]
	v_pack_b32_f16 v2, v1, v6
	v_pack_b32_f16 v3, v7, v8
	;; [unrolled: 1-line block ×4, first 2 shown]
	ds_write2st64_b64 v74, v[2:3], v[4:5] offset1:1
	s_waitcnt lgkmcnt(0)
	s_barrier
	s_and_saveexec_b64 s[10:11], s[0:1]
	s_cbranch_execz .LBB120_19
; %bb.18:
	v_lshlrev_b32_e32 v3, 6, v85
	v_lshlrev_b32_e32 v2, 4, v0
	v_lshl_or_b32 v0, v0, 10, v3
	v_lshlrev_b32_e32 v1, 5, v84
	v_and_b32_e32 v2, 16, v2
	v_and_b32_e32 v0, 0x1a00, v0
	v_or3_b32 v0, v0, v1, v2
	ds_read_b128 v[2:5], v0
	buffer_load_dword v0, off, s[44:47], 0  ; 4-byte Folded Reload
	s_load_dwordx2 s[0:1], s[4:5], 0x68
	s_mul_i32 s4, s3, s6
	s_lshl_b32 s5, s2, 7
	s_mul_hi_u32 s3, s4, s5
	s_mul_i32 s2, s4, s5
	s_lshl_b64 s[2:3], s[2:3], 1
	s_waitcnt lgkmcnt(0)
	s_add_u32 s2, s0, s2
	s_addc_u32 s3, s1, s3
	s_lshl_b32 s6, s28, 7
	s_lshl_b64 s[0:1], s[6:7], 1
	s_add_u32 s2, s2, s0
	s_addc_u32 s3, s3, s1
	s_mul_hi_u32 s1, s5, s8
	s_mul_i32 s0, s5, s8
	s_lshl_b64 s[0:1], s[0:1], 1
	s_add_u32 s0, s2, s0
	s_addc_u32 s1, s3, s1
	s_waitcnt vmcnt(0)
	global_store_dwordx4 v0, v[2:5], s[0:1]
.LBB120_19:
	s_endpgm
	.section	.rodata,"a",@progbits
	.p2align	6, 0x0
	.amdhsa_kernel _Z39paged_attention_ll4mi_QKV_mfma16_kernelIDF16_DF16_LN4vllm18Fp8KVCacheDataTypeE0EDF16_Li16ELi128ELi256ELb1ELi1EL8MFMAType0EEvPKT_PKT0_S8_ifPKiSA_SA_iPKfiiiPfSD_PS3_PT2_iSC_SC_
		.amdhsa_group_segment_fixed_size 8192
		.amdhsa_private_segment_fixed_size 8
		.amdhsa_kernarg_size 400
		.amdhsa_user_sgpr_count 6
		.amdhsa_user_sgpr_private_segment_buffer 1
		.amdhsa_user_sgpr_dispatch_ptr 0
		.amdhsa_user_sgpr_queue_ptr 0
		.amdhsa_user_sgpr_kernarg_segment_ptr 1
		.amdhsa_user_sgpr_dispatch_id 0
		.amdhsa_user_sgpr_flat_scratch_init 0
		.amdhsa_user_sgpr_kernarg_preload_length 0
		.amdhsa_user_sgpr_kernarg_preload_offset 0
		.amdhsa_user_sgpr_private_segment_size 0
		.amdhsa_uses_dynamic_stack 0
		.amdhsa_system_sgpr_private_segment_wavefront_offset 1
		.amdhsa_system_sgpr_workgroup_id_x 1
		.amdhsa_system_sgpr_workgroup_id_y 1
		.amdhsa_system_sgpr_workgroup_id_z 1
		.amdhsa_system_sgpr_workgroup_info 0
		.amdhsa_system_vgpr_workitem_id 0
		.amdhsa_next_free_vgpr 96
		.amdhsa_next_free_sgpr 48
		.amdhsa_accum_offset 96
		.amdhsa_reserve_vcc 1
		.amdhsa_reserve_flat_scratch 0
		.amdhsa_float_round_mode_32 0
		.amdhsa_float_round_mode_16_64 0
		.amdhsa_float_denorm_mode_32 3
		.amdhsa_float_denorm_mode_16_64 3
		.amdhsa_dx10_clamp 1
		.amdhsa_ieee_mode 1
		.amdhsa_fp16_overflow 0
		.amdhsa_tg_split 0
		.amdhsa_exception_fp_ieee_invalid_op 0
		.amdhsa_exception_fp_denorm_src 0
		.amdhsa_exception_fp_ieee_div_zero 0
		.amdhsa_exception_fp_ieee_overflow 0
		.amdhsa_exception_fp_ieee_underflow 0
		.amdhsa_exception_fp_ieee_inexact 0
		.amdhsa_exception_int_div_zero 0
	.end_amdhsa_kernel
	.section	.text._Z39paged_attention_ll4mi_QKV_mfma16_kernelIDF16_DF16_LN4vllm18Fp8KVCacheDataTypeE0EDF16_Li16ELi128ELi256ELb1ELi1EL8MFMAType0EEvPKT_PKT0_S8_ifPKiSA_SA_iPKfiiiPfSD_PS3_PT2_iSC_SC_,"axG",@progbits,_Z39paged_attention_ll4mi_QKV_mfma16_kernelIDF16_DF16_LN4vllm18Fp8KVCacheDataTypeE0EDF16_Li16ELi128ELi256ELb1ELi1EL8MFMAType0EEvPKT_PKT0_S8_ifPKiSA_SA_iPKfiiiPfSD_PS3_PT2_iSC_SC_,comdat
.Lfunc_end120:
	.size	_Z39paged_attention_ll4mi_QKV_mfma16_kernelIDF16_DF16_LN4vllm18Fp8KVCacheDataTypeE0EDF16_Li16ELi128ELi256ELb1ELi1EL8MFMAType0EEvPKT_PKT0_S8_ifPKiSA_SA_iPKfiiiPfSD_PS3_PT2_iSC_SC_, .Lfunc_end120-_Z39paged_attention_ll4mi_QKV_mfma16_kernelIDF16_DF16_LN4vllm18Fp8KVCacheDataTypeE0EDF16_Li16ELi128ELi256ELb1ELi1EL8MFMAType0EEvPKT_PKT0_S8_ifPKiSA_SA_iPKfiiiPfSD_PS3_PT2_iSC_SC_
                                        ; -- End function
	.section	.AMDGPU.csdata,"",@progbits
; Kernel info:
; codeLenInByte = 4744
; NumSgprs: 52
; NumVgprs: 96
; NumAgprs: 0
; TotalNumVgprs: 96
; ScratchSize: 8
; MemoryBound: 0
; FloatMode: 240
; IeeeMode: 1
; LDSByteSize: 8192 bytes/workgroup (compile time only)
; SGPRBlocks: 6
; VGPRBlocks: 11
; NumSGPRsForWavesPerEU: 52
; NumVGPRsForWavesPerEU: 96
; AccumOffset: 96
; Occupancy: 5
; WaveLimiterHint : 1
; COMPUTE_PGM_RSRC2:SCRATCH_EN: 1
; COMPUTE_PGM_RSRC2:USER_SGPR: 6
; COMPUTE_PGM_RSRC2:TRAP_HANDLER: 0
; COMPUTE_PGM_RSRC2:TGID_X_EN: 1
; COMPUTE_PGM_RSRC2:TGID_Y_EN: 1
; COMPUTE_PGM_RSRC2:TGID_Z_EN: 1
; COMPUTE_PGM_RSRC2:TIDIG_COMP_CNT: 0
; COMPUTE_PGM_RSRC3_GFX90A:ACCUM_OFFSET: 23
; COMPUTE_PGM_RSRC3_GFX90A:TG_SPLIT: 0
	.section	.text._Z39paged_attention_ll4mi_QKV_mfma16_kernelIDF16_DF16_LN4vllm18Fp8KVCacheDataTypeE0EDF16_Li16ELi128ELi256ELb1ELi2EL8MFMAType0EEvPKT_PKT0_S8_ifPKiSA_SA_iPKfiiiPfSD_PS3_PT2_iSC_SC_,"axG",@progbits,_Z39paged_attention_ll4mi_QKV_mfma16_kernelIDF16_DF16_LN4vllm18Fp8KVCacheDataTypeE0EDF16_Li16ELi128ELi256ELb1ELi2EL8MFMAType0EEvPKT_PKT0_S8_ifPKiSA_SA_iPKfiiiPfSD_PS3_PT2_iSC_SC_,comdat
	.protected	_Z39paged_attention_ll4mi_QKV_mfma16_kernelIDF16_DF16_LN4vllm18Fp8KVCacheDataTypeE0EDF16_Li16ELi128ELi256ELb1ELi2EL8MFMAType0EEvPKT_PKT0_S8_ifPKiSA_SA_iPKfiiiPfSD_PS3_PT2_iSC_SC_ ; -- Begin function _Z39paged_attention_ll4mi_QKV_mfma16_kernelIDF16_DF16_LN4vllm18Fp8KVCacheDataTypeE0EDF16_Li16ELi128ELi256ELb1ELi2EL8MFMAType0EEvPKT_PKT0_S8_ifPKiSA_SA_iPKfiiiPfSD_PS3_PT2_iSC_SC_
	.globl	_Z39paged_attention_ll4mi_QKV_mfma16_kernelIDF16_DF16_LN4vllm18Fp8KVCacheDataTypeE0EDF16_Li16ELi128ELi256ELb1ELi2EL8MFMAType0EEvPKT_PKT0_S8_ifPKiSA_SA_iPKfiiiPfSD_PS3_PT2_iSC_SC_
	.p2align	8
	.type	_Z39paged_attention_ll4mi_QKV_mfma16_kernelIDF16_DF16_LN4vllm18Fp8KVCacheDataTypeE0EDF16_Li16ELi128ELi256ELb1ELi2EL8MFMAType0EEvPKT_PKT0_S8_ifPKiSA_SA_iPKfiiiPfSD_PS3_PT2_iSC_SC_,@function
_Z39paged_attention_ll4mi_QKV_mfma16_kernelIDF16_DF16_LN4vllm18Fp8KVCacheDataTypeE0EDF16_Li16ELi128ELi256ELb1ELi2EL8MFMAType0EEvPKT_PKT0_S8_ifPKiSA_SA_iPKfiiiPfSD_PS3_PT2_iSC_SC_: ; @_Z39paged_attention_ll4mi_QKV_mfma16_kernelIDF16_DF16_LN4vllm18Fp8KVCacheDataTypeE0EDF16_Li16ELi128ELi256ELb1ELi2EL8MFMAType0EEvPKT_PKT0_S8_ifPKiSA_SA_iPKfiiiPfSD_PS3_PT2_iSC_SC_
; %bb.0:
	s_mov_b64 s[46:47], s[2:3]
	s_mov_b64 s[44:45], s[0:1]
	s_load_dwordx2 s[0:1], s[4:5], 0x30
	s_add_u32 s44, s44, s9
	s_addc_u32 s45, s45, 0
	s_mov_b32 s26, s7
	s_mov_b64 s[10:11], 0
	s_waitcnt lgkmcnt(0)
	s_cmp_lg_u64 s[0:1], 0
	s_cselect_b64 s[2:3], -1, 0
	s_and_b64 vcc, exec, s[2:3]
	s_cbranch_vccz .LBB121_7
; %bb.1:
	s_add_i32 s12, s6, 1
	s_mov_b32 s13, 0
	s_lshl_b64 s[14:15], s[12:13], 2
	s_add_u32 s14, s0, s14
	s_mov_b32 s7, s13
	s_addc_u32 s15, s1, s15
	s_lshl_b64 s[12:13], s[6:7], 2
	s_add_u32 s12, s0, s12
	s_addc_u32 s13, s1, s13
	s_load_dword s9, s[14:15], 0x0
	s_load_dword s16, s[12:13], 0x0
	s_waitcnt lgkmcnt(0)
	s_sub_i32 s9, s9, s16
	s_cmp_eq_u32 s9, 1
	s_cselect_b64 s[12:13], -1, 0
	s_andn2_b64 vcc, exec, s[10:11]
	s_cbranch_vccnz .LBB121_3
.LBB121_2:
	s_mov_b32 s7, 0
	s_mov_b64 s[12:13], -1
.LBB121_3:
	s_andn2_b64 vcc, exec, s[12:13]
	s_cbranch_vccnz .LBB121_19
; %bb.4:
	s_load_dwordx2 s[12:13], s[4:5], 0x28
	s_lshl_b64 s[10:11], s[6:7], 2
	s_waitcnt lgkmcnt(0)
	s_add_u32 s12, s12, s10
	s_addc_u32 s13, s13, s11
	s_load_dword s33, s[12:13], 0x0
	s_lshl_b32 s16, s26, 8
	s_waitcnt lgkmcnt(0)
	s_cmp_ge_i32 s16, s33
	s_cbranch_scc1 .LBB121_19
; %bb.5:
	s_add_i32 s14, s33, 15
	s_load_dwordx2 s[12:13], s[4:5], 0x20
	s_load_dword s9, s[4:5], 0x38
	s_ashr_i32 s15, s14, 31
	v_and_b32_e32 v1, 0xcf, v0
	s_lshr_b32 s15, s15, 28
	v_add_u32_e32 v1, s16, v1
	s_add_i32 s14, s14, s15
	v_ashrrev_i32_e32 v2, 31, v1
	s_ashr_i32 s19, s14, 4
	v_lshrrev_b32_e32 v4, 28, v2
	s_add_i32 s19, s19, -1
	v_add_u32_e32 v2, v1, v4
	s_waitcnt lgkmcnt(0)
	s_mul_i32 s14, s6, s9
	s_mov_b32 s15, 0
	v_ashrrev_i32_e32 v2, 4, v2
	v_mov_b32_e32 v5, s19
	v_cmp_gt_i32_e32 vcc, s33, v1
	s_lshl_b64 s[14:15], s[14:15], 2
	v_cndmask_b32_e32 v2, v5, v2, vcc
	s_add_u32 s17, s12, s14
	v_ashrrev_i32_e32 v3, 31, v2
	s_addc_u32 s18, s13, s15
	v_lshlrev_b64 v[2:3], 2, v[2:3]
	v_mov_b32_e32 v7, s18
	v_add_co_u32_e32 v6, vcc, s17, v2
	v_or_b32_e32 v2, 16, v1
	v_addc_co_u32_e32 v7, vcc, v7, v3, vcc
	v_add_u32_e32 v3, v2, v4
	v_ashrrev_i32_e32 v3, 4, v3
	v_cmp_gt_i32_e32 vcc, s33, v2
	v_cndmask_b32_e32 v2, v5, v3, vcc
	v_ashrrev_i32_e32 v3, 31, v2
	v_lshlrev_b64 v[2:3], 2, v[2:3]
	v_mov_b32_e32 v9, s18
	v_add_co_u32_e32 v8, vcc, s17, v2
	v_or_b32_e32 v2, 32, v1
	v_addc_co_u32_e32 v9, vcc, v9, v3, vcc
	v_add_u32_e32 v3, v2, v4
	v_ashrrev_i32_e32 v3, 4, v3
	v_cmp_gt_i32_e32 vcc, s33, v2
	v_cndmask_b32_e32 v2, v5, v3, vcc
	v_ashrrev_i32_e32 v3, 31, v2
	v_lshlrev_b64 v[2:3], 2, v[2:3]
	v_mov_b32_e32 v11, s18
	v_add_co_u32_e32 v10, vcc, s17, v2
	v_or_b32_e32 v1, 48, v1
	v_addc_co_u32_e32 v11, vcc, v11, v3, vcc
	v_add_u32_e32 v2, v1, v4
	v_ashrrev_i32_e32 v2, 4, v2
	v_cmp_gt_i32_e32 vcc, s33, v1
	v_cndmask_b32_e32 v2, v5, v2, vcc
	v_ashrrev_i32_e32 v3, 31, v2
	v_lshlrev_b64 v[2:3], 2, v[2:3]
	v_mov_b32_e32 v1, s18
	v_add_co_u32_e32 v12, vcc, s17, v2
	v_addc_co_u32_e32 v13, vcc, v1, v3, vcc
	global_load_dword v5, v[6:7], off
	global_load_dword v4, v[8:9], off
	;; [unrolled: 1-line block ×4, first 2 shown]
	s_load_dwordx2 s[12:13], s[4:5], 0x8
	s_andn2_b64 vcc, exec, s[2:3]
	s_cbranch_vccnz .LBB121_8
; %bb.6:
	s_add_u32 s0, s0, s10
	s_addc_u32 s1, s1, s11
	s_load_dword s9, s[0:1], 0x0
	s_branch .LBB121_9
.LBB121_7:
	s_mov_b64 s[12:13], 0
	s_branch .LBB121_2
.LBB121_8:
	s_mov_b32 s9, s6
.LBB121_9:
	s_load_dwordx2 s[10:11], s[4:5], 0x10
	s_load_dwordx4 s[0:3], s[4:5], 0x48
	v_lshrrev_b32_e32 v88, 6, v0
	v_bfe_u32 v84, v0, 4, 2
	v_and_b32_e32 v85, 15, v0
	v_lshl_or_b32 v6, v88, 2, v84
	v_lshlrev_b32_e32 v1, 3, v85
	s_lshl_b32 s27, s8, 1
	v_cmp_gt_u32_e32 vcc, 2, v6
	v_lshlrev_b32_e32 v1, 1, v1
	buffer_store_dword v1, off, s[44:47], 0 ; 4-byte Folded Spill
	s_and_saveexec_b64 s[14:15], vcc
	s_cbranch_execz .LBB121_11
; %bb.10:
	buffer_load_dword v1, off, s[44:47], 0  ; 4-byte Folded Reload
	s_load_dwordx2 s[20:21], s[4:5], 0x0
	s_waitcnt lgkmcnt(0)
	s_ashr_i32 s3, s0, 31
	s_mul_hi_u32 s22, s9, s0
	s_mul_i32 s3, s9, s3
	s_add_i32 s23, s22, s3
	s_mul_i32 s22, s9, s0
	s_lshl_b64 s[22:23], s[22:23], 1
	v_add_lshl_u32 v8, v84, s27, 7
	s_add_u32 s0, s20, s22
	v_ashrrev_i32_e32 v9, 31, v8
	s_addc_u32 s3, s21, s23
	v_lshlrev_b64 v[8:9], 1, v[8:9]
	v_mov_b32_e32 v7, s3
	v_add_co_u32_e32 v8, vcc, s0, v8
	v_addc_co_u32_e32 v7, vcc, v7, v9, vcc
	v_lshlrev_b32_e32 v12, 9, v85
	v_lshlrev_b32_e32 v6, 5, v6
	v_and_b32_e32 v12, 0x1800, v12
	s_waitcnt vmcnt(0)
	v_add_co_u32_e32 v8, vcc, v8, v1
	v_addc_co_u32_e32 v9, vcc, 0, v7, vcc
	global_load_dwordx4 v[8:11], v[8:9], off
	v_and_b32_e32 v7, 3, v0
	v_lshlrev_b32_e32 v7, 9, v7
	v_or3_b32 v6, v12, v7, v6
	s_waitcnt vmcnt(0)
	ds_write_b128 v6, v[8:11]
.LBB121_11:
	s_or_b64 exec, exec, s[14:15]
	s_waitcnt lgkmcnt(0)
	s_mul_i32 s2, s8, s2
	s_mov_b32 s3, 0
	s_lshl_b64 s[2:3], s[2:3], 1
	s_add_u32 s0, s12, s2
	v_lshlrev_b32_e32 v1, 4, v0
	s_addc_u32 s8, s13, s3
	v_and_b32_e32 v6, 0xf0, v1
	v_mov_b32_e32 v7, s8
	v_add_co_u32_e32 v8, vcc, s0, v6
	v_addc_co_u32_e32 v9, vcc, 0, v7, vcc
	s_waitcnt vmcnt(4)
	v_mad_i64_i32 v[6:7], s[8:9], v5, s1, 0
	v_lshlrev_b64 v[6:7], 1, v[6:7]
	v_add_co_u32_e32 v5, vcc, v8, v6
	v_addc_co_u32_e32 v7, vcc, v9, v7, vcc
	v_and_b32_e32 v10, 0x300, v1
	v_add_co_u32_e32 v6, vcc, v5, v10
	s_waitcnt vmcnt(3)
	v_mad_i64_i32 v[4:5], s[8:9], v4, s1, 0
	v_addc_co_u32_e32 v7, vcc, 0, v7, vcc
	v_lshlrev_b64 v[4:5], 1, v[4:5]
	v_add_co_u32_e32 v4, vcc, v8, v4
	v_addc_co_u32_e32 v5, vcc, v9, v5, vcc
	v_add_co_u32_e32 v4, vcc, v4, v10
	v_addc_co_u32_e32 v5, vcc, 0, v5, vcc
	s_barrier
	global_load_dwordx4 v[74:77], v[6:7], off
	global_load_dwordx4 v[66:69], v[6:7], off offset:1024
	global_load_dwordx4 v[58:61], v[6:7], off offset:2048
	;; [unrolled: 1-line block ×3, first 2 shown]
	global_load_dwordx4 v[78:81], v[4:5], off
	global_load_dwordx4 v[70:73], v[4:5], off offset:1024
	global_load_dwordx4 v[62:65], v[4:5], off offset:2048
	;; [unrolled: 1-line block ×3, first 2 shown]
	s_waitcnt vmcnt(10)
	v_mad_i64_i32 v[4:5], s[8:9], v3, s1, 0
	v_lshlrev_b64 v[4:5], 1, v[4:5]
	v_add_co_u32_e32 v3, vcc, v8, v4
	v_addc_co_u32_e32 v5, vcc, v9, v5, vcc
	v_add_co_u32_e32 v4, vcc, v3, v10
	s_waitcnt vmcnt(9)
	v_mad_i64_i32 v[2:3], s[8:9], v2, s1, 0
	v_addc_co_u32_e32 v5, vcc, 0, v5, vcc
	v_lshlrev_b64 v[2:3], 1, v[2:3]
	v_add_co_u32_e32 v2, vcc, v8, v2
	v_addc_co_u32_e32 v3, vcc, v9, v3, vcc
	v_add_co_u32_e32 v6, vcc, v2, v10
	v_addc_co_u32_e32 v7, vcc, 0, v3, vcc
	global_load_dwordx4 v[38:41], v[4:5], off
	global_load_dwordx4 v[34:37], v[4:5], off offset:1024
	global_load_dwordx4 v[30:33], v[4:5], off offset:2048
	;; [unrolled: 1-line block ×3, first 2 shown]
	global_load_dwordx4 v[18:21], v[6:7], off
	global_load_dwordx4 v[10:13], v[6:7], off offset:1024
	s_nop 0
	global_load_dwordx4 v[2:5], v[6:7], off offset:2048
	global_load_dwordx4 v[50:53], v[6:7], off offset:3072
	v_and_b32_e32 v6, 1, v0
	v_lshlrev_b32_e32 v6, 5, v6
	v_lshl_or_b32 v54, v84, 9, v6
	ds_read_b128 v[22:25], v54
	ds_read_b128 v[14:17], v54 offset:2048
	ds_read_b128 v[6:9], v54 offset:4096
	;; [unrolled: 1-line block ×3, first 2 shown]
	v_cmp_gt_u32_e32 vcc, 2, v85
	v_mov_b32_e32 v89, 0
	s_and_saveexec_b64 s[8:9], vcc
	s_cbranch_execz .LBB121_13
; %bb.12:
	s_load_dwordx2 s[12:13], s[4:5], 0x40
	v_or_b32_e32 v82, s27, v85
	v_ashrrev_i32_e32 v83, 31, v82
	v_lshlrev_b64 v[82:83], 2, v[82:83]
	s_waitcnt lgkmcnt(0)
	v_mov_b32_e32 v89, s13
	v_add_co_u32_e32 v82, vcc, s12, v82
	v_addc_co_u32_e32 v83, vcc, v89, v83, vcc
	global_load_dword v89, v[82:83], off
.LBB121_13:
	s_or_b64 exec, exec, s[8:9]
	s_waitcnt vmcnt(15) lgkmcnt(3)
	v_mfma_f32_16x16x16f16 v[90:93], v[74:75], v[22:23], 0
	s_add_u32 s8, s10, s2
	s_addc_u32 s9, s11, s3
	s_load_dword s0, s[4:5], 0x1c
	s_mov_b32 s40, 0xff7fffff
	v_mfma_f32_16x16x16f16 v[74:77], v[76:77], v[24:25], v[90:93]
	s_waitcnt vmcnt(14) lgkmcnt(0)
	v_mfma_f32_16x16x16f16 v[74:77], v[66:67], v[14:15], v[74:77]
	s_nop 4
	v_lshl_or_b32 v90, v88, 4, v85
	v_mfma_f32_16x16x16f16 v[66:69], v[68:69], v[16:17], v[74:77]
	s_waitcnt vmcnt(13)
	v_mfma_f32_16x16x16f16 v[66:69], v[58:59], v[6:7], v[66:69]
	s_nop 4
	v_lshlrev_b32_e32 v76, 5, v90
	v_mfma_f32_16x16x16f16 v[58:61], v[60:61], v[8:9], v[66:69]
	s_waitcnt vmcnt(12)
	v_mfma_f32_16x16x16f16 v[58:61], v[42:43], v[54:55], v[58:61]
	s_nop 4
	v_mov_b32_e32 v66, s18
	v_mfma_f32_16x16x16f16 v[58:61], v[44:45], v[56:57], v[58:61]
	s_waitcnt vmcnt(11)
	v_mfma_f32_16x16x16f16 v[42:45], v[78:79], v[22:23], 0
	s_nop 7
	s_nop 0
	v_pk_mul_f32 v[58:59], s[0:1], v[58:59] op_sel_hi:[0,1]
	v_mfma_f32_16x16x16f16 v[42:45], v[80:81], v[24:25], v[42:45]
	s_waitcnt vmcnt(10)
	v_mfma_f32_16x16x16f16 v[42:45], v[70:71], v[14:15], v[42:45]
	v_mfma_f32_16x16x16f16 v[42:45], v[72:73], v[16:17], v[42:45]
	s_waitcnt vmcnt(9)
	v_mfma_f32_16x16x16f16 v[42:45], v[62:63], v[6:7], v[42:45]
	;; [unrolled: 3-line block ×3, first 2 shown]
	v_mfma_f32_16x16x16f16 v[62:65], v[48:49], v[56:57], v[42:45]
	v_and_or_b32 v48, v0, 48, s16
	v_mov_b32_e32 v49, s19
	v_cmp_gt_i32_e32 vcc, s33, v48
	s_waitcnt vmcnt(7)
	v_mfma_f32_16x16x16f16 v[42:45], v[38:39], v[22:23], 0
	v_ashrrev_i32_e32 v38, 4, v48
	v_cndmask_b32_e32 v38, v49, v38, vcc
	v_ashrrev_i32_e32 v39, 31, v38
	v_lshlrev_b64 v[46:47], 2, v[38:39]
	v_mfma_f32_16x16x16f16 v[38:41], v[40:41], v[24:25], v[42:45]
	s_nop 6
	v_add_co_u32_e32 v42, vcc, s17, v46
	v_addc_co_u32_e32 v43, vcc, v66, v47, vcc
	global_load_dword v44, v[42:43], off
	v_or_b32_e32 v42, 64, v48
	v_ashrrev_i32_e32 v43, 4, v42
	v_cmp_gt_i32_e32 vcc, s33, v42
	v_cndmask_b32_e32 v42, v49, v43, vcc
	s_waitcnt vmcnt(7)
	v_mfma_f32_16x16x16f16 v[38:41], v[34:35], v[14:15], v[38:41]
	v_ashrrev_i32_e32 v43, 31, v42
	v_lshlrev_b64 v[34:35], 2, v[42:43]
	v_mov_b32_e32 v42, s18
	v_add_co_u32_e32 v34, vcc, s17, v34
	v_addc_co_u32_e32 v35, vcc, v42, v35, vcc
	global_load_dword v72, v[34:35], off
	v_mfma_f32_16x16x16f16 v[34:37], v[36:37], v[16:17], v[38:41]
	s_nop 6
	v_or_b32_e32 v38, 0x80, v48
	v_ashrrev_i32_e32 v39, 4, v38
	v_cmp_gt_i32_e32 vcc, s33, v38
	v_cndmask_b32_e32 v38, v49, v39, vcc
	v_ashrrev_i32_e32 v39, 31, v38
	v_lshlrev_b64 v[38:39], 2, v[38:39]
	v_mov_b32_e32 v40, s18
	s_waitcnt vmcnt(7)
	v_mfma_f32_16x16x16f16 v[34:37], v[30:31], v[6:7], v[34:37]
	v_add_co_u32_e32 v30, vcc, s17, v38
	v_addc_co_u32_e32 v31, vcc, v40, v39, vcc
	global_load_dword v74, v[30:31], off
	v_or_b32_e32 v30, 0xc0, v48
	v_ashrrev_i32_e32 v31, 4, v30
	v_cmp_gt_i32_e32 vcc, s33, v30
	v_cndmask_b32_e32 v38, v49, v31, vcc
	v_ashrrev_i32_e32 v39, 31, v38
	v_mfma_f32_16x16x16f16 v[30:33], v[32:33], v[8:9], v[34:37]
	s_nop 6
	v_lshlrev_b64 v[34:35], 2, v[38:39]
	v_mov_b32_e32 v36, s18
	v_add_co_u32_e32 v34, vcc, s17, v34
	v_addc_co_u32_e32 v35, vcc, v36, v35, vcc
	global_load_dword v75, v[34:35], off
	s_waitcnt vmcnt(8)
	v_mfma_f32_16x16x16f16 v[30:33], v[26:27], v[54:55], v[30:33]
	v_mov_b32_e32 v26, s9
	v_add_co_u32_e32 v77, vcc, s8, v76
	v_addc_co_u32_e32 v78, vcc, 0, v26, vcc
	s_waitcnt vmcnt(3)
	v_mad_i64_i32 v[26:27], s[2:3], v44, s1, 0
	v_mfma_f32_16x16x16f16 v[66:69], v[28:29], v[56:57], v[30:33]
	v_lshlrev_b64 v[70:71], 1, v[26:27]
	v_mfma_f32_16x16x16f16 v[26:29], v[18:19], v[22:23], 0
	v_add_co_u32_e32 v18, vcc, v77, v70
	v_addc_co_u32_e32 v19, vcc, v78, v71, vcc
	global_load_dwordx4 v[46:49], v[18:19], off
	global_load_dwordx4 v[42:45], v[18:19], off offset:16
	s_waitcnt vmcnt(4)
	v_mad_i64_i32 v[18:19], s[2:3], v72, s1, 0
	v_lshlrev_b64 v[72:73], 1, v[18:19]
	v_mfma_f32_16x16x16f16 v[18:21], v[20:21], v[24:25], v[26:29]
	v_add_co_u32_e32 v22, vcc, v77, v72
	v_addc_co_u32_e32 v23, vcc, v78, v73, vcc
	global_load_dwordx4 v[38:41], v[22:23], off
	global_load_dwordx4 v[34:37], v[22:23], off offset:16
	s_waitcnt vmcnt(5)
	v_mad_i64_i32 v[22:23], s[2:3], v74, s1, 0
	v_mfma_f32_16x16x16f16 v[18:21], v[10:11], v[14:15], v[18:21]
	v_lshlrev_b64 v[82:83], 1, v[22:23]
	v_add_co_u32_e32 v10, vcc, v77, v82
	v_addc_co_u32_e32 v11, vcc, v78, v83, vcc
	global_load_dwordx4 v[30:33], v[10:11], off
	global_load_dwordx4 v[26:29], v[10:11], off offset:16
	s_waitcnt vmcnt(6)
	v_mad_i64_i32 v[14:15], s[2:3], v75, s1, 0
	v_mfma_f32_16x16x16f16 v[10:13], v[12:13], v[16:17], v[18:21]
	v_lshlrev_b64 v[80:81], 1, v[14:15]
	v_add_co_u32_e32 v14, vcc, v77, v80
	v_addc_co_u32_e32 v15, vcc, v78, v81, vcc
	global_load_dwordx4 v[22:25], v[14:15], off
	s_nop 2
	global_load_dwordx4 v[18:21], v[14:15], off offset:16
	v_pk_mul_f32 v[78:79], s[0:1], v[60:61] op_sel_hi:[0,1]
	v_mfma_f32_16x16x16f16 v[10:13], v[2:3], v[6:7], v[10:13]
	v_or_b32_e32 v2, 0x800, v76
	v_mov_b32_e32 v3, s9
	v_add_co_u32_e32 v91, vcc, s8, v2
	v_addc_co_u32_e32 v1, vcc, 0, v3, vcc
	v_add_co_u32_e32 v2, vcc, v91, v70
	v_mfma_f32_16x16x16f16 v[10:13], v[4:5], v[8:9], v[10:13]
	v_addc_co_u32_e32 v3, vcc, v1, v71, vcc
	v_add_co_u32_e32 v70, vcc, v91, v72
	v_addc_co_u32_e32 v71, vcc, v1, v73, vcc
	global_load_dwordx4 v[6:9], v[2:3], off
	s_nop 0
	global_load_dwordx4 v[2:5], v[2:3], off offset:16
	v_mfma_f32_16x16x16f16 v[92:95], v[50:51], v[54:55], v[10:13]
	global_load_dwordx4 v[14:17], v[70:71], off
	s_nop 5
	global_load_dwordx4 v[10:13], v[70:71], off offset:16
	v_pk_mul_f32 v[70:71], s[0:1], v[68:69] op_sel_hi:[0,1]
	v_pk_mul_f32 v[72:73], s[0:1], v[66:67] op_sel_hi:[0,1]
	;; [unrolled: 1-line block ×4, first 2 shown]
	v_mfma_f32_16x16x16f16 v[50:53], v[52:53], v[56:57], v[92:95]
	s_nop 7
	s_nop 2
	v_pk_mul_f32 v[68:69], s[0:1], v[50:51] op_sel_hi:[0,1]
	v_and_b32_e32 v50, 0xc0, v0
	v_add_u32_e32 v50, s16, v50
	v_lshl_or_b32 v50, v84, 2, v50
	v_or_b32_e32 v51, 1, v50
	v_pk_mul_f32 v[66:67], s[0:1], v[52:53] op_sel_hi:[0,1]
	v_subrev_u32_e32 v52, s33, v51
	v_add_u32_e32 v54, 1, v52
	v_add_u32_e32 v55, 2, v52
	v_cvt_f32_i32_e32 v53, v52
	v_cvt_f32_i32_e32 v54, v54
	;; [unrolled: 1-line block ×3, first 2 shown]
	v_add_u32_e32 v56, 3, v52
	v_fma_f32 v58, v89, v53, v58
	v_fmac_f32_e32 v59, v89, v54
	v_fma_f32 v78, v89, v55, v78
	v_add_u32_e32 v53, 16, v52
	v_add_u32_e32 v54, 17, v52
	;; [unrolled: 1-line block ×3, first 2 shown]
	v_cvt_f32_i32_e32 v56, v56
	v_cvt_f32_i32_e32 v53, v53
	;; [unrolled: 1-line block ×4, first 2 shown]
	v_fmac_f32_e32 v79, v89, v56
	v_add_u32_e32 v56, 19, v52
	v_fma_f32 v76, v89, v53, v76
	v_fmac_f32_e32 v77, v89, v54
	v_fma_f32 v74, v89, v55, v74
	v_add_u32_e32 v53, 32, v52
	v_add_u32_e32 v54, 33, v52
	;; [unrolled: 1-line block ×3, first 2 shown]
	v_cvt_f32_i32_e32 v56, v56
	v_cvt_f32_i32_e32 v53, v53
	;; [unrolled: 1-line block ×4, first 2 shown]
	v_fmac_f32_e32 v75, v89, v56
	v_add_u32_e32 v56, 35, v52
	v_fma_f32 v72, v89, v53, v72
	v_fmac_f32_e32 v73, v89, v54
	v_fma_f32 v70, v89, v55, v70
	v_add_u32_e32 v53, 48, v52
	v_add_u32_e32 v54, 49, v52
	;; [unrolled: 1-line block ×4, first 2 shown]
	v_cvt_f32_i32_e32 v52, v52
	v_cvt_f32_i32_e32 v53, v53
	;; [unrolled: 1-line block ×3, first 2 shown]
	v_cmp_gt_i32_e64 s[28:29], s33, v50
	v_fmac_f32_e32 v67, v89, v52
	v_mov_b32_e32 v52, 0xff7fffff
	v_cmp_gt_i32_e64 s[30:31], s33, v51
	v_fma_f32 v68, v89, v53, v68
	v_cndmask_b32_e64 v53, v52, v58, s[28:29]
	v_cndmask_b32_e64 v51, v52, v59, s[30:31]
	v_fmac_f32_e32 v69, v89, v54
	v_max3_f32 v51, v53, s40, v51
	v_or_b32_e32 v53, 2, v50
	v_or_b32_e32 v54, 3, v50
	v_cmp_gt_i32_e64 s[34:35], s33, v53
	v_cmp_gt_i32_e64 s[36:37], s33, v54
	v_cndmask_b32_e64 v53, v52, v78, s[34:35]
	v_cndmask_b32_e64 v54, v52, v79, s[36:37]
	v_max3_f32 v51, v51, v53, v54
	v_or_b32_e32 v53, 16, v50
	v_or_b32_e32 v54, 17, v50
	v_cmp_gt_i32_e64 s[22:23], s33, v53
	v_cmp_gt_i32_e64 s[24:25], s33, v54
	v_cndmask_b32_e64 v53, v52, v76, s[22:23]
	v_cndmask_b32_e64 v54, v52, v77, s[24:25]
	;; [unrolled: 7-line block ×3, first 2 shown]
	v_cvt_f32_i32_e32 v56, v56
	v_max3_f32 v51, v51, v53, v54
	v_or_b32_e32 v53, 32, v50
	v_or_b32_e32 v54, 33, v50
	v_cmp_gt_i32_e64 s[14:15], s33, v53
	v_cmp_gt_i32_e64 s[16:17], s33, v54
	v_cndmask_b32_e64 v53, v52, v72, s[14:15]
	v_cndmask_b32_e64 v54, v52, v73, s[16:17]
	v_max3_f32 v51, v51, v53, v54
	v_or_b32_e32 v53, 34, v50
	v_or_b32_e32 v54, 35, v50
	v_fmac_f32_e32 v71, v89, v56
	v_cmp_gt_i32_e64 s[10:11], s33, v53
	v_cmp_gt_i32_e64 s[12:13], s33, v54
	v_cndmask_b32_e64 v53, v52, v70, s[10:11]
	v_cndmask_b32_e64 v54, v52, v71, s[12:13]
	v_cvt_f32_i32_e32 v55, v55
	v_max3_f32 v51, v51, v53, v54
	v_or_b32_e32 v53, 48, v50
	v_or_b32_e32 v54, 49, v50
	v_cmp_gt_i32_e64 s[2:3], s33, v53
	v_cmp_gt_i32_e64 s[8:9], s33, v54
	v_cndmask_b32_e64 v53, v52, v68, s[2:3]
	v_cndmask_b32_e64 v54, v52, v69, s[8:9]
	v_max3_f32 v51, v51, v53, v54
	v_or_b32_e32 v53, 50, v50
	v_or_b32_e32 v50, 51, v50
	v_fma_f32 v66, v89, v55, v66
	v_cmp_gt_i32_e32 vcc, s33, v53
	v_cmp_gt_i32_e64 s[0:1], s33, v50
	v_cndmask_b32_e32 v53, v52, v66, vcc
	v_cndmask_b32_e64 v50, v52, v67, s[0:1]
	v_max3_f32 v60, v51, v53, v50
	v_mbcnt_lo_u32_b32 v50, -1, 0
	v_mbcnt_hi_u32_b32 v61, -1, v50
	v_and_b32_e32 v50, 64, v61
	v_add_u32_e32 v62, 64, v50
	v_xor_b32_e32 v50, 32, v61
	v_cmp_lt_i32_e64 s[38:39], v50, v62
	v_cndmask_b32_e64 v50, v61, v50, s[38:39]
	v_lshlrev_b32_e32 v89, 2, v50
	ds_bpermute_b32 v63, v89, v60
	v_add_co_u32_e64 v50, s[38:39], v91, v82
	v_addc_co_u32_e64 v51, s[38:39], v1, v83, s[38:39]
	s_waitcnt lgkmcnt(0)
	v_max_f32_e32 v63, v63, v63
	v_max_f32_e32 v63, v60, v63
	v_xor_b32_e32 v60, 16, v61
	v_cmp_lt_i32_e64 s[38:39], v60, v62
	v_cndmask_b32_e64 v60, v61, v60, s[38:39]
	v_lshlrev_b32_e32 v92, 2, v60
	ds_bpermute_b32 v62, v92, v63
	v_add_co_u32_e64 v60, s[38:39], v91, v80
	v_addc_co_u32_e64 v61, s[38:39], v1, v81, s[38:39]
	s_waitcnt lgkmcnt(0)
	v_max_f32_e32 v1, v62, v62
	v_max_f32_e32 v82, v63, v1
	v_sub_f32_e32 v1, v58, v82
	v_sub_f32_e32 v58, v59, v82
	v_mul_f32_e32 v58, 0x3fb8aa3b, v58
	global_load_dwordx4 v[54:57], v[50:51], off
	s_nop 0
	global_load_dwordx4 v[50:53], v[50:51], off offset:16
	v_exp_f32_e32 v81, v58
	global_load_dwordx4 v[62:65], v[60:61], off
	s_nop 0
	global_load_dwordx4 v[58:61], v[60:61], off offset:16
	v_mul_f32_e32 v1, 0x3fb8aa3b, v1
	v_exp_f32_e32 v1, v1
	v_sub_f32_e32 v78, v78, v82
	v_mul_f32_e32 v78, 0x3fb8aa3b, v78
	v_sub_f32_e32 v79, v79, v82
	v_exp_f32_e32 v78, v78
	v_mul_f32_e32 v79, 0x3fb8aa3b, v79
	v_sub_f32_e32 v76, v76, v82
	v_exp_f32_e32 v79, v79
	v_mul_f32_e32 v76, 0x3fb8aa3b, v76
	v_sub_f32_e32 v77, v77, v82
	v_cndmask_b32_e64 v80, 0, v1, s[28:29]
	v_exp_f32_e32 v76, v76
	v_mul_f32_e32 v77, 0x3fb8aa3b, v77
	v_sub_f32_e32 v74, v74, v82
	v_add_f32_e32 v1, 0, v80
	v_cndmask_b32_e64 v81, 0, v81, s[30:31]
	v_exp_f32_e32 v77, v77
	v_mul_f32_e32 v74, 0x3fb8aa3b, v74
	v_sub_f32_e32 v75, v75, v82
	v_add_f32_e32 v1, v1, v81
	;; [unrolled: 5-line block ×10, first 2 shown]
	v_cndmask_b32_e64 v70, 0, v70, s[10:11]
	v_exp_f32_e32 v66, v66
	v_mul_f32_e32 v67, 0x3fb8aa3b, v67
	v_add_f32_e32 v1, v1, v70
	v_cndmask_b32_e64 v71, 0, v71, s[12:13]
	v_exp_f32_e32 v67, v67
	v_add_f32_e32 v1, v1, v71
	v_cndmask_b32_e64 v68, 0, v68, s[2:3]
	v_add_f32_e32 v1, v1, v68
	v_cndmask_b32_e64 v69, 0, v69, s[8:9]
	v_add_f32_e32 v1, v1, v69
	v_cndmask_b32_e32 v66, 0, v66, vcc
	v_add_f32_e32 v1, v1, v66
	v_cndmask_b32_e64 v67, 0, v67, s[0:1]
	v_add_f32_e32 v1, v1, v67
	ds_bpermute_b32 v83, v89, v1
	s_load_dword s3, s[4:5], 0x98
	s_waitcnt lgkmcnt(0)
	s_barrier
	v_add_f32_e32 v83, v1, v83
	ds_bpermute_b32 v89, v92, v83
	v_and_b32_e32 v1, 63, v0
	v_cmp_gt_u32_e32 vcc, 16, v1
	s_and_saveexec_b64 s[0:1], vcc
	s_cbranch_execz .LBB121_15
; %bb.14:
	s_waitcnt lgkmcnt(0)
	v_add_f32_e32 v1, v83, v89
	v_lshlrev_b32_e32 v83, 2, v90
	ds_write2st64_b32 v83, v82, v1 offset1:1
.LBB121_15:
	s_or_b64 exec, exec, s[0:1]
	v_lshlrev_b32_e32 v1, 2, v85
	s_load_dword s2, s[4:5], 0x94
	s_waitcnt lgkmcnt(0)
	s_barrier
	ds_read2_b32 v[90:91], v1 offset1:16
	ds_read2_b32 v[92:93], v1 offset0:32 offset1:48
	ds_read2_b32 v[94:95], v1 offset0:64 offset1:80
	s_lshl_b32 s8, s3, 1
	s_waitcnt lgkmcnt(2)
	v_max3_f32 v82, v90, s40, v91
	s_waitcnt lgkmcnt(1)
	v_max3_f32 v82, v82, v92, v93
	v_sub_f32_e32 v83, v90, v82
	v_mul_f32_e32 v83, 0x3fb8aa3b, v83
	v_exp_f32_e32 v89, v83
	v_sub_f32_e32 v83, v91, v82
	v_mul_f32_e32 v83, 0x3fb8aa3b, v83
	v_exp_f32_e32 v87, v83
	v_sub_f32_e32 v83, v92, v82
	v_mul_f32_e32 v83, 0x3fb8aa3b, v83
	ds_read2_b32 v[90:91], v1 offset0:96 offset1:112
	v_sub_f32_e32 v1, v93, v82
	v_exp_f32_e32 v92, v83
	v_mul_f32_e32 v1, 0x3fb8aa3b, v1
	v_exp_f32_e32 v1, v1
	s_waitcnt lgkmcnt(1)
	v_fma_f32 v83, v89, v94, 0
	v_fmac_f32_e32 v83, v87, v95
	s_waitcnt lgkmcnt(0)
	v_fmac_f32_e32 v83, v92, v90
	v_fmac_f32_e32 v83, v1, v91
	v_add_f32_e32 v90, 0x358637bd, v83
	v_div_scale_f32 v91, s[0:1], v90, v90, 1.0
	v_rcp_f32_e32 v93, v91
	s_barrier
	v_fma_f32 v94, -v91, v93, 1.0
	v_fmac_f32_e32 v93, v94, v93
	v_div_scale_f32 v94, vcc, 1.0, v90, 1.0
	v_mul_f32_e32 v95, v94, v93
	v_fma_f32 v86, -v91, v95, v94
	v_fmac_f32_e32 v95, v86, v93
	v_fma_f32 v86, -v91, v95, v94
	v_div_fmas_f32 v86, v86, v93, v95
	v_cmp_eq_u32_e32 vcc, 1, v88
	v_cndmask_b32_e32 v87, v89, v87, vcc
	v_cmp_eq_u32_e32 vcc, 2, v88
	v_cndmask_b32_e32 v87, v87, v92, vcc
	v_cmp_eq_u32_e32 vcc, 3, v88
	v_div_fixup_f32 v86, v86, v90, 1.0
	v_cndmask_b32_e32 v1, v87, v1, vcc
	v_mul_f32_e32 v90, v1, v86
	v_pk_mul_f32 v[78:79], v[90:91], v[78:79] op_sel_hi:[0,1]
	v_cvt_f16_f32_e32 v78, v78
	v_cvt_f16_f32_e32 v79, v79
	v_pk_mul_f32 v[80:81], v[90:91], v[80:81] op_sel_hi:[0,1]
	v_cvt_f16_f32_e32 v1, v80
	v_cvt_f16_f32_e32 v80, v81
	v_pk_mul_f32 v[74:75], v[90:91], v[74:75] op_sel_hi:[0,1]
	v_pk_mul_f32 v[76:77], v[90:91], v[76:77] op_sel_hi:[0,1]
	v_pack_b32_f16 v81, v78, v79
	v_cvt_f16_f32_e32 v76, v76
	v_cvt_f16_f32_e32 v77, v77
	v_cvt_f16_f32_e32 v79, v74
	v_cvt_f16_f32_e32 v75, v75
	v_pack_b32_f16 v80, v1, v80
	v_lshlrev_b32_e32 v1, 3, v84
	v_lshlrev_b32_e32 v78, 5, v85
	;; [unrolled: 1-line block ×3, first 2 shown]
	v_pk_mul_f32 v[70:71], v[90:91], v[70:71] op_sel_hi:[0,1]
	v_pk_mul_f32 v[72:73], v[90:91], v[72:73] op_sel_hi:[0,1]
	;; [unrolled: 1-line block ×4, first 2 shown]
	v_or3_b32 v74, v74, v78, v1
	v_pack_b32_f16 v76, v76, v77
	v_pack_b32_f16 v77, v79, v75
	v_cvt_f16_f32_e32 v1, v72
	v_cvt_f16_f32_e32 v72, v73
	v_cvt_f16_f32_e32 v70, v70
	v_cvt_f16_f32_e32 v71, v71
	v_cvt_f16_f32_e32 v68, v68
	v_cvt_f16_f32_e32 v69, v69
	v_cvt_f16_f32_e32 v73, v66
	v_cvt_f16_f32_e32 v75, v67
	v_pack_b32_f16 v66, v1, v72
	v_pack_b32_f16 v67, v70, v71
	v_pack_b32_f16 v68, v68, v69
	v_pack_b32_f16 v69, v73, v75
	v_cmp_gt_u32_e32 vcc, 2, v0
	ds_write2st64_b64 v74, v[80:81], v[76:77] offset1:1
	ds_write2st64_b64 v74, v[66:67], v[68:69] offset0:2 offset1:3
	s_and_saveexec_b64 s[0:1], vcc
	s_cbranch_execz .LBB121_17
; %bb.16:
	v_or_b32_e32 v66, s27, v0
	v_mov_b32_e32 v67, 0
	v_mov_b32_e32 v1, s8
	v_mad_u64_u32 v[68:69], s[10:11], s6, v1, v[66:67]
	v_mov_b32_e32 v66, s26
	s_load_dwordx4 s[12:15], s[4:5], 0x58
	s_mul_i32 s3, s7, s8
	v_mad_u64_u32 v[66:67], s[10:11], v68, s2, v[66:67]
	v_add_u32_e32 v1, s3, v69
	v_mov_b32_e32 v68, v67
	v_mad_u64_u32 v[68:69], s[10:11], v1, s2, v[68:69]
	v_mov_b32_e32 v67, v68
	v_lshlrev_b64 v[66:67], 2, v[66:67]
	s_waitcnt lgkmcnt(0)
	v_mov_b32_e32 v1, s15
	v_add_co_u32_e32 v68, vcc, s14, v66
	v_addc_co_u32_e32 v69, vcc, v1, v67, vcc
	v_mov_b32_e32 v1, s13
	v_add_co_u32_e32 v66, vcc, s12, v66
	v_addc_co_u32_e32 v67, vcc, v1, v67, vcc
	global_store_dword v[68:69], v82, off
	global_store_dword v[66:67], v83, off
.LBB121_17:
	s_or_b64 exec, exec, s[0:1]
	v_lshl_or_b32 v1, v84, 9, v78
	s_waitcnt lgkmcnt(0)
	s_barrier
	ds_read_b128 v[70:73], v1
	ds_read_b128 v[66:69], v1 offset:16
	s_waitcnt vmcnt(15) lgkmcnt(1)
	v_mfma_f32_16x16x16f16 v[76:79], v[46:47], v[70:71], 0
	v_cmp_gt_u32_e32 vcc, 64, v0
	s_mov_b32 s3, 0
	v_mfma_f32_16x16x16f16 v[46:49], v[48:49], v[72:73], v[76:79]
	s_waitcnt vmcnt(14) lgkmcnt(0)
	v_mfma_f32_16x16x16f16 v[46:49], v[42:43], v[66:67], v[46:49]
	v_mfma_f32_16x16x16f16 v[42:45], v[44:45], v[68:69], v[46:49]
	s_nop 7
	s_nop 1
	ds_read_b128 v[46:49], v1 offset:2048
	ds_read_b128 v[76:79], v1 offset:2064
	s_waitcnt vmcnt(13) lgkmcnt(1)
	v_mfma_f32_16x16x16f16 v[42:45], v[38:39], v[46:47], v[42:45]
	v_mfma_f32_16x16x16f16 v[38:41], v[40:41], v[48:49], v[42:45]
	s_waitcnt vmcnt(12) lgkmcnt(0)
	v_mfma_f32_16x16x16f16 v[38:41], v[34:35], v[76:77], v[38:41]
	v_mfma_f32_16x16x16f16 v[34:37], v[36:37], v[78:79], v[38:41]
	s_nop 7
	s_nop 1
	ds_read_b128 v[38:41], v1 offset:4096
	ds_read_b128 v[42:45], v1 offset:4112
	s_waitcnt vmcnt(11) lgkmcnt(1)
	v_mfma_f32_16x16x16f16 v[34:37], v[30:31], v[38:39], v[34:37]
	v_mfma_f32_16x16x16f16 v[30:33], v[32:33], v[40:41], v[34:37]
	s_waitcnt vmcnt(10) lgkmcnt(0)
	v_mfma_f32_16x16x16f16 v[30:33], v[26:27], v[42:43], v[30:33]
	v_mfma_f32_16x16x16f16 v[26:29], v[28:29], v[44:45], v[30:33]
	s_nop 7
	s_nop 1
	ds_read_b128 v[30:33], v1 offset:6144
	ds_read_b128 v[34:37], v1 offset:6160
	s_waitcnt lgkmcnt(0)
	s_barrier
	s_waitcnt vmcnt(9)
	v_mfma_f32_16x16x16f16 v[26:29], v[22:23], v[30:31], v[26:29]
	v_mfma_f32_16x16x16f16 v[22:25], v[24:25], v[32:33], v[26:29]
	s_waitcnt vmcnt(8)
	v_mfma_f32_16x16x16f16 v[22:25], v[18:19], v[34:35], v[22:25]
	v_mfma_f32_16x16x16f16 v[18:21], v[20:21], v[36:37], v[22:25]
	s_waitcnt vmcnt(7)
	v_mfma_f32_16x16x16f16 v[22:25], v[6:7], v[70:71], 0
	s_nop 7
	s_nop 0
	v_cvt_f16_f32_e32 v1, v18
	v_mfma_f32_16x16x16f16 v[6:9], v[8:9], v[72:73], v[22:25]
	s_waitcnt vmcnt(6)
	v_mfma_f32_16x16x16f16 v[6:9], v[2:3], v[66:67], v[6:9]
	v_mfma_f32_16x16x16f16 v[2:5], v[4:5], v[68:69], v[6:9]
	s_waitcnt vmcnt(5)
	v_mfma_f32_16x16x16f16 v[2:5], v[14:15], v[46:47], v[2:5]
	s_nop 7
	v_cvt_f16_f32_e32 v6, v19
	v_cvt_f16_f32_e32 v7, v20
	;; [unrolled: 1-line block ×3, first 2 shown]
	v_mfma_f32_16x16x16f16 v[2:5], v[16:17], v[48:49], v[2:5]
	s_waitcnt vmcnt(4)
	v_mfma_f32_16x16x16f16 v[2:5], v[10:11], v[76:77], v[2:5]
	v_mfma_f32_16x16x16f16 v[2:5], v[12:13], v[78:79], v[2:5]
	s_waitcnt vmcnt(3)
	v_mfma_f32_16x16x16f16 v[2:5], v[54:55], v[38:39], v[2:5]
	;; [unrolled: 3-line block ×5, first 2 shown]
	v_mfma_f32_16x16x16f16 v[2:5], v[60:61], v[36:37], v[2:5]
	s_nop 7
	s_nop 2
	v_cvt_f16_f32_e32 v9, v2
	v_cvt_f16_f32_e32 v10, v3
	;; [unrolled: 1-line block ×4, first 2 shown]
	v_pack_b32_f16 v2, v1, v6
	v_and_b32_e32 v1, 63, v0
	v_cmp_gt_u32_e64 s[0:1], 32, v1
	v_pack_b32_f16 v3, v7, v8
	v_pack_b32_f16 v4, v9, v10
	;; [unrolled: 1-line block ×3, first 2 shown]
	s_and_b64 s[0:1], vcc, s[0:1]
	ds_write2st64_b64 v74, v[2:3], v[4:5] offset1:1
	s_waitcnt lgkmcnt(0)
	s_barrier
	s_and_saveexec_b64 s[10:11], s[0:1]
	s_cbranch_execz .LBB121_19
; %bb.18:
	s_load_dwordx2 s[0:1], s[4:5], 0x68
	s_mul_i32 s4, s8, s6
	s_lshl_b32 s6, s2, 7
	s_mul_hi_u32 s5, s4, s6
	s_mul_i32 s4, s4, s6
	v_lshlrev_b32_e32 v3, 6, v85
	s_lshl_b64 s[4:5], s[4:5], 1
	v_lshlrev_b32_e32 v2, 4, v0
	v_lshl_or_b32 v0, v0, 10, v3
	s_waitcnt lgkmcnt(0)
	s_add_u32 s4, s0, s4
	v_lshlrev_b32_e32 v1, 5, v84
	v_and_b32_e32 v2, 16, v2
	v_and_b32_e32 v0, 0x1a00, v0
	s_addc_u32 s5, s1, s5
	s_lshl_b32 s2, s26, 7
	v_or3_b32 v0, v0, v1, v2
	s_lshl_b64 s[0:1], s[2:3], 1
	ds_read_b128 v[2:5], v0
	s_add_u32 s2, s4, s0
	v_or_b32_e32 v0, s27, v84
	s_addc_u32 s3, s5, s1
	v_mad_u64_u32 v[6:7], s[0:1], s6, v0, 0
	v_lshlrev_b64 v[6:7], 1, v[6:7]
	v_mov_b32_e32 v0, s3
	v_add_co_u32_e32 v1, vcc, s2, v6
	v_addc_co_u32_e32 v6, vcc, v0, v7, vcc
	buffer_load_dword v0, off, s[44:47], 0  ; 4-byte Folded Reload
	s_waitcnt vmcnt(0)
	v_add_co_u32_e32 v0, vcc, v1, v0
	v_addc_co_u32_e32 v1, vcc, 0, v6, vcc
	s_waitcnt lgkmcnt(0)
	global_store_dwordx4 v[0:1], v[2:5], off
.LBB121_19:
	s_endpgm
	.section	.rodata,"a",@progbits
	.p2align	6, 0x0
	.amdhsa_kernel _Z39paged_attention_ll4mi_QKV_mfma16_kernelIDF16_DF16_LN4vllm18Fp8KVCacheDataTypeE0EDF16_Li16ELi128ELi256ELb1ELi2EL8MFMAType0EEvPKT_PKT0_S8_ifPKiSA_SA_iPKfiiiPfSD_PS3_PT2_iSC_SC_
		.amdhsa_group_segment_fixed_size 8192
		.amdhsa_private_segment_fixed_size 8
		.amdhsa_kernarg_size 400
		.amdhsa_user_sgpr_count 6
		.amdhsa_user_sgpr_private_segment_buffer 1
		.amdhsa_user_sgpr_dispatch_ptr 0
		.amdhsa_user_sgpr_queue_ptr 0
		.amdhsa_user_sgpr_kernarg_segment_ptr 1
		.amdhsa_user_sgpr_dispatch_id 0
		.amdhsa_user_sgpr_flat_scratch_init 0
		.amdhsa_user_sgpr_kernarg_preload_length 0
		.amdhsa_user_sgpr_kernarg_preload_offset 0
		.amdhsa_user_sgpr_private_segment_size 0
		.amdhsa_uses_dynamic_stack 0
		.amdhsa_system_sgpr_private_segment_wavefront_offset 1
		.amdhsa_system_sgpr_workgroup_id_x 1
		.amdhsa_system_sgpr_workgroup_id_y 1
		.amdhsa_system_sgpr_workgroup_id_z 1
		.amdhsa_system_sgpr_workgroup_info 0
		.amdhsa_system_vgpr_workitem_id 0
		.amdhsa_next_free_vgpr 96
		.amdhsa_next_free_sgpr 48
		.amdhsa_accum_offset 96
		.amdhsa_reserve_vcc 1
		.amdhsa_reserve_flat_scratch 0
		.amdhsa_float_round_mode_32 0
		.amdhsa_float_round_mode_16_64 0
		.amdhsa_float_denorm_mode_32 3
		.amdhsa_float_denorm_mode_16_64 3
		.amdhsa_dx10_clamp 1
		.amdhsa_ieee_mode 1
		.amdhsa_fp16_overflow 0
		.amdhsa_tg_split 0
		.amdhsa_exception_fp_ieee_invalid_op 0
		.amdhsa_exception_fp_denorm_src 0
		.amdhsa_exception_fp_ieee_div_zero 0
		.amdhsa_exception_fp_ieee_overflow 0
		.amdhsa_exception_fp_ieee_underflow 0
		.amdhsa_exception_fp_ieee_inexact 0
		.amdhsa_exception_int_div_zero 0
	.end_amdhsa_kernel
	.section	.text._Z39paged_attention_ll4mi_QKV_mfma16_kernelIDF16_DF16_LN4vllm18Fp8KVCacheDataTypeE0EDF16_Li16ELi128ELi256ELb1ELi2EL8MFMAType0EEvPKT_PKT0_S8_ifPKiSA_SA_iPKfiiiPfSD_PS3_PT2_iSC_SC_,"axG",@progbits,_Z39paged_attention_ll4mi_QKV_mfma16_kernelIDF16_DF16_LN4vllm18Fp8KVCacheDataTypeE0EDF16_Li16ELi128ELi256ELb1ELi2EL8MFMAType0EEvPKT_PKT0_S8_ifPKiSA_SA_iPKfiiiPfSD_PS3_PT2_iSC_SC_,comdat
.Lfunc_end121:
	.size	_Z39paged_attention_ll4mi_QKV_mfma16_kernelIDF16_DF16_LN4vllm18Fp8KVCacheDataTypeE0EDF16_Li16ELi128ELi256ELb1ELi2EL8MFMAType0EEvPKT_PKT0_S8_ifPKiSA_SA_iPKfiiiPfSD_PS3_PT2_iSC_SC_, .Lfunc_end121-_Z39paged_attention_ll4mi_QKV_mfma16_kernelIDF16_DF16_LN4vllm18Fp8KVCacheDataTypeE0EDF16_Li16ELi128ELi256ELb1ELi2EL8MFMAType0EEvPKT_PKT0_S8_ifPKiSA_SA_iPKfiiiPfSD_PS3_PT2_iSC_SC_
                                        ; -- End function
	.section	.AMDGPU.csdata,"",@progbits
; Kernel info:
; codeLenInByte = 4836
; NumSgprs: 52
; NumVgprs: 96
; NumAgprs: 0
; TotalNumVgprs: 96
; ScratchSize: 8
; MemoryBound: 0
; FloatMode: 240
; IeeeMode: 1
; LDSByteSize: 8192 bytes/workgroup (compile time only)
; SGPRBlocks: 6
; VGPRBlocks: 11
; NumSGPRsForWavesPerEU: 52
; NumVGPRsForWavesPerEU: 96
; AccumOffset: 96
; Occupancy: 5
; WaveLimiterHint : 1
; COMPUTE_PGM_RSRC2:SCRATCH_EN: 1
; COMPUTE_PGM_RSRC2:USER_SGPR: 6
; COMPUTE_PGM_RSRC2:TRAP_HANDLER: 0
; COMPUTE_PGM_RSRC2:TGID_X_EN: 1
; COMPUTE_PGM_RSRC2:TGID_Y_EN: 1
; COMPUTE_PGM_RSRC2:TGID_Z_EN: 1
; COMPUTE_PGM_RSRC2:TIDIG_COMP_CNT: 0
; COMPUTE_PGM_RSRC3_GFX90A:ACCUM_OFFSET: 23
; COMPUTE_PGM_RSRC3_GFX90A:TG_SPLIT: 0
	.section	.text._Z39paged_attention_ll4mi_QKV_mfma16_kernelIDF16_DF16_LN4vllm18Fp8KVCacheDataTypeE0EDF16_Li16ELi128ELi256ELb1ELi3EL8MFMAType0EEvPKT_PKT0_S8_ifPKiSA_SA_iPKfiiiPfSD_PS3_PT2_iSC_SC_,"axG",@progbits,_Z39paged_attention_ll4mi_QKV_mfma16_kernelIDF16_DF16_LN4vllm18Fp8KVCacheDataTypeE0EDF16_Li16ELi128ELi256ELb1ELi3EL8MFMAType0EEvPKT_PKT0_S8_ifPKiSA_SA_iPKfiiiPfSD_PS3_PT2_iSC_SC_,comdat
	.protected	_Z39paged_attention_ll4mi_QKV_mfma16_kernelIDF16_DF16_LN4vllm18Fp8KVCacheDataTypeE0EDF16_Li16ELi128ELi256ELb1ELi3EL8MFMAType0EEvPKT_PKT0_S8_ifPKiSA_SA_iPKfiiiPfSD_PS3_PT2_iSC_SC_ ; -- Begin function _Z39paged_attention_ll4mi_QKV_mfma16_kernelIDF16_DF16_LN4vllm18Fp8KVCacheDataTypeE0EDF16_Li16ELi128ELi256ELb1ELi3EL8MFMAType0EEvPKT_PKT0_S8_ifPKiSA_SA_iPKfiiiPfSD_PS3_PT2_iSC_SC_
	.globl	_Z39paged_attention_ll4mi_QKV_mfma16_kernelIDF16_DF16_LN4vllm18Fp8KVCacheDataTypeE0EDF16_Li16ELi128ELi256ELb1ELi3EL8MFMAType0EEvPKT_PKT0_S8_ifPKiSA_SA_iPKfiiiPfSD_PS3_PT2_iSC_SC_
	.p2align	8
	.type	_Z39paged_attention_ll4mi_QKV_mfma16_kernelIDF16_DF16_LN4vllm18Fp8KVCacheDataTypeE0EDF16_Li16ELi128ELi256ELb1ELi3EL8MFMAType0EEvPKT_PKT0_S8_ifPKiSA_SA_iPKfiiiPfSD_PS3_PT2_iSC_SC_,@function
_Z39paged_attention_ll4mi_QKV_mfma16_kernelIDF16_DF16_LN4vllm18Fp8KVCacheDataTypeE0EDF16_Li16ELi128ELi256ELb1ELi3EL8MFMAType0EEvPKT_PKT0_S8_ifPKiSA_SA_iPKfiiiPfSD_PS3_PT2_iSC_SC_: ; @_Z39paged_attention_ll4mi_QKV_mfma16_kernelIDF16_DF16_LN4vllm18Fp8KVCacheDataTypeE0EDF16_Li16ELi128ELi256ELb1ELi3EL8MFMAType0EEvPKT_PKT0_S8_ifPKiSA_SA_iPKfiiiPfSD_PS3_PT2_iSC_SC_
; %bb.0:
	s_mov_b64 s[46:47], s[2:3]
	s_mov_b64 s[44:45], s[0:1]
	s_load_dwordx2 s[0:1], s[4:5], 0x30
	s_add_u32 s44, s44, s9
	s_addc_u32 s45, s45, 0
	s_mov_b32 s26, s7
	s_mov_b64 s[10:11], 0
	s_waitcnt lgkmcnt(0)
	s_cmp_lg_u64 s[0:1], 0
	s_cselect_b64 s[2:3], -1, 0
	s_and_b64 vcc, exec, s[2:3]
	s_cbranch_vccz .LBB122_7
; %bb.1:
	s_add_i32 s12, s6, 1
	s_mov_b32 s13, 0
	s_lshl_b64 s[14:15], s[12:13], 2
	s_add_u32 s14, s0, s14
	s_mov_b32 s7, s13
	s_addc_u32 s15, s1, s15
	s_lshl_b64 s[12:13], s[6:7], 2
	s_add_u32 s12, s0, s12
	s_addc_u32 s13, s1, s13
	s_load_dword s9, s[14:15], 0x0
	s_load_dword s16, s[12:13], 0x0
	s_waitcnt lgkmcnt(0)
	s_sub_i32 s9, s9, s16
	s_cmp_eq_u32 s9, 1
	s_cselect_b64 s[12:13], -1, 0
	s_andn2_b64 vcc, exec, s[10:11]
	s_cbranch_vccnz .LBB122_3
.LBB122_2:
	s_mov_b32 s7, 0
	s_mov_b64 s[12:13], -1
.LBB122_3:
	s_andn2_b64 vcc, exec, s[12:13]
	s_cbranch_vccnz .LBB122_19
; %bb.4:
	s_load_dwordx2 s[12:13], s[4:5], 0x28
	s_lshl_b64 s[10:11], s[6:7], 2
	s_waitcnt lgkmcnt(0)
	s_add_u32 s12, s12, s10
	s_addc_u32 s13, s13, s11
	s_load_dword s33, s[12:13], 0x0
	s_lshl_b32 s16, s26, 8
	s_waitcnt lgkmcnt(0)
	s_cmp_ge_i32 s16, s33
	s_cbranch_scc1 .LBB122_19
; %bb.5:
	s_add_i32 s14, s33, 15
	s_load_dwordx2 s[12:13], s[4:5], 0x20
	s_load_dword s9, s[4:5], 0x38
	s_ashr_i32 s15, s14, 31
	v_and_b32_e32 v1, 0xcf, v0
	s_lshr_b32 s15, s15, 28
	v_add_u32_e32 v1, s16, v1
	s_add_i32 s14, s14, s15
	v_ashrrev_i32_e32 v2, 31, v1
	s_ashr_i32 s19, s14, 4
	v_lshrrev_b32_e32 v4, 28, v2
	s_add_i32 s19, s19, -1
	v_add_u32_e32 v2, v1, v4
	s_waitcnt lgkmcnt(0)
	s_mul_i32 s14, s6, s9
	s_mov_b32 s15, 0
	v_ashrrev_i32_e32 v2, 4, v2
	v_mov_b32_e32 v5, s19
	v_cmp_gt_i32_e32 vcc, s33, v1
	s_lshl_b64 s[14:15], s[14:15], 2
	v_cndmask_b32_e32 v2, v5, v2, vcc
	s_add_u32 s17, s12, s14
	v_ashrrev_i32_e32 v3, 31, v2
	s_addc_u32 s18, s13, s15
	v_lshlrev_b64 v[2:3], 2, v[2:3]
	v_mov_b32_e32 v7, s18
	v_add_co_u32_e32 v6, vcc, s17, v2
	v_or_b32_e32 v2, 16, v1
	v_addc_co_u32_e32 v7, vcc, v7, v3, vcc
	v_add_u32_e32 v3, v2, v4
	v_ashrrev_i32_e32 v3, 4, v3
	v_cmp_gt_i32_e32 vcc, s33, v2
	v_cndmask_b32_e32 v2, v5, v3, vcc
	v_ashrrev_i32_e32 v3, 31, v2
	v_lshlrev_b64 v[2:3], 2, v[2:3]
	v_mov_b32_e32 v9, s18
	v_add_co_u32_e32 v8, vcc, s17, v2
	v_or_b32_e32 v2, 32, v1
	v_addc_co_u32_e32 v9, vcc, v9, v3, vcc
	v_add_u32_e32 v3, v2, v4
	v_ashrrev_i32_e32 v3, 4, v3
	v_cmp_gt_i32_e32 vcc, s33, v2
	v_cndmask_b32_e32 v2, v5, v3, vcc
	v_ashrrev_i32_e32 v3, 31, v2
	;; [unrolled: 10-line block ×3, first 2 shown]
	v_lshlrev_b64 v[2:3], 2, v[2:3]
	v_mov_b32_e32 v1, s18
	v_add_co_u32_e32 v12, vcc, s17, v2
	v_addc_co_u32_e32 v13, vcc, v1, v3, vcc
	global_load_dword v5, v[6:7], off
	global_load_dword v4, v[8:9], off
	;; [unrolled: 1-line block ×4, first 2 shown]
	s_load_dwordx2 s[12:13], s[4:5], 0x8
	s_andn2_b64 vcc, exec, s[2:3]
	s_cbranch_vccnz .LBB122_8
; %bb.6:
	s_add_u32 s0, s0, s10
	s_addc_u32 s1, s1, s11
	s_load_dword s9, s[0:1], 0x0
	s_branch .LBB122_9
.LBB122_7:
	s_mov_b64 s[12:13], 0
	s_branch .LBB122_2
.LBB122_8:
	s_mov_b32 s9, s6
.LBB122_9:
	v_bfe_u32 v85, v0, 4, 2
	s_mul_i32 s27, s8, 3
	v_add_u32_e32 v1, s27, v85
	buffer_store_dword v1, off, s[44:47], 0 offset:4 ; 4-byte Folded Spill
	s_load_dwordx2 s[10:11], s[4:5], 0x10
	s_load_dwordx4 s[0:3], s[4:5], 0x48
	v_lshrrev_b32_e32 v88, 6, v0
	v_and_b32_e32 v86, 15, v0
	v_lshl_or_b32 v6, v88, 2, v85
	v_lshlrev_b32_e32 v1, 3, v86
	v_cmp_gt_u32_e32 vcc, 3, v6
	v_lshlrev_b32_e32 v1, 1, v1
	buffer_store_dword v1, off, s[44:47], 0 ; 4-byte Folded Spill
	s_and_saveexec_b64 s[14:15], vcc
	s_cbranch_execz .LBB122_11
; %bb.10:
	buffer_load_dword v1, off, s[44:47], 0 offset:4 ; 4-byte Folded Reload
	s_load_dwordx2 s[20:21], s[4:5], 0x0
	s_waitcnt lgkmcnt(0)
	s_ashr_i32 s3, s0, 31
	s_mul_hi_u32 s22, s9, s0
	s_mul_i32 s3, s9, s3
	s_add_i32 s23, s22, s3
	s_mul_i32 s22, s9, s0
	s_lshl_b64 s[22:23], s[22:23], 1
	s_add_u32 s0, s20, s22
	s_addc_u32 s3, s21, s23
	v_mov_b32_e32 v7, s3
	v_lshlrev_b32_e32 v12, 9, v86
	v_lshlrev_b32_e32 v6, 5, v6
	v_and_b32_e32 v12, 0x1800, v12
	s_waitcnt vmcnt(0)
	v_lshlrev_b32_e32 v8, 7, v1
	buffer_load_dword v1, off, s[44:47], 0  ; 4-byte Folded Reload
	v_ashrrev_i32_e32 v9, 31, v8
	v_lshlrev_b64 v[8:9], 1, v[8:9]
	v_add_co_u32_e32 v8, vcc, s0, v8
	v_addc_co_u32_e32 v7, vcc, v7, v9, vcc
	s_waitcnt vmcnt(0)
	v_add_co_u32_e32 v8, vcc, v8, v1
	v_addc_co_u32_e32 v9, vcc, 0, v7, vcc
	global_load_dwordx4 v[8:11], v[8:9], off
	v_and_b32_e32 v7, 3, v0
	v_lshlrev_b32_e32 v7, 9, v7
	v_or3_b32 v6, v12, v7, v6
	s_waitcnt vmcnt(0)
	ds_write_b128 v6, v[8:11]
.LBB122_11:
	s_or_b64 exec, exec, s[14:15]
	s_waitcnt lgkmcnt(0)
	s_mul_i32 s2, s8, s2
	s_mov_b32 s3, 0
	s_lshl_b64 s[2:3], s[2:3], 1
	s_add_u32 s0, s12, s2
	v_lshlrev_b32_e32 v1, 4, v0
	s_addc_u32 s8, s13, s3
	v_and_b32_e32 v6, 0xf0, v1
	v_mov_b32_e32 v7, s8
	v_add_co_u32_e32 v8, vcc, s0, v6
	v_addc_co_u32_e32 v9, vcc, 0, v7, vcc
	s_waitcnt vmcnt(5)
	v_mad_i64_i32 v[6:7], s[8:9], v5, s1, 0
	v_lshlrev_b64 v[6:7], 1, v[6:7]
	v_add_co_u32_e32 v5, vcc, v8, v6
	v_addc_co_u32_e32 v7, vcc, v9, v7, vcc
	v_and_b32_e32 v10, 0x300, v1
	v_add_co_u32_e32 v6, vcc, v5, v10
	s_waitcnt vmcnt(4)
	v_mad_i64_i32 v[4:5], s[8:9], v4, s1, 0
	v_addc_co_u32_e32 v7, vcc, 0, v7, vcc
	v_lshlrev_b64 v[4:5], 1, v[4:5]
	v_add_co_u32_e32 v4, vcc, v8, v4
	v_addc_co_u32_e32 v5, vcc, v9, v5, vcc
	v_add_co_u32_e32 v4, vcc, v4, v10
	v_addc_co_u32_e32 v5, vcc, 0, v5, vcc
	s_barrier
	global_load_dwordx4 v[74:77], v[6:7], off
	global_load_dwordx4 v[66:69], v[6:7], off offset:1024
	global_load_dwordx4 v[58:61], v[6:7], off offset:2048
	;; [unrolled: 1-line block ×3, first 2 shown]
	global_load_dwordx4 v[78:81], v[4:5], off
	global_load_dwordx4 v[70:73], v[4:5], off offset:1024
	global_load_dwordx4 v[62:65], v[4:5], off offset:2048
	global_load_dwordx4 v[46:49], v[4:5], off offset:3072
	s_waitcnt vmcnt(11)
	v_mad_i64_i32 v[4:5], s[8:9], v3, s1, 0
	v_lshlrev_b64 v[4:5], 1, v[4:5]
	v_add_co_u32_e32 v3, vcc, v8, v4
	v_addc_co_u32_e32 v5, vcc, v9, v5, vcc
	v_add_co_u32_e32 v4, vcc, v3, v10
	s_waitcnt vmcnt(10)
	v_mad_i64_i32 v[2:3], s[8:9], v2, s1, 0
	v_addc_co_u32_e32 v5, vcc, 0, v5, vcc
	v_lshlrev_b64 v[2:3], 1, v[2:3]
	v_add_co_u32_e32 v2, vcc, v8, v2
	v_addc_co_u32_e32 v3, vcc, v9, v3, vcc
	v_add_co_u32_e32 v6, vcc, v2, v10
	v_addc_co_u32_e32 v7, vcc, 0, v3, vcc
	global_load_dwordx4 v[38:41], v[4:5], off
	global_load_dwordx4 v[34:37], v[4:5], off offset:1024
	global_load_dwordx4 v[30:33], v[4:5], off offset:2048
	;; [unrolled: 1-line block ×3, first 2 shown]
	global_load_dwordx4 v[18:21], v[6:7], off
	global_load_dwordx4 v[10:13], v[6:7], off offset:1024
	s_nop 0
	global_load_dwordx4 v[2:5], v[6:7], off offset:2048
	global_load_dwordx4 v[50:53], v[6:7], off offset:3072
	v_mul_lo_u16_e32 v6, 0x56, v86
	v_mov_b32_e32 v7, 3
	v_mul_lo_u16_sdwa v6, v6, v7 dst_sel:DWORD dst_unused:UNUSED_PAD src0_sel:BYTE_1 src1_sel:DWORD
	v_sub_u16_e32 v6, v86, v6
	v_mov_b32_e32 v7, 5
	v_lshlrev_b32_sdwa v6, v7, v6 dst_sel:DWORD dst_unused:UNUSED_PAD src0_sel:DWORD src1_sel:BYTE_0
	v_lshl_add_u32 v54, v85, 9, v6
	ds_read_b128 v[26:29], v54
	ds_read_b128 v[14:17], v54 offset:2048
	ds_read_b128 v[6:9], v54 offset:4096
	;; [unrolled: 1-line block ×3, first 2 shown]
	v_and_b32_e32 v89, 63, v0
	v_cmp_gt_u32_e32 vcc, 3, v86
	v_mov_b32_e32 v90, 0
	s_and_saveexec_b64 s[8:9], vcc
	s_cbranch_execz .LBB122_13
; %bb.12:
	s_load_dwordx2 s[12:13], s[4:5], 0x40
	v_add_u32_e32 v82, s27, v86
	v_ashrrev_i32_e32 v83, 31, v82
	v_lshlrev_b64 v[82:83], 2, v[82:83]
	s_waitcnt lgkmcnt(0)
	v_mov_b32_e32 v90, s13
	v_add_co_u32_e32 v82, vcc, s12, v82
	v_addc_co_u32_e32 v83, vcc, v90, v83, vcc
	global_load_dword v90, v[82:83], off
.LBB122_13:
	s_or_b64 exec, exec, s[8:9]
	s_waitcnt vmcnt(15) lgkmcnt(3)
	v_mfma_f32_16x16x16f16 v[92:95], v[74:75], v[26:27], 0
	s_add_u32 s8, s10, s2
	v_lshl_or_b32 v91, v88, 4, v86
	s_addc_u32 s9, s11, s3
	s_load_dword s0, s[4:5], 0x1c
	s_mov_b32 s40, 0xff7fffff
	v_mfma_f32_16x16x16f16 v[74:77], v[76:77], v[28:29], v[92:95]
	s_waitcnt vmcnt(14) lgkmcnt(0)
	v_mfma_f32_16x16x16f16 v[74:77], v[66:67], v[14:15], v[74:77]
	v_mfma_f32_16x16x16f16 v[66:69], v[68:69], v[16:17], v[74:77]
	s_waitcnt vmcnt(13)
	v_mfma_f32_16x16x16f16 v[66:69], v[58:59], v[6:7], v[66:69]
	s_nop 7
	v_lshlrev_b32_e32 v76, 5, v91
	v_mfma_f32_16x16x16f16 v[58:61], v[60:61], v[8:9], v[66:69]
	s_waitcnt vmcnt(12)
	v_mfma_f32_16x16x16f16 v[58:61], v[42:43], v[54:55], v[58:61]
	s_nop 4
	v_mov_b32_e32 v66, s18
	v_mfma_f32_16x16x16f16 v[58:61], v[44:45], v[56:57], v[58:61]
	s_waitcnt vmcnt(11)
	v_mfma_f32_16x16x16f16 v[42:45], v[78:79], v[26:27], 0
	s_nop 7
	s_nop 0
	v_pk_mul_f32 v[58:59], s[0:1], v[58:59] op_sel_hi:[0,1]
	v_mfma_f32_16x16x16f16 v[42:45], v[80:81], v[28:29], v[42:45]
	s_waitcnt vmcnt(10)
	v_mfma_f32_16x16x16f16 v[42:45], v[70:71], v[14:15], v[42:45]
	v_mfma_f32_16x16x16f16 v[42:45], v[72:73], v[16:17], v[42:45]
	s_waitcnt vmcnt(9)
	v_mfma_f32_16x16x16f16 v[42:45], v[62:63], v[6:7], v[42:45]
	;; [unrolled: 3-line block ×3, first 2 shown]
	v_mfma_f32_16x16x16f16 v[62:65], v[48:49], v[56:57], v[42:45]
	v_and_or_b32 v48, v0, 48, s16
	v_mov_b32_e32 v49, s19
	v_cmp_gt_i32_e32 vcc, s33, v48
	s_waitcnt vmcnt(7)
	v_mfma_f32_16x16x16f16 v[42:45], v[38:39], v[26:27], 0
	v_ashrrev_i32_e32 v38, 4, v48
	v_cndmask_b32_e32 v38, v49, v38, vcc
	v_ashrrev_i32_e32 v39, 31, v38
	v_lshlrev_b64 v[46:47], 2, v[38:39]
	v_mfma_f32_16x16x16f16 v[38:41], v[40:41], v[28:29], v[42:45]
	s_nop 6
	v_add_co_u32_e32 v42, vcc, s17, v46
	v_addc_co_u32_e32 v43, vcc, v66, v47, vcc
	global_load_dword v44, v[42:43], off
	v_or_b32_e32 v42, 64, v48
	v_ashrrev_i32_e32 v43, 4, v42
	v_cmp_gt_i32_e32 vcc, s33, v42
	v_cndmask_b32_e32 v42, v49, v43, vcc
	s_waitcnt vmcnt(7)
	v_mfma_f32_16x16x16f16 v[38:41], v[34:35], v[14:15], v[38:41]
	v_ashrrev_i32_e32 v43, 31, v42
	v_lshlrev_b64 v[34:35], 2, v[42:43]
	v_mov_b32_e32 v42, s18
	v_add_co_u32_e32 v34, vcc, s17, v34
	v_addc_co_u32_e32 v35, vcc, v42, v35, vcc
	global_load_dword v72, v[34:35], off
	v_mfma_f32_16x16x16f16 v[34:37], v[36:37], v[16:17], v[38:41]
	s_nop 6
	v_or_b32_e32 v38, 0x80, v48
	v_ashrrev_i32_e32 v39, 4, v38
	v_cmp_gt_i32_e32 vcc, s33, v38
	v_cndmask_b32_e32 v38, v49, v39, vcc
	v_ashrrev_i32_e32 v39, 31, v38
	v_lshlrev_b64 v[38:39], 2, v[38:39]
	v_mov_b32_e32 v40, s18
	s_waitcnt vmcnt(7)
	v_mfma_f32_16x16x16f16 v[34:37], v[30:31], v[6:7], v[34:37]
	v_add_co_u32_e32 v30, vcc, s17, v38
	v_addc_co_u32_e32 v31, vcc, v40, v39, vcc
	global_load_dword v74, v[30:31], off
	v_or_b32_e32 v30, 0xc0, v48
	v_ashrrev_i32_e32 v31, 4, v30
	v_cmp_gt_i32_e32 vcc, s33, v30
	v_cndmask_b32_e32 v38, v49, v31, vcc
	v_ashrrev_i32_e32 v39, 31, v38
	v_mfma_f32_16x16x16f16 v[30:33], v[32:33], v[8:9], v[34:37]
	s_nop 6
	v_lshlrev_b64 v[34:35], 2, v[38:39]
	v_mov_b32_e32 v36, s18
	v_add_co_u32_e32 v34, vcc, s17, v34
	v_addc_co_u32_e32 v35, vcc, v36, v35, vcc
	global_load_dword v75, v[34:35], off
	s_waitcnt vmcnt(8)
	v_mfma_f32_16x16x16f16 v[30:33], v[22:23], v[54:55], v[30:33]
	v_mov_b32_e32 v22, s9
	v_add_co_u32_e32 v77, vcc, s8, v76
	v_addc_co_u32_e32 v78, vcc, 0, v22, vcc
	s_waitcnt vmcnt(3)
	v_mad_i64_i32 v[22:23], s[2:3], v44, s1, 0
	v_mfma_f32_16x16x16f16 v[66:69], v[24:25], v[56:57], v[30:33]
	v_lshlrev_b64 v[70:71], 1, v[22:23]
	v_mfma_f32_16x16x16f16 v[22:25], v[18:19], v[26:27], 0
	v_add_co_u32_e32 v18, vcc, v77, v70
	v_addc_co_u32_e32 v19, vcc, v78, v71, vcc
	global_load_dwordx4 v[46:49], v[18:19], off
	global_load_dwordx4 v[42:45], v[18:19], off offset:16
	s_waitcnt vmcnt(4)
	v_mad_i64_i32 v[18:19], s[2:3], v72, s1, 0
	v_lshlrev_b64 v[72:73], 1, v[18:19]
	v_mfma_f32_16x16x16f16 v[18:21], v[20:21], v[28:29], v[22:25]
	v_mfma_f32_16x16x16f16 v[18:21], v[10:11], v[14:15], v[18:21]
	s_nop 5
	v_add_co_u32_e32 v22, vcc, v77, v72
	v_addc_co_u32_e32 v23, vcc, v78, v73, vcc
	global_load_dwordx4 v[38:41], v[22:23], off
	global_load_dwordx4 v[34:37], v[22:23], off offset:16
	s_waitcnt vmcnt(5)
	v_mad_i64_i32 v[22:23], s[2:3], v74, s1, 0
	v_lshlrev_b64 v[82:83], 1, v[22:23]
	v_add_co_u32_e32 v10, vcc, v77, v82
	v_addc_co_u32_e32 v11, vcc, v78, v83, vcc
	global_load_dwordx4 v[30:33], v[10:11], off
	global_load_dwordx4 v[26:29], v[10:11], off offset:16
	v_mfma_f32_16x16x16f16 v[10:13], v[12:13], v[16:17], v[18:21]
	s_waitcnt vmcnt(6)
	v_mad_i64_i32 v[14:15], s[2:3], v75, s1, 0
	v_mfma_f32_16x16x16f16 v[10:13], v[2:3], v[6:7], v[10:13]
	v_lshlrev_b64 v[80:81], 1, v[14:15]
	v_add_co_u32_e32 v14, vcc, v77, v80
	v_addc_co_u32_e32 v15, vcc, v78, v81, vcc
	v_or_b32_e32 v2, 0x800, v76
	v_mov_b32_e32 v3, s9
	v_mfma_f32_16x16x16f16 v[10:13], v[4:5], v[8:9], v[10:13]
	v_add_co_u32_e32 v1, vcc, s8, v2
	v_addc_co_u32_e32 v84, vcc, 0, v3, vcc
	v_add_co_u32_e32 v2, vcc, v1, v70
	v_addc_co_u32_e32 v3, vcc, v84, v71, vcc
	v_mfma_f32_16x16x16f16 v[92:95], v[50:51], v[54:55], v[10:13]
	v_add_co_u32_e32 v70, vcc, v1, v72
	v_addc_co_u32_e32 v71, vcc, v84, v73, vcc
	global_load_dwordx4 v[22:25], v[14:15], off
	global_load_dwordx4 v[18:21], v[14:15], off offset:16
	global_load_dwordx4 v[6:9], v[2:3], off
	s_nop 0
	global_load_dwordx4 v[2:5], v[2:3], off offset:16
	s_nop 0
	global_load_dwordx4 v[14:17], v[70:71], off
	global_load_dwordx4 v[10:13], v[70:71], off offset:16
	v_mfma_f32_16x16x16f16 v[50:53], v[52:53], v[56:57], v[92:95]
	v_pk_mul_f32 v[70:71], s[0:1], v[68:69] op_sel_hi:[0,1]
	v_pk_mul_f32 v[72:73], s[0:1], v[66:67] op_sel_hi:[0,1]
	;; [unrolled: 1-line block ×5, first 2 shown]
	s_nop 5
	v_pk_mul_f32 v[68:69], s[0:1], v[50:51] op_sel_hi:[0,1]
	v_and_b32_e32 v50, 0xc0, v0
	v_add_u32_e32 v50, s16, v50
	v_lshl_or_b32 v50, v85, 2, v50
	v_or_b32_e32 v51, 1, v50
	v_pk_mul_f32 v[66:67], s[0:1], v[52:53] op_sel_hi:[0,1]
	v_subrev_u32_e32 v52, s33, v51
	v_add_u32_e32 v54, 1, v52
	v_add_u32_e32 v55, 2, v52
	v_cvt_f32_i32_e32 v53, v52
	v_cvt_f32_i32_e32 v54, v54
	;; [unrolled: 1-line block ×3, first 2 shown]
	v_add_u32_e32 v56, 3, v52
	v_fma_f32 v58, v90, v53, v58
	v_fmac_f32_e32 v59, v90, v54
	v_fma_f32 v78, v90, v55, v78
	v_add_u32_e32 v53, 16, v52
	v_add_u32_e32 v54, 17, v52
	;; [unrolled: 1-line block ×3, first 2 shown]
	v_cvt_f32_i32_e32 v56, v56
	v_cvt_f32_i32_e32 v53, v53
	;; [unrolled: 1-line block ×4, first 2 shown]
	v_fmac_f32_e32 v79, v90, v56
	v_add_u32_e32 v56, 19, v52
	v_fma_f32 v76, v90, v53, v76
	v_fmac_f32_e32 v77, v90, v54
	v_fma_f32 v74, v90, v55, v74
	v_add_u32_e32 v53, 32, v52
	v_add_u32_e32 v54, 33, v52
	;; [unrolled: 1-line block ×3, first 2 shown]
	v_cvt_f32_i32_e32 v56, v56
	v_cvt_f32_i32_e32 v53, v53
	;; [unrolled: 1-line block ×4, first 2 shown]
	v_fmac_f32_e32 v75, v90, v56
	v_add_u32_e32 v56, 35, v52
	v_fma_f32 v72, v90, v53, v72
	v_fmac_f32_e32 v73, v90, v54
	v_fma_f32 v70, v90, v55, v70
	v_add_u32_e32 v53, 48, v52
	v_add_u32_e32 v54, 49, v52
	;; [unrolled: 1-line block ×4, first 2 shown]
	v_cvt_f32_i32_e32 v52, v52
	v_cvt_f32_i32_e32 v53, v53
	;; [unrolled: 1-line block ×3, first 2 shown]
	v_cmp_gt_i32_e64 s[28:29], s33, v50
	v_fmac_f32_e32 v67, v90, v52
	v_mov_b32_e32 v52, 0xff7fffff
	v_cmp_gt_i32_e64 s[30:31], s33, v51
	v_fma_f32 v68, v90, v53, v68
	v_cndmask_b32_e64 v53, v52, v58, s[28:29]
	v_cndmask_b32_e64 v51, v52, v59, s[30:31]
	v_fmac_f32_e32 v69, v90, v54
	v_max3_f32 v51, v53, s40, v51
	v_or_b32_e32 v53, 2, v50
	v_or_b32_e32 v54, 3, v50
	v_cmp_gt_i32_e64 s[34:35], s33, v53
	v_cmp_gt_i32_e64 s[36:37], s33, v54
	v_cndmask_b32_e64 v53, v52, v78, s[34:35]
	v_cndmask_b32_e64 v54, v52, v79, s[36:37]
	v_max3_f32 v51, v51, v53, v54
	v_or_b32_e32 v53, 16, v50
	v_or_b32_e32 v54, 17, v50
	v_cmp_gt_i32_e64 s[22:23], s33, v53
	v_cmp_gt_i32_e64 s[24:25], s33, v54
	v_cndmask_b32_e64 v53, v52, v76, s[22:23]
	v_cndmask_b32_e64 v54, v52, v77, s[24:25]
	;; [unrolled: 7-line block ×3, first 2 shown]
	v_cvt_f32_i32_e32 v56, v56
	v_max3_f32 v51, v51, v53, v54
	v_or_b32_e32 v53, 32, v50
	v_or_b32_e32 v54, 33, v50
	v_cmp_gt_i32_e64 s[14:15], s33, v53
	v_cmp_gt_i32_e64 s[16:17], s33, v54
	v_cndmask_b32_e64 v53, v52, v72, s[14:15]
	v_cndmask_b32_e64 v54, v52, v73, s[16:17]
	v_max3_f32 v51, v51, v53, v54
	v_or_b32_e32 v53, 34, v50
	v_or_b32_e32 v54, 35, v50
	v_fmac_f32_e32 v71, v90, v56
	v_cmp_gt_i32_e64 s[10:11], s33, v53
	v_cmp_gt_i32_e64 s[12:13], s33, v54
	v_cndmask_b32_e64 v53, v52, v70, s[10:11]
	v_cndmask_b32_e64 v54, v52, v71, s[12:13]
	v_cvt_f32_i32_e32 v55, v55
	v_max3_f32 v51, v51, v53, v54
	v_or_b32_e32 v53, 48, v50
	v_or_b32_e32 v54, 49, v50
	v_cmp_gt_i32_e64 s[2:3], s33, v53
	v_cmp_gt_i32_e64 s[8:9], s33, v54
	v_cndmask_b32_e64 v53, v52, v68, s[2:3]
	v_cndmask_b32_e64 v54, v52, v69, s[8:9]
	v_max3_f32 v51, v51, v53, v54
	v_or_b32_e32 v53, 50, v50
	v_or_b32_e32 v50, 51, v50
	v_fma_f32 v66, v90, v55, v66
	v_cmp_gt_i32_e32 vcc, s33, v53
	v_cmp_gt_i32_e64 s[0:1], s33, v50
	v_cndmask_b32_e32 v53, v52, v66, vcc
	v_cndmask_b32_e64 v50, v52, v67, s[0:1]
	v_max3_f32 v60, v51, v53, v50
	v_mbcnt_lo_u32_b32 v50, -1, 0
	v_mbcnt_hi_u32_b32 v61, -1, v50
	v_and_b32_e32 v50, 64, v61
	v_add_u32_e32 v62, 64, v50
	v_xor_b32_e32 v50, 32, v61
	v_cmp_lt_i32_e64 s[38:39], v50, v62
	v_cndmask_b32_e64 v50, v61, v50, s[38:39]
	v_lshlrev_b32_e32 v90, 2, v50
	ds_bpermute_b32 v63, v90, v60
	v_add_co_u32_e64 v50, s[38:39], v1, v82
	v_addc_co_u32_e64 v51, s[38:39], v84, v83, s[38:39]
	s_waitcnt lgkmcnt(0)
	v_max_f32_e32 v63, v63, v63
	v_max_f32_e32 v63, v60, v63
	v_xor_b32_e32 v60, 16, v61
	v_cmp_lt_i32_e64 s[38:39], v60, v62
	v_cndmask_b32_e64 v60, v61, v60, s[38:39]
	v_lshlrev_b32_e32 v92, 2, v60
	ds_bpermute_b32 v62, v92, v63
	v_add_co_u32_e64 v60, s[38:39], v1, v80
	v_addc_co_u32_e64 v61, s[38:39], v84, v81, s[38:39]
	s_waitcnt lgkmcnt(0)
	v_max_f32_e32 v1, v62, v62
	v_max_f32_e32 v82, v63, v1
	v_sub_f32_e32 v1, v58, v82
	v_sub_f32_e32 v58, v59, v82
	v_mul_f32_e32 v58, 0x3fb8aa3b, v58
	global_load_dwordx4 v[54:57], v[50:51], off
	s_nop 0
	global_load_dwordx4 v[50:53], v[50:51], off offset:16
	v_exp_f32_e32 v81, v58
	global_load_dwordx4 v[62:65], v[60:61], off
	s_nop 0
	global_load_dwordx4 v[58:61], v[60:61], off offset:16
	v_mul_f32_e32 v1, 0x3fb8aa3b, v1
	v_exp_f32_e32 v1, v1
	v_sub_f32_e32 v78, v78, v82
	v_mul_f32_e32 v78, 0x3fb8aa3b, v78
	v_sub_f32_e32 v79, v79, v82
	v_exp_f32_e32 v78, v78
	v_mul_f32_e32 v79, 0x3fb8aa3b, v79
	v_sub_f32_e32 v76, v76, v82
	v_exp_f32_e32 v79, v79
	v_mul_f32_e32 v76, 0x3fb8aa3b, v76
	v_sub_f32_e32 v77, v77, v82
	v_cndmask_b32_e64 v80, 0, v1, s[28:29]
	v_exp_f32_e32 v76, v76
	v_mul_f32_e32 v77, 0x3fb8aa3b, v77
	v_sub_f32_e32 v74, v74, v82
	v_add_f32_e32 v1, 0, v80
	v_cndmask_b32_e64 v81, 0, v81, s[30:31]
	v_exp_f32_e32 v77, v77
	v_mul_f32_e32 v74, 0x3fb8aa3b, v74
	v_sub_f32_e32 v75, v75, v82
	v_add_f32_e32 v1, v1, v81
	;; [unrolled: 5-line block ×10, first 2 shown]
	v_cndmask_b32_e64 v70, 0, v70, s[10:11]
	v_exp_f32_e32 v66, v66
	v_mul_f32_e32 v67, 0x3fb8aa3b, v67
	v_add_f32_e32 v1, v1, v70
	v_cndmask_b32_e64 v71, 0, v71, s[12:13]
	v_exp_f32_e32 v67, v67
	v_add_f32_e32 v1, v1, v71
	v_cndmask_b32_e64 v68, 0, v68, s[2:3]
	v_add_f32_e32 v1, v1, v68
	v_cndmask_b32_e64 v69, 0, v69, s[8:9]
	v_add_f32_e32 v1, v1, v69
	v_cndmask_b32_e32 v66, 0, v66, vcc
	v_add_f32_e32 v1, v1, v66
	v_cndmask_b32_e64 v67, 0, v67, s[0:1]
	v_add_f32_e32 v1, v1, v67
	ds_bpermute_b32 v83, v90, v1
	s_load_dword s8, s[4:5], 0x98
	v_cmp_gt_u32_e32 vcc, 16, v89
	s_waitcnt lgkmcnt(0)
	s_barrier
	v_add_f32_e32 v83, v1, v83
	ds_bpermute_b32 v90, v92, v83
	s_waitcnt lgkmcnt(0)
	s_and_saveexec_b64 s[0:1], vcc
	s_cbranch_execz .LBB122_15
; %bb.14:
	v_add_f32_e32 v1, v83, v90
	v_lshlrev_b32_e32 v83, 2, v91
	ds_write2st64_b32 v83, v82, v1 offset1:1
.LBB122_15:
	s_or_b64 exec, exec, s[0:1]
	v_lshlrev_b32_e32 v1, 2, v86
	s_load_dword s2, s[4:5], 0x94
	s_waitcnt lgkmcnt(0)
	s_barrier
	ds_read2_b32 v[90:91], v1 offset1:16
	ds_read2_b32 v[92:93], v1 offset0:32 offset1:48
	ds_read2_b32 v[94:95], v1 offset0:64 offset1:80
	s_mul_i32 s8, s8, 3
	s_waitcnt lgkmcnt(2)
	v_max3_f32 v82, v90, s40, v91
	s_waitcnt lgkmcnt(1)
	v_max3_f32 v82, v82, v92, v93
	v_sub_f32_e32 v83, v90, v82
	v_mul_f32_e32 v83, 0x3fb8aa3b, v83
	v_exp_f32_e32 v84, v83
	v_sub_f32_e32 v83, v91, v82
	v_mul_f32_e32 v83, 0x3fb8aa3b, v83
	v_exp_f32_e32 v89, v83
	v_sub_f32_e32 v83, v92, v82
	v_mul_f32_e32 v83, 0x3fb8aa3b, v83
	ds_read2_b32 v[90:91], v1 offset0:96 offset1:112
	v_sub_f32_e32 v1, v93, v82
	v_exp_f32_e32 v92, v83
	v_mul_f32_e32 v1, 0x3fb8aa3b, v1
	v_exp_f32_e32 v1, v1
	s_waitcnt lgkmcnt(1)
	v_fma_f32 v83, v84, v94, 0
	v_fmac_f32_e32 v83, v89, v95
	s_waitcnt lgkmcnt(0)
	v_fmac_f32_e32 v83, v92, v90
	v_fmac_f32_e32 v83, v1, v91
	v_add_f32_e32 v90, 0x358637bd, v83
	v_div_scale_f32 v91, s[0:1], v90, v90, 1.0
	v_rcp_f32_e32 v93, v91
	s_barrier
	v_fma_f32 v94, -v91, v93, 1.0
	v_fmac_f32_e32 v93, v94, v93
	v_div_scale_f32 v94, vcc, 1.0, v90, 1.0
	v_mul_f32_e32 v95, v94, v93
	v_fma_f32 v87, -v91, v95, v94
	v_fmac_f32_e32 v95, v87, v93
	v_fma_f32 v87, -v91, v95, v94
	v_div_fmas_f32 v87, v87, v93, v95
	v_cmp_eq_u32_e32 vcc, 1, v88
	v_cndmask_b32_e32 v84, v84, v89, vcc
	v_cmp_eq_u32_e32 vcc, 2, v88
	v_cndmask_b32_e32 v84, v84, v92, vcc
	v_cmp_eq_u32_e32 vcc, 3, v88
	v_div_fixup_f32 v87, v87, v90, 1.0
	v_cndmask_b32_e32 v1, v84, v1, vcc
	v_mul_f32_e32 v90, v1, v87
	v_pk_mul_f32 v[78:79], v[90:91], v[78:79] op_sel_hi:[0,1]
	v_cvt_f16_f32_e32 v78, v78
	v_cvt_f16_f32_e32 v79, v79
	v_pk_mul_f32 v[80:81], v[90:91], v[80:81] op_sel_hi:[0,1]
	v_cvt_f16_f32_e32 v1, v80
	v_cvt_f16_f32_e32 v80, v81
	v_pk_mul_f32 v[74:75], v[90:91], v[74:75] op_sel_hi:[0,1]
	v_pk_mul_f32 v[76:77], v[90:91], v[76:77] op_sel_hi:[0,1]
	v_pack_b32_f16 v81, v78, v79
	v_cvt_f16_f32_e32 v76, v76
	v_cvt_f16_f32_e32 v77, v77
	;; [unrolled: 1-line block ×4, first 2 shown]
	v_pack_b32_f16 v80, v1, v80
	v_lshlrev_b32_e32 v1, 3, v85
	v_lshlrev_b32_e32 v78, 5, v86
	;; [unrolled: 1-line block ×3, first 2 shown]
	v_pk_mul_f32 v[70:71], v[90:91], v[70:71] op_sel_hi:[0,1]
	v_pk_mul_f32 v[72:73], v[90:91], v[72:73] op_sel_hi:[0,1]
	;; [unrolled: 1-line block ×4, first 2 shown]
	v_or3_b32 v74, v74, v78, v1
	v_pack_b32_f16 v76, v76, v77
	v_pack_b32_f16 v77, v79, v75
	v_cvt_f16_f32_e32 v1, v72
	v_cvt_f16_f32_e32 v72, v73
	v_cvt_f16_f32_e32 v70, v70
	v_cvt_f16_f32_e32 v71, v71
	v_cvt_f16_f32_e32 v68, v68
	v_cvt_f16_f32_e32 v69, v69
	v_cvt_f16_f32_e32 v73, v66
	v_cvt_f16_f32_e32 v75, v67
	v_pack_b32_f16 v66, v1, v72
	v_pack_b32_f16 v67, v70, v71
	;; [unrolled: 1-line block ×4, first 2 shown]
	v_cmp_gt_u32_e32 vcc, 3, v0
	ds_write2st64_b64 v74, v[80:81], v[76:77] offset1:1
	ds_write2st64_b64 v74, v[66:67], v[68:69] offset0:2 offset1:3
	s_and_saveexec_b64 s[0:1], vcc
	s_cbranch_execz .LBB122_17
; %bb.16:
	v_add_co_u32_e32 v68, vcc, s27, v86
	v_addc_co_u32_e64 v69, s[10:11], 0, 0, vcc
	v_mov_b32_e32 v1, s8
	v_mov_b32_e32 v67, 0
	v_mad_u64_u32 v[68:69], s[10:11], s6, v1, v[68:69]
	v_mov_b32_e32 v66, s26
	s_load_dwordx4 s[12:15], s[4:5], 0x58
	s_mul_i32 s3, s7, s8
	v_mad_u64_u32 v[66:67], s[10:11], v68, s2, v[66:67]
	v_add_u32_e32 v1, s3, v69
	v_mov_b32_e32 v68, v67
	v_mad_u64_u32 v[68:69], s[10:11], v1, s2, v[68:69]
	v_mov_b32_e32 v67, v68
	v_lshlrev_b64 v[66:67], 2, v[66:67]
	s_waitcnt lgkmcnt(0)
	v_mov_b32_e32 v1, s15
	v_add_co_u32_e32 v68, vcc, s14, v66
	v_addc_co_u32_e32 v69, vcc, v1, v67, vcc
	v_mov_b32_e32 v1, s13
	v_add_co_u32_e32 v66, vcc, s12, v66
	v_addc_co_u32_e32 v67, vcc, v1, v67, vcc
	global_store_dword v[68:69], v82, off
	global_store_dword v[66:67], v83, off
.LBB122_17:
	s_or_b64 exec, exec, s[0:1]
	v_lshl_or_b32 v1, v85, 9, v78
	s_waitcnt lgkmcnt(0)
	s_barrier
	ds_read_b128 v[70:73], v1
	ds_read_b128 v[66:69], v1 offset:16
	s_waitcnt vmcnt(15) lgkmcnt(1)
	v_mfma_f32_16x16x16f16 v[76:79], v[46:47], v[70:71], 0
	v_cmp_gt_u32_e32 vcc, 64, v0
	v_cmp_ne_u32_e64 s[0:1], 3, v85
	s_mov_b32 s3, 0
	s_and_b64 s[0:1], vcc, s[0:1]
	v_mfma_f32_16x16x16f16 v[46:49], v[48:49], v[72:73], v[76:79]
	s_waitcnt vmcnt(14) lgkmcnt(0)
	v_mfma_f32_16x16x16f16 v[46:49], v[42:43], v[66:67], v[46:49]
	v_mfma_f32_16x16x16f16 v[42:45], v[44:45], v[68:69], v[46:49]
	s_nop 7
	s_nop 1
	ds_read_b128 v[46:49], v1 offset:2048
	ds_read_b128 v[76:79], v1 offset:2064
	s_waitcnt vmcnt(13) lgkmcnt(1)
	v_mfma_f32_16x16x16f16 v[42:45], v[38:39], v[46:47], v[42:45]
	v_mfma_f32_16x16x16f16 v[38:41], v[40:41], v[48:49], v[42:45]
	s_waitcnt vmcnt(12) lgkmcnt(0)
	v_mfma_f32_16x16x16f16 v[38:41], v[34:35], v[76:77], v[38:41]
	v_mfma_f32_16x16x16f16 v[34:37], v[36:37], v[78:79], v[38:41]
	s_nop 7
	s_nop 1
	ds_read_b128 v[38:41], v1 offset:4096
	ds_read_b128 v[42:45], v1 offset:4112
	s_waitcnt vmcnt(11) lgkmcnt(1)
	v_mfma_f32_16x16x16f16 v[34:37], v[30:31], v[38:39], v[34:37]
	v_mfma_f32_16x16x16f16 v[30:33], v[32:33], v[40:41], v[34:37]
	s_waitcnt vmcnt(10) lgkmcnt(0)
	v_mfma_f32_16x16x16f16 v[30:33], v[26:27], v[42:43], v[30:33]
	v_mfma_f32_16x16x16f16 v[26:29], v[28:29], v[44:45], v[30:33]
	s_nop 7
	s_nop 1
	ds_read_b128 v[30:33], v1 offset:6144
	ds_read_b128 v[34:37], v1 offset:6160
	s_waitcnt lgkmcnt(0)
	s_barrier
	s_waitcnt vmcnt(9)
	v_mfma_f32_16x16x16f16 v[26:29], v[22:23], v[30:31], v[26:29]
	v_mfma_f32_16x16x16f16 v[22:25], v[24:25], v[32:33], v[26:29]
	s_waitcnt vmcnt(8)
	v_mfma_f32_16x16x16f16 v[22:25], v[18:19], v[34:35], v[22:25]
	v_mfma_f32_16x16x16f16 v[18:21], v[20:21], v[36:37], v[22:25]
	s_waitcnt vmcnt(7)
	v_mfma_f32_16x16x16f16 v[22:25], v[6:7], v[70:71], 0
	s_nop 7
	s_nop 0
	v_cvt_f16_f32_e32 v1, v18
	v_mfma_f32_16x16x16f16 v[6:9], v[8:9], v[72:73], v[22:25]
	s_waitcnt vmcnt(6)
	v_mfma_f32_16x16x16f16 v[6:9], v[2:3], v[66:67], v[6:9]
	v_mfma_f32_16x16x16f16 v[2:5], v[4:5], v[68:69], v[6:9]
	s_waitcnt vmcnt(5)
	v_mfma_f32_16x16x16f16 v[2:5], v[14:15], v[46:47], v[2:5]
	s_nop 7
	v_cvt_f16_f32_e32 v6, v19
	v_cvt_f16_f32_e32 v7, v20
	;; [unrolled: 1-line block ×3, first 2 shown]
	v_mfma_f32_16x16x16f16 v[2:5], v[16:17], v[48:49], v[2:5]
	s_waitcnt vmcnt(4)
	v_mfma_f32_16x16x16f16 v[2:5], v[10:11], v[76:77], v[2:5]
	v_mfma_f32_16x16x16f16 v[2:5], v[12:13], v[78:79], v[2:5]
	s_waitcnt vmcnt(3)
	v_mfma_f32_16x16x16f16 v[2:5], v[54:55], v[38:39], v[2:5]
	;; [unrolled: 3-line block ×5, first 2 shown]
	v_mfma_f32_16x16x16f16 v[2:5], v[60:61], v[36:37], v[2:5]
	s_nop 7
	s_nop 2
	v_cvt_f16_f32_e32 v9, v2
	v_cvt_f16_f32_e32 v10, v3
	;; [unrolled: 1-line block ×4, first 2 shown]
	v_pack_b32_f16 v2, v1, v6
	v_pack_b32_f16 v3, v7, v8
	;; [unrolled: 1-line block ×4, first 2 shown]
	ds_write2st64_b64 v74, v[2:3], v[4:5] offset1:1
	s_waitcnt lgkmcnt(0)
	s_barrier
	s_and_saveexec_b64 s[10:11], s[0:1]
	s_cbranch_execz .LBB122_19
; %bb.18:
	v_lshlrev_b32_e32 v3, 6, v86
	v_lshlrev_b32_e32 v2, 4, v0
	v_lshl_or_b32 v0, v0, 10, v3
	v_lshlrev_b32_e32 v1, 5, v85
	v_and_b32_e32 v2, 16, v2
	v_and_b32_e32 v0, 0x1a00, v0
	v_or3_b32 v0, v0, v1, v2
	ds_read_b128 v[2:5], v0
	buffer_load_dword v0, off, s[44:47], 0 offset:4 ; 4-byte Folded Reload
	s_load_dwordx2 s[0:1], s[4:5], 0x68
	s_mul_i32 s4, s8, s6
	s_lshl_b32 s6, s2, 7
	s_mul_hi_u32 s5, s4, s6
	s_mul_i32 s4, s4, s6
	s_lshl_b64 s[4:5], s[4:5], 1
	s_waitcnt lgkmcnt(0)
	s_add_u32 s4, s0, s4
	s_addc_u32 s5, s1, s5
	s_lshl_b32 s2, s26, 7
	s_lshl_b64 s[0:1], s[2:3], 1
	s_add_u32 s2, s4, s0
	s_addc_u32 s3, s5, s1
	s_waitcnt vmcnt(0)
	v_mad_u64_u32 v[6:7], s[0:1], s6, v0, 0
	v_lshlrev_b64 v[6:7], 1, v[6:7]
	v_mov_b32_e32 v0, s3
	v_add_co_u32_e32 v1, vcc, s2, v6
	v_addc_co_u32_e32 v6, vcc, v0, v7, vcc
	buffer_load_dword v0, off, s[44:47], 0  ; 4-byte Folded Reload
	s_waitcnt vmcnt(0)
	v_add_co_u32_e32 v0, vcc, v1, v0
	v_addc_co_u32_e32 v1, vcc, 0, v6, vcc
	global_store_dwordx4 v[0:1], v[2:5], off
.LBB122_19:
	s_endpgm
	.section	.rodata,"a",@progbits
	.p2align	6, 0x0
	.amdhsa_kernel _Z39paged_attention_ll4mi_QKV_mfma16_kernelIDF16_DF16_LN4vllm18Fp8KVCacheDataTypeE0EDF16_Li16ELi128ELi256ELb1ELi3EL8MFMAType0EEvPKT_PKT0_S8_ifPKiSA_SA_iPKfiiiPfSD_PS3_PT2_iSC_SC_
		.amdhsa_group_segment_fixed_size 8192
		.amdhsa_private_segment_fixed_size 12
		.amdhsa_kernarg_size 400
		.amdhsa_user_sgpr_count 6
		.amdhsa_user_sgpr_private_segment_buffer 1
		.amdhsa_user_sgpr_dispatch_ptr 0
		.amdhsa_user_sgpr_queue_ptr 0
		.amdhsa_user_sgpr_kernarg_segment_ptr 1
		.amdhsa_user_sgpr_dispatch_id 0
		.amdhsa_user_sgpr_flat_scratch_init 0
		.amdhsa_user_sgpr_kernarg_preload_length 0
		.amdhsa_user_sgpr_kernarg_preload_offset 0
		.amdhsa_user_sgpr_private_segment_size 0
		.amdhsa_uses_dynamic_stack 0
		.amdhsa_system_sgpr_private_segment_wavefront_offset 1
		.amdhsa_system_sgpr_workgroup_id_x 1
		.amdhsa_system_sgpr_workgroup_id_y 1
		.amdhsa_system_sgpr_workgroup_id_z 1
		.amdhsa_system_sgpr_workgroup_info 0
		.amdhsa_system_vgpr_workitem_id 0
		.amdhsa_next_free_vgpr 96
		.amdhsa_next_free_sgpr 48
		.amdhsa_accum_offset 96
		.amdhsa_reserve_vcc 1
		.amdhsa_reserve_flat_scratch 0
		.amdhsa_float_round_mode_32 0
		.amdhsa_float_round_mode_16_64 0
		.amdhsa_float_denorm_mode_32 3
		.amdhsa_float_denorm_mode_16_64 3
		.amdhsa_dx10_clamp 1
		.amdhsa_ieee_mode 1
		.amdhsa_fp16_overflow 0
		.amdhsa_tg_split 0
		.amdhsa_exception_fp_ieee_invalid_op 0
		.amdhsa_exception_fp_denorm_src 0
		.amdhsa_exception_fp_ieee_div_zero 0
		.amdhsa_exception_fp_ieee_overflow 0
		.amdhsa_exception_fp_ieee_underflow 0
		.amdhsa_exception_fp_ieee_inexact 0
		.amdhsa_exception_int_div_zero 0
	.end_amdhsa_kernel
	.section	.text._Z39paged_attention_ll4mi_QKV_mfma16_kernelIDF16_DF16_LN4vllm18Fp8KVCacheDataTypeE0EDF16_Li16ELi128ELi256ELb1ELi3EL8MFMAType0EEvPKT_PKT0_S8_ifPKiSA_SA_iPKfiiiPfSD_PS3_PT2_iSC_SC_,"axG",@progbits,_Z39paged_attention_ll4mi_QKV_mfma16_kernelIDF16_DF16_LN4vllm18Fp8KVCacheDataTypeE0EDF16_Li16ELi128ELi256ELb1ELi3EL8MFMAType0EEvPKT_PKT0_S8_ifPKiSA_SA_iPKfiiiPfSD_PS3_PT2_iSC_SC_,comdat
.Lfunc_end122:
	.size	_Z39paged_attention_ll4mi_QKV_mfma16_kernelIDF16_DF16_LN4vllm18Fp8KVCacheDataTypeE0EDF16_Li16ELi128ELi256ELb1ELi3EL8MFMAType0EEvPKT_PKT0_S8_ifPKiSA_SA_iPKfiiiPfSD_PS3_PT2_iSC_SC_, .Lfunc_end122-_Z39paged_attention_ll4mi_QKV_mfma16_kernelIDF16_DF16_LN4vllm18Fp8KVCacheDataTypeE0EDF16_Li16ELi128ELi256ELb1ELi3EL8MFMAType0EEvPKT_PKT0_S8_ifPKiSA_SA_iPKfiiiPfSD_PS3_PT2_iSC_SC_
                                        ; -- End function
	.section	.AMDGPU.csdata,"",@progbits
; Kernel info:
; codeLenInByte = 4884
; NumSgprs: 52
; NumVgprs: 96
; NumAgprs: 0
; TotalNumVgprs: 96
; ScratchSize: 12
; MemoryBound: 0
; FloatMode: 240
; IeeeMode: 1
; LDSByteSize: 8192 bytes/workgroup (compile time only)
; SGPRBlocks: 6
; VGPRBlocks: 11
; NumSGPRsForWavesPerEU: 52
; NumVGPRsForWavesPerEU: 96
; AccumOffset: 96
; Occupancy: 5
; WaveLimiterHint : 1
; COMPUTE_PGM_RSRC2:SCRATCH_EN: 1
; COMPUTE_PGM_RSRC2:USER_SGPR: 6
; COMPUTE_PGM_RSRC2:TRAP_HANDLER: 0
; COMPUTE_PGM_RSRC2:TGID_X_EN: 1
; COMPUTE_PGM_RSRC2:TGID_Y_EN: 1
; COMPUTE_PGM_RSRC2:TGID_Z_EN: 1
; COMPUTE_PGM_RSRC2:TIDIG_COMP_CNT: 0
; COMPUTE_PGM_RSRC3_GFX90A:ACCUM_OFFSET: 23
; COMPUTE_PGM_RSRC3_GFX90A:TG_SPLIT: 0
	.section	.text._Z39paged_attention_ll4mi_QKV_mfma16_kernelIDF16_DF16_LN4vllm18Fp8KVCacheDataTypeE0EDF16_Li16ELi128ELi256ELb1ELi4EL8MFMAType0EEvPKT_PKT0_S8_ifPKiSA_SA_iPKfiiiPfSD_PS3_PT2_iSC_SC_,"axG",@progbits,_Z39paged_attention_ll4mi_QKV_mfma16_kernelIDF16_DF16_LN4vllm18Fp8KVCacheDataTypeE0EDF16_Li16ELi128ELi256ELb1ELi4EL8MFMAType0EEvPKT_PKT0_S8_ifPKiSA_SA_iPKfiiiPfSD_PS3_PT2_iSC_SC_,comdat
	.protected	_Z39paged_attention_ll4mi_QKV_mfma16_kernelIDF16_DF16_LN4vllm18Fp8KVCacheDataTypeE0EDF16_Li16ELi128ELi256ELb1ELi4EL8MFMAType0EEvPKT_PKT0_S8_ifPKiSA_SA_iPKfiiiPfSD_PS3_PT2_iSC_SC_ ; -- Begin function _Z39paged_attention_ll4mi_QKV_mfma16_kernelIDF16_DF16_LN4vllm18Fp8KVCacheDataTypeE0EDF16_Li16ELi128ELi256ELb1ELi4EL8MFMAType0EEvPKT_PKT0_S8_ifPKiSA_SA_iPKfiiiPfSD_PS3_PT2_iSC_SC_
	.globl	_Z39paged_attention_ll4mi_QKV_mfma16_kernelIDF16_DF16_LN4vllm18Fp8KVCacheDataTypeE0EDF16_Li16ELi128ELi256ELb1ELi4EL8MFMAType0EEvPKT_PKT0_S8_ifPKiSA_SA_iPKfiiiPfSD_PS3_PT2_iSC_SC_
	.p2align	8
	.type	_Z39paged_attention_ll4mi_QKV_mfma16_kernelIDF16_DF16_LN4vllm18Fp8KVCacheDataTypeE0EDF16_Li16ELi128ELi256ELb1ELi4EL8MFMAType0EEvPKT_PKT0_S8_ifPKiSA_SA_iPKfiiiPfSD_PS3_PT2_iSC_SC_,@function
_Z39paged_attention_ll4mi_QKV_mfma16_kernelIDF16_DF16_LN4vllm18Fp8KVCacheDataTypeE0EDF16_Li16ELi128ELi256ELb1ELi4EL8MFMAType0EEvPKT_PKT0_S8_ifPKiSA_SA_iPKfiiiPfSD_PS3_PT2_iSC_SC_: ; @_Z39paged_attention_ll4mi_QKV_mfma16_kernelIDF16_DF16_LN4vllm18Fp8KVCacheDataTypeE0EDF16_Li16ELi128ELi256ELb1ELi4EL8MFMAType0EEvPKT_PKT0_S8_ifPKiSA_SA_iPKfiiiPfSD_PS3_PT2_iSC_SC_
; %bb.0:
	s_mov_b64 s[46:47], s[2:3]
	s_mov_b64 s[44:45], s[0:1]
	s_load_dwordx2 s[0:1], s[4:5], 0x30
	s_add_u32 s44, s44, s9
	s_addc_u32 s45, s45, 0
	s_mov_b32 s28, s7
	s_mov_b64 s[10:11], 0
	s_waitcnt lgkmcnt(0)
	s_cmp_lg_u64 s[0:1], 0
	s_cselect_b64 s[2:3], -1, 0
	s_and_b64 vcc, exec, s[2:3]
	s_cbranch_vccz .LBB123_7
; %bb.1:
	s_add_i32 s12, s6, 1
	s_mov_b32 s13, 0
	s_lshl_b64 s[14:15], s[12:13], 2
	s_add_u32 s14, s0, s14
	s_mov_b32 s7, s13
	s_addc_u32 s15, s1, s15
	s_lshl_b64 s[12:13], s[6:7], 2
	s_add_u32 s12, s0, s12
	s_addc_u32 s13, s1, s13
	s_load_dword s9, s[14:15], 0x0
	s_load_dword s16, s[12:13], 0x0
	s_waitcnt lgkmcnt(0)
	s_sub_i32 s9, s9, s16
	s_cmp_eq_u32 s9, 1
	s_cselect_b64 s[12:13], -1, 0
	s_andn2_b64 vcc, exec, s[10:11]
	s_cbranch_vccnz .LBB123_3
.LBB123_2:
	s_mov_b32 s7, 0
	s_mov_b64 s[12:13], -1
.LBB123_3:
	s_andn2_b64 vcc, exec, s[12:13]
	s_cbranch_vccnz .LBB123_19
; %bb.4:
	s_load_dwordx2 s[12:13], s[4:5], 0x28
	s_lshl_b64 s[10:11], s[6:7], 2
	s_waitcnt lgkmcnt(0)
	s_add_u32 s12, s12, s10
	s_addc_u32 s13, s13, s11
	s_load_dword s33, s[12:13], 0x0
	s_lshl_b32 s18, s28, 8
	s_waitcnt lgkmcnt(0)
	s_cmp_ge_i32 s18, s33
	s_cbranch_scc1 .LBB123_19
; %bb.5:
	s_add_i32 s14, s33, 15
	s_load_dwordx2 s[12:13], s[4:5], 0x20
	s_load_dword s9, s[4:5], 0x38
	s_ashr_i32 s15, s14, 31
	v_and_b32_e32 v1, 0xcf, v0
	s_lshr_b32 s15, s15, 28
	v_add_u32_e32 v1, s18, v1
	s_add_i32 s14, s14, s15
	v_ashrrev_i32_e32 v2, 31, v1
	s_ashr_i32 s21, s14, 4
	v_lshrrev_b32_e32 v4, 28, v2
	s_add_i32 s21, s21, -1
	v_add_u32_e32 v2, v1, v4
	s_waitcnt lgkmcnt(0)
	s_mul_i32 s14, s6, s9
	s_mov_b32 s15, 0
	v_ashrrev_i32_e32 v2, 4, v2
	v_mov_b32_e32 v5, s21
	v_cmp_gt_i32_e32 vcc, s33, v1
	s_lshl_b64 s[14:15], s[14:15], 2
	v_cndmask_b32_e32 v2, v5, v2, vcc
	s_add_u32 s19, s12, s14
	v_ashrrev_i32_e32 v3, 31, v2
	s_addc_u32 s20, s13, s15
	v_lshlrev_b64 v[2:3], 2, v[2:3]
	v_mov_b32_e32 v7, s20
	v_add_co_u32_e32 v6, vcc, s19, v2
	v_or_b32_e32 v2, 16, v1
	v_addc_co_u32_e32 v7, vcc, v7, v3, vcc
	v_add_u32_e32 v3, v2, v4
	v_ashrrev_i32_e32 v3, 4, v3
	v_cmp_gt_i32_e32 vcc, s33, v2
	v_cndmask_b32_e32 v2, v5, v3, vcc
	v_ashrrev_i32_e32 v3, 31, v2
	v_lshlrev_b64 v[2:3], 2, v[2:3]
	v_mov_b32_e32 v9, s20
	v_add_co_u32_e32 v8, vcc, s19, v2
	v_or_b32_e32 v2, 32, v1
	v_addc_co_u32_e32 v9, vcc, v9, v3, vcc
	v_add_u32_e32 v3, v2, v4
	v_ashrrev_i32_e32 v3, 4, v3
	v_cmp_gt_i32_e32 vcc, s33, v2
	v_cndmask_b32_e32 v2, v5, v3, vcc
	v_ashrrev_i32_e32 v3, 31, v2
	;; [unrolled: 10-line block ×3, first 2 shown]
	v_lshlrev_b64 v[2:3], 2, v[2:3]
	v_mov_b32_e32 v1, s20
	v_add_co_u32_e32 v12, vcc, s19, v2
	v_addc_co_u32_e32 v13, vcc, v1, v3, vcc
	global_load_dword v5, v[6:7], off
	global_load_dword v4, v[8:9], off
	;; [unrolled: 1-line block ×4, first 2 shown]
	s_load_dwordx2 s[16:17], s[4:5], 0x8
	s_andn2_b64 vcc, exec, s[2:3]
	s_cbranch_vccnz .LBB123_8
; %bb.6:
	s_add_u32 s0, s0, s10
	s_addc_u32 s1, s1, s11
	s_load_dword s9, s[0:1], 0x0
	s_branch .LBB123_9
.LBB123_7:
	s_mov_b64 s[12:13], 0
	s_branch .LBB123_2
.LBB123_8:
	s_mov_b32 s9, s6
.LBB123_9:
	v_bfe_u32 v88, v0, 4, 2
	s_lshl_b32 s29, s8, 2
	v_or_b32_e32 v1, s29, v88
	buffer_store_dword v1, off, s[44:47], 0 offset:4 ; 4-byte Folded Spill
	s_load_dwordx2 s[2:3], s[4:5], 0x10
	s_load_dwordx4 s[12:15], s[4:5], 0x48
	v_and_b32_e32 v90, 15, v0
	v_lshlrev_b32_e32 v7, 3, v90
	v_lshlrev_b32_e32 v1, 1, v7
	v_lshrrev_b32_e32 v89, 6, v0
	v_and_b32_e32 v6, 3, v0
	v_cmp_gt_u32_e64 s[0:1], 64, v0
	buffer_store_dword v1, off, s[44:47], 0 ; 4-byte Folded Spill
	v_lshlrev_b32_e32 v1, 5, v88
	buffer_store_dword v1, off, s[44:47], 0 offset:8 ; 4-byte Folded Spill
	s_and_saveexec_b64 s[10:11], s[0:1]
	s_cbranch_execz .LBB123_11
; %bb.10:
	buffer_load_dword v1, off, s[44:47], 0 offset:4 ; 4-byte Folded Reload
	s_load_dwordx2 s[22:23], s[4:5], 0x0
	s_waitcnt lgkmcnt(0)
	s_ashr_i32 s15, s12, 31
	s_mul_hi_u32 s24, s9, s12
	s_mul_i32 s15, s9, s15
	s_add_i32 s25, s24, s15
	s_mul_i32 s24, s9, s12
	s_lshl_b64 s[24:25], s[24:25], 1
	s_add_u32 s9, s22, s24
	s_addc_u32 s12, s23, s25
	v_mov_b32_e32 v7, s12
	v_lshlrev_b32_e32 v13, 9, v90
	v_lshlrev_b32_e32 v12, 9, v6
	v_and_b32_e32 v13, 0x1800, v13
	s_waitcnt vmcnt(0)
	v_lshlrev_b32_e32 v8, 7, v1
	buffer_load_dword v1, off, s[44:47], 0  ; 4-byte Folded Reload
	v_ashrrev_i32_e32 v9, 31, v8
	v_lshlrev_b64 v[8:9], 1, v[8:9]
	v_add_co_u32_e32 v8, vcc, s9, v8
	v_addc_co_u32_e32 v7, vcc, v7, v9, vcc
	s_waitcnt vmcnt(0)
	v_add_co_u32_e32 v8, vcc, v8, v1
	v_addc_co_u32_e32 v9, vcc, 0, v7, vcc
	global_load_dwordx4 v[8:11], v[8:9], off
	v_lshlrev_b32_e32 v1, 5, v88
	v_lshl_or_b32 v7, v89, 7, v1
	v_or3_b32 v7, v13, v12, v7
	s_waitcnt vmcnt(0)
	ds_write_b128 v7, v[8:11]
.LBB123_11:
	s_or_b64 exec, exec, s[10:11]
	s_waitcnt lgkmcnt(0)
	s_mul_i32 s8, s8, s14
	s_mov_b32 s9, 0
	s_lshl_b64 s[8:9], s[8:9], 1
	s_add_u32 s10, s16, s8
	v_lshlrev_b32_e32 v1, 4, v0
	s_addc_u32 s11, s17, s9
	v_and_b32_e32 v7, 0xf0, v1
	v_mov_b32_e32 v8, s11
	v_add_co_u32_e32 v7, vcc, s10, v7
	v_addc_co_u32_e32 v10, vcc, 0, v8, vcc
	s_waitcnt vmcnt(6)
	v_mad_i64_i32 v[8:9], s[10:11], v5, s13, 0
	v_lshlrev_b64 v[8:9], 1, v[8:9]
	v_add_co_u32_e32 v5, vcc, v7, v8
	v_addc_co_u32_e32 v9, vcc, v10, v9, vcc
	v_and_b32_e32 v11, 0x300, v1
	v_add_co_u32_e32 v8, vcc, v5, v11
	s_waitcnt vmcnt(5)
	v_mad_i64_i32 v[4:5], s[10:11], v4, s13, 0
	v_addc_co_u32_e32 v9, vcc, 0, v9, vcc
	v_lshlrev_b64 v[4:5], 1, v[4:5]
	v_add_co_u32_e32 v4, vcc, v7, v4
	v_addc_co_u32_e32 v5, vcc, v10, v5, vcc
	v_add_co_u32_e32 v4, vcc, v4, v11
	v_addc_co_u32_e32 v5, vcc, 0, v5, vcc
	s_barrier
	global_load_dwordx4 v[74:77], v[8:9], off
	global_load_dwordx4 v[66:69], v[8:9], off offset:1024
	global_load_dwordx4 v[58:61], v[8:9], off offset:2048
	;; [unrolled: 1-line block ×3, first 2 shown]
	global_load_dwordx4 v[78:81], v[4:5], off
	global_load_dwordx4 v[70:73], v[4:5], off offset:1024
	global_load_dwordx4 v[62:65], v[4:5], off offset:2048
	;; [unrolled: 1-line block ×3, first 2 shown]
	s_waitcnt vmcnt(12)
	v_mad_i64_i32 v[4:5], s[10:11], v3, s13, 0
	v_lshlrev_b64 v[4:5], 1, v[4:5]
	v_add_co_u32_e32 v3, vcc, v7, v4
	v_addc_co_u32_e32 v5, vcc, v10, v5, vcc
	v_add_co_u32_e32 v4, vcc, v3, v11
	s_waitcnt vmcnt(11)
	v_mad_i64_i32 v[2:3], s[10:11], v2, s13, 0
	v_addc_co_u32_e32 v5, vcc, 0, v5, vcc
	v_lshlrev_b64 v[2:3], 1, v[2:3]
	v_add_co_u32_e32 v2, vcc, v7, v2
	v_addc_co_u32_e32 v3, vcc, v10, v3, vcc
	v_add_co_u32_e32 v8, vcc, v2, v11
	v_addc_co_u32_e32 v9, vcc, 0, v3, vcc
	global_load_dwordx4 v[38:41], v[4:5], off
	global_load_dwordx4 v[34:37], v[4:5], off offset:1024
	global_load_dwordx4 v[30:33], v[4:5], off offset:2048
	;; [unrolled: 1-line block ×3, first 2 shown]
	global_load_dwordx4 v[18:21], v[8:9], off
	global_load_dwordx4 v[10:13], v[8:9], off offset:1024
	s_nop 0
	global_load_dwordx4 v[2:5], v[8:9], off offset:2048
	global_load_dwordx4 v[50:53], v[8:9], off offset:3072
	v_lshlrev_b32_e32 v6, 5, v6
	v_lshl_or_b32 v54, v88, 9, v6
	ds_read_b128 v[22:25], v54
	ds_read_b128 v[14:17], v54 offset:2048
	ds_read_b128 v[6:9], v54 offset:4096
	ds_read_b128 v[54:57], v54 offset:6144
	v_and_b32_e32 v1, 63, v0
	v_cmp_gt_u32_e32 vcc, 4, v90
	v_mov_b32_e32 v91, 0
	s_and_saveexec_b64 s[10:11], vcc
	s_cbranch_execz .LBB123_13
; %bb.12:
	s_load_dwordx2 s[14:15], s[4:5], 0x40
	v_or_b32_e32 v82, s29, v90
	v_ashrrev_i32_e32 v83, 31, v82
	v_lshlrev_b64 v[82:83], 2, v[82:83]
	s_waitcnt lgkmcnt(0)
	v_mov_b32_e32 v84, s15
	v_add_co_u32_e32 v82, vcc, s14, v82
	v_addc_co_u32_e32 v83, vcc, v84, v83, vcc
	global_load_dword v91, v[82:83], off
.LBB123_13:
	s_or_b64 exec, exec, s[10:11]
	s_waitcnt vmcnt(15) lgkmcnt(3)
	v_mfma_f32_16x16x16f16 v[92:95], v[74:75], v[22:23], 0
	s_add_u32 s8, s2, s8
	s_addc_u32 s9, s3, s9
	s_load_dword s10, s[4:5], 0x1c
	s_mov_b32 s42, 0xff7fffff
	v_mfma_f32_16x16x16f16 v[74:77], v[76:77], v[24:25], v[92:95]
	s_waitcnt vmcnt(14) lgkmcnt(0)
	v_mfma_f32_16x16x16f16 v[74:77], v[66:67], v[14:15], v[74:77]
	s_nop 4
	v_lshl_or_b32 v92, v89, 4, v90
	v_mfma_f32_16x16x16f16 v[66:69], v[68:69], v[16:17], v[74:77]
	s_waitcnt vmcnt(13)
	v_mfma_f32_16x16x16f16 v[66:69], v[58:59], v[6:7], v[66:69]
	s_nop 4
	v_lshlrev_b32_e32 v76, 5, v92
	v_mfma_f32_16x16x16f16 v[58:61], v[60:61], v[8:9], v[66:69]
	s_waitcnt vmcnt(12)
	v_mfma_f32_16x16x16f16 v[58:61], v[42:43], v[54:55], v[58:61]
	s_nop 4
	v_mov_b32_e32 v66, s20
	v_mfma_f32_16x16x16f16 v[58:61], v[44:45], v[56:57], v[58:61]
	s_waitcnt vmcnt(11)
	v_mfma_f32_16x16x16f16 v[42:45], v[78:79], v[22:23], 0
	s_nop 7
	s_nop 0
	v_pk_mul_f32 v[58:59], s[10:11], v[58:59] op_sel_hi:[0,1]
	v_mfma_f32_16x16x16f16 v[42:45], v[80:81], v[24:25], v[42:45]
	s_waitcnt vmcnt(10)
	v_mfma_f32_16x16x16f16 v[42:45], v[70:71], v[14:15], v[42:45]
	v_mfma_f32_16x16x16f16 v[42:45], v[72:73], v[16:17], v[42:45]
	s_waitcnt vmcnt(9)
	v_mfma_f32_16x16x16f16 v[42:45], v[62:63], v[6:7], v[42:45]
	;; [unrolled: 3-line block ×3, first 2 shown]
	v_mfma_f32_16x16x16f16 v[62:65], v[48:49], v[56:57], v[42:45]
	v_and_or_b32 v48, v0, 48, s18
	v_mov_b32_e32 v49, s21
	v_cmp_gt_i32_e32 vcc, s33, v48
	s_waitcnt vmcnt(7)
	v_mfma_f32_16x16x16f16 v[42:45], v[38:39], v[22:23], 0
	v_ashrrev_i32_e32 v38, 4, v48
	v_cndmask_b32_e32 v38, v49, v38, vcc
	v_ashrrev_i32_e32 v39, 31, v38
	v_lshlrev_b64 v[46:47], 2, v[38:39]
	v_mfma_f32_16x16x16f16 v[38:41], v[40:41], v[24:25], v[42:45]
	s_nop 6
	v_add_co_u32_e32 v42, vcc, s19, v46
	v_addc_co_u32_e32 v43, vcc, v66, v47, vcc
	global_load_dword v44, v[42:43], off
	v_or_b32_e32 v42, 64, v48
	v_ashrrev_i32_e32 v43, 4, v42
	v_cmp_gt_i32_e32 vcc, s33, v42
	v_cndmask_b32_e32 v42, v49, v43, vcc
	s_waitcnt vmcnt(7)
	v_mfma_f32_16x16x16f16 v[38:41], v[34:35], v[14:15], v[38:41]
	v_ashrrev_i32_e32 v43, 31, v42
	v_lshlrev_b64 v[34:35], 2, v[42:43]
	v_mov_b32_e32 v42, s20
	v_add_co_u32_e32 v34, vcc, s19, v34
	v_addc_co_u32_e32 v35, vcc, v42, v35, vcc
	global_load_dword v72, v[34:35], off
	v_mfma_f32_16x16x16f16 v[34:37], v[36:37], v[16:17], v[38:41]
	s_nop 6
	v_or_b32_e32 v38, 0x80, v48
	v_ashrrev_i32_e32 v39, 4, v38
	v_cmp_gt_i32_e32 vcc, s33, v38
	v_cndmask_b32_e32 v38, v49, v39, vcc
	v_ashrrev_i32_e32 v39, 31, v38
	v_lshlrev_b64 v[38:39], 2, v[38:39]
	v_mov_b32_e32 v40, s20
	s_waitcnt vmcnt(7)
	v_mfma_f32_16x16x16f16 v[34:37], v[30:31], v[6:7], v[34:37]
	v_add_co_u32_e32 v30, vcc, s19, v38
	v_addc_co_u32_e32 v31, vcc, v40, v39, vcc
	global_load_dword v74, v[30:31], off
	v_or_b32_e32 v30, 0xc0, v48
	v_ashrrev_i32_e32 v31, 4, v30
	v_cmp_gt_i32_e32 vcc, s33, v30
	v_cndmask_b32_e32 v38, v49, v31, vcc
	v_ashrrev_i32_e32 v39, 31, v38
	v_mfma_f32_16x16x16f16 v[30:33], v[32:33], v[8:9], v[34:37]
	s_nop 6
	v_lshlrev_b64 v[34:35], 2, v[38:39]
	v_mov_b32_e32 v36, s20
	v_add_co_u32_e32 v34, vcc, s19, v34
	v_addc_co_u32_e32 v35, vcc, v36, v35, vcc
	global_load_dword v75, v[34:35], off
	s_waitcnt vmcnt(8)
	v_mfma_f32_16x16x16f16 v[30:33], v[26:27], v[54:55], v[30:33]
	v_mov_b32_e32 v26, s9
	v_add_co_u32_e32 v77, vcc, s8, v76
	v_addc_co_u32_e32 v78, vcc, 0, v26, vcc
	s_waitcnt vmcnt(3)
	v_mad_i64_i32 v[26:27], s[2:3], v44, s13, 0
	v_mfma_f32_16x16x16f16 v[66:69], v[28:29], v[56:57], v[30:33]
	v_lshlrev_b64 v[70:71], 1, v[26:27]
	v_mfma_f32_16x16x16f16 v[26:29], v[18:19], v[22:23], 0
	v_add_co_u32_e32 v18, vcc, v77, v70
	v_addc_co_u32_e32 v19, vcc, v78, v71, vcc
	global_load_dwordx4 v[46:49], v[18:19], off
	global_load_dwordx4 v[42:45], v[18:19], off offset:16
	s_waitcnt vmcnt(4)
	v_mad_i64_i32 v[18:19], s[2:3], v72, s13, 0
	v_lshlrev_b64 v[72:73], 1, v[18:19]
	v_mfma_f32_16x16x16f16 v[18:21], v[20:21], v[24:25], v[26:29]
	v_add_co_u32_e32 v22, vcc, v77, v72
	v_addc_co_u32_e32 v23, vcc, v78, v73, vcc
	global_load_dwordx4 v[38:41], v[22:23], off
	global_load_dwordx4 v[34:37], v[22:23], off offset:16
	s_waitcnt vmcnt(5)
	v_mad_i64_i32 v[22:23], s[2:3], v74, s13, 0
	v_mfma_f32_16x16x16f16 v[18:21], v[10:11], v[14:15], v[18:21]
	v_lshlrev_b64 v[82:83], 1, v[22:23]
	v_add_co_u32_e32 v10, vcc, v77, v82
	v_addc_co_u32_e32 v11, vcc, v78, v83, vcc
	global_load_dwordx4 v[30:33], v[10:11], off
	global_load_dwordx4 v[26:29], v[10:11], off offset:16
	s_waitcnt vmcnt(6)
	v_mad_i64_i32 v[14:15], s[2:3], v75, s13, 0
	v_mfma_f32_16x16x16f16 v[10:13], v[12:13], v[16:17], v[18:21]
	v_lshlrev_b64 v[80:81], 1, v[14:15]
	v_add_co_u32_e32 v14, vcc, v77, v80
	v_addc_co_u32_e32 v15, vcc, v78, v81, vcc
	global_load_dwordx4 v[22:25], v[14:15], off
	s_nop 2
	global_load_dwordx4 v[18:21], v[14:15], off offset:16
	v_pk_mul_f32 v[78:79], s[10:11], v[60:61] op_sel_hi:[0,1]
	v_mfma_f32_16x16x16f16 v[10:13], v[2:3], v[6:7], v[10:13]
	v_or_b32_e32 v2, 0x800, v76
	v_mov_b32_e32 v3, s9
	v_add_co_u32_e32 v93, vcc, s8, v2
	v_addc_co_u32_e32 v94, vcc, 0, v3, vcc
	v_add_co_u32_e32 v2, vcc, v93, v70
	v_mfma_f32_16x16x16f16 v[10:13], v[4:5], v[8:9], v[10:13]
	v_addc_co_u32_e32 v3, vcc, v94, v71, vcc
	v_add_co_u32_e32 v70, vcc, v93, v72
	v_addc_co_u32_e32 v71, vcc, v94, v73, vcc
	global_load_dwordx4 v[6:9], v[2:3], off
	s_nop 0
	global_load_dwordx4 v[2:5], v[2:3], off offset:16
	v_mfma_f32_16x16x16f16 v[84:87], v[50:51], v[54:55], v[10:13]
	global_load_dwordx4 v[14:17], v[70:71], off
	s_nop 5
	global_load_dwordx4 v[10:13], v[70:71], off offset:16
	v_pk_mul_f32 v[70:71], s[10:11], v[68:69] op_sel_hi:[0,1]
	v_pk_mul_f32 v[72:73], s[10:11], v[66:67] op_sel_hi:[0,1]
	;; [unrolled: 1-line block ×4, first 2 shown]
	v_mfma_f32_16x16x16f16 v[50:53], v[52:53], v[56:57], v[84:87]
	s_nop 7
	s_nop 2
	v_pk_mul_f32 v[68:69], s[10:11], v[50:51] op_sel_hi:[0,1]
	v_and_b32_e32 v50, 0xc0, v0
	v_add_u32_e32 v50, s18, v50
	v_lshl_or_b32 v50, v88, 2, v50
	v_or_b32_e32 v51, 1, v50
	v_pk_mul_f32 v[66:67], s[10:11], v[52:53] op_sel_hi:[0,1]
	v_subrev_u32_e32 v52, s33, v51
	v_add_u32_e32 v54, 1, v52
	v_add_u32_e32 v55, 2, v52
	v_cvt_f32_i32_e32 v53, v52
	v_cvt_f32_i32_e32 v54, v54
	;; [unrolled: 1-line block ×3, first 2 shown]
	v_add_u32_e32 v56, 3, v52
	v_fma_f32 v58, v91, v53, v58
	v_fmac_f32_e32 v59, v91, v54
	v_fma_f32 v78, v91, v55, v78
	v_add_u32_e32 v53, 16, v52
	v_add_u32_e32 v54, 17, v52
	;; [unrolled: 1-line block ×3, first 2 shown]
	v_cvt_f32_i32_e32 v56, v56
	v_cvt_f32_i32_e32 v53, v53
	;; [unrolled: 1-line block ×4, first 2 shown]
	v_fmac_f32_e32 v79, v91, v56
	v_add_u32_e32 v56, 19, v52
	v_fma_f32 v76, v91, v53, v76
	v_fmac_f32_e32 v77, v91, v54
	v_fma_f32 v74, v91, v55, v74
	v_add_u32_e32 v53, 32, v52
	v_add_u32_e32 v54, 33, v52
	;; [unrolled: 1-line block ×3, first 2 shown]
	v_cvt_f32_i32_e32 v56, v56
	v_cvt_f32_i32_e32 v53, v53
	v_cvt_f32_i32_e32 v54, v54
	v_cvt_f32_i32_e32 v55, v55
	v_fmac_f32_e32 v75, v91, v56
	v_add_u32_e32 v56, 35, v52
	v_fma_f32 v72, v91, v53, v72
	v_fmac_f32_e32 v73, v91, v54
	v_fma_f32 v70, v91, v55, v70
	v_add_u32_e32 v53, 48, v52
	v_add_u32_e32 v54, 49, v52
	v_add_u32_e32 v55, 50, v52
	v_add_u32_e32 v52, 51, v52
	v_cvt_f32_i32_e32 v52, v52
	v_cvt_f32_i32_e32 v53, v53
	;; [unrolled: 1-line block ×3, first 2 shown]
	v_cmp_gt_i32_e64 s[30:31], s33, v50
	v_fmac_f32_e32 v67, v91, v52
	v_mov_b32_e32 v52, 0xff7fffff
	v_cmp_gt_i32_e64 s[34:35], s33, v51
	v_fma_f32 v68, v91, v53, v68
	v_cndmask_b32_e64 v53, v52, v58, s[30:31]
	v_cndmask_b32_e64 v51, v52, v59, s[34:35]
	v_fmac_f32_e32 v69, v91, v54
	v_max3_f32 v51, v53, s42, v51
	v_or_b32_e32 v53, 2, v50
	v_or_b32_e32 v54, 3, v50
	v_cmp_gt_i32_e64 s[36:37], s33, v53
	v_cmp_gt_i32_e64 s[38:39], s33, v54
	v_cndmask_b32_e64 v53, v52, v78, s[36:37]
	v_cndmask_b32_e64 v54, v52, v79, s[38:39]
	v_max3_f32 v51, v51, v53, v54
	v_or_b32_e32 v53, 16, v50
	v_or_b32_e32 v54, 17, v50
	v_cmp_gt_i32_e64 s[24:25], s33, v53
	v_cmp_gt_i32_e64 s[26:27], s33, v54
	v_cndmask_b32_e64 v53, v52, v76, s[24:25]
	v_cndmask_b32_e64 v54, v52, v77, s[26:27]
	;; [unrolled: 7-line block ×3, first 2 shown]
	v_cvt_f32_i32_e32 v56, v56
	v_max3_f32 v51, v51, v53, v54
	v_or_b32_e32 v53, 32, v50
	v_or_b32_e32 v54, 33, v50
	v_cmp_gt_i32_e64 s[16:17], s33, v53
	v_cmp_gt_i32_e64 s[18:19], s33, v54
	v_cndmask_b32_e64 v53, v52, v72, s[16:17]
	v_cndmask_b32_e64 v54, v52, v73, s[18:19]
	v_max3_f32 v51, v51, v53, v54
	v_or_b32_e32 v53, 34, v50
	v_or_b32_e32 v54, 35, v50
	v_fmac_f32_e32 v71, v91, v56
	v_cmp_gt_i32_e64 s[12:13], s33, v53
	v_cmp_gt_i32_e64 s[14:15], s33, v54
	v_cndmask_b32_e64 v53, v52, v70, s[12:13]
	v_cndmask_b32_e64 v54, v52, v71, s[14:15]
	v_cvt_f32_i32_e32 v55, v55
	v_max3_f32 v51, v51, v53, v54
	v_or_b32_e32 v53, 48, v50
	v_or_b32_e32 v54, 49, v50
	v_cmp_gt_i32_e64 s[8:9], s33, v53
	v_cmp_gt_i32_e64 s[10:11], s33, v54
	v_cndmask_b32_e64 v53, v52, v68, s[8:9]
	v_cndmask_b32_e64 v54, v52, v69, s[10:11]
	v_max3_f32 v51, v51, v53, v54
	v_or_b32_e32 v53, 50, v50
	v_or_b32_e32 v50, 51, v50
	v_fma_f32 v66, v91, v55, v66
	v_cmp_gt_i32_e32 vcc, s33, v53
	v_cmp_gt_i32_e64 s[2:3], s33, v50
	v_cndmask_b32_e32 v53, v52, v66, vcc
	v_cndmask_b32_e64 v50, v52, v67, s[2:3]
	v_max3_f32 v60, v51, v53, v50
	v_mbcnt_lo_u32_b32 v50, -1, 0
	v_mbcnt_hi_u32_b32 v61, -1, v50
	v_and_b32_e32 v50, 64, v61
	v_add_u32_e32 v62, 64, v50
	v_xor_b32_e32 v50, 32, v61
	v_cmp_lt_i32_e64 s[40:41], v50, v62
	v_cndmask_b32_e64 v50, v61, v50, s[40:41]
	v_lshlrev_b32_e32 v84, 2, v50
	ds_bpermute_b32 v63, v84, v60
	v_add_co_u32_e64 v50, s[40:41], v93, v82
	v_addc_co_u32_e64 v51, s[40:41], v94, v83, s[40:41]
	s_waitcnt lgkmcnt(0)
	v_max_f32_e32 v63, v63, v63
	v_max_f32_e32 v63, v60, v63
	v_xor_b32_e32 v60, 16, v61
	v_cmp_lt_i32_e64 s[40:41], v60, v62
	v_cndmask_b32_e64 v60, v61, v60, s[40:41]
	v_lshlrev_b32_e32 v85, 2, v60
	ds_bpermute_b32 v62, v85, v63
	v_add_co_u32_e64 v60, s[40:41], v93, v80
	v_addc_co_u32_e64 v61, s[40:41], v94, v81, s[40:41]
	s_waitcnt lgkmcnt(0)
	v_max_f32_e32 v62, v62, v62
	v_max_f32_e32 v82, v63, v62
	v_sub_f32_e32 v58, v58, v82
	v_mul_f32_e32 v58, 0x3fb8aa3b, v58
	v_exp_f32_e32 v80, v58
	v_sub_f32_e32 v58, v59, v82
	v_mul_f32_e32 v58, 0x3fb8aa3b, v58
	global_load_dwordx4 v[54:57], v[50:51], off
	s_nop 0
	global_load_dwordx4 v[50:53], v[50:51], off offset:16
	v_exp_f32_e32 v81, v58
	global_load_dwordx4 v[62:65], v[60:61], off
	s_nop 0
	global_load_dwordx4 v[58:61], v[60:61], off offset:16
	v_sub_f32_e32 v78, v78, v82
	v_mul_f32_e32 v78, 0x3fb8aa3b, v78
	v_sub_f32_e32 v79, v79, v82
	v_exp_f32_e32 v78, v78
	v_mul_f32_e32 v79, 0x3fb8aa3b, v79
	v_sub_f32_e32 v76, v76, v82
	v_exp_f32_e32 v79, v79
	v_mul_f32_e32 v76, 0x3fb8aa3b, v76
	v_sub_f32_e32 v77, v77, v82
	v_cndmask_b32_e64 v80, 0, v80, s[30:31]
	v_exp_f32_e32 v76, v76
	v_mul_f32_e32 v77, 0x3fb8aa3b, v77
	v_sub_f32_e32 v74, v74, v82
	v_add_f32_e32 v83, 0, v80
	v_cndmask_b32_e64 v81, 0, v81, s[34:35]
	v_exp_f32_e32 v77, v77
	v_mul_f32_e32 v74, 0x3fb8aa3b, v74
	v_sub_f32_e32 v75, v75, v82
	v_add_f32_e32 v83, v83, v81
	v_cndmask_b32_e64 v78, 0, v78, s[36:37]
	v_exp_f32_e32 v74, v74
	v_mul_f32_e32 v75, 0x3fb8aa3b, v75
	v_sub_f32_e32 v72, v72, v82
	v_add_f32_e32 v83, v83, v78
	v_cndmask_b32_e64 v79, 0, v79, s[38:39]
	v_exp_f32_e32 v75, v75
	v_mul_f32_e32 v72, 0x3fb8aa3b, v72
	v_sub_f32_e32 v73, v73, v82
	v_add_f32_e32 v83, v83, v79
	v_cndmask_b32_e64 v76, 0, v76, s[24:25]
	v_exp_f32_e32 v72, v72
	v_mul_f32_e32 v73, 0x3fb8aa3b, v73
	v_sub_f32_e32 v70, v70, v82
	v_add_f32_e32 v83, v83, v76
	v_cndmask_b32_e64 v77, 0, v77, s[26:27]
	v_exp_f32_e32 v73, v73
	v_mul_f32_e32 v70, 0x3fb8aa3b, v70
	v_sub_f32_e32 v71, v71, v82
	v_add_f32_e32 v83, v83, v77
	v_cndmask_b32_e64 v74, 0, v74, s[20:21]
	v_exp_f32_e32 v70, v70
	v_mul_f32_e32 v71, 0x3fb8aa3b, v71
	v_sub_f32_e32 v68, v68, v82
	v_add_f32_e32 v83, v83, v74
	v_cndmask_b32_e64 v75, 0, v75, s[22:23]
	v_exp_f32_e32 v71, v71
	v_mul_f32_e32 v68, 0x3fb8aa3b, v68
	v_sub_f32_e32 v69, v69, v82
	v_add_f32_e32 v83, v83, v75
	v_cndmask_b32_e64 v72, 0, v72, s[16:17]
	v_exp_f32_e32 v68, v68
	v_mul_f32_e32 v69, 0x3fb8aa3b, v69
	v_sub_f32_e32 v66, v66, v82
	v_add_f32_e32 v83, v83, v72
	v_cndmask_b32_e64 v73, 0, v73, s[18:19]
	v_exp_f32_e32 v69, v69
	v_mul_f32_e32 v66, 0x3fb8aa3b, v66
	v_sub_f32_e32 v67, v67, v82
	v_add_f32_e32 v83, v83, v73
	v_cndmask_b32_e64 v70, 0, v70, s[12:13]
	v_exp_f32_e32 v66, v66
	v_mul_f32_e32 v67, 0x3fb8aa3b, v67
	v_add_f32_e32 v83, v83, v70
	v_cndmask_b32_e64 v71, 0, v71, s[14:15]
	v_exp_f32_e32 v67, v67
	v_add_f32_e32 v83, v83, v71
	v_cndmask_b32_e64 v68, 0, v68, s[8:9]
	v_add_f32_e32 v83, v83, v68
	v_cndmask_b32_e64 v69, 0, v69, s[10:11]
	v_add_f32_e32 v83, v83, v69
	v_cndmask_b32_e32 v66, 0, v66, vcc
	v_add_f32_e32 v83, v83, v66
	v_cndmask_b32_e64 v67, 0, v67, s[2:3]
	v_add_f32_e32 v83, v83, v67
	ds_bpermute_b32 v84, v84, v83
	s_load_dword s9, s[4:5], 0x98
	v_cmp_gt_u32_e32 vcc, 16, v1
	s_waitcnt lgkmcnt(0)
	s_barrier
	v_add_f32_e32 v83, v83, v84
	ds_bpermute_b32 v91, v85, v83
	s_waitcnt lgkmcnt(0)
	s_and_saveexec_b64 s[2:3], vcc
	s_cbranch_execz .LBB123_15
; %bb.14:
	v_add_f32_e32 v83, v83, v91
	v_lshlrev_b32_e32 v84, 2, v92
	ds_write2st64_b32 v84, v82, v83 offset1:1
.LBB123_15:
	s_or_b64 exec, exec, s[2:3]
	v_lshlrev_b32_e32 v83, 2, v90
	s_load_dword s8, s[4:5], 0x94
	s_waitcnt lgkmcnt(0)
	s_barrier
	ds_read2_b32 v[84:85], v83 offset1:16
	ds_read2_b32 v[86:87], v83 offset0:32 offset1:48
	ds_read2_b32 v[92:93], v83 offset0:64 offset1:80
	s_lshl_b32 s9, s9, 2
	s_waitcnt lgkmcnt(2)
	v_max3_f32 v82, v84, s42, v85
	s_waitcnt lgkmcnt(1)
	v_max3_f32 v82, v82, v86, v87
	v_sub_f32_e32 v84, v84, v82
	v_mul_f32_e32 v84, 0x3fb8aa3b, v84
	v_exp_f32_e32 v91, v84
	v_sub_f32_e32 v84, v85, v82
	v_mul_f32_e32 v84, 0x3fb8aa3b, v84
	v_exp_f32_e32 v94, v84
	;; [unrolled: 3-line block ×3, first 2 shown]
	ds_read2_b32 v[84:85], v83 offset0:96 offset1:112
	v_sub_f32_e32 v83, v87, v82
	v_mul_f32_e32 v83, 0x3fb8aa3b, v83
	v_exp_f32_e32 v87, v83
	s_waitcnt lgkmcnt(1)
	v_fma_f32 v83, v91, v92, 0
	v_fmac_f32_e32 v83, v94, v93
	s_waitcnt lgkmcnt(0)
	v_fmac_f32_e32 v83, v86, v84
	v_fmac_f32_e32 v83, v87, v85
	v_add_f32_e32 v84, 0x358637bd, v83
	v_div_scale_f32 v85, s[2:3], v84, v84, 1.0
	v_rcp_f32_e32 v92, v85
	s_barrier
	v_fma_f32 v93, -v85, v92, 1.0
	v_fmac_f32_e32 v92, v93, v92
	v_div_scale_f32 v93, vcc, 1.0, v84, 1.0
	v_mul_f32_e32 v95, v93, v92
	v_fma_f32 v1, -v85, v95, v93
	v_fmac_f32_e32 v95, v1, v92
	v_fma_f32 v1, -v85, v95, v93
	v_div_fmas_f32 v1, v1, v92, v95
	v_cmp_eq_u32_e32 vcc, 1, v89
	v_div_fixup_f32 v1, v1, v84, 1.0
	v_cndmask_b32_e32 v84, v91, v94, vcc
	v_cmp_eq_u32_e32 vcc, 2, v89
	v_cndmask_b32_e32 v84, v84, v86, vcc
	v_cmp_eq_u32_e32 vcc, 3, v89
	v_cndmask_b32_e32 v84, v84, v87, vcc
	v_mul_f32_e32 v84, v84, v1
	v_pk_mul_f32 v[78:79], v[84:85], v[78:79] op_sel_hi:[0,1]
	v_cvt_f16_f32_e32 v78, v78
	v_cvt_f16_f32_e32 v79, v79
	v_pk_mul_f32 v[80:81], v[84:85], v[80:81] op_sel_hi:[0,1]
	v_cvt_f16_f32_e32 v1, v80
	v_cvt_f16_f32_e32 v80, v81
	v_pk_mul_f32 v[74:75], v[84:85], v[74:75] op_sel_hi:[0,1]
	v_pk_mul_f32 v[76:77], v[84:85], v[76:77] op_sel_hi:[0,1]
	v_pack_b32_f16 v81, v78, v79
	v_cvt_f16_f32_e32 v76, v76
	v_cvt_f16_f32_e32 v77, v77
	;; [unrolled: 1-line block ×4, first 2 shown]
	v_pack_b32_f16 v80, v1, v80
	v_lshlrev_b32_e32 v1, 3, v88
	v_lshlrev_b32_e32 v78, 5, v90
	;; [unrolled: 1-line block ×3, first 2 shown]
	v_pk_mul_f32 v[70:71], v[84:85], v[70:71] op_sel_hi:[0,1]
	v_pk_mul_f32 v[72:73], v[84:85], v[72:73] op_sel_hi:[0,1]
	;; [unrolled: 1-line block ×4, first 2 shown]
	v_or3_b32 v74, v74, v78, v1
	v_pack_b32_f16 v76, v76, v77
	v_pack_b32_f16 v77, v79, v75
	v_cvt_f16_f32_e32 v1, v72
	v_cvt_f16_f32_e32 v72, v73
	;; [unrolled: 1-line block ×8, first 2 shown]
	v_pack_b32_f16 v66, v1, v72
	v_pack_b32_f16 v67, v70, v71
	;; [unrolled: 1-line block ×4, first 2 shown]
	v_cmp_gt_u32_e32 vcc, 4, v0
	ds_write2st64_b64 v74, v[80:81], v[76:77] offset1:1
	ds_write2st64_b64 v74, v[66:67], v[68:69] offset0:2 offset1:3
	s_and_saveexec_b64 s[2:3], vcc
	s_cbranch_execz .LBB123_17
; %bb.16:
	v_or_b32_e32 v66, s29, v0
	v_mov_b32_e32 v67, 0
	v_mov_b32_e32 v1, s9
	v_mad_u64_u32 v[68:69], s[10:11], s6, v1, v[66:67]
	v_mov_b32_e32 v66, s28
	s_load_dwordx4 s[12:15], s[4:5], 0x58
	s_mul_i32 s7, s7, s9
	v_mad_u64_u32 v[66:67], s[10:11], v68, s8, v[66:67]
	v_add_u32_e32 v1, s7, v69
	v_mov_b32_e32 v68, v67
	v_mad_u64_u32 v[68:69], s[10:11], v1, s8, v[68:69]
	v_mov_b32_e32 v67, v68
	v_lshlrev_b64 v[66:67], 2, v[66:67]
	s_waitcnt lgkmcnt(0)
	v_mov_b32_e32 v1, s15
	v_add_co_u32_e32 v68, vcc, s14, v66
	v_addc_co_u32_e32 v69, vcc, v1, v67, vcc
	v_mov_b32_e32 v1, s13
	v_add_co_u32_e32 v66, vcc, s12, v66
	v_addc_co_u32_e32 v67, vcc, v1, v67, vcc
	global_store_dword v[68:69], v82, off
	global_store_dword v[66:67], v83, off
.LBB123_17:
	s_or_b64 exec, exec, s[2:3]
	v_lshl_or_b32 v1, v88, 9, v78
	s_waitcnt lgkmcnt(0)
	s_barrier
	ds_read_b128 v[70:73], v1
	ds_read_b128 v[66:69], v1 offset:16
	s_waitcnt vmcnt(15) lgkmcnt(1)
	v_mfma_f32_16x16x16f16 v[76:79], v[46:47], v[70:71], 0
	s_mov_b32 s3, 0
	v_mfma_f32_16x16x16f16 v[46:49], v[48:49], v[72:73], v[76:79]
	s_waitcnt vmcnt(14) lgkmcnt(0)
	v_mfma_f32_16x16x16f16 v[46:49], v[42:43], v[66:67], v[46:49]
	v_mfma_f32_16x16x16f16 v[42:45], v[44:45], v[68:69], v[46:49]
	s_nop 7
	s_nop 1
	ds_read_b128 v[46:49], v1 offset:2048
	ds_read_b128 v[76:79], v1 offset:2064
	s_waitcnt vmcnt(13) lgkmcnt(1)
	v_mfma_f32_16x16x16f16 v[42:45], v[38:39], v[46:47], v[42:45]
	v_mfma_f32_16x16x16f16 v[38:41], v[40:41], v[48:49], v[42:45]
	s_waitcnt vmcnt(12) lgkmcnt(0)
	v_mfma_f32_16x16x16f16 v[38:41], v[34:35], v[76:77], v[38:41]
	v_mfma_f32_16x16x16f16 v[34:37], v[36:37], v[78:79], v[38:41]
	s_nop 7
	s_nop 1
	ds_read_b128 v[38:41], v1 offset:4096
	ds_read_b128 v[42:45], v1 offset:4112
	s_waitcnt vmcnt(11) lgkmcnt(1)
	v_mfma_f32_16x16x16f16 v[34:37], v[30:31], v[38:39], v[34:37]
	v_mfma_f32_16x16x16f16 v[30:33], v[32:33], v[40:41], v[34:37]
	s_waitcnt vmcnt(10) lgkmcnt(0)
	v_mfma_f32_16x16x16f16 v[30:33], v[26:27], v[42:43], v[30:33]
	v_mfma_f32_16x16x16f16 v[26:29], v[28:29], v[44:45], v[30:33]
	s_nop 7
	s_nop 1
	ds_read_b128 v[30:33], v1 offset:6144
	ds_read_b128 v[34:37], v1 offset:6160
	s_waitcnt lgkmcnt(0)
	s_barrier
	s_waitcnt vmcnt(9)
	v_mfma_f32_16x16x16f16 v[26:29], v[22:23], v[30:31], v[26:29]
	v_mfma_f32_16x16x16f16 v[22:25], v[24:25], v[32:33], v[26:29]
	s_waitcnt vmcnt(8)
	v_mfma_f32_16x16x16f16 v[22:25], v[18:19], v[34:35], v[22:25]
	v_mfma_f32_16x16x16f16 v[18:21], v[20:21], v[36:37], v[22:25]
	s_waitcnt vmcnt(7)
	v_mfma_f32_16x16x16f16 v[22:25], v[6:7], v[70:71], 0
	s_nop 7
	s_nop 0
	v_cvt_f16_f32_e32 v1, v18
	v_mfma_f32_16x16x16f16 v[6:9], v[8:9], v[72:73], v[22:25]
	s_waitcnt vmcnt(6)
	v_mfma_f32_16x16x16f16 v[6:9], v[2:3], v[66:67], v[6:9]
	v_mfma_f32_16x16x16f16 v[2:5], v[4:5], v[68:69], v[6:9]
	s_waitcnt vmcnt(5)
	v_mfma_f32_16x16x16f16 v[2:5], v[14:15], v[46:47], v[2:5]
	s_nop 7
	v_cvt_f16_f32_e32 v6, v19
	v_cvt_f16_f32_e32 v7, v20
	;; [unrolled: 1-line block ×3, first 2 shown]
	v_mfma_f32_16x16x16f16 v[2:5], v[16:17], v[48:49], v[2:5]
	s_waitcnt vmcnt(4)
	v_mfma_f32_16x16x16f16 v[2:5], v[10:11], v[76:77], v[2:5]
	v_mfma_f32_16x16x16f16 v[2:5], v[12:13], v[78:79], v[2:5]
	s_waitcnt vmcnt(3)
	v_mfma_f32_16x16x16f16 v[2:5], v[54:55], v[38:39], v[2:5]
	;; [unrolled: 3-line block ×5, first 2 shown]
	v_mfma_f32_16x16x16f16 v[2:5], v[60:61], v[36:37], v[2:5]
	s_nop 7
	s_nop 2
	v_cvt_f16_f32_e32 v9, v2
	v_cvt_f16_f32_e32 v10, v3
	;; [unrolled: 1-line block ×4, first 2 shown]
	v_pack_b32_f16 v2, v1, v6
	v_pack_b32_f16 v3, v7, v8
	;; [unrolled: 1-line block ×4, first 2 shown]
	ds_write2st64_b64 v74, v[2:3], v[4:5] offset1:1
	s_waitcnt lgkmcnt(0)
	s_barrier
	s_and_saveexec_b64 s[10:11], s[0:1]
	s_cbranch_execz .LBB123_19
; %bb.18:
	v_lshlrev_b32_e32 v2, 6, v90
	v_lshlrev_b32_e32 v1, 4, v0
	v_lshl_or_b32 v0, v0, 10, v2
	buffer_load_dword v2, off, s[44:47], 0 offset:8 ; 4-byte Folded Reload
	v_and_b32_e32 v1, 16, v1
	v_and_b32_e32 v0, 0x1a00, v0
	s_load_dwordx2 s[0:1], s[4:5], 0x68
	s_lshl_b32 s7, s8, 7
	s_mul_i32 s2, s9, s6
	s_mul_hi_u32 s5, s2, s7
	s_mul_i32 s4, s2, s7
	s_lshl_b64 s[4:5], s[4:5], 1
	s_waitcnt lgkmcnt(0)
	s_add_u32 s4, s0, s4
	s_addc_u32 s5, s1, s5
	s_lshl_b32 s2, s28, 7
	s_lshl_b64 s[0:1], s[2:3], 1
	s_add_u32 s2, s4, s0
	s_addc_u32 s3, s5, s1
	v_mov_b32_e32 v6, s3
	s_waitcnt vmcnt(0)
	v_or3_b32 v0, v0, v2, v1
	ds_read_b128 v[2:5], v0
	buffer_load_dword v0, off, s[44:47], 0 offset:4 ; 4-byte Folded Reload
	s_waitcnt vmcnt(0)
	v_mad_u64_u32 v[0:1], s[0:1], s7, v0, 0
	v_lshlrev_b64 v[0:1], 1, v[0:1]
	v_add_co_u32_e32 v0, vcc, s2, v0
	v_addc_co_u32_e32 v1, vcc, v6, v1, vcc
	buffer_load_dword v6, off, s[44:47], 0  ; 4-byte Folded Reload
	s_waitcnt vmcnt(0)
	v_add_co_u32_e32 v0, vcc, v0, v6
	v_addc_co_u32_e32 v1, vcc, 0, v1, vcc
	s_waitcnt lgkmcnt(0)
	global_store_dwordx4 v[0:1], v[2:5], off
.LBB123_19:
	s_endpgm
	.section	.rodata,"a",@progbits
	.p2align	6, 0x0
	.amdhsa_kernel _Z39paged_attention_ll4mi_QKV_mfma16_kernelIDF16_DF16_LN4vllm18Fp8KVCacheDataTypeE0EDF16_Li16ELi128ELi256ELb1ELi4EL8MFMAType0EEvPKT_PKT0_S8_ifPKiSA_SA_iPKfiiiPfSD_PS3_PT2_iSC_SC_
		.amdhsa_group_segment_fixed_size 8192
		.amdhsa_private_segment_fixed_size 16
		.amdhsa_kernarg_size 400
		.amdhsa_user_sgpr_count 6
		.amdhsa_user_sgpr_private_segment_buffer 1
		.amdhsa_user_sgpr_dispatch_ptr 0
		.amdhsa_user_sgpr_queue_ptr 0
		.amdhsa_user_sgpr_kernarg_segment_ptr 1
		.amdhsa_user_sgpr_dispatch_id 0
		.amdhsa_user_sgpr_flat_scratch_init 0
		.amdhsa_user_sgpr_kernarg_preload_length 0
		.amdhsa_user_sgpr_kernarg_preload_offset 0
		.amdhsa_user_sgpr_private_segment_size 0
		.amdhsa_uses_dynamic_stack 0
		.amdhsa_system_sgpr_private_segment_wavefront_offset 1
		.amdhsa_system_sgpr_workgroup_id_x 1
		.amdhsa_system_sgpr_workgroup_id_y 1
		.amdhsa_system_sgpr_workgroup_id_z 1
		.amdhsa_system_sgpr_workgroup_info 0
		.amdhsa_system_vgpr_workitem_id 0
		.amdhsa_next_free_vgpr 96
		.amdhsa_next_free_sgpr 48
		.amdhsa_accum_offset 96
		.amdhsa_reserve_vcc 1
		.amdhsa_reserve_flat_scratch 0
		.amdhsa_float_round_mode_32 0
		.amdhsa_float_round_mode_16_64 0
		.amdhsa_float_denorm_mode_32 3
		.amdhsa_float_denorm_mode_16_64 3
		.amdhsa_dx10_clamp 1
		.amdhsa_ieee_mode 1
		.amdhsa_fp16_overflow 0
		.amdhsa_tg_split 0
		.amdhsa_exception_fp_ieee_invalid_op 0
		.amdhsa_exception_fp_denorm_src 0
		.amdhsa_exception_fp_ieee_div_zero 0
		.amdhsa_exception_fp_ieee_overflow 0
		.amdhsa_exception_fp_ieee_underflow 0
		.amdhsa_exception_fp_ieee_inexact 0
		.amdhsa_exception_int_div_zero 0
	.end_amdhsa_kernel
	.section	.text._Z39paged_attention_ll4mi_QKV_mfma16_kernelIDF16_DF16_LN4vllm18Fp8KVCacheDataTypeE0EDF16_Li16ELi128ELi256ELb1ELi4EL8MFMAType0EEvPKT_PKT0_S8_ifPKiSA_SA_iPKfiiiPfSD_PS3_PT2_iSC_SC_,"axG",@progbits,_Z39paged_attention_ll4mi_QKV_mfma16_kernelIDF16_DF16_LN4vllm18Fp8KVCacheDataTypeE0EDF16_Li16ELi128ELi256ELb1ELi4EL8MFMAType0EEvPKT_PKT0_S8_ifPKiSA_SA_iPKfiiiPfSD_PS3_PT2_iSC_SC_,comdat
.Lfunc_end123:
	.size	_Z39paged_attention_ll4mi_QKV_mfma16_kernelIDF16_DF16_LN4vllm18Fp8KVCacheDataTypeE0EDF16_Li16ELi128ELi256ELb1ELi4EL8MFMAType0EEvPKT_PKT0_S8_ifPKiSA_SA_iPKfiiiPfSD_PS3_PT2_iSC_SC_, .Lfunc_end123-_Z39paged_attention_ll4mi_QKV_mfma16_kernelIDF16_DF16_LN4vllm18Fp8KVCacheDataTypeE0EDF16_Li16ELi128ELi256ELb1ELi4EL8MFMAType0EEvPKT_PKT0_S8_ifPKiSA_SA_iPKfiiiPfSD_PS3_PT2_iSC_SC_
                                        ; -- End function
	.section	.AMDGPU.csdata,"",@progbits
; Kernel info:
; codeLenInByte = 4864
; NumSgprs: 52
; NumVgprs: 96
; NumAgprs: 0
; TotalNumVgprs: 96
; ScratchSize: 16
; MemoryBound: 0
; FloatMode: 240
; IeeeMode: 1
; LDSByteSize: 8192 bytes/workgroup (compile time only)
; SGPRBlocks: 6
; VGPRBlocks: 11
; NumSGPRsForWavesPerEU: 52
; NumVGPRsForWavesPerEU: 96
; AccumOffset: 96
; Occupancy: 5
; WaveLimiterHint : 1
; COMPUTE_PGM_RSRC2:SCRATCH_EN: 1
; COMPUTE_PGM_RSRC2:USER_SGPR: 6
; COMPUTE_PGM_RSRC2:TRAP_HANDLER: 0
; COMPUTE_PGM_RSRC2:TGID_X_EN: 1
; COMPUTE_PGM_RSRC2:TGID_Y_EN: 1
; COMPUTE_PGM_RSRC2:TGID_Z_EN: 1
; COMPUTE_PGM_RSRC2:TIDIG_COMP_CNT: 0
; COMPUTE_PGM_RSRC3_GFX90A:ACCUM_OFFSET: 23
; COMPUTE_PGM_RSRC3_GFX90A:TG_SPLIT: 0
	.section	.text._Z35paged_attention_ll4mi_reduce_kernelIDF16_DF16_Li128ELi128ELi256ELi9EEvPT0_PKfS3_PKT_PKiS8_iS3_,"axG",@progbits,_Z35paged_attention_ll4mi_reduce_kernelIDF16_DF16_Li128ELi128ELi256ELi9EEvPT0_PKfS3_PKT_PKiS8_iS3_,comdat
	.protected	_Z35paged_attention_ll4mi_reduce_kernelIDF16_DF16_Li128ELi128ELi256ELi9EEvPT0_PKfS3_PKT_PKiS8_iS3_ ; -- Begin function _Z35paged_attention_ll4mi_reduce_kernelIDF16_DF16_Li128ELi128ELi256ELi9EEvPT0_PKfS3_PKT_PKiS8_iS3_
	.globl	_Z35paged_attention_ll4mi_reduce_kernelIDF16_DF16_Li128ELi128ELi256ELi9EEvPT0_PKfS3_PKT_PKiS8_iS3_
	.p2align	8
	.type	_Z35paged_attention_ll4mi_reduce_kernelIDF16_DF16_Li128ELi128ELi256ELi9EEvPT0_PKfS3_PKT_PKiS8_iS3_,@function
_Z35paged_attention_ll4mi_reduce_kernelIDF16_DF16_Li128ELi128ELi256ELi9EEvPT0_PKfS3_PKT_PKiS8_iS3_: ; @_Z35paged_attention_ll4mi_reduce_kernelIDF16_DF16_Li128ELi128ELi256ELi9EEvPT0_PKfS3_PKT_PKiS8_iS3_
; %bb.0:
	s_load_dwordx2 s[34:35], s[4:5], 0x28
	s_mov_b32 s22, s7
	s_mov_b64 s[0:1], 0
	s_waitcnt lgkmcnt(0)
	s_cmp_lg_u64 s[34:35], 0
	s_cselect_b64 s[36:37], -1, 0
	s_and_b64 vcc, exec, s[36:37]
	s_cbranch_vccz .LBB124_23
; %bb.1:
	s_add_i32 s2, s22, 1
	s_mov_b32 s3, 0
	s_lshl_b64 s[8:9], s[2:3], 2
	s_add_u32 s8, s34, s8
	s_mov_b32 s23, s3
	s_addc_u32 s9, s35, s9
	s_lshl_b64 s[2:3], s[22:23], 2
	s_add_u32 s2, s34, s2
	s_addc_u32 s3, s35, s3
	s_load_dword s7, s[8:9], 0x0
	s_load_dword s10, s[2:3], 0x0
	s_waitcnt lgkmcnt(0)
	s_sub_i32 s2, s7, s10
	s_cmp_eq_u32 s2, 1
	s_cselect_b64 s[2:3], -1, 0
	s_andn2_b64 vcc, exec, s[0:1]
	s_cbranch_vccnz .LBB124_3
.LBB124_2:
	s_mov_b32 s23, 0
	s_mov_b64 s[2:3], -1
.LBB124_3:
	s_andn2_b64 vcc, exec, s[2:3]
	s_cbranch_vccz .LBB124_5
; %bb.4:
	s_endpgm
.LBB124_5:
	s_load_dwordx4 s[24:27], s[4:5], 0x18
	s_load_dword s8, s[4:5], 0x30
	s_lshl_b64 s[38:39], s[22:23], 2
	v_cmp_lt_u32_e32 vcc, 63, v0
	s_waitcnt lgkmcnt(0)
	s_add_u32 s0, s26, s38
	s_addc_u32 s1, s27, s39
	s_load_dword s46, s[0:1], 0x0
	s_load_dword s7, s[4:5], 0x40
	s_mul_i32 s26, s6, s8
	s_mul_i32 s2, s22, s8
	s_waitcnt lgkmcnt(0)
	s_add_i32 s3, s46, 0xff
	s_ashr_i32 s0, s3, 31
	s_lshr_b32 s0, s0, 24
	s_add_i32 s3, s3, s0
	s_and_saveexec_b64 s[0:1], vcc
	s_xor_b64 s[0:1], exec, s[0:1]
	s_or_saveexec_b64 s[40:41], s[0:1]
	s_ashr_i32 s33, s3, 8
	v_mov_b32_e32 v1, s26
	s_mul_i32 s42, s2, s7
	s_xor_b64 exec, exec, s[40:41]
	s_cbranch_execz .LBB124_9
; %bb.6:
	s_add_i32 s0, s33, -1
	v_or_b32_e32 v3, 64, v0
	v_mov_b32_e32 v1, s0
	v_cmp_gt_u32_e64 s[16:17], s33, v3
	v_cndmask_b32_e64 v4, v1, v3, s[16:17]
	v_or_b32_e32 v3, 0x80, v0
	v_cmp_gt_u32_e64 s[14:15], s33, v3
	v_cndmask_b32_e64 v6, v1, v3, s[14:15]
	v_or_b32_e32 v3, 0xc0, v0
	;; [unrolled: 3-line block ×4, first 2 shown]
	s_load_dwordx4 s[28:31], s[4:5], 0x8
	v_cmp_gt_u32_e64 s[8:9], s33, v3
	v_cndmask_b32_e64 v12, v1, v3, s[8:9]
	v_or_b32_e32 v3, 0x180, v0
	v_cmp_gt_u32_e64 s[2:3], s33, v3
	s_mov_b32 s43, 0
	v_cndmask_b32_e64 v14, v1, v3, s[2:3]
	v_or_b32_e32 v3, 0x1c0, v0
	v_cmp_gt_u32_e64 s[0:1], s33, v3
	s_lshl_b64 s[44:45], s[42:43], 2
	s_mov_b32 s27, s43
	v_cmp_gt_u32_e64 s[18:19], s33, v0
	v_cndmask_b32_e64 v16, v1, v3, s[0:1]
	v_or_b32_e32 v3, 0x200, v0
	s_waitcnt lgkmcnt(0)
	s_add_u32 s20, s30, s44
	v_cndmask_b32_e64 v2, v1, v0, s[18:19]
	v_cmp_gt_u32_e32 vcc, s33, v3
	s_addc_u32 s21, s31, s45
	s_lshl_b64 s[30:31], s[26:27], 2
	v_cndmask_b32_e32 v18, v1, v3, vcc
	s_add_u32 s27, s20, s30
	v_ashrrev_i32_e32 v3, 31, v2
	s_addc_u32 s43, s21, s31
	v_lshlrev_b64 v[2:3], 2, v[2:3]
	v_mov_b32_e32 v1, s43
	v_add_co_u32_e64 v20, s[20:21], s27, v2
	v_ashrrev_i32_e32 v5, 31, v4
	v_addc_co_u32_e64 v21, s[20:21], v1, v3, s[20:21]
	v_lshlrev_b64 v[4:5], 2, v[4:5]
	v_add_co_u32_e64 v22, s[20:21], s27, v4
	v_ashrrev_i32_e32 v7, 31, v6
	v_addc_co_u32_e64 v23, s[20:21], v1, v5, s[20:21]
	v_lshlrev_b64 v[6:7], 2, v[6:7]
	;; [unrolled: 4-line block ×8, first 2 shown]
	global_load_dword v1, v[20:21], off
	global_load_dword v36, v[22:23], off
	global_load_dword v37, v[24:25], off
	global_load_dword v38, v[26:27], off
	global_load_dword v39, v[28:29], off
	global_load_dword v40, v[30:31], off
	global_load_dword v41, v[32:33], off
	global_load_dword v42, v[34:35], off
	v_mov_b32_e32 v21, s43
	v_add_co_u32_e64 v20, s[20:21], s27, v18
	v_addc_co_u32_e64 v21, s[20:21], v21, v19, s[20:21]
	global_load_dword v20, v[20:21], off
	v_mbcnt_lo_u32_b32 v22, -1, 0
	v_mbcnt_hi_u32_b32 v22, -1, v22
	v_and_b32_e32 v23, 64, v22
	v_add_u32_e32 v23, 64, v23
	v_xor_b32_e32 v24, 32, v22
	v_cmp_lt_i32_e64 s[20:21], v24, v23
	v_cndmask_b32_e64 v24, v22, v24, s[20:21]
	v_lshlrev_b32_e32 v24, 2, v24
	s_waitcnt vmcnt(6)
	v_max3_f32 v21, v1, v36, v37
	s_waitcnt vmcnt(4)
	v_max3_f32 v21, v21, v38, v39
	;; [unrolled: 2-line block ×4, first 2 shown]
	ds_bpermute_b32 v25, v24, v21
	s_waitcnt lgkmcnt(0)
	v_max_f32_e32 v25, v25, v25
	v_max_f32_e32 v21, v21, v25
	v_xor_b32_e32 v25, 16, v22
	v_cmp_lt_i32_e64 s[20:21], v25, v23
	v_cndmask_b32_e64 v25, v22, v25, s[20:21]
	v_lshlrev_b32_e32 v25, 2, v25
	ds_bpermute_b32 v26, v25, v21
	s_waitcnt lgkmcnt(0)
	v_max_f32_e32 v26, v26, v26
	v_max_f32_e32 v21, v21, v26
	v_xor_b32_e32 v26, 8, v22
	v_cmp_lt_i32_e64 s[20:21], v26, v23
	v_cndmask_b32_e64 v26, v22, v26, s[20:21]
	v_lshlrev_b32_e32 v26, 2, v26
	;; [unrolled: 8-line block ×4, first 2 shown]
	ds_bpermute_b32 v29, v28, v21
	s_waitcnt lgkmcnt(0)
	v_max_f32_e32 v29, v29, v29
	v_max_f32_e32 v21, v21, v29
	v_xor_b32_e32 v29, 1, v22
	v_cmp_lt_i32_e64 s[20:21], v29, v23
	v_cndmask_b32_e64 v22, v22, v29, s[20:21]
	s_add_u32 s20, s28, s44
	s_addc_u32 s21, s29, s45
	s_add_u32 s27, s20, s30
	s_addc_u32 s28, s21, s31
	v_mov_b32_e32 v23, s28
	v_add_co_u32_e64 v2, s[20:21], s27, v2
	v_addc_co_u32_e64 v3, s[20:21], v23, v3, s[20:21]
	global_load_dword v23, v[2:3], off
	v_mov_b32_e32 v3, s28
	v_add_co_u32_e64 v2, s[20:21], s27, v4
	v_addc_co_u32_e64 v3, s[20:21], v3, v5, s[20:21]
	v_mov_b32_e32 v5, s28
	v_add_co_u32_e64 v4, s[20:21], s27, v6
	v_addc_co_u32_e64 v5, s[20:21], v5, v7, s[20:21]
	global_load_dword v30, v[2:3], off
	global_load_dword v31, v[4:5], off
	v_mov_b32_e32 v3, s28
	v_add_co_u32_e64 v2, s[20:21], s27, v8
	v_addc_co_u32_e64 v3, s[20:21], v3, v9, s[20:21]
	v_mov_b32_e32 v5, s28
	v_add_co_u32_e64 v4, s[20:21], s27, v10
	v_addc_co_u32_e64 v5, s[20:21], v5, v11, s[20:21]
	;; [unrolled: 3-line block ×5, first 2 shown]
	global_load_dword v12, v[2:3], off
	global_load_dword v13, v[4:5], off
	;; [unrolled: 1-line block ×5, first 2 shown]
	v_lshlrev_b32_e32 v22, 2, v22
	ds_bpermute_b32 v29, v22, v21
	v_mov_b32_e32 v3, s28
	s_mov_b32 s28, 0x3fb8aa3b
	s_mov_b32 s29, 0x42b17218
	s_waitcnt lgkmcnt(0)
	v_max_f32_e32 v2, v29, v29
	v_max_f32_e32 v4, v21, v2
	v_sub_f32_e32 v1, v1, v4
	v_mul_f32_e32 v2, 0x3fb8aa3b, v1
	v_fma_f32 v5, v1, s28, -v2
	v_rndne_f32_e32 v6, v2
	v_fmac_f32_e32 v5, 0x32a5705f, v1
	v_sub_f32_e32 v2, v2, v6
	v_add_f32_e32 v2, v2, v5
	v_exp_f32_e32 v5, v2
	v_cvt_i32_f32_e32 v6, v6
	v_add_co_u32_e64 v2, s[20:21], s27, v18
	v_addc_co_u32_e64 v3, s[20:21], v3, v19, s[20:21]
	global_load_dword v2, v[2:3], off
	v_ldexp_f32 v3, v5, v6
	v_sub_f32_e32 v6, v36, v4
	v_mul_f32_e32 v7, 0x3fb8aa3b, v6
	v_fma_f32 v8, v6, s28, -v7
	v_rndne_f32_e32 v9, v7
	v_fmac_f32_e32 v8, 0x32a5705f, v6
	v_sub_f32_e32 v7, v7, v9
	v_add_f32_e32 v7, v7, v8
	v_exp_f32_e32 v7, v7
	v_cvt_i32_f32_e32 v8, v9
	s_mov_b32 s27, 0xc2ce8ed0
	v_cmp_ngt_f32_e64 s[20:21], s27, v1
	v_cndmask_b32_e64 v3, 0, v3, s[20:21]
	v_mov_b32_e32 v5, 0x7f800000
	v_cmp_nlt_f32_e64 s[20:21], s29, v1
	v_cndmask_b32_e64 v1, v5, v3, s[20:21]
	v_ldexp_f32 v3, v7, v8
	v_sub_f32_e32 v7, v37, v4
	v_mul_f32_e32 v8, 0x3fb8aa3b, v7
	v_fma_f32 v9, v7, s28, -v8
	v_rndne_f32_e32 v10, v8
	v_fmac_f32_e32 v9, 0x32a5705f, v7
	v_sub_f32_e32 v8, v8, v10
	v_add_f32_e32 v8, v8, v9
	v_exp_f32_e32 v8, v8
	v_cvt_i32_f32_e32 v9, v10
	v_cndmask_b32_e64 v1, 0, v1, s[18:19]
	v_cmp_ngt_f32_e64 s[18:19], s27, v6
	v_cndmask_b32_e64 v3, 0, v3, s[18:19]
	v_cmp_nlt_f32_e64 s[18:19], s29, v6
	v_ldexp_f32 v6, v8, v9
	v_sub_f32_e32 v8, v38, v4
	v_mul_f32_e32 v9, 0x3fb8aa3b, v8
	v_fma_f32 v10, v8, s28, -v9
	v_rndne_f32_e32 v11, v9
	v_fmac_f32_e32 v10, 0x32a5705f, v8
	v_sub_f32_e32 v9, v9, v11
	v_add_f32_e32 v9, v9, v10
	v_exp_f32_e32 v9, v9
	v_cvt_i32_f32_e32 v10, v11
	v_cndmask_b32_e64 v3, v5, v3, s[18:19]
	v_cndmask_b32_e64 v3, 0, v3, s[16:17]
	v_cmp_ngt_f32_e64 s[16:17], s27, v7
	v_cndmask_b32_e64 v6, 0, v6, s[16:17]
	v_cmp_nlt_f32_e64 s[16:17], s29, v7
	v_ldexp_f32 v7, v9, v10
	v_sub_f32_e32 v9, v39, v4
	v_mul_f32_e32 v10, 0x3fb8aa3b, v9
	v_fma_f32 v11, v9, s28, -v10
	v_rndne_f32_e32 v17, v10
	v_fmac_f32_e32 v11, 0x32a5705f, v9
	v_sub_f32_e32 v10, v10, v17
	v_add_f32_e32 v10, v10, v11
	v_exp_f32_e32 v10, v10
	v_cvt_i32_f32_e32 v11, v17
	v_cndmask_b32_e64 v6, v5, v6, s[16:17]
	v_cndmask_b32_e64 v6, 0, v6, s[14:15]
	v_cmp_ngt_f32_e64 s[14:15], s27, v8
	v_cndmask_b32_e64 v7, 0, v7, s[14:15]
	v_cmp_nlt_f32_e64 s[14:15], s29, v8
	v_cndmask_b32_e64 v7, v5, v7, s[14:15]
	v_ldexp_f32 v8, v10, v11
	v_sub_f32_e32 v10, v40, v4
	v_cndmask_b32_e64 v7, 0, v7, s[12:13]
	v_mul_f32_e32 v11, 0x3fb8aa3b, v10
	s_waitcnt vmcnt(5)
	v_mul_f32_e32 v7, v12, v7
	v_fma_f32 v12, v10, s28, -v11
	v_rndne_f32_e32 v17, v11
	v_fmac_f32_e32 v12, 0x32a5705f, v10
	v_sub_f32_e32 v11, v11, v17
	v_add_f32_e32 v11, v11, v12
	v_exp_f32_e32 v11, v11
	v_cvt_i32_f32_e32 v12, v17
	v_cmp_ngt_f32_e64 s[12:13], s27, v9
	v_cndmask_b32_e64 v8, 0, v8, s[12:13]
	v_cmp_nlt_f32_e64 s[12:13], s29, v9
	v_cndmask_b32_e64 v8, v5, v8, s[12:13]
	v_ldexp_f32 v9, v11, v12
	v_sub_f32_e32 v11, v41, v4
	v_cndmask_b32_e64 v8, 0, v8, s[10:11]
	v_mul_f32_e32 v12, 0x3fb8aa3b, v11
	s_waitcnt vmcnt(4)
	v_mul_f32_e32 v8, v13, v8
	v_fma_f32 v13, v11, s28, -v12
	v_rndne_f32_e32 v17, v12
	v_fmac_f32_e32 v13, 0x32a5705f, v11
	v_sub_f32_e32 v12, v12, v17
	v_add_f32_e32 v12, v12, v13
	v_exp_f32_e32 v12, v12
	v_cvt_i32_f32_e32 v13, v17
	;; [unrolled: 17-line block ×3, first 2 shown]
	v_cmp_ngt_f32_e64 s[8:9], s27, v11
	v_sub_f32_e32 v4, v20, v4
	v_cndmask_b32_e64 v10, 0, v10, s[8:9]
	v_cmp_nlt_f32_e64 s[8:9], s29, v11
	v_ldexp_f32 v11, v13, v14
	v_mul_f32_e32 v13, 0x3fb8aa3b, v4
	v_fma_f32 v14, v4, s28, -v13
	v_rndne_f32_e32 v17, v13
	v_fmac_f32_e32 v14, 0x32a5705f, v4
	v_sub_f32_e32 v13, v13, v17
	v_add_f32_e32 v13, v13, v14
	v_cndmask_b32_e64 v10, v5, v10, s[8:9]
	v_exp_f32_e32 v13, v13
	v_cvt_i32_f32_e32 v14, v17
	v_cndmask_b32_e64 v10, 0, v10, s[2:3]
	v_cmp_ngt_f32_e64 s[2:3], s27, v12
	v_cndmask_b32_e64 v11, 0, v11, s[2:3]
	v_cmp_nlt_f32_e64 s[2:3], s29, v12
	v_cndmask_b32_e64 v11, v5, v11, s[2:3]
	v_cndmask_b32_e64 v11, 0, v11, s[0:1]
	v_ldexp_f32 v12, v13, v14
	v_cmp_ngt_f32_e64 s[0:1], s27, v4
	v_mul_f32_e32 v1, v23, v1
	v_mul_f32_e32 v3, v30, v3
	v_cndmask_b32_e64 v12, 0, v12, s[0:1]
	v_cmp_nlt_f32_e64 s[0:1], s29, v4
	v_mul_f32_e32 v6, v31, v6
	v_cndmask_b32_e64 v4, v5, v12, s[0:1]
	v_add_f32_e32 v5, v1, v3
	v_add_f32_e32 v5, v5, v6
	;; [unrolled: 1-line block ×5, first 2 shown]
	s_waitcnt vmcnt(2)
	v_fmac_f32_e32 v5, v15, v10
	v_cndmask_b32_e32 v4, 0, v4, vcc
	s_waitcnt vmcnt(1)
	v_fmac_f32_e32 v5, v16, v11
	s_waitcnt vmcnt(0)
	v_fmac_f32_e32 v5, v2, v4
	ds_bpermute_b32 v12, v24, v5
	v_lshlrev_b32_e32 v13, 2, v0
	ds_write2st64_b32 v13, v1, v3 offset1:1
	ds_write2st64_b32 v13, v6, v7 offset0:2 offset1:3
	v_mul_f32_e32 v4, v2, v4
	v_cmp_eq_u32_e32 vcc, 0, v0
	s_waitcnt lgkmcnt(2)
	v_add_f32_e32 v5, v5, v12
	ds_bpermute_b32 v12, v25, v5
	v_mul_f32_e32 v10, v15, v10
	v_mul_f32_e32 v11, v16, v11
	ds_write2st64_b32 v13, v8, v9 offset0:4 offset1:5
	ds_write2st64_b32 v13, v10, v11 offset0:6 offset1:7
	ds_write_b32 v13, v4 offset:2048
	s_waitcnt lgkmcnt(3)
	v_add_f32_e32 v5, v5, v12
	ds_bpermute_b32 v12, v26, v5
	s_waitcnt lgkmcnt(0)
	v_add_f32_e32 v5, v5, v12
	ds_bpermute_b32 v12, v27, v5
	;; [unrolled: 3-line block ×4, first 2 shown]
	s_and_saveexec_b64 s[0:1], vcc
	s_cbranch_execz .LBB124_8
; %bb.7:
	s_waitcnt lgkmcnt(0)
	v_add_f32_e32 v1, v1, v2
	v_mov_b32_e32 v2, 0
	ds_write_b32 v2, v1 offset:2304
.LBB124_8:
	s_or_b64 exec, exec, s[0:1]
	v_mov_b32_e32 v1, s26
.LBB124_9:
	s_or_b64 exec, exec, s[40:41]
	s_lshl_b32 s0, s42, 7
	s_mov_b32 s1, 0
	s_lshl_b64 s[0:1], s[0:1], 1
	s_add_u32 s0, s24, s0
	s_addc_u32 s1, s25, s1
	s_lshl_b32 s10, s33, 7
	s_waitcnt lgkmcnt(0)
	v_lshlrev_b32_e32 v2, 7, v1
	v_mov_b32_e32 v3, 0
	s_add_i32 s11, s10, 0xffffff80
	v_lshlrev_b64 v[4:5], 1, v[2:3]
	s_cmp_lt_i32 s46, 1
	v_mov_b32_e32 v1, s1
	v_add_co_u32_e32 v2, vcc, s0, v4
	s_cselect_b32 s0, s11, 0
	v_addc_co_u32_e32 v4, vcc, v1, v5, vcc
	v_lshlrev_b32_e32 v0, 1, v0
	s_ashr_i32 s1, s0, 31
	v_add_co_u32_e32 v1, vcc, v2, v0
	s_lshl_b64 s[0:1], s[0:1], 1
	v_addc_co_u32_e32 v2, vcc, 0, v4, vcc
	s_cmpk_lt_i32 s46, 0x101
	v_add_co_u32_e32 v12, vcc, s0, v1
	s_cselect_b32 s0, s11, 0x80
	v_mov_b32_e32 v4, s1
	s_ashr_i32 s1, s0, 31
	s_lshl_b64 s[0:1], s[0:1], 1
	v_addc_co_u32_e32 v13, vcc, v2, v4, vcc
	s_cmpk_lt_i32 s46, 0x201
	v_add_co_u32_e32 v14, vcc, s0, v1
	s_cselect_b32 s0, s11, 0x100
	v_mov_b32_e32 v4, s1
	s_ashr_i32 s1, s0, 31
	;; [unrolled: 7-line block ×8, first 2 shown]
	s_lshl_b64 s[0:1], s[0:1], 1
	v_addc_co_u32_e32 v27, vcc, v2, v4, vcc
	s_cmpk_lt_i32 s46, 0x901
	global_load_ushort v4, v[12:13], off
	global_load_ushort v5, v[14:15], off
	;; [unrolled: 1-line block ×8, first 2 shown]
	v_add_co_u32_e32 v20, vcc, s0, v1
	s_cselect_b32 s0, s11, 0x480
	v_mov_b32_e32 v12, s1
	s_ashr_i32 s1, s0, 31
	s_lshl_b64 s[0:1], s[0:1], 1
	v_addc_co_u32_e32 v21, vcc, v2, v12, vcc
	s_cmpk_lt_i32 s46, 0xa01
	v_add_co_u32_e32 v22, vcc, s0, v1
	s_cselect_b32 s0, s11, 0x500
	v_mov_b32_e32 v12, s1
	s_ashr_i32 s1, s0, 31
	s_lshl_b64 s[0:1], s[0:1], 1
	v_addc_co_u32_e32 v23, vcc, v2, v12, vcc
	s_cmpk_lt_i32 s46, 0xb01
	;; [unrolled: 7-line block ×6, first 2 shown]
	v_add_co_u32_e32 v32, vcc, s0, v1
	s_cselect_b32 s0, s11, 0x780
	v_mov_b32_e32 v12, s1
	s_ashr_i32 s1, s0, 31
	v_addc_co_u32_e32 v33, vcc, v2, v12, vcc
	s_lshl_b64 s[0:1], s[0:1], 1
	v_mov_b32_e32 v12, s1
	v_add_co_u32_e32 v34, vcc, s0, v1
	v_addc_co_u32_e32 v35, vcc, v2, v12, vcc
	global_load_ushort v12, v[20:21], off
	global_load_ushort v13, v[22:23], off
	;; [unrolled: 1-line block ×8, first 2 shown]
	s_cmpk_gt_i32 s46, 0x1000
	s_cselect_b64 s[8:9], -1, 0
	s_cmpk_lt_i32 s46, 0x1001
	v_mov_b32_e32 v36, 0
	v_mov_b32_e32 v37, 0
	;; [unrolled: 1-line block ×48, first 2 shown]
	s_barrier
	s_cbranch_scc1 .LBB124_12
; %bb.10:
	s_cmpk_lt_u32 s46, 0x1101
	s_cselect_b32 s0, s11, 0x880
	s_ashr_i32 s1, s0, 31
	v_add_co_u32_e32 v28, vcc, 0x1000, v1
	s_lshl_b64 s[0:1], s[0:1], 1
	v_addc_co_u32_e32 v29, vcc, 0, v2, vcc
	s_cmpk_lt_u32 s46, 0x1201
	v_add_co_u32_e32 v30, vcc, s0, v1
	s_cselect_b32 s0, s11, 0x900
	v_mov_b32_e32 v20, s1
	s_ashr_i32 s1, s0, 31
	s_lshl_b64 s[0:1], s[0:1], 1
	v_addc_co_u32_e32 v31, vcc, v2, v20, vcc
	s_cmpk_lt_u32 s46, 0x1301
	v_add_co_u32_e32 v32, vcc, s0, v1
	s_cselect_b32 s0, s11, 0x980
	v_mov_b32_e32 v20, s1
	s_ashr_i32 s1, s0, 31
	;; [unrolled: 7-line block ×7, first 2 shown]
	s_lshl_b64 s[0:1], s[0:1], 1
	v_addc_co_u32_e32 v43, vcc, v2, v20, vcc
	s_cmpk_lt_u32 s46, 0x1901
	global_load_ushort v27, v[28:29], off
	global_load_ushort v26, v[30:31], off
	global_load_ushort v25, v[32:33], off
	global_load_ushort v24, v[34:35], off
	global_load_ushort v23, v[36:37], off
	global_load_ushort v22, v[38:39], off
	global_load_ushort v20, v[40:41], off
	global_load_ushort v21, v[42:43], off
	v_add_co_u32_e32 v36, vcc, s0, v1
	s_cselect_b32 s0, s11, 0xc80
	v_mov_b32_e32 v28, s1
	s_ashr_i32 s1, s0, 31
	s_lshl_b64 s[0:1], s[0:1], 1
	v_addc_co_u32_e32 v37, vcc, v2, v28, vcc
	s_cmpk_lt_u32 s46, 0x1a01
	v_add_co_u32_e32 v38, vcc, s0, v1
	s_cselect_b32 s0, s11, 0xd00
	v_mov_b32_e32 v28, s1
	s_ashr_i32 s1, s0, 31
	s_lshl_b64 s[0:1], s[0:1], 1
	v_addc_co_u32_e32 v39, vcc, v2, v28, vcc
	s_cmpk_lt_u32 s46, 0x1b01
	;; [unrolled: 7-line block ×6, first 2 shown]
	v_add_co_u32_e32 v48, vcc, s0, v1
	s_cselect_b32 s0, s11, 0xf80
	v_mov_b32_e32 v28, s1
	s_ashr_i32 s1, s0, 31
	v_addc_co_u32_e32 v49, vcc, v2, v28, vcc
	s_lshl_b64 s[0:1], s[0:1], 1
	v_mov_b32_e32 v28, s1
	v_add_co_u32_e32 v50, vcc, s0, v1
	v_addc_co_u32_e32 v51, vcc, v2, v28, vcc
	global_load_ushort v35, v[36:37], off
	global_load_ushort v34, v[38:39], off
	global_load_ushort v33, v[40:41], off
	global_load_ushort v32, v[42:43], off
	global_load_ushort v31, v[44:45], off
	global_load_ushort v30, v[46:47], off
	global_load_ushort v29, v[48:49], off
	global_load_ushort v28, v[50:51], off
	s_cmpk_lt_u32 s46, 0x2001
	v_mov_b32_e32 v67, 0
	v_mov_b32_e32 v66, 0
	;; [unrolled: 1-line block ×32, first 2 shown]
	s_cbranch_scc1 .LBB124_12
; %bb.11:
	s_cmpk_lt_u32 s46, 0x2101
	s_cselect_b32 s0, s11, 0x1080
	s_ashr_i32 s1, s0, 31
	v_add_co_u32_e32 v36, vcc, 0x2000, v1
	s_lshl_b64 s[0:1], s[0:1], 1
	v_addc_co_u32_e32 v37, vcc, 0, v2, vcc
	s_cmpk_lt_u32 s46, 0x2201
	v_add_co_u32_e32 v38, vcc, s0, v1
	s_cselect_b32 s0, s11, 0x1100
	v_mov_b32_e32 v39, s1
	s_ashr_i32 s1, s0, 31
	s_lshl_b64 s[0:1], s[0:1], 1
	v_addc_co_u32_e32 v39, vcc, v2, v39, vcc
	s_cmpk_lt_u32 s46, 0x2301
	v_add_co_u32_e32 v40, vcc, s0, v1
	s_cselect_b32 s0, s11, 0x1180
	v_mov_b32_e32 v41, s1
	s_ashr_i32 s1, s0, 31
	s_lshl_b64 s[0:1], s[0:1], 1
	v_addc_co_u32_e32 v41, vcc, v2, v41, vcc
	s_cmpk_lt_u32 s46, 0x2401
	v_add_co_u32_e32 v42, vcc, s0, v1
	s_cselect_b32 s0, s11, 0x1200
	v_mov_b32_e32 v43, s1
	s_ashr_i32 s1, s0, 31
	s_lshl_b64 s[0:1], s[0:1], 1
	v_addc_co_u32_e32 v43, vcc, v2, v43, vcc
	s_cmpk_lt_u32 s46, 0x2501
	v_add_co_u32_e32 v44, vcc, s0, v1
	s_cselect_b32 s0, s11, 0x1280
	v_mov_b32_e32 v45, s1
	s_ashr_i32 s1, s0, 31
	s_lshl_b64 s[0:1], s[0:1], 1
	v_addc_co_u32_e32 v45, vcc, v2, v45, vcc
	s_cmpk_lt_u32 s46, 0x2601
	v_add_co_u32_e32 v46, vcc, s0, v1
	s_cselect_b32 s0, s11, 0x1300
	v_mov_b32_e32 v47, s1
	s_ashr_i32 s1, s0, 31
	s_lshl_b64 s[0:1], s[0:1], 1
	v_addc_co_u32_e32 v47, vcc, v2, v47, vcc
	s_cmpk_lt_u32 s46, 0x2701
	v_add_co_u32_e32 v48, vcc, s0, v1
	s_cselect_b32 s0, s11, 0x1380
	v_mov_b32_e32 v49, s1
	s_ashr_i32 s1, s0, 31
	s_lshl_b64 s[0:1], s[0:1], 1
	v_addc_co_u32_e32 v49, vcc, v2, v49, vcc
	s_cmpk_lt_u32 s46, 0x2801
	v_add_co_u32_e32 v50, vcc, s0, v1
	s_cselect_b32 s0, s11, 0x1400
	v_mov_b32_e32 v51, s1
	s_ashr_i32 s1, s0, 31
	s_lshl_b64 s[0:1], s[0:1], 1
	v_addc_co_u32_e32 v51, vcc, v2, v51, vcc
	s_cmpk_lt_u32 s46, 0x2901
	global_load_ushort v52, v[36:37], off
	global_load_ushort v53, v[38:39], off
	global_load_ushort v54, v[40:41], off
	global_load_ushort v55, v[42:43], off
	global_load_ushort v56, v[44:45], off
	global_load_ushort v57, v[46:47], off
	global_load_ushort v58, v[48:49], off
	global_load_ushort v59, v[50:51], off
	v_add_co_u32_e32 v36, vcc, s0, v1
	s_cselect_b32 s0, s11, 0x1480
	v_mov_b32_e32 v37, s1
	s_ashr_i32 s1, s0, 31
	s_lshl_b64 s[0:1], s[0:1], 1
	v_addc_co_u32_e32 v37, vcc, v2, v37, vcc
	s_cmpk_lt_u32 s46, 0x2a01
	v_add_co_u32_e32 v38, vcc, s0, v1
	s_cselect_b32 s0, s11, 0x1500
	v_mov_b32_e32 v39, s1
	s_ashr_i32 s1, s0, 31
	s_lshl_b64 s[0:1], s[0:1], 1
	v_addc_co_u32_e32 v39, vcc, v2, v39, vcc
	s_cmpk_lt_u32 s46, 0x2b01
	v_add_co_u32_e32 v40, vcc, s0, v1
	s_cselect_b32 s0, s11, 0x1580
	v_mov_b32_e32 v41, s1
	s_ashr_i32 s1, s0, 31
	s_lshl_b64 s[0:1], s[0:1], 1
	v_addc_co_u32_e32 v41, vcc, v2, v41, vcc
	s_cmpk_lt_u32 s46, 0x2c01
	v_add_co_u32_e32 v42, vcc, s0, v1
	s_cselect_b32 s0, s11, 0x1600
	v_mov_b32_e32 v43, s1
	s_ashr_i32 s1, s0, 31
	s_lshl_b64 s[0:1], s[0:1], 1
	v_addc_co_u32_e32 v43, vcc, v2, v43, vcc
	s_cmpk_lt_u32 s46, 0x2d01
	v_add_co_u32_e32 v44, vcc, s0, v1
	s_cselect_b32 s0, s11, 0x1680
	v_mov_b32_e32 v45, s1
	s_ashr_i32 s1, s0, 31
	s_lshl_b64 s[0:1], s[0:1], 1
	v_addc_co_u32_e32 v45, vcc, v2, v45, vcc
	s_cmpk_lt_u32 s46, 0x2e01
	v_add_co_u32_e32 v46, vcc, s0, v1
	s_cselect_b32 s0, s11, 0x1700
	v_mov_b32_e32 v47, s1
	s_ashr_i32 s1, s0, 31
	s_lshl_b64 s[0:1], s[0:1], 1
	v_addc_co_u32_e32 v47, vcc, v2, v47, vcc
	s_cmpk_lt_u32 s46, 0x2f01
	v_add_co_u32_e32 v48, vcc, s0, v1
	s_cselect_b32 s0, s11, 0x1780
	v_mov_b32_e32 v49, s1
	s_ashr_i32 s1, s0, 31
	s_lshl_b64 s[0:1], s[0:1], 1
	v_addc_co_u32_e32 v49, vcc, v2, v49, vcc
	s_cmpk_lt_u32 s46, 0x3001
	v_add_co_u32_e32 v50, vcc, s0, v1
	s_cselect_b32 s0, s11, 0x1800
	v_mov_b32_e32 v51, s1
	s_ashr_i32 s1, s0, 31
	s_lshl_b64 s[0:1], s[0:1], 1
	v_addc_co_u32_e32 v51, vcc, v2, v51, vcc
	s_cmpk_lt_u32 s46, 0x3101
	global_load_ushort v68, v[36:37], off
	global_load_ushort v69, v[38:39], off
	global_load_ushort v70, v[40:41], off
	global_load_ushort v71, v[42:43], off
	global_load_ushort v72, v[44:45], off
	global_load_ushort v73, v[46:47], off
	global_load_ushort v74, v[48:49], off
	global_load_ushort v75, v[50:51], off
	v_add_co_u32_e32 v36, vcc, s0, v1
	s_cselect_b32 s0, s11, 0x1880
	v_mov_b32_e32 v37, s1
	s_ashr_i32 s1, s0, 31
	;; [unrolled: 64-line block ×3, first 2 shown]
	s_lshl_b64 s[0:1], s[0:1], 1
	v_addc_co_u32_e32 v37, vcc, v2, v37, vcc
	s_cmpk_lt_u32 s46, 0x3a01
	v_add_co_u32_e32 v38, vcc, s0, v1
	s_cselect_b32 s0, s11, 0x1d00
	v_mov_b32_e32 v39, s1
	s_ashr_i32 s1, s0, 31
	s_lshl_b64 s[0:1], s[0:1], 1
	v_addc_co_u32_e32 v39, vcc, v2, v39, vcc
	s_cmpk_lt_u32 s46, 0x3b01
	v_add_co_u32_e32 v40, vcc, s0, v1
	s_cselect_b32 s0, s11, 0x1d80
	v_mov_b32_e32 v41, s1
	s_ashr_i32 s1, s0, 31
	;; [unrolled: 7-line block ×6, first 2 shown]
	v_addc_co_u32_e32 v49, vcc, v2, v49, vcc
	s_lshl_b64 s[0:1], s[0:1], 1
	v_mov_b32_e32 v51, s1
	v_add_co_u32_e32 v50, vcc, s0, v1
	v_addc_co_u32_e32 v51, vcc, v2, v51, vcc
	global_load_ushort v84, v[36:37], off
	global_load_ushort v85, v[38:39], off
	;; [unrolled: 1-line block ×8, first 2 shown]
	s_waitcnt vmcnt(31)
	v_cvt_f32_f16_e32 v67, v52
	s_waitcnt vmcnt(30)
	v_cvt_f32_f16_e32 v66, v53
	;; [unrolled: 2-line block ×32, first 2 shown]
.LBB124_12:
	ds_read_b128 v[68:71], v3
	s_load_dwordx2 s[0:1], s[4:5], 0x0
	s_load_dwordx2 s[2:3], s[4:5], 0x38
	ds_read_b128 v[72:75], v3 offset:16
	ds_read_b128 v[76:79], v3 offset:32
	;; [unrolled: 1-line block ×3, first 2 shown]
	s_and_b64 vcc, exec, s[8:9]
	s_waitcnt vmcnt(15) lgkmcnt(0)
	v_fma_mix_f32 v4, v68, v4, 0 op_sel_hi:[0,1,0]
	s_waitcnt vmcnt(14)
	v_fma_mix_f32 v4, v69, v5, v4 op_sel_hi:[0,1,0]
	s_waitcnt vmcnt(13)
	;; [unrolled: 2-line block ×15, first 2 shown]
	v_fma_mix_f32 v4, v83, v19, v4 op_sel_hi:[0,1,0]
	s_cbranch_vccz .LBB124_15
; %bb.13:
	ds_read_b128 v[6:9], v3 offset:64
	ds_read_b128 v[10:13], v3 offset:80
	;; [unrolled: 1-line block ×4, first 2 shown]
	s_cmpk_lt_u32 s46, 0x2001
	s_waitcnt lgkmcnt(3)
	v_fma_mix_f32 v3, v6, v27, v4 op_sel_hi:[0,1,0]
	v_fma_mix_f32 v3, v7, v26, v3 op_sel_hi:[0,1,0]
	v_fma_mix_f32 v3, v8, v25, v3 op_sel_hi:[0,1,0]
	v_fma_mix_f32 v3, v9, v24, v3 op_sel_hi:[0,1,0]
	s_waitcnt lgkmcnt(2)
	v_fma_mix_f32 v3, v10, v23, v3 op_sel_hi:[0,1,0]
	v_fma_mix_f32 v3, v11, v22, v3 op_sel_hi:[0,1,0]
	v_fma_mix_f32 v3, v12, v20, v3 op_sel_hi:[0,1,0]
	v_fma_mix_f32 v3, v13, v21, v3 op_sel_hi:[0,1,0]
	;; [unrolled: 5-line block ×4, first 2 shown]
	s_cbranch_scc1 .LBB124_15
; %bb.14:
	v_mov_b32_e32 v3, 0
	ds_read_b128 v[6:9], v3 offset:128
	ds_read_b128 v[10:13], v3 offset:144
	;; [unrolled: 1-line block ×4, first 2 shown]
	s_waitcnt lgkmcnt(3)
	v_fmac_f32_e32 v4, v6, v67
	v_fmac_f32_e32 v4, v7, v66
	v_fmac_f32_e32 v4, v8, v65
	v_fmac_f32_e32 v4, v9, v64
	s_waitcnt lgkmcnt(2)
	v_fmac_f32_e32 v4, v10, v63
	v_fmac_f32_e32 v4, v11, v62
	v_fmac_f32_e32 v4, v12, v61
	v_fmac_f32_e32 v4, v13, v60
	;; [unrolled: 5-line block ×3, first 2 shown]
	ds_read_b128 v[6:9], v3 offset:192
	ds_read_b128 v[10:13], v3 offset:208
	s_waitcnt lgkmcnt(2)
	v_fmac_f32_e32 v4, v18, v55
	v_fmac_f32_e32 v4, v19, v54
	;; [unrolled: 1-line block ×4, first 2 shown]
	s_waitcnt lgkmcnt(1)
	v_fmac_f32_e32 v4, v6, v51
	v_fmac_f32_e32 v4, v7, v50
	;; [unrolled: 1-line block ×4, first 2 shown]
	ds_read_b128 v[6:9], v3 offset:224
	s_waitcnt lgkmcnt(1)
	v_fmac_f32_e32 v4, v10, v47
	v_fmac_f32_e32 v4, v11, v46
	;; [unrolled: 1-line block ×4, first 2 shown]
	ds_read_b128 v[10:13], v3 offset:240
	s_waitcnt lgkmcnt(1)
	v_fmac_f32_e32 v4, v6, v43
	v_fmac_f32_e32 v4, v7, v42
	;; [unrolled: 1-line block ×4, first 2 shown]
	s_waitcnt lgkmcnt(0)
	v_fmac_f32_e32 v4, v10, v39
	v_fmac_f32_e32 v4, v11, v38
	;; [unrolled: 1-line block ×4, first 2 shown]
.LBB124_15:
	s_movk_i32 s4, 0x3f80
	s_movk_i32 s5, 0x100
	s_mov_b32 s8, 64
	s_branch .LBB124_17
.LBB124_16:                             ;   in Loop: Header=BB124_17 Depth=1
	s_addk_i32 s4, 0x2000
	s_addk_i32 s5, 0x100
	s_add_i32 s8, s8, 64
	s_cmp_eq_u32 s4, 0x13f80
	s_cbranch_scc1 .LBB124_19
.LBB124_17:                             ; =>This Inner Loop Header: Depth=1
	s_cmp_le_i32 s33, s8
	s_cbranch_scc1 .LBB124_16
; %bb.18:                               ;   in Loop: Header=BB124_17 Depth=1
	s_add_i32 s9, s4, 0xffffe080
	s_cmp_lt_i32 s9, s10
	s_cselect_b32 s12, s9, s11
	s_ashr_i32 s13, s12, 31
	s_lshl_b64 s[12:13], s[12:13], 1
	s_add_i32 s9, s4, 0xffffe100
	s_cmp_lt_i32 s9, s10
	v_add_co_u32_e32 v12, vcc, s12, v1
	s_cselect_b32 s12, s9, s11
	v_mov_b32_e32 v3, s13
	s_ashr_i32 s13, s12, 31
	s_lshl_b64 s[12:13], s[12:13], 1
	s_add_i32 s9, s4, 0xffffe180
	v_addc_co_u32_e32 v13, vcc, v2, v3, vcc
	s_cmp_lt_i32 s9, s10
	v_add_co_u32_e32 v14, vcc, s12, v1
	s_cselect_b32 s12, s9, s11
	v_mov_b32_e32 v3, s13
	s_ashr_i32 s13, s12, 31
	s_lshl_b64 s[12:13], s[12:13], 1
	s_add_i32 s9, s4, 0xffffe200
	v_addc_co_u32_e32 v15, vcc, v2, v3, vcc
	;; [unrolled: 8-line block ×8, first 2 shown]
	s_cmp_lt_i32 s9, s10
	global_load_ushort v3, v[12:13], off
	global_load_ushort v5, v[14:15], off
	;; [unrolled: 1-line block ×8, first 2 shown]
	v_add_co_u32_e32 v20, vcc, s12, v1
	s_cselect_b32 s12, s9, s11
	v_mov_b32_e32 v12, s13
	s_ashr_i32 s13, s12, 31
	s_lshl_b64 s[12:13], s[12:13], 1
	s_add_i32 s9, s4, 0xffffe580
	v_addc_co_u32_e32 v21, vcc, v2, v12, vcc
	s_cmp_lt_i32 s9, s10
	v_add_co_u32_e32 v22, vcc, s12, v1
	s_cselect_b32 s12, s9, s11
	v_mov_b32_e32 v12, s13
	s_ashr_i32 s13, s12, 31
	s_lshl_b64 s[12:13], s[12:13], 1
	s_add_i32 s9, s4, 0xffffe600
	v_addc_co_u32_e32 v23, vcc, v2, v12, vcc
	s_cmp_lt_i32 s9, s10
	;; [unrolled: 8-line block ×8, first 2 shown]
	global_load_ushort v15, v[20:21], off
	global_load_ushort v16, v[22:23], off
	;; [unrolled: 1-line block ×8, first 2 shown]
	v_add_co_u32_e32 v28, vcc, s12, v1
	s_cselect_b32 s12, s9, s11
	v_mov_b32_e32 v20, s13
	s_ashr_i32 s13, s12, 31
	s_lshl_b64 s[12:13], s[12:13], 1
	s_add_i32 s9, s4, 0xffffe980
	v_addc_co_u32_e32 v29, vcc, v2, v20, vcc
	s_cmp_lt_i32 s9, s10
	v_add_co_u32_e32 v30, vcc, s12, v1
	s_cselect_b32 s12, s9, s11
	v_mov_b32_e32 v20, s13
	s_ashr_i32 s13, s12, 31
	s_lshl_b64 s[12:13], s[12:13], 1
	s_add_i32 s9, s4, 0xffffea00
	v_addc_co_u32_e32 v31, vcc, v2, v20, vcc
	s_cmp_lt_i32 s9, s10
	;; [unrolled: 8-line block ×8, first 2 shown]
	global_load_ushort v23, v[28:29], off
	global_load_ushort v24, v[30:31], off
	;; [unrolled: 1-line block ×8, first 2 shown]
	v_add_co_u32_e32 v36, vcc, s12, v1
	s_cselect_b32 s12, s9, s11
	v_mov_b32_e32 v28, s13
	s_ashr_i32 s13, s12, 31
	s_lshl_b64 s[12:13], s[12:13], 1
	s_add_i32 s9, s4, 0xffffed80
	v_addc_co_u32_e32 v37, vcc, v2, v28, vcc
	s_cmp_lt_i32 s9, s10
	v_add_co_u32_e32 v38, vcc, s12, v1
	s_cselect_b32 s12, s9, s11
	v_mov_b32_e32 v28, s13
	s_ashr_i32 s13, s12, 31
	s_lshl_b64 s[12:13], s[12:13], 1
	s_add_i32 s9, s4, 0xffffee00
	v_addc_co_u32_e32 v39, vcc, v2, v28, vcc
	s_cmp_lt_i32 s9, s10
	;; [unrolled: 8-line block ×8, first 2 shown]
	global_load_ushort v31, v[36:37], off
	global_load_ushort v32, v[38:39], off
	;; [unrolled: 1-line block ×8, first 2 shown]
	v_add_co_u32_e32 v36, vcc, s12, v1
	s_cselect_b32 s12, s9, s11
	v_mov_b32_e32 v37, s13
	s_ashr_i32 s13, s12, 31
	s_lshl_b64 s[12:13], s[12:13], 1
	s_add_i32 s9, s4, 0xfffff180
	v_addc_co_u32_e32 v37, vcc, v2, v37, vcc
	s_cmp_lt_i32 s9, s10
	v_add_co_u32_e32 v38, vcc, s12, v1
	s_cselect_b32 s12, s9, s11
	v_mov_b32_e32 v39, s13
	s_ashr_i32 s13, s12, 31
	s_lshl_b64 s[12:13], s[12:13], 1
	s_add_i32 s9, s4, 0xfffff200
	v_addc_co_u32_e32 v39, vcc, v2, v39, vcc
	s_cmp_lt_i32 s9, s10
	;; [unrolled: 8-line block ×8, first 2 shown]
	global_load_ushort v52, v[36:37], off
	global_load_ushort v53, v[38:39], off
	;; [unrolled: 1-line block ×8, first 2 shown]
	v_add_co_u32_e32 v36, vcc, s12, v1
	s_cselect_b32 s12, s9, s11
	v_mov_b32_e32 v37, s13
	s_ashr_i32 s13, s12, 31
	s_lshl_b64 s[12:13], s[12:13], 1
	s_add_i32 s9, s4, 0xfffff580
	v_addc_co_u32_e32 v37, vcc, v2, v37, vcc
	s_cmp_lt_i32 s9, s10
	v_add_co_u32_e32 v38, vcc, s12, v1
	s_cselect_b32 s12, s9, s11
	v_mov_b32_e32 v39, s13
	s_ashr_i32 s13, s12, 31
	s_lshl_b64 s[12:13], s[12:13], 1
	s_add_i32 s9, s4, 0xfffff600
	v_addc_co_u32_e32 v39, vcc, v2, v39, vcc
	s_cmp_lt_i32 s9, s10
	;; [unrolled: 8-line block ×8, first 2 shown]
	global_load_ushort v60, v[36:37], off
	global_load_ushort v61, v[38:39], off
	;; [unrolled: 1-line block ×8, first 2 shown]
	v_add_co_u32_e32 v36, vcc, s12, v1
	s_cselect_b32 s12, s9, s11
	v_mov_b32_e32 v37, s13
	s_ashr_i32 s13, s12, 31
	s_lshl_b64 s[12:13], s[12:13], 1
	s_add_i32 s9, s4, 0xfffff980
	v_addc_co_u32_e32 v37, vcc, v2, v37, vcc
	s_cmp_lt_i32 s9, s10
	v_add_co_u32_e32 v38, vcc, s12, v1
	s_cselect_b32 s12, s9, s11
	v_mov_b32_e32 v39, s13
	s_ashr_i32 s13, s12, 31
	s_lshl_b64 s[12:13], s[12:13], 1
	s_add_i32 s9, s4, 0xfffffa00
	v_addc_co_u32_e32 v39, vcc, v2, v39, vcc
	s_cmp_lt_i32 s9, s10
	;; [unrolled: 8-line block ×8, first 2 shown]
	global_load_ushort v68, v[36:37], off
	global_load_ushort v69, v[38:39], off
	global_load_ushort v70, v[40:41], off
	global_load_ushort v71, v[42:43], off
	global_load_ushort v72, v[44:45], off
	global_load_ushort v73, v[46:47], off
	global_load_ushort v74, v[48:49], off
	global_load_ushort v75, v[50:51], off
	v_add_co_u32_e32 v36, vcc, s12, v1
	s_cselect_b32 s12, s9, s11
	v_mov_b32_e32 v37, s13
	s_ashr_i32 s13, s12, 31
	s_lshl_b64 s[12:13], s[12:13], 1
	s_add_i32 s9, s4, 0xfffffd80
	v_addc_co_u32_e32 v37, vcc, v2, v37, vcc
	s_cmp_lt_i32 s9, s10
	v_add_co_u32_e32 v38, vcc, s12, v1
	s_cselect_b32 s12, s9, s11
	v_mov_b32_e32 v39, s13
	s_ashr_i32 s13, s12, 31
	s_lshl_b64 s[12:13], s[12:13], 1
	s_add_i32 s9, s4, 0xfffffe00
	v_addc_co_u32_e32 v39, vcc, v2, v39, vcc
	s_cmp_lt_i32 s9, s10
	;; [unrolled: 8-line block ×5, first 2 shown]
	v_add_co_u32_e32 v46, vcc, s12, v1
	s_cselect_b32 s12, s9, s11
	v_mov_b32_e32 v47, s13
	s_ashr_i32 s13, s12, 31
	s_lshl_b64 s[12:13], s[12:13], 1
	v_addc_co_u32_e32 v47, vcc, v2, v47, vcc
	s_cmp_lt_i32 s4, s10
	v_add_co_u32_e32 v48, vcc, s12, v1
	s_cselect_b32 s12, s4, s11
	v_mov_b32_e32 v49, s13
	s_ashr_i32 s13, s12, 31
	v_addc_co_u32_e32 v49, vcc, v2, v49, vcc
	s_lshl_b64 s[12:13], s[12:13], 1
	v_mov_b32_e32 v51, s13
	v_add_co_u32_e32 v50, vcc, s12, v1
	v_addc_co_u32_e32 v51, vcc, v2, v51, vcc
	global_load_ushort v76, v[36:37], off
	global_load_ushort v77, v[38:39], off
	;; [unrolled: 1-line block ×8, first 2 shown]
	v_mov_b32_e32 v84, s5
	ds_read_b128 v[36:39], v84
	ds_read_b128 v[40:43], v84 offset:16
	ds_read_b128 v[44:47], v84 offset:32
	;; [unrolled: 1-line block ×3, first 2 shown]
	s_waitcnt vmcnt(62) lgkmcnt(3)
	v_fma_mix_f32 v3, v36, v3, v4 op_sel_hi:[0,1,0]
	v_fma_mix_f32 v3, v37, v5, v3 op_sel_hi:[0,1,0]
	s_waitcnt vmcnt(61)
	v_fma_mix_f32 v3, v38, v6, v3 op_sel_hi:[0,1,0]
	s_waitcnt vmcnt(60)
	v_fma_mix_f32 v3, v39, v7, v3 op_sel_hi:[0,1,0]
	s_waitcnt vmcnt(59) lgkmcnt(2)
	v_fma_mix_f32 v3, v40, v8, v3 op_sel_hi:[0,1,0]
	s_waitcnt vmcnt(58)
	v_fma_mix_f32 v3, v41, v9, v3 op_sel_hi:[0,1,0]
	s_waitcnt vmcnt(57)
	;; [unrolled: 2-line block ×3, first 2 shown]
	v_fma_mix_f32 v3, v43, v11, v3 op_sel_hi:[0,1,0]
	s_waitcnt vmcnt(55) lgkmcnt(1)
	v_fma_mix_f32 v3, v44, v15, v3 op_sel_hi:[0,1,0]
	s_waitcnt vmcnt(54)
	v_fma_mix_f32 v3, v45, v16, v3 op_sel_hi:[0,1,0]
	s_waitcnt vmcnt(53)
	;; [unrolled: 2-line block ×3, first 2 shown]
	v_fma_mix_f32 v3, v47, v18, v3 op_sel_hi:[0,1,0]
	ds_read_b128 v[4:7], v84 offset:64
	ds_read_b128 v[8:11], v84 offset:80
	s_waitcnt vmcnt(51) lgkmcnt(2)
	v_fma_mix_f32 v3, v48, v19, v3 op_sel_hi:[0,1,0]
	s_waitcnt vmcnt(50)
	v_fma_mix_f32 v3, v49, v12, v3 op_sel_hi:[0,1,0]
	s_waitcnt vmcnt(49)
	;; [unrolled: 2-line block ×3, first 2 shown]
	v_fma_mix_f32 v3, v51, v14, v3 op_sel_hi:[0,1,0]
	s_waitcnt vmcnt(47) lgkmcnt(1)
	v_fma_mix_f32 v3, v4, v23, v3 op_sel_hi:[0,1,0]
	s_waitcnt vmcnt(46)
	v_fma_mix_f32 v3, v5, v24, v3 op_sel_hi:[0,1,0]
	s_waitcnt vmcnt(45)
	v_fma_mix_f32 v3, v6, v25, v3 op_sel_hi:[0,1,0]
	s_waitcnt vmcnt(44)
	v_fma_mix_f32 v3, v7, v26, v3 op_sel_hi:[0,1,0]
	ds_read_b128 v[4:7], v84 offset:96
	s_waitcnt vmcnt(43) lgkmcnt(1)
	v_fma_mix_f32 v3, v8, v27, v3 op_sel_hi:[0,1,0]
	s_waitcnt vmcnt(42)
	v_fma_mix_f32 v3, v9, v20, v3 op_sel_hi:[0,1,0]
	s_waitcnt vmcnt(41)
	v_fma_mix_f32 v3, v10, v21, v3 op_sel_hi:[0,1,0]
	s_waitcnt vmcnt(40)
	v_fma_mix_f32 v3, v11, v22, v3 op_sel_hi:[0,1,0]
	ds_read_b128 v[8:11], v84 offset:112
	;; [unrolled: 9-line block ×10, first 2 shown]
	s_waitcnt vmcnt(7) lgkmcnt(1)
	v_fma_mix_f32 v3, v4, v76, v3 op_sel_hi:[0,1,0]
	s_waitcnt vmcnt(6)
	v_fma_mix_f32 v3, v5, v77, v3 op_sel_hi:[0,1,0]
	s_waitcnt vmcnt(5)
	;; [unrolled: 2-line block ×3, first 2 shown]
	v_fma_mix_f32 v3, v7, v79, v3 op_sel_hi:[0,1,0]
	s_waitcnt vmcnt(3) lgkmcnt(0)
	v_fma_mix_f32 v3, v8, v80, v3 op_sel_hi:[0,1,0]
	s_waitcnt vmcnt(2)
	v_fma_mix_f32 v3, v9, v81, v3 op_sel_hi:[0,1,0]
	s_waitcnt vmcnt(1)
	;; [unrolled: 2-line block ×3, first 2 shown]
	v_fma_mix_f32 v4, v11, v83, v3 op_sel_hi:[0,1,0]
	s_branch .LBB124_16
.LBB124_19:
	v_mov_b32_e32 v1, 0
	ds_read_b32 v2, v1 offset:2304
	s_cmp_lg_u64 s[2:3], 0
	s_cbranch_scc0 .LBB124_24
; %bb.20:
	s_load_dword s4, s[2:3], 0x0
	s_waitcnt lgkmcnt(0)
	v_div_scale_f32 v1, s[2:3], s4, s4, 1.0
	v_rcp_f32_e32 v3, v1
	v_div_scale_f32 v5, vcc, 1.0, s4, 1.0
	v_fma_f32 v6, -v1, v3, 1.0
	v_fmac_f32_e32 v3, v6, v3
	v_mul_f32_e32 v6, v5, v3
	v_fma_f32 v7, -v1, v6, v5
	v_fmac_f32_e32 v6, v7, v3
	v_fma_f32 v1, -v1, v6, v5
	v_div_fmas_f32 v1, v1, v3, v6
	v_div_fixup_f32 v1, v1, s4, 1.0
	s_andn2_b64 vcc, exec, s[36:37]
	s_cbranch_vccnz .LBB124_22
.LBB124_21:
	s_add_u32 s2, s34, s38
	s_addc_u32 s3, s35, s39
	s_load_dword s22, s[2:3], 0x0
	s_mov_b32 s23, 0
.LBB124_22:
	s_waitcnt lgkmcnt(0)
	v_add_f32_e32 v2, 0x358637bd, v2
	v_div_scale_f32 v3, s[2:3], v2, v2, 1.0
	v_rcp_f32_e32 v5, v3
	v_div_scale_f32 v6, vcc, 1.0, v2, 1.0
	s_mul_i32 s2, s7, s23
	v_fma_f32 v7, -v3, v5, 1.0
	v_fmac_f32_e32 v5, v7, v5
	v_mul_f32_e32 v7, v6, v5
	v_fma_f32 v8, -v3, v7, v6
	s_mul_hi_u32 s3, s7, s22
	v_fmac_f32_e32 v7, v8, v5
	s_add_i32 s3, s3, s2
	s_mul_i32 s2, s7, s22
	v_fma_f32 v3, -v3, v7, v6
	s_lshl_b64 s[2:3], s[2:3], 8
	v_div_fmas_f32 v3, v3, v5, v7
	s_add_u32 s2, s0, s2
	s_mov_b32 s7, 0
	v_div_fixup_f32 v2, v3, v2, 1.0
	s_addc_u32 s3, s1, s3
	s_lshl_b64 s[0:1], s[6:7], 8
	v_mul_f32_e32 v2, v4, v2
	s_add_u32 s0, s2, s0
	s_addc_u32 s1, s3, s1
	v_fma_mixlo_f16 v1, v2, v1, 0
	global_store_short v0, v1, s[0:1]
	s_endpgm
.LBB124_23:
	s_mov_b64 s[2:3], 0
	s_branch .LBB124_2
.LBB124_24:
	v_mov_b32_e32 v1, 1.0
	s_andn2_b64 vcc, exec, s[36:37]
	s_cbranch_vccz .LBB124_21
	s_branch .LBB124_22
	.section	.rodata,"a",@progbits
	.p2align	6, 0x0
	.amdhsa_kernel _Z35paged_attention_ll4mi_reduce_kernelIDF16_DF16_Li128ELi128ELi256ELi9EEvPT0_PKfS3_PKT_PKiS8_iS3_
		.amdhsa_group_segment_fixed_size 2308
		.amdhsa_private_segment_fixed_size 0
		.amdhsa_kernarg_size 320
		.amdhsa_user_sgpr_count 6
		.amdhsa_user_sgpr_private_segment_buffer 1
		.amdhsa_user_sgpr_dispatch_ptr 0
		.amdhsa_user_sgpr_queue_ptr 0
		.amdhsa_user_sgpr_kernarg_segment_ptr 1
		.amdhsa_user_sgpr_dispatch_id 0
		.amdhsa_user_sgpr_flat_scratch_init 0
		.amdhsa_user_sgpr_kernarg_preload_length 0
		.amdhsa_user_sgpr_kernarg_preload_offset 0
		.amdhsa_user_sgpr_private_segment_size 0
		.amdhsa_uses_dynamic_stack 0
		.amdhsa_system_sgpr_private_segment_wavefront_offset 0
		.amdhsa_system_sgpr_workgroup_id_x 1
		.amdhsa_system_sgpr_workgroup_id_y 1
		.amdhsa_system_sgpr_workgroup_id_z 0
		.amdhsa_system_sgpr_workgroup_info 0
		.amdhsa_system_vgpr_workitem_id 0
		.amdhsa_next_free_vgpr 92
		.amdhsa_next_free_sgpr 47
		.amdhsa_accum_offset 92
		.amdhsa_reserve_vcc 1
		.amdhsa_reserve_flat_scratch 0
		.amdhsa_float_round_mode_32 0
		.amdhsa_float_round_mode_16_64 0
		.amdhsa_float_denorm_mode_32 3
		.amdhsa_float_denorm_mode_16_64 3
		.amdhsa_dx10_clamp 1
		.amdhsa_ieee_mode 1
		.amdhsa_fp16_overflow 0
		.amdhsa_tg_split 0
		.amdhsa_exception_fp_ieee_invalid_op 0
		.amdhsa_exception_fp_denorm_src 0
		.amdhsa_exception_fp_ieee_div_zero 0
		.amdhsa_exception_fp_ieee_overflow 0
		.amdhsa_exception_fp_ieee_underflow 0
		.amdhsa_exception_fp_ieee_inexact 0
		.amdhsa_exception_int_div_zero 0
	.end_amdhsa_kernel
	.section	.text._Z35paged_attention_ll4mi_reduce_kernelIDF16_DF16_Li128ELi128ELi256ELi9EEvPT0_PKfS3_PKT_PKiS8_iS3_,"axG",@progbits,_Z35paged_attention_ll4mi_reduce_kernelIDF16_DF16_Li128ELi128ELi256ELi9EEvPT0_PKfS3_PKT_PKiS8_iS3_,comdat
.Lfunc_end124:
	.size	_Z35paged_attention_ll4mi_reduce_kernelIDF16_DF16_Li128ELi128ELi256ELi9EEvPT0_PKfS3_PKT_PKiS8_iS3_, .Lfunc_end124-_Z35paged_attention_ll4mi_reduce_kernelIDF16_DF16_Li128ELi128ELi256ELi9EEvPT0_PKfS3_PKT_PKiS8_iS3_
                                        ; -- End function
	.section	.AMDGPU.csdata,"",@progbits
; Kernel info:
; codeLenInByte = 10512
; NumSgprs: 51
; NumVgprs: 92
; NumAgprs: 0
; TotalNumVgprs: 92
; ScratchSize: 0
; MemoryBound: 0
; FloatMode: 240
; IeeeMode: 1
; LDSByteSize: 2308 bytes/workgroup (compile time only)
; SGPRBlocks: 6
; VGPRBlocks: 11
; NumSGPRsForWavesPerEU: 51
; NumVGPRsForWavesPerEU: 92
; AccumOffset: 92
; Occupancy: 5
; WaveLimiterHint : 1
; COMPUTE_PGM_RSRC2:SCRATCH_EN: 0
; COMPUTE_PGM_RSRC2:USER_SGPR: 6
; COMPUTE_PGM_RSRC2:TRAP_HANDLER: 0
; COMPUTE_PGM_RSRC2:TGID_X_EN: 1
; COMPUTE_PGM_RSRC2:TGID_Y_EN: 1
; COMPUTE_PGM_RSRC2:TGID_Z_EN: 0
; COMPUTE_PGM_RSRC2:TIDIG_COMP_CNT: 0
; COMPUTE_PGM_RSRC3_GFX90A:ACCUM_OFFSET: 22
; COMPUTE_PGM_RSRC3_GFX90A:TG_SPLIT: 0
	.section	.text._Z35paged_attention_ll4mi_reduce_kernelIDF16_DF16_Li128ELi128ELi256ELi10EEvPT0_PKfS3_PKT_PKiS8_iS3_,"axG",@progbits,_Z35paged_attention_ll4mi_reduce_kernelIDF16_DF16_Li128ELi128ELi256ELi10EEvPT0_PKfS3_PKT_PKiS8_iS3_,comdat
	.protected	_Z35paged_attention_ll4mi_reduce_kernelIDF16_DF16_Li128ELi128ELi256ELi10EEvPT0_PKfS3_PKT_PKiS8_iS3_ ; -- Begin function _Z35paged_attention_ll4mi_reduce_kernelIDF16_DF16_Li128ELi128ELi256ELi10EEvPT0_PKfS3_PKT_PKiS8_iS3_
	.globl	_Z35paged_attention_ll4mi_reduce_kernelIDF16_DF16_Li128ELi128ELi256ELi10EEvPT0_PKfS3_PKT_PKiS8_iS3_
	.p2align	8
	.type	_Z35paged_attention_ll4mi_reduce_kernelIDF16_DF16_Li128ELi128ELi256ELi10EEvPT0_PKfS3_PKT_PKiS8_iS3_,@function
_Z35paged_attention_ll4mi_reduce_kernelIDF16_DF16_Li128ELi128ELi256ELi10EEvPT0_PKfS3_PKT_PKiS8_iS3_: ; @_Z35paged_attention_ll4mi_reduce_kernelIDF16_DF16_Li128ELi128ELi256ELi10EEvPT0_PKfS3_PKT_PKiS8_iS3_
; %bb.0:
	s_load_dwordx2 s[36:37], s[4:5], 0x28
	s_mov_b32 s34, s7
	s_mov_b64 s[0:1], 0
	s_waitcnt lgkmcnt(0)
	s_cmp_lg_u64 s[36:37], 0
	s_cselect_b64 s[38:39], -1, 0
	s_and_b64 vcc, exec, s[38:39]
	s_cbranch_vccz .LBB125_23
; %bb.1:
	s_add_i32 s2, s34, 1
	s_mov_b32 s3, 0
	s_lshl_b64 s[8:9], s[2:3], 2
	s_add_u32 s8, s36, s8
	s_mov_b32 s35, s3
	s_addc_u32 s9, s37, s9
	s_lshl_b64 s[2:3], s[34:35], 2
	s_add_u32 s2, s36, s2
	s_addc_u32 s3, s37, s3
	s_load_dword s7, s[8:9], 0x0
	s_load_dword s10, s[2:3], 0x0
	s_waitcnt lgkmcnt(0)
	s_sub_i32 s2, s7, s10
	s_cmp_eq_u32 s2, 1
	s_cselect_b64 s[2:3], -1, 0
	s_andn2_b64 vcc, exec, s[0:1]
	s_cbranch_vccnz .LBB125_3
.LBB125_2:
	s_mov_b32 s35, 0
	s_mov_b64 s[2:3], -1
.LBB125_3:
	s_andn2_b64 vcc, exec, s[2:3]
	s_cbranch_vccz .LBB125_5
; %bb.4:
	s_endpgm
.LBB125_5:
	s_load_dwordx4 s[24:27], s[4:5], 0x18
	s_load_dword s8, s[4:5], 0x30
	s_lshl_b64 s[40:41], s[34:35], 2
	v_cmp_lt_u32_e32 vcc, 63, v0
	s_waitcnt lgkmcnt(0)
	s_add_u32 s0, s26, s40
	s_addc_u32 s1, s27, s41
	s_load_dword s48, s[0:1], 0x0
	s_load_dword s7, s[4:5], 0x40
	s_mul_i32 s26, s6, s8
	s_mul_i32 s2, s34, s8
	s_waitcnt lgkmcnt(0)
	s_add_i32 s3, s48, 0xff
	s_ashr_i32 s0, s3, 31
	s_lshr_b32 s0, s0, 24
	s_add_i32 s3, s3, s0
	s_and_saveexec_b64 s[0:1], vcc
	s_xor_b64 s[0:1], exec, s[0:1]
	s_or_saveexec_b64 s[42:43], s[0:1]
	s_ashr_i32 s33, s3, 8
	v_mov_b32_e32 v1, s26
	s_mul_i32 s44, s2, s7
	s_xor_b64 exec, exec, s[42:43]
	s_cbranch_execz .LBB125_9
; %bb.6:
	s_add_i32 s0, s33, -1
	v_or_b32_e32 v3, 64, v0
	v_mov_b32_e32 v1, s0
	v_cmp_gt_u32_e64 s[18:19], s33, v3
	v_cndmask_b32_e64 v4, v1, v3, s[18:19]
	v_or_b32_e32 v3, 0x80, v0
	v_cmp_gt_u32_e64 s[16:17], s33, v3
	v_cndmask_b32_e64 v6, v1, v3, s[16:17]
	v_or_b32_e32 v3, 0xc0, v0
	;; [unrolled: 3-line block ×5, first 2 shown]
	s_load_dwordx4 s[28:31], s[4:5], 0x8
	v_cmp_gt_u32_e64 s[8:9], s33, v3
	v_cndmask_b32_e64 v14, v1, v3, s[8:9]
	v_or_b32_e32 v3, 0x1c0, v0
	v_cmp_gt_u32_e64 s[2:3], s33, v3
	s_mov_b32 s45, 0
	v_cndmask_b32_e64 v16, v1, v3, s[2:3]
	v_or_b32_e32 v3, 0x200, v0
	v_cmp_gt_u32_e64 s[0:1], s33, v3
	s_lshl_b64 s[46:47], s[44:45], 2
	s_mov_b32 s27, s45
	v_cmp_gt_u32_e64 s[20:21], s33, v0
	v_cndmask_b32_e64 v18, v1, v3, s[0:1]
	v_or_b32_e32 v3, 0x240, v0
	s_waitcnt lgkmcnt(0)
	s_add_u32 s22, s30, s46
	v_cndmask_b32_e64 v2, v1, v0, s[20:21]
	v_cmp_gt_u32_e32 vcc, s33, v3
	s_addc_u32 s23, s31, s47
	s_lshl_b64 s[30:31], s[26:27], 2
	v_cndmask_b32_e32 v20, v1, v3, vcc
	s_add_u32 s27, s22, s30
	v_ashrrev_i32_e32 v3, 31, v2
	s_addc_u32 s45, s23, s31
	v_lshlrev_b64 v[2:3], 2, v[2:3]
	v_mov_b32_e32 v1, s45
	v_add_co_u32_e64 v22, s[22:23], s27, v2
	v_ashrrev_i32_e32 v5, 31, v4
	v_addc_co_u32_e64 v23, s[22:23], v1, v3, s[22:23]
	v_lshlrev_b64 v[4:5], 2, v[4:5]
	v_add_co_u32_e64 v24, s[22:23], s27, v4
	v_ashrrev_i32_e32 v7, 31, v6
	v_addc_co_u32_e64 v25, s[22:23], v1, v5, s[22:23]
	v_lshlrev_b64 v[6:7], 2, v[6:7]
	;; [unrolled: 4-line block ×8, first 2 shown]
	global_load_dword v1, v[22:23], off
	global_load_dword v38, v[24:25], off
	s_nop 0
	global_load_dword v26, v[26:27], off
	s_nop 0
	;; [unrolled: 2-line block ×3, first 2 shown]
	global_load_dword v28, v[30:31], off
	global_load_dword v29, v[32:33], off
	s_nop 0
	global_load_dword v30, v[34:35], off
	global_load_dword v31, v[36:37], off
	v_mov_b32_e32 v21, s45
	v_add_co_u32_e64 v22, s[22:23], s27, v18
	v_addc_co_u32_e64 v23, s[22:23], v21, v19, s[22:23]
	v_ashrrev_i32_e32 v21, 31, v20
	v_lshlrev_b64 v[20:21], 2, v[20:21]
	v_mov_b32_e32 v25, s45
	v_add_co_u32_e64 v24, s[22:23], s27, v20
	v_addc_co_u32_e64 v25, s[22:23], v25, v21, s[22:23]
	global_load_dword v22, v[22:23], off
	s_nop 0
	global_load_dword v23, v[24:25], off
	s_waitcnt vmcnt(9)
	v_max_f32_e32 v25, v1, v1
	s_waitcnt vmcnt(8)
	v_max_f32_e32 v24, v38, v38
	v_max_f32_e32 v24, v25, v24
	v_mbcnt_lo_u32_b32 v25, -1, 0
	v_mbcnt_hi_u32_b32 v25, -1, v25
	v_and_b32_e32 v32, 64, v25
	s_waitcnt vmcnt(6)
	v_max3_f32 v24, v24, v26, v27
	v_add_u32_e32 v32, 64, v32
	v_xor_b32_e32 v33, 32, v25
	s_waitcnt vmcnt(4)
	v_max3_f32 v24, v24, v28, v29
	v_cmp_lt_i32_e64 s[22:23], v33, v32
	s_waitcnt vmcnt(2)
	v_max3_f32 v24, v24, v30, v31
	v_cndmask_b32_e64 v33, v25, v33, s[22:23]
	v_lshlrev_b32_e32 v33, 2, v33
	s_waitcnt vmcnt(0)
	v_max3_f32 v24, v24, v22, v23
	ds_bpermute_b32 v34, v33, v24
	s_waitcnt lgkmcnt(0)
	v_max_f32_e32 v34, v34, v34
	v_max_f32_e32 v24, v24, v34
	v_xor_b32_e32 v34, 16, v25
	v_cmp_lt_i32_e64 s[22:23], v34, v32
	v_cndmask_b32_e64 v34, v25, v34, s[22:23]
	v_lshlrev_b32_e32 v34, 2, v34
	ds_bpermute_b32 v35, v34, v24
	s_waitcnt lgkmcnt(0)
	v_max_f32_e32 v35, v35, v35
	v_max_f32_e32 v24, v24, v35
	v_xor_b32_e32 v35, 8, v25
	v_cmp_lt_i32_e64 s[22:23], v35, v32
	v_cndmask_b32_e64 v35, v25, v35, s[22:23]
	v_lshlrev_b32_e32 v35, 2, v35
	;; [unrolled: 8-line block ×4, first 2 shown]
	ds_bpermute_b32 v39, v37, v24
	s_waitcnt lgkmcnt(0)
	v_max_f32_e32 v39, v39, v39
	v_max_f32_e32 v24, v24, v39
	v_xor_b32_e32 v39, 1, v25
	v_cmp_lt_i32_e64 s[22:23], v39, v32
	v_cndmask_b32_e64 v25, v25, v39, s[22:23]
	s_add_u32 s22, s28, s46
	s_addc_u32 s23, s29, s47
	s_add_u32 s28, s22, s30
	s_addc_u32 s27, s23, s31
	v_mov_b32_e32 v39, s27
	v_add_co_u32_e64 v2, s[22:23], s28, v2
	v_addc_co_u32_e64 v3, s[22:23], v39, v3, s[22:23]
	v_add_co_u32_e64 v4, s[22:23], s28, v4
	v_addc_co_u32_e64 v5, s[22:23], v39, v5, s[22:23]
	global_load_dword v39, v[2:3], off
	global_load_dword v40, v[4:5], off
	v_mov_b32_e32 v3, s27
	v_add_co_u32_e64 v2, s[22:23], s28, v6
	v_addc_co_u32_e64 v3, s[22:23], v3, v7, s[22:23]
	v_mov_b32_e32 v5, s27
	v_add_co_u32_e64 v4, s[22:23], s28, v8
	v_addc_co_u32_e64 v5, s[22:23], v5, v9, s[22:23]
	;; [unrolled: 3-line block ×6, first 2 shown]
	global_load_dword v14, v[2:3], off
	global_load_dword v15, v[4:5], off
	;; [unrolled: 1-line block ×6, first 2 shown]
	v_lshlrev_b32_e32 v25, 2, v25
	ds_bpermute_b32 v32, v25, v24
	v_mov_b32_e32 v3, s27
	v_mov_b32_e32 v5, s27
	s_mov_b32 s27, 0x3fb8aa3b
	v_add_co_u32_e64 v2, s[22:23], s28, v18
	s_waitcnt lgkmcnt(0)
	v_max_f32_e32 v4, v32, v32
	v_max_f32_e32 v6, v24, v4
	v_sub_f32_e32 v1, v1, v6
	v_mul_f32_e32 v4, 0x3fb8aa3b, v1
	v_fma_f32 v7, v1, s27, -v4
	v_rndne_f32_e32 v8, v4
	v_fmac_f32_e32 v7, 0x32a5705f, v1
	v_sub_f32_e32 v4, v4, v8
	v_add_f32_e32 v4, v4, v7
	v_addc_co_u32_e64 v3, s[22:23], v3, v19, s[22:23]
	v_exp_f32_e32 v7, v4
	v_cvt_i32_f32_e32 v8, v8
	v_add_co_u32_e64 v4, s[22:23], s28, v20
	v_addc_co_u32_e64 v5, s[22:23], v5, v21, s[22:23]
	global_load_dword v9, v[2:3], off
	global_load_dword v10, v[4:5], off
	v_sub_f32_e32 v4, v38, v6
	v_mul_f32_e32 v5, 0x3fb8aa3b, v4
	v_ldexp_f32 v2, v7, v8
	v_fma_f32 v7, v4, s27, -v5
	v_rndne_f32_e32 v8, v5
	v_fmac_f32_e32 v7, 0x32a5705f, v4
	v_sub_f32_e32 v5, v5, v8
	v_add_f32_e32 v5, v5, v7
	v_exp_f32_e32 v5, v5
	v_cvt_i32_f32_e32 v7, v8
	s_mov_b32 s28, 0xc2ce8ed0
	v_cmp_ngt_f32_e64 s[22:23], s28, v1
	s_mov_b32 s29, 0x42b17218
	v_cndmask_b32_e64 v2, 0, v2, s[22:23]
	v_mov_b32_e32 v3, 0x7f800000
	v_cmp_nlt_f32_e64 s[22:23], s29, v1
	v_cndmask_b32_e64 v1, v3, v2, s[22:23]
	v_ldexp_f32 v2, v5, v7
	v_sub_f32_e32 v5, v26, v6
	v_mul_f32_e32 v7, 0x3fb8aa3b, v5
	v_fma_f32 v8, v5, s27, -v7
	v_rndne_f32_e32 v11, v7
	v_fmac_f32_e32 v8, 0x32a5705f, v5
	v_sub_f32_e32 v7, v7, v11
	v_add_f32_e32 v7, v7, v8
	v_exp_f32_e32 v7, v7
	v_cvt_i32_f32_e32 v8, v11
	v_cndmask_b32_e64 v1, 0, v1, s[20:21]
	v_cmp_ngt_f32_e64 s[20:21], s28, v4
	v_cndmask_b32_e64 v2, 0, v2, s[20:21]
	v_cmp_nlt_f32_e64 s[20:21], s29, v4
	v_ldexp_f32 v4, v7, v8
	v_sub_f32_e32 v7, v27, v6
	v_mul_f32_e32 v8, 0x3fb8aa3b, v7
	v_fma_f32 v11, v7, s27, -v8
	v_rndne_f32_e32 v12, v8
	v_fmac_f32_e32 v11, 0x32a5705f, v7
	v_sub_f32_e32 v8, v8, v12
	v_add_f32_e32 v8, v8, v11
	v_exp_f32_e32 v8, v8
	v_cvt_i32_f32_e32 v11, v12
	v_cndmask_b32_e64 v2, v3, v2, s[20:21]
	v_cndmask_b32_e64 v2, 0, v2, s[18:19]
	v_cmp_ngt_f32_e64 s[18:19], s28, v5
	v_cndmask_b32_e64 v4, 0, v4, s[18:19]
	v_cmp_nlt_f32_e64 s[18:19], s29, v5
	v_ldexp_f32 v5, v8, v11
	v_sub_f32_e32 v8, v28, v6
	v_mul_f32_e32 v11, 0x3fb8aa3b, v8
	v_fma_f32 v12, v8, s27, -v11
	v_rndne_f32_e32 v13, v11
	v_fmac_f32_e32 v12, 0x32a5705f, v8
	v_sub_f32_e32 v11, v11, v13
	v_add_f32_e32 v11, v11, v12
	v_exp_f32_e32 v11, v11
	v_cvt_i32_f32_e32 v12, v13
	v_cndmask_b32_e64 v4, v3, v4, s[18:19]
	v_cndmask_b32_e64 v4, 0, v4, s[16:17]
	v_cmp_ngt_f32_e64 s[16:17], s28, v7
	v_cndmask_b32_e64 v5, 0, v5, s[16:17]
	v_cmp_nlt_f32_e64 s[16:17], s29, v7
	v_ldexp_f32 v7, v11, v12
	v_sub_f32_e32 v11, v29, v6
	v_mul_f32_e32 v12, 0x3fb8aa3b, v11
	s_waitcnt vmcnt(7)
	v_mul_f32_e32 v4, v14, v4
	v_fma_f32 v13, v11, s27, -v12
	v_rndne_f32_e32 v14, v12
	v_fmac_f32_e32 v13, 0x32a5705f, v11
	v_sub_f32_e32 v12, v12, v14
	v_add_f32_e32 v12, v12, v13
	v_exp_f32_e32 v12, v12
	v_cvt_i32_f32_e32 v13, v14
	v_cndmask_b32_e64 v5, v3, v5, s[16:17]
	v_cndmask_b32_e64 v5, 0, v5, s[14:15]
	v_cmp_ngt_f32_e64 s[14:15], s28, v8
	v_cndmask_b32_e64 v7, 0, v7, s[14:15]
	v_cmp_nlt_f32_e64 s[14:15], s29, v8
	v_ldexp_f32 v8, v12, v13
	v_sub_f32_e32 v12, v30, v6
	v_mul_f32_e32 v13, 0x3fb8aa3b, v12
	s_waitcnt vmcnt(6)
	;; [unrolled: 17-line block ×4, first 2 shown]
	v_mul_f32_e32 v8, v17, v8
	v_fma_f32 v16, v14, s27, -v15
	v_rndne_f32_e32 v17, v15
	v_fmac_f32_e32 v16, 0x32a5705f, v14
	v_sub_f32_e32 v15, v15, v17
	v_add_f32_e32 v15, v15, v16
	v_exp_f32_e32 v15, v15
	v_cvt_i32_f32_e32 v16, v17
	v_cndmask_b32_e64 v11, v3, v11, s[10:11]
	v_cndmask_b32_e64 v11, 0, v11, s[8:9]
	v_cmp_ngt_f32_e64 s[8:9], s28, v13
	v_sub_f32_e32 v6, v23, v6
	v_cndmask_b32_e64 v12, 0, v12, s[8:9]
	v_cmp_nlt_f32_e64 s[8:9], s29, v13
	v_ldexp_f32 v13, v15, v16
	v_mul_f32_e32 v15, 0x3fb8aa3b, v6
	v_fma_f32 v16, v6, s27, -v15
	v_rndne_f32_e32 v17, v15
	v_fmac_f32_e32 v16, 0x32a5705f, v6
	v_sub_f32_e32 v15, v15, v17
	v_add_f32_e32 v15, v15, v16
	v_cndmask_b32_e64 v12, v3, v12, s[8:9]
	v_exp_f32_e32 v15, v15
	v_cvt_i32_f32_e32 v16, v17
	v_cndmask_b32_e64 v12, 0, v12, s[2:3]
	v_cmp_ngt_f32_e64 s[2:3], s28, v14
	v_cndmask_b32_e64 v13, 0, v13, s[2:3]
	v_cmp_nlt_f32_e64 s[2:3], s29, v14
	v_cndmask_b32_e64 v13, v3, v13, s[2:3]
	v_mul_f32_e32 v1, v39, v1
	v_mul_f32_e32 v2, v40, v2
	v_cndmask_b32_e64 v13, 0, v13, s[0:1]
	v_ldexp_f32 v14, v15, v16
	v_cmp_ngt_f32_e64 s[0:1], s28, v6
	v_cndmask_b32_e64 v14, 0, v14, s[0:1]
	v_cmp_nlt_f32_e64 s[0:1], s29, v6
	v_add_f32_e32 v6, v1, v2
	v_add_f32_e32 v6, v6, v4
	;; [unrolled: 1-line block ×5, first 2 shown]
	s_waitcnt vmcnt(3)
	v_fmac_f32_e32 v6, v41, v11
	v_cndmask_b32_e64 v3, v3, v14, s[0:1]
	s_waitcnt vmcnt(2)
	v_fmac_f32_e32 v6, v42, v12
	v_cndmask_b32_e32 v3, 0, v3, vcc
	s_waitcnt vmcnt(1)
	v_fmac_f32_e32 v6, v9, v13
	s_waitcnt vmcnt(0)
	v_fmac_f32_e32 v6, v10, v3
	ds_bpermute_b32 v14, v33, v6
	v_mul_f32_e32 v9, v9, v13
	v_mul_f32_e32 v3, v10, v3
	v_lshlrev_b32_e32 v10, 2, v0
	ds_write2st64_b32 v10, v1, v2 offset1:1
	ds_write2st64_b32 v10, v4, v5 offset0:2 offset1:3
	s_waitcnt lgkmcnt(2)
	v_add_f32_e32 v6, v6, v14
	ds_bpermute_b32 v14, v34, v6
	v_cmp_eq_u32_e32 vcc, 0, v0
	v_mul_f32_e32 v11, v41, v11
	v_mul_f32_e32 v12, v42, v12
	ds_write2st64_b32 v10, v7, v8 offset0:4 offset1:5
	ds_write2st64_b32 v10, v11, v12 offset0:6 offset1:7
	;; [unrolled: 1-line block ×3, first 2 shown]
	s_waitcnt lgkmcnt(3)
	v_add_f32_e32 v6, v6, v14
	ds_bpermute_b32 v14, v35, v6
	s_waitcnt lgkmcnt(0)
	v_add_f32_e32 v6, v6, v14
	ds_bpermute_b32 v14, v36, v6
	;; [unrolled: 3-line block ×4, first 2 shown]
	s_and_saveexec_b64 s[0:1], vcc
	s_cbranch_execz .LBB125_8
; %bb.7:
	s_waitcnt lgkmcnt(0)
	v_add_f32_e32 v1, v1, v2
	v_mov_b32_e32 v2, 0
	ds_write_b32 v2, v1 offset:2560
.LBB125_8:
	s_or_b64 exec, exec, s[0:1]
	v_mov_b32_e32 v1, s26
.LBB125_9:
	s_or_b64 exec, exec, s[42:43]
	s_lshl_b32 s0, s44, 7
	s_mov_b32 s1, 0
	s_lshl_b64 s[0:1], s[0:1], 1
	s_add_u32 s0, s24, s0
	s_addc_u32 s1, s25, s1
	s_lshl_b32 s10, s33, 7
	s_waitcnt lgkmcnt(0)
	v_lshlrev_b32_e32 v2, 7, v1
	v_mov_b32_e32 v3, 0
	s_add_i32 s11, s10, 0xffffff80
	v_lshlrev_b64 v[4:5], 1, v[2:3]
	s_cmp_lt_i32 s48, 1
	v_mov_b32_e32 v1, s1
	v_add_co_u32_e32 v2, vcc, s0, v4
	s_cselect_b32 s0, s11, 0
	v_addc_co_u32_e32 v4, vcc, v1, v5, vcc
	v_lshlrev_b32_e32 v0, 1, v0
	s_ashr_i32 s1, s0, 31
	v_add_co_u32_e32 v1, vcc, v2, v0
	s_lshl_b64 s[0:1], s[0:1], 1
	v_addc_co_u32_e32 v2, vcc, 0, v4, vcc
	s_cmpk_lt_i32 s48, 0x101
	v_add_co_u32_e32 v12, vcc, s0, v1
	s_cselect_b32 s0, s11, 0x80
	v_mov_b32_e32 v4, s1
	s_ashr_i32 s1, s0, 31
	s_lshl_b64 s[0:1], s[0:1], 1
	v_addc_co_u32_e32 v13, vcc, v2, v4, vcc
	s_cmpk_lt_i32 s48, 0x201
	v_add_co_u32_e32 v14, vcc, s0, v1
	s_cselect_b32 s0, s11, 0x100
	v_mov_b32_e32 v4, s1
	s_ashr_i32 s1, s0, 31
	;; [unrolled: 7-line block ×8, first 2 shown]
	s_lshl_b64 s[0:1], s[0:1], 1
	v_addc_co_u32_e32 v27, vcc, v2, v4, vcc
	s_cmpk_lt_i32 s48, 0x901
	global_load_ushort v4, v[12:13], off
	global_load_ushort v5, v[14:15], off
	;; [unrolled: 1-line block ×8, first 2 shown]
	v_add_co_u32_e32 v20, vcc, s0, v1
	s_cselect_b32 s0, s11, 0x480
	v_mov_b32_e32 v12, s1
	s_ashr_i32 s1, s0, 31
	s_lshl_b64 s[0:1], s[0:1], 1
	v_addc_co_u32_e32 v21, vcc, v2, v12, vcc
	s_cmpk_lt_i32 s48, 0xa01
	v_add_co_u32_e32 v22, vcc, s0, v1
	s_cselect_b32 s0, s11, 0x500
	v_mov_b32_e32 v12, s1
	s_ashr_i32 s1, s0, 31
	s_lshl_b64 s[0:1], s[0:1], 1
	v_addc_co_u32_e32 v23, vcc, v2, v12, vcc
	s_cmpk_lt_i32 s48, 0xb01
	;; [unrolled: 7-line block ×6, first 2 shown]
	v_add_co_u32_e32 v32, vcc, s0, v1
	s_cselect_b32 s0, s11, 0x780
	v_mov_b32_e32 v12, s1
	s_ashr_i32 s1, s0, 31
	v_addc_co_u32_e32 v33, vcc, v2, v12, vcc
	s_lshl_b64 s[0:1], s[0:1], 1
	v_mov_b32_e32 v12, s1
	v_add_co_u32_e32 v34, vcc, s0, v1
	v_addc_co_u32_e32 v35, vcc, v2, v12, vcc
	global_load_ushort v12, v[20:21], off
	global_load_ushort v13, v[22:23], off
	;; [unrolled: 1-line block ×8, first 2 shown]
	s_cmpk_gt_i32 s48, 0x1000
	s_cselect_b64 s[8:9], -1, 0
	s_cmpk_lt_i32 s48, 0x1001
	v_mov_b32_e32 v36, 0
	v_mov_b32_e32 v37, 0
	;; [unrolled: 1-line block ×48, first 2 shown]
	s_barrier
	s_cbranch_scc1 .LBB125_12
; %bb.10:
	s_cmpk_lt_u32 s48, 0x1101
	s_cselect_b32 s0, s11, 0x880
	s_ashr_i32 s1, s0, 31
	v_add_co_u32_e32 v28, vcc, 0x1000, v1
	s_lshl_b64 s[0:1], s[0:1], 1
	v_addc_co_u32_e32 v29, vcc, 0, v2, vcc
	s_cmpk_lt_u32 s48, 0x1201
	v_add_co_u32_e32 v30, vcc, s0, v1
	s_cselect_b32 s0, s11, 0x900
	v_mov_b32_e32 v20, s1
	s_ashr_i32 s1, s0, 31
	s_lshl_b64 s[0:1], s[0:1], 1
	v_addc_co_u32_e32 v31, vcc, v2, v20, vcc
	s_cmpk_lt_u32 s48, 0x1301
	v_add_co_u32_e32 v32, vcc, s0, v1
	s_cselect_b32 s0, s11, 0x980
	v_mov_b32_e32 v20, s1
	s_ashr_i32 s1, s0, 31
	;; [unrolled: 7-line block ×7, first 2 shown]
	s_lshl_b64 s[0:1], s[0:1], 1
	v_addc_co_u32_e32 v43, vcc, v2, v20, vcc
	s_cmpk_lt_u32 s48, 0x1901
	global_load_ushort v27, v[28:29], off
	global_load_ushort v26, v[30:31], off
	;; [unrolled: 1-line block ×8, first 2 shown]
	v_add_co_u32_e32 v36, vcc, s0, v1
	s_cselect_b32 s0, s11, 0xc80
	v_mov_b32_e32 v28, s1
	s_ashr_i32 s1, s0, 31
	s_lshl_b64 s[0:1], s[0:1], 1
	v_addc_co_u32_e32 v37, vcc, v2, v28, vcc
	s_cmpk_lt_u32 s48, 0x1a01
	v_add_co_u32_e32 v38, vcc, s0, v1
	s_cselect_b32 s0, s11, 0xd00
	v_mov_b32_e32 v28, s1
	s_ashr_i32 s1, s0, 31
	s_lshl_b64 s[0:1], s[0:1], 1
	v_addc_co_u32_e32 v39, vcc, v2, v28, vcc
	s_cmpk_lt_u32 s48, 0x1b01
	;; [unrolled: 7-line block ×6, first 2 shown]
	v_add_co_u32_e32 v48, vcc, s0, v1
	s_cselect_b32 s0, s11, 0xf80
	v_mov_b32_e32 v28, s1
	s_ashr_i32 s1, s0, 31
	v_addc_co_u32_e32 v49, vcc, v2, v28, vcc
	s_lshl_b64 s[0:1], s[0:1], 1
	v_mov_b32_e32 v28, s1
	v_add_co_u32_e32 v50, vcc, s0, v1
	v_addc_co_u32_e32 v51, vcc, v2, v28, vcc
	global_load_ushort v35, v[36:37], off
	global_load_ushort v34, v[38:39], off
	;; [unrolled: 1-line block ×8, first 2 shown]
	s_cmpk_lt_u32 s48, 0x2001
	v_mov_b32_e32 v67, 0
	v_mov_b32_e32 v66, 0
	;; [unrolled: 1-line block ×32, first 2 shown]
	s_cbranch_scc1 .LBB125_12
; %bb.11:
	s_cmpk_lt_u32 s48, 0x2101
	s_cselect_b32 s0, s11, 0x1080
	s_ashr_i32 s1, s0, 31
	v_add_co_u32_e32 v36, vcc, 0x2000, v1
	s_lshl_b64 s[0:1], s[0:1], 1
	v_addc_co_u32_e32 v37, vcc, 0, v2, vcc
	s_cmpk_lt_u32 s48, 0x2201
	v_add_co_u32_e32 v38, vcc, s0, v1
	s_cselect_b32 s0, s11, 0x1100
	v_mov_b32_e32 v39, s1
	s_ashr_i32 s1, s0, 31
	s_lshl_b64 s[0:1], s[0:1], 1
	v_addc_co_u32_e32 v39, vcc, v2, v39, vcc
	s_cmpk_lt_u32 s48, 0x2301
	v_add_co_u32_e32 v40, vcc, s0, v1
	s_cselect_b32 s0, s11, 0x1180
	v_mov_b32_e32 v41, s1
	s_ashr_i32 s1, s0, 31
	s_lshl_b64 s[0:1], s[0:1], 1
	v_addc_co_u32_e32 v41, vcc, v2, v41, vcc
	s_cmpk_lt_u32 s48, 0x2401
	v_add_co_u32_e32 v42, vcc, s0, v1
	s_cselect_b32 s0, s11, 0x1200
	v_mov_b32_e32 v43, s1
	s_ashr_i32 s1, s0, 31
	s_lshl_b64 s[0:1], s[0:1], 1
	v_addc_co_u32_e32 v43, vcc, v2, v43, vcc
	s_cmpk_lt_u32 s48, 0x2501
	v_add_co_u32_e32 v44, vcc, s0, v1
	s_cselect_b32 s0, s11, 0x1280
	v_mov_b32_e32 v45, s1
	s_ashr_i32 s1, s0, 31
	s_lshl_b64 s[0:1], s[0:1], 1
	v_addc_co_u32_e32 v45, vcc, v2, v45, vcc
	s_cmpk_lt_u32 s48, 0x2601
	v_add_co_u32_e32 v46, vcc, s0, v1
	s_cselect_b32 s0, s11, 0x1300
	v_mov_b32_e32 v47, s1
	s_ashr_i32 s1, s0, 31
	s_lshl_b64 s[0:1], s[0:1], 1
	v_addc_co_u32_e32 v47, vcc, v2, v47, vcc
	s_cmpk_lt_u32 s48, 0x2701
	v_add_co_u32_e32 v48, vcc, s0, v1
	s_cselect_b32 s0, s11, 0x1380
	v_mov_b32_e32 v49, s1
	s_ashr_i32 s1, s0, 31
	s_lshl_b64 s[0:1], s[0:1], 1
	v_addc_co_u32_e32 v49, vcc, v2, v49, vcc
	s_cmpk_lt_u32 s48, 0x2801
	v_add_co_u32_e32 v50, vcc, s0, v1
	s_cselect_b32 s0, s11, 0x1400
	v_mov_b32_e32 v51, s1
	s_ashr_i32 s1, s0, 31
	s_lshl_b64 s[0:1], s[0:1], 1
	v_addc_co_u32_e32 v51, vcc, v2, v51, vcc
	s_cmpk_lt_u32 s48, 0x2901
	global_load_ushort v52, v[36:37], off
	global_load_ushort v53, v[38:39], off
	global_load_ushort v54, v[40:41], off
	global_load_ushort v55, v[42:43], off
	global_load_ushort v56, v[44:45], off
	global_load_ushort v57, v[46:47], off
	global_load_ushort v58, v[48:49], off
	global_load_ushort v59, v[50:51], off
	v_add_co_u32_e32 v36, vcc, s0, v1
	s_cselect_b32 s0, s11, 0x1480
	v_mov_b32_e32 v37, s1
	s_ashr_i32 s1, s0, 31
	s_lshl_b64 s[0:1], s[0:1], 1
	v_addc_co_u32_e32 v37, vcc, v2, v37, vcc
	s_cmpk_lt_u32 s48, 0x2a01
	v_add_co_u32_e32 v38, vcc, s0, v1
	s_cselect_b32 s0, s11, 0x1500
	v_mov_b32_e32 v39, s1
	s_ashr_i32 s1, s0, 31
	s_lshl_b64 s[0:1], s[0:1], 1
	v_addc_co_u32_e32 v39, vcc, v2, v39, vcc
	s_cmpk_lt_u32 s48, 0x2b01
	v_add_co_u32_e32 v40, vcc, s0, v1
	s_cselect_b32 s0, s11, 0x1580
	v_mov_b32_e32 v41, s1
	s_ashr_i32 s1, s0, 31
	s_lshl_b64 s[0:1], s[0:1], 1
	v_addc_co_u32_e32 v41, vcc, v2, v41, vcc
	s_cmpk_lt_u32 s48, 0x2c01
	v_add_co_u32_e32 v42, vcc, s0, v1
	s_cselect_b32 s0, s11, 0x1600
	v_mov_b32_e32 v43, s1
	s_ashr_i32 s1, s0, 31
	s_lshl_b64 s[0:1], s[0:1], 1
	v_addc_co_u32_e32 v43, vcc, v2, v43, vcc
	s_cmpk_lt_u32 s48, 0x2d01
	v_add_co_u32_e32 v44, vcc, s0, v1
	s_cselect_b32 s0, s11, 0x1680
	v_mov_b32_e32 v45, s1
	s_ashr_i32 s1, s0, 31
	s_lshl_b64 s[0:1], s[0:1], 1
	v_addc_co_u32_e32 v45, vcc, v2, v45, vcc
	s_cmpk_lt_u32 s48, 0x2e01
	v_add_co_u32_e32 v46, vcc, s0, v1
	s_cselect_b32 s0, s11, 0x1700
	v_mov_b32_e32 v47, s1
	s_ashr_i32 s1, s0, 31
	s_lshl_b64 s[0:1], s[0:1], 1
	v_addc_co_u32_e32 v47, vcc, v2, v47, vcc
	s_cmpk_lt_u32 s48, 0x2f01
	v_add_co_u32_e32 v48, vcc, s0, v1
	s_cselect_b32 s0, s11, 0x1780
	v_mov_b32_e32 v49, s1
	s_ashr_i32 s1, s0, 31
	s_lshl_b64 s[0:1], s[0:1], 1
	v_addc_co_u32_e32 v49, vcc, v2, v49, vcc
	s_cmpk_lt_u32 s48, 0x3001
	v_add_co_u32_e32 v50, vcc, s0, v1
	s_cselect_b32 s0, s11, 0x1800
	v_mov_b32_e32 v51, s1
	s_ashr_i32 s1, s0, 31
	s_lshl_b64 s[0:1], s[0:1], 1
	v_addc_co_u32_e32 v51, vcc, v2, v51, vcc
	s_cmpk_lt_u32 s48, 0x3101
	global_load_ushort v68, v[36:37], off
	global_load_ushort v69, v[38:39], off
	global_load_ushort v70, v[40:41], off
	global_load_ushort v71, v[42:43], off
	global_load_ushort v72, v[44:45], off
	global_load_ushort v73, v[46:47], off
	global_load_ushort v74, v[48:49], off
	global_load_ushort v75, v[50:51], off
	v_add_co_u32_e32 v36, vcc, s0, v1
	s_cselect_b32 s0, s11, 0x1880
	v_mov_b32_e32 v37, s1
	s_ashr_i32 s1, s0, 31
	;; [unrolled: 64-line block ×3, first 2 shown]
	s_lshl_b64 s[0:1], s[0:1], 1
	v_addc_co_u32_e32 v37, vcc, v2, v37, vcc
	s_cmpk_lt_u32 s48, 0x3a01
	v_add_co_u32_e32 v38, vcc, s0, v1
	s_cselect_b32 s0, s11, 0x1d00
	v_mov_b32_e32 v39, s1
	s_ashr_i32 s1, s0, 31
	s_lshl_b64 s[0:1], s[0:1], 1
	v_addc_co_u32_e32 v39, vcc, v2, v39, vcc
	s_cmpk_lt_u32 s48, 0x3b01
	v_add_co_u32_e32 v40, vcc, s0, v1
	s_cselect_b32 s0, s11, 0x1d80
	v_mov_b32_e32 v41, s1
	s_ashr_i32 s1, s0, 31
	;; [unrolled: 7-line block ×6, first 2 shown]
	v_addc_co_u32_e32 v49, vcc, v2, v49, vcc
	s_lshl_b64 s[0:1], s[0:1], 1
	v_mov_b32_e32 v51, s1
	v_add_co_u32_e32 v50, vcc, s0, v1
	v_addc_co_u32_e32 v51, vcc, v2, v51, vcc
	global_load_ushort v84, v[36:37], off
	global_load_ushort v85, v[38:39], off
	;; [unrolled: 1-line block ×8, first 2 shown]
	s_waitcnt vmcnt(31)
	v_cvt_f32_f16_e32 v67, v52
	s_waitcnt vmcnt(30)
	v_cvt_f32_f16_e32 v66, v53
	;; [unrolled: 2-line block ×32, first 2 shown]
.LBB125_12:
	ds_read_b128 v[68:71], v3
	s_load_dwordx2 s[0:1], s[4:5], 0x0
	s_load_dwordx2 s[2:3], s[4:5], 0x38
	ds_read_b128 v[72:75], v3 offset:16
	ds_read_b128 v[76:79], v3 offset:32
	;; [unrolled: 1-line block ×3, first 2 shown]
	s_and_b64 vcc, exec, s[8:9]
	s_waitcnt vmcnt(15) lgkmcnt(0)
	v_fma_mix_f32 v4, v68, v4, 0 op_sel_hi:[0,1,0]
	s_waitcnt vmcnt(14)
	v_fma_mix_f32 v4, v69, v5, v4 op_sel_hi:[0,1,0]
	s_waitcnt vmcnt(13)
	;; [unrolled: 2-line block ×15, first 2 shown]
	v_fma_mix_f32 v4, v83, v19, v4 op_sel_hi:[0,1,0]
	s_cbranch_vccz .LBB125_15
; %bb.13:
	ds_read_b128 v[6:9], v3 offset:64
	ds_read_b128 v[10:13], v3 offset:80
	;; [unrolled: 1-line block ×4, first 2 shown]
	s_cmpk_lt_u32 s48, 0x2001
	s_waitcnt lgkmcnt(3)
	v_fma_mix_f32 v3, v6, v27, v4 op_sel_hi:[0,1,0]
	v_fma_mix_f32 v3, v7, v26, v3 op_sel_hi:[0,1,0]
	v_fma_mix_f32 v3, v8, v25, v3 op_sel_hi:[0,1,0]
	v_fma_mix_f32 v3, v9, v24, v3 op_sel_hi:[0,1,0]
	s_waitcnt lgkmcnt(2)
	v_fma_mix_f32 v3, v10, v23, v3 op_sel_hi:[0,1,0]
	v_fma_mix_f32 v3, v11, v22, v3 op_sel_hi:[0,1,0]
	v_fma_mix_f32 v3, v12, v20, v3 op_sel_hi:[0,1,0]
	v_fma_mix_f32 v3, v13, v21, v3 op_sel_hi:[0,1,0]
	;; [unrolled: 5-line block ×4, first 2 shown]
	s_cbranch_scc1 .LBB125_15
; %bb.14:
	v_mov_b32_e32 v3, 0
	ds_read_b128 v[6:9], v3 offset:128
	ds_read_b128 v[10:13], v3 offset:144
	;; [unrolled: 1-line block ×4, first 2 shown]
	s_waitcnt lgkmcnt(3)
	v_fmac_f32_e32 v4, v6, v67
	v_fmac_f32_e32 v4, v7, v66
	v_fmac_f32_e32 v4, v8, v65
	v_fmac_f32_e32 v4, v9, v64
	s_waitcnt lgkmcnt(2)
	v_fmac_f32_e32 v4, v10, v63
	v_fmac_f32_e32 v4, v11, v62
	v_fmac_f32_e32 v4, v12, v61
	v_fmac_f32_e32 v4, v13, v60
	;; [unrolled: 5-line block ×3, first 2 shown]
	ds_read_b128 v[6:9], v3 offset:192
	ds_read_b128 v[10:13], v3 offset:208
	s_waitcnt lgkmcnt(2)
	v_fmac_f32_e32 v4, v18, v55
	v_fmac_f32_e32 v4, v19, v54
	;; [unrolled: 1-line block ×4, first 2 shown]
	s_waitcnt lgkmcnt(1)
	v_fmac_f32_e32 v4, v6, v51
	v_fmac_f32_e32 v4, v7, v50
	;; [unrolled: 1-line block ×4, first 2 shown]
	ds_read_b128 v[6:9], v3 offset:224
	s_waitcnt lgkmcnt(1)
	v_fmac_f32_e32 v4, v10, v47
	v_fmac_f32_e32 v4, v11, v46
	;; [unrolled: 1-line block ×4, first 2 shown]
	ds_read_b128 v[10:13], v3 offset:240
	s_waitcnt lgkmcnt(1)
	v_fmac_f32_e32 v4, v6, v43
	v_fmac_f32_e32 v4, v7, v42
	;; [unrolled: 1-line block ×4, first 2 shown]
	s_waitcnt lgkmcnt(0)
	v_fmac_f32_e32 v4, v10, v39
	v_fmac_f32_e32 v4, v11, v38
	;; [unrolled: 1-line block ×4, first 2 shown]
.LBB125_15:
	s_movk_i32 s4, 0x3f80
	s_movk_i32 s5, 0x100
	s_mov_b32 s8, 64
	s_branch .LBB125_17
.LBB125_16:                             ;   in Loop: Header=BB125_17 Depth=1
	s_addk_i32 s4, 0x2000
	s_addk_i32 s5, 0x100
	s_add_i32 s8, s8, 64
	s_cmp_eq_u32 s4, 0x15f80
	s_cbranch_scc1 .LBB125_19
.LBB125_17:                             ; =>This Inner Loop Header: Depth=1
	s_cmp_le_i32 s33, s8
	s_cbranch_scc1 .LBB125_16
; %bb.18:                               ;   in Loop: Header=BB125_17 Depth=1
	s_add_i32 s9, s4, 0xffffe080
	s_cmp_lt_i32 s9, s10
	s_cselect_b32 s12, s9, s11
	s_ashr_i32 s13, s12, 31
	s_lshl_b64 s[12:13], s[12:13], 1
	s_add_i32 s9, s4, 0xffffe100
	s_cmp_lt_i32 s9, s10
	v_add_co_u32_e32 v12, vcc, s12, v1
	s_cselect_b32 s12, s9, s11
	v_mov_b32_e32 v3, s13
	s_ashr_i32 s13, s12, 31
	s_lshl_b64 s[12:13], s[12:13], 1
	s_add_i32 s9, s4, 0xffffe180
	v_addc_co_u32_e32 v13, vcc, v2, v3, vcc
	s_cmp_lt_i32 s9, s10
	v_add_co_u32_e32 v14, vcc, s12, v1
	s_cselect_b32 s12, s9, s11
	v_mov_b32_e32 v3, s13
	s_ashr_i32 s13, s12, 31
	s_lshl_b64 s[12:13], s[12:13], 1
	s_add_i32 s9, s4, 0xffffe200
	v_addc_co_u32_e32 v15, vcc, v2, v3, vcc
	;; [unrolled: 8-line block ×8, first 2 shown]
	s_cmp_lt_i32 s9, s10
	global_load_ushort v3, v[12:13], off
	global_load_ushort v5, v[14:15], off
	;; [unrolled: 1-line block ×8, first 2 shown]
	v_add_co_u32_e32 v20, vcc, s12, v1
	s_cselect_b32 s12, s9, s11
	v_mov_b32_e32 v12, s13
	s_ashr_i32 s13, s12, 31
	s_lshl_b64 s[12:13], s[12:13], 1
	s_add_i32 s9, s4, 0xffffe580
	v_addc_co_u32_e32 v21, vcc, v2, v12, vcc
	s_cmp_lt_i32 s9, s10
	v_add_co_u32_e32 v22, vcc, s12, v1
	s_cselect_b32 s12, s9, s11
	v_mov_b32_e32 v12, s13
	s_ashr_i32 s13, s12, 31
	s_lshl_b64 s[12:13], s[12:13], 1
	s_add_i32 s9, s4, 0xffffe600
	v_addc_co_u32_e32 v23, vcc, v2, v12, vcc
	s_cmp_lt_i32 s9, s10
	;; [unrolled: 8-line block ×8, first 2 shown]
	global_load_ushort v15, v[20:21], off
	global_load_ushort v16, v[22:23], off
	;; [unrolled: 1-line block ×8, first 2 shown]
	v_add_co_u32_e32 v28, vcc, s12, v1
	s_cselect_b32 s12, s9, s11
	v_mov_b32_e32 v20, s13
	s_ashr_i32 s13, s12, 31
	s_lshl_b64 s[12:13], s[12:13], 1
	s_add_i32 s9, s4, 0xffffe980
	v_addc_co_u32_e32 v29, vcc, v2, v20, vcc
	s_cmp_lt_i32 s9, s10
	v_add_co_u32_e32 v30, vcc, s12, v1
	s_cselect_b32 s12, s9, s11
	v_mov_b32_e32 v20, s13
	s_ashr_i32 s13, s12, 31
	s_lshl_b64 s[12:13], s[12:13], 1
	s_add_i32 s9, s4, 0xffffea00
	v_addc_co_u32_e32 v31, vcc, v2, v20, vcc
	s_cmp_lt_i32 s9, s10
	;; [unrolled: 8-line block ×8, first 2 shown]
	global_load_ushort v23, v[28:29], off
	global_load_ushort v24, v[30:31], off
	;; [unrolled: 1-line block ×8, first 2 shown]
	v_add_co_u32_e32 v36, vcc, s12, v1
	s_cselect_b32 s12, s9, s11
	v_mov_b32_e32 v28, s13
	s_ashr_i32 s13, s12, 31
	s_lshl_b64 s[12:13], s[12:13], 1
	s_add_i32 s9, s4, 0xffffed80
	v_addc_co_u32_e32 v37, vcc, v2, v28, vcc
	s_cmp_lt_i32 s9, s10
	v_add_co_u32_e32 v38, vcc, s12, v1
	s_cselect_b32 s12, s9, s11
	v_mov_b32_e32 v28, s13
	s_ashr_i32 s13, s12, 31
	s_lshl_b64 s[12:13], s[12:13], 1
	s_add_i32 s9, s4, 0xffffee00
	v_addc_co_u32_e32 v39, vcc, v2, v28, vcc
	s_cmp_lt_i32 s9, s10
	;; [unrolled: 8-line block ×8, first 2 shown]
	global_load_ushort v31, v[36:37], off
	global_load_ushort v32, v[38:39], off
	;; [unrolled: 1-line block ×8, first 2 shown]
	v_add_co_u32_e32 v36, vcc, s12, v1
	s_cselect_b32 s12, s9, s11
	v_mov_b32_e32 v37, s13
	s_ashr_i32 s13, s12, 31
	s_lshl_b64 s[12:13], s[12:13], 1
	s_add_i32 s9, s4, 0xfffff180
	v_addc_co_u32_e32 v37, vcc, v2, v37, vcc
	s_cmp_lt_i32 s9, s10
	v_add_co_u32_e32 v38, vcc, s12, v1
	s_cselect_b32 s12, s9, s11
	v_mov_b32_e32 v39, s13
	s_ashr_i32 s13, s12, 31
	s_lshl_b64 s[12:13], s[12:13], 1
	s_add_i32 s9, s4, 0xfffff200
	v_addc_co_u32_e32 v39, vcc, v2, v39, vcc
	s_cmp_lt_i32 s9, s10
	;; [unrolled: 8-line block ×8, first 2 shown]
	global_load_ushort v52, v[36:37], off
	global_load_ushort v53, v[38:39], off
	;; [unrolled: 1-line block ×8, first 2 shown]
	v_add_co_u32_e32 v36, vcc, s12, v1
	s_cselect_b32 s12, s9, s11
	v_mov_b32_e32 v37, s13
	s_ashr_i32 s13, s12, 31
	s_lshl_b64 s[12:13], s[12:13], 1
	s_add_i32 s9, s4, 0xfffff580
	v_addc_co_u32_e32 v37, vcc, v2, v37, vcc
	s_cmp_lt_i32 s9, s10
	v_add_co_u32_e32 v38, vcc, s12, v1
	s_cselect_b32 s12, s9, s11
	v_mov_b32_e32 v39, s13
	s_ashr_i32 s13, s12, 31
	s_lshl_b64 s[12:13], s[12:13], 1
	s_add_i32 s9, s4, 0xfffff600
	v_addc_co_u32_e32 v39, vcc, v2, v39, vcc
	s_cmp_lt_i32 s9, s10
	;; [unrolled: 8-line block ×8, first 2 shown]
	global_load_ushort v60, v[36:37], off
	global_load_ushort v61, v[38:39], off
	;; [unrolled: 1-line block ×8, first 2 shown]
	v_add_co_u32_e32 v36, vcc, s12, v1
	s_cselect_b32 s12, s9, s11
	v_mov_b32_e32 v37, s13
	s_ashr_i32 s13, s12, 31
	s_lshl_b64 s[12:13], s[12:13], 1
	s_add_i32 s9, s4, 0xfffff980
	v_addc_co_u32_e32 v37, vcc, v2, v37, vcc
	s_cmp_lt_i32 s9, s10
	v_add_co_u32_e32 v38, vcc, s12, v1
	s_cselect_b32 s12, s9, s11
	v_mov_b32_e32 v39, s13
	s_ashr_i32 s13, s12, 31
	s_lshl_b64 s[12:13], s[12:13], 1
	s_add_i32 s9, s4, 0xfffffa00
	v_addc_co_u32_e32 v39, vcc, v2, v39, vcc
	s_cmp_lt_i32 s9, s10
	;; [unrolled: 8-line block ×8, first 2 shown]
	global_load_ushort v68, v[36:37], off
	global_load_ushort v69, v[38:39], off
	;; [unrolled: 1-line block ×8, first 2 shown]
	v_add_co_u32_e32 v36, vcc, s12, v1
	s_cselect_b32 s12, s9, s11
	v_mov_b32_e32 v37, s13
	s_ashr_i32 s13, s12, 31
	s_lshl_b64 s[12:13], s[12:13], 1
	s_add_i32 s9, s4, 0xfffffd80
	v_addc_co_u32_e32 v37, vcc, v2, v37, vcc
	s_cmp_lt_i32 s9, s10
	v_add_co_u32_e32 v38, vcc, s12, v1
	s_cselect_b32 s12, s9, s11
	v_mov_b32_e32 v39, s13
	s_ashr_i32 s13, s12, 31
	s_lshl_b64 s[12:13], s[12:13], 1
	s_add_i32 s9, s4, 0xfffffe00
	v_addc_co_u32_e32 v39, vcc, v2, v39, vcc
	s_cmp_lt_i32 s9, s10
	;; [unrolled: 8-line block ×5, first 2 shown]
	v_add_co_u32_e32 v46, vcc, s12, v1
	s_cselect_b32 s12, s9, s11
	v_mov_b32_e32 v47, s13
	s_ashr_i32 s13, s12, 31
	s_lshl_b64 s[12:13], s[12:13], 1
	v_addc_co_u32_e32 v47, vcc, v2, v47, vcc
	s_cmp_lt_i32 s4, s10
	v_add_co_u32_e32 v48, vcc, s12, v1
	s_cselect_b32 s12, s4, s11
	v_mov_b32_e32 v49, s13
	s_ashr_i32 s13, s12, 31
	v_addc_co_u32_e32 v49, vcc, v2, v49, vcc
	s_lshl_b64 s[12:13], s[12:13], 1
	v_mov_b32_e32 v51, s13
	v_add_co_u32_e32 v50, vcc, s12, v1
	v_addc_co_u32_e32 v51, vcc, v2, v51, vcc
	global_load_ushort v76, v[36:37], off
	global_load_ushort v77, v[38:39], off
	;; [unrolled: 1-line block ×8, first 2 shown]
	v_mov_b32_e32 v84, s5
	ds_read_b128 v[36:39], v84
	ds_read_b128 v[40:43], v84 offset:16
	ds_read_b128 v[44:47], v84 offset:32
	;; [unrolled: 1-line block ×3, first 2 shown]
	s_waitcnt vmcnt(62) lgkmcnt(3)
	v_fma_mix_f32 v3, v36, v3, v4 op_sel_hi:[0,1,0]
	v_fma_mix_f32 v3, v37, v5, v3 op_sel_hi:[0,1,0]
	s_waitcnt vmcnt(61)
	v_fma_mix_f32 v3, v38, v6, v3 op_sel_hi:[0,1,0]
	s_waitcnt vmcnt(60)
	v_fma_mix_f32 v3, v39, v7, v3 op_sel_hi:[0,1,0]
	s_waitcnt vmcnt(59) lgkmcnt(2)
	v_fma_mix_f32 v3, v40, v8, v3 op_sel_hi:[0,1,0]
	s_waitcnt vmcnt(58)
	v_fma_mix_f32 v3, v41, v9, v3 op_sel_hi:[0,1,0]
	s_waitcnt vmcnt(57)
	;; [unrolled: 2-line block ×3, first 2 shown]
	v_fma_mix_f32 v3, v43, v11, v3 op_sel_hi:[0,1,0]
	s_waitcnt vmcnt(55) lgkmcnt(1)
	v_fma_mix_f32 v3, v44, v15, v3 op_sel_hi:[0,1,0]
	s_waitcnt vmcnt(54)
	v_fma_mix_f32 v3, v45, v16, v3 op_sel_hi:[0,1,0]
	s_waitcnt vmcnt(53)
	;; [unrolled: 2-line block ×3, first 2 shown]
	v_fma_mix_f32 v3, v47, v18, v3 op_sel_hi:[0,1,0]
	ds_read_b128 v[4:7], v84 offset:64
	ds_read_b128 v[8:11], v84 offset:80
	s_waitcnt vmcnt(51) lgkmcnt(2)
	v_fma_mix_f32 v3, v48, v19, v3 op_sel_hi:[0,1,0]
	s_waitcnt vmcnt(50)
	v_fma_mix_f32 v3, v49, v12, v3 op_sel_hi:[0,1,0]
	s_waitcnt vmcnt(49)
	;; [unrolled: 2-line block ×3, first 2 shown]
	v_fma_mix_f32 v3, v51, v14, v3 op_sel_hi:[0,1,0]
	s_waitcnt vmcnt(47) lgkmcnt(1)
	v_fma_mix_f32 v3, v4, v23, v3 op_sel_hi:[0,1,0]
	s_waitcnt vmcnt(46)
	v_fma_mix_f32 v3, v5, v24, v3 op_sel_hi:[0,1,0]
	s_waitcnt vmcnt(45)
	v_fma_mix_f32 v3, v6, v25, v3 op_sel_hi:[0,1,0]
	s_waitcnt vmcnt(44)
	v_fma_mix_f32 v3, v7, v26, v3 op_sel_hi:[0,1,0]
	ds_read_b128 v[4:7], v84 offset:96
	s_waitcnt vmcnt(43) lgkmcnt(1)
	v_fma_mix_f32 v3, v8, v27, v3 op_sel_hi:[0,1,0]
	s_waitcnt vmcnt(42)
	v_fma_mix_f32 v3, v9, v20, v3 op_sel_hi:[0,1,0]
	s_waitcnt vmcnt(41)
	v_fma_mix_f32 v3, v10, v21, v3 op_sel_hi:[0,1,0]
	s_waitcnt vmcnt(40)
	v_fma_mix_f32 v3, v11, v22, v3 op_sel_hi:[0,1,0]
	ds_read_b128 v[8:11], v84 offset:112
	;; [unrolled: 9-line block ×10, first 2 shown]
	s_waitcnt vmcnt(7) lgkmcnt(1)
	v_fma_mix_f32 v3, v4, v76, v3 op_sel_hi:[0,1,0]
	s_waitcnt vmcnt(6)
	v_fma_mix_f32 v3, v5, v77, v3 op_sel_hi:[0,1,0]
	s_waitcnt vmcnt(5)
	;; [unrolled: 2-line block ×3, first 2 shown]
	v_fma_mix_f32 v3, v7, v79, v3 op_sel_hi:[0,1,0]
	s_waitcnt vmcnt(3) lgkmcnt(0)
	v_fma_mix_f32 v3, v8, v80, v3 op_sel_hi:[0,1,0]
	s_waitcnt vmcnt(2)
	v_fma_mix_f32 v3, v9, v81, v3 op_sel_hi:[0,1,0]
	s_waitcnt vmcnt(1)
	;; [unrolled: 2-line block ×3, first 2 shown]
	v_fma_mix_f32 v4, v11, v83, v3 op_sel_hi:[0,1,0]
	s_branch .LBB125_16
.LBB125_19:
	v_mov_b32_e32 v1, 0
	ds_read_b32 v2, v1 offset:2560
	s_cmp_lg_u64 s[2:3], 0
	s_cbranch_scc0 .LBB125_24
; %bb.20:
	s_load_dword s4, s[2:3], 0x0
	s_waitcnt lgkmcnt(0)
	v_div_scale_f32 v1, s[2:3], s4, s4, 1.0
	v_rcp_f32_e32 v3, v1
	v_div_scale_f32 v5, vcc, 1.0, s4, 1.0
	v_fma_f32 v6, -v1, v3, 1.0
	v_fmac_f32_e32 v3, v6, v3
	v_mul_f32_e32 v6, v5, v3
	v_fma_f32 v7, -v1, v6, v5
	v_fmac_f32_e32 v6, v7, v3
	v_fma_f32 v1, -v1, v6, v5
	v_div_fmas_f32 v1, v1, v3, v6
	v_div_fixup_f32 v1, v1, s4, 1.0
	s_andn2_b64 vcc, exec, s[38:39]
	s_cbranch_vccnz .LBB125_22
.LBB125_21:
	s_add_u32 s2, s36, s40
	s_addc_u32 s3, s37, s41
	s_load_dword s34, s[2:3], 0x0
	s_mov_b32 s35, 0
.LBB125_22:
	s_waitcnt lgkmcnt(0)
	v_add_f32_e32 v2, 0x358637bd, v2
	v_div_scale_f32 v3, s[2:3], v2, v2, 1.0
	v_rcp_f32_e32 v5, v3
	v_div_scale_f32 v6, vcc, 1.0, v2, 1.0
	s_mul_i32 s2, s7, s35
	v_fma_f32 v7, -v3, v5, 1.0
	v_fmac_f32_e32 v5, v7, v5
	v_mul_f32_e32 v7, v6, v5
	v_fma_f32 v8, -v3, v7, v6
	s_mul_hi_u32 s3, s7, s34
	v_fmac_f32_e32 v7, v8, v5
	s_add_i32 s3, s3, s2
	s_mul_i32 s2, s7, s34
	v_fma_f32 v3, -v3, v7, v6
	s_lshl_b64 s[2:3], s[2:3], 8
	v_div_fmas_f32 v3, v3, v5, v7
	s_add_u32 s2, s0, s2
	s_mov_b32 s7, 0
	v_div_fixup_f32 v2, v3, v2, 1.0
	s_addc_u32 s3, s1, s3
	s_lshl_b64 s[0:1], s[6:7], 8
	v_mul_f32_e32 v2, v4, v2
	s_add_u32 s0, s2, s0
	s_addc_u32 s1, s3, s1
	v_fma_mixlo_f16 v1, v2, v1, 0
	global_store_short v0, v1, s[0:1]
	s_endpgm
.LBB125_23:
	s_mov_b64 s[2:3], 0
	s_branch .LBB125_2
.LBB125_24:
	v_mov_b32_e32 v1, 1.0
	s_andn2_b64 vcc, exec, s[38:39]
	s_cbranch_vccz .LBB125_21
	s_branch .LBB125_22
	.section	.rodata,"a",@progbits
	.p2align	6, 0x0
	.amdhsa_kernel _Z35paged_attention_ll4mi_reduce_kernelIDF16_DF16_Li128ELi128ELi256ELi10EEvPT0_PKfS3_PKT_PKiS8_iS3_
		.amdhsa_group_segment_fixed_size 2564
		.amdhsa_private_segment_fixed_size 0
		.amdhsa_kernarg_size 320
		.amdhsa_user_sgpr_count 6
		.amdhsa_user_sgpr_private_segment_buffer 1
		.amdhsa_user_sgpr_dispatch_ptr 0
		.amdhsa_user_sgpr_queue_ptr 0
		.amdhsa_user_sgpr_kernarg_segment_ptr 1
		.amdhsa_user_sgpr_dispatch_id 0
		.amdhsa_user_sgpr_flat_scratch_init 0
		.amdhsa_user_sgpr_kernarg_preload_length 0
		.amdhsa_user_sgpr_kernarg_preload_offset 0
		.amdhsa_user_sgpr_private_segment_size 0
		.amdhsa_uses_dynamic_stack 0
		.amdhsa_system_sgpr_private_segment_wavefront_offset 0
		.amdhsa_system_sgpr_workgroup_id_x 1
		.amdhsa_system_sgpr_workgroup_id_y 1
		.amdhsa_system_sgpr_workgroup_id_z 0
		.amdhsa_system_sgpr_workgroup_info 0
		.amdhsa_system_vgpr_workitem_id 0
		.amdhsa_next_free_vgpr 92
		.amdhsa_next_free_sgpr 49
		.amdhsa_accum_offset 92
		.amdhsa_reserve_vcc 1
		.amdhsa_reserve_flat_scratch 0
		.amdhsa_float_round_mode_32 0
		.amdhsa_float_round_mode_16_64 0
		.amdhsa_float_denorm_mode_32 3
		.amdhsa_float_denorm_mode_16_64 3
		.amdhsa_dx10_clamp 1
		.amdhsa_ieee_mode 1
		.amdhsa_fp16_overflow 0
		.amdhsa_tg_split 0
		.amdhsa_exception_fp_ieee_invalid_op 0
		.amdhsa_exception_fp_denorm_src 0
		.amdhsa_exception_fp_ieee_div_zero 0
		.amdhsa_exception_fp_ieee_overflow 0
		.amdhsa_exception_fp_ieee_underflow 0
		.amdhsa_exception_fp_ieee_inexact 0
		.amdhsa_exception_int_div_zero 0
	.end_amdhsa_kernel
	.section	.text._Z35paged_attention_ll4mi_reduce_kernelIDF16_DF16_Li128ELi128ELi256ELi10EEvPT0_PKfS3_PKT_PKiS8_iS3_,"axG",@progbits,_Z35paged_attention_ll4mi_reduce_kernelIDF16_DF16_Li128ELi128ELi256ELi10EEvPT0_PKfS3_PKT_PKiS8_iS3_,comdat
.Lfunc_end125:
	.size	_Z35paged_attention_ll4mi_reduce_kernelIDF16_DF16_Li128ELi128ELi256ELi10EEvPT0_PKfS3_PKT_PKiS8_iS3_, .Lfunc_end125-_Z35paged_attention_ll4mi_reduce_kernelIDF16_DF16_Li128ELi128ELi256ELi10EEvPT0_PKfS3_PKT_PKiS8_iS3_
                                        ; -- End function
	.section	.AMDGPU.csdata,"",@progbits
; Kernel info:
; codeLenInByte = 10752
; NumSgprs: 53
; NumVgprs: 92
; NumAgprs: 0
; TotalNumVgprs: 92
; ScratchSize: 0
; MemoryBound: 0
; FloatMode: 240
; IeeeMode: 1
; LDSByteSize: 2564 bytes/workgroup (compile time only)
; SGPRBlocks: 6
; VGPRBlocks: 11
; NumSGPRsForWavesPerEU: 53
; NumVGPRsForWavesPerEU: 92
; AccumOffset: 92
; Occupancy: 5
; WaveLimiterHint : 1
; COMPUTE_PGM_RSRC2:SCRATCH_EN: 0
; COMPUTE_PGM_RSRC2:USER_SGPR: 6
; COMPUTE_PGM_RSRC2:TRAP_HANDLER: 0
; COMPUTE_PGM_RSRC2:TGID_X_EN: 1
; COMPUTE_PGM_RSRC2:TGID_Y_EN: 1
; COMPUTE_PGM_RSRC2:TGID_Z_EN: 0
; COMPUTE_PGM_RSRC2:TIDIG_COMP_CNT: 0
; COMPUTE_PGM_RSRC3_GFX90A:ACCUM_OFFSET: 22
; COMPUTE_PGM_RSRC3_GFX90A:TG_SPLIT: 0
	.section	.text._Z35paged_attention_ll4mi_reduce_kernelIDF16_DF16_Li128ELi128ELi256ELi11EEvPT0_PKfS3_PKT_PKiS8_iS3_,"axG",@progbits,_Z35paged_attention_ll4mi_reduce_kernelIDF16_DF16_Li128ELi128ELi256ELi11EEvPT0_PKfS3_PKT_PKiS8_iS3_,comdat
	.protected	_Z35paged_attention_ll4mi_reduce_kernelIDF16_DF16_Li128ELi128ELi256ELi11EEvPT0_PKfS3_PKT_PKiS8_iS3_ ; -- Begin function _Z35paged_attention_ll4mi_reduce_kernelIDF16_DF16_Li128ELi128ELi256ELi11EEvPT0_PKfS3_PKT_PKiS8_iS3_
	.globl	_Z35paged_attention_ll4mi_reduce_kernelIDF16_DF16_Li128ELi128ELi256ELi11EEvPT0_PKfS3_PKT_PKiS8_iS3_
	.p2align	8
	.type	_Z35paged_attention_ll4mi_reduce_kernelIDF16_DF16_Li128ELi128ELi256ELi11EEvPT0_PKfS3_PKT_PKiS8_iS3_,@function
_Z35paged_attention_ll4mi_reduce_kernelIDF16_DF16_Li128ELi128ELi256ELi11EEvPT0_PKfS3_PKT_PKiS8_iS3_: ; @_Z35paged_attention_ll4mi_reduce_kernelIDF16_DF16_Li128ELi128ELi256ELi11EEvPT0_PKfS3_PKT_PKiS8_iS3_
; %bb.0:
	s_load_dwordx2 s[34:35], s[4:5], 0x28
	s_mov_b32 s26, s7
	s_mov_b64 s[0:1], 0
	s_waitcnt lgkmcnt(0)
	s_cmp_lg_u64 s[34:35], 0
	s_cselect_b64 s[40:41], -1, 0
	s_and_b64 vcc, exec, s[40:41]
	s_cbranch_vccz .LBB126_23
; %bb.1:
	s_add_i32 s2, s26, 1
	s_mov_b32 s3, 0
	s_lshl_b64 s[8:9], s[2:3], 2
	s_add_u32 s8, s34, s8
	s_mov_b32 s27, s3
	s_addc_u32 s9, s35, s9
	s_lshl_b64 s[2:3], s[26:27], 2
	s_add_u32 s2, s34, s2
	s_addc_u32 s3, s35, s3
	s_load_dword s7, s[8:9], 0x0
	s_load_dword s10, s[2:3], 0x0
	s_waitcnt lgkmcnt(0)
	s_sub_i32 s2, s7, s10
	s_cmp_eq_u32 s2, 1
	s_cselect_b64 s[2:3], -1, 0
	s_andn2_b64 vcc, exec, s[0:1]
	s_cbranch_vccnz .LBB126_3
.LBB126_2:
	s_mov_b32 s27, 0
	s_mov_b64 s[2:3], -1
.LBB126_3:
	s_andn2_b64 vcc, exec, s[2:3]
	s_cbranch_vccz .LBB126_5
; %bb.4:
	s_endpgm
.LBB126_5:
	s_load_dwordx4 s[28:31], s[4:5], 0x18
	s_load_dword s8, s[4:5], 0x30
	s_lshl_b64 s[42:43], s[26:27], 2
	v_cmp_lt_u32_e32 vcc, 63, v0
	s_waitcnt lgkmcnt(0)
	s_add_u32 s0, s30, s42
	s_addc_u32 s1, s31, s43
	s_load_dword s50, s[0:1], 0x0
	s_load_dword s7, s[4:5], 0x40
	s_mul_i32 s30, s6, s8
	s_mul_i32 s2, s26, s8
	s_waitcnt lgkmcnt(0)
	s_add_i32 s3, s50, 0xff
	s_ashr_i32 s0, s3, 31
	s_lshr_b32 s0, s0, 24
	s_add_i32 s3, s3, s0
	s_and_saveexec_b64 s[0:1], vcc
	s_xor_b64 s[0:1], exec, s[0:1]
	s_or_saveexec_b64 s[44:45], s[0:1]
	s_ashr_i32 s33, s3, 8
	v_mov_b32_e32 v1, s30
	s_mul_i32 s46, s2, s7
	s_xor_b64 exec, exec, s[44:45]
	s_cbranch_execz .LBB126_9
; %bb.6:
	s_add_i32 s0, s33, -1
	v_or_b32_e32 v3, 64, v0
	v_mov_b32_e32 v1, s0
	v_cmp_gt_u32_e64 s[20:21], s33, v3
	v_cndmask_b32_e64 v4, v1, v3, s[20:21]
	v_or_b32_e32 v3, 0x80, v0
	v_cmp_gt_u32_e64 s[18:19], s33, v3
	v_cndmask_b32_e64 v6, v1, v3, s[18:19]
	v_or_b32_e32 v3, 0xc0, v0
	;; [unrolled: 3-line block ×6, first 2 shown]
	s_load_dwordx4 s[36:39], s[4:5], 0x8
	v_cmp_gt_u32_e64 s[8:9], s33, v3
	v_cndmask_b32_e64 v16, v1, v3, s[8:9]
	v_or_b32_e32 v3, 0x200, v0
	v_cmp_gt_u32_e64 s[2:3], s33, v3
	s_mov_b32 s47, 0
	v_cndmask_b32_e64 v18, v1, v3, s[2:3]
	v_or_b32_e32 v3, 0x240, v0
	v_cmp_gt_u32_e64 s[0:1], s33, v3
	s_lshl_b64 s[48:49], s[46:47], 2
	s_mov_b32 s31, s47
	v_cmp_gt_u32_e64 s[22:23], s33, v0
	v_cndmask_b32_e64 v20, v1, v3, s[0:1]
	v_or_b32_e32 v3, 0x280, v0
	s_waitcnt lgkmcnt(0)
	s_add_u32 s24, s38, s48
	v_cndmask_b32_e64 v2, v1, v0, s[22:23]
	v_cmp_gt_u32_e32 vcc, s33, v3
	s_addc_u32 s25, s39, s49
	s_lshl_b64 s[38:39], s[30:31], 2
	v_cndmask_b32_e32 v22, v1, v3, vcc
	s_add_u32 s31, s24, s38
	v_ashrrev_i32_e32 v3, 31, v2
	s_addc_u32 s47, s25, s39
	v_lshlrev_b64 v[2:3], 2, v[2:3]
	v_mov_b32_e32 v1, s47
	v_add_co_u32_e64 v24, s[24:25], s31, v2
	v_ashrrev_i32_e32 v5, 31, v4
	v_addc_co_u32_e64 v25, s[24:25], v1, v3, s[24:25]
	v_lshlrev_b64 v[4:5], 2, v[4:5]
	v_add_co_u32_e64 v26, s[24:25], s31, v4
	v_ashrrev_i32_e32 v7, 31, v6
	v_addc_co_u32_e64 v27, s[24:25], v1, v5, s[24:25]
	v_lshlrev_b64 v[6:7], 2, v[6:7]
	;; [unrolled: 4-line block ×8, first 2 shown]
	global_load_dword v1, v[24:25], off
	global_load_dword v40, v[26:27], off
	;; [unrolled: 1-line block ×3, first 2 shown]
	s_nop 0
	global_load_dword v30, v[30:31], off
	s_nop 0
	global_load_dword v31, v[32:33], off
	;; [unrolled: 2-line block ×3, first 2 shown]
	global_load_dword v33, v[36:37], off
	s_nop 0
	global_load_dword v34, v[38:39], off
	v_mov_b32_e32 v21, s47
	v_add_co_u32_e64 v24, s[24:25], s31, v18
	v_addc_co_u32_e64 v25, s[24:25], v21, v19, s[24:25]
	v_ashrrev_i32_e32 v21, 31, v20
	v_lshlrev_b64 v[20:21], 2, v[20:21]
	v_mov_b32_e32 v23, s47
	v_add_co_u32_e64 v26, s[24:25], s31, v20
	v_addc_co_u32_e64 v27, s[24:25], v23, v21, s[24:25]
	v_ashrrev_i32_e32 v23, 31, v22
	v_lshlrev_b64 v[22:23], 2, v[22:23]
	v_mov_b32_e32 v29, s47
	v_add_co_u32_e64 v28, s[24:25], s31, v22
	v_addc_co_u32_e64 v29, s[24:25], v29, v23, s[24:25]
	global_load_dword v24, v[24:25], off
	s_nop 0
	global_load_dword v25, v[26:27], off
	s_nop 0
	global_load_dword v26, v[28:29], off
	v_mbcnt_lo_u32_b32 v28, -1, 0
	v_mbcnt_hi_u32_b32 v28, -1, v28
	v_and_b32_e32 v29, 64, v28
	v_add_u32_e32 v29, 64, v29
	v_xor_b32_e32 v35, 32, v28
	v_cmp_lt_i32_e64 s[24:25], v35, v29
	v_cndmask_b32_e64 v35, v28, v35, s[24:25]
	v_lshlrev_b32_e32 v35, 2, v35
	s_waitcnt vmcnt(8)
	v_max3_f32 v27, v1, v40, v41
	s_waitcnt vmcnt(6)
	v_max3_f32 v27, v27, v30, v31
	;; [unrolled: 2-line block ×5, first 2 shown]
	ds_bpermute_b32 v36, v35, v27
	s_waitcnt lgkmcnt(0)
	v_max_f32_e32 v36, v36, v36
	v_max_f32_e32 v27, v27, v36
	v_xor_b32_e32 v36, 16, v28
	v_cmp_lt_i32_e64 s[24:25], v36, v29
	v_cndmask_b32_e64 v36, v28, v36, s[24:25]
	v_lshlrev_b32_e32 v36, 2, v36
	ds_bpermute_b32 v37, v36, v27
	s_waitcnt lgkmcnt(0)
	v_max_f32_e32 v37, v37, v37
	v_max_f32_e32 v27, v27, v37
	v_xor_b32_e32 v37, 8, v28
	v_cmp_lt_i32_e64 s[24:25], v37, v29
	v_cndmask_b32_e64 v37, v28, v37, s[24:25]
	v_lshlrev_b32_e32 v37, 2, v37
	;; [unrolled: 8-line block ×4, first 2 shown]
	ds_bpermute_b32 v42, v39, v27
	s_waitcnt lgkmcnt(0)
	v_max_f32_e32 v42, v42, v42
	v_max_f32_e32 v27, v27, v42
	v_xor_b32_e32 v42, 1, v28
	v_cmp_lt_i32_e64 s[24:25], v42, v29
	v_cndmask_b32_e64 v28, v28, v42, s[24:25]
	s_add_u32 s24, s36, s48
	s_addc_u32 s25, s37, s49
	s_add_u32 s31, s24, s38
	s_addc_u32 s36, s25, s39
	v_mov_b32_e32 v42, s36
	v_add_co_u32_e64 v2, s[24:25], s31, v2
	v_addc_co_u32_e64 v3, s[24:25], v42, v3, s[24:25]
	v_add_co_u32_e64 v4, s[24:25], s31, v4
	v_addc_co_u32_e64 v5, s[24:25], v42, v5, s[24:25]
	global_load_dword v42, v[2:3], off
	global_load_dword v43, v[4:5], off
	v_mov_b32_e32 v3, s36
	v_add_co_u32_e64 v2, s[24:25], s31, v6
	v_addc_co_u32_e64 v3, s[24:25], v3, v7, s[24:25]
	v_mov_b32_e32 v5, s36
	v_add_co_u32_e64 v4, s[24:25], s31, v8
	v_addc_co_u32_e64 v5, s[24:25], v5, v9, s[24:25]
	;; [unrolled: 3-line block ×6, first 2 shown]
	global_load_dword v14, v[2:3], off
	global_load_dword v15, v[4:5], off
	;; [unrolled: 1-line block ×6, first 2 shown]
	v_lshlrev_b32_e32 v28, 2, v28
	ds_bpermute_b32 v29, v28, v27
	v_mov_b32_e32 v3, s36
	v_add_co_u32_e64 v2, s[24:25], s31, v18
	v_addc_co_u32_e64 v3, s[24:25], v3, v19, s[24:25]
	s_waitcnt lgkmcnt(0)
	v_max_f32_e32 v8, v29, v29
	v_mov_b32_e32 v5, s36
	v_add_co_u32_e64 v4, s[24:25], s31, v20
	v_max_f32_e32 v8, v27, v8
	v_addc_co_u32_e64 v5, s[24:25], v5, v21, s[24:25]
	v_sub_f32_e32 v1, v1, v8
	v_add_co_u32_e64 v6, s[24:25], s31, v22
	s_mov_b32 s31, 0x3fb8aa3b
	v_mul_f32_e32 v9, 0x3fb8aa3b, v1
	v_fma_f32 v10, v1, s31, -v9
	v_rndne_f32_e32 v11, v9
	v_fmac_f32_e32 v10, 0x32a5705f, v1
	v_sub_f32_e32 v9, v9, v11
	v_add_f32_e32 v9, v9, v10
	v_exp_f32_e32 v9, v9
	v_cvt_i32_f32_e32 v10, v11
	v_mov_b32_e32 v7, s36
	v_addc_co_u32_e64 v7, s[24:25], v7, v23, s[24:25]
	global_load_dword v2, v[2:3], off
	s_nop 0
	global_load_dword v3, v[4:5], off
	global_load_dword v11, v[6:7], off
	v_sub_f32_e32 v6, v40, v8
	v_mul_f32_e32 v7, 0x3fb8aa3b, v6
	v_ldexp_f32 v4, v9, v10
	v_fma_f32 v9, v6, s31, -v7
	v_rndne_f32_e32 v10, v7
	v_fmac_f32_e32 v9, 0x32a5705f, v6
	v_sub_f32_e32 v7, v7, v10
	v_add_f32_e32 v7, v7, v9
	v_exp_f32_e32 v7, v7
	v_cvt_i32_f32_e32 v9, v10
	s_mov_b32 s36, 0xc2ce8ed0
	v_cmp_ngt_f32_e64 s[24:25], s36, v1
	s_mov_b32 s37, 0x42b17218
	v_cndmask_b32_e64 v4, 0, v4, s[24:25]
	v_mov_b32_e32 v5, 0x7f800000
	v_cmp_nlt_f32_e64 s[24:25], s37, v1
	v_cndmask_b32_e64 v1, v5, v4, s[24:25]
	v_ldexp_f32 v4, v7, v9
	v_sub_f32_e32 v7, v41, v8
	v_mul_f32_e32 v9, 0x3fb8aa3b, v7
	v_fma_f32 v10, v7, s31, -v9
	v_rndne_f32_e32 v12, v9
	v_fmac_f32_e32 v10, 0x32a5705f, v7
	v_sub_f32_e32 v9, v9, v12
	v_add_f32_e32 v9, v9, v10
	v_exp_f32_e32 v9, v9
	v_cvt_i32_f32_e32 v10, v12
	v_cndmask_b32_e64 v1, 0, v1, s[22:23]
	v_cmp_ngt_f32_e64 s[22:23], s36, v6
	v_cndmask_b32_e64 v4, 0, v4, s[22:23]
	v_cmp_nlt_f32_e64 s[22:23], s37, v6
	v_ldexp_f32 v6, v9, v10
	v_sub_f32_e32 v9, v30, v8
	v_mul_f32_e32 v10, 0x3fb8aa3b, v9
	v_fma_f32 v12, v9, s31, -v10
	v_rndne_f32_e32 v13, v10
	v_fmac_f32_e32 v12, 0x32a5705f, v9
	v_sub_f32_e32 v10, v10, v13
	v_add_f32_e32 v10, v10, v12
	v_exp_f32_e32 v10, v10
	v_cvt_i32_f32_e32 v12, v13
	v_cndmask_b32_e64 v4, v5, v4, s[22:23]
	v_cndmask_b32_e64 v4, 0, v4, s[20:21]
	v_cmp_ngt_f32_e64 s[20:21], s36, v7
	v_cndmask_b32_e64 v6, 0, v6, s[20:21]
	v_cmp_nlt_f32_e64 s[20:21], s37, v7
	v_cndmask_b32_e64 v6, v5, v6, s[20:21]
	v_ldexp_f32 v7, v10, v12
	v_sub_f32_e32 v10, v31, v8
	v_cndmask_b32_e64 v6, 0, v6, s[18:19]
	v_mul_f32_e32 v12, 0x3fb8aa3b, v10
	s_waitcnt vmcnt(8)
	v_mul_f32_e32 v6, v14, v6
	v_fma_f32 v13, v10, s31, -v12
	v_rndne_f32_e32 v14, v12
	v_fmac_f32_e32 v13, 0x32a5705f, v10
	v_sub_f32_e32 v12, v12, v14
	v_add_f32_e32 v12, v12, v13
	v_exp_f32_e32 v12, v12
	v_cvt_i32_f32_e32 v13, v14
	v_cmp_ngt_f32_e64 s[18:19], s36, v9
	v_cndmask_b32_e64 v7, 0, v7, s[18:19]
	v_cmp_nlt_f32_e64 s[18:19], s37, v9
	v_cndmask_b32_e64 v7, v5, v7, s[18:19]
	v_ldexp_f32 v9, v12, v13
	v_sub_f32_e32 v12, v32, v8
	v_cndmask_b32_e64 v7, 0, v7, s[16:17]
	v_mul_f32_e32 v13, 0x3fb8aa3b, v12
	s_waitcnt vmcnt(7)
	v_mul_f32_e32 v7, v15, v7
	v_fma_f32 v14, v12, s31, -v13
	v_rndne_f32_e32 v15, v13
	v_fmac_f32_e32 v14, 0x32a5705f, v12
	v_sub_f32_e32 v13, v13, v15
	v_add_f32_e32 v13, v13, v14
	v_exp_f32_e32 v13, v13
	v_cvt_i32_f32_e32 v14, v15
	;; [unrolled: 17-line block ×4, first 2 shown]
	v_cmp_ngt_f32_e64 s[12:13], s36, v13
	v_cndmask_b32_e64 v12, 0, v12, s[12:13]
	v_cmp_nlt_f32_e64 s[12:13], s37, v13
	v_ldexp_f32 v13, v15, v16
	v_sub_f32_e32 v15, v24, v8
	v_mul_f32_e32 v16, 0x3fb8aa3b, v15
	v_fma_f32 v17, v15, s31, -v16
	v_rndne_f32_e32 v18, v16
	v_fmac_f32_e32 v17, 0x32a5705f, v15
	v_sub_f32_e32 v16, v16, v18
	v_add_f32_e32 v16, v16, v17
	v_exp_f32_e32 v16, v16
	v_cvt_i32_f32_e32 v17, v18
	v_cndmask_b32_e64 v12, v5, v12, s[12:13]
	v_cndmask_b32_e64 v12, 0, v12, s[10:11]
	v_cmp_ngt_f32_e64 s[10:11], s36, v14
	v_cndmask_b32_e64 v13, 0, v13, s[10:11]
	v_cmp_nlt_f32_e64 s[10:11], s37, v14
	v_ldexp_f32 v14, v16, v17
	v_sub_f32_e32 v16, v25, v8
	v_mul_f32_e32 v17, 0x3fb8aa3b, v16
	v_fma_f32 v18, v16, s31, -v17
	v_rndne_f32_e32 v19, v17
	v_fmac_f32_e32 v18, 0x32a5705f, v16
	v_sub_f32_e32 v17, v17, v19
	v_cndmask_b32_e64 v13, v5, v13, s[10:11]
	v_add_f32_e32 v17, v17, v18
	v_cndmask_b32_e64 v13, 0, v13, s[8:9]
	v_cmp_ngt_f32_e64 s[8:9], s36, v15
	v_exp_f32_e32 v17, v17
	v_cvt_i32_f32_e32 v18, v19
	v_cndmask_b32_e64 v14, 0, v14, s[8:9]
	v_cmp_nlt_f32_e64 s[8:9], s37, v15
	v_cndmask_b32_e64 v14, v5, v14, s[8:9]
	v_sub_f32_e32 v8, v26, v8
	v_cndmask_b32_e64 v14, 0, v14, s[2:3]
	v_mul_f32_e32 v15, 0x3fb8aa3b, v8
	s_waitcnt vmcnt(2)
	v_mul_f32_e32 v14, v2, v14
	v_ldexp_f32 v2, v17, v18
	v_fma_f32 v17, v8, s31, -v15
	v_rndne_f32_e32 v18, v15
	v_fmac_f32_e32 v17, 0x32a5705f, v8
	v_sub_f32_e32 v15, v15, v18
	v_add_f32_e32 v15, v15, v17
	v_cmp_ngt_f32_e64 s[2:3], s36, v16
	v_exp_f32_e32 v15, v15
	v_cvt_i32_f32_e32 v17, v18
	v_cndmask_b32_e64 v2, 0, v2, s[2:3]
	v_cmp_nlt_f32_e64 s[2:3], s37, v16
	v_cndmask_b32_e64 v2, v5, v2, s[2:3]
	v_cndmask_b32_e64 v2, 0, v2, s[0:1]
	s_waitcnt vmcnt(1)
	v_mul_f32_e32 v3, v3, v2
	v_ldexp_f32 v2, v15, v17
	v_cmp_ngt_f32_e64 s[0:1], s36, v8
	v_cndmask_b32_e64 v2, 0, v2, s[0:1]
	v_cmp_nlt_f32_e64 s[0:1], s37, v8
	v_cndmask_b32_e64 v2, v5, v2, s[0:1]
	v_mul_f32_e32 v1, v42, v1
	v_mul_f32_e32 v4, v43, v4
	v_cndmask_b32_e32 v2, 0, v2, vcc
	s_waitcnt vmcnt(0)
	v_mul_f32_e32 v5, v11, v2
	v_add_f32_e32 v2, v1, v4
	v_add_f32_e32 v2, v2, v6
	;; [unrolled: 1-line block ×4, first 2 shown]
	v_mul_f32_e32 v12, v44, v12
	v_add_f32_e32 v2, v2, v10
	v_mul_f32_e32 v13, v45, v13
	v_add_f32_e32 v2, v2, v12
	v_add_f32_e32 v2, v2, v13
	;; [unrolled: 1-line block ×5, first 2 shown]
	ds_bpermute_b32 v8, v35, v2
	v_lshlrev_b32_e32 v11, 2, v0
	ds_write2st64_b32 v11, v1, v4 offset1:1
	ds_write2st64_b32 v11, v6, v7 offset0:2 offset1:3
	ds_write2st64_b32 v11, v9, v10 offset0:4 offset1:5
	v_cmp_eq_u32_e32 vcc, 0, v0
	ds_write2st64_b32 v11, v12, v13 offset0:6 offset1:7
	ds_write2st64_b32 v11, v14, v3 offset0:8 offset1:9
	ds_write_b32 v11, v5 offset:2560
	s_waitcnt lgkmcnt(6)
	v_add_f32_e32 v2, v2, v8
	ds_bpermute_b32 v8, v36, v2
	s_waitcnt lgkmcnt(0)
	v_add_f32_e32 v2, v2, v8
	ds_bpermute_b32 v8, v37, v2
	;; [unrolled: 3-line block ×5, first 2 shown]
	s_and_saveexec_b64 s[0:1], vcc
	s_cbranch_execz .LBB126_8
; %bb.7:
	s_waitcnt lgkmcnt(0)
	v_add_f32_e32 v1, v1, v2
	v_mov_b32_e32 v2, 0
	ds_write_b32 v2, v1 offset:2816
.LBB126_8:
	s_or_b64 exec, exec, s[0:1]
	v_mov_b32_e32 v1, s30
.LBB126_9:
	s_or_b64 exec, exec, s[44:45]
	s_lshl_b32 s0, s46, 7
	s_mov_b32 s1, 0
	s_lshl_b64 s[0:1], s[0:1], 1
	s_add_u32 s0, s28, s0
	s_addc_u32 s1, s29, s1
	s_lshl_b32 s10, s33, 7
	s_waitcnt lgkmcnt(0)
	v_lshlrev_b32_e32 v2, 7, v1
	v_mov_b32_e32 v3, 0
	s_add_i32 s11, s10, 0xffffff80
	v_lshlrev_b64 v[4:5], 1, v[2:3]
	s_cmp_lt_i32 s50, 1
	v_mov_b32_e32 v1, s1
	v_add_co_u32_e32 v2, vcc, s0, v4
	s_cselect_b32 s0, s11, 0
	v_addc_co_u32_e32 v4, vcc, v1, v5, vcc
	v_lshlrev_b32_e32 v0, 1, v0
	s_ashr_i32 s1, s0, 31
	v_add_co_u32_e32 v1, vcc, v2, v0
	s_lshl_b64 s[0:1], s[0:1], 1
	v_addc_co_u32_e32 v2, vcc, 0, v4, vcc
	s_cmpk_lt_i32 s50, 0x101
	v_add_co_u32_e32 v12, vcc, s0, v1
	s_cselect_b32 s0, s11, 0x80
	v_mov_b32_e32 v4, s1
	s_ashr_i32 s1, s0, 31
	s_lshl_b64 s[0:1], s[0:1], 1
	v_addc_co_u32_e32 v13, vcc, v2, v4, vcc
	s_cmpk_lt_i32 s50, 0x201
	v_add_co_u32_e32 v14, vcc, s0, v1
	s_cselect_b32 s0, s11, 0x100
	v_mov_b32_e32 v4, s1
	s_ashr_i32 s1, s0, 31
	;; [unrolled: 7-line block ×8, first 2 shown]
	s_lshl_b64 s[0:1], s[0:1], 1
	v_addc_co_u32_e32 v27, vcc, v2, v4, vcc
	s_cmpk_lt_i32 s50, 0x901
	global_load_ushort v4, v[12:13], off
	global_load_ushort v5, v[14:15], off
	;; [unrolled: 1-line block ×8, first 2 shown]
	v_add_co_u32_e32 v20, vcc, s0, v1
	s_cselect_b32 s0, s11, 0x480
	v_mov_b32_e32 v12, s1
	s_ashr_i32 s1, s0, 31
	s_lshl_b64 s[0:1], s[0:1], 1
	v_addc_co_u32_e32 v21, vcc, v2, v12, vcc
	s_cmpk_lt_i32 s50, 0xa01
	v_add_co_u32_e32 v22, vcc, s0, v1
	s_cselect_b32 s0, s11, 0x500
	v_mov_b32_e32 v12, s1
	s_ashr_i32 s1, s0, 31
	s_lshl_b64 s[0:1], s[0:1], 1
	v_addc_co_u32_e32 v23, vcc, v2, v12, vcc
	s_cmpk_lt_i32 s50, 0xb01
	;; [unrolled: 7-line block ×6, first 2 shown]
	v_add_co_u32_e32 v32, vcc, s0, v1
	s_cselect_b32 s0, s11, 0x780
	v_mov_b32_e32 v12, s1
	s_ashr_i32 s1, s0, 31
	v_addc_co_u32_e32 v33, vcc, v2, v12, vcc
	s_lshl_b64 s[0:1], s[0:1], 1
	v_mov_b32_e32 v12, s1
	v_add_co_u32_e32 v34, vcc, s0, v1
	v_addc_co_u32_e32 v35, vcc, v2, v12, vcc
	global_load_ushort v12, v[20:21], off
	global_load_ushort v13, v[22:23], off
	;; [unrolled: 1-line block ×8, first 2 shown]
	s_cmpk_gt_i32 s50, 0x1000
	s_cselect_b64 s[8:9], -1, 0
	s_cmpk_lt_i32 s50, 0x1001
	v_mov_b32_e32 v36, 0
	v_mov_b32_e32 v37, 0
	v_mov_b32_e32 v38, 0
	v_mov_b32_e32 v39, 0
	v_mov_b32_e32 v40, 0
	v_mov_b32_e32 v41, 0
	v_mov_b32_e32 v42, 0
	v_mov_b32_e32 v43, 0
	v_mov_b32_e32 v44, 0
	v_mov_b32_e32 v45, 0
	v_mov_b32_e32 v46, 0
	v_mov_b32_e32 v47, 0
	v_mov_b32_e32 v48, 0
	v_mov_b32_e32 v49, 0
	v_mov_b32_e32 v50, 0
	v_mov_b32_e32 v51, 0
	v_mov_b32_e32 v52, 0
	v_mov_b32_e32 v53, 0
	v_mov_b32_e32 v54, 0
	v_mov_b32_e32 v55, 0
	v_mov_b32_e32 v56, 0
	v_mov_b32_e32 v57, 0
	v_mov_b32_e32 v58, 0
	v_mov_b32_e32 v59, 0
	v_mov_b32_e32 v60, 0
	v_mov_b32_e32 v61, 0
	v_mov_b32_e32 v62, 0
	v_mov_b32_e32 v63, 0
	v_mov_b32_e32 v64, 0
	v_mov_b32_e32 v65, 0
	v_mov_b32_e32 v66, 0
	v_mov_b32_e32 v67, 0
	v_mov_b32_e32 v28, 0
	v_mov_b32_e32 v29, 0
	v_mov_b32_e32 v30, 0
	v_mov_b32_e32 v31, 0
	v_mov_b32_e32 v32, 0
	v_mov_b32_e32 v33, 0
	v_mov_b32_e32 v34, 0
	v_mov_b32_e32 v35, 0
	v_mov_b32_e32 v21, 0
	v_mov_b32_e32 v20, 0
	v_mov_b32_e32 v22, 0
	v_mov_b32_e32 v23, 0
	v_mov_b32_e32 v24, 0
	v_mov_b32_e32 v25, 0
	v_mov_b32_e32 v26, 0
	v_mov_b32_e32 v27, 0
	s_barrier
	s_cbranch_scc1 .LBB126_12
; %bb.10:
	s_cmpk_lt_u32 s50, 0x1101
	s_cselect_b32 s0, s11, 0x880
	s_ashr_i32 s1, s0, 31
	v_add_co_u32_e32 v28, vcc, 0x1000, v1
	s_lshl_b64 s[0:1], s[0:1], 1
	v_addc_co_u32_e32 v29, vcc, 0, v2, vcc
	s_cmpk_lt_u32 s50, 0x1201
	v_add_co_u32_e32 v30, vcc, s0, v1
	s_cselect_b32 s0, s11, 0x900
	v_mov_b32_e32 v20, s1
	s_ashr_i32 s1, s0, 31
	s_lshl_b64 s[0:1], s[0:1], 1
	v_addc_co_u32_e32 v31, vcc, v2, v20, vcc
	s_cmpk_lt_u32 s50, 0x1301
	v_add_co_u32_e32 v32, vcc, s0, v1
	s_cselect_b32 s0, s11, 0x980
	v_mov_b32_e32 v20, s1
	s_ashr_i32 s1, s0, 31
	;; [unrolled: 7-line block ×7, first 2 shown]
	s_lshl_b64 s[0:1], s[0:1], 1
	v_addc_co_u32_e32 v43, vcc, v2, v20, vcc
	s_cmpk_lt_u32 s50, 0x1901
	global_load_ushort v27, v[28:29], off
	global_load_ushort v26, v[30:31], off
	;; [unrolled: 1-line block ×8, first 2 shown]
	v_add_co_u32_e32 v36, vcc, s0, v1
	s_cselect_b32 s0, s11, 0xc80
	v_mov_b32_e32 v28, s1
	s_ashr_i32 s1, s0, 31
	s_lshl_b64 s[0:1], s[0:1], 1
	v_addc_co_u32_e32 v37, vcc, v2, v28, vcc
	s_cmpk_lt_u32 s50, 0x1a01
	v_add_co_u32_e32 v38, vcc, s0, v1
	s_cselect_b32 s0, s11, 0xd00
	v_mov_b32_e32 v28, s1
	s_ashr_i32 s1, s0, 31
	s_lshl_b64 s[0:1], s[0:1], 1
	v_addc_co_u32_e32 v39, vcc, v2, v28, vcc
	s_cmpk_lt_u32 s50, 0x1b01
	;; [unrolled: 7-line block ×6, first 2 shown]
	v_add_co_u32_e32 v48, vcc, s0, v1
	s_cselect_b32 s0, s11, 0xf80
	v_mov_b32_e32 v28, s1
	s_ashr_i32 s1, s0, 31
	v_addc_co_u32_e32 v49, vcc, v2, v28, vcc
	s_lshl_b64 s[0:1], s[0:1], 1
	v_mov_b32_e32 v28, s1
	v_add_co_u32_e32 v50, vcc, s0, v1
	v_addc_co_u32_e32 v51, vcc, v2, v28, vcc
	global_load_ushort v35, v[36:37], off
	global_load_ushort v34, v[38:39], off
	;; [unrolled: 1-line block ×8, first 2 shown]
	s_cmpk_lt_u32 s50, 0x2001
	v_mov_b32_e32 v67, 0
	v_mov_b32_e32 v66, 0
	;; [unrolled: 1-line block ×32, first 2 shown]
	s_cbranch_scc1 .LBB126_12
; %bb.11:
	s_cmpk_lt_u32 s50, 0x2101
	s_cselect_b32 s0, s11, 0x1080
	s_ashr_i32 s1, s0, 31
	v_add_co_u32_e32 v36, vcc, 0x2000, v1
	s_lshl_b64 s[0:1], s[0:1], 1
	v_addc_co_u32_e32 v37, vcc, 0, v2, vcc
	s_cmpk_lt_u32 s50, 0x2201
	v_add_co_u32_e32 v38, vcc, s0, v1
	s_cselect_b32 s0, s11, 0x1100
	v_mov_b32_e32 v39, s1
	s_ashr_i32 s1, s0, 31
	s_lshl_b64 s[0:1], s[0:1], 1
	v_addc_co_u32_e32 v39, vcc, v2, v39, vcc
	s_cmpk_lt_u32 s50, 0x2301
	v_add_co_u32_e32 v40, vcc, s0, v1
	s_cselect_b32 s0, s11, 0x1180
	v_mov_b32_e32 v41, s1
	s_ashr_i32 s1, s0, 31
	s_lshl_b64 s[0:1], s[0:1], 1
	v_addc_co_u32_e32 v41, vcc, v2, v41, vcc
	s_cmpk_lt_u32 s50, 0x2401
	v_add_co_u32_e32 v42, vcc, s0, v1
	s_cselect_b32 s0, s11, 0x1200
	v_mov_b32_e32 v43, s1
	s_ashr_i32 s1, s0, 31
	s_lshl_b64 s[0:1], s[0:1], 1
	v_addc_co_u32_e32 v43, vcc, v2, v43, vcc
	s_cmpk_lt_u32 s50, 0x2501
	v_add_co_u32_e32 v44, vcc, s0, v1
	s_cselect_b32 s0, s11, 0x1280
	v_mov_b32_e32 v45, s1
	s_ashr_i32 s1, s0, 31
	s_lshl_b64 s[0:1], s[0:1], 1
	v_addc_co_u32_e32 v45, vcc, v2, v45, vcc
	s_cmpk_lt_u32 s50, 0x2601
	v_add_co_u32_e32 v46, vcc, s0, v1
	s_cselect_b32 s0, s11, 0x1300
	v_mov_b32_e32 v47, s1
	s_ashr_i32 s1, s0, 31
	s_lshl_b64 s[0:1], s[0:1], 1
	v_addc_co_u32_e32 v47, vcc, v2, v47, vcc
	s_cmpk_lt_u32 s50, 0x2701
	v_add_co_u32_e32 v48, vcc, s0, v1
	s_cselect_b32 s0, s11, 0x1380
	v_mov_b32_e32 v49, s1
	s_ashr_i32 s1, s0, 31
	s_lshl_b64 s[0:1], s[0:1], 1
	v_addc_co_u32_e32 v49, vcc, v2, v49, vcc
	s_cmpk_lt_u32 s50, 0x2801
	v_add_co_u32_e32 v50, vcc, s0, v1
	s_cselect_b32 s0, s11, 0x1400
	v_mov_b32_e32 v51, s1
	s_ashr_i32 s1, s0, 31
	s_lshl_b64 s[0:1], s[0:1], 1
	v_addc_co_u32_e32 v51, vcc, v2, v51, vcc
	s_cmpk_lt_u32 s50, 0x2901
	global_load_ushort v52, v[36:37], off
	global_load_ushort v53, v[38:39], off
	global_load_ushort v54, v[40:41], off
	global_load_ushort v55, v[42:43], off
	global_load_ushort v56, v[44:45], off
	global_load_ushort v57, v[46:47], off
	global_load_ushort v58, v[48:49], off
	global_load_ushort v59, v[50:51], off
	v_add_co_u32_e32 v36, vcc, s0, v1
	s_cselect_b32 s0, s11, 0x1480
	v_mov_b32_e32 v37, s1
	s_ashr_i32 s1, s0, 31
	s_lshl_b64 s[0:1], s[0:1], 1
	v_addc_co_u32_e32 v37, vcc, v2, v37, vcc
	s_cmpk_lt_u32 s50, 0x2a01
	v_add_co_u32_e32 v38, vcc, s0, v1
	s_cselect_b32 s0, s11, 0x1500
	v_mov_b32_e32 v39, s1
	s_ashr_i32 s1, s0, 31
	s_lshl_b64 s[0:1], s[0:1], 1
	v_addc_co_u32_e32 v39, vcc, v2, v39, vcc
	s_cmpk_lt_u32 s50, 0x2b01
	v_add_co_u32_e32 v40, vcc, s0, v1
	s_cselect_b32 s0, s11, 0x1580
	v_mov_b32_e32 v41, s1
	s_ashr_i32 s1, s0, 31
	s_lshl_b64 s[0:1], s[0:1], 1
	v_addc_co_u32_e32 v41, vcc, v2, v41, vcc
	s_cmpk_lt_u32 s50, 0x2c01
	v_add_co_u32_e32 v42, vcc, s0, v1
	s_cselect_b32 s0, s11, 0x1600
	v_mov_b32_e32 v43, s1
	s_ashr_i32 s1, s0, 31
	s_lshl_b64 s[0:1], s[0:1], 1
	v_addc_co_u32_e32 v43, vcc, v2, v43, vcc
	s_cmpk_lt_u32 s50, 0x2d01
	v_add_co_u32_e32 v44, vcc, s0, v1
	s_cselect_b32 s0, s11, 0x1680
	v_mov_b32_e32 v45, s1
	s_ashr_i32 s1, s0, 31
	s_lshl_b64 s[0:1], s[0:1], 1
	v_addc_co_u32_e32 v45, vcc, v2, v45, vcc
	s_cmpk_lt_u32 s50, 0x2e01
	v_add_co_u32_e32 v46, vcc, s0, v1
	s_cselect_b32 s0, s11, 0x1700
	v_mov_b32_e32 v47, s1
	s_ashr_i32 s1, s0, 31
	s_lshl_b64 s[0:1], s[0:1], 1
	v_addc_co_u32_e32 v47, vcc, v2, v47, vcc
	s_cmpk_lt_u32 s50, 0x2f01
	v_add_co_u32_e32 v48, vcc, s0, v1
	s_cselect_b32 s0, s11, 0x1780
	v_mov_b32_e32 v49, s1
	s_ashr_i32 s1, s0, 31
	s_lshl_b64 s[0:1], s[0:1], 1
	v_addc_co_u32_e32 v49, vcc, v2, v49, vcc
	s_cmpk_lt_u32 s50, 0x3001
	v_add_co_u32_e32 v50, vcc, s0, v1
	s_cselect_b32 s0, s11, 0x1800
	v_mov_b32_e32 v51, s1
	s_ashr_i32 s1, s0, 31
	s_lshl_b64 s[0:1], s[0:1], 1
	v_addc_co_u32_e32 v51, vcc, v2, v51, vcc
	s_cmpk_lt_u32 s50, 0x3101
	global_load_ushort v68, v[36:37], off
	global_load_ushort v69, v[38:39], off
	global_load_ushort v70, v[40:41], off
	global_load_ushort v71, v[42:43], off
	global_load_ushort v72, v[44:45], off
	global_load_ushort v73, v[46:47], off
	global_load_ushort v74, v[48:49], off
	global_load_ushort v75, v[50:51], off
	v_add_co_u32_e32 v36, vcc, s0, v1
	s_cselect_b32 s0, s11, 0x1880
	v_mov_b32_e32 v37, s1
	s_ashr_i32 s1, s0, 31
	;; [unrolled: 64-line block ×3, first 2 shown]
	s_lshl_b64 s[0:1], s[0:1], 1
	v_addc_co_u32_e32 v37, vcc, v2, v37, vcc
	s_cmpk_lt_u32 s50, 0x3a01
	v_add_co_u32_e32 v38, vcc, s0, v1
	s_cselect_b32 s0, s11, 0x1d00
	v_mov_b32_e32 v39, s1
	s_ashr_i32 s1, s0, 31
	s_lshl_b64 s[0:1], s[0:1], 1
	v_addc_co_u32_e32 v39, vcc, v2, v39, vcc
	s_cmpk_lt_u32 s50, 0x3b01
	v_add_co_u32_e32 v40, vcc, s0, v1
	s_cselect_b32 s0, s11, 0x1d80
	v_mov_b32_e32 v41, s1
	s_ashr_i32 s1, s0, 31
	;; [unrolled: 7-line block ×6, first 2 shown]
	v_addc_co_u32_e32 v49, vcc, v2, v49, vcc
	s_lshl_b64 s[0:1], s[0:1], 1
	v_mov_b32_e32 v51, s1
	v_add_co_u32_e32 v50, vcc, s0, v1
	v_addc_co_u32_e32 v51, vcc, v2, v51, vcc
	global_load_ushort v84, v[36:37], off
	global_load_ushort v85, v[38:39], off
	;; [unrolled: 1-line block ×8, first 2 shown]
	s_waitcnt vmcnt(31)
	v_cvt_f32_f16_e32 v67, v52
	s_waitcnt vmcnt(30)
	v_cvt_f32_f16_e32 v66, v53
	;; [unrolled: 2-line block ×32, first 2 shown]
.LBB126_12:
	ds_read_b128 v[68:71], v3
	s_load_dwordx2 s[0:1], s[4:5], 0x0
	s_load_dwordx2 s[2:3], s[4:5], 0x38
	ds_read_b128 v[72:75], v3 offset:16
	ds_read_b128 v[76:79], v3 offset:32
	;; [unrolled: 1-line block ×3, first 2 shown]
	s_and_b64 vcc, exec, s[8:9]
	s_waitcnt vmcnt(15) lgkmcnt(0)
	v_fma_mix_f32 v4, v68, v4, 0 op_sel_hi:[0,1,0]
	s_waitcnt vmcnt(14)
	v_fma_mix_f32 v4, v69, v5, v4 op_sel_hi:[0,1,0]
	s_waitcnt vmcnt(13)
	;; [unrolled: 2-line block ×15, first 2 shown]
	v_fma_mix_f32 v4, v83, v19, v4 op_sel_hi:[0,1,0]
	s_cbranch_vccz .LBB126_15
; %bb.13:
	ds_read_b128 v[6:9], v3 offset:64
	ds_read_b128 v[10:13], v3 offset:80
	;; [unrolled: 1-line block ×4, first 2 shown]
	s_cmpk_lt_u32 s50, 0x2001
	s_waitcnt lgkmcnt(3)
	v_fma_mix_f32 v3, v6, v27, v4 op_sel_hi:[0,1,0]
	v_fma_mix_f32 v3, v7, v26, v3 op_sel_hi:[0,1,0]
	v_fma_mix_f32 v3, v8, v25, v3 op_sel_hi:[0,1,0]
	v_fma_mix_f32 v3, v9, v24, v3 op_sel_hi:[0,1,0]
	s_waitcnt lgkmcnt(2)
	v_fma_mix_f32 v3, v10, v23, v3 op_sel_hi:[0,1,0]
	v_fma_mix_f32 v3, v11, v22, v3 op_sel_hi:[0,1,0]
	v_fma_mix_f32 v3, v12, v20, v3 op_sel_hi:[0,1,0]
	v_fma_mix_f32 v3, v13, v21, v3 op_sel_hi:[0,1,0]
	;; [unrolled: 5-line block ×4, first 2 shown]
	s_cbranch_scc1 .LBB126_15
; %bb.14:
	v_mov_b32_e32 v3, 0
	ds_read_b128 v[6:9], v3 offset:128
	ds_read_b128 v[10:13], v3 offset:144
	ds_read_b128 v[14:17], v3 offset:160
	ds_read_b128 v[18:21], v3 offset:176
	s_waitcnt lgkmcnt(3)
	v_fmac_f32_e32 v4, v6, v67
	v_fmac_f32_e32 v4, v7, v66
	v_fmac_f32_e32 v4, v8, v65
	v_fmac_f32_e32 v4, v9, v64
	s_waitcnt lgkmcnt(2)
	v_fmac_f32_e32 v4, v10, v63
	v_fmac_f32_e32 v4, v11, v62
	v_fmac_f32_e32 v4, v12, v61
	v_fmac_f32_e32 v4, v13, v60
	;; [unrolled: 5-line block ×3, first 2 shown]
	ds_read_b128 v[6:9], v3 offset:192
	ds_read_b128 v[10:13], v3 offset:208
	s_waitcnt lgkmcnt(2)
	v_fmac_f32_e32 v4, v18, v55
	v_fmac_f32_e32 v4, v19, v54
	v_fmac_f32_e32 v4, v20, v53
	v_fmac_f32_e32 v4, v21, v52
	s_waitcnt lgkmcnt(1)
	v_fmac_f32_e32 v4, v6, v51
	v_fmac_f32_e32 v4, v7, v50
	;; [unrolled: 1-line block ×4, first 2 shown]
	ds_read_b128 v[6:9], v3 offset:224
	s_waitcnt lgkmcnt(1)
	v_fmac_f32_e32 v4, v10, v47
	v_fmac_f32_e32 v4, v11, v46
	;; [unrolled: 1-line block ×4, first 2 shown]
	ds_read_b128 v[10:13], v3 offset:240
	s_waitcnt lgkmcnt(1)
	v_fmac_f32_e32 v4, v6, v43
	v_fmac_f32_e32 v4, v7, v42
	;; [unrolled: 1-line block ×4, first 2 shown]
	s_waitcnt lgkmcnt(0)
	v_fmac_f32_e32 v4, v10, v39
	v_fmac_f32_e32 v4, v11, v38
	;; [unrolled: 1-line block ×4, first 2 shown]
.LBB126_15:
	s_movk_i32 s4, 0x3f80
	s_movk_i32 s5, 0x100
	s_mov_b32 s8, 64
	s_branch .LBB126_17
.LBB126_16:                             ;   in Loop: Header=BB126_17 Depth=1
	s_addk_i32 s4, 0x2000
	s_addk_i32 s5, 0x100
	s_add_i32 s8, s8, 64
	s_cmp_eq_u32 s4, 0x17f80
	s_cbranch_scc1 .LBB126_19
.LBB126_17:                             ; =>This Inner Loop Header: Depth=1
	s_cmp_le_i32 s33, s8
	s_cbranch_scc1 .LBB126_16
; %bb.18:                               ;   in Loop: Header=BB126_17 Depth=1
	s_add_i32 s9, s4, 0xffffe080
	s_cmp_lt_i32 s9, s10
	s_cselect_b32 s12, s9, s11
	s_ashr_i32 s13, s12, 31
	s_lshl_b64 s[12:13], s[12:13], 1
	s_add_i32 s9, s4, 0xffffe100
	s_cmp_lt_i32 s9, s10
	v_add_co_u32_e32 v12, vcc, s12, v1
	s_cselect_b32 s12, s9, s11
	v_mov_b32_e32 v3, s13
	s_ashr_i32 s13, s12, 31
	s_lshl_b64 s[12:13], s[12:13], 1
	s_add_i32 s9, s4, 0xffffe180
	v_addc_co_u32_e32 v13, vcc, v2, v3, vcc
	s_cmp_lt_i32 s9, s10
	v_add_co_u32_e32 v14, vcc, s12, v1
	s_cselect_b32 s12, s9, s11
	v_mov_b32_e32 v3, s13
	s_ashr_i32 s13, s12, 31
	s_lshl_b64 s[12:13], s[12:13], 1
	s_add_i32 s9, s4, 0xffffe200
	v_addc_co_u32_e32 v15, vcc, v2, v3, vcc
	;; [unrolled: 8-line block ×8, first 2 shown]
	s_cmp_lt_i32 s9, s10
	global_load_ushort v3, v[12:13], off
	global_load_ushort v5, v[14:15], off
	;; [unrolled: 1-line block ×8, first 2 shown]
	v_add_co_u32_e32 v20, vcc, s12, v1
	s_cselect_b32 s12, s9, s11
	v_mov_b32_e32 v12, s13
	s_ashr_i32 s13, s12, 31
	s_lshl_b64 s[12:13], s[12:13], 1
	s_add_i32 s9, s4, 0xffffe580
	v_addc_co_u32_e32 v21, vcc, v2, v12, vcc
	s_cmp_lt_i32 s9, s10
	v_add_co_u32_e32 v22, vcc, s12, v1
	s_cselect_b32 s12, s9, s11
	v_mov_b32_e32 v12, s13
	s_ashr_i32 s13, s12, 31
	s_lshl_b64 s[12:13], s[12:13], 1
	s_add_i32 s9, s4, 0xffffe600
	v_addc_co_u32_e32 v23, vcc, v2, v12, vcc
	s_cmp_lt_i32 s9, s10
	;; [unrolled: 8-line block ×8, first 2 shown]
	global_load_ushort v15, v[20:21], off
	global_load_ushort v16, v[22:23], off
	;; [unrolled: 1-line block ×8, first 2 shown]
	v_add_co_u32_e32 v28, vcc, s12, v1
	s_cselect_b32 s12, s9, s11
	v_mov_b32_e32 v20, s13
	s_ashr_i32 s13, s12, 31
	s_lshl_b64 s[12:13], s[12:13], 1
	s_add_i32 s9, s4, 0xffffe980
	v_addc_co_u32_e32 v29, vcc, v2, v20, vcc
	s_cmp_lt_i32 s9, s10
	v_add_co_u32_e32 v30, vcc, s12, v1
	s_cselect_b32 s12, s9, s11
	v_mov_b32_e32 v20, s13
	s_ashr_i32 s13, s12, 31
	s_lshl_b64 s[12:13], s[12:13], 1
	s_add_i32 s9, s4, 0xffffea00
	v_addc_co_u32_e32 v31, vcc, v2, v20, vcc
	s_cmp_lt_i32 s9, s10
	;; [unrolled: 8-line block ×8, first 2 shown]
	global_load_ushort v23, v[28:29], off
	global_load_ushort v24, v[30:31], off
	;; [unrolled: 1-line block ×8, first 2 shown]
	v_add_co_u32_e32 v36, vcc, s12, v1
	s_cselect_b32 s12, s9, s11
	v_mov_b32_e32 v28, s13
	s_ashr_i32 s13, s12, 31
	s_lshl_b64 s[12:13], s[12:13], 1
	s_add_i32 s9, s4, 0xffffed80
	v_addc_co_u32_e32 v37, vcc, v2, v28, vcc
	s_cmp_lt_i32 s9, s10
	v_add_co_u32_e32 v38, vcc, s12, v1
	s_cselect_b32 s12, s9, s11
	v_mov_b32_e32 v28, s13
	s_ashr_i32 s13, s12, 31
	s_lshl_b64 s[12:13], s[12:13], 1
	s_add_i32 s9, s4, 0xffffee00
	v_addc_co_u32_e32 v39, vcc, v2, v28, vcc
	s_cmp_lt_i32 s9, s10
	;; [unrolled: 8-line block ×8, first 2 shown]
	global_load_ushort v31, v[36:37], off
	global_load_ushort v32, v[38:39], off
	;; [unrolled: 1-line block ×8, first 2 shown]
	v_add_co_u32_e32 v36, vcc, s12, v1
	s_cselect_b32 s12, s9, s11
	v_mov_b32_e32 v37, s13
	s_ashr_i32 s13, s12, 31
	s_lshl_b64 s[12:13], s[12:13], 1
	s_add_i32 s9, s4, 0xfffff180
	v_addc_co_u32_e32 v37, vcc, v2, v37, vcc
	s_cmp_lt_i32 s9, s10
	v_add_co_u32_e32 v38, vcc, s12, v1
	s_cselect_b32 s12, s9, s11
	v_mov_b32_e32 v39, s13
	s_ashr_i32 s13, s12, 31
	s_lshl_b64 s[12:13], s[12:13], 1
	s_add_i32 s9, s4, 0xfffff200
	v_addc_co_u32_e32 v39, vcc, v2, v39, vcc
	s_cmp_lt_i32 s9, s10
	;; [unrolled: 8-line block ×8, first 2 shown]
	global_load_ushort v52, v[36:37], off
	global_load_ushort v53, v[38:39], off
	;; [unrolled: 1-line block ×8, first 2 shown]
	v_add_co_u32_e32 v36, vcc, s12, v1
	s_cselect_b32 s12, s9, s11
	v_mov_b32_e32 v37, s13
	s_ashr_i32 s13, s12, 31
	s_lshl_b64 s[12:13], s[12:13], 1
	s_add_i32 s9, s4, 0xfffff580
	v_addc_co_u32_e32 v37, vcc, v2, v37, vcc
	s_cmp_lt_i32 s9, s10
	v_add_co_u32_e32 v38, vcc, s12, v1
	s_cselect_b32 s12, s9, s11
	v_mov_b32_e32 v39, s13
	s_ashr_i32 s13, s12, 31
	s_lshl_b64 s[12:13], s[12:13], 1
	s_add_i32 s9, s4, 0xfffff600
	v_addc_co_u32_e32 v39, vcc, v2, v39, vcc
	s_cmp_lt_i32 s9, s10
	;; [unrolled: 8-line block ×8, first 2 shown]
	global_load_ushort v60, v[36:37], off
	global_load_ushort v61, v[38:39], off
	;; [unrolled: 1-line block ×8, first 2 shown]
	v_add_co_u32_e32 v36, vcc, s12, v1
	s_cselect_b32 s12, s9, s11
	v_mov_b32_e32 v37, s13
	s_ashr_i32 s13, s12, 31
	s_lshl_b64 s[12:13], s[12:13], 1
	s_add_i32 s9, s4, 0xfffff980
	v_addc_co_u32_e32 v37, vcc, v2, v37, vcc
	s_cmp_lt_i32 s9, s10
	v_add_co_u32_e32 v38, vcc, s12, v1
	s_cselect_b32 s12, s9, s11
	v_mov_b32_e32 v39, s13
	s_ashr_i32 s13, s12, 31
	s_lshl_b64 s[12:13], s[12:13], 1
	s_add_i32 s9, s4, 0xfffffa00
	v_addc_co_u32_e32 v39, vcc, v2, v39, vcc
	s_cmp_lt_i32 s9, s10
	;; [unrolled: 8-line block ×8, first 2 shown]
	global_load_ushort v68, v[36:37], off
	global_load_ushort v69, v[38:39], off
	;; [unrolled: 1-line block ×8, first 2 shown]
	v_add_co_u32_e32 v36, vcc, s12, v1
	s_cselect_b32 s12, s9, s11
	v_mov_b32_e32 v37, s13
	s_ashr_i32 s13, s12, 31
	s_lshl_b64 s[12:13], s[12:13], 1
	s_add_i32 s9, s4, 0xfffffd80
	v_addc_co_u32_e32 v37, vcc, v2, v37, vcc
	s_cmp_lt_i32 s9, s10
	v_add_co_u32_e32 v38, vcc, s12, v1
	s_cselect_b32 s12, s9, s11
	v_mov_b32_e32 v39, s13
	s_ashr_i32 s13, s12, 31
	s_lshl_b64 s[12:13], s[12:13], 1
	s_add_i32 s9, s4, 0xfffffe00
	v_addc_co_u32_e32 v39, vcc, v2, v39, vcc
	s_cmp_lt_i32 s9, s10
	;; [unrolled: 8-line block ×5, first 2 shown]
	v_add_co_u32_e32 v46, vcc, s12, v1
	s_cselect_b32 s12, s9, s11
	v_mov_b32_e32 v47, s13
	s_ashr_i32 s13, s12, 31
	s_lshl_b64 s[12:13], s[12:13], 1
	v_addc_co_u32_e32 v47, vcc, v2, v47, vcc
	s_cmp_lt_i32 s4, s10
	v_add_co_u32_e32 v48, vcc, s12, v1
	s_cselect_b32 s12, s4, s11
	v_mov_b32_e32 v49, s13
	s_ashr_i32 s13, s12, 31
	v_addc_co_u32_e32 v49, vcc, v2, v49, vcc
	s_lshl_b64 s[12:13], s[12:13], 1
	v_mov_b32_e32 v51, s13
	v_add_co_u32_e32 v50, vcc, s12, v1
	v_addc_co_u32_e32 v51, vcc, v2, v51, vcc
	global_load_ushort v76, v[36:37], off
	global_load_ushort v77, v[38:39], off
	;; [unrolled: 1-line block ×8, first 2 shown]
	v_mov_b32_e32 v84, s5
	ds_read_b128 v[36:39], v84
	ds_read_b128 v[40:43], v84 offset:16
	ds_read_b128 v[44:47], v84 offset:32
	;; [unrolled: 1-line block ×3, first 2 shown]
	s_waitcnt vmcnt(62) lgkmcnt(3)
	v_fma_mix_f32 v3, v36, v3, v4 op_sel_hi:[0,1,0]
	v_fma_mix_f32 v3, v37, v5, v3 op_sel_hi:[0,1,0]
	s_waitcnt vmcnt(61)
	v_fma_mix_f32 v3, v38, v6, v3 op_sel_hi:[0,1,0]
	s_waitcnt vmcnt(60)
	v_fma_mix_f32 v3, v39, v7, v3 op_sel_hi:[0,1,0]
	s_waitcnt vmcnt(59) lgkmcnt(2)
	v_fma_mix_f32 v3, v40, v8, v3 op_sel_hi:[0,1,0]
	s_waitcnt vmcnt(58)
	v_fma_mix_f32 v3, v41, v9, v3 op_sel_hi:[0,1,0]
	s_waitcnt vmcnt(57)
	;; [unrolled: 2-line block ×3, first 2 shown]
	v_fma_mix_f32 v3, v43, v11, v3 op_sel_hi:[0,1,0]
	s_waitcnt vmcnt(55) lgkmcnt(1)
	v_fma_mix_f32 v3, v44, v15, v3 op_sel_hi:[0,1,0]
	s_waitcnt vmcnt(54)
	v_fma_mix_f32 v3, v45, v16, v3 op_sel_hi:[0,1,0]
	s_waitcnt vmcnt(53)
	;; [unrolled: 2-line block ×3, first 2 shown]
	v_fma_mix_f32 v3, v47, v18, v3 op_sel_hi:[0,1,0]
	ds_read_b128 v[4:7], v84 offset:64
	ds_read_b128 v[8:11], v84 offset:80
	s_waitcnt vmcnt(51) lgkmcnt(2)
	v_fma_mix_f32 v3, v48, v19, v3 op_sel_hi:[0,1,0]
	s_waitcnt vmcnt(50)
	v_fma_mix_f32 v3, v49, v12, v3 op_sel_hi:[0,1,0]
	s_waitcnt vmcnt(49)
	;; [unrolled: 2-line block ×3, first 2 shown]
	v_fma_mix_f32 v3, v51, v14, v3 op_sel_hi:[0,1,0]
	s_waitcnt vmcnt(47) lgkmcnt(1)
	v_fma_mix_f32 v3, v4, v23, v3 op_sel_hi:[0,1,0]
	s_waitcnt vmcnt(46)
	v_fma_mix_f32 v3, v5, v24, v3 op_sel_hi:[0,1,0]
	s_waitcnt vmcnt(45)
	v_fma_mix_f32 v3, v6, v25, v3 op_sel_hi:[0,1,0]
	s_waitcnt vmcnt(44)
	v_fma_mix_f32 v3, v7, v26, v3 op_sel_hi:[0,1,0]
	ds_read_b128 v[4:7], v84 offset:96
	s_waitcnt vmcnt(43) lgkmcnt(1)
	v_fma_mix_f32 v3, v8, v27, v3 op_sel_hi:[0,1,0]
	s_waitcnt vmcnt(42)
	v_fma_mix_f32 v3, v9, v20, v3 op_sel_hi:[0,1,0]
	s_waitcnt vmcnt(41)
	v_fma_mix_f32 v3, v10, v21, v3 op_sel_hi:[0,1,0]
	s_waitcnt vmcnt(40)
	v_fma_mix_f32 v3, v11, v22, v3 op_sel_hi:[0,1,0]
	ds_read_b128 v[8:11], v84 offset:112
	;; [unrolled: 9-line block ×10, first 2 shown]
	s_waitcnt vmcnt(7) lgkmcnt(1)
	v_fma_mix_f32 v3, v4, v76, v3 op_sel_hi:[0,1,0]
	s_waitcnt vmcnt(6)
	v_fma_mix_f32 v3, v5, v77, v3 op_sel_hi:[0,1,0]
	s_waitcnt vmcnt(5)
	v_fma_mix_f32 v3, v6, v78, v3 op_sel_hi:[0,1,0]
	s_waitcnt vmcnt(4)
	v_fma_mix_f32 v3, v7, v79, v3 op_sel_hi:[0,1,0]
	s_waitcnt vmcnt(3) lgkmcnt(0)
	v_fma_mix_f32 v3, v8, v80, v3 op_sel_hi:[0,1,0]
	s_waitcnt vmcnt(2)
	v_fma_mix_f32 v3, v9, v81, v3 op_sel_hi:[0,1,0]
	s_waitcnt vmcnt(1)
	;; [unrolled: 2-line block ×3, first 2 shown]
	v_fma_mix_f32 v4, v11, v83, v3 op_sel_hi:[0,1,0]
	s_branch .LBB126_16
.LBB126_19:
	v_mov_b32_e32 v1, 0
	ds_read_b32 v2, v1 offset:2816
	s_cmp_lg_u64 s[2:3], 0
	s_cbranch_scc0 .LBB126_24
; %bb.20:
	s_load_dword s4, s[2:3], 0x0
	s_waitcnt lgkmcnt(0)
	v_div_scale_f32 v1, s[2:3], s4, s4, 1.0
	v_rcp_f32_e32 v3, v1
	v_div_scale_f32 v5, vcc, 1.0, s4, 1.0
	v_fma_f32 v6, -v1, v3, 1.0
	v_fmac_f32_e32 v3, v6, v3
	v_mul_f32_e32 v6, v5, v3
	v_fma_f32 v7, -v1, v6, v5
	v_fmac_f32_e32 v6, v7, v3
	v_fma_f32 v1, -v1, v6, v5
	v_div_fmas_f32 v1, v1, v3, v6
	v_div_fixup_f32 v1, v1, s4, 1.0
	s_andn2_b64 vcc, exec, s[40:41]
	s_cbranch_vccnz .LBB126_22
.LBB126_21:
	s_add_u32 s2, s34, s42
	s_addc_u32 s3, s35, s43
	s_load_dword s26, s[2:3], 0x0
	s_mov_b32 s27, 0
.LBB126_22:
	s_waitcnt lgkmcnt(0)
	v_add_f32_e32 v2, 0x358637bd, v2
	v_div_scale_f32 v3, s[2:3], v2, v2, 1.0
	v_rcp_f32_e32 v5, v3
	v_div_scale_f32 v6, vcc, 1.0, v2, 1.0
	s_mul_i32 s2, s7, s27
	v_fma_f32 v7, -v3, v5, 1.0
	v_fmac_f32_e32 v5, v7, v5
	v_mul_f32_e32 v7, v6, v5
	v_fma_f32 v8, -v3, v7, v6
	s_mul_hi_u32 s3, s7, s26
	v_fmac_f32_e32 v7, v8, v5
	s_add_i32 s3, s3, s2
	s_mul_i32 s2, s7, s26
	v_fma_f32 v3, -v3, v7, v6
	s_lshl_b64 s[2:3], s[2:3], 8
	v_div_fmas_f32 v3, v3, v5, v7
	s_add_u32 s2, s0, s2
	s_mov_b32 s7, 0
	v_div_fixup_f32 v2, v3, v2, 1.0
	s_addc_u32 s3, s1, s3
	s_lshl_b64 s[0:1], s[6:7], 8
	v_mul_f32_e32 v2, v4, v2
	s_add_u32 s0, s2, s0
	s_addc_u32 s1, s3, s1
	v_fma_mixlo_f16 v1, v2, v1, 0
	global_store_short v0, v1, s[0:1]
	s_endpgm
.LBB126_23:
	s_mov_b64 s[2:3], 0
	s_branch .LBB126_2
.LBB126_24:
	v_mov_b32_e32 v1, 1.0
	s_andn2_b64 vcc, exec, s[40:41]
	s_cbranch_vccz .LBB126_21
	s_branch .LBB126_22
	.section	.rodata,"a",@progbits
	.p2align	6, 0x0
	.amdhsa_kernel _Z35paged_attention_ll4mi_reduce_kernelIDF16_DF16_Li128ELi128ELi256ELi11EEvPT0_PKfS3_PKT_PKiS8_iS3_
		.amdhsa_group_segment_fixed_size 2820
		.amdhsa_private_segment_fixed_size 0
		.amdhsa_kernarg_size 320
		.amdhsa_user_sgpr_count 6
		.amdhsa_user_sgpr_private_segment_buffer 1
		.amdhsa_user_sgpr_dispatch_ptr 0
		.amdhsa_user_sgpr_queue_ptr 0
		.amdhsa_user_sgpr_kernarg_segment_ptr 1
		.amdhsa_user_sgpr_dispatch_id 0
		.amdhsa_user_sgpr_flat_scratch_init 0
		.amdhsa_user_sgpr_kernarg_preload_length 0
		.amdhsa_user_sgpr_kernarg_preload_offset 0
		.amdhsa_user_sgpr_private_segment_size 0
		.amdhsa_uses_dynamic_stack 0
		.amdhsa_system_sgpr_private_segment_wavefront_offset 0
		.amdhsa_system_sgpr_workgroup_id_x 1
		.amdhsa_system_sgpr_workgroup_id_y 1
		.amdhsa_system_sgpr_workgroup_id_z 0
		.amdhsa_system_sgpr_workgroup_info 0
		.amdhsa_system_vgpr_workitem_id 0
		.amdhsa_next_free_vgpr 92
		.amdhsa_next_free_sgpr 51
		.amdhsa_accum_offset 92
		.amdhsa_reserve_vcc 1
		.amdhsa_reserve_flat_scratch 0
		.amdhsa_float_round_mode_32 0
		.amdhsa_float_round_mode_16_64 0
		.amdhsa_float_denorm_mode_32 3
		.amdhsa_float_denorm_mode_16_64 3
		.amdhsa_dx10_clamp 1
		.amdhsa_ieee_mode 1
		.amdhsa_fp16_overflow 0
		.amdhsa_tg_split 0
		.amdhsa_exception_fp_ieee_invalid_op 0
		.amdhsa_exception_fp_denorm_src 0
		.amdhsa_exception_fp_ieee_div_zero 0
		.amdhsa_exception_fp_ieee_overflow 0
		.amdhsa_exception_fp_ieee_underflow 0
		.amdhsa_exception_fp_ieee_inexact 0
		.amdhsa_exception_int_div_zero 0
	.end_amdhsa_kernel
	.section	.text._Z35paged_attention_ll4mi_reduce_kernelIDF16_DF16_Li128ELi128ELi256ELi11EEvPT0_PKfS3_PKT_PKiS8_iS3_,"axG",@progbits,_Z35paged_attention_ll4mi_reduce_kernelIDF16_DF16_Li128ELi128ELi256ELi11EEvPT0_PKfS3_PKT_PKiS8_iS3_,comdat
.Lfunc_end126:
	.size	_Z35paged_attention_ll4mi_reduce_kernelIDF16_DF16_Li128ELi128ELi256ELi11EEvPT0_PKfS3_PKT_PKiS8_iS3_, .Lfunc_end126-_Z35paged_attention_ll4mi_reduce_kernelIDF16_DF16_Li128ELi128ELi256ELi11EEvPT0_PKfS3_PKT_PKiS8_iS3_
                                        ; -- End function
	.section	.AMDGPU.csdata,"",@progbits
; Kernel info:
; codeLenInByte = 10952
; NumSgprs: 55
; NumVgprs: 92
; NumAgprs: 0
; TotalNumVgprs: 92
; ScratchSize: 0
; MemoryBound: 0
; FloatMode: 240
; IeeeMode: 1
; LDSByteSize: 2820 bytes/workgroup (compile time only)
; SGPRBlocks: 6
; VGPRBlocks: 11
; NumSGPRsForWavesPerEU: 55
; NumVGPRsForWavesPerEU: 92
; AccumOffset: 92
; Occupancy: 5
; WaveLimiterHint : 1
; COMPUTE_PGM_RSRC2:SCRATCH_EN: 0
; COMPUTE_PGM_RSRC2:USER_SGPR: 6
; COMPUTE_PGM_RSRC2:TRAP_HANDLER: 0
; COMPUTE_PGM_RSRC2:TGID_X_EN: 1
; COMPUTE_PGM_RSRC2:TGID_Y_EN: 1
; COMPUTE_PGM_RSRC2:TGID_Z_EN: 0
; COMPUTE_PGM_RSRC2:TIDIG_COMP_CNT: 0
; COMPUTE_PGM_RSRC3_GFX90A:ACCUM_OFFSET: 22
; COMPUTE_PGM_RSRC3_GFX90A:TG_SPLIT: 0
	.section	.text._Z35paged_attention_ll4mi_reduce_kernelIDF16_DF16_Li128ELi128ELi256ELi12EEvPT0_PKfS3_PKT_PKiS8_iS3_,"axG",@progbits,_Z35paged_attention_ll4mi_reduce_kernelIDF16_DF16_Li128ELi128ELi256ELi12EEvPT0_PKfS3_PKT_PKiS8_iS3_,comdat
	.protected	_Z35paged_attention_ll4mi_reduce_kernelIDF16_DF16_Li128ELi128ELi256ELi12EEvPT0_PKfS3_PKT_PKiS8_iS3_ ; -- Begin function _Z35paged_attention_ll4mi_reduce_kernelIDF16_DF16_Li128ELi128ELi256ELi12EEvPT0_PKfS3_PKT_PKiS8_iS3_
	.globl	_Z35paged_attention_ll4mi_reduce_kernelIDF16_DF16_Li128ELi128ELi256ELi12EEvPT0_PKfS3_PKT_PKiS8_iS3_
	.p2align	8
	.type	_Z35paged_attention_ll4mi_reduce_kernelIDF16_DF16_Li128ELi128ELi256ELi12EEvPT0_PKfS3_PKT_PKiS8_iS3_,@function
_Z35paged_attention_ll4mi_reduce_kernelIDF16_DF16_Li128ELi128ELi256ELi12EEvPT0_PKfS3_PKT_PKiS8_iS3_: ; @_Z35paged_attention_ll4mi_reduce_kernelIDF16_DF16_Li128ELi128ELi256ELi12EEvPT0_PKfS3_PKT_PKiS8_iS3_
; %bb.0:
	s_load_dwordx2 s[40:41], s[4:5], 0x28
	s_mov_b32 s34, s7
	s_mov_b64 s[0:1], 0
	s_waitcnt lgkmcnt(0)
	s_cmp_lg_u64 s[40:41], 0
	s_cselect_b64 s[42:43], -1, 0
	s_and_b64 vcc, exec, s[42:43]
	s_cbranch_vccz .LBB127_23
; %bb.1:
	s_add_i32 s2, s34, 1
	s_mov_b32 s3, 0
	s_lshl_b64 s[8:9], s[2:3], 2
	s_add_u32 s8, s40, s8
	s_mov_b32 s35, s3
	s_addc_u32 s9, s41, s9
	s_lshl_b64 s[2:3], s[34:35], 2
	s_add_u32 s2, s40, s2
	s_addc_u32 s3, s41, s3
	s_load_dword s7, s[8:9], 0x0
	s_load_dword s10, s[2:3], 0x0
	s_waitcnt lgkmcnt(0)
	s_sub_i32 s2, s7, s10
	s_cmp_eq_u32 s2, 1
	s_cselect_b64 s[2:3], -1, 0
	s_andn2_b64 vcc, exec, s[0:1]
	s_cbranch_vccnz .LBB127_3
.LBB127_2:
	s_mov_b32 s35, 0
	s_mov_b64 s[2:3], -1
.LBB127_3:
	s_andn2_b64 vcc, exec, s[2:3]
	s_cbranch_vccz .LBB127_5
; %bb.4:
	s_endpgm
.LBB127_5:
	s_load_dwordx4 s[28:31], s[4:5], 0x18
	s_load_dword s8, s[4:5], 0x30
	s_lshl_b64 s[44:45], s[34:35], 2
	v_cmp_lt_u32_e32 vcc, 63, v0
	s_waitcnt lgkmcnt(0)
	s_add_u32 s0, s30, s44
	s_addc_u32 s1, s31, s45
	s_load_dword s52, s[0:1], 0x0
	s_load_dword s7, s[4:5], 0x40
	s_mul_i32 s30, s6, s8
	s_mul_i32 s2, s34, s8
	s_waitcnt lgkmcnt(0)
	s_add_i32 s3, s52, 0xff
	s_ashr_i32 s0, s3, 31
	s_lshr_b32 s0, s0, 24
	s_add_i32 s3, s3, s0
	s_and_saveexec_b64 s[0:1], vcc
	s_xor_b64 s[0:1], exec, s[0:1]
	s_or_saveexec_b64 s[46:47], s[0:1]
	s_ashr_i32 s33, s3, 8
	v_mov_b32_e32 v1, s30
	s_mul_i32 s48, s2, s7
	s_xor_b64 exec, exec, s[46:47]
	s_cbranch_execz .LBB127_9
; %bb.6:
	s_add_i32 s0, s33, -1
	v_or_b32_e32 v3, 64, v0
	v_mov_b32_e32 v1, s0
	v_cmp_gt_u32_e64 s[22:23], s33, v3
	v_cndmask_b32_e64 v4, v1, v3, s[22:23]
	v_or_b32_e32 v3, 0x80, v0
	v_cmp_gt_u32_e64 s[20:21], s33, v3
	v_cndmask_b32_e64 v6, v1, v3, s[20:21]
	v_or_b32_e32 v3, 0xc0, v0
	v_cmp_gt_u32_e64 s[18:19], s33, v3
	v_cndmask_b32_e64 v8, v1, v3, s[18:19]
	v_or_b32_e32 v3, 0x100, v0
	v_cmp_gt_u32_e64 s[16:17], s33, v3
	v_cndmask_b32_e64 v10, v1, v3, s[16:17]
	v_or_b32_e32 v3, 0x140, v0
	v_cmp_gt_u32_e64 s[14:15], s33, v3
	v_cndmask_b32_e64 v12, v1, v3, s[14:15]
	v_or_b32_e32 v3, 0x180, v0
	v_cmp_gt_u32_e64 s[12:13], s33, v3
	v_cndmask_b32_e64 v14, v1, v3, s[12:13]
	v_or_b32_e32 v3, 0x1c0, v0
	v_cmp_gt_u32_e64 s[10:11], s33, v3
	v_cndmask_b32_e64 v16, v1, v3, s[10:11]
	v_or_b32_e32 v3, 0x200, v0
	s_load_dwordx4 s[36:39], s[4:5], 0x8
	v_cmp_gt_u32_e64 s[8:9], s33, v3
	v_cndmask_b32_e64 v18, v1, v3, s[8:9]
	v_or_b32_e32 v3, 0x240, v0
	v_cmp_gt_u32_e64 s[2:3], s33, v3
	s_mov_b32 s49, 0
	v_cndmask_b32_e64 v20, v1, v3, s[2:3]
	v_or_b32_e32 v3, 0x280, v0
	v_cmp_gt_u32_e64 s[0:1], s33, v3
	s_lshl_b64 s[50:51], s[48:49], 2
	s_mov_b32 s31, s49
	v_cmp_gt_u32_e64 s[24:25], s33, v0
	v_cndmask_b32_e64 v22, v1, v3, s[0:1]
	v_or_b32_e32 v3, 0x2c0, v0
	s_waitcnt lgkmcnt(0)
	s_add_u32 s26, s38, s50
	v_cndmask_b32_e64 v2, v1, v0, s[24:25]
	v_cmp_gt_u32_e32 vcc, s33, v3
	s_addc_u32 s27, s39, s51
	s_lshl_b64 s[38:39], s[30:31], 2
	v_cndmask_b32_e32 v24, v1, v3, vcc
	s_add_u32 s31, s26, s38
	v_ashrrev_i32_e32 v3, 31, v2
	s_addc_u32 s49, s27, s39
	v_lshlrev_b64 v[2:3], 2, v[2:3]
	v_mov_b32_e32 v1, s49
	v_add_co_u32_e64 v26, s[26:27], s31, v2
	v_ashrrev_i32_e32 v5, 31, v4
	v_addc_co_u32_e64 v27, s[26:27], v1, v3, s[26:27]
	v_lshlrev_b64 v[4:5], 2, v[4:5]
	v_add_co_u32_e64 v28, s[26:27], s31, v4
	v_ashrrev_i32_e32 v7, 31, v6
	v_addc_co_u32_e64 v29, s[26:27], v1, v5, s[26:27]
	v_lshlrev_b64 v[6:7], 2, v[6:7]
	;; [unrolled: 4-line block ×8, first 2 shown]
	global_load_dword v1, v[26:27], off
	global_load_dword v42, v[28:29], off
	global_load_dword v43, v[30:31], off
	global_load_dword v44, v[32:33], off
	s_nop 0
	global_load_dword v34, v[34:35], off
	s_nop 0
	global_load_dword v35, v[36:37], off
	s_nop 0
	global_load_dword v36, v[38:39], off
	global_load_dword v37, v[40:41], off
	v_mov_b32_e32 v21, s49
	v_add_co_u32_e64 v26, s[26:27], s31, v18
	v_addc_co_u32_e64 v27, s[26:27], v21, v19, s[26:27]
	v_ashrrev_i32_e32 v21, 31, v20
	v_lshlrev_b64 v[20:21], 2, v[20:21]
	v_mov_b32_e32 v23, s49
	v_add_co_u32_e64 v28, s[26:27], s31, v20
	v_addc_co_u32_e64 v29, s[26:27], v23, v21, s[26:27]
	v_ashrrev_i32_e32 v23, 31, v22
	v_lshlrev_b64 v[22:23], 2, v[22:23]
	;; [unrolled: 5-line block ×3, first 2 shown]
	v_mov_b32_e32 v33, s49
	v_add_co_u32_e64 v32, s[26:27], s31, v24
	v_addc_co_u32_e64 v33, s[26:27], v33, v25, s[26:27]
	global_load_dword v26, v[26:27], off
	s_nop 0
	global_load_dword v27, v[28:29], off
	s_nop 0
	global_load_dword v28, v[30:31], off
	global_load_dword v29, v[32:33], off
	s_waitcnt vmcnt(11)
	v_max_f32_e32 v31, v1, v1
	s_waitcnt vmcnt(10)
	v_max_f32_e32 v30, v42, v42
	v_max_f32_e32 v30, v31, v30
	v_mbcnt_lo_u32_b32 v31, -1, 0
	v_mbcnt_hi_u32_b32 v31, -1, v31
	s_waitcnt vmcnt(8)
	v_max3_f32 v30, v30, v43, v44
	v_and_b32_e32 v32, 64, v31
	s_waitcnt vmcnt(6)
	v_max3_f32 v30, v30, v34, v35
	v_add_u32_e32 v32, 64, v32
	v_xor_b32_e32 v33, 32, v31
	s_waitcnt vmcnt(4)
	v_max3_f32 v30, v30, v36, v37
	v_cmp_lt_i32_e64 s[26:27], v33, v32
	v_cndmask_b32_e64 v33, v31, v33, s[26:27]
	v_lshlrev_b32_e32 v33, 2, v33
	s_waitcnt vmcnt(2)
	v_max3_f32 v30, v30, v26, v27
	s_waitcnt vmcnt(0)
	v_max3_f32 v30, v30, v28, v29
	ds_bpermute_b32 v38, v33, v30
	s_waitcnt lgkmcnt(0)
	v_max_f32_e32 v38, v38, v38
	v_max_f32_e32 v30, v30, v38
	v_xor_b32_e32 v38, 16, v31
	v_cmp_lt_i32_e64 s[26:27], v38, v32
	v_cndmask_b32_e64 v38, v31, v38, s[26:27]
	v_lshlrev_b32_e32 v38, 2, v38
	ds_bpermute_b32 v39, v38, v30
	s_waitcnt lgkmcnt(0)
	v_max_f32_e32 v39, v39, v39
	v_max_f32_e32 v30, v30, v39
	v_xor_b32_e32 v39, 8, v31
	v_cmp_lt_i32_e64 s[26:27], v39, v32
	v_cndmask_b32_e64 v39, v31, v39, s[26:27]
	v_lshlrev_b32_e32 v39, 2, v39
	;; [unrolled: 8-line block ×4, first 2 shown]
	ds_bpermute_b32 v45, v41, v30
	s_waitcnt lgkmcnt(0)
	v_max_f32_e32 v45, v45, v45
	v_max_f32_e32 v30, v30, v45
	v_xor_b32_e32 v45, 1, v31
	v_cmp_lt_i32_e64 s[26:27], v45, v32
	v_cndmask_b32_e64 v31, v31, v45, s[26:27]
	s_add_u32 s26, s36, s50
	s_addc_u32 s27, s37, s51
	s_add_u32 s31, s26, s38
	s_addc_u32 s36, s27, s39
	v_mov_b32_e32 v45, s36
	v_add_co_u32_e64 v2, s[26:27], s31, v2
	v_addc_co_u32_e64 v3, s[26:27], v45, v3, s[26:27]
	v_add_co_u32_e64 v4, s[26:27], s31, v4
	v_addc_co_u32_e64 v5, s[26:27], v45, v5, s[26:27]
	global_load_dword v45, v[2:3], off
	global_load_dword v46, v[4:5], off
	v_mov_b32_e32 v3, s36
	v_add_co_u32_e64 v2, s[26:27], s31, v6
	v_addc_co_u32_e64 v3, s[26:27], v3, v7, s[26:27]
	v_mov_b32_e32 v5, s36
	v_add_co_u32_e64 v4, s[26:27], s31, v8
	v_addc_co_u32_e64 v5, s[26:27], v5, v9, s[26:27]
	;; [unrolled: 3-line block ×6, first 2 shown]
	global_load_dword v14, v[2:3], off
	global_load_dword v15, v[4:5], off
	;; [unrolled: 1-line block ×6, first 2 shown]
	v_lshlrev_b32_e32 v31, 2, v31
	ds_bpermute_b32 v32, v31, v30
	v_mov_b32_e32 v3, s36
	v_add_co_u32_e64 v2, s[26:27], s31, v18
	v_addc_co_u32_e64 v3, s[26:27], v3, v19, s[26:27]
	v_mov_b32_e32 v5, s36
	v_add_co_u32_e64 v4, s[26:27], s31, v20
	v_addc_co_u32_e64 v5, s[26:27], v5, v21, s[26:27]
	s_waitcnt lgkmcnt(0)
	v_max_f32_e32 v10, v32, v32
	v_mov_b32_e32 v7, s36
	v_add_co_u32_e64 v6, s[26:27], s31, v22
	v_max_f32_e32 v10, v30, v10
	v_addc_co_u32_e64 v7, s[26:27], v7, v23, s[26:27]
	v_sub_f32_e32 v1, v1, v10
	v_add_co_u32_e64 v8, s[26:27], s31, v24
	s_mov_b32 s31, 0x3fb8aa3b
	v_mul_f32_e32 v11, 0x3fb8aa3b, v1
	v_fma_f32 v12, v1, s31, -v11
	v_rndne_f32_e32 v13, v11
	v_mov_b32_e32 v9, s36
	v_fmac_f32_e32 v12, 0x32a5705f, v1
	v_sub_f32_e32 v11, v11, v13
	v_addc_co_u32_e64 v9, s[26:27], v9, v25, s[26:27]
	v_add_f32_e32 v11, v11, v12
	v_cvt_i32_f32_e32 v12, v13
	global_load_dword v2, v[2:3], off
	s_nop 0
	global_load_dword v3, v[4:5], off
	global_load_dword v13, v[6:7], off
	;; [unrolled: 1-line block ×3, first 2 shown]
	v_sub_f32_e32 v6, v42, v10
	v_mul_f32_e32 v7, 0x3fb8aa3b, v6
	v_fma_f32 v8, v6, s31, -v7
	v_rndne_f32_e32 v9, v7
	v_exp_f32_e32 v11, v11
	v_fmac_f32_e32 v8, 0x32a5705f, v6
	v_sub_f32_e32 v7, v7, v9
	v_add_f32_e32 v7, v7, v8
	v_exp_f32_e32 v7, v7
	v_cvt_i32_f32_e32 v8, v9
	s_mov_b32 s36, 0xc2ce8ed0
	v_ldexp_f32 v4, v11, v12
	v_cmp_ngt_f32_e64 s[26:27], s36, v1
	s_mov_b32 s37, 0x42b17218
	v_cndmask_b32_e64 v4, 0, v4, s[26:27]
	v_mov_b32_e32 v5, 0x7f800000
	v_cmp_nlt_f32_e64 s[26:27], s37, v1
	v_cndmask_b32_e64 v1, v5, v4, s[26:27]
	v_ldexp_f32 v4, v7, v8
	v_sub_f32_e32 v7, v43, v10
	v_mul_f32_e32 v8, 0x3fb8aa3b, v7
	v_fma_f32 v9, v7, s31, -v8
	v_rndne_f32_e32 v11, v8
	v_fmac_f32_e32 v9, 0x32a5705f, v7
	v_sub_f32_e32 v8, v8, v11
	v_add_f32_e32 v8, v8, v9
	v_exp_f32_e32 v8, v8
	v_cvt_i32_f32_e32 v9, v11
	v_cndmask_b32_e64 v1, 0, v1, s[24:25]
	v_cmp_ngt_f32_e64 s[24:25], s36, v6
	v_cndmask_b32_e64 v4, 0, v4, s[24:25]
	v_cmp_nlt_f32_e64 s[24:25], s37, v6
	v_ldexp_f32 v6, v8, v9
	v_sub_f32_e32 v8, v44, v10
	v_mul_f32_e32 v9, 0x3fb8aa3b, v8
	v_fma_f32 v11, v8, s31, -v9
	v_rndne_f32_e32 v12, v9
	v_fmac_f32_e32 v11, 0x32a5705f, v8
	v_sub_f32_e32 v9, v9, v12
	v_add_f32_e32 v9, v9, v11
	v_exp_f32_e32 v9, v9
	v_cvt_i32_f32_e32 v11, v12
	v_cndmask_b32_e64 v4, v5, v4, s[24:25]
	v_cndmask_b32_e64 v4, 0, v4, s[22:23]
	v_cmp_ngt_f32_e64 s[22:23], s36, v7
	v_cndmask_b32_e64 v6, 0, v6, s[22:23]
	v_cmp_nlt_f32_e64 s[22:23], s37, v7
	v_cndmask_b32_e64 v6, v5, v6, s[22:23]
	v_ldexp_f32 v7, v9, v11
	v_sub_f32_e32 v9, v34, v10
	v_cndmask_b32_e64 v6, 0, v6, s[20:21]
	v_mul_f32_e32 v11, 0x3fb8aa3b, v9
	s_waitcnt vmcnt(9)
	v_mul_f32_e32 v6, v14, v6
	v_fma_f32 v12, v9, s31, -v11
	v_rndne_f32_e32 v14, v11
	v_fmac_f32_e32 v12, 0x32a5705f, v9
	v_sub_f32_e32 v11, v11, v14
	v_add_f32_e32 v11, v11, v12
	v_exp_f32_e32 v11, v11
	v_cvt_i32_f32_e32 v12, v14
	v_cmp_ngt_f32_e64 s[20:21], s36, v8
	v_cndmask_b32_e64 v7, 0, v7, s[20:21]
	v_cmp_nlt_f32_e64 s[20:21], s37, v8
	v_cndmask_b32_e64 v7, v5, v7, s[20:21]
	v_ldexp_f32 v8, v11, v12
	v_sub_f32_e32 v11, v35, v10
	v_cndmask_b32_e64 v7, 0, v7, s[18:19]
	v_mul_f32_e32 v12, 0x3fb8aa3b, v11
	s_waitcnt vmcnt(8)
	v_mul_f32_e32 v7, v15, v7
	v_fma_f32 v14, v11, s31, -v12
	v_rndne_f32_e32 v15, v12
	v_fmac_f32_e32 v14, 0x32a5705f, v11
	v_sub_f32_e32 v12, v12, v15
	v_add_f32_e32 v12, v12, v14
	v_exp_f32_e32 v12, v12
	v_cvt_i32_f32_e32 v14, v15
	;; [unrolled: 17-line block ×4, first 2 shown]
	v_cmp_ngt_f32_e64 s[14:15], s36, v12
	v_cndmask_b32_e64 v11, 0, v11, s[14:15]
	v_cmp_nlt_f32_e64 s[14:15], s37, v12
	v_ldexp_f32 v12, v15, v16
	v_sub_f32_e32 v15, v26, v10
	v_mul_f32_e32 v16, 0x3fb8aa3b, v15
	v_fma_f32 v17, v15, s31, -v16
	v_rndne_f32_e32 v19, v16
	v_fmac_f32_e32 v17, 0x32a5705f, v15
	v_sub_f32_e32 v16, v16, v19
	v_add_f32_e32 v16, v16, v17
	v_exp_f32_e32 v16, v16
	v_cvt_i32_f32_e32 v17, v19
	v_cndmask_b32_e64 v11, v5, v11, s[14:15]
	v_cndmask_b32_e64 v11, 0, v11, s[12:13]
	v_cmp_ngt_f32_e64 s[12:13], s36, v14
	v_cndmask_b32_e64 v12, 0, v12, s[12:13]
	v_cmp_nlt_f32_e64 s[12:13], s37, v14
	v_ldexp_f32 v14, v16, v17
	v_sub_f32_e32 v16, v27, v10
	v_mul_f32_e32 v17, 0x3fb8aa3b, v16
	v_fma_f32 v19, v16, s31, -v17
	v_rndne_f32_e32 v20, v17
	v_fmac_f32_e32 v19, 0x32a5705f, v16
	v_sub_f32_e32 v17, v17, v20
	v_cndmask_b32_e64 v12, v5, v12, s[12:13]
	v_add_f32_e32 v17, v17, v19
	v_cndmask_b32_e64 v12, 0, v12, s[10:11]
	v_cmp_ngt_f32_e64 s[10:11], s36, v15
	v_exp_f32_e32 v17, v17
	v_cvt_i32_f32_e32 v19, v20
	v_cndmask_b32_e64 v14, 0, v14, s[10:11]
	v_cmp_nlt_f32_e64 s[10:11], s37, v15
	v_cndmask_b32_e64 v14, v5, v14, s[10:11]
	v_cndmask_b32_e64 v14, 0, v14, s[8:9]
	v_sub_f32_e32 v15, v28, v10
	s_waitcnt vmcnt(3)
	v_mul_f32_e32 v14, v2, v14
	v_ldexp_f32 v2, v17, v19
	v_mul_f32_e32 v17, 0x3fb8aa3b, v15
	v_fma_f32 v19, v15, s31, -v17
	v_rndne_f32_e32 v20, v17
	v_fmac_f32_e32 v19, 0x32a5705f, v15
	v_sub_f32_e32 v17, v17, v20
	v_add_f32_e32 v17, v17, v19
	v_cmp_ngt_f32_e64 s[8:9], s36, v16
	v_exp_f32_e32 v17, v17
	v_cvt_i32_f32_e32 v19, v20
	v_cndmask_b32_e64 v2, 0, v2, s[8:9]
	v_cmp_nlt_f32_e64 s[8:9], s37, v16
	v_cndmask_b32_e64 v2, v5, v2, s[8:9]
	v_sub_f32_e32 v10, v29, v10
	v_cndmask_b32_e64 v2, 0, v2, s[2:3]
	v_mul_f32_e32 v16, 0x3fb8aa3b, v10
	s_waitcnt vmcnt(2)
	v_mul_f32_e32 v3, v3, v2
	v_ldexp_f32 v2, v17, v19
	v_fma_f32 v17, v10, s31, -v16
	v_rndne_f32_e32 v19, v16
	v_fmac_f32_e32 v17, 0x32a5705f, v10
	v_sub_f32_e32 v16, v16, v19
	v_add_f32_e32 v16, v16, v17
	v_cmp_ngt_f32_e64 s[2:3], s36, v15
	v_exp_f32_e32 v16, v16
	v_cvt_i32_f32_e32 v17, v19
	v_cndmask_b32_e64 v2, 0, v2, s[2:3]
	v_cmp_nlt_f32_e64 s[2:3], s37, v15
	v_cndmask_b32_e64 v2, v5, v2, s[2:3]
	v_cndmask_b32_e64 v2, 0, v2, s[0:1]
	s_waitcnt vmcnt(1)
	v_mul_f32_e32 v13, v13, v2
	v_ldexp_f32 v2, v16, v17
	v_cmp_ngt_f32_e64 s[0:1], s36, v10
	v_mul_f32_e32 v1, v45, v1
	v_mul_f32_e32 v4, v46, v4
	v_cndmask_b32_e64 v2, 0, v2, s[0:1]
	v_cmp_nlt_f32_e64 s[0:1], s37, v10
	v_cndmask_b32_e64 v2, v5, v2, s[0:1]
	v_add_f32_e32 v5, v1, v4
	v_add_f32_e32 v5, v5, v6
	;; [unrolled: 1-line block ×4, first 2 shown]
	v_mul_f32_e32 v11, v47, v11
	v_add_f32_e32 v5, v5, v9
	v_mul_f32_e32 v12, v48, v12
	v_add_f32_e32 v5, v5, v11
	v_add_f32_e32 v5, v5, v12
	;; [unrolled: 1-line block ×4, first 2 shown]
	v_cndmask_b32_e32 v2, 0, v2, vcc
	v_add_f32_e32 v5, v5, v13
	s_waitcnt vmcnt(0)
	v_fmac_f32_e32 v5, v18, v2
	ds_bpermute_b32 v10, v33, v5
	v_mul_f32_e32 v15, v18, v2
	v_cmp_eq_u32_e32 vcc, 0, v0
	s_waitcnt lgkmcnt(0)
	v_add_f32_e32 v5, v5, v10
	ds_bpermute_b32 v10, v38, v5
	s_waitcnt lgkmcnt(0)
	v_add_f32_e32 v5, v5, v10
	ds_bpermute_b32 v10, v39, v5
	;; [unrolled: 3-line block ×4, first 2 shown]
	v_lshlrev_b32_e32 v10, 2, v0
	ds_write2st64_b32 v10, v1, v4 offset1:1
	ds_write2st64_b32 v10, v6, v7 offset0:2 offset1:3
	ds_write2st64_b32 v10, v8, v9 offset0:4 offset1:5
	;; [unrolled: 1-line block ×5, first 2 shown]
	s_waitcnt lgkmcnt(6)
	v_add_f32_e32 v1, v2, v5
	ds_bpermute_b32 v2, v31, v1
	s_and_saveexec_b64 s[0:1], vcc
	s_cbranch_execz .LBB127_8
; %bb.7:
	s_waitcnt lgkmcnt(0)
	v_add_f32_e32 v1, v1, v2
	v_mov_b32_e32 v2, 0
	ds_write_b32 v2, v1 offset:3072
.LBB127_8:
	s_or_b64 exec, exec, s[0:1]
	v_mov_b32_e32 v1, s30
.LBB127_9:
	s_or_b64 exec, exec, s[46:47]
	s_lshl_b32 s0, s48, 7
	s_mov_b32 s1, 0
	s_lshl_b64 s[0:1], s[0:1], 1
	s_add_u32 s0, s28, s0
	s_addc_u32 s1, s29, s1
	s_lshl_b32 s10, s33, 7
	s_waitcnt lgkmcnt(0)
	v_lshlrev_b32_e32 v2, 7, v1
	v_mov_b32_e32 v3, 0
	s_add_i32 s11, s10, 0xffffff80
	v_lshlrev_b64 v[4:5], 1, v[2:3]
	s_cmp_lt_i32 s52, 1
	v_mov_b32_e32 v1, s1
	v_add_co_u32_e32 v2, vcc, s0, v4
	s_cselect_b32 s0, s11, 0
	v_addc_co_u32_e32 v4, vcc, v1, v5, vcc
	v_lshlrev_b32_e32 v0, 1, v0
	s_ashr_i32 s1, s0, 31
	v_add_co_u32_e32 v1, vcc, v2, v0
	s_lshl_b64 s[0:1], s[0:1], 1
	v_addc_co_u32_e32 v2, vcc, 0, v4, vcc
	s_cmpk_lt_i32 s52, 0x101
	v_add_co_u32_e32 v12, vcc, s0, v1
	s_cselect_b32 s0, s11, 0x80
	v_mov_b32_e32 v4, s1
	s_ashr_i32 s1, s0, 31
	s_lshl_b64 s[0:1], s[0:1], 1
	v_addc_co_u32_e32 v13, vcc, v2, v4, vcc
	s_cmpk_lt_i32 s52, 0x201
	v_add_co_u32_e32 v14, vcc, s0, v1
	s_cselect_b32 s0, s11, 0x100
	v_mov_b32_e32 v4, s1
	s_ashr_i32 s1, s0, 31
	;; [unrolled: 7-line block ×8, first 2 shown]
	s_lshl_b64 s[0:1], s[0:1], 1
	v_addc_co_u32_e32 v27, vcc, v2, v4, vcc
	s_cmpk_lt_i32 s52, 0x901
	global_load_ushort v4, v[12:13], off
	global_load_ushort v5, v[14:15], off
	;; [unrolled: 1-line block ×8, first 2 shown]
	v_add_co_u32_e32 v20, vcc, s0, v1
	s_cselect_b32 s0, s11, 0x480
	v_mov_b32_e32 v12, s1
	s_ashr_i32 s1, s0, 31
	s_lshl_b64 s[0:1], s[0:1], 1
	v_addc_co_u32_e32 v21, vcc, v2, v12, vcc
	s_cmpk_lt_i32 s52, 0xa01
	v_add_co_u32_e32 v22, vcc, s0, v1
	s_cselect_b32 s0, s11, 0x500
	v_mov_b32_e32 v12, s1
	s_ashr_i32 s1, s0, 31
	s_lshl_b64 s[0:1], s[0:1], 1
	v_addc_co_u32_e32 v23, vcc, v2, v12, vcc
	s_cmpk_lt_i32 s52, 0xb01
	;; [unrolled: 7-line block ×6, first 2 shown]
	v_add_co_u32_e32 v32, vcc, s0, v1
	s_cselect_b32 s0, s11, 0x780
	v_mov_b32_e32 v12, s1
	s_ashr_i32 s1, s0, 31
	v_addc_co_u32_e32 v33, vcc, v2, v12, vcc
	s_lshl_b64 s[0:1], s[0:1], 1
	v_mov_b32_e32 v12, s1
	v_add_co_u32_e32 v34, vcc, s0, v1
	v_addc_co_u32_e32 v35, vcc, v2, v12, vcc
	global_load_ushort v12, v[20:21], off
	global_load_ushort v13, v[22:23], off
	;; [unrolled: 1-line block ×8, first 2 shown]
	s_cmpk_gt_i32 s52, 0x1000
	s_cselect_b64 s[8:9], -1, 0
	s_cmpk_lt_i32 s52, 0x1001
	v_mov_b32_e32 v36, 0
	v_mov_b32_e32 v37, 0
	;; [unrolled: 1-line block ×48, first 2 shown]
	s_barrier
	s_cbranch_scc1 .LBB127_12
; %bb.10:
	s_cmpk_lt_u32 s52, 0x1101
	s_cselect_b32 s0, s11, 0x880
	s_ashr_i32 s1, s0, 31
	v_add_co_u32_e32 v28, vcc, 0x1000, v1
	s_lshl_b64 s[0:1], s[0:1], 1
	v_addc_co_u32_e32 v29, vcc, 0, v2, vcc
	s_cmpk_lt_u32 s52, 0x1201
	v_add_co_u32_e32 v30, vcc, s0, v1
	s_cselect_b32 s0, s11, 0x900
	v_mov_b32_e32 v20, s1
	s_ashr_i32 s1, s0, 31
	s_lshl_b64 s[0:1], s[0:1], 1
	v_addc_co_u32_e32 v31, vcc, v2, v20, vcc
	s_cmpk_lt_u32 s52, 0x1301
	v_add_co_u32_e32 v32, vcc, s0, v1
	s_cselect_b32 s0, s11, 0x980
	v_mov_b32_e32 v20, s1
	s_ashr_i32 s1, s0, 31
	s_lshl_b64 s[0:1], s[0:1], 1
	v_addc_co_u32_e32 v33, vcc, v2, v20, vcc
	s_cmpk_lt_u32 s52, 0x1401
	v_add_co_u32_e32 v34, vcc, s0, v1
	s_cselect_b32 s0, s11, 0xa00
	v_mov_b32_e32 v20, s1
	s_ashr_i32 s1, s0, 31
	s_lshl_b64 s[0:1], s[0:1], 1
	v_addc_co_u32_e32 v35, vcc, v2, v20, vcc
	s_cmpk_lt_u32 s52, 0x1501
	v_add_co_u32_e32 v36, vcc, s0, v1
	s_cselect_b32 s0, s11, 0xa80
	v_mov_b32_e32 v20, s1
	s_ashr_i32 s1, s0, 31
	s_lshl_b64 s[0:1], s[0:1], 1
	v_addc_co_u32_e32 v37, vcc, v2, v20, vcc
	s_cmpk_lt_u32 s52, 0x1601
	v_add_co_u32_e32 v38, vcc, s0, v1
	s_cselect_b32 s0, s11, 0xb00
	v_mov_b32_e32 v20, s1
	s_ashr_i32 s1, s0, 31
	s_lshl_b64 s[0:1], s[0:1], 1
	v_addc_co_u32_e32 v39, vcc, v2, v20, vcc
	s_cmpk_lt_u32 s52, 0x1701
	v_add_co_u32_e32 v40, vcc, s0, v1
	s_cselect_b32 s0, s11, 0xb80
	v_mov_b32_e32 v20, s1
	s_ashr_i32 s1, s0, 31
	s_lshl_b64 s[0:1], s[0:1], 1
	v_addc_co_u32_e32 v41, vcc, v2, v20, vcc
	s_cmpk_lt_u32 s52, 0x1801
	v_add_co_u32_e32 v42, vcc, s0, v1
	s_cselect_b32 s0, s11, 0xc00
	v_mov_b32_e32 v20, s1
	s_ashr_i32 s1, s0, 31
	s_lshl_b64 s[0:1], s[0:1], 1
	v_addc_co_u32_e32 v43, vcc, v2, v20, vcc
	s_cmpk_lt_u32 s52, 0x1901
	global_load_ushort v27, v[28:29], off
	global_load_ushort v26, v[30:31], off
	;; [unrolled: 1-line block ×8, first 2 shown]
	v_add_co_u32_e32 v36, vcc, s0, v1
	s_cselect_b32 s0, s11, 0xc80
	v_mov_b32_e32 v28, s1
	s_ashr_i32 s1, s0, 31
	s_lshl_b64 s[0:1], s[0:1], 1
	v_addc_co_u32_e32 v37, vcc, v2, v28, vcc
	s_cmpk_lt_u32 s52, 0x1a01
	v_add_co_u32_e32 v38, vcc, s0, v1
	s_cselect_b32 s0, s11, 0xd00
	v_mov_b32_e32 v28, s1
	s_ashr_i32 s1, s0, 31
	s_lshl_b64 s[0:1], s[0:1], 1
	v_addc_co_u32_e32 v39, vcc, v2, v28, vcc
	s_cmpk_lt_u32 s52, 0x1b01
	;; [unrolled: 7-line block ×6, first 2 shown]
	v_add_co_u32_e32 v48, vcc, s0, v1
	s_cselect_b32 s0, s11, 0xf80
	v_mov_b32_e32 v28, s1
	s_ashr_i32 s1, s0, 31
	v_addc_co_u32_e32 v49, vcc, v2, v28, vcc
	s_lshl_b64 s[0:1], s[0:1], 1
	v_mov_b32_e32 v28, s1
	v_add_co_u32_e32 v50, vcc, s0, v1
	v_addc_co_u32_e32 v51, vcc, v2, v28, vcc
	global_load_ushort v35, v[36:37], off
	global_load_ushort v34, v[38:39], off
	global_load_ushort v33, v[40:41], off
	global_load_ushort v32, v[42:43], off
	global_load_ushort v31, v[44:45], off
	global_load_ushort v30, v[46:47], off
	global_load_ushort v29, v[48:49], off
	global_load_ushort v28, v[50:51], off
	s_cmpk_lt_u32 s52, 0x2001
	v_mov_b32_e32 v67, 0
	v_mov_b32_e32 v66, 0
	;; [unrolled: 1-line block ×32, first 2 shown]
	s_cbranch_scc1 .LBB127_12
; %bb.11:
	s_cmpk_lt_u32 s52, 0x2101
	s_cselect_b32 s0, s11, 0x1080
	s_ashr_i32 s1, s0, 31
	v_add_co_u32_e32 v36, vcc, 0x2000, v1
	s_lshl_b64 s[0:1], s[0:1], 1
	v_addc_co_u32_e32 v37, vcc, 0, v2, vcc
	s_cmpk_lt_u32 s52, 0x2201
	v_add_co_u32_e32 v38, vcc, s0, v1
	s_cselect_b32 s0, s11, 0x1100
	v_mov_b32_e32 v39, s1
	s_ashr_i32 s1, s0, 31
	s_lshl_b64 s[0:1], s[0:1], 1
	v_addc_co_u32_e32 v39, vcc, v2, v39, vcc
	s_cmpk_lt_u32 s52, 0x2301
	v_add_co_u32_e32 v40, vcc, s0, v1
	s_cselect_b32 s0, s11, 0x1180
	v_mov_b32_e32 v41, s1
	s_ashr_i32 s1, s0, 31
	s_lshl_b64 s[0:1], s[0:1], 1
	v_addc_co_u32_e32 v41, vcc, v2, v41, vcc
	s_cmpk_lt_u32 s52, 0x2401
	v_add_co_u32_e32 v42, vcc, s0, v1
	s_cselect_b32 s0, s11, 0x1200
	v_mov_b32_e32 v43, s1
	s_ashr_i32 s1, s0, 31
	s_lshl_b64 s[0:1], s[0:1], 1
	v_addc_co_u32_e32 v43, vcc, v2, v43, vcc
	s_cmpk_lt_u32 s52, 0x2501
	v_add_co_u32_e32 v44, vcc, s0, v1
	s_cselect_b32 s0, s11, 0x1280
	v_mov_b32_e32 v45, s1
	s_ashr_i32 s1, s0, 31
	s_lshl_b64 s[0:1], s[0:1], 1
	v_addc_co_u32_e32 v45, vcc, v2, v45, vcc
	s_cmpk_lt_u32 s52, 0x2601
	v_add_co_u32_e32 v46, vcc, s0, v1
	s_cselect_b32 s0, s11, 0x1300
	v_mov_b32_e32 v47, s1
	s_ashr_i32 s1, s0, 31
	s_lshl_b64 s[0:1], s[0:1], 1
	v_addc_co_u32_e32 v47, vcc, v2, v47, vcc
	s_cmpk_lt_u32 s52, 0x2701
	v_add_co_u32_e32 v48, vcc, s0, v1
	s_cselect_b32 s0, s11, 0x1380
	v_mov_b32_e32 v49, s1
	s_ashr_i32 s1, s0, 31
	s_lshl_b64 s[0:1], s[0:1], 1
	v_addc_co_u32_e32 v49, vcc, v2, v49, vcc
	s_cmpk_lt_u32 s52, 0x2801
	v_add_co_u32_e32 v50, vcc, s0, v1
	s_cselect_b32 s0, s11, 0x1400
	v_mov_b32_e32 v51, s1
	s_ashr_i32 s1, s0, 31
	s_lshl_b64 s[0:1], s[0:1], 1
	v_addc_co_u32_e32 v51, vcc, v2, v51, vcc
	s_cmpk_lt_u32 s52, 0x2901
	global_load_ushort v52, v[36:37], off
	global_load_ushort v53, v[38:39], off
	global_load_ushort v54, v[40:41], off
	global_load_ushort v55, v[42:43], off
	global_load_ushort v56, v[44:45], off
	global_load_ushort v57, v[46:47], off
	global_load_ushort v58, v[48:49], off
	global_load_ushort v59, v[50:51], off
	v_add_co_u32_e32 v36, vcc, s0, v1
	s_cselect_b32 s0, s11, 0x1480
	v_mov_b32_e32 v37, s1
	s_ashr_i32 s1, s0, 31
	s_lshl_b64 s[0:1], s[0:1], 1
	v_addc_co_u32_e32 v37, vcc, v2, v37, vcc
	s_cmpk_lt_u32 s52, 0x2a01
	v_add_co_u32_e32 v38, vcc, s0, v1
	s_cselect_b32 s0, s11, 0x1500
	v_mov_b32_e32 v39, s1
	s_ashr_i32 s1, s0, 31
	s_lshl_b64 s[0:1], s[0:1], 1
	v_addc_co_u32_e32 v39, vcc, v2, v39, vcc
	s_cmpk_lt_u32 s52, 0x2b01
	v_add_co_u32_e32 v40, vcc, s0, v1
	s_cselect_b32 s0, s11, 0x1580
	v_mov_b32_e32 v41, s1
	s_ashr_i32 s1, s0, 31
	s_lshl_b64 s[0:1], s[0:1], 1
	v_addc_co_u32_e32 v41, vcc, v2, v41, vcc
	s_cmpk_lt_u32 s52, 0x2c01
	v_add_co_u32_e32 v42, vcc, s0, v1
	s_cselect_b32 s0, s11, 0x1600
	v_mov_b32_e32 v43, s1
	s_ashr_i32 s1, s0, 31
	s_lshl_b64 s[0:1], s[0:1], 1
	v_addc_co_u32_e32 v43, vcc, v2, v43, vcc
	s_cmpk_lt_u32 s52, 0x2d01
	v_add_co_u32_e32 v44, vcc, s0, v1
	s_cselect_b32 s0, s11, 0x1680
	v_mov_b32_e32 v45, s1
	s_ashr_i32 s1, s0, 31
	s_lshl_b64 s[0:1], s[0:1], 1
	v_addc_co_u32_e32 v45, vcc, v2, v45, vcc
	s_cmpk_lt_u32 s52, 0x2e01
	v_add_co_u32_e32 v46, vcc, s0, v1
	s_cselect_b32 s0, s11, 0x1700
	v_mov_b32_e32 v47, s1
	s_ashr_i32 s1, s0, 31
	s_lshl_b64 s[0:1], s[0:1], 1
	v_addc_co_u32_e32 v47, vcc, v2, v47, vcc
	s_cmpk_lt_u32 s52, 0x2f01
	v_add_co_u32_e32 v48, vcc, s0, v1
	s_cselect_b32 s0, s11, 0x1780
	v_mov_b32_e32 v49, s1
	s_ashr_i32 s1, s0, 31
	s_lshl_b64 s[0:1], s[0:1], 1
	v_addc_co_u32_e32 v49, vcc, v2, v49, vcc
	s_cmpk_lt_u32 s52, 0x3001
	v_add_co_u32_e32 v50, vcc, s0, v1
	s_cselect_b32 s0, s11, 0x1800
	v_mov_b32_e32 v51, s1
	s_ashr_i32 s1, s0, 31
	s_lshl_b64 s[0:1], s[0:1], 1
	v_addc_co_u32_e32 v51, vcc, v2, v51, vcc
	s_cmpk_lt_u32 s52, 0x3101
	global_load_ushort v68, v[36:37], off
	global_load_ushort v69, v[38:39], off
	global_load_ushort v70, v[40:41], off
	global_load_ushort v71, v[42:43], off
	global_load_ushort v72, v[44:45], off
	global_load_ushort v73, v[46:47], off
	global_load_ushort v74, v[48:49], off
	global_load_ushort v75, v[50:51], off
	v_add_co_u32_e32 v36, vcc, s0, v1
	s_cselect_b32 s0, s11, 0x1880
	v_mov_b32_e32 v37, s1
	s_ashr_i32 s1, s0, 31
	;; [unrolled: 64-line block ×3, first 2 shown]
	s_lshl_b64 s[0:1], s[0:1], 1
	v_addc_co_u32_e32 v37, vcc, v2, v37, vcc
	s_cmpk_lt_u32 s52, 0x3a01
	v_add_co_u32_e32 v38, vcc, s0, v1
	s_cselect_b32 s0, s11, 0x1d00
	v_mov_b32_e32 v39, s1
	s_ashr_i32 s1, s0, 31
	s_lshl_b64 s[0:1], s[0:1], 1
	v_addc_co_u32_e32 v39, vcc, v2, v39, vcc
	s_cmpk_lt_u32 s52, 0x3b01
	v_add_co_u32_e32 v40, vcc, s0, v1
	s_cselect_b32 s0, s11, 0x1d80
	v_mov_b32_e32 v41, s1
	s_ashr_i32 s1, s0, 31
	;; [unrolled: 7-line block ×6, first 2 shown]
	v_addc_co_u32_e32 v49, vcc, v2, v49, vcc
	s_lshl_b64 s[0:1], s[0:1], 1
	v_mov_b32_e32 v51, s1
	v_add_co_u32_e32 v50, vcc, s0, v1
	v_addc_co_u32_e32 v51, vcc, v2, v51, vcc
	global_load_ushort v84, v[36:37], off
	global_load_ushort v85, v[38:39], off
	;; [unrolled: 1-line block ×8, first 2 shown]
	s_waitcnt vmcnt(31)
	v_cvt_f32_f16_e32 v67, v52
	s_waitcnt vmcnt(30)
	v_cvt_f32_f16_e32 v66, v53
	;; [unrolled: 2-line block ×32, first 2 shown]
.LBB127_12:
	ds_read_b128 v[68:71], v3
	s_load_dwordx2 s[0:1], s[4:5], 0x0
	s_load_dwordx2 s[2:3], s[4:5], 0x38
	ds_read_b128 v[72:75], v3 offset:16
	ds_read_b128 v[76:79], v3 offset:32
	;; [unrolled: 1-line block ×3, first 2 shown]
	s_and_b64 vcc, exec, s[8:9]
	s_waitcnt vmcnt(15) lgkmcnt(0)
	v_fma_mix_f32 v4, v68, v4, 0 op_sel_hi:[0,1,0]
	s_waitcnt vmcnt(14)
	v_fma_mix_f32 v4, v69, v5, v4 op_sel_hi:[0,1,0]
	s_waitcnt vmcnt(13)
	;; [unrolled: 2-line block ×15, first 2 shown]
	v_fma_mix_f32 v4, v83, v19, v4 op_sel_hi:[0,1,0]
	s_cbranch_vccz .LBB127_15
; %bb.13:
	ds_read_b128 v[6:9], v3 offset:64
	ds_read_b128 v[10:13], v3 offset:80
	;; [unrolled: 1-line block ×4, first 2 shown]
	s_cmpk_lt_u32 s52, 0x2001
	s_waitcnt lgkmcnt(3)
	v_fma_mix_f32 v3, v6, v27, v4 op_sel_hi:[0,1,0]
	v_fma_mix_f32 v3, v7, v26, v3 op_sel_hi:[0,1,0]
	v_fma_mix_f32 v3, v8, v25, v3 op_sel_hi:[0,1,0]
	v_fma_mix_f32 v3, v9, v24, v3 op_sel_hi:[0,1,0]
	s_waitcnt lgkmcnt(2)
	v_fma_mix_f32 v3, v10, v23, v3 op_sel_hi:[0,1,0]
	v_fma_mix_f32 v3, v11, v22, v3 op_sel_hi:[0,1,0]
	v_fma_mix_f32 v3, v12, v20, v3 op_sel_hi:[0,1,0]
	v_fma_mix_f32 v3, v13, v21, v3 op_sel_hi:[0,1,0]
	;; [unrolled: 5-line block ×4, first 2 shown]
	s_cbranch_scc1 .LBB127_15
; %bb.14:
	v_mov_b32_e32 v3, 0
	ds_read_b128 v[6:9], v3 offset:128
	ds_read_b128 v[10:13], v3 offset:144
	;; [unrolled: 1-line block ×4, first 2 shown]
	s_waitcnt lgkmcnt(3)
	v_fmac_f32_e32 v4, v6, v67
	v_fmac_f32_e32 v4, v7, v66
	v_fmac_f32_e32 v4, v8, v65
	v_fmac_f32_e32 v4, v9, v64
	s_waitcnt lgkmcnt(2)
	v_fmac_f32_e32 v4, v10, v63
	v_fmac_f32_e32 v4, v11, v62
	v_fmac_f32_e32 v4, v12, v61
	v_fmac_f32_e32 v4, v13, v60
	;; [unrolled: 5-line block ×3, first 2 shown]
	ds_read_b128 v[6:9], v3 offset:192
	ds_read_b128 v[10:13], v3 offset:208
	s_waitcnt lgkmcnt(2)
	v_fmac_f32_e32 v4, v18, v55
	v_fmac_f32_e32 v4, v19, v54
	;; [unrolled: 1-line block ×4, first 2 shown]
	s_waitcnt lgkmcnt(1)
	v_fmac_f32_e32 v4, v6, v51
	v_fmac_f32_e32 v4, v7, v50
	;; [unrolled: 1-line block ×4, first 2 shown]
	ds_read_b128 v[6:9], v3 offset:224
	s_waitcnt lgkmcnt(1)
	v_fmac_f32_e32 v4, v10, v47
	v_fmac_f32_e32 v4, v11, v46
	;; [unrolled: 1-line block ×4, first 2 shown]
	ds_read_b128 v[10:13], v3 offset:240
	s_waitcnt lgkmcnt(1)
	v_fmac_f32_e32 v4, v6, v43
	v_fmac_f32_e32 v4, v7, v42
	;; [unrolled: 1-line block ×4, first 2 shown]
	s_waitcnt lgkmcnt(0)
	v_fmac_f32_e32 v4, v10, v39
	v_fmac_f32_e32 v4, v11, v38
	;; [unrolled: 1-line block ×4, first 2 shown]
.LBB127_15:
	s_movk_i32 s4, 0x3f80
	s_movk_i32 s5, 0x100
	s_mov_b32 s8, 64
	s_branch .LBB127_17
.LBB127_16:                             ;   in Loop: Header=BB127_17 Depth=1
	s_addk_i32 s4, 0x2000
	s_addk_i32 s5, 0x100
	s_add_i32 s8, s8, 64
	s_cmp_eq_u32 s4, 0x19f80
	s_cbranch_scc1 .LBB127_19
.LBB127_17:                             ; =>This Inner Loop Header: Depth=1
	s_cmp_le_i32 s33, s8
	s_cbranch_scc1 .LBB127_16
; %bb.18:                               ;   in Loop: Header=BB127_17 Depth=1
	s_add_i32 s9, s4, 0xffffe080
	s_cmp_lt_i32 s9, s10
	s_cselect_b32 s12, s9, s11
	s_ashr_i32 s13, s12, 31
	s_lshl_b64 s[12:13], s[12:13], 1
	s_add_i32 s9, s4, 0xffffe100
	s_cmp_lt_i32 s9, s10
	v_add_co_u32_e32 v12, vcc, s12, v1
	s_cselect_b32 s12, s9, s11
	v_mov_b32_e32 v3, s13
	s_ashr_i32 s13, s12, 31
	s_lshl_b64 s[12:13], s[12:13], 1
	s_add_i32 s9, s4, 0xffffe180
	v_addc_co_u32_e32 v13, vcc, v2, v3, vcc
	s_cmp_lt_i32 s9, s10
	v_add_co_u32_e32 v14, vcc, s12, v1
	s_cselect_b32 s12, s9, s11
	v_mov_b32_e32 v3, s13
	s_ashr_i32 s13, s12, 31
	s_lshl_b64 s[12:13], s[12:13], 1
	s_add_i32 s9, s4, 0xffffe200
	v_addc_co_u32_e32 v15, vcc, v2, v3, vcc
	;; [unrolled: 8-line block ×8, first 2 shown]
	s_cmp_lt_i32 s9, s10
	global_load_ushort v3, v[12:13], off
	global_load_ushort v5, v[14:15], off
	;; [unrolled: 1-line block ×8, first 2 shown]
	v_add_co_u32_e32 v20, vcc, s12, v1
	s_cselect_b32 s12, s9, s11
	v_mov_b32_e32 v12, s13
	s_ashr_i32 s13, s12, 31
	s_lshl_b64 s[12:13], s[12:13], 1
	s_add_i32 s9, s4, 0xffffe580
	v_addc_co_u32_e32 v21, vcc, v2, v12, vcc
	s_cmp_lt_i32 s9, s10
	v_add_co_u32_e32 v22, vcc, s12, v1
	s_cselect_b32 s12, s9, s11
	v_mov_b32_e32 v12, s13
	s_ashr_i32 s13, s12, 31
	s_lshl_b64 s[12:13], s[12:13], 1
	s_add_i32 s9, s4, 0xffffe600
	v_addc_co_u32_e32 v23, vcc, v2, v12, vcc
	s_cmp_lt_i32 s9, s10
	;; [unrolled: 8-line block ×8, first 2 shown]
	global_load_ushort v15, v[20:21], off
	global_load_ushort v16, v[22:23], off
	;; [unrolled: 1-line block ×8, first 2 shown]
	v_add_co_u32_e32 v28, vcc, s12, v1
	s_cselect_b32 s12, s9, s11
	v_mov_b32_e32 v20, s13
	s_ashr_i32 s13, s12, 31
	s_lshl_b64 s[12:13], s[12:13], 1
	s_add_i32 s9, s4, 0xffffe980
	v_addc_co_u32_e32 v29, vcc, v2, v20, vcc
	s_cmp_lt_i32 s9, s10
	v_add_co_u32_e32 v30, vcc, s12, v1
	s_cselect_b32 s12, s9, s11
	v_mov_b32_e32 v20, s13
	s_ashr_i32 s13, s12, 31
	s_lshl_b64 s[12:13], s[12:13], 1
	s_add_i32 s9, s4, 0xffffea00
	v_addc_co_u32_e32 v31, vcc, v2, v20, vcc
	s_cmp_lt_i32 s9, s10
	;; [unrolled: 8-line block ×8, first 2 shown]
	global_load_ushort v23, v[28:29], off
	global_load_ushort v24, v[30:31], off
	global_load_ushort v25, v[32:33], off
	global_load_ushort v26, v[34:35], off
	global_load_ushort v27, v[36:37], off
	global_load_ushort v20, v[38:39], off
	global_load_ushort v21, v[40:41], off
	global_load_ushort v22, v[42:43], off
	v_add_co_u32_e32 v36, vcc, s12, v1
	s_cselect_b32 s12, s9, s11
	v_mov_b32_e32 v28, s13
	s_ashr_i32 s13, s12, 31
	s_lshl_b64 s[12:13], s[12:13], 1
	s_add_i32 s9, s4, 0xffffed80
	v_addc_co_u32_e32 v37, vcc, v2, v28, vcc
	s_cmp_lt_i32 s9, s10
	v_add_co_u32_e32 v38, vcc, s12, v1
	s_cselect_b32 s12, s9, s11
	v_mov_b32_e32 v28, s13
	s_ashr_i32 s13, s12, 31
	s_lshl_b64 s[12:13], s[12:13], 1
	s_add_i32 s9, s4, 0xffffee00
	v_addc_co_u32_e32 v39, vcc, v2, v28, vcc
	s_cmp_lt_i32 s9, s10
	;; [unrolled: 8-line block ×8, first 2 shown]
	global_load_ushort v31, v[36:37], off
	global_load_ushort v32, v[38:39], off
	global_load_ushort v33, v[40:41], off
	global_load_ushort v34, v[42:43], off
	global_load_ushort v35, v[44:45], off
	global_load_ushort v28, v[46:47], off
	global_load_ushort v29, v[48:49], off
	global_load_ushort v30, v[50:51], off
	v_add_co_u32_e32 v36, vcc, s12, v1
	s_cselect_b32 s12, s9, s11
	v_mov_b32_e32 v37, s13
	s_ashr_i32 s13, s12, 31
	s_lshl_b64 s[12:13], s[12:13], 1
	s_add_i32 s9, s4, 0xfffff180
	v_addc_co_u32_e32 v37, vcc, v2, v37, vcc
	s_cmp_lt_i32 s9, s10
	v_add_co_u32_e32 v38, vcc, s12, v1
	s_cselect_b32 s12, s9, s11
	v_mov_b32_e32 v39, s13
	s_ashr_i32 s13, s12, 31
	s_lshl_b64 s[12:13], s[12:13], 1
	s_add_i32 s9, s4, 0xfffff200
	v_addc_co_u32_e32 v39, vcc, v2, v39, vcc
	s_cmp_lt_i32 s9, s10
	;; [unrolled: 8-line block ×8, first 2 shown]
	global_load_ushort v52, v[36:37], off
	global_load_ushort v53, v[38:39], off
	;; [unrolled: 1-line block ×8, first 2 shown]
	v_add_co_u32_e32 v36, vcc, s12, v1
	s_cselect_b32 s12, s9, s11
	v_mov_b32_e32 v37, s13
	s_ashr_i32 s13, s12, 31
	s_lshl_b64 s[12:13], s[12:13], 1
	s_add_i32 s9, s4, 0xfffff580
	v_addc_co_u32_e32 v37, vcc, v2, v37, vcc
	s_cmp_lt_i32 s9, s10
	v_add_co_u32_e32 v38, vcc, s12, v1
	s_cselect_b32 s12, s9, s11
	v_mov_b32_e32 v39, s13
	s_ashr_i32 s13, s12, 31
	s_lshl_b64 s[12:13], s[12:13], 1
	s_add_i32 s9, s4, 0xfffff600
	v_addc_co_u32_e32 v39, vcc, v2, v39, vcc
	s_cmp_lt_i32 s9, s10
	;; [unrolled: 8-line block ×8, first 2 shown]
	global_load_ushort v60, v[36:37], off
	global_load_ushort v61, v[38:39], off
	;; [unrolled: 1-line block ×8, first 2 shown]
	v_add_co_u32_e32 v36, vcc, s12, v1
	s_cselect_b32 s12, s9, s11
	v_mov_b32_e32 v37, s13
	s_ashr_i32 s13, s12, 31
	s_lshl_b64 s[12:13], s[12:13], 1
	s_add_i32 s9, s4, 0xfffff980
	v_addc_co_u32_e32 v37, vcc, v2, v37, vcc
	s_cmp_lt_i32 s9, s10
	v_add_co_u32_e32 v38, vcc, s12, v1
	s_cselect_b32 s12, s9, s11
	v_mov_b32_e32 v39, s13
	s_ashr_i32 s13, s12, 31
	s_lshl_b64 s[12:13], s[12:13], 1
	s_add_i32 s9, s4, 0xfffffa00
	v_addc_co_u32_e32 v39, vcc, v2, v39, vcc
	s_cmp_lt_i32 s9, s10
	;; [unrolled: 8-line block ×8, first 2 shown]
	global_load_ushort v68, v[36:37], off
	global_load_ushort v69, v[38:39], off
	global_load_ushort v70, v[40:41], off
	global_load_ushort v71, v[42:43], off
	global_load_ushort v72, v[44:45], off
	global_load_ushort v73, v[46:47], off
	global_load_ushort v74, v[48:49], off
	global_load_ushort v75, v[50:51], off
	v_add_co_u32_e32 v36, vcc, s12, v1
	s_cselect_b32 s12, s9, s11
	v_mov_b32_e32 v37, s13
	s_ashr_i32 s13, s12, 31
	s_lshl_b64 s[12:13], s[12:13], 1
	s_add_i32 s9, s4, 0xfffffd80
	v_addc_co_u32_e32 v37, vcc, v2, v37, vcc
	s_cmp_lt_i32 s9, s10
	v_add_co_u32_e32 v38, vcc, s12, v1
	s_cselect_b32 s12, s9, s11
	v_mov_b32_e32 v39, s13
	s_ashr_i32 s13, s12, 31
	s_lshl_b64 s[12:13], s[12:13], 1
	s_add_i32 s9, s4, 0xfffffe00
	v_addc_co_u32_e32 v39, vcc, v2, v39, vcc
	s_cmp_lt_i32 s9, s10
	;; [unrolled: 8-line block ×5, first 2 shown]
	v_add_co_u32_e32 v46, vcc, s12, v1
	s_cselect_b32 s12, s9, s11
	v_mov_b32_e32 v47, s13
	s_ashr_i32 s13, s12, 31
	s_lshl_b64 s[12:13], s[12:13], 1
	v_addc_co_u32_e32 v47, vcc, v2, v47, vcc
	s_cmp_lt_i32 s4, s10
	v_add_co_u32_e32 v48, vcc, s12, v1
	s_cselect_b32 s12, s4, s11
	v_mov_b32_e32 v49, s13
	s_ashr_i32 s13, s12, 31
	v_addc_co_u32_e32 v49, vcc, v2, v49, vcc
	s_lshl_b64 s[12:13], s[12:13], 1
	v_mov_b32_e32 v51, s13
	v_add_co_u32_e32 v50, vcc, s12, v1
	v_addc_co_u32_e32 v51, vcc, v2, v51, vcc
	global_load_ushort v76, v[36:37], off
	global_load_ushort v77, v[38:39], off
	;; [unrolled: 1-line block ×8, first 2 shown]
	v_mov_b32_e32 v84, s5
	ds_read_b128 v[36:39], v84
	ds_read_b128 v[40:43], v84 offset:16
	ds_read_b128 v[44:47], v84 offset:32
	;; [unrolled: 1-line block ×3, first 2 shown]
	s_waitcnt vmcnt(62) lgkmcnt(3)
	v_fma_mix_f32 v3, v36, v3, v4 op_sel_hi:[0,1,0]
	v_fma_mix_f32 v3, v37, v5, v3 op_sel_hi:[0,1,0]
	s_waitcnt vmcnt(61)
	v_fma_mix_f32 v3, v38, v6, v3 op_sel_hi:[0,1,0]
	s_waitcnt vmcnt(60)
	v_fma_mix_f32 v3, v39, v7, v3 op_sel_hi:[0,1,0]
	s_waitcnt vmcnt(59) lgkmcnt(2)
	v_fma_mix_f32 v3, v40, v8, v3 op_sel_hi:[0,1,0]
	s_waitcnt vmcnt(58)
	v_fma_mix_f32 v3, v41, v9, v3 op_sel_hi:[0,1,0]
	s_waitcnt vmcnt(57)
	;; [unrolled: 2-line block ×3, first 2 shown]
	v_fma_mix_f32 v3, v43, v11, v3 op_sel_hi:[0,1,0]
	s_waitcnt vmcnt(55) lgkmcnt(1)
	v_fma_mix_f32 v3, v44, v15, v3 op_sel_hi:[0,1,0]
	s_waitcnt vmcnt(54)
	v_fma_mix_f32 v3, v45, v16, v3 op_sel_hi:[0,1,0]
	s_waitcnt vmcnt(53)
	;; [unrolled: 2-line block ×3, first 2 shown]
	v_fma_mix_f32 v3, v47, v18, v3 op_sel_hi:[0,1,0]
	ds_read_b128 v[4:7], v84 offset:64
	ds_read_b128 v[8:11], v84 offset:80
	s_waitcnt vmcnt(51) lgkmcnt(2)
	v_fma_mix_f32 v3, v48, v19, v3 op_sel_hi:[0,1,0]
	s_waitcnt vmcnt(50)
	v_fma_mix_f32 v3, v49, v12, v3 op_sel_hi:[0,1,0]
	s_waitcnt vmcnt(49)
	;; [unrolled: 2-line block ×3, first 2 shown]
	v_fma_mix_f32 v3, v51, v14, v3 op_sel_hi:[0,1,0]
	s_waitcnt vmcnt(47) lgkmcnt(1)
	v_fma_mix_f32 v3, v4, v23, v3 op_sel_hi:[0,1,0]
	s_waitcnt vmcnt(46)
	v_fma_mix_f32 v3, v5, v24, v3 op_sel_hi:[0,1,0]
	s_waitcnt vmcnt(45)
	v_fma_mix_f32 v3, v6, v25, v3 op_sel_hi:[0,1,0]
	s_waitcnt vmcnt(44)
	v_fma_mix_f32 v3, v7, v26, v3 op_sel_hi:[0,1,0]
	ds_read_b128 v[4:7], v84 offset:96
	s_waitcnt vmcnt(43) lgkmcnt(1)
	v_fma_mix_f32 v3, v8, v27, v3 op_sel_hi:[0,1,0]
	s_waitcnt vmcnt(42)
	v_fma_mix_f32 v3, v9, v20, v3 op_sel_hi:[0,1,0]
	s_waitcnt vmcnt(41)
	v_fma_mix_f32 v3, v10, v21, v3 op_sel_hi:[0,1,0]
	s_waitcnt vmcnt(40)
	v_fma_mix_f32 v3, v11, v22, v3 op_sel_hi:[0,1,0]
	ds_read_b128 v[8:11], v84 offset:112
	;; [unrolled: 9-line block ×10, first 2 shown]
	s_waitcnt vmcnt(7) lgkmcnt(1)
	v_fma_mix_f32 v3, v4, v76, v3 op_sel_hi:[0,1,0]
	s_waitcnt vmcnt(6)
	v_fma_mix_f32 v3, v5, v77, v3 op_sel_hi:[0,1,0]
	s_waitcnt vmcnt(5)
	;; [unrolled: 2-line block ×3, first 2 shown]
	v_fma_mix_f32 v3, v7, v79, v3 op_sel_hi:[0,1,0]
	s_waitcnt vmcnt(3) lgkmcnt(0)
	v_fma_mix_f32 v3, v8, v80, v3 op_sel_hi:[0,1,0]
	s_waitcnt vmcnt(2)
	v_fma_mix_f32 v3, v9, v81, v3 op_sel_hi:[0,1,0]
	s_waitcnt vmcnt(1)
	;; [unrolled: 2-line block ×3, first 2 shown]
	v_fma_mix_f32 v4, v11, v83, v3 op_sel_hi:[0,1,0]
	s_branch .LBB127_16
.LBB127_19:
	v_mov_b32_e32 v1, 0
	ds_read_b32 v2, v1 offset:3072
	s_cmp_lg_u64 s[2:3], 0
	s_cbranch_scc0 .LBB127_24
; %bb.20:
	s_load_dword s4, s[2:3], 0x0
	s_waitcnt lgkmcnt(0)
	v_div_scale_f32 v1, s[2:3], s4, s4, 1.0
	v_rcp_f32_e32 v3, v1
	v_div_scale_f32 v5, vcc, 1.0, s4, 1.0
	v_fma_f32 v6, -v1, v3, 1.0
	v_fmac_f32_e32 v3, v6, v3
	v_mul_f32_e32 v6, v5, v3
	v_fma_f32 v7, -v1, v6, v5
	v_fmac_f32_e32 v6, v7, v3
	v_fma_f32 v1, -v1, v6, v5
	v_div_fmas_f32 v1, v1, v3, v6
	v_div_fixup_f32 v1, v1, s4, 1.0
	s_andn2_b64 vcc, exec, s[42:43]
	s_cbranch_vccnz .LBB127_22
.LBB127_21:
	s_add_u32 s2, s40, s44
	s_addc_u32 s3, s41, s45
	s_load_dword s34, s[2:3], 0x0
	s_mov_b32 s35, 0
.LBB127_22:
	s_waitcnt lgkmcnt(0)
	v_add_f32_e32 v2, 0x358637bd, v2
	v_div_scale_f32 v3, s[2:3], v2, v2, 1.0
	v_rcp_f32_e32 v5, v3
	v_div_scale_f32 v6, vcc, 1.0, v2, 1.0
	s_mul_i32 s2, s7, s35
	v_fma_f32 v7, -v3, v5, 1.0
	v_fmac_f32_e32 v5, v7, v5
	v_mul_f32_e32 v7, v6, v5
	v_fma_f32 v8, -v3, v7, v6
	s_mul_hi_u32 s3, s7, s34
	v_fmac_f32_e32 v7, v8, v5
	s_add_i32 s3, s3, s2
	s_mul_i32 s2, s7, s34
	v_fma_f32 v3, -v3, v7, v6
	s_lshl_b64 s[2:3], s[2:3], 8
	v_div_fmas_f32 v3, v3, v5, v7
	s_add_u32 s2, s0, s2
	s_mov_b32 s7, 0
	v_div_fixup_f32 v2, v3, v2, 1.0
	s_addc_u32 s3, s1, s3
	s_lshl_b64 s[0:1], s[6:7], 8
	v_mul_f32_e32 v2, v4, v2
	s_add_u32 s0, s2, s0
	s_addc_u32 s1, s3, s1
	v_fma_mixlo_f16 v1, v2, v1, 0
	global_store_short v0, v1, s[0:1]
	s_endpgm
.LBB127_23:
	s_mov_b64 s[2:3], 0
	s_branch .LBB127_2
.LBB127_24:
	v_mov_b32_e32 v1, 1.0
	s_andn2_b64 vcc, exec, s[42:43]
	s_cbranch_vccz .LBB127_21
	s_branch .LBB127_22
	.section	.rodata,"a",@progbits
	.p2align	6, 0x0
	.amdhsa_kernel _Z35paged_attention_ll4mi_reduce_kernelIDF16_DF16_Li128ELi128ELi256ELi12EEvPT0_PKfS3_PKT_PKiS8_iS3_
		.amdhsa_group_segment_fixed_size 3076
		.amdhsa_private_segment_fixed_size 0
		.amdhsa_kernarg_size 320
		.amdhsa_user_sgpr_count 6
		.amdhsa_user_sgpr_private_segment_buffer 1
		.amdhsa_user_sgpr_dispatch_ptr 0
		.amdhsa_user_sgpr_queue_ptr 0
		.amdhsa_user_sgpr_kernarg_segment_ptr 1
		.amdhsa_user_sgpr_dispatch_id 0
		.amdhsa_user_sgpr_flat_scratch_init 0
		.amdhsa_user_sgpr_kernarg_preload_length 0
		.amdhsa_user_sgpr_kernarg_preload_offset 0
		.amdhsa_user_sgpr_private_segment_size 0
		.amdhsa_uses_dynamic_stack 0
		.amdhsa_system_sgpr_private_segment_wavefront_offset 0
		.amdhsa_system_sgpr_workgroup_id_x 1
		.amdhsa_system_sgpr_workgroup_id_y 1
		.amdhsa_system_sgpr_workgroup_id_z 0
		.amdhsa_system_sgpr_workgroup_info 0
		.amdhsa_system_vgpr_workitem_id 0
		.amdhsa_next_free_vgpr 92
		.amdhsa_next_free_sgpr 53
		.amdhsa_accum_offset 92
		.amdhsa_reserve_vcc 1
		.amdhsa_reserve_flat_scratch 0
		.amdhsa_float_round_mode_32 0
		.amdhsa_float_round_mode_16_64 0
		.amdhsa_float_denorm_mode_32 3
		.amdhsa_float_denorm_mode_16_64 3
		.amdhsa_dx10_clamp 1
		.amdhsa_ieee_mode 1
		.amdhsa_fp16_overflow 0
		.amdhsa_tg_split 0
		.amdhsa_exception_fp_ieee_invalid_op 0
		.amdhsa_exception_fp_denorm_src 0
		.amdhsa_exception_fp_ieee_div_zero 0
		.amdhsa_exception_fp_ieee_overflow 0
		.amdhsa_exception_fp_ieee_underflow 0
		.amdhsa_exception_fp_ieee_inexact 0
		.amdhsa_exception_int_div_zero 0
	.end_amdhsa_kernel
	.section	.text._Z35paged_attention_ll4mi_reduce_kernelIDF16_DF16_Li128ELi128ELi256ELi12EEvPT0_PKfS3_PKT_PKiS8_iS3_,"axG",@progbits,_Z35paged_attention_ll4mi_reduce_kernelIDF16_DF16_Li128ELi128ELi256ELi12EEvPT0_PKfS3_PKT_PKiS8_iS3_,comdat
.Lfunc_end127:
	.size	_Z35paged_attention_ll4mi_reduce_kernelIDF16_DF16_Li128ELi128ELi256ELi12EEvPT0_PKfS3_PKT_PKiS8_iS3_, .Lfunc_end127-_Z35paged_attention_ll4mi_reduce_kernelIDF16_DF16_Li128ELi128ELi256ELi12EEvPT0_PKfS3_PKT_PKiS8_iS3_
                                        ; -- End function
	.section	.AMDGPU.csdata,"",@progbits
; Kernel info:
; codeLenInByte = 11168
; NumSgprs: 57
; NumVgprs: 92
; NumAgprs: 0
; TotalNumVgprs: 92
; ScratchSize: 0
; MemoryBound: 0
; FloatMode: 240
; IeeeMode: 1
; LDSByteSize: 3076 bytes/workgroup (compile time only)
; SGPRBlocks: 7
; VGPRBlocks: 11
; NumSGPRsForWavesPerEU: 57
; NumVGPRsForWavesPerEU: 92
; AccumOffset: 92
; Occupancy: 5
; WaveLimiterHint : 1
; COMPUTE_PGM_RSRC2:SCRATCH_EN: 0
; COMPUTE_PGM_RSRC2:USER_SGPR: 6
; COMPUTE_PGM_RSRC2:TRAP_HANDLER: 0
; COMPUTE_PGM_RSRC2:TGID_X_EN: 1
; COMPUTE_PGM_RSRC2:TGID_Y_EN: 1
; COMPUTE_PGM_RSRC2:TGID_Z_EN: 0
; COMPUTE_PGM_RSRC2:TIDIG_COMP_CNT: 0
; COMPUTE_PGM_RSRC3_GFX90A:ACCUM_OFFSET: 22
; COMPUTE_PGM_RSRC3_GFX90A:TG_SPLIT: 0
	.section	.text._Z35paged_attention_ll4mi_reduce_kernelIDF16_DF16_Li128ELi128ELi256ELi13EEvPT0_PKfS3_PKT_PKiS8_iS3_,"axG",@progbits,_Z35paged_attention_ll4mi_reduce_kernelIDF16_DF16_Li128ELi128ELi256ELi13EEvPT0_PKfS3_PKT_PKiS8_iS3_,comdat
	.protected	_Z35paged_attention_ll4mi_reduce_kernelIDF16_DF16_Li128ELi128ELi256ELi13EEvPT0_PKfS3_PKT_PKiS8_iS3_ ; -- Begin function _Z35paged_attention_ll4mi_reduce_kernelIDF16_DF16_Li128ELi128ELi256ELi13EEvPT0_PKfS3_PKT_PKiS8_iS3_
	.globl	_Z35paged_attention_ll4mi_reduce_kernelIDF16_DF16_Li128ELi128ELi256ELi13EEvPT0_PKfS3_PKT_PKiS8_iS3_
	.p2align	8
	.type	_Z35paged_attention_ll4mi_reduce_kernelIDF16_DF16_Li128ELi128ELi256ELi13EEvPT0_PKfS3_PKT_PKiS8_iS3_,@function
_Z35paged_attention_ll4mi_reduce_kernelIDF16_DF16_Li128ELi128ELi256ELi13EEvPT0_PKfS3_PKT_PKiS8_iS3_: ; @_Z35paged_attention_ll4mi_reduce_kernelIDF16_DF16_Li128ELi128ELi256ELi13EEvPT0_PKfS3_PKT_PKiS8_iS3_
; %bb.0:
	s_load_dwordx2 s[34:35], s[4:5], 0x28
	s_mov_b32 s30, s7
	s_mov_b64 s[0:1], 0
	s_waitcnt lgkmcnt(0)
	s_cmp_lg_u64 s[34:35], 0
	s_cselect_b64 s[44:45], -1, 0
	s_and_b64 vcc, exec, s[44:45]
	s_cbranch_vccz .LBB128_23
; %bb.1:
	s_add_i32 s2, s30, 1
	s_mov_b32 s3, 0
	s_lshl_b64 s[8:9], s[2:3], 2
	s_add_u32 s8, s34, s8
	s_mov_b32 s31, s3
	s_addc_u32 s9, s35, s9
	s_lshl_b64 s[2:3], s[30:31], 2
	s_add_u32 s2, s34, s2
	s_addc_u32 s3, s35, s3
	s_load_dword s7, s[8:9], 0x0
	s_load_dword s10, s[2:3], 0x0
	s_waitcnt lgkmcnt(0)
	s_sub_i32 s2, s7, s10
	s_cmp_eq_u32 s2, 1
	s_cselect_b64 s[2:3], -1, 0
	s_andn2_b64 vcc, exec, s[0:1]
	s_cbranch_vccnz .LBB128_3
.LBB128_2:
	s_mov_b32 s31, 0
	s_mov_b64 s[2:3], -1
.LBB128_3:
	s_andn2_b64 vcc, exec, s[2:3]
	s_cbranch_vccz .LBB128_5
; %bb.4:
	s_endpgm
.LBB128_5:
	s_load_dwordx4 s[36:39], s[4:5], 0x18
	s_load_dword s8, s[4:5], 0x30
	s_lshl_b64 s[46:47], s[30:31], 2
	v_cmp_lt_u32_e32 vcc, 63, v0
	s_waitcnt lgkmcnt(0)
	s_add_u32 s0, s38, s46
	s_addc_u32 s1, s39, s47
	s_load_dword s54, s[0:1], 0x0
	s_load_dword s7, s[4:5], 0x40
	s_mul_i32 s38, s6, s8
	s_mul_i32 s2, s30, s8
	s_waitcnt lgkmcnt(0)
	s_add_i32 s3, s54, 0xff
	s_ashr_i32 s0, s3, 31
	s_lshr_b32 s0, s0, 24
	s_add_i32 s3, s3, s0
	s_and_saveexec_b64 s[0:1], vcc
	s_xor_b64 s[0:1], exec, s[0:1]
	s_or_saveexec_b64 s[48:49], s[0:1]
	s_ashr_i32 s33, s3, 8
	v_mov_b32_e32 v1, s38
	s_mul_i32 s50, s2, s7
	s_xor_b64 exec, exec, s[48:49]
	s_cbranch_execz .LBB128_9
; %bb.6:
	s_add_i32 s0, s33, -1
	v_or_b32_e32 v3, 64, v0
	v_mov_b32_e32 v1, s0
	v_cmp_gt_u32_e64 s[24:25], s33, v3
	v_cndmask_b32_e64 v4, v1, v3, s[24:25]
	v_or_b32_e32 v3, 0x80, v0
	v_cmp_gt_u32_e64 s[22:23], s33, v3
	v_cndmask_b32_e64 v6, v1, v3, s[22:23]
	v_or_b32_e32 v3, 0xc0, v0
	;; [unrolled: 3-line block ×8, first 2 shown]
	s_load_dwordx4 s[40:43], s[4:5], 0x8
	v_cmp_gt_u32_e64 s[8:9], s33, v3
	v_cndmask_b32_e64 v20, v1, v3, s[8:9]
	v_or_b32_e32 v3, 0x280, v0
	v_cmp_gt_u32_e64 s[2:3], s33, v3
	s_mov_b32 s51, 0
	v_cndmask_b32_e64 v22, v1, v3, s[2:3]
	v_or_b32_e32 v3, 0x2c0, v0
	v_cmp_gt_u32_e64 s[0:1], s33, v3
	s_lshl_b64 s[52:53], s[50:51], 2
	s_mov_b32 s39, s51
	v_cmp_gt_u32_e64 s[26:27], s33, v0
	v_cndmask_b32_e64 v24, v1, v3, s[0:1]
	v_or_b32_e32 v3, 0x300, v0
	s_waitcnt lgkmcnt(0)
	s_add_u32 s28, s42, s52
	v_cndmask_b32_e64 v2, v1, v0, s[26:27]
	v_cmp_gt_u32_e32 vcc, s33, v3
	s_addc_u32 s29, s43, s53
	s_lshl_b64 s[42:43], s[38:39], 2
	v_cndmask_b32_e32 v26, v1, v3, vcc
	s_add_u32 s39, s28, s42
	v_ashrrev_i32_e32 v3, 31, v2
	s_addc_u32 s51, s29, s43
	v_lshlrev_b64 v[2:3], 2, v[2:3]
	v_mov_b32_e32 v1, s51
	v_add_co_u32_e64 v28, s[28:29], s39, v2
	v_ashrrev_i32_e32 v5, 31, v4
	v_addc_co_u32_e64 v29, s[28:29], v1, v3, s[28:29]
	v_lshlrev_b64 v[4:5], 2, v[4:5]
	v_add_co_u32_e64 v30, s[28:29], s39, v4
	v_ashrrev_i32_e32 v7, 31, v6
	v_addc_co_u32_e64 v31, s[28:29], v1, v5, s[28:29]
	v_lshlrev_b64 v[6:7], 2, v[6:7]
	;; [unrolled: 4-line block ×8, first 2 shown]
	global_load_dword v1, v[28:29], off
	global_load_dword v44, v[30:31], off
	;; [unrolled: 1-line block ×5, first 2 shown]
	s_nop 0
	global_load_dword v38, v[38:39], off
	s_nop 0
	global_load_dword v39, v[40:41], off
	;; [unrolled: 2-line block ×3, first 2 shown]
	v_mov_b32_e32 v21, s51
	v_add_co_u32_e64 v28, s[28:29], s39, v18
	v_addc_co_u32_e64 v29, s[28:29], v21, v19, s[28:29]
	v_ashrrev_i32_e32 v21, 31, v20
	v_lshlrev_b64 v[20:21], 2, v[20:21]
	v_mov_b32_e32 v23, s51
	v_add_co_u32_e64 v30, s[28:29], s39, v20
	v_addc_co_u32_e64 v31, s[28:29], v23, v21, s[28:29]
	v_ashrrev_i32_e32 v23, 31, v22
	v_lshlrev_b64 v[22:23], 2, v[22:23]
	v_mov_b32_e32 v25, s51
	v_add_co_u32_e64 v32, s[28:29], s39, v22
	v_addc_co_u32_e64 v33, s[28:29], v25, v23, s[28:29]
	v_ashrrev_i32_e32 v25, 31, v24
	v_lshlrev_b64 v[24:25], 2, v[24:25]
	v_mov_b32_e32 v27, s51
	v_add_co_u32_e64 v34, s[28:29], s39, v24
	v_addc_co_u32_e64 v35, s[28:29], v27, v25, s[28:29]
	v_ashrrev_i32_e32 v27, 31, v26
	v_lshlrev_b64 v[26:27], 2, v[26:27]
	v_mov_b32_e32 v37, s51
	v_add_co_u32_e64 v36, s[28:29], s39, v26
	v_addc_co_u32_e64 v37, s[28:29], v37, v27, s[28:29]
	global_load_dword v28, v[28:29], off
	s_nop 0
	global_load_dword v29, v[30:31], off
	s_nop 0
	global_load_dword v30, v[32:33], off
	global_load_dword v31, v[34:35], off
	s_nop 0
	global_load_dword v32, v[36:37], off
	v_mbcnt_lo_u32_b32 v34, -1, 0
	v_mbcnt_hi_u32_b32 v34, -1, v34
	v_and_b32_e32 v35, 64, v34
	v_add_u32_e32 v35, 64, v35
	v_xor_b32_e32 v36, 32, v34
	v_cmp_lt_i32_e64 s[28:29], v36, v35
	v_cndmask_b32_e64 v36, v34, v36, s[28:29]
	v_lshlrev_b32_e32 v36, 2, v36
	s_waitcnt vmcnt(10)
	v_max3_f32 v33, v1, v44, v45
	s_waitcnt vmcnt(8)
	v_max3_f32 v33, v33, v46, v47
	;; [unrolled: 2-line block ×6, first 2 shown]
	ds_bpermute_b32 v37, v36, v33
	s_waitcnt lgkmcnt(0)
	v_max_f32_e32 v37, v37, v37
	v_max_f32_e32 v33, v33, v37
	v_xor_b32_e32 v37, 16, v34
	v_cmp_lt_i32_e64 s[28:29], v37, v35
	v_cndmask_b32_e64 v37, v34, v37, s[28:29]
	v_lshlrev_b32_e32 v37, 2, v37
	ds_bpermute_b32 v41, v37, v33
	s_waitcnt lgkmcnt(0)
	v_max_f32_e32 v41, v41, v41
	v_max_f32_e32 v33, v33, v41
	v_xor_b32_e32 v41, 8, v34
	v_cmp_lt_i32_e64 s[28:29], v41, v35
	v_cndmask_b32_e64 v41, v34, v41, s[28:29]
	v_lshlrev_b32_e32 v41, 2, v41
	;; [unrolled: 8-line block ×4, first 2 shown]
	ds_bpermute_b32 v48, v43, v33
	s_waitcnt lgkmcnt(0)
	v_max_f32_e32 v48, v48, v48
	v_max_f32_e32 v33, v33, v48
	v_xor_b32_e32 v48, 1, v34
	v_cmp_lt_i32_e64 s[28:29], v48, v35
	v_cndmask_b32_e64 v34, v34, v48, s[28:29]
	s_add_u32 s28, s40, s52
	s_addc_u32 s29, s41, s53
	s_add_u32 s39, s28, s42
	s_addc_u32 s40, s29, s43
	v_mov_b32_e32 v48, s40
	v_add_co_u32_e64 v2, s[28:29], s39, v2
	v_addc_co_u32_e64 v3, s[28:29], v48, v3, s[28:29]
	global_load_dword v48, v[2:3], off
	v_mov_b32_e32 v3, s40
	v_add_co_u32_e64 v2, s[28:29], s39, v4
	v_addc_co_u32_e64 v3, s[28:29], v3, v5, s[28:29]
	v_mov_b32_e32 v5, s40
	v_add_co_u32_e64 v4, s[28:29], s39, v6
	v_addc_co_u32_e64 v5, s[28:29], v5, v7, s[28:29]
	;; [unrolled: 3-line block ×7, first 2 shown]
	global_load_dword v16, v[2:3], off
	global_load_dword v17, v[4:5], off
	;; [unrolled: 1-line block ×5, first 2 shown]
	s_nop 0
	global_load_dword v12, v[12:13], off
	s_nop 0
	global_load_dword v13, v[14:15], off
	v_lshlrev_b32_e32 v34, 2, v34
	ds_bpermute_b32 v35, v34, v33
	v_mov_b32_e32 v3, s40
	v_add_co_u32_e64 v2, s[28:29], s39, v18
	v_addc_co_u32_e64 v3, s[28:29], v3, v19, s[28:29]
	v_mov_b32_e32 v5, s40
	v_add_co_u32_e64 v4, s[28:29], s39, v20
	v_addc_co_u32_e64 v5, s[28:29], v5, v21, s[28:29]
	;; [unrolled: 3-line block ×3, first 2 shown]
	s_waitcnt lgkmcnt(0)
	v_max_f32_e32 v14, v35, v35
	v_mov_b32_e32 v9, s40
	v_add_co_u32_e64 v8, s[28:29], s39, v24
	v_max_f32_e32 v14, v33, v14
	v_addc_co_u32_e64 v9, s[28:29], v9, v25, s[28:29]
	v_sub_f32_e32 v1, v1, v14
	v_add_co_u32_e64 v10, s[28:29], s39, v26
	s_mov_b32 s39, 0x3fb8aa3b
	v_mul_f32_e32 v15, 0x3fb8aa3b, v1
	v_fma_f32 v18, v1, s39, -v15
	v_rndne_f32_e32 v19, v15
	v_mov_b32_e32 v11, s40
	v_fmac_f32_e32 v18, 0x32a5705f, v1
	v_sub_f32_e32 v15, v15, v19
	v_addc_co_u32_e64 v11, s[28:29], v11, v27, s[28:29]
	v_add_f32_e32 v15, v15, v18
	v_cvt_i32_f32_e32 v18, v19
	global_load_dword v2, v[2:3], off
	s_nop 0
	global_load_dword v3, v[4:5], off
	global_load_dword v19, v[6:7], off
	;; [unrolled: 1-line block ×4, first 2 shown]
	v_sub_f32_e32 v6, v44, v14
	v_mul_f32_e32 v7, 0x3fb8aa3b, v6
	v_fma_f32 v8, v6, s39, -v7
	v_rndne_f32_e32 v9, v7
	v_exp_f32_e32 v15, v15
	v_fmac_f32_e32 v8, 0x32a5705f, v6
	v_sub_f32_e32 v7, v7, v9
	v_add_f32_e32 v7, v7, v8
	v_exp_f32_e32 v7, v7
	v_cvt_i32_f32_e32 v8, v9
	s_mov_b32 s40, 0xc2ce8ed0
	v_ldexp_f32 v4, v15, v18
	v_cmp_ngt_f32_e64 s[28:29], s40, v1
	s_mov_b32 s41, 0x42b17218
	v_cndmask_b32_e64 v4, 0, v4, s[28:29]
	v_mov_b32_e32 v5, 0x7f800000
	v_cmp_nlt_f32_e64 s[28:29], s41, v1
	v_cndmask_b32_e64 v1, v5, v4, s[28:29]
	v_ldexp_f32 v4, v7, v8
	v_sub_f32_e32 v7, v45, v14
	v_mul_f32_e32 v8, 0x3fb8aa3b, v7
	v_fma_f32 v9, v7, s39, -v8
	v_rndne_f32_e32 v10, v8
	v_fmac_f32_e32 v9, 0x32a5705f, v7
	v_sub_f32_e32 v8, v8, v10
	v_add_f32_e32 v8, v8, v9
	v_exp_f32_e32 v8, v8
	v_cvt_i32_f32_e32 v9, v10
	v_cndmask_b32_e64 v1, 0, v1, s[26:27]
	v_cmp_ngt_f32_e64 s[26:27], s40, v6
	v_cndmask_b32_e64 v4, 0, v4, s[26:27]
	v_cmp_nlt_f32_e64 s[26:27], s41, v6
	v_ldexp_f32 v6, v8, v9
	v_sub_f32_e32 v8, v46, v14
	v_mul_f32_e32 v9, 0x3fb8aa3b, v8
	v_fma_f32 v10, v8, s39, -v9
	v_rndne_f32_e32 v11, v9
	v_fmac_f32_e32 v10, 0x32a5705f, v8
	v_sub_f32_e32 v9, v9, v11
	v_add_f32_e32 v9, v9, v10
	v_exp_f32_e32 v9, v9
	v_cvt_i32_f32_e32 v10, v11
	v_cndmask_b32_e64 v4, v5, v4, s[26:27]
	v_cndmask_b32_e64 v4, 0, v4, s[24:25]
	v_cmp_ngt_f32_e64 s[24:25], s40, v7
	v_cndmask_b32_e64 v6, 0, v6, s[24:25]
	v_cmp_nlt_f32_e64 s[24:25], s41, v7
	v_ldexp_f32 v7, v9, v10
	v_sub_f32_e32 v9, v47, v14
	v_mul_f32_e32 v10, 0x3fb8aa3b, v9
	v_fma_f32 v11, v9, s39, -v10
	v_rndne_f32_e32 v15, v10
	v_fmac_f32_e32 v11, 0x32a5705f, v9
	v_sub_f32_e32 v10, v10, v15
	v_add_f32_e32 v10, v10, v11
	v_exp_f32_e32 v10, v10
	v_cvt_i32_f32_e32 v11, v15
	v_cndmask_b32_e64 v6, v5, v6, s[24:25]
	v_cndmask_b32_e64 v6, 0, v6, s[22:23]
	v_cmp_ngt_f32_e64 s[22:23], s40, v8
	v_cndmask_b32_e64 v7, 0, v7, s[22:23]
	v_cmp_nlt_f32_e64 s[22:23], s41, v8
	v_ldexp_f32 v8, v10, v11
	v_sub_f32_e32 v10, v38, v14
	v_mul_f32_e32 v11, 0x3fb8aa3b, v10
	s_waitcnt vmcnt(11)
	v_mul_f32_e32 v4, v16, v4
	v_fma_f32 v15, v10, s39, -v11
	v_rndne_f32_e32 v16, v11
	v_fmac_f32_e32 v15, 0x32a5705f, v10
	v_sub_f32_e32 v11, v11, v16
	v_add_f32_e32 v11, v11, v15
	v_exp_f32_e32 v11, v11
	v_cvt_i32_f32_e32 v15, v16
	v_cndmask_b32_e64 v7, v5, v7, s[22:23]
	v_cndmask_b32_e64 v7, 0, v7, s[20:21]
	v_cmp_ngt_f32_e64 s[20:21], s40, v9
	v_cndmask_b32_e64 v8, 0, v8, s[20:21]
	v_cmp_nlt_f32_e64 s[20:21], s41, v9
	v_ldexp_f32 v9, v11, v15
	v_sub_f32_e32 v11, v39, v14
	v_mul_f32_e32 v15, 0x3fb8aa3b, v11
	s_waitcnt vmcnt(10)
	v_mul_f32_e32 v6, v17, v6
	v_fma_f32 v16, v11, s39, -v15
	v_rndne_f32_e32 v17, v15
	v_fmac_f32_e32 v16, 0x32a5705f, v11
	v_sub_f32_e32 v15, v15, v17
	v_add_f32_e32 v15, v15, v16
	v_exp_f32_e32 v15, v15
	v_cvt_i32_f32_e32 v16, v17
	v_cndmask_b32_e64 v8, v5, v8, s[20:21]
	v_cndmask_b32_e64 v8, 0, v8, s[18:19]
	v_cmp_ngt_f32_e64 s[18:19], s40, v10
	v_cndmask_b32_e64 v9, 0, v9, s[18:19]
	v_cmp_nlt_f32_e64 s[18:19], s41, v10
	v_ldexp_f32 v10, v15, v16
	v_sub_f32_e32 v15, v40, v14
	v_mul_f32_e32 v16, 0x3fb8aa3b, v15
	v_fma_f32 v17, v15, s39, -v16
	v_rndne_f32_e32 v18, v16
	v_cndmask_b32_e64 v9, v5, v9, s[18:19]
	v_fmac_f32_e32 v17, 0x32a5705f, v15
	v_sub_f32_e32 v16, v16, v18
	v_cndmask_b32_e64 v9, 0, v9, s[16:17]
	v_cmp_ngt_f32_e64 s[16:17], s40, v11
	v_add_f32_e32 v16, v16, v17
	v_cndmask_b32_e64 v10, 0, v10, s[16:17]
	v_exp_f32_e32 v16, v16
	v_cvt_i32_f32_e32 v17, v18
	v_cmp_nlt_f32_e64 s[16:17], s41, v11
	v_cndmask_b32_e64 v10, v5, v10, s[16:17]
	v_cndmask_b32_e64 v10, 0, v10, s[14:15]
	s_waitcnt vmcnt(6)
	v_mul_f32_e32 v10, v12, v10
	v_sub_f32_e32 v12, v28, v14
	v_ldexp_f32 v11, v16, v17
	v_mul_f32_e32 v16, 0x3fb8aa3b, v12
	v_fma_f32 v17, v12, s39, -v16
	v_rndne_f32_e32 v18, v16
	v_fmac_f32_e32 v17, 0x32a5705f, v12
	v_sub_f32_e32 v16, v16, v18
	v_add_f32_e32 v16, v16, v17
	v_cmp_ngt_f32_e64 s[14:15], s40, v15
	v_exp_f32_e32 v16, v16
	v_cvt_i32_f32_e32 v17, v18
	v_cndmask_b32_e64 v11, 0, v11, s[14:15]
	v_cmp_nlt_f32_e64 s[14:15], s41, v15
	v_cndmask_b32_e64 v11, v5, v11, s[14:15]
	v_cndmask_b32_e64 v11, 0, v11, s[12:13]
	v_sub_f32_e32 v15, v29, v14
	s_waitcnt vmcnt(5)
	v_mul_f32_e32 v11, v13, v11
	v_ldexp_f32 v13, v16, v17
	v_mul_f32_e32 v16, 0x3fb8aa3b, v15
	v_fma_f32 v17, v15, s39, -v16
	v_rndne_f32_e32 v18, v16
	v_fmac_f32_e32 v17, 0x32a5705f, v15
	v_sub_f32_e32 v16, v16, v18
	v_add_f32_e32 v16, v16, v17
	v_cmp_ngt_f32_e64 s[12:13], s40, v12
	v_exp_f32_e32 v16, v16
	v_cvt_i32_f32_e32 v17, v18
	v_cndmask_b32_e64 v13, 0, v13, s[12:13]
	v_cmp_nlt_f32_e64 s[12:13], s41, v12
	v_cndmask_b32_e64 v12, v5, v13, s[12:13]
	v_cndmask_b32_e64 v12, 0, v12, s[10:11]
	v_sub_f32_e32 v13, v30, v14
	s_waitcnt vmcnt(4)
	v_mul_f32_e32 v12, v2, v12
	;; [unrolled: 17-line block ×4, first 2 shown]
	v_ldexp_f32 v2, v16, v17
	v_mul_f32_e32 v16, 0x3fb8aa3b, v14
	v_fma_f32 v17, v14, s39, -v16
	v_rndne_f32_e32 v18, v16
	v_fmac_f32_e32 v17, 0x32a5705f, v14
	v_sub_f32_e32 v16, v16, v18
	v_add_f32_e32 v16, v16, v17
	v_exp_f32_e32 v16, v16
	v_cvt_i32_f32_e32 v17, v18
	v_cmp_ngt_f32_e64 s[2:3], s40, v15
	v_cndmask_b32_e64 v2, 0, v2, s[2:3]
	v_cmp_nlt_f32_e64 s[2:3], s41, v15
	v_cndmask_b32_e64 v2, v5, v2, s[2:3]
	v_mul_f32_e32 v1, v48, v1
	v_cndmask_b32_e64 v2, 0, v2, s[0:1]
	v_ldexp_f32 v15, v16, v17
	v_cmp_ngt_f32_e64 s[0:1], s40, v14
	v_cndmask_b32_e64 v15, 0, v15, s[0:1]
	v_cmp_nlt_f32_e64 s[0:1], s41, v14
	v_add_f32_e32 v14, v1, v4
	v_mul_f32_e32 v7, v49, v7
	v_add_f32_e32 v14, v14, v6
	v_mul_f32_e32 v8, v50, v8
	;; [unrolled: 2-line block ×3, first 2 shown]
	v_add_f32_e32 v14, v14, v8
	v_add_f32_e32 v14, v14, v9
	;; [unrolled: 1-line block ×6, first 2 shown]
	v_cndmask_b32_e64 v5, v5, v15, s[0:1]
	v_add_f32_e32 v14, v14, v13
	v_cndmask_b32_e32 v5, 0, v5, vcc
	s_waitcnt vmcnt(1)
	v_fmac_f32_e32 v14, v20, v2
	s_waitcnt vmcnt(0)
	v_fmac_f32_e32 v14, v21, v5
	ds_bpermute_b32 v15, v36, v14
	v_mul_f32_e32 v16, v20, v2
	v_lshlrev_b32_e32 v17, 2, v0
	ds_write2st64_b32 v17, v1, v4 offset1:1
	ds_write2st64_b32 v17, v6, v7 offset0:2 offset1:3
	ds_write2st64_b32 v17, v8, v9 offset0:4 offset1:5
	;; [unrolled: 1-line block ×3, first 2 shown]
	v_cmp_eq_u32_e32 vcc, 0, v0
	s_waitcnt lgkmcnt(4)
	v_add_f32_e32 v14, v14, v15
	ds_bpermute_b32 v15, v37, v14
	v_mul_f32_e32 v5, v21, v5
	ds_write2st64_b32 v17, v12, v3 offset0:8 offset1:9
	ds_write2st64_b32 v17, v13, v16 offset0:10 offset1:11
	ds_write_b32 v17, v5 offset:3072
	s_waitcnt lgkmcnt(3)
	v_add_f32_e32 v14, v14, v15
	ds_bpermute_b32 v15, v41, v14
	s_waitcnt lgkmcnt(0)
	v_add_f32_e32 v14, v14, v15
	ds_bpermute_b32 v15, v42, v14
	;; [unrolled: 3-line block ×4, first 2 shown]
	s_and_saveexec_b64 s[0:1], vcc
	s_cbranch_execz .LBB128_8
; %bb.7:
	s_waitcnt lgkmcnt(0)
	v_add_f32_e32 v1, v1, v2
	v_mov_b32_e32 v2, 0
	ds_write_b32 v2, v1 offset:3328
.LBB128_8:
	s_or_b64 exec, exec, s[0:1]
	v_mov_b32_e32 v1, s38
.LBB128_9:
	s_or_b64 exec, exec, s[48:49]
	s_lshl_b32 s0, s50, 7
	s_mov_b32 s1, 0
	s_lshl_b64 s[0:1], s[0:1], 1
	s_add_u32 s0, s36, s0
	s_addc_u32 s1, s37, s1
	s_lshl_b32 s10, s33, 7
	s_waitcnt lgkmcnt(0)
	v_lshlrev_b32_e32 v2, 7, v1
	v_mov_b32_e32 v3, 0
	s_add_i32 s11, s10, 0xffffff80
	v_lshlrev_b64 v[4:5], 1, v[2:3]
	s_cmp_lt_i32 s54, 1
	v_mov_b32_e32 v1, s1
	v_add_co_u32_e32 v2, vcc, s0, v4
	s_cselect_b32 s0, s11, 0
	v_addc_co_u32_e32 v4, vcc, v1, v5, vcc
	v_lshlrev_b32_e32 v0, 1, v0
	s_ashr_i32 s1, s0, 31
	v_add_co_u32_e32 v1, vcc, v2, v0
	s_lshl_b64 s[0:1], s[0:1], 1
	v_addc_co_u32_e32 v2, vcc, 0, v4, vcc
	s_cmpk_lt_i32 s54, 0x101
	v_add_co_u32_e32 v12, vcc, s0, v1
	s_cselect_b32 s0, s11, 0x80
	v_mov_b32_e32 v4, s1
	s_ashr_i32 s1, s0, 31
	s_lshl_b64 s[0:1], s[0:1], 1
	v_addc_co_u32_e32 v13, vcc, v2, v4, vcc
	s_cmpk_lt_i32 s54, 0x201
	v_add_co_u32_e32 v14, vcc, s0, v1
	s_cselect_b32 s0, s11, 0x100
	v_mov_b32_e32 v4, s1
	s_ashr_i32 s1, s0, 31
	s_lshl_b64 s[0:1], s[0:1], 1
	v_addc_co_u32_e32 v15, vcc, v2, v4, vcc
	s_cmpk_lt_i32 s54, 0x301
	v_add_co_u32_e32 v16, vcc, s0, v1
	s_cselect_b32 s0, s11, 0x180
	v_mov_b32_e32 v4, s1
	s_ashr_i32 s1, s0, 31
	s_lshl_b64 s[0:1], s[0:1], 1
	v_addc_co_u32_e32 v17, vcc, v2, v4, vcc
	s_cmpk_lt_i32 s54, 0x401
	v_add_co_u32_e32 v18, vcc, s0, v1
	s_cselect_b32 s0, s11, 0x200
	v_mov_b32_e32 v4, s1
	s_ashr_i32 s1, s0, 31
	s_lshl_b64 s[0:1], s[0:1], 1
	v_addc_co_u32_e32 v19, vcc, v2, v4, vcc
	s_cmpk_lt_i32 s54, 0x501
	v_add_co_u32_e32 v20, vcc, s0, v1
	s_cselect_b32 s0, s11, 0x280
	v_mov_b32_e32 v4, s1
	s_ashr_i32 s1, s0, 31
	s_lshl_b64 s[0:1], s[0:1], 1
	v_addc_co_u32_e32 v21, vcc, v2, v4, vcc
	s_cmpk_lt_i32 s54, 0x601
	v_add_co_u32_e32 v22, vcc, s0, v1
	s_cselect_b32 s0, s11, 0x300
	v_mov_b32_e32 v4, s1
	s_ashr_i32 s1, s0, 31
	s_lshl_b64 s[0:1], s[0:1], 1
	v_addc_co_u32_e32 v23, vcc, v2, v4, vcc
	s_cmpk_lt_i32 s54, 0x701
	v_add_co_u32_e32 v24, vcc, s0, v1
	s_cselect_b32 s0, s11, 0x380
	v_mov_b32_e32 v4, s1
	s_ashr_i32 s1, s0, 31
	s_lshl_b64 s[0:1], s[0:1], 1
	v_addc_co_u32_e32 v25, vcc, v2, v4, vcc
	s_cmpk_lt_i32 s54, 0x801
	v_add_co_u32_e32 v26, vcc, s0, v1
	s_cselect_b32 s0, s11, 0x400
	v_mov_b32_e32 v4, s1
	s_ashr_i32 s1, s0, 31
	s_lshl_b64 s[0:1], s[0:1], 1
	v_addc_co_u32_e32 v27, vcc, v2, v4, vcc
	s_cmpk_lt_i32 s54, 0x901
	global_load_ushort v4, v[12:13], off
	global_load_ushort v5, v[14:15], off
	global_load_ushort v6, v[16:17], off
	global_load_ushort v7, v[18:19], off
	global_load_ushort v8, v[20:21], off
	global_load_ushort v9, v[22:23], off
	global_load_ushort v10, v[24:25], off
	global_load_ushort v11, v[26:27], off
	v_add_co_u32_e32 v20, vcc, s0, v1
	s_cselect_b32 s0, s11, 0x480
	v_mov_b32_e32 v12, s1
	s_ashr_i32 s1, s0, 31
	s_lshl_b64 s[0:1], s[0:1], 1
	v_addc_co_u32_e32 v21, vcc, v2, v12, vcc
	s_cmpk_lt_i32 s54, 0xa01
	v_add_co_u32_e32 v22, vcc, s0, v1
	s_cselect_b32 s0, s11, 0x500
	v_mov_b32_e32 v12, s1
	s_ashr_i32 s1, s0, 31
	s_lshl_b64 s[0:1], s[0:1], 1
	v_addc_co_u32_e32 v23, vcc, v2, v12, vcc
	s_cmpk_lt_i32 s54, 0xb01
	v_add_co_u32_e32 v24, vcc, s0, v1
	s_cselect_b32 s0, s11, 0x580
	v_mov_b32_e32 v12, s1
	s_ashr_i32 s1, s0, 31
	s_lshl_b64 s[0:1], s[0:1], 1
	v_addc_co_u32_e32 v25, vcc, v2, v12, vcc
	s_cmpk_lt_i32 s54, 0xc01
	v_add_co_u32_e32 v26, vcc, s0, v1
	s_cselect_b32 s0, s11, 0x600
	v_mov_b32_e32 v12, s1
	s_ashr_i32 s1, s0, 31
	s_lshl_b64 s[0:1], s[0:1], 1
	v_addc_co_u32_e32 v27, vcc, v2, v12, vcc
	s_cmpk_lt_i32 s54, 0xd01
	v_add_co_u32_e32 v28, vcc, s0, v1
	s_cselect_b32 s0, s11, 0x680
	v_mov_b32_e32 v12, s1
	s_ashr_i32 s1, s0, 31
	s_lshl_b64 s[0:1], s[0:1], 1
	v_addc_co_u32_e32 v29, vcc, v2, v12, vcc
	s_cmpk_lt_i32 s54, 0xe01
	v_add_co_u32_e32 v30, vcc, s0, v1
	s_cselect_b32 s0, s11, 0x700
	v_mov_b32_e32 v12, s1
	s_ashr_i32 s1, s0, 31
	s_lshl_b64 s[0:1], s[0:1], 1
	v_addc_co_u32_e32 v31, vcc, v2, v12, vcc
	s_cmpk_lt_i32 s54, 0xf01
	v_add_co_u32_e32 v32, vcc, s0, v1
	s_cselect_b32 s0, s11, 0x780
	v_mov_b32_e32 v12, s1
	s_ashr_i32 s1, s0, 31
	v_addc_co_u32_e32 v33, vcc, v2, v12, vcc
	s_lshl_b64 s[0:1], s[0:1], 1
	v_mov_b32_e32 v12, s1
	v_add_co_u32_e32 v34, vcc, s0, v1
	v_addc_co_u32_e32 v35, vcc, v2, v12, vcc
	global_load_ushort v12, v[20:21], off
	global_load_ushort v13, v[22:23], off
	;; [unrolled: 1-line block ×8, first 2 shown]
	s_cmpk_gt_i32 s54, 0x1000
	s_cselect_b64 s[8:9], -1, 0
	s_cmpk_lt_i32 s54, 0x1001
	v_mov_b32_e32 v36, 0
	v_mov_b32_e32 v37, 0
	;; [unrolled: 1-line block ×48, first 2 shown]
	s_barrier
	s_cbranch_scc1 .LBB128_12
; %bb.10:
	s_cmpk_lt_u32 s54, 0x1101
	s_cselect_b32 s0, s11, 0x880
	s_ashr_i32 s1, s0, 31
	v_add_co_u32_e32 v28, vcc, 0x1000, v1
	s_lshl_b64 s[0:1], s[0:1], 1
	v_addc_co_u32_e32 v29, vcc, 0, v2, vcc
	s_cmpk_lt_u32 s54, 0x1201
	v_add_co_u32_e32 v30, vcc, s0, v1
	s_cselect_b32 s0, s11, 0x900
	v_mov_b32_e32 v20, s1
	s_ashr_i32 s1, s0, 31
	s_lshl_b64 s[0:1], s[0:1], 1
	v_addc_co_u32_e32 v31, vcc, v2, v20, vcc
	s_cmpk_lt_u32 s54, 0x1301
	v_add_co_u32_e32 v32, vcc, s0, v1
	s_cselect_b32 s0, s11, 0x980
	v_mov_b32_e32 v20, s1
	s_ashr_i32 s1, s0, 31
	;; [unrolled: 7-line block ×7, first 2 shown]
	s_lshl_b64 s[0:1], s[0:1], 1
	v_addc_co_u32_e32 v43, vcc, v2, v20, vcc
	s_cmpk_lt_u32 s54, 0x1901
	global_load_ushort v27, v[28:29], off
	global_load_ushort v26, v[30:31], off
	;; [unrolled: 1-line block ×8, first 2 shown]
	v_add_co_u32_e32 v36, vcc, s0, v1
	s_cselect_b32 s0, s11, 0xc80
	v_mov_b32_e32 v28, s1
	s_ashr_i32 s1, s0, 31
	s_lshl_b64 s[0:1], s[0:1], 1
	v_addc_co_u32_e32 v37, vcc, v2, v28, vcc
	s_cmpk_lt_u32 s54, 0x1a01
	v_add_co_u32_e32 v38, vcc, s0, v1
	s_cselect_b32 s0, s11, 0xd00
	v_mov_b32_e32 v28, s1
	s_ashr_i32 s1, s0, 31
	s_lshl_b64 s[0:1], s[0:1], 1
	v_addc_co_u32_e32 v39, vcc, v2, v28, vcc
	s_cmpk_lt_u32 s54, 0x1b01
	;; [unrolled: 7-line block ×6, first 2 shown]
	v_add_co_u32_e32 v48, vcc, s0, v1
	s_cselect_b32 s0, s11, 0xf80
	v_mov_b32_e32 v28, s1
	s_ashr_i32 s1, s0, 31
	v_addc_co_u32_e32 v49, vcc, v2, v28, vcc
	s_lshl_b64 s[0:1], s[0:1], 1
	v_mov_b32_e32 v28, s1
	v_add_co_u32_e32 v50, vcc, s0, v1
	v_addc_co_u32_e32 v51, vcc, v2, v28, vcc
	global_load_ushort v35, v[36:37], off
	global_load_ushort v34, v[38:39], off
	;; [unrolled: 1-line block ×8, first 2 shown]
	s_cmpk_lt_u32 s54, 0x2001
	v_mov_b32_e32 v67, 0
	v_mov_b32_e32 v66, 0
	;; [unrolled: 1-line block ×32, first 2 shown]
	s_cbranch_scc1 .LBB128_12
; %bb.11:
	s_cmpk_lt_u32 s54, 0x2101
	s_cselect_b32 s0, s11, 0x1080
	s_ashr_i32 s1, s0, 31
	v_add_co_u32_e32 v36, vcc, 0x2000, v1
	s_lshl_b64 s[0:1], s[0:1], 1
	v_addc_co_u32_e32 v37, vcc, 0, v2, vcc
	s_cmpk_lt_u32 s54, 0x2201
	v_add_co_u32_e32 v38, vcc, s0, v1
	s_cselect_b32 s0, s11, 0x1100
	v_mov_b32_e32 v39, s1
	s_ashr_i32 s1, s0, 31
	s_lshl_b64 s[0:1], s[0:1], 1
	v_addc_co_u32_e32 v39, vcc, v2, v39, vcc
	s_cmpk_lt_u32 s54, 0x2301
	v_add_co_u32_e32 v40, vcc, s0, v1
	s_cselect_b32 s0, s11, 0x1180
	v_mov_b32_e32 v41, s1
	s_ashr_i32 s1, s0, 31
	s_lshl_b64 s[0:1], s[0:1], 1
	v_addc_co_u32_e32 v41, vcc, v2, v41, vcc
	s_cmpk_lt_u32 s54, 0x2401
	v_add_co_u32_e32 v42, vcc, s0, v1
	s_cselect_b32 s0, s11, 0x1200
	v_mov_b32_e32 v43, s1
	s_ashr_i32 s1, s0, 31
	s_lshl_b64 s[0:1], s[0:1], 1
	v_addc_co_u32_e32 v43, vcc, v2, v43, vcc
	s_cmpk_lt_u32 s54, 0x2501
	v_add_co_u32_e32 v44, vcc, s0, v1
	s_cselect_b32 s0, s11, 0x1280
	v_mov_b32_e32 v45, s1
	s_ashr_i32 s1, s0, 31
	s_lshl_b64 s[0:1], s[0:1], 1
	v_addc_co_u32_e32 v45, vcc, v2, v45, vcc
	s_cmpk_lt_u32 s54, 0x2601
	v_add_co_u32_e32 v46, vcc, s0, v1
	s_cselect_b32 s0, s11, 0x1300
	v_mov_b32_e32 v47, s1
	s_ashr_i32 s1, s0, 31
	s_lshl_b64 s[0:1], s[0:1], 1
	v_addc_co_u32_e32 v47, vcc, v2, v47, vcc
	s_cmpk_lt_u32 s54, 0x2701
	v_add_co_u32_e32 v48, vcc, s0, v1
	s_cselect_b32 s0, s11, 0x1380
	v_mov_b32_e32 v49, s1
	s_ashr_i32 s1, s0, 31
	s_lshl_b64 s[0:1], s[0:1], 1
	v_addc_co_u32_e32 v49, vcc, v2, v49, vcc
	s_cmpk_lt_u32 s54, 0x2801
	v_add_co_u32_e32 v50, vcc, s0, v1
	s_cselect_b32 s0, s11, 0x1400
	v_mov_b32_e32 v51, s1
	s_ashr_i32 s1, s0, 31
	s_lshl_b64 s[0:1], s[0:1], 1
	v_addc_co_u32_e32 v51, vcc, v2, v51, vcc
	s_cmpk_lt_u32 s54, 0x2901
	global_load_ushort v52, v[36:37], off
	global_load_ushort v53, v[38:39], off
	global_load_ushort v54, v[40:41], off
	global_load_ushort v55, v[42:43], off
	global_load_ushort v56, v[44:45], off
	global_load_ushort v57, v[46:47], off
	global_load_ushort v58, v[48:49], off
	global_load_ushort v59, v[50:51], off
	v_add_co_u32_e32 v36, vcc, s0, v1
	s_cselect_b32 s0, s11, 0x1480
	v_mov_b32_e32 v37, s1
	s_ashr_i32 s1, s0, 31
	s_lshl_b64 s[0:1], s[0:1], 1
	v_addc_co_u32_e32 v37, vcc, v2, v37, vcc
	s_cmpk_lt_u32 s54, 0x2a01
	v_add_co_u32_e32 v38, vcc, s0, v1
	s_cselect_b32 s0, s11, 0x1500
	v_mov_b32_e32 v39, s1
	s_ashr_i32 s1, s0, 31
	s_lshl_b64 s[0:1], s[0:1], 1
	v_addc_co_u32_e32 v39, vcc, v2, v39, vcc
	s_cmpk_lt_u32 s54, 0x2b01
	v_add_co_u32_e32 v40, vcc, s0, v1
	s_cselect_b32 s0, s11, 0x1580
	v_mov_b32_e32 v41, s1
	s_ashr_i32 s1, s0, 31
	s_lshl_b64 s[0:1], s[0:1], 1
	v_addc_co_u32_e32 v41, vcc, v2, v41, vcc
	s_cmpk_lt_u32 s54, 0x2c01
	v_add_co_u32_e32 v42, vcc, s0, v1
	s_cselect_b32 s0, s11, 0x1600
	v_mov_b32_e32 v43, s1
	s_ashr_i32 s1, s0, 31
	s_lshl_b64 s[0:1], s[0:1], 1
	v_addc_co_u32_e32 v43, vcc, v2, v43, vcc
	s_cmpk_lt_u32 s54, 0x2d01
	v_add_co_u32_e32 v44, vcc, s0, v1
	s_cselect_b32 s0, s11, 0x1680
	v_mov_b32_e32 v45, s1
	s_ashr_i32 s1, s0, 31
	s_lshl_b64 s[0:1], s[0:1], 1
	v_addc_co_u32_e32 v45, vcc, v2, v45, vcc
	s_cmpk_lt_u32 s54, 0x2e01
	v_add_co_u32_e32 v46, vcc, s0, v1
	s_cselect_b32 s0, s11, 0x1700
	v_mov_b32_e32 v47, s1
	s_ashr_i32 s1, s0, 31
	s_lshl_b64 s[0:1], s[0:1], 1
	v_addc_co_u32_e32 v47, vcc, v2, v47, vcc
	s_cmpk_lt_u32 s54, 0x2f01
	v_add_co_u32_e32 v48, vcc, s0, v1
	s_cselect_b32 s0, s11, 0x1780
	v_mov_b32_e32 v49, s1
	s_ashr_i32 s1, s0, 31
	s_lshl_b64 s[0:1], s[0:1], 1
	v_addc_co_u32_e32 v49, vcc, v2, v49, vcc
	s_cmpk_lt_u32 s54, 0x3001
	v_add_co_u32_e32 v50, vcc, s0, v1
	s_cselect_b32 s0, s11, 0x1800
	v_mov_b32_e32 v51, s1
	s_ashr_i32 s1, s0, 31
	s_lshl_b64 s[0:1], s[0:1], 1
	v_addc_co_u32_e32 v51, vcc, v2, v51, vcc
	s_cmpk_lt_u32 s54, 0x3101
	global_load_ushort v68, v[36:37], off
	global_load_ushort v69, v[38:39], off
	global_load_ushort v70, v[40:41], off
	global_load_ushort v71, v[42:43], off
	global_load_ushort v72, v[44:45], off
	global_load_ushort v73, v[46:47], off
	global_load_ushort v74, v[48:49], off
	global_load_ushort v75, v[50:51], off
	v_add_co_u32_e32 v36, vcc, s0, v1
	s_cselect_b32 s0, s11, 0x1880
	v_mov_b32_e32 v37, s1
	s_ashr_i32 s1, s0, 31
	;; [unrolled: 64-line block ×3, first 2 shown]
	s_lshl_b64 s[0:1], s[0:1], 1
	v_addc_co_u32_e32 v37, vcc, v2, v37, vcc
	s_cmpk_lt_u32 s54, 0x3a01
	v_add_co_u32_e32 v38, vcc, s0, v1
	s_cselect_b32 s0, s11, 0x1d00
	v_mov_b32_e32 v39, s1
	s_ashr_i32 s1, s0, 31
	s_lshl_b64 s[0:1], s[0:1], 1
	v_addc_co_u32_e32 v39, vcc, v2, v39, vcc
	s_cmpk_lt_u32 s54, 0x3b01
	v_add_co_u32_e32 v40, vcc, s0, v1
	s_cselect_b32 s0, s11, 0x1d80
	v_mov_b32_e32 v41, s1
	s_ashr_i32 s1, s0, 31
	;; [unrolled: 7-line block ×6, first 2 shown]
	v_addc_co_u32_e32 v49, vcc, v2, v49, vcc
	s_lshl_b64 s[0:1], s[0:1], 1
	v_mov_b32_e32 v51, s1
	v_add_co_u32_e32 v50, vcc, s0, v1
	v_addc_co_u32_e32 v51, vcc, v2, v51, vcc
	global_load_ushort v84, v[36:37], off
	global_load_ushort v85, v[38:39], off
	;; [unrolled: 1-line block ×8, first 2 shown]
	s_waitcnt vmcnt(31)
	v_cvt_f32_f16_e32 v67, v52
	s_waitcnt vmcnt(30)
	v_cvt_f32_f16_e32 v66, v53
	;; [unrolled: 2-line block ×32, first 2 shown]
.LBB128_12:
	ds_read_b128 v[68:71], v3
	s_load_dwordx2 s[0:1], s[4:5], 0x0
	s_load_dwordx2 s[2:3], s[4:5], 0x38
	ds_read_b128 v[72:75], v3 offset:16
	ds_read_b128 v[76:79], v3 offset:32
	;; [unrolled: 1-line block ×3, first 2 shown]
	s_and_b64 vcc, exec, s[8:9]
	s_waitcnt vmcnt(15) lgkmcnt(0)
	v_fma_mix_f32 v4, v68, v4, 0 op_sel_hi:[0,1,0]
	s_waitcnt vmcnt(14)
	v_fma_mix_f32 v4, v69, v5, v4 op_sel_hi:[0,1,0]
	s_waitcnt vmcnt(13)
	v_fma_mix_f32 v4, v70, v6, v4 op_sel_hi:[0,1,0]
	s_waitcnt vmcnt(12)
	v_fma_mix_f32 v4, v71, v7, v4 op_sel_hi:[0,1,0]
	s_waitcnt vmcnt(11)
	v_fma_mix_f32 v4, v72, v8, v4 op_sel_hi:[0,1,0]
	s_waitcnt vmcnt(10)
	v_fma_mix_f32 v4, v73, v9, v4 op_sel_hi:[0,1,0]
	s_waitcnt vmcnt(9)
	v_fma_mix_f32 v4, v74, v10, v4 op_sel_hi:[0,1,0]
	s_waitcnt vmcnt(8)
	v_fma_mix_f32 v4, v75, v11, v4 op_sel_hi:[0,1,0]
	s_waitcnt vmcnt(7)
	v_fma_mix_f32 v4, v76, v12, v4 op_sel_hi:[0,1,0]
	s_waitcnt vmcnt(6)
	v_fma_mix_f32 v4, v77, v13, v4 op_sel_hi:[0,1,0]
	s_waitcnt vmcnt(5)
	v_fma_mix_f32 v4, v78, v14, v4 op_sel_hi:[0,1,0]
	s_waitcnt vmcnt(4)
	v_fma_mix_f32 v4, v79, v15, v4 op_sel_hi:[0,1,0]
	s_waitcnt vmcnt(3)
	v_fma_mix_f32 v4, v80, v16, v4 op_sel_hi:[0,1,0]
	s_waitcnt vmcnt(2)
	v_fma_mix_f32 v4, v81, v17, v4 op_sel_hi:[0,1,0]
	s_waitcnt vmcnt(1)
	v_fma_mix_f32 v4, v82, v18, v4 op_sel_hi:[0,1,0]
	s_waitcnt vmcnt(0)
	v_fma_mix_f32 v4, v83, v19, v4 op_sel_hi:[0,1,0]
	s_cbranch_vccz .LBB128_15
; %bb.13:
	ds_read_b128 v[6:9], v3 offset:64
	ds_read_b128 v[10:13], v3 offset:80
	;; [unrolled: 1-line block ×4, first 2 shown]
	s_cmpk_lt_u32 s54, 0x2001
	s_waitcnt lgkmcnt(3)
	v_fma_mix_f32 v3, v6, v27, v4 op_sel_hi:[0,1,0]
	v_fma_mix_f32 v3, v7, v26, v3 op_sel_hi:[0,1,0]
	v_fma_mix_f32 v3, v8, v25, v3 op_sel_hi:[0,1,0]
	v_fma_mix_f32 v3, v9, v24, v3 op_sel_hi:[0,1,0]
	s_waitcnt lgkmcnt(2)
	v_fma_mix_f32 v3, v10, v23, v3 op_sel_hi:[0,1,0]
	v_fma_mix_f32 v3, v11, v22, v3 op_sel_hi:[0,1,0]
	v_fma_mix_f32 v3, v12, v20, v3 op_sel_hi:[0,1,0]
	v_fma_mix_f32 v3, v13, v21, v3 op_sel_hi:[0,1,0]
	;; [unrolled: 5-line block ×4, first 2 shown]
	s_cbranch_scc1 .LBB128_15
; %bb.14:
	v_mov_b32_e32 v3, 0
	ds_read_b128 v[6:9], v3 offset:128
	ds_read_b128 v[10:13], v3 offset:144
	;; [unrolled: 1-line block ×4, first 2 shown]
	s_waitcnt lgkmcnt(3)
	v_fmac_f32_e32 v4, v6, v67
	v_fmac_f32_e32 v4, v7, v66
	v_fmac_f32_e32 v4, v8, v65
	v_fmac_f32_e32 v4, v9, v64
	s_waitcnt lgkmcnt(2)
	v_fmac_f32_e32 v4, v10, v63
	v_fmac_f32_e32 v4, v11, v62
	v_fmac_f32_e32 v4, v12, v61
	v_fmac_f32_e32 v4, v13, v60
	;; [unrolled: 5-line block ×3, first 2 shown]
	ds_read_b128 v[6:9], v3 offset:192
	ds_read_b128 v[10:13], v3 offset:208
	s_waitcnt lgkmcnt(2)
	v_fmac_f32_e32 v4, v18, v55
	v_fmac_f32_e32 v4, v19, v54
	;; [unrolled: 1-line block ×4, first 2 shown]
	s_waitcnt lgkmcnt(1)
	v_fmac_f32_e32 v4, v6, v51
	v_fmac_f32_e32 v4, v7, v50
	;; [unrolled: 1-line block ×4, first 2 shown]
	ds_read_b128 v[6:9], v3 offset:224
	s_waitcnt lgkmcnt(1)
	v_fmac_f32_e32 v4, v10, v47
	v_fmac_f32_e32 v4, v11, v46
	;; [unrolled: 1-line block ×4, first 2 shown]
	ds_read_b128 v[10:13], v3 offset:240
	s_waitcnt lgkmcnt(1)
	v_fmac_f32_e32 v4, v6, v43
	v_fmac_f32_e32 v4, v7, v42
	;; [unrolled: 1-line block ×4, first 2 shown]
	s_waitcnt lgkmcnt(0)
	v_fmac_f32_e32 v4, v10, v39
	v_fmac_f32_e32 v4, v11, v38
	;; [unrolled: 1-line block ×4, first 2 shown]
.LBB128_15:
	s_movk_i32 s4, 0x3f80
	s_movk_i32 s5, 0x100
	s_mov_b32 s8, 64
	s_branch .LBB128_17
.LBB128_16:                             ;   in Loop: Header=BB128_17 Depth=1
	s_addk_i32 s4, 0x2000
	s_addk_i32 s5, 0x100
	s_add_i32 s8, s8, 64
	s_cmp_eq_u32 s4, 0x1bf80
	s_cbranch_scc1 .LBB128_19
.LBB128_17:                             ; =>This Inner Loop Header: Depth=1
	s_cmp_le_i32 s33, s8
	s_cbranch_scc1 .LBB128_16
; %bb.18:                               ;   in Loop: Header=BB128_17 Depth=1
	s_add_i32 s9, s4, 0xffffe080
	s_cmp_lt_i32 s9, s10
	s_cselect_b32 s12, s9, s11
	s_ashr_i32 s13, s12, 31
	s_lshl_b64 s[12:13], s[12:13], 1
	s_add_i32 s9, s4, 0xffffe100
	s_cmp_lt_i32 s9, s10
	v_add_co_u32_e32 v12, vcc, s12, v1
	s_cselect_b32 s12, s9, s11
	v_mov_b32_e32 v3, s13
	s_ashr_i32 s13, s12, 31
	s_lshl_b64 s[12:13], s[12:13], 1
	s_add_i32 s9, s4, 0xffffe180
	v_addc_co_u32_e32 v13, vcc, v2, v3, vcc
	s_cmp_lt_i32 s9, s10
	v_add_co_u32_e32 v14, vcc, s12, v1
	s_cselect_b32 s12, s9, s11
	v_mov_b32_e32 v3, s13
	s_ashr_i32 s13, s12, 31
	s_lshl_b64 s[12:13], s[12:13], 1
	s_add_i32 s9, s4, 0xffffe200
	v_addc_co_u32_e32 v15, vcc, v2, v3, vcc
	;; [unrolled: 8-line block ×8, first 2 shown]
	s_cmp_lt_i32 s9, s10
	global_load_ushort v3, v[12:13], off
	global_load_ushort v5, v[14:15], off
	;; [unrolled: 1-line block ×8, first 2 shown]
	v_add_co_u32_e32 v20, vcc, s12, v1
	s_cselect_b32 s12, s9, s11
	v_mov_b32_e32 v12, s13
	s_ashr_i32 s13, s12, 31
	s_lshl_b64 s[12:13], s[12:13], 1
	s_add_i32 s9, s4, 0xffffe580
	v_addc_co_u32_e32 v21, vcc, v2, v12, vcc
	s_cmp_lt_i32 s9, s10
	v_add_co_u32_e32 v22, vcc, s12, v1
	s_cselect_b32 s12, s9, s11
	v_mov_b32_e32 v12, s13
	s_ashr_i32 s13, s12, 31
	s_lshl_b64 s[12:13], s[12:13], 1
	s_add_i32 s9, s4, 0xffffe600
	v_addc_co_u32_e32 v23, vcc, v2, v12, vcc
	s_cmp_lt_i32 s9, s10
	;; [unrolled: 8-line block ×8, first 2 shown]
	global_load_ushort v15, v[20:21], off
	global_load_ushort v16, v[22:23], off
	;; [unrolled: 1-line block ×8, first 2 shown]
	v_add_co_u32_e32 v28, vcc, s12, v1
	s_cselect_b32 s12, s9, s11
	v_mov_b32_e32 v20, s13
	s_ashr_i32 s13, s12, 31
	s_lshl_b64 s[12:13], s[12:13], 1
	s_add_i32 s9, s4, 0xffffe980
	v_addc_co_u32_e32 v29, vcc, v2, v20, vcc
	s_cmp_lt_i32 s9, s10
	v_add_co_u32_e32 v30, vcc, s12, v1
	s_cselect_b32 s12, s9, s11
	v_mov_b32_e32 v20, s13
	s_ashr_i32 s13, s12, 31
	s_lshl_b64 s[12:13], s[12:13], 1
	s_add_i32 s9, s4, 0xffffea00
	v_addc_co_u32_e32 v31, vcc, v2, v20, vcc
	s_cmp_lt_i32 s9, s10
	;; [unrolled: 8-line block ×8, first 2 shown]
	global_load_ushort v23, v[28:29], off
	global_load_ushort v24, v[30:31], off
	global_load_ushort v25, v[32:33], off
	global_load_ushort v26, v[34:35], off
	global_load_ushort v27, v[36:37], off
	global_load_ushort v20, v[38:39], off
	global_load_ushort v21, v[40:41], off
	global_load_ushort v22, v[42:43], off
	v_add_co_u32_e32 v36, vcc, s12, v1
	s_cselect_b32 s12, s9, s11
	v_mov_b32_e32 v28, s13
	s_ashr_i32 s13, s12, 31
	s_lshl_b64 s[12:13], s[12:13], 1
	s_add_i32 s9, s4, 0xffffed80
	v_addc_co_u32_e32 v37, vcc, v2, v28, vcc
	s_cmp_lt_i32 s9, s10
	v_add_co_u32_e32 v38, vcc, s12, v1
	s_cselect_b32 s12, s9, s11
	v_mov_b32_e32 v28, s13
	s_ashr_i32 s13, s12, 31
	s_lshl_b64 s[12:13], s[12:13], 1
	s_add_i32 s9, s4, 0xffffee00
	v_addc_co_u32_e32 v39, vcc, v2, v28, vcc
	s_cmp_lt_i32 s9, s10
	;; [unrolled: 8-line block ×8, first 2 shown]
	global_load_ushort v31, v[36:37], off
	global_load_ushort v32, v[38:39], off
	;; [unrolled: 1-line block ×8, first 2 shown]
	v_add_co_u32_e32 v36, vcc, s12, v1
	s_cselect_b32 s12, s9, s11
	v_mov_b32_e32 v37, s13
	s_ashr_i32 s13, s12, 31
	s_lshl_b64 s[12:13], s[12:13], 1
	s_add_i32 s9, s4, 0xfffff180
	v_addc_co_u32_e32 v37, vcc, v2, v37, vcc
	s_cmp_lt_i32 s9, s10
	v_add_co_u32_e32 v38, vcc, s12, v1
	s_cselect_b32 s12, s9, s11
	v_mov_b32_e32 v39, s13
	s_ashr_i32 s13, s12, 31
	s_lshl_b64 s[12:13], s[12:13], 1
	s_add_i32 s9, s4, 0xfffff200
	v_addc_co_u32_e32 v39, vcc, v2, v39, vcc
	s_cmp_lt_i32 s9, s10
	;; [unrolled: 8-line block ×8, first 2 shown]
	global_load_ushort v52, v[36:37], off
	global_load_ushort v53, v[38:39], off
	;; [unrolled: 1-line block ×8, first 2 shown]
	v_add_co_u32_e32 v36, vcc, s12, v1
	s_cselect_b32 s12, s9, s11
	v_mov_b32_e32 v37, s13
	s_ashr_i32 s13, s12, 31
	s_lshl_b64 s[12:13], s[12:13], 1
	s_add_i32 s9, s4, 0xfffff580
	v_addc_co_u32_e32 v37, vcc, v2, v37, vcc
	s_cmp_lt_i32 s9, s10
	v_add_co_u32_e32 v38, vcc, s12, v1
	s_cselect_b32 s12, s9, s11
	v_mov_b32_e32 v39, s13
	s_ashr_i32 s13, s12, 31
	s_lshl_b64 s[12:13], s[12:13], 1
	s_add_i32 s9, s4, 0xfffff600
	v_addc_co_u32_e32 v39, vcc, v2, v39, vcc
	s_cmp_lt_i32 s9, s10
	;; [unrolled: 8-line block ×8, first 2 shown]
	global_load_ushort v60, v[36:37], off
	global_load_ushort v61, v[38:39], off
	;; [unrolled: 1-line block ×8, first 2 shown]
	v_add_co_u32_e32 v36, vcc, s12, v1
	s_cselect_b32 s12, s9, s11
	v_mov_b32_e32 v37, s13
	s_ashr_i32 s13, s12, 31
	s_lshl_b64 s[12:13], s[12:13], 1
	s_add_i32 s9, s4, 0xfffff980
	v_addc_co_u32_e32 v37, vcc, v2, v37, vcc
	s_cmp_lt_i32 s9, s10
	v_add_co_u32_e32 v38, vcc, s12, v1
	s_cselect_b32 s12, s9, s11
	v_mov_b32_e32 v39, s13
	s_ashr_i32 s13, s12, 31
	s_lshl_b64 s[12:13], s[12:13], 1
	s_add_i32 s9, s4, 0xfffffa00
	v_addc_co_u32_e32 v39, vcc, v2, v39, vcc
	s_cmp_lt_i32 s9, s10
	;; [unrolled: 8-line block ×8, first 2 shown]
	global_load_ushort v68, v[36:37], off
	global_load_ushort v69, v[38:39], off
	;; [unrolled: 1-line block ×8, first 2 shown]
	v_add_co_u32_e32 v36, vcc, s12, v1
	s_cselect_b32 s12, s9, s11
	v_mov_b32_e32 v37, s13
	s_ashr_i32 s13, s12, 31
	s_lshl_b64 s[12:13], s[12:13], 1
	s_add_i32 s9, s4, 0xfffffd80
	v_addc_co_u32_e32 v37, vcc, v2, v37, vcc
	s_cmp_lt_i32 s9, s10
	v_add_co_u32_e32 v38, vcc, s12, v1
	s_cselect_b32 s12, s9, s11
	v_mov_b32_e32 v39, s13
	s_ashr_i32 s13, s12, 31
	s_lshl_b64 s[12:13], s[12:13], 1
	s_add_i32 s9, s4, 0xfffffe00
	v_addc_co_u32_e32 v39, vcc, v2, v39, vcc
	s_cmp_lt_i32 s9, s10
	;; [unrolled: 8-line block ×5, first 2 shown]
	v_add_co_u32_e32 v46, vcc, s12, v1
	s_cselect_b32 s12, s9, s11
	v_mov_b32_e32 v47, s13
	s_ashr_i32 s13, s12, 31
	s_lshl_b64 s[12:13], s[12:13], 1
	v_addc_co_u32_e32 v47, vcc, v2, v47, vcc
	s_cmp_lt_i32 s4, s10
	v_add_co_u32_e32 v48, vcc, s12, v1
	s_cselect_b32 s12, s4, s11
	v_mov_b32_e32 v49, s13
	s_ashr_i32 s13, s12, 31
	v_addc_co_u32_e32 v49, vcc, v2, v49, vcc
	s_lshl_b64 s[12:13], s[12:13], 1
	v_mov_b32_e32 v51, s13
	v_add_co_u32_e32 v50, vcc, s12, v1
	v_addc_co_u32_e32 v51, vcc, v2, v51, vcc
	global_load_ushort v76, v[36:37], off
	global_load_ushort v77, v[38:39], off
	;; [unrolled: 1-line block ×8, first 2 shown]
	v_mov_b32_e32 v84, s5
	ds_read_b128 v[36:39], v84
	ds_read_b128 v[40:43], v84 offset:16
	ds_read_b128 v[44:47], v84 offset:32
	;; [unrolled: 1-line block ×3, first 2 shown]
	s_waitcnt vmcnt(62) lgkmcnt(3)
	v_fma_mix_f32 v3, v36, v3, v4 op_sel_hi:[0,1,0]
	v_fma_mix_f32 v3, v37, v5, v3 op_sel_hi:[0,1,0]
	s_waitcnt vmcnt(61)
	v_fma_mix_f32 v3, v38, v6, v3 op_sel_hi:[0,1,0]
	s_waitcnt vmcnt(60)
	v_fma_mix_f32 v3, v39, v7, v3 op_sel_hi:[0,1,0]
	s_waitcnt vmcnt(59) lgkmcnt(2)
	v_fma_mix_f32 v3, v40, v8, v3 op_sel_hi:[0,1,0]
	s_waitcnt vmcnt(58)
	v_fma_mix_f32 v3, v41, v9, v3 op_sel_hi:[0,1,0]
	s_waitcnt vmcnt(57)
	;; [unrolled: 2-line block ×3, first 2 shown]
	v_fma_mix_f32 v3, v43, v11, v3 op_sel_hi:[0,1,0]
	s_waitcnt vmcnt(55) lgkmcnt(1)
	v_fma_mix_f32 v3, v44, v15, v3 op_sel_hi:[0,1,0]
	s_waitcnt vmcnt(54)
	v_fma_mix_f32 v3, v45, v16, v3 op_sel_hi:[0,1,0]
	s_waitcnt vmcnt(53)
	;; [unrolled: 2-line block ×3, first 2 shown]
	v_fma_mix_f32 v3, v47, v18, v3 op_sel_hi:[0,1,0]
	ds_read_b128 v[4:7], v84 offset:64
	ds_read_b128 v[8:11], v84 offset:80
	s_waitcnt vmcnt(51) lgkmcnt(2)
	v_fma_mix_f32 v3, v48, v19, v3 op_sel_hi:[0,1,0]
	s_waitcnt vmcnt(50)
	v_fma_mix_f32 v3, v49, v12, v3 op_sel_hi:[0,1,0]
	s_waitcnt vmcnt(49)
	;; [unrolled: 2-line block ×3, first 2 shown]
	v_fma_mix_f32 v3, v51, v14, v3 op_sel_hi:[0,1,0]
	s_waitcnt vmcnt(47) lgkmcnt(1)
	v_fma_mix_f32 v3, v4, v23, v3 op_sel_hi:[0,1,0]
	s_waitcnt vmcnt(46)
	v_fma_mix_f32 v3, v5, v24, v3 op_sel_hi:[0,1,0]
	s_waitcnt vmcnt(45)
	v_fma_mix_f32 v3, v6, v25, v3 op_sel_hi:[0,1,0]
	s_waitcnt vmcnt(44)
	v_fma_mix_f32 v3, v7, v26, v3 op_sel_hi:[0,1,0]
	ds_read_b128 v[4:7], v84 offset:96
	s_waitcnt vmcnt(43) lgkmcnt(1)
	v_fma_mix_f32 v3, v8, v27, v3 op_sel_hi:[0,1,0]
	s_waitcnt vmcnt(42)
	v_fma_mix_f32 v3, v9, v20, v3 op_sel_hi:[0,1,0]
	s_waitcnt vmcnt(41)
	v_fma_mix_f32 v3, v10, v21, v3 op_sel_hi:[0,1,0]
	s_waitcnt vmcnt(40)
	v_fma_mix_f32 v3, v11, v22, v3 op_sel_hi:[0,1,0]
	ds_read_b128 v[8:11], v84 offset:112
	;; [unrolled: 9-line block ×10, first 2 shown]
	s_waitcnt vmcnt(7) lgkmcnt(1)
	v_fma_mix_f32 v3, v4, v76, v3 op_sel_hi:[0,1,0]
	s_waitcnt vmcnt(6)
	v_fma_mix_f32 v3, v5, v77, v3 op_sel_hi:[0,1,0]
	s_waitcnt vmcnt(5)
	;; [unrolled: 2-line block ×3, first 2 shown]
	v_fma_mix_f32 v3, v7, v79, v3 op_sel_hi:[0,1,0]
	s_waitcnt vmcnt(3) lgkmcnt(0)
	v_fma_mix_f32 v3, v8, v80, v3 op_sel_hi:[0,1,0]
	s_waitcnt vmcnt(2)
	v_fma_mix_f32 v3, v9, v81, v3 op_sel_hi:[0,1,0]
	s_waitcnt vmcnt(1)
	;; [unrolled: 2-line block ×3, first 2 shown]
	v_fma_mix_f32 v4, v11, v83, v3 op_sel_hi:[0,1,0]
	s_branch .LBB128_16
.LBB128_19:
	v_mov_b32_e32 v1, 0
	ds_read_b32 v2, v1 offset:3328
	s_cmp_lg_u64 s[2:3], 0
	s_cbranch_scc0 .LBB128_24
; %bb.20:
	s_load_dword s4, s[2:3], 0x0
	s_waitcnt lgkmcnt(0)
	v_div_scale_f32 v1, s[2:3], s4, s4, 1.0
	v_rcp_f32_e32 v3, v1
	v_div_scale_f32 v5, vcc, 1.0, s4, 1.0
	v_fma_f32 v6, -v1, v3, 1.0
	v_fmac_f32_e32 v3, v6, v3
	v_mul_f32_e32 v6, v5, v3
	v_fma_f32 v7, -v1, v6, v5
	v_fmac_f32_e32 v6, v7, v3
	v_fma_f32 v1, -v1, v6, v5
	v_div_fmas_f32 v1, v1, v3, v6
	v_div_fixup_f32 v1, v1, s4, 1.0
	s_andn2_b64 vcc, exec, s[44:45]
	s_cbranch_vccnz .LBB128_22
.LBB128_21:
	s_add_u32 s2, s34, s46
	s_addc_u32 s3, s35, s47
	s_load_dword s30, s[2:3], 0x0
	s_mov_b32 s31, 0
.LBB128_22:
	s_waitcnt lgkmcnt(0)
	v_add_f32_e32 v2, 0x358637bd, v2
	v_div_scale_f32 v3, s[2:3], v2, v2, 1.0
	v_rcp_f32_e32 v5, v3
	v_div_scale_f32 v6, vcc, 1.0, v2, 1.0
	s_mul_i32 s2, s7, s31
	v_fma_f32 v7, -v3, v5, 1.0
	v_fmac_f32_e32 v5, v7, v5
	v_mul_f32_e32 v7, v6, v5
	v_fma_f32 v8, -v3, v7, v6
	s_mul_hi_u32 s3, s7, s30
	v_fmac_f32_e32 v7, v8, v5
	s_add_i32 s3, s3, s2
	s_mul_i32 s2, s7, s30
	v_fma_f32 v3, -v3, v7, v6
	s_lshl_b64 s[2:3], s[2:3], 8
	v_div_fmas_f32 v3, v3, v5, v7
	s_add_u32 s2, s0, s2
	s_mov_b32 s7, 0
	v_div_fixup_f32 v2, v3, v2, 1.0
	s_addc_u32 s3, s1, s3
	s_lshl_b64 s[0:1], s[6:7], 8
	v_mul_f32_e32 v2, v4, v2
	s_add_u32 s0, s2, s0
	s_addc_u32 s1, s3, s1
	v_fma_mixlo_f16 v1, v2, v1, 0
	global_store_short v0, v1, s[0:1]
	s_endpgm
.LBB128_23:
	s_mov_b64 s[2:3], 0
	s_branch .LBB128_2
.LBB128_24:
	v_mov_b32_e32 v1, 1.0
	s_andn2_b64 vcc, exec, s[44:45]
	s_cbranch_vccz .LBB128_21
	s_branch .LBB128_22
	.section	.rodata,"a",@progbits
	.p2align	6, 0x0
	.amdhsa_kernel _Z35paged_attention_ll4mi_reduce_kernelIDF16_DF16_Li128ELi128ELi256ELi13EEvPT0_PKfS3_PKT_PKiS8_iS3_
		.amdhsa_group_segment_fixed_size 3332
		.amdhsa_private_segment_fixed_size 0
		.amdhsa_kernarg_size 320
		.amdhsa_user_sgpr_count 6
		.amdhsa_user_sgpr_private_segment_buffer 1
		.amdhsa_user_sgpr_dispatch_ptr 0
		.amdhsa_user_sgpr_queue_ptr 0
		.amdhsa_user_sgpr_kernarg_segment_ptr 1
		.amdhsa_user_sgpr_dispatch_id 0
		.amdhsa_user_sgpr_flat_scratch_init 0
		.amdhsa_user_sgpr_kernarg_preload_length 0
		.amdhsa_user_sgpr_kernarg_preload_offset 0
		.amdhsa_user_sgpr_private_segment_size 0
		.amdhsa_uses_dynamic_stack 0
		.amdhsa_system_sgpr_private_segment_wavefront_offset 0
		.amdhsa_system_sgpr_workgroup_id_x 1
		.amdhsa_system_sgpr_workgroup_id_y 1
		.amdhsa_system_sgpr_workgroup_id_z 0
		.amdhsa_system_sgpr_workgroup_info 0
		.amdhsa_system_vgpr_workitem_id 0
		.amdhsa_next_free_vgpr 92
		.amdhsa_next_free_sgpr 55
		.amdhsa_accum_offset 92
		.amdhsa_reserve_vcc 1
		.amdhsa_reserve_flat_scratch 0
		.amdhsa_float_round_mode_32 0
		.amdhsa_float_round_mode_16_64 0
		.amdhsa_float_denorm_mode_32 3
		.amdhsa_float_denorm_mode_16_64 3
		.amdhsa_dx10_clamp 1
		.amdhsa_ieee_mode 1
		.amdhsa_fp16_overflow 0
		.amdhsa_tg_split 0
		.amdhsa_exception_fp_ieee_invalid_op 0
		.amdhsa_exception_fp_denorm_src 0
		.amdhsa_exception_fp_ieee_div_zero 0
		.amdhsa_exception_fp_ieee_overflow 0
		.amdhsa_exception_fp_ieee_underflow 0
		.amdhsa_exception_fp_ieee_inexact 0
		.amdhsa_exception_int_div_zero 0
	.end_amdhsa_kernel
	.section	.text._Z35paged_attention_ll4mi_reduce_kernelIDF16_DF16_Li128ELi128ELi256ELi13EEvPT0_PKfS3_PKT_PKiS8_iS3_,"axG",@progbits,_Z35paged_attention_ll4mi_reduce_kernelIDF16_DF16_Li128ELi128ELi256ELi13EEvPT0_PKfS3_PKT_PKiS8_iS3_,comdat
.Lfunc_end128:
	.size	_Z35paged_attention_ll4mi_reduce_kernelIDF16_DF16_Li128ELi128ELi256ELi13EEvPT0_PKfS3_PKT_PKiS8_iS3_, .Lfunc_end128-_Z35paged_attention_ll4mi_reduce_kernelIDF16_DF16_Li128ELi128ELi256ELi13EEvPT0_PKfS3_PKT_PKiS8_iS3_
                                        ; -- End function
	.section	.AMDGPU.csdata,"",@progbits
; Kernel info:
; codeLenInByte = 11384
; NumSgprs: 59
; NumVgprs: 92
; NumAgprs: 0
; TotalNumVgprs: 92
; ScratchSize: 0
; MemoryBound: 0
; FloatMode: 240
; IeeeMode: 1
; LDSByteSize: 3332 bytes/workgroup (compile time only)
; SGPRBlocks: 7
; VGPRBlocks: 11
; NumSGPRsForWavesPerEU: 59
; NumVGPRsForWavesPerEU: 92
; AccumOffset: 92
; Occupancy: 5
; WaveLimiterHint : 1
; COMPUTE_PGM_RSRC2:SCRATCH_EN: 0
; COMPUTE_PGM_RSRC2:USER_SGPR: 6
; COMPUTE_PGM_RSRC2:TRAP_HANDLER: 0
; COMPUTE_PGM_RSRC2:TGID_X_EN: 1
; COMPUTE_PGM_RSRC2:TGID_Y_EN: 1
; COMPUTE_PGM_RSRC2:TGID_Z_EN: 0
; COMPUTE_PGM_RSRC2:TIDIG_COMP_CNT: 0
; COMPUTE_PGM_RSRC3_GFX90A:ACCUM_OFFSET: 22
; COMPUTE_PGM_RSRC3_GFX90A:TG_SPLIT: 0
	.section	.text._Z35paged_attention_ll4mi_reduce_kernelIDF16_DF16_Li128ELi128ELi256ELi14EEvPT0_PKfS3_PKT_PKiS8_iS3_,"axG",@progbits,_Z35paged_attention_ll4mi_reduce_kernelIDF16_DF16_Li128ELi128ELi256ELi14EEvPT0_PKfS3_PKT_PKiS8_iS3_,comdat
	.protected	_Z35paged_attention_ll4mi_reduce_kernelIDF16_DF16_Li128ELi128ELi256ELi14EEvPT0_PKfS3_PKT_PKiS8_iS3_ ; -- Begin function _Z35paged_attention_ll4mi_reduce_kernelIDF16_DF16_Li128ELi128ELi256ELi14EEvPT0_PKfS3_PKT_PKiS8_iS3_
	.globl	_Z35paged_attention_ll4mi_reduce_kernelIDF16_DF16_Li128ELi128ELi256ELi14EEvPT0_PKfS3_PKT_PKiS8_iS3_
	.p2align	8
	.type	_Z35paged_attention_ll4mi_reduce_kernelIDF16_DF16_Li128ELi128ELi256ELi14EEvPT0_PKfS3_PKT_PKiS8_iS3_,@function
_Z35paged_attention_ll4mi_reduce_kernelIDF16_DF16_Li128ELi128ELi256ELi14EEvPT0_PKfS3_PKT_PKiS8_iS3_: ; @_Z35paged_attention_ll4mi_reduce_kernelIDF16_DF16_Li128ELi128ELi256ELi14EEvPT0_PKfS3_PKT_PKiS8_iS3_
; %bb.0:
	s_load_dwordx2 s[44:45], s[4:5], 0x28
	s_mov_b32 s34, s7
	s_mov_b64 s[0:1], 0
	s_waitcnt lgkmcnt(0)
	s_cmp_lg_u64 s[44:45], 0
	s_cselect_b64 s[46:47], -1, 0
	s_and_b64 vcc, exec, s[46:47]
	s_cbranch_vccz .LBB129_23
; %bb.1:
	s_add_i32 s2, s34, 1
	s_mov_b32 s3, 0
	s_lshl_b64 s[8:9], s[2:3], 2
	s_add_u32 s8, s44, s8
	s_mov_b32 s35, s3
	s_addc_u32 s9, s45, s9
	s_lshl_b64 s[2:3], s[34:35], 2
	s_add_u32 s2, s44, s2
	s_addc_u32 s3, s45, s3
	s_load_dword s7, s[8:9], 0x0
	s_load_dword s10, s[2:3], 0x0
	s_waitcnt lgkmcnt(0)
	s_sub_i32 s2, s7, s10
	s_cmp_eq_u32 s2, 1
	s_cselect_b64 s[2:3], -1, 0
	s_andn2_b64 vcc, exec, s[0:1]
	s_cbranch_vccnz .LBB129_3
.LBB129_2:
	s_mov_b32 s35, 0
	s_mov_b64 s[2:3], -1
.LBB129_3:
	s_andn2_b64 vcc, exec, s[2:3]
	s_cbranch_vccz .LBB129_5
; %bb.4:
	s_endpgm
.LBB129_5:
	s_load_dwordx4 s[36:39], s[4:5], 0x18
	s_load_dword s8, s[4:5], 0x30
	s_lshl_b64 s[48:49], s[34:35], 2
	v_cmp_lt_u32_e32 vcc, 63, v0
	s_waitcnt lgkmcnt(0)
	s_add_u32 s0, s38, s48
	s_addc_u32 s1, s39, s49
	s_load_dword s56, s[0:1], 0x0
	s_load_dword s7, s[4:5], 0x40
	s_mul_i32 s38, s6, s8
	s_mul_i32 s2, s34, s8
	s_waitcnt lgkmcnt(0)
	s_add_i32 s3, s56, 0xff
	s_ashr_i32 s0, s3, 31
	s_lshr_b32 s0, s0, 24
	s_add_i32 s3, s3, s0
	s_and_saveexec_b64 s[0:1], vcc
	s_xor_b64 s[0:1], exec, s[0:1]
	s_or_saveexec_b64 s[50:51], s[0:1]
	s_ashr_i32 s33, s3, 8
	v_mov_b32_e32 v1, s38
	s_mul_i32 s52, s2, s7
	s_xor_b64 exec, exec, s[50:51]
	s_cbranch_execz .LBB129_9
; %bb.6:
	s_add_i32 s0, s33, -1
	v_or_b32_e32 v3, 64, v0
	v_mov_b32_e32 v1, s0
	v_cmp_gt_u32_e64 s[26:27], s33, v3
	v_cndmask_b32_e64 v4, v1, v3, s[26:27]
	v_or_b32_e32 v3, 0x80, v0
	v_cmp_gt_u32_e64 s[24:25], s33, v3
	v_cndmask_b32_e64 v6, v1, v3, s[24:25]
	v_or_b32_e32 v3, 0xc0, v0
	;; [unrolled: 3-line block ×9, first 2 shown]
	s_load_dwordx4 s[40:43], s[4:5], 0x8
	v_cmp_gt_u32_e64 s[8:9], s33, v3
	v_cndmask_b32_e64 v22, v1, v3, s[8:9]
	v_or_b32_e32 v3, 0x2c0, v0
	v_cmp_gt_u32_e64 s[2:3], s33, v3
	s_mov_b32 s53, 0
	v_cndmask_b32_e64 v24, v1, v3, s[2:3]
	v_or_b32_e32 v3, 0x300, v0
	v_cmp_gt_u32_e64 s[0:1], s33, v3
	s_lshl_b64 s[54:55], s[52:53], 2
	s_mov_b32 s39, s53
	v_cmp_gt_u32_e64 s[28:29], s33, v0
	v_cndmask_b32_e64 v26, v1, v3, s[0:1]
	v_or_b32_e32 v3, 0x340, v0
	s_waitcnt lgkmcnt(0)
	s_add_u32 s30, s42, s54
	v_cndmask_b32_e64 v2, v1, v0, s[28:29]
	v_cmp_gt_u32_e32 vcc, s33, v3
	s_addc_u32 s31, s43, s55
	s_lshl_b64 s[42:43], s[38:39], 2
	v_cndmask_b32_e32 v28, v1, v3, vcc
	s_add_u32 s39, s30, s42
	v_ashrrev_i32_e32 v3, 31, v2
	s_addc_u32 s53, s31, s43
	v_lshlrev_b64 v[2:3], 2, v[2:3]
	v_mov_b32_e32 v1, s53
	v_add_co_u32_e64 v30, s[30:31], s39, v2
	v_ashrrev_i32_e32 v5, 31, v4
	v_addc_co_u32_e64 v31, s[30:31], v1, v3, s[30:31]
	v_lshlrev_b64 v[4:5], 2, v[4:5]
	v_add_co_u32_e64 v32, s[30:31], s39, v4
	v_ashrrev_i32_e32 v7, 31, v6
	v_addc_co_u32_e64 v33, s[30:31], v1, v5, s[30:31]
	v_lshlrev_b64 v[6:7], 2, v[6:7]
	;; [unrolled: 4-line block ×8, first 2 shown]
	global_load_dword v1, v[30:31], off
	global_load_dword v46, v[32:33], off
	;; [unrolled: 1-line block ×6, first 2 shown]
	s_nop 0
	global_load_dword v42, v[42:43], off
	s_nop 0
	global_load_dword v43, v[44:45], off
	v_mov_b32_e32 v21, s53
	v_add_co_u32_e64 v30, s[30:31], s39, v18
	v_addc_co_u32_e64 v31, s[30:31], v21, v19, s[30:31]
	v_ashrrev_i32_e32 v21, 31, v20
	v_lshlrev_b64 v[20:21], 2, v[20:21]
	v_mov_b32_e32 v23, s53
	v_add_co_u32_e64 v32, s[30:31], s39, v20
	v_addc_co_u32_e64 v33, s[30:31], v23, v21, s[30:31]
	v_ashrrev_i32_e32 v23, 31, v22
	v_lshlrev_b64 v[22:23], 2, v[22:23]
	v_mov_b32_e32 v25, s53
	v_add_co_u32_e64 v34, s[30:31], s39, v22
	v_addc_co_u32_e64 v35, s[30:31], v25, v23, s[30:31]
	v_ashrrev_i32_e32 v25, 31, v24
	v_lshlrev_b64 v[24:25], 2, v[24:25]
	v_mov_b32_e32 v27, s53
	v_add_co_u32_e64 v36, s[30:31], s39, v24
	v_addc_co_u32_e64 v37, s[30:31], v27, v25, s[30:31]
	v_ashrrev_i32_e32 v27, 31, v26
	v_lshlrev_b64 v[26:27], 2, v[26:27]
	v_mov_b32_e32 v29, s53
	v_add_co_u32_e64 v38, s[30:31], s39, v26
	v_addc_co_u32_e64 v39, s[30:31], v29, v27, s[30:31]
	v_ashrrev_i32_e32 v29, 31, v28
	v_lshlrev_b64 v[28:29], 2, v[28:29]
	v_mov_b32_e32 v41, s53
	v_add_co_u32_e64 v40, s[30:31], s39, v28
	v_addc_co_u32_e64 v41, s[30:31], v41, v29, s[30:31]
	global_load_dword v30, v[30:31], off
	s_nop 0
	global_load_dword v31, v[32:33], off
	s_nop 0
	global_load_dword v32, v[34:35], off
	global_load_dword v33, v[36:37], off
	s_nop 0
	global_load_dword v34, v[38:39], off
	global_load_dword v35, v[40:41], off
	s_waitcnt vmcnt(13)
	v_max_f32_e32 v37, v1, v1
	s_waitcnt vmcnt(12)
	v_max_f32_e32 v36, v46, v46
	v_max_f32_e32 v36, v37, v36
	v_mbcnt_lo_u32_b32 v37, -1, 0
	s_waitcnt vmcnt(10)
	v_max3_f32 v36, v36, v47, v48
	v_mbcnt_hi_u32_b32 v37, -1, v37
	s_waitcnt vmcnt(8)
	v_max3_f32 v36, v36, v49, v50
	v_and_b32_e32 v38, 64, v37
	s_waitcnt vmcnt(6)
	v_max3_f32 v36, v36, v42, v43
	v_add_u32_e32 v38, 64, v38
	v_xor_b32_e32 v39, 32, v37
	v_cmp_lt_i32_e64 s[30:31], v39, v38
	v_cndmask_b32_e64 v39, v37, v39, s[30:31]
	v_lshlrev_b32_e32 v39, 2, v39
	s_waitcnt vmcnt(4)
	v_max3_f32 v36, v36, v30, v31
	s_waitcnt vmcnt(2)
	v_max3_f32 v36, v36, v32, v33
	;; [unrolled: 2-line block ×3, first 2 shown]
	ds_bpermute_b32 v40, v39, v36
	s_waitcnt lgkmcnt(0)
	v_max_f32_e32 v40, v40, v40
	v_max_f32_e32 v36, v36, v40
	v_xor_b32_e32 v40, 16, v37
	v_cmp_lt_i32_e64 s[30:31], v40, v38
	v_cndmask_b32_e64 v40, v37, v40, s[30:31]
	v_lshlrev_b32_e32 v40, 2, v40
	ds_bpermute_b32 v41, v40, v36
	s_waitcnt lgkmcnt(0)
	v_max_f32_e32 v41, v41, v41
	v_max_f32_e32 v36, v36, v41
	v_xor_b32_e32 v41, 8, v37
	v_cmp_lt_i32_e64 s[30:31], v41, v38
	v_cndmask_b32_e64 v41, v37, v41, s[30:31]
	v_lshlrev_b32_e32 v41, 2, v41
	;; [unrolled: 8-line block ×4, first 2 shown]
	ds_bpermute_b32 v51, v45, v36
	s_waitcnt lgkmcnt(0)
	v_max_f32_e32 v51, v51, v51
	v_max_f32_e32 v36, v36, v51
	v_xor_b32_e32 v51, 1, v37
	v_cmp_lt_i32_e64 s[30:31], v51, v38
	v_cndmask_b32_e64 v37, v37, v51, s[30:31]
	s_add_u32 s30, s40, s54
	s_addc_u32 s31, s41, s55
	s_add_u32 s39, s30, s42
	s_addc_u32 s40, s31, s43
	v_mov_b32_e32 v51, s40
	v_add_co_u32_e64 v2, s[30:31], s39, v2
	v_addc_co_u32_e64 v3, s[30:31], v51, v3, s[30:31]
	global_load_dword v51, v[2:3], off
	v_mov_b32_e32 v3, s40
	v_add_co_u32_e64 v2, s[30:31], s39, v4
	v_addc_co_u32_e64 v3, s[30:31], v3, v5, s[30:31]
	v_mov_b32_e32 v5, s40
	v_add_co_u32_e64 v4, s[30:31], s39, v6
	v_addc_co_u32_e64 v5, s[30:31], v5, v7, s[30:31]
	;; [unrolled: 3-line block ×7, first 2 shown]
	global_load_dword v16, v[2:3], off
	global_load_dword v17, v[4:5], off
	;; [unrolled: 1-line block ×6, first 2 shown]
	s_nop 0
	global_load_dword v14, v[14:15], off
	v_mov_b32_e32 v3, s40
	v_add_co_u32_e64 v2, s[30:31], s39, v18
	v_lshlrev_b32_e32 v37, 2, v37
	v_addc_co_u32_e64 v3, s[30:31], v3, v19, s[30:31]
	ds_bpermute_b32 v38, v37, v36
	v_mov_b32_e32 v5, s40
	v_add_co_u32_e64 v4, s[30:31], s39, v20
	v_addc_co_u32_e64 v5, s[30:31], v5, v21, s[30:31]
	v_mov_b32_e32 v7, s40
	v_add_co_u32_e64 v6, s[30:31], s39, v22
	v_addc_co_u32_e64 v7, s[30:31], v7, v23, s[30:31]
	;; [unrolled: 3-line block ×3, first 2 shown]
	s_waitcnt lgkmcnt(0)
	v_max_f32_e32 v15, v38, v38
	v_mov_b32_e32 v11, s40
	v_add_co_u32_e64 v10, s[30:31], s39, v26
	v_max_f32_e32 v15, v36, v15
	v_addc_co_u32_e64 v11, s[30:31], v11, v27, s[30:31]
	v_sub_f32_e32 v1, v1, v15
	v_mov_b32_e32 v13, s40
	v_add_co_u32_e64 v12, s[30:31], s39, v28
	s_mov_b32 s39, 0x3fb8aa3b
	v_mul_f32_e32 v18, 0x3fb8aa3b, v1
	v_addc_co_u32_e64 v13, s[30:31], v13, v29, s[30:31]
	v_fma_f32 v19, v1, s39, -v18
	v_rndne_f32_e32 v20, v18
	global_load_dword v2, v[2:3], off
	s_nop 0
	global_load_dword v3, v[4:5], off
	s_nop 0
	global_load_dword v4, v[6:7], off
	global_load_dword v5, v[8:9], off
	s_nop 0
	global_load_dword v6, v[10:11], off
	global_load_dword v7, v[12:13], off
	v_sub_f32_e32 v10, v46, v15
	v_fmac_f32_e32 v19, 0x32a5705f, v1
	v_sub_f32_e32 v18, v18, v20
	v_mul_f32_e32 v11, 0x3fb8aa3b, v10
	v_add_f32_e32 v18, v18, v19
	v_fma_f32 v12, v10, s39, -v11
	v_rndne_f32_e32 v13, v11
	v_exp_f32_e32 v18, v18
	v_cvt_i32_f32_e32 v19, v20
	v_fmac_f32_e32 v12, 0x32a5705f, v10
	v_sub_f32_e32 v11, v11, v13
	v_add_f32_e32 v11, v11, v12
	v_exp_f32_e32 v11, v11
	v_cvt_i32_f32_e32 v12, v13
	s_mov_b32 s40, 0xc2ce8ed0
	v_ldexp_f32 v8, v18, v19
	v_cmp_ngt_f32_e64 s[30:31], s40, v1
	s_mov_b32 s41, 0x42b17218
	v_cndmask_b32_e64 v8, 0, v8, s[30:31]
	v_mov_b32_e32 v9, 0x7f800000
	v_cmp_nlt_f32_e64 s[30:31], s41, v1
	v_cndmask_b32_e64 v1, v9, v8, s[30:31]
	v_ldexp_f32 v8, v11, v12
	v_sub_f32_e32 v11, v47, v15
	v_mul_f32_e32 v12, 0x3fb8aa3b, v11
	v_fma_f32 v13, v11, s39, -v12
	v_rndne_f32_e32 v18, v12
	v_fmac_f32_e32 v13, 0x32a5705f, v11
	v_sub_f32_e32 v12, v12, v18
	v_add_f32_e32 v12, v12, v13
	v_exp_f32_e32 v12, v12
	v_cvt_i32_f32_e32 v13, v18
	v_cndmask_b32_e64 v1, 0, v1, s[28:29]
	v_cmp_ngt_f32_e64 s[28:29], s40, v10
	v_cndmask_b32_e64 v8, 0, v8, s[28:29]
	v_cmp_nlt_f32_e64 s[28:29], s41, v10
	v_cndmask_b32_e64 v8, v9, v8, s[28:29]
	v_ldexp_f32 v10, v12, v13
	v_sub_f32_e32 v12, v48, v15
	v_cndmask_b32_e64 v8, 0, v8, s[26:27]
	v_mul_f32_e32 v13, 0x3fb8aa3b, v12
	s_waitcnt vmcnt(12)
	v_mul_f32_e32 v8, v16, v8
	v_fma_f32 v16, v12, s39, -v13
	v_rndne_f32_e32 v18, v13
	v_fmac_f32_e32 v16, 0x32a5705f, v12
	v_sub_f32_e32 v13, v13, v18
	v_add_f32_e32 v13, v13, v16
	v_exp_f32_e32 v13, v13
	v_cvt_i32_f32_e32 v16, v18
	v_cmp_ngt_f32_e64 s[26:27], s40, v11
	v_cndmask_b32_e64 v10, 0, v10, s[26:27]
	v_cmp_nlt_f32_e64 s[26:27], s41, v11
	v_cndmask_b32_e64 v10, v9, v10, s[26:27]
	v_ldexp_f32 v11, v13, v16
	v_sub_f32_e32 v13, v49, v15
	v_cndmask_b32_e64 v10, 0, v10, s[24:25]
	v_mul_f32_e32 v16, 0x3fb8aa3b, v13
	s_waitcnt vmcnt(11)
	v_mul_f32_e32 v10, v17, v10
	v_fma_f32 v17, v13, s39, -v16
	v_rndne_f32_e32 v18, v16
	v_fmac_f32_e32 v17, 0x32a5705f, v13
	v_sub_f32_e32 v16, v16, v18
	v_add_f32_e32 v16, v16, v17
	v_exp_f32_e32 v16, v16
	v_cvt_i32_f32_e32 v17, v18
	v_cmp_ngt_f32_e64 s[24:25], s40, v12
	v_cndmask_b32_e64 v11, 0, v11, s[24:25]
	v_cmp_nlt_f32_e64 s[24:25], s41, v12
	v_ldexp_f32 v12, v16, v17
	v_sub_f32_e32 v16, v50, v15
	v_mul_f32_e32 v17, 0x3fb8aa3b, v16
	v_fma_f32 v18, v16, s39, -v17
	v_rndne_f32_e32 v19, v17
	v_fmac_f32_e32 v18, 0x32a5705f, v16
	v_sub_f32_e32 v17, v17, v19
	v_add_f32_e32 v17, v17, v18
	v_exp_f32_e32 v17, v17
	v_cvt_i32_f32_e32 v18, v19
	v_cndmask_b32_e64 v11, v9, v11, s[24:25]
	v_cndmask_b32_e64 v11, 0, v11, s[22:23]
	v_cmp_ngt_f32_e64 s[22:23], s40, v13
	v_cndmask_b32_e64 v12, 0, v12, s[22:23]
	v_cmp_nlt_f32_e64 s[22:23], s41, v13
	v_ldexp_f32 v13, v17, v18
	v_sub_f32_e32 v17, v42, v15
	v_mul_f32_e32 v18, 0x3fb8aa3b, v17
	v_fma_f32 v19, v17, s39, -v18
	v_rndne_f32_e32 v20, v18
	v_fmac_f32_e32 v19, 0x32a5705f, v17
	v_sub_f32_e32 v18, v18, v20
	v_add_f32_e32 v18, v18, v19
	v_exp_f32_e32 v18, v18
	v_cvt_i32_f32_e32 v19, v20
	v_cndmask_b32_e64 v12, v9, v12, s[22:23]
	v_cndmask_b32_e64 v12, 0, v12, s[20:21]
	;; [unrolled: 15-line block ×3, first 2 shown]
	v_cmp_ngt_f32_e64 s[18:19], s40, v17
	v_cndmask_b32_e64 v16, 0, v16, s[18:19]
	v_cmp_nlt_f32_e64 s[18:19], s41, v17
	v_ldexp_f32 v17, v19, v20
	v_sub_f32_e32 v19, v30, v15
	v_mul_f32_e32 v20, 0x3fb8aa3b, v19
	v_fma_f32 v21, v19, s39, -v20
	v_rndne_f32_e32 v22, v20
	v_fmac_f32_e32 v21, 0x32a5705f, v19
	v_sub_f32_e32 v20, v20, v22
	v_cndmask_b32_e64 v16, v9, v16, s[18:19]
	v_add_f32_e32 v20, v20, v21
	v_cndmask_b32_e64 v16, 0, v16, s[16:17]
	v_cmp_ngt_f32_e64 s[16:17], s40, v18
	v_exp_f32_e32 v20, v20
	v_cvt_i32_f32_e32 v21, v22
	v_cndmask_b32_e64 v17, 0, v17, s[16:17]
	v_cmp_nlt_f32_e64 s[16:17], s41, v18
	v_cndmask_b32_e64 v17, v9, v17, s[16:17]
	v_cndmask_b32_e64 v17, 0, v17, s[14:15]
	v_sub_f32_e32 v18, v31, v15
	s_waitcnt vmcnt(6)
	v_mul_f32_e32 v14, v14, v17
	v_ldexp_f32 v17, v20, v21
	v_mul_f32_e32 v20, 0x3fb8aa3b, v18
	v_fma_f32 v21, v18, s39, -v20
	v_rndne_f32_e32 v22, v20
	v_fmac_f32_e32 v21, 0x32a5705f, v18
	v_sub_f32_e32 v20, v20, v22
	v_add_f32_e32 v20, v20, v21
	v_cmp_ngt_f32_e64 s[14:15], s40, v19
	v_exp_f32_e32 v20, v20
	v_cvt_i32_f32_e32 v21, v22
	v_cndmask_b32_e64 v17, 0, v17, s[14:15]
	v_cmp_nlt_f32_e64 s[14:15], s41, v19
	v_cndmask_b32_e64 v17, v9, v17, s[14:15]
	v_cndmask_b32_e64 v17, 0, v17, s[12:13]
	v_sub_f32_e32 v19, v32, v15
	s_waitcnt vmcnt(5)
	v_mul_f32_e32 v17, v2, v17
	v_ldexp_f32 v2, v20, v21
	v_mul_f32_e32 v20, 0x3fb8aa3b, v19
	v_fma_f32 v21, v19, s39, -v20
	v_rndne_f32_e32 v22, v20
	v_fmac_f32_e32 v21, 0x32a5705f, v19
	v_sub_f32_e32 v20, v20, v22
	v_add_f32_e32 v20, v20, v21
	;; [unrolled: 17-line block ×4, first 2 shown]
	v_exp_f32_e32 v20, v20
	v_cvt_i32_f32_e32 v21, v22
	v_cmp_ngt_f32_e64 s[8:9], s40, v18
	v_sub_f32_e32 v15, v35, v15
	v_cndmask_b32_e64 v2, 0, v2, s[8:9]
	v_cmp_nlt_f32_e64 s[8:9], s41, v18
	v_ldexp_f32 v18, v20, v21
	v_mul_f32_e32 v20, 0x3fb8aa3b, v15
	v_fma_f32 v21, v15, s39, -v20
	v_rndne_f32_e32 v22, v20
	v_fmac_f32_e32 v21, 0x32a5705f, v15
	v_sub_f32_e32 v20, v20, v22
	v_add_f32_e32 v20, v20, v21
	v_cndmask_b32_e64 v2, v9, v2, s[8:9]
	v_exp_f32_e32 v20, v20
	v_cvt_i32_f32_e32 v21, v22
	v_cndmask_b32_e64 v2, 0, v2, s[2:3]
	v_cmp_ngt_f32_e64 s[2:3], s40, v19
	v_cndmask_b32_e64 v18, 0, v18, s[2:3]
	v_cmp_nlt_f32_e64 s[2:3], s41, v19
	v_cndmask_b32_e64 v18, v9, v18, s[2:3]
	v_mul_f32_e32 v1, v51, v1
	v_cndmask_b32_e64 v18, 0, v18, s[0:1]
	v_ldexp_f32 v19, v20, v21
	v_cmp_ngt_f32_e64 s[0:1], s40, v15
	v_cndmask_b32_e64 v19, 0, v19, s[0:1]
	v_cmp_nlt_f32_e64 s[0:1], s41, v15
	v_add_f32_e32 v15, v1, v8
	v_mul_f32_e32 v11, v52, v11
	v_add_f32_e32 v15, v15, v10
	v_mul_f32_e32 v12, v53, v12
	;; [unrolled: 2-line block ×4, first 2 shown]
	v_add_f32_e32 v15, v15, v13
	v_add_f32_e32 v15, v15, v16
	;; [unrolled: 1-line block ×6, first 2 shown]
	v_cndmask_b32_e64 v9, v9, v19, s[0:1]
	s_waitcnt vmcnt(2)
	v_fmac_f32_e32 v15, v5, v2
	v_cndmask_b32_e32 v9, 0, v9, vcc
	s_waitcnt vmcnt(1)
	v_fmac_f32_e32 v15, v6, v18
	s_waitcnt vmcnt(0)
	v_fmac_f32_e32 v15, v7, v9
	ds_bpermute_b32 v19, v39, v15
	v_mul_f32_e32 v5, v5, v2
	v_mul_f32_e32 v7, v7, v9
	v_lshlrev_b32_e32 v9, 2, v0
	ds_write2st64_b32 v9, v1, v8 offset1:1
	ds_write2st64_b32 v9, v10, v11 offset0:2 offset1:3
	ds_write2st64_b32 v9, v12, v13 offset0:4 offset1:5
	;; [unrolled: 1-line block ×3, first 2 shown]
	s_waitcnt lgkmcnt(4)
	v_add_f32_e32 v15, v15, v19
	ds_bpermute_b32 v19, v40, v15
	v_cmp_eq_u32_e32 vcc, 0, v0
	v_mul_f32_e32 v6, v6, v18
	ds_write2st64_b32 v9, v17, v3 offset0:8 offset1:9
	ds_write2st64_b32 v9, v4, v5 offset0:10 offset1:11
	;; [unrolled: 1-line block ×3, first 2 shown]
	s_waitcnt lgkmcnt(3)
	v_add_f32_e32 v15, v15, v19
	ds_bpermute_b32 v19, v41, v15
	s_waitcnt lgkmcnt(0)
	v_add_f32_e32 v15, v15, v19
	ds_bpermute_b32 v19, v44, v15
	;; [unrolled: 3-line block ×4, first 2 shown]
	s_and_saveexec_b64 s[0:1], vcc
	s_cbranch_execz .LBB129_8
; %bb.7:
	s_waitcnt lgkmcnt(0)
	v_add_f32_e32 v1, v1, v2
	v_mov_b32_e32 v2, 0
	ds_write_b32 v2, v1 offset:3584
.LBB129_8:
	s_or_b64 exec, exec, s[0:1]
	v_mov_b32_e32 v1, s38
.LBB129_9:
	s_or_b64 exec, exec, s[50:51]
	s_lshl_b32 s0, s52, 7
	s_mov_b32 s1, 0
	s_lshl_b64 s[0:1], s[0:1], 1
	s_add_u32 s0, s36, s0
	s_addc_u32 s1, s37, s1
	s_lshl_b32 s10, s33, 7
	s_waitcnt lgkmcnt(0)
	v_lshlrev_b32_e32 v2, 7, v1
	v_mov_b32_e32 v3, 0
	s_add_i32 s11, s10, 0xffffff80
	v_lshlrev_b64 v[4:5], 1, v[2:3]
	s_cmp_lt_i32 s56, 1
	v_mov_b32_e32 v1, s1
	v_add_co_u32_e32 v2, vcc, s0, v4
	s_cselect_b32 s0, s11, 0
	v_addc_co_u32_e32 v4, vcc, v1, v5, vcc
	v_lshlrev_b32_e32 v0, 1, v0
	s_ashr_i32 s1, s0, 31
	v_add_co_u32_e32 v1, vcc, v2, v0
	s_lshl_b64 s[0:1], s[0:1], 1
	v_addc_co_u32_e32 v2, vcc, 0, v4, vcc
	s_cmpk_lt_i32 s56, 0x101
	v_add_co_u32_e32 v12, vcc, s0, v1
	s_cselect_b32 s0, s11, 0x80
	v_mov_b32_e32 v4, s1
	s_ashr_i32 s1, s0, 31
	s_lshl_b64 s[0:1], s[0:1], 1
	v_addc_co_u32_e32 v13, vcc, v2, v4, vcc
	s_cmpk_lt_i32 s56, 0x201
	v_add_co_u32_e32 v14, vcc, s0, v1
	s_cselect_b32 s0, s11, 0x100
	v_mov_b32_e32 v4, s1
	s_ashr_i32 s1, s0, 31
	;; [unrolled: 7-line block ×8, first 2 shown]
	s_lshl_b64 s[0:1], s[0:1], 1
	v_addc_co_u32_e32 v27, vcc, v2, v4, vcc
	s_cmpk_lt_i32 s56, 0x901
	global_load_ushort v4, v[12:13], off
	global_load_ushort v5, v[14:15], off
	global_load_ushort v6, v[16:17], off
	global_load_ushort v7, v[18:19], off
	global_load_ushort v8, v[20:21], off
	global_load_ushort v9, v[22:23], off
	global_load_ushort v10, v[24:25], off
	global_load_ushort v11, v[26:27], off
	v_add_co_u32_e32 v20, vcc, s0, v1
	s_cselect_b32 s0, s11, 0x480
	v_mov_b32_e32 v12, s1
	s_ashr_i32 s1, s0, 31
	s_lshl_b64 s[0:1], s[0:1], 1
	v_addc_co_u32_e32 v21, vcc, v2, v12, vcc
	s_cmpk_lt_i32 s56, 0xa01
	v_add_co_u32_e32 v22, vcc, s0, v1
	s_cselect_b32 s0, s11, 0x500
	v_mov_b32_e32 v12, s1
	s_ashr_i32 s1, s0, 31
	s_lshl_b64 s[0:1], s[0:1], 1
	v_addc_co_u32_e32 v23, vcc, v2, v12, vcc
	s_cmpk_lt_i32 s56, 0xb01
	;; [unrolled: 7-line block ×6, first 2 shown]
	v_add_co_u32_e32 v32, vcc, s0, v1
	s_cselect_b32 s0, s11, 0x780
	v_mov_b32_e32 v12, s1
	s_ashr_i32 s1, s0, 31
	v_addc_co_u32_e32 v33, vcc, v2, v12, vcc
	s_lshl_b64 s[0:1], s[0:1], 1
	v_mov_b32_e32 v12, s1
	v_add_co_u32_e32 v34, vcc, s0, v1
	v_addc_co_u32_e32 v35, vcc, v2, v12, vcc
	global_load_ushort v12, v[20:21], off
	global_load_ushort v13, v[22:23], off
	;; [unrolled: 1-line block ×8, first 2 shown]
	s_cmpk_gt_i32 s56, 0x1000
	s_cselect_b64 s[8:9], -1, 0
	s_cmpk_lt_i32 s56, 0x1001
	v_mov_b32_e32 v36, 0
	v_mov_b32_e32 v37, 0
	;; [unrolled: 1-line block ×48, first 2 shown]
	s_barrier
	s_cbranch_scc1 .LBB129_12
; %bb.10:
	s_cmpk_lt_u32 s56, 0x1101
	s_cselect_b32 s0, s11, 0x880
	s_ashr_i32 s1, s0, 31
	v_add_co_u32_e32 v28, vcc, 0x1000, v1
	s_lshl_b64 s[0:1], s[0:1], 1
	v_addc_co_u32_e32 v29, vcc, 0, v2, vcc
	s_cmpk_lt_u32 s56, 0x1201
	v_add_co_u32_e32 v30, vcc, s0, v1
	s_cselect_b32 s0, s11, 0x900
	v_mov_b32_e32 v20, s1
	s_ashr_i32 s1, s0, 31
	s_lshl_b64 s[0:1], s[0:1], 1
	v_addc_co_u32_e32 v31, vcc, v2, v20, vcc
	s_cmpk_lt_u32 s56, 0x1301
	v_add_co_u32_e32 v32, vcc, s0, v1
	s_cselect_b32 s0, s11, 0x980
	v_mov_b32_e32 v20, s1
	s_ashr_i32 s1, s0, 31
	;; [unrolled: 7-line block ×7, first 2 shown]
	s_lshl_b64 s[0:1], s[0:1], 1
	v_addc_co_u32_e32 v43, vcc, v2, v20, vcc
	s_cmpk_lt_u32 s56, 0x1901
	global_load_ushort v27, v[28:29], off
	global_load_ushort v26, v[30:31], off
	;; [unrolled: 1-line block ×8, first 2 shown]
	v_add_co_u32_e32 v36, vcc, s0, v1
	s_cselect_b32 s0, s11, 0xc80
	v_mov_b32_e32 v28, s1
	s_ashr_i32 s1, s0, 31
	s_lshl_b64 s[0:1], s[0:1], 1
	v_addc_co_u32_e32 v37, vcc, v2, v28, vcc
	s_cmpk_lt_u32 s56, 0x1a01
	v_add_co_u32_e32 v38, vcc, s0, v1
	s_cselect_b32 s0, s11, 0xd00
	v_mov_b32_e32 v28, s1
	s_ashr_i32 s1, s0, 31
	s_lshl_b64 s[0:1], s[0:1], 1
	v_addc_co_u32_e32 v39, vcc, v2, v28, vcc
	s_cmpk_lt_u32 s56, 0x1b01
	;; [unrolled: 7-line block ×6, first 2 shown]
	v_add_co_u32_e32 v48, vcc, s0, v1
	s_cselect_b32 s0, s11, 0xf80
	v_mov_b32_e32 v28, s1
	s_ashr_i32 s1, s0, 31
	v_addc_co_u32_e32 v49, vcc, v2, v28, vcc
	s_lshl_b64 s[0:1], s[0:1], 1
	v_mov_b32_e32 v28, s1
	v_add_co_u32_e32 v50, vcc, s0, v1
	v_addc_co_u32_e32 v51, vcc, v2, v28, vcc
	global_load_ushort v35, v[36:37], off
	global_load_ushort v34, v[38:39], off
	;; [unrolled: 1-line block ×8, first 2 shown]
	s_cmpk_lt_u32 s56, 0x2001
	v_mov_b32_e32 v67, 0
	v_mov_b32_e32 v66, 0
	;; [unrolled: 1-line block ×32, first 2 shown]
	s_cbranch_scc1 .LBB129_12
; %bb.11:
	s_cmpk_lt_u32 s56, 0x2101
	s_cselect_b32 s0, s11, 0x1080
	s_ashr_i32 s1, s0, 31
	v_add_co_u32_e32 v36, vcc, 0x2000, v1
	s_lshl_b64 s[0:1], s[0:1], 1
	v_addc_co_u32_e32 v37, vcc, 0, v2, vcc
	s_cmpk_lt_u32 s56, 0x2201
	v_add_co_u32_e32 v38, vcc, s0, v1
	s_cselect_b32 s0, s11, 0x1100
	v_mov_b32_e32 v39, s1
	s_ashr_i32 s1, s0, 31
	s_lshl_b64 s[0:1], s[0:1], 1
	v_addc_co_u32_e32 v39, vcc, v2, v39, vcc
	s_cmpk_lt_u32 s56, 0x2301
	v_add_co_u32_e32 v40, vcc, s0, v1
	s_cselect_b32 s0, s11, 0x1180
	v_mov_b32_e32 v41, s1
	s_ashr_i32 s1, s0, 31
	s_lshl_b64 s[0:1], s[0:1], 1
	v_addc_co_u32_e32 v41, vcc, v2, v41, vcc
	s_cmpk_lt_u32 s56, 0x2401
	v_add_co_u32_e32 v42, vcc, s0, v1
	s_cselect_b32 s0, s11, 0x1200
	v_mov_b32_e32 v43, s1
	s_ashr_i32 s1, s0, 31
	s_lshl_b64 s[0:1], s[0:1], 1
	v_addc_co_u32_e32 v43, vcc, v2, v43, vcc
	s_cmpk_lt_u32 s56, 0x2501
	v_add_co_u32_e32 v44, vcc, s0, v1
	s_cselect_b32 s0, s11, 0x1280
	v_mov_b32_e32 v45, s1
	s_ashr_i32 s1, s0, 31
	s_lshl_b64 s[0:1], s[0:1], 1
	v_addc_co_u32_e32 v45, vcc, v2, v45, vcc
	s_cmpk_lt_u32 s56, 0x2601
	v_add_co_u32_e32 v46, vcc, s0, v1
	s_cselect_b32 s0, s11, 0x1300
	v_mov_b32_e32 v47, s1
	s_ashr_i32 s1, s0, 31
	s_lshl_b64 s[0:1], s[0:1], 1
	v_addc_co_u32_e32 v47, vcc, v2, v47, vcc
	s_cmpk_lt_u32 s56, 0x2701
	v_add_co_u32_e32 v48, vcc, s0, v1
	s_cselect_b32 s0, s11, 0x1380
	v_mov_b32_e32 v49, s1
	s_ashr_i32 s1, s0, 31
	s_lshl_b64 s[0:1], s[0:1], 1
	v_addc_co_u32_e32 v49, vcc, v2, v49, vcc
	s_cmpk_lt_u32 s56, 0x2801
	v_add_co_u32_e32 v50, vcc, s0, v1
	s_cselect_b32 s0, s11, 0x1400
	v_mov_b32_e32 v51, s1
	s_ashr_i32 s1, s0, 31
	s_lshl_b64 s[0:1], s[0:1], 1
	v_addc_co_u32_e32 v51, vcc, v2, v51, vcc
	s_cmpk_lt_u32 s56, 0x2901
	global_load_ushort v52, v[36:37], off
	global_load_ushort v53, v[38:39], off
	global_load_ushort v54, v[40:41], off
	global_load_ushort v55, v[42:43], off
	global_load_ushort v56, v[44:45], off
	global_load_ushort v57, v[46:47], off
	global_load_ushort v58, v[48:49], off
	global_load_ushort v59, v[50:51], off
	v_add_co_u32_e32 v36, vcc, s0, v1
	s_cselect_b32 s0, s11, 0x1480
	v_mov_b32_e32 v37, s1
	s_ashr_i32 s1, s0, 31
	s_lshl_b64 s[0:1], s[0:1], 1
	v_addc_co_u32_e32 v37, vcc, v2, v37, vcc
	s_cmpk_lt_u32 s56, 0x2a01
	v_add_co_u32_e32 v38, vcc, s0, v1
	s_cselect_b32 s0, s11, 0x1500
	v_mov_b32_e32 v39, s1
	s_ashr_i32 s1, s0, 31
	s_lshl_b64 s[0:1], s[0:1], 1
	v_addc_co_u32_e32 v39, vcc, v2, v39, vcc
	s_cmpk_lt_u32 s56, 0x2b01
	v_add_co_u32_e32 v40, vcc, s0, v1
	s_cselect_b32 s0, s11, 0x1580
	v_mov_b32_e32 v41, s1
	s_ashr_i32 s1, s0, 31
	s_lshl_b64 s[0:1], s[0:1], 1
	v_addc_co_u32_e32 v41, vcc, v2, v41, vcc
	s_cmpk_lt_u32 s56, 0x2c01
	v_add_co_u32_e32 v42, vcc, s0, v1
	s_cselect_b32 s0, s11, 0x1600
	v_mov_b32_e32 v43, s1
	s_ashr_i32 s1, s0, 31
	s_lshl_b64 s[0:1], s[0:1], 1
	v_addc_co_u32_e32 v43, vcc, v2, v43, vcc
	s_cmpk_lt_u32 s56, 0x2d01
	v_add_co_u32_e32 v44, vcc, s0, v1
	s_cselect_b32 s0, s11, 0x1680
	v_mov_b32_e32 v45, s1
	s_ashr_i32 s1, s0, 31
	s_lshl_b64 s[0:1], s[0:1], 1
	v_addc_co_u32_e32 v45, vcc, v2, v45, vcc
	s_cmpk_lt_u32 s56, 0x2e01
	v_add_co_u32_e32 v46, vcc, s0, v1
	s_cselect_b32 s0, s11, 0x1700
	v_mov_b32_e32 v47, s1
	s_ashr_i32 s1, s0, 31
	s_lshl_b64 s[0:1], s[0:1], 1
	v_addc_co_u32_e32 v47, vcc, v2, v47, vcc
	s_cmpk_lt_u32 s56, 0x2f01
	v_add_co_u32_e32 v48, vcc, s0, v1
	s_cselect_b32 s0, s11, 0x1780
	v_mov_b32_e32 v49, s1
	s_ashr_i32 s1, s0, 31
	s_lshl_b64 s[0:1], s[0:1], 1
	v_addc_co_u32_e32 v49, vcc, v2, v49, vcc
	s_cmpk_lt_u32 s56, 0x3001
	v_add_co_u32_e32 v50, vcc, s0, v1
	s_cselect_b32 s0, s11, 0x1800
	v_mov_b32_e32 v51, s1
	s_ashr_i32 s1, s0, 31
	s_lshl_b64 s[0:1], s[0:1], 1
	v_addc_co_u32_e32 v51, vcc, v2, v51, vcc
	s_cmpk_lt_u32 s56, 0x3101
	global_load_ushort v68, v[36:37], off
	global_load_ushort v69, v[38:39], off
	global_load_ushort v70, v[40:41], off
	global_load_ushort v71, v[42:43], off
	global_load_ushort v72, v[44:45], off
	global_load_ushort v73, v[46:47], off
	global_load_ushort v74, v[48:49], off
	global_load_ushort v75, v[50:51], off
	v_add_co_u32_e32 v36, vcc, s0, v1
	s_cselect_b32 s0, s11, 0x1880
	v_mov_b32_e32 v37, s1
	s_ashr_i32 s1, s0, 31
	;; [unrolled: 64-line block ×3, first 2 shown]
	s_lshl_b64 s[0:1], s[0:1], 1
	v_addc_co_u32_e32 v37, vcc, v2, v37, vcc
	s_cmpk_lt_u32 s56, 0x3a01
	v_add_co_u32_e32 v38, vcc, s0, v1
	s_cselect_b32 s0, s11, 0x1d00
	v_mov_b32_e32 v39, s1
	s_ashr_i32 s1, s0, 31
	s_lshl_b64 s[0:1], s[0:1], 1
	v_addc_co_u32_e32 v39, vcc, v2, v39, vcc
	s_cmpk_lt_u32 s56, 0x3b01
	v_add_co_u32_e32 v40, vcc, s0, v1
	s_cselect_b32 s0, s11, 0x1d80
	v_mov_b32_e32 v41, s1
	s_ashr_i32 s1, s0, 31
	;; [unrolled: 7-line block ×6, first 2 shown]
	v_addc_co_u32_e32 v49, vcc, v2, v49, vcc
	s_lshl_b64 s[0:1], s[0:1], 1
	v_mov_b32_e32 v51, s1
	v_add_co_u32_e32 v50, vcc, s0, v1
	v_addc_co_u32_e32 v51, vcc, v2, v51, vcc
	global_load_ushort v84, v[36:37], off
	global_load_ushort v85, v[38:39], off
	;; [unrolled: 1-line block ×8, first 2 shown]
	s_waitcnt vmcnt(31)
	v_cvt_f32_f16_e32 v67, v52
	s_waitcnt vmcnt(30)
	v_cvt_f32_f16_e32 v66, v53
	;; [unrolled: 2-line block ×32, first 2 shown]
.LBB129_12:
	ds_read_b128 v[68:71], v3
	s_load_dwordx2 s[0:1], s[4:5], 0x0
	s_load_dwordx2 s[2:3], s[4:5], 0x38
	ds_read_b128 v[72:75], v3 offset:16
	ds_read_b128 v[76:79], v3 offset:32
	;; [unrolled: 1-line block ×3, first 2 shown]
	s_and_b64 vcc, exec, s[8:9]
	s_waitcnt vmcnt(15) lgkmcnt(0)
	v_fma_mix_f32 v4, v68, v4, 0 op_sel_hi:[0,1,0]
	s_waitcnt vmcnt(14)
	v_fma_mix_f32 v4, v69, v5, v4 op_sel_hi:[0,1,0]
	s_waitcnt vmcnt(13)
	;; [unrolled: 2-line block ×15, first 2 shown]
	v_fma_mix_f32 v4, v83, v19, v4 op_sel_hi:[0,1,0]
	s_cbranch_vccz .LBB129_15
; %bb.13:
	ds_read_b128 v[6:9], v3 offset:64
	ds_read_b128 v[10:13], v3 offset:80
	;; [unrolled: 1-line block ×4, first 2 shown]
	s_cmpk_lt_u32 s56, 0x2001
	s_waitcnt lgkmcnt(3)
	v_fma_mix_f32 v3, v6, v27, v4 op_sel_hi:[0,1,0]
	v_fma_mix_f32 v3, v7, v26, v3 op_sel_hi:[0,1,0]
	v_fma_mix_f32 v3, v8, v25, v3 op_sel_hi:[0,1,0]
	v_fma_mix_f32 v3, v9, v24, v3 op_sel_hi:[0,1,0]
	s_waitcnt lgkmcnt(2)
	v_fma_mix_f32 v3, v10, v23, v3 op_sel_hi:[0,1,0]
	v_fma_mix_f32 v3, v11, v22, v3 op_sel_hi:[0,1,0]
	v_fma_mix_f32 v3, v12, v20, v3 op_sel_hi:[0,1,0]
	v_fma_mix_f32 v3, v13, v21, v3 op_sel_hi:[0,1,0]
	s_waitcnt lgkmcnt(1)
	v_fma_mix_f32 v3, v14, v35, v3 op_sel_hi:[0,1,0]
	v_fma_mix_f32 v3, v15, v34, v3 op_sel_hi:[0,1,0]
	v_fma_mix_f32 v3, v16, v33, v3 op_sel_hi:[0,1,0]
	v_fma_mix_f32 v3, v17, v32, v3 op_sel_hi:[0,1,0]
	s_waitcnt lgkmcnt(0)
	v_fma_mix_f32 v3, v68, v31, v3 op_sel_hi:[0,1,0]
	v_fma_mix_f32 v3, v69, v30, v3 op_sel_hi:[0,1,0]
	v_fma_mix_f32 v3, v70, v29, v3 op_sel_hi:[0,1,0]
	v_fma_mix_f32 v4, v71, v28, v3 op_sel_hi:[0,1,0]
	s_cbranch_scc1 .LBB129_15
; %bb.14:
	v_mov_b32_e32 v3, 0
	ds_read_b128 v[6:9], v3 offset:128
	ds_read_b128 v[10:13], v3 offset:144
	;; [unrolled: 1-line block ×4, first 2 shown]
	s_waitcnt lgkmcnt(3)
	v_fmac_f32_e32 v4, v6, v67
	v_fmac_f32_e32 v4, v7, v66
	v_fmac_f32_e32 v4, v8, v65
	v_fmac_f32_e32 v4, v9, v64
	s_waitcnt lgkmcnt(2)
	v_fmac_f32_e32 v4, v10, v63
	v_fmac_f32_e32 v4, v11, v62
	v_fmac_f32_e32 v4, v12, v61
	v_fmac_f32_e32 v4, v13, v60
	s_waitcnt lgkmcnt(1)
	v_fmac_f32_e32 v4, v14, v59
	v_fmac_f32_e32 v4, v15, v58
	v_fmac_f32_e32 v4, v16, v57
	v_fmac_f32_e32 v4, v17, v56
	ds_read_b128 v[6:9], v3 offset:192
	ds_read_b128 v[10:13], v3 offset:208
	s_waitcnt lgkmcnt(2)
	v_fmac_f32_e32 v4, v18, v55
	v_fmac_f32_e32 v4, v19, v54
	;; [unrolled: 1-line block ×4, first 2 shown]
	s_waitcnt lgkmcnt(1)
	v_fmac_f32_e32 v4, v6, v51
	v_fmac_f32_e32 v4, v7, v50
	v_fmac_f32_e32 v4, v8, v49
	v_fmac_f32_e32 v4, v9, v48
	ds_read_b128 v[6:9], v3 offset:224
	s_waitcnt lgkmcnt(1)
	v_fmac_f32_e32 v4, v10, v47
	v_fmac_f32_e32 v4, v11, v46
	;; [unrolled: 1-line block ×4, first 2 shown]
	ds_read_b128 v[10:13], v3 offset:240
	s_waitcnt lgkmcnt(1)
	v_fmac_f32_e32 v4, v6, v43
	v_fmac_f32_e32 v4, v7, v42
	;; [unrolled: 1-line block ×4, first 2 shown]
	s_waitcnt lgkmcnt(0)
	v_fmac_f32_e32 v4, v10, v39
	v_fmac_f32_e32 v4, v11, v38
	;; [unrolled: 1-line block ×4, first 2 shown]
.LBB129_15:
	s_movk_i32 s4, 0x3f80
	s_movk_i32 s5, 0x100
	s_mov_b32 s8, 64
	s_branch .LBB129_17
.LBB129_16:                             ;   in Loop: Header=BB129_17 Depth=1
	s_addk_i32 s4, 0x2000
	s_addk_i32 s5, 0x100
	s_add_i32 s8, s8, 64
	s_cmp_eq_u32 s4, 0x1df80
	s_cbranch_scc1 .LBB129_19
.LBB129_17:                             ; =>This Inner Loop Header: Depth=1
	s_cmp_le_i32 s33, s8
	s_cbranch_scc1 .LBB129_16
; %bb.18:                               ;   in Loop: Header=BB129_17 Depth=1
	s_add_i32 s9, s4, 0xffffe080
	s_cmp_lt_i32 s9, s10
	s_cselect_b32 s12, s9, s11
	s_ashr_i32 s13, s12, 31
	s_lshl_b64 s[12:13], s[12:13], 1
	s_add_i32 s9, s4, 0xffffe100
	s_cmp_lt_i32 s9, s10
	v_add_co_u32_e32 v12, vcc, s12, v1
	s_cselect_b32 s12, s9, s11
	v_mov_b32_e32 v3, s13
	s_ashr_i32 s13, s12, 31
	s_lshl_b64 s[12:13], s[12:13], 1
	s_add_i32 s9, s4, 0xffffe180
	v_addc_co_u32_e32 v13, vcc, v2, v3, vcc
	s_cmp_lt_i32 s9, s10
	v_add_co_u32_e32 v14, vcc, s12, v1
	s_cselect_b32 s12, s9, s11
	v_mov_b32_e32 v3, s13
	s_ashr_i32 s13, s12, 31
	s_lshl_b64 s[12:13], s[12:13], 1
	s_add_i32 s9, s4, 0xffffe200
	v_addc_co_u32_e32 v15, vcc, v2, v3, vcc
	s_cmp_lt_i32 s9, s10
	v_add_co_u32_e32 v16, vcc, s12, v1
	s_cselect_b32 s12, s9, s11
	v_mov_b32_e32 v3, s13
	s_ashr_i32 s13, s12, 31
	s_lshl_b64 s[12:13], s[12:13], 1
	s_add_i32 s9, s4, 0xffffe280
	v_addc_co_u32_e32 v17, vcc, v2, v3, vcc
	s_cmp_lt_i32 s9, s10
	v_add_co_u32_e32 v18, vcc, s12, v1
	s_cselect_b32 s12, s9, s11
	v_mov_b32_e32 v3, s13
	s_ashr_i32 s13, s12, 31
	s_lshl_b64 s[12:13], s[12:13], 1
	s_add_i32 s9, s4, 0xffffe300
	v_addc_co_u32_e32 v19, vcc, v2, v3, vcc
	s_cmp_lt_i32 s9, s10
	v_add_co_u32_e32 v20, vcc, s12, v1
	s_cselect_b32 s12, s9, s11
	v_mov_b32_e32 v3, s13
	s_ashr_i32 s13, s12, 31
	s_lshl_b64 s[12:13], s[12:13], 1
	s_add_i32 s9, s4, 0xffffe380
	v_addc_co_u32_e32 v21, vcc, v2, v3, vcc
	s_cmp_lt_i32 s9, s10
	v_add_co_u32_e32 v22, vcc, s12, v1
	s_cselect_b32 s12, s9, s11
	v_mov_b32_e32 v3, s13
	s_ashr_i32 s13, s12, 31
	s_lshl_b64 s[12:13], s[12:13], 1
	s_add_i32 s9, s4, 0xffffe400
	v_addc_co_u32_e32 v23, vcc, v2, v3, vcc
	s_cmp_lt_i32 s9, s10
	v_add_co_u32_e32 v24, vcc, s12, v1
	s_cselect_b32 s12, s9, s11
	v_mov_b32_e32 v3, s13
	s_ashr_i32 s13, s12, 31
	s_lshl_b64 s[12:13], s[12:13], 1
	s_add_i32 s9, s4, 0xffffe480
	v_addc_co_u32_e32 v25, vcc, v2, v3, vcc
	s_cmp_lt_i32 s9, s10
	v_add_co_u32_e32 v26, vcc, s12, v1
	s_cselect_b32 s12, s9, s11
	v_mov_b32_e32 v3, s13
	s_ashr_i32 s13, s12, 31
	s_lshl_b64 s[12:13], s[12:13], 1
	s_add_i32 s9, s4, 0xffffe500
	v_addc_co_u32_e32 v27, vcc, v2, v3, vcc
	s_cmp_lt_i32 s9, s10
	global_load_ushort v3, v[12:13], off
	global_load_ushort v5, v[14:15], off
	;; [unrolled: 1-line block ×8, first 2 shown]
	v_add_co_u32_e32 v20, vcc, s12, v1
	s_cselect_b32 s12, s9, s11
	v_mov_b32_e32 v12, s13
	s_ashr_i32 s13, s12, 31
	s_lshl_b64 s[12:13], s[12:13], 1
	s_add_i32 s9, s4, 0xffffe580
	v_addc_co_u32_e32 v21, vcc, v2, v12, vcc
	s_cmp_lt_i32 s9, s10
	v_add_co_u32_e32 v22, vcc, s12, v1
	s_cselect_b32 s12, s9, s11
	v_mov_b32_e32 v12, s13
	s_ashr_i32 s13, s12, 31
	s_lshl_b64 s[12:13], s[12:13], 1
	s_add_i32 s9, s4, 0xffffe600
	v_addc_co_u32_e32 v23, vcc, v2, v12, vcc
	s_cmp_lt_i32 s9, s10
	;; [unrolled: 8-line block ×8, first 2 shown]
	global_load_ushort v15, v[20:21], off
	global_load_ushort v16, v[22:23], off
	;; [unrolled: 1-line block ×8, first 2 shown]
	v_add_co_u32_e32 v28, vcc, s12, v1
	s_cselect_b32 s12, s9, s11
	v_mov_b32_e32 v20, s13
	s_ashr_i32 s13, s12, 31
	s_lshl_b64 s[12:13], s[12:13], 1
	s_add_i32 s9, s4, 0xffffe980
	v_addc_co_u32_e32 v29, vcc, v2, v20, vcc
	s_cmp_lt_i32 s9, s10
	v_add_co_u32_e32 v30, vcc, s12, v1
	s_cselect_b32 s12, s9, s11
	v_mov_b32_e32 v20, s13
	s_ashr_i32 s13, s12, 31
	s_lshl_b64 s[12:13], s[12:13], 1
	s_add_i32 s9, s4, 0xffffea00
	v_addc_co_u32_e32 v31, vcc, v2, v20, vcc
	s_cmp_lt_i32 s9, s10
	v_add_co_u32_e32 v32, vcc, s12, v1
	s_cselect_b32 s12, s9, s11
	v_mov_b32_e32 v20, s13
	s_ashr_i32 s13, s12, 31
	s_lshl_b64 s[12:13], s[12:13], 1
	s_add_i32 s9, s4, 0xffffea80
	v_addc_co_u32_e32 v33, vcc, v2, v20, vcc
	s_cmp_lt_i32 s9, s10
	v_add_co_u32_e32 v34, vcc, s12, v1
	s_cselect_b32 s12, s9, s11
	v_mov_b32_e32 v20, s13
	s_ashr_i32 s13, s12, 31
	s_lshl_b64 s[12:13], s[12:13], 1
	s_add_i32 s9, s4, 0xffffeb00
	v_addc_co_u32_e32 v35, vcc, v2, v20, vcc
	s_cmp_lt_i32 s9, s10
	v_add_co_u32_e32 v36, vcc, s12, v1
	s_cselect_b32 s12, s9, s11
	v_mov_b32_e32 v20, s13
	s_ashr_i32 s13, s12, 31
	s_lshl_b64 s[12:13], s[12:13], 1
	s_add_i32 s9, s4, 0xffffeb80
	v_addc_co_u32_e32 v37, vcc, v2, v20, vcc
	s_cmp_lt_i32 s9, s10
	v_add_co_u32_e32 v38, vcc, s12, v1
	s_cselect_b32 s12, s9, s11
	v_mov_b32_e32 v20, s13
	s_ashr_i32 s13, s12, 31
	s_lshl_b64 s[12:13], s[12:13], 1
	s_add_i32 s9, s4, 0xffffec00
	v_addc_co_u32_e32 v39, vcc, v2, v20, vcc
	s_cmp_lt_i32 s9, s10
	v_add_co_u32_e32 v40, vcc, s12, v1
	s_cselect_b32 s12, s9, s11
	v_mov_b32_e32 v20, s13
	s_ashr_i32 s13, s12, 31
	s_lshl_b64 s[12:13], s[12:13], 1
	s_add_i32 s9, s4, 0xffffec80
	v_addc_co_u32_e32 v41, vcc, v2, v20, vcc
	s_cmp_lt_i32 s9, s10
	v_add_co_u32_e32 v42, vcc, s12, v1
	s_cselect_b32 s12, s9, s11
	v_mov_b32_e32 v20, s13
	s_ashr_i32 s13, s12, 31
	s_lshl_b64 s[12:13], s[12:13], 1
	s_add_i32 s9, s4, 0xffffed00
	v_addc_co_u32_e32 v43, vcc, v2, v20, vcc
	s_cmp_lt_i32 s9, s10
	global_load_ushort v23, v[28:29], off
	global_load_ushort v24, v[30:31], off
	;; [unrolled: 1-line block ×8, first 2 shown]
	v_add_co_u32_e32 v36, vcc, s12, v1
	s_cselect_b32 s12, s9, s11
	v_mov_b32_e32 v28, s13
	s_ashr_i32 s13, s12, 31
	s_lshl_b64 s[12:13], s[12:13], 1
	s_add_i32 s9, s4, 0xffffed80
	v_addc_co_u32_e32 v37, vcc, v2, v28, vcc
	s_cmp_lt_i32 s9, s10
	v_add_co_u32_e32 v38, vcc, s12, v1
	s_cselect_b32 s12, s9, s11
	v_mov_b32_e32 v28, s13
	s_ashr_i32 s13, s12, 31
	s_lshl_b64 s[12:13], s[12:13], 1
	s_add_i32 s9, s4, 0xffffee00
	v_addc_co_u32_e32 v39, vcc, v2, v28, vcc
	s_cmp_lt_i32 s9, s10
	;; [unrolled: 8-line block ×8, first 2 shown]
	global_load_ushort v31, v[36:37], off
	global_load_ushort v32, v[38:39], off
	;; [unrolled: 1-line block ×8, first 2 shown]
	v_add_co_u32_e32 v36, vcc, s12, v1
	s_cselect_b32 s12, s9, s11
	v_mov_b32_e32 v37, s13
	s_ashr_i32 s13, s12, 31
	s_lshl_b64 s[12:13], s[12:13], 1
	s_add_i32 s9, s4, 0xfffff180
	v_addc_co_u32_e32 v37, vcc, v2, v37, vcc
	s_cmp_lt_i32 s9, s10
	v_add_co_u32_e32 v38, vcc, s12, v1
	s_cselect_b32 s12, s9, s11
	v_mov_b32_e32 v39, s13
	s_ashr_i32 s13, s12, 31
	s_lshl_b64 s[12:13], s[12:13], 1
	s_add_i32 s9, s4, 0xfffff200
	v_addc_co_u32_e32 v39, vcc, v2, v39, vcc
	s_cmp_lt_i32 s9, s10
	;; [unrolled: 8-line block ×8, first 2 shown]
	global_load_ushort v52, v[36:37], off
	global_load_ushort v53, v[38:39], off
	;; [unrolled: 1-line block ×8, first 2 shown]
	v_add_co_u32_e32 v36, vcc, s12, v1
	s_cselect_b32 s12, s9, s11
	v_mov_b32_e32 v37, s13
	s_ashr_i32 s13, s12, 31
	s_lshl_b64 s[12:13], s[12:13], 1
	s_add_i32 s9, s4, 0xfffff580
	v_addc_co_u32_e32 v37, vcc, v2, v37, vcc
	s_cmp_lt_i32 s9, s10
	v_add_co_u32_e32 v38, vcc, s12, v1
	s_cselect_b32 s12, s9, s11
	v_mov_b32_e32 v39, s13
	s_ashr_i32 s13, s12, 31
	s_lshl_b64 s[12:13], s[12:13], 1
	s_add_i32 s9, s4, 0xfffff600
	v_addc_co_u32_e32 v39, vcc, v2, v39, vcc
	s_cmp_lt_i32 s9, s10
	;; [unrolled: 8-line block ×8, first 2 shown]
	global_load_ushort v60, v[36:37], off
	global_load_ushort v61, v[38:39], off
	;; [unrolled: 1-line block ×8, first 2 shown]
	v_add_co_u32_e32 v36, vcc, s12, v1
	s_cselect_b32 s12, s9, s11
	v_mov_b32_e32 v37, s13
	s_ashr_i32 s13, s12, 31
	s_lshl_b64 s[12:13], s[12:13], 1
	s_add_i32 s9, s4, 0xfffff980
	v_addc_co_u32_e32 v37, vcc, v2, v37, vcc
	s_cmp_lt_i32 s9, s10
	v_add_co_u32_e32 v38, vcc, s12, v1
	s_cselect_b32 s12, s9, s11
	v_mov_b32_e32 v39, s13
	s_ashr_i32 s13, s12, 31
	s_lshl_b64 s[12:13], s[12:13], 1
	s_add_i32 s9, s4, 0xfffffa00
	v_addc_co_u32_e32 v39, vcc, v2, v39, vcc
	s_cmp_lt_i32 s9, s10
	v_add_co_u32_e32 v40, vcc, s12, v1
	s_cselect_b32 s12, s9, s11
	v_mov_b32_e32 v41, s13
	s_ashr_i32 s13, s12, 31
	s_lshl_b64 s[12:13], s[12:13], 1
	s_add_i32 s9, s4, 0xfffffa80
	v_addc_co_u32_e32 v41, vcc, v2, v41, vcc
	s_cmp_lt_i32 s9, s10
	v_add_co_u32_e32 v42, vcc, s12, v1
	s_cselect_b32 s12, s9, s11
	v_mov_b32_e32 v43, s13
	s_ashr_i32 s13, s12, 31
	s_lshl_b64 s[12:13], s[12:13], 1
	s_add_i32 s9, s4, 0xfffffb00
	v_addc_co_u32_e32 v43, vcc, v2, v43, vcc
	s_cmp_lt_i32 s9, s10
	v_add_co_u32_e32 v44, vcc, s12, v1
	s_cselect_b32 s12, s9, s11
	v_mov_b32_e32 v45, s13
	s_ashr_i32 s13, s12, 31
	s_lshl_b64 s[12:13], s[12:13], 1
	s_add_i32 s9, s4, 0xfffffb80
	v_addc_co_u32_e32 v45, vcc, v2, v45, vcc
	s_cmp_lt_i32 s9, s10
	v_add_co_u32_e32 v46, vcc, s12, v1
	s_cselect_b32 s12, s9, s11
	v_mov_b32_e32 v47, s13
	s_ashr_i32 s13, s12, 31
	s_lshl_b64 s[12:13], s[12:13], 1
	s_add_i32 s9, s4, 0xfffffc00
	v_addc_co_u32_e32 v47, vcc, v2, v47, vcc
	s_cmp_lt_i32 s9, s10
	v_add_co_u32_e32 v48, vcc, s12, v1
	s_cselect_b32 s12, s9, s11
	v_mov_b32_e32 v49, s13
	s_ashr_i32 s13, s12, 31
	s_lshl_b64 s[12:13], s[12:13], 1
	s_add_i32 s9, s4, 0xfffffc80
	v_addc_co_u32_e32 v49, vcc, v2, v49, vcc
	s_cmp_lt_i32 s9, s10
	v_add_co_u32_e32 v50, vcc, s12, v1
	s_cselect_b32 s12, s9, s11
	v_mov_b32_e32 v51, s13
	s_ashr_i32 s13, s12, 31
	s_lshl_b64 s[12:13], s[12:13], 1
	s_add_i32 s9, s4, 0xfffffd00
	v_addc_co_u32_e32 v51, vcc, v2, v51, vcc
	s_cmp_lt_i32 s9, s10
	global_load_ushort v68, v[36:37], off
	global_load_ushort v69, v[38:39], off
	;; [unrolled: 1-line block ×8, first 2 shown]
	v_add_co_u32_e32 v36, vcc, s12, v1
	s_cselect_b32 s12, s9, s11
	v_mov_b32_e32 v37, s13
	s_ashr_i32 s13, s12, 31
	s_lshl_b64 s[12:13], s[12:13], 1
	s_add_i32 s9, s4, 0xfffffd80
	v_addc_co_u32_e32 v37, vcc, v2, v37, vcc
	s_cmp_lt_i32 s9, s10
	v_add_co_u32_e32 v38, vcc, s12, v1
	s_cselect_b32 s12, s9, s11
	v_mov_b32_e32 v39, s13
	s_ashr_i32 s13, s12, 31
	s_lshl_b64 s[12:13], s[12:13], 1
	s_add_i32 s9, s4, 0xfffffe00
	v_addc_co_u32_e32 v39, vcc, v2, v39, vcc
	s_cmp_lt_i32 s9, s10
	;; [unrolled: 8-line block ×5, first 2 shown]
	v_add_co_u32_e32 v46, vcc, s12, v1
	s_cselect_b32 s12, s9, s11
	v_mov_b32_e32 v47, s13
	s_ashr_i32 s13, s12, 31
	s_lshl_b64 s[12:13], s[12:13], 1
	v_addc_co_u32_e32 v47, vcc, v2, v47, vcc
	s_cmp_lt_i32 s4, s10
	v_add_co_u32_e32 v48, vcc, s12, v1
	s_cselect_b32 s12, s4, s11
	v_mov_b32_e32 v49, s13
	s_ashr_i32 s13, s12, 31
	v_addc_co_u32_e32 v49, vcc, v2, v49, vcc
	s_lshl_b64 s[12:13], s[12:13], 1
	v_mov_b32_e32 v51, s13
	v_add_co_u32_e32 v50, vcc, s12, v1
	v_addc_co_u32_e32 v51, vcc, v2, v51, vcc
	global_load_ushort v76, v[36:37], off
	global_load_ushort v77, v[38:39], off
	global_load_ushort v78, v[40:41], off
	global_load_ushort v79, v[42:43], off
	global_load_ushort v80, v[44:45], off
	global_load_ushort v81, v[46:47], off
	global_load_ushort v82, v[48:49], off
	global_load_ushort v83, v[50:51], off
	v_mov_b32_e32 v84, s5
	ds_read_b128 v[36:39], v84
	ds_read_b128 v[40:43], v84 offset:16
	ds_read_b128 v[44:47], v84 offset:32
	;; [unrolled: 1-line block ×3, first 2 shown]
	s_waitcnt vmcnt(62) lgkmcnt(3)
	v_fma_mix_f32 v3, v36, v3, v4 op_sel_hi:[0,1,0]
	v_fma_mix_f32 v3, v37, v5, v3 op_sel_hi:[0,1,0]
	s_waitcnt vmcnt(61)
	v_fma_mix_f32 v3, v38, v6, v3 op_sel_hi:[0,1,0]
	s_waitcnt vmcnt(60)
	v_fma_mix_f32 v3, v39, v7, v3 op_sel_hi:[0,1,0]
	s_waitcnt vmcnt(59) lgkmcnt(2)
	v_fma_mix_f32 v3, v40, v8, v3 op_sel_hi:[0,1,0]
	s_waitcnt vmcnt(58)
	v_fma_mix_f32 v3, v41, v9, v3 op_sel_hi:[0,1,0]
	s_waitcnt vmcnt(57)
	;; [unrolled: 2-line block ×3, first 2 shown]
	v_fma_mix_f32 v3, v43, v11, v3 op_sel_hi:[0,1,0]
	s_waitcnt vmcnt(55) lgkmcnt(1)
	v_fma_mix_f32 v3, v44, v15, v3 op_sel_hi:[0,1,0]
	s_waitcnt vmcnt(54)
	v_fma_mix_f32 v3, v45, v16, v3 op_sel_hi:[0,1,0]
	s_waitcnt vmcnt(53)
	;; [unrolled: 2-line block ×3, first 2 shown]
	v_fma_mix_f32 v3, v47, v18, v3 op_sel_hi:[0,1,0]
	ds_read_b128 v[4:7], v84 offset:64
	ds_read_b128 v[8:11], v84 offset:80
	s_waitcnt vmcnt(51) lgkmcnt(2)
	v_fma_mix_f32 v3, v48, v19, v3 op_sel_hi:[0,1,0]
	s_waitcnt vmcnt(50)
	v_fma_mix_f32 v3, v49, v12, v3 op_sel_hi:[0,1,0]
	s_waitcnt vmcnt(49)
	;; [unrolled: 2-line block ×3, first 2 shown]
	v_fma_mix_f32 v3, v51, v14, v3 op_sel_hi:[0,1,0]
	s_waitcnt vmcnt(47) lgkmcnt(1)
	v_fma_mix_f32 v3, v4, v23, v3 op_sel_hi:[0,1,0]
	s_waitcnt vmcnt(46)
	v_fma_mix_f32 v3, v5, v24, v3 op_sel_hi:[0,1,0]
	s_waitcnt vmcnt(45)
	v_fma_mix_f32 v3, v6, v25, v3 op_sel_hi:[0,1,0]
	s_waitcnt vmcnt(44)
	v_fma_mix_f32 v3, v7, v26, v3 op_sel_hi:[0,1,0]
	ds_read_b128 v[4:7], v84 offset:96
	s_waitcnt vmcnt(43) lgkmcnt(1)
	v_fma_mix_f32 v3, v8, v27, v3 op_sel_hi:[0,1,0]
	s_waitcnt vmcnt(42)
	v_fma_mix_f32 v3, v9, v20, v3 op_sel_hi:[0,1,0]
	s_waitcnt vmcnt(41)
	v_fma_mix_f32 v3, v10, v21, v3 op_sel_hi:[0,1,0]
	s_waitcnt vmcnt(40)
	v_fma_mix_f32 v3, v11, v22, v3 op_sel_hi:[0,1,0]
	ds_read_b128 v[8:11], v84 offset:112
	;; [unrolled: 9-line block ×10, first 2 shown]
	s_waitcnt vmcnt(7) lgkmcnt(1)
	v_fma_mix_f32 v3, v4, v76, v3 op_sel_hi:[0,1,0]
	s_waitcnt vmcnt(6)
	v_fma_mix_f32 v3, v5, v77, v3 op_sel_hi:[0,1,0]
	s_waitcnt vmcnt(5)
	;; [unrolled: 2-line block ×3, first 2 shown]
	v_fma_mix_f32 v3, v7, v79, v3 op_sel_hi:[0,1,0]
	s_waitcnt vmcnt(3) lgkmcnt(0)
	v_fma_mix_f32 v3, v8, v80, v3 op_sel_hi:[0,1,0]
	s_waitcnt vmcnt(2)
	v_fma_mix_f32 v3, v9, v81, v3 op_sel_hi:[0,1,0]
	s_waitcnt vmcnt(1)
	;; [unrolled: 2-line block ×3, first 2 shown]
	v_fma_mix_f32 v4, v11, v83, v3 op_sel_hi:[0,1,0]
	s_branch .LBB129_16
.LBB129_19:
	v_mov_b32_e32 v1, 0
	ds_read_b32 v2, v1 offset:3584
	s_cmp_lg_u64 s[2:3], 0
	s_cbranch_scc0 .LBB129_24
; %bb.20:
	s_load_dword s4, s[2:3], 0x0
	s_waitcnt lgkmcnt(0)
	v_div_scale_f32 v1, s[2:3], s4, s4, 1.0
	v_rcp_f32_e32 v3, v1
	v_div_scale_f32 v5, vcc, 1.0, s4, 1.0
	v_fma_f32 v6, -v1, v3, 1.0
	v_fmac_f32_e32 v3, v6, v3
	v_mul_f32_e32 v6, v5, v3
	v_fma_f32 v7, -v1, v6, v5
	v_fmac_f32_e32 v6, v7, v3
	v_fma_f32 v1, -v1, v6, v5
	v_div_fmas_f32 v1, v1, v3, v6
	v_div_fixup_f32 v1, v1, s4, 1.0
	s_andn2_b64 vcc, exec, s[46:47]
	s_cbranch_vccnz .LBB129_22
.LBB129_21:
	s_add_u32 s2, s44, s48
	s_addc_u32 s3, s45, s49
	s_load_dword s34, s[2:3], 0x0
	s_mov_b32 s35, 0
.LBB129_22:
	s_waitcnt lgkmcnt(0)
	v_add_f32_e32 v2, 0x358637bd, v2
	v_div_scale_f32 v3, s[2:3], v2, v2, 1.0
	v_rcp_f32_e32 v5, v3
	v_div_scale_f32 v6, vcc, 1.0, v2, 1.0
	s_mul_i32 s2, s7, s35
	v_fma_f32 v7, -v3, v5, 1.0
	v_fmac_f32_e32 v5, v7, v5
	v_mul_f32_e32 v7, v6, v5
	v_fma_f32 v8, -v3, v7, v6
	s_mul_hi_u32 s3, s7, s34
	v_fmac_f32_e32 v7, v8, v5
	s_add_i32 s3, s3, s2
	s_mul_i32 s2, s7, s34
	v_fma_f32 v3, -v3, v7, v6
	s_lshl_b64 s[2:3], s[2:3], 8
	v_div_fmas_f32 v3, v3, v5, v7
	s_add_u32 s2, s0, s2
	s_mov_b32 s7, 0
	v_div_fixup_f32 v2, v3, v2, 1.0
	s_addc_u32 s3, s1, s3
	s_lshl_b64 s[0:1], s[6:7], 8
	v_mul_f32_e32 v2, v4, v2
	s_add_u32 s0, s2, s0
	s_addc_u32 s1, s3, s1
	v_fma_mixlo_f16 v1, v2, v1, 0
	global_store_short v0, v1, s[0:1]
	s_endpgm
.LBB129_23:
	s_mov_b64 s[2:3], 0
	s_branch .LBB129_2
.LBB129_24:
	v_mov_b32_e32 v1, 1.0
	s_andn2_b64 vcc, exec, s[46:47]
	s_cbranch_vccz .LBB129_21
	s_branch .LBB129_22
	.section	.rodata,"a",@progbits
	.p2align	6, 0x0
	.amdhsa_kernel _Z35paged_attention_ll4mi_reduce_kernelIDF16_DF16_Li128ELi128ELi256ELi14EEvPT0_PKfS3_PKT_PKiS8_iS3_
		.amdhsa_group_segment_fixed_size 3588
		.amdhsa_private_segment_fixed_size 0
		.amdhsa_kernarg_size 320
		.amdhsa_user_sgpr_count 6
		.amdhsa_user_sgpr_private_segment_buffer 1
		.amdhsa_user_sgpr_dispatch_ptr 0
		.amdhsa_user_sgpr_queue_ptr 0
		.amdhsa_user_sgpr_kernarg_segment_ptr 1
		.amdhsa_user_sgpr_dispatch_id 0
		.amdhsa_user_sgpr_flat_scratch_init 0
		.amdhsa_user_sgpr_kernarg_preload_length 0
		.amdhsa_user_sgpr_kernarg_preload_offset 0
		.amdhsa_user_sgpr_private_segment_size 0
		.amdhsa_uses_dynamic_stack 0
		.amdhsa_system_sgpr_private_segment_wavefront_offset 0
		.amdhsa_system_sgpr_workgroup_id_x 1
		.amdhsa_system_sgpr_workgroup_id_y 1
		.amdhsa_system_sgpr_workgroup_id_z 0
		.amdhsa_system_sgpr_workgroup_info 0
		.amdhsa_system_vgpr_workitem_id 0
		.amdhsa_next_free_vgpr 92
		.amdhsa_next_free_sgpr 57
		.amdhsa_accum_offset 92
		.amdhsa_reserve_vcc 1
		.amdhsa_reserve_flat_scratch 0
		.amdhsa_float_round_mode_32 0
		.amdhsa_float_round_mode_16_64 0
		.amdhsa_float_denorm_mode_32 3
		.amdhsa_float_denorm_mode_16_64 3
		.amdhsa_dx10_clamp 1
		.amdhsa_ieee_mode 1
		.amdhsa_fp16_overflow 0
		.amdhsa_tg_split 0
		.amdhsa_exception_fp_ieee_invalid_op 0
		.amdhsa_exception_fp_denorm_src 0
		.amdhsa_exception_fp_ieee_div_zero 0
		.amdhsa_exception_fp_ieee_overflow 0
		.amdhsa_exception_fp_ieee_underflow 0
		.amdhsa_exception_fp_ieee_inexact 0
		.amdhsa_exception_int_div_zero 0
	.end_amdhsa_kernel
	.section	.text._Z35paged_attention_ll4mi_reduce_kernelIDF16_DF16_Li128ELi128ELi256ELi14EEvPT0_PKfS3_PKT_PKiS8_iS3_,"axG",@progbits,_Z35paged_attention_ll4mi_reduce_kernelIDF16_DF16_Li128ELi128ELi256ELi14EEvPT0_PKfS3_PKT_PKiS8_iS3_,comdat
.Lfunc_end129:
	.size	_Z35paged_attention_ll4mi_reduce_kernelIDF16_DF16_Li128ELi128ELi256ELi14EEvPT0_PKfS3_PKT_PKiS8_iS3_, .Lfunc_end129-_Z35paged_attention_ll4mi_reduce_kernelIDF16_DF16_Li128ELi128ELi256ELi14EEvPT0_PKfS3_PKT_PKiS8_iS3_
                                        ; -- End function
	.section	.AMDGPU.csdata,"",@progbits
; Kernel info:
; codeLenInByte = 11600
; NumSgprs: 61
; NumVgprs: 92
; NumAgprs: 0
; TotalNumVgprs: 92
; ScratchSize: 0
; MemoryBound: 0
; FloatMode: 240
; IeeeMode: 1
; LDSByteSize: 3588 bytes/workgroup (compile time only)
; SGPRBlocks: 7
; VGPRBlocks: 11
; NumSGPRsForWavesPerEU: 61
; NumVGPRsForWavesPerEU: 92
; AccumOffset: 92
; Occupancy: 5
; WaveLimiterHint : 1
; COMPUTE_PGM_RSRC2:SCRATCH_EN: 0
; COMPUTE_PGM_RSRC2:USER_SGPR: 6
; COMPUTE_PGM_RSRC2:TRAP_HANDLER: 0
; COMPUTE_PGM_RSRC2:TGID_X_EN: 1
; COMPUTE_PGM_RSRC2:TGID_Y_EN: 1
; COMPUTE_PGM_RSRC2:TGID_Z_EN: 0
; COMPUTE_PGM_RSRC2:TIDIG_COMP_CNT: 0
; COMPUTE_PGM_RSRC3_GFX90A:ACCUM_OFFSET: 22
; COMPUTE_PGM_RSRC3_GFX90A:TG_SPLIT: 0
	.section	.text._Z35paged_attention_ll4mi_reduce_kernelIDF16_DF16_Li128ELi128ELi256ELi15EEvPT0_PKfS3_PKT_PKiS8_iS3_,"axG",@progbits,_Z35paged_attention_ll4mi_reduce_kernelIDF16_DF16_Li128ELi128ELi256ELi15EEvPT0_PKfS3_PKT_PKiS8_iS3_,comdat
	.protected	_Z35paged_attention_ll4mi_reduce_kernelIDF16_DF16_Li128ELi128ELi256ELi15EEvPT0_PKfS3_PKT_PKiS8_iS3_ ; -- Begin function _Z35paged_attention_ll4mi_reduce_kernelIDF16_DF16_Li128ELi128ELi256ELi15EEvPT0_PKfS3_PKT_PKiS8_iS3_
	.globl	_Z35paged_attention_ll4mi_reduce_kernelIDF16_DF16_Li128ELi128ELi256ELi15EEvPT0_PKfS3_PKT_PKiS8_iS3_
	.p2align	8
	.type	_Z35paged_attention_ll4mi_reduce_kernelIDF16_DF16_Li128ELi128ELi256ELi15EEvPT0_PKfS3_PKT_PKiS8_iS3_,@function
_Z35paged_attention_ll4mi_reduce_kernelIDF16_DF16_Li128ELi128ELi256ELi15EEvPT0_PKfS3_PKT_PKiS8_iS3_: ; @_Z35paged_attention_ll4mi_reduce_kernelIDF16_DF16_Li128ELi128ELi256ELi15EEvPT0_PKfS3_PKT_PKiS8_iS3_
; %bb.0:
	s_load_dwordx2 s[46:47], s[4:5], 0x28
	s_mov_b32 s44, s7
	s_mov_b64 s[0:1], 0
	s_waitcnt lgkmcnt(0)
	s_cmp_lg_u64 s[46:47], 0
	s_cselect_b64 s[48:49], -1, 0
	s_and_b64 vcc, exec, s[48:49]
	s_cbranch_vccz .LBB130_23
; %bb.1:
	s_add_i32 s2, s44, 1
	s_mov_b32 s3, 0
	s_lshl_b64 s[8:9], s[2:3], 2
	s_add_u32 s8, s46, s8
	s_mov_b32 s45, s3
	s_addc_u32 s9, s47, s9
	s_lshl_b64 s[2:3], s[44:45], 2
	s_add_u32 s2, s46, s2
	s_addc_u32 s3, s47, s3
	s_load_dword s7, s[8:9], 0x0
	s_load_dword s10, s[2:3], 0x0
	s_waitcnt lgkmcnt(0)
	s_sub_i32 s2, s7, s10
	s_cmp_eq_u32 s2, 1
	s_cselect_b64 s[2:3], -1, 0
	s_andn2_b64 vcc, exec, s[0:1]
	s_cbranch_vccnz .LBB130_3
.LBB130_2:
	s_mov_b32 s45, 0
	s_mov_b64 s[2:3], -1
.LBB130_3:
	s_andn2_b64 vcc, exec, s[2:3]
	s_cbranch_vccz .LBB130_5
; %bb.4:
	s_endpgm
.LBB130_5:
	s_load_dwordx4 s[36:39], s[4:5], 0x18
	s_load_dword s8, s[4:5], 0x30
	s_lshl_b64 s[50:51], s[44:45], 2
	v_cmp_lt_u32_e32 vcc, 63, v0
	s_waitcnt lgkmcnt(0)
	s_add_u32 s0, s38, s50
	s_addc_u32 s1, s39, s51
	s_load_dword s58, s[0:1], 0x0
	s_load_dword s7, s[4:5], 0x40
	s_mul_i32 s38, s6, s8
	s_mul_i32 s2, s44, s8
	s_waitcnt lgkmcnt(0)
	s_add_i32 s3, s58, 0xff
	s_ashr_i32 s0, s3, 31
	s_lshr_b32 s0, s0, 24
	s_add_i32 s3, s3, s0
	s_and_saveexec_b64 s[0:1], vcc
	s_xor_b64 s[0:1], exec, s[0:1]
	s_or_saveexec_b64 s[52:53], s[0:1]
	s_ashr_i32 s33, s3, 8
	v_mov_b32_e32 v1, s38
	s_mul_i32 s54, s2, s7
	s_xor_b64 exec, exec, s[52:53]
	s_cbranch_execz .LBB130_9
; %bb.6:
	s_add_i32 s0, s33, -1
	v_or_b32_e32 v3, 64, v0
	v_mov_b32_e32 v1, s0
	v_cmp_gt_u32_e64 s[28:29], s33, v3
	v_cndmask_b32_e64 v4, v1, v3, s[28:29]
	v_or_b32_e32 v3, 0x80, v0
	v_cmp_gt_u32_e64 s[26:27], s33, v3
	v_cndmask_b32_e64 v6, v1, v3, s[26:27]
	v_or_b32_e32 v3, 0xc0, v0
	;; [unrolled: 3-line block ×10, first 2 shown]
	s_load_dwordx4 s[40:43], s[4:5], 0x8
	v_cmp_gt_u32_e64 s[8:9], s33, v3
	v_cndmask_b32_e64 v24, v1, v3, s[8:9]
	v_or_b32_e32 v3, 0x300, v0
	v_cmp_gt_u32_e64 s[2:3], s33, v3
	s_mov_b32 s55, 0
	v_cndmask_b32_e64 v26, v1, v3, s[2:3]
	v_or_b32_e32 v3, 0x340, v0
	v_cmp_gt_u32_e64 s[0:1], s33, v3
	s_lshl_b64 s[56:57], s[54:55], 2
	s_mov_b32 s39, s55
	v_cmp_gt_u32_e64 s[30:31], s33, v0
	v_cndmask_b32_e64 v28, v1, v3, s[0:1]
	v_or_b32_e32 v3, 0x380, v0
	s_waitcnt lgkmcnt(0)
	s_add_u32 s34, s42, s56
	v_cndmask_b32_e64 v2, v1, v0, s[30:31]
	v_cmp_gt_u32_e32 vcc, s33, v3
	s_addc_u32 s35, s43, s57
	s_lshl_b64 s[42:43], s[38:39], 2
	v_cndmask_b32_e32 v30, v1, v3, vcc
	s_add_u32 s39, s34, s42
	v_ashrrev_i32_e32 v3, 31, v2
	s_addc_u32 s55, s35, s43
	v_lshlrev_b64 v[2:3], 2, v[2:3]
	v_mov_b32_e32 v1, s55
	v_add_co_u32_e64 v32, s[34:35], s39, v2
	v_ashrrev_i32_e32 v5, 31, v4
	v_addc_co_u32_e64 v33, s[34:35], v1, v3, s[34:35]
	v_lshlrev_b64 v[4:5], 2, v[4:5]
	v_add_co_u32_e64 v34, s[34:35], s39, v4
	v_ashrrev_i32_e32 v7, 31, v6
	v_addc_co_u32_e64 v35, s[34:35], v1, v5, s[34:35]
	v_lshlrev_b64 v[6:7], 2, v[6:7]
	;; [unrolled: 4-line block ×8, first 2 shown]
	global_load_dword v1, v[32:33], off
	global_load_dword v48, v[34:35], off
	;; [unrolled: 1-line block ×7, first 2 shown]
	s_nop 0
	global_load_dword v46, v[46:47], off
	v_mov_b32_e32 v21, s55
	v_add_co_u32_e64 v32, s[34:35], s39, v18
	v_addc_co_u32_e64 v33, s[34:35], v21, v19, s[34:35]
	v_ashrrev_i32_e32 v21, 31, v20
	v_lshlrev_b64 v[20:21], 2, v[20:21]
	v_mov_b32_e32 v23, s55
	v_add_co_u32_e64 v34, s[34:35], s39, v20
	v_addc_co_u32_e64 v35, s[34:35], v23, v21, s[34:35]
	v_ashrrev_i32_e32 v23, 31, v22
	v_lshlrev_b64 v[22:23], 2, v[22:23]
	;; [unrolled: 5-line block ×6, first 2 shown]
	v_mov_b32_e32 v45, s55
	v_add_co_u32_e64 v44, s[34:35], s39, v30
	v_addc_co_u32_e64 v45, s[34:35], v45, v31, s[34:35]
	global_load_dword v32, v[32:33], off
	s_nop 0
	global_load_dword v33, v[34:35], off
	s_nop 0
	global_load_dword v34, v[36:37], off
	global_load_dword v35, v[38:39], off
	s_nop 0
	global_load_dword v36, v[40:41], off
	global_load_dword v37, v[42:43], off
	;; [unrolled: 1-line block ×3, first 2 shown]
	v_mbcnt_lo_u32_b32 v40, -1, 0
	v_mbcnt_hi_u32_b32 v40, -1, v40
	v_and_b32_e32 v41, 64, v40
	v_add_u32_e32 v41, 64, v41
	v_xor_b32_e32 v42, 32, v40
	v_cmp_lt_i32_e64 s[34:35], v42, v41
	v_cndmask_b32_e64 v42, v40, v42, s[34:35]
	v_lshlrev_b32_e32 v42, 2, v42
	s_waitcnt vmcnt(12)
	v_max3_f32 v39, v1, v48, v49
	s_waitcnt vmcnt(10)
	v_max3_f32 v39, v39, v50, v51
	;; [unrolled: 2-line block ×7, first 2 shown]
	ds_bpermute_b32 v43, v42, v39
	s_waitcnt lgkmcnt(0)
	v_max_f32_e32 v43, v43, v43
	v_max_f32_e32 v39, v39, v43
	v_xor_b32_e32 v43, 16, v40
	v_cmp_lt_i32_e64 s[34:35], v43, v41
	v_cndmask_b32_e64 v43, v40, v43, s[34:35]
	v_lshlrev_b32_e32 v43, 2, v43
	ds_bpermute_b32 v44, v43, v39
	s_waitcnt lgkmcnt(0)
	v_max_f32_e32 v44, v44, v44
	v_max_f32_e32 v39, v39, v44
	v_xor_b32_e32 v44, 8, v40
	v_cmp_lt_i32_e64 s[34:35], v44, v41
	v_cndmask_b32_e64 v44, v40, v44, s[34:35]
	v_lshlrev_b32_e32 v44, 2, v44
	;; [unrolled: 8-line block ×4, first 2 shown]
	ds_bpermute_b32 v54, v47, v39
	s_waitcnt lgkmcnt(0)
	v_max_f32_e32 v54, v54, v54
	v_max_f32_e32 v39, v39, v54
	v_xor_b32_e32 v54, 1, v40
	v_cmp_lt_i32_e64 s[34:35], v54, v41
	v_cndmask_b32_e64 v40, v40, v54, s[34:35]
	s_add_u32 s34, s40, s56
	s_addc_u32 s35, s41, s57
	s_add_u32 s39, s34, s42
	s_addc_u32 s40, s35, s43
	v_mov_b32_e32 v54, s40
	v_add_co_u32_e64 v2, s[34:35], s39, v2
	v_addc_co_u32_e64 v3, s[34:35], v54, v3, s[34:35]
	v_add_co_u32_e64 v4, s[34:35], s39, v4
	v_addc_co_u32_e64 v5, s[34:35], v54, v5, s[34:35]
	;; [unrolled: 2-line block ×8, first 2 shown]
	global_load_dword v54, v[2:3], off
	global_load_dword v55, v[4:5], off
	;; [unrolled: 1-line block ×7, first 2 shown]
	s_nop 0
	global_load_dword v16, v[16:17], off
	v_mov_b32_e32 v3, s40
	v_add_co_u32_e64 v2, s[34:35], s39, v18
	v_addc_co_u32_e64 v3, s[34:35], v3, v19, s[34:35]
	v_mov_b32_e32 v5, s40
	v_add_co_u32_e64 v4, s[34:35], s39, v20
	v_lshlrev_b32_e32 v40, 2, v40
	v_addc_co_u32_e64 v5, s[34:35], v5, v21, s[34:35]
	ds_bpermute_b32 v41, v40, v39
	v_mov_b32_e32 v7, s40
	v_add_co_u32_e64 v6, s[34:35], s39, v22
	v_addc_co_u32_e64 v7, s[34:35], v7, v23, s[34:35]
	v_mov_b32_e32 v9, s40
	v_add_co_u32_e64 v8, s[34:35], s39, v24
	v_addc_co_u32_e64 v9, s[34:35], v9, v25, s[34:35]
	;; [unrolled: 3-line block ×3, first 2 shown]
	s_waitcnt lgkmcnt(0)
	v_max_f32_e32 v17, v41, v41
	v_mov_b32_e32 v13, s40
	v_add_co_u32_e64 v12, s[34:35], s39, v28
	v_max_f32_e32 v17, v39, v17
	v_addc_co_u32_e64 v13, s[34:35], v13, v29, s[34:35]
	v_sub_f32_e32 v1, v1, v17
	v_mov_b32_e32 v15, s40
	v_add_co_u32_e64 v14, s[34:35], s39, v30
	s_mov_b32 s39, 0x3fb8aa3b
	v_mul_f32_e32 v18, 0x3fb8aa3b, v1
	v_addc_co_u32_e64 v15, s[34:35], v15, v31, s[34:35]
	v_fma_f32 v19, v1, s39, -v18
	v_rndne_f32_e32 v20, v18
	global_load_dword v2, v[2:3], off
	s_nop 0
	global_load_dword v3, v[4:5], off
	s_nop 0
	global_load_dword v4, v[6:7], off
	global_load_dword v5, v[8:9], off
	s_nop 0
	global_load_dword v6, v[10:11], off
	global_load_dword v7, v[12:13], off
	global_load_dword v8, v[14:15], off
	v_sub_f32_e32 v11, v48, v17
	v_fmac_f32_e32 v19, 0x32a5705f, v1
	v_sub_f32_e32 v18, v18, v20
	v_mul_f32_e32 v12, 0x3fb8aa3b, v11
	v_add_f32_e32 v18, v18, v19
	v_fma_f32 v13, v11, s39, -v12
	v_rndne_f32_e32 v14, v12
	v_exp_f32_e32 v18, v18
	v_cvt_i32_f32_e32 v19, v20
	v_fmac_f32_e32 v13, 0x32a5705f, v11
	v_sub_f32_e32 v12, v12, v14
	v_add_f32_e32 v12, v12, v13
	v_exp_f32_e32 v12, v12
	v_cvt_i32_f32_e32 v13, v14
	s_mov_b32 s40, 0xc2ce8ed0
	v_ldexp_f32 v9, v18, v19
	v_cmp_ngt_f32_e64 s[34:35], s40, v1
	s_mov_b32 s41, 0x42b17218
	v_cndmask_b32_e64 v9, 0, v9, s[34:35]
	v_mov_b32_e32 v10, 0x7f800000
	v_cmp_nlt_f32_e64 s[34:35], s41, v1
	v_cndmask_b32_e64 v1, v10, v9, s[34:35]
	v_ldexp_f32 v9, v12, v13
	v_sub_f32_e32 v12, v49, v17
	v_mul_f32_e32 v13, 0x3fb8aa3b, v12
	v_fma_f32 v14, v12, s39, -v13
	v_rndne_f32_e32 v15, v13
	v_fmac_f32_e32 v14, 0x32a5705f, v12
	v_sub_f32_e32 v13, v13, v15
	v_add_f32_e32 v13, v13, v14
	v_exp_f32_e32 v13, v13
	v_cvt_i32_f32_e32 v14, v15
	v_cndmask_b32_e64 v1, 0, v1, s[30:31]
	v_cmp_ngt_f32_e64 s[30:31], s40, v11
	v_cndmask_b32_e64 v9, 0, v9, s[30:31]
	v_cmp_nlt_f32_e64 s[30:31], s41, v11
	v_ldexp_f32 v11, v13, v14
	v_sub_f32_e32 v13, v50, v17
	v_mul_f32_e32 v14, 0x3fb8aa3b, v13
	v_fma_f32 v15, v13, s39, -v14
	v_rndne_f32_e32 v18, v14
	v_fmac_f32_e32 v15, 0x32a5705f, v13
	v_sub_f32_e32 v14, v14, v18
	v_add_f32_e32 v14, v14, v15
	v_exp_f32_e32 v14, v14
	v_cvt_i32_f32_e32 v15, v18
	v_cndmask_b32_e64 v9, v10, v9, s[30:31]
	v_cndmask_b32_e64 v9, 0, v9, s[28:29]
	v_cmp_ngt_f32_e64 s[28:29], s40, v12
	v_cndmask_b32_e64 v11, 0, v11, s[28:29]
	v_cmp_nlt_f32_e64 s[28:29], s41, v12
	v_ldexp_f32 v12, v14, v15
	v_sub_f32_e32 v14, v51, v17
	v_mul_f32_e32 v15, 0x3fb8aa3b, v14
	v_fma_f32 v18, v14, s39, -v15
	v_rndne_f32_e32 v19, v15
	v_fmac_f32_e32 v18, 0x32a5705f, v14
	v_sub_f32_e32 v15, v15, v19
	v_add_f32_e32 v15, v15, v18
	v_exp_f32_e32 v15, v15
	v_cvt_i32_f32_e32 v18, v19
	v_cndmask_b32_e64 v11, v10, v11, s[28:29]
	;; [unrolled: 15-line block ×5, first 2 shown]
	v_cndmask_b32_e64 v14, 0, v14, s[20:21]
	v_cmp_ngt_f32_e64 s[20:21], s40, v18
	v_cndmask_b32_e64 v15, 0, v15, s[20:21]
	v_cmp_nlt_f32_e64 s[20:21], s41, v18
	v_ldexp_f32 v18, v20, v21
	v_sub_f32_e32 v20, v32, v17
	v_mul_f32_e32 v21, 0x3fb8aa3b, v20
	v_fma_f32 v22, v20, s39, -v21
	v_rndne_f32_e32 v23, v21
	v_fmac_f32_e32 v22, 0x32a5705f, v20
	v_sub_f32_e32 v21, v21, v23
	v_cndmask_b32_e64 v15, v10, v15, s[20:21]
	v_add_f32_e32 v21, v21, v22
	v_cndmask_b32_e64 v15, 0, v15, s[18:19]
	v_cmp_ngt_f32_e64 s[18:19], s40, v19
	v_exp_f32_e32 v21, v21
	v_cvt_i32_f32_e32 v22, v23
	v_cndmask_b32_e64 v18, 0, v18, s[18:19]
	v_cmp_nlt_f32_e64 s[18:19], s41, v19
	v_cndmask_b32_e64 v18, v10, v18, s[18:19]
	v_cndmask_b32_e64 v18, 0, v18, s[16:17]
	v_sub_f32_e32 v19, v33, v17
	s_waitcnt vmcnt(7)
	v_mul_f32_e32 v16, v16, v18
	v_ldexp_f32 v18, v21, v22
	v_mul_f32_e32 v21, 0x3fb8aa3b, v19
	v_fma_f32 v22, v19, s39, -v21
	v_rndne_f32_e32 v23, v21
	v_fmac_f32_e32 v22, 0x32a5705f, v19
	v_sub_f32_e32 v21, v21, v23
	v_add_f32_e32 v21, v21, v22
	v_cmp_ngt_f32_e64 s[16:17], s40, v20
	v_exp_f32_e32 v21, v21
	v_cvt_i32_f32_e32 v22, v23
	v_cndmask_b32_e64 v18, 0, v18, s[16:17]
	v_cmp_nlt_f32_e64 s[16:17], s41, v20
	v_cndmask_b32_e64 v18, v10, v18, s[16:17]
	v_cndmask_b32_e64 v18, 0, v18, s[14:15]
	v_sub_f32_e32 v20, v34, v17
	s_waitcnt vmcnt(6)
	v_mul_f32_e32 v2, v2, v18
	v_ldexp_f32 v18, v21, v22
	v_mul_f32_e32 v21, 0x3fb8aa3b, v20
	v_fma_f32 v22, v20, s39, -v21
	v_rndne_f32_e32 v23, v21
	v_fmac_f32_e32 v22, 0x32a5705f, v20
	v_sub_f32_e32 v21, v21, v23
	v_add_f32_e32 v21, v21, v22
	;; [unrolled: 17-line block ×4, first 2 shown]
	v_exp_f32_e32 v21, v21
	v_cvt_i32_f32_e32 v22, v23
	v_cmp_ngt_f32_e64 s[10:11], s40, v19
	v_cndmask_b32_e64 v18, 0, v18, s[10:11]
	v_cmp_nlt_f32_e64 s[10:11], s41, v19
	v_ldexp_f32 v19, v21, v22
	v_sub_f32_e32 v21, v37, v17
	v_mul_f32_e32 v22, 0x3fb8aa3b, v21
	v_fma_f32 v23, v21, s39, -v22
	v_rndne_f32_e32 v24, v22
	v_fmac_f32_e32 v23, 0x32a5705f, v21
	v_sub_f32_e32 v22, v22, v24
	v_add_f32_e32 v22, v22, v23
	v_exp_f32_e32 v22, v22
	v_cvt_i32_f32_e32 v23, v24
	v_cndmask_b32_e64 v18, v10, v18, s[10:11]
	v_cndmask_b32_e64 v18, 0, v18, s[8:9]
	v_cmp_ngt_f32_e64 s[8:9], s40, v20
	v_sub_f32_e32 v17, v38, v17
	v_cndmask_b32_e64 v19, 0, v19, s[8:9]
	v_cmp_nlt_f32_e64 s[8:9], s41, v20
	v_ldexp_f32 v20, v22, v23
	v_mul_f32_e32 v22, 0x3fb8aa3b, v17
	v_fma_f32 v23, v17, s39, -v22
	v_rndne_f32_e32 v24, v22
	v_fmac_f32_e32 v23, 0x32a5705f, v17
	v_sub_f32_e32 v22, v22, v24
	v_add_f32_e32 v22, v22, v23
	v_cndmask_b32_e64 v19, v10, v19, s[8:9]
	v_exp_f32_e32 v22, v22
	v_cvt_i32_f32_e32 v23, v24
	v_cndmask_b32_e64 v19, 0, v19, s[2:3]
	v_cmp_ngt_f32_e64 s[2:3], s40, v21
	v_cndmask_b32_e64 v20, 0, v20, s[2:3]
	v_cmp_nlt_f32_e64 s[2:3], s41, v21
	v_cndmask_b32_e64 v20, v10, v20, s[2:3]
	v_mul_f32_e32 v1, v54, v1
	v_mul_f32_e32 v9, v55, v9
	v_cndmask_b32_e64 v20, 0, v20, s[0:1]
	v_ldexp_f32 v21, v22, v23
	v_cmp_ngt_f32_e64 s[0:1], s40, v17
	v_mul_f32_e32 v11, v56, v11
	v_cndmask_b32_e64 v21, 0, v21, s[0:1]
	v_cmp_nlt_f32_e64 s[0:1], s41, v17
	v_add_f32_e32 v17, v1, v9
	v_mul_f32_e32 v12, v57, v12
	v_add_f32_e32 v17, v17, v11
	v_mul_f32_e32 v13, v58, v13
	;; [unrolled: 2-line block ×4, first 2 shown]
	v_add_f32_e32 v17, v17, v14
	v_add_f32_e32 v17, v17, v15
	;; [unrolled: 1-line block ×6, first 2 shown]
	s_waitcnt vmcnt(3)
	v_fmac_f32_e32 v17, v5, v18
	v_cndmask_b32_e64 v10, v10, v21, s[0:1]
	s_waitcnt vmcnt(2)
	v_fmac_f32_e32 v17, v6, v19
	v_cndmask_b32_e32 v10, 0, v10, vcc
	s_waitcnt vmcnt(1)
	v_fmac_f32_e32 v17, v7, v20
	s_waitcnt vmcnt(0)
	v_fmac_f32_e32 v17, v8, v10
	ds_bpermute_b32 v21, v42, v17
	v_mul_f32_e32 v5, v5, v18
	v_mul_f32_e32 v8, v8, v10
	v_lshlrev_b32_e32 v10, 2, v0
	ds_write2st64_b32 v10, v1, v9 offset1:1
	s_waitcnt lgkmcnt(1)
	v_add_f32_e32 v17, v17, v21
	ds_bpermute_b32 v21, v43, v17
	ds_write2st64_b32 v10, v11, v12 offset0:2 offset1:3
	ds_write2st64_b32 v10, v13, v14 offset0:4 offset1:5
	;; [unrolled: 1-line block ×4, first 2 shown]
	v_cmp_eq_u32_e32 vcc, 0, v0
	v_mul_f32_e32 v6, v6, v19
	v_mul_f32_e32 v7, v7, v20
	s_waitcnt lgkmcnt(4)
	v_add_f32_e32 v17, v17, v21
	ds_bpermute_b32 v21, v44, v17
	ds_write2st64_b32 v10, v4, v5 offset0:10 offset1:11
	ds_write2st64_b32 v10, v6, v7 offset0:12 offset1:13
	ds_write_b32 v10, v8 offset:3584
	s_waitcnt lgkmcnt(3)
	v_add_f32_e32 v17, v17, v21
	ds_bpermute_b32 v18, v45, v17
	s_waitcnt lgkmcnt(0)
	v_add_f32_e32 v1, v17, v18
	ds_bpermute_b32 v9, v47, v1
	;; [unrolled: 3-line block ×3, first 2 shown]
	s_and_saveexec_b64 s[0:1], vcc
	s_cbranch_execz .LBB130_8
; %bb.7:
	s_waitcnt lgkmcnt(0)
	v_add_f32_e32 v1, v1, v2
	v_mov_b32_e32 v2, 0
	ds_write_b32 v2, v1 offset:3840
.LBB130_8:
	s_or_b64 exec, exec, s[0:1]
	v_mov_b32_e32 v1, s38
.LBB130_9:
	s_or_b64 exec, exec, s[52:53]
	s_lshl_b32 s0, s54, 7
	s_mov_b32 s1, 0
	s_lshl_b64 s[0:1], s[0:1], 1
	s_add_u32 s0, s36, s0
	s_addc_u32 s1, s37, s1
	s_lshl_b32 s10, s33, 7
	s_waitcnt lgkmcnt(0)
	v_lshlrev_b32_e32 v2, 7, v1
	v_mov_b32_e32 v3, 0
	s_add_i32 s11, s10, 0xffffff80
	v_lshlrev_b64 v[4:5], 1, v[2:3]
	s_cmp_lt_i32 s58, 1
	v_mov_b32_e32 v1, s1
	v_add_co_u32_e32 v2, vcc, s0, v4
	s_cselect_b32 s0, s11, 0
	v_addc_co_u32_e32 v4, vcc, v1, v5, vcc
	v_lshlrev_b32_e32 v0, 1, v0
	s_ashr_i32 s1, s0, 31
	v_add_co_u32_e32 v1, vcc, v2, v0
	s_lshl_b64 s[0:1], s[0:1], 1
	v_addc_co_u32_e32 v2, vcc, 0, v4, vcc
	s_cmpk_lt_i32 s58, 0x101
	v_add_co_u32_e32 v12, vcc, s0, v1
	s_cselect_b32 s0, s11, 0x80
	v_mov_b32_e32 v4, s1
	s_ashr_i32 s1, s0, 31
	s_lshl_b64 s[0:1], s[0:1], 1
	v_addc_co_u32_e32 v13, vcc, v2, v4, vcc
	s_cmpk_lt_i32 s58, 0x201
	v_add_co_u32_e32 v14, vcc, s0, v1
	s_cselect_b32 s0, s11, 0x100
	v_mov_b32_e32 v4, s1
	s_ashr_i32 s1, s0, 31
	;; [unrolled: 7-line block ×8, first 2 shown]
	s_lshl_b64 s[0:1], s[0:1], 1
	v_addc_co_u32_e32 v27, vcc, v2, v4, vcc
	s_cmpk_lt_i32 s58, 0x901
	global_load_ushort v4, v[12:13], off
	global_load_ushort v5, v[14:15], off
	;; [unrolled: 1-line block ×8, first 2 shown]
	v_add_co_u32_e32 v20, vcc, s0, v1
	s_cselect_b32 s0, s11, 0x480
	v_mov_b32_e32 v12, s1
	s_ashr_i32 s1, s0, 31
	s_lshl_b64 s[0:1], s[0:1], 1
	v_addc_co_u32_e32 v21, vcc, v2, v12, vcc
	s_cmpk_lt_i32 s58, 0xa01
	v_add_co_u32_e32 v22, vcc, s0, v1
	s_cselect_b32 s0, s11, 0x500
	v_mov_b32_e32 v12, s1
	s_ashr_i32 s1, s0, 31
	s_lshl_b64 s[0:1], s[0:1], 1
	v_addc_co_u32_e32 v23, vcc, v2, v12, vcc
	s_cmpk_lt_i32 s58, 0xb01
	;; [unrolled: 7-line block ×6, first 2 shown]
	v_add_co_u32_e32 v32, vcc, s0, v1
	s_cselect_b32 s0, s11, 0x780
	v_mov_b32_e32 v12, s1
	s_ashr_i32 s1, s0, 31
	v_addc_co_u32_e32 v33, vcc, v2, v12, vcc
	s_lshl_b64 s[0:1], s[0:1], 1
	v_mov_b32_e32 v12, s1
	v_add_co_u32_e32 v34, vcc, s0, v1
	v_addc_co_u32_e32 v35, vcc, v2, v12, vcc
	global_load_ushort v12, v[20:21], off
	global_load_ushort v13, v[22:23], off
	global_load_ushort v14, v[24:25], off
	global_load_ushort v15, v[26:27], off
	global_load_ushort v16, v[28:29], off
	global_load_ushort v17, v[30:31], off
	global_load_ushort v18, v[32:33], off
	global_load_ushort v19, v[34:35], off
	s_cmpk_gt_i32 s58, 0x1000
	s_cselect_b64 s[8:9], -1, 0
	s_cmpk_lt_i32 s58, 0x1001
	v_mov_b32_e32 v36, 0
	v_mov_b32_e32 v37, 0
	;; [unrolled: 1-line block ×48, first 2 shown]
	s_barrier
	s_cbranch_scc1 .LBB130_12
; %bb.10:
	s_cmpk_lt_u32 s58, 0x1101
	s_cselect_b32 s0, s11, 0x880
	s_ashr_i32 s1, s0, 31
	v_add_co_u32_e32 v28, vcc, 0x1000, v1
	s_lshl_b64 s[0:1], s[0:1], 1
	v_addc_co_u32_e32 v29, vcc, 0, v2, vcc
	s_cmpk_lt_u32 s58, 0x1201
	v_add_co_u32_e32 v30, vcc, s0, v1
	s_cselect_b32 s0, s11, 0x900
	v_mov_b32_e32 v20, s1
	s_ashr_i32 s1, s0, 31
	s_lshl_b64 s[0:1], s[0:1], 1
	v_addc_co_u32_e32 v31, vcc, v2, v20, vcc
	s_cmpk_lt_u32 s58, 0x1301
	v_add_co_u32_e32 v32, vcc, s0, v1
	s_cselect_b32 s0, s11, 0x980
	v_mov_b32_e32 v20, s1
	s_ashr_i32 s1, s0, 31
	;; [unrolled: 7-line block ×7, first 2 shown]
	s_lshl_b64 s[0:1], s[0:1], 1
	v_addc_co_u32_e32 v43, vcc, v2, v20, vcc
	s_cmpk_lt_u32 s58, 0x1901
	global_load_ushort v27, v[28:29], off
	global_load_ushort v26, v[30:31], off
	;; [unrolled: 1-line block ×8, first 2 shown]
	v_add_co_u32_e32 v36, vcc, s0, v1
	s_cselect_b32 s0, s11, 0xc80
	v_mov_b32_e32 v28, s1
	s_ashr_i32 s1, s0, 31
	s_lshl_b64 s[0:1], s[0:1], 1
	v_addc_co_u32_e32 v37, vcc, v2, v28, vcc
	s_cmpk_lt_u32 s58, 0x1a01
	v_add_co_u32_e32 v38, vcc, s0, v1
	s_cselect_b32 s0, s11, 0xd00
	v_mov_b32_e32 v28, s1
	s_ashr_i32 s1, s0, 31
	s_lshl_b64 s[0:1], s[0:1], 1
	v_addc_co_u32_e32 v39, vcc, v2, v28, vcc
	s_cmpk_lt_u32 s58, 0x1b01
	;; [unrolled: 7-line block ×6, first 2 shown]
	v_add_co_u32_e32 v48, vcc, s0, v1
	s_cselect_b32 s0, s11, 0xf80
	v_mov_b32_e32 v28, s1
	s_ashr_i32 s1, s0, 31
	v_addc_co_u32_e32 v49, vcc, v2, v28, vcc
	s_lshl_b64 s[0:1], s[0:1], 1
	v_mov_b32_e32 v28, s1
	v_add_co_u32_e32 v50, vcc, s0, v1
	v_addc_co_u32_e32 v51, vcc, v2, v28, vcc
	global_load_ushort v35, v[36:37], off
	global_load_ushort v34, v[38:39], off
	;; [unrolled: 1-line block ×8, first 2 shown]
	s_cmpk_lt_u32 s58, 0x2001
	v_mov_b32_e32 v67, 0
	v_mov_b32_e32 v66, 0
	;; [unrolled: 1-line block ×32, first 2 shown]
	s_cbranch_scc1 .LBB130_12
; %bb.11:
	s_cmpk_lt_u32 s58, 0x2101
	s_cselect_b32 s0, s11, 0x1080
	s_ashr_i32 s1, s0, 31
	v_add_co_u32_e32 v36, vcc, 0x2000, v1
	s_lshl_b64 s[0:1], s[0:1], 1
	v_addc_co_u32_e32 v37, vcc, 0, v2, vcc
	s_cmpk_lt_u32 s58, 0x2201
	v_add_co_u32_e32 v38, vcc, s0, v1
	s_cselect_b32 s0, s11, 0x1100
	v_mov_b32_e32 v39, s1
	s_ashr_i32 s1, s0, 31
	s_lshl_b64 s[0:1], s[0:1], 1
	v_addc_co_u32_e32 v39, vcc, v2, v39, vcc
	s_cmpk_lt_u32 s58, 0x2301
	v_add_co_u32_e32 v40, vcc, s0, v1
	s_cselect_b32 s0, s11, 0x1180
	v_mov_b32_e32 v41, s1
	s_ashr_i32 s1, s0, 31
	s_lshl_b64 s[0:1], s[0:1], 1
	v_addc_co_u32_e32 v41, vcc, v2, v41, vcc
	s_cmpk_lt_u32 s58, 0x2401
	v_add_co_u32_e32 v42, vcc, s0, v1
	s_cselect_b32 s0, s11, 0x1200
	v_mov_b32_e32 v43, s1
	s_ashr_i32 s1, s0, 31
	s_lshl_b64 s[0:1], s[0:1], 1
	v_addc_co_u32_e32 v43, vcc, v2, v43, vcc
	s_cmpk_lt_u32 s58, 0x2501
	v_add_co_u32_e32 v44, vcc, s0, v1
	s_cselect_b32 s0, s11, 0x1280
	v_mov_b32_e32 v45, s1
	s_ashr_i32 s1, s0, 31
	s_lshl_b64 s[0:1], s[0:1], 1
	v_addc_co_u32_e32 v45, vcc, v2, v45, vcc
	s_cmpk_lt_u32 s58, 0x2601
	v_add_co_u32_e32 v46, vcc, s0, v1
	s_cselect_b32 s0, s11, 0x1300
	v_mov_b32_e32 v47, s1
	s_ashr_i32 s1, s0, 31
	s_lshl_b64 s[0:1], s[0:1], 1
	v_addc_co_u32_e32 v47, vcc, v2, v47, vcc
	s_cmpk_lt_u32 s58, 0x2701
	v_add_co_u32_e32 v48, vcc, s0, v1
	s_cselect_b32 s0, s11, 0x1380
	v_mov_b32_e32 v49, s1
	s_ashr_i32 s1, s0, 31
	s_lshl_b64 s[0:1], s[0:1], 1
	v_addc_co_u32_e32 v49, vcc, v2, v49, vcc
	s_cmpk_lt_u32 s58, 0x2801
	v_add_co_u32_e32 v50, vcc, s0, v1
	s_cselect_b32 s0, s11, 0x1400
	v_mov_b32_e32 v51, s1
	s_ashr_i32 s1, s0, 31
	s_lshl_b64 s[0:1], s[0:1], 1
	v_addc_co_u32_e32 v51, vcc, v2, v51, vcc
	s_cmpk_lt_u32 s58, 0x2901
	global_load_ushort v52, v[36:37], off
	global_load_ushort v53, v[38:39], off
	global_load_ushort v54, v[40:41], off
	global_load_ushort v55, v[42:43], off
	global_load_ushort v56, v[44:45], off
	global_load_ushort v57, v[46:47], off
	global_load_ushort v58, v[48:49], off
	global_load_ushort v59, v[50:51], off
	v_add_co_u32_e32 v36, vcc, s0, v1
	s_cselect_b32 s0, s11, 0x1480
	v_mov_b32_e32 v37, s1
	s_ashr_i32 s1, s0, 31
	s_lshl_b64 s[0:1], s[0:1], 1
	v_addc_co_u32_e32 v37, vcc, v2, v37, vcc
	s_cmpk_lt_u32 s58, 0x2a01
	v_add_co_u32_e32 v38, vcc, s0, v1
	s_cselect_b32 s0, s11, 0x1500
	v_mov_b32_e32 v39, s1
	s_ashr_i32 s1, s0, 31
	s_lshl_b64 s[0:1], s[0:1], 1
	v_addc_co_u32_e32 v39, vcc, v2, v39, vcc
	s_cmpk_lt_u32 s58, 0x2b01
	v_add_co_u32_e32 v40, vcc, s0, v1
	s_cselect_b32 s0, s11, 0x1580
	v_mov_b32_e32 v41, s1
	s_ashr_i32 s1, s0, 31
	s_lshl_b64 s[0:1], s[0:1], 1
	v_addc_co_u32_e32 v41, vcc, v2, v41, vcc
	s_cmpk_lt_u32 s58, 0x2c01
	v_add_co_u32_e32 v42, vcc, s0, v1
	s_cselect_b32 s0, s11, 0x1600
	v_mov_b32_e32 v43, s1
	s_ashr_i32 s1, s0, 31
	s_lshl_b64 s[0:1], s[0:1], 1
	v_addc_co_u32_e32 v43, vcc, v2, v43, vcc
	s_cmpk_lt_u32 s58, 0x2d01
	v_add_co_u32_e32 v44, vcc, s0, v1
	s_cselect_b32 s0, s11, 0x1680
	v_mov_b32_e32 v45, s1
	s_ashr_i32 s1, s0, 31
	s_lshl_b64 s[0:1], s[0:1], 1
	v_addc_co_u32_e32 v45, vcc, v2, v45, vcc
	s_cmpk_lt_u32 s58, 0x2e01
	v_add_co_u32_e32 v46, vcc, s0, v1
	s_cselect_b32 s0, s11, 0x1700
	v_mov_b32_e32 v47, s1
	s_ashr_i32 s1, s0, 31
	s_lshl_b64 s[0:1], s[0:1], 1
	v_addc_co_u32_e32 v47, vcc, v2, v47, vcc
	s_cmpk_lt_u32 s58, 0x2f01
	v_add_co_u32_e32 v48, vcc, s0, v1
	s_cselect_b32 s0, s11, 0x1780
	v_mov_b32_e32 v49, s1
	s_ashr_i32 s1, s0, 31
	s_lshl_b64 s[0:1], s[0:1], 1
	v_addc_co_u32_e32 v49, vcc, v2, v49, vcc
	s_cmpk_lt_u32 s58, 0x3001
	v_add_co_u32_e32 v50, vcc, s0, v1
	s_cselect_b32 s0, s11, 0x1800
	v_mov_b32_e32 v51, s1
	s_ashr_i32 s1, s0, 31
	s_lshl_b64 s[0:1], s[0:1], 1
	v_addc_co_u32_e32 v51, vcc, v2, v51, vcc
	s_cmpk_lt_u32 s58, 0x3101
	global_load_ushort v68, v[36:37], off
	global_load_ushort v69, v[38:39], off
	global_load_ushort v70, v[40:41], off
	global_load_ushort v71, v[42:43], off
	global_load_ushort v72, v[44:45], off
	global_load_ushort v73, v[46:47], off
	global_load_ushort v74, v[48:49], off
	global_load_ushort v75, v[50:51], off
	v_add_co_u32_e32 v36, vcc, s0, v1
	s_cselect_b32 s0, s11, 0x1880
	v_mov_b32_e32 v37, s1
	s_ashr_i32 s1, s0, 31
	;; [unrolled: 64-line block ×3, first 2 shown]
	s_lshl_b64 s[0:1], s[0:1], 1
	v_addc_co_u32_e32 v37, vcc, v2, v37, vcc
	s_cmpk_lt_u32 s58, 0x3a01
	v_add_co_u32_e32 v38, vcc, s0, v1
	s_cselect_b32 s0, s11, 0x1d00
	v_mov_b32_e32 v39, s1
	s_ashr_i32 s1, s0, 31
	s_lshl_b64 s[0:1], s[0:1], 1
	v_addc_co_u32_e32 v39, vcc, v2, v39, vcc
	s_cmpk_lt_u32 s58, 0x3b01
	v_add_co_u32_e32 v40, vcc, s0, v1
	s_cselect_b32 s0, s11, 0x1d80
	v_mov_b32_e32 v41, s1
	s_ashr_i32 s1, s0, 31
	s_lshl_b64 s[0:1], s[0:1], 1
	v_addc_co_u32_e32 v41, vcc, v2, v41, vcc
	s_cmpk_lt_u32 s58, 0x3c01
	v_add_co_u32_e32 v42, vcc, s0, v1
	s_cselect_b32 s0, s11, 0x1e00
	v_mov_b32_e32 v43, s1
	s_ashr_i32 s1, s0, 31
	s_lshl_b64 s[0:1], s[0:1], 1
	v_addc_co_u32_e32 v43, vcc, v2, v43, vcc
	s_cmpk_lt_u32 s58, 0x3d01
	v_add_co_u32_e32 v44, vcc, s0, v1
	s_cselect_b32 s0, s11, 0x1e80
	v_mov_b32_e32 v45, s1
	s_ashr_i32 s1, s0, 31
	s_lshl_b64 s[0:1], s[0:1], 1
	v_addc_co_u32_e32 v45, vcc, v2, v45, vcc
	s_cmpk_lt_u32 s58, 0x3e01
	v_add_co_u32_e32 v46, vcc, s0, v1
	s_cselect_b32 s0, s11, 0x1f00
	v_mov_b32_e32 v47, s1
	s_ashr_i32 s1, s0, 31
	s_lshl_b64 s[0:1], s[0:1], 1
	v_addc_co_u32_e32 v47, vcc, v2, v47, vcc
	s_cmpk_lt_u32 s58, 0x3f01
	v_add_co_u32_e32 v48, vcc, s0, v1
	s_cselect_b32 s0, s11, 0x1f80
	v_mov_b32_e32 v49, s1
	s_ashr_i32 s1, s0, 31
	v_addc_co_u32_e32 v49, vcc, v2, v49, vcc
	s_lshl_b64 s[0:1], s[0:1], 1
	v_mov_b32_e32 v51, s1
	v_add_co_u32_e32 v50, vcc, s0, v1
	v_addc_co_u32_e32 v51, vcc, v2, v51, vcc
	global_load_ushort v84, v[36:37], off
	global_load_ushort v85, v[38:39], off
	;; [unrolled: 1-line block ×8, first 2 shown]
	s_waitcnt vmcnt(31)
	v_cvt_f32_f16_e32 v67, v52
	s_waitcnt vmcnt(30)
	v_cvt_f32_f16_e32 v66, v53
	;; [unrolled: 2-line block ×32, first 2 shown]
.LBB130_12:
	ds_read_b128 v[68:71], v3
	s_load_dwordx2 s[0:1], s[4:5], 0x0
	s_load_dwordx2 s[2:3], s[4:5], 0x38
	ds_read_b128 v[72:75], v3 offset:16
	ds_read_b128 v[76:79], v3 offset:32
	;; [unrolled: 1-line block ×3, first 2 shown]
	s_and_b64 vcc, exec, s[8:9]
	s_waitcnt vmcnt(15) lgkmcnt(0)
	v_fma_mix_f32 v4, v68, v4, 0 op_sel_hi:[0,1,0]
	s_waitcnt vmcnt(14)
	v_fma_mix_f32 v4, v69, v5, v4 op_sel_hi:[0,1,0]
	s_waitcnt vmcnt(13)
	;; [unrolled: 2-line block ×15, first 2 shown]
	v_fma_mix_f32 v4, v83, v19, v4 op_sel_hi:[0,1,0]
	s_cbranch_vccz .LBB130_15
; %bb.13:
	ds_read_b128 v[6:9], v3 offset:64
	ds_read_b128 v[10:13], v3 offset:80
	;; [unrolled: 1-line block ×4, first 2 shown]
	s_cmpk_lt_u32 s58, 0x2001
	s_waitcnt lgkmcnt(3)
	v_fma_mix_f32 v3, v6, v27, v4 op_sel_hi:[0,1,0]
	v_fma_mix_f32 v3, v7, v26, v3 op_sel_hi:[0,1,0]
	v_fma_mix_f32 v3, v8, v25, v3 op_sel_hi:[0,1,0]
	v_fma_mix_f32 v3, v9, v24, v3 op_sel_hi:[0,1,0]
	s_waitcnt lgkmcnt(2)
	v_fma_mix_f32 v3, v10, v23, v3 op_sel_hi:[0,1,0]
	v_fma_mix_f32 v3, v11, v22, v3 op_sel_hi:[0,1,0]
	v_fma_mix_f32 v3, v12, v20, v3 op_sel_hi:[0,1,0]
	v_fma_mix_f32 v3, v13, v21, v3 op_sel_hi:[0,1,0]
	;; [unrolled: 5-line block ×4, first 2 shown]
	s_cbranch_scc1 .LBB130_15
; %bb.14:
	v_mov_b32_e32 v3, 0
	ds_read_b128 v[6:9], v3 offset:128
	ds_read_b128 v[10:13], v3 offset:144
	;; [unrolled: 1-line block ×4, first 2 shown]
	s_waitcnt lgkmcnt(3)
	v_fmac_f32_e32 v4, v6, v67
	v_fmac_f32_e32 v4, v7, v66
	v_fmac_f32_e32 v4, v8, v65
	v_fmac_f32_e32 v4, v9, v64
	s_waitcnt lgkmcnt(2)
	v_fmac_f32_e32 v4, v10, v63
	v_fmac_f32_e32 v4, v11, v62
	v_fmac_f32_e32 v4, v12, v61
	v_fmac_f32_e32 v4, v13, v60
	s_waitcnt lgkmcnt(1)
	v_fmac_f32_e32 v4, v14, v59
	v_fmac_f32_e32 v4, v15, v58
	v_fmac_f32_e32 v4, v16, v57
	v_fmac_f32_e32 v4, v17, v56
	ds_read_b128 v[6:9], v3 offset:192
	ds_read_b128 v[10:13], v3 offset:208
	s_waitcnt lgkmcnt(2)
	v_fmac_f32_e32 v4, v18, v55
	v_fmac_f32_e32 v4, v19, v54
	;; [unrolled: 1-line block ×4, first 2 shown]
	s_waitcnt lgkmcnt(1)
	v_fmac_f32_e32 v4, v6, v51
	v_fmac_f32_e32 v4, v7, v50
	;; [unrolled: 1-line block ×4, first 2 shown]
	ds_read_b128 v[6:9], v3 offset:224
	s_waitcnt lgkmcnt(1)
	v_fmac_f32_e32 v4, v10, v47
	v_fmac_f32_e32 v4, v11, v46
	;; [unrolled: 1-line block ×4, first 2 shown]
	ds_read_b128 v[10:13], v3 offset:240
	s_waitcnt lgkmcnt(1)
	v_fmac_f32_e32 v4, v6, v43
	v_fmac_f32_e32 v4, v7, v42
	;; [unrolled: 1-line block ×4, first 2 shown]
	s_waitcnt lgkmcnt(0)
	v_fmac_f32_e32 v4, v10, v39
	v_fmac_f32_e32 v4, v11, v38
	;; [unrolled: 1-line block ×4, first 2 shown]
.LBB130_15:
	s_movk_i32 s4, 0x3f80
	s_movk_i32 s5, 0x100
	s_mov_b32 s8, 64
	s_branch .LBB130_17
.LBB130_16:                             ;   in Loop: Header=BB130_17 Depth=1
	s_addk_i32 s4, 0x2000
	s_addk_i32 s5, 0x100
	s_add_i32 s8, s8, 64
	s_cmp_eq_u32 s4, 0x1ff80
	s_cbranch_scc1 .LBB130_19
.LBB130_17:                             ; =>This Inner Loop Header: Depth=1
	s_cmp_le_i32 s33, s8
	s_cbranch_scc1 .LBB130_16
; %bb.18:                               ;   in Loop: Header=BB130_17 Depth=1
	s_add_i32 s9, s4, 0xffffe080
	s_cmp_lt_i32 s9, s10
	s_cselect_b32 s12, s9, s11
	s_ashr_i32 s13, s12, 31
	s_lshl_b64 s[12:13], s[12:13], 1
	s_add_i32 s9, s4, 0xffffe100
	s_cmp_lt_i32 s9, s10
	v_add_co_u32_e32 v12, vcc, s12, v1
	s_cselect_b32 s12, s9, s11
	v_mov_b32_e32 v3, s13
	s_ashr_i32 s13, s12, 31
	s_lshl_b64 s[12:13], s[12:13], 1
	s_add_i32 s9, s4, 0xffffe180
	v_addc_co_u32_e32 v13, vcc, v2, v3, vcc
	s_cmp_lt_i32 s9, s10
	v_add_co_u32_e32 v14, vcc, s12, v1
	s_cselect_b32 s12, s9, s11
	v_mov_b32_e32 v3, s13
	s_ashr_i32 s13, s12, 31
	s_lshl_b64 s[12:13], s[12:13], 1
	s_add_i32 s9, s4, 0xffffe200
	v_addc_co_u32_e32 v15, vcc, v2, v3, vcc
	;; [unrolled: 8-line block ×8, first 2 shown]
	s_cmp_lt_i32 s9, s10
	global_load_ushort v3, v[12:13], off
	global_load_ushort v5, v[14:15], off
	global_load_ushort v6, v[16:17], off
	global_load_ushort v7, v[18:19], off
	global_load_ushort v8, v[20:21], off
	global_load_ushort v9, v[22:23], off
	global_load_ushort v10, v[24:25], off
	global_load_ushort v11, v[26:27], off
	v_add_co_u32_e32 v20, vcc, s12, v1
	s_cselect_b32 s12, s9, s11
	v_mov_b32_e32 v12, s13
	s_ashr_i32 s13, s12, 31
	s_lshl_b64 s[12:13], s[12:13], 1
	s_add_i32 s9, s4, 0xffffe580
	v_addc_co_u32_e32 v21, vcc, v2, v12, vcc
	s_cmp_lt_i32 s9, s10
	v_add_co_u32_e32 v22, vcc, s12, v1
	s_cselect_b32 s12, s9, s11
	v_mov_b32_e32 v12, s13
	s_ashr_i32 s13, s12, 31
	s_lshl_b64 s[12:13], s[12:13], 1
	s_add_i32 s9, s4, 0xffffe600
	v_addc_co_u32_e32 v23, vcc, v2, v12, vcc
	s_cmp_lt_i32 s9, s10
	v_add_co_u32_e32 v24, vcc, s12, v1
	s_cselect_b32 s12, s9, s11
	v_mov_b32_e32 v12, s13
	s_ashr_i32 s13, s12, 31
	s_lshl_b64 s[12:13], s[12:13], 1
	s_add_i32 s9, s4, 0xffffe680
	v_addc_co_u32_e32 v25, vcc, v2, v12, vcc
	s_cmp_lt_i32 s9, s10
	v_add_co_u32_e32 v26, vcc, s12, v1
	s_cselect_b32 s12, s9, s11
	v_mov_b32_e32 v12, s13
	s_ashr_i32 s13, s12, 31
	s_lshl_b64 s[12:13], s[12:13], 1
	s_add_i32 s9, s4, 0xffffe700
	v_addc_co_u32_e32 v27, vcc, v2, v12, vcc
	s_cmp_lt_i32 s9, s10
	v_add_co_u32_e32 v28, vcc, s12, v1
	s_cselect_b32 s12, s9, s11
	v_mov_b32_e32 v12, s13
	s_ashr_i32 s13, s12, 31
	s_lshl_b64 s[12:13], s[12:13], 1
	s_add_i32 s9, s4, 0xffffe780
	v_addc_co_u32_e32 v29, vcc, v2, v12, vcc
	s_cmp_lt_i32 s9, s10
	v_add_co_u32_e32 v30, vcc, s12, v1
	s_cselect_b32 s12, s9, s11
	v_mov_b32_e32 v12, s13
	s_ashr_i32 s13, s12, 31
	s_lshl_b64 s[12:13], s[12:13], 1
	s_add_i32 s9, s4, 0xffffe800
	v_addc_co_u32_e32 v31, vcc, v2, v12, vcc
	s_cmp_lt_i32 s9, s10
	v_add_co_u32_e32 v32, vcc, s12, v1
	s_cselect_b32 s12, s9, s11
	v_mov_b32_e32 v12, s13
	s_ashr_i32 s13, s12, 31
	s_lshl_b64 s[12:13], s[12:13], 1
	s_add_i32 s9, s4, 0xffffe880
	v_addc_co_u32_e32 v33, vcc, v2, v12, vcc
	s_cmp_lt_i32 s9, s10
	v_add_co_u32_e32 v34, vcc, s12, v1
	s_cselect_b32 s12, s9, s11
	v_mov_b32_e32 v12, s13
	s_ashr_i32 s13, s12, 31
	s_lshl_b64 s[12:13], s[12:13], 1
	s_add_i32 s9, s4, 0xffffe900
	v_addc_co_u32_e32 v35, vcc, v2, v12, vcc
	s_cmp_lt_i32 s9, s10
	global_load_ushort v15, v[20:21], off
	global_load_ushort v16, v[22:23], off
	;; [unrolled: 1-line block ×8, first 2 shown]
	v_add_co_u32_e32 v28, vcc, s12, v1
	s_cselect_b32 s12, s9, s11
	v_mov_b32_e32 v20, s13
	s_ashr_i32 s13, s12, 31
	s_lshl_b64 s[12:13], s[12:13], 1
	s_add_i32 s9, s4, 0xffffe980
	v_addc_co_u32_e32 v29, vcc, v2, v20, vcc
	s_cmp_lt_i32 s9, s10
	v_add_co_u32_e32 v30, vcc, s12, v1
	s_cselect_b32 s12, s9, s11
	v_mov_b32_e32 v20, s13
	s_ashr_i32 s13, s12, 31
	s_lshl_b64 s[12:13], s[12:13], 1
	s_add_i32 s9, s4, 0xffffea00
	v_addc_co_u32_e32 v31, vcc, v2, v20, vcc
	s_cmp_lt_i32 s9, s10
	;; [unrolled: 8-line block ×8, first 2 shown]
	global_load_ushort v23, v[28:29], off
	global_load_ushort v24, v[30:31], off
	;; [unrolled: 1-line block ×8, first 2 shown]
	v_add_co_u32_e32 v36, vcc, s12, v1
	s_cselect_b32 s12, s9, s11
	v_mov_b32_e32 v28, s13
	s_ashr_i32 s13, s12, 31
	s_lshl_b64 s[12:13], s[12:13], 1
	s_add_i32 s9, s4, 0xffffed80
	v_addc_co_u32_e32 v37, vcc, v2, v28, vcc
	s_cmp_lt_i32 s9, s10
	v_add_co_u32_e32 v38, vcc, s12, v1
	s_cselect_b32 s12, s9, s11
	v_mov_b32_e32 v28, s13
	s_ashr_i32 s13, s12, 31
	s_lshl_b64 s[12:13], s[12:13], 1
	s_add_i32 s9, s4, 0xffffee00
	v_addc_co_u32_e32 v39, vcc, v2, v28, vcc
	s_cmp_lt_i32 s9, s10
	;; [unrolled: 8-line block ×8, first 2 shown]
	global_load_ushort v31, v[36:37], off
	global_load_ushort v32, v[38:39], off
	;; [unrolled: 1-line block ×8, first 2 shown]
	v_add_co_u32_e32 v36, vcc, s12, v1
	s_cselect_b32 s12, s9, s11
	v_mov_b32_e32 v37, s13
	s_ashr_i32 s13, s12, 31
	s_lshl_b64 s[12:13], s[12:13], 1
	s_add_i32 s9, s4, 0xfffff180
	v_addc_co_u32_e32 v37, vcc, v2, v37, vcc
	s_cmp_lt_i32 s9, s10
	v_add_co_u32_e32 v38, vcc, s12, v1
	s_cselect_b32 s12, s9, s11
	v_mov_b32_e32 v39, s13
	s_ashr_i32 s13, s12, 31
	s_lshl_b64 s[12:13], s[12:13], 1
	s_add_i32 s9, s4, 0xfffff200
	v_addc_co_u32_e32 v39, vcc, v2, v39, vcc
	s_cmp_lt_i32 s9, s10
	;; [unrolled: 8-line block ×8, first 2 shown]
	global_load_ushort v52, v[36:37], off
	global_load_ushort v53, v[38:39], off
	;; [unrolled: 1-line block ×8, first 2 shown]
	v_add_co_u32_e32 v36, vcc, s12, v1
	s_cselect_b32 s12, s9, s11
	v_mov_b32_e32 v37, s13
	s_ashr_i32 s13, s12, 31
	s_lshl_b64 s[12:13], s[12:13], 1
	s_add_i32 s9, s4, 0xfffff580
	v_addc_co_u32_e32 v37, vcc, v2, v37, vcc
	s_cmp_lt_i32 s9, s10
	v_add_co_u32_e32 v38, vcc, s12, v1
	s_cselect_b32 s12, s9, s11
	v_mov_b32_e32 v39, s13
	s_ashr_i32 s13, s12, 31
	s_lshl_b64 s[12:13], s[12:13], 1
	s_add_i32 s9, s4, 0xfffff600
	v_addc_co_u32_e32 v39, vcc, v2, v39, vcc
	s_cmp_lt_i32 s9, s10
	;; [unrolled: 8-line block ×8, first 2 shown]
	global_load_ushort v60, v[36:37], off
	global_load_ushort v61, v[38:39], off
	global_load_ushort v62, v[40:41], off
	global_load_ushort v63, v[42:43], off
	global_load_ushort v64, v[44:45], off
	global_load_ushort v65, v[46:47], off
	global_load_ushort v66, v[48:49], off
	global_load_ushort v67, v[50:51], off
	v_add_co_u32_e32 v36, vcc, s12, v1
	s_cselect_b32 s12, s9, s11
	v_mov_b32_e32 v37, s13
	s_ashr_i32 s13, s12, 31
	s_lshl_b64 s[12:13], s[12:13], 1
	s_add_i32 s9, s4, 0xfffff980
	v_addc_co_u32_e32 v37, vcc, v2, v37, vcc
	s_cmp_lt_i32 s9, s10
	v_add_co_u32_e32 v38, vcc, s12, v1
	s_cselect_b32 s12, s9, s11
	v_mov_b32_e32 v39, s13
	s_ashr_i32 s13, s12, 31
	s_lshl_b64 s[12:13], s[12:13], 1
	s_add_i32 s9, s4, 0xfffffa00
	v_addc_co_u32_e32 v39, vcc, v2, v39, vcc
	s_cmp_lt_i32 s9, s10
	;; [unrolled: 8-line block ×8, first 2 shown]
	global_load_ushort v68, v[36:37], off
	global_load_ushort v69, v[38:39], off
	;; [unrolled: 1-line block ×8, first 2 shown]
	v_add_co_u32_e32 v36, vcc, s12, v1
	s_cselect_b32 s12, s9, s11
	v_mov_b32_e32 v37, s13
	s_ashr_i32 s13, s12, 31
	s_lshl_b64 s[12:13], s[12:13], 1
	s_add_i32 s9, s4, 0xfffffd80
	v_addc_co_u32_e32 v37, vcc, v2, v37, vcc
	s_cmp_lt_i32 s9, s10
	v_add_co_u32_e32 v38, vcc, s12, v1
	s_cselect_b32 s12, s9, s11
	v_mov_b32_e32 v39, s13
	s_ashr_i32 s13, s12, 31
	s_lshl_b64 s[12:13], s[12:13], 1
	s_add_i32 s9, s4, 0xfffffe00
	v_addc_co_u32_e32 v39, vcc, v2, v39, vcc
	s_cmp_lt_i32 s9, s10
	;; [unrolled: 8-line block ×5, first 2 shown]
	v_add_co_u32_e32 v46, vcc, s12, v1
	s_cselect_b32 s12, s9, s11
	v_mov_b32_e32 v47, s13
	s_ashr_i32 s13, s12, 31
	s_lshl_b64 s[12:13], s[12:13], 1
	v_addc_co_u32_e32 v47, vcc, v2, v47, vcc
	s_cmp_lt_i32 s4, s10
	v_add_co_u32_e32 v48, vcc, s12, v1
	s_cselect_b32 s12, s4, s11
	v_mov_b32_e32 v49, s13
	s_ashr_i32 s13, s12, 31
	v_addc_co_u32_e32 v49, vcc, v2, v49, vcc
	s_lshl_b64 s[12:13], s[12:13], 1
	v_mov_b32_e32 v51, s13
	v_add_co_u32_e32 v50, vcc, s12, v1
	v_addc_co_u32_e32 v51, vcc, v2, v51, vcc
	global_load_ushort v76, v[36:37], off
	global_load_ushort v77, v[38:39], off
	;; [unrolled: 1-line block ×8, first 2 shown]
	v_mov_b32_e32 v84, s5
	ds_read_b128 v[36:39], v84
	ds_read_b128 v[40:43], v84 offset:16
	ds_read_b128 v[44:47], v84 offset:32
	;; [unrolled: 1-line block ×3, first 2 shown]
	s_waitcnt vmcnt(62) lgkmcnt(3)
	v_fma_mix_f32 v3, v36, v3, v4 op_sel_hi:[0,1,0]
	v_fma_mix_f32 v3, v37, v5, v3 op_sel_hi:[0,1,0]
	s_waitcnt vmcnt(61)
	v_fma_mix_f32 v3, v38, v6, v3 op_sel_hi:[0,1,0]
	s_waitcnt vmcnt(60)
	v_fma_mix_f32 v3, v39, v7, v3 op_sel_hi:[0,1,0]
	s_waitcnt vmcnt(59) lgkmcnt(2)
	v_fma_mix_f32 v3, v40, v8, v3 op_sel_hi:[0,1,0]
	s_waitcnt vmcnt(58)
	v_fma_mix_f32 v3, v41, v9, v3 op_sel_hi:[0,1,0]
	s_waitcnt vmcnt(57)
	;; [unrolled: 2-line block ×3, first 2 shown]
	v_fma_mix_f32 v3, v43, v11, v3 op_sel_hi:[0,1,0]
	s_waitcnt vmcnt(55) lgkmcnt(1)
	v_fma_mix_f32 v3, v44, v15, v3 op_sel_hi:[0,1,0]
	s_waitcnt vmcnt(54)
	v_fma_mix_f32 v3, v45, v16, v3 op_sel_hi:[0,1,0]
	s_waitcnt vmcnt(53)
	;; [unrolled: 2-line block ×3, first 2 shown]
	v_fma_mix_f32 v3, v47, v18, v3 op_sel_hi:[0,1,0]
	ds_read_b128 v[4:7], v84 offset:64
	ds_read_b128 v[8:11], v84 offset:80
	s_waitcnt vmcnt(51) lgkmcnt(2)
	v_fma_mix_f32 v3, v48, v19, v3 op_sel_hi:[0,1,0]
	s_waitcnt vmcnt(50)
	v_fma_mix_f32 v3, v49, v12, v3 op_sel_hi:[0,1,0]
	s_waitcnt vmcnt(49)
	;; [unrolled: 2-line block ×3, first 2 shown]
	v_fma_mix_f32 v3, v51, v14, v3 op_sel_hi:[0,1,0]
	s_waitcnt vmcnt(47) lgkmcnt(1)
	v_fma_mix_f32 v3, v4, v23, v3 op_sel_hi:[0,1,0]
	s_waitcnt vmcnt(46)
	v_fma_mix_f32 v3, v5, v24, v3 op_sel_hi:[0,1,0]
	s_waitcnt vmcnt(45)
	v_fma_mix_f32 v3, v6, v25, v3 op_sel_hi:[0,1,0]
	s_waitcnt vmcnt(44)
	v_fma_mix_f32 v3, v7, v26, v3 op_sel_hi:[0,1,0]
	ds_read_b128 v[4:7], v84 offset:96
	s_waitcnt vmcnt(43) lgkmcnt(1)
	v_fma_mix_f32 v3, v8, v27, v3 op_sel_hi:[0,1,0]
	s_waitcnt vmcnt(42)
	v_fma_mix_f32 v3, v9, v20, v3 op_sel_hi:[0,1,0]
	s_waitcnt vmcnt(41)
	v_fma_mix_f32 v3, v10, v21, v3 op_sel_hi:[0,1,0]
	s_waitcnt vmcnt(40)
	v_fma_mix_f32 v3, v11, v22, v3 op_sel_hi:[0,1,0]
	ds_read_b128 v[8:11], v84 offset:112
	;; [unrolled: 9-line block ×10, first 2 shown]
	s_waitcnt vmcnt(7) lgkmcnt(1)
	v_fma_mix_f32 v3, v4, v76, v3 op_sel_hi:[0,1,0]
	s_waitcnt vmcnt(6)
	v_fma_mix_f32 v3, v5, v77, v3 op_sel_hi:[0,1,0]
	s_waitcnt vmcnt(5)
	;; [unrolled: 2-line block ×3, first 2 shown]
	v_fma_mix_f32 v3, v7, v79, v3 op_sel_hi:[0,1,0]
	s_waitcnt vmcnt(3) lgkmcnt(0)
	v_fma_mix_f32 v3, v8, v80, v3 op_sel_hi:[0,1,0]
	s_waitcnt vmcnt(2)
	v_fma_mix_f32 v3, v9, v81, v3 op_sel_hi:[0,1,0]
	s_waitcnt vmcnt(1)
	;; [unrolled: 2-line block ×3, first 2 shown]
	v_fma_mix_f32 v4, v11, v83, v3 op_sel_hi:[0,1,0]
	s_branch .LBB130_16
.LBB130_19:
	v_mov_b32_e32 v1, 0
	ds_read_b32 v2, v1 offset:3840
	s_cmp_lg_u64 s[2:3], 0
	s_cbranch_scc0 .LBB130_24
; %bb.20:
	s_load_dword s4, s[2:3], 0x0
	s_waitcnt lgkmcnt(0)
	v_div_scale_f32 v1, s[2:3], s4, s4, 1.0
	v_rcp_f32_e32 v3, v1
	v_div_scale_f32 v5, vcc, 1.0, s4, 1.0
	v_fma_f32 v6, -v1, v3, 1.0
	v_fmac_f32_e32 v3, v6, v3
	v_mul_f32_e32 v6, v5, v3
	v_fma_f32 v7, -v1, v6, v5
	v_fmac_f32_e32 v6, v7, v3
	v_fma_f32 v1, -v1, v6, v5
	v_div_fmas_f32 v1, v1, v3, v6
	v_div_fixup_f32 v1, v1, s4, 1.0
	s_andn2_b64 vcc, exec, s[48:49]
	s_cbranch_vccnz .LBB130_22
.LBB130_21:
	s_add_u32 s2, s46, s50
	s_addc_u32 s3, s47, s51
	s_load_dword s44, s[2:3], 0x0
	s_mov_b32 s45, 0
.LBB130_22:
	s_waitcnt lgkmcnt(0)
	v_add_f32_e32 v2, 0x358637bd, v2
	v_div_scale_f32 v3, s[2:3], v2, v2, 1.0
	v_rcp_f32_e32 v5, v3
	v_div_scale_f32 v6, vcc, 1.0, v2, 1.0
	s_mul_i32 s2, s7, s45
	v_fma_f32 v7, -v3, v5, 1.0
	v_fmac_f32_e32 v5, v7, v5
	v_mul_f32_e32 v7, v6, v5
	v_fma_f32 v8, -v3, v7, v6
	s_mul_hi_u32 s3, s7, s44
	v_fmac_f32_e32 v7, v8, v5
	s_add_i32 s3, s3, s2
	s_mul_i32 s2, s7, s44
	v_fma_f32 v3, -v3, v7, v6
	s_lshl_b64 s[2:3], s[2:3], 8
	v_div_fmas_f32 v3, v3, v5, v7
	s_add_u32 s2, s0, s2
	s_mov_b32 s7, 0
	v_div_fixup_f32 v2, v3, v2, 1.0
	s_addc_u32 s3, s1, s3
	s_lshl_b64 s[0:1], s[6:7], 8
	v_mul_f32_e32 v2, v4, v2
	s_add_u32 s0, s2, s0
	s_addc_u32 s1, s3, s1
	v_fma_mixlo_f16 v1, v2, v1, 0
	global_store_short v0, v1, s[0:1]
	s_endpgm
.LBB130_23:
	s_mov_b64 s[2:3], 0
	s_branch .LBB130_2
.LBB130_24:
	v_mov_b32_e32 v1, 1.0
	s_andn2_b64 vcc, exec, s[48:49]
	s_cbranch_vccz .LBB130_21
	s_branch .LBB130_22
	.section	.rodata,"a",@progbits
	.p2align	6, 0x0
	.amdhsa_kernel _Z35paged_attention_ll4mi_reduce_kernelIDF16_DF16_Li128ELi128ELi256ELi15EEvPT0_PKfS3_PKT_PKiS8_iS3_
		.amdhsa_group_segment_fixed_size 3844
		.amdhsa_private_segment_fixed_size 0
		.amdhsa_kernarg_size 320
		.amdhsa_user_sgpr_count 6
		.amdhsa_user_sgpr_private_segment_buffer 1
		.amdhsa_user_sgpr_dispatch_ptr 0
		.amdhsa_user_sgpr_queue_ptr 0
		.amdhsa_user_sgpr_kernarg_segment_ptr 1
		.amdhsa_user_sgpr_dispatch_id 0
		.amdhsa_user_sgpr_flat_scratch_init 0
		.amdhsa_user_sgpr_kernarg_preload_length 0
		.amdhsa_user_sgpr_kernarg_preload_offset 0
		.amdhsa_user_sgpr_private_segment_size 0
		.amdhsa_uses_dynamic_stack 0
		.amdhsa_system_sgpr_private_segment_wavefront_offset 0
		.amdhsa_system_sgpr_workgroup_id_x 1
		.amdhsa_system_sgpr_workgroup_id_y 1
		.amdhsa_system_sgpr_workgroup_id_z 0
		.amdhsa_system_sgpr_workgroup_info 0
		.amdhsa_system_vgpr_workitem_id 0
		.amdhsa_next_free_vgpr 92
		.amdhsa_next_free_sgpr 59
		.amdhsa_accum_offset 92
		.amdhsa_reserve_vcc 1
		.amdhsa_reserve_flat_scratch 0
		.amdhsa_float_round_mode_32 0
		.amdhsa_float_round_mode_16_64 0
		.amdhsa_float_denorm_mode_32 3
		.amdhsa_float_denorm_mode_16_64 3
		.amdhsa_dx10_clamp 1
		.amdhsa_ieee_mode 1
		.amdhsa_fp16_overflow 0
		.amdhsa_tg_split 0
		.amdhsa_exception_fp_ieee_invalid_op 0
		.amdhsa_exception_fp_denorm_src 0
		.amdhsa_exception_fp_ieee_div_zero 0
		.amdhsa_exception_fp_ieee_overflow 0
		.amdhsa_exception_fp_ieee_underflow 0
		.amdhsa_exception_fp_ieee_inexact 0
		.amdhsa_exception_int_div_zero 0
	.end_amdhsa_kernel
	.section	.text._Z35paged_attention_ll4mi_reduce_kernelIDF16_DF16_Li128ELi128ELi256ELi15EEvPT0_PKfS3_PKT_PKiS8_iS3_,"axG",@progbits,_Z35paged_attention_ll4mi_reduce_kernelIDF16_DF16_Li128ELi128ELi256ELi15EEvPT0_PKfS3_PKT_PKiS8_iS3_,comdat
.Lfunc_end130:
	.size	_Z35paged_attention_ll4mi_reduce_kernelIDF16_DF16_Li128ELi128ELi256ELi15EEvPT0_PKfS3_PKT_PKiS8_iS3_, .Lfunc_end130-_Z35paged_attention_ll4mi_reduce_kernelIDF16_DF16_Li128ELi128ELi256ELi15EEvPT0_PKfS3_PKT_PKiS8_iS3_
                                        ; -- End function
	.section	.AMDGPU.csdata,"",@progbits
; Kernel info:
; codeLenInByte = 11760
; NumSgprs: 63
; NumVgprs: 92
; NumAgprs: 0
; TotalNumVgprs: 92
; ScratchSize: 0
; MemoryBound: 0
; FloatMode: 240
; IeeeMode: 1
; LDSByteSize: 3844 bytes/workgroup (compile time only)
; SGPRBlocks: 7
; VGPRBlocks: 11
; NumSGPRsForWavesPerEU: 63
; NumVGPRsForWavesPerEU: 92
; AccumOffset: 92
; Occupancy: 5
; WaveLimiterHint : 1
; COMPUTE_PGM_RSRC2:SCRATCH_EN: 0
; COMPUTE_PGM_RSRC2:USER_SGPR: 6
; COMPUTE_PGM_RSRC2:TRAP_HANDLER: 0
; COMPUTE_PGM_RSRC2:TGID_X_EN: 1
; COMPUTE_PGM_RSRC2:TGID_Y_EN: 1
; COMPUTE_PGM_RSRC2:TGID_Z_EN: 0
; COMPUTE_PGM_RSRC2:TIDIG_COMP_CNT: 0
; COMPUTE_PGM_RSRC3_GFX90A:ACCUM_OFFSET: 22
; COMPUTE_PGM_RSRC3_GFX90A:TG_SPLIT: 0
	.section	.text._Z35paged_attention_ll4mi_reduce_kernelIDF16_DF16_Li128ELi128ELi256ELi16EEvPT0_PKfS3_PKT_PKiS8_iS3_,"axG",@progbits,_Z35paged_attention_ll4mi_reduce_kernelIDF16_DF16_Li128ELi128ELi256ELi16EEvPT0_PKfS3_PKT_PKiS8_iS3_,comdat
	.protected	_Z35paged_attention_ll4mi_reduce_kernelIDF16_DF16_Li128ELi128ELi256ELi16EEvPT0_PKfS3_PKT_PKiS8_iS3_ ; -- Begin function _Z35paged_attention_ll4mi_reduce_kernelIDF16_DF16_Li128ELi128ELi256ELi16EEvPT0_PKfS3_PKT_PKiS8_iS3_
	.globl	_Z35paged_attention_ll4mi_reduce_kernelIDF16_DF16_Li128ELi128ELi256ELi16EEvPT0_PKfS3_PKT_PKiS8_iS3_
	.p2align	8
	.type	_Z35paged_attention_ll4mi_reduce_kernelIDF16_DF16_Li128ELi128ELi256ELi16EEvPT0_PKfS3_PKT_PKiS8_iS3_,@function
_Z35paged_attention_ll4mi_reduce_kernelIDF16_DF16_Li128ELi128ELi256ELi16EEvPT0_PKfS3_PKT_PKiS8_iS3_: ; @_Z35paged_attention_ll4mi_reduce_kernelIDF16_DF16_Li128ELi128ELi256ELi16EEvPT0_PKfS3_PKT_PKiS8_iS3_
; %bb.0:
	s_load_dwordx2 s[48:49], s[4:5], 0x28
	s_mov_b32 s38, s7
	s_mov_b64 s[0:1], 0
	s_waitcnt lgkmcnt(0)
	s_cmp_lg_u64 s[48:49], 0
	s_cselect_b64 s[50:51], -1, 0
	s_and_b64 vcc, exec, s[50:51]
	s_cbranch_vccz .LBB131_23
; %bb.1:
	s_add_i32 s2, s38, 1
	s_mov_b32 s3, 0
	s_lshl_b64 s[8:9], s[2:3], 2
	s_add_u32 s8, s48, s8
	s_mov_b32 s39, s3
	s_addc_u32 s9, s49, s9
	s_lshl_b64 s[2:3], s[38:39], 2
	s_add_u32 s2, s48, s2
	s_addc_u32 s3, s49, s3
	s_load_dword s7, s[8:9], 0x0
	s_load_dword s10, s[2:3], 0x0
	s_waitcnt lgkmcnt(0)
	s_sub_i32 s2, s7, s10
	s_cmp_eq_u32 s2, 1
	s_cselect_b64 s[2:3], -1, 0
	s_andn2_b64 vcc, exec, s[0:1]
	s_cbranch_vccnz .LBB131_3
.LBB131_2:
	s_mov_b32 s39, 0
	s_mov_b64 s[2:3], -1
.LBB131_3:
	s_andn2_b64 vcc, exec, s[2:3]
	s_cbranch_vccz .LBB131_5
; %bb.4:
	s_endpgm
.LBB131_5:
	s_load_dwordx4 s[40:43], s[4:5], 0x18
	s_load_dword s8, s[4:5], 0x30
	s_lshl_b64 s[52:53], s[38:39], 2
	v_cmp_lt_u32_e32 vcc, 63, v0
	s_waitcnt lgkmcnt(0)
	s_add_u32 s0, s42, s52
	s_addc_u32 s1, s43, s53
	s_load_dword s60, s[0:1], 0x0
	s_load_dword s7, s[4:5], 0x40
	s_mul_i32 s42, s6, s8
	s_mul_i32 s2, s38, s8
	s_waitcnt lgkmcnt(0)
	s_add_i32 s3, s60, 0xff
	s_ashr_i32 s0, s3, 31
	s_lshr_b32 s0, s0, 24
	s_add_i32 s3, s3, s0
	s_and_saveexec_b64 s[0:1], vcc
	s_xor_b64 s[0:1], exec, s[0:1]
	s_or_saveexec_b64 s[54:55], s[0:1]
	s_ashr_i32 s33, s3, 8
	v_mov_b32_e32 v1, s42
	s_mul_i32 s56, s2, s7
	s_xor_b64 exec, exec, s[54:55]
	s_cbranch_execz .LBB131_9
; %bb.6:
	s_add_i32 s0, s33, -1
	v_or_b32_e32 v3, 64, v0
	v_mov_b32_e32 v1, s0
	v_cmp_gt_u32_e64 s[22:23], s33, v3
	v_cndmask_b32_e64 v4, v1, v3, s[22:23]
	v_or_b32_e32 v3, 0x80, v0
	v_cmp_gt_u32_e64 s[20:21], s33, v3
	v_cndmask_b32_e64 v8, v1, v3, s[20:21]
	v_or_b32_e32 v3, 0xc0, v0
	;; [unrolled: 3-line block ×9, first 2 shown]
	v_cmp_gt_u32_e32 vcc, s33, v3
	v_cndmask_b32_e32 v28, v1, v3, vcc
	v_or_b32_e32 v3, 0x2c0, v0
	v_cmp_gt_u32_e64 s[34:35], s33, v3
	v_cndmask_b32_e64 v30, v1, v3, s[34:35]
	v_or_b32_e32 v3, 0x300, v0
	s_load_dwordx4 s[44:47], s[4:5], 0x8
	v_cmp_gt_u32_e64 s[30:31], s33, v3
	v_cndmask_b32_e64 v32, v1, v3, s[30:31]
	v_or_b32_e32 v3, 0x340, v0
	v_cmp_gt_u32_e64 s[28:29], s33, v3
	s_mov_b32 s57, 0
	v_cndmask_b32_e64 v34, v1, v3, s[28:29]
	v_or_b32_e32 v3, 0x380, v0
	v_cmp_gt_u32_e64 s[26:27], s33, v3
	s_lshl_b64 s[58:59], s[56:57], 2
	s_mov_b32 s43, s57
	v_cmp_gt_u32_e64 s[24:25], s33, v0
	v_cndmask_b32_e64 v36, v1, v3, s[26:27]
	v_or_b32_e32 v3, 0x3c0, v0
	s_waitcnt lgkmcnt(0)
	s_add_u32 s36, s46, s58
	v_cndmask_b32_e64 v2, v1, v0, s[24:25]
	v_cmp_gt_u32_e64 s[10:11], s33, v3
	s_addc_u32 s37, s47, s59
	s_lshl_b64 s[46:47], s[42:43], 2
	v_cndmask_b32_e64 v40, v1, v3, s[10:11]
	s_add_u32 s43, s36, s46
	v_ashrrev_i32_e32 v3, 31, v2
	s_addc_u32 s57, s37, s47
	v_lshlrev_b64 v[6:7], 2, v[2:3]
	v_mov_b32_e32 v1, s57
	v_add_co_u32_e64 v38, s[36:37], s43, v6
	v_ashrrev_i32_e32 v5, 31, v4
	v_addc_co_u32_e64 v39, s[36:37], v1, v7, s[36:37]
	v_lshlrev_b64 v[2:3], 2, v[4:5]
	v_add_co_u32_e64 v42, s[36:37], s43, v2
	v_ashrrev_i32_e32 v9, 31, v8
	v_addc_co_u32_e64 v43, s[36:37], v1, v3, s[36:37]
	v_lshlrev_b64 v[4:5], 2, v[8:9]
	;; [unrolled: 4-line block ×8, first 2 shown]
	global_load_dword v50, v[38:39], off
	global_load_dword v49, v[42:43], off
	;; [unrolled: 1-line block ×4, first 2 shown]
	s_nop 0
	global_load_dword v44, v[12:13], off
	global_load_dword v43, v[14:15], off
	;; [unrolled: 1-line block ×4, first 2 shown]
	v_mov_b32_e32 v10, s57
	v_add_co_u32_e64 v14, s[36:37], s43, v24
	v_ashrrev_i32_e32 v27, 31, v26
	v_addc_co_u32_e64 v15, s[36:37], v10, v25, s[36:37]
	v_lshlrev_b64 v[26:27], 2, v[26:27]
	v_add_co_u32_e64 v52, s[36:37], s43, v26
	v_ashrrev_i32_e32 v29, 31, v28
	v_addc_co_u32_e64 v53, s[36:37], v10, v27, s[36:37]
	v_lshlrev_b64 v[10:11], 2, v[28:29]
	v_mov_b32_e32 v12, s57
	v_add_co_u32_e64 v28, s[36:37], s43, v10
	v_ashrrev_i32_e32 v31, 31, v30
	v_addc_co_u32_e64 v29, s[36:37], v12, v11, s[36:37]
	v_lshlrev_b64 v[30:31], 2, v[30:31]
	v_add_co_u32_e64 v54, s[36:37], s43, v30
	v_ashrrev_i32_e32 v33, 31, v32
	v_addc_co_u32_e64 v55, s[36:37], v12, v31, s[36:37]
	v_lshlrev_b64 v[32:33], 2, v[32:33]
	;; [unrolled: 4-line block ×5, first 2 shown]
	v_mov_b32_e32 v34, s57
	v_add_co_u32_e64 v64, s[36:37], s43, v12
	v_addc_co_u32_e64 v65, s[36:37], v34, v13, s[36:37]
	global_load_dword v45, v[14:15], off
	global_load_dword v41, v[52:53], off
	;; [unrolled: 1-line block ×3, first 2 shown]
	s_nop 0
	global_load_dword v53, v[54:55], off
	s_nop 0
	global_load_dword v56, v[56:57], off
	;; [unrolled: 2-line block ×3, first 2 shown]
	global_load_dword v52, v[36:37], off
	global_load_dword v48, v[64:65], off
	s_mov_b32 s43, 0x3fb8aa3b
	s_waitcnt vmcnt(15)
	v_max_f32_e32 v15, v50, v50
	s_waitcnt vmcnt(14)
	v_max_f32_e32 v14, v49, v49
	v_max_f32_e32 v14, v15, v14
	s_waitcnt vmcnt(12)
	v_max3_f32 v14, v14, v47, v46
	v_mbcnt_lo_u32_b32 v15, -1, 0
	s_waitcnt vmcnt(10)
	v_max3_f32 v14, v14, v44, v43
	v_mbcnt_hi_u32_b32 v15, -1, v15
	s_waitcnt vmcnt(8)
	v_max3_f32 v14, v14, v39, v1
	v_and_b32_e32 v28, 64, v15
	v_add_u32_e32 v28, 64, v28
	v_xor_b32_e32 v29, 32, v15
	v_cmp_lt_i32_e64 s[36:37], v29, v28
	v_cndmask_b32_e64 v29, v15, v29, s[36:37]
	v_lshlrev_b32_e32 v34, 2, v29
	s_waitcnt vmcnt(6)
	v_max3_f32 v14, v14, v45, v41
	s_waitcnt vmcnt(4)
	v_max3_f32 v14, v14, v35, v53
	s_waitcnt vmcnt(2)
	v_max3_f32 v14, v14, v56, v57
	s_waitcnt vmcnt(0)
	v_max3_f32 v14, v14, v52, v48
	ds_bpermute_b32 v29, v34, v14
	s_waitcnt lgkmcnt(0)
	v_max_f32_e32 v29, v29, v29
	v_max_f32_e32 v14, v14, v29
	v_xor_b32_e32 v29, 16, v15
	v_cmp_lt_i32_e64 s[36:37], v29, v28
	v_cndmask_b32_e64 v29, v15, v29, s[36:37]
	v_lshlrev_b32_e32 v36, 2, v29
	ds_bpermute_b32 v29, v36, v14
	s_waitcnt lgkmcnt(0)
	v_max_f32_e32 v29, v29, v29
	v_max_f32_e32 v14, v14, v29
	v_xor_b32_e32 v29, 8, v15
	v_cmp_lt_i32_e64 s[36:37], v29, v28
	v_cndmask_b32_e64 v29, v15, v29, s[36:37]
	v_lshlrev_b32_e32 v37, 2, v29
	ds_bpermute_b32 v29, v37, v14
	s_waitcnt lgkmcnt(0)
	v_max_f32_e32 v29, v29, v29
	v_max_f32_e32 v14, v14, v29
	v_xor_b32_e32 v29, 4, v15
	v_cmp_lt_i32_e64 s[36:37], v29, v28
	v_cndmask_b32_e64 v29, v15, v29, s[36:37]
	v_lshlrev_b32_e32 v38, 2, v29
	ds_bpermute_b32 v29, v38, v14
	s_waitcnt lgkmcnt(0)
	v_max_f32_e32 v29, v29, v29
	v_max_f32_e32 v14, v14, v29
	v_xor_b32_e32 v29, 2, v15
	v_cmp_lt_i32_e64 s[36:37], v29, v28
	v_cndmask_b32_e64 v29, v15, v29, s[36:37]
	v_lshlrev_b32_e32 v40, 2, v29
	ds_bpermute_b32 v29, v40, v14
	s_waitcnt lgkmcnt(0)
	v_max_f32_e32 v29, v29, v29
	v_max_f32_e32 v51, v14, v29
	v_xor_b32_e32 v14, 1, v15
	v_cmp_lt_i32_e64 s[36:37], v14, v28
	v_cndmask_b32_e64 v14, v15, v14, s[36:37]
	v_lshlrev_b32_e32 v42, 2, v14
	ds_bpermute_b32 v54, v42, v51
	s_add_u32 s36, s44, s58
	s_addc_u32 s37, s45, s59
	s_add_u32 s44, s36, s46
	s_addc_u32 s45, s37, s47
	v_mov_b32_e32 v14, s45
	v_add_co_u32_e64 v28, s[36:37], s44, v30
	v_addc_co_u32_e64 v29, s[36:37], v14, v31, s[36:37]
	s_waitcnt lgkmcnt(0)
	v_max_f32_e32 v54, v54, v54
	v_mov_b32_e32 v15, s45
	v_add_co_u32_e64 v14, s[36:37], s44, v32
	v_max_f32_e32 v51, v51, v54
	v_addc_co_u32_e64 v15, s[36:37], v15, v33, s[36:37]
	v_sub_f32_e32 v53, v53, v51
	v_mov_b32_e32 v31, s45
	v_add_co_u32_e64 v30, s[36:37], s44, v58
	v_mul_f32_e32 v54, 0x3fb8aa3b, v53
	v_addc_co_u32_e64 v31, s[36:37], v31, v59, s[36:37]
	v_fma_f32 v58, v53, s43, -v54
	v_rndne_f32_e32 v59, v54
	v_mov_b32_e32 v33, s45
	v_add_co_u32_e64 v32, s[36:37], s44, v62
	v_fmac_f32_e32 v58, 0x32a5705f, v53
	v_sub_f32_e32 v54, v54, v59
	v_addc_co_u32_e64 v33, s[36:37], v33, v63, s[36:37]
	v_add_f32_e32 v54, v54, v58
	v_mov_b32_e32 v55, s45
	v_exp_f32_e32 v58, v54
	v_add_co_u32_e64 v54, s[36:37], s44, v12
	v_addc_co_u32_e64 v55, s[36:37], v55, v13, s[36:37]
	v_mov_b32_e32 v12, s45
	v_add_co_u32_e64 v10, s[36:37], s44, v10
	v_addc_co_u32_e64 v11, s[36:37], v12, v11, s[36:37]
	global_load_dword v12, v[14:15], off
	global_load_dword v13, v[30:31], off
	s_nop 0
	global_load_dword v14, v[32:33], off
	global_load_dword v15, v[54:55], off
	global_load_dword v30, v[10:11], off
	v_cvt_i32_f32_e32 v59, v59
	global_load_dword v11, v[28:29], off
	s_mov_b32 s47, 0xc2ce8ed0
	s_mov_b32 s46, 0x42b17218
	v_ldexp_f32 v58, v58, v59
	v_cmp_ngt_f32_e64 s[36:37], s47, v53
	v_cndmask_b32_e64 v10, 0, v58, s[36:37]
	v_mov_b32_e32 v31, 0x7f800000
	v_cmp_nlt_f32_e64 s[36:37], s46, v53
	v_cndmask_b32_e64 v10, v31, v10, s[36:37]
	v_cndmask_b32_e64 v10, 0, v10, s[34:35]
	v_sub_f32_e32 v1, v1, v51
	s_waitcnt vmcnt(0)
	v_mul_f32_e32 v28, v11, v10
	v_sub_f32_e32 v10, v56, v51
	v_mul_f32_e32 v11, 0x3fb8aa3b, v10
	v_fma_f32 v29, v10, s43, -v11
	v_rndne_f32_e32 v32, v11
	v_fmac_f32_e32 v29, 0x32a5705f, v10
	v_sub_f32_e32 v11, v11, v32
	v_add_f32_e32 v11, v11, v29
	v_exp_f32_e32 v11, v11
	v_cvt_i32_f32_e32 v29, v32
	v_cmp_ngt_f32_e64 s[34:35], s47, v10
	v_ldexp_f32 v11, v11, v29
	v_cndmask_b32_e64 v11, 0, v11, s[34:35]
	v_cmp_nlt_f32_e64 s[34:35], s46, v10
	v_cndmask_b32_e64 v10, v31, v11, s[34:35]
	v_cndmask_b32_e64 v10, 0, v10, s[30:31]
	v_mul_f32_e32 v12, v12, v10
	v_sub_f32_e32 v10, v57, v51
	v_mul_f32_e32 v11, 0x3fb8aa3b, v10
	v_fma_f32 v29, v10, s43, -v11
	v_rndne_f32_e32 v32, v11
	v_fmac_f32_e32 v29, 0x32a5705f, v10
	v_sub_f32_e32 v11, v11, v32
	v_add_f32_e32 v11, v11, v29
	v_exp_f32_e32 v11, v11
	v_cvt_i32_f32_e32 v29, v32
	v_cmp_ngt_f32_e64 s[30:31], s47, v10
	v_ldexp_f32 v11, v11, v29
	v_cndmask_b32_e64 v11, 0, v11, s[30:31]
	v_cmp_nlt_f32_e64 s[30:31], s46, v10
	v_cndmask_b32_e64 v10, v31, v11, s[30:31]
	v_cndmask_b32_e64 v10, 0, v10, s[28:29]
	v_sub_f32_e32 v29, v52, v51
	v_mul_f32_e32 v13, v13, v10
	v_mul_f32_e32 v10, 0x3fb8aa3b, v29
	v_fma_f32 v11, v29, s43, -v10
	v_rndne_f32_e32 v32, v10
	v_fmac_f32_e32 v11, 0x32a5705f, v29
	v_sub_f32_e32 v10, v10, v32
	v_add_f32_e32 v10, v10, v11
	v_exp_f32_e32 v33, v10
	v_mov_b32_e32 v10, s45
	v_add_co_u32_e64 v6, s[28:29], s44, v6
	v_addc_co_u32_e64 v7, s[28:29], v10, v7, s[28:29]
	v_cvt_i32_f32_e32 v32, v32
	v_mov_b32_e32 v11, s45
	v_add_co_u32_e64 v10, s[28:29], s44, v24
	v_addc_co_u32_e64 v11, s[28:29], v11, v25, s[28:29]
	v_mov_b32_e32 v24, s45
	global_load_dword v25, v[6:7], off
	v_add_co_u32_e64 v6, s[28:29], s44, v26
	v_addc_co_u32_e64 v7, s[28:29], v24, v27, s[28:29]
	global_load_dword v10, v[10:11], off
	s_nop 0
	global_load_dword v11, v[6:7], off
	v_ldexp_f32 v6, v33, v32
	v_cmp_ngt_f32_e64 s[28:29], s47, v29
	v_cndmask_b32_e64 v6, 0, v6, s[28:29]
	v_mov_b32_e32 v7, s45
	v_add_co_u32_e64 v2, s[28:29], s44, v2
	v_addc_co_u32_e64 v3, s[28:29], v7, v3, s[28:29]
	v_cmp_nlt_f32_e64 s[28:29], s46, v29
	global_load_dword v24, v[2:3], off
	v_cndmask_b32_e64 v2, v31, v6, s[28:29]
	v_cndmask_b32_e64 v2, 0, v2, s[26:27]
	v_mul_f32_e32 v14, v14, v2
	v_mov_b32_e32 v3, s45
	v_add_co_u32_e64 v2, s[26:27], s44, v4
	v_addc_co_u32_e64 v3, s[26:27], v3, v5, s[26:27]
	v_mov_b32_e32 v5, s45
	v_add_co_u32_e64 v4, s[26:27], s44, v8
	v_addc_co_u32_e64 v5, s[26:27], v5, v9, s[26:27]
	global_load_dword v26, v[2:3], off
	global_load_dword v27, v[4:5], off
	v_mov_b32_e32 v3, s45
	v_add_co_u32_e64 v2, s[26:27], s44, v16
	v_addc_co_u32_e64 v3, s[26:27], v3, v17, s[26:27]
	v_mov_b32_e32 v5, s45
	v_add_co_u32_e64 v4, s[26:27], s44, v18
	v_addc_co_u32_e64 v5, s[26:27], v5, v19, s[26:27]
	v_sub_f32_e32 v16, v50, v51
	v_add_co_u32_e64 v6, s[26:27], s44, v20
	v_mul_f32_e32 v17, 0x3fb8aa3b, v16
	v_addc_co_u32_e64 v7, s[26:27], v7, v21, s[26:27]
	v_fma_f32 v18, v16, s43, -v17
	v_rndne_f32_e32 v19, v17
	v_mov_b32_e32 v9, s45
	v_add_co_u32_e64 v8, s[26:27], s44, v22
	v_fmac_f32_e32 v18, 0x32a5705f, v16
	v_sub_f32_e32 v17, v17, v19
	v_addc_co_u32_e64 v9, s[26:27], v9, v23, s[26:27]
	v_add_f32_e32 v17, v17, v18
	v_cvt_i32_f32_e32 v18, v19
	global_load_dword v2, v[2:3], off
	s_nop 0
	global_load_dword v3, v[4:5], off
	global_load_dword v19, v[6:7], off
	;; [unrolled: 1-line block ×3, first 2 shown]
	v_sub_f32_e32 v5, v49, v51
	v_mul_f32_e32 v6, 0x3fb8aa3b, v5
	v_fma_f32 v7, v5, s43, -v6
	v_rndne_f32_e32 v8, v6
	v_fmac_f32_e32 v7, 0x32a5705f, v5
	v_sub_f32_e32 v6, v6, v8
	v_add_f32_e32 v6, v6, v7
	v_exp_f32_e32 v6, v6
	v_cvt_i32_f32_e32 v7, v8
	v_exp_f32_e32 v17, v17
	v_cmp_ngt_f32_e64 s[26:27], s47, v16
	v_ldexp_f32 v6, v6, v7
	v_sub_f32_e32 v7, v47, v51
	v_ldexp_f32 v4, v17, v18
	v_mul_f32_e32 v8, 0x3fb8aa3b, v7
	v_cndmask_b32_e64 v4, 0, v4, s[26:27]
	v_cmp_nlt_f32_e64 s[26:27], s46, v16
	v_fma_f32 v9, v7, s43, -v8
	v_rndne_f32_e32 v16, v8
	v_fmac_f32_e32 v9, 0x32a5705f, v7
	v_sub_f32_e32 v8, v8, v16
	v_add_f32_e32 v8, v8, v9
	v_exp_f32_e32 v8, v8
	v_cvt_i32_f32_e32 v9, v16
	v_cndmask_b32_e64 v4, v31, v4, s[26:27]
	v_cndmask_b32_e64 v4, 0, v4, s[24:25]
	v_cmp_ngt_f32_e64 s[24:25], s47, v5
	v_cndmask_b32_e64 v6, 0, v6, s[24:25]
	v_cmp_nlt_f32_e64 s[24:25], s46, v5
	v_cndmask_b32_e64 v5, v31, v6, s[24:25]
	v_ldexp_f32 v6, v8, v9
	v_sub_f32_e32 v8, v46, v51
	v_mul_f32_e32 v9, 0x3fb8aa3b, v8
	v_fma_f32 v16, v8, s43, -v9
	v_rndne_f32_e32 v17, v9
	v_fmac_f32_e32 v16, 0x32a5705f, v8
	v_sub_f32_e32 v9, v9, v17
	v_add_f32_e32 v9, v9, v16
	v_cndmask_b32_e64 v5, 0, v5, s[22:23]
	v_cmp_ngt_f32_e64 s[22:23], s47, v7
	v_exp_f32_e32 v9, v9
	v_cvt_i32_f32_e32 v16, v17
	v_cndmask_b32_e64 v6, 0, v6, s[22:23]
	v_cmp_nlt_f32_e64 s[22:23], s46, v7
	v_cndmask_b32_e64 v6, v31, v6, s[22:23]
	v_cndmask_b32_e64 v6, 0, v6, s[20:21]
	v_sub_f32_e32 v7, v44, v51
	v_cmp_ngt_f32_e64 s[20:21], s47, v8
	s_waitcnt vmcnt(9)
	v_mul_f32_e32 v4, v25, v4
	s_waitcnt vmcnt(5)
	v_mul_f32_e32 v17, v26, v6
	v_ldexp_f32 v6, v9, v16
	v_mul_f32_e32 v9, 0x3fb8aa3b, v7
	v_fma_f32 v16, v7, s43, -v9
	v_rndne_f32_e32 v18, v9
	v_fmac_f32_e32 v16, 0x32a5705f, v7
	v_sub_f32_e32 v9, v9, v18
	v_add_f32_e32 v9, v9, v16
	v_exp_f32_e32 v9, v9
	v_cvt_i32_f32_e32 v16, v18
	v_cndmask_b32_e64 v6, 0, v6, s[20:21]
	v_cmp_nlt_f32_e64 s[20:21], s46, v8
	v_cndmask_b32_e64 v6, v31, v6, s[20:21]
	v_cndmask_b32_e64 v6, 0, v6, s[18:19]
	v_sub_f32_e32 v8, v43, v51
	s_waitcnt vmcnt(4)
	v_mul_f32_e32 v18, v27, v6
	v_ldexp_f32 v6, v9, v16
	v_mul_f32_e32 v9, 0x3fb8aa3b, v8
	v_fma_f32 v16, v8, s43, -v9
	v_rndne_f32_e32 v21, v9
	v_fmac_f32_e32 v16, 0x32a5705f, v8
	v_sub_f32_e32 v9, v9, v21
	v_add_f32_e32 v9, v9, v16
	v_cmp_ngt_f32_e64 s[18:19], s47, v7
	v_exp_f32_e32 v9, v9
	v_cvt_i32_f32_e32 v16, v21
	v_cndmask_b32_e64 v6, 0, v6, s[18:19]
	v_cmp_nlt_f32_e64 s[18:19], s46, v7
	v_cndmask_b32_e64 v6, v31, v6, s[18:19]
	v_cndmask_b32_e64 v6, 0, v6, s[16:17]
	v_sub_f32_e32 v7, v39, v51
	s_waitcnt vmcnt(3)
	v_mul_f32_e32 v2, v2, v6
	v_ldexp_f32 v6, v9, v16
	v_mul_f32_e32 v9, 0x3fb8aa3b, v7
	v_fma_f32 v16, v7, s43, -v9
	v_rndne_f32_e32 v21, v9
	v_fmac_f32_e32 v16, 0x32a5705f, v7
	v_sub_f32_e32 v9, v9, v21
	v_add_f32_e32 v9, v9, v16
	v_cmp_ngt_f32_e64 s[16:17], s47, v8
	v_exp_f32_e32 v9, v9
	v_cvt_i32_f32_e32 v16, v21
	v_cndmask_b32_e64 v6, 0, v6, s[16:17]
	v_cmp_nlt_f32_e64 s[16:17], s46, v8
	v_cndmask_b32_e64 v6, v31, v6, s[16:17]
	v_cndmask_b32_e64 v6, 0, v6, s[14:15]
	s_waitcnt vmcnt(2)
	v_mul_f32_e32 v3, v3, v6
	v_ldexp_f32 v6, v9, v16
	v_cmp_ngt_f32_e64 s[14:15], s47, v7
	v_cndmask_b32_e64 v6, 0, v6, s[14:15]
	v_cmp_nlt_f32_e64 s[14:15], s46, v7
	v_mul_f32_e32 v7, 0x3fb8aa3b, v1
	v_fma_f32 v8, v1, s43, -v7
	v_rndne_f32_e32 v9, v7
	v_fmac_f32_e32 v8, 0x32a5705f, v1
	v_sub_f32_e32 v7, v7, v9
	v_add_f32_e32 v7, v7, v8
	v_cvt_i32_f32_e32 v8, v9
	v_sub_f32_e32 v9, v48, v51
	v_mul_f32_e32 v16, 0x3fb8aa3b, v9
	v_fma_f32 v21, v9, s43, -v16
	v_rndne_f32_e32 v22, v16
	v_fmac_f32_e32 v21, 0x32a5705f, v9
	v_sub_f32_e32 v16, v16, v22
	v_exp_f32_e32 v7, v7
	v_add_f32_e32 v16, v16, v21
	v_exp_f32_e32 v16, v16
	v_cvt_i32_f32_e32 v21, v22
	v_cndmask_b32_e64 v6, v31, v6, s[14:15]
	v_cndmask_b32_e64 v6, 0, v6, s[12:13]
	v_ldexp_f32 v7, v7, v8
	v_cmp_ngt_f32_e64 s[12:13], s47, v1
	v_cndmask_b32_e64 v7, 0, v7, s[12:13]
	v_ldexp_f32 v8, v16, v21
	v_cmp_ngt_f32_e64 s[12:13], s47, v9
	v_cndmask_b32_e64 v8, 0, v8, s[12:13]
	v_cmp_nlt_f32_e64 s[12:13], s46, v1
	v_cndmask_b32_e64 v1, v31, v7, s[12:13]
	v_cndmask_b32_e64 v1, 0, v1, s[8:9]
	v_cmp_nlt_f32_e64 s[8:9], s46, v9
	v_cndmask_b32_e64 v7, v31, v8, s[8:9]
	v_cndmask_b32_e64 v7, 0, v7, s[10:11]
	v_mul_f32_e32 v15, v15, v7
	s_waitcnt vmcnt(0)
	v_mul_f32_e32 v7, v20, v1
	v_sub_f32_e32 v1, v45, v51
	v_mul_f32_e32 v9, 0x3fb8aa3b, v1
	v_mul_f32_e32 v6, v19, v6
	v_fma_f32 v19, v1, s43, -v9
	v_rndne_f32_e32 v20, v9
	v_mul_f32_e32 v5, v24, v5
	v_fmac_f32_e32 v19, 0x32a5705f, v1
	v_sub_f32_e32 v9, v9, v20
	v_add_f32_e32 v8, v4, v5
	v_add_f32_e32 v9, v9, v19
	;; [unrolled: 1-line block ×3, first 2 shown]
	v_exp_f32_e32 v9, v9
	v_cvt_i32_f32_e32 v19, v20
	v_add_f32_e32 v8, v8, v18
	v_add_f32_e32 v8, v8, v2
	v_lshlrev_b32_e32 v16, 2, v0
	v_add_f32_e32 v8, v8, v3
	ds_write2st64_b32 v16, v6, v7 offset0:6 offset1:7
	v_add_f32_e32 v6, v8, v6
	v_ldexp_f32 v8, v9, v19
	v_sub_f32_e32 v9, v41, v51
	v_mul_f32_e32 v19, 0x3fb8aa3b, v9
	v_fma_f32 v20, v9, s43, -v19
	v_rndne_f32_e32 v21, v19
	v_fmac_f32_e32 v20, 0x32a5705f, v9
	v_sub_f32_e32 v19, v19, v21
	v_add_f32_e32 v19, v19, v20
	v_cmp_ngt_f32_e64 s[8:9], s47, v1
	v_exp_f32_e32 v19, v19
	v_cvt_i32_f32_e32 v20, v21
	v_cndmask_b32_e64 v8, 0, v8, s[8:9]
	v_cmp_nlt_f32_e64 s[8:9], s46, v1
	v_cndmask_b32_e64 v1, v31, v8, s[8:9]
	v_cndmask_b32_e64 v1, 0, v1, s[2:3]
	v_mul_f32_e32 v8, v10, v1
	v_ldexp_f32 v1, v19, v20
	v_cmp_ngt_f32_e64 s[2:3], s47, v9
	v_sub_f32_e32 v10, v35, v51
	v_cndmask_b32_e64 v1, 0, v1, s[2:3]
	v_cmp_nlt_f32_e64 s[2:3], s46, v9
	v_mul_f32_e32 v9, 0x3fb8aa3b, v10
	v_fma_f32 v19, v10, s43, -v9
	v_rndne_f32_e32 v20, v9
	v_fmac_f32_e32 v19, 0x32a5705f, v10
	v_sub_f32_e32 v9, v9, v20
	v_add_f32_e32 v9, v9, v19
	v_exp_f32_e32 v19, v9
	v_cvt_i32_f32_e32 v20, v20
	v_cndmask_b32_e64 v1, v31, v1, s[2:3]
	v_cndmask_b32_e64 v1, 0, v1, s[0:1]
	v_mul_f32_e32 v9, v11, v1
	v_ldexp_f32 v1, v19, v20
	v_cmp_ngt_f32_e64 s[0:1], s47, v10
	v_cndmask_b32_e64 v1, 0, v1, s[0:1]
	v_cmp_nlt_f32_e64 s[0:1], s46, v10
	v_add_f32_e32 v6, v6, v7
	v_cndmask_b32_e64 v1, v31, v1, s[0:1]
	v_cndmask_b32_e32 v1, 0, v1, vcc
	v_add_f32_e32 v6, v6, v8
	v_add_f32_e32 v6, v6, v9
	v_mul_f32_e32 v10, v30, v1
	v_add_f32_e32 v1, v6, v10
	v_add_f32_e32 v1, v1, v28
	;; [unrolled: 1-line block ×6, first 2 shown]
	ds_bpermute_b32 v6, v34, v1
	ds_write2st64_b32 v16, v4, v5 offset1:1
	ds_write2st64_b32 v16, v17, v18 offset0:2 offset1:3
	ds_write2st64_b32 v16, v2, v3 offset0:4 offset1:5
	;; [unrolled: 1-line block ×3, first 2 shown]
	v_cmp_eq_u32_e32 vcc, 0, v0
	ds_write2st64_b32 v16, v10, v28 offset0:10 offset1:11
	ds_write2st64_b32 v16, v12, v13 offset0:12 offset1:13
	ds_write2st64_b32 v16, v14, v15 offset0:14 offset1:15
	s_waitcnt lgkmcnt(7)
	v_add_f32_e32 v1, v1, v6
	ds_bpermute_b32 v6, v36, v1
	s_waitcnt lgkmcnt(0)
	v_add_f32_e32 v1, v1, v6
	ds_bpermute_b32 v6, v37, v1
	;; [unrolled: 3-line block ×5, first 2 shown]
	s_and_saveexec_b64 s[0:1], vcc
	s_cbranch_execz .LBB131_8
; %bb.7:
	s_waitcnt lgkmcnt(0)
	v_add_f32_e32 v1, v1, v2
	v_mov_b32_e32 v2, 0
	ds_write_b32 v2, v1 offset:4096
.LBB131_8:
	s_or_b64 exec, exec, s[0:1]
	v_mov_b32_e32 v1, s42
.LBB131_9:
	s_or_b64 exec, exec, s[54:55]
	s_lshl_b32 s0, s56, 7
	s_mov_b32 s1, 0
	s_lshl_b64 s[0:1], s[0:1], 1
	s_add_u32 s0, s40, s0
	s_addc_u32 s1, s41, s1
	s_lshl_b32 s10, s33, 7
	s_waitcnt lgkmcnt(0)
	v_lshlrev_b32_e32 v2, 7, v1
	v_mov_b32_e32 v3, 0
	s_add_i32 s11, s10, 0xffffff80
	v_lshlrev_b64 v[4:5], 1, v[2:3]
	s_cmp_lt_i32 s60, 1
	v_mov_b32_e32 v1, s1
	v_add_co_u32_e32 v2, vcc, s0, v4
	s_cselect_b32 s0, s11, 0
	v_addc_co_u32_e32 v4, vcc, v1, v5, vcc
	v_lshlrev_b32_e32 v0, 1, v0
	s_ashr_i32 s1, s0, 31
	v_add_co_u32_e32 v1, vcc, v2, v0
	s_lshl_b64 s[0:1], s[0:1], 1
	v_addc_co_u32_e32 v2, vcc, 0, v4, vcc
	s_cmpk_lt_i32 s60, 0x101
	v_add_co_u32_e32 v12, vcc, s0, v1
	s_cselect_b32 s0, s11, 0x80
	v_mov_b32_e32 v4, s1
	s_ashr_i32 s1, s0, 31
	s_lshl_b64 s[0:1], s[0:1], 1
	v_addc_co_u32_e32 v13, vcc, v2, v4, vcc
	s_cmpk_lt_i32 s60, 0x201
	v_add_co_u32_e32 v14, vcc, s0, v1
	s_cselect_b32 s0, s11, 0x100
	v_mov_b32_e32 v4, s1
	s_ashr_i32 s1, s0, 31
	;; [unrolled: 7-line block ×8, first 2 shown]
	s_lshl_b64 s[0:1], s[0:1], 1
	v_addc_co_u32_e32 v27, vcc, v2, v4, vcc
	s_cmpk_lt_i32 s60, 0x901
	global_load_ushort v4, v[12:13], off
	global_load_ushort v5, v[14:15], off
	;; [unrolled: 1-line block ×8, first 2 shown]
	v_add_co_u32_e32 v20, vcc, s0, v1
	s_cselect_b32 s0, s11, 0x480
	v_mov_b32_e32 v12, s1
	s_ashr_i32 s1, s0, 31
	s_lshl_b64 s[0:1], s[0:1], 1
	v_addc_co_u32_e32 v21, vcc, v2, v12, vcc
	s_cmpk_lt_i32 s60, 0xa01
	v_add_co_u32_e32 v22, vcc, s0, v1
	s_cselect_b32 s0, s11, 0x500
	v_mov_b32_e32 v12, s1
	s_ashr_i32 s1, s0, 31
	s_lshl_b64 s[0:1], s[0:1], 1
	v_addc_co_u32_e32 v23, vcc, v2, v12, vcc
	s_cmpk_lt_i32 s60, 0xb01
	;; [unrolled: 7-line block ×6, first 2 shown]
	v_add_co_u32_e32 v32, vcc, s0, v1
	s_cselect_b32 s0, s11, 0x780
	v_mov_b32_e32 v12, s1
	s_ashr_i32 s1, s0, 31
	v_addc_co_u32_e32 v33, vcc, v2, v12, vcc
	s_lshl_b64 s[0:1], s[0:1], 1
	v_mov_b32_e32 v12, s1
	v_add_co_u32_e32 v34, vcc, s0, v1
	v_addc_co_u32_e32 v35, vcc, v2, v12, vcc
	global_load_ushort v12, v[20:21], off
	global_load_ushort v13, v[22:23], off
	;; [unrolled: 1-line block ×8, first 2 shown]
	s_cmpk_gt_i32 s60, 0x1000
	s_cselect_b64 s[8:9], -1, 0
	s_cmpk_lt_i32 s60, 0x1001
	v_mov_b32_e32 v36, 0
	v_mov_b32_e32 v37, 0
	;; [unrolled: 1-line block ×48, first 2 shown]
	s_barrier
	s_cbranch_scc1 .LBB131_12
; %bb.10:
	s_cmpk_lt_u32 s60, 0x1101
	s_cselect_b32 s0, s11, 0x880
	s_ashr_i32 s1, s0, 31
	v_add_co_u32_e32 v28, vcc, 0x1000, v1
	s_lshl_b64 s[0:1], s[0:1], 1
	v_addc_co_u32_e32 v29, vcc, 0, v2, vcc
	s_cmpk_lt_u32 s60, 0x1201
	v_add_co_u32_e32 v30, vcc, s0, v1
	s_cselect_b32 s0, s11, 0x900
	v_mov_b32_e32 v20, s1
	s_ashr_i32 s1, s0, 31
	s_lshl_b64 s[0:1], s[0:1], 1
	v_addc_co_u32_e32 v31, vcc, v2, v20, vcc
	s_cmpk_lt_u32 s60, 0x1301
	v_add_co_u32_e32 v32, vcc, s0, v1
	s_cselect_b32 s0, s11, 0x980
	v_mov_b32_e32 v20, s1
	s_ashr_i32 s1, s0, 31
	;; [unrolled: 7-line block ×7, first 2 shown]
	s_lshl_b64 s[0:1], s[0:1], 1
	v_addc_co_u32_e32 v43, vcc, v2, v20, vcc
	s_cmpk_lt_u32 s60, 0x1901
	global_load_ushort v27, v[28:29], off
	global_load_ushort v26, v[30:31], off
	;; [unrolled: 1-line block ×8, first 2 shown]
	v_add_co_u32_e32 v36, vcc, s0, v1
	s_cselect_b32 s0, s11, 0xc80
	v_mov_b32_e32 v28, s1
	s_ashr_i32 s1, s0, 31
	s_lshl_b64 s[0:1], s[0:1], 1
	v_addc_co_u32_e32 v37, vcc, v2, v28, vcc
	s_cmpk_lt_u32 s60, 0x1a01
	v_add_co_u32_e32 v38, vcc, s0, v1
	s_cselect_b32 s0, s11, 0xd00
	v_mov_b32_e32 v28, s1
	s_ashr_i32 s1, s0, 31
	s_lshl_b64 s[0:1], s[0:1], 1
	v_addc_co_u32_e32 v39, vcc, v2, v28, vcc
	s_cmpk_lt_u32 s60, 0x1b01
	;; [unrolled: 7-line block ×6, first 2 shown]
	v_add_co_u32_e32 v48, vcc, s0, v1
	s_cselect_b32 s0, s11, 0xf80
	v_mov_b32_e32 v28, s1
	s_ashr_i32 s1, s0, 31
	v_addc_co_u32_e32 v49, vcc, v2, v28, vcc
	s_lshl_b64 s[0:1], s[0:1], 1
	v_mov_b32_e32 v28, s1
	v_add_co_u32_e32 v50, vcc, s0, v1
	v_addc_co_u32_e32 v51, vcc, v2, v28, vcc
	global_load_ushort v35, v[36:37], off
	global_load_ushort v34, v[38:39], off
	;; [unrolled: 1-line block ×8, first 2 shown]
	s_cmpk_lt_u32 s60, 0x2001
	v_mov_b32_e32 v67, 0
	v_mov_b32_e32 v66, 0
	;; [unrolled: 1-line block ×32, first 2 shown]
	s_cbranch_scc1 .LBB131_12
; %bb.11:
	s_cmpk_lt_u32 s60, 0x2101
	s_cselect_b32 s0, s11, 0x1080
	s_ashr_i32 s1, s0, 31
	v_add_co_u32_e32 v36, vcc, 0x2000, v1
	s_lshl_b64 s[0:1], s[0:1], 1
	v_addc_co_u32_e32 v37, vcc, 0, v2, vcc
	s_cmpk_lt_u32 s60, 0x2201
	v_add_co_u32_e32 v38, vcc, s0, v1
	s_cselect_b32 s0, s11, 0x1100
	v_mov_b32_e32 v39, s1
	s_ashr_i32 s1, s0, 31
	s_lshl_b64 s[0:1], s[0:1], 1
	v_addc_co_u32_e32 v39, vcc, v2, v39, vcc
	s_cmpk_lt_u32 s60, 0x2301
	v_add_co_u32_e32 v40, vcc, s0, v1
	s_cselect_b32 s0, s11, 0x1180
	v_mov_b32_e32 v41, s1
	s_ashr_i32 s1, s0, 31
	s_lshl_b64 s[0:1], s[0:1], 1
	v_addc_co_u32_e32 v41, vcc, v2, v41, vcc
	s_cmpk_lt_u32 s60, 0x2401
	v_add_co_u32_e32 v42, vcc, s0, v1
	s_cselect_b32 s0, s11, 0x1200
	v_mov_b32_e32 v43, s1
	s_ashr_i32 s1, s0, 31
	s_lshl_b64 s[0:1], s[0:1], 1
	v_addc_co_u32_e32 v43, vcc, v2, v43, vcc
	s_cmpk_lt_u32 s60, 0x2501
	v_add_co_u32_e32 v44, vcc, s0, v1
	s_cselect_b32 s0, s11, 0x1280
	v_mov_b32_e32 v45, s1
	s_ashr_i32 s1, s0, 31
	s_lshl_b64 s[0:1], s[0:1], 1
	v_addc_co_u32_e32 v45, vcc, v2, v45, vcc
	s_cmpk_lt_u32 s60, 0x2601
	v_add_co_u32_e32 v46, vcc, s0, v1
	s_cselect_b32 s0, s11, 0x1300
	v_mov_b32_e32 v47, s1
	s_ashr_i32 s1, s0, 31
	s_lshl_b64 s[0:1], s[0:1], 1
	v_addc_co_u32_e32 v47, vcc, v2, v47, vcc
	s_cmpk_lt_u32 s60, 0x2701
	v_add_co_u32_e32 v48, vcc, s0, v1
	s_cselect_b32 s0, s11, 0x1380
	v_mov_b32_e32 v49, s1
	s_ashr_i32 s1, s0, 31
	s_lshl_b64 s[0:1], s[0:1], 1
	v_addc_co_u32_e32 v49, vcc, v2, v49, vcc
	s_cmpk_lt_u32 s60, 0x2801
	v_add_co_u32_e32 v50, vcc, s0, v1
	s_cselect_b32 s0, s11, 0x1400
	v_mov_b32_e32 v51, s1
	s_ashr_i32 s1, s0, 31
	s_lshl_b64 s[0:1], s[0:1], 1
	v_addc_co_u32_e32 v51, vcc, v2, v51, vcc
	s_cmpk_lt_u32 s60, 0x2901
	global_load_ushort v52, v[36:37], off
	global_load_ushort v53, v[38:39], off
	global_load_ushort v54, v[40:41], off
	global_load_ushort v55, v[42:43], off
	global_load_ushort v56, v[44:45], off
	global_load_ushort v57, v[46:47], off
	global_load_ushort v58, v[48:49], off
	global_load_ushort v59, v[50:51], off
	v_add_co_u32_e32 v36, vcc, s0, v1
	s_cselect_b32 s0, s11, 0x1480
	v_mov_b32_e32 v37, s1
	s_ashr_i32 s1, s0, 31
	s_lshl_b64 s[0:1], s[0:1], 1
	v_addc_co_u32_e32 v37, vcc, v2, v37, vcc
	s_cmpk_lt_u32 s60, 0x2a01
	v_add_co_u32_e32 v38, vcc, s0, v1
	s_cselect_b32 s0, s11, 0x1500
	v_mov_b32_e32 v39, s1
	s_ashr_i32 s1, s0, 31
	s_lshl_b64 s[0:1], s[0:1], 1
	v_addc_co_u32_e32 v39, vcc, v2, v39, vcc
	s_cmpk_lt_u32 s60, 0x2b01
	v_add_co_u32_e32 v40, vcc, s0, v1
	s_cselect_b32 s0, s11, 0x1580
	v_mov_b32_e32 v41, s1
	s_ashr_i32 s1, s0, 31
	s_lshl_b64 s[0:1], s[0:1], 1
	v_addc_co_u32_e32 v41, vcc, v2, v41, vcc
	s_cmpk_lt_u32 s60, 0x2c01
	v_add_co_u32_e32 v42, vcc, s0, v1
	s_cselect_b32 s0, s11, 0x1600
	v_mov_b32_e32 v43, s1
	s_ashr_i32 s1, s0, 31
	s_lshl_b64 s[0:1], s[0:1], 1
	v_addc_co_u32_e32 v43, vcc, v2, v43, vcc
	s_cmpk_lt_u32 s60, 0x2d01
	v_add_co_u32_e32 v44, vcc, s0, v1
	s_cselect_b32 s0, s11, 0x1680
	v_mov_b32_e32 v45, s1
	s_ashr_i32 s1, s0, 31
	s_lshl_b64 s[0:1], s[0:1], 1
	v_addc_co_u32_e32 v45, vcc, v2, v45, vcc
	s_cmpk_lt_u32 s60, 0x2e01
	v_add_co_u32_e32 v46, vcc, s0, v1
	s_cselect_b32 s0, s11, 0x1700
	v_mov_b32_e32 v47, s1
	s_ashr_i32 s1, s0, 31
	s_lshl_b64 s[0:1], s[0:1], 1
	v_addc_co_u32_e32 v47, vcc, v2, v47, vcc
	s_cmpk_lt_u32 s60, 0x2f01
	v_add_co_u32_e32 v48, vcc, s0, v1
	s_cselect_b32 s0, s11, 0x1780
	v_mov_b32_e32 v49, s1
	s_ashr_i32 s1, s0, 31
	s_lshl_b64 s[0:1], s[0:1], 1
	v_addc_co_u32_e32 v49, vcc, v2, v49, vcc
	s_cmpk_lt_u32 s60, 0x3001
	v_add_co_u32_e32 v50, vcc, s0, v1
	s_cselect_b32 s0, s11, 0x1800
	v_mov_b32_e32 v51, s1
	s_ashr_i32 s1, s0, 31
	s_lshl_b64 s[0:1], s[0:1], 1
	v_addc_co_u32_e32 v51, vcc, v2, v51, vcc
	s_cmpk_lt_u32 s60, 0x3101
	global_load_ushort v68, v[36:37], off
	global_load_ushort v69, v[38:39], off
	global_load_ushort v70, v[40:41], off
	global_load_ushort v71, v[42:43], off
	global_load_ushort v72, v[44:45], off
	global_load_ushort v73, v[46:47], off
	global_load_ushort v74, v[48:49], off
	global_load_ushort v75, v[50:51], off
	v_add_co_u32_e32 v36, vcc, s0, v1
	s_cselect_b32 s0, s11, 0x1880
	v_mov_b32_e32 v37, s1
	s_ashr_i32 s1, s0, 31
	;; [unrolled: 64-line block ×3, first 2 shown]
	s_lshl_b64 s[0:1], s[0:1], 1
	v_addc_co_u32_e32 v37, vcc, v2, v37, vcc
	s_cmpk_lt_u32 s60, 0x3a01
	v_add_co_u32_e32 v38, vcc, s0, v1
	s_cselect_b32 s0, s11, 0x1d00
	v_mov_b32_e32 v39, s1
	s_ashr_i32 s1, s0, 31
	s_lshl_b64 s[0:1], s[0:1], 1
	v_addc_co_u32_e32 v39, vcc, v2, v39, vcc
	s_cmpk_lt_u32 s60, 0x3b01
	v_add_co_u32_e32 v40, vcc, s0, v1
	s_cselect_b32 s0, s11, 0x1d80
	v_mov_b32_e32 v41, s1
	s_ashr_i32 s1, s0, 31
	;; [unrolled: 7-line block ×6, first 2 shown]
	v_addc_co_u32_e32 v49, vcc, v2, v49, vcc
	s_lshl_b64 s[0:1], s[0:1], 1
	v_mov_b32_e32 v51, s1
	v_add_co_u32_e32 v50, vcc, s0, v1
	v_addc_co_u32_e32 v51, vcc, v2, v51, vcc
	global_load_ushort v84, v[36:37], off
	global_load_ushort v85, v[38:39], off
	;; [unrolled: 1-line block ×8, first 2 shown]
	s_waitcnt vmcnt(31)
	v_cvt_f32_f16_e32 v67, v52
	s_waitcnt vmcnt(30)
	v_cvt_f32_f16_e32 v66, v53
	;; [unrolled: 2-line block ×32, first 2 shown]
.LBB131_12:
	ds_read_b128 v[68:71], v3
	s_load_dwordx2 s[0:1], s[4:5], 0x0
	s_load_dwordx2 s[2:3], s[4:5], 0x38
	ds_read_b128 v[72:75], v3 offset:16
	ds_read_b128 v[76:79], v3 offset:32
	;; [unrolled: 1-line block ×3, first 2 shown]
	s_and_b64 vcc, exec, s[8:9]
	s_waitcnt vmcnt(15) lgkmcnt(0)
	v_fma_mix_f32 v4, v68, v4, 0 op_sel_hi:[0,1,0]
	s_waitcnt vmcnt(14)
	v_fma_mix_f32 v4, v69, v5, v4 op_sel_hi:[0,1,0]
	s_waitcnt vmcnt(13)
	;; [unrolled: 2-line block ×15, first 2 shown]
	v_fma_mix_f32 v4, v83, v19, v4 op_sel_hi:[0,1,0]
	s_cbranch_vccz .LBB131_15
; %bb.13:
	ds_read_b128 v[6:9], v3 offset:64
	ds_read_b128 v[10:13], v3 offset:80
	;; [unrolled: 1-line block ×4, first 2 shown]
	s_cmpk_lt_u32 s60, 0x2001
	s_waitcnt lgkmcnt(3)
	v_fma_mix_f32 v3, v6, v27, v4 op_sel_hi:[0,1,0]
	v_fma_mix_f32 v3, v7, v26, v3 op_sel_hi:[0,1,0]
	v_fma_mix_f32 v3, v8, v25, v3 op_sel_hi:[0,1,0]
	v_fma_mix_f32 v3, v9, v24, v3 op_sel_hi:[0,1,0]
	s_waitcnt lgkmcnt(2)
	v_fma_mix_f32 v3, v10, v23, v3 op_sel_hi:[0,1,0]
	v_fma_mix_f32 v3, v11, v22, v3 op_sel_hi:[0,1,0]
	v_fma_mix_f32 v3, v12, v20, v3 op_sel_hi:[0,1,0]
	v_fma_mix_f32 v3, v13, v21, v3 op_sel_hi:[0,1,0]
	s_waitcnt lgkmcnt(1)
	v_fma_mix_f32 v3, v14, v35, v3 op_sel_hi:[0,1,0]
	v_fma_mix_f32 v3, v15, v34, v3 op_sel_hi:[0,1,0]
	v_fma_mix_f32 v3, v16, v33, v3 op_sel_hi:[0,1,0]
	v_fma_mix_f32 v3, v17, v32, v3 op_sel_hi:[0,1,0]
	s_waitcnt lgkmcnt(0)
	v_fma_mix_f32 v3, v68, v31, v3 op_sel_hi:[0,1,0]
	v_fma_mix_f32 v3, v69, v30, v3 op_sel_hi:[0,1,0]
	v_fma_mix_f32 v3, v70, v29, v3 op_sel_hi:[0,1,0]
	v_fma_mix_f32 v4, v71, v28, v3 op_sel_hi:[0,1,0]
	s_cbranch_scc1 .LBB131_15
; %bb.14:
	v_mov_b32_e32 v3, 0
	ds_read_b128 v[6:9], v3 offset:128
	ds_read_b128 v[10:13], v3 offset:144
	;; [unrolled: 1-line block ×4, first 2 shown]
	s_waitcnt lgkmcnt(3)
	v_fmac_f32_e32 v4, v6, v67
	v_fmac_f32_e32 v4, v7, v66
	v_fmac_f32_e32 v4, v8, v65
	v_fmac_f32_e32 v4, v9, v64
	s_waitcnt lgkmcnt(2)
	v_fmac_f32_e32 v4, v10, v63
	v_fmac_f32_e32 v4, v11, v62
	v_fmac_f32_e32 v4, v12, v61
	v_fmac_f32_e32 v4, v13, v60
	;; [unrolled: 5-line block ×3, first 2 shown]
	ds_read_b128 v[6:9], v3 offset:192
	ds_read_b128 v[10:13], v3 offset:208
	s_waitcnt lgkmcnt(2)
	v_fmac_f32_e32 v4, v18, v55
	v_fmac_f32_e32 v4, v19, v54
	;; [unrolled: 1-line block ×4, first 2 shown]
	s_waitcnt lgkmcnt(1)
	v_fmac_f32_e32 v4, v6, v51
	v_fmac_f32_e32 v4, v7, v50
	;; [unrolled: 1-line block ×4, first 2 shown]
	ds_read_b128 v[6:9], v3 offset:224
	s_waitcnt lgkmcnt(1)
	v_fmac_f32_e32 v4, v10, v47
	v_fmac_f32_e32 v4, v11, v46
	;; [unrolled: 1-line block ×4, first 2 shown]
	ds_read_b128 v[10:13], v3 offset:240
	s_waitcnt lgkmcnt(1)
	v_fmac_f32_e32 v4, v6, v43
	v_fmac_f32_e32 v4, v7, v42
	;; [unrolled: 1-line block ×4, first 2 shown]
	s_waitcnt lgkmcnt(0)
	v_fmac_f32_e32 v4, v10, v39
	v_fmac_f32_e32 v4, v11, v38
	;; [unrolled: 1-line block ×4, first 2 shown]
.LBB131_15:
	s_movk_i32 s4, 0x3f80
	s_movk_i32 s5, 0x100
	s_mov_b32 s8, 64
	s_branch .LBB131_17
.LBB131_16:                             ;   in Loop: Header=BB131_17 Depth=1
	s_addk_i32 s4, 0x2000
	s_addk_i32 s5, 0x100
	s_add_i32 s8, s8, 64
	s_cmp_eq_u32 s4, 0x21f80
	s_cbranch_scc1 .LBB131_19
.LBB131_17:                             ; =>This Inner Loop Header: Depth=1
	s_cmp_le_i32 s33, s8
	s_cbranch_scc1 .LBB131_16
; %bb.18:                               ;   in Loop: Header=BB131_17 Depth=1
	s_add_i32 s9, s4, 0xffffe080
	s_cmp_lt_i32 s9, s10
	s_cselect_b32 s12, s9, s11
	s_ashr_i32 s13, s12, 31
	s_lshl_b64 s[12:13], s[12:13], 1
	s_add_i32 s9, s4, 0xffffe100
	s_cmp_lt_i32 s9, s10
	v_add_co_u32_e32 v12, vcc, s12, v1
	s_cselect_b32 s12, s9, s11
	v_mov_b32_e32 v3, s13
	s_ashr_i32 s13, s12, 31
	s_lshl_b64 s[12:13], s[12:13], 1
	s_add_i32 s9, s4, 0xffffe180
	v_addc_co_u32_e32 v13, vcc, v2, v3, vcc
	s_cmp_lt_i32 s9, s10
	v_add_co_u32_e32 v14, vcc, s12, v1
	s_cselect_b32 s12, s9, s11
	v_mov_b32_e32 v3, s13
	s_ashr_i32 s13, s12, 31
	s_lshl_b64 s[12:13], s[12:13], 1
	s_add_i32 s9, s4, 0xffffe200
	v_addc_co_u32_e32 v15, vcc, v2, v3, vcc
	;; [unrolled: 8-line block ×8, first 2 shown]
	s_cmp_lt_i32 s9, s10
	global_load_ushort v3, v[12:13], off
	global_load_ushort v5, v[14:15], off
	;; [unrolled: 1-line block ×8, first 2 shown]
	v_add_co_u32_e32 v20, vcc, s12, v1
	s_cselect_b32 s12, s9, s11
	v_mov_b32_e32 v12, s13
	s_ashr_i32 s13, s12, 31
	s_lshl_b64 s[12:13], s[12:13], 1
	s_add_i32 s9, s4, 0xffffe580
	v_addc_co_u32_e32 v21, vcc, v2, v12, vcc
	s_cmp_lt_i32 s9, s10
	v_add_co_u32_e32 v22, vcc, s12, v1
	s_cselect_b32 s12, s9, s11
	v_mov_b32_e32 v12, s13
	s_ashr_i32 s13, s12, 31
	s_lshl_b64 s[12:13], s[12:13], 1
	s_add_i32 s9, s4, 0xffffe600
	v_addc_co_u32_e32 v23, vcc, v2, v12, vcc
	s_cmp_lt_i32 s9, s10
	;; [unrolled: 8-line block ×8, first 2 shown]
	global_load_ushort v15, v[20:21], off
	global_load_ushort v16, v[22:23], off
	;; [unrolled: 1-line block ×8, first 2 shown]
	v_add_co_u32_e32 v28, vcc, s12, v1
	s_cselect_b32 s12, s9, s11
	v_mov_b32_e32 v20, s13
	s_ashr_i32 s13, s12, 31
	s_lshl_b64 s[12:13], s[12:13], 1
	s_add_i32 s9, s4, 0xffffe980
	v_addc_co_u32_e32 v29, vcc, v2, v20, vcc
	s_cmp_lt_i32 s9, s10
	v_add_co_u32_e32 v30, vcc, s12, v1
	s_cselect_b32 s12, s9, s11
	v_mov_b32_e32 v20, s13
	s_ashr_i32 s13, s12, 31
	s_lshl_b64 s[12:13], s[12:13], 1
	s_add_i32 s9, s4, 0xffffea00
	v_addc_co_u32_e32 v31, vcc, v2, v20, vcc
	s_cmp_lt_i32 s9, s10
	;; [unrolled: 8-line block ×8, first 2 shown]
	global_load_ushort v23, v[28:29], off
	global_load_ushort v24, v[30:31], off
	;; [unrolled: 1-line block ×8, first 2 shown]
	v_add_co_u32_e32 v36, vcc, s12, v1
	s_cselect_b32 s12, s9, s11
	v_mov_b32_e32 v28, s13
	s_ashr_i32 s13, s12, 31
	s_lshl_b64 s[12:13], s[12:13], 1
	s_add_i32 s9, s4, 0xffffed80
	v_addc_co_u32_e32 v37, vcc, v2, v28, vcc
	s_cmp_lt_i32 s9, s10
	v_add_co_u32_e32 v38, vcc, s12, v1
	s_cselect_b32 s12, s9, s11
	v_mov_b32_e32 v28, s13
	s_ashr_i32 s13, s12, 31
	s_lshl_b64 s[12:13], s[12:13], 1
	s_add_i32 s9, s4, 0xffffee00
	v_addc_co_u32_e32 v39, vcc, v2, v28, vcc
	s_cmp_lt_i32 s9, s10
	v_add_co_u32_e32 v40, vcc, s12, v1
	s_cselect_b32 s12, s9, s11
	v_mov_b32_e32 v28, s13
	s_ashr_i32 s13, s12, 31
	s_lshl_b64 s[12:13], s[12:13], 1
	s_add_i32 s9, s4, 0xffffee80
	v_addc_co_u32_e32 v41, vcc, v2, v28, vcc
	s_cmp_lt_i32 s9, s10
	v_add_co_u32_e32 v42, vcc, s12, v1
	s_cselect_b32 s12, s9, s11
	v_mov_b32_e32 v28, s13
	s_ashr_i32 s13, s12, 31
	s_lshl_b64 s[12:13], s[12:13], 1
	s_add_i32 s9, s4, 0xffffef00
	v_addc_co_u32_e32 v43, vcc, v2, v28, vcc
	s_cmp_lt_i32 s9, s10
	v_add_co_u32_e32 v44, vcc, s12, v1
	s_cselect_b32 s12, s9, s11
	v_mov_b32_e32 v28, s13
	s_ashr_i32 s13, s12, 31
	s_lshl_b64 s[12:13], s[12:13], 1
	s_add_i32 s9, s4, 0xffffef80
	v_addc_co_u32_e32 v45, vcc, v2, v28, vcc
	s_cmp_lt_i32 s9, s10
	v_add_co_u32_e32 v46, vcc, s12, v1
	s_cselect_b32 s12, s9, s11
	v_mov_b32_e32 v28, s13
	s_ashr_i32 s13, s12, 31
	s_lshl_b64 s[12:13], s[12:13], 1
	s_add_i32 s9, s4, 0xfffff000
	v_addc_co_u32_e32 v47, vcc, v2, v28, vcc
	s_cmp_lt_i32 s9, s10
	v_add_co_u32_e32 v48, vcc, s12, v1
	s_cselect_b32 s12, s9, s11
	v_mov_b32_e32 v28, s13
	s_ashr_i32 s13, s12, 31
	s_lshl_b64 s[12:13], s[12:13], 1
	s_add_i32 s9, s4, 0xfffff080
	v_addc_co_u32_e32 v49, vcc, v2, v28, vcc
	s_cmp_lt_i32 s9, s10
	v_add_co_u32_e32 v50, vcc, s12, v1
	s_cselect_b32 s12, s9, s11
	v_mov_b32_e32 v28, s13
	s_ashr_i32 s13, s12, 31
	s_lshl_b64 s[12:13], s[12:13], 1
	s_add_i32 s9, s4, 0xfffff100
	v_addc_co_u32_e32 v51, vcc, v2, v28, vcc
	s_cmp_lt_i32 s9, s10
	global_load_ushort v31, v[36:37], off
	global_load_ushort v32, v[38:39], off
	;; [unrolled: 1-line block ×8, first 2 shown]
	v_add_co_u32_e32 v36, vcc, s12, v1
	s_cselect_b32 s12, s9, s11
	v_mov_b32_e32 v37, s13
	s_ashr_i32 s13, s12, 31
	s_lshl_b64 s[12:13], s[12:13], 1
	s_add_i32 s9, s4, 0xfffff180
	v_addc_co_u32_e32 v37, vcc, v2, v37, vcc
	s_cmp_lt_i32 s9, s10
	v_add_co_u32_e32 v38, vcc, s12, v1
	s_cselect_b32 s12, s9, s11
	v_mov_b32_e32 v39, s13
	s_ashr_i32 s13, s12, 31
	s_lshl_b64 s[12:13], s[12:13], 1
	s_add_i32 s9, s4, 0xfffff200
	v_addc_co_u32_e32 v39, vcc, v2, v39, vcc
	s_cmp_lt_i32 s9, s10
	;; [unrolled: 8-line block ×8, first 2 shown]
	global_load_ushort v52, v[36:37], off
	global_load_ushort v53, v[38:39], off
	;; [unrolled: 1-line block ×8, first 2 shown]
	v_add_co_u32_e32 v36, vcc, s12, v1
	s_cselect_b32 s12, s9, s11
	v_mov_b32_e32 v37, s13
	s_ashr_i32 s13, s12, 31
	s_lshl_b64 s[12:13], s[12:13], 1
	s_add_i32 s9, s4, 0xfffff580
	v_addc_co_u32_e32 v37, vcc, v2, v37, vcc
	s_cmp_lt_i32 s9, s10
	v_add_co_u32_e32 v38, vcc, s12, v1
	s_cselect_b32 s12, s9, s11
	v_mov_b32_e32 v39, s13
	s_ashr_i32 s13, s12, 31
	s_lshl_b64 s[12:13], s[12:13], 1
	s_add_i32 s9, s4, 0xfffff600
	v_addc_co_u32_e32 v39, vcc, v2, v39, vcc
	s_cmp_lt_i32 s9, s10
	;; [unrolled: 8-line block ×8, first 2 shown]
	global_load_ushort v60, v[36:37], off
	global_load_ushort v61, v[38:39], off
	;; [unrolled: 1-line block ×8, first 2 shown]
	v_add_co_u32_e32 v36, vcc, s12, v1
	s_cselect_b32 s12, s9, s11
	v_mov_b32_e32 v37, s13
	s_ashr_i32 s13, s12, 31
	s_lshl_b64 s[12:13], s[12:13], 1
	s_add_i32 s9, s4, 0xfffff980
	v_addc_co_u32_e32 v37, vcc, v2, v37, vcc
	s_cmp_lt_i32 s9, s10
	v_add_co_u32_e32 v38, vcc, s12, v1
	s_cselect_b32 s12, s9, s11
	v_mov_b32_e32 v39, s13
	s_ashr_i32 s13, s12, 31
	s_lshl_b64 s[12:13], s[12:13], 1
	s_add_i32 s9, s4, 0xfffffa00
	v_addc_co_u32_e32 v39, vcc, v2, v39, vcc
	s_cmp_lt_i32 s9, s10
	;; [unrolled: 8-line block ×8, first 2 shown]
	global_load_ushort v68, v[36:37], off
	global_load_ushort v69, v[38:39], off
	;; [unrolled: 1-line block ×8, first 2 shown]
	v_add_co_u32_e32 v36, vcc, s12, v1
	s_cselect_b32 s12, s9, s11
	v_mov_b32_e32 v37, s13
	s_ashr_i32 s13, s12, 31
	s_lshl_b64 s[12:13], s[12:13], 1
	s_add_i32 s9, s4, 0xfffffd80
	v_addc_co_u32_e32 v37, vcc, v2, v37, vcc
	s_cmp_lt_i32 s9, s10
	v_add_co_u32_e32 v38, vcc, s12, v1
	s_cselect_b32 s12, s9, s11
	v_mov_b32_e32 v39, s13
	s_ashr_i32 s13, s12, 31
	s_lshl_b64 s[12:13], s[12:13], 1
	s_add_i32 s9, s4, 0xfffffe00
	v_addc_co_u32_e32 v39, vcc, v2, v39, vcc
	s_cmp_lt_i32 s9, s10
	;; [unrolled: 8-line block ×5, first 2 shown]
	v_add_co_u32_e32 v46, vcc, s12, v1
	s_cselect_b32 s12, s9, s11
	v_mov_b32_e32 v47, s13
	s_ashr_i32 s13, s12, 31
	s_lshl_b64 s[12:13], s[12:13], 1
	v_addc_co_u32_e32 v47, vcc, v2, v47, vcc
	s_cmp_lt_i32 s4, s10
	v_add_co_u32_e32 v48, vcc, s12, v1
	s_cselect_b32 s12, s4, s11
	v_mov_b32_e32 v49, s13
	s_ashr_i32 s13, s12, 31
	v_addc_co_u32_e32 v49, vcc, v2, v49, vcc
	s_lshl_b64 s[12:13], s[12:13], 1
	v_mov_b32_e32 v51, s13
	v_add_co_u32_e32 v50, vcc, s12, v1
	v_addc_co_u32_e32 v51, vcc, v2, v51, vcc
	global_load_ushort v76, v[36:37], off
	global_load_ushort v77, v[38:39], off
	;; [unrolled: 1-line block ×8, first 2 shown]
	v_mov_b32_e32 v84, s5
	ds_read_b128 v[36:39], v84
	ds_read_b128 v[40:43], v84 offset:16
	ds_read_b128 v[44:47], v84 offset:32
	ds_read_b128 v[48:51], v84 offset:48
	s_waitcnt vmcnt(62) lgkmcnt(3)
	v_fma_mix_f32 v3, v36, v3, v4 op_sel_hi:[0,1,0]
	v_fma_mix_f32 v3, v37, v5, v3 op_sel_hi:[0,1,0]
	s_waitcnt vmcnt(61)
	v_fma_mix_f32 v3, v38, v6, v3 op_sel_hi:[0,1,0]
	s_waitcnt vmcnt(60)
	v_fma_mix_f32 v3, v39, v7, v3 op_sel_hi:[0,1,0]
	s_waitcnt vmcnt(59) lgkmcnt(2)
	v_fma_mix_f32 v3, v40, v8, v3 op_sel_hi:[0,1,0]
	s_waitcnt vmcnt(58)
	v_fma_mix_f32 v3, v41, v9, v3 op_sel_hi:[0,1,0]
	s_waitcnt vmcnt(57)
	;; [unrolled: 2-line block ×3, first 2 shown]
	v_fma_mix_f32 v3, v43, v11, v3 op_sel_hi:[0,1,0]
	s_waitcnt vmcnt(55) lgkmcnt(1)
	v_fma_mix_f32 v3, v44, v15, v3 op_sel_hi:[0,1,0]
	s_waitcnt vmcnt(54)
	v_fma_mix_f32 v3, v45, v16, v3 op_sel_hi:[0,1,0]
	s_waitcnt vmcnt(53)
	;; [unrolled: 2-line block ×3, first 2 shown]
	v_fma_mix_f32 v3, v47, v18, v3 op_sel_hi:[0,1,0]
	ds_read_b128 v[4:7], v84 offset:64
	ds_read_b128 v[8:11], v84 offset:80
	s_waitcnt vmcnt(51) lgkmcnt(2)
	v_fma_mix_f32 v3, v48, v19, v3 op_sel_hi:[0,1,0]
	s_waitcnt vmcnt(50)
	v_fma_mix_f32 v3, v49, v12, v3 op_sel_hi:[0,1,0]
	s_waitcnt vmcnt(49)
	;; [unrolled: 2-line block ×3, first 2 shown]
	v_fma_mix_f32 v3, v51, v14, v3 op_sel_hi:[0,1,0]
	s_waitcnt vmcnt(47) lgkmcnt(1)
	v_fma_mix_f32 v3, v4, v23, v3 op_sel_hi:[0,1,0]
	s_waitcnt vmcnt(46)
	v_fma_mix_f32 v3, v5, v24, v3 op_sel_hi:[0,1,0]
	s_waitcnt vmcnt(45)
	v_fma_mix_f32 v3, v6, v25, v3 op_sel_hi:[0,1,0]
	s_waitcnt vmcnt(44)
	v_fma_mix_f32 v3, v7, v26, v3 op_sel_hi:[0,1,0]
	ds_read_b128 v[4:7], v84 offset:96
	s_waitcnt vmcnt(43) lgkmcnt(1)
	v_fma_mix_f32 v3, v8, v27, v3 op_sel_hi:[0,1,0]
	s_waitcnt vmcnt(42)
	v_fma_mix_f32 v3, v9, v20, v3 op_sel_hi:[0,1,0]
	s_waitcnt vmcnt(41)
	v_fma_mix_f32 v3, v10, v21, v3 op_sel_hi:[0,1,0]
	s_waitcnt vmcnt(40)
	v_fma_mix_f32 v3, v11, v22, v3 op_sel_hi:[0,1,0]
	ds_read_b128 v[8:11], v84 offset:112
	;; [unrolled: 9-line block ×10, first 2 shown]
	s_waitcnt vmcnt(7) lgkmcnt(1)
	v_fma_mix_f32 v3, v4, v76, v3 op_sel_hi:[0,1,0]
	s_waitcnt vmcnt(6)
	v_fma_mix_f32 v3, v5, v77, v3 op_sel_hi:[0,1,0]
	s_waitcnt vmcnt(5)
	;; [unrolled: 2-line block ×3, first 2 shown]
	v_fma_mix_f32 v3, v7, v79, v3 op_sel_hi:[0,1,0]
	s_waitcnt vmcnt(3) lgkmcnt(0)
	v_fma_mix_f32 v3, v8, v80, v3 op_sel_hi:[0,1,0]
	s_waitcnt vmcnt(2)
	v_fma_mix_f32 v3, v9, v81, v3 op_sel_hi:[0,1,0]
	s_waitcnt vmcnt(1)
	;; [unrolled: 2-line block ×3, first 2 shown]
	v_fma_mix_f32 v4, v11, v83, v3 op_sel_hi:[0,1,0]
	s_branch .LBB131_16
.LBB131_19:
	v_mov_b32_e32 v1, 0
	ds_read_b32 v2, v1 offset:4096
	s_cmp_lg_u64 s[2:3], 0
	s_cbranch_scc0 .LBB131_24
; %bb.20:
	s_load_dword s4, s[2:3], 0x0
	s_waitcnt lgkmcnt(0)
	v_div_scale_f32 v1, s[2:3], s4, s4, 1.0
	v_rcp_f32_e32 v3, v1
	v_div_scale_f32 v5, vcc, 1.0, s4, 1.0
	v_fma_f32 v6, -v1, v3, 1.0
	v_fmac_f32_e32 v3, v6, v3
	v_mul_f32_e32 v6, v5, v3
	v_fma_f32 v7, -v1, v6, v5
	v_fmac_f32_e32 v6, v7, v3
	v_fma_f32 v1, -v1, v6, v5
	v_div_fmas_f32 v1, v1, v3, v6
	v_div_fixup_f32 v1, v1, s4, 1.0
	s_andn2_b64 vcc, exec, s[50:51]
	s_cbranch_vccnz .LBB131_22
.LBB131_21:
	s_add_u32 s2, s48, s52
	s_addc_u32 s3, s49, s53
	s_load_dword s38, s[2:3], 0x0
	s_mov_b32 s39, 0
.LBB131_22:
	s_waitcnt lgkmcnt(0)
	v_add_f32_e32 v2, 0x358637bd, v2
	v_div_scale_f32 v3, s[2:3], v2, v2, 1.0
	v_rcp_f32_e32 v5, v3
	v_div_scale_f32 v6, vcc, 1.0, v2, 1.0
	s_mul_i32 s2, s7, s39
	v_fma_f32 v7, -v3, v5, 1.0
	v_fmac_f32_e32 v5, v7, v5
	v_mul_f32_e32 v7, v6, v5
	v_fma_f32 v8, -v3, v7, v6
	s_mul_hi_u32 s3, s7, s38
	v_fmac_f32_e32 v7, v8, v5
	s_add_i32 s3, s3, s2
	s_mul_i32 s2, s7, s38
	v_fma_f32 v3, -v3, v7, v6
	s_lshl_b64 s[2:3], s[2:3], 8
	v_div_fmas_f32 v3, v3, v5, v7
	s_add_u32 s2, s0, s2
	s_mov_b32 s7, 0
	v_div_fixup_f32 v2, v3, v2, 1.0
	s_addc_u32 s3, s1, s3
	s_lshl_b64 s[0:1], s[6:7], 8
	v_mul_f32_e32 v2, v4, v2
	s_add_u32 s0, s2, s0
	s_addc_u32 s1, s3, s1
	v_fma_mixlo_f16 v1, v2, v1, 0
	global_store_short v0, v1, s[0:1]
	s_endpgm
.LBB131_23:
	s_mov_b64 s[2:3], 0
	s_branch .LBB131_2
.LBB131_24:
	v_mov_b32_e32 v1, 1.0
	s_andn2_b64 vcc, exec, s[50:51]
	s_cbranch_vccz .LBB131_21
	s_branch .LBB131_22
	.section	.rodata,"a",@progbits
	.p2align	6, 0x0
	.amdhsa_kernel _Z35paged_attention_ll4mi_reduce_kernelIDF16_DF16_Li128ELi128ELi256ELi16EEvPT0_PKfS3_PKT_PKiS8_iS3_
		.amdhsa_group_segment_fixed_size 4100
		.amdhsa_private_segment_fixed_size 0
		.amdhsa_kernarg_size 320
		.amdhsa_user_sgpr_count 6
		.amdhsa_user_sgpr_private_segment_buffer 1
		.amdhsa_user_sgpr_dispatch_ptr 0
		.amdhsa_user_sgpr_queue_ptr 0
		.amdhsa_user_sgpr_kernarg_segment_ptr 1
		.amdhsa_user_sgpr_dispatch_id 0
		.amdhsa_user_sgpr_flat_scratch_init 0
		.amdhsa_user_sgpr_kernarg_preload_length 0
		.amdhsa_user_sgpr_kernarg_preload_offset 0
		.amdhsa_user_sgpr_private_segment_size 0
		.amdhsa_uses_dynamic_stack 0
		.amdhsa_system_sgpr_private_segment_wavefront_offset 0
		.amdhsa_system_sgpr_workgroup_id_x 1
		.amdhsa_system_sgpr_workgroup_id_y 1
		.amdhsa_system_sgpr_workgroup_id_z 0
		.amdhsa_system_sgpr_workgroup_info 0
		.amdhsa_system_vgpr_workitem_id 0
		.amdhsa_next_free_vgpr 92
		.amdhsa_next_free_sgpr 61
		.amdhsa_accum_offset 92
		.amdhsa_reserve_vcc 1
		.amdhsa_reserve_flat_scratch 0
		.amdhsa_float_round_mode_32 0
		.amdhsa_float_round_mode_16_64 0
		.amdhsa_float_denorm_mode_32 3
		.amdhsa_float_denorm_mode_16_64 3
		.amdhsa_dx10_clamp 1
		.amdhsa_ieee_mode 1
		.amdhsa_fp16_overflow 0
		.amdhsa_tg_split 0
		.amdhsa_exception_fp_ieee_invalid_op 0
		.amdhsa_exception_fp_denorm_src 0
		.amdhsa_exception_fp_ieee_div_zero 0
		.amdhsa_exception_fp_ieee_overflow 0
		.amdhsa_exception_fp_ieee_underflow 0
		.amdhsa_exception_fp_ieee_inexact 0
		.amdhsa_exception_int_div_zero 0
	.end_amdhsa_kernel
	.section	.text._Z35paged_attention_ll4mi_reduce_kernelIDF16_DF16_Li128ELi128ELi256ELi16EEvPT0_PKfS3_PKT_PKiS8_iS3_,"axG",@progbits,_Z35paged_attention_ll4mi_reduce_kernelIDF16_DF16_Li128ELi128ELi256ELi16EEvPT0_PKfS3_PKT_PKiS8_iS3_,comdat
.Lfunc_end131:
	.size	_Z35paged_attention_ll4mi_reduce_kernelIDF16_DF16_Li128ELi128ELi256ELi16EEvPT0_PKfS3_PKT_PKiS8_iS3_, .Lfunc_end131-_Z35paged_attention_ll4mi_reduce_kernelIDF16_DF16_Li128ELi128ELi256ELi16EEvPT0_PKfS3_PKT_PKiS8_iS3_
                                        ; -- End function
	.section	.AMDGPU.csdata,"",@progbits
; Kernel info:
; codeLenInByte = 11972
; NumSgprs: 65
; NumVgprs: 92
; NumAgprs: 0
; TotalNumVgprs: 92
; ScratchSize: 0
; MemoryBound: 0
; FloatMode: 240
; IeeeMode: 1
; LDSByteSize: 4100 bytes/workgroup (compile time only)
; SGPRBlocks: 8
; VGPRBlocks: 11
; NumSGPRsForWavesPerEU: 65
; NumVGPRsForWavesPerEU: 92
; AccumOffset: 92
; Occupancy: 5
; WaveLimiterHint : 1
; COMPUTE_PGM_RSRC2:SCRATCH_EN: 0
; COMPUTE_PGM_RSRC2:USER_SGPR: 6
; COMPUTE_PGM_RSRC2:TRAP_HANDLER: 0
; COMPUTE_PGM_RSRC2:TGID_X_EN: 1
; COMPUTE_PGM_RSRC2:TGID_Y_EN: 1
; COMPUTE_PGM_RSRC2:TGID_Z_EN: 0
; COMPUTE_PGM_RSRC2:TIDIG_COMP_CNT: 0
; COMPUTE_PGM_RSRC3_GFX90A:ACCUM_OFFSET: 22
; COMPUTE_PGM_RSRC3_GFX90A:TG_SPLIT: 0
	.section	.text._Z38paged_attention_ll4mi_QKV_mfma4_kernelIDF16_DF16_LN4vllm18Fp8KVCacheDataTypeE0EDF16_Li16ELi128ELi256ELb0ELi1EEvPKT_PKT0_S7_ifPKiS9_S9_iPKfiiiPfSC_PS2_PT2_iSB_SB_,"axG",@progbits,_Z38paged_attention_ll4mi_QKV_mfma4_kernelIDF16_DF16_LN4vllm18Fp8KVCacheDataTypeE0EDF16_Li16ELi128ELi256ELb0ELi1EEvPKT_PKT0_S7_ifPKiS9_S9_iPKfiiiPfSC_PS2_PT2_iSB_SB_,comdat
	.protected	_Z38paged_attention_ll4mi_QKV_mfma4_kernelIDF16_DF16_LN4vllm18Fp8KVCacheDataTypeE0EDF16_Li16ELi128ELi256ELb0ELi1EEvPKT_PKT0_S7_ifPKiS9_S9_iPKfiiiPfSC_PS2_PT2_iSB_SB_ ; -- Begin function _Z38paged_attention_ll4mi_QKV_mfma4_kernelIDF16_DF16_LN4vllm18Fp8KVCacheDataTypeE0EDF16_Li16ELi128ELi256ELb0ELi1EEvPKT_PKT0_S7_ifPKiS9_S9_iPKfiiiPfSC_PS2_PT2_iSB_SB_
	.globl	_Z38paged_attention_ll4mi_QKV_mfma4_kernelIDF16_DF16_LN4vllm18Fp8KVCacheDataTypeE0EDF16_Li16ELi128ELi256ELb0ELi1EEvPKT_PKT0_S7_ifPKiS9_S9_iPKfiiiPfSC_PS2_PT2_iSB_SB_
	.p2align	8
	.type	_Z38paged_attention_ll4mi_QKV_mfma4_kernelIDF16_DF16_LN4vllm18Fp8KVCacheDataTypeE0EDF16_Li16ELi128ELi256ELb0ELi1EEvPKT_PKT0_S7_ifPKiS9_S9_iPKfiiiPfSC_PS2_PT2_iSB_SB_,@function
_Z38paged_attention_ll4mi_QKV_mfma4_kernelIDF16_DF16_LN4vllm18Fp8KVCacheDataTypeE0EDF16_Li16ELi128ELi256ELb0ELi1EEvPKT_PKT0_S7_ifPKiS9_S9_iPKfiiiPfSC_PS2_PT2_iSB_SB_: ; @_Z38paged_attention_ll4mi_QKV_mfma4_kernelIDF16_DF16_LN4vllm18Fp8KVCacheDataTypeE0EDF16_Li16ELi128ELi256ELb0ELi1EEvPKT_PKT0_S7_ifPKiS9_S9_iPKfiiiPfSC_PS2_PT2_iSB_SB_
; %bb.0:
	s_load_dwordx2 s[2:3], s[4:5], 0x30
	s_mov_b32 s24, s7
	s_mov_b64 s[0:1], 0
	s_waitcnt lgkmcnt(0)
	s_cmp_lg_u64 s[2:3], 0
	s_cselect_b64 s[10:11], -1, 0
	s_and_b64 vcc, exec, s[10:11]
	s_cbranch_vccz .LBB132_10
; %bb.1:
	s_add_i32 s12, s6, 1
	s_mov_b32 s13, 0
	s_lshl_b64 s[14:15], s[12:13], 2
	s_add_u32 s14, s2, s14
	s_mov_b32 s7, s13
	s_addc_u32 s15, s3, s15
	s_lshl_b64 s[12:13], s[6:7], 2
	s_add_u32 s12, s2, s12
	s_addc_u32 s13, s3, s13
	s_load_dword s9, s[14:15], 0x0
	s_load_dword s16, s[12:13], 0x0
	s_waitcnt lgkmcnt(0)
	s_sub_i32 s9, s9, s16
	s_cmp_eq_u32 s9, 1
	s_cselect_b64 s[12:13], -1, 0
	s_andn2_b64 vcc, exec, s[0:1]
	s_cbranch_vccnz .LBB132_3
.LBB132_2:
	s_mov_b32 s7, 0
	s_mov_b64 s[12:13], -1
.LBB132_3:
	s_andn2_b64 vcc, exec, s[12:13]
	s_cbranch_vccnz .LBB132_25
; %bb.4:
	s_load_dword s9, s[4:5], 0x9c
	s_load_dwordx2 s[0:1], s[4:5], 0x28
	s_add_u32 s28, s4, 0x90
	s_addc_u32 s29, s5, 0
	s_lshl_b64 s[16:17], s[6:7], 2
	s_waitcnt lgkmcnt(0)
	s_and_b32 s12, s9, 0xffff
	s_add_u32 s0, s0, s16
	s_addc_u32 s1, s1, s17
	s_load_dword s9, s[0:1], 0x0
	s_mul_i32 s18, s24, s12
	s_waitcnt lgkmcnt(0)
	s_cmp_ge_i32 s18, s9
	s_cbranch_scc1 .LBB132_25
; %bb.5:
	v_and_b32_e32 v1, 0xc0, v0
	v_add_u32_e32 v2, s18, v1
	v_lshrrev_b32_e32 v70, 6, v0
	v_cmp_le_i32_e64 s[0:1], s9, v2
                                        ; implicit-def: $sgpr20
                                        ; implicit-def: $sgpr19
	s_and_saveexec_b64 s[12:13], s[0:1]
	s_xor_b64 s[12:13], exec, s[12:13]
	s_cbranch_execz .LBB132_7
; %bb.6:
	v_mul_u32_u24_e32 v1, 20, v70
	v_or_b32_e32 v1, 0x1400, v1
	v_mov_b32_e32 v2, 0x1450
	v_mov_b32_e32 v3, 0xff7fffff
	v_mad_u32_u24 v2, v70, 20, v2
	ds_write2_b32 v1, v3, v3 offset1:1
	v_mov_b32_e32 v1, 0
	ds_write2_b32 v2, v1, v1 offset1:1
	v_mov_b32_e32 v2, 0x1408
	s_mov_b32 s19, 0xff7fffff
	s_mov_b32 s20, 0
	v_mad_u32_u24 v2, v70, 20, v2
	v_mov_b32_e32 v4, 0x1458
	v_mad_u32_u24 v4, v70, 20, v4
	ds_write2_b32 v2, v3, v3 offset1:1
	ds_write2_b32 v4, v1, v1 offset1:1
                                        ; implicit-def: $vgpr2
.LBB132_7:
	s_or_saveexec_b64 s[30:31], s[12:13]
	s_load_dwordx2 s[26:27], s[4:5], 0x68
	s_load_dwordx4 s[12:15], s[4:5], 0x58
	s_load_dword s7, s[28:29], 0x4
	v_and_b32_e32 v1, 63, v0
	v_and_b32_e32 v71, 3, v0
	v_mov_b32_e32 v69, s20
	v_mov_b32_e32 v72, s19
	;; [unrolled: 1-line block ×5, first 2 shown]
                                        ; implicit-def: $vgpr19
                                        ; implicit-def: $vgpr3
                                        ; implicit-def: $vgpr7
                                        ; implicit-def: $vgpr11
                                        ; implicit-def: $vgpr15
                                        ; implicit-def: $vgpr23
                                        ; implicit-def: $vgpr27
                                        ; implicit-def: $vgpr35
                                        ; implicit-def: $vgpr31
                                        ; implicit-def: $vgpr39
                                        ; implicit-def: $vgpr43
                                        ; implicit-def: $vgpr47
                                        ; implicit-def: $vgpr51
                                        ; implicit-def: $vgpr55
                                        ; implicit-def: $vgpr59
                                        ; implicit-def: $vgpr63
	s_xor_b64 exec, exec, s[30:31]
	s_cbranch_execz .LBB132_17
; %bb.8:
	s_add_i32 s22, s9, 15
	s_load_dwordx2 s[20:21], s[4:5], 0x20
	s_load_dword s19, s[4:5], 0x38
	s_ashr_i32 s23, s22, 31
	s_lshr_b32 s23, s23, 28
	v_add_u32_e32 v66, s18, v0
	s_add_i32 s22, s22, s23
	v_ashrrev_i32_e32 v3, 31, v66
	s_ashr_i32 s22, s22, 4
	v_lshrrev_b32_e32 v3, 28, v3
	s_add_i32 s25, s22, -1
	v_add_u32_e32 v3, v66, v3
	s_waitcnt lgkmcnt(0)
	s_mul_i32 s22, s6, s19
	s_mov_b32 s23, 0
	v_ashrrev_i32_e32 v3, 4, v3
	v_mov_b32_e32 v4, s25
	v_cmp_gt_i32_e32 vcc, s9, v66
	s_lshl_b64 s[22:23], s[22:23], 2
	v_cndmask_b32_e32 v4, v4, v3, vcc
	s_add_u32 s19, s20, s22
	v_ashrrev_i32_e32 v5, 31, v4
	s_addc_u32 s20, s21, s23
	v_lshlrev_b64 v[4:5], 2, v[4:5]
	v_mov_b32_e32 v3, s20
	v_add_co_u32_e32 v4, vcc, s19, v4
	v_addc_co_u32_e32 v5, vcc, v3, v5, vcc
	v_ashrrev_i32_e32 v3, 31, v2
	v_lshrrev_b32_e32 v3, 28, v3
	v_add_u32_e32 v2, v2, v3
	v_ashrrev_i32_e32 v6, 4, v2
	v_min_i32_e32 v2, s25, v6
	v_ashrrev_i32_e32 v3, 31, v2
	v_lshlrev_b64 v[2:3], 2, v[2:3]
	v_add_co_u32_e32 v10, vcc, s19, v2
	v_add_u32_e32 v2, 1, v6
	v_mov_b32_e32 v7, s20
	v_min_i32_e32 v2, s25, v2
	v_addc_co_u32_e32 v11, vcc, v7, v3, vcc
	v_ashrrev_i32_e32 v3, 31, v2
	v_lshlrev_b64 v[2:3], 2, v[2:3]
	v_add_co_u32_e32 v12, vcc, s19, v2
	v_add_u32_e32 v2, 2, v6
	v_min_i32_e32 v2, s25, v2
	v_addc_co_u32_e32 v13, vcc, v7, v3, vcc
	v_ashrrev_i32_e32 v3, 31, v2
	v_lshlrev_b64 v[2:3], 2, v[2:3]
	v_add_co_u32_e32 v14, vcc, s19, v2
	v_add_u32_e32 v2, 3, v6
	v_min_i32_e32 v2, s25, v2
	v_addc_co_u32_e32 v15, vcc, v7, v3, vcc
	v_ashrrev_i32_e32 v3, 31, v2
	v_lshlrev_b64 v[2:3], 2, v[2:3]
	v_mov_b32_e32 v6, s20
	v_add_co_u32_e32 v16, vcc, s19, v2
	v_addc_co_u32_e32 v17, vcc, v6, v3, vcc
	global_load_dword v2, v[4:5], off
	global_load_dword v9, v[10:11], off
	;; [unrolled: 1-line block ×5, first 2 shown]
	s_load_dwordx4 s[20:23], s[4:5], 0x8
	s_andn2_b64 vcc, exec, s[10:11]
	s_cbranch_vccnz .LBB132_11
; %bb.9:
	s_add_u32 s2, s2, s16
	s_addc_u32 s3, s3, s17
	s_load_dword s2, s[2:3], 0x0
	s_branch .LBB132_12
.LBB132_10:
	s_mov_b64 s[12:13], 0
	s_branch .LBB132_2
.LBB132_11:
	s_mov_b32 s2, s6
.LBB132_12:
	s_load_dwordx4 s[16:19], s[4:5], 0x48
	v_cmp_eq_u32_e32 vcc, 0, v71
	s_mov_b32 s3, 0
	v_mov_b32_e32 v67, 0
	v_mov_b32_e32 v3, 0
	;; [unrolled: 1-line block ×6, first 2 shown]
	s_and_saveexec_b64 s[10:11], vcc
	s_cbranch_execz .LBB132_14
; %bb.13:
	s_load_dwordx2 s[34:35], s[4:5], 0x0
	s_waitcnt lgkmcnt(0)
	s_ashr_i32 s19, s16, 31
	s_mul_hi_u32 s25, s2, s16
	s_mul_i32 s19, s2, s19
	s_add_i32 s37, s25, s19
	s_mul_i32 s36, s2, s16
	s_lshl_b64 s[36:37], s[36:37], 1
	s_add_u32 s16, s34, s36
	s_addc_u32 s19, s35, s37
	s_lshl_b32 s2, s8, 7
	s_lshl_b64 s[34:35], s[2:3], 1
	s_add_u32 s34, s16, s34
	s_addc_u32 s35, s19, s35
	v_lshlrev_b32_e32 v4, 2, v1
	global_load_dwordx4 v[58:61], v4, s[34:35]
	v_mov_b32_e32 v67, 1.0
.LBB132_14:
	s_or_b64 exec, exec, s[10:11]
	s_waitcnt lgkmcnt(0)
	s_mul_i32 s2, s8, s18
	s_waitcnt vmcnt(4)
	v_mad_i64_i32 v[4:5], s[10:11], v2, s17, 0
	s_lshl_b64 s[2:3], s[2:3], 1
	s_add_u32 s10, s2, s20
	v_lshlrev_b64 v[4:5], 1, v[4:5]
	s_addc_u32 s11, s3, s21
	v_mov_b32_e32 v2, s11
	v_add_co_u32_e32 v4, vcc, s10, v4
	v_addc_co_u32_e32 v2, vcc, v2, v5, vcc
	v_and_b32_e32 v5, 15, v0
	v_lshlrev_b32_e32 v5, 4, v5
	v_add_co_u32_e32 v4, vcc, v4, v5
	v_addc_co_u32_e32 v5, vcc, 0, v2, vcc
	global_load_dwordx4 v[10:13], v[4:5], off
	global_load_dwordx4 v[14:17], v[4:5], off offset:256
	global_load_dwordx4 v[18:21], v[4:5], off offset:512
	global_load_dwordx4 v[22:25], v[4:5], off offset:768
	global_load_dwordx4 v[26:29], v[4:5], off offset:1024
	global_load_dwordx4 v[30:33], v[4:5], off offset:1280
	global_load_dwordx4 v[34:37], v[4:5], off offset:1536
	global_load_dwordx4 v[38:41], v[4:5], off offset:1792
	global_load_dwordx4 v[42:45], v[4:5], off offset:2048
	global_load_dwordx4 v[46:49], v[4:5], off offset:2304
	global_load_dwordx4 v[50:53], v[4:5], off offset:2560
	global_load_dwordx4 v[54:57], v[4:5], off offset:2816
	s_waitcnt vmcnt(14)
	v_mul_hi_i32 v62, v8, s17
	s_waitcnt vmcnt(13)
	v_mul_hi_i32 v63, v7, s17
	s_waitcnt vmcnt(12)
	v_mul_hi_i32 v64, v6, s17
	v_ashrrev_i32_e32 v72, 31, v62
	v_ashrrev_i32_e32 v76, 31, v63
	;; [unrolled: 1-line block ×3, first 2 shown]
	global_load_dwordx4 v[62:65], v[4:5], off offset:3072
	v_mul_hi_i32 v2, v9, s17
	v_ashrrev_i32_e32 v2, 31, v2
	v_lshrrev_b32_e32 v2, 29, v2
	v_mad_i64_i32 v[68:69], s[10:11], v9, s17, v[2:3]
	v_lshrrev_b32_e32 v2, 29, v72
	global_load_dwordx4 v[72:75], v[4:5], off offset:3328
	v_mad_i64_i32 v[8:9], s[10:11], v8, s17, v[2:3]
	v_lshrrev_b32_e32 v2, 29, v76
	global_load_dwordx4 v[76:79], v[4:5], off offset:3584
	s_load_dword s4, s[4:5], 0x1c
	s_add_u32 s5, s22, s2
	s_addc_u32 s10, s23, s3
	v_lshlrev_b64 v[68:69], 1, v[68:69]
	v_lshlrev_b64 v[8:9], 1, v[8:9]
	v_and_b32_e32 v8, -16, v8
	v_lshlrev_b32_e32 v84, 5, v1
	s_waitcnt vmcnt(14)
	v_mfma_f32_4x4x4f16 a[0:3], v[58:59], v[10:11], 0 cbsz:4
	v_mad_i64_i32 v[10:11], s[2:3], v7, s17, v[2:3]
	v_lshrrev_b32_e32 v2, 29, v80
	global_load_dwordx4 v[80:83], v[4:5], off offset:3840
	v_mfma_f32_4x4x4f16 a[0:3], v[60:61], v[12:13], a[0:3] cbsz:4
	v_and_b32_e32 v12, -16, v68
	s_waitcnt vmcnt(14)
	v_mfma_f32_4x4x4f16 a[0:3], v[58:59], v[14:15], a[0:3] cbsz:4 abid:1
	v_mov_b32_e32 v7, s10
	v_mfma_f32_4x4x4f16 a[0:3], v[60:61], v[16:17], a[0:3] cbsz:4 abid:1
	v_mad_i64_i32 v[2:3], s[2:3], v6, s17, v[2:3]
	s_waitcnt vmcnt(13)
	v_mfma_f32_4x4x4f16 a[0:3], v[58:59], v[18:19], a[0:3] cbsz:4 abid:2
	v_add_co_u32_e32 v6, vcc, s5, v12
	v_mfma_f32_4x4x4f16 a[0:3], v[60:61], v[20:21], a[0:3] cbsz:4 abid:2
	v_addc_co_u32_e32 v7, vcc, v7, v69, vcc
	s_waitcnt vmcnt(12)
	v_mfma_f32_4x4x4f16 a[0:3], v[58:59], v[22:23], a[0:3] cbsz:4 abid:3
	v_mov_b32_e32 v13, s10
	v_mfma_f32_4x4x4f16 a[0:3], v[60:61], v[24:25], a[0:3] cbsz:4 abid:3
	v_add_co_u32_e32 v8, vcc, s5, v8
	s_waitcnt vmcnt(11)
	v_mfma_f32_4x4x4f16 a[0:3], v[58:59], v[26:27], a[0:3] cbsz:4 abid:4
	v_addc_co_u32_e32 v9, vcc, v13, v9, vcc
	v_mfma_f32_4x4x4f16 a[0:3], v[60:61], v[28:29], a[0:3] cbsz:4 abid:4
	v_add_co_u32_e32 v6, vcc, v6, v84
	s_waitcnt vmcnt(10)
	v_mfma_f32_4x4x4f16 a[0:3], v[58:59], v[30:31], a[0:3] cbsz:4 abid:5
	v_addc_co_u32_e32 v7, vcc, 0, v7, vcc
	v_mfma_f32_4x4x4f16 a[0:3], v[60:61], v[32:33], a[0:3] cbsz:4 abid:5
	v_lshlrev_b64 v[4:5], 1, v[10:11]
	s_waitcnt vmcnt(9)
	v_mfma_f32_4x4x4f16 a[0:3], v[58:59], v[34:35], a[0:3] cbsz:4 abid:6
	v_add_co_u32_e32 v16, vcc, v8, v84
	v_mfma_f32_4x4x4f16 a[0:3], v[60:61], v[36:37], a[0:3] cbsz:4 abid:6
	v_and_b32_e32 v4, -16, v4
	s_waitcnt vmcnt(8)
	v_mfma_f32_4x4x4f16 a[0:3], v[58:59], v[38:39], a[0:3] cbsz:4 abid:7
	v_addc_co_u32_e32 v17, vcc, 0, v9, vcc
	v_mfma_f32_4x4x4f16 a[0:3], v[60:61], v[40:41], a[0:3] cbsz:4 abid:7
	v_mov_b32_e32 v10, s10
	s_waitcnt vmcnt(7)
	v_mfma_f32_4x4x4f16 a[0:3], v[58:59], v[42:43], a[0:3] cbsz:4 abid:8
	v_add_co_u32_e32 v23, vcc, s5, v4
	v_mfma_f32_4x4x4f16 a[0:3], v[60:61], v[44:45], a[0:3] cbsz:4 abid:8
	v_addc_co_u32_e32 v24, vcc, v10, v5, vcc
	s_waitcnt vmcnt(6)
	v_mfma_f32_4x4x4f16 a[0:3], v[58:59], v[46:47], a[0:3] cbsz:4 abid:9
	v_lshlrev_b64 v[14:15], 1, v[2:3]
	v_mfma_f32_4x4x4f16 a[0:3], v[60:61], v[48:49], a[0:3] cbsz:4 abid:9
	v_add_co_u32_e32 v26, vcc, v23, v84
	s_waitcnt vmcnt(5)
	v_mfma_f32_4x4x4f16 a[0:3], v[58:59], v[50:51], a[0:3] cbsz:4 abid:10
	v_and_b32_e32 v14, -16, v14
	v_mfma_f32_4x4x4f16 a[0:3], v[60:61], v[52:53], a[0:3] cbsz:4 abid:10
	v_addc_co_u32_e32 v27, vcc, 0, v24, vcc
	s_waitcnt vmcnt(4)
	v_mfma_f32_4x4x4f16 a[0:3], v[58:59], v[54:55], a[0:3] cbsz:4 abid:11
	v_mov_b32_e32 v22, s10
	v_mfma_f32_4x4x4f16 a[0:3], v[60:61], v[56:57], a[0:3] cbsz:4 abid:11
	v_add_co_u32_e32 v28, vcc, s5, v14
	s_waitcnt vmcnt(3)
	v_mfma_f32_4x4x4f16 a[0:3], v[58:59], v[62:63], a[0:3] cbsz:4 abid:12
	v_addc_co_u32_e32 v29, vcc, v22, v15, vcc
	v_mfma_f32_4x4x4f16 a[0:3], v[60:61], v[64:65], a[0:3] cbsz:4 abid:12
	v_add_co_u32_e32 v68, vcc, v28, v84
	s_waitcnt vmcnt(2)
	v_mfma_f32_4x4x4f16 a[0:3], v[58:59], v[72:73], a[0:3] cbsz:4 abid:13
	v_addc_co_u32_e32 v69, vcc, 0, v29, vcc
	v_mfma_f32_4x4x4f16 a[0:3], v[60:61], v[74:75], a[0:3] cbsz:4 abid:13
	global_load_dwordx4 v[18:21], v[6:7], off
	global_load_dwordx4 v[2:5], v[6:7], off offset:16
	s_waitcnt vmcnt(3)
	v_mfma_f32_4x4x4f16 a[0:3], v[58:59], v[76:77], a[0:3] cbsz:4 abid:14
	global_load_dwordx4 v[30:33], v[6:7], off offset:2048
	global_load_dwordx4 v[38:41], v[6:7], off offset:2064
	v_mfma_f32_4x4x4f16 a[0:3], v[60:61], v[78:79], a[0:3] cbsz:4 abid:14
	global_load_dwordx4 v[6:9], v[16:17], off
	global_load_dwordx4 v[10:13], v[16:17], off offset:16
	s_waitcnt vmcnt(6)
	v_mfma_f32_4x4x4f16 a[0:3], v[58:59], v[80:81], a[0:3] cbsz:4 abid:15
	global_load_dwordx4 v[42:45], v[16:17], off offset:2048
	global_load_dwordx4 v[46:49], v[16:17], off offset:2064
	v_mfma_f32_4x4x4f16 a[0:3], v[60:61], v[82:83], a[0:3] cbsz:4 abid:15
	global_load_dwordx4 v[14:17], v[26:27], off
	global_load_dwordx4 v[22:25], v[26:27], off offset:16
	global_load_dwordx4 v[50:53], v[26:27], off offset:2048
	;; [unrolled: 1-line block ×3, first 2 shown]
	s_nop 0
	global_load_dwordx4 v[26:29], v[68:69], off
	global_load_dwordx4 v[34:37], v[68:69], off offset:16
	v_accvgpr_read_b32 v59, a1
	v_accvgpr_read_b32 v58, a0
	s_waitcnt lgkmcnt(0)
	v_pk_mul_f32 v[72:73], s[4:5], v[58:59] op_sel_hi:[0,1]
	global_load_dwordx4 v[58:61], v[68:69], off offset:2048
	global_load_dwordx4 v[62:65], v[68:69], off offset:2064
	v_accvgpr_read_b32 v69, a3
	v_accvgpr_read_b32 v68, a2
	v_pk_mul_f32 v[68:69], s[4:5], v[68:69] op_sel_hi:[0,1]
	v_mfma_f32_4x4x1f32 a[0:3], v72, v67, 0
	v_cmp_eq_u32_e32 vcc, 1, v71
	v_cndmask_b32_e64 v67, 0, 1.0, vcc
	v_cmp_eq_u32_e32 vcc, 2, v71
	s_nop 0
	v_mfma_f32_4x4x1f32 a[0:3], v73, v67, a[0:3]
	v_cndmask_b32_e64 v67, 0, 1.0, vcc
	v_cmp_eq_u32_e32 vcc, 3, v71
	v_mov_b32_e32 v73, 0xff7fffff
	v_mfma_f32_4x4x1f32 a[0:3], v68, v67, a[0:3]
	v_cndmask_b32_e64 v67, 0, 1.0, vcc
	v_lshlrev_b32_e32 v68, 2, v0
	v_and_or_b32 v68, v68, 48, v71
	v_mfma_f32_4x4x1f32 a[0:3], v69, v67, a[0:3]
	v_and_b32_e32 v67, -4, v66
	v_cmp_gt_i32_e32 vcc, s9, v67
	v_or_b32_e32 v66, 3, v66
	v_cmp_gt_i32_e64 s[10:11], s9, v66
	v_lshlrev_b32_e32 v76, 2, v68
	v_accvgpr_read_b32 v69, a0
	v_max_f32_e32 v72, v69, v69
	v_max_f32_e32 v72, 0xff7fffff, v72
	v_accvgpr_read_b32 v74, a1
	v_cndmask_b32_e32 v72, v73, v72, vcc
	v_or_b32_e32 v73, 1, v67
	v_max_f32_e32 v75, v74, v74
	v_max_f32_e32 v75, v72, v75
	v_cmp_gt_i32_e64 s[2:3], s9, v73
	v_accvgpr_read_b32 v73, a2
	v_cndmask_b32_e64 v72, v72, v75, s[2:3]
	v_or_b32_e32 v67, 2, v67
	v_max_f32_e32 v75, v73, v73
	v_max_f32_e32 v75, v72, v75
	v_cmp_gt_i32_e64 s[4:5], s9, v67
	v_cndmask_b32_e64 v67, v72, v75, s[4:5]
	v_accvgpr_read_b32 v75, a3
	v_max_f32_e32 v72, v75, v75
	v_max_f32_e32 v72, v67, v72
	v_cndmask_b32_e64 v66, v67, v72, s[10:11]
	;;#ASMSTART
	v_nop
 v_nop
 v_max_f32_dpp v66, v66, v66 row_ror:4
	;;#ASMEND
	;;#ASMSTART
	v_nop
 v_nop
 v_max_f32_dpp v66, v66, v66 row_ror:8
	;;#ASMEND
	ds_bpermute_b32 v66, v76, v66
	s_waitcnt lgkmcnt(0)
	;;#ASMSTART
	v_nop
 v_nop
 v_max_f32_dpp v66, v66, v66 row_ror:4
	;;#ASMEND
	;;#ASMSTART
	v_nop
 v_nop
 v_max_f32_dpp v72, v66, v66 row_ror:8
	;;#ASMEND
	v_sub_f32_e32 v66, v69, v72
	v_mul_f32_e32 v66, 0x3fb8aa3b, v66
	v_sub_f32_e32 v67, v74, v72
	v_exp_f32_e32 v66, v66
	v_mul_f32_e32 v67, 0x3fb8aa3b, v67
	v_sub_f32_e32 v69, v73, v72
	v_exp_f32_e32 v67, v67
	;; [unrolled: 3-line block ×3, first 2 shown]
	v_mul_f32_e32 v73, 0x3fb8aa3b, v73
	v_exp_f32_e32 v73, v73
	v_cndmask_b32_e32 v66, 0, v66, vcc
	v_add_f32_e32 v68, 0, v66
	v_cndmask_b32_e64 v67, 0, v67, s[2:3]
	v_add_f32_e32 v74, v68, v67
	v_cndmask_b32_e64 v68, 0, v69, s[4:5]
	;; [unrolled: 2-line block ×3, first 2 shown]
	v_add_f32_e32 v73, v74, v69
	;;#ASMSTART
	v_nop
 v_nop
 v_add_f32_dpp v73, v73, v73 row_ror:4
	;;#ASMEND
	;;#ASMSTART
	v_nop
 v_nop
 v_add_f32_dpp v73, v73, v73 row_ror:8
	;;#ASMEND
	ds_bpermute_b32 v73, v76, v73
	s_waitcnt lgkmcnt(0)
	;;#ASMSTART
	v_nop
 v_nop
 v_add_f32_dpp v73, v73, v73 row_ror:4
	;;#ASMEND
	v_cmp_gt_u32_e32 vcc, 4, v1
	;;#ASMSTART
	v_nop
 v_nop
 v_add_f32_dpp v73, v73, v73 row_ror:8
	;;#ASMEND
	s_and_saveexec_b64 s[2:3], vcc
	s_cbranch_execz .LBB132_16
; %bb.15:
	v_mul_u32_u24_e32 v74, 20, v70
	v_lshl_add_u32 v74, v71, 2, v74
	v_add_u32_e32 v74, 0x1400, v74
	ds_write2_b32 v74, v72, v73 offset1:20
.LBB132_16:
	s_or_b64 exec, exec, s[2:3]
.LBB132_17:
	s_or_b64 exec, exec, s[30:31]
	s_waitcnt lgkmcnt(0)
	s_barrier
	s_load_dword s2, s[28:29], 0x8
	v_lshlrev_b32_e32 v73, 2, v71
	v_add_u32_e32 v74, 0x1400, v73
	ds_read2_b32 v[76:77], v74 offset1:5
	ds_read2_b32 v[78:79], v74 offset0:10 offset1:15
	s_mul_i32 s3, s7, s6
	s_waitcnt lgkmcnt(0)
	s_mul_i32 s2, s3, s2
	s_mov_b32 s3, 0xff7fffff
	v_max3_f32 v73, v76, s3, v77
	v_max3_f32 v73, v73, v78, v79
	v_sub_f32_e32 v75, v76, v73
	v_sub_f32_e32 v76, v77, v73
	v_mul_f32_e32 v76, 0x3fb8aa3b, v76
	ds_read2_b32 v[80:81], v74 offset0:20 offset1:25
	v_mul_f32_e32 v75, 0x3fb8aa3b, v75
	v_exp_f32_e32 v83, v76
	ds_read2_b32 v[76:77], v74 offset0:30 offset1:35
	v_sub_f32_e32 v74, v78, v73
	v_exp_f32_e32 v82, v75
	v_mul_f32_e32 v74, 0x3fb8aa3b, v74
	v_exp_f32_e32 v78, v74
	v_sub_f32_e32 v74, v79, v73
	v_mul_f32_e32 v74, 0x3fb8aa3b, v74
	v_exp_f32_e32 v79, v74
	s_waitcnt lgkmcnt(1)
	v_fma_f32 v74, v82, v80, 0
	v_fmac_f32_e32 v74, v83, v81
	s_waitcnt lgkmcnt(0)
	v_fmac_f32_e32 v74, v78, v76
	v_mov_b32_e32 v75, 0
	v_fmac_f32_e32 v74, v79, v77
	s_mov_b32 s3, 0
	v_cmp_eq_u32_e32 vcc, 0, v71
	s_and_saveexec_b64 s[4:5], vcc
	s_cbranch_execz .LBB132_19
; %bb.18:
	s_lshl_b64 s[10:11], s[2:3], 2
	s_add_u32 s6, s12, s10
	s_mov_b32 s25, s3
	s_addc_u32 s9, s13, s11
	s_lshl_b64 s[12:13], s[24:25], 2
	s_add_u32 s6, s6, s12
	s_addc_u32 s9, s9, s13
	s_add_u32 s10, s14, s10
	s_addc_u32 s11, s15, s11
	;; [unrolled: 2-line block ×3, first 2 shown]
	s_mul_i32 s10, s7, s8
	s_mov_b32 s11, s3
	s_lshl_b64 s[10:11], s[10:11], 2
	s_add_u32 s12, s6, s10
	s_addc_u32 s13, s9, s11
	s_add_u32 s10, s14, s10
	s_addc_u32 s11, s15, s11
	global_store_dword v75, v73, s[10:11]
	global_store_dword v75, v74, s[12:13]
.LBB132_19:
	s_or_b64 exec, exec, s[4:5]
	v_lshlrev_b32_e32 v70, 3, v70
	s_and_saveexec_b64 s[4:5], s[0:1]
	s_xor_b64 s[0:1], exec, s[4:5]
	s_cbranch_execz .LBB132_21
; %bb.20:
	s_mov_b32 s4, 0
	s_mov_b32 s5, s4
	s_waitcnt vmcnt(14)
	v_mad_u32_u24 v4, v1, 40, v70
	v_pk_mov_b32 v[2:3], s[4:5], s[4:5] op_sel:[0,1]
	ds_write2st64_b64 v4, v[2:3], v[2:3] offset1:5
                                        ; implicit-def: $vgpr69
                                        ; implicit-def: $vgpr67
                                        ; implicit-def: $vgpr19
                                        ; implicit-def: $vgpr3
                                        ; implicit-def: $vgpr7
                                        ; implicit-def: $vgpr11
                                        ; implicit-def: $vgpr15
                                        ; implicit-def: $vgpr23
                                        ; implicit-def: $vgpr27
                                        ; implicit-def: $vgpr35
                                        ; implicit-def: $vgpr31
                                        ; implicit-def: $vgpr39
                                        ; implicit-def: $vgpr43
                                        ; implicit-def: $vgpr47
                                        ; implicit-def: $vgpr51
                                        ; implicit-def: $vgpr55
                                        ; implicit-def: $vgpr59
                                        ; implicit-def: $vgpr63
                                        ; implicit-def: $vgpr72
                                        ; implicit-def: $vgpr73
                                        ; implicit-def: $vgpr74
                                        ; implicit-def: $vgpr70
.LBB132_21:
	s_andn2_saveexec_b64 s[0:1], s[0:1]
	s_cbranch_execz .LBB132_23
; %bb.22:
	v_add_f32_e32 v71, 0x358637bd, v74
	v_div_scale_f32 v74, s[4:5], v71, v71, 1.0
	v_rcp_f32_e32 v75, v74
	v_sub_f32_e32 v72, v72, v73
	v_mul_f32_e32 v72, 0x3fb8aa3b, v72
	v_exp_f32_e32 v72, v72
	v_fma_f32 v73, -v74, v75, 1.0
	v_fmac_f32_e32 v75, v73, v75
	v_div_scale_f32 v73, vcc, 1.0, v71, 1.0
	v_mul_f32_e32 v76, v73, v75
	v_fma_f32 v77, -v74, v76, v73
	v_fmac_f32_e32 v76, v77, v75
	v_fma_f32 v73, -v74, v76, v73
	v_div_fmas_f32 v73, v73, v75, v76
	v_div_fixup_f32 v71, v73, v71, 1.0
	v_mul_f32_e32 v72, v72, v71
	v_pk_mul_f32 v[68:69], v[68:69], v[72:73] op_sel_hi:[1,0]
	v_pk_mul_f32 v[66:67], v[66:67], v[72:73] op_sel_hi:[1,0]
	v_cvt_f16_f32_e32 v66, v66
	v_cvt_f16_f32_e32 v67, v67
	;; [unrolled: 1-line block ×4, first 2 shown]
	v_pack_b32_f16 v66, v66, v67
	v_pack_b32_f16 v67, v68, v69
	s_waitcnt vmcnt(15)
	s_nop 0
	v_mfma_f32_4x4x4f16 a[0:3], v[66:67], v[18:19], 0 cbsz:4
	v_mfma_f32_4x4x4f16 a[0:3], v[66:67], v[20:21], a[0:3] cbsz:4 abid:1
	s_waitcnt vmcnt(14)
	v_mfma_f32_4x4x4f16 a[0:3], v[66:67], v[2:3], a[0:3] cbsz:4 abid:2
	s_waitcnt vmcnt(13)
	v_mfma_f32_4x4x4f16 a[4:7], v[66:67], v[30:31], 0 cbsz:4
	v_mfma_f32_4x4x4f16 a[0:3], v[66:67], v[4:5], a[0:3] cbsz:4 abid:3
	v_mfma_f32_4x4x4f16 a[4:7], v[66:67], v[32:33], a[4:7] cbsz:4 abid:1
	s_waitcnt vmcnt(11)
	v_mfma_f32_4x4x4f16 a[0:3], v[66:67], v[6:7], a[0:3] cbsz:4 abid:4
	v_mfma_f32_4x4x4f16 a[4:7], v[66:67], v[38:39], a[4:7] cbsz:4 abid:2
	;; [unrolled: 1-line block ×3, first 2 shown]
	v_mad_u32_u24 v9, v1, 40, v70
	v_mfma_f32_4x4x4f16 a[4:7], v[66:67], v[40:41], a[4:7] cbsz:4 abid:3
	s_waitcnt vmcnt(10)
	v_mfma_f32_4x4x4f16 a[0:3], v[66:67], v[10:11], a[0:3] cbsz:4 abid:6
	s_waitcnt vmcnt(9)
	v_mfma_f32_4x4x4f16 a[4:7], v[66:67], v[42:43], a[4:7] cbsz:4 abid:4
	v_mfma_f32_4x4x4f16 a[0:3], v[66:67], v[12:13], a[0:3] cbsz:4 abid:7
	v_mfma_f32_4x4x4f16 a[4:7], v[66:67], v[44:45], a[4:7] cbsz:4 abid:5
	s_waitcnt vmcnt(7)
	v_mfma_f32_4x4x4f16 a[0:3], v[66:67], v[14:15], a[0:3] cbsz:4 abid:8
	v_mfma_f32_4x4x4f16 a[4:7], v[66:67], v[46:47], a[4:7] cbsz:4 abid:6
	;; [unrolled: 1-line block ×4, first 2 shown]
	s_waitcnt vmcnt(6)
	v_mfma_f32_4x4x4f16 a[0:3], v[66:67], v[22:23], a[0:3] cbsz:4 abid:10
	s_waitcnt vmcnt(5)
	v_mfma_f32_4x4x4f16 a[4:7], v[66:67], v[50:51], a[4:7] cbsz:4 abid:8
	v_mfma_f32_4x4x4f16 a[0:3], v[66:67], v[24:25], a[0:3] cbsz:4 abid:11
	;; [unrolled: 1-line block ×3, first 2 shown]
	s_waitcnt vmcnt(3)
	v_mfma_f32_4x4x4f16 a[0:3], v[66:67], v[26:27], a[0:3] cbsz:4 abid:12
	v_mfma_f32_4x4x4f16 a[4:7], v[66:67], v[54:55], a[4:7] cbsz:4 abid:10
	;; [unrolled: 1-line block ×4, first 2 shown]
	s_waitcnt vmcnt(2)
	v_mfma_f32_4x4x4f16 a[0:3], v[66:67], v[34:35], a[0:3] cbsz:4 abid:14
	v_mfma_f32_4x4x4f16 a[0:3], v[66:67], v[36:37], a[0:3] cbsz:4 abid:15
	s_waitcnt vmcnt(1)
	v_mfma_f32_4x4x4f16 a[4:7], v[66:67], v[58:59], a[4:7] cbsz:4 abid:12
	s_nop 2
	v_accvgpr_read_b32 v2, a0
	v_accvgpr_read_b32 v3, a1
	;; [unrolled: 1-line block ×4, first 2 shown]
	v_mfma_f32_4x4x4f16 a[0:3], v[66:67], v[60:61], a[4:7] cbsz:4 abid:13
	v_cvt_f16_f32_e32 v2, v2
	v_cvt_f16_f32_e32 v3, v3
	s_waitcnt vmcnt(0)
	v_mfma_f32_4x4x4f16 a[0:3], v[66:67], v[62:63], a[0:3] cbsz:4 abid:14
	v_pack_b32_f16 v2, v2, v3
	v_mfma_f32_4x4x4f16 a[0:3], v[66:67], v[64:65], a[0:3] cbsz:4 abid:15
	v_cvt_f16_f32_e32 v3, v4
	v_cvt_f16_f32_e32 v4, v5
	v_pack_b32_f16 v3, v3, v4
	s_nop 1
	v_accvgpr_read_b32 v5, a0
	v_accvgpr_read_b32 v6, a1
	;; [unrolled: 1-line block ×4, first 2 shown]
	v_cvt_f16_f32_e32 v5, v5
	v_cvt_f16_f32_e32 v6, v6
	;; [unrolled: 1-line block ×4, first 2 shown]
	v_pack_b32_f16 v4, v5, v6
	v_pack_b32_f16 v5, v7, v8
	ds_write2st64_b64 v9, v[2:3], v[4:5] offset1:5
.LBB132_23:
	s_or_b64 exec, exec, s[0:1]
	v_cmp_gt_u32_e32 vcc, 64, v0
	s_waitcnt lgkmcnt(0)
	s_barrier
	s_and_saveexec_b64 s[0:1], vcc
	s_cbranch_execz .LBB132_25
; %bb.24:
	s_waitcnt vmcnt(14)
	v_mov_b32_e32 v2, 0xa00
	v_mad_u32_u24 v2, v1, 40, v2
	s_waitcnt vmcnt(11)
	v_mov_b32_e32 v6, 0xa10
	ds_read2_b64 v[2:5], v2 offset1:1
	s_waitcnt lgkmcnt(0)
	v_mad_u32_u24 v3, v1, 40, v6
	ds_read2_b64 v[6:9], v3 offset1:1
	v_mul_u32_u24_e32 v5, 40, v1
	s_mul_i32 s8, s8, s7
	v_pk_add_f16 v1, v2, 0
	v_pk_add_f16 v1, v1, v4
	s_waitcnt lgkmcnt(0)
	v_pk_add_f16 v1, v1, v6
	s_mov_b32 s1, 0
	s_waitcnt vmcnt(10)
	v_pk_add_f16 v10, v1, v8
	s_lshl_b32 s0, s2, 7
	v_lshl_or_b32 v0, s8, 7, v0
	v_mov_b32_e32 v1, 0
	s_lshl_b64 s[2:3], s[0:1], 1
	v_lshlrev_b64 v[8:9], 1, v[0:1]
	ds_read2_b64 v[0:3], v5 offset1:1
	ds_read2_b64 v[4:7], v5 offset0:2 offset1:3
	s_add_u32 s2, s26, s2
	s_addc_u32 s3, s27, s3
	s_lshl_b32 s0, s24, 7
	s_lshl_b64 s[0:1], s[0:1], 1
	s_add_u32 s0, s2, s0
	s_waitcnt lgkmcnt(1)
	v_pk_add_f16 v0, v0, 0
	s_addc_u32 s1, s3, s1
	v_pk_add_f16 v0, v0, v2
	v_mov_b32_e32 v11, s1
	v_add_co_u32_e32 v8, vcc, s0, v8
	s_waitcnt lgkmcnt(0)
	v_pk_add_f16 v0, v0, v4
	v_addc_co_u32_e32 v9, vcc, v11, v9, vcc
	v_pk_add_f16 v0, v0, v6
	global_store_short v[8:9], v0, off
	global_store_short v[8:9], v10, off offset:128
.LBB132_25:
	s_endpgm
	.section	.rodata,"a",@progbits
	.p2align	6, 0x0
	.amdhsa_kernel _Z38paged_attention_ll4mi_QKV_mfma4_kernelIDF16_DF16_LN4vllm18Fp8KVCacheDataTypeE0EDF16_Li16ELi128ELi256ELb0ELi1EEvPKT_PKT0_S7_ifPKiS9_S9_iPKfiiiPfSC_PS2_PT2_iSB_SB_
		.amdhsa_group_segment_fixed_size 5280
		.amdhsa_private_segment_fixed_size 0
		.amdhsa_kernarg_size 400
		.amdhsa_user_sgpr_count 6
		.amdhsa_user_sgpr_private_segment_buffer 1
		.amdhsa_user_sgpr_dispatch_ptr 0
		.amdhsa_user_sgpr_queue_ptr 0
		.amdhsa_user_sgpr_kernarg_segment_ptr 1
		.amdhsa_user_sgpr_dispatch_id 0
		.amdhsa_user_sgpr_flat_scratch_init 0
		.amdhsa_user_sgpr_kernarg_preload_length 0
		.amdhsa_user_sgpr_kernarg_preload_offset 0
		.amdhsa_user_sgpr_private_segment_size 0
		.amdhsa_uses_dynamic_stack 0
		.amdhsa_system_sgpr_private_segment_wavefront_offset 0
		.amdhsa_system_sgpr_workgroup_id_x 1
		.amdhsa_system_sgpr_workgroup_id_y 1
		.amdhsa_system_sgpr_workgroup_id_z 1
		.amdhsa_system_sgpr_workgroup_info 0
		.amdhsa_system_vgpr_workitem_id 0
		.amdhsa_next_free_vgpr 96
		.amdhsa_next_free_sgpr 38
		.amdhsa_accum_offset 88
		.amdhsa_reserve_vcc 1
		.amdhsa_reserve_flat_scratch 0
		.amdhsa_float_round_mode_32 0
		.amdhsa_float_round_mode_16_64 0
		.amdhsa_float_denorm_mode_32 3
		.amdhsa_float_denorm_mode_16_64 3
		.amdhsa_dx10_clamp 1
		.amdhsa_ieee_mode 1
		.amdhsa_fp16_overflow 0
		.amdhsa_tg_split 0
		.amdhsa_exception_fp_ieee_invalid_op 0
		.amdhsa_exception_fp_denorm_src 0
		.amdhsa_exception_fp_ieee_div_zero 0
		.amdhsa_exception_fp_ieee_overflow 0
		.amdhsa_exception_fp_ieee_underflow 0
		.amdhsa_exception_fp_ieee_inexact 0
		.amdhsa_exception_int_div_zero 0
	.end_amdhsa_kernel
	.section	.text._Z38paged_attention_ll4mi_QKV_mfma4_kernelIDF16_DF16_LN4vllm18Fp8KVCacheDataTypeE0EDF16_Li16ELi128ELi256ELb0ELi1EEvPKT_PKT0_S7_ifPKiS9_S9_iPKfiiiPfSC_PS2_PT2_iSB_SB_,"axG",@progbits,_Z38paged_attention_ll4mi_QKV_mfma4_kernelIDF16_DF16_LN4vllm18Fp8KVCacheDataTypeE0EDF16_Li16ELi128ELi256ELb0ELi1EEvPKT_PKT0_S7_ifPKiS9_S9_iPKfiiiPfSC_PS2_PT2_iSB_SB_,comdat
.Lfunc_end132:
	.size	_Z38paged_attention_ll4mi_QKV_mfma4_kernelIDF16_DF16_LN4vllm18Fp8KVCacheDataTypeE0EDF16_Li16ELi128ELi256ELb0ELi1EEvPKT_PKT0_S7_ifPKiS9_S9_iPKfiiiPfSC_PS2_PT2_iSB_SB_, .Lfunc_end132-_Z38paged_attention_ll4mi_QKV_mfma4_kernelIDF16_DF16_LN4vllm18Fp8KVCacheDataTypeE0EDF16_Li16ELi128ELi256ELb0ELi1EEvPKT_PKT0_S7_ifPKiS9_S9_iPKfiiiPfSC_PS2_PT2_iSB_SB_
                                        ; -- End function
	.section	.AMDGPU.csdata,"",@progbits
; Kernel info:
; codeLenInByte = 3700
; NumSgprs: 42
; NumVgprs: 85
; NumAgprs: 8
; TotalNumVgprs: 96
; ScratchSize: 0
; MemoryBound: 0
; FloatMode: 240
; IeeeMode: 1
; LDSByteSize: 5280 bytes/workgroup (compile time only)
; SGPRBlocks: 5
; VGPRBlocks: 11
; NumSGPRsForWavesPerEU: 42
; NumVGPRsForWavesPerEU: 96
; AccumOffset: 88
; Occupancy: 5
; WaveLimiterHint : 1
; COMPUTE_PGM_RSRC2:SCRATCH_EN: 0
; COMPUTE_PGM_RSRC2:USER_SGPR: 6
; COMPUTE_PGM_RSRC2:TRAP_HANDLER: 0
; COMPUTE_PGM_RSRC2:TGID_X_EN: 1
; COMPUTE_PGM_RSRC2:TGID_Y_EN: 1
; COMPUTE_PGM_RSRC2:TGID_Z_EN: 1
; COMPUTE_PGM_RSRC2:TIDIG_COMP_CNT: 0
; COMPUTE_PGM_RSRC3_GFX90A:ACCUM_OFFSET: 21
; COMPUTE_PGM_RSRC3_GFX90A:TG_SPLIT: 0
	.section	.text._Z38paged_attention_ll4mi_QKV_mfma4_kernelIDF16_DF16_LN4vllm18Fp8KVCacheDataTypeE0EDF16_Li16ELi128ELi256ELb0ELi2EEvPKT_PKT0_S7_ifPKiS9_S9_iPKfiiiPfSC_PS2_PT2_iSB_SB_,"axG",@progbits,_Z38paged_attention_ll4mi_QKV_mfma4_kernelIDF16_DF16_LN4vllm18Fp8KVCacheDataTypeE0EDF16_Li16ELi128ELi256ELb0ELi2EEvPKT_PKT0_S7_ifPKiS9_S9_iPKfiiiPfSC_PS2_PT2_iSB_SB_,comdat
	.protected	_Z38paged_attention_ll4mi_QKV_mfma4_kernelIDF16_DF16_LN4vllm18Fp8KVCacheDataTypeE0EDF16_Li16ELi128ELi256ELb0ELi2EEvPKT_PKT0_S7_ifPKiS9_S9_iPKfiiiPfSC_PS2_PT2_iSB_SB_ ; -- Begin function _Z38paged_attention_ll4mi_QKV_mfma4_kernelIDF16_DF16_LN4vllm18Fp8KVCacheDataTypeE0EDF16_Li16ELi128ELi256ELb0ELi2EEvPKT_PKT0_S7_ifPKiS9_S9_iPKfiiiPfSC_PS2_PT2_iSB_SB_
	.globl	_Z38paged_attention_ll4mi_QKV_mfma4_kernelIDF16_DF16_LN4vllm18Fp8KVCacheDataTypeE0EDF16_Li16ELi128ELi256ELb0ELi2EEvPKT_PKT0_S7_ifPKiS9_S9_iPKfiiiPfSC_PS2_PT2_iSB_SB_
	.p2align	8
	.type	_Z38paged_attention_ll4mi_QKV_mfma4_kernelIDF16_DF16_LN4vllm18Fp8KVCacheDataTypeE0EDF16_Li16ELi128ELi256ELb0ELi2EEvPKT_PKT0_S7_ifPKiS9_S9_iPKfiiiPfSC_PS2_PT2_iSB_SB_,@function
_Z38paged_attention_ll4mi_QKV_mfma4_kernelIDF16_DF16_LN4vllm18Fp8KVCacheDataTypeE0EDF16_Li16ELi128ELi256ELb0ELi2EEvPKT_PKT0_S7_ifPKiS9_S9_iPKfiiiPfSC_PS2_PT2_iSB_SB_: ; @_Z38paged_attention_ll4mi_QKV_mfma4_kernelIDF16_DF16_LN4vllm18Fp8KVCacheDataTypeE0EDF16_Li16ELi128ELi256ELb0ELi2EEvPKT_PKT0_S7_ifPKiS9_S9_iPKfiiiPfSC_PS2_PT2_iSB_SB_
; %bb.0:
	s_load_dwordx2 s[2:3], s[4:5], 0x30
	s_mov_b32 s24, s7
	s_mov_b64 s[0:1], 0
	s_waitcnt lgkmcnt(0)
	s_cmp_lg_u64 s[2:3], 0
	s_cselect_b64 s[10:11], -1, 0
	s_and_b64 vcc, exec, s[10:11]
	s_cbranch_vccz .LBB133_10
; %bb.1:
	s_add_i32 s12, s6, 1
	s_mov_b32 s13, 0
	s_lshl_b64 s[14:15], s[12:13], 2
	s_add_u32 s14, s2, s14
	s_mov_b32 s7, s13
	s_addc_u32 s15, s3, s15
	s_lshl_b64 s[12:13], s[6:7], 2
	s_add_u32 s12, s2, s12
	s_addc_u32 s13, s3, s13
	s_load_dword s9, s[14:15], 0x0
	s_load_dword s16, s[12:13], 0x0
	s_waitcnt lgkmcnt(0)
	s_sub_i32 s9, s9, s16
	s_cmp_eq_u32 s9, 1
	s_cselect_b64 s[12:13], -1, 0
	s_andn2_b64 vcc, exec, s[0:1]
	s_cbranch_vccnz .LBB133_3
.LBB133_2:
	s_mov_b32 s7, 0
	s_mov_b64 s[12:13], -1
.LBB133_3:
	s_andn2_b64 vcc, exec, s[12:13]
	s_cbranch_vccnz .LBB133_25
; %bb.4:
	s_load_dword s9, s[4:5], 0x9c
	s_load_dwordx2 s[0:1], s[4:5], 0x28
	s_add_u32 s28, s4, 0x90
	s_addc_u32 s29, s5, 0
	s_lshl_b64 s[16:17], s[6:7], 2
	s_waitcnt lgkmcnt(0)
	s_and_b32 s12, s9, 0xffff
	s_add_u32 s0, s0, s16
	s_addc_u32 s1, s1, s17
	s_load_dword s9, s[0:1], 0x0
	s_mul_i32 s18, s24, s12
	s_waitcnt lgkmcnt(0)
	s_cmp_ge_i32 s18, s9
	s_cbranch_scc1 .LBB133_25
; %bb.5:
	v_and_b32_e32 v1, 0xc0, v0
	v_add_u32_e32 v2, s18, v1
	v_lshrrev_b32_e32 v70, 6, v0
	v_cmp_le_i32_e64 s[0:1], s9, v2
                                        ; implicit-def: $sgpr20
                                        ; implicit-def: $sgpr19
	s_and_saveexec_b64 s[12:13], s[0:1]
	s_xor_b64 s[12:13], exec, s[12:13]
	s_cbranch_execz .LBB133_7
; %bb.6:
	v_mul_u32_u24_e32 v1, 20, v70
	v_or_b32_e32 v1, 0x1400, v1
	v_mov_b32_e32 v2, 0x1450
	v_mov_b32_e32 v3, 0xff7fffff
	v_mad_u32_u24 v2, v70, 20, v2
	ds_write2_b32 v1, v3, v3 offset1:1
	v_mov_b32_e32 v1, 0
	ds_write2_b32 v2, v1, v1 offset1:1
	v_mov_b32_e32 v2, 0x1408
	s_mov_b32 s19, 0xff7fffff
	s_mov_b32 s20, 0
	v_mad_u32_u24 v2, v70, 20, v2
	v_mov_b32_e32 v4, 0x1458
	v_mad_u32_u24 v4, v70, 20, v4
	ds_write2_b32 v2, v3, v3 offset1:1
	ds_write2_b32 v4, v1, v1 offset1:1
                                        ; implicit-def: $vgpr2
.LBB133_7:
	s_or_saveexec_b64 s[30:31], s[12:13]
	s_load_dwordx2 s[26:27], s[4:5], 0x68
	s_load_dwordx4 s[12:15], s[4:5], 0x58
	s_load_dword s7, s[28:29], 0x4
	v_and_b32_e32 v1, 63, v0
	v_and_b32_e32 v71, 3, v0
	v_mov_b32_e32 v69, s20
	v_mov_b32_e32 v72, s19
	;; [unrolled: 1-line block ×5, first 2 shown]
                                        ; implicit-def: $vgpr19
                                        ; implicit-def: $vgpr3
                                        ; implicit-def: $vgpr7
                                        ; implicit-def: $vgpr11
                                        ; implicit-def: $vgpr15
                                        ; implicit-def: $vgpr23
                                        ; implicit-def: $vgpr27
                                        ; implicit-def: $vgpr35
                                        ; implicit-def: $vgpr31
                                        ; implicit-def: $vgpr39
                                        ; implicit-def: $vgpr43
                                        ; implicit-def: $vgpr47
                                        ; implicit-def: $vgpr51
                                        ; implicit-def: $vgpr55
                                        ; implicit-def: $vgpr59
                                        ; implicit-def: $vgpr63
	s_xor_b64 exec, exec, s[30:31]
	s_cbranch_execz .LBB133_17
; %bb.8:
	s_add_i32 s22, s9, 15
	s_load_dwordx2 s[20:21], s[4:5], 0x20
	s_load_dword s19, s[4:5], 0x38
	s_ashr_i32 s23, s22, 31
	s_lshr_b32 s23, s23, 28
	v_add_u32_e32 v66, s18, v0
	s_add_i32 s22, s22, s23
	v_ashrrev_i32_e32 v3, 31, v66
	s_ashr_i32 s22, s22, 4
	v_lshrrev_b32_e32 v3, 28, v3
	s_add_i32 s25, s22, -1
	v_add_u32_e32 v3, v66, v3
	s_waitcnt lgkmcnt(0)
	s_mul_i32 s22, s6, s19
	s_mov_b32 s23, 0
	v_ashrrev_i32_e32 v3, 4, v3
	v_mov_b32_e32 v4, s25
	v_cmp_gt_i32_e32 vcc, s9, v66
	s_lshl_b64 s[22:23], s[22:23], 2
	v_cndmask_b32_e32 v4, v4, v3, vcc
	s_add_u32 s19, s20, s22
	v_ashrrev_i32_e32 v5, 31, v4
	s_addc_u32 s20, s21, s23
	v_lshlrev_b64 v[4:5], 2, v[4:5]
	v_mov_b32_e32 v3, s20
	v_add_co_u32_e32 v4, vcc, s19, v4
	v_addc_co_u32_e32 v5, vcc, v3, v5, vcc
	v_ashrrev_i32_e32 v3, 31, v2
	v_lshrrev_b32_e32 v3, 28, v3
	v_add_u32_e32 v2, v2, v3
	v_ashrrev_i32_e32 v6, 4, v2
	v_min_i32_e32 v2, s25, v6
	v_ashrrev_i32_e32 v3, 31, v2
	v_lshlrev_b64 v[2:3], 2, v[2:3]
	v_add_co_u32_e32 v10, vcc, s19, v2
	v_add_u32_e32 v2, 1, v6
	v_mov_b32_e32 v7, s20
	v_min_i32_e32 v2, s25, v2
	v_addc_co_u32_e32 v11, vcc, v7, v3, vcc
	v_ashrrev_i32_e32 v3, 31, v2
	v_lshlrev_b64 v[2:3], 2, v[2:3]
	v_add_co_u32_e32 v12, vcc, s19, v2
	v_add_u32_e32 v2, 2, v6
	v_min_i32_e32 v2, s25, v2
	v_addc_co_u32_e32 v13, vcc, v7, v3, vcc
	v_ashrrev_i32_e32 v3, 31, v2
	v_lshlrev_b64 v[2:3], 2, v[2:3]
	v_add_co_u32_e32 v14, vcc, s19, v2
	v_add_u32_e32 v2, 3, v6
	v_min_i32_e32 v2, s25, v2
	v_addc_co_u32_e32 v15, vcc, v7, v3, vcc
	v_ashrrev_i32_e32 v3, 31, v2
	v_lshlrev_b64 v[2:3], 2, v[2:3]
	v_mov_b32_e32 v6, s20
	v_add_co_u32_e32 v16, vcc, s19, v2
	v_addc_co_u32_e32 v17, vcc, v6, v3, vcc
	global_load_dword v2, v[4:5], off
	global_load_dword v9, v[10:11], off
	;; [unrolled: 1-line block ×5, first 2 shown]
	s_load_dwordx4 s[20:23], s[4:5], 0x8
	s_andn2_b64 vcc, exec, s[10:11]
	s_cbranch_vccnz .LBB133_11
; %bb.9:
	s_add_u32 s2, s2, s16
	s_addc_u32 s3, s3, s17
	s_load_dword s2, s[2:3], 0x0
	s_branch .LBB133_12
.LBB133_10:
	s_mov_b64 s[12:13], 0
	s_branch .LBB133_2
.LBB133_11:
	s_mov_b32 s2, s6
.LBB133_12:
	s_load_dwordx4 s[16:19], s[4:5], 0x48
	v_cmp_gt_u32_e32 vcc, 2, v71
	s_mov_b32 s3, 0
	v_mov_b32_e32 v3, 0
	v_mov_b32_e32 v58, 0
	;; [unrolled: 1-line block ×5, first 2 shown]
	s_and_saveexec_b64 s[10:11], vcc
	s_cbranch_execz .LBB133_14
; %bb.13:
	s_load_dwordx2 s[34:35], s[4:5], 0x0
	s_waitcnt lgkmcnt(0)
	s_ashr_i32 s19, s16, 31
	s_mul_hi_u32 s25, s2, s16
	s_mul_i32 s19, s2, s19
	s_add_i32 s37, s25, s19
	s_mul_i32 s36, s2, s16
	s_lshl_b64 s[36:37], s[36:37], 1
	s_add_u32 s16, s34, s36
	s_addc_u32 s19, s35, s37
	s_lshl_b32 s2, s8, 8
	s_lshl_b64 s[34:35], s[2:3], 1
	v_lshlrev_b32_e32 v4, 2, v1
	s_add_u32 s34, s16, s34
	v_and_b32_e32 v4, 0xf0, v4
	s_addc_u32 s35, s19, s35
	v_lshl_or_b32 v4, v71, 8, v4
	global_load_dwordx4 v[58:61], v4, s[34:35]
.LBB133_14:
	s_or_b64 exec, exec, s[10:11]
	s_waitcnt lgkmcnt(0)
	s_mul_i32 s2, s8, s18
	s_waitcnt vmcnt(4)
	v_mad_i64_i32 v[4:5], s[10:11], v2, s17, 0
	s_lshl_b64 s[2:3], s[2:3], 1
	s_add_u32 s10, s2, s20
	v_lshlrev_b64 v[4:5], 1, v[4:5]
	s_addc_u32 s11, s3, s21
	v_mov_b32_e32 v2, s11
	v_add_co_u32_e32 v4, vcc, s10, v4
	v_addc_co_u32_e32 v2, vcc, v2, v5, vcc
	v_and_b32_e32 v5, 15, v0
	v_lshlrev_b32_e32 v5, 4, v5
	v_add_co_u32_e32 v4, vcc, v4, v5
	v_addc_co_u32_e32 v5, vcc, 0, v2, vcc
	global_load_dwordx4 v[10:13], v[4:5], off
	global_load_dwordx4 v[14:17], v[4:5], off offset:256
	global_load_dwordx4 v[18:21], v[4:5], off offset:512
	;; [unrolled: 1-line block ×11, first 2 shown]
	s_waitcnt vmcnt(14)
	v_mul_hi_i32 v62, v8, s17
	s_waitcnt vmcnt(13)
	v_mul_hi_i32 v63, v7, s17
	;; [unrolled: 2-line block ×3, first 2 shown]
	v_ashrrev_i32_e32 v72, 31, v62
	v_ashrrev_i32_e32 v76, 31, v63
	;; [unrolled: 1-line block ×3, first 2 shown]
	global_load_dwordx4 v[62:65], v[4:5], off offset:3072
	v_mul_hi_i32 v2, v9, s17
	v_ashrrev_i32_e32 v2, 31, v2
	v_lshrrev_b32_e32 v2, 29, v2
	v_mad_i64_i32 v[68:69], s[10:11], v9, s17, v[2:3]
	v_lshrrev_b32_e32 v2, 29, v72
	global_load_dwordx4 v[72:75], v[4:5], off offset:3328
	v_mad_i64_i32 v[8:9], s[10:11], v8, s17, v[2:3]
	v_lshrrev_b32_e32 v2, 29, v76
	global_load_dwordx4 v[76:79], v[4:5], off offset:3584
	s_load_dword s4, s[4:5], 0x1c
	s_add_u32 s5, s22, s2
	s_addc_u32 s10, s23, s3
	v_lshlrev_b64 v[68:69], 1, v[68:69]
	v_cmp_eq_u32_e32 vcc, 0, v71
	v_cndmask_b32_e64 v84, 0, 1.0, vcc
	v_lshlrev_b64 v[8:9], 1, v[8:9]
	v_and_b32_e32 v8, -16, v8
	v_lshlrev_b32_e32 v67, 5, v1
	s_waitcnt vmcnt(14)
	v_mfma_f32_4x4x4f16 a[0:3], v[58:59], v[10:11], 0 cbsz:4
	v_mad_i64_i32 v[10:11], s[2:3], v7, s17, v[2:3]
	v_lshrrev_b32_e32 v2, 29, v80
	global_load_dwordx4 v[80:83], v[4:5], off offset:3840
	v_mfma_f32_4x4x4f16 a[0:3], v[60:61], v[12:13], a[0:3] cbsz:4
	v_and_b32_e32 v12, -16, v68
	s_waitcnt vmcnt(14)
	v_mfma_f32_4x4x4f16 a[0:3], v[58:59], v[14:15], a[0:3] cbsz:4 abid:1
	v_mov_b32_e32 v7, s10
	v_mfma_f32_4x4x4f16 a[0:3], v[60:61], v[16:17], a[0:3] cbsz:4 abid:1
	v_mad_i64_i32 v[2:3], s[2:3], v6, s17, v[2:3]
	s_waitcnt vmcnt(13)
	v_mfma_f32_4x4x4f16 a[0:3], v[58:59], v[18:19], a[0:3] cbsz:4 abid:2
	v_add_co_u32_e32 v6, vcc, s5, v12
	v_mfma_f32_4x4x4f16 a[0:3], v[60:61], v[20:21], a[0:3] cbsz:4 abid:2
	v_addc_co_u32_e32 v7, vcc, v7, v69, vcc
	s_waitcnt vmcnt(12)
	v_mfma_f32_4x4x4f16 a[0:3], v[58:59], v[22:23], a[0:3] cbsz:4 abid:3
	v_mov_b32_e32 v13, s10
	v_mfma_f32_4x4x4f16 a[0:3], v[60:61], v[24:25], a[0:3] cbsz:4 abid:3
	v_add_co_u32_e32 v8, vcc, s5, v8
	s_waitcnt vmcnt(11)
	v_mfma_f32_4x4x4f16 a[0:3], v[58:59], v[26:27], a[0:3] cbsz:4 abid:4
	v_addc_co_u32_e32 v9, vcc, v13, v9, vcc
	v_mfma_f32_4x4x4f16 a[0:3], v[60:61], v[28:29], a[0:3] cbsz:4 abid:4
	v_add_co_u32_e32 v6, vcc, v6, v67
	s_waitcnt vmcnt(10)
	v_mfma_f32_4x4x4f16 a[0:3], v[58:59], v[30:31], a[0:3] cbsz:4 abid:5
	v_addc_co_u32_e32 v7, vcc, 0, v7, vcc
	v_mfma_f32_4x4x4f16 a[0:3], v[60:61], v[32:33], a[0:3] cbsz:4 abid:5
	v_lshlrev_b64 v[4:5], 1, v[10:11]
	s_waitcnt vmcnt(9)
	v_mfma_f32_4x4x4f16 a[0:3], v[58:59], v[34:35], a[0:3] cbsz:4 abid:6
	v_add_co_u32_e32 v16, vcc, v8, v67
	v_mfma_f32_4x4x4f16 a[0:3], v[60:61], v[36:37], a[0:3] cbsz:4 abid:6
	v_and_b32_e32 v4, -16, v4
	s_waitcnt vmcnt(8)
	v_mfma_f32_4x4x4f16 a[0:3], v[58:59], v[38:39], a[0:3] cbsz:4 abid:7
	v_addc_co_u32_e32 v17, vcc, 0, v9, vcc
	v_mfma_f32_4x4x4f16 a[0:3], v[60:61], v[40:41], a[0:3] cbsz:4 abid:7
	v_mov_b32_e32 v10, s10
	s_waitcnt vmcnt(7)
	v_mfma_f32_4x4x4f16 a[0:3], v[58:59], v[42:43], a[0:3] cbsz:4 abid:8
	v_add_co_u32_e32 v23, vcc, s5, v4
	v_mfma_f32_4x4x4f16 a[0:3], v[60:61], v[44:45], a[0:3] cbsz:4 abid:8
	v_addc_co_u32_e32 v24, vcc, v10, v5, vcc
	s_waitcnt vmcnt(6)
	v_mfma_f32_4x4x4f16 a[0:3], v[58:59], v[46:47], a[0:3] cbsz:4 abid:9
	v_lshlrev_b64 v[14:15], 1, v[2:3]
	v_mfma_f32_4x4x4f16 a[0:3], v[60:61], v[48:49], a[0:3] cbsz:4 abid:9
	v_add_co_u32_e32 v26, vcc, v23, v67
	s_waitcnt vmcnt(5)
	v_mfma_f32_4x4x4f16 a[0:3], v[58:59], v[50:51], a[0:3] cbsz:4 abid:10
	v_and_b32_e32 v14, -16, v14
	v_mfma_f32_4x4x4f16 a[0:3], v[60:61], v[52:53], a[0:3] cbsz:4 abid:10
	v_addc_co_u32_e32 v27, vcc, 0, v24, vcc
	s_waitcnt vmcnt(4)
	v_mfma_f32_4x4x4f16 a[0:3], v[58:59], v[54:55], a[0:3] cbsz:4 abid:11
	v_mov_b32_e32 v22, s10
	v_mfma_f32_4x4x4f16 a[0:3], v[60:61], v[56:57], a[0:3] cbsz:4 abid:11
	v_add_co_u32_e32 v28, vcc, s5, v14
	s_waitcnt vmcnt(3)
	v_mfma_f32_4x4x4f16 a[0:3], v[58:59], v[62:63], a[0:3] cbsz:4 abid:12
	v_addc_co_u32_e32 v29, vcc, v22, v15, vcc
	v_mfma_f32_4x4x4f16 a[0:3], v[60:61], v[64:65], a[0:3] cbsz:4 abid:12
	v_add_co_u32_e32 v68, vcc, v28, v67
	s_waitcnt vmcnt(2)
	v_mfma_f32_4x4x4f16 a[0:3], v[58:59], v[72:73], a[0:3] cbsz:4 abid:13
	v_addc_co_u32_e32 v69, vcc, 0, v29, vcc
	v_mfma_f32_4x4x4f16 a[0:3], v[60:61], v[74:75], a[0:3] cbsz:4 abid:13
	global_load_dwordx4 v[18:21], v[6:7], off
	global_load_dwordx4 v[2:5], v[6:7], off offset:16
	s_waitcnt vmcnt(3)
	v_mfma_f32_4x4x4f16 a[0:3], v[58:59], v[76:77], a[0:3] cbsz:4 abid:14
	global_load_dwordx4 v[30:33], v[6:7], off offset:2048
	global_load_dwordx4 v[38:41], v[6:7], off offset:2064
	v_mfma_f32_4x4x4f16 a[0:3], v[60:61], v[78:79], a[0:3] cbsz:4 abid:14
	global_load_dwordx4 v[6:9], v[16:17], off
	global_load_dwordx4 v[10:13], v[16:17], off offset:16
	s_waitcnt vmcnt(6)
	v_mfma_f32_4x4x4f16 a[0:3], v[58:59], v[80:81], a[0:3] cbsz:4 abid:15
	global_load_dwordx4 v[42:45], v[16:17], off offset:2048
	global_load_dwordx4 v[46:49], v[16:17], off offset:2064
	v_mfma_f32_4x4x4f16 a[0:3], v[60:61], v[82:83], a[0:3] cbsz:4 abid:15
	global_load_dwordx4 v[14:17], v[26:27], off
	global_load_dwordx4 v[22:25], v[26:27], off offset:16
	global_load_dwordx4 v[50:53], v[26:27], off offset:2048
	;; [unrolled: 1-line block ×3, first 2 shown]
	s_nop 0
	global_load_dwordx4 v[26:29], v[68:69], off
	global_load_dwordx4 v[34:37], v[68:69], off offset:16
	v_accvgpr_read_b32 v59, a1
	v_accvgpr_read_b32 v58, a0
	s_waitcnt lgkmcnt(0)
	v_pk_mul_f32 v[72:73], s[4:5], v[58:59] op_sel_hi:[0,1]
	global_load_dwordx4 v[58:61], v[68:69], off offset:2048
	global_load_dwordx4 v[62:65], v[68:69], off offset:2064
	v_accvgpr_read_b32 v69, a3
	v_accvgpr_read_b32 v68, a2
	v_pk_mul_f32 v[68:69], s[4:5], v[68:69] op_sel_hi:[0,1]
	v_mfma_f32_4x4x1f32 a[0:3], v72, v84, 0
	v_cmp_eq_u32_e32 vcc, 1, v71
	v_cndmask_b32_e64 v67, 0, 1.0, vcc
	v_cmp_eq_u32_e32 vcc, 2, v71
	s_nop 0
	v_mfma_f32_4x4x1f32 a[0:3], v73, v67, a[0:3]
	v_cndmask_b32_e64 v67, 0, 1.0, vcc
	v_cmp_eq_u32_e32 vcc, 3, v71
	v_mov_b32_e32 v73, 0xff7fffff
	v_mfma_f32_4x4x1f32 a[0:3], v68, v67, a[0:3]
	v_cndmask_b32_e64 v67, 0, 1.0, vcc
	v_lshlrev_b32_e32 v68, 2, v0
	v_and_or_b32 v68, v68, 48, v71
	v_mfma_f32_4x4x1f32 a[0:3], v69, v67, a[0:3]
	v_and_b32_e32 v67, -4, v66
	v_cmp_gt_i32_e32 vcc, s9, v67
	v_or_b32_e32 v66, 3, v66
	v_cmp_gt_i32_e64 s[10:11], s9, v66
	v_lshlrev_b32_e32 v76, 2, v68
	v_accvgpr_read_b32 v69, a0
	v_max_f32_e32 v72, v69, v69
	v_max_f32_e32 v72, 0xff7fffff, v72
	v_accvgpr_read_b32 v74, a1
	v_cndmask_b32_e32 v72, v73, v72, vcc
	v_or_b32_e32 v73, 1, v67
	v_max_f32_e32 v75, v74, v74
	v_max_f32_e32 v75, v72, v75
	v_cmp_gt_i32_e64 s[2:3], s9, v73
	v_accvgpr_read_b32 v73, a2
	v_cndmask_b32_e64 v72, v72, v75, s[2:3]
	v_or_b32_e32 v67, 2, v67
	v_max_f32_e32 v75, v73, v73
	v_max_f32_e32 v75, v72, v75
	v_cmp_gt_i32_e64 s[4:5], s9, v67
	v_cndmask_b32_e64 v67, v72, v75, s[4:5]
	v_accvgpr_read_b32 v75, a3
	v_max_f32_e32 v72, v75, v75
	v_max_f32_e32 v72, v67, v72
	v_cndmask_b32_e64 v66, v67, v72, s[10:11]
	;;#ASMSTART
	v_nop
 v_nop
 v_max_f32_dpp v66, v66, v66 row_ror:4
	;;#ASMEND
	;;#ASMSTART
	v_nop
 v_nop
 v_max_f32_dpp v66, v66, v66 row_ror:8
	;;#ASMEND
	ds_bpermute_b32 v66, v76, v66
	s_waitcnt lgkmcnt(0)
	;;#ASMSTART
	v_nop
 v_nop
 v_max_f32_dpp v66, v66, v66 row_ror:4
	;;#ASMEND
	;;#ASMSTART
	v_nop
 v_nop
 v_max_f32_dpp v72, v66, v66 row_ror:8
	;;#ASMEND
	v_sub_f32_e32 v66, v69, v72
	v_mul_f32_e32 v66, 0x3fb8aa3b, v66
	v_sub_f32_e32 v67, v74, v72
	v_exp_f32_e32 v66, v66
	v_mul_f32_e32 v67, 0x3fb8aa3b, v67
	v_sub_f32_e32 v69, v73, v72
	v_exp_f32_e32 v67, v67
	;; [unrolled: 3-line block ×3, first 2 shown]
	v_mul_f32_e32 v73, 0x3fb8aa3b, v73
	v_exp_f32_e32 v73, v73
	v_cndmask_b32_e32 v66, 0, v66, vcc
	v_add_f32_e32 v68, 0, v66
	v_cndmask_b32_e64 v67, 0, v67, s[2:3]
	v_add_f32_e32 v74, v68, v67
	v_cndmask_b32_e64 v68, 0, v69, s[4:5]
	;; [unrolled: 2-line block ×3, first 2 shown]
	v_add_f32_e32 v73, v74, v69
	;;#ASMSTART
	v_nop
 v_nop
 v_add_f32_dpp v73, v73, v73 row_ror:4
	;;#ASMEND
	;;#ASMSTART
	v_nop
 v_nop
 v_add_f32_dpp v73, v73, v73 row_ror:8
	;;#ASMEND
	ds_bpermute_b32 v73, v76, v73
	s_waitcnt lgkmcnt(0)
	;;#ASMSTART
	v_nop
 v_nop
 v_add_f32_dpp v73, v73, v73 row_ror:4
	;;#ASMEND
	v_cmp_gt_u32_e32 vcc, 4, v1
	;;#ASMSTART
	v_nop
 v_nop
 v_add_f32_dpp v73, v73, v73 row_ror:8
	;;#ASMEND
	s_and_saveexec_b64 s[2:3], vcc
	s_cbranch_execz .LBB133_16
; %bb.15:
	v_mul_u32_u24_e32 v74, 20, v70
	v_lshl_add_u32 v74, v71, 2, v74
	v_add_u32_e32 v74, 0x1400, v74
	ds_write2_b32 v74, v72, v73 offset1:20
.LBB133_16:
	s_or_b64 exec, exec, s[2:3]
.LBB133_17:
	s_or_b64 exec, exec, s[30:31]
	s_waitcnt lgkmcnt(0)
	s_barrier
	s_load_dword s2, s[28:29], 0x8
	v_lshlrev_b32_e32 v73, 2, v71
	v_add_u32_e32 v80, 0x1400, v73
	ds_read2_b32 v[74:75], v80 offset1:5
	ds_read2_b32 v[76:77], v80 offset0:10 offset1:15
	s_mul_i32 s3, s6, s7
	s_waitcnt lgkmcnt(0)
	s_mul_i32 s3, s3, s2
	s_lshl_b32 s2, s3, 1
	s_mov_b32 s3, 0xff7fffff
	v_max3_f32 v73, v74, s3, v75
	v_max3_f32 v73, v73, v76, v77
	v_sub_f32_e32 v74, v74, v73
	ds_read2_b32 v[78:79], v80 offset0:20 offset1:25
	v_mul_f32_e32 v74, 0x3fb8aa3b, v74
	v_sub_f32_e32 v75, v75, v73
	v_exp_f32_e32 v74, v74
	v_mul_f32_e32 v75, 0x3fb8aa3b, v75
	v_sub_f32_e32 v76, v76, v73
	v_exp_f32_e32 v75, v75
	ds_read2_b32 v[80:81], v80 offset0:30 offset1:35
	v_mul_f32_e32 v76, 0x3fb8aa3b, v76
	v_sub_f32_e32 v77, v77, v73
	v_exp_f32_e32 v76, v76
	v_mul_f32_e32 v77, 0x3fb8aa3b, v77
	v_exp_f32_e32 v77, v77
	s_waitcnt lgkmcnt(1)
	v_fma_f32 v74, v74, v78, 0
	v_fmac_f32_e32 v74, v75, v79
	s_waitcnt lgkmcnt(0)
	v_fmac_f32_e32 v74, v76, v80
	s_lshl_b32 s8, s8, 1
	v_fmac_f32_e32 v74, v77, v81
	v_cmp_gt_u32_e32 vcc, 2, v71
	s_and_saveexec_b64 s[4:5], vcc
	s_cbranch_execz .LBB133_19
; %bb.18:
	s_mov_b32 s3, 0
	s_lshl_b64 s[10:11], s[2:3], 2
	s_add_u32 s6, s12, s10
	s_mov_b32 s25, s3
	s_addc_u32 s9, s13, s11
	s_lshl_b64 s[12:13], s[24:25], 2
	s_add_u32 s3, s6, s12
	s_addc_u32 s6, s9, s13
	v_or_b32_e32 v71, s8, v71
	s_add_u32 s9, s14, s10
	v_mul_lo_u32 v76, s7, v71
	v_mov_b32_e32 v77, 0
	s_addc_u32 s10, s15, s11
	v_lshlrev_b64 v[76:77], 2, v[76:77]
	s_add_u32 s9, s9, s12
	v_mov_b32_e32 v71, s6
	v_add_co_u32_e32 v78, vcc, s3, v76
	s_addc_u32 s10, s10, s13
	v_addc_co_u32_e32 v79, vcc, v71, v77, vcc
	v_mov_b32_e32 v71, s10
	v_add_co_u32_e32 v76, vcc, s9, v76
	v_addc_co_u32_e32 v77, vcc, v71, v77, vcc
	global_store_dword v[76:77], v73, off
	global_store_dword v[78:79], v74, off
.LBB133_19:
	s_or_b64 exec, exec, s[4:5]
	v_lshlrev_b32_e32 v70, 3, v70
	s_and_saveexec_b64 s[4:5], s[0:1]
	s_xor_b64 s[0:1], exec, s[4:5]
	s_cbranch_execz .LBB133_21
; %bb.20:
	s_mov_b32 s4, 0
	s_mov_b32 s5, s4
	s_waitcnt vmcnt(14)
	v_mad_u32_u24 v4, v1, 40, v70
	v_pk_mov_b32 v[2:3], s[4:5], s[4:5] op_sel:[0,1]
	ds_write2st64_b64 v4, v[2:3], v[2:3] offset1:5
                                        ; implicit-def: $vgpr69
                                        ; implicit-def: $vgpr67
                                        ; implicit-def: $vgpr19
                                        ; implicit-def: $vgpr3
                                        ; implicit-def: $vgpr7
                                        ; implicit-def: $vgpr11
                                        ; implicit-def: $vgpr15
                                        ; implicit-def: $vgpr23
                                        ; implicit-def: $vgpr27
                                        ; implicit-def: $vgpr35
                                        ; implicit-def: $vgpr31
                                        ; implicit-def: $vgpr39
                                        ; implicit-def: $vgpr43
                                        ; implicit-def: $vgpr47
                                        ; implicit-def: $vgpr51
                                        ; implicit-def: $vgpr55
                                        ; implicit-def: $vgpr59
                                        ; implicit-def: $vgpr63
                                        ; implicit-def: $vgpr72
                                        ; implicit-def: $vgpr73
                                        ; implicit-def: $vgpr74
                                        ; implicit-def: $vgpr70
.LBB133_21:
	s_andn2_saveexec_b64 s[0:1], s[0:1]
	s_cbranch_execz .LBB133_23
; %bb.22:
	v_add_f32_e32 v71, 0x358637bd, v74
	v_div_scale_f32 v74, s[4:5], v71, v71, 1.0
	v_rcp_f32_e32 v75, v74
	v_sub_f32_e32 v72, v72, v73
	v_mul_f32_e32 v72, 0x3fb8aa3b, v72
	v_exp_f32_e32 v72, v72
	v_fma_f32 v73, -v74, v75, 1.0
	v_fmac_f32_e32 v75, v73, v75
	v_div_scale_f32 v73, vcc, 1.0, v71, 1.0
	v_mul_f32_e32 v76, v73, v75
	v_fma_f32 v77, -v74, v76, v73
	v_fmac_f32_e32 v76, v77, v75
	v_fma_f32 v73, -v74, v76, v73
	v_div_fmas_f32 v73, v73, v75, v76
	v_div_fixup_f32 v71, v73, v71, 1.0
	v_mul_f32_e32 v72, v72, v71
	v_pk_mul_f32 v[68:69], v[68:69], v[72:73] op_sel_hi:[1,0]
	v_pk_mul_f32 v[66:67], v[66:67], v[72:73] op_sel_hi:[1,0]
	v_cvt_f16_f32_e32 v66, v66
	v_cvt_f16_f32_e32 v67, v67
	v_cvt_f16_f32_e32 v68, v68
	v_cvt_f16_f32_e32 v69, v69
	v_pack_b32_f16 v66, v66, v67
	v_pack_b32_f16 v67, v68, v69
	s_waitcnt vmcnt(15)
	s_nop 0
	v_mfma_f32_4x4x4f16 a[0:3], v[66:67], v[18:19], 0 cbsz:4
	v_mfma_f32_4x4x4f16 a[0:3], v[66:67], v[20:21], a[0:3] cbsz:4 abid:1
	s_waitcnt vmcnt(14)
	v_mfma_f32_4x4x4f16 a[0:3], v[66:67], v[2:3], a[0:3] cbsz:4 abid:2
	s_waitcnt vmcnt(13)
	v_mfma_f32_4x4x4f16 a[4:7], v[66:67], v[30:31], 0 cbsz:4
	v_mfma_f32_4x4x4f16 a[0:3], v[66:67], v[4:5], a[0:3] cbsz:4 abid:3
	v_mfma_f32_4x4x4f16 a[4:7], v[66:67], v[32:33], a[4:7] cbsz:4 abid:1
	s_waitcnt vmcnt(11)
	v_mfma_f32_4x4x4f16 a[0:3], v[66:67], v[6:7], a[0:3] cbsz:4 abid:4
	v_mfma_f32_4x4x4f16 a[4:7], v[66:67], v[38:39], a[4:7] cbsz:4 abid:2
	;; [unrolled: 1-line block ×3, first 2 shown]
	v_mad_u32_u24 v9, v1, 40, v70
	v_mfma_f32_4x4x4f16 a[4:7], v[66:67], v[40:41], a[4:7] cbsz:4 abid:3
	s_waitcnt vmcnt(10)
	v_mfma_f32_4x4x4f16 a[0:3], v[66:67], v[10:11], a[0:3] cbsz:4 abid:6
	s_waitcnt vmcnt(9)
	v_mfma_f32_4x4x4f16 a[4:7], v[66:67], v[42:43], a[4:7] cbsz:4 abid:4
	v_mfma_f32_4x4x4f16 a[0:3], v[66:67], v[12:13], a[0:3] cbsz:4 abid:7
	;; [unrolled: 1-line block ×3, first 2 shown]
	s_waitcnt vmcnt(7)
	v_mfma_f32_4x4x4f16 a[0:3], v[66:67], v[14:15], a[0:3] cbsz:4 abid:8
	v_mfma_f32_4x4x4f16 a[4:7], v[66:67], v[46:47], a[4:7] cbsz:4 abid:6
	;; [unrolled: 1-line block ×4, first 2 shown]
	s_waitcnt vmcnt(6)
	v_mfma_f32_4x4x4f16 a[0:3], v[66:67], v[22:23], a[0:3] cbsz:4 abid:10
	s_waitcnt vmcnt(5)
	v_mfma_f32_4x4x4f16 a[4:7], v[66:67], v[50:51], a[4:7] cbsz:4 abid:8
	v_mfma_f32_4x4x4f16 a[0:3], v[66:67], v[24:25], a[0:3] cbsz:4 abid:11
	;; [unrolled: 1-line block ×3, first 2 shown]
	s_waitcnt vmcnt(3)
	v_mfma_f32_4x4x4f16 a[0:3], v[66:67], v[26:27], a[0:3] cbsz:4 abid:12
	v_mfma_f32_4x4x4f16 a[4:7], v[66:67], v[54:55], a[4:7] cbsz:4 abid:10
	;; [unrolled: 1-line block ×4, first 2 shown]
	s_waitcnt vmcnt(2)
	v_mfma_f32_4x4x4f16 a[0:3], v[66:67], v[34:35], a[0:3] cbsz:4 abid:14
	v_mfma_f32_4x4x4f16 a[0:3], v[66:67], v[36:37], a[0:3] cbsz:4 abid:15
	s_waitcnt vmcnt(1)
	v_mfma_f32_4x4x4f16 a[4:7], v[66:67], v[58:59], a[4:7] cbsz:4 abid:12
	s_nop 2
	v_accvgpr_read_b32 v2, a0
	v_accvgpr_read_b32 v3, a1
	v_accvgpr_read_b32 v4, a2
	v_accvgpr_read_b32 v5, a3
	v_mfma_f32_4x4x4f16 a[0:3], v[66:67], v[60:61], a[4:7] cbsz:4 abid:13
	v_cvt_f16_f32_e32 v2, v2
	v_cvt_f16_f32_e32 v3, v3
	s_waitcnt vmcnt(0)
	v_mfma_f32_4x4x4f16 a[0:3], v[66:67], v[62:63], a[0:3] cbsz:4 abid:14
	v_pack_b32_f16 v2, v2, v3
	v_mfma_f32_4x4x4f16 a[0:3], v[66:67], v[64:65], a[0:3] cbsz:4 abid:15
	v_cvt_f16_f32_e32 v3, v4
	v_cvt_f16_f32_e32 v4, v5
	v_pack_b32_f16 v3, v3, v4
	s_nop 1
	v_accvgpr_read_b32 v5, a0
	v_accvgpr_read_b32 v6, a1
	;; [unrolled: 1-line block ×4, first 2 shown]
	v_cvt_f16_f32_e32 v5, v5
	v_cvt_f16_f32_e32 v6, v6
	;; [unrolled: 1-line block ×4, first 2 shown]
	v_pack_b32_f16 v4, v5, v6
	v_pack_b32_f16 v5, v7, v8
	ds_write2st64_b64 v9, v[2:3], v[4:5] offset1:5
.LBB133_23:
	s_or_b64 exec, exec, s[0:1]
	v_cmp_gt_u32_e32 vcc, 64, v0
	s_waitcnt lgkmcnt(0)
	s_barrier
	s_and_saveexec_b64 s[0:1], vcc
	s_cbranch_execz .LBB133_25
; %bb.24:
	s_waitcnt vmcnt(11)
	v_mul_u32_u24_e32 v6, 40, v1
	ds_read2_b64 v[2:5], v6 offset1:1
	s_mov_b32 s1, 0
	s_waitcnt lgkmcnt(0)
	v_mov_b32_e32 v3, 0xa00
	s_lshl_b32 s0, s2, 7
	ds_read2_b64 v[6:9], v6 offset0:2 offset1:3
	v_mad_u32_u24 v3, v1, 40, v3
	v_pk_add_f16 v2, v2, 0
	s_lshl_b64 s[2:3], s[0:1], 1
	s_waitcnt lgkmcnt(0)
	v_pk_add_f16 v7, v2, v4
	v_mov_b32_e32 v9, 0xa10
	ds_read2_b64 v[2:5], v3 offset1:1
	s_add_u32 s2, s26, s2
	v_mad_u32_u24 v1, v1, 40, v9
	s_waitcnt vmcnt(10)
	ds_read2_b64 v[10:13], v1 offset1:1
	s_addc_u32 s3, s27, s3
	s_lshl_b32 s0, s24, 7
	s_lshl_b64 s[0:1], s[0:1], 1
	s_add_u32 s0, s2, s0
	v_pk_add_f16 v1, v7, v6
	s_addc_u32 s1, s3, s1
	s_lshl_b32 s2, s7, 7
	v_pk_add_f16 v6, v1, v8
	s_waitcnt lgkmcnt(1)
	v_pk_add_f16 v1, v2, 0
	s_mul_i32 s3, s2, s8
	v_pk_add_f16 v1, v1, v4
	v_or_b32_e32 v2, s3, v0
	v_mov_b32_e32 v3, 0
	s_waitcnt lgkmcnt(0)
	v_pk_add_f16 v1, v1, v10
	v_lshlrev_b64 v[4:5], 1, v[2:3]
	s_add_i32 s3, s3, s2
	v_pk_add_f16 v7, v1, v12
	v_mov_b32_e32 v1, s1
	v_add_co_u32_e32 v4, vcc, s0, v4
	v_or_b32_e32 v2, s3, v0
	v_addc_co_u32_e32 v5, vcc, v1, v5, vcc
	v_lshlrev_b64 v[0:1], 1, v[2:3]
	v_mov_b32_e32 v2, s1
	v_add_co_u32_e32 v0, vcc, s0, v0
	v_addc_co_u32_e32 v1, vcc, v2, v1, vcc
	global_store_short v[4:5], v6, off
	global_store_short_d16_hi v[0:1], v6, off
	global_store_short v[4:5], v7, off offset:128
	global_store_short_d16_hi v[0:1], v7, off offset:128
.LBB133_25:
	s_endpgm
	.section	.rodata,"a",@progbits
	.p2align	6, 0x0
	.amdhsa_kernel _Z38paged_attention_ll4mi_QKV_mfma4_kernelIDF16_DF16_LN4vllm18Fp8KVCacheDataTypeE0EDF16_Li16ELi128ELi256ELb0ELi2EEvPKT_PKT0_S7_ifPKiS9_S9_iPKfiiiPfSC_PS2_PT2_iSB_SB_
		.amdhsa_group_segment_fixed_size 5280
		.amdhsa_private_segment_fixed_size 0
		.amdhsa_kernarg_size 400
		.amdhsa_user_sgpr_count 6
		.amdhsa_user_sgpr_private_segment_buffer 1
		.amdhsa_user_sgpr_dispatch_ptr 0
		.amdhsa_user_sgpr_queue_ptr 0
		.amdhsa_user_sgpr_kernarg_segment_ptr 1
		.amdhsa_user_sgpr_dispatch_id 0
		.amdhsa_user_sgpr_flat_scratch_init 0
		.amdhsa_user_sgpr_kernarg_preload_length 0
		.amdhsa_user_sgpr_kernarg_preload_offset 0
		.amdhsa_user_sgpr_private_segment_size 0
		.amdhsa_uses_dynamic_stack 0
		.amdhsa_system_sgpr_private_segment_wavefront_offset 0
		.amdhsa_system_sgpr_workgroup_id_x 1
		.amdhsa_system_sgpr_workgroup_id_y 1
		.amdhsa_system_sgpr_workgroup_id_z 1
		.amdhsa_system_sgpr_workgroup_info 0
		.amdhsa_system_vgpr_workitem_id 0
		.amdhsa_next_free_vgpr 96
		.amdhsa_next_free_sgpr 38
		.amdhsa_accum_offset 88
		.amdhsa_reserve_vcc 1
		.amdhsa_reserve_flat_scratch 0
		.amdhsa_float_round_mode_32 0
		.amdhsa_float_round_mode_16_64 0
		.amdhsa_float_denorm_mode_32 3
		.amdhsa_float_denorm_mode_16_64 3
		.amdhsa_dx10_clamp 1
		.amdhsa_ieee_mode 1
		.amdhsa_fp16_overflow 0
		.amdhsa_tg_split 0
		.amdhsa_exception_fp_ieee_invalid_op 0
		.amdhsa_exception_fp_denorm_src 0
		.amdhsa_exception_fp_ieee_div_zero 0
		.amdhsa_exception_fp_ieee_overflow 0
		.amdhsa_exception_fp_ieee_underflow 0
		.amdhsa_exception_fp_ieee_inexact 0
		.amdhsa_exception_int_div_zero 0
	.end_amdhsa_kernel
	.section	.text._Z38paged_attention_ll4mi_QKV_mfma4_kernelIDF16_DF16_LN4vllm18Fp8KVCacheDataTypeE0EDF16_Li16ELi128ELi256ELb0ELi2EEvPKT_PKT0_S7_ifPKiS9_S9_iPKfiiiPfSC_PS2_PT2_iSB_SB_,"axG",@progbits,_Z38paged_attention_ll4mi_QKV_mfma4_kernelIDF16_DF16_LN4vllm18Fp8KVCacheDataTypeE0EDF16_Li16ELi128ELi256ELb0ELi2EEvPKT_PKT0_S7_ifPKiS9_S9_iPKfiiiPfSC_PS2_PT2_iSB_SB_,comdat
.Lfunc_end133:
	.size	_Z38paged_attention_ll4mi_QKV_mfma4_kernelIDF16_DF16_LN4vllm18Fp8KVCacheDataTypeE0EDF16_Li16ELi128ELi256ELb0ELi2EEvPKT_PKT0_S7_ifPKiS9_S9_iPKfiiiPfSC_PS2_PT2_iSB_SB_, .Lfunc_end133-_Z38paged_attention_ll4mi_QKV_mfma4_kernelIDF16_DF16_LN4vllm18Fp8KVCacheDataTypeE0EDF16_Li16ELi128ELi256ELb0ELi2EEvPKT_PKT0_S7_ifPKiS9_S9_iPKfiiiPfSC_PS2_PT2_iSB_SB_
                                        ; -- End function
	.section	.AMDGPU.csdata,"",@progbits
; Kernel info:
; codeLenInByte = 3784
; NumSgprs: 42
; NumVgprs: 85
; NumAgprs: 8
; TotalNumVgprs: 96
; ScratchSize: 0
; MemoryBound: 0
; FloatMode: 240
; IeeeMode: 1
; LDSByteSize: 5280 bytes/workgroup (compile time only)
; SGPRBlocks: 5
; VGPRBlocks: 11
; NumSGPRsForWavesPerEU: 42
; NumVGPRsForWavesPerEU: 96
; AccumOffset: 88
; Occupancy: 5
; WaveLimiterHint : 1
; COMPUTE_PGM_RSRC2:SCRATCH_EN: 0
; COMPUTE_PGM_RSRC2:USER_SGPR: 6
; COMPUTE_PGM_RSRC2:TRAP_HANDLER: 0
; COMPUTE_PGM_RSRC2:TGID_X_EN: 1
; COMPUTE_PGM_RSRC2:TGID_Y_EN: 1
; COMPUTE_PGM_RSRC2:TGID_Z_EN: 1
; COMPUTE_PGM_RSRC2:TIDIG_COMP_CNT: 0
; COMPUTE_PGM_RSRC3_GFX90A:ACCUM_OFFSET: 21
; COMPUTE_PGM_RSRC3_GFX90A:TG_SPLIT: 0
	.section	.text._Z38paged_attention_ll4mi_QKV_mfma4_kernelIDF16_DF16_LN4vllm18Fp8KVCacheDataTypeE0EDF16_Li16ELi128ELi256ELb0ELi3EEvPKT_PKT0_S7_ifPKiS9_S9_iPKfiiiPfSC_PS2_PT2_iSB_SB_,"axG",@progbits,_Z38paged_attention_ll4mi_QKV_mfma4_kernelIDF16_DF16_LN4vllm18Fp8KVCacheDataTypeE0EDF16_Li16ELi128ELi256ELb0ELi3EEvPKT_PKT0_S7_ifPKiS9_S9_iPKfiiiPfSC_PS2_PT2_iSB_SB_,comdat
	.protected	_Z38paged_attention_ll4mi_QKV_mfma4_kernelIDF16_DF16_LN4vllm18Fp8KVCacheDataTypeE0EDF16_Li16ELi128ELi256ELb0ELi3EEvPKT_PKT0_S7_ifPKiS9_S9_iPKfiiiPfSC_PS2_PT2_iSB_SB_ ; -- Begin function _Z38paged_attention_ll4mi_QKV_mfma4_kernelIDF16_DF16_LN4vllm18Fp8KVCacheDataTypeE0EDF16_Li16ELi128ELi256ELb0ELi3EEvPKT_PKT0_S7_ifPKiS9_S9_iPKfiiiPfSC_PS2_PT2_iSB_SB_
	.globl	_Z38paged_attention_ll4mi_QKV_mfma4_kernelIDF16_DF16_LN4vllm18Fp8KVCacheDataTypeE0EDF16_Li16ELi128ELi256ELb0ELi3EEvPKT_PKT0_S7_ifPKiS9_S9_iPKfiiiPfSC_PS2_PT2_iSB_SB_
	.p2align	8
	.type	_Z38paged_attention_ll4mi_QKV_mfma4_kernelIDF16_DF16_LN4vllm18Fp8KVCacheDataTypeE0EDF16_Li16ELi128ELi256ELb0ELi3EEvPKT_PKT0_S7_ifPKiS9_S9_iPKfiiiPfSC_PS2_PT2_iSB_SB_,@function
_Z38paged_attention_ll4mi_QKV_mfma4_kernelIDF16_DF16_LN4vllm18Fp8KVCacheDataTypeE0EDF16_Li16ELi128ELi256ELb0ELi3EEvPKT_PKT0_S7_ifPKiS9_S9_iPKfiiiPfSC_PS2_PT2_iSB_SB_: ; @_Z38paged_attention_ll4mi_QKV_mfma4_kernelIDF16_DF16_LN4vllm18Fp8KVCacheDataTypeE0EDF16_Li16ELi128ELi256ELb0ELi3EEvPKT_PKT0_S7_ifPKiS9_S9_iPKfiiiPfSC_PS2_PT2_iSB_SB_
; %bb.0:
	s_load_dwordx2 s[2:3], s[4:5], 0x30
	s_mov_b32 s24, s7
	s_mov_b64 s[0:1], 0
	s_waitcnt lgkmcnt(0)
	s_cmp_lg_u64 s[2:3], 0
	s_cselect_b64 s[10:11], -1, 0
	s_and_b64 vcc, exec, s[10:11]
	s_cbranch_vccz .LBB134_10
; %bb.1:
	s_add_i32 s12, s6, 1
	s_mov_b32 s13, 0
	s_lshl_b64 s[14:15], s[12:13], 2
	s_add_u32 s14, s2, s14
	s_mov_b32 s7, s13
	s_addc_u32 s15, s3, s15
	s_lshl_b64 s[12:13], s[6:7], 2
	s_add_u32 s12, s2, s12
	s_addc_u32 s13, s3, s13
	s_load_dword s9, s[14:15], 0x0
	s_load_dword s16, s[12:13], 0x0
	s_waitcnt lgkmcnt(0)
	s_sub_i32 s9, s9, s16
	s_cmp_eq_u32 s9, 1
	s_cselect_b64 s[12:13], -1, 0
	s_andn2_b64 vcc, exec, s[0:1]
	s_cbranch_vccnz .LBB134_3
.LBB134_2:
	s_mov_b32 s7, 0
	s_mov_b64 s[12:13], -1
.LBB134_3:
	s_andn2_b64 vcc, exec, s[12:13]
	s_cbranch_vccnz .LBB134_25
; %bb.4:
	s_load_dword s9, s[4:5], 0x9c
	s_load_dwordx2 s[0:1], s[4:5], 0x28
	s_add_u32 s28, s4, 0x90
	s_addc_u32 s29, s5, 0
	s_lshl_b64 s[16:17], s[6:7], 2
	s_waitcnt lgkmcnt(0)
	s_and_b32 s12, s9, 0xffff
	s_add_u32 s0, s0, s16
	s_addc_u32 s1, s1, s17
	s_load_dword s9, s[0:1], 0x0
	s_mul_i32 s18, s24, s12
	s_waitcnt lgkmcnt(0)
	s_cmp_ge_i32 s18, s9
	s_cbranch_scc1 .LBB134_25
; %bb.5:
	v_and_b32_e32 v1, 0xc0, v0
	v_add_u32_e32 v2, s18, v1
	v_lshrrev_b32_e32 v70, 6, v0
	v_cmp_le_i32_e64 s[0:1], s9, v2
                                        ; implicit-def: $sgpr20
                                        ; implicit-def: $sgpr19
	s_and_saveexec_b64 s[12:13], s[0:1]
	s_xor_b64 s[12:13], exec, s[12:13]
	s_cbranch_execz .LBB134_7
; %bb.6:
	v_mul_u32_u24_e32 v1, 20, v70
	v_or_b32_e32 v1, 0x1400, v1
	v_mov_b32_e32 v2, 0x1450
	v_mov_b32_e32 v3, 0xff7fffff
	v_mad_u32_u24 v2, v70, 20, v2
	ds_write2_b32 v1, v3, v3 offset1:1
	v_mov_b32_e32 v1, 0
	ds_write2_b32 v2, v1, v1 offset1:1
	v_mov_b32_e32 v2, 0x1408
	s_mov_b32 s19, 0xff7fffff
	s_mov_b32 s20, 0
	v_mad_u32_u24 v2, v70, 20, v2
	v_mov_b32_e32 v4, 0x1458
	v_mad_u32_u24 v4, v70, 20, v4
	ds_write2_b32 v2, v3, v3 offset1:1
	ds_write2_b32 v4, v1, v1 offset1:1
                                        ; implicit-def: $vgpr2
.LBB134_7:
	s_or_saveexec_b64 s[30:31], s[12:13]
	s_load_dwordx2 s[26:27], s[4:5], 0x68
	s_load_dwordx4 s[12:15], s[4:5], 0x58
	s_load_dword s7, s[28:29], 0x4
	v_and_b32_e32 v1, 63, v0
	v_and_b32_e32 v71, 3, v0
	v_mov_b32_e32 v69, s20
	v_mov_b32_e32 v72, s19
	;; [unrolled: 1-line block ×5, first 2 shown]
                                        ; implicit-def: $vgpr19
                                        ; implicit-def: $vgpr3
                                        ; implicit-def: $vgpr7
                                        ; implicit-def: $vgpr11
                                        ; implicit-def: $vgpr15
                                        ; implicit-def: $vgpr23
                                        ; implicit-def: $vgpr35
                                        ; implicit-def: $vgpr39
                                        ; implicit-def: $vgpr27
                                        ; implicit-def: $vgpr31
                                        ; implicit-def: $vgpr43
                                        ; implicit-def: $vgpr47
                                        ; implicit-def: $vgpr51
                                        ; implicit-def: $vgpr55
                                        ; implicit-def: $vgpr59
                                        ; implicit-def: $vgpr63
	s_xor_b64 exec, exec, s[30:31]
	s_cbranch_execz .LBB134_17
; %bb.8:
	s_add_i32 s22, s9, 15
	s_load_dwordx2 s[20:21], s[4:5], 0x20
	s_load_dword s19, s[4:5], 0x38
	s_ashr_i32 s23, s22, 31
	s_lshr_b32 s23, s23, 28
	v_add_u32_e32 v66, s18, v0
	s_add_i32 s22, s22, s23
	v_ashrrev_i32_e32 v3, 31, v66
	s_ashr_i32 s22, s22, 4
	v_lshrrev_b32_e32 v3, 28, v3
	s_add_i32 s25, s22, -1
	v_add_u32_e32 v3, v66, v3
	s_waitcnt lgkmcnt(0)
	s_mul_i32 s22, s6, s19
	s_mov_b32 s23, 0
	v_ashrrev_i32_e32 v3, 4, v3
	v_mov_b32_e32 v4, s25
	v_cmp_gt_i32_e32 vcc, s9, v66
	s_lshl_b64 s[22:23], s[22:23], 2
	v_cndmask_b32_e32 v4, v4, v3, vcc
	s_add_u32 s19, s20, s22
	v_ashrrev_i32_e32 v5, 31, v4
	s_addc_u32 s20, s21, s23
	v_lshlrev_b64 v[4:5], 2, v[4:5]
	v_mov_b32_e32 v3, s20
	v_add_co_u32_e32 v4, vcc, s19, v4
	v_addc_co_u32_e32 v5, vcc, v3, v5, vcc
	v_ashrrev_i32_e32 v3, 31, v2
	v_lshrrev_b32_e32 v3, 28, v3
	v_add_u32_e32 v2, v2, v3
	v_ashrrev_i32_e32 v6, 4, v2
	v_min_i32_e32 v2, s25, v6
	v_ashrrev_i32_e32 v3, 31, v2
	v_lshlrev_b64 v[2:3], 2, v[2:3]
	v_add_co_u32_e32 v10, vcc, s19, v2
	v_add_u32_e32 v2, 1, v6
	v_mov_b32_e32 v7, s20
	v_min_i32_e32 v2, s25, v2
	v_addc_co_u32_e32 v11, vcc, v7, v3, vcc
	v_ashrrev_i32_e32 v3, 31, v2
	v_lshlrev_b64 v[2:3], 2, v[2:3]
	v_add_co_u32_e32 v12, vcc, s19, v2
	v_add_u32_e32 v2, 2, v6
	v_min_i32_e32 v2, s25, v2
	v_addc_co_u32_e32 v13, vcc, v7, v3, vcc
	v_ashrrev_i32_e32 v3, 31, v2
	v_lshlrev_b64 v[2:3], 2, v[2:3]
	v_add_co_u32_e32 v14, vcc, s19, v2
	v_add_u32_e32 v2, 3, v6
	v_min_i32_e32 v2, s25, v2
	v_addc_co_u32_e32 v15, vcc, v7, v3, vcc
	v_ashrrev_i32_e32 v3, 31, v2
	v_lshlrev_b64 v[2:3], 2, v[2:3]
	v_mov_b32_e32 v6, s20
	v_add_co_u32_e32 v16, vcc, s19, v2
	v_addc_co_u32_e32 v17, vcc, v6, v3, vcc
	global_load_dword v2, v[4:5], off
	global_load_dword v9, v[10:11], off
	;; [unrolled: 1-line block ×5, first 2 shown]
	s_load_dwordx4 s[20:23], s[4:5], 0x8
	s_andn2_b64 vcc, exec, s[10:11]
	s_cbranch_vccnz .LBB134_11
; %bb.9:
	s_add_u32 s2, s2, s16
	s_addc_u32 s3, s3, s17
	s_load_dword s2, s[2:3], 0x0
	s_branch .LBB134_12
.LBB134_10:
	s_mov_b64 s[12:13], 0
	s_branch .LBB134_2
.LBB134_11:
	s_mov_b32 s2, s6
.LBB134_12:
	s_load_dwordx4 s[16:19], s[4:5], 0x48
	v_cmp_ne_u32_e32 vcc, 3, v71
	s_mov_b32 s3, 0
	v_mov_b32_e32 v67, 1.0
	v_mov_b32_e32 v3, 0
	v_mov_b32_e32 v34, 0
	;; [unrolled: 1-line block ×5, first 2 shown]
	s_and_saveexec_b64 s[10:11], vcc
	s_cbranch_execz .LBB134_14
; %bb.13:
	s_load_dwordx2 s[34:35], s[4:5], 0x0
	s_waitcnt lgkmcnt(0)
	s_ashr_i32 s19, s16, 31
	s_mul_hi_u32 s25, s2, s16
	s_mul_i32 s19, s2, s19
	s_add_i32 s37, s25, s19
	s_mul_i32 s36, s2, s16
	s_lshl_b64 s[36:37], s[36:37], 1
	s_add_u32 s16, s34, s36
	s_mul_i32 s2, s8, 0x180
	s_addc_u32 s19, s35, s37
	s_lshl_b64 s[34:35], s[2:3], 1
	v_lshlrev_b32_e32 v4, 2, v1
	s_add_u32 s34, s16, s34
	v_and_b32_e32 v4, 0xf0, v4
	s_addc_u32 s35, s19, s35
	v_lshl_or_b32 v4, v71, 8, v4
	global_load_dwordx4 v[34:37], v4, s[34:35]
	v_mov_b32_e32 v67, 0
.LBB134_14:
	s_or_b64 exec, exec, s[10:11]
	s_waitcnt lgkmcnt(0)
	s_mul_i32 s2, s8, s18
	s_waitcnt vmcnt(4)
	v_mad_i64_i32 v[4:5], s[10:11], v2, s17, 0
	s_lshl_b64 s[2:3], s[2:3], 1
	s_add_u32 s10, s2, s20
	v_lshlrev_b64 v[4:5], 1, v[4:5]
	s_addc_u32 s11, s3, s21
	v_mov_b32_e32 v2, s11
	v_add_co_u32_e32 v4, vcc, s10, v4
	v_addc_co_u32_e32 v2, vcc, v2, v5, vcc
	v_and_b32_e32 v5, 15, v0
	v_lshlrev_b32_e32 v5, 4, v5
	v_add_co_u32_e32 v4, vcc, v4, v5
	v_addc_co_u32_e32 v5, vcc, 0, v2, vcc
	global_load_dwordx4 v[10:13], v[4:5], off
	global_load_dwordx4 v[14:17], v[4:5], off offset:256
	global_load_dwordx4 v[18:21], v[4:5], off offset:512
	global_load_dwordx4 v[22:25], v[4:5], off offset:768
	global_load_dwordx4 v[26:29], v[4:5], off offset:1024
	global_load_dwordx4 v[30:33], v[4:5], off offset:1280
	global_load_dwordx4 v[38:41], v[4:5], off offset:1536
	global_load_dwordx4 v[42:45], v[4:5], off offset:1792
	global_load_dwordx4 v[46:49], v[4:5], off offset:2048
	global_load_dwordx4 v[50:53], v[4:5], off offset:2304
	global_load_dwordx4 v[54:57], v[4:5], off offset:2560
	global_load_dwordx4 v[58:61], v[4:5], off offset:2816
	global_load_dwordx4 v[62:65], v[4:5], off offset:3072
	global_load_dwordx4 v[72:75], v[4:5], off offset:3328
	s_waitcnt vmcnt(17)
	v_mul_hi_i32 v2, v9, s17
	s_waitcnt vmcnt(16)
	v_mul_hi_i32 v68, v8, s17
	v_ashrrev_i32_e32 v2, 31, v2
	s_waitcnt vmcnt(15)
	v_mul_hi_i32 v69, v7, s17
	s_waitcnt vmcnt(14)
	v_mul_hi_i32 v76, v6, s17
	v_ashrrev_i32_e32 v77, 31, v68
	v_lshrrev_b32_e32 v2, 29, v2
	v_ashrrev_i32_e32 v80, 31, v69
	v_ashrrev_i32_e32 v88, 31, v76
	v_mad_i64_i32 v[68:69], s[10:11], v9, s17, v[2:3]
	v_lshrrev_b32_e32 v2, 29, v77
	global_load_dwordx4 v[76:79], v[4:5], off offset:3584
	v_mad_i64_i32 v[8:9], s[10:11], v8, s17, v[2:3]
	v_lshrrev_b32_e32 v2, 29, v80
	global_load_dwordx4 v[80:83], v[4:5], off offset:3840
	v_cmp_eq_u32_e32 vcc, 0, v71
	s_load_dword s4, s[4:5], 0x1c
	v_cndmask_b32_e64 v85, 0, 1.0, vcc
	v_cmp_eq_u32_e32 vcc, 1, v71
	s_add_u32 s5, s22, s2
	v_cndmask_b32_e64 v86, 0, 1.0, vcc
	v_cmp_eq_u32_e32 vcc, 2, v71
	s_addc_u32 s10, s23, s3
	v_lshlrev_b64 v[4:5], 1, v[8:9]
	v_mad_i64_i32 v[8:9], s[2:3], v7, s17, v[2:3]
	v_lshrrev_b32_e32 v2, 29, v88
	v_cndmask_b32_e64 v87, 0, 1.0, vcc
	v_mov_b32_e32 v7, s10
	v_mad_i64_i32 v[2:3], s[2:3], v6, s17, v[2:3]
	v_and_b32_e32 v4, -16, v4
	v_lshlrev_b32_e32 v84, 5, v1
	v_lshlrev_b64 v[8:9], 1, v[8:9]
	v_and_b32_e32 v8, -16, v8
	s_waitcnt vmcnt(15)
	v_mfma_f32_4x4x4f16 a[0:3], v[34:35], v[10:11], 0 cbsz:4
	v_lshlrev_b64 v[10:11], 1, v[68:69]
	v_mfma_f32_4x4x4f16 a[0:3], v[36:37], v[12:13], a[0:3] cbsz:4
	v_and_b32_e32 v10, -16, v10
	s_waitcnt vmcnt(14)
	v_mfma_f32_4x4x4f16 a[0:3], v[34:35], v[14:15], a[0:3] cbsz:4 abid:1
	v_add_co_u32_e32 v6, vcc, s5, v10
	v_mfma_f32_4x4x4f16 a[0:3], v[36:37], v[16:17], a[0:3] cbsz:4 abid:1
	v_addc_co_u32_e32 v7, vcc, v7, v11, vcc
	s_waitcnt vmcnt(13)
	v_mfma_f32_4x4x4f16 a[0:3], v[34:35], v[18:19], a[0:3] cbsz:4 abid:2
	v_mov_b32_e32 v12, s10
	v_mfma_f32_4x4x4f16 a[0:3], v[36:37], v[20:21], a[0:3] cbsz:4 abid:2
	v_add_co_u32_e32 v4, vcc, s5, v4
	s_waitcnt vmcnt(12)
	v_mfma_f32_4x4x4f16 a[0:3], v[34:35], v[22:23], a[0:3] cbsz:4 abid:3
	v_addc_co_u32_e32 v5, vcc, v12, v5, vcc
	v_mfma_f32_4x4x4f16 a[0:3], v[36:37], v[24:25], a[0:3] cbsz:4 abid:3
	v_add_co_u32_e32 v6, vcc, v6, v84
	s_waitcnt vmcnt(11)
	v_mfma_f32_4x4x4f16 a[0:3], v[34:35], v[26:27], a[0:3] cbsz:4 abid:4
	v_addc_co_u32_e32 v7, vcc, 0, v7, vcc
	;; [unrolled: 5-line block ×3, first 2 shown]
	v_mfma_f32_4x4x4f16 a[0:3], v[36:37], v[32:33], a[0:3] cbsz:4 abid:5
	v_mov_b32_e32 v13, s10
	s_waitcnt vmcnt(9)
	v_mfma_f32_4x4x4f16 a[0:3], v[34:35], v[38:39], a[0:3] cbsz:4 abid:6
	v_add_co_u32_e32 v23, vcc, s5, v8
	v_mfma_f32_4x4x4f16 a[0:3], v[36:37], v[40:41], a[0:3] cbsz:4 abid:6
	v_addc_co_u32_e32 v24, vcc, v13, v9, vcc
	s_waitcnt vmcnt(8)
	v_mfma_f32_4x4x4f16 a[0:3], v[34:35], v[42:43], a[0:3] cbsz:4 abid:7
	v_lshlrev_b64 v[14:15], 1, v[2:3]
	v_mfma_f32_4x4x4f16 a[0:3], v[36:37], v[44:45], a[0:3] cbsz:4 abid:7
	v_add_co_u32_e32 v38, vcc, v23, v84
	s_waitcnt vmcnt(7)
	v_mfma_f32_4x4x4f16 a[0:3], v[34:35], v[46:47], a[0:3] cbsz:4 abid:8
	v_and_b32_e32 v14, -16, v14
	v_mfma_f32_4x4x4f16 a[0:3], v[36:37], v[48:49], a[0:3] cbsz:4 abid:8
	v_addc_co_u32_e32 v39, vcc, 0, v24, vcc
	s_waitcnt vmcnt(6)
	v_mfma_f32_4x4x4f16 a[0:3], v[34:35], v[50:51], a[0:3] cbsz:4 abid:9
	v_mov_b32_e32 v22, s10
	v_mfma_f32_4x4x4f16 a[0:3], v[36:37], v[52:53], a[0:3] cbsz:4 abid:9
	v_add_co_u32_e32 v40, vcc, s5, v14
	s_waitcnt vmcnt(5)
	v_mfma_f32_4x4x4f16 a[0:3], v[34:35], v[54:55], a[0:3] cbsz:4 abid:10
	v_addc_co_u32_e32 v41, vcc, v22, v15, vcc
	v_mfma_f32_4x4x4f16 a[0:3], v[36:37], v[56:57], a[0:3] cbsz:4 abid:10
	global_load_dwordx4 v[18:21], v[6:7], off
	global_load_dwordx4 v[2:5], v[6:7], off offset:16
	s_waitcnt vmcnt(6)
	v_mfma_f32_4x4x4f16 a[0:3], v[34:35], v[58:59], a[0:3] cbsz:4 abid:11
	global_load_dwordx4 v[26:29], v[6:7], off offset:2048
	global_load_dwordx4 v[30:33], v[6:7], off offset:2064
	v_mfma_f32_4x4x4f16 a[0:3], v[36:37], v[60:61], a[0:3] cbsz:4 abid:11
	global_load_dwordx4 v[6:9], v[16:17], off
	global_load_dwordx4 v[10:13], v[16:17], off offset:16
	s_waitcnt vmcnt(9)
	v_mfma_f32_4x4x4f16 a[0:3], v[34:35], v[62:63], a[0:3] cbsz:4 abid:12
	global_load_dwordx4 v[42:45], v[16:17], off offset:2048
	global_load_dwordx4 v[46:49], v[16:17], off offset:2064
	v_mfma_f32_4x4x4f16 a[0:3], v[36:37], v[64:65], a[0:3] cbsz:4 abid:12
	global_load_dwordx4 v[14:17], v[38:39], off
	global_load_dwordx4 v[22:25], v[38:39], off offset:16
	s_waitcnt vmcnt(12)
	v_mfma_f32_4x4x4f16 a[0:3], v[34:35], v[72:73], a[0:3] cbsz:4 abid:13
	v_add_co_u32_e32 v72, vcc, v40, v84
	v_mfma_f32_4x4x4f16 a[0:3], v[36:37], v[74:75], a[0:3] cbsz:4 abid:13
	v_addc_co_u32_e32 v73, vcc, 0, v41, vcc
	s_waitcnt vmcnt(11)
	v_mfma_f32_4x4x4f16 a[0:3], v[34:35], v[76:77], a[0:3] cbsz:4 abid:14
	global_load_dwordx4 v[50:53], v[38:39], off offset:2048
	global_load_dwordx4 v[54:57], v[38:39], off offset:2064
	v_mfma_f32_4x4x4f16 a[0:3], v[36:37], v[78:79], a[0:3] cbsz:4 abid:14
	s_waitcnt vmcnt(12)
	v_mfma_f32_4x4x4f16 a[0:3], v[34:35], v[80:81], a[0:3] cbsz:4 abid:15
	v_mfma_f32_4x4x4f16 a[0:3], v[36:37], v[82:83], a[0:3] cbsz:4 abid:15
	s_nop 4
	v_accvgpr_read_b32 v35, a1
	v_accvgpr_read_b32 v34, a0
	s_waitcnt lgkmcnt(0)
	v_pk_mul_f32 v[34:35], s[4:5], v[34:35] op_sel_hi:[0,1]
	v_accvgpr_read_b32 v37, a3
	v_accvgpr_read_b32 v36, a2
	v_mfma_f32_4x4x1f32 a[0:3], v34, v85, 0
	v_pk_mul_f32 v[68:69], s[4:5], v[36:37] op_sel_hi:[0,1]
	v_mfma_f32_4x4x1f32 a[0:3], v35, v86, a[0:3]
	global_load_dwordx4 v[34:37], v[72:73], off
	global_load_dwordx4 v[38:41], v[72:73], off offset:16
	global_load_dwordx4 v[58:61], v[72:73], off offset:2048
	;; [unrolled: 1-line block ×3, first 2 shown]
	v_mfma_f32_4x4x1f32 a[0:3], v68, v87, a[0:3]
	v_mov_b32_e32 v73, 0xff7fffff
	v_mfma_f32_4x4x1f32 a[0:3], v69, v67, a[0:3]
	v_and_b32_e32 v67, -4, v66
	v_cmp_gt_i32_e32 vcc, s9, v67
	v_or_b32_e32 v66, 3, v66
	v_cmp_gt_i32_e64 s[10:11], s9, v66
	v_lshlrev_b32_e32 v68, 2, v0
	v_accvgpr_read_b32 v69, a0
	v_max_f32_e32 v72, v69, v69
	v_max_f32_e32 v72, 0xff7fffff, v72
	v_accvgpr_read_b32 v74, a1
	v_cndmask_b32_e32 v72, v73, v72, vcc
	v_or_b32_e32 v73, 1, v67
	v_max_f32_e32 v75, v74, v74
	v_max_f32_e32 v75, v72, v75
	v_cmp_gt_i32_e64 s[2:3], s9, v73
	v_accvgpr_read_b32 v73, a2
	v_cndmask_b32_e64 v72, v72, v75, s[2:3]
	v_or_b32_e32 v67, 2, v67
	v_max_f32_e32 v75, v73, v73
	v_max_f32_e32 v75, v72, v75
	v_cmp_gt_i32_e64 s[4:5], s9, v67
	v_cndmask_b32_e64 v67, v72, v75, s[4:5]
	v_accvgpr_read_b32 v75, a3
	v_max_f32_e32 v72, v75, v75
	v_max_f32_e32 v72, v67, v72
	v_cndmask_b32_e64 v66, v67, v72, s[10:11]
	v_and_or_b32 v68, v68, 48, v71
	;;#ASMSTART
	v_nop
 v_nop
 v_max_f32_dpp v66, v66, v66 row_ror:4
	;;#ASMEND
	v_lshlrev_b32_e32 v76, 2, v68
	;;#ASMSTART
	v_nop
 v_nop
 v_max_f32_dpp v66, v66, v66 row_ror:8
	;;#ASMEND
	ds_bpermute_b32 v66, v76, v66
	s_waitcnt lgkmcnt(0)
	;;#ASMSTART
	v_nop
 v_nop
 v_max_f32_dpp v66, v66, v66 row_ror:4
	;;#ASMEND
	;;#ASMSTART
	v_nop
 v_nop
 v_max_f32_dpp v72, v66, v66 row_ror:8
	;;#ASMEND
	v_sub_f32_e32 v66, v69, v72
	v_mul_f32_e32 v66, 0x3fb8aa3b, v66
	v_sub_f32_e32 v67, v74, v72
	v_exp_f32_e32 v66, v66
	v_mul_f32_e32 v67, 0x3fb8aa3b, v67
	v_sub_f32_e32 v69, v73, v72
	v_exp_f32_e32 v67, v67
	;; [unrolled: 3-line block ×3, first 2 shown]
	v_mul_f32_e32 v73, 0x3fb8aa3b, v73
	v_exp_f32_e32 v73, v73
	v_cndmask_b32_e32 v66, 0, v66, vcc
	v_add_f32_e32 v68, 0, v66
	v_cndmask_b32_e64 v67, 0, v67, s[2:3]
	v_add_f32_e32 v74, v68, v67
	v_cndmask_b32_e64 v68, 0, v69, s[4:5]
	;; [unrolled: 2-line block ×3, first 2 shown]
	v_add_f32_e32 v73, v74, v69
	;;#ASMSTART
	v_nop
 v_nop
 v_add_f32_dpp v73, v73, v73 row_ror:4
	;;#ASMEND
	;;#ASMSTART
	v_nop
 v_nop
 v_add_f32_dpp v73, v73, v73 row_ror:8
	;;#ASMEND
	ds_bpermute_b32 v73, v76, v73
	s_waitcnt lgkmcnt(0)
	;;#ASMSTART
	v_nop
 v_nop
 v_add_f32_dpp v73, v73, v73 row_ror:4
	;;#ASMEND
	v_cmp_gt_u32_e32 vcc, 4, v1
	;;#ASMSTART
	v_nop
 v_nop
 v_add_f32_dpp v73, v73, v73 row_ror:8
	;;#ASMEND
	s_and_saveexec_b64 s[2:3], vcc
	s_cbranch_execz .LBB134_16
; %bb.15:
	v_mul_u32_u24_e32 v74, 20, v70
	v_lshl_add_u32 v74, v71, 2, v74
	v_add_u32_e32 v74, 0x1400, v74
	ds_write2_b32 v74, v72, v73 offset1:20
.LBB134_16:
	s_or_b64 exec, exec, s[2:3]
.LBB134_17:
	s_or_b64 exec, exec, s[30:31]
	s_waitcnt lgkmcnt(0)
	s_barrier
	s_load_dword s2, s[28:29], 0x8
	v_lshlrev_b32_e32 v73, 2, v71
	v_add_u32_e32 v80, 0x1400, v73
	ds_read2_b32 v[74:75], v80 offset1:5
	ds_read2_b32 v[76:77], v80 offset0:10 offset1:15
	s_mul_i32 s3, s6, s7
	s_waitcnt lgkmcnt(0)
	s_mul_i32 s2, s3, s2
	s_mov_b32 s3, 0xff7fffff
	v_max3_f32 v73, v74, s3, v75
	v_max3_f32 v73, v73, v76, v77
	v_sub_f32_e32 v74, v74, v73
	ds_read2_b32 v[78:79], v80 offset0:20 offset1:25
	v_mul_f32_e32 v74, 0x3fb8aa3b, v74
	v_sub_f32_e32 v75, v75, v73
	v_exp_f32_e32 v74, v74
	v_mul_f32_e32 v75, 0x3fb8aa3b, v75
	v_sub_f32_e32 v76, v76, v73
	v_exp_f32_e32 v75, v75
	ds_read2_b32 v[80:81], v80 offset0:30 offset1:35
	v_mul_f32_e32 v76, 0x3fb8aa3b, v76
	v_sub_f32_e32 v77, v77, v73
	v_exp_f32_e32 v76, v76
	v_mul_f32_e32 v77, 0x3fb8aa3b, v77
	v_exp_f32_e32 v77, v77
	s_waitcnt lgkmcnt(1)
	v_fma_f32 v74, v74, v78, 0
	v_fmac_f32_e32 v74, v75, v79
	s_waitcnt lgkmcnt(0)
	v_fmac_f32_e32 v74, v76, v80
	s_mul_i32 s8, s8, 3
	s_mul_i32 s2, s2, 3
	v_fmac_f32_e32 v74, v77, v81
	v_cmp_ne_u32_e32 vcc, 3, v71
	s_and_saveexec_b64 s[4:5], vcc
	s_cbranch_execz .LBB134_19
; %bb.18:
	s_mov_b32 s3, 0
	s_lshl_b64 s[10:11], s[2:3], 2
	s_add_u32 s6, s12, s10
	s_mov_b32 s25, s3
	s_addc_u32 s9, s13, s11
	s_lshl_b64 s[12:13], s[24:25], 2
	s_add_u32 s3, s6, s12
	s_addc_u32 s6, s9, s13
	v_add_u32_e32 v71, s8, v71
	s_add_u32 s9, s14, s10
	v_mul_lo_u32 v76, s7, v71
	v_mov_b32_e32 v77, 0
	s_addc_u32 s10, s15, s11
	v_lshlrev_b64 v[76:77], 2, v[76:77]
	s_add_u32 s9, s9, s12
	v_mov_b32_e32 v71, s6
	v_add_co_u32_e32 v78, vcc, s3, v76
	s_addc_u32 s10, s10, s13
	v_addc_co_u32_e32 v79, vcc, v71, v77, vcc
	v_mov_b32_e32 v71, s10
	v_add_co_u32_e32 v76, vcc, s9, v76
	v_addc_co_u32_e32 v77, vcc, v71, v77, vcc
	global_store_dword v[76:77], v73, off
	global_store_dword v[78:79], v74, off
.LBB134_19:
	s_or_b64 exec, exec, s[4:5]
	v_lshlrev_b32_e32 v70, 3, v70
	s_and_saveexec_b64 s[4:5], s[0:1]
	s_xor_b64 s[0:1], exec, s[4:5]
	s_cbranch_execz .LBB134_21
; %bb.20:
	s_mov_b32 s4, 0
	s_mov_b32 s5, s4
	s_waitcnt vmcnt(14)
	v_mad_u32_u24 v4, v1, 40, v70
	v_pk_mov_b32 v[2:3], s[4:5], s[4:5] op_sel:[0,1]
	ds_write2st64_b64 v4, v[2:3], v[2:3] offset1:5
                                        ; implicit-def: $vgpr69
                                        ; implicit-def: $vgpr67
                                        ; implicit-def: $vgpr19
                                        ; implicit-def: $vgpr3
                                        ; implicit-def: $vgpr7
                                        ; implicit-def: $vgpr11
                                        ; implicit-def: $vgpr15
                                        ; implicit-def: $vgpr23
                                        ; implicit-def: $vgpr35
                                        ; implicit-def: $vgpr39
                                        ; implicit-def: $vgpr27
                                        ; implicit-def: $vgpr31
                                        ; implicit-def: $vgpr43
                                        ; implicit-def: $vgpr47
                                        ; implicit-def: $vgpr51
                                        ; implicit-def: $vgpr55
                                        ; implicit-def: $vgpr59
                                        ; implicit-def: $vgpr63
                                        ; implicit-def: $vgpr72
                                        ; implicit-def: $vgpr73
                                        ; implicit-def: $vgpr74
                                        ; implicit-def: $vgpr70
.LBB134_21:
	s_andn2_saveexec_b64 s[0:1], s[0:1]
	s_cbranch_execz .LBB134_23
; %bb.22:
	v_add_f32_e32 v71, 0x358637bd, v74
	v_div_scale_f32 v74, s[4:5], v71, v71, 1.0
	v_rcp_f32_e32 v75, v74
	v_sub_f32_e32 v72, v72, v73
	v_mul_f32_e32 v72, 0x3fb8aa3b, v72
	v_exp_f32_e32 v72, v72
	v_fma_f32 v73, -v74, v75, 1.0
	v_fmac_f32_e32 v75, v73, v75
	v_div_scale_f32 v73, vcc, 1.0, v71, 1.0
	v_mul_f32_e32 v76, v73, v75
	v_fma_f32 v77, -v74, v76, v73
	v_fmac_f32_e32 v76, v77, v75
	v_fma_f32 v73, -v74, v76, v73
	v_div_fmas_f32 v73, v73, v75, v76
	v_div_fixup_f32 v71, v73, v71, 1.0
	v_mul_f32_e32 v72, v72, v71
	v_pk_mul_f32 v[68:69], v[68:69], v[72:73] op_sel_hi:[1,0]
	v_pk_mul_f32 v[66:67], v[66:67], v[72:73] op_sel_hi:[1,0]
	v_cvt_f16_f32_e32 v66, v66
	v_cvt_f16_f32_e32 v67, v67
	;; [unrolled: 1-line block ×4, first 2 shown]
	v_pack_b32_f16 v66, v66, v67
	v_pack_b32_f16 v67, v68, v69
	s_waitcnt vmcnt(15)
	s_nop 0
	v_mfma_f32_4x4x4f16 a[0:3], v[66:67], v[18:19], 0 cbsz:4
	v_mfma_f32_4x4x4f16 a[0:3], v[66:67], v[20:21], a[0:3] cbsz:4 abid:1
	s_waitcnt vmcnt(14)
	v_mfma_f32_4x4x4f16 a[0:3], v[66:67], v[2:3], a[0:3] cbsz:4 abid:2
	s_waitcnt vmcnt(13)
	v_mfma_f32_4x4x4f16 a[4:7], v[66:67], v[26:27], 0 cbsz:4
	v_mfma_f32_4x4x4f16 a[0:3], v[66:67], v[4:5], a[0:3] cbsz:4 abid:3
	v_mfma_f32_4x4x4f16 a[4:7], v[66:67], v[28:29], a[4:7] cbsz:4 abid:1
	s_waitcnt vmcnt(11)
	v_mfma_f32_4x4x4f16 a[0:3], v[66:67], v[6:7], a[0:3] cbsz:4 abid:4
	v_mfma_f32_4x4x4f16 a[4:7], v[66:67], v[30:31], a[4:7] cbsz:4 abid:2
	;; [unrolled: 1-line block ×3, first 2 shown]
	v_mad_u32_u24 v9, v1, 40, v70
	v_mfma_f32_4x4x4f16 a[4:7], v[66:67], v[32:33], a[4:7] cbsz:4 abid:3
	s_waitcnt vmcnt(10)
	v_mfma_f32_4x4x4f16 a[0:3], v[66:67], v[10:11], a[0:3] cbsz:4 abid:6
	s_waitcnt vmcnt(9)
	v_mfma_f32_4x4x4f16 a[4:7], v[66:67], v[42:43], a[4:7] cbsz:4 abid:4
	v_mfma_f32_4x4x4f16 a[0:3], v[66:67], v[12:13], a[0:3] cbsz:4 abid:7
	;; [unrolled: 1-line block ×3, first 2 shown]
	s_waitcnt vmcnt(7)
	v_mfma_f32_4x4x4f16 a[0:3], v[66:67], v[14:15], a[0:3] cbsz:4 abid:8
	v_mfma_f32_4x4x4f16 a[4:7], v[66:67], v[46:47], a[4:7] cbsz:4 abid:6
	;; [unrolled: 1-line block ×4, first 2 shown]
	s_waitcnt vmcnt(6)
	v_mfma_f32_4x4x4f16 a[0:3], v[66:67], v[22:23], a[0:3] cbsz:4 abid:10
	s_waitcnt vmcnt(5)
	v_mfma_f32_4x4x4f16 a[4:7], v[66:67], v[50:51], a[4:7] cbsz:4 abid:8
	v_mfma_f32_4x4x4f16 a[0:3], v[66:67], v[24:25], a[0:3] cbsz:4 abid:11
	;; [unrolled: 1-line block ×3, first 2 shown]
	s_waitcnt vmcnt(3)
	v_mfma_f32_4x4x4f16 a[0:3], v[66:67], v[34:35], a[0:3] cbsz:4 abid:12
	v_mfma_f32_4x4x4f16 a[4:7], v[66:67], v[54:55], a[4:7] cbsz:4 abid:10
	;; [unrolled: 1-line block ×4, first 2 shown]
	s_waitcnt vmcnt(2)
	v_mfma_f32_4x4x4f16 a[0:3], v[66:67], v[38:39], a[0:3] cbsz:4 abid:14
	v_mfma_f32_4x4x4f16 a[0:3], v[66:67], v[40:41], a[0:3] cbsz:4 abid:15
	s_waitcnt vmcnt(1)
	v_mfma_f32_4x4x4f16 a[4:7], v[66:67], v[58:59], a[4:7] cbsz:4 abid:12
	s_nop 2
	v_accvgpr_read_b32 v2, a0
	v_accvgpr_read_b32 v3, a1
	;; [unrolled: 1-line block ×4, first 2 shown]
	v_mfma_f32_4x4x4f16 a[0:3], v[66:67], v[60:61], a[4:7] cbsz:4 abid:13
	v_cvt_f16_f32_e32 v2, v2
	v_cvt_f16_f32_e32 v3, v3
	s_waitcnt vmcnt(0)
	v_mfma_f32_4x4x4f16 a[0:3], v[66:67], v[62:63], a[0:3] cbsz:4 abid:14
	v_pack_b32_f16 v2, v2, v3
	v_mfma_f32_4x4x4f16 a[0:3], v[66:67], v[64:65], a[0:3] cbsz:4 abid:15
	v_cvt_f16_f32_e32 v3, v4
	v_cvt_f16_f32_e32 v4, v5
	v_pack_b32_f16 v3, v3, v4
	s_nop 1
	v_accvgpr_read_b32 v5, a0
	v_accvgpr_read_b32 v6, a1
	;; [unrolled: 1-line block ×4, first 2 shown]
	v_cvt_f16_f32_e32 v5, v5
	v_cvt_f16_f32_e32 v6, v6
	;; [unrolled: 1-line block ×4, first 2 shown]
	v_pack_b32_f16 v4, v5, v6
	v_pack_b32_f16 v5, v7, v8
	ds_write2st64_b64 v9, v[2:3], v[4:5] offset1:5
.LBB134_23:
	s_or_b64 exec, exec, s[0:1]
	v_cmp_gt_u32_e32 vcc, 64, v0
	s_waitcnt lgkmcnt(0)
	s_barrier
	s_and_saveexec_b64 s[0:1], vcc
	s_cbranch_execz .LBB134_25
; %bb.24:
	s_waitcnt vmcnt(11)
	v_mul_u32_u24_e32 v6, 40, v1
	ds_read2_b64 v[2:5], v6 offset1:1
	ds_read2_b64 v[6:9], v6 offset0:2 offset1:3
	s_mov_b32 s1, 0
	s_lshl_b32 s0, s2, 7
	s_lshl_b64 s[2:3], s[0:1], 1
	s_waitcnt lgkmcnt(1)
	v_pk_add_f16 v2, v2, 0
	v_pk_add_f16 v2, v2, v4
	;; [unrolled: 1-line block ×3, first 2 shown]
	s_waitcnt lgkmcnt(0)
	v_pk_add_f16 v2, v2, v6
	v_pk_add_f16 v3, v3, v5
	s_waitcnt vmcnt(10)
	v_pk_add_f16 v10, v2, v8
	v_mov_b32_e32 v2, 0xa00
	v_pk_add_f16 v6, v3, v7
	v_mad_u32_u24 v2, v1, 40, v2
	ds_read2_b64 v[2:5], v2 offset1:1
	v_pk_add_f16 v11, v6, v9
	v_mov_b32_e32 v6, 0xa10
	v_mad_u32_u24 v1, v1, 40, v6
	ds_read2_b64 v[6:9], v1 offset1:1
	s_add_u32 s2, s26, s2
	s_addc_u32 s3, s27, s3
	s_lshl_b32 s0, s24, 7
	s_lshl_b64 s[0:1], s[0:1], 1
	s_waitcnt lgkmcnt(1)
	v_pk_add_f16 v1, v2, 0
	v_pk_add_f16 v2, v3, 0
	s_add_u32 s0, s2, s0
	v_pk_add_f16 v2, v2, v5
	s_addc_u32 s1, s3, s1
	s_lshl_b32 s2, s7, 7
	s_waitcnt lgkmcnt(0)
	v_pk_add_f16 v2, v2, v7
	s_mul_i32 s3, s2, s8
	v_pk_add_f16 v1, v1, v4
	v_pk_add_f16 v9, v2, v9
	v_or_b32_e32 v2, s3, v0
	v_mov_b32_e32 v3, 0
	v_pk_add_f16 v1, v1, v6
	v_lshlrev_b64 v[4:5], 1, v[2:3]
	s_add_i32 s3, s3, s2
	v_pk_add_f16 v8, v1, v8
	v_mov_b32_e32 v1, s1
	v_add_co_u32_e32 v4, vcc, s0, v4
	v_or_b32_e32 v2, s3, v0
	v_addc_co_u32_e32 v5, vcc, v1, v5, vcc
	v_lshlrev_b64 v[6:7], 1, v[2:3]
	s_add_i32 s3, s3, s2
	v_add_co_u32_e32 v6, vcc, s0, v6
	v_or_b32_e32 v2, s3, v0
	v_addc_co_u32_e32 v7, vcc, v1, v7, vcc
	v_lshlrev_b64 v[0:1], 1, v[2:3]
	v_mov_b32_e32 v2, s1
	v_add_co_u32_e32 v0, vcc, s0, v0
	v_addc_co_u32_e32 v1, vcc, v2, v1, vcc
	global_store_short v[4:5], v10, off
	global_store_short_d16_hi v[6:7], v10, off
	global_store_short v[0:1], v11, off
	global_store_short v[4:5], v8, off offset:128
	global_store_short_d16_hi v[6:7], v8, off offset:128
	global_store_short v[0:1], v9, off offset:128
.LBB134_25:
	s_endpgm
	.section	.rodata,"a",@progbits
	.p2align	6, 0x0
	.amdhsa_kernel _Z38paged_attention_ll4mi_QKV_mfma4_kernelIDF16_DF16_LN4vllm18Fp8KVCacheDataTypeE0EDF16_Li16ELi128ELi256ELb0ELi3EEvPKT_PKT0_S7_ifPKiS9_S9_iPKfiiiPfSC_PS2_PT2_iSB_SB_
		.amdhsa_group_segment_fixed_size 5280
		.amdhsa_private_segment_fixed_size 0
		.amdhsa_kernarg_size 400
		.amdhsa_user_sgpr_count 6
		.amdhsa_user_sgpr_private_segment_buffer 1
		.amdhsa_user_sgpr_dispatch_ptr 0
		.amdhsa_user_sgpr_queue_ptr 0
		.amdhsa_user_sgpr_kernarg_segment_ptr 1
		.amdhsa_user_sgpr_dispatch_id 0
		.amdhsa_user_sgpr_flat_scratch_init 0
		.amdhsa_user_sgpr_kernarg_preload_length 0
		.amdhsa_user_sgpr_kernarg_preload_offset 0
		.amdhsa_user_sgpr_private_segment_size 0
		.amdhsa_uses_dynamic_stack 0
		.amdhsa_system_sgpr_private_segment_wavefront_offset 0
		.amdhsa_system_sgpr_workgroup_id_x 1
		.amdhsa_system_sgpr_workgroup_id_y 1
		.amdhsa_system_sgpr_workgroup_id_z 1
		.amdhsa_system_sgpr_workgroup_info 0
		.amdhsa_system_vgpr_workitem_id 0
		.amdhsa_next_free_vgpr 100
		.amdhsa_next_free_sgpr 38
		.amdhsa_accum_offset 92
		.amdhsa_reserve_vcc 1
		.amdhsa_reserve_flat_scratch 0
		.amdhsa_float_round_mode_32 0
		.amdhsa_float_round_mode_16_64 0
		.amdhsa_float_denorm_mode_32 3
		.amdhsa_float_denorm_mode_16_64 3
		.amdhsa_dx10_clamp 1
		.amdhsa_ieee_mode 1
		.amdhsa_fp16_overflow 0
		.amdhsa_tg_split 0
		.amdhsa_exception_fp_ieee_invalid_op 0
		.amdhsa_exception_fp_denorm_src 0
		.amdhsa_exception_fp_ieee_div_zero 0
		.amdhsa_exception_fp_ieee_overflow 0
		.amdhsa_exception_fp_ieee_underflow 0
		.amdhsa_exception_fp_ieee_inexact 0
		.amdhsa_exception_int_div_zero 0
	.end_amdhsa_kernel
	.section	.text._Z38paged_attention_ll4mi_QKV_mfma4_kernelIDF16_DF16_LN4vllm18Fp8KVCacheDataTypeE0EDF16_Li16ELi128ELi256ELb0ELi3EEvPKT_PKT0_S7_ifPKiS9_S9_iPKfiiiPfSC_PS2_PT2_iSB_SB_,"axG",@progbits,_Z38paged_attention_ll4mi_QKV_mfma4_kernelIDF16_DF16_LN4vllm18Fp8KVCacheDataTypeE0EDF16_Li16ELi128ELi256ELb0ELi3EEvPKT_PKT0_S7_ifPKiS9_S9_iPKfiiiPfSC_PS2_PT2_iSB_SB_,comdat
.Lfunc_end134:
	.size	_Z38paged_attention_ll4mi_QKV_mfma4_kernelIDF16_DF16_LN4vllm18Fp8KVCacheDataTypeE0EDF16_Li16ELi128ELi256ELb0ELi3EEvPKT_PKT0_S7_ifPKiS9_S9_iPKfiiiPfSC_PS2_PT2_iSB_SB_, .Lfunc_end134-_Z38paged_attention_ll4mi_QKV_mfma4_kernelIDF16_DF16_LN4vllm18Fp8KVCacheDataTypeE0EDF16_Li16ELi128ELi256ELb0ELi3EEvPKT_PKT0_S7_ifPKiS9_S9_iPKfiiiPfSC_PS2_PT2_iSB_SB_
                                        ; -- End function
	.section	.AMDGPU.csdata,"",@progbits
; Kernel info:
; codeLenInByte = 3888
; NumSgprs: 42
; NumVgprs: 89
; NumAgprs: 8
; TotalNumVgprs: 100
; ScratchSize: 0
; MemoryBound: 0
; FloatMode: 240
; IeeeMode: 1
; LDSByteSize: 5280 bytes/workgroup (compile time only)
; SGPRBlocks: 5
; VGPRBlocks: 12
; NumSGPRsForWavesPerEU: 42
; NumVGPRsForWavesPerEU: 100
; AccumOffset: 92
; Occupancy: 4
; WaveLimiterHint : 1
; COMPUTE_PGM_RSRC2:SCRATCH_EN: 0
; COMPUTE_PGM_RSRC2:USER_SGPR: 6
; COMPUTE_PGM_RSRC2:TRAP_HANDLER: 0
; COMPUTE_PGM_RSRC2:TGID_X_EN: 1
; COMPUTE_PGM_RSRC2:TGID_Y_EN: 1
; COMPUTE_PGM_RSRC2:TGID_Z_EN: 1
; COMPUTE_PGM_RSRC2:TIDIG_COMP_CNT: 0
; COMPUTE_PGM_RSRC3_GFX90A:ACCUM_OFFSET: 22
; COMPUTE_PGM_RSRC3_GFX90A:TG_SPLIT: 0
	.section	.text._Z38paged_attention_ll4mi_QKV_mfma4_kernelIDF16_DF16_LN4vllm18Fp8KVCacheDataTypeE0EDF16_Li16ELi128ELi256ELb0ELi4EEvPKT_PKT0_S7_ifPKiS9_S9_iPKfiiiPfSC_PS2_PT2_iSB_SB_,"axG",@progbits,_Z38paged_attention_ll4mi_QKV_mfma4_kernelIDF16_DF16_LN4vllm18Fp8KVCacheDataTypeE0EDF16_Li16ELi128ELi256ELb0ELi4EEvPKT_PKT0_S7_ifPKiS9_S9_iPKfiiiPfSC_PS2_PT2_iSB_SB_,comdat
	.protected	_Z38paged_attention_ll4mi_QKV_mfma4_kernelIDF16_DF16_LN4vllm18Fp8KVCacheDataTypeE0EDF16_Li16ELi128ELi256ELb0ELi4EEvPKT_PKT0_S7_ifPKiS9_S9_iPKfiiiPfSC_PS2_PT2_iSB_SB_ ; -- Begin function _Z38paged_attention_ll4mi_QKV_mfma4_kernelIDF16_DF16_LN4vllm18Fp8KVCacheDataTypeE0EDF16_Li16ELi128ELi256ELb0ELi4EEvPKT_PKT0_S7_ifPKiS9_S9_iPKfiiiPfSC_PS2_PT2_iSB_SB_
	.globl	_Z38paged_attention_ll4mi_QKV_mfma4_kernelIDF16_DF16_LN4vllm18Fp8KVCacheDataTypeE0EDF16_Li16ELi128ELi256ELb0ELi4EEvPKT_PKT0_S7_ifPKiS9_S9_iPKfiiiPfSC_PS2_PT2_iSB_SB_
	.p2align	8
	.type	_Z38paged_attention_ll4mi_QKV_mfma4_kernelIDF16_DF16_LN4vllm18Fp8KVCacheDataTypeE0EDF16_Li16ELi128ELi256ELb0ELi4EEvPKT_PKT0_S7_ifPKiS9_S9_iPKfiiiPfSC_PS2_PT2_iSB_SB_,@function
_Z38paged_attention_ll4mi_QKV_mfma4_kernelIDF16_DF16_LN4vllm18Fp8KVCacheDataTypeE0EDF16_Li16ELi128ELi256ELb0ELi4EEvPKT_PKT0_S7_ifPKiS9_S9_iPKfiiiPfSC_PS2_PT2_iSB_SB_: ; @_Z38paged_attention_ll4mi_QKV_mfma4_kernelIDF16_DF16_LN4vllm18Fp8KVCacheDataTypeE0EDF16_Li16ELi128ELi256ELb0ELi4EEvPKT_PKT0_S7_ifPKiS9_S9_iPKfiiiPfSC_PS2_PT2_iSB_SB_
; %bb.0:
	s_load_dwordx2 s[10:11], s[4:5], 0x30
	s_mov_b32 s24, s7
	s_mov_b64 s[0:1], 0
	s_waitcnt lgkmcnt(0)
	s_cmp_lg_u64 s[10:11], 0
	s_cselect_b64 s[16:17], -1, 0
	s_and_b64 vcc, exec, s[16:17]
	s_cbranch_vccz .LBB135_20
; %bb.1:
	s_add_i32 s2, s6, 1
	s_mov_b32 s3, 0
	s_lshl_b64 s[12:13], s[2:3], 2
	s_add_u32 s12, s10, s12
	s_mov_b32 s7, s3
	s_addc_u32 s13, s11, s13
	s_lshl_b64 s[2:3], s[6:7], 2
	s_add_u32 s2, s10, s2
	s_addc_u32 s3, s11, s3
	s_load_dword s9, s[12:13], 0x0
	s_load_dword s14, s[2:3], 0x0
	s_mov_b64 s[34:35], s[6:7]
	s_waitcnt lgkmcnt(0)
	s_sub_i32 s2, s9, s14
	s_cmp_eq_u32 s2, 1
	s_cselect_b64 s[2:3], -1, 0
	s_andn2_b64 vcc, exec, s[0:1]
	s_cbranch_vccnz .LBB135_3
.LBB135_2:
	s_mov_b32 s7, 0
	s_mov_b64 s[2:3], -1
	s_mov_b64 s[34:35], s[6:7]
.LBB135_3:
	s_andn2_b64 vcc, exec, s[2:3]
	s_cbranch_vccnz .LBB135_19
; %bb.4:
	s_load_dword s2, s[4:5], 0x9c
	s_load_dwordx2 s[0:1], s[4:5], 0x28
	s_add_u32 s28, s4, 0x90
	s_addc_u32 s29, s5, 0
	s_lshl_b64 s[18:19], s[34:35], 2
	s_waitcnt lgkmcnt(0)
	s_and_b32 s2, s2, 0xffff
	s_add_u32 s0, s0, s18
	s_addc_u32 s1, s1, s19
	s_load_dword s9, s[0:1], 0x0
	s_mul_i32 s20, s24, s2
	s_waitcnt lgkmcnt(0)
	s_cmp_ge_i32 s20, s9
	s_cbranch_scc1 .LBB135_19
; %bb.5:
	v_and_b32_e32 v1, 0xc0, v0
	v_add_u32_e32 v2, s20, v1
	v_lshrrev_b32_e32 v70, 6, v0
	v_cmp_le_i32_e64 s[0:1], s9, v2
                                        ; implicit-def: $sgpr22
                                        ; implicit-def: $sgpr21
	s_and_saveexec_b64 s[2:3], s[0:1]
	s_xor_b64 s[2:3], exec, s[2:3]
	s_cbranch_execz .LBB135_7
; %bb.6:
	v_mul_u32_u24_e32 v1, 20, v70
	v_or_b32_e32 v1, 0x1400, v1
	v_mov_b32_e32 v2, 0x1450
	v_mov_b32_e32 v3, 0xff7fffff
	v_mad_u32_u24 v2, v70, 20, v2
	ds_write2_b32 v1, v3, v3 offset1:1
	v_mov_b32_e32 v1, 0
	ds_write2_b32 v2, v1, v1 offset1:1
	v_mov_b32_e32 v2, 0x1408
	s_mov_b32 s21, 0xff7fffff
	s_mov_b32 s22, 0
	v_mad_u32_u24 v2, v70, 20, v2
	v_mov_b32_e32 v4, 0x1458
	v_mad_u32_u24 v4, v70, 20, v4
	ds_write2_b32 v2, v3, v3 offset1:1
	ds_write2_b32 v4, v1, v1 offset1:1
                                        ; implicit-def: $vgpr2
.LBB135_7:
	s_or_saveexec_b64 s[30:31], s[2:3]
	s_load_dwordx2 s[26:27], s[4:5], 0x68
	s_load_dwordx4 s[12:15], s[4:5], 0x58
	s_load_dword s7, s[28:29], 0x4
	v_and_b32_e32 v1, 63, v0
	v_and_b32_e32 v71, 3, v0
	v_mov_b32_e32 v69, s22
	v_mov_b32_e32 v72, s21
	;; [unrolled: 1-line block ×5, first 2 shown]
                                        ; implicit-def: $vgpr23
                                        ; implicit-def: $vgpr3
                                        ; implicit-def: $vgpr7
                                        ; implicit-def: $vgpr11
                                        ; implicit-def: $vgpr15
                                        ; implicit-def: $vgpr19
                                        ; implicit-def: $vgpr27
                                        ; implicit-def: $vgpr31
                                        ; implicit-def: $vgpr35
                                        ; implicit-def: $vgpr39
                                        ; implicit-def: $vgpr43
                                        ; implicit-def: $vgpr47
                                        ; implicit-def: $vgpr51
                                        ; implicit-def: $vgpr55
                                        ; implicit-def: $vgpr59
                                        ; implicit-def: $vgpr63
	s_xor_b64 exec, exec, s[30:31]
	s_cbranch_execz .LBB135_13
; %bb.8:
	s_add_i32 s22, s9, 15
	s_load_dwordx2 s[2:3], s[4:5], 0x20
	s_load_dword s21, s[4:5], 0x38
	s_ashr_i32 s23, s22, 31
	s_lshr_b32 s23, s23, 28
	v_add_u32_e32 v66, s20, v0
	s_add_i32 s22, s22, s23
	v_ashrrev_i32_e32 v3, 31, v66
	s_ashr_i32 s22, s22, 4
	v_lshrrev_b32_e32 v3, 28, v3
	s_add_i32 s25, s22, -1
	v_add_u32_e32 v3, v66, v3
	s_waitcnt lgkmcnt(0)
	s_mul_i32 s36, s6, s21
	s_mov_b32 s37, 0
	v_ashrrev_i32_e32 v3, 4, v3
	v_mov_b32_e32 v4, s25
	v_cmp_gt_i32_e32 vcc, s9, v66
	s_lshl_b64 s[22:23], s[36:37], 2
	v_cndmask_b32_e32 v4, v4, v3, vcc
	s_add_u32 s2, s2, s22
	v_ashrrev_i32_e32 v5, 31, v4
	s_addc_u32 s3, s3, s23
	v_lshlrev_b64 v[4:5], 2, v[4:5]
	v_mov_b32_e32 v3, s3
	v_add_co_u32_e32 v8, vcc, s2, v4
	v_addc_co_u32_e32 v9, vcc, v3, v5, vcc
	v_ashrrev_i32_e32 v3, 31, v2
	v_lshrrev_b32_e32 v3, 28, v3
	v_add_u32_e32 v2, v2, v3
	v_ashrrev_i32_e32 v4, 4, v2
	v_min_i32_e32 v2, s25, v4
	v_ashrrev_i32_e32 v3, 31, v2
	v_lshlrev_b64 v[2:3], 2, v[2:3]
	v_add_co_u32_e32 v10, vcc, s2, v2
	v_add_u32_e32 v2, 1, v4
	v_mov_b32_e32 v5, s3
	v_min_i32_e32 v2, s25, v2
	v_addc_co_u32_e32 v11, vcc, v5, v3, vcc
	v_ashrrev_i32_e32 v3, 31, v2
	v_lshlrev_b64 v[2:3], 2, v[2:3]
	v_add_co_u32_e32 v12, vcc, s2, v2
	v_add_u32_e32 v2, 2, v4
	v_min_i32_e32 v2, s25, v2
	v_addc_co_u32_e32 v13, vcc, v5, v3, vcc
	v_ashrrev_i32_e32 v3, 31, v2
	v_lshlrev_b64 v[2:3], 2, v[2:3]
	v_add_co_u32_e32 v14, vcc, s2, v2
	v_add_u32_e32 v2, 3, v4
	v_min_i32_e32 v2, s25, v2
	v_addc_co_u32_e32 v15, vcc, v5, v3, vcc
	v_ashrrev_i32_e32 v3, 31, v2
	v_lshlrev_b64 v[2:3], 2, v[2:3]
	v_mov_b32_e32 v4, s3
	v_add_co_u32_e32 v16, vcc, s2, v2
	v_addc_co_u32_e32 v17, vcc, v4, v3, vcc
	global_load_dword v2, v[8:9], off
	global_load_dword v7, v[10:11], off
	global_load_dword v6, v[12:13], off
	global_load_dword v5, v[14:15], off
	global_load_dword v4, v[16:17], off
	s_load_dwordx4 s[20:23], s[4:5], 0x0
	s_load_dwordx2 s[2:3], s[4:5], 0x10
	s_andn2_b64 vcc, exec, s[16:17]
	s_cbranch_vccnz .LBB135_10
; %bb.9:
	s_add_u32 s10, s10, s18
	s_addc_u32 s11, s11, s19
	s_load_dword s36, s[10:11], 0x0
	s_waitcnt lgkmcnt(0)
	s_mov_b64 s[34:35], s[36:37]
.LBB135_10:
	s_load_dwordx4 s[16:19], s[4:5], 0x48
	v_lshlrev_b32_e32 v3, 2, v1
	v_and_b32_e32 v3, 0xf0, v3
	v_lshl_or_b32 v3, v71, 8, v3
	v_mov_b32_e32 v65, 0
	s_waitcnt lgkmcnt(0)
	s_ashr_i32 s11, s16, 31
	s_mul_hi_u32 s19, s34, s16
	s_mul_i32 s11, s34, s11
	s_mul_i32 s25, s35, s16
	s_add_i32 s11, s19, s11
	s_mul_i32 s10, s34, s16
	s_add_i32 s11, s11, s25
	s_lshl_b64 s[10:11], s[10:11], 1
	s_add_u32 s16, s20, s10
	s_addc_u32 s19, s21, s11
	s_lshl_b32 s36, s8, 9
	s_lshl_b64 s[10:11], s[36:37], 1
	s_add_u32 s10, s16, s10
	s_addc_u32 s11, s19, s11
	global_load_dwordx4 v[72:75], v3, s[10:11]
	s_waitcnt vmcnt(5)
	v_mad_i64_i32 v[2:3], s[10:11], v2, s17, 0
	s_mul_i32 s36, s8, s18
	s_lshl_b64 s[10:11], s[36:37], 1
	s_add_u32 s16, s10, s22
	v_lshlrev_b64 v[2:3], 1, v[2:3]
	s_addc_u32 s18, s11, s23
	v_mov_b32_e32 v8, s18
	v_add_co_u32_e32 v2, vcc, s16, v2
	v_addc_co_u32_e32 v3, vcc, v8, v3, vcc
	v_and_b32_e32 v8, 15, v0
	v_lshlrev_b32_e32 v8, 4, v8
	v_add_co_u32_e32 v2, vcc, v2, v8
	v_addc_co_u32_e32 v3, vcc, 0, v3, vcc
	global_load_dwordx4 v[8:11], v[2:3], off
	global_load_dwordx4 v[12:15], v[2:3], off offset:256
	global_load_dwordx4 v[16:19], v[2:3], off offset:512
	global_load_dwordx4 v[20:23], v[2:3], off offset:768
	global_load_dwordx4 v[24:27], v[2:3], off offset:1024
	global_load_dwordx4 v[28:31], v[2:3], off offset:1280
	global_load_dwordx4 v[32:35], v[2:3], off offset:1536
	global_load_dwordx4 v[36:39], v[2:3], off offset:1792
	global_load_dwordx4 v[40:43], v[2:3], off offset:2048
	global_load_dwordx4 v[44:47], v[2:3], off offset:2304
	global_load_dwordx4 v[48:51], v[2:3], off offset:2560
	s_waitcnt vmcnt(15)
	v_mul_hi_i32 v52, v7, s17
	s_waitcnt vmcnt(14)
	v_mul_hi_i32 v53, v6, s17
	;; [unrolled: 2-line block ×3, first 2 shown]
	v_ashrrev_i32_e32 v57, 31, v52
	v_ashrrev_i32_e32 v58, 31, v53
	;; [unrolled: 1-line block ×3, first 2 shown]
	global_load_dwordx4 v[52:55], v[2:3], off offset:2816
	s_waitcnt vmcnt(13)
	v_mul_hi_i32 v56, v4, s17
	v_lshrrev_b32_e32 v64, 29, v57
	v_ashrrev_i32_e32 v76, 31, v56
	v_mad_i64_i32 v[60:61], s[18:19], v7, s17, v[64:65]
	v_lshrrev_b32_e32 v64, 29, v58
	global_load_dwordx4 v[56:59], v[2:3], off offset:3072
	v_lshlrev_b64 v[68:69], 1, v[60:61]
	v_mad_i64_i32 v[6:7], s[18:19], v6, s17, v[64:65]
	v_lshrrev_b32_e32 v64, 29, v62
	global_load_dwordx4 v[60:63], v[2:3], off offset:3328
	s_add_u32 s2, s2, s10
	v_and_b32_e32 v68, -16, v68
	s_addc_u32 s3, s3, s11
	v_lshlrev_b64 v[6:7], 1, v[6:7]
	v_and_b32_e32 v6, -16, v6
	v_lshlrev_b32_e32 v67, 5, v1
	s_load_dword s4, s[4:5], 0x1c
	s_waitcnt vmcnt(13)
	v_mfma_f32_4x4x4f16 a[0:3], v[72:73], v[8:9], 0 cbsz:4
	v_mad_i64_i32 v[8:9], s[18:19], v5, s17, v[64:65]
	v_lshrrev_b32_e32 v64, 29, v76
	global_load_dwordx4 v[76:79], v[2:3], off offset:3584
	global_load_dwordx4 v[80:83], v[2:3], off offset:3840
	v_mfma_f32_4x4x4f16 a[0:3], v[74:75], v[10:11], a[0:3] cbsz:4
	v_lshlrev_b64 v[8:9], 1, v[8:9]
	s_waitcnt vmcnt(14)
	v_mfma_f32_4x4x4f16 a[0:3], v[72:73], v[12:13], a[0:3] cbsz:4 abid:1
	v_and_b32_e32 v2, -16, v8
	v_mfma_f32_4x4x4f16 a[0:3], v[74:75], v[14:15], a[0:3] cbsz:4 abid:1
	v_mov_b32_e32 v3, s3
	s_waitcnt vmcnt(13)
	v_mfma_f32_4x4x4f16 a[0:3], v[72:73], v[16:17], a[0:3] cbsz:4 abid:2
	v_add_co_u32_e32 v8, vcc, s2, v68
	v_mfma_f32_4x4x4f16 a[0:3], v[74:75], v[18:19], a[0:3] cbsz:4 abid:2
	v_mad_i64_i32 v[4:5], s[16:17], v4, s17, v[64:65]
	s_waitcnt vmcnt(12)
	v_mfma_f32_4x4x4f16 a[0:3], v[72:73], v[20:21], a[0:3] cbsz:4 abid:3
	v_addc_co_u32_e32 v3, vcc, v3, v69, vcc
	v_mfma_f32_4x4x4f16 a[0:3], v[74:75], v[22:23], a[0:3] cbsz:4 abid:3
	v_lshlrev_b64 v[64:65], 1, v[4:5]
	s_waitcnt vmcnt(11)
	v_mfma_f32_4x4x4f16 a[0:3], v[72:73], v[24:25], a[0:3] cbsz:4 abid:4
	v_mov_b32_e32 v4, s3
	v_mfma_f32_4x4x4f16 a[0:3], v[74:75], v[26:27], a[0:3] cbsz:4 abid:4
	v_add_co_u32_e32 v10, vcc, s2, v6
	s_waitcnt vmcnt(10)
	v_mfma_f32_4x4x4f16 a[0:3], v[72:73], v[28:29], a[0:3] cbsz:4 abid:5
	v_addc_co_u32_e32 v4, vcc, v4, v7, vcc
	v_mfma_f32_4x4x4f16 a[0:3], v[74:75], v[30:31], a[0:3] cbsz:4 abid:5
	v_mov_b32_e32 v5, s3
	s_waitcnt vmcnt(9)
	v_mfma_f32_4x4x4f16 a[0:3], v[72:73], v[32:33], a[0:3] cbsz:4 abid:6
	v_add_co_u32_e32 v2, vcc, s2, v2
	v_mfma_f32_4x4x4f16 a[0:3], v[74:75], v[34:35], a[0:3] cbsz:4 abid:6
	v_addc_co_u32_e32 v5, vcc, v5, v9, vcc
	s_waitcnt vmcnt(8)
	v_mfma_f32_4x4x4f16 a[0:3], v[72:73], v[36:37], a[0:3] cbsz:4 abid:7
	v_add_co_u32_e32 v6, vcc, v8, v67
	v_mfma_f32_4x4x4f16 a[0:3], v[74:75], v[38:39], a[0:3] cbsz:4 abid:7
	v_addc_co_u32_e32 v7, vcc, 0, v3, vcc
	;; [unrolled: 5-line block ×3, first 2 shown]
	s_waitcnt vmcnt(6)
	v_mfma_f32_4x4x4f16 a[0:3], v[72:73], v[44:45], a[0:3] cbsz:4 abid:9
	v_add_co_u32_e32 v26, vcc, v2, v67
	v_mfma_f32_4x4x4f16 a[0:3], v[74:75], v[46:47], a[0:3] cbsz:4 abid:9
	v_and_b32_e32 v64, -16, v64
	s_waitcnt vmcnt(5)
	v_mfma_f32_4x4x4f16 a[0:3], v[72:73], v[48:49], a[0:3] cbsz:4 abid:10
	v_addc_co_u32_e32 v27, vcc, 0, v5, vcc
	v_mfma_f32_4x4x4f16 a[0:3], v[74:75], v[50:51], a[0:3] cbsz:4 abid:10
	v_mov_b32_e32 v28, s3
	s_waitcnt vmcnt(4)
	v_mfma_f32_4x4x4f16 a[0:3], v[72:73], v[52:53], a[0:3] cbsz:4 abid:11
	global_load_dwordx4 v[22:25], v[6:7], off
	global_load_dwordx4 v[2:5], v[6:7], off offset:16
	v_mfma_f32_4x4x4f16 a[0:3], v[74:75], v[54:55], a[0:3] cbsz:4 abid:11
	global_load_dwordx4 v[34:37], v[6:7], off offset:2048
	global_load_dwordx4 v[38:41], v[6:7], off offset:2064
	s_waitcnt vmcnt(7)
	v_mfma_f32_4x4x4f16 a[0:3], v[72:73], v[56:57], a[0:3] cbsz:4 abid:12
	global_load_dwordx4 v[6:9], v[14:15], off
	global_load_dwordx4 v[10:13], v[14:15], off offset:16
	global_load_dwordx4 v[42:45], v[14:15], off offset:2048
	;; [unrolled: 1-line block ×3, first 2 shown]
	v_mfma_f32_4x4x4f16 a[0:3], v[74:75], v[58:59], a[0:3] cbsz:4 abid:12
	global_load_dwordx4 v[14:17], v[26:27], off
	global_load_dwordx4 v[18:21], v[26:27], off offset:16
	global_load_dwordx4 v[50:53], v[26:27], off offset:2048
	global_load_dwordx4 v[54:57], v[26:27], off offset:2064
	v_add_co_u32_e32 v26, vcc, s2, v64
	v_addc_co_u32_e32 v27, vcc, v28, v65, vcc
	s_waitcnt vmcnt(14)
	v_mfma_f32_4x4x4f16 a[0:3], v[72:73], v[60:61], a[0:3] cbsz:4 abid:13
	v_add_co_u32_e32 v68, vcc, v26, v67
	v_addc_co_u32_e32 v69, vcc, 0, v27, vcc
	v_mfma_f32_4x4x4f16 a[0:3], v[74:75], v[62:63], a[0:3] cbsz:4 abid:13
	global_load_dwordx4 v[26:29], v[68:69], off
	global_load_dwordx4 v[30:33], v[68:69], off offset:16
	global_load_dwordx4 v[58:61], v[68:69], off offset:2048
	;; [unrolled: 1-line block ×3, first 2 shown]
	s_waitcnt vmcnt(17)
	v_mfma_f32_4x4x4f16 a[0:3], v[72:73], v[76:77], a[0:3] cbsz:4 abid:14
	v_cmp_eq_u32_e32 vcc, 0, v71
	v_mfma_f32_4x4x4f16 a[0:3], v[74:75], v[78:79], a[0:3] cbsz:4 abid:14
	v_cndmask_b32_e64 v67, 0, 1.0, vcc
	s_waitcnt vmcnt(16)
	v_mfma_f32_4x4x4f16 a[0:3], v[72:73], v[80:81], a[0:3] cbsz:4 abid:15
	v_cmp_eq_u32_e32 vcc, 1, v71
	v_mfma_f32_4x4x4f16 a[0:3], v[74:75], v[82:83], a[0:3] cbsz:4 abid:15
	s_nop 4
	v_accvgpr_read_b32 v73, a1
	v_accvgpr_read_b32 v72, a0
	s_waitcnt lgkmcnt(0)
	v_pk_mul_f32 v[72:73], s[4:5], v[72:73] op_sel_hi:[0,1]
	v_accvgpr_read_b32 v69, a3
	v_accvgpr_read_b32 v68, a2
	v_pk_mul_f32 v[68:69], s[4:5], v[68:69] op_sel_hi:[0,1]
	v_mfma_f32_4x4x1f32 a[0:3], v72, v67, 0
	v_cndmask_b32_e64 v67, 0, 1.0, vcc
	v_cmp_eq_u32_e32 vcc, 2, v71
	s_nop 0
	v_mfma_f32_4x4x1f32 a[0:3], v73, v67, a[0:3]
	v_cndmask_b32_e64 v67, 0, 1.0, vcc
	v_cmp_eq_u32_e32 vcc, 3, v71
	v_mov_b32_e32 v73, 0xff7fffff
	v_mfma_f32_4x4x1f32 a[0:3], v68, v67, a[0:3]
	v_cndmask_b32_e64 v67, 0, 1.0, vcc
	v_lshlrev_b32_e32 v68, 2, v0
	v_and_or_b32 v68, v68, 48, v71
	v_mfma_f32_4x4x1f32 a[0:3], v69, v67, a[0:3]
	v_and_b32_e32 v67, -4, v66
	v_cmp_gt_i32_e32 vcc, s9, v67
	v_or_b32_e32 v66, 3, v66
	v_cmp_gt_i32_e64 s[10:11], s9, v66
	v_lshlrev_b32_e32 v76, 2, v68
	v_accvgpr_read_b32 v69, a0
	v_max_f32_e32 v72, v69, v69
	v_max_f32_e32 v72, 0xff7fffff, v72
	v_accvgpr_read_b32 v74, a1
	v_cndmask_b32_e32 v72, v73, v72, vcc
	v_or_b32_e32 v73, 1, v67
	v_max_f32_e32 v75, v74, v74
	v_max_f32_e32 v75, v72, v75
	v_cmp_gt_i32_e64 s[2:3], s9, v73
	v_accvgpr_read_b32 v73, a2
	v_cndmask_b32_e64 v72, v72, v75, s[2:3]
	v_or_b32_e32 v67, 2, v67
	v_max_f32_e32 v75, v73, v73
	v_max_f32_e32 v75, v72, v75
	v_cmp_gt_i32_e64 s[4:5], s9, v67
	v_cndmask_b32_e64 v67, v72, v75, s[4:5]
	v_accvgpr_read_b32 v75, a3
	v_max_f32_e32 v72, v75, v75
	v_max_f32_e32 v72, v67, v72
	v_cndmask_b32_e64 v66, v67, v72, s[10:11]
	;;#ASMSTART
	v_nop
 v_nop
 v_max_f32_dpp v66, v66, v66 row_ror:4
	;;#ASMEND
	;;#ASMSTART
	v_nop
 v_nop
 v_max_f32_dpp v66, v66, v66 row_ror:8
	;;#ASMEND
	ds_bpermute_b32 v66, v76, v66
	s_waitcnt lgkmcnt(0)
	;;#ASMSTART
	v_nop
 v_nop
 v_max_f32_dpp v66, v66, v66 row_ror:4
	;;#ASMEND
	;;#ASMSTART
	v_nop
 v_nop
 v_max_f32_dpp v72, v66, v66 row_ror:8
	;;#ASMEND
	v_sub_f32_e32 v66, v69, v72
	v_mul_f32_e32 v66, 0x3fb8aa3b, v66
	v_sub_f32_e32 v67, v74, v72
	v_exp_f32_e32 v66, v66
	v_mul_f32_e32 v67, 0x3fb8aa3b, v67
	v_sub_f32_e32 v69, v73, v72
	v_exp_f32_e32 v67, v67
	;; [unrolled: 3-line block ×3, first 2 shown]
	v_mul_f32_e32 v73, 0x3fb8aa3b, v73
	v_exp_f32_e32 v73, v73
	v_cndmask_b32_e32 v66, 0, v66, vcc
	v_add_f32_e32 v68, 0, v66
	v_cndmask_b32_e64 v67, 0, v67, s[2:3]
	v_add_f32_e32 v74, v68, v67
	v_cndmask_b32_e64 v68, 0, v69, s[4:5]
	;; [unrolled: 2-line block ×3, first 2 shown]
	v_add_f32_e32 v73, v74, v69
	;;#ASMSTART
	v_nop
 v_nop
 v_add_f32_dpp v73, v73, v73 row_ror:4
	;;#ASMEND
	;;#ASMSTART
	v_nop
 v_nop
 v_add_f32_dpp v73, v73, v73 row_ror:8
	;;#ASMEND
	ds_bpermute_b32 v73, v76, v73
	s_waitcnt lgkmcnt(0)
	;;#ASMSTART
	v_nop
 v_nop
 v_add_f32_dpp v73, v73, v73 row_ror:4
	;;#ASMEND
	v_cmp_gt_u32_e32 vcc, 4, v1
	;;#ASMSTART
	v_nop
 v_nop
 v_add_f32_dpp v73, v73, v73 row_ror:8
	;;#ASMEND
	s_and_saveexec_b64 s[2:3], vcc
	s_cbranch_execz .LBB135_12
; %bb.11:
	v_mul_u32_u24_e32 v74, 20, v70
	v_lshl_add_u32 v74, v71, 2, v74
	v_add_u32_e32 v74, 0x1400, v74
	ds_write2_b32 v74, v72, v73 offset1:20
.LBB135_12:
	s_or_b64 exec, exec, s[2:3]
.LBB135_13:
	s_or_b64 exec, exec, s[30:31]
	v_lshlrev_b32_e32 v73, 2, v71
	v_add_u32_e32 v80, 0x1400, v73
	s_waitcnt lgkmcnt(0)
	s_barrier
	s_load_dword s2, s[28:29], 0x8
	ds_read2_b32 v[74:75], v80 offset1:5
	ds_read2_b32 v[76:77], v80 offset0:10 offset1:15
	s_mov_b32 s10, 0xff7fffff
	s_mul_i32 s3, s6, s7
	ds_read2_b32 v[78:79], v80 offset0:20 offset1:25
	s_waitcnt lgkmcnt(0)
	v_max3_f32 v73, v74, s10, v75
	v_max3_f32 v73, v73, v76, v77
	v_sub_f32_e32 v74, v74, v73
	v_mul_f32_e32 v74, 0x3fb8aa3b, v74
	v_sub_f32_e32 v75, v75, v73
	s_mul_i32 s3, s3, s2
	v_exp_f32_e32 v74, v74
	v_mul_f32_e32 v75, 0x3fb8aa3b, v75
	v_sub_f32_e32 v76, v76, v73
	s_lshl_b32 s2, s3, 2
	s_mov_b32 s3, 0
	v_exp_f32_e32 v75, v75
	ds_read2_b32 v[80:81], v80 offset0:30 offset1:35
	v_mul_f32_e32 v76, 0x3fb8aa3b, v76
	v_sub_f32_e32 v77, v77, v73
	s_lshl_b32 s4, s8, 2
	s_lshl_b64 s[8:9], s[2:3], 2
	v_exp_f32_e32 v76, v76
	v_mul_f32_e32 v77, 0x3fb8aa3b, v77
	s_add_u32 s5, s12, s8
	v_exp_f32_e32 v77, v77
	s_addc_u32 s6, s13, s9
	v_fma_f32 v74, v74, v78, 0
	s_mov_b32 s25, s3
	s_add_u32 s10, s14, s8
	v_fmac_f32_e32 v74, v75, v79
	s_addc_u32 s11, s15, s9
	s_lshl_b64 s[8:9], s[24:25], 2
	s_waitcnt lgkmcnt(0)
	v_fmac_f32_e32 v74, v76, v80
	v_or_b32_e32 v71, s4, v71
	s_add_u32 s10, s10, s8
	v_fmac_f32_e32 v74, v77, v81
	v_mul_lo_u32 v76, s7, v71
	v_mov_b32_e32 v77, 0
	s_addc_u32 s11, s11, s9
	v_lshlrev_b64 v[76:77], 2, v[76:77]
	s_add_u32 s5, s5, s8
	v_mov_b32_e32 v71, s11
	v_add_co_u32_e32 v78, vcc, s10, v76
	s_addc_u32 s6, s6, s9
	v_addc_co_u32_e32 v79, vcc, v71, v77, vcc
	v_mov_b32_e32 v71, s6
	v_add_co_u32_e32 v76, vcc, s5, v76
	v_addc_co_u32_e32 v77, vcc, v71, v77, vcc
	v_lshlrev_b32_e32 v70, 3, v70
	global_store_dword v[78:79], v73, off
	global_store_dword v[76:77], v74, off
	s_and_saveexec_b64 s[8:9], s[0:1]
	s_xor_b64 s[0:1], exec, s[8:9]
	s_cbranch_execz .LBB135_15
; %bb.14:
	s_mov_b32 s8, s3
	s_mov_b32 s9, s3
	s_waitcnt vmcnt(16)
	v_mad_u32_u24 v4, v1, 40, v70
	v_pk_mov_b32 v[2:3], s[8:9], s[8:9] op_sel:[0,1]
	ds_write2st64_b64 v4, v[2:3], v[2:3] offset1:5
                                        ; implicit-def: $vgpr69
                                        ; implicit-def: $vgpr67
                                        ; implicit-def: $vgpr23
                                        ; implicit-def: $vgpr3
                                        ; implicit-def: $vgpr7
                                        ; implicit-def: $vgpr11
                                        ; implicit-def: $vgpr15
                                        ; implicit-def: $vgpr19
                                        ; implicit-def: $vgpr27
                                        ; implicit-def: $vgpr31
                                        ; implicit-def: $vgpr35
                                        ; implicit-def: $vgpr39
                                        ; implicit-def: $vgpr43
                                        ; implicit-def: $vgpr47
                                        ; implicit-def: $vgpr51
                                        ; implicit-def: $vgpr55
                                        ; implicit-def: $vgpr59
                                        ; implicit-def: $vgpr63
                                        ; implicit-def: $vgpr72
                                        ; implicit-def: $vgpr73
                                        ; implicit-def: $vgpr74
                                        ; implicit-def: $vgpr70
.LBB135_15:
	s_andn2_saveexec_b64 s[0:1], s[0:1]
	s_cbranch_execz .LBB135_17
; %bb.16:
	v_add_f32_e32 v71, 0x358637bd, v74
	v_div_scale_f32 v74, s[8:9], v71, v71, 1.0
	v_rcp_f32_e32 v75, v74
	v_sub_f32_e32 v72, v72, v73
	v_mul_f32_e32 v72, 0x3fb8aa3b, v72
	v_exp_f32_e32 v72, v72
	v_fma_f32 v73, -v74, v75, 1.0
	v_fmac_f32_e32 v75, v73, v75
	v_div_scale_f32 v73, vcc, 1.0, v71, 1.0
	v_mul_f32_e32 v76, v73, v75
	v_fma_f32 v77, -v74, v76, v73
	v_fmac_f32_e32 v76, v77, v75
	v_fma_f32 v73, -v74, v76, v73
	v_div_fmas_f32 v73, v73, v75, v76
	v_div_fixup_f32 v71, v73, v71, 1.0
	v_mul_f32_e32 v72, v72, v71
	v_pk_mul_f32 v[68:69], v[68:69], v[72:73] op_sel_hi:[1,0]
	v_pk_mul_f32 v[66:67], v[66:67], v[72:73] op_sel_hi:[1,0]
	v_cvt_f16_f32_e32 v66, v66
	v_cvt_f16_f32_e32 v67, v67
	;; [unrolled: 1-line block ×4, first 2 shown]
	v_pack_b32_f16 v66, v66, v67
	v_pack_b32_f16 v67, v68, v69
	s_waitcnt vmcnt(17)
	s_nop 0
	v_mfma_f32_4x4x4f16 a[0:3], v[66:67], v[22:23], 0 cbsz:4
	v_mfma_f32_4x4x4f16 a[0:3], v[66:67], v[24:25], a[0:3] cbsz:4 abid:1
	s_waitcnt vmcnt(16)
	v_mfma_f32_4x4x4f16 a[0:3], v[66:67], v[2:3], a[0:3] cbsz:4 abid:2
	s_waitcnt vmcnt(15)
	v_mfma_f32_4x4x4f16 a[4:7], v[66:67], v[34:35], 0 cbsz:4
	v_mfma_f32_4x4x4f16 a[0:3], v[66:67], v[4:5], a[0:3] cbsz:4 abid:3
	v_mfma_f32_4x4x4f16 a[4:7], v[66:67], v[36:37], a[4:7] cbsz:4 abid:1
	s_waitcnt vmcnt(13)
	v_mfma_f32_4x4x4f16 a[0:3], v[66:67], v[6:7], a[0:3] cbsz:4 abid:4
	v_mfma_f32_4x4x4f16 a[4:7], v[66:67], v[38:39], a[4:7] cbsz:4 abid:2
	;; [unrolled: 1-line block ×3, first 2 shown]
	v_mad_u32_u24 v9, v1, 40, v70
	v_mfma_f32_4x4x4f16 a[4:7], v[66:67], v[40:41], a[4:7] cbsz:4 abid:3
	s_waitcnt vmcnt(12)
	v_mfma_f32_4x4x4f16 a[0:3], v[66:67], v[10:11], a[0:3] cbsz:4 abid:6
	s_waitcnt vmcnt(11)
	v_mfma_f32_4x4x4f16 a[4:7], v[66:67], v[42:43], a[4:7] cbsz:4 abid:4
	v_mfma_f32_4x4x4f16 a[0:3], v[66:67], v[12:13], a[0:3] cbsz:4 abid:7
	;; [unrolled: 1-line block ×3, first 2 shown]
	s_waitcnt vmcnt(9)
	v_mfma_f32_4x4x4f16 a[0:3], v[66:67], v[14:15], a[0:3] cbsz:4 abid:8
	v_mfma_f32_4x4x4f16 a[4:7], v[66:67], v[46:47], a[4:7] cbsz:4 abid:6
	;; [unrolled: 1-line block ×4, first 2 shown]
	s_waitcnt vmcnt(8)
	v_mfma_f32_4x4x4f16 a[0:3], v[66:67], v[18:19], a[0:3] cbsz:4 abid:10
	s_waitcnt vmcnt(7)
	v_mfma_f32_4x4x4f16 a[4:7], v[66:67], v[50:51], a[4:7] cbsz:4 abid:8
	v_mfma_f32_4x4x4f16 a[0:3], v[66:67], v[20:21], a[0:3] cbsz:4 abid:11
	;; [unrolled: 1-line block ×3, first 2 shown]
	s_waitcnt vmcnt(5)
	v_mfma_f32_4x4x4f16 a[0:3], v[66:67], v[26:27], a[0:3] cbsz:4 abid:12
	v_mfma_f32_4x4x4f16 a[4:7], v[66:67], v[54:55], a[4:7] cbsz:4 abid:10
	;; [unrolled: 1-line block ×4, first 2 shown]
	s_waitcnt vmcnt(4)
	v_mfma_f32_4x4x4f16 a[0:3], v[66:67], v[30:31], a[0:3] cbsz:4 abid:14
	v_mfma_f32_4x4x4f16 a[0:3], v[66:67], v[32:33], a[0:3] cbsz:4 abid:15
	s_waitcnt vmcnt(3)
	v_mfma_f32_4x4x4f16 a[4:7], v[66:67], v[58:59], a[4:7] cbsz:4 abid:12
	s_nop 2
	v_accvgpr_read_b32 v2, a0
	v_accvgpr_read_b32 v3, a1
	;; [unrolled: 1-line block ×4, first 2 shown]
	v_mfma_f32_4x4x4f16 a[0:3], v[66:67], v[60:61], a[4:7] cbsz:4 abid:13
	v_cvt_f16_f32_e32 v2, v2
	v_cvt_f16_f32_e32 v3, v3
	s_waitcnt vmcnt(2)
	v_mfma_f32_4x4x4f16 a[0:3], v[66:67], v[62:63], a[0:3] cbsz:4 abid:14
	v_pack_b32_f16 v2, v2, v3
	v_mfma_f32_4x4x4f16 a[0:3], v[66:67], v[64:65], a[0:3] cbsz:4 abid:15
	v_cvt_f16_f32_e32 v3, v4
	v_cvt_f16_f32_e32 v4, v5
	v_pack_b32_f16 v3, v3, v4
	s_nop 1
	v_accvgpr_read_b32 v5, a0
	v_accvgpr_read_b32 v6, a1
	;; [unrolled: 1-line block ×4, first 2 shown]
	v_cvt_f16_f32_e32 v5, v5
	v_cvt_f16_f32_e32 v6, v6
	;; [unrolled: 1-line block ×4, first 2 shown]
	v_pack_b32_f16 v4, v5, v6
	v_pack_b32_f16 v5, v7, v8
	ds_write2st64_b64 v9, v[2:3], v[4:5] offset1:5
.LBB135_17:
	s_or_b64 exec, exec, s[0:1]
	v_cmp_gt_u32_e32 vcc, 64, v0
	s_waitcnt lgkmcnt(0)
	s_barrier
	s_and_saveexec_b64 s[0:1], vcc
	s_cbranch_execz .LBB135_19
; %bb.18:
	s_waitcnt vmcnt(13)
	v_mul_u32_u24_e32 v6, 40, v1
	ds_read2_b64 v[2:5], v6 offset1:1
	ds_read2_b64 v[6:9], v6 offset0:2 offset1:3
	s_mov_b32 s1, 0
	s_lshl_b32 s0, s2, 7
	s_lshl_b64 s[2:3], s[0:1], 1
	s_waitcnt lgkmcnt(1)
	v_pk_add_f16 v2, v2, 0
	v_pk_add_f16 v2, v2, v4
	;; [unrolled: 1-line block ×3, first 2 shown]
	s_waitcnt lgkmcnt(0)
	v_pk_add_f16 v2, v2, v6
	v_pk_add_f16 v3, v3, v5
	s_waitcnt vmcnt(12)
	v_pk_add_f16 v10, v2, v8
	v_mov_b32_e32 v2, 0xa00
	v_pk_add_f16 v6, v3, v7
	v_mad_u32_u24 v2, v1, 40, v2
	ds_read2_b64 v[2:5], v2 offset1:1
	v_pk_add_f16 v11, v6, v9
	v_mov_b32_e32 v6, 0xa10
	v_mad_u32_u24 v1, v1, 40, v6
	ds_read2_b64 v[6:9], v1 offset1:1
	s_add_u32 s2, s26, s2
	s_addc_u32 s3, s27, s3
	s_lshl_b32 s0, s24, 7
	s_lshl_b64 s[0:1], s[0:1], 1
	s_waitcnt lgkmcnt(1)
	v_pk_add_f16 v1, v2, 0
	v_pk_add_f16 v2, v3, 0
	s_add_u32 s0, s2, s0
	v_pk_add_f16 v2, v2, v5
	s_addc_u32 s1, s3, s1
	s_lshl_b32 s2, s7, 7
	s_waitcnt lgkmcnt(0)
	v_pk_add_f16 v2, v2, v7
	s_mul_i32 s3, s2, s4
	v_pk_add_f16 v1, v1, v4
	v_pk_add_f16 v13, v2, v9
	v_or_b32_e32 v2, s3, v0
	v_mov_b32_e32 v3, 0
	v_pk_add_f16 v1, v1, v6
	v_lshlrev_b64 v[4:5], 1, v[2:3]
	s_add_i32 s3, s3, s2
	v_pk_add_f16 v12, v1, v8
	v_mov_b32_e32 v1, s1
	v_add_co_u32_e32 v4, vcc, s0, v4
	v_or_b32_e32 v2, s3, v0
	v_addc_co_u32_e32 v5, vcc, v1, v5, vcc
	v_lshlrev_b64 v[6:7], 1, v[2:3]
	s_add_i32 s3, s3, s2
	v_add_co_u32_e32 v6, vcc, s0, v6
	v_or_b32_e32 v2, s3, v0
	v_addc_co_u32_e32 v7, vcc, v1, v7, vcc
	v_lshlrev_b64 v[8:9], 1, v[2:3]
	s_add_i32 s3, s3, s2
	v_add_co_u32_e32 v8, vcc, s0, v8
	v_or_b32_e32 v2, s3, v0
	v_addc_co_u32_e32 v9, vcc, v1, v9, vcc
	v_lshlrev_b64 v[0:1], 1, v[2:3]
	v_mov_b32_e32 v2, s1
	v_add_co_u32_e32 v0, vcc, s0, v0
	v_addc_co_u32_e32 v1, vcc, v2, v1, vcc
	global_store_short v[4:5], v10, off
	global_store_short_d16_hi v[6:7], v10, off
	global_store_short v[8:9], v11, off
	global_store_short_d16_hi v[0:1], v11, off
	global_store_short v[4:5], v12, off offset:128
	global_store_short_d16_hi v[6:7], v12, off offset:128
	global_store_short v[8:9], v13, off offset:128
	global_store_short_d16_hi v[0:1], v13, off offset:128
.LBB135_19:
	s_endpgm
.LBB135_20:
	s_mov_b64 s[2:3], 0
                                        ; implicit-def: $sgpr34_sgpr35
	s_branch .LBB135_2
	.section	.rodata,"a",@progbits
	.p2align	6, 0x0
	.amdhsa_kernel _Z38paged_attention_ll4mi_QKV_mfma4_kernelIDF16_DF16_LN4vllm18Fp8KVCacheDataTypeE0EDF16_Li16ELi128ELi256ELb0ELi4EEvPKT_PKT0_S7_ifPKiS9_S9_iPKfiiiPfSC_PS2_PT2_iSB_SB_
		.amdhsa_group_segment_fixed_size 5280
		.amdhsa_private_segment_fixed_size 0
		.amdhsa_kernarg_size 400
		.amdhsa_user_sgpr_count 6
		.amdhsa_user_sgpr_private_segment_buffer 1
		.amdhsa_user_sgpr_dispatch_ptr 0
		.amdhsa_user_sgpr_queue_ptr 0
		.amdhsa_user_sgpr_kernarg_segment_ptr 1
		.amdhsa_user_sgpr_dispatch_id 0
		.amdhsa_user_sgpr_flat_scratch_init 0
		.amdhsa_user_sgpr_kernarg_preload_length 0
		.amdhsa_user_sgpr_kernarg_preload_offset 0
		.amdhsa_user_sgpr_private_segment_size 0
		.amdhsa_uses_dynamic_stack 0
		.amdhsa_system_sgpr_private_segment_wavefront_offset 0
		.amdhsa_system_sgpr_workgroup_id_x 1
		.amdhsa_system_sgpr_workgroup_id_y 1
		.amdhsa_system_sgpr_workgroup_id_z 1
		.amdhsa_system_sgpr_workgroup_info 0
		.amdhsa_system_vgpr_workitem_id 0
		.amdhsa_next_free_vgpr 92
		.amdhsa_next_free_sgpr 38
		.amdhsa_accum_offset 84
		.amdhsa_reserve_vcc 1
		.amdhsa_reserve_flat_scratch 0
		.amdhsa_float_round_mode_32 0
		.amdhsa_float_round_mode_16_64 0
		.amdhsa_float_denorm_mode_32 3
		.amdhsa_float_denorm_mode_16_64 3
		.amdhsa_dx10_clamp 1
		.amdhsa_ieee_mode 1
		.amdhsa_fp16_overflow 0
		.amdhsa_tg_split 0
		.amdhsa_exception_fp_ieee_invalid_op 0
		.amdhsa_exception_fp_denorm_src 0
		.amdhsa_exception_fp_ieee_div_zero 0
		.amdhsa_exception_fp_ieee_overflow 0
		.amdhsa_exception_fp_ieee_underflow 0
		.amdhsa_exception_fp_ieee_inexact 0
		.amdhsa_exception_int_div_zero 0
	.end_amdhsa_kernel
	.section	.text._Z38paged_attention_ll4mi_QKV_mfma4_kernelIDF16_DF16_LN4vllm18Fp8KVCacheDataTypeE0EDF16_Li16ELi128ELi256ELb0ELi4EEvPKT_PKT0_S7_ifPKiS9_S9_iPKfiiiPfSC_PS2_PT2_iSB_SB_,"axG",@progbits,_Z38paged_attention_ll4mi_QKV_mfma4_kernelIDF16_DF16_LN4vllm18Fp8KVCacheDataTypeE0EDF16_Li16ELi128ELi256ELb0ELi4EEvPKT_PKT0_S7_ifPKiS9_S9_iPKfiiiPfSC_PS2_PT2_iSB_SB_,comdat
.Lfunc_end135:
	.size	_Z38paged_attention_ll4mi_QKV_mfma4_kernelIDF16_DF16_LN4vllm18Fp8KVCacheDataTypeE0EDF16_Li16ELi128ELi256ELb0ELi4EEvPKT_PKT0_S7_ifPKiS9_S9_iPKfiiiPfSC_PS2_PT2_iSB_SB_, .Lfunc_end135-_Z38paged_attention_ll4mi_QKV_mfma4_kernelIDF16_DF16_LN4vllm18Fp8KVCacheDataTypeE0EDF16_Li16ELi128ELi256ELb0ELi4EEvPKT_PKT0_S7_ifPKiS9_S9_iPKfiiiPfSC_PS2_PT2_iSB_SB_
                                        ; -- End function
	.section	.AMDGPU.csdata,"",@progbits
; Kernel info:
; codeLenInByte = 3888
; NumSgprs: 42
; NumVgprs: 84
; NumAgprs: 8
; TotalNumVgprs: 92
; ScratchSize: 0
; MemoryBound: 0
; FloatMode: 240
; IeeeMode: 1
; LDSByteSize: 5280 bytes/workgroup (compile time only)
; SGPRBlocks: 5
; VGPRBlocks: 11
; NumSGPRsForWavesPerEU: 42
; NumVGPRsForWavesPerEU: 92
; AccumOffset: 84
; Occupancy: 5
; WaveLimiterHint : 1
; COMPUTE_PGM_RSRC2:SCRATCH_EN: 0
; COMPUTE_PGM_RSRC2:USER_SGPR: 6
; COMPUTE_PGM_RSRC2:TRAP_HANDLER: 0
; COMPUTE_PGM_RSRC2:TGID_X_EN: 1
; COMPUTE_PGM_RSRC2:TGID_Y_EN: 1
; COMPUTE_PGM_RSRC2:TGID_Z_EN: 1
; COMPUTE_PGM_RSRC2:TIDIG_COMP_CNT: 0
; COMPUTE_PGM_RSRC3_GFX90A:ACCUM_OFFSET: 20
; COMPUTE_PGM_RSRC3_GFX90A:TG_SPLIT: 0
	.section	.text._Z39paged_attention_ll4mi_QKV_mfma16_kernelIDF16_DF16_LN4vllm18Fp8KVCacheDataTypeE0EDF16_Li16ELi128ELi256ELb0ELi5EL8MFMAType0EEvPKT_PKT0_S8_ifPKiSA_SA_iPKfiiiPfSD_PS3_PT2_iSC_SC_,"axG",@progbits,_Z39paged_attention_ll4mi_QKV_mfma16_kernelIDF16_DF16_LN4vllm18Fp8KVCacheDataTypeE0EDF16_Li16ELi128ELi256ELb0ELi5EL8MFMAType0EEvPKT_PKT0_S8_ifPKiSA_SA_iPKfiiiPfSD_PS3_PT2_iSC_SC_,comdat
	.protected	_Z39paged_attention_ll4mi_QKV_mfma16_kernelIDF16_DF16_LN4vllm18Fp8KVCacheDataTypeE0EDF16_Li16ELi128ELi256ELb0ELi5EL8MFMAType0EEvPKT_PKT0_S8_ifPKiSA_SA_iPKfiiiPfSD_PS3_PT2_iSC_SC_ ; -- Begin function _Z39paged_attention_ll4mi_QKV_mfma16_kernelIDF16_DF16_LN4vllm18Fp8KVCacheDataTypeE0EDF16_Li16ELi128ELi256ELb0ELi5EL8MFMAType0EEvPKT_PKT0_S8_ifPKiSA_SA_iPKfiiiPfSD_PS3_PT2_iSC_SC_
	.globl	_Z39paged_attention_ll4mi_QKV_mfma16_kernelIDF16_DF16_LN4vllm18Fp8KVCacheDataTypeE0EDF16_Li16ELi128ELi256ELb0ELi5EL8MFMAType0EEvPKT_PKT0_S8_ifPKiSA_SA_iPKfiiiPfSD_PS3_PT2_iSC_SC_
	.p2align	8
	.type	_Z39paged_attention_ll4mi_QKV_mfma16_kernelIDF16_DF16_LN4vllm18Fp8KVCacheDataTypeE0EDF16_Li16ELi128ELi256ELb0ELi5EL8MFMAType0EEvPKT_PKT0_S8_ifPKiSA_SA_iPKfiiiPfSD_PS3_PT2_iSC_SC_,@function
_Z39paged_attention_ll4mi_QKV_mfma16_kernelIDF16_DF16_LN4vllm18Fp8KVCacheDataTypeE0EDF16_Li16ELi128ELi256ELb0ELi5EL8MFMAType0EEvPKT_PKT0_S8_ifPKiSA_SA_iPKfiiiPfSD_PS3_PT2_iSC_SC_: ; @_Z39paged_attention_ll4mi_QKV_mfma16_kernelIDF16_DF16_LN4vllm18Fp8KVCacheDataTypeE0EDF16_Li16ELi128ELi256ELb0ELi5EL8MFMAType0EEvPKT_PKT0_S8_ifPKiSA_SA_iPKfiiiPfSD_PS3_PT2_iSC_SC_
; %bb.0:
	s_mov_b64 s[46:47], s[2:3]
	s_mov_b64 s[44:45], s[0:1]
	s_load_dwordx2 s[0:1], s[4:5], 0x30
	s_add_u32 s44, s44, s9
	s_addc_u32 s45, s45, 0
	s_mov_b32 s26, s7
	s_mov_b64 s[10:11], 0
	s_waitcnt lgkmcnt(0)
	s_cmp_lg_u64 s[0:1], 0
	s_cselect_b64 s[2:3], -1, 0
	s_and_b64 vcc, exec, s[2:3]
	s_cbranch_vccz .LBB136_7
; %bb.1:
	s_add_i32 s12, s6, 1
	s_mov_b32 s13, 0
	s_lshl_b64 s[14:15], s[12:13], 2
	s_add_u32 s14, s0, s14
	s_mov_b32 s7, s13
	s_addc_u32 s15, s1, s15
	s_lshl_b64 s[12:13], s[6:7], 2
	s_add_u32 s12, s0, s12
	s_addc_u32 s13, s1, s13
	s_load_dword s9, s[14:15], 0x0
	s_load_dword s16, s[12:13], 0x0
	s_waitcnt lgkmcnt(0)
	s_sub_i32 s9, s9, s16
	s_cmp_eq_u32 s9, 1
	s_cselect_b64 s[12:13], -1, 0
	s_andn2_b64 vcc, exec, s[10:11]
	s_cbranch_vccnz .LBB136_3
.LBB136_2:
	s_mov_b32 s7, 0
	s_mov_b64 s[12:13], -1
.LBB136_3:
	s_andn2_b64 vcc, exec, s[12:13]
	s_cbranch_vccnz .LBB136_18
; %bb.4:
	s_load_dwordx2 s[12:13], s[4:5], 0x28
	s_lshl_b64 s[10:11], s[6:7], 2
	s_waitcnt lgkmcnt(0)
	s_add_u32 s12, s12, s10
	s_addc_u32 s13, s13, s11
	s_load_dword s38, s[12:13], 0x0
	s_lshl_b32 s9, s26, 8
	s_waitcnt lgkmcnt(0)
	s_cmp_ge_i32 s9, s38
	s_cbranch_scc1 .LBB136_18
; %bb.5:
	s_add_i32 s15, s38, 15
	s_load_dwordx2 s[12:13], s[4:5], 0x20
	s_load_dword s14, s[4:5], 0x38
	s_ashr_i32 s16, s15, 31
	v_and_b32_e32 v1, 0xcf, v0
	s_lshr_b32 s16, s16, 28
	v_add_u32_e32 v1, s9, v1
	s_add_i32 s15, s15, s16
	v_ashrrev_i32_e32 v2, 31, v1
	s_ashr_i32 s18, s15, 4
	v_lshrrev_b32_e32 v6, 28, v2
	s_add_i32 s18, s18, -1
	v_add_u32_e32 v2, v1, v6
	s_waitcnt lgkmcnt(0)
	s_mul_i32 s14, s6, s14
	s_mov_b32 s15, 0
	v_ashrrev_i32_e32 v2, 4, v2
	v_mov_b32_e32 v7, s18
	v_cmp_gt_i32_e32 vcc, s38, v1
	s_lshl_b64 s[14:15], s[14:15], 2
	v_cndmask_b32_e32 v2, v7, v2, vcc
	s_add_u32 s16, s12, s14
	v_ashrrev_i32_e32 v3, 31, v2
	s_addc_u32 s17, s13, s15
	v_lshlrev_b64 v[2:3], 2, v[2:3]
	v_mov_b32_e32 v5, s17
	v_add_co_u32_e32 v4, vcc, s16, v2
	v_or_b32_e32 v2, 16, v1
	v_addc_co_u32_e32 v5, vcc, v5, v3, vcc
	v_add_u32_e32 v3, v2, v6
	v_ashrrev_i32_e32 v3, 4, v3
	v_cmp_gt_i32_e32 vcc, s38, v2
	v_cndmask_b32_e32 v2, v7, v3, vcc
	v_ashrrev_i32_e32 v3, 31, v2
	v_lshlrev_b64 v[2:3], 2, v[2:3]
	v_mov_b32_e32 v9, s17
	v_add_co_u32_e32 v8, vcc, s16, v2
	v_or_b32_e32 v2, 32, v1
	v_addc_co_u32_e32 v9, vcc, v9, v3, vcc
	v_add_u32_e32 v3, v2, v6
	v_ashrrev_i32_e32 v3, 4, v3
	v_cmp_gt_i32_e32 vcc, s38, v2
	v_cndmask_b32_e32 v2, v7, v3, vcc
	v_ashrrev_i32_e32 v3, 31, v2
	;; [unrolled: 10-line block ×3, first 2 shown]
	v_lshlrev_b64 v[2:3], 2, v[2:3]
	v_mov_b32_e32 v1, s17
	v_add_co_u32_e32 v12, vcc, s16, v2
	v_addc_co_u32_e32 v13, vcc, v1, v3, vcc
	global_load_dword v3, v[4:5], off
	global_load_dword v2, v[8:9], off
	;; [unrolled: 1-line block ×4, first 2 shown]
	s_load_dwordx4 s[12:15], s[4:5], 0x8
	s_andn2_b64 vcc, exec, s[2:3]
	s_cbranch_vccnz .LBB136_8
; %bb.6:
	s_add_u32 s0, s0, s10
	s_addc_u32 s1, s1, s11
	s_load_dword s19, s[0:1], 0x0
	s_branch .LBB136_9
.LBB136_7:
	s_mov_b64 s[12:13], 0
	s_branch .LBB136_2
.LBB136_8:
	s_mov_b32 s19, s6
.LBB136_9:
	s_load_dwordx4 s[0:3], s[4:5], 0x48
	v_lshrrev_b32_e32 v85, 6, v0
	v_bfe_u32 v1, v0, 4, 2
	v_and_b32_e32 v83, 15, v0
	v_lshl_or_b32 v4, v85, 2, v1
	v_lshlrev_b32_e32 v5, 3, v83
	v_and_b32_e32 v86, 63, v0
	s_mul_i32 s27, s8, 5
	v_cmp_gt_u32_e32 vcc, 5, v4
	v_lshlrev_b32_e32 v5, 1, v5
	buffer_store_dword v5, off, s[44:47], 0 ; 4-byte Folded Spill
	s_and_saveexec_b64 s[10:11], vcc
	s_cbranch_execz .LBB136_11
; %bb.10:
	s_load_dwordx2 s[20:21], s[4:5], 0x0
	s_waitcnt lgkmcnt(0)
	s_ashr_i32 s3, s0, 31
	s_mul_hi_u32 s22, s19, s0
	s_mul_i32 s3, s19, s3
	s_add_i32 s23, s22, s3
	s_mul_i32 s22, s19, s0
	v_add_lshl_u32 v8, v4, s27, 7
	s_lshl_b64 s[22:23], s[22:23], 1
	v_ashrrev_i32_e32 v9, 31, v8
	s_add_u32 s0, s20, s22
	v_lshlrev_b64 v[8:9], 1, v[8:9]
	v_add_co_u32_e32 v7, vcc, s0, v8
	buffer_load_dword v8, off, s[44:47], 0  ; 4-byte Folded Reload
	s_addc_u32 s3, s21, s23
	v_mov_b32_e32 v5, s3
	v_addc_co_u32_e32 v5, vcc, v5, v9, vcc
	v_lshlrev_b32_e32 v4, 5, v4
	s_waitcnt vmcnt(0)
	v_add_co_u32_e32 v8, vcc, v7, v8
	v_addc_co_u32_e32 v9, vcc, 0, v5, vcc
	global_load_dwordx4 v[8:11], v[8:9], off
	v_and_b32_e32 v5, 3, v0
	v_lshlrev_b32_e32 v7, 9, v83
	v_lshlrev_b32_e32 v5, 9, v5
	v_and_b32_e32 v7, 0x1800, v7
	v_or3_b32 v4, v7, v5, v4
	s_waitcnt vmcnt(0)
	ds_write_b128 v4, v[8:11]
.LBB136_11:
	s_or_b64 exec, exec, s[10:11]
	s_waitcnt lgkmcnt(0)
	s_mul_i32 s2, s8, s2
	s_mov_b32 s3, 0
	s_lshl_b64 s[2:3], s[2:3], 1
	s_add_u32 s8, s12, s2
	v_lshlrev_b32_e32 v7, 4, v0
	s_addc_u32 s10, s13, s3
	v_and_b32_e32 v4, 0xf0, v7
	v_mov_b32_e32 v5, s10
	v_add_co_u32_e32 v29, vcc, s8, v4
	v_addc_co_u32_e32 v30, vcc, 0, v5, vcc
	s_waitcnt vmcnt(4)
	v_mad_i64_i32 v[4:5], s[10:11], v3, s1, 0
	v_lshlrev_b64 v[4:5], 1, v[4:5]
	v_add_co_u32_e32 v3, vcc, v29, v4
	v_addc_co_u32_e32 v4, vcc, v30, v5, vcc
	v_and_b32_e32 v31, 0x300, v7
	v_add_co_u32_e32 v22, vcc, v3, v31
	v_addc_co_u32_e32 v23, vcc, 0, v4, vcc
	s_load_dword s33, s[4:5], 0x98
	s_load_dword s0, s[4:5], 0x1c
	s_waitcnt lgkmcnt(0)
	s_barrier
	global_load_dwordx4 v[10:13], v[22:23], off
	global_load_dwordx4 v[18:21], v[22:23], off offset:1024
	s_waitcnt vmcnt(5)
	v_mad_i64_i32 v[2:3], s[10:11], v2, s1, 0
	v_lshlrev_b64 v[2:3], 1, v[2:3]
	v_add_co_u32_e32 v2, vcc, v29, v2
	v_addc_co_u32_e32 v3, vcc, v30, v3, vcc
	v_add_co_u32_e32 v24, vcc, v2, v31
	v_addc_co_u32_e32 v25, vcc, 0, v3, vcc
	global_load_dwordx4 v[14:17], v[24:25], off
	global_load_dwordx4 v[38:41], v[24:25], off offset:1024
	v_mul_lo_u16_e32 v2, 52, v83
	v_mov_b32_e32 v3, 5
	v_mul_lo_u16_sdwa v2, v2, v3 dst_sel:DWORD dst_unused:UNUSED_PAD src0_sel:BYTE_1 src1_sel:DWORD
	v_sub_u16_e32 v2, v83, v2
	v_lshlrev_b32_sdwa v2, v3, v2 dst_sel:DWORD dst_unused:UNUSED_PAD src0_sel:DWORD src1_sel:BYTE_0
	v_lshl_add_u32 v32, v1, 9, v2
	ds_read_b128 v[2:5], v32
	s_waitcnt vmcnt(6)
	v_mad_i64_i32 v[6:7], s[10:11], v6, s1, 0
	v_lshlrev_b64 v[26:27], 1, v[6:7]
	ds_read_b128 v[6:9], v32 offset:2048
	v_and_or_b32 v62, v0, 48, s9
	v_mov_b32_e32 v63, s18
	v_mov_b32_e32 v68, s17
	s_add_u32 s8, s14, s2
	v_lshl_or_b32 v87, v85, 4, v83
	v_lshlrev_b32_e32 v76, 5, v87
	s_mov_b32 s40, 0xff7fffff
	s_waitcnt vmcnt(3) lgkmcnt(1)
	v_mfma_f32_16x16x16f16 v[34:37], v[10:11], v[2:3], 0
	v_add_co_u32_e32 v10, vcc, v29, v26
	v_addc_co_u32_e32 v11, vcc, v30, v27, vcc
	v_add_co_u32_e32 v26, vcc, v10, v31
	v_addc_co_u32_e32 v27, vcc, 0, v11, vcc
	global_load_dwordx4 v[46:49], v[26:27], off
	global_load_dwordx4 v[58:61], v[26:27], off offset:1024
	s_waitcnt vmcnt(3)
	v_mfma_f32_16x16x16f16 v[42:45], v[14:15], v[2:3], 0
	v_cmp_gt_i32_e32 vcc, s38, v62
	v_mfma_f32_16x16x16f16 v[14:17], v[16:17], v[4:5], v[42:45]
	s_nop 7
	s_nop 0
	global_load_dwordx4 v[42:45], v[22:23], off offset:2048
	v_mfma_f32_16x16x16f16 v[10:13], v[12:13], v[4:5], v[34:37]
	s_waitcnt vmcnt(3) lgkmcnt(0)
	v_mfma_f32_16x16x16f16 v[14:17], v[38:39], v[6:7], v[14:17]
	v_mfma_f32_16x16x16f16 v[10:13], v[18:19], v[6:7], v[10:13]
	;; [unrolled: 1-line block ×3, first 2 shown]
	global_load_dwordx4 v[38:41], v[22:23], off offset:3072
	v_mfma_f32_16x16x16f16 v[18:21], v[20:21], v[8:9], v[10:13]
	s_waitcnt vmcnt(3)
	v_mfma_f32_16x16x16f16 v[50:53], v[46:47], v[2:3], 0
	v_mfma_f32_16x16x16f16 v[34:37], v[48:49], v[4:5], v[50:53]
	global_load_dwordx4 v[46:49], v[24:25], off offset:2048
	s_nop 3
	ds_read_b128 v[10:13], v32 offset:4096
	s_nop 3
	ds_read_b128 v[50:53], v32 offset:6144
	global_load_dwordx4 v[22:25], v[24:25], off offset:3072
	v_mad_i64_i32 v[32:33], s[10:11], v28, s1, 0
	v_mov_b32_e32 v28, s17
	s_addc_u32 s10, s15, s3
	s_waitcnt vmcnt(3) lgkmcnt(1)
	v_mfma_f32_16x16x16f16 v[18:21], v[42:43], v[10:11], v[18:21]
	v_mfma_f32_16x16x16f16 v[18:21], v[44:45], v[12:13], v[18:21]
	global_load_dwordx4 v[42:45], v[26:27], off offset:2048
	s_waitcnt vmcnt(3) lgkmcnt(0)
	v_mfma_f32_16x16x16f16 v[18:21], v[38:39], v[50:51], v[18:21]
	v_or_b32_e32 v38, 64, v62
	v_ashrrev_i32_e32 v39, 4, v38
	v_mfma_f32_16x16x16f16 v[54:57], v[40:41], v[52:53], v[18:21]
	s_waitcnt vmcnt(2)
	v_mfma_f32_16x16x16f16 v[14:17], v[46:47], v[10:11], v[14:17]
	v_mfma_f32_16x16x16f16 v[14:17], v[48:49], v[12:13], v[14:17]
	global_load_dwordx4 v[46:49], v[26:27], off offset:3072
	v_lshlrev_b64 v[26:27], 1, v[32:33]
	v_ashrrev_i32_e32 v32, 4, v62
	v_cndmask_b32_e32 v32, v63, v32, vcc
	v_ashrrev_i32_e32 v33, 31, v32
	v_cmp_gt_i32_e32 vcc, s38, v38
	v_cndmask_b32_e32 v38, v63, v39, vcc
	s_waitcnt vmcnt(2)
	v_mfma_f32_16x16x16f16 v[14:17], v[22:23], v[50:51], v[14:17]
	v_lshlrev_b64 v[22:23], 2, v[32:33]
	v_add_co_u32_e32 v22, vcc, s16, v22
	v_addc_co_u32_e32 v23, vcc, v28, v23, vcc
	v_add_co_u32_e32 v18, vcc, v29, v26
	v_addc_co_u32_e32 v19, vcc, v30, v27, vcc
	;; [unrolled: 2-line block ×3, first 2 shown]
	v_mfma_f32_16x16x16f16 v[64:67], v[24:25], v[52:53], v[14:17]
	global_load_dword v30, v[22:23], off
	v_ashrrev_i32_e32 v39, 31, v38
	v_lshlrev_b64 v[32:33], 2, v[38:39]
	v_add_co_u32_e32 v18, vcc, s16, v32
	v_addc_co_u32_e32 v19, vcc, v68, v33, vcc
	s_nop 1
	global_load_dwordx4 v[14:17], v[26:27], off
	global_load_dword v31, v[18:19], off
	s_nop 0
	global_load_dwordx4 v[18:21], v[26:27], off offset:1024
	global_load_dwordx4 v[68:71], v[26:27], off offset:2048
	;; [unrolled: 1-line block ×3, first 2 shown]
	v_mfma_f32_16x16x16f16 v[22:25], v[58:59], v[6:7], v[34:37]
	v_or_b32_e32 v28, 0x80, v62
	v_ashrrev_i32_e32 v29, 4, v28
	v_cmp_gt_i32_e32 vcc, s38, v28
	v_cndmask_b32_e32 v28, v63, v29, vcc
	v_ashrrev_i32_e32 v29, 31, v28
	v_lshlrev_b64 v[28:29], 2, v[28:29]
	v_mov_b32_e32 v32, s17
	v_mfma_f32_16x16x16f16 v[22:25], v[60:61], v[8:9], v[22:25]
	v_add_co_u32_e32 v28, vcc, s16, v28
	v_addc_co_u32_e32 v29, vcc, v32, v29, vcc
	global_load_dword v32, v[28:29], off
	v_or_b32_e32 v28, 0xc0, v62
	v_ashrrev_i32_e32 v29, 4, v28
	v_cmp_gt_i32_e32 vcc, s38, v28
	v_cndmask_b32_e32 v28, v63, v29, vcc
	v_ashrrev_i32_e32 v29, 31, v28
	v_lshlrev_b64 v[28:29], 2, v[28:29]
	s_waitcnt vmcnt(8)
	v_mfma_f32_16x16x16f16 v[22:25], v[42:43], v[10:11], v[22:25]
	v_mov_b32_e32 v33, s17
	v_add_co_u32_e32 v28, vcc, s16, v28
	v_addc_co_u32_e32 v29, vcc, v33, v29, vcc
	global_load_dword v58, v[28:29], off
	v_mov_b32_e32 v26, s10
	v_mfma_f32_16x16x16f16 v[22:25], v[44:45], v[12:13], v[22:25]
	v_add_co_u32_e32 v77, vcc, s8, v76
	v_addc_co_u32_e32 v78, vcc, 0, v26, vcc
	v_pk_mul_f32 v[80:81], s[0:1], v[66:67] op_sel_hi:[0,1]
	s_waitcnt vmcnt(8)
	v_mfma_f32_16x16x16f16 v[22:25], v[46:47], v[50:51], v[22:25]
	v_mfma_f32_16x16x16f16 v[72:75], v[48:49], v[52:53], v[22:25]
	s_waitcnt vmcnt(7)
	s_nop 7
	s_nop 0
	v_mad_i64_i32 v[22:23], s[2:3], v30, s1, 0
	v_lshlrev_b64 v[62:63], 1, v[22:23]
	s_waitcnt vmcnt(6)
	v_mfma_f32_16x16x16f16 v[22:25], v[14:15], v[2:3], 0
	v_add_co_u32_e32 v2, vcc, v77, v62
	v_addc_co_u32_e32 v3, vcc, v78, v63, vcc
	global_load_dwordx4 v[46:49], v[2:3], off
	global_load_dwordx4 v[42:45], v[2:3], off offset:16
	s_waitcnt vmcnt(7)
	v_mad_i64_i32 v[2:3], s[2:3], v31, s1, 0
	v_lshlrev_b64 v[14:15], 1, v[2:3]
	v_mfma_f32_16x16x16f16 v[2:5], v[16:17], v[4:5], v[22:25]
	v_add_co_u32_e32 v16, vcc, v77, v14
	v_addc_co_u32_e32 v17, vcc, v78, v15, vcc
	global_load_dwordx4 v[38:41], v[16:17], off
	global_load_dwordx4 v[34:37], v[16:17], off offset:16
	s_waitcnt vmcnt(5)
	v_mad_i64_i32 v[16:17], s[2:3], v32, s1, 0
	v_mfma_f32_16x16x16f16 v[2:5], v[18:19], v[6:7], v[2:5]
	v_lshlrev_b64 v[60:61], 1, v[16:17]
	v_add_co_u32_e32 v6, vcc, v77, v60
	v_addc_co_u32_e32 v7, vcc, v78, v61, vcc
	global_load_dwordx4 v[30:33], v[6:7], off
	global_load_dwordx4 v[26:29], v[6:7], off offset:16
	s_waitcnt vmcnt(6)
	v_mad_i64_i32 v[6:7], s[2:3], v58, s1, 0
	v_mfma_f32_16x16x16f16 v[2:5], v[20:21], v[8:9], v[2:5]
	v_lshlrev_b64 v[58:59], 1, v[6:7]
	v_add_co_u32_e32 v6, vcc, v77, v58
	v_addc_co_u32_e32 v7, vcc, v78, v59, vcc
	global_load_dwordx4 v[22:25], v[6:7], off
	global_load_dwordx4 v[18:21], v[6:7], off offset:16
	v_or_b32_e32 v6, 0x800, v76
	v_mfma_f32_16x16x16f16 v[2:5], v[68:69], v[10:11], v[2:5]
	v_mov_b32_e32 v7, s10
	v_add_co_u32_e32 v68, vcc, s8, v6
	v_addc_co_u32_e32 v69, vcc, 0, v7, vcc
	v_pk_mul_f32 v[76:77], s[0:1], v[74:75] op_sel_hi:[0,1]
	v_pk_mul_f32 v[74:75], s[0:1], v[72:73] op_sel_hi:[0,1]
	v_mfma_f32_16x16x16f16 v[10:13], v[70:71], v[12:13], v[2:5]
	v_pk_mul_f32 v[78:79], s[0:1], v[56:57] op_sel_hi:[0,1]
	v_pk_mul_f32 v[70:71], s[0:1], v[64:65] op_sel_hi:[0,1]
	v_mfma_f32_16x16x16f16 v[92:95], v[88:89], v[50:51], v[10:13]
	s_nop 3
	v_add_co_u32_e32 v2, vcc, v68, v62
	v_addc_co_u32_e32 v3, vcc, v69, v63, vcc
	v_add_co_u32_e32 v62, vcc, v68, v14
	v_addc_co_u32_e32 v63, vcc, v69, v15, vcc
	v_mfma_f32_16x16x16f16 v[50:53], v[90:91], v[52:53], v[92:95]
	global_load_dwordx4 v[6:9], v[2:3], off
	s_nop 0
	global_load_dwordx4 v[2:5], v[2:3], off offset:16
	s_nop 0
	global_load_dwordx4 v[14:17], v[62:63], off
	global_load_dwordx4 v[10:13], v[62:63], off offset:16
	v_pk_mul_f32 v[62:63], s[0:1], v[54:55] op_sel_hi:[0,1]
	s_nop 3
	v_pk_mul_f32 v[72:73], s[0:1], v[50:51] op_sel_hi:[0,1]
	v_and_b32_e32 v50, 0xc0, v0
	v_add_u32_e32 v50, s9, v50
	v_lshl_or_b32 v50, v1, 2, v50
	v_pk_mul_f32 v[66:67], s[0:1], v[52:53] op_sel_hi:[0,1]
	v_or_b32_e32 v53, 1, v50
	v_mov_b32_e32 v51, 0xff7fffff
	v_cmp_gt_i32_e64 s[28:29], s38, v50
	v_cmp_gt_i32_e64 s[30:31], s38, v53
	v_cndmask_b32_e64 v52, v51, v62, s[28:29]
	v_cndmask_b32_e64 v53, v51, v63, s[30:31]
	v_max3_f32 v52, v52, s40, v53
	v_or_b32_e32 v53, 2, v50
	v_or_b32_e32 v54, 3, v50
	v_cmp_gt_i32_e64 s[34:35], s38, v53
	v_cmp_gt_i32_e64 s[36:37], s38, v54
	v_cndmask_b32_e64 v53, v51, v78, s[34:35]
	v_cndmask_b32_e64 v54, v51, v79, s[36:37]
	v_max3_f32 v52, v52, v53, v54
	v_or_b32_e32 v53, 16, v50
	v_or_b32_e32 v54, 17, v50
	;; [unrolled: 7-line block ×7, first 2 shown]
	v_cmp_gt_i32_e32 vcc, s38, v53
	v_cmp_gt_i32_e64 s[0:1], s38, v50
	v_cndmask_b32_e32 v53, v51, v66, vcc
	v_cndmask_b32_e64 v50, v51, v67, s[0:1]
	v_max3_f32 v64, v52, v53, v50
	v_mbcnt_lo_u32_b32 v50, -1, 0
	v_mbcnt_hi_u32_b32 v65, -1, v50
	v_and_b32_e32 v50, 64, v65
	v_add_u32_e32 v88, 64, v50
	v_xor_b32_e32 v50, 32, v65
	v_cmp_lt_i32_e64 s[38:39], v50, v88
	v_cndmask_b32_e64 v50, v65, v50, s[38:39]
	v_lshlrev_b32_e32 v89, 2, v50
	ds_bpermute_b32 v90, v89, v64
	v_add_co_u32_e64 v50, s[38:39], v68, v60
	v_addc_co_u32_e64 v51, s[38:39], v69, v61, s[38:39]
	v_xor_b32_e32 v61, 16, v65
	v_cmp_lt_i32_e64 s[38:39], v61, v88
	s_waitcnt lgkmcnt(0)
	v_max_f32_e32 v60, v90, v90
	v_cndmask_b32_e64 v61, v65, v61, s[38:39]
	v_max_f32_e32 v60, v64, v60
	v_lshlrev_b32_e32 v90, 2, v61
	ds_bpermute_b32 v61, v90, v60
	v_add_co_u32_e64 v58, s[38:39], v68, v58
	v_addc_co_u32_e64 v59, s[38:39], v69, v59, s[38:39]
	s_waitcnt lgkmcnt(0)
	v_max_f32_e32 v61, v61, v61
	v_max_f32_e32 v88, v60, v61
	v_sub_f32_e32 v60, v62, v88
	v_mul_f32_e32 v60, 0x3fb8aa3b, v60
	v_exp_f32_e32 v68, v60
	v_sub_f32_e32 v60, v63, v88
	v_mul_f32_e32 v60, 0x3fb8aa3b, v60
	global_load_dwordx4 v[54:57], v[50:51], off
	s_nop 0
	global_load_dwordx4 v[50:53], v[50:51], off offset:16
	v_exp_f32_e32 v69, v60
	global_load_dwordx4 v[62:65], v[58:59], off
	s_nop 0
	global_load_dwordx4 v[58:61], v[58:59], off offset:16
	v_sub_f32_e32 v78, v78, v88
	v_mul_f32_e32 v78, 0x3fb8aa3b, v78
	v_sub_f32_e32 v79, v79, v88
	v_exp_f32_e32 v78, v78
	v_mul_f32_e32 v79, 0x3fb8aa3b, v79
	v_sub_f32_e32 v70, v70, v88
	v_exp_f32_e32 v79, v79
	v_mul_f32_e32 v70, 0x3fb8aa3b, v70
	v_sub_f32_e32 v71, v71, v88
	v_cndmask_b32_e64 v68, 0, v68, s[28:29]
	v_exp_f32_e32 v70, v70
	v_mul_f32_e32 v71, 0x3fb8aa3b, v71
	v_sub_f32_e32 v80, v80, v88
	v_add_f32_e32 v91, 0, v68
	v_cndmask_b32_e64 v69, 0, v69, s[30:31]
	v_exp_f32_e32 v71, v71
	v_mul_f32_e32 v80, 0x3fb8aa3b, v80
	v_sub_f32_e32 v81, v81, v88
	v_add_f32_e32 v91, v91, v69
	;; [unrolled: 5-line block ×10, first 2 shown]
	v_cndmask_b32_e64 v76, 0, v76, s[10:11]
	v_exp_f32_e32 v66, v66
	v_mul_f32_e32 v67, 0x3fb8aa3b, v67
	v_add_f32_e32 v91, v91, v76
	v_cndmask_b32_e64 v77, 0, v77, s[12:13]
	v_exp_f32_e32 v67, v67
	v_add_f32_e32 v91, v91, v77
	v_cndmask_b32_e64 v72, 0, v72, s[2:3]
	v_add_f32_e32 v91, v91, v72
	v_cndmask_b32_e64 v73, 0, v73, s[8:9]
	v_add_f32_e32 v91, v91, v73
	v_cndmask_b32_e32 v66, 0, v66, vcc
	v_add_f32_e32 v91, v91, v66
	v_cndmask_b32_e64 v67, 0, v67, s[0:1]
	v_add_f32_e32 v91, v91, v67
	ds_bpermute_b32 v89, v89, v91
	v_cmp_gt_u32_e64 s[0:1], 16, v86
	s_waitcnt lgkmcnt(0)
	s_barrier
	v_add_f32_e32 v89, v91, v89
	ds_bpermute_b32 v90, v90, v89
	s_and_saveexec_b64 s[2:3], s[0:1]
	s_cbranch_execz .LBB136_13
; %bb.12:
	s_waitcnt lgkmcnt(0)
	v_add_f32_e32 v86, v89, v90
	v_lshlrev_b32_e32 v87, 2, v87
	ds_write2st64_b32 v87, v88, v86 offset1:1
.LBB136_13:
	s_or_b64 exec, exec, s[2:3]
	v_lshlrev_b32_e32 v87, 2, v83
	s_load_dword s8, s[4:5], 0x94
	s_waitcnt lgkmcnt(0)
	s_barrier
	ds_read2_b32 v[88:89], v87 offset1:16
	ds_read2_b32 v[90:91], v87 offset0:32 offset1:48
	ds_read2_b32 v[92:93], v87 offset0:64 offset1:80
	s_mul_i32 s9, s33, 5
	s_waitcnt lgkmcnt(2)
	v_max3_f32 v86, v88, s40, v89
	s_waitcnt lgkmcnt(1)
	v_max3_f32 v86, v86, v90, v91
	v_sub_f32_e32 v88, v88, v86
	v_mul_f32_e32 v88, 0x3fb8aa3b, v88
	v_exp_f32_e32 v94, v88
	v_sub_f32_e32 v88, v89, v86
	v_mul_f32_e32 v88, 0x3fb8aa3b, v88
	v_exp_f32_e32 v95, v88
	;; [unrolled: 3-line block ×3, first 2 shown]
	ds_read2_b32 v[88:89], v87 offset0:96 offset1:112
	v_sub_f32_e32 v87, v91, v86
	v_mul_f32_e32 v87, 0x3fb8aa3b, v87
	v_exp_f32_e32 v91, v87
	s_waitcnt lgkmcnt(1)
	v_fma_f32 v87, v94, v92, 0
	v_fmac_f32_e32 v87, v95, v93
	s_waitcnt lgkmcnt(0)
	v_fmac_f32_e32 v87, v90, v88
	v_fmac_f32_e32 v87, v91, v89
	v_add_f32_e32 v88, 0x358637bd, v87
	v_div_scale_f32 v89, s[2:3], v88, v88, 1.0
	v_rcp_f32_e32 v92, v89
	s_barrier
	v_fma_f32 v93, -v89, v92, 1.0
	v_fmac_f32_e32 v92, v93, v92
	v_div_scale_f32 v93, vcc, 1.0, v88, 1.0
	v_mul_f32_e32 v82, v93, v92
	v_fma_f32 v84, -v89, v82, v93
	v_fmac_f32_e32 v82, v84, v92
	v_fma_f32 v84, -v89, v82, v93
	v_div_fmas_f32 v82, v84, v92, v82
	v_cmp_eq_u32_e32 vcc, 1, v85
	v_cndmask_b32_e32 v84, v94, v95, vcc
	v_cmp_eq_u32_e32 vcc, 2, v85
	v_cndmask_b32_e32 v84, v84, v90, vcc
	v_cmp_eq_u32_e32 vcc, 3, v85
	v_div_fixup_f32 v82, v82, v88, 1.0
	v_cndmask_b32_e32 v84, v84, v91, vcc
	v_mul_f32_e32 v88, v84, v82
	v_pk_mul_f32 v[78:79], v[88:89], v[78:79] op_sel_hi:[0,1]
	v_cvt_f16_f32_e32 v78, v78
	v_cvt_f16_f32_e32 v79, v79
	v_pk_mul_f32 v[68:69], v[88:89], v[68:69] op_sel_hi:[0,1]
	v_cvt_f16_f32_e32 v68, v68
	v_cvt_f16_f32_e32 v69, v69
	v_pack_b32_f16 v91, v78, v79
	v_pk_mul_f32 v[78:79], v[88:89], v[80:81] op_sel_hi:[0,1]
	v_pk_mul_f32 v[70:71], v[88:89], v[70:71] op_sel_hi:[0,1]
	v_cvt_f16_f32_e32 v70, v70
	v_cvt_f16_f32_e32 v71, v71
	;; [unrolled: 1-line block ×4, first 2 shown]
	v_pack_b32_f16 v90, v68, v69
	v_lshlrev_b32_e32 v69, 3, v1
	v_lshlrev_b32_e32 v68, 5, v83
	;; [unrolled: 1-line block ×3, first 2 shown]
	v_or3_b32 v78, v78, v68, v69
	v_pack_b32_f16 v70, v70, v71
	v_pack_b32_f16 v71, v80, v79
	ds_write2st64_b64 v78, v[90:91], v[70:71] offset1:1
	v_pk_mul_f32 v[70:71], v[88:89], v[76:77] op_sel_hi:[0,1]
	v_pk_mul_f32 v[74:75], v[88:89], v[74:75] op_sel_hi:[0,1]
	v_cvt_f16_f32_e32 v69, v74
	v_cvt_f16_f32_e32 v74, v75
	;; [unrolled: 1-line block ×4, first 2 shown]
	v_pk_mul_f32 v[66:67], v[88:89], v[66:67] op_sel_hi:[0,1]
	v_pk_mul_f32 v[70:71], v[88:89], v[72:73] op_sel_hi:[0,1]
	v_cvt_f16_f32_e32 v70, v70
	v_cvt_f16_f32_e32 v71, v71
	v_cvt_f16_f32_e32 v72, v66
	v_cvt_f16_f32_e32 v73, v67
	v_pack_b32_f16 v66, v69, v74
	v_pack_b32_f16 v67, v75, v76
	;; [unrolled: 1-line block ×4, first 2 shown]
	v_cmp_gt_u32_e32 vcc, 5, v0
	ds_write2st64_b64 v78, v[66:67], v[70:71] offset0:2 offset1:3
	s_and_saveexec_b64 s[2:3], vcc
	s_cbranch_execz .LBB136_15
; %bb.14:
	v_add_co_u32_e32 v70, vcc, s27, v83
	v_addc_co_u32_e64 v71, s[10:11], 0, 0, vcc
	v_mov_b32_e32 v66, s9
	v_mov_b32_e32 v67, 0
	v_mad_u64_u32 v[70:71], s[10:11], s6, v66, v[70:71]
	v_mov_b32_e32 v66, s26
	s_load_dwordx4 s[12:15], s[4:5], 0x58
	s_mul_i32 s7, s7, s9
	v_mad_u64_u32 v[66:67], s[10:11], v70, s8, v[66:67]
	v_add_u32_e32 v69, s7, v71
	v_mov_b32_e32 v70, v67
	v_mad_u64_u32 v[70:71], s[10:11], v69, s8, v[70:71]
	v_mov_b32_e32 v67, v70
	v_lshlrev_b64 v[66:67], 2, v[66:67]
	s_waitcnt lgkmcnt(0)
	v_mov_b32_e32 v69, s15
	v_add_co_u32_e32 v70, vcc, s14, v66
	v_addc_co_u32_e32 v71, vcc, v69, v67, vcc
	v_mov_b32_e32 v69, s13
	v_add_co_u32_e32 v66, vcc, s12, v66
	v_addc_co_u32_e32 v67, vcc, v69, v67, vcc
	global_store_dword v[70:71], v86, off
	global_store_dword v[66:67], v87, off
.LBB136_15:
	s_or_b64 exec, exec, s[2:3]
	v_lshl_or_b32 v79, v1, 9, v68
	s_waitcnt lgkmcnt(0)
	s_barrier
	ds_read_b128 v[70:73], v79
	ds_read_b128 v[66:69], v79 offset:16
	s_waitcnt vmcnt(15) lgkmcnt(1)
	v_mfma_f32_16x16x16f16 v[74:77], v[46:47], v[70:71], 0
	s_mov_b32 s3, 0
	v_cmp_gt_u32_e32 vcc, 64, v0
	v_mfma_f32_16x16x16f16 v[46:49], v[48:49], v[72:73], v[74:77]
	s_waitcnt vmcnt(14) lgkmcnt(0)
	v_mfma_f32_16x16x16f16 v[46:49], v[42:43], v[66:67], v[46:49]
	v_mfma_f32_16x16x16f16 v[42:45], v[44:45], v[68:69], v[46:49]
	s_nop 7
	s_nop 1
	ds_read_b128 v[46:49], v79 offset:2048
	ds_read_b128 v[74:77], v79 offset:2064
	s_waitcnt vmcnt(13) lgkmcnt(1)
	v_mfma_f32_16x16x16f16 v[42:45], v[38:39], v[46:47], v[42:45]
	v_mfma_f32_16x16x16f16 v[38:41], v[40:41], v[48:49], v[42:45]
	s_waitcnt vmcnt(12) lgkmcnt(0)
	v_mfma_f32_16x16x16f16 v[38:41], v[34:35], v[74:75], v[38:41]
	v_mfma_f32_16x16x16f16 v[34:37], v[36:37], v[76:77], v[38:41]
	s_nop 7
	s_nop 1
	ds_read_b128 v[38:41], v79 offset:4096
	ds_read_b128 v[42:45], v79 offset:4112
	s_waitcnt vmcnt(11) lgkmcnt(1)
	v_mfma_f32_16x16x16f16 v[34:37], v[30:31], v[38:39], v[34:37]
	v_mfma_f32_16x16x16f16 v[30:33], v[32:33], v[40:41], v[34:37]
	s_waitcnt vmcnt(10) lgkmcnt(0)
	v_mfma_f32_16x16x16f16 v[30:33], v[26:27], v[42:43], v[30:33]
	v_mfma_f32_16x16x16f16 v[26:29], v[28:29], v[44:45], v[30:33]
	s_nop 7
	s_nop 1
	ds_read_b128 v[30:33], v79 offset:6144
	ds_read_b128 v[34:37], v79 offset:6160
	s_waitcnt lgkmcnt(0)
	s_barrier
	s_waitcnt vmcnt(9)
	v_mfma_f32_16x16x16f16 v[26:29], v[22:23], v[30:31], v[26:29]
	v_mfma_f32_16x16x16f16 v[22:25], v[24:25], v[32:33], v[26:29]
	s_waitcnt vmcnt(8)
	v_mfma_f32_16x16x16f16 v[22:25], v[18:19], v[34:35], v[22:25]
	v_mfma_f32_16x16x16f16 v[18:21], v[20:21], v[36:37], v[22:25]
	;; [unrolled: 3-line block ×4, first 2 shown]
	s_waitcnt vmcnt(5)
	v_mfma_f32_16x16x16f16 v[2:5], v[14:15], v[46:47], v[2:5]
	s_nop 7
	v_cvt_f16_f32_e32 v6, v18
	v_cvt_f16_f32_e32 v7, v19
	;; [unrolled: 1-line block ×4, first 2 shown]
	v_mfma_f32_16x16x16f16 v[2:5], v[16:17], v[48:49], v[2:5]
	s_waitcnt vmcnt(4)
	v_mfma_f32_16x16x16f16 v[2:5], v[10:11], v[74:75], v[2:5]
	v_mfma_f32_16x16x16f16 v[2:5], v[12:13], v[76:77], v[2:5]
	s_waitcnt vmcnt(3)
	v_mfma_f32_16x16x16f16 v[2:5], v[54:55], v[38:39], v[2:5]
	;; [unrolled: 3-line block ×5, first 2 shown]
	v_mfma_f32_16x16x16f16 v[2:5], v[60:61], v[36:37], v[2:5]
	s_nop 7
	s_nop 2
	v_cvt_f16_f32_e32 v10, v2
	v_cvt_f16_f32_e32 v11, v3
	;; [unrolled: 1-line block ×4, first 2 shown]
	v_pack_b32_f16 v2, v6, v7
	v_pack_b32_f16 v3, v8, v9
	;; [unrolled: 1-line block ×4, first 2 shown]
	ds_write2st64_b64 v78, v[2:3], v[4:5] offset1:1
	s_waitcnt lgkmcnt(0)
	s_barrier
	s_and_saveexec_b64 s[10:11], vcc
	s_cbranch_execz .LBB136_18
; %bb.16:
	v_lshlrev_b32_e32 v4, 6, v83
	v_lshlrev_b32_e32 v3, 4, v0
	v_lshl_or_b32 v0, v0, 10, v4
	v_lshlrev_b32_e32 v2, 5, v1
	v_and_b32_e32 v3, 16, v3
	v_and_b32_e32 v0, 0x1a00, v0
	v_or3_b32 v0, v0, v2, v3
	buffer_load_dword v2, off, s[44:47], 0  ; 4-byte Folded Reload
	s_load_dwordx2 s[10:11], s[4:5], 0x68
	s_lshl_b32 s4, s8, 7
	s_mul_i32 s2, s9, s6
	s_mul_hi_u32 s7, s2, s4
	s_mul_i32 s6, s2, s4
	s_lshl_b64 s[6:7], s[6:7], 1
	s_waitcnt lgkmcnt(0)
	s_add_u32 s5, s10, s6
	s_addc_u32 s6, s11, s7
	s_lshl_b32 s2, s26, 7
	s_lshl_b64 s[2:3], s[2:3], 1
	s_add_u32 s2, s5, s2
	s_addc_u32 s3, s6, s3
	ds_read_b128 v[4:7], v0
	v_add_u32_e32 v8, s27, v1
	v_mov_b32_e32 v3, s3
	s_waitcnt vmcnt(0)
	v_add_co_u32_e32 v2, vcc, s2, v2
	v_mad_u64_u32 v[8:9], s[2:3], v8, s4, 0
	v_addc_co_u32_e32 v3, vcc, 0, v3, vcc
	v_lshlrev_b64 v[8:9], 1, v[8:9]
	v_add_co_u32_e32 v8, vcc, v2, v8
	v_addc_co_u32_e32 v9, vcc, v3, v9, vcc
	s_waitcnt lgkmcnt(0)
	global_store_dwordx4 v[8:9], v[4:7], off
	s_and_b64 exec, exec, s[0:1]
	s_cbranch_execz .LBB136_18
; %bb.17:
	ds_read_b128 v[4:7], v0 offset:128
	v_add3_u32 v0, s27, v1, 4
	v_mad_u64_u32 v[0:1], s[0:1], v0, s4, 0
	v_lshlrev_b64 v[0:1], 1, v[0:1]
	v_add_co_u32_e32 v0, vcc, v2, v0
	v_addc_co_u32_e32 v1, vcc, v3, v1, vcc
	s_waitcnt lgkmcnt(0)
	global_store_dwordx4 v[0:1], v[4:7], off
.LBB136_18:
	s_endpgm
	.section	.rodata,"a",@progbits
	.p2align	6, 0x0
	.amdhsa_kernel _Z39paged_attention_ll4mi_QKV_mfma16_kernelIDF16_DF16_LN4vllm18Fp8KVCacheDataTypeE0EDF16_Li16ELi128ELi256ELb0ELi5EL8MFMAType0EEvPKT_PKT0_S8_ifPKiSA_SA_iPKfiiiPfSD_PS3_PT2_iSC_SC_
		.amdhsa_group_segment_fixed_size 8192
		.amdhsa_private_segment_fixed_size 8
		.amdhsa_kernarg_size 400
		.amdhsa_user_sgpr_count 6
		.amdhsa_user_sgpr_private_segment_buffer 1
		.amdhsa_user_sgpr_dispatch_ptr 0
		.amdhsa_user_sgpr_queue_ptr 0
		.amdhsa_user_sgpr_kernarg_segment_ptr 1
		.amdhsa_user_sgpr_dispatch_id 0
		.amdhsa_user_sgpr_flat_scratch_init 0
		.amdhsa_user_sgpr_kernarg_preload_length 0
		.amdhsa_user_sgpr_kernarg_preload_offset 0
		.amdhsa_user_sgpr_private_segment_size 0
		.amdhsa_uses_dynamic_stack 0
		.amdhsa_system_sgpr_private_segment_wavefront_offset 1
		.amdhsa_system_sgpr_workgroup_id_x 1
		.amdhsa_system_sgpr_workgroup_id_y 1
		.amdhsa_system_sgpr_workgroup_id_z 1
		.amdhsa_system_sgpr_workgroup_info 0
		.amdhsa_system_vgpr_workitem_id 0
		.amdhsa_next_free_vgpr 96
		.amdhsa_next_free_sgpr 48
		.amdhsa_accum_offset 96
		.amdhsa_reserve_vcc 1
		.amdhsa_reserve_flat_scratch 0
		.amdhsa_float_round_mode_32 0
		.amdhsa_float_round_mode_16_64 0
		.amdhsa_float_denorm_mode_32 3
		.amdhsa_float_denorm_mode_16_64 3
		.amdhsa_dx10_clamp 1
		.amdhsa_ieee_mode 1
		.amdhsa_fp16_overflow 0
		.amdhsa_tg_split 0
		.amdhsa_exception_fp_ieee_invalid_op 0
		.amdhsa_exception_fp_denorm_src 0
		.amdhsa_exception_fp_ieee_div_zero 0
		.amdhsa_exception_fp_ieee_overflow 0
		.amdhsa_exception_fp_ieee_underflow 0
		.amdhsa_exception_fp_ieee_inexact 0
		.amdhsa_exception_int_div_zero 0
	.end_amdhsa_kernel
	.section	.text._Z39paged_attention_ll4mi_QKV_mfma16_kernelIDF16_DF16_LN4vllm18Fp8KVCacheDataTypeE0EDF16_Li16ELi128ELi256ELb0ELi5EL8MFMAType0EEvPKT_PKT0_S8_ifPKiSA_SA_iPKfiiiPfSD_PS3_PT2_iSC_SC_,"axG",@progbits,_Z39paged_attention_ll4mi_QKV_mfma16_kernelIDF16_DF16_LN4vllm18Fp8KVCacheDataTypeE0EDF16_Li16ELi128ELi256ELb0ELi5EL8MFMAType0EEvPKT_PKT0_S8_ifPKiSA_SA_iPKfiiiPfSD_PS3_PT2_iSC_SC_,comdat
.Lfunc_end136:
	.size	_Z39paged_attention_ll4mi_QKV_mfma16_kernelIDF16_DF16_LN4vllm18Fp8KVCacheDataTypeE0EDF16_Li16ELi128ELi256ELb0ELi5EL8MFMAType0EEvPKT_PKT0_S8_ifPKiSA_SA_iPKfiiiPfSD_PS3_PT2_iSC_SC_, .Lfunc_end136-_Z39paged_attention_ll4mi_QKV_mfma16_kernelIDF16_DF16_LN4vllm18Fp8KVCacheDataTypeE0EDF16_Li16ELi128ELi256ELb0ELi5EL8MFMAType0EEvPKT_PKT0_S8_ifPKiSA_SA_iPKfiiiPfSD_PS3_PT2_iSC_SC_
                                        ; -- End function
	.section	.AMDGPU.csdata,"",@progbits
; Kernel info:
; codeLenInByte = 4592
; NumSgprs: 52
; NumVgprs: 96
; NumAgprs: 0
; TotalNumVgprs: 96
; ScratchSize: 8
; MemoryBound: 0
; FloatMode: 240
; IeeeMode: 1
; LDSByteSize: 8192 bytes/workgroup (compile time only)
; SGPRBlocks: 6
; VGPRBlocks: 11
; NumSGPRsForWavesPerEU: 52
; NumVGPRsForWavesPerEU: 96
; AccumOffset: 96
; Occupancy: 5
; WaveLimiterHint : 1
; COMPUTE_PGM_RSRC2:SCRATCH_EN: 1
; COMPUTE_PGM_RSRC2:USER_SGPR: 6
; COMPUTE_PGM_RSRC2:TRAP_HANDLER: 0
; COMPUTE_PGM_RSRC2:TGID_X_EN: 1
; COMPUTE_PGM_RSRC2:TGID_Y_EN: 1
; COMPUTE_PGM_RSRC2:TGID_Z_EN: 1
; COMPUTE_PGM_RSRC2:TIDIG_COMP_CNT: 0
; COMPUTE_PGM_RSRC3_GFX90A:ACCUM_OFFSET: 23
; COMPUTE_PGM_RSRC3_GFX90A:TG_SPLIT: 0
	.section	.text._Z39paged_attention_ll4mi_QKV_mfma16_kernelIDF16_DF16_LN4vllm18Fp8KVCacheDataTypeE0EDF16_Li16ELi128ELi256ELb0ELi6EL8MFMAType0EEvPKT_PKT0_S8_ifPKiSA_SA_iPKfiiiPfSD_PS3_PT2_iSC_SC_,"axG",@progbits,_Z39paged_attention_ll4mi_QKV_mfma16_kernelIDF16_DF16_LN4vllm18Fp8KVCacheDataTypeE0EDF16_Li16ELi128ELi256ELb0ELi6EL8MFMAType0EEvPKT_PKT0_S8_ifPKiSA_SA_iPKfiiiPfSD_PS3_PT2_iSC_SC_,comdat
	.protected	_Z39paged_attention_ll4mi_QKV_mfma16_kernelIDF16_DF16_LN4vllm18Fp8KVCacheDataTypeE0EDF16_Li16ELi128ELi256ELb0ELi6EL8MFMAType0EEvPKT_PKT0_S8_ifPKiSA_SA_iPKfiiiPfSD_PS3_PT2_iSC_SC_ ; -- Begin function _Z39paged_attention_ll4mi_QKV_mfma16_kernelIDF16_DF16_LN4vllm18Fp8KVCacheDataTypeE0EDF16_Li16ELi128ELi256ELb0ELi6EL8MFMAType0EEvPKT_PKT0_S8_ifPKiSA_SA_iPKfiiiPfSD_PS3_PT2_iSC_SC_
	.globl	_Z39paged_attention_ll4mi_QKV_mfma16_kernelIDF16_DF16_LN4vllm18Fp8KVCacheDataTypeE0EDF16_Li16ELi128ELi256ELb0ELi6EL8MFMAType0EEvPKT_PKT0_S8_ifPKiSA_SA_iPKfiiiPfSD_PS3_PT2_iSC_SC_
	.p2align	8
	.type	_Z39paged_attention_ll4mi_QKV_mfma16_kernelIDF16_DF16_LN4vllm18Fp8KVCacheDataTypeE0EDF16_Li16ELi128ELi256ELb0ELi6EL8MFMAType0EEvPKT_PKT0_S8_ifPKiSA_SA_iPKfiiiPfSD_PS3_PT2_iSC_SC_,@function
_Z39paged_attention_ll4mi_QKV_mfma16_kernelIDF16_DF16_LN4vllm18Fp8KVCacheDataTypeE0EDF16_Li16ELi128ELi256ELb0ELi6EL8MFMAType0EEvPKT_PKT0_S8_ifPKiSA_SA_iPKfiiiPfSD_PS3_PT2_iSC_SC_: ; @_Z39paged_attention_ll4mi_QKV_mfma16_kernelIDF16_DF16_LN4vllm18Fp8KVCacheDataTypeE0EDF16_Li16ELi128ELi256ELb0ELi6EL8MFMAType0EEvPKT_PKT0_S8_ifPKiSA_SA_iPKfiiiPfSD_PS3_PT2_iSC_SC_
; %bb.0:
	s_mov_b64 s[46:47], s[2:3]
	s_mov_b64 s[44:45], s[0:1]
	s_load_dwordx2 s[0:1], s[4:5], 0x30
	s_add_u32 s44, s44, s9
	s_addc_u32 s45, s45, 0
	s_mov_b32 s26, s7
	s_mov_b64 s[10:11], 0
	s_waitcnt lgkmcnt(0)
	s_cmp_lg_u64 s[0:1], 0
	s_cselect_b64 s[2:3], -1, 0
	s_and_b64 vcc, exec, s[2:3]
	s_cbranch_vccz .LBB137_7
; %bb.1:
	s_add_i32 s12, s6, 1
	s_mov_b32 s13, 0
	s_lshl_b64 s[14:15], s[12:13], 2
	s_add_u32 s14, s0, s14
	s_mov_b32 s7, s13
	s_addc_u32 s15, s1, s15
	s_lshl_b64 s[12:13], s[6:7], 2
	s_add_u32 s12, s0, s12
	s_addc_u32 s13, s1, s13
	s_load_dword s9, s[14:15], 0x0
	s_load_dword s16, s[12:13], 0x0
	s_waitcnt lgkmcnt(0)
	s_sub_i32 s9, s9, s16
	s_cmp_eq_u32 s9, 1
	s_cselect_b64 s[12:13], -1, 0
	s_andn2_b64 vcc, exec, s[10:11]
	s_cbranch_vccnz .LBB137_3
.LBB137_2:
	s_mov_b32 s7, 0
	s_mov_b64 s[12:13], -1
.LBB137_3:
	s_andn2_b64 vcc, exec, s[12:13]
	s_cbranch_vccnz .LBB137_18
; %bb.4:
	s_load_dwordx2 s[12:13], s[4:5], 0x28
	s_lshl_b64 s[10:11], s[6:7], 2
	s_waitcnt lgkmcnt(0)
	s_add_u32 s12, s12, s10
	s_addc_u32 s13, s13, s11
	s_load_dword s38, s[12:13], 0x0
	s_lshl_b32 s9, s26, 8
	s_waitcnt lgkmcnt(0)
	s_cmp_ge_i32 s9, s38
	s_cbranch_scc1 .LBB137_18
; %bb.5:
	s_add_i32 s15, s38, 15
	s_load_dwordx2 s[12:13], s[4:5], 0x20
	s_load_dword s14, s[4:5], 0x38
	s_ashr_i32 s16, s15, 31
	v_and_b32_e32 v1, 0xcf, v0
	s_lshr_b32 s16, s16, 28
	v_add_u32_e32 v1, s9, v1
	s_add_i32 s15, s15, s16
	v_ashrrev_i32_e32 v2, 31, v1
	s_ashr_i32 s18, s15, 4
	v_lshrrev_b32_e32 v6, 28, v2
	s_add_i32 s18, s18, -1
	v_add_u32_e32 v2, v1, v6
	s_waitcnt lgkmcnt(0)
	s_mul_i32 s14, s6, s14
	s_mov_b32 s15, 0
	v_ashrrev_i32_e32 v2, 4, v2
	v_mov_b32_e32 v7, s18
	v_cmp_gt_i32_e32 vcc, s38, v1
	s_lshl_b64 s[14:15], s[14:15], 2
	v_cndmask_b32_e32 v2, v7, v2, vcc
	s_add_u32 s16, s12, s14
	v_ashrrev_i32_e32 v3, 31, v2
	s_addc_u32 s17, s13, s15
	v_lshlrev_b64 v[2:3], 2, v[2:3]
	v_mov_b32_e32 v5, s17
	v_add_co_u32_e32 v4, vcc, s16, v2
	v_or_b32_e32 v2, 16, v1
	v_addc_co_u32_e32 v5, vcc, v5, v3, vcc
	v_add_u32_e32 v3, v2, v6
	v_ashrrev_i32_e32 v3, 4, v3
	v_cmp_gt_i32_e32 vcc, s38, v2
	v_cndmask_b32_e32 v2, v7, v3, vcc
	v_ashrrev_i32_e32 v3, 31, v2
	v_lshlrev_b64 v[2:3], 2, v[2:3]
	v_mov_b32_e32 v9, s17
	v_add_co_u32_e32 v8, vcc, s16, v2
	v_or_b32_e32 v2, 32, v1
	v_addc_co_u32_e32 v9, vcc, v9, v3, vcc
	v_add_u32_e32 v3, v2, v6
	v_ashrrev_i32_e32 v3, 4, v3
	v_cmp_gt_i32_e32 vcc, s38, v2
	v_cndmask_b32_e32 v2, v7, v3, vcc
	v_ashrrev_i32_e32 v3, 31, v2
	;; [unrolled: 10-line block ×3, first 2 shown]
	v_lshlrev_b64 v[2:3], 2, v[2:3]
	v_mov_b32_e32 v1, s17
	v_add_co_u32_e32 v12, vcc, s16, v2
	v_addc_co_u32_e32 v13, vcc, v1, v3, vcc
	global_load_dword v3, v[4:5], off
	global_load_dword v2, v[8:9], off
	;; [unrolled: 1-line block ×4, first 2 shown]
	s_load_dwordx4 s[12:15], s[4:5], 0x8
	s_andn2_b64 vcc, exec, s[2:3]
	s_cbranch_vccnz .LBB137_8
; %bb.6:
	s_add_u32 s0, s0, s10
	s_addc_u32 s1, s1, s11
	s_load_dword s19, s[0:1], 0x0
	s_branch .LBB137_9
.LBB137_7:
	s_mov_b64 s[12:13], 0
	s_branch .LBB137_2
.LBB137_8:
	s_mov_b32 s19, s6
.LBB137_9:
	s_load_dwordx4 s[0:3], s[4:5], 0x48
	v_lshrrev_b32_e32 v85, 6, v0
	v_bfe_u32 v1, v0, 4, 2
	v_and_b32_e32 v83, 15, v0
	v_lshl_or_b32 v4, v85, 2, v1
	v_lshlrev_b32_e32 v5, 3, v83
	v_and_b32_e32 v86, 63, v0
	s_mul_i32 s27, s8, 6
	v_cmp_gt_u32_e32 vcc, 6, v4
	v_lshlrev_b32_e32 v5, 1, v5
	buffer_store_dword v5, off, s[44:47], 0 ; 4-byte Folded Spill
	s_and_saveexec_b64 s[10:11], vcc
	s_cbranch_execz .LBB137_11
; %bb.10:
	s_load_dwordx2 s[20:21], s[4:5], 0x0
	s_waitcnt lgkmcnt(0)
	s_ashr_i32 s3, s0, 31
	s_mul_hi_u32 s22, s19, s0
	s_mul_i32 s3, s19, s3
	s_add_i32 s23, s22, s3
	s_mul_i32 s22, s19, s0
	v_add_lshl_u32 v8, v4, s27, 7
	s_lshl_b64 s[22:23], s[22:23], 1
	v_ashrrev_i32_e32 v9, 31, v8
	s_add_u32 s0, s20, s22
	v_lshlrev_b64 v[8:9], 1, v[8:9]
	v_add_co_u32_e32 v7, vcc, s0, v8
	buffer_load_dword v8, off, s[44:47], 0  ; 4-byte Folded Reload
	s_addc_u32 s3, s21, s23
	v_mov_b32_e32 v5, s3
	v_addc_co_u32_e32 v5, vcc, v5, v9, vcc
	v_lshlrev_b32_e32 v4, 5, v4
	s_waitcnt vmcnt(0)
	v_add_co_u32_e32 v8, vcc, v7, v8
	v_addc_co_u32_e32 v9, vcc, 0, v5, vcc
	global_load_dwordx4 v[8:11], v[8:9], off
	v_and_b32_e32 v5, 3, v0
	v_lshlrev_b32_e32 v7, 9, v83
	v_lshlrev_b32_e32 v5, 9, v5
	v_and_b32_e32 v7, 0x1800, v7
	v_or3_b32 v4, v7, v5, v4
	s_waitcnt vmcnt(0)
	ds_write_b128 v4, v[8:11]
.LBB137_11:
	s_or_b64 exec, exec, s[10:11]
	s_waitcnt lgkmcnt(0)
	s_mul_i32 s2, s8, s2
	s_mov_b32 s3, 0
	s_lshl_b64 s[2:3], s[2:3], 1
	s_add_u32 s8, s12, s2
	v_lshlrev_b32_e32 v7, 4, v0
	s_addc_u32 s10, s13, s3
	v_and_b32_e32 v4, 0xf0, v7
	v_mov_b32_e32 v5, s10
	v_add_co_u32_e32 v29, vcc, s8, v4
	v_addc_co_u32_e32 v30, vcc, 0, v5, vcc
	s_waitcnt vmcnt(4)
	v_mad_i64_i32 v[4:5], s[10:11], v3, s1, 0
	v_lshlrev_b64 v[4:5], 1, v[4:5]
	v_add_co_u32_e32 v3, vcc, v29, v4
	v_addc_co_u32_e32 v4, vcc, v30, v5, vcc
	v_and_b32_e32 v31, 0x300, v7
	v_add_co_u32_e32 v22, vcc, v3, v31
	v_addc_co_u32_e32 v23, vcc, 0, v4, vcc
	s_load_dword s33, s[4:5], 0x98
	s_load_dword s0, s[4:5], 0x1c
	s_waitcnt lgkmcnt(0)
	s_barrier
	global_load_dwordx4 v[10:13], v[22:23], off
	global_load_dwordx4 v[18:21], v[22:23], off offset:1024
	s_waitcnt vmcnt(5)
	v_mad_i64_i32 v[2:3], s[10:11], v2, s1, 0
	v_lshlrev_b64 v[2:3], 1, v[2:3]
	v_add_co_u32_e32 v2, vcc, v29, v2
	v_addc_co_u32_e32 v3, vcc, v30, v3, vcc
	v_add_co_u32_e32 v24, vcc, v2, v31
	v_addc_co_u32_e32 v25, vcc, 0, v3, vcc
	global_load_dwordx4 v[14:17], v[24:25], off
	global_load_dwordx4 v[38:41], v[24:25], off offset:1024
	v_mul_lo_u16_e32 v2, 43, v83
	v_mov_b32_e32 v3, 6
	v_mul_lo_u16_sdwa v2, v2, v3 dst_sel:DWORD dst_unused:UNUSED_PAD src0_sel:BYTE_1 src1_sel:DWORD
	v_mov_b32_e32 v4, 5
	v_sub_u16_e32 v2, v83, v2
	v_lshlrev_b32_sdwa v2, v4, v2 dst_sel:DWORD dst_unused:UNUSED_PAD src0_sel:DWORD src1_sel:BYTE_0
	v_lshl_add_u32 v32, v1, 9, v2
	ds_read_b128 v[2:5], v32
	s_waitcnt vmcnt(6)
	v_mad_i64_i32 v[6:7], s[10:11], v6, s1, 0
	v_lshlrev_b64 v[26:27], 1, v[6:7]
	ds_read_b128 v[6:9], v32 offset:2048
	v_and_or_b32 v62, v0, 48, s9
	v_mov_b32_e32 v63, s18
	v_mov_b32_e32 v68, s17
	s_add_u32 s8, s14, s2
	v_lshl_or_b32 v87, v85, 4, v83
	v_lshlrev_b32_e32 v76, 5, v87
	s_mov_b32 s40, 0xff7fffff
	s_waitcnt vmcnt(3) lgkmcnt(1)
	v_mfma_f32_16x16x16f16 v[34:37], v[10:11], v[2:3], 0
	v_add_co_u32_e32 v10, vcc, v29, v26
	v_addc_co_u32_e32 v11, vcc, v30, v27, vcc
	v_add_co_u32_e32 v26, vcc, v10, v31
	v_addc_co_u32_e32 v27, vcc, 0, v11, vcc
	global_load_dwordx4 v[46:49], v[26:27], off
	global_load_dwordx4 v[58:61], v[26:27], off offset:1024
	s_waitcnt vmcnt(3)
	v_mfma_f32_16x16x16f16 v[42:45], v[14:15], v[2:3], 0
	v_cmp_gt_i32_e32 vcc, s38, v62
	v_mfma_f32_16x16x16f16 v[14:17], v[16:17], v[4:5], v[42:45]
	s_nop 7
	s_nop 0
	global_load_dwordx4 v[42:45], v[22:23], off offset:2048
	v_mfma_f32_16x16x16f16 v[10:13], v[12:13], v[4:5], v[34:37]
	s_waitcnt vmcnt(3) lgkmcnt(0)
	v_mfma_f32_16x16x16f16 v[14:17], v[38:39], v[6:7], v[14:17]
	v_mfma_f32_16x16x16f16 v[10:13], v[18:19], v[6:7], v[10:13]
	;; [unrolled: 1-line block ×3, first 2 shown]
	global_load_dwordx4 v[38:41], v[22:23], off offset:3072
	v_mfma_f32_16x16x16f16 v[18:21], v[20:21], v[8:9], v[10:13]
	s_waitcnt vmcnt(3)
	v_mfma_f32_16x16x16f16 v[50:53], v[46:47], v[2:3], 0
	v_mfma_f32_16x16x16f16 v[34:37], v[48:49], v[4:5], v[50:53]
	global_load_dwordx4 v[46:49], v[24:25], off offset:2048
	s_nop 3
	ds_read_b128 v[10:13], v32 offset:4096
	s_nop 3
	ds_read_b128 v[50:53], v32 offset:6144
	global_load_dwordx4 v[22:25], v[24:25], off offset:3072
	v_mad_i64_i32 v[32:33], s[10:11], v28, s1, 0
	v_mov_b32_e32 v28, s17
	s_addc_u32 s10, s15, s3
	s_waitcnt vmcnt(3) lgkmcnt(1)
	v_mfma_f32_16x16x16f16 v[18:21], v[42:43], v[10:11], v[18:21]
	v_mfma_f32_16x16x16f16 v[18:21], v[44:45], v[12:13], v[18:21]
	global_load_dwordx4 v[42:45], v[26:27], off offset:2048
	s_waitcnt vmcnt(3) lgkmcnt(0)
	v_mfma_f32_16x16x16f16 v[18:21], v[38:39], v[50:51], v[18:21]
	v_or_b32_e32 v38, 64, v62
	v_ashrrev_i32_e32 v39, 4, v38
	v_mfma_f32_16x16x16f16 v[54:57], v[40:41], v[52:53], v[18:21]
	s_waitcnt vmcnt(2)
	v_mfma_f32_16x16x16f16 v[14:17], v[46:47], v[10:11], v[14:17]
	v_mfma_f32_16x16x16f16 v[14:17], v[48:49], v[12:13], v[14:17]
	global_load_dwordx4 v[46:49], v[26:27], off offset:3072
	v_lshlrev_b64 v[26:27], 1, v[32:33]
	v_ashrrev_i32_e32 v32, 4, v62
	v_cndmask_b32_e32 v32, v63, v32, vcc
	v_ashrrev_i32_e32 v33, 31, v32
	v_cmp_gt_i32_e32 vcc, s38, v38
	v_cndmask_b32_e32 v38, v63, v39, vcc
	s_waitcnt vmcnt(2)
	v_mfma_f32_16x16x16f16 v[14:17], v[22:23], v[50:51], v[14:17]
	v_lshlrev_b64 v[22:23], 2, v[32:33]
	v_add_co_u32_e32 v22, vcc, s16, v22
	v_addc_co_u32_e32 v23, vcc, v28, v23, vcc
	v_add_co_u32_e32 v18, vcc, v29, v26
	v_addc_co_u32_e32 v19, vcc, v30, v27, vcc
	;; [unrolled: 2-line block ×3, first 2 shown]
	v_mfma_f32_16x16x16f16 v[64:67], v[24:25], v[52:53], v[14:17]
	global_load_dword v30, v[22:23], off
	v_ashrrev_i32_e32 v39, 31, v38
	v_lshlrev_b64 v[32:33], 2, v[38:39]
	v_add_co_u32_e32 v18, vcc, s16, v32
	v_addc_co_u32_e32 v19, vcc, v68, v33, vcc
	s_nop 1
	global_load_dwordx4 v[14:17], v[26:27], off
	global_load_dword v31, v[18:19], off
	s_nop 0
	global_load_dwordx4 v[18:21], v[26:27], off offset:1024
	global_load_dwordx4 v[68:71], v[26:27], off offset:2048
	;; [unrolled: 1-line block ×3, first 2 shown]
	v_mfma_f32_16x16x16f16 v[22:25], v[58:59], v[6:7], v[34:37]
	v_or_b32_e32 v28, 0x80, v62
	v_ashrrev_i32_e32 v29, 4, v28
	v_cmp_gt_i32_e32 vcc, s38, v28
	v_cndmask_b32_e32 v28, v63, v29, vcc
	v_ashrrev_i32_e32 v29, 31, v28
	v_lshlrev_b64 v[28:29], 2, v[28:29]
	v_mov_b32_e32 v32, s17
	v_mfma_f32_16x16x16f16 v[22:25], v[60:61], v[8:9], v[22:25]
	v_add_co_u32_e32 v28, vcc, s16, v28
	v_addc_co_u32_e32 v29, vcc, v32, v29, vcc
	global_load_dword v32, v[28:29], off
	v_or_b32_e32 v28, 0xc0, v62
	v_ashrrev_i32_e32 v29, 4, v28
	v_cmp_gt_i32_e32 vcc, s38, v28
	v_cndmask_b32_e32 v28, v63, v29, vcc
	v_ashrrev_i32_e32 v29, 31, v28
	v_lshlrev_b64 v[28:29], 2, v[28:29]
	s_waitcnt vmcnt(8)
	v_mfma_f32_16x16x16f16 v[22:25], v[42:43], v[10:11], v[22:25]
	v_mov_b32_e32 v33, s17
	v_add_co_u32_e32 v28, vcc, s16, v28
	v_addc_co_u32_e32 v29, vcc, v33, v29, vcc
	global_load_dword v58, v[28:29], off
	v_mov_b32_e32 v26, s10
	v_mfma_f32_16x16x16f16 v[22:25], v[44:45], v[12:13], v[22:25]
	v_add_co_u32_e32 v77, vcc, s8, v76
	v_addc_co_u32_e32 v78, vcc, 0, v26, vcc
	v_pk_mul_f32 v[80:81], s[0:1], v[66:67] op_sel_hi:[0,1]
	s_waitcnt vmcnt(8)
	v_mfma_f32_16x16x16f16 v[22:25], v[46:47], v[50:51], v[22:25]
	v_mfma_f32_16x16x16f16 v[72:75], v[48:49], v[52:53], v[22:25]
	s_waitcnt vmcnt(7)
	s_nop 7
	s_nop 0
	v_mad_i64_i32 v[22:23], s[2:3], v30, s1, 0
	v_lshlrev_b64 v[62:63], 1, v[22:23]
	s_waitcnt vmcnt(6)
	v_mfma_f32_16x16x16f16 v[22:25], v[14:15], v[2:3], 0
	v_add_co_u32_e32 v2, vcc, v77, v62
	v_addc_co_u32_e32 v3, vcc, v78, v63, vcc
	global_load_dwordx4 v[46:49], v[2:3], off
	global_load_dwordx4 v[42:45], v[2:3], off offset:16
	s_waitcnt vmcnt(7)
	v_mad_i64_i32 v[2:3], s[2:3], v31, s1, 0
	v_lshlrev_b64 v[14:15], 1, v[2:3]
	v_mfma_f32_16x16x16f16 v[2:5], v[16:17], v[4:5], v[22:25]
	v_add_co_u32_e32 v16, vcc, v77, v14
	v_addc_co_u32_e32 v17, vcc, v78, v15, vcc
	global_load_dwordx4 v[38:41], v[16:17], off
	global_load_dwordx4 v[34:37], v[16:17], off offset:16
	s_waitcnt vmcnt(5)
	v_mad_i64_i32 v[16:17], s[2:3], v32, s1, 0
	v_mfma_f32_16x16x16f16 v[2:5], v[18:19], v[6:7], v[2:5]
	v_lshlrev_b64 v[60:61], 1, v[16:17]
	v_add_co_u32_e32 v6, vcc, v77, v60
	v_addc_co_u32_e32 v7, vcc, v78, v61, vcc
	global_load_dwordx4 v[30:33], v[6:7], off
	global_load_dwordx4 v[26:29], v[6:7], off offset:16
	s_waitcnt vmcnt(6)
	v_mad_i64_i32 v[6:7], s[2:3], v58, s1, 0
	v_mfma_f32_16x16x16f16 v[2:5], v[20:21], v[8:9], v[2:5]
	v_lshlrev_b64 v[58:59], 1, v[6:7]
	v_add_co_u32_e32 v6, vcc, v77, v58
	v_addc_co_u32_e32 v7, vcc, v78, v59, vcc
	global_load_dwordx4 v[22:25], v[6:7], off
	global_load_dwordx4 v[18:21], v[6:7], off offset:16
	v_or_b32_e32 v6, 0x800, v76
	v_mfma_f32_16x16x16f16 v[2:5], v[68:69], v[10:11], v[2:5]
	v_mov_b32_e32 v7, s10
	v_add_co_u32_e32 v68, vcc, s8, v6
	v_addc_co_u32_e32 v69, vcc, 0, v7, vcc
	v_pk_mul_f32 v[76:77], s[0:1], v[74:75] op_sel_hi:[0,1]
	v_pk_mul_f32 v[74:75], s[0:1], v[72:73] op_sel_hi:[0,1]
	v_mfma_f32_16x16x16f16 v[10:13], v[70:71], v[12:13], v[2:5]
	v_pk_mul_f32 v[78:79], s[0:1], v[56:57] op_sel_hi:[0,1]
	v_pk_mul_f32 v[70:71], s[0:1], v[64:65] op_sel_hi:[0,1]
	v_mfma_f32_16x16x16f16 v[92:95], v[88:89], v[50:51], v[10:13]
	s_nop 3
	v_add_co_u32_e32 v2, vcc, v68, v62
	v_addc_co_u32_e32 v3, vcc, v69, v63, vcc
	v_add_co_u32_e32 v62, vcc, v68, v14
	v_addc_co_u32_e32 v63, vcc, v69, v15, vcc
	v_mfma_f32_16x16x16f16 v[50:53], v[90:91], v[52:53], v[92:95]
	global_load_dwordx4 v[6:9], v[2:3], off
	s_nop 0
	global_load_dwordx4 v[2:5], v[2:3], off offset:16
	s_nop 0
	global_load_dwordx4 v[14:17], v[62:63], off
	global_load_dwordx4 v[10:13], v[62:63], off offset:16
	v_pk_mul_f32 v[62:63], s[0:1], v[54:55] op_sel_hi:[0,1]
	s_nop 3
	v_pk_mul_f32 v[72:73], s[0:1], v[50:51] op_sel_hi:[0,1]
	v_and_b32_e32 v50, 0xc0, v0
	v_add_u32_e32 v50, s9, v50
	v_lshl_or_b32 v50, v1, 2, v50
	v_pk_mul_f32 v[66:67], s[0:1], v[52:53] op_sel_hi:[0,1]
	v_or_b32_e32 v53, 1, v50
	v_mov_b32_e32 v51, 0xff7fffff
	v_cmp_gt_i32_e64 s[28:29], s38, v50
	v_cmp_gt_i32_e64 s[30:31], s38, v53
	v_cndmask_b32_e64 v52, v51, v62, s[28:29]
	v_cndmask_b32_e64 v53, v51, v63, s[30:31]
	v_max3_f32 v52, v52, s40, v53
	v_or_b32_e32 v53, 2, v50
	v_or_b32_e32 v54, 3, v50
	v_cmp_gt_i32_e64 s[34:35], s38, v53
	v_cmp_gt_i32_e64 s[36:37], s38, v54
	v_cndmask_b32_e64 v53, v51, v78, s[34:35]
	v_cndmask_b32_e64 v54, v51, v79, s[36:37]
	v_max3_f32 v52, v52, v53, v54
	v_or_b32_e32 v53, 16, v50
	v_or_b32_e32 v54, 17, v50
	;; [unrolled: 7-line block ×7, first 2 shown]
	v_cmp_gt_i32_e32 vcc, s38, v53
	v_cmp_gt_i32_e64 s[0:1], s38, v50
	v_cndmask_b32_e32 v53, v51, v66, vcc
	v_cndmask_b32_e64 v50, v51, v67, s[0:1]
	v_max3_f32 v64, v52, v53, v50
	v_mbcnt_lo_u32_b32 v50, -1, 0
	v_mbcnt_hi_u32_b32 v65, -1, v50
	v_and_b32_e32 v50, 64, v65
	v_add_u32_e32 v88, 64, v50
	v_xor_b32_e32 v50, 32, v65
	v_cmp_lt_i32_e64 s[38:39], v50, v88
	v_cndmask_b32_e64 v50, v65, v50, s[38:39]
	v_lshlrev_b32_e32 v89, 2, v50
	ds_bpermute_b32 v90, v89, v64
	v_add_co_u32_e64 v50, s[38:39], v68, v60
	v_addc_co_u32_e64 v51, s[38:39], v69, v61, s[38:39]
	v_xor_b32_e32 v61, 16, v65
	v_cmp_lt_i32_e64 s[38:39], v61, v88
	s_waitcnt lgkmcnt(0)
	v_max_f32_e32 v60, v90, v90
	v_cndmask_b32_e64 v61, v65, v61, s[38:39]
	v_max_f32_e32 v60, v64, v60
	v_lshlrev_b32_e32 v90, 2, v61
	ds_bpermute_b32 v61, v90, v60
	v_add_co_u32_e64 v58, s[38:39], v68, v58
	v_addc_co_u32_e64 v59, s[38:39], v69, v59, s[38:39]
	s_waitcnt lgkmcnt(0)
	v_max_f32_e32 v61, v61, v61
	v_max_f32_e32 v88, v60, v61
	v_sub_f32_e32 v60, v62, v88
	v_mul_f32_e32 v60, 0x3fb8aa3b, v60
	v_exp_f32_e32 v68, v60
	v_sub_f32_e32 v60, v63, v88
	v_mul_f32_e32 v60, 0x3fb8aa3b, v60
	global_load_dwordx4 v[54:57], v[50:51], off
	s_nop 0
	global_load_dwordx4 v[50:53], v[50:51], off offset:16
	v_exp_f32_e32 v69, v60
	global_load_dwordx4 v[62:65], v[58:59], off
	s_nop 0
	global_load_dwordx4 v[58:61], v[58:59], off offset:16
	v_sub_f32_e32 v78, v78, v88
	v_mul_f32_e32 v78, 0x3fb8aa3b, v78
	v_sub_f32_e32 v79, v79, v88
	v_exp_f32_e32 v78, v78
	v_mul_f32_e32 v79, 0x3fb8aa3b, v79
	v_sub_f32_e32 v70, v70, v88
	v_exp_f32_e32 v79, v79
	v_mul_f32_e32 v70, 0x3fb8aa3b, v70
	v_sub_f32_e32 v71, v71, v88
	v_cndmask_b32_e64 v68, 0, v68, s[28:29]
	v_exp_f32_e32 v70, v70
	v_mul_f32_e32 v71, 0x3fb8aa3b, v71
	v_sub_f32_e32 v80, v80, v88
	v_add_f32_e32 v91, 0, v68
	v_cndmask_b32_e64 v69, 0, v69, s[30:31]
	v_exp_f32_e32 v71, v71
	v_mul_f32_e32 v80, 0x3fb8aa3b, v80
	v_sub_f32_e32 v81, v81, v88
	v_add_f32_e32 v91, v91, v69
	;; [unrolled: 5-line block ×10, first 2 shown]
	v_cndmask_b32_e64 v76, 0, v76, s[10:11]
	v_exp_f32_e32 v66, v66
	v_mul_f32_e32 v67, 0x3fb8aa3b, v67
	v_add_f32_e32 v91, v91, v76
	v_cndmask_b32_e64 v77, 0, v77, s[12:13]
	v_exp_f32_e32 v67, v67
	v_add_f32_e32 v91, v91, v77
	v_cndmask_b32_e64 v72, 0, v72, s[2:3]
	v_add_f32_e32 v91, v91, v72
	v_cndmask_b32_e64 v73, 0, v73, s[8:9]
	v_add_f32_e32 v91, v91, v73
	v_cndmask_b32_e32 v66, 0, v66, vcc
	v_add_f32_e32 v91, v91, v66
	v_cndmask_b32_e64 v67, 0, v67, s[0:1]
	v_add_f32_e32 v91, v91, v67
	ds_bpermute_b32 v89, v89, v91
	v_cmp_gt_u32_e32 vcc, 16, v86
	s_waitcnt lgkmcnt(0)
	s_barrier
	v_add_f32_e32 v89, v91, v89
	ds_bpermute_b32 v90, v90, v89
	s_and_saveexec_b64 s[0:1], vcc
	s_cbranch_execz .LBB137_13
; %bb.12:
	s_waitcnt lgkmcnt(0)
	v_add_f32_e32 v86, v89, v90
	v_lshlrev_b32_e32 v87, 2, v87
	ds_write2st64_b32 v87, v88, v86 offset1:1
.LBB137_13:
	s_or_b64 exec, exec, s[0:1]
	v_lshlrev_b32_e32 v87, 2, v83
	s_load_dword s2, s[4:5], 0x94
	s_waitcnt lgkmcnt(0)
	s_barrier
	ds_read2_b32 v[88:89], v87 offset1:16
	ds_read2_b32 v[90:91], v87 offset0:32 offset1:48
	ds_read2_b32 v[92:93], v87 offset0:64 offset1:80
	s_mul_i32 s3, s33, 6
	s_waitcnt lgkmcnt(2)
	v_max3_f32 v86, v88, s40, v89
	s_waitcnt lgkmcnt(1)
	v_max3_f32 v86, v86, v90, v91
	v_sub_f32_e32 v88, v88, v86
	v_mul_f32_e32 v88, 0x3fb8aa3b, v88
	v_exp_f32_e32 v94, v88
	v_sub_f32_e32 v88, v89, v86
	v_mul_f32_e32 v88, 0x3fb8aa3b, v88
	v_exp_f32_e32 v95, v88
	v_sub_f32_e32 v88, v90, v86
	v_mul_f32_e32 v88, 0x3fb8aa3b, v88
	v_exp_f32_e32 v90, v88
	ds_read2_b32 v[88:89], v87 offset0:96 offset1:112
	v_sub_f32_e32 v87, v91, v86
	v_mul_f32_e32 v87, 0x3fb8aa3b, v87
	v_exp_f32_e32 v91, v87
	s_waitcnt lgkmcnt(1)
	v_fma_f32 v87, v94, v92, 0
	v_fmac_f32_e32 v87, v95, v93
	s_waitcnt lgkmcnt(0)
	v_fmac_f32_e32 v87, v90, v88
	v_fmac_f32_e32 v87, v91, v89
	v_add_f32_e32 v88, 0x358637bd, v87
	v_div_scale_f32 v89, s[0:1], v88, v88, 1.0
	v_rcp_f32_e32 v92, v89
	s_barrier
	v_fma_f32 v93, -v89, v92, 1.0
	v_fmac_f32_e32 v92, v93, v92
	v_div_scale_f32 v93, vcc, 1.0, v88, 1.0
	v_mul_f32_e32 v82, v93, v92
	v_fma_f32 v84, -v89, v82, v93
	v_fmac_f32_e32 v82, v84, v92
	v_fma_f32 v84, -v89, v82, v93
	v_div_fmas_f32 v82, v84, v92, v82
	v_cmp_eq_u32_e32 vcc, 1, v85
	v_cndmask_b32_e32 v84, v94, v95, vcc
	v_cmp_eq_u32_e32 vcc, 2, v85
	v_cndmask_b32_e32 v84, v84, v90, vcc
	v_cmp_eq_u32_e32 vcc, 3, v85
	v_div_fixup_f32 v82, v82, v88, 1.0
	v_cndmask_b32_e32 v84, v84, v91, vcc
	v_mul_f32_e32 v88, v84, v82
	v_pk_mul_f32 v[78:79], v[88:89], v[78:79] op_sel_hi:[0,1]
	v_cvt_f16_f32_e32 v78, v78
	v_cvt_f16_f32_e32 v79, v79
	v_pk_mul_f32 v[68:69], v[88:89], v[68:69] op_sel_hi:[0,1]
	v_cvt_f16_f32_e32 v68, v68
	v_cvt_f16_f32_e32 v69, v69
	v_pack_b32_f16 v91, v78, v79
	v_pk_mul_f32 v[78:79], v[88:89], v[80:81] op_sel_hi:[0,1]
	v_pk_mul_f32 v[70:71], v[88:89], v[70:71] op_sel_hi:[0,1]
	v_cvt_f16_f32_e32 v70, v70
	v_cvt_f16_f32_e32 v71, v71
	;; [unrolled: 1-line block ×4, first 2 shown]
	v_pack_b32_f16 v90, v68, v69
	v_lshlrev_b32_e32 v69, 3, v1
	v_lshlrev_b32_e32 v68, 5, v83
	;; [unrolled: 1-line block ×3, first 2 shown]
	v_or3_b32 v78, v78, v68, v69
	v_pack_b32_f16 v70, v70, v71
	v_pack_b32_f16 v71, v80, v79
	ds_write2st64_b64 v78, v[90:91], v[70:71] offset1:1
	v_pk_mul_f32 v[70:71], v[88:89], v[76:77] op_sel_hi:[0,1]
	v_pk_mul_f32 v[74:75], v[88:89], v[74:75] op_sel_hi:[0,1]
	v_cvt_f16_f32_e32 v69, v74
	v_cvt_f16_f32_e32 v74, v75
	;; [unrolled: 1-line block ×4, first 2 shown]
	v_pk_mul_f32 v[66:67], v[88:89], v[66:67] op_sel_hi:[0,1]
	v_pk_mul_f32 v[70:71], v[88:89], v[72:73] op_sel_hi:[0,1]
	v_cvt_f16_f32_e32 v70, v70
	v_cvt_f16_f32_e32 v71, v71
	;; [unrolled: 1-line block ×4, first 2 shown]
	v_pack_b32_f16 v66, v69, v74
	v_pack_b32_f16 v67, v75, v76
	;; [unrolled: 1-line block ×4, first 2 shown]
	v_cmp_gt_u32_e32 vcc, 6, v0
	ds_write2st64_b64 v78, v[66:67], v[70:71] offset0:2 offset1:3
	s_and_saveexec_b64 s[0:1], vcc
	s_cbranch_execz .LBB137_15
; %bb.14:
	v_add_co_u32_e32 v70, vcc, s27, v83
	v_addc_co_u32_e64 v71, s[12:13], 0, 0, vcc
	v_mov_b32_e32 v66, s3
	v_mov_b32_e32 v67, 0
	v_mad_u64_u32 v[70:71], s[12:13], s6, v66, v[70:71]
	v_mov_b32_e32 v66, s26
	s_load_dwordx4 s[8:11], s[4:5], 0x58
	s_mul_i32 s7, s7, s3
	v_mad_u64_u32 v[66:67], s[12:13], v70, s2, v[66:67]
	v_add_u32_e32 v69, s7, v71
	v_mov_b32_e32 v70, v67
	v_mad_u64_u32 v[70:71], s[12:13], v69, s2, v[70:71]
	v_mov_b32_e32 v67, v70
	v_lshlrev_b64 v[66:67], 2, v[66:67]
	s_waitcnt lgkmcnt(0)
	v_mov_b32_e32 v69, s11
	v_add_co_u32_e32 v70, vcc, s10, v66
	v_addc_co_u32_e32 v71, vcc, v69, v67, vcc
	v_mov_b32_e32 v69, s9
	v_add_co_u32_e32 v66, vcc, s8, v66
	v_addc_co_u32_e32 v67, vcc, v69, v67, vcc
	global_store_dword v[70:71], v86, off
	global_store_dword v[66:67], v87, off
.LBB137_15:
	s_or_b64 exec, exec, s[0:1]
	v_lshl_or_b32 v79, v1, 9, v68
	s_waitcnt lgkmcnt(0)
	s_barrier
	ds_read_b128 v[70:73], v79
	ds_read_b128 v[66:69], v79 offset:16
	s_waitcnt vmcnt(15) lgkmcnt(1)
	v_mfma_f32_16x16x16f16 v[74:77], v[46:47], v[70:71], 0
	s_mov_b32 s1, 0
	v_cmp_gt_u32_e32 vcc, 64, v0
	v_mfma_f32_16x16x16f16 v[46:49], v[48:49], v[72:73], v[74:77]
	s_waitcnt vmcnt(14) lgkmcnt(0)
	v_mfma_f32_16x16x16f16 v[46:49], v[42:43], v[66:67], v[46:49]
	v_mfma_f32_16x16x16f16 v[42:45], v[44:45], v[68:69], v[46:49]
	s_nop 7
	s_nop 1
	ds_read_b128 v[46:49], v79 offset:2048
	ds_read_b128 v[74:77], v79 offset:2064
	s_waitcnt vmcnt(13) lgkmcnt(1)
	v_mfma_f32_16x16x16f16 v[42:45], v[38:39], v[46:47], v[42:45]
	v_mfma_f32_16x16x16f16 v[38:41], v[40:41], v[48:49], v[42:45]
	s_waitcnt vmcnt(12) lgkmcnt(0)
	v_mfma_f32_16x16x16f16 v[38:41], v[34:35], v[74:75], v[38:41]
	v_mfma_f32_16x16x16f16 v[34:37], v[36:37], v[76:77], v[38:41]
	s_nop 7
	s_nop 1
	ds_read_b128 v[38:41], v79 offset:4096
	ds_read_b128 v[42:45], v79 offset:4112
	s_waitcnt vmcnt(11) lgkmcnt(1)
	v_mfma_f32_16x16x16f16 v[34:37], v[30:31], v[38:39], v[34:37]
	v_mfma_f32_16x16x16f16 v[30:33], v[32:33], v[40:41], v[34:37]
	s_waitcnt vmcnt(10) lgkmcnt(0)
	v_mfma_f32_16x16x16f16 v[30:33], v[26:27], v[42:43], v[30:33]
	v_mfma_f32_16x16x16f16 v[26:29], v[28:29], v[44:45], v[30:33]
	s_nop 7
	s_nop 1
	ds_read_b128 v[30:33], v79 offset:6144
	ds_read_b128 v[34:37], v79 offset:6160
	s_waitcnt lgkmcnt(0)
	s_barrier
	s_waitcnt vmcnt(9)
	v_mfma_f32_16x16x16f16 v[26:29], v[22:23], v[30:31], v[26:29]
	v_mfma_f32_16x16x16f16 v[22:25], v[24:25], v[32:33], v[26:29]
	s_waitcnt vmcnt(8)
	v_mfma_f32_16x16x16f16 v[22:25], v[18:19], v[34:35], v[22:25]
	v_mfma_f32_16x16x16f16 v[18:21], v[20:21], v[36:37], v[22:25]
	;; [unrolled: 3-line block ×4, first 2 shown]
	s_waitcnt vmcnt(5)
	v_mfma_f32_16x16x16f16 v[2:5], v[14:15], v[46:47], v[2:5]
	s_nop 7
	v_cvt_f16_f32_e32 v6, v18
	v_cvt_f16_f32_e32 v7, v19
	v_cvt_f16_f32_e32 v8, v20
	v_cvt_f16_f32_e32 v9, v21
	v_mfma_f32_16x16x16f16 v[2:5], v[16:17], v[48:49], v[2:5]
	s_waitcnt vmcnt(4)
	v_mfma_f32_16x16x16f16 v[2:5], v[10:11], v[74:75], v[2:5]
	v_mfma_f32_16x16x16f16 v[2:5], v[12:13], v[76:77], v[2:5]
	s_waitcnt vmcnt(3)
	v_mfma_f32_16x16x16f16 v[2:5], v[54:55], v[38:39], v[2:5]
	v_mfma_f32_16x16x16f16 v[2:5], v[56:57], v[40:41], v[2:5]
	s_waitcnt vmcnt(2)
	v_mfma_f32_16x16x16f16 v[2:5], v[50:51], v[42:43], v[2:5]
	v_mfma_f32_16x16x16f16 v[2:5], v[52:53], v[44:45], v[2:5]
	s_waitcnt vmcnt(1)
	v_mfma_f32_16x16x16f16 v[2:5], v[62:63], v[30:31], v[2:5]
	v_mfma_f32_16x16x16f16 v[2:5], v[64:65], v[32:33], v[2:5]
	s_waitcnt vmcnt(0)
	v_mfma_f32_16x16x16f16 v[2:5], v[58:59], v[34:35], v[2:5]
	v_mfma_f32_16x16x16f16 v[2:5], v[60:61], v[36:37], v[2:5]
	s_nop 7
	s_nop 2
	v_cvt_f16_f32_e32 v10, v2
	v_cvt_f16_f32_e32 v11, v3
	;; [unrolled: 1-line block ×4, first 2 shown]
	v_pack_b32_f16 v2, v6, v7
	v_pack_b32_f16 v3, v8, v9
	;; [unrolled: 1-line block ×4, first 2 shown]
	ds_write2st64_b64 v78, v[2:3], v[4:5] offset1:1
	s_waitcnt lgkmcnt(0)
	s_barrier
	s_and_saveexec_b64 s[8:9], vcc
	s_cbranch_execz .LBB137_18
; %bb.16:
	v_lshlrev_b32_e32 v5, 6, v83
	v_lshlrev_b32_e32 v4, 4, v0
	v_lshl_or_b32 v0, v0, 10, v5
	v_lshlrev_b32_e32 v3, 5, v1
	v_and_b32_e32 v4, 16, v4
	v_and_b32_e32 v0, 0x1a00, v0
	v_or3_b32 v0, v0, v3, v4
	buffer_load_dword v3, off, s[44:47], 0  ; 4-byte Folded Reload
	s_load_dwordx2 s[4:5], s[4:5], 0x68
	s_lshl_b32 s2, s2, 7
	s_mul_i32 s0, s3, s6
	s_mul_hi_u32 s7, s0, s2
	s_mul_i32 s6, s0, s2
	s_lshl_b64 s[6:7], s[6:7], 1
	s_waitcnt lgkmcnt(0)
	s_add_u32 s3, s4, s6
	s_addc_u32 s4, s5, s7
	s_lshl_b32 s0, s26, 7
	s_lshl_b64 s[0:1], s[0:1], 1
	s_add_u32 s0, s3, s0
	v_or_b32_e32 v2, 4, v1
	s_addc_u32 s1, s4, s1
	v_add_u32_e32 v1, s27, v1
	v_mov_b32_e32 v4, s1
	ds_read_b128 v[6:9], v0
	s_waitcnt vmcnt(0)
	v_add_co_u32_e32 v3, vcc, s0, v3
	v_mad_u64_u32 v[10:11], s[0:1], v1, s2, 0
	v_addc_co_u32_e32 v4, vcc, 0, v4, vcc
	v_lshlrev_b64 v[10:11], 1, v[10:11]
	v_add_co_u32_e32 v10, vcc, v3, v10
	v_addc_co_u32_e32 v11, vcc, v4, v11, vcc
	v_cmp_gt_u32_e32 vcc, 6, v2
	s_waitcnt lgkmcnt(0)
	global_store_dwordx4 v[10:11], v[6:9], off
	s_and_b64 exec, exec, vcc
	s_cbranch_execz .LBB137_18
; %bb.17:
	ds_read_b128 v[6:9], v0 offset:128
	v_add_u32_e32 v0, s27, v2
	v_mad_u64_u32 v[0:1], s[0:1], v0, s2, 0
	v_lshlrev_b64 v[0:1], 1, v[0:1]
	v_add_co_u32_e32 v0, vcc, v3, v0
	v_addc_co_u32_e32 v1, vcc, v4, v1, vcc
	s_waitcnt lgkmcnt(0)
	global_store_dwordx4 v[0:1], v[6:9], off
.LBB137_18:
	s_endpgm
	.section	.rodata,"a",@progbits
	.p2align	6, 0x0
	.amdhsa_kernel _Z39paged_attention_ll4mi_QKV_mfma16_kernelIDF16_DF16_LN4vllm18Fp8KVCacheDataTypeE0EDF16_Li16ELi128ELi256ELb0ELi6EL8MFMAType0EEvPKT_PKT0_S8_ifPKiSA_SA_iPKfiiiPfSD_PS3_PT2_iSC_SC_
		.amdhsa_group_segment_fixed_size 8192
		.amdhsa_private_segment_fixed_size 8
		.amdhsa_kernarg_size 400
		.amdhsa_user_sgpr_count 6
		.amdhsa_user_sgpr_private_segment_buffer 1
		.amdhsa_user_sgpr_dispatch_ptr 0
		.amdhsa_user_sgpr_queue_ptr 0
		.amdhsa_user_sgpr_kernarg_segment_ptr 1
		.amdhsa_user_sgpr_dispatch_id 0
		.amdhsa_user_sgpr_flat_scratch_init 0
		.amdhsa_user_sgpr_kernarg_preload_length 0
		.amdhsa_user_sgpr_kernarg_preload_offset 0
		.amdhsa_user_sgpr_private_segment_size 0
		.amdhsa_uses_dynamic_stack 0
		.amdhsa_system_sgpr_private_segment_wavefront_offset 1
		.amdhsa_system_sgpr_workgroup_id_x 1
		.amdhsa_system_sgpr_workgroup_id_y 1
		.amdhsa_system_sgpr_workgroup_id_z 1
		.amdhsa_system_sgpr_workgroup_info 0
		.amdhsa_system_vgpr_workitem_id 0
		.amdhsa_next_free_vgpr 96
		.amdhsa_next_free_sgpr 48
		.amdhsa_accum_offset 96
		.amdhsa_reserve_vcc 1
		.amdhsa_reserve_flat_scratch 0
		.amdhsa_float_round_mode_32 0
		.amdhsa_float_round_mode_16_64 0
		.amdhsa_float_denorm_mode_32 3
		.amdhsa_float_denorm_mode_16_64 3
		.amdhsa_dx10_clamp 1
		.amdhsa_ieee_mode 1
		.amdhsa_fp16_overflow 0
		.amdhsa_tg_split 0
		.amdhsa_exception_fp_ieee_invalid_op 0
		.amdhsa_exception_fp_denorm_src 0
		.amdhsa_exception_fp_ieee_div_zero 0
		.amdhsa_exception_fp_ieee_overflow 0
		.amdhsa_exception_fp_ieee_underflow 0
		.amdhsa_exception_fp_ieee_inexact 0
		.amdhsa_exception_int_div_zero 0
	.end_amdhsa_kernel
	.section	.text._Z39paged_attention_ll4mi_QKV_mfma16_kernelIDF16_DF16_LN4vllm18Fp8KVCacheDataTypeE0EDF16_Li16ELi128ELi256ELb0ELi6EL8MFMAType0EEvPKT_PKT0_S8_ifPKiSA_SA_iPKfiiiPfSD_PS3_PT2_iSC_SC_,"axG",@progbits,_Z39paged_attention_ll4mi_QKV_mfma16_kernelIDF16_DF16_LN4vllm18Fp8KVCacheDataTypeE0EDF16_Li16ELi128ELi256ELb0ELi6EL8MFMAType0EEvPKT_PKT0_S8_ifPKiSA_SA_iPKfiiiPfSD_PS3_PT2_iSC_SC_,comdat
.Lfunc_end137:
	.size	_Z39paged_attention_ll4mi_QKV_mfma16_kernelIDF16_DF16_LN4vllm18Fp8KVCacheDataTypeE0EDF16_Li16ELi128ELi256ELb0ELi6EL8MFMAType0EEvPKT_PKT0_S8_ifPKiSA_SA_iPKfiiiPfSD_PS3_PT2_iSC_SC_, .Lfunc_end137-_Z39paged_attention_ll4mi_QKV_mfma16_kernelIDF16_DF16_LN4vllm18Fp8KVCacheDataTypeE0EDF16_Li16ELi128ELi256ELb0ELi6EL8MFMAType0EEvPKT_PKT0_S8_ifPKiSA_SA_iPKfiiiPfSD_PS3_PT2_iSC_SC_
                                        ; -- End function
	.section	.AMDGPU.csdata,"",@progbits
; Kernel info:
; codeLenInByte = 4596
; NumSgprs: 52
; NumVgprs: 96
; NumAgprs: 0
; TotalNumVgprs: 96
; ScratchSize: 8
; MemoryBound: 0
; FloatMode: 240
; IeeeMode: 1
; LDSByteSize: 8192 bytes/workgroup (compile time only)
; SGPRBlocks: 6
; VGPRBlocks: 11
; NumSGPRsForWavesPerEU: 52
; NumVGPRsForWavesPerEU: 96
; AccumOffset: 96
; Occupancy: 5
; WaveLimiterHint : 1
; COMPUTE_PGM_RSRC2:SCRATCH_EN: 1
; COMPUTE_PGM_RSRC2:USER_SGPR: 6
; COMPUTE_PGM_RSRC2:TRAP_HANDLER: 0
; COMPUTE_PGM_RSRC2:TGID_X_EN: 1
; COMPUTE_PGM_RSRC2:TGID_Y_EN: 1
; COMPUTE_PGM_RSRC2:TGID_Z_EN: 1
; COMPUTE_PGM_RSRC2:TIDIG_COMP_CNT: 0
; COMPUTE_PGM_RSRC3_GFX90A:ACCUM_OFFSET: 23
; COMPUTE_PGM_RSRC3_GFX90A:TG_SPLIT: 0
	.section	.text._Z39paged_attention_ll4mi_QKV_mfma16_kernelIDF16_DF16_LN4vllm18Fp8KVCacheDataTypeE0EDF16_Li16ELi128ELi256ELb0ELi7EL8MFMAType0EEvPKT_PKT0_S8_ifPKiSA_SA_iPKfiiiPfSD_PS3_PT2_iSC_SC_,"axG",@progbits,_Z39paged_attention_ll4mi_QKV_mfma16_kernelIDF16_DF16_LN4vllm18Fp8KVCacheDataTypeE0EDF16_Li16ELi128ELi256ELb0ELi7EL8MFMAType0EEvPKT_PKT0_S8_ifPKiSA_SA_iPKfiiiPfSD_PS3_PT2_iSC_SC_,comdat
	.protected	_Z39paged_attention_ll4mi_QKV_mfma16_kernelIDF16_DF16_LN4vllm18Fp8KVCacheDataTypeE0EDF16_Li16ELi128ELi256ELb0ELi7EL8MFMAType0EEvPKT_PKT0_S8_ifPKiSA_SA_iPKfiiiPfSD_PS3_PT2_iSC_SC_ ; -- Begin function _Z39paged_attention_ll4mi_QKV_mfma16_kernelIDF16_DF16_LN4vllm18Fp8KVCacheDataTypeE0EDF16_Li16ELi128ELi256ELb0ELi7EL8MFMAType0EEvPKT_PKT0_S8_ifPKiSA_SA_iPKfiiiPfSD_PS3_PT2_iSC_SC_
	.globl	_Z39paged_attention_ll4mi_QKV_mfma16_kernelIDF16_DF16_LN4vllm18Fp8KVCacheDataTypeE0EDF16_Li16ELi128ELi256ELb0ELi7EL8MFMAType0EEvPKT_PKT0_S8_ifPKiSA_SA_iPKfiiiPfSD_PS3_PT2_iSC_SC_
	.p2align	8
	.type	_Z39paged_attention_ll4mi_QKV_mfma16_kernelIDF16_DF16_LN4vllm18Fp8KVCacheDataTypeE0EDF16_Li16ELi128ELi256ELb0ELi7EL8MFMAType0EEvPKT_PKT0_S8_ifPKiSA_SA_iPKfiiiPfSD_PS3_PT2_iSC_SC_,@function
_Z39paged_attention_ll4mi_QKV_mfma16_kernelIDF16_DF16_LN4vllm18Fp8KVCacheDataTypeE0EDF16_Li16ELi128ELi256ELb0ELi7EL8MFMAType0EEvPKT_PKT0_S8_ifPKiSA_SA_iPKfiiiPfSD_PS3_PT2_iSC_SC_: ; @_Z39paged_attention_ll4mi_QKV_mfma16_kernelIDF16_DF16_LN4vllm18Fp8KVCacheDataTypeE0EDF16_Li16ELi128ELi256ELb0ELi7EL8MFMAType0EEvPKT_PKT0_S8_ifPKiSA_SA_iPKfiiiPfSD_PS3_PT2_iSC_SC_
; %bb.0:
	s_mov_b64 s[46:47], s[2:3]
	s_mov_b64 s[44:45], s[0:1]
	s_load_dwordx2 s[0:1], s[4:5], 0x30
	s_add_u32 s44, s44, s9
	s_addc_u32 s45, s45, 0
	s_mov_b32 s26, s7
	s_mov_b64 s[10:11], 0
	s_waitcnt lgkmcnt(0)
	s_cmp_lg_u64 s[0:1], 0
	s_cselect_b64 s[2:3], -1, 0
	s_and_b64 vcc, exec, s[2:3]
	s_cbranch_vccz .LBB138_7
; %bb.1:
	s_add_i32 s12, s6, 1
	s_mov_b32 s13, 0
	s_lshl_b64 s[14:15], s[12:13], 2
	s_add_u32 s14, s0, s14
	s_mov_b32 s7, s13
	s_addc_u32 s15, s1, s15
	s_lshl_b64 s[12:13], s[6:7], 2
	s_add_u32 s12, s0, s12
	s_addc_u32 s13, s1, s13
	s_load_dword s9, s[14:15], 0x0
	s_load_dword s16, s[12:13], 0x0
	s_waitcnt lgkmcnt(0)
	s_sub_i32 s9, s9, s16
	s_cmp_eq_u32 s9, 1
	s_cselect_b64 s[12:13], -1, 0
	s_andn2_b64 vcc, exec, s[10:11]
	s_cbranch_vccnz .LBB138_3
.LBB138_2:
	s_mov_b32 s7, 0
	s_mov_b64 s[12:13], -1
.LBB138_3:
	s_andn2_b64 vcc, exec, s[12:13]
	s_cbranch_vccnz .LBB138_18
; %bb.4:
	s_load_dwordx2 s[12:13], s[4:5], 0x28
	s_lshl_b64 s[10:11], s[6:7], 2
	s_waitcnt lgkmcnt(0)
	s_add_u32 s12, s12, s10
	s_addc_u32 s13, s13, s11
	s_load_dword s38, s[12:13], 0x0
	s_lshl_b32 s9, s26, 8
	s_waitcnt lgkmcnt(0)
	s_cmp_ge_i32 s9, s38
	s_cbranch_scc1 .LBB138_18
; %bb.5:
	s_add_i32 s15, s38, 15
	s_load_dwordx2 s[12:13], s[4:5], 0x20
	s_load_dword s14, s[4:5], 0x38
	s_ashr_i32 s16, s15, 31
	v_and_b32_e32 v1, 0xcf, v0
	s_lshr_b32 s16, s16, 28
	v_add_u32_e32 v1, s9, v1
	s_add_i32 s15, s15, s16
	v_ashrrev_i32_e32 v2, 31, v1
	s_ashr_i32 s18, s15, 4
	v_lshrrev_b32_e32 v6, 28, v2
	s_add_i32 s18, s18, -1
	v_add_u32_e32 v2, v1, v6
	s_waitcnt lgkmcnt(0)
	s_mul_i32 s14, s6, s14
	s_mov_b32 s15, 0
	v_ashrrev_i32_e32 v2, 4, v2
	v_mov_b32_e32 v7, s18
	v_cmp_gt_i32_e32 vcc, s38, v1
	s_lshl_b64 s[14:15], s[14:15], 2
	v_cndmask_b32_e32 v2, v7, v2, vcc
	s_add_u32 s16, s12, s14
	v_ashrrev_i32_e32 v3, 31, v2
	s_addc_u32 s17, s13, s15
	v_lshlrev_b64 v[2:3], 2, v[2:3]
	v_mov_b32_e32 v5, s17
	v_add_co_u32_e32 v4, vcc, s16, v2
	v_or_b32_e32 v2, 16, v1
	v_addc_co_u32_e32 v5, vcc, v5, v3, vcc
	v_add_u32_e32 v3, v2, v6
	v_ashrrev_i32_e32 v3, 4, v3
	v_cmp_gt_i32_e32 vcc, s38, v2
	v_cndmask_b32_e32 v2, v7, v3, vcc
	v_ashrrev_i32_e32 v3, 31, v2
	v_lshlrev_b64 v[2:3], 2, v[2:3]
	v_mov_b32_e32 v9, s17
	v_add_co_u32_e32 v8, vcc, s16, v2
	v_or_b32_e32 v2, 32, v1
	v_addc_co_u32_e32 v9, vcc, v9, v3, vcc
	v_add_u32_e32 v3, v2, v6
	v_ashrrev_i32_e32 v3, 4, v3
	v_cmp_gt_i32_e32 vcc, s38, v2
	v_cndmask_b32_e32 v2, v7, v3, vcc
	v_ashrrev_i32_e32 v3, 31, v2
	v_lshlrev_b64 v[2:3], 2, v[2:3]
	v_mov_b32_e32 v11, s17
	v_add_co_u32_e32 v10, vcc, s16, v2
	v_or_b32_e32 v1, 48, v1
	v_addc_co_u32_e32 v11, vcc, v11, v3, vcc
	v_add_u32_e32 v2, v1, v6
	v_ashrrev_i32_e32 v2, 4, v2
	v_cmp_gt_i32_e32 vcc, s38, v1
	v_cndmask_b32_e32 v2, v7, v2, vcc
	v_ashrrev_i32_e32 v3, 31, v2
	v_lshlrev_b64 v[2:3], 2, v[2:3]
	v_mov_b32_e32 v1, s17
	v_add_co_u32_e32 v12, vcc, s16, v2
	v_addc_co_u32_e32 v13, vcc, v1, v3, vcc
	global_load_dword v3, v[4:5], off
	global_load_dword v2, v[8:9], off
	;; [unrolled: 1-line block ×4, first 2 shown]
	s_load_dwordx4 s[12:15], s[4:5], 0x8
	s_andn2_b64 vcc, exec, s[2:3]
	s_cbranch_vccnz .LBB138_8
; %bb.6:
	s_add_u32 s0, s0, s10
	s_addc_u32 s1, s1, s11
	s_load_dword s19, s[0:1], 0x0
	s_branch .LBB138_9
.LBB138_7:
	s_mov_b64 s[12:13], 0
	s_branch .LBB138_2
.LBB138_8:
	s_mov_b32 s19, s6
.LBB138_9:
	s_load_dwordx4 s[0:3], s[4:5], 0x48
	v_lshrrev_b32_e32 v85, 6, v0
	v_bfe_u32 v1, v0, 4, 2
	v_and_b32_e32 v83, 15, v0
	v_lshl_or_b32 v4, v85, 2, v1
	v_lshlrev_b32_e32 v5, 3, v83
	v_and_b32_e32 v86, 63, v0
	s_mul_i32 s27, s8, 7
	v_cmp_gt_u32_e32 vcc, 7, v4
	v_lshlrev_b32_e32 v5, 1, v5
	buffer_store_dword v5, off, s[44:47], 0 ; 4-byte Folded Spill
	s_and_saveexec_b64 s[10:11], vcc
	s_cbranch_execz .LBB138_11
; %bb.10:
	s_load_dwordx2 s[20:21], s[4:5], 0x0
	s_waitcnt lgkmcnt(0)
	s_ashr_i32 s3, s0, 31
	s_mul_hi_u32 s22, s19, s0
	s_mul_i32 s3, s19, s3
	s_add_i32 s23, s22, s3
	s_mul_i32 s22, s19, s0
	v_add_lshl_u32 v8, v4, s27, 7
	s_lshl_b64 s[22:23], s[22:23], 1
	v_ashrrev_i32_e32 v9, 31, v8
	s_add_u32 s0, s20, s22
	v_lshlrev_b64 v[8:9], 1, v[8:9]
	v_add_co_u32_e32 v7, vcc, s0, v8
	buffer_load_dword v8, off, s[44:47], 0  ; 4-byte Folded Reload
	s_addc_u32 s3, s21, s23
	v_mov_b32_e32 v5, s3
	v_addc_co_u32_e32 v5, vcc, v5, v9, vcc
	v_lshlrev_b32_e32 v4, 5, v4
	s_waitcnt vmcnt(0)
	v_add_co_u32_e32 v8, vcc, v7, v8
	v_addc_co_u32_e32 v9, vcc, 0, v5, vcc
	global_load_dwordx4 v[8:11], v[8:9], off
	v_and_b32_e32 v5, 3, v0
	v_lshlrev_b32_e32 v7, 9, v83
	v_lshlrev_b32_e32 v5, 9, v5
	v_and_b32_e32 v7, 0x1800, v7
	v_or3_b32 v4, v7, v5, v4
	s_waitcnt vmcnt(0)
	ds_write_b128 v4, v[8:11]
.LBB138_11:
	s_or_b64 exec, exec, s[10:11]
	s_waitcnt lgkmcnt(0)
	s_mul_i32 s2, s8, s2
	s_mov_b32 s3, 0
	s_lshl_b64 s[2:3], s[2:3], 1
	s_add_u32 s8, s12, s2
	v_lshlrev_b32_e32 v7, 4, v0
	s_addc_u32 s10, s13, s3
	v_and_b32_e32 v4, 0xf0, v7
	v_mov_b32_e32 v5, s10
	v_add_co_u32_e32 v29, vcc, s8, v4
	v_addc_co_u32_e32 v30, vcc, 0, v5, vcc
	s_waitcnt vmcnt(4)
	v_mad_i64_i32 v[4:5], s[10:11], v3, s1, 0
	v_lshlrev_b64 v[4:5], 1, v[4:5]
	v_add_co_u32_e32 v3, vcc, v29, v4
	v_addc_co_u32_e32 v4, vcc, v30, v5, vcc
	v_and_b32_e32 v31, 0x300, v7
	v_add_co_u32_e32 v22, vcc, v3, v31
	v_addc_co_u32_e32 v23, vcc, 0, v4, vcc
	s_load_dword s33, s[4:5], 0x98
	s_load_dword s0, s[4:5], 0x1c
	s_waitcnt lgkmcnt(0)
	s_barrier
	global_load_dwordx4 v[10:13], v[22:23], off
	global_load_dwordx4 v[18:21], v[22:23], off offset:1024
	s_waitcnt vmcnt(5)
	v_mad_i64_i32 v[2:3], s[10:11], v2, s1, 0
	v_lshlrev_b64 v[2:3], 1, v[2:3]
	v_add_co_u32_e32 v2, vcc, v29, v2
	v_addc_co_u32_e32 v3, vcc, v30, v3, vcc
	v_add_co_u32_e32 v24, vcc, v2, v31
	v_addc_co_u32_e32 v25, vcc, 0, v3, vcc
	global_load_dwordx4 v[14:17], v[24:25], off
	global_load_dwordx4 v[38:41], v[24:25], off offset:1024
	v_mul_lo_u16_e32 v2, 37, v83
	v_mov_b32_e32 v3, 7
	v_mul_lo_u16_sdwa v2, v2, v3 dst_sel:DWORD dst_unused:UNUSED_PAD src0_sel:BYTE_1 src1_sel:DWORD
	v_mov_b32_e32 v4, 5
	v_sub_u16_e32 v2, v83, v2
	v_lshlrev_b32_sdwa v2, v4, v2 dst_sel:DWORD dst_unused:UNUSED_PAD src0_sel:DWORD src1_sel:BYTE_0
	v_lshl_add_u32 v32, v1, 9, v2
	ds_read_b128 v[2:5], v32
	s_waitcnt vmcnt(6)
	v_mad_i64_i32 v[6:7], s[10:11], v6, s1, 0
	v_lshlrev_b64 v[26:27], 1, v[6:7]
	ds_read_b128 v[6:9], v32 offset:2048
	v_and_or_b32 v62, v0, 48, s9
	v_mov_b32_e32 v63, s18
	v_mov_b32_e32 v68, s17
	s_add_u32 s8, s14, s2
	v_lshl_or_b32 v87, v85, 4, v83
	v_lshlrev_b32_e32 v76, 5, v87
	s_mov_b32 s40, 0xff7fffff
	s_waitcnt vmcnt(3) lgkmcnt(1)
	v_mfma_f32_16x16x16f16 v[34:37], v[10:11], v[2:3], 0
	v_add_co_u32_e32 v10, vcc, v29, v26
	v_addc_co_u32_e32 v11, vcc, v30, v27, vcc
	v_add_co_u32_e32 v26, vcc, v10, v31
	v_addc_co_u32_e32 v27, vcc, 0, v11, vcc
	global_load_dwordx4 v[46:49], v[26:27], off
	global_load_dwordx4 v[58:61], v[26:27], off offset:1024
	s_waitcnt vmcnt(3)
	v_mfma_f32_16x16x16f16 v[42:45], v[14:15], v[2:3], 0
	v_cmp_gt_i32_e32 vcc, s38, v62
	v_mfma_f32_16x16x16f16 v[14:17], v[16:17], v[4:5], v[42:45]
	s_nop 7
	s_nop 0
	global_load_dwordx4 v[42:45], v[22:23], off offset:2048
	v_mfma_f32_16x16x16f16 v[10:13], v[12:13], v[4:5], v[34:37]
	s_waitcnt vmcnt(3) lgkmcnt(0)
	v_mfma_f32_16x16x16f16 v[14:17], v[38:39], v[6:7], v[14:17]
	v_mfma_f32_16x16x16f16 v[10:13], v[18:19], v[6:7], v[10:13]
	;; [unrolled: 1-line block ×3, first 2 shown]
	global_load_dwordx4 v[38:41], v[22:23], off offset:3072
	v_mfma_f32_16x16x16f16 v[18:21], v[20:21], v[8:9], v[10:13]
	s_waitcnt vmcnt(3)
	v_mfma_f32_16x16x16f16 v[50:53], v[46:47], v[2:3], 0
	v_mfma_f32_16x16x16f16 v[34:37], v[48:49], v[4:5], v[50:53]
	global_load_dwordx4 v[46:49], v[24:25], off offset:2048
	s_nop 3
	ds_read_b128 v[10:13], v32 offset:4096
	s_nop 3
	ds_read_b128 v[50:53], v32 offset:6144
	global_load_dwordx4 v[22:25], v[24:25], off offset:3072
	v_mad_i64_i32 v[32:33], s[10:11], v28, s1, 0
	v_mov_b32_e32 v28, s17
	s_addc_u32 s10, s15, s3
	s_waitcnt vmcnt(3) lgkmcnt(1)
	v_mfma_f32_16x16x16f16 v[18:21], v[42:43], v[10:11], v[18:21]
	v_mfma_f32_16x16x16f16 v[18:21], v[44:45], v[12:13], v[18:21]
	global_load_dwordx4 v[42:45], v[26:27], off offset:2048
	s_waitcnt vmcnt(3) lgkmcnt(0)
	v_mfma_f32_16x16x16f16 v[18:21], v[38:39], v[50:51], v[18:21]
	v_or_b32_e32 v38, 64, v62
	v_ashrrev_i32_e32 v39, 4, v38
	v_mfma_f32_16x16x16f16 v[54:57], v[40:41], v[52:53], v[18:21]
	s_waitcnt vmcnt(2)
	v_mfma_f32_16x16x16f16 v[14:17], v[46:47], v[10:11], v[14:17]
	v_mfma_f32_16x16x16f16 v[14:17], v[48:49], v[12:13], v[14:17]
	global_load_dwordx4 v[46:49], v[26:27], off offset:3072
	v_lshlrev_b64 v[26:27], 1, v[32:33]
	v_ashrrev_i32_e32 v32, 4, v62
	v_cndmask_b32_e32 v32, v63, v32, vcc
	v_ashrrev_i32_e32 v33, 31, v32
	v_cmp_gt_i32_e32 vcc, s38, v38
	v_cndmask_b32_e32 v38, v63, v39, vcc
	s_waitcnt vmcnt(2)
	v_mfma_f32_16x16x16f16 v[14:17], v[22:23], v[50:51], v[14:17]
	v_lshlrev_b64 v[22:23], 2, v[32:33]
	v_add_co_u32_e32 v22, vcc, s16, v22
	v_addc_co_u32_e32 v23, vcc, v28, v23, vcc
	v_add_co_u32_e32 v18, vcc, v29, v26
	v_addc_co_u32_e32 v19, vcc, v30, v27, vcc
	;; [unrolled: 2-line block ×3, first 2 shown]
	v_mfma_f32_16x16x16f16 v[64:67], v[24:25], v[52:53], v[14:17]
	global_load_dword v30, v[22:23], off
	v_ashrrev_i32_e32 v39, 31, v38
	v_lshlrev_b64 v[32:33], 2, v[38:39]
	v_add_co_u32_e32 v18, vcc, s16, v32
	v_addc_co_u32_e32 v19, vcc, v68, v33, vcc
	s_nop 1
	global_load_dwordx4 v[14:17], v[26:27], off
	global_load_dword v31, v[18:19], off
	s_nop 0
	global_load_dwordx4 v[18:21], v[26:27], off offset:1024
	global_load_dwordx4 v[68:71], v[26:27], off offset:2048
	;; [unrolled: 1-line block ×3, first 2 shown]
	v_mfma_f32_16x16x16f16 v[22:25], v[58:59], v[6:7], v[34:37]
	v_or_b32_e32 v28, 0x80, v62
	v_ashrrev_i32_e32 v29, 4, v28
	v_cmp_gt_i32_e32 vcc, s38, v28
	v_cndmask_b32_e32 v28, v63, v29, vcc
	v_ashrrev_i32_e32 v29, 31, v28
	v_lshlrev_b64 v[28:29], 2, v[28:29]
	v_mov_b32_e32 v32, s17
	v_mfma_f32_16x16x16f16 v[22:25], v[60:61], v[8:9], v[22:25]
	v_add_co_u32_e32 v28, vcc, s16, v28
	v_addc_co_u32_e32 v29, vcc, v32, v29, vcc
	global_load_dword v32, v[28:29], off
	v_or_b32_e32 v28, 0xc0, v62
	v_ashrrev_i32_e32 v29, 4, v28
	v_cmp_gt_i32_e32 vcc, s38, v28
	v_cndmask_b32_e32 v28, v63, v29, vcc
	v_ashrrev_i32_e32 v29, 31, v28
	v_lshlrev_b64 v[28:29], 2, v[28:29]
	s_waitcnt vmcnt(8)
	v_mfma_f32_16x16x16f16 v[22:25], v[42:43], v[10:11], v[22:25]
	v_mov_b32_e32 v33, s17
	v_add_co_u32_e32 v28, vcc, s16, v28
	v_addc_co_u32_e32 v29, vcc, v33, v29, vcc
	global_load_dword v58, v[28:29], off
	v_mov_b32_e32 v26, s10
	v_mfma_f32_16x16x16f16 v[22:25], v[44:45], v[12:13], v[22:25]
	v_add_co_u32_e32 v77, vcc, s8, v76
	v_addc_co_u32_e32 v78, vcc, 0, v26, vcc
	v_pk_mul_f32 v[80:81], s[0:1], v[66:67] op_sel_hi:[0,1]
	s_waitcnt vmcnt(8)
	v_mfma_f32_16x16x16f16 v[22:25], v[46:47], v[50:51], v[22:25]
	v_mfma_f32_16x16x16f16 v[72:75], v[48:49], v[52:53], v[22:25]
	s_waitcnt vmcnt(7)
	s_nop 7
	s_nop 0
	v_mad_i64_i32 v[22:23], s[2:3], v30, s1, 0
	v_lshlrev_b64 v[62:63], 1, v[22:23]
	s_waitcnt vmcnt(6)
	v_mfma_f32_16x16x16f16 v[22:25], v[14:15], v[2:3], 0
	v_add_co_u32_e32 v2, vcc, v77, v62
	v_addc_co_u32_e32 v3, vcc, v78, v63, vcc
	global_load_dwordx4 v[46:49], v[2:3], off
	global_load_dwordx4 v[42:45], v[2:3], off offset:16
	s_waitcnt vmcnt(7)
	v_mad_i64_i32 v[2:3], s[2:3], v31, s1, 0
	v_lshlrev_b64 v[14:15], 1, v[2:3]
	v_mfma_f32_16x16x16f16 v[2:5], v[16:17], v[4:5], v[22:25]
	v_add_co_u32_e32 v16, vcc, v77, v14
	v_addc_co_u32_e32 v17, vcc, v78, v15, vcc
	global_load_dwordx4 v[38:41], v[16:17], off
	global_load_dwordx4 v[34:37], v[16:17], off offset:16
	s_waitcnt vmcnt(5)
	v_mad_i64_i32 v[16:17], s[2:3], v32, s1, 0
	v_mfma_f32_16x16x16f16 v[2:5], v[18:19], v[6:7], v[2:5]
	v_lshlrev_b64 v[60:61], 1, v[16:17]
	v_add_co_u32_e32 v6, vcc, v77, v60
	v_addc_co_u32_e32 v7, vcc, v78, v61, vcc
	global_load_dwordx4 v[30:33], v[6:7], off
	global_load_dwordx4 v[26:29], v[6:7], off offset:16
	s_waitcnt vmcnt(6)
	v_mad_i64_i32 v[6:7], s[2:3], v58, s1, 0
	v_mfma_f32_16x16x16f16 v[2:5], v[20:21], v[8:9], v[2:5]
	v_lshlrev_b64 v[58:59], 1, v[6:7]
	v_add_co_u32_e32 v6, vcc, v77, v58
	v_addc_co_u32_e32 v7, vcc, v78, v59, vcc
	global_load_dwordx4 v[22:25], v[6:7], off
	global_load_dwordx4 v[18:21], v[6:7], off offset:16
	v_or_b32_e32 v6, 0x800, v76
	v_mfma_f32_16x16x16f16 v[2:5], v[68:69], v[10:11], v[2:5]
	v_mov_b32_e32 v7, s10
	v_add_co_u32_e32 v68, vcc, s8, v6
	v_addc_co_u32_e32 v69, vcc, 0, v7, vcc
	v_pk_mul_f32 v[76:77], s[0:1], v[74:75] op_sel_hi:[0,1]
	v_pk_mul_f32 v[74:75], s[0:1], v[72:73] op_sel_hi:[0,1]
	v_mfma_f32_16x16x16f16 v[10:13], v[70:71], v[12:13], v[2:5]
	v_pk_mul_f32 v[78:79], s[0:1], v[56:57] op_sel_hi:[0,1]
	v_pk_mul_f32 v[70:71], s[0:1], v[64:65] op_sel_hi:[0,1]
	v_mfma_f32_16x16x16f16 v[92:95], v[88:89], v[50:51], v[10:13]
	s_nop 3
	v_add_co_u32_e32 v2, vcc, v68, v62
	v_addc_co_u32_e32 v3, vcc, v69, v63, vcc
	v_add_co_u32_e32 v62, vcc, v68, v14
	v_addc_co_u32_e32 v63, vcc, v69, v15, vcc
	v_mfma_f32_16x16x16f16 v[50:53], v[90:91], v[52:53], v[92:95]
	global_load_dwordx4 v[6:9], v[2:3], off
	s_nop 0
	global_load_dwordx4 v[2:5], v[2:3], off offset:16
	s_nop 0
	global_load_dwordx4 v[14:17], v[62:63], off
	global_load_dwordx4 v[10:13], v[62:63], off offset:16
	v_pk_mul_f32 v[62:63], s[0:1], v[54:55] op_sel_hi:[0,1]
	s_nop 3
	v_pk_mul_f32 v[72:73], s[0:1], v[50:51] op_sel_hi:[0,1]
	v_and_b32_e32 v50, 0xc0, v0
	v_add_u32_e32 v50, s9, v50
	v_lshl_or_b32 v50, v1, 2, v50
	v_pk_mul_f32 v[66:67], s[0:1], v[52:53] op_sel_hi:[0,1]
	v_or_b32_e32 v53, 1, v50
	v_mov_b32_e32 v51, 0xff7fffff
	v_cmp_gt_i32_e64 s[28:29], s38, v50
	v_cmp_gt_i32_e64 s[30:31], s38, v53
	v_cndmask_b32_e64 v52, v51, v62, s[28:29]
	v_cndmask_b32_e64 v53, v51, v63, s[30:31]
	v_max3_f32 v52, v52, s40, v53
	v_or_b32_e32 v53, 2, v50
	v_or_b32_e32 v54, 3, v50
	v_cmp_gt_i32_e64 s[34:35], s38, v53
	v_cmp_gt_i32_e64 s[36:37], s38, v54
	v_cndmask_b32_e64 v53, v51, v78, s[34:35]
	v_cndmask_b32_e64 v54, v51, v79, s[36:37]
	v_max3_f32 v52, v52, v53, v54
	v_or_b32_e32 v53, 16, v50
	v_or_b32_e32 v54, 17, v50
	;; [unrolled: 7-line block ×7, first 2 shown]
	v_cmp_gt_i32_e32 vcc, s38, v53
	v_cmp_gt_i32_e64 s[0:1], s38, v50
	v_cndmask_b32_e32 v53, v51, v66, vcc
	v_cndmask_b32_e64 v50, v51, v67, s[0:1]
	v_max3_f32 v64, v52, v53, v50
	v_mbcnt_lo_u32_b32 v50, -1, 0
	v_mbcnt_hi_u32_b32 v65, -1, v50
	v_and_b32_e32 v50, 64, v65
	v_add_u32_e32 v88, 64, v50
	v_xor_b32_e32 v50, 32, v65
	v_cmp_lt_i32_e64 s[38:39], v50, v88
	v_cndmask_b32_e64 v50, v65, v50, s[38:39]
	v_lshlrev_b32_e32 v89, 2, v50
	ds_bpermute_b32 v90, v89, v64
	v_add_co_u32_e64 v50, s[38:39], v68, v60
	v_addc_co_u32_e64 v51, s[38:39], v69, v61, s[38:39]
	v_xor_b32_e32 v61, 16, v65
	v_cmp_lt_i32_e64 s[38:39], v61, v88
	s_waitcnt lgkmcnt(0)
	v_max_f32_e32 v60, v90, v90
	v_cndmask_b32_e64 v61, v65, v61, s[38:39]
	v_max_f32_e32 v60, v64, v60
	v_lshlrev_b32_e32 v90, 2, v61
	ds_bpermute_b32 v61, v90, v60
	v_add_co_u32_e64 v58, s[38:39], v68, v58
	v_addc_co_u32_e64 v59, s[38:39], v69, v59, s[38:39]
	s_waitcnt lgkmcnt(0)
	v_max_f32_e32 v61, v61, v61
	v_max_f32_e32 v88, v60, v61
	v_sub_f32_e32 v60, v62, v88
	v_mul_f32_e32 v60, 0x3fb8aa3b, v60
	v_exp_f32_e32 v68, v60
	v_sub_f32_e32 v60, v63, v88
	v_mul_f32_e32 v60, 0x3fb8aa3b, v60
	global_load_dwordx4 v[54:57], v[50:51], off
	s_nop 0
	global_load_dwordx4 v[50:53], v[50:51], off offset:16
	v_exp_f32_e32 v69, v60
	global_load_dwordx4 v[62:65], v[58:59], off
	s_nop 0
	global_load_dwordx4 v[58:61], v[58:59], off offset:16
	v_sub_f32_e32 v78, v78, v88
	v_mul_f32_e32 v78, 0x3fb8aa3b, v78
	v_sub_f32_e32 v79, v79, v88
	v_exp_f32_e32 v78, v78
	v_mul_f32_e32 v79, 0x3fb8aa3b, v79
	v_sub_f32_e32 v70, v70, v88
	v_exp_f32_e32 v79, v79
	v_mul_f32_e32 v70, 0x3fb8aa3b, v70
	v_sub_f32_e32 v71, v71, v88
	v_cndmask_b32_e64 v68, 0, v68, s[28:29]
	v_exp_f32_e32 v70, v70
	v_mul_f32_e32 v71, 0x3fb8aa3b, v71
	v_sub_f32_e32 v80, v80, v88
	v_add_f32_e32 v91, 0, v68
	v_cndmask_b32_e64 v69, 0, v69, s[30:31]
	v_exp_f32_e32 v71, v71
	v_mul_f32_e32 v80, 0x3fb8aa3b, v80
	v_sub_f32_e32 v81, v81, v88
	v_add_f32_e32 v91, v91, v69
	;; [unrolled: 5-line block ×10, first 2 shown]
	v_cndmask_b32_e64 v76, 0, v76, s[10:11]
	v_exp_f32_e32 v66, v66
	v_mul_f32_e32 v67, 0x3fb8aa3b, v67
	v_add_f32_e32 v91, v91, v76
	v_cndmask_b32_e64 v77, 0, v77, s[12:13]
	v_exp_f32_e32 v67, v67
	v_add_f32_e32 v91, v91, v77
	v_cndmask_b32_e64 v72, 0, v72, s[2:3]
	v_add_f32_e32 v91, v91, v72
	v_cndmask_b32_e64 v73, 0, v73, s[8:9]
	v_add_f32_e32 v91, v91, v73
	v_cndmask_b32_e32 v66, 0, v66, vcc
	v_add_f32_e32 v91, v91, v66
	v_cndmask_b32_e64 v67, 0, v67, s[0:1]
	v_add_f32_e32 v91, v91, v67
	ds_bpermute_b32 v89, v89, v91
	v_cmp_gt_u32_e32 vcc, 16, v86
	s_waitcnt lgkmcnt(0)
	s_barrier
	v_add_f32_e32 v89, v91, v89
	ds_bpermute_b32 v90, v90, v89
	s_and_saveexec_b64 s[0:1], vcc
	s_cbranch_execz .LBB138_13
; %bb.12:
	s_waitcnt lgkmcnt(0)
	v_add_f32_e32 v86, v89, v90
	v_lshlrev_b32_e32 v87, 2, v87
	ds_write2st64_b32 v87, v88, v86 offset1:1
.LBB138_13:
	s_or_b64 exec, exec, s[0:1]
	v_lshlrev_b32_e32 v87, 2, v83
	s_load_dword s2, s[4:5], 0x94
	s_waitcnt lgkmcnt(0)
	s_barrier
	ds_read2_b32 v[88:89], v87 offset1:16
	ds_read2_b32 v[90:91], v87 offset0:32 offset1:48
	ds_read2_b32 v[92:93], v87 offset0:64 offset1:80
	s_mul_i32 s3, s33, 7
	s_waitcnt lgkmcnt(2)
	v_max3_f32 v86, v88, s40, v89
	s_waitcnt lgkmcnt(1)
	v_max3_f32 v86, v86, v90, v91
	v_sub_f32_e32 v88, v88, v86
	v_mul_f32_e32 v88, 0x3fb8aa3b, v88
	v_exp_f32_e32 v94, v88
	v_sub_f32_e32 v88, v89, v86
	v_mul_f32_e32 v88, 0x3fb8aa3b, v88
	v_exp_f32_e32 v95, v88
	;; [unrolled: 3-line block ×3, first 2 shown]
	ds_read2_b32 v[88:89], v87 offset0:96 offset1:112
	v_sub_f32_e32 v87, v91, v86
	v_mul_f32_e32 v87, 0x3fb8aa3b, v87
	v_exp_f32_e32 v91, v87
	s_waitcnt lgkmcnt(1)
	v_fma_f32 v87, v94, v92, 0
	v_fmac_f32_e32 v87, v95, v93
	s_waitcnt lgkmcnt(0)
	v_fmac_f32_e32 v87, v90, v88
	v_fmac_f32_e32 v87, v91, v89
	v_add_f32_e32 v88, 0x358637bd, v87
	v_div_scale_f32 v89, s[0:1], v88, v88, 1.0
	v_rcp_f32_e32 v92, v89
	s_barrier
	v_fma_f32 v93, -v89, v92, 1.0
	v_fmac_f32_e32 v92, v93, v92
	v_div_scale_f32 v93, vcc, 1.0, v88, 1.0
	v_mul_f32_e32 v82, v93, v92
	v_fma_f32 v84, -v89, v82, v93
	v_fmac_f32_e32 v82, v84, v92
	v_fma_f32 v84, -v89, v82, v93
	v_div_fmas_f32 v82, v84, v92, v82
	v_cmp_eq_u32_e32 vcc, 1, v85
	v_cndmask_b32_e32 v84, v94, v95, vcc
	v_cmp_eq_u32_e32 vcc, 2, v85
	v_cndmask_b32_e32 v84, v84, v90, vcc
	v_cmp_eq_u32_e32 vcc, 3, v85
	v_div_fixup_f32 v82, v82, v88, 1.0
	v_cndmask_b32_e32 v84, v84, v91, vcc
	v_mul_f32_e32 v88, v84, v82
	v_pk_mul_f32 v[78:79], v[88:89], v[78:79] op_sel_hi:[0,1]
	v_cvt_f16_f32_e32 v78, v78
	v_cvt_f16_f32_e32 v79, v79
	v_pk_mul_f32 v[68:69], v[88:89], v[68:69] op_sel_hi:[0,1]
	v_cvt_f16_f32_e32 v68, v68
	v_cvt_f16_f32_e32 v69, v69
	v_pack_b32_f16 v91, v78, v79
	v_pk_mul_f32 v[78:79], v[88:89], v[80:81] op_sel_hi:[0,1]
	v_pk_mul_f32 v[70:71], v[88:89], v[70:71] op_sel_hi:[0,1]
	v_cvt_f16_f32_e32 v70, v70
	v_cvt_f16_f32_e32 v71, v71
	;; [unrolled: 1-line block ×4, first 2 shown]
	v_pack_b32_f16 v90, v68, v69
	v_lshlrev_b32_e32 v69, 3, v1
	v_lshlrev_b32_e32 v68, 5, v83
	v_lshlrev_b32_e32 v78, 11, v85
	v_or3_b32 v78, v78, v68, v69
	v_pack_b32_f16 v70, v70, v71
	v_pack_b32_f16 v71, v80, v79
	ds_write2st64_b64 v78, v[90:91], v[70:71] offset1:1
	v_pk_mul_f32 v[70:71], v[88:89], v[76:77] op_sel_hi:[0,1]
	v_pk_mul_f32 v[74:75], v[88:89], v[74:75] op_sel_hi:[0,1]
	v_cvt_f16_f32_e32 v69, v74
	v_cvt_f16_f32_e32 v74, v75
	;; [unrolled: 1-line block ×4, first 2 shown]
	v_pk_mul_f32 v[66:67], v[88:89], v[66:67] op_sel_hi:[0,1]
	v_pk_mul_f32 v[70:71], v[88:89], v[72:73] op_sel_hi:[0,1]
	v_cvt_f16_f32_e32 v70, v70
	v_cvt_f16_f32_e32 v71, v71
	;; [unrolled: 1-line block ×4, first 2 shown]
	v_pack_b32_f16 v66, v69, v74
	v_pack_b32_f16 v67, v75, v76
	;; [unrolled: 1-line block ×4, first 2 shown]
	v_cmp_gt_u32_e32 vcc, 7, v0
	ds_write2st64_b64 v78, v[66:67], v[70:71] offset0:2 offset1:3
	s_and_saveexec_b64 s[0:1], vcc
	s_cbranch_execz .LBB138_15
; %bb.14:
	v_add_co_u32_e32 v70, vcc, s27, v83
	v_addc_co_u32_e64 v71, s[12:13], 0, 0, vcc
	v_mov_b32_e32 v66, s3
	v_mov_b32_e32 v67, 0
	v_mad_u64_u32 v[70:71], s[12:13], s6, v66, v[70:71]
	v_mov_b32_e32 v66, s26
	s_load_dwordx4 s[8:11], s[4:5], 0x58
	s_mul_i32 s7, s7, s3
	v_mad_u64_u32 v[66:67], s[12:13], v70, s2, v[66:67]
	v_add_u32_e32 v69, s7, v71
	v_mov_b32_e32 v70, v67
	v_mad_u64_u32 v[70:71], s[12:13], v69, s2, v[70:71]
	v_mov_b32_e32 v67, v70
	v_lshlrev_b64 v[66:67], 2, v[66:67]
	s_waitcnt lgkmcnt(0)
	v_mov_b32_e32 v69, s11
	v_add_co_u32_e32 v70, vcc, s10, v66
	v_addc_co_u32_e32 v71, vcc, v69, v67, vcc
	v_mov_b32_e32 v69, s9
	v_add_co_u32_e32 v66, vcc, s8, v66
	v_addc_co_u32_e32 v67, vcc, v69, v67, vcc
	global_store_dword v[70:71], v86, off
	global_store_dword v[66:67], v87, off
.LBB138_15:
	s_or_b64 exec, exec, s[0:1]
	v_lshl_or_b32 v79, v1, 9, v68
	s_waitcnt lgkmcnt(0)
	s_barrier
	ds_read_b128 v[70:73], v79
	ds_read_b128 v[66:69], v79 offset:16
	s_waitcnt vmcnt(15) lgkmcnt(1)
	v_mfma_f32_16x16x16f16 v[74:77], v[46:47], v[70:71], 0
	s_mov_b32 s1, 0
	v_cmp_gt_u32_e32 vcc, 64, v0
	v_mfma_f32_16x16x16f16 v[46:49], v[48:49], v[72:73], v[74:77]
	s_waitcnt vmcnt(14) lgkmcnt(0)
	v_mfma_f32_16x16x16f16 v[46:49], v[42:43], v[66:67], v[46:49]
	v_mfma_f32_16x16x16f16 v[42:45], v[44:45], v[68:69], v[46:49]
	s_nop 7
	s_nop 1
	ds_read_b128 v[46:49], v79 offset:2048
	ds_read_b128 v[74:77], v79 offset:2064
	s_waitcnt vmcnt(13) lgkmcnt(1)
	v_mfma_f32_16x16x16f16 v[42:45], v[38:39], v[46:47], v[42:45]
	v_mfma_f32_16x16x16f16 v[38:41], v[40:41], v[48:49], v[42:45]
	s_waitcnt vmcnt(12) lgkmcnt(0)
	v_mfma_f32_16x16x16f16 v[38:41], v[34:35], v[74:75], v[38:41]
	v_mfma_f32_16x16x16f16 v[34:37], v[36:37], v[76:77], v[38:41]
	s_nop 7
	s_nop 1
	ds_read_b128 v[38:41], v79 offset:4096
	ds_read_b128 v[42:45], v79 offset:4112
	s_waitcnt vmcnt(11) lgkmcnt(1)
	v_mfma_f32_16x16x16f16 v[34:37], v[30:31], v[38:39], v[34:37]
	v_mfma_f32_16x16x16f16 v[30:33], v[32:33], v[40:41], v[34:37]
	s_waitcnt vmcnt(10) lgkmcnt(0)
	v_mfma_f32_16x16x16f16 v[30:33], v[26:27], v[42:43], v[30:33]
	v_mfma_f32_16x16x16f16 v[26:29], v[28:29], v[44:45], v[30:33]
	s_nop 7
	s_nop 1
	ds_read_b128 v[30:33], v79 offset:6144
	ds_read_b128 v[34:37], v79 offset:6160
	s_waitcnt lgkmcnt(0)
	s_barrier
	s_waitcnt vmcnt(9)
	v_mfma_f32_16x16x16f16 v[26:29], v[22:23], v[30:31], v[26:29]
	v_mfma_f32_16x16x16f16 v[22:25], v[24:25], v[32:33], v[26:29]
	s_waitcnt vmcnt(8)
	v_mfma_f32_16x16x16f16 v[22:25], v[18:19], v[34:35], v[22:25]
	v_mfma_f32_16x16x16f16 v[18:21], v[20:21], v[36:37], v[22:25]
	;; [unrolled: 3-line block ×4, first 2 shown]
	s_waitcnt vmcnt(5)
	v_mfma_f32_16x16x16f16 v[2:5], v[14:15], v[46:47], v[2:5]
	s_nop 7
	v_cvt_f16_f32_e32 v6, v18
	v_cvt_f16_f32_e32 v7, v19
	;; [unrolled: 1-line block ×4, first 2 shown]
	v_mfma_f32_16x16x16f16 v[2:5], v[16:17], v[48:49], v[2:5]
	s_waitcnt vmcnt(4)
	v_mfma_f32_16x16x16f16 v[2:5], v[10:11], v[74:75], v[2:5]
	v_mfma_f32_16x16x16f16 v[2:5], v[12:13], v[76:77], v[2:5]
	s_waitcnt vmcnt(3)
	v_mfma_f32_16x16x16f16 v[2:5], v[54:55], v[38:39], v[2:5]
	;; [unrolled: 3-line block ×5, first 2 shown]
	v_mfma_f32_16x16x16f16 v[2:5], v[60:61], v[36:37], v[2:5]
	s_nop 7
	s_nop 2
	v_cvt_f16_f32_e32 v10, v2
	v_cvt_f16_f32_e32 v11, v3
	;; [unrolled: 1-line block ×4, first 2 shown]
	v_pack_b32_f16 v2, v6, v7
	v_pack_b32_f16 v3, v8, v9
	;; [unrolled: 1-line block ×4, first 2 shown]
	ds_write2st64_b64 v78, v[2:3], v[4:5] offset1:1
	s_waitcnt lgkmcnt(0)
	s_barrier
	s_and_saveexec_b64 s[8:9], vcc
	s_cbranch_execz .LBB138_18
; %bb.16:
	v_lshlrev_b32_e32 v4, 6, v83
	v_lshlrev_b32_e32 v3, 4, v0
	v_lshl_or_b32 v0, v0, 10, v4
	v_lshlrev_b32_e32 v2, 5, v1
	v_and_b32_e32 v3, 16, v3
	v_and_b32_e32 v0, 0x1a00, v0
	v_or3_b32 v0, v0, v2, v3
	buffer_load_dword v2, off, s[44:47], 0  ; 4-byte Folded Reload
	s_load_dwordx2 s[4:5], s[4:5], 0x68
	s_lshl_b32 s2, s2, 7
	s_mul_i32 s0, s3, s6
	s_mul_hi_u32 s7, s0, s2
	s_mul_i32 s6, s0, s2
	s_lshl_b64 s[6:7], s[6:7], 1
	s_waitcnt lgkmcnt(0)
	s_add_u32 s3, s4, s6
	s_addc_u32 s4, s5, s7
	s_lshl_b32 s0, s26, 7
	s_lshl_b64 s[0:1], s[0:1], 1
	s_add_u32 s0, s3, s0
	s_addc_u32 s1, s4, s1
	v_add_u32_e32 v8, s27, v1
	v_mov_b32_e32 v3, s1
	ds_read_b128 v[4:7], v0
	s_waitcnt vmcnt(0)
	v_add_co_u32_e32 v2, vcc, s0, v2
	v_mad_u64_u32 v[8:9], s[0:1], v8, s2, 0
	v_addc_co_u32_e32 v3, vcc, 0, v3, vcc
	v_lshlrev_b64 v[8:9], 1, v[8:9]
	v_add_co_u32_e32 v8, vcc, v2, v8
	v_addc_co_u32_e32 v9, vcc, v3, v9, vcc
	v_cmp_ne_u32_e32 vcc, 3, v1
	s_waitcnt lgkmcnt(0)
	global_store_dwordx4 v[8:9], v[4:7], off
	s_and_b64 exec, exec, vcc
	s_cbranch_execz .LBB138_18
; %bb.17:
	ds_read_b128 v[4:7], v0 offset:128
	v_add3_u32 v0, s27, v1, 4
	v_mad_u64_u32 v[0:1], s[0:1], v0, s2, 0
	v_lshlrev_b64 v[0:1], 1, v[0:1]
	v_add_co_u32_e32 v0, vcc, v2, v0
	v_addc_co_u32_e32 v1, vcc, v3, v1, vcc
	s_waitcnt lgkmcnt(0)
	global_store_dwordx4 v[0:1], v[4:7], off
.LBB138_18:
	s_endpgm
	.section	.rodata,"a",@progbits
	.p2align	6, 0x0
	.amdhsa_kernel _Z39paged_attention_ll4mi_QKV_mfma16_kernelIDF16_DF16_LN4vllm18Fp8KVCacheDataTypeE0EDF16_Li16ELi128ELi256ELb0ELi7EL8MFMAType0EEvPKT_PKT0_S8_ifPKiSA_SA_iPKfiiiPfSD_PS3_PT2_iSC_SC_
		.amdhsa_group_segment_fixed_size 8192
		.amdhsa_private_segment_fixed_size 8
		.amdhsa_kernarg_size 400
		.amdhsa_user_sgpr_count 6
		.amdhsa_user_sgpr_private_segment_buffer 1
		.amdhsa_user_sgpr_dispatch_ptr 0
		.amdhsa_user_sgpr_queue_ptr 0
		.amdhsa_user_sgpr_kernarg_segment_ptr 1
		.amdhsa_user_sgpr_dispatch_id 0
		.amdhsa_user_sgpr_flat_scratch_init 0
		.amdhsa_user_sgpr_kernarg_preload_length 0
		.amdhsa_user_sgpr_kernarg_preload_offset 0
		.amdhsa_user_sgpr_private_segment_size 0
		.amdhsa_uses_dynamic_stack 0
		.amdhsa_system_sgpr_private_segment_wavefront_offset 1
		.amdhsa_system_sgpr_workgroup_id_x 1
		.amdhsa_system_sgpr_workgroup_id_y 1
		.amdhsa_system_sgpr_workgroup_id_z 1
		.amdhsa_system_sgpr_workgroup_info 0
		.amdhsa_system_vgpr_workitem_id 0
		.amdhsa_next_free_vgpr 96
		.amdhsa_next_free_sgpr 48
		.amdhsa_accum_offset 96
		.amdhsa_reserve_vcc 1
		.amdhsa_reserve_flat_scratch 0
		.amdhsa_float_round_mode_32 0
		.amdhsa_float_round_mode_16_64 0
		.amdhsa_float_denorm_mode_32 3
		.amdhsa_float_denorm_mode_16_64 3
		.amdhsa_dx10_clamp 1
		.amdhsa_ieee_mode 1
		.amdhsa_fp16_overflow 0
		.amdhsa_tg_split 0
		.amdhsa_exception_fp_ieee_invalid_op 0
		.amdhsa_exception_fp_denorm_src 0
		.amdhsa_exception_fp_ieee_div_zero 0
		.amdhsa_exception_fp_ieee_overflow 0
		.amdhsa_exception_fp_ieee_underflow 0
		.amdhsa_exception_fp_ieee_inexact 0
		.amdhsa_exception_int_div_zero 0
	.end_amdhsa_kernel
	.section	.text._Z39paged_attention_ll4mi_QKV_mfma16_kernelIDF16_DF16_LN4vllm18Fp8KVCacheDataTypeE0EDF16_Li16ELi128ELi256ELb0ELi7EL8MFMAType0EEvPKT_PKT0_S8_ifPKiSA_SA_iPKfiiiPfSD_PS3_PT2_iSC_SC_,"axG",@progbits,_Z39paged_attention_ll4mi_QKV_mfma16_kernelIDF16_DF16_LN4vllm18Fp8KVCacheDataTypeE0EDF16_Li16ELi128ELi256ELb0ELi7EL8MFMAType0EEvPKT_PKT0_S8_ifPKiSA_SA_iPKfiiiPfSD_PS3_PT2_iSC_SC_,comdat
.Lfunc_end138:
	.size	_Z39paged_attention_ll4mi_QKV_mfma16_kernelIDF16_DF16_LN4vllm18Fp8KVCacheDataTypeE0EDF16_Li16ELi128ELi256ELb0ELi7EL8MFMAType0EEvPKT_PKT0_S8_ifPKiSA_SA_iPKfiiiPfSD_PS3_PT2_iSC_SC_, .Lfunc_end138-_Z39paged_attention_ll4mi_QKV_mfma16_kernelIDF16_DF16_LN4vllm18Fp8KVCacheDataTypeE0EDF16_Li16ELi128ELi256ELb0ELi7EL8MFMAType0EEvPKT_PKT0_S8_ifPKiSA_SA_iPKfiiiPfSD_PS3_PT2_iSC_SC_
                                        ; -- End function
	.section	.AMDGPU.csdata,"",@progbits
; Kernel info:
; codeLenInByte = 4596
; NumSgprs: 52
; NumVgprs: 96
; NumAgprs: 0
; TotalNumVgprs: 96
; ScratchSize: 8
; MemoryBound: 0
; FloatMode: 240
; IeeeMode: 1
; LDSByteSize: 8192 bytes/workgroup (compile time only)
; SGPRBlocks: 6
; VGPRBlocks: 11
; NumSGPRsForWavesPerEU: 52
; NumVGPRsForWavesPerEU: 96
; AccumOffset: 96
; Occupancy: 5
; WaveLimiterHint : 1
; COMPUTE_PGM_RSRC2:SCRATCH_EN: 1
; COMPUTE_PGM_RSRC2:USER_SGPR: 6
; COMPUTE_PGM_RSRC2:TRAP_HANDLER: 0
; COMPUTE_PGM_RSRC2:TGID_X_EN: 1
; COMPUTE_PGM_RSRC2:TGID_Y_EN: 1
; COMPUTE_PGM_RSRC2:TGID_Z_EN: 1
; COMPUTE_PGM_RSRC2:TIDIG_COMP_CNT: 0
; COMPUTE_PGM_RSRC3_GFX90A:ACCUM_OFFSET: 23
; COMPUTE_PGM_RSRC3_GFX90A:TG_SPLIT: 0
	.section	.text._Z39paged_attention_ll4mi_QKV_mfma16_kernelIDF16_DF16_LN4vllm18Fp8KVCacheDataTypeE0EDF16_Li16ELi128ELi256ELb0ELi8EL8MFMAType0EEvPKT_PKT0_S8_ifPKiSA_SA_iPKfiiiPfSD_PS3_PT2_iSC_SC_,"axG",@progbits,_Z39paged_attention_ll4mi_QKV_mfma16_kernelIDF16_DF16_LN4vllm18Fp8KVCacheDataTypeE0EDF16_Li16ELi128ELi256ELb0ELi8EL8MFMAType0EEvPKT_PKT0_S8_ifPKiSA_SA_iPKfiiiPfSD_PS3_PT2_iSC_SC_,comdat
	.protected	_Z39paged_attention_ll4mi_QKV_mfma16_kernelIDF16_DF16_LN4vllm18Fp8KVCacheDataTypeE0EDF16_Li16ELi128ELi256ELb0ELi8EL8MFMAType0EEvPKT_PKT0_S8_ifPKiSA_SA_iPKfiiiPfSD_PS3_PT2_iSC_SC_ ; -- Begin function _Z39paged_attention_ll4mi_QKV_mfma16_kernelIDF16_DF16_LN4vllm18Fp8KVCacheDataTypeE0EDF16_Li16ELi128ELi256ELb0ELi8EL8MFMAType0EEvPKT_PKT0_S8_ifPKiSA_SA_iPKfiiiPfSD_PS3_PT2_iSC_SC_
	.globl	_Z39paged_attention_ll4mi_QKV_mfma16_kernelIDF16_DF16_LN4vllm18Fp8KVCacheDataTypeE0EDF16_Li16ELi128ELi256ELb0ELi8EL8MFMAType0EEvPKT_PKT0_S8_ifPKiSA_SA_iPKfiiiPfSD_PS3_PT2_iSC_SC_
	.p2align	8
	.type	_Z39paged_attention_ll4mi_QKV_mfma16_kernelIDF16_DF16_LN4vllm18Fp8KVCacheDataTypeE0EDF16_Li16ELi128ELi256ELb0ELi8EL8MFMAType0EEvPKT_PKT0_S8_ifPKiSA_SA_iPKfiiiPfSD_PS3_PT2_iSC_SC_,@function
_Z39paged_attention_ll4mi_QKV_mfma16_kernelIDF16_DF16_LN4vllm18Fp8KVCacheDataTypeE0EDF16_Li16ELi128ELi256ELb0ELi8EL8MFMAType0EEvPKT_PKT0_S8_ifPKiSA_SA_iPKfiiiPfSD_PS3_PT2_iSC_SC_: ; @_Z39paged_attention_ll4mi_QKV_mfma16_kernelIDF16_DF16_LN4vllm18Fp8KVCacheDataTypeE0EDF16_Li16ELi128ELi256ELb0ELi8EL8MFMAType0EEvPKT_PKT0_S8_ifPKiSA_SA_iPKfiiiPfSD_PS3_PT2_iSC_SC_
; %bb.0:
	s_mov_b64 s[46:47], s[2:3]
	s_mov_b64 s[44:45], s[0:1]
	s_load_dwordx2 s[0:1], s[4:5], 0x30
	s_add_u32 s44, s44, s9
	s_addc_u32 s45, s45, 0
	s_mov_b32 s26, s7
	s_mov_b64 s[10:11], 0
	s_waitcnt lgkmcnt(0)
	s_cmp_lg_u64 s[0:1], 0
	s_cselect_b64 s[2:3], -1, 0
	s_and_b64 vcc, exec, s[2:3]
	s_cbranch_vccz .LBB139_7
; %bb.1:
	s_add_i32 s12, s6, 1
	s_mov_b32 s13, 0
	s_lshl_b64 s[14:15], s[12:13], 2
	s_add_u32 s14, s0, s14
	s_mov_b32 s7, s13
	s_addc_u32 s15, s1, s15
	s_lshl_b64 s[12:13], s[6:7], 2
	s_add_u32 s12, s0, s12
	s_addc_u32 s13, s1, s13
	s_load_dword s9, s[14:15], 0x0
	s_load_dword s16, s[12:13], 0x0
	s_waitcnt lgkmcnt(0)
	s_sub_i32 s9, s9, s16
	s_cmp_eq_u32 s9, 1
	s_cselect_b64 s[12:13], -1, 0
	s_andn2_b64 vcc, exec, s[10:11]
	s_cbranch_vccnz .LBB139_3
.LBB139_2:
	s_mov_b32 s7, 0
	s_mov_b64 s[12:13], -1
.LBB139_3:
	s_andn2_b64 vcc, exec, s[12:13]
	s_cbranch_vccnz .LBB139_17
; %bb.4:
	s_load_dwordx2 s[12:13], s[4:5], 0x28
	s_lshl_b64 s[10:11], s[6:7], 2
	s_waitcnt lgkmcnt(0)
	s_add_u32 s12, s12, s10
	s_addc_u32 s13, s13, s11
	s_load_dword s38, s[12:13], 0x0
	s_lshl_b32 s9, s26, 8
	s_waitcnt lgkmcnt(0)
	s_cmp_ge_i32 s9, s38
	s_cbranch_scc1 .LBB139_17
; %bb.5:
	s_add_i32 s15, s38, 15
	s_load_dwordx2 s[12:13], s[4:5], 0x20
	s_load_dword s14, s[4:5], 0x38
	s_ashr_i32 s16, s15, 31
	v_and_b32_e32 v1, 0xcf, v0
	s_lshr_b32 s16, s16, 28
	v_add_u32_e32 v1, s9, v1
	s_add_i32 s15, s15, s16
	v_ashrrev_i32_e32 v2, 31, v1
	s_ashr_i32 s18, s15, 4
	v_lshrrev_b32_e32 v6, 28, v2
	s_add_i32 s18, s18, -1
	v_add_u32_e32 v2, v1, v6
	s_waitcnt lgkmcnt(0)
	s_mul_i32 s14, s6, s14
	s_mov_b32 s15, 0
	v_ashrrev_i32_e32 v2, 4, v2
	v_mov_b32_e32 v7, s18
	v_cmp_gt_i32_e32 vcc, s38, v1
	s_lshl_b64 s[14:15], s[14:15], 2
	v_cndmask_b32_e32 v2, v7, v2, vcc
	s_add_u32 s16, s12, s14
	v_ashrrev_i32_e32 v3, 31, v2
	s_addc_u32 s17, s13, s15
	v_lshlrev_b64 v[2:3], 2, v[2:3]
	v_mov_b32_e32 v5, s17
	v_add_co_u32_e32 v4, vcc, s16, v2
	v_or_b32_e32 v2, 16, v1
	v_addc_co_u32_e32 v5, vcc, v5, v3, vcc
	v_add_u32_e32 v3, v2, v6
	v_ashrrev_i32_e32 v3, 4, v3
	v_cmp_gt_i32_e32 vcc, s38, v2
	v_cndmask_b32_e32 v2, v7, v3, vcc
	v_ashrrev_i32_e32 v3, 31, v2
	v_lshlrev_b64 v[2:3], 2, v[2:3]
	v_mov_b32_e32 v9, s17
	v_add_co_u32_e32 v8, vcc, s16, v2
	v_or_b32_e32 v2, 32, v1
	v_addc_co_u32_e32 v9, vcc, v9, v3, vcc
	v_add_u32_e32 v3, v2, v6
	v_ashrrev_i32_e32 v3, 4, v3
	v_cmp_gt_i32_e32 vcc, s38, v2
	v_cndmask_b32_e32 v2, v7, v3, vcc
	v_ashrrev_i32_e32 v3, 31, v2
	;; [unrolled: 10-line block ×3, first 2 shown]
	v_lshlrev_b64 v[2:3], 2, v[2:3]
	v_mov_b32_e32 v1, s17
	v_add_co_u32_e32 v12, vcc, s16, v2
	v_addc_co_u32_e32 v13, vcc, v1, v3, vcc
	global_load_dword v3, v[4:5], off
	global_load_dword v2, v[8:9], off
	;; [unrolled: 1-line block ×4, first 2 shown]
	s_load_dwordx4 s[12:15], s[4:5], 0x8
	s_andn2_b64 vcc, exec, s[2:3]
	s_cbranch_vccnz .LBB139_8
; %bb.6:
	s_add_u32 s0, s0, s10
	s_addc_u32 s1, s1, s11
	s_load_dword s19, s[0:1], 0x0
	s_branch .LBB139_9
.LBB139_7:
	s_mov_b64 s[12:13], 0
	s_branch .LBB139_2
.LBB139_8:
	s_mov_b32 s19, s6
.LBB139_9:
	s_load_dwordx4 s[0:3], s[4:5], 0x48
	v_and_b32_e32 v83, 15, v0
	v_lshlrev_b32_e32 v4, 3, v83
	s_waitcnt lgkmcnt(0)
	s_movk_i32 s3, 0x80
	v_lshrrev_b32_e32 v85, 6, v0
	v_and_b32_e32 v86, 63, v0
	v_bfe_u32 v1, v0, 4, 2
	s_lshl_b32 s27, s8, 3
	v_cmp_gt_u32_e32 vcc, s3, v0
	v_lshlrev_b32_e32 v4, 1, v4
	buffer_store_dword v4, off, s[44:47], 0 ; 4-byte Folded Spill
	s_and_saveexec_b64 s[10:11], vcc
	s_cbranch_execz .LBB139_11
; %bb.10:
	s_load_dwordx2 s[20:21], s[4:5], 0x0
	s_ashr_i32 s3, s0, 31
	s_mul_hi_u32 s22, s19, s0
	s_mul_i32 s3, s19, s3
	v_lshl_or_b32 v7, v85, 2, v1
	s_add_i32 s23, s22, s3
	s_mul_i32 s22, s19, s0
	s_lshl_b64 s[22:23], s[22:23], 1
	v_add_lshl_u32 v4, v7, s27, 7
	s_waitcnt lgkmcnt(0)
	s_add_u32 s0, s20, s22
	v_ashrrev_i32_e32 v5, 31, v4
	s_addc_u32 s3, s21, s23
	v_lshlrev_b64 v[4:5], 1, v[4:5]
	v_mov_b32_e32 v8, s3
	v_add_co_u32_e32 v4, vcc, s0, v4
	v_addc_co_u32_e32 v5, vcc, v8, v5, vcc
	buffer_load_dword v8, off, s[44:47], 0  ; 4-byte Folded Reload
	s_waitcnt vmcnt(0)
	v_add_co_u32_e32 v4, vcc, v4, v8
	v_addc_co_u32_e32 v5, vcc, 0, v5, vcc
	global_load_dwordx4 v[8:11], v[4:5], off
	v_and_b32_e32 v4, 3, v0
	v_lshlrev_b32_e32 v5, 5, v7
	v_lshlrev_b32_e32 v7, 9, v83
	;; [unrolled: 1-line block ×3, first 2 shown]
	v_and_b32_e32 v7, 0x1800, v7
	v_or3_b32 v4, v7, v4, v5
	s_waitcnt vmcnt(0)
	ds_write_b128 v4, v[8:11]
.LBB139_11:
	s_or_b64 exec, exec, s[10:11]
	s_mul_i32 s2, s8, s2
	s_mov_b32 s3, 0
	s_lshl_b64 s[2:3], s[2:3], 1
	s_add_u32 s8, s12, s2
	v_lshlrev_b32_e32 v7, 4, v0
	s_addc_u32 s10, s13, s3
	v_and_b32_e32 v4, 0xf0, v7
	v_mov_b32_e32 v5, s10
	v_add_co_u32_e32 v29, vcc, s8, v4
	v_addc_co_u32_e32 v30, vcc, 0, v5, vcc
	s_waitcnt vmcnt(4)
	v_mad_i64_i32 v[4:5], s[10:11], v3, s1, 0
	v_lshlrev_b64 v[4:5], 1, v[4:5]
	v_add_co_u32_e32 v3, vcc, v29, v4
	v_addc_co_u32_e32 v4, vcc, v30, v5, vcc
	v_and_b32_e32 v31, 0x300, v7
	v_add_co_u32_e32 v22, vcc, v3, v31
	v_addc_co_u32_e32 v23, vcc, 0, v4, vcc
	s_load_dword s33, s[4:5], 0x98
	s_load_dword s0, s[4:5], 0x1c
	s_waitcnt lgkmcnt(0)
	s_barrier
	global_load_dwordx4 v[10:13], v[22:23], off
	global_load_dwordx4 v[18:21], v[22:23], off offset:1024
	s_waitcnt vmcnt(5)
	v_mad_i64_i32 v[2:3], s[10:11], v2, s1, 0
	v_lshlrev_b64 v[2:3], 1, v[2:3]
	v_add_co_u32_e32 v2, vcc, v29, v2
	v_addc_co_u32_e32 v3, vcc, v30, v3, vcc
	v_add_co_u32_e32 v24, vcc, v2, v31
	v_addc_co_u32_e32 v25, vcc, 0, v3, vcc
	global_load_dwordx4 v[14:17], v[24:25], off
	global_load_dwordx4 v[38:41], v[24:25], off offset:1024
	v_and_b32_e32 v2, 7, v0
	v_lshlrev_b32_e32 v2, 5, v2
	v_lshl_or_b32 v32, v1, 9, v2
	ds_read_b128 v[2:5], v32
	s_waitcnt vmcnt(6)
	v_mad_i64_i32 v[6:7], s[10:11], v6, s1, 0
	v_lshlrev_b64 v[26:27], 1, v[6:7]
	ds_read_b128 v[6:9], v32 offset:2048
	v_and_or_b32 v62, v0, 48, s9
	v_mov_b32_e32 v63, s18
	v_mov_b32_e32 v68, s17
	s_add_u32 s8, s14, s2
	v_lshl_or_b32 v87, v85, 4, v83
	v_lshlrev_b32_e32 v76, 5, v87
	s_mov_b32 s40, 0xff7fffff
	s_waitcnt vmcnt(3) lgkmcnt(1)
	v_mfma_f32_16x16x16f16 v[34:37], v[10:11], v[2:3], 0
	v_add_co_u32_e32 v10, vcc, v29, v26
	v_addc_co_u32_e32 v11, vcc, v30, v27, vcc
	v_add_co_u32_e32 v26, vcc, v10, v31
	v_addc_co_u32_e32 v27, vcc, 0, v11, vcc
	global_load_dwordx4 v[46:49], v[26:27], off
	global_load_dwordx4 v[58:61], v[26:27], off offset:1024
	s_waitcnt vmcnt(3)
	v_mfma_f32_16x16x16f16 v[42:45], v[14:15], v[2:3], 0
	v_cmp_gt_i32_e32 vcc, s38, v62
	v_mfma_f32_16x16x16f16 v[14:17], v[16:17], v[4:5], v[42:45]
	s_nop 7
	s_nop 0
	global_load_dwordx4 v[42:45], v[22:23], off offset:2048
	v_mfma_f32_16x16x16f16 v[10:13], v[12:13], v[4:5], v[34:37]
	s_waitcnt vmcnt(3) lgkmcnt(0)
	v_mfma_f32_16x16x16f16 v[14:17], v[38:39], v[6:7], v[14:17]
	v_mfma_f32_16x16x16f16 v[10:13], v[18:19], v[6:7], v[10:13]
	;; [unrolled: 1-line block ×3, first 2 shown]
	global_load_dwordx4 v[38:41], v[22:23], off offset:3072
	v_mfma_f32_16x16x16f16 v[18:21], v[20:21], v[8:9], v[10:13]
	s_waitcnt vmcnt(3)
	v_mfma_f32_16x16x16f16 v[50:53], v[46:47], v[2:3], 0
	v_mfma_f32_16x16x16f16 v[34:37], v[48:49], v[4:5], v[50:53]
	global_load_dwordx4 v[46:49], v[24:25], off offset:2048
	s_nop 3
	ds_read_b128 v[10:13], v32 offset:4096
	s_nop 3
	ds_read_b128 v[50:53], v32 offset:6144
	global_load_dwordx4 v[22:25], v[24:25], off offset:3072
	v_mad_i64_i32 v[32:33], s[10:11], v28, s1, 0
	v_mov_b32_e32 v28, s17
	s_addc_u32 s10, s15, s3
	s_waitcnt vmcnt(3) lgkmcnt(1)
	v_mfma_f32_16x16x16f16 v[18:21], v[42:43], v[10:11], v[18:21]
	v_mfma_f32_16x16x16f16 v[18:21], v[44:45], v[12:13], v[18:21]
	global_load_dwordx4 v[42:45], v[26:27], off offset:2048
	s_waitcnt vmcnt(3) lgkmcnt(0)
	v_mfma_f32_16x16x16f16 v[18:21], v[38:39], v[50:51], v[18:21]
	v_or_b32_e32 v38, 64, v62
	v_ashrrev_i32_e32 v39, 4, v38
	v_mfma_f32_16x16x16f16 v[54:57], v[40:41], v[52:53], v[18:21]
	s_waitcnt vmcnt(2)
	v_mfma_f32_16x16x16f16 v[14:17], v[46:47], v[10:11], v[14:17]
	v_mfma_f32_16x16x16f16 v[14:17], v[48:49], v[12:13], v[14:17]
	global_load_dwordx4 v[46:49], v[26:27], off offset:3072
	v_lshlrev_b64 v[26:27], 1, v[32:33]
	v_ashrrev_i32_e32 v32, 4, v62
	v_cndmask_b32_e32 v32, v63, v32, vcc
	v_ashrrev_i32_e32 v33, 31, v32
	v_cmp_gt_i32_e32 vcc, s38, v38
	v_cndmask_b32_e32 v38, v63, v39, vcc
	s_waitcnt vmcnt(2)
	v_mfma_f32_16x16x16f16 v[14:17], v[22:23], v[50:51], v[14:17]
	v_lshlrev_b64 v[22:23], 2, v[32:33]
	v_add_co_u32_e32 v22, vcc, s16, v22
	v_addc_co_u32_e32 v23, vcc, v28, v23, vcc
	v_add_co_u32_e32 v18, vcc, v29, v26
	v_addc_co_u32_e32 v19, vcc, v30, v27, vcc
	;; [unrolled: 2-line block ×3, first 2 shown]
	v_mfma_f32_16x16x16f16 v[64:67], v[24:25], v[52:53], v[14:17]
	global_load_dword v30, v[22:23], off
	v_ashrrev_i32_e32 v39, 31, v38
	v_lshlrev_b64 v[32:33], 2, v[38:39]
	v_add_co_u32_e32 v18, vcc, s16, v32
	v_addc_co_u32_e32 v19, vcc, v68, v33, vcc
	s_nop 1
	global_load_dwordx4 v[14:17], v[26:27], off
	global_load_dword v31, v[18:19], off
	s_nop 0
	global_load_dwordx4 v[18:21], v[26:27], off offset:1024
	global_load_dwordx4 v[68:71], v[26:27], off offset:2048
	;; [unrolled: 1-line block ×3, first 2 shown]
	v_mfma_f32_16x16x16f16 v[22:25], v[58:59], v[6:7], v[34:37]
	v_or_b32_e32 v28, 0x80, v62
	v_ashrrev_i32_e32 v29, 4, v28
	v_cmp_gt_i32_e32 vcc, s38, v28
	v_cndmask_b32_e32 v28, v63, v29, vcc
	v_ashrrev_i32_e32 v29, 31, v28
	v_lshlrev_b64 v[28:29], 2, v[28:29]
	v_mov_b32_e32 v32, s17
	v_mfma_f32_16x16x16f16 v[22:25], v[60:61], v[8:9], v[22:25]
	v_add_co_u32_e32 v28, vcc, s16, v28
	v_addc_co_u32_e32 v29, vcc, v32, v29, vcc
	global_load_dword v32, v[28:29], off
	v_or_b32_e32 v28, 0xc0, v62
	v_ashrrev_i32_e32 v29, 4, v28
	v_cmp_gt_i32_e32 vcc, s38, v28
	v_cndmask_b32_e32 v28, v63, v29, vcc
	v_ashrrev_i32_e32 v29, 31, v28
	v_lshlrev_b64 v[28:29], 2, v[28:29]
	s_waitcnt vmcnt(8)
	v_mfma_f32_16x16x16f16 v[22:25], v[42:43], v[10:11], v[22:25]
	v_mov_b32_e32 v33, s17
	v_add_co_u32_e32 v28, vcc, s16, v28
	v_addc_co_u32_e32 v29, vcc, v33, v29, vcc
	global_load_dword v58, v[28:29], off
	v_mov_b32_e32 v26, s10
	v_mfma_f32_16x16x16f16 v[22:25], v[44:45], v[12:13], v[22:25]
	v_add_co_u32_e32 v77, vcc, s8, v76
	v_addc_co_u32_e32 v78, vcc, 0, v26, vcc
	v_pk_mul_f32 v[80:81], s[0:1], v[66:67] op_sel_hi:[0,1]
	s_waitcnt vmcnt(8)
	v_mfma_f32_16x16x16f16 v[22:25], v[46:47], v[50:51], v[22:25]
	v_mfma_f32_16x16x16f16 v[72:75], v[48:49], v[52:53], v[22:25]
	s_waitcnt vmcnt(7)
	s_nop 7
	s_nop 0
	v_mad_i64_i32 v[22:23], s[2:3], v30, s1, 0
	v_lshlrev_b64 v[62:63], 1, v[22:23]
	s_waitcnt vmcnt(6)
	v_mfma_f32_16x16x16f16 v[22:25], v[14:15], v[2:3], 0
	v_add_co_u32_e32 v2, vcc, v77, v62
	v_addc_co_u32_e32 v3, vcc, v78, v63, vcc
	global_load_dwordx4 v[46:49], v[2:3], off
	global_load_dwordx4 v[42:45], v[2:3], off offset:16
	s_waitcnt vmcnt(7)
	v_mad_i64_i32 v[2:3], s[2:3], v31, s1, 0
	v_lshlrev_b64 v[14:15], 1, v[2:3]
	v_mfma_f32_16x16x16f16 v[2:5], v[16:17], v[4:5], v[22:25]
	v_add_co_u32_e32 v16, vcc, v77, v14
	v_addc_co_u32_e32 v17, vcc, v78, v15, vcc
	global_load_dwordx4 v[38:41], v[16:17], off
	global_load_dwordx4 v[34:37], v[16:17], off offset:16
	s_waitcnt vmcnt(5)
	v_mad_i64_i32 v[16:17], s[2:3], v32, s1, 0
	v_mfma_f32_16x16x16f16 v[2:5], v[18:19], v[6:7], v[2:5]
	v_lshlrev_b64 v[60:61], 1, v[16:17]
	v_add_co_u32_e32 v6, vcc, v77, v60
	v_addc_co_u32_e32 v7, vcc, v78, v61, vcc
	global_load_dwordx4 v[30:33], v[6:7], off
	global_load_dwordx4 v[26:29], v[6:7], off offset:16
	s_waitcnt vmcnt(6)
	v_mad_i64_i32 v[6:7], s[2:3], v58, s1, 0
	v_mfma_f32_16x16x16f16 v[2:5], v[20:21], v[8:9], v[2:5]
	v_lshlrev_b64 v[58:59], 1, v[6:7]
	v_add_co_u32_e32 v6, vcc, v77, v58
	v_addc_co_u32_e32 v7, vcc, v78, v59, vcc
	global_load_dwordx4 v[22:25], v[6:7], off
	global_load_dwordx4 v[18:21], v[6:7], off offset:16
	v_or_b32_e32 v6, 0x800, v76
	v_mfma_f32_16x16x16f16 v[2:5], v[68:69], v[10:11], v[2:5]
	v_mov_b32_e32 v7, s10
	v_add_co_u32_e32 v68, vcc, s8, v6
	v_addc_co_u32_e32 v69, vcc, 0, v7, vcc
	v_pk_mul_f32 v[76:77], s[0:1], v[74:75] op_sel_hi:[0,1]
	v_pk_mul_f32 v[74:75], s[0:1], v[72:73] op_sel_hi:[0,1]
	v_mfma_f32_16x16x16f16 v[10:13], v[70:71], v[12:13], v[2:5]
	v_pk_mul_f32 v[78:79], s[0:1], v[56:57] op_sel_hi:[0,1]
	v_pk_mul_f32 v[70:71], s[0:1], v[64:65] op_sel_hi:[0,1]
	v_mfma_f32_16x16x16f16 v[92:95], v[88:89], v[50:51], v[10:13]
	s_nop 3
	v_add_co_u32_e32 v2, vcc, v68, v62
	v_addc_co_u32_e32 v3, vcc, v69, v63, vcc
	v_add_co_u32_e32 v62, vcc, v68, v14
	v_addc_co_u32_e32 v63, vcc, v69, v15, vcc
	v_mfma_f32_16x16x16f16 v[50:53], v[90:91], v[52:53], v[92:95]
	global_load_dwordx4 v[6:9], v[2:3], off
	s_nop 0
	global_load_dwordx4 v[2:5], v[2:3], off offset:16
	s_nop 0
	global_load_dwordx4 v[14:17], v[62:63], off
	global_load_dwordx4 v[10:13], v[62:63], off offset:16
	v_pk_mul_f32 v[62:63], s[0:1], v[54:55] op_sel_hi:[0,1]
	s_nop 3
	v_pk_mul_f32 v[72:73], s[0:1], v[50:51] op_sel_hi:[0,1]
	v_and_b32_e32 v50, 0xc0, v0
	v_add_u32_e32 v50, s9, v50
	v_lshl_or_b32 v50, v1, 2, v50
	v_pk_mul_f32 v[66:67], s[0:1], v[52:53] op_sel_hi:[0,1]
	v_or_b32_e32 v53, 1, v50
	v_mov_b32_e32 v51, 0xff7fffff
	v_cmp_gt_i32_e64 s[28:29], s38, v50
	v_cmp_gt_i32_e64 s[30:31], s38, v53
	v_cndmask_b32_e64 v52, v51, v62, s[28:29]
	v_cndmask_b32_e64 v53, v51, v63, s[30:31]
	v_max3_f32 v52, v52, s40, v53
	v_or_b32_e32 v53, 2, v50
	v_or_b32_e32 v54, 3, v50
	v_cmp_gt_i32_e64 s[34:35], s38, v53
	v_cmp_gt_i32_e64 s[36:37], s38, v54
	v_cndmask_b32_e64 v53, v51, v78, s[34:35]
	v_cndmask_b32_e64 v54, v51, v79, s[36:37]
	v_max3_f32 v52, v52, v53, v54
	v_or_b32_e32 v53, 16, v50
	v_or_b32_e32 v54, 17, v50
	;; [unrolled: 7-line block ×7, first 2 shown]
	v_cmp_gt_i32_e32 vcc, s38, v53
	v_cmp_gt_i32_e64 s[0:1], s38, v50
	v_cndmask_b32_e32 v53, v51, v66, vcc
	v_cndmask_b32_e64 v50, v51, v67, s[0:1]
	v_max3_f32 v64, v52, v53, v50
	v_mbcnt_lo_u32_b32 v50, -1, 0
	v_mbcnt_hi_u32_b32 v65, -1, v50
	v_and_b32_e32 v50, 64, v65
	v_add_u32_e32 v88, 64, v50
	v_xor_b32_e32 v50, 32, v65
	v_cmp_lt_i32_e64 s[38:39], v50, v88
	v_cndmask_b32_e64 v50, v65, v50, s[38:39]
	v_lshlrev_b32_e32 v89, 2, v50
	ds_bpermute_b32 v90, v89, v64
	v_add_co_u32_e64 v50, s[38:39], v68, v60
	v_addc_co_u32_e64 v51, s[38:39], v69, v61, s[38:39]
	v_xor_b32_e32 v61, 16, v65
	v_cmp_lt_i32_e64 s[38:39], v61, v88
	s_waitcnt lgkmcnt(0)
	v_max_f32_e32 v60, v90, v90
	v_cndmask_b32_e64 v61, v65, v61, s[38:39]
	v_max_f32_e32 v60, v64, v60
	v_lshlrev_b32_e32 v90, 2, v61
	ds_bpermute_b32 v61, v90, v60
	v_add_co_u32_e64 v58, s[38:39], v68, v58
	v_addc_co_u32_e64 v59, s[38:39], v69, v59, s[38:39]
	s_waitcnt lgkmcnt(0)
	v_max_f32_e32 v61, v61, v61
	v_max_f32_e32 v88, v60, v61
	v_sub_f32_e32 v60, v62, v88
	v_mul_f32_e32 v60, 0x3fb8aa3b, v60
	v_exp_f32_e32 v68, v60
	v_sub_f32_e32 v60, v63, v88
	v_mul_f32_e32 v60, 0x3fb8aa3b, v60
	global_load_dwordx4 v[54:57], v[50:51], off
	s_nop 0
	global_load_dwordx4 v[50:53], v[50:51], off offset:16
	v_exp_f32_e32 v69, v60
	global_load_dwordx4 v[62:65], v[58:59], off
	s_nop 0
	global_load_dwordx4 v[58:61], v[58:59], off offset:16
	v_sub_f32_e32 v78, v78, v88
	v_mul_f32_e32 v78, 0x3fb8aa3b, v78
	v_sub_f32_e32 v79, v79, v88
	v_exp_f32_e32 v78, v78
	v_mul_f32_e32 v79, 0x3fb8aa3b, v79
	v_sub_f32_e32 v70, v70, v88
	v_exp_f32_e32 v79, v79
	v_mul_f32_e32 v70, 0x3fb8aa3b, v70
	v_sub_f32_e32 v71, v71, v88
	v_cndmask_b32_e64 v68, 0, v68, s[28:29]
	v_exp_f32_e32 v70, v70
	v_mul_f32_e32 v71, 0x3fb8aa3b, v71
	v_sub_f32_e32 v80, v80, v88
	v_add_f32_e32 v91, 0, v68
	v_cndmask_b32_e64 v69, 0, v69, s[30:31]
	v_exp_f32_e32 v71, v71
	v_mul_f32_e32 v80, 0x3fb8aa3b, v80
	v_sub_f32_e32 v81, v81, v88
	v_add_f32_e32 v91, v91, v69
	;; [unrolled: 5-line block ×10, first 2 shown]
	v_cndmask_b32_e64 v76, 0, v76, s[10:11]
	v_exp_f32_e32 v66, v66
	v_mul_f32_e32 v67, 0x3fb8aa3b, v67
	v_add_f32_e32 v91, v91, v76
	v_cndmask_b32_e64 v77, 0, v77, s[12:13]
	v_exp_f32_e32 v67, v67
	v_add_f32_e32 v91, v91, v77
	v_cndmask_b32_e64 v72, 0, v72, s[2:3]
	v_add_f32_e32 v91, v91, v72
	v_cndmask_b32_e64 v73, 0, v73, s[8:9]
	v_add_f32_e32 v91, v91, v73
	v_cndmask_b32_e32 v66, 0, v66, vcc
	v_add_f32_e32 v91, v91, v66
	v_cndmask_b32_e64 v67, 0, v67, s[0:1]
	v_add_f32_e32 v91, v91, v67
	ds_bpermute_b32 v89, v89, v91
	v_cmp_gt_u32_e32 vcc, 16, v86
	s_waitcnt lgkmcnt(0)
	s_barrier
	v_add_f32_e32 v89, v91, v89
	ds_bpermute_b32 v90, v90, v89
	s_and_saveexec_b64 s[0:1], vcc
	s_cbranch_execz .LBB139_13
; %bb.12:
	s_waitcnt lgkmcnt(0)
	v_add_f32_e32 v86, v89, v90
	v_lshlrev_b32_e32 v87, 2, v87
	ds_write2st64_b32 v87, v88, v86 offset1:1
.LBB139_13:
	s_or_b64 exec, exec, s[0:1]
	v_lshlrev_b32_e32 v87, 2, v83
	s_load_dword s2, s[4:5], 0x94
	s_waitcnt lgkmcnt(0)
	s_barrier
	ds_read2_b32 v[88:89], v87 offset1:16
	ds_read2_b32 v[90:91], v87 offset0:32 offset1:48
	ds_read2_b32 v[92:93], v87 offset0:64 offset1:80
	s_lshl_b32 s3, s33, 3
	s_waitcnt lgkmcnt(2)
	v_max3_f32 v86, v88, s40, v89
	s_waitcnt lgkmcnt(1)
	v_max3_f32 v86, v86, v90, v91
	v_sub_f32_e32 v88, v88, v86
	v_mul_f32_e32 v88, 0x3fb8aa3b, v88
	v_exp_f32_e32 v94, v88
	v_sub_f32_e32 v88, v89, v86
	v_mul_f32_e32 v88, 0x3fb8aa3b, v88
	v_exp_f32_e32 v95, v88
	;; [unrolled: 3-line block ×3, first 2 shown]
	ds_read2_b32 v[88:89], v87 offset0:96 offset1:112
	v_sub_f32_e32 v87, v91, v86
	v_mul_f32_e32 v87, 0x3fb8aa3b, v87
	v_exp_f32_e32 v91, v87
	s_waitcnt lgkmcnt(1)
	v_fma_f32 v87, v94, v92, 0
	v_fmac_f32_e32 v87, v95, v93
	s_waitcnt lgkmcnt(0)
	v_fmac_f32_e32 v87, v90, v88
	v_fmac_f32_e32 v87, v91, v89
	v_add_f32_e32 v88, 0x358637bd, v87
	v_div_scale_f32 v89, s[0:1], v88, v88, 1.0
	v_rcp_f32_e32 v92, v89
	s_barrier
	v_fma_f32 v93, -v89, v92, 1.0
	v_fmac_f32_e32 v92, v93, v92
	v_div_scale_f32 v93, vcc, 1.0, v88, 1.0
	v_mul_f32_e32 v82, v93, v92
	v_fma_f32 v84, -v89, v82, v93
	v_fmac_f32_e32 v82, v84, v92
	v_fma_f32 v84, -v89, v82, v93
	v_div_fmas_f32 v82, v84, v92, v82
	v_cmp_eq_u32_e32 vcc, 1, v85
	v_cndmask_b32_e32 v84, v94, v95, vcc
	v_cmp_eq_u32_e32 vcc, 2, v85
	v_cndmask_b32_e32 v84, v84, v90, vcc
	v_cmp_eq_u32_e32 vcc, 3, v85
	v_div_fixup_f32 v82, v82, v88, 1.0
	v_cndmask_b32_e32 v84, v84, v91, vcc
	v_mul_f32_e32 v88, v84, v82
	v_pk_mul_f32 v[78:79], v[88:89], v[78:79] op_sel_hi:[0,1]
	v_cvt_f16_f32_e32 v78, v78
	v_cvt_f16_f32_e32 v79, v79
	v_pk_mul_f32 v[68:69], v[88:89], v[68:69] op_sel_hi:[0,1]
	v_cvt_f16_f32_e32 v68, v68
	v_cvt_f16_f32_e32 v69, v69
	v_pack_b32_f16 v91, v78, v79
	v_pk_mul_f32 v[78:79], v[88:89], v[80:81] op_sel_hi:[0,1]
	v_pk_mul_f32 v[70:71], v[88:89], v[70:71] op_sel_hi:[0,1]
	v_cvt_f16_f32_e32 v70, v70
	v_cvt_f16_f32_e32 v71, v71
	;; [unrolled: 1-line block ×4, first 2 shown]
	v_pack_b32_f16 v90, v68, v69
	v_lshlrev_b32_e32 v69, 3, v1
	v_lshlrev_b32_e32 v68, 5, v83
	;; [unrolled: 1-line block ×3, first 2 shown]
	v_or3_b32 v78, v78, v68, v69
	v_pack_b32_f16 v70, v70, v71
	v_pack_b32_f16 v71, v80, v79
	ds_write2st64_b64 v78, v[90:91], v[70:71] offset1:1
	v_pk_mul_f32 v[70:71], v[88:89], v[76:77] op_sel_hi:[0,1]
	v_pk_mul_f32 v[74:75], v[88:89], v[74:75] op_sel_hi:[0,1]
	v_cvt_f16_f32_e32 v69, v74
	v_cvt_f16_f32_e32 v74, v75
	;; [unrolled: 1-line block ×4, first 2 shown]
	v_pk_mul_f32 v[66:67], v[88:89], v[66:67] op_sel_hi:[0,1]
	v_pk_mul_f32 v[70:71], v[88:89], v[72:73] op_sel_hi:[0,1]
	v_cvt_f16_f32_e32 v70, v70
	v_cvt_f16_f32_e32 v71, v71
	;; [unrolled: 1-line block ×4, first 2 shown]
	v_pack_b32_f16 v66, v69, v74
	v_pack_b32_f16 v67, v75, v76
	;; [unrolled: 1-line block ×4, first 2 shown]
	v_cmp_gt_u32_e32 vcc, 8, v0
	ds_write2st64_b64 v78, v[66:67], v[70:71] offset0:2 offset1:3
	s_and_saveexec_b64 s[0:1], vcc
	s_cbranch_execz .LBB139_15
; %bb.14:
	v_or_b32_e32 v66, s27, v0
	v_mov_b32_e32 v67, 0
	v_mov_b32_e32 v69, s3
	v_mad_u64_u32 v[70:71], s[12:13], s6, v69, v[66:67]
	v_mov_b32_e32 v66, s26
	s_load_dwordx4 s[8:11], s[4:5], 0x58
	s_mul_i32 s7, s7, s3
	v_mad_u64_u32 v[66:67], s[12:13], v70, s2, v[66:67]
	v_add_u32_e32 v69, s7, v71
	v_mov_b32_e32 v70, v67
	v_mad_u64_u32 v[70:71], s[12:13], v69, s2, v[70:71]
	v_mov_b32_e32 v67, v70
	v_lshlrev_b64 v[66:67], 2, v[66:67]
	s_waitcnt lgkmcnt(0)
	v_mov_b32_e32 v69, s11
	v_add_co_u32_e32 v70, vcc, s10, v66
	v_addc_co_u32_e32 v71, vcc, v69, v67, vcc
	v_mov_b32_e32 v69, s9
	v_add_co_u32_e32 v66, vcc, s8, v66
	v_addc_co_u32_e32 v67, vcc, v69, v67, vcc
	global_store_dword v[70:71], v86, off
	global_store_dword v[66:67], v87, off
.LBB139_15:
	s_or_b64 exec, exec, s[0:1]
	v_lshl_or_b32 v79, v1, 9, v68
	s_waitcnt lgkmcnt(0)
	s_barrier
	ds_read_b128 v[70:73], v79
	ds_read_b128 v[66:69], v79 offset:16
	s_waitcnt vmcnt(15) lgkmcnt(1)
	v_mfma_f32_16x16x16f16 v[74:77], v[46:47], v[70:71], 0
	s_mov_b32 s1, 0
	v_cmp_gt_u32_e32 vcc, 64, v0
	v_mfma_f32_16x16x16f16 v[46:49], v[48:49], v[72:73], v[74:77]
	s_waitcnt vmcnt(14) lgkmcnt(0)
	v_mfma_f32_16x16x16f16 v[46:49], v[42:43], v[66:67], v[46:49]
	v_mfma_f32_16x16x16f16 v[42:45], v[44:45], v[68:69], v[46:49]
	s_nop 7
	s_nop 1
	ds_read_b128 v[46:49], v79 offset:2048
	ds_read_b128 v[74:77], v79 offset:2064
	s_waitcnt vmcnt(13) lgkmcnt(1)
	v_mfma_f32_16x16x16f16 v[42:45], v[38:39], v[46:47], v[42:45]
	v_mfma_f32_16x16x16f16 v[38:41], v[40:41], v[48:49], v[42:45]
	s_waitcnt vmcnt(12) lgkmcnt(0)
	v_mfma_f32_16x16x16f16 v[38:41], v[34:35], v[74:75], v[38:41]
	v_mfma_f32_16x16x16f16 v[34:37], v[36:37], v[76:77], v[38:41]
	s_nop 7
	s_nop 1
	ds_read_b128 v[38:41], v79 offset:4096
	ds_read_b128 v[42:45], v79 offset:4112
	s_waitcnt vmcnt(11) lgkmcnt(1)
	v_mfma_f32_16x16x16f16 v[34:37], v[30:31], v[38:39], v[34:37]
	v_mfma_f32_16x16x16f16 v[30:33], v[32:33], v[40:41], v[34:37]
	s_waitcnt vmcnt(10) lgkmcnt(0)
	v_mfma_f32_16x16x16f16 v[30:33], v[26:27], v[42:43], v[30:33]
	v_mfma_f32_16x16x16f16 v[26:29], v[28:29], v[44:45], v[30:33]
	s_nop 7
	s_nop 1
	ds_read_b128 v[30:33], v79 offset:6144
	ds_read_b128 v[34:37], v79 offset:6160
	s_waitcnt lgkmcnt(0)
	s_barrier
	s_waitcnt vmcnt(9)
	v_mfma_f32_16x16x16f16 v[26:29], v[22:23], v[30:31], v[26:29]
	v_mfma_f32_16x16x16f16 v[22:25], v[24:25], v[32:33], v[26:29]
	s_waitcnt vmcnt(8)
	v_mfma_f32_16x16x16f16 v[22:25], v[18:19], v[34:35], v[22:25]
	v_mfma_f32_16x16x16f16 v[18:21], v[20:21], v[36:37], v[22:25]
	;; [unrolled: 3-line block ×4, first 2 shown]
	s_waitcnt vmcnt(5)
	v_mfma_f32_16x16x16f16 v[2:5], v[14:15], v[46:47], v[2:5]
	s_nop 7
	v_cvt_f16_f32_e32 v6, v18
	v_cvt_f16_f32_e32 v7, v19
	;; [unrolled: 1-line block ×4, first 2 shown]
	v_mfma_f32_16x16x16f16 v[2:5], v[16:17], v[48:49], v[2:5]
	s_waitcnt vmcnt(4)
	v_mfma_f32_16x16x16f16 v[2:5], v[10:11], v[74:75], v[2:5]
	v_mfma_f32_16x16x16f16 v[2:5], v[12:13], v[76:77], v[2:5]
	s_waitcnt vmcnt(3)
	v_mfma_f32_16x16x16f16 v[2:5], v[54:55], v[38:39], v[2:5]
	;; [unrolled: 3-line block ×5, first 2 shown]
	v_mfma_f32_16x16x16f16 v[2:5], v[60:61], v[36:37], v[2:5]
	s_nop 7
	s_nop 2
	v_cvt_f16_f32_e32 v10, v2
	v_cvt_f16_f32_e32 v11, v3
	;; [unrolled: 1-line block ×4, first 2 shown]
	v_pack_b32_f16 v2, v6, v7
	v_pack_b32_f16 v3, v8, v9
	;; [unrolled: 1-line block ×4, first 2 shown]
	ds_write2st64_b64 v78, v[2:3], v[4:5] offset1:1
	s_waitcnt lgkmcnt(0)
	s_barrier
	s_and_saveexec_b64 s[8:9], vcc
	s_cbranch_execz .LBB139_17
; %bb.16:
	v_lshlrev_b32_e32 v4, 6, v83
	v_lshlrev_b32_e32 v3, 4, v0
	v_lshl_or_b32 v0, v0, 10, v4
	v_lshlrev_b32_e32 v2, 5, v1
	v_and_b32_e32 v3, 16, v3
	v_and_b32_e32 v0, 0x1a00, v0
	v_or3_b32 v0, v0, v2, v3
	ds_read_b128 v[2:5], v0
	ds_read_b128 v[6:9], v0 offset:128
	buffer_load_dword v10, off, s[44:47], 0 ; 4-byte Folded Reload
	s_load_dwordx2 s[4:5], s[4:5], 0x68
	s_lshl_b32 s7, s2, 7
	s_mul_i32 s0, s3, s6
	s_mul_hi_u32 s3, s0, s7
	s_mul_i32 s2, s0, s7
	s_lshl_b64 s[2:3], s[2:3], 1
	s_waitcnt lgkmcnt(0)
	s_add_u32 s2, s4, s2
	s_addc_u32 s3, s5, s3
	s_lshl_b32 s0, s26, 7
	s_lshl_b64 s[0:1], s[0:1], 1
	s_add_u32 s0, s2, s0
	s_addc_u32 s1, s3, s1
	v_mov_b32_e32 v0, s1
	v_or_b32_e32 v12, s27, v1
	s_waitcnt vmcnt(0)
	v_add_co_u32_e32 v10, vcc, s0, v10
	v_addc_co_u32_e32 v11, vcc, 0, v0, vcc
	v_mad_u64_u32 v[0:1], s[0:1], v12, s7, 0
	v_lshlrev_b64 v[0:1], 1, v[0:1]
	v_add_co_u32_e32 v0, vcc, v10, v0
	v_addc_co_u32_e32 v1, vcc, v11, v1, vcc
	global_store_dwordx4 v[0:1], v[2:5], off
	v_or_b32_e32 v0, 4, v12
	v_mad_u64_u32 v[0:1], s[0:1], v0, s7, 0
	v_lshlrev_b64 v[0:1], 1, v[0:1]
	v_add_co_u32_e32 v0, vcc, v10, v0
	v_addc_co_u32_e32 v1, vcc, v11, v1, vcc
	global_store_dwordx4 v[0:1], v[6:9], off
.LBB139_17:
	s_endpgm
	.section	.rodata,"a",@progbits
	.p2align	6, 0x0
	.amdhsa_kernel _Z39paged_attention_ll4mi_QKV_mfma16_kernelIDF16_DF16_LN4vllm18Fp8KVCacheDataTypeE0EDF16_Li16ELi128ELi256ELb0ELi8EL8MFMAType0EEvPKT_PKT0_S8_ifPKiSA_SA_iPKfiiiPfSD_PS3_PT2_iSC_SC_
		.amdhsa_group_segment_fixed_size 8192
		.amdhsa_private_segment_fixed_size 8
		.amdhsa_kernarg_size 400
		.amdhsa_user_sgpr_count 6
		.amdhsa_user_sgpr_private_segment_buffer 1
		.amdhsa_user_sgpr_dispatch_ptr 0
		.amdhsa_user_sgpr_queue_ptr 0
		.amdhsa_user_sgpr_kernarg_segment_ptr 1
		.amdhsa_user_sgpr_dispatch_id 0
		.amdhsa_user_sgpr_flat_scratch_init 0
		.amdhsa_user_sgpr_kernarg_preload_length 0
		.amdhsa_user_sgpr_kernarg_preload_offset 0
		.amdhsa_user_sgpr_private_segment_size 0
		.amdhsa_uses_dynamic_stack 0
		.amdhsa_system_sgpr_private_segment_wavefront_offset 1
		.amdhsa_system_sgpr_workgroup_id_x 1
		.amdhsa_system_sgpr_workgroup_id_y 1
		.amdhsa_system_sgpr_workgroup_id_z 1
		.amdhsa_system_sgpr_workgroup_info 0
		.amdhsa_system_vgpr_workitem_id 0
		.amdhsa_next_free_vgpr 96
		.amdhsa_next_free_sgpr 48
		.amdhsa_accum_offset 96
		.amdhsa_reserve_vcc 1
		.amdhsa_reserve_flat_scratch 0
		.amdhsa_float_round_mode_32 0
		.amdhsa_float_round_mode_16_64 0
		.amdhsa_float_denorm_mode_32 3
		.amdhsa_float_denorm_mode_16_64 3
		.amdhsa_dx10_clamp 1
		.amdhsa_ieee_mode 1
		.amdhsa_fp16_overflow 0
		.amdhsa_tg_split 0
		.amdhsa_exception_fp_ieee_invalid_op 0
		.amdhsa_exception_fp_denorm_src 0
		.amdhsa_exception_fp_ieee_div_zero 0
		.amdhsa_exception_fp_ieee_overflow 0
		.amdhsa_exception_fp_ieee_underflow 0
		.amdhsa_exception_fp_ieee_inexact 0
		.amdhsa_exception_int_div_zero 0
	.end_amdhsa_kernel
	.section	.text._Z39paged_attention_ll4mi_QKV_mfma16_kernelIDF16_DF16_LN4vllm18Fp8KVCacheDataTypeE0EDF16_Li16ELi128ELi256ELb0ELi8EL8MFMAType0EEvPKT_PKT0_S8_ifPKiSA_SA_iPKfiiiPfSD_PS3_PT2_iSC_SC_,"axG",@progbits,_Z39paged_attention_ll4mi_QKV_mfma16_kernelIDF16_DF16_LN4vllm18Fp8KVCacheDataTypeE0EDF16_Li16ELi128ELi256ELb0ELi8EL8MFMAType0EEvPKT_PKT0_S8_ifPKiSA_SA_iPKfiiiPfSD_PS3_PT2_iSC_SC_,comdat
.Lfunc_end139:
	.size	_Z39paged_attention_ll4mi_QKV_mfma16_kernelIDF16_DF16_LN4vllm18Fp8KVCacheDataTypeE0EDF16_Li16ELi128ELi256ELb0ELi8EL8MFMAType0EEvPKT_PKT0_S8_ifPKiSA_SA_iPKfiiiPfSD_PS3_PT2_iSC_SC_, .Lfunc_end139-_Z39paged_attention_ll4mi_QKV_mfma16_kernelIDF16_DF16_LN4vllm18Fp8KVCacheDataTypeE0EDF16_Li16ELi128ELi256ELb0ELi8EL8MFMAType0EEvPKT_PKT0_S8_ifPKiSA_SA_iPKfiiiPfSD_PS3_PT2_iSC_SC_
                                        ; -- End function
	.section	.AMDGPU.csdata,"",@progbits
; Kernel info:
; codeLenInByte = 4544
; NumSgprs: 52
; NumVgprs: 96
; NumAgprs: 0
; TotalNumVgprs: 96
; ScratchSize: 8
; MemoryBound: 0
; FloatMode: 240
; IeeeMode: 1
; LDSByteSize: 8192 bytes/workgroup (compile time only)
; SGPRBlocks: 6
; VGPRBlocks: 11
; NumSGPRsForWavesPerEU: 52
; NumVGPRsForWavesPerEU: 96
; AccumOffset: 96
; Occupancy: 5
; WaveLimiterHint : 1
; COMPUTE_PGM_RSRC2:SCRATCH_EN: 1
; COMPUTE_PGM_RSRC2:USER_SGPR: 6
; COMPUTE_PGM_RSRC2:TRAP_HANDLER: 0
; COMPUTE_PGM_RSRC2:TGID_X_EN: 1
; COMPUTE_PGM_RSRC2:TGID_Y_EN: 1
; COMPUTE_PGM_RSRC2:TGID_Z_EN: 1
; COMPUTE_PGM_RSRC2:TIDIG_COMP_CNT: 0
; COMPUTE_PGM_RSRC3_GFX90A:ACCUM_OFFSET: 23
; COMPUTE_PGM_RSRC3_GFX90A:TG_SPLIT: 0
	.section	.text._Z39paged_attention_ll4mi_QKV_mfma16_kernelIDF16_DF16_LN4vllm18Fp8KVCacheDataTypeE0EDF16_Li16ELi128ELi256ELb0ELi9EL8MFMAType0EEvPKT_PKT0_S8_ifPKiSA_SA_iPKfiiiPfSD_PS3_PT2_iSC_SC_,"axG",@progbits,_Z39paged_attention_ll4mi_QKV_mfma16_kernelIDF16_DF16_LN4vllm18Fp8KVCacheDataTypeE0EDF16_Li16ELi128ELi256ELb0ELi9EL8MFMAType0EEvPKT_PKT0_S8_ifPKiSA_SA_iPKfiiiPfSD_PS3_PT2_iSC_SC_,comdat
	.protected	_Z39paged_attention_ll4mi_QKV_mfma16_kernelIDF16_DF16_LN4vllm18Fp8KVCacheDataTypeE0EDF16_Li16ELi128ELi256ELb0ELi9EL8MFMAType0EEvPKT_PKT0_S8_ifPKiSA_SA_iPKfiiiPfSD_PS3_PT2_iSC_SC_ ; -- Begin function _Z39paged_attention_ll4mi_QKV_mfma16_kernelIDF16_DF16_LN4vllm18Fp8KVCacheDataTypeE0EDF16_Li16ELi128ELi256ELb0ELi9EL8MFMAType0EEvPKT_PKT0_S8_ifPKiSA_SA_iPKfiiiPfSD_PS3_PT2_iSC_SC_
	.globl	_Z39paged_attention_ll4mi_QKV_mfma16_kernelIDF16_DF16_LN4vllm18Fp8KVCacheDataTypeE0EDF16_Li16ELi128ELi256ELb0ELi9EL8MFMAType0EEvPKT_PKT0_S8_ifPKiSA_SA_iPKfiiiPfSD_PS3_PT2_iSC_SC_
	.p2align	8
	.type	_Z39paged_attention_ll4mi_QKV_mfma16_kernelIDF16_DF16_LN4vllm18Fp8KVCacheDataTypeE0EDF16_Li16ELi128ELi256ELb0ELi9EL8MFMAType0EEvPKT_PKT0_S8_ifPKiSA_SA_iPKfiiiPfSD_PS3_PT2_iSC_SC_,@function
_Z39paged_attention_ll4mi_QKV_mfma16_kernelIDF16_DF16_LN4vllm18Fp8KVCacheDataTypeE0EDF16_Li16ELi128ELi256ELb0ELi9EL8MFMAType0EEvPKT_PKT0_S8_ifPKiSA_SA_iPKfiiiPfSD_PS3_PT2_iSC_SC_: ; @_Z39paged_attention_ll4mi_QKV_mfma16_kernelIDF16_DF16_LN4vllm18Fp8KVCacheDataTypeE0EDF16_Li16ELi128ELi256ELb0ELi9EL8MFMAType0EEvPKT_PKT0_S8_ifPKiSA_SA_iPKfiiiPfSD_PS3_PT2_iSC_SC_
; %bb.0:
	s_mov_b64 s[46:47], s[2:3]
	s_mov_b64 s[44:45], s[0:1]
	s_load_dwordx2 s[0:1], s[4:5], 0x30
	s_add_u32 s44, s44, s9
	s_addc_u32 s45, s45, 0
	s_mov_b32 s26, s7
	s_mov_b64 s[10:11], 0
	s_waitcnt lgkmcnt(0)
	s_cmp_lg_u64 s[0:1], 0
	s_cselect_b64 s[2:3], -1, 0
	s_and_b64 vcc, exec, s[2:3]
	s_cbranch_vccz .LBB140_7
; %bb.1:
	s_add_i32 s12, s6, 1
	s_mov_b32 s13, 0
	s_lshl_b64 s[14:15], s[12:13], 2
	s_add_u32 s14, s0, s14
	s_mov_b32 s7, s13
	s_addc_u32 s15, s1, s15
	s_lshl_b64 s[12:13], s[6:7], 2
	s_add_u32 s12, s0, s12
	s_addc_u32 s13, s1, s13
	s_load_dword s9, s[14:15], 0x0
	s_load_dword s16, s[12:13], 0x0
	s_waitcnt lgkmcnt(0)
	s_sub_i32 s9, s9, s16
	s_cmp_eq_u32 s9, 1
	s_cselect_b64 s[12:13], -1, 0
	s_andn2_b64 vcc, exec, s[10:11]
	s_cbranch_vccnz .LBB140_3
.LBB140_2:
	s_mov_b32 s7, 0
	s_mov_b64 s[12:13], -1
.LBB140_3:
	s_andn2_b64 vcc, exec, s[12:13]
	s_cbranch_vccnz .LBB140_18
; %bb.4:
	s_load_dwordx2 s[12:13], s[4:5], 0x28
	s_lshl_b64 s[10:11], s[6:7], 2
	s_waitcnt lgkmcnt(0)
	s_add_u32 s12, s12, s10
	s_addc_u32 s13, s13, s11
	s_load_dword s38, s[12:13], 0x0
	s_lshl_b32 s9, s26, 8
	s_waitcnt lgkmcnt(0)
	s_cmp_ge_i32 s9, s38
	s_cbranch_scc1 .LBB140_18
; %bb.5:
	s_add_i32 s15, s38, 15
	s_load_dwordx2 s[12:13], s[4:5], 0x20
	s_load_dword s14, s[4:5], 0x38
	s_ashr_i32 s16, s15, 31
	v_and_b32_e32 v1, 0xcf, v0
	s_lshr_b32 s16, s16, 28
	v_add_u32_e32 v1, s9, v1
	s_add_i32 s15, s15, s16
	v_ashrrev_i32_e32 v2, 31, v1
	s_ashr_i32 s18, s15, 4
	v_lshrrev_b32_e32 v6, 28, v2
	s_add_i32 s18, s18, -1
	v_add_u32_e32 v2, v1, v6
	s_waitcnt lgkmcnt(0)
	s_mul_i32 s14, s6, s14
	s_mov_b32 s15, 0
	v_ashrrev_i32_e32 v2, 4, v2
	v_mov_b32_e32 v7, s18
	v_cmp_gt_i32_e32 vcc, s38, v1
	s_lshl_b64 s[14:15], s[14:15], 2
	v_cndmask_b32_e32 v2, v7, v2, vcc
	s_add_u32 s16, s12, s14
	v_ashrrev_i32_e32 v3, 31, v2
	s_addc_u32 s17, s13, s15
	v_lshlrev_b64 v[2:3], 2, v[2:3]
	v_mov_b32_e32 v5, s17
	v_add_co_u32_e32 v4, vcc, s16, v2
	v_or_b32_e32 v2, 16, v1
	v_addc_co_u32_e32 v5, vcc, v5, v3, vcc
	v_add_u32_e32 v3, v2, v6
	v_ashrrev_i32_e32 v3, 4, v3
	v_cmp_gt_i32_e32 vcc, s38, v2
	v_cndmask_b32_e32 v2, v7, v3, vcc
	v_ashrrev_i32_e32 v3, 31, v2
	v_lshlrev_b64 v[2:3], 2, v[2:3]
	v_mov_b32_e32 v9, s17
	v_add_co_u32_e32 v8, vcc, s16, v2
	v_or_b32_e32 v2, 32, v1
	v_addc_co_u32_e32 v9, vcc, v9, v3, vcc
	v_add_u32_e32 v3, v2, v6
	v_ashrrev_i32_e32 v3, 4, v3
	v_cmp_gt_i32_e32 vcc, s38, v2
	v_cndmask_b32_e32 v2, v7, v3, vcc
	v_ashrrev_i32_e32 v3, 31, v2
	;; [unrolled: 10-line block ×3, first 2 shown]
	v_lshlrev_b64 v[2:3], 2, v[2:3]
	v_mov_b32_e32 v1, s17
	v_add_co_u32_e32 v12, vcc, s16, v2
	v_addc_co_u32_e32 v13, vcc, v1, v3, vcc
	global_load_dword v3, v[4:5], off
	global_load_dword v2, v[8:9], off
	;; [unrolled: 1-line block ×4, first 2 shown]
	s_load_dwordx4 s[12:15], s[4:5], 0x8
	s_andn2_b64 vcc, exec, s[2:3]
	s_cbranch_vccnz .LBB140_8
; %bb.6:
	s_add_u32 s0, s0, s10
	s_addc_u32 s1, s1, s11
	s_load_dword s19, s[0:1], 0x0
	s_branch .LBB140_9
.LBB140_7:
	s_mov_b64 s[12:13], 0
	s_branch .LBB140_2
.LBB140_8:
	s_mov_b32 s19, s6
.LBB140_9:
	s_load_dwordx4 s[0:3], s[4:5], 0x48
	v_lshrrev_b32_e32 v85, 6, v0
	v_bfe_u32 v1, v0, 4, 2
	v_and_b32_e32 v83, 15, v0
	v_lshl_or_b32 v4, v85, 2, v1
	v_lshlrev_b32_e32 v5, 3, v83
	v_and_b32_e32 v86, 63, v0
	s_mul_i32 s27, s8, 9
	v_cmp_gt_u32_e32 vcc, 9, v4
	v_lshlrev_b32_e32 v5, 1, v5
	buffer_store_dword v5, off, s[44:47], 0 ; 4-byte Folded Spill
	s_and_saveexec_b64 s[10:11], vcc
	s_cbranch_execz .LBB140_11
; %bb.10:
	s_load_dwordx2 s[20:21], s[4:5], 0x0
	s_waitcnt lgkmcnt(0)
	s_ashr_i32 s3, s0, 31
	s_mul_hi_u32 s22, s19, s0
	s_mul_i32 s3, s19, s3
	s_add_i32 s23, s22, s3
	s_mul_i32 s22, s19, s0
	v_add_lshl_u32 v8, v4, s27, 7
	s_lshl_b64 s[22:23], s[22:23], 1
	v_ashrrev_i32_e32 v9, 31, v8
	s_add_u32 s0, s20, s22
	v_lshlrev_b64 v[8:9], 1, v[8:9]
	v_add_co_u32_e32 v7, vcc, s0, v8
	buffer_load_dword v8, off, s[44:47], 0  ; 4-byte Folded Reload
	s_addc_u32 s3, s21, s23
	v_mov_b32_e32 v5, s3
	v_addc_co_u32_e32 v5, vcc, v5, v9, vcc
	v_lshlrev_b32_e32 v4, 5, v4
	s_waitcnt vmcnt(0)
	v_add_co_u32_e32 v8, vcc, v7, v8
	v_addc_co_u32_e32 v9, vcc, 0, v5, vcc
	global_load_dwordx4 v[8:11], v[8:9], off
	v_and_b32_e32 v5, 3, v0
	v_lshlrev_b32_e32 v7, 9, v83
	v_lshlrev_b32_e32 v5, 9, v5
	v_and_b32_e32 v7, 0x1800, v7
	v_or3_b32 v4, v7, v5, v4
	s_waitcnt vmcnt(0)
	ds_write_b128 v4, v[8:11]
.LBB140_11:
	s_or_b64 exec, exec, s[10:11]
	s_waitcnt lgkmcnt(0)
	s_mul_i32 s2, s8, s2
	s_mov_b32 s3, 0
	s_lshl_b64 s[2:3], s[2:3], 1
	s_add_u32 s8, s12, s2
	v_lshlrev_b32_e32 v7, 4, v0
	s_addc_u32 s10, s13, s3
	v_and_b32_e32 v4, 0xf0, v7
	v_mov_b32_e32 v5, s10
	v_add_co_u32_e32 v29, vcc, s8, v4
	v_addc_co_u32_e32 v30, vcc, 0, v5, vcc
	s_waitcnt vmcnt(4)
	v_mad_i64_i32 v[4:5], s[10:11], v3, s1, 0
	v_lshlrev_b64 v[4:5], 1, v[4:5]
	v_add_co_u32_e32 v3, vcc, v29, v4
	v_addc_co_u32_e32 v4, vcc, v30, v5, vcc
	v_and_b32_e32 v31, 0x300, v7
	v_add_co_u32_e32 v22, vcc, v3, v31
	v_addc_co_u32_e32 v23, vcc, 0, v4, vcc
	s_load_dword s33, s[4:5], 0x98
	s_load_dword s0, s[4:5], 0x1c
	s_waitcnt lgkmcnt(0)
	s_barrier
	global_load_dwordx4 v[10:13], v[22:23], off
	global_load_dwordx4 v[18:21], v[22:23], off offset:1024
	s_waitcnt vmcnt(5)
	v_mad_i64_i32 v[2:3], s[10:11], v2, s1, 0
	v_lshlrev_b64 v[2:3], 1, v[2:3]
	v_add_co_u32_e32 v2, vcc, v29, v2
	v_addc_co_u32_e32 v3, vcc, v30, v3, vcc
	v_add_co_u32_e32 v24, vcc, v2, v31
	v_addc_co_u32_e32 v25, vcc, 0, v3, vcc
	global_load_dwordx4 v[14:17], v[24:25], off
	global_load_dwordx4 v[38:41], v[24:25], off offset:1024
	v_add_u32_e32 v2, -9, v83
	v_cmp_gt_u32_e32 vcc, 9, v83
	v_cndmask_b32_e32 v2, v2, v83, vcc
	v_lshlrev_b32_e32 v2, 5, v2
	v_lshl_add_u32 v32, v1, 9, v2
	ds_read_b128 v[2:5], v32
	s_waitcnt vmcnt(6)
	v_mad_i64_i32 v[6:7], s[10:11], v6, s1, 0
	v_lshlrev_b64 v[26:27], 1, v[6:7]
	ds_read_b128 v[6:9], v32 offset:2048
	v_and_or_b32 v62, v0, 48, s9
	v_mov_b32_e32 v63, s18
	v_mov_b32_e32 v68, s17
	s_add_u32 s8, s14, s2
	v_lshl_or_b32 v87, v85, 4, v83
	v_lshlrev_b32_e32 v76, 5, v87
	s_mov_b32 s40, 0xff7fffff
	s_waitcnt vmcnt(3) lgkmcnt(1)
	v_mfma_f32_16x16x16f16 v[34:37], v[10:11], v[2:3], 0
	v_add_co_u32_e32 v10, vcc, v29, v26
	v_addc_co_u32_e32 v11, vcc, v30, v27, vcc
	v_add_co_u32_e32 v26, vcc, v10, v31
	v_addc_co_u32_e32 v27, vcc, 0, v11, vcc
	global_load_dwordx4 v[46:49], v[26:27], off
	global_load_dwordx4 v[58:61], v[26:27], off offset:1024
	s_waitcnt vmcnt(3)
	v_mfma_f32_16x16x16f16 v[42:45], v[14:15], v[2:3], 0
	v_cmp_gt_i32_e32 vcc, s38, v62
	v_mfma_f32_16x16x16f16 v[14:17], v[16:17], v[4:5], v[42:45]
	s_nop 7
	s_nop 0
	global_load_dwordx4 v[42:45], v[22:23], off offset:2048
	v_mfma_f32_16x16x16f16 v[10:13], v[12:13], v[4:5], v[34:37]
	s_waitcnt vmcnt(3) lgkmcnt(0)
	v_mfma_f32_16x16x16f16 v[14:17], v[38:39], v[6:7], v[14:17]
	v_mfma_f32_16x16x16f16 v[10:13], v[18:19], v[6:7], v[10:13]
	;; [unrolled: 1-line block ×3, first 2 shown]
	global_load_dwordx4 v[38:41], v[22:23], off offset:3072
	v_mfma_f32_16x16x16f16 v[18:21], v[20:21], v[8:9], v[10:13]
	s_waitcnt vmcnt(3)
	v_mfma_f32_16x16x16f16 v[50:53], v[46:47], v[2:3], 0
	v_mfma_f32_16x16x16f16 v[34:37], v[48:49], v[4:5], v[50:53]
	global_load_dwordx4 v[46:49], v[24:25], off offset:2048
	s_nop 3
	ds_read_b128 v[10:13], v32 offset:4096
	s_nop 3
	ds_read_b128 v[50:53], v32 offset:6144
	global_load_dwordx4 v[22:25], v[24:25], off offset:3072
	v_mad_i64_i32 v[32:33], s[10:11], v28, s1, 0
	v_mov_b32_e32 v28, s17
	s_addc_u32 s10, s15, s3
	s_waitcnt vmcnt(3) lgkmcnt(1)
	v_mfma_f32_16x16x16f16 v[18:21], v[42:43], v[10:11], v[18:21]
	v_mfma_f32_16x16x16f16 v[18:21], v[44:45], v[12:13], v[18:21]
	global_load_dwordx4 v[42:45], v[26:27], off offset:2048
	s_waitcnt vmcnt(3) lgkmcnt(0)
	v_mfma_f32_16x16x16f16 v[18:21], v[38:39], v[50:51], v[18:21]
	v_or_b32_e32 v38, 64, v62
	v_ashrrev_i32_e32 v39, 4, v38
	v_mfma_f32_16x16x16f16 v[54:57], v[40:41], v[52:53], v[18:21]
	s_waitcnt vmcnt(2)
	v_mfma_f32_16x16x16f16 v[14:17], v[46:47], v[10:11], v[14:17]
	v_mfma_f32_16x16x16f16 v[14:17], v[48:49], v[12:13], v[14:17]
	global_load_dwordx4 v[46:49], v[26:27], off offset:3072
	v_lshlrev_b64 v[26:27], 1, v[32:33]
	v_ashrrev_i32_e32 v32, 4, v62
	v_cndmask_b32_e32 v32, v63, v32, vcc
	v_ashrrev_i32_e32 v33, 31, v32
	v_cmp_gt_i32_e32 vcc, s38, v38
	v_cndmask_b32_e32 v38, v63, v39, vcc
	s_waitcnt vmcnt(2)
	v_mfma_f32_16x16x16f16 v[14:17], v[22:23], v[50:51], v[14:17]
	v_lshlrev_b64 v[22:23], 2, v[32:33]
	v_add_co_u32_e32 v22, vcc, s16, v22
	v_addc_co_u32_e32 v23, vcc, v28, v23, vcc
	v_add_co_u32_e32 v18, vcc, v29, v26
	v_addc_co_u32_e32 v19, vcc, v30, v27, vcc
	;; [unrolled: 2-line block ×3, first 2 shown]
	v_mfma_f32_16x16x16f16 v[64:67], v[24:25], v[52:53], v[14:17]
	global_load_dword v30, v[22:23], off
	v_ashrrev_i32_e32 v39, 31, v38
	v_lshlrev_b64 v[32:33], 2, v[38:39]
	v_add_co_u32_e32 v18, vcc, s16, v32
	v_addc_co_u32_e32 v19, vcc, v68, v33, vcc
	s_nop 1
	global_load_dwordx4 v[14:17], v[26:27], off
	global_load_dword v31, v[18:19], off
	s_nop 0
	global_load_dwordx4 v[18:21], v[26:27], off offset:1024
	global_load_dwordx4 v[68:71], v[26:27], off offset:2048
	;; [unrolled: 1-line block ×3, first 2 shown]
	v_mfma_f32_16x16x16f16 v[22:25], v[58:59], v[6:7], v[34:37]
	v_or_b32_e32 v28, 0x80, v62
	v_ashrrev_i32_e32 v29, 4, v28
	v_cmp_gt_i32_e32 vcc, s38, v28
	v_cndmask_b32_e32 v28, v63, v29, vcc
	v_ashrrev_i32_e32 v29, 31, v28
	v_lshlrev_b64 v[28:29], 2, v[28:29]
	v_mov_b32_e32 v32, s17
	v_mfma_f32_16x16x16f16 v[22:25], v[60:61], v[8:9], v[22:25]
	v_add_co_u32_e32 v28, vcc, s16, v28
	v_addc_co_u32_e32 v29, vcc, v32, v29, vcc
	global_load_dword v32, v[28:29], off
	v_or_b32_e32 v28, 0xc0, v62
	v_ashrrev_i32_e32 v29, 4, v28
	v_cmp_gt_i32_e32 vcc, s38, v28
	v_cndmask_b32_e32 v28, v63, v29, vcc
	v_ashrrev_i32_e32 v29, 31, v28
	v_lshlrev_b64 v[28:29], 2, v[28:29]
	s_waitcnt vmcnt(8)
	v_mfma_f32_16x16x16f16 v[22:25], v[42:43], v[10:11], v[22:25]
	v_mov_b32_e32 v33, s17
	v_add_co_u32_e32 v28, vcc, s16, v28
	v_addc_co_u32_e32 v29, vcc, v33, v29, vcc
	global_load_dword v58, v[28:29], off
	v_mov_b32_e32 v26, s10
	v_mfma_f32_16x16x16f16 v[22:25], v[44:45], v[12:13], v[22:25]
	v_add_co_u32_e32 v77, vcc, s8, v76
	v_addc_co_u32_e32 v78, vcc, 0, v26, vcc
	v_pk_mul_f32 v[80:81], s[0:1], v[66:67] op_sel_hi:[0,1]
	s_waitcnt vmcnt(8)
	v_mfma_f32_16x16x16f16 v[22:25], v[46:47], v[50:51], v[22:25]
	v_mfma_f32_16x16x16f16 v[72:75], v[48:49], v[52:53], v[22:25]
	s_waitcnt vmcnt(7)
	s_nop 7
	s_nop 0
	v_mad_i64_i32 v[22:23], s[2:3], v30, s1, 0
	v_lshlrev_b64 v[62:63], 1, v[22:23]
	s_waitcnt vmcnt(6)
	v_mfma_f32_16x16x16f16 v[22:25], v[14:15], v[2:3], 0
	v_add_co_u32_e32 v2, vcc, v77, v62
	v_addc_co_u32_e32 v3, vcc, v78, v63, vcc
	global_load_dwordx4 v[46:49], v[2:3], off
	global_load_dwordx4 v[42:45], v[2:3], off offset:16
	s_waitcnt vmcnt(7)
	v_mad_i64_i32 v[2:3], s[2:3], v31, s1, 0
	v_lshlrev_b64 v[14:15], 1, v[2:3]
	v_mfma_f32_16x16x16f16 v[2:5], v[16:17], v[4:5], v[22:25]
	v_add_co_u32_e32 v16, vcc, v77, v14
	v_addc_co_u32_e32 v17, vcc, v78, v15, vcc
	global_load_dwordx4 v[38:41], v[16:17], off
	global_load_dwordx4 v[34:37], v[16:17], off offset:16
	s_waitcnt vmcnt(5)
	v_mad_i64_i32 v[16:17], s[2:3], v32, s1, 0
	v_mfma_f32_16x16x16f16 v[2:5], v[18:19], v[6:7], v[2:5]
	v_lshlrev_b64 v[60:61], 1, v[16:17]
	v_add_co_u32_e32 v6, vcc, v77, v60
	v_addc_co_u32_e32 v7, vcc, v78, v61, vcc
	global_load_dwordx4 v[30:33], v[6:7], off
	global_load_dwordx4 v[26:29], v[6:7], off offset:16
	s_waitcnt vmcnt(6)
	v_mad_i64_i32 v[6:7], s[2:3], v58, s1, 0
	v_mfma_f32_16x16x16f16 v[2:5], v[20:21], v[8:9], v[2:5]
	v_lshlrev_b64 v[58:59], 1, v[6:7]
	v_add_co_u32_e32 v6, vcc, v77, v58
	v_addc_co_u32_e32 v7, vcc, v78, v59, vcc
	global_load_dwordx4 v[22:25], v[6:7], off
	global_load_dwordx4 v[18:21], v[6:7], off offset:16
	v_or_b32_e32 v6, 0x800, v76
	v_mfma_f32_16x16x16f16 v[2:5], v[68:69], v[10:11], v[2:5]
	v_mov_b32_e32 v7, s10
	v_add_co_u32_e32 v68, vcc, s8, v6
	v_addc_co_u32_e32 v69, vcc, 0, v7, vcc
	v_pk_mul_f32 v[76:77], s[0:1], v[74:75] op_sel_hi:[0,1]
	v_pk_mul_f32 v[74:75], s[0:1], v[72:73] op_sel_hi:[0,1]
	v_mfma_f32_16x16x16f16 v[10:13], v[70:71], v[12:13], v[2:5]
	v_pk_mul_f32 v[78:79], s[0:1], v[56:57] op_sel_hi:[0,1]
	v_pk_mul_f32 v[70:71], s[0:1], v[64:65] op_sel_hi:[0,1]
	v_mfma_f32_16x16x16f16 v[92:95], v[88:89], v[50:51], v[10:13]
	s_nop 3
	v_add_co_u32_e32 v2, vcc, v68, v62
	v_addc_co_u32_e32 v3, vcc, v69, v63, vcc
	v_add_co_u32_e32 v62, vcc, v68, v14
	v_addc_co_u32_e32 v63, vcc, v69, v15, vcc
	v_mfma_f32_16x16x16f16 v[50:53], v[90:91], v[52:53], v[92:95]
	global_load_dwordx4 v[6:9], v[2:3], off
	s_nop 0
	global_load_dwordx4 v[2:5], v[2:3], off offset:16
	s_nop 0
	global_load_dwordx4 v[14:17], v[62:63], off
	global_load_dwordx4 v[10:13], v[62:63], off offset:16
	v_pk_mul_f32 v[62:63], s[0:1], v[54:55] op_sel_hi:[0,1]
	s_nop 3
	v_pk_mul_f32 v[72:73], s[0:1], v[50:51] op_sel_hi:[0,1]
	v_and_b32_e32 v50, 0xc0, v0
	v_add_u32_e32 v50, s9, v50
	v_lshl_or_b32 v50, v1, 2, v50
	v_pk_mul_f32 v[66:67], s[0:1], v[52:53] op_sel_hi:[0,1]
	v_or_b32_e32 v53, 1, v50
	v_mov_b32_e32 v51, 0xff7fffff
	v_cmp_gt_i32_e64 s[28:29], s38, v50
	v_cmp_gt_i32_e64 s[30:31], s38, v53
	v_cndmask_b32_e64 v52, v51, v62, s[28:29]
	v_cndmask_b32_e64 v53, v51, v63, s[30:31]
	v_max3_f32 v52, v52, s40, v53
	v_or_b32_e32 v53, 2, v50
	v_or_b32_e32 v54, 3, v50
	v_cmp_gt_i32_e64 s[34:35], s38, v53
	v_cmp_gt_i32_e64 s[36:37], s38, v54
	v_cndmask_b32_e64 v53, v51, v78, s[34:35]
	v_cndmask_b32_e64 v54, v51, v79, s[36:37]
	v_max3_f32 v52, v52, v53, v54
	v_or_b32_e32 v53, 16, v50
	v_or_b32_e32 v54, 17, v50
	;; [unrolled: 7-line block ×7, first 2 shown]
	v_cmp_gt_i32_e32 vcc, s38, v53
	v_cmp_gt_i32_e64 s[0:1], s38, v50
	v_cndmask_b32_e32 v53, v51, v66, vcc
	v_cndmask_b32_e64 v50, v51, v67, s[0:1]
	v_max3_f32 v64, v52, v53, v50
	v_mbcnt_lo_u32_b32 v50, -1, 0
	v_mbcnt_hi_u32_b32 v65, -1, v50
	v_and_b32_e32 v50, 64, v65
	v_add_u32_e32 v88, 64, v50
	v_xor_b32_e32 v50, 32, v65
	v_cmp_lt_i32_e64 s[38:39], v50, v88
	v_cndmask_b32_e64 v50, v65, v50, s[38:39]
	v_lshlrev_b32_e32 v89, 2, v50
	ds_bpermute_b32 v90, v89, v64
	v_add_co_u32_e64 v50, s[38:39], v68, v60
	v_addc_co_u32_e64 v51, s[38:39], v69, v61, s[38:39]
	v_xor_b32_e32 v61, 16, v65
	v_cmp_lt_i32_e64 s[38:39], v61, v88
	s_waitcnt lgkmcnt(0)
	v_max_f32_e32 v60, v90, v90
	v_cndmask_b32_e64 v61, v65, v61, s[38:39]
	v_max_f32_e32 v60, v64, v60
	v_lshlrev_b32_e32 v90, 2, v61
	ds_bpermute_b32 v61, v90, v60
	v_add_co_u32_e64 v58, s[38:39], v68, v58
	v_addc_co_u32_e64 v59, s[38:39], v69, v59, s[38:39]
	s_waitcnt lgkmcnt(0)
	v_max_f32_e32 v61, v61, v61
	v_max_f32_e32 v88, v60, v61
	v_sub_f32_e32 v60, v62, v88
	v_mul_f32_e32 v60, 0x3fb8aa3b, v60
	v_exp_f32_e32 v68, v60
	v_sub_f32_e32 v60, v63, v88
	v_mul_f32_e32 v60, 0x3fb8aa3b, v60
	global_load_dwordx4 v[54:57], v[50:51], off
	s_nop 0
	global_load_dwordx4 v[50:53], v[50:51], off offset:16
	v_exp_f32_e32 v69, v60
	global_load_dwordx4 v[62:65], v[58:59], off
	s_nop 0
	global_load_dwordx4 v[58:61], v[58:59], off offset:16
	v_sub_f32_e32 v78, v78, v88
	v_mul_f32_e32 v78, 0x3fb8aa3b, v78
	v_sub_f32_e32 v79, v79, v88
	v_exp_f32_e32 v78, v78
	v_mul_f32_e32 v79, 0x3fb8aa3b, v79
	v_sub_f32_e32 v70, v70, v88
	v_exp_f32_e32 v79, v79
	v_mul_f32_e32 v70, 0x3fb8aa3b, v70
	v_sub_f32_e32 v71, v71, v88
	v_cndmask_b32_e64 v68, 0, v68, s[28:29]
	v_exp_f32_e32 v70, v70
	v_mul_f32_e32 v71, 0x3fb8aa3b, v71
	v_sub_f32_e32 v80, v80, v88
	v_add_f32_e32 v91, 0, v68
	v_cndmask_b32_e64 v69, 0, v69, s[30:31]
	v_exp_f32_e32 v71, v71
	v_mul_f32_e32 v80, 0x3fb8aa3b, v80
	v_sub_f32_e32 v81, v81, v88
	v_add_f32_e32 v91, v91, v69
	v_cndmask_b32_e64 v78, 0, v78, s[34:35]
	v_exp_f32_e32 v80, v80
	v_mul_f32_e32 v81, 0x3fb8aa3b, v81
	v_sub_f32_e32 v74, v74, v88
	v_add_f32_e32 v91, v91, v78
	v_cndmask_b32_e64 v79, 0, v79, s[36:37]
	v_exp_f32_e32 v81, v81
	v_mul_f32_e32 v74, 0x3fb8aa3b, v74
	v_sub_f32_e32 v75, v75, v88
	v_add_f32_e32 v91, v91, v79
	v_cndmask_b32_e64 v70, 0, v70, s[22:23]
	v_exp_f32_e32 v74, v74
	v_mul_f32_e32 v75, 0x3fb8aa3b, v75
	v_sub_f32_e32 v76, v76, v88
	v_add_f32_e32 v91, v91, v70
	v_cndmask_b32_e64 v71, 0, v71, s[24:25]
	v_exp_f32_e32 v75, v75
	v_mul_f32_e32 v76, 0x3fb8aa3b, v76
	v_sub_f32_e32 v77, v77, v88
	v_add_f32_e32 v91, v91, v71
	v_cndmask_b32_e64 v80, 0, v80, s[18:19]
	v_exp_f32_e32 v76, v76
	v_mul_f32_e32 v77, 0x3fb8aa3b, v77
	v_sub_f32_e32 v72, v72, v88
	v_add_f32_e32 v91, v91, v80
	v_cndmask_b32_e64 v81, 0, v81, s[20:21]
	v_exp_f32_e32 v77, v77
	v_mul_f32_e32 v72, 0x3fb8aa3b, v72
	v_sub_f32_e32 v73, v73, v88
	v_add_f32_e32 v91, v91, v81
	v_cndmask_b32_e64 v74, 0, v74, s[14:15]
	v_exp_f32_e32 v72, v72
	v_mul_f32_e32 v73, 0x3fb8aa3b, v73
	v_sub_f32_e32 v66, v66, v88
	v_add_f32_e32 v91, v91, v74
	v_cndmask_b32_e64 v75, 0, v75, s[16:17]
	v_exp_f32_e32 v73, v73
	v_mul_f32_e32 v66, 0x3fb8aa3b, v66
	v_sub_f32_e32 v67, v67, v88
	v_add_f32_e32 v91, v91, v75
	v_cndmask_b32_e64 v76, 0, v76, s[10:11]
	v_exp_f32_e32 v66, v66
	v_mul_f32_e32 v67, 0x3fb8aa3b, v67
	v_add_f32_e32 v91, v91, v76
	v_cndmask_b32_e64 v77, 0, v77, s[12:13]
	v_exp_f32_e32 v67, v67
	v_add_f32_e32 v91, v91, v77
	v_cndmask_b32_e64 v72, 0, v72, s[2:3]
	v_add_f32_e32 v91, v91, v72
	v_cndmask_b32_e64 v73, 0, v73, s[8:9]
	v_add_f32_e32 v91, v91, v73
	v_cndmask_b32_e32 v66, 0, v66, vcc
	v_add_f32_e32 v91, v91, v66
	v_cndmask_b32_e64 v67, 0, v67, s[0:1]
	v_add_f32_e32 v91, v91, v67
	ds_bpermute_b32 v89, v89, v91
	v_cmp_gt_u32_e64 s[0:1], 16, v86
	s_waitcnt lgkmcnt(0)
	s_barrier
	v_add_f32_e32 v89, v91, v89
	ds_bpermute_b32 v90, v90, v89
	s_and_saveexec_b64 s[2:3], s[0:1]
	s_cbranch_execz .LBB140_13
; %bb.12:
	s_waitcnt lgkmcnt(0)
	v_add_f32_e32 v86, v89, v90
	v_lshlrev_b32_e32 v87, 2, v87
	ds_write2st64_b32 v87, v88, v86 offset1:1
.LBB140_13:
	s_or_b64 exec, exec, s[2:3]
	v_lshlrev_b32_e32 v87, 2, v83
	s_load_dword s8, s[4:5], 0x94
	s_waitcnt lgkmcnt(0)
	s_barrier
	ds_read2_b32 v[88:89], v87 offset1:16
	ds_read2_b32 v[90:91], v87 offset0:32 offset1:48
	ds_read2_b32 v[92:93], v87 offset0:64 offset1:80
	s_mul_i32 s9, s33, 9
	s_waitcnt lgkmcnt(2)
	v_max3_f32 v86, v88, s40, v89
	s_waitcnt lgkmcnt(1)
	v_max3_f32 v86, v86, v90, v91
	v_sub_f32_e32 v88, v88, v86
	v_mul_f32_e32 v88, 0x3fb8aa3b, v88
	v_exp_f32_e32 v94, v88
	v_sub_f32_e32 v88, v89, v86
	v_mul_f32_e32 v88, 0x3fb8aa3b, v88
	v_exp_f32_e32 v95, v88
	;; [unrolled: 3-line block ×3, first 2 shown]
	ds_read2_b32 v[88:89], v87 offset0:96 offset1:112
	v_sub_f32_e32 v87, v91, v86
	v_mul_f32_e32 v87, 0x3fb8aa3b, v87
	v_exp_f32_e32 v91, v87
	s_waitcnt lgkmcnt(1)
	v_fma_f32 v87, v94, v92, 0
	v_fmac_f32_e32 v87, v95, v93
	s_waitcnt lgkmcnt(0)
	v_fmac_f32_e32 v87, v90, v88
	v_fmac_f32_e32 v87, v91, v89
	v_add_f32_e32 v88, 0x358637bd, v87
	v_div_scale_f32 v89, s[2:3], v88, v88, 1.0
	v_rcp_f32_e32 v92, v89
	s_barrier
	v_fma_f32 v93, -v89, v92, 1.0
	v_fmac_f32_e32 v92, v93, v92
	v_div_scale_f32 v93, vcc, 1.0, v88, 1.0
	v_mul_f32_e32 v82, v93, v92
	v_fma_f32 v84, -v89, v82, v93
	v_fmac_f32_e32 v82, v84, v92
	v_fma_f32 v84, -v89, v82, v93
	v_div_fmas_f32 v82, v84, v92, v82
	v_cmp_eq_u32_e32 vcc, 1, v85
	v_cndmask_b32_e32 v84, v94, v95, vcc
	v_cmp_eq_u32_e32 vcc, 2, v85
	v_cndmask_b32_e32 v84, v84, v90, vcc
	v_cmp_eq_u32_e32 vcc, 3, v85
	v_div_fixup_f32 v82, v82, v88, 1.0
	v_cndmask_b32_e32 v84, v84, v91, vcc
	v_mul_f32_e32 v88, v84, v82
	v_pk_mul_f32 v[78:79], v[88:89], v[78:79] op_sel_hi:[0,1]
	v_cvt_f16_f32_e32 v78, v78
	v_cvt_f16_f32_e32 v79, v79
	v_pk_mul_f32 v[68:69], v[88:89], v[68:69] op_sel_hi:[0,1]
	v_cvt_f16_f32_e32 v68, v68
	v_cvt_f16_f32_e32 v69, v69
	v_pack_b32_f16 v91, v78, v79
	v_pk_mul_f32 v[78:79], v[88:89], v[80:81] op_sel_hi:[0,1]
	v_pk_mul_f32 v[70:71], v[88:89], v[70:71] op_sel_hi:[0,1]
	v_cvt_f16_f32_e32 v70, v70
	v_cvt_f16_f32_e32 v71, v71
	;; [unrolled: 1-line block ×4, first 2 shown]
	v_pack_b32_f16 v90, v68, v69
	v_lshlrev_b32_e32 v69, 3, v1
	v_lshlrev_b32_e32 v68, 5, v83
	;; [unrolled: 1-line block ×3, first 2 shown]
	v_or3_b32 v78, v78, v68, v69
	v_pack_b32_f16 v70, v70, v71
	v_pack_b32_f16 v71, v80, v79
	ds_write2st64_b64 v78, v[90:91], v[70:71] offset1:1
	v_pk_mul_f32 v[70:71], v[88:89], v[76:77] op_sel_hi:[0,1]
	v_pk_mul_f32 v[74:75], v[88:89], v[74:75] op_sel_hi:[0,1]
	v_cvt_f16_f32_e32 v69, v74
	v_cvt_f16_f32_e32 v74, v75
	;; [unrolled: 1-line block ×4, first 2 shown]
	v_pk_mul_f32 v[66:67], v[88:89], v[66:67] op_sel_hi:[0,1]
	v_pk_mul_f32 v[70:71], v[88:89], v[72:73] op_sel_hi:[0,1]
	v_cvt_f16_f32_e32 v70, v70
	v_cvt_f16_f32_e32 v71, v71
	;; [unrolled: 1-line block ×4, first 2 shown]
	v_pack_b32_f16 v66, v69, v74
	v_pack_b32_f16 v67, v75, v76
	;; [unrolled: 1-line block ×4, first 2 shown]
	v_cmp_gt_u32_e32 vcc, 9, v0
	ds_write2st64_b64 v78, v[66:67], v[70:71] offset0:2 offset1:3
	s_and_saveexec_b64 s[2:3], vcc
	s_cbranch_execz .LBB140_15
; %bb.14:
	v_add_co_u32_e32 v70, vcc, s27, v83
	v_addc_co_u32_e64 v71, s[10:11], 0, 0, vcc
	v_mov_b32_e32 v66, s9
	v_mov_b32_e32 v67, 0
	v_mad_u64_u32 v[70:71], s[10:11], s6, v66, v[70:71]
	v_mov_b32_e32 v66, s26
	s_load_dwordx4 s[12:15], s[4:5], 0x58
	s_mul_i32 s7, s7, s9
	v_mad_u64_u32 v[66:67], s[10:11], v70, s8, v[66:67]
	v_add_u32_e32 v69, s7, v71
	v_mov_b32_e32 v70, v67
	v_mad_u64_u32 v[70:71], s[10:11], v69, s8, v[70:71]
	v_mov_b32_e32 v67, v70
	v_lshlrev_b64 v[66:67], 2, v[66:67]
	s_waitcnt lgkmcnt(0)
	v_mov_b32_e32 v69, s15
	v_add_co_u32_e32 v70, vcc, s14, v66
	v_addc_co_u32_e32 v71, vcc, v69, v67, vcc
	v_mov_b32_e32 v69, s13
	v_add_co_u32_e32 v66, vcc, s12, v66
	v_addc_co_u32_e32 v67, vcc, v69, v67, vcc
	global_store_dword v[70:71], v86, off
	global_store_dword v[66:67], v87, off
.LBB140_15:
	s_or_b64 exec, exec, s[2:3]
	v_lshl_or_b32 v79, v1, 9, v68
	s_waitcnt lgkmcnt(0)
	s_barrier
	ds_read_b128 v[70:73], v79
	ds_read_b128 v[66:69], v79 offset:16
	s_waitcnt vmcnt(15) lgkmcnt(1)
	v_mfma_f32_16x16x16f16 v[74:77], v[46:47], v[70:71], 0
	s_mov_b32 s3, 0
	v_cmp_gt_u32_e32 vcc, 64, v0
	v_mfma_f32_16x16x16f16 v[46:49], v[48:49], v[72:73], v[74:77]
	s_waitcnt vmcnt(14) lgkmcnt(0)
	v_mfma_f32_16x16x16f16 v[46:49], v[42:43], v[66:67], v[46:49]
	v_mfma_f32_16x16x16f16 v[42:45], v[44:45], v[68:69], v[46:49]
	s_nop 7
	s_nop 1
	ds_read_b128 v[46:49], v79 offset:2048
	ds_read_b128 v[74:77], v79 offset:2064
	s_waitcnt vmcnt(13) lgkmcnt(1)
	v_mfma_f32_16x16x16f16 v[42:45], v[38:39], v[46:47], v[42:45]
	v_mfma_f32_16x16x16f16 v[38:41], v[40:41], v[48:49], v[42:45]
	s_waitcnt vmcnt(12) lgkmcnt(0)
	v_mfma_f32_16x16x16f16 v[38:41], v[34:35], v[74:75], v[38:41]
	v_mfma_f32_16x16x16f16 v[34:37], v[36:37], v[76:77], v[38:41]
	s_nop 7
	s_nop 1
	ds_read_b128 v[38:41], v79 offset:4096
	ds_read_b128 v[42:45], v79 offset:4112
	s_waitcnt vmcnt(11) lgkmcnt(1)
	v_mfma_f32_16x16x16f16 v[34:37], v[30:31], v[38:39], v[34:37]
	v_mfma_f32_16x16x16f16 v[30:33], v[32:33], v[40:41], v[34:37]
	s_waitcnt vmcnt(10) lgkmcnt(0)
	v_mfma_f32_16x16x16f16 v[30:33], v[26:27], v[42:43], v[30:33]
	v_mfma_f32_16x16x16f16 v[26:29], v[28:29], v[44:45], v[30:33]
	s_nop 7
	s_nop 1
	ds_read_b128 v[30:33], v79 offset:6144
	ds_read_b128 v[34:37], v79 offset:6160
	s_waitcnt lgkmcnt(0)
	s_barrier
	s_waitcnt vmcnt(9)
	v_mfma_f32_16x16x16f16 v[26:29], v[22:23], v[30:31], v[26:29]
	v_mfma_f32_16x16x16f16 v[22:25], v[24:25], v[32:33], v[26:29]
	s_waitcnt vmcnt(8)
	v_mfma_f32_16x16x16f16 v[22:25], v[18:19], v[34:35], v[22:25]
	v_mfma_f32_16x16x16f16 v[18:21], v[20:21], v[36:37], v[22:25]
	;; [unrolled: 3-line block ×4, first 2 shown]
	s_waitcnt vmcnt(5)
	v_mfma_f32_16x16x16f16 v[2:5], v[14:15], v[46:47], v[2:5]
	s_nop 7
	v_cvt_f16_f32_e32 v6, v18
	v_cvt_f16_f32_e32 v7, v19
	;; [unrolled: 1-line block ×4, first 2 shown]
	v_mfma_f32_16x16x16f16 v[2:5], v[16:17], v[48:49], v[2:5]
	s_waitcnt vmcnt(4)
	v_mfma_f32_16x16x16f16 v[2:5], v[10:11], v[74:75], v[2:5]
	v_mfma_f32_16x16x16f16 v[2:5], v[12:13], v[76:77], v[2:5]
	s_waitcnt vmcnt(3)
	v_mfma_f32_16x16x16f16 v[2:5], v[54:55], v[38:39], v[2:5]
	;; [unrolled: 3-line block ×5, first 2 shown]
	v_mfma_f32_16x16x16f16 v[2:5], v[60:61], v[36:37], v[2:5]
	s_nop 7
	s_nop 2
	v_cvt_f16_f32_e32 v10, v2
	v_cvt_f16_f32_e32 v11, v3
	;; [unrolled: 1-line block ×4, first 2 shown]
	v_pack_b32_f16 v2, v6, v7
	v_pack_b32_f16 v3, v8, v9
	;; [unrolled: 1-line block ×4, first 2 shown]
	ds_write2st64_b64 v78, v[2:3], v[4:5] offset1:1
	s_waitcnt lgkmcnt(0)
	s_barrier
	s_and_saveexec_b64 s[10:11], vcc
	s_cbranch_execz .LBB140_18
; %bb.16:
	v_lshlrev_b32_e32 v4, 6, v83
	v_lshlrev_b32_e32 v3, 4, v0
	v_lshl_or_b32 v0, v0, 10, v4
	v_lshlrev_b32_e32 v2, 5, v1
	v_and_b32_e32 v3, 16, v3
	v_and_b32_e32 v0, 0x1a00, v0
	v_or3_b32 v0, v0, v2, v3
	buffer_load_dword v2, off, s[44:47], 0  ; 4-byte Folded Reload
	s_load_dwordx2 s[10:11], s[4:5], 0x68
	s_lshl_b32 s4, s8, 7
	s_mul_i32 s2, s9, s6
	s_mul_hi_u32 s7, s2, s4
	s_mul_i32 s6, s2, s4
	s_lshl_b64 s[6:7], s[6:7], 1
	s_waitcnt lgkmcnt(0)
	s_add_u32 s5, s10, s6
	s_addc_u32 s6, s11, s7
	s_lshl_b32 s2, s26, 7
	s_lshl_b64 s[2:3], s[2:3], 1
	s_add_u32 s2, s5, s2
	s_addc_u32 s3, s6, s3
	ds_read_b128 v[4:7], v0 offset:128
	ds_read_b128 v[8:11], v0
	v_add_u32_e32 v14, s27, v1
	v_mov_b32_e32 v3, s3
	s_waitcnt vmcnt(0)
	v_add_co_u32_e32 v2, vcc, s2, v2
	v_mad_u64_u32 v[12:13], s[2:3], v14, s4, 0
	v_addc_co_u32_e32 v3, vcc, 0, v3, vcc
	v_lshlrev_b64 v[12:13], 1, v[12:13]
	v_add_co_u32_e32 v12, vcc, v2, v12
	v_addc_co_u32_e32 v13, vcc, v3, v13, vcc
	s_waitcnt lgkmcnt(0)
	global_store_dwordx4 v[12:13], v[8:11], off
	s_nop 0
	v_add_u32_e32 v8, 4, v14
	v_mad_u64_u32 v[8:9], s[2:3], v8, s4, 0
	v_lshlrev_b64 v[8:9], 1, v[8:9]
	v_add_co_u32_e32 v8, vcc, v2, v8
	v_addc_co_u32_e32 v9, vcc, v3, v9, vcc
	global_store_dwordx4 v[8:9], v[4:7], off
	s_and_b64 exec, exec, s[0:1]
	s_cbranch_execz .LBB140_18
; %bb.17:
	ds_read_b128 v[4:7], v0 offset:256
	v_add3_u32 v0, s27, v1, 8
	v_mad_u64_u32 v[0:1], s[0:1], v0, s4, 0
	v_lshlrev_b64 v[0:1], 1, v[0:1]
	v_add_co_u32_e32 v0, vcc, v2, v0
	v_addc_co_u32_e32 v1, vcc, v3, v1, vcc
	s_waitcnt lgkmcnt(0)
	global_store_dwordx4 v[0:1], v[4:7], off
.LBB140_18:
	s_endpgm
	.section	.rodata,"a",@progbits
	.p2align	6, 0x0
	.amdhsa_kernel _Z39paged_attention_ll4mi_QKV_mfma16_kernelIDF16_DF16_LN4vllm18Fp8KVCacheDataTypeE0EDF16_Li16ELi128ELi256ELb0ELi9EL8MFMAType0EEvPKT_PKT0_S8_ifPKiSA_SA_iPKfiiiPfSD_PS3_PT2_iSC_SC_
		.amdhsa_group_segment_fixed_size 8192
		.amdhsa_private_segment_fixed_size 8
		.amdhsa_kernarg_size 400
		.amdhsa_user_sgpr_count 6
		.amdhsa_user_sgpr_private_segment_buffer 1
		.amdhsa_user_sgpr_dispatch_ptr 0
		.amdhsa_user_sgpr_queue_ptr 0
		.amdhsa_user_sgpr_kernarg_segment_ptr 1
		.amdhsa_user_sgpr_dispatch_id 0
		.amdhsa_user_sgpr_flat_scratch_init 0
		.amdhsa_user_sgpr_kernarg_preload_length 0
		.amdhsa_user_sgpr_kernarg_preload_offset 0
		.amdhsa_user_sgpr_private_segment_size 0
		.amdhsa_uses_dynamic_stack 0
		.amdhsa_system_sgpr_private_segment_wavefront_offset 1
		.amdhsa_system_sgpr_workgroup_id_x 1
		.amdhsa_system_sgpr_workgroup_id_y 1
		.amdhsa_system_sgpr_workgroup_id_z 1
		.amdhsa_system_sgpr_workgroup_info 0
		.amdhsa_system_vgpr_workitem_id 0
		.amdhsa_next_free_vgpr 96
		.amdhsa_next_free_sgpr 48
		.amdhsa_accum_offset 96
		.amdhsa_reserve_vcc 1
		.amdhsa_reserve_flat_scratch 0
		.amdhsa_float_round_mode_32 0
		.amdhsa_float_round_mode_16_64 0
		.amdhsa_float_denorm_mode_32 3
		.amdhsa_float_denorm_mode_16_64 3
		.amdhsa_dx10_clamp 1
		.amdhsa_ieee_mode 1
		.amdhsa_fp16_overflow 0
		.amdhsa_tg_split 0
		.amdhsa_exception_fp_ieee_invalid_op 0
		.amdhsa_exception_fp_denorm_src 0
		.amdhsa_exception_fp_ieee_div_zero 0
		.amdhsa_exception_fp_ieee_overflow 0
		.amdhsa_exception_fp_ieee_underflow 0
		.amdhsa_exception_fp_ieee_inexact 0
		.amdhsa_exception_int_div_zero 0
	.end_amdhsa_kernel
	.section	.text._Z39paged_attention_ll4mi_QKV_mfma16_kernelIDF16_DF16_LN4vllm18Fp8KVCacheDataTypeE0EDF16_Li16ELi128ELi256ELb0ELi9EL8MFMAType0EEvPKT_PKT0_S8_ifPKiSA_SA_iPKfiiiPfSD_PS3_PT2_iSC_SC_,"axG",@progbits,_Z39paged_attention_ll4mi_QKV_mfma16_kernelIDF16_DF16_LN4vllm18Fp8KVCacheDataTypeE0EDF16_Li16ELi128ELi256ELb0ELi9EL8MFMAType0EEvPKT_PKT0_S8_ifPKiSA_SA_iPKfiiiPfSD_PS3_PT2_iSC_SC_,comdat
.Lfunc_end140:
	.size	_Z39paged_attention_ll4mi_QKV_mfma16_kernelIDF16_DF16_LN4vllm18Fp8KVCacheDataTypeE0EDF16_Li16ELi128ELi256ELb0ELi9EL8MFMAType0EEvPKT_PKT0_S8_ifPKiSA_SA_iPKfiiiPfSD_PS3_PT2_iSC_SC_, .Lfunc_end140-_Z39paged_attention_ll4mi_QKV_mfma16_kernelIDF16_DF16_LN4vllm18Fp8KVCacheDataTypeE0EDF16_Li16ELi128ELi256ELb0ELi9EL8MFMAType0EEvPKT_PKT0_S8_ifPKiSA_SA_iPKfiiiPfSD_PS3_PT2_iSC_SC_
                                        ; -- End function
	.section	.AMDGPU.csdata,"",@progbits
; Kernel info:
; codeLenInByte = 4628
; NumSgprs: 52
; NumVgprs: 96
; NumAgprs: 0
; TotalNumVgprs: 96
; ScratchSize: 8
; MemoryBound: 0
; FloatMode: 240
; IeeeMode: 1
; LDSByteSize: 8192 bytes/workgroup (compile time only)
; SGPRBlocks: 6
; VGPRBlocks: 11
; NumSGPRsForWavesPerEU: 52
; NumVGPRsForWavesPerEU: 96
; AccumOffset: 96
; Occupancy: 5
; WaveLimiterHint : 1
; COMPUTE_PGM_RSRC2:SCRATCH_EN: 1
; COMPUTE_PGM_RSRC2:USER_SGPR: 6
; COMPUTE_PGM_RSRC2:TRAP_HANDLER: 0
; COMPUTE_PGM_RSRC2:TGID_X_EN: 1
; COMPUTE_PGM_RSRC2:TGID_Y_EN: 1
; COMPUTE_PGM_RSRC2:TGID_Z_EN: 1
; COMPUTE_PGM_RSRC2:TIDIG_COMP_CNT: 0
; COMPUTE_PGM_RSRC3_GFX90A:ACCUM_OFFSET: 23
; COMPUTE_PGM_RSRC3_GFX90A:TG_SPLIT: 0
	.section	.text._Z39paged_attention_ll4mi_QKV_mfma16_kernelIDF16_DF16_LN4vllm18Fp8KVCacheDataTypeE0EDF16_Li16ELi128ELi256ELb0ELi10EL8MFMAType0EEvPKT_PKT0_S8_ifPKiSA_SA_iPKfiiiPfSD_PS3_PT2_iSC_SC_,"axG",@progbits,_Z39paged_attention_ll4mi_QKV_mfma16_kernelIDF16_DF16_LN4vllm18Fp8KVCacheDataTypeE0EDF16_Li16ELi128ELi256ELb0ELi10EL8MFMAType0EEvPKT_PKT0_S8_ifPKiSA_SA_iPKfiiiPfSD_PS3_PT2_iSC_SC_,comdat
	.protected	_Z39paged_attention_ll4mi_QKV_mfma16_kernelIDF16_DF16_LN4vllm18Fp8KVCacheDataTypeE0EDF16_Li16ELi128ELi256ELb0ELi10EL8MFMAType0EEvPKT_PKT0_S8_ifPKiSA_SA_iPKfiiiPfSD_PS3_PT2_iSC_SC_ ; -- Begin function _Z39paged_attention_ll4mi_QKV_mfma16_kernelIDF16_DF16_LN4vllm18Fp8KVCacheDataTypeE0EDF16_Li16ELi128ELi256ELb0ELi10EL8MFMAType0EEvPKT_PKT0_S8_ifPKiSA_SA_iPKfiiiPfSD_PS3_PT2_iSC_SC_
	.globl	_Z39paged_attention_ll4mi_QKV_mfma16_kernelIDF16_DF16_LN4vllm18Fp8KVCacheDataTypeE0EDF16_Li16ELi128ELi256ELb0ELi10EL8MFMAType0EEvPKT_PKT0_S8_ifPKiSA_SA_iPKfiiiPfSD_PS3_PT2_iSC_SC_
	.p2align	8
	.type	_Z39paged_attention_ll4mi_QKV_mfma16_kernelIDF16_DF16_LN4vllm18Fp8KVCacheDataTypeE0EDF16_Li16ELi128ELi256ELb0ELi10EL8MFMAType0EEvPKT_PKT0_S8_ifPKiSA_SA_iPKfiiiPfSD_PS3_PT2_iSC_SC_,@function
_Z39paged_attention_ll4mi_QKV_mfma16_kernelIDF16_DF16_LN4vllm18Fp8KVCacheDataTypeE0EDF16_Li16ELi128ELi256ELb0ELi10EL8MFMAType0EEvPKT_PKT0_S8_ifPKiSA_SA_iPKfiiiPfSD_PS3_PT2_iSC_SC_: ; @_Z39paged_attention_ll4mi_QKV_mfma16_kernelIDF16_DF16_LN4vllm18Fp8KVCacheDataTypeE0EDF16_Li16ELi128ELi256ELb0ELi10EL8MFMAType0EEvPKT_PKT0_S8_ifPKiSA_SA_iPKfiiiPfSD_PS3_PT2_iSC_SC_
; %bb.0:
	s_mov_b64 s[46:47], s[2:3]
	s_mov_b64 s[44:45], s[0:1]
	s_load_dwordx2 s[0:1], s[4:5], 0x30
	s_add_u32 s44, s44, s9
	s_addc_u32 s45, s45, 0
	s_mov_b32 s26, s7
	s_mov_b64 s[10:11], 0
	s_waitcnt lgkmcnt(0)
	s_cmp_lg_u64 s[0:1], 0
	s_cselect_b64 s[2:3], -1, 0
	s_and_b64 vcc, exec, s[2:3]
	s_cbranch_vccz .LBB141_7
; %bb.1:
	s_add_i32 s12, s6, 1
	s_mov_b32 s13, 0
	s_lshl_b64 s[14:15], s[12:13], 2
	s_add_u32 s14, s0, s14
	s_mov_b32 s7, s13
	s_addc_u32 s15, s1, s15
	s_lshl_b64 s[12:13], s[6:7], 2
	s_add_u32 s12, s0, s12
	s_addc_u32 s13, s1, s13
	s_load_dword s9, s[14:15], 0x0
	s_load_dword s16, s[12:13], 0x0
	s_waitcnt lgkmcnt(0)
	s_sub_i32 s9, s9, s16
	s_cmp_eq_u32 s9, 1
	s_cselect_b64 s[12:13], -1, 0
	s_andn2_b64 vcc, exec, s[10:11]
	s_cbranch_vccnz .LBB141_3
.LBB141_2:
	s_mov_b32 s7, 0
	s_mov_b64 s[12:13], -1
.LBB141_3:
	s_andn2_b64 vcc, exec, s[12:13]
	s_cbranch_vccnz .LBB141_18
; %bb.4:
	s_load_dwordx2 s[12:13], s[4:5], 0x28
	s_lshl_b64 s[10:11], s[6:7], 2
	s_waitcnt lgkmcnt(0)
	s_add_u32 s12, s12, s10
	s_addc_u32 s13, s13, s11
	s_load_dword s38, s[12:13], 0x0
	s_lshl_b32 s9, s26, 8
	s_waitcnt lgkmcnt(0)
	s_cmp_ge_i32 s9, s38
	s_cbranch_scc1 .LBB141_18
; %bb.5:
	s_add_i32 s15, s38, 15
	s_load_dwordx2 s[12:13], s[4:5], 0x20
	s_load_dword s14, s[4:5], 0x38
	s_ashr_i32 s16, s15, 31
	v_and_b32_e32 v1, 0xcf, v0
	s_lshr_b32 s16, s16, 28
	v_add_u32_e32 v1, s9, v1
	s_add_i32 s15, s15, s16
	v_ashrrev_i32_e32 v2, 31, v1
	s_ashr_i32 s18, s15, 4
	v_lshrrev_b32_e32 v6, 28, v2
	s_add_i32 s18, s18, -1
	v_add_u32_e32 v2, v1, v6
	s_waitcnt lgkmcnt(0)
	s_mul_i32 s14, s6, s14
	s_mov_b32 s15, 0
	v_ashrrev_i32_e32 v2, 4, v2
	v_mov_b32_e32 v7, s18
	v_cmp_gt_i32_e32 vcc, s38, v1
	s_lshl_b64 s[14:15], s[14:15], 2
	v_cndmask_b32_e32 v2, v7, v2, vcc
	s_add_u32 s16, s12, s14
	v_ashrrev_i32_e32 v3, 31, v2
	s_addc_u32 s17, s13, s15
	v_lshlrev_b64 v[2:3], 2, v[2:3]
	v_mov_b32_e32 v5, s17
	v_add_co_u32_e32 v4, vcc, s16, v2
	v_or_b32_e32 v2, 16, v1
	v_addc_co_u32_e32 v5, vcc, v5, v3, vcc
	v_add_u32_e32 v3, v2, v6
	v_ashrrev_i32_e32 v3, 4, v3
	v_cmp_gt_i32_e32 vcc, s38, v2
	v_cndmask_b32_e32 v2, v7, v3, vcc
	v_ashrrev_i32_e32 v3, 31, v2
	v_lshlrev_b64 v[2:3], 2, v[2:3]
	v_mov_b32_e32 v9, s17
	v_add_co_u32_e32 v8, vcc, s16, v2
	v_or_b32_e32 v2, 32, v1
	v_addc_co_u32_e32 v9, vcc, v9, v3, vcc
	v_add_u32_e32 v3, v2, v6
	v_ashrrev_i32_e32 v3, 4, v3
	v_cmp_gt_i32_e32 vcc, s38, v2
	v_cndmask_b32_e32 v2, v7, v3, vcc
	v_ashrrev_i32_e32 v3, 31, v2
	;; [unrolled: 10-line block ×3, first 2 shown]
	v_lshlrev_b64 v[2:3], 2, v[2:3]
	v_mov_b32_e32 v1, s17
	v_add_co_u32_e32 v12, vcc, s16, v2
	v_addc_co_u32_e32 v13, vcc, v1, v3, vcc
	global_load_dword v3, v[4:5], off
	global_load_dword v2, v[8:9], off
	;; [unrolled: 1-line block ×4, first 2 shown]
	s_load_dwordx4 s[12:15], s[4:5], 0x8
	s_andn2_b64 vcc, exec, s[2:3]
	s_cbranch_vccnz .LBB141_8
; %bb.6:
	s_add_u32 s0, s0, s10
	s_addc_u32 s1, s1, s11
	s_load_dword s19, s[0:1], 0x0
	s_branch .LBB141_9
.LBB141_7:
	s_mov_b64 s[12:13], 0
	s_branch .LBB141_2
.LBB141_8:
	s_mov_b32 s19, s6
.LBB141_9:
	s_load_dwordx4 s[0:3], s[4:5], 0x48
	v_lshrrev_b32_e32 v85, 6, v0
	v_bfe_u32 v1, v0, 4, 2
	v_and_b32_e32 v83, 15, v0
	v_lshl_or_b32 v4, v85, 2, v1
	v_lshlrev_b32_e32 v5, 3, v83
	v_and_b32_e32 v86, 63, v0
	s_mul_i32 s27, s8, 10
	v_cmp_gt_u32_e32 vcc, 10, v4
	v_lshlrev_b32_e32 v5, 1, v5
	buffer_store_dword v5, off, s[44:47], 0 ; 4-byte Folded Spill
	s_and_saveexec_b64 s[10:11], vcc
	s_cbranch_execz .LBB141_11
; %bb.10:
	s_load_dwordx2 s[20:21], s[4:5], 0x0
	s_waitcnt lgkmcnt(0)
	s_ashr_i32 s3, s0, 31
	s_mul_hi_u32 s22, s19, s0
	s_mul_i32 s3, s19, s3
	s_add_i32 s23, s22, s3
	s_mul_i32 s22, s19, s0
	v_add_lshl_u32 v8, v4, s27, 7
	s_lshl_b64 s[22:23], s[22:23], 1
	v_ashrrev_i32_e32 v9, 31, v8
	s_add_u32 s0, s20, s22
	v_lshlrev_b64 v[8:9], 1, v[8:9]
	v_add_co_u32_e32 v7, vcc, s0, v8
	buffer_load_dword v8, off, s[44:47], 0  ; 4-byte Folded Reload
	s_addc_u32 s3, s21, s23
	v_mov_b32_e32 v5, s3
	v_addc_co_u32_e32 v5, vcc, v5, v9, vcc
	v_lshlrev_b32_e32 v4, 5, v4
	s_waitcnt vmcnt(0)
	v_add_co_u32_e32 v8, vcc, v7, v8
	v_addc_co_u32_e32 v9, vcc, 0, v5, vcc
	global_load_dwordx4 v[8:11], v[8:9], off
	v_and_b32_e32 v5, 3, v0
	v_lshlrev_b32_e32 v7, 9, v83
	v_lshlrev_b32_e32 v5, 9, v5
	v_and_b32_e32 v7, 0x1800, v7
	v_or3_b32 v4, v7, v5, v4
	s_waitcnt vmcnt(0)
	ds_write_b128 v4, v[8:11]
.LBB141_11:
	s_or_b64 exec, exec, s[10:11]
	s_waitcnt lgkmcnt(0)
	s_mul_i32 s2, s8, s2
	s_mov_b32 s3, 0
	s_lshl_b64 s[2:3], s[2:3], 1
	s_add_u32 s8, s12, s2
	v_lshlrev_b32_e32 v7, 4, v0
	s_addc_u32 s10, s13, s3
	v_and_b32_e32 v4, 0xf0, v7
	v_mov_b32_e32 v5, s10
	v_add_co_u32_e32 v29, vcc, s8, v4
	v_addc_co_u32_e32 v30, vcc, 0, v5, vcc
	s_waitcnt vmcnt(4)
	v_mad_i64_i32 v[4:5], s[10:11], v3, s1, 0
	v_lshlrev_b64 v[4:5], 1, v[4:5]
	v_add_co_u32_e32 v3, vcc, v29, v4
	v_addc_co_u32_e32 v4, vcc, v30, v5, vcc
	v_and_b32_e32 v31, 0x300, v7
	v_add_co_u32_e32 v22, vcc, v3, v31
	v_addc_co_u32_e32 v23, vcc, 0, v4, vcc
	s_load_dword s33, s[4:5], 0x98
	s_load_dword s0, s[4:5], 0x1c
	s_waitcnt lgkmcnt(0)
	s_barrier
	global_load_dwordx4 v[10:13], v[22:23], off
	global_load_dwordx4 v[18:21], v[22:23], off offset:1024
	s_waitcnt vmcnt(5)
	v_mad_i64_i32 v[2:3], s[10:11], v2, s1, 0
	v_lshlrev_b64 v[2:3], 1, v[2:3]
	v_add_co_u32_e32 v2, vcc, v29, v2
	v_addc_co_u32_e32 v3, vcc, v30, v3, vcc
	v_add_co_u32_e32 v24, vcc, v2, v31
	v_addc_co_u32_e32 v25, vcc, 0, v3, vcc
	global_load_dwordx4 v[14:17], v[24:25], off
	global_load_dwordx4 v[38:41], v[24:25], off offset:1024
	v_add_u32_e32 v2, -10, v83
	v_cmp_gt_u32_e32 vcc, 10, v83
	v_cndmask_b32_e32 v2, v2, v83, vcc
	v_lshlrev_b32_e32 v2, 5, v2
	v_lshl_add_u32 v32, v1, 9, v2
	ds_read_b128 v[2:5], v32
	s_waitcnt vmcnt(6)
	v_mad_i64_i32 v[6:7], s[10:11], v6, s1, 0
	v_lshlrev_b64 v[26:27], 1, v[6:7]
	ds_read_b128 v[6:9], v32 offset:2048
	v_and_or_b32 v62, v0, 48, s9
	v_mov_b32_e32 v63, s18
	v_mov_b32_e32 v68, s17
	s_add_u32 s8, s14, s2
	v_lshl_or_b32 v87, v85, 4, v83
	v_lshlrev_b32_e32 v76, 5, v87
	s_mov_b32 s40, 0xff7fffff
	s_waitcnt vmcnt(3) lgkmcnt(1)
	v_mfma_f32_16x16x16f16 v[34:37], v[10:11], v[2:3], 0
	v_add_co_u32_e32 v10, vcc, v29, v26
	v_addc_co_u32_e32 v11, vcc, v30, v27, vcc
	v_add_co_u32_e32 v26, vcc, v10, v31
	v_addc_co_u32_e32 v27, vcc, 0, v11, vcc
	global_load_dwordx4 v[46:49], v[26:27], off
	global_load_dwordx4 v[58:61], v[26:27], off offset:1024
	s_waitcnt vmcnt(3)
	v_mfma_f32_16x16x16f16 v[42:45], v[14:15], v[2:3], 0
	v_cmp_gt_i32_e32 vcc, s38, v62
	v_mfma_f32_16x16x16f16 v[14:17], v[16:17], v[4:5], v[42:45]
	s_nop 7
	s_nop 0
	global_load_dwordx4 v[42:45], v[22:23], off offset:2048
	v_mfma_f32_16x16x16f16 v[10:13], v[12:13], v[4:5], v[34:37]
	s_waitcnt vmcnt(3) lgkmcnt(0)
	v_mfma_f32_16x16x16f16 v[14:17], v[38:39], v[6:7], v[14:17]
	v_mfma_f32_16x16x16f16 v[10:13], v[18:19], v[6:7], v[10:13]
	;; [unrolled: 1-line block ×3, first 2 shown]
	global_load_dwordx4 v[38:41], v[22:23], off offset:3072
	v_mfma_f32_16x16x16f16 v[18:21], v[20:21], v[8:9], v[10:13]
	s_waitcnt vmcnt(3)
	v_mfma_f32_16x16x16f16 v[50:53], v[46:47], v[2:3], 0
	v_mfma_f32_16x16x16f16 v[34:37], v[48:49], v[4:5], v[50:53]
	global_load_dwordx4 v[46:49], v[24:25], off offset:2048
	s_nop 3
	ds_read_b128 v[10:13], v32 offset:4096
	s_nop 3
	ds_read_b128 v[50:53], v32 offset:6144
	global_load_dwordx4 v[22:25], v[24:25], off offset:3072
	v_mad_i64_i32 v[32:33], s[10:11], v28, s1, 0
	v_mov_b32_e32 v28, s17
	s_addc_u32 s10, s15, s3
	s_waitcnt vmcnt(3) lgkmcnt(1)
	v_mfma_f32_16x16x16f16 v[18:21], v[42:43], v[10:11], v[18:21]
	v_mfma_f32_16x16x16f16 v[18:21], v[44:45], v[12:13], v[18:21]
	global_load_dwordx4 v[42:45], v[26:27], off offset:2048
	s_waitcnt vmcnt(3) lgkmcnt(0)
	v_mfma_f32_16x16x16f16 v[18:21], v[38:39], v[50:51], v[18:21]
	v_or_b32_e32 v38, 64, v62
	v_ashrrev_i32_e32 v39, 4, v38
	v_mfma_f32_16x16x16f16 v[54:57], v[40:41], v[52:53], v[18:21]
	s_waitcnt vmcnt(2)
	v_mfma_f32_16x16x16f16 v[14:17], v[46:47], v[10:11], v[14:17]
	v_mfma_f32_16x16x16f16 v[14:17], v[48:49], v[12:13], v[14:17]
	global_load_dwordx4 v[46:49], v[26:27], off offset:3072
	v_lshlrev_b64 v[26:27], 1, v[32:33]
	v_ashrrev_i32_e32 v32, 4, v62
	v_cndmask_b32_e32 v32, v63, v32, vcc
	v_ashrrev_i32_e32 v33, 31, v32
	v_cmp_gt_i32_e32 vcc, s38, v38
	v_cndmask_b32_e32 v38, v63, v39, vcc
	s_waitcnt vmcnt(2)
	v_mfma_f32_16x16x16f16 v[14:17], v[22:23], v[50:51], v[14:17]
	v_lshlrev_b64 v[22:23], 2, v[32:33]
	v_add_co_u32_e32 v22, vcc, s16, v22
	v_addc_co_u32_e32 v23, vcc, v28, v23, vcc
	v_add_co_u32_e32 v18, vcc, v29, v26
	v_addc_co_u32_e32 v19, vcc, v30, v27, vcc
	;; [unrolled: 2-line block ×3, first 2 shown]
	v_mfma_f32_16x16x16f16 v[64:67], v[24:25], v[52:53], v[14:17]
	global_load_dword v30, v[22:23], off
	v_ashrrev_i32_e32 v39, 31, v38
	v_lshlrev_b64 v[32:33], 2, v[38:39]
	v_add_co_u32_e32 v18, vcc, s16, v32
	v_addc_co_u32_e32 v19, vcc, v68, v33, vcc
	s_nop 1
	global_load_dwordx4 v[14:17], v[26:27], off
	global_load_dword v31, v[18:19], off
	s_nop 0
	global_load_dwordx4 v[18:21], v[26:27], off offset:1024
	global_load_dwordx4 v[68:71], v[26:27], off offset:2048
	;; [unrolled: 1-line block ×3, first 2 shown]
	v_mfma_f32_16x16x16f16 v[22:25], v[58:59], v[6:7], v[34:37]
	v_or_b32_e32 v28, 0x80, v62
	v_ashrrev_i32_e32 v29, 4, v28
	v_cmp_gt_i32_e32 vcc, s38, v28
	v_cndmask_b32_e32 v28, v63, v29, vcc
	v_ashrrev_i32_e32 v29, 31, v28
	v_lshlrev_b64 v[28:29], 2, v[28:29]
	v_mov_b32_e32 v32, s17
	v_mfma_f32_16x16x16f16 v[22:25], v[60:61], v[8:9], v[22:25]
	v_add_co_u32_e32 v28, vcc, s16, v28
	v_addc_co_u32_e32 v29, vcc, v32, v29, vcc
	global_load_dword v32, v[28:29], off
	v_or_b32_e32 v28, 0xc0, v62
	v_ashrrev_i32_e32 v29, 4, v28
	v_cmp_gt_i32_e32 vcc, s38, v28
	v_cndmask_b32_e32 v28, v63, v29, vcc
	v_ashrrev_i32_e32 v29, 31, v28
	v_lshlrev_b64 v[28:29], 2, v[28:29]
	s_waitcnt vmcnt(8)
	v_mfma_f32_16x16x16f16 v[22:25], v[42:43], v[10:11], v[22:25]
	v_mov_b32_e32 v33, s17
	v_add_co_u32_e32 v28, vcc, s16, v28
	v_addc_co_u32_e32 v29, vcc, v33, v29, vcc
	global_load_dword v58, v[28:29], off
	v_mov_b32_e32 v26, s10
	v_mfma_f32_16x16x16f16 v[22:25], v[44:45], v[12:13], v[22:25]
	v_add_co_u32_e32 v77, vcc, s8, v76
	v_addc_co_u32_e32 v78, vcc, 0, v26, vcc
	v_pk_mul_f32 v[80:81], s[0:1], v[66:67] op_sel_hi:[0,1]
	s_waitcnt vmcnt(8)
	v_mfma_f32_16x16x16f16 v[22:25], v[46:47], v[50:51], v[22:25]
	v_mfma_f32_16x16x16f16 v[72:75], v[48:49], v[52:53], v[22:25]
	s_waitcnt vmcnt(7)
	s_nop 7
	s_nop 0
	v_mad_i64_i32 v[22:23], s[2:3], v30, s1, 0
	v_lshlrev_b64 v[62:63], 1, v[22:23]
	s_waitcnt vmcnt(6)
	v_mfma_f32_16x16x16f16 v[22:25], v[14:15], v[2:3], 0
	v_add_co_u32_e32 v2, vcc, v77, v62
	v_addc_co_u32_e32 v3, vcc, v78, v63, vcc
	global_load_dwordx4 v[46:49], v[2:3], off
	global_load_dwordx4 v[42:45], v[2:3], off offset:16
	s_waitcnt vmcnt(7)
	v_mad_i64_i32 v[2:3], s[2:3], v31, s1, 0
	v_lshlrev_b64 v[14:15], 1, v[2:3]
	v_mfma_f32_16x16x16f16 v[2:5], v[16:17], v[4:5], v[22:25]
	v_add_co_u32_e32 v16, vcc, v77, v14
	v_addc_co_u32_e32 v17, vcc, v78, v15, vcc
	global_load_dwordx4 v[38:41], v[16:17], off
	global_load_dwordx4 v[34:37], v[16:17], off offset:16
	s_waitcnt vmcnt(5)
	v_mad_i64_i32 v[16:17], s[2:3], v32, s1, 0
	v_mfma_f32_16x16x16f16 v[2:5], v[18:19], v[6:7], v[2:5]
	v_lshlrev_b64 v[60:61], 1, v[16:17]
	v_add_co_u32_e32 v6, vcc, v77, v60
	v_addc_co_u32_e32 v7, vcc, v78, v61, vcc
	global_load_dwordx4 v[30:33], v[6:7], off
	global_load_dwordx4 v[26:29], v[6:7], off offset:16
	s_waitcnt vmcnt(6)
	v_mad_i64_i32 v[6:7], s[2:3], v58, s1, 0
	v_mfma_f32_16x16x16f16 v[2:5], v[20:21], v[8:9], v[2:5]
	v_lshlrev_b64 v[58:59], 1, v[6:7]
	v_add_co_u32_e32 v6, vcc, v77, v58
	v_addc_co_u32_e32 v7, vcc, v78, v59, vcc
	global_load_dwordx4 v[22:25], v[6:7], off
	global_load_dwordx4 v[18:21], v[6:7], off offset:16
	v_or_b32_e32 v6, 0x800, v76
	v_mfma_f32_16x16x16f16 v[2:5], v[68:69], v[10:11], v[2:5]
	v_mov_b32_e32 v7, s10
	v_add_co_u32_e32 v68, vcc, s8, v6
	v_addc_co_u32_e32 v69, vcc, 0, v7, vcc
	v_pk_mul_f32 v[76:77], s[0:1], v[74:75] op_sel_hi:[0,1]
	v_pk_mul_f32 v[74:75], s[0:1], v[72:73] op_sel_hi:[0,1]
	v_mfma_f32_16x16x16f16 v[10:13], v[70:71], v[12:13], v[2:5]
	v_pk_mul_f32 v[78:79], s[0:1], v[56:57] op_sel_hi:[0,1]
	v_pk_mul_f32 v[70:71], s[0:1], v[64:65] op_sel_hi:[0,1]
	v_mfma_f32_16x16x16f16 v[92:95], v[88:89], v[50:51], v[10:13]
	s_nop 3
	v_add_co_u32_e32 v2, vcc, v68, v62
	v_addc_co_u32_e32 v3, vcc, v69, v63, vcc
	v_add_co_u32_e32 v62, vcc, v68, v14
	v_addc_co_u32_e32 v63, vcc, v69, v15, vcc
	v_mfma_f32_16x16x16f16 v[50:53], v[90:91], v[52:53], v[92:95]
	global_load_dwordx4 v[6:9], v[2:3], off
	s_nop 0
	global_load_dwordx4 v[2:5], v[2:3], off offset:16
	s_nop 0
	global_load_dwordx4 v[14:17], v[62:63], off
	global_load_dwordx4 v[10:13], v[62:63], off offset:16
	v_pk_mul_f32 v[62:63], s[0:1], v[54:55] op_sel_hi:[0,1]
	s_nop 3
	v_pk_mul_f32 v[72:73], s[0:1], v[50:51] op_sel_hi:[0,1]
	v_and_b32_e32 v50, 0xc0, v0
	v_add_u32_e32 v50, s9, v50
	v_lshl_or_b32 v50, v1, 2, v50
	v_pk_mul_f32 v[66:67], s[0:1], v[52:53] op_sel_hi:[0,1]
	v_or_b32_e32 v53, 1, v50
	v_mov_b32_e32 v51, 0xff7fffff
	v_cmp_gt_i32_e64 s[28:29], s38, v50
	v_cmp_gt_i32_e64 s[30:31], s38, v53
	v_cndmask_b32_e64 v52, v51, v62, s[28:29]
	v_cndmask_b32_e64 v53, v51, v63, s[30:31]
	v_max3_f32 v52, v52, s40, v53
	v_or_b32_e32 v53, 2, v50
	v_or_b32_e32 v54, 3, v50
	v_cmp_gt_i32_e64 s[34:35], s38, v53
	v_cmp_gt_i32_e64 s[36:37], s38, v54
	v_cndmask_b32_e64 v53, v51, v78, s[34:35]
	v_cndmask_b32_e64 v54, v51, v79, s[36:37]
	v_max3_f32 v52, v52, v53, v54
	v_or_b32_e32 v53, 16, v50
	v_or_b32_e32 v54, 17, v50
	;; [unrolled: 7-line block ×7, first 2 shown]
	v_cmp_gt_i32_e32 vcc, s38, v53
	v_cmp_gt_i32_e64 s[0:1], s38, v50
	v_cndmask_b32_e32 v53, v51, v66, vcc
	v_cndmask_b32_e64 v50, v51, v67, s[0:1]
	v_max3_f32 v64, v52, v53, v50
	v_mbcnt_lo_u32_b32 v50, -1, 0
	v_mbcnt_hi_u32_b32 v65, -1, v50
	v_and_b32_e32 v50, 64, v65
	v_add_u32_e32 v88, 64, v50
	v_xor_b32_e32 v50, 32, v65
	v_cmp_lt_i32_e64 s[38:39], v50, v88
	v_cndmask_b32_e64 v50, v65, v50, s[38:39]
	v_lshlrev_b32_e32 v89, 2, v50
	ds_bpermute_b32 v90, v89, v64
	v_add_co_u32_e64 v50, s[38:39], v68, v60
	v_addc_co_u32_e64 v51, s[38:39], v69, v61, s[38:39]
	v_xor_b32_e32 v61, 16, v65
	v_cmp_lt_i32_e64 s[38:39], v61, v88
	s_waitcnt lgkmcnt(0)
	v_max_f32_e32 v60, v90, v90
	v_cndmask_b32_e64 v61, v65, v61, s[38:39]
	v_max_f32_e32 v60, v64, v60
	v_lshlrev_b32_e32 v90, 2, v61
	ds_bpermute_b32 v61, v90, v60
	v_add_co_u32_e64 v58, s[38:39], v68, v58
	v_addc_co_u32_e64 v59, s[38:39], v69, v59, s[38:39]
	s_waitcnt lgkmcnt(0)
	v_max_f32_e32 v61, v61, v61
	v_max_f32_e32 v88, v60, v61
	v_sub_f32_e32 v60, v62, v88
	v_mul_f32_e32 v60, 0x3fb8aa3b, v60
	v_exp_f32_e32 v68, v60
	v_sub_f32_e32 v60, v63, v88
	v_mul_f32_e32 v60, 0x3fb8aa3b, v60
	global_load_dwordx4 v[54:57], v[50:51], off
	s_nop 0
	global_load_dwordx4 v[50:53], v[50:51], off offset:16
	v_exp_f32_e32 v69, v60
	global_load_dwordx4 v[62:65], v[58:59], off
	s_nop 0
	global_load_dwordx4 v[58:61], v[58:59], off offset:16
	v_sub_f32_e32 v78, v78, v88
	v_mul_f32_e32 v78, 0x3fb8aa3b, v78
	v_sub_f32_e32 v79, v79, v88
	v_exp_f32_e32 v78, v78
	v_mul_f32_e32 v79, 0x3fb8aa3b, v79
	v_sub_f32_e32 v70, v70, v88
	v_exp_f32_e32 v79, v79
	v_mul_f32_e32 v70, 0x3fb8aa3b, v70
	v_sub_f32_e32 v71, v71, v88
	v_cndmask_b32_e64 v68, 0, v68, s[28:29]
	v_exp_f32_e32 v70, v70
	v_mul_f32_e32 v71, 0x3fb8aa3b, v71
	v_sub_f32_e32 v80, v80, v88
	v_add_f32_e32 v91, 0, v68
	v_cndmask_b32_e64 v69, 0, v69, s[30:31]
	v_exp_f32_e32 v71, v71
	v_mul_f32_e32 v80, 0x3fb8aa3b, v80
	v_sub_f32_e32 v81, v81, v88
	v_add_f32_e32 v91, v91, v69
	;; [unrolled: 5-line block ×10, first 2 shown]
	v_cndmask_b32_e64 v76, 0, v76, s[10:11]
	v_exp_f32_e32 v66, v66
	v_mul_f32_e32 v67, 0x3fb8aa3b, v67
	v_add_f32_e32 v91, v91, v76
	v_cndmask_b32_e64 v77, 0, v77, s[12:13]
	v_exp_f32_e32 v67, v67
	v_add_f32_e32 v91, v91, v77
	v_cndmask_b32_e64 v72, 0, v72, s[2:3]
	v_add_f32_e32 v91, v91, v72
	v_cndmask_b32_e64 v73, 0, v73, s[8:9]
	v_add_f32_e32 v91, v91, v73
	v_cndmask_b32_e32 v66, 0, v66, vcc
	v_add_f32_e32 v91, v91, v66
	v_cndmask_b32_e64 v67, 0, v67, s[0:1]
	v_add_f32_e32 v91, v91, v67
	ds_bpermute_b32 v89, v89, v91
	v_cmp_gt_u32_e32 vcc, 16, v86
	s_waitcnt lgkmcnt(0)
	s_barrier
	v_add_f32_e32 v89, v91, v89
	ds_bpermute_b32 v90, v90, v89
	s_and_saveexec_b64 s[0:1], vcc
	s_cbranch_execz .LBB141_13
; %bb.12:
	s_waitcnt lgkmcnt(0)
	v_add_f32_e32 v86, v89, v90
	v_lshlrev_b32_e32 v87, 2, v87
	ds_write2st64_b32 v87, v88, v86 offset1:1
.LBB141_13:
	s_or_b64 exec, exec, s[0:1]
	v_lshlrev_b32_e32 v87, 2, v83
	s_load_dword s2, s[4:5], 0x94
	s_waitcnt lgkmcnt(0)
	s_barrier
	ds_read2_b32 v[88:89], v87 offset1:16
	ds_read2_b32 v[90:91], v87 offset0:32 offset1:48
	ds_read2_b32 v[92:93], v87 offset0:64 offset1:80
	s_mul_i32 s3, s33, 10
	s_waitcnt lgkmcnt(2)
	v_max3_f32 v86, v88, s40, v89
	s_waitcnt lgkmcnt(1)
	v_max3_f32 v86, v86, v90, v91
	v_sub_f32_e32 v88, v88, v86
	v_mul_f32_e32 v88, 0x3fb8aa3b, v88
	v_exp_f32_e32 v94, v88
	v_sub_f32_e32 v88, v89, v86
	v_mul_f32_e32 v88, 0x3fb8aa3b, v88
	v_exp_f32_e32 v95, v88
	;; [unrolled: 3-line block ×3, first 2 shown]
	ds_read2_b32 v[88:89], v87 offset0:96 offset1:112
	v_sub_f32_e32 v87, v91, v86
	v_mul_f32_e32 v87, 0x3fb8aa3b, v87
	v_exp_f32_e32 v91, v87
	s_waitcnt lgkmcnt(1)
	v_fma_f32 v87, v94, v92, 0
	v_fmac_f32_e32 v87, v95, v93
	s_waitcnt lgkmcnt(0)
	v_fmac_f32_e32 v87, v90, v88
	v_fmac_f32_e32 v87, v91, v89
	v_add_f32_e32 v88, 0x358637bd, v87
	v_div_scale_f32 v89, s[0:1], v88, v88, 1.0
	v_rcp_f32_e32 v92, v89
	s_barrier
	v_fma_f32 v93, -v89, v92, 1.0
	v_fmac_f32_e32 v92, v93, v92
	v_div_scale_f32 v93, vcc, 1.0, v88, 1.0
	v_mul_f32_e32 v82, v93, v92
	v_fma_f32 v84, -v89, v82, v93
	v_fmac_f32_e32 v82, v84, v92
	v_fma_f32 v84, -v89, v82, v93
	v_div_fmas_f32 v82, v84, v92, v82
	v_cmp_eq_u32_e32 vcc, 1, v85
	v_cndmask_b32_e32 v84, v94, v95, vcc
	v_cmp_eq_u32_e32 vcc, 2, v85
	v_cndmask_b32_e32 v84, v84, v90, vcc
	v_cmp_eq_u32_e32 vcc, 3, v85
	v_div_fixup_f32 v82, v82, v88, 1.0
	v_cndmask_b32_e32 v84, v84, v91, vcc
	v_mul_f32_e32 v88, v84, v82
	v_pk_mul_f32 v[78:79], v[88:89], v[78:79] op_sel_hi:[0,1]
	v_cvt_f16_f32_e32 v78, v78
	v_cvt_f16_f32_e32 v79, v79
	v_pk_mul_f32 v[68:69], v[88:89], v[68:69] op_sel_hi:[0,1]
	v_cvt_f16_f32_e32 v68, v68
	v_cvt_f16_f32_e32 v69, v69
	v_pack_b32_f16 v91, v78, v79
	v_pk_mul_f32 v[78:79], v[88:89], v[80:81] op_sel_hi:[0,1]
	v_pk_mul_f32 v[70:71], v[88:89], v[70:71] op_sel_hi:[0,1]
	v_cvt_f16_f32_e32 v70, v70
	v_cvt_f16_f32_e32 v71, v71
	;; [unrolled: 1-line block ×4, first 2 shown]
	v_pack_b32_f16 v90, v68, v69
	v_lshlrev_b32_e32 v69, 3, v1
	v_lshlrev_b32_e32 v68, 5, v83
	;; [unrolled: 1-line block ×3, first 2 shown]
	v_or3_b32 v78, v78, v68, v69
	v_pack_b32_f16 v70, v70, v71
	v_pack_b32_f16 v71, v80, v79
	ds_write2st64_b64 v78, v[90:91], v[70:71] offset1:1
	v_pk_mul_f32 v[70:71], v[88:89], v[76:77] op_sel_hi:[0,1]
	v_pk_mul_f32 v[74:75], v[88:89], v[74:75] op_sel_hi:[0,1]
	v_cvt_f16_f32_e32 v69, v74
	v_cvt_f16_f32_e32 v74, v75
	v_cvt_f16_f32_e32 v75, v70
	v_cvt_f16_f32_e32 v76, v71
	v_pk_mul_f32 v[66:67], v[88:89], v[66:67] op_sel_hi:[0,1]
	v_pk_mul_f32 v[70:71], v[88:89], v[72:73] op_sel_hi:[0,1]
	v_cvt_f16_f32_e32 v70, v70
	v_cvt_f16_f32_e32 v71, v71
	;; [unrolled: 1-line block ×4, first 2 shown]
	v_pack_b32_f16 v66, v69, v74
	v_pack_b32_f16 v67, v75, v76
	;; [unrolled: 1-line block ×4, first 2 shown]
	v_cmp_gt_u32_e32 vcc, 10, v0
	ds_write2st64_b64 v78, v[66:67], v[70:71] offset0:2 offset1:3
	s_and_saveexec_b64 s[0:1], vcc
	s_cbranch_execz .LBB141_15
; %bb.14:
	v_add_co_u32_e32 v70, vcc, s27, v83
	v_addc_co_u32_e64 v71, s[12:13], 0, 0, vcc
	v_mov_b32_e32 v66, s3
	v_mov_b32_e32 v67, 0
	v_mad_u64_u32 v[70:71], s[12:13], s6, v66, v[70:71]
	v_mov_b32_e32 v66, s26
	s_load_dwordx4 s[8:11], s[4:5], 0x58
	s_mul_i32 s7, s7, s3
	v_mad_u64_u32 v[66:67], s[12:13], v70, s2, v[66:67]
	v_add_u32_e32 v69, s7, v71
	v_mov_b32_e32 v70, v67
	v_mad_u64_u32 v[70:71], s[12:13], v69, s2, v[70:71]
	v_mov_b32_e32 v67, v70
	v_lshlrev_b64 v[66:67], 2, v[66:67]
	s_waitcnt lgkmcnt(0)
	v_mov_b32_e32 v69, s11
	v_add_co_u32_e32 v70, vcc, s10, v66
	v_addc_co_u32_e32 v71, vcc, v69, v67, vcc
	v_mov_b32_e32 v69, s9
	v_add_co_u32_e32 v66, vcc, s8, v66
	v_addc_co_u32_e32 v67, vcc, v69, v67, vcc
	global_store_dword v[70:71], v86, off
	global_store_dword v[66:67], v87, off
.LBB141_15:
	s_or_b64 exec, exec, s[0:1]
	v_lshl_or_b32 v79, v1, 9, v68
	s_waitcnt lgkmcnt(0)
	s_barrier
	ds_read_b128 v[70:73], v79
	ds_read_b128 v[66:69], v79 offset:16
	s_waitcnt vmcnt(15) lgkmcnt(1)
	v_mfma_f32_16x16x16f16 v[74:77], v[46:47], v[70:71], 0
	s_mov_b32 s1, 0
	v_cmp_gt_u32_e32 vcc, 64, v0
	v_mfma_f32_16x16x16f16 v[46:49], v[48:49], v[72:73], v[74:77]
	s_waitcnt vmcnt(14) lgkmcnt(0)
	v_mfma_f32_16x16x16f16 v[46:49], v[42:43], v[66:67], v[46:49]
	v_mfma_f32_16x16x16f16 v[42:45], v[44:45], v[68:69], v[46:49]
	s_nop 7
	s_nop 1
	ds_read_b128 v[46:49], v79 offset:2048
	ds_read_b128 v[74:77], v79 offset:2064
	s_waitcnt vmcnt(13) lgkmcnt(1)
	v_mfma_f32_16x16x16f16 v[42:45], v[38:39], v[46:47], v[42:45]
	v_mfma_f32_16x16x16f16 v[38:41], v[40:41], v[48:49], v[42:45]
	s_waitcnt vmcnt(12) lgkmcnt(0)
	v_mfma_f32_16x16x16f16 v[38:41], v[34:35], v[74:75], v[38:41]
	v_mfma_f32_16x16x16f16 v[34:37], v[36:37], v[76:77], v[38:41]
	s_nop 7
	s_nop 1
	ds_read_b128 v[38:41], v79 offset:4096
	ds_read_b128 v[42:45], v79 offset:4112
	s_waitcnt vmcnt(11) lgkmcnt(1)
	v_mfma_f32_16x16x16f16 v[34:37], v[30:31], v[38:39], v[34:37]
	v_mfma_f32_16x16x16f16 v[30:33], v[32:33], v[40:41], v[34:37]
	s_waitcnt vmcnt(10) lgkmcnt(0)
	v_mfma_f32_16x16x16f16 v[30:33], v[26:27], v[42:43], v[30:33]
	v_mfma_f32_16x16x16f16 v[26:29], v[28:29], v[44:45], v[30:33]
	s_nop 7
	s_nop 1
	ds_read_b128 v[30:33], v79 offset:6144
	ds_read_b128 v[34:37], v79 offset:6160
	s_waitcnt lgkmcnt(0)
	s_barrier
	s_waitcnt vmcnt(9)
	v_mfma_f32_16x16x16f16 v[26:29], v[22:23], v[30:31], v[26:29]
	v_mfma_f32_16x16x16f16 v[22:25], v[24:25], v[32:33], v[26:29]
	s_waitcnt vmcnt(8)
	v_mfma_f32_16x16x16f16 v[22:25], v[18:19], v[34:35], v[22:25]
	v_mfma_f32_16x16x16f16 v[18:21], v[20:21], v[36:37], v[22:25]
	;; [unrolled: 3-line block ×4, first 2 shown]
	s_waitcnt vmcnt(5)
	v_mfma_f32_16x16x16f16 v[2:5], v[14:15], v[46:47], v[2:5]
	s_nop 7
	v_cvt_f16_f32_e32 v6, v18
	v_cvt_f16_f32_e32 v7, v19
	;; [unrolled: 1-line block ×4, first 2 shown]
	v_mfma_f32_16x16x16f16 v[2:5], v[16:17], v[48:49], v[2:5]
	s_waitcnt vmcnt(4)
	v_mfma_f32_16x16x16f16 v[2:5], v[10:11], v[74:75], v[2:5]
	v_mfma_f32_16x16x16f16 v[2:5], v[12:13], v[76:77], v[2:5]
	s_waitcnt vmcnt(3)
	v_mfma_f32_16x16x16f16 v[2:5], v[54:55], v[38:39], v[2:5]
	;; [unrolled: 3-line block ×5, first 2 shown]
	v_mfma_f32_16x16x16f16 v[2:5], v[60:61], v[36:37], v[2:5]
	s_nop 7
	s_nop 2
	v_cvt_f16_f32_e32 v10, v2
	v_cvt_f16_f32_e32 v11, v3
	;; [unrolled: 1-line block ×4, first 2 shown]
	v_pack_b32_f16 v2, v6, v7
	v_pack_b32_f16 v3, v8, v9
	;; [unrolled: 1-line block ×4, first 2 shown]
	ds_write2st64_b64 v78, v[2:3], v[4:5] offset1:1
	s_waitcnt lgkmcnt(0)
	s_barrier
	s_and_saveexec_b64 s[8:9], vcc
	s_cbranch_execz .LBB141_18
; %bb.16:
	v_lshlrev_b32_e32 v4, 6, v83
	v_lshlrev_b32_e32 v3, 4, v0
	v_lshl_or_b32 v0, v0, 10, v4
	v_lshlrev_b32_e32 v2, 5, v1
	v_and_b32_e32 v3, 16, v3
	v_and_b32_e32 v0, 0x1a00, v0
	v_or3_b32 v0, v0, v2, v3
	buffer_load_dword v3, off, s[44:47], 0  ; 4-byte Folded Reload
	s_load_dwordx2 s[4:5], s[4:5], 0x68
	s_lshl_b32 s2, s2, 7
	s_mul_i32 s0, s3, s6
	s_mul_hi_u32 s7, s0, s2
	s_mul_i32 s6, s0, s2
	s_lshl_b64 s[6:7], s[6:7], 1
	s_waitcnt lgkmcnt(0)
	s_add_u32 s3, s4, s6
	s_addc_u32 s4, s5, s7
	s_lshl_b32 s0, s26, 7
	s_lshl_b64 s[0:1], s[0:1], 1
	s_add_u32 s0, s3, s0
	v_or_b32_e32 v2, 8, v1
	s_addc_u32 s1, s4, s1
	ds_read_b128 v[6:9], v0 offset:128
	ds_read_b128 v[10:13], v0
	v_add_u32_e32 v1, s27, v1
	v_mov_b32_e32 v4, s1
	s_waitcnt vmcnt(0)
	v_add_co_u32_e32 v3, vcc, s0, v3
	v_mad_u64_u32 v[14:15], s[0:1], v1, s2, 0
	v_addc_co_u32_e32 v4, vcc, 0, v4, vcc
	v_lshlrev_b64 v[14:15], 1, v[14:15]
	v_add_co_u32_e32 v14, vcc, v3, v14
	v_addc_co_u32_e32 v15, vcc, v4, v15, vcc
	v_add_u32_e32 v1, 4, v1
	s_waitcnt lgkmcnt(0)
	global_store_dwordx4 v[14:15], v[10:13], off
	s_nop 0
	v_mad_u64_u32 v[10:11], s[0:1], v1, s2, 0
	v_lshlrev_b64 v[10:11], 1, v[10:11]
	v_add_co_u32_e32 v10, vcc, v3, v10
	v_addc_co_u32_e32 v11, vcc, v4, v11, vcc
	v_cmp_gt_u32_e32 vcc, 10, v2
	global_store_dwordx4 v[10:11], v[6:9], off
	s_and_b64 exec, exec, vcc
	s_cbranch_execz .LBB141_18
; %bb.17:
	ds_read_b128 v[6:9], v0 offset:256
	v_add_u32_e32 v0, s27, v2
	v_mad_u64_u32 v[0:1], s[0:1], v0, s2, 0
	v_lshlrev_b64 v[0:1], 1, v[0:1]
	v_add_co_u32_e32 v0, vcc, v3, v0
	v_addc_co_u32_e32 v1, vcc, v4, v1, vcc
	s_waitcnt lgkmcnt(0)
	global_store_dwordx4 v[0:1], v[6:9], off
.LBB141_18:
	s_endpgm
	.section	.rodata,"a",@progbits
	.p2align	6, 0x0
	.amdhsa_kernel _Z39paged_attention_ll4mi_QKV_mfma16_kernelIDF16_DF16_LN4vllm18Fp8KVCacheDataTypeE0EDF16_Li16ELi128ELi256ELb0ELi10EL8MFMAType0EEvPKT_PKT0_S8_ifPKiSA_SA_iPKfiiiPfSD_PS3_PT2_iSC_SC_
		.amdhsa_group_segment_fixed_size 8192
		.amdhsa_private_segment_fixed_size 8
		.amdhsa_kernarg_size 400
		.amdhsa_user_sgpr_count 6
		.amdhsa_user_sgpr_private_segment_buffer 1
		.amdhsa_user_sgpr_dispatch_ptr 0
		.amdhsa_user_sgpr_queue_ptr 0
		.amdhsa_user_sgpr_kernarg_segment_ptr 1
		.amdhsa_user_sgpr_dispatch_id 0
		.amdhsa_user_sgpr_flat_scratch_init 0
		.amdhsa_user_sgpr_kernarg_preload_length 0
		.amdhsa_user_sgpr_kernarg_preload_offset 0
		.amdhsa_user_sgpr_private_segment_size 0
		.amdhsa_uses_dynamic_stack 0
		.amdhsa_system_sgpr_private_segment_wavefront_offset 1
		.amdhsa_system_sgpr_workgroup_id_x 1
		.amdhsa_system_sgpr_workgroup_id_y 1
		.amdhsa_system_sgpr_workgroup_id_z 1
		.amdhsa_system_sgpr_workgroup_info 0
		.amdhsa_system_vgpr_workitem_id 0
		.amdhsa_next_free_vgpr 96
		.amdhsa_next_free_sgpr 48
		.amdhsa_accum_offset 96
		.amdhsa_reserve_vcc 1
		.amdhsa_reserve_flat_scratch 0
		.amdhsa_float_round_mode_32 0
		.amdhsa_float_round_mode_16_64 0
		.amdhsa_float_denorm_mode_32 3
		.amdhsa_float_denorm_mode_16_64 3
		.amdhsa_dx10_clamp 1
		.amdhsa_ieee_mode 1
		.amdhsa_fp16_overflow 0
		.amdhsa_tg_split 0
		.amdhsa_exception_fp_ieee_invalid_op 0
		.amdhsa_exception_fp_denorm_src 0
		.amdhsa_exception_fp_ieee_div_zero 0
		.amdhsa_exception_fp_ieee_overflow 0
		.amdhsa_exception_fp_ieee_underflow 0
		.amdhsa_exception_fp_ieee_inexact 0
		.amdhsa_exception_int_div_zero 0
	.end_amdhsa_kernel
	.section	.text._Z39paged_attention_ll4mi_QKV_mfma16_kernelIDF16_DF16_LN4vllm18Fp8KVCacheDataTypeE0EDF16_Li16ELi128ELi256ELb0ELi10EL8MFMAType0EEvPKT_PKT0_S8_ifPKiSA_SA_iPKfiiiPfSD_PS3_PT2_iSC_SC_,"axG",@progbits,_Z39paged_attention_ll4mi_QKV_mfma16_kernelIDF16_DF16_LN4vllm18Fp8KVCacheDataTypeE0EDF16_Li16ELi128ELi256ELb0ELi10EL8MFMAType0EEvPKT_PKT0_S8_ifPKiSA_SA_iPKfiiiPfSD_PS3_PT2_iSC_SC_,comdat
.Lfunc_end141:
	.size	_Z39paged_attention_ll4mi_QKV_mfma16_kernelIDF16_DF16_LN4vllm18Fp8KVCacheDataTypeE0EDF16_Li16ELi128ELi256ELb0ELi10EL8MFMAType0EEvPKT_PKT0_S8_ifPKiSA_SA_iPKfiiiPfSD_PS3_PT2_iSC_SC_, .Lfunc_end141-_Z39paged_attention_ll4mi_QKV_mfma16_kernelIDF16_DF16_LN4vllm18Fp8KVCacheDataTypeE0EDF16_Li16ELi128ELi256ELb0ELi10EL8MFMAType0EEvPKT_PKT0_S8_ifPKiSA_SA_iPKfiiiPfSD_PS3_PT2_iSC_SC_
                                        ; -- End function
	.section	.AMDGPU.csdata,"",@progbits
; Kernel info:
; codeLenInByte = 4628
; NumSgprs: 52
; NumVgprs: 96
; NumAgprs: 0
; TotalNumVgprs: 96
; ScratchSize: 8
; MemoryBound: 0
; FloatMode: 240
; IeeeMode: 1
; LDSByteSize: 8192 bytes/workgroup (compile time only)
; SGPRBlocks: 6
; VGPRBlocks: 11
; NumSGPRsForWavesPerEU: 52
; NumVGPRsForWavesPerEU: 96
; AccumOffset: 96
; Occupancy: 5
; WaveLimiterHint : 1
; COMPUTE_PGM_RSRC2:SCRATCH_EN: 1
; COMPUTE_PGM_RSRC2:USER_SGPR: 6
; COMPUTE_PGM_RSRC2:TRAP_HANDLER: 0
; COMPUTE_PGM_RSRC2:TGID_X_EN: 1
; COMPUTE_PGM_RSRC2:TGID_Y_EN: 1
; COMPUTE_PGM_RSRC2:TGID_Z_EN: 1
; COMPUTE_PGM_RSRC2:TIDIG_COMP_CNT: 0
; COMPUTE_PGM_RSRC3_GFX90A:ACCUM_OFFSET: 23
; COMPUTE_PGM_RSRC3_GFX90A:TG_SPLIT: 0
	.section	.text._Z39paged_attention_ll4mi_QKV_mfma16_kernelIDF16_DF16_LN4vllm18Fp8KVCacheDataTypeE0EDF16_Li16ELi128ELi256ELb0ELi11EL8MFMAType0EEvPKT_PKT0_S8_ifPKiSA_SA_iPKfiiiPfSD_PS3_PT2_iSC_SC_,"axG",@progbits,_Z39paged_attention_ll4mi_QKV_mfma16_kernelIDF16_DF16_LN4vllm18Fp8KVCacheDataTypeE0EDF16_Li16ELi128ELi256ELb0ELi11EL8MFMAType0EEvPKT_PKT0_S8_ifPKiSA_SA_iPKfiiiPfSD_PS3_PT2_iSC_SC_,comdat
	.protected	_Z39paged_attention_ll4mi_QKV_mfma16_kernelIDF16_DF16_LN4vllm18Fp8KVCacheDataTypeE0EDF16_Li16ELi128ELi256ELb0ELi11EL8MFMAType0EEvPKT_PKT0_S8_ifPKiSA_SA_iPKfiiiPfSD_PS3_PT2_iSC_SC_ ; -- Begin function _Z39paged_attention_ll4mi_QKV_mfma16_kernelIDF16_DF16_LN4vllm18Fp8KVCacheDataTypeE0EDF16_Li16ELi128ELi256ELb0ELi11EL8MFMAType0EEvPKT_PKT0_S8_ifPKiSA_SA_iPKfiiiPfSD_PS3_PT2_iSC_SC_
	.globl	_Z39paged_attention_ll4mi_QKV_mfma16_kernelIDF16_DF16_LN4vllm18Fp8KVCacheDataTypeE0EDF16_Li16ELi128ELi256ELb0ELi11EL8MFMAType0EEvPKT_PKT0_S8_ifPKiSA_SA_iPKfiiiPfSD_PS3_PT2_iSC_SC_
	.p2align	8
	.type	_Z39paged_attention_ll4mi_QKV_mfma16_kernelIDF16_DF16_LN4vllm18Fp8KVCacheDataTypeE0EDF16_Li16ELi128ELi256ELb0ELi11EL8MFMAType0EEvPKT_PKT0_S8_ifPKiSA_SA_iPKfiiiPfSD_PS3_PT2_iSC_SC_,@function
_Z39paged_attention_ll4mi_QKV_mfma16_kernelIDF16_DF16_LN4vllm18Fp8KVCacheDataTypeE0EDF16_Li16ELi128ELi256ELb0ELi11EL8MFMAType0EEvPKT_PKT0_S8_ifPKiSA_SA_iPKfiiiPfSD_PS3_PT2_iSC_SC_: ; @_Z39paged_attention_ll4mi_QKV_mfma16_kernelIDF16_DF16_LN4vllm18Fp8KVCacheDataTypeE0EDF16_Li16ELi128ELi256ELb0ELi11EL8MFMAType0EEvPKT_PKT0_S8_ifPKiSA_SA_iPKfiiiPfSD_PS3_PT2_iSC_SC_
; %bb.0:
	s_mov_b64 s[46:47], s[2:3]
	s_mov_b64 s[44:45], s[0:1]
	s_load_dwordx2 s[0:1], s[4:5], 0x30
	s_add_u32 s44, s44, s9
	s_addc_u32 s45, s45, 0
	s_mov_b32 s26, s7
	s_mov_b64 s[10:11], 0
	s_waitcnt lgkmcnt(0)
	s_cmp_lg_u64 s[0:1], 0
	s_cselect_b64 s[2:3], -1, 0
	s_and_b64 vcc, exec, s[2:3]
	s_cbranch_vccz .LBB142_7
; %bb.1:
	s_add_i32 s12, s6, 1
	s_mov_b32 s13, 0
	s_lshl_b64 s[14:15], s[12:13], 2
	s_add_u32 s14, s0, s14
	s_mov_b32 s7, s13
	s_addc_u32 s15, s1, s15
	s_lshl_b64 s[12:13], s[6:7], 2
	s_add_u32 s12, s0, s12
	s_addc_u32 s13, s1, s13
	s_load_dword s9, s[14:15], 0x0
	s_load_dword s16, s[12:13], 0x0
	s_waitcnt lgkmcnt(0)
	s_sub_i32 s9, s9, s16
	s_cmp_eq_u32 s9, 1
	s_cselect_b64 s[12:13], -1, 0
	s_andn2_b64 vcc, exec, s[10:11]
	s_cbranch_vccnz .LBB142_3
.LBB142_2:
	s_mov_b32 s7, 0
	s_mov_b64 s[12:13], -1
.LBB142_3:
	s_andn2_b64 vcc, exec, s[12:13]
	s_cbranch_vccnz .LBB142_18
; %bb.4:
	s_load_dwordx2 s[12:13], s[4:5], 0x28
	s_lshl_b64 s[10:11], s[6:7], 2
	s_waitcnt lgkmcnt(0)
	s_add_u32 s12, s12, s10
	s_addc_u32 s13, s13, s11
	s_load_dword s38, s[12:13], 0x0
	s_lshl_b32 s9, s26, 8
	s_waitcnt lgkmcnt(0)
	s_cmp_ge_i32 s9, s38
	s_cbranch_scc1 .LBB142_18
; %bb.5:
	s_add_i32 s15, s38, 15
	s_load_dwordx2 s[12:13], s[4:5], 0x20
	s_load_dword s14, s[4:5], 0x38
	s_ashr_i32 s16, s15, 31
	v_and_b32_e32 v1, 0xcf, v0
	s_lshr_b32 s16, s16, 28
	v_add_u32_e32 v1, s9, v1
	s_add_i32 s15, s15, s16
	v_ashrrev_i32_e32 v2, 31, v1
	s_ashr_i32 s18, s15, 4
	v_lshrrev_b32_e32 v6, 28, v2
	s_add_i32 s18, s18, -1
	v_add_u32_e32 v2, v1, v6
	s_waitcnt lgkmcnt(0)
	s_mul_i32 s14, s6, s14
	s_mov_b32 s15, 0
	v_ashrrev_i32_e32 v2, 4, v2
	v_mov_b32_e32 v7, s18
	v_cmp_gt_i32_e32 vcc, s38, v1
	s_lshl_b64 s[14:15], s[14:15], 2
	v_cndmask_b32_e32 v2, v7, v2, vcc
	s_add_u32 s16, s12, s14
	v_ashrrev_i32_e32 v3, 31, v2
	s_addc_u32 s17, s13, s15
	v_lshlrev_b64 v[2:3], 2, v[2:3]
	v_mov_b32_e32 v5, s17
	v_add_co_u32_e32 v4, vcc, s16, v2
	v_or_b32_e32 v2, 16, v1
	v_addc_co_u32_e32 v5, vcc, v5, v3, vcc
	v_add_u32_e32 v3, v2, v6
	v_ashrrev_i32_e32 v3, 4, v3
	v_cmp_gt_i32_e32 vcc, s38, v2
	v_cndmask_b32_e32 v2, v7, v3, vcc
	v_ashrrev_i32_e32 v3, 31, v2
	v_lshlrev_b64 v[2:3], 2, v[2:3]
	v_mov_b32_e32 v9, s17
	v_add_co_u32_e32 v8, vcc, s16, v2
	v_or_b32_e32 v2, 32, v1
	v_addc_co_u32_e32 v9, vcc, v9, v3, vcc
	v_add_u32_e32 v3, v2, v6
	v_ashrrev_i32_e32 v3, 4, v3
	v_cmp_gt_i32_e32 vcc, s38, v2
	v_cndmask_b32_e32 v2, v7, v3, vcc
	v_ashrrev_i32_e32 v3, 31, v2
	;; [unrolled: 10-line block ×3, first 2 shown]
	v_lshlrev_b64 v[2:3], 2, v[2:3]
	v_mov_b32_e32 v1, s17
	v_add_co_u32_e32 v12, vcc, s16, v2
	v_addc_co_u32_e32 v13, vcc, v1, v3, vcc
	global_load_dword v3, v[4:5], off
	global_load_dword v2, v[8:9], off
	;; [unrolled: 1-line block ×4, first 2 shown]
	s_load_dwordx4 s[12:15], s[4:5], 0x8
	s_andn2_b64 vcc, exec, s[2:3]
	s_cbranch_vccnz .LBB142_8
; %bb.6:
	s_add_u32 s0, s0, s10
	s_addc_u32 s1, s1, s11
	s_load_dword s19, s[0:1], 0x0
	s_branch .LBB142_9
.LBB142_7:
	s_mov_b64 s[12:13], 0
	s_branch .LBB142_2
.LBB142_8:
	s_mov_b32 s19, s6
.LBB142_9:
	s_load_dwordx4 s[0:3], s[4:5], 0x48
	v_lshrrev_b32_e32 v85, 6, v0
	v_bfe_u32 v1, v0, 4, 2
	v_and_b32_e32 v83, 15, v0
	v_lshl_or_b32 v4, v85, 2, v1
	v_lshlrev_b32_e32 v5, 3, v83
	v_and_b32_e32 v86, 63, v0
	s_mul_i32 s27, s8, 11
	v_cmp_gt_u32_e32 vcc, 11, v4
	v_lshlrev_b32_e32 v5, 1, v5
	buffer_store_dword v5, off, s[44:47], 0 ; 4-byte Folded Spill
	s_and_saveexec_b64 s[10:11], vcc
	s_cbranch_execz .LBB142_11
; %bb.10:
	s_load_dwordx2 s[20:21], s[4:5], 0x0
	s_waitcnt lgkmcnt(0)
	s_ashr_i32 s3, s0, 31
	s_mul_hi_u32 s22, s19, s0
	s_mul_i32 s3, s19, s3
	s_add_i32 s23, s22, s3
	s_mul_i32 s22, s19, s0
	v_add_lshl_u32 v8, v4, s27, 7
	s_lshl_b64 s[22:23], s[22:23], 1
	v_ashrrev_i32_e32 v9, 31, v8
	s_add_u32 s0, s20, s22
	v_lshlrev_b64 v[8:9], 1, v[8:9]
	v_add_co_u32_e32 v7, vcc, s0, v8
	buffer_load_dword v8, off, s[44:47], 0  ; 4-byte Folded Reload
	s_addc_u32 s3, s21, s23
	v_mov_b32_e32 v5, s3
	v_addc_co_u32_e32 v5, vcc, v5, v9, vcc
	v_lshlrev_b32_e32 v4, 5, v4
	s_waitcnt vmcnt(0)
	v_add_co_u32_e32 v8, vcc, v7, v8
	v_addc_co_u32_e32 v9, vcc, 0, v5, vcc
	global_load_dwordx4 v[8:11], v[8:9], off
	v_and_b32_e32 v5, 3, v0
	v_lshlrev_b32_e32 v7, 9, v83
	v_lshlrev_b32_e32 v5, 9, v5
	v_and_b32_e32 v7, 0x1800, v7
	v_or3_b32 v4, v7, v5, v4
	s_waitcnt vmcnt(0)
	ds_write_b128 v4, v[8:11]
.LBB142_11:
	s_or_b64 exec, exec, s[10:11]
	s_waitcnt lgkmcnt(0)
	s_mul_i32 s2, s8, s2
	s_mov_b32 s3, 0
	s_lshl_b64 s[2:3], s[2:3], 1
	s_add_u32 s8, s12, s2
	v_lshlrev_b32_e32 v7, 4, v0
	s_addc_u32 s10, s13, s3
	v_and_b32_e32 v4, 0xf0, v7
	v_mov_b32_e32 v5, s10
	v_add_co_u32_e32 v29, vcc, s8, v4
	v_addc_co_u32_e32 v30, vcc, 0, v5, vcc
	s_waitcnt vmcnt(4)
	v_mad_i64_i32 v[4:5], s[10:11], v3, s1, 0
	v_lshlrev_b64 v[4:5], 1, v[4:5]
	v_add_co_u32_e32 v3, vcc, v29, v4
	v_addc_co_u32_e32 v4, vcc, v30, v5, vcc
	v_and_b32_e32 v31, 0x300, v7
	v_add_co_u32_e32 v22, vcc, v3, v31
	v_addc_co_u32_e32 v23, vcc, 0, v4, vcc
	s_load_dword s33, s[4:5], 0x98
	s_load_dword s0, s[4:5], 0x1c
	s_waitcnt lgkmcnt(0)
	s_barrier
	global_load_dwordx4 v[10:13], v[22:23], off
	global_load_dwordx4 v[18:21], v[22:23], off offset:1024
	s_waitcnt vmcnt(5)
	v_mad_i64_i32 v[2:3], s[10:11], v2, s1, 0
	v_lshlrev_b64 v[2:3], 1, v[2:3]
	v_add_co_u32_e32 v2, vcc, v29, v2
	v_addc_co_u32_e32 v3, vcc, v30, v3, vcc
	v_add_co_u32_e32 v24, vcc, v2, v31
	v_addc_co_u32_e32 v25, vcc, 0, v3, vcc
	global_load_dwordx4 v[14:17], v[24:25], off
	global_load_dwordx4 v[38:41], v[24:25], off offset:1024
	v_add_u32_e32 v2, -11, v83
	v_cmp_gt_u32_e32 vcc, 11, v83
	v_cndmask_b32_e32 v2, v2, v83, vcc
	v_lshlrev_b32_e32 v2, 5, v2
	v_lshl_add_u32 v32, v1, 9, v2
	ds_read_b128 v[2:5], v32
	s_waitcnt vmcnt(6)
	v_mad_i64_i32 v[6:7], s[10:11], v6, s1, 0
	v_lshlrev_b64 v[26:27], 1, v[6:7]
	ds_read_b128 v[6:9], v32 offset:2048
	v_and_or_b32 v62, v0, 48, s9
	v_mov_b32_e32 v63, s18
	v_mov_b32_e32 v68, s17
	s_add_u32 s8, s14, s2
	v_lshl_or_b32 v87, v85, 4, v83
	v_lshlrev_b32_e32 v76, 5, v87
	s_mov_b32 s40, 0xff7fffff
	s_waitcnt vmcnt(3) lgkmcnt(1)
	v_mfma_f32_16x16x16f16 v[34:37], v[10:11], v[2:3], 0
	v_add_co_u32_e32 v10, vcc, v29, v26
	v_addc_co_u32_e32 v11, vcc, v30, v27, vcc
	v_add_co_u32_e32 v26, vcc, v10, v31
	v_addc_co_u32_e32 v27, vcc, 0, v11, vcc
	global_load_dwordx4 v[46:49], v[26:27], off
	global_load_dwordx4 v[58:61], v[26:27], off offset:1024
	s_waitcnt vmcnt(3)
	v_mfma_f32_16x16x16f16 v[42:45], v[14:15], v[2:3], 0
	v_cmp_gt_i32_e32 vcc, s38, v62
	v_mfma_f32_16x16x16f16 v[14:17], v[16:17], v[4:5], v[42:45]
	s_nop 7
	s_nop 0
	global_load_dwordx4 v[42:45], v[22:23], off offset:2048
	v_mfma_f32_16x16x16f16 v[10:13], v[12:13], v[4:5], v[34:37]
	s_waitcnt vmcnt(3) lgkmcnt(0)
	v_mfma_f32_16x16x16f16 v[14:17], v[38:39], v[6:7], v[14:17]
	v_mfma_f32_16x16x16f16 v[10:13], v[18:19], v[6:7], v[10:13]
	;; [unrolled: 1-line block ×3, first 2 shown]
	global_load_dwordx4 v[38:41], v[22:23], off offset:3072
	v_mfma_f32_16x16x16f16 v[18:21], v[20:21], v[8:9], v[10:13]
	s_waitcnt vmcnt(3)
	v_mfma_f32_16x16x16f16 v[50:53], v[46:47], v[2:3], 0
	v_mfma_f32_16x16x16f16 v[34:37], v[48:49], v[4:5], v[50:53]
	global_load_dwordx4 v[46:49], v[24:25], off offset:2048
	s_nop 3
	ds_read_b128 v[10:13], v32 offset:4096
	s_nop 3
	ds_read_b128 v[50:53], v32 offset:6144
	global_load_dwordx4 v[22:25], v[24:25], off offset:3072
	v_mad_i64_i32 v[32:33], s[10:11], v28, s1, 0
	v_mov_b32_e32 v28, s17
	s_addc_u32 s10, s15, s3
	s_waitcnt vmcnt(3) lgkmcnt(1)
	v_mfma_f32_16x16x16f16 v[18:21], v[42:43], v[10:11], v[18:21]
	v_mfma_f32_16x16x16f16 v[18:21], v[44:45], v[12:13], v[18:21]
	global_load_dwordx4 v[42:45], v[26:27], off offset:2048
	s_waitcnt vmcnt(3) lgkmcnt(0)
	v_mfma_f32_16x16x16f16 v[18:21], v[38:39], v[50:51], v[18:21]
	v_or_b32_e32 v38, 64, v62
	v_ashrrev_i32_e32 v39, 4, v38
	v_mfma_f32_16x16x16f16 v[54:57], v[40:41], v[52:53], v[18:21]
	s_waitcnt vmcnt(2)
	v_mfma_f32_16x16x16f16 v[14:17], v[46:47], v[10:11], v[14:17]
	v_mfma_f32_16x16x16f16 v[14:17], v[48:49], v[12:13], v[14:17]
	global_load_dwordx4 v[46:49], v[26:27], off offset:3072
	v_lshlrev_b64 v[26:27], 1, v[32:33]
	v_ashrrev_i32_e32 v32, 4, v62
	v_cndmask_b32_e32 v32, v63, v32, vcc
	v_ashrrev_i32_e32 v33, 31, v32
	v_cmp_gt_i32_e32 vcc, s38, v38
	v_cndmask_b32_e32 v38, v63, v39, vcc
	s_waitcnt vmcnt(2)
	v_mfma_f32_16x16x16f16 v[14:17], v[22:23], v[50:51], v[14:17]
	v_lshlrev_b64 v[22:23], 2, v[32:33]
	v_add_co_u32_e32 v22, vcc, s16, v22
	v_addc_co_u32_e32 v23, vcc, v28, v23, vcc
	v_add_co_u32_e32 v18, vcc, v29, v26
	v_addc_co_u32_e32 v19, vcc, v30, v27, vcc
	;; [unrolled: 2-line block ×3, first 2 shown]
	v_mfma_f32_16x16x16f16 v[64:67], v[24:25], v[52:53], v[14:17]
	global_load_dword v30, v[22:23], off
	v_ashrrev_i32_e32 v39, 31, v38
	v_lshlrev_b64 v[32:33], 2, v[38:39]
	v_add_co_u32_e32 v18, vcc, s16, v32
	v_addc_co_u32_e32 v19, vcc, v68, v33, vcc
	s_nop 1
	global_load_dwordx4 v[14:17], v[26:27], off
	global_load_dword v31, v[18:19], off
	s_nop 0
	global_load_dwordx4 v[18:21], v[26:27], off offset:1024
	global_load_dwordx4 v[68:71], v[26:27], off offset:2048
	;; [unrolled: 1-line block ×3, first 2 shown]
	v_mfma_f32_16x16x16f16 v[22:25], v[58:59], v[6:7], v[34:37]
	v_or_b32_e32 v28, 0x80, v62
	v_ashrrev_i32_e32 v29, 4, v28
	v_cmp_gt_i32_e32 vcc, s38, v28
	v_cndmask_b32_e32 v28, v63, v29, vcc
	v_ashrrev_i32_e32 v29, 31, v28
	v_lshlrev_b64 v[28:29], 2, v[28:29]
	v_mov_b32_e32 v32, s17
	v_mfma_f32_16x16x16f16 v[22:25], v[60:61], v[8:9], v[22:25]
	v_add_co_u32_e32 v28, vcc, s16, v28
	v_addc_co_u32_e32 v29, vcc, v32, v29, vcc
	global_load_dword v32, v[28:29], off
	v_or_b32_e32 v28, 0xc0, v62
	v_ashrrev_i32_e32 v29, 4, v28
	v_cmp_gt_i32_e32 vcc, s38, v28
	v_cndmask_b32_e32 v28, v63, v29, vcc
	v_ashrrev_i32_e32 v29, 31, v28
	v_lshlrev_b64 v[28:29], 2, v[28:29]
	s_waitcnt vmcnt(8)
	v_mfma_f32_16x16x16f16 v[22:25], v[42:43], v[10:11], v[22:25]
	v_mov_b32_e32 v33, s17
	v_add_co_u32_e32 v28, vcc, s16, v28
	v_addc_co_u32_e32 v29, vcc, v33, v29, vcc
	global_load_dword v58, v[28:29], off
	v_mov_b32_e32 v26, s10
	v_mfma_f32_16x16x16f16 v[22:25], v[44:45], v[12:13], v[22:25]
	v_add_co_u32_e32 v77, vcc, s8, v76
	v_addc_co_u32_e32 v78, vcc, 0, v26, vcc
	v_pk_mul_f32 v[80:81], s[0:1], v[66:67] op_sel_hi:[0,1]
	s_waitcnt vmcnt(8)
	v_mfma_f32_16x16x16f16 v[22:25], v[46:47], v[50:51], v[22:25]
	v_mfma_f32_16x16x16f16 v[72:75], v[48:49], v[52:53], v[22:25]
	s_waitcnt vmcnt(7)
	s_nop 7
	s_nop 0
	v_mad_i64_i32 v[22:23], s[2:3], v30, s1, 0
	v_lshlrev_b64 v[62:63], 1, v[22:23]
	s_waitcnt vmcnt(6)
	v_mfma_f32_16x16x16f16 v[22:25], v[14:15], v[2:3], 0
	v_add_co_u32_e32 v2, vcc, v77, v62
	v_addc_co_u32_e32 v3, vcc, v78, v63, vcc
	global_load_dwordx4 v[46:49], v[2:3], off
	global_load_dwordx4 v[42:45], v[2:3], off offset:16
	s_waitcnt vmcnt(7)
	v_mad_i64_i32 v[2:3], s[2:3], v31, s1, 0
	v_lshlrev_b64 v[14:15], 1, v[2:3]
	v_mfma_f32_16x16x16f16 v[2:5], v[16:17], v[4:5], v[22:25]
	v_add_co_u32_e32 v16, vcc, v77, v14
	v_addc_co_u32_e32 v17, vcc, v78, v15, vcc
	global_load_dwordx4 v[38:41], v[16:17], off
	global_load_dwordx4 v[34:37], v[16:17], off offset:16
	s_waitcnt vmcnt(5)
	v_mad_i64_i32 v[16:17], s[2:3], v32, s1, 0
	v_mfma_f32_16x16x16f16 v[2:5], v[18:19], v[6:7], v[2:5]
	v_lshlrev_b64 v[60:61], 1, v[16:17]
	v_add_co_u32_e32 v6, vcc, v77, v60
	v_addc_co_u32_e32 v7, vcc, v78, v61, vcc
	global_load_dwordx4 v[30:33], v[6:7], off
	global_load_dwordx4 v[26:29], v[6:7], off offset:16
	s_waitcnt vmcnt(6)
	v_mad_i64_i32 v[6:7], s[2:3], v58, s1, 0
	v_mfma_f32_16x16x16f16 v[2:5], v[20:21], v[8:9], v[2:5]
	v_lshlrev_b64 v[58:59], 1, v[6:7]
	v_add_co_u32_e32 v6, vcc, v77, v58
	v_addc_co_u32_e32 v7, vcc, v78, v59, vcc
	global_load_dwordx4 v[22:25], v[6:7], off
	global_load_dwordx4 v[18:21], v[6:7], off offset:16
	v_or_b32_e32 v6, 0x800, v76
	v_mfma_f32_16x16x16f16 v[2:5], v[68:69], v[10:11], v[2:5]
	v_mov_b32_e32 v7, s10
	v_add_co_u32_e32 v68, vcc, s8, v6
	v_addc_co_u32_e32 v69, vcc, 0, v7, vcc
	v_pk_mul_f32 v[76:77], s[0:1], v[74:75] op_sel_hi:[0,1]
	v_pk_mul_f32 v[74:75], s[0:1], v[72:73] op_sel_hi:[0,1]
	v_mfma_f32_16x16x16f16 v[10:13], v[70:71], v[12:13], v[2:5]
	v_pk_mul_f32 v[78:79], s[0:1], v[56:57] op_sel_hi:[0,1]
	v_pk_mul_f32 v[70:71], s[0:1], v[64:65] op_sel_hi:[0,1]
	v_mfma_f32_16x16x16f16 v[92:95], v[88:89], v[50:51], v[10:13]
	s_nop 3
	v_add_co_u32_e32 v2, vcc, v68, v62
	v_addc_co_u32_e32 v3, vcc, v69, v63, vcc
	v_add_co_u32_e32 v62, vcc, v68, v14
	v_addc_co_u32_e32 v63, vcc, v69, v15, vcc
	v_mfma_f32_16x16x16f16 v[50:53], v[90:91], v[52:53], v[92:95]
	global_load_dwordx4 v[6:9], v[2:3], off
	s_nop 0
	global_load_dwordx4 v[2:5], v[2:3], off offset:16
	s_nop 0
	global_load_dwordx4 v[14:17], v[62:63], off
	global_load_dwordx4 v[10:13], v[62:63], off offset:16
	v_pk_mul_f32 v[62:63], s[0:1], v[54:55] op_sel_hi:[0,1]
	s_nop 3
	v_pk_mul_f32 v[72:73], s[0:1], v[50:51] op_sel_hi:[0,1]
	v_and_b32_e32 v50, 0xc0, v0
	v_add_u32_e32 v50, s9, v50
	v_lshl_or_b32 v50, v1, 2, v50
	v_pk_mul_f32 v[66:67], s[0:1], v[52:53] op_sel_hi:[0,1]
	v_or_b32_e32 v53, 1, v50
	v_mov_b32_e32 v51, 0xff7fffff
	v_cmp_gt_i32_e64 s[28:29], s38, v50
	v_cmp_gt_i32_e64 s[30:31], s38, v53
	v_cndmask_b32_e64 v52, v51, v62, s[28:29]
	v_cndmask_b32_e64 v53, v51, v63, s[30:31]
	v_max3_f32 v52, v52, s40, v53
	v_or_b32_e32 v53, 2, v50
	v_or_b32_e32 v54, 3, v50
	v_cmp_gt_i32_e64 s[34:35], s38, v53
	v_cmp_gt_i32_e64 s[36:37], s38, v54
	v_cndmask_b32_e64 v53, v51, v78, s[34:35]
	v_cndmask_b32_e64 v54, v51, v79, s[36:37]
	v_max3_f32 v52, v52, v53, v54
	v_or_b32_e32 v53, 16, v50
	v_or_b32_e32 v54, 17, v50
	v_cmp_gt_i32_e64 s[22:23], s38, v53
	v_cmp_gt_i32_e64 s[24:25], s38, v54
	v_cndmask_b32_e64 v53, v51, v70, s[22:23]
	v_cndmask_b32_e64 v54, v51, v71, s[24:25]
	v_max3_f32 v52, v52, v53, v54
	v_or_b32_e32 v53, 18, v50
	v_or_b32_e32 v54, 19, v50
	v_cmp_gt_i32_e64 s[18:19], s38, v53
	v_cmp_gt_i32_e64 s[20:21], s38, v54
	v_cndmask_b32_e64 v53, v51, v80, s[18:19]
	v_cndmask_b32_e64 v54, v51, v81, s[20:21]
	v_max3_f32 v52, v52, v53, v54
	v_or_b32_e32 v53, 32, v50
	v_or_b32_e32 v54, 33, v50
	v_cmp_gt_i32_e64 s[14:15], s38, v53
	v_cmp_gt_i32_e64 s[16:17], s38, v54
	v_cndmask_b32_e64 v53, v51, v74, s[14:15]
	v_cndmask_b32_e64 v54, v51, v75, s[16:17]
	v_max3_f32 v52, v52, v53, v54
	v_or_b32_e32 v53, 34, v50
	v_or_b32_e32 v54, 35, v50
	v_cmp_gt_i32_e64 s[10:11], s38, v53
	v_cmp_gt_i32_e64 s[12:13], s38, v54
	v_cndmask_b32_e64 v53, v51, v76, s[10:11]
	v_cndmask_b32_e64 v54, v51, v77, s[12:13]
	v_max3_f32 v52, v52, v53, v54
	v_or_b32_e32 v53, 48, v50
	v_or_b32_e32 v54, 49, v50
	v_cmp_gt_i32_e64 s[2:3], s38, v53
	v_cmp_gt_i32_e64 s[8:9], s38, v54
	v_cndmask_b32_e64 v53, v51, v72, s[2:3]
	v_cndmask_b32_e64 v54, v51, v73, s[8:9]
	v_max3_f32 v52, v52, v53, v54
	v_or_b32_e32 v53, 50, v50
	v_or_b32_e32 v50, 51, v50
	v_cmp_gt_i32_e32 vcc, s38, v53
	v_cmp_gt_i32_e64 s[0:1], s38, v50
	v_cndmask_b32_e32 v53, v51, v66, vcc
	v_cndmask_b32_e64 v50, v51, v67, s[0:1]
	v_max3_f32 v64, v52, v53, v50
	v_mbcnt_lo_u32_b32 v50, -1, 0
	v_mbcnt_hi_u32_b32 v65, -1, v50
	v_and_b32_e32 v50, 64, v65
	v_add_u32_e32 v88, 64, v50
	v_xor_b32_e32 v50, 32, v65
	v_cmp_lt_i32_e64 s[38:39], v50, v88
	v_cndmask_b32_e64 v50, v65, v50, s[38:39]
	v_lshlrev_b32_e32 v89, 2, v50
	ds_bpermute_b32 v90, v89, v64
	v_add_co_u32_e64 v50, s[38:39], v68, v60
	v_addc_co_u32_e64 v51, s[38:39], v69, v61, s[38:39]
	v_xor_b32_e32 v61, 16, v65
	v_cmp_lt_i32_e64 s[38:39], v61, v88
	s_waitcnt lgkmcnt(0)
	v_max_f32_e32 v60, v90, v90
	v_cndmask_b32_e64 v61, v65, v61, s[38:39]
	v_max_f32_e32 v60, v64, v60
	v_lshlrev_b32_e32 v90, 2, v61
	ds_bpermute_b32 v61, v90, v60
	v_add_co_u32_e64 v58, s[38:39], v68, v58
	v_addc_co_u32_e64 v59, s[38:39], v69, v59, s[38:39]
	s_waitcnt lgkmcnt(0)
	v_max_f32_e32 v61, v61, v61
	v_max_f32_e32 v88, v60, v61
	v_sub_f32_e32 v60, v62, v88
	v_mul_f32_e32 v60, 0x3fb8aa3b, v60
	v_exp_f32_e32 v68, v60
	v_sub_f32_e32 v60, v63, v88
	v_mul_f32_e32 v60, 0x3fb8aa3b, v60
	global_load_dwordx4 v[54:57], v[50:51], off
	s_nop 0
	global_load_dwordx4 v[50:53], v[50:51], off offset:16
	v_exp_f32_e32 v69, v60
	global_load_dwordx4 v[62:65], v[58:59], off
	s_nop 0
	global_load_dwordx4 v[58:61], v[58:59], off offset:16
	v_sub_f32_e32 v78, v78, v88
	v_mul_f32_e32 v78, 0x3fb8aa3b, v78
	v_sub_f32_e32 v79, v79, v88
	v_exp_f32_e32 v78, v78
	v_mul_f32_e32 v79, 0x3fb8aa3b, v79
	v_sub_f32_e32 v70, v70, v88
	v_exp_f32_e32 v79, v79
	v_mul_f32_e32 v70, 0x3fb8aa3b, v70
	v_sub_f32_e32 v71, v71, v88
	v_cndmask_b32_e64 v68, 0, v68, s[28:29]
	v_exp_f32_e32 v70, v70
	v_mul_f32_e32 v71, 0x3fb8aa3b, v71
	v_sub_f32_e32 v80, v80, v88
	v_add_f32_e32 v91, 0, v68
	v_cndmask_b32_e64 v69, 0, v69, s[30:31]
	v_exp_f32_e32 v71, v71
	v_mul_f32_e32 v80, 0x3fb8aa3b, v80
	v_sub_f32_e32 v81, v81, v88
	v_add_f32_e32 v91, v91, v69
	;; [unrolled: 5-line block ×10, first 2 shown]
	v_cndmask_b32_e64 v76, 0, v76, s[10:11]
	v_exp_f32_e32 v66, v66
	v_mul_f32_e32 v67, 0x3fb8aa3b, v67
	v_add_f32_e32 v91, v91, v76
	v_cndmask_b32_e64 v77, 0, v77, s[12:13]
	v_exp_f32_e32 v67, v67
	v_add_f32_e32 v91, v91, v77
	v_cndmask_b32_e64 v72, 0, v72, s[2:3]
	v_add_f32_e32 v91, v91, v72
	v_cndmask_b32_e64 v73, 0, v73, s[8:9]
	v_add_f32_e32 v91, v91, v73
	v_cndmask_b32_e32 v66, 0, v66, vcc
	v_add_f32_e32 v91, v91, v66
	v_cndmask_b32_e64 v67, 0, v67, s[0:1]
	v_add_f32_e32 v91, v91, v67
	ds_bpermute_b32 v89, v89, v91
	v_cmp_gt_u32_e32 vcc, 16, v86
	s_waitcnt lgkmcnt(0)
	s_barrier
	v_add_f32_e32 v89, v91, v89
	ds_bpermute_b32 v90, v90, v89
	s_and_saveexec_b64 s[0:1], vcc
	s_cbranch_execz .LBB142_13
; %bb.12:
	s_waitcnt lgkmcnt(0)
	v_add_f32_e32 v86, v89, v90
	v_lshlrev_b32_e32 v87, 2, v87
	ds_write2st64_b32 v87, v88, v86 offset1:1
.LBB142_13:
	s_or_b64 exec, exec, s[0:1]
	v_lshlrev_b32_e32 v87, 2, v83
	s_load_dword s2, s[4:5], 0x94
	s_waitcnt lgkmcnt(0)
	s_barrier
	ds_read2_b32 v[88:89], v87 offset1:16
	ds_read2_b32 v[90:91], v87 offset0:32 offset1:48
	ds_read2_b32 v[92:93], v87 offset0:64 offset1:80
	s_mul_i32 s3, s33, 11
	s_waitcnt lgkmcnt(2)
	v_max3_f32 v86, v88, s40, v89
	s_waitcnt lgkmcnt(1)
	v_max3_f32 v86, v86, v90, v91
	v_sub_f32_e32 v88, v88, v86
	v_mul_f32_e32 v88, 0x3fb8aa3b, v88
	v_exp_f32_e32 v94, v88
	v_sub_f32_e32 v88, v89, v86
	v_mul_f32_e32 v88, 0x3fb8aa3b, v88
	v_exp_f32_e32 v95, v88
	;; [unrolled: 3-line block ×3, first 2 shown]
	ds_read2_b32 v[88:89], v87 offset0:96 offset1:112
	v_sub_f32_e32 v87, v91, v86
	v_mul_f32_e32 v87, 0x3fb8aa3b, v87
	v_exp_f32_e32 v91, v87
	s_waitcnt lgkmcnt(1)
	v_fma_f32 v87, v94, v92, 0
	v_fmac_f32_e32 v87, v95, v93
	s_waitcnt lgkmcnt(0)
	v_fmac_f32_e32 v87, v90, v88
	v_fmac_f32_e32 v87, v91, v89
	v_add_f32_e32 v88, 0x358637bd, v87
	v_div_scale_f32 v89, s[0:1], v88, v88, 1.0
	v_rcp_f32_e32 v92, v89
	s_barrier
	v_fma_f32 v93, -v89, v92, 1.0
	v_fmac_f32_e32 v92, v93, v92
	v_div_scale_f32 v93, vcc, 1.0, v88, 1.0
	v_mul_f32_e32 v82, v93, v92
	v_fma_f32 v84, -v89, v82, v93
	v_fmac_f32_e32 v82, v84, v92
	v_fma_f32 v84, -v89, v82, v93
	v_div_fmas_f32 v82, v84, v92, v82
	v_cmp_eq_u32_e32 vcc, 1, v85
	v_cndmask_b32_e32 v84, v94, v95, vcc
	v_cmp_eq_u32_e32 vcc, 2, v85
	v_cndmask_b32_e32 v84, v84, v90, vcc
	v_cmp_eq_u32_e32 vcc, 3, v85
	v_div_fixup_f32 v82, v82, v88, 1.0
	v_cndmask_b32_e32 v84, v84, v91, vcc
	v_mul_f32_e32 v88, v84, v82
	v_pk_mul_f32 v[78:79], v[88:89], v[78:79] op_sel_hi:[0,1]
	v_cvt_f16_f32_e32 v78, v78
	v_cvt_f16_f32_e32 v79, v79
	v_pk_mul_f32 v[68:69], v[88:89], v[68:69] op_sel_hi:[0,1]
	v_cvt_f16_f32_e32 v68, v68
	v_cvt_f16_f32_e32 v69, v69
	v_pack_b32_f16 v91, v78, v79
	v_pk_mul_f32 v[78:79], v[88:89], v[80:81] op_sel_hi:[0,1]
	v_pk_mul_f32 v[70:71], v[88:89], v[70:71] op_sel_hi:[0,1]
	v_cvt_f16_f32_e32 v70, v70
	v_cvt_f16_f32_e32 v71, v71
	;; [unrolled: 1-line block ×4, first 2 shown]
	v_pack_b32_f16 v90, v68, v69
	v_lshlrev_b32_e32 v69, 3, v1
	v_lshlrev_b32_e32 v68, 5, v83
	;; [unrolled: 1-line block ×3, first 2 shown]
	v_or3_b32 v78, v78, v68, v69
	v_pack_b32_f16 v70, v70, v71
	v_pack_b32_f16 v71, v80, v79
	ds_write2st64_b64 v78, v[90:91], v[70:71] offset1:1
	v_pk_mul_f32 v[70:71], v[88:89], v[76:77] op_sel_hi:[0,1]
	v_pk_mul_f32 v[74:75], v[88:89], v[74:75] op_sel_hi:[0,1]
	v_cvt_f16_f32_e32 v69, v74
	v_cvt_f16_f32_e32 v74, v75
	;; [unrolled: 1-line block ×4, first 2 shown]
	v_pk_mul_f32 v[66:67], v[88:89], v[66:67] op_sel_hi:[0,1]
	v_pk_mul_f32 v[70:71], v[88:89], v[72:73] op_sel_hi:[0,1]
	v_cvt_f16_f32_e32 v70, v70
	v_cvt_f16_f32_e32 v71, v71
	;; [unrolled: 1-line block ×4, first 2 shown]
	v_pack_b32_f16 v66, v69, v74
	v_pack_b32_f16 v67, v75, v76
	v_pack_b32_f16 v70, v70, v71
	v_pack_b32_f16 v71, v72, v73
	v_cmp_gt_u32_e32 vcc, 11, v0
	ds_write2st64_b64 v78, v[66:67], v[70:71] offset0:2 offset1:3
	s_and_saveexec_b64 s[0:1], vcc
	s_cbranch_execz .LBB142_15
; %bb.14:
	v_add_co_u32_e32 v70, vcc, s27, v83
	v_addc_co_u32_e64 v71, s[12:13], 0, 0, vcc
	v_mov_b32_e32 v66, s3
	v_mov_b32_e32 v67, 0
	v_mad_u64_u32 v[70:71], s[12:13], s6, v66, v[70:71]
	v_mov_b32_e32 v66, s26
	s_load_dwordx4 s[8:11], s[4:5], 0x58
	s_mul_i32 s7, s7, s3
	v_mad_u64_u32 v[66:67], s[12:13], v70, s2, v[66:67]
	v_add_u32_e32 v69, s7, v71
	v_mov_b32_e32 v70, v67
	v_mad_u64_u32 v[70:71], s[12:13], v69, s2, v[70:71]
	v_mov_b32_e32 v67, v70
	v_lshlrev_b64 v[66:67], 2, v[66:67]
	s_waitcnt lgkmcnt(0)
	v_mov_b32_e32 v69, s11
	v_add_co_u32_e32 v70, vcc, s10, v66
	v_addc_co_u32_e32 v71, vcc, v69, v67, vcc
	v_mov_b32_e32 v69, s9
	v_add_co_u32_e32 v66, vcc, s8, v66
	v_addc_co_u32_e32 v67, vcc, v69, v67, vcc
	global_store_dword v[70:71], v86, off
	global_store_dword v[66:67], v87, off
.LBB142_15:
	s_or_b64 exec, exec, s[0:1]
	v_lshl_or_b32 v79, v1, 9, v68
	s_waitcnt lgkmcnt(0)
	s_barrier
	ds_read_b128 v[70:73], v79
	ds_read_b128 v[66:69], v79 offset:16
	s_waitcnt vmcnt(15) lgkmcnt(1)
	v_mfma_f32_16x16x16f16 v[74:77], v[46:47], v[70:71], 0
	s_mov_b32 s1, 0
	v_cmp_gt_u32_e32 vcc, 64, v0
	v_mfma_f32_16x16x16f16 v[46:49], v[48:49], v[72:73], v[74:77]
	s_waitcnt vmcnt(14) lgkmcnt(0)
	v_mfma_f32_16x16x16f16 v[46:49], v[42:43], v[66:67], v[46:49]
	v_mfma_f32_16x16x16f16 v[42:45], v[44:45], v[68:69], v[46:49]
	s_nop 7
	s_nop 1
	ds_read_b128 v[46:49], v79 offset:2048
	ds_read_b128 v[74:77], v79 offset:2064
	s_waitcnt vmcnt(13) lgkmcnt(1)
	v_mfma_f32_16x16x16f16 v[42:45], v[38:39], v[46:47], v[42:45]
	v_mfma_f32_16x16x16f16 v[38:41], v[40:41], v[48:49], v[42:45]
	s_waitcnt vmcnt(12) lgkmcnt(0)
	v_mfma_f32_16x16x16f16 v[38:41], v[34:35], v[74:75], v[38:41]
	v_mfma_f32_16x16x16f16 v[34:37], v[36:37], v[76:77], v[38:41]
	s_nop 7
	s_nop 1
	ds_read_b128 v[38:41], v79 offset:4096
	ds_read_b128 v[42:45], v79 offset:4112
	s_waitcnt vmcnt(11) lgkmcnt(1)
	v_mfma_f32_16x16x16f16 v[34:37], v[30:31], v[38:39], v[34:37]
	v_mfma_f32_16x16x16f16 v[30:33], v[32:33], v[40:41], v[34:37]
	s_waitcnt vmcnt(10) lgkmcnt(0)
	v_mfma_f32_16x16x16f16 v[30:33], v[26:27], v[42:43], v[30:33]
	v_mfma_f32_16x16x16f16 v[26:29], v[28:29], v[44:45], v[30:33]
	s_nop 7
	s_nop 1
	ds_read_b128 v[30:33], v79 offset:6144
	ds_read_b128 v[34:37], v79 offset:6160
	s_waitcnt lgkmcnt(0)
	s_barrier
	s_waitcnt vmcnt(9)
	v_mfma_f32_16x16x16f16 v[26:29], v[22:23], v[30:31], v[26:29]
	v_mfma_f32_16x16x16f16 v[22:25], v[24:25], v[32:33], v[26:29]
	s_waitcnt vmcnt(8)
	v_mfma_f32_16x16x16f16 v[22:25], v[18:19], v[34:35], v[22:25]
	v_mfma_f32_16x16x16f16 v[18:21], v[20:21], v[36:37], v[22:25]
	;; [unrolled: 3-line block ×4, first 2 shown]
	s_waitcnt vmcnt(5)
	v_mfma_f32_16x16x16f16 v[2:5], v[14:15], v[46:47], v[2:5]
	s_nop 7
	v_cvt_f16_f32_e32 v6, v18
	v_cvt_f16_f32_e32 v7, v19
	;; [unrolled: 1-line block ×4, first 2 shown]
	v_mfma_f32_16x16x16f16 v[2:5], v[16:17], v[48:49], v[2:5]
	s_waitcnt vmcnt(4)
	v_mfma_f32_16x16x16f16 v[2:5], v[10:11], v[74:75], v[2:5]
	v_mfma_f32_16x16x16f16 v[2:5], v[12:13], v[76:77], v[2:5]
	s_waitcnt vmcnt(3)
	v_mfma_f32_16x16x16f16 v[2:5], v[54:55], v[38:39], v[2:5]
	;; [unrolled: 3-line block ×5, first 2 shown]
	v_mfma_f32_16x16x16f16 v[2:5], v[60:61], v[36:37], v[2:5]
	s_nop 7
	s_nop 2
	v_cvt_f16_f32_e32 v10, v2
	v_cvt_f16_f32_e32 v11, v3
	;; [unrolled: 1-line block ×4, first 2 shown]
	v_pack_b32_f16 v2, v6, v7
	v_pack_b32_f16 v3, v8, v9
	;; [unrolled: 1-line block ×4, first 2 shown]
	ds_write2st64_b64 v78, v[2:3], v[4:5] offset1:1
	s_waitcnt lgkmcnt(0)
	s_barrier
	s_and_saveexec_b64 s[8:9], vcc
	s_cbranch_execz .LBB142_18
; %bb.16:
	v_lshlrev_b32_e32 v4, 6, v83
	v_lshlrev_b32_e32 v3, 4, v0
	v_lshl_or_b32 v0, v0, 10, v4
	v_lshlrev_b32_e32 v2, 5, v1
	v_and_b32_e32 v3, 16, v3
	v_and_b32_e32 v0, 0x1a00, v0
	v_or3_b32 v0, v0, v2, v3
	buffer_load_dword v2, off, s[44:47], 0  ; 4-byte Folded Reload
	s_load_dwordx2 s[4:5], s[4:5], 0x68
	s_lshl_b32 s2, s2, 7
	s_mul_i32 s0, s3, s6
	s_mul_hi_u32 s7, s0, s2
	s_mul_i32 s6, s0, s2
	s_lshl_b64 s[6:7], s[6:7], 1
	s_waitcnt lgkmcnt(0)
	s_add_u32 s3, s4, s6
	s_addc_u32 s4, s5, s7
	s_lshl_b32 s0, s26, 7
	s_lshl_b64 s[0:1], s[0:1], 1
	s_add_u32 s0, s3, s0
	s_addc_u32 s1, s4, s1
	ds_read_b128 v[4:7], v0 offset:128
	ds_read_b128 v[8:11], v0
	v_add_u32_e32 v14, s27, v1
	v_mov_b32_e32 v3, s1
	s_waitcnt vmcnt(0)
	v_add_co_u32_e32 v2, vcc, s0, v2
	v_mad_u64_u32 v[12:13], s[0:1], v14, s2, 0
	v_addc_co_u32_e32 v3, vcc, 0, v3, vcc
	v_lshlrev_b64 v[12:13], 1, v[12:13]
	v_add_co_u32_e32 v12, vcc, v2, v12
	v_addc_co_u32_e32 v13, vcc, v3, v13, vcc
	s_waitcnt lgkmcnt(0)
	global_store_dwordx4 v[12:13], v[8:11], off
	s_nop 0
	v_add_u32_e32 v8, 4, v14
	v_mad_u64_u32 v[8:9], s[0:1], v8, s2, 0
	v_lshlrev_b64 v[8:9], 1, v[8:9]
	v_add_co_u32_e32 v8, vcc, v2, v8
	v_addc_co_u32_e32 v9, vcc, v3, v9, vcc
	v_cmp_ne_u32_e32 vcc, 3, v1
	global_store_dwordx4 v[8:9], v[4:7], off
	s_and_b64 exec, exec, vcc
	s_cbranch_execz .LBB142_18
; %bb.17:
	ds_read_b128 v[4:7], v0 offset:256
	v_add3_u32 v0, s27, v1, 8
	v_mad_u64_u32 v[0:1], s[0:1], v0, s2, 0
	v_lshlrev_b64 v[0:1], 1, v[0:1]
	v_add_co_u32_e32 v0, vcc, v2, v0
	v_addc_co_u32_e32 v1, vcc, v3, v1, vcc
	s_waitcnt lgkmcnt(0)
	global_store_dwordx4 v[0:1], v[4:7], off
.LBB142_18:
	s_endpgm
	.section	.rodata,"a",@progbits
	.p2align	6, 0x0
	.amdhsa_kernel _Z39paged_attention_ll4mi_QKV_mfma16_kernelIDF16_DF16_LN4vllm18Fp8KVCacheDataTypeE0EDF16_Li16ELi128ELi256ELb0ELi11EL8MFMAType0EEvPKT_PKT0_S8_ifPKiSA_SA_iPKfiiiPfSD_PS3_PT2_iSC_SC_
		.amdhsa_group_segment_fixed_size 8192
		.amdhsa_private_segment_fixed_size 8
		.amdhsa_kernarg_size 400
		.amdhsa_user_sgpr_count 6
		.amdhsa_user_sgpr_private_segment_buffer 1
		.amdhsa_user_sgpr_dispatch_ptr 0
		.amdhsa_user_sgpr_queue_ptr 0
		.amdhsa_user_sgpr_kernarg_segment_ptr 1
		.amdhsa_user_sgpr_dispatch_id 0
		.amdhsa_user_sgpr_flat_scratch_init 0
		.amdhsa_user_sgpr_kernarg_preload_length 0
		.amdhsa_user_sgpr_kernarg_preload_offset 0
		.amdhsa_user_sgpr_private_segment_size 0
		.amdhsa_uses_dynamic_stack 0
		.amdhsa_system_sgpr_private_segment_wavefront_offset 1
		.amdhsa_system_sgpr_workgroup_id_x 1
		.amdhsa_system_sgpr_workgroup_id_y 1
		.amdhsa_system_sgpr_workgroup_id_z 1
		.amdhsa_system_sgpr_workgroup_info 0
		.amdhsa_system_vgpr_workitem_id 0
		.amdhsa_next_free_vgpr 96
		.amdhsa_next_free_sgpr 48
		.amdhsa_accum_offset 96
		.amdhsa_reserve_vcc 1
		.amdhsa_reserve_flat_scratch 0
		.amdhsa_float_round_mode_32 0
		.amdhsa_float_round_mode_16_64 0
		.amdhsa_float_denorm_mode_32 3
		.amdhsa_float_denorm_mode_16_64 3
		.amdhsa_dx10_clamp 1
		.amdhsa_ieee_mode 1
		.amdhsa_fp16_overflow 0
		.amdhsa_tg_split 0
		.amdhsa_exception_fp_ieee_invalid_op 0
		.amdhsa_exception_fp_denorm_src 0
		.amdhsa_exception_fp_ieee_div_zero 0
		.amdhsa_exception_fp_ieee_overflow 0
		.amdhsa_exception_fp_ieee_underflow 0
		.amdhsa_exception_fp_ieee_inexact 0
		.amdhsa_exception_int_div_zero 0
	.end_amdhsa_kernel
	.section	.text._Z39paged_attention_ll4mi_QKV_mfma16_kernelIDF16_DF16_LN4vllm18Fp8KVCacheDataTypeE0EDF16_Li16ELi128ELi256ELb0ELi11EL8MFMAType0EEvPKT_PKT0_S8_ifPKiSA_SA_iPKfiiiPfSD_PS3_PT2_iSC_SC_,"axG",@progbits,_Z39paged_attention_ll4mi_QKV_mfma16_kernelIDF16_DF16_LN4vllm18Fp8KVCacheDataTypeE0EDF16_Li16ELi128ELi256ELb0ELi11EL8MFMAType0EEvPKT_PKT0_S8_ifPKiSA_SA_iPKfiiiPfSD_PS3_PT2_iSC_SC_,comdat
.Lfunc_end142:
	.size	_Z39paged_attention_ll4mi_QKV_mfma16_kernelIDF16_DF16_LN4vllm18Fp8KVCacheDataTypeE0EDF16_Li16ELi128ELi256ELb0ELi11EL8MFMAType0EEvPKT_PKT0_S8_ifPKiSA_SA_iPKfiiiPfSD_PS3_PT2_iSC_SC_, .Lfunc_end142-_Z39paged_attention_ll4mi_QKV_mfma16_kernelIDF16_DF16_LN4vllm18Fp8KVCacheDataTypeE0EDF16_Li16ELi128ELi256ELb0ELi11EL8MFMAType0EEvPKT_PKT0_S8_ifPKiSA_SA_iPKfiiiPfSD_PS3_PT2_iSC_SC_
                                        ; -- End function
	.section	.AMDGPU.csdata,"",@progbits
; Kernel info:
; codeLenInByte = 4628
; NumSgprs: 52
; NumVgprs: 96
; NumAgprs: 0
; TotalNumVgprs: 96
; ScratchSize: 8
; MemoryBound: 0
; FloatMode: 240
; IeeeMode: 1
; LDSByteSize: 8192 bytes/workgroup (compile time only)
; SGPRBlocks: 6
; VGPRBlocks: 11
; NumSGPRsForWavesPerEU: 52
; NumVGPRsForWavesPerEU: 96
; AccumOffset: 96
; Occupancy: 5
; WaveLimiterHint : 1
; COMPUTE_PGM_RSRC2:SCRATCH_EN: 1
; COMPUTE_PGM_RSRC2:USER_SGPR: 6
; COMPUTE_PGM_RSRC2:TRAP_HANDLER: 0
; COMPUTE_PGM_RSRC2:TGID_X_EN: 1
; COMPUTE_PGM_RSRC2:TGID_Y_EN: 1
; COMPUTE_PGM_RSRC2:TGID_Z_EN: 1
; COMPUTE_PGM_RSRC2:TIDIG_COMP_CNT: 0
; COMPUTE_PGM_RSRC3_GFX90A:ACCUM_OFFSET: 23
; COMPUTE_PGM_RSRC3_GFX90A:TG_SPLIT: 0
	.section	.text._Z39paged_attention_ll4mi_QKV_mfma16_kernelIDF16_DF16_LN4vllm18Fp8KVCacheDataTypeE0EDF16_Li16ELi128ELi256ELb0ELi12EL8MFMAType0EEvPKT_PKT0_S8_ifPKiSA_SA_iPKfiiiPfSD_PS3_PT2_iSC_SC_,"axG",@progbits,_Z39paged_attention_ll4mi_QKV_mfma16_kernelIDF16_DF16_LN4vllm18Fp8KVCacheDataTypeE0EDF16_Li16ELi128ELi256ELb0ELi12EL8MFMAType0EEvPKT_PKT0_S8_ifPKiSA_SA_iPKfiiiPfSD_PS3_PT2_iSC_SC_,comdat
	.protected	_Z39paged_attention_ll4mi_QKV_mfma16_kernelIDF16_DF16_LN4vllm18Fp8KVCacheDataTypeE0EDF16_Li16ELi128ELi256ELb0ELi12EL8MFMAType0EEvPKT_PKT0_S8_ifPKiSA_SA_iPKfiiiPfSD_PS3_PT2_iSC_SC_ ; -- Begin function _Z39paged_attention_ll4mi_QKV_mfma16_kernelIDF16_DF16_LN4vllm18Fp8KVCacheDataTypeE0EDF16_Li16ELi128ELi256ELb0ELi12EL8MFMAType0EEvPKT_PKT0_S8_ifPKiSA_SA_iPKfiiiPfSD_PS3_PT2_iSC_SC_
	.globl	_Z39paged_attention_ll4mi_QKV_mfma16_kernelIDF16_DF16_LN4vllm18Fp8KVCacheDataTypeE0EDF16_Li16ELi128ELi256ELb0ELi12EL8MFMAType0EEvPKT_PKT0_S8_ifPKiSA_SA_iPKfiiiPfSD_PS3_PT2_iSC_SC_
	.p2align	8
	.type	_Z39paged_attention_ll4mi_QKV_mfma16_kernelIDF16_DF16_LN4vllm18Fp8KVCacheDataTypeE0EDF16_Li16ELi128ELi256ELb0ELi12EL8MFMAType0EEvPKT_PKT0_S8_ifPKiSA_SA_iPKfiiiPfSD_PS3_PT2_iSC_SC_,@function
_Z39paged_attention_ll4mi_QKV_mfma16_kernelIDF16_DF16_LN4vllm18Fp8KVCacheDataTypeE0EDF16_Li16ELi128ELi256ELb0ELi12EL8MFMAType0EEvPKT_PKT0_S8_ifPKiSA_SA_iPKfiiiPfSD_PS3_PT2_iSC_SC_: ; @_Z39paged_attention_ll4mi_QKV_mfma16_kernelIDF16_DF16_LN4vllm18Fp8KVCacheDataTypeE0EDF16_Li16ELi128ELi256ELb0ELi12EL8MFMAType0EEvPKT_PKT0_S8_ifPKiSA_SA_iPKfiiiPfSD_PS3_PT2_iSC_SC_
; %bb.0:
	s_mov_b64 s[46:47], s[2:3]
	s_mov_b64 s[44:45], s[0:1]
	s_load_dwordx2 s[0:1], s[4:5], 0x30
	s_add_u32 s44, s44, s9
	s_addc_u32 s45, s45, 0
	s_mov_b32 s26, s7
	s_mov_b64 s[10:11], 0
	s_waitcnt lgkmcnt(0)
	s_cmp_lg_u64 s[0:1], 0
	s_cselect_b64 s[2:3], -1, 0
	s_and_b64 vcc, exec, s[2:3]
	s_cbranch_vccz .LBB143_7
; %bb.1:
	s_add_i32 s12, s6, 1
	s_mov_b32 s13, 0
	s_lshl_b64 s[14:15], s[12:13], 2
	s_add_u32 s14, s0, s14
	s_mov_b32 s7, s13
	s_addc_u32 s15, s1, s15
	s_lshl_b64 s[12:13], s[6:7], 2
	s_add_u32 s12, s0, s12
	s_addc_u32 s13, s1, s13
	s_load_dword s9, s[14:15], 0x0
	s_load_dword s16, s[12:13], 0x0
	s_waitcnt lgkmcnt(0)
	s_sub_i32 s9, s9, s16
	s_cmp_eq_u32 s9, 1
	s_cselect_b64 s[12:13], -1, 0
	s_andn2_b64 vcc, exec, s[10:11]
	s_cbranch_vccnz .LBB143_3
.LBB143_2:
	s_mov_b32 s7, 0
	s_mov_b64 s[12:13], -1
.LBB143_3:
	s_andn2_b64 vcc, exec, s[12:13]
	s_cbranch_vccnz .LBB143_17
; %bb.4:
	s_load_dwordx2 s[12:13], s[4:5], 0x28
	s_lshl_b64 s[10:11], s[6:7], 2
	s_waitcnt lgkmcnt(0)
	s_add_u32 s12, s12, s10
	s_addc_u32 s13, s13, s11
	s_load_dword s38, s[12:13], 0x0
	s_lshl_b32 s9, s26, 8
	s_waitcnt lgkmcnt(0)
	s_cmp_ge_i32 s9, s38
	s_cbranch_scc1 .LBB143_17
; %bb.5:
	s_add_i32 s15, s38, 15
	s_load_dwordx2 s[12:13], s[4:5], 0x20
	s_load_dword s14, s[4:5], 0x38
	s_ashr_i32 s16, s15, 31
	v_and_b32_e32 v1, 0xcf, v0
	s_lshr_b32 s16, s16, 28
	v_add_u32_e32 v1, s9, v1
	s_add_i32 s15, s15, s16
	v_ashrrev_i32_e32 v2, 31, v1
	s_ashr_i32 s18, s15, 4
	v_lshrrev_b32_e32 v6, 28, v2
	s_add_i32 s18, s18, -1
	v_add_u32_e32 v2, v1, v6
	s_waitcnt lgkmcnt(0)
	s_mul_i32 s14, s6, s14
	s_mov_b32 s15, 0
	v_ashrrev_i32_e32 v2, 4, v2
	v_mov_b32_e32 v7, s18
	v_cmp_gt_i32_e32 vcc, s38, v1
	s_lshl_b64 s[14:15], s[14:15], 2
	v_cndmask_b32_e32 v2, v7, v2, vcc
	s_add_u32 s16, s12, s14
	v_ashrrev_i32_e32 v3, 31, v2
	s_addc_u32 s17, s13, s15
	v_lshlrev_b64 v[2:3], 2, v[2:3]
	v_mov_b32_e32 v5, s17
	v_add_co_u32_e32 v4, vcc, s16, v2
	v_or_b32_e32 v2, 16, v1
	v_addc_co_u32_e32 v5, vcc, v5, v3, vcc
	v_add_u32_e32 v3, v2, v6
	v_ashrrev_i32_e32 v3, 4, v3
	v_cmp_gt_i32_e32 vcc, s38, v2
	v_cndmask_b32_e32 v2, v7, v3, vcc
	v_ashrrev_i32_e32 v3, 31, v2
	v_lshlrev_b64 v[2:3], 2, v[2:3]
	v_mov_b32_e32 v9, s17
	v_add_co_u32_e32 v8, vcc, s16, v2
	v_or_b32_e32 v2, 32, v1
	v_addc_co_u32_e32 v9, vcc, v9, v3, vcc
	v_add_u32_e32 v3, v2, v6
	v_ashrrev_i32_e32 v3, 4, v3
	v_cmp_gt_i32_e32 vcc, s38, v2
	v_cndmask_b32_e32 v2, v7, v3, vcc
	v_ashrrev_i32_e32 v3, 31, v2
	;; [unrolled: 10-line block ×3, first 2 shown]
	v_lshlrev_b64 v[2:3], 2, v[2:3]
	v_mov_b32_e32 v1, s17
	v_add_co_u32_e32 v12, vcc, s16, v2
	v_addc_co_u32_e32 v13, vcc, v1, v3, vcc
	global_load_dword v3, v[4:5], off
	global_load_dword v2, v[8:9], off
	;; [unrolled: 1-line block ×4, first 2 shown]
	s_load_dwordx4 s[12:15], s[4:5], 0x8
	s_andn2_b64 vcc, exec, s[2:3]
	s_cbranch_vccnz .LBB143_8
; %bb.6:
	s_add_u32 s0, s0, s10
	s_addc_u32 s1, s1, s11
	s_load_dword s19, s[0:1], 0x0
	s_branch .LBB143_9
.LBB143_7:
	s_mov_b64 s[12:13], 0
	s_branch .LBB143_2
.LBB143_8:
	s_mov_b32 s19, s6
.LBB143_9:
	s_load_dwordx4 s[0:3], s[4:5], 0x48
	v_and_b32_e32 v83, 15, v0
	v_lshlrev_b32_e32 v4, 3, v83
	s_waitcnt lgkmcnt(0)
	s_movk_i32 s3, 0xc0
	v_lshrrev_b32_e32 v85, 6, v0
	v_and_b32_e32 v86, 63, v0
	v_bfe_u32 v1, v0, 4, 2
	s_mul_i32 s27, s8, 12
	v_cmp_gt_u32_e32 vcc, s3, v0
	v_lshlrev_b32_e32 v4, 1, v4
	buffer_store_dword v4, off, s[44:47], 0 ; 4-byte Folded Spill
	s_and_saveexec_b64 s[10:11], vcc
	s_cbranch_execz .LBB143_11
; %bb.10:
	s_load_dwordx2 s[20:21], s[4:5], 0x0
	s_ashr_i32 s3, s0, 31
	s_mul_hi_u32 s22, s19, s0
	s_mul_i32 s3, s19, s3
	v_lshl_or_b32 v7, v85, 2, v1
	s_add_i32 s23, s22, s3
	s_mul_i32 s22, s19, s0
	s_lshl_b64 s[22:23], s[22:23], 1
	v_add_lshl_u32 v4, v7, s27, 7
	s_waitcnt lgkmcnt(0)
	s_add_u32 s0, s20, s22
	v_ashrrev_i32_e32 v5, 31, v4
	s_addc_u32 s3, s21, s23
	v_lshlrev_b64 v[4:5], 1, v[4:5]
	v_mov_b32_e32 v8, s3
	v_add_co_u32_e32 v4, vcc, s0, v4
	v_addc_co_u32_e32 v5, vcc, v8, v5, vcc
	buffer_load_dword v8, off, s[44:47], 0  ; 4-byte Folded Reload
	s_waitcnt vmcnt(0)
	v_add_co_u32_e32 v4, vcc, v4, v8
	v_addc_co_u32_e32 v5, vcc, 0, v5, vcc
	global_load_dwordx4 v[8:11], v[4:5], off
	v_and_b32_e32 v4, 3, v0
	v_lshlrev_b32_e32 v5, 5, v7
	v_lshlrev_b32_e32 v7, 9, v83
	v_lshlrev_b32_e32 v4, 9, v4
	v_and_b32_e32 v7, 0x1800, v7
	v_or3_b32 v4, v7, v4, v5
	s_waitcnt vmcnt(0)
	ds_write_b128 v4, v[8:11]
.LBB143_11:
	s_or_b64 exec, exec, s[10:11]
	s_mul_i32 s2, s8, s2
	s_mov_b32 s3, 0
	s_lshl_b64 s[2:3], s[2:3], 1
	s_add_u32 s8, s12, s2
	v_lshlrev_b32_e32 v7, 4, v0
	s_addc_u32 s10, s13, s3
	v_and_b32_e32 v4, 0xf0, v7
	v_mov_b32_e32 v5, s10
	v_add_co_u32_e32 v29, vcc, s8, v4
	v_addc_co_u32_e32 v30, vcc, 0, v5, vcc
	s_waitcnt vmcnt(4)
	v_mad_i64_i32 v[4:5], s[10:11], v3, s1, 0
	v_lshlrev_b64 v[4:5], 1, v[4:5]
	v_add_co_u32_e32 v3, vcc, v29, v4
	v_addc_co_u32_e32 v4, vcc, v30, v5, vcc
	v_and_b32_e32 v31, 0x300, v7
	v_add_co_u32_e32 v22, vcc, v3, v31
	v_addc_co_u32_e32 v23, vcc, 0, v4, vcc
	s_load_dword s33, s[4:5], 0x98
	s_load_dword s0, s[4:5], 0x1c
	s_waitcnt lgkmcnt(0)
	s_barrier
	global_load_dwordx4 v[10:13], v[22:23], off
	global_load_dwordx4 v[18:21], v[22:23], off offset:1024
	s_waitcnt vmcnt(5)
	v_mad_i64_i32 v[2:3], s[10:11], v2, s1, 0
	v_lshlrev_b64 v[2:3], 1, v[2:3]
	v_add_co_u32_e32 v2, vcc, v29, v2
	v_addc_co_u32_e32 v3, vcc, v30, v3, vcc
	v_add_co_u32_e32 v24, vcc, v2, v31
	v_addc_co_u32_e32 v25, vcc, 0, v3, vcc
	global_load_dwordx4 v[14:17], v[24:25], off
	global_load_dwordx4 v[38:41], v[24:25], off offset:1024
	v_add_u32_e32 v2, -12, v83
	v_cmp_gt_u32_e32 vcc, 12, v83
	v_cndmask_b32_e32 v2, v2, v83, vcc
	v_lshlrev_b32_e32 v2, 5, v2
	v_lshl_add_u32 v32, v1, 9, v2
	ds_read_b128 v[2:5], v32
	s_waitcnt vmcnt(6)
	v_mad_i64_i32 v[6:7], s[10:11], v6, s1, 0
	v_lshlrev_b64 v[26:27], 1, v[6:7]
	ds_read_b128 v[6:9], v32 offset:2048
	v_and_or_b32 v62, v0, 48, s9
	v_mov_b32_e32 v63, s18
	v_mov_b32_e32 v68, s17
	s_add_u32 s8, s14, s2
	v_lshl_or_b32 v87, v85, 4, v83
	v_lshlrev_b32_e32 v76, 5, v87
	s_mov_b32 s40, 0xff7fffff
	s_waitcnt vmcnt(3) lgkmcnt(1)
	v_mfma_f32_16x16x16f16 v[34:37], v[10:11], v[2:3], 0
	v_add_co_u32_e32 v10, vcc, v29, v26
	v_addc_co_u32_e32 v11, vcc, v30, v27, vcc
	v_add_co_u32_e32 v26, vcc, v10, v31
	v_addc_co_u32_e32 v27, vcc, 0, v11, vcc
	global_load_dwordx4 v[46:49], v[26:27], off
	global_load_dwordx4 v[58:61], v[26:27], off offset:1024
	s_waitcnt vmcnt(3)
	v_mfma_f32_16x16x16f16 v[42:45], v[14:15], v[2:3], 0
	v_cmp_gt_i32_e32 vcc, s38, v62
	v_mfma_f32_16x16x16f16 v[14:17], v[16:17], v[4:5], v[42:45]
	s_nop 7
	s_nop 0
	global_load_dwordx4 v[42:45], v[22:23], off offset:2048
	v_mfma_f32_16x16x16f16 v[10:13], v[12:13], v[4:5], v[34:37]
	s_waitcnt vmcnt(3) lgkmcnt(0)
	v_mfma_f32_16x16x16f16 v[14:17], v[38:39], v[6:7], v[14:17]
	v_mfma_f32_16x16x16f16 v[10:13], v[18:19], v[6:7], v[10:13]
	v_mfma_f32_16x16x16f16 v[14:17], v[40:41], v[8:9], v[14:17]
	global_load_dwordx4 v[38:41], v[22:23], off offset:3072
	v_mfma_f32_16x16x16f16 v[18:21], v[20:21], v[8:9], v[10:13]
	s_waitcnt vmcnt(3)
	v_mfma_f32_16x16x16f16 v[50:53], v[46:47], v[2:3], 0
	v_mfma_f32_16x16x16f16 v[34:37], v[48:49], v[4:5], v[50:53]
	global_load_dwordx4 v[46:49], v[24:25], off offset:2048
	s_nop 3
	ds_read_b128 v[10:13], v32 offset:4096
	s_nop 3
	ds_read_b128 v[50:53], v32 offset:6144
	global_load_dwordx4 v[22:25], v[24:25], off offset:3072
	v_mad_i64_i32 v[32:33], s[10:11], v28, s1, 0
	v_mov_b32_e32 v28, s17
	s_addc_u32 s10, s15, s3
	s_waitcnt vmcnt(3) lgkmcnt(1)
	v_mfma_f32_16x16x16f16 v[18:21], v[42:43], v[10:11], v[18:21]
	v_mfma_f32_16x16x16f16 v[18:21], v[44:45], v[12:13], v[18:21]
	global_load_dwordx4 v[42:45], v[26:27], off offset:2048
	s_waitcnt vmcnt(3) lgkmcnt(0)
	v_mfma_f32_16x16x16f16 v[18:21], v[38:39], v[50:51], v[18:21]
	v_or_b32_e32 v38, 64, v62
	v_ashrrev_i32_e32 v39, 4, v38
	v_mfma_f32_16x16x16f16 v[54:57], v[40:41], v[52:53], v[18:21]
	s_waitcnt vmcnt(2)
	v_mfma_f32_16x16x16f16 v[14:17], v[46:47], v[10:11], v[14:17]
	v_mfma_f32_16x16x16f16 v[14:17], v[48:49], v[12:13], v[14:17]
	global_load_dwordx4 v[46:49], v[26:27], off offset:3072
	v_lshlrev_b64 v[26:27], 1, v[32:33]
	v_ashrrev_i32_e32 v32, 4, v62
	v_cndmask_b32_e32 v32, v63, v32, vcc
	v_ashrrev_i32_e32 v33, 31, v32
	v_cmp_gt_i32_e32 vcc, s38, v38
	v_cndmask_b32_e32 v38, v63, v39, vcc
	s_waitcnt vmcnt(2)
	v_mfma_f32_16x16x16f16 v[14:17], v[22:23], v[50:51], v[14:17]
	v_lshlrev_b64 v[22:23], 2, v[32:33]
	v_add_co_u32_e32 v22, vcc, s16, v22
	v_addc_co_u32_e32 v23, vcc, v28, v23, vcc
	v_add_co_u32_e32 v18, vcc, v29, v26
	v_addc_co_u32_e32 v19, vcc, v30, v27, vcc
	;; [unrolled: 2-line block ×3, first 2 shown]
	v_mfma_f32_16x16x16f16 v[64:67], v[24:25], v[52:53], v[14:17]
	global_load_dword v30, v[22:23], off
	v_ashrrev_i32_e32 v39, 31, v38
	v_lshlrev_b64 v[32:33], 2, v[38:39]
	v_add_co_u32_e32 v18, vcc, s16, v32
	v_addc_co_u32_e32 v19, vcc, v68, v33, vcc
	s_nop 1
	global_load_dwordx4 v[14:17], v[26:27], off
	global_load_dword v31, v[18:19], off
	s_nop 0
	global_load_dwordx4 v[18:21], v[26:27], off offset:1024
	global_load_dwordx4 v[68:71], v[26:27], off offset:2048
	;; [unrolled: 1-line block ×3, first 2 shown]
	v_mfma_f32_16x16x16f16 v[22:25], v[58:59], v[6:7], v[34:37]
	v_or_b32_e32 v28, 0x80, v62
	v_ashrrev_i32_e32 v29, 4, v28
	v_cmp_gt_i32_e32 vcc, s38, v28
	v_cndmask_b32_e32 v28, v63, v29, vcc
	v_ashrrev_i32_e32 v29, 31, v28
	v_lshlrev_b64 v[28:29], 2, v[28:29]
	v_mov_b32_e32 v32, s17
	v_mfma_f32_16x16x16f16 v[22:25], v[60:61], v[8:9], v[22:25]
	v_add_co_u32_e32 v28, vcc, s16, v28
	v_addc_co_u32_e32 v29, vcc, v32, v29, vcc
	global_load_dword v32, v[28:29], off
	v_or_b32_e32 v28, 0xc0, v62
	v_ashrrev_i32_e32 v29, 4, v28
	v_cmp_gt_i32_e32 vcc, s38, v28
	v_cndmask_b32_e32 v28, v63, v29, vcc
	v_ashrrev_i32_e32 v29, 31, v28
	v_lshlrev_b64 v[28:29], 2, v[28:29]
	s_waitcnt vmcnt(8)
	v_mfma_f32_16x16x16f16 v[22:25], v[42:43], v[10:11], v[22:25]
	v_mov_b32_e32 v33, s17
	v_add_co_u32_e32 v28, vcc, s16, v28
	v_addc_co_u32_e32 v29, vcc, v33, v29, vcc
	global_load_dword v58, v[28:29], off
	v_mov_b32_e32 v26, s10
	v_mfma_f32_16x16x16f16 v[22:25], v[44:45], v[12:13], v[22:25]
	v_add_co_u32_e32 v77, vcc, s8, v76
	v_addc_co_u32_e32 v78, vcc, 0, v26, vcc
	v_pk_mul_f32 v[80:81], s[0:1], v[66:67] op_sel_hi:[0,1]
	s_waitcnt vmcnt(8)
	v_mfma_f32_16x16x16f16 v[22:25], v[46:47], v[50:51], v[22:25]
	v_mfma_f32_16x16x16f16 v[72:75], v[48:49], v[52:53], v[22:25]
	s_waitcnt vmcnt(7)
	s_nop 7
	s_nop 0
	v_mad_i64_i32 v[22:23], s[2:3], v30, s1, 0
	v_lshlrev_b64 v[62:63], 1, v[22:23]
	s_waitcnt vmcnt(6)
	v_mfma_f32_16x16x16f16 v[22:25], v[14:15], v[2:3], 0
	v_add_co_u32_e32 v2, vcc, v77, v62
	v_addc_co_u32_e32 v3, vcc, v78, v63, vcc
	global_load_dwordx4 v[46:49], v[2:3], off
	global_load_dwordx4 v[42:45], v[2:3], off offset:16
	s_waitcnt vmcnt(7)
	v_mad_i64_i32 v[2:3], s[2:3], v31, s1, 0
	v_lshlrev_b64 v[14:15], 1, v[2:3]
	v_mfma_f32_16x16x16f16 v[2:5], v[16:17], v[4:5], v[22:25]
	v_add_co_u32_e32 v16, vcc, v77, v14
	v_addc_co_u32_e32 v17, vcc, v78, v15, vcc
	global_load_dwordx4 v[38:41], v[16:17], off
	global_load_dwordx4 v[34:37], v[16:17], off offset:16
	s_waitcnt vmcnt(5)
	v_mad_i64_i32 v[16:17], s[2:3], v32, s1, 0
	v_mfma_f32_16x16x16f16 v[2:5], v[18:19], v[6:7], v[2:5]
	v_lshlrev_b64 v[60:61], 1, v[16:17]
	v_add_co_u32_e32 v6, vcc, v77, v60
	v_addc_co_u32_e32 v7, vcc, v78, v61, vcc
	global_load_dwordx4 v[30:33], v[6:7], off
	global_load_dwordx4 v[26:29], v[6:7], off offset:16
	s_waitcnt vmcnt(6)
	v_mad_i64_i32 v[6:7], s[2:3], v58, s1, 0
	v_mfma_f32_16x16x16f16 v[2:5], v[20:21], v[8:9], v[2:5]
	v_lshlrev_b64 v[58:59], 1, v[6:7]
	v_add_co_u32_e32 v6, vcc, v77, v58
	v_addc_co_u32_e32 v7, vcc, v78, v59, vcc
	global_load_dwordx4 v[22:25], v[6:7], off
	global_load_dwordx4 v[18:21], v[6:7], off offset:16
	v_or_b32_e32 v6, 0x800, v76
	v_mfma_f32_16x16x16f16 v[2:5], v[68:69], v[10:11], v[2:5]
	v_mov_b32_e32 v7, s10
	v_add_co_u32_e32 v68, vcc, s8, v6
	v_addc_co_u32_e32 v69, vcc, 0, v7, vcc
	v_pk_mul_f32 v[76:77], s[0:1], v[74:75] op_sel_hi:[0,1]
	v_pk_mul_f32 v[74:75], s[0:1], v[72:73] op_sel_hi:[0,1]
	v_mfma_f32_16x16x16f16 v[10:13], v[70:71], v[12:13], v[2:5]
	v_pk_mul_f32 v[78:79], s[0:1], v[56:57] op_sel_hi:[0,1]
	v_pk_mul_f32 v[70:71], s[0:1], v[64:65] op_sel_hi:[0,1]
	v_mfma_f32_16x16x16f16 v[92:95], v[88:89], v[50:51], v[10:13]
	s_nop 3
	v_add_co_u32_e32 v2, vcc, v68, v62
	v_addc_co_u32_e32 v3, vcc, v69, v63, vcc
	v_add_co_u32_e32 v62, vcc, v68, v14
	v_addc_co_u32_e32 v63, vcc, v69, v15, vcc
	v_mfma_f32_16x16x16f16 v[50:53], v[90:91], v[52:53], v[92:95]
	global_load_dwordx4 v[6:9], v[2:3], off
	s_nop 0
	global_load_dwordx4 v[2:5], v[2:3], off offset:16
	s_nop 0
	global_load_dwordx4 v[14:17], v[62:63], off
	global_load_dwordx4 v[10:13], v[62:63], off offset:16
	v_pk_mul_f32 v[62:63], s[0:1], v[54:55] op_sel_hi:[0,1]
	s_nop 3
	v_pk_mul_f32 v[72:73], s[0:1], v[50:51] op_sel_hi:[0,1]
	v_and_b32_e32 v50, 0xc0, v0
	v_add_u32_e32 v50, s9, v50
	v_lshl_or_b32 v50, v1, 2, v50
	v_pk_mul_f32 v[66:67], s[0:1], v[52:53] op_sel_hi:[0,1]
	v_or_b32_e32 v53, 1, v50
	v_mov_b32_e32 v51, 0xff7fffff
	v_cmp_gt_i32_e64 s[28:29], s38, v50
	v_cmp_gt_i32_e64 s[30:31], s38, v53
	v_cndmask_b32_e64 v52, v51, v62, s[28:29]
	v_cndmask_b32_e64 v53, v51, v63, s[30:31]
	v_max3_f32 v52, v52, s40, v53
	v_or_b32_e32 v53, 2, v50
	v_or_b32_e32 v54, 3, v50
	v_cmp_gt_i32_e64 s[34:35], s38, v53
	v_cmp_gt_i32_e64 s[36:37], s38, v54
	v_cndmask_b32_e64 v53, v51, v78, s[34:35]
	v_cndmask_b32_e64 v54, v51, v79, s[36:37]
	v_max3_f32 v52, v52, v53, v54
	v_or_b32_e32 v53, 16, v50
	v_or_b32_e32 v54, 17, v50
	;; [unrolled: 7-line block ×7, first 2 shown]
	v_cmp_gt_i32_e32 vcc, s38, v53
	v_cmp_gt_i32_e64 s[0:1], s38, v50
	v_cndmask_b32_e32 v53, v51, v66, vcc
	v_cndmask_b32_e64 v50, v51, v67, s[0:1]
	v_max3_f32 v64, v52, v53, v50
	v_mbcnt_lo_u32_b32 v50, -1, 0
	v_mbcnt_hi_u32_b32 v65, -1, v50
	v_and_b32_e32 v50, 64, v65
	v_add_u32_e32 v88, 64, v50
	v_xor_b32_e32 v50, 32, v65
	v_cmp_lt_i32_e64 s[38:39], v50, v88
	v_cndmask_b32_e64 v50, v65, v50, s[38:39]
	v_lshlrev_b32_e32 v89, 2, v50
	ds_bpermute_b32 v90, v89, v64
	v_add_co_u32_e64 v50, s[38:39], v68, v60
	v_addc_co_u32_e64 v51, s[38:39], v69, v61, s[38:39]
	v_xor_b32_e32 v61, 16, v65
	v_cmp_lt_i32_e64 s[38:39], v61, v88
	s_waitcnt lgkmcnt(0)
	v_max_f32_e32 v60, v90, v90
	v_cndmask_b32_e64 v61, v65, v61, s[38:39]
	v_max_f32_e32 v60, v64, v60
	v_lshlrev_b32_e32 v90, 2, v61
	ds_bpermute_b32 v61, v90, v60
	v_add_co_u32_e64 v58, s[38:39], v68, v58
	v_addc_co_u32_e64 v59, s[38:39], v69, v59, s[38:39]
	s_waitcnt lgkmcnt(0)
	v_max_f32_e32 v61, v61, v61
	v_max_f32_e32 v88, v60, v61
	v_sub_f32_e32 v60, v62, v88
	v_mul_f32_e32 v60, 0x3fb8aa3b, v60
	v_exp_f32_e32 v68, v60
	v_sub_f32_e32 v60, v63, v88
	v_mul_f32_e32 v60, 0x3fb8aa3b, v60
	global_load_dwordx4 v[54:57], v[50:51], off
	s_nop 0
	global_load_dwordx4 v[50:53], v[50:51], off offset:16
	v_exp_f32_e32 v69, v60
	global_load_dwordx4 v[62:65], v[58:59], off
	s_nop 0
	global_load_dwordx4 v[58:61], v[58:59], off offset:16
	v_sub_f32_e32 v78, v78, v88
	v_mul_f32_e32 v78, 0x3fb8aa3b, v78
	v_sub_f32_e32 v79, v79, v88
	v_exp_f32_e32 v78, v78
	v_mul_f32_e32 v79, 0x3fb8aa3b, v79
	v_sub_f32_e32 v70, v70, v88
	v_exp_f32_e32 v79, v79
	v_mul_f32_e32 v70, 0x3fb8aa3b, v70
	v_sub_f32_e32 v71, v71, v88
	v_cndmask_b32_e64 v68, 0, v68, s[28:29]
	v_exp_f32_e32 v70, v70
	v_mul_f32_e32 v71, 0x3fb8aa3b, v71
	v_sub_f32_e32 v80, v80, v88
	v_add_f32_e32 v91, 0, v68
	v_cndmask_b32_e64 v69, 0, v69, s[30:31]
	v_exp_f32_e32 v71, v71
	v_mul_f32_e32 v80, 0x3fb8aa3b, v80
	v_sub_f32_e32 v81, v81, v88
	v_add_f32_e32 v91, v91, v69
	;; [unrolled: 5-line block ×10, first 2 shown]
	v_cndmask_b32_e64 v76, 0, v76, s[10:11]
	v_exp_f32_e32 v66, v66
	v_mul_f32_e32 v67, 0x3fb8aa3b, v67
	v_add_f32_e32 v91, v91, v76
	v_cndmask_b32_e64 v77, 0, v77, s[12:13]
	v_exp_f32_e32 v67, v67
	v_add_f32_e32 v91, v91, v77
	v_cndmask_b32_e64 v72, 0, v72, s[2:3]
	v_add_f32_e32 v91, v91, v72
	v_cndmask_b32_e64 v73, 0, v73, s[8:9]
	v_add_f32_e32 v91, v91, v73
	v_cndmask_b32_e32 v66, 0, v66, vcc
	v_add_f32_e32 v91, v91, v66
	v_cndmask_b32_e64 v67, 0, v67, s[0:1]
	v_add_f32_e32 v91, v91, v67
	ds_bpermute_b32 v89, v89, v91
	v_cmp_gt_u32_e32 vcc, 16, v86
	s_waitcnt lgkmcnt(0)
	s_barrier
	v_add_f32_e32 v89, v91, v89
	ds_bpermute_b32 v90, v90, v89
	s_and_saveexec_b64 s[0:1], vcc
	s_cbranch_execz .LBB143_13
; %bb.12:
	s_waitcnt lgkmcnt(0)
	v_add_f32_e32 v86, v89, v90
	v_lshlrev_b32_e32 v87, 2, v87
	ds_write2st64_b32 v87, v88, v86 offset1:1
.LBB143_13:
	s_or_b64 exec, exec, s[0:1]
	v_lshlrev_b32_e32 v87, 2, v83
	s_load_dword s2, s[4:5], 0x94
	s_waitcnt lgkmcnt(0)
	s_barrier
	ds_read2_b32 v[88:89], v87 offset1:16
	ds_read2_b32 v[90:91], v87 offset0:32 offset1:48
	ds_read2_b32 v[92:93], v87 offset0:64 offset1:80
	s_mul_i32 s3, s33, 12
	s_waitcnt lgkmcnt(2)
	v_max3_f32 v86, v88, s40, v89
	s_waitcnt lgkmcnt(1)
	v_max3_f32 v86, v86, v90, v91
	v_sub_f32_e32 v88, v88, v86
	v_mul_f32_e32 v88, 0x3fb8aa3b, v88
	v_exp_f32_e32 v94, v88
	v_sub_f32_e32 v88, v89, v86
	v_mul_f32_e32 v88, 0x3fb8aa3b, v88
	v_exp_f32_e32 v95, v88
	;; [unrolled: 3-line block ×3, first 2 shown]
	ds_read2_b32 v[88:89], v87 offset0:96 offset1:112
	v_sub_f32_e32 v87, v91, v86
	v_mul_f32_e32 v87, 0x3fb8aa3b, v87
	v_exp_f32_e32 v91, v87
	s_waitcnt lgkmcnt(1)
	v_fma_f32 v87, v94, v92, 0
	v_fmac_f32_e32 v87, v95, v93
	s_waitcnt lgkmcnt(0)
	v_fmac_f32_e32 v87, v90, v88
	v_fmac_f32_e32 v87, v91, v89
	v_add_f32_e32 v88, 0x358637bd, v87
	v_div_scale_f32 v89, s[0:1], v88, v88, 1.0
	v_rcp_f32_e32 v92, v89
	s_barrier
	v_fma_f32 v93, -v89, v92, 1.0
	v_fmac_f32_e32 v92, v93, v92
	v_div_scale_f32 v93, vcc, 1.0, v88, 1.0
	v_mul_f32_e32 v82, v93, v92
	v_fma_f32 v84, -v89, v82, v93
	v_fmac_f32_e32 v82, v84, v92
	v_fma_f32 v84, -v89, v82, v93
	v_div_fmas_f32 v82, v84, v92, v82
	v_cmp_eq_u32_e32 vcc, 1, v85
	v_cndmask_b32_e32 v84, v94, v95, vcc
	v_cmp_eq_u32_e32 vcc, 2, v85
	v_cndmask_b32_e32 v84, v84, v90, vcc
	v_cmp_eq_u32_e32 vcc, 3, v85
	v_div_fixup_f32 v82, v82, v88, 1.0
	v_cndmask_b32_e32 v84, v84, v91, vcc
	v_mul_f32_e32 v88, v84, v82
	v_pk_mul_f32 v[78:79], v[88:89], v[78:79] op_sel_hi:[0,1]
	v_cvt_f16_f32_e32 v78, v78
	v_cvt_f16_f32_e32 v79, v79
	v_pk_mul_f32 v[68:69], v[88:89], v[68:69] op_sel_hi:[0,1]
	v_cvt_f16_f32_e32 v68, v68
	v_cvt_f16_f32_e32 v69, v69
	v_pack_b32_f16 v91, v78, v79
	v_pk_mul_f32 v[78:79], v[88:89], v[80:81] op_sel_hi:[0,1]
	v_pk_mul_f32 v[70:71], v[88:89], v[70:71] op_sel_hi:[0,1]
	v_cvt_f16_f32_e32 v70, v70
	v_cvt_f16_f32_e32 v71, v71
	;; [unrolled: 1-line block ×4, first 2 shown]
	v_pack_b32_f16 v90, v68, v69
	v_lshlrev_b32_e32 v69, 3, v1
	v_lshlrev_b32_e32 v68, 5, v83
	;; [unrolled: 1-line block ×3, first 2 shown]
	v_or3_b32 v78, v78, v68, v69
	v_pack_b32_f16 v70, v70, v71
	v_pack_b32_f16 v71, v80, v79
	ds_write2st64_b64 v78, v[90:91], v[70:71] offset1:1
	v_pk_mul_f32 v[70:71], v[88:89], v[76:77] op_sel_hi:[0,1]
	v_pk_mul_f32 v[74:75], v[88:89], v[74:75] op_sel_hi:[0,1]
	v_cvt_f16_f32_e32 v69, v74
	v_cvt_f16_f32_e32 v74, v75
	;; [unrolled: 1-line block ×4, first 2 shown]
	v_pk_mul_f32 v[66:67], v[88:89], v[66:67] op_sel_hi:[0,1]
	v_pk_mul_f32 v[70:71], v[88:89], v[72:73] op_sel_hi:[0,1]
	v_cvt_f16_f32_e32 v70, v70
	v_cvt_f16_f32_e32 v71, v71
	v_cvt_f16_f32_e32 v72, v66
	v_cvt_f16_f32_e32 v73, v67
	v_pack_b32_f16 v66, v69, v74
	v_pack_b32_f16 v67, v75, v76
	v_pack_b32_f16 v70, v70, v71
	v_pack_b32_f16 v71, v72, v73
	v_cmp_gt_u32_e32 vcc, 12, v0
	ds_write2st64_b64 v78, v[66:67], v[70:71] offset0:2 offset1:3
	s_and_saveexec_b64 s[0:1], vcc
	s_cbranch_execz .LBB143_15
; %bb.14:
	v_add_co_u32_e32 v70, vcc, s27, v83
	v_addc_co_u32_e64 v71, s[12:13], 0, 0, vcc
	v_mov_b32_e32 v66, s3
	v_mov_b32_e32 v67, 0
	v_mad_u64_u32 v[70:71], s[12:13], s6, v66, v[70:71]
	v_mov_b32_e32 v66, s26
	s_load_dwordx4 s[8:11], s[4:5], 0x58
	s_mul_i32 s7, s7, s3
	v_mad_u64_u32 v[66:67], s[12:13], v70, s2, v[66:67]
	v_add_u32_e32 v69, s7, v71
	v_mov_b32_e32 v70, v67
	v_mad_u64_u32 v[70:71], s[12:13], v69, s2, v[70:71]
	v_mov_b32_e32 v67, v70
	v_lshlrev_b64 v[66:67], 2, v[66:67]
	s_waitcnt lgkmcnt(0)
	v_mov_b32_e32 v69, s11
	v_add_co_u32_e32 v70, vcc, s10, v66
	v_addc_co_u32_e32 v71, vcc, v69, v67, vcc
	v_mov_b32_e32 v69, s9
	v_add_co_u32_e32 v66, vcc, s8, v66
	v_addc_co_u32_e32 v67, vcc, v69, v67, vcc
	global_store_dword v[70:71], v86, off
	global_store_dword v[66:67], v87, off
.LBB143_15:
	s_or_b64 exec, exec, s[0:1]
	v_lshl_or_b32 v79, v1, 9, v68
	s_waitcnt lgkmcnt(0)
	s_barrier
	ds_read_b128 v[70:73], v79
	ds_read_b128 v[66:69], v79 offset:16
	s_waitcnt vmcnt(15) lgkmcnt(1)
	v_mfma_f32_16x16x16f16 v[74:77], v[46:47], v[70:71], 0
	s_mov_b32 s1, 0
	v_cmp_gt_u32_e32 vcc, 64, v0
	v_mfma_f32_16x16x16f16 v[46:49], v[48:49], v[72:73], v[74:77]
	s_waitcnt vmcnt(14) lgkmcnt(0)
	v_mfma_f32_16x16x16f16 v[46:49], v[42:43], v[66:67], v[46:49]
	v_mfma_f32_16x16x16f16 v[42:45], v[44:45], v[68:69], v[46:49]
	s_nop 7
	s_nop 1
	ds_read_b128 v[46:49], v79 offset:2048
	ds_read_b128 v[74:77], v79 offset:2064
	s_waitcnt vmcnt(13) lgkmcnt(1)
	v_mfma_f32_16x16x16f16 v[42:45], v[38:39], v[46:47], v[42:45]
	v_mfma_f32_16x16x16f16 v[38:41], v[40:41], v[48:49], v[42:45]
	s_waitcnt vmcnt(12) lgkmcnt(0)
	v_mfma_f32_16x16x16f16 v[38:41], v[34:35], v[74:75], v[38:41]
	v_mfma_f32_16x16x16f16 v[34:37], v[36:37], v[76:77], v[38:41]
	s_nop 7
	s_nop 1
	ds_read_b128 v[38:41], v79 offset:4096
	ds_read_b128 v[42:45], v79 offset:4112
	s_waitcnt vmcnt(11) lgkmcnt(1)
	v_mfma_f32_16x16x16f16 v[34:37], v[30:31], v[38:39], v[34:37]
	v_mfma_f32_16x16x16f16 v[30:33], v[32:33], v[40:41], v[34:37]
	s_waitcnt vmcnt(10) lgkmcnt(0)
	v_mfma_f32_16x16x16f16 v[30:33], v[26:27], v[42:43], v[30:33]
	v_mfma_f32_16x16x16f16 v[26:29], v[28:29], v[44:45], v[30:33]
	s_nop 7
	s_nop 1
	ds_read_b128 v[30:33], v79 offset:6144
	ds_read_b128 v[34:37], v79 offset:6160
	s_waitcnt lgkmcnt(0)
	s_barrier
	s_waitcnt vmcnt(9)
	v_mfma_f32_16x16x16f16 v[26:29], v[22:23], v[30:31], v[26:29]
	v_mfma_f32_16x16x16f16 v[22:25], v[24:25], v[32:33], v[26:29]
	s_waitcnt vmcnt(8)
	v_mfma_f32_16x16x16f16 v[22:25], v[18:19], v[34:35], v[22:25]
	v_mfma_f32_16x16x16f16 v[18:21], v[20:21], v[36:37], v[22:25]
	;; [unrolled: 3-line block ×4, first 2 shown]
	s_waitcnt vmcnt(5)
	v_mfma_f32_16x16x16f16 v[2:5], v[14:15], v[46:47], v[2:5]
	s_nop 7
	v_cvt_f16_f32_e32 v6, v18
	v_cvt_f16_f32_e32 v7, v19
	;; [unrolled: 1-line block ×4, first 2 shown]
	v_mfma_f32_16x16x16f16 v[2:5], v[16:17], v[48:49], v[2:5]
	s_waitcnt vmcnt(4)
	v_mfma_f32_16x16x16f16 v[2:5], v[10:11], v[74:75], v[2:5]
	v_mfma_f32_16x16x16f16 v[2:5], v[12:13], v[76:77], v[2:5]
	s_waitcnt vmcnt(3)
	v_mfma_f32_16x16x16f16 v[2:5], v[54:55], v[38:39], v[2:5]
	v_mfma_f32_16x16x16f16 v[2:5], v[56:57], v[40:41], v[2:5]
	s_waitcnt vmcnt(2)
	v_mfma_f32_16x16x16f16 v[2:5], v[50:51], v[42:43], v[2:5]
	v_mfma_f32_16x16x16f16 v[2:5], v[52:53], v[44:45], v[2:5]
	s_waitcnt vmcnt(1)
	v_mfma_f32_16x16x16f16 v[2:5], v[62:63], v[30:31], v[2:5]
	v_mfma_f32_16x16x16f16 v[2:5], v[64:65], v[32:33], v[2:5]
	s_waitcnt vmcnt(0)
	v_mfma_f32_16x16x16f16 v[2:5], v[58:59], v[34:35], v[2:5]
	v_mfma_f32_16x16x16f16 v[2:5], v[60:61], v[36:37], v[2:5]
	s_nop 7
	s_nop 2
	v_cvt_f16_f32_e32 v10, v2
	v_cvt_f16_f32_e32 v11, v3
	;; [unrolled: 1-line block ×4, first 2 shown]
	v_pack_b32_f16 v2, v6, v7
	v_pack_b32_f16 v3, v8, v9
	;; [unrolled: 1-line block ×4, first 2 shown]
	ds_write2st64_b64 v78, v[2:3], v[4:5] offset1:1
	s_waitcnt lgkmcnt(0)
	s_barrier
	s_and_saveexec_b64 s[8:9], vcc
	s_cbranch_execz .LBB143_17
; %bb.16:
	v_lshlrev_b32_e32 v4, 6, v83
	v_lshlrev_b32_e32 v3, 4, v0
	v_lshl_or_b32 v0, v0, 10, v4
	v_lshlrev_b32_e32 v2, 5, v1
	v_and_b32_e32 v3, 16, v3
	v_and_b32_e32 v0, 0x1a00, v0
	v_or3_b32 v0, v0, v2, v3
	ds_read_b128 v[2:5], v0
	ds_read_b128 v[6:9], v0 offset:128
	ds_read_b128 v[10:13], v0 offset:256
	v_or_b32_e32 v14, s27, v1
	buffer_load_dword v1, off, s[44:47], 0  ; 4-byte Folded Reload
	s_load_dwordx2 s[4:5], s[4:5], 0x68
	s_lshl_b32 s7, s2, 7
	s_mul_i32 s0, s3, s6
	s_mul_hi_u32 s3, s0, s7
	s_mul_i32 s2, s0, s7
	s_lshl_b64 s[2:3], s[2:3], 1
	s_waitcnt lgkmcnt(0)
	s_add_u32 s2, s4, s2
	s_addc_u32 s3, s5, s3
	s_lshl_b32 s0, s26, 7
	s_lshl_b64 s[0:1], s[0:1], 1
	s_add_u32 s0, s2, s0
	s_addc_u32 s1, s3, s1
	v_mov_b32_e32 v0, s1
	s_waitcnt vmcnt(0)
	v_add_co_u32_e32 v15, vcc, s0, v1
	v_addc_co_u32_e32 v16, vcc, 0, v0, vcc
	v_mad_u64_u32 v[0:1], s[0:1], v14, s7, 0
	v_lshlrev_b64 v[0:1], 1, v[0:1]
	v_add_co_u32_e32 v0, vcc, v15, v0
	v_addc_co_u32_e32 v1, vcc, v16, v1, vcc
	global_store_dwordx4 v[0:1], v[2:5], off
	v_add_u32_e32 v0, 4, v14
	v_mad_u64_u32 v[0:1], s[0:1], v0, s7, 0
	v_lshlrev_b64 v[0:1], 1, v[0:1]
	v_add_co_u32_e32 v0, vcc, v15, v0
	v_addc_co_u32_e32 v1, vcc, v16, v1, vcc
	global_store_dwordx4 v[0:1], v[6:9], off
	v_add_u32_e32 v0, 8, v14
	v_mad_u64_u32 v[0:1], s[0:1], v0, s7, 0
	v_lshlrev_b64 v[0:1], 1, v[0:1]
	v_add_co_u32_e32 v0, vcc, v15, v0
	v_addc_co_u32_e32 v1, vcc, v16, v1, vcc
	global_store_dwordx4 v[0:1], v[10:13], off
.LBB143_17:
	s_endpgm
	.section	.rodata,"a",@progbits
	.p2align	6, 0x0
	.amdhsa_kernel _Z39paged_attention_ll4mi_QKV_mfma16_kernelIDF16_DF16_LN4vllm18Fp8KVCacheDataTypeE0EDF16_Li16ELi128ELi256ELb0ELi12EL8MFMAType0EEvPKT_PKT0_S8_ifPKiSA_SA_iPKfiiiPfSD_PS3_PT2_iSC_SC_
		.amdhsa_group_segment_fixed_size 8192
		.amdhsa_private_segment_fixed_size 8
		.amdhsa_kernarg_size 400
		.amdhsa_user_sgpr_count 6
		.amdhsa_user_sgpr_private_segment_buffer 1
		.amdhsa_user_sgpr_dispatch_ptr 0
		.amdhsa_user_sgpr_queue_ptr 0
		.amdhsa_user_sgpr_kernarg_segment_ptr 1
		.amdhsa_user_sgpr_dispatch_id 0
		.amdhsa_user_sgpr_flat_scratch_init 0
		.amdhsa_user_sgpr_kernarg_preload_length 0
		.amdhsa_user_sgpr_kernarg_preload_offset 0
		.amdhsa_user_sgpr_private_segment_size 0
		.amdhsa_uses_dynamic_stack 0
		.amdhsa_system_sgpr_private_segment_wavefront_offset 1
		.amdhsa_system_sgpr_workgroup_id_x 1
		.amdhsa_system_sgpr_workgroup_id_y 1
		.amdhsa_system_sgpr_workgroup_id_z 1
		.amdhsa_system_sgpr_workgroup_info 0
		.amdhsa_system_vgpr_workitem_id 0
		.amdhsa_next_free_vgpr 96
		.amdhsa_next_free_sgpr 48
		.amdhsa_accum_offset 96
		.amdhsa_reserve_vcc 1
		.amdhsa_reserve_flat_scratch 0
		.amdhsa_float_round_mode_32 0
		.amdhsa_float_round_mode_16_64 0
		.amdhsa_float_denorm_mode_32 3
		.amdhsa_float_denorm_mode_16_64 3
		.amdhsa_dx10_clamp 1
		.amdhsa_ieee_mode 1
		.amdhsa_fp16_overflow 0
		.amdhsa_tg_split 0
		.amdhsa_exception_fp_ieee_invalid_op 0
		.amdhsa_exception_fp_denorm_src 0
		.amdhsa_exception_fp_ieee_div_zero 0
		.amdhsa_exception_fp_ieee_overflow 0
		.amdhsa_exception_fp_ieee_underflow 0
		.amdhsa_exception_fp_ieee_inexact 0
		.amdhsa_exception_int_div_zero 0
	.end_amdhsa_kernel
	.section	.text._Z39paged_attention_ll4mi_QKV_mfma16_kernelIDF16_DF16_LN4vllm18Fp8KVCacheDataTypeE0EDF16_Li16ELi128ELi256ELb0ELi12EL8MFMAType0EEvPKT_PKT0_S8_ifPKiSA_SA_iPKfiiiPfSD_PS3_PT2_iSC_SC_,"axG",@progbits,_Z39paged_attention_ll4mi_QKV_mfma16_kernelIDF16_DF16_LN4vllm18Fp8KVCacheDataTypeE0EDF16_Li16ELi128ELi256ELb0ELi12EL8MFMAType0EEvPKT_PKT0_S8_ifPKiSA_SA_iPKfiiiPfSD_PS3_PT2_iSC_SC_,comdat
.Lfunc_end143:
	.size	_Z39paged_attention_ll4mi_QKV_mfma16_kernelIDF16_DF16_LN4vllm18Fp8KVCacheDataTypeE0EDF16_Li16ELi128ELi256ELb0ELi12EL8MFMAType0EEvPKT_PKT0_S8_ifPKiSA_SA_iPKfiiiPfSD_PS3_PT2_iSC_SC_, .Lfunc_end143-_Z39paged_attention_ll4mi_QKV_mfma16_kernelIDF16_DF16_LN4vllm18Fp8KVCacheDataTypeE0EDF16_Li16ELi128ELi256ELb0ELi12EL8MFMAType0EEvPKT_PKT0_S8_ifPKiSA_SA_iPKfiiiPfSD_PS3_PT2_iSC_SC_
                                        ; -- End function
	.section	.AMDGPU.csdata,"",@progbits
; Kernel info:
; codeLenInByte = 4604
; NumSgprs: 52
; NumVgprs: 96
; NumAgprs: 0
; TotalNumVgprs: 96
; ScratchSize: 8
; MemoryBound: 0
; FloatMode: 240
; IeeeMode: 1
; LDSByteSize: 8192 bytes/workgroup (compile time only)
; SGPRBlocks: 6
; VGPRBlocks: 11
; NumSGPRsForWavesPerEU: 52
; NumVGPRsForWavesPerEU: 96
; AccumOffset: 96
; Occupancy: 5
; WaveLimiterHint : 1
; COMPUTE_PGM_RSRC2:SCRATCH_EN: 1
; COMPUTE_PGM_RSRC2:USER_SGPR: 6
; COMPUTE_PGM_RSRC2:TRAP_HANDLER: 0
; COMPUTE_PGM_RSRC2:TGID_X_EN: 1
; COMPUTE_PGM_RSRC2:TGID_Y_EN: 1
; COMPUTE_PGM_RSRC2:TGID_Z_EN: 1
; COMPUTE_PGM_RSRC2:TIDIG_COMP_CNT: 0
; COMPUTE_PGM_RSRC3_GFX90A:ACCUM_OFFSET: 23
; COMPUTE_PGM_RSRC3_GFX90A:TG_SPLIT: 0
	.section	.text._Z39paged_attention_ll4mi_QKV_mfma16_kernelIDF16_DF16_LN4vllm18Fp8KVCacheDataTypeE0EDF16_Li16ELi128ELi256ELb0ELi13EL8MFMAType0EEvPKT_PKT0_S8_ifPKiSA_SA_iPKfiiiPfSD_PS3_PT2_iSC_SC_,"axG",@progbits,_Z39paged_attention_ll4mi_QKV_mfma16_kernelIDF16_DF16_LN4vllm18Fp8KVCacheDataTypeE0EDF16_Li16ELi128ELi256ELb0ELi13EL8MFMAType0EEvPKT_PKT0_S8_ifPKiSA_SA_iPKfiiiPfSD_PS3_PT2_iSC_SC_,comdat
	.protected	_Z39paged_attention_ll4mi_QKV_mfma16_kernelIDF16_DF16_LN4vllm18Fp8KVCacheDataTypeE0EDF16_Li16ELi128ELi256ELb0ELi13EL8MFMAType0EEvPKT_PKT0_S8_ifPKiSA_SA_iPKfiiiPfSD_PS3_PT2_iSC_SC_ ; -- Begin function _Z39paged_attention_ll4mi_QKV_mfma16_kernelIDF16_DF16_LN4vllm18Fp8KVCacheDataTypeE0EDF16_Li16ELi128ELi256ELb0ELi13EL8MFMAType0EEvPKT_PKT0_S8_ifPKiSA_SA_iPKfiiiPfSD_PS3_PT2_iSC_SC_
	.globl	_Z39paged_attention_ll4mi_QKV_mfma16_kernelIDF16_DF16_LN4vllm18Fp8KVCacheDataTypeE0EDF16_Li16ELi128ELi256ELb0ELi13EL8MFMAType0EEvPKT_PKT0_S8_ifPKiSA_SA_iPKfiiiPfSD_PS3_PT2_iSC_SC_
	.p2align	8
	.type	_Z39paged_attention_ll4mi_QKV_mfma16_kernelIDF16_DF16_LN4vllm18Fp8KVCacheDataTypeE0EDF16_Li16ELi128ELi256ELb0ELi13EL8MFMAType0EEvPKT_PKT0_S8_ifPKiSA_SA_iPKfiiiPfSD_PS3_PT2_iSC_SC_,@function
_Z39paged_attention_ll4mi_QKV_mfma16_kernelIDF16_DF16_LN4vllm18Fp8KVCacheDataTypeE0EDF16_Li16ELi128ELi256ELb0ELi13EL8MFMAType0EEvPKT_PKT0_S8_ifPKiSA_SA_iPKfiiiPfSD_PS3_PT2_iSC_SC_: ; @_Z39paged_attention_ll4mi_QKV_mfma16_kernelIDF16_DF16_LN4vllm18Fp8KVCacheDataTypeE0EDF16_Li16ELi128ELi256ELb0ELi13EL8MFMAType0EEvPKT_PKT0_S8_ifPKiSA_SA_iPKfiiiPfSD_PS3_PT2_iSC_SC_
; %bb.0:
	s_mov_b64 s[46:47], s[2:3]
	s_mov_b64 s[44:45], s[0:1]
	s_load_dwordx2 s[0:1], s[4:5], 0x30
	s_add_u32 s44, s44, s9
	s_addc_u32 s45, s45, 0
	s_mov_b32 s26, s7
	s_mov_b64 s[10:11], 0
	s_waitcnt lgkmcnt(0)
	s_cmp_lg_u64 s[0:1], 0
	s_cselect_b64 s[2:3], -1, 0
	s_and_b64 vcc, exec, s[2:3]
	s_cbranch_vccz .LBB144_7
; %bb.1:
	s_add_i32 s12, s6, 1
	s_mov_b32 s13, 0
	s_lshl_b64 s[14:15], s[12:13], 2
	s_add_u32 s14, s0, s14
	s_mov_b32 s7, s13
	s_addc_u32 s15, s1, s15
	s_lshl_b64 s[12:13], s[6:7], 2
	s_add_u32 s12, s0, s12
	s_addc_u32 s13, s1, s13
	s_load_dword s9, s[14:15], 0x0
	s_load_dword s16, s[12:13], 0x0
	s_waitcnt lgkmcnt(0)
	s_sub_i32 s9, s9, s16
	s_cmp_eq_u32 s9, 1
	s_cselect_b64 s[12:13], -1, 0
	s_andn2_b64 vcc, exec, s[10:11]
	s_cbranch_vccnz .LBB144_3
.LBB144_2:
	s_mov_b32 s7, 0
	s_mov_b64 s[12:13], -1
.LBB144_3:
	s_andn2_b64 vcc, exec, s[12:13]
	s_cbranch_vccnz .LBB144_18
; %bb.4:
	s_load_dwordx2 s[12:13], s[4:5], 0x28
	s_lshl_b64 s[10:11], s[6:7], 2
	s_waitcnt lgkmcnt(0)
	s_add_u32 s12, s12, s10
	s_addc_u32 s13, s13, s11
	s_load_dword s38, s[12:13], 0x0
	s_lshl_b32 s9, s26, 8
	s_waitcnt lgkmcnt(0)
	s_cmp_ge_i32 s9, s38
	s_cbranch_scc1 .LBB144_18
; %bb.5:
	s_add_i32 s15, s38, 15
	s_load_dwordx2 s[12:13], s[4:5], 0x20
	s_load_dword s14, s[4:5], 0x38
	s_ashr_i32 s16, s15, 31
	v_and_b32_e32 v1, 0xcf, v0
	s_lshr_b32 s16, s16, 28
	v_add_u32_e32 v1, s9, v1
	s_add_i32 s15, s15, s16
	v_ashrrev_i32_e32 v2, 31, v1
	s_ashr_i32 s18, s15, 4
	v_lshrrev_b32_e32 v6, 28, v2
	s_add_i32 s18, s18, -1
	v_add_u32_e32 v2, v1, v6
	s_waitcnt lgkmcnt(0)
	s_mul_i32 s14, s6, s14
	s_mov_b32 s15, 0
	v_ashrrev_i32_e32 v2, 4, v2
	v_mov_b32_e32 v7, s18
	v_cmp_gt_i32_e32 vcc, s38, v1
	s_lshl_b64 s[14:15], s[14:15], 2
	v_cndmask_b32_e32 v2, v7, v2, vcc
	s_add_u32 s16, s12, s14
	v_ashrrev_i32_e32 v3, 31, v2
	s_addc_u32 s17, s13, s15
	v_lshlrev_b64 v[2:3], 2, v[2:3]
	v_mov_b32_e32 v5, s17
	v_add_co_u32_e32 v4, vcc, s16, v2
	v_or_b32_e32 v2, 16, v1
	v_addc_co_u32_e32 v5, vcc, v5, v3, vcc
	v_add_u32_e32 v3, v2, v6
	v_ashrrev_i32_e32 v3, 4, v3
	v_cmp_gt_i32_e32 vcc, s38, v2
	v_cndmask_b32_e32 v2, v7, v3, vcc
	v_ashrrev_i32_e32 v3, 31, v2
	v_lshlrev_b64 v[2:3], 2, v[2:3]
	v_mov_b32_e32 v9, s17
	v_add_co_u32_e32 v8, vcc, s16, v2
	v_or_b32_e32 v2, 32, v1
	v_addc_co_u32_e32 v9, vcc, v9, v3, vcc
	v_add_u32_e32 v3, v2, v6
	v_ashrrev_i32_e32 v3, 4, v3
	v_cmp_gt_i32_e32 vcc, s38, v2
	v_cndmask_b32_e32 v2, v7, v3, vcc
	v_ashrrev_i32_e32 v3, 31, v2
	;; [unrolled: 10-line block ×3, first 2 shown]
	v_lshlrev_b64 v[2:3], 2, v[2:3]
	v_mov_b32_e32 v1, s17
	v_add_co_u32_e32 v12, vcc, s16, v2
	v_addc_co_u32_e32 v13, vcc, v1, v3, vcc
	global_load_dword v3, v[4:5], off
	global_load_dword v2, v[8:9], off
	;; [unrolled: 1-line block ×4, first 2 shown]
	s_load_dwordx4 s[12:15], s[4:5], 0x8
	s_andn2_b64 vcc, exec, s[2:3]
	s_cbranch_vccnz .LBB144_8
; %bb.6:
	s_add_u32 s0, s0, s10
	s_addc_u32 s1, s1, s11
	s_load_dword s19, s[0:1], 0x0
	s_branch .LBB144_9
.LBB144_7:
	s_mov_b64 s[12:13], 0
	s_branch .LBB144_2
.LBB144_8:
	s_mov_b32 s19, s6
.LBB144_9:
	s_load_dwordx4 s[0:3], s[4:5], 0x48
	v_lshrrev_b32_e32 v85, 6, v0
	v_bfe_u32 v1, v0, 4, 2
	v_and_b32_e32 v83, 15, v0
	v_lshl_or_b32 v4, v85, 2, v1
	v_lshlrev_b32_e32 v5, 3, v83
	v_and_b32_e32 v86, 63, v0
	s_mul_i32 s27, s8, 13
	v_cmp_gt_u32_e32 vcc, 13, v4
	v_lshlrev_b32_e32 v5, 1, v5
	buffer_store_dword v5, off, s[44:47], 0 ; 4-byte Folded Spill
	s_and_saveexec_b64 s[10:11], vcc
	s_cbranch_execz .LBB144_11
; %bb.10:
	s_load_dwordx2 s[20:21], s[4:5], 0x0
	s_waitcnt lgkmcnt(0)
	s_ashr_i32 s3, s0, 31
	s_mul_hi_u32 s22, s19, s0
	s_mul_i32 s3, s19, s3
	s_add_i32 s23, s22, s3
	s_mul_i32 s22, s19, s0
	v_add_lshl_u32 v8, v4, s27, 7
	s_lshl_b64 s[22:23], s[22:23], 1
	v_ashrrev_i32_e32 v9, 31, v8
	s_add_u32 s0, s20, s22
	v_lshlrev_b64 v[8:9], 1, v[8:9]
	v_add_co_u32_e32 v7, vcc, s0, v8
	buffer_load_dword v8, off, s[44:47], 0  ; 4-byte Folded Reload
	s_addc_u32 s3, s21, s23
	v_mov_b32_e32 v5, s3
	v_addc_co_u32_e32 v5, vcc, v5, v9, vcc
	v_lshlrev_b32_e32 v4, 5, v4
	s_waitcnt vmcnt(0)
	v_add_co_u32_e32 v8, vcc, v7, v8
	v_addc_co_u32_e32 v9, vcc, 0, v5, vcc
	global_load_dwordx4 v[8:11], v[8:9], off
	v_and_b32_e32 v5, 3, v0
	v_lshlrev_b32_e32 v7, 9, v83
	v_lshlrev_b32_e32 v5, 9, v5
	v_and_b32_e32 v7, 0x1800, v7
	v_or3_b32 v4, v7, v5, v4
	s_waitcnt vmcnt(0)
	ds_write_b128 v4, v[8:11]
.LBB144_11:
	s_or_b64 exec, exec, s[10:11]
	s_waitcnt lgkmcnt(0)
	s_mul_i32 s2, s8, s2
	s_mov_b32 s3, 0
	s_lshl_b64 s[2:3], s[2:3], 1
	s_add_u32 s8, s12, s2
	v_lshlrev_b32_e32 v7, 4, v0
	s_addc_u32 s10, s13, s3
	v_and_b32_e32 v4, 0xf0, v7
	v_mov_b32_e32 v5, s10
	v_add_co_u32_e32 v29, vcc, s8, v4
	v_addc_co_u32_e32 v30, vcc, 0, v5, vcc
	s_waitcnt vmcnt(4)
	v_mad_i64_i32 v[4:5], s[10:11], v3, s1, 0
	v_lshlrev_b64 v[4:5], 1, v[4:5]
	v_add_co_u32_e32 v3, vcc, v29, v4
	v_addc_co_u32_e32 v4, vcc, v30, v5, vcc
	v_and_b32_e32 v31, 0x300, v7
	v_add_co_u32_e32 v22, vcc, v3, v31
	v_addc_co_u32_e32 v23, vcc, 0, v4, vcc
	s_load_dword s33, s[4:5], 0x98
	s_load_dword s0, s[4:5], 0x1c
	s_waitcnt lgkmcnt(0)
	s_barrier
	global_load_dwordx4 v[10:13], v[22:23], off
	global_load_dwordx4 v[18:21], v[22:23], off offset:1024
	s_waitcnt vmcnt(5)
	v_mad_i64_i32 v[2:3], s[10:11], v2, s1, 0
	v_lshlrev_b64 v[2:3], 1, v[2:3]
	v_add_co_u32_e32 v2, vcc, v29, v2
	v_addc_co_u32_e32 v3, vcc, v30, v3, vcc
	v_add_co_u32_e32 v24, vcc, v2, v31
	v_addc_co_u32_e32 v25, vcc, 0, v3, vcc
	global_load_dwordx4 v[14:17], v[24:25], off
	global_load_dwordx4 v[38:41], v[24:25], off offset:1024
	v_add_u32_e32 v2, -13, v83
	v_cmp_gt_u32_e32 vcc, 13, v83
	v_cndmask_b32_e32 v2, v2, v83, vcc
	v_lshlrev_b32_e32 v2, 5, v2
	v_lshl_add_u32 v32, v1, 9, v2
	ds_read_b128 v[2:5], v32
	s_waitcnt vmcnt(6)
	v_mad_i64_i32 v[6:7], s[10:11], v6, s1, 0
	v_lshlrev_b64 v[26:27], 1, v[6:7]
	ds_read_b128 v[6:9], v32 offset:2048
	v_and_or_b32 v62, v0, 48, s9
	v_mov_b32_e32 v63, s18
	v_mov_b32_e32 v68, s17
	s_add_u32 s8, s14, s2
	v_lshl_or_b32 v87, v85, 4, v83
	v_lshlrev_b32_e32 v76, 5, v87
	s_mov_b32 s40, 0xff7fffff
	s_waitcnt vmcnt(3) lgkmcnt(1)
	v_mfma_f32_16x16x16f16 v[34:37], v[10:11], v[2:3], 0
	v_add_co_u32_e32 v10, vcc, v29, v26
	v_addc_co_u32_e32 v11, vcc, v30, v27, vcc
	v_add_co_u32_e32 v26, vcc, v10, v31
	v_addc_co_u32_e32 v27, vcc, 0, v11, vcc
	global_load_dwordx4 v[46:49], v[26:27], off
	global_load_dwordx4 v[58:61], v[26:27], off offset:1024
	s_waitcnt vmcnt(3)
	v_mfma_f32_16x16x16f16 v[42:45], v[14:15], v[2:3], 0
	v_cmp_gt_i32_e32 vcc, s38, v62
	v_mfma_f32_16x16x16f16 v[14:17], v[16:17], v[4:5], v[42:45]
	s_nop 7
	s_nop 0
	global_load_dwordx4 v[42:45], v[22:23], off offset:2048
	v_mfma_f32_16x16x16f16 v[10:13], v[12:13], v[4:5], v[34:37]
	s_waitcnt vmcnt(3) lgkmcnt(0)
	v_mfma_f32_16x16x16f16 v[14:17], v[38:39], v[6:7], v[14:17]
	v_mfma_f32_16x16x16f16 v[10:13], v[18:19], v[6:7], v[10:13]
	;; [unrolled: 1-line block ×3, first 2 shown]
	global_load_dwordx4 v[38:41], v[22:23], off offset:3072
	v_mfma_f32_16x16x16f16 v[18:21], v[20:21], v[8:9], v[10:13]
	s_waitcnt vmcnt(3)
	v_mfma_f32_16x16x16f16 v[50:53], v[46:47], v[2:3], 0
	v_mfma_f32_16x16x16f16 v[34:37], v[48:49], v[4:5], v[50:53]
	global_load_dwordx4 v[46:49], v[24:25], off offset:2048
	s_nop 3
	ds_read_b128 v[10:13], v32 offset:4096
	s_nop 3
	ds_read_b128 v[50:53], v32 offset:6144
	global_load_dwordx4 v[22:25], v[24:25], off offset:3072
	v_mad_i64_i32 v[32:33], s[10:11], v28, s1, 0
	v_mov_b32_e32 v28, s17
	s_addc_u32 s10, s15, s3
	s_waitcnt vmcnt(3) lgkmcnt(1)
	v_mfma_f32_16x16x16f16 v[18:21], v[42:43], v[10:11], v[18:21]
	v_mfma_f32_16x16x16f16 v[18:21], v[44:45], v[12:13], v[18:21]
	global_load_dwordx4 v[42:45], v[26:27], off offset:2048
	s_waitcnt vmcnt(3) lgkmcnt(0)
	v_mfma_f32_16x16x16f16 v[18:21], v[38:39], v[50:51], v[18:21]
	v_or_b32_e32 v38, 64, v62
	v_ashrrev_i32_e32 v39, 4, v38
	v_mfma_f32_16x16x16f16 v[54:57], v[40:41], v[52:53], v[18:21]
	s_waitcnt vmcnt(2)
	v_mfma_f32_16x16x16f16 v[14:17], v[46:47], v[10:11], v[14:17]
	v_mfma_f32_16x16x16f16 v[14:17], v[48:49], v[12:13], v[14:17]
	global_load_dwordx4 v[46:49], v[26:27], off offset:3072
	v_lshlrev_b64 v[26:27], 1, v[32:33]
	v_ashrrev_i32_e32 v32, 4, v62
	v_cndmask_b32_e32 v32, v63, v32, vcc
	v_ashrrev_i32_e32 v33, 31, v32
	v_cmp_gt_i32_e32 vcc, s38, v38
	v_cndmask_b32_e32 v38, v63, v39, vcc
	s_waitcnt vmcnt(2)
	v_mfma_f32_16x16x16f16 v[14:17], v[22:23], v[50:51], v[14:17]
	v_lshlrev_b64 v[22:23], 2, v[32:33]
	v_add_co_u32_e32 v22, vcc, s16, v22
	v_addc_co_u32_e32 v23, vcc, v28, v23, vcc
	v_add_co_u32_e32 v18, vcc, v29, v26
	v_addc_co_u32_e32 v19, vcc, v30, v27, vcc
	v_add_co_u32_e32 v26, vcc, v18, v31
	v_addc_co_u32_e32 v27, vcc, 0, v19, vcc
	v_mfma_f32_16x16x16f16 v[64:67], v[24:25], v[52:53], v[14:17]
	global_load_dword v30, v[22:23], off
	v_ashrrev_i32_e32 v39, 31, v38
	v_lshlrev_b64 v[32:33], 2, v[38:39]
	v_add_co_u32_e32 v18, vcc, s16, v32
	v_addc_co_u32_e32 v19, vcc, v68, v33, vcc
	s_nop 1
	global_load_dwordx4 v[14:17], v[26:27], off
	global_load_dword v31, v[18:19], off
	s_nop 0
	global_load_dwordx4 v[18:21], v[26:27], off offset:1024
	global_load_dwordx4 v[68:71], v[26:27], off offset:2048
	;; [unrolled: 1-line block ×3, first 2 shown]
	v_mfma_f32_16x16x16f16 v[22:25], v[58:59], v[6:7], v[34:37]
	v_or_b32_e32 v28, 0x80, v62
	v_ashrrev_i32_e32 v29, 4, v28
	v_cmp_gt_i32_e32 vcc, s38, v28
	v_cndmask_b32_e32 v28, v63, v29, vcc
	v_ashrrev_i32_e32 v29, 31, v28
	v_lshlrev_b64 v[28:29], 2, v[28:29]
	v_mov_b32_e32 v32, s17
	v_mfma_f32_16x16x16f16 v[22:25], v[60:61], v[8:9], v[22:25]
	v_add_co_u32_e32 v28, vcc, s16, v28
	v_addc_co_u32_e32 v29, vcc, v32, v29, vcc
	global_load_dword v32, v[28:29], off
	v_or_b32_e32 v28, 0xc0, v62
	v_ashrrev_i32_e32 v29, 4, v28
	v_cmp_gt_i32_e32 vcc, s38, v28
	v_cndmask_b32_e32 v28, v63, v29, vcc
	v_ashrrev_i32_e32 v29, 31, v28
	v_lshlrev_b64 v[28:29], 2, v[28:29]
	s_waitcnt vmcnt(8)
	v_mfma_f32_16x16x16f16 v[22:25], v[42:43], v[10:11], v[22:25]
	v_mov_b32_e32 v33, s17
	v_add_co_u32_e32 v28, vcc, s16, v28
	v_addc_co_u32_e32 v29, vcc, v33, v29, vcc
	global_load_dword v58, v[28:29], off
	v_mov_b32_e32 v26, s10
	v_mfma_f32_16x16x16f16 v[22:25], v[44:45], v[12:13], v[22:25]
	v_add_co_u32_e32 v77, vcc, s8, v76
	v_addc_co_u32_e32 v78, vcc, 0, v26, vcc
	v_pk_mul_f32 v[80:81], s[0:1], v[66:67] op_sel_hi:[0,1]
	s_waitcnt vmcnt(8)
	v_mfma_f32_16x16x16f16 v[22:25], v[46:47], v[50:51], v[22:25]
	v_mfma_f32_16x16x16f16 v[72:75], v[48:49], v[52:53], v[22:25]
	s_waitcnt vmcnt(7)
	s_nop 7
	s_nop 0
	v_mad_i64_i32 v[22:23], s[2:3], v30, s1, 0
	v_lshlrev_b64 v[62:63], 1, v[22:23]
	s_waitcnt vmcnt(6)
	v_mfma_f32_16x16x16f16 v[22:25], v[14:15], v[2:3], 0
	v_add_co_u32_e32 v2, vcc, v77, v62
	v_addc_co_u32_e32 v3, vcc, v78, v63, vcc
	global_load_dwordx4 v[46:49], v[2:3], off
	global_load_dwordx4 v[42:45], v[2:3], off offset:16
	s_waitcnt vmcnt(7)
	v_mad_i64_i32 v[2:3], s[2:3], v31, s1, 0
	v_lshlrev_b64 v[14:15], 1, v[2:3]
	v_mfma_f32_16x16x16f16 v[2:5], v[16:17], v[4:5], v[22:25]
	v_add_co_u32_e32 v16, vcc, v77, v14
	v_addc_co_u32_e32 v17, vcc, v78, v15, vcc
	global_load_dwordx4 v[38:41], v[16:17], off
	global_load_dwordx4 v[34:37], v[16:17], off offset:16
	s_waitcnt vmcnt(5)
	v_mad_i64_i32 v[16:17], s[2:3], v32, s1, 0
	v_mfma_f32_16x16x16f16 v[2:5], v[18:19], v[6:7], v[2:5]
	v_lshlrev_b64 v[60:61], 1, v[16:17]
	v_add_co_u32_e32 v6, vcc, v77, v60
	v_addc_co_u32_e32 v7, vcc, v78, v61, vcc
	global_load_dwordx4 v[30:33], v[6:7], off
	global_load_dwordx4 v[26:29], v[6:7], off offset:16
	s_waitcnt vmcnt(6)
	v_mad_i64_i32 v[6:7], s[2:3], v58, s1, 0
	v_mfma_f32_16x16x16f16 v[2:5], v[20:21], v[8:9], v[2:5]
	v_lshlrev_b64 v[58:59], 1, v[6:7]
	v_add_co_u32_e32 v6, vcc, v77, v58
	v_addc_co_u32_e32 v7, vcc, v78, v59, vcc
	global_load_dwordx4 v[22:25], v[6:7], off
	global_load_dwordx4 v[18:21], v[6:7], off offset:16
	v_or_b32_e32 v6, 0x800, v76
	v_mfma_f32_16x16x16f16 v[2:5], v[68:69], v[10:11], v[2:5]
	v_mov_b32_e32 v7, s10
	v_add_co_u32_e32 v68, vcc, s8, v6
	v_addc_co_u32_e32 v69, vcc, 0, v7, vcc
	v_pk_mul_f32 v[76:77], s[0:1], v[74:75] op_sel_hi:[0,1]
	v_pk_mul_f32 v[74:75], s[0:1], v[72:73] op_sel_hi:[0,1]
	v_mfma_f32_16x16x16f16 v[10:13], v[70:71], v[12:13], v[2:5]
	v_pk_mul_f32 v[78:79], s[0:1], v[56:57] op_sel_hi:[0,1]
	v_pk_mul_f32 v[70:71], s[0:1], v[64:65] op_sel_hi:[0,1]
	v_mfma_f32_16x16x16f16 v[92:95], v[88:89], v[50:51], v[10:13]
	s_nop 3
	v_add_co_u32_e32 v2, vcc, v68, v62
	v_addc_co_u32_e32 v3, vcc, v69, v63, vcc
	v_add_co_u32_e32 v62, vcc, v68, v14
	v_addc_co_u32_e32 v63, vcc, v69, v15, vcc
	v_mfma_f32_16x16x16f16 v[50:53], v[90:91], v[52:53], v[92:95]
	global_load_dwordx4 v[6:9], v[2:3], off
	s_nop 0
	global_load_dwordx4 v[2:5], v[2:3], off offset:16
	s_nop 0
	global_load_dwordx4 v[14:17], v[62:63], off
	global_load_dwordx4 v[10:13], v[62:63], off offset:16
	v_pk_mul_f32 v[62:63], s[0:1], v[54:55] op_sel_hi:[0,1]
	s_nop 3
	v_pk_mul_f32 v[72:73], s[0:1], v[50:51] op_sel_hi:[0,1]
	v_and_b32_e32 v50, 0xc0, v0
	v_add_u32_e32 v50, s9, v50
	v_lshl_or_b32 v50, v1, 2, v50
	v_pk_mul_f32 v[66:67], s[0:1], v[52:53] op_sel_hi:[0,1]
	v_or_b32_e32 v53, 1, v50
	v_mov_b32_e32 v51, 0xff7fffff
	v_cmp_gt_i32_e64 s[28:29], s38, v50
	v_cmp_gt_i32_e64 s[30:31], s38, v53
	v_cndmask_b32_e64 v52, v51, v62, s[28:29]
	v_cndmask_b32_e64 v53, v51, v63, s[30:31]
	v_max3_f32 v52, v52, s40, v53
	v_or_b32_e32 v53, 2, v50
	v_or_b32_e32 v54, 3, v50
	v_cmp_gt_i32_e64 s[34:35], s38, v53
	v_cmp_gt_i32_e64 s[36:37], s38, v54
	v_cndmask_b32_e64 v53, v51, v78, s[34:35]
	v_cndmask_b32_e64 v54, v51, v79, s[36:37]
	v_max3_f32 v52, v52, v53, v54
	v_or_b32_e32 v53, 16, v50
	v_or_b32_e32 v54, 17, v50
	;; [unrolled: 7-line block ×7, first 2 shown]
	v_cmp_gt_i32_e32 vcc, s38, v53
	v_cmp_gt_i32_e64 s[0:1], s38, v50
	v_cndmask_b32_e32 v53, v51, v66, vcc
	v_cndmask_b32_e64 v50, v51, v67, s[0:1]
	v_max3_f32 v64, v52, v53, v50
	v_mbcnt_lo_u32_b32 v50, -1, 0
	v_mbcnt_hi_u32_b32 v65, -1, v50
	v_and_b32_e32 v50, 64, v65
	v_add_u32_e32 v88, 64, v50
	v_xor_b32_e32 v50, 32, v65
	v_cmp_lt_i32_e64 s[38:39], v50, v88
	v_cndmask_b32_e64 v50, v65, v50, s[38:39]
	v_lshlrev_b32_e32 v89, 2, v50
	ds_bpermute_b32 v90, v89, v64
	v_add_co_u32_e64 v50, s[38:39], v68, v60
	v_addc_co_u32_e64 v51, s[38:39], v69, v61, s[38:39]
	v_xor_b32_e32 v61, 16, v65
	v_cmp_lt_i32_e64 s[38:39], v61, v88
	s_waitcnt lgkmcnt(0)
	v_max_f32_e32 v60, v90, v90
	v_cndmask_b32_e64 v61, v65, v61, s[38:39]
	v_max_f32_e32 v60, v64, v60
	v_lshlrev_b32_e32 v90, 2, v61
	ds_bpermute_b32 v61, v90, v60
	v_add_co_u32_e64 v58, s[38:39], v68, v58
	v_addc_co_u32_e64 v59, s[38:39], v69, v59, s[38:39]
	s_waitcnt lgkmcnt(0)
	v_max_f32_e32 v61, v61, v61
	v_max_f32_e32 v88, v60, v61
	v_sub_f32_e32 v60, v62, v88
	v_mul_f32_e32 v60, 0x3fb8aa3b, v60
	v_exp_f32_e32 v68, v60
	v_sub_f32_e32 v60, v63, v88
	v_mul_f32_e32 v60, 0x3fb8aa3b, v60
	global_load_dwordx4 v[54:57], v[50:51], off
	s_nop 0
	global_load_dwordx4 v[50:53], v[50:51], off offset:16
	v_exp_f32_e32 v69, v60
	global_load_dwordx4 v[62:65], v[58:59], off
	s_nop 0
	global_load_dwordx4 v[58:61], v[58:59], off offset:16
	v_sub_f32_e32 v78, v78, v88
	v_mul_f32_e32 v78, 0x3fb8aa3b, v78
	v_sub_f32_e32 v79, v79, v88
	v_exp_f32_e32 v78, v78
	v_mul_f32_e32 v79, 0x3fb8aa3b, v79
	v_sub_f32_e32 v70, v70, v88
	v_exp_f32_e32 v79, v79
	v_mul_f32_e32 v70, 0x3fb8aa3b, v70
	v_sub_f32_e32 v71, v71, v88
	v_cndmask_b32_e64 v68, 0, v68, s[28:29]
	v_exp_f32_e32 v70, v70
	v_mul_f32_e32 v71, 0x3fb8aa3b, v71
	v_sub_f32_e32 v80, v80, v88
	v_add_f32_e32 v91, 0, v68
	v_cndmask_b32_e64 v69, 0, v69, s[30:31]
	v_exp_f32_e32 v71, v71
	v_mul_f32_e32 v80, 0x3fb8aa3b, v80
	v_sub_f32_e32 v81, v81, v88
	v_add_f32_e32 v91, v91, v69
	;; [unrolled: 5-line block ×10, first 2 shown]
	v_cndmask_b32_e64 v76, 0, v76, s[10:11]
	v_exp_f32_e32 v66, v66
	v_mul_f32_e32 v67, 0x3fb8aa3b, v67
	v_add_f32_e32 v91, v91, v76
	v_cndmask_b32_e64 v77, 0, v77, s[12:13]
	v_exp_f32_e32 v67, v67
	v_add_f32_e32 v91, v91, v77
	v_cndmask_b32_e64 v72, 0, v72, s[2:3]
	v_add_f32_e32 v91, v91, v72
	v_cndmask_b32_e64 v73, 0, v73, s[8:9]
	v_add_f32_e32 v91, v91, v73
	v_cndmask_b32_e32 v66, 0, v66, vcc
	v_add_f32_e32 v91, v91, v66
	v_cndmask_b32_e64 v67, 0, v67, s[0:1]
	v_add_f32_e32 v91, v91, v67
	ds_bpermute_b32 v89, v89, v91
	v_cmp_gt_u32_e64 s[0:1], 16, v86
	s_waitcnt lgkmcnt(0)
	s_barrier
	v_add_f32_e32 v89, v91, v89
	ds_bpermute_b32 v90, v90, v89
	s_and_saveexec_b64 s[2:3], s[0:1]
	s_cbranch_execz .LBB144_13
; %bb.12:
	s_waitcnt lgkmcnt(0)
	v_add_f32_e32 v86, v89, v90
	v_lshlrev_b32_e32 v87, 2, v87
	ds_write2st64_b32 v87, v88, v86 offset1:1
.LBB144_13:
	s_or_b64 exec, exec, s[2:3]
	v_lshlrev_b32_e32 v87, 2, v83
	s_load_dword s8, s[4:5], 0x94
	s_waitcnt lgkmcnt(0)
	s_barrier
	ds_read2_b32 v[88:89], v87 offset1:16
	ds_read2_b32 v[90:91], v87 offset0:32 offset1:48
	ds_read2_b32 v[92:93], v87 offset0:64 offset1:80
	s_mul_i32 s9, s33, 13
	s_waitcnt lgkmcnt(2)
	v_max3_f32 v86, v88, s40, v89
	s_waitcnt lgkmcnt(1)
	v_max3_f32 v86, v86, v90, v91
	v_sub_f32_e32 v88, v88, v86
	v_mul_f32_e32 v88, 0x3fb8aa3b, v88
	v_exp_f32_e32 v94, v88
	v_sub_f32_e32 v88, v89, v86
	v_mul_f32_e32 v88, 0x3fb8aa3b, v88
	v_exp_f32_e32 v95, v88
	;; [unrolled: 3-line block ×3, first 2 shown]
	ds_read2_b32 v[88:89], v87 offset0:96 offset1:112
	v_sub_f32_e32 v87, v91, v86
	v_mul_f32_e32 v87, 0x3fb8aa3b, v87
	v_exp_f32_e32 v91, v87
	s_waitcnt lgkmcnt(1)
	v_fma_f32 v87, v94, v92, 0
	v_fmac_f32_e32 v87, v95, v93
	s_waitcnt lgkmcnt(0)
	v_fmac_f32_e32 v87, v90, v88
	v_fmac_f32_e32 v87, v91, v89
	v_add_f32_e32 v88, 0x358637bd, v87
	v_div_scale_f32 v89, s[2:3], v88, v88, 1.0
	v_rcp_f32_e32 v92, v89
	s_barrier
	v_fma_f32 v93, -v89, v92, 1.0
	v_fmac_f32_e32 v92, v93, v92
	v_div_scale_f32 v93, vcc, 1.0, v88, 1.0
	v_mul_f32_e32 v82, v93, v92
	v_fma_f32 v84, -v89, v82, v93
	v_fmac_f32_e32 v82, v84, v92
	v_fma_f32 v84, -v89, v82, v93
	v_div_fmas_f32 v82, v84, v92, v82
	v_cmp_eq_u32_e32 vcc, 1, v85
	v_cndmask_b32_e32 v84, v94, v95, vcc
	v_cmp_eq_u32_e32 vcc, 2, v85
	v_cndmask_b32_e32 v84, v84, v90, vcc
	v_cmp_eq_u32_e32 vcc, 3, v85
	v_div_fixup_f32 v82, v82, v88, 1.0
	v_cndmask_b32_e32 v84, v84, v91, vcc
	v_mul_f32_e32 v88, v84, v82
	v_pk_mul_f32 v[78:79], v[88:89], v[78:79] op_sel_hi:[0,1]
	v_cvt_f16_f32_e32 v78, v78
	v_cvt_f16_f32_e32 v79, v79
	v_pk_mul_f32 v[68:69], v[88:89], v[68:69] op_sel_hi:[0,1]
	v_cvt_f16_f32_e32 v68, v68
	v_cvt_f16_f32_e32 v69, v69
	v_pack_b32_f16 v91, v78, v79
	v_pk_mul_f32 v[78:79], v[88:89], v[80:81] op_sel_hi:[0,1]
	v_pk_mul_f32 v[70:71], v[88:89], v[70:71] op_sel_hi:[0,1]
	v_cvt_f16_f32_e32 v70, v70
	v_cvt_f16_f32_e32 v71, v71
	;; [unrolled: 1-line block ×4, first 2 shown]
	v_pack_b32_f16 v90, v68, v69
	v_lshlrev_b32_e32 v69, 3, v1
	v_lshlrev_b32_e32 v68, 5, v83
	;; [unrolled: 1-line block ×3, first 2 shown]
	v_or3_b32 v78, v78, v68, v69
	v_pack_b32_f16 v70, v70, v71
	v_pack_b32_f16 v71, v80, v79
	ds_write2st64_b64 v78, v[90:91], v[70:71] offset1:1
	v_pk_mul_f32 v[70:71], v[88:89], v[76:77] op_sel_hi:[0,1]
	v_pk_mul_f32 v[74:75], v[88:89], v[74:75] op_sel_hi:[0,1]
	v_cvt_f16_f32_e32 v69, v74
	v_cvt_f16_f32_e32 v74, v75
	;; [unrolled: 1-line block ×4, first 2 shown]
	v_pk_mul_f32 v[66:67], v[88:89], v[66:67] op_sel_hi:[0,1]
	v_pk_mul_f32 v[70:71], v[88:89], v[72:73] op_sel_hi:[0,1]
	v_cvt_f16_f32_e32 v70, v70
	v_cvt_f16_f32_e32 v71, v71
	v_cvt_f16_f32_e32 v72, v66
	v_cvt_f16_f32_e32 v73, v67
	v_pack_b32_f16 v66, v69, v74
	v_pack_b32_f16 v67, v75, v76
	;; [unrolled: 1-line block ×4, first 2 shown]
	v_cmp_gt_u32_e32 vcc, 13, v0
	ds_write2st64_b64 v78, v[66:67], v[70:71] offset0:2 offset1:3
	s_and_saveexec_b64 s[2:3], vcc
	s_cbranch_execz .LBB144_15
; %bb.14:
	v_add_co_u32_e32 v70, vcc, s27, v83
	v_addc_co_u32_e64 v71, s[10:11], 0, 0, vcc
	v_mov_b32_e32 v66, s9
	v_mov_b32_e32 v67, 0
	v_mad_u64_u32 v[70:71], s[10:11], s6, v66, v[70:71]
	v_mov_b32_e32 v66, s26
	s_load_dwordx4 s[12:15], s[4:5], 0x58
	s_mul_i32 s7, s7, s9
	v_mad_u64_u32 v[66:67], s[10:11], v70, s8, v[66:67]
	v_add_u32_e32 v69, s7, v71
	v_mov_b32_e32 v70, v67
	v_mad_u64_u32 v[70:71], s[10:11], v69, s8, v[70:71]
	v_mov_b32_e32 v67, v70
	v_lshlrev_b64 v[66:67], 2, v[66:67]
	s_waitcnt lgkmcnt(0)
	v_mov_b32_e32 v69, s15
	v_add_co_u32_e32 v70, vcc, s14, v66
	v_addc_co_u32_e32 v71, vcc, v69, v67, vcc
	v_mov_b32_e32 v69, s13
	v_add_co_u32_e32 v66, vcc, s12, v66
	v_addc_co_u32_e32 v67, vcc, v69, v67, vcc
	global_store_dword v[70:71], v86, off
	global_store_dword v[66:67], v87, off
.LBB144_15:
	s_or_b64 exec, exec, s[2:3]
	v_lshl_or_b32 v79, v1, 9, v68
	s_waitcnt lgkmcnt(0)
	s_barrier
	ds_read_b128 v[70:73], v79
	ds_read_b128 v[66:69], v79 offset:16
	s_waitcnt vmcnt(15) lgkmcnt(1)
	v_mfma_f32_16x16x16f16 v[74:77], v[46:47], v[70:71], 0
	s_mov_b32 s3, 0
	v_cmp_gt_u32_e32 vcc, 64, v0
	v_mfma_f32_16x16x16f16 v[46:49], v[48:49], v[72:73], v[74:77]
	s_waitcnt vmcnt(14) lgkmcnt(0)
	v_mfma_f32_16x16x16f16 v[46:49], v[42:43], v[66:67], v[46:49]
	v_mfma_f32_16x16x16f16 v[42:45], v[44:45], v[68:69], v[46:49]
	s_nop 7
	s_nop 1
	ds_read_b128 v[46:49], v79 offset:2048
	ds_read_b128 v[74:77], v79 offset:2064
	s_waitcnt vmcnt(13) lgkmcnt(1)
	v_mfma_f32_16x16x16f16 v[42:45], v[38:39], v[46:47], v[42:45]
	v_mfma_f32_16x16x16f16 v[38:41], v[40:41], v[48:49], v[42:45]
	s_waitcnt vmcnt(12) lgkmcnt(0)
	v_mfma_f32_16x16x16f16 v[38:41], v[34:35], v[74:75], v[38:41]
	v_mfma_f32_16x16x16f16 v[34:37], v[36:37], v[76:77], v[38:41]
	s_nop 7
	s_nop 1
	ds_read_b128 v[38:41], v79 offset:4096
	ds_read_b128 v[42:45], v79 offset:4112
	s_waitcnt vmcnt(11) lgkmcnt(1)
	v_mfma_f32_16x16x16f16 v[34:37], v[30:31], v[38:39], v[34:37]
	v_mfma_f32_16x16x16f16 v[30:33], v[32:33], v[40:41], v[34:37]
	s_waitcnt vmcnt(10) lgkmcnt(0)
	v_mfma_f32_16x16x16f16 v[30:33], v[26:27], v[42:43], v[30:33]
	v_mfma_f32_16x16x16f16 v[26:29], v[28:29], v[44:45], v[30:33]
	s_nop 7
	s_nop 1
	ds_read_b128 v[30:33], v79 offset:6144
	ds_read_b128 v[34:37], v79 offset:6160
	s_waitcnt lgkmcnt(0)
	s_barrier
	s_waitcnt vmcnt(9)
	v_mfma_f32_16x16x16f16 v[26:29], v[22:23], v[30:31], v[26:29]
	v_mfma_f32_16x16x16f16 v[22:25], v[24:25], v[32:33], v[26:29]
	s_waitcnt vmcnt(8)
	v_mfma_f32_16x16x16f16 v[22:25], v[18:19], v[34:35], v[22:25]
	v_mfma_f32_16x16x16f16 v[18:21], v[20:21], v[36:37], v[22:25]
	;; [unrolled: 3-line block ×4, first 2 shown]
	s_waitcnt vmcnt(5)
	v_mfma_f32_16x16x16f16 v[2:5], v[14:15], v[46:47], v[2:5]
	s_nop 7
	v_cvt_f16_f32_e32 v6, v18
	v_cvt_f16_f32_e32 v7, v19
	;; [unrolled: 1-line block ×4, first 2 shown]
	v_mfma_f32_16x16x16f16 v[2:5], v[16:17], v[48:49], v[2:5]
	s_waitcnt vmcnt(4)
	v_mfma_f32_16x16x16f16 v[2:5], v[10:11], v[74:75], v[2:5]
	v_mfma_f32_16x16x16f16 v[2:5], v[12:13], v[76:77], v[2:5]
	s_waitcnt vmcnt(3)
	v_mfma_f32_16x16x16f16 v[2:5], v[54:55], v[38:39], v[2:5]
	;; [unrolled: 3-line block ×5, first 2 shown]
	v_mfma_f32_16x16x16f16 v[2:5], v[60:61], v[36:37], v[2:5]
	s_nop 7
	s_nop 2
	v_cvt_f16_f32_e32 v10, v2
	v_cvt_f16_f32_e32 v11, v3
	;; [unrolled: 1-line block ×4, first 2 shown]
	v_pack_b32_f16 v2, v6, v7
	v_pack_b32_f16 v3, v8, v9
	;; [unrolled: 1-line block ×4, first 2 shown]
	ds_write2st64_b64 v78, v[2:3], v[4:5] offset1:1
	s_waitcnt lgkmcnt(0)
	s_barrier
	s_and_saveexec_b64 s[10:11], vcc
	s_cbranch_execz .LBB144_18
; %bb.16:
	v_lshlrev_b32_e32 v4, 6, v83
	v_lshlrev_b32_e32 v3, 4, v0
	v_lshl_or_b32 v0, v0, 10, v4
	v_lshlrev_b32_e32 v2, 5, v1
	v_and_b32_e32 v3, 16, v3
	v_and_b32_e32 v0, 0x1a00, v0
	v_or3_b32 v0, v0, v2, v3
	buffer_load_dword v2, off, s[44:47], 0  ; 4-byte Folded Reload
	s_load_dwordx2 s[10:11], s[4:5], 0x68
	s_lshl_b32 s4, s8, 7
	s_mul_i32 s2, s9, s6
	s_mul_hi_u32 s7, s2, s4
	s_mul_i32 s6, s2, s4
	s_lshl_b64 s[6:7], s[6:7], 1
	s_waitcnt lgkmcnt(0)
	s_add_u32 s5, s10, s6
	s_addc_u32 s6, s11, s7
	s_lshl_b32 s2, s26, 7
	s_lshl_b64 s[2:3], s[2:3], 1
	s_add_u32 s2, s5, s2
	ds_read_b128 v[4:7], v0 offset:256
	s_addc_u32 s3, s6, s3
	ds_read_b128 v[8:11], v0 offset:128
	ds_read_b128 v[12:15], v0
	v_add_u32_e32 v18, s27, v1
	v_mov_b32_e32 v3, s3
	s_waitcnt vmcnt(0)
	v_add_co_u32_e32 v2, vcc, s2, v2
	v_mad_u64_u32 v[16:17], s[2:3], v18, s4, 0
	v_addc_co_u32_e32 v3, vcc, 0, v3, vcc
	v_lshlrev_b64 v[16:17], 1, v[16:17]
	v_add_co_u32_e32 v16, vcc, v2, v16
	v_addc_co_u32_e32 v17, vcc, v3, v17, vcc
	s_waitcnt lgkmcnt(0)
	global_store_dwordx4 v[16:17], v[12:15], off
	s_nop 0
	v_add_u32_e32 v12, 4, v18
	v_mad_u64_u32 v[12:13], s[2:3], v12, s4, 0
	v_lshlrev_b64 v[12:13], 1, v[12:13]
	v_add_co_u32_e32 v12, vcc, v2, v12
	v_addc_co_u32_e32 v13, vcc, v3, v13, vcc
	global_store_dwordx4 v[12:13], v[8:11], off
	s_nop 0
	v_add_u32_e32 v8, 8, v18
	v_mad_u64_u32 v[8:9], s[2:3], v8, s4, 0
	v_lshlrev_b64 v[8:9], 1, v[8:9]
	v_add_co_u32_e32 v8, vcc, v2, v8
	v_addc_co_u32_e32 v9, vcc, v3, v9, vcc
	global_store_dwordx4 v[8:9], v[4:7], off
	s_and_b64 exec, exec, s[0:1]
	s_cbranch_execz .LBB144_18
; %bb.17:
	ds_read_b128 v[4:7], v0 offset:384
	v_add3_u32 v0, s27, v1, 12
	v_mad_u64_u32 v[0:1], s[0:1], v0, s4, 0
	v_lshlrev_b64 v[0:1], 1, v[0:1]
	v_add_co_u32_e32 v0, vcc, v2, v0
	v_addc_co_u32_e32 v1, vcc, v3, v1, vcc
	s_waitcnt lgkmcnt(0)
	global_store_dwordx4 v[0:1], v[4:7], off
.LBB144_18:
	s_endpgm
	.section	.rodata,"a",@progbits
	.p2align	6, 0x0
	.amdhsa_kernel _Z39paged_attention_ll4mi_QKV_mfma16_kernelIDF16_DF16_LN4vllm18Fp8KVCacheDataTypeE0EDF16_Li16ELi128ELi256ELb0ELi13EL8MFMAType0EEvPKT_PKT0_S8_ifPKiSA_SA_iPKfiiiPfSD_PS3_PT2_iSC_SC_
		.amdhsa_group_segment_fixed_size 8192
		.amdhsa_private_segment_fixed_size 8
		.amdhsa_kernarg_size 400
		.amdhsa_user_sgpr_count 6
		.amdhsa_user_sgpr_private_segment_buffer 1
		.amdhsa_user_sgpr_dispatch_ptr 0
		.amdhsa_user_sgpr_queue_ptr 0
		.amdhsa_user_sgpr_kernarg_segment_ptr 1
		.amdhsa_user_sgpr_dispatch_id 0
		.amdhsa_user_sgpr_flat_scratch_init 0
		.amdhsa_user_sgpr_kernarg_preload_length 0
		.amdhsa_user_sgpr_kernarg_preload_offset 0
		.amdhsa_user_sgpr_private_segment_size 0
		.amdhsa_uses_dynamic_stack 0
		.amdhsa_system_sgpr_private_segment_wavefront_offset 1
		.amdhsa_system_sgpr_workgroup_id_x 1
		.amdhsa_system_sgpr_workgroup_id_y 1
		.amdhsa_system_sgpr_workgroup_id_z 1
		.amdhsa_system_sgpr_workgroup_info 0
		.amdhsa_system_vgpr_workitem_id 0
		.amdhsa_next_free_vgpr 96
		.amdhsa_next_free_sgpr 48
		.amdhsa_accum_offset 96
		.amdhsa_reserve_vcc 1
		.amdhsa_reserve_flat_scratch 0
		.amdhsa_float_round_mode_32 0
		.amdhsa_float_round_mode_16_64 0
		.amdhsa_float_denorm_mode_32 3
		.amdhsa_float_denorm_mode_16_64 3
		.amdhsa_dx10_clamp 1
		.amdhsa_ieee_mode 1
		.amdhsa_fp16_overflow 0
		.amdhsa_tg_split 0
		.amdhsa_exception_fp_ieee_invalid_op 0
		.amdhsa_exception_fp_denorm_src 0
		.amdhsa_exception_fp_ieee_div_zero 0
		.amdhsa_exception_fp_ieee_overflow 0
		.amdhsa_exception_fp_ieee_underflow 0
		.amdhsa_exception_fp_ieee_inexact 0
		.amdhsa_exception_int_div_zero 0
	.end_amdhsa_kernel
	.section	.text._Z39paged_attention_ll4mi_QKV_mfma16_kernelIDF16_DF16_LN4vllm18Fp8KVCacheDataTypeE0EDF16_Li16ELi128ELi256ELb0ELi13EL8MFMAType0EEvPKT_PKT0_S8_ifPKiSA_SA_iPKfiiiPfSD_PS3_PT2_iSC_SC_,"axG",@progbits,_Z39paged_attention_ll4mi_QKV_mfma16_kernelIDF16_DF16_LN4vllm18Fp8KVCacheDataTypeE0EDF16_Li16ELi128ELi256ELb0ELi13EL8MFMAType0EEvPKT_PKT0_S8_ifPKiSA_SA_iPKfiiiPfSD_PS3_PT2_iSC_SC_,comdat
.Lfunc_end144:
	.size	_Z39paged_attention_ll4mi_QKV_mfma16_kernelIDF16_DF16_LN4vllm18Fp8KVCacheDataTypeE0EDF16_Li16ELi128ELi256ELb0ELi13EL8MFMAType0EEvPKT_PKT0_S8_ifPKiSA_SA_iPKfiiiPfSD_PS3_PT2_iSC_SC_, .Lfunc_end144-_Z39paged_attention_ll4mi_QKV_mfma16_kernelIDF16_DF16_LN4vllm18Fp8KVCacheDataTypeE0EDF16_Li16ELi128ELi256ELb0ELi13EL8MFMAType0EEvPKT_PKT0_S8_ifPKiSA_SA_iPKfiiiPfSD_PS3_PT2_iSC_SC_
                                        ; -- End function
	.section	.AMDGPU.csdata,"",@progbits
; Kernel info:
; codeLenInByte = 4676
; NumSgprs: 52
; NumVgprs: 96
; NumAgprs: 0
; TotalNumVgprs: 96
; ScratchSize: 8
; MemoryBound: 0
; FloatMode: 240
; IeeeMode: 1
; LDSByteSize: 8192 bytes/workgroup (compile time only)
; SGPRBlocks: 6
; VGPRBlocks: 11
; NumSGPRsForWavesPerEU: 52
; NumVGPRsForWavesPerEU: 96
; AccumOffset: 96
; Occupancy: 5
; WaveLimiterHint : 1
; COMPUTE_PGM_RSRC2:SCRATCH_EN: 1
; COMPUTE_PGM_RSRC2:USER_SGPR: 6
; COMPUTE_PGM_RSRC2:TRAP_HANDLER: 0
; COMPUTE_PGM_RSRC2:TGID_X_EN: 1
; COMPUTE_PGM_RSRC2:TGID_Y_EN: 1
; COMPUTE_PGM_RSRC2:TGID_Z_EN: 1
; COMPUTE_PGM_RSRC2:TIDIG_COMP_CNT: 0
; COMPUTE_PGM_RSRC3_GFX90A:ACCUM_OFFSET: 23
; COMPUTE_PGM_RSRC3_GFX90A:TG_SPLIT: 0
	.section	.text._Z39paged_attention_ll4mi_QKV_mfma16_kernelIDF16_DF16_LN4vllm18Fp8KVCacheDataTypeE0EDF16_Li16ELi128ELi256ELb0ELi14EL8MFMAType0EEvPKT_PKT0_S8_ifPKiSA_SA_iPKfiiiPfSD_PS3_PT2_iSC_SC_,"axG",@progbits,_Z39paged_attention_ll4mi_QKV_mfma16_kernelIDF16_DF16_LN4vllm18Fp8KVCacheDataTypeE0EDF16_Li16ELi128ELi256ELb0ELi14EL8MFMAType0EEvPKT_PKT0_S8_ifPKiSA_SA_iPKfiiiPfSD_PS3_PT2_iSC_SC_,comdat
	.protected	_Z39paged_attention_ll4mi_QKV_mfma16_kernelIDF16_DF16_LN4vllm18Fp8KVCacheDataTypeE0EDF16_Li16ELi128ELi256ELb0ELi14EL8MFMAType0EEvPKT_PKT0_S8_ifPKiSA_SA_iPKfiiiPfSD_PS3_PT2_iSC_SC_ ; -- Begin function _Z39paged_attention_ll4mi_QKV_mfma16_kernelIDF16_DF16_LN4vllm18Fp8KVCacheDataTypeE0EDF16_Li16ELi128ELi256ELb0ELi14EL8MFMAType0EEvPKT_PKT0_S8_ifPKiSA_SA_iPKfiiiPfSD_PS3_PT2_iSC_SC_
	.globl	_Z39paged_attention_ll4mi_QKV_mfma16_kernelIDF16_DF16_LN4vllm18Fp8KVCacheDataTypeE0EDF16_Li16ELi128ELi256ELb0ELi14EL8MFMAType0EEvPKT_PKT0_S8_ifPKiSA_SA_iPKfiiiPfSD_PS3_PT2_iSC_SC_
	.p2align	8
	.type	_Z39paged_attention_ll4mi_QKV_mfma16_kernelIDF16_DF16_LN4vllm18Fp8KVCacheDataTypeE0EDF16_Li16ELi128ELi256ELb0ELi14EL8MFMAType0EEvPKT_PKT0_S8_ifPKiSA_SA_iPKfiiiPfSD_PS3_PT2_iSC_SC_,@function
_Z39paged_attention_ll4mi_QKV_mfma16_kernelIDF16_DF16_LN4vllm18Fp8KVCacheDataTypeE0EDF16_Li16ELi128ELi256ELb0ELi14EL8MFMAType0EEvPKT_PKT0_S8_ifPKiSA_SA_iPKfiiiPfSD_PS3_PT2_iSC_SC_: ; @_Z39paged_attention_ll4mi_QKV_mfma16_kernelIDF16_DF16_LN4vllm18Fp8KVCacheDataTypeE0EDF16_Li16ELi128ELi256ELb0ELi14EL8MFMAType0EEvPKT_PKT0_S8_ifPKiSA_SA_iPKfiiiPfSD_PS3_PT2_iSC_SC_
; %bb.0:
	s_mov_b64 s[46:47], s[2:3]
	s_mov_b64 s[44:45], s[0:1]
	s_load_dwordx2 s[0:1], s[4:5], 0x30
	s_add_u32 s44, s44, s9
	s_addc_u32 s45, s45, 0
	s_mov_b32 s26, s7
	s_mov_b64 s[10:11], 0
	s_waitcnt lgkmcnt(0)
	s_cmp_lg_u64 s[0:1], 0
	s_cselect_b64 s[2:3], -1, 0
	s_and_b64 vcc, exec, s[2:3]
	s_cbranch_vccz .LBB145_7
; %bb.1:
	s_add_i32 s12, s6, 1
	s_mov_b32 s13, 0
	s_lshl_b64 s[14:15], s[12:13], 2
	s_add_u32 s14, s0, s14
	s_mov_b32 s7, s13
	s_addc_u32 s15, s1, s15
	s_lshl_b64 s[12:13], s[6:7], 2
	s_add_u32 s12, s0, s12
	s_addc_u32 s13, s1, s13
	s_load_dword s9, s[14:15], 0x0
	s_load_dword s16, s[12:13], 0x0
	s_waitcnt lgkmcnt(0)
	s_sub_i32 s9, s9, s16
	s_cmp_eq_u32 s9, 1
	s_cselect_b64 s[12:13], -1, 0
	s_andn2_b64 vcc, exec, s[10:11]
	s_cbranch_vccnz .LBB145_3
.LBB145_2:
	s_mov_b32 s7, 0
	s_mov_b64 s[12:13], -1
.LBB145_3:
	s_andn2_b64 vcc, exec, s[12:13]
	s_cbranch_vccnz .LBB145_18
; %bb.4:
	s_load_dwordx2 s[12:13], s[4:5], 0x28
	s_lshl_b64 s[10:11], s[6:7], 2
	s_waitcnt lgkmcnt(0)
	s_add_u32 s12, s12, s10
	s_addc_u32 s13, s13, s11
	s_load_dword s38, s[12:13], 0x0
	s_lshl_b32 s9, s26, 8
	s_waitcnt lgkmcnt(0)
	s_cmp_ge_i32 s9, s38
	s_cbranch_scc1 .LBB145_18
; %bb.5:
	s_add_i32 s15, s38, 15
	s_load_dwordx2 s[12:13], s[4:5], 0x20
	s_load_dword s14, s[4:5], 0x38
	s_ashr_i32 s16, s15, 31
	v_and_b32_e32 v1, 0xcf, v0
	s_lshr_b32 s16, s16, 28
	v_add_u32_e32 v1, s9, v1
	s_add_i32 s15, s15, s16
	v_ashrrev_i32_e32 v2, 31, v1
	s_ashr_i32 s18, s15, 4
	v_lshrrev_b32_e32 v6, 28, v2
	s_add_i32 s18, s18, -1
	v_add_u32_e32 v2, v1, v6
	s_waitcnt lgkmcnt(0)
	s_mul_i32 s14, s6, s14
	s_mov_b32 s15, 0
	v_ashrrev_i32_e32 v2, 4, v2
	v_mov_b32_e32 v7, s18
	v_cmp_gt_i32_e32 vcc, s38, v1
	s_lshl_b64 s[14:15], s[14:15], 2
	v_cndmask_b32_e32 v2, v7, v2, vcc
	s_add_u32 s16, s12, s14
	v_ashrrev_i32_e32 v3, 31, v2
	s_addc_u32 s17, s13, s15
	v_lshlrev_b64 v[2:3], 2, v[2:3]
	v_mov_b32_e32 v5, s17
	v_add_co_u32_e32 v4, vcc, s16, v2
	v_or_b32_e32 v2, 16, v1
	v_addc_co_u32_e32 v5, vcc, v5, v3, vcc
	v_add_u32_e32 v3, v2, v6
	v_ashrrev_i32_e32 v3, 4, v3
	v_cmp_gt_i32_e32 vcc, s38, v2
	v_cndmask_b32_e32 v2, v7, v3, vcc
	v_ashrrev_i32_e32 v3, 31, v2
	v_lshlrev_b64 v[2:3], 2, v[2:3]
	v_mov_b32_e32 v9, s17
	v_add_co_u32_e32 v8, vcc, s16, v2
	v_or_b32_e32 v2, 32, v1
	v_addc_co_u32_e32 v9, vcc, v9, v3, vcc
	v_add_u32_e32 v3, v2, v6
	v_ashrrev_i32_e32 v3, 4, v3
	v_cmp_gt_i32_e32 vcc, s38, v2
	v_cndmask_b32_e32 v2, v7, v3, vcc
	v_ashrrev_i32_e32 v3, 31, v2
	;; [unrolled: 10-line block ×3, first 2 shown]
	v_lshlrev_b64 v[2:3], 2, v[2:3]
	v_mov_b32_e32 v1, s17
	v_add_co_u32_e32 v12, vcc, s16, v2
	v_addc_co_u32_e32 v13, vcc, v1, v3, vcc
	global_load_dword v3, v[4:5], off
	global_load_dword v2, v[8:9], off
	;; [unrolled: 1-line block ×4, first 2 shown]
	s_load_dwordx4 s[12:15], s[4:5], 0x8
	s_andn2_b64 vcc, exec, s[2:3]
	s_cbranch_vccnz .LBB145_8
; %bb.6:
	s_add_u32 s0, s0, s10
	s_addc_u32 s1, s1, s11
	s_load_dword s19, s[0:1], 0x0
	s_branch .LBB145_9
.LBB145_7:
	s_mov_b64 s[12:13], 0
	s_branch .LBB145_2
.LBB145_8:
	s_mov_b32 s19, s6
.LBB145_9:
	s_load_dwordx4 s[0:3], s[4:5], 0x48
	v_lshrrev_b32_e32 v85, 6, v0
	v_bfe_u32 v1, v0, 4, 2
	v_and_b32_e32 v83, 15, v0
	v_lshl_or_b32 v4, v85, 2, v1
	v_lshlrev_b32_e32 v5, 3, v83
	v_and_b32_e32 v86, 63, v0
	s_mul_i32 s27, s8, 14
	v_cmp_gt_u32_e32 vcc, 14, v4
	v_lshlrev_b32_e32 v5, 1, v5
	buffer_store_dword v5, off, s[44:47], 0 ; 4-byte Folded Spill
	s_and_saveexec_b64 s[10:11], vcc
	s_cbranch_execz .LBB145_11
; %bb.10:
	s_load_dwordx2 s[20:21], s[4:5], 0x0
	s_waitcnt lgkmcnt(0)
	s_ashr_i32 s3, s0, 31
	s_mul_hi_u32 s22, s19, s0
	s_mul_i32 s3, s19, s3
	s_add_i32 s23, s22, s3
	s_mul_i32 s22, s19, s0
	v_add_lshl_u32 v8, v4, s27, 7
	s_lshl_b64 s[22:23], s[22:23], 1
	v_ashrrev_i32_e32 v9, 31, v8
	s_add_u32 s0, s20, s22
	v_lshlrev_b64 v[8:9], 1, v[8:9]
	v_add_co_u32_e32 v7, vcc, s0, v8
	buffer_load_dword v8, off, s[44:47], 0  ; 4-byte Folded Reload
	s_addc_u32 s3, s21, s23
	v_mov_b32_e32 v5, s3
	v_addc_co_u32_e32 v5, vcc, v5, v9, vcc
	v_lshlrev_b32_e32 v4, 5, v4
	s_waitcnt vmcnt(0)
	v_add_co_u32_e32 v8, vcc, v7, v8
	v_addc_co_u32_e32 v9, vcc, 0, v5, vcc
	global_load_dwordx4 v[8:11], v[8:9], off
	v_and_b32_e32 v5, 3, v0
	v_lshlrev_b32_e32 v7, 9, v83
	v_lshlrev_b32_e32 v5, 9, v5
	v_and_b32_e32 v7, 0x1800, v7
	v_or3_b32 v4, v7, v5, v4
	s_waitcnt vmcnt(0)
	ds_write_b128 v4, v[8:11]
.LBB145_11:
	s_or_b64 exec, exec, s[10:11]
	s_waitcnt lgkmcnt(0)
	s_mul_i32 s2, s8, s2
	s_mov_b32 s3, 0
	s_lshl_b64 s[2:3], s[2:3], 1
	s_add_u32 s8, s12, s2
	v_lshlrev_b32_e32 v7, 4, v0
	s_addc_u32 s10, s13, s3
	v_and_b32_e32 v4, 0xf0, v7
	v_mov_b32_e32 v5, s10
	v_add_co_u32_e32 v29, vcc, s8, v4
	v_addc_co_u32_e32 v30, vcc, 0, v5, vcc
	s_waitcnt vmcnt(4)
	v_mad_i64_i32 v[4:5], s[10:11], v3, s1, 0
	v_lshlrev_b64 v[4:5], 1, v[4:5]
	v_add_co_u32_e32 v3, vcc, v29, v4
	v_addc_co_u32_e32 v4, vcc, v30, v5, vcc
	v_and_b32_e32 v31, 0x300, v7
	v_add_co_u32_e32 v22, vcc, v3, v31
	v_addc_co_u32_e32 v23, vcc, 0, v4, vcc
	s_load_dword s33, s[4:5], 0x98
	s_load_dword s0, s[4:5], 0x1c
	s_waitcnt lgkmcnt(0)
	s_barrier
	global_load_dwordx4 v[10:13], v[22:23], off
	global_load_dwordx4 v[18:21], v[22:23], off offset:1024
	s_waitcnt vmcnt(5)
	v_mad_i64_i32 v[2:3], s[10:11], v2, s1, 0
	v_lshlrev_b64 v[2:3], 1, v[2:3]
	v_add_co_u32_e32 v2, vcc, v29, v2
	v_addc_co_u32_e32 v3, vcc, v30, v3, vcc
	v_add_co_u32_e32 v24, vcc, v2, v31
	v_addc_co_u32_e32 v25, vcc, 0, v3, vcc
	global_load_dwordx4 v[14:17], v[24:25], off
	global_load_dwordx4 v[38:41], v[24:25], off offset:1024
	v_add_u32_e32 v2, -14, v83
	v_cmp_gt_u32_e32 vcc, 14, v83
	v_cndmask_b32_e32 v2, v2, v83, vcc
	v_lshlrev_b32_e32 v2, 5, v2
	v_lshl_add_u32 v32, v1, 9, v2
	ds_read_b128 v[2:5], v32
	s_waitcnt vmcnt(6)
	v_mad_i64_i32 v[6:7], s[10:11], v6, s1, 0
	v_lshlrev_b64 v[26:27], 1, v[6:7]
	ds_read_b128 v[6:9], v32 offset:2048
	v_and_or_b32 v62, v0, 48, s9
	v_mov_b32_e32 v63, s18
	v_mov_b32_e32 v68, s17
	s_add_u32 s8, s14, s2
	v_lshl_or_b32 v87, v85, 4, v83
	v_lshlrev_b32_e32 v76, 5, v87
	s_mov_b32 s40, 0xff7fffff
	s_waitcnt vmcnt(3) lgkmcnt(1)
	v_mfma_f32_16x16x16f16 v[34:37], v[10:11], v[2:3], 0
	v_add_co_u32_e32 v10, vcc, v29, v26
	v_addc_co_u32_e32 v11, vcc, v30, v27, vcc
	v_add_co_u32_e32 v26, vcc, v10, v31
	v_addc_co_u32_e32 v27, vcc, 0, v11, vcc
	global_load_dwordx4 v[46:49], v[26:27], off
	global_load_dwordx4 v[58:61], v[26:27], off offset:1024
	s_waitcnt vmcnt(3)
	v_mfma_f32_16x16x16f16 v[42:45], v[14:15], v[2:3], 0
	v_cmp_gt_i32_e32 vcc, s38, v62
	v_mfma_f32_16x16x16f16 v[14:17], v[16:17], v[4:5], v[42:45]
	s_nop 7
	s_nop 0
	global_load_dwordx4 v[42:45], v[22:23], off offset:2048
	v_mfma_f32_16x16x16f16 v[10:13], v[12:13], v[4:5], v[34:37]
	s_waitcnt vmcnt(3) lgkmcnt(0)
	v_mfma_f32_16x16x16f16 v[14:17], v[38:39], v[6:7], v[14:17]
	v_mfma_f32_16x16x16f16 v[10:13], v[18:19], v[6:7], v[10:13]
	;; [unrolled: 1-line block ×3, first 2 shown]
	global_load_dwordx4 v[38:41], v[22:23], off offset:3072
	v_mfma_f32_16x16x16f16 v[18:21], v[20:21], v[8:9], v[10:13]
	s_waitcnt vmcnt(3)
	v_mfma_f32_16x16x16f16 v[50:53], v[46:47], v[2:3], 0
	v_mfma_f32_16x16x16f16 v[34:37], v[48:49], v[4:5], v[50:53]
	global_load_dwordx4 v[46:49], v[24:25], off offset:2048
	s_nop 3
	ds_read_b128 v[10:13], v32 offset:4096
	s_nop 3
	ds_read_b128 v[50:53], v32 offset:6144
	global_load_dwordx4 v[22:25], v[24:25], off offset:3072
	v_mad_i64_i32 v[32:33], s[10:11], v28, s1, 0
	v_mov_b32_e32 v28, s17
	s_addc_u32 s10, s15, s3
	s_waitcnt vmcnt(3) lgkmcnt(1)
	v_mfma_f32_16x16x16f16 v[18:21], v[42:43], v[10:11], v[18:21]
	v_mfma_f32_16x16x16f16 v[18:21], v[44:45], v[12:13], v[18:21]
	global_load_dwordx4 v[42:45], v[26:27], off offset:2048
	s_waitcnt vmcnt(3) lgkmcnt(0)
	v_mfma_f32_16x16x16f16 v[18:21], v[38:39], v[50:51], v[18:21]
	v_or_b32_e32 v38, 64, v62
	v_ashrrev_i32_e32 v39, 4, v38
	v_mfma_f32_16x16x16f16 v[54:57], v[40:41], v[52:53], v[18:21]
	s_waitcnt vmcnt(2)
	v_mfma_f32_16x16x16f16 v[14:17], v[46:47], v[10:11], v[14:17]
	v_mfma_f32_16x16x16f16 v[14:17], v[48:49], v[12:13], v[14:17]
	global_load_dwordx4 v[46:49], v[26:27], off offset:3072
	v_lshlrev_b64 v[26:27], 1, v[32:33]
	v_ashrrev_i32_e32 v32, 4, v62
	v_cndmask_b32_e32 v32, v63, v32, vcc
	v_ashrrev_i32_e32 v33, 31, v32
	v_cmp_gt_i32_e32 vcc, s38, v38
	v_cndmask_b32_e32 v38, v63, v39, vcc
	s_waitcnt vmcnt(2)
	v_mfma_f32_16x16x16f16 v[14:17], v[22:23], v[50:51], v[14:17]
	v_lshlrev_b64 v[22:23], 2, v[32:33]
	v_add_co_u32_e32 v22, vcc, s16, v22
	v_addc_co_u32_e32 v23, vcc, v28, v23, vcc
	v_add_co_u32_e32 v18, vcc, v29, v26
	v_addc_co_u32_e32 v19, vcc, v30, v27, vcc
	;; [unrolled: 2-line block ×3, first 2 shown]
	v_mfma_f32_16x16x16f16 v[64:67], v[24:25], v[52:53], v[14:17]
	global_load_dword v30, v[22:23], off
	v_ashrrev_i32_e32 v39, 31, v38
	v_lshlrev_b64 v[32:33], 2, v[38:39]
	v_add_co_u32_e32 v18, vcc, s16, v32
	v_addc_co_u32_e32 v19, vcc, v68, v33, vcc
	s_nop 1
	global_load_dwordx4 v[14:17], v[26:27], off
	global_load_dword v31, v[18:19], off
	s_nop 0
	global_load_dwordx4 v[18:21], v[26:27], off offset:1024
	global_load_dwordx4 v[68:71], v[26:27], off offset:2048
	;; [unrolled: 1-line block ×3, first 2 shown]
	v_mfma_f32_16x16x16f16 v[22:25], v[58:59], v[6:7], v[34:37]
	v_or_b32_e32 v28, 0x80, v62
	v_ashrrev_i32_e32 v29, 4, v28
	v_cmp_gt_i32_e32 vcc, s38, v28
	v_cndmask_b32_e32 v28, v63, v29, vcc
	v_ashrrev_i32_e32 v29, 31, v28
	v_lshlrev_b64 v[28:29], 2, v[28:29]
	v_mov_b32_e32 v32, s17
	v_mfma_f32_16x16x16f16 v[22:25], v[60:61], v[8:9], v[22:25]
	v_add_co_u32_e32 v28, vcc, s16, v28
	v_addc_co_u32_e32 v29, vcc, v32, v29, vcc
	global_load_dword v32, v[28:29], off
	v_or_b32_e32 v28, 0xc0, v62
	v_ashrrev_i32_e32 v29, 4, v28
	v_cmp_gt_i32_e32 vcc, s38, v28
	v_cndmask_b32_e32 v28, v63, v29, vcc
	v_ashrrev_i32_e32 v29, 31, v28
	v_lshlrev_b64 v[28:29], 2, v[28:29]
	s_waitcnt vmcnt(8)
	v_mfma_f32_16x16x16f16 v[22:25], v[42:43], v[10:11], v[22:25]
	v_mov_b32_e32 v33, s17
	v_add_co_u32_e32 v28, vcc, s16, v28
	v_addc_co_u32_e32 v29, vcc, v33, v29, vcc
	global_load_dword v58, v[28:29], off
	v_mov_b32_e32 v26, s10
	v_mfma_f32_16x16x16f16 v[22:25], v[44:45], v[12:13], v[22:25]
	v_add_co_u32_e32 v77, vcc, s8, v76
	v_addc_co_u32_e32 v78, vcc, 0, v26, vcc
	v_pk_mul_f32 v[80:81], s[0:1], v[66:67] op_sel_hi:[0,1]
	s_waitcnt vmcnt(8)
	v_mfma_f32_16x16x16f16 v[22:25], v[46:47], v[50:51], v[22:25]
	v_mfma_f32_16x16x16f16 v[72:75], v[48:49], v[52:53], v[22:25]
	s_waitcnt vmcnt(7)
	s_nop 7
	s_nop 0
	v_mad_i64_i32 v[22:23], s[2:3], v30, s1, 0
	v_lshlrev_b64 v[62:63], 1, v[22:23]
	s_waitcnt vmcnt(6)
	v_mfma_f32_16x16x16f16 v[22:25], v[14:15], v[2:3], 0
	v_add_co_u32_e32 v2, vcc, v77, v62
	v_addc_co_u32_e32 v3, vcc, v78, v63, vcc
	global_load_dwordx4 v[46:49], v[2:3], off
	global_load_dwordx4 v[42:45], v[2:3], off offset:16
	s_waitcnt vmcnt(7)
	v_mad_i64_i32 v[2:3], s[2:3], v31, s1, 0
	v_lshlrev_b64 v[14:15], 1, v[2:3]
	v_mfma_f32_16x16x16f16 v[2:5], v[16:17], v[4:5], v[22:25]
	v_add_co_u32_e32 v16, vcc, v77, v14
	v_addc_co_u32_e32 v17, vcc, v78, v15, vcc
	global_load_dwordx4 v[38:41], v[16:17], off
	global_load_dwordx4 v[34:37], v[16:17], off offset:16
	s_waitcnt vmcnt(5)
	v_mad_i64_i32 v[16:17], s[2:3], v32, s1, 0
	v_mfma_f32_16x16x16f16 v[2:5], v[18:19], v[6:7], v[2:5]
	v_lshlrev_b64 v[60:61], 1, v[16:17]
	v_add_co_u32_e32 v6, vcc, v77, v60
	v_addc_co_u32_e32 v7, vcc, v78, v61, vcc
	global_load_dwordx4 v[30:33], v[6:7], off
	global_load_dwordx4 v[26:29], v[6:7], off offset:16
	s_waitcnt vmcnt(6)
	v_mad_i64_i32 v[6:7], s[2:3], v58, s1, 0
	v_mfma_f32_16x16x16f16 v[2:5], v[20:21], v[8:9], v[2:5]
	v_lshlrev_b64 v[58:59], 1, v[6:7]
	v_add_co_u32_e32 v6, vcc, v77, v58
	v_addc_co_u32_e32 v7, vcc, v78, v59, vcc
	global_load_dwordx4 v[22:25], v[6:7], off
	global_load_dwordx4 v[18:21], v[6:7], off offset:16
	v_or_b32_e32 v6, 0x800, v76
	v_mfma_f32_16x16x16f16 v[2:5], v[68:69], v[10:11], v[2:5]
	v_mov_b32_e32 v7, s10
	v_add_co_u32_e32 v68, vcc, s8, v6
	v_addc_co_u32_e32 v69, vcc, 0, v7, vcc
	v_pk_mul_f32 v[76:77], s[0:1], v[74:75] op_sel_hi:[0,1]
	v_pk_mul_f32 v[74:75], s[0:1], v[72:73] op_sel_hi:[0,1]
	v_mfma_f32_16x16x16f16 v[10:13], v[70:71], v[12:13], v[2:5]
	v_pk_mul_f32 v[78:79], s[0:1], v[56:57] op_sel_hi:[0,1]
	v_pk_mul_f32 v[70:71], s[0:1], v[64:65] op_sel_hi:[0,1]
	v_mfma_f32_16x16x16f16 v[92:95], v[88:89], v[50:51], v[10:13]
	s_nop 3
	v_add_co_u32_e32 v2, vcc, v68, v62
	v_addc_co_u32_e32 v3, vcc, v69, v63, vcc
	v_add_co_u32_e32 v62, vcc, v68, v14
	v_addc_co_u32_e32 v63, vcc, v69, v15, vcc
	v_mfma_f32_16x16x16f16 v[50:53], v[90:91], v[52:53], v[92:95]
	global_load_dwordx4 v[6:9], v[2:3], off
	s_nop 0
	global_load_dwordx4 v[2:5], v[2:3], off offset:16
	s_nop 0
	global_load_dwordx4 v[14:17], v[62:63], off
	global_load_dwordx4 v[10:13], v[62:63], off offset:16
	v_pk_mul_f32 v[62:63], s[0:1], v[54:55] op_sel_hi:[0,1]
	s_nop 3
	v_pk_mul_f32 v[72:73], s[0:1], v[50:51] op_sel_hi:[0,1]
	v_and_b32_e32 v50, 0xc0, v0
	v_add_u32_e32 v50, s9, v50
	v_lshl_or_b32 v50, v1, 2, v50
	v_pk_mul_f32 v[66:67], s[0:1], v[52:53] op_sel_hi:[0,1]
	v_or_b32_e32 v53, 1, v50
	v_mov_b32_e32 v51, 0xff7fffff
	v_cmp_gt_i32_e64 s[28:29], s38, v50
	v_cmp_gt_i32_e64 s[30:31], s38, v53
	v_cndmask_b32_e64 v52, v51, v62, s[28:29]
	v_cndmask_b32_e64 v53, v51, v63, s[30:31]
	v_max3_f32 v52, v52, s40, v53
	v_or_b32_e32 v53, 2, v50
	v_or_b32_e32 v54, 3, v50
	v_cmp_gt_i32_e64 s[34:35], s38, v53
	v_cmp_gt_i32_e64 s[36:37], s38, v54
	v_cndmask_b32_e64 v53, v51, v78, s[34:35]
	v_cndmask_b32_e64 v54, v51, v79, s[36:37]
	v_max3_f32 v52, v52, v53, v54
	v_or_b32_e32 v53, 16, v50
	v_or_b32_e32 v54, 17, v50
	;; [unrolled: 7-line block ×7, first 2 shown]
	v_cmp_gt_i32_e32 vcc, s38, v53
	v_cmp_gt_i32_e64 s[0:1], s38, v50
	v_cndmask_b32_e32 v53, v51, v66, vcc
	v_cndmask_b32_e64 v50, v51, v67, s[0:1]
	v_max3_f32 v64, v52, v53, v50
	v_mbcnt_lo_u32_b32 v50, -1, 0
	v_mbcnt_hi_u32_b32 v65, -1, v50
	v_and_b32_e32 v50, 64, v65
	v_add_u32_e32 v88, 64, v50
	v_xor_b32_e32 v50, 32, v65
	v_cmp_lt_i32_e64 s[38:39], v50, v88
	v_cndmask_b32_e64 v50, v65, v50, s[38:39]
	v_lshlrev_b32_e32 v89, 2, v50
	ds_bpermute_b32 v90, v89, v64
	v_add_co_u32_e64 v50, s[38:39], v68, v60
	v_addc_co_u32_e64 v51, s[38:39], v69, v61, s[38:39]
	v_xor_b32_e32 v61, 16, v65
	v_cmp_lt_i32_e64 s[38:39], v61, v88
	s_waitcnt lgkmcnt(0)
	v_max_f32_e32 v60, v90, v90
	v_cndmask_b32_e64 v61, v65, v61, s[38:39]
	v_max_f32_e32 v60, v64, v60
	v_lshlrev_b32_e32 v90, 2, v61
	ds_bpermute_b32 v61, v90, v60
	v_add_co_u32_e64 v58, s[38:39], v68, v58
	v_addc_co_u32_e64 v59, s[38:39], v69, v59, s[38:39]
	s_waitcnt lgkmcnt(0)
	v_max_f32_e32 v61, v61, v61
	v_max_f32_e32 v88, v60, v61
	v_sub_f32_e32 v60, v62, v88
	v_mul_f32_e32 v60, 0x3fb8aa3b, v60
	v_exp_f32_e32 v68, v60
	v_sub_f32_e32 v60, v63, v88
	v_mul_f32_e32 v60, 0x3fb8aa3b, v60
	global_load_dwordx4 v[54:57], v[50:51], off
	s_nop 0
	global_load_dwordx4 v[50:53], v[50:51], off offset:16
	v_exp_f32_e32 v69, v60
	global_load_dwordx4 v[62:65], v[58:59], off
	s_nop 0
	global_load_dwordx4 v[58:61], v[58:59], off offset:16
	v_sub_f32_e32 v78, v78, v88
	v_mul_f32_e32 v78, 0x3fb8aa3b, v78
	v_sub_f32_e32 v79, v79, v88
	v_exp_f32_e32 v78, v78
	v_mul_f32_e32 v79, 0x3fb8aa3b, v79
	v_sub_f32_e32 v70, v70, v88
	v_exp_f32_e32 v79, v79
	v_mul_f32_e32 v70, 0x3fb8aa3b, v70
	v_sub_f32_e32 v71, v71, v88
	v_cndmask_b32_e64 v68, 0, v68, s[28:29]
	v_exp_f32_e32 v70, v70
	v_mul_f32_e32 v71, 0x3fb8aa3b, v71
	v_sub_f32_e32 v80, v80, v88
	v_add_f32_e32 v91, 0, v68
	v_cndmask_b32_e64 v69, 0, v69, s[30:31]
	v_exp_f32_e32 v71, v71
	v_mul_f32_e32 v80, 0x3fb8aa3b, v80
	v_sub_f32_e32 v81, v81, v88
	v_add_f32_e32 v91, v91, v69
	;; [unrolled: 5-line block ×10, first 2 shown]
	v_cndmask_b32_e64 v76, 0, v76, s[10:11]
	v_exp_f32_e32 v66, v66
	v_mul_f32_e32 v67, 0x3fb8aa3b, v67
	v_add_f32_e32 v91, v91, v76
	v_cndmask_b32_e64 v77, 0, v77, s[12:13]
	v_exp_f32_e32 v67, v67
	v_add_f32_e32 v91, v91, v77
	v_cndmask_b32_e64 v72, 0, v72, s[2:3]
	v_add_f32_e32 v91, v91, v72
	v_cndmask_b32_e64 v73, 0, v73, s[8:9]
	v_add_f32_e32 v91, v91, v73
	v_cndmask_b32_e32 v66, 0, v66, vcc
	v_add_f32_e32 v91, v91, v66
	v_cndmask_b32_e64 v67, 0, v67, s[0:1]
	v_add_f32_e32 v91, v91, v67
	ds_bpermute_b32 v89, v89, v91
	v_cmp_gt_u32_e32 vcc, 16, v86
	s_waitcnt lgkmcnt(0)
	s_barrier
	v_add_f32_e32 v89, v91, v89
	ds_bpermute_b32 v90, v90, v89
	s_and_saveexec_b64 s[0:1], vcc
	s_cbranch_execz .LBB145_13
; %bb.12:
	s_waitcnt lgkmcnt(0)
	v_add_f32_e32 v86, v89, v90
	v_lshlrev_b32_e32 v87, 2, v87
	ds_write2st64_b32 v87, v88, v86 offset1:1
.LBB145_13:
	s_or_b64 exec, exec, s[0:1]
	v_lshlrev_b32_e32 v87, 2, v83
	s_load_dword s2, s[4:5], 0x94
	s_waitcnt lgkmcnt(0)
	s_barrier
	ds_read2_b32 v[88:89], v87 offset1:16
	ds_read2_b32 v[90:91], v87 offset0:32 offset1:48
	ds_read2_b32 v[92:93], v87 offset0:64 offset1:80
	s_mul_i32 s3, s33, 14
	s_waitcnt lgkmcnt(2)
	v_max3_f32 v86, v88, s40, v89
	s_waitcnt lgkmcnt(1)
	v_max3_f32 v86, v86, v90, v91
	v_sub_f32_e32 v88, v88, v86
	v_mul_f32_e32 v88, 0x3fb8aa3b, v88
	v_exp_f32_e32 v94, v88
	v_sub_f32_e32 v88, v89, v86
	v_mul_f32_e32 v88, 0x3fb8aa3b, v88
	v_exp_f32_e32 v95, v88
	;; [unrolled: 3-line block ×3, first 2 shown]
	ds_read2_b32 v[88:89], v87 offset0:96 offset1:112
	v_sub_f32_e32 v87, v91, v86
	v_mul_f32_e32 v87, 0x3fb8aa3b, v87
	v_exp_f32_e32 v91, v87
	s_waitcnt lgkmcnt(1)
	v_fma_f32 v87, v94, v92, 0
	v_fmac_f32_e32 v87, v95, v93
	s_waitcnt lgkmcnt(0)
	v_fmac_f32_e32 v87, v90, v88
	v_fmac_f32_e32 v87, v91, v89
	v_add_f32_e32 v88, 0x358637bd, v87
	v_div_scale_f32 v89, s[0:1], v88, v88, 1.0
	v_rcp_f32_e32 v92, v89
	s_barrier
	v_fma_f32 v93, -v89, v92, 1.0
	v_fmac_f32_e32 v92, v93, v92
	v_div_scale_f32 v93, vcc, 1.0, v88, 1.0
	v_mul_f32_e32 v82, v93, v92
	v_fma_f32 v84, -v89, v82, v93
	v_fmac_f32_e32 v82, v84, v92
	v_fma_f32 v84, -v89, v82, v93
	v_div_fmas_f32 v82, v84, v92, v82
	v_cmp_eq_u32_e32 vcc, 1, v85
	v_cndmask_b32_e32 v84, v94, v95, vcc
	v_cmp_eq_u32_e32 vcc, 2, v85
	v_cndmask_b32_e32 v84, v84, v90, vcc
	v_cmp_eq_u32_e32 vcc, 3, v85
	v_div_fixup_f32 v82, v82, v88, 1.0
	v_cndmask_b32_e32 v84, v84, v91, vcc
	v_mul_f32_e32 v88, v84, v82
	v_pk_mul_f32 v[78:79], v[88:89], v[78:79] op_sel_hi:[0,1]
	v_cvt_f16_f32_e32 v78, v78
	v_cvt_f16_f32_e32 v79, v79
	v_pk_mul_f32 v[68:69], v[88:89], v[68:69] op_sel_hi:[0,1]
	v_cvt_f16_f32_e32 v68, v68
	v_cvt_f16_f32_e32 v69, v69
	v_pack_b32_f16 v91, v78, v79
	v_pk_mul_f32 v[78:79], v[88:89], v[80:81] op_sel_hi:[0,1]
	v_pk_mul_f32 v[70:71], v[88:89], v[70:71] op_sel_hi:[0,1]
	v_cvt_f16_f32_e32 v70, v70
	v_cvt_f16_f32_e32 v71, v71
	;; [unrolled: 1-line block ×4, first 2 shown]
	v_pack_b32_f16 v90, v68, v69
	v_lshlrev_b32_e32 v69, 3, v1
	v_lshlrev_b32_e32 v68, 5, v83
	;; [unrolled: 1-line block ×3, first 2 shown]
	v_or3_b32 v78, v78, v68, v69
	v_pack_b32_f16 v70, v70, v71
	v_pack_b32_f16 v71, v80, v79
	ds_write2st64_b64 v78, v[90:91], v[70:71] offset1:1
	v_pk_mul_f32 v[70:71], v[88:89], v[76:77] op_sel_hi:[0,1]
	v_pk_mul_f32 v[74:75], v[88:89], v[74:75] op_sel_hi:[0,1]
	v_cvt_f16_f32_e32 v69, v74
	v_cvt_f16_f32_e32 v74, v75
	;; [unrolled: 1-line block ×4, first 2 shown]
	v_pk_mul_f32 v[66:67], v[88:89], v[66:67] op_sel_hi:[0,1]
	v_pk_mul_f32 v[70:71], v[88:89], v[72:73] op_sel_hi:[0,1]
	v_cvt_f16_f32_e32 v70, v70
	v_cvt_f16_f32_e32 v71, v71
	;; [unrolled: 1-line block ×4, first 2 shown]
	v_pack_b32_f16 v66, v69, v74
	v_pack_b32_f16 v67, v75, v76
	;; [unrolled: 1-line block ×4, first 2 shown]
	v_cmp_gt_u32_e32 vcc, 14, v0
	ds_write2st64_b64 v78, v[66:67], v[70:71] offset0:2 offset1:3
	s_and_saveexec_b64 s[0:1], vcc
	s_cbranch_execz .LBB145_15
; %bb.14:
	v_add_co_u32_e32 v70, vcc, s27, v83
	v_addc_co_u32_e64 v71, s[12:13], 0, 0, vcc
	v_mov_b32_e32 v66, s3
	v_mov_b32_e32 v67, 0
	v_mad_u64_u32 v[70:71], s[12:13], s6, v66, v[70:71]
	v_mov_b32_e32 v66, s26
	s_load_dwordx4 s[8:11], s[4:5], 0x58
	s_mul_i32 s7, s7, s3
	v_mad_u64_u32 v[66:67], s[12:13], v70, s2, v[66:67]
	v_add_u32_e32 v69, s7, v71
	v_mov_b32_e32 v70, v67
	v_mad_u64_u32 v[70:71], s[12:13], v69, s2, v[70:71]
	v_mov_b32_e32 v67, v70
	v_lshlrev_b64 v[66:67], 2, v[66:67]
	s_waitcnt lgkmcnt(0)
	v_mov_b32_e32 v69, s11
	v_add_co_u32_e32 v70, vcc, s10, v66
	v_addc_co_u32_e32 v71, vcc, v69, v67, vcc
	v_mov_b32_e32 v69, s9
	v_add_co_u32_e32 v66, vcc, s8, v66
	v_addc_co_u32_e32 v67, vcc, v69, v67, vcc
	global_store_dword v[70:71], v86, off
	global_store_dword v[66:67], v87, off
.LBB145_15:
	s_or_b64 exec, exec, s[0:1]
	v_lshl_or_b32 v79, v1, 9, v68
	s_waitcnt lgkmcnt(0)
	s_barrier
	ds_read_b128 v[70:73], v79
	ds_read_b128 v[66:69], v79 offset:16
	s_waitcnt vmcnt(15) lgkmcnt(1)
	v_mfma_f32_16x16x16f16 v[74:77], v[46:47], v[70:71], 0
	s_mov_b32 s1, 0
	v_cmp_gt_u32_e32 vcc, 64, v0
	v_mfma_f32_16x16x16f16 v[46:49], v[48:49], v[72:73], v[74:77]
	s_waitcnt vmcnt(14) lgkmcnt(0)
	v_mfma_f32_16x16x16f16 v[46:49], v[42:43], v[66:67], v[46:49]
	v_mfma_f32_16x16x16f16 v[42:45], v[44:45], v[68:69], v[46:49]
	s_nop 7
	s_nop 1
	ds_read_b128 v[46:49], v79 offset:2048
	ds_read_b128 v[74:77], v79 offset:2064
	s_waitcnt vmcnt(13) lgkmcnt(1)
	v_mfma_f32_16x16x16f16 v[42:45], v[38:39], v[46:47], v[42:45]
	v_mfma_f32_16x16x16f16 v[38:41], v[40:41], v[48:49], v[42:45]
	s_waitcnt vmcnt(12) lgkmcnt(0)
	v_mfma_f32_16x16x16f16 v[38:41], v[34:35], v[74:75], v[38:41]
	v_mfma_f32_16x16x16f16 v[34:37], v[36:37], v[76:77], v[38:41]
	s_nop 7
	s_nop 1
	ds_read_b128 v[38:41], v79 offset:4096
	ds_read_b128 v[42:45], v79 offset:4112
	s_waitcnt vmcnt(11) lgkmcnt(1)
	v_mfma_f32_16x16x16f16 v[34:37], v[30:31], v[38:39], v[34:37]
	v_mfma_f32_16x16x16f16 v[30:33], v[32:33], v[40:41], v[34:37]
	s_waitcnt vmcnt(10) lgkmcnt(0)
	v_mfma_f32_16x16x16f16 v[30:33], v[26:27], v[42:43], v[30:33]
	v_mfma_f32_16x16x16f16 v[26:29], v[28:29], v[44:45], v[30:33]
	s_nop 7
	s_nop 1
	ds_read_b128 v[30:33], v79 offset:6144
	ds_read_b128 v[34:37], v79 offset:6160
	s_waitcnt lgkmcnt(0)
	s_barrier
	s_waitcnt vmcnt(9)
	v_mfma_f32_16x16x16f16 v[26:29], v[22:23], v[30:31], v[26:29]
	v_mfma_f32_16x16x16f16 v[22:25], v[24:25], v[32:33], v[26:29]
	s_waitcnt vmcnt(8)
	v_mfma_f32_16x16x16f16 v[22:25], v[18:19], v[34:35], v[22:25]
	v_mfma_f32_16x16x16f16 v[18:21], v[20:21], v[36:37], v[22:25]
	;; [unrolled: 3-line block ×4, first 2 shown]
	s_waitcnt vmcnt(5)
	v_mfma_f32_16x16x16f16 v[2:5], v[14:15], v[46:47], v[2:5]
	s_nop 7
	v_cvt_f16_f32_e32 v6, v18
	v_cvt_f16_f32_e32 v7, v19
	;; [unrolled: 1-line block ×4, first 2 shown]
	v_mfma_f32_16x16x16f16 v[2:5], v[16:17], v[48:49], v[2:5]
	s_waitcnt vmcnt(4)
	v_mfma_f32_16x16x16f16 v[2:5], v[10:11], v[74:75], v[2:5]
	v_mfma_f32_16x16x16f16 v[2:5], v[12:13], v[76:77], v[2:5]
	s_waitcnt vmcnt(3)
	v_mfma_f32_16x16x16f16 v[2:5], v[54:55], v[38:39], v[2:5]
	;; [unrolled: 3-line block ×5, first 2 shown]
	v_mfma_f32_16x16x16f16 v[2:5], v[60:61], v[36:37], v[2:5]
	s_nop 7
	s_nop 2
	v_cvt_f16_f32_e32 v10, v2
	v_cvt_f16_f32_e32 v11, v3
	;; [unrolled: 1-line block ×4, first 2 shown]
	v_pack_b32_f16 v2, v6, v7
	v_pack_b32_f16 v3, v8, v9
	;; [unrolled: 1-line block ×4, first 2 shown]
	ds_write2st64_b64 v78, v[2:3], v[4:5] offset1:1
	s_waitcnt lgkmcnt(0)
	s_barrier
	s_and_saveexec_b64 s[8:9], vcc
	s_cbranch_execz .LBB145_18
; %bb.16:
	v_lshlrev_b32_e32 v4, 6, v83
	v_lshlrev_b32_e32 v3, 4, v0
	v_lshl_or_b32 v0, v0, 10, v4
	v_lshlrev_b32_e32 v2, 5, v1
	v_and_b32_e32 v3, 16, v3
	v_and_b32_e32 v0, 0x1a00, v0
	v_or3_b32 v0, v0, v2, v3
	buffer_load_dword v3, off, s[44:47], 0  ; 4-byte Folded Reload
	s_load_dwordx2 s[4:5], s[4:5], 0x68
	s_lshl_b32 s2, s2, 7
	s_mul_i32 s0, s3, s6
	s_mul_hi_u32 s7, s0, s2
	s_mul_i32 s6, s0, s2
	s_lshl_b64 s[6:7], s[6:7], 1
	s_waitcnt lgkmcnt(0)
	s_add_u32 s3, s4, s6
	s_addc_u32 s4, s5, s7
	s_lshl_b32 s0, s26, 7
	s_lshl_b64 s[0:1], s[0:1], 1
	s_add_u32 s0, s3, s0
	ds_read_b128 v[6:9], v0 offset:256
	v_or_b32_e32 v2, 12, v1
	s_addc_u32 s1, s4, s1
	ds_read_b128 v[10:13], v0 offset:128
	ds_read_b128 v[14:17], v0
	v_add_u32_e32 v1, s27, v1
	v_mov_b32_e32 v4, s1
	v_add_u32_e32 v5, 4, v1
	s_waitcnt vmcnt(0)
	v_add_co_u32_e32 v3, vcc, s0, v3
	v_mad_u64_u32 v[18:19], s[0:1], v1, s2, 0
	v_addc_co_u32_e32 v4, vcc, 0, v4, vcc
	v_lshlrev_b64 v[18:19], 1, v[18:19]
	v_add_co_u32_e32 v18, vcc, v3, v18
	v_addc_co_u32_e32 v19, vcc, v4, v19, vcc
	s_waitcnt lgkmcnt(0)
	global_store_dwordx4 v[18:19], v[14:17], off
	v_add_u32_e32 v1, 8, v1
	v_mad_u64_u32 v[14:15], s[0:1], v5, s2, 0
	v_lshlrev_b64 v[14:15], 1, v[14:15]
	v_add_co_u32_e32 v14, vcc, v3, v14
	v_addc_co_u32_e32 v15, vcc, v4, v15, vcc
	global_store_dwordx4 v[14:15], v[10:13], off
	s_nop 0
	v_mad_u64_u32 v[10:11], s[0:1], v1, s2, 0
	v_lshlrev_b64 v[10:11], 1, v[10:11]
	v_add_co_u32_e32 v10, vcc, v3, v10
	v_addc_co_u32_e32 v11, vcc, v4, v11, vcc
	v_cmp_gt_u32_e32 vcc, 14, v2
	global_store_dwordx4 v[10:11], v[6:9], off
	s_and_b64 exec, exec, vcc
	s_cbranch_execz .LBB145_18
; %bb.17:
	ds_read_b128 v[6:9], v0 offset:384
	v_add_u32_e32 v0, s27, v2
	v_mad_u64_u32 v[0:1], s[0:1], v0, s2, 0
	v_lshlrev_b64 v[0:1], 1, v[0:1]
	v_add_co_u32_e32 v0, vcc, v3, v0
	v_addc_co_u32_e32 v1, vcc, v4, v1, vcc
	s_waitcnt lgkmcnt(0)
	global_store_dwordx4 v[0:1], v[6:9], off
.LBB145_18:
	s_endpgm
	.section	.rodata,"a",@progbits
	.p2align	6, 0x0
	.amdhsa_kernel _Z39paged_attention_ll4mi_QKV_mfma16_kernelIDF16_DF16_LN4vllm18Fp8KVCacheDataTypeE0EDF16_Li16ELi128ELi256ELb0ELi14EL8MFMAType0EEvPKT_PKT0_S8_ifPKiSA_SA_iPKfiiiPfSD_PS3_PT2_iSC_SC_
		.amdhsa_group_segment_fixed_size 8192
		.amdhsa_private_segment_fixed_size 8
		.amdhsa_kernarg_size 400
		.amdhsa_user_sgpr_count 6
		.amdhsa_user_sgpr_private_segment_buffer 1
		.amdhsa_user_sgpr_dispatch_ptr 0
		.amdhsa_user_sgpr_queue_ptr 0
		.amdhsa_user_sgpr_kernarg_segment_ptr 1
		.amdhsa_user_sgpr_dispatch_id 0
		.amdhsa_user_sgpr_flat_scratch_init 0
		.amdhsa_user_sgpr_kernarg_preload_length 0
		.amdhsa_user_sgpr_kernarg_preload_offset 0
		.amdhsa_user_sgpr_private_segment_size 0
		.amdhsa_uses_dynamic_stack 0
		.amdhsa_system_sgpr_private_segment_wavefront_offset 1
		.amdhsa_system_sgpr_workgroup_id_x 1
		.amdhsa_system_sgpr_workgroup_id_y 1
		.amdhsa_system_sgpr_workgroup_id_z 1
		.amdhsa_system_sgpr_workgroup_info 0
		.amdhsa_system_vgpr_workitem_id 0
		.amdhsa_next_free_vgpr 96
		.amdhsa_next_free_sgpr 48
		.amdhsa_accum_offset 96
		.amdhsa_reserve_vcc 1
		.amdhsa_reserve_flat_scratch 0
		.amdhsa_float_round_mode_32 0
		.amdhsa_float_round_mode_16_64 0
		.amdhsa_float_denorm_mode_32 3
		.amdhsa_float_denorm_mode_16_64 3
		.amdhsa_dx10_clamp 1
		.amdhsa_ieee_mode 1
		.amdhsa_fp16_overflow 0
		.amdhsa_tg_split 0
		.amdhsa_exception_fp_ieee_invalid_op 0
		.amdhsa_exception_fp_denorm_src 0
		.amdhsa_exception_fp_ieee_div_zero 0
		.amdhsa_exception_fp_ieee_overflow 0
		.amdhsa_exception_fp_ieee_underflow 0
		.amdhsa_exception_fp_ieee_inexact 0
		.amdhsa_exception_int_div_zero 0
	.end_amdhsa_kernel
	.section	.text._Z39paged_attention_ll4mi_QKV_mfma16_kernelIDF16_DF16_LN4vllm18Fp8KVCacheDataTypeE0EDF16_Li16ELi128ELi256ELb0ELi14EL8MFMAType0EEvPKT_PKT0_S8_ifPKiSA_SA_iPKfiiiPfSD_PS3_PT2_iSC_SC_,"axG",@progbits,_Z39paged_attention_ll4mi_QKV_mfma16_kernelIDF16_DF16_LN4vllm18Fp8KVCacheDataTypeE0EDF16_Li16ELi128ELi256ELb0ELi14EL8MFMAType0EEvPKT_PKT0_S8_ifPKiSA_SA_iPKfiiiPfSD_PS3_PT2_iSC_SC_,comdat
.Lfunc_end145:
	.size	_Z39paged_attention_ll4mi_QKV_mfma16_kernelIDF16_DF16_LN4vllm18Fp8KVCacheDataTypeE0EDF16_Li16ELi128ELi256ELb0ELi14EL8MFMAType0EEvPKT_PKT0_S8_ifPKiSA_SA_iPKfiiiPfSD_PS3_PT2_iSC_SC_, .Lfunc_end145-_Z39paged_attention_ll4mi_QKV_mfma16_kernelIDF16_DF16_LN4vllm18Fp8KVCacheDataTypeE0EDF16_Li16ELi128ELi256ELb0ELi14EL8MFMAType0EEvPKT_PKT0_S8_ifPKiSA_SA_iPKfiiiPfSD_PS3_PT2_iSC_SC_
                                        ; -- End function
	.section	.AMDGPU.csdata,"",@progbits
; Kernel info:
; codeLenInByte = 4672
; NumSgprs: 52
; NumVgprs: 96
; NumAgprs: 0
; TotalNumVgprs: 96
; ScratchSize: 8
; MemoryBound: 0
; FloatMode: 240
; IeeeMode: 1
; LDSByteSize: 8192 bytes/workgroup (compile time only)
; SGPRBlocks: 6
; VGPRBlocks: 11
; NumSGPRsForWavesPerEU: 52
; NumVGPRsForWavesPerEU: 96
; AccumOffset: 96
; Occupancy: 5
; WaveLimiterHint : 1
; COMPUTE_PGM_RSRC2:SCRATCH_EN: 1
; COMPUTE_PGM_RSRC2:USER_SGPR: 6
; COMPUTE_PGM_RSRC2:TRAP_HANDLER: 0
; COMPUTE_PGM_RSRC2:TGID_X_EN: 1
; COMPUTE_PGM_RSRC2:TGID_Y_EN: 1
; COMPUTE_PGM_RSRC2:TGID_Z_EN: 1
; COMPUTE_PGM_RSRC2:TIDIG_COMP_CNT: 0
; COMPUTE_PGM_RSRC3_GFX90A:ACCUM_OFFSET: 23
; COMPUTE_PGM_RSRC3_GFX90A:TG_SPLIT: 0
	.section	.text._Z39paged_attention_ll4mi_QKV_mfma16_kernelIDF16_DF16_LN4vllm18Fp8KVCacheDataTypeE0EDF16_Li16ELi128ELi256ELb0ELi15EL8MFMAType0EEvPKT_PKT0_S8_ifPKiSA_SA_iPKfiiiPfSD_PS3_PT2_iSC_SC_,"axG",@progbits,_Z39paged_attention_ll4mi_QKV_mfma16_kernelIDF16_DF16_LN4vllm18Fp8KVCacheDataTypeE0EDF16_Li16ELi128ELi256ELb0ELi15EL8MFMAType0EEvPKT_PKT0_S8_ifPKiSA_SA_iPKfiiiPfSD_PS3_PT2_iSC_SC_,comdat
	.protected	_Z39paged_attention_ll4mi_QKV_mfma16_kernelIDF16_DF16_LN4vllm18Fp8KVCacheDataTypeE0EDF16_Li16ELi128ELi256ELb0ELi15EL8MFMAType0EEvPKT_PKT0_S8_ifPKiSA_SA_iPKfiiiPfSD_PS3_PT2_iSC_SC_ ; -- Begin function _Z39paged_attention_ll4mi_QKV_mfma16_kernelIDF16_DF16_LN4vllm18Fp8KVCacheDataTypeE0EDF16_Li16ELi128ELi256ELb0ELi15EL8MFMAType0EEvPKT_PKT0_S8_ifPKiSA_SA_iPKfiiiPfSD_PS3_PT2_iSC_SC_
	.globl	_Z39paged_attention_ll4mi_QKV_mfma16_kernelIDF16_DF16_LN4vllm18Fp8KVCacheDataTypeE0EDF16_Li16ELi128ELi256ELb0ELi15EL8MFMAType0EEvPKT_PKT0_S8_ifPKiSA_SA_iPKfiiiPfSD_PS3_PT2_iSC_SC_
	.p2align	8
	.type	_Z39paged_attention_ll4mi_QKV_mfma16_kernelIDF16_DF16_LN4vllm18Fp8KVCacheDataTypeE0EDF16_Li16ELi128ELi256ELb0ELi15EL8MFMAType0EEvPKT_PKT0_S8_ifPKiSA_SA_iPKfiiiPfSD_PS3_PT2_iSC_SC_,@function
_Z39paged_attention_ll4mi_QKV_mfma16_kernelIDF16_DF16_LN4vllm18Fp8KVCacheDataTypeE0EDF16_Li16ELi128ELi256ELb0ELi15EL8MFMAType0EEvPKT_PKT0_S8_ifPKiSA_SA_iPKfiiiPfSD_PS3_PT2_iSC_SC_: ; @_Z39paged_attention_ll4mi_QKV_mfma16_kernelIDF16_DF16_LN4vllm18Fp8KVCacheDataTypeE0EDF16_Li16ELi128ELi256ELb0ELi15EL8MFMAType0EEvPKT_PKT0_S8_ifPKiSA_SA_iPKfiiiPfSD_PS3_PT2_iSC_SC_
; %bb.0:
	s_mov_b64 s[46:47], s[2:3]
	s_mov_b64 s[44:45], s[0:1]
	s_load_dwordx2 s[0:1], s[4:5], 0x30
	s_add_u32 s44, s44, s9
	s_addc_u32 s45, s45, 0
	s_mov_b32 s26, s7
	s_mov_b64 s[10:11], 0
	s_waitcnt lgkmcnt(0)
	s_cmp_lg_u64 s[0:1], 0
	s_cselect_b64 s[2:3], -1, 0
	s_and_b64 vcc, exec, s[2:3]
	s_cbranch_vccz .LBB146_7
; %bb.1:
	s_add_i32 s12, s6, 1
	s_mov_b32 s13, 0
	s_lshl_b64 s[14:15], s[12:13], 2
	s_add_u32 s14, s0, s14
	s_mov_b32 s7, s13
	s_addc_u32 s15, s1, s15
	s_lshl_b64 s[12:13], s[6:7], 2
	s_add_u32 s12, s0, s12
	s_addc_u32 s13, s1, s13
	s_load_dword s9, s[14:15], 0x0
	s_load_dword s16, s[12:13], 0x0
	s_waitcnt lgkmcnt(0)
	s_sub_i32 s9, s9, s16
	s_cmp_eq_u32 s9, 1
	s_cselect_b64 s[12:13], -1, 0
	s_andn2_b64 vcc, exec, s[10:11]
	s_cbranch_vccnz .LBB146_3
.LBB146_2:
	s_mov_b32 s7, 0
	s_mov_b64 s[12:13], -1
.LBB146_3:
	s_andn2_b64 vcc, exec, s[12:13]
	s_cbranch_vccnz .LBB146_18
; %bb.4:
	s_load_dwordx2 s[12:13], s[4:5], 0x28
	s_lshl_b64 s[10:11], s[6:7], 2
	s_waitcnt lgkmcnt(0)
	s_add_u32 s12, s12, s10
	s_addc_u32 s13, s13, s11
	s_load_dword s38, s[12:13], 0x0
	s_lshl_b32 s9, s26, 8
	s_waitcnt lgkmcnt(0)
	s_cmp_ge_i32 s9, s38
	s_cbranch_scc1 .LBB146_18
; %bb.5:
	s_add_i32 s15, s38, 15
	s_load_dwordx2 s[12:13], s[4:5], 0x20
	s_load_dword s14, s[4:5], 0x38
	s_ashr_i32 s16, s15, 31
	v_and_b32_e32 v1, 0xcf, v0
	s_lshr_b32 s16, s16, 28
	v_add_u32_e32 v1, s9, v1
	s_add_i32 s15, s15, s16
	v_ashrrev_i32_e32 v2, 31, v1
	s_ashr_i32 s18, s15, 4
	v_lshrrev_b32_e32 v6, 28, v2
	s_add_i32 s18, s18, -1
	v_add_u32_e32 v2, v1, v6
	s_waitcnt lgkmcnt(0)
	s_mul_i32 s14, s6, s14
	s_mov_b32 s15, 0
	v_ashrrev_i32_e32 v2, 4, v2
	v_mov_b32_e32 v7, s18
	v_cmp_gt_i32_e32 vcc, s38, v1
	s_lshl_b64 s[14:15], s[14:15], 2
	v_cndmask_b32_e32 v2, v7, v2, vcc
	s_add_u32 s16, s12, s14
	v_ashrrev_i32_e32 v3, 31, v2
	s_addc_u32 s17, s13, s15
	v_lshlrev_b64 v[2:3], 2, v[2:3]
	v_mov_b32_e32 v5, s17
	v_add_co_u32_e32 v4, vcc, s16, v2
	v_or_b32_e32 v2, 16, v1
	v_addc_co_u32_e32 v5, vcc, v5, v3, vcc
	v_add_u32_e32 v3, v2, v6
	v_ashrrev_i32_e32 v3, 4, v3
	v_cmp_gt_i32_e32 vcc, s38, v2
	v_cndmask_b32_e32 v2, v7, v3, vcc
	v_ashrrev_i32_e32 v3, 31, v2
	v_lshlrev_b64 v[2:3], 2, v[2:3]
	v_mov_b32_e32 v9, s17
	v_add_co_u32_e32 v8, vcc, s16, v2
	v_or_b32_e32 v2, 32, v1
	v_addc_co_u32_e32 v9, vcc, v9, v3, vcc
	v_add_u32_e32 v3, v2, v6
	v_ashrrev_i32_e32 v3, 4, v3
	v_cmp_gt_i32_e32 vcc, s38, v2
	v_cndmask_b32_e32 v2, v7, v3, vcc
	v_ashrrev_i32_e32 v3, 31, v2
	;; [unrolled: 10-line block ×3, first 2 shown]
	v_lshlrev_b64 v[2:3], 2, v[2:3]
	v_mov_b32_e32 v1, s17
	v_add_co_u32_e32 v12, vcc, s16, v2
	v_addc_co_u32_e32 v13, vcc, v1, v3, vcc
	global_load_dword v3, v[4:5], off
	global_load_dword v2, v[8:9], off
	;; [unrolled: 1-line block ×4, first 2 shown]
	s_load_dwordx4 s[12:15], s[4:5], 0x8
	s_andn2_b64 vcc, exec, s[2:3]
	s_cbranch_vccnz .LBB146_8
; %bb.6:
	s_add_u32 s0, s0, s10
	s_addc_u32 s1, s1, s11
	s_load_dword s19, s[0:1], 0x0
	s_branch .LBB146_9
.LBB146_7:
	s_mov_b64 s[12:13], 0
	s_branch .LBB146_2
.LBB146_8:
	s_mov_b32 s19, s6
.LBB146_9:
	s_load_dwordx4 s[0:3], s[4:5], 0x48
	v_lshrrev_b32_e32 v85, 6, v0
	v_bfe_u32 v1, v0, 4, 2
	v_and_b32_e32 v83, 15, v0
	v_lshl_or_b32 v4, v85, 2, v1
	v_lshlrev_b32_e32 v5, 3, v83
	v_and_b32_e32 v86, 63, v0
	s_mul_i32 s27, s8, 15
	v_cmp_gt_u32_e32 vcc, 15, v4
	v_lshlrev_b32_e32 v5, 1, v5
	buffer_store_dword v5, off, s[44:47], 0 ; 4-byte Folded Spill
	s_and_saveexec_b64 s[10:11], vcc
	s_cbranch_execz .LBB146_11
; %bb.10:
	s_load_dwordx2 s[20:21], s[4:5], 0x0
	s_waitcnt lgkmcnt(0)
	s_ashr_i32 s3, s0, 31
	s_mul_hi_u32 s22, s19, s0
	s_mul_i32 s3, s19, s3
	s_add_i32 s23, s22, s3
	s_mul_i32 s22, s19, s0
	v_add_lshl_u32 v8, v4, s27, 7
	s_lshl_b64 s[22:23], s[22:23], 1
	v_ashrrev_i32_e32 v9, 31, v8
	s_add_u32 s0, s20, s22
	v_lshlrev_b64 v[8:9], 1, v[8:9]
	v_add_co_u32_e32 v7, vcc, s0, v8
	buffer_load_dword v8, off, s[44:47], 0  ; 4-byte Folded Reload
	s_addc_u32 s3, s21, s23
	v_mov_b32_e32 v5, s3
	v_addc_co_u32_e32 v5, vcc, v5, v9, vcc
	v_lshlrev_b32_e32 v4, 5, v4
	s_waitcnt vmcnt(0)
	v_add_co_u32_e32 v8, vcc, v7, v8
	v_addc_co_u32_e32 v9, vcc, 0, v5, vcc
	global_load_dwordx4 v[8:11], v[8:9], off
	v_and_b32_e32 v5, 3, v0
	v_lshlrev_b32_e32 v7, 9, v83
	v_lshlrev_b32_e32 v5, 9, v5
	v_and_b32_e32 v7, 0x1800, v7
	v_or3_b32 v4, v7, v5, v4
	s_waitcnt vmcnt(0)
	ds_write_b128 v4, v[8:11]
.LBB146_11:
	s_or_b64 exec, exec, s[10:11]
	s_waitcnt lgkmcnt(0)
	s_mov_b32 s3, 0
	s_mul_i32 s2, s8, s2
	s_lshl_b64 s[2:3], s[2:3], 1
	s_add_u32 s8, s12, s2
	v_lshlrev_b32_e32 v7, 4, v0
	s_addc_u32 s10, s13, s3
	v_and_b32_e32 v4, 0xf0, v7
	v_mov_b32_e32 v5, s10
	v_add_co_u32_e32 v29, vcc, s8, v4
	v_addc_co_u32_e32 v30, vcc, 0, v5, vcc
	s_waitcnt vmcnt(4)
	v_mad_i64_i32 v[4:5], s[10:11], v3, s1, 0
	v_lshlrev_b64 v[4:5], 1, v[4:5]
	v_add_co_u32_e32 v3, vcc, v29, v4
	v_addc_co_u32_e32 v4, vcc, v30, v5, vcc
	v_and_b32_e32 v31, 0x300, v7
	v_add_co_u32_e32 v22, vcc, v3, v31
	v_addc_co_u32_e32 v23, vcc, 0, v4, vcc
	s_load_dword s33, s[4:5], 0x98
	s_load_dword s0, s[4:5], 0x1c
	s_waitcnt lgkmcnt(0)
	s_barrier
	global_load_dwordx4 v[10:13], v[22:23], off
	global_load_dwordx4 v[18:21], v[22:23], off offset:1024
	s_waitcnt vmcnt(5)
	v_mad_i64_i32 v[2:3], s[10:11], v2, s1, 0
	v_lshlrev_b64 v[2:3], 1, v[2:3]
	v_add_co_u32_e32 v2, vcc, v29, v2
	v_addc_co_u32_e32 v3, vcc, v30, v3, vcc
	v_add_co_u32_e32 v24, vcc, v2, v31
	v_addc_co_u32_e32 v25, vcc, 0, v3, vcc
	global_load_dwordx4 v[14:17], v[24:25], off
	global_load_dwordx4 v[38:41], v[24:25], off offset:1024
	v_cmp_ne_u32_e32 vcc, 15, v83
	v_cndmask_b32_e32 v2, 0, v83, vcc
	v_lshlrev_b32_e32 v2, 5, v2
	v_lshl_or_b32 v32, v1, 9, v2
	ds_read_b128 v[2:5], v32
	s_waitcnt vmcnt(6)
	v_mad_i64_i32 v[6:7], s[10:11], v6, s1, 0
	v_lshlrev_b64 v[26:27], 1, v[6:7]
	ds_read_b128 v[6:9], v32 offset:2048
	v_and_or_b32 v62, v0, 48, s9
	v_mov_b32_e32 v63, s18
	v_mov_b32_e32 v68, s17
	s_add_u32 s8, s14, s2
	v_lshl_or_b32 v87, v85, 4, v83
	v_lshlrev_b32_e32 v76, 5, v87
	s_mov_b32 s40, 0xff7fffff
	s_waitcnt vmcnt(3) lgkmcnt(1)
	v_mfma_f32_16x16x16f16 v[34:37], v[10:11], v[2:3], 0
	v_add_co_u32_e32 v10, vcc, v29, v26
	v_addc_co_u32_e32 v11, vcc, v30, v27, vcc
	v_add_co_u32_e32 v26, vcc, v10, v31
	v_addc_co_u32_e32 v27, vcc, 0, v11, vcc
	global_load_dwordx4 v[46:49], v[26:27], off
	global_load_dwordx4 v[58:61], v[26:27], off offset:1024
	s_waitcnt vmcnt(3)
	v_mfma_f32_16x16x16f16 v[42:45], v[14:15], v[2:3], 0
	v_cmp_gt_i32_e32 vcc, s38, v62
	v_mfma_f32_16x16x16f16 v[14:17], v[16:17], v[4:5], v[42:45]
	s_nop 7
	s_nop 0
	global_load_dwordx4 v[42:45], v[22:23], off offset:2048
	v_mfma_f32_16x16x16f16 v[10:13], v[12:13], v[4:5], v[34:37]
	s_waitcnt vmcnt(3) lgkmcnt(0)
	v_mfma_f32_16x16x16f16 v[14:17], v[38:39], v[6:7], v[14:17]
	v_mfma_f32_16x16x16f16 v[10:13], v[18:19], v[6:7], v[10:13]
	;; [unrolled: 1-line block ×3, first 2 shown]
	global_load_dwordx4 v[38:41], v[22:23], off offset:3072
	v_mfma_f32_16x16x16f16 v[18:21], v[20:21], v[8:9], v[10:13]
	s_waitcnt vmcnt(3)
	v_mfma_f32_16x16x16f16 v[50:53], v[46:47], v[2:3], 0
	v_mfma_f32_16x16x16f16 v[34:37], v[48:49], v[4:5], v[50:53]
	global_load_dwordx4 v[46:49], v[24:25], off offset:2048
	s_nop 3
	ds_read_b128 v[10:13], v32 offset:4096
	s_nop 3
	ds_read_b128 v[50:53], v32 offset:6144
	global_load_dwordx4 v[22:25], v[24:25], off offset:3072
	v_mad_i64_i32 v[32:33], s[10:11], v28, s1, 0
	v_mov_b32_e32 v28, s17
	s_addc_u32 s10, s15, s3
	s_waitcnt vmcnt(3) lgkmcnt(1)
	v_mfma_f32_16x16x16f16 v[18:21], v[42:43], v[10:11], v[18:21]
	v_mfma_f32_16x16x16f16 v[18:21], v[44:45], v[12:13], v[18:21]
	global_load_dwordx4 v[42:45], v[26:27], off offset:2048
	s_waitcnt vmcnt(3) lgkmcnt(0)
	v_mfma_f32_16x16x16f16 v[18:21], v[38:39], v[50:51], v[18:21]
	v_or_b32_e32 v38, 64, v62
	v_ashrrev_i32_e32 v39, 4, v38
	v_mfma_f32_16x16x16f16 v[54:57], v[40:41], v[52:53], v[18:21]
	s_waitcnt vmcnt(2)
	v_mfma_f32_16x16x16f16 v[14:17], v[46:47], v[10:11], v[14:17]
	v_mfma_f32_16x16x16f16 v[14:17], v[48:49], v[12:13], v[14:17]
	global_load_dwordx4 v[46:49], v[26:27], off offset:3072
	v_lshlrev_b64 v[26:27], 1, v[32:33]
	v_ashrrev_i32_e32 v32, 4, v62
	v_cndmask_b32_e32 v32, v63, v32, vcc
	v_ashrrev_i32_e32 v33, 31, v32
	v_cmp_gt_i32_e32 vcc, s38, v38
	v_cndmask_b32_e32 v38, v63, v39, vcc
	s_waitcnt vmcnt(2)
	v_mfma_f32_16x16x16f16 v[14:17], v[22:23], v[50:51], v[14:17]
	v_lshlrev_b64 v[22:23], 2, v[32:33]
	v_add_co_u32_e32 v22, vcc, s16, v22
	v_addc_co_u32_e32 v23, vcc, v28, v23, vcc
	v_add_co_u32_e32 v18, vcc, v29, v26
	v_addc_co_u32_e32 v19, vcc, v30, v27, vcc
	;; [unrolled: 2-line block ×3, first 2 shown]
	v_mfma_f32_16x16x16f16 v[64:67], v[24:25], v[52:53], v[14:17]
	global_load_dword v30, v[22:23], off
	v_ashrrev_i32_e32 v39, 31, v38
	v_lshlrev_b64 v[32:33], 2, v[38:39]
	v_add_co_u32_e32 v18, vcc, s16, v32
	v_addc_co_u32_e32 v19, vcc, v68, v33, vcc
	s_nop 1
	global_load_dwordx4 v[14:17], v[26:27], off
	global_load_dword v31, v[18:19], off
	s_nop 0
	global_load_dwordx4 v[18:21], v[26:27], off offset:1024
	global_load_dwordx4 v[68:71], v[26:27], off offset:2048
	;; [unrolled: 1-line block ×3, first 2 shown]
	v_mfma_f32_16x16x16f16 v[22:25], v[58:59], v[6:7], v[34:37]
	v_or_b32_e32 v28, 0x80, v62
	v_ashrrev_i32_e32 v29, 4, v28
	v_cmp_gt_i32_e32 vcc, s38, v28
	v_cndmask_b32_e32 v28, v63, v29, vcc
	v_ashrrev_i32_e32 v29, 31, v28
	v_lshlrev_b64 v[28:29], 2, v[28:29]
	v_mov_b32_e32 v32, s17
	v_mfma_f32_16x16x16f16 v[22:25], v[60:61], v[8:9], v[22:25]
	v_add_co_u32_e32 v28, vcc, s16, v28
	v_addc_co_u32_e32 v29, vcc, v32, v29, vcc
	global_load_dword v32, v[28:29], off
	v_or_b32_e32 v28, 0xc0, v62
	v_ashrrev_i32_e32 v29, 4, v28
	v_cmp_gt_i32_e32 vcc, s38, v28
	v_cndmask_b32_e32 v28, v63, v29, vcc
	v_ashrrev_i32_e32 v29, 31, v28
	v_lshlrev_b64 v[28:29], 2, v[28:29]
	s_waitcnt vmcnt(8)
	v_mfma_f32_16x16x16f16 v[22:25], v[42:43], v[10:11], v[22:25]
	v_mov_b32_e32 v33, s17
	v_add_co_u32_e32 v28, vcc, s16, v28
	v_addc_co_u32_e32 v29, vcc, v33, v29, vcc
	global_load_dword v58, v[28:29], off
	v_mov_b32_e32 v26, s10
	v_mfma_f32_16x16x16f16 v[22:25], v[44:45], v[12:13], v[22:25]
	v_add_co_u32_e32 v77, vcc, s8, v76
	v_addc_co_u32_e32 v78, vcc, 0, v26, vcc
	v_pk_mul_f32 v[80:81], s[0:1], v[66:67] op_sel_hi:[0,1]
	s_waitcnt vmcnt(8)
	v_mfma_f32_16x16x16f16 v[22:25], v[46:47], v[50:51], v[22:25]
	v_mfma_f32_16x16x16f16 v[72:75], v[48:49], v[52:53], v[22:25]
	s_waitcnt vmcnt(7)
	s_nop 7
	s_nop 0
	v_mad_i64_i32 v[22:23], s[2:3], v30, s1, 0
	v_lshlrev_b64 v[62:63], 1, v[22:23]
	s_waitcnt vmcnt(6)
	v_mfma_f32_16x16x16f16 v[22:25], v[14:15], v[2:3], 0
	v_add_co_u32_e32 v2, vcc, v77, v62
	v_addc_co_u32_e32 v3, vcc, v78, v63, vcc
	global_load_dwordx4 v[46:49], v[2:3], off
	global_load_dwordx4 v[42:45], v[2:3], off offset:16
	s_waitcnt vmcnt(7)
	v_mad_i64_i32 v[2:3], s[2:3], v31, s1, 0
	v_lshlrev_b64 v[14:15], 1, v[2:3]
	v_mfma_f32_16x16x16f16 v[2:5], v[16:17], v[4:5], v[22:25]
	v_add_co_u32_e32 v16, vcc, v77, v14
	v_addc_co_u32_e32 v17, vcc, v78, v15, vcc
	global_load_dwordx4 v[38:41], v[16:17], off
	global_load_dwordx4 v[34:37], v[16:17], off offset:16
	s_waitcnt vmcnt(5)
	v_mad_i64_i32 v[16:17], s[2:3], v32, s1, 0
	v_mfma_f32_16x16x16f16 v[2:5], v[18:19], v[6:7], v[2:5]
	v_lshlrev_b64 v[60:61], 1, v[16:17]
	v_add_co_u32_e32 v6, vcc, v77, v60
	v_addc_co_u32_e32 v7, vcc, v78, v61, vcc
	global_load_dwordx4 v[30:33], v[6:7], off
	global_load_dwordx4 v[26:29], v[6:7], off offset:16
	s_waitcnt vmcnt(6)
	v_mad_i64_i32 v[6:7], s[2:3], v58, s1, 0
	v_mfma_f32_16x16x16f16 v[2:5], v[20:21], v[8:9], v[2:5]
	v_lshlrev_b64 v[58:59], 1, v[6:7]
	v_add_co_u32_e32 v6, vcc, v77, v58
	v_addc_co_u32_e32 v7, vcc, v78, v59, vcc
	global_load_dwordx4 v[22:25], v[6:7], off
	global_load_dwordx4 v[18:21], v[6:7], off offset:16
	v_or_b32_e32 v6, 0x800, v76
	v_mfma_f32_16x16x16f16 v[2:5], v[68:69], v[10:11], v[2:5]
	v_mov_b32_e32 v7, s10
	v_add_co_u32_e32 v68, vcc, s8, v6
	v_addc_co_u32_e32 v69, vcc, 0, v7, vcc
	v_pk_mul_f32 v[76:77], s[0:1], v[74:75] op_sel_hi:[0,1]
	v_pk_mul_f32 v[74:75], s[0:1], v[72:73] op_sel_hi:[0,1]
	v_mfma_f32_16x16x16f16 v[10:13], v[70:71], v[12:13], v[2:5]
	v_pk_mul_f32 v[78:79], s[0:1], v[56:57] op_sel_hi:[0,1]
	v_pk_mul_f32 v[70:71], s[0:1], v[64:65] op_sel_hi:[0,1]
	v_mfma_f32_16x16x16f16 v[92:95], v[88:89], v[50:51], v[10:13]
	s_nop 3
	v_add_co_u32_e32 v2, vcc, v68, v62
	v_addc_co_u32_e32 v3, vcc, v69, v63, vcc
	v_add_co_u32_e32 v62, vcc, v68, v14
	v_addc_co_u32_e32 v63, vcc, v69, v15, vcc
	v_mfma_f32_16x16x16f16 v[50:53], v[90:91], v[52:53], v[92:95]
	global_load_dwordx4 v[6:9], v[2:3], off
	s_nop 0
	global_load_dwordx4 v[2:5], v[2:3], off offset:16
	s_nop 0
	global_load_dwordx4 v[14:17], v[62:63], off
	global_load_dwordx4 v[10:13], v[62:63], off offset:16
	v_pk_mul_f32 v[62:63], s[0:1], v[54:55] op_sel_hi:[0,1]
	s_nop 3
	v_pk_mul_f32 v[72:73], s[0:1], v[50:51] op_sel_hi:[0,1]
	v_and_b32_e32 v50, 0xc0, v0
	v_add_u32_e32 v50, s9, v50
	v_lshl_or_b32 v50, v1, 2, v50
	v_pk_mul_f32 v[66:67], s[0:1], v[52:53] op_sel_hi:[0,1]
	v_or_b32_e32 v53, 1, v50
	v_mov_b32_e32 v51, 0xff7fffff
	v_cmp_gt_i32_e64 s[28:29], s38, v50
	v_cmp_gt_i32_e64 s[30:31], s38, v53
	v_cndmask_b32_e64 v52, v51, v62, s[28:29]
	v_cndmask_b32_e64 v53, v51, v63, s[30:31]
	v_max3_f32 v52, v52, s40, v53
	v_or_b32_e32 v53, 2, v50
	v_or_b32_e32 v54, 3, v50
	v_cmp_gt_i32_e64 s[34:35], s38, v53
	v_cmp_gt_i32_e64 s[36:37], s38, v54
	v_cndmask_b32_e64 v53, v51, v78, s[34:35]
	v_cndmask_b32_e64 v54, v51, v79, s[36:37]
	v_max3_f32 v52, v52, v53, v54
	v_or_b32_e32 v53, 16, v50
	v_or_b32_e32 v54, 17, v50
	;; [unrolled: 7-line block ×7, first 2 shown]
	v_cmp_gt_i32_e32 vcc, s38, v53
	v_cmp_gt_i32_e64 s[0:1], s38, v50
	v_cndmask_b32_e32 v53, v51, v66, vcc
	v_cndmask_b32_e64 v50, v51, v67, s[0:1]
	v_max3_f32 v64, v52, v53, v50
	v_mbcnt_lo_u32_b32 v50, -1, 0
	v_mbcnt_hi_u32_b32 v65, -1, v50
	v_and_b32_e32 v50, 64, v65
	v_add_u32_e32 v88, 64, v50
	v_xor_b32_e32 v50, 32, v65
	v_cmp_lt_i32_e64 s[38:39], v50, v88
	v_cndmask_b32_e64 v50, v65, v50, s[38:39]
	v_lshlrev_b32_e32 v89, 2, v50
	ds_bpermute_b32 v90, v89, v64
	v_add_co_u32_e64 v50, s[38:39], v68, v60
	v_addc_co_u32_e64 v51, s[38:39], v69, v61, s[38:39]
	v_xor_b32_e32 v61, 16, v65
	v_cmp_lt_i32_e64 s[38:39], v61, v88
	s_waitcnt lgkmcnt(0)
	v_max_f32_e32 v60, v90, v90
	v_cndmask_b32_e64 v61, v65, v61, s[38:39]
	v_max_f32_e32 v60, v64, v60
	v_lshlrev_b32_e32 v90, 2, v61
	ds_bpermute_b32 v61, v90, v60
	v_add_co_u32_e64 v58, s[38:39], v68, v58
	v_addc_co_u32_e64 v59, s[38:39], v69, v59, s[38:39]
	s_waitcnt lgkmcnt(0)
	v_max_f32_e32 v61, v61, v61
	v_max_f32_e32 v88, v60, v61
	v_sub_f32_e32 v60, v62, v88
	v_mul_f32_e32 v60, 0x3fb8aa3b, v60
	v_exp_f32_e32 v68, v60
	v_sub_f32_e32 v60, v63, v88
	v_mul_f32_e32 v60, 0x3fb8aa3b, v60
	global_load_dwordx4 v[54:57], v[50:51], off
	s_nop 0
	global_load_dwordx4 v[50:53], v[50:51], off offset:16
	v_exp_f32_e32 v69, v60
	global_load_dwordx4 v[62:65], v[58:59], off
	s_nop 0
	global_load_dwordx4 v[58:61], v[58:59], off offset:16
	v_sub_f32_e32 v78, v78, v88
	v_mul_f32_e32 v78, 0x3fb8aa3b, v78
	v_sub_f32_e32 v79, v79, v88
	v_exp_f32_e32 v78, v78
	v_mul_f32_e32 v79, 0x3fb8aa3b, v79
	v_sub_f32_e32 v70, v70, v88
	v_exp_f32_e32 v79, v79
	v_mul_f32_e32 v70, 0x3fb8aa3b, v70
	v_sub_f32_e32 v71, v71, v88
	v_cndmask_b32_e64 v68, 0, v68, s[28:29]
	v_exp_f32_e32 v70, v70
	v_mul_f32_e32 v71, 0x3fb8aa3b, v71
	v_sub_f32_e32 v80, v80, v88
	v_add_f32_e32 v91, 0, v68
	v_cndmask_b32_e64 v69, 0, v69, s[30:31]
	v_exp_f32_e32 v71, v71
	v_mul_f32_e32 v80, 0x3fb8aa3b, v80
	v_sub_f32_e32 v81, v81, v88
	v_add_f32_e32 v91, v91, v69
	v_cndmask_b32_e64 v78, 0, v78, s[34:35]
	v_exp_f32_e32 v80, v80
	v_mul_f32_e32 v81, 0x3fb8aa3b, v81
	v_sub_f32_e32 v74, v74, v88
	v_add_f32_e32 v91, v91, v78
	v_cndmask_b32_e64 v79, 0, v79, s[36:37]
	v_exp_f32_e32 v81, v81
	v_mul_f32_e32 v74, 0x3fb8aa3b, v74
	v_sub_f32_e32 v75, v75, v88
	v_add_f32_e32 v91, v91, v79
	v_cndmask_b32_e64 v70, 0, v70, s[22:23]
	v_exp_f32_e32 v74, v74
	v_mul_f32_e32 v75, 0x3fb8aa3b, v75
	v_sub_f32_e32 v76, v76, v88
	v_add_f32_e32 v91, v91, v70
	v_cndmask_b32_e64 v71, 0, v71, s[24:25]
	v_exp_f32_e32 v75, v75
	v_mul_f32_e32 v76, 0x3fb8aa3b, v76
	v_sub_f32_e32 v77, v77, v88
	v_add_f32_e32 v91, v91, v71
	v_cndmask_b32_e64 v80, 0, v80, s[18:19]
	v_exp_f32_e32 v76, v76
	v_mul_f32_e32 v77, 0x3fb8aa3b, v77
	v_sub_f32_e32 v72, v72, v88
	v_add_f32_e32 v91, v91, v80
	v_cndmask_b32_e64 v81, 0, v81, s[20:21]
	v_exp_f32_e32 v77, v77
	v_mul_f32_e32 v72, 0x3fb8aa3b, v72
	v_sub_f32_e32 v73, v73, v88
	v_add_f32_e32 v91, v91, v81
	v_cndmask_b32_e64 v74, 0, v74, s[14:15]
	v_exp_f32_e32 v72, v72
	v_mul_f32_e32 v73, 0x3fb8aa3b, v73
	v_sub_f32_e32 v66, v66, v88
	v_add_f32_e32 v91, v91, v74
	v_cndmask_b32_e64 v75, 0, v75, s[16:17]
	v_exp_f32_e32 v73, v73
	v_mul_f32_e32 v66, 0x3fb8aa3b, v66
	v_sub_f32_e32 v67, v67, v88
	v_add_f32_e32 v91, v91, v75
	v_cndmask_b32_e64 v76, 0, v76, s[10:11]
	v_exp_f32_e32 v66, v66
	v_mul_f32_e32 v67, 0x3fb8aa3b, v67
	v_add_f32_e32 v91, v91, v76
	v_cndmask_b32_e64 v77, 0, v77, s[12:13]
	v_exp_f32_e32 v67, v67
	v_add_f32_e32 v91, v91, v77
	v_cndmask_b32_e64 v72, 0, v72, s[2:3]
	v_add_f32_e32 v91, v91, v72
	v_cndmask_b32_e64 v73, 0, v73, s[8:9]
	v_add_f32_e32 v91, v91, v73
	v_cndmask_b32_e32 v66, 0, v66, vcc
	v_add_f32_e32 v91, v91, v66
	v_cndmask_b32_e64 v67, 0, v67, s[0:1]
	v_add_f32_e32 v91, v91, v67
	ds_bpermute_b32 v89, v89, v91
	v_cmp_gt_u32_e32 vcc, 16, v86
	s_waitcnt lgkmcnt(0)
	s_barrier
	v_add_f32_e32 v89, v91, v89
	ds_bpermute_b32 v90, v90, v89
	s_and_saveexec_b64 s[0:1], vcc
	s_cbranch_execz .LBB146_13
; %bb.12:
	s_waitcnt lgkmcnt(0)
	v_add_f32_e32 v86, v89, v90
	v_lshlrev_b32_e32 v87, 2, v87
	ds_write2st64_b32 v87, v88, v86 offset1:1
.LBB146_13:
	s_or_b64 exec, exec, s[0:1]
	v_lshlrev_b32_e32 v87, 2, v83
	s_load_dword s2, s[4:5], 0x94
	s_waitcnt lgkmcnt(0)
	s_barrier
	ds_read2_b32 v[88:89], v87 offset1:16
	ds_read2_b32 v[90:91], v87 offset0:32 offset1:48
	ds_read2_b32 v[92:93], v87 offset0:64 offset1:80
	s_mul_i32 s3, s33, 15
	s_waitcnt lgkmcnt(2)
	v_max3_f32 v86, v88, s40, v89
	s_waitcnt lgkmcnt(1)
	v_max3_f32 v86, v86, v90, v91
	v_sub_f32_e32 v88, v88, v86
	v_mul_f32_e32 v88, 0x3fb8aa3b, v88
	v_exp_f32_e32 v94, v88
	v_sub_f32_e32 v88, v89, v86
	v_mul_f32_e32 v88, 0x3fb8aa3b, v88
	v_exp_f32_e32 v95, v88
	;; [unrolled: 3-line block ×3, first 2 shown]
	ds_read2_b32 v[88:89], v87 offset0:96 offset1:112
	v_sub_f32_e32 v87, v91, v86
	v_mul_f32_e32 v87, 0x3fb8aa3b, v87
	v_exp_f32_e32 v91, v87
	s_waitcnt lgkmcnt(1)
	v_fma_f32 v87, v94, v92, 0
	v_fmac_f32_e32 v87, v95, v93
	s_waitcnt lgkmcnt(0)
	v_fmac_f32_e32 v87, v90, v88
	v_fmac_f32_e32 v87, v91, v89
	v_add_f32_e32 v88, 0x358637bd, v87
	v_div_scale_f32 v89, s[0:1], v88, v88, 1.0
	v_rcp_f32_e32 v92, v89
	s_barrier
	v_fma_f32 v93, -v89, v92, 1.0
	v_fmac_f32_e32 v92, v93, v92
	v_div_scale_f32 v93, vcc, 1.0, v88, 1.0
	v_mul_f32_e32 v82, v93, v92
	v_fma_f32 v84, -v89, v82, v93
	v_fmac_f32_e32 v82, v84, v92
	v_fma_f32 v84, -v89, v82, v93
	v_div_fmas_f32 v82, v84, v92, v82
	v_cmp_eq_u32_e32 vcc, 1, v85
	v_cndmask_b32_e32 v84, v94, v95, vcc
	v_cmp_eq_u32_e32 vcc, 2, v85
	v_cndmask_b32_e32 v84, v84, v90, vcc
	v_cmp_eq_u32_e32 vcc, 3, v85
	v_div_fixup_f32 v82, v82, v88, 1.0
	v_cndmask_b32_e32 v84, v84, v91, vcc
	v_mul_f32_e32 v88, v84, v82
	v_pk_mul_f32 v[78:79], v[88:89], v[78:79] op_sel_hi:[0,1]
	v_cvt_f16_f32_e32 v78, v78
	v_cvt_f16_f32_e32 v79, v79
	v_pk_mul_f32 v[68:69], v[88:89], v[68:69] op_sel_hi:[0,1]
	v_cvt_f16_f32_e32 v68, v68
	v_cvt_f16_f32_e32 v69, v69
	v_pack_b32_f16 v91, v78, v79
	v_pk_mul_f32 v[78:79], v[88:89], v[80:81] op_sel_hi:[0,1]
	v_pk_mul_f32 v[70:71], v[88:89], v[70:71] op_sel_hi:[0,1]
	v_cvt_f16_f32_e32 v70, v70
	v_cvt_f16_f32_e32 v71, v71
	;; [unrolled: 1-line block ×4, first 2 shown]
	v_pack_b32_f16 v90, v68, v69
	v_lshlrev_b32_e32 v69, 3, v1
	v_lshlrev_b32_e32 v68, 5, v83
	;; [unrolled: 1-line block ×3, first 2 shown]
	v_or3_b32 v78, v78, v68, v69
	v_pack_b32_f16 v70, v70, v71
	v_pack_b32_f16 v71, v80, v79
	ds_write2st64_b64 v78, v[90:91], v[70:71] offset1:1
	v_pk_mul_f32 v[70:71], v[88:89], v[76:77] op_sel_hi:[0,1]
	v_pk_mul_f32 v[74:75], v[88:89], v[74:75] op_sel_hi:[0,1]
	v_cvt_f16_f32_e32 v69, v74
	v_cvt_f16_f32_e32 v74, v75
	;; [unrolled: 1-line block ×4, first 2 shown]
	v_pk_mul_f32 v[66:67], v[88:89], v[66:67] op_sel_hi:[0,1]
	v_pk_mul_f32 v[70:71], v[88:89], v[72:73] op_sel_hi:[0,1]
	v_cvt_f16_f32_e32 v70, v70
	v_cvt_f16_f32_e32 v71, v71
	;; [unrolled: 1-line block ×4, first 2 shown]
	v_pack_b32_f16 v66, v69, v74
	v_pack_b32_f16 v67, v75, v76
	;; [unrolled: 1-line block ×4, first 2 shown]
	v_cmp_gt_u32_e32 vcc, 15, v0
	ds_write2st64_b64 v78, v[66:67], v[70:71] offset0:2 offset1:3
	s_and_saveexec_b64 s[0:1], vcc
	s_cbranch_execz .LBB146_15
; %bb.14:
	v_add_co_u32_e32 v70, vcc, s27, v83
	v_addc_co_u32_e64 v71, s[12:13], 0, 0, vcc
	v_mov_b32_e32 v66, s3
	v_mov_b32_e32 v67, 0
	v_mad_u64_u32 v[70:71], s[12:13], s6, v66, v[70:71]
	v_mov_b32_e32 v66, s26
	s_load_dwordx4 s[8:11], s[4:5], 0x58
	s_mul_i32 s7, s7, s3
	v_mad_u64_u32 v[66:67], s[12:13], v70, s2, v[66:67]
	v_add_u32_e32 v69, s7, v71
	v_mov_b32_e32 v70, v67
	v_mad_u64_u32 v[70:71], s[12:13], v69, s2, v[70:71]
	v_mov_b32_e32 v67, v70
	v_lshlrev_b64 v[66:67], 2, v[66:67]
	s_waitcnt lgkmcnt(0)
	v_mov_b32_e32 v69, s11
	v_add_co_u32_e32 v70, vcc, s10, v66
	v_addc_co_u32_e32 v71, vcc, v69, v67, vcc
	v_mov_b32_e32 v69, s9
	v_add_co_u32_e32 v66, vcc, s8, v66
	v_addc_co_u32_e32 v67, vcc, v69, v67, vcc
	global_store_dword v[70:71], v86, off
	global_store_dword v[66:67], v87, off
.LBB146_15:
	s_or_b64 exec, exec, s[0:1]
	v_lshl_or_b32 v79, v1, 9, v68
	s_waitcnt lgkmcnt(0)
	s_barrier
	ds_read_b128 v[70:73], v79
	ds_read_b128 v[66:69], v79 offset:16
	s_waitcnt vmcnt(15) lgkmcnt(1)
	v_mfma_f32_16x16x16f16 v[74:77], v[46:47], v[70:71], 0
	s_mov_b32 s1, 0
	v_cmp_gt_u32_e32 vcc, 64, v0
	v_mfma_f32_16x16x16f16 v[46:49], v[48:49], v[72:73], v[74:77]
	s_waitcnt vmcnt(14) lgkmcnt(0)
	v_mfma_f32_16x16x16f16 v[46:49], v[42:43], v[66:67], v[46:49]
	v_mfma_f32_16x16x16f16 v[42:45], v[44:45], v[68:69], v[46:49]
	s_nop 7
	s_nop 1
	ds_read_b128 v[46:49], v79 offset:2048
	ds_read_b128 v[74:77], v79 offset:2064
	s_waitcnt vmcnt(13) lgkmcnt(1)
	v_mfma_f32_16x16x16f16 v[42:45], v[38:39], v[46:47], v[42:45]
	v_mfma_f32_16x16x16f16 v[38:41], v[40:41], v[48:49], v[42:45]
	s_waitcnt vmcnt(12) lgkmcnt(0)
	v_mfma_f32_16x16x16f16 v[38:41], v[34:35], v[74:75], v[38:41]
	v_mfma_f32_16x16x16f16 v[34:37], v[36:37], v[76:77], v[38:41]
	s_nop 7
	s_nop 1
	ds_read_b128 v[38:41], v79 offset:4096
	ds_read_b128 v[42:45], v79 offset:4112
	s_waitcnt vmcnt(11) lgkmcnt(1)
	v_mfma_f32_16x16x16f16 v[34:37], v[30:31], v[38:39], v[34:37]
	v_mfma_f32_16x16x16f16 v[30:33], v[32:33], v[40:41], v[34:37]
	s_waitcnt vmcnt(10) lgkmcnt(0)
	v_mfma_f32_16x16x16f16 v[30:33], v[26:27], v[42:43], v[30:33]
	v_mfma_f32_16x16x16f16 v[26:29], v[28:29], v[44:45], v[30:33]
	s_nop 7
	s_nop 1
	ds_read_b128 v[30:33], v79 offset:6144
	ds_read_b128 v[34:37], v79 offset:6160
	s_waitcnt lgkmcnt(0)
	s_barrier
	s_waitcnt vmcnt(9)
	v_mfma_f32_16x16x16f16 v[26:29], v[22:23], v[30:31], v[26:29]
	v_mfma_f32_16x16x16f16 v[22:25], v[24:25], v[32:33], v[26:29]
	s_waitcnt vmcnt(8)
	v_mfma_f32_16x16x16f16 v[22:25], v[18:19], v[34:35], v[22:25]
	v_mfma_f32_16x16x16f16 v[18:21], v[20:21], v[36:37], v[22:25]
	;; [unrolled: 3-line block ×4, first 2 shown]
	s_waitcnt vmcnt(5)
	v_mfma_f32_16x16x16f16 v[2:5], v[14:15], v[46:47], v[2:5]
	s_nop 7
	v_cvt_f16_f32_e32 v6, v18
	v_cvt_f16_f32_e32 v7, v19
	;; [unrolled: 1-line block ×4, first 2 shown]
	v_mfma_f32_16x16x16f16 v[2:5], v[16:17], v[48:49], v[2:5]
	s_waitcnt vmcnt(4)
	v_mfma_f32_16x16x16f16 v[2:5], v[10:11], v[74:75], v[2:5]
	v_mfma_f32_16x16x16f16 v[2:5], v[12:13], v[76:77], v[2:5]
	s_waitcnt vmcnt(3)
	v_mfma_f32_16x16x16f16 v[2:5], v[54:55], v[38:39], v[2:5]
	;; [unrolled: 3-line block ×5, first 2 shown]
	v_mfma_f32_16x16x16f16 v[2:5], v[60:61], v[36:37], v[2:5]
	s_nop 7
	s_nop 2
	v_cvt_f16_f32_e32 v10, v2
	v_cvt_f16_f32_e32 v11, v3
	;; [unrolled: 1-line block ×4, first 2 shown]
	v_pack_b32_f16 v2, v6, v7
	v_pack_b32_f16 v3, v8, v9
	;; [unrolled: 1-line block ×4, first 2 shown]
	ds_write2st64_b64 v78, v[2:3], v[4:5] offset1:1
	s_waitcnt lgkmcnt(0)
	s_barrier
	s_and_saveexec_b64 s[8:9], vcc
	s_cbranch_execz .LBB146_18
; %bb.16:
	v_lshlrev_b32_e32 v4, 6, v83
	v_lshlrev_b32_e32 v3, 4, v0
	v_lshl_or_b32 v0, v0, 10, v4
	v_lshlrev_b32_e32 v2, 5, v1
	v_and_b32_e32 v3, 16, v3
	v_and_b32_e32 v0, 0x1a00, v0
	v_or3_b32 v0, v0, v2, v3
	buffer_load_dword v2, off, s[44:47], 0  ; 4-byte Folded Reload
	s_load_dwordx2 s[4:5], s[4:5], 0x68
	s_lshl_b32 s2, s2, 7
	s_mul_i32 s0, s3, s6
	s_mul_hi_u32 s7, s0, s2
	s_mul_i32 s6, s0, s2
	s_lshl_b64 s[6:7], s[6:7], 1
	s_waitcnt lgkmcnt(0)
	s_add_u32 s3, s4, s6
	s_addc_u32 s4, s5, s7
	s_lshl_b32 s0, s26, 7
	s_lshl_b64 s[0:1], s[0:1], 1
	s_add_u32 s0, s3, s0
	ds_read_b128 v[4:7], v0 offset:256
	s_addc_u32 s1, s4, s1
	ds_read_b128 v[8:11], v0 offset:128
	ds_read_b128 v[12:15], v0
	v_add_u32_e32 v18, s27, v1
	v_mov_b32_e32 v3, s1
	s_waitcnt vmcnt(0)
	v_add_co_u32_e32 v2, vcc, s0, v2
	v_mad_u64_u32 v[16:17], s[0:1], v18, s2, 0
	v_addc_co_u32_e32 v3, vcc, 0, v3, vcc
	v_lshlrev_b64 v[16:17], 1, v[16:17]
	v_add_co_u32_e32 v16, vcc, v2, v16
	v_addc_co_u32_e32 v17, vcc, v3, v17, vcc
	s_waitcnt lgkmcnt(0)
	global_store_dwordx4 v[16:17], v[12:15], off
	s_nop 0
	v_add_u32_e32 v12, 4, v18
	v_mad_u64_u32 v[12:13], s[0:1], v12, s2, 0
	v_lshlrev_b64 v[12:13], 1, v[12:13]
	v_add_co_u32_e32 v12, vcc, v2, v12
	v_addc_co_u32_e32 v13, vcc, v3, v13, vcc
	global_store_dwordx4 v[12:13], v[8:11], off
	s_nop 0
	v_add_u32_e32 v8, 8, v18
	v_mad_u64_u32 v[8:9], s[0:1], v8, s2, 0
	v_lshlrev_b64 v[8:9], 1, v[8:9]
	v_add_co_u32_e32 v8, vcc, v2, v8
	v_addc_co_u32_e32 v9, vcc, v3, v9, vcc
	v_cmp_ne_u32_e32 vcc, 3, v1
	global_store_dwordx4 v[8:9], v[4:7], off
	s_and_b64 exec, exec, vcc
	s_cbranch_execz .LBB146_18
; %bb.17:
	ds_read_b128 v[4:7], v0 offset:384
	v_add3_u32 v0, s27, v1, 12
	v_mad_u64_u32 v[0:1], s[0:1], v0, s2, 0
	v_lshlrev_b64 v[0:1], 1, v[0:1]
	v_add_co_u32_e32 v0, vcc, v2, v0
	v_addc_co_u32_e32 v1, vcc, v3, v1, vcc
	s_waitcnt lgkmcnt(0)
	global_store_dwordx4 v[0:1], v[4:7], off
.LBB146_18:
	s_endpgm
	.section	.rodata,"a",@progbits
	.p2align	6, 0x0
	.amdhsa_kernel _Z39paged_attention_ll4mi_QKV_mfma16_kernelIDF16_DF16_LN4vllm18Fp8KVCacheDataTypeE0EDF16_Li16ELi128ELi256ELb0ELi15EL8MFMAType0EEvPKT_PKT0_S8_ifPKiSA_SA_iPKfiiiPfSD_PS3_PT2_iSC_SC_
		.amdhsa_group_segment_fixed_size 8192
		.amdhsa_private_segment_fixed_size 8
		.amdhsa_kernarg_size 400
		.amdhsa_user_sgpr_count 6
		.amdhsa_user_sgpr_private_segment_buffer 1
		.amdhsa_user_sgpr_dispatch_ptr 0
		.amdhsa_user_sgpr_queue_ptr 0
		.amdhsa_user_sgpr_kernarg_segment_ptr 1
		.amdhsa_user_sgpr_dispatch_id 0
		.amdhsa_user_sgpr_flat_scratch_init 0
		.amdhsa_user_sgpr_kernarg_preload_length 0
		.amdhsa_user_sgpr_kernarg_preload_offset 0
		.amdhsa_user_sgpr_private_segment_size 0
		.amdhsa_uses_dynamic_stack 0
		.amdhsa_system_sgpr_private_segment_wavefront_offset 1
		.amdhsa_system_sgpr_workgroup_id_x 1
		.amdhsa_system_sgpr_workgroup_id_y 1
		.amdhsa_system_sgpr_workgroup_id_z 1
		.amdhsa_system_sgpr_workgroup_info 0
		.amdhsa_system_vgpr_workitem_id 0
		.amdhsa_next_free_vgpr 96
		.amdhsa_next_free_sgpr 48
		.amdhsa_accum_offset 96
		.amdhsa_reserve_vcc 1
		.amdhsa_reserve_flat_scratch 0
		.amdhsa_float_round_mode_32 0
		.amdhsa_float_round_mode_16_64 0
		.amdhsa_float_denorm_mode_32 3
		.amdhsa_float_denorm_mode_16_64 3
		.amdhsa_dx10_clamp 1
		.amdhsa_ieee_mode 1
		.amdhsa_fp16_overflow 0
		.amdhsa_tg_split 0
		.amdhsa_exception_fp_ieee_invalid_op 0
		.amdhsa_exception_fp_denorm_src 0
		.amdhsa_exception_fp_ieee_div_zero 0
		.amdhsa_exception_fp_ieee_overflow 0
		.amdhsa_exception_fp_ieee_underflow 0
		.amdhsa_exception_fp_ieee_inexact 0
		.amdhsa_exception_int_div_zero 0
	.end_amdhsa_kernel
	.section	.text._Z39paged_attention_ll4mi_QKV_mfma16_kernelIDF16_DF16_LN4vllm18Fp8KVCacheDataTypeE0EDF16_Li16ELi128ELi256ELb0ELi15EL8MFMAType0EEvPKT_PKT0_S8_ifPKiSA_SA_iPKfiiiPfSD_PS3_PT2_iSC_SC_,"axG",@progbits,_Z39paged_attention_ll4mi_QKV_mfma16_kernelIDF16_DF16_LN4vllm18Fp8KVCacheDataTypeE0EDF16_Li16ELi128ELi256ELb0ELi15EL8MFMAType0EEvPKT_PKT0_S8_ifPKiSA_SA_iPKfiiiPfSD_PS3_PT2_iSC_SC_,comdat
.Lfunc_end146:
	.size	_Z39paged_attention_ll4mi_QKV_mfma16_kernelIDF16_DF16_LN4vllm18Fp8KVCacheDataTypeE0EDF16_Li16ELi128ELi256ELb0ELi15EL8MFMAType0EEvPKT_PKT0_S8_ifPKiSA_SA_iPKfiiiPfSD_PS3_PT2_iSC_SC_, .Lfunc_end146-_Z39paged_attention_ll4mi_QKV_mfma16_kernelIDF16_DF16_LN4vllm18Fp8KVCacheDataTypeE0EDF16_Li16ELi128ELi256ELb0ELi15EL8MFMAType0EEvPKT_PKT0_S8_ifPKiSA_SA_iPKfiiiPfSD_PS3_PT2_iSC_SC_
                                        ; -- End function
	.section	.AMDGPU.csdata,"",@progbits
; Kernel info:
; codeLenInByte = 4672
; NumSgprs: 52
; NumVgprs: 96
; NumAgprs: 0
; TotalNumVgprs: 96
; ScratchSize: 8
; MemoryBound: 0
; FloatMode: 240
; IeeeMode: 1
; LDSByteSize: 8192 bytes/workgroup (compile time only)
; SGPRBlocks: 6
; VGPRBlocks: 11
; NumSGPRsForWavesPerEU: 52
; NumVGPRsForWavesPerEU: 96
; AccumOffset: 96
; Occupancy: 5
; WaveLimiterHint : 1
; COMPUTE_PGM_RSRC2:SCRATCH_EN: 1
; COMPUTE_PGM_RSRC2:USER_SGPR: 6
; COMPUTE_PGM_RSRC2:TRAP_HANDLER: 0
; COMPUTE_PGM_RSRC2:TGID_X_EN: 1
; COMPUTE_PGM_RSRC2:TGID_Y_EN: 1
; COMPUTE_PGM_RSRC2:TGID_Z_EN: 1
; COMPUTE_PGM_RSRC2:TIDIG_COMP_CNT: 0
; COMPUTE_PGM_RSRC3_GFX90A:ACCUM_OFFSET: 23
; COMPUTE_PGM_RSRC3_GFX90A:TG_SPLIT: 0
	.section	.text._Z39paged_attention_ll4mi_QKV_mfma16_kernelIDF16_DF16_LN4vllm18Fp8KVCacheDataTypeE0EDF16_Li16ELi128ELi256ELb0ELi16EL8MFMAType0EEvPKT_PKT0_S8_ifPKiSA_SA_iPKfiiiPfSD_PS3_PT2_iSC_SC_,"axG",@progbits,_Z39paged_attention_ll4mi_QKV_mfma16_kernelIDF16_DF16_LN4vllm18Fp8KVCacheDataTypeE0EDF16_Li16ELi128ELi256ELb0ELi16EL8MFMAType0EEvPKT_PKT0_S8_ifPKiSA_SA_iPKfiiiPfSD_PS3_PT2_iSC_SC_,comdat
	.protected	_Z39paged_attention_ll4mi_QKV_mfma16_kernelIDF16_DF16_LN4vllm18Fp8KVCacheDataTypeE0EDF16_Li16ELi128ELi256ELb0ELi16EL8MFMAType0EEvPKT_PKT0_S8_ifPKiSA_SA_iPKfiiiPfSD_PS3_PT2_iSC_SC_ ; -- Begin function _Z39paged_attention_ll4mi_QKV_mfma16_kernelIDF16_DF16_LN4vllm18Fp8KVCacheDataTypeE0EDF16_Li16ELi128ELi256ELb0ELi16EL8MFMAType0EEvPKT_PKT0_S8_ifPKiSA_SA_iPKfiiiPfSD_PS3_PT2_iSC_SC_
	.globl	_Z39paged_attention_ll4mi_QKV_mfma16_kernelIDF16_DF16_LN4vllm18Fp8KVCacheDataTypeE0EDF16_Li16ELi128ELi256ELb0ELi16EL8MFMAType0EEvPKT_PKT0_S8_ifPKiSA_SA_iPKfiiiPfSD_PS3_PT2_iSC_SC_
	.p2align	8
	.type	_Z39paged_attention_ll4mi_QKV_mfma16_kernelIDF16_DF16_LN4vllm18Fp8KVCacheDataTypeE0EDF16_Li16ELi128ELi256ELb0ELi16EL8MFMAType0EEvPKT_PKT0_S8_ifPKiSA_SA_iPKfiiiPfSD_PS3_PT2_iSC_SC_,@function
_Z39paged_attention_ll4mi_QKV_mfma16_kernelIDF16_DF16_LN4vllm18Fp8KVCacheDataTypeE0EDF16_Li16ELi128ELi256ELb0ELi16EL8MFMAType0EEvPKT_PKT0_S8_ifPKiSA_SA_iPKfiiiPfSD_PS3_PT2_iSC_SC_: ; @_Z39paged_attention_ll4mi_QKV_mfma16_kernelIDF16_DF16_LN4vllm18Fp8KVCacheDataTypeE0EDF16_Li16ELi128ELi256ELb0ELi16EL8MFMAType0EEvPKT_PKT0_S8_ifPKiSA_SA_iPKfiiiPfSD_PS3_PT2_iSC_SC_
; %bb.0:
	s_mov_b64 s[46:47], s[2:3]
	s_mov_b64 s[44:45], s[0:1]
	s_load_dwordx2 s[0:1], s[4:5], 0x30
	s_add_u32 s44, s44, s9
	s_addc_u32 s45, s45, 0
	s_mov_b32 s26, s7
	s_mov_b64 s[10:11], 0
	s_waitcnt lgkmcnt(0)
	s_cmp_lg_u64 s[0:1], 0
	s_cselect_b64 s[2:3], -1, 0
	s_and_b64 vcc, exec, s[2:3]
	s_cbranch_vccz .LBB147_7
; %bb.1:
	s_add_i32 s12, s6, 1
	s_mov_b32 s13, 0
	s_lshl_b64 s[14:15], s[12:13], 2
	s_add_u32 s14, s0, s14
	s_mov_b32 s7, s13
	s_addc_u32 s15, s1, s15
	s_lshl_b64 s[12:13], s[6:7], 2
	s_add_u32 s12, s0, s12
	s_addc_u32 s13, s1, s13
	s_load_dword s9, s[14:15], 0x0
	s_load_dword s16, s[12:13], 0x0
	s_waitcnt lgkmcnt(0)
	s_sub_i32 s9, s9, s16
	s_cmp_eq_u32 s9, 1
	s_cselect_b64 s[12:13], -1, 0
	s_andn2_b64 vcc, exec, s[10:11]
	s_cbranch_vccnz .LBB147_3
.LBB147_2:
	s_mov_b32 s7, 0
	s_mov_b64 s[12:13], -1
.LBB147_3:
	s_andn2_b64 vcc, exec, s[12:13]
	s_cbranch_vccnz .LBB147_17
; %bb.4:
	s_load_dwordx2 s[12:13], s[4:5], 0x28
	s_lshl_b64 s[10:11], s[6:7], 2
	s_waitcnt lgkmcnt(0)
	s_add_u32 s12, s12, s10
	s_addc_u32 s13, s13, s11
	s_load_dword s38, s[12:13], 0x0
	s_lshl_b32 s9, s26, 8
	s_waitcnt lgkmcnt(0)
	s_cmp_ge_i32 s9, s38
	s_cbranch_scc1 .LBB147_17
; %bb.5:
	s_add_i32 s15, s38, 15
	s_load_dwordx2 s[12:13], s[4:5], 0x20
	s_load_dword s14, s[4:5], 0x38
	s_ashr_i32 s16, s15, 31
	v_and_b32_e32 v1, 0xcf, v0
	s_lshr_b32 s16, s16, 28
	v_add_u32_e32 v1, s9, v1
	s_add_i32 s15, s15, s16
	v_ashrrev_i32_e32 v2, 31, v1
	s_ashr_i32 s18, s15, 4
	v_lshrrev_b32_e32 v6, 28, v2
	s_add_i32 s18, s18, -1
	v_add_u32_e32 v2, v1, v6
	s_waitcnt lgkmcnt(0)
	s_mul_i32 s14, s6, s14
	s_mov_b32 s15, 0
	v_ashrrev_i32_e32 v2, 4, v2
	v_mov_b32_e32 v7, s18
	v_cmp_gt_i32_e32 vcc, s38, v1
	s_lshl_b64 s[14:15], s[14:15], 2
	v_cndmask_b32_e32 v2, v7, v2, vcc
	s_add_u32 s16, s12, s14
	v_ashrrev_i32_e32 v3, 31, v2
	s_addc_u32 s17, s13, s15
	v_lshlrev_b64 v[2:3], 2, v[2:3]
	v_mov_b32_e32 v5, s17
	v_add_co_u32_e32 v4, vcc, s16, v2
	v_or_b32_e32 v2, 16, v1
	v_addc_co_u32_e32 v5, vcc, v5, v3, vcc
	v_add_u32_e32 v3, v2, v6
	v_ashrrev_i32_e32 v3, 4, v3
	v_cmp_gt_i32_e32 vcc, s38, v2
	v_cndmask_b32_e32 v2, v7, v3, vcc
	v_ashrrev_i32_e32 v3, 31, v2
	v_lshlrev_b64 v[2:3], 2, v[2:3]
	v_mov_b32_e32 v9, s17
	v_add_co_u32_e32 v8, vcc, s16, v2
	v_or_b32_e32 v2, 32, v1
	v_addc_co_u32_e32 v9, vcc, v9, v3, vcc
	v_add_u32_e32 v3, v2, v6
	v_ashrrev_i32_e32 v3, 4, v3
	v_cmp_gt_i32_e32 vcc, s38, v2
	v_cndmask_b32_e32 v2, v7, v3, vcc
	v_ashrrev_i32_e32 v3, 31, v2
	v_lshlrev_b64 v[2:3], 2, v[2:3]
	v_mov_b32_e32 v11, s17
	v_add_co_u32_e32 v10, vcc, s16, v2
	v_or_b32_e32 v1, 48, v1
	v_addc_co_u32_e32 v11, vcc, v11, v3, vcc
	v_add_u32_e32 v2, v1, v6
	v_ashrrev_i32_e32 v2, 4, v2
	v_cmp_gt_i32_e32 vcc, s38, v1
	v_cndmask_b32_e32 v2, v7, v2, vcc
	v_ashrrev_i32_e32 v3, 31, v2
	v_lshlrev_b64 v[2:3], 2, v[2:3]
	v_mov_b32_e32 v1, s17
	v_add_co_u32_e32 v12, vcc, s16, v2
	v_addc_co_u32_e32 v13, vcc, v1, v3, vcc
	global_load_dword v3, v[4:5], off
	global_load_dword v2, v[8:9], off
	global_load_dword v6, v[10:11], off
	global_load_dword v28, v[12:13], off
	s_load_dwordx4 s[12:15], s[4:5], 0x8
	s_andn2_b64 vcc, exec, s[2:3]
	s_cbranch_vccnz .LBB147_8
; %bb.6:
	s_add_u32 s0, s0, s10
	s_addc_u32 s1, s1, s11
	s_load_dword s19, s[0:1], 0x0
	s_branch .LBB147_9
.LBB147_7:
	s_mov_b64 s[12:13], 0
	s_branch .LBB147_2
.LBB147_8:
	s_mov_b32 s19, s6
.LBB147_9:
	s_load_dwordx4 s[0:3], s[4:5], 0x48
	v_and_b32_e32 v72, 15, v0
	v_lshlrev_b32_e32 v4, 3, v72
	s_waitcnt lgkmcnt(0)
	s_movk_i32 s3, 0x100
	v_lshrrev_b32_e32 v94, 6, v0
	v_and_b32_e32 v82, 63, v0
	v_bfe_u32 v1, v0, 4, 2
	s_lshl_b32 s27, s8, 4
	v_cmp_gt_u32_e32 vcc, s3, v0
	v_lshlrev_b32_e32 v4, 1, v4
	buffer_store_dword v4, off, s[44:47], 0 ; 4-byte Folded Spill
	s_and_saveexec_b64 s[10:11], vcc
	s_cbranch_execz .LBB147_11
; %bb.10:
	s_load_dwordx2 s[20:21], s[4:5], 0x0
	s_ashr_i32 s3, s0, 31
	s_mul_hi_u32 s22, s19, s0
	s_mul_i32 s3, s19, s3
	v_lshl_or_b32 v7, v94, 2, v1
	s_add_i32 s23, s22, s3
	s_mul_i32 s22, s19, s0
	s_lshl_b64 s[22:23], s[22:23], 1
	v_add_lshl_u32 v4, v7, s27, 7
	s_waitcnt lgkmcnt(0)
	s_add_u32 s0, s20, s22
	v_ashrrev_i32_e32 v5, 31, v4
	s_addc_u32 s3, s21, s23
	v_lshlrev_b64 v[4:5], 1, v[4:5]
	v_mov_b32_e32 v8, s3
	v_add_co_u32_e32 v4, vcc, s0, v4
	v_addc_co_u32_e32 v5, vcc, v8, v5, vcc
	buffer_load_dword v8, off, s[44:47], 0  ; 4-byte Folded Reload
	s_waitcnt vmcnt(0)
	v_add_co_u32_e32 v4, vcc, v4, v8
	v_addc_co_u32_e32 v5, vcc, 0, v5, vcc
	global_load_dwordx4 v[8:11], v[4:5], off
	v_and_b32_e32 v4, 3, v0
	v_lshlrev_b32_e32 v5, 5, v7
	v_lshlrev_b32_e32 v7, 9, v72
	v_lshlrev_b32_e32 v4, 9, v4
	v_and_b32_e32 v7, 0x1800, v7
	v_or3_b32 v4, v7, v4, v5
	s_waitcnt vmcnt(0)
	ds_write_b128 v4, v[8:11]
.LBB147_11:
	s_or_b64 exec, exec, s[10:11]
	s_mul_i32 s2, s8, s2
	s_mov_b32 s3, 0
	s_lshl_b64 s[2:3], s[2:3], 1
	s_add_u32 s8, s12, s2
	v_lshlrev_b32_e32 v7, 4, v0
	s_addc_u32 s10, s13, s3
	v_and_b32_e32 v4, 0xf0, v7
	v_mov_b32_e32 v5, s10
	v_add_co_u32_e32 v29, vcc, s8, v4
	v_addc_co_u32_e32 v30, vcc, 0, v5, vcc
	s_waitcnt vmcnt(4)
	v_mad_i64_i32 v[4:5], s[10:11], v3, s1, 0
	v_lshlrev_b64 v[4:5], 1, v[4:5]
	v_add_co_u32_e32 v3, vcc, v29, v4
	v_addc_co_u32_e32 v4, vcc, v30, v5, vcc
	v_and_b32_e32 v31, 0x300, v7
	v_add_co_u32_e32 v22, vcc, v3, v31
	v_addc_co_u32_e32 v23, vcc, 0, v4, vcc
	s_load_dword s33, s[4:5], 0x98
	s_load_dword s0, s[4:5], 0x1c
	s_waitcnt lgkmcnt(0)
	s_barrier
	global_load_dwordx4 v[10:13], v[22:23], off
	global_load_dwordx4 v[18:21], v[22:23], off offset:1024
	s_waitcnt vmcnt(5)
	v_mad_i64_i32 v[2:3], s[10:11], v2, s1, 0
	v_lshlrev_b64 v[2:3], 1, v[2:3]
	v_add_co_u32_e32 v2, vcc, v29, v2
	v_addc_co_u32_e32 v3, vcc, v30, v3, vcc
	v_add_co_u32_e32 v24, vcc, v2, v31
	v_addc_co_u32_e32 v25, vcc, 0, v3, vcc
	global_load_dwordx4 v[14:17], v[24:25], off
	global_load_dwordx4 v[36:39], v[24:25], off offset:1024
	v_lshlrev_b32_e32 v2, 5, v72
	v_lshl_or_b32 v85, v1, 9, v2
	buffer_store_dword v2, off, s[44:47], 0 offset:4 ; 4-byte Folded Spill
	ds_read_b128 v[2:5], v85
	s_waitcnt vmcnt(7)
	v_mad_i64_i32 v[6:7], s[10:11], v6, s1, 0
	v_lshlrev_b64 v[26:27], 1, v[6:7]
	ds_read_b128 v[6:9], v85 offset:2048
	v_and_or_b32 v62, v0, 48, s9
	v_mov_b32_e32 v63, s18
	v_mov_b32_e32 v68, s17
	s_add_u32 s8, s14, s2
	v_lshl_or_b32 v84, v94, 4, v72
	v_lshlrev_b32_e32 v76, 5, v84
	s_mov_b32 s40, 0xff7fffff
	v_mov_b32_e32 v95, v1
	s_waitcnt vmcnt(4) lgkmcnt(1)
	v_mfma_f32_16x16x16f16 v[32:35], v[10:11], v[2:3], 0
	v_add_co_u32_e32 v10, vcc, v29, v26
	v_addc_co_u32_e32 v11, vcc, v30, v27, vcc
	v_add_co_u32_e32 v26, vcc, v10, v31
	v_addc_co_u32_e32 v27, vcc, 0, v11, vcc
	global_load_dwordx4 v[44:47], v[26:27], off
	global_load_dwordx4 v[58:61], v[26:27], off offset:1024
	s_waitcnt vmcnt(4)
	v_mfma_f32_16x16x16f16 v[40:43], v[14:15], v[2:3], 0
	v_cmp_gt_i32_e32 vcc, s38, v62
	v_mfma_f32_16x16x16f16 v[14:17], v[16:17], v[4:5], v[40:43]
	s_nop 7
	s_nop 0
	global_load_dwordx4 v[40:43], v[22:23], off offset:2048
	v_mfma_f32_16x16x16f16 v[10:13], v[12:13], v[4:5], v[32:35]
	s_waitcnt vmcnt(4) lgkmcnt(0)
	v_mfma_f32_16x16x16f16 v[14:17], v[36:37], v[6:7], v[14:17]
	v_mfma_f32_16x16x16f16 v[10:13], v[18:19], v[6:7], v[10:13]
	;; [unrolled: 1-line block ×3, first 2 shown]
	global_load_dwordx4 v[36:39], v[22:23], off offset:3072
	v_mfma_f32_16x16x16f16 v[18:21], v[20:21], v[8:9], v[10:13]
	s_waitcnt vmcnt(3)
	v_mfma_f32_16x16x16f16 v[48:51], v[44:45], v[2:3], 0
	v_mfma_f32_16x16x16f16 v[32:35], v[46:47], v[4:5], v[48:51]
	global_load_dwordx4 v[44:47], v[24:25], off offset:2048
	s_nop 3
	ds_read_b128 v[10:13], v85 offset:4096
	s_nop 3
	ds_read_b128 v[50:53], v85 offset:6144
	global_load_dwordx4 v[22:25], v[24:25], off offset:3072
	v_mad_i64_i32 v[48:49], s[10:11], v28, s1, 0
	v_mov_b32_e32 v28, s17
	s_addc_u32 s10, s15, s3
	s_waitcnt vmcnt(3) lgkmcnt(1)
	v_mfma_f32_16x16x16f16 v[18:21], v[40:41], v[10:11], v[18:21]
	v_mfma_f32_16x16x16f16 v[18:21], v[42:43], v[12:13], v[18:21]
	global_load_dwordx4 v[40:43], v[26:27], off offset:2048
	s_waitcnt vmcnt(3) lgkmcnt(0)
	v_mfma_f32_16x16x16f16 v[18:21], v[36:37], v[50:51], v[18:21]
	v_mfma_f32_16x16x16f16 v[54:57], v[38:39], v[52:53], v[18:21]
	s_waitcnt vmcnt(2)
	v_mfma_f32_16x16x16f16 v[14:17], v[44:45], v[10:11], v[14:17]
	v_mfma_f32_16x16x16f16 v[14:17], v[46:47], v[12:13], v[14:17]
	global_load_dwordx4 v[44:47], v[26:27], off offset:3072
	v_lshlrev_b64 v[26:27], 1, v[48:49]
	v_ashrrev_i32_e32 v48, 4, v62
	v_cndmask_b32_e32 v36, v63, v48, vcc
	v_or_b32_e32 v49, 64, v62
	v_ashrrev_i32_e32 v37, 31, v36
	v_ashrrev_i32_e32 v48, 4, v49
	s_waitcnt vmcnt(2)
	v_mfma_f32_16x16x16f16 v[14:17], v[22:23], v[50:51], v[14:17]
	v_cmp_gt_i32_e32 vcc, s38, v49
	v_lshlrev_b64 v[22:23], 2, v[36:37]
	v_cndmask_b32_e32 v48, v63, v48, vcc
	v_add_co_u32_e32 v22, vcc, s16, v22
	v_addc_co_u32_e32 v23, vcc, v28, v23, vcc
	v_add_co_u32_e32 v18, vcc, v29, v26
	v_addc_co_u32_e32 v19, vcc, v30, v27, vcc
	;; [unrolled: 2-line block ×3, first 2 shown]
	v_mfma_f32_16x16x16f16 v[64:67], v[24:25], v[52:53], v[14:17]
	global_load_dword v30, v[22:23], off
	v_ashrrev_i32_e32 v49, 31, v48
	v_lshlrev_b64 v[36:37], 2, v[48:49]
	v_add_co_u32_e32 v18, vcc, s16, v36
	v_addc_co_u32_e32 v19, vcc, v68, v37, vcc
	s_nop 1
	global_load_dwordx4 v[14:17], v[26:27], off
	global_load_dword v31, v[18:19], off
	s_nop 0
	global_load_dwordx4 v[18:21], v[26:27], off offset:1024
	global_load_dwordx4 v[68:71], v[26:27], off offset:2048
	;; [unrolled: 1-line block ×3, first 2 shown]
	v_mfma_f32_16x16x16f16 v[22:25], v[58:59], v[6:7], v[32:35]
	v_or_b32_e32 v28, 0x80, v62
	v_ashrrev_i32_e32 v29, 4, v28
	v_cmp_gt_i32_e32 vcc, s38, v28
	v_cndmask_b32_e32 v28, v63, v29, vcc
	v_ashrrev_i32_e32 v29, 31, v28
	v_lshlrev_b64 v[28:29], 2, v[28:29]
	s_nop 0
	v_mov_b32_e32 v32, s17
	v_mfma_f32_16x16x16f16 v[22:25], v[60:61], v[8:9], v[22:25]
	v_add_co_u32_e32 v28, vcc, s16, v28
	v_addc_co_u32_e32 v29, vcc, v32, v29, vcc
	global_load_dword v32, v[28:29], off
	v_or_b32_e32 v28, 0xc0, v62
	v_ashrrev_i32_e32 v29, 4, v28
	v_cmp_gt_i32_e32 vcc, s38, v28
	v_cndmask_b32_e32 v28, v63, v29, vcc
	v_ashrrev_i32_e32 v29, 31, v28
	v_lshlrev_b64 v[28:29], 2, v[28:29]
	s_waitcnt vmcnt(8)
	v_mfma_f32_16x16x16f16 v[22:25], v[40:41], v[10:11], v[22:25]
	v_mov_b32_e32 v33, s17
	v_add_co_u32_e32 v28, vcc, s16, v28
	v_addc_co_u32_e32 v29, vcc, v33, v29, vcc
	global_load_dword v58, v[28:29], off
	v_mov_b32_e32 v26, s10
	v_mfma_f32_16x16x16f16 v[22:25], v[42:43], v[12:13], v[22:25]
	v_add_co_u32_e32 v77, vcc, s8, v76
	v_addc_co_u32_e32 v78, vcc, 0, v26, vcc
	v_pk_mul_f32 v[80:81], s[0:1], v[66:67] op_sel_hi:[0,1]
	s_waitcnt vmcnt(8)
	v_mfma_f32_16x16x16f16 v[22:25], v[44:45], v[50:51], v[22:25]
	v_mfma_f32_16x16x16f16 v[72:75], v[46:47], v[52:53], v[22:25]
	s_waitcnt vmcnt(7)
	s_nop 7
	s_nop 0
	v_mad_i64_i32 v[22:23], s[2:3], v30, s1, 0
	v_lshlrev_b64 v[62:63], 1, v[22:23]
	s_waitcnt vmcnt(6)
	v_mfma_f32_16x16x16f16 v[22:25], v[14:15], v[2:3], 0
	v_add_co_u32_e32 v2, vcc, v77, v62
	v_addc_co_u32_e32 v3, vcc, v78, v63, vcc
	global_load_dwordx4 v[46:49], v[2:3], off
	global_load_dwordx4 v[42:45], v[2:3], off offset:16
	s_waitcnt vmcnt(7)
	v_mad_i64_i32 v[2:3], s[2:3], v31, s1, 0
	v_lshlrev_b64 v[14:15], 1, v[2:3]
	v_mfma_f32_16x16x16f16 v[2:5], v[16:17], v[4:5], v[22:25]
	v_add_co_u32_e32 v16, vcc, v77, v14
	v_addc_co_u32_e32 v17, vcc, v78, v15, vcc
	global_load_dwordx4 v[38:41], v[16:17], off
	global_load_dwordx4 v[34:37], v[16:17], off offset:16
	s_waitcnt vmcnt(5)
	v_mad_i64_i32 v[16:17], s[2:3], v32, s1, 0
	v_mfma_f32_16x16x16f16 v[2:5], v[18:19], v[6:7], v[2:5]
	v_lshlrev_b64 v[60:61], 1, v[16:17]
	v_add_co_u32_e32 v6, vcc, v77, v60
	v_addc_co_u32_e32 v7, vcc, v78, v61, vcc
	global_load_dwordx4 v[30:33], v[6:7], off
	global_load_dwordx4 v[26:29], v[6:7], off offset:16
	s_waitcnt vmcnt(6)
	v_mad_i64_i32 v[6:7], s[2:3], v58, s1, 0
	v_mfma_f32_16x16x16f16 v[2:5], v[20:21], v[8:9], v[2:5]
	v_lshlrev_b64 v[58:59], 1, v[6:7]
	v_add_co_u32_e32 v6, vcc, v77, v58
	v_addc_co_u32_e32 v7, vcc, v78, v59, vcc
	global_load_dwordx4 v[22:25], v[6:7], off
	global_load_dwordx4 v[18:21], v[6:7], off offset:16
	v_or_b32_e32 v6, 0x800, v76
	v_mfma_f32_16x16x16f16 v[2:5], v[68:69], v[10:11], v[2:5]
	v_mov_b32_e32 v7, s10
	v_add_co_u32_e32 v68, vcc, s8, v6
	v_addc_co_u32_e32 v69, vcc, 0, v7, vcc
	v_pk_mul_f32 v[76:77], s[0:1], v[74:75] op_sel_hi:[0,1]
	v_pk_mul_f32 v[74:75], s[0:1], v[72:73] op_sel_hi:[0,1]
	v_mfma_f32_16x16x16f16 v[10:13], v[70:71], v[12:13], v[2:5]
	v_pk_mul_f32 v[78:79], s[0:1], v[56:57] op_sel_hi:[0,1]
	v_pk_mul_f32 v[70:71], s[0:1], v[64:65] op_sel_hi:[0,1]
	v_mfma_f32_16x16x16f16 v[86:89], v[90:91], v[50:51], v[10:13]
	s_nop 3
	v_add_co_u32_e32 v2, vcc, v68, v62
	v_addc_co_u32_e32 v3, vcc, v69, v63, vcc
	v_add_co_u32_e32 v62, vcc, v68, v14
	v_addc_co_u32_e32 v63, vcc, v69, v15, vcc
	v_mfma_f32_16x16x16f16 v[50:53], v[92:93], v[52:53], v[86:89]
	global_load_dwordx4 v[6:9], v[2:3], off
	s_nop 0
	global_load_dwordx4 v[2:5], v[2:3], off offset:16
	s_nop 0
	global_load_dwordx4 v[14:17], v[62:63], off
	global_load_dwordx4 v[10:13], v[62:63], off offset:16
	v_pk_mul_f32 v[62:63], s[0:1], v[54:55] op_sel_hi:[0,1]
	s_nop 3
	v_pk_mul_f32 v[72:73], s[0:1], v[50:51] op_sel_hi:[0,1]
	v_and_b32_e32 v50, 0xc0, v0
	v_add_u32_e32 v50, s9, v50
	v_lshl_or_b32 v50, v1, 2, v50
	v_pk_mul_f32 v[66:67], s[0:1], v[52:53] op_sel_hi:[0,1]
	v_or_b32_e32 v53, 1, v50
	v_mov_b32_e32 v51, 0xff7fffff
	v_cmp_gt_i32_e64 s[28:29], s38, v50
	v_cmp_gt_i32_e64 s[30:31], s38, v53
	v_cndmask_b32_e64 v52, v51, v62, s[28:29]
	v_cndmask_b32_e64 v53, v51, v63, s[30:31]
	v_max3_f32 v52, v52, s40, v53
	v_or_b32_e32 v53, 2, v50
	v_or_b32_e32 v54, 3, v50
	v_cmp_gt_i32_e64 s[34:35], s38, v53
	v_cmp_gt_i32_e64 s[36:37], s38, v54
	v_cndmask_b32_e64 v53, v51, v78, s[34:35]
	v_cndmask_b32_e64 v54, v51, v79, s[36:37]
	v_max3_f32 v52, v52, v53, v54
	v_or_b32_e32 v53, 16, v50
	v_or_b32_e32 v54, 17, v50
	;; [unrolled: 7-line block ×7, first 2 shown]
	v_cmp_gt_i32_e32 vcc, s38, v53
	v_cmp_gt_i32_e64 s[0:1], s38, v50
	v_cndmask_b32_e32 v53, v51, v66, vcc
	v_cndmask_b32_e64 v50, v51, v67, s[0:1]
	v_max3_f32 v64, v52, v53, v50
	v_mbcnt_lo_u32_b32 v50, -1, 0
	v_mbcnt_hi_u32_b32 v65, -1, v50
	v_and_b32_e32 v50, 64, v65
	v_add_u32_e32 v83, 64, v50
	v_xor_b32_e32 v50, 32, v65
	v_cmp_lt_i32_e64 s[38:39], v50, v83
	v_cndmask_b32_e64 v50, v65, v50, s[38:39]
	v_lshlrev_b32_e32 v86, 2, v50
	ds_bpermute_b32 v87, v86, v64
	v_add_co_u32_e64 v50, s[38:39], v68, v60
	v_addc_co_u32_e64 v51, s[38:39], v69, v61, s[38:39]
	v_xor_b32_e32 v61, 16, v65
	v_cmp_lt_i32_e64 s[38:39], v61, v83
	s_waitcnt lgkmcnt(0)
	v_max_f32_e32 v60, v87, v87
	v_cndmask_b32_e64 v61, v65, v61, s[38:39]
	v_max_f32_e32 v60, v64, v60
	v_lshlrev_b32_e32 v83, 2, v61
	ds_bpermute_b32 v61, v83, v60
	v_add_co_u32_e64 v58, s[38:39], v68, v58
	v_addc_co_u32_e64 v59, s[38:39], v69, v59, s[38:39]
	s_waitcnt lgkmcnt(0)
	v_max_f32_e32 v61, v61, v61
	v_max_f32_e32 v90, v60, v61
	v_sub_f32_e32 v60, v62, v90
	v_mul_f32_e32 v60, 0x3fb8aa3b, v60
	v_exp_f32_e32 v68, v60
	v_sub_f32_e32 v60, v63, v90
	v_mul_f32_e32 v60, 0x3fb8aa3b, v60
	global_load_dwordx4 v[54:57], v[50:51], off
	s_nop 0
	global_load_dwordx4 v[50:53], v[50:51], off offset:16
	v_exp_f32_e32 v69, v60
	global_load_dwordx4 v[62:65], v[58:59], off
	s_nop 0
	global_load_dwordx4 v[58:61], v[58:59], off offset:16
	v_sub_f32_e32 v78, v78, v90
	v_mul_f32_e32 v78, 0x3fb8aa3b, v78
	v_sub_f32_e32 v79, v79, v90
	v_exp_f32_e32 v78, v78
	v_mul_f32_e32 v79, 0x3fb8aa3b, v79
	v_sub_f32_e32 v70, v70, v90
	v_exp_f32_e32 v79, v79
	v_mul_f32_e32 v70, 0x3fb8aa3b, v70
	v_sub_f32_e32 v71, v71, v90
	v_cndmask_b32_e64 v68, 0, v68, s[28:29]
	v_exp_f32_e32 v70, v70
	v_mul_f32_e32 v71, 0x3fb8aa3b, v71
	v_sub_f32_e32 v80, v80, v90
	v_add_f32_e32 v87, 0, v68
	v_cndmask_b32_e64 v69, 0, v69, s[30:31]
	v_exp_f32_e32 v71, v71
	v_mul_f32_e32 v80, 0x3fb8aa3b, v80
	v_sub_f32_e32 v81, v81, v90
	v_add_f32_e32 v87, v87, v69
	;; [unrolled: 5-line block ×10, first 2 shown]
	v_cndmask_b32_e64 v76, 0, v76, s[10:11]
	v_exp_f32_e32 v66, v66
	v_mul_f32_e32 v67, 0x3fb8aa3b, v67
	v_add_f32_e32 v87, v87, v76
	v_cndmask_b32_e64 v77, 0, v77, s[12:13]
	v_exp_f32_e32 v67, v67
	v_add_f32_e32 v87, v87, v77
	v_cndmask_b32_e64 v72, 0, v72, s[2:3]
	v_add_f32_e32 v87, v87, v72
	v_cndmask_b32_e64 v73, 0, v73, s[8:9]
	v_add_f32_e32 v87, v87, v73
	v_cndmask_b32_e32 v66, 0, v66, vcc
	v_add_f32_e32 v87, v87, v66
	v_cndmask_b32_e64 v67, 0, v67, s[0:1]
	v_add_f32_e32 v87, v87, v67
	ds_bpermute_b32 v86, v86, v87
	v_cmp_gt_u32_e32 vcc, 16, v82
	s_waitcnt lgkmcnt(0)
	s_barrier
	v_add_f32_e32 v91, v87, v86
	ds_bpermute_b32 v92, v83, v91
	s_and_saveexec_b64 s[0:1], vcc
	s_cbranch_execz .LBB147_13
; %bb.12:
	s_waitcnt lgkmcnt(0)
	v_add_f32_e32 v82, v91, v92
	v_lshlrev_b32_e32 v83, 2, v84
	ds_write2st64_b32 v83, v90, v82 offset1:1
.LBB147_13:
	s_or_b64 exec, exec, s[0:1]
	v_and_b32_e32 v1, 15, v0
	v_lshlrev_b32_e32 v82, 2, v1
	s_load_dword s2, s[4:5], 0x94
	s_waitcnt lgkmcnt(0)
	s_barrier
	ds_read2_b32 v[88:89], v82 offset1:16
	ds_read2_b32 v[90:91], v82 offset0:32 offset1:48
	ds_read2_b32 v[92:93], v82 offset0:64 offset1:80
	s_lshl_b32 s3, s33, 4
	s_waitcnt lgkmcnt(2)
	v_max3_f32 v83, v88, s40, v89
	s_waitcnt lgkmcnt(1)
	v_max3_f32 v87, v83, v90, v91
	v_sub_f32_e32 v83, v88, v87
	v_mul_f32_e32 v83, 0x3fb8aa3b, v83
	v_exp_f32_e32 v84, v83
	v_sub_f32_e32 v83, v89, v87
	v_mul_f32_e32 v83, 0x3fb8aa3b, v83
	v_exp_f32_e32 v86, v83
	;; [unrolled: 3-line block ×3, first 2 shown]
	ds_read2_b32 v[82:83], v82 offset0:96 offset1:112
	v_sub_f32_e32 v89, v91, v87
	v_mul_f32_e32 v89, 0x3fb8aa3b, v89
	v_exp_f32_e32 v90, v89
	s_waitcnt lgkmcnt(1)
	v_fma_f32 v89, v84, v92, 0
	v_fmac_f32_e32 v89, v86, v93
	s_waitcnt lgkmcnt(0)
	v_fmac_f32_e32 v89, v88, v82
	v_fmac_f32_e32 v89, v90, v83
	v_add_f32_e32 v82, 0x358637bd, v89
	v_div_scale_f32 v83, s[0:1], v82, v82, 1.0
	v_rcp_f32_e32 v91, v83
	s_barrier
	v_fma_f32 v92, -v83, v91, 1.0
	v_fmac_f32_e32 v91, v92, v91
	v_div_scale_f32 v92, vcc, 1.0, v82, 1.0
	v_mul_f32_e32 v93, v92, v91
	v_fma_f32 v1, -v83, v93, v92
	v_fmac_f32_e32 v93, v1, v91
	v_fma_f32 v1, -v83, v93, v92
	v_div_fmas_f32 v1, v1, v91, v93
	v_cmp_eq_u32_e32 vcc, 1, v94
	v_div_fixup_f32 v1, v1, v82, 1.0
	v_cndmask_b32_e32 v82, v84, v86, vcc
	v_cmp_eq_u32_e32 vcc, 2, v94
	v_cndmask_b32_e32 v82, v82, v88, vcc
	v_cmp_eq_u32_e32 vcc, 3, v94
	v_cndmask_b32_e32 v82, v82, v90, vcc
	v_mul_f32_e32 v82, v82, v1
	v_pk_mul_f32 v[78:79], v[82:83], v[78:79] op_sel_hi:[0,1]
	v_pk_mul_f32 v[68:69], v[82:83], v[68:69] op_sel_hi:[0,1]
	v_cvt_f16_f32_e32 v1, v68
	v_cvt_f16_f32_e32 v68, v69
	;; [unrolled: 1-line block ×4, first 2 shown]
	v_pk_mul_f32 v[70:71], v[82:83], v[70:71] op_sel_hi:[0,1]
	v_cvt_f16_f32_e32 v70, v70
	v_cvt_f16_f32_e32 v71, v71
	v_pack_b32_f16 v69, v69, v78
	v_pk_mul_f32 v[78:79], v[82:83], v[80:81] op_sel_hi:[0,1]
	buffer_load_dword v81, off, s[44:47], 0 offset:4 ; 4-byte Folded Reload
	v_cvt_f16_f32_e32 v80, v78
	v_cvt_f16_f32_e32 v79, v79
	v_pack_b32_f16 v68, v1, v68
	v_lshlrev_b32_e32 v1, 3, v95
	v_lshlrev_b32_e32 v78, 11, v94
	v_pack_b32_f16 v70, v70, v71
	v_pack_b32_f16 v71, v80, v79
	v_pk_mul_f32 v[66:67], v[82:83], v[66:67] op_sel_hi:[0,1]
	v_cmp_gt_u32_e32 vcc, 16, v0
	s_waitcnt vmcnt(0)
	v_or3_b32 v78, v78, v81, v1
	ds_write2st64_b64 v78, v[68:69], v[70:71] offset1:1
	v_pk_mul_f32 v[68:69], v[82:83], v[76:77] op_sel_hi:[0,1]
	v_pk_mul_f32 v[70:71], v[82:83], v[74:75] op_sel_hi:[0,1]
	v_cvt_f16_f32_e32 v1, v70
	v_cvt_f16_f32_e32 v70, v71
	;; [unrolled: 1-line block ×4, first 2 shown]
	v_pk_mul_f32 v[68:69], v[82:83], v[72:73] op_sel_hi:[0,1]
	v_cvt_f16_f32_e32 v68, v68
	v_cvt_f16_f32_e32 v69, v69
	;; [unrolled: 1-line block ×4, first 2 shown]
	v_pack_b32_f16 v66, v1, v70
	v_pack_b32_f16 v67, v71, v74
	;; [unrolled: 1-line block ×4, first 2 shown]
	ds_write2st64_b64 v78, v[66:67], v[68:69] offset0:2 offset1:3
	s_and_saveexec_b64 s[0:1], vcc
	s_cbranch_execz .LBB147_15
; %bb.14:
	v_or_b32_e32 v66, s27, v0
	v_mov_b32_e32 v67, 0
	v_mov_b32_e32 v1, s3
	v_mad_u64_u32 v[68:69], s[12:13], s6, v1, v[66:67]
	v_mov_b32_e32 v66, s26
	s_load_dwordx4 s[8:11], s[4:5], 0x58
	s_mul_i32 s7, s7, s3
	v_mad_u64_u32 v[66:67], s[12:13], v68, s2, v[66:67]
	v_add_u32_e32 v1, s7, v69
	v_mov_b32_e32 v68, v67
	v_mad_u64_u32 v[68:69], s[12:13], v1, s2, v[68:69]
	v_mov_b32_e32 v67, v68
	v_lshlrev_b64 v[66:67], 2, v[66:67]
	s_waitcnt lgkmcnt(0)
	v_mov_b32_e32 v1, s11
	v_add_co_u32_e32 v68, vcc, s10, v66
	v_addc_co_u32_e32 v69, vcc, v1, v67, vcc
	v_mov_b32_e32 v1, s9
	v_add_co_u32_e32 v66, vcc, s8, v66
	v_addc_co_u32_e32 v67, vcc, v1, v67, vcc
	global_store_dword v[68:69], v87, off
	global_store_dword v[66:67], v89, off
.LBB147_15:
	s_or_b64 exec, exec, s[0:1]
	s_waitcnt lgkmcnt(0)
	s_barrier
	ds_read_b128 v[70:73], v85
	ds_read_b128 v[66:69], v85 offset:16
	s_waitcnt lgkmcnt(1)
	v_mfma_f32_16x16x16f16 v[74:77], v[46:47], v[70:71], 0
	s_mov_b32 s1, 0
	v_cmp_gt_u32_e32 vcc, 64, v0
	v_mfma_f32_16x16x16f16 v[46:49], v[48:49], v[72:73], v[74:77]
	s_waitcnt lgkmcnt(0)
	v_mfma_f32_16x16x16f16 v[46:49], v[42:43], v[66:67], v[46:49]
	v_mfma_f32_16x16x16f16 v[42:45], v[44:45], v[68:69], v[46:49]
	s_nop 7
	s_nop 1
	ds_read_b128 v[46:49], v85 offset:2048
	ds_read_b128 v[74:77], v85 offset:2064
	s_waitcnt lgkmcnt(1)
	v_mfma_f32_16x16x16f16 v[42:45], v[38:39], v[46:47], v[42:45]
	v_mfma_f32_16x16x16f16 v[38:41], v[40:41], v[48:49], v[42:45]
	s_waitcnt lgkmcnt(0)
	v_mfma_f32_16x16x16f16 v[38:41], v[34:35], v[74:75], v[38:41]
	v_mfma_f32_16x16x16f16 v[34:37], v[36:37], v[76:77], v[38:41]
	s_nop 7
	s_nop 1
	ds_read_b128 v[38:41], v85 offset:4096
	ds_read_b128 v[42:45], v85 offset:4112
	s_waitcnt lgkmcnt(1)
	v_mfma_f32_16x16x16f16 v[34:37], v[30:31], v[38:39], v[34:37]
	v_mfma_f32_16x16x16f16 v[30:33], v[32:33], v[40:41], v[34:37]
	s_waitcnt lgkmcnt(0)
	v_mfma_f32_16x16x16f16 v[30:33], v[26:27], v[42:43], v[30:33]
	v_mfma_f32_16x16x16f16 v[26:29], v[28:29], v[44:45], v[30:33]
	s_nop 7
	s_nop 1
	ds_read_b128 v[30:33], v85 offset:6144
	ds_read_b128 v[34:37], v85 offset:6160
	s_waitcnt lgkmcnt(0)
	s_barrier
	v_mfma_f32_16x16x16f16 v[26:29], v[22:23], v[30:31], v[26:29]
	v_mfma_f32_16x16x16f16 v[22:25], v[24:25], v[32:33], v[26:29]
	;; [unrolled: 1-line block ×5, first 2 shown]
	s_nop 7
	s_nop 1
	v_cvt_f16_f32_e32 v1, v18
	v_mfma_f32_16x16x16f16 v[6:9], v[8:9], v[72:73], v[22:25]
	v_mfma_f32_16x16x16f16 v[6:9], v[2:3], v[66:67], v[6:9]
	;; [unrolled: 1-line block ×4, first 2 shown]
	s_nop 7
	s_nop 0
	v_cvt_f16_f32_e32 v6, v19
	v_cvt_f16_f32_e32 v7, v20
	;; [unrolled: 1-line block ×3, first 2 shown]
	v_mfma_f32_16x16x16f16 v[2:5], v[16:17], v[48:49], v[2:5]
	v_mfma_f32_16x16x16f16 v[2:5], v[10:11], v[74:75], v[2:5]
	v_mfma_f32_16x16x16f16 v[2:5], v[12:13], v[76:77], v[2:5]
	v_mfma_f32_16x16x16f16 v[2:5], v[54:55], v[38:39], v[2:5]
	v_mfma_f32_16x16x16f16 v[2:5], v[56:57], v[40:41], v[2:5]
	v_mfma_f32_16x16x16f16 v[2:5], v[50:51], v[42:43], v[2:5]
	v_mfma_f32_16x16x16f16 v[2:5], v[52:53], v[44:45], v[2:5]
	v_mfma_f32_16x16x16f16 v[2:5], v[62:63], v[30:31], v[2:5]
	v_mfma_f32_16x16x16f16 v[2:5], v[64:65], v[32:33], v[2:5]
	v_mfma_f32_16x16x16f16 v[2:5], v[58:59], v[34:35], v[2:5]
	v_mfma_f32_16x16x16f16 v[2:5], v[60:61], v[36:37], v[2:5]
	s_nop 7
	s_nop 2
	v_cvt_f16_f32_e32 v9, v2
	v_cvt_f16_f32_e32 v10, v3
	;; [unrolled: 1-line block ×4, first 2 shown]
	v_pack_b32_f16 v2, v1, v6
	v_pack_b32_f16 v3, v7, v8
	;; [unrolled: 1-line block ×4, first 2 shown]
	ds_write2st64_b64 v78, v[2:3], v[4:5] offset1:1
	s_waitcnt lgkmcnt(0)
	s_barrier
	s_and_saveexec_b64 s[8:9], vcc
	s_cbranch_execz .LBB147_17
; %bb.16:
	v_and_b32_e32 v3, 15, v0
	v_lshlrev_b32_e32 v3, 6, v3
	v_lshlrev_b32_e32 v2, 4, v0
	v_lshl_or_b32 v0, v0, 10, v3
	v_lshlrev_b32_e32 v1, 5, v95
	v_and_b32_e32 v2, 16, v2
	v_and_b32_e32 v0, 0x1a00, v0
	v_or3_b32 v0, v0, v1, v2
	ds_read_b128 v[2:5], v0
	ds_read_b128 v[6:9], v0 offset:128
	ds_read_b128 v[10:13], v0 offset:256
	ds_read_b128 v[14:17], v0 offset:384
	buffer_load_dword v1, off, s[44:47], 0  ; 4-byte Folded Reload
	s_load_dwordx2 s[4:5], s[4:5], 0x68
	s_lshl_b32 s7, s2, 7
	s_mul_i32 s0, s3, s6
	s_mul_hi_u32 s3, s0, s7
	s_mul_i32 s2, s0, s7
	s_lshl_b64 s[2:3], s[2:3], 1
	s_waitcnt lgkmcnt(0)
	s_add_u32 s2, s4, s2
	s_addc_u32 s3, s5, s3
	s_lshl_b32 s0, s26, 7
	s_lshl_b64 s[0:1], s[0:1], 1
	s_add_u32 s0, s2, s0
	s_addc_u32 s1, s3, s1
	v_mov_b32_e32 v0, s1
	v_or_b32_e32 v20, s27, v95
	s_waitcnt vmcnt(0)
	v_add_co_u32_e32 v18, vcc, s0, v1
	v_addc_co_u32_e32 v19, vcc, 0, v0, vcc
	v_mad_u64_u32 v[0:1], s[0:1], v20, s7, 0
	v_lshlrev_b64 v[0:1], 1, v[0:1]
	v_add_co_u32_e32 v0, vcc, v18, v0
	v_addc_co_u32_e32 v1, vcc, v19, v1, vcc
	global_store_dwordx4 v[0:1], v[2:5], off
	v_or_b32_e32 v0, 4, v20
	v_mad_u64_u32 v[0:1], s[0:1], v0, s7, 0
	v_lshlrev_b64 v[0:1], 1, v[0:1]
	v_add_co_u32_e32 v0, vcc, v18, v0
	v_addc_co_u32_e32 v1, vcc, v19, v1, vcc
	global_store_dwordx4 v[0:1], v[6:9], off
	v_or_b32_e32 v0, 8, v20
	;; [unrolled: 6-line block ×3, first 2 shown]
	v_mad_u64_u32 v[0:1], s[0:1], v0, s7, 0
	v_lshlrev_b64 v[0:1], 1, v[0:1]
	v_add_co_u32_e32 v0, vcc, v18, v0
	v_addc_co_u32_e32 v1, vcc, v19, v1, vcc
	global_store_dwordx4 v[0:1], v[14:17], off
.LBB147_17:
	s_endpgm
	.section	.rodata,"a",@progbits
	.p2align	6, 0x0
	.amdhsa_kernel _Z39paged_attention_ll4mi_QKV_mfma16_kernelIDF16_DF16_LN4vllm18Fp8KVCacheDataTypeE0EDF16_Li16ELi128ELi256ELb0ELi16EL8MFMAType0EEvPKT_PKT0_S8_ifPKiSA_SA_iPKfiiiPfSD_PS3_PT2_iSC_SC_
		.amdhsa_group_segment_fixed_size 8192
		.amdhsa_private_segment_fixed_size 12
		.amdhsa_kernarg_size 400
		.amdhsa_user_sgpr_count 6
		.amdhsa_user_sgpr_private_segment_buffer 1
		.amdhsa_user_sgpr_dispatch_ptr 0
		.amdhsa_user_sgpr_queue_ptr 0
		.amdhsa_user_sgpr_kernarg_segment_ptr 1
		.amdhsa_user_sgpr_dispatch_id 0
		.amdhsa_user_sgpr_flat_scratch_init 0
		.amdhsa_user_sgpr_kernarg_preload_length 0
		.amdhsa_user_sgpr_kernarg_preload_offset 0
		.amdhsa_user_sgpr_private_segment_size 0
		.amdhsa_uses_dynamic_stack 0
		.amdhsa_system_sgpr_private_segment_wavefront_offset 1
		.amdhsa_system_sgpr_workgroup_id_x 1
		.amdhsa_system_sgpr_workgroup_id_y 1
		.amdhsa_system_sgpr_workgroup_id_z 1
		.amdhsa_system_sgpr_workgroup_info 0
		.amdhsa_system_vgpr_workitem_id 0
		.amdhsa_next_free_vgpr 96
		.amdhsa_next_free_sgpr 48
		.amdhsa_accum_offset 96
		.amdhsa_reserve_vcc 1
		.amdhsa_reserve_flat_scratch 0
		.amdhsa_float_round_mode_32 0
		.amdhsa_float_round_mode_16_64 0
		.amdhsa_float_denorm_mode_32 3
		.amdhsa_float_denorm_mode_16_64 3
		.amdhsa_dx10_clamp 1
		.amdhsa_ieee_mode 1
		.amdhsa_fp16_overflow 0
		.amdhsa_tg_split 0
		.amdhsa_exception_fp_ieee_invalid_op 0
		.amdhsa_exception_fp_denorm_src 0
		.amdhsa_exception_fp_ieee_div_zero 0
		.amdhsa_exception_fp_ieee_overflow 0
		.amdhsa_exception_fp_ieee_underflow 0
		.amdhsa_exception_fp_ieee_inexact 0
		.amdhsa_exception_int_div_zero 0
	.end_amdhsa_kernel
	.section	.text._Z39paged_attention_ll4mi_QKV_mfma16_kernelIDF16_DF16_LN4vllm18Fp8KVCacheDataTypeE0EDF16_Li16ELi128ELi256ELb0ELi16EL8MFMAType0EEvPKT_PKT0_S8_ifPKiSA_SA_iPKfiiiPfSD_PS3_PT2_iSC_SC_,"axG",@progbits,_Z39paged_attention_ll4mi_QKV_mfma16_kernelIDF16_DF16_LN4vllm18Fp8KVCacheDataTypeE0EDF16_Li16ELi128ELi256ELb0ELi16EL8MFMAType0EEvPKT_PKT0_S8_ifPKiSA_SA_iPKfiiiPfSD_PS3_PT2_iSC_SC_,comdat
.Lfunc_end147:
	.size	_Z39paged_attention_ll4mi_QKV_mfma16_kernelIDF16_DF16_LN4vllm18Fp8KVCacheDataTypeE0EDF16_Li16ELi128ELi256ELb0ELi16EL8MFMAType0EEvPKT_PKT0_S8_ifPKiSA_SA_iPKfiiiPfSD_PS3_PT2_iSC_SC_, .Lfunc_end147-_Z39paged_attention_ll4mi_QKV_mfma16_kernelIDF16_DF16_LN4vllm18Fp8KVCacheDataTypeE0EDF16_Li16ELi128ELi256ELb0ELi16EL8MFMAType0EEvPKT_PKT0_S8_ifPKiSA_SA_iPKfiiiPfSD_PS3_PT2_iSC_SC_
                                        ; -- End function
	.section	.AMDGPU.csdata,"",@progbits
; Kernel info:
; codeLenInByte = 4624
; NumSgprs: 52
; NumVgprs: 96
; NumAgprs: 0
; TotalNumVgprs: 96
; ScratchSize: 12
; MemoryBound: 0
; FloatMode: 240
; IeeeMode: 1
; LDSByteSize: 8192 bytes/workgroup (compile time only)
; SGPRBlocks: 6
; VGPRBlocks: 11
; NumSGPRsForWavesPerEU: 52
; NumVGPRsForWavesPerEU: 96
; AccumOffset: 96
; Occupancy: 5
; WaveLimiterHint : 1
; COMPUTE_PGM_RSRC2:SCRATCH_EN: 1
; COMPUTE_PGM_RSRC2:USER_SGPR: 6
; COMPUTE_PGM_RSRC2:TRAP_HANDLER: 0
; COMPUTE_PGM_RSRC2:TGID_X_EN: 1
; COMPUTE_PGM_RSRC2:TGID_Y_EN: 1
; COMPUTE_PGM_RSRC2:TGID_Z_EN: 1
; COMPUTE_PGM_RSRC2:TIDIG_COMP_CNT: 0
; COMPUTE_PGM_RSRC3_GFX90A:ACCUM_OFFSET: 23
; COMPUTE_PGM_RSRC3_GFX90A:TG_SPLIT: 0
	.section	.text._Z39paged_attention_ll4mi_QKV_mfma16_kernelIDF16_DF16_LN4vllm18Fp8KVCacheDataTypeE0EDF16_Li16ELi128ELi256ELb0ELi1EL8MFMAType0EEvPKT_PKT0_S8_ifPKiSA_SA_iPKfiiiPfSD_PS3_PT2_iSC_SC_,"axG",@progbits,_Z39paged_attention_ll4mi_QKV_mfma16_kernelIDF16_DF16_LN4vllm18Fp8KVCacheDataTypeE0EDF16_Li16ELi128ELi256ELb0ELi1EL8MFMAType0EEvPKT_PKT0_S8_ifPKiSA_SA_iPKfiiiPfSD_PS3_PT2_iSC_SC_,comdat
	.protected	_Z39paged_attention_ll4mi_QKV_mfma16_kernelIDF16_DF16_LN4vllm18Fp8KVCacheDataTypeE0EDF16_Li16ELi128ELi256ELb0ELi1EL8MFMAType0EEvPKT_PKT0_S8_ifPKiSA_SA_iPKfiiiPfSD_PS3_PT2_iSC_SC_ ; -- Begin function _Z39paged_attention_ll4mi_QKV_mfma16_kernelIDF16_DF16_LN4vllm18Fp8KVCacheDataTypeE0EDF16_Li16ELi128ELi256ELb0ELi1EL8MFMAType0EEvPKT_PKT0_S8_ifPKiSA_SA_iPKfiiiPfSD_PS3_PT2_iSC_SC_
	.globl	_Z39paged_attention_ll4mi_QKV_mfma16_kernelIDF16_DF16_LN4vllm18Fp8KVCacheDataTypeE0EDF16_Li16ELi128ELi256ELb0ELi1EL8MFMAType0EEvPKT_PKT0_S8_ifPKiSA_SA_iPKfiiiPfSD_PS3_PT2_iSC_SC_
	.p2align	8
	.type	_Z39paged_attention_ll4mi_QKV_mfma16_kernelIDF16_DF16_LN4vllm18Fp8KVCacheDataTypeE0EDF16_Li16ELi128ELi256ELb0ELi1EL8MFMAType0EEvPKT_PKT0_S8_ifPKiSA_SA_iPKfiiiPfSD_PS3_PT2_iSC_SC_,@function
_Z39paged_attention_ll4mi_QKV_mfma16_kernelIDF16_DF16_LN4vllm18Fp8KVCacheDataTypeE0EDF16_Li16ELi128ELi256ELb0ELi1EL8MFMAType0EEvPKT_PKT0_S8_ifPKiSA_SA_iPKfiiiPfSD_PS3_PT2_iSC_SC_: ; @_Z39paged_attention_ll4mi_QKV_mfma16_kernelIDF16_DF16_LN4vllm18Fp8KVCacheDataTypeE0EDF16_Li16ELi128ELi256ELb0ELi1EL8MFMAType0EEvPKT_PKT0_S8_ifPKiSA_SA_iPKfiiiPfSD_PS3_PT2_iSC_SC_
; %bb.0:
	s_mov_b64 s[46:47], s[2:3]
	s_mov_b64 s[44:45], s[0:1]
	s_load_dwordx2 s[0:1], s[4:5], 0x30
	s_add_u32 s44, s44, s9
	s_addc_u32 s45, s45, 0
	s_mov_b32 s9, s7
	s_mov_b64 s[10:11], 0
	s_waitcnt lgkmcnt(0)
	s_cmp_lg_u64 s[0:1], 0
	s_cselect_b64 s[2:3], -1, 0
	s_and_b64 vcc, exec, s[2:3]
	s_cbranch_vccz .LBB148_7
; %bb.1:
	s_add_i32 s12, s6, 1
	s_mov_b32 s13, 0
	s_lshl_b64 s[14:15], s[12:13], 2
	s_add_u32 s14, s0, s14
	s_mov_b32 s7, s13
	s_addc_u32 s15, s1, s15
	s_lshl_b64 s[12:13], s[6:7], 2
	s_add_u32 s12, s0, s12
	s_addc_u32 s13, s1, s13
	s_load_dword s16, s[14:15], 0x0
	s_load_dword s17, s[12:13], 0x0
	s_waitcnt lgkmcnt(0)
	s_sub_i32 s12, s16, s17
	s_cmp_eq_u32 s12, 1
	s_cselect_b64 s[12:13], -1, 0
	s_andn2_b64 vcc, exec, s[10:11]
	s_cbranch_vccnz .LBB148_3
.LBB148_2:
	s_mov_b32 s7, 0
	s_mov_b64 s[12:13], -1
.LBB148_3:
	s_andn2_b64 vcc, exec, s[12:13]
	s_cbranch_vccnz .LBB148_17
; %bb.4:
	s_load_dwordx2 s[12:13], s[4:5], 0x28
	s_lshl_b64 s[10:11], s[6:7], 2
	s_waitcnt lgkmcnt(0)
	s_add_u32 s12, s12, s10
	s_addc_u32 s13, s13, s11
	s_load_dword s33, s[12:13], 0x0
	s_lshl_b32 s16, s9, 8
	s_waitcnt lgkmcnt(0)
	s_cmp_ge_i32 s16, s33
	s_cbranch_scc1 .LBB148_17
; %bb.5:
	s_add_i32 s15, s33, 15
	s_load_dwordx2 s[12:13], s[4:5], 0x20
	s_load_dword s14, s[4:5], 0x38
	s_ashr_i32 s17, s15, 31
	v_and_b32_e32 v1, 0xcf, v0
	s_lshr_b32 s17, s17, 28
	v_add_u32_e32 v1, s16, v1
	s_add_i32 s15, s15, s17
	v_ashrrev_i32_e32 v2, 31, v1
	s_ashr_i32 s19, s15, 4
	v_lshrrev_b32_e32 v6, 28, v2
	s_add_i32 s19, s19, -1
	v_add_u32_e32 v2, v1, v6
	s_waitcnt lgkmcnt(0)
	s_mul_i32 s14, s6, s14
	s_mov_b32 s15, 0
	v_ashrrev_i32_e32 v2, 4, v2
	v_mov_b32_e32 v7, s19
	v_cmp_gt_i32_e32 vcc, s33, v1
	s_lshl_b64 s[14:15], s[14:15], 2
	v_cndmask_b32_e32 v2, v7, v2, vcc
	s_add_u32 s17, s12, s14
	v_ashrrev_i32_e32 v3, 31, v2
	s_addc_u32 s18, s13, s15
	v_lshlrev_b64 v[2:3], 2, v[2:3]
	v_mov_b32_e32 v5, s18
	v_add_co_u32_e32 v4, vcc, s17, v2
	v_or_b32_e32 v2, 16, v1
	v_addc_co_u32_e32 v5, vcc, v5, v3, vcc
	v_add_u32_e32 v3, v2, v6
	v_ashrrev_i32_e32 v3, 4, v3
	v_cmp_gt_i32_e32 vcc, s33, v2
	v_cndmask_b32_e32 v2, v7, v3, vcc
	v_ashrrev_i32_e32 v3, 31, v2
	v_lshlrev_b64 v[2:3], 2, v[2:3]
	v_mov_b32_e32 v9, s18
	v_add_co_u32_e32 v8, vcc, s17, v2
	v_or_b32_e32 v2, 32, v1
	v_addc_co_u32_e32 v9, vcc, v9, v3, vcc
	v_add_u32_e32 v3, v2, v6
	v_ashrrev_i32_e32 v3, 4, v3
	v_cmp_gt_i32_e32 vcc, s33, v2
	v_cndmask_b32_e32 v2, v7, v3, vcc
	v_ashrrev_i32_e32 v3, 31, v2
	;; [unrolled: 10-line block ×3, first 2 shown]
	v_lshlrev_b64 v[2:3], 2, v[2:3]
	v_mov_b32_e32 v1, s18
	v_add_co_u32_e32 v12, vcc, s17, v2
	v_addc_co_u32_e32 v13, vcc, v1, v3, vcc
	global_load_dword v3, v[4:5], off
	global_load_dword v2, v[8:9], off
	;; [unrolled: 1-line block ×4, first 2 shown]
	s_load_dwordx4 s[12:15], s[4:5], 0x8
	s_andn2_b64 vcc, exec, s[2:3]
	s_cbranch_vccnz .LBB148_8
; %bb.6:
	s_add_u32 s0, s0, s10
	s_addc_u32 s1, s1, s11
	s_load_dword s20, s[0:1], 0x0
	s_branch .LBB148_9
.LBB148_7:
	s_mov_b64 s[12:13], 0
	s_branch .LBB148_2
.LBB148_8:
	s_mov_b32 s20, s6
.LBB148_9:
	s_load_dwordx4 s[0:3], s[4:5], 0x48
	v_lshrrev_b32_e32 v85, 6, v0
	v_bfe_u32 v82, v0, 4, 2
	v_and_b32_e32 v83, 15, v0
	v_lshl_or_b32 v1, v85, 2, v82
	v_lshlrev_b32_e32 v4, 3, v83
	v_and_b32_e32 v86, 63, v0
	v_cmp_eq_u32_e32 vcc, 0, v1
	v_lshlrev_b32_e32 v1, 1, v4
	buffer_store_dword v1, off, s[44:47], 0 ; 4-byte Folded Spill
	s_and_saveexec_b64 s[10:11], vcc
	s_cbranch_execz .LBB148_11
; %bb.10:
	buffer_load_dword v1, off, s[44:47], 0  ; 4-byte Folded Reload
	s_load_dwordx2 s[22:23], s[4:5], 0x0
	s_waitcnt lgkmcnt(0)
	s_ashr_i32 s3, s0, 31
	s_mul_hi_u32 s21, s20, s0
	s_mul_i32 s3, s20, s3
	s_add_i32 s21, s21, s3
	s_mul_i32 s20, s20, s0
	s_lshl_b64 s[20:21], s[20:21], 1
	s_add_u32 s0, s22, s20
	s_addc_u32 s3, s23, s21
	s_lshl_b32 s20, s8, 7
	s_ashr_i32 s21, s20, 31
	s_lshl_b64 s[20:21], s[20:21], 1
	s_add_u32 s20, s0, s20
	s_addc_u32 s21, s3, s21
	v_and_b32_e32 v4, 3, v0
	v_lshlrev_b32_e32 v5, 9, v83
	v_lshlrev_b32_e32 v4, 9, v4
	s_movk_i32 s0, 0x1800
	v_and_or_b32 v4, v5, s0, v4
	s_waitcnt vmcnt(0)
	global_load_dwordx4 v[8:11], v1, s[20:21]
	s_waitcnt vmcnt(0)
	ds_write_b128 v4, v[8:11]
.LBB148_11:
	s_or_b64 exec, exec, s[10:11]
	s_waitcnt lgkmcnt(0)
	s_mul_i32 s2, s8, s2
	s_mov_b32 s3, 0
	s_lshl_b64 s[2:3], s[2:3], 1
	s_add_u32 s0, s12, s2
	v_lshlrev_b32_e32 v1, 4, v0
	s_addc_u32 s10, s13, s3
	v_and_b32_e32 v4, 0xf0, v1
	v_mov_b32_e32 v5, s10
	v_add_co_u32_e32 v29, vcc, s0, v4
	v_addc_co_u32_e32 v30, vcc, 0, v5, vcc
	s_waitcnt vmcnt(4)
	v_mad_i64_i32 v[4:5], s[10:11], v3, s1, 0
	v_lshlrev_b64 v[4:5], 1, v[4:5]
	v_add_co_u32_e32 v3, vcc, v29, v4
	v_addc_co_u32_e32 v4, vcc, v30, v5, vcc
	v_and_b32_e32 v31, 0x300, v1
	v_add_co_u32_e32 v22, vcc, v3, v31
	v_addc_co_u32_e32 v23, vcc, 0, v4, vcc
	s_barrier
	global_load_dwordx4 v[10:13], v[22:23], off
	s_waitcnt vmcnt(4)
	v_mad_i64_i32 v[2:3], s[10:11], v2, s1, 0
	v_lshlrev_b64 v[2:3], 1, v[2:3]
	v_add_co_u32_e32 v2, vcc, v29, v2
	v_addc_co_u32_e32 v3, vcc, v30, v3, vcc
	v_add_co_u32_e32 v24, vcc, v2, v31
	v_addc_co_u32_e32 v25, vcc, 0, v3, vcc
	global_load_dwordx4 v[14:17], v[24:25], off
	global_load_dwordx4 v[38:41], v[24:25], off offset:1024
	v_lshlrev_b32_e32 v32, 9, v82
	ds_read_b128 v[2:5], v32
	s_waitcnt vmcnt(5)
	v_mad_i64_i32 v[18:19], s[10:11], v6, s1, 0
	ds_read_b128 v[6:9], v32 offset:2048
	v_lshlrev_b64 v[26:27], 1, v[18:19]
	global_load_dwordx4 v[18:21], v[22:23], off offset:1024
	v_and_or_b32 v62, v0, 48, s16
	v_mov_b32_e32 v63, s19
	v_mov_b32_e32 v68, s18
	v_lshl_or_b32 v87, v85, 4, v83
	v_lshlrev_b32_e32 v76, 5, v87
	s_load_dword s0, s[4:5], 0x1c
	s_mov_b32 s40, 0xff7fffff
	s_waitcnt vmcnt(3) lgkmcnt(0)
	v_mfma_f32_16x16x16f16 v[34:37], v[10:11], v[2:3], 0
	v_add_co_u32_e32 v10, vcc, v29, v26
	v_addc_co_u32_e32 v11, vcc, v30, v27, vcc
	v_add_co_u32_e32 v26, vcc, v10, v31
	v_addc_co_u32_e32 v27, vcc, 0, v11, vcc
	global_load_dwordx4 v[46:49], v[26:27], off
	global_load_dwordx4 v[58:61], v[26:27], off offset:1024
	s_waitcnt vmcnt(4)
	v_mfma_f32_16x16x16f16 v[42:45], v[14:15], v[2:3], 0
	v_cmp_gt_i32_e32 vcc, s33, v62
	v_mfma_f32_16x16x16f16 v[14:17], v[16:17], v[4:5], v[42:45]
	s_nop 7
	s_nop 0
	global_load_dwordx4 v[42:45], v[22:23], off offset:2048
	v_mfma_f32_16x16x16f16 v[10:13], v[12:13], v[4:5], v[34:37]
	s_waitcnt vmcnt(4)
	v_mfma_f32_16x16x16f16 v[14:17], v[38:39], v[6:7], v[14:17]
	s_waitcnt vmcnt(3)
	v_mfma_f32_16x16x16f16 v[10:13], v[18:19], v[6:7], v[10:13]
	v_mfma_f32_16x16x16f16 v[14:17], v[40:41], v[8:9], v[14:17]
	global_load_dwordx4 v[38:41], v[22:23], off offset:3072
	v_mfma_f32_16x16x16f16 v[18:21], v[20:21], v[8:9], v[10:13]
	s_waitcnt vmcnt(3)
	v_mfma_f32_16x16x16f16 v[50:53], v[46:47], v[2:3], 0
	v_mfma_f32_16x16x16f16 v[34:37], v[48:49], v[4:5], v[50:53]
	global_load_dwordx4 v[46:49], v[24:25], off offset:2048
	s_nop 3
	ds_read_b128 v[10:13], v32 offset:4096
	s_nop 3
	ds_read_b128 v[50:53], v32 offset:6144
	global_load_dwordx4 v[22:25], v[24:25], off offset:3072
	v_mad_i64_i32 v[32:33], s[10:11], v28, s1, 0
	v_mov_b32_e32 v28, s18
	s_add_u32 s10, s14, s2
	s_waitcnt vmcnt(3) lgkmcnt(1)
	v_mfma_f32_16x16x16f16 v[18:21], v[42:43], v[10:11], v[18:21]
	s_addc_u32 s11, s15, s3
	v_mfma_f32_16x16x16f16 v[18:21], v[44:45], v[12:13], v[18:21]
	global_load_dwordx4 v[42:45], v[26:27], off offset:2048
	s_waitcnt vmcnt(3) lgkmcnt(0)
	v_mfma_f32_16x16x16f16 v[18:21], v[38:39], v[50:51], v[18:21]
	v_or_b32_e32 v38, 64, v62
	v_ashrrev_i32_e32 v39, 4, v38
	v_mfma_f32_16x16x16f16 v[54:57], v[40:41], v[52:53], v[18:21]
	s_waitcnt vmcnt(2)
	v_mfma_f32_16x16x16f16 v[14:17], v[46:47], v[10:11], v[14:17]
	v_mfma_f32_16x16x16f16 v[14:17], v[48:49], v[12:13], v[14:17]
	global_load_dwordx4 v[46:49], v[26:27], off offset:3072
	v_lshlrev_b64 v[26:27], 1, v[32:33]
	v_ashrrev_i32_e32 v32, 4, v62
	v_cndmask_b32_e32 v32, v63, v32, vcc
	v_ashrrev_i32_e32 v33, 31, v32
	v_cmp_gt_i32_e32 vcc, s33, v38
	v_cndmask_b32_e32 v38, v63, v39, vcc
	s_waitcnt vmcnt(2)
	v_mfma_f32_16x16x16f16 v[14:17], v[22:23], v[50:51], v[14:17]
	v_lshlrev_b64 v[22:23], 2, v[32:33]
	v_add_co_u32_e32 v22, vcc, s17, v22
	v_addc_co_u32_e32 v23, vcc, v28, v23, vcc
	v_add_co_u32_e32 v18, vcc, v29, v26
	v_addc_co_u32_e32 v19, vcc, v30, v27, vcc
	;; [unrolled: 2-line block ×3, first 2 shown]
	v_mfma_f32_16x16x16f16 v[64:67], v[24:25], v[52:53], v[14:17]
	global_load_dword v30, v[22:23], off
	v_ashrrev_i32_e32 v39, 31, v38
	v_lshlrev_b64 v[32:33], 2, v[38:39]
	v_add_co_u32_e32 v18, vcc, s17, v32
	v_addc_co_u32_e32 v19, vcc, v68, v33, vcc
	s_nop 1
	global_load_dwordx4 v[14:17], v[26:27], off
	global_load_dword v31, v[18:19], off
	s_nop 0
	global_load_dwordx4 v[18:21], v[26:27], off offset:1024
	global_load_dwordx4 v[68:71], v[26:27], off offset:2048
	;; [unrolled: 1-line block ×3, first 2 shown]
	v_mfma_f32_16x16x16f16 v[22:25], v[58:59], v[6:7], v[34:37]
	v_or_b32_e32 v28, 0x80, v62
	v_ashrrev_i32_e32 v29, 4, v28
	v_cmp_gt_i32_e32 vcc, s33, v28
	v_cndmask_b32_e32 v28, v63, v29, vcc
	v_ashrrev_i32_e32 v29, 31, v28
	v_lshlrev_b64 v[28:29], 2, v[28:29]
	v_mov_b32_e32 v32, s18
	v_mfma_f32_16x16x16f16 v[22:25], v[60:61], v[8:9], v[22:25]
	v_add_co_u32_e32 v28, vcc, s17, v28
	v_addc_co_u32_e32 v29, vcc, v32, v29, vcc
	global_load_dword v32, v[28:29], off
	v_or_b32_e32 v28, 0xc0, v62
	v_ashrrev_i32_e32 v29, 4, v28
	v_cmp_gt_i32_e32 vcc, s33, v28
	v_cndmask_b32_e32 v28, v63, v29, vcc
	v_ashrrev_i32_e32 v29, 31, v28
	v_lshlrev_b64 v[28:29], 2, v[28:29]
	s_waitcnt vmcnt(8)
	v_mfma_f32_16x16x16f16 v[22:25], v[42:43], v[10:11], v[22:25]
	v_mov_b32_e32 v33, s18
	v_add_co_u32_e32 v28, vcc, s17, v28
	v_addc_co_u32_e32 v29, vcc, v33, v29, vcc
	global_load_dword v58, v[28:29], off
	v_mov_b32_e32 v26, s11
	v_mfma_f32_16x16x16f16 v[22:25], v[44:45], v[12:13], v[22:25]
	v_add_co_u32_e32 v77, vcc, s10, v76
	v_addc_co_u32_e32 v78, vcc, 0, v26, vcc
	v_pk_mul_f32 v[80:81], s[0:1], v[66:67] op_sel_hi:[0,1]
	s_waitcnt vmcnt(8)
	v_mfma_f32_16x16x16f16 v[22:25], v[46:47], v[50:51], v[22:25]
	v_mfma_f32_16x16x16f16 v[72:75], v[48:49], v[52:53], v[22:25]
	s_waitcnt vmcnt(7)
	s_nop 7
	s_nop 0
	v_mad_i64_i32 v[22:23], s[2:3], v30, s1, 0
	v_lshlrev_b64 v[62:63], 1, v[22:23]
	s_waitcnt vmcnt(6)
	v_mfma_f32_16x16x16f16 v[22:25], v[14:15], v[2:3], 0
	v_add_co_u32_e32 v2, vcc, v77, v62
	v_addc_co_u32_e32 v3, vcc, v78, v63, vcc
	global_load_dwordx4 v[46:49], v[2:3], off
	global_load_dwordx4 v[42:45], v[2:3], off offset:16
	s_waitcnt vmcnt(7)
	v_mad_i64_i32 v[2:3], s[2:3], v31, s1, 0
	v_lshlrev_b64 v[14:15], 1, v[2:3]
	v_mfma_f32_16x16x16f16 v[2:5], v[16:17], v[4:5], v[22:25]
	v_add_co_u32_e32 v16, vcc, v77, v14
	v_addc_co_u32_e32 v17, vcc, v78, v15, vcc
	global_load_dwordx4 v[38:41], v[16:17], off
	global_load_dwordx4 v[34:37], v[16:17], off offset:16
	s_waitcnt vmcnt(5)
	v_mad_i64_i32 v[16:17], s[2:3], v32, s1, 0
	v_mfma_f32_16x16x16f16 v[2:5], v[18:19], v[6:7], v[2:5]
	v_lshlrev_b64 v[60:61], 1, v[16:17]
	v_add_co_u32_e32 v6, vcc, v77, v60
	v_addc_co_u32_e32 v7, vcc, v78, v61, vcc
	global_load_dwordx4 v[30:33], v[6:7], off
	global_load_dwordx4 v[26:29], v[6:7], off offset:16
	s_waitcnt vmcnt(6)
	v_mad_i64_i32 v[6:7], s[2:3], v58, s1, 0
	v_mfma_f32_16x16x16f16 v[2:5], v[20:21], v[8:9], v[2:5]
	v_lshlrev_b64 v[58:59], 1, v[6:7]
	v_add_co_u32_e32 v6, vcc, v77, v58
	v_addc_co_u32_e32 v7, vcc, v78, v59, vcc
	global_load_dwordx4 v[22:25], v[6:7], off
	global_load_dwordx4 v[18:21], v[6:7], off offset:16
	v_or_b32_e32 v6, 0x800, v76
	v_mfma_f32_16x16x16f16 v[2:5], v[68:69], v[10:11], v[2:5]
	v_mov_b32_e32 v7, s11
	v_add_co_u32_e32 v68, vcc, s10, v6
	v_addc_co_u32_e32 v69, vcc, 0, v7, vcc
	v_pk_mul_f32 v[76:77], s[0:1], v[74:75] op_sel_hi:[0,1]
	v_pk_mul_f32 v[74:75], s[0:1], v[72:73] op_sel_hi:[0,1]
	v_mfma_f32_16x16x16f16 v[10:13], v[70:71], v[12:13], v[2:5]
	v_pk_mul_f32 v[78:79], s[0:1], v[56:57] op_sel_hi:[0,1]
	v_pk_mul_f32 v[70:71], s[0:1], v[64:65] op_sel_hi:[0,1]
	v_mfma_f32_16x16x16f16 v[92:95], v[88:89], v[50:51], v[10:13]
	s_nop 3
	v_add_co_u32_e32 v2, vcc, v68, v62
	v_addc_co_u32_e32 v3, vcc, v69, v63, vcc
	v_add_co_u32_e32 v62, vcc, v68, v14
	v_addc_co_u32_e32 v63, vcc, v69, v15, vcc
	v_mfma_f32_16x16x16f16 v[50:53], v[90:91], v[52:53], v[92:95]
	global_load_dwordx4 v[6:9], v[2:3], off
	s_nop 0
	global_load_dwordx4 v[2:5], v[2:3], off offset:16
	s_nop 0
	global_load_dwordx4 v[14:17], v[62:63], off
	global_load_dwordx4 v[10:13], v[62:63], off offset:16
	v_pk_mul_f32 v[62:63], s[0:1], v[54:55] op_sel_hi:[0,1]
	s_nop 3
	v_pk_mul_f32 v[72:73], s[0:1], v[50:51] op_sel_hi:[0,1]
	v_and_b32_e32 v50, 0xc0, v0
	v_add_u32_e32 v50, s16, v50
	v_lshl_or_b32 v50, v82, 2, v50
	v_pk_mul_f32 v[66:67], s[0:1], v[52:53] op_sel_hi:[0,1]
	v_or_b32_e32 v53, 1, v50
	v_mov_b32_e32 v51, 0xff7fffff
	v_cmp_gt_i32_e64 s[28:29], s33, v50
	v_cmp_gt_i32_e64 s[30:31], s33, v53
	v_cndmask_b32_e64 v52, v51, v62, s[28:29]
	v_cndmask_b32_e64 v53, v51, v63, s[30:31]
	v_max3_f32 v52, v52, s40, v53
	v_or_b32_e32 v53, 2, v50
	v_or_b32_e32 v54, 3, v50
	v_cmp_gt_i32_e64 s[34:35], s33, v53
	v_cmp_gt_i32_e64 s[36:37], s33, v54
	v_cndmask_b32_e64 v53, v51, v78, s[34:35]
	v_cndmask_b32_e64 v54, v51, v79, s[36:37]
	v_max3_f32 v52, v52, v53, v54
	v_or_b32_e32 v53, 16, v50
	v_or_b32_e32 v54, 17, v50
	;; [unrolled: 7-line block ×7, first 2 shown]
	v_cmp_gt_i32_e32 vcc, s33, v53
	v_cmp_gt_i32_e64 s[0:1], s33, v50
	v_cndmask_b32_e32 v53, v51, v66, vcc
	v_cndmask_b32_e64 v50, v51, v67, s[0:1]
	v_max3_f32 v64, v52, v53, v50
	v_mbcnt_lo_u32_b32 v50, -1, 0
	v_mbcnt_hi_u32_b32 v65, -1, v50
	v_and_b32_e32 v50, 64, v65
	v_add_u32_e32 v88, 64, v50
	v_xor_b32_e32 v50, 32, v65
	v_cmp_lt_i32_e64 s[38:39], v50, v88
	v_cndmask_b32_e64 v50, v65, v50, s[38:39]
	v_lshlrev_b32_e32 v89, 2, v50
	ds_bpermute_b32 v90, v89, v64
	v_add_co_u32_e64 v50, s[38:39], v68, v60
	v_addc_co_u32_e64 v51, s[38:39], v69, v61, s[38:39]
	v_xor_b32_e32 v61, 16, v65
	v_cmp_lt_i32_e64 s[38:39], v61, v88
	s_waitcnt lgkmcnt(0)
	v_max_f32_e32 v60, v90, v90
	v_cndmask_b32_e64 v61, v65, v61, s[38:39]
	v_max_f32_e32 v60, v64, v60
	v_lshlrev_b32_e32 v90, 2, v61
	ds_bpermute_b32 v61, v90, v60
	v_add_co_u32_e64 v58, s[38:39], v68, v58
	v_addc_co_u32_e64 v59, s[38:39], v69, v59, s[38:39]
	s_waitcnt lgkmcnt(0)
	v_max_f32_e32 v61, v61, v61
	v_max_f32_e32 v88, v60, v61
	v_sub_f32_e32 v60, v62, v88
	v_mul_f32_e32 v60, 0x3fb8aa3b, v60
	v_exp_f32_e32 v68, v60
	v_sub_f32_e32 v60, v63, v88
	v_mul_f32_e32 v60, 0x3fb8aa3b, v60
	global_load_dwordx4 v[54:57], v[50:51], off
	s_nop 0
	global_load_dwordx4 v[50:53], v[50:51], off offset:16
	v_exp_f32_e32 v69, v60
	global_load_dwordx4 v[62:65], v[58:59], off
	s_nop 0
	global_load_dwordx4 v[58:61], v[58:59], off offset:16
	v_sub_f32_e32 v78, v78, v88
	v_mul_f32_e32 v78, 0x3fb8aa3b, v78
	v_sub_f32_e32 v79, v79, v88
	v_exp_f32_e32 v78, v78
	v_mul_f32_e32 v79, 0x3fb8aa3b, v79
	v_sub_f32_e32 v70, v70, v88
	v_exp_f32_e32 v79, v79
	v_mul_f32_e32 v70, 0x3fb8aa3b, v70
	v_sub_f32_e32 v71, v71, v88
	v_cndmask_b32_e64 v68, 0, v68, s[28:29]
	v_exp_f32_e32 v70, v70
	v_mul_f32_e32 v71, 0x3fb8aa3b, v71
	v_sub_f32_e32 v80, v80, v88
	v_add_f32_e32 v91, 0, v68
	v_cndmask_b32_e64 v69, 0, v69, s[30:31]
	v_exp_f32_e32 v71, v71
	v_mul_f32_e32 v80, 0x3fb8aa3b, v80
	v_sub_f32_e32 v81, v81, v88
	v_add_f32_e32 v91, v91, v69
	;; [unrolled: 5-line block ×10, first 2 shown]
	v_cndmask_b32_e64 v76, 0, v76, s[10:11]
	v_exp_f32_e32 v66, v66
	v_mul_f32_e32 v67, 0x3fb8aa3b, v67
	v_add_f32_e32 v91, v91, v76
	v_cndmask_b32_e64 v77, 0, v77, s[12:13]
	v_exp_f32_e32 v67, v67
	v_add_f32_e32 v91, v91, v77
	v_cndmask_b32_e64 v72, 0, v72, s[2:3]
	v_add_f32_e32 v91, v91, v72
	v_cndmask_b32_e64 v73, 0, v73, s[26:27]
	v_add_f32_e32 v91, v91, v73
	v_cndmask_b32_e32 v66, 0, v66, vcc
	v_add_f32_e32 v91, v91, v66
	v_cndmask_b32_e64 v67, 0, v67, s[0:1]
	v_add_f32_e32 v91, v91, v67
	ds_bpermute_b32 v89, v89, v91
	v_cmp_lt_u32_e64 s[0:1], 15, v86
	v_cmp_gt_u32_e32 vcc, 16, v86
	s_waitcnt lgkmcnt(0)
	s_barrier
	v_add_f32_e32 v89, v91, v89
	ds_bpermute_b32 v90, v90, v89
	s_waitcnt lgkmcnt(0)
	s_and_saveexec_b64 s[2:3], vcc
	s_cbranch_execz .LBB148_13
; %bb.12:
	v_add_f32_e32 v86, v89, v90
	v_lshlrev_b32_e32 v87, 2, v87
	ds_write2st64_b32 v87, v88, v86 offset1:1
.LBB148_13:
	s_or_b64 exec, exec, s[2:3]
	v_lshlrev_b32_e32 v87, 2, v83
	s_load_dwordx2 s[2:3], s[4:5], 0x94
	s_waitcnt lgkmcnt(0)
	s_barrier
	ds_read2_b32 v[88:89], v87 offset1:16
	ds_read2_b32 v[90:91], v87 offset0:32 offset1:48
	ds_read2_b32 v[92:93], v87 offset0:64 offset1:80
	v_mov_b32_e32 v82, v83
	s_waitcnt lgkmcnt(2)
	v_max3_f32 v86, v88, s40, v89
	s_waitcnt lgkmcnt(1)
	v_max3_f32 v86, v86, v90, v91
	v_sub_f32_e32 v88, v88, v86
	v_mul_f32_e32 v88, 0x3fb8aa3b, v88
	v_exp_f32_e32 v94, v88
	v_sub_f32_e32 v88, v89, v86
	v_mul_f32_e32 v88, 0x3fb8aa3b, v88
	v_exp_f32_e32 v95, v88
	v_sub_f32_e32 v88, v90, v86
	v_mul_f32_e32 v88, 0x3fb8aa3b, v88
	v_exp_f32_e32 v90, v88
	ds_read2_b32 v[88:89], v87 offset0:96 offset1:112
	v_sub_f32_e32 v87, v91, v86
	v_mul_f32_e32 v87, 0x3fb8aa3b, v87
	v_exp_f32_e32 v91, v87
	s_waitcnt lgkmcnt(1)
	v_fma_f32 v87, v94, v92, 0
	v_fmac_f32_e32 v87, v95, v93
	s_waitcnt lgkmcnt(0)
	v_fmac_f32_e32 v87, v90, v88
	v_fmac_f32_e32 v87, v91, v89
	v_add_f32_e32 v89, 0x358637bd, v87
	v_div_scale_f32 v92, s[10:11], v89, v89, 1.0
	v_rcp_f32_e32 v93, v92
	s_barrier
	v_fma_f32 v1, -v92, v93, 1.0
	v_fmac_f32_e32 v93, v1, v93
	v_div_scale_f32 v1, vcc, 1.0, v89, 1.0
	v_mul_f32_e32 v84, v1, v93
	v_fma_f32 v83, -v92, v84, v1
	v_fmac_f32_e32 v84, v83, v93
	v_fma_f32 v1, -v92, v84, v1
	v_div_fmas_f32 v1, v1, v93, v84
	v_cmp_eq_u32_e32 vcc, 1, v85
	v_cndmask_b32_e32 v83, v94, v95, vcc
	v_cmp_eq_u32_e32 vcc, 2, v85
	v_cndmask_b32_e32 v83, v83, v90, vcc
	v_cmp_eq_u32_e32 vcc, 3, v85
	v_div_fixup_f32 v1, v1, v89, 1.0
	v_cndmask_b32_e32 v83, v83, v91, vcc
	v_mul_f32_e32 v90, v83, v1
	v_pk_mul_f32 v[78:79], v[90:91], v[78:79] op_sel_hi:[0,1]
	v_pk_mul_f32 v[68:69], v[90:91], v[68:69] op_sel_hi:[0,1]
	v_cvt_f16_f32_e32 v1, v68
	v_cvt_f16_f32_e32 v68, v69
	;; [unrolled: 1-line block ×4, first 2 shown]
	v_pk_mul_f32 v[70:71], v[90:91], v[70:71] op_sel_hi:[0,1]
	v_mov_b32_e32 v83, v82
	v_bfe_u32 v82, v0, 4, 2
	v_pack_b32_f16 v93, v69, v78
	v_pk_mul_f32 v[78:79], v[90:91], v[80:81] op_sel_hi:[0,1]
	v_cvt_f16_f32_e32 v69, v70
	v_cvt_f16_f32_e32 v70, v71
	;; [unrolled: 1-line block ×4, first 2 shown]
	v_pack_b32_f16 v92, v1, v68
	v_lshlrev_b32_e32 v1, 3, v82
	v_lshlrev_b32_e32 v68, 5, v83
	;; [unrolled: 1-line block ×3, first 2 shown]
	v_or3_b32 v78, v78, v68, v1
	v_pack_b32_f16 v70, v69, v70
	v_pack_b32_f16 v71, v71, v79
	ds_write2st64_b64 v78, v[92:93], v[70:71] offset1:1
	v_pk_mul_f32 v[70:71], v[90:91], v[76:77] op_sel_hi:[0,1]
	v_pk_mul_f32 v[74:75], v[90:91], v[74:75] op_sel_hi:[0,1]
	v_cvt_f16_f32_e32 v1, v74
	v_cvt_f16_f32_e32 v69, v75
	v_cvt_f16_f32_e32 v74, v70
	v_cvt_f16_f32_e32 v75, v71
	v_pk_mul_f32 v[66:67], v[90:91], v[66:67] op_sel_hi:[0,1]
	v_pk_mul_f32 v[70:71], v[90:91], v[72:73] op_sel_hi:[0,1]
	v_cvt_f16_f32_e32 v70, v70
	v_cvt_f16_f32_e32 v71, v71
	;; [unrolled: 1-line block ×4, first 2 shown]
	v_mov_b32_e32 v88, 0
	v_pack_b32_f16 v66, v1, v69
	v_pack_b32_f16 v67, v74, v75
	;; [unrolled: 1-line block ×4, first 2 shown]
	v_cmp_eq_u32_e32 vcc, 0, v0
	ds_write2st64_b64 v78, v[66:67], v[70:71] offset0:2 offset1:3
	s_and_saveexec_b64 s[10:11], vcc
	s_cbranch_execz .LBB148_15
; %bb.14:
	s_mul_i32 s7, s7, s3
	s_mul_hi_u32 s16, s6, s3
	s_add_i32 s16, s16, s7
	s_mul_i32 s7, s6, s3
	s_add_u32 s7, s7, s8
	s_addc_u32 s16, s16, 0
	s_load_dwordx4 s[12:15], s[4:5], 0x58
	s_mul_i32 s16, s16, s2
	s_mul_hi_u32 s17, s7, s2
	s_add_i32 s17, s17, s16
	s_mul_i32 s7, s7, s2
	s_add_u32 s16, s7, s9
	s_addc_u32 s17, s17, 0
	s_lshl_b64 s[16:17], s[16:17], 2
	s_waitcnt lgkmcnt(0)
	s_add_u32 s14, s14, s16
	s_addc_u32 s15, s15, s17
	s_add_u32 s12, s12, s16
	s_addc_u32 s13, s13, s17
	global_store_dword v88, v86, s[14:15]
	global_store_dword v88, v87, s[12:13]
.LBB148_15:
	s_or_b64 exec, exec, s[10:11]
	v_lshl_or_b32 v1, v82, 9, v68
	s_waitcnt lgkmcnt(0)
	s_barrier
	ds_read_b128 v[70:73], v1
	ds_read_b128 v[66:69], v1 offset:16
	s_waitcnt vmcnt(15) lgkmcnt(1)
	v_mfma_f32_16x16x16f16 v[74:77], v[46:47], v[70:71], 0
	v_cmp_gt_u32_e32 vcc, 64, v0
	s_xor_b64 s[0:1], s[0:1], -1
	s_mov_b32 s7, 0
	s_and_b64 s[0:1], vcc, s[0:1]
	v_mfma_f32_16x16x16f16 v[46:49], v[48:49], v[72:73], v[74:77]
	s_waitcnt vmcnt(14) lgkmcnt(0)
	v_mfma_f32_16x16x16f16 v[46:49], v[42:43], v[66:67], v[46:49]
	v_mfma_f32_16x16x16f16 v[42:45], v[44:45], v[68:69], v[46:49]
	s_nop 7
	s_nop 1
	ds_read_b128 v[46:49], v1 offset:2048
	ds_read_b128 v[74:77], v1 offset:2064
	s_waitcnt vmcnt(13) lgkmcnt(1)
	v_mfma_f32_16x16x16f16 v[42:45], v[38:39], v[46:47], v[42:45]
	v_mfma_f32_16x16x16f16 v[38:41], v[40:41], v[48:49], v[42:45]
	s_waitcnt vmcnt(12) lgkmcnt(0)
	v_mfma_f32_16x16x16f16 v[38:41], v[34:35], v[74:75], v[38:41]
	v_mfma_f32_16x16x16f16 v[34:37], v[36:37], v[76:77], v[38:41]
	s_nop 7
	s_nop 1
	ds_read_b128 v[38:41], v1 offset:4096
	ds_read_b128 v[42:45], v1 offset:4112
	s_waitcnt vmcnt(11) lgkmcnt(1)
	v_mfma_f32_16x16x16f16 v[34:37], v[30:31], v[38:39], v[34:37]
	v_mfma_f32_16x16x16f16 v[30:33], v[32:33], v[40:41], v[34:37]
	s_waitcnt vmcnt(10) lgkmcnt(0)
	v_mfma_f32_16x16x16f16 v[30:33], v[26:27], v[42:43], v[30:33]
	v_mfma_f32_16x16x16f16 v[26:29], v[28:29], v[44:45], v[30:33]
	s_nop 7
	s_nop 1
	ds_read_b128 v[30:33], v1 offset:6144
	ds_read_b128 v[34:37], v1 offset:6160
	s_waitcnt lgkmcnt(0)
	s_barrier
	s_waitcnt vmcnt(9)
	v_mfma_f32_16x16x16f16 v[26:29], v[22:23], v[30:31], v[26:29]
	v_mfma_f32_16x16x16f16 v[22:25], v[24:25], v[32:33], v[26:29]
	s_waitcnt vmcnt(8)
	v_mfma_f32_16x16x16f16 v[22:25], v[18:19], v[34:35], v[22:25]
	v_mfma_f32_16x16x16f16 v[18:21], v[20:21], v[36:37], v[22:25]
	s_waitcnt vmcnt(7)
	v_mfma_f32_16x16x16f16 v[22:25], v[6:7], v[70:71], 0
	s_nop 7
	s_nop 0
	v_cvt_f16_f32_e32 v1, v18
	v_mfma_f32_16x16x16f16 v[6:9], v[8:9], v[72:73], v[22:25]
	s_waitcnt vmcnt(6)
	v_mfma_f32_16x16x16f16 v[6:9], v[2:3], v[66:67], v[6:9]
	v_mfma_f32_16x16x16f16 v[2:5], v[4:5], v[68:69], v[6:9]
	s_waitcnt vmcnt(5)
	v_mfma_f32_16x16x16f16 v[2:5], v[14:15], v[46:47], v[2:5]
	s_nop 7
	v_cvt_f16_f32_e32 v6, v19
	v_cvt_f16_f32_e32 v7, v20
	;; [unrolled: 1-line block ×3, first 2 shown]
	v_mfma_f32_16x16x16f16 v[2:5], v[16:17], v[48:49], v[2:5]
	s_waitcnt vmcnt(4)
	v_mfma_f32_16x16x16f16 v[2:5], v[10:11], v[74:75], v[2:5]
	v_mfma_f32_16x16x16f16 v[2:5], v[12:13], v[76:77], v[2:5]
	s_waitcnt vmcnt(3)
	v_mfma_f32_16x16x16f16 v[2:5], v[54:55], v[38:39], v[2:5]
	;; [unrolled: 3-line block ×5, first 2 shown]
	v_mfma_f32_16x16x16f16 v[2:5], v[60:61], v[36:37], v[2:5]
	s_nop 7
	s_nop 2
	v_cvt_f16_f32_e32 v9, v2
	v_cvt_f16_f32_e32 v10, v3
	;; [unrolled: 1-line block ×4, first 2 shown]
	v_pack_b32_f16 v2, v1, v6
	v_pack_b32_f16 v3, v7, v8
	;; [unrolled: 1-line block ×4, first 2 shown]
	ds_write2st64_b64 v78, v[2:3], v[4:5] offset1:1
	s_waitcnt lgkmcnt(0)
	s_barrier
	s_and_saveexec_b64 s[10:11], s[0:1]
	s_cbranch_execz .LBB148_17
; %bb.16:
	v_lshlrev_b32_e32 v3, 6, v83
	v_lshlrev_b32_e32 v2, 4, v0
	v_lshl_or_b32 v0, v0, 10, v3
	v_lshlrev_b32_e32 v1, 5, v82
	v_and_b32_e32 v2, 16, v2
	v_and_b32_e32 v0, 0x1a00, v0
	v_or3_b32 v0, v0, v1, v2
	ds_read_b128 v[2:5], v0
	buffer_load_dword v0, off, s[44:47], 0  ; 4-byte Folded Reload
	s_load_dwordx2 s[0:1], s[4:5], 0x68
	s_mul_i32 s4, s3, s6
	s_lshl_b32 s5, s2, 7
	s_mul_hi_u32 s3, s4, s5
	s_mul_i32 s2, s4, s5
	s_lshl_b64 s[2:3], s[2:3], 1
	s_waitcnt lgkmcnt(0)
	s_add_u32 s2, s0, s2
	s_addc_u32 s3, s1, s3
	s_lshl_b32 s6, s9, 7
	s_lshl_b64 s[0:1], s[6:7], 1
	s_add_u32 s2, s2, s0
	s_addc_u32 s3, s3, s1
	s_mul_hi_u32 s1, s5, s8
	s_mul_i32 s0, s5, s8
	s_lshl_b64 s[0:1], s[0:1], 1
	s_add_u32 s0, s2, s0
	s_addc_u32 s1, s3, s1
	s_waitcnt vmcnt(0)
	global_store_dwordx4 v0, v[2:5], s[0:1]
.LBB148_17:
	s_endpgm
	.section	.rodata,"a",@progbits
	.p2align	6, 0x0
	.amdhsa_kernel _Z39paged_attention_ll4mi_QKV_mfma16_kernelIDF16_DF16_LN4vllm18Fp8KVCacheDataTypeE0EDF16_Li16ELi128ELi256ELb0ELi1EL8MFMAType0EEvPKT_PKT0_S8_ifPKiSA_SA_iPKfiiiPfSD_PS3_PT2_iSC_SC_
		.amdhsa_group_segment_fixed_size 8192
		.amdhsa_private_segment_fixed_size 8
		.amdhsa_kernarg_size 400
		.amdhsa_user_sgpr_count 6
		.amdhsa_user_sgpr_private_segment_buffer 1
		.amdhsa_user_sgpr_dispatch_ptr 0
		.amdhsa_user_sgpr_queue_ptr 0
		.amdhsa_user_sgpr_kernarg_segment_ptr 1
		.amdhsa_user_sgpr_dispatch_id 0
		.amdhsa_user_sgpr_flat_scratch_init 0
		.amdhsa_user_sgpr_kernarg_preload_length 0
		.amdhsa_user_sgpr_kernarg_preload_offset 0
		.amdhsa_user_sgpr_private_segment_size 0
		.amdhsa_uses_dynamic_stack 0
		.amdhsa_system_sgpr_private_segment_wavefront_offset 1
		.amdhsa_system_sgpr_workgroup_id_x 1
		.amdhsa_system_sgpr_workgroup_id_y 1
		.amdhsa_system_sgpr_workgroup_id_z 1
		.amdhsa_system_sgpr_workgroup_info 0
		.amdhsa_system_vgpr_workitem_id 0
		.amdhsa_next_free_vgpr 96
		.amdhsa_next_free_sgpr 48
		.amdhsa_accum_offset 96
		.amdhsa_reserve_vcc 1
		.amdhsa_reserve_flat_scratch 0
		.amdhsa_float_round_mode_32 0
		.amdhsa_float_round_mode_16_64 0
		.amdhsa_float_denorm_mode_32 3
		.amdhsa_float_denorm_mode_16_64 3
		.amdhsa_dx10_clamp 1
		.amdhsa_ieee_mode 1
		.amdhsa_fp16_overflow 0
		.amdhsa_tg_split 0
		.amdhsa_exception_fp_ieee_invalid_op 0
		.amdhsa_exception_fp_denorm_src 0
		.amdhsa_exception_fp_ieee_div_zero 0
		.amdhsa_exception_fp_ieee_overflow 0
		.amdhsa_exception_fp_ieee_underflow 0
		.amdhsa_exception_fp_ieee_inexact 0
		.amdhsa_exception_int_div_zero 0
	.end_amdhsa_kernel
	.section	.text._Z39paged_attention_ll4mi_QKV_mfma16_kernelIDF16_DF16_LN4vllm18Fp8KVCacheDataTypeE0EDF16_Li16ELi128ELi256ELb0ELi1EL8MFMAType0EEvPKT_PKT0_S8_ifPKiSA_SA_iPKfiiiPfSD_PS3_PT2_iSC_SC_,"axG",@progbits,_Z39paged_attention_ll4mi_QKV_mfma16_kernelIDF16_DF16_LN4vllm18Fp8KVCacheDataTypeE0EDF16_Li16ELi128ELi256ELb0ELi1EL8MFMAType0EEvPKT_PKT0_S8_ifPKiSA_SA_iPKfiiiPfSD_PS3_PT2_iSC_SC_,comdat
.Lfunc_end148:
	.size	_Z39paged_attention_ll4mi_QKV_mfma16_kernelIDF16_DF16_LN4vllm18Fp8KVCacheDataTypeE0EDF16_Li16ELi128ELi256ELb0ELi1EL8MFMAType0EEvPKT_PKT0_S8_ifPKiSA_SA_iPKfiiiPfSD_PS3_PT2_iSC_SC_, .Lfunc_end148-_Z39paged_attention_ll4mi_QKV_mfma16_kernelIDF16_DF16_LN4vllm18Fp8KVCacheDataTypeE0EDF16_Li16ELi128ELi256ELb0ELi1EL8MFMAType0EEvPKT_PKT0_S8_ifPKiSA_SA_iPKfiiiPfSD_PS3_PT2_iSC_SC_
                                        ; -- End function
	.section	.AMDGPU.csdata,"",@progbits
; Kernel info:
; codeLenInByte = 4444
; NumSgprs: 52
; NumVgprs: 96
; NumAgprs: 0
; TotalNumVgprs: 96
; ScratchSize: 8
; MemoryBound: 0
; FloatMode: 240
; IeeeMode: 1
; LDSByteSize: 8192 bytes/workgroup (compile time only)
; SGPRBlocks: 6
; VGPRBlocks: 11
; NumSGPRsForWavesPerEU: 52
; NumVGPRsForWavesPerEU: 96
; AccumOffset: 96
; Occupancy: 5
; WaveLimiterHint : 1
; COMPUTE_PGM_RSRC2:SCRATCH_EN: 1
; COMPUTE_PGM_RSRC2:USER_SGPR: 6
; COMPUTE_PGM_RSRC2:TRAP_HANDLER: 0
; COMPUTE_PGM_RSRC2:TGID_X_EN: 1
; COMPUTE_PGM_RSRC2:TGID_Y_EN: 1
; COMPUTE_PGM_RSRC2:TGID_Z_EN: 1
; COMPUTE_PGM_RSRC2:TIDIG_COMP_CNT: 0
; COMPUTE_PGM_RSRC3_GFX90A:ACCUM_OFFSET: 23
; COMPUTE_PGM_RSRC3_GFX90A:TG_SPLIT: 0
	.section	.text._Z39paged_attention_ll4mi_QKV_mfma16_kernelIDF16_DF16_LN4vllm18Fp8KVCacheDataTypeE0EDF16_Li16ELi128ELi256ELb0ELi2EL8MFMAType0EEvPKT_PKT0_S8_ifPKiSA_SA_iPKfiiiPfSD_PS3_PT2_iSC_SC_,"axG",@progbits,_Z39paged_attention_ll4mi_QKV_mfma16_kernelIDF16_DF16_LN4vllm18Fp8KVCacheDataTypeE0EDF16_Li16ELi128ELi256ELb0ELi2EL8MFMAType0EEvPKT_PKT0_S8_ifPKiSA_SA_iPKfiiiPfSD_PS3_PT2_iSC_SC_,comdat
	.protected	_Z39paged_attention_ll4mi_QKV_mfma16_kernelIDF16_DF16_LN4vllm18Fp8KVCacheDataTypeE0EDF16_Li16ELi128ELi256ELb0ELi2EL8MFMAType0EEvPKT_PKT0_S8_ifPKiSA_SA_iPKfiiiPfSD_PS3_PT2_iSC_SC_ ; -- Begin function _Z39paged_attention_ll4mi_QKV_mfma16_kernelIDF16_DF16_LN4vllm18Fp8KVCacheDataTypeE0EDF16_Li16ELi128ELi256ELb0ELi2EL8MFMAType0EEvPKT_PKT0_S8_ifPKiSA_SA_iPKfiiiPfSD_PS3_PT2_iSC_SC_
	.globl	_Z39paged_attention_ll4mi_QKV_mfma16_kernelIDF16_DF16_LN4vllm18Fp8KVCacheDataTypeE0EDF16_Li16ELi128ELi256ELb0ELi2EL8MFMAType0EEvPKT_PKT0_S8_ifPKiSA_SA_iPKfiiiPfSD_PS3_PT2_iSC_SC_
	.p2align	8
	.type	_Z39paged_attention_ll4mi_QKV_mfma16_kernelIDF16_DF16_LN4vllm18Fp8KVCacheDataTypeE0EDF16_Li16ELi128ELi256ELb0ELi2EL8MFMAType0EEvPKT_PKT0_S8_ifPKiSA_SA_iPKfiiiPfSD_PS3_PT2_iSC_SC_,@function
_Z39paged_attention_ll4mi_QKV_mfma16_kernelIDF16_DF16_LN4vllm18Fp8KVCacheDataTypeE0EDF16_Li16ELi128ELi256ELb0ELi2EL8MFMAType0EEvPKT_PKT0_S8_ifPKiSA_SA_iPKfiiiPfSD_PS3_PT2_iSC_SC_: ; @_Z39paged_attention_ll4mi_QKV_mfma16_kernelIDF16_DF16_LN4vllm18Fp8KVCacheDataTypeE0EDF16_Li16ELi128ELi256ELb0ELi2EL8MFMAType0EEvPKT_PKT0_S8_ifPKiSA_SA_iPKfiiiPfSD_PS3_PT2_iSC_SC_
; %bb.0:
	s_mov_b64 s[46:47], s[2:3]
	s_mov_b64 s[44:45], s[0:1]
	s_load_dwordx2 s[0:1], s[4:5], 0x30
	s_add_u32 s44, s44, s9
	s_addc_u32 s45, s45, 0
	s_mov_b32 s26, s7
	s_mov_b64 s[10:11], 0
	s_waitcnt lgkmcnt(0)
	s_cmp_lg_u64 s[0:1], 0
	s_cselect_b64 s[2:3], -1, 0
	s_and_b64 vcc, exec, s[2:3]
	s_cbranch_vccz .LBB149_7
; %bb.1:
	s_add_i32 s12, s6, 1
	s_mov_b32 s13, 0
	s_lshl_b64 s[14:15], s[12:13], 2
	s_add_u32 s14, s0, s14
	s_mov_b32 s7, s13
	s_addc_u32 s15, s1, s15
	s_lshl_b64 s[12:13], s[6:7], 2
	s_add_u32 s12, s0, s12
	s_addc_u32 s13, s1, s13
	s_load_dword s9, s[14:15], 0x0
	s_load_dword s16, s[12:13], 0x0
	s_waitcnt lgkmcnt(0)
	s_sub_i32 s9, s9, s16
	s_cmp_eq_u32 s9, 1
	s_cselect_b64 s[12:13], -1, 0
	s_andn2_b64 vcc, exec, s[10:11]
	s_cbranch_vccnz .LBB149_3
.LBB149_2:
	s_mov_b32 s7, 0
	s_mov_b64 s[12:13], -1
.LBB149_3:
	s_andn2_b64 vcc, exec, s[12:13]
	s_cbranch_vccnz .LBB149_17
; %bb.4:
	s_load_dwordx2 s[12:13], s[4:5], 0x28
	s_lshl_b64 s[10:11], s[6:7], 2
	s_waitcnt lgkmcnt(0)
	s_add_u32 s12, s12, s10
	s_addc_u32 s13, s13, s11
	s_load_dword s38, s[12:13], 0x0
	s_lshl_b32 s9, s26, 8
	s_waitcnt lgkmcnt(0)
	s_cmp_ge_i32 s9, s38
	s_cbranch_scc1 .LBB149_17
; %bb.5:
	s_add_i32 s15, s38, 15
	s_load_dwordx2 s[12:13], s[4:5], 0x20
	s_load_dword s14, s[4:5], 0x38
	s_ashr_i32 s16, s15, 31
	v_and_b32_e32 v1, 0xcf, v0
	s_lshr_b32 s16, s16, 28
	v_add_u32_e32 v1, s9, v1
	s_add_i32 s15, s15, s16
	v_ashrrev_i32_e32 v2, 31, v1
	s_ashr_i32 s18, s15, 4
	v_lshrrev_b32_e32 v6, 28, v2
	s_add_i32 s18, s18, -1
	v_add_u32_e32 v2, v1, v6
	s_waitcnt lgkmcnt(0)
	s_mul_i32 s14, s6, s14
	s_mov_b32 s15, 0
	v_ashrrev_i32_e32 v2, 4, v2
	v_mov_b32_e32 v7, s18
	v_cmp_gt_i32_e32 vcc, s38, v1
	s_lshl_b64 s[14:15], s[14:15], 2
	v_cndmask_b32_e32 v2, v7, v2, vcc
	s_add_u32 s16, s12, s14
	v_ashrrev_i32_e32 v3, 31, v2
	s_addc_u32 s17, s13, s15
	v_lshlrev_b64 v[2:3], 2, v[2:3]
	v_mov_b32_e32 v5, s17
	v_add_co_u32_e32 v4, vcc, s16, v2
	v_or_b32_e32 v2, 16, v1
	v_addc_co_u32_e32 v5, vcc, v5, v3, vcc
	v_add_u32_e32 v3, v2, v6
	v_ashrrev_i32_e32 v3, 4, v3
	v_cmp_gt_i32_e32 vcc, s38, v2
	v_cndmask_b32_e32 v2, v7, v3, vcc
	v_ashrrev_i32_e32 v3, 31, v2
	v_lshlrev_b64 v[2:3], 2, v[2:3]
	v_mov_b32_e32 v9, s17
	v_add_co_u32_e32 v8, vcc, s16, v2
	v_or_b32_e32 v2, 32, v1
	v_addc_co_u32_e32 v9, vcc, v9, v3, vcc
	v_add_u32_e32 v3, v2, v6
	v_ashrrev_i32_e32 v3, 4, v3
	v_cmp_gt_i32_e32 vcc, s38, v2
	v_cndmask_b32_e32 v2, v7, v3, vcc
	v_ashrrev_i32_e32 v3, 31, v2
	;; [unrolled: 10-line block ×3, first 2 shown]
	v_lshlrev_b64 v[2:3], 2, v[2:3]
	v_mov_b32_e32 v1, s17
	v_add_co_u32_e32 v12, vcc, s16, v2
	v_addc_co_u32_e32 v13, vcc, v1, v3, vcc
	global_load_dword v3, v[4:5], off
	global_load_dword v2, v[8:9], off
	;; [unrolled: 1-line block ×4, first 2 shown]
	s_load_dwordx4 s[12:15], s[4:5], 0x8
	s_andn2_b64 vcc, exec, s[2:3]
	s_cbranch_vccnz .LBB149_8
; %bb.6:
	s_add_u32 s0, s0, s10
	s_addc_u32 s1, s1, s11
	s_load_dword s19, s[0:1], 0x0
	s_branch .LBB149_9
.LBB149_7:
	s_mov_b64 s[12:13], 0
	s_branch .LBB149_2
.LBB149_8:
	s_mov_b32 s19, s6
.LBB149_9:
	s_load_dwordx4 s[0:3], s[4:5], 0x48
	v_lshrrev_b32_e32 v86, 6, v0
	v_bfe_u32 v82, v0, 4, 2
	v_and_b32_e32 v83, 15, v0
	v_lshl_or_b32 v4, v86, 2, v82
	v_lshlrev_b32_e32 v1, 3, v83
	s_lshl_b32 s27, s8, 1
	v_cmp_gt_u32_e32 vcc, 2, v4
	v_lshlrev_b32_e32 v1, 1, v1
	buffer_store_dword v1, off, s[44:47], 0 ; 4-byte Folded Spill
	s_and_saveexec_b64 s[10:11], vcc
	s_cbranch_execz .LBB149_11
; %bb.10:
	buffer_load_dword v1, off, s[44:47], 0  ; 4-byte Folded Reload
	s_load_dwordx2 s[20:21], s[4:5], 0x0
	s_waitcnt lgkmcnt(0)
	s_ashr_i32 s3, s0, 31
	s_mul_hi_u32 s22, s19, s0
	s_mul_i32 s3, s19, s3
	s_add_i32 s23, s22, s3
	s_mul_i32 s22, s19, s0
	s_lshl_b64 s[22:23], s[22:23], 1
	v_add_lshl_u32 v8, v82, s27, 7
	s_add_u32 s0, s20, s22
	v_ashrrev_i32_e32 v9, 31, v8
	s_addc_u32 s3, s21, s23
	v_lshlrev_b64 v[8:9], 1, v[8:9]
	v_mov_b32_e32 v5, s3
	v_add_co_u32_e32 v7, vcc, s0, v8
	v_addc_co_u32_e32 v5, vcc, v5, v9, vcc
	v_lshlrev_b32_e32 v4, 5, v4
	s_waitcnt vmcnt(0)
	v_add_co_u32_e32 v8, vcc, v7, v1
	v_addc_co_u32_e32 v9, vcc, 0, v5, vcc
	global_load_dwordx4 v[8:11], v[8:9], off
	v_and_b32_e32 v5, 3, v0
	v_lshlrev_b32_e32 v7, 9, v83
	v_lshlrev_b32_e32 v5, 9, v5
	v_and_b32_e32 v7, 0x1800, v7
	v_or3_b32 v4, v7, v5, v4
	s_waitcnt vmcnt(0)
	ds_write_b128 v4, v[8:11]
.LBB149_11:
	s_or_b64 exec, exec, s[10:11]
	s_waitcnt lgkmcnt(0)
	s_mul_i32 s2, s8, s2
	s_mov_b32 s3, 0
	s_lshl_b64 s[2:3], s[2:3], 1
	s_add_u32 s8, s12, s2
	v_lshlrev_b32_e32 v1, 4, v0
	s_addc_u32 s10, s13, s3
	v_and_b32_e32 v4, 0xf0, v1
	v_mov_b32_e32 v5, s10
	v_add_co_u32_e32 v29, vcc, s8, v4
	v_addc_co_u32_e32 v30, vcc, 0, v5, vcc
	s_waitcnt vmcnt(4)
	v_mad_i64_i32 v[4:5], s[10:11], v3, s1, 0
	v_lshlrev_b64 v[4:5], 1, v[4:5]
	v_add_co_u32_e32 v3, vcc, v29, v4
	v_addc_co_u32_e32 v4, vcc, v30, v5, vcc
	v_and_b32_e32 v31, 0x300, v1
	v_add_co_u32_e32 v22, vcc, v3, v31
	v_addc_co_u32_e32 v23, vcc, 0, v4, vcc
	s_load_dword s33, s[4:5], 0x98
	s_load_dword s0, s[4:5], 0x1c
	s_waitcnt lgkmcnt(0)
	s_barrier
	global_load_dwordx4 v[10:13], v[22:23], off
	global_load_dwordx4 v[18:21], v[22:23], off offset:1024
	s_waitcnt vmcnt(5)
	v_mad_i64_i32 v[2:3], s[10:11], v2, s1, 0
	v_lshlrev_b64 v[2:3], 1, v[2:3]
	v_add_co_u32_e32 v2, vcc, v29, v2
	v_addc_co_u32_e32 v3, vcc, v30, v3, vcc
	v_add_co_u32_e32 v24, vcc, v2, v31
	v_addc_co_u32_e32 v25, vcc, 0, v3, vcc
	global_load_dwordx4 v[14:17], v[24:25], off
	global_load_dwordx4 v[38:41], v[24:25], off offset:1024
	v_and_b32_e32 v2, 1, v0
	v_lshlrev_b32_e32 v2, 5, v2
	v_lshl_or_b32 v32, v82, 9, v2
	ds_read_b128 v[2:5], v32
	s_waitcnt vmcnt(6)
	v_mad_i64_i32 v[6:7], s[10:11], v6, s1, 0
	v_lshlrev_b64 v[26:27], 1, v[6:7]
	ds_read_b128 v[6:9], v32 offset:2048
	v_and_or_b32 v62, v0, 48, s9
	v_mov_b32_e32 v63, s18
	v_mov_b32_e32 v68, s17
	s_add_u32 s8, s14, s2
	v_lshl_or_b32 v87, v86, 4, v83
	v_lshlrev_b32_e32 v76, 5, v87
	s_mov_b32 s40, 0xff7fffff
	v_and_b32_e32 v1, 63, v0
	s_waitcnt vmcnt(3) lgkmcnt(1)
	v_mfma_f32_16x16x16f16 v[34:37], v[10:11], v[2:3], 0
	v_add_co_u32_e32 v10, vcc, v29, v26
	v_addc_co_u32_e32 v11, vcc, v30, v27, vcc
	v_add_co_u32_e32 v26, vcc, v10, v31
	v_addc_co_u32_e32 v27, vcc, 0, v11, vcc
	global_load_dwordx4 v[46:49], v[26:27], off
	global_load_dwordx4 v[58:61], v[26:27], off offset:1024
	s_waitcnt vmcnt(3)
	v_mfma_f32_16x16x16f16 v[42:45], v[14:15], v[2:3], 0
	v_cmp_gt_i32_e32 vcc, s38, v62
	v_mfma_f32_16x16x16f16 v[14:17], v[16:17], v[4:5], v[42:45]
	s_nop 7
	s_nop 0
	global_load_dwordx4 v[42:45], v[22:23], off offset:2048
	v_mfma_f32_16x16x16f16 v[10:13], v[12:13], v[4:5], v[34:37]
	s_waitcnt vmcnt(3) lgkmcnt(0)
	v_mfma_f32_16x16x16f16 v[14:17], v[38:39], v[6:7], v[14:17]
	v_mfma_f32_16x16x16f16 v[10:13], v[18:19], v[6:7], v[10:13]
	;; [unrolled: 1-line block ×3, first 2 shown]
	global_load_dwordx4 v[38:41], v[22:23], off offset:3072
	v_mfma_f32_16x16x16f16 v[18:21], v[20:21], v[8:9], v[10:13]
	s_waitcnt vmcnt(3)
	v_mfma_f32_16x16x16f16 v[50:53], v[46:47], v[2:3], 0
	v_mfma_f32_16x16x16f16 v[34:37], v[48:49], v[4:5], v[50:53]
	global_load_dwordx4 v[46:49], v[24:25], off offset:2048
	s_nop 3
	ds_read_b128 v[10:13], v32 offset:4096
	s_nop 3
	ds_read_b128 v[50:53], v32 offset:6144
	global_load_dwordx4 v[22:25], v[24:25], off offset:3072
	v_mad_i64_i32 v[32:33], s[10:11], v28, s1, 0
	v_mov_b32_e32 v28, s17
	s_addc_u32 s10, s15, s3
	s_waitcnt vmcnt(3) lgkmcnt(1)
	v_mfma_f32_16x16x16f16 v[18:21], v[42:43], v[10:11], v[18:21]
	v_mfma_f32_16x16x16f16 v[18:21], v[44:45], v[12:13], v[18:21]
	global_load_dwordx4 v[42:45], v[26:27], off offset:2048
	s_waitcnt vmcnt(3) lgkmcnt(0)
	v_mfma_f32_16x16x16f16 v[18:21], v[38:39], v[50:51], v[18:21]
	v_or_b32_e32 v38, 64, v62
	v_ashrrev_i32_e32 v39, 4, v38
	v_mfma_f32_16x16x16f16 v[54:57], v[40:41], v[52:53], v[18:21]
	s_waitcnt vmcnt(2)
	v_mfma_f32_16x16x16f16 v[14:17], v[46:47], v[10:11], v[14:17]
	v_mfma_f32_16x16x16f16 v[14:17], v[48:49], v[12:13], v[14:17]
	global_load_dwordx4 v[46:49], v[26:27], off offset:3072
	v_lshlrev_b64 v[26:27], 1, v[32:33]
	v_ashrrev_i32_e32 v32, 4, v62
	v_cndmask_b32_e32 v32, v63, v32, vcc
	v_ashrrev_i32_e32 v33, 31, v32
	v_cmp_gt_i32_e32 vcc, s38, v38
	v_cndmask_b32_e32 v38, v63, v39, vcc
	s_waitcnt vmcnt(2)
	v_mfma_f32_16x16x16f16 v[14:17], v[22:23], v[50:51], v[14:17]
	v_lshlrev_b64 v[22:23], 2, v[32:33]
	v_add_co_u32_e32 v22, vcc, s16, v22
	v_addc_co_u32_e32 v23, vcc, v28, v23, vcc
	v_add_co_u32_e32 v18, vcc, v29, v26
	v_addc_co_u32_e32 v19, vcc, v30, v27, vcc
	;; [unrolled: 2-line block ×3, first 2 shown]
	v_mfma_f32_16x16x16f16 v[64:67], v[24:25], v[52:53], v[14:17]
	global_load_dword v30, v[22:23], off
	v_ashrrev_i32_e32 v39, 31, v38
	v_lshlrev_b64 v[32:33], 2, v[38:39]
	v_add_co_u32_e32 v18, vcc, s16, v32
	v_addc_co_u32_e32 v19, vcc, v68, v33, vcc
	s_nop 1
	global_load_dwordx4 v[14:17], v[26:27], off
	global_load_dword v31, v[18:19], off
	s_nop 0
	global_load_dwordx4 v[18:21], v[26:27], off offset:1024
	global_load_dwordx4 v[68:71], v[26:27], off offset:2048
	;; [unrolled: 1-line block ×3, first 2 shown]
	v_mfma_f32_16x16x16f16 v[22:25], v[58:59], v[6:7], v[34:37]
	v_or_b32_e32 v28, 0x80, v62
	v_ashrrev_i32_e32 v29, 4, v28
	v_cmp_gt_i32_e32 vcc, s38, v28
	v_cndmask_b32_e32 v28, v63, v29, vcc
	v_ashrrev_i32_e32 v29, 31, v28
	v_lshlrev_b64 v[28:29], 2, v[28:29]
	v_mov_b32_e32 v32, s17
	v_mfma_f32_16x16x16f16 v[22:25], v[60:61], v[8:9], v[22:25]
	v_add_co_u32_e32 v28, vcc, s16, v28
	v_addc_co_u32_e32 v29, vcc, v32, v29, vcc
	global_load_dword v32, v[28:29], off
	v_or_b32_e32 v28, 0xc0, v62
	v_ashrrev_i32_e32 v29, 4, v28
	v_cmp_gt_i32_e32 vcc, s38, v28
	v_cndmask_b32_e32 v28, v63, v29, vcc
	v_ashrrev_i32_e32 v29, 31, v28
	v_lshlrev_b64 v[28:29], 2, v[28:29]
	s_waitcnt vmcnt(8)
	v_mfma_f32_16x16x16f16 v[22:25], v[42:43], v[10:11], v[22:25]
	v_mov_b32_e32 v33, s17
	v_add_co_u32_e32 v28, vcc, s16, v28
	v_addc_co_u32_e32 v29, vcc, v33, v29, vcc
	global_load_dword v58, v[28:29], off
	v_mov_b32_e32 v26, s10
	v_mfma_f32_16x16x16f16 v[22:25], v[44:45], v[12:13], v[22:25]
	v_add_co_u32_e32 v77, vcc, s8, v76
	v_addc_co_u32_e32 v78, vcc, 0, v26, vcc
	v_pk_mul_f32 v[80:81], s[0:1], v[66:67] op_sel_hi:[0,1]
	s_waitcnt vmcnt(8)
	v_mfma_f32_16x16x16f16 v[22:25], v[46:47], v[50:51], v[22:25]
	v_mfma_f32_16x16x16f16 v[72:75], v[48:49], v[52:53], v[22:25]
	s_waitcnt vmcnt(7)
	s_nop 7
	s_nop 0
	v_mad_i64_i32 v[22:23], s[2:3], v30, s1, 0
	v_lshlrev_b64 v[62:63], 1, v[22:23]
	s_waitcnt vmcnt(6)
	v_mfma_f32_16x16x16f16 v[22:25], v[14:15], v[2:3], 0
	v_add_co_u32_e32 v2, vcc, v77, v62
	v_addc_co_u32_e32 v3, vcc, v78, v63, vcc
	global_load_dwordx4 v[46:49], v[2:3], off
	global_load_dwordx4 v[42:45], v[2:3], off offset:16
	s_waitcnt vmcnt(7)
	v_mad_i64_i32 v[2:3], s[2:3], v31, s1, 0
	v_lshlrev_b64 v[14:15], 1, v[2:3]
	v_mfma_f32_16x16x16f16 v[2:5], v[16:17], v[4:5], v[22:25]
	v_add_co_u32_e32 v16, vcc, v77, v14
	v_addc_co_u32_e32 v17, vcc, v78, v15, vcc
	global_load_dwordx4 v[38:41], v[16:17], off
	global_load_dwordx4 v[34:37], v[16:17], off offset:16
	s_waitcnt vmcnt(5)
	v_mad_i64_i32 v[16:17], s[2:3], v32, s1, 0
	v_mfma_f32_16x16x16f16 v[2:5], v[18:19], v[6:7], v[2:5]
	v_lshlrev_b64 v[60:61], 1, v[16:17]
	v_add_co_u32_e32 v6, vcc, v77, v60
	v_addc_co_u32_e32 v7, vcc, v78, v61, vcc
	global_load_dwordx4 v[30:33], v[6:7], off
	global_load_dwordx4 v[26:29], v[6:7], off offset:16
	s_waitcnt vmcnt(6)
	v_mad_i64_i32 v[6:7], s[2:3], v58, s1, 0
	v_mfma_f32_16x16x16f16 v[2:5], v[20:21], v[8:9], v[2:5]
	v_lshlrev_b64 v[58:59], 1, v[6:7]
	v_add_co_u32_e32 v6, vcc, v77, v58
	v_addc_co_u32_e32 v7, vcc, v78, v59, vcc
	global_load_dwordx4 v[22:25], v[6:7], off
	global_load_dwordx4 v[18:21], v[6:7], off offset:16
	v_or_b32_e32 v6, 0x800, v76
	v_mfma_f32_16x16x16f16 v[2:5], v[68:69], v[10:11], v[2:5]
	v_mov_b32_e32 v7, s10
	v_add_co_u32_e32 v68, vcc, s8, v6
	v_addc_co_u32_e32 v69, vcc, 0, v7, vcc
	v_pk_mul_f32 v[76:77], s[0:1], v[74:75] op_sel_hi:[0,1]
	v_pk_mul_f32 v[74:75], s[0:1], v[72:73] op_sel_hi:[0,1]
	v_mfma_f32_16x16x16f16 v[10:13], v[70:71], v[12:13], v[2:5]
	v_pk_mul_f32 v[78:79], s[0:1], v[56:57] op_sel_hi:[0,1]
	v_pk_mul_f32 v[70:71], s[0:1], v[64:65] op_sel_hi:[0,1]
	v_mfma_f32_16x16x16f16 v[92:95], v[88:89], v[50:51], v[10:13]
	s_nop 3
	v_add_co_u32_e32 v2, vcc, v68, v62
	v_addc_co_u32_e32 v3, vcc, v69, v63, vcc
	v_add_co_u32_e32 v62, vcc, v68, v14
	v_addc_co_u32_e32 v63, vcc, v69, v15, vcc
	v_mfma_f32_16x16x16f16 v[50:53], v[90:91], v[52:53], v[92:95]
	global_load_dwordx4 v[6:9], v[2:3], off
	s_nop 0
	global_load_dwordx4 v[2:5], v[2:3], off offset:16
	s_nop 0
	global_load_dwordx4 v[14:17], v[62:63], off
	global_load_dwordx4 v[10:13], v[62:63], off offset:16
	v_pk_mul_f32 v[62:63], s[0:1], v[54:55] op_sel_hi:[0,1]
	s_nop 3
	v_pk_mul_f32 v[72:73], s[0:1], v[50:51] op_sel_hi:[0,1]
	v_and_b32_e32 v50, 0xc0, v0
	v_add_u32_e32 v50, s9, v50
	v_lshl_or_b32 v50, v82, 2, v50
	v_pk_mul_f32 v[66:67], s[0:1], v[52:53] op_sel_hi:[0,1]
	v_or_b32_e32 v53, 1, v50
	v_mov_b32_e32 v51, 0xff7fffff
	v_cmp_gt_i32_e64 s[28:29], s38, v50
	v_cmp_gt_i32_e64 s[30:31], s38, v53
	v_cndmask_b32_e64 v52, v51, v62, s[28:29]
	v_cndmask_b32_e64 v53, v51, v63, s[30:31]
	v_max3_f32 v52, v52, s40, v53
	v_or_b32_e32 v53, 2, v50
	v_or_b32_e32 v54, 3, v50
	v_cmp_gt_i32_e64 s[34:35], s38, v53
	v_cmp_gt_i32_e64 s[36:37], s38, v54
	v_cndmask_b32_e64 v53, v51, v78, s[34:35]
	v_cndmask_b32_e64 v54, v51, v79, s[36:37]
	v_max3_f32 v52, v52, v53, v54
	v_or_b32_e32 v53, 16, v50
	v_or_b32_e32 v54, 17, v50
	;; [unrolled: 7-line block ×7, first 2 shown]
	v_cmp_gt_i32_e32 vcc, s38, v53
	v_cmp_gt_i32_e64 s[0:1], s38, v50
	v_cndmask_b32_e32 v53, v51, v66, vcc
	v_cndmask_b32_e64 v50, v51, v67, s[0:1]
	v_max3_f32 v64, v52, v53, v50
	v_mbcnt_lo_u32_b32 v50, -1, 0
	v_mbcnt_hi_u32_b32 v65, -1, v50
	v_and_b32_e32 v50, 64, v65
	v_add_u32_e32 v88, 64, v50
	v_xor_b32_e32 v50, 32, v65
	v_cmp_lt_i32_e64 s[38:39], v50, v88
	v_cndmask_b32_e64 v50, v65, v50, s[38:39]
	v_lshlrev_b32_e32 v89, 2, v50
	ds_bpermute_b32 v90, v89, v64
	v_add_co_u32_e64 v50, s[38:39], v68, v60
	v_addc_co_u32_e64 v51, s[38:39], v69, v61, s[38:39]
	v_xor_b32_e32 v61, 16, v65
	v_cmp_lt_i32_e64 s[38:39], v61, v88
	s_waitcnt lgkmcnt(0)
	v_max_f32_e32 v60, v90, v90
	v_cndmask_b32_e64 v61, v65, v61, s[38:39]
	v_max_f32_e32 v60, v64, v60
	v_lshlrev_b32_e32 v90, 2, v61
	ds_bpermute_b32 v61, v90, v60
	v_add_co_u32_e64 v58, s[38:39], v68, v58
	v_addc_co_u32_e64 v59, s[38:39], v69, v59, s[38:39]
	s_waitcnt lgkmcnt(0)
	v_max_f32_e32 v61, v61, v61
	v_max_f32_e32 v88, v60, v61
	v_sub_f32_e32 v60, v62, v88
	v_mul_f32_e32 v60, 0x3fb8aa3b, v60
	v_exp_f32_e32 v68, v60
	v_sub_f32_e32 v60, v63, v88
	v_mul_f32_e32 v60, 0x3fb8aa3b, v60
	global_load_dwordx4 v[54:57], v[50:51], off
	s_nop 0
	global_load_dwordx4 v[50:53], v[50:51], off offset:16
	v_exp_f32_e32 v69, v60
	global_load_dwordx4 v[62:65], v[58:59], off
	s_nop 0
	global_load_dwordx4 v[58:61], v[58:59], off offset:16
	v_sub_f32_e32 v78, v78, v88
	v_mul_f32_e32 v78, 0x3fb8aa3b, v78
	v_sub_f32_e32 v79, v79, v88
	v_exp_f32_e32 v78, v78
	v_mul_f32_e32 v79, 0x3fb8aa3b, v79
	v_sub_f32_e32 v70, v70, v88
	v_exp_f32_e32 v79, v79
	v_mul_f32_e32 v70, 0x3fb8aa3b, v70
	v_sub_f32_e32 v71, v71, v88
	v_cndmask_b32_e64 v68, 0, v68, s[28:29]
	v_exp_f32_e32 v70, v70
	v_mul_f32_e32 v71, 0x3fb8aa3b, v71
	v_sub_f32_e32 v80, v80, v88
	v_add_f32_e32 v91, 0, v68
	v_cndmask_b32_e64 v69, 0, v69, s[30:31]
	v_exp_f32_e32 v71, v71
	v_mul_f32_e32 v80, 0x3fb8aa3b, v80
	v_sub_f32_e32 v81, v81, v88
	v_add_f32_e32 v91, v91, v69
	;; [unrolled: 5-line block ×10, first 2 shown]
	v_cndmask_b32_e64 v76, 0, v76, s[10:11]
	v_exp_f32_e32 v66, v66
	v_mul_f32_e32 v67, 0x3fb8aa3b, v67
	v_add_f32_e32 v91, v91, v76
	v_cndmask_b32_e64 v77, 0, v77, s[12:13]
	v_exp_f32_e32 v67, v67
	v_add_f32_e32 v91, v91, v77
	v_cndmask_b32_e64 v72, 0, v72, s[2:3]
	v_add_f32_e32 v91, v91, v72
	v_cndmask_b32_e64 v73, 0, v73, s[8:9]
	v_add_f32_e32 v91, v91, v73
	v_cndmask_b32_e32 v66, 0, v66, vcc
	v_add_f32_e32 v91, v91, v66
	v_cndmask_b32_e64 v67, 0, v67, s[0:1]
	v_add_f32_e32 v91, v91, v67
	ds_bpermute_b32 v89, v89, v91
	v_cmp_gt_u32_e32 vcc, 16, v1
	s_waitcnt lgkmcnt(0)
	s_barrier
	v_add_f32_e32 v89, v91, v89
	ds_bpermute_b32 v90, v90, v89
	s_and_saveexec_b64 s[0:1], vcc
	s_cbranch_execz .LBB149_13
; %bb.12:
	s_waitcnt lgkmcnt(0)
	v_add_f32_e32 v89, v89, v90
	v_lshlrev_b32_e32 v87, 2, v87
	ds_write2st64_b32 v87, v88, v89 offset1:1
.LBB149_13:
	s_or_b64 exec, exec, s[0:1]
	v_lshlrev_b32_e32 v94, 2, v83
	s_load_dword s2, s[4:5], 0x94
	s_waitcnt lgkmcnt(0)
	s_barrier
	ds_read2_b32 v[88:89], v94 offset1:16
	ds_read2_b32 v[90:91], v94 offset0:32 offset1:48
	ds_read2_b32 v[92:93], v94 offset0:64 offset1:80
	;; [unrolled: 1-line block ×3, first 2 shown]
	s_waitcnt lgkmcnt(0)
	v_max3_f32 v87, v88, s40, v89
	v_max3_f32 v87, v87, v90, v91
	v_sub_f32_e32 v88, v88, v87
	v_mul_f32_e32 v88, 0x3fb8aa3b, v88
	v_exp_f32_e32 v1, v88
	v_sub_f32_e32 v88, v89, v87
	v_mul_f32_e32 v88, 0x3fb8aa3b, v88
	v_exp_f32_e32 v89, v88
	;; [unrolled: 3-line block ×4, first 2 shown]
	v_fma_f32 v88, v1, v92, 0
	v_fmac_f32_e32 v88, v89, v93
	v_fmac_f32_e32 v88, v90, v94
	;; [unrolled: 1-line block ×3, first 2 shown]
	v_add_f32_e32 v92, 0x358637bd, v88
	v_div_scale_f32 v93, s[0:1], v92, v92, 1.0
	v_rcp_f32_e32 v94, v93
	s_barrier
	s_lshl_b32 s8, s33, 1
	v_fma_f32 v95, -v93, v94, 1.0
	v_fmac_f32_e32 v94, v95, v94
	v_div_scale_f32 v95, vcc, 1.0, v92, 1.0
	v_mul_f32_e32 v84, v95, v94
	v_fma_f32 v85, -v93, v84, v95
	v_fmac_f32_e32 v84, v85, v94
	v_fma_f32 v85, -v93, v84, v95
	v_div_fmas_f32 v84, v85, v94, v84
	v_cmp_eq_u32_e32 vcc, 1, v86
	v_cndmask_b32_e32 v1, v1, v89, vcc
	v_cmp_eq_u32_e32 vcc, 2, v86
	v_cndmask_b32_e32 v1, v1, v90, vcc
	v_cmp_eq_u32_e32 vcc, 3, v86
	v_div_fixup_f32 v84, v84, v92, 1.0
	v_cndmask_b32_e32 v1, v1, v91, vcc
	v_mul_f32_e32 v90, v1, v84
	v_pk_mul_f32 v[78:79], v[90:91], v[78:79] op_sel_hi:[0,1]
	v_pk_mul_f32 v[68:69], v[90:91], v[68:69] op_sel_hi:[0,1]
	v_cvt_f16_f32_e32 v1, v68
	v_cvt_f16_f32_e32 v68, v69
	;; [unrolled: 1-line block ×4, first 2 shown]
	v_pk_mul_f32 v[70:71], v[90:91], v[70:71] op_sel_hi:[0,1]
	v_pack_b32_f16 v92, v1, v68
	v_lshlrev_b32_e32 v1, 3, v82
	v_pack_b32_f16 v93, v69, v78
	v_pk_mul_f32 v[78:79], v[90:91], v[80:81] op_sel_hi:[0,1]
	v_cvt_f16_f32_e32 v69, v70
	v_cvt_f16_f32_e32 v70, v71
	;; [unrolled: 1-line block ×4, first 2 shown]
	v_lshlrev_b32_e32 v68, 5, v83
	v_lshlrev_b32_e32 v78, 11, v86
	v_or3_b32 v78, v78, v68, v1
	v_pack_b32_f16 v70, v69, v70
	v_pack_b32_f16 v71, v71, v79
	ds_write2st64_b64 v78, v[92:93], v[70:71] offset1:1
	v_pk_mul_f32 v[70:71], v[90:91], v[76:77] op_sel_hi:[0,1]
	v_pk_mul_f32 v[74:75], v[90:91], v[74:75] op_sel_hi:[0,1]
	v_cvt_f16_f32_e32 v1, v74
	v_cvt_f16_f32_e32 v69, v75
	v_cvt_f16_f32_e32 v74, v70
	v_cvt_f16_f32_e32 v75, v71
	v_pk_mul_f32 v[66:67], v[90:91], v[66:67] op_sel_hi:[0,1]
	v_pk_mul_f32 v[70:71], v[90:91], v[72:73] op_sel_hi:[0,1]
	v_cvt_f16_f32_e32 v70, v70
	v_cvt_f16_f32_e32 v71, v71
	;; [unrolled: 1-line block ×4, first 2 shown]
	v_pack_b32_f16 v66, v1, v69
	v_pack_b32_f16 v67, v74, v75
	;; [unrolled: 1-line block ×4, first 2 shown]
	v_cmp_gt_u32_e32 vcc, 2, v0
	ds_write2st64_b64 v78, v[66:67], v[70:71] offset0:2 offset1:3
	s_and_saveexec_b64 s[0:1], vcc
	s_cbranch_execz .LBB149_15
; %bb.14:
	v_or_b32_e32 v66, s27, v0
	v_mov_b32_e32 v67, 0
	v_mov_b32_e32 v1, s8
	v_mad_u64_u32 v[70:71], s[10:11], s6, v1, v[66:67]
	v_mov_b32_e32 v66, s26
	s_load_dwordx4 s[12:15], s[4:5], 0x58
	s_mul_i32 s3, s7, s8
	v_mad_u64_u32 v[66:67], s[10:11], v70, s2, v[66:67]
	v_add_u32_e32 v1, s3, v71
	v_mov_b32_e32 v70, v67
	v_mad_u64_u32 v[70:71], s[10:11], v1, s2, v[70:71]
	v_mov_b32_e32 v67, v70
	v_lshlrev_b64 v[66:67], 2, v[66:67]
	s_waitcnt lgkmcnt(0)
	v_mov_b32_e32 v1, s15
	v_add_co_u32_e32 v70, vcc, s14, v66
	v_addc_co_u32_e32 v71, vcc, v1, v67, vcc
	v_mov_b32_e32 v1, s13
	v_add_co_u32_e32 v66, vcc, s12, v66
	v_addc_co_u32_e32 v67, vcc, v1, v67, vcc
	global_store_dword v[70:71], v87, off
	global_store_dword v[66:67], v88, off
.LBB149_15:
	s_or_b64 exec, exec, s[0:1]
	v_lshl_or_b32 v1, v82, 9, v68
	s_waitcnt lgkmcnt(0)
	s_barrier
	ds_read_b128 v[70:73], v1
	ds_read_b128 v[66:69], v1 offset:16
	s_waitcnt vmcnt(15) lgkmcnt(1)
	v_mfma_f32_16x16x16f16 v[74:77], v[46:47], v[70:71], 0
	v_cmp_gt_u32_e32 vcc, 64, v0
	s_mov_b32 s3, 0
	v_mfma_f32_16x16x16f16 v[46:49], v[48:49], v[72:73], v[74:77]
	s_waitcnt vmcnt(14) lgkmcnt(0)
	v_mfma_f32_16x16x16f16 v[46:49], v[42:43], v[66:67], v[46:49]
	v_mfma_f32_16x16x16f16 v[42:45], v[44:45], v[68:69], v[46:49]
	s_nop 7
	s_nop 1
	ds_read_b128 v[46:49], v1 offset:2048
	ds_read_b128 v[74:77], v1 offset:2064
	s_waitcnt vmcnt(13) lgkmcnt(1)
	v_mfma_f32_16x16x16f16 v[42:45], v[38:39], v[46:47], v[42:45]
	v_mfma_f32_16x16x16f16 v[38:41], v[40:41], v[48:49], v[42:45]
	s_waitcnt vmcnt(12) lgkmcnt(0)
	v_mfma_f32_16x16x16f16 v[38:41], v[34:35], v[74:75], v[38:41]
	v_mfma_f32_16x16x16f16 v[34:37], v[36:37], v[76:77], v[38:41]
	s_nop 7
	s_nop 1
	ds_read_b128 v[38:41], v1 offset:4096
	ds_read_b128 v[42:45], v1 offset:4112
	s_waitcnt vmcnt(11) lgkmcnt(1)
	v_mfma_f32_16x16x16f16 v[34:37], v[30:31], v[38:39], v[34:37]
	v_mfma_f32_16x16x16f16 v[30:33], v[32:33], v[40:41], v[34:37]
	s_waitcnt vmcnt(10) lgkmcnt(0)
	v_mfma_f32_16x16x16f16 v[30:33], v[26:27], v[42:43], v[30:33]
	v_mfma_f32_16x16x16f16 v[26:29], v[28:29], v[44:45], v[30:33]
	s_nop 7
	s_nop 1
	ds_read_b128 v[30:33], v1 offset:6144
	ds_read_b128 v[34:37], v1 offset:6160
	s_waitcnt lgkmcnt(0)
	s_barrier
	s_waitcnt vmcnt(9)
	v_mfma_f32_16x16x16f16 v[26:29], v[22:23], v[30:31], v[26:29]
	v_mfma_f32_16x16x16f16 v[22:25], v[24:25], v[32:33], v[26:29]
	s_waitcnt vmcnt(8)
	v_mfma_f32_16x16x16f16 v[22:25], v[18:19], v[34:35], v[22:25]
	v_mfma_f32_16x16x16f16 v[18:21], v[20:21], v[36:37], v[22:25]
	s_waitcnt vmcnt(7)
	v_mfma_f32_16x16x16f16 v[22:25], v[6:7], v[70:71], 0
	s_nop 7
	s_nop 0
	v_cvt_f16_f32_e32 v1, v18
	v_mfma_f32_16x16x16f16 v[6:9], v[8:9], v[72:73], v[22:25]
	s_waitcnt vmcnt(6)
	v_mfma_f32_16x16x16f16 v[6:9], v[2:3], v[66:67], v[6:9]
	v_mfma_f32_16x16x16f16 v[2:5], v[4:5], v[68:69], v[6:9]
	s_waitcnt vmcnt(5)
	v_mfma_f32_16x16x16f16 v[2:5], v[14:15], v[46:47], v[2:5]
	s_nop 7
	v_cvt_f16_f32_e32 v6, v19
	v_cvt_f16_f32_e32 v7, v20
	;; [unrolled: 1-line block ×3, first 2 shown]
	v_mfma_f32_16x16x16f16 v[2:5], v[16:17], v[48:49], v[2:5]
	s_waitcnt vmcnt(4)
	v_mfma_f32_16x16x16f16 v[2:5], v[10:11], v[74:75], v[2:5]
	v_mfma_f32_16x16x16f16 v[2:5], v[12:13], v[76:77], v[2:5]
	s_waitcnt vmcnt(3)
	v_mfma_f32_16x16x16f16 v[2:5], v[54:55], v[38:39], v[2:5]
	;; [unrolled: 3-line block ×5, first 2 shown]
	v_mfma_f32_16x16x16f16 v[2:5], v[60:61], v[36:37], v[2:5]
	s_nop 7
	s_nop 2
	v_cvt_f16_f32_e32 v9, v2
	v_cvt_f16_f32_e32 v10, v3
	;; [unrolled: 1-line block ×4, first 2 shown]
	v_pack_b32_f16 v2, v1, v6
	v_and_b32_e32 v1, 63, v0
	v_cmp_gt_u32_e64 s[0:1], 32, v1
	v_pack_b32_f16 v3, v7, v8
	v_pack_b32_f16 v4, v9, v10
	;; [unrolled: 1-line block ×3, first 2 shown]
	s_and_b64 s[0:1], vcc, s[0:1]
	ds_write2st64_b64 v78, v[2:3], v[4:5] offset1:1
	s_waitcnt lgkmcnt(0)
	s_barrier
	s_and_saveexec_b64 s[10:11], s[0:1]
	s_cbranch_execz .LBB149_17
; %bb.16:
	s_load_dwordx2 s[0:1], s[4:5], 0x68
	s_mul_i32 s4, s8, s6
	s_lshl_b32 s6, s2, 7
	s_mul_hi_u32 s5, s4, s6
	s_mul_i32 s4, s4, s6
	v_lshlrev_b32_e32 v3, 6, v83
	s_lshl_b64 s[4:5], s[4:5], 1
	v_lshlrev_b32_e32 v2, 4, v0
	v_lshl_or_b32 v0, v0, 10, v3
	s_waitcnt lgkmcnt(0)
	s_add_u32 s4, s0, s4
	v_lshlrev_b32_e32 v1, 5, v82
	v_and_b32_e32 v2, 16, v2
	v_and_b32_e32 v0, 0x1a00, v0
	s_addc_u32 s5, s1, s5
	s_lshl_b32 s2, s26, 7
	v_or3_b32 v0, v0, v1, v2
	s_lshl_b64 s[0:1], s[2:3], 1
	ds_read_b128 v[2:5], v0
	s_add_u32 s2, s4, s0
	v_or_b32_e32 v0, s27, v82
	s_addc_u32 s3, s5, s1
	v_mad_u64_u32 v[6:7], s[0:1], s6, v0, 0
	v_lshlrev_b64 v[6:7], 1, v[6:7]
	v_mov_b32_e32 v0, s3
	v_add_co_u32_e32 v1, vcc, s2, v6
	v_addc_co_u32_e32 v6, vcc, v0, v7, vcc
	buffer_load_dword v0, off, s[44:47], 0  ; 4-byte Folded Reload
	s_waitcnt vmcnt(0)
	v_add_co_u32_e32 v0, vcc, v1, v0
	v_addc_co_u32_e32 v1, vcc, 0, v6, vcc
	s_waitcnt lgkmcnt(0)
	global_store_dwordx4 v[0:1], v[2:5], off
.LBB149_17:
	s_endpgm
	.section	.rodata,"a",@progbits
	.p2align	6, 0x0
	.amdhsa_kernel _Z39paged_attention_ll4mi_QKV_mfma16_kernelIDF16_DF16_LN4vllm18Fp8KVCacheDataTypeE0EDF16_Li16ELi128ELi256ELb0ELi2EL8MFMAType0EEvPKT_PKT0_S8_ifPKiSA_SA_iPKfiiiPfSD_PS3_PT2_iSC_SC_
		.amdhsa_group_segment_fixed_size 8192
		.amdhsa_private_segment_fixed_size 8
		.amdhsa_kernarg_size 400
		.amdhsa_user_sgpr_count 6
		.amdhsa_user_sgpr_private_segment_buffer 1
		.amdhsa_user_sgpr_dispatch_ptr 0
		.amdhsa_user_sgpr_queue_ptr 0
		.amdhsa_user_sgpr_kernarg_segment_ptr 1
		.amdhsa_user_sgpr_dispatch_id 0
		.amdhsa_user_sgpr_flat_scratch_init 0
		.amdhsa_user_sgpr_kernarg_preload_length 0
		.amdhsa_user_sgpr_kernarg_preload_offset 0
		.amdhsa_user_sgpr_private_segment_size 0
		.amdhsa_uses_dynamic_stack 0
		.amdhsa_system_sgpr_private_segment_wavefront_offset 1
		.amdhsa_system_sgpr_workgroup_id_x 1
		.amdhsa_system_sgpr_workgroup_id_y 1
		.amdhsa_system_sgpr_workgroup_id_z 1
		.amdhsa_system_sgpr_workgroup_info 0
		.amdhsa_system_vgpr_workitem_id 0
		.amdhsa_next_free_vgpr 96
		.amdhsa_next_free_sgpr 48
		.amdhsa_accum_offset 96
		.amdhsa_reserve_vcc 1
		.amdhsa_reserve_flat_scratch 0
		.amdhsa_float_round_mode_32 0
		.amdhsa_float_round_mode_16_64 0
		.amdhsa_float_denorm_mode_32 3
		.amdhsa_float_denorm_mode_16_64 3
		.amdhsa_dx10_clamp 1
		.amdhsa_ieee_mode 1
		.amdhsa_fp16_overflow 0
		.amdhsa_tg_split 0
		.amdhsa_exception_fp_ieee_invalid_op 0
		.amdhsa_exception_fp_denorm_src 0
		.amdhsa_exception_fp_ieee_div_zero 0
		.amdhsa_exception_fp_ieee_overflow 0
		.amdhsa_exception_fp_ieee_underflow 0
		.amdhsa_exception_fp_ieee_inexact 0
		.amdhsa_exception_int_div_zero 0
	.end_amdhsa_kernel
	.section	.text._Z39paged_attention_ll4mi_QKV_mfma16_kernelIDF16_DF16_LN4vllm18Fp8KVCacheDataTypeE0EDF16_Li16ELi128ELi256ELb0ELi2EL8MFMAType0EEvPKT_PKT0_S8_ifPKiSA_SA_iPKfiiiPfSD_PS3_PT2_iSC_SC_,"axG",@progbits,_Z39paged_attention_ll4mi_QKV_mfma16_kernelIDF16_DF16_LN4vllm18Fp8KVCacheDataTypeE0EDF16_Li16ELi128ELi256ELb0ELi2EL8MFMAType0EEvPKT_PKT0_S8_ifPKiSA_SA_iPKfiiiPfSD_PS3_PT2_iSC_SC_,comdat
.Lfunc_end149:
	.size	_Z39paged_attention_ll4mi_QKV_mfma16_kernelIDF16_DF16_LN4vllm18Fp8KVCacheDataTypeE0EDF16_Li16ELi128ELi256ELb0ELi2EL8MFMAType0EEvPKT_PKT0_S8_ifPKiSA_SA_iPKfiiiPfSD_PS3_PT2_iSC_SC_, .Lfunc_end149-_Z39paged_attention_ll4mi_QKV_mfma16_kernelIDF16_DF16_LN4vllm18Fp8KVCacheDataTypeE0EDF16_Li16ELi128ELi256ELb0ELi2EL8MFMAType0EEvPKT_PKT0_S8_ifPKiSA_SA_iPKfiiiPfSD_PS3_PT2_iSC_SC_
                                        ; -- End function
	.section	.AMDGPU.csdata,"",@progbits
; Kernel info:
; codeLenInByte = 4512
; NumSgprs: 52
; NumVgprs: 96
; NumAgprs: 0
; TotalNumVgprs: 96
; ScratchSize: 8
; MemoryBound: 0
; FloatMode: 240
; IeeeMode: 1
; LDSByteSize: 8192 bytes/workgroup (compile time only)
; SGPRBlocks: 6
; VGPRBlocks: 11
; NumSGPRsForWavesPerEU: 52
; NumVGPRsForWavesPerEU: 96
; AccumOffset: 96
; Occupancy: 5
; WaveLimiterHint : 1
; COMPUTE_PGM_RSRC2:SCRATCH_EN: 1
; COMPUTE_PGM_RSRC2:USER_SGPR: 6
; COMPUTE_PGM_RSRC2:TRAP_HANDLER: 0
; COMPUTE_PGM_RSRC2:TGID_X_EN: 1
; COMPUTE_PGM_RSRC2:TGID_Y_EN: 1
; COMPUTE_PGM_RSRC2:TGID_Z_EN: 1
; COMPUTE_PGM_RSRC2:TIDIG_COMP_CNT: 0
; COMPUTE_PGM_RSRC3_GFX90A:ACCUM_OFFSET: 23
; COMPUTE_PGM_RSRC3_GFX90A:TG_SPLIT: 0
	.section	.text._Z39paged_attention_ll4mi_QKV_mfma16_kernelIDF16_DF16_LN4vllm18Fp8KVCacheDataTypeE0EDF16_Li16ELi128ELi256ELb0ELi3EL8MFMAType0EEvPKT_PKT0_S8_ifPKiSA_SA_iPKfiiiPfSD_PS3_PT2_iSC_SC_,"axG",@progbits,_Z39paged_attention_ll4mi_QKV_mfma16_kernelIDF16_DF16_LN4vllm18Fp8KVCacheDataTypeE0EDF16_Li16ELi128ELi256ELb0ELi3EL8MFMAType0EEvPKT_PKT0_S8_ifPKiSA_SA_iPKfiiiPfSD_PS3_PT2_iSC_SC_,comdat
	.protected	_Z39paged_attention_ll4mi_QKV_mfma16_kernelIDF16_DF16_LN4vllm18Fp8KVCacheDataTypeE0EDF16_Li16ELi128ELi256ELb0ELi3EL8MFMAType0EEvPKT_PKT0_S8_ifPKiSA_SA_iPKfiiiPfSD_PS3_PT2_iSC_SC_ ; -- Begin function _Z39paged_attention_ll4mi_QKV_mfma16_kernelIDF16_DF16_LN4vllm18Fp8KVCacheDataTypeE0EDF16_Li16ELi128ELi256ELb0ELi3EL8MFMAType0EEvPKT_PKT0_S8_ifPKiSA_SA_iPKfiiiPfSD_PS3_PT2_iSC_SC_
	.globl	_Z39paged_attention_ll4mi_QKV_mfma16_kernelIDF16_DF16_LN4vllm18Fp8KVCacheDataTypeE0EDF16_Li16ELi128ELi256ELb0ELi3EL8MFMAType0EEvPKT_PKT0_S8_ifPKiSA_SA_iPKfiiiPfSD_PS3_PT2_iSC_SC_
	.p2align	8
	.type	_Z39paged_attention_ll4mi_QKV_mfma16_kernelIDF16_DF16_LN4vllm18Fp8KVCacheDataTypeE0EDF16_Li16ELi128ELi256ELb0ELi3EL8MFMAType0EEvPKT_PKT0_S8_ifPKiSA_SA_iPKfiiiPfSD_PS3_PT2_iSC_SC_,@function
_Z39paged_attention_ll4mi_QKV_mfma16_kernelIDF16_DF16_LN4vllm18Fp8KVCacheDataTypeE0EDF16_Li16ELi128ELi256ELb0ELi3EL8MFMAType0EEvPKT_PKT0_S8_ifPKiSA_SA_iPKfiiiPfSD_PS3_PT2_iSC_SC_: ; @_Z39paged_attention_ll4mi_QKV_mfma16_kernelIDF16_DF16_LN4vllm18Fp8KVCacheDataTypeE0EDF16_Li16ELi128ELi256ELb0ELi3EL8MFMAType0EEvPKT_PKT0_S8_ifPKiSA_SA_iPKfiiiPfSD_PS3_PT2_iSC_SC_
; %bb.0:
	s_mov_b64 s[46:47], s[2:3]
	s_mov_b64 s[44:45], s[0:1]
	s_load_dwordx2 s[0:1], s[4:5], 0x30
	s_add_u32 s44, s44, s9
	s_addc_u32 s45, s45, 0
	s_mov_b32 s26, s7
	s_mov_b64 s[10:11], 0
	s_waitcnt lgkmcnt(0)
	s_cmp_lg_u64 s[0:1], 0
	s_cselect_b64 s[2:3], -1, 0
	s_and_b64 vcc, exec, s[2:3]
	s_cbranch_vccz .LBB150_7
; %bb.1:
	s_add_i32 s12, s6, 1
	s_mov_b32 s13, 0
	s_lshl_b64 s[14:15], s[12:13], 2
	s_add_u32 s14, s0, s14
	s_mov_b32 s7, s13
	s_addc_u32 s15, s1, s15
	s_lshl_b64 s[12:13], s[6:7], 2
	s_add_u32 s12, s0, s12
	s_addc_u32 s13, s1, s13
	s_load_dword s9, s[14:15], 0x0
	s_load_dword s16, s[12:13], 0x0
	s_waitcnt lgkmcnt(0)
	s_sub_i32 s9, s9, s16
	s_cmp_eq_u32 s9, 1
	s_cselect_b64 s[12:13], -1, 0
	s_andn2_b64 vcc, exec, s[10:11]
	s_cbranch_vccnz .LBB150_3
.LBB150_2:
	s_mov_b32 s7, 0
	s_mov_b64 s[12:13], -1
.LBB150_3:
	s_andn2_b64 vcc, exec, s[12:13]
	s_cbranch_vccnz .LBB150_17
; %bb.4:
	s_load_dwordx2 s[12:13], s[4:5], 0x28
	s_lshl_b64 s[10:11], s[6:7], 2
	s_waitcnt lgkmcnt(0)
	s_add_u32 s12, s12, s10
	s_addc_u32 s13, s13, s11
	s_load_dword s38, s[12:13], 0x0
	s_lshl_b32 s9, s26, 8
	s_waitcnt lgkmcnt(0)
	s_cmp_ge_i32 s9, s38
	s_cbranch_scc1 .LBB150_17
; %bb.5:
	s_add_i32 s15, s38, 15
	s_load_dwordx2 s[12:13], s[4:5], 0x20
	s_load_dword s14, s[4:5], 0x38
	s_ashr_i32 s16, s15, 31
	v_and_b32_e32 v1, 0xcf, v0
	s_lshr_b32 s16, s16, 28
	v_add_u32_e32 v1, s9, v1
	s_add_i32 s15, s15, s16
	v_ashrrev_i32_e32 v2, 31, v1
	s_ashr_i32 s18, s15, 4
	v_lshrrev_b32_e32 v6, 28, v2
	s_add_i32 s18, s18, -1
	v_add_u32_e32 v2, v1, v6
	s_waitcnt lgkmcnt(0)
	s_mul_i32 s14, s6, s14
	s_mov_b32 s15, 0
	v_ashrrev_i32_e32 v2, 4, v2
	v_mov_b32_e32 v7, s18
	v_cmp_gt_i32_e32 vcc, s38, v1
	s_lshl_b64 s[14:15], s[14:15], 2
	v_cndmask_b32_e32 v2, v7, v2, vcc
	s_add_u32 s16, s12, s14
	v_ashrrev_i32_e32 v3, 31, v2
	s_addc_u32 s17, s13, s15
	v_lshlrev_b64 v[2:3], 2, v[2:3]
	v_mov_b32_e32 v5, s17
	v_add_co_u32_e32 v4, vcc, s16, v2
	v_or_b32_e32 v2, 16, v1
	v_addc_co_u32_e32 v5, vcc, v5, v3, vcc
	v_add_u32_e32 v3, v2, v6
	v_ashrrev_i32_e32 v3, 4, v3
	v_cmp_gt_i32_e32 vcc, s38, v2
	v_cndmask_b32_e32 v2, v7, v3, vcc
	v_ashrrev_i32_e32 v3, 31, v2
	v_lshlrev_b64 v[2:3], 2, v[2:3]
	v_mov_b32_e32 v9, s17
	v_add_co_u32_e32 v8, vcc, s16, v2
	v_or_b32_e32 v2, 32, v1
	v_addc_co_u32_e32 v9, vcc, v9, v3, vcc
	v_add_u32_e32 v3, v2, v6
	v_ashrrev_i32_e32 v3, 4, v3
	v_cmp_gt_i32_e32 vcc, s38, v2
	v_cndmask_b32_e32 v2, v7, v3, vcc
	v_ashrrev_i32_e32 v3, 31, v2
	;; [unrolled: 10-line block ×3, first 2 shown]
	v_lshlrev_b64 v[2:3], 2, v[2:3]
	v_mov_b32_e32 v1, s17
	v_add_co_u32_e32 v12, vcc, s16, v2
	v_addc_co_u32_e32 v13, vcc, v1, v3, vcc
	global_load_dword v3, v[4:5], off
	global_load_dword v2, v[8:9], off
	;; [unrolled: 1-line block ×4, first 2 shown]
	s_load_dwordx4 s[12:15], s[4:5], 0x8
	s_andn2_b64 vcc, exec, s[2:3]
	s_cbranch_vccnz .LBB150_8
; %bb.6:
	s_add_u32 s0, s0, s10
	s_addc_u32 s1, s1, s11
	s_load_dword s19, s[0:1], 0x0
	s_branch .LBB150_9
.LBB150_7:
	s_mov_b64 s[12:13], 0
	s_branch .LBB150_2
.LBB150_8:
	s_mov_b32 s19, s6
.LBB150_9:
	v_bfe_u32 v95, v0, 4, 2
	s_mul_i32 s27, s8, 3
	s_load_dwordx4 s[0:3], s[4:5], 0x48
	v_add_u32_e32 v1, s27, v95
	v_lshrrev_b32_e32 v86, 6, v0
	buffer_store_dword v1, off, s[44:47], 0 offset:4 ; 4-byte Folded Spill
	v_and_b32_e32 v1, 15, v0
	v_lshl_or_b32 v4, v86, 2, v95
	v_lshlrev_b32_e32 v5, 3, v1
	v_and_b32_e32 v87, 63, v0
	v_cmp_gt_u32_e32 vcc, 3, v4
	v_lshlrev_b32_e32 v5, 1, v5
	buffer_store_dword v5, off, s[44:47], 0 ; 4-byte Folded Spill
	s_and_saveexec_b64 s[10:11], vcc
	s_cbranch_execz .LBB150_11
; %bb.10:
	buffer_load_dword v5, off, s[44:47], 0 offset:4 ; 4-byte Folded Reload
	s_load_dwordx2 s[20:21], s[4:5], 0x0
	s_waitcnt lgkmcnt(0)
	s_ashr_i32 s3, s0, 31
	s_mul_hi_u32 s22, s19, s0
	s_mul_i32 s3, s19, s3
	s_add_i32 s23, s22, s3
	s_mul_i32 s22, s19, s0
	s_lshl_b64 s[22:23], s[22:23], 1
	s_add_u32 s0, s20, s22
	s_addc_u32 s3, s21, s23
	v_lshlrev_b32_e32 v4, 5, v4
	s_waitcnt vmcnt(0)
	v_lshlrev_b32_e32 v8, 7, v5
	v_ashrrev_i32_e32 v9, 31, v8
	v_lshlrev_b64 v[8:9], 1, v[8:9]
	v_add_co_u32_e32 v7, vcc, s0, v8
	buffer_load_dword v8, off, s[44:47], 0  ; 4-byte Folded Reload
	v_mov_b32_e32 v5, s3
	v_addc_co_u32_e32 v5, vcc, v5, v9, vcc
	s_waitcnt vmcnt(0)
	v_add_co_u32_e32 v8, vcc, v7, v8
	v_addc_co_u32_e32 v9, vcc, 0, v5, vcc
	global_load_dwordx4 v[8:11], v[8:9], off
	v_and_b32_e32 v5, 3, v0
	v_lshlrev_b32_e32 v7, 9, v1
	v_lshlrev_b32_e32 v5, 9, v5
	v_and_b32_e32 v7, 0x1800, v7
	v_or3_b32 v4, v7, v5, v4
	s_waitcnt vmcnt(0)
	ds_write_b128 v4, v[8:11]
.LBB150_11:
	s_or_b64 exec, exec, s[10:11]
	s_waitcnt lgkmcnt(0)
	s_mul_i32 s2, s8, s2
	s_mov_b32 s3, 0
	s_lshl_b64 s[2:3], s[2:3], 1
	s_add_u32 s8, s12, s2
	v_lshlrev_b32_e32 v7, 4, v0
	s_addc_u32 s10, s13, s3
	v_and_b32_e32 v4, 0xf0, v7
	v_mov_b32_e32 v5, s10
	v_add_co_u32_e32 v29, vcc, s8, v4
	v_addc_co_u32_e32 v30, vcc, 0, v5, vcc
	s_waitcnt vmcnt(5)
	v_mad_i64_i32 v[4:5], s[10:11], v3, s1, 0
	v_lshlrev_b64 v[4:5], 1, v[4:5]
	v_add_co_u32_e32 v3, vcc, v29, v4
	v_addc_co_u32_e32 v4, vcc, v30, v5, vcc
	v_and_b32_e32 v31, 0x300, v7
	v_add_co_u32_e32 v22, vcc, v3, v31
	v_addc_co_u32_e32 v23, vcc, 0, v4, vcc
	s_load_dword s33, s[4:5], 0x98
	s_load_dword s0, s[4:5], 0x1c
	s_waitcnt lgkmcnt(0)
	s_barrier
	global_load_dwordx4 v[10:13], v[22:23], off
	global_load_dwordx4 v[18:21], v[22:23], off offset:1024
	s_waitcnt vmcnt(6)
	v_mad_i64_i32 v[2:3], s[10:11], v2, s1, 0
	v_lshlrev_b64 v[2:3], 1, v[2:3]
	v_add_co_u32_e32 v2, vcc, v29, v2
	v_addc_co_u32_e32 v3, vcc, v30, v3, vcc
	v_add_co_u32_e32 v24, vcc, v2, v31
	v_addc_co_u32_e32 v25, vcc, 0, v3, vcc
	global_load_dwordx4 v[14:17], v[24:25], off
	global_load_dwordx4 v[38:41], v[24:25], off offset:1024
	v_mul_lo_u16_e32 v2, 0x56, v1
	v_mov_b32_e32 v3, 3
	v_mul_lo_u16_sdwa v2, v2, v3 dst_sel:DWORD dst_unused:UNUSED_PAD src0_sel:BYTE_1 src1_sel:DWORD
	v_mov_b32_e32 v4, 5
	v_sub_u16_e32 v2, v1, v2
	v_lshlrev_b32_sdwa v2, v4, v2 dst_sel:DWORD dst_unused:UNUSED_PAD src0_sel:DWORD src1_sel:BYTE_0
	v_lshl_add_u32 v32, v95, 9, v2
	ds_read_b128 v[2:5], v32
	s_waitcnt vmcnt(7)
	v_mad_i64_i32 v[6:7], s[10:11], v6, s1, 0
	v_lshlrev_b64 v[26:27], 1, v[6:7]
	ds_read_b128 v[6:9], v32 offset:2048
	v_and_or_b32 v62, v0, 48, s9
	v_mov_b32_e32 v63, s18
	v_mov_b32_e32 v68, s17
	s_add_u32 s8, s14, s2
	v_lshl_or_b32 v88, v86, 4, v1
	v_lshlrev_b32_e32 v76, 5, v88
	s_mov_b32 s40, 0xff7fffff
	s_waitcnt vmcnt(3) lgkmcnt(1)
	v_mfma_f32_16x16x16f16 v[34:37], v[10:11], v[2:3], 0
	v_add_co_u32_e32 v10, vcc, v29, v26
	v_addc_co_u32_e32 v11, vcc, v30, v27, vcc
	v_add_co_u32_e32 v26, vcc, v10, v31
	v_addc_co_u32_e32 v27, vcc, 0, v11, vcc
	global_load_dwordx4 v[46:49], v[26:27], off
	global_load_dwordx4 v[58:61], v[26:27], off offset:1024
	s_waitcnt vmcnt(3)
	v_mfma_f32_16x16x16f16 v[42:45], v[14:15], v[2:3], 0
	v_cmp_gt_i32_e32 vcc, s38, v62
	v_mfma_f32_16x16x16f16 v[14:17], v[16:17], v[4:5], v[42:45]
	s_nop 7
	s_nop 0
	global_load_dwordx4 v[42:45], v[22:23], off offset:2048
	v_mfma_f32_16x16x16f16 v[10:13], v[12:13], v[4:5], v[34:37]
	s_waitcnt vmcnt(3) lgkmcnt(0)
	v_mfma_f32_16x16x16f16 v[14:17], v[38:39], v[6:7], v[14:17]
	v_mfma_f32_16x16x16f16 v[10:13], v[18:19], v[6:7], v[10:13]
	v_mfma_f32_16x16x16f16 v[14:17], v[40:41], v[8:9], v[14:17]
	global_load_dwordx4 v[38:41], v[22:23], off offset:3072
	v_mfma_f32_16x16x16f16 v[18:21], v[20:21], v[8:9], v[10:13]
	s_waitcnt vmcnt(3)
	v_mfma_f32_16x16x16f16 v[50:53], v[46:47], v[2:3], 0
	v_mfma_f32_16x16x16f16 v[34:37], v[48:49], v[4:5], v[50:53]
	global_load_dwordx4 v[46:49], v[24:25], off offset:2048
	s_nop 3
	ds_read_b128 v[10:13], v32 offset:4096
	s_nop 3
	ds_read_b128 v[50:53], v32 offset:6144
	global_load_dwordx4 v[22:25], v[24:25], off offset:3072
	v_mad_i64_i32 v[32:33], s[10:11], v28, s1, 0
	v_mov_b32_e32 v28, s17
	s_addc_u32 s10, s15, s3
	s_waitcnt vmcnt(3) lgkmcnt(1)
	v_mfma_f32_16x16x16f16 v[18:21], v[42:43], v[10:11], v[18:21]
	v_mfma_f32_16x16x16f16 v[18:21], v[44:45], v[12:13], v[18:21]
	global_load_dwordx4 v[42:45], v[26:27], off offset:2048
	s_waitcnt vmcnt(3) lgkmcnt(0)
	v_mfma_f32_16x16x16f16 v[18:21], v[38:39], v[50:51], v[18:21]
	v_or_b32_e32 v38, 64, v62
	v_ashrrev_i32_e32 v39, 4, v38
	v_mfma_f32_16x16x16f16 v[54:57], v[40:41], v[52:53], v[18:21]
	s_waitcnt vmcnt(2)
	v_mfma_f32_16x16x16f16 v[14:17], v[46:47], v[10:11], v[14:17]
	v_mfma_f32_16x16x16f16 v[14:17], v[48:49], v[12:13], v[14:17]
	global_load_dwordx4 v[46:49], v[26:27], off offset:3072
	v_lshlrev_b64 v[26:27], 1, v[32:33]
	v_ashrrev_i32_e32 v32, 4, v62
	v_cndmask_b32_e32 v32, v63, v32, vcc
	v_ashrrev_i32_e32 v33, 31, v32
	v_cmp_gt_i32_e32 vcc, s38, v38
	v_cndmask_b32_e32 v38, v63, v39, vcc
	s_waitcnt vmcnt(2)
	v_mfma_f32_16x16x16f16 v[14:17], v[22:23], v[50:51], v[14:17]
	v_lshlrev_b64 v[22:23], 2, v[32:33]
	v_add_co_u32_e32 v22, vcc, s16, v22
	v_addc_co_u32_e32 v23, vcc, v28, v23, vcc
	v_add_co_u32_e32 v18, vcc, v29, v26
	v_addc_co_u32_e32 v19, vcc, v30, v27, vcc
	;; [unrolled: 2-line block ×3, first 2 shown]
	v_mfma_f32_16x16x16f16 v[64:67], v[24:25], v[52:53], v[14:17]
	global_load_dword v30, v[22:23], off
	v_ashrrev_i32_e32 v39, 31, v38
	v_lshlrev_b64 v[32:33], 2, v[38:39]
	v_add_co_u32_e32 v18, vcc, s16, v32
	v_addc_co_u32_e32 v19, vcc, v68, v33, vcc
	s_nop 1
	global_load_dwordx4 v[14:17], v[26:27], off
	global_load_dword v31, v[18:19], off
	s_nop 0
	global_load_dwordx4 v[18:21], v[26:27], off offset:1024
	global_load_dwordx4 v[68:71], v[26:27], off offset:2048
	;; [unrolled: 1-line block ×3, first 2 shown]
	v_mfma_f32_16x16x16f16 v[22:25], v[58:59], v[6:7], v[34:37]
	v_or_b32_e32 v28, 0x80, v62
	v_ashrrev_i32_e32 v29, 4, v28
	v_cmp_gt_i32_e32 vcc, s38, v28
	v_cndmask_b32_e32 v28, v63, v29, vcc
	v_ashrrev_i32_e32 v29, 31, v28
	v_lshlrev_b64 v[28:29], 2, v[28:29]
	v_mov_b32_e32 v32, s17
	v_mfma_f32_16x16x16f16 v[22:25], v[60:61], v[8:9], v[22:25]
	v_add_co_u32_e32 v28, vcc, s16, v28
	v_addc_co_u32_e32 v29, vcc, v32, v29, vcc
	global_load_dword v32, v[28:29], off
	v_or_b32_e32 v28, 0xc0, v62
	v_ashrrev_i32_e32 v29, 4, v28
	v_cmp_gt_i32_e32 vcc, s38, v28
	v_cndmask_b32_e32 v28, v63, v29, vcc
	v_ashrrev_i32_e32 v29, 31, v28
	v_lshlrev_b64 v[28:29], 2, v[28:29]
	s_waitcnt vmcnt(8)
	v_mfma_f32_16x16x16f16 v[22:25], v[42:43], v[10:11], v[22:25]
	v_mov_b32_e32 v33, s17
	v_add_co_u32_e32 v28, vcc, s16, v28
	v_addc_co_u32_e32 v29, vcc, v33, v29, vcc
	global_load_dword v58, v[28:29], off
	v_mov_b32_e32 v26, s10
	v_mfma_f32_16x16x16f16 v[22:25], v[44:45], v[12:13], v[22:25]
	v_add_co_u32_e32 v77, vcc, s8, v76
	v_addc_co_u32_e32 v78, vcc, 0, v26, vcc
	v_pk_mul_f32 v[80:81], s[0:1], v[66:67] op_sel_hi:[0,1]
	s_waitcnt vmcnt(8)
	v_mfma_f32_16x16x16f16 v[22:25], v[46:47], v[50:51], v[22:25]
	v_mfma_f32_16x16x16f16 v[72:75], v[48:49], v[52:53], v[22:25]
	s_waitcnt vmcnt(7)
	s_nop 7
	s_nop 0
	v_mad_i64_i32 v[22:23], s[2:3], v30, s1, 0
	v_lshlrev_b64 v[62:63], 1, v[22:23]
	s_waitcnt vmcnt(6)
	v_mfma_f32_16x16x16f16 v[22:25], v[14:15], v[2:3], 0
	v_add_co_u32_e32 v2, vcc, v77, v62
	v_addc_co_u32_e32 v3, vcc, v78, v63, vcc
	global_load_dwordx4 v[46:49], v[2:3], off
	global_load_dwordx4 v[42:45], v[2:3], off offset:16
	s_waitcnt vmcnt(7)
	v_mad_i64_i32 v[2:3], s[2:3], v31, s1, 0
	v_lshlrev_b64 v[14:15], 1, v[2:3]
	v_mfma_f32_16x16x16f16 v[2:5], v[16:17], v[4:5], v[22:25]
	v_add_co_u32_e32 v16, vcc, v77, v14
	v_addc_co_u32_e32 v17, vcc, v78, v15, vcc
	global_load_dwordx4 v[38:41], v[16:17], off
	global_load_dwordx4 v[34:37], v[16:17], off offset:16
	s_waitcnt vmcnt(5)
	v_mad_i64_i32 v[16:17], s[2:3], v32, s1, 0
	v_mfma_f32_16x16x16f16 v[2:5], v[18:19], v[6:7], v[2:5]
	v_lshlrev_b64 v[60:61], 1, v[16:17]
	v_add_co_u32_e32 v6, vcc, v77, v60
	v_addc_co_u32_e32 v7, vcc, v78, v61, vcc
	global_load_dwordx4 v[30:33], v[6:7], off
	global_load_dwordx4 v[26:29], v[6:7], off offset:16
	s_waitcnt vmcnt(6)
	v_mad_i64_i32 v[6:7], s[2:3], v58, s1, 0
	v_mfma_f32_16x16x16f16 v[2:5], v[20:21], v[8:9], v[2:5]
	v_lshlrev_b64 v[58:59], 1, v[6:7]
	v_add_co_u32_e32 v6, vcc, v77, v58
	v_addc_co_u32_e32 v7, vcc, v78, v59, vcc
	global_load_dwordx4 v[22:25], v[6:7], off
	global_load_dwordx4 v[18:21], v[6:7], off offset:16
	v_or_b32_e32 v6, 0x800, v76
	v_mfma_f32_16x16x16f16 v[2:5], v[68:69], v[10:11], v[2:5]
	v_mov_b32_e32 v7, s10
	v_add_co_u32_e32 v68, vcc, s8, v6
	v_addc_co_u32_e32 v69, vcc, 0, v7, vcc
	v_pk_mul_f32 v[76:77], s[0:1], v[74:75] op_sel_hi:[0,1]
	v_pk_mul_f32 v[74:75], s[0:1], v[72:73] op_sel_hi:[0,1]
	v_mfma_f32_16x16x16f16 v[10:13], v[70:71], v[12:13], v[2:5]
	v_pk_mul_f32 v[78:79], s[0:1], v[56:57] op_sel_hi:[0,1]
	v_pk_mul_f32 v[70:71], s[0:1], v[64:65] op_sel_hi:[0,1]
	v_mfma_f32_16x16x16f16 v[82:85], v[90:91], v[50:51], v[10:13]
	s_nop 3
	v_add_co_u32_e32 v2, vcc, v68, v62
	v_addc_co_u32_e32 v3, vcc, v69, v63, vcc
	v_add_co_u32_e32 v62, vcc, v68, v14
	v_addc_co_u32_e32 v63, vcc, v69, v15, vcc
	v_mfma_f32_16x16x16f16 v[50:53], v[92:93], v[52:53], v[82:85]
	global_load_dwordx4 v[6:9], v[2:3], off
	s_nop 0
	global_load_dwordx4 v[2:5], v[2:3], off offset:16
	s_nop 0
	global_load_dwordx4 v[14:17], v[62:63], off
	global_load_dwordx4 v[10:13], v[62:63], off offset:16
	v_pk_mul_f32 v[62:63], s[0:1], v[54:55] op_sel_hi:[0,1]
	s_nop 3
	v_pk_mul_f32 v[72:73], s[0:1], v[50:51] op_sel_hi:[0,1]
	v_and_b32_e32 v50, 0xc0, v0
	v_add_u32_e32 v50, s9, v50
	v_lshl_or_b32 v50, v95, 2, v50
	v_pk_mul_f32 v[66:67], s[0:1], v[52:53] op_sel_hi:[0,1]
	v_or_b32_e32 v53, 1, v50
	v_mov_b32_e32 v51, 0xff7fffff
	v_cmp_gt_i32_e64 s[28:29], s38, v50
	v_cmp_gt_i32_e64 s[30:31], s38, v53
	v_cndmask_b32_e64 v52, v51, v62, s[28:29]
	v_cndmask_b32_e64 v53, v51, v63, s[30:31]
	v_max3_f32 v52, v52, s40, v53
	v_or_b32_e32 v53, 2, v50
	v_or_b32_e32 v54, 3, v50
	v_cmp_gt_i32_e64 s[34:35], s38, v53
	v_cmp_gt_i32_e64 s[36:37], s38, v54
	v_cndmask_b32_e64 v53, v51, v78, s[34:35]
	v_cndmask_b32_e64 v54, v51, v79, s[36:37]
	v_max3_f32 v52, v52, v53, v54
	v_or_b32_e32 v53, 16, v50
	v_or_b32_e32 v54, 17, v50
	;; [unrolled: 7-line block ×7, first 2 shown]
	v_cmp_gt_i32_e32 vcc, s38, v53
	v_cmp_gt_i32_e64 s[0:1], s38, v50
	v_cndmask_b32_e32 v53, v51, v66, vcc
	v_cndmask_b32_e64 v50, v51, v67, s[0:1]
	v_max3_f32 v64, v52, v53, v50
	v_mbcnt_lo_u32_b32 v50, -1, 0
	v_mbcnt_hi_u32_b32 v65, -1, v50
	v_and_b32_e32 v50, 64, v65
	v_add_u32_e32 v82, 64, v50
	v_xor_b32_e32 v50, 32, v65
	v_cmp_lt_i32_e64 s[38:39], v50, v82
	v_cndmask_b32_e64 v50, v65, v50, s[38:39]
	v_lshlrev_b32_e32 v83, 2, v50
	ds_bpermute_b32 v84, v83, v64
	v_add_co_u32_e64 v50, s[38:39], v68, v60
	v_addc_co_u32_e64 v51, s[38:39], v69, v61, s[38:39]
	v_xor_b32_e32 v61, 16, v65
	v_cmp_lt_i32_e64 s[38:39], v61, v82
	s_waitcnt lgkmcnt(0)
	v_max_f32_e32 v60, v84, v84
	v_cndmask_b32_e64 v61, v65, v61, s[38:39]
	v_max_f32_e32 v60, v64, v60
	v_lshlrev_b32_e32 v82, 2, v61
	ds_bpermute_b32 v61, v82, v60
	v_add_co_u32_e64 v58, s[38:39], v68, v58
	v_addc_co_u32_e64 v59, s[38:39], v69, v59, s[38:39]
	s_waitcnt lgkmcnt(0)
	v_max_f32_e32 v61, v61, v61
	v_max_f32_e32 v89, v60, v61
	v_sub_f32_e32 v60, v62, v89
	v_mul_f32_e32 v60, 0x3fb8aa3b, v60
	v_exp_f32_e32 v68, v60
	v_sub_f32_e32 v60, v63, v89
	v_mul_f32_e32 v60, 0x3fb8aa3b, v60
	global_load_dwordx4 v[54:57], v[50:51], off
	s_nop 0
	global_load_dwordx4 v[50:53], v[50:51], off offset:16
	v_exp_f32_e32 v69, v60
	global_load_dwordx4 v[62:65], v[58:59], off
	s_nop 0
	global_load_dwordx4 v[58:61], v[58:59], off offset:16
	v_sub_f32_e32 v78, v78, v89
	v_mul_f32_e32 v78, 0x3fb8aa3b, v78
	v_sub_f32_e32 v79, v79, v89
	v_exp_f32_e32 v78, v78
	v_mul_f32_e32 v79, 0x3fb8aa3b, v79
	v_sub_f32_e32 v70, v70, v89
	v_exp_f32_e32 v79, v79
	v_mul_f32_e32 v70, 0x3fb8aa3b, v70
	v_sub_f32_e32 v71, v71, v89
	v_cndmask_b32_e64 v68, 0, v68, s[28:29]
	v_exp_f32_e32 v70, v70
	v_mul_f32_e32 v71, 0x3fb8aa3b, v71
	v_sub_f32_e32 v80, v80, v89
	v_add_f32_e32 v84, 0, v68
	v_cndmask_b32_e64 v69, 0, v69, s[30:31]
	v_exp_f32_e32 v71, v71
	v_mul_f32_e32 v80, 0x3fb8aa3b, v80
	v_sub_f32_e32 v81, v81, v89
	v_add_f32_e32 v84, v84, v69
	;; [unrolled: 5-line block ×10, first 2 shown]
	v_cndmask_b32_e64 v76, 0, v76, s[10:11]
	v_exp_f32_e32 v66, v66
	v_mul_f32_e32 v67, 0x3fb8aa3b, v67
	v_add_f32_e32 v84, v84, v76
	v_cndmask_b32_e64 v77, 0, v77, s[12:13]
	v_exp_f32_e32 v67, v67
	v_add_f32_e32 v84, v84, v77
	v_cndmask_b32_e64 v72, 0, v72, s[2:3]
	v_add_f32_e32 v84, v84, v72
	v_cndmask_b32_e64 v73, 0, v73, s[8:9]
	v_add_f32_e32 v84, v84, v73
	v_cndmask_b32_e32 v66, 0, v66, vcc
	v_add_f32_e32 v84, v84, v66
	v_cndmask_b32_e64 v67, 0, v67, s[0:1]
	v_add_f32_e32 v84, v84, v67
	ds_bpermute_b32 v83, v83, v84
	v_cmp_gt_u32_e32 vcc, 16, v87
	s_waitcnt lgkmcnt(0)
	s_barrier
	v_add_f32_e32 v90, v84, v83
	ds_bpermute_b32 v91, v82, v90
	s_and_saveexec_b64 s[0:1], vcc
	s_cbranch_execz .LBB150_13
; %bb.12:
	s_waitcnt lgkmcnt(0)
	v_add_f32_e32 v82, v90, v91
	v_lshlrev_b32_e32 v83, 2, v88
	ds_write2st64_b32 v83, v89, v82 offset1:1
.LBB150_13:
	s_or_b64 exec, exec, s[0:1]
	v_lshlrev_b32_e32 v90, 2, v1
	s_load_dword s2, s[4:5], 0x94
	s_waitcnt lgkmcnt(0)
	s_barrier
	ds_read2_b32 v[82:83], v90 offset1:16
	ds_read2_b32 v[84:85], v90 offset0:32 offset1:48
	ds_read2_b32 v[88:89], v90 offset0:64 offset1:80
	s_mul_i32 s8, s33, 3
	s_waitcnt lgkmcnt(2)
	v_max3_f32 v87, v82, s40, v83
	s_waitcnt lgkmcnt(1)
	v_max3_f32 v87, v87, v84, v85
	v_sub_f32_e32 v82, v82, v87
	v_mul_f32_e32 v82, 0x3fb8aa3b, v82
	v_exp_f32_e32 v91, v82
	v_sub_f32_e32 v82, v83, v87
	v_mul_f32_e32 v82, 0x3fb8aa3b, v82
	v_exp_f32_e32 v92, v82
	;; [unrolled: 3-line block ×3, first 2 shown]
	ds_read2_b32 v[82:83], v90 offset0:96 offset1:112
	v_sub_f32_e32 v85, v85, v87
	v_mul_f32_e32 v85, 0x3fb8aa3b, v85
	v_exp_f32_e32 v85, v85
	s_waitcnt lgkmcnt(1)
	v_fma_f32 v88, v91, v88, 0
	v_fmac_f32_e32 v88, v92, v89
	s_waitcnt lgkmcnt(0)
	v_fmac_f32_e32 v88, v84, v82
	v_fmac_f32_e32 v88, v85, v83
	v_add_f32_e32 v82, 0x358637bd, v88
	v_div_scale_f32 v83, s[0:1], v82, v82, 1.0
	v_rcp_f32_e32 v89, v83
	s_barrier
	v_fma_f32 v90, -v83, v89, 1.0
	v_fmac_f32_e32 v89, v90, v89
	v_div_scale_f32 v90, vcc, 1.0, v82, 1.0
	v_mul_f32_e32 v93, v90, v89
	v_fma_f32 v94, -v83, v93, v90
	v_fmac_f32_e32 v93, v94, v89
	v_fma_f32 v83, -v83, v93, v90
	v_div_fmas_f32 v83, v83, v89, v93
	v_cmp_eq_u32_e32 vcc, 1, v86
	v_div_fixup_f32 v82, v83, v82, 1.0
	v_cndmask_b32_e32 v83, v91, v92, vcc
	v_cmp_eq_u32_e32 vcc, 2, v86
	v_cndmask_b32_e32 v83, v83, v84, vcc
	v_cmp_eq_u32_e32 vcc, 3, v86
	v_cndmask_b32_e32 v83, v83, v85, vcc
	v_mul_f32_e32 v82, v83, v82
	v_pk_mul_f32 v[78:79], v[82:83], v[78:79] op_sel_hi:[0,1]
	v_cvt_f16_f32_e32 v78, v78
	v_cvt_f16_f32_e32 v79, v79
	v_pk_mul_f32 v[68:69], v[82:83], v[68:69] op_sel_hi:[0,1]
	v_cvt_f16_f32_e32 v68, v68
	v_cvt_f16_f32_e32 v69, v69
	v_pack_b32_f16 v85, v78, v79
	v_pk_mul_f32 v[78:79], v[82:83], v[80:81] op_sel_hi:[0,1]
	v_pk_mul_f32 v[70:71], v[82:83], v[70:71] op_sel_hi:[0,1]
	v_cvt_f16_f32_e32 v70, v70
	v_cvt_f16_f32_e32 v71, v71
	;; [unrolled: 1-line block ×4, first 2 shown]
	v_pack_b32_f16 v84, v68, v69
	v_lshlrev_b32_e32 v69, 3, v95
	v_lshlrev_b32_e32 v68, 5, v1
	;; [unrolled: 1-line block ×3, first 2 shown]
	v_or3_b32 v78, v78, v68, v69
	v_pack_b32_f16 v70, v70, v71
	v_pack_b32_f16 v71, v80, v79
	ds_write2st64_b64 v78, v[84:85], v[70:71] offset1:1
	v_pk_mul_f32 v[70:71], v[82:83], v[76:77] op_sel_hi:[0,1]
	v_pk_mul_f32 v[74:75], v[82:83], v[74:75] op_sel_hi:[0,1]
	v_cvt_f16_f32_e32 v69, v74
	v_cvt_f16_f32_e32 v74, v75
	;; [unrolled: 1-line block ×4, first 2 shown]
	v_pk_mul_f32 v[66:67], v[82:83], v[66:67] op_sel_hi:[0,1]
	v_pk_mul_f32 v[70:71], v[82:83], v[72:73] op_sel_hi:[0,1]
	v_cvt_f16_f32_e32 v70, v70
	v_cvt_f16_f32_e32 v71, v71
	;; [unrolled: 1-line block ×4, first 2 shown]
	v_pack_b32_f16 v66, v69, v74
	v_pack_b32_f16 v67, v75, v76
	;; [unrolled: 1-line block ×4, first 2 shown]
	v_cmp_gt_u32_e32 vcc, 3, v0
	ds_write2st64_b64 v78, v[66:67], v[70:71] offset0:2 offset1:3
	s_and_saveexec_b64 s[0:1], vcc
	s_cbranch_execz .LBB150_15
; %bb.14:
	v_add_co_u32_e32 v70, vcc, s27, v1
	v_addc_co_u32_e64 v71, s[10:11], 0, 0, vcc
	v_mov_b32_e32 v66, s8
	v_mov_b32_e32 v67, 0
	v_mad_u64_u32 v[70:71], s[10:11], s6, v66, v[70:71]
	v_mov_b32_e32 v66, s26
	s_load_dwordx4 s[12:15], s[4:5], 0x58
	s_mul_i32 s3, s7, s8
	v_mad_u64_u32 v[66:67], s[10:11], v70, s2, v[66:67]
	v_add_u32_e32 v69, s3, v71
	v_mov_b32_e32 v70, v67
	v_mad_u64_u32 v[70:71], s[10:11], v69, s2, v[70:71]
	v_mov_b32_e32 v67, v70
	v_lshlrev_b64 v[66:67], 2, v[66:67]
	s_waitcnt lgkmcnt(0)
	v_mov_b32_e32 v69, s15
	v_add_co_u32_e32 v70, vcc, s14, v66
	v_addc_co_u32_e32 v71, vcc, v69, v67, vcc
	v_mov_b32_e32 v69, s13
	v_add_co_u32_e32 v66, vcc, s12, v66
	v_addc_co_u32_e32 v67, vcc, v69, v67, vcc
	global_store_dword v[70:71], v87, off
	global_store_dword v[66:67], v88, off
.LBB150_15:
	s_or_b64 exec, exec, s[0:1]
	v_lshl_or_b32 v79, v95, 9, v68
	s_waitcnt lgkmcnt(0)
	s_barrier
	ds_read_b128 v[70:73], v79
	ds_read_b128 v[66:69], v79 offset:16
	s_waitcnt vmcnt(15) lgkmcnt(1)
	v_mfma_f32_16x16x16f16 v[74:77], v[46:47], v[70:71], 0
	v_cmp_gt_u32_e32 vcc, 64, v0
	v_cmp_ne_u32_e64 s[0:1], 3, v95
	s_mov_b32 s3, 0
	s_and_b64 s[0:1], vcc, s[0:1]
	v_mfma_f32_16x16x16f16 v[46:49], v[48:49], v[72:73], v[74:77]
	s_waitcnt vmcnt(14) lgkmcnt(0)
	v_mfma_f32_16x16x16f16 v[46:49], v[42:43], v[66:67], v[46:49]
	v_mfma_f32_16x16x16f16 v[42:45], v[44:45], v[68:69], v[46:49]
	s_nop 7
	s_nop 1
	ds_read_b128 v[46:49], v79 offset:2048
	ds_read_b128 v[74:77], v79 offset:2064
	s_waitcnt vmcnt(13) lgkmcnt(1)
	v_mfma_f32_16x16x16f16 v[42:45], v[38:39], v[46:47], v[42:45]
	v_mfma_f32_16x16x16f16 v[38:41], v[40:41], v[48:49], v[42:45]
	s_waitcnt vmcnt(12) lgkmcnt(0)
	v_mfma_f32_16x16x16f16 v[38:41], v[34:35], v[74:75], v[38:41]
	v_mfma_f32_16x16x16f16 v[34:37], v[36:37], v[76:77], v[38:41]
	s_nop 7
	s_nop 1
	ds_read_b128 v[38:41], v79 offset:4096
	ds_read_b128 v[42:45], v79 offset:4112
	s_waitcnt vmcnt(11) lgkmcnt(1)
	v_mfma_f32_16x16x16f16 v[34:37], v[30:31], v[38:39], v[34:37]
	v_mfma_f32_16x16x16f16 v[30:33], v[32:33], v[40:41], v[34:37]
	s_waitcnt vmcnt(10) lgkmcnt(0)
	v_mfma_f32_16x16x16f16 v[30:33], v[26:27], v[42:43], v[30:33]
	v_mfma_f32_16x16x16f16 v[26:29], v[28:29], v[44:45], v[30:33]
	s_nop 7
	s_nop 1
	ds_read_b128 v[30:33], v79 offset:6144
	ds_read_b128 v[34:37], v79 offset:6160
	s_waitcnt lgkmcnt(0)
	s_barrier
	s_waitcnt vmcnt(9)
	v_mfma_f32_16x16x16f16 v[26:29], v[22:23], v[30:31], v[26:29]
	v_mfma_f32_16x16x16f16 v[22:25], v[24:25], v[32:33], v[26:29]
	s_waitcnt vmcnt(8)
	v_mfma_f32_16x16x16f16 v[22:25], v[18:19], v[34:35], v[22:25]
	v_mfma_f32_16x16x16f16 v[18:21], v[20:21], v[36:37], v[22:25]
	;; [unrolled: 3-line block ×4, first 2 shown]
	s_waitcnt vmcnt(5)
	v_mfma_f32_16x16x16f16 v[2:5], v[14:15], v[46:47], v[2:5]
	s_nop 7
	v_cvt_f16_f32_e32 v6, v18
	v_cvt_f16_f32_e32 v7, v19
	;; [unrolled: 1-line block ×4, first 2 shown]
	v_mfma_f32_16x16x16f16 v[2:5], v[16:17], v[48:49], v[2:5]
	s_waitcnt vmcnt(4)
	v_mfma_f32_16x16x16f16 v[2:5], v[10:11], v[74:75], v[2:5]
	v_mfma_f32_16x16x16f16 v[2:5], v[12:13], v[76:77], v[2:5]
	s_waitcnt vmcnt(3)
	v_mfma_f32_16x16x16f16 v[2:5], v[54:55], v[38:39], v[2:5]
	;; [unrolled: 3-line block ×5, first 2 shown]
	v_mfma_f32_16x16x16f16 v[2:5], v[60:61], v[36:37], v[2:5]
	s_nop 7
	s_nop 2
	v_cvt_f16_f32_e32 v10, v2
	v_cvt_f16_f32_e32 v11, v3
	;; [unrolled: 1-line block ×4, first 2 shown]
	v_pack_b32_f16 v2, v6, v7
	v_pack_b32_f16 v3, v8, v9
	;; [unrolled: 1-line block ×4, first 2 shown]
	ds_write2st64_b64 v78, v[2:3], v[4:5] offset1:1
	s_waitcnt lgkmcnt(0)
	s_barrier
	s_and_saveexec_b64 s[10:11], s[0:1]
	s_cbranch_execz .LBB150_17
; %bb.16:
	buffer_load_dword v4, off, s[44:47], 0 offset:4 ; 4-byte Folded Reload
	s_load_dwordx2 s[0:1], s[4:5], 0x68
	s_mul_i32 s4, s8, s6
	s_lshl_b32 s6, s2, 7
	s_mul_hi_u32 s5, s4, s6
	s_mul_i32 s4, s4, s6
	s_lshl_b64 s[4:5], s[4:5], 1
	s_waitcnt lgkmcnt(0)
	s_add_u32 s4, s0, s4
	s_addc_u32 s5, s1, s5
	s_lshl_b32 s2, s26, 7
	s_lshl_b64 s[0:1], s[2:3], 1
	s_add_u32 s2, s4, s0
	s_addc_u32 s3, s5, s1
	v_mov_b32_e32 v6, s3
	v_lshlrev_b32_e32 v1, 6, v1
	v_lshlrev_b32_e32 v3, 4, v0
	v_lshl_or_b32 v0, v0, 10, v1
	v_lshlrev_b32_e32 v2, 5, v95
	v_and_b32_e32 v3, 16, v3
	v_and_b32_e32 v0, 0x1a00, v0
	v_or3_b32 v0, v0, v2, v3
	ds_read_b128 v[0:3], v0
	s_waitcnt vmcnt(0)
	v_mad_u64_u32 v[4:5], s[0:1], s6, v4, 0
	v_lshlrev_b64 v[4:5], 1, v[4:5]
	v_add_co_u32_e32 v4, vcc, s2, v4
	v_addc_co_u32_e32 v5, vcc, v6, v5, vcc
	buffer_load_dword v6, off, s[44:47], 0  ; 4-byte Folded Reload
	s_waitcnt vmcnt(0)
	v_add_co_u32_e32 v4, vcc, v4, v6
	v_addc_co_u32_e32 v5, vcc, 0, v5, vcc
	s_waitcnt lgkmcnt(0)
	global_store_dwordx4 v[4:5], v[0:3], off
.LBB150_17:
	s_endpgm
	.section	.rodata,"a",@progbits
	.p2align	6, 0x0
	.amdhsa_kernel _Z39paged_attention_ll4mi_QKV_mfma16_kernelIDF16_DF16_LN4vllm18Fp8KVCacheDataTypeE0EDF16_Li16ELi128ELi256ELb0ELi3EL8MFMAType0EEvPKT_PKT0_S8_ifPKiSA_SA_iPKfiiiPfSD_PS3_PT2_iSC_SC_
		.amdhsa_group_segment_fixed_size 8192
		.amdhsa_private_segment_fixed_size 12
		.amdhsa_kernarg_size 400
		.amdhsa_user_sgpr_count 6
		.amdhsa_user_sgpr_private_segment_buffer 1
		.amdhsa_user_sgpr_dispatch_ptr 0
		.amdhsa_user_sgpr_queue_ptr 0
		.amdhsa_user_sgpr_kernarg_segment_ptr 1
		.amdhsa_user_sgpr_dispatch_id 0
		.amdhsa_user_sgpr_flat_scratch_init 0
		.amdhsa_user_sgpr_kernarg_preload_length 0
		.amdhsa_user_sgpr_kernarg_preload_offset 0
		.amdhsa_user_sgpr_private_segment_size 0
		.amdhsa_uses_dynamic_stack 0
		.amdhsa_system_sgpr_private_segment_wavefront_offset 1
		.amdhsa_system_sgpr_workgroup_id_x 1
		.amdhsa_system_sgpr_workgroup_id_y 1
		.amdhsa_system_sgpr_workgroup_id_z 1
		.amdhsa_system_sgpr_workgroup_info 0
		.amdhsa_system_vgpr_workitem_id 0
		.amdhsa_next_free_vgpr 96
		.amdhsa_next_free_sgpr 48
		.amdhsa_accum_offset 96
		.amdhsa_reserve_vcc 1
		.amdhsa_reserve_flat_scratch 0
		.amdhsa_float_round_mode_32 0
		.amdhsa_float_round_mode_16_64 0
		.amdhsa_float_denorm_mode_32 3
		.amdhsa_float_denorm_mode_16_64 3
		.amdhsa_dx10_clamp 1
		.amdhsa_ieee_mode 1
		.amdhsa_fp16_overflow 0
		.amdhsa_tg_split 0
		.amdhsa_exception_fp_ieee_invalid_op 0
		.amdhsa_exception_fp_denorm_src 0
		.amdhsa_exception_fp_ieee_div_zero 0
		.amdhsa_exception_fp_ieee_overflow 0
		.amdhsa_exception_fp_ieee_underflow 0
		.amdhsa_exception_fp_ieee_inexact 0
		.amdhsa_exception_int_div_zero 0
	.end_amdhsa_kernel
	.section	.text._Z39paged_attention_ll4mi_QKV_mfma16_kernelIDF16_DF16_LN4vllm18Fp8KVCacheDataTypeE0EDF16_Li16ELi128ELi256ELb0ELi3EL8MFMAType0EEvPKT_PKT0_S8_ifPKiSA_SA_iPKfiiiPfSD_PS3_PT2_iSC_SC_,"axG",@progbits,_Z39paged_attention_ll4mi_QKV_mfma16_kernelIDF16_DF16_LN4vllm18Fp8KVCacheDataTypeE0EDF16_Li16ELi128ELi256ELb0ELi3EL8MFMAType0EEvPKT_PKT0_S8_ifPKiSA_SA_iPKfiiiPfSD_PS3_PT2_iSC_SC_,comdat
.Lfunc_end150:
	.size	_Z39paged_attention_ll4mi_QKV_mfma16_kernelIDF16_DF16_LN4vllm18Fp8KVCacheDataTypeE0EDF16_Li16ELi128ELi256ELb0ELi3EL8MFMAType0EEvPKT_PKT0_S8_ifPKiSA_SA_iPKfiiiPfSD_PS3_PT2_iSC_SC_, .Lfunc_end150-_Z39paged_attention_ll4mi_QKV_mfma16_kernelIDF16_DF16_LN4vllm18Fp8KVCacheDataTypeE0EDF16_Li16ELi128ELi256ELb0ELi3EL8MFMAType0EEvPKT_PKT0_S8_ifPKiSA_SA_iPKfiiiPfSD_PS3_PT2_iSC_SC_
                                        ; -- End function
	.section	.AMDGPU.csdata,"",@progbits
; Kernel info:
; codeLenInByte = 4576
; NumSgprs: 52
; NumVgprs: 96
; NumAgprs: 0
; TotalNumVgprs: 96
; ScratchSize: 12
; MemoryBound: 0
; FloatMode: 240
; IeeeMode: 1
; LDSByteSize: 8192 bytes/workgroup (compile time only)
; SGPRBlocks: 6
; VGPRBlocks: 11
; NumSGPRsForWavesPerEU: 52
; NumVGPRsForWavesPerEU: 96
; AccumOffset: 96
; Occupancy: 5
; WaveLimiterHint : 1
; COMPUTE_PGM_RSRC2:SCRATCH_EN: 1
; COMPUTE_PGM_RSRC2:USER_SGPR: 6
; COMPUTE_PGM_RSRC2:TRAP_HANDLER: 0
; COMPUTE_PGM_RSRC2:TGID_X_EN: 1
; COMPUTE_PGM_RSRC2:TGID_Y_EN: 1
; COMPUTE_PGM_RSRC2:TGID_Z_EN: 1
; COMPUTE_PGM_RSRC2:TIDIG_COMP_CNT: 0
; COMPUTE_PGM_RSRC3_GFX90A:ACCUM_OFFSET: 23
; COMPUTE_PGM_RSRC3_GFX90A:TG_SPLIT: 0
	.section	.text._Z39paged_attention_ll4mi_QKV_mfma16_kernelIDF16_DF16_LN4vllm18Fp8KVCacheDataTypeE0EDF16_Li16ELi128ELi256ELb0ELi4EL8MFMAType0EEvPKT_PKT0_S8_ifPKiSA_SA_iPKfiiiPfSD_PS3_PT2_iSC_SC_,"axG",@progbits,_Z39paged_attention_ll4mi_QKV_mfma16_kernelIDF16_DF16_LN4vllm18Fp8KVCacheDataTypeE0EDF16_Li16ELi128ELi256ELb0ELi4EL8MFMAType0EEvPKT_PKT0_S8_ifPKiSA_SA_iPKfiiiPfSD_PS3_PT2_iSC_SC_,comdat
	.protected	_Z39paged_attention_ll4mi_QKV_mfma16_kernelIDF16_DF16_LN4vllm18Fp8KVCacheDataTypeE0EDF16_Li16ELi128ELi256ELb0ELi4EL8MFMAType0EEvPKT_PKT0_S8_ifPKiSA_SA_iPKfiiiPfSD_PS3_PT2_iSC_SC_ ; -- Begin function _Z39paged_attention_ll4mi_QKV_mfma16_kernelIDF16_DF16_LN4vllm18Fp8KVCacheDataTypeE0EDF16_Li16ELi128ELi256ELb0ELi4EL8MFMAType0EEvPKT_PKT0_S8_ifPKiSA_SA_iPKfiiiPfSD_PS3_PT2_iSC_SC_
	.globl	_Z39paged_attention_ll4mi_QKV_mfma16_kernelIDF16_DF16_LN4vllm18Fp8KVCacheDataTypeE0EDF16_Li16ELi128ELi256ELb0ELi4EL8MFMAType0EEvPKT_PKT0_S8_ifPKiSA_SA_iPKfiiiPfSD_PS3_PT2_iSC_SC_
	.p2align	8
	.type	_Z39paged_attention_ll4mi_QKV_mfma16_kernelIDF16_DF16_LN4vllm18Fp8KVCacheDataTypeE0EDF16_Li16ELi128ELi256ELb0ELi4EL8MFMAType0EEvPKT_PKT0_S8_ifPKiSA_SA_iPKfiiiPfSD_PS3_PT2_iSC_SC_,@function
_Z39paged_attention_ll4mi_QKV_mfma16_kernelIDF16_DF16_LN4vllm18Fp8KVCacheDataTypeE0EDF16_Li16ELi128ELi256ELb0ELi4EL8MFMAType0EEvPKT_PKT0_S8_ifPKiSA_SA_iPKfiiiPfSD_PS3_PT2_iSC_SC_: ; @_Z39paged_attention_ll4mi_QKV_mfma16_kernelIDF16_DF16_LN4vllm18Fp8KVCacheDataTypeE0EDF16_Li16ELi128ELi256ELb0ELi4EL8MFMAType0EEvPKT_PKT0_S8_ifPKiSA_SA_iPKfiiiPfSD_PS3_PT2_iSC_SC_
; %bb.0:
	s_mov_b64 s[46:47], s[2:3]
	s_mov_b64 s[44:45], s[0:1]
	s_load_dwordx2 s[0:1], s[4:5], 0x30
	s_add_u32 s44, s44, s9
	s_addc_u32 s45, s45, 0
	s_mov_b32 s28, s7
	s_mov_b64 s[10:11], 0
	s_waitcnt lgkmcnt(0)
	s_cmp_lg_u64 s[0:1], 0
	s_cselect_b64 s[2:3], -1, 0
	s_and_b64 vcc, exec, s[2:3]
	s_cbranch_vccz .LBB151_7
; %bb.1:
	s_add_i32 s12, s6, 1
	s_mov_b32 s13, 0
	s_lshl_b64 s[14:15], s[12:13], 2
	s_add_u32 s14, s0, s14
	s_mov_b32 s7, s13
	s_addc_u32 s15, s1, s15
	s_lshl_b64 s[12:13], s[6:7], 2
	s_add_u32 s12, s0, s12
	s_addc_u32 s13, s1, s13
	s_load_dword s9, s[14:15], 0x0
	s_load_dword s16, s[12:13], 0x0
	s_waitcnt lgkmcnt(0)
	s_sub_i32 s9, s9, s16
	s_cmp_eq_u32 s9, 1
	s_cselect_b64 s[12:13], -1, 0
	s_andn2_b64 vcc, exec, s[10:11]
	s_cbranch_vccnz .LBB151_3
.LBB151_2:
	s_mov_b32 s7, 0
	s_mov_b64 s[12:13], -1
.LBB151_3:
	s_andn2_b64 vcc, exec, s[12:13]
	s_cbranch_vccnz .LBB151_17
; %bb.4:
	s_load_dwordx2 s[12:13], s[4:5], 0x28
	s_lshl_b64 s[10:11], s[6:7], 2
	s_waitcnt lgkmcnt(0)
	s_add_u32 s12, s12, s10
	s_addc_u32 s13, s13, s11
	s_load_dword s40, s[12:13], 0x0
	s_lshl_b32 s20, s28, 8
	s_waitcnt lgkmcnt(0)
	s_cmp_ge_i32 s20, s40
	s_cbranch_scc1 .LBB151_17
; %bb.5:
	s_add_i32 s14, s40, 15
	s_load_dwordx2 s[12:13], s[4:5], 0x20
	s_load_dword s9, s[4:5], 0x38
	s_ashr_i32 s15, s14, 31
	v_and_b32_e32 v1, 0xcf, v0
	s_lshr_b32 s15, s15, 28
	v_add_u32_e32 v1, s20, v1
	s_add_i32 s14, s14, s15
	v_ashrrev_i32_e32 v2, 31, v1
	s_ashr_i32 s23, s14, 4
	v_lshrrev_b32_e32 v4, 28, v2
	s_add_i32 s23, s23, -1
	v_add_u32_e32 v2, v1, v4
	s_waitcnt lgkmcnt(0)
	s_mul_i32 s14, s6, s9
	s_mov_b32 s15, 0
	v_ashrrev_i32_e32 v2, 4, v2
	v_mov_b32_e32 v5, s23
	v_cmp_gt_i32_e32 vcc, s40, v1
	s_lshl_b64 s[14:15], s[14:15], 2
	v_cndmask_b32_e32 v2, v5, v2, vcc
	s_add_u32 s21, s12, s14
	v_ashrrev_i32_e32 v3, 31, v2
	s_addc_u32 s22, s13, s15
	v_lshlrev_b64 v[2:3], 2, v[2:3]
	v_mov_b32_e32 v6, s22
	v_add_co_u32_e32 v8, vcc, s21, v2
	v_or_b32_e32 v2, 16, v1
	v_addc_co_u32_e32 v9, vcc, v6, v3, vcc
	v_add_u32_e32 v3, v2, v4
	v_ashrrev_i32_e32 v3, 4, v3
	v_cmp_gt_i32_e32 vcc, s40, v2
	v_cndmask_b32_e32 v2, v5, v3, vcc
	v_ashrrev_i32_e32 v3, 31, v2
	v_lshlrev_b64 v[2:3], 2, v[2:3]
	v_add_co_u32_e32 v10, vcc, s21, v2
	v_or_b32_e32 v2, 32, v1
	v_addc_co_u32_e32 v11, vcc, v6, v3, vcc
	v_add_u32_e32 v3, v2, v4
	v_ashrrev_i32_e32 v3, 4, v3
	v_cmp_gt_i32_e32 vcc, s40, v2
	v_cndmask_b32_e32 v2, v5, v3, vcc
	v_ashrrev_i32_e32 v3, 31, v2
	v_lshlrev_b64 v[2:3], 2, v[2:3]
	;; [unrolled: 9-line block ×3, first 2 shown]
	v_mov_b32_e32 v1, s22
	v_add_co_u32_e32 v14, vcc, s21, v2
	v_addc_co_u32_e32 v15, vcc, v1, v3, vcc
	global_load_dword v4, v[8:9], off
	global_load_dword v2, v[10:11], off
	;; [unrolled: 1-line block ×4, first 2 shown]
	s_load_dwordx4 s[16:19], s[4:5], 0x8
	s_andn2_b64 vcc, exec, s[2:3]
	s_cbranch_vccnz .LBB151_8
; %bb.6:
	s_add_u32 s0, s0, s10
	s_addc_u32 s1, s1, s11
	s_load_dword s9, s[0:1], 0x0
	s_branch .LBB151_9
.LBB151_7:
	s_mov_b64 s[12:13], 0
	s_branch .LBB151_2
.LBB151_8:
	s_mov_b32 s9, s6
.LBB151_9:
	v_bfe_u32 v86, v0, 4, 2
	s_lshl_b32 s29, s8, 2
	s_load_dwordx4 s[12:15], s[4:5], 0x48
	v_or_b32_e32 v1, s29, v86
	v_and_b32_e32 v95, 15, v0
	buffer_store_dword v1, off, s[44:47], 0 offset:4 ; 4-byte Folded Spill
	v_lshlrev_b32_e32 v1, 3, v95
	v_lshlrev_b32_e32 v1, 1, v1
	v_lshrrev_b32_e32 v87, 6, v0
	v_and_b32_e32 v88, 63, v0
	v_and_b32_e32 v3, 3, v0
	v_cmp_gt_u32_e64 s[0:1], 64, v0
	buffer_store_dword v1, off, s[44:47], 0 ; 4-byte Folded Spill
	v_lshlrev_b32_e32 v1, 5, v86
	buffer_store_dword v1, off, s[44:47], 0 offset:8 ; 4-byte Folded Spill
	s_and_saveexec_b64 s[2:3], s[0:1]
	s_cbranch_execz .LBB151_11
; %bb.10:
	buffer_load_dword v1, off, s[44:47], 0 offset:4 ; 4-byte Folded Reload
	s_load_dwordx2 s[10:11], s[4:5], 0x0
	s_waitcnt lgkmcnt(0)
	s_ashr_i32 s15, s12, 31
	s_mul_hi_u32 s24, s9, s12
	s_mul_i32 s15, s9, s15
	s_add_i32 s25, s24, s15
	s_mul_i32 s24, s9, s12
	s_lshl_b64 s[24:25], s[24:25], 1
	s_add_u32 s9, s10, s24
	s_addc_u32 s10, s11, s25
	v_mov_b32_e32 v5, s10
	v_lshlrev_b32_e32 v12, 9, v95
	v_and_b32_e32 v12, 0x1800, v12
	s_waitcnt vmcnt(0)
	v_lshlrev_b32_e32 v8, 7, v1
	buffer_load_dword v1, off, s[44:47], 0  ; 4-byte Folded Reload
	v_ashrrev_i32_e32 v9, 31, v8
	v_lshlrev_b64 v[8:9], 1, v[8:9]
	v_add_co_u32_e32 v7, vcc, s9, v8
	v_addc_co_u32_e32 v5, vcc, v5, v9, vcc
	s_waitcnt vmcnt(0)
	v_add_co_u32_e32 v8, vcc, v7, v1
	v_addc_co_u32_e32 v9, vcc, 0, v5, vcc
	global_load_dwordx4 v[8:11], v[8:9], off
	v_lshlrev_b32_e32 v1, 5, v86
	v_lshl_or_b32 v5, v87, 7, v1
	v_lshlrev_b32_e32 v7, 9, v3
	v_or3_b32 v5, v12, v7, v5
	s_waitcnt vmcnt(0)
	ds_write_b128 v5, v[8:11]
.LBB151_11:
	s_or_b64 exec, exec, s[2:3]
	s_waitcnt lgkmcnt(0)
	s_mul_i32 s8, s8, s14
	s_mov_b32 s9, 0
	s_lshl_b64 s[8:9], s[8:9], 1
	s_add_u32 s3, s16, s8
	v_lshlrev_b32_e32 v1, 4, v0
	s_addc_u32 s10, s17, s9
	v_and_b32_e32 v5, 0xf0, v1
	v_mov_b32_e32 v7, s10
	v_add_co_u32_e32 v29, vcc, s3, v5
	s_waitcnt vmcnt(6)
	v_mad_i64_i32 v[4:5], s[10:11], v4, s13, 0
	v_addc_co_u32_e32 v30, vcc, 0, v7, vcc
	v_lshlrev_b64 v[4:5], 1, v[4:5]
	v_add_co_u32_e32 v4, vcc, v29, v4
	v_addc_co_u32_e32 v5, vcc, v30, v5, vcc
	v_and_b32_e32 v31, 0x300, v1
	v_add_co_u32_e32 v22, vcc, v4, v31
	v_addc_co_u32_e32 v23, vcc, 0, v5, vcc
	s_load_dword s33, s[4:5], 0x98
	s_load_dword s2, s[4:5], 0x1c
	s_waitcnt lgkmcnt(0)
	s_barrier
	global_load_dwordx4 v[10:13], v[22:23], off
	global_load_dwordx4 v[18:21], v[22:23], off offset:1024
	s_waitcnt vmcnt(7)
	v_mad_i64_i32 v[4:5], s[10:11], v2, s13, 0
	v_lshlrev_b64 v[4:5], 1, v[4:5]
	v_add_co_u32_e32 v2, vcc, v29, v4
	v_addc_co_u32_e32 v4, vcc, v30, v5, vcc
	v_add_co_u32_e32 v24, vcc, v2, v31
	v_addc_co_u32_e32 v25, vcc, 0, v4, vcc
	global_load_dwordx4 v[14:17], v[24:25], off
	global_load_dwordx4 v[38:41], v[24:25], off offset:1024
	v_lshlrev_b32_e32 v2, 5, v3
	v_lshl_or_b32 v32, v86, 9, v2
	ds_read_b128 v[2:5], v32
	s_waitcnt vmcnt(8)
	v_mad_i64_i32 v[6:7], s[10:11], v6, s13, 0
	v_lshlrev_b64 v[26:27], 1, v[6:7]
	ds_read_b128 v[6:9], v32 offset:2048
	v_and_or_b32 v62, v0, 48, s20
	v_mov_b32_e32 v63, s23
	v_mov_b32_e32 v68, s22
	s_add_u32 s3, s18, s8
	v_lshl_or_b32 v89, v87, 4, v95
	v_lshlrev_b32_e32 v76, 5, v89
	s_mov_b32 s42, 0xff7fffff
	s_waitcnt vmcnt(3) lgkmcnt(1)
	v_mfma_f32_16x16x16f16 v[34:37], v[10:11], v[2:3], 0
	v_add_co_u32_e32 v10, vcc, v29, v26
	v_addc_co_u32_e32 v11, vcc, v30, v27, vcc
	v_add_co_u32_e32 v26, vcc, v10, v31
	v_addc_co_u32_e32 v27, vcc, 0, v11, vcc
	global_load_dwordx4 v[46:49], v[26:27], off
	global_load_dwordx4 v[58:61], v[26:27], off offset:1024
	s_waitcnt vmcnt(3)
	v_mfma_f32_16x16x16f16 v[42:45], v[14:15], v[2:3], 0
	v_cmp_gt_i32_e32 vcc, s40, v62
	v_mfma_f32_16x16x16f16 v[14:17], v[16:17], v[4:5], v[42:45]
	s_nop 7
	s_nop 0
	global_load_dwordx4 v[42:45], v[22:23], off offset:2048
	v_mfma_f32_16x16x16f16 v[10:13], v[12:13], v[4:5], v[34:37]
	s_waitcnt vmcnt(3) lgkmcnt(0)
	v_mfma_f32_16x16x16f16 v[14:17], v[38:39], v[6:7], v[14:17]
	v_mfma_f32_16x16x16f16 v[10:13], v[18:19], v[6:7], v[10:13]
	;; [unrolled: 1-line block ×3, first 2 shown]
	global_load_dwordx4 v[38:41], v[22:23], off offset:3072
	v_mfma_f32_16x16x16f16 v[18:21], v[20:21], v[8:9], v[10:13]
	s_waitcnt vmcnt(3)
	v_mfma_f32_16x16x16f16 v[50:53], v[46:47], v[2:3], 0
	v_mfma_f32_16x16x16f16 v[34:37], v[48:49], v[4:5], v[50:53]
	global_load_dwordx4 v[46:49], v[24:25], off offset:2048
	s_nop 3
	ds_read_b128 v[10:13], v32 offset:4096
	s_nop 3
	ds_read_b128 v[50:53], v32 offset:6144
	global_load_dwordx4 v[22:25], v[24:25], off offset:3072
	v_mad_i64_i32 v[32:33], s[10:11], v28, s13, 0
	v_mov_b32_e32 v28, s22
	s_addc_u32 s10, s19, s9
	s_waitcnt vmcnt(3) lgkmcnt(1)
	v_mfma_f32_16x16x16f16 v[18:21], v[42:43], v[10:11], v[18:21]
	v_mfma_f32_16x16x16f16 v[18:21], v[44:45], v[12:13], v[18:21]
	global_load_dwordx4 v[42:45], v[26:27], off offset:2048
	s_waitcnt vmcnt(3) lgkmcnt(0)
	v_mfma_f32_16x16x16f16 v[18:21], v[38:39], v[50:51], v[18:21]
	v_or_b32_e32 v38, 64, v62
	v_ashrrev_i32_e32 v39, 4, v38
	v_mfma_f32_16x16x16f16 v[54:57], v[40:41], v[52:53], v[18:21]
	s_waitcnt vmcnt(2)
	v_mfma_f32_16x16x16f16 v[14:17], v[46:47], v[10:11], v[14:17]
	v_mfma_f32_16x16x16f16 v[14:17], v[48:49], v[12:13], v[14:17]
	global_load_dwordx4 v[46:49], v[26:27], off offset:3072
	v_lshlrev_b64 v[26:27], 1, v[32:33]
	v_ashrrev_i32_e32 v32, 4, v62
	v_cndmask_b32_e32 v32, v63, v32, vcc
	v_ashrrev_i32_e32 v33, 31, v32
	v_cmp_gt_i32_e32 vcc, s40, v38
	v_cndmask_b32_e32 v38, v63, v39, vcc
	s_waitcnt vmcnt(2)
	v_mfma_f32_16x16x16f16 v[14:17], v[22:23], v[50:51], v[14:17]
	v_lshlrev_b64 v[22:23], 2, v[32:33]
	v_add_co_u32_e32 v22, vcc, s21, v22
	v_addc_co_u32_e32 v23, vcc, v28, v23, vcc
	v_add_co_u32_e32 v18, vcc, v29, v26
	v_addc_co_u32_e32 v19, vcc, v30, v27, vcc
	;; [unrolled: 2-line block ×3, first 2 shown]
	v_mfma_f32_16x16x16f16 v[64:67], v[24:25], v[52:53], v[14:17]
	global_load_dword v30, v[22:23], off
	v_ashrrev_i32_e32 v39, 31, v38
	v_lshlrev_b64 v[32:33], 2, v[38:39]
	v_add_co_u32_e32 v18, vcc, s21, v32
	v_addc_co_u32_e32 v19, vcc, v68, v33, vcc
	s_nop 1
	global_load_dwordx4 v[14:17], v[26:27], off
	global_load_dword v31, v[18:19], off
	s_nop 0
	global_load_dwordx4 v[18:21], v[26:27], off offset:1024
	global_load_dwordx4 v[68:71], v[26:27], off offset:2048
	;; [unrolled: 1-line block ×3, first 2 shown]
	v_mfma_f32_16x16x16f16 v[22:25], v[58:59], v[6:7], v[34:37]
	v_or_b32_e32 v28, 0x80, v62
	v_ashrrev_i32_e32 v29, 4, v28
	v_cmp_gt_i32_e32 vcc, s40, v28
	v_cndmask_b32_e32 v28, v63, v29, vcc
	v_ashrrev_i32_e32 v29, 31, v28
	v_lshlrev_b64 v[28:29], 2, v[28:29]
	v_mov_b32_e32 v32, s22
	v_mfma_f32_16x16x16f16 v[22:25], v[60:61], v[8:9], v[22:25]
	v_add_co_u32_e32 v28, vcc, s21, v28
	v_addc_co_u32_e32 v29, vcc, v32, v29, vcc
	global_load_dword v32, v[28:29], off
	v_or_b32_e32 v28, 0xc0, v62
	v_ashrrev_i32_e32 v29, 4, v28
	v_cmp_gt_i32_e32 vcc, s40, v28
	v_cndmask_b32_e32 v28, v63, v29, vcc
	v_ashrrev_i32_e32 v29, 31, v28
	v_lshlrev_b64 v[28:29], 2, v[28:29]
	s_waitcnt vmcnt(8)
	v_mfma_f32_16x16x16f16 v[22:25], v[42:43], v[10:11], v[22:25]
	v_mov_b32_e32 v33, s22
	v_add_co_u32_e32 v28, vcc, s21, v28
	v_addc_co_u32_e32 v29, vcc, v33, v29, vcc
	global_load_dword v58, v[28:29], off
	v_mov_b32_e32 v26, s10
	v_mfma_f32_16x16x16f16 v[22:25], v[44:45], v[12:13], v[22:25]
	v_add_co_u32_e32 v77, vcc, s3, v76
	v_addc_co_u32_e32 v78, vcc, 0, v26, vcc
	v_pk_mul_f32 v[80:81], s[2:3], v[66:67] op_sel_hi:[0,1]
	s_waitcnt vmcnt(8)
	v_mfma_f32_16x16x16f16 v[22:25], v[46:47], v[50:51], v[22:25]
	v_mfma_f32_16x16x16f16 v[72:75], v[48:49], v[52:53], v[22:25]
	s_waitcnt vmcnt(7)
	s_nop 7
	s_nop 0
	v_mad_i64_i32 v[22:23], s[8:9], v30, s13, 0
	v_lshlrev_b64 v[62:63], 1, v[22:23]
	s_waitcnt vmcnt(6)
	v_mfma_f32_16x16x16f16 v[22:25], v[14:15], v[2:3], 0
	v_add_co_u32_e32 v2, vcc, v77, v62
	v_addc_co_u32_e32 v3, vcc, v78, v63, vcc
	global_load_dwordx4 v[46:49], v[2:3], off
	global_load_dwordx4 v[42:45], v[2:3], off offset:16
	s_waitcnt vmcnt(7)
	v_mad_i64_i32 v[2:3], s[8:9], v31, s13, 0
	v_lshlrev_b64 v[14:15], 1, v[2:3]
	v_mfma_f32_16x16x16f16 v[2:5], v[16:17], v[4:5], v[22:25]
	v_add_co_u32_e32 v16, vcc, v77, v14
	v_addc_co_u32_e32 v17, vcc, v78, v15, vcc
	global_load_dwordx4 v[38:41], v[16:17], off
	global_load_dwordx4 v[34:37], v[16:17], off offset:16
	s_waitcnt vmcnt(5)
	v_mad_i64_i32 v[16:17], s[8:9], v32, s13, 0
	v_mfma_f32_16x16x16f16 v[2:5], v[18:19], v[6:7], v[2:5]
	v_lshlrev_b64 v[60:61], 1, v[16:17]
	v_add_co_u32_e32 v6, vcc, v77, v60
	v_addc_co_u32_e32 v7, vcc, v78, v61, vcc
	global_load_dwordx4 v[30:33], v[6:7], off
	global_load_dwordx4 v[26:29], v[6:7], off offset:16
	s_waitcnt vmcnt(6)
	v_mad_i64_i32 v[6:7], s[8:9], v58, s13, 0
	v_mfma_f32_16x16x16f16 v[2:5], v[20:21], v[8:9], v[2:5]
	v_lshlrev_b64 v[58:59], 1, v[6:7]
	v_add_co_u32_e32 v6, vcc, v77, v58
	v_addc_co_u32_e32 v7, vcc, v78, v59, vcc
	global_load_dwordx4 v[22:25], v[6:7], off
	global_load_dwordx4 v[18:21], v[6:7], off offset:16
	v_or_b32_e32 v6, 0x800, v76
	v_mfma_f32_16x16x16f16 v[2:5], v[68:69], v[10:11], v[2:5]
	v_mov_b32_e32 v7, s10
	v_add_co_u32_e32 v68, vcc, s3, v6
	v_addc_co_u32_e32 v69, vcc, 0, v7, vcc
	v_pk_mul_f32 v[76:77], s[2:3], v[74:75] op_sel_hi:[0,1]
	v_pk_mul_f32 v[74:75], s[2:3], v[72:73] op_sel_hi:[0,1]
	v_mfma_f32_16x16x16f16 v[10:13], v[70:71], v[12:13], v[2:5]
	v_pk_mul_f32 v[78:79], s[2:3], v[56:57] op_sel_hi:[0,1]
	v_pk_mul_f32 v[70:71], s[2:3], v[64:65] op_sel_hi:[0,1]
	v_mfma_f32_16x16x16f16 v[82:85], v[90:91], v[50:51], v[10:13]
	s_nop 3
	v_add_co_u32_e32 v2, vcc, v68, v62
	v_addc_co_u32_e32 v3, vcc, v69, v63, vcc
	v_add_co_u32_e32 v62, vcc, v68, v14
	v_addc_co_u32_e32 v63, vcc, v69, v15, vcc
	v_mfma_f32_16x16x16f16 v[50:53], v[92:93], v[52:53], v[82:85]
	global_load_dwordx4 v[6:9], v[2:3], off
	s_nop 0
	global_load_dwordx4 v[2:5], v[2:3], off offset:16
	s_nop 0
	global_load_dwordx4 v[14:17], v[62:63], off
	global_load_dwordx4 v[10:13], v[62:63], off offset:16
	v_pk_mul_f32 v[62:63], s[2:3], v[54:55] op_sel_hi:[0,1]
	s_nop 3
	v_pk_mul_f32 v[72:73], s[2:3], v[50:51] op_sel_hi:[0,1]
	v_and_b32_e32 v50, 0xc0, v0
	v_add_u32_e32 v50, s20, v50
	v_lshl_or_b32 v50, v86, 2, v50
	v_pk_mul_f32 v[66:67], s[2:3], v[52:53] op_sel_hi:[0,1]
	v_or_b32_e32 v53, 1, v50
	v_mov_b32_e32 v51, 0xff7fffff
	v_cmp_gt_i32_e64 s[30:31], s40, v50
	v_cmp_gt_i32_e64 s[34:35], s40, v53
	v_cndmask_b32_e64 v52, v51, v62, s[30:31]
	v_cndmask_b32_e64 v53, v51, v63, s[34:35]
	v_max3_f32 v52, v52, s42, v53
	v_or_b32_e32 v53, 2, v50
	v_or_b32_e32 v54, 3, v50
	v_cmp_gt_i32_e64 s[36:37], s40, v53
	v_cmp_gt_i32_e64 s[38:39], s40, v54
	v_cndmask_b32_e64 v53, v51, v78, s[36:37]
	v_cndmask_b32_e64 v54, v51, v79, s[38:39]
	v_max3_f32 v52, v52, v53, v54
	v_or_b32_e32 v53, 16, v50
	v_or_b32_e32 v54, 17, v50
	;; [unrolled: 7-line block ×7, first 2 shown]
	v_cmp_gt_i32_e32 vcc, s40, v53
	v_cmp_gt_i32_e64 s[2:3], s40, v50
	v_cndmask_b32_e32 v53, v51, v66, vcc
	v_cndmask_b32_e64 v50, v51, v67, s[2:3]
	v_max3_f32 v64, v52, v53, v50
	v_mbcnt_lo_u32_b32 v50, -1, 0
	v_mbcnt_hi_u32_b32 v65, -1, v50
	v_and_b32_e32 v50, 64, v65
	v_add_u32_e32 v82, 64, v50
	v_xor_b32_e32 v50, 32, v65
	v_cmp_lt_i32_e64 s[40:41], v50, v82
	v_cndmask_b32_e64 v50, v65, v50, s[40:41]
	v_lshlrev_b32_e32 v83, 2, v50
	ds_bpermute_b32 v84, v83, v64
	v_add_co_u32_e64 v50, s[40:41], v68, v60
	v_addc_co_u32_e64 v51, s[40:41], v69, v61, s[40:41]
	v_xor_b32_e32 v61, 16, v65
	v_cmp_lt_i32_e64 s[40:41], v61, v82
	s_waitcnt lgkmcnt(0)
	v_max_f32_e32 v60, v84, v84
	v_cndmask_b32_e64 v61, v65, v61, s[40:41]
	v_max_f32_e32 v60, v64, v60
	v_lshlrev_b32_e32 v82, 2, v61
	ds_bpermute_b32 v61, v82, v60
	v_add_co_u32_e64 v58, s[40:41], v68, v58
	v_addc_co_u32_e64 v59, s[40:41], v69, v59, s[40:41]
	s_waitcnt lgkmcnt(0)
	v_max_f32_e32 v61, v61, v61
	v_max_f32_e32 v90, v60, v61
	v_sub_f32_e32 v60, v62, v90
	v_mul_f32_e32 v60, 0x3fb8aa3b, v60
	v_exp_f32_e32 v68, v60
	v_sub_f32_e32 v60, v63, v90
	v_mul_f32_e32 v60, 0x3fb8aa3b, v60
	global_load_dwordx4 v[54:57], v[50:51], off
	s_nop 0
	global_load_dwordx4 v[50:53], v[50:51], off offset:16
	v_exp_f32_e32 v69, v60
	global_load_dwordx4 v[62:65], v[58:59], off
	s_nop 0
	global_load_dwordx4 v[58:61], v[58:59], off offset:16
	v_sub_f32_e32 v78, v78, v90
	v_mul_f32_e32 v78, 0x3fb8aa3b, v78
	v_sub_f32_e32 v79, v79, v90
	v_exp_f32_e32 v78, v78
	v_mul_f32_e32 v79, 0x3fb8aa3b, v79
	v_sub_f32_e32 v70, v70, v90
	v_exp_f32_e32 v79, v79
	v_mul_f32_e32 v70, 0x3fb8aa3b, v70
	v_sub_f32_e32 v71, v71, v90
	v_cndmask_b32_e64 v68, 0, v68, s[30:31]
	v_exp_f32_e32 v70, v70
	v_mul_f32_e32 v71, 0x3fb8aa3b, v71
	v_sub_f32_e32 v80, v80, v90
	v_add_f32_e32 v84, 0, v68
	v_cndmask_b32_e64 v69, 0, v69, s[34:35]
	v_exp_f32_e32 v71, v71
	v_mul_f32_e32 v80, 0x3fb8aa3b, v80
	v_sub_f32_e32 v81, v81, v90
	v_add_f32_e32 v84, v84, v69
	;; [unrolled: 5-line block ×10, first 2 shown]
	v_cndmask_b32_e64 v76, 0, v76, s[12:13]
	v_exp_f32_e32 v66, v66
	v_mul_f32_e32 v67, 0x3fb8aa3b, v67
	v_add_f32_e32 v84, v84, v76
	v_cndmask_b32_e64 v77, 0, v77, s[14:15]
	v_exp_f32_e32 v67, v67
	v_add_f32_e32 v84, v84, v77
	v_cndmask_b32_e64 v72, 0, v72, s[8:9]
	v_add_f32_e32 v84, v84, v72
	v_cndmask_b32_e64 v73, 0, v73, s[10:11]
	v_add_f32_e32 v84, v84, v73
	v_cndmask_b32_e32 v66, 0, v66, vcc
	v_add_f32_e32 v84, v84, v66
	v_cndmask_b32_e64 v67, 0, v67, s[2:3]
	v_add_f32_e32 v84, v84, v67
	ds_bpermute_b32 v83, v83, v84
	v_cmp_gt_u32_e32 vcc, 16, v88
	s_waitcnt lgkmcnt(0)
	s_barrier
	v_add_f32_e32 v91, v84, v83
	ds_bpermute_b32 v92, v82, v91
	s_and_saveexec_b64 s[2:3], vcc
	s_cbranch_execz .LBB151_13
; %bb.12:
	s_waitcnt lgkmcnt(0)
	v_add_f32_e32 v82, v91, v92
	v_lshlrev_b32_e32 v83, 2, v89
	ds_write2st64_b32 v83, v90, v82 offset1:1
.LBB151_13:
	s_or_b64 exec, exec, s[2:3]
	v_lshlrev_b32_e32 v89, 2, v95
	s_load_dword s8, s[4:5], 0x94
	s_waitcnt lgkmcnt(0)
	s_barrier
	ds_read2_b32 v[82:83], v89 offset1:16
	ds_read2_b32 v[84:85], v89 offset0:32 offset1:48
	ds_read2_b32 v[90:91], v89 offset0:64 offset1:80
	s_lshl_b32 s9, s33, 2
	s_waitcnt lgkmcnt(2)
	v_max3_f32 v88, v82, s42, v83
	s_waitcnt lgkmcnt(1)
	v_max3_f32 v88, v88, v84, v85
	v_sub_f32_e32 v82, v82, v88
	v_mul_f32_e32 v82, 0x3fb8aa3b, v82
	v_exp_f32_e32 v92, v82
	v_sub_f32_e32 v82, v83, v88
	v_mul_f32_e32 v82, 0x3fb8aa3b, v82
	v_exp_f32_e32 v93, v82
	;; [unrolled: 3-line block ×3, first 2 shown]
	ds_read2_b32 v[82:83], v89 offset0:96 offset1:112
	v_sub_f32_e32 v85, v85, v88
	v_mul_f32_e32 v85, 0x3fb8aa3b, v85
	v_exp_f32_e32 v85, v85
	s_waitcnt lgkmcnt(1)
	v_fma_f32 v89, v92, v90, 0
	v_fmac_f32_e32 v89, v93, v91
	s_waitcnt lgkmcnt(0)
	v_fmac_f32_e32 v89, v84, v82
	v_fmac_f32_e32 v89, v85, v83
	v_add_f32_e32 v82, 0x358637bd, v89
	v_div_scale_f32 v83, s[2:3], v82, v82, 1.0
	v_rcp_f32_e32 v90, v83
	s_barrier
	v_fma_f32 v91, -v83, v90, 1.0
	v_fmac_f32_e32 v90, v91, v90
	v_div_scale_f32 v91, vcc, 1.0, v82, 1.0
	v_mul_f32_e32 v94, v91, v90
	v_fma_f32 v1, -v83, v94, v91
	v_fmac_f32_e32 v94, v1, v90
	v_fma_f32 v1, -v83, v94, v91
	v_div_fmas_f32 v1, v1, v90, v94
	v_cmp_eq_u32_e32 vcc, 1, v87
	v_div_fixup_f32 v1, v1, v82, 1.0
	v_cndmask_b32_e32 v82, v92, v93, vcc
	v_cmp_eq_u32_e32 vcc, 2, v87
	v_cndmask_b32_e32 v82, v82, v84, vcc
	v_cmp_eq_u32_e32 vcc, 3, v87
	v_cndmask_b32_e32 v82, v82, v85, vcc
	v_mul_f32_e32 v82, v82, v1
	v_pk_mul_f32 v[78:79], v[82:83], v[78:79] op_sel_hi:[0,1]
	v_pk_mul_f32 v[68:69], v[82:83], v[68:69] op_sel_hi:[0,1]
	v_cvt_f16_f32_e32 v1, v68
	v_cvt_f16_f32_e32 v68, v69
	;; [unrolled: 1-line block ×4, first 2 shown]
	v_pk_mul_f32 v[70:71], v[82:83], v[70:71] op_sel_hi:[0,1]
	v_pack_b32_f16 v84, v1, v68
	v_lshlrev_b32_e32 v1, 3, v86
	v_pack_b32_f16 v85, v69, v78
	v_pk_mul_f32 v[78:79], v[82:83], v[80:81] op_sel_hi:[0,1]
	v_cvt_f16_f32_e32 v69, v70
	v_cvt_f16_f32_e32 v70, v71
	v_cvt_f16_f32_e32 v71, v78
	v_cvt_f16_f32_e32 v79, v79
	v_lshlrev_b32_e32 v68, 5, v95
	v_lshlrev_b32_e32 v78, 11, v87
	v_or3_b32 v78, v78, v68, v1
	v_pack_b32_f16 v70, v69, v70
	v_pack_b32_f16 v71, v71, v79
	ds_write2st64_b64 v78, v[84:85], v[70:71] offset1:1
	v_pk_mul_f32 v[70:71], v[82:83], v[76:77] op_sel_hi:[0,1]
	v_pk_mul_f32 v[74:75], v[82:83], v[74:75] op_sel_hi:[0,1]
	v_cvt_f16_f32_e32 v1, v74
	v_cvt_f16_f32_e32 v69, v75
	;; [unrolled: 1-line block ×4, first 2 shown]
	v_pk_mul_f32 v[66:67], v[82:83], v[66:67] op_sel_hi:[0,1]
	v_pk_mul_f32 v[70:71], v[82:83], v[72:73] op_sel_hi:[0,1]
	v_cvt_f16_f32_e32 v70, v70
	v_cvt_f16_f32_e32 v71, v71
	;; [unrolled: 1-line block ×4, first 2 shown]
	v_pack_b32_f16 v66, v1, v69
	v_pack_b32_f16 v67, v74, v75
	;; [unrolled: 1-line block ×4, first 2 shown]
	v_cmp_gt_u32_e32 vcc, 4, v0
	ds_write2st64_b64 v78, v[66:67], v[70:71] offset0:2 offset1:3
	s_and_saveexec_b64 s[2:3], vcc
	s_cbranch_execz .LBB151_15
; %bb.14:
	v_or_b32_e32 v66, s29, v0
	v_mov_b32_e32 v67, 0
	v_mov_b32_e32 v1, s9
	v_mad_u64_u32 v[70:71], s[10:11], s6, v1, v[66:67]
	v_mov_b32_e32 v66, s28
	s_load_dwordx4 s[12:15], s[4:5], 0x58
	s_mul_i32 s7, s7, s9
	v_mad_u64_u32 v[66:67], s[10:11], v70, s8, v[66:67]
	v_add_u32_e32 v1, s7, v71
	v_mov_b32_e32 v70, v67
	v_mad_u64_u32 v[70:71], s[10:11], v1, s8, v[70:71]
	v_mov_b32_e32 v67, v70
	v_lshlrev_b64 v[66:67], 2, v[66:67]
	s_waitcnt lgkmcnt(0)
	v_mov_b32_e32 v1, s15
	v_add_co_u32_e32 v70, vcc, s14, v66
	v_addc_co_u32_e32 v71, vcc, v1, v67, vcc
	v_mov_b32_e32 v1, s13
	v_add_co_u32_e32 v66, vcc, s12, v66
	v_addc_co_u32_e32 v67, vcc, v1, v67, vcc
	global_store_dword v[70:71], v88, off
	global_store_dword v[66:67], v89, off
.LBB151_15:
	s_or_b64 exec, exec, s[2:3]
	v_lshl_or_b32 v1, v86, 9, v68
	s_waitcnt lgkmcnt(0)
	s_barrier
	ds_read_b128 v[70:73], v1
	ds_read_b128 v[66:69], v1 offset:16
	s_waitcnt vmcnt(15) lgkmcnt(1)
	v_mfma_f32_16x16x16f16 v[74:77], v[46:47], v[70:71], 0
	s_mov_b32 s3, 0
	v_mfma_f32_16x16x16f16 v[46:49], v[48:49], v[72:73], v[74:77]
	s_waitcnt vmcnt(14) lgkmcnt(0)
	v_mfma_f32_16x16x16f16 v[46:49], v[42:43], v[66:67], v[46:49]
	v_mfma_f32_16x16x16f16 v[42:45], v[44:45], v[68:69], v[46:49]
	s_nop 7
	s_nop 1
	ds_read_b128 v[46:49], v1 offset:2048
	ds_read_b128 v[74:77], v1 offset:2064
	s_waitcnt vmcnt(13) lgkmcnt(1)
	v_mfma_f32_16x16x16f16 v[42:45], v[38:39], v[46:47], v[42:45]
	v_mfma_f32_16x16x16f16 v[38:41], v[40:41], v[48:49], v[42:45]
	s_waitcnt vmcnt(12) lgkmcnt(0)
	v_mfma_f32_16x16x16f16 v[38:41], v[34:35], v[74:75], v[38:41]
	v_mfma_f32_16x16x16f16 v[34:37], v[36:37], v[76:77], v[38:41]
	s_nop 7
	s_nop 1
	ds_read_b128 v[38:41], v1 offset:4096
	ds_read_b128 v[42:45], v1 offset:4112
	s_waitcnt vmcnt(11) lgkmcnt(1)
	v_mfma_f32_16x16x16f16 v[34:37], v[30:31], v[38:39], v[34:37]
	v_mfma_f32_16x16x16f16 v[30:33], v[32:33], v[40:41], v[34:37]
	s_waitcnt vmcnt(10) lgkmcnt(0)
	v_mfma_f32_16x16x16f16 v[30:33], v[26:27], v[42:43], v[30:33]
	v_mfma_f32_16x16x16f16 v[26:29], v[28:29], v[44:45], v[30:33]
	s_nop 7
	s_nop 1
	ds_read_b128 v[30:33], v1 offset:6144
	ds_read_b128 v[34:37], v1 offset:6160
	s_waitcnt lgkmcnt(0)
	s_barrier
	s_waitcnt vmcnt(9)
	v_mfma_f32_16x16x16f16 v[26:29], v[22:23], v[30:31], v[26:29]
	v_mfma_f32_16x16x16f16 v[22:25], v[24:25], v[32:33], v[26:29]
	s_waitcnt vmcnt(8)
	v_mfma_f32_16x16x16f16 v[22:25], v[18:19], v[34:35], v[22:25]
	v_mfma_f32_16x16x16f16 v[18:21], v[20:21], v[36:37], v[22:25]
	s_waitcnt vmcnt(7)
	v_mfma_f32_16x16x16f16 v[22:25], v[6:7], v[70:71], 0
	s_nop 7
	s_nop 0
	v_cvt_f16_f32_e32 v1, v18
	v_mfma_f32_16x16x16f16 v[6:9], v[8:9], v[72:73], v[22:25]
	s_waitcnt vmcnt(6)
	v_mfma_f32_16x16x16f16 v[6:9], v[2:3], v[66:67], v[6:9]
	v_mfma_f32_16x16x16f16 v[2:5], v[4:5], v[68:69], v[6:9]
	s_waitcnt vmcnt(5)
	v_mfma_f32_16x16x16f16 v[2:5], v[14:15], v[46:47], v[2:5]
	s_nop 7
	v_cvt_f16_f32_e32 v6, v19
	v_cvt_f16_f32_e32 v7, v20
	;; [unrolled: 1-line block ×3, first 2 shown]
	v_mfma_f32_16x16x16f16 v[2:5], v[16:17], v[48:49], v[2:5]
	s_waitcnt vmcnt(4)
	v_mfma_f32_16x16x16f16 v[2:5], v[10:11], v[74:75], v[2:5]
	v_mfma_f32_16x16x16f16 v[2:5], v[12:13], v[76:77], v[2:5]
	s_waitcnt vmcnt(3)
	v_mfma_f32_16x16x16f16 v[2:5], v[54:55], v[38:39], v[2:5]
	;; [unrolled: 3-line block ×5, first 2 shown]
	v_mfma_f32_16x16x16f16 v[2:5], v[60:61], v[36:37], v[2:5]
	s_nop 7
	s_nop 2
	v_cvt_f16_f32_e32 v9, v2
	v_cvt_f16_f32_e32 v10, v3
	;; [unrolled: 1-line block ×4, first 2 shown]
	v_pack_b32_f16 v2, v1, v6
	v_pack_b32_f16 v3, v7, v8
	;; [unrolled: 1-line block ×4, first 2 shown]
	ds_write2st64_b64 v78, v[2:3], v[4:5] offset1:1
	s_waitcnt lgkmcnt(0)
	s_barrier
	s_and_saveexec_b64 s[10:11], s[0:1]
	s_cbranch_execz .LBB151_17
; %bb.16:
	buffer_load_dword v4, off, s[44:47], 0 offset:4 ; 4-byte Folded Reload
	s_load_dwordx2 s[0:1], s[4:5], 0x68
	s_lshl_b32 s7, s8, 7
	s_mul_i32 s2, s9, s6
	s_mul_hi_u32 s5, s2, s7
	s_mul_i32 s4, s2, s7
	s_lshl_b64 s[4:5], s[4:5], 1
	s_waitcnt lgkmcnt(0)
	s_add_u32 s4, s0, s4
	s_addc_u32 s5, s1, s5
	s_lshl_b32 s2, s28, 7
	v_lshlrev_b32_e32 v2, 6, v95
	s_lshl_b64 s[0:1], s[2:3], 1
	v_lshlrev_b32_e32 v1, 4, v0
	v_lshl_or_b32 v0, v0, 10, v2
	buffer_load_dword v2, off, s[44:47], 0 offset:8 ; 4-byte Folded Reload
	s_add_u32 s2, s4, s0
	s_addc_u32 s3, s5, s1
	v_mov_b32_e32 v6, s3
	v_and_b32_e32 v1, 16, v1
	v_and_b32_e32 v0, 0x1a00, v0
	s_waitcnt vmcnt(1)
	v_mad_u64_u32 v[4:5], s[0:1], s7, v4, 0
	v_lshlrev_b64 v[4:5], 1, v[4:5]
	v_add_co_u32_e32 v4, vcc, s2, v4
	v_addc_co_u32_e32 v5, vcc, v6, v5, vcc
	buffer_load_dword v6, off, s[44:47], 0  ; 4-byte Folded Reload
	s_waitcnt vmcnt(1)
	v_or3_b32 v0, v0, v2, v1
	ds_read_b128 v[0:3], v0
	s_waitcnt vmcnt(0)
	v_add_co_u32_e32 v4, vcc, v4, v6
	v_addc_co_u32_e32 v5, vcc, 0, v5, vcc
	s_waitcnt lgkmcnt(0)
	global_store_dwordx4 v[4:5], v[0:3], off
.LBB151_17:
	s_endpgm
	.section	.rodata,"a",@progbits
	.p2align	6, 0x0
	.amdhsa_kernel _Z39paged_attention_ll4mi_QKV_mfma16_kernelIDF16_DF16_LN4vllm18Fp8KVCacheDataTypeE0EDF16_Li16ELi128ELi256ELb0ELi4EL8MFMAType0EEvPKT_PKT0_S8_ifPKiSA_SA_iPKfiiiPfSD_PS3_PT2_iSC_SC_
		.amdhsa_group_segment_fixed_size 8192
		.amdhsa_private_segment_fixed_size 16
		.amdhsa_kernarg_size 400
		.amdhsa_user_sgpr_count 6
		.amdhsa_user_sgpr_private_segment_buffer 1
		.amdhsa_user_sgpr_dispatch_ptr 0
		.amdhsa_user_sgpr_queue_ptr 0
		.amdhsa_user_sgpr_kernarg_segment_ptr 1
		.amdhsa_user_sgpr_dispatch_id 0
		.amdhsa_user_sgpr_flat_scratch_init 0
		.amdhsa_user_sgpr_kernarg_preload_length 0
		.amdhsa_user_sgpr_kernarg_preload_offset 0
		.amdhsa_user_sgpr_private_segment_size 0
		.amdhsa_uses_dynamic_stack 0
		.amdhsa_system_sgpr_private_segment_wavefront_offset 1
		.amdhsa_system_sgpr_workgroup_id_x 1
		.amdhsa_system_sgpr_workgroup_id_y 1
		.amdhsa_system_sgpr_workgroup_id_z 1
		.amdhsa_system_sgpr_workgroup_info 0
		.amdhsa_system_vgpr_workitem_id 0
		.amdhsa_next_free_vgpr 96
		.amdhsa_next_free_sgpr 48
		.amdhsa_accum_offset 96
		.amdhsa_reserve_vcc 1
		.amdhsa_reserve_flat_scratch 0
		.amdhsa_float_round_mode_32 0
		.amdhsa_float_round_mode_16_64 0
		.amdhsa_float_denorm_mode_32 3
		.amdhsa_float_denorm_mode_16_64 3
		.amdhsa_dx10_clamp 1
		.amdhsa_ieee_mode 1
		.amdhsa_fp16_overflow 0
		.amdhsa_tg_split 0
		.amdhsa_exception_fp_ieee_invalid_op 0
		.amdhsa_exception_fp_denorm_src 0
		.amdhsa_exception_fp_ieee_div_zero 0
		.amdhsa_exception_fp_ieee_overflow 0
		.amdhsa_exception_fp_ieee_underflow 0
		.amdhsa_exception_fp_ieee_inexact 0
		.amdhsa_exception_int_div_zero 0
	.end_amdhsa_kernel
	.section	.text._Z39paged_attention_ll4mi_QKV_mfma16_kernelIDF16_DF16_LN4vllm18Fp8KVCacheDataTypeE0EDF16_Li16ELi128ELi256ELb0ELi4EL8MFMAType0EEvPKT_PKT0_S8_ifPKiSA_SA_iPKfiiiPfSD_PS3_PT2_iSC_SC_,"axG",@progbits,_Z39paged_attention_ll4mi_QKV_mfma16_kernelIDF16_DF16_LN4vllm18Fp8KVCacheDataTypeE0EDF16_Li16ELi128ELi256ELb0ELi4EL8MFMAType0EEvPKT_PKT0_S8_ifPKiSA_SA_iPKfiiiPfSD_PS3_PT2_iSC_SC_,comdat
.Lfunc_end151:
	.size	_Z39paged_attention_ll4mi_QKV_mfma16_kernelIDF16_DF16_LN4vllm18Fp8KVCacheDataTypeE0EDF16_Li16ELi128ELi256ELb0ELi4EL8MFMAType0EEvPKT_PKT0_S8_ifPKiSA_SA_iPKfiiiPfSD_PS3_PT2_iSC_SC_, .Lfunc_end151-_Z39paged_attention_ll4mi_QKV_mfma16_kernelIDF16_DF16_LN4vllm18Fp8KVCacheDataTypeE0EDF16_Li16ELi128ELi256ELb0ELi4EL8MFMAType0EEvPKT_PKT0_S8_ifPKiSA_SA_iPKfiiiPfSD_PS3_PT2_iSC_SC_
                                        ; -- End function
	.section	.AMDGPU.csdata,"",@progbits
; Kernel info:
; codeLenInByte = 4544
; NumSgprs: 52
; NumVgprs: 96
; NumAgprs: 0
; TotalNumVgprs: 96
; ScratchSize: 16
; MemoryBound: 0
; FloatMode: 240
; IeeeMode: 1
; LDSByteSize: 8192 bytes/workgroup (compile time only)
; SGPRBlocks: 6
; VGPRBlocks: 11
; NumSGPRsForWavesPerEU: 52
; NumVGPRsForWavesPerEU: 96
; AccumOffset: 96
; Occupancy: 5
; WaveLimiterHint : 1
; COMPUTE_PGM_RSRC2:SCRATCH_EN: 1
; COMPUTE_PGM_RSRC2:USER_SGPR: 6
; COMPUTE_PGM_RSRC2:TRAP_HANDLER: 0
; COMPUTE_PGM_RSRC2:TGID_X_EN: 1
; COMPUTE_PGM_RSRC2:TGID_Y_EN: 1
; COMPUTE_PGM_RSRC2:TGID_Z_EN: 1
; COMPUTE_PGM_RSRC2:TIDIG_COMP_CNT: 0
; COMPUTE_PGM_RSRC3_GFX90A:ACCUM_OFFSET: 23
; COMPUTE_PGM_RSRC3_GFX90A:TG_SPLIT: 0
	.section	.text._Z38paged_attention_ll4mi_QKV_mfma4_kernelIDF16_DF16_LN4vllm18Fp8KVCacheDataTypeE0EDF16_Li32ELi128ELi256ELb1ELi1EEvPKT_PKT0_S7_ifPKiS9_S9_iPKfiiiPfSC_PS2_PT2_iSB_SB_,"axG",@progbits,_Z38paged_attention_ll4mi_QKV_mfma4_kernelIDF16_DF16_LN4vllm18Fp8KVCacheDataTypeE0EDF16_Li32ELi128ELi256ELb1ELi1EEvPKT_PKT0_S7_ifPKiS9_S9_iPKfiiiPfSC_PS2_PT2_iSB_SB_,comdat
	.protected	_Z38paged_attention_ll4mi_QKV_mfma4_kernelIDF16_DF16_LN4vllm18Fp8KVCacheDataTypeE0EDF16_Li32ELi128ELi256ELb1ELi1EEvPKT_PKT0_S7_ifPKiS9_S9_iPKfiiiPfSC_PS2_PT2_iSB_SB_ ; -- Begin function _Z38paged_attention_ll4mi_QKV_mfma4_kernelIDF16_DF16_LN4vllm18Fp8KVCacheDataTypeE0EDF16_Li32ELi128ELi256ELb1ELi1EEvPKT_PKT0_S7_ifPKiS9_S9_iPKfiiiPfSC_PS2_PT2_iSB_SB_
	.globl	_Z38paged_attention_ll4mi_QKV_mfma4_kernelIDF16_DF16_LN4vllm18Fp8KVCacheDataTypeE0EDF16_Li32ELi128ELi256ELb1ELi1EEvPKT_PKT0_S7_ifPKiS9_S9_iPKfiiiPfSC_PS2_PT2_iSB_SB_
	.p2align	8
	.type	_Z38paged_attention_ll4mi_QKV_mfma4_kernelIDF16_DF16_LN4vllm18Fp8KVCacheDataTypeE0EDF16_Li32ELi128ELi256ELb1ELi1EEvPKT_PKT0_S7_ifPKiS9_S9_iPKfiiiPfSC_PS2_PT2_iSB_SB_,@function
_Z38paged_attention_ll4mi_QKV_mfma4_kernelIDF16_DF16_LN4vllm18Fp8KVCacheDataTypeE0EDF16_Li32ELi128ELi256ELb1ELi1EEvPKT_PKT0_S7_ifPKiS9_S9_iPKfiiiPfSC_PS2_PT2_iSB_SB_: ; @_Z38paged_attention_ll4mi_QKV_mfma4_kernelIDF16_DF16_LN4vllm18Fp8KVCacheDataTypeE0EDF16_Li32ELi128ELi256ELb1ELi1EEvPKT_PKT0_S7_ifPKiS9_S9_iPKfiiiPfSC_PS2_PT2_iSB_SB_
; %bb.0:
	s_load_dwordx2 s[2:3], s[4:5], 0x30
	s_mov_b32 s20, s7
	s_mov_b64 s[0:1], 0
	s_waitcnt lgkmcnt(0)
	s_cmp_lg_u64 s[2:3], 0
	s_cselect_b64 s[10:11], -1, 0
	s_and_b64 vcc, exec, s[10:11]
	s_cbranch_vccz .LBB152_10
; %bb.1:
	s_add_i32 s12, s6, 1
	s_mov_b32 s13, 0
	s_lshl_b64 s[14:15], s[12:13], 2
	s_add_u32 s14, s2, s14
	s_mov_b32 s7, s13
	s_addc_u32 s15, s3, s15
	s_lshl_b64 s[12:13], s[6:7], 2
	s_add_u32 s12, s2, s12
	s_addc_u32 s13, s3, s13
	s_load_dword s9, s[14:15], 0x0
	s_load_dword s16, s[12:13], 0x0
	s_waitcnt lgkmcnt(0)
	s_sub_i32 s9, s9, s16
	s_cmp_eq_u32 s9, 1
	s_cselect_b64 s[12:13], -1, 0
	s_andn2_b64 vcc, exec, s[0:1]
	s_cbranch_vccnz .LBB152_3
.LBB152_2:
	s_mov_b32 s7, 0
	s_mov_b64 s[12:13], -1
.LBB152_3:
	s_andn2_b64 vcc, exec, s[12:13]
	s_cbranch_vccnz .LBB152_27
; %bb.4:
	s_load_dword s9, s[4:5], 0x9c
	s_load_dwordx2 s[0:1], s[4:5], 0x28
	s_add_u32 s24, s4, 0x90
	s_addc_u32 s25, s5, 0
	s_lshl_b64 s[16:17], s[6:7], 2
	s_waitcnt lgkmcnt(0)
	s_and_b32 s9, s9, 0xffff
	s_add_u32 s0, s0, s16
	s_addc_u32 s1, s1, s17
	s_load_dword s21, s[0:1], 0x0
	s_mul_i32 s9, s20, s9
	s_waitcnt lgkmcnt(0)
	s_cmp_ge_i32 s9, s21
	s_cbranch_scc1 .LBB152_27
; %bb.5:
	v_and_b32_e32 v1, 0xc0, v0
	v_add_u32_e32 v2, s9, v1
	v_lshrrev_b32_e32 v80, 6, v0
	v_cmp_le_i32_e64 s[0:1], s21, v2
                                        ; implicit-def: $sgpr19
                                        ; implicit-def: $sgpr18
	s_and_saveexec_b64 s[12:13], s[0:1]
	s_xor_b64 s[12:13], exec, s[12:13]
	s_cbranch_execz .LBB152_7
; %bb.6:
	v_mul_u32_u24_e32 v1, 20, v80
	v_or_b32_e32 v1, 0x1400, v1
	v_mov_b32_e32 v2, 0x1450
	v_mov_b32_e32 v3, 0xff7fffff
	v_mad_u32_u24 v2, v80, 20, v2
	ds_write2_b32 v1, v3, v3 offset1:1
	v_mov_b32_e32 v1, 0
	ds_write2_b32 v2, v1, v1 offset1:1
	v_mov_b32_e32 v2, 0x1408
	s_mov_b32 s18, 0xff7fffff
	s_mov_b32 s19, 0
	v_mad_u32_u24 v2, v80, 20, v2
	v_mov_b32_e32 v4, 0x1458
	v_mad_u32_u24 v4, v80, 20, v4
	ds_write2_b32 v2, v3, v3 offset1:1
	ds_write2_b32 v4, v1, v1 offset1:1
                                        ; implicit-def: $vgpr2
.LBB152_7:
	s_or_saveexec_b64 s[26:27], s[12:13]
	s_load_dwordx2 s[22:23], s[4:5], 0x68
	s_load_dwordx4 s[12:15], s[4:5], 0x58
	s_load_dword s7, s[24:25], 0x4
	v_and_b32_e32 v1, 63, v0
	v_and_b32_e32 v81, 3, v0
	v_mov_b32_e32 v69, s19
	v_mov_b32_e32 v70, s18
	;; [unrolled: 1-line block ×5, first 2 shown]
                                        ; implicit-def: $vgpr15
                                        ; implicit-def: $vgpr3
                                        ; implicit-def: $vgpr7
                                        ; implicit-def: $vgpr11
                                        ; implicit-def: $vgpr19
                                        ; implicit-def: $vgpr23
                                        ; implicit-def: $vgpr31
                                        ; implicit-def: $vgpr39
                                        ; implicit-def: $vgpr27
                                        ; implicit-def: $vgpr35
                                        ; implicit-def: $vgpr43
                                        ; implicit-def: $vgpr47
                                        ; implicit-def: $vgpr51
                                        ; implicit-def: $vgpr55
                                        ; implicit-def: $vgpr59
                                        ; implicit-def: $vgpr63
	s_xor_b64 exec, exec, s[26:27]
	s_cbranch_execz .LBB152_19
; %bb.8:
	s_add_i32 s29, s21, 31
	s_load_dwordx2 s[18:19], s[4:5], 0x20
	s_load_dword s28, s[4:5], 0x38
	s_ashr_i32 s30, s29, 31
	s_lshr_b32 s30, s30, 27
	v_add_u32_e32 v82, s9, v0
	s_add_i32 s29, s29, s30
	v_ashrrev_i32_e32 v3, 31, v82
	s_ashr_i32 s29, s29, 5
	v_lshrrev_b32_e32 v3, 27, v3
	s_add_i32 s30, s29, -1
	v_add_u32_e32 v3, v82, v3
	s_waitcnt lgkmcnt(0)
	s_mul_i32 s28, s6, s28
	s_mov_b32 s29, 0
	v_ashrrev_i32_e32 v3, 5, v3
	v_mov_b32_e32 v4, s30
	v_cmp_gt_i32_e32 vcc, s21, v82
	s_lshl_b64 s[28:29], s[28:29], 2
	v_cndmask_b32_e32 v4, v4, v3, vcc
	s_add_u32 s18, s18, s28
	v_ashrrev_i32_e32 v5, 31, v4
	s_addc_u32 s19, s19, s29
	v_lshlrev_b64 v[4:5], 2, v[4:5]
	v_mov_b32_e32 v3, s19
	v_add_co_u32_e32 v4, vcc, s18, v4
	v_addc_co_u32_e32 v5, vcc, v3, v5, vcc
	v_ashrrev_i32_e32 v3, 31, v2
	v_lshrrev_b32_e32 v3, 27, v3
	v_add_u32_e32 v2, v2, v3
	v_ashrrev_i32_e32 v8, 5, v2
	v_min_i32_e32 v2, s30, v8
	v_ashrrev_i32_e32 v3, 31, v2
	v_lshlrev_b64 v[2:3], 2, v[2:3]
	v_add_co_u32_e32 v6, vcc, s18, v2
	v_add_u32_e32 v2, 1, v8
	v_mov_b32_e32 v7, s19
	v_min_i32_e32 v2, s30, v2
	v_addc_co_u32_e32 v7, vcc, v7, v3, vcc
	v_ashrrev_i32_e32 v3, 31, v2
	v_lshlrev_b64 v[2:3], 2, v[2:3]
	v_mov_b32_e32 v9, s19
	v_add_co_u32_e32 v8, vcc, s18, v2
	v_addc_co_u32_e32 v9, vcc, v9, v3, vcc
	global_load_dword v3, v[4:5], off
	global_load_dword v2, v[6:7], off
	;; [unrolled: 1-line block ×3, first 2 shown]
	s_load_dwordx2 s[30:31], s[4:5], 0x8
	s_andn2_b64 vcc, exec, s[10:11]
	s_cbranch_vccnz .LBB152_11
; %bb.9:
	s_add_u32 s2, s2, s16
	s_addc_u32 s3, s3, s17
	s_load_dword s9, s[2:3], 0x0
	s_branch .LBB152_12
.LBB152_10:
	s_mov_b64 s[12:13], 0
	s_branch .LBB152_2
.LBB152_11:
	s_mov_b32 s9, s6
.LBB152_12:
	s_load_dwordx2 s[10:11], s[4:5], 0x10
	s_load_dwordx4 s[16:19], s[4:5], 0x48
	v_cmp_eq_u32_e32 vcc, 0, v81
	s_mov_b32 s29, 0
	v_mov_b32_e32 v83, 0
	v_mov_b32_e32 v56, 0
	;; [unrolled: 1-line block ×5, first 2 shown]
	s_and_saveexec_b64 s[2:3], vcc
	s_cbranch_execz .LBB152_14
; %bb.13:
	s_load_dwordx2 s[34:35], s[4:5], 0x0
	s_waitcnt lgkmcnt(0)
	s_ashr_i32 s19, s16, 31
	s_mul_hi_u32 s28, s9, s16
	s_mul_i32 s19, s9, s19
	s_add_i32 s37, s28, s19
	s_mul_i32 s36, s9, s16
	s_lshl_b64 s[36:37], s[36:37], 1
	s_add_u32 s9, s34, s36
	s_addc_u32 s16, s35, s37
	s_lshl_b32 s28, s8, 7
	s_lshl_b64 s[34:35], s[28:29], 1
	s_add_u32 s34, s9, s34
	s_addc_u32 s35, s16, s35
	v_lshlrev_b32_e32 v4, 2, v1
	global_load_dwordx4 v[56:59], v4, s[34:35]
.LBB152_14:
	s_or_b64 exec, exec, s[2:3]
	s_waitcnt lgkmcnt(0)
	s_mul_i32 s28, s8, s18
	s_waitcnt vmcnt(2)
	v_mad_i64_i32 v[4:5], s[2:3], v3, s17, 0
	s_lshl_b64 s[18:19], s[28:29], 1
	s_add_u32 s2, s18, s30
	v_lshlrev_b64 v[4:5], 1, v[4:5]
	s_addc_u32 s3, s19, s31
	v_mov_b32_e32 v3, s3
	v_add_co_u32_e64 v36, s[2:3], s2, v4
	v_and_b32_e32 v4, 31, v0
	v_addc_co_u32_e64 v3, s[2:3], v3, v5, s[2:3]
	v_lshlrev_b32_e32 v37, 4, v4
	v_add_co_u32_e64 v16, s[2:3], v36, v37
	v_addc_co_u32_e64 v17, s[2:3], 0, v3, s[2:3]
	global_load_dwordx4 v[76:79], v[16:17], off
	global_load_dwordx4 v[46:49], v[16:17], off offset:512
	global_load_dwordx4 v[42:45], v[16:17], off offset:1024
	global_load_dwordx4 v[32:35], v[16:17], off offset:1536
	global_load_dwordx4 v[12:15], v[16:17], off offset:2048
	global_load_dwordx4 v[8:11], v[16:17], off offset:2560
	global_load_dwordx4 v[4:7], v[16:17], off offset:3072
	global_load_dwordx4 v[18:21], v[16:17], off offset:3584
	v_or_b32_e32 v16, 0x1000, v37
	v_add_co_u32_e64 v16, s[2:3], v36, v16
	v_addc_co_u32_e64 v17, s[2:3], 0, v3, s[2:3]
	v_or_b32_e32 v22, 0x1200, v37
	v_add_co_u32_e64 v26, s[2:3], v36, v22
	v_addc_co_u32_e64 v27, s[2:3], 0, v3, s[2:3]
	global_load_dwordx4 v[28:31], v[16:17], off
	global_load_dwordx4 v[22:25], v[26:27], off
	v_or_b32_e32 v16, 0x1400, v37
	v_add_co_u32_e64 v16, s[2:3], v36, v16
	v_addc_co_u32_e64 v17, s[2:3], 0, v3, s[2:3]
	v_or_b32_e32 v26, 0x1600, v37
	v_add_co_u32_e64 v26, s[2:3], v36, v26
	v_addc_co_u32_e64 v27, s[2:3], 0, v3, s[2:3]
	global_load_dwordx4 v[50:53], v[16:17], off
	global_load_dwordx4 v[38:41], v[26:27], off
	;; [unrolled: 8-line block ×3, first 2 shown]
	v_or_b32_e32 v16, 0x1c00, v37
	v_add_co_u32_e64 v16, s[2:3], v36, v16
	v_mov_b32_e32 v26, 0x1e00
	v_addc_co_u32_e64 v17, s[2:3], 0, v3, s[2:3]
	v_lshl_or_b32 v26, v0, 4, v26
	v_add_co_u32_e64 v26, s[2:3], v36, v26
	v_addc_co_u32_e64 v27, s[2:3], 0, v3, s[2:3]
	global_load_dwordx4 v[72:75], v[16:17], off
	global_load_dwordx4 v[68:71], v[26:27], off
	v_mov_b32_e32 v84, 0
	s_and_saveexec_b64 s[2:3], vcc
	s_cbranch_execz .LBB152_16
; %bb.15:
	s_load_dwordx2 s[30:31], s[4:5], 0x40
	s_mov_b32 s9, s29
	s_lshl_b64 s[28:29], s[8:9], 2
	v_mov_b32_e32 v83, 1.0
	s_waitcnt lgkmcnt(0)
	s_add_u32 s28, s30, s28
	s_addc_u32 s29, s31, s29
	s_load_dword s9, s[28:29], 0x0
	s_waitcnt lgkmcnt(0)
	v_mov_b32_e32 v84, s9
.LBB152_16:
	s_or_b64 exec, exec, s[2:3]
	s_waitcnt vmcnt(15)
	v_mfma_f32_4x4x4f16 a[0:3], v[56:57], v[76:77], 0 cbsz:4
	v_mul_hi_i32 v3, v2, s17
	v_mfma_f32_4x4x4f16 a[0:3], v[58:59], v[78:79], a[0:3] cbsz:4
	v_ashrrev_i32_e32 v3, 31, v3
	s_waitcnt vmcnt(14)
	v_mfma_f32_4x4x4f16 a[0:3], v[56:57], v[46:47], a[0:3] cbsz:4 abid:1
	v_lshrrev_b32_e32 v76, 29, v3
	v_mfma_f32_4x4x4f16 a[0:3], v[58:59], v[48:49], a[0:3] cbsz:4 abid:1
	v_mov_b32_e32 v77, 0
	s_waitcnt vmcnt(13)
	v_mfma_f32_4x4x4f16 a[0:3], v[56:57], v[42:43], a[0:3] cbsz:4 abid:2
	s_load_dword s2, s[4:5], 0x1c
	v_mfma_f32_4x4x4f16 a[0:3], v[58:59], v[44:45], a[0:3] cbsz:4 abid:2
	v_mad_i64_i32 v[2:3], s[4:5], v2, s17, v[76:77]
	s_waitcnt vmcnt(12)
	v_mfma_f32_4x4x4f16 a[0:3], v[56:57], v[32:33], a[0:3] cbsz:4 abid:3
	s_add_u32 s3, s10, s18
	v_mfma_f32_4x4x4f16 a[0:3], v[58:59], v[34:35], a[0:3] cbsz:4 abid:3
	v_lshlrev_b64 v[2:3], 1, v[2:3]
	s_waitcnt vmcnt(11)
	v_mfma_f32_4x4x4f16 a[0:3], v[56:57], v[12:13], a[0:3] cbsz:4 abid:4
	s_addc_u32 s9, s11, s19
	v_mfma_f32_4x4x4f16 a[0:3], v[58:59], v[14:15], a[0:3] cbsz:4 abid:4
	v_and_b32_e32 v2, -16, v2
	s_waitcnt vmcnt(10)
	v_mfma_f32_4x4x4f16 a[0:3], v[56:57], v[8:9], a[0:3] cbsz:4 abid:5
	v_mov_b32_e32 v12, s9
	v_mfma_f32_4x4x4f16 a[0:3], v[58:59], v[10:11], a[0:3] cbsz:4 abid:5
	v_add_co_u32_e32 v32, vcc, s3, v2
	s_waitcnt vmcnt(9)
	v_mfma_f32_4x4x4f16 a[0:3], v[56:57], v[4:5], a[0:3] cbsz:4 abid:6
	v_addc_co_u32_e32 v33, vcc, v12, v3, vcc
	v_mfma_f32_4x4x4f16 a[0:3], v[58:59], v[6:7], a[0:3] cbsz:4 abid:6
	v_lshlrev_b32_e32 v55, 6, v1
	s_waitcnt vmcnt(8)
	v_mfma_f32_4x4x4f16 a[0:3], v[56:57], v[18:19], a[0:3] cbsz:4 abid:7
	v_add_co_u32_e32 v26, vcc, v32, v55
	v_mfma_f32_4x4x4f16 a[0:3], v[58:59], v[20:21], a[0:3] cbsz:4 abid:7
	v_addc_co_u32_e32 v27, vcc, 0, v33, vcc
	s_waitcnt vmcnt(7)
	v_mfma_f32_4x4x4f16 a[0:3], v[56:57], v[28:29], a[0:3] cbsz:4 abid:8
	v_or_b32_e32 v78, 0x1000, v55
	v_mfma_f32_4x4x4f16 a[0:3], v[58:59], v[30:31], a[0:3] cbsz:4 abid:8
	v_add_co_u32_e32 v18, vcc, v32, v78
	s_waitcnt vmcnt(6)
	v_mfma_f32_4x4x4f16 a[0:3], v[56:57], v[22:23], a[0:3] cbsz:4 abid:9
	v_addc_co_u32_e32 v19, vcc, 0, v33, vcc
	v_mfma_f32_4x4x4f16 a[0:3], v[58:59], v[24:25], a[0:3] cbsz:4 abid:9
	global_load_dwordx4 v[14:17], v[26:27], off
	global_load_dwordx4 v[2:5], v[26:27], off offset:16
	s_waitcnt vmcnt(7)
	v_mfma_f32_4x4x4f16 a[0:3], v[56:57], v[50:51], a[0:3] cbsz:4 abid:10
	global_load_dwordx4 v[6:9], v[26:27], off offset:32
	global_load_dwordx4 v[10:13], v[26:27], off offset:48
	v_mfma_f32_4x4x4f16 a[0:3], v[58:59], v[52:53], a[0:3] cbsz:4 abid:10
	global_load_dwordx4 v[26:29], v[18:19], off
	global_load_dwordx4 v[34:37], v[18:19], off offset:16
	s_waitcnt vmcnt(10)
	v_mfma_f32_4x4x4f16 a[0:3], v[56:57], v[38:39], a[0:3] cbsz:4 abid:11
	global_load_dwordx4 v[42:45], v[18:19], off offset:32
	global_load_dwordx4 v[46:49], v[18:19], off offset:48
	v_mfma_f32_4x4x4f16 a[0:3], v[58:59], v[40:41], a[0:3] cbsz:4 abid:11
	v_mul_hi_i32 v18, v54, s17
	s_waitcnt vmcnt(11)
	v_mfma_f32_4x4x4f16 a[0:3], v[56:57], v[64:65], a[0:3] cbsz:4 abid:12
	v_ashrrev_i32_e32 v18, 31, v18
	v_mfma_f32_4x4x4f16 a[0:3], v[58:59], v[66:67], a[0:3] cbsz:4 abid:12
	v_lshrrev_b32_e32 v76, 29, v18
	s_waitcnt vmcnt(10)
	v_mfma_f32_4x4x4f16 a[0:3], v[56:57], v[60:61], a[0:3] cbsz:4 abid:13
	v_mad_i64_i32 v[18:19], s[4:5], v54, s17, v[76:77]
	v_mfma_f32_4x4x4f16 a[0:3], v[58:59], v[62:63], a[0:3] cbsz:4 abid:13
	v_lshlrev_b64 v[18:19], 1, v[18:19]
	s_waitcnt vmcnt(9)
	v_mfma_f32_4x4x4f16 a[0:3], v[56:57], v[72:73], a[0:3] cbsz:4 abid:14
	v_and_b32_e32 v18, -16, v18
	v_mfma_f32_4x4x4f16 a[0:3], v[58:59], v[74:75], a[0:3] cbsz:4 abid:14
	v_mov_b32_e32 v20, s9
	v_add_co_u32_e32 v52, vcc, s3, v18
	s_waitcnt vmcnt(8)
	v_mfma_f32_4x4x4f16 a[0:3], v[56:57], v[68:69], a[0:3] cbsz:4 abid:15
	v_addc_co_u32_e32 v53, vcc, v20, v19, vcc
	v_add_co_u32_e32 v50, vcc, v52, v55
	v_mfma_f32_4x4x4f16 a[0:3], v[58:59], v[70:71], a[0:3] cbsz:4 abid:15
	v_addc_co_u32_e32 v51, vcc, 0, v53, vcc
	v_add_co_u32_e32 v66, vcc, v52, v78
	v_addc_co_u32_e32 v67, vcc, 0, v53, vcc
	s_nop 1
	v_accvgpr_read_b32 v59, a1
	v_accvgpr_read_b32 v58, a0
	global_load_dwordx4 v[18:21], v[50:51], off
	global_load_dwordx4 v[22:25], v[50:51], off offset:16
	global_load_dwordx4 v[30:33], v[50:51], off offset:32
	;; [unrolled: 1-line block ×3, first 2 shown]
	s_nop 0
	global_load_dwordx4 v[50:53], v[66:67], off
	global_load_dwordx4 v[54:57], v[66:67], off offset:16
	s_waitcnt lgkmcnt(0)
	v_pk_mul_f32 v[68:69], s[2:3], v[58:59] op_sel_hi:[0,1]
	global_load_dwordx4 v[58:61], v[66:67], off offset:32
	global_load_dwordx4 v[62:65], v[66:67], off offset:48
	v_accvgpr_read_b32 v67, a3
	v_accvgpr_read_b32 v66, a2
	v_pk_mul_f32 v[66:67], s[2:3], v[66:67] op_sel_hi:[0,1]
	v_mfma_f32_4x4x1f32 a[0:3], v68, v83, 0
	v_cmp_eq_u32_e32 vcc, 1, v81
	v_cndmask_b32_e64 v68, 0, 1.0, vcc
	v_cmp_eq_u32_e32 vcc, 2, v81
	v_mov_b32_e32 v73, 0xff7fffff
	v_mfma_f32_4x4x1f32 a[0:3], v69, v68, a[0:3]
	v_cndmask_b32_e64 v68, 0, 1.0, vcc
	v_cmp_eq_u32_e32 vcc, 3, v81
	s_nop 0
	v_mfma_f32_4x4x1f32 a[0:3], v66, v68, a[0:3]
	v_cndmask_b32_e64 v66, 0, 1.0, vcc
	s_nop 1
	v_mfma_f32_4x4x1f32 a[0:3], v67, v66, a[0:3]
	v_and_b32_e32 v66, -4, v82
	v_subrev_u32_e32 v67, s21, v66
	v_add_u32_e32 v68, 1, v67
	v_cvt_f32_i32_e32 v68, v68
	v_add_u32_e32 v69, 2, v67
	v_cvt_f32_i32_e32 v69, v69
	v_accvgpr_read_b32 v70, a0
	v_fma_f32 v68, v84, v68, v70
	v_accvgpr_read_b32 v70, a1
	v_fma_f32 v69, v84, v69, v70
	v_add_u32_e32 v70, 3, v67
	v_cvt_f32_i32_e32 v70, v70
	v_accvgpr_read_b32 v71, a2
	v_add_u32_e32 v67, 4, v67
	v_cmp_gt_i32_e32 vcc, s21, v66
	v_fma_f32 v71, v84, v70, v71
	v_max_f32_e32 v70, 0xff7fffff, v68
	v_cvt_f32_i32_e32 v67, v67
	v_cndmask_b32_e32 v70, v73, v70, vcc
	v_or_b32_e32 v73, 1, v66
	v_max_f32_e32 v74, v70, v69
	v_cmp_gt_i32_e64 s[2:3], s21, v73
	v_cndmask_b32_e64 v70, v70, v74, s[2:3]
	v_or_b32_e32 v66, 2, v66
	v_accvgpr_read_b32 v72, a3
	v_max_f32_e32 v73, v70, v71
	v_cmp_gt_i32_e64 s[4:5], s21, v66
	v_fmac_f32_e32 v72, v84, v67
	v_cndmask_b32_e64 v66, v70, v73, s[4:5]
	v_or_b32_e32 v70, 3, v82
	v_max_f32_e32 v73, v66, v72
	v_cmp_gt_i32_e64 s[10:11], s21, v70
	v_lshlrev_b32_e32 v67, 2, v0
	v_cndmask_b32_e64 v66, v66, v73, s[10:11]
	v_and_or_b32 v67, v67, 48, v81
	;;#ASMSTART
	v_nop
 v_nop
 v_max_f32_dpp v66, v66, v66 row_ror:4
	;;#ASMEND
	v_lshlrev_b32_e32 v73, 2, v67
	;;#ASMSTART
	v_nop
 v_nop
 v_max_f32_dpp v66, v66, v66 row_ror:8
	;;#ASMEND
	ds_bpermute_b32 v66, v73, v66
	s_waitcnt lgkmcnt(0)
	;;#ASMSTART
	v_nop
 v_nop
 v_max_f32_dpp v66, v66, v66 row_ror:4
	;;#ASMEND
	;;#ASMSTART
	v_nop
 v_nop
 v_max_f32_dpp v70, v66, v66 row_ror:8
	;;#ASMEND
	v_sub_f32_e32 v66, v68, v70
	v_mul_f32_e32 v66, 0x3fb8aa3b, v66
	v_sub_f32_e32 v67, v69, v70
	v_exp_f32_e32 v66, v66
	v_mul_f32_e32 v67, 0x3fb8aa3b, v67
	v_sub_f32_e32 v69, v71, v70
	v_exp_f32_e32 v67, v67
	v_mul_f32_e32 v69, 0x3fb8aa3b, v69
	v_sub_f32_e32 v71, v72, v70
	v_exp_f32_e32 v69, v69
	v_mul_f32_e32 v71, 0x3fb8aa3b, v71
	v_exp_f32_e32 v71, v71
	v_cndmask_b32_e32 v66, 0, v66, vcc
	v_add_f32_e32 v68, 0, v66
	v_cndmask_b32_e64 v67, 0, v67, s[2:3]
	v_add_f32_e32 v72, v68, v67
	v_cndmask_b32_e64 v68, 0, v69, s[4:5]
	;; [unrolled: 2-line block ×3, first 2 shown]
	v_add_f32_e32 v71, v72, v69
	;;#ASMSTART
	v_nop
 v_nop
 v_add_f32_dpp v71, v71, v71 row_ror:4
	;;#ASMEND
	;;#ASMSTART
	v_nop
 v_nop
 v_add_f32_dpp v71, v71, v71 row_ror:8
	;;#ASMEND
	ds_bpermute_b32 v71, v73, v71
	s_waitcnt lgkmcnt(0)
	;;#ASMSTART
	v_nop
 v_nop
 v_add_f32_dpp v71, v71, v71 row_ror:4
	;;#ASMEND
	v_cmp_gt_u32_e32 vcc, 4, v1
	;;#ASMSTART
	v_nop
 v_nop
 v_add_f32_dpp v71, v71, v71 row_ror:8
	;;#ASMEND
	s_and_saveexec_b64 s[2:3], vcc
	s_cbranch_execz .LBB152_18
; %bb.17:
	v_mul_u32_u24_e32 v72, 20, v80
	v_lshl_add_u32 v72, v81, 2, v72
	v_add_u32_e32 v72, 0x1400, v72
	ds_write2_b32 v72, v70, v71 offset1:20
.LBB152_18:
	s_or_b64 exec, exec, s[2:3]
.LBB152_19:
	s_or_b64 exec, exec, s[26:27]
	s_waitcnt lgkmcnt(0)
	s_barrier
	s_load_dword s2, s[24:25], 0x8
	v_lshlrev_b32_e32 v71, 2, v81
	v_add_u32_e32 v73, 0x1400, v71
	ds_read2_b32 v[74:75], v73 offset1:5
	ds_read2_b32 v[76:77], v73 offset0:10 offset1:15
	s_mul_i32 s3, s7, s6
	s_waitcnt lgkmcnt(0)
	s_mul_i32 s2, s3, s2
	s_mov_b32 s3, 0xff7fffff
	v_max3_f32 v71, v74, s3, v75
	v_max3_f32 v72, v71, v76, v77
	v_sub_f32_e32 v71, v74, v72
	v_sub_f32_e32 v74, v75, v72
	v_mul_f32_e32 v74, 0x3fb8aa3b, v74
	ds_read2_b32 v[78:79], v73 offset0:20 offset1:25
	v_mul_f32_e32 v71, 0x3fb8aa3b, v71
	v_exp_f32_e32 v83, v74
	ds_read2_b32 v[74:75], v73 offset0:30 offset1:35
	v_sub_f32_e32 v73, v76, v72
	v_exp_f32_e32 v82, v71
	v_mul_f32_e32 v73, 0x3fb8aa3b, v73
	v_exp_f32_e32 v76, v73
	v_sub_f32_e32 v73, v77, v72
	v_mul_f32_e32 v73, 0x3fb8aa3b, v73
	v_exp_f32_e32 v77, v73
	s_waitcnt lgkmcnt(1)
	v_fma_f32 v73, v82, v78, 0
	v_fmac_f32_e32 v73, v83, v79
	s_waitcnt lgkmcnt(0)
	v_fmac_f32_e32 v73, v76, v74
	v_mov_b32_e32 v71, 0
	v_fmac_f32_e32 v73, v77, v75
	s_mov_b32 s3, 0
	v_cmp_eq_u32_e32 vcc, 0, v81
	s_and_saveexec_b64 s[4:5], vcc
	s_cbranch_execz .LBB152_21
; %bb.20:
	s_lshl_b64 s[10:11], s[2:3], 2
	s_add_u32 s6, s12, s10
	s_mov_b32 s21, s3
	s_addc_u32 s9, s13, s11
	s_lshl_b64 s[12:13], s[20:21], 2
	s_add_u32 s6, s6, s12
	s_addc_u32 s9, s9, s13
	s_add_u32 s10, s14, s10
	s_addc_u32 s11, s15, s11
	;; [unrolled: 2-line block ×3, first 2 shown]
	s_mul_i32 s10, s7, s8
	s_mov_b32 s11, s3
	s_lshl_b64 s[10:11], s[10:11], 2
	s_add_u32 s12, s6, s10
	s_addc_u32 s13, s9, s11
	s_add_u32 s10, s14, s10
	s_addc_u32 s11, s15, s11
	global_store_dword v71, v72, s[10:11]
	global_store_dword v71, v73, s[12:13]
.LBB152_21:
	s_or_b64 exec, exec, s[4:5]
	v_lshlrev_b32_e32 v71, 3, v80
	s_and_saveexec_b64 s[4:5], s[0:1]
	s_xor_b64 s[0:1], exec, s[4:5]
	s_cbranch_execz .LBB152_23
; %bb.22:
	s_mov_b32 s4, 0
	s_mov_b32 s5, s4
	s_waitcnt vmcnt(14)
	v_mad_u32_u24 v4, v1, 40, v71
	v_pk_mov_b32 v[2:3], s[4:5], s[4:5] op_sel:[0,1]
	ds_write2st64_b64 v4, v[2:3], v[2:3] offset1:5
                                        ; implicit-def: $vgpr69
                                        ; implicit-def: $vgpr67
                                        ; implicit-def: $vgpr15
                                        ; implicit-def: $vgpr3
                                        ; implicit-def: $vgpr7
                                        ; implicit-def: $vgpr11
                                        ; implicit-def: $vgpr19
                                        ; implicit-def: $vgpr23
                                        ; implicit-def: $vgpr31
                                        ; implicit-def: $vgpr39
                                        ; implicit-def: $vgpr27
                                        ; implicit-def: $vgpr35
                                        ; implicit-def: $vgpr43
                                        ; implicit-def: $vgpr47
                                        ; implicit-def: $vgpr51
                                        ; implicit-def: $vgpr55
                                        ; implicit-def: $vgpr59
                                        ; implicit-def: $vgpr63
                                        ; implicit-def: $vgpr70
                                        ; implicit-def: $vgpr72
                                        ; implicit-def: $vgpr73
                                        ; implicit-def: $vgpr71
.LBB152_23:
	s_andn2_saveexec_b64 s[0:1], s[0:1]
	s_cbranch_execz .LBB152_25
; %bb.24:
	v_add_f32_e32 v73, 0x358637bd, v73
	v_div_scale_f32 v74, s[4:5], v73, v73, 1.0
	v_rcp_f32_e32 v75, v74
	v_sub_f32_e32 v70, v70, v72
	v_mul_f32_e32 v70, 0x3fb8aa3b, v70
	v_exp_f32_e32 v70, v70
	v_fma_f32 v72, -v74, v75, 1.0
	v_fmac_f32_e32 v75, v72, v75
	v_div_scale_f32 v72, vcc, 1.0, v73, 1.0
	v_mul_f32_e32 v76, v72, v75
	v_fma_f32 v77, -v74, v76, v72
	v_fmac_f32_e32 v76, v77, v75
	v_fma_f32 v72, -v74, v76, v72
	v_div_fmas_f32 v72, v72, v75, v76
	v_div_fixup_f32 v72, v72, v73, 1.0
	v_mul_f32_e32 v70, v70, v72
	v_pk_mul_f32 v[68:69], v[68:69], v[70:71] op_sel_hi:[1,0]
	v_pk_mul_f32 v[66:67], v[66:67], v[70:71] op_sel_hi:[1,0]
	v_cvt_f16_f32_e32 v66, v66
	v_cvt_f16_f32_e32 v67, v67
	;; [unrolled: 1-line block ×4, first 2 shown]
	v_pack_b32_f16 v66, v66, v67
	v_pack_b32_f16 v67, v68, v69
	s_waitcnt vmcnt(15)
	s_nop 0
	v_mfma_f32_4x4x4f16 a[0:3], v[66:67], v[14:15], 0 cbsz:4
	v_mfma_f32_4x4x4f16 a[0:3], v[66:67], v[16:17], a[0:3] cbsz:4 abid:1
	s_waitcnt vmcnt(14)
	v_mfma_f32_4x4x4f16 a[0:3], v[66:67], v[2:3], a[0:3] cbsz:4 abid:2
	s_waitcnt vmcnt(11)
	v_mfma_f32_4x4x4f16 a[4:7], v[66:67], v[26:27], 0 cbsz:4
	v_mfma_f32_4x4x4f16 a[0:3], v[66:67], v[4:5], a[0:3] cbsz:4 abid:3
	v_mfma_f32_4x4x4f16 a[4:7], v[66:67], v[28:29], a[4:7] cbsz:4 abid:1
	;; [unrolled: 1-line block ×3, first 2 shown]
	s_waitcnt vmcnt(10)
	v_mfma_f32_4x4x4f16 a[4:7], v[66:67], v[34:35], a[4:7] cbsz:4 abid:2
	v_mfma_f32_4x4x4f16 a[0:3], v[66:67], v[8:9], a[0:3] cbsz:4 abid:5
	v_mad_u32_u24 v9, v1, 40, v71
	v_mfma_f32_4x4x4f16 a[4:7], v[66:67], v[36:37], a[4:7] cbsz:4 abid:3
	v_mfma_f32_4x4x4f16 a[0:3], v[66:67], v[10:11], a[0:3] cbsz:4 abid:6
	s_waitcnt vmcnt(9)
	v_mfma_f32_4x4x4f16 a[4:7], v[66:67], v[42:43], a[4:7] cbsz:4 abid:4
	v_mfma_f32_4x4x4f16 a[0:3], v[66:67], v[12:13], a[0:3] cbsz:4 abid:7
	;; [unrolled: 1-line block ×3, first 2 shown]
	s_waitcnt vmcnt(7)
	v_mfma_f32_4x4x4f16 a[0:3], v[66:67], v[18:19], a[0:3] cbsz:4 abid:8
	v_mfma_f32_4x4x4f16 a[4:7], v[66:67], v[46:47], a[4:7] cbsz:4 abid:6
	;; [unrolled: 1-line block ×4, first 2 shown]
	s_waitcnt vmcnt(6)
	v_mfma_f32_4x4x4f16 a[0:3], v[66:67], v[22:23], a[0:3] cbsz:4 abid:10
	s_waitcnt vmcnt(3)
	v_mfma_f32_4x4x4f16 a[4:7], v[66:67], v[50:51], a[4:7] cbsz:4 abid:8
	v_mfma_f32_4x4x4f16 a[0:3], v[66:67], v[24:25], a[0:3] cbsz:4 abid:11
	;; [unrolled: 1-line block ×4, first 2 shown]
	s_waitcnt vmcnt(2)
	v_mfma_f32_4x4x4f16 a[4:7], v[66:67], v[54:55], a[4:7] cbsz:4 abid:10
	v_mfma_f32_4x4x4f16 a[0:3], v[66:67], v[32:33], a[0:3] cbsz:4 abid:13
	v_mfma_f32_4x4x4f16 a[4:7], v[66:67], v[56:57], a[4:7] cbsz:4 abid:11
	v_mfma_f32_4x4x4f16 a[0:3], v[66:67], v[38:39], a[0:3] cbsz:4 abid:14
	v_mfma_f32_4x4x4f16 a[0:3], v[66:67], v[40:41], a[0:3] cbsz:4 abid:15
	s_waitcnt vmcnt(1)
	v_mfma_f32_4x4x4f16 a[4:7], v[66:67], v[58:59], a[4:7] cbsz:4 abid:12
	s_nop 2
	v_accvgpr_read_b32 v2, a0
	v_accvgpr_read_b32 v3, a1
	;; [unrolled: 1-line block ×4, first 2 shown]
	v_mfma_f32_4x4x4f16 a[0:3], v[66:67], v[60:61], a[4:7] cbsz:4 abid:13
	v_cvt_f16_f32_e32 v2, v2
	v_cvt_f16_f32_e32 v3, v3
	s_waitcnt vmcnt(0)
	v_mfma_f32_4x4x4f16 a[0:3], v[66:67], v[62:63], a[0:3] cbsz:4 abid:14
	v_pack_b32_f16 v2, v2, v3
	v_mfma_f32_4x4x4f16 a[0:3], v[66:67], v[64:65], a[0:3] cbsz:4 abid:15
	v_cvt_f16_f32_e32 v3, v4
	v_cvt_f16_f32_e32 v4, v5
	v_pack_b32_f16 v3, v3, v4
	s_nop 1
	v_accvgpr_read_b32 v5, a0
	v_accvgpr_read_b32 v6, a1
	;; [unrolled: 1-line block ×4, first 2 shown]
	v_cvt_f16_f32_e32 v5, v5
	v_cvt_f16_f32_e32 v6, v6
	;; [unrolled: 1-line block ×4, first 2 shown]
	v_pack_b32_f16 v4, v5, v6
	v_pack_b32_f16 v5, v7, v8
	ds_write2st64_b64 v9, v[2:3], v[4:5] offset1:5
.LBB152_25:
	s_or_b64 exec, exec, s[0:1]
	v_cmp_gt_u32_e32 vcc, 64, v0
	s_waitcnt lgkmcnt(0)
	s_barrier
	s_and_saveexec_b64 s[0:1], vcc
	s_cbranch_execz .LBB152_27
; %bb.26:
	s_waitcnt vmcnt(14)
	v_mov_b32_e32 v2, 0xa00
	v_mad_u32_u24 v2, v1, 40, v2
	s_waitcnt vmcnt(13)
	v_mov_b32_e32 v6, 0xa10
	ds_read2_b64 v[2:5], v2 offset1:1
	s_waitcnt lgkmcnt(0)
	v_mad_u32_u24 v3, v1, 40, v6
	ds_read2_b64 v[6:9], v3 offset1:1
	s_mov_b32 s1, 0
	s_lshl_b32 s0, s2, 7
	s_lshl_b64 s[2:3], s[0:1], 1
	s_add_u32 s2, s22, s2
	v_mul_u32_u24_e32 v5, 40, v1
	v_pk_add_f16 v1, v2, 0
	s_addc_u32 s3, s23, s3
	s_lshl_b32 s0, s20, 7
	v_pk_add_f16 v1, v1, v4
	s_lshl_b64 s[0:1], s[0:1], 1
	s_waitcnt lgkmcnt(0)
	v_pk_add_f16 v1, v1, v6
	s_add_u32 s0, s2, s0
	s_mul_i32 s2, s8, s7
	s_waitcnt vmcnt(12)
	v_pk_add_f16 v10, v1, v8
	v_lshl_or_b32 v0, s2, 7, v0
	v_mov_b32_e32 v1, 0
	v_lshlrev_b64 v[8:9], 1, v[0:1]
	ds_read2_b64 v[0:3], v5 offset1:1
	ds_read2_b64 v[4:7], v5 offset0:2 offset1:3
	s_addc_u32 s1, s3, s1
	v_mov_b32_e32 v11, s1
	v_add_co_u32_e32 v8, vcc, s0, v8
	s_waitcnt lgkmcnt(1)
	v_pk_add_f16 v0, v0, 0
	v_pk_add_f16 v0, v0, v2
	s_waitcnt lgkmcnt(0)
	v_pk_add_f16 v0, v0, v4
	v_addc_co_u32_e32 v9, vcc, v11, v9, vcc
	v_pk_add_f16 v0, v0, v6
	global_store_short v[8:9], v0, off
	global_store_short v[8:9], v10, off offset:128
.LBB152_27:
	s_endpgm
	.section	.rodata,"a",@progbits
	.p2align	6, 0x0
	.amdhsa_kernel _Z38paged_attention_ll4mi_QKV_mfma4_kernelIDF16_DF16_LN4vllm18Fp8KVCacheDataTypeE0EDF16_Li32ELi128ELi256ELb1ELi1EEvPKT_PKT0_S7_ifPKiS9_S9_iPKfiiiPfSC_PS2_PT2_iSB_SB_
		.amdhsa_group_segment_fixed_size 5280
		.amdhsa_private_segment_fixed_size 0
		.amdhsa_kernarg_size 400
		.amdhsa_user_sgpr_count 6
		.amdhsa_user_sgpr_private_segment_buffer 1
		.amdhsa_user_sgpr_dispatch_ptr 0
		.amdhsa_user_sgpr_queue_ptr 0
		.amdhsa_user_sgpr_kernarg_segment_ptr 1
		.amdhsa_user_sgpr_dispatch_id 0
		.amdhsa_user_sgpr_flat_scratch_init 0
		.amdhsa_user_sgpr_kernarg_preload_length 0
		.amdhsa_user_sgpr_kernarg_preload_offset 0
		.amdhsa_user_sgpr_private_segment_size 0
		.amdhsa_uses_dynamic_stack 0
		.amdhsa_system_sgpr_private_segment_wavefront_offset 0
		.amdhsa_system_sgpr_workgroup_id_x 1
		.amdhsa_system_sgpr_workgroup_id_y 1
		.amdhsa_system_sgpr_workgroup_id_z 1
		.amdhsa_system_sgpr_workgroup_info 0
		.amdhsa_system_vgpr_workitem_id 0
		.amdhsa_next_free_vgpr 96
		.amdhsa_next_free_sgpr 38
		.amdhsa_accum_offset 88
		.amdhsa_reserve_vcc 1
		.amdhsa_reserve_flat_scratch 0
		.amdhsa_float_round_mode_32 0
		.amdhsa_float_round_mode_16_64 0
		.amdhsa_float_denorm_mode_32 3
		.amdhsa_float_denorm_mode_16_64 3
		.amdhsa_dx10_clamp 1
		.amdhsa_ieee_mode 1
		.amdhsa_fp16_overflow 0
		.amdhsa_tg_split 0
		.amdhsa_exception_fp_ieee_invalid_op 0
		.amdhsa_exception_fp_denorm_src 0
		.amdhsa_exception_fp_ieee_div_zero 0
		.amdhsa_exception_fp_ieee_overflow 0
		.amdhsa_exception_fp_ieee_underflow 0
		.amdhsa_exception_fp_ieee_inexact 0
		.amdhsa_exception_int_div_zero 0
	.end_amdhsa_kernel
	.section	.text._Z38paged_attention_ll4mi_QKV_mfma4_kernelIDF16_DF16_LN4vllm18Fp8KVCacheDataTypeE0EDF16_Li32ELi128ELi256ELb1ELi1EEvPKT_PKT0_S7_ifPKiS9_S9_iPKfiiiPfSC_PS2_PT2_iSB_SB_,"axG",@progbits,_Z38paged_attention_ll4mi_QKV_mfma4_kernelIDF16_DF16_LN4vllm18Fp8KVCacheDataTypeE0EDF16_Li32ELi128ELi256ELb1ELi1EEvPKT_PKT0_S7_ifPKiS9_S9_iPKfiiiPfSC_PS2_PT2_iSB_SB_,comdat
.Lfunc_end152:
	.size	_Z38paged_attention_ll4mi_QKV_mfma4_kernelIDF16_DF16_LN4vllm18Fp8KVCacheDataTypeE0EDF16_Li32ELi128ELi256ELb1ELi1EEvPKT_PKT0_S7_ifPKiS9_S9_iPKfiiiPfSC_PS2_PT2_iSB_SB_, .Lfunc_end152-_Z38paged_attention_ll4mi_QKV_mfma4_kernelIDF16_DF16_LN4vllm18Fp8KVCacheDataTypeE0EDF16_Li32ELi128ELi256ELb1ELi1EEvPKT_PKT0_S7_ifPKiS9_S9_iPKfiiiPfSC_PS2_PT2_iSB_SB_
                                        ; -- End function
	.section	.AMDGPU.csdata,"",@progbits
; Kernel info:
; codeLenInByte = 3860
; NumSgprs: 42
; NumVgprs: 85
; NumAgprs: 8
; TotalNumVgprs: 96
; ScratchSize: 0
; MemoryBound: 0
; FloatMode: 240
; IeeeMode: 1
; LDSByteSize: 5280 bytes/workgroup (compile time only)
; SGPRBlocks: 5
; VGPRBlocks: 11
; NumSGPRsForWavesPerEU: 42
; NumVGPRsForWavesPerEU: 96
; AccumOffset: 88
; Occupancy: 5
; WaveLimiterHint : 1
; COMPUTE_PGM_RSRC2:SCRATCH_EN: 0
; COMPUTE_PGM_RSRC2:USER_SGPR: 6
; COMPUTE_PGM_RSRC2:TRAP_HANDLER: 0
; COMPUTE_PGM_RSRC2:TGID_X_EN: 1
; COMPUTE_PGM_RSRC2:TGID_Y_EN: 1
; COMPUTE_PGM_RSRC2:TGID_Z_EN: 1
; COMPUTE_PGM_RSRC2:TIDIG_COMP_CNT: 0
; COMPUTE_PGM_RSRC3_GFX90A:ACCUM_OFFSET: 21
; COMPUTE_PGM_RSRC3_GFX90A:TG_SPLIT: 0
	.section	.text._Z38paged_attention_ll4mi_QKV_mfma4_kernelIDF16_DF16_LN4vllm18Fp8KVCacheDataTypeE0EDF16_Li32ELi128ELi256ELb1ELi2EEvPKT_PKT0_S7_ifPKiS9_S9_iPKfiiiPfSC_PS2_PT2_iSB_SB_,"axG",@progbits,_Z38paged_attention_ll4mi_QKV_mfma4_kernelIDF16_DF16_LN4vllm18Fp8KVCacheDataTypeE0EDF16_Li32ELi128ELi256ELb1ELi2EEvPKT_PKT0_S7_ifPKiS9_S9_iPKfiiiPfSC_PS2_PT2_iSB_SB_,comdat
	.protected	_Z38paged_attention_ll4mi_QKV_mfma4_kernelIDF16_DF16_LN4vllm18Fp8KVCacheDataTypeE0EDF16_Li32ELi128ELi256ELb1ELi2EEvPKT_PKT0_S7_ifPKiS9_S9_iPKfiiiPfSC_PS2_PT2_iSB_SB_ ; -- Begin function _Z38paged_attention_ll4mi_QKV_mfma4_kernelIDF16_DF16_LN4vllm18Fp8KVCacheDataTypeE0EDF16_Li32ELi128ELi256ELb1ELi2EEvPKT_PKT0_S7_ifPKiS9_S9_iPKfiiiPfSC_PS2_PT2_iSB_SB_
	.globl	_Z38paged_attention_ll4mi_QKV_mfma4_kernelIDF16_DF16_LN4vllm18Fp8KVCacheDataTypeE0EDF16_Li32ELi128ELi256ELb1ELi2EEvPKT_PKT0_S7_ifPKiS9_S9_iPKfiiiPfSC_PS2_PT2_iSB_SB_
	.p2align	8
	.type	_Z38paged_attention_ll4mi_QKV_mfma4_kernelIDF16_DF16_LN4vllm18Fp8KVCacheDataTypeE0EDF16_Li32ELi128ELi256ELb1ELi2EEvPKT_PKT0_S7_ifPKiS9_S9_iPKfiiiPfSC_PS2_PT2_iSB_SB_,@function
_Z38paged_attention_ll4mi_QKV_mfma4_kernelIDF16_DF16_LN4vllm18Fp8KVCacheDataTypeE0EDF16_Li32ELi128ELi256ELb1ELi2EEvPKT_PKT0_S7_ifPKiS9_S9_iPKfiiiPfSC_PS2_PT2_iSB_SB_: ; @_Z38paged_attention_ll4mi_QKV_mfma4_kernelIDF16_DF16_LN4vllm18Fp8KVCacheDataTypeE0EDF16_Li32ELi128ELi256ELb1ELi2EEvPKT_PKT0_S7_ifPKiS9_S9_iPKfiiiPfSC_PS2_PT2_iSB_SB_
; %bb.0:
	s_load_dwordx2 s[2:3], s[4:5], 0x30
	s_mov_b32 s10, s7
	s_mov_b64 s[0:1], 0
	s_waitcnt lgkmcnt(0)
	s_cmp_lg_u64 s[2:3], 0
	s_cselect_b64 s[16:17], -1, 0
	s_and_b64 vcc, exec, s[16:17]
	s_cbranch_vccz .LBB153_10
; %bb.1:
	s_add_i32 s12, s6, 1
	s_mov_b32 s13, 0
	s_lshl_b64 s[14:15], s[12:13], 2
	s_add_u32 s14, s2, s14
	s_mov_b32 s7, s13
	s_addc_u32 s15, s3, s15
	s_lshl_b64 s[12:13], s[6:7], 2
	s_add_u32 s12, s2, s12
	s_addc_u32 s13, s3, s13
	s_load_dword s9, s[14:15], 0x0
	s_load_dword s11, s[12:13], 0x0
	s_waitcnt lgkmcnt(0)
	s_sub_i32 s9, s9, s11
	s_cmp_eq_u32 s9, 1
	s_cselect_b64 s[12:13], -1, 0
	s_andn2_b64 vcc, exec, s[0:1]
	s_cbranch_vccnz .LBB153_3
.LBB153_2:
	s_mov_b32 s7, 0
	s_mov_b64 s[12:13], -1
.LBB153_3:
	s_andn2_b64 vcc, exec, s[12:13]
	s_cbranch_vccnz .LBB153_27
; %bb.4:
	s_load_dword s9, s[4:5], 0x9c
	s_load_dwordx2 s[0:1], s[4:5], 0x28
	s_add_u32 s22, s4, 0x90
	s_addc_u32 s23, s5, 0
	s_lshl_b64 s[18:19], s[6:7], 2
	s_waitcnt lgkmcnt(0)
	s_and_b32 s9, s9, 0xffff
	s_add_u32 s0, s0, s18
	s_addc_u32 s1, s1, s19
	s_load_dword s11, s[0:1], 0x0
	s_mul_i32 s9, s10, s9
	s_waitcnt lgkmcnt(0)
	s_cmp_ge_i32 s9, s11
	s_cbranch_scc1 .LBB153_27
; %bb.5:
	v_and_b32_e32 v1, 0xc0, v0
	v_add_u32_e32 v2, s9, v1
	v_lshrrev_b32_e32 v74, 6, v0
	v_cmp_le_i32_e64 s[0:1], s11, v2
                                        ; implicit-def: $sgpr27
                                        ; implicit-def: $sgpr26
	s_and_saveexec_b64 s[12:13], s[0:1]
	s_xor_b64 s[12:13], exec, s[12:13]
	s_cbranch_execz .LBB153_7
; %bb.6:
	v_mul_u32_u24_e32 v1, 20, v74
	v_or_b32_e32 v1, 0x1400, v1
	v_mov_b32_e32 v2, 0x1450
	v_mov_b32_e32 v3, 0xff7fffff
	v_mad_u32_u24 v2, v74, 20, v2
	ds_write2_b32 v1, v3, v3 offset1:1
	v_mov_b32_e32 v1, 0
	ds_write2_b32 v2, v1, v1 offset1:1
	v_mov_b32_e32 v2, 0x1408
	s_mov_b32 s26, 0xff7fffff
	s_mov_b32 s27, 0
	v_mad_u32_u24 v2, v74, 20, v2
	v_mov_b32_e32 v4, 0x1458
	v_mad_u32_u24 v4, v74, 20, v4
	ds_write2_b32 v2, v3, v3 offset1:1
	ds_write2_b32 v4, v1, v1 offset1:1
                                        ; implicit-def: $vgpr2
.LBB153_7:
	s_or_saveexec_b64 s[24:25], s[12:13]
	s_load_dwordx2 s[20:21], s[4:5], 0x68
	s_load_dwordx4 s[12:15], s[4:5], 0x58
	s_load_dword s7, s[22:23], 0x4
	v_and_b32_e32 v1, 63, v0
	v_and_b32_e32 v75, 3, v0
	s_lshl_b32 s33, s8, 1
	v_mov_b32_e32 v69, s27
	v_mov_b32_e32 v70, s26
	;; [unrolled: 1-line block ×5, first 2 shown]
                                        ; implicit-def: $vgpr15
                                        ; implicit-def: $vgpr3
                                        ; implicit-def: $vgpr7
                                        ; implicit-def: $vgpr11
                                        ; implicit-def: $vgpr19
                                        ; implicit-def: $vgpr23
                                        ; implicit-def: $vgpr31
                                        ; implicit-def: $vgpr39
                                        ; implicit-def: $vgpr27
                                        ; implicit-def: $vgpr35
                                        ; implicit-def: $vgpr43
                                        ; implicit-def: $vgpr47
                                        ; implicit-def: $vgpr55
                                        ; implicit-def: $vgpr63
                                        ; implicit-def: $vgpr51
                                        ; implicit-def: $vgpr59
	s_xor_b64 exec, exec, s[24:25]
	s_cbranch_execz .LBB153_19
; %bb.8:
	s_add_i32 s29, s11, 31
	s_load_dwordx2 s[26:27], s[4:5], 0x20
	s_load_dword s28, s[4:5], 0x38
	s_ashr_i32 s30, s29, 31
	s_lshr_b32 s30, s30, 27
	v_add_u32_e32 v76, s9, v0
	s_add_i32 s29, s29, s30
	v_ashrrev_i32_e32 v3, 31, v76
	s_ashr_i32 s29, s29, 5
	v_lshrrev_b32_e32 v3, 27, v3
	s_add_i32 s30, s29, -1
	v_add_u32_e32 v3, v76, v3
	s_waitcnt lgkmcnt(0)
	s_mul_i32 s28, s6, s28
	s_mov_b32 s29, 0
	v_ashrrev_i32_e32 v3, 5, v3
	v_mov_b32_e32 v4, s30
	v_cmp_gt_i32_e32 vcc, s11, v76
	s_lshl_b64 s[28:29], s[28:29], 2
	v_cndmask_b32_e32 v4, v4, v3, vcc
	s_add_u32 s26, s26, s28
	v_ashrrev_i32_e32 v5, 31, v4
	s_addc_u32 s27, s27, s29
	v_lshlrev_b64 v[4:5], 2, v[4:5]
	v_mov_b32_e32 v3, s27
	v_add_co_u32_e32 v4, vcc, s26, v4
	v_addc_co_u32_e32 v5, vcc, v3, v5, vcc
	v_ashrrev_i32_e32 v3, 31, v2
	v_lshrrev_b32_e32 v3, 27, v3
	v_add_u32_e32 v2, v2, v3
	v_ashrrev_i32_e32 v8, 5, v2
	v_min_i32_e32 v2, s30, v8
	v_ashrrev_i32_e32 v3, 31, v2
	v_lshlrev_b64 v[2:3], 2, v[2:3]
	v_add_co_u32_e32 v6, vcc, s26, v2
	v_add_u32_e32 v2, 1, v8
	v_mov_b32_e32 v7, s27
	v_min_i32_e32 v2, s30, v2
	v_addc_co_u32_e32 v7, vcc, v7, v3, vcc
	v_ashrrev_i32_e32 v3, 31, v2
	v_lshlrev_b64 v[2:3], 2, v[2:3]
	v_mov_b32_e32 v9, s27
	v_add_co_u32_e32 v8, vcc, s26, v2
	v_addc_co_u32_e32 v9, vcc, v9, v3, vcc
	global_load_dword v2, v[4:5], off
	global_load_dword v46, v[6:7], off
	;; [unrolled: 1-line block ×3, first 2 shown]
	s_load_dwordx2 s[28:29], s[4:5], 0x8
	s_andn2_b64 vcc, exec, s[16:17]
	s_cbranch_vccnz .LBB153_11
; %bb.9:
	s_add_u32 s2, s2, s18
	s_addc_u32 s3, s3, s19
	s_load_dword s2, s[2:3], 0x0
	s_branch .LBB153_12
.LBB153_10:
	s_mov_b64 s[12:13], 0
	s_branch .LBB153_2
.LBB153_11:
	s_mov_b32 s2, s6
.LBB153_12:
	s_load_dwordx2 s[26:27], s[4:5], 0x10
	s_load_dwordx4 s[16:19], s[4:5], 0x48
	v_cmp_gt_u32_e32 vcc, 2, v75
	s_mov_b32 s3, 0
	v_mov_b32_e32 v77, 0
	v_mov_b32_e32 v66, 0
	;; [unrolled: 1-line block ×5, first 2 shown]
	s_and_saveexec_b64 s[30:31], vcc
	s_cbranch_execz .LBB153_14
; %bb.13:
	s_load_dwordx2 s[34:35], s[4:5], 0x0
	s_waitcnt lgkmcnt(0)
	s_ashr_i32 s9, s16, 31
	s_mul_hi_u32 s19, s2, s16
	s_mul_i32 s9, s2, s9
	s_add_i32 s37, s19, s9
	s_mul_i32 s36, s2, s16
	s_lshl_b64 s[36:37], s[36:37], 1
	s_add_u32 s9, s34, s36
	s_addc_u32 s16, s35, s37
	s_lshl_b32 s2, s8, 8
	s_lshl_b64 s[34:35], s[2:3], 1
	v_lshlrev_b32_e32 v3, 2, v1
	s_add_u32 s34, s9, s34
	v_and_b32_e32 v3, 0xf0, v3
	s_addc_u32 s35, s16, s35
	v_lshl_or_b32 v3, v75, 8, v3
	global_load_dwordx4 v[66:69], v3, s[34:35]
.LBB153_14:
	s_or_b64 exec, exec, s[30:31]
	s_waitcnt lgkmcnt(0)
	s_mul_i32 s2, s8, s18
	s_lshl_b64 s[8:9], s[2:3], 1
	s_waitcnt vmcnt(2)
	v_mad_i64_i32 v[2:3], s[30:31], v2, s17, 0
	s_add_u32 s2, s8, s28
	v_lshlrev_b64 v[2:3], 1, v[2:3]
	s_addc_u32 s3, s9, s29
	v_mov_b32_e32 v4, s3
	v_add_co_u32_e64 v47, s[2:3], s2, v2
	v_and_b32_e32 v2, 31, v0
	v_addc_co_u32_e64 v64, s[2:3], v4, v3, s[2:3]
	v_lshlrev_b32_e32 v65, 4, v2
	v_add_co_u32_e64 v22, s[2:3], v47, v65
	v_addc_co_u32_e64 v23, s[2:3], 0, v64, s[2:3]
	global_load_dwordx4 v[42:45], v[22:23], off
	global_load_dwordx4 v[34:37], v[22:23], off offset:512
	global_load_dwordx4 v[14:17], v[22:23], off offset:1024
	;; [unrolled: 1-line block ×7, first 2 shown]
	v_or_b32_e32 v22, 0x1000, v65
	v_add_co_u32_e64 v38, s[2:3], v47, v22
	v_addc_co_u32_e64 v39, s[2:3], 0, v64, s[2:3]
	v_or_b32_e32 v22, 0x1200, v65
	v_add_co_u32_e64 v40, s[2:3], v47, v22
	v_addc_co_u32_e64 v41, s[2:3], 0, v64, s[2:3]
	global_load_dwordx4 v[30:33], v[38:39], off
	global_load_dwordx4 v[22:25], v[40:41], off
	v_or_b32_e32 v38, 0x1400, v65
	v_add_co_u32_e64 v48, s[2:3], v47, v38
	v_addc_co_u32_e64 v49, s[2:3], 0, v64, s[2:3]
	v_or_b32_e32 v38, 0x1600, v65
	v_add_co_u32_e64 v54, s[2:3], v47, v38
	v_addc_co_u32_e64 v55, s[2:3], 0, v64, s[2:3]
	global_load_dwordx4 v[50:53], v[48:49], off
	global_load_dwordx4 v[38:41], v[54:55], off
	;; [unrolled: 8-line block ×3, first 2 shown]
	v_or_b32_e32 v48, 0x1c00, v65
	v_add_co_u32_e64 v48, s[2:3], v47, v48
	v_mov_b32_e32 v62, 0x1e00
	v_addc_co_u32_e64 v49, s[2:3], 0, v64, s[2:3]
	v_lshl_or_b32 v62, v0, 4, v62
	v_add_co_u32_e64 v80, s[2:3], v47, v62
	v_addc_co_u32_e64 v81, s[2:3], 0, v64, s[2:3]
	global_load_dwordx4 v[62:65], v[48:49], off
	global_load_dwordx4 v[70:73], v[80:81], off
	s_and_saveexec_b64 s[2:3], vcc
	s_cbranch_execz .LBB153_16
; %bb.15:
	s_load_dwordx2 s[18:19], s[4:5], 0x40
	v_or_b32_e32 v48, s33, v75
	v_mov_b32_e32 v49, 0
	v_lshlrev_b64 v[48:49], 2, v[48:49]
	s_waitcnt lgkmcnt(0)
	v_mov_b32_e32 v47, s19
	v_add_co_u32_e32 v48, vcc, s18, v48
	v_addc_co_u32_e32 v49, vcc, v47, v49, vcc
	global_load_dword v77, v[48:49], off
.LBB153_16:
	s_or_b64 exec, exec, s[2:3]
	s_waitcnt vmcnt(15)
	v_mfma_f32_4x4x4f16 a[0:3], v[66:67], v[42:43], 0 cbsz:4
	v_mul_hi_i32 v42, v46, s17
	v_mfma_f32_4x4x4f16 a[0:3], v[68:69], v[44:45], a[0:3] cbsz:4
	v_ashrrev_i32_e32 v42, 31, v42
	s_waitcnt vmcnt(14)
	v_mfma_f32_4x4x4f16 a[0:3], v[66:67], v[34:35], a[0:3] cbsz:4 abid:1
	v_lshrrev_b32_e32 v80, 29, v42
	v_mfma_f32_4x4x4f16 a[0:3], v[68:69], v[36:37], a[0:3] cbsz:4 abid:1
	v_mov_b32_e32 v81, 0
	s_waitcnt vmcnt(13)
	v_mfma_f32_4x4x4f16 a[0:3], v[66:67], v[14:15], a[0:3] cbsz:4 abid:2
	s_load_dword s2, s[4:5], 0x1c
	v_mfma_f32_4x4x4f16 a[0:3], v[68:69], v[16:17], a[0:3] cbsz:4 abid:2
	v_mad_i64_i32 v[14:15], s[4:5], v46, s17, v[80:81]
	s_waitcnt vmcnt(12)
	v_mfma_f32_4x4x4f16 a[0:3], v[66:67], v[10:11], a[0:3] cbsz:4 abid:3
	s_add_u32 s3, s26, s8
	v_mfma_f32_4x4x4f16 a[0:3], v[68:69], v[12:13], a[0:3] cbsz:4 abid:3
	v_lshlrev_b64 v[14:15], 1, v[14:15]
	s_waitcnt vmcnt(11)
	v_mfma_f32_4x4x4f16 a[0:3], v[66:67], v[6:7], a[0:3] cbsz:4 abid:4
	s_addc_u32 s8, s27, s9
	v_mfma_f32_4x4x4f16 a[0:3], v[68:69], v[8:9], a[0:3] cbsz:4 abid:4
	v_and_b32_e32 v10, -16, v14
	s_waitcnt vmcnt(10)
	v_mfma_f32_4x4x4f16 a[0:3], v[66:67], v[2:3], a[0:3] cbsz:4 abid:5
	v_mov_b32_e32 v11, s8
	v_mfma_f32_4x4x4f16 a[0:3], v[68:69], v[4:5], a[0:3] cbsz:4 abid:5
	v_add_co_u32_e32 v36, vcc, s3, v10
	s_waitcnt vmcnt(9)
	v_mfma_f32_4x4x4f16 a[0:3], v[66:67], v[26:27], a[0:3] cbsz:4 abid:6
	v_addc_co_u32_e32 v37, vcc, v11, v15, vcc
	v_mfma_f32_4x4x4f16 a[0:3], v[68:69], v[28:29], a[0:3] cbsz:4 abid:6
	v_lshlrev_b32_e32 v79, 6, v1
	s_waitcnt vmcnt(8)
	v_mfma_f32_4x4x4f16 a[0:3], v[66:67], v[18:19], a[0:3] cbsz:4 abid:7
	v_add_co_u32_e32 v34, vcc, v36, v79
	v_mfma_f32_4x4x4f16 a[0:3], v[68:69], v[20:21], a[0:3] cbsz:4 abid:7
	v_addc_co_u32_e32 v35, vcc, 0, v37, vcc
	s_waitcnt vmcnt(7)
	v_mfma_f32_4x4x4f16 a[0:3], v[66:67], v[30:31], a[0:3] cbsz:4 abid:8
	v_or_b32_e32 v82, 0x1000, v79
	v_mfma_f32_4x4x4f16 a[0:3], v[68:69], v[32:33], a[0:3] cbsz:4 abid:8
	v_add_co_u32_e32 v18, vcc, v36, v82
	s_waitcnt vmcnt(6)
	v_mfma_f32_4x4x4f16 a[0:3], v[66:67], v[22:23], a[0:3] cbsz:4 abid:9
	v_addc_co_u32_e32 v19, vcc, 0, v37, vcc
	v_mfma_f32_4x4x4f16 a[0:3], v[68:69], v[24:25], a[0:3] cbsz:4 abid:9
	global_load_dwordx4 v[14:17], v[34:35], off
	global_load_dwordx4 v[2:5], v[34:35], off offset:16
	s_waitcnt vmcnt(7)
	v_mfma_f32_4x4x4f16 a[0:3], v[66:67], v[50:51], a[0:3] cbsz:4 abid:10
	global_load_dwordx4 v[6:9], v[34:35], off offset:32
	global_load_dwordx4 v[10:13], v[34:35], off offset:48
	v_mfma_f32_4x4x4f16 a[0:3], v[68:69], v[52:53], a[0:3] cbsz:4 abid:10
	global_load_dwordx4 v[26:29], v[18:19], off
	global_load_dwordx4 v[34:37], v[18:19], off offset:16
	s_waitcnt vmcnt(10)
	v_mfma_f32_4x4x4f16 a[0:3], v[66:67], v[38:39], a[0:3] cbsz:4 abid:11
	global_load_dwordx4 v[42:45], v[18:19], off offset:32
	global_load_dwordx4 v[46:49], v[18:19], off offset:48
	v_mul_hi_i32 v18, v78, s17
	v_mfma_f32_4x4x4f16 a[0:3], v[68:69], v[40:41], a[0:3] cbsz:4 abid:11
	v_ashrrev_i32_e32 v18, 31, v18
	v_lshrrev_b32_e32 v80, 29, v18
	s_waitcnt vmcnt(11)
	v_mfma_f32_4x4x4f16 a[0:3], v[66:67], v[58:59], a[0:3] cbsz:4 abid:12
	v_mad_i64_i32 v[18:19], s[4:5], v78, s17, v[80:81]
	v_lshlrev_b64 v[18:19], 1, v[18:19]
	v_mfma_f32_4x4x4f16 a[0:3], v[68:69], v[60:61], a[0:3] cbsz:4 abid:12
	v_and_b32_e32 v18, -16, v18
	v_mov_b32_e32 v20, s8
	v_add_co_u32_e32 v52, vcc, s3, v18
	s_waitcnt vmcnt(10)
	v_mfma_f32_4x4x4f16 a[0:3], v[66:67], v[54:55], a[0:3] cbsz:4 abid:13
	v_addc_co_u32_e32 v53, vcc, v20, v19, vcc
	v_add_co_u32_e32 v50, vcc, v52, v79
	v_mfma_f32_4x4x4f16 a[0:3], v[68:69], v[56:57], a[0:3] cbsz:4 abid:13
	v_addc_co_u32_e32 v51, vcc, 0, v53, vcc
	s_waitcnt vmcnt(9)
	v_mfma_f32_4x4x4f16 a[0:3], v[66:67], v[62:63], a[0:3] cbsz:4 abid:14
	v_add_co_u32_e32 v78, vcc, v52, v82
	v_addc_co_u32_e32 v79, vcc, 0, v53, vcc
	global_load_dwordx4 v[18:21], v[50:51], off
	global_load_dwordx4 v[22:25], v[50:51], off offset:16
	global_load_dwordx4 v[30:33], v[50:51], off offset:32
	;; [unrolled: 1-line block ×3, first 2 shown]
	v_mfma_f32_4x4x4f16 a[0:3], v[68:69], v[64:65], a[0:3] cbsz:4 abid:14
	global_load_dwordx4 v[54:57], v[78:79], off
	global_load_dwordx4 v[62:65], v[78:79], off offset:16
	global_load_dwordx4 v[50:53], v[78:79], off offset:32
	global_load_dwordx4 v[58:61], v[78:79], off offset:48
	s_waitcnt vmcnt(16)
	v_mfma_f32_4x4x4f16 a[0:3], v[66:67], v[70:71], a[0:3] cbsz:4 abid:15
	v_cmp_eq_u32_e32 vcc, 0, v75
	v_mfma_f32_4x4x4f16 a[0:3], v[68:69], v[72:73], a[0:3] cbsz:4 abid:15
	v_cndmask_b32_e64 v70, 0, 1.0, vcc
	v_cmp_eq_u32_e32 vcc, 1, v75
	v_mov_b32_e32 v73, 0xff7fffff
	s_nop 1
	v_accvgpr_read_b32 v69, a1
	v_accvgpr_read_b32 v68, a0
	s_waitcnt lgkmcnt(0)
	v_pk_mul_f32 v[68:69], s[2:3], v[68:69] op_sel_hi:[0,1]
	v_accvgpr_read_b32 v67, a3
	v_accvgpr_read_b32 v66, a2
	v_pk_mul_f32 v[66:67], s[2:3], v[66:67] op_sel_hi:[0,1]
	v_mfma_f32_4x4x1f32 a[0:3], v68, v70, 0
	v_cndmask_b32_e64 v68, 0, 1.0, vcc
	v_cmp_eq_u32_e32 vcc, 2, v75
	s_nop 0
	v_mfma_f32_4x4x1f32 a[0:3], v69, v68, a[0:3]
	v_cndmask_b32_e64 v68, 0, 1.0, vcc
	v_cmp_eq_u32_e32 vcc, 3, v75
	s_nop 0
	v_mfma_f32_4x4x1f32 a[0:3], v66, v68, a[0:3]
	v_cndmask_b32_e64 v66, 0, 1.0, vcc
	s_nop 1
	v_mfma_f32_4x4x1f32 a[0:3], v67, v66, a[0:3]
	v_and_b32_e32 v66, -4, v76
	v_subrev_u32_e32 v67, s11, v66
	v_add_u32_e32 v68, 1, v67
	v_cvt_f32_i32_e32 v68, v68
	v_add_u32_e32 v69, 2, v67
	v_cvt_f32_i32_e32 v69, v69
	v_accvgpr_read_b32 v70, a0
	v_fma_f32 v68, v77, v68, v70
	v_accvgpr_read_b32 v70, a1
	v_fma_f32 v69, v77, v69, v70
	v_add_u32_e32 v70, 3, v67
	v_cvt_f32_i32_e32 v70, v70
	v_add_u32_e32 v67, 4, v67
	v_cvt_f32_i32_e32 v67, v67
	v_accvgpr_read_b32 v71, a2
	v_fma_f32 v71, v77, v70, v71
	v_max_f32_e32 v70, 0xff7fffff, v68
	v_cmp_gt_i32_e32 vcc, s11, v66
	v_accvgpr_read_b32 v72, a3
	v_cndmask_b32_e32 v70, v73, v70, vcc
	v_or_b32_e32 v73, 1, v66
	v_fmac_f32_e32 v72, v77, v67
	v_max_f32_e32 v77, v70, v69
	v_cmp_gt_i32_e64 s[2:3], s11, v73
	v_cndmask_b32_e64 v70, v70, v77, s[2:3]
	v_or_b32_e32 v66, 2, v66
	v_max_f32_e32 v73, v70, v71
	v_cmp_gt_i32_e64 s[4:5], s11, v66
	v_cndmask_b32_e64 v66, v70, v73, s[4:5]
	v_or_b32_e32 v70, 3, v76
	v_max_f32_e32 v73, v66, v72
	v_cmp_gt_i32_e64 s[8:9], s11, v70
	v_lshlrev_b32_e32 v67, 2, v0
	v_cndmask_b32_e64 v66, v66, v73, s[8:9]
	v_and_or_b32 v67, v67, 48, v75
	;;#ASMSTART
	v_nop
 v_nop
 v_max_f32_dpp v66, v66, v66 row_ror:4
	;;#ASMEND
	v_lshlrev_b32_e32 v73, 2, v67
	;;#ASMSTART
	v_nop
 v_nop
 v_max_f32_dpp v66, v66, v66 row_ror:8
	;;#ASMEND
	ds_bpermute_b32 v66, v73, v66
	s_waitcnt lgkmcnt(0)
	;;#ASMSTART
	v_nop
 v_nop
 v_max_f32_dpp v66, v66, v66 row_ror:4
	;;#ASMEND
	;;#ASMSTART
	v_nop
 v_nop
 v_max_f32_dpp v70, v66, v66 row_ror:8
	;;#ASMEND
	v_sub_f32_e32 v66, v68, v70
	v_mul_f32_e32 v66, 0x3fb8aa3b, v66
	v_sub_f32_e32 v67, v69, v70
	v_exp_f32_e32 v66, v66
	v_mul_f32_e32 v67, 0x3fb8aa3b, v67
	v_sub_f32_e32 v69, v71, v70
	v_exp_f32_e32 v67, v67
	;; [unrolled: 3-line block ×3, first 2 shown]
	v_mul_f32_e32 v71, 0x3fb8aa3b, v71
	v_exp_f32_e32 v71, v71
	v_cndmask_b32_e32 v66, 0, v66, vcc
	v_add_f32_e32 v68, 0, v66
	v_cndmask_b32_e64 v67, 0, v67, s[2:3]
	v_add_f32_e32 v72, v68, v67
	v_cndmask_b32_e64 v68, 0, v69, s[4:5]
	v_add_f32_e32 v72, v72, v68
	v_cndmask_b32_e64 v69, 0, v71, s[8:9]
	v_add_f32_e32 v71, v72, v69
	;;#ASMSTART
	v_nop
 v_nop
 v_add_f32_dpp v71, v71, v71 row_ror:4
	;;#ASMEND
	;;#ASMSTART
	v_nop
 v_nop
 v_add_f32_dpp v71, v71, v71 row_ror:8
	;;#ASMEND
	ds_bpermute_b32 v71, v73, v71
	s_waitcnt lgkmcnt(0)
	;;#ASMSTART
	v_nop
 v_nop
 v_add_f32_dpp v71, v71, v71 row_ror:4
	;;#ASMEND
	v_cmp_gt_u32_e32 vcc, 4, v1
	;;#ASMSTART
	v_nop
 v_nop
 v_add_f32_dpp v71, v71, v71 row_ror:8
	;;#ASMEND
	s_and_saveexec_b64 s[2:3], vcc
	s_cbranch_execz .LBB153_18
; %bb.17:
	v_mul_u32_u24_e32 v72, 20, v74
	v_lshl_add_u32 v72, v75, 2, v72
	v_add_u32_e32 v72, 0x1400, v72
	ds_write2_b32 v72, v70, v71 offset1:20
.LBB153_18:
	s_or_b64 exec, exec, s[2:3]
.LBB153_19:
	s_or_b64 exec, exec, s[24:25]
	s_waitcnt lgkmcnt(0)
	s_barrier
	s_load_dword s2, s[22:23], 0x8
	v_lshlrev_b32_e32 v71, 2, v75
	v_add_u32_e32 v71, 0x1400, v71
	ds_read2_b32 v[76:77], v71 offset1:5
	ds_read2_b32 v[78:79], v71 offset0:10 offset1:15
	s_mul_i32 s3, s6, s7
	s_waitcnt lgkmcnt(0)
	s_mul_i32 s3, s3, s2
	s_lshl_b32 s2, s3, 1
	s_mov_b32 s3, 0xff7fffff
	v_max3_f32 v72, v76, s3, v77
	v_max3_f32 v72, v72, v78, v79
	v_sub_f32_e32 v73, v76, v72
	v_sub_f32_e32 v76, v77, v72
	ds_read2_b32 v[80:81], v71 offset0:20 offset1:25
	v_mul_f32_e32 v73, 0x3fb8aa3b, v73
	v_mul_f32_e32 v76, 0x3fb8aa3b, v76
	v_exp_f32_e32 v73, v73
	v_exp_f32_e32 v82, v76
	ds_read2_b32 v[76:77], v71 offset0:30 offset1:35
	v_sub_f32_e32 v71, v78, v72
	v_mul_f32_e32 v71, 0x3fb8aa3b, v71
	v_sub_f32_e32 v78, v79, v72
	v_exp_f32_e32 v71, v71
	v_mul_f32_e32 v78, 0x3fb8aa3b, v78
	v_exp_f32_e32 v78, v78
	s_waitcnt lgkmcnt(1)
	v_fma_f32 v73, v73, v80, 0
	v_fmac_f32_e32 v73, v82, v81
	s_waitcnt lgkmcnt(0)
	v_fmac_f32_e32 v73, v71, v76
	v_fmac_f32_e32 v73, v78, v77
	v_cmp_gt_u32_e32 vcc, 2, v75
	s_and_saveexec_b64 s[4:5], vcc
	s_cbranch_execz .LBB153_21
; %bb.20:
	s_mov_b32 s3, 0
	s_lshl_b64 s[8:9], s[2:3], 2
	s_add_u32 s6, s12, s8
	s_mov_b32 s11, s3
	s_addc_u32 s16, s13, s9
	s_lshl_b64 s[12:13], s[10:11], 2
	s_add_u32 s3, s6, s12
	s_addc_u32 s6, s16, s13
	v_or_b32_e32 v71, s33, v75
	s_add_u32 s8, s14, s8
	v_mul_lo_u32 v76, s7, v71
	v_mov_b32_e32 v77, 0
	s_addc_u32 s9, s15, s9
	v_lshlrev_b64 v[76:77], 2, v[76:77]
	s_add_u32 s8, s8, s12
	v_mov_b32_e32 v71, s6
	v_add_co_u32_e32 v78, vcc, s3, v76
	s_addc_u32 s9, s9, s13
	v_addc_co_u32_e32 v79, vcc, v71, v77, vcc
	v_mov_b32_e32 v71, s9
	v_add_co_u32_e32 v76, vcc, s8, v76
	v_addc_co_u32_e32 v77, vcc, v71, v77, vcc
	global_store_dword v[76:77], v72, off
	global_store_dword v[78:79], v73, off
.LBB153_21:
	s_or_b64 exec, exec, s[4:5]
	v_lshlrev_b32_e32 v71, 3, v74
	s_and_saveexec_b64 s[4:5], s[0:1]
	s_xor_b64 s[0:1], exec, s[4:5]
	s_cbranch_execz .LBB153_23
; %bb.22:
	s_mov_b32 s4, 0
	s_mov_b32 s5, s4
	s_waitcnt vmcnt(14)
	v_mad_u32_u24 v4, v1, 40, v71
	v_pk_mov_b32 v[2:3], s[4:5], s[4:5] op_sel:[0,1]
	ds_write2st64_b64 v4, v[2:3], v[2:3] offset1:5
                                        ; implicit-def: $vgpr69
                                        ; implicit-def: $vgpr67
                                        ; implicit-def: $vgpr15
                                        ; implicit-def: $vgpr3
                                        ; implicit-def: $vgpr7
                                        ; implicit-def: $vgpr11
                                        ; implicit-def: $vgpr19
                                        ; implicit-def: $vgpr23
                                        ; implicit-def: $vgpr31
                                        ; implicit-def: $vgpr39
                                        ; implicit-def: $vgpr27
                                        ; implicit-def: $vgpr35
                                        ; implicit-def: $vgpr43
                                        ; implicit-def: $vgpr47
                                        ; implicit-def: $vgpr55
                                        ; implicit-def: $vgpr63
                                        ; implicit-def: $vgpr51
                                        ; implicit-def: $vgpr59
                                        ; implicit-def: $vgpr70
                                        ; implicit-def: $vgpr72
                                        ; implicit-def: $vgpr73
                                        ; implicit-def: $vgpr71
.LBB153_23:
	s_andn2_saveexec_b64 s[0:1], s[0:1]
	s_cbranch_execz .LBB153_25
; %bb.24:
	v_add_f32_e32 v73, 0x358637bd, v73
	v_div_scale_f32 v74, s[4:5], v73, v73, 1.0
	v_rcp_f32_e32 v75, v74
	v_sub_f32_e32 v70, v70, v72
	v_mul_f32_e32 v70, 0x3fb8aa3b, v70
	v_exp_f32_e32 v70, v70
	v_fma_f32 v72, -v74, v75, 1.0
	v_fmac_f32_e32 v75, v72, v75
	v_div_scale_f32 v72, vcc, 1.0, v73, 1.0
	v_mul_f32_e32 v76, v72, v75
	v_fma_f32 v77, -v74, v76, v72
	v_fmac_f32_e32 v76, v77, v75
	v_fma_f32 v72, -v74, v76, v72
	v_div_fmas_f32 v72, v72, v75, v76
	v_div_fixup_f32 v72, v72, v73, 1.0
	v_mul_f32_e32 v70, v70, v72
	v_pk_mul_f32 v[68:69], v[68:69], v[70:71] op_sel_hi:[1,0]
	v_pk_mul_f32 v[66:67], v[66:67], v[70:71] op_sel_hi:[1,0]
	v_cvt_f16_f32_e32 v66, v66
	v_cvt_f16_f32_e32 v67, v67
	v_cvt_f16_f32_e32 v68, v68
	v_cvt_f16_f32_e32 v69, v69
	v_pack_b32_f16 v66, v66, v67
	v_pack_b32_f16 v67, v68, v69
	s_waitcnt vmcnt(15)
	s_nop 0
	v_mfma_f32_4x4x4f16 a[0:3], v[66:67], v[14:15], 0 cbsz:4
	v_mfma_f32_4x4x4f16 a[0:3], v[66:67], v[16:17], a[0:3] cbsz:4 abid:1
	s_waitcnt vmcnt(14)
	v_mfma_f32_4x4x4f16 a[0:3], v[66:67], v[2:3], a[0:3] cbsz:4 abid:2
	s_waitcnt vmcnt(11)
	v_mfma_f32_4x4x4f16 a[4:7], v[66:67], v[26:27], 0 cbsz:4
	v_mfma_f32_4x4x4f16 a[0:3], v[66:67], v[4:5], a[0:3] cbsz:4 abid:3
	v_mfma_f32_4x4x4f16 a[4:7], v[66:67], v[28:29], a[4:7] cbsz:4 abid:1
	;; [unrolled: 1-line block ×3, first 2 shown]
	s_waitcnt vmcnt(10)
	v_mfma_f32_4x4x4f16 a[4:7], v[66:67], v[34:35], a[4:7] cbsz:4 abid:2
	v_mfma_f32_4x4x4f16 a[0:3], v[66:67], v[8:9], a[0:3] cbsz:4 abid:5
	v_mad_u32_u24 v9, v1, 40, v71
	v_mfma_f32_4x4x4f16 a[4:7], v[66:67], v[36:37], a[4:7] cbsz:4 abid:3
	v_mfma_f32_4x4x4f16 a[0:3], v[66:67], v[10:11], a[0:3] cbsz:4 abid:6
	s_waitcnt vmcnt(9)
	v_mfma_f32_4x4x4f16 a[4:7], v[66:67], v[42:43], a[4:7] cbsz:4 abid:4
	v_mfma_f32_4x4x4f16 a[0:3], v[66:67], v[12:13], a[0:3] cbsz:4 abid:7
	;; [unrolled: 1-line block ×3, first 2 shown]
	s_waitcnt vmcnt(7)
	v_mfma_f32_4x4x4f16 a[0:3], v[66:67], v[18:19], a[0:3] cbsz:4 abid:8
	v_mfma_f32_4x4x4f16 a[4:7], v[66:67], v[46:47], a[4:7] cbsz:4 abid:6
	;; [unrolled: 1-line block ×4, first 2 shown]
	s_waitcnt vmcnt(6)
	v_mfma_f32_4x4x4f16 a[0:3], v[66:67], v[22:23], a[0:3] cbsz:4 abid:10
	s_waitcnt vmcnt(3)
	v_mfma_f32_4x4x4f16 a[4:7], v[66:67], v[54:55], a[4:7] cbsz:4 abid:8
	v_mfma_f32_4x4x4f16 a[0:3], v[66:67], v[24:25], a[0:3] cbsz:4 abid:11
	;; [unrolled: 1-line block ×4, first 2 shown]
	s_waitcnt vmcnt(2)
	v_mfma_f32_4x4x4f16 a[4:7], v[66:67], v[62:63], a[4:7] cbsz:4 abid:10
	v_mfma_f32_4x4x4f16 a[0:3], v[66:67], v[32:33], a[0:3] cbsz:4 abid:13
	;; [unrolled: 1-line block ×5, first 2 shown]
	s_waitcnt vmcnt(1)
	v_mfma_f32_4x4x4f16 a[4:7], v[66:67], v[50:51], a[4:7] cbsz:4 abid:12
	s_nop 2
	v_accvgpr_read_b32 v2, a0
	v_accvgpr_read_b32 v3, a1
	;; [unrolled: 1-line block ×4, first 2 shown]
	v_mfma_f32_4x4x4f16 a[0:3], v[66:67], v[52:53], a[4:7] cbsz:4 abid:13
	v_cvt_f16_f32_e32 v2, v2
	v_cvt_f16_f32_e32 v3, v3
	s_waitcnt vmcnt(0)
	v_mfma_f32_4x4x4f16 a[0:3], v[66:67], v[58:59], a[0:3] cbsz:4 abid:14
	v_pack_b32_f16 v2, v2, v3
	v_mfma_f32_4x4x4f16 a[0:3], v[66:67], v[60:61], a[0:3] cbsz:4 abid:15
	v_cvt_f16_f32_e32 v3, v4
	v_cvt_f16_f32_e32 v4, v5
	v_pack_b32_f16 v3, v3, v4
	s_nop 1
	v_accvgpr_read_b32 v5, a0
	v_accvgpr_read_b32 v6, a1
	;; [unrolled: 1-line block ×4, first 2 shown]
	v_cvt_f16_f32_e32 v5, v5
	v_cvt_f16_f32_e32 v6, v6
	;; [unrolled: 1-line block ×4, first 2 shown]
	v_pack_b32_f16 v4, v5, v6
	v_pack_b32_f16 v5, v7, v8
	ds_write2st64_b64 v9, v[2:3], v[4:5] offset1:5
.LBB153_25:
	s_or_b64 exec, exec, s[0:1]
	v_cmp_gt_u32_e32 vcc, 64, v0
	s_waitcnt lgkmcnt(0)
	s_barrier
	s_and_saveexec_b64 s[0:1], vcc
	s_cbranch_execz .LBB153_27
; %bb.26:
	s_waitcnt vmcnt(13)
	v_mul_u32_u24_e32 v6, 40, v1
	ds_read2_b64 v[2:5], v6 offset1:1
	s_mov_b32 s1, 0
	s_waitcnt lgkmcnt(0)
	v_mov_b32_e32 v3, 0xa00
	s_lshl_b32 s0, s2, 7
	ds_read2_b64 v[6:9], v6 offset0:2 offset1:3
	v_mad_u32_u24 v3, v1, 40, v3
	v_pk_add_f16 v2, v2, 0
	s_lshl_b64 s[2:3], s[0:1], 1
	s_waitcnt lgkmcnt(0)
	v_pk_add_f16 v7, v2, v4
	v_mov_b32_e32 v9, 0xa10
	ds_read2_b64 v[2:5], v3 offset1:1
	s_add_u32 s2, s20, s2
	v_mad_u32_u24 v1, v1, 40, v9
	s_waitcnt vmcnt(12)
	ds_read2_b64 v[10:13], v1 offset1:1
	s_addc_u32 s3, s21, s3
	s_lshl_b32 s0, s10, 7
	s_lshl_b64 s[0:1], s[0:1], 1
	s_add_u32 s0, s2, s0
	v_pk_add_f16 v1, v7, v6
	s_addc_u32 s1, s3, s1
	s_lshl_b32 s2, s7, 7
	v_pk_add_f16 v6, v1, v8
	s_waitcnt lgkmcnt(1)
	v_pk_add_f16 v1, v2, 0
	s_mul_i32 s3, s2, s33
	v_pk_add_f16 v1, v1, v4
	v_or_b32_e32 v2, s3, v0
	v_mov_b32_e32 v3, 0
	s_waitcnt lgkmcnt(0)
	v_pk_add_f16 v1, v1, v10
	v_lshlrev_b64 v[4:5], 1, v[2:3]
	s_add_i32 s3, s3, s2
	v_pk_add_f16 v7, v1, v12
	v_mov_b32_e32 v1, s1
	v_add_co_u32_e32 v4, vcc, s0, v4
	v_or_b32_e32 v2, s3, v0
	v_addc_co_u32_e32 v5, vcc, v1, v5, vcc
	v_lshlrev_b64 v[0:1], 1, v[2:3]
	v_mov_b32_e32 v2, s1
	v_add_co_u32_e32 v0, vcc, s0, v0
	v_addc_co_u32_e32 v1, vcc, v2, v1, vcc
	global_store_short v[4:5], v6, off
	global_store_short_d16_hi v[0:1], v6, off
	global_store_short v[4:5], v7, off offset:128
	global_store_short_d16_hi v[0:1], v7, off offset:128
.LBB153_27:
	s_endpgm
	.section	.rodata,"a",@progbits
	.p2align	6, 0x0
	.amdhsa_kernel _Z38paged_attention_ll4mi_QKV_mfma4_kernelIDF16_DF16_LN4vllm18Fp8KVCacheDataTypeE0EDF16_Li32ELi128ELi256ELb1ELi2EEvPKT_PKT0_S7_ifPKiS9_S9_iPKfiiiPfSC_PS2_PT2_iSB_SB_
		.amdhsa_group_segment_fixed_size 5280
		.amdhsa_private_segment_fixed_size 0
		.amdhsa_kernarg_size 400
		.amdhsa_user_sgpr_count 6
		.amdhsa_user_sgpr_private_segment_buffer 1
		.amdhsa_user_sgpr_dispatch_ptr 0
		.amdhsa_user_sgpr_queue_ptr 0
		.amdhsa_user_sgpr_kernarg_segment_ptr 1
		.amdhsa_user_sgpr_dispatch_id 0
		.amdhsa_user_sgpr_flat_scratch_init 0
		.amdhsa_user_sgpr_kernarg_preload_length 0
		.amdhsa_user_sgpr_kernarg_preload_offset 0
		.amdhsa_user_sgpr_private_segment_size 0
		.amdhsa_uses_dynamic_stack 0
		.amdhsa_system_sgpr_private_segment_wavefront_offset 0
		.amdhsa_system_sgpr_workgroup_id_x 1
		.amdhsa_system_sgpr_workgroup_id_y 1
		.amdhsa_system_sgpr_workgroup_id_z 1
		.amdhsa_system_sgpr_workgroup_info 0
		.amdhsa_system_vgpr_workitem_id 0
		.amdhsa_next_free_vgpr 92
		.amdhsa_next_free_sgpr 38
		.amdhsa_accum_offset 84
		.amdhsa_reserve_vcc 1
		.amdhsa_reserve_flat_scratch 0
		.amdhsa_float_round_mode_32 0
		.amdhsa_float_round_mode_16_64 0
		.amdhsa_float_denorm_mode_32 3
		.amdhsa_float_denorm_mode_16_64 3
		.amdhsa_dx10_clamp 1
		.amdhsa_ieee_mode 1
		.amdhsa_fp16_overflow 0
		.amdhsa_tg_split 0
		.amdhsa_exception_fp_ieee_invalid_op 0
		.amdhsa_exception_fp_denorm_src 0
		.amdhsa_exception_fp_ieee_div_zero 0
		.amdhsa_exception_fp_ieee_overflow 0
		.amdhsa_exception_fp_ieee_underflow 0
		.amdhsa_exception_fp_ieee_inexact 0
		.amdhsa_exception_int_div_zero 0
	.end_amdhsa_kernel
	.section	.text._Z38paged_attention_ll4mi_QKV_mfma4_kernelIDF16_DF16_LN4vllm18Fp8KVCacheDataTypeE0EDF16_Li32ELi128ELi256ELb1ELi2EEvPKT_PKT0_S7_ifPKiS9_S9_iPKfiiiPfSC_PS2_PT2_iSB_SB_,"axG",@progbits,_Z38paged_attention_ll4mi_QKV_mfma4_kernelIDF16_DF16_LN4vllm18Fp8KVCacheDataTypeE0EDF16_Li32ELi128ELi256ELb1ELi2EEvPKT_PKT0_S7_ifPKiS9_S9_iPKfiiiPfSC_PS2_PT2_iSB_SB_,comdat
.Lfunc_end153:
	.size	_Z38paged_attention_ll4mi_QKV_mfma4_kernelIDF16_DF16_LN4vllm18Fp8KVCacheDataTypeE0EDF16_Li32ELi128ELi256ELb1ELi2EEvPKT_PKT0_S7_ifPKiS9_S9_iPKfiiiPfSC_PS2_PT2_iSB_SB_, .Lfunc_end153-_Z38paged_attention_ll4mi_QKV_mfma4_kernelIDF16_DF16_LN4vllm18Fp8KVCacheDataTypeE0EDF16_Li32ELi128ELi256ELb1ELi2EEvPKT_PKT0_S7_ifPKiS9_S9_iPKfiiiPfSC_PS2_PT2_iSB_SB_
                                        ; -- End function
	.section	.AMDGPU.csdata,"",@progbits
; Kernel info:
; codeLenInByte = 3948
; NumSgprs: 42
; NumVgprs: 83
; NumAgprs: 8
; TotalNumVgprs: 92
; ScratchSize: 0
; MemoryBound: 0
; FloatMode: 240
; IeeeMode: 1
; LDSByteSize: 5280 bytes/workgroup (compile time only)
; SGPRBlocks: 5
; VGPRBlocks: 11
; NumSGPRsForWavesPerEU: 42
; NumVGPRsForWavesPerEU: 92
; AccumOffset: 84
; Occupancy: 5
; WaveLimiterHint : 1
; COMPUTE_PGM_RSRC2:SCRATCH_EN: 0
; COMPUTE_PGM_RSRC2:USER_SGPR: 6
; COMPUTE_PGM_RSRC2:TRAP_HANDLER: 0
; COMPUTE_PGM_RSRC2:TGID_X_EN: 1
; COMPUTE_PGM_RSRC2:TGID_Y_EN: 1
; COMPUTE_PGM_RSRC2:TGID_Z_EN: 1
; COMPUTE_PGM_RSRC2:TIDIG_COMP_CNT: 0
; COMPUTE_PGM_RSRC3_GFX90A:ACCUM_OFFSET: 20
; COMPUTE_PGM_RSRC3_GFX90A:TG_SPLIT: 0
	.section	.text._Z38paged_attention_ll4mi_QKV_mfma4_kernelIDF16_DF16_LN4vllm18Fp8KVCacheDataTypeE0EDF16_Li32ELi128ELi256ELb1ELi3EEvPKT_PKT0_S7_ifPKiS9_S9_iPKfiiiPfSC_PS2_PT2_iSB_SB_,"axG",@progbits,_Z38paged_attention_ll4mi_QKV_mfma4_kernelIDF16_DF16_LN4vllm18Fp8KVCacheDataTypeE0EDF16_Li32ELi128ELi256ELb1ELi3EEvPKT_PKT0_S7_ifPKiS9_S9_iPKfiiiPfSC_PS2_PT2_iSB_SB_,comdat
	.protected	_Z38paged_attention_ll4mi_QKV_mfma4_kernelIDF16_DF16_LN4vllm18Fp8KVCacheDataTypeE0EDF16_Li32ELi128ELi256ELb1ELi3EEvPKT_PKT0_S7_ifPKiS9_S9_iPKfiiiPfSC_PS2_PT2_iSB_SB_ ; -- Begin function _Z38paged_attention_ll4mi_QKV_mfma4_kernelIDF16_DF16_LN4vllm18Fp8KVCacheDataTypeE0EDF16_Li32ELi128ELi256ELb1ELi3EEvPKT_PKT0_S7_ifPKiS9_S9_iPKfiiiPfSC_PS2_PT2_iSB_SB_
	.globl	_Z38paged_attention_ll4mi_QKV_mfma4_kernelIDF16_DF16_LN4vllm18Fp8KVCacheDataTypeE0EDF16_Li32ELi128ELi256ELb1ELi3EEvPKT_PKT0_S7_ifPKiS9_S9_iPKfiiiPfSC_PS2_PT2_iSB_SB_
	.p2align	8
	.type	_Z38paged_attention_ll4mi_QKV_mfma4_kernelIDF16_DF16_LN4vllm18Fp8KVCacheDataTypeE0EDF16_Li32ELi128ELi256ELb1ELi3EEvPKT_PKT0_S7_ifPKiS9_S9_iPKfiiiPfSC_PS2_PT2_iSB_SB_,@function
_Z38paged_attention_ll4mi_QKV_mfma4_kernelIDF16_DF16_LN4vllm18Fp8KVCacheDataTypeE0EDF16_Li32ELi128ELi256ELb1ELi3EEvPKT_PKT0_S7_ifPKiS9_S9_iPKfiiiPfSC_PS2_PT2_iSB_SB_: ; @_Z38paged_attention_ll4mi_QKV_mfma4_kernelIDF16_DF16_LN4vllm18Fp8KVCacheDataTypeE0EDF16_Li32ELi128ELi256ELb1ELi3EEvPKT_PKT0_S7_ifPKiS9_S9_iPKfiiiPfSC_PS2_PT2_iSB_SB_
; %bb.0:
	s_load_dwordx2 s[2:3], s[4:5], 0x30
	s_mov_b32 s10, s7
	s_mov_b64 s[0:1], 0
	s_waitcnt lgkmcnt(0)
	s_cmp_lg_u64 s[2:3], 0
	s_cselect_b64 s[16:17], -1, 0
	s_and_b64 vcc, exec, s[16:17]
	s_cbranch_vccz .LBB154_10
; %bb.1:
	s_add_i32 s12, s6, 1
	s_mov_b32 s13, 0
	s_lshl_b64 s[14:15], s[12:13], 2
	s_add_u32 s14, s2, s14
	s_mov_b32 s7, s13
	s_addc_u32 s15, s3, s15
	s_lshl_b64 s[12:13], s[6:7], 2
	s_add_u32 s12, s2, s12
	s_addc_u32 s13, s3, s13
	s_load_dword s9, s[14:15], 0x0
	s_load_dword s11, s[12:13], 0x0
	s_waitcnt lgkmcnt(0)
	s_sub_i32 s9, s9, s11
	s_cmp_eq_u32 s9, 1
	s_cselect_b64 s[12:13], -1, 0
	s_andn2_b64 vcc, exec, s[0:1]
	s_cbranch_vccnz .LBB154_3
.LBB154_2:
	s_mov_b32 s7, 0
	s_mov_b64 s[12:13], -1
.LBB154_3:
	s_andn2_b64 vcc, exec, s[12:13]
	s_cbranch_vccnz .LBB154_27
; %bb.4:
	s_load_dword s9, s[4:5], 0x9c
	s_load_dwordx2 s[0:1], s[4:5], 0x28
	s_add_u32 s22, s4, 0x90
	s_addc_u32 s23, s5, 0
	s_lshl_b64 s[18:19], s[6:7], 2
	s_waitcnt lgkmcnt(0)
	s_and_b32 s9, s9, 0xffff
	s_add_u32 s0, s0, s18
	s_addc_u32 s1, s1, s19
	s_load_dword s11, s[0:1], 0x0
	s_mul_i32 s9, s10, s9
	s_waitcnt lgkmcnt(0)
	s_cmp_ge_i32 s9, s11
	s_cbranch_scc1 .LBB154_27
; %bb.5:
	v_and_b32_e32 v1, 0xc0, v0
	v_add_u32_e32 v2, s9, v1
	v_lshrrev_b32_e32 v82, 6, v0
	v_cmp_le_i32_e64 s[0:1], s11, v2
                                        ; implicit-def: $sgpr27
                                        ; implicit-def: $sgpr26
	s_and_saveexec_b64 s[12:13], s[0:1]
	s_xor_b64 s[12:13], exec, s[12:13]
	s_cbranch_execz .LBB154_7
; %bb.6:
	v_mul_u32_u24_e32 v1, 20, v82
	v_or_b32_e32 v1, 0x1400, v1
	v_mov_b32_e32 v2, 0x1450
	v_mov_b32_e32 v3, 0xff7fffff
	v_mad_u32_u24 v2, v82, 20, v2
	ds_write2_b32 v1, v3, v3 offset1:1
	v_mov_b32_e32 v1, 0
	ds_write2_b32 v2, v1, v1 offset1:1
	v_mov_b32_e32 v2, 0x1408
	s_mov_b32 s26, 0xff7fffff
	s_mov_b32 s27, 0
	v_mad_u32_u24 v2, v82, 20, v2
	v_mov_b32_e32 v4, 0x1458
	v_mad_u32_u24 v4, v82, 20, v4
	ds_write2_b32 v2, v3, v3 offset1:1
	ds_write2_b32 v4, v1, v1 offset1:1
                                        ; implicit-def: $vgpr2
.LBB154_7:
	s_or_saveexec_b64 s[24:25], s[12:13]
	s_load_dwordx2 s[20:21], s[4:5], 0x68
	s_load_dwordx4 s[12:15], s[4:5], 0x58
	s_load_dword s7, s[22:23], 0x4
	v_and_b32_e32 v1, 63, v0
	v_and_b32_e32 v83, 3, v0
	s_mul_i32 s33, s8, 3
	v_mov_b32_e32 v69, s27
	v_mov_b32_e32 v70, s26
	;; [unrolled: 1-line block ×5, first 2 shown]
                                        ; implicit-def: $vgpr15
                                        ; implicit-def: $vgpr3
                                        ; implicit-def: $vgpr7
                                        ; implicit-def: $vgpr11
                                        ; implicit-def: $vgpr19
                                        ; implicit-def: $vgpr23
                                        ; implicit-def: $vgpr31
                                        ; implicit-def: $vgpr39
                                        ; implicit-def: $vgpr27
                                        ; implicit-def: $vgpr35
                                        ; implicit-def: $vgpr43
                                        ; implicit-def: $vgpr47
                                        ; implicit-def: $vgpr51
                                        ; implicit-def: $vgpr55
                                        ; implicit-def: $vgpr59
                                        ; implicit-def: $vgpr63
	s_xor_b64 exec, exec, s[24:25]
	s_cbranch_execz .LBB154_19
; %bb.8:
	s_add_i32 s29, s11, 31
	s_load_dwordx2 s[26:27], s[4:5], 0x20
	s_load_dword s28, s[4:5], 0x38
	s_ashr_i32 s30, s29, 31
	s_lshr_b32 s30, s30, 27
	v_add_u32_e32 v84, s9, v0
	s_add_i32 s29, s29, s30
	v_ashrrev_i32_e32 v3, 31, v84
	s_ashr_i32 s29, s29, 5
	v_lshrrev_b32_e32 v3, 27, v3
	s_add_i32 s30, s29, -1
	v_add_u32_e32 v3, v84, v3
	s_waitcnt lgkmcnt(0)
	s_mul_i32 s28, s6, s28
	s_mov_b32 s29, 0
	v_ashrrev_i32_e32 v3, 5, v3
	v_mov_b32_e32 v4, s30
	v_cmp_gt_i32_e32 vcc, s11, v84
	s_lshl_b64 s[28:29], s[28:29], 2
	v_cndmask_b32_e32 v4, v4, v3, vcc
	s_add_u32 s26, s26, s28
	v_ashrrev_i32_e32 v5, 31, v4
	s_addc_u32 s27, s27, s29
	v_lshlrev_b64 v[4:5], 2, v[4:5]
	v_mov_b32_e32 v3, s27
	v_add_co_u32_e32 v4, vcc, s26, v4
	v_addc_co_u32_e32 v5, vcc, v3, v5, vcc
	v_ashrrev_i32_e32 v3, 31, v2
	v_lshrrev_b32_e32 v3, 27, v3
	v_add_u32_e32 v2, v2, v3
	v_ashrrev_i32_e32 v8, 5, v2
	v_min_i32_e32 v2, s30, v8
	v_ashrrev_i32_e32 v3, 31, v2
	v_lshlrev_b64 v[2:3], 2, v[2:3]
	v_add_co_u32_e32 v6, vcc, s26, v2
	v_add_u32_e32 v2, 1, v8
	v_mov_b32_e32 v7, s27
	v_min_i32_e32 v2, s30, v2
	v_addc_co_u32_e32 v7, vcc, v7, v3, vcc
	v_ashrrev_i32_e32 v3, 31, v2
	v_lshlrev_b64 v[2:3], 2, v[2:3]
	v_mov_b32_e32 v9, s27
	v_add_co_u32_e32 v8, vcc, s26, v2
	v_addc_co_u32_e32 v9, vcc, v9, v3, vcc
	global_load_dword v3, v[4:5], off
	global_load_dword v2, v[6:7], off
	;; [unrolled: 1-line block ×3, first 2 shown]
	s_load_dwordx2 s[28:29], s[4:5], 0x8
	s_andn2_b64 vcc, exec, s[16:17]
	s_cbranch_vccnz .LBB154_11
; %bb.9:
	s_add_u32 s2, s2, s18
	s_addc_u32 s3, s3, s19
	s_load_dword s2, s[2:3], 0x0
	s_branch .LBB154_12
.LBB154_10:
	s_mov_b64 s[12:13], 0
	s_branch .LBB154_2
.LBB154_11:
	s_mov_b32 s2, s6
.LBB154_12:
	s_load_dwordx2 s[26:27], s[4:5], 0x10
	s_load_dwordx4 s[16:19], s[4:5], 0x48
	v_cmp_ne_u32_e32 vcc, 3, v83
	s_mov_b32 s3, 0
	v_mov_b32_e32 v80, 0
	v_mov_b32_e32 v56, 0
	;; [unrolled: 1-line block ×5, first 2 shown]
	s_and_saveexec_b64 s[30:31], vcc
	s_cbranch_execz .LBB154_14
; %bb.13:
	s_load_dwordx2 s[34:35], s[4:5], 0x0
	s_waitcnt lgkmcnt(0)
	s_ashr_i32 s9, s16, 31
	s_mul_hi_u32 s19, s2, s16
	s_mul_i32 s9, s2, s9
	s_add_i32 s37, s19, s9
	s_mul_i32 s36, s2, s16
	s_lshl_b64 s[36:37], s[36:37], 1
	s_add_u32 s9, s34, s36
	s_mul_i32 s2, s8, 0x180
	s_addc_u32 s16, s35, s37
	s_lshl_b64 s[34:35], s[2:3], 1
	v_lshlrev_b32_e32 v4, 2, v1
	s_add_u32 s34, s9, s34
	v_and_b32_e32 v4, 0xf0, v4
	s_addc_u32 s35, s16, s35
	v_lshl_or_b32 v4, v83, 8, v4
	global_load_dwordx4 v[56:59], v4, s[34:35]
.LBB154_14:
	s_or_b64 exec, exec, s[30:31]
	s_waitcnt lgkmcnt(0)
	s_mul_i32 s2, s8, s18
	s_lshl_b64 s[8:9], s[2:3], 1
	s_waitcnt vmcnt(2)
	v_mad_i64_i32 v[4:5], s[30:31], v3, s17, 0
	s_add_u32 s2, s8, s28
	v_lshlrev_b64 v[4:5], 1, v[4:5]
	s_addc_u32 s3, s9, s29
	v_mov_b32_e32 v3, s3
	v_add_co_u32_e64 v36, s[2:3], s2, v4
	v_and_b32_e32 v4, 31, v0
	v_addc_co_u32_e64 v3, s[2:3], v3, v5, s[2:3]
	v_lshlrev_b32_e32 v37, 4, v4
	v_add_co_u32_e64 v16, s[2:3], v36, v37
	v_addc_co_u32_e64 v17, s[2:3], 0, v3, s[2:3]
	global_load_dwordx4 v[76:79], v[16:17], off
	global_load_dwordx4 v[46:49], v[16:17], off offset:512
	global_load_dwordx4 v[42:45], v[16:17], off offset:1024
	;; [unrolled: 1-line block ×7, first 2 shown]
	v_or_b32_e32 v16, 0x1000, v37
	v_add_co_u32_e64 v16, s[2:3], v36, v16
	v_addc_co_u32_e64 v17, s[2:3], 0, v3, s[2:3]
	v_or_b32_e32 v22, 0x1200, v37
	v_add_co_u32_e64 v26, s[2:3], v36, v22
	v_addc_co_u32_e64 v27, s[2:3], 0, v3, s[2:3]
	global_load_dwordx4 v[28:31], v[16:17], off
	global_load_dwordx4 v[22:25], v[26:27], off
	v_or_b32_e32 v16, 0x1400, v37
	v_add_co_u32_e64 v16, s[2:3], v36, v16
	v_addc_co_u32_e64 v17, s[2:3], 0, v3, s[2:3]
	v_or_b32_e32 v26, 0x1600, v37
	v_add_co_u32_e64 v26, s[2:3], v36, v26
	v_addc_co_u32_e64 v27, s[2:3], 0, v3, s[2:3]
	global_load_dwordx4 v[50:53], v[16:17], off
	global_load_dwordx4 v[38:41], v[26:27], off
	;; [unrolled: 8-line block ×3, first 2 shown]
	v_or_b32_e32 v16, 0x1c00, v37
	v_add_co_u32_e64 v16, s[2:3], v36, v16
	v_mov_b32_e32 v26, 0x1e00
	v_addc_co_u32_e64 v17, s[2:3], 0, v3, s[2:3]
	v_lshl_or_b32 v26, v0, 4, v26
	v_add_co_u32_e64 v26, s[2:3], v36, v26
	v_addc_co_u32_e64 v27, s[2:3], 0, v3, s[2:3]
	global_load_dwordx4 v[72:75], v[16:17], off
	global_load_dwordx4 v[68:71], v[26:27], off
	v_mov_b32_e32 v81, 1.0
	s_and_saveexec_b64 s[2:3], vcc
	s_cbranch_execz .LBB154_16
; %bb.15:
	s_load_dwordx2 s[18:19], s[4:5], 0x40
	v_add_u32_e32 v80, s33, v83
	v_mov_b32_e32 v81, 0
	v_lshlrev_b64 v[16:17], 2, v[80:81]
	s_waitcnt lgkmcnt(0)
	v_mov_b32_e32 v3, s19
	v_add_co_u32_e32 v16, vcc, s18, v16
	v_addc_co_u32_e32 v17, vcc, v3, v17, vcc
	global_load_dword v80, v[16:17], off
.LBB154_16:
	s_or_b64 exec, exec, s[2:3]
	s_waitcnt vmcnt(15)
	v_mfma_f32_4x4x4f16 a[0:3], v[56:57], v[76:77], 0 cbsz:4
	v_mul_hi_i32 v3, v2, s17
	v_mfma_f32_4x4x4f16 a[0:3], v[58:59], v[78:79], a[0:3] cbsz:4
	v_ashrrev_i32_e32 v3, 31, v3
	s_waitcnt vmcnt(14)
	v_mfma_f32_4x4x4f16 a[0:3], v[56:57], v[46:47], a[0:3] cbsz:4 abid:1
	v_lshrrev_b32_e32 v76, 29, v3
	v_mfma_f32_4x4x4f16 a[0:3], v[58:59], v[48:49], a[0:3] cbsz:4 abid:1
	v_mov_b32_e32 v77, 0
	s_waitcnt vmcnt(13)
	v_mfma_f32_4x4x4f16 a[0:3], v[56:57], v[42:43], a[0:3] cbsz:4 abid:2
	s_load_dword s2, s[4:5], 0x1c
	v_mfma_f32_4x4x4f16 a[0:3], v[58:59], v[44:45], a[0:3] cbsz:4 abid:2
	v_mad_i64_i32 v[2:3], s[4:5], v2, s17, v[76:77]
	s_waitcnt vmcnt(12)
	v_mfma_f32_4x4x4f16 a[0:3], v[56:57], v[32:33], a[0:3] cbsz:4 abid:3
	s_add_u32 s3, s26, s8
	v_mfma_f32_4x4x4f16 a[0:3], v[58:59], v[34:35], a[0:3] cbsz:4 abid:3
	v_lshlrev_b64 v[2:3], 1, v[2:3]
	s_waitcnt vmcnt(11)
	v_mfma_f32_4x4x4f16 a[0:3], v[56:57], v[12:13], a[0:3] cbsz:4 abid:4
	s_addc_u32 s8, s27, s9
	v_mfma_f32_4x4x4f16 a[0:3], v[58:59], v[14:15], a[0:3] cbsz:4 abid:4
	v_and_b32_e32 v2, -16, v2
	s_waitcnt vmcnt(10)
	v_mfma_f32_4x4x4f16 a[0:3], v[56:57], v[8:9], a[0:3] cbsz:4 abid:5
	v_mov_b32_e32 v12, s8
	v_mfma_f32_4x4x4f16 a[0:3], v[58:59], v[10:11], a[0:3] cbsz:4 abid:5
	v_add_co_u32_e32 v32, vcc, s3, v2
	s_waitcnt vmcnt(9)
	v_mfma_f32_4x4x4f16 a[0:3], v[56:57], v[4:5], a[0:3] cbsz:4 abid:6
	v_addc_co_u32_e32 v33, vcc, v12, v3, vcc
	v_mfma_f32_4x4x4f16 a[0:3], v[58:59], v[6:7], a[0:3] cbsz:4 abid:6
	v_lshlrev_b32_e32 v55, 6, v1
	s_waitcnt vmcnt(8)
	v_mfma_f32_4x4x4f16 a[0:3], v[56:57], v[18:19], a[0:3] cbsz:4 abid:7
	v_add_co_u32_e32 v26, vcc, v32, v55
	v_mfma_f32_4x4x4f16 a[0:3], v[58:59], v[20:21], a[0:3] cbsz:4 abid:7
	v_addc_co_u32_e32 v27, vcc, 0, v33, vcc
	s_waitcnt vmcnt(7)
	v_mfma_f32_4x4x4f16 a[0:3], v[56:57], v[28:29], a[0:3] cbsz:4 abid:8
	v_or_b32_e32 v78, 0x1000, v55
	v_mfma_f32_4x4x4f16 a[0:3], v[58:59], v[30:31], a[0:3] cbsz:4 abid:8
	v_add_co_u32_e32 v18, vcc, v32, v78
	s_waitcnt vmcnt(6)
	v_mfma_f32_4x4x4f16 a[0:3], v[56:57], v[22:23], a[0:3] cbsz:4 abid:9
	v_addc_co_u32_e32 v19, vcc, 0, v33, vcc
	v_mfma_f32_4x4x4f16 a[0:3], v[58:59], v[24:25], a[0:3] cbsz:4 abid:9
	global_load_dwordx4 v[14:17], v[26:27], off
	global_load_dwordx4 v[2:5], v[26:27], off offset:16
	s_waitcnt vmcnt(7)
	v_mfma_f32_4x4x4f16 a[0:3], v[56:57], v[50:51], a[0:3] cbsz:4 abid:10
	global_load_dwordx4 v[6:9], v[26:27], off offset:32
	global_load_dwordx4 v[10:13], v[26:27], off offset:48
	v_mfma_f32_4x4x4f16 a[0:3], v[58:59], v[52:53], a[0:3] cbsz:4 abid:10
	global_load_dwordx4 v[26:29], v[18:19], off
	global_load_dwordx4 v[34:37], v[18:19], off offset:16
	s_waitcnt vmcnt(10)
	v_mfma_f32_4x4x4f16 a[0:3], v[56:57], v[38:39], a[0:3] cbsz:4 abid:11
	global_load_dwordx4 v[42:45], v[18:19], off offset:32
	global_load_dwordx4 v[46:49], v[18:19], off offset:48
	v_mfma_f32_4x4x4f16 a[0:3], v[58:59], v[40:41], a[0:3] cbsz:4 abid:11
	v_mul_hi_i32 v18, v54, s17
	s_waitcnt vmcnt(11)
	v_mfma_f32_4x4x4f16 a[0:3], v[56:57], v[64:65], a[0:3] cbsz:4 abid:12
	v_ashrrev_i32_e32 v18, 31, v18
	v_mfma_f32_4x4x4f16 a[0:3], v[58:59], v[66:67], a[0:3] cbsz:4 abid:12
	v_lshrrev_b32_e32 v76, 29, v18
	s_waitcnt vmcnt(10)
	v_mfma_f32_4x4x4f16 a[0:3], v[56:57], v[60:61], a[0:3] cbsz:4 abid:13
	v_mad_i64_i32 v[18:19], s[4:5], v54, s17, v[76:77]
	v_mfma_f32_4x4x4f16 a[0:3], v[58:59], v[62:63], a[0:3] cbsz:4 abid:13
	v_lshlrev_b64 v[18:19], 1, v[18:19]
	s_waitcnt vmcnt(9)
	v_mfma_f32_4x4x4f16 a[0:3], v[56:57], v[72:73], a[0:3] cbsz:4 abid:14
	v_and_b32_e32 v18, -16, v18
	v_mfma_f32_4x4x4f16 a[0:3], v[58:59], v[74:75], a[0:3] cbsz:4 abid:14
	v_mov_b32_e32 v20, s8
	s_waitcnt vmcnt(8)
	v_mfma_f32_4x4x4f16 a[0:3], v[56:57], v[68:69], a[0:3] cbsz:4 abid:15
	v_add_co_u32_e32 v52, vcc, s3, v18
	v_mfma_f32_4x4x4f16 a[0:3], v[58:59], v[70:71], a[0:3] cbsz:4 abid:15
	v_addc_co_u32_e32 v53, vcc, v20, v19, vcc
	v_add_co_u32_e32 v50, vcc, v52, v55
	v_addc_co_u32_e32 v51, vcc, 0, v53, vcc
	s_nop 1
	v_accvgpr_read_b32 v61, a1
	v_accvgpr_read_b32 v60, a0
	s_waitcnt lgkmcnt(0)
	v_pk_mul_f32 v[60:61], s[2:3], v[60:61] op_sel_hi:[0,1]
	v_add_co_u32_e32 v66, vcc, v52, v78
	v_addc_co_u32_e32 v67, vcc, 0, v53, vcc
	v_accvgpr_read_b32 v59, a3
	v_accvgpr_read_b32 v58, a2
	v_cmp_eq_u32_e32 vcc, 0, v83
	v_pk_mul_f32 v[68:69], s[2:3], v[58:59] op_sel_hi:[0,1]
	v_cndmask_b32_e64 v58, 0, 1.0, vcc
	v_cmp_eq_u32_e32 vcc, 1, v83
	global_load_dwordx4 v[18:21], v[50:51], off
	global_load_dwordx4 v[22:25], v[50:51], off offset:16
	v_mfma_f32_4x4x1f32 a[0:3], v60, v58, 0
	v_cndmask_b32_e64 v58, 0, 1.0, vcc
	v_cmp_eq_u32_e32 vcc, 2, v83
	global_load_dwordx4 v[30:33], v[50:51], off offset:32
	global_load_dwordx4 v[38:41], v[50:51], off offset:48
	v_mfma_f32_4x4x1f32 a[0:3], v61, v58, a[0:3]
	v_cndmask_b32_e64 v58, 0, 1.0, vcc
	global_load_dwordx4 v[50:53], v[66:67], off
	global_load_dwordx4 v[54:57], v[66:67], off offset:16
	v_mfma_f32_4x4x1f32 a[0:3], v68, v58, a[0:3]
	global_load_dwordx4 v[58:61], v[66:67], off offset:32
	global_load_dwordx4 v[62:65], v[66:67], off offset:48
	v_and_b32_e32 v66, -4, v84
	v_subrev_u32_e32 v67, s11, v66
	v_add_u32_e32 v68, 1, v67
	v_mfma_f32_4x4x1f32 a[0:3], v69, v81, a[0:3]
	v_cvt_f32_i32_e32 v68, v68
	v_add_u32_e32 v69, 2, v67
	v_cvt_f32_i32_e32 v69, v69
	v_mov_b32_e32 v73, 0xff7fffff
	v_cmp_gt_i32_e32 vcc, s11, v66
	v_accvgpr_read_b32 v70, a0
	v_fma_f32 v68, v80, v68, v70
	v_accvgpr_read_b32 v70, a1
	v_fma_f32 v69, v80, v69, v70
	v_add_u32_e32 v70, 3, v67
	v_cvt_f32_i32_e32 v70, v70
	v_accvgpr_read_b32 v71, a2
	v_add_u32_e32 v67, 4, v67
	v_cvt_f32_i32_e32 v67, v67
	v_fma_f32 v71, v80, v70, v71
	v_max_f32_e32 v70, 0xff7fffff, v68
	v_cndmask_b32_e32 v70, v73, v70, vcc
	v_or_b32_e32 v73, 1, v66
	v_max_f32_e32 v74, v70, v69
	v_cmp_gt_i32_e64 s[2:3], s11, v73
	v_cndmask_b32_e64 v70, v70, v74, s[2:3]
	v_or_b32_e32 v66, 2, v66
	v_accvgpr_read_b32 v72, a3
	v_max_f32_e32 v73, v70, v71
	v_cmp_gt_i32_e64 s[4:5], s11, v66
	v_fmac_f32_e32 v72, v80, v67
	v_cndmask_b32_e64 v66, v70, v73, s[4:5]
	v_or_b32_e32 v70, 3, v84
	v_max_f32_e32 v73, v66, v72
	v_cmp_gt_i32_e64 s[8:9], s11, v70
	v_lshlrev_b32_e32 v67, 2, v0
	v_cndmask_b32_e64 v66, v66, v73, s[8:9]
	v_and_or_b32 v67, v67, 48, v83
	;;#ASMSTART
	v_nop
 v_nop
 v_max_f32_dpp v66, v66, v66 row_ror:4
	;;#ASMEND
	v_lshlrev_b32_e32 v73, 2, v67
	;;#ASMSTART
	v_nop
 v_nop
 v_max_f32_dpp v66, v66, v66 row_ror:8
	;;#ASMEND
	ds_bpermute_b32 v66, v73, v66
	s_waitcnt lgkmcnt(0)
	;;#ASMSTART
	v_nop
 v_nop
 v_max_f32_dpp v66, v66, v66 row_ror:4
	;;#ASMEND
	;;#ASMSTART
	v_nop
 v_nop
 v_max_f32_dpp v70, v66, v66 row_ror:8
	;;#ASMEND
	v_sub_f32_e32 v66, v68, v70
	v_mul_f32_e32 v66, 0x3fb8aa3b, v66
	v_sub_f32_e32 v67, v69, v70
	v_exp_f32_e32 v66, v66
	v_mul_f32_e32 v67, 0x3fb8aa3b, v67
	v_sub_f32_e32 v69, v71, v70
	v_exp_f32_e32 v67, v67
	;; [unrolled: 3-line block ×3, first 2 shown]
	v_mul_f32_e32 v71, 0x3fb8aa3b, v71
	v_exp_f32_e32 v71, v71
	v_cndmask_b32_e32 v66, 0, v66, vcc
	v_add_f32_e32 v68, 0, v66
	v_cndmask_b32_e64 v67, 0, v67, s[2:3]
	v_add_f32_e32 v72, v68, v67
	v_cndmask_b32_e64 v68, 0, v69, s[4:5]
	;; [unrolled: 2-line block ×3, first 2 shown]
	v_add_f32_e32 v71, v72, v69
	;;#ASMSTART
	v_nop
 v_nop
 v_add_f32_dpp v71, v71, v71 row_ror:4
	;;#ASMEND
	;;#ASMSTART
	v_nop
 v_nop
 v_add_f32_dpp v71, v71, v71 row_ror:8
	;;#ASMEND
	ds_bpermute_b32 v71, v73, v71
	s_waitcnt lgkmcnt(0)
	;;#ASMSTART
	v_nop
 v_nop
 v_add_f32_dpp v71, v71, v71 row_ror:4
	;;#ASMEND
	v_cmp_gt_u32_e32 vcc, 4, v1
	;;#ASMSTART
	v_nop
 v_nop
 v_add_f32_dpp v71, v71, v71 row_ror:8
	;;#ASMEND
	s_and_saveexec_b64 s[2:3], vcc
	s_cbranch_execz .LBB154_18
; %bb.17:
	v_mul_u32_u24_e32 v72, 20, v82
	v_lshl_add_u32 v72, v83, 2, v72
	v_add_u32_e32 v72, 0x1400, v72
	ds_write2_b32 v72, v70, v71 offset1:20
.LBB154_18:
	s_or_b64 exec, exec, s[2:3]
.LBB154_19:
	s_or_b64 exec, exec, s[24:25]
	s_waitcnt lgkmcnt(0)
	s_barrier
	s_load_dword s2, s[22:23], 0x8
	v_lshlrev_b32_e32 v71, 2, v83
	v_add_u32_e32 v71, 0x1400, v71
	ds_read2_b32 v[74:75], v71 offset1:5
	ds_read2_b32 v[76:77], v71 offset0:10 offset1:15
	s_mul_i32 s3, s6, s7
	s_waitcnt lgkmcnt(0)
	s_mul_i32 s2, s3, s2
	s_mov_b32 s3, 0xff7fffff
	v_max3_f32 v72, v74, s3, v75
	v_max3_f32 v72, v72, v76, v77
	v_sub_f32_e32 v73, v74, v72
	v_sub_f32_e32 v74, v75, v72
	ds_read2_b32 v[78:79], v71 offset0:20 offset1:25
	v_mul_f32_e32 v73, 0x3fb8aa3b, v73
	v_mul_f32_e32 v74, 0x3fb8aa3b, v74
	v_exp_f32_e32 v73, v73
	v_exp_f32_e32 v80, v74
	ds_read2_b32 v[74:75], v71 offset0:30 offset1:35
	v_sub_f32_e32 v71, v76, v72
	v_mul_f32_e32 v71, 0x3fb8aa3b, v71
	v_sub_f32_e32 v76, v77, v72
	v_exp_f32_e32 v71, v71
	v_mul_f32_e32 v76, 0x3fb8aa3b, v76
	v_exp_f32_e32 v76, v76
	s_waitcnt lgkmcnt(1)
	v_fma_f32 v73, v73, v78, 0
	v_fmac_f32_e32 v73, v80, v79
	s_waitcnt lgkmcnt(0)
	v_fmac_f32_e32 v73, v71, v74
	s_mul_i32 s2, s2, 3
	v_fmac_f32_e32 v73, v76, v75
	v_cmp_ne_u32_e32 vcc, 3, v83
	s_and_saveexec_b64 s[4:5], vcc
	s_cbranch_execz .LBB154_21
; %bb.20:
	s_mov_b32 s3, 0
	s_lshl_b64 s[8:9], s[2:3], 2
	s_add_u32 s6, s12, s8
	s_mov_b32 s11, s3
	s_addc_u32 s16, s13, s9
	s_lshl_b64 s[12:13], s[10:11], 2
	s_add_u32 s3, s6, s12
	s_addc_u32 s6, s16, s13
	v_add_u32_e32 v71, s33, v83
	s_add_u32 s8, s14, s8
	v_mul_lo_u32 v74, s7, v71
	v_mov_b32_e32 v75, 0
	s_addc_u32 s9, s15, s9
	v_lshlrev_b64 v[74:75], 2, v[74:75]
	s_add_u32 s8, s8, s12
	v_mov_b32_e32 v71, s6
	v_add_co_u32_e32 v76, vcc, s3, v74
	s_addc_u32 s9, s9, s13
	v_addc_co_u32_e32 v77, vcc, v71, v75, vcc
	v_mov_b32_e32 v71, s9
	v_add_co_u32_e32 v74, vcc, s8, v74
	v_addc_co_u32_e32 v75, vcc, v71, v75, vcc
	global_store_dword v[74:75], v72, off
	global_store_dword v[76:77], v73, off
.LBB154_21:
	s_or_b64 exec, exec, s[4:5]
	v_lshlrev_b32_e32 v71, 3, v82
	s_and_saveexec_b64 s[4:5], s[0:1]
	s_xor_b64 s[0:1], exec, s[4:5]
	s_cbranch_execz .LBB154_23
; %bb.22:
	s_mov_b32 s4, 0
	s_mov_b32 s5, s4
	s_waitcnt vmcnt(14)
	v_mad_u32_u24 v4, v1, 40, v71
	v_pk_mov_b32 v[2:3], s[4:5], s[4:5] op_sel:[0,1]
	ds_write2st64_b64 v4, v[2:3], v[2:3] offset1:5
                                        ; implicit-def: $vgpr69
                                        ; implicit-def: $vgpr67
                                        ; implicit-def: $vgpr15
                                        ; implicit-def: $vgpr3
                                        ; implicit-def: $vgpr7
                                        ; implicit-def: $vgpr11
                                        ; implicit-def: $vgpr19
                                        ; implicit-def: $vgpr23
                                        ; implicit-def: $vgpr31
                                        ; implicit-def: $vgpr39
                                        ; implicit-def: $vgpr27
                                        ; implicit-def: $vgpr35
                                        ; implicit-def: $vgpr43
                                        ; implicit-def: $vgpr47
                                        ; implicit-def: $vgpr51
                                        ; implicit-def: $vgpr55
                                        ; implicit-def: $vgpr59
                                        ; implicit-def: $vgpr63
                                        ; implicit-def: $vgpr70
                                        ; implicit-def: $vgpr72
                                        ; implicit-def: $vgpr73
                                        ; implicit-def: $vgpr71
.LBB154_23:
	s_andn2_saveexec_b64 s[0:1], s[0:1]
	s_cbranch_execz .LBB154_25
; %bb.24:
	v_add_f32_e32 v73, 0x358637bd, v73
	v_div_scale_f32 v74, s[4:5], v73, v73, 1.0
	v_rcp_f32_e32 v75, v74
	v_sub_f32_e32 v70, v70, v72
	v_mul_f32_e32 v70, 0x3fb8aa3b, v70
	v_exp_f32_e32 v70, v70
	v_fma_f32 v72, -v74, v75, 1.0
	v_fmac_f32_e32 v75, v72, v75
	v_div_scale_f32 v72, vcc, 1.0, v73, 1.0
	v_mul_f32_e32 v76, v72, v75
	v_fma_f32 v77, -v74, v76, v72
	v_fmac_f32_e32 v76, v77, v75
	v_fma_f32 v72, -v74, v76, v72
	v_div_fmas_f32 v72, v72, v75, v76
	v_div_fixup_f32 v72, v72, v73, 1.0
	v_mul_f32_e32 v70, v70, v72
	v_pk_mul_f32 v[68:69], v[68:69], v[70:71] op_sel_hi:[1,0]
	v_pk_mul_f32 v[66:67], v[66:67], v[70:71] op_sel_hi:[1,0]
	v_cvt_f16_f32_e32 v66, v66
	v_cvt_f16_f32_e32 v67, v67
	;; [unrolled: 1-line block ×4, first 2 shown]
	v_pack_b32_f16 v66, v66, v67
	v_pack_b32_f16 v67, v68, v69
	s_waitcnt vmcnt(15)
	s_nop 0
	v_mfma_f32_4x4x4f16 a[0:3], v[66:67], v[14:15], 0 cbsz:4
	v_mfma_f32_4x4x4f16 a[0:3], v[66:67], v[16:17], a[0:3] cbsz:4 abid:1
	s_waitcnt vmcnt(14)
	v_mfma_f32_4x4x4f16 a[0:3], v[66:67], v[2:3], a[0:3] cbsz:4 abid:2
	s_waitcnt vmcnt(11)
	v_mfma_f32_4x4x4f16 a[4:7], v[66:67], v[26:27], 0 cbsz:4
	v_mfma_f32_4x4x4f16 a[0:3], v[66:67], v[4:5], a[0:3] cbsz:4 abid:3
	v_mfma_f32_4x4x4f16 a[4:7], v[66:67], v[28:29], a[4:7] cbsz:4 abid:1
	;; [unrolled: 1-line block ×3, first 2 shown]
	s_waitcnt vmcnt(10)
	v_mfma_f32_4x4x4f16 a[4:7], v[66:67], v[34:35], a[4:7] cbsz:4 abid:2
	v_mfma_f32_4x4x4f16 a[0:3], v[66:67], v[8:9], a[0:3] cbsz:4 abid:5
	v_mad_u32_u24 v9, v1, 40, v71
	v_mfma_f32_4x4x4f16 a[4:7], v[66:67], v[36:37], a[4:7] cbsz:4 abid:3
	v_mfma_f32_4x4x4f16 a[0:3], v[66:67], v[10:11], a[0:3] cbsz:4 abid:6
	s_waitcnt vmcnt(9)
	v_mfma_f32_4x4x4f16 a[4:7], v[66:67], v[42:43], a[4:7] cbsz:4 abid:4
	v_mfma_f32_4x4x4f16 a[0:3], v[66:67], v[12:13], a[0:3] cbsz:4 abid:7
	;; [unrolled: 1-line block ×3, first 2 shown]
	s_waitcnt vmcnt(7)
	v_mfma_f32_4x4x4f16 a[0:3], v[66:67], v[18:19], a[0:3] cbsz:4 abid:8
	v_mfma_f32_4x4x4f16 a[4:7], v[66:67], v[46:47], a[4:7] cbsz:4 abid:6
	;; [unrolled: 1-line block ×4, first 2 shown]
	s_waitcnt vmcnt(6)
	v_mfma_f32_4x4x4f16 a[0:3], v[66:67], v[22:23], a[0:3] cbsz:4 abid:10
	s_waitcnt vmcnt(3)
	v_mfma_f32_4x4x4f16 a[4:7], v[66:67], v[50:51], a[4:7] cbsz:4 abid:8
	v_mfma_f32_4x4x4f16 a[0:3], v[66:67], v[24:25], a[0:3] cbsz:4 abid:11
	;; [unrolled: 1-line block ×4, first 2 shown]
	s_waitcnt vmcnt(2)
	v_mfma_f32_4x4x4f16 a[4:7], v[66:67], v[54:55], a[4:7] cbsz:4 abid:10
	v_mfma_f32_4x4x4f16 a[0:3], v[66:67], v[32:33], a[0:3] cbsz:4 abid:13
	;; [unrolled: 1-line block ×5, first 2 shown]
	s_waitcnt vmcnt(1)
	v_mfma_f32_4x4x4f16 a[4:7], v[66:67], v[58:59], a[4:7] cbsz:4 abid:12
	s_nop 2
	v_accvgpr_read_b32 v2, a0
	v_accvgpr_read_b32 v3, a1
	;; [unrolled: 1-line block ×4, first 2 shown]
	v_mfma_f32_4x4x4f16 a[0:3], v[66:67], v[60:61], a[4:7] cbsz:4 abid:13
	v_cvt_f16_f32_e32 v2, v2
	v_cvt_f16_f32_e32 v3, v3
	s_waitcnt vmcnt(0)
	v_mfma_f32_4x4x4f16 a[0:3], v[66:67], v[62:63], a[0:3] cbsz:4 abid:14
	v_pack_b32_f16 v2, v2, v3
	v_mfma_f32_4x4x4f16 a[0:3], v[66:67], v[64:65], a[0:3] cbsz:4 abid:15
	v_cvt_f16_f32_e32 v3, v4
	v_cvt_f16_f32_e32 v4, v5
	v_pack_b32_f16 v3, v3, v4
	s_nop 1
	v_accvgpr_read_b32 v5, a0
	v_accvgpr_read_b32 v6, a1
	;; [unrolled: 1-line block ×4, first 2 shown]
	v_cvt_f16_f32_e32 v5, v5
	v_cvt_f16_f32_e32 v6, v6
	;; [unrolled: 1-line block ×4, first 2 shown]
	v_pack_b32_f16 v4, v5, v6
	v_pack_b32_f16 v5, v7, v8
	ds_write2st64_b64 v9, v[2:3], v[4:5] offset1:5
.LBB154_25:
	s_or_b64 exec, exec, s[0:1]
	v_cmp_gt_u32_e32 vcc, 64, v0
	s_waitcnt lgkmcnt(0)
	s_barrier
	s_and_saveexec_b64 s[0:1], vcc
	s_cbranch_execz .LBB154_27
; %bb.26:
	s_waitcnt vmcnt(13)
	v_mul_u32_u24_e32 v6, 40, v1
	ds_read2_b64 v[2:5], v6 offset1:1
	ds_read2_b64 v[6:9], v6 offset0:2 offset1:3
	s_mov_b32 s1, 0
	s_lshl_b32 s0, s2, 7
	s_lshl_b64 s[2:3], s[0:1], 1
	s_waitcnt lgkmcnt(1)
	v_pk_add_f16 v2, v2, 0
	v_pk_add_f16 v2, v2, v4
	;; [unrolled: 1-line block ×3, first 2 shown]
	s_waitcnt lgkmcnt(0)
	v_pk_add_f16 v2, v2, v6
	v_pk_add_f16 v3, v3, v5
	s_waitcnt vmcnt(12)
	v_pk_add_f16 v10, v2, v8
	v_mov_b32_e32 v2, 0xa00
	v_pk_add_f16 v6, v3, v7
	v_mad_u32_u24 v2, v1, 40, v2
	ds_read2_b64 v[2:5], v2 offset1:1
	v_pk_add_f16 v11, v6, v9
	v_mov_b32_e32 v6, 0xa10
	v_mad_u32_u24 v1, v1, 40, v6
	ds_read2_b64 v[6:9], v1 offset1:1
	s_add_u32 s2, s20, s2
	s_addc_u32 s3, s21, s3
	s_lshl_b32 s0, s10, 7
	s_lshl_b64 s[0:1], s[0:1], 1
	s_waitcnt lgkmcnt(1)
	v_pk_add_f16 v1, v2, 0
	v_pk_add_f16 v2, v3, 0
	s_add_u32 s0, s2, s0
	v_pk_add_f16 v2, v2, v5
	s_addc_u32 s1, s3, s1
	s_lshl_b32 s2, s7, 7
	s_waitcnt lgkmcnt(0)
	v_pk_add_f16 v2, v2, v7
	s_mul_i32 s3, s2, s33
	v_pk_add_f16 v1, v1, v4
	v_pk_add_f16 v9, v2, v9
	v_or_b32_e32 v2, s3, v0
	v_mov_b32_e32 v3, 0
	v_pk_add_f16 v1, v1, v6
	v_lshlrev_b64 v[4:5], 1, v[2:3]
	s_add_i32 s3, s3, s2
	v_pk_add_f16 v8, v1, v8
	v_mov_b32_e32 v1, s1
	v_add_co_u32_e32 v4, vcc, s0, v4
	v_or_b32_e32 v2, s3, v0
	v_addc_co_u32_e32 v5, vcc, v1, v5, vcc
	v_lshlrev_b64 v[6:7], 1, v[2:3]
	s_add_i32 s3, s3, s2
	v_add_co_u32_e32 v6, vcc, s0, v6
	v_or_b32_e32 v2, s3, v0
	v_addc_co_u32_e32 v7, vcc, v1, v7, vcc
	v_lshlrev_b64 v[0:1], 1, v[2:3]
	v_mov_b32_e32 v2, s1
	v_add_co_u32_e32 v0, vcc, s0, v0
	v_addc_co_u32_e32 v1, vcc, v2, v1, vcc
	global_store_short v[4:5], v10, off
	global_store_short_d16_hi v[6:7], v10, off
	global_store_short v[0:1], v11, off
	global_store_short v[4:5], v8, off offset:128
	global_store_short_d16_hi v[6:7], v8, off offset:128
	global_store_short v[0:1], v9, off offset:128
.LBB154_27:
	s_endpgm
	.section	.rodata,"a",@progbits
	.p2align	6, 0x0
	.amdhsa_kernel _Z38paged_attention_ll4mi_QKV_mfma4_kernelIDF16_DF16_LN4vllm18Fp8KVCacheDataTypeE0EDF16_Li32ELi128ELi256ELb1ELi3EEvPKT_PKT0_S7_ifPKiS9_S9_iPKfiiiPfSC_PS2_PT2_iSB_SB_
		.amdhsa_group_segment_fixed_size 5280
		.amdhsa_private_segment_fixed_size 0
		.amdhsa_kernarg_size 400
		.amdhsa_user_sgpr_count 6
		.amdhsa_user_sgpr_private_segment_buffer 1
		.amdhsa_user_sgpr_dispatch_ptr 0
		.amdhsa_user_sgpr_queue_ptr 0
		.amdhsa_user_sgpr_kernarg_segment_ptr 1
		.amdhsa_user_sgpr_dispatch_id 0
		.amdhsa_user_sgpr_flat_scratch_init 0
		.amdhsa_user_sgpr_kernarg_preload_length 0
		.amdhsa_user_sgpr_kernarg_preload_offset 0
		.amdhsa_user_sgpr_private_segment_size 0
		.amdhsa_uses_dynamic_stack 0
		.amdhsa_system_sgpr_private_segment_wavefront_offset 0
		.amdhsa_system_sgpr_workgroup_id_x 1
		.amdhsa_system_sgpr_workgroup_id_y 1
		.amdhsa_system_sgpr_workgroup_id_z 1
		.amdhsa_system_sgpr_workgroup_info 0
		.amdhsa_system_vgpr_workitem_id 0
		.amdhsa_next_free_vgpr 96
		.amdhsa_next_free_sgpr 38
		.amdhsa_accum_offset 88
		.amdhsa_reserve_vcc 1
		.amdhsa_reserve_flat_scratch 0
		.amdhsa_float_round_mode_32 0
		.amdhsa_float_round_mode_16_64 0
		.amdhsa_float_denorm_mode_32 3
		.amdhsa_float_denorm_mode_16_64 3
		.amdhsa_dx10_clamp 1
		.amdhsa_ieee_mode 1
		.amdhsa_fp16_overflow 0
		.amdhsa_tg_split 0
		.amdhsa_exception_fp_ieee_invalid_op 0
		.amdhsa_exception_fp_denorm_src 0
		.amdhsa_exception_fp_ieee_div_zero 0
		.amdhsa_exception_fp_ieee_overflow 0
		.amdhsa_exception_fp_ieee_underflow 0
		.amdhsa_exception_fp_ieee_inexact 0
		.amdhsa_exception_int_div_zero 0
	.end_amdhsa_kernel
	.section	.text._Z38paged_attention_ll4mi_QKV_mfma4_kernelIDF16_DF16_LN4vllm18Fp8KVCacheDataTypeE0EDF16_Li32ELi128ELi256ELb1ELi3EEvPKT_PKT0_S7_ifPKiS9_S9_iPKfiiiPfSC_PS2_PT2_iSB_SB_,"axG",@progbits,_Z38paged_attention_ll4mi_QKV_mfma4_kernelIDF16_DF16_LN4vllm18Fp8KVCacheDataTypeE0EDF16_Li32ELi128ELi256ELb1ELi3EEvPKT_PKT0_S7_ifPKiS9_S9_iPKfiiiPfSC_PS2_PT2_iSB_SB_,comdat
.Lfunc_end154:
	.size	_Z38paged_attention_ll4mi_QKV_mfma4_kernelIDF16_DF16_LN4vllm18Fp8KVCacheDataTypeE0EDF16_Li32ELi128ELi256ELb1ELi3EEvPKT_PKT0_S7_ifPKiS9_S9_iPKfiiiPfSC_PS2_PT2_iSB_SB_, .Lfunc_end154-_Z38paged_attention_ll4mi_QKV_mfma4_kernelIDF16_DF16_LN4vllm18Fp8KVCacheDataTypeE0EDF16_Li32ELi128ELi256ELb1ELi3EEvPKT_PKT0_S7_ifPKiS9_S9_iPKfiiiPfSC_PS2_PT2_iSB_SB_
                                        ; -- End function
	.section	.AMDGPU.csdata,"",@progbits
; Kernel info:
; codeLenInByte = 4036
; NumSgprs: 42
; NumVgprs: 85
; NumAgprs: 8
; TotalNumVgprs: 96
; ScratchSize: 0
; MemoryBound: 0
; FloatMode: 240
; IeeeMode: 1
; LDSByteSize: 5280 bytes/workgroup (compile time only)
; SGPRBlocks: 5
; VGPRBlocks: 11
; NumSGPRsForWavesPerEU: 42
; NumVGPRsForWavesPerEU: 96
; AccumOffset: 88
; Occupancy: 5
; WaveLimiterHint : 1
; COMPUTE_PGM_RSRC2:SCRATCH_EN: 0
; COMPUTE_PGM_RSRC2:USER_SGPR: 6
; COMPUTE_PGM_RSRC2:TRAP_HANDLER: 0
; COMPUTE_PGM_RSRC2:TGID_X_EN: 1
; COMPUTE_PGM_RSRC2:TGID_Y_EN: 1
; COMPUTE_PGM_RSRC2:TGID_Z_EN: 1
; COMPUTE_PGM_RSRC2:TIDIG_COMP_CNT: 0
; COMPUTE_PGM_RSRC3_GFX90A:ACCUM_OFFSET: 21
; COMPUTE_PGM_RSRC3_GFX90A:TG_SPLIT: 0
	.section	.text._Z38paged_attention_ll4mi_QKV_mfma4_kernelIDF16_DF16_LN4vllm18Fp8KVCacheDataTypeE0EDF16_Li32ELi128ELi256ELb1ELi4EEvPKT_PKT0_S7_ifPKiS9_S9_iPKfiiiPfSC_PS2_PT2_iSB_SB_,"axG",@progbits,_Z38paged_attention_ll4mi_QKV_mfma4_kernelIDF16_DF16_LN4vllm18Fp8KVCacheDataTypeE0EDF16_Li32ELi128ELi256ELb1ELi4EEvPKT_PKT0_S7_ifPKiS9_S9_iPKfiiiPfSC_PS2_PT2_iSB_SB_,comdat
	.protected	_Z38paged_attention_ll4mi_QKV_mfma4_kernelIDF16_DF16_LN4vllm18Fp8KVCacheDataTypeE0EDF16_Li32ELi128ELi256ELb1ELi4EEvPKT_PKT0_S7_ifPKiS9_S9_iPKfiiiPfSC_PS2_PT2_iSB_SB_ ; -- Begin function _Z38paged_attention_ll4mi_QKV_mfma4_kernelIDF16_DF16_LN4vllm18Fp8KVCacheDataTypeE0EDF16_Li32ELi128ELi256ELb1ELi4EEvPKT_PKT0_S7_ifPKiS9_S9_iPKfiiiPfSC_PS2_PT2_iSB_SB_
	.globl	_Z38paged_attention_ll4mi_QKV_mfma4_kernelIDF16_DF16_LN4vllm18Fp8KVCacheDataTypeE0EDF16_Li32ELi128ELi256ELb1ELi4EEvPKT_PKT0_S7_ifPKiS9_S9_iPKfiiiPfSC_PS2_PT2_iSB_SB_
	.p2align	8
	.type	_Z38paged_attention_ll4mi_QKV_mfma4_kernelIDF16_DF16_LN4vllm18Fp8KVCacheDataTypeE0EDF16_Li32ELi128ELi256ELb1ELi4EEvPKT_PKT0_S7_ifPKiS9_S9_iPKfiiiPfSC_PS2_PT2_iSB_SB_,@function
_Z38paged_attention_ll4mi_QKV_mfma4_kernelIDF16_DF16_LN4vllm18Fp8KVCacheDataTypeE0EDF16_Li32ELi128ELi256ELb1ELi4EEvPKT_PKT0_S7_ifPKiS9_S9_iPKfiiiPfSC_PS2_PT2_iSB_SB_: ; @_Z38paged_attention_ll4mi_QKV_mfma4_kernelIDF16_DF16_LN4vllm18Fp8KVCacheDataTypeE0EDF16_Li32ELi128ELi256ELb1ELi4EEvPKT_PKT0_S7_ifPKiS9_S9_iPKfiiiPfSC_PS2_PT2_iSB_SB_
; %bb.0:
	s_load_dwordx2 s[2:3], s[4:5], 0x30
	s_mov_b32 s10, s7
	s_mov_b64 s[0:1], 0
	s_waitcnt lgkmcnt(0)
	s_cmp_lg_u64 s[2:3], 0
	s_cselect_b64 s[16:17], -1, 0
	s_and_b64 vcc, exec, s[16:17]
	s_cbranch_vccz .LBB155_20
; %bb.1:
	s_add_i32 s12, s6, 1
	s_mov_b32 s13, 0
	s_lshl_b64 s[14:15], s[12:13], 2
	s_add_u32 s14, s2, s14
	s_mov_b32 s7, s13
	s_addc_u32 s15, s3, s15
	s_lshl_b64 s[12:13], s[6:7], 2
	s_add_u32 s12, s2, s12
	s_addc_u32 s13, s3, s13
	s_load_dword s9, s[14:15], 0x0
	s_load_dword s11, s[12:13], 0x0
	s_mov_b64 s[30:31], s[6:7]
	s_waitcnt lgkmcnt(0)
	s_sub_i32 s9, s9, s11
	s_cmp_eq_u32 s9, 1
	s_cselect_b64 s[12:13], -1, 0
	s_andn2_b64 vcc, exec, s[0:1]
	s_cbranch_vccnz .LBB155_3
.LBB155_2:
	s_mov_b32 s7, 0
	s_mov_b64 s[12:13], -1
	s_mov_b64 s[30:31], s[6:7]
.LBB155_3:
	s_andn2_b64 vcc, exec, s[12:13]
	s_cbranch_vccnz .LBB155_19
; %bb.4:
	s_load_dword s7, s[4:5], 0x9c
	s_load_dwordx2 s[0:1], s[4:5], 0x28
	s_add_u32 s26, s4, 0x90
	s_addc_u32 s27, s5, 0
	s_lshl_b64 s[18:19], s[30:31], 2
	s_waitcnt lgkmcnt(0)
	s_and_b32 s7, s7, 0xffff
	s_add_u32 s0, s0, s18
	s_addc_u32 s1, s1, s19
	s_load_dword s11, s[0:1], 0x0
	s_mul_i32 s9, s10, s7
	s_waitcnt lgkmcnt(0)
	s_cmp_ge_i32 s9, s11
	s_cbranch_scc1 .LBB155_19
; %bb.5:
	v_and_b32_e32 v1, 0xc0, v0
	v_and_b32_e32 v73, 3, v0
	s_lshl_b32 s7, s8, 2
	v_add_u32_e32 v2, s9, v1
	v_lshrrev_b32_e32 v72, 6, v0
	v_cmp_le_i32_e64 s[0:1], s11, v2
	v_or_b32_e32 v66, s7, v73
                                        ; implicit-def: $sgpr21
                                        ; implicit-def: $sgpr20
	s_and_saveexec_b64 s[12:13], s[0:1]
	s_xor_b64 s[12:13], exec, s[12:13]
	s_cbranch_execz .LBB155_7
; %bb.6:
	v_mul_u32_u24_e32 v1, 20, v72
	v_or_b32_e32 v1, 0x1400, v1
	v_mov_b32_e32 v2, 0x1450
	v_mov_b32_e32 v3, 0xff7fffff
	v_mad_u32_u24 v2, v72, 20, v2
	ds_write2_b32 v1, v3, v3 offset1:1
	v_mov_b32_e32 v1, 0
	ds_write2_b32 v2, v1, v1 offset1:1
	v_mov_b32_e32 v2, 0x1408
	s_mov_b32 s20, 0xff7fffff
	s_mov_b32 s21, 0
	v_mad_u32_u24 v2, v72, 20, v2
	v_mov_b32_e32 v4, 0x1458
	v_or_b32_e32 v66, s7, v73
	v_mad_u32_u24 v4, v72, 20, v4
	ds_write2_b32 v2, v3, v3 offset1:1
	ds_write2_b32 v4, v1, v1 offset1:1
                                        ; implicit-def: $vgpr2
.LBB155_7:
	s_or_saveexec_b64 s[28:29], s[12:13]
	s_load_dwordx2 s[24:25], s[4:5], 0x68
	s_load_dwordx4 s[12:15], s[4:5], 0x58
	s_load_dword s33, s[26:27], 0x4
	v_and_b32_e32 v1, 63, v0
	v_mov_b32_e32 v71, s21
	v_mov_b32_e32 v67, s20
	;; [unrolled: 1-line block ×5, first 2 shown]
                                        ; implicit-def: $vgpr15
                                        ; implicit-def: $vgpr3
                                        ; implicit-def: $vgpr7
                                        ; implicit-def: $vgpr11
                                        ; implicit-def: $vgpr19
                                        ; implicit-def: $vgpr27
                                        ; implicit-def: $vgpr35
                                        ; implicit-def: $vgpr43
                                        ; implicit-def: $vgpr23
                                        ; implicit-def: $vgpr31
                                        ; implicit-def: $vgpr39
                                        ; implicit-def: $vgpr47
                                        ; implicit-def: $vgpr55
                                        ; implicit-def: $vgpr63
                                        ; implicit-def: $vgpr51
                                        ; implicit-def: $vgpr59
	s_xor_b64 exec, exec, s[28:29]
	s_cbranch_execz .LBB155_13
; %bb.8:
	s_add_i32 s23, s11, 31
	s_load_dwordx2 s[20:21], s[4:5], 0x20
	s_load_dword s22, s[4:5], 0x38
	s_ashr_i32 s34, s23, 31
	s_lshr_b32 s34, s34, 27
	v_add_u32_e32 v68, s9, v0
	s_add_i32 s23, s23, s34
	v_ashrrev_i32_e32 v3, 31, v68
	s_ashr_i32 s23, s23, 5
	v_lshrrev_b32_e32 v3, 27, v3
	s_add_i32 s34, s23, -1
	v_add_u32_e32 v3, v68, v3
	s_waitcnt lgkmcnt(0)
	s_mul_i32 s38, s6, s22
	s_mov_b32 s39, 0
	v_ashrrev_i32_e32 v3, 5, v3
	v_mov_b32_e32 v4, s34
	v_cmp_gt_i32_e32 vcc, s11, v68
	s_lshl_b64 s[22:23], s[38:39], 2
	v_cndmask_b32_e32 v4, v4, v3, vcc
	s_add_u32 s20, s20, s22
	v_ashrrev_i32_e32 v5, 31, v4
	s_addc_u32 s21, s21, s23
	v_lshlrev_b64 v[4:5], 2, v[4:5]
	v_mov_b32_e32 v3, s21
	v_add_co_u32_e32 v4, vcc, s20, v4
	v_addc_co_u32_e32 v5, vcc, v3, v5, vcc
	v_ashrrev_i32_e32 v3, 31, v2
	v_lshrrev_b32_e32 v3, 27, v3
	v_add_u32_e32 v2, v2, v3
	v_ashrrev_i32_e32 v8, 5, v2
	v_min_i32_e32 v2, s34, v8
	v_ashrrev_i32_e32 v3, 31, v2
	v_lshlrev_b64 v[2:3], 2, v[2:3]
	v_add_co_u32_e32 v6, vcc, s20, v2
	v_add_u32_e32 v2, 1, v8
	v_mov_b32_e32 v7, s21
	v_min_i32_e32 v2, s34, v2
	v_addc_co_u32_e32 v7, vcc, v7, v3, vcc
	v_ashrrev_i32_e32 v3, 31, v2
	v_lshlrev_b64 v[2:3], 2, v[2:3]
	v_mov_b32_e32 v9, s21
	v_add_co_u32_e32 v8, vcc, s20, v2
	v_addc_co_u32_e32 v9, vcc, v9, v3, vcc
	global_load_dword v3, v[4:5], off
	global_load_dword v2, v[6:7], off
	;; [unrolled: 1-line block ×3, first 2 shown]
	s_load_dwordx2 s[36:37], s[4:5], 0x40
	s_load_dwordx4 s[20:23], s[4:5], 0x0
	s_load_dwordx2 s[34:35], s[4:5], 0x10
	s_andn2_b64 vcc, exec, s[16:17]
	s_cbranch_vccnz .LBB155_10
; %bb.9:
	s_add_u32 s2, s2, s18
	s_addc_u32 s3, s3, s19
	s_load_dword s38, s[2:3], 0x0
	s_waitcnt lgkmcnt(0)
	s_mov_b64 s[30:31], s[38:39]
.LBB155_10:
	s_load_dwordx4 s[16:19], s[4:5], 0x48
	v_lshlrev_b32_e32 v4, 2, v1
	v_and_b32_e32 v4, 0xf0, v4
	v_lshl_or_b32 v4, v73, 8, v4
	v_mov_b32_e32 v67, 0
	s_waitcnt lgkmcnt(0)
	s_ashr_i32 s3, s16, 31
	s_mul_hi_u32 s9, s30, s16
	s_mul_i32 s3, s30, s3
	s_mul_i32 s19, s31, s16
	s_add_i32 s3, s9, s3
	s_mul_i32 s2, s30, s16
	s_add_i32 s3, s3, s19
	s_lshl_b64 s[2:3], s[2:3], 1
	s_add_u32 s9, s20, s2
	s_addc_u32 s16, s21, s3
	s_lshl_b32 s38, s8, 9
	s_lshl_b64 s[2:3], s[38:39], 1
	s_add_u32 s2, s9, s2
	s_addc_u32 s3, s16, s3
	s_mul_i32 s38, s8, s18
	global_load_dwordx4 v[74:77], v4, s[2:3]
	s_waitcnt vmcnt(3)
	v_mad_i64_i32 v[4:5], s[2:3], v3, s17, 0
	s_lshl_b64 s[8:9], s[38:39], 1
	s_add_u32 s2, s8, s22
	v_lshlrev_b64 v[4:5], 1, v[4:5]
	s_addc_u32 s3, s9, s23
	v_mov_b32_e32 v3, s3
	v_add_co_u32_e32 v19, vcc, s2, v4
	v_and_b32_e32 v4, 31, v0
	v_addc_co_u32_e32 v3, vcc, v3, v5, vcc
	v_lshlrev_b32_e32 v46, 4, v4
	v_add_co_u32_e32 v16, vcc, v19, v46
	v_addc_co_u32_e32 v17, vcc, 0, v3, vcc
	global_load_dwordx4 v[4:7], v[16:17], off
	global_load_dwordx4 v[8:11], v[16:17], off offset:512
	global_load_dwordx4 v[12:15], v[16:17], off offset:1024
	;; [unrolled: 1-line block ×7, first 2 shown]
	v_or_b32_e32 v16, 0x1000, v46
	v_add_co_u32_e32 v16, vcc, v19, v16
	v_addc_co_u32_e32 v17, vcc, 0, v3, vcc
	v_or_b32_e32 v40, 0x1200, v46
	v_add_co_u32_e32 v40, vcc, v19, v40
	v_addc_co_u32_e32 v41, vcc, 0, v3, vcc
	global_load_dwordx4 v[42:45], v[16:17], off
	global_load_dwordx4 v[50:53], v[40:41], off
	v_or_b32_e32 v16, 0x1400, v46
	v_add_co_u32_e32 v16, vcc, v19, v16
	v_addc_co_u32_e32 v17, vcc, 0, v3, vcc
	v_or_b32_e32 v40, 0x1600, v46
	v_add_co_u32_e32 v40, vcc, v19, v40
	v_addc_co_u32_e32 v41, vcc, 0, v3, vcc
	global_load_dwordx4 v[54:57], v[16:17], off
	global_load_dwordx4 v[58:61], v[40:41], off
	;; [unrolled: 8-line block ×3, first 2 shown]
	v_or_b32_e32 v16, 0x1c00, v46
	v_add_co_u32_e32 v16, vcc, v19, v16
	v_mov_b32_e32 v40, 0x1e00
	v_addc_co_u32_e32 v17, vcc, 0, v3, vcc
	v_lshl_or_b32 v40, v0, 4, v40
	v_add_co_u32_e32 v40, vcc, v19, v40
	v_addc_co_u32_e32 v41, vcc, 0, v3, vcc
	global_load_dwordx4 v[82:85], v[16:17], off
	global_load_dwordx4 v[86:89], v[40:41], off
	v_lshlrev_b64 v[16:17], 2, v[66:67]
	v_mov_b32_e32 v3, s37
	v_add_co_u32_e32 v16, vcc, s36, v16
	v_addc_co_u32_e32 v17, vcc, v3, v17, vcc
	global_load_dword v69, v[16:17], off
	s_waitcnt vmcnt(19)
	v_mul_hi_i32 v3, v2, s17
	v_ashrrev_i32_e32 v3, 31, v3
	s_load_dword s2, s[4:5], 0x1c
	s_add_u32 s3, s34, s8
	s_addc_u32 s8, s35, s9
	v_lshlrev_b32_e32 v70, 6, v1
	v_or_b32_e32 v71, 0x1000, v70
	s_waitcnt vmcnt(16)
	v_mfma_f32_4x4x4f16 a[0:3], v[74:75], v[4:5], 0 cbsz:4
	v_lshrrev_b32_e32 v4, 29, v3
	v_mfma_f32_4x4x4f16 a[0:3], v[76:77], v[6:7], a[0:3] cbsz:4
	v_mov_b32_e32 v5, v67
	s_waitcnt vmcnt(15)
	v_mfma_f32_4x4x4f16 a[0:3], v[74:75], v[8:9], a[0:3] cbsz:4 abid:1
	v_mad_i64_i32 v[2:3], s[4:5], v2, s17, v[4:5]
	v_mfma_f32_4x4x4f16 a[0:3], v[76:77], v[10:11], a[0:3] cbsz:4 abid:1
	v_lshlrev_b64 v[2:3], 1, v[2:3]
	s_waitcnt vmcnt(14)
	v_mfma_f32_4x4x4f16 a[0:3], v[74:75], v[12:13], a[0:3] cbsz:4 abid:2
	v_and_b32_e32 v2, -16, v2
	v_mfma_f32_4x4x4f16 a[0:3], v[76:77], v[14:15], a[0:3] cbsz:4 abid:2
	v_mov_b32_e32 v4, s8
	s_waitcnt vmcnt(13)
	v_mfma_f32_4x4x4f16 a[0:3], v[74:75], v[20:21], a[0:3] cbsz:4 abid:3
	v_add_co_u32_e32 v19, vcc, s3, v2
	v_mfma_f32_4x4x4f16 a[0:3], v[76:77], v[22:23], a[0:3] cbsz:4 abid:3
	v_addc_co_u32_e32 v22, vcc, v4, v3, vcc
	s_waitcnt vmcnt(12)
	v_mfma_f32_4x4x4f16 a[0:3], v[74:75], v[24:25], a[0:3] cbsz:4 abid:4
	v_add_co_u32_e32 v20, vcc, v19, v70
	v_mfma_f32_4x4x4f16 a[0:3], v[76:77], v[26:27], a[0:3] cbsz:4 abid:4
	v_addc_co_u32_e32 v21, vcc, 0, v22, vcc
	s_waitcnt vmcnt(11)
	v_mfma_f32_4x4x4f16 a[0:3], v[74:75], v[28:29], a[0:3] cbsz:4 abid:5
	global_load_dwordx4 v[14:17], v[20:21], off
	global_load_dwordx4 v[2:5], v[20:21], off offset:16
	v_mfma_f32_4x4x4f16 a[0:3], v[76:77], v[30:31], a[0:3] cbsz:4 abid:5
	global_load_dwordx4 v[6:9], v[20:21], off offset:32
	global_load_dwordx4 v[10:13], v[20:21], off offset:48
	s_waitcnt vmcnt(14)
	v_mfma_f32_4x4x4f16 a[0:3], v[74:75], v[32:33], a[0:3] cbsz:4 abid:6
	v_add_co_u32_e32 v20, vcc, v19, v71
	v_mfma_f32_4x4x4f16 a[0:3], v[76:77], v[34:35], a[0:3] cbsz:4 abid:6
	v_mul_hi_i32 v19, v18, s17
	s_waitcnt vmcnt(13)
	v_mfma_f32_4x4x4f16 a[0:3], v[74:75], v[36:37], a[0:3] cbsz:4 abid:7
	v_addc_co_u32_e32 v21, vcc, 0, v22, vcc
	v_mfma_f32_4x4x4f16 a[0:3], v[76:77], v[38:39], a[0:3] cbsz:4 abid:7
	v_ashrrev_i32_e32 v19, 31, v19
	s_waitcnt vmcnt(12)
	v_mfma_f32_4x4x4f16 a[0:3], v[74:75], v[42:43], a[0:3] cbsz:4 abid:8
	global_load_dwordx4 v[22:25], v[20:21], off
	global_load_dwordx4 v[30:33], v[20:21], off offset:16
	v_mfma_f32_4x4x4f16 a[0:3], v[76:77], v[44:45], a[0:3] cbsz:4 abid:8
	global_load_dwordx4 v[38:41], v[20:21], off offset:32
	global_load_dwordx4 v[46:49], v[20:21], off offset:48
	s_waitcnt vmcnt(15)
	v_mfma_f32_4x4x4f16 a[0:3], v[74:75], v[50:51], a[0:3] cbsz:4 abid:9
	v_lshrrev_b32_e32 v20, 29, v19
	v_mfma_f32_4x4x4f16 a[0:3], v[76:77], v[52:53], a[0:3] cbsz:4 abid:9
	v_mov_b32_e32 v21, v67
	s_waitcnt vmcnt(14)
	v_mfma_f32_4x4x4f16 a[0:3], v[74:75], v[54:55], a[0:3] cbsz:4 abid:10
	v_mad_i64_i32 v[18:19], s[4:5], v18, s17, v[20:21]
	v_mfma_f32_4x4x4f16 a[0:3], v[76:77], v[56:57], a[0:3] cbsz:4 abid:10
	v_lshlrev_b64 v[18:19], 1, v[18:19]
	v_and_b32_e32 v18, -16, v18
	s_waitcnt vmcnt(13)
	v_mfma_f32_4x4x4f16 a[0:3], v[74:75], v[58:59], a[0:3] cbsz:4 abid:11
	v_mov_b32_e32 v20, s8
	v_add_co_u32_e32 v52, vcc, s3, v18
	v_addc_co_u32_e32 v53, vcc, v20, v19, vcc
	v_mfma_f32_4x4x4f16 a[0:3], v[76:77], v[60:61], a[0:3] cbsz:4 abid:11
	v_add_co_u32_e32 v50, vcc, v52, v70
	v_addc_co_u32_e32 v51, vcc, 0, v53, vcc
	s_waitcnt vmcnt(12)
	v_mfma_f32_4x4x4f16 a[0:3], v[74:75], v[62:63], a[0:3] cbsz:4 abid:12
	v_add_co_u32_e32 v70, vcc, v52, v71
	v_addc_co_u32_e32 v71, vcc, 0, v53, vcc
	v_mfma_f32_4x4x4f16 a[0:3], v[76:77], v[64:65], a[0:3] cbsz:4 abid:12
	global_load_dwordx4 v[18:21], v[50:51], off
	global_load_dwordx4 v[26:29], v[50:51], off offset:16
	global_load_dwordx4 v[34:37], v[50:51], off offset:32
	;; [unrolled: 1-line block ×3, first 2 shown]
	global_load_dwordx4 v[54:57], v[70:71], off
	global_load_dwordx4 v[62:65], v[70:71], off offset:16
	s_nop 0
	global_load_dwordx4 v[50:53], v[70:71], off offset:32
	global_load_dwordx4 v[58:61], v[70:71], off offset:48
	s_waitcnt vmcnt(19)
	v_mfma_f32_4x4x4f16 a[0:3], v[74:75], v[78:79], a[0:3] cbsz:4 abid:13
	v_cmp_eq_u32_e32 vcc, 0, v73
	v_mfma_f32_4x4x4f16 a[0:3], v[76:77], v[80:81], a[0:3] cbsz:4 abid:13
	v_cndmask_b32_e64 v67, 0, 1.0, vcc
	s_waitcnt vmcnt(18)
	v_mfma_f32_4x4x4f16 a[0:3], v[74:75], v[82:83], a[0:3] cbsz:4 abid:14
	v_cmp_eq_u32_e32 vcc, 1, v73
	v_mfma_f32_4x4x4f16 a[0:3], v[76:77], v[84:85], a[0:3] cbsz:4 abid:14
	s_waitcnt vmcnt(17)
	v_mfma_f32_4x4x4f16 a[0:3], v[74:75], v[86:87], a[0:3] cbsz:4 abid:15
	v_mfma_f32_4x4x4f16 a[0:3], v[76:77], v[88:89], a[0:3] cbsz:4 abid:15
	v_mov_b32_e32 v77, 0xff7fffff
	s_nop 3
	v_accvgpr_read_b32 v75, a1
	v_accvgpr_read_b32 v74, a0
	s_waitcnt lgkmcnt(0)
	v_pk_mul_f32 v[74:75], s[2:3], v[74:75] op_sel_hi:[0,1]
	v_accvgpr_read_b32 v71, a3
	v_accvgpr_read_b32 v70, a2
	v_pk_mul_f32 v[70:71], s[2:3], v[70:71] op_sel_hi:[0,1]
	v_mfma_f32_4x4x1f32 a[0:3], v74, v67, 0
	v_cndmask_b32_e64 v67, 0, 1.0, vcc
	v_cmp_eq_u32_e32 vcc, 2, v73
	s_nop 0
	v_mfma_f32_4x4x1f32 a[0:3], v75, v67, a[0:3]
	v_cndmask_b32_e64 v67, 0, 1.0, vcc
	v_cmp_eq_u32_e32 vcc, 3, v73
	s_nop 0
	v_mfma_f32_4x4x1f32 a[0:3], v70, v67, a[0:3]
	v_cndmask_b32_e64 v67, 0, 1.0, vcc
	s_nop 1
	v_mfma_f32_4x4x1f32 a[0:3], v71, v67, a[0:3]
	v_and_b32_e32 v67, -4, v68
	v_subrev_u32_e32 v70, s11, v67
	v_add_u32_e32 v71, 1, v70
	v_cvt_f32_i32_e32 v71, v71
	v_add_u32_e32 v74, 2, v70
	v_cvt_f32_i32_e32 v74, v74
	v_accvgpr_read_b32 v75, a0
	s_waitcnt vmcnt(16)
	v_fma_f32 v71, v69, v71, v75
	v_accvgpr_read_b32 v75, a1
	v_fma_f32 v74, v69, v74, v75
	v_add_u32_e32 v75, 3, v70
	v_cvt_f32_i32_e32 v75, v75
	v_add_u32_e32 v70, 4, v70
	v_cvt_f32_i32_e32 v70, v70
	v_accvgpr_read_b32 v76, a2
	v_fma_f32 v75, v69, v75, v76
	v_accvgpr_read_b32 v76, a3
	v_fmac_f32_e32 v76, v69, v70
	v_max_f32_e32 v70, 0xff7fffff, v71
	v_cmp_gt_i32_e32 vcc, s11, v67
	v_cndmask_b32_e32 v70, v77, v70, vcc
	v_or_b32_e32 v77, 1, v67
	v_max_f32_e32 v78, v70, v74
	v_cmp_gt_i32_e64 s[2:3], s11, v77
	v_cndmask_b32_e64 v70, v70, v78, s[2:3]
	v_or_b32_e32 v67, 2, v67
	v_max_f32_e32 v77, v70, v75
	v_cmp_gt_i32_e64 s[4:5], s11, v67
	v_cndmask_b32_e64 v67, v70, v77, s[4:5]
	v_or_b32_e32 v68, 3, v68
	v_max_f32_e32 v70, v67, v76
	v_cmp_gt_i32_e64 s[8:9], s11, v68
	v_lshlrev_b32_e32 v69, 2, v0
	v_cndmask_b32_e64 v67, v67, v70, s[8:9]
	v_and_or_b32 v69, v69, 48, v73
	;;#ASMSTART
	v_nop
 v_nop
 v_max_f32_dpp v67, v67, v67 row_ror:4
	;;#ASMEND
	v_lshlrev_b32_e32 v77, 2, v69
	;;#ASMSTART
	v_nop
 v_nop
 v_max_f32_dpp v67, v67, v67 row_ror:8
	;;#ASMEND
	ds_bpermute_b32 v67, v77, v67
	s_waitcnt lgkmcnt(0)
	;;#ASMSTART
	v_nop
 v_nop
 v_max_f32_dpp v67, v67, v67 row_ror:4
	;;#ASMEND
	;;#ASMSTART
	v_nop
 v_nop
 v_max_f32_dpp v67, v67, v67 row_ror:8
	;;#ASMEND
	v_sub_f32_e32 v68, v71, v67
	v_mul_f32_e32 v68, 0x3fb8aa3b, v68
	v_sub_f32_e32 v69, v74, v67
	v_exp_f32_e32 v68, v68
	v_mul_f32_e32 v69, 0x3fb8aa3b, v69
	v_sub_f32_e32 v71, v75, v67
	v_exp_f32_e32 v69, v69
	;; [unrolled: 3-line block ×3, first 2 shown]
	v_mul_f32_e32 v74, 0x3fb8aa3b, v74
	v_exp_f32_e32 v74, v74
	v_cndmask_b32_e32 v68, 0, v68, vcc
	v_add_f32_e32 v70, 0, v68
	v_cndmask_b32_e64 v69, 0, v69, s[2:3]
	v_add_f32_e32 v75, v70, v69
	v_cndmask_b32_e64 v70, 0, v71, s[4:5]
	;; [unrolled: 2-line block ×3, first 2 shown]
	v_add_f32_e32 v74, v75, v71
	;;#ASMSTART
	v_nop
 v_nop
 v_add_f32_dpp v74, v74, v74 row_ror:4
	;;#ASMEND
	;;#ASMSTART
	v_nop
 v_nop
 v_add_f32_dpp v74, v74, v74 row_ror:8
	;;#ASMEND
	ds_bpermute_b32 v74, v77, v74
	s_waitcnt lgkmcnt(0)
	;;#ASMSTART
	v_nop
 v_nop
 v_add_f32_dpp v74, v74, v74 row_ror:4
	;;#ASMEND
	v_cmp_gt_u32_e32 vcc, 4, v1
	;;#ASMSTART
	v_nop
 v_nop
 v_add_f32_dpp v74, v74, v74 row_ror:8
	;;#ASMEND
	s_and_saveexec_b64 s[2:3], vcc
	s_cbranch_execz .LBB155_12
; %bb.11:
	v_mul_u32_u24_e32 v75, 20, v72
	v_lshl_add_u32 v75, v73, 2, v75
	v_add_u32_e32 v75, 0x1400, v75
	ds_write2_b32 v75, v67, v74 offset1:20
.LBB155_12:
	s_or_b64 exec, exec, s[2:3]
.LBB155_13:
	s_or_b64 exec, exec, s[28:29]
	v_lshlrev_b32_e32 v73, 2, v73
	v_add_u32_e32 v80, 0x1400, v73
	s_waitcnt lgkmcnt(0)
	s_barrier
	s_load_dword s2, s[26:27], 0x8
	ds_read2_b32 v[74:75], v80 offset1:5
	ds_read2_b32 v[76:77], v80 offset0:10 offset1:15
	s_mov_b32 s9, 0xff7fffff
	s_mul_i32 s3, s6, s33
	ds_read2_b32 v[78:79], v80 offset0:20 offset1:25
	s_waitcnt lgkmcnt(0)
	v_max3_f32 v73, v74, s9, v75
	v_max3_f32 v73, v73, v76, v77
	v_sub_f32_e32 v74, v74, v73
	v_mul_f32_e32 v74, 0x3fb8aa3b, v74
	v_sub_f32_e32 v75, v75, v73
	s_mul_i32 s3, s3, s2
	v_exp_f32_e32 v74, v74
	v_mul_f32_e32 v75, 0x3fb8aa3b, v75
	v_sub_f32_e32 v76, v76, v73
	s_lshl_b32 s2, s3, 2
	s_mov_b32 s3, 0
	v_exp_f32_e32 v75, v75
	ds_read2_b32 v[80:81], v80 offset0:30 offset1:35
	v_mul_f32_e32 v76, 0x3fb8aa3b, v76
	v_sub_f32_e32 v77, v77, v73
	s_lshl_b64 s[4:5], s[2:3], 2
	v_exp_f32_e32 v76, v76
	v_mul_f32_e32 v77, 0x3fb8aa3b, v77
	s_add_u32 s6, s12, s4
	v_exp_f32_e32 v77, v77
	s_addc_u32 s8, s13, s5
	v_fma_f32 v74, v74, v78, 0
	s_mov_b32 s11, s3
	s_add_u32 s9, s14, s4
	v_fmac_f32_e32 v74, v75, v79
	s_addc_u32 s12, s15, s5
	s_lshl_b64 s[4:5], s[10:11], 2
	s_waitcnt lgkmcnt(0)
	v_fmac_f32_e32 v74, v76, v80
	s_add_u32 s9, s9, s4
	v_fmac_f32_e32 v74, v77, v81
	v_mul_lo_u32 v76, s33, v66
	v_mov_b32_e32 v77, 0
	s_addc_u32 s11, s12, s5
	v_lshlrev_b64 v[76:77], 2, v[76:77]
	s_add_u32 s4, s6, s4
	v_mov_b32_e32 v66, s11
	v_add_co_u32_e32 v78, vcc, s9, v76
	s_addc_u32 s5, s8, s5
	v_addc_co_u32_e32 v79, vcc, v66, v77, vcc
	v_mov_b32_e32 v66, s5
	v_add_co_u32_e32 v76, vcc, s4, v76
	v_addc_co_u32_e32 v77, vcc, v66, v77, vcc
	v_lshlrev_b32_e32 v66, 3, v72
	global_store_dword v[78:79], v73, off
	global_store_dword v[76:77], v74, off
	s_and_saveexec_b64 s[4:5], s[0:1]
	s_xor_b64 s[0:1], exec, s[4:5]
	s_cbranch_execz .LBB155_15
; %bb.14:
	s_mov_b32 s4, s3
	s_mov_b32 s5, s3
	s_waitcnt vmcnt(16)
	v_mad_u32_u24 v4, v1, 40, v66
	v_pk_mov_b32 v[2:3], s[4:5], s[4:5] op_sel:[0,1]
	ds_write2st64_b64 v4, v[2:3], v[2:3] offset1:5
                                        ; implicit-def: $vgpr71
                                        ; implicit-def: $vgpr69
                                        ; implicit-def: $vgpr15
                                        ; implicit-def: $vgpr3
                                        ; implicit-def: $vgpr7
                                        ; implicit-def: $vgpr11
                                        ; implicit-def: $vgpr19
                                        ; implicit-def: $vgpr27
                                        ; implicit-def: $vgpr35
                                        ; implicit-def: $vgpr43
                                        ; implicit-def: $vgpr23
                                        ; implicit-def: $vgpr31
                                        ; implicit-def: $vgpr39
                                        ; implicit-def: $vgpr47
                                        ; implicit-def: $vgpr55
                                        ; implicit-def: $vgpr63
                                        ; implicit-def: $vgpr51
                                        ; implicit-def: $vgpr59
                                        ; implicit-def: $vgpr67
                                        ; implicit-def: $vgpr73
                                        ; implicit-def: $vgpr74
                                        ; implicit-def: $vgpr66
.LBB155_15:
	s_andn2_saveexec_b64 s[0:1], s[0:1]
	s_cbranch_execz .LBB155_17
; %bb.16:
	v_add_f32_e32 v72, 0x358637bd, v74
	v_div_scale_f32 v74, s[4:5], v72, v72, 1.0
	v_rcp_f32_e32 v75, v74
	v_sub_f32_e32 v67, v67, v73
	v_mul_f32_e32 v67, 0x3fb8aa3b, v67
	v_exp_f32_e32 v67, v67
	v_fma_f32 v73, -v74, v75, 1.0
	v_fmac_f32_e32 v75, v73, v75
	v_div_scale_f32 v73, vcc, 1.0, v72, 1.0
	v_mul_f32_e32 v76, v73, v75
	v_fma_f32 v77, -v74, v76, v73
	v_fmac_f32_e32 v76, v77, v75
	v_fma_f32 v73, -v74, v76, v73
	v_div_fmas_f32 v73, v73, v75, v76
	v_div_fixup_f32 v72, v73, v72, 1.0
	v_mul_f32_e32 v72, v67, v72
	v_pk_mul_f32 v[70:71], v[70:71], v[72:73] op_sel_hi:[1,0]
	v_pk_mul_f32 v[68:69], v[68:69], v[72:73] op_sel_hi:[1,0]
	v_cvt_f16_f32_e32 v67, v68
	v_cvt_f16_f32_e32 v68, v69
	;; [unrolled: 1-line block ×4, first 2 shown]
	v_pack_b32_f16 v68, v67, v68
	v_pack_b32_f16 v69, v69, v70
	s_waitcnt vmcnt(17)
	s_nop 0
	v_mfma_f32_4x4x4f16 a[0:3], v[68:69], v[14:15], 0 cbsz:4
	v_mfma_f32_4x4x4f16 a[0:3], v[68:69], v[16:17], a[0:3] cbsz:4 abid:1
	s_waitcnt vmcnt(16)
	v_mfma_f32_4x4x4f16 a[0:3], v[68:69], v[2:3], a[0:3] cbsz:4 abid:2
	s_waitcnt vmcnt(13)
	v_mfma_f32_4x4x4f16 a[4:7], v[68:69], v[22:23], 0 cbsz:4
	v_mfma_f32_4x4x4f16 a[0:3], v[68:69], v[4:5], a[0:3] cbsz:4 abid:3
	v_mfma_f32_4x4x4f16 a[4:7], v[68:69], v[24:25], a[4:7] cbsz:4 abid:1
	;; [unrolled: 1-line block ×3, first 2 shown]
	s_waitcnt vmcnt(12)
	v_mfma_f32_4x4x4f16 a[4:7], v[68:69], v[30:31], a[4:7] cbsz:4 abid:2
	v_mfma_f32_4x4x4f16 a[0:3], v[68:69], v[8:9], a[0:3] cbsz:4 abid:5
	v_mad_u32_u24 v9, v1, 40, v66
	v_mfma_f32_4x4x4f16 a[4:7], v[68:69], v[32:33], a[4:7] cbsz:4 abid:3
	v_mfma_f32_4x4x4f16 a[0:3], v[68:69], v[10:11], a[0:3] cbsz:4 abid:6
	s_waitcnt vmcnt(11)
	v_mfma_f32_4x4x4f16 a[4:7], v[68:69], v[38:39], a[4:7] cbsz:4 abid:4
	v_mfma_f32_4x4x4f16 a[0:3], v[68:69], v[12:13], a[0:3] cbsz:4 abid:7
	v_mfma_f32_4x4x4f16 a[4:7], v[68:69], v[40:41], a[4:7] cbsz:4 abid:5
	s_waitcnt vmcnt(9)
	v_mfma_f32_4x4x4f16 a[0:3], v[68:69], v[18:19], a[0:3] cbsz:4 abid:8
	v_mfma_f32_4x4x4f16 a[4:7], v[68:69], v[46:47], a[4:7] cbsz:4 abid:6
	;; [unrolled: 1-line block ×4, first 2 shown]
	s_waitcnt vmcnt(8)
	v_mfma_f32_4x4x4f16 a[0:3], v[68:69], v[26:27], a[0:3] cbsz:4 abid:10
	s_waitcnt vmcnt(5)
	v_mfma_f32_4x4x4f16 a[4:7], v[68:69], v[54:55], a[4:7] cbsz:4 abid:8
	v_mfma_f32_4x4x4f16 a[0:3], v[68:69], v[28:29], a[0:3] cbsz:4 abid:11
	;; [unrolled: 1-line block ×4, first 2 shown]
	s_waitcnt vmcnt(4)
	v_mfma_f32_4x4x4f16 a[4:7], v[68:69], v[62:63], a[4:7] cbsz:4 abid:10
	v_mfma_f32_4x4x4f16 a[0:3], v[68:69], v[36:37], a[0:3] cbsz:4 abid:13
	;; [unrolled: 1-line block ×5, first 2 shown]
	s_waitcnt vmcnt(3)
	v_mfma_f32_4x4x4f16 a[4:7], v[68:69], v[50:51], a[4:7] cbsz:4 abid:12
	s_nop 2
	v_accvgpr_read_b32 v2, a0
	v_accvgpr_read_b32 v3, a1
	;; [unrolled: 1-line block ×4, first 2 shown]
	v_mfma_f32_4x4x4f16 a[0:3], v[68:69], v[52:53], a[4:7] cbsz:4 abid:13
	v_cvt_f16_f32_e32 v2, v2
	v_cvt_f16_f32_e32 v3, v3
	s_waitcnt vmcnt(2)
	v_mfma_f32_4x4x4f16 a[0:3], v[68:69], v[58:59], a[0:3] cbsz:4 abid:14
	v_pack_b32_f16 v2, v2, v3
	v_mfma_f32_4x4x4f16 a[0:3], v[68:69], v[60:61], a[0:3] cbsz:4 abid:15
	v_cvt_f16_f32_e32 v3, v4
	v_cvt_f16_f32_e32 v4, v5
	v_pack_b32_f16 v3, v3, v4
	s_nop 1
	v_accvgpr_read_b32 v5, a0
	v_accvgpr_read_b32 v6, a1
	;; [unrolled: 1-line block ×4, first 2 shown]
	v_cvt_f16_f32_e32 v5, v5
	v_cvt_f16_f32_e32 v6, v6
	;; [unrolled: 1-line block ×4, first 2 shown]
	v_pack_b32_f16 v4, v5, v6
	v_pack_b32_f16 v5, v7, v8
	ds_write2st64_b64 v9, v[2:3], v[4:5] offset1:5
.LBB155_17:
	s_or_b64 exec, exec, s[0:1]
	v_cmp_gt_u32_e32 vcc, 64, v0
	s_waitcnt lgkmcnt(0)
	s_barrier
	s_and_saveexec_b64 s[0:1], vcc
	s_cbranch_execz .LBB155_19
; %bb.18:
	s_waitcnt vmcnt(15)
	v_mul_u32_u24_e32 v6, 40, v1
	ds_read2_b64 v[2:5], v6 offset1:1
	ds_read2_b64 v[6:9], v6 offset0:2 offset1:3
	s_mov_b32 s1, 0
	s_lshl_b32 s0, s2, 7
	s_lshl_b64 s[2:3], s[0:1], 1
	s_waitcnt lgkmcnt(1)
	v_pk_add_f16 v2, v2, 0
	v_pk_add_f16 v2, v2, v4
	;; [unrolled: 1-line block ×3, first 2 shown]
	s_waitcnt lgkmcnt(0)
	v_pk_add_f16 v2, v2, v6
	v_pk_add_f16 v3, v3, v5
	s_waitcnt vmcnt(14)
	v_pk_add_f16 v10, v2, v8
	v_mov_b32_e32 v2, 0xa00
	v_pk_add_f16 v6, v3, v7
	v_mad_u32_u24 v2, v1, 40, v2
	ds_read2_b64 v[2:5], v2 offset1:1
	v_pk_add_f16 v11, v6, v9
	v_mov_b32_e32 v6, 0xa10
	v_mad_u32_u24 v1, v1, 40, v6
	ds_read2_b64 v[6:9], v1 offset1:1
	s_add_u32 s2, s24, s2
	s_addc_u32 s3, s25, s3
	s_lshl_b32 s0, s10, 7
	s_lshl_b64 s[0:1], s[0:1], 1
	s_waitcnt lgkmcnt(1)
	v_pk_add_f16 v1, v2, 0
	v_pk_add_f16 v2, v3, 0
	s_add_u32 s0, s2, s0
	v_pk_add_f16 v2, v2, v5
	s_addc_u32 s1, s3, s1
	s_lshl_b32 s2, s33, 7
	s_waitcnt lgkmcnt(0)
	v_pk_add_f16 v2, v2, v7
	s_mul_i32 s3, s2, s7
	v_pk_add_f16 v1, v1, v4
	v_pk_add_f16 v13, v2, v9
	v_or_b32_e32 v2, s3, v0
	v_mov_b32_e32 v3, 0
	v_pk_add_f16 v1, v1, v6
	v_lshlrev_b64 v[4:5], 1, v[2:3]
	s_add_i32 s3, s3, s2
	v_pk_add_f16 v12, v1, v8
	v_mov_b32_e32 v1, s1
	v_add_co_u32_e32 v4, vcc, s0, v4
	v_or_b32_e32 v2, s3, v0
	v_addc_co_u32_e32 v5, vcc, v1, v5, vcc
	v_lshlrev_b64 v[6:7], 1, v[2:3]
	s_add_i32 s3, s3, s2
	v_add_co_u32_e32 v6, vcc, s0, v6
	v_or_b32_e32 v2, s3, v0
	v_addc_co_u32_e32 v7, vcc, v1, v7, vcc
	v_lshlrev_b64 v[8:9], 1, v[2:3]
	s_add_i32 s3, s3, s2
	v_add_co_u32_e32 v8, vcc, s0, v8
	v_or_b32_e32 v2, s3, v0
	v_addc_co_u32_e32 v9, vcc, v1, v9, vcc
	v_lshlrev_b64 v[0:1], 1, v[2:3]
	v_mov_b32_e32 v2, s1
	v_add_co_u32_e32 v0, vcc, s0, v0
	v_addc_co_u32_e32 v1, vcc, v2, v1, vcc
	global_store_short v[4:5], v10, off
	global_store_short_d16_hi v[6:7], v10, off
	global_store_short v[8:9], v11, off
	global_store_short_d16_hi v[0:1], v11, off
	global_store_short v[4:5], v12, off offset:128
	global_store_short_d16_hi v[6:7], v12, off offset:128
	global_store_short v[8:9], v13, off offset:128
	global_store_short_d16_hi v[0:1], v13, off offset:128
.LBB155_19:
	s_endpgm
.LBB155_20:
	s_mov_b64 s[12:13], 0
                                        ; implicit-def: $sgpr30_sgpr31
	s_branch .LBB155_2
	.section	.rodata,"a",@progbits
	.p2align	6, 0x0
	.amdhsa_kernel _Z38paged_attention_ll4mi_QKV_mfma4_kernelIDF16_DF16_LN4vllm18Fp8KVCacheDataTypeE0EDF16_Li32ELi128ELi256ELb1ELi4EEvPKT_PKT0_S7_ifPKiS9_S9_iPKfiiiPfSC_PS2_PT2_iSB_SB_
		.amdhsa_group_segment_fixed_size 5280
		.amdhsa_private_segment_fixed_size 0
		.amdhsa_kernarg_size 400
		.amdhsa_user_sgpr_count 6
		.amdhsa_user_sgpr_private_segment_buffer 1
		.amdhsa_user_sgpr_dispatch_ptr 0
		.amdhsa_user_sgpr_queue_ptr 0
		.amdhsa_user_sgpr_kernarg_segment_ptr 1
		.amdhsa_user_sgpr_dispatch_id 0
		.amdhsa_user_sgpr_flat_scratch_init 0
		.amdhsa_user_sgpr_kernarg_preload_length 0
		.amdhsa_user_sgpr_kernarg_preload_offset 0
		.amdhsa_user_sgpr_private_segment_size 0
		.amdhsa_uses_dynamic_stack 0
		.amdhsa_system_sgpr_private_segment_wavefront_offset 0
		.amdhsa_system_sgpr_workgroup_id_x 1
		.amdhsa_system_sgpr_workgroup_id_y 1
		.amdhsa_system_sgpr_workgroup_id_z 1
		.amdhsa_system_sgpr_workgroup_info 0
		.amdhsa_system_vgpr_workitem_id 0
		.amdhsa_next_free_vgpr 100
		.amdhsa_next_free_sgpr 40
		.amdhsa_accum_offset 92
		.amdhsa_reserve_vcc 1
		.amdhsa_reserve_flat_scratch 0
		.amdhsa_float_round_mode_32 0
		.amdhsa_float_round_mode_16_64 0
		.amdhsa_float_denorm_mode_32 3
		.amdhsa_float_denorm_mode_16_64 3
		.amdhsa_dx10_clamp 1
		.amdhsa_ieee_mode 1
		.amdhsa_fp16_overflow 0
		.amdhsa_tg_split 0
		.amdhsa_exception_fp_ieee_invalid_op 0
		.amdhsa_exception_fp_denorm_src 0
		.amdhsa_exception_fp_ieee_div_zero 0
		.amdhsa_exception_fp_ieee_overflow 0
		.amdhsa_exception_fp_ieee_underflow 0
		.amdhsa_exception_fp_ieee_inexact 0
		.amdhsa_exception_int_div_zero 0
	.end_amdhsa_kernel
	.section	.text._Z38paged_attention_ll4mi_QKV_mfma4_kernelIDF16_DF16_LN4vllm18Fp8KVCacheDataTypeE0EDF16_Li32ELi128ELi256ELb1ELi4EEvPKT_PKT0_S7_ifPKiS9_S9_iPKfiiiPfSC_PS2_PT2_iSB_SB_,"axG",@progbits,_Z38paged_attention_ll4mi_QKV_mfma4_kernelIDF16_DF16_LN4vllm18Fp8KVCacheDataTypeE0EDF16_Li32ELi128ELi256ELb1ELi4EEvPKT_PKT0_S7_ifPKiS9_S9_iPKfiiiPfSC_PS2_PT2_iSB_SB_,comdat
.Lfunc_end155:
	.size	_Z38paged_attention_ll4mi_QKV_mfma4_kernelIDF16_DF16_LN4vllm18Fp8KVCacheDataTypeE0EDF16_Li32ELi128ELi256ELb1ELi4EEvPKT_PKT0_S7_ifPKiS9_S9_iPKfiiiPfSC_PS2_PT2_iSB_SB_, .Lfunc_end155-_Z38paged_attention_ll4mi_QKV_mfma4_kernelIDF16_DF16_LN4vllm18Fp8KVCacheDataTypeE0EDF16_Li32ELi128ELi256ELb1ELi4EEvPKT_PKT0_S7_ifPKiS9_S9_iPKfiiiPfSC_PS2_PT2_iSB_SB_
                                        ; -- End function
	.section	.AMDGPU.csdata,"",@progbits
; Kernel info:
; codeLenInByte = 3956
; NumSgprs: 44
; NumVgprs: 90
; NumAgprs: 8
; TotalNumVgprs: 100
; ScratchSize: 0
; MemoryBound: 0
; FloatMode: 240
; IeeeMode: 1
; LDSByteSize: 5280 bytes/workgroup (compile time only)
; SGPRBlocks: 5
; VGPRBlocks: 12
; NumSGPRsForWavesPerEU: 44
; NumVGPRsForWavesPerEU: 100
; AccumOffset: 92
; Occupancy: 4
; WaveLimiterHint : 1
; COMPUTE_PGM_RSRC2:SCRATCH_EN: 0
; COMPUTE_PGM_RSRC2:USER_SGPR: 6
; COMPUTE_PGM_RSRC2:TRAP_HANDLER: 0
; COMPUTE_PGM_RSRC2:TGID_X_EN: 1
; COMPUTE_PGM_RSRC2:TGID_Y_EN: 1
; COMPUTE_PGM_RSRC2:TGID_Z_EN: 1
; COMPUTE_PGM_RSRC2:TIDIG_COMP_CNT: 0
; COMPUTE_PGM_RSRC3_GFX90A:ACCUM_OFFSET: 22
; COMPUTE_PGM_RSRC3_GFX90A:TG_SPLIT: 0
	.section	.text._Z39paged_attention_ll4mi_QKV_mfma16_kernelIDF16_DF16_LN4vllm18Fp8KVCacheDataTypeE0EDF16_Li32ELi128ELi256ELb1ELi5EL8MFMAType0EEvPKT_PKT0_S8_ifPKiSA_SA_iPKfiiiPfSD_PS3_PT2_iSC_SC_,"axG",@progbits,_Z39paged_attention_ll4mi_QKV_mfma16_kernelIDF16_DF16_LN4vllm18Fp8KVCacheDataTypeE0EDF16_Li32ELi128ELi256ELb1ELi5EL8MFMAType0EEvPKT_PKT0_S8_ifPKiSA_SA_iPKfiiiPfSD_PS3_PT2_iSC_SC_,comdat
	.protected	_Z39paged_attention_ll4mi_QKV_mfma16_kernelIDF16_DF16_LN4vllm18Fp8KVCacheDataTypeE0EDF16_Li32ELi128ELi256ELb1ELi5EL8MFMAType0EEvPKT_PKT0_S8_ifPKiSA_SA_iPKfiiiPfSD_PS3_PT2_iSC_SC_ ; -- Begin function _Z39paged_attention_ll4mi_QKV_mfma16_kernelIDF16_DF16_LN4vllm18Fp8KVCacheDataTypeE0EDF16_Li32ELi128ELi256ELb1ELi5EL8MFMAType0EEvPKT_PKT0_S8_ifPKiSA_SA_iPKfiiiPfSD_PS3_PT2_iSC_SC_
	.globl	_Z39paged_attention_ll4mi_QKV_mfma16_kernelIDF16_DF16_LN4vllm18Fp8KVCacheDataTypeE0EDF16_Li32ELi128ELi256ELb1ELi5EL8MFMAType0EEvPKT_PKT0_S8_ifPKiSA_SA_iPKfiiiPfSD_PS3_PT2_iSC_SC_
	.p2align	8
	.type	_Z39paged_attention_ll4mi_QKV_mfma16_kernelIDF16_DF16_LN4vllm18Fp8KVCacheDataTypeE0EDF16_Li32ELi128ELi256ELb1ELi5EL8MFMAType0EEvPKT_PKT0_S8_ifPKiSA_SA_iPKfiiiPfSD_PS3_PT2_iSC_SC_,@function
_Z39paged_attention_ll4mi_QKV_mfma16_kernelIDF16_DF16_LN4vllm18Fp8KVCacheDataTypeE0EDF16_Li32ELi128ELi256ELb1ELi5EL8MFMAType0EEvPKT_PKT0_S8_ifPKiSA_SA_iPKfiiiPfSD_PS3_PT2_iSC_SC_: ; @_Z39paged_attention_ll4mi_QKV_mfma16_kernelIDF16_DF16_LN4vllm18Fp8KVCacheDataTypeE0EDF16_Li32ELi128ELi256ELb1ELi5EL8MFMAType0EEvPKT_PKT0_S8_ifPKiSA_SA_iPKfiiiPfSD_PS3_PT2_iSC_SC_
; %bb.0:
	s_mov_b64 s[46:47], s[2:3]
	s_mov_b64 s[44:45], s[0:1]
	s_load_dwordx2 s[0:1], s[4:5], 0x30
	s_add_u32 s44, s44, s9
	s_addc_u32 s45, s45, 0
	s_mov_b32 s26, s7
	s_mov_b64 s[10:11], 0
	s_waitcnt lgkmcnt(0)
	s_cmp_lg_u64 s[0:1], 0
	s_cselect_b64 s[2:3], -1, 0
	s_and_b64 vcc, exec, s[2:3]
	s_cbranch_vccz .LBB156_7
; %bb.1:
	s_add_i32 s12, s6, 1
	s_mov_b32 s13, 0
	s_lshl_b64 s[14:15], s[12:13], 2
	s_add_u32 s14, s0, s14
	s_mov_b32 s7, s13
	s_addc_u32 s15, s1, s15
	s_lshl_b64 s[12:13], s[6:7], 2
	s_add_u32 s12, s0, s12
	s_addc_u32 s13, s1, s13
	s_load_dword s9, s[14:15], 0x0
	s_load_dword s16, s[12:13], 0x0
	s_waitcnt lgkmcnt(0)
	s_sub_i32 s9, s9, s16
	s_cmp_eq_u32 s9, 1
	s_cselect_b64 s[12:13], -1, 0
	s_andn2_b64 vcc, exec, s[10:11]
	s_cbranch_vccnz .LBB156_3
.LBB156_2:
	s_mov_b32 s7, 0
	s_mov_b64 s[12:13], -1
.LBB156_3:
	s_andn2_b64 vcc, exec, s[12:13]
	s_cbranch_vccnz .LBB156_22
; %bb.4:
	s_load_dwordx2 s[12:13], s[4:5], 0x28
	s_lshl_b64 s[10:11], s[6:7], 2
	s_waitcnt lgkmcnt(0)
	s_add_u32 s12, s12, s10
	s_addc_u32 s13, s13, s11
	s_load_dword s33, s[12:13], 0x0
	s_lshl_b32 s16, s26, 8
	s_waitcnt lgkmcnt(0)
	s_cmp_ge_i32 s16, s33
	s_cbranch_scc1 .LBB156_22
; %bb.5:
	s_add_i32 s14, s33, 31
	s_load_dwordx2 s[12:13], s[4:5], 0x20
	s_load_dword s9, s[4:5], 0x38
	s_ashr_i32 s15, s14, 31
	v_and_b32_e32 v1, 0xcf, v0
	s_lshr_b32 s15, s15, 27
	v_add_u32_e32 v1, s16, v1
	s_add_i32 s14, s14, s15
	v_ashrrev_i32_e32 v2, 31, v1
	s_ashr_i32 s19, s14, 5
	v_lshrrev_b32_e32 v6, 27, v2
	s_add_i32 s19, s19, -1
	v_add_u32_e32 v2, v1, v6
	s_waitcnt lgkmcnt(0)
	s_mul_i32 s14, s6, s9
	s_mov_b32 s15, 0
	v_ashrrev_i32_e32 v2, 5, v2
	v_mov_b32_e32 v7, s19
	v_cmp_gt_i32_e32 vcc, s33, v1
	s_lshl_b64 s[14:15], s[14:15], 2
	v_cndmask_b32_e32 v2, v7, v2, vcc
	s_add_u32 s17, s12, s14
	v_ashrrev_i32_e32 v3, 31, v2
	s_addc_u32 s18, s13, s15
	v_lshlrev_b64 v[2:3], 2, v[2:3]
	v_mov_b32_e32 v4, s18
	v_add_co_u32_e32 v2, vcc, s17, v2
	v_addc_co_u32_e32 v3, vcc, v4, v3, vcc
	v_or_b32_e32 v4, 16, v1
	v_add_u32_e32 v5, v4, v6
	v_ashrrev_i32_e32 v5, 5, v5
	v_cmp_gt_i32_e32 vcc, s33, v4
	v_cndmask_b32_e32 v4, v7, v5, vcc
	v_ashrrev_i32_e32 v5, 31, v4
	v_lshlrev_b64 v[4:5], 2, v[4:5]
	v_mov_b32_e32 v9, s18
	v_add_co_u32_e32 v8, vcc, s17, v4
	v_or_b32_e32 v4, 32, v1
	v_addc_co_u32_e32 v9, vcc, v9, v5, vcc
	v_add_u32_e32 v5, v4, v6
	v_ashrrev_i32_e32 v5, 5, v5
	v_cmp_gt_i32_e32 vcc, s33, v4
	v_cndmask_b32_e32 v4, v7, v5, vcc
	v_ashrrev_i32_e32 v5, 31, v4
	v_lshlrev_b64 v[4:5], 2, v[4:5]
	v_mov_b32_e32 v11, s18
	v_add_co_u32_e32 v10, vcc, s17, v4
	v_or_b32_e32 v1, 48, v1
	v_addc_co_u32_e32 v11, vcc, v11, v5, vcc
	v_add_u32_e32 v4, v1, v6
	v_ashrrev_i32_e32 v4, 5, v4
	v_cmp_gt_i32_e32 vcc, s33, v1
	v_cndmask_b32_e32 v4, v7, v4, vcc
	v_ashrrev_i32_e32 v5, 31, v4
	v_lshlrev_b64 v[4:5], 2, v[4:5]
	v_mov_b32_e32 v1, s18
	v_add_co_u32_e32 v12, vcc, s17, v4
	v_addc_co_u32_e32 v13, vcc, v1, v5, vcc
	global_load_dword v7, v[2:3], off
	global_load_dword v6, v[8:9], off
	;; [unrolled: 1-line block ×4, first 2 shown]
	s_andn2_b64 vcc, exec, s[2:3]
	s_cbranch_vccnz .LBB156_8
; %bb.6:
	s_add_u32 s0, s0, s10
	s_addc_u32 s1, s1, s11
	s_load_dword s9, s[0:1], 0x0
	s_branch .LBB156_9
.LBB156_7:
	s_mov_b64 s[12:13], 0
	s_branch .LBB156_2
.LBB156_8:
	s_mov_b32 s9, s6
.LBB156_9:
	s_load_dwordx2 s[12:13], s[4:5], 0x8
	s_load_dwordx4 s[0:3], s[4:5], 0x48
	v_lshrrev_b32_e32 v85, 6, v0
	v_bfe_u32 v1, v0, 4, 2
	v_lshl_or_b32 v8, v85, 2, v1
	v_and_b32_e32 v84, 15, v0
	v_lshlrev_b32_e32 v2, 3, v84
	v_cmp_lt_u32_e32 vcc, 4, v8
	s_and_saveexec_b64 s[10:11], vcc
	s_xor_b64 s[10:11], exec, s[10:11]
; %bb.10:
	v_mov_b32_e32 v3, 0
                                        ; implicit-def: $vgpr8
; %bb.11:
	s_or_saveexec_b64 s[14:15], s[10:11]
	s_load_dwordx2 s[10:11], s[4:5], 0x10
	s_mul_i32 s27, s8, 5
	s_xor_b64 exec, exec, s[14:15]
	s_cbranch_execz .LBB156_13
; %bb.12:
	s_load_dwordx2 s[20:21], s[4:5], 0x0
	s_waitcnt lgkmcnt(0)
	s_ashr_i32 s3, s0, 31
	s_mul_hi_u32 s22, s9, s0
	s_mul_i32 s3, s9, s3
	s_add_i32 s23, s22, s3
	s_mul_i32 s22, s9, s0
	s_lshl_b64 s[22:23], s[22:23], 1
	v_add_lshl_u32 v10, v8, s27, 7
	s_add_u32 s0, s20, s22
	v_ashrrev_i32_e32 v11, 31, v10
	s_addc_u32 s3, s21, s23
	v_lshlrev_b64 v[10:11], 1, v[10:11]
	v_mov_b32_e32 v3, s3
	v_add_co_u32_e32 v9, vcc, s0, v10
	v_addc_co_u32_e32 v3, vcc, v3, v11, vcc
	v_lshlrev_b32_e32 v10, 1, v2
	v_add_co_u32_e32 v10, vcc, v9, v10
	v_addc_co_u32_e32 v11, vcc, 0, v3, vcc
	global_load_dwordx4 v[10:13], v[10:11], off
	v_and_b32_e32 v9, 3, v0
	v_lshlrev_b32_e32 v14, 9, v84
	v_lshlrev_b32_e32 v8, 5, v8
	;; [unrolled: 1-line block ×3, first 2 shown]
	v_and_b32_e32 v14, 0x1800, v14
	v_mov_b32_e32 v3, 0
	v_or3_b32 v8, v14, v9, v8
	s_waitcnt vmcnt(0)
	ds_write_b128 v8, v[10:13]
.LBB156_13:
	s_or_b64 exec, exec, s[14:15]
	s_waitcnt lgkmcnt(0)
	s_mul_i32 s2, s8, s2
	s_mov_b32 s3, 0
	s_lshl_b64 s[2:3], s[2:3], 1
	s_add_u32 s0, s12, s2
	s_waitcnt vmcnt(3)
	v_mad_i64_i32 v[8:9], s[8:9], v7, s1, 0
	s_addc_u32 s12, s13, s3
	v_lshlrev_b64 v[8:9], 1, v[8:9]
	v_mov_b32_e32 v7, s12
	v_add_co_u32_e32 v8, vcc, s0, v8
	v_addc_co_u32_e32 v7, vcc, v7, v9, vcc
	v_lshlrev_b64 v[14:15], 1, v[2:3]
	v_add_co_u32_e32 v8, vcc, v8, v14
	v_lshlrev_b32_e32 v12, 9, v1
	v_addc_co_u32_e32 v7, vcc, v7, v15, vcc
	v_add_co_u32_e32 v2, vcc, v8, v12
	v_addc_co_u32_e32 v3, vcc, 0, v7, vcc
	v_or_b32_e32 v10, 0x1000, v12
	s_barrier
	global_load_dwordx4 v[38:41], v[2:3], off
	global_load_dwordx4 v[30:33], v[2:3], off offset:2048
	v_add_co_u32_e32 v2, vcc, v8, v10
	v_addc_co_u32_e32 v3, vcc, 0, v7, vcc
	v_or_b32_e32 v11, 0x1800, v12
	v_add_co_u32_e32 v8, vcc, v8, v11
	v_addc_co_u32_e32 v9, vcc, 0, v7, vcc
	global_load_dwordx4 v[46:49], v[2:3], off
	global_load_dwordx4 v[58:61], v[8:9], off
	s_waitcnt vmcnt(6)
	v_mad_i64_i32 v[2:3], s[8:9], v6, s1, 0
	v_lshlrev_b64 v[2:3], 1, v[2:3]
	v_mov_b32_e32 v6, s12
	v_add_co_u32_e32 v2, vcc, s0, v2
	v_addc_co_u32_e32 v3, vcc, v6, v3, vcc
	v_mov_b32_e32 v6, 0x100
	v_lshl_or_b32 v8, v84, 4, v6
	v_add_co_u32_e32 v6, vcc, v2, v8
	v_addc_co_u32_e32 v7, vcc, 0, v3, vcc
	v_add_co_u32_e32 v2, vcc, v6, v12
	v_addc_co_u32_e32 v3, vcc, 0, v7, vcc
	global_load_dwordx4 v[74:77], v[2:3], off
	global_load_dwordx4 v[70:73], v[2:3], off offset:2048
	v_add_co_u32_e32 v2, vcc, v6, v10
	v_addc_co_u32_e32 v3, vcc, 0, v7, vcc
	v_add_co_u32_e32 v6, vcc, v6, v11
	v_addc_co_u32_e32 v7, vcc, 0, v7, vcc
	global_load_dwordx4 v[78:81], v[2:3], off
	global_load_dwordx4 v[66:69], v[6:7], off
	s_waitcnt vmcnt(9)
	v_mad_i64_i32 v[2:3], s[8:9], v5, s1, 0
	v_lshlrev_b64 v[2:3], 1, v[2:3]
	v_mov_b32_e32 v5, s12
	v_add_co_u32_e32 v2, vcc, s0, v2
	v_addc_co_u32_e32 v3, vcc, v5, v3, vcc
	v_add_co_u32_e32 v5, vcc, v2, v14
	buffer_store_dword v14, off, s[44:47], 0 ; 4-byte Folded Spill
	s_nop 0
	buffer_store_dword v15, off, s[44:47], 0 offset:4 ; 4-byte Folded Spill
	v_and_b32_e32 v94, 63, v0
	v_mov_b32_e32 v87, 0
	v_addc_co_u32_e32 v7, vcc, v3, v15, vcc
	v_add_co_u32_e32 v2, vcc, v5, v12
	v_addc_co_u32_e32 v3, vcc, 0, v7, vcc
	global_load_dwordx4 v[62:65], v[2:3], off
	global_load_dwordx4 v[42:45], v[2:3], off offset:2048
	v_add_co_u32_e32 v2, vcc, v5, v10
	v_addc_co_u32_e32 v3, vcc, 0, v7, vcc
	v_add_co_u32_e32 v6, vcc, v5, v11
	v_addc_co_u32_e32 v7, vcc, 0, v7, vcc
	global_load_dwordx4 v[26:29], v[2:3], off
	global_load_dwordx4 v[18:21], v[6:7], off
	s_waitcnt vmcnt(14)
	v_mad_i64_i32 v[2:3], s[8:9], v4, s1, 0
	v_lshlrev_b64 v[2:3], 1, v[2:3]
	v_mov_b32_e32 v4, s12
	v_add_co_u32_e32 v2, vcc, s0, v2
	v_addc_co_u32_e32 v3, vcc, v4, v3, vcc
	v_add_co_u32_e32 v4, vcc, v2, v8
	v_addc_co_u32_e32 v5, vcc, 0, v3, vcc
	;; [unrolled: 2-line block ×3, first 2 shown]
	global_load_dwordx4 v[14:17], v[2:3], off
	global_load_dwordx4 v[6:9], v[2:3], off offset:2048
	v_add_co_u32_e32 v2, vcc, v4, v10
	v_addc_co_u32_e32 v3, vcc, 0, v5, vcc
	v_add_co_u32_e32 v10, vcc, v4, v11
	v_addc_co_u32_e32 v11, vcc, 0, v5, vcc
	global_load_dwordx4 v[2:5], v[2:3], off
	s_nop 0
	global_load_dwordx4 v[50:53], v[10:11], off
	v_mul_lo_u16_e32 v10, 52, v84
	v_mov_b32_e32 v11, 5
	v_mul_lo_u16_sdwa v10, v10, v11 dst_sel:DWORD dst_unused:UNUSED_PAD src0_sel:BYTE_1 src1_sel:DWORD
	v_sub_u16_e32 v10, v84, v10
	v_and_b32_e32 v10, 0xff, v10
	v_lshl_add_u32 v54, v10, 5, v12
	ds_read_b128 v[34:37], v54
	ds_read_b128 v[22:25], v54 offset:2048
	ds_read_b128 v[10:13], v54 offset:4096
	;; [unrolled: 1-line block ×3, first 2 shown]
	v_cmp_gt_u32_e32 vcc, 5, v84
	s_and_saveexec_b64 s[8:9], vcc
	s_cbranch_execz .LBB156_15
; %bb.14:
	s_load_dwordx2 s[12:13], s[4:5], 0x40
	v_add_u32_e32 v82, s27, v84
	v_ashrrev_i32_e32 v83, 31, v82
	v_lshlrev_b64 v[82:83], 2, v[82:83]
	s_waitcnt lgkmcnt(0)
	v_mov_b32_e32 v87, s13
	v_add_co_u32_e32 v82, vcc, s12, v82
	v_addc_co_u32_e32 v83, vcc, v87, v83, vcc
	global_load_dword v87, v[82:83], off
.LBB156_15:
	s_or_b64 exec, exec, s[8:9]
	s_waitcnt vmcnt(17) lgkmcnt(3)
	v_mfma_f32_16x16x16f16 v[88:91], v[38:39], v[34:35], 0
	s_ashr_i32 s0, s16, 31
	s_lshr_b32 s0, s0, 27
	s_add_u32 s2, s10, s2
	s_addc_u32 s3, s11, s3
	s_mov_b32 s40, 0xff7fffff
	v_mfma_f32_16x16x16f16 v[38:41], v[40:41], v[36:37], v[88:91]
	s_waitcnt vmcnt(16) lgkmcnt(2)
	v_mfma_f32_16x16x16f16 v[38:41], v[30:31], v[22:23], v[38:41]
	s_nop 4
	v_lshl_or_b32 v88, v85, 4, v84
	v_mfma_f32_16x16x16f16 v[30:33], v[32:33], v[24:25], v[38:41]
	s_waitcnt vmcnt(15) lgkmcnt(1)
	v_mfma_f32_16x16x16f16 v[30:33], v[46:47], v[10:11], v[30:33]
	v_and_or_b32 v46, v0, 48, s16
	s_nop 3
	v_add_u32_e32 v38, s0, v46
	v_ashrrev_i32_e32 v38, 5, v38
	v_mov_b32_e32 v47, s19
	v_cmp_gt_i32_e32 vcc, s33, v46
	v_cndmask_b32_e32 v38, v47, v38, vcc
	v_ashrrev_i32_e32 v39, 31, v38
	v_mfma_f32_16x16x16f16 v[30:33], v[48:49], v[12:13], v[30:33]
	v_or_b32_e32 v40, 64, v46
	v_add_u32_e32 v41, s0, v40
	v_ashrrev_i32_e32 v41, 5, v41
	v_mov_b32_e32 v48, s18
	s_waitcnt vmcnt(14) lgkmcnt(0)
	v_mfma_f32_16x16x16f16 v[30:33], v[58:59], v[54:55], v[30:33]
	v_mfma_f32_16x16x16f16 v[58:61], v[60:61], v[56:57], v[30:33]
	s_waitcnt vmcnt(13)
	v_mfma_f32_16x16x16f16 v[30:33], v[74:75], v[34:35], 0
	v_mfma_f32_16x16x16f16 v[30:33], v[76:77], v[36:37], v[30:33]
	v_lshlrev_b32_e32 v76, 6, v88
	s_waitcnt vmcnt(12)
	v_mfma_f32_16x16x16f16 v[30:33], v[70:71], v[22:23], v[30:33]
	v_mfma_f32_16x16x16f16 v[30:33], v[72:73], v[24:25], v[30:33]
	s_waitcnt vmcnt(11)
	v_mfma_f32_16x16x16f16 v[30:33], v[78:79], v[10:11], v[30:33]
	v_mfma_f32_16x16x16f16 v[30:33], v[80:81], v[12:13], v[30:33]
	;; [unrolled: 3-line block ×3, first 2 shown]
	s_nop 7
	s_nop 1
	v_lshlrev_b64 v[30:31], 2, v[38:39]
	v_mov_b32_e32 v32, s18
	v_add_co_u32_e32 v38, vcc, s17, v30
	v_addc_co_u32_e32 v39, vcc, v32, v31, vcc
	v_cmp_gt_i32_e32 vcc, s33, v40
	v_cndmask_b32_e32 v40, v47, v41, vcc
	v_ashrrev_i32_e32 v41, 31, v40
	v_lshlrev_b64 v[40:41], 2, v[40:41]
	v_add_co_u32_e32 v40, vcc, s17, v40
	v_addc_co_u32_e32 v41, vcc, v48, v41, vcc
	global_load_dword v48, v[38:39], off
	s_nop 0
	global_load_dword v40, v[40:41], off
	v_or_b32_e32 v38, 0x80, v46
	v_add_u32_e32 v39, s0, v38
	v_ashrrev_i32_e32 v39, 5, v39
	v_cmp_gt_i32_e32 vcc, s33, v38
	v_cndmask_b32_e32 v38, v47, v39, vcc
	v_ashrrev_i32_e32 v39, 31, v38
	v_lshlrev_b64 v[38:39], 2, v[38:39]
	v_mov_b32_e32 v41, s18
	v_add_co_u32_e32 v38, vcc, s17, v38
	v_addc_co_u32_e32 v39, vcc, v41, v39, vcc
	s_waitcnt vmcnt(9)
	v_mfma_f32_16x16x16f16 v[30:33], v[62:63], v[34:35], 0
	global_load_dword v62, v[38:39], off
	v_or_b32_e32 v38, 0xc0, v46
	v_add_u32_e32 v39, s0, v38
	v_ashrrev_i32_e32 v39, 5, v39
	v_cmp_gt_i32_e32 vcc, s33, v38
	v_cndmask_b32_e32 v38, v47, v39, vcc
	v_ashrrev_i32_e32 v39, 31, v38
	v_mfma_f32_16x16x16f16 v[30:33], v[64:65], v[36:37], v[30:33]
	s_load_dword s0, s[4:5], 0x1c
	s_waitcnt lgkmcnt(0)
	v_pk_mul_f32 v[58:59], s[0:1], v[58:59] op_sel_hi:[0,1]
	s_waitcnt vmcnt(9)
	v_mfma_f32_16x16x16f16 v[30:33], v[42:43], v[22:23], v[30:33]
	v_mfma_f32_16x16x16f16 v[30:33], v[44:45], v[24:25], v[30:33]
	s_waitcnt vmcnt(8)
	v_mfma_f32_16x16x16f16 v[30:33], v[26:27], v[10:11], v[30:33]
	v_lshlrev_b64 v[26:27], 2, v[38:39]
	v_mov_b32_e32 v39, s18
	v_add_co_u32_e32 v38, vcc, s17, v26
	v_addc_co_u32_e32 v39, vcc, v39, v27, vcc
	global_load_dword v63, v[38:39], off
	v_mfma_f32_16x16x16f16 v[26:29], v[28:29], v[12:13], v[30:33]
	s_waitcnt vmcnt(8)
	v_mfma_f32_16x16x16f16 v[26:29], v[18:19], v[54:55], v[26:29]
	s_nop 4
	v_and_b32_e32 v30, 16, v0
	v_lshlrev_b32_e32 v30, 1, v30
	v_mov_b32_e32 v18, s3
	v_add_co_u32_e32 v74, vcc, s2, v30
	v_addc_co_u32_e32 v75, vcc, 0, v18, vcc
	v_mfma_f32_16x16x16f16 v[90:93], v[20:21], v[56:57], v[26:29]
	v_add_co_u32_e32 v77, vcc, v74, v76
	v_addc_co_u32_e32 v78, vcc, 0, v75, vcc
	s_waitcnt vmcnt(3)
	v_mad_i64_i32 v[18:19], s[2:3], v48, s1, 0
	v_lshlrev_b64 v[70:71], 1, v[18:19]
	v_mfma_f32_16x16x16f16 v[18:21], v[14:15], v[34:35], 0
	v_add_co_u32_e32 v14, vcc, v77, v70
	v_addc_co_u32_e32 v15, vcc, v78, v71, vcc
	global_load_dwordx4 v[46:49], v[14:15], off
	global_load_dwordx4 v[42:45], v[14:15], off offset:16
	s_waitcnt vmcnt(4)
	v_mad_i64_i32 v[14:15], s[2:3], v40, s1, 0
	v_lshlrev_b64 v[72:73], 1, v[14:15]
	v_mfma_f32_16x16x16f16 v[14:17], v[16:17], v[36:37], v[18:21]
	v_mfma_f32_16x16x16f16 v[14:17], v[6:7], v[22:23], v[14:17]
	s_nop 5
	v_add_co_u32_e32 v18, vcc, v77, v72
	v_addc_co_u32_e32 v19, vcc, v78, v73, vcc
	global_load_dwordx4 v[38:41], v[18:19], off
	global_load_dwordx4 v[34:37], v[18:19], off offset:16
	s_waitcnt vmcnt(5)
	v_mad_i64_i32 v[18:19], s[2:3], v62, s1, 0
	v_lshlrev_b64 v[64:65], 1, v[18:19]
	v_add_co_u32_e32 v6, vcc, v77, v64
	v_addc_co_u32_e32 v7, vcc, v78, v65, vcc
	global_load_dwordx4 v[30:33], v[6:7], off
	global_load_dwordx4 v[26:29], v[6:7], off offset:16
	v_mfma_f32_16x16x16f16 v[6:9], v[8:9], v[24:25], v[14:17]
	v_mfma_f32_16x16x16f16 v[6:9], v[2:3], v[10:11], v[6:9]
	v_or_b32_e32 v2, 0x1000, v76
	s_waitcnt vmcnt(6)
	s_nop 3
	v_mad_i64_i32 v[14:15], s[2:3], v63, s1, 0
	v_mfma_f32_16x16x16f16 v[10:13], v[4:5], v[12:13], v[6:9]
	v_lshlrev_b64 v[62:63], 1, v[14:15]
	v_add_co_u32_e32 v14, vcc, v77, v62
	v_addc_co_u32_e32 v15, vcc, v78, v63, vcc
	v_add_co_u32_e32 v89, vcc, v74, v2
	v_mfma_f32_16x16x16f16 v[80:83], v[50:51], v[54:55], v[10:13]
	v_addc_co_u32_e32 v86, vcc, 0, v75, vcc
	v_pk_mul_f32 v[74:75], s[0:1], v[68:69] op_sel_hi:[0,1]
	v_pk_mul_f32 v[76:77], s[0:1], v[66:67] op_sel_hi:[0,1]
	;; [unrolled: 1-line block ×3, first 2 shown]
	v_add_co_u32_e32 v2, vcc, v89, v70
	v_mfma_f32_16x16x16f16 v[50:53], v[52:53], v[56:57], v[80:83]
	v_addc_co_u32_e32 v3, vcc, v86, v71, vcc
	v_add_co_u32_e32 v70, vcc, v89, v72
	v_addc_co_u32_e32 v71, vcc, v86, v73, vcc
	global_load_dwordx4 v[22:25], v[14:15], off
	global_load_dwordx4 v[18:21], v[14:15], off offset:16
	s_nop 5
	v_pk_mul_f32 v[68:69], s[0:1], v[50:51] op_sel_hi:[0,1]
	v_and_b32_e32 v50, 0xc0, v0
	v_add_u32_e32 v50, s16, v50
	v_lshl_or_b32 v50, v1, 2, v50
	v_or_b32_e32 v51, 1, v50
	v_pk_mul_f32 v[66:67], s[0:1], v[52:53] op_sel_hi:[0,1]
	v_subrev_u32_e32 v52, s33, v51
	v_add_u32_e32 v54, 1, v52
	v_add_u32_e32 v55, 2, v52
	v_cvt_f32_i32_e32 v53, v52
	v_cvt_f32_i32_e32 v54, v54
	;; [unrolled: 1-line block ×3, first 2 shown]
	v_add_u32_e32 v56, 3, v52
	v_fma_f32 v58, v87, v53, v58
	v_fmac_f32_e32 v59, v87, v54
	v_fma_f32 v78, v87, v55, v78
	v_add_u32_e32 v53, 16, v52
	v_add_u32_e32 v54, 17, v52
	;; [unrolled: 1-line block ×3, first 2 shown]
	v_cvt_f32_i32_e32 v56, v56
	v_cvt_f32_i32_e32 v53, v53
	;; [unrolled: 1-line block ×4, first 2 shown]
	v_fmac_f32_e32 v79, v87, v56
	v_add_u32_e32 v56, 19, v52
	v_fma_f32 v76, v87, v53, v76
	v_fmac_f32_e32 v77, v87, v54
	v_fma_f32 v74, v87, v55, v74
	v_add_u32_e32 v53, 32, v52
	v_add_u32_e32 v54, 33, v52
	;; [unrolled: 1-line block ×3, first 2 shown]
	v_cvt_f32_i32_e32 v56, v56
	v_cvt_f32_i32_e32 v53, v53
	;; [unrolled: 1-line block ×4, first 2 shown]
	global_load_dwordx4 v[6:9], v[2:3], off
	s_nop 0
	global_load_dwordx4 v[2:5], v[2:3], off offset:16
	s_nop 0
	global_load_dwordx4 v[14:17], v[70:71], off
	global_load_dwordx4 v[10:13], v[70:71], off offset:16
	v_pk_mul_f32 v[70:71], s[0:1], v[92:93] op_sel_hi:[0,1]
	v_pk_mul_f32 v[72:73], s[0:1], v[90:91] op_sel_hi:[0,1]
	v_fmac_f32_e32 v75, v87, v56
	v_add_u32_e32 v56, 35, v52
	v_fma_f32 v72, v87, v53, v72
	v_fmac_f32_e32 v73, v87, v54
	v_fma_f32 v70, v87, v55, v70
	v_add_u32_e32 v53, 48, v52
	v_add_u32_e32 v54, 49, v52
	;; [unrolled: 1-line block ×4, first 2 shown]
	v_cvt_f32_i32_e32 v52, v52
	v_cvt_f32_i32_e32 v53, v53
	;; [unrolled: 1-line block ×3, first 2 shown]
	v_cmp_gt_i32_e64 s[28:29], s33, v50
	v_fmac_f32_e32 v67, v87, v52
	v_mov_b32_e32 v52, 0xff7fffff
	v_cmp_gt_i32_e64 s[30:31], s33, v51
	v_fma_f32 v68, v87, v53, v68
	v_cndmask_b32_e64 v53, v52, v58, s[28:29]
	v_cndmask_b32_e64 v51, v52, v59, s[30:31]
	v_fmac_f32_e32 v69, v87, v54
	v_max3_f32 v51, v53, s40, v51
	v_or_b32_e32 v53, 2, v50
	v_or_b32_e32 v54, 3, v50
	v_cmp_gt_i32_e64 s[34:35], s33, v53
	v_cmp_gt_i32_e64 s[36:37], s33, v54
	v_cndmask_b32_e64 v53, v52, v78, s[34:35]
	v_cndmask_b32_e64 v54, v52, v79, s[36:37]
	v_max3_f32 v51, v51, v53, v54
	v_or_b32_e32 v53, 16, v50
	v_or_b32_e32 v54, 17, v50
	v_cmp_gt_i32_e64 s[22:23], s33, v53
	v_cmp_gt_i32_e64 s[24:25], s33, v54
	v_cndmask_b32_e64 v53, v52, v76, s[22:23]
	v_cndmask_b32_e64 v54, v52, v77, s[24:25]
	;; [unrolled: 7-line block ×3, first 2 shown]
	v_cvt_f32_i32_e32 v56, v56
	v_max3_f32 v51, v51, v53, v54
	v_or_b32_e32 v53, 32, v50
	v_or_b32_e32 v54, 33, v50
	v_cmp_gt_i32_e64 s[14:15], s33, v53
	v_cmp_gt_i32_e64 s[16:17], s33, v54
	v_cndmask_b32_e64 v53, v52, v72, s[14:15]
	v_cndmask_b32_e64 v54, v52, v73, s[16:17]
	v_max3_f32 v51, v51, v53, v54
	v_or_b32_e32 v53, 34, v50
	v_or_b32_e32 v54, 35, v50
	v_fmac_f32_e32 v71, v87, v56
	v_cmp_gt_i32_e64 s[10:11], s33, v53
	v_cmp_gt_i32_e64 s[12:13], s33, v54
	v_cndmask_b32_e64 v53, v52, v70, s[10:11]
	v_cndmask_b32_e64 v54, v52, v71, s[12:13]
	v_cvt_f32_i32_e32 v55, v55
	v_max3_f32 v51, v51, v53, v54
	v_or_b32_e32 v53, 48, v50
	v_or_b32_e32 v54, 49, v50
	v_cmp_gt_i32_e64 s[2:3], s33, v53
	v_cmp_gt_i32_e64 s[8:9], s33, v54
	v_cndmask_b32_e64 v53, v52, v68, s[2:3]
	v_cndmask_b32_e64 v54, v52, v69, s[8:9]
	v_max3_f32 v51, v51, v53, v54
	v_or_b32_e32 v53, 50, v50
	v_or_b32_e32 v50, 51, v50
	v_fma_f32 v66, v87, v55, v66
	v_cmp_gt_i32_e32 vcc, s33, v53
	v_cmp_gt_i32_e64 s[0:1], s33, v50
	v_cndmask_b32_e32 v53, v52, v66, vcc
	v_cndmask_b32_e64 v50, v52, v67, s[0:1]
	v_max3_f32 v60, v51, v53, v50
	v_mbcnt_lo_u32_b32 v50, -1, 0
	v_mbcnt_hi_u32_b32 v61, -1, v50
	v_and_b32_e32 v50, 64, v61
	v_add_u32_e32 v80, 64, v50
	v_xor_b32_e32 v50, 32, v61
	v_cmp_lt_i32_e64 s[38:39], v50, v80
	v_cndmask_b32_e64 v50, v61, v50, s[38:39]
	v_lshlrev_b32_e32 v82, 2, v50
	ds_bpermute_b32 v81, v82, v60
	v_add_co_u32_e64 v50, s[38:39], v89, v64
	v_addc_co_u32_e64 v51, s[38:39], v86, v65, s[38:39]
	s_waitcnt lgkmcnt(0)
	v_max_f32_e32 v64, v81, v81
	v_max_f32_e32 v64, v60, v64
	v_xor_b32_e32 v60, 16, v61
	v_cmp_lt_i32_e64 s[38:39], v60, v80
	v_cndmask_b32_e64 v60, v61, v60, s[38:39]
	v_lshlrev_b32_e32 v83, 2, v60
	ds_bpermute_b32 v65, v83, v64
	v_add_co_u32_e64 v60, s[38:39], v89, v62
	v_addc_co_u32_e64 v61, s[38:39], v86, v63, s[38:39]
	s_waitcnt lgkmcnt(0)
	v_max_f32_e32 v62, v65, v65
	v_max_f32_e32 v87, v64, v62
	v_sub_f32_e32 v58, v58, v87
	v_mul_f32_e32 v58, 0x3fb8aa3b, v58
	v_exp_f32_e32 v80, v58
	v_sub_f32_e32 v58, v59, v87
	v_mul_f32_e32 v58, 0x3fb8aa3b, v58
	global_load_dwordx4 v[54:57], v[50:51], off
	s_nop 0
	global_load_dwordx4 v[50:53], v[50:51], off offset:16
	v_exp_f32_e32 v81, v58
	global_load_dwordx4 v[62:65], v[60:61], off
	s_nop 0
	global_load_dwordx4 v[58:61], v[60:61], off offset:16
	v_sub_f32_e32 v78, v78, v87
	v_mul_f32_e32 v78, 0x3fb8aa3b, v78
	v_sub_f32_e32 v79, v79, v87
	v_exp_f32_e32 v78, v78
	v_mul_f32_e32 v79, 0x3fb8aa3b, v79
	v_sub_f32_e32 v76, v76, v87
	v_exp_f32_e32 v79, v79
	v_mul_f32_e32 v76, 0x3fb8aa3b, v76
	v_sub_f32_e32 v77, v77, v87
	v_cndmask_b32_e64 v80, 0, v80, s[28:29]
	v_exp_f32_e32 v76, v76
	v_mul_f32_e32 v77, 0x3fb8aa3b, v77
	v_sub_f32_e32 v74, v74, v87
	v_add_f32_e32 v86, 0, v80
	v_cndmask_b32_e64 v81, 0, v81, s[30:31]
	v_exp_f32_e32 v77, v77
	v_mul_f32_e32 v74, 0x3fb8aa3b, v74
	v_sub_f32_e32 v75, v75, v87
	v_add_f32_e32 v86, v86, v81
	;; [unrolled: 5-line block ×10, first 2 shown]
	v_cndmask_b32_e64 v70, 0, v70, s[10:11]
	v_exp_f32_e32 v66, v66
	v_mul_f32_e32 v67, 0x3fb8aa3b, v67
	v_add_f32_e32 v86, v86, v70
	v_cndmask_b32_e64 v71, 0, v71, s[12:13]
	v_exp_f32_e32 v67, v67
	v_add_f32_e32 v86, v86, v71
	v_cndmask_b32_e64 v68, 0, v68, s[2:3]
	v_add_f32_e32 v86, v86, v68
	v_cndmask_b32_e64 v69, 0, v69, s[8:9]
	v_add_f32_e32 v86, v86, v69
	v_cndmask_b32_e32 v66, 0, v66, vcc
	v_add_f32_e32 v86, v86, v66
	v_cndmask_b32_e64 v67, 0, v67, s[0:1]
	v_add_f32_e32 v86, v86, v67
	ds_bpermute_b32 v82, v82, v86
	s_load_dword s9, s[4:5], 0x98
	v_cmp_gt_u32_e64 s[0:1], 16, v94
	s_waitcnt lgkmcnt(0)
	s_barrier
	v_add_f32_e32 v89, v86, v82
	ds_bpermute_b32 v90, v83, v89
	s_waitcnt lgkmcnt(0)
	s_and_saveexec_b64 s[2:3], s[0:1]
	s_cbranch_execz .LBB156_17
; %bb.16:
	v_add_f32_e32 v82, v89, v90
	v_lshlrev_b32_e32 v83, 2, v88
	ds_write2st64_b32 v83, v87, v82 offset1:1
.LBB156_17:
	s_or_b64 exec, exec, s[2:3]
	v_lshlrev_b32_e32 v87, 2, v84
	s_load_dword s8, s[4:5], 0x94
	s_waitcnt lgkmcnt(0)
	s_barrier
	ds_read2_b32 v[82:83], v87 offset1:16
	ds_read2_b32 v[88:89], v87 offset0:32 offset1:48
	ds_read2_b32 v[90:91], v87 offset0:64 offset1:80
	s_mul_i32 s9, s9, 5
	s_waitcnt lgkmcnt(2)
	v_max3_f32 v86, v82, s40, v83
	s_waitcnt lgkmcnt(1)
	v_max3_f32 v86, v86, v88, v89
	v_sub_f32_e32 v82, v82, v86
	v_mul_f32_e32 v82, 0x3fb8aa3b, v82
	v_exp_f32_e32 v92, v82
	v_sub_f32_e32 v82, v83, v86
	v_mul_f32_e32 v82, 0x3fb8aa3b, v82
	v_exp_f32_e32 v93, v82
	;; [unrolled: 3-line block ×3, first 2 shown]
	ds_read2_b32 v[82:83], v87 offset0:96 offset1:112
	v_sub_f32_e32 v87, v89, v86
	v_mul_f32_e32 v87, 0x3fb8aa3b, v87
	v_exp_f32_e32 v89, v87
	s_waitcnt lgkmcnt(1)
	v_fma_f32 v87, v92, v90, 0
	v_fmac_f32_e32 v87, v93, v91
	s_waitcnt lgkmcnt(0)
	v_fmac_f32_e32 v87, v88, v82
	v_fmac_f32_e32 v87, v89, v83
	v_add_f32_e32 v82, 0x358637bd, v87
	v_div_scale_f32 v83, s[2:3], v82, v82, 1.0
	v_rcp_f32_e32 v90, v83
	s_barrier
	v_fma_f32 v91, -v83, v90, 1.0
	v_fmac_f32_e32 v90, v91, v90
	v_div_scale_f32 v91, vcc, 1.0, v82, 1.0
	v_mul_f32_e32 v94, v91, v90
	v_fma_f32 v95, -v83, v94, v91
	v_fmac_f32_e32 v94, v95, v90
	v_fma_f32 v83, -v83, v94, v91
	v_div_fmas_f32 v83, v83, v90, v94
	v_cmp_eq_u32_e32 vcc, 1, v85
	v_div_fixup_f32 v82, v83, v82, 1.0
	v_cndmask_b32_e32 v83, v92, v93, vcc
	v_cmp_eq_u32_e32 vcc, 2, v85
	v_cndmask_b32_e32 v83, v83, v88, vcc
	v_cmp_eq_u32_e32 vcc, 3, v85
	v_cndmask_b32_e32 v83, v83, v89, vcc
	v_mul_f32_e32 v82, v83, v82
	v_pk_mul_f32 v[78:79], v[82:83], v[78:79] op_sel_hi:[0,1]
	v_pk_mul_f32 v[80:81], v[82:83], v[80:81] op_sel_hi:[0,1]
	v_cvt_f16_f32_e32 v80, v80
	v_cvt_f16_f32_e32 v81, v81
	;; [unrolled: 1-line block ×4, first 2 shown]
	v_pk_mul_f32 v[74:75], v[82:83], v[74:75] op_sel_hi:[0,1]
	v_pk_mul_f32 v[76:77], v[82:83], v[76:77] op_sel_hi:[0,1]
	v_cvt_f16_f32_e32 v76, v76
	v_cvt_f16_f32_e32 v77, v77
	;; [unrolled: 1-line block ×4, first 2 shown]
	v_pack_b32_f16 v80, v80, v81
	v_pack_b32_f16 v81, v78, v79
	v_lshlrev_b32_e32 v79, 3, v1
	v_lshlrev_b32_e32 v78, 5, v84
	;; [unrolled: 1-line block ×3, first 2 shown]
	v_or3_b32 v74, v74, v78, v79
	v_pack_b32_f16 v76, v76, v77
	v_pack_b32_f16 v77, v83, v75
	v_pk_mul_f32 v[70:71], v[82:83], v[70:71] op_sel_hi:[0,1]
	v_pk_mul_f32 v[72:73], v[82:83], v[72:73] op_sel_hi:[0,1]
	;; [unrolled: 1-line block ×4, first 2 shown]
	ds_write2st64_b64 v74, v[80:81], v[76:77] offset1:1
	v_cvt_f16_f32_e32 v72, v72
	v_cvt_f16_f32_e32 v73, v73
	v_cvt_f16_f32_e32 v70, v70
	v_cvt_f16_f32_e32 v71, v71
	v_cvt_f16_f32_e32 v68, v68
	v_cvt_f16_f32_e32 v69, v69
	v_cvt_f16_f32_e32 v75, v66
	v_cvt_f16_f32_e32 v76, v67
	v_pack_b32_f16 v66, v72, v73
	v_pack_b32_f16 v67, v70, v71
	;; [unrolled: 1-line block ×4, first 2 shown]
	v_cmp_gt_u32_e32 vcc, 5, v0
	ds_write2st64_b64 v74, v[66:67], v[68:69] offset0:2 offset1:3
	s_and_saveexec_b64 s[2:3], vcc
	s_cbranch_execz .LBB156_19
; %bb.18:
	v_add_co_u32_e32 v68, vcc, s27, v84
	v_addc_co_u32_e64 v69, s[10:11], 0, 0, vcc
	v_mov_b32_e32 v66, s9
	v_mov_b32_e32 v67, 0
	v_mad_u64_u32 v[68:69], s[10:11], s6, v66, v[68:69]
	v_mov_b32_e32 v66, s26
	s_load_dwordx4 s[12:15], s[4:5], 0x58
	s_mul_i32 s7, s7, s9
	v_mad_u64_u32 v[66:67], s[10:11], v68, s8, v[66:67]
	v_add_u32_e32 v69, s7, v69
	v_mov_b32_e32 v68, v67
	v_mad_u64_u32 v[68:69], s[10:11], v69, s8, v[68:69]
	v_mov_b32_e32 v67, v68
	v_lshlrev_b64 v[66:67], 2, v[66:67]
	s_waitcnt lgkmcnt(0)
	v_mov_b32_e32 v69, s15
	v_add_co_u32_e32 v68, vcc, s14, v66
	v_addc_co_u32_e32 v69, vcc, v69, v67, vcc
	global_store_dword v[68:69], v86, off
	v_mov_b32_e32 v68, s13
	v_add_co_u32_e32 v66, vcc, s12, v66
	v_addc_co_u32_e32 v67, vcc, v68, v67, vcc
	global_store_dword v[66:67], v87, off
.LBB156_19:
	s_or_b64 exec, exec, s[2:3]
	v_lshl_or_b32 v75, v1, 9, v78
	s_waitcnt lgkmcnt(0)
	s_barrier
	ds_read_b128 v[70:73], v75
	ds_read_b128 v[66:69], v75 offset:16
	s_waitcnt vmcnt(15) lgkmcnt(1)
	v_mfma_f32_16x16x16f16 v[76:79], v[46:47], v[70:71], 0
	s_mov_b32 s3, 0
	v_cmp_gt_u32_e32 vcc, 64, v0
	v_mfma_f32_16x16x16f16 v[46:49], v[48:49], v[72:73], v[76:79]
	s_waitcnt vmcnt(14) lgkmcnt(0)
	v_mfma_f32_16x16x16f16 v[46:49], v[42:43], v[66:67], v[46:49]
	v_mfma_f32_16x16x16f16 v[42:45], v[44:45], v[68:69], v[46:49]
	s_nop 7
	s_nop 1
	ds_read_b128 v[46:49], v75 offset:2048
	ds_read_b128 v[76:79], v75 offset:2064
	s_waitcnt vmcnt(13) lgkmcnt(1)
	v_mfma_f32_16x16x16f16 v[42:45], v[38:39], v[46:47], v[42:45]
	v_mfma_f32_16x16x16f16 v[38:41], v[40:41], v[48:49], v[42:45]
	s_waitcnt vmcnt(12) lgkmcnt(0)
	v_mfma_f32_16x16x16f16 v[38:41], v[34:35], v[76:77], v[38:41]
	v_mfma_f32_16x16x16f16 v[34:37], v[36:37], v[78:79], v[38:41]
	s_nop 7
	s_nop 1
	ds_read_b128 v[38:41], v75 offset:4096
	ds_read_b128 v[42:45], v75 offset:4112
	s_waitcnt vmcnt(11) lgkmcnt(1)
	v_mfma_f32_16x16x16f16 v[34:37], v[30:31], v[38:39], v[34:37]
	v_mfma_f32_16x16x16f16 v[30:33], v[32:33], v[40:41], v[34:37]
	s_waitcnt vmcnt(10) lgkmcnt(0)
	v_mfma_f32_16x16x16f16 v[30:33], v[26:27], v[42:43], v[30:33]
	v_mfma_f32_16x16x16f16 v[26:29], v[28:29], v[44:45], v[30:33]
	s_nop 7
	s_nop 1
	ds_read_b128 v[30:33], v75 offset:6144
	ds_read_b128 v[34:37], v75 offset:6160
	s_waitcnt lgkmcnt(0)
	s_barrier
	s_waitcnt vmcnt(9)
	v_mfma_f32_16x16x16f16 v[26:29], v[22:23], v[30:31], v[26:29]
	v_mfma_f32_16x16x16f16 v[22:25], v[24:25], v[32:33], v[26:29]
	s_waitcnt vmcnt(8)
	v_mfma_f32_16x16x16f16 v[22:25], v[18:19], v[34:35], v[22:25]
	v_mfma_f32_16x16x16f16 v[18:21], v[20:21], v[36:37], v[22:25]
	;; [unrolled: 3-line block ×4, first 2 shown]
	s_waitcnt vmcnt(5)
	v_mfma_f32_16x16x16f16 v[2:5], v[14:15], v[46:47], v[2:5]
	s_nop 7
	v_cvt_f16_f32_e32 v6, v18
	v_cvt_f16_f32_e32 v7, v19
	;; [unrolled: 1-line block ×4, first 2 shown]
	v_mfma_f32_16x16x16f16 v[2:5], v[16:17], v[48:49], v[2:5]
	s_waitcnt vmcnt(4)
	v_mfma_f32_16x16x16f16 v[2:5], v[10:11], v[76:77], v[2:5]
	v_mfma_f32_16x16x16f16 v[2:5], v[12:13], v[78:79], v[2:5]
	s_waitcnt vmcnt(3)
	v_mfma_f32_16x16x16f16 v[2:5], v[54:55], v[38:39], v[2:5]
	;; [unrolled: 3-line block ×5, first 2 shown]
	v_mfma_f32_16x16x16f16 v[2:5], v[60:61], v[36:37], v[2:5]
	s_nop 7
	s_nop 2
	v_cvt_f16_f32_e32 v10, v2
	v_cvt_f16_f32_e32 v11, v3
	;; [unrolled: 1-line block ×4, first 2 shown]
	v_pack_b32_f16 v2, v6, v7
	v_pack_b32_f16 v3, v8, v9
	;; [unrolled: 1-line block ×4, first 2 shown]
	ds_write2st64_b64 v74, v[2:3], v[4:5] offset1:1
	s_waitcnt lgkmcnt(0)
	s_barrier
	s_and_saveexec_b64 s[10:11], vcc
	s_cbranch_execz .LBB156_22
; %bb.20:
	v_lshlrev_b32_e32 v4, 6, v84
	v_lshlrev_b32_e32 v3, 4, v0
	v_lshl_or_b32 v0, v0, 10, v4
	buffer_load_dword v4, off, s[44:47], 0  ; 4-byte Folded Reload
	buffer_load_dword v5, off, s[44:47], 0 offset:4 ; 4-byte Folded Reload
	s_load_dwordx2 s[10:11], s[4:5], 0x68
	s_lshl_b32 s4, s8, 7
	s_mul_i32 s2, s9, s6
	s_mul_hi_u32 s7, s2, s4
	s_mul_i32 s6, s2, s4
	s_lshl_b64 s[6:7], s[6:7], 1
	s_waitcnt lgkmcnt(0)
	s_add_u32 s5, s10, s6
	s_addc_u32 s6, s11, s7
	s_lshl_b32 s2, s26, 7
	s_lshl_b64 s[2:3], s[2:3], 1
	s_add_u32 s2, s5, s2
	v_lshlrev_b32_e32 v2, 5, v1
	v_and_b32_e32 v3, 16, v3
	v_and_b32_e32 v0, 0x1a00, v0
	s_addc_u32 s3, s6, s3
	v_or3_b32 v0, v0, v2, v3
	v_mov_b32_e32 v3, s3
	v_add_u32_e32 v8, s27, v1
	s_waitcnt vmcnt(1)
	v_add_co_u32_e32 v2, vcc, s2, v4
	s_waitcnt vmcnt(0)
	v_addc_co_u32_e32 v3, vcc, v3, v5, vcc
	ds_read_b128 v[4:7], v0
	v_mad_u64_u32 v[8:9], s[2:3], v8, s4, 0
	v_lshlrev_b64 v[8:9], 1, v[8:9]
	v_add_co_u32_e32 v8, vcc, v2, v8
	v_addc_co_u32_e32 v9, vcc, v3, v9, vcc
	s_waitcnt lgkmcnt(0)
	global_store_dwordx4 v[8:9], v[4:7], off
	s_and_b64 exec, exec, s[0:1]
	s_cbranch_execz .LBB156_22
; %bb.21:
	ds_read_b128 v[4:7], v0 offset:128
	v_add3_u32 v0, s27, v1, 4
	v_mad_u64_u32 v[0:1], s[0:1], v0, s4, 0
	v_lshlrev_b64 v[0:1], 1, v[0:1]
	v_add_co_u32_e32 v0, vcc, v2, v0
	v_addc_co_u32_e32 v1, vcc, v3, v1, vcc
	s_waitcnt lgkmcnt(0)
	global_store_dwordx4 v[0:1], v[4:7], off
.LBB156_22:
	s_endpgm
	.section	.rodata,"a",@progbits
	.p2align	6, 0x0
	.amdhsa_kernel _Z39paged_attention_ll4mi_QKV_mfma16_kernelIDF16_DF16_LN4vllm18Fp8KVCacheDataTypeE0EDF16_Li32ELi128ELi256ELb1ELi5EL8MFMAType0EEvPKT_PKT0_S8_ifPKiSA_SA_iPKfiiiPfSD_PS3_PT2_iSC_SC_
		.amdhsa_group_segment_fixed_size 8192
		.amdhsa_private_segment_fixed_size 12
		.amdhsa_kernarg_size 400
		.amdhsa_user_sgpr_count 6
		.amdhsa_user_sgpr_private_segment_buffer 1
		.amdhsa_user_sgpr_dispatch_ptr 0
		.amdhsa_user_sgpr_queue_ptr 0
		.amdhsa_user_sgpr_kernarg_segment_ptr 1
		.amdhsa_user_sgpr_dispatch_id 0
		.amdhsa_user_sgpr_flat_scratch_init 0
		.amdhsa_user_sgpr_kernarg_preload_length 0
		.amdhsa_user_sgpr_kernarg_preload_offset 0
		.amdhsa_user_sgpr_private_segment_size 0
		.amdhsa_uses_dynamic_stack 0
		.amdhsa_system_sgpr_private_segment_wavefront_offset 1
		.amdhsa_system_sgpr_workgroup_id_x 1
		.amdhsa_system_sgpr_workgroup_id_y 1
		.amdhsa_system_sgpr_workgroup_id_z 1
		.amdhsa_system_sgpr_workgroup_info 0
		.amdhsa_system_vgpr_workitem_id 0
		.amdhsa_next_free_vgpr 96
		.amdhsa_next_free_sgpr 48
		.amdhsa_accum_offset 96
		.amdhsa_reserve_vcc 1
		.amdhsa_reserve_flat_scratch 0
		.amdhsa_float_round_mode_32 0
		.amdhsa_float_round_mode_16_64 0
		.amdhsa_float_denorm_mode_32 3
		.amdhsa_float_denorm_mode_16_64 3
		.amdhsa_dx10_clamp 1
		.amdhsa_ieee_mode 1
		.amdhsa_fp16_overflow 0
		.amdhsa_tg_split 0
		.amdhsa_exception_fp_ieee_invalid_op 0
		.amdhsa_exception_fp_denorm_src 0
		.amdhsa_exception_fp_ieee_div_zero 0
		.amdhsa_exception_fp_ieee_overflow 0
		.amdhsa_exception_fp_ieee_underflow 0
		.amdhsa_exception_fp_ieee_inexact 0
		.amdhsa_exception_int_div_zero 0
	.end_amdhsa_kernel
	.section	.text._Z39paged_attention_ll4mi_QKV_mfma16_kernelIDF16_DF16_LN4vllm18Fp8KVCacheDataTypeE0EDF16_Li32ELi128ELi256ELb1ELi5EL8MFMAType0EEvPKT_PKT0_S8_ifPKiSA_SA_iPKfiiiPfSD_PS3_PT2_iSC_SC_,"axG",@progbits,_Z39paged_attention_ll4mi_QKV_mfma16_kernelIDF16_DF16_LN4vllm18Fp8KVCacheDataTypeE0EDF16_Li32ELi128ELi256ELb1ELi5EL8MFMAType0EEvPKT_PKT0_S8_ifPKiSA_SA_iPKfiiiPfSD_PS3_PT2_iSC_SC_,comdat
.Lfunc_end156:
	.size	_Z39paged_attention_ll4mi_QKV_mfma16_kernelIDF16_DF16_LN4vllm18Fp8KVCacheDataTypeE0EDF16_Li32ELi128ELi256ELb1ELi5EL8MFMAType0EEvPKT_PKT0_S8_ifPKiSA_SA_iPKfiiiPfSD_PS3_PT2_iSC_SC_, .Lfunc_end156-_Z39paged_attention_ll4mi_QKV_mfma16_kernelIDF16_DF16_LN4vllm18Fp8KVCacheDataTypeE0EDF16_Li32ELi128ELi256ELb1ELi5EL8MFMAType0EEvPKT_PKT0_S8_ifPKiSA_SA_iPKfiiiPfSD_PS3_PT2_iSC_SC_
                                        ; -- End function
	.section	.AMDGPU.csdata,"",@progbits
; Kernel info:
; codeLenInByte = 5092
; NumSgprs: 52
; NumVgprs: 96
; NumAgprs: 0
; TotalNumVgprs: 96
; ScratchSize: 12
; MemoryBound: 0
; FloatMode: 240
; IeeeMode: 1
; LDSByteSize: 8192 bytes/workgroup (compile time only)
; SGPRBlocks: 6
; VGPRBlocks: 11
; NumSGPRsForWavesPerEU: 52
; NumVGPRsForWavesPerEU: 96
; AccumOffset: 96
; Occupancy: 5
; WaveLimiterHint : 1
; COMPUTE_PGM_RSRC2:SCRATCH_EN: 1
; COMPUTE_PGM_RSRC2:USER_SGPR: 6
; COMPUTE_PGM_RSRC2:TRAP_HANDLER: 0
; COMPUTE_PGM_RSRC2:TGID_X_EN: 1
; COMPUTE_PGM_RSRC2:TGID_Y_EN: 1
; COMPUTE_PGM_RSRC2:TGID_Z_EN: 1
; COMPUTE_PGM_RSRC2:TIDIG_COMP_CNT: 0
; COMPUTE_PGM_RSRC3_GFX90A:ACCUM_OFFSET: 23
; COMPUTE_PGM_RSRC3_GFX90A:TG_SPLIT: 0
	.section	.text._Z39paged_attention_ll4mi_QKV_mfma16_kernelIDF16_DF16_LN4vllm18Fp8KVCacheDataTypeE0EDF16_Li32ELi128ELi256ELb1ELi6EL8MFMAType0EEvPKT_PKT0_S8_ifPKiSA_SA_iPKfiiiPfSD_PS3_PT2_iSC_SC_,"axG",@progbits,_Z39paged_attention_ll4mi_QKV_mfma16_kernelIDF16_DF16_LN4vllm18Fp8KVCacheDataTypeE0EDF16_Li32ELi128ELi256ELb1ELi6EL8MFMAType0EEvPKT_PKT0_S8_ifPKiSA_SA_iPKfiiiPfSD_PS3_PT2_iSC_SC_,comdat
	.protected	_Z39paged_attention_ll4mi_QKV_mfma16_kernelIDF16_DF16_LN4vllm18Fp8KVCacheDataTypeE0EDF16_Li32ELi128ELi256ELb1ELi6EL8MFMAType0EEvPKT_PKT0_S8_ifPKiSA_SA_iPKfiiiPfSD_PS3_PT2_iSC_SC_ ; -- Begin function _Z39paged_attention_ll4mi_QKV_mfma16_kernelIDF16_DF16_LN4vllm18Fp8KVCacheDataTypeE0EDF16_Li32ELi128ELi256ELb1ELi6EL8MFMAType0EEvPKT_PKT0_S8_ifPKiSA_SA_iPKfiiiPfSD_PS3_PT2_iSC_SC_
	.globl	_Z39paged_attention_ll4mi_QKV_mfma16_kernelIDF16_DF16_LN4vllm18Fp8KVCacheDataTypeE0EDF16_Li32ELi128ELi256ELb1ELi6EL8MFMAType0EEvPKT_PKT0_S8_ifPKiSA_SA_iPKfiiiPfSD_PS3_PT2_iSC_SC_
	.p2align	8
	.type	_Z39paged_attention_ll4mi_QKV_mfma16_kernelIDF16_DF16_LN4vllm18Fp8KVCacheDataTypeE0EDF16_Li32ELi128ELi256ELb1ELi6EL8MFMAType0EEvPKT_PKT0_S8_ifPKiSA_SA_iPKfiiiPfSD_PS3_PT2_iSC_SC_,@function
_Z39paged_attention_ll4mi_QKV_mfma16_kernelIDF16_DF16_LN4vllm18Fp8KVCacheDataTypeE0EDF16_Li32ELi128ELi256ELb1ELi6EL8MFMAType0EEvPKT_PKT0_S8_ifPKiSA_SA_iPKfiiiPfSD_PS3_PT2_iSC_SC_: ; @_Z39paged_attention_ll4mi_QKV_mfma16_kernelIDF16_DF16_LN4vllm18Fp8KVCacheDataTypeE0EDF16_Li32ELi128ELi256ELb1ELi6EL8MFMAType0EEvPKT_PKT0_S8_ifPKiSA_SA_iPKfiiiPfSD_PS3_PT2_iSC_SC_
; %bb.0:
	s_mov_b64 s[46:47], s[2:3]
	s_mov_b64 s[44:45], s[0:1]
	s_load_dwordx2 s[0:1], s[4:5], 0x30
	s_add_u32 s44, s44, s9
	s_addc_u32 s45, s45, 0
	s_mov_b32 s26, s7
	s_mov_b64 s[10:11], 0
	s_waitcnt lgkmcnt(0)
	s_cmp_lg_u64 s[0:1], 0
	s_cselect_b64 s[2:3], -1, 0
	s_and_b64 vcc, exec, s[2:3]
	s_cbranch_vccz .LBB157_7
; %bb.1:
	s_add_i32 s12, s6, 1
	s_mov_b32 s13, 0
	s_lshl_b64 s[14:15], s[12:13], 2
	s_add_u32 s14, s0, s14
	s_mov_b32 s7, s13
	s_addc_u32 s15, s1, s15
	s_lshl_b64 s[12:13], s[6:7], 2
	s_add_u32 s12, s0, s12
	s_addc_u32 s13, s1, s13
	s_load_dword s9, s[14:15], 0x0
	s_load_dword s16, s[12:13], 0x0
	s_waitcnt lgkmcnt(0)
	s_sub_i32 s9, s9, s16
	s_cmp_eq_u32 s9, 1
	s_cselect_b64 s[12:13], -1, 0
	s_andn2_b64 vcc, exec, s[10:11]
	s_cbranch_vccnz .LBB157_3
.LBB157_2:
	s_mov_b32 s7, 0
	s_mov_b64 s[12:13], -1
.LBB157_3:
	s_andn2_b64 vcc, exec, s[12:13]
	s_cbranch_vccnz .LBB157_22
; %bb.4:
	s_load_dwordx2 s[12:13], s[4:5], 0x28
	s_lshl_b64 s[10:11], s[6:7], 2
	s_waitcnt lgkmcnt(0)
	s_add_u32 s12, s12, s10
	s_addc_u32 s13, s13, s11
	s_load_dword s33, s[12:13], 0x0
	s_lshl_b32 s16, s26, 8
	s_waitcnt lgkmcnt(0)
	s_cmp_ge_i32 s16, s33
	s_cbranch_scc1 .LBB157_22
; %bb.5:
	s_add_i32 s14, s33, 31
	s_load_dwordx2 s[12:13], s[4:5], 0x20
	s_load_dword s9, s[4:5], 0x38
	s_ashr_i32 s15, s14, 31
	v_and_b32_e32 v1, 0xcf, v0
	s_lshr_b32 s15, s15, 27
	v_add_u32_e32 v1, s16, v1
	s_add_i32 s14, s14, s15
	v_ashrrev_i32_e32 v2, 31, v1
	s_ashr_i32 s19, s14, 5
	v_lshrrev_b32_e32 v6, 27, v2
	s_add_i32 s19, s19, -1
	v_add_u32_e32 v2, v1, v6
	s_waitcnt lgkmcnt(0)
	s_mul_i32 s14, s6, s9
	s_mov_b32 s15, 0
	v_ashrrev_i32_e32 v2, 5, v2
	v_mov_b32_e32 v7, s19
	v_cmp_gt_i32_e32 vcc, s33, v1
	s_lshl_b64 s[14:15], s[14:15], 2
	v_cndmask_b32_e32 v2, v7, v2, vcc
	s_add_u32 s17, s12, s14
	v_ashrrev_i32_e32 v3, 31, v2
	s_addc_u32 s18, s13, s15
	v_lshlrev_b64 v[2:3], 2, v[2:3]
	v_mov_b32_e32 v4, s18
	v_add_co_u32_e32 v2, vcc, s17, v2
	v_addc_co_u32_e32 v3, vcc, v4, v3, vcc
	v_or_b32_e32 v4, 16, v1
	v_add_u32_e32 v5, v4, v6
	v_ashrrev_i32_e32 v5, 5, v5
	v_cmp_gt_i32_e32 vcc, s33, v4
	v_cndmask_b32_e32 v4, v7, v5, vcc
	v_ashrrev_i32_e32 v5, 31, v4
	v_lshlrev_b64 v[4:5], 2, v[4:5]
	v_mov_b32_e32 v9, s18
	v_add_co_u32_e32 v8, vcc, s17, v4
	v_or_b32_e32 v4, 32, v1
	v_addc_co_u32_e32 v9, vcc, v9, v5, vcc
	v_add_u32_e32 v5, v4, v6
	v_ashrrev_i32_e32 v5, 5, v5
	v_cmp_gt_i32_e32 vcc, s33, v4
	v_cndmask_b32_e32 v4, v7, v5, vcc
	v_ashrrev_i32_e32 v5, 31, v4
	v_lshlrev_b64 v[4:5], 2, v[4:5]
	v_mov_b32_e32 v11, s18
	v_add_co_u32_e32 v10, vcc, s17, v4
	v_or_b32_e32 v1, 48, v1
	v_addc_co_u32_e32 v11, vcc, v11, v5, vcc
	v_add_u32_e32 v4, v1, v6
	v_ashrrev_i32_e32 v4, 5, v4
	v_cmp_gt_i32_e32 vcc, s33, v1
	v_cndmask_b32_e32 v4, v7, v4, vcc
	v_ashrrev_i32_e32 v5, 31, v4
	v_lshlrev_b64 v[4:5], 2, v[4:5]
	v_mov_b32_e32 v1, s18
	v_add_co_u32_e32 v12, vcc, s17, v4
	v_addc_co_u32_e32 v13, vcc, v1, v5, vcc
	global_load_dword v7, v[2:3], off
	global_load_dword v6, v[8:9], off
	;; [unrolled: 1-line block ×4, first 2 shown]
	s_andn2_b64 vcc, exec, s[2:3]
	s_cbranch_vccnz .LBB157_8
; %bb.6:
	s_add_u32 s0, s0, s10
	s_addc_u32 s1, s1, s11
	s_load_dword s9, s[0:1], 0x0
	s_branch .LBB157_9
.LBB157_7:
	s_mov_b64 s[12:13], 0
	s_branch .LBB157_2
.LBB157_8:
	s_mov_b32 s9, s6
.LBB157_9:
	s_load_dwordx2 s[12:13], s[4:5], 0x8
	s_load_dwordx4 s[0:3], s[4:5], 0x48
	v_lshrrev_b32_e32 v85, 6, v0
	v_bfe_u32 v1, v0, 4, 2
	v_lshl_or_b32 v8, v85, 2, v1
	v_and_b32_e32 v84, 15, v0
	v_lshlrev_b32_e32 v2, 3, v84
	v_cmp_lt_u32_e32 vcc, 5, v8
	s_and_saveexec_b64 s[10:11], vcc
	s_xor_b64 s[10:11], exec, s[10:11]
; %bb.10:
	v_mov_b32_e32 v3, 0
                                        ; implicit-def: $vgpr8
; %bb.11:
	s_or_saveexec_b64 s[14:15], s[10:11]
	s_load_dwordx2 s[10:11], s[4:5], 0x10
	s_mul_i32 s27, s8, 6
	s_xor_b64 exec, exec, s[14:15]
	s_cbranch_execz .LBB157_13
; %bb.12:
	s_load_dwordx2 s[20:21], s[4:5], 0x0
	s_waitcnt lgkmcnt(0)
	s_ashr_i32 s3, s0, 31
	s_mul_hi_u32 s22, s9, s0
	s_mul_i32 s3, s9, s3
	s_add_i32 s23, s22, s3
	s_mul_i32 s22, s9, s0
	s_lshl_b64 s[22:23], s[22:23], 1
	v_add_lshl_u32 v10, v8, s27, 7
	s_add_u32 s0, s20, s22
	v_ashrrev_i32_e32 v11, 31, v10
	s_addc_u32 s3, s21, s23
	v_lshlrev_b64 v[10:11], 1, v[10:11]
	v_mov_b32_e32 v3, s3
	v_add_co_u32_e32 v9, vcc, s0, v10
	v_addc_co_u32_e32 v3, vcc, v3, v11, vcc
	v_lshlrev_b32_e32 v10, 1, v2
	v_add_co_u32_e32 v10, vcc, v9, v10
	v_addc_co_u32_e32 v11, vcc, 0, v3, vcc
	global_load_dwordx4 v[10:13], v[10:11], off
	v_and_b32_e32 v9, 3, v0
	v_lshlrev_b32_e32 v14, 9, v84
	v_lshlrev_b32_e32 v8, 5, v8
	;; [unrolled: 1-line block ×3, first 2 shown]
	v_and_b32_e32 v14, 0x1800, v14
	v_mov_b32_e32 v3, 0
	v_or3_b32 v8, v14, v9, v8
	s_waitcnt vmcnt(0)
	ds_write_b128 v8, v[10:13]
.LBB157_13:
	s_or_b64 exec, exec, s[14:15]
	s_waitcnt lgkmcnt(0)
	s_mul_i32 s2, s8, s2
	s_mov_b32 s3, 0
	s_lshl_b64 s[2:3], s[2:3], 1
	s_add_u32 s0, s12, s2
	s_waitcnt vmcnt(3)
	v_mad_i64_i32 v[8:9], s[8:9], v7, s1, 0
	s_addc_u32 s12, s13, s3
	v_lshlrev_b64 v[8:9], 1, v[8:9]
	v_mov_b32_e32 v7, s12
	v_add_co_u32_e32 v8, vcc, s0, v8
	v_addc_co_u32_e32 v7, vcc, v7, v9, vcc
	v_lshlrev_b64 v[14:15], 1, v[2:3]
	v_add_co_u32_e32 v8, vcc, v8, v14
	v_lshlrev_b32_e32 v12, 9, v1
	v_addc_co_u32_e32 v7, vcc, v7, v15, vcc
	v_add_co_u32_e32 v2, vcc, v8, v12
	v_addc_co_u32_e32 v3, vcc, 0, v7, vcc
	v_or_b32_e32 v10, 0x1000, v12
	s_barrier
	global_load_dwordx4 v[38:41], v[2:3], off
	global_load_dwordx4 v[30:33], v[2:3], off offset:2048
	v_add_co_u32_e32 v2, vcc, v8, v10
	v_addc_co_u32_e32 v3, vcc, 0, v7, vcc
	v_or_b32_e32 v11, 0x1800, v12
	v_add_co_u32_e32 v8, vcc, v8, v11
	v_addc_co_u32_e32 v9, vcc, 0, v7, vcc
	global_load_dwordx4 v[46:49], v[2:3], off
	global_load_dwordx4 v[58:61], v[8:9], off
	s_waitcnt vmcnt(6)
	v_mad_i64_i32 v[2:3], s[8:9], v6, s1, 0
	v_lshlrev_b64 v[2:3], 1, v[2:3]
	v_mov_b32_e32 v6, s12
	v_add_co_u32_e32 v2, vcc, s0, v2
	v_addc_co_u32_e32 v3, vcc, v6, v3, vcc
	v_mov_b32_e32 v6, 0x100
	v_lshl_or_b32 v8, v84, 4, v6
	v_add_co_u32_e32 v6, vcc, v2, v8
	v_addc_co_u32_e32 v7, vcc, 0, v3, vcc
	v_add_co_u32_e32 v2, vcc, v6, v12
	v_addc_co_u32_e32 v3, vcc, 0, v7, vcc
	global_load_dwordx4 v[74:77], v[2:3], off
	global_load_dwordx4 v[70:73], v[2:3], off offset:2048
	v_add_co_u32_e32 v2, vcc, v6, v10
	v_addc_co_u32_e32 v3, vcc, 0, v7, vcc
	v_add_co_u32_e32 v6, vcc, v6, v11
	v_addc_co_u32_e32 v7, vcc, 0, v7, vcc
	global_load_dwordx4 v[78:81], v[2:3], off
	global_load_dwordx4 v[66:69], v[6:7], off
	s_waitcnt vmcnt(9)
	v_mad_i64_i32 v[2:3], s[8:9], v5, s1, 0
	v_lshlrev_b64 v[2:3], 1, v[2:3]
	v_mov_b32_e32 v5, s12
	v_add_co_u32_e32 v2, vcc, s0, v2
	v_addc_co_u32_e32 v3, vcc, v5, v3, vcc
	v_add_co_u32_e32 v5, vcc, v2, v14
	buffer_store_dword v14, off, s[44:47], 0 ; 4-byte Folded Spill
	s_nop 0
	buffer_store_dword v15, off, s[44:47], 0 offset:4 ; 4-byte Folded Spill
	v_and_b32_e32 v94, 63, v0
	v_mov_b32_e32 v87, 0
	v_addc_co_u32_e32 v7, vcc, v3, v15, vcc
	v_add_co_u32_e32 v2, vcc, v5, v12
	v_addc_co_u32_e32 v3, vcc, 0, v7, vcc
	global_load_dwordx4 v[62:65], v[2:3], off
	global_load_dwordx4 v[42:45], v[2:3], off offset:2048
	v_add_co_u32_e32 v2, vcc, v5, v10
	v_addc_co_u32_e32 v3, vcc, 0, v7, vcc
	v_add_co_u32_e32 v6, vcc, v5, v11
	v_addc_co_u32_e32 v7, vcc, 0, v7, vcc
	global_load_dwordx4 v[26:29], v[2:3], off
	global_load_dwordx4 v[18:21], v[6:7], off
	s_waitcnt vmcnt(14)
	v_mad_i64_i32 v[2:3], s[8:9], v4, s1, 0
	v_lshlrev_b64 v[2:3], 1, v[2:3]
	v_mov_b32_e32 v4, s12
	v_add_co_u32_e32 v2, vcc, s0, v2
	v_addc_co_u32_e32 v3, vcc, v4, v3, vcc
	v_add_co_u32_e32 v4, vcc, v2, v8
	v_addc_co_u32_e32 v5, vcc, 0, v3, vcc
	;; [unrolled: 2-line block ×3, first 2 shown]
	global_load_dwordx4 v[14:17], v[2:3], off
	global_load_dwordx4 v[6:9], v[2:3], off offset:2048
	v_add_co_u32_e32 v2, vcc, v4, v10
	v_addc_co_u32_e32 v3, vcc, 0, v5, vcc
	v_add_co_u32_e32 v10, vcc, v4, v11
	v_addc_co_u32_e32 v11, vcc, 0, v5, vcc
	global_load_dwordx4 v[2:5], v[2:3], off
	s_nop 0
	global_load_dwordx4 v[50:53], v[10:11], off
	v_mul_lo_u16_e32 v10, 43, v84
	v_mov_b32_e32 v11, 6
	v_mul_lo_u16_sdwa v10, v10, v11 dst_sel:DWORD dst_unused:UNUSED_PAD src0_sel:BYTE_1 src1_sel:DWORD
	v_sub_u16_e32 v10, v84, v10
	v_and_b32_e32 v10, 0xff, v10
	v_lshl_add_u32 v54, v10, 5, v12
	ds_read_b128 v[34:37], v54
	ds_read_b128 v[22:25], v54 offset:2048
	ds_read_b128 v[10:13], v54 offset:4096
	;; [unrolled: 1-line block ×3, first 2 shown]
	v_cmp_gt_u32_e32 vcc, 6, v84
	s_and_saveexec_b64 s[8:9], vcc
	s_cbranch_execz .LBB157_15
; %bb.14:
	s_load_dwordx2 s[12:13], s[4:5], 0x40
	v_add_u32_e32 v82, s27, v84
	v_ashrrev_i32_e32 v83, 31, v82
	v_lshlrev_b64 v[82:83], 2, v[82:83]
	s_waitcnt lgkmcnt(0)
	v_mov_b32_e32 v87, s13
	v_add_co_u32_e32 v82, vcc, s12, v82
	v_addc_co_u32_e32 v83, vcc, v87, v83, vcc
	global_load_dword v87, v[82:83], off
.LBB157_15:
	s_or_b64 exec, exec, s[8:9]
	s_waitcnt vmcnt(17) lgkmcnt(3)
	v_mfma_f32_16x16x16f16 v[88:91], v[38:39], v[34:35], 0
	s_ashr_i32 s0, s16, 31
	s_lshr_b32 s0, s0, 27
	s_add_u32 s2, s10, s2
	s_addc_u32 s3, s11, s3
	s_mov_b32 s40, 0xff7fffff
	v_mfma_f32_16x16x16f16 v[38:41], v[40:41], v[36:37], v[88:91]
	s_waitcnt vmcnt(16) lgkmcnt(2)
	v_mfma_f32_16x16x16f16 v[38:41], v[30:31], v[22:23], v[38:41]
	s_nop 4
	v_lshl_or_b32 v88, v85, 4, v84
	v_mfma_f32_16x16x16f16 v[30:33], v[32:33], v[24:25], v[38:41]
	s_waitcnt vmcnt(15) lgkmcnt(1)
	v_mfma_f32_16x16x16f16 v[30:33], v[46:47], v[10:11], v[30:33]
	v_and_or_b32 v46, v0, 48, s16
	s_nop 3
	v_add_u32_e32 v38, s0, v46
	v_ashrrev_i32_e32 v38, 5, v38
	v_mov_b32_e32 v47, s19
	v_cmp_gt_i32_e32 vcc, s33, v46
	v_cndmask_b32_e32 v38, v47, v38, vcc
	v_ashrrev_i32_e32 v39, 31, v38
	v_mfma_f32_16x16x16f16 v[30:33], v[48:49], v[12:13], v[30:33]
	v_or_b32_e32 v40, 64, v46
	v_add_u32_e32 v41, s0, v40
	v_ashrrev_i32_e32 v41, 5, v41
	v_mov_b32_e32 v48, s18
	s_waitcnt vmcnt(14) lgkmcnt(0)
	v_mfma_f32_16x16x16f16 v[30:33], v[58:59], v[54:55], v[30:33]
	v_mfma_f32_16x16x16f16 v[58:61], v[60:61], v[56:57], v[30:33]
	s_waitcnt vmcnt(13)
	v_mfma_f32_16x16x16f16 v[30:33], v[74:75], v[34:35], 0
	v_mfma_f32_16x16x16f16 v[30:33], v[76:77], v[36:37], v[30:33]
	v_lshlrev_b32_e32 v76, 6, v88
	s_waitcnt vmcnt(12)
	v_mfma_f32_16x16x16f16 v[30:33], v[70:71], v[22:23], v[30:33]
	v_mfma_f32_16x16x16f16 v[30:33], v[72:73], v[24:25], v[30:33]
	s_waitcnt vmcnt(11)
	v_mfma_f32_16x16x16f16 v[30:33], v[78:79], v[10:11], v[30:33]
	v_mfma_f32_16x16x16f16 v[30:33], v[80:81], v[12:13], v[30:33]
	;; [unrolled: 3-line block ×3, first 2 shown]
	s_nop 7
	s_nop 1
	v_lshlrev_b64 v[30:31], 2, v[38:39]
	v_mov_b32_e32 v32, s18
	v_add_co_u32_e32 v38, vcc, s17, v30
	v_addc_co_u32_e32 v39, vcc, v32, v31, vcc
	v_cmp_gt_i32_e32 vcc, s33, v40
	v_cndmask_b32_e32 v40, v47, v41, vcc
	v_ashrrev_i32_e32 v41, 31, v40
	v_lshlrev_b64 v[40:41], 2, v[40:41]
	v_add_co_u32_e32 v40, vcc, s17, v40
	v_addc_co_u32_e32 v41, vcc, v48, v41, vcc
	global_load_dword v48, v[38:39], off
	s_nop 0
	global_load_dword v40, v[40:41], off
	v_or_b32_e32 v38, 0x80, v46
	v_add_u32_e32 v39, s0, v38
	v_ashrrev_i32_e32 v39, 5, v39
	v_cmp_gt_i32_e32 vcc, s33, v38
	v_cndmask_b32_e32 v38, v47, v39, vcc
	v_ashrrev_i32_e32 v39, 31, v38
	v_lshlrev_b64 v[38:39], 2, v[38:39]
	v_mov_b32_e32 v41, s18
	v_add_co_u32_e32 v38, vcc, s17, v38
	v_addc_co_u32_e32 v39, vcc, v41, v39, vcc
	s_waitcnt vmcnt(9)
	v_mfma_f32_16x16x16f16 v[30:33], v[62:63], v[34:35], 0
	global_load_dword v62, v[38:39], off
	v_or_b32_e32 v38, 0xc0, v46
	v_add_u32_e32 v39, s0, v38
	v_ashrrev_i32_e32 v39, 5, v39
	v_cmp_gt_i32_e32 vcc, s33, v38
	v_cndmask_b32_e32 v38, v47, v39, vcc
	v_ashrrev_i32_e32 v39, 31, v38
	v_mfma_f32_16x16x16f16 v[30:33], v[64:65], v[36:37], v[30:33]
	s_load_dword s0, s[4:5], 0x1c
	s_waitcnt lgkmcnt(0)
	v_pk_mul_f32 v[58:59], s[0:1], v[58:59] op_sel_hi:[0,1]
	s_waitcnt vmcnt(9)
	v_mfma_f32_16x16x16f16 v[30:33], v[42:43], v[22:23], v[30:33]
	v_mfma_f32_16x16x16f16 v[30:33], v[44:45], v[24:25], v[30:33]
	s_waitcnt vmcnt(8)
	v_mfma_f32_16x16x16f16 v[30:33], v[26:27], v[10:11], v[30:33]
	v_lshlrev_b64 v[26:27], 2, v[38:39]
	v_mov_b32_e32 v39, s18
	v_add_co_u32_e32 v38, vcc, s17, v26
	v_addc_co_u32_e32 v39, vcc, v39, v27, vcc
	global_load_dword v63, v[38:39], off
	v_mfma_f32_16x16x16f16 v[26:29], v[28:29], v[12:13], v[30:33]
	s_waitcnt vmcnt(8)
	v_mfma_f32_16x16x16f16 v[26:29], v[18:19], v[54:55], v[26:29]
	s_nop 4
	v_and_b32_e32 v30, 16, v0
	v_lshlrev_b32_e32 v30, 1, v30
	v_mov_b32_e32 v18, s3
	v_add_co_u32_e32 v74, vcc, s2, v30
	v_addc_co_u32_e32 v75, vcc, 0, v18, vcc
	v_mfma_f32_16x16x16f16 v[90:93], v[20:21], v[56:57], v[26:29]
	v_add_co_u32_e32 v77, vcc, v74, v76
	v_addc_co_u32_e32 v78, vcc, 0, v75, vcc
	s_waitcnt vmcnt(3)
	v_mad_i64_i32 v[18:19], s[2:3], v48, s1, 0
	v_lshlrev_b64 v[70:71], 1, v[18:19]
	v_mfma_f32_16x16x16f16 v[18:21], v[14:15], v[34:35], 0
	v_add_co_u32_e32 v14, vcc, v77, v70
	v_addc_co_u32_e32 v15, vcc, v78, v71, vcc
	global_load_dwordx4 v[46:49], v[14:15], off
	global_load_dwordx4 v[42:45], v[14:15], off offset:16
	s_waitcnt vmcnt(4)
	v_mad_i64_i32 v[14:15], s[2:3], v40, s1, 0
	v_lshlrev_b64 v[72:73], 1, v[14:15]
	v_mfma_f32_16x16x16f16 v[14:17], v[16:17], v[36:37], v[18:21]
	v_mfma_f32_16x16x16f16 v[14:17], v[6:7], v[22:23], v[14:17]
	s_nop 5
	v_add_co_u32_e32 v18, vcc, v77, v72
	v_addc_co_u32_e32 v19, vcc, v78, v73, vcc
	global_load_dwordx4 v[38:41], v[18:19], off
	global_load_dwordx4 v[34:37], v[18:19], off offset:16
	s_waitcnt vmcnt(5)
	v_mad_i64_i32 v[18:19], s[2:3], v62, s1, 0
	v_lshlrev_b64 v[64:65], 1, v[18:19]
	v_add_co_u32_e32 v6, vcc, v77, v64
	v_addc_co_u32_e32 v7, vcc, v78, v65, vcc
	global_load_dwordx4 v[30:33], v[6:7], off
	global_load_dwordx4 v[26:29], v[6:7], off offset:16
	v_mfma_f32_16x16x16f16 v[6:9], v[8:9], v[24:25], v[14:17]
	v_mfma_f32_16x16x16f16 v[6:9], v[2:3], v[10:11], v[6:9]
	v_or_b32_e32 v2, 0x1000, v76
	s_waitcnt vmcnt(6)
	s_nop 3
	v_mad_i64_i32 v[14:15], s[2:3], v63, s1, 0
	v_mfma_f32_16x16x16f16 v[10:13], v[4:5], v[12:13], v[6:9]
	v_lshlrev_b64 v[62:63], 1, v[14:15]
	v_add_co_u32_e32 v14, vcc, v77, v62
	v_addc_co_u32_e32 v15, vcc, v78, v63, vcc
	v_add_co_u32_e32 v89, vcc, v74, v2
	v_mfma_f32_16x16x16f16 v[80:83], v[50:51], v[54:55], v[10:13]
	v_addc_co_u32_e32 v86, vcc, 0, v75, vcc
	v_pk_mul_f32 v[74:75], s[0:1], v[68:69] op_sel_hi:[0,1]
	v_pk_mul_f32 v[76:77], s[0:1], v[66:67] op_sel_hi:[0,1]
	;; [unrolled: 1-line block ×3, first 2 shown]
	v_add_co_u32_e32 v2, vcc, v89, v70
	v_mfma_f32_16x16x16f16 v[50:53], v[52:53], v[56:57], v[80:83]
	v_addc_co_u32_e32 v3, vcc, v86, v71, vcc
	v_add_co_u32_e32 v70, vcc, v89, v72
	v_addc_co_u32_e32 v71, vcc, v86, v73, vcc
	global_load_dwordx4 v[22:25], v[14:15], off
	global_load_dwordx4 v[18:21], v[14:15], off offset:16
	s_nop 5
	v_pk_mul_f32 v[68:69], s[0:1], v[50:51] op_sel_hi:[0,1]
	v_and_b32_e32 v50, 0xc0, v0
	v_add_u32_e32 v50, s16, v50
	v_lshl_or_b32 v50, v1, 2, v50
	v_or_b32_e32 v51, 1, v50
	v_pk_mul_f32 v[66:67], s[0:1], v[52:53] op_sel_hi:[0,1]
	v_subrev_u32_e32 v52, s33, v51
	v_add_u32_e32 v54, 1, v52
	v_add_u32_e32 v55, 2, v52
	v_cvt_f32_i32_e32 v53, v52
	v_cvt_f32_i32_e32 v54, v54
	;; [unrolled: 1-line block ×3, first 2 shown]
	v_add_u32_e32 v56, 3, v52
	v_fma_f32 v58, v87, v53, v58
	v_fmac_f32_e32 v59, v87, v54
	v_fma_f32 v78, v87, v55, v78
	v_add_u32_e32 v53, 16, v52
	v_add_u32_e32 v54, 17, v52
	;; [unrolled: 1-line block ×3, first 2 shown]
	v_cvt_f32_i32_e32 v56, v56
	v_cvt_f32_i32_e32 v53, v53
	;; [unrolled: 1-line block ×4, first 2 shown]
	v_fmac_f32_e32 v79, v87, v56
	v_add_u32_e32 v56, 19, v52
	v_fma_f32 v76, v87, v53, v76
	v_fmac_f32_e32 v77, v87, v54
	v_fma_f32 v74, v87, v55, v74
	v_add_u32_e32 v53, 32, v52
	v_add_u32_e32 v54, 33, v52
	;; [unrolled: 1-line block ×3, first 2 shown]
	v_cvt_f32_i32_e32 v56, v56
	v_cvt_f32_i32_e32 v53, v53
	;; [unrolled: 1-line block ×4, first 2 shown]
	global_load_dwordx4 v[6:9], v[2:3], off
	s_nop 0
	global_load_dwordx4 v[2:5], v[2:3], off offset:16
	s_nop 0
	global_load_dwordx4 v[14:17], v[70:71], off
	global_load_dwordx4 v[10:13], v[70:71], off offset:16
	v_pk_mul_f32 v[70:71], s[0:1], v[92:93] op_sel_hi:[0,1]
	v_pk_mul_f32 v[72:73], s[0:1], v[90:91] op_sel_hi:[0,1]
	v_fmac_f32_e32 v75, v87, v56
	v_add_u32_e32 v56, 35, v52
	v_fma_f32 v72, v87, v53, v72
	v_fmac_f32_e32 v73, v87, v54
	v_fma_f32 v70, v87, v55, v70
	v_add_u32_e32 v53, 48, v52
	v_add_u32_e32 v54, 49, v52
	v_add_u32_e32 v55, 50, v52
	v_add_u32_e32 v52, 51, v52
	v_cvt_f32_i32_e32 v52, v52
	v_cvt_f32_i32_e32 v53, v53
	;; [unrolled: 1-line block ×3, first 2 shown]
	v_cmp_gt_i32_e64 s[28:29], s33, v50
	v_fmac_f32_e32 v67, v87, v52
	v_mov_b32_e32 v52, 0xff7fffff
	v_cmp_gt_i32_e64 s[30:31], s33, v51
	v_fma_f32 v68, v87, v53, v68
	v_cndmask_b32_e64 v53, v52, v58, s[28:29]
	v_cndmask_b32_e64 v51, v52, v59, s[30:31]
	v_fmac_f32_e32 v69, v87, v54
	v_max3_f32 v51, v53, s40, v51
	v_or_b32_e32 v53, 2, v50
	v_or_b32_e32 v54, 3, v50
	v_cmp_gt_i32_e64 s[34:35], s33, v53
	v_cmp_gt_i32_e64 s[36:37], s33, v54
	v_cndmask_b32_e64 v53, v52, v78, s[34:35]
	v_cndmask_b32_e64 v54, v52, v79, s[36:37]
	v_max3_f32 v51, v51, v53, v54
	v_or_b32_e32 v53, 16, v50
	v_or_b32_e32 v54, 17, v50
	v_cmp_gt_i32_e64 s[22:23], s33, v53
	v_cmp_gt_i32_e64 s[24:25], s33, v54
	v_cndmask_b32_e64 v53, v52, v76, s[22:23]
	v_cndmask_b32_e64 v54, v52, v77, s[24:25]
	;; [unrolled: 7-line block ×3, first 2 shown]
	v_cvt_f32_i32_e32 v56, v56
	v_max3_f32 v51, v51, v53, v54
	v_or_b32_e32 v53, 32, v50
	v_or_b32_e32 v54, 33, v50
	v_cmp_gt_i32_e64 s[14:15], s33, v53
	v_cmp_gt_i32_e64 s[16:17], s33, v54
	v_cndmask_b32_e64 v53, v52, v72, s[14:15]
	v_cndmask_b32_e64 v54, v52, v73, s[16:17]
	v_max3_f32 v51, v51, v53, v54
	v_or_b32_e32 v53, 34, v50
	v_or_b32_e32 v54, 35, v50
	v_fmac_f32_e32 v71, v87, v56
	v_cmp_gt_i32_e64 s[10:11], s33, v53
	v_cmp_gt_i32_e64 s[12:13], s33, v54
	v_cndmask_b32_e64 v53, v52, v70, s[10:11]
	v_cndmask_b32_e64 v54, v52, v71, s[12:13]
	v_cvt_f32_i32_e32 v55, v55
	v_max3_f32 v51, v51, v53, v54
	v_or_b32_e32 v53, 48, v50
	v_or_b32_e32 v54, 49, v50
	v_cmp_gt_i32_e64 s[2:3], s33, v53
	v_cmp_gt_i32_e64 s[8:9], s33, v54
	v_cndmask_b32_e64 v53, v52, v68, s[2:3]
	v_cndmask_b32_e64 v54, v52, v69, s[8:9]
	v_max3_f32 v51, v51, v53, v54
	v_or_b32_e32 v53, 50, v50
	v_or_b32_e32 v50, 51, v50
	v_fma_f32 v66, v87, v55, v66
	v_cmp_gt_i32_e32 vcc, s33, v53
	v_cmp_gt_i32_e64 s[0:1], s33, v50
	v_cndmask_b32_e32 v53, v52, v66, vcc
	v_cndmask_b32_e64 v50, v52, v67, s[0:1]
	v_max3_f32 v60, v51, v53, v50
	v_mbcnt_lo_u32_b32 v50, -1, 0
	v_mbcnt_hi_u32_b32 v61, -1, v50
	v_and_b32_e32 v50, 64, v61
	v_add_u32_e32 v80, 64, v50
	v_xor_b32_e32 v50, 32, v61
	v_cmp_lt_i32_e64 s[38:39], v50, v80
	v_cndmask_b32_e64 v50, v61, v50, s[38:39]
	v_lshlrev_b32_e32 v82, 2, v50
	ds_bpermute_b32 v81, v82, v60
	v_add_co_u32_e64 v50, s[38:39], v89, v64
	v_addc_co_u32_e64 v51, s[38:39], v86, v65, s[38:39]
	s_waitcnt lgkmcnt(0)
	v_max_f32_e32 v64, v81, v81
	v_max_f32_e32 v64, v60, v64
	v_xor_b32_e32 v60, 16, v61
	v_cmp_lt_i32_e64 s[38:39], v60, v80
	v_cndmask_b32_e64 v60, v61, v60, s[38:39]
	v_lshlrev_b32_e32 v83, 2, v60
	ds_bpermute_b32 v65, v83, v64
	v_add_co_u32_e64 v60, s[38:39], v89, v62
	v_addc_co_u32_e64 v61, s[38:39], v86, v63, s[38:39]
	s_waitcnt lgkmcnt(0)
	v_max_f32_e32 v62, v65, v65
	v_max_f32_e32 v87, v64, v62
	v_sub_f32_e32 v58, v58, v87
	v_mul_f32_e32 v58, 0x3fb8aa3b, v58
	v_exp_f32_e32 v80, v58
	v_sub_f32_e32 v58, v59, v87
	v_mul_f32_e32 v58, 0x3fb8aa3b, v58
	global_load_dwordx4 v[54:57], v[50:51], off
	s_nop 0
	global_load_dwordx4 v[50:53], v[50:51], off offset:16
	v_exp_f32_e32 v81, v58
	global_load_dwordx4 v[62:65], v[60:61], off
	s_nop 0
	global_load_dwordx4 v[58:61], v[60:61], off offset:16
	v_sub_f32_e32 v78, v78, v87
	v_mul_f32_e32 v78, 0x3fb8aa3b, v78
	v_sub_f32_e32 v79, v79, v87
	v_exp_f32_e32 v78, v78
	v_mul_f32_e32 v79, 0x3fb8aa3b, v79
	v_sub_f32_e32 v76, v76, v87
	v_exp_f32_e32 v79, v79
	v_mul_f32_e32 v76, 0x3fb8aa3b, v76
	v_sub_f32_e32 v77, v77, v87
	v_cndmask_b32_e64 v80, 0, v80, s[28:29]
	v_exp_f32_e32 v76, v76
	v_mul_f32_e32 v77, 0x3fb8aa3b, v77
	v_sub_f32_e32 v74, v74, v87
	v_add_f32_e32 v86, 0, v80
	v_cndmask_b32_e64 v81, 0, v81, s[30:31]
	v_exp_f32_e32 v77, v77
	v_mul_f32_e32 v74, 0x3fb8aa3b, v74
	v_sub_f32_e32 v75, v75, v87
	v_add_f32_e32 v86, v86, v81
	;; [unrolled: 5-line block ×10, first 2 shown]
	v_cndmask_b32_e64 v70, 0, v70, s[10:11]
	v_exp_f32_e32 v66, v66
	v_mul_f32_e32 v67, 0x3fb8aa3b, v67
	v_add_f32_e32 v86, v86, v70
	v_cndmask_b32_e64 v71, 0, v71, s[12:13]
	v_exp_f32_e32 v67, v67
	v_add_f32_e32 v86, v86, v71
	v_cndmask_b32_e64 v68, 0, v68, s[2:3]
	v_add_f32_e32 v86, v86, v68
	v_cndmask_b32_e64 v69, 0, v69, s[8:9]
	v_add_f32_e32 v86, v86, v69
	v_cndmask_b32_e32 v66, 0, v66, vcc
	v_add_f32_e32 v86, v86, v66
	v_cndmask_b32_e64 v67, 0, v67, s[0:1]
	v_add_f32_e32 v86, v86, v67
	ds_bpermute_b32 v82, v82, v86
	s_load_dword s3, s[4:5], 0x98
	v_cmp_gt_u32_e32 vcc, 16, v94
	s_waitcnt lgkmcnt(0)
	s_barrier
	v_add_f32_e32 v89, v86, v82
	ds_bpermute_b32 v90, v83, v89
	s_waitcnt lgkmcnt(0)
	s_and_saveexec_b64 s[0:1], vcc
	s_cbranch_execz .LBB157_17
; %bb.16:
	v_add_f32_e32 v82, v89, v90
	v_lshlrev_b32_e32 v83, 2, v88
	ds_write2st64_b32 v83, v87, v82 offset1:1
.LBB157_17:
	s_or_b64 exec, exec, s[0:1]
	v_lshlrev_b32_e32 v87, 2, v84
	s_load_dword s2, s[4:5], 0x94
	s_waitcnt lgkmcnt(0)
	s_barrier
	ds_read2_b32 v[82:83], v87 offset1:16
	ds_read2_b32 v[88:89], v87 offset0:32 offset1:48
	ds_read2_b32 v[90:91], v87 offset0:64 offset1:80
	s_mul_i32 s3, s3, 6
	s_waitcnt lgkmcnt(2)
	v_max3_f32 v86, v82, s40, v83
	s_waitcnt lgkmcnt(1)
	v_max3_f32 v86, v86, v88, v89
	v_sub_f32_e32 v82, v82, v86
	v_mul_f32_e32 v82, 0x3fb8aa3b, v82
	v_exp_f32_e32 v92, v82
	v_sub_f32_e32 v82, v83, v86
	v_mul_f32_e32 v82, 0x3fb8aa3b, v82
	v_exp_f32_e32 v93, v82
	;; [unrolled: 3-line block ×3, first 2 shown]
	ds_read2_b32 v[82:83], v87 offset0:96 offset1:112
	v_sub_f32_e32 v87, v89, v86
	v_mul_f32_e32 v87, 0x3fb8aa3b, v87
	v_exp_f32_e32 v89, v87
	s_waitcnt lgkmcnt(1)
	v_fma_f32 v87, v92, v90, 0
	v_fmac_f32_e32 v87, v93, v91
	s_waitcnt lgkmcnt(0)
	v_fmac_f32_e32 v87, v88, v82
	v_fmac_f32_e32 v87, v89, v83
	v_add_f32_e32 v82, 0x358637bd, v87
	v_div_scale_f32 v83, s[0:1], v82, v82, 1.0
	v_rcp_f32_e32 v90, v83
	s_barrier
	v_fma_f32 v91, -v83, v90, 1.0
	v_fmac_f32_e32 v90, v91, v90
	v_div_scale_f32 v91, vcc, 1.0, v82, 1.0
	v_mul_f32_e32 v94, v91, v90
	v_fma_f32 v95, -v83, v94, v91
	v_fmac_f32_e32 v94, v95, v90
	v_fma_f32 v83, -v83, v94, v91
	v_div_fmas_f32 v83, v83, v90, v94
	v_cmp_eq_u32_e32 vcc, 1, v85
	v_div_fixup_f32 v82, v83, v82, 1.0
	v_cndmask_b32_e32 v83, v92, v93, vcc
	v_cmp_eq_u32_e32 vcc, 2, v85
	v_cndmask_b32_e32 v83, v83, v88, vcc
	v_cmp_eq_u32_e32 vcc, 3, v85
	v_cndmask_b32_e32 v83, v83, v89, vcc
	v_mul_f32_e32 v82, v83, v82
	v_pk_mul_f32 v[78:79], v[82:83], v[78:79] op_sel_hi:[0,1]
	v_pk_mul_f32 v[80:81], v[82:83], v[80:81] op_sel_hi:[0,1]
	v_cvt_f16_f32_e32 v80, v80
	v_cvt_f16_f32_e32 v81, v81
	;; [unrolled: 1-line block ×4, first 2 shown]
	v_pk_mul_f32 v[74:75], v[82:83], v[74:75] op_sel_hi:[0,1]
	v_pk_mul_f32 v[76:77], v[82:83], v[76:77] op_sel_hi:[0,1]
	v_cvt_f16_f32_e32 v76, v76
	v_cvt_f16_f32_e32 v77, v77
	;; [unrolled: 1-line block ×4, first 2 shown]
	v_pack_b32_f16 v80, v80, v81
	v_pack_b32_f16 v81, v78, v79
	v_lshlrev_b32_e32 v79, 3, v1
	v_lshlrev_b32_e32 v78, 5, v84
	;; [unrolled: 1-line block ×3, first 2 shown]
	v_or3_b32 v74, v74, v78, v79
	v_pack_b32_f16 v76, v76, v77
	v_pack_b32_f16 v77, v83, v75
	v_pk_mul_f32 v[70:71], v[82:83], v[70:71] op_sel_hi:[0,1]
	v_pk_mul_f32 v[72:73], v[82:83], v[72:73] op_sel_hi:[0,1]
	;; [unrolled: 1-line block ×4, first 2 shown]
	ds_write2st64_b64 v74, v[80:81], v[76:77] offset1:1
	v_cvt_f16_f32_e32 v72, v72
	v_cvt_f16_f32_e32 v73, v73
	;; [unrolled: 1-line block ×8, first 2 shown]
	v_pack_b32_f16 v66, v72, v73
	v_pack_b32_f16 v67, v70, v71
	v_pack_b32_f16 v68, v68, v69
	v_pack_b32_f16 v69, v75, v76
	v_cmp_gt_u32_e32 vcc, 6, v0
	ds_write2st64_b64 v74, v[66:67], v[68:69] offset0:2 offset1:3
	s_and_saveexec_b64 s[0:1], vcc
	s_cbranch_execz .LBB157_19
; %bb.18:
	v_add_co_u32_e32 v68, vcc, s27, v84
	v_addc_co_u32_e64 v69, s[12:13], 0, 0, vcc
	v_mov_b32_e32 v66, s3
	v_mov_b32_e32 v67, 0
	v_mad_u64_u32 v[68:69], s[12:13], s6, v66, v[68:69]
	v_mov_b32_e32 v66, s26
	s_load_dwordx4 s[8:11], s[4:5], 0x58
	s_mul_i32 s7, s7, s3
	v_mad_u64_u32 v[66:67], s[12:13], v68, s2, v[66:67]
	v_add_u32_e32 v69, s7, v69
	v_mov_b32_e32 v68, v67
	v_mad_u64_u32 v[68:69], s[12:13], v69, s2, v[68:69]
	v_mov_b32_e32 v67, v68
	v_lshlrev_b64 v[66:67], 2, v[66:67]
	s_waitcnt lgkmcnt(0)
	v_mov_b32_e32 v69, s11
	v_add_co_u32_e32 v68, vcc, s10, v66
	v_addc_co_u32_e32 v69, vcc, v69, v67, vcc
	global_store_dword v[68:69], v86, off
	v_mov_b32_e32 v68, s9
	v_add_co_u32_e32 v66, vcc, s8, v66
	v_addc_co_u32_e32 v67, vcc, v68, v67, vcc
	global_store_dword v[66:67], v87, off
.LBB157_19:
	s_or_b64 exec, exec, s[0:1]
	v_lshl_or_b32 v75, v1, 9, v78
	s_waitcnt lgkmcnt(0)
	s_barrier
	ds_read_b128 v[70:73], v75
	ds_read_b128 v[66:69], v75 offset:16
	s_waitcnt vmcnt(15) lgkmcnt(1)
	v_mfma_f32_16x16x16f16 v[76:79], v[46:47], v[70:71], 0
	s_mov_b32 s1, 0
	v_cmp_gt_u32_e32 vcc, 64, v0
	v_mfma_f32_16x16x16f16 v[46:49], v[48:49], v[72:73], v[76:79]
	s_waitcnt vmcnt(14) lgkmcnt(0)
	v_mfma_f32_16x16x16f16 v[46:49], v[42:43], v[66:67], v[46:49]
	v_mfma_f32_16x16x16f16 v[42:45], v[44:45], v[68:69], v[46:49]
	s_nop 7
	s_nop 1
	ds_read_b128 v[46:49], v75 offset:2048
	ds_read_b128 v[76:79], v75 offset:2064
	s_waitcnt vmcnt(13) lgkmcnt(1)
	v_mfma_f32_16x16x16f16 v[42:45], v[38:39], v[46:47], v[42:45]
	v_mfma_f32_16x16x16f16 v[38:41], v[40:41], v[48:49], v[42:45]
	s_waitcnt vmcnt(12) lgkmcnt(0)
	v_mfma_f32_16x16x16f16 v[38:41], v[34:35], v[76:77], v[38:41]
	v_mfma_f32_16x16x16f16 v[34:37], v[36:37], v[78:79], v[38:41]
	s_nop 7
	s_nop 1
	ds_read_b128 v[38:41], v75 offset:4096
	ds_read_b128 v[42:45], v75 offset:4112
	s_waitcnt vmcnt(11) lgkmcnt(1)
	v_mfma_f32_16x16x16f16 v[34:37], v[30:31], v[38:39], v[34:37]
	v_mfma_f32_16x16x16f16 v[30:33], v[32:33], v[40:41], v[34:37]
	s_waitcnt vmcnt(10) lgkmcnt(0)
	v_mfma_f32_16x16x16f16 v[30:33], v[26:27], v[42:43], v[30:33]
	v_mfma_f32_16x16x16f16 v[26:29], v[28:29], v[44:45], v[30:33]
	s_nop 7
	s_nop 1
	ds_read_b128 v[30:33], v75 offset:6144
	ds_read_b128 v[34:37], v75 offset:6160
	s_waitcnt lgkmcnt(0)
	s_barrier
	s_waitcnt vmcnt(9)
	v_mfma_f32_16x16x16f16 v[26:29], v[22:23], v[30:31], v[26:29]
	v_mfma_f32_16x16x16f16 v[22:25], v[24:25], v[32:33], v[26:29]
	s_waitcnt vmcnt(8)
	v_mfma_f32_16x16x16f16 v[22:25], v[18:19], v[34:35], v[22:25]
	v_mfma_f32_16x16x16f16 v[18:21], v[20:21], v[36:37], v[22:25]
	;; [unrolled: 3-line block ×4, first 2 shown]
	s_waitcnt vmcnt(5)
	v_mfma_f32_16x16x16f16 v[2:5], v[14:15], v[46:47], v[2:5]
	s_nop 7
	v_cvt_f16_f32_e32 v6, v18
	v_cvt_f16_f32_e32 v7, v19
	;; [unrolled: 1-line block ×4, first 2 shown]
	v_mfma_f32_16x16x16f16 v[2:5], v[16:17], v[48:49], v[2:5]
	s_waitcnt vmcnt(4)
	v_mfma_f32_16x16x16f16 v[2:5], v[10:11], v[76:77], v[2:5]
	v_mfma_f32_16x16x16f16 v[2:5], v[12:13], v[78:79], v[2:5]
	s_waitcnt vmcnt(3)
	v_mfma_f32_16x16x16f16 v[2:5], v[54:55], v[38:39], v[2:5]
	;; [unrolled: 3-line block ×5, first 2 shown]
	v_mfma_f32_16x16x16f16 v[2:5], v[60:61], v[36:37], v[2:5]
	s_nop 7
	s_nop 2
	v_cvt_f16_f32_e32 v10, v2
	v_cvt_f16_f32_e32 v11, v3
	;; [unrolled: 1-line block ×4, first 2 shown]
	v_pack_b32_f16 v2, v6, v7
	v_pack_b32_f16 v3, v8, v9
	v_pack_b32_f16 v4, v10, v11
	v_pack_b32_f16 v5, v12, v5
	ds_write2st64_b64 v74, v[2:3], v[4:5] offset1:1
	s_waitcnt lgkmcnt(0)
	s_barrier
	s_and_saveexec_b64 s[8:9], vcc
	s_cbranch_execz .LBB157_22
; %bb.20:
	buffer_load_dword v6, off, s[44:47], 0  ; 4-byte Folded Reload
	buffer_load_dword v7, off, s[44:47], 0 offset:4 ; 4-byte Folded Reload
	s_load_dwordx2 s[4:5], s[4:5], 0x68
	s_lshl_b32 s2, s2, 7
	s_mul_i32 s0, s3, s6
	s_mul_hi_u32 s7, s0, s2
	s_mul_i32 s6, s0, s2
	s_lshl_b64 s[6:7], s[6:7], 1
	s_waitcnt lgkmcnt(0)
	s_add_u32 s3, s4, s6
	s_addc_u32 s4, s5, s7
	s_lshl_b32 s0, s26, 7
	v_lshlrev_b32_e32 v5, 6, v84
	s_lshl_b64 s[0:1], s[0:1], 1
	v_lshlrev_b32_e32 v4, 4, v0
	v_lshl_or_b32 v0, v0, 10, v5
	s_add_u32 s0, s3, s0
	v_lshlrev_b32_e32 v3, 5, v1
	v_and_b32_e32 v4, 16, v4
	v_and_b32_e32 v0, 0x1a00, v0
	s_addc_u32 s1, s4, s1
	v_or_b32_e32 v2, 4, v1
	v_or3_b32 v0, v0, v3, v4
	v_mov_b32_e32 v4, s1
	v_add_u32_e32 v1, s27, v1
	s_waitcnt vmcnt(1)
	v_add_co_u32_e32 v3, vcc, s0, v6
	s_waitcnt vmcnt(0)
	v_addc_co_u32_e32 v4, vcc, v4, v7, vcc
	ds_read_b128 v[6:9], v0
	v_mad_u64_u32 v[10:11], s[0:1], v1, s2, 0
	v_lshlrev_b64 v[10:11], 1, v[10:11]
	v_add_co_u32_e32 v10, vcc, v3, v10
	v_addc_co_u32_e32 v11, vcc, v4, v11, vcc
	v_cmp_gt_u32_e32 vcc, 6, v2
	s_waitcnt lgkmcnt(0)
	global_store_dwordx4 v[10:11], v[6:9], off
	s_and_b64 exec, exec, vcc
	s_cbranch_execz .LBB157_22
; %bb.21:
	ds_read_b128 v[6:9], v0 offset:128
	v_add_u32_e32 v0, s27, v2
	v_mad_u64_u32 v[0:1], s[0:1], v0, s2, 0
	v_lshlrev_b64 v[0:1], 1, v[0:1]
	v_add_co_u32_e32 v0, vcc, v3, v0
	v_addc_co_u32_e32 v1, vcc, v4, v1, vcc
	s_waitcnt lgkmcnt(0)
	global_store_dwordx4 v[0:1], v[6:9], off
.LBB157_22:
	s_endpgm
	.section	.rodata,"a",@progbits
	.p2align	6, 0x0
	.amdhsa_kernel _Z39paged_attention_ll4mi_QKV_mfma16_kernelIDF16_DF16_LN4vllm18Fp8KVCacheDataTypeE0EDF16_Li32ELi128ELi256ELb1ELi6EL8MFMAType0EEvPKT_PKT0_S8_ifPKiSA_SA_iPKfiiiPfSD_PS3_PT2_iSC_SC_
		.amdhsa_group_segment_fixed_size 8192
		.amdhsa_private_segment_fixed_size 12
		.amdhsa_kernarg_size 400
		.amdhsa_user_sgpr_count 6
		.amdhsa_user_sgpr_private_segment_buffer 1
		.amdhsa_user_sgpr_dispatch_ptr 0
		.amdhsa_user_sgpr_queue_ptr 0
		.amdhsa_user_sgpr_kernarg_segment_ptr 1
		.amdhsa_user_sgpr_dispatch_id 0
		.amdhsa_user_sgpr_flat_scratch_init 0
		.amdhsa_user_sgpr_kernarg_preload_length 0
		.amdhsa_user_sgpr_kernarg_preload_offset 0
		.amdhsa_user_sgpr_private_segment_size 0
		.amdhsa_uses_dynamic_stack 0
		.amdhsa_system_sgpr_private_segment_wavefront_offset 1
		.amdhsa_system_sgpr_workgroup_id_x 1
		.amdhsa_system_sgpr_workgroup_id_y 1
		.amdhsa_system_sgpr_workgroup_id_z 1
		.amdhsa_system_sgpr_workgroup_info 0
		.amdhsa_system_vgpr_workitem_id 0
		.amdhsa_next_free_vgpr 96
		.amdhsa_next_free_sgpr 48
		.amdhsa_accum_offset 96
		.amdhsa_reserve_vcc 1
		.amdhsa_reserve_flat_scratch 0
		.amdhsa_float_round_mode_32 0
		.amdhsa_float_round_mode_16_64 0
		.amdhsa_float_denorm_mode_32 3
		.amdhsa_float_denorm_mode_16_64 3
		.amdhsa_dx10_clamp 1
		.amdhsa_ieee_mode 1
		.amdhsa_fp16_overflow 0
		.amdhsa_tg_split 0
		.amdhsa_exception_fp_ieee_invalid_op 0
		.amdhsa_exception_fp_denorm_src 0
		.amdhsa_exception_fp_ieee_div_zero 0
		.amdhsa_exception_fp_ieee_overflow 0
		.amdhsa_exception_fp_ieee_underflow 0
		.amdhsa_exception_fp_ieee_inexact 0
		.amdhsa_exception_int_div_zero 0
	.end_amdhsa_kernel
	.section	.text._Z39paged_attention_ll4mi_QKV_mfma16_kernelIDF16_DF16_LN4vllm18Fp8KVCacheDataTypeE0EDF16_Li32ELi128ELi256ELb1ELi6EL8MFMAType0EEvPKT_PKT0_S8_ifPKiSA_SA_iPKfiiiPfSD_PS3_PT2_iSC_SC_,"axG",@progbits,_Z39paged_attention_ll4mi_QKV_mfma16_kernelIDF16_DF16_LN4vllm18Fp8KVCacheDataTypeE0EDF16_Li32ELi128ELi256ELb1ELi6EL8MFMAType0EEvPKT_PKT0_S8_ifPKiSA_SA_iPKfiiiPfSD_PS3_PT2_iSC_SC_,comdat
.Lfunc_end157:
	.size	_Z39paged_attention_ll4mi_QKV_mfma16_kernelIDF16_DF16_LN4vllm18Fp8KVCacheDataTypeE0EDF16_Li32ELi128ELi256ELb1ELi6EL8MFMAType0EEvPKT_PKT0_S8_ifPKiSA_SA_iPKfiiiPfSD_PS3_PT2_iSC_SC_, .Lfunc_end157-_Z39paged_attention_ll4mi_QKV_mfma16_kernelIDF16_DF16_LN4vllm18Fp8KVCacheDataTypeE0EDF16_Li32ELi128ELi256ELb1ELi6EL8MFMAType0EEvPKT_PKT0_S8_ifPKiSA_SA_iPKfiiiPfSD_PS3_PT2_iSC_SC_
                                        ; -- End function
	.section	.AMDGPU.csdata,"",@progbits
; Kernel info:
; codeLenInByte = 5092
; NumSgprs: 52
; NumVgprs: 96
; NumAgprs: 0
; TotalNumVgprs: 96
; ScratchSize: 12
; MemoryBound: 0
; FloatMode: 240
; IeeeMode: 1
; LDSByteSize: 8192 bytes/workgroup (compile time only)
; SGPRBlocks: 6
; VGPRBlocks: 11
; NumSGPRsForWavesPerEU: 52
; NumVGPRsForWavesPerEU: 96
; AccumOffset: 96
; Occupancy: 5
; WaveLimiterHint : 1
; COMPUTE_PGM_RSRC2:SCRATCH_EN: 1
; COMPUTE_PGM_RSRC2:USER_SGPR: 6
; COMPUTE_PGM_RSRC2:TRAP_HANDLER: 0
; COMPUTE_PGM_RSRC2:TGID_X_EN: 1
; COMPUTE_PGM_RSRC2:TGID_Y_EN: 1
; COMPUTE_PGM_RSRC2:TGID_Z_EN: 1
; COMPUTE_PGM_RSRC2:TIDIG_COMP_CNT: 0
; COMPUTE_PGM_RSRC3_GFX90A:ACCUM_OFFSET: 23
; COMPUTE_PGM_RSRC3_GFX90A:TG_SPLIT: 0
	.section	.text._Z39paged_attention_ll4mi_QKV_mfma16_kernelIDF16_DF16_LN4vllm18Fp8KVCacheDataTypeE0EDF16_Li32ELi128ELi256ELb1ELi7EL8MFMAType0EEvPKT_PKT0_S8_ifPKiSA_SA_iPKfiiiPfSD_PS3_PT2_iSC_SC_,"axG",@progbits,_Z39paged_attention_ll4mi_QKV_mfma16_kernelIDF16_DF16_LN4vllm18Fp8KVCacheDataTypeE0EDF16_Li32ELi128ELi256ELb1ELi7EL8MFMAType0EEvPKT_PKT0_S8_ifPKiSA_SA_iPKfiiiPfSD_PS3_PT2_iSC_SC_,comdat
	.protected	_Z39paged_attention_ll4mi_QKV_mfma16_kernelIDF16_DF16_LN4vllm18Fp8KVCacheDataTypeE0EDF16_Li32ELi128ELi256ELb1ELi7EL8MFMAType0EEvPKT_PKT0_S8_ifPKiSA_SA_iPKfiiiPfSD_PS3_PT2_iSC_SC_ ; -- Begin function _Z39paged_attention_ll4mi_QKV_mfma16_kernelIDF16_DF16_LN4vllm18Fp8KVCacheDataTypeE0EDF16_Li32ELi128ELi256ELb1ELi7EL8MFMAType0EEvPKT_PKT0_S8_ifPKiSA_SA_iPKfiiiPfSD_PS3_PT2_iSC_SC_
	.globl	_Z39paged_attention_ll4mi_QKV_mfma16_kernelIDF16_DF16_LN4vllm18Fp8KVCacheDataTypeE0EDF16_Li32ELi128ELi256ELb1ELi7EL8MFMAType0EEvPKT_PKT0_S8_ifPKiSA_SA_iPKfiiiPfSD_PS3_PT2_iSC_SC_
	.p2align	8
	.type	_Z39paged_attention_ll4mi_QKV_mfma16_kernelIDF16_DF16_LN4vllm18Fp8KVCacheDataTypeE0EDF16_Li32ELi128ELi256ELb1ELi7EL8MFMAType0EEvPKT_PKT0_S8_ifPKiSA_SA_iPKfiiiPfSD_PS3_PT2_iSC_SC_,@function
_Z39paged_attention_ll4mi_QKV_mfma16_kernelIDF16_DF16_LN4vllm18Fp8KVCacheDataTypeE0EDF16_Li32ELi128ELi256ELb1ELi7EL8MFMAType0EEvPKT_PKT0_S8_ifPKiSA_SA_iPKfiiiPfSD_PS3_PT2_iSC_SC_: ; @_Z39paged_attention_ll4mi_QKV_mfma16_kernelIDF16_DF16_LN4vllm18Fp8KVCacheDataTypeE0EDF16_Li32ELi128ELi256ELb1ELi7EL8MFMAType0EEvPKT_PKT0_S8_ifPKiSA_SA_iPKfiiiPfSD_PS3_PT2_iSC_SC_
; %bb.0:
	s_mov_b64 s[46:47], s[2:3]
	s_mov_b64 s[44:45], s[0:1]
	s_load_dwordx2 s[0:1], s[4:5], 0x30
	s_add_u32 s44, s44, s9
	s_addc_u32 s45, s45, 0
	s_mov_b32 s26, s7
	s_mov_b64 s[10:11], 0
	s_waitcnt lgkmcnt(0)
	s_cmp_lg_u64 s[0:1], 0
	s_cselect_b64 s[2:3], -1, 0
	s_and_b64 vcc, exec, s[2:3]
	s_cbranch_vccz .LBB158_7
; %bb.1:
	s_add_i32 s12, s6, 1
	s_mov_b32 s13, 0
	s_lshl_b64 s[14:15], s[12:13], 2
	s_add_u32 s14, s0, s14
	s_mov_b32 s7, s13
	s_addc_u32 s15, s1, s15
	s_lshl_b64 s[12:13], s[6:7], 2
	s_add_u32 s12, s0, s12
	s_addc_u32 s13, s1, s13
	s_load_dword s9, s[14:15], 0x0
	s_load_dword s16, s[12:13], 0x0
	s_waitcnt lgkmcnt(0)
	s_sub_i32 s9, s9, s16
	s_cmp_eq_u32 s9, 1
	s_cselect_b64 s[12:13], -1, 0
	s_andn2_b64 vcc, exec, s[10:11]
	s_cbranch_vccnz .LBB158_3
.LBB158_2:
	s_mov_b32 s7, 0
	s_mov_b64 s[12:13], -1
.LBB158_3:
	s_andn2_b64 vcc, exec, s[12:13]
	s_cbranch_vccnz .LBB158_22
; %bb.4:
	s_load_dwordx2 s[12:13], s[4:5], 0x28
	s_lshl_b64 s[10:11], s[6:7], 2
	s_waitcnt lgkmcnt(0)
	s_add_u32 s12, s12, s10
	s_addc_u32 s13, s13, s11
	s_load_dword s33, s[12:13], 0x0
	s_lshl_b32 s16, s26, 8
	s_waitcnt lgkmcnt(0)
	s_cmp_ge_i32 s16, s33
	s_cbranch_scc1 .LBB158_22
; %bb.5:
	s_add_i32 s14, s33, 31
	s_load_dwordx2 s[12:13], s[4:5], 0x20
	s_load_dword s9, s[4:5], 0x38
	s_ashr_i32 s15, s14, 31
	v_and_b32_e32 v1, 0xcf, v0
	s_lshr_b32 s15, s15, 27
	v_add_u32_e32 v1, s16, v1
	s_add_i32 s14, s14, s15
	v_ashrrev_i32_e32 v2, 31, v1
	s_ashr_i32 s19, s14, 5
	v_lshrrev_b32_e32 v6, 27, v2
	s_add_i32 s19, s19, -1
	v_add_u32_e32 v2, v1, v6
	s_waitcnt lgkmcnt(0)
	s_mul_i32 s14, s6, s9
	s_mov_b32 s15, 0
	v_ashrrev_i32_e32 v2, 5, v2
	v_mov_b32_e32 v7, s19
	v_cmp_gt_i32_e32 vcc, s33, v1
	s_lshl_b64 s[14:15], s[14:15], 2
	v_cndmask_b32_e32 v2, v7, v2, vcc
	s_add_u32 s17, s12, s14
	v_ashrrev_i32_e32 v3, 31, v2
	s_addc_u32 s18, s13, s15
	v_lshlrev_b64 v[2:3], 2, v[2:3]
	v_mov_b32_e32 v4, s18
	v_add_co_u32_e32 v2, vcc, s17, v2
	v_addc_co_u32_e32 v3, vcc, v4, v3, vcc
	v_or_b32_e32 v4, 16, v1
	v_add_u32_e32 v5, v4, v6
	v_ashrrev_i32_e32 v5, 5, v5
	v_cmp_gt_i32_e32 vcc, s33, v4
	v_cndmask_b32_e32 v4, v7, v5, vcc
	v_ashrrev_i32_e32 v5, 31, v4
	v_lshlrev_b64 v[4:5], 2, v[4:5]
	v_mov_b32_e32 v9, s18
	v_add_co_u32_e32 v8, vcc, s17, v4
	v_or_b32_e32 v4, 32, v1
	v_addc_co_u32_e32 v9, vcc, v9, v5, vcc
	v_add_u32_e32 v5, v4, v6
	v_ashrrev_i32_e32 v5, 5, v5
	v_cmp_gt_i32_e32 vcc, s33, v4
	v_cndmask_b32_e32 v4, v7, v5, vcc
	v_ashrrev_i32_e32 v5, 31, v4
	v_lshlrev_b64 v[4:5], 2, v[4:5]
	v_mov_b32_e32 v11, s18
	v_add_co_u32_e32 v10, vcc, s17, v4
	v_or_b32_e32 v1, 48, v1
	v_addc_co_u32_e32 v11, vcc, v11, v5, vcc
	v_add_u32_e32 v4, v1, v6
	v_ashrrev_i32_e32 v4, 5, v4
	v_cmp_gt_i32_e32 vcc, s33, v1
	v_cndmask_b32_e32 v4, v7, v4, vcc
	v_ashrrev_i32_e32 v5, 31, v4
	v_lshlrev_b64 v[4:5], 2, v[4:5]
	v_mov_b32_e32 v1, s18
	v_add_co_u32_e32 v12, vcc, s17, v4
	v_addc_co_u32_e32 v13, vcc, v1, v5, vcc
	global_load_dword v7, v[2:3], off
	global_load_dword v6, v[8:9], off
	;; [unrolled: 1-line block ×4, first 2 shown]
	s_andn2_b64 vcc, exec, s[2:3]
	s_cbranch_vccnz .LBB158_8
; %bb.6:
	s_add_u32 s0, s0, s10
	s_addc_u32 s1, s1, s11
	s_load_dword s9, s[0:1], 0x0
	s_branch .LBB158_9
.LBB158_7:
	s_mov_b64 s[12:13], 0
	s_branch .LBB158_2
.LBB158_8:
	s_mov_b32 s9, s6
.LBB158_9:
	s_load_dwordx2 s[12:13], s[4:5], 0x8
	s_load_dwordx4 s[0:3], s[4:5], 0x48
	v_lshrrev_b32_e32 v85, 6, v0
	v_bfe_u32 v1, v0, 4, 2
	v_lshl_or_b32 v8, v85, 2, v1
	v_and_b32_e32 v84, 15, v0
	v_lshlrev_b32_e32 v2, 3, v84
	v_cmp_lt_u32_e32 vcc, 6, v8
	s_and_saveexec_b64 s[10:11], vcc
	s_xor_b64 s[10:11], exec, s[10:11]
; %bb.10:
	v_mov_b32_e32 v3, 0
                                        ; implicit-def: $vgpr8
; %bb.11:
	s_or_saveexec_b64 s[14:15], s[10:11]
	s_load_dwordx2 s[10:11], s[4:5], 0x10
	s_mul_i32 s27, s8, 7
	s_xor_b64 exec, exec, s[14:15]
	s_cbranch_execz .LBB158_13
; %bb.12:
	s_load_dwordx2 s[20:21], s[4:5], 0x0
	s_waitcnt lgkmcnt(0)
	s_ashr_i32 s3, s0, 31
	s_mul_hi_u32 s22, s9, s0
	s_mul_i32 s3, s9, s3
	s_add_i32 s23, s22, s3
	s_mul_i32 s22, s9, s0
	s_lshl_b64 s[22:23], s[22:23], 1
	v_add_lshl_u32 v10, v8, s27, 7
	s_add_u32 s0, s20, s22
	v_ashrrev_i32_e32 v11, 31, v10
	s_addc_u32 s3, s21, s23
	v_lshlrev_b64 v[10:11], 1, v[10:11]
	v_mov_b32_e32 v3, s3
	v_add_co_u32_e32 v9, vcc, s0, v10
	v_addc_co_u32_e32 v3, vcc, v3, v11, vcc
	v_lshlrev_b32_e32 v10, 1, v2
	v_add_co_u32_e32 v10, vcc, v9, v10
	v_addc_co_u32_e32 v11, vcc, 0, v3, vcc
	global_load_dwordx4 v[10:13], v[10:11], off
	v_and_b32_e32 v9, 3, v0
	v_lshlrev_b32_e32 v14, 9, v84
	v_lshlrev_b32_e32 v8, 5, v8
	;; [unrolled: 1-line block ×3, first 2 shown]
	v_and_b32_e32 v14, 0x1800, v14
	v_mov_b32_e32 v3, 0
	v_or3_b32 v8, v14, v9, v8
	s_waitcnt vmcnt(0)
	ds_write_b128 v8, v[10:13]
.LBB158_13:
	s_or_b64 exec, exec, s[14:15]
	s_waitcnt lgkmcnt(0)
	s_mul_i32 s2, s8, s2
	s_mov_b32 s3, 0
	s_lshl_b64 s[2:3], s[2:3], 1
	s_add_u32 s0, s12, s2
	s_waitcnt vmcnt(3)
	v_mad_i64_i32 v[8:9], s[8:9], v7, s1, 0
	s_addc_u32 s12, s13, s3
	v_lshlrev_b64 v[8:9], 1, v[8:9]
	v_mov_b32_e32 v7, s12
	v_add_co_u32_e32 v8, vcc, s0, v8
	v_addc_co_u32_e32 v7, vcc, v7, v9, vcc
	v_lshlrev_b64 v[14:15], 1, v[2:3]
	v_add_co_u32_e32 v8, vcc, v8, v14
	v_lshlrev_b32_e32 v12, 9, v1
	v_addc_co_u32_e32 v7, vcc, v7, v15, vcc
	v_add_co_u32_e32 v2, vcc, v8, v12
	v_addc_co_u32_e32 v3, vcc, 0, v7, vcc
	v_or_b32_e32 v10, 0x1000, v12
	s_barrier
	global_load_dwordx4 v[38:41], v[2:3], off
	global_load_dwordx4 v[30:33], v[2:3], off offset:2048
	v_add_co_u32_e32 v2, vcc, v8, v10
	v_addc_co_u32_e32 v3, vcc, 0, v7, vcc
	v_or_b32_e32 v11, 0x1800, v12
	v_add_co_u32_e32 v8, vcc, v8, v11
	v_addc_co_u32_e32 v9, vcc, 0, v7, vcc
	global_load_dwordx4 v[46:49], v[2:3], off
	global_load_dwordx4 v[58:61], v[8:9], off
	s_waitcnt vmcnt(6)
	v_mad_i64_i32 v[2:3], s[8:9], v6, s1, 0
	v_lshlrev_b64 v[2:3], 1, v[2:3]
	v_mov_b32_e32 v6, s12
	v_add_co_u32_e32 v2, vcc, s0, v2
	v_addc_co_u32_e32 v3, vcc, v6, v3, vcc
	v_mov_b32_e32 v6, 0x100
	v_lshl_or_b32 v8, v84, 4, v6
	v_add_co_u32_e32 v6, vcc, v2, v8
	v_addc_co_u32_e32 v7, vcc, 0, v3, vcc
	v_add_co_u32_e32 v2, vcc, v6, v12
	v_addc_co_u32_e32 v3, vcc, 0, v7, vcc
	global_load_dwordx4 v[74:77], v[2:3], off
	global_load_dwordx4 v[70:73], v[2:3], off offset:2048
	v_add_co_u32_e32 v2, vcc, v6, v10
	v_addc_co_u32_e32 v3, vcc, 0, v7, vcc
	v_add_co_u32_e32 v6, vcc, v6, v11
	v_addc_co_u32_e32 v7, vcc, 0, v7, vcc
	global_load_dwordx4 v[78:81], v[2:3], off
	global_load_dwordx4 v[66:69], v[6:7], off
	s_waitcnt vmcnt(9)
	v_mad_i64_i32 v[2:3], s[8:9], v5, s1, 0
	v_lshlrev_b64 v[2:3], 1, v[2:3]
	v_mov_b32_e32 v5, s12
	v_add_co_u32_e32 v2, vcc, s0, v2
	v_addc_co_u32_e32 v3, vcc, v5, v3, vcc
	v_add_co_u32_e32 v5, vcc, v2, v14
	buffer_store_dword v14, off, s[44:47], 0 ; 4-byte Folded Spill
	s_nop 0
	buffer_store_dword v15, off, s[44:47], 0 offset:4 ; 4-byte Folded Spill
	v_and_b32_e32 v94, 63, v0
	v_mov_b32_e32 v87, 0
	v_addc_co_u32_e32 v7, vcc, v3, v15, vcc
	v_add_co_u32_e32 v2, vcc, v5, v12
	v_addc_co_u32_e32 v3, vcc, 0, v7, vcc
	global_load_dwordx4 v[62:65], v[2:3], off
	global_load_dwordx4 v[42:45], v[2:3], off offset:2048
	v_add_co_u32_e32 v2, vcc, v5, v10
	v_addc_co_u32_e32 v3, vcc, 0, v7, vcc
	v_add_co_u32_e32 v6, vcc, v5, v11
	v_addc_co_u32_e32 v7, vcc, 0, v7, vcc
	global_load_dwordx4 v[26:29], v[2:3], off
	global_load_dwordx4 v[18:21], v[6:7], off
	s_waitcnt vmcnt(14)
	v_mad_i64_i32 v[2:3], s[8:9], v4, s1, 0
	v_lshlrev_b64 v[2:3], 1, v[2:3]
	v_mov_b32_e32 v4, s12
	v_add_co_u32_e32 v2, vcc, s0, v2
	v_addc_co_u32_e32 v3, vcc, v4, v3, vcc
	v_add_co_u32_e32 v4, vcc, v2, v8
	v_addc_co_u32_e32 v5, vcc, 0, v3, vcc
	;; [unrolled: 2-line block ×3, first 2 shown]
	global_load_dwordx4 v[14:17], v[2:3], off
	global_load_dwordx4 v[6:9], v[2:3], off offset:2048
	v_add_co_u32_e32 v2, vcc, v4, v10
	v_addc_co_u32_e32 v3, vcc, 0, v5, vcc
	v_add_co_u32_e32 v10, vcc, v4, v11
	v_addc_co_u32_e32 v11, vcc, 0, v5, vcc
	global_load_dwordx4 v[2:5], v[2:3], off
	s_nop 0
	global_load_dwordx4 v[50:53], v[10:11], off
	v_mul_lo_u16_e32 v10, 37, v84
	v_mov_b32_e32 v11, 7
	v_mul_lo_u16_sdwa v10, v10, v11 dst_sel:DWORD dst_unused:UNUSED_PAD src0_sel:BYTE_1 src1_sel:DWORD
	v_sub_u16_e32 v10, v84, v10
	v_and_b32_e32 v10, 0xff, v10
	v_lshl_add_u32 v54, v10, 5, v12
	ds_read_b128 v[34:37], v54
	ds_read_b128 v[22:25], v54 offset:2048
	ds_read_b128 v[10:13], v54 offset:4096
	;; [unrolled: 1-line block ×3, first 2 shown]
	v_cmp_gt_u32_e32 vcc, 7, v84
	s_and_saveexec_b64 s[8:9], vcc
	s_cbranch_execz .LBB158_15
; %bb.14:
	s_load_dwordx2 s[12:13], s[4:5], 0x40
	v_add_u32_e32 v82, s27, v84
	v_ashrrev_i32_e32 v83, 31, v82
	v_lshlrev_b64 v[82:83], 2, v[82:83]
	s_waitcnt lgkmcnt(0)
	v_mov_b32_e32 v87, s13
	v_add_co_u32_e32 v82, vcc, s12, v82
	v_addc_co_u32_e32 v83, vcc, v87, v83, vcc
	global_load_dword v87, v[82:83], off
.LBB158_15:
	s_or_b64 exec, exec, s[8:9]
	s_waitcnt vmcnt(17) lgkmcnt(3)
	v_mfma_f32_16x16x16f16 v[88:91], v[38:39], v[34:35], 0
	s_ashr_i32 s0, s16, 31
	s_lshr_b32 s0, s0, 27
	s_add_u32 s2, s10, s2
	s_addc_u32 s3, s11, s3
	s_mov_b32 s40, 0xff7fffff
	v_mfma_f32_16x16x16f16 v[38:41], v[40:41], v[36:37], v[88:91]
	s_waitcnt vmcnt(16) lgkmcnt(2)
	v_mfma_f32_16x16x16f16 v[38:41], v[30:31], v[22:23], v[38:41]
	s_nop 4
	v_lshl_or_b32 v88, v85, 4, v84
	v_mfma_f32_16x16x16f16 v[30:33], v[32:33], v[24:25], v[38:41]
	s_waitcnt vmcnt(15) lgkmcnt(1)
	v_mfma_f32_16x16x16f16 v[30:33], v[46:47], v[10:11], v[30:33]
	v_and_or_b32 v46, v0, 48, s16
	s_nop 3
	v_add_u32_e32 v38, s0, v46
	v_ashrrev_i32_e32 v38, 5, v38
	v_mov_b32_e32 v47, s19
	v_cmp_gt_i32_e32 vcc, s33, v46
	v_cndmask_b32_e32 v38, v47, v38, vcc
	v_ashrrev_i32_e32 v39, 31, v38
	v_mfma_f32_16x16x16f16 v[30:33], v[48:49], v[12:13], v[30:33]
	v_or_b32_e32 v40, 64, v46
	v_add_u32_e32 v41, s0, v40
	v_ashrrev_i32_e32 v41, 5, v41
	v_mov_b32_e32 v48, s18
	s_waitcnt vmcnt(14) lgkmcnt(0)
	v_mfma_f32_16x16x16f16 v[30:33], v[58:59], v[54:55], v[30:33]
	v_mfma_f32_16x16x16f16 v[58:61], v[60:61], v[56:57], v[30:33]
	s_waitcnt vmcnt(13)
	v_mfma_f32_16x16x16f16 v[30:33], v[74:75], v[34:35], 0
	v_mfma_f32_16x16x16f16 v[30:33], v[76:77], v[36:37], v[30:33]
	v_lshlrev_b32_e32 v76, 6, v88
	s_waitcnt vmcnt(12)
	v_mfma_f32_16x16x16f16 v[30:33], v[70:71], v[22:23], v[30:33]
	v_mfma_f32_16x16x16f16 v[30:33], v[72:73], v[24:25], v[30:33]
	s_waitcnt vmcnt(11)
	v_mfma_f32_16x16x16f16 v[30:33], v[78:79], v[10:11], v[30:33]
	v_mfma_f32_16x16x16f16 v[30:33], v[80:81], v[12:13], v[30:33]
	s_waitcnt vmcnt(10)
	v_mfma_f32_16x16x16f16 v[30:33], v[66:67], v[54:55], v[30:33]
	v_mfma_f32_16x16x16f16 v[66:69], v[68:69], v[56:57], v[30:33]
	s_nop 7
	s_nop 1
	v_lshlrev_b64 v[30:31], 2, v[38:39]
	v_mov_b32_e32 v32, s18
	v_add_co_u32_e32 v38, vcc, s17, v30
	v_addc_co_u32_e32 v39, vcc, v32, v31, vcc
	v_cmp_gt_i32_e32 vcc, s33, v40
	v_cndmask_b32_e32 v40, v47, v41, vcc
	v_ashrrev_i32_e32 v41, 31, v40
	v_lshlrev_b64 v[40:41], 2, v[40:41]
	v_add_co_u32_e32 v40, vcc, s17, v40
	v_addc_co_u32_e32 v41, vcc, v48, v41, vcc
	global_load_dword v48, v[38:39], off
	s_nop 0
	global_load_dword v40, v[40:41], off
	v_or_b32_e32 v38, 0x80, v46
	v_add_u32_e32 v39, s0, v38
	v_ashrrev_i32_e32 v39, 5, v39
	v_cmp_gt_i32_e32 vcc, s33, v38
	v_cndmask_b32_e32 v38, v47, v39, vcc
	v_ashrrev_i32_e32 v39, 31, v38
	v_lshlrev_b64 v[38:39], 2, v[38:39]
	v_mov_b32_e32 v41, s18
	v_add_co_u32_e32 v38, vcc, s17, v38
	v_addc_co_u32_e32 v39, vcc, v41, v39, vcc
	s_waitcnt vmcnt(9)
	v_mfma_f32_16x16x16f16 v[30:33], v[62:63], v[34:35], 0
	global_load_dword v62, v[38:39], off
	v_or_b32_e32 v38, 0xc0, v46
	v_add_u32_e32 v39, s0, v38
	v_ashrrev_i32_e32 v39, 5, v39
	v_cmp_gt_i32_e32 vcc, s33, v38
	v_cndmask_b32_e32 v38, v47, v39, vcc
	v_ashrrev_i32_e32 v39, 31, v38
	v_mfma_f32_16x16x16f16 v[30:33], v[64:65], v[36:37], v[30:33]
	s_load_dword s0, s[4:5], 0x1c
	s_waitcnt lgkmcnt(0)
	v_pk_mul_f32 v[58:59], s[0:1], v[58:59] op_sel_hi:[0,1]
	s_waitcnt vmcnt(9)
	v_mfma_f32_16x16x16f16 v[30:33], v[42:43], v[22:23], v[30:33]
	v_mfma_f32_16x16x16f16 v[30:33], v[44:45], v[24:25], v[30:33]
	s_waitcnt vmcnt(8)
	v_mfma_f32_16x16x16f16 v[30:33], v[26:27], v[10:11], v[30:33]
	v_lshlrev_b64 v[26:27], 2, v[38:39]
	v_mov_b32_e32 v39, s18
	v_add_co_u32_e32 v38, vcc, s17, v26
	v_addc_co_u32_e32 v39, vcc, v39, v27, vcc
	global_load_dword v63, v[38:39], off
	v_mfma_f32_16x16x16f16 v[26:29], v[28:29], v[12:13], v[30:33]
	s_waitcnt vmcnt(8)
	v_mfma_f32_16x16x16f16 v[26:29], v[18:19], v[54:55], v[26:29]
	s_nop 4
	v_and_b32_e32 v30, 16, v0
	v_lshlrev_b32_e32 v30, 1, v30
	v_mov_b32_e32 v18, s3
	v_add_co_u32_e32 v74, vcc, s2, v30
	v_addc_co_u32_e32 v75, vcc, 0, v18, vcc
	v_mfma_f32_16x16x16f16 v[90:93], v[20:21], v[56:57], v[26:29]
	v_add_co_u32_e32 v77, vcc, v74, v76
	v_addc_co_u32_e32 v78, vcc, 0, v75, vcc
	s_waitcnt vmcnt(3)
	v_mad_i64_i32 v[18:19], s[2:3], v48, s1, 0
	v_lshlrev_b64 v[70:71], 1, v[18:19]
	v_mfma_f32_16x16x16f16 v[18:21], v[14:15], v[34:35], 0
	v_add_co_u32_e32 v14, vcc, v77, v70
	v_addc_co_u32_e32 v15, vcc, v78, v71, vcc
	global_load_dwordx4 v[46:49], v[14:15], off
	global_load_dwordx4 v[42:45], v[14:15], off offset:16
	s_waitcnt vmcnt(4)
	v_mad_i64_i32 v[14:15], s[2:3], v40, s1, 0
	v_lshlrev_b64 v[72:73], 1, v[14:15]
	v_mfma_f32_16x16x16f16 v[14:17], v[16:17], v[36:37], v[18:21]
	v_mfma_f32_16x16x16f16 v[14:17], v[6:7], v[22:23], v[14:17]
	s_nop 5
	v_add_co_u32_e32 v18, vcc, v77, v72
	v_addc_co_u32_e32 v19, vcc, v78, v73, vcc
	global_load_dwordx4 v[38:41], v[18:19], off
	global_load_dwordx4 v[34:37], v[18:19], off offset:16
	s_waitcnt vmcnt(5)
	v_mad_i64_i32 v[18:19], s[2:3], v62, s1, 0
	v_lshlrev_b64 v[64:65], 1, v[18:19]
	v_add_co_u32_e32 v6, vcc, v77, v64
	v_addc_co_u32_e32 v7, vcc, v78, v65, vcc
	global_load_dwordx4 v[30:33], v[6:7], off
	global_load_dwordx4 v[26:29], v[6:7], off offset:16
	v_mfma_f32_16x16x16f16 v[6:9], v[8:9], v[24:25], v[14:17]
	v_mfma_f32_16x16x16f16 v[6:9], v[2:3], v[10:11], v[6:9]
	v_or_b32_e32 v2, 0x1000, v76
	s_waitcnt vmcnt(6)
	s_nop 3
	v_mad_i64_i32 v[14:15], s[2:3], v63, s1, 0
	v_mfma_f32_16x16x16f16 v[10:13], v[4:5], v[12:13], v[6:9]
	v_lshlrev_b64 v[62:63], 1, v[14:15]
	v_add_co_u32_e32 v14, vcc, v77, v62
	v_addc_co_u32_e32 v15, vcc, v78, v63, vcc
	v_add_co_u32_e32 v89, vcc, v74, v2
	v_mfma_f32_16x16x16f16 v[80:83], v[50:51], v[54:55], v[10:13]
	v_addc_co_u32_e32 v86, vcc, 0, v75, vcc
	v_pk_mul_f32 v[74:75], s[0:1], v[68:69] op_sel_hi:[0,1]
	v_pk_mul_f32 v[76:77], s[0:1], v[66:67] op_sel_hi:[0,1]
	;; [unrolled: 1-line block ×3, first 2 shown]
	v_add_co_u32_e32 v2, vcc, v89, v70
	v_mfma_f32_16x16x16f16 v[50:53], v[52:53], v[56:57], v[80:83]
	v_addc_co_u32_e32 v3, vcc, v86, v71, vcc
	v_add_co_u32_e32 v70, vcc, v89, v72
	v_addc_co_u32_e32 v71, vcc, v86, v73, vcc
	global_load_dwordx4 v[22:25], v[14:15], off
	global_load_dwordx4 v[18:21], v[14:15], off offset:16
	s_nop 5
	v_pk_mul_f32 v[68:69], s[0:1], v[50:51] op_sel_hi:[0,1]
	v_and_b32_e32 v50, 0xc0, v0
	v_add_u32_e32 v50, s16, v50
	v_lshl_or_b32 v50, v1, 2, v50
	v_or_b32_e32 v51, 1, v50
	v_pk_mul_f32 v[66:67], s[0:1], v[52:53] op_sel_hi:[0,1]
	v_subrev_u32_e32 v52, s33, v51
	v_add_u32_e32 v54, 1, v52
	v_add_u32_e32 v55, 2, v52
	v_cvt_f32_i32_e32 v53, v52
	v_cvt_f32_i32_e32 v54, v54
	;; [unrolled: 1-line block ×3, first 2 shown]
	v_add_u32_e32 v56, 3, v52
	v_fma_f32 v58, v87, v53, v58
	v_fmac_f32_e32 v59, v87, v54
	v_fma_f32 v78, v87, v55, v78
	v_add_u32_e32 v53, 16, v52
	v_add_u32_e32 v54, 17, v52
	;; [unrolled: 1-line block ×3, first 2 shown]
	v_cvt_f32_i32_e32 v56, v56
	v_cvt_f32_i32_e32 v53, v53
	;; [unrolled: 1-line block ×4, first 2 shown]
	v_fmac_f32_e32 v79, v87, v56
	v_add_u32_e32 v56, 19, v52
	v_fma_f32 v76, v87, v53, v76
	v_fmac_f32_e32 v77, v87, v54
	v_fma_f32 v74, v87, v55, v74
	v_add_u32_e32 v53, 32, v52
	v_add_u32_e32 v54, 33, v52
	;; [unrolled: 1-line block ×3, first 2 shown]
	v_cvt_f32_i32_e32 v56, v56
	v_cvt_f32_i32_e32 v53, v53
	;; [unrolled: 1-line block ×4, first 2 shown]
	global_load_dwordx4 v[6:9], v[2:3], off
	s_nop 0
	global_load_dwordx4 v[2:5], v[2:3], off offset:16
	s_nop 0
	global_load_dwordx4 v[14:17], v[70:71], off
	global_load_dwordx4 v[10:13], v[70:71], off offset:16
	v_pk_mul_f32 v[70:71], s[0:1], v[92:93] op_sel_hi:[0,1]
	v_pk_mul_f32 v[72:73], s[0:1], v[90:91] op_sel_hi:[0,1]
	v_fmac_f32_e32 v75, v87, v56
	v_add_u32_e32 v56, 35, v52
	v_fma_f32 v72, v87, v53, v72
	v_fmac_f32_e32 v73, v87, v54
	v_fma_f32 v70, v87, v55, v70
	v_add_u32_e32 v53, 48, v52
	v_add_u32_e32 v54, 49, v52
	;; [unrolled: 1-line block ×4, first 2 shown]
	v_cvt_f32_i32_e32 v52, v52
	v_cvt_f32_i32_e32 v53, v53
	;; [unrolled: 1-line block ×3, first 2 shown]
	v_cmp_gt_i32_e64 s[28:29], s33, v50
	v_fmac_f32_e32 v67, v87, v52
	v_mov_b32_e32 v52, 0xff7fffff
	v_cmp_gt_i32_e64 s[30:31], s33, v51
	v_fma_f32 v68, v87, v53, v68
	v_cndmask_b32_e64 v53, v52, v58, s[28:29]
	v_cndmask_b32_e64 v51, v52, v59, s[30:31]
	v_fmac_f32_e32 v69, v87, v54
	v_max3_f32 v51, v53, s40, v51
	v_or_b32_e32 v53, 2, v50
	v_or_b32_e32 v54, 3, v50
	v_cmp_gt_i32_e64 s[34:35], s33, v53
	v_cmp_gt_i32_e64 s[36:37], s33, v54
	v_cndmask_b32_e64 v53, v52, v78, s[34:35]
	v_cndmask_b32_e64 v54, v52, v79, s[36:37]
	v_max3_f32 v51, v51, v53, v54
	v_or_b32_e32 v53, 16, v50
	v_or_b32_e32 v54, 17, v50
	v_cmp_gt_i32_e64 s[22:23], s33, v53
	v_cmp_gt_i32_e64 s[24:25], s33, v54
	v_cndmask_b32_e64 v53, v52, v76, s[22:23]
	v_cndmask_b32_e64 v54, v52, v77, s[24:25]
	;; [unrolled: 7-line block ×3, first 2 shown]
	v_cvt_f32_i32_e32 v56, v56
	v_max3_f32 v51, v51, v53, v54
	v_or_b32_e32 v53, 32, v50
	v_or_b32_e32 v54, 33, v50
	v_cmp_gt_i32_e64 s[14:15], s33, v53
	v_cmp_gt_i32_e64 s[16:17], s33, v54
	v_cndmask_b32_e64 v53, v52, v72, s[14:15]
	v_cndmask_b32_e64 v54, v52, v73, s[16:17]
	v_max3_f32 v51, v51, v53, v54
	v_or_b32_e32 v53, 34, v50
	v_or_b32_e32 v54, 35, v50
	v_fmac_f32_e32 v71, v87, v56
	v_cmp_gt_i32_e64 s[10:11], s33, v53
	v_cmp_gt_i32_e64 s[12:13], s33, v54
	v_cndmask_b32_e64 v53, v52, v70, s[10:11]
	v_cndmask_b32_e64 v54, v52, v71, s[12:13]
	v_cvt_f32_i32_e32 v55, v55
	v_max3_f32 v51, v51, v53, v54
	v_or_b32_e32 v53, 48, v50
	v_or_b32_e32 v54, 49, v50
	v_cmp_gt_i32_e64 s[2:3], s33, v53
	v_cmp_gt_i32_e64 s[8:9], s33, v54
	v_cndmask_b32_e64 v53, v52, v68, s[2:3]
	v_cndmask_b32_e64 v54, v52, v69, s[8:9]
	v_max3_f32 v51, v51, v53, v54
	v_or_b32_e32 v53, 50, v50
	v_or_b32_e32 v50, 51, v50
	v_fma_f32 v66, v87, v55, v66
	v_cmp_gt_i32_e32 vcc, s33, v53
	v_cmp_gt_i32_e64 s[0:1], s33, v50
	v_cndmask_b32_e32 v53, v52, v66, vcc
	v_cndmask_b32_e64 v50, v52, v67, s[0:1]
	v_max3_f32 v60, v51, v53, v50
	v_mbcnt_lo_u32_b32 v50, -1, 0
	v_mbcnt_hi_u32_b32 v61, -1, v50
	v_and_b32_e32 v50, 64, v61
	v_add_u32_e32 v80, 64, v50
	v_xor_b32_e32 v50, 32, v61
	v_cmp_lt_i32_e64 s[38:39], v50, v80
	v_cndmask_b32_e64 v50, v61, v50, s[38:39]
	v_lshlrev_b32_e32 v82, 2, v50
	ds_bpermute_b32 v81, v82, v60
	v_add_co_u32_e64 v50, s[38:39], v89, v64
	v_addc_co_u32_e64 v51, s[38:39], v86, v65, s[38:39]
	s_waitcnt lgkmcnt(0)
	v_max_f32_e32 v64, v81, v81
	v_max_f32_e32 v64, v60, v64
	v_xor_b32_e32 v60, 16, v61
	v_cmp_lt_i32_e64 s[38:39], v60, v80
	v_cndmask_b32_e64 v60, v61, v60, s[38:39]
	v_lshlrev_b32_e32 v83, 2, v60
	ds_bpermute_b32 v65, v83, v64
	v_add_co_u32_e64 v60, s[38:39], v89, v62
	v_addc_co_u32_e64 v61, s[38:39], v86, v63, s[38:39]
	s_waitcnt lgkmcnt(0)
	v_max_f32_e32 v62, v65, v65
	v_max_f32_e32 v87, v64, v62
	v_sub_f32_e32 v58, v58, v87
	v_mul_f32_e32 v58, 0x3fb8aa3b, v58
	v_exp_f32_e32 v80, v58
	v_sub_f32_e32 v58, v59, v87
	v_mul_f32_e32 v58, 0x3fb8aa3b, v58
	global_load_dwordx4 v[54:57], v[50:51], off
	s_nop 0
	global_load_dwordx4 v[50:53], v[50:51], off offset:16
	v_exp_f32_e32 v81, v58
	global_load_dwordx4 v[62:65], v[60:61], off
	s_nop 0
	global_load_dwordx4 v[58:61], v[60:61], off offset:16
	v_sub_f32_e32 v78, v78, v87
	v_mul_f32_e32 v78, 0x3fb8aa3b, v78
	v_sub_f32_e32 v79, v79, v87
	v_exp_f32_e32 v78, v78
	v_mul_f32_e32 v79, 0x3fb8aa3b, v79
	v_sub_f32_e32 v76, v76, v87
	v_exp_f32_e32 v79, v79
	v_mul_f32_e32 v76, 0x3fb8aa3b, v76
	v_sub_f32_e32 v77, v77, v87
	v_cndmask_b32_e64 v80, 0, v80, s[28:29]
	v_exp_f32_e32 v76, v76
	v_mul_f32_e32 v77, 0x3fb8aa3b, v77
	v_sub_f32_e32 v74, v74, v87
	v_add_f32_e32 v86, 0, v80
	v_cndmask_b32_e64 v81, 0, v81, s[30:31]
	v_exp_f32_e32 v77, v77
	v_mul_f32_e32 v74, 0x3fb8aa3b, v74
	v_sub_f32_e32 v75, v75, v87
	v_add_f32_e32 v86, v86, v81
	;; [unrolled: 5-line block ×10, first 2 shown]
	v_cndmask_b32_e64 v70, 0, v70, s[10:11]
	v_exp_f32_e32 v66, v66
	v_mul_f32_e32 v67, 0x3fb8aa3b, v67
	v_add_f32_e32 v86, v86, v70
	v_cndmask_b32_e64 v71, 0, v71, s[12:13]
	v_exp_f32_e32 v67, v67
	v_add_f32_e32 v86, v86, v71
	v_cndmask_b32_e64 v68, 0, v68, s[2:3]
	v_add_f32_e32 v86, v86, v68
	v_cndmask_b32_e64 v69, 0, v69, s[8:9]
	v_add_f32_e32 v86, v86, v69
	v_cndmask_b32_e32 v66, 0, v66, vcc
	v_add_f32_e32 v86, v86, v66
	v_cndmask_b32_e64 v67, 0, v67, s[0:1]
	v_add_f32_e32 v86, v86, v67
	ds_bpermute_b32 v82, v82, v86
	s_load_dword s3, s[4:5], 0x98
	v_cmp_gt_u32_e32 vcc, 16, v94
	s_waitcnt lgkmcnt(0)
	s_barrier
	v_add_f32_e32 v89, v86, v82
	ds_bpermute_b32 v90, v83, v89
	s_waitcnt lgkmcnt(0)
	s_and_saveexec_b64 s[0:1], vcc
	s_cbranch_execz .LBB158_17
; %bb.16:
	v_add_f32_e32 v82, v89, v90
	v_lshlrev_b32_e32 v83, 2, v88
	ds_write2st64_b32 v83, v87, v82 offset1:1
.LBB158_17:
	s_or_b64 exec, exec, s[0:1]
	v_lshlrev_b32_e32 v87, 2, v84
	s_load_dword s2, s[4:5], 0x94
	s_waitcnt lgkmcnt(0)
	s_barrier
	ds_read2_b32 v[82:83], v87 offset1:16
	ds_read2_b32 v[88:89], v87 offset0:32 offset1:48
	ds_read2_b32 v[90:91], v87 offset0:64 offset1:80
	s_mul_i32 s3, s3, 7
	s_waitcnt lgkmcnt(2)
	v_max3_f32 v86, v82, s40, v83
	s_waitcnt lgkmcnt(1)
	v_max3_f32 v86, v86, v88, v89
	v_sub_f32_e32 v82, v82, v86
	v_mul_f32_e32 v82, 0x3fb8aa3b, v82
	v_exp_f32_e32 v92, v82
	v_sub_f32_e32 v82, v83, v86
	v_mul_f32_e32 v82, 0x3fb8aa3b, v82
	v_exp_f32_e32 v93, v82
	v_sub_f32_e32 v82, v88, v86
	v_mul_f32_e32 v82, 0x3fb8aa3b, v82
	v_exp_f32_e32 v88, v82
	ds_read2_b32 v[82:83], v87 offset0:96 offset1:112
	v_sub_f32_e32 v87, v89, v86
	v_mul_f32_e32 v87, 0x3fb8aa3b, v87
	v_exp_f32_e32 v89, v87
	s_waitcnt lgkmcnt(1)
	v_fma_f32 v87, v92, v90, 0
	v_fmac_f32_e32 v87, v93, v91
	s_waitcnt lgkmcnt(0)
	v_fmac_f32_e32 v87, v88, v82
	v_fmac_f32_e32 v87, v89, v83
	v_add_f32_e32 v82, 0x358637bd, v87
	v_div_scale_f32 v83, s[0:1], v82, v82, 1.0
	v_rcp_f32_e32 v90, v83
	s_barrier
	v_fma_f32 v91, -v83, v90, 1.0
	v_fmac_f32_e32 v90, v91, v90
	v_div_scale_f32 v91, vcc, 1.0, v82, 1.0
	v_mul_f32_e32 v94, v91, v90
	v_fma_f32 v95, -v83, v94, v91
	v_fmac_f32_e32 v94, v95, v90
	v_fma_f32 v83, -v83, v94, v91
	v_div_fmas_f32 v83, v83, v90, v94
	v_cmp_eq_u32_e32 vcc, 1, v85
	v_div_fixup_f32 v82, v83, v82, 1.0
	v_cndmask_b32_e32 v83, v92, v93, vcc
	v_cmp_eq_u32_e32 vcc, 2, v85
	v_cndmask_b32_e32 v83, v83, v88, vcc
	v_cmp_eq_u32_e32 vcc, 3, v85
	v_cndmask_b32_e32 v83, v83, v89, vcc
	v_mul_f32_e32 v82, v83, v82
	v_pk_mul_f32 v[78:79], v[82:83], v[78:79] op_sel_hi:[0,1]
	v_pk_mul_f32 v[80:81], v[82:83], v[80:81] op_sel_hi:[0,1]
	v_cvt_f16_f32_e32 v80, v80
	v_cvt_f16_f32_e32 v81, v81
	;; [unrolled: 1-line block ×4, first 2 shown]
	v_pk_mul_f32 v[74:75], v[82:83], v[74:75] op_sel_hi:[0,1]
	v_pk_mul_f32 v[76:77], v[82:83], v[76:77] op_sel_hi:[0,1]
	v_cvt_f16_f32_e32 v76, v76
	v_cvt_f16_f32_e32 v77, v77
	;; [unrolled: 1-line block ×4, first 2 shown]
	v_pack_b32_f16 v80, v80, v81
	v_pack_b32_f16 v81, v78, v79
	v_lshlrev_b32_e32 v79, 3, v1
	v_lshlrev_b32_e32 v78, 5, v84
	;; [unrolled: 1-line block ×3, first 2 shown]
	v_or3_b32 v74, v74, v78, v79
	v_pack_b32_f16 v76, v76, v77
	v_pack_b32_f16 v77, v83, v75
	v_pk_mul_f32 v[70:71], v[82:83], v[70:71] op_sel_hi:[0,1]
	v_pk_mul_f32 v[72:73], v[82:83], v[72:73] op_sel_hi:[0,1]
	;; [unrolled: 1-line block ×4, first 2 shown]
	ds_write2st64_b64 v74, v[80:81], v[76:77] offset1:1
	v_cvt_f16_f32_e32 v72, v72
	v_cvt_f16_f32_e32 v73, v73
	;; [unrolled: 1-line block ×8, first 2 shown]
	v_pack_b32_f16 v66, v72, v73
	v_pack_b32_f16 v67, v70, v71
	;; [unrolled: 1-line block ×4, first 2 shown]
	v_cmp_gt_u32_e32 vcc, 7, v0
	ds_write2st64_b64 v74, v[66:67], v[68:69] offset0:2 offset1:3
	s_and_saveexec_b64 s[0:1], vcc
	s_cbranch_execz .LBB158_19
; %bb.18:
	v_add_co_u32_e32 v68, vcc, s27, v84
	v_addc_co_u32_e64 v69, s[12:13], 0, 0, vcc
	v_mov_b32_e32 v66, s3
	v_mov_b32_e32 v67, 0
	v_mad_u64_u32 v[68:69], s[12:13], s6, v66, v[68:69]
	v_mov_b32_e32 v66, s26
	s_load_dwordx4 s[8:11], s[4:5], 0x58
	s_mul_i32 s7, s7, s3
	v_mad_u64_u32 v[66:67], s[12:13], v68, s2, v[66:67]
	v_add_u32_e32 v69, s7, v69
	v_mov_b32_e32 v68, v67
	v_mad_u64_u32 v[68:69], s[12:13], v69, s2, v[68:69]
	v_mov_b32_e32 v67, v68
	v_lshlrev_b64 v[66:67], 2, v[66:67]
	s_waitcnt lgkmcnt(0)
	v_mov_b32_e32 v69, s11
	v_add_co_u32_e32 v68, vcc, s10, v66
	v_addc_co_u32_e32 v69, vcc, v69, v67, vcc
	global_store_dword v[68:69], v86, off
	v_mov_b32_e32 v68, s9
	v_add_co_u32_e32 v66, vcc, s8, v66
	v_addc_co_u32_e32 v67, vcc, v68, v67, vcc
	global_store_dword v[66:67], v87, off
.LBB158_19:
	s_or_b64 exec, exec, s[0:1]
	v_lshl_or_b32 v75, v1, 9, v78
	s_waitcnt lgkmcnt(0)
	s_barrier
	ds_read_b128 v[70:73], v75
	ds_read_b128 v[66:69], v75 offset:16
	s_waitcnt vmcnt(15) lgkmcnt(1)
	v_mfma_f32_16x16x16f16 v[76:79], v[46:47], v[70:71], 0
	s_mov_b32 s1, 0
	v_cmp_gt_u32_e32 vcc, 64, v0
	v_mfma_f32_16x16x16f16 v[46:49], v[48:49], v[72:73], v[76:79]
	s_waitcnt vmcnt(14) lgkmcnt(0)
	v_mfma_f32_16x16x16f16 v[46:49], v[42:43], v[66:67], v[46:49]
	v_mfma_f32_16x16x16f16 v[42:45], v[44:45], v[68:69], v[46:49]
	s_nop 7
	s_nop 1
	ds_read_b128 v[46:49], v75 offset:2048
	ds_read_b128 v[76:79], v75 offset:2064
	s_waitcnt vmcnt(13) lgkmcnt(1)
	v_mfma_f32_16x16x16f16 v[42:45], v[38:39], v[46:47], v[42:45]
	v_mfma_f32_16x16x16f16 v[38:41], v[40:41], v[48:49], v[42:45]
	s_waitcnt vmcnt(12) lgkmcnt(0)
	v_mfma_f32_16x16x16f16 v[38:41], v[34:35], v[76:77], v[38:41]
	v_mfma_f32_16x16x16f16 v[34:37], v[36:37], v[78:79], v[38:41]
	s_nop 7
	s_nop 1
	ds_read_b128 v[38:41], v75 offset:4096
	ds_read_b128 v[42:45], v75 offset:4112
	s_waitcnt vmcnt(11) lgkmcnt(1)
	v_mfma_f32_16x16x16f16 v[34:37], v[30:31], v[38:39], v[34:37]
	v_mfma_f32_16x16x16f16 v[30:33], v[32:33], v[40:41], v[34:37]
	s_waitcnt vmcnt(10) lgkmcnt(0)
	v_mfma_f32_16x16x16f16 v[30:33], v[26:27], v[42:43], v[30:33]
	v_mfma_f32_16x16x16f16 v[26:29], v[28:29], v[44:45], v[30:33]
	s_nop 7
	s_nop 1
	ds_read_b128 v[30:33], v75 offset:6144
	ds_read_b128 v[34:37], v75 offset:6160
	s_waitcnt lgkmcnt(0)
	s_barrier
	s_waitcnt vmcnt(9)
	v_mfma_f32_16x16x16f16 v[26:29], v[22:23], v[30:31], v[26:29]
	v_mfma_f32_16x16x16f16 v[22:25], v[24:25], v[32:33], v[26:29]
	s_waitcnt vmcnt(8)
	v_mfma_f32_16x16x16f16 v[22:25], v[18:19], v[34:35], v[22:25]
	v_mfma_f32_16x16x16f16 v[18:21], v[20:21], v[36:37], v[22:25]
	s_waitcnt vmcnt(7)
	v_mfma_f32_16x16x16f16 v[22:25], v[6:7], v[70:71], 0
	v_mfma_f32_16x16x16f16 v[6:9], v[8:9], v[72:73], v[22:25]
	s_waitcnt vmcnt(6)
	v_mfma_f32_16x16x16f16 v[6:9], v[2:3], v[66:67], v[6:9]
	v_mfma_f32_16x16x16f16 v[2:5], v[4:5], v[68:69], v[6:9]
	s_waitcnt vmcnt(5)
	v_mfma_f32_16x16x16f16 v[2:5], v[14:15], v[46:47], v[2:5]
	s_nop 7
	v_cvt_f16_f32_e32 v6, v18
	v_cvt_f16_f32_e32 v7, v19
	v_cvt_f16_f32_e32 v8, v20
	v_cvt_f16_f32_e32 v9, v21
	v_mfma_f32_16x16x16f16 v[2:5], v[16:17], v[48:49], v[2:5]
	s_waitcnt vmcnt(4)
	v_mfma_f32_16x16x16f16 v[2:5], v[10:11], v[76:77], v[2:5]
	v_mfma_f32_16x16x16f16 v[2:5], v[12:13], v[78:79], v[2:5]
	s_waitcnt vmcnt(3)
	v_mfma_f32_16x16x16f16 v[2:5], v[54:55], v[38:39], v[2:5]
	v_mfma_f32_16x16x16f16 v[2:5], v[56:57], v[40:41], v[2:5]
	s_waitcnt vmcnt(2)
	v_mfma_f32_16x16x16f16 v[2:5], v[50:51], v[42:43], v[2:5]
	v_mfma_f32_16x16x16f16 v[2:5], v[52:53], v[44:45], v[2:5]
	s_waitcnt vmcnt(1)
	v_mfma_f32_16x16x16f16 v[2:5], v[62:63], v[30:31], v[2:5]
	v_mfma_f32_16x16x16f16 v[2:5], v[64:65], v[32:33], v[2:5]
	s_waitcnt vmcnt(0)
	v_mfma_f32_16x16x16f16 v[2:5], v[58:59], v[34:35], v[2:5]
	v_mfma_f32_16x16x16f16 v[2:5], v[60:61], v[36:37], v[2:5]
	s_nop 7
	s_nop 2
	v_cvt_f16_f32_e32 v10, v2
	v_cvt_f16_f32_e32 v11, v3
	;; [unrolled: 1-line block ×4, first 2 shown]
	v_pack_b32_f16 v2, v6, v7
	v_pack_b32_f16 v3, v8, v9
	;; [unrolled: 1-line block ×4, first 2 shown]
	ds_write2st64_b64 v74, v[2:3], v[4:5] offset1:1
	s_waitcnt lgkmcnt(0)
	s_barrier
	s_and_saveexec_b64 s[8:9], vcc
	s_cbranch_execz .LBB158_22
; %bb.20:
	v_lshlrev_b32_e32 v4, 6, v84
	v_lshlrev_b32_e32 v3, 4, v0
	v_lshl_or_b32 v0, v0, 10, v4
	buffer_load_dword v4, off, s[44:47], 0  ; 4-byte Folded Reload
	buffer_load_dword v5, off, s[44:47], 0 offset:4 ; 4-byte Folded Reload
	s_load_dwordx2 s[4:5], s[4:5], 0x68
	s_lshl_b32 s2, s2, 7
	s_mul_i32 s0, s3, s6
	s_mul_hi_u32 s7, s0, s2
	s_mul_i32 s6, s0, s2
	s_lshl_b64 s[6:7], s[6:7], 1
	s_waitcnt lgkmcnt(0)
	s_add_u32 s3, s4, s6
	s_addc_u32 s4, s5, s7
	s_lshl_b32 s0, s26, 7
	s_lshl_b64 s[0:1], s[0:1], 1
	s_add_u32 s0, s3, s0
	v_lshlrev_b32_e32 v2, 5, v1
	v_and_b32_e32 v3, 16, v3
	v_and_b32_e32 v0, 0x1a00, v0
	s_addc_u32 s1, s4, s1
	v_or3_b32 v0, v0, v2, v3
	v_mov_b32_e32 v3, s1
	v_add_u32_e32 v8, s27, v1
	s_waitcnt vmcnt(1)
	v_add_co_u32_e32 v2, vcc, s0, v4
	s_waitcnt vmcnt(0)
	v_addc_co_u32_e32 v3, vcc, v3, v5, vcc
	ds_read_b128 v[4:7], v0
	v_mad_u64_u32 v[8:9], s[0:1], v8, s2, 0
	v_lshlrev_b64 v[8:9], 1, v[8:9]
	v_add_co_u32_e32 v8, vcc, v2, v8
	v_addc_co_u32_e32 v9, vcc, v3, v9, vcc
	v_cmp_ne_u32_e32 vcc, 3, v1
	s_waitcnt lgkmcnt(0)
	global_store_dwordx4 v[8:9], v[4:7], off
	s_and_b64 exec, exec, vcc
	s_cbranch_execz .LBB158_22
; %bb.21:
	ds_read_b128 v[4:7], v0 offset:128
	v_add3_u32 v0, s27, v1, 4
	v_mad_u64_u32 v[0:1], s[0:1], v0, s2, 0
	v_lshlrev_b64 v[0:1], 1, v[0:1]
	v_add_co_u32_e32 v0, vcc, v2, v0
	v_addc_co_u32_e32 v1, vcc, v3, v1, vcc
	s_waitcnt lgkmcnt(0)
	global_store_dwordx4 v[0:1], v[4:7], off
.LBB158_22:
	s_endpgm
	.section	.rodata,"a",@progbits
	.p2align	6, 0x0
	.amdhsa_kernel _Z39paged_attention_ll4mi_QKV_mfma16_kernelIDF16_DF16_LN4vllm18Fp8KVCacheDataTypeE0EDF16_Li32ELi128ELi256ELb1ELi7EL8MFMAType0EEvPKT_PKT0_S8_ifPKiSA_SA_iPKfiiiPfSD_PS3_PT2_iSC_SC_
		.amdhsa_group_segment_fixed_size 8192
		.amdhsa_private_segment_fixed_size 12
		.amdhsa_kernarg_size 400
		.amdhsa_user_sgpr_count 6
		.amdhsa_user_sgpr_private_segment_buffer 1
		.amdhsa_user_sgpr_dispatch_ptr 0
		.amdhsa_user_sgpr_queue_ptr 0
		.amdhsa_user_sgpr_kernarg_segment_ptr 1
		.amdhsa_user_sgpr_dispatch_id 0
		.amdhsa_user_sgpr_flat_scratch_init 0
		.amdhsa_user_sgpr_kernarg_preload_length 0
		.amdhsa_user_sgpr_kernarg_preload_offset 0
		.amdhsa_user_sgpr_private_segment_size 0
		.amdhsa_uses_dynamic_stack 0
		.amdhsa_system_sgpr_private_segment_wavefront_offset 1
		.amdhsa_system_sgpr_workgroup_id_x 1
		.amdhsa_system_sgpr_workgroup_id_y 1
		.amdhsa_system_sgpr_workgroup_id_z 1
		.amdhsa_system_sgpr_workgroup_info 0
		.amdhsa_system_vgpr_workitem_id 0
		.amdhsa_next_free_vgpr 96
		.amdhsa_next_free_sgpr 48
		.amdhsa_accum_offset 96
		.amdhsa_reserve_vcc 1
		.amdhsa_reserve_flat_scratch 0
		.amdhsa_float_round_mode_32 0
		.amdhsa_float_round_mode_16_64 0
		.amdhsa_float_denorm_mode_32 3
		.amdhsa_float_denorm_mode_16_64 3
		.amdhsa_dx10_clamp 1
		.amdhsa_ieee_mode 1
		.amdhsa_fp16_overflow 0
		.amdhsa_tg_split 0
		.amdhsa_exception_fp_ieee_invalid_op 0
		.amdhsa_exception_fp_denorm_src 0
		.amdhsa_exception_fp_ieee_div_zero 0
		.amdhsa_exception_fp_ieee_overflow 0
		.amdhsa_exception_fp_ieee_underflow 0
		.amdhsa_exception_fp_ieee_inexact 0
		.amdhsa_exception_int_div_zero 0
	.end_amdhsa_kernel
	.section	.text._Z39paged_attention_ll4mi_QKV_mfma16_kernelIDF16_DF16_LN4vllm18Fp8KVCacheDataTypeE0EDF16_Li32ELi128ELi256ELb1ELi7EL8MFMAType0EEvPKT_PKT0_S8_ifPKiSA_SA_iPKfiiiPfSD_PS3_PT2_iSC_SC_,"axG",@progbits,_Z39paged_attention_ll4mi_QKV_mfma16_kernelIDF16_DF16_LN4vllm18Fp8KVCacheDataTypeE0EDF16_Li32ELi128ELi256ELb1ELi7EL8MFMAType0EEvPKT_PKT0_S8_ifPKiSA_SA_iPKfiiiPfSD_PS3_PT2_iSC_SC_,comdat
.Lfunc_end158:
	.size	_Z39paged_attention_ll4mi_QKV_mfma16_kernelIDF16_DF16_LN4vllm18Fp8KVCacheDataTypeE0EDF16_Li32ELi128ELi256ELb1ELi7EL8MFMAType0EEvPKT_PKT0_S8_ifPKiSA_SA_iPKfiiiPfSD_PS3_PT2_iSC_SC_, .Lfunc_end158-_Z39paged_attention_ll4mi_QKV_mfma16_kernelIDF16_DF16_LN4vllm18Fp8KVCacheDataTypeE0EDF16_Li32ELi128ELi256ELb1ELi7EL8MFMAType0EEvPKT_PKT0_S8_ifPKiSA_SA_iPKfiiiPfSD_PS3_PT2_iSC_SC_
                                        ; -- End function
	.section	.AMDGPU.csdata,"",@progbits
; Kernel info:
; codeLenInByte = 5092
; NumSgprs: 52
; NumVgprs: 96
; NumAgprs: 0
; TotalNumVgprs: 96
; ScratchSize: 12
; MemoryBound: 0
; FloatMode: 240
; IeeeMode: 1
; LDSByteSize: 8192 bytes/workgroup (compile time only)
; SGPRBlocks: 6
; VGPRBlocks: 11
; NumSGPRsForWavesPerEU: 52
; NumVGPRsForWavesPerEU: 96
; AccumOffset: 96
; Occupancy: 5
; WaveLimiterHint : 1
; COMPUTE_PGM_RSRC2:SCRATCH_EN: 1
; COMPUTE_PGM_RSRC2:USER_SGPR: 6
; COMPUTE_PGM_RSRC2:TRAP_HANDLER: 0
; COMPUTE_PGM_RSRC2:TGID_X_EN: 1
; COMPUTE_PGM_RSRC2:TGID_Y_EN: 1
; COMPUTE_PGM_RSRC2:TGID_Z_EN: 1
; COMPUTE_PGM_RSRC2:TIDIG_COMP_CNT: 0
; COMPUTE_PGM_RSRC3_GFX90A:ACCUM_OFFSET: 23
; COMPUTE_PGM_RSRC3_GFX90A:TG_SPLIT: 0
	.section	.text._Z39paged_attention_ll4mi_QKV_mfma16_kernelIDF16_DF16_LN4vllm18Fp8KVCacheDataTypeE0EDF16_Li32ELi128ELi256ELb1ELi8EL8MFMAType0EEvPKT_PKT0_S8_ifPKiSA_SA_iPKfiiiPfSD_PS3_PT2_iSC_SC_,"axG",@progbits,_Z39paged_attention_ll4mi_QKV_mfma16_kernelIDF16_DF16_LN4vllm18Fp8KVCacheDataTypeE0EDF16_Li32ELi128ELi256ELb1ELi8EL8MFMAType0EEvPKT_PKT0_S8_ifPKiSA_SA_iPKfiiiPfSD_PS3_PT2_iSC_SC_,comdat
	.protected	_Z39paged_attention_ll4mi_QKV_mfma16_kernelIDF16_DF16_LN4vllm18Fp8KVCacheDataTypeE0EDF16_Li32ELi128ELi256ELb1ELi8EL8MFMAType0EEvPKT_PKT0_S8_ifPKiSA_SA_iPKfiiiPfSD_PS3_PT2_iSC_SC_ ; -- Begin function _Z39paged_attention_ll4mi_QKV_mfma16_kernelIDF16_DF16_LN4vllm18Fp8KVCacheDataTypeE0EDF16_Li32ELi128ELi256ELb1ELi8EL8MFMAType0EEvPKT_PKT0_S8_ifPKiSA_SA_iPKfiiiPfSD_PS3_PT2_iSC_SC_
	.globl	_Z39paged_attention_ll4mi_QKV_mfma16_kernelIDF16_DF16_LN4vllm18Fp8KVCacheDataTypeE0EDF16_Li32ELi128ELi256ELb1ELi8EL8MFMAType0EEvPKT_PKT0_S8_ifPKiSA_SA_iPKfiiiPfSD_PS3_PT2_iSC_SC_
	.p2align	8
	.type	_Z39paged_attention_ll4mi_QKV_mfma16_kernelIDF16_DF16_LN4vllm18Fp8KVCacheDataTypeE0EDF16_Li32ELi128ELi256ELb1ELi8EL8MFMAType0EEvPKT_PKT0_S8_ifPKiSA_SA_iPKfiiiPfSD_PS3_PT2_iSC_SC_,@function
_Z39paged_attention_ll4mi_QKV_mfma16_kernelIDF16_DF16_LN4vllm18Fp8KVCacheDataTypeE0EDF16_Li32ELi128ELi256ELb1ELi8EL8MFMAType0EEvPKT_PKT0_S8_ifPKiSA_SA_iPKfiiiPfSD_PS3_PT2_iSC_SC_: ; @_Z39paged_attention_ll4mi_QKV_mfma16_kernelIDF16_DF16_LN4vllm18Fp8KVCacheDataTypeE0EDF16_Li32ELi128ELi256ELb1ELi8EL8MFMAType0EEvPKT_PKT0_S8_ifPKiSA_SA_iPKfiiiPfSD_PS3_PT2_iSC_SC_
; %bb.0:
	s_mov_b64 s[46:47], s[2:3]
	s_mov_b64 s[44:45], s[0:1]
	s_load_dwordx2 s[0:1], s[4:5], 0x30
	s_add_u32 s44, s44, s9
	s_addc_u32 s45, s45, 0
	s_mov_b32 s26, s7
	s_mov_b64 s[10:11], 0
	s_waitcnt lgkmcnt(0)
	s_cmp_lg_u64 s[0:1], 0
	s_cselect_b64 s[2:3], -1, 0
	s_and_b64 vcc, exec, s[2:3]
	s_cbranch_vccz .LBB159_7
; %bb.1:
	s_add_i32 s12, s6, 1
	s_mov_b32 s13, 0
	s_lshl_b64 s[14:15], s[12:13], 2
	s_add_u32 s14, s0, s14
	s_mov_b32 s7, s13
	s_addc_u32 s15, s1, s15
	s_lshl_b64 s[12:13], s[6:7], 2
	s_add_u32 s12, s0, s12
	s_addc_u32 s13, s1, s13
	s_load_dword s9, s[14:15], 0x0
	s_load_dword s16, s[12:13], 0x0
	s_waitcnt lgkmcnt(0)
	s_sub_i32 s9, s9, s16
	s_cmp_eq_u32 s9, 1
	s_cselect_b64 s[12:13], -1, 0
	s_andn2_b64 vcc, exec, s[10:11]
	s_cbranch_vccnz .LBB159_3
.LBB159_2:
	s_mov_b32 s7, 0
	s_mov_b64 s[12:13], -1
.LBB159_3:
	s_andn2_b64 vcc, exec, s[12:13]
	s_cbranch_vccnz .LBB159_21
; %bb.4:
	s_load_dwordx2 s[12:13], s[4:5], 0x28
	s_lshl_b64 s[10:11], s[6:7], 2
	s_waitcnt lgkmcnt(0)
	s_add_u32 s12, s12, s10
	s_addc_u32 s13, s13, s11
	s_load_dword s33, s[12:13], 0x0
	s_lshl_b32 s16, s26, 8
	s_waitcnt lgkmcnt(0)
	s_cmp_ge_i32 s16, s33
	s_cbranch_scc1 .LBB159_21
; %bb.5:
	s_add_i32 s14, s33, 31
	s_load_dwordx2 s[12:13], s[4:5], 0x20
	s_load_dword s9, s[4:5], 0x38
	s_ashr_i32 s15, s14, 31
	v_and_b32_e32 v1, 0xcf, v0
	s_lshr_b32 s15, s15, 27
	v_add_u32_e32 v1, s16, v1
	s_add_i32 s14, s14, s15
	v_ashrrev_i32_e32 v2, 31, v1
	s_ashr_i32 s19, s14, 5
	v_lshrrev_b32_e32 v6, 27, v2
	s_add_i32 s19, s19, -1
	v_add_u32_e32 v2, v1, v6
	s_waitcnt lgkmcnt(0)
	s_mul_i32 s14, s6, s9
	s_mov_b32 s15, 0
	v_ashrrev_i32_e32 v2, 5, v2
	v_mov_b32_e32 v7, s19
	v_cmp_gt_i32_e32 vcc, s33, v1
	s_lshl_b64 s[14:15], s[14:15], 2
	v_cndmask_b32_e32 v2, v7, v2, vcc
	s_add_u32 s17, s12, s14
	v_ashrrev_i32_e32 v3, 31, v2
	s_addc_u32 s18, s13, s15
	v_lshlrev_b64 v[2:3], 2, v[2:3]
	v_mov_b32_e32 v4, s18
	v_add_co_u32_e32 v2, vcc, s17, v2
	v_addc_co_u32_e32 v3, vcc, v4, v3, vcc
	v_or_b32_e32 v4, 16, v1
	v_add_u32_e32 v5, v4, v6
	v_ashrrev_i32_e32 v5, 5, v5
	v_cmp_gt_i32_e32 vcc, s33, v4
	v_cndmask_b32_e32 v4, v7, v5, vcc
	v_ashrrev_i32_e32 v5, 31, v4
	v_lshlrev_b64 v[4:5], 2, v[4:5]
	v_mov_b32_e32 v9, s18
	v_add_co_u32_e32 v8, vcc, s17, v4
	v_or_b32_e32 v4, 32, v1
	v_addc_co_u32_e32 v9, vcc, v9, v5, vcc
	v_add_u32_e32 v5, v4, v6
	v_ashrrev_i32_e32 v5, 5, v5
	v_cmp_gt_i32_e32 vcc, s33, v4
	v_cndmask_b32_e32 v4, v7, v5, vcc
	v_ashrrev_i32_e32 v5, 31, v4
	v_lshlrev_b64 v[4:5], 2, v[4:5]
	v_mov_b32_e32 v11, s18
	v_add_co_u32_e32 v10, vcc, s17, v4
	v_or_b32_e32 v1, 48, v1
	v_addc_co_u32_e32 v11, vcc, v11, v5, vcc
	v_add_u32_e32 v4, v1, v6
	v_ashrrev_i32_e32 v4, 5, v4
	v_cmp_gt_i32_e32 vcc, s33, v1
	v_cndmask_b32_e32 v4, v7, v4, vcc
	v_ashrrev_i32_e32 v5, 31, v4
	v_lshlrev_b64 v[4:5], 2, v[4:5]
	v_mov_b32_e32 v1, s18
	v_add_co_u32_e32 v12, vcc, s17, v4
	v_addc_co_u32_e32 v13, vcc, v1, v5, vcc
	global_load_dword v7, v[2:3], off
	global_load_dword v6, v[8:9], off
	;; [unrolled: 1-line block ×4, first 2 shown]
	s_andn2_b64 vcc, exec, s[2:3]
	s_cbranch_vccnz .LBB159_8
; %bb.6:
	s_add_u32 s0, s0, s10
	s_addc_u32 s1, s1, s11
	s_load_dword s9, s[0:1], 0x0
	s_branch .LBB159_9
.LBB159_7:
	s_mov_b64 s[12:13], 0
	s_branch .LBB159_2
.LBB159_8:
	s_mov_b32 s9, s6
.LBB159_9:
	s_load_dwordx2 s[12:13], s[4:5], 0x8
	s_load_dwordx4 s[0:3], s[4:5], 0x48
	v_and_b32_e32 v1, 15, v0
	s_waitcnt lgkmcnt(0)
	s_movk_i32 s3, 0x7f
	v_lshlrev_b32_e32 v2, 3, v1
	v_cmp_lt_u32_e32 vcc, s3, v0
	s_and_saveexec_b64 s[10:11], vcc
	s_xor_b64 s[10:11], exec, s[10:11]
; %bb.10:
	v_mov_b32_e32 v3, 0
; %bb.11:
	s_or_saveexec_b64 s[14:15], s[10:11]
	s_load_dwordx2 s[10:11], s[4:5], 0x10
	v_lshrrev_b32_e32 v85, 6, v0
	s_lshl_b32 s27, s8, 3
	v_bfe_u32 v84, v0, 4, 2
	s_xor_b64 exec, exec, s[14:15]
	s_cbranch_execz .LBB159_13
; %bb.12:
	s_load_dwordx2 s[20:21], s[4:5], 0x0
	s_ashr_i32 s3, s0, 31
	s_mul_hi_u32 s22, s9, s0
	s_mul_i32 s3, s9, s3
	v_lshl_or_b32 v12, v85, 2, v84
	s_add_i32 s23, s22, s3
	s_mul_i32 s22, s9, s0
	s_lshl_b64 s[22:23], s[22:23], 1
	v_add_lshl_u32 v8, v12, s27, 7
	s_waitcnt lgkmcnt(0)
	s_add_u32 s0, s20, s22
	v_ashrrev_i32_e32 v9, 31, v8
	s_addc_u32 s3, s21, s23
	v_lshlrev_b64 v[8:9], 1, v[8:9]
	v_mov_b32_e32 v3, s3
	v_add_co_u32_e32 v8, vcc, s0, v8
	v_addc_co_u32_e32 v3, vcc, v3, v9, vcc
	v_lshlrev_b32_e32 v9, 1, v2
	v_add_co_u32_e32 v8, vcc, v8, v9
	v_addc_co_u32_e32 v9, vcc, 0, v3, vcc
	global_load_dwordx4 v[8:11], v[8:9], off
	v_and_b32_e32 v13, 3, v0
	v_lshlrev_b32_e32 v14, 9, v1
	v_lshlrev_b32_e32 v12, 5, v12
	;; [unrolled: 1-line block ×3, first 2 shown]
	v_and_b32_e32 v14, 0x1800, v14
	v_mov_b32_e32 v3, 0
	v_or3_b32 v12, v14, v13, v12
	s_waitcnt vmcnt(0)
	ds_write_b128 v12, v[8:11]
.LBB159_13:
	s_or_b64 exec, exec, s[14:15]
	s_mul_i32 s2, s8, s2
	s_mov_b32 s3, 0
	s_lshl_b64 s[2:3], s[2:3], 1
	s_add_u32 s0, s12, s2
	s_waitcnt vmcnt(3)
	v_mad_i64_i32 v[8:9], s[8:9], v7, s1, 0
	s_addc_u32 s12, s13, s3
	v_lshlrev_b64 v[8:9], 1, v[8:9]
	v_mov_b32_e32 v7, s12
	v_add_co_u32_e32 v8, vcc, s0, v8
	v_addc_co_u32_e32 v7, vcc, v7, v9, vcc
	v_lshlrev_b64 v[14:15], 1, v[2:3]
	v_add_co_u32_e32 v8, vcc, v8, v14
	v_lshlrev_b32_e32 v12, 9, v84
	v_addc_co_u32_e32 v7, vcc, v7, v15, vcc
	v_add_co_u32_e32 v2, vcc, v8, v12
	v_addc_co_u32_e32 v3, vcc, 0, v7, vcc
	v_or_b32_e32 v10, 0x1000, v12
	s_waitcnt lgkmcnt(0)
	s_barrier
	global_load_dwordx4 v[38:41], v[2:3], off
	global_load_dwordx4 v[34:37], v[2:3], off offset:2048
	v_add_co_u32_e32 v2, vcc, v8, v10
	v_addc_co_u32_e32 v3, vcc, 0, v7, vcc
	v_or_b32_e32 v11, 0x1800, v12
	v_add_co_u32_e32 v8, vcc, v8, v11
	v_addc_co_u32_e32 v9, vcc, 0, v7, vcc
	global_load_dwordx4 v[46:49], v[2:3], off
	global_load_dwordx4 v[58:61], v[8:9], off
	s_waitcnt vmcnt(6)
	v_mad_i64_i32 v[2:3], s[8:9], v6, s1, 0
	v_lshlrev_b64 v[2:3], 1, v[2:3]
	v_mov_b32_e32 v6, s12
	v_add_co_u32_e32 v2, vcc, s0, v2
	v_addc_co_u32_e32 v3, vcc, v6, v3, vcc
	v_mov_b32_e32 v6, 0x100
	v_lshl_or_b32 v8, v1, 4, v6
	v_add_co_u32_e32 v6, vcc, v2, v8
	v_addc_co_u32_e32 v7, vcc, 0, v3, vcc
	v_add_co_u32_e32 v2, vcc, v6, v12
	v_addc_co_u32_e32 v3, vcc, 0, v7, vcc
	global_load_dwordx4 v[74:77], v[2:3], off
	global_load_dwordx4 v[70:73], v[2:3], off offset:2048
	v_add_co_u32_e32 v2, vcc, v6, v10
	v_addc_co_u32_e32 v3, vcc, 0, v7, vcc
	v_add_co_u32_e32 v6, vcc, v6, v11
	v_addc_co_u32_e32 v7, vcc, 0, v7, vcc
	global_load_dwordx4 v[78:81], v[2:3], off
	global_load_dwordx4 v[66:69], v[6:7], off
	s_waitcnt vmcnt(9)
	v_mad_i64_i32 v[2:3], s[8:9], v5, s1, 0
	v_lshlrev_b64 v[2:3], 1, v[2:3]
	v_mov_b32_e32 v5, s12
	v_add_co_u32_e32 v2, vcc, s0, v2
	v_addc_co_u32_e32 v3, vcc, v5, v3, vcc
	v_add_co_u32_e32 v5, vcc, v2, v14
	buffer_store_dword v14, off, s[44:47], 0 ; 4-byte Folded Spill
	s_nop 0
	buffer_store_dword v15, off, s[44:47], 0 offset:4 ; 4-byte Folded Spill
	v_and_b32_e32 v94, 63, v0
	v_mov_b32_e32 v87, 0
	v_addc_co_u32_e32 v7, vcc, v3, v15, vcc
	v_add_co_u32_e32 v2, vcc, v5, v12
	v_addc_co_u32_e32 v3, vcc, 0, v7, vcc
	global_load_dwordx4 v[62:65], v[2:3], off
	global_load_dwordx4 v[42:45], v[2:3], off offset:2048
	v_add_co_u32_e32 v2, vcc, v5, v10
	v_addc_co_u32_e32 v3, vcc, 0, v7, vcc
	v_add_co_u32_e32 v6, vcc, v5, v11
	v_addc_co_u32_e32 v7, vcc, 0, v7, vcc
	global_load_dwordx4 v[26:29], v[2:3], off
	global_load_dwordx4 v[18:21], v[6:7], off
	s_waitcnt vmcnt(14)
	v_mad_i64_i32 v[2:3], s[8:9], v4, s1, 0
	v_lshlrev_b64 v[2:3], 1, v[2:3]
	v_mov_b32_e32 v4, s12
	v_add_co_u32_e32 v2, vcc, s0, v2
	v_addc_co_u32_e32 v3, vcc, v4, v3, vcc
	v_add_co_u32_e32 v4, vcc, v2, v8
	v_addc_co_u32_e32 v5, vcc, 0, v3, vcc
	;; [unrolled: 2-line block ×3, first 2 shown]
	global_load_dwordx4 v[14:17], v[2:3], off
	global_load_dwordx4 v[6:9], v[2:3], off offset:2048
	v_add_co_u32_e32 v2, vcc, v4, v10
	v_addc_co_u32_e32 v3, vcc, 0, v5, vcc
	v_add_co_u32_e32 v10, vcc, v4, v11
	v_addc_co_u32_e32 v11, vcc, 0, v5, vcc
	global_load_dwordx4 v[2:5], v[2:3], off
	s_nop 0
	global_load_dwordx4 v[50:53], v[10:11], off
	v_and_b32_e32 v10, 7, v0
	v_lshl_or_b32 v54, v10, 5, v12
	ds_read_b128 v[30:33], v54
	ds_read_b128 v[22:25], v54 offset:2048
	ds_read_b128 v[10:13], v54 offset:4096
	;; [unrolled: 1-line block ×3, first 2 shown]
	v_cmp_gt_u32_e32 vcc, 8, v1
	s_and_saveexec_b64 s[8:9], vcc
	s_cbranch_execz .LBB159_15
; %bb.14:
	s_load_dwordx2 s[12:13], s[4:5], 0x40
	v_or_b32_e32 v82, s27, v1
	v_ashrrev_i32_e32 v83, 31, v82
	v_lshlrev_b64 v[82:83], 2, v[82:83]
	s_waitcnt lgkmcnt(0)
	v_mov_b32_e32 v87, s13
	v_add_co_u32_e32 v82, vcc, s12, v82
	v_addc_co_u32_e32 v83, vcc, v87, v83, vcc
	global_load_dword v87, v[82:83], off
.LBB159_15:
	s_or_b64 exec, exec, s[8:9]
	s_waitcnt vmcnt(17) lgkmcnt(3)
	v_mfma_f32_16x16x16f16 v[88:91], v[38:39], v[30:31], 0
	s_ashr_i32 s0, s16, 31
	s_lshr_b32 s0, s0, 27
	s_add_u32 s2, s10, s2
	s_addc_u32 s3, s11, s3
	s_mov_b32 s40, 0xff7fffff
	v_mfma_f32_16x16x16f16 v[38:41], v[40:41], v[32:33], v[88:91]
	s_waitcnt vmcnt(16) lgkmcnt(2)
	v_mfma_f32_16x16x16f16 v[38:41], v[34:35], v[22:23], v[38:41]
	s_nop 4
	v_lshl_or_b32 v88, v85, 4, v1
	v_mfma_f32_16x16x16f16 v[34:37], v[36:37], v[24:25], v[38:41]
	s_waitcnt vmcnt(15) lgkmcnt(1)
	v_mfma_f32_16x16x16f16 v[34:37], v[46:47], v[10:11], v[34:37]
	v_and_or_b32 v46, v0, 48, s16
	s_nop 3
	v_add_u32_e32 v38, s0, v46
	v_ashrrev_i32_e32 v38, 5, v38
	v_mov_b32_e32 v47, s19
	v_cmp_gt_i32_e32 vcc, s33, v46
	v_cndmask_b32_e32 v38, v47, v38, vcc
	v_ashrrev_i32_e32 v39, 31, v38
	v_mfma_f32_16x16x16f16 v[34:37], v[48:49], v[12:13], v[34:37]
	v_or_b32_e32 v40, 64, v46
	v_add_u32_e32 v41, s0, v40
	v_ashrrev_i32_e32 v41, 5, v41
	v_mov_b32_e32 v48, s18
	s_waitcnt vmcnt(14) lgkmcnt(0)
	v_mfma_f32_16x16x16f16 v[34:37], v[58:59], v[54:55], v[34:37]
	v_mfma_f32_16x16x16f16 v[58:61], v[60:61], v[56:57], v[34:37]
	s_waitcnt vmcnt(13)
	v_mfma_f32_16x16x16f16 v[34:37], v[74:75], v[30:31], 0
	v_mfma_f32_16x16x16f16 v[34:37], v[76:77], v[32:33], v[34:37]
	v_lshlrev_b32_e32 v76, 6, v88
	s_waitcnt vmcnt(12)
	v_mfma_f32_16x16x16f16 v[34:37], v[70:71], v[22:23], v[34:37]
	v_mfma_f32_16x16x16f16 v[34:37], v[72:73], v[24:25], v[34:37]
	s_waitcnt vmcnt(11)
	v_mfma_f32_16x16x16f16 v[34:37], v[78:79], v[10:11], v[34:37]
	v_mfma_f32_16x16x16f16 v[34:37], v[80:81], v[12:13], v[34:37]
	;; [unrolled: 3-line block ×3, first 2 shown]
	s_nop 7
	s_nop 1
	v_lshlrev_b64 v[34:35], 2, v[38:39]
	v_mov_b32_e32 v36, s18
	v_add_co_u32_e32 v38, vcc, s17, v34
	v_addc_co_u32_e32 v39, vcc, v36, v35, vcc
	v_cmp_gt_i32_e32 vcc, s33, v40
	v_cndmask_b32_e32 v40, v47, v41, vcc
	v_ashrrev_i32_e32 v41, 31, v40
	v_lshlrev_b64 v[40:41], 2, v[40:41]
	v_add_co_u32_e32 v40, vcc, s17, v40
	v_addc_co_u32_e32 v41, vcc, v48, v41, vcc
	global_load_dword v48, v[38:39], off
	s_nop 0
	global_load_dword v40, v[40:41], off
	v_or_b32_e32 v38, 0x80, v46
	v_add_u32_e32 v39, s0, v38
	v_ashrrev_i32_e32 v39, 5, v39
	v_cmp_gt_i32_e32 vcc, s33, v38
	v_cndmask_b32_e32 v38, v47, v39, vcc
	v_ashrrev_i32_e32 v39, 31, v38
	v_lshlrev_b64 v[38:39], 2, v[38:39]
	v_mov_b32_e32 v41, s18
	v_add_co_u32_e32 v38, vcc, s17, v38
	v_addc_co_u32_e32 v39, vcc, v41, v39, vcc
	s_waitcnt vmcnt(9)
	v_mfma_f32_16x16x16f16 v[34:37], v[62:63], v[30:31], 0
	global_load_dword v62, v[38:39], off
	v_or_b32_e32 v38, 0xc0, v46
	v_add_u32_e32 v39, s0, v38
	v_ashrrev_i32_e32 v39, 5, v39
	v_cmp_gt_i32_e32 vcc, s33, v38
	v_cndmask_b32_e32 v38, v47, v39, vcc
	v_ashrrev_i32_e32 v39, 31, v38
	v_mfma_f32_16x16x16f16 v[34:37], v[64:65], v[32:33], v[34:37]
	s_load_dword s0, s[4:5], 0x1c
	s_waitcnt lgkmcnt(0)
	v_pk_mul_f32 v[58:59], s[0:1], v[58:59] op_sel_hi:[0,1]
	s_waitcnt vmcnt(9)
	v_mfma_f32_16x16x16f16 v[34:37], v[42:43], v[22:23], v[34:37]
	v_mfma_f32_16x16x16f16 v[34:37], v[44:45], v[24:25], v[34:37]
	s_waitcnt vmcnt(8)
	v_mfma_f32_16x16x16f16 v[34:37], v[26:27], v[10:11], v[34:37]
	v_lshlrev_b64 v[26:27], 2, v[38:39]
	v_mov_b32_e32 v39, s18
	v_add_co_u32_e32 v38, vcc, s17, v26
	v_addc_co_u32_e32 v39, vcc, v39, v27, vcc
	global_load_dword v63, v[38:39], off
	v_mfma_f32_16x16x16f16 v[26:29], v[28:29], v[12:13], v[34:37]
	s_waitcnt vmcnt(8)
	v_mfma_f32_16x16x16f16 v[26:29], v[18:19], v[54:55], v[26:29]
	s_nop 4
	v_and_b32_e32 v34, 16, v0
	v_lshlrev_b32_e32 v34, 1, v34
	v_mov_b32_e32 v18, s3
	v_add_co_u32_e32 v74, vcc, s2, v34
	v_addc_co_u32_e32 v75, vcc, 0, v18, vcc
	v_mfma_f32_16x16x16f16 v[90:93], v[20:21], v[56:57], v[26:29]
	v_add_co_u32_e32 v77, vcc, v74, v76
	v_addc_co_u32_e32 v78, vcc, 0, v75, vcc
	s_waitcnt vmcnt(3)
	v_mad_i64_i32 v[18:19], s[2:3], v48, s1, 0
	v_lshlrev_b64 v[70:71], 1, v[18:19]
	v_mfma_f32_16x16x16f16 v[18:21], v[14:15], v[30:31], 0
	v_add_co_u32_e32 v14, vcc, v77, v70
	v_addc_co_u32_e32 v15, vcc, v78, v71, vcc
	global_load_dwordx4 v[46:49], v[14:15], off
	global_load_dwordx4 v[42:45], v[14:15], off offset:16
	s_waitcnt vmcnt(4)
	v_mad_i64_i32 v[14:15], s[2:3], v40, s1, 0
	v_lshlrev_b64 v[72:73], 1, v[14:15]
	v_mfma_f32_16x16x16f16 v[14:17], v[16:17], v[32:33], v[18:21]
	v_mfma_f32_16x16x16f16 v[14:17], v[6:7], v[22:23], v[14:17]
	s_nop 5
	v_add_co_u32_e32 v18, vcc, v77, v72
	v_addc_co_u32_e32 v19, vcc, v78, v73, vcc
	global_load_dwordx4 v[38:41], v[18:19], off
	global_load_dwordx4 v[34:37], v[18:19], off offset:16
	s_waitcnt vmcnt(5)
	v_mad_i64_i32 v[18:19], s[2:3], v62, s1, 0
	v_lshlrev_b64 v[64:65], 1, v[18:19]
	v_add_co_u32_e32 v6, vcc, v77, v64
	v_addc_co_u32_e32 v7, vcc, v78, v65, vcc
	global_load_dwordx4 v[30:33], v[6:7], off
	global_load_dwordx4 v[26:29], v[6:7], off offset:16
	v_mfma_f32_16x16x16f16 v[6:9], v[8:9], v[24:25], v[14:17]
	v_mfma_f32_16x16x16f16 v[6:9], v[2:3], v[10:11], v[6:9]
	v_or_b32_e32 v2, 0x1000, v76
	s_waitcnt vmcnt(6)
	s_nop 3
	v_mad_i64_i32 v[14:15], s[2:3], v63, s1, 0
	v_mfma_f32_16x16x16f16 v[10:13], v[4:5], v[12:13], v[6:9]
	v_lshlrev_b64 v[62:63], 1, v[14:15]
	v_add_co_u32_e32 v14, vcc, v77, v62
	v_addc_co_u32_e32 v15, vcc, v78, v63, vcc
	v_add_co_u32_e32 v89, vcc, v74, v2
	v_mfma_f32_16x16x16f16 v[80:83], v[50:51], v[54:55], v[10:13]
	v_addc_co_u32_e32 v86, vcc, 0, v75, vcc
	v_pk_mul_f32 v[74:75], s[0:1], v[68:69] op_sel_hi:[0,1]
	v_pk_mul_f32 v[76:77], s[0:1], v[66:67] op_sel_hi:[0,1]
	;; [unrolled: 1-line block ×3, first 2 shown]
	v_add_co_u32_e32 v2, vcc, v89, v70
	v_mfma_f32_16x16x16f16 v[50:53], v[52:53], v[56:57], v[80:83]
	v_addc_co_u32_e32 v3, vcc, v86, v71, vcc
	v_add_co_u32_e32 v70, vcc, v89, v72
	v_addc_co_u32_e32 v71, vcc, v86, v73, vcc
	global_load_dwordx4 v[22:25], v[14:15], off
	global_load_dwordx4 v[18:21], v[14:15], off offset:16
	s_nop 5
	v_pk_mul_f32 v[68:69], s[0:1], v[50:51] op_sel_hi:[0,1]
	v_and_b32_e32 v50, 0xc0, v0
	v_add_u32_e32 v50, s16, v50
	v_lshl_or_b32 v50, v84, 2, v50
	v_or_b32_e32 v51, 1, v50
	v_pk_mul_f32 v[66:67], s[0:1], v[52:53] op_sel_hi:[0,1]
	v_subrev_u32_e32 v52, s33, v51
	v_add_u32_e32 v54, 1, v52
	v_add_u32_e32 v55, 2, v52
	v_cvt_f32_i32_e32 v53, v52
	v_cvt_f32_i32_e32 v54, v54
	;; [unrolled: 1-line block ×3, first 2 shown]
	v_add_u32_e32 v56, 3, v52
	v_fma_f32 v58, v87, v53, v58
	v_fmac_f32_e32 v59, v87, v54
	v_fma_f32 v78, v87, v55, v78
	v_add_u32_e32 v53, 16, v52
	v_add_u32_e32 v54, 17, v52
	;; [unrolled: 1-line block ×3, first 2 shown]
	v_cvt_f32_i32_e32 v56, v56
	v_cvt_f32_i32_e32 v53, v53
	;; [unrolled: 1-line block ×4, first 2 shown]
	v_fmac_f32_e32 v79, v87, v56
	v_add_u32_e32 v56, 19, v52
	v_fma_f32 v76, v87, v53, v76
	v_fmac_f32_e32 v77, v87, v54
	v_fma_f32 v74, v87, v55, v74
	v_add_u32_e32 v53, 32, v52
	v_add_u32_e32 v54, 33, v52
	;; [unrolled: 1-line block ×3, first 2 shown]
	v_cvt_f32_i32_e32 v56, v56
	v_cvt_f32_i32_e32 v53, v53
	;; [unrolled: 1-line block ×4, first 2 shown]
	global_load_dwordx4 v[6:9], v[2:3], off
	s_nop 0
	global_load_dwordx4 v[2:5], v[2:3], off offset:16
	s_nop 0
	global_load_dwordx4 v[14:17], v[70:71], off
	global_load_dwordx4 v[10:13], v[70:71], off offset:16
	v_pk_mul_f32 v[70:71], s[0:1], v[92:93] op_sel_hi:[0,1]
	v_pk_mul_f32 v[72:73], s[0:1], v[90:91] op_sel_hi:[0,1]
	v_fmac_f32_e32 v75, v87, v56
	v_add_u32_e32 v56, 35, v52
	v_fma_f32 v72, v87, v53, v72
	v_fmac_f32_e32 v73, v87, v54
	v_fma_f32 v70, v87, v55, v70
	v_add_u32_e32 v53, 48, v52
	v_add_u32_e32 v54, 49, v52
	;; [unrolled: 1-line block ×4, first 2 shown]
	v_cvt_f32_i32_e32 v52, v52
	v_cvt_f32_i32_e32 v53, v53
	v_cvt_f32_i32_e32 v54, v54
	v_cmp_gt_i32_e64 s[28:29], s33, v50
	v_fmac_f32_e32 v67, v87, v52
	v_mov_b32_e32 v52, 0xff7fffff
	v_cmp_gt_i32_e64 s[30:31], s33, v51
	v_fma_f32 v68, v87, v53, v68
	v_cndmask_b32_e64 v53, v52, v58, s[28:29]
	v_cndmask_b32_e64 v51, v52, v59, s[30:31]
	v_fmac_f32_e32 v69, v87, v54
	v_max3_f32 v51, v53, s40, v51
	v_or_b32_e32 v53, 2, v50
	v_or_b32_e32 v54, 3, v50
	v_cmp_gt_i32_e64 s[34:35], s33, v53
	v_cmp_gt_i32_e64 s[36:37], s33, v54
	v_cndmask_b32_e64 v53, v52, v78, s[34:35]
	v_cndmask_b32_e64 v54, v52, v79, s[36:37]
	v_max3_f32 v51, v51, v53, v54
	v_or_b32_e32 v53, 16, v50
	v_or_b32_e32 v54, 17, v50
	v_cmp_gt_i32_e64 s[22:23], s33, v53
	v_cmp_gt_i32_e64 s[24:25], s33, v54
	v_cndmask_b32_e64 v53, v52, v76, s[22:23]
	v_cndmask_b32_e64 v54, v52, v77, s[24:25]
	;; [unrolled: 7-line block ×3, first 2 shown]
	v_cvt_f32_i32_e32 v56, v56
	v_max3_f32 v51, v51, v53, v54
	v_or_b32_e32 v53, 32, v50
	v_or_b32_e32 v54, 33, v50
	v_cmp_gt_i32_e64 s[14:15], s33, v53
	v_cmp_gt_i32_e64 s[16:17], s33, v54
	v_cndmask_b32_e64 v53, v52, v72, s[14:15]
	v_cndmask_b32_e64 v54, v52, v73, s[16:17]
	v_max3_f32 v51, v51, v53, v54
	v_or_b32_e32 v53, 34, v50
	v_or_b32_e32 v54, 35, v50
	v_fmac_f32_e32 v71, v87, v56
	v_cmp_gt_i32_e64 s[10:11], s33, v53
	v_cmp_gt_i32_e64 s[12:13], s33, v54
	v_cndmask_b32_e64 v53, v52, v70, s[10:11]
	v_cndmask_b32_e64 v54, v52, v71, s[12:13]
	v_cvt_f32_i32_e32 v55, v55
	v_max3_f32 v51, v51, v53, v54
	v_or_b32_e32 v53, 48, v50
	v_or_b32_e32 v54, 49, v50
	v_cmp_gt_i32_e64 s[2:3], s33, v53
	v_cmp_gt_i32_e64 s[8:9], s33, v54
	v_cndmask_b32_e64 v53, v52, v68, s[2:3]
	v_cndmask_b32_e64 v54, v52, v69, s[8:9]
	v_max3_f32 v51, v51, v53, v54
	v_or_b32_e32 v53, 50, v50
	v_or_b32_e32 v50, 51, v50
	v_fma_f32 v66, v87, v55, v66
	v_cmp_gt_i32_e32 vcc, s33, v53
	v_cmp_gt_i32_e64 s[0:1], s33, v50
	v_cndmask_b32_e32 v53, v52, v66, vcc
	v_cndmask_b32_e64 v50, v52, v67, s[0:1]
	v_max3_f32 v60, v51, v53, v50
	v_mbcnt_lo_u32_b32 v50, -1, 0
	v_mbcnt_hi_u32_b32 v61, -1, v50
	v_and_b32_e32 v50, 64, v61
	v_add_u32_e32 v80, 64, v50
	v_xor_b32_e32 v50, 32, v61
	v_cmp_lt_i32_e64 s[38:39], v50, v80
	v_cndmask_b32_e64 v50, v61, v50, s[38:39]
	v_lshlrev_b32_e32 v82, 2, v50
	ds_bpermute_b32 v81, v82, v60
	v_add_co_u32_e64 v50, s[38:39], v89, v64
	v_addc_co_u32_e64 v51, s[38:39], v86, v65, s[38:39]
	s_waitcnt lgkmcnt(0)
	v_max_f32_e32 v64, v81, v81
	v_max_f32_e32 v64, v60, v64
	v_xor_b32_e32 v60, 16, v61
	v_cmp_lt_i32_e64 s[38:39], v60, v80
	v_cndmask_b32_e64 v60, v61, v60, s[38:39]
	v_lshlrev_b32_e32 v83, 2, v60
	ds_bpermute_b32 v65, v83, v64
	v_add_co_u32_e64 v60, s[38:39], v89, v62
	v_addc_co_u32_e64 v61, s[38:39], v86, v63, s[38:39]
	s_waitcnt lgkmcnt(0)
	v_max_f32_e32 v62, v65, v65
	v_max_f32_e32 v87, v64, v62
	v_sub_f32_e32 v58, v58, v87
	v_mul_f32_e32 v58, 0x3fb8aa3b, v58
	v_exp_f32_e32 v80, v58
	v_sub_f32_e32 v58, v59, v87
	v_mul_f32_e32 v58, 0x3fb8aa3b, v58
	global_load_dwordx4 v[54:57], v[50:51], off
	s_nop 0
	global_load_dwordx4 v[50:53], v[50:51], off offset:16
	v_exp_f32_e32 v81, v58
	global_load_dwordx4 v[62:65], v[60:61], off
	s_nop 0
	global_load_dwordx4 v[58:61], v[60:61], off offset:16
	v_sub_f32_e32 v78, v78, v87
	v_mul_f32_e32 v78, 0x3fb8aa3b, v78
	v_sub_f32_e32 v79, v79, v87
	v_exp_f32_e32 v78, v78
	v_mul_f32_e32 v79, 0x3fb8aa3b, v79
	v_sub_f32_e32 v76, v76, v87
	v_exp_f32_e32 v79, v79
	v_mul_f32_e32 v76, 0x3fb8aa3b, v76
	v_sub_f32_e32 v77, v77, v87
	v_cndmask_b32_e64 v80, 0, v80, s[28:29]
	v_exp_f32_e32 v76, v76
	v_mul_f32_e32 v77, 0x3fb8aa3b, v77
	v_sub_f32_e32 v74, v74, v87
	v_add_f32_e32 v86, 0, v80
	v_cndmask_b32_e64 v81, 0, v81, s[30:31]
	v_exp_f32_e32 v77, v77
	v_mul_f32_e32 v74, 0x3fb8aa3b, v74
	v_sub_f32_e32 v75, v75, v87
	v_add_f32_e32 v86, v86, v81
	v_cndmask_b32_e64 v78, 0, v78, s[34:35]
	v_exp_f32_e32 v74, v74
	v_mul_f32_e32 v75, 0x3fb8aa3b, v75
	v_sub_f32_e32 v72, v72, v87
	v_add_f32_e32 v86, v86, v78
	v_cndmask_b32_e64 v79, 0, v79, s[36:37]
	v_exp_f32_e32 v75, v75
	v_mul_f32_e32 v72, 0x3fb8aa3b, v72
	v_sub_f32_e32 v73, v73, v87
	v_add_f32_e32 v86, v86, v79
	v_cndmask_b32_e64 v76, 0, v76, s[22:23]
	v_exp_f32_e32 v72, v72
	v_mul_f32_e32 v73, 0x3fb8aa3b, v73
	v_sub_f32_e32 v70, v70, v87
	v_add_f32_e32 v86, v86, v76
	v_cndmask_b32_e64 v77, 0, v77, s[24:25]
	v_exp_f32_e32 v73, v73
	v_mul_f32_e32 v70, 0x3fb8aa3b, v70
	v_sub_f32_e32 v71, v71, v87
	v_add_f32_e32 v86, v86, v77
	v_cndmask_b32_e64 v74, 0, v74, s[18:19]
	v_exp_f32_e32 v70, v70
	v_mul_f32_e32 v71, 0x3fb8aa3b, v71
	v_sub_f32_e32 v68, v68, v87
	v_add_f32_e32 v86, v86, v74
	v_cndmask_b32_e64 v75, 0, v75, s[20:21]
	v_exp_f32_e32 v71, v71
	v_mul_f32_e32 v68, 0x3fb8aa3b, v68
	v_sub_f32_e32 v69, v69, v87
	v_add_f32_e32 v86, v86, v75
	v_cndmask_b32_e64 v72, 0, v72, s[14:15]
	v_exp_f32_e32 v68, v68
	v_mul_f32_e32 v69, 0x3fb8aa3b, v69
	v_sub_f32_e32 v66, v66, v87
	v_add_f32_e32 v86, v86, v72
	v_cndmask_b32_e64 v73, 0, v73, s[16:17]
	v_exp_f32_e32 v69, v69
	v_mul_f32_e32 v66, 0x3fb8aa3b, v66
	v_sub_f32_e32 v67, v67, v87
	v_add_f32_e32 v86, v86, v73
	v_cndmask_b32_e64 v70, 0, v70, s[10:11]
	v_exp_f32_e32 v66, v66
	v_mul_f32_e32 v67, 0x3fb8aa3b, v67
	v_add_f32_e32 v86, v86, v70
	v_cndmask_b32_e64 v71, 0, v71, s[12:13]
	v_exp_f32_e32 v67, v67
	v_add_f32_e32 v86, v86, v71
	v_cndmask_b32_e64 v68, 0, v68, s[2:3]
	v_add_f32_e32 v86, v86, v68
	v_cndmask_b32_e64 v69, 0, v69, s[8:9]
	v_add_f32_e32 v86, v86, v69
	v_cndmask_b32_e32 v66, 0, v66, vcc
	v_add_f32_e32 v86, v86, v66
	v_cndmask_b32_e64 v67, 0, v67, s[0:1]
	v_add_f32_e32 v86, v86, v67
	ds_bpermute_b32 v82, v82, v86
	s_load_dword s3, s[4:5], 0x98
	v_cmp_gt_u32_e32 vcc, 16, v94
	s_waitcnt lgkmcnt(0)
	s_barrier
	v_add_f32_e32 v89, v86, v82
	ds_bpermute_b32 v90, v83, v89
	s_waitcnt lgkmcnt(0)
	s_and_saveexec_b64 s[0:1], vcc
	s_cbranch_execz .LBB159_17
; %bb.16:
	v_add_f32_e32 v82, v89, v90
	v_lshlrev_b32_e32 v83, 2, v88
	ds_write2st64_b32 v83, v87, v82 offset1:1
.LBB159_17:
	s_or_b64 exec, exec, s[0:1]
	v_lshlrev_b32_e32 v87, 2, v1
	s_load_dword s2, s[4:5], 0x94
	s_waitcnt lgkmcnt(0)
	s_barrier
	ds_read2_b32 v[82:83], v87 offset1:16
	ds_read2_b32 v[88:89], v87 offset0:32 offset1:48
	ds_read2_b32 v[90:91], v87 offset0:64 offset1:80
	s_lshl_b32 s3, s3, 3
	s_waitcnt lgkmcnt(2)
	v_max3_f32 v86, v82, s40, v83
	s_waitcnt lgkmcnt(1)
	v_max3_f32 v86, v86, v88, v89
	v_sub_f32_e32 v82, v82, v86
	v_mul_f32_e32 v82, 0x3fb8aa3b, v82
	v_exp_f32_e32 v92, v82
	v_sub_f32_e32 v82, v83, v86
	v_mul_f32_e32 v82, 0x3fb8aa3b, v82
	v_exp_f32_e32 v93, v82
	;; [unrolled: 3-line block ×3, first 2 shown]
	ds_read2_b32 v[82:83], v87 offset0:96 offset1:112
	v_sub_f32_e32 v87, v89, v86
	v_mul_f32_e32 v87, 0x3fb8aa3b, v87
	v_exp_f32_e32 v89, v87
	s_waitcnt lgkmcnt(1)
	v_fma_f32 v87, v92, v90, 0
	v_fmac_f32_e32 v87, v93, v91
	s_waitcnt lgkmcnt(0)
	v_fmac_f32_e32 v87, v88, v82
	v_fmac_f32_e32 v87, v89, v83
	v_add_f32_e32 v82, 0x358637bd, v87
	v_div_scale_f32 v83, s[0:1], v82, v82, 1.0
	v_rcp_f32_e32 v90, v83
	s_barrier
	v_fma_f32 v91, -v83, v90, 1.0
	v_fmac_f32_e32 v90, v91, v90
	v_div_scale_f32 v91, vcc, 1.0, v82, 1.0
	v_mul_f32_e32 v94, v91, v90
	v_fma_f32 v95, -v83, v94, v91
	v_fmac_f32_e32 v94, v95, v90
	v_fma_f32 v83, -v83, v94, v91
	v_div_fmas_f32 v83, v83, v90, v94
	v_cmp_eq_u32_e32 vcc, 1, v85
	v_div_fixup_f32 v82, v83, v82, 1.0
	v_cndmask_b32_e32 v83, v92, v93, vcc
	v_cmp_eq_u32_e32 vcc, 2, v85
	v_cndmask_b32_e32 v83, v83, v88, vcc
	v_cmp_eq_u32_e32 vcc, 3, v85
	v_cndmask_b32_e32 v83, v83, v89, vcc
	v_mul_f32_e32 v82, v83, v82
	v_pk_mul_f32 v[78:79], v[82:83], v[78:79] op_sel_hi:[0,1]
	v_pk_mul_f32 v[80:81], v[82:83], v[80:81] op_sel_hi:[0,1]
	v_cvt_f16_f32_e32 v80, v80
	v_cvt_f16_f32_e32 v81, v81
	;; [unrolled: 1-line block ×4, first 2 shown]
	v_pk_mul_f32 v[74:75], v[82:83], v[74:75] op_sel_hi:[0,1]
	v_pk_mul_f32 v[76:77], v[82:83], v[76:77] op_sel_hi:[0,1]
	v_cvt_f16_f32_e32 v76, v76
	v_cvt_f16_f32_e32 v77, v77
	;; [unrolled: 1-line block ×4, first 2 shown]
	v_pack_b32_f16 v80, v80, v81
	v_pack_b32_f16 v81, v78, v79
	v_lshlrev_b32_e32 v79, 3, v84
	v_lshlrev_b32_e32 v78, 5, v1
	;; [unrolled: 1-line block ×3, first 2 shown]
	v_or3_b32 v74, v74, v78, v79
	v_pack_b32_f16 v76, v76, v77
	v_pack_b32_f16 v77, v83, v75
	v_pk_mul_f32 v[70:71], v[82:83], v[70:71] op_sel_hi:[0,1]
	v_pk_mul_f32 v[72:73], v[82:83], v[72:73] op_sel_hi:[0,1]
	;; [unrolled: 1-line block ×4, first 2 shown]
	ds_write2st64_b64 v74, v[80:81], v[76:77] offset1:1
	v_cvt_f16_f32_e32 v72, v72
	v_cvt_f16_f32_e32 v73, v73
	;; [unrolled: 1-line block ×8, first 2 shown]
	v_pack_b32_f16 v66, v72, v73
	v_pack_b32_f16 v67, v70, v71
	;; [unrolled: 1-line block ×4, first 2 shown]
	v_cmp_gt_u32_e32 vcc, 8, v0
	ds_write2st64_b64 v74, v[66:67], v[68:69] offset0:2 offset1:3
	s_and_saveexec_b64 s[0:1], vcc
	s_cbranch_execz .LBB159_19
; %bb.18:
	v_or_b32_e32 v66, s27, v0
	v_mov_b32_e32 v67, 0
	v_mov_b32_e32 v68, s3
	v_mad_u64_u32 v[68:69], s[12:13], s6, v68, v[66:67]
	v_mov_b32_e32 v66, s26
	s_load_dwordx4 s[8:11], s[4:5], 0x58
	s_mul_i32 s7, s7, s3
	v_mad_u64_u32 v[66:67], s[12:13], v68, s2, v[66:67]
	v_add_u32_e32 v69, s7, v69
	v_mov_b32_e32 v68, v67
	v_mad_u64_u32 v[68:69], s[12:13], v69, s2, v[68:69]
	v_mov_b32_e32 v67, v68
	v_lshlrev_b64 v[66:67], 2, v[66:67]
	s_waitcnt lgkmcnt(0)
	v_mov_b32_e32 v69, s11
	v_add_co_u32_e32 v68, vcc, s10, v66
	v_addc_co_u32_e32 v69, vcc, v69, v67, vcc
	global_store_dword v[68:69], v86, off
	v_mov_b32_e32 v68, s9
	v_add_co_u32_e32 v66, vcc, s8, v66
	v_addc_co_u32_e32 v67, vcc, v68, v67, vcc
	global_store_dword v[66:67], v87, off
.LBB159_19:
	s_or_b64 exec, exec, s[0:1]
	v_lshl_or_b32 v75, v84, 9, v78
	s_waitcnt lgkmcnt(0)
	s_barrier
	ds_read_b128 v[70:73], v75
	ds_read_b128 v[66:69], v75 offset:16
	s_waitcnt vmcnt(15) lgkmcnt(1)
	v_mfma_f32_16x16x16f16 v[76:79], v[46:47], v[70:71], 0
	s_mov_b32 s1, 0
	v_cmp_gt_u32_e32 vcc, 64, v0
	v_mfma_f32_16x16x16f16 v[46:49], v[48:49], v[72:73], v[76:79]
	s_waitcnt vmcnt(14) lgkmcnt(0)
	v_mfma_f32_16x16x16f16 v[46:49], v[42:43], v[66:67], v[46:49]
	v_mfma_f32_16x16x16f16 v[42:45], v[44:45], v[68:69], v[46:49]
	s_nop 7
	s_nop 1
	ds_read_b128 v[46:49], v75 offset:2048
	ds_read_b128 v[76:79], v75 offset:2064
	s_waitcnt vmcnt(13) lgkmcnt(1)
	v_mfma_f32_16x16x16f16 v[42:45], v[38:39], v[46:47], v[42:45]
	v_mfma_f32_16x16x16f16 v[38:41], v[40:41], v[48:49], v[42:45]
	s_waitcnt vmcnt(12) lgkmcnt(0)
	v_mfma_f32_16x16x16f16 v[38:41], v[34:35], v[76:77], v[38:41]
	v_mfma_f32_16x16x16f16 v[34:37], v[36:37], v[78:79], v[38:41]
	s_nop 7
	s_nop 1
	ds_read_b128 v[38:41], v75 offset:4096
	ds_read_b128 v[42:45], v75 offset:4112
	s_waitcnt vmcnt(11) lgkmcnt(1)
	v_mfma_f32_16x16x16f16 v[34:37], v[30:31], v[38:39], v[34:37]
	v_mfma_f32_16x16x16f16 v[30:33], v[32:33], v[40:41], v[34:37]
	s_waitcnt vmcnt(10) lgkmcnt(0)
	v_mfma_f32_16x16x16f16 v[30:33], v[26:27], v[42:43], v[30:33]
	v_mfma_f32_16x16x16f16 v[26:29], v[28:29], v[44:45], v[30:33]
	s_nop 7
	s_nop 1
	ds_read_b128 v[30:33], v75 offset:6144
	ds_read_b128 v[34:37], v75 offset:6160
	s_waitcnt lgkmcnt(0)
	s_barrier
	s_waitcnt vmcnt(9)
	v_mfma_f32_16x16x16f16 v[26:29], v[22:23], v[30:31], v[26:29]
	v_mfma_f32_16x16x16f16 v[22:25], v[24:25], v[32:33], v[26:29]
	s_waitcnt vmcnt(8)
	v_mfma_f32_16x16x16f16 v[22:25], v[18:19], v[34:35], v[22:25]
	v_mfma_f32_16x16x16f16 v[18:21], v[20:21], v[36:37], v[22:25]
	;; [unrolled: 3-line block ×4, first 2 shown]
	s_waitcnt vmcnt(5)
	v_mfma_f32_16x16x16f16 v[2:5], v[14:15], v[46:47], v[2:5]
	s_nop 7
	v_cvt_f16_f32_e32 v6, v18
	v_cvt_f16_f32_e32 v7, v19
	;; [unrolled: 1-line block ×4, first 2 shown]
	v_mfma_f32_16x16x16f16 v[2:5], v[16:17], v[48:49], v[2:5]
	s_waitcnt vmcnt(4)
	v_mfma_f32_16x16x16f16 v[2:5], v[10:11], v[76:77], v[2:5]
	v_mfma_f32_16x16x16f16 v[2:5], v[12:13], v[78:79], v[2:5]
	s_waitcnt vmcnt(3)
	v_mfma_f32_16x16x16f16 v[2:5], v[54:55], v[38:39], v[2:5]
	;; [unrolled: 3-line block ×5, first 2 shown]
	v_mfma_f32_16x16x16f16 v[2:5], v[60:61], v[36:37], v[2:5]
	s_nop 7
	s_nop 2
	v_cvt_f16_f32_e32 v10, v2
	v_cvt_f16_f32_e32 v11, v3
	;; [unrolled: 1-line block ×4, first 2 shown]
	v_pack_b32_f16 v2, v6, v7
	v_pack_b32_f16 v3, v8, v9
	;; [unrolled: 1-line block ×4, first 2 shown]
	ds_write2st64_b64 v74, v[2:3], v[4:5] offset1:1
	s_waitcnt lgkmcnt(0)
	s_barrier
	s_and_saveexec_b64 s[8:9], vcc
	s_cbranch_execz .LBB159_21
; %bb.20:
	v_lshlrev_b32_e32 v1, 6, v1
	v_lshlrev_b32_e32 v3, 4, v0
	v_lshl_or_b32 v0, v0, 10, v1
	v_lshlrev_b32_e32 v2, 5, v84
	v_and_b32_e32 v3, 16, v3
	v_and_b32_e32 v0, 0x1a00, v0
	v_or3_b32 v4, v0, v2, v3
	ds_read_b128 v[0:3], v4
	ds_read_b128 v[4:7], v4 offset:128
	buffer_load_dword v10, off, s[44:47], 0 ; 4-byte Folded Reload
	buffer_load_dword v11, off, s[44:47], 0 offset:4 ; 4-byte Folded Reload
	s_load_dwordx2 s[4:5], s[4:5], 0x68
	s_lshl_b32 s7, s2, 7
	s_mul_i32 s0, s3, s6
	s_mul_hi_u32 s3, s0, s7
	s_mul_i32 s2, s0, s7
	s_lshl_b64 s[2:3], s[2:3], 1
	s_waitcnt lgkmcnt(0)
	s_add_u32 s2, s4, s2
	s_addc_u32 s3, s5, s3
	s_lshl_b32 s0, s26, 7
	s_lshl_b64 s[0:1], s[0:1], 1
	s_add_u32 s0, s2, s0
	s_addc_u32 s1, s3, s1
	v_mov_b32_e32 v8, s1
	v_or_b32_e32 v12, s27, v84
	s_waitcnt vmcnt(1)
	v_add_co_u32_e32 v10, vcc, s0, v10
	s_waitcnt vmcnt(0)
	v_addc_co_u32_e32 v11, vcc, v8, v11, vcc
	v_mad_u64_u32 v[8:9], s[0:1], v12, s7, 0
	v_lshlrev_b64 v[8:9], 1, v[8:9]
	v_add_co_u32_e32 v8, vcc, v10, v8
	v_addc_co_u32_e32 v9, vcc, v11, v9, vcc
	global_store_dwordx4 v[8:9], v[0:3], off
	s_nop 0
	v_or_b32_e32 v0, 4, v12
	v_mad_u64_u32 v[0:1], s[0:1], v0, s7, 0
	v_lshlrev_b64 v[0:1], 1, v[0:1]
	v_add_co_u32_e32 v0, vcc, v10, v0
	v_addc_co_u32_e32 v1, vcc, v11, v1, vcc
	global_store_dwordx4 v[0:1], v[4:7], off
.LBB159_21:
	s_endpgm
	.section	.rodata,"a",@progbits
	.p2align	6, 0x0
	.amdhsa_kernel _Z39paged_attention_ll4mi_QKV_mfma16_kernelIDF16_DF16_LN4vllm18Fp8KVCacheDataTypeE0EDF16_Li32ELi128ELi256ELb1ELi8EL8MFMAType0EEvPKT_PKT0_S8_ifPKiSA_SA_iPKfiiiPfSD_PS3_PT2_iSC_SC_
		.amdhsa_group_segment_fixed_size 8192
		.amdhsa_private_segment_fixed_size 12
		.amdhsa_kernarg_size 400
		.amdhsa_user_sgpr_count 6
		.amdhsa_user_sgpr_private_segment_buffer 1
		.amdhsa_user_sgpr_dispatch_ptr 0
		.amdhsa_user_sgpr_queue_ptr 0
		.amdhsa_user_sgpr_kernarg_segment_ptr 1
		.amdhsa_user_sgpr_dispatch_id 0
		.amdhsa_user_sgpr_flat_scratch_init 0
		.amdhsa_user_sgpr_kernarg_preload_length 0
		.amdhsa_user_sgpr_kernarg_preload_offset 0
		.amdhsa_user_sgpr_private_segment_size 0
		.amdhsa_uses_dynamic_stack 0
		.amdhsa_system_sgpr_private_segment_wavefront_offset 1
		.amdhsa_system_sgpr_workgroup_id_x 1
		.amdhsa_system_sgpr_workgroup_id_y 1
		.amdhsa_system_sgpr_workgroup_id_z 1
		.amdhsa_system_sgpr_workgroup_info 0
		.amdhsa_system_vgpr_workitem_id 0
		.amdhsa_next_free_vgpr 96
		.amdhsa_next_free_sgpr 48
		.amdhsa_accum_offset 96
		.amdhsa_reserve_vcc 1
		.amdhsa_reserve_flat_scratch 0
		.amdhsa_float_round_mode_32 0
		.amdhsa_float_round_mode_16_64 0
		.amdhsa_float_denorm_mode_32 3
		.amdhsa_float_denorm_mode_16_64 3
		.amdhsa_dx10_clamp 1
		.amdhsa_ieee_mode 1
		.amdhsa_fp16_overflow 0
		.amdhsa_tg_split 0
		.amdhsa_exception_fp_ieee_invalid_op 0
		.amdhsa_exception_fp_denorm_src 0
		.amdhsa_exception_fp_ieee_div_zero 0
		.amdhsa_exception_fp_ieee_overflow 0
		.amdhsa_exception_fp_ieee_underflow 0
		.amdhsa_exception_fp_ieee_inexact 0
		.amdhsa_exception_int_div_zero 0
	.end_amdhsa_kernel
	.section	.text._Z39paged_attention_ll4mi_QKV_mfma16_kernelIDF16_DF16_LN4vllm18Fp8KVCacheDataTypeE0EDF16_Li32ELi128ELi256ELb1ELi8EL8MFMAType0EEvPKT_PKT0_S8_ifPKiSA_SA_iPKfiiiPfSD_PS3_PT2_iSC_SC_,"axG",@progbits,_Z39paged_attention_ll4mi_QKV_mfma16_kernelIDF16_DF16_LN4vllm18Fp8KVCacheDataTypeE0EDF16_Li32ELi128ELi256ELb1ELi8EL8MFMAType0EEvPKT_PKT0_S8_ifPKiSA_SA_iPKfiiiPfSD_PS3_PT2_iSC_SC_,comdat
.Lfunc_end159:
	.size	_Z39paged_attention_ll4mi_QKV_mfma16_kernelIDF16_DF16_LN4vllm18Fp8KVCacheDataTypeE0EDF16_Li32ELi128ELi256ELb1ELi8EL8MFMAType0EEvPKT_PKT0_S8_ifPKiSA_SA_iPKfiiiPfSD_PS3_PT2_iSC_SC_, .Lfunc_end159-_Z39paged_attention_ll4mi_QKV_mfma16_kernelIDF16_DF16_LN4vllm18Fp8KVCacheDataTypeE0EDF16_Li32ELi128ELi256ELb1ELi8EL8MFMAType0EEvPKT_PKT0_S8_ifPKiSA_SA_iPKfiiiPfSD_PS3_PT2_iSC_SC_
                                        ; -- End function
	.section	.AMDGPU.csdata,"",@progbits
; Kernel info:
; codeLenInByte = 5048
; NumSgprs: 52
; NumVgprs: 96
; NumAgprs: 0
; TotalNumVgprs: 96
; ScratchSize: 12
; MemoryBound: 0
; FloatMode: 240
; IeeeMode: 1
; LDSByteSize: 8192 bytes/workgroup (compile time only)
; SGPRBlocks: 6
; VGPRBlocks: 11
; NumSGPRsForWavesPerEU: 52
; NumVGPRsForWavesPerEU: 96
; AccumOffset: 96
; Occupancy: 5
; WaveLimiterHint : 1
; COMPUTE_PGM_RSRC2:SCRATCH_EN: 1
; COMPUTE_PGM_RSRC2:USER_SGPR: 6
; COMPUTE_PGM_RSRC2:TRAP_HANDLER: 0
; COMPUTE_PGM_RSRC2:TGID_X_EN: 1
; COMPUTE_PGM_RSRC2:TGID_Y_EN: 1
; COMPUTE_PGM_RSRC2:TGID_Z_EN: 1
; COMPUTE_PGM_RSRC2:TIDIG_COMP_CNT: 0
; COMPUTE_PGM_RSRC3_GFX90A:ACCUM_OFFSET: 23
; COMPUTE_PGM_RSRC3_GFX90A:TG_SPLIT: 0
	.section	.text._Z39paged_attention_ll4mi_QKV_mfma16_kernelIDF16_DF16_LN4vllm18Fp8KVCacheDataTypeE0EDF16_Li32ELi128ELi256ELb1ELi9EL8MFMAType0EEvPKT_PKT0_S8_ifPKiSA_SA_iPKfiiiPfSD_PS3_PT2_iSC_SC_,"axG",@progbits,_Z39paged_attention_ll4mi_QKV_mfma16_kernelIDF16_DF16_LN4vllm18Fp8KVCacheDataTypeE0EDF16_Li32ELi128ELi256ELb1ELi9EL8MFMAType0EEvPKT_PKT0_S8_ifPKiSA_SA_iPKfiiiPfSD_PS3_PT2_iSC_SC_,comdat
	.protected	_Z39paged_attention_ll4mi_QKV_mfma16_kernelIDF16_DF16_LN4vllm18Fp8KVCacheDataTypeE0EDF16_Li32ELi128ELi256ELb1ELi9EL8MFMAType0EEvPKT_PKT0_S8_ifPKiSA_SA_iPKfiiiPfSD_PS3_PT2_iSC_SC_ ; -- Begin function _Z39paged_attention_ll4mi_QKV_mfma16_kernelIDF16_DF16_LN4vllm18Fp8KVCacheDataTypeE0EDF16_Li32ELi128ELi256ELb1ELi9EL8MFMAType0EEvPKT_PKT0_S8_ifPKiSA_SA_iPKfiiiPfSD_PS3_PT2_iSC_SC_
	.globl	_Z39paged_attention_ll4mi_QKV_mfma16_kernelIDF16_DF16_LN4vllm18Fp8KVCacheDataTypeE0EDF16_Li32ELi128ELi256ELb1ELi9EL8MFMAType0EEvPKT_PKT0_S8_ifPKiSA_SA_iPKfiiiPfSD_PS3_PT2_iSC_SC_
	.p2align	8
	.type	_Z39paged_attention_ll4mi_QKV_mfma16_kernelIDF16_DF16_LN4vllm18Fp8KVCacheDataTypeE0EDF16_Li32ELi128ELi256ELb1ELi9EL8MFMAType0EEvPKT_PKT0_S8_ifPKiSA_SA_iPKfiiiPfSD_PS3_PT2_iSC_SC_,@function
_Z39paged_attention_ll4mi_QKV_mfma16_kernelIDF16_DF16_LN4vllm18Fp8KVCacheDataTypeE0EDF16_Li32ELi128ELi256ELb1ELi9EL8MFMAType0EEvPKT_PKT0_S8_ifPKiSA_SA_iPKfiiiPfSD_PS3_PT2_iSC_SC_: ; @_Z39paged_attention_ll4mi_QKV_mfma16_kernelIDF16_DF16_LN4vllm18Fp8KVCacheDataTypeE0EDF16_Li32ELi128ELi256ELb1ELi9EL8MFMAType0EEvPKT_PKT0_S8_ifPKiSA_SA_iPKfiiiPfSD_PS3_PT2_iSC_SC_
; %bb.0:
	s_mov_b64 s[46:47], s[2:3]
	s_mov_b64 s[44:45], s[0:1]
	s_load_dwordx2 s[0:1], s[4:5], 0x30
	s_add_u32 s44, s44, s9
	s_addc_u32 s45, s45, 0
	s_mov_b32 s26, s7
	s_mov_b64 s[10:11], 0
	s_waitcnt lgkmcnt(0)
	s_cmp_lg_u64 s[0:1], 0
	s_cselect_b64 s[2:3], -1, 0
	s_and_b64 vcc, exec, s[2:3]
	s_cbranch_vccz .LBB160_7
; %bb.1:
	s_add_i32 s12, s6, 1
	s_mov_b32 s13, 0
	s_lshl_b64 s[14:15], s[12:13], 2
	s_add_u32 s14, s0, s14
	s_mov_b32 s7, s13
	s_addc_u32 s15, s1, s15
	s_lshl_b64 s[12:13], s[6:7], 2
	s_add_u32 s12, s0, s12
	s_addc_u32 s13, s1, s13
	s_load_dword s9, s[14:15], 0x0
	s_load_dword s16, s[12:13], 0x0
	s_waitcnt lgkmcnt(0)
	s_sub_i32 s9, s9, s16
	s_cmp_eq_u32 s9, 1
	s_cselect_b64 s[12:13], -1, 0
	s_andn2_b64 vcc, exec, s[10:11]
	s_cbranch_vccnz .LBB160_3
.LBB160_2:
	s_mov_b32 s7, 0
	s_mov_b64 s[12:13], -1
.LBB160_3:
	s_andn2_b64 vcc, exec, s[12:13]
	s_cbranch_vccnz .LBB160_22
; %bb.4:
	s_load_dwordx2 s[12:13], s[4:5], 0x28
	s_lshl_b64 s[10:11], s[6:7], 2
	s_waitcnt lgkmcnt(0)
	s_add_u32 s12, s12, s10
	s_addc_u32 s13, s13, s11
	s_load_dword s33, s[12:13], 0x0
	s_lshl_b32 s16, s26, 8
	s_waitcnt lgkmcnt(0)
	s_cmp_ge_i32 s16, s33
	s_cbranch_scc1 .LBB160_22
; %bb.5:
	s_add_i32 s14, s33, 31
	s_load_dwordx2 s[12:13], s[4:5], 0x20
	s_load_dword s9, s[4:5], 0x38
	s_ashr_i32 s15, s14, 31
	v_and_b32_e32 v1, 0xcf, v0
	s_lshr_b32 s15, s15, 27
	v_add_u32_e32 v1, s16, v1
	s_add_i32 s14, s14, s15
	v_ashrrev_i32_e32 v2, 31, v1
	s_ashr_i32 s19, s14, 5
	v_lshrrev_b32_e32 v6, 27, v2
	s_add_i32 s19, s19, -1
	v_add_u32_e32 v2, v1, v6
	s_waitcnt lgkmcnt(0)
	s_mul_i32 s14, s6, s9
	s_mov_b32 s15, 0
	v_ashrrev_i32_e32 v2, 5, v2
	v_mov_b32_e32 v7, s19
	v_cmp_gt_i32_e32 vcc, s33, v1
	s_lshl_b64 s[14:15], s[14:15], 2
	v_cndmask_b32_e32 v2, v7, v2, vcc
	s_add_u32 s17, s12, s14
	v_ashrrev_i32_e32 v3, 31, v2
	s_addc_u32 s18, s13, s15
	v_lshlrev_b64 v[2:3], 2, v[2:3]
	v_mov_b32_e32 v4, s18
	v_add_co_u32_e32 v2, vcc, s17, v2
	v_addc_co_u32_e32 v3, vcc, v4, v3, vcc
	v_or_b32_e32 v4, 16, v1
	v_add_u32_e32 v5, v4, v6
	v_ashrrev_i32_e32 v5, 5, v5
	v_cmp_gt_i32_e32 vcc, s33, v4
	v_cndmask_b32_e32 v4, v7, v5, vcc
	v_ashrrev_i32_e32 v5, 31, v4
	v_lshlrev_b64 v[4:5], 2, v[4:5]
	v_mov_b32_e32 v9, s18
	v_add_co_u32_e32 v8, vcc, s17, v4
	v_or_b32_e32 v4, 32, v1
	v_addc_co_u32_e32 v9, vcc, v9, v5, vcc
	v_add_u32_e32 v5, v4, v6
	v_ashrrev_i32_e32 v5, 5, v5
	v_cmp_gt_i32_e32 vcc, s33, v4
	v_cndmask_b32_e32 v4, v7, v5, vcc
	v_ashrrev_i32_e32 v5, 31, v4
	v_lshlrev_b64 v[4:5], 2, v[4:5]
	v_mov_b32_e32 v11, s18
	v_add_co_u32_e32 v10, vcc, s17, v4
	v_or_b32_e32 v1, 48, v1
	v_addc_co_u32_e32 v11, vcc, v11, v5, vcc
	v_add_u32_e32 v4, v1, v6
	v_ashrrev_i32_e32 v4, 5, v4
	v_cmp_gt_i32_e32 vcc, s33, v1
	v_cndmask_b32_e32 v4, v7, v4, vcc
	v_ashrrev_i32_e32 v5, 31, v4
	v_lshlrev_b64 v[4:5], 2, v[4:5]
	v_mov_b32_e32 v1, s18
	v_add_co_u32_e32 v12, vcc, s17, v4
	v_addc_co_u32_e32 v13, vcc, v1, v5, vcc
	global_load_dword v7, v[2:3], off
	global_load_dword v6, v[8:9], off
	;; [unrolled: 1-line block ×4, first 2 shown]
	s_andn2_b64 vcc, exec, s[2:3]
	s_cbranch_vccnz .LBB160_8
; %bb.6:
	s_add_u32 s0, s0, s10
	s_addc_u32 s1, s1, s11
	s_load_dword s9, s[0:1], 0x0
	s_branch .LBB160_9
.LBB160_7:
	s_mov_b64 s[12:13], 0
	s_branch .LBB160_2
.LBB160_8:
	s_mov_b32 s9, s6
.LBB160_9:
	s_load_dwordx2 s[12:13], s[4:5], 0x8
	s_load_dwordx4 s[0:3], s[4:5], 0x48
	v_lshrrev_b32_e32 v85, 6, v0
	v_bfe_u32 v1, v0, 4, 2
	v_lshl_or_b32 v8, v85, 2, v1
	v_and_b32_e32 v84, 15, v0
	v_lshlrev_b32_e32 v2, 3, v84
	v_cmp_lt_u32_e32 vcc, 8, v8
	s_and_saveexec_b64 s[10:11], vcc
	s_xor_b64 s[10:11], exec, s[10:11]
; %bb.10:
	v_mov_b32_e32 v3, 0
                                        ; implicit-def: $vgpr8
; %bb.11:
	s_or_saveexec_b64 s[14:15], s[10:11]
	s_load_dwordx2 s[10:11], s[4:5], 0x10
	s_mul_i32 s27, s8, 9
	s_xor_b64 exec, exec, s[14:15]
	s_cbranch_execz .LBB160_13
; %bb.12:
	s_load_dwordx2 s[20:21], s[4:5], 0x0
	s_waitcnt lgkmcnt(0)
	s_ashr_i32 s3, s0, 31
	s_mul_hi_u32 s22, s9, s0
	s_mul_i32 s3, s9, s3
	s_add_i32 s23, s22, s3
	s_mul_i32 s22, s9, s0
	s_lshl_b64 s[22:23], s[22:23], 1
	v_add_lshl_u32 v10, v8, s27, 7
	s_add_u32 s0, s20, s22
	v_ashrrev_i32_e32 v11, 31, v10
	s_addc_u32 s3, s21, s23
	v_lshlrev_b64 v[10:11], 1, v[10:11]
	v_mov_b32_e32 v3, s3
	v_add_co_u32_e32 v9, vcc, s0, v10
	v_addc_co_u32_e32 v3, vcc, v3, v11, vcc
	v_lshlrev_b32_e32 v10, 1, v2
	v_add_co_u32_e32 v10, vcc, v9, v10
	v_addc_co_u32_e32 v11, vcc, 0, v3, vcc
	global_load_dwordx4 v[10:13], v[10:11], off
	v_and_b32_e32 v9, 3, v0
	v_lshlrev_b32_e32 v14, 9, v84
	v_lshlrev_b32_e32 v8, 5, v8
	;; [unrolled: 1-line block ×3, first 2 shown]
	v_and_b32_e32 v14, 0x1800, v14
	v_mov_b32_e32 v3, 0
	v_or3_b32 v8, v14, v9, v8
	s_waitcnt vmcnt(0)
	ds_write_b128 v8, v[10:13]
.LBB160_13:
	s_or_b64 exec, exec, s[14:15]
	s_waitcnt lgkmcnt(0)
	s_mul_i32 s2, s8, s2
	s_mov_b32 s3, 0
	s_lshl_b64 s[2:3], s[2:3], 1
	s_add_u32 s0, s12, s2
	s_waitcnt vmcnt(3)
	v_mad_i64_i32 v[8:9], s[8:9], v7, s1, 0
	s_addc_u32 s12, s13, s3
	v_lshlrev_b64 v[8:9], 1, v[8:9]
	v_mov_b32_e32 v7, s12
	v_add_co_u32_e32 v8, vcc, s0, v8
	v_addc_co_u32_e32 v7, vcc, v7, v9, vcc
	v_lshlrev_b64 v[14:15], 1, v[2:3]
	v_add_co_u32_e32 v8, vcc, v8, v14
	v_lshlrev_b32_e32 v12, 9, v1
	v_addc_co_u32_e32 v7, vcc, v7, v15, vcc
	v_add_co_u32_e32 v2, vcc, v8, v12
	v_addc_co_u32_e32 v3, vcc, 0, v7, vcc
	v_or_b32_e32 v10, 0x1000, v12
	s_barrier
	global_load_dwordx4 v[38:41], v[2:3], off
	global_load_dwordx4 v[34:37], v[2:3], off offset:2048
	v_add_co_u32_e32 v2, vcc, v8, v10
	v_addc_co_u32_e32 v3, vcc, 0, v7, vcc
	v_or_b32_e32 v11, 0x1800, v12
	v_add_co_u32_e32 v8, vcc, v8, v11
	v_addc_co_u32_e32 v9, vcc, 0, v7, vcc
	global_load_dwordx4 v[46:49], v[2:3], off
	global_load_dwordx4 v[58:61], v[8:9], off
	s_waitcnt vmcnt(6)
	v_mad_i64_i32 v[2:3], s[8:9], v6, s1, 0
	v_lshlrev_b64 v[2:3], 1, v[2:3]
	v_mov_b32_e32 v6, s12
	v_add_co_u32_e32 v2, vcc, s0, v2
	v_addc_co_u32_e32 v3, vcc, v6, v3, vcc
	v_mov_b32_e32 v6, 0x100
	v_lshl_or_b32 v8, v84, 4, v6
	v_add_co_u32_e32 v6, vcc, v2, v8
	v_addc_co_u32_e32 v7, vcc, 0, v3, vcc
	v_add_co_u32_e32 v2, vcc, v6, v12
	v_addc_co_u32_e32 v3, vcc, 0, v7, vcc
	global_load_dwordx4 v[74:77], v[2:3], off
	global_load_dwordx4 v[70:73], v[2:3], off offset:2048
	v_add_co_u32_e32 v2, vcc, v6, v10
	v_addc_co_u32_e32 v3, vcc, 0, v7, vcc
	v_add_co_u32_e32 v6, vcc, v6, v11
	v_addc_co_u32_e32 v7, vcc, 0, v7, vcc
	global_load_dwordx4 v[78:81], v[2:3], off
	global_load_dwordx4 v[66:69], v[6:7], off
	s_waitcnt vmcnt(9)
	v_mad_i64_i32 v[2:3], s[8:9], v5, s1, 0
	v_lshlrev_b64 v[2:3], 1, v[2:3]
	v_mov_b32_e32 v5, s12
	v_add_co_u32_e32 v2, vcc, s0, v2
	v_addc_co_u32_e32 v3, vcc, v5, v3, vcc
	v_add_co_u32_e32 v5, vcc, v2, v14
	buffer_store_dword v14, off, s[44:47], 0 ; 4-byte Folded Spill
	s_nop 0
	buffer_store_dword v15, off, s[44:47], 0 offset:4 ; 4-byte Folded Spill
	v_and_b32_e32 v94, 63, v0
	v_mov_b32_e32 v87, 0
	v_addc_co_u32_e32 v7, vcc, v3, v15, vcc
	v_add_co_u32_e32 v2, vcc, v5, v12
	v_addc_co_u32_e32 v3, vcc, 0, v7, vcc
	global_load_dwordx4 v[62:65], v[2:3], off
	global_load_dwordx4 v[42:45], v[2:3], off offset:2048
	v_add_co_u32_e32 v2, vcc, v5, v10
	v_addc_co_u32_e32 v3, vcc, 0, v7, vcc
	v_add_co_u32_e32 v6, vcc, v5, v11
	v_addc_co_u32_e32 v7, vcc, 0, v7, vcc
	global_load_dwordx4 v[26:29], v[2:3], off
	global_load_dwordx4 v[18:21], v[6:7], off
	s_waitcnt vmcnt(14)
	v_mad_i64_i32 v[2:3], s[8:9], v4, s1, 0
	v_lshlrev_b64 v[2:3], 1, v[2:3]
	v_mov_b32_e32 v4, s12
	v_add_co_u32_e32 v2, vcc, s0, v2
	v_addc_co_u32_e32 v3, vcc, v4, v3, vcc
	v_add_co_u32_e32 v4, vcc, v2, v8
	v_addc_co_u32_e32 v5, vcc, 0, v3, vcc
	;; [unrolled: 2-line block ×3, first 2 shown]
	global_load_dwordx4 v[14:17], v[2:3], off
	global_load_dwordx4 v[6:9], v[2:3], off offset:2048
	v_add_co_u32_e32 v2, vcc, v4, v10
	v_addc_co_u32_e32 v3, vcc, 0, v5, vcc
	v_add_co_u32_e32 v10, vcc, v4, v11
	v_addc_co_u32_e32 v11, vcc, 0, v5, vcc
	global_load_dwordx4 v[2:5], v[2:3], off
	s_nop 0
	global_load_dwordx4 v[50:53], v[10:11], off
	v_add_u32_e32 v10, -9, v84
	v_cmp_gt_u32_e32 vcc, 9, v84
	v_cndmask_b32_e32 v10, v10, v84, vcc
	v_lshl_add_u32 v54, v10, 5, v12
	ds_read_b128 v[30:33], v54
	ds_read_b128 v[22:25], v54 offset:2048
	ds_read_b128 v[10:13], v54 offset:4096
	;; [unrolled: 1-line block ×3, first 2 shown]
	s_and_saveexec_b64 s[8:9], vcc
	s_cbranch_execz .LBB160_15
; %bb.14:
	s_load_dwordx2 s[12:13], s[4:5], 0x40
	v_add_u32_e32 v82, s27, v84
	v_ashrrev_i32_e32 v83, 31, v82
	v_lshlrev_b64 v[82:83], 2, v[82:83]
	s_waitcnt lgkmcnt(0)
	v_mov_b32_e32 v87, s13
	v_add_co_u32_e32 v82, vcc, s12, v82
	v_addc_co_u32_e32 v83, vcc, v87, v83, vcc
	global_load_dword v87, v[82:83], off
.LBB160_15:
	s_or_b64 exec, exec, s[8:9]
	s_waitcnt vmcnt(17) lgkmcnt(3)
	v_mfma_f32_16x16x16f16 v[88:91], v[38:39], v[30:31], 0
	s_ashr_i32 s0, s16, 31
	s_lshr_b32 s0, s0, 27
	s_add_u32 s2, s10, s2
	s_addc_u32 s3, s11, s3
	s_mov_b32 s40, 0xff7fffff
	v_mfma_f32_16x16x16f16 v[38:41], v[40:41], v[32:33], v[88:91]
	s_waitcnt vmcnt(16) lgkmcnt(2)
	v_mfma_f32_16x16x16f16 v[38:41], v[34:35], v[22:23], v[38:41]
	s_nop 4
	v_lshl_or_b32 v88, v85, 4, v84
	v_mfma_f32_16x16x16f16 v[34:37], v[36:37], v[24:25], v[38:41]
	s_waitcnt vmcnt(15) lgkmcnt(1)
	v_mfma_f32_16x16x16f16 v[34:37], v[46:47], v[10:11], v[34:37]
	v_and_or_b32 v46, v0, 48, s16
	s_nop 3
	v_add_u32_e32 v38, s0, v46
	v_ashrrev_i32_e32 v38, 5, v38
	v_mov_b32_e32 v47, s19
	v_cmp_gt_i32_e32 vcc, s33, v46
	v_cndmask_b32_e32 v38, v47, v38, vcc
	v_ashrrev_i32_e32 v39, 31, v38
	v_mfma_f32_16x16x16f16 v[34:37], v[48:49], v[12:13], v[34:37]
	v_or_b32_e32 v40, 64, v46
	v_add_u32_e32 v41, s0, v40
	v_ashrrev_i32_e32 v41, 5, v41
	v_mov_b32_e32 v48, s18
	s_waitcnt vmcnt(14) lgkmcnt(0)
	v_mfma_f32_16x16x16f16 v[34:37], v[58:59], v[54:55], v[34:37]
	v_mfma_f32_16x16x16f16 v[58:61], v[60:61], v[56:57], v[34:37]
	s_waitcnt vmcnt(13)
	v_mfma_f32_16x16x16f16 v[34:37], v[74:75], v[30:31], 0
	v_mfma_f32_16x16x16f16 v[34:37], v[76:77], v[32:33], v[34:37]
	v_lshlrev_b32_e32 v76, 6, v88
	s_waitcnt vmcnt(12)
	v_mfma_f32_16x16x16f16 v[34:37], v[70:71], v[22:23], v[34:37]
	v_mfma_f32_16x16x16f16 v[34:37], v[72:73], v[24:25], v[34:37]
	s_waitcnt vmcnt(11)
	v_mfma_f32_16x16x16f16 v[34:37], v[78:79], v[10:11], v[34:37]
	v_mfma_f32_16x16x16f16 v[34:37], v[80:81], v[12:13], v[34:37]
	s_waitcnt vmcnt(10)
	v_mfma_f32_16x16x16f16 v[34:37], v[66:67], v[54:55], v[34:37]
	v_mfma_f32_16x16x16f16 v[66:69], v[68:69], v[56:57], v[34:37]
	s_nop 7
	s_nop 1
	v_lshlrev_b64 v[34:35], 2, v[38:39]
	v_mov_b32_e32 v36, s18
	v_add_co_u32_e32 v38, vcc, s17, v34
	v_addc_co_u32_e32 v39, vcc, v36, v35, vcc
	v_cmp_gt_i32_e32 vcc, s33, v40
	v_cndmask_b32_e32 v40, v47, v41, vcc
	v_ashrrev_i32_e32 v41, 31, v40
	v_lshlrev_b64 v[40:41], 2, v[40:41]
	v_add_co_u32_e32 v40, vcc, s17, v40
	v_addc_co_u32_e32 v41, vcc, v48, v41, vcc
	global_load_dword v48, v[38:39], off
	s_nop 0
	global_load_dword v40, v[40:41], off
	v_or_b32_e32 v38, 0x80, v46
	v_add_u32_e32 v39, s0, v38
	v_ashrrev_i32_e32 v39, 5, v39
	v_cmp_gt_i32_e32 vcc, s33, v38
	v_cndmask_b32_e32 v38, v47, v39, vcc
	v_ashrrev_i32_e32 v39, 31, v38
	v_lshlrev_b64 v[38:39], 2, v[38:39]
	v_mov_b32_e32 v41, s18
	v_add_co_u32_e32 v38, vcc, s17, v38
	v_addc_co_u32_e32 v39, vcc, v41, v39, vcc
	s_waitcnt vmcnt(9)
	v_mfma_f32_16x16x16f16 v[34:37], v[62:63], v[30:31], 0
	global_load_dword v62, v[38:39], off
	v_or_b32_e32 v38, 0xc0, v46
	v_add_u32_e32 v39, s0, v38
	v_ashrrev_i32_e32 v39, 5, v39
	v_cmp_gt_i32_e32 vcc, s33, v38
	v_cndmask_b32_e32 v38, v47, v39, vcc
	v_ashrrev_i32_e32 v39, 31, v38
	v_mfma_f32_16x16x16f16 v[34:37], v[64:65], v[32:33], v[34:37]
	s_load_dword s0, s[4:5], 0x1c
	s_waitcnt lgkmcnt(0)
	v_pk_mul_f32 v[58:59], s[0:1], v[58:59] op_sel_hi:[0,1]
	s_waitcnt vmcnt(9)
	v_mfma_f32_16x16x16f16 v[34:37], v[42:43], v[22:23], v[34:37]
	v_mfma_f32_16x16x16f16 v[34:37], v[44:45], v[24:25], v[34:37]
	s_waitcnt vmcnt(8)
	v_mfma_f32_16x16x16f16 v[34:37], v[26:27], v[10:11], v[34:37]
	v_lshlrev_b64 v[26:27], 2, v[38:39]
	v_mov_b32_e32 v39, s18
	v_add_co_u32_e32 v38, vcc, s17, v26
	v_addc_co_u32_e32 v39, vcc, v39, v27, vcc
	global_load_dword v63, v[38:39], off
	v_mfma_f32_16x16x16f16 v[26:29], v[28:29], v[12:13], v[34:37]
	s_waitcnt vmcnt(8)
	v_mfma_f32_16x16x16f16 v[26:29], v[18:19], v[54:55], v[26:29]
	s_nop 4
	v_and_b32_e32 v34, 16, v0
	v_lshlrev_b32_e32 v34, 1, v34
	v_mov_b32_e32 v18, s3
	v_add_co_u32_e32 v74, vcc, s2, v34
	v_addc_co_u32_e32 v75, vcc, 0, v18, vcc
	v_mfma_f32_16x16x16f16 v[90:93], v[20:21], v[56:57], v[26:29]
	v_add_co_u32_e32 v77, vcc, v74, v76
	v_addc_co_u32_e32 v78, vcc, 0, v75, vcc
	s_waitcnt vmcnt(3)
	v_mad_i64_i32 v[18:19], s[2:3], v48, s1, 0
	v_lshlrev_b64 v[70:71], 1, v[18:19]
	v_mfma_f32_16x16x16f16 v[18:21], v[14:15], v[30:31], 0
	v_add_co_u32_e32 v14, vcc, v77, v70
	v_addc_co_u32_e32 v15, vcc, v78, v71, vcc
	global_load_dwordx4 v[46:49], v[14:15], off
	global_load_dwordx4 v[42:45], v[14:15], off offset:16
	s_waitcnt vmcnt(4)
	v_mad_i64_i32 v[14:15], s[2:3], v40, s1, 0
	v_lshlrev_b64 v[72:73], 1, v[14:15]
	v_mfma_f32_16x16x16f16 v[14:17], v[16:17], v[32:33], v[18:21]
	v_mfma_f32_16x16x16f16 v[14:17], v[6:7], v[22:23], v[14:17]
	s_nop 5
	v_add_co_u32_e32 v18, vcc, v77, v72
	v_addc_co_u32_e32 v19, vcc, v78, v73, vcc
	global_load_dwordx4 v[38:41], v[18:19], off
	global_load_dwordx4 v[34:37], v[18:19], off offset:16
	s_waitcnt vmcnt(5)
	v_mad_i64_i32 v[18:19], s[2:3], v62, s1, 0
	v_lshlrev_b64 v[64:65], 1, v[18:19]
	v_add_co_u32_e32 v6, vcc, v77, v64
	v_addc_co_u32_e32 v7, vcc, v78, v65, vcc
	global_load_dwordx4 v[30:33], v[6:7], off
	global_load_dwordx4 v[26:29], v[6:7], off offset:16
	v_mfma_f32_16x16x16f16 v[6:9], v[8:9], v[24:25], v[14:17]
	v_mfma_f32_16x16x16f16 v[6:9], v[2:3], v[10:11], v[6:9]
	v_or_b32_e32 v2, 0x1000, v76
	s_waitcnt vmcnt(6)
	s_nop 3
	v_mad_i64_i32 v[14:15], s[2:3], v63, s1, 0
	v_mfma_f32_16x16x16f16 v[10:13], v[4:5], v[12:13], v[6:9]
	v_lshlrev_b64 v[62:63], 1, v[14:15]
	v_add_co_u32_e32 v14, vcc, v77, v62
	v_addc_co_u32_e32 v15, vcc, v78, v63, vcc
	v_add_co_u32_e32 v89, vcc, v74, v2
	v_mfma_f32_16x16x16f16 v[80:83], v[50:51], v[54:55], v[10:13]
	v_addc_co_u32_e32 v86, vcc, 0, v75, vcc
	v_pk_mul_f32 v[74:75], s[0:1], v[68:69] op_sel_hi:[0,1]
	v_pk_mul_f32 v[76:77], s[0:1], v[66:67] op_sel_hi:[0,1]
	v_pk_mul_f32 v[78:79], s[0:1], v[60:61] op_sel_hi:[0,1]
	v_add_co_u32_e32 v2, vcc, v89, v70
	v_mfma_f32_16x16x16f16 v[50:53], v[52:53], v[56:57], v[80:83]
	v_addc_co_u32_e32 v3, vcc, v86, v71, vcc
	v_add_co_u32_e32 v70, vcc, v89, v72
	v_addc_co_u32_e32 v71, vcc, v86, v73, vcc
	global_load_dwordx4 v[22:25], v[14:15], off
	global_load_dwordx4 v[18:21], v[14:15], off offset:16
	s_nop 5
	v_pk_mul_f32 v[68:69], s[0:1], v[50:51] op_sel_hi:[0,1]
	v_and_b32_e32 v50, 0xc0, v0
	v_add_u32_e32 v50, s16, v50
	v_lshl_or_b32 v50, v1, 2, v50
	v_or_b32_e32 v51, 1, v50
	v_pk_mul_f32 v[66:67], s[0:1], v[52:53] op_sel_hi:[0,1]
	v_subrev_u32_e32 v52, s33, v51
	v_add_u32_e32 v54, 1, v52
	v_add_u32_e32 v55, 2, v52
	v_cvt_f32_i32_e32 v53, v52
	v_cvt_f32_i32_e32 v54, v54
	;; [unrolled: 1-line block ×3, first 2 shown]
	v_add_u32_e32 v56, 3, v52
	v_fma_f32 v58, v87, v53, v58
	v_fmac_f32_e32 v59, v87, v54
	v_fma_f32 v78, v87, v55, v78
	v_add_u32_e32 v53, 16, v52
	v_add_u32_e32 v54, 17, v52
	v_add_u32_e32 v55, 18, v52
	v_cvt_f32_i32_e32 v56, v56
	v_cvt_f32_i32_e32 v53, v53
	;; [unrolled: 1-line block ×4, first 2 shown]
	v_fmac_f32_e32 v79, v87, v56
	v_add_u32_e32 v56, 19, v52
	v_fma_f32 v76, v87, v53, v76
	v_fmac_f32_e32 v77, v87, v54
	v_fma_f32 v74, v87, v55, v74
	v_add_u32_e32 v53, 32, v52
	v_add_u32_e32 v54, 33, v52
	;; [unrolled: 1-line block ×3, first 2 shown]
	v_cvt_f32_i32_e32 v56, v56
	v_cvt_f32_i32_e32 v53, v53
	;; [unrolled: 1-line block ×4, first 2 shown]
	global_load_dwordx4 v[6:9], v[2:3], off
	s_nop 0
	global_load_dwordx4 v[2:5], v[2:3], off offset:16
	s_nop 0
	global_load_dwordx4 v[14:17], v[70:71], off
	global_load_dwordx4 v[10:13], v[70:71], off offset:16
	v_pk_mul_f32 v[70:71], s[0:1], v[92:93] op_sel_hi:[0,1]
	v_pk_mul_f32 v[72:73], s[0:1], v[90:91] op_sel_hi:[0,1]
	v_fmac_f32_e32 v75, v87, v56
	v_add_u32_e32 v56, 35, v52
	v_fma_f32 v72, v87, v53, v72
	v_fmac_f32_e32 v73, v87, v54
	v_fma_f32 v70, v87, v55, v70
	v_add_u32_e32 v53, 48, v52
	v_add_u32_e32 v54, 49, v52
	;; [unrolled: 1-line block ×4, first 2 shown]
	v_cvt_f32_i32_e32 v52, v52
	v_cvt_f32_i32_e32 v53, v53
	;; [unrolled: 1-line block ×3, first 2 shown]
	v_cmp_gt_i32_e64 s[28:29], s33, v50
	v_fmac_f32_e32 v67, v87, v52
	v_mov_b32_e32 v52, 0xff7fffff
	v_cmp_gt_i32_e64 s[30:31], s33, v51
	v_fma_f32 v68, v87, v53, v68
	v_cndmask_b32_e64 v53, v52, v58, s[28:29]
	v_cndmask_b32_e64 v51, v52, v59, s[30:31]
	v_fmac_f32_e32 v69, v87, v54
	v_max3_f32 v51, v53, s40, v51
	v_or_b32_e32 v53, 2, v50
	v_or_b32_e32 v54, 3, v50
	v_cmp_gt_i32_e64 s[34:35], s33, v53
	v_cmp_gt_i32_e64 s[36:37], s33, v54
	v_cndmask_b32_e64 v53, v52, v78, s[34:35]
	v_cndmask_b32_e64 v54, v52, v79, s[36:37]
	v_max3_f32 v51, v51, v53, v54
	v_or_b32_e32 v53, 16, v50
	v_or_b32_e32 v54, 17, v50
	v_cmp_gt_i32_e64 s[22:23], s33, v53
	v_cmp_gt_i32_e64 s[24:25], s33, v54
	v_cndmask_b32_e64 v53, v52, v76, s[22:23]
	v_cndmask_b32_e64 v54, v52, v77, s[24:25]
	v_max3_f32 v51, v51, v53, v54
	v_or_b32_e32 v53, 18, v50
	v_or_b32_e32 v54, 19, v50
	v_cmp_gt_i32_e64 s[18:19], s33, v53
	v_cmp_gt_i32_e64 s[20:21], s33, v54
	v_cndmask_b32_e64 v53, v52, v74, s[18:19]
	v_cndmask_b32_e64 v54, v52, v75, s[20:21]
	v_cvt_f32_i32_e32 v56, v56
	v_max3_f32 v51, v51, v53, v54
	v_or_b32_e32 v53, 32, v50
	v_or_b32_e32 v54, 33, v50
	v_cmp_gt_i32_e64 s[14:15], s33, v53
	v_cmp_gt_i32_e64 s[16:17], s33, v54
	v_cndmask_b32_e64 v53, v52, v72, s[14:15]
	v_cndmask_b32_e64 v54, v52, v73, s[16:17]
	v_max3_f32 v51, v51, v53, v54
	v_or_b32_e32 v53, 34, v50
	v_or_b32_e32 v54, 35, v50
	v_fmac_f32_e32 v71, v87, v56
	v_cmp_gt_i32_e64 s[10:11], s33, v53
	v_cmp_gt_i32_e64 s[12:13], s33, v54
	v_cndmask_b32_e64 v53, v52, v70, s[10:11]
	v_cndmask_b32_e64 v54, v52, v71, s[12:13]
	v_cvt_f32_i32_e32 v55, v55
	v_max3_f32 v51, v51, v53, v54
	v_or_b32_e32 v53, 48, v50
	v_or_b32_e32 v54, 49, v50
	v_cmp_gt_i32_e64 s[2:3], s33, v53
	v_cmp_gt_i32_e64 s[8:9], s33, v54
	v_cndmask_b32_e64 v53, v52, v68, s[2:3]
	v_cndmask_b32_e64 v54, v52, v69, s[8:9]
	v_max3_f32 v51, v51, v53, v54
	v_or_b32_e32 v53, 50, v50
	v_or_b32_e32 v50, 51, v50
	v_fma_f32 v66, v87, v55, v66
	v_cmp_gt_i32_e32 vcc, s33, v53
	v_cmp_gt_i32_e64 s[0:1], s33, v50
	v_cndmask_b32_e32 v53, v52, v66, vcc
	v_cndmask_b32_e64 v50, v52, v67, s[0:1]
	v_max3_f32 v60, v51, v53, v50
	v_mbcnt_lo_u32_b32 v50, -1, 0
	v_mbcnt_hi_u32_b32 v61, -1, v50
	v_and_b32_e32 v50, 64, v61
	v_add_u32_e32 v80, 64, v50
	v_xor_b32_e32 v50, 32, v61
	v_cmp_lt_i32_e64 s[38:39], v50, v80
	v_cndmask_b32_e64 v50, v61, v50, s[38:39]
	v_lshlrev_b32_e32 v82, 2, v50
	ds_bpermute_b32 v81, v82, v60
	v_add_co_u32_e64 v50, s[38:39], v89, v64
	v_addc_co_u32_e64 v51, s[38:39], v86, v65, s[38:39]
	s_waitcnt lgkmcnt(0)
	v_max_f32_e32 v64, v81, v81
	v_max_f32_e32 v64, v60, v64
	v_xor_b32_e32 v60, 16, v61
	v_cmp_lt_i32_e64 s[38:39], v60, v80
	v_cndmask_b32_e64 v60, v61, v60, s[38:39]
	v_lshlrev_b32_e32 v83, 2, v60
	ds_bpermute_b32 v65, v83, v64
	v_add_co_u32_e64 v60, s[38:39], v89, v62
	v_addc_co_u32_e64 v61, s[38:39], v86, v63, s[38:39]
	s_waitcnt lgkmcnt(0)
	v_max_f32_e32 v62, v65, v65
	v_max_f32_e32 v87, v64, v62
	v_sub_f32_e32 v58, v58, v87
	v_mul_f32_e32 v58, 0x3fb8aa3b, v58
	v_exp_f32_e32 v80, v58
	v_sub_f32_e32 v58, v59, v87
	v_mul_f32_e32 v58, 0x3fb8aa3b, v58
	global_load_dwordx4 v[54:57], v[50:51], off
	s_nop 0
	global_load_dwordx4 v[50:53], v[50:51], off offset:16
	v_exp_f32_e32 v81, v58
	global_load_dwordx4 v[62:65], v[60:61], off
	s_nop 0
	global_load_dwordx4 v[58:61], v[60:61], off offset:16
	v_sub_f32_e32 v78, v78, v87
	v_mul_f32_e32 v78, 0x3fb8aa3b, v78
	v_sub_f32_e32 v79, v79, v87
	v_exp_f32_e32 v78, v78
	v_mul_f32_e32 v79, 0x3fb8aa3b, v79
	v_sub_f32_e32 v76, v76, v87
	v_exp_f32_e32 v79, v79
	v_mul_f32_e32 v76, 0x3fb8aa3b, v76
	v_sub_f32_e32 v77, v77, v87
	v_cndmask_b32_e64 v80, 0, v80, s[28:29]
	v_exp_f32_e32 v76, v76
	v_mul_f32_e32 v77, 0x3fb8aa3b, v77
	v_sub_f32_e32 v74, v74, v87
	v_add_f32_e32 v86, 0, v80
	v_cndmask_b32_e64 v81, 0, v81, s[30:31]
	v_exp_f32_e32 v77, v77
	v_mul_f32_e32 v74, 0x3fb8aa3b, v74
	v_sub_f32_e32 v75, v75, v87
	v_add_f32_e32 v86, v86, v81
	;; [unrolled: 5-line block ×10, first 2 shown]
	v_cndmask_b32_e64 v70, 0, v70, s[10:11]
	v_exp_f32_e32 v66, v66
	v_mul_f32_e32 v67, 0x3fb8aa3b, v67
	v_add_f32_e32 v86, v86, v70
	v_cndmask_b32_e64 v71, 0, v71, s[12:13]
	v_exp_f32_e32 v67, v67
	v_add_f32_e32 v86, v86, v71
	v_cndmask_b32_e64 v68, 0, v68, s[2:3]
	v_add_f32_e32 v86, v86, v68
	v_cndmask_b32_e64 v69, 0, v69, s[8:9]
	v_add_f32_e32 v86, v86, v69
	v_cndmask_b32_e32 v66, 0, v66, vcc
	v_add_f32_e32 v86, v86, v66
	v_cndmask_b32_e64 v67, 0, v67, s[0:1]
	v_add_f32_e32 v86, v86, v67
	ds_bpermute_b32 v82, v82, v86
	s_load_dword s9, s[4:5], 0x98
	v_cmp_gt_u32_e64 s[0:1], 16, v94
	s_waitcnt lgkmcnt(0)
	s_barrier
	v_add_f32_e32 v89, v86, v82
	ds_bpermute_b32 v90, v83, v89
	s_waitcnt lgkmcnt(0)
	s_and_saveexec_b64 s[2:3], s[0:1]
	s_cbranch_execz .LBB160_17
; %bb.16:
	v_add_f32_e32 v82, v89, v90
	v_lshlrev_b32_e32 v83, 2, v88
	ds_write2st64_b32 v83, v87, v82 offset1:1
.LBB160_17:
	s_or_b64 exec, exec, s[2:3]
	v_lshlrev_b32_e32 v87, 2, v84
	s_load_dword s8, s[4:5], 0x94
	s_waitcnt lgkmcnt(0)
	s_barrier
	ds_read2_b32 v[82:83], v87 offset1:16
	ds_read2_b32 v[88:89], v87 offset0:32 offset1:48
	ds_read2_b32 v[90:91], v87 offset0:64 offset1:80
	s_mul_i32 s9, s9, 9
	s_waitcnt lgkmcnt(2)
	v_max3_f32 v86, v82, s40, v83
	s_waitcnt lgkmcnt(1)
	v_max3_f32 v86, v86, v88, v89
	v_sub_f32_e32 v82, v82, v86
	v_mul_f32_e32 v82, 0x3fb8aa3b, v82
	v_exp_f32_e32 v92, v82
	v_sub_f32_e32 v82, v83, v86
	v_mul_f32_e32 v82, 0x3fb8aa3b, v82
	v_exp_f32_e32 v93, v82
	;; [unrolled: 3-line block ×3, first 2 shown]
	ds_read2_b32 v[82:83], v87 offset0:96 offset1:112
	v_sub_f32_e32 v87, v89, v86
	v_mul_f32_e32 v87, 0x3fb8aa3b, v87
	v_exp_f32_e32 v89, v87
	s_waitcnt lgkmcnt(1)
	v_fma_f32 v87, v92, v90, 0
	v_fmac_f32_e32 v87, v93, v91
	s_waitcnt lgkmcnt(0)
	v_fmac_f32_e32 v87, v88, v82
	v_fmac_f32_e32 v87, v89, v83
	v_add_f32_e32 v82, 0x358637bd, v87
	v_div_scale_f32 v83, s[2:3], v82, v82, 1.0
	v_rcp_f32_e32 v90, v83
	s_barrier
	v_fma_f32 v91, -v83, v90, 1.0
	v_fmac_f32_e32 v90, v91, v90
	v_div_scale_f32 v91, vcc, 1.0, v82, 1.0
	v_mul_f32_e32 v94, v91, v90
	v_fma_f32 v95, -v83, v94, v91
	v_fmac_f32_e32 v94, v95, v90
	v_fma_f32 v83, -v83, v94, v91
	v_div_fmas_f32 v83, v83, v90, v94
	v_cmp_eq_u32_e32 vcc, 1, v85
	v_div_fixup_f32 v82, v83, v82, 1.0
	v_cndmask_b32_e32 v83, v92, v93, vcc
	v_cmp_eq_u32_e32 vcc, 2, v85
	v_cndmask_b32_e32 v83, v83, v88, vcc
	v_cmp_eq_u32_e32 vcc, 3, v85
	v_cndmask_b32_e32 v83, v83, v89, vcc
	v_mul_f32_e32 v82, v83, v82
	v_pk_mul_f32 v[78:79], v[82:83], v[78:79] op_sel_hi:[0,1]
	v_pk_mul_f32 v[80:81], v[82:83], v[80:81] op_sel_hi:[0,1]
	v_cvt_f16_f32_e32 v80, v80
	v_cvt_f16_f32_e32 v81, v81
	;; [unrolled: 1-line block ×4, first 2 shown]
	v_pk_mul_f32 v[74:75], v[82:83], v[74:75] op_sel_hi:[0,1]
	v_pk_mul_f32 v[76:77], v[82:83], v[76:77] op_sel_hi:[0,1]
	v_cvt_f16_f32_e32 v76, v76
	v_cvt_f16_f32_e32 v77, v77
	;; [unrolled: 1-line block ×4, first 2 shown]
	v_pack_b32_f16 v80, v80, v81
	v_pack_b32_f16 v81, v78, v79
	v_lshlrev_b32_e32 v79, 3, v1
	v_lshlrev_b32_e32 v78, 5, v84
	;; [unrolled: 1-line block ×3, first 2 shown]
	v_or3_b32 v74, v74, v78, v79
	v_pack_b32_f16 v76, v76, v77
	v_pack_b32_f16 v77, v83, v75
	v_pk_mul_f32 v[70:71], v[82:83], v[70:71] op_sel_hi:[0,1]
	v_pk_mul_f32 v[72:73], v[82:83], v[72:73] op_sel_hi:[0,1]
	;; [unrolled: 1-line block ×4, first 2 shown]
	ds_write2st64_b64 v74, v[80:81], v[76:77] offset1:1
	v_cvt_f16_f32_e32 v72, v72
	v_cvt_f16_f32_e32 v73, v73
	;; [unrolled: 1-line block ×8, first 2 shown]
	v_pack_b32_f16 v66, v72, v73
	v_pack_b32_f16 v67, v70, v71
	;; [unrolled: 1-line block ×4, first 2 shown]
	v_cmp_gt_u32_e32 vcc, 9, v0
	ds_write2st64_b64 v74, v[66:67], v[68:69] offset0:2 offset1:3
	s_and_saveexec_b64 s[2:3], vcc
	s_cbranch_execz .LBB160_19
; %bb.18:
	v_add_co_u32_e32 v68, vcc, s27, v84
	v_addc_co_u32_e64 v69, s[10:11], 0, 0, vcc
	v_mov_b32_e32 v66, s9
	v_mov_b32_e32 v67, 0
	v_mad_u64_u32 v[68:69], s[10:11], s6, v66, v[68:69]
	v_mov_b32_e32 v66, s26
	s_load_dwordx4 s[12:15], s[4:5], 0x58
	s_mul_i32 s7, s7, s9
	v_mad_u64_u32 v[66:67], s[10:11], v68, s8, v[66:67]
	v_add_u32_e32 v69, s7, v69
	v_mov_b32_e32 v68, v67
	v_mad_u64_u32 v[68:69], s[10:11], v69, s8, v[68:69]
	v_mov_b32_e32 v67, v68
	v_lshlrev_b64 v[66:67], 2, v[66:67]
	s_waitcnt lgkmcnt(0)
	v_mov_b32_e32 v69, s15
	v_add_co_u32_e32 v68, vcc, s14, v66
	v_addc_co_u32_e32 v69, vcc, v69, v67, vcc
	global_store_dword v[68:69], v86, off
	v_mov_b32_e32 v68, s13
	v_add_co_u32_e32 v66, vcc, s12, v66
	v_addc_co_u32_e32 v67, vcc, v68, v67, vcc
	global_store_dword v[66:67], v87, off
.LBB160_19:
	s_or_b64 exec, exec, s[2:3]
	v_lshl_or_b32 v75, v1, 9, v78
	s_waitcnt lgkmcnt(0)
	s_barrier
	ds_read_b128 v[70:73], v75
	ds_read_b128 v[66:69], v75 offset:16
	s_waitcnt vmcnt(15) lgkmcnt(1)
	v_mfma_f32_16x16x16f16 v[76:79], v[46:47], v[70:71], 0
	s_mov_b32 s3, 0
	v_cmp_gt_u32_e32 vcc, 64, v0
	v_mfma_f32_16x16x16f16 v[46:49], v[48:49], v[72:73], v[76:79]
	s_waitcnt vmcnt(14) lgkmcnt(0)
	v_mfma_f32_16x16x16f16 v[46:49], v[42:43], v[66:67], v[46:49]
	v_mfma_f32_16x16x16f16 v[42:45], v[44:45], v[68:69], v[46:49]
	s_nop 7
	s_nop 1
	ds_read_b128 v[46:49], v75 offset:2048
	ds_read_b128 v[76:79], v75 offset:2064
	s_waitcnt vmcnt(13) lgkmcnt(1)
	v_mfma_f32_16x16x16f16 v[42:45], v[38:39], v[46:47], v[42:45]
	v_mfma_f32_16x16x16f16 v[38:41], v[40:41], v[48:49], v[42:45]
	s_waitcnt vmcnt(12) lgkmcnt(0)
	v_mfma_f32_16x16x16f16 v[38:41], v[34:35], v[76:77], v[38:41]
	v_mfma_f32_16x16x16f16 v[34:37], v[36:37], v[78:79], v[38:41]
	s_nop 7
	s_nop 1
	ds_read_b128 v[38:41], v75 offset:4096
	ds_read_b128 v[42:45], v75 offset:4112
	s_waitcnt vmcnt(11) lgkmcnt(1)
	v_mfma_f32_16x16x16f16 v[34:37], v[30:31], v[38:39], v[34:37]
	v_mfma_f32_16x16x16f16 v[30:33], v[32:33], v[40:41], v[34:37]
	s_waitcnt vmcnt(10) lgkmcnt(0)
	v_mfma_f32_16x16x16f16 v[30:33], v[26:27], v[42:43], v[30:33]
	v_mfma_f32_16x16x16f16 v[26:29], v[28:29], v[44:45], v[30:33]
	s_nop 7
	s_nop 1
	ds_read_b128 v[30:33], v75 offset:6144
	ds_read_b128 v[34:37], v75 offset:6160
	s_waitcnt lgkmcnt(0)
	s_barrier
	s_waitcnt vmcnt(9)
	v_mfma_f32_16x16x16f16 v[26:29], v[22:23], v[30:31], v[26:29]
	v_mfma_f32_16x16x16f16 v[22:25], v[24:25], v[32:33], v[26:29]
	s_waitcnt vmcnt(8)
	v_mfma_f32_16x16x16f16 v[22:25], v[18:19], v[34:35], v[22:25]
	v_mfma_f32_16x16x16f16 v[18:21], v[20:21], v[36:37], v[22:25]
	;; [unrolled: 3-line block ×4, first 2 shown]
	s_waitcnt vmcnt(5)
	v_mfma_f32_16x16x16f16 v[2:5], v[14:15], v[46:47], v[2:5]
	s_nop 7
	v_cvt_f16_f32_e32 v6, v18
	v_cvt_f16_f32_e32 v7, v19
	;; [unrolled: 1-line block ×4, first 2 shown]
	v_mfma_f32_16x16x16f16 v[2:5], v[16:17], v[48:49], v[2:5]
	s_waitcnt vmcnt(4)
	v_mfma_f32_16x16x16f16 v[2:5], v[10:11], v[76:77], v[2:5]
	v_mfma_f32_16x16x16f16 v[2:5], v[12:13], v[78:79], v[2:5]
	s_waitcnt vmcnt(3)
	v_mfma_f32_16x16x16f16 v[2:5], v[54:55], v[38:39], v[2:5]
	;; [unrolled: 3-line block ×5, first 2 shown]
	v_mfma_f32_16x16x16f16 v[2:5], v[60:61], v[36:37], v[2:5]
	s_nop 7
	s_nop 2
	v_cvt_f16_f32_e32 v10, v2
	v_cvt_f16_f32_e32 v11, v3
	;; [unrolled: 1-line block ×4, first 2 shown]
	v_pack_b32_f16 v2, v6, v7
	v_pack_b32_f16 v3, v8, v9
	;; [unrolled: 1-line block ×4, first 2 shown]
	ds_write2st64_b64 v74, v[2:3], v[4:5] offset1:1
	s_waitcnt lgkmcnt(0)
	s_barrier
	s_and_saveexec_b64 s[10:11], vcc
	s_cbranch_execz .LBB160_22
; %bb.20:
	v_lshlrev_b32_e32 v4, 6, v84
	v_lshlrev_b32_e32 v3, 4, v0
	v_lshl_or_b32 v0, v0, 10, v4
	buffer_load_dword v4, off, s[44:47], 0  ; 4-byte Folded Reload
	buffer_load_dword v5, off, s[44:47], 0 offset:4 ; 4-byte Folded Reload
	s_load_dwordx2 s[10:11], s[4:5], 0x68
	s_lshl_b32 s4, s8, 7
	s_mul_i32 s2, s9, s6
	s_mul_hi_u32 s7, s2, s4
	s_mul_i32 s6, s2, s4
	s_lshl_b64 s[6:7], s[6:7], 1
	s_waitcnt lgkmcnt(0)
	s_add_u32 s5, s10, s6
	s_addc_u32 s6, s11, s7
	s_lshl_b32 s2, s26, 7
	s_lshl_b64 s[2:3], s[2:3], 1
	s_add_u32 s2, s5, s2
	v_lshlrev_b32_e32 v2, 5, v1
	v_and_b32_e32 v3, 16, v3
	v_and_b32_e32 v0, 0x1a00, v0
	s_addc_u32 s3, s6, s3
	v_or3_b32 v0, v0, v2, v3
	v_mov_b32_e32 v3, s3
	v_add_u32_e32 v14, s27, v1
	s_waitcnt vmcnt(1)
	v_add_co_u32_e32 v2, vcc, s2, v4
	s_waitcnt vmcnt(0)
	v_addc_co_u32_e32 v3, vcc, v3, v5, vcc
	ds_read_b128 v[4:7], v0 offset:128
	ds_read_b128 v[8:11], v0
	v_mad_u64_u32 v[12:13], s[2:3], v14, s4, 0
	v_lshlrev_b64 v[12:13], 1, v[12:13]
	v_add_co_u32_e32 v12, vcc, v2, v12
	v_addc_co_u32_e32 v13, vcc, v3, v13, vcc
	s_waitcnt lgkmcnt(0)
	global_store_dwordx4 v[12:13], v[8:11], off
	s_nop 0
	v_add_u32_e32 v8, 4, v14
	v_mad_u64_u32 v[8:9], s[2:3], v8, s4, 0
	v_lshlrev_b64 v[8:9], 1, v[8:9]
	v_add_co_u32_e32 v8, vcc, v2, v8
	v_addc_co_u32_e32 v9, vcc, v3, v9, vcc
	global_store_dwordx4 v[8:9], v[4:7], off
	s_and_b64 exec, exec, s[0:1]
	s_cbranch_execz .LBB160_22
; %bb.21:
	ds_read_b128 v[4:7], v0 offset:256
	v_add3_u32 v0, s27, v1, 8
	v_mad_u64_u32 v[0:1], s[0:1], v0, s4, 0
	v_lshlrev_b64 v[0:1], 1, v[0:1]
	v_add_co_u32_e32 v0, vcc, v2, v0
	v_addc_co_u32_e32 v1, vcc, v3, v1, vcc
	s_waitcnt lgkmcnt(0)
	global_store_dwordx4 v[0:1], v[4:7], off
.LBB160_22:
	s_endpgm
	.section	.rodata,"a",@progbits
	.p2align	6, 0x0
	.amdhsa_kernel _Z39paged_attention_ll4mi_QKV_mfma16_kernelIDF16_DF16_LN4vllm18Fp8KVCacheDataTypeE0EDF16_Li32ELi128ELi256ELb1ELi9EL8MFMAType0EEvPKT_PKT0_S8_ifPKiSA_SA_iPKfiiiPfSD_PS3_PT2_iSC_SC_
		.amdhsa_group_segment_fixed_size 8192
		.amdhsa_private_segment_fixed_size 12
		.amdhsa_kernarg_size 400
		.amdhsa_user_sgpr_count 6
		.amdhsa_user_sgpr_private_segment_buffer 1
		.amdhsa_user_sgpr_dispatch_ptr 0
		.amdhsa_user_sgpr_queue_ptr 0
		.amdhsa_user_sgpr_kernarg_segment_ptr 1
		.amdhsa_user_sgpr_dispatch_id 0
		.amdhsa_user_sgpr_flat_scratch_init 0
		.amdhsa_user_sgpr_kernarg_preload_length 0
		.amdhsa_user_sgpr_kernarg_preload_offset 0
		.amdhsa_user_sgpr_private_segment_size 0
		.amdhsa_uses_dynamic_stack 0
		.amdhsa_system_sgpr_private_segment_wavefront_offset 1
		.amdhsa_system_sgpr_workgroup_id_x 1
		.amdhsa_system_sgpr_workgroup_id_y 1
		.amdhsa_system_sgpr_workgroup_id_z 1
		.amdhsa_system_sgpr_workgroup_info 0
		.amdhsa_system_vgpr_workitem_id 0
		.amdhsa_next_free_vgpr 96
		.amdhsa_next_free_sgpr 48
		.amdhsa_accum_offset 96
		.amdhsa_reserve_vcc 1
		.amdhsa_reserve_flat_scratch 0
		.amdhsa_float_round_mode_32 0
		.amdhsa_float_round_mode_16_64 0
		.amdhsa_float_denorm_mode_32 3
		.amdhsa_float_denorm_mode_16_64 3
		.amdhsa_dx10_clamp 1
		.amdhsa_ieee_mode 1
		.amdhsa_fp16_overflow 0
		.amdhsa_tg_split 0
		.amdhsa_exception_fp_ieee_invalid_op 0
		.amdhsa_exception_fp_denorm_src 0
		.amdhsa_exception_fp_ieee_div_zero 0
		.amdhsa_exception_fp_ieee_overflow 0
		.amdhsa_exception_fp_ieee_underflow 0
		.amdhsa_exception_fp_ieee_inexact 0
		.amdhsa_exception_int_div_zero 0
	.end_amdhsa_kernel
	.section	.text._Z39paged_attention_ll4mi_QKV_mfma16_kernelIDF16_DF16_LN4vllm18Fp8KVCacheDataTypeE0EDF16_Li32ELi128ELi256ELb1ELi9EL8MFMAType0EEvPKT_PKT0_S8_ifPKiSA_SA_iPKfiiiPfSD_PS3_PT2_iSC_SC_,"axG",@progbits,_Z39paged_attention_ll4mi_QKV_mfma16_kernelIDF16_DF16_LN4vllm18Fp8KVCacheDataTypeE0EDF16_Li32ELi128ELi256ELb1ELi9EL8MFMAType0EEvPKT_PKT0_S8_ifPKiSA_SA_iPKfiiiPfSD_PS3_PT2_iSC_SC_,comdat
.Lfunc_end160:
	.size	_Z39paged_attention_ll4mi_QKV_mfma16_kernelIDF16_DF16_LN4vllm18Fp8KVCacheDataTypeE0EDF16_Li32ELi128ELi256ELb1ELi9EL8MFMAType0EEvPKT_PKT0_S8_ifPKiSA_SA_iPKfiiiPfSD_PS3_PT2_iSC_SC_, .Lfunc_end160-_Z39paged_attention_ll4mi_QKV_mfma16_kernelIDF16_DF16_LN4vllm18Fp8KVCacheDataTypeE0EDF16_Li32ELi128ELi256ELb1ELi9EL8MFMAType0EEvPKT_PKT0_S8_ifPKiSA_SA_iPKfiiiPfSD_PS3_PT2_iSC_SC_
                                        ; -- End function
	.section	.AMDGPU.csdata,"",@progbits
; Kernel info:
; codeLenInByte = 5120
; NumSgprs: 52
; NumVgprs: 96
; NumAgprs: 0
; TotalNumVgprs: 96
; ScratchSize: 12
; MemoryBound: 0
; FloatMode: 240
; IeeeMode: 1
; LDSByteSize: 8192 bytes/workgroup (compile time only)
; SGPRBlocks: 6
; VGPRBlocks: 11
; NumSGPRsForWavesPerEU: 52
; NumVGPRsForWavesPerEU: 96
; AccumOffset: 96
; Occupancy: 5
; WaveLimiterHint : 1
; COMPUTE_PGM_RSRC2:SCRATCH_EN: 1
; COMPUTE_PGM_RSRC2:USER_SGPR: 6
; COMPUTE_PGM_RSRC2:TRAP_HANDLER: 0
; COMPUTE_PGM_RSRC2:TGID_X_EN: 1
; COMPUTE_PGM_RSRC2:TGID_Y_EN: 1
; COMPUTE_PGM_RSRC2:TGID_Z_EN: 1
; COMPUTE_PGM_RSRC2:TIDIG_COMP_CNT: 0
; COMPUTE_PGM_RSRC3_GFX90A:ACCUM_OFFSET: 23
; COMPUTE_PGM_RSRC3_GFX90A:TG_SPLIT: 0
	.section	.text._Z39paged_attention_ll4mi_QKV_mfma16_kernelIDF16_DF16_LN4vllm18Fp8KVCacheDataTypeE0EDF16_Li32ELi128ELi256ELb1ELi10EL8MFMAType0EEvPKT_PKT0_S8_ifPKiSA_SA_iPKfiiiPfSD_PS3_PT2_iSC_SC_,"axG",@progbits,_Z39paged_attention_ll4mi_QKV_mfma16_kernelIDF16_DF16_LN4vllm18Fp8KVCacheDataTypeE0EDF16_Li32ELi128ELi256ELb1ELi10EL8MFMAType0EEvPKT_PKT0_S8_ifPKiSA_SA_iPKfiiiPfSD_PS3_PT2_iSC_SC_,comdat
	.protected	_Z39paged_attention_ll4mi_QKV_mfma16_kernelIDF16_DF16_LN4vllm18Fp8KVCacheDataTypeE0EDF16_Li32ELi128ELi256ELb1ELi10EL8MFMAType0EEvPKT_PKT0_S8_ifPKiSA_SA_iPKfiiiPfSD_PS3_PT2_iSC_SC_ ; -- Begin function _Z39paged_attention_ll4mi_QKV_mfma16_kernelIDF16_DF16_LN4vllm18Fp8KVCacheDataTypeE0EDF16_Li32ELi128ELi256ELb1ELi10EL8MFMAType0EEvPKT_PKT0_S8_ifPKiSA_SA_iPKfiiiPfSD_PS3_PT2_iSC_SC_
	.globl	_Z39paged_attention_ll4mi_QKV_mfma16_kernelIDF16_DF16_LN4vllm18Fp8KVCacheDataTypeE0EDF16_Li32ELi128ELi256ELb1ELi10EL8MFMAType0EEvPKT_PKT0_S8_ifPKiSA_SA_iPKfiiiPfSD_PS3_PT2_iSC_SC_
	.p2align	8
	.type	_Z39paged_attention_ll4mi_QKV_mfma16_kernelIDF16_DF16_LN4vllm18Fp8KVCacheDataTypeE0EDF16_Li32ELi128ELi256ELb1ELi10EL8MFMAType0EEvPKT_PKT0_S8_ifPKiSA_SA_iPKfiiiPfSD_PS3_PT2_iSC_SC_,@function
_Z39paged_attention_ll4mi_QKV_mfma16_kernelIDF16_DF16_LN4vllm18Fp8KVCacheDataTypeE0EDF16_Li32ELi128ELi256ELb1ELi10EL8MFMAType0EEvPKT_PKT0_S8_ifPKiSA_SA_iPKfiiiPfSD_PS3_PT2_iSC_SC_: ; @_Z39paged_attention_ll4mi_QKV_mfma16_kernelIDF16_DF16_LN4vllm18Fp8KVCacheDataTypeE0EDF16_Li32ELi128ELi256ELb1ELi10EL8MFMAType0EEvPKT_PKT0_S8_ifPKiSA_SA_iPKfiiiPfSD_PS3_PT2_iSC_SC_
; %bb.0:
	s_mov_b64 s[46:47], s[2:3]
	s_mov_b64 s[44:45], s[0:1]
	s_load_dwordx2 s[0:1], s[4:5], 0x30
	s_add_u32 s44, s44, s9
	s_addc_u32 s45, s45, 0
	s_mov_b32 s26, s7
	s_mov_b64 s[10:11], 0
	s_waitcnt lgkmcnt(0)
	s_cmp_lg_u64 s[0:1], 0
	s_cselect_b64 s[2:3], -1, 0
	s_and_b64 vcc, exec, s[2:3]
	s_cbranch_vccz .LBB161_7
; %bb.1:
	s_add_i32 s12, s6, 1
	s_mov_b32 s13, 0
	s_lshl_b64 s[14:15], s[12:13], 2
	s_add_u32 s14, s0, s14
	s_mov_b32 s7, s13
	s_addc_u32 s15, s1, s15
	s_lshl_b64 s[12:13], s[6:7], 2
	s_add_u32 s12, s0, s12
	s_addc_u32 s13, s1, s13
	s_load_dword s9, s[14:15], 0x0
	s_load_dword s16, s[12:13], 0x0
	s_waitcnt lgkmcnt(0)
	s_sub_i32 s9, s9, s16
	s_cmp_eq_u32 s9, 1
	s_cselect_b64 s[12:13], -1, 0
	s_andn2_b64 vcc, exec, s[10:11]
	s_cbranch_vccnz .LBB161_3
.LBB161_2:
	s_mov_b32 s7, 0
	s_mov_b64 s[12:13], -1
.LBB161_3:
	s_andn2_b64 vcc, exec, s[12:13]
	s_cbranch_vccnz .LBB161_22
; %bb.4:
	s_load_dwordx2 s[12:13], s[4:5], 0x28
	s_lshl_b64 s[10:11], s[6:7], 2
	s_waitcnt lgkmcnt(0)
	s_add_u32 s12, s12, s10
	s_addc_u32 s13, s13, s11
	s_load_dword s33, s[12:13], 0x0
	s_lshl_b32 s16, s26, 8
	s_waitcnt lgkmcnt(0)
	s_cmp_ge_i32 s16, s33
	s_cbranch_scc1 .LBB161_22
; %bb.5:
	s_add_i32 s14, s33, 31
	s_load_dwordx2 s[12:13], s[4:5], 0x20
	s_load_dword s9, s[4:5], 0x38
	s_ashr_i32 s15, s14, 31
	v_and_b32_e32 v1, 0xcf, v0
	s_lshr_b32 s15, s15, 27
	v_add_u32_e32 v1, s16, v1
	s_add_i32 s14, s14, s15
	v_ashrrev_i32_e32 v2, 31, v1
	s_ashr_i32 s19, s14, 5
	v_lshrrev_b32_e32 v6, 27, v2
	s_add_i32 s19, s19, -1
	v_add_u32_e32 v2, v1, v6
	s_waitcnt lgkmcnt(0)
	s_mul_i32 s14, s6, s9
	s_mov_b32 s15, 0
	v_ashrrev_i32_e32 v2, 5, v2
	v_mov_b32_e32 v7, s19
	v_cmp_gt_i32_e32 vcc, s33, v1
	s_lshl_b64 s[14:15], s[14:15], 2
	v_cndmask_b32_e32 v2, v7, v2, vcc
	s_add_u32 s17, s12, s14
	v_ashrrev_i32_e32 v3, 31, v2
	s_addc_u32 s18, s13, s15
	v_lshlrev_b64 v[2:3], 2, v[2:3]
	v_mov_b32_e32 v4, s18
	v_add_co_u32_e32 v2, vcc, s17, v2
	v_addc_co_u32_e32 v3, vcc, v4, v3, vcc
	v_or_b32_e32 v4, 16, v1
	v_add_u32_e32 v5, v4, v6
	v_ashrrev_i32_e32 v5, 5, v5
	v_cmp_gt_i32_e32 vcc, s33, v4
	v_cndmask_b32_e32 v4, v7, v5, vcc
	v_ashrrev_i32_e32 v5, 31, v4
	v_lshlrev_b64 v[4:5], 2, v[4:5]
	v_mov_b32_e32 v9, s18
	v_add_co_u32_e32 v8, vcc, s17, v4
	v_or_b32_e32 v4, 32, v1
	v_addc_co_u32_e32 v9, vcc, v9, v5, vcc
	v_add_u32_e32 v5, v4, v6
	v_ashrrev_i32_e32 v5, 5, v5
	v_cmp_gt_i32_e32 vcc, s33, v4
	v_cndmask_b32_e32 v4, v7, v5, vcc
	v_ashrrev_i32_e32 v5, 31, v4
	v_lshlrev_b64 v[4:5], 2, v[4:5]
	v_mov_b32_e32 v11, s18
	v_add_co_u32_e32 v10, vcc, s17, v4
	v_or_b32_e32 v1, 48, v1
	v_addc_co_u32_e32 v11, vcc, v11, v5, vcc
	v_add_u32_e32 v4, v1, v6
	v_ashrrev_i32_e32 v4, 5, v4
	v_cmp_gt_i32_e32 vcc, s33, v1
	v_cndmask_b32_e32 v4, v7, v4, vcc
	v_ashrrev_i32_e32 v5, 31, v4
	v_lshlrev_b64 v[4:5], 2, v[4:5]
	v_mov_b32_e32 v1, s18
	v_add_co_u32_e32 v12, vcc, s17, v4
	v_addc_co_u32_e32 v13, vcc, v1, v5, vcc
	global_load_dword v7, v[2:3], off
	global_load_dword v6, v[8:9], off
	global_load_dword v5, v[10:11], off
	global_load_dword v4, v[12:13], off
	s_andn2_b64 vcc, exec, s[2:3]
	s_cbranch_vccnz .LBB161_8
; %bb.6:
	s_add_u32 s0, s0, s10
	s_addc_u32 s1, s1, s11
	s_load_dword s9, s[0:1], 0x0
	s_branch .LBB161_9
.LBB161_7:
	s_mov_b64 s[12:13], 0
	s_branch .LBB161_2
.LBB161_8:
	s_mov_b32 s9, s6
.LBB161_9:
	s_load_dwordx2 s[12:13], s[4:5], 0x8
	s_load_dwordx4 s[0:3], s[4:5], 0x48
	v_lshrrev_b32_e32 v85, 6, v0
	v_bfe_u32 v1, v0, 4, 2
	v_lshl_or_b32 v8, v85, 2, v1
	v_and_b32_e32 v84, 15, v0
	v_lshlrev_b32_e32 v2, 3, v84
	v_cmp_lt_u32_e32 vcc, 9, v8
	s_and_saveexec_b64 s[10:11], vcc
	s_xor_b64 s[10:11], exec, s[10:11]
; %bb.10:
	v_mov_b32_e32 v3, 0
                                        ; implicit-def: $vgpr8
; %bb.11:
	s_or_saveexec_b64 s[14:15], s[10:11]
	s_load_dwordx2 s[10:11], s[4:5], 0x10
	s_mul_i32 s27, s8, 10
	s_xor_b64 exec, exec, s[14:15]
	s_cbranch_execz .LBB161_13
; %bb.12:
	s_load_dwordx2 s[20:21], s[4:5], 0x0
	s_waitcnt lgkmcnt(0)
	s_ashr_i32 s3, s0, 31
	s_mul_hi_u32 s22, s9, s0
	s_mul_i32 s3, s9, s3
	s_add_i32 s23, s22, s3
	s_mul_i32 s22, s9, s0
	s_lshl_b64 s[22:23], s[22:23], 1
	v_add_lshl_u32 v10, v8, s27, 7
	s_add_u32 s0, s20, s22
	v_ashrrev_i32_e32 v11, 31, v10
	s_addc_u32 s3, s21, s23
	v_lshlrev_b64 v[10:11], 1, v[10:11]
	v_mov_b32_e32 v3, s3
	v_add_co_u32_e32 v9, vcc, s0, v10
	v_addc_co_u32_e32 v3, vcc, v3, v11, vcc
	v_lshlrev_b32_e32 v10, 1, v2
	v_add_co_u32_e32 v10, vcc, v9, v10
	v_addc_co_u32_e32 v11, vcc, 0, v3, vcc
	global_load_dwordx4 v[10:13], v[10:11], off
	v_and_b32_e32 v9, 3, v0
	v_lshlrev_b32_e32 v14, 9, v84
	v_lshlrev_b32_e32 v8, 5, v8
	;; [unrolled: 1-line block ×3, first 2 shown]
	v_and_b32_e32 v14, 0x1800, v14
	v_mov_b32_e32 v3, 0
	v_or3_b32 v8, v14, v9, v8
	s_waitcnt vmcnt(0)
	ds_write_b128 v8, v[10:13]
.LBB161_13:
	s_or_b64 exec, exec, s[14:15]
	s_waitcnt lgkmcnt(0)
	s_mul_i32 s2, s8, s2
	s_mov_b32 s3, 0
	s_lshl_b64 s[2:3], s[2:3], 1
	s_add_u32 s0, s12, s2
	s_waitcnt vmcnt(3)
	v_mad_i64_i32 v[8:9], s[8:9], v7, s1, 0
	s_addc_u32 s12, s13, s3
	v_lshlrev_b64 v[8:9], 1, v[8:9]
	v_mov_b32_e32 v7, s12
	v_add_co_u32_e32 v8, vcc, s0, v8
	v_addc_co_u32_e32 v7, vcc, v7, v9, vcc
	v_lshlrev_b64 v[14:15], 1, v[2:3]
	v_add_co_u32_e32 v8, vcc, v8, v14
	v_lshlrev_b32_e32 v12, 9, v1
	v_addc_co_u32_e32 v7, vcc, v7, v15, vcc
	v_add_co_u32_e32 v2, vcc, v8, v12
	v_addc_co_u32_e32 v3, vcc, 0, v7, vcc
	v_or_b32_e32 v10, 0x1000, v12
	s_barrier
	global_load_dwordx4 v[38:41], v[2:3], off
	global_load_dwordx4 v[34:37], v[2:3], off offset:2048
	v_add_co_u32_e32 v2, vcc, v8, v10
	v_addc_co_u32_e32 v3, vcc, 0, v7, vcc
	v_or_b32_e32 v11, 0x1800, v12
	v_add_co_u32_e32 v8, vcc, v8, v11
	v_addc_co_u32_e32 v9, vcc, 0, v7, vcc
	global_load_dwordx4 v[46:49], v[2:3], off
	global_load_dwordx4 v[58:61], v[8:9], off
	s_waitcnt vmcnt(6)
	v_mad_i64_i32 v[2:3], s[8:9], v6, s1, 0
	v_lshlrev_b64 v[2:3], 1, v[2:3]
	v_mov_b32_e32 v6, s12
	v_add_co_u32_e32 v2, vcc, s0, v2
	v_addc_co_u32_e32 v3, vcc, v6, v3, vcc
	v_mov_b32_e32 v6, 0x100
	v_lshl_or_b32 v8, v84, 4, v6
	v_add_co_u32_e32 v6, vcc, v2, v8
	v_addc_co_u32_e32 v7, vcc, 0, v3, vcc
	v_add_co_u32_e32 v2, vcc, v6, v12
	v_addc_co_u32_e32 v3, vcc, 0, v7, vcc
	global_load_dwordx4 v[74:77], v[2:3], off
	global_load_dwordx4 v[70:73], v[2:3], off offset:2048
	v_add_co_u32_e32 v2, vcc, v6, v10
	v_addc_co_u32_e32 v3, vcc, 0, v7, vcc
	v_add_co_u32_e32 v6, vcc, v6, v11
	v_addc_co_u32_e32 v7, vcc, 0, v7, vcc
	global_load_dwordx4 v[78:81], v[2:3], off
	global_load_dwordx4 v[66:69], v[6:7], off
	s_waitcnt vmcnt(9)
	v_mad_i64_i32 v[2:3], s[8:9], v5, s1, 0
	v_lshlrev_b64 v[2:3], 1, v[2:3]
	v_mov_b32_e32 v5, s12
	v_add_co_u32_e32 v2, vcc, s0, v2
	v_addc_co_u32_e32 v3, vcc, v5, v3, vcc
	v_add_co_u32_e32 v5, vcc, v2, v14
	buffer_store_dword v14, off, s[44:47], 0 ; 4-byte Folded Spill
	s_nop 0
	buffer_store_dword v15, off, s[44:47], 0 offset:4 ; 4-byte Folded Spill
	v_and_b32_e32 v94, 63, v0
	v_mov_b32_e32 v87, 0
	v_addc_co_u32_e32 v7, vcc, v3, v15, vcc
	v_add_co_u32_e32 v2, vcc, v5, v12
	v_addc_co_u32_e32 v3, vcc, 0, v7, vcc
	global_load_dwordx4 v[62:65], v[2:3], off
	global_load_dwordx4 v[42:45], v[2:3], off offset:2048
	v_add_co_u32_e32 v2, vcc, v5, v10
	v_addc_co_u32_e32 v3, vcc, 0, v7, vcc
	v_add_co_u32_e32 v6, vcc, v5, v11
	v_addc_co_u32_e32 v7, vcc, 0, v7, vcc
	global_load_dwordx4 v[26:29], v[2:3], off
	global_load_dwordx4 v[18:21], v[6:7], off
	s_waitcnt vmcnt(14)
	v_mad_i64_i32 v[2:3], s[8:9], v4, s1, 0
	v_lshlrev_b64 v[2:3], 1, v[2:3]
	v_mov_b32_e32 v4, s12
	v_add_co_u32_e32 v2, vcc, s0, v2
	v_addc_co_u32_e32 v3, vcc, v4, v3, vcc
	v_add_co_u32_e32 v4, vcc, v2, v8
	v_addc_co_u32_e32 v5, vcc, 0, v3, vcc
	;; [unrolled: 2-line block ×3, first 2 shown]
	global_load_dwordx4 v[14:17], v[2:3], off
	global_load_dwordx4 v[6:9], v[2:3], off offset:2048
	v_add_co_u32_e32 v2, vcc, v4, v10
	v_addc_co_u32_e32 v3, vcc, 0, v5, vcc
	v_add_co_u32_e32 v10, vcc, v4, v11
	v_addc_co_u32_e32 v11, vcc, 0, v5, vcc
	global_load_dwordx4 v[2:5], v[2:3], off
	s_nop 0
	global_load_dwordx4 v[50:53], v[10:11], off
	v_add_u32_e32 v10, -10, v84
	v_cmp_gt_u32_e32 vcc, 10, v84
	v_cndmask_b32_e32 v10, v10, v84, vcc
	v_lshl_add_u32 v54, v10, 5, v12
	ds_read_b128 v[30:33], v54
	ds_read_b128 v[22:25], v54 offset:2048
	ds_read_b128 v[10:13], v54 offset:4096
	;; [unrolled: 1-line block ×3, first 2 shown]
	s_and_saveexec_b64 s[8:9], vcc
	s_cbranch_execz .LBB161_15
; %bb.14:
	s_load_dwordx2 s[12:13], s[4:5], 0x40
	v_add_u32_e32 v82, s27, v84
	v_ashrrev_i32_e32 v83, 31, v82
	v_lshlrev_b64 v[82:83], 2, v[82:83]
	s_waitcnt lgkmcnt(0)
	v_mov_b32_e32 v87, s13
	v_add_co_u32_e32 v82, vcc, s12, v82
	v_addc_co_u32_e32 v83, vcc, v87, v83, vcc
	global_load_dword v87, v[82:83], off
.LBB161_15:
	s_or_b64 exec, exec, s[8:9]
	s_waitcnt vmcnt(17) lgkmcnt(3)
	v_mfma_f32_16x16x16f16 v[88:91], v[38:39], v[30:31], 0
	s_ashr_i32 s0, s16, 31
	s_lshr_b32 s0, s0, 27
	s_add_u32 s2, s10, s2
	s_addc_u32 s3, s11, s3
	s_mov_b32 s40, 0xff7fffff
	v_mfma_f32_16x16x16f16 v[38:41], v[40:41], v[32:33], v[88:91]
	s_waitcnt vmcnt(16) lgkmcnt(2)
	v_mfma_f32_16x16x16f16 v[38:41], v[34:35], v[22:23], v[38:41]
	s_nop 4
	v_lshl_or_b32 v88, v85, 4, v84
	v_mfma_f32_16x16x16f16 v[34:37], v[36:37], v[24:25], v[38:41]
	s_waitcnt vmcnt(15) lgkmcnt(1)
	v_mfma_f32_16x16x16f16 v[34:37], v[46:47], v[10:11], v[34:37]
	v_and_or_b32 v46, v0, 48, s16
	s_nop 3
	v_add_u32_e32 v38, s0, v46
	v_ashrrev_i32_e32 v38, 5, v38
	v_mov_b32_e32 v47, s19
	v_cmp_gt_i32_e32 vcc, s33, v46
	v_cndmask_b32_e32 v38, v47, v38, vcc
	v_ashrrev_i32_e32 v39, 31, v38
	v_mfma_f32_16x16x16f16 v[34:37], v[48:49], v[12:13], v[34:37]
	v_or_b32_e32 v40, 64, v46
	v_add_u32_e32 v41, s0, v40
	v_ashrrev_i32_e32 v41, 5, v41
	v_mov_b32_e32 v48, s18
	s_waitcnt vmcnt(14) lgkmcnt(0)
	v_mfma_f32_16x16x16f16 v[34:37], v[58:59], v[54:55], v[34:37]
	v_mfma_f32_16x16x16f16 v[58:61], v[60:61], v[56:57], v[34:37]
	s_waitcnt vmcnt(13)
	v_mfma_f32_16x16x16f16 v[34:37], v[74:75], v[30:31], 0
	v_mfma_f32_16x16x16f16 v[34:37], v[76:77], v[32:33], v[34:37]
	v_lshlrev_b32_e32 v76, 6, v88
	s_waitcnt vmcnt(12)
	v_mfma_f32_16x16x16f16 v[34:37], v[70:71], v[22:23], v[34:37]
	v_mfma_f32_16x16x16f16 v[34:37], v[72:73], v[24:25], v[34:37]
	s_waitcnt vmcnt(11)
	v_mfma_f32_16x16x16f16 v[34:37], v[78:79], v[10:11], v[34:37]
	v_mfma_f32_16x16x16f16 v[34:37], v[80:81], v[12:13], v[34:37]
	;; [unrolled: 3-line block ×3, first 2 shown]
	s_nop 7
	s_nop 1
	v_lshlrev_b64 v[34:35], 2, v[38:39]
	v_mov_b32_e32 v36, s18
	v_add_co_u32_e32 v38, vcc, s17, v34
	v_addc_co_u32_e32 v39, vcc, v36, v35, vcc
	v_cmp_gt_i32_e32 vcc, s33, v40
	v_cndmask_b32_e32 v40, v47, v41, vcc
	v_ashrrev_i32_e32 v41, 31, v40
	v_lshlrev_b64 v[40:41], 2, v[40:41]
	v_add_co_u32_e32 v40, vcc, s17, v40
	v_addc_co_u32_e32 v41, vcc, v48, v41, vcc
	global_load_dword v48, v[38:39], off
	s_nop 0
	global_load_dword v40, v[40:41], off
	v_or_b32_e32 v38, 0x80, v46
	v_add_u32_e32 v39, s0, v38
	v_ashrrev_i32_e32 v39, 5, v39
	v_cmp_gt_i32_e32 vcc, s33, v38
	v_cndmask_b32_e32 v38, v47, v39, vcc
	v_ashrrev_i32_e32 v39, 31, v38
	v_lshlrev_b64 v[38:39], 2, v[38:39]
	v_mov_b32_e32 v41, s18
	v_add_co_u32_e32 v38, vcc, s17, v38
	v_addc_co_u32_e32 v39, vcc, v41, v39, vcc
	s_waitcnt vmcnt(9)
	v_mfma_f32_16x16x16f16 v[34:37], v[62:63], v[30:31], 0
	global_load_dword v62, v[38:39], off
	v_or_b32_e32 v38, 0xc0, v46
	v_add_u32_e32 v39, s0, v38
	v_ashrrev_i32_e32 v39, 5, v39
	v_cmp_gt_i32_e32 vcc, s33, v38
	v_cndmask_b32_e32 v38, v47, v39, vcc
	v_ashrrev_i32_e32 v39, 31, v38
	v_mfma_f32_16x16x16f16 v[34:37], v[64:65], v[32:33], v[34:37]
	s_load_dword s0, s[4:5], 0x1c
	s_waitcnt lgkmcnt(0)
	v_pk_mul_f32 v[58:59], s[0:1], v[58:59] op_sel_hi:[0,1]
	s_waitcnt vmcnt(9)
	v_mfma_f32_16x16x16f16 v[34:37], v[42:43], v[22:23], v[34:37]
	v_mfma_f32_16x16x16f16 v[34:37], v[44:45], v[24:25], v[34:37]
	s_waitcnt vmcnt(8)
	v_mfma_f32_16x16x16f16 v[34:37], v[26:27], v[10:11], v[34:37]
	v_lshlrev_b64 v[26:27], 2, v[38:39]
	v_mov_b32_e32 v39, s18
	v_add_co_u32_e32 v38, vcc, s17, v26
	v_addc_co_u32_e32 v39, vcc, v39, v27, vcc
	global_load_dword v63, v[38:39], off
	v_mfma_f32_16x16x16f16 v[26:29], v[28:29], v[12:13], v[34:37]
	s_waitcnt vmcnt(8)
	v_mfma_f32_16x16x16f16 v[26:29], v[18:19], v[54:55], v[26:29]
	s_nop 4
	v_and_b32_e32 v34, 16, v0
	v_lshlrev_b32_e32 v34, 1, v34
	v_mov_b32_e32 v18, s3
	v_add_co_u32_e32 v74, vcc, s2, v34
	v_addc_co_u32_e32 v75, vcc, 0, v18, vcc
	v_mfma_f32_16x16x16f16 v[90:93], v[20:21], v[56:57], v[26:29]
	v_add_co_u32_e32 v77, vcc, v74, v76
	v_addc_co_u32_e32 v78, vcc, 0, v75, vcc
	s_waitcnt vmcnt(3)
	v_mad_i64_i32 v[18:19], s[2:3], v48, s1, 0
	v_lshlrev_b64 v[70:71], 1, v[18:19]
	v_mfma_f32_16x16x16f16 v[18:21], v[14:15], v[30:31], 0
	v_add_co_u32_e32 v14, vcc, v77, v70
	v_addc_co_u32_e32 v15, vcc, v78, v71, vcc
	global_load_dwordx4 v[46:49], v[14:15], off
	global_load_dwordx4 v[42:45], v[14:15], off offset:16
	s_waitcnt vmcnt(4)
	v_mad_i64_i32 v[14:15], s[2:3], v40, s1, 0
	v_lshlrev_b64 v[72:73], 1, v[14:15]
	v_mfma_f32_16x16x16f16 v[14:17], v[16:17], v[32:33], v[18:21]
	v_mfma_f32_16x16x16f16 v[14:17], v[6:7], v[22:23], v[14:17]
	s_nop 5
	v_add_co_u32_e32 v18, vcc, v77, v72
	v_addc_co_u32_e32 v19, vcc, v78, v73, vcc
	global_load_dwordx4 v[38:41], v[18:19], off
	global_load_dwordx4 v[34:37], v[18:19], off offset:16
	s_waitcnt vmcnt(5)
	v_mad_i64_i32 v[18:19], s[2:3], v62, s1, 0
	v_lshlrev_b64 v[64:65], 1, v[18:19]
	v_add_co_u32_e32 v6, vcc, v77, v64
	v_addc_co_u32_e32 v7, vcc, v78, v65, vcc
	global_load_dwordx4 v[30:33], v[6:7], off
	global_load_dwordx4 v[26:29], v[6:7], off offset:16
	v_mfma_f32_16x16x16f16 v[6:9], v[8:9], v[24:25], v[14:17]
	v_mfma_f32_16x16x16f16 v[6:9], v[2:3], v[10:11], v[6:9]
	v_or_b32_e32 v2, 0x1000, v76
	s_waitcnt vmcnt(6)
	s_nop 3
	v_mad_i64_i32 v[14:15], s[2:3], v63, s1, 0
	v_mfma_f32_16x16x16f16 v[10:13], v[4:5], v[12:13], v[6:9]
	v_lshlrev_b64 v[62:63], 1, v[14:15]
	v_add_co_u32_e32 v14, vcc, v77, v62
	v_addc_co_u32_e32 v15, vcc, v78, v63, vcc
	v_add_co_u32_e32 v89, vcc, v74, v2
	v_mfma_f32_16x16x16f16 v[80:83], v[50:51], v[54:55], v[10:13]
	v_addc_co_u32_e32 v86, vcc, 0, v75, vcc
	v_pk_mul_f32 v[74:75], s[0:1], v[68:69] op_sel_hi:[0,1]
	v_pk_mul_f32 v[76:77], s[0:1], v[66:67] op_sel_hi:[0,1]
	;; [unrolled: 1-line block ×3, first 2 shown]
	v_add_co_u32_e32 v2, vcc, v89, v70
	v_mfma_f32_16x16x16f16 v[50:53], v[52:53], v[56:57], v[80:83]
	v_addc_co_u32_e32 v3, vcc, v86, v71, vcc
	v_add_co_u32_e32 v70, vcc, v89, v72
	v_addc_co_u32_e32 v71, vcc, v86, v73, vcc
	global_load_dwordx4 v[22:25], v[14:15], off
	global_load_dwordx4 v[18:21], v[14:15], off offset:16
	s_nop 5
	v_pk_mul_f32 v[68:69], s[0:1], v[50:51] op_sel_hi:[0,1]
	v_and_b32_e32 v50, 0xc0, v0
	v_add_u32_e32 v50, s16, v50
	v_lshl_or_b32 v50, v1, 2, v50
	v_or_b32_e32 v51, 1, v50
	v_pk_mul_f32 v[66:67], s[0:1], v[52:53] op_sel_hi:[0,1]
	v_subrev_u32_e32 v52, s33, v51
	v_add_u32_e32 v54, 1, v52
	v_add_u32_e32 v55, 2, v52
	v_cvt_f32_i32_e32 v53, v52
	v_cvt_f32_i32_e32 v54, v54
	;; [unrolled: 1-line block ×3, first 2 shown]
	v_add_u32_e32 v56, 3, v52
	v_fma_f32 v58, v87, v53, v58
	v_fmac_f32_e32 v59, v87, v54
	v_fma_f32 v78, v87, v55, v78
	v_add_u32_e32 v53, 16, v52
	v_add_u32_e32 v54, 17, v52
	v_add_u32_e32 v55, 18, v52
	v_cvt_f32_i32_e32 v56, v56
	v_cvt_f32_i32_e32 v53, v53
	v_cvt_f32_i32_e32 v54, v54
	v_cvt_f32_i32_e32 v55, v55
	v_fmac_f32_e32 v79, v87, v56
	v_add_u32_e32 v56, 19, v52
	v_fma_f32 v76, v87, v53, v76
	v_fmac_f32_e32 v77, v87, v54
	v_fma_f32 v74, v87, v55, v74
	v_add_u32_e32 v53, 32, v52
	v_add_u32_e32 v54, 33, v52
	;; [unrolled: 1-line block ×3, first 2 shown]
	v_cvt_f32_i32_e32 v56, v56
	v_cvt_f32_i32_e32 v53, v53
	;; [unrolled: 1-line block ×4, first 2 shown]
	global_load_dwordx4 v[6:9], v[2:3], off
	s_nop 0
	global_load_dwordx4 v[2:5], v[2:3], off offset:16
	s_nop 0
	global_load_dwordx4 v[14:17], v[70:71], off
	global_load_dwordx4 v[10:13], v[70:71], off offset:16
	v_pk_mul_f32 v[70:71], s[0:1], v[92:93] op_sel_hi:[0,1]
	v_pk_mul_f32 v[72:73], s[0:1], v[90:91] op_sel_hi:[0,1]
	v_fmac_f32_e32 v75, v87, v56
	v_add_u32_e32 v56, 35, v52
	v_fma_f32 v72, v87, v53, v72
	v_fmac_f32_e32 v73, v87, v54
	v_fma_f32 v70, v87, v55, v70
	v_add_u32_e32 v53, 48, v52
	v_add_u32_e32 v54, 49, v52
	;; [unrolled: 1-line block ×4, first 2 shown]
	v_cvt_f32_i32_e32 v52, v52
	v_cvt_f32_i32_e32 v53, v53
	;; [unrolled: 1-line block ×3, first 2 shown]
	v_cmp_gt_i32_e64 s[28:29], s33, v50
	v_fmac_f32_e32 v67, v87, v52
	v_mov_b32_e32 v52, 0xff7fffff
	v_cmp_gt_i32_e64 s[30:31], s33, v51
	v_fma_f32 v68, v87, v53, v68
	v_cndmask_b32_e64 v53, v52, v58, s[28:29]
	v_cndmask_b32_e64 v51, v52, v59, s[30:31]
	v_fmac_f32_e32 v69, v87, v54
	v_max3_f32 v51, v53, s40, v51
	v_or_b32_e32 v53, 2, v50
	v_or_b32_e32 v54, 3, v50
	v_cmp_gt_i32_e64 s[34:35], s33, v53
	v_cmp_gt_i32_e64 s[36:37], s33, v54
	v_cndmask_b32_e64 v53, v52, v78, s[34:35]
	v_cndmask_b32_e64 v54, v52, v79, s[36:37]
	v_max3_f32 v51, v51, v53, v54
	v_or_b32_e32 v53, 16, v50
	v_or_b32_e32 v54, 17, v50
	v_cmp_gt_i32_e64 s[22:23], s33, v53
	v_cmp_gt_i32_e64 s[24:25], s33, v54
	v_cndmask_b32_e64 v53, v52, v76, s[22:23]
	v_cndmask_b32_e64 v54, v52, v77, s[24:25]
	;; [unrolled: 7-line block ×3, first 2 shown]
	v_cvt_f32_i32_e32 v56, v56
	v_max3_f32 v51, v51, v53, v54
	v_or_b32_e32 v53, 32, v50
	v_or_b32_e32 v54, 33, v50
	v_cmp_gt_i32_e64 s[14:15], s33, v53
	v_cmp_gt_i32_e64 s[16:17], s33, v54
	v_cndmask_b32_e64 v53, v52, v72, s[14:15]
	v_cndmask_b32_e64 v54, v52, v73, s[16:17]
	v_max3_f32 v51, v51, v53, v54
	v_or_b32_e32 v53, 34, v50
	v_or_b32_e32 v54, 35, v50
	v_fmac_f32_e32 v71, v87, v56
	v_cmp_gt_i32_e64 s[10:11], s33, v53
	v_cmp_gt_i32_e64 s[12:13], s33, v54
	v_cndmask_b32_e64 v53, v52, v70, s[10:11]
	v_cndmask_b32_e64 v54, v52, v71, s[12:13]
	v_cvt_f32_i32_e32 v55, v55
	v_max3_f32 v51, v51, v53, v54
	v_or_b32_e32 v53, 48, v50
	v_or_b32_e32 v54, 49, v50
	v_cmp_gt_i32_e64 s[2:3], s33, v53
	v_cmp_gt_i32_e64 s[8:9], s33, v54
	v_cndmask_b32_e64 v53, v52, v68, s[2:3]
	v_cndmask_b32_e64 v54, v52, v69, s[8:9]
	v_max3_f32 v51, v51, v53, v54
	v_or_b32_e32 v53, 50, v50
	v_or_b32_e32 v50, 51, v50
	v_fma_f32 v66, v87, v55, v66
	v_cmp_gt_i32_e32 vcc, s33, v53
	v_cmp_gt_i32_e64 s[0:1], s33, v50
	v_cndmask_b32_e32 v53, v52, v66, vcc
	v_cndmask_b32_e64 v50, v52, v67, s[0:1]
	v_max3_f32 v60, v51, v53, v50
	v_mbcnt_lo_u32_b32 v50, -1, 0
	v_mbcnt_hi_u32_b32 v61, -1, v50
	v_and_b32_e32 v50, 64, v61
	v_add_u32_e32 v80, 64, v50
	v_xor_b32_e32 v50, 32, v61
	v_cmp_lt_i32_e64 s[38:39], v50, v80
	v_cndmask_b32_e64 v50, v61, v50, s[38:39]
	v_lshlrev_b32_e32 v82, 2, v50
	ds_bpermute_b32 v81, v82, v60
	v_add_co_u32_e64 v50, s[38:39], v89, v64
	v_addc_co_u32_e64 v51, s[38:39], v86, v65, s[38:39]
	s_waitcnt lgkmcnt(0)
	v_max_f32_e32 v64, v81, v81
	v_max_f32_e32 v64, v60, v64
	v_xor_b32_e32 v60, 16, v61
	v_cmp_lt_i32_e64 s[38:39], v60, v80
	v_cndmask_b32_e64 v60, v61, v60, s[38:39]
	v_lshlrev_b32_e32 v83, 2, v60
	ds_bpermute_b32 v65, v83, v64
	v_add_co_u32_e64 v60, s[38:39], v89, v62
	v_addc_co_u32_e64 v61, s[38:39], v86, v63, s[38:39]
	s_waitcnt lgkmcnt(0)
	v_max_f32_e32 v62, v65, v65
	v_max_f32_e32 v87, v64, v62
	v_sub_f32_e32 v58, v58, v87
	v_mul_f32_e32 v58, 0x3fb8aa3b, v58
	v_exp_f32_e32 v80, v58
	v_sub_f32_e32 v58, v59, v87
	v_mul_f32_e32 v58, 0x3fb8aa3b, v58
	global_load_dwordx4 v[54:57], v[50:51], off
	s_nop 0
	global_load_dwordx4 v[50:53], v[50:51], off offset:16
	v_exp_f32_e32 v81, v58
	global_load_dwordx4 v[62:65], v[60:61], off
	s_nop 0
	global_load_dwordx4 v[58:61], v[60:61], off offset:16
	v_sub_f32_e32 v78, v78, v87
	v_mul_f32_e32 v78, 0x3fb8aa3b, v78
	v_sub_f32_e32 v79, v79, v87
	v_exp_f32_e32 v78, v78
	v_mul_f32_e32 v79, 0x3fb8aa3b, v79
	v_sub_f32_e32 v76, v76, v87
	v_exp_f32_e32 v79, v79
	v_mul_f32_e32 v76, 0x3fb8aa3b, v76
	v_sub_f32_e32 v77, v77, v87
	v_cndmask_b32_e64 v80, 0, v80, s[28:29]
	v_exp_f32_e32 v76, v76
	v_mul_f32_e32 v77, 0x3fb8aa3b, v77
	v_sub_f32_e32 v74, v74, v87
	v_add_f32_e32 v86, 0, v80
	v_cndmask_b32_e64 v81, 0, v81, s[30:31]
	v_exp_f32_e32 v77, v77
	v_mul_f32_e32 v74, 0x3fb8aa3b, v74
	v_sub_f32_e32 v75, v75, v87
	v_add_f32_e32 v86, v86, v81
	;; [unrolled: 5-line block ×10, first 2 shown]
	v_cndmask_b32_e64 v70, 0, v70, s[10:11]
	v_exp_f32_e32 v66, v66
	v_mul_f32_e32 v67, 0x3fb8aa3b, v67
	v_add_f32_e32 v86, v86, v70
	v_cndmask_b32_e64 v71, 0, v71, s[12:13]
	v_exp_f32_e32 v67, v67
	v_add_f32_e32 v86, v86, v71
	v_cndmask_b32_e64 v68, 0, v68, s[2:3]
	v_add_f32_e32 v86, v86, v68
	v_cndmask_b32_e64 v69, 0, v69, s[8:9]
	v_add_f32_e32 v86, v86, v69
	v_cndmask_b32_e32 v66, 0, v66, vcc
	v_add_f32_e32 v86, v86, v66
	v_cndmask_b32_e64 v67, 0, v67, s[0:1]
	v_add_f32_e32 v86, v86, v67
	ds_bpermute_b32 v82, v82, v86
	s_load_dword s3, s[4:5], 0x98
	v_cmp_gt_u32_e32 vcc, 16, v94
	s_waitcnt lgkmcnt(0)
	s_barrier
	v_add_f32_e32 v89, v86, v82
	ds_bpermute_b32 v90, v83, v89
	s_waitcnt lgkmcnt(0)
	s_and_saveexec_b64 s[0:1], vcc
	s_cbranch_execz .LBB161_17
; %bb.16:
	v_add_f32_e32 v82, v89, v90
	v_lshlrev_b32_e32 v83, 2, v88
	ds_write2st64_b32 v83, v87, v82 offset1:1
.LBB161_17:
	s_or_b64 exec, exec, s[0:1]
	v_lshlrev_b32_e32 v87, 2, v84
	s_load_dword s2, s[4:5], 0x94
	s_waitcnt lgkmcnt(0)
	s_barrier
	ds_read2_b32 v[82:83], v87 offset1:16
	ds_read2_b32 v[88:89], v87 offset0:32 offset1:48
	ds_read2_b32 v[90:91], v87 offset0:64 offset1:80
	s_mul_i32 s3, s3, 10
	s_waitcnt lgkmcnt(2)
	v_max3_f32 v86, v82, s40, v83
	s_waitcnt lgkmcnt(1)
	v_max3_f32 v86, v86, v88, v89
	v_sub_f32_e32 v82, v82, v86
	v_mul_f32_e32 v82, 0x3fb8aa3b, v82
	v_exp_f32_e32 v92, v82
	v_sub_f32_e32 v82, v83, v86
	v_mul_f32_e32 v82, 0x3fb8aa3b, v82
	v_exp_f32_e32 v93, v82
	;; [unrolled: 3-line block ×3, first 2 shown]
	ds_read2_b32 v[82:83], v87 offset0:96 offset1:112
	v_sub_f32_e32 v87, v89, v86
	v_mul_f32_e32 v87, 0x3fb8aa3b, v87
	v_exp_f32_e32 v89, v87
	s_waitcnt lgkmcnt(1)
	v_fma_f32 v87, v92, v90, 0
	v_fmac_f32_e32 v87, v93, v91
	s_waitcnt lgkmcnt(0)
	v_fmac_f32_e32 v87, v88, v82
	v_fmac_f32_e32 v87, v89, v83
	v_add_f32_e32 v82, 0x358637bd, v87
	v_div_scale_f32 v83, s[0:1], v82, v82, 1.0
	v_rcp_f32_e32 v90, v83
	s_barrier
	v_fma_f32 v91, -v83, v90, 1.0
	v_fmac_f32_e32 v90, v91, v90
	v_div_scale_f32 v91, vcc, 1.0, v82, 1.0
	v_mul_f32_e32 v94, v91, v90
	v_fma_f32 v95, -v83, v94, v91
	v_fmac_f32_e32 v94, v95, v90
	v_fma_f32 v83, -v83, v94, v91
	v_div_fmas_f32 v83, v83, v90, v94
	v_cmp_eq_u32_e32 vcc, 1, v85
	v_div_fixup_f32 v82, v83, v82, 1.0
	v_cndmask_b32_e32 v83, v92, v93, vcc
	v_cmp_eq_u32_e32 vcc, 2, v85
	v_cndmask_b32_e32 v83, v83, v88, vcc
	v_cmp_eq_u32_e32 vcc, 3, v85
	v_cndmask_b32_e32 v83, v83, v89, vcc
	v_mul_f32_e32 v82, v83, v82
	v_pk_mul_f32 v[78:79], v[82:83], v[78:79] op_sel_hi:[0,1]
	v_pk_mul_f32 v[80:81], v[82:83], v[80:81] op_sel_hi:[0,1]
	v_cvt_f16_f32_e32 v80, v80
	v_cvt_f16_f32_e32 v81, v81
	;; [unrolled: 1-line block ×4, first 2 shown]
	v_pk_mul_f32 v[74:75], v[82:83], v[74:75] op_sel_hi:[0,1]
	v_pk_mul_f32 v[76:77], v[82:83], v[76:77] op_sel_hi:[0,1]
	v_cvt_f16_f32_e32 v76, v76
	v_cvt_f16_f32_e32 v77, v77
	;; [unrolled: 1-line block ×4, first 2 shown]
	v_pack_b32_f16 v80, v80, v81
	v_pack_b32_f16 v81, v78, v79
	v_lshlrev_b32_e32 v79, 3, v1
	v_lshlrev_b32_e32 v78, 5, v84
	;; [unrolled: 1-line block ×3, first 2 shown]
	v_or3_b32 v74, v74, v78, v79
	v_pack_b32_f16 v76, v76, v77
	v_pack_b32_f16 v77, v83, v75
	v_pk_mul_f32 v[70:71], v[82:83], v[70:71] op_sel_hi:[0,1]
	v_pk_mul_f32 v[72:73], v[82:83], v[72:73] op_sel_hi:[0,1]
	;; [unrolled: 1-line block ×4, first 2 shown]
	ds_write2st64_b64 v74, v[80:81], v[76:77] offset1:1
	v_cvt_f16_f32_e32 v72, v72
	v_cvt_f16_f32_e32 v73, v73
	;; [unrolled: 1-line block ×8, first 2 shown]
	v_pack_b32_f16 v66, v72, v73
	v_pack_b32_f16 v67, v70, v71
	;; [unrolled: 1-line block ×4, first 2 shown]
	v_cmp_gt_u32_e32 vcc, 10, v0
	ds_write2st64_b64 v74, v[66:67], v[68:69] offset0:2 offset1:3
	s_and_saveexec_b64 s[0:1], vcc
	s_cbranch_execz .LBB161_19
; %bb.18:
	v_add_co_u32_e32 v68, vcc, s27, v84
	v_addc_co_u32_e64 v69, s[12:13], 0, 0, vcc
	v_mov_b32_e32 v66, s3
	v_mov_b32_e32 v67, 0
	v_mad_u64_u32 v[68:69], s[12:13], s6, v66, v[68:69]
	v_mov_b32_e32 v66, s26
	s_load_dwordx4 s[8:11], s[4:5], 0x58
	s_mul_i32 s7, s7, s3
	v_mad_u64_u32 v[66:67], s[12:13], v68, s2, v[66:67]
	v_add_u32_e32 v69, s7, v69
	v_mov_b32_e32 v68, v67
	v_mad_u64_u32 v[68:69], s[12:13], v69, s2, v[68:69]
	v_mov_b32_e32 v67, v68
	v_lshlrev_b64 v[66:67], 2, v[66:67]
	s_waitcnt lgkmcnt(0)
	v_mov_b32_e32 v69, s11
	v_add_co_u32_e32 v68, vcc, s10, v66
	v_addc_co_u32_e32 v69, vcc, v69, v67, vcc
	global_store_dword v[68:69], v86, off
	v_mov_b32_e32 v68, s9
	v_add_co_u32_e32 v66, vcc, s8, v66
	v_addc_co_u32_e32 v67, vcc, v68, v67, vcc
	global_store_dword v[66:67], v87, off
.LBB161_19:
	s_or_b64 exec, exec, s[0:1]
	v_lshl_or_b32 v75, v1, 9, v78
	s_waitcnt lgkmcnt(0)
	s_barrier
	ds_read_b128 v[70:73], v75
	ds_read_b128 v[66:69], v75 offset:16
	s_waitcnt vmcnt(15) lgkmcnt(1)
	v_mfma_f32_16x16x16f16 v[76:79], v[46:47], v[70:71], 0
	s_mov_b32 s1, 0
	v_cmp_gt_u32_e32 vcc, 64, v0
	v_mfma_f32_16x16x16f16 v[46:49], v[48:49], v[72:73], v[76:79]
	s_waitcnt vmcnt(14) lgkmcnt(0)
	v_mfma_f32_16x16x16f16 v[46:49], v[42:43], v[66:67], v[46:49]
	v_mfma_f32_16x16x16f16 v[42:45], v[44:45], v[68:69], v[46:49]
	s_nop 7
	s_nop 1
	ds_read_b128 v[46:49], v75 offset:2048
	ds_read_b128 v[76:79], v75 offset:2064
	s_waitcnt vmcnt(13) lgkmcnt(1)
	v_mfma_f32_16x16x16f16 v[42:45], v[38:39], v[46:47], v[42:45]
	v_mfma_f32_16x16x16f16 v[38:41], v[40:41], v[48:49], v[42:45]
	s_waitcnt vmcnt(12) lgkmcnt(0)
	v_mfma_f32_16x16x16f16 v[38:41], v[34:35], v[76:77], v[38:41]
	v_mfma_f32_16x16x16f16 v[34:37], v[36:37], v[78:79], v[38:41]
	s_nop 7
	s_nop 1
	ds_read_b128 v[38:41], v75 offset:4096
	ds_read_b128 v[42:45], v75 offset:4112
	s_waitcnt vmcnt(11) lgkmcnt(1)
	v_mfma_f32_16x16x16f16 v[34:37], v[30:31], v[38:39], v[34:37]
	v_mfma_f32_16x16x16f16 v[30:33], v[32:33], v[40:41], v[34:37]
	s_waitcnt vmcnt(10) lgkmcnt(0)
	v_mfma_f32_16x16x16f16 v[30:33], v[26:27], v[42:43], v[30:33]
	v_mfma_f32_16x16x16f16 v[26:29], v[28:29], v[44:45], v[30:33]
	s_nop 7
	s_nop 1
	ds_read_b128 v[30:33], v75 offset:6144
	ds_read_b128 v[34:37], v75 offset:6160
	s_waitcnt lgkmcnt(0)
	s_barrier
	s_waitcnt vmcnt(9)
	v_mfma_f32_16x16x16f16 v[26:29], v[22:23], v[30:31], v[26:29]
	v_mfma_f32_16x16x16f16 v[22:25], v[24:25], v[32:33], v[26:29]
	s_waitcnt vmcnt(8)
	v_mfma_f32_16x16x16f16 v[22:25], v[18:19], v[34:35], v[22:25]
	v_mfma_f32_16x16x16f16 v[18:21], v[20:21], v[36:37], v[22:25]
	;; [unrolled: 3-line block ×4, first 2 shown]
	s_waitcnt vmcnt(5)
	v_mfma_f32_16x16x16f16 v[2:5], v[14:15], v[46:47], v[2:5]
	s_nop 7
	v_cvt_f16_f32_e32 v6, v18
	v_cvt_f16_f32_e32 v7, v19
	;; [unrolled: 1-line block ×4, first 2 shown]
	v_mfma_f32_16x16x16f16 v[2:5], v[16:17], v[48:49], v[2:5]
	s_waitcnt vmcnt(4)
	v_mfma_f32_16x16x16f16 v[2:5], v[10:11], v[76:77], v[2:5]
	v_mfma_f32_16x16x16f16 v[2:5], v[12:13], v[78:79], v[2:5]
	s_waitcnt vmcnt(3)
	v_mfma_f32_16x16x16f16 v[2:5], v[54:55], v[38:39], v[2:5]
	;; [unrolled: 3-line block ×5, first 2 shown]
	v_mfma_f32_16x16x16f16 v[2:5], v[60:61], v[36:37], v[2:5]
	s_nop 7
	s_nop 2
	v_cvt_f16_f32_e32 v10, v2
	v_cvt_f16_f32_e32 v11, v3
	;; [unrolled: 1-line block ×4, first 2 shown]
	v_pack_b32_f16 v2, v6, v7
	v_pack_b32_f16 v3, v8, v9
	;; [unrolled: 1-line block ×4, first 2 shown]
	ds_write2st64_b64 v74, v[2:3], v[4:5] offset1:1
	s_waitcnt lgkmcnt(0)
	s_barrier
	s_and_saveexec_b64 s[8:9], vcc
	s_cbranch_execz .LBB161_22
; %bb.20:
	buffer_load_dword v6, off, s[44:47], 0  ; 4-byte Folded Reload
	buffer_load_dword v7, off, s[44:47], 0 offset:4 ; 4-byte Folded Reload
	s_load_dwordx2 s[4:5], s[4:5], 0x68
	s_lshl_b32 s2, s2, 7
	s_mul_i32 s0, s3, s6
	s_mul_hi_u32 s7, s0, s2
	s_mul_i32 s6, s0, s2
	s_lshl_b64 s[6:7], s[6:7], 1
	s_waitcnt lgkmcnt(0)
	s_add_u32 s3, s4, s6
	s_addc_u32 s4, s5, s7
	s_lshl_b32 s0, s26, 7
	v_lshlrev_b32_e32 v4, 6, v84
	s_lshl_b64 s[0:1], s[0:1], 1
	v_lshlrev_b32_e32 v3, 4, v0
	v_lshl_or_b32 v0, v0, 10, v4
	s_add_u32 s0, s3, s0
	v_lshlrev_b32_e32 v2, 5, v1
	v_and_b32_e32 v3, 16, v3
	v_and_b32_e32 v0, 0x1a00, v0
	s_addc_u32 s1, s4, s1
	v_or3_b32 v0, v0, v2, v3
	v_mov_b32_e32 v4, s1
	v_or_b32_e32 v2, 8, v1
	v_add_u32_e32 v1, s27, v1
	s_waitcnt vmcnt(1)
	v_add_co_u32_e32 v3, vcc, s0, v6
	s_waitcnt vmcnt(0)
	v_addc_co_u32_e32 v4, vcc, v4, v7, vcc
	ds_read_b128 v[6:9], v0 offset:128
	ds_read_b128 v[10:13], v0
	v_mad_u64_u32 v[14:15], s[0:1], v1, s2, 0
	v_lshlrev_b64 v[14:15], 1, v[14:15]
	v_add_co_u32_e32 v14, vcc, v3, v14
	v_addc_co_u32_e32 v15, vcc, v4, v15, vcc
	v_add_u32_e32 v1, 4, v1
	s_waitcnt lgkmcnt(0)
	global_store_dwordx4 v[14:15], v[10:13], off
	s_nop 0
	v_mad_u64_u32 v[10:11], s[0:1], v1, s2, 0
	v_lshlrev_b64 v[10:11], 1, v[10:11]
	v_add_co_u32_e32 v10, vcc, v3, v10
	v_addc_co_u32_e32 v11, vcc, v4, v11, vcc
	v_cmp_gt_u32_e32 vcc, 10, v2
	global_store_dwordx4 v[10:11], v[6:9], off
	s_and_b64 exec, exec, vcc
	s_cbranch_execz .LBB161_22
; %bb.21:
	ds_read_b128 v[6:9], v0 offset:256
	v_add_u32_e32 v0, s27, v2
	v_mad_u64_u32 v[0:1], s[0:1], v0, s2, 0
	v_lshlrev_b64 v[0:1], 1, v[0:1]
	v_add_co_u32_e32 v0, vcc, v3, v0
	v_addc_co_u32_e32 v1, vcc, v4, v1, vcc
	s_waitcnt lgkmcnt(0)
	global_store_dwordx4 v[0:1], v[6:9], off
.LBB161_22:
	s_endpgm
	.section	.rodata,"a",@progbits
	.p2align	6, 0x0
	.amdhsa_kernel _Z39paged_attention_ll4mi_QKV_mfma16_kernelIDF16_DF16_LN4vllm18Fp8KVCacheDataTypeE0EDF16_Li32ELi128ELi256ELb1ELi10EL8MFMAType0EEvPKT_PKT0_S8_ifPKiSA_SA_iPKfiiiPfSD_PS3_PT2_iSC_SC_
		.amdhsa_group_segment_fixed_size 8192
		.amdhsa_private_segment_fixed_size 12
		.amdhsa_kernarg_size 400
		.amdhsa_user_sgpr_count 6
		.amdhsa_user_sgpr_private_segment_buffer 1
		.amdhsa_user_sgpr_dispatch_ptr 0
		.amdhsa_user_sgpr_queue_ptr 0
		.amdhsa_user_sgpr_kernarg_segment_ptr 1
		.amdhsa_user_sgpr_dispatch_id 0
		.amdhsa_user_sgpr_flat_scratch_init 0
		.amdhsa_user_sgpr_kernarg_preload_length 0
		.amdhsa_user_sgpr_kernarg_preload_offset 0
		.amdhsa_user_sgpr_private_segment_size 0
		.amdhsa_uses_dynamic_stack 0
		.amdhsa_system_sgpr_private_segment_wavefront_offset 1
		.amdhsa_system_sgpr_workgroup_id_x 1
		.amdhsa_system_sgpr_workgroup_id_y 1
		.amdhsa_system_sgpr_workgroup_id_z 1
		.amdhsa_system_sgpr_workgroup_info 0
		.amdhsa_system_vgpr_workitem_id 0
		.amdhsa_next_free_vgpr 96
		.amdhsa_next_free_sgpr 48
		.amdhsa_accum_offset 96
		.amdhsa_reserve_vcc 1
		.amdhsa_reserve_flat_scratch 0
		.amdhsa_float_round_mode_32 0
		.amdhsa_float_round_mode_16_64 0
		.amdhsa_float_denorm_mode_32 3
		.amdhsa_float_denorm_mode_16_64 3
		.amdhsa_dx10_clamp 1
		.amdhsa_ieee_mode 1
		.amdhsa_fp16_overflow 0
		.amdhsa_tg_split 0
		.amdhsa_exception_fp_ieee_invalid_op 0
		.amdhsa_exception_fp_denorm_src 0
		.amdhsa_exception_fp_ieee_div_zero 0
		.amdhsa_exception_fp_ieee_overflow 0
		.amdhsa_exception_fp_ieee_underflow 0
		.amdhsa_exception_fp_ieee_inexact 0
		.amdhsa_exception_int_div_zero 0
	.end_amdhsa_kernel
	.section	.text._Z39paged_attention_ll4mi_QKV_mfma16_kernelIDF16_DF16_LN4vllm18Fp8KVCacheDataTypeE0EDF16_Li32ELi128ELi256ELb1ELi10EL8MFMAType0EEvPKT_PKT0_S8_ifPKiSA_SA_iPKfiiiPfSD_PS3_PT2_iSC_SC_,"axG",@progbits,_Z39paged_attention_ll4mi_QKV_mfma16_kernelIDF16_DF16_LN4vllm18Fp8KVCacheDataTypeE0EDF16_Li32ELi128ELi256ELb1ELi10EL8MFMAType0EEvPKT_PKT0_S8_ifPKiSA_SA_iPKfiiiPfSD_PS3_PT2_iSC_SC_,comdat
.Lfunc_end161:
	.size	_Z39paged_attention_ll4mi_QKV_mfma16_kernelIDF16_DF16_LN4vllm18Fp8KVCacheDataTypeE0EDF16_Li32ELi128ELi256ELb1ELi10EL8MFMAType0EEvPKT_PKT0_S8_ifPKiSA_SA_iPKfiiiPfSD_PS3_PT2_iSC_SC_, .Lfunc_end161-_Z39paged_attention_ll4mi_QKV_mfma16_kernelIDF16_DF16_LN4vllm18Fp8KVCacheDataTypeE0EDF16_Li32ELi128ELi256ELb1ELi10EL8MFMAType0EEvPKT_PKT0_S8_ifPKiSA_SA_iPKfiiiPfSD_PS3_PT2_iSC_SC_
                                        ; -- End function
	.section	.AMDGPU.csdata,"",@progbits
; Kernel info:
; codeLenInByte = 5120
; NumSgprs: 52
; NumVgprs: 96
; NumAgprs: 0
; TotalNumVgprs: 96
; ScratchSize: 12
; MemoryBound: 0
; FloatMode: 240
; IeeeMode: 1
; LDSByteSize: 8192 bytes/workgroup (compile time only)
; SGPRBlocks: 6
; VGPRBlocks: 11
; NumSGPRsForWavesPerEU: 52
; NumVGPRsForWavesPerEU: 96
; AccumOffset: 96
; Occupancy: 5
; WaveLimiterHint : 1
; COMPUTE_PGM_RSRC2:SCRATCH_EN: 1
; COMPUTE_PGM_RSRC2:USER_SGPR: 6
; COMPUTE_PGM_RSRC2:TRAP_HANDLER: 0
; COMPUTE_PGM_RSRC2:TGID_X_EN: 1
; COMPUTE_PGM_RSRC2:TGID_Y_EN: 1
; COMPUTE_PGM_RSRC2:TGID_Z_EN: 1
; COMPUTE_PGM_RSRC2:TIDIG_COMP_CNT: 0
; COMPUTE_PGM_RSRC3_GFX90A:ACCUM_OFFSET: 23
; COMPUTE_PGM_RSRC3_GFX90A:TG_SPLIT: 0
	.section	.text._Z39paged_attention_ll4mi_QKV_mfma16_kernelIDF16_DF16_LN4vllm18Fp8KVCacheDataTypeE0EDF16_Li32ELi128ELi256ELb1ELi11EL8MFMAType0EEvPKT_PKT0_S8_ifPKiSA_SA_iPKfiiiPfSD_PS3_PT2_iSC_SC_,"axG",@progbits,_Z39paged_attention_ll4mi_QKV_mfma16_kernelIDF16_DF16_LN4vllm18Fp8KVCacheDataTypeE0EDF16_Li32ELi128ELi256ELb1ELi11EL8MFMAType0EEvPKT_PKT0_S8_ifPKiSA_SA_iPKfiiiPfSD_PS3_PT2_iSC_SC_,comdat
	.protected	_Z39paged_attention_ll4mi_QKV_mfma16_kernelIDF16_DF16_LN4vllm18Fp8KVCacheDataTypeE0EDF16_Li32ELi128ELi256ELb1ELi11EL8MFMAType0EEvPKT_PKT0_S8_ifPKiSA_SA_iPKfiiiPfSD_PS3_PT2_iSC_SC_ ; -- Begin function _Z39paged_attention_ll4mi_QKV_mfma16_kernelIDF16_DF16_LN4vllm18Fp8KVCacheDataTypeE0EDF16_Li32ELi128ELi256ELb1ELi11EL8MFMAType0EEvPKT_PKT0_S8_ifPKiSA_SA_iPKfiiiPfSD_PS3_PT2_iSC_SC_
	.globl	_Z39paged_attention_ll4mi_QKV_mfma16_kernelIDF16_DF16_LN4vllm18Fp8KVCacheDataTypeE0EDF16_Li32ELi128ELi256ELb1ELi11EL8MFMAType0EEvPKT_PKT0_S8_ifPKiSA_SA_iPKfiiiPfSD_PS3_PT2_iSC_SC_
	.p2align	8
	.type	_Z39paged_attention_ll4mi_QKV_mfma16_kernelIDF16_DF16_LN4vllm18Fp8KVCacheDataTypeE0EDF16_Li32ELi128ELi256ELb1ELi11EL8MFMAType0EEvPKT_PKT0_S8_ifPKiSA_SA_iPKfiiiPfSD_PS3_PT2_iSC_SC_,@function
_Z39paged_attention_ll4mi_QKV_mfma16_kernelIDF16_DF16_LN4vllm18Fp8KVCacheDataTypeE0EDF16_Li32ELi128ELi256ELb1ELi11EL8MFMAType0EEvPKT_PKT0_S8_ifPKiSA_SA_iPKfiiiPfSD_PS3_PT2_iSC_SC_: ; @_Z39paged_attention_ll4mi_QKV_mfma16_kernelIDF16_DF16_LN4vllm18Fp8KVCacheDataTypeE0EDF16_Li32ELi128ELi256ELb1ELi11EL8MFMAType0EEvPKT_PKT0_S8_ifPKiSA_SA_iPKfiiiPfSD_PS3_PT2_iSC_SC_
; %bb.0:
	s_mov_b64 s[46:47], s[2:3]
	s_mov_b64 s[44:45], s[0:1]
	s_load_dwordx2 s[0:1], s[4:5], 0x30
	s_add_u32 s44, s44, s9
	s_addc_u32 s45, s45, 0
	s_mov_b32 s26, s7
	s_mov_b64 s[10:11], 0
	s_waitcnt lgkmcnt(0)
	s_cmp_lg_u64 s[0:1], 0
	s_cselect_b64 s[2:3], -1, 0
	s_and_b64 vcc, exec, s[2:3]
	s_cbranch_vccz .LBB162_7
; %bb.1:
	s_add_i32 s12, s6, 1
	s_mov_b32 s13, 0
	s_lshl_b64 s[14:15], s[12:13], 2
	s_add_u32 s14, s0, s14
	s_mov_b32 s7, s13
	s_addc_u32 s15, s1, s15
	s_lshl_b64 s[12:13], s[6:7], 2
	s_add_u32 s12, s0, s12
	s_addc_u32 s13, s1, s13
	s_load_dword s9, s[14:15], 0x0
	s_load_dword s16, s[12:13], 0x0
	s_waitcnt lgkmcnt(0)
	s_sub_i32 s9, s9, s16
	s_cmp_eq_u32 s9, 1
	s_cselect_b64 s[12:13], -1, 0
	s_andn2_b64 vcc, exec, s[10:11]
	s_cbranch_vccnz .LBB162_3
.LBB162_2:
	s_mov_b32 s7, 0
	s_mov_b64 s[12:13], -1
.LBB162_3:
	s_andn2_b64 vcc, exec, s[12:13]
	s_cbranch_vccnz .LBB162_22
; %bb.4:
	s_load_dwordx2 s[12:13], s[4:5], 0x28
	s_lshl_b64 s[10:11], s[6:7], 2
	s_waitcnt lgkmcnt(0)
	s_add_u32 s12, s12, s10
	s_addc_u32 s13, s13, s11
	s_load_dword s33, s[12:13], 0x0
	s_lshl_b32 s16, s26, 8
	s_waitcnt lgkmcnt(0)
	s_cmp_ge_i32 s16, s33
	s_cbranch_scc1 .LBB162_22
; %bb.5:
	s_add_i32 s14, s33, 31
	s_load_dwordx2 s[12:13], s[4:5], 0x20
	s_load_dword s9, s[4:5], 0x38
	s_ashr_i32 s15, s14, 31
	v_and_b32_e32 v1, 0xcf, v0
	s_lshr_b32 s15, s15, 27
	v_add_u32_e32 v1, s16, v1
	s_add_i32 s14, s14, s15
	v_ashrrev_i32_e32 v2, 31, v1
	s_ashr_i32 s19, s14, 5
	v_lshrrev_b32_e32 v6, 27, v2
	s_add_i32 s19, s19, -1
	v_add_u32_e32 v2, v1, v6
	s_waitcnt lgkmcnt(0)
	s_mul_i32 s14, s6, s9
	s_mov_b32 s15, 0
	v_ashrrev_i32_e32 v2, 5, v2
	v_mov_b32_e32 v7, s19
	v_cmp_gt_i32_e32 vcc, s33, v1
	s_lshl_b64 s[14:15], s[14:15], 2
	v_cndmask_b32_e32 v2, v7, v2, vcc
	s_add_u32 s17, s12, s14
	v_ashrrev_i32_e32 v3, 31, v2
	s_addc_u32 s18, s13, s15
	v_lshlrev_b64 v[2:3], 2, v[2:3]
	v_mov_b32_e32 v4, s18
	v_add_co_u32_e32 v2, vcc, s17, v2
	v_addc_co_u32_e32 v3, vcc, v4, v3, vcc
	v_or_b32_e32 v4, 16, v1
	v_add_u32_e32 v5, v4, v6
	v_ashrrev_i32_e32 v5, 5, v5
	v_cmp_gt_i32_e32 vcc, s33, v4
	v_cndmask_b32_e32 v4, v7, v5, vcc
	v_ashrrev_i32_e32 v5, 31, v4
	v_lshlrev_b64 v[4:5], 2, v[4:5]
	v_mov_b32_e32 v9, s18
	v_add_co_u32_e32 v8, vcc, s17, v4
	v_or_b32_e32 v4, 32, v1
	v_addc_co_u32_e32 v9, vcc, v9, v5, vcc
	v_add_u32_e32 v5, v4, v6
	v_ashrrev_i32_e32 v5, 5, v5
	v_cmp_gt_i32_e32 vcc, s33, v4
	v_cndmask_b32_e32 v4, v7, v5, vcc
	v_ashrrev_i32_e32 v5, 31, v4
	v_lshlrev_b64 v[4:5], 2, v[4:5]
	v_mov_b32_e32 v11, s18
	v_add_co_u32_e32 v10, vcc, s17, v4
	v_or_b32_e32 v1, 48, v1
	v_addc_co_u32_e32 v11, vcc, v11, v5, vcc
	v_add_u32_e32 v4, v1, v6
	v_ashrrev_i32_e32 v4, 5, v4
	v_cmp_gt_i32_e32 vcc, s33, v1
	v_cndmask_b32_e32 v4, v7, v4, vcc
	v_ashrrev_i32_e32 v5, 31, v4
	v_lshlrev_b64 v[4:5], 2, v[4:5]
	v_mov_b32_e32 v1, s18
	v_add_co_u32_e32 v12, vcc, s17, v4
	v_addc_co_u32_e32 v13, vcc, v1, v5, vcc
	global_load_dword v7, v[2:3], off
	global_load_dword v6, v[8:9], off
	;; [unrolled: 1-line block ×4, first 2 shown]
	s_andn2_b64 vcc, exec, s[2:3]
	s_cbranch_vccnz .LBB162_8
; %bb.6:
	s_add_u32 s0, s0, s10
	s_addc_u32 s1, s1, s11
	s_load_dword s9, s[0:1], 0x0
	s_branch .LBB162_9
.LBB162_7:
	s_mov_b64 s[12:13], 0
	s_branch .LBB162_2
.LBB162_8:
	s_mov_b32 s9, s6
.LBB162_9:
	s_load_dwordx2 s[12:13], s[4:5], 0x8
	s_load_dwordx4 s[0:3], s[4:5], 0x48
	v_lshrrev_b32_e32 v85, 6, v0
	v_bfe_u32 v1, v0, 4, 2
	v_lshl_or_b32 v8, v85, 2, v1
	v_and_b32_e32 v84, 15, v0
	v_lshlrev_b32_e32 v2, 3, v84
	v_cmp_lt_u32_e32 vcc, 10, v8
	s_and_saveexec_b64 s[10:11], vcc
	s_xor_b64 s[10:11], exec, s[10:11]
; %bb.10:
	v_mov_b32_e32 v3, 0
                                        ; implicit-def: $vgpr8
; %bb.11:
	s_or_saveexec_b64 s[14:15], s[10:11]
	s_load_dwordx2 s[10:11], s[4:5], 0x10
	s_mul_i32 s27, s8, 11
	s_xor_b64 exec, exec, s[14:15]
	s_cbranch_execz .LBB162_13
; %bb.12:
	s_load_dwordx2 s[20:21], s[4:5], 0x0
	s_waitcnt lgkmcnt(0)
	s_ashr_i32 s3, s0, 31
	s_mul_hi_u32 s22, s9, s0
	s_mul_i32 s3, s9, s3
	s_add_i32 s23, s22, s3
	s_mul_i32 s22, s9, s0
	s_lshl_b64 s[22:23], s[22:23], 1
	v_add_lshl_u32 v10, v8, s27, 7
	s_add_u32 s0, s20, s22
	v_ashrrev_i32_e32 v11, 31, v10
	s_addc_u32 s3, s21, s23
	v_lshlrev_b64 v[10:11], 1, v[10:11]
	v_mov_b32_e32 v3, s3
	v_add_co_u32_e32 v9, vcc, s0, v10
	v_addc_co_u32_e32 v3, vcc, v3, v11, vcc
	v_lshlrev_b32_e32 v10, 1, v2
	v_add_co_u32_e32 v10, vcc, v9, v10
	v_addc_co_u32_e32 v11, vcc, 0, v3, vcc
	global_load_dwordx4 v[10:13], v[10:11], off
	v_and_b32_e32 v9, 3, v0
	v_lshlrev_b32_e32 v14, 9, v84
	v_lshlrev_b32_e32 v8, 5, v8
	;; [unrolled: 1-line block ×3, first 2 shown]
	v_and_b32_e32 v14, 0x1800, v14
	v_mov_b32_e32 v3, 0
	v_or3_b32 v8, v14, v9, v8
	s_waitcnt vmcnt(0)
	ds_write_b128 v8, v[10:13]
.LBB162_13:
	s_or_b64 exec, exec, s[14:15]
	s_waitcnt lgkmcnt(0)
	s_mul_i32 s2, s8, s2
	s_mov_b32 s3, 0
	s_lshl_b64 s[2:3], s[2:3], 1
	s_add_u32 s0, s12, s2
	s_waitcnt vmcnt(3)
	v_mad_i64_i32 v[8:9], s[8:9], v7, s1, 0
	s_addc_u32 s12, s13, s3
	v_lshlrev_b64 v[8:9], 1, v[8:9]
	v_mov_b32_e32 v7, s12
	v_add_co_u32_e32 v8, vcc, s0, v8
	v_addc_co_u32_e32 v7, vcc, v7, v9, vcc
	v_lshlrev_b64 v[14:15], 1, v[2:3]
	v_add_co_u32_e32 v8, vcc, v8, v14
	v_lshlrev_b32_e32 v12, 9, v1
	v_addc_co_u32_e32 v7, vcc, v7, v15, vcc
	v_add_co_u32_e32 v2, vcc, v8, v12
	v_addc_co_u32_e32 v3, vcc, 0, v7, vcc
	v_or_b32_e32 v10, 0x1000, v12
	s_barrier
	global_load_dwordx4 v[38:41], v[2:3], off
	global_load_dwordx4 v[34:37], v[2:3], off offset:2048
	v_add_co_u32_e32 v2, vcc, v8, v10
	v_addc_co_u32_e32 v3, vcc, 0, v7, vcc
	v_or_b32_e32 v11, 0x1800, v12
	v_add_co_u32_e32 v8, vcc, v8, v11
	v_addc_co_u32_e32 v9, vcc, 0, v7, vcc
	global_load_dwordx4 v[46:49], v[2:3], off
	global_load_dwordx4 v[58:61], v[8:9], off
	s_waitcnt vmcnt(6)
	v_mad_i64_i32 v[2:3], s[8:9], v6, s1, 0
	v_lshlrev_b64 v[2:3], 1, v[2:3]
	v_mov_b32_e32 v6, s12
	v_add_co_u32_e32 v2, vcc, s0, v2
	v_addc_co_u32_e32 v3, vcc, v6, v3, vcc
	v_mov_b32_e32 v6, 0x100
	v_lshl_or_b32 v8, v84, 4, v6
	v_add_co_u32_e32 v6, vcc, v2, v8
	v_addc_co_u32_e32 v7, vcc, 0, v3, vcc
	v_add_co_u32_e32 v2, vcc, v6, v12
	v_addc_co_u32_e32 v3, vcc, 0, v7, vcc
	global_load_dwordx4 v[74:77], v[2:3], off
	global_load_dwordx4 v[70:73], v[2:3], off offset:2048
	v_add_co_u32_e32 v2, vcc, v6, v10
	v_addc_co_u32_e32 v3, vcc, 0, v7, vcc
	v_add_co_u32_e32 v6, vcc, v6, v11
	v_addc_co_u32_e32 v7, vcc, 0, v7, vcc
	global_load_dwordx4 v[78:81], v[2:3], off
	global_load_dwordx4 v[66:69], v[6:7], off
	s_waitcnt vmcnt(9)
	v_mad_i64_i32 v[2:3], s[8:9], v5, s1, 0
	v_lshlrev_b64 v[2:3], 1, v[2:3]
	v_mov_b32_e32 v5, s12
	v_add_co_u32_e32 v2, vcc, s0, v2
	v_addc_co_u32_e32 v3, vcc, v5, v3, vcc
	v_add_co_u32_e32 v5, vcc, v2, v14
	buffer_store_dword v14, off, s[44:47], 0 ; 4-byte Folded Spill
	s_nop 0
	buffer_store_dword v15, off, s[44:47], 0 offset:4 ; 4-byte Folded Spill
	v_and_b32_e32 v94, 63, v0
	v_mov_b32_e32 v87, 0
	v_addc_co_u32_e32 v7, vcc, v3, v15, vcc
	v_add_co_u32_e32 v2, vcc, v5, v12
	v_addc_co_u32_e32 v3, vcc, 0, v7, vcc
	global_load_dwordx4 v[62:65], v[2:3], off
	global_load_dwordx4 v[42:45], v[2:3], off offset:2048
	v_add_co_u32_e32 v2, vcc, v5, v10
	v_addc_co_u32_e32 v3, vcc, 0, v7, vcc
	v_add_co_u32_e32 v6, vcc, v5, v11
	v_addc_co_u32_e32 v7, vcc, 0, v7, vcc
	global_load_dwordx4 v[26:29], v[2:3], off
	global_load_dwordx4 v[18:21], v[6:7], off
	s_waitcnt vmcnt(14)
	v_mad_i64_i32 v[2:3], s[8:9], v4, s1, 0
	v_lshlrev_b64 v[2:3], 1, v[2:3]
	v_mov_b32_e32 v4, s12
	v_add_co_u32_e32 v2, vcc, s0, v2
	v_addc_co_u32_e32 v3, vcc, v4, v3, vcc
	v_add_co_u32_e32 v4, vcc, v2, v8
	v_addc_co_u32_e32 v5, vcc, 0, v3, vcc
	;; [unrolled: 2-line block ×3, first 2 shown]
	global_load_dwordx4 v[14:17], v[2:3], off
	global_load_dwordx4 v[6:9], v[2:3], off offset:2048
	v_add_co_u32_e32 v2, vcc, v4, v10
	v_addc_co_u32_e32 v3, vcc, 0, v5, vcc
	v_add_co_u32_e32 v10, vcc, v4, v11
	v_addc_co_u32_e32 v11, vcc, 0, v5, vcc
	global_load_dwordx4 v[2:5], v[2:3], off
	s_nop 0
	global_load_dwordx4 v[50:53], v[10:11], off
	v_add_u32_e32 v10, -11, v84
	v_cmp_gt_u32_e32 vcc, 11, v84
	v_cndmask_b32_e32 v10, v10, v84, vcc
	v_lshl_add_u32 v54, v10, 5, v12
	ds_read_b128 v[30:33], v54
	ds_read_b128 v[22:25], v54 offset:2048
	ds_read_b128 v[10:13], v54 offset:4096
	;; [unrolled: 1-line block ×3, first 2 shown]
	s_and_saveexec_b64 s[8:9], vcc
	s_cbranch_execz .LBB162_15
; %bb.14:
	s_load_dwordx2 s[12:13], s[4:5], 0x40
	v_add_u32_e32 v82, s27, v84
	v_ashrrev_i32_e32 v83, 31, v82
	v_lshlrev_b64 v[82:83], 2, v[82:83]
	s_waitcnt lgkmcnt(0)
	v_mov_b32_e32 v87, s13
	v_add_co_u32_e32 v82, vcc, s12, v82
	v_addc_co_u32_e32 v83, vcc, v87, v83, vcc
	global_load_dword v87, v[82:83], off
.LBB162_15:
	s_or_b64 exec, exec, s[8:9]
	s_waitcnt vmcnt(17) lgkmcnt(3)
	v_mfma_f32_16x16x16f16 v[88:91], v[38:39], v[30:31], 0
	s_ashr_i32 s0, s16, 31
	s_lshr_b32 s0, s0, 27
	s_add_u32 s2, s10, s2
	s_addc_u32 s3, s11, s3
	s_mov_b32 s40, 0xff7fffff
	v_mfma_f32_16x16x16f16 v[38:41], v[40:41], v[32:33], v[88:91]
	s_waitcnt vmcnt(16) lgkmcnt(2)
	v_mfma_f32_16x16x16f16 v[38:41], v[34:35], v[22:23], v[38:41]
	s_nop 4
	v_lshl_or_b32 v88, v85, 4, v84
	v_mfma_f32_16x16x16f16 v[34:37], v[36:37], v[24:25], v[38:41]
	s_waitcnt vmcnt(15) lgkmcnt(1)
	v_mfma_f32_16x16x16f16 v[34:37], v[46:47], v[10:11], v[34:37]
	v_and_or_b32 v46, v0, 48, s16
	s_nop 3
	v_add_u32_e32 v38, s0, v46
	v_ashrrev_i32_e32 v38, 5, v38
	v_mov_b32_e32 v47, s19
	v_cmp_gt_i32_e32 vcc, s33, v46
	v_cndmask_b32_e32 v38, v47, v38, vcc
	v_ashrrev_i32_e32 v39, 31, v38
	v_mfma_f32_16x16x16f16 v[34:37], v[48:49], v[12:13], v[34:37]
	v_or_b32_e32 v40, 64, v46
	v_add_u32_e32 v41, s0, v40
	v_ashrrev_i32_e32 v41, 5, v41
	v_mov_b32_e32 v48, s18
	s_waitcnt vmcnt(14) lgkmcnt(0)
	v_mfma_f32_16x16x16f16 v[34:37], v[58:59], v[54:55], v[34:37]
	v_mfma_f32_16x16x16f16 v[58:61], v[60:61], v[56:57], v[34:37]
	s_waitcnt vmcnt(13)
	v_mfma_f32_16x16x16f16 v[34:37], v[74:75], v[30:31], 0
	v_mfma_f32_16x16x16f16 v[34:37], v[76:77], v[32:33], v[34:37]
	v_lshlrev_b32_e32 v76, 6, v88
	s_waitcnt vmcnt(12)
	v_mfma_f32_16x16x16f16 v[34:37], v[70:71], v[22:23], v[34:37]
	v_mfma_f32_16x16x16f16 v[34:37], v[72:73], v[24:25], v[34:37]
	s_waitcnt vmcnt(11)
	v_mfma_f32_16x16x16f16 v[34:37], v[78:79], v[10:11], v[34:37]
	v_mfma_f32_16x16x16f16 v[34:37], v[80:81], v[12:13], v[34:37]
	;; [unrolled: 3-line block ×3, first 2 shown]
	s_nop 7
	s_nop 1
	v_lshlrev_b64 v[34:35], 2, v[38:39]
	v_mov_b32_e32 v36, s18
	v_add_co_u32_e32 v38, vcc, s17, v34
	v_addc_co_u32_e32 v39, vcc, v36, v35, vcc
	v_cmp_gt_i32_e32 vcc, s33, v40
	v_cndmask_b32_e32 v40, v47, v41, vcc
	v_ashrrev_i32_e32 v41, 31, v40
	v_lshlrev_b64 v[40:41], 2, v[40:41]
	v_add_co_u32_e32 v40, vcc, s17, v40
	v_addc_co_u32_e32 v41, vcc, v48, v41, vcc
	global_load_dword v48, v[38:39], off
	s_nop 0
	global_load_dword v40, v[40:41], off
	v_or_b32_e32 v38, 0x80, v46
	v_add_u32_e32 v39, s0, v38
	v_ashrrev_i32_e32 v39, 5, v39
	v_cmp_gt_i32_e32 vcc, s33, v38
	v_cndmask_b32_e32 v38, v47, v39, vcc
	v_ashrrev_i32_e32 v39, 31, v38
	v_lshlrev_b64 v[38:39], 2, v[38:39]
	v_mov_b32_e32 v41, s18
	v_add_co_u32_e32 v38, vcc, s17, v38
	v_addc_co_u32_e32 v39, vcc, v41, v39, vcc
	s_waitcnt vmcnt(9)
	v_mfma_f32_16x16x16f16 v[34:37], v[62:63], v[30:31], 0
	global_load_dword v62, v[38:39], off
	v_or_b32_e32 v38, 0xc0, v46
	v_add_u32_e32 v39, s0, v38
	v_ashrrev_i32_e32 v39, 5, v39
	v_cmp_gt_i32_e32 vcc, s33, v38
	v_cndmask_b32_e32 v38, v47, v39, vcc
	v_ashrrev_i32_e32 v39, 31, v38
	v_mfma_f32_16x16x16f16 v[34:37], v[64:65], v[32:33], v[34:37]
	s_load_dword s0, s[4:5], 0x1c
	s_waitcnt lgkmcnt(0)
	v_pk_mul_f32 v[58:59], s[0:1], v[58:59] op_sel_hi:[0,1]
	s_waitcnt vmcnt(9)
	v_mfma_f32_16x16x16f16 v[34:37], v[42:43], v[22:23], v[34:37]
	v_mfma_f32_16x16x16f16 v[34:37], v[44:45], v[24:25], v[34:37]
	s_waitcnt vmcnt(8)
	v_mfma_f32_16x16x16f16 v[34:37], v[26:27], v[10:11], v[34:37]
	v_lshlrev_b64 v[26:27], 2, v[38:39]
	v_mov_b32_e32 v39, s18
	v_add_co_u32_e32 v38, vcc, s17, v26
	v_addc_co_u32_e32 v39, vcc, v39, v27, vcc
	global_load_dword v63, v[38:39], off
	v_mfma_f32_16x16x16f16 v[26:29], v[28:29], v[12:13], v[34:37]
	s_waitcnt vmcnt(8)
	v_mfma_f32_16x16x16f16 v[26:29], v[18:19], v[54:55], v[26:29]
	s_nop 4
	v_and_b32_e32 v34, 16, v0
	v_lshlrev_b32_e32 v34, 1, v34
	v_mov_b32_e32 v18, s3
	v_add_co_u32_e32 v74, vcc, s2, v34
	v_addc_co_u32_e32 v75, vcc, 0, v18, vcc
	v_mfma_f32_16x16x16f16 v[90:93], v[20:21], v[56:57], v[26:29]
	v_add_co_u32_e32 v77, vcc, v74, v76
	v_addc_co_u32_e32 v78, vcc, 0, v75, vcc
	s_waitcnt vmcnt(3)
	v_mad_i64_i32 v[18:19], s[2:3], v48, s1, 0
	v_lshlrev_b64 v[70:71], 1, v[18:19]
	v_mfma_f32_16x16x16f16 v[18:21], v[14:15], v[30:31], 0
	v_add_co_u32_e32 v14, vcc, v77, v70
	v_addc_co_u32_e32 v15, vcc, v78, v71, vcc
	global_load_dwordx4 v[46:49], v[14:15], off
	global_load_dwordx4 v[42:45], v[14:15], off offset:16
	s_waitcnt vmcnt(4)
	v_mad_i64_i32 v[14:15], s[2:3], v40, s1, 0
	v_lshlrev_b64 v[72:73], 1, v[14:15]
	v_mfma_f32_16x16x16f16 v[14:17], v[16:17], v[32:33], v[18:21]
	v_mfma_f32_16x16x16f16 v[14:17], v[6:7], v[22:23], v[14:17]
	s_nop 5
	v_add_co_u32_e32 v18, vcc, v77, v72
	v_addc_co_u32_e32 v19, vcc, v78, v73, vcc
	global_load_dwordx4 v[38:41], v[18:19], off
	global_load_dwordx4 v[34:37], v[18:19], off offset:16
	s_waitcnt vmcnt(5)
	v_mad_i64_i32 v[18:19], s[2:3], v62, s1, 0
	v_lshlrev_b64 v[64:65], 1, v[18:19]
	v_add_co_u32_e32 v6, vcc, v77, v64
	v_addc_co_u32_e32 v7, vcc, v78, v65, vcc
	global_load_dwordx4 v[30:33], v[6:7], off
	global_load_dwordx4 v[26:29], v[6:7], off offset:16
	v_mfma_f32_16x16x16f16 v[6:9], v[8:9], v[24:25], v[14:17]
	v_mfma_f32_16x16x16f16 v[6:9], v[2:3], v[10:11], v[6:9]
	v_or_b32_e32 v2, 0x1000, v76
	s_waitcnt vmcnt(6)
	s_nop 3
	v_mad_i64_i32 v[14:15], s[2:3], v63, s1, 0
	v_mfma_f32_16x16x16f16 v[10:13], v[4:5], v[12:13], v[6:9]
	v_lshlrev_b64 v[62:63], 1, v[14:15]
	v_add_co_u32_e32 v14, vcc, v77, v62
	v_addc_co_u32_e32 v15, vcc, v78, v63, vcc
	v_add_co_u32_e32 v89, vcc, v74, v2
	v_mfma_f32_16x16x16f16 v[80:83], v[50:51], v[54:55], v[10:13]
	v_addc_co_u32_e32 v86, vcc, 0, v75, vcc
	v_pk_mul_f32 v[74:75], s[0:1], v[68:69] op_sel_hi:[0,1]
	v_pk_mul_f32 v[76:77], s[0:1], v[66:67] op_sel_hi:[0,1]
	;; [unrolled: 1-line block ×3, first 2 shown]
	v_add_co_u32_e32 v2, vcc, v89, v70
	v_mfma_f32_16x16x16f16 v[50:53], v[52:53], v[56:57], v[80:83]
	v_addc_co_u32_e32 v3, vcc, v86, v71, vcc
	v_add_co_u32_e32 v70, vcc, v89, v72
	v_addc_co_u32_e32 v71, vcc, v86, v73, vcc
	global_load_dwordx4 v[22:25], v[14:15], off
	global_load_dwordx4 v[18:21], v[14:15], off offset:16
	s_nop 5
	v_pk_mul_f32 v[68:69], s[0:1], v[50:51] op_sel_hi:[0,1]
	v_and_b32_e32 v50, 0xc0, v0
	v_add_u32_e32 v50, s16, v50
	v_lshl_or_b32 v50, v1, 2, v50
	v_or_b32_e32 v51, 1, v50
	v_pk_mul_f32 v[66:67], s[0:1], v[52:53] op_sel_hi:[0,1]
	v_subrev_u32_e32 v52, s33, v51
	v_add_u32_e32 v54, 1, v52
	v_add_u32_e32 v55, 2, v52
	v_cvt_f32_i32_e32 v53, v52
	v_cvt_f32_i32_e32 v54, v54
	;; [unrolled: 1-line block ×3, first 2 shown]
	v_add_u32_e32 v56, 3, v52
	v_fma_f32 v58, v87, v53, v58
	v_fmac_f32_e32 v59, v87, v54
	v_fma_f32 v78, v87, v55, v78
	v_add_u32_e32 v53, 16, v52
	v_add_u32_e32 v54, 17, v52
	;; [unrolled: 1-line block ×3, first 2 shown]
	v_cvt_f32_i32_e32 v56, v56
	v_cvt_f32_i32_e32 v53, v53
	;; [unrolled: 1-line block ×4, first 2 shown]
	v_fmac_f32_e32 v79, v87, v56
	v_add_u32_e32 v56, 19, v52
	v_fma_f32 v76, v87, v53, v76
	v_fmac_f32_e32 v77, v87, v54
	v_fma_f32 v74, v87, v55, v74
	v_add_u32_e32 v53, 32, v52
	v_add_u32_e32 v54, 33, v52
	;; [unrolled: 1-line block ×3, first 2 shown]
	v_cvt_f32_i32_e32 v56, v56
	v_cvt_f32_i32_e32 v53, v53
	;; [unrolled: 1-line block ×4, first 2 shown]
	global_load_dwordx4 v[6:9], v[2:3], off
	s_nop 0
	global_load_dwordx4 v[2:5], v[2:3], off offset:16
	s_nop 0
	global_load_dwordx4 v[14:17], v[70:71], off
	global_load_dwordx4 v[10:13], v[70:71], off offset:16
	v_pk_mul_f32 v[70:71], s[0:1], v[92:93] op_sel_hi:[0,1]
	v_pk_mul_f32 v[72:73], s[0:1], v[90:91] op_sel_hi:[0,1]
	v_fmac_f32_e32 v75, v87, v56
	v_add_u32_e32 v56, 35, v52
	v_fma_f32 v72, v87, v53, v72
	v_fmac_f32_e32 v73, v87, v54
	v_fma_f32 v70, v87, v55, v70
	v_add_u32_e32 v53, 48, v52
	v_add_u32_e32 v54, 49, v52
	;; [unrolled: 1-line block ×4, first 2 shown]
	v_cvt_f32_i32_e32 v52, v52
	v_cvt_f32_i32_e32 v53, v53
	;; [unrolled: 1-line block ×3, first 2 shown]
	v_cmp_gt_i32_e64 s[28:29], s33, v50
	v_fmac_f32_e32 v67, v87, v52
	v_mov_b32_e32 v52, 0xff7fffff
	v_cmp_gt_i32_e64 s[30:31], s33, v51
	v_fma_f32 v68, v87, v53, v68
	v_cndmask_b32_e64 v53, v52, v58, s[28:29]
	v_cndmask_b32_e64 v51, v52, v59, s[30:31]
	v_fmac_f32_e32 v69, v87, v54
	v_max3_f32 v51, v53, s40, v51
	v_or_b32_e32 v53, 2, v50
	v_or_b32_e32 v54, 3, v50
	v_cmp_gt_i32_e64 s[34:35], s33, v53
	v_cmp_gt_i32_e64 s[36:37], s33, v54
	v_cndmask_b32_e64 v53, v52, v78, s[34:35]
	v_cndmask_b32_e64 v54, v52, v79, s[36:37]
	v_max3_f32 v51, v51, v53, v54
	v_or_b32_e32 v53, 16, v50
	v_or_b32_e32 v54, 17, v50
	v_cmp_gt_i32_e64 s[22:23], s33, v53
	v_cmp_gt_i32_e64 s[24:25], s33, v54
	v_cndmask_b32_e64 v53, v52, v76, s[22:23]
	v_cndmask_b32_e64 v54, v52, v77, s[24:25]
	;; [unrolled: 7-line block ×3, first 2 shown]
	v_cvt_f32_i32_e32 v56, v56
	v_max3_f32 v51, v51, v53, v54
	v_or_b32_e32 v53, 32, v50
	v_or_b32_e32 v54, 33, v50
	v_cmp_gt_i32_e64 s[14:15], s33, v53
	v_cmp_gt_i32_e64 s[16:17], s33, v54
	v_cndmask_b32_e64 v53, v52, v72, s[14:15]
	v_cndmask_b32_e64 v54, v52, v73, s[16:17]
	v_max3_f32 v51, v51, v53, v54
	v_or_b32_e32 v53, 34, v50
	v_or_b32_e32 v54, 35, v50
	v_fmac_f32_e32 v71, v87, v56
	v_cmp_gt_i32_e64 s[10:11], s33, v53
	v_cmp_gt_i32_e64 s[12:13], s33, v54
	v_cndmask_b32_e64 v53, v52, v70, s[10:11]
	v_cndmask_b32_e64 v54, v52, v71, s[12:13]
	v_cvt_f32_i32_e32 v55, v55
	v_max3_f32 v51, v51, v53, v54
	v_or_b32_e32 v53, 48, v50
	v_or_b32_e32 v54, 49, v50
	v_cmp_gt_i32_e64 s[2:3], s33, v53
	v_cmp_gt_i32_e64 s[8:9], s33, v54
	v_cndmask_b32_e64 v53, v52, v68, s[2:3]
	v_cndmask_b32_e64 v54, v52, v69, s[8:9]
	v_max3_f32 v51, v51, v53, v54
	v_or_b32_e32 v53, 50, v50
	v_or_b32_e32 v50, 51, v50
	v_fma_f32 v66, v87, v55, v66
	v_cmp_gt_i32_e32 vcc, s33, v53
	v_cmp_gt_i32_e64 s[0:1], s33, v50
	v_cndmask_b32_e32 v53, v52, v66, vcc
	v_cndmask_b32_e64 v50, v52, v67, s[0:1]
	v_max3_f32 v60, v51, v53, v50
	v_mbcnt_lo_u32_b32 v50, -1, 0
	v_mbcnt_hi_u32_b32 v61, -1, v50
	v_and_b32_e32 v50, 64, v61
	v_add_u32_e32 v80, 64, v50
	v_xor_b32_e32 v50, 32, v61
	v_cmp_lt_i32_e64 s[38:39], v50, v80
	v_cndmask_b32_e64 v50, v61, v50, s[38:39]
	v_lshlrev_b32_e32 v82, 2, v50
	ds_bpermute_b32 v81, v82, v60
	v_add_co_u32_e64 v50, s[38:39], v89, v64
	v_addc_co_u32_e64 v51, s[38:39], v86, v65, s[38:39]
	s_waitcnt lgkmcnt(0)
	v_max_f32_e32 v64, v81, v81
	v_max_f32_e32 v64, v60, v64
	v_xor_b32_e32 v60, 16, v61
	v_cmp_lt_i32_e64 s[38:39], v60, v80
	v_cndmask_b32_e64 v60, v61, v60, s[38:39]
	v_lshlrev_b32_e32 v83, 2, v60
	ds_bpermute_b32 v65, v83, v64
	v_add_co_u32_e64 v60, s[38:39], v89, v62
	v_addc_co_u32_e64 v61, s[38:39], v86, v63, s[38:39]
	s_waitcnt lgkmcnt(0)
	v_max_f32_e32 v62, v65, v65
	v_max_f32_e32 v87, v64, v62
	v_sub_f32_e32 v58, v58, v87
	v_mul_f32_e32 v58, 0x3fb8aa3b, v58
	v_exp_f32_e32 v80, v58
	v_sub_f32_e32 v58, v59, v87
	v_mul_f32_e32 v58, 0x3fb8aa3b, v58
	global_load_dwordx4 v[54:57], v[50:51], off
	s_nop 0
	global_load_dwordx4 v[50:53], v[50:51], off offset:16
	v_exp_f32_e32 v81, v58
	global_load_dwordx4 v[62:65], v[60:61], off
	s_nop 0
	global_load_dwordx4 v[58:61], v[60:61], off offset:16
	v_sub_f32_e32 v78, v78, v87
	v_mul_f32_e32 v78, 0x3fb8aa3b, v78
	v_sub_f32_e32 v79, v79, v87
	v_exp_f32_e32 v78, v78
	v_mul_f32_e32 v79, 0x3fb8aa3b, v79
	v_sub_f32_e32 v76, v76, v87
	v_exp_f32_e32 v79, v79
	v_mul_f32_e32 v76, 0x3fb8aa3b, v76
	v_sub_f32_e32 v77, v77, v87
	v_cndmask_b32_e64 v80, 0, v80, s[28:29]
	v_exp_f32_e32 v76, v76
	v_mul_f32_e32 v77, 0x3fb8aa3b, v77
	v_sub_f32_e32 v74, v74, v87
	v_add_f32_e32 v86, 0, v80
	v_cndmask_b32_e64 v81, 0, v81, s[30:31]
	v_exp_f32_e32 v77, v77
	v_mul_f32_e32 v74, 0x3fb8aa3b, v74
	v_sub_f32_e32 v75, v75, v87
	v_add_f32_e32 v86, v86, v81
	;; [unrolled: 5-line block ×10, first 2 shown]
	v_cndmask_b32_e64 v70, 0, v70, s[10:11]
	v_exp_f32_e32 v66, v66
	v_mul_f32_e32 v67, 0x3fb8aa3b, v67
	v_add_f32_e32 v86, v86, v70
	v_cndmask_b32_e64 v71, 0, v71, s[12:13]
	v_exp_f32_e32 v67, v67
	v_add_f32_e32 v86, v86, v71
	v_cndmask_b32_e64 v68, 0, v68, s[2:3]
	v_add_f32_e32 v86, v86, v68
	v_cndmask_b32_e64 v69, 0, v69, s[8:9]
	v_add_f32_e32 v86, v86, v69
	v_cndmask_b32_e32 v66, 0, v66, vcc
	v_add_f32_e32 v86, v86, v66
	v_cndmask_b32_e64 v67, 0, v67, s[0:1]
	v_add_f32_e32 v86, v86, v67
	ds_bpermute_b32 v82, v82, v86
	s_load_dword s3, s[4:5], 0x98
	v_cmp_gt_u32_e32 vcc, 16, v94
	s_waitcnt lgkmcnt(0)
	s_barrier
	v_add_f32_e32 v89, v86, v82
	ds_bpermute_b32 v90, v83, v89
	s_waitcnt lgkmcnt(0)
	s_and_saveexec_b64 s[0:1], vcc
	s_cbranch_execz .LBB162_17
; %bb.16:
	v_add_f32_e32 v82, v89, v90
	v_lshlrev_b32_e32 v83, 2, v88
	ds_write2st64_b32 v83, v87, v82 offset1:1
.LBB162_17:
	s_or_b64 exec, exec, s[0:1]
	v_lshlrev_b32_e32 v87, 2, v84
	s_load_dword s2, s[4:5], 0x94
	s_waitcnt lgkmcnt(0)
	s_barrier
	ds_read2_b32 v[82:83], v87 offset1:16
	ds_read2_b32 v[88:89], v87 offset0:32 offset1:48
	ds_read2_b32 v[90:91], v87 offset0:64 offset1:80
	s_mul_i32 s3, s3, 11
	s_waitcnt lgkmcnt(2)
	v_max3_f32 v86, v82, s40, v83
	s_waitcnt lgkmcnt(1)
	v_max3_f32 v86, v86, v88, v89
	v_sub_f32_e32 v82, v82, v86
	v_mul_f32_e32 v82, 0x3fb8aa3b, v82
	v_exp_f32_e32 v92, v82
	v_sub_f32_e32 v82, v83, v86
	v_mul_f32_e32 v82, 0x3fb8aa3b, v82
	v_exp_f32_e32 v93, v82
	;; [unrolled: 3-line block ×3, first 2 shown]
	ds_read2_b32 v[82:83], v87 offset0:96 offset1:112
	v_sub_f32_e32 v87, v89, v86
	v_mul_f32_e32 v87, 0x3fb8aa3b, v87
	v_exp_f32_e32 v89, v87
	s_waitcnt lgkmcnt(1)
	v_fma_f32 v87, v92, v90, 0
	v_fmac_f32_e32 v87, v93, v91
	s_waitcnt lgkmcnt(0)
	v_fmac_f32_e32 v87, v88, v82
	v_fmac_f32_e32 v87, v89, v83
	v_add_f32_e32 v82, 0x358637bd, v87
	v_div_scale_f32 v83, s[0:1], v82, v82, 1.0
	v_rcp_f32_e32 v90, v83
	s_barrier
	v_fma_f32 v91, -v83, v90, 1.0
	v_fmac_f32_e32 v90, v91, v90
	v_div_scale_f32 v91, vcc, 1.0, v82, 1.0
	v_mul_f32_e32 v94, v91, v90
	v_fma_f32 v95, -v83, v94, v91
	v_fmac_f32_e32 v94, v95, v90
	v_fma_f32 v83, -v83, v94, v91
	v_div_fmas_f32 v83, v83, v90, v94
	v_cmp_eq_u32_e32 vcc, 1, v85
	v_div_fixup_f32 v82, v83, v82, 1.0
	v_cndmask_b32_e32 v83, v92, v93, vcc
	v_cmp_eq_u32_e32 vcc, 2, v85
	v_cndmask_b32_e32 v83, v83, v88, vcc
	v_cmp_eq_u32_e32 vcc, 3, v85
	v_cndmask_b32_e32 v83, v83, v89, vcc
	v_mul_f32_e32 v82, v83, v82
	v_pk_mul_f32 v[78:79], v[82:83], v[78:79] op_sel_hi:[0,1]
	v_pk_mul_f32 v[80:81], v[82:83], v[80:81] op_sel_hi:[0,1]
	v_cvt_f16_f32_e32 v80, v80
	v_cvt_f16_f32_e32 v81, v81
	;; [unrolled: 1-line block ×4, first 2 shown]
	v_pk_mul_f32 v[74:75], v[82:83], v[74:75] op_sel_hi:[0,1]
	v_pk_mul_f32 v[76:77], v[82:83], v[76:77] op_sel_hi:[0,1]
	v_cvt_f16_f32_e32 v76, v76
	v_cvt_f16_f32_e32 v77, v77
	;; [unrolled: 1-line block ×4, first 2 shown]
	v_pack_b32_f16 v80, v80, v81
	v_pack_b32_f16 v81, v78, v79
	v_lshlrev_b32_e32 v79, 3, v1
	v_lshlrev_b32_e32 v78, 5, v84
	;; [unrolled: 1-line block ×3, first 2 shown]
	v_or3_b32 v74, v74, v78, v79
	v_pack_b32_f16 v76, v76, v77
	v_pack_b32_f16 v77, v83, v75
	v_pk_mul_f32 v[70:71], v[82:83], v[70:71] op_sel_hi:[0,1]
	v_pk_mul_f32 v[72:73], v[82:83], v[72:73] op_sel_hi:[0,1]
	v_pk_mul_f32 v[66:67], v[82:83], v[66:67] op_sel_hi:[0,1]
	v_pk_mul_f32 v[68:69], v[82:83], v[68:69] op_sel_hi:[0,1]
	ds_write2st64_b64 v74, v[80:81], v[76:77] offset1:1
	v_cvt_f16_f32_e32 v72, v72
	v_cvt_f16_f32_e32 v73, v73
	;; [unrolled: 1-line block ×8, first 2 shown]
	v_pack_b32_f16 v66, v72, v73
	v_pack_b32_f16 v67, v70, v71
	;; [unrolled: 1-line block ×4, first 2 shown]
	v_cmp_gt_u32_e32 vcc, 11, v0
	ds_write2st64_b64 v74, v[66:67], v[68:69] offset0:2 offset1:3
	s_and_saveexec_b64 s[0:1], vcc
	s_cbranch_execz .LBB162_19
; %bb.18:
	v_add_co_u32_e32 v68, vcc, s27, v84
	v_addc_co_u32_e64 v69, s[12:13], 0, 0, vcc
	v_mov_b32_e32 v66, s3
	v_mov_b32_e32 v67, 0
	v_mad_u64_u32 v[68:69], s[12:13], s6, v66, v[68:69]
	v_mov_b32_e32 v66, s26
	s_load_dwordx4 s[8:11], s[4:5], 0x58
	s_mul_i32 s7, s7, s3
	v_mad_u64_u32 v[66:67], s[12:13], v68, s2, v[66:67]
	v_add_u32_e32 v69, s7, v69
	v_mov_b32_e32 v68, v67
	v_mad_u64_u32 v[68:69], s[12:13], v69, s2, v[68:69]
	v_mov_b32_e32 v67, v68
	v_lshlrev_b64 v[66:67], 2, v[66:67]
	s_waitcnt lgkmcnt(0)
	v_mov_b32_e32 v69, s11
	v_add_co_u32_e32 v68, vcc, s10, v66
	v_addc_co_u32_e32 v69, vcc, v69, v67, vcc
	global_store_dword v[68:69], v86, off
	v_mov_b32_e32 v68, s9
	v_add_co_u32_e32 v66, vcc, s8, v66
	v_addc_co_u32_e32 v67, vcc, v68, v67, vcc
	global_store_dword v[66:67], v87, off
.LBB162_19:
	s_or_b64 exec, exec, s[0:1]
	v_lshl_or_b32 v75, v1, 9, v78
	s_waitcnt lgkmcnt(0)
	s_barrier
	ds_read_b128 v[70:73], v75
	ds_read_b128 v[66:69], v75 offset:16
	s_waitcnt vmcnt(15) lgkmcnt(1)
	v_mfma_f32_16x16x16f16 v[76:79], v[46:47], v[70:71], 0
	s_mov_b32 s1, 0
	v_cmp_gt_u32_e32 vcc, 64, v0
	v_mfma_f32_16x16x16f16 v[46:49], v[48:49], v[72:73], v[76:79]
	s_waitcnt vmcnt(14) lgkmcnt(0)
	v_mfma_f32_16x16x16f16 v[46:49], v[42:43], v[66:67], v[46:49]
	v_mfma_f32_16x16x16f16 v[42:45], v[44:45], v[68:69], v[46:49]
	s_nop 7
	s_nop 1
	ds_read_b128 v[46:49], v75 offset:2048
	ds_read_b128 v[76:79], v75 offset:2064
	s_waitcnt vmcnt(13) lgkmcnt(1)
	v_mfma_f32_16x16x16f16 v[42:45], v[38:39], v[46:47], v[42:45]
	v_mfma_f32_16x16x16f16 v[38:41], v[40:41], v[48:49], v[42:45]
	s_waitcnt vmcnt(12) lgkmcnt(0)
	v_mfma_f32_16x16x16f16 v[38:41], v[34:35], v[76:77], v[38:41]
	v_mfma_f32_16x16x16f16 v[34:37], v[36:37], v[78:79], v[38:41]
	s_nop 7
	s_nop 1
	ds_read_b128 v[38:41], v75 offset:4096
	ds_read_b128 v[42:45], v75 offset:4112
	s_waitcnt vmcnt(11) lgkmcnt(1)
	v_mfma_f32_16x16x16f16 v[34:37], v[30:31], v[38:39], v[34:37]
	v_mfma_f32_16x16x16f16 v[30:33], v[32:33], v[40:41], v[34:37]
	s_waitcnt vmcnt(10) lgkmcnt(0)
	v_mfma_f32_16x16x16f16 v[30:33], v[26:27], v[42:43], v[30:33]
	v_mfma_f32_16x16x16f16 v[26:29], v[28:29], v[44:45], v[30:33]
	s_nop 7
	s_nop 1
	ds_read_b128 v[30:33], v75 offset:6144
	ds_read_b128 v[34:37], v75 offset:6160
	s_waitcnt lgkmcnt(0)
	s_barrier
	s_waitcnt vmcnt(9)
	v_mfma_f32_16x16x16f16 v[26:29], v[22:23], v[30:31], v[26:29]
	v_mfma_f32_16x16x16f16 v[22:25], v[24:25], v[32:33], v[26:29]
	s_waitcnt vmcnt(8)
	v_mfma_f32_16x16x16f16 v[22:25], v[18:19], v[34:35], v[22:25]
	v_mfma_f32_16x16x16f16 v[18:21], v[20:21], v[36:37], v[22:25]
	;; [unrolled: 3-line block ×4, first 2 shown]
	s_waitcnt vmcnt(5)
	v_mfma_f32_16x16x16f16 v[2:5], v[14:15], v[46:47], v[2:5]
	s_nop 7
	v_cvt_f16_f32_e32 v6, v18
	v_cvt_f16_f32_e32 v7, v19
	;; [unrolled: 1-line block ×4, first 2 shown]
	v_mfma_f32_16x16x16f16 v[2:5], v[16:17], v[48:49], v[2:5]
	s_waitcnt vmcnt(4)
	v_mfma_f32_16x16x16f16 v[2:5], v[10:11], v[76:77], v[2:5]
	v_mfma_f32_16x16x16f16 v[2:5], v[12:13], v[78:79], v[2:5]
	s_waitcnt vmcnt(3)
	v_mfma_f32_16x16x16f16 v[2:5], v[54:55], v[38:39], v[2:5]
	;; [unrolled: 3-line block ×5, first 2 shown]
	v_mfma_f32_16x16x16f16 v[2:5], v[60:61], v[36:37], v[2:5]
	s_nop 7
	s_nop 2
	v_cvt_f16_f32_e32 v10, v2
	v_cvt_f16_f32_e32 v11, v3
	;; [unrolled: 1-line block ×4, first 2 shown]
	v_pack_b32_f16 v2, v6, v7
	v_pack_b32_f16 v3, v8, v9
	;; [unrolled: 1-line block ×4, first 2 shown]
	ds_write2st64_b64 v74, v[2:3], v[4:5] offset1:1
	s_waitcnt lgkmcnt(0)
	s_barrier
	s_and_saveexec_b64 s[8:9], vcc
	s_cbranch_execz .LBB162_22
; %bb.20:
	v_lshlrev_b32_e32 v4, 6, v84
	v_lshlrev_b32_e32 v3, 4, v0
	v_lshl_or_b32 v0, v0, 10, v4
	buffer_load_dword v4, off, s[44:47], 0  ; 4-byte Folded Reload
	buffer_load_dword v5, off, s[44:47], 0 offset:4 ; 4-byte Folded Reload
	s_load_dwordx2 s[4:5], s[4:5], 0x68
	s_lshl_b32 s2, s2, 7
	s_mul_i32 s0, s3, s6
	s_mul_hi_u32 s7, s0, s2
	s_mul_i32 s6, s0, s2
	s_lshl_b64 s[6:7], s[6:7], 1
	s_waitcnt lgkmcnt(0)
	s_add_u32 s3, s4, s6
	s_addc_u32 s4, s5, s7
	s_lshl_b32 s0, s26, 7
	s_lshl_b64 s[0:1], s[0:1], 1
	s_add_u32 s0, s3, s0
	v_lshlrev_b32_e32 v2, 5, v1
	v_and_b32_e32 v3, 16, v3
	v_and_b32_e32 v0, 0x1a00, v0
	s_addc_u32 s1, s4, s1
	v_or3_b32 v0, v0, v2, v3
	v_mov_b32_e32 v3, s1
	v_add_u32_e32 v14, s27, v1
	s_waitcnt vmcnt(1)
	v_add_co_u32_e32 v2, vcc, s0, v4
	s_waitcnt vmcnt(0)
	v_addc_co_u32_e32 v3, vcc, v3, v5, vcc
	ds_read_b128 v[4:7], v0 offset:128
	ds_read_b128 v[8:11], v0
	v_mad_u64_u32 v[12:13], s[0:1], v14, s2, 0
	v_lshlrev_b64 v[12:13], 1, v[12:13]
	v_add_co_u32_e32 v12, vcc, v2, v12
	v_addc_co_u32_e32 v13, vcc, v3, v13, vcc
	s_waitcnt lgkmcnt(0)
	global_store_dwordx4 v[12:13], v[8:11], off
	s_nop 0
	v_add_u32_e32 v8, 4, v14
	v_mad_u64_u32 v[8:9], s[0:1], v8, s2, 0
	v_lshlrev_b64 v[8:9], 1, v[8:9]
	v_add_co_u32_e32 v8, vcc, v2, v8
	v_addc_co_u32_e32 v9, vcc, v3, v9, vcc
	v_cmp_ne_u32_e32 vcc, 3, v1
	global_store_dwordx4 v[8:9], v[4:7], off
	s_and_b64 exec, exec, vcc
	s_cbranch_execz .LBB162_22
; %bb.21:
	ds_read_b128 v[4:7], v0 offset:256
	v_add3_u32 v0, s27, v1, 8
	v_mad_u64_u32 v[0:1], s[0:1], v0, s2, 0
	v_lshlrev_b64 v[0:1], 1, v[0:1]
	v_add_co_u32_e32 v0, vcc, v2, v0
	v_addc_co_u32_e32 v1, vcc, v3, v1, vcc
	s_waitcnt lgkmcnt(0)
	global_store_dwordx4 v[0:1], v[4:7], off
.LBB162_22:
	s_endpgm
	.section	.rodata,"a",@progbits
	.p2align	6, 0x0
	.amdhsa_kernel _Z39paged_attention_ll4mi_QKV_mfma16_kernelIDF16_DF16_LN4vllm18Fp8KVCacheDataTypeE0EDF16_Li32ELi128ELi256ELb1ELi11EL8MFMAType0EEvPKT_PKT0_S8_ifPKiSA_SA_iPKfiiiPfSD_PS3_PT2_iSC_SC_
		.amdhsa_group_segment_fixed_size 8192
		.amdhsa_private_segment_fixed_size 12
		.amdhsa_kernarg_size 400
		.amdhsa_user_sgpr_count 6
		.amdhsa_user_sgpr_private_segment_buffer 1
		.amdhsa_user_sgpr_dispatch_ptr 0
		.amdhsa_user_sgpr_queue_ptr 0
		.amdhsa_user_sgpr_kernarg_segment_ptr 1
		.amdhsa_user_sgpr_dispatch_id 0
		.amdhsa_user_sgpr_flat_scratch_init 0
		.amdhsa_user_sgpr_kernarg_preload_length 0
		.amdhsa_user_sgpr_kernarg_preload_offset 0
		.amdhsa_user_sgpr_private_segment_size 0
		.amdhsa_uses_dynamic_stack 0
		.amdhsa_system_sgpr_private_segment_wavefront_offset 1
		.amdhsa_system_sgpr_workgroup_id_x 1
		.amdhsa_system_sgpr_workgroup_id_y 1
		.amdhsa_system_sgpr_workgroup_id_z 1
		.amdhsa_system_sgpr_workgroup_info 0
		.amdhsa_system_vgpr_workitem_id 0
		.amdhsa_next_free_vgpr 96
		.amdhsa_next_free_sgpr 48
		.amdhsa_accum_offset 96
		.amdhsa_reserve_vcc 1
		.amdhsa_reserve_flat_scratch 0
		.amdhsa_float_round_mode_32 0
		.amdhsa_float_round_mode_16_64 0
		.amdhsa_float_denorm_mode_32 3
		.amdhsa_float_denorm_mode_16_64 3
		.amdhsa_dx10_clamp 1
		.amdhsa_ieee_mode 1
		.amdhsa_fp16_overflow 0
		.amdhsa_tg_split 0
		.amdhsa_exception_fp_ieee_invalid_op 0
		.amdhsa_exception_fp_denorm_src 0
		.amdhsa_exception_fp_ieee_div_zero 0
		.amdhsa_exception_fp_ieee_overflow 0
		.amdhsa_exception_fp_ieee_underflow 0
		.amdhsa_exception_fp_ieee_inexact 0
		.amdhsa_exception_int_div_zero 0
	.end_amdhsa_kernel
	.section	.text._Z39paged_attention_ll4mi_QKV_mfma16_kernelIDF16_DF16_LN4vllm18Fp8KVCacheDataTypeE0EDF16_Li32ELi128ELi256ELb1ELi11EL8MFMAType0EEvPKT_PKT0_S8_ifPKiSA_SA_iPKfiiiPfSD_PS3_PT2_iSC_SC_,"axG",@progbits,_Z39paged_attention_ll4mi_QKV_mfma16_kernelIDF16_DF16_LN4vllm18Fp8KVCacheDataTypeE0EDF16_Li32ELi128ELi256ELb1ELi11EL8MFMAType0EEvPKT_PKT0_S8_ifPKiSA_SA_iPKfiiiPfSD_PS3_PT2_iSC_SC_,comdat
.Lfunc_end162:
	.size	_Z39paged_attention_ll4mi_QKV_mfma16_kernelIDF16_DF16_LN4vllm18Fp8KVCacheDataTypeE0EDF16_Li32ELi128ELi256ELb1ELi11EL8MFMAType0EEvPKT_PKT0_S8_ifPKiSA_SA_iPKfiiiPfSD_PS3_PT2_iSC_SC_, .Lfunc_end162-_Z39paged_attention_ll4mi_QKV_mfma16_kernelIDF16_DF16_LN4vllm18Fp8KVCacheDataTypeE0EDF16_Li32ELi128ELi256ELb1ELi11EL8MFMAType0EEvPKT_PKT0_S8_ifPKiSA_SA_iPKfiiiPfSD_PS3_PT2_iSC_SC_
                                        ; -- End function
	.section	.AMDGPU.csdata,"",@progbits
; Kernel info:
; codeLenInByte = 5120
; NumSgprs: 52
; NumVgprs: 96
; NumAgprs: 0
; TotalNumVgprs: 96
; ScratchSize: 12
; MemoryBound: 0
; FloatMode: 240
; IeeeMode: 1
; LDSByteSize: 8192 bytes/workgroup (compile time only)
; SGPRBlocks: 6
; VGPRBlocks: 11
; NumSGPRsForWavesPerEU: 52
; NumVGPRsForWavesPerEU: 96
; AccumOffset: 96
; Occupancy: 5
; WaveLimiterHint : 1
; COMPUTE_PGM_RSRC2:SCRATCH_EN: 1
; COMPUTE_PGM_RSRC2:USER_SGPR: 6
; COMPUTE_PGM_RSRC2:TRAP_HANDLER: 0
; COMPUTE_PGM_RSRC2:TGID_X_EN: 1
; COMPUTE_PGM_RSRC2:TGID_Y_EN: 1
; COMPUTE_PGM_RSRC2:TGID_Z_EN: 1
; COMPUTE_PGM_RSRC2:TIDIG_COMP_CNT: 0
; COMPUTE_PGM_RSRC3_GFX90A:ACCUM_OFFSET: 23
; COMPUTE_PGM_RSRC3_GFX90A:TG_SPLIT: 0
	.section	.text._Z39paged_attention_ll4mi_QKV_mfma16_kernelIDF16_DF16_LN4vllm18Fp8KVCacheDataTypeE0EDF16_Li32ELi128ELi256ELb1ELi12EL8MFMAType0EEvPKT_PKT0_S8_ifPKiSA_SA_iPKfiiiPfSD_PS3_PT2_iSC_SC_,"axG",@progbits,_Z39paged_attention_ll4mi_QKV_mfma16_kernelIDF16_DF16_LN4vllm18Fp8KVCacheDataTypeE0EDF16_Li32ELi128ELi256ELb1ELi12EL8MFMAType0EEvPKT_PKT0_S8_ifPKiSA_SA_iPKfiiiPfSD_PS3_PT2_iSC_SC_,comdat
	.protected	_Z39paged_attention_ll4mi_QKV_mfma16_kernelIDF16_DF16_LN4vllm18Fp8KVCacheDataTypeE0EDF16_Li32ELi128ELi256ELb1ELi12EL8MFMAType0EEvPKT_PKT0_S8_ifPKiSA_SA_iPKfiiiPfSD_PS3_PT2_iSC_SC_ ; -- Begin function _Z39paged_attention_ll4mi_QKV_mfma16_kernelIDF16_DF16_LN4vllm18Fp8KVCacheDataTypeE0EDF16_Li32ELi128ELi256ELb1ELi12EL8MFMAType0EEvPKT_PKT0_S8_ifPKiSA_SA_iPKfiiiPfSD_PS3_PT2_iSC_SC_
	.globl	_Z39paged_attention_ll4mi_QKV_mfma16_kernelIDF16_DF16_LN4vllm18Fp8KVCacheDataTypeE0EDF16_Li32ELi128ELi256ELb1ELi12EL8MFMAType0EEvPKT_PKT0_S8_ifPKiSA_SA_iPKfiiiPfSD_PS3_PT2_iSC_SC_
	.p2align	8
	.type	_Z39paged_attention_ll4mi_QKV_mfma16_kernelIDF16_DF16_LN4vllm18Fp8KVCacheDataTypeE0EDF16_Li32ELi128ELi256ELb1ELi12EL8MFMAType0EEvPKT_PKT0_S8_ifPKiSA_SA_iPKfiiiPfSD_PS3_PT2_iSC_SC_,@function
_Z39paged_attention_ll4mi_QKV_mfma16_kernelIDF16_DF16_LN4vllm18Fp8KVCacheDataTypeE0EDF16_Li32ELi128ELi256ELb1ELi12EL8MFMAType0EEvPKT_PKT0_S8_ifPKiSA_SA_iPKfiiiPfSD_PS3_PT2_iSC_SC_: ; @_Z39paged_attention_ll4mi_QKV_mfma16_kernelIDF16_DF16_LN4vllm18Fp8KVCacheDataTypeE0EDF16_Li32ELi128ELi256ELb1ELi12EL8MFMAType0EEvPKT_PKT0_S8_ifPKiSA_SA_iPKfiiiPfSD_PS3_PT2_iSC_SC_
; %bb.0:
	s_mov_b64 s[46:47], s[2:3]
	s_mov_b64 s[44:45], s[0:1]
	s_load_dwordx2 s[0:1], s[4:5], 0x30
	s_add_u32 s44, s44, s9
	s_addc_u32 s45, s45, 0
	s_mov_b32 s26, s7
	s_mov_b64 s[10:11], 0
	s_waitcnt lgkmcnt(0)
	s_cmp_lg_u64 s[0:1], 0
	s_cselect_b64 s[2:3], -1, 0
	s_and_b64 vcc, exec, s[2:3]
	s_cbranch_vccz .LBB163_7
; %bb.1:
	s_add_i32 s12, s6, 1
	s_mov_b32 s13, 0
	s_lshl_b64 s[14:15], s[12:13], 2
	s_add_u32 s14, s0, s14
	s_mov_b32 s7, s13
	s_addc_u32 s15, s1, s15
	s_lshl_b64 s[12:13], s[6:7], 2
	s_add_u32 s12, s0, s12
	s_addc_u32 s13, s1, s13
	s_load_dword s9, s[14:15], 0x0
	s_load_dword s16, s[12:13], 0x0
	s_waitcnt lgkmcnt(0)
	s_sub_i32 s9, s9, s16
	s_cmp_eq_u32 s9, 1
	s_cselect_b64 s[12:13], -1, 0
	s_andn2_b64 vcc, exec, s[10:11]
	s_cbranch_vccnz .LBB163_3
.LBB163_2:
	s_mov_b32 s7, 0
	s_mov_b64 s[12:13], -1
.LBB163_3:
	s_andn2_b64 vcc, exec, s[12:13]
	s_cbranch_vccnz .LBB163_21
; %bb.4:
	s_load_dwordx2 s[12:13], s[4:5], 0x28
	s_lshl_b64 s[10:11], s[6:7], 2
	s_waitcnt lgkmcnt(0)
	s_add_u32 s12, s12, s10
	s_addc_u32 s13, s13, s11
	s_load_dword s33, s[12:13], 0x0
	s_lshl_b32 s16, s26, 8
	s_waitcnt lgkmcnt(0)
	s_cmp_ge_i32 s16, s33
	s_cbranch_scc1 .LBB163_21
; %bb.5:
	s_add_i32 s14, s33, 31
	s_load_dwordx2 s[12:13], s[4:5], 0x20
	s_load_dword s9, s[4:5], 0x38
	s_ashr_i32 s15, s14, 31
	v_and_b32_e32 v1, 0xcf, v0
	s_lshr_b32 s15, s15, 27
	v_add_u32_e32 v1, s16, v1
	s_add_i32 s14, s14, s15
	v_ashrrev_i32_e32 v2, 31, v1
	s_ashr_i32 s19, s14, 5
	v_lshrrev_b32_e32 v6, 27, v2
	s_add_i32 s19, s19, -1
	v_add_u32_e32 v2, v1, v6
	s_waitcnt lgkmcnt(0)
	s_mul_i32 s14, s6, s9
	s_mov_b32 s15, 0
	v_ashrrev_i32_e32 v2, 5, v2
	v_mov_b32_e32 v7, s19
	v_cmp_gt_i32_e32 vcc, s33, v1
	s_lshl_b64 s[14:15], s[14:15], 2
	v_cndmask_b32_e32 v2, v7, v2, vcc
	s_add_u32 s17, s12, s14
	v_ashrrev_i32_e32 v3, 31, v2
	s_addc_u32 s18, s13, s15
	v_lshlrev_b64 v[2:3], 2, v[2:3]
	v_mov_b32_e32 v4, s18
	v_add_co_u32_e32 v2, vcc, s17, v2
	v_addc_co_u32_e32 v3, vcc, v4, v3, vcc
	v_or_b32_e32 v4, 16, v1
	v_add_u32_e32 v5, v4, v6
	v_ashrrev_i32_e32 v5, 5, v5
	v_cmp_gt_i32_e32 vcc, s33, v4
	v_cndmask_b32_e32 v4, v7, v5, vcc
	v_ashrrev_i32_e32 v5, 31, v4
	v_lshlrev_b64 v[4:5], 2, v[4:5]
	v_mov_b32_e32 v9, s18
	v_add_co_u32_e32 v8, vcc, s17, v4
	v_or_b32_e32 v4, 32, v1
	v_addc_co_u32_e32 v9, vcc, v9, v5, vcc
	v_add_u32_e32 v5, v4, v6
	v_ashrrev_i32_e32 v5, 5, v5
	v_cmp_gt_i32_e32 vcc, s33, v4
	v_cndmask_b32_e32 v4, v7, v5, vcc
	v_ashrrev_i32_e32 v5, 31, v4
	v_lshlrev_b64 v[4:5], 2, v[4:5]
	v_mov_b32_e32 v11, s18
	v_add_co_u32_e32 v10, vcc, s17, v4
	v_or_b32_e32 v1, 48, v1
	v_addc_co_u32_e32 v11, vcc, v11, v5, vcc
	v_add_u32_e32 v4, v1, v6
	v_ashrrev_i32_e32 v4, 5, v4
	v_cmp_gt_i32_e32 vcc, s33, v1
	v_cndmask_b32_e32 v4, v7, v4, vcc
	v_ashrrev_i32_e32 v5, 31, v4
	v_lshlrev_b64 v[4:5], 2, v[4:5]
	v_mov_b32_e32 v1, s18
	v_add_co_u32_e32 v12, vcc, s17, v4
	v_addc_co_u32_e32 v13, vcc, v1, v5, vcc
	global_load_dword v7, v[2:3], off
	global_load_dword v6, v[8:9], off
	;; [unrolled: 1-line block ×4, first 2 shown]
	s_andn2_b64 vcc, exec, s[2:3]
	s_cbranch_vccnz .LBB163_8
; %bb.6:
	s_add_u32 s0, s0, s10
	s_addc_u32 s1, s1, s11
	s_load_dword s9, s[0:1], 0x0
	s_branch .LBB163_9
.LBB163_7:
	s_mov_b64 s[12:13], 0
	s_branch .LBB163_2
.LBB163_8:
	s_mov_b32 s9, s6
.LBB163_9:
	s_load_dwordx2 s[12:13], s[4:5], 0x8
	s_load_dwordx4 s[0:3], s[4:5], 0x48
	v_and_b32_e32 v1, 15, v0
	s_waitcnt lgkmcnt(0)
	s_movk_i32 s3, 0xbf
	v_lshlrev_b32_e32 v2, 3, v1
	v_cmp_lt_u32_e32 vcc, s3, v0
	s_and_saveexec_b64 s[10:11], vcc
	s_xor_b64 s[10:11], exec, s[10:11]
; %bb.10:
	v_mov_b32_e32 v3, 0
; %bb.11:
	s_or_saveexec_b64 s[14:15], s[10:11]
	s_load_dwordx2 s[10:11], s[4:5], 0x10
	v_lshrrev_b32_e32 v85, 6, v0
	v_bfe_u32 v84, v0, 4, 2
	s_mul_i32 s27, s8, 12
	s_xor_b64 exec, exec, s[14:15]
	s_cbranch_execz .LBB163_13
; %bb.12:
	s_load_dwordx2 s[20:21], s[4:5], 0x0
	s_ashr_i32 s3, s0, 31
	s_mul_hi_u32 s22, s9, s0
	s_mul_i32 s3, s9, s3
	v_lshl_or_b32 v12, v85, 2, v84
	s_add_i32 s23, s22, s3
	s_mul_i32 s22, s9, s0
	s_lshl_b64 s[22:23], s[22:23], 1
	v_add_lshl_u32 v8, v12, s27, 7
	s_waitcnt lgkmcnt(0)
	s_add_u32 s0, s20, s22
	v_ashrrev_i32_e32 v9, 31, v8
	s_addc_u32 s3, s21, s23
	v_lshlrev_b64 v[8:9], 1, v[8:9]
	v_mov_b32_e32 v3, s3
	v_add_co_u32_e32 v8, vcc, s0, v8
	v_addc_co_u32_e32 v3, vcc, v3, v9, vcc
	v_lshlrev_b32_e32 v9, 1, v2
	v_add_co_u32_e32 v8, vcc, v8, v9
	v_addc_co_u32_e32 v9, vcc, 0, v3, vcc
	global_load_dwordx4 v[8:11], v[8:9], off
	v_and_b32_e32 v13, 3, v0
	v_lshlrev_b32_e32 v14, 9, v1
	v_lshlrev_b32_e32 v12, 5, v12
	;; [unrolled: 1-line block ×3, first 2 shown]
	v_and_b32_e32 v14, 0x1800, v14
	v_mov_b32_e32 v3, 0
	v_or3_b32 v12, v14, v13, v12
	s_waitcnt vmcnt(0)
	ds_write_b128 v12, v[8:11]
.LBB163_13:
	s_or_b64 exec, exec, s[14:15]
	s_mul_i32 s2, s8, s2
	s_mov_b32 s3, 0
	s_lshl_b64 s[2:3], s[2:3], 1
	s_add_u32 s0, s12, s2
	s_waitcnt vmcnt(3)
	v_mad_i64_i32 v[8:9], s[8:9], v7, s1, 0
	s_addc_u32 s12, s13, s3
	v_lshlrev_b64 v[8:9], 1, v[8:9]
	v_mov_b32_e32 v7, s12
	v_add_co_u32_e32 v8, vcc, s0, v8
	v_addc_co_u32_e32 v7, vcc, v7, v9, vcc
	v_lshlrev_b64 v[14:15], 1, v[2:3]
	v_add_co_u32_e32 v8, vcc, v8, v14
	v_lshlrev_b32_e32 v12, 9, v84
	v_addc_co_u32_e32 v7, vcc, v7, v15, vcc
	v_add_co_u32_e32 v2, vcc, v8, v12
	v_addc_co_u32_e32 v3, vcc, 0, v7, vcc
	v_or_b32_e32 v10, 0x1000, v12
	s_waitcnt lgkmcnt(0)
	s_barrier
	global_load_dwordx4 v[38:41], v[2:3], off
	global_load_dwordx4 v[34:37], v[2:3], off offset:2048
	v_add_co_u32_e32 v2, vcc, v8, v10
	v_addc_co_u32_e32 v3, vcc, 0, v7, vcc
	v_or_b32_e32 v11, 0x1800, v12
	v_add_co_u32_e32 v8, vcc, v8, v11
	v_addc_co_u32_e32 v9, vcc, 0, v7, vcc
	global_load_dwordx4 v[46:49], v[2:3], off
	global_load_dwordx4 v[58:61], v[8:9], off
	s_waitcnt vmcnt(6)
	v_mad_i64_i32 v[2:3], s[8:9], v6, s1, 0
	v_lshlrev_b64 v[2:3], 1, v[2:3]
	v_mov_b32_e32 v6, s12
	v_add_co_u32_e32 v2, vcc, s0, v2
	v_addc_co_u32_e32 v3, vcc, v6, v3, vcc
	v_mov_b32_e32 v6, 0x100
	v_lshl_or_b32 v8, v1, 4, v6
	v_add_co_u32_e32 v6, vcc, v2, v8
	v_addc_co_u32_e32 v7, vcc, 0, v3, vcc
	v_add_co_u32_e32 v2, vcc, v6, v12
	v_addc_co_u32_e32 v3, vcc, 0, v7, vcc
	global_load_dwordx4 v[74:77], v[2:3], off
	global_load_dwordx4 v[70:73], v[2:3], off offset:2048
	v_add_co_u32_e32 v2, vcc, v6, v10
	v_addc_co_u32_e32 v3, vcc, 0, v7, vcc
	v_add_co_u32_e32 v6, vcc, v6, v11
	v_addc_co_u32_e32 v7, vcc, 0, v7, vcc
	global_load_dwordx4 v[78:81], v[2:3], off
	global_load_dwordx4 v[66:69], v[6:7], off
	s_waitcnt vmcnt(9)
	v_mad_i64_i32 v[2:3], s[8:9], v5, s1, 0
	v_lshlrev_b64 v[2:3], 1, v[2:3]
	v_mov_b32_e32 v5, s12
	v_add_co_u32_e32 v2, vcc, s0, v2
	v_addc_co_u32_e32 v3, vcc, v5, v3, vcc
	v_add_co_u32_e32 v5, vcc, v2, v14
	buffer_store_dword v14, off, s[44:47], 0 ; 4-byte Folded Spill
	s_nop 0
	buffer_store_dword v15, off, s[44:47], 0 offset:4 ; 4-byte Folded Spill
	v_and_b32_e32 v94, 63, v0
	v_mov_b32_e32 v87, 0
	v_addc_co_u32_e32 v7, vcc, v3, v15, vcc
	v_add_co_u32_e32 v2, vcc, v5, v12
	v_addc_co_u32_e32 v3, vcc, 0, v7, vcc
	global_load_dwordx4 v[62:65], v[2:3], off
	global_load_dwordx4 v[42:45], v[2:3], off offset:2048
	v_add_co_u32_e32 v2, vcc, v5, v10
	v_addc_co_u32_e32 v3, vcc, 0, v7, vcc
	v_add_co_u32_e32 v6, vcc, v5, v11
	v_addc_co_u32_e32 v7, vcc, 0, v7, vcc
	global_load_dwordx4 v[26:29], v[2:3], off
	global_load_dwordx4 v[18:21], v[6:7], off
	s_waitcnt vmcnt(14)
	v_mad_i64_i32 v[2:3], s[8:9], v4, s1, 0
	v_lshlrev_b64 v[2:3], 1, v[2:3]
	v_mov_b32_e32 v4, s12
	v_add_co_u32_e32 v2, vcc, s0, v2
	v_addc_co_u32_e32 v3, vcc, v4, v3, vcc
	v_add_co_u32_e32 v4, vcc, v2, v8
	v_addc_co_u32_e32 v5, vcc, 0, v3, vcc
	;; [unrolled: 2-line block ×3, first 2 shown]
	global_load_dwordx4 v[14:17], v[2:3], off
	global_load_dwordx4 v[6:9], v[2:3], off offset:2048
	v_add_co_u32_e32 v2, vcc, v4, v10
	v_addc_co_u32_e32 v3, vcc, 0, v5, vcc
	v_add_co_u32_e32 v10, vcc, v4, v11
	v_addc_co_u32_e32 v11, vcc, 0, v5, vcc
	global_load_dwordx4 v[2:5], v[2:3], off
	s_nop 0
	global_load_dwordx4 v[50:53], v[10:11], off
	v_add_u32_e32 v10, -12, v1
	v_cmp_gt_u32_e32 vcc, 12, v1
	v_cndmask_b32_e32 v10, v10, v1, vcc
	v_lshl_add_u32 v54, v10, 5, v12
	ds_read_b128 v[30:33], v54
	ds_read_b128 v[22:25], v54 offset:2048
	ds_read_b128 v[10:13], v54 offset:4096
	;; [unrolled: 1-line block ×3, first 2 shown]
	s_and_saveexec_b64 s[8:9], vcc
	s_cbranch_execz .LBB163_15
; %bb.14:
	s_load_dwordx2 s[12:13], s[4:5], 0x40
	v_add_u32_e32 v82, s27, v1
	v_ashrrev_i32_e32 v83, 31, v82
	v_lshlrev_b64 v[82:83], 2, v[82:83]
	s_waitcnt lgkmcnt(0)
	v_mov_b32_e32 v87, s13
	v_add_co_u32_e32 v82, vcc, s12, v82
	v_addc_co_u32_e32 v83, vcc, v87, v83, vcc
	global_load_dword v87, v[82:83], off
.LBB163_15:
	s_or_b64 exec, exec, s[8:9]
	s_waitcnt vmcnt(17) lgkmcnt(3)
	v_mfma_f32_16x16x16f16 v[88:91], v[38:39], v[30:31], 0
	s_ashr_i32 s0, s16, 31
	s_lshr_b32 s0, s0, 27
	s_add_u32 s2, s10, s2
	s_addc_u32 s3, s11, s3
	s_mov_b32 s40, 0xff7fffff
	v_mfma_f32_16x16x16f16 v[38:41], v[40:41], v[32:33], v[88:91]
	s_waitcnt vmcnt(16) lgkmcnt(2)
	v_mfma_f32_16x16x16f16 v[38:41], v[34:35], v[22:23], v[38:41]
	s_nop 4
	v_lshl_or_b32 v88, v85, 4, v1
	v_mfma_f32_16x16x16f16 v[34:37], v[36:37], v[24:25], v[38:41]
	s_waitcnt vmcnt(15) lgkmcnt(1)
	v_mfma_f32_16x16x16f16 v[34:37], v[46:47], v[10:11], v[34:37]
	v_and_or_b32 v46, v0, 48, s16
	s_nop 3
	v_add_u32_e32 v38, s0, v46
	v_ashrrev_i32_e32 v38, 5, v38
	v_mov_b32_e32 v47, s19
	v_cmp_gt_i32_e32 vcc, s33, v46
	v_cndmask_b32_e32 v38, v47, v38, vcc
	v_ashrrev_i32_e32 v39, 31, v38
	v_mfma_f32_16x16x16f16 v[34:37], v[48:49], v[12:13], v[34:37]
	v_or_b32_e32 v40, 64, v46
	v_add_u32_e32 v41, s0, v40
	v_ashrrev_i32_e32 v41, 5, v41
	v_mov_b32_e32 v48, s18
	s_waitcnt vmcnt(14) lgkmcnt(0)
	v_mfma_f32_16x16x16f16 v[34:37], v[58:59], v[54:55], v[34:37]
	v_mfma_f32_16x16x16f16 v[58:61], v[60:61], v[56:57], v[34:37]
	s_waitcnt vmcnt(13)
	v_mfma_f32_16x16x16f16 v[34:37], v[74:75], v[30:31], 0
	v_mfma_f32_16x16x16f16 v[34:37], v[76:77], v[32:33], v[34:37]
	v_lshlrev_b32_e32 v76, 6, v88
	s_waitcnt vmcnt(12)
	v_mfma_f32_16x16x16f16 v[34:37], v[70:71], v[22:23], v[34:37]
	v_mfma_f32_16x16x16f16 v[34:37], v[72:73], v[24:25], v[34:37]
	s_waitcnt vmcnt(11)
	v_mfma_f32_16x16x16f16 v[34:37], v[78:79], v[10:11], v[34:37]
	v_mfma_f32_16x16x16f16 v[34:37], v[80:81], v[12:13], v[34:37]
	;; [unrolled: 3-line block ×3, first 2 shown]
	s_nop 7
	s_nop 1
	v_lshlrev_b64 v[34:35], 2, v[38:39]
	v_mov_b32_e32 v36, s18
	v_add_co_u32_e32 v38, vcc, s17, v34
	v_addc_co_u32_e32 v39, vcc, v36, v35, vcc
	v_cmp_gt_i32_e32 vcc, s33, v40
	v_cndmask_b32_e32 v40, v47, v41, vcc
	v_ashrrev_i32_e32 v41, 31, v40
	v_lshlrev_b64 v[40:41], 2, v[40:41]
	v_add_co_u32_e32 v40, vcc, s17, v40
	v_addc_co_u32_e32 v41, vcc, v48, v41, vcc
	global_load_dword v48, v[38:39], off
	s_nop 0
	global_load_dword v40, v[40:41], off
	v_or_b32_e32 v38, 0x80, v46
	v_add_u32_e32 v39, s0, v38
	v_ashrrev_i32_e32 v39, 5, v39
	v_cmp_gt_i32_e32 vcc, s33, v38
	v_cndmask_b32_e32 v38, v47, v39, vcc
	v_ashrrev_i32_e32 v39, 31, v38
	v_lshlrev_b64 v[38:39], 2, v[38:39]
	v_mov_b32_e32 v41, s18
	v_add_co_u32_e32 v38, vcc, s17, v38
	v_addc_co_u32_e32 v39, vcc, v41, v39, vcc
	s_waitcnt vmcnt(9)
	v_mfma_f32_16x16x16f16 v[34:37], v[62:63], v[30:31], 0
	global_load_dword v62, v[38:39], off
	v_or_b32_e32 v38, 0xc0, v46
	v_add_u32_e32 v39, s0, v38
	v_ashrrev_i32_e32 v39, 5, v39
	v_cmp_gt_i32_e32 vcc, s33, v38
	v_cndmask_b32_e32 v38, v47, v39, vcc
	v_ashrrev_i32_e32 v39, 31, v38
	v_mfma_f32_16x16x16f16 v[34:37], v[64:65], v[32:33], v[34:37]
	s_load_dword s0, s[4:5], 0x1c
	s_waitcnt lgkmcnt(0)
	v_pk_mul_f32 v[58:59], s[0:1], v[58:59] op_sel_hi:[0,1]
	s_waitcnt vmcnt(9)
	v_mfma_f32_16x16x16f16 v[34:37], v[42:43], v[22:23], v[34:37]
	v_mfma_f32_16x16x16f16 v[34:37], v[44:45], v[24:25], v[34:37]
	s_waitcnt vmcnt(8)
	v_mfma_f32_16x16x16f16 v[34:37], v[26:27], v[10:11], v[34:37]
	v_lshlrev_b64 v[26:27], 2, v[38:39]
	v_mov_b32_e32 v39, s18
	v_add_co_u32_e32 v38, vcc, s17, v26
	v_addc_co_u32_e32 v39, vcc, v39, v27, vcc
	global_load_dword v63, v[38:39], off
	v_mfma_f32_16x16x16f16 v[26:29], v[28:29], v[12:13], v[34:37]
	s_waitcnt vmcnt(8)
	v_mfma_f32_16x16x16f16 v[26:29], v[18:19], v[54:55], v[26:29]
	s_nop 4
	v_and_b32_e32 v34, 16, v0
	v_lshlrev_b32_e32 v34, 1, v34
	v_mov_b32_e32 v18, s3
	v_add_co_u32_e32 v74, vcc, s2, v34
	v_addc_co_u32_e32 v75, vcc, 0, v18, vcc
	v_mfma_f32_16x16x16f16 v[90:93], v[20:21], v[56:57], v[26:29]
	v_add_co_u32_e32 v77, vcc, v74, v76
	v_addc_co_u32_e32 v78, vcc, 0, v75, vcc
	s_waitcnt vmcnt(3)
	v_mad_i64_i32 v[18:19], s[2:3], v48, s1, 0
	v_lshlrev_b64 v[70:71], 1, v[18:19]
	v_mfma_f32_16x16x16f16 v[18:21], v[14:15], v[30:31], 0
	v_add_co_u32_e32 v14, vcc, v77, v70
	v_addc_co_u32_e32 v15, vcc, v78, v71, vcc
	global_load_dwordx4 v[46:49], v[14:15], off
	global_load_dwordx4 v[42:45], v[14:15], off offset:16
	s_waitcnt vmcnt(4)
	v_mad_i64_i32 v[14:15], s[2:3], v40, s1, 0
	v_lshlrev_b64 v[72:73], 1, v[14:15]
	v_mfma_f32_16x16x16f16 v[14:17], v[16:17], v[32:33], v[18:21]
	v_mfma_f32_16x16x16f16 v[14:17], v[6:7], v[22:23], v[14:17]
	s_nop 5
	v_add_co_u32_e32 v18, vcc, v77, v72
	v_addc_co_u32_e32 v19, vcc, v78, v73, vcc
	global_load_dwordx4 v[38:41], v[18:19], off
	global_load_dwordx4 v[34:37], v[18:19], off offset:16
	s_waitcnt vmcnt(5)
	v_mad_i64_i32 v[18:19], s[2:3], v62, s1, 0
	v_lshlrev_b64 v[64:65], 1, v[18:19]
	v_add_co_u32_e32 v6, vcc, v77, v64
	v_addc_co_u32_e32 v7, vcc, v78, v65, vcc
	global_load_dwordx4 v[30:33], v[6:7], off
	global_load_dwordx4 v[26:29], v[6:7], off offset:16
	v_mfma_f32_16x16x16f16 v[6:9], v[8:9], v[24:25], v[14:17]
	v_mfma_f32_16x16x16f16 v[6:9], v[2:3], v[10:11], v[6:9]
	v_or_b32_e32 v2, 0x1000, v76
	s_waitcnt vmcnt(6)
	s_nop 3
	v_mad_i64_i32 v[14:15], s[2:3], v63, s1, 0
	v_mfma_f32_16x16x16f16 v[10:13], v[4:5], v[12:13], v[6:9]
	v_lshlrev_b64 v[62:63], 1, v[14:15]
	v_add_co_u32_e32 v14, vcc, v77, v62
	v_addc_co_u32_e32 v15, vcc, v78, v63, vcc
	v_add_co_u32_e32 v89, vcc, v74, v2
	v_mfma_f32_16x16x16f16 v[80:83], v[50:51], v[54:55], v[10:13]
	v_addc_co_u32_e32 v86, vcc, 0, v75, vcc
	v_pk_mul_f32 v[74:75], s[0:1], v[68:69] op_sel_hi:[0,1]
	v_pk_mul_f32 v[76:77], s[0:1], v[66:67] op_sel_hi:[0,1]
	;; [unrolled: 1-line block ×3, first 2 shown]
	v_add_co_u32_e32 v2, vcc, v89, v70
	v_mfma_f32_16x16x16f16 v[50:53], v[52:53], v[56:57], v[80:83]
	v_addc_co_u32_e32 v3, vcc, v86, v71, vcc
	v_add_co_u32_e32 v70, vcc, v89, v72
	v_addc_co_u32_e32 v71, vcc, v86, v73, vcc
	global_load_dwordx4 v[22:25], v[14:15], off
	global_load_dwordx4 v[18:21], v[14:15], off offset:16
	s_nop 5
	v_pk_mul_f32 v[68:69], s[0:1], v[50:51] op_sel_hi:[0,1]
	v_and_b32_e32 v50, 0xc0, v0
	v_add_u32_e32 v50, s16, v50
	v_lshl_or_b32 v50, v84, 2, v50
	v_or_b32_e32 v51, 1, v50
	v_pk_mul_f32 v[66:67], s[0:1], v[52:53] op_sel_hi:[0,1]
	v_subrev_u32_e32 v52, s33, v51
	v_add_u32_e32 v54, 1, v52
	v_add_u32_e32 v55, 2, v52
	v_cvt_f32_i32_e32 v53, v52
	v_cvt_f32_i32_e32 v54, v54
	;; [unrolled: 1-line block ×3, first 2 shown]
	v_add_u32_e32 v56, 3, v52
	v_fma_f32 v58, v87, v53, v58
	v_fmac_f32_e32 v59, v87, v54
	v_fma_f32 v78, v87, v55, v78
	v_add_u32_e32 v53, 16, v52
	v_add_u32_e32 v54, 17, v52
	v_add_u32_e32 v55, 18, v52
	v_cvt_f32_i32_e32 v56, v56
	v_cvt_f32_i32_e32 v53, v53
	;; [unrolled: 1-line block ×4, first 2 shown]
	v_fmac_f32_e32 v79, v87, v56
	v_add_u32_e32 v56, 19, v52
	v_fma_f32 v76, v87, v53, v76
	v_fmac_f32_e32 v77, v87, v54
	v_fma_f32 v74, v87, v55, v74
	v_add_u32_e32 v53, 32, v52
	v_add_u32_e32 v54, 33, v52
	;; [unrolled: 1-line block ×3, first 2 shown]
	v_cvt_f32_i32_e32 v56, v56
	v_cvt_f32_i32_e32 v53, v53
	;; [unrolled: 1-line block ×4, first 2 shown]
	global_load_dwordx4 v[6:9], v[2:3], off
	s_nop 0
	global_load_dwordx4 v[2:5], v[2:3], off offset:16
	s_nop 0
	global_load_dwordx4 v[14:17], v[70:71], off
	global_load_dwordx4 v[10:13], v[70:71], off offset:16
	v_pk_mul_f32 v[70:71], s[0:1], v[92:93] op_sel_hi:[0,1]
	v_pk_mul_f32 v[72:73], s[0:1], v[90:91] op_sel_hi:[0,1]
	v_fmac_f32_e32 v75, v87, v56
	v_add_u32_e32 v56, 35, v52
	v_fma_f32 v72, v87, v53, v72
	v_fmac_f32_e32 v73, v87, v54
	v_fma_f32 v70, v87, v55, v70
	v_add_u32_e32 v53, 48, v52
	v_add_u32_e32 v54, 49, v52
	;; [unrolled: 1-line block ×4, first 2 shown]
	v_cvt_f32_i32_e32 v52, v52
	v_cvt_f32_i32_e32 v53, v53
	;; [unrolled: 1-line block ×3, first 2 shown]
	v_cmp_gt_i32_e64 s[28:29], s33, v50
	v_fmac_f32_e32 v67, v87, v52
	v_mov_b32_e32 v52, 0xff7fffff
	v_cmp_gt_i32_e64 s[30:31], s33, v51
	v_fma_f32 v68, v87, v53, v68
	v_cndmask_b32_e64 v53, v52, v58, s[28:29]
	v_cndmask_b32_e64 v51, v52, v59, s[30:31]
	v_fmac_f32_e32 v69, v87, v54
	v_max3_f32 v51, v53, s40, v51
	v_or_b32_e32 v53, 2, v50
	v_or_b32_e32 v54, 3, v50
	v_cmp_gt_i32_e64 s[34:35], s33, v53
	v_cmp_gt_i32_e64 s[36:37], s33, v54
	v_cndmask_b32_e64 v53, v52, v78, s[34:35]
	v_cndmask_b32_e64 v54, v52, v79, s[36:37]
	v_max3_f32 v51, v51, v53, v54
	v_or_b32_e32 v53, 16, v50
	v_or_b32_e32 v54, 17, v50
	v_cmp_gt_i32_e64 s[22:23], s33, v53
	v_cmp_gt_i32_e64 s[24:25], s33, v54
	v_cndmask_b32_e64 v53, v52, v76, s[22:23]
	v_cndmask_b32_e64 v54, v52, v77, s[24:25]
	;; [unrolled: 7-line block ×3, first 2 shown]
	v_cvt_f32_i32_e32 v56, v56
	v_max3_f32 v51, v51, v53, v54
	v_or_b32_e32 v53, 32, v50
	v_or_b32_e32 v54, 33, v50
	v_cmp_gt_i32_e64 s[14:15], s33, v53
	v_cmp_gt_i32_e64 s[16:17], s33, v54
	v_cndmask_b32_e64 v53, v52, v72, s[14:15]
	v_cndmask_b32_e64 v54, v52, v73, s[16:17]
	v_max3_f32 v51, v51, v53, v54
	v_or_b32_e32 v53, 34, v50
	v_or_b32_e32 v54, 35, v50
	v_fmac_f32_e32 v71, v87, v56
	v_cmp_gt_i32_e64 s[10:11], s33, v53
	v_cmp_gt_i32_e64 s[12:13], s33, v54
	v_cndmask_b32_e64 v53, v52, v70, s[10:11]
	v_cndmask_b32_e64 v54, v52, v71, s[12:13]
	v_cvt_f32_i32_e32 v55, v55
	v_max3_f32 v51, v51, v53, v54
	v_or_b32_e32 v53, 48, v50
	v_or_b32_e32 v54, 49, v50
	v_cmp_gt_i32_e64 s[2:3], s33, v53
	v_cmp_gt_i32_e64 s[8:9], s33, v54
	v_cndmask_b32_e64 v53, v52, v68, s[2:3]
	v_cndmask_b32_e64 v54, v52, v69, s[8:9]
	v_max3_f32 v51, v51, v53, v54
	v_or_b32_e32 v53, 50, v50
	v_or_b32_e32 v50, 51, v50
	v_fma_f32 v66, v87, v55, v66
	v_cmp_gt_i32_e32 vcc, s33, v53
	v_cmp_gt_i32_e64 s[0:1], s33, v50
	v_cndmask_b32_e32 v53, v52, v66, vcc
	v_cndmask_b32_e64 v50, v52, v67, s[0:1]
	v_max3_f32 v60, v51, v53, v50
	v_mbcnt_lo_u32_b32 v50, -1, 0
	v_mbcnt_hi_u32_b32 v61, -1, v50
	v_and_b32_e32 v50, 64, v61
	v_add_u32_e32 v80, 64, v50
	v_xor_b32_e32 v50, 32, v61
	v_cmp_lt_i32_e64 s[38:39], v50, v80
	v_cndmask_b32_e64 v50, v61, v50, s[38:39]
	v_lshlrev_b32_e32 v82, 2, v50
	ds_bpermute_b32 v81, v82, v60
	v_add_co_u32_e64 v50, s[38:39], v89, v64
	v_addc_co_u32_e64 v51, s[38:39], v86, v65, s[38:39]
	s_waitcnt lgkmcnt(0)
	v_max_f32_e32 v64, v81, v81
	v_max_f32_e32 v64, v60, v64
	v_xor_b32_e32 v60, 16, v61
	v_cmp_lt_i32_e64 s[38:39], v60, v80
	v_cndmask_b32_e64 v60, v61, v60, s[38:39]
	v_lshlrev_b32_e32 v83, 2, v60
	ds_bpermute_b32 v65, v83, v64
	v_add_co_u32_e64 v60, s[38:39], v89, v62
	v_addc_co_u32_e64 v61, s[38:39], v86, v63, s[38:39]
	s_waitcnt lgkmcnt(0)
	v_max_f32_e32 v62, v65, v65
	v_max_f32_e32 v87, v64, v62
	v_sub_f32_e32 v58, v58, v87
	v_mul_f32_e32 v58, 0x3fb8aa3b, v58
	v_exp_f32_e32 v80, v58
	v_sub_f32_e32 v58, v59, v87
	v_mul_f32_e32 v58, 0x3fb8aa3b, v58
	global_load_dwordx4 v[54:57], v[50:51], off
	s_nop 0
	global_load_dwordx4 v[50:53], v[50:51], off offset:16
	v_exp_f32_e32 v81, v58
	global_load_dwordx4 v[62:65], v[60:61], off
	s_nop 0
	global_load_dwordx4 v[58:61], v[60:61], off offset:16
	v_sub_f32_e32 v78, v78, v87
	v_mul_f32_e32 v78, 0x3fb8aa3b, v78
	v_sub_f32_e32 v79, v79, v87
	v_exp_f32_e32 v78, v78
	v_mul_f32_e32 v79, 0x3fb8aa3b, v79
	v_sub_f32_e32 v76, v76, v87
	v_exp_f32_e32 v79, v79
	v_mul_f32_e32 v76, 0x3fb8aa3b, v76
	v_sub_f32_e32 v77, v77, v87
	v_cndmask_b32_e64 v80, 0, v80, s[28:29]
	v_exp_f32_e32 v76, v76
	v_mul_f32_e32 v77, 0x3fb8aa3b, v77
	v_sub_f32_e32 v74, v74, v87
	v_add_f32_e32 v86, 0, v80
	v_cndmask_b32_e64 v81, 0, v81, s[30:31]
	v_exp_f32_e32 v77, v77
	v_mul_f32_e32 v74, 0x3fb8aa3b, v74
	v_sub_f32_e32 v75, v75, v87
	v_add_f32_e32 v86, v86, v81
	;; [unrolled: 5-line block ×10, first 2 shown]
	v_cndmask_b32_e64 v70, 0, v70, s[10:11]
	v_exp_f32_e32 v66, v66
	v_mul_f32_e32 v67, 0x3fb8aa3b, v67
	v_add_f32_e32 v86, v86, v70
	v_cndmask_b32_e64 v71, 0, v71, s[12:13]
	v_exp_f32_e32 v67, v67
	v_add_f32_e32 v86, v86, v71
	v_cndmask_b32_e64 v68, 0, v68, s[2:3]
	v_add_f32_e32 v86, v86, v68
	v_cndmask_b32_e64 v69, 0, v69, s[8:9]
	v_add_f32_e32 v86, v86, v69
	v_cndmask_b32_e32 v66, 0, v66, vcc
	v_add_f32_e32 v86, v86, v66
	v_cndmask_b32_e64 v67, 0, v67, s[0:1]
	v_add_f32_e32 v86, v86, v67
	ds_bpermute_b32 v82, v82, v86
	s_load_dword s3, s[4:5], 0x98
	v_cmp_gt_u32_e32 vcc, 16, v94
	s_waitcnt lgkmcnt(0)
	s_barrier
	v_add_f32_e32 v89, v86, v82
	ds_bpermute_b32 v90, v83, v89
	s_waitcnt lgkmcnt(0)
	s_and_saveexec_b64 s[0:1], vcc
	s_cbranch_execz .LBB163_17
; %bb.16:
	v_add_f32_e32 v82, v89, v90
	v_lshlrev_b32_e32 v83, 2, v88
	ds_write2st64_b32 v83, v87, v82 offset1:1
.LBB163_17:
	s_or_b64 exec, exec, s[0:1]
	v_lshlrev_b32_e32 v87, 2, v1
	s_load_dword s2, s[4:5], 0x94
	s_waitcnt lgkmcnt(0)
	s_barrier
	ds_read2_b32 v[82:83], v87 offset1:16
	ds_read2_b32 v[88:89], v87 offset0:32 offset1:48
	ds_read2_b32 v[90:91], v87 offset0:64 offset1:80
	s_mul_i32 s3, s3, 12
	s_waitcnt lgkmcnt(2)
	v_max3_f32 v86, v82, s40, v83
	s_waitcnt lgkmcnt(1)
	v_max3_f32 v86, v86, v88, v89
	v_sub_f32_e32 v82, v82, v86
	v_mul_f32_e32 v82, 0x3fb8aa3b, v82
	v_exp_f32_e32 v92, v82
	v_sub_f32_e32 v82, v83, v86
	v_mul_f32_e32 v82, 0x3fb8aa3b, v82
	v_exp_f32_e32 v93, v82
	;; [unrolled: 3-line block ×3, first 2 shown]
	ds_read2_b32 v[82:83], v87 offset0:96 offset1:112
	v_sub_f32_e32 v87, v89, v86
	v_mul_f32_e32 v87, 0x3fb8aa3b, v87
	v_exp_f32_e32 v89, v87
	s_waitcnt lgkmcnt(1)
	v_fma_f32 v87, v92, v90, 0
	v_fmac_f32_e32 v87, v93, v91
	s_waitcnt lgkmcnt(0)
	v_fmac_f32_e32 v87, v88, v82
	v_fmac_f32_e32 v87, v89, v83
	v_add_f32_e32 v82, 0x358637bd, v87
	v_div_scale_f32 v83, s[0:1], v82, v82, 1.0
	v_rcp_f32_e32 v90, v83
	s_barrier
	v_fma_f32 v91, -v83, v90, 1.0
	v_fmac_f32_e32 v90, v91, v90
	v_div_scale_f32 v91, vcc, 1.0, v82, 1.0
	v_mul_f32_e32 v94, v91, v90
	v_fma_f32 v95, -v83, v94, v91
	v_fmac_f32_e32 v94, v95, v90
	v_fma_f32 v83, -v83, v94, v91
	v_div_fmas_f32 v83, v83, v90, v94
	v_cmp_eq_u32_e32 vcc, 1, v85
	v_div_fixup_f32 v82, v83, v82, 1.0
	v_cndmask_b32_e32 v83, v92, v93, vcc
	v_cmp_eq_u32_e32 vcc, 2, v85
	v_cndmask_b32_e32 v83, v83, v88, vcc
	v_cmp_eq_u32_e32 vcc, 3, v85
	v_cndmask_b32_e32 v83, v83, v89, vcc
	v_mul_f32_e32 v82, v83, v82
	v_pk_mul_f32 v[78:79], v[82:83], v[78:79] op_sel_hi:[0,1]
	v_pk_mul_f32 v[80:81], v[82:83], v[80:81] op_sel_hi:[0,1]
	v_cvt_f16_f32_e32 v80, v80
	v_cvt_f16_f32_e32 v81, v81
	;; [unrolled: 1-line block ×4, first 2 shown]
	v_pk_mul_f32 v[74:75], v[82:83], v[74:75] op_sel_hi:[0,1]
	v_pk_mul_f32 v[76:77], v[82:83], v[76:77] op_sel_hi:[0,1]
	v_cvt_f16_f32_e32 v76, v76
	v_cvt_f16_f32_e32 v77, v77
	;; [unrolled: 1-line block ×4, first 2 shown]
	v_pack_b32_f16 v80, v80, v81
	v_pack_b32_f16 v81, v78, v79
	v_lshlrev_b32_e32 v79, 3, v84
	v_lshlrev_b32_e32 v78, 5, v1
	;; [unrolled: 1-line block ×3, first 2 shown]
	v_or3_b32 v74, v74, v78, v79
	v_pack_b32_f16 v76, v76, v77
	v_pack_b32_f16 v77, v83, v75
	v_pk_mul_f32 v[70:71], v[82:83], v[70:71] op_sel_hi:[0,1]
	v_pk_mul_f32 v[72:73], v[82:83], v[72:73] op_sel_hi:[0,1]
	;; [unrolled: 1-line block ×4, first 2 shown]
	ds_write2st64_b64 v74, v[80:81], v[76:77] offset1:1
	v_cvt_f16_f32_e32 v72, v72
	v_cvt_f16_f32_e32 v73, v73
	v_cvt_f16_f32_e32 v70, v70
	v_cvt_f16_f32_e32 v71, v71
	v_cvt_f16_f32_e32 v68, v68
	v_cvt_f16_f32_e32 v69, v69
	v_cvt_f16_f32_e32 v75, v66
	v_cvt_f16_f32_e32 v76, v67
	v_pack_b32_f16 v66, v72, v73
	v_pack_b32_f16 v67, v70, v71
	;; [unrolled: 1-line block ×4, first 2 shown]
	v_cmp_gt_u32_e32 vcc, 12, v0
	ds_write2st64_b64 v74, v[66:67], v[68:69] offset0:2 offset1:3
	s_and_saveexec_b64 s[0:1], vcc
	s_cbranch_execz .LBB163_19
; %bb.18:
	v_add_co_u32_e32 v68, vcc, s27, v1
	v_addc_co_u32_e64 v69, s[12:13], 0, 0, vcc
	v_mov_b32_e32 v66, s3
	v_mov_b32_e32 v67, 0
	v_mad_u64_u32 v[68:69], s[12:13], s6, v66, v[68:69]
	v_mov_b32_e32 v66, s26
	s_load_dwordx4 s[8:11], s[4:5], 0x58
	s_mul_i32 s7, s7, s3
	v_mad_u64_u32 v[66:67], s[12:13], v68, s2, v[66:67]
	v_add_u32_e32 v69, s7, v69
	v_mov_b32_e32 v68, v67
	v_mad_u64_u32 v[68:69], s[12:13], v69, s2, v[68:69]
	v_mov_b32_e32 v67, v68
	v_lshlrev_b64 v[66:67], 2, v[66:67]
	s_waitcnt lgkmcnt(0)
	v_mov_b32_e32 v69, s11
	v_add_co_u32_e32 v68, vcc, s10, v66
	v_addc_co_u32_e32 v69, vcc, v69, v67, vcc
	global_store_dword v[68:69], v86, off
	v_mov_b32_e32 v68, s9
	v_add_co_u32_e32 v66, vcc, s8, v66
	v_addc_co_u32_e32 v67, vcc, v68, v67, vcc
	global_store_dword v[66:67], v87, off
.LBB163_19:
	s_or_b64 exec, exec, s[0:1]
	v_lshl_or_b32 v75, v84, 9, v78
	s_waitcnt lgkmcnt(0)
	s_barrier
	ds_read_b128 v[70:73], v75
	ds_read_b128 v[66:69], v75 offset:16
	s_waitcnt vmcnt(15) lgkmcnt(1)
	v_mfma_f32_16x16x16f16 v[76:79], v[46:47], v[70:71], 0
	s_mov_b32 s1, 0
	v_cmp_gt_u32_e32 vcc, 64, v0
	v_mfma_f32_16x16x16f16 v[46:49], v[48:49], v[72:73], v[76:79]
	s_waitcnt vmcnt(14) lgkmcnt(0)
	v_mfma_f32_16x16x16f16 v[46:49], v[42:43], v[66:67], v[46:49]
	v_mfma_f32_16x16x16f16 v[42:45], v[44:45], v[68:69], v[46:49]
	s_nop 7
	s_nop 1
	ds_read_b128 v[46:49], v75 offset:2048
	ds_read_b128 v[76:79], v75 offset:2064
	s_waitcnt vmcnt(13) lgkmcnt(1)
	v_mfma_f32_16x16x16f16 v[42:45], v[38:39], v[46:47], v[42:45]
	v_mfma_f32_16x16x16f16 v[38:41], v[40:41], v[48:49], v[42:45]
	s_waitcnt vmcnt(12) lgkmcnt(0)
	v_mfma_f32_16x16x16f16 v[38:41], v[34:35], v[76:77], v[38:41]
	v_mfma_f32_16x16x16f16 v[34:37], v[36:37], v[78:79], v[38:41]
	s_nop 7
	s_nop 1
	ds_read_b128 v[38:41], v75 offset:4096
	ds_read_b128 v[42:45], v75 offset:4112
	s_waitcnt vmcnt(11) lgkmcnt(1)
	v_mfma_f32_16x16x16f16 v[34:37], v[30:31], v[38:39], v[34:37]
	v_mfma_f32_16x16x16f16 v[30:33], v[32:33], v[40:41], v[34:37]
	s_waitcnt vmcnt(10) lgkmcnt(0)
	v_mfma_f32_16x16x16f16 v[30:33], v[26:27], v[42:43], v[30:33]
	v_mfma_f32_16x16x16f16 v[26:29], v[28:29], v[44:45], v[30:33]
	s_nop 7
	s_nop 1
	ds_read_b128 v[30:33], v75 offset:6144
	ds_read_b128 v[34:37], v75 offset:6160
	s_waitcnt lgkmcnt(0)
	s_barrier
	s_waitcnt vmcnt(9)
	v_mfma_f32_16x16x16f16 v[26:29], v[22:23], v[30:31], v[26:29]
	v_mfma_f32_16x16x16f16 v[22:25], v[24:25], v[32:33], v[26:29]
	s_waitcnt vmcnt(8)
	v_mfma_f32_16x16x16f16 v[22:25], v[18:19], v[34:35], v[22:25]
	v_mfma_f32_16x16x16f16 v[18:21], v[20:21], v[36:37], v[22:25]
	;; [unrolled: 3-line block ×4, first 2 shown]
	s_waitcnt vmcnt(5)
	v_mfma_f32_16x16x16f16 v[2:5], v[14:15], v[46:47], v[2:5]
	s_nop 7
	v_cvt_f16_f32_e32 v6, v18
	v_cvt_f16_f32_e32 v7, v19
	;; [unrolled: 1-line block ×4, first 2 shown]
	v_mfma_f32_16x16x16f16 v[2:5], v[16:17], v[48:49], v[2:5]
	s_waitcnt vmcnt(4)
	v_mfma_f32_16x16x16f16 v[2:5], v[10:11], v[76:77], v[2:5]
	v_mfma_f32_16x16x16f16 v[2:5], v[12:13], v[78:79], v[2:5]
	s_waitcnt vmcnt(3)
	v_mfma_f32_16x16x16f16 v[2:5], v[54:55], v[38:39], v[2:5]
	;; [unrolled: 3-line block ×5, first 2 shown]
	v_mfma_f32_16x16x16f16 v[2:5], v[60:61], v[36:37], v[2:5]
	s_nop 7
	s_nop 2
	v_cvt_f16_f32_e32 v10, v2
	v_cvt_f16_f32_e32 v11, v3
	;; [unrolled: 1-line block ×4, first 2 shown]
	v_pack_b32_f16 v2, v6, v7
	v_pack_b32_f16 v3, v8, v9
	;; [unrolled: 1-line block ×4, first 2 shown]
	ds_write2st64_b64 v74, v[2:3], v[4:5] offset1:1
	s_waitcnt lgkmcnt(0)
	s_barrier
	s_and_saveexec_b64 s[8:9], vcc
	s_cbranch_execz .LBB163_21
; %bb.20:
	v_lshlrev_b32_e32 v1, 6, v1
	v_lshlrev_b32_e32 v3, 4, v0
	v_lshl_or_b32 v0, v0, 10, v1
	v_lshlrev_b32_e32 v2, 5, v84
	v_and_b32_e32 v3, 16, v3
	v_and_b32_e32 v0, 0x1a00, v0
	v_or3_b32 v8, v0, v2, v3
	ds_read_b128 v[0:3], v8
	ds_read_b128 v[4:7], v8 offset:128
	ds_read_b128 v[8:11], v8 offset:256
	buffer_load_dword v16, off, s[44:47], 0 ; 4-byte Folded Reload
	buffer_load_dword v17, off, s[44:47], 0 offset:4 ; 4-byte Folded Reload
	s_load_dwordx2 s[4:5], s[4:5], 0x68
	s_lshl_b32 s7, s2, 7
	s_mul_i32 s0, s3, s6
	s_mul_hi_u32 s3, s0, s7
	s_mul_i32 s2, s0, s7
	s_lshl_b64 s[2:3], s[2:3], 1
	s_waitcnt lgkmcnt(0)
	s_add_u32 s2, s4, s2
	s_addc_u32 s3, s5, s3
	s_lshl_b32 s0, s26, 7
	s_lshl_b64 s[0:1], s[0:1], 1
	s_add_u32 s0, s2, s0
	s_addc_u32 s1, s3, s1
	v_or_b32_e32 v14, s27, v84
	v_mov_b32_e32 v12, s1
	s_waitcnt vmcnt(1)
	v_add_co_u32_e32 v15, vcc, s0, v16
	s_waitcnt vmcnt(0)
	v_addc_co_u32_e32 v16, vcc, v12, v17, vcc
	v_mad_u64_u32 v[12:13], s[0:1], v14, s7, 0
	v_lshlrev_b64 v[12:13], 1, v[12:13]
	v_add_co_u32_e32 v12, vcc, v15, v12
	v_addc_co_u32_e32 v13, vcc, v16, v13, vcc
	global_store_dwordx4 v[12:13], v[0:3], off
	s_nop 0
	v_add_u32_e32 v0, 4, v14
	v_mad_u64_u32 v[0:1], s[0:1], v0, s7, 0
	v_lshlrev_b64 v[0:1], 1, v[0:1]
	v_add_co_u32_e32 v0, vcc, v15, v0
	v_addc_co_u32_e32 v1, vcc, v16, v1, vcc
	global_store_dwordx4 v[0:1], v[4:7], off
	v_add_u32_e32 v0, 8, v14
	v_mad_u64_u32 v[0:1], s[0:1], v0, s7, 0
	v_lshlrev_b64 v[0:1], 1, v[0:1]
	v_add_co_u32_e32 v0, vcc, v15, v0
	v_addc_co_u32_e32 v1, vcc, v16, v1, vcc
	global_store_dwordx4 v[0:1], v[8:11], off
.LBB163_21:
	s_endpgm
	.section	.rodata,"a",@progbits
	.p2align	6, 0x0
	.amdhsa_kernel _Z39paged_attention_ll4mi_QKV_mfma16_kernelIDF16_DF16_LN4vllm18Fp8KVCacheDataTypeE0EDF16_Li32ELi128ELi256ELb1ELi12EL8MFMAType0EEvPKT_PKT0_S8_ifPKiSA_SA_iPKfiiiPfSD_PS3_PT2_iSC_SC_
		.amdhsa_group_segment_fixed_size 8192
		.amdhsa_private_segment_fixed_size 12
		.amdhsa_kernarg_size 400
		.amdhsa_user_sgpr_count 6
		.amdhsa_user_sgpr_private_segment_buffer 1
		.amdhsa_user_sgpr_dispatch_ptr 0
		.amdhsa_user_sgpr_queue_ptr 0
		.amdhsa_user_sgpr_kernarg_segment_ptr 1
		.amdhsa_user_sgpr_dispatch_id 0
		.amdhsa_user_sgpr_flat_scratch_init 0
		.amdhsa_user_sgpr_kernarg_preload_length 0
		.amdhsa_user_sgpr_kernarg_preload_offset 0
		.amdhsa_user_sgpr_private_segment_size 0
		.amdhsa_uses_dynamic_stack 0
		.amdhsa_system_sgpr_private_segment_wavefront_offset 1
		.amdhsa_system_sgpr_workgroup_id_x 1
		.amdhsa_system_sgpr_workgroup_id_y 1
		.amdhsa_system_sgpr_workgroup_id_z 1
		.amdhsa_system_sgpr_workgroup_info 0
		.amdhsa_system_vgpr_workitem_id 0
		.amdhsa_next_free_vgpr 96
		.amdhsa_next_free_sgpr 48
		.amdhsa_accum_offset 96
		.amdhsa_reserve_vcc 1
		.amdhsa_reserve_flat_scratch 0
		.amdhsa_float_round_mode_32 0
		.amdhsa_float_round_mode_16_64 0
		.amdhsa_float_denorm_mode_32 3
		.amdhsa_float_denorm_mode_16_64 3
		.amdhsa_dx10_clamp 1
		.amdhsa_ieee_mode 1
		.amdhsa_fp16_overflow 0
		.amdhsa_tg_split 0
		.amdhsa_exception_fp_ieee_invalid_op 0
		.amdhsa_exception_fp_denorm_src 0
		.amdhsa_exception_fp_ieee_div_zero 0
		.amdhsa_exception_fp_ieee_overflow 0
		.amdhsa_exception_fp_ieee_underflow 0
		.amdhsa_exception_fp_ieee_inexact 0
		.amdhsa_exception_int_div_zero 0
	.end_amdhsa_kernel
	.section	.text._Z39paged_attention_ll4mi_QKV_mfma16_kernelIDF16_DF16_LN4vllm18Fp8KVCacheDataTypeE0EDF16_Li32ELi128ELi256ELb1ELi12EL8MFMAType0EEvPKT_PKT0_S8_ifPKiSA_SA_iPKfiiiPfSD_PS3_PT2_iSC_SC_,"axG",@progbits,_Z39paged_attention_ll4mi_QKV_mfma16_kernelIDF16_DF16_LN4vllm18Fp8KVCacheDataTypeE0EDF16_Li32ELi128ELi256ELb1ELi12EL8MFMAType0EEvPKT_PKT0_S8_ifPKiSA_SA_iPKfiiiPfSD_PS3_PT2_iSC_SC_,comdat
.Lfunc_end163:
	.size	_Z39paged_attention_ll4mi_QKV_mfma16_kernelIDF16_DF16_LN4vllm18Fp8KVCacheDataTypeE0EDF16_Li32ELi128ELi256ELb1ELi12EL8MFMAType0EEvPKT_PKT0_S8_ifPKiSA_SA_iPKfiiiPfSD_PS3_PT2_iSC_SC_, .Lfunc_end163-_Z39paged_attention_ll4mi_QKV_mfma16_kernelIDF16_DF16_LN4vllm18Fp8KVCacheDataTypeE0EDF16_Li32ELi128ELi256ELb1ELi12EL8MFMAType0EEvPKT_PKT0_S8_ifPKiSA_SA_iPKfiiiPfSD_PS3_PT2_iSC_SC_
                                        ; -- End function
	.section	.AMDGPU.csdata,"",@progbits
; Kernel info:
; codeLenInByte = 5104
; NumSgprs: 52
; NumVgprs: 96
; NumAgprs: 0
; TotalNumVgprs: 96
; ScratchSize: 12
; MemoryBound: 0
; FloatMode: 240
; IeeeMode: 1
; LDSByteSize: 8192 bytes/workgroup (compile time only)
; SGPRBlocks: 6
; VGPRBlocks: 11
; NumSGPRsForWavesPerEU: 52
; NumVGPRsForWavesPerEU: 96
; AccumOffset: 96
; Occupancy: 5
; WaveLimiterHint : 1
; COMPUTE_PGM_RSRC2:SCRATCH_EN: 1
; COMPUTE_PGM_RSRC2:USER_SGPR: 6
; COMPUTE_PGM_RSRC2:TRAP_HANDLER: 0
; COMPUTE_PGM_RSRC2:TGID_X_EN: 1
; COMPUTE_PGM_RSRC2:TGID_Y_EN: 1
; COMPUTE_PGM_RSRC2:TGID_Z_EN: 1
; COMPUTE_PGM_RSRC2:TIDIG_COMP_CNT: 0
; COMPUTE_PGM_RSRC3_GFX90A:ACCUM_OFFSET: 23
; COMPUTE_PGM_RSRC3_GFX90A:TG_SPLIT: 0
	.section	.text._Z39paged_attention_ll4mi_QKV_mfma16_kernelIDF16_DF16_LN4vllm18Fp8KVCacheDataTypeE0EDF16_Li32ELi128ELi256ELb1ELi13EL8MFMAType0EEvPKT_PKT0_S8_ifPKiSA_SA_iPKfiiiPfSD_PS3_PT2_iSC_SC_,"axG",@progbits,_Z39paged_attention_ll4mi_QKV_mfma16_kernelIDF16_DF16_LN4vllm18Fp8KVCacheDataTypeE0EDF16_Li32ELi128ELi256ELb1ELi13EL8MFMAType0EEvPKT_PKT0_S8_ifPKiSA_SA_iPKfiiiPfSD_PS3_PT2_iSC_SC_,comdat
	.protected	_Z39paged_attention_ll4mi_QKV_mfma16_kernelIDF16_DF16_LN4vllm18Fp8KVCacheDataTypeE0EDF16_Li32ELi128ELi256ELb1ELi13EL8MFMAType0EEvPKT_PKT0_S8_ifPKiSA_SA_iPKfiiiPfSD_PS3_PT2_iSC_SC_ ; -- Begin function _Z39paged_attention_ll4mi_QKV_mfma16_kernelIDF16_DF16_LN4vllm18Fp8KVCacheDataTypeE0EDF16_Li32ELi128ELi256ELb1ELi13EL8MFMAType0EEvPKT_PKT0_S8_ifPKiSA_SA_iPKfiiiPfSD_PS3_PT2_iSC_SC_
	.globl	_Z39paged_attention_ll4mi_QKV_mfma16_kernelIDF16_DF16_LN4vllm18Fp8KVCacheDataTypeE0EDF16_Li32ELi128ELi256ELb1ELi13EL8MFMAType0EEvPKT_PKT0_S8_ifPKiSA_SA_iPKfiiiPfSD_PS3_PT2_iSC_SC_
	.p2align	8
	.type	_Z39paged_attention_ll4mi_QKV_mfma16_kernelIDF16_DF16_LN4vllm18Fp8KVCacheDataTypeE0EDF16_Li32ELi128ELi256ELb1ELi13EL8MFMAType0EEvPKT_PKT0_S8_ifPKiSA_SA_iPKfiiiPfSD_PS3_PT2_iSC_SC_,@function
_Z39paged_attention_ll4mi_QKV_mfma16_kernelIDF16_DF16_LN4vllm18Fp8KVCacheDataTypeE0EDF16_Li32ELi128ELi256ELb1ELi13EL8MFMAType0EEvPKT_PKT0_S8_ifPKiSA_SA_iPKfiiiPfSD_PS3_PT2_iSC_SC_: ; @_Z39paged_attention_ll4mi_QKV_mfma16_kernelIDF16_DF16_LN4vllm18Fp8KVCacheDataTypeE0EDF16_Li32ELi128ELi256ELb1ELi13EL8MFMAType0EEvPKT_PKT0_S8_ifPKiSA_SA_iPKfiiiPfSD_PS3_PT2_iSC_SC_
; %bb.0:
	s_mov_b64 s[46:47], s[2:3]
	s_mov_b64 s[44:45], s[0:1]
	s_load_dwordx2 s[0:1], s[4:5], 0x30
	s_add_u32 s44, s44, s9
	s_addc_u32 s45, s45, 0
	s_mov_b32 s26, s7
	s_mov_b64 s[10:11], 0
	s_waitcnt lgkmcnt(0)
	s_cmp_lg_u64 s[0:1], 0
	s_cselect_b64 s[2:3], -1, 0
	s_and_b64 vcc, exec, s[2:3]
	s_cbranch_vccz .LBB164_7
; %bb.1:
	s_add_i32 s12, s6, 1
	s_mov_b32 s13, 0
	s_lshl_b64 s[14:15], s[12:13], 2
	s_add_u32 s14, s0, s14
	s_mov_b32 s7, s13
	s_addc_u32 s15, s1, s15
	s_lshl_b64 s[12:13], s[6:7], 2
	s_add_u32 s12, s0, s12
	s_addc_u32 s13, s1, s13
	s_load_dword s9, s[14:15], 0x0
	s_load_dword s16, s[12:13], 0x0
	s_waitcnt lgkmcnt(0)
	s_sub_i32 s9, s9, s16
	s_cmp_eq_u32 s9, 1
	s_cselect_b64 s[12:13], -1, 0
	s_andn2_b64 vcc, exec, s[10:11]
	s_cbranch_vccnz .LBB164_3
.LBB164_2:
	s_mov_b32 s7, 0
	s_mov_b64 s[12:13], -1
.LBB164_3:
	s_andn2_b64 vcc, exec, s[12:13]
	s_cbranch_vccnz .LBB164_22
; %bb.4:
	s_load_dwordx2 s[12:13], s[4:5], 0x28
	s_lshl_b64 s[10:11], s[6:7], 2
	s_waitcnt lgkmcnt(0)
	s_add_u32 s12, s12, s10
	s_addc_u32 s13, s13, s11
	s_load_dword s33, s[12:13], 0x0
	s_lshl_b32 s16, s26, 8
	s_waitcnt lgkmcnt(0)
	s_cmp_ge_i32 s16, s33
	s_cbranch_scc1 .LBB164_22
; %bb.5:
	s_add_i32 s14, s33, 31
	s_load_dwordx2 s[12:13], s[4:5], 0x20
	s_load_dword s9, s[4:5], 0x38
	s_ashr_i32 s15, s14, 31
	v_and_b32_e32 v1, 0xcf, v0
	s_lshr_b32 s15, s15, 27
	v_add_u32_e32 v1, s16, v1
	s_add_i32 s14, s14, s15
	v_ashrrev_i32_e32 v2, 31, v1
	s_ashr_i32 s19, s14, 5
	v_lshrrev_b32_e32 v6, 27, v2
	s_add_i32 s19, s19, -1
	v_add_u32_e32 v2, v1, v6
	s_waitcnt lgkmcnt(0)
	s_mul_i32 s14, s6, s9
	s_mov_b32 s15, 0
	v_ashrrev_i32_e32 v2, 5, v2
	v_mov_b32_e32 v7, s19
	v_cmp_gt_i32_e32 vcc, s33, v1
	s_lshl_b64 s[14:15], s[14:15], 2
	v_cndmask_b32_e32 v2, v7, v2, vcc
	s_add_u32 s17, s12, s14
	v_ashrrev_i32_e32 v3, 31, v2
	s_addc_u32 s18, s13, s15
	v_lshlrev_b64 v[2:3], 2, v[2:3]
	v_mov_b32_e32 v4, s18
	v_add_co_u32_e32 v2, vcc, s17, v2
	v_addc_co_u32_e32 v3, vcc, v4, v3, vcc
	v_or_b32_e32 v4, 16, v1
	v_add_u32_e32 v5, v4, v6
	v_ashrrev_i32_e32 v5, 5, v5
	v_cmp_gt_i32_e32 vcc, s33, v4
	v_cndmask_b32_e32 v4, v7, v5, vcc
	v_ashrrev_i32_e32 v5, 31, v4
	v_lshlrev_b64 v[4:5], 2, v[4:5]
	v_mov_b32_e32 v9, s18
	v_add_co_u32_e32 v8, vcc, s17, v4
	v_or_b32_e32 v4, 32, v1
	v_addc_co_u32_e32 v9, vcc, v9, v5, vcc
	v_add_u32_e32 v5, v4, v6
	v_ashrrev_i32_e32 v5, 5, v5
	v_cmp_gt_i32_e32 vcc, s33, v4
	v_cndmask_b32_e32 v4, v7, v5, vcc
	v_ashrrev_i32_e32 v5, 31, v4
	v_lshlrev_b64 v[4:5], 2, v[4:5]
	v_mov_b32_e32 v11, s18
	v_add_co_u32_e32 v10, vcc, s17, v4
	v_or_b32_e32 v1, 48, v1
	v_addc_co_u32_e32 v11, vcc, v11, v5, vcc
	v_add_u32_e32 v4, v1, v6
	v_ashrrev_i32_e32 v4, 5, v4
	v_cmp_gt_i32_e32 vcc, s33, v1
	v_cndmask_b32_e32 v4, v7, v4, vcc
	v_ashrrev_i32_e32 v5, 31, v4
	v_lshlrev_b64 v[4:5], 2, v[4:5]
	v_mov_b32_e32 v1, s18
	v_add_co_u32_e32 v12, vcc, s17, v4
	v_addc_co_u32_e32 v13, vcc, v1, v5, vcc
	global_load_dword v7, v[2:3], off
	global_load_dword v6, v[8:9], off
	;; [unrolled: 1-line block ×4, first 2 shown]
	s_andn2_b64 vcc, exec, s[2:3]
	s_cbranch_vccnz .LBB164_8
; %bb.6:
	s_add_u32 s0, s0, s10
	s_addc_u32 s1, s1, s11
	s_load_dword s9, s[0:1], 0x0
	s_branch .LBB164_9
.LBB164_7:
	s_mov_b64 s[12:13], 0
	s_branch .LBB164_2
.LBB164_8:
	s_mov_b32 s9, s6
.LBB164_9:
	s_load_dwordx2 s[12:13], s[4:5], 0x8
	s_load_dwordx4 s[0:3], s[4:5], 0x48
	v_lshrrev_b32_e32 v85, 6, v0
	v_bfe_u32 v1, v0, 4, 2
	v_lshl_or_b32 v8, v85, 2, v1
	v_and_b32_e32 v84, 15, v0
	v_lshlrev_b32_e32 v2, 3, v84
	v_cmp_lt_u32_e32 vcc, 12, v8
	s_and_saveexec_b64 s[10:11], vcc
	s_xor_b64 s[10:11], exec, s[10:11]
; %bb.10:
	v_mov_b32_e32 v3, 0
                                        ; implicit-def: $vgpr8
; %bb.11:
	s_or_saveexec_b64 s[14:15], s[10:11]
	s_load_dwordx2 s[10:11], s[4:5], 0x10
	s_mul_i32 s27, s8, 13
	s_xor_b64 exec, exec, s[14:15]
	s_cbranch_execz .LBB164_13
; %bb.12:
	s_load_dwordx2 s[20:21], s[4:5], 0x0
	s_waitcnt lgkmcnt(0)
	s_ashr_i32 s3, s0, 31
	s_mul_hi_u32 s22, s9, s0
	s_mul_i32 s3, s9, s3
	s_add_i32 s23, s22, s3
	s_mul_i32 s22, s9, s0
	s_lshl_b64 s[22:23], s[22:23], 1
	v_add_lshl_u32 v10, v8, s27, 7
	s_add_u32 s0, s20, s22
	v_ashrrev_i32_e32 v11, 31, v10
	s_addc_u32 s3, s21, s23
	v_lshlrev_b64 v[10:11], 1, v[10:11]
	v_mov_b32_e32 v3, s3
	v_add_co_u32_e32 v9, vcc, s0, v10
	v_addc_co_u32_e32 v3, vcc, v3, v11, vcc
	v_lshlrev_b32_e32 v10, 1, v2
	v_add_co_u32_e32 v10, vcc, v9, v10
	v_addc_co_u32_e32 v11, vcc, 0, v3, vcc
	global_load_dwordx4 v[10:13], v[10:11], off
	v_and_b32_e32 v9, 3, v0
	v_lshlrev_b32_e32 v14, 9, v84
	v_lshlrev_b32_e32 v8, 5, v8
	;; [unrolled: 1-line block ×3, first 2 shown]
	v_and_b32_e32 v14, 0x1800, v14
	v_mov_b32_e32 v3, 0
	v_or3_b32 v8, v14, v9, v8
	s_waitcnt vmcnt(0)
	ds_write_b128 v8, v[10:13]
.LBB164_13:
	s_or_b64 exec, exec, s[14:15]
	s_waitcnt lgkmcnt(0)
	s_mul_i32 s2, s8, s2
	s_mov_b32 s3, 0
	s_lshl_b64 s[2:3], s[2:3], 1
	s_add_u32 s0, s12, s2
	s_waitcnt vmcnt(3)
	v_mad_i64_i32 v[8:9], s[8:9], v7, s1, 0
	s_addc_u32 s12, s13, s3
	v_lshlrev_b64 v[8:9], 1, v[8:9]
	v_mov_b32_e32 v7, s12
	v_add_co_u32_e32 v8, vcc, s0, v8
	v_addc_co_u32_e32 v7, vcc, v7, v9, vcc
	v_lshlrev_b64 v[14:15], 1, v[2:3]
	v_add_co_u32_e32 v8, vcc, v8, v14
	v_lshlrev_b32_e32 v12, 9, v1
	v_addc_co_u32_e32 v7, vcc, v7, v15, vcc
	v_add_co_u32_e32 v2, vcc, v8, v12
	v_addc_co_u32_e32 v3, vcc, 0, v7, vcc
	v_or_b32_e32 v10, 0x1000, v12
	s_barrier
	global_load_dwordx4 v[38:41], v[2:3], off
	global_load_dwordx4 v[34:37], v[2:3], off offset:2048
	v_add_co_u32_e32 v2, vcc, v8, v10
	v_addc_co_u32_e32 v3, vcc, 0, v7, vcc
	v_or_b32_e32 v11, 0x1800, v12
	v_add_co_u32_e32 v8, vcc, v8, v11
	v_addc_co_u32_e32 v9, vcc, 0, v7, vcc
	global_load_dwordx4 v[46:49], v[2:3], off
	global_load_dwordx4 v[58:61], v[8:9], off
	s_waitcnt vmcnt(6)
	v_mad_i64_i32 v[2:3], s[8:9], v6, s1, 0
	v_lshlrev_b64 v[2:3], 1, v[2:3]
	v_mov_b32_e32 v6, s12
	v_add_co_u32_e32 v2, vcc, s0, v2
	v_addc_co_u32_e32 v3, vcc, v6, v3, vcc
	v_mov_b32_e32 v6, 0x100
	v_lshl_or_b32 v8, v84, 4, v6
	v_add_co_u32_e32 v6, vcc, v2, v8
	v_addc_co_u32_e32 v7, vcc, 0, v3, vcc
	v_add_co_u32_e32 v2, vcc, v6, v12
	v_addc_co_u32_e32 v3, vcc, 0, v7, vcc
	global_load_dwordx4 v[74:77], v[2:3], off
	global_load_dwordx4 v[70:73], v[2:3], off offset:2048
	v_add_co_u32_e32 v2, vcc, v6, v10
	v_addc_co_u32_e32 v3, vcc, 0, v7, vcc
	v_add_co_u32_e32 v6, vcc, v6, v11
	v_addc_co_u32_e32 v7, vcc, 0, v7, vcc
	global_load_dwordx4 v[78:81], v[2:3], off
	global_load_dwordx4 v[66:69], v[6:7], off
	s_waitcnt vmcnt(9)
	v_mad_i64_i32 v[2:3], s[8:9], v5, s1, 0
	v_lshlrev_b64 v[2:3], 1, v[2:3]
	v_mov_b32_e32 v5, s12
	v_add_co_u32_e32 v2, vcc, s0, v2
	v_addc_co_u32_e32 v3, vcc, v5, v3, vcc
	v_add_co_u32_e32 v5, vcc, v2, v14
	buffer_store_dword v14, off, s[44:47], 0 ; 4-byte Folded Spill
	s_nop 0
	buffer_store_dword v15, off, s[44:47], 0 offset:4 ; 4-byte Folded Spill
	v_and_b32_e32 v94, 63, v0
	v_mov_b32_e32 v87, 0
	v_addc_co_u32_e32 v7, vcc, v3, v15, vcc
	v_add_co_u32_e32 v2, vcc, v5, v12
	v_addc_co_u32_e32 v3, vcc, 0, v7, vcc
	global_load_dwordx4 v[62:65], v[2:3], off
	global_load_dwordx4 v[42:45], v[2:3], off offset:2048
	v_add_co_u32_e32 v2, vcc, v5, v10
	v_addc_co_u32_e32 v3, vcc, 0, v7, vcc
	v_add_co_u32_e32 v6, vcc, v5, v11
	v_addc_co_u32_e32 v7, vcc, 0, v7, vcc
	global_load_dwordx4 v[26:29], v[2:3], off
	global_load_dwordx4 v[18:21], v[6:7], off
	s_waitcnt vmcnt(14)
	v_mad_i64_i32 v[2:3], s[8:9], v4, s1, 0
	v_lshlrev_b64 v[2:3], 1, v[2:3]
	v_mov_b32_e32 v4, s12
	v_add_co_u32_e32 v2, vcc, s0, v2
	v_addc_co_u32_e32 v3, vcc, v4, v3, vcc
	v_add_co_u32_e32 v4, vcc, v2, v8
	v_addc_co_u32_e32 v5, vcc, 0, v3, vcc
	;; [unrolled: 2-line block ×3, first 2 shown]
	global_load_dwordx4 v[14:17], v[2:3], off
	global_load_dwordx4 v[6:9], v[2:3], off offset:2048
	v_add_co_u32_e32 v2, vcc, v4, v10
	v_addc_co_u32_e32 v3, vcc, 0, v5, vcc
	v_add_co_u32_e32 v10, vcc, v4, v11
	v_addc_co_u32_e32 v11, vcc, 0, v5, vcc
	global_load_dwordx4 v[2:5], v[2:3], off
	s_nop 0
	global_load_dwordx4 v[50:53], v[10:11], off
	v_add_u32_e32 v10, -13, v84
	v_cmp_gt_u32_e32 vcc, 13, v84
	v_cndmask_b32_e32 v10, v10, v84, vcc
	v_lshl_add_u32 v54, v10, 5, v12
	ds_read_b128 v[30:33], v54
	ds_read_b128 v[22:25], v54 offset:2048
	ds_read_b128 v[10:13], v54 offset:4096
	;; [unrolled: 1-line block ×3, first 2 shown]
	s_and_saveexec_b64 s[8:9], vcc
	s_cbranch_execz .LBB164_15
; %bb.14:
	s_load_dwordx2 s[12:13], s[4:5], 0x40
	v_add_u32_e32 v82, s27, v84
	v_ashrrev_i32_e32 v83, 31, v82
	v_lshlrev_b64 v[82:83], 2, v[82:83]
	s_waitcnt lgkmcnt(0)
	v_mov_b32_e32 v87, s13
	v_add_co_u32_e32 v82, vcc, s12, v82
	v_addc_co_u32_e32 v83, vcc, v87, v83, vcc
	global_load_dword v87, v[82:83], off
.LBB164_15:
	s_or_b64 exec, exec, s[8:9]
	s_waitcnt vmcnt(17) lgkmcnt(3)
	v_mfma_f32_16x16x16f16 v[88:91], v[38:39], v[30:31], 0
	s_ashr_i32 s0, s16, 31
	s_lshr_b32 s0, s0, 27
	s_add_u32 s2, s10, s2
	s_addc_u32 s3, s11, s3
	s_mov_b32 s40, 0xff7fffff
	v_mfma_f32_16x16x16f16 v[38:41], v[40:41], v[32:33], v[88:91]
	s_waitcnt vmcnt(16) lgkmcnt(2)
	v_mfma_f32_16x16x16f16 v[38:41], v[34:35], v[22:23], v[38:41]
	s_nop 4
	v_lshl_or_b32 v88, v85, 4, v84
	v_mfma_f32_16x16x16f16 v[34:37], v[36:37], v[24:25], v[38:41]
	s_waitcnt vmcnt(15) lgkmcnt(1)
	v_mfma_f32_16x16x16f16 v[34:37], v[46:47], v[10:11], v[34:37]
	v_and_or_b32 v46, v0, 48, s16
	s_nop 3
	v_add_u32_e32 v38, s0, v46
	v_ashrrev_i32_e32 v38, 5, v38
	v_mov_b32_e32 v47, s19
	v_cmp_gt_i32_e32 vcc, s33, v46
	v_cndmask_b32_e32 v38, v47, v38, vcc
	v_ashrrev_i32_e32 v39, 31, v38
	v_mfma_f32_16x16x16f16 v[34:37], v[48:49], v[12:13], v[34:37]
	v_or_b32_e32 v40, 64, v46
	v_add_u32_e32 v41, s0, v40
	v_ashrrev_i32_e32 v41, 5, v41
	v_mov_b32_e32 v48, s18
	s_waitcnt vmcnt(14) lgkmcnt(0)
	v_mfma_f32_16x16x16f16 v[34:37], v[58:59], v[54:55], v[34:37]
	v_mfma_f32_16x16x16f16 v[58:61], v[60:61], v[56:57], v[34:37]
	s_waitcnt vmcnt(13)
	v_mfma_f32_16x16x16f16 v[34:37], v[74:75], v[30:31], 0
	v_mfma_f32_16x16x16f16 v[34:37], v[76:77], v[32:33], v[34:37]
	v_lshlrev_b32_e32 v76, 6, v88
	s_waitcnt vmcnt(12)
	v_mfma_f32_16x16x16f16 v[34:37], v[70:71], v[22:23], v[34:37]
	v_mfma_f32_16x16x16f16 v[34:37], v[72:73], v[24:25], v[34:37]
	s_waitcnt vmcnt(11)
	v_mfma_f32_16x16x16f16 v[34:37], v[78:79], v[10:11], v[34:37]
	v_mfma_f32_16x16x16f16 v[34:37], v[80:81], v[12:13], v[34:37]
	;; [unrolled: 3-line block ×3, first 2 shown]
	s_nop 7
	s_nop 1
	v_lshlrev_b64 v[34:35], 2, v[38:39]
	v_mov_b32_e32 v36, s18
	v_add_co_u32_e32 v38, vcc, s17, v34
	v_addc_co_u32_e32 v39, vcc, v36, v35, vcc
	v_cmp_gt_i32_e32 vcc, s33, v40
	v_cndmask_b32_e32 v40, v47, v41, vcc
	v_ashrrev_i32_e32 v41, 31, v40
	v_lshlrev_b64 v[40:41], 2, v[40:41]
	v_add_co_u32_e32 v40, vcc, s17, v40
	v_addc_co_u32_e32 v41, vcc, v48, v41, vcc
	global_load_dword v48, v[38:39], off
	s_nop 0
	global_load_dword v40, v[40:41], off
	v_or_b32_e32 v38, 0x80, v46
	v_add_u32_e32 v39, s0, v38
	v_ashrrev_i32_e32 v39, 5, v39
	v_cmp_gt_i32_e32 vcc, s33, v38
	v_cndmask_b32_e32 v38, v47, v39, vcc
	v_ashrrev_i32_e32 v39, 31, v38
	v_lshlrev_b64 v[38:39], 2, v[38:39]
	v_mov_b32_e32 v41, s18
	v_add_co_u32_e32 v38, vcc, s17, v38
	v_addc_co_u32_e32 v39, vcc, v41, v39, vcc
	s_waitcnt vmcnt(9)
	v_mfma_f32_16x16x16f16 v[34:37], v[62:63], v[30:31], 0
	global_load_dword v62, v[38:39], off
	v_or_b32_e32 v38, 0xc0, v46
	v_add_u32_e32 v39, s0, v38
	v_ashrrev_i32_e32 v39, 5, v39
	v_cmp_gt_i32_e32 vcc, s33, v38
	v_cndmask_b32_e32 v38, v47, v39, vcc
	v_ashrrev_i32_e32 v39, 31, v38
	v_mfma_f32_16x16x16f16 v[34:37], v[64:65], v[32:33], v[34:37]
	s_load_dword s0, s[4:5], 0x1c
	s_waitcnt lgkmcnt(0)
	v_pk_mul_f32 v[58:59], s[0:1], v[58:59] op_sel_hi:[0,1]
	s_waitcnt vmcnt(9)
	v_mfma_f32_16x16x16f16 v[34:37], v[42:43], v[22:23], v[34:37]
	v_mfma_f32_16x16x16f16 v[34:37], v[44:45], v[24:25], v[34:37]
	s_waitcnt vmcnt(8)
	v_mfma_f32_16x16x16f16 v[34:37], v[26:27], v[10:11], v[34:37]
	v_lshlrev_b64 v[26:27], 2, v[38:39]
	v_mov_b32_e32 v39, s18
	v_add_co_u32_e32 v38, vcc, s17, v26
	v_addc_co_u32_e32 v39, vcc, v39, v27, vcc
	global_load_dword v63, v[38:39], off
	v_mfma_f32_16x16x16f16 v[26:29], v[28:29], v[12:13], v[34:37]
	s_waitcnt vmcnt(8)
	v_mfma_f32_16x16x16f16 v[26:29], v[18:19], v[54:55], v[26:29]
	s_nop 4
	v_and_b32_e32 v34, 16, v0
	v_lshlrev_b32_e32 v34, 1, v34
	v_mov_b32_e32 v18, s3
	v_add_co_u32_e32 v74, vcc, s2, v34
	v_addc_co_u32_e32 v75, vcc, 0, v18, vcc
	v_mfma_f32_16x16x16f16 v[90:93], v[20:21], v[56:57], v[26:29]
	v_add_co_u32_e32 v77, vcc, v74, v76
	v_addc_co_u32_e32 v78, vcc, 0, v75, vcc
	s_waitcnt vmcnt(3)
	v_mad_i64_i32 v[18:19], s[2:3], v48, s1, 0
	v_lshlrev_b64 v[70:71], 1, v[18:19]
	v_mfma_f32_16x16x16f16 v[18:21], v[14:15], v[30:31], 0
	v_add_co_u32_e32 v14, vcc, v77, v70
	v_addc_co_u32_e32 v15, vcc, v78, v71, vcc
	global_load_dwordx4 v[46:49], v[14:15], off
	global_load_dwordx4 v[42:45], v[14:15], off offset:16
	s_waitcnt vmcnt(4)
	v_mad_i64_i32 v[14:15], s[2:3], v40, s1, 0
	v_lshlrev_b64 v[72:73], 1, v[14:15]
	v_mfma_f32_16x16x16f16 v[14:17], v[16:17], v[32:33], v[18:21]
	v_mfma_f32_16x16x16f16 v[14:17], v[6:7], v[22:23], v[14:17]
	s_nop 5
	v_add_co_u32_e32 v18, vcc, v77, v72
	v_addc_co_u32_e32 v19, vcc, v78, v73, vcc
	global_load_dwordx4 v[38:41], v[18:19], off
	global_load_dwordx4 v[34:37], v[18:19], off offset:16
	s_waitcnt vmcnt(5)
	v_mad_i64_i32 v[18:19], s[2:3], v62, s1, 0
	v_lshlrev_b64 v[64:65], 1, v[18:19]
	v_add_co_u32_e32 v6, vcc, v77, v64
	v_addc_co_u32_e32 v7, vcc, v78, v65, vcc
	global_load_dwordx4 v[30:33], v[6:7], off
	global_load_dwordx4 v[26:29], v[6:7], off offset:16
	v_mfma_f32_16x16x16f16 v[6:9], v[8:9], v[24:25], v[14:17]
	v_mfma_f32_16x16x16f16 v[6:9], v[2:3], v[10:11], v[6:9]
	v_or_b32_e32 v2, 0x1000, v76
	s_waitcnt vmcnt(6)
	s_nop 3
	v_mad_i64_i32 v[14:15], s[2:3], v63, s1, 0
	v_mfma_f32_16x16x16f16 v[10:13], v[4:5], v[12:13], v[6:9]
	v_lshlrev_b64 v[62:63], 1, v[14:15]
	v_add_co_u32_e32 v14, vcc, v77, v62
	v_addc_co_u32_e32 v15, vcc, v78, v63, vcc
	v_add_co_u32_e32 v89, vcc, v74, v2
	v_mfma_f32_16x16x16f16 v[80:83], v[50:51], v[54:55], v[10:13]
	v_addc_co_u32_e32 v86, vcc, 0, v75, vcc
	v_pk_mul_f32 v[74:75], s[0:1], v[68:69] op_sel_hi:[0,1]
	v_pk_mul_f32 v[76:77], s[0:1], v[66:67] op_sel_hi:[0,1]
	;; [unrolled: 1-line block ×3, first 2 shown]
	v_add_co_u32_e32 v2, vcc, v89, v70
	v_mfma_f32_16x16x16f16 v[50:53], v[52:53], v[56:57], v[80:83]
	v_addc_co_u32_e32 v3, vcc, v86, v71, vcc
	v_add_co_u32_e32 v70, vcc, v89, v72
	v_addc_co_u32_e32 v71, vcc, v86, v73, vcc
	global_load_dwordx4 v[22:25], v[14:15], off
	global_load_dwordx4 v[18:21], v[14:15], off offset:16
	s_nop 5
	v_pk_mul_f32 v[68:69], s[0:1], v[50:51] op_sel_hi:[0,1]
	v_and_b32_e32 v50, 0xc0, v0
	v_add_u32_e32 v50, s16, v50
	v_lshl_or_b32 v50, v1, 2, v50
	v_or_b32_e32 v51, 1, v50
	v_pk_mul_f32 v[66:67], s[0:1], v[52:53] op_sel_hi:[0,1]
	v_subrev_u32_e32 v52, s33, v51
	v_add_u32_e32 v54, 1, v52
	v_add_u32_e32 v55, 2, v52
	v_cvt_f32_i32_e32 v53, v52
	v_cvt_f32_i32_e32 v54, v54
	;; [unrolled: 1-line block ×3, first 2 shown]
	v_add_u32_e32 v56, 3, v52
	v_fma_f32 v58, v87, v53, v58
	v_fmac_f32_e32 v59, v87, v54
	v_fma_f32 v78, v87, v55, v78
	v_add_u32_e32 v53, 16, v52
	v_add_u32_e32 v54, 17, v52
	;; [unrolled: 1-line block ×3, first 2 shown]
	v_cvt_f32_i32_e32 v56, v56
	v_cvt_f32_i32_e32 v53, v53
	;; [unrolled: 1-line block ×4, first 2 shown]
	v_fmac_f32_e32 v79, v87, v56
	v_add_u32_e32 v56, 19, v52
	v_fma_f32 v76, v87, v53, v76
	v_fmac_f32_e32 v77, v87, v54
	v_fma_f32 v74, v87, v55, v74
	v_add_u32_e32 v53, 32, v52
	v_add_u32_e32 v54, 33, v52
	;; [unrolled: 1-line block ×3, first 2 shown]
	v_cvt_f32_i32_e32 v56, v56
	v_cvt_f32_i32_e32 v53, v53
	;; [unrolled: 1-line block ×4, first 2 shown]
	global_load_dwordx4 v[6:9], v[2:3], off
	s_nop 0
	global_load_dwordx4 v[2:5], v[2:3], off offset:16
	s_nop 0
	global_load_dwordx4 v[14:17], v[70:71], off
	global_load_dwordx4 v[10:13], v[70:71], off offset:16
	v_pk_mul_f32 v[70:71], s[0:1], v[92:93] op_sel_hi:[0,1]
	v_pk_mul_f32 v[72:73], s[0:1], v[90:91] op_sel_hi:[0,1]
	v_fmac_f32_e32 v75, v87, v56
	v_add_u32_e32 v56, 35, v52
	v_fma_f32 v72, v87, v53, v72
	v_fmac_f32_e32 v73, v87, v54
	v_fma_f32 v70, v87, v55, v70
	v_add_u32_e32 v53, 48, v52
	v_add_u32_e32 v54, 49, v52
	;; [unrolled: 1-line block ×4, first 2 shown]
	v_cvt_f32_i32_e32 v52, v52
	v_cvt_f32_i32_e32 v53, v53
	;; [unrolled: 1-line block ×3, first 2 shown]
	v_cmp_gt_i32_e64 s[28:29], s33, v50
	v_fmac_f32_e32 v67, v87, v52
	v_mov_b32_e32 v52, 0xff7fffff
	v_cmp_gt_i32_e64 s[30:31], s33, v51
	v_fma_f32 v68, v87, v53, v68
	v_cndmask_b32_e64 v53, v52, v58, s[28:29]
	v_cndmask_b32_e64 v51, v52, v59, s[30:31]
	v_fmac_f32_e32 v69, v87, v54
	v_max3_f32 v51, v53, s40, v51
	v_or_b32_e32 v53, 2, v50
	v_or_b32_e32 v54, 3, v50
	v_cmp_gt_i32_e64 s[34:35], s33, v53
	v_cmp_gt_i32_e64 s[36:37], s33, v54
	v_cndmask_b32_e64 v53, v52, v78, s[34:35]
	v_cndmask_b32_e64 v54, v52, v79, s[36:37]
	v_max3_f32 v51, v51, v53, v54
	v_or_b32_e32 v53, 16, v50
	v_or_b32_e32 v54, 17, v50
	v_cmp_gt_i32_e64 s[22:23], s33, v53
	v_cmp_gt_i32_e64 s[24:25], s33, v54
	v_cndmask_b32_e64 v53, v52, v76, s[22:23]
	v_cndmask_b32_e64 v54, v52, v77, s[24:25]
	;; [unrolled: 7-line block ×3, first 2 shown]
	v_cvt_f32_i32_e32 v56, v56
	v_max3_f32 v51, v51, v53, v54
	v_or_b32_e32 v53, 32, v50
	v_or_b32_e32 v54, 33, v50
	v_cmp_gt_i32_e64 s[14:15], s33, v53
	v_cmp_gt_i32_e64 s[16:17], s33, v54
	v_cndmask_b32_e64 v53, v52, v72, s[14:15]
	v_cndmask_b32_e64 v54, v52, v73, s[16:17]
	v_max3_f32 v51, v51, v53, v54
	v_or_b32_e32 v53, 34, v50
	v_or_b32_e32 v54, 35, v50
	v_fmac_f32_e32 v71, v87, v56
	v_cmp_gt_i32_e64 s[10:11], s33, v53
	v_cmp_gt_i32_e64 s[12:13], s33, v54
	v_cndmask_b32_e64 v53, v52, v70, s[10:11]
	v_cndmask_b32_e64 v54, v52, v71, s[12:13]
	v_cvt_f32_i32_e32 v55, v55
	v_max3_f32 v51, v51, v53, v54
	v_or_b32_e32 v53, 48, v50
	v_or_b32_e32 v54, 49, v50
	v_cmp_gt_i32_e64 s[2:3], s33, v53
	v_cmp_gt_i32_e64 s[8:9], s33, v54
	v_cndmask_b32_e64 v53, v52, v68, s[2:3]
	v_cndmask_b32_e64 v54, v52, v69, s[8:9]
	v_max3_f32 v51, v51, v53, v54
	v_or_b32_e32 v53, 50, v50
	v_or_b32_e32 v50, 51, v50
	v_fma_f32 v66, v87, v55, v66
	v_cmp_gt_i32_e32 vcc, s33, v53
	v_cmp_gt_i32_e64 s[0:1], s33, v50
	v_cndmask_b32_e32 v53, v52, v66, vcc
	v_cndmask_b32_e64 v50, v52, v67, s[0:1]
	v_max3_f32 v60, v51, v53, v50
	v_mbcnt_lo_u32_b32 v50, -1, 0
	v_mbcnt_hi_u32_b32 v61, -1, v50
	v_and_b32_e32 v50, 64, v61
	v_add_u32_e32 v80, 64, v50
	v_xor_b32_e32 v50, 32, v61
	v_cmp_lt_i32_e64 s[38:39], v50, v80
	v_cndmask_b32_e64 v50, v61, v50, s[38:39]
	v_lshlrev_b32_e32 v82, 2, v50
	ds_bpermute_b32 v81, v82, v60
	v_add_co_u32_e64 v50, s[38:39], v89, v64
	v_addc_co_u32_e64 v51, s[38:39], v86, v65, s[38:39]
	s_waitcnt lgkmcnt(0)
	v_max_f32_e32 v64, v81, v81
	v_max_f32_e32 v64, v60, v64
	v_xor_b32_e32 v60, 16, v61
	v_cmp_lt_i32_e64 s[38:39], v60, v80
	v_cndmask_b32_e64 v60, v61, v60, s[38:39]
	v_lshlrev_b32_e32 v83, 2, v60
	ds_bpermute_b32 v65, v83, v64
	v_add_co_u32_e64 v60, s[38:39], v89, v62
	v_addc_co_u32_e64 v61, s[38:39], v86, v63, s[38:39]
	s_waitcnt lgkmcnt(0)
	v_max_f32_e32 v62, v65, v65
	v_max_f32_e32 v87, v64, v62
	v_sub_f32_e32 v58, v58, v87
	v_mul_f32_e32 v58, 0x3fb8aa3b, v58
	v_exp_f32_e32 v80, v58
	v_sub_f32_e32 v58, v59, v87
	v_mul_f32_e32 v58, 0x3fb8aa3b, v58
	global_load_dwordx4 v[54:57], v[50:51], off
	s_nop 0
	global_load_dwordx4 v[50:53], v[50:51], off offset:16
	v_exp_f32_e32 v81, v58
	global_load_dwordx4 v[62:65], v[60:61], off
	s_nop 0
	global_load_dwordx4 v[58:61], v[60:61], off offset:16
	v_sub_f32_e32 v78, v78, v87
	v_mul_f32_e32 v78, 0x3fb8aa3b, v78
	v_sub_f32_e32 v79, v79, v87
	v_exp_f32_e32 v78, v78
	v_mul_f32_e32 v79, 0x3fb8aa3b, v79
	v_sub_f32_e32 v76, v76, v87
	v_exp_f32_e32 v79, v79
	v_mul_f32_e32 v76, 0x3fb8aa3b, v76
	v_sub_f32_e32 v77, v77, v87
	v_cndmask_b32_e64 v80, 0, v80, s[28:29]
	v_exp_f32_e32 v76, v76
	v_mul_f32_e32 v77, 0x3fb8aa3b, v77
	v_sub_f32_e32 v74, v74, v87
	v_add_f32_e32 v86, 0, v80
	v_cndmask_b32_e64 v81, 0, v81, s[30:31]
	v_exp_f32_e32 v77, v77
	v_mul_f32_e32 v74, 0x3fb8aa3b, v74
	v_sub_f32_e32 v75, v75, v87
	v_add_f32_e32 v86, v86, v81
	;; [unrolled: 5-line block ×10, first 2 shown]
	v_cndmask_b32_e64 v70, 0, v70, s[10:11]
	v_exp_f32_e32 v66, v66
	v_mul_f32_e32 v67, 0x3fb8aa3b, v67
	v_add_f32_e32 v86, v86, v70
	v_cndmask_b32_e64 v71, 0, v71, s[12:13]
	v_exp_f32_e32 v67, v67
	v_add_f32_e32 v86, v86, v71
	v_cndmask_b32_e64 v68, 0, v68, s[2:3]
	v_add_f32_e32 v86, v86, v68
	v_cndmask_b32_e64 v69, 0, v69, s[8:9]
	v_add_f32_e32 v86, v86, v69
	v_cndmask_b32_e32 v66, 0, v66, vcc
	v_add_f32_e32 v86, v86, v66
	v_cndmask_b32_e64 v67, 0, v67, s[0:1]
	v_add_f32_e32 v86, v86, v67
	ds_bpermute_b32 v82, v82, v86
	s_load_dword s9, s[4:5], 0x98
	v_cmp_gt_u32_e64 s[0:1], 16, v94
	s_waitcnt lgkmcnt(0)
	s_barrier
	v_add_f32_e32 v89, v86, v82
	ds_bpermute_b32 v90, v83, v89
	s_waitcnt lgkmcnt(0)
	s_and_saveexec_b64 s[2:3], s[0:1]
	s_cbranch_execz .LBB164_17
; %bb.16:
	v_add_f32_e32 v82, v89, v90
	v_lshlrev_b32_e32 v83, 2, v88
	ds_write2st64_b32 v83, v87, v82 offset1:1
.LBB164_17:
	s_or_b64 exec, exec, s[2:3]
	v_lshlrev_b32_e32 v87, 2, v84
	s_load_dword s8, s[4:5], 0x94
	s_waitcnt lgkmcnt(0)
	s_barrier
	ds_read2_b32 v[82:83], v87 offset1:16
	ds_read2_b32 v[88:89], v87 offset0:32 offset1:48
	ds_read2_b32 v[90:91], v87 offset0:64 offset1:80
	s_mul_i32 s9, s9, 13
	s_waitcnt lgkmcnt(2)
	v_max3_f32 v86, v82, s40, v83
	s_waitcnt lgkmcnt(1)
	v_max3_f32 v86, v86, v88, v89
	v_sub_f32_e32 v82, v82, v86
	v_mul_f32_e32 v82, 0x3fb8aa3b, v82
	v_exp_f32_e32 v92, v82
	v_sub_f32_e32 v82, v83, v86
	v_mul_f32_e32 v82, 0x3fb8aa3b, v82
	v_exp_f32_e32 v93, v82
	;; [unrolled: 3-line block ×3, first 2 shown]
	ds_read2_b32 v[82:83], v87 offset0:96 offset1:112
	v_sub_f32_e32 v87, v89, v86
	v_mul_f32_e32 v87, 0x3fb8aa3b, v87
	v_exp_f32_e32 v89, v87
	s_waitcnt lgkmcnt(1)
	v_fma_f32 v87, v92, v90, 0
	v_fmac_f32_e32 v87, v93, v91
	s_waitcnt lgkmcnt(0)
	v_fmac_f32_e32 v87, v88, v82
	v_fmac_f32_e32 v87, v89, v83
	v_add_f32_e32 v82, 0x358637bd, v87
	v_div_scale_f32 v83, s[2:3], v82, v82, 1.0
	v_rcp_f32_e32 v90, v83
	s_barrier
	v_fma_f32 v91, -v83, v90, 1.0
	v_fmac_f32_e32 v90, v91, v90
	v_div_scale_f32 v91, vcc, 1.0, v82, 1.0
	v_mul_f32_e32 v94, v91, v90
	v_fma_f32 v95, -v83, v94, v91
	v_fmac_f32_e32 v94, v95, v90
	v_fma_f32 v83, -v83, v94, v91
	v_div_fmas_f32 v83, v83, v90, v94
	v_cmp_eq_u32_e32 vcc, 1, v85
	v_div_fixup_f32 v82, v83, v82, 1.0
	v_cndmask_b32_e32 v83, v92, v93, vcc
	v_cmp_eq_u32_e32 vcc, 2, v85
	v_cndmask_b32_e32 v83, v83, v88, vcc
	v_cmp_eq_u32_e32 vcc, 3, v85
	v_cndmask_b32_e32 v83, v83, v89, vcc
	v_mul_f32_e32 v82, v83, v82
	v_pk_mul_f32 v[78:79], v[82:83], v[78:79] op_sel_hi:[0,1]
	v_pk_mul_f32 v[80:81], v[82:83], v[80:81] op_sel_hi:[0,1]
	v_cvt_f16_f32_e32 v80, v80
	v_cvt_f16_f32_e32 v81, v81
	v_cvt_f16_f32_e32 v78, v78
	v_cvt_f16_f32_e32 v79, v79
	v_pk_mul_f32 v[74:75], v[82:83], v[74:75] op_sel_hi:[0,1]
	v_pk_mul_f32 v[76:77], v[82:83], v[76:77] op_sel_hi:[0,1]
	v_cvt_f16_f32_e32 v76, v76
	v_cvt_f16_f32_e32 v77, v77
	;; [unrolled: 1-line block ×4, first 2 shown]
	v_pack_b32_f16 v80, v80, v81
	v_pack_b32_f16 v81, v78, v79
	v_lshlrev_b32_e32 v79, 3, v1
	v_lshlrev_b32_e32 v78, 5, v84
	;; [unrolled: 1-line block ×3, first 2 shown]
	v_or3_b32 v74, v74, v78, v79
	v_pack_b32_f16 v76, v76, v77
	v_pack_b32_f16 v77, v83, v75
	v_pk_mul_f32 v[70:71], v[82:83], v[70:71] op_sel_hi:[0,1]
	v_pk_mul_f32 v[72:73], v[82:83], v[72:73] op_sel_hi:[0,1]
	;; [unrolled: 1-line block ×4, first 2 shown]
	ds_write2st64_b64 v74, v[80:81], v[76:77] offset1:1
	v_cvt_f16_f32_e32 v72, v72
	v_cvt_f16_f32_e32 v73, v73
	;; [unrolled: 1-line block ×8, first 2 shown]
	v_pack_b32_f16 v66, v72, v73
	v_pack_b32_f16 v67, v70, v71
	;; [unrolled: 1-line block ×4, first 2 shown]
	v_cmp_gt_u32_e32 vcc, 13, v0
	ds_write2st64_b64 v74, v[66:67], v[68:69] offset0:2 offset1:3
	s_and_saveexec_b64 s[2:3], vcc
	s_cbranch_execz .LBB164_19
; %bb.18:
	v_add_co_u32_e32 v68, vcc, s27, v84
	v_addc_co_u32_e64 v69, s[10:11], 0, 0, vcc
	v_mov_b32_e32 v66, s9
	v_mov_b32_e32 v67, 0
	v_mad_u64_u32 v[68:69], s[10:11], s6, v66, v[68:69]
	v_mov_b32_e32 v66, s26
	s_load_dwordx4 s[12:15], s[4:5], 0x58
	s_mul_i32 s7, s7, s9
	v_mad_u64_u32 v[66:67], s[10:11], v68, s8, v[66:67]
	v_add_u32_e32 v69, s7, v69
	v_mov_b32_e32 v68, v67
	v_mad_u64_u32 v[68:69], s[10:11], v69, s8, v[68:69]
	v_mov_b32_e32 v67, v68
	v_lshlrev_b64 v[66:67], 2, v[66:67]
	s_waitcnt lgkmcnt(0)
	v_mov_b32_e32 v69, s15
	v_add_co_u32_e32 v68, vcc, s14, v66
	v_addc_co_u32_e32 v69, vcc, v69, v67, vcc
	global_store_dword v[68:69], v86, off
	v_mov_b32_e32 v68, s13
	v_add_co_u32_e32 v66, vcc, s12, v66
	v_addc_co_u32_e32 v67, vcc, v68, v67, vcc
	global_store_dword v[66:67], v87, off
.LBB164_19:
	s_or_b64 exec, exec, s[2:3]
	v_lshl_or_b32 v75, v1, 9, v78
	s_waitcnt lgkmcnt(0)
	s_barrier
	ds_read_b128 v[70:73], v75
	ds_read_b128 v[66:69], v75 offset:16
	s_waitcnt vmcnt(15) lgkmcnt(1)
	v_mfma_f32_16x16x16f16 v[76:79], v[46:47], v[70:71], 0
	s_mov_b32 s3, 0
	v_cmp_gt_u32_e32 vcc, 64, v0
	v_mfma_f32_16x16x16f16 v[46:49], v[48:49], v[72:73], v[76:79]
	s_waitcnt vmcnt(14) lgkmcnt(0)
	v_mfma_f32_16x16x16f16 v[46:49], v[42:43], v[66:67], v[46:49]
	v_mfma_f32_16x16x16f16 v[42:45], v[44:45], v[68:69], v[46:49]
	s_nop 7
	s_nop 1
	ds_read_b128 v[46:49], v75 offset:2048
	ds_read_b128 v[76:79], v75 offset:2064
	s_waitcnt vmcnt(13) lgkmcnt(1)
	v_mfma_f32_16x16x16f16 v[42:45], v[38:39], v[46:47], v[42:45]
	v_mfma_f32_16x16x16f16 v[38:41], v[40:41], v[48:49], v[42:45]
	s_waitcnt vmcnt(12) lgkmcnt(0)
	v_mfma_f32_16x16x16f16 v[38:41], v[34:35], v[76:77], v[38:41]
	v_mfma_f32_16x16x16f16 v[34:37], v[36:37], v[78:79], v[38:41]
	s_nop 7
	s_nop 1
	ds_read_b128 v[38:41], v75 offset:4096
	ds_read_b128 v[42:45], v75 offset:4112
	s_waitcnt vmcnt(11) lgkmcnt(1)
	v_mfma_f32_16x16x16f16 v[34:37], v[30:31], v[38:39], v[34:37]
	v_mfma_f32_16x16x16f16 v[30:33], v[32:33], v[40:41], v[34:37]
	s_waitcnt vmcnt(10) lgkmcnt(0)
	v_mfma_f32_16x16x16f16 v[30:33], v[26:27], v[42:43], v[30:33]
	v_mfma_f32_16x16x16f16 v[26:29], v[28:29], v[44:45], v[30:33]
	s_nop 7
	s_nop 1
	ds_read_b128 v[30:33], v75 offset:6144
	ds_read_b128 v[34:37], v75 offset:6160
	s_waitcnt lgkmcnt(0)
	s_barrier
	s_waitcnt vmcnt(9)
	v_mfma_f32_16x16x16f16 v[26:29], v[22:23], v[30:31], v[26:29]
	v_mfma_f32_16x16x16f16 v[22:25], v[24:25], v[32:33], v[26:29]
	s_waitcnt vmcnt(8)
	v_mfma_f32_16x16x16f16 v[22:25], v[18:19], v[34:35], v[22:25]
	v_mfma_f32_16x16x16f16 v[18:21], v[20:21], v[36:37], v[22:25]
	;; [unrolled: 3-line block ×4, first 2 shown]
	s_waitcnt vmcnt(5)
	v_mfma_f32_16x16x16f16 v[2:5], v[14:15], v[46:47], v[2:5]
	s_nop 7
	v_cvt_f16_f32_e32 v6, v18
	v_cvt_f16_f32_e32 v7, v19
	;; [unrolled: 1-line block ×4, first 2 shown]
	v_mfma_f32_16x16x16f16 v[2:5], v[16:17], v[48:49], v[2:5]
	s_waitcnt vmcnt(4)
	v_mfma_f32_16x16x16f16 v[2:5], v[10:11], v[76:77], v[2:5]
	v_mfma_f32_16x16x16f16 v[2:5], v[12:13], v[78:79], v[2:5]
	s_waitcnt vmcnt(3)
	v_mfma_f32_16x16x16f16 v[2:5], v[54:55], v[38:39], v[2:5]
	;; [unrolled: 3-line block ×5, first 2 shown]
	v_mfma_f32_16x16x16f16 v[2:5], v[60:61], v[36:37], v[2:5]
	s_nop 7
	s_nop 2
	v_cvt_f16_f32_e32 v10, v2
	v_cvt_f16_f32_e32 v11, v3
	;; [unrolled: 1-line block ×4, first 2 shown]
	v_pack_b32_f16 v2, v6, v7
	v_pack_b32_f16 v3, v8, v9
	;; [unrolled: 1-line block ×4, first 2 shown]
	ds_write2st64_b64 v74, v[2:3], v[4:5] offset1:1
	s_waitcnt lgkmcnt(0)
	s_barrier
	s_and_saveexec_b64 s[10:11], vcc
	s_cbranch_execz .LBB164_22
; %bb.20:
	v_lshlrev_b32_e32 v4, 6, v84
	v_lshlrev_b32_e32 v3, 4, v0
	v_lshl_or_b32 v0, v0, 10, v4
	v_lshlrev_b32_e32 v2, 5, v1
	v_and_b32_e32 v3, 16, v3
	v_and_b32_e32 v0, 0x1a00, v0
	v_or3_b32 v0, v0, v2, v3
	ds_read_b128 v[4:7], v0 offset:256
	buffer_load_dword v8, off, s[44:47], 0  ; 4-byte Folded Reload
	buffer_load_dword v9, off, s[44:47], 0 offset:4 ; 4-byte Folded Reload
	s_load_dwordx2 s[10:11], s[4:5], 0x68
	s_lshl_b32 s4, s8, 7
	s_mul_i32 s2, s9, s6
	s_mul_hi_u32 s7, s2, s4
	s_mul_i32 s6, s2, s4
	s_lshl_b64 s[6:7], s[6:7], 1
	s_waitcnt lgkmcnt(0)
	s_add_u32 s5, s10, s6
	s_addc_u32 s6, s11, s7
	s_lshl_b32 s2, s26, 7
	s_lshl_b64 s[2:3], s[2:3], 1
	s_add_u32 s2, s5, s2
	s_addc_u32 s3, s6, s3
	v_mov_b32_e32 v3, s3
	v_add_u32_e32 v18, s27, v1
	s_waitcnt vmcnt(1)
	v_add_co_u32_e32 v2, vcc, s2, v8
	s_waitcnt vmcnt(0)
	v_addc_co_u32_e32 v3, vcc, v3, v9, vcc
	ds_read_b128 v[8:11], v0 offset:128
	ds_read_b128 v[12:15], v0
	v_mad_u64_u32 v[16:17], s[2:3], v18, s4, 0
	v_lshlrev_b64 v[16:17], 1, v[16:17]
	v_add_co_u32_e32 v16, vcc, v2, v16
	v_addc_co_u32_e32 v17, vcc, v3, v17, vcc
	s_waitcnt lgkmcnt(0)
	global_store_dwordx4 v[16:17], v[12:15], off
	s_nop 0
	v_add_u32_e32 v12, 4, v18
	v_mad_u64_u32 v[12:13], s[2:3], v12, s4, 0
	v_lshlrev_b64 v[12:13], 1, v[12:13]
	v_add_co_u32_e32 v12, vcc, v2, v12
	v_addc_co_u32_e32 v13, vcc, v3, v13, vcc
	global_store_dwordx4 v[12:13], v[8:11], off
	s_nop 0
	v_add_u32_e32 v8, 8, v18
	v_mad_u64_u32 v[8:9], s[2:3], v8, s4, 0
	v_lshlrev_b64 v[8:9], 1, v[8:9]
	v_add_co_u32_e32 v8, vcc, v2, v8
	v_addc_co_u32_e32 v9, vcc, v3, v9, vcc
	global_store_dwordx4 v[8:9], v[4:7], off
	s_and_b64 exec, exec, s[0:1]
	s_cbranch_execz .LBB164_22
; %bb.21:
	ds_read_b128 v[4:7], v0 offset:384
	v_add3_u32 v0, s27, v1, 12
	v_mad_u64_u32 v[0:1], s[0:1], v0, s4, 0
	v_lshlrev_b64 v[0:1], 1, v[0:1]
	v_add_co_u32_e32 v0, vcc, v2, v0
	v_addc_co_u32_e32 v1, vcc, v3, v1, vcc
	s_waitcnt lgkmcnt(0)
	global_store_dwordx4 v[0:1], v[4:7], off
.LBB164_22:
	s_endpgm
	.section	.rodata,"a",@progbits
	.p2align	6, 0x0
	.amdhsa_kernel _Z39paged_attention_ll4mi_QKV_mfma16_kernelIDF16_DF16_LN4vllm18Fp8KVCacheDataTypeE0EDF16_Li32ELi128ELi256ELb1ELi13EL8MFMAType0EEvPKT_PKT0_S8_ifPKiSA_SA_iPKfiiiPfSD_PS3_PT2_iSC_SC_
		.amdhsa_group_segment_fixed_size 8192
		.amdhsa_private_segment_fixed_size 12
		.amdhsa_kernarg_size 400
		.amdhsa_user_sgpr_count 6
		.amdhsa_user_sgpr_private_segment_buffer 1
		.amdhsa_user_sgpr_dispatch_ptr 0
		.amdhsa_user_sgpr_queue_ptr 0
		.amdhsa_user_sgpr_kernarg_segment_ptr 1
		.amdhsa_user_sgpr_dispatch_id 0
		.amdhsa_user_sgpr_flat_scratch_init 0
		.amdhsa_user_sgpr_kernarg_preload_length 0
		.amdhsa_user_sgpr_kernarg_preload_offset 0
		.amdhsa_user_sgpr_private_segment_size 0
		.amdhsa_uses_dynamic_stack 0
		.amdhsa_system_sgpr_private_segment_wavefront_offset 1
		.amdhsa_system_sgpr_workgroup_id_x 1
		.amdhsa_system_sgpr_workgroup_id_y 1
		.amdhsa_system_sgpr_workgroup_id_z 1
		.amdhsa_system_sgpr_workgroup_info 0
		.amdhsa_system_vgpr_workitem_id 0
		.amdhsa_next_free_vgpr 96
		.amdhsa_next_free_sgpr 48
		.amdhsa_accum_offset 96
		.amdhsa_reserve_vcc 1
		.amdhsa_reserve_flat_scratch 0
		.amdhsa_float_round_mode_32 0
		.amdhsa_float_round_mode_16_64 0
		.amdhsa_float_denorm_mode_32 3
		.amdhsa_float_denorm_mode_16_64 3
		.amdhsa_dx10_clamp 1
		.amdhsa_ieee_mode 1
		.amdhsa_fp16_overflow 0
		.amdhsa_tg_split 0
		.amdhsa_exception_fp_ieee_invalid_op 0
		.amdhsa_exception_fp_denorm_src 0
		.amdhsa_exception_fp_ieee_div_zero 0
		.amdhsa_exception_fp_ieee_overflow 0
		.amdhsa_exception_fp_ieee_underflow 0
		.amdhsa_exception_fp_ieee_inexact 0
		.amdhsa_exception_int_div_zero 0
	.end_amdhsa_kernel
	.section	.text._Z39paged_attention_ll4mi_QKV_mfma16_kernelIDF16_DF16_LN4vllm18Fp8KVCacheDataTypeE0EDF16_Li32ELi128ELi256ELb1ELi13EL8MFMAType0EEvPKT_PKT0_S8_ifPKiSA_SA_iPKfiiiPfSD_PS3_PT2_iSC_SC_,"axG",@progbits,_Z39paged_attention_ll4mi_QKV_mfma16_kernelIDF16_DF16_LN4vllm18Fp8KVCacheDataTypeE0EDF16_Li32ELi128ELi256ELb1ELi13EL8MFMAType0EEvPKT_PKT0_S8_ifPKiSA_SA_iPKfiiiPfSD_PS3_PT2_iSC_SC_,comdat
.Lfunc_end164:
	.size	_Z39paged_attention_ll4mi_QKV_mfma16_kernelIDF16_DF16_LN4vllm18Fp8KVCacheDataTypeE0EDF16_Li32ELi128ELi256ELb1ELi13EL8MFMAType0EEvPKT_PKT0_S8_ifPKiSA_SA_iPKfiiiPfSD_PS3_PT2_iSC_SC_, .Lfunc_end164-_Z39paged_attention_ll4mi_QKV_mfma16_kernelIDF16_DF16_LN4vllm18Fp8KVCacheDataTypeE0EDF16_Li32ELi128ELi256ELb1ELi13EL8MFMAType0EEvPKT_PKT0_S8_ifPKiSA_SA_iPKfiiiPfSD_PS3_PT2_iSC_SC_
                                        ; -- End function
	.section	.AMDGPU.csdata,"",@progbits
; Kernel info:
; codeLenInByte = 5168
; NumSgprs: 52
; NumVgprs: 96
; NumAgprs: 0
; TotalNumVgprs: 96
; ScratchSize: 12
; MemoryBound: 0
; FloatMode: 240
; IeeeMode: 1
; LDSByteSize: 8192 bytes/workgroup (compile time only)
; SGPRBlocks: 6
; VGPRBlocks: 11
; NumSGPRsForWavesPerEU: 52
; NumVGPRsForWavesPerEU: 96
; AccumOffset: 96
; Occupancy: 5
; WaveLimiterHint : 1
; COMPUTE_PGM_RSRC2:SCRATCH_EN: 1
; COMPUTE_PGM_RSRC2:USER_SGPR: 6
; COMPUTE_PGM_RSRC2:TRAP_HANDLER: 0
; COMPUTE_PGM_RSRC2:TGID_X_EN: 1
; COMPUTE_PGM_RSRC2:TGID_Y_EN: 1
; COMPUTE_PGM_RSRC2:TGID_Z_EN: 1
; COMPUTE_PGM_RSRC2:TIDIG_COMP_CNT: 0
; COMPUTE_PGM_RSRC3_GFX90A:ACCUM_OFFSET: 23
; COMPUTE_PGM_RSRC3_GFX90A:TG_SPLIT: 0
	.section	.text._Z39paged_attention_ll4mi_QKV_mfma16_kernelIDF16_DF16_LN4vllm18Fp8KVCacheDataTypeE0EDF16_Li32ELi128ELi256ELb1ELi14EL8MFMAType0EEvPKT_PKT0_S8_ifPKiSA_SA_iPKfiiiPfSD_PS3_PT2_iSC_SC_,"axG",@progbits,_Z39paged_attention_ll4mi_QKV_mfma16_kernelIDF16_DF16_LN4vllm18Fp8KVCacheDataTypeE0EDF16_Li32ELi128ELi256ELb1ELi14EL8MFMAType0EEvPKT_PKT0_S8_ifPKiSA_SA_iPKfiiiPfSD_PS3_PT2_iSC_SC_,comdat
	.protected	_Z39paged_attention_ll4mi_QKV_mfma16_kernelIDF16_DF16_LN4vllm18Fp8KVCacheDataTypeE0EDF16_Li32ELi128ELi256ELb1ELi14EL8MFMAType0EEvPKT_PKT0_S8_ifPKiSA_SA_iPKfiiiPfSD_PS3_PT2_iSC_SC_ ; -- Begin function _Z39paged_attention_ll4mi_QKV_mfma16_kernelIDF16_DF16_LN4vllm18Fp8KVCacheDataTypeE0EDF16_Li32ELi128ELi256ELb1ELi14EL8MFMAType0EEvPKT_PKT0_S8_ifPKiSA_SA_iPKfiiiPfSD_PS3_PT2_iSC_SC_
	.globl	_Z39paged_attention_ll4mi_QKV_mfma16_kernelIDF16_DF16_LN4vllm18Fp8KVCacheDataTypeE0EDF16_Li32ELi128ELi256ELb1ELi14EL8MFMAType0EEvPKT_PKT0_S8_ifPKiSA_SA_iPKfiiiPfSD_PS3_PT2_iSC_SC_
	.p2align	8
	.type	_Z39paged_attention_ll4mi_QKV_mfma16_kernelIDF16_DF16_LN4vllm18Fp8KVCacheDataTypeE0EDF16_Li32ELi128ELi256ELb1ELi14EL8MFMAType0EEvPKT_PKT0_S8_ifPKiSA_SA_iPKfiiiPfSD_PS3_PT2_iSC_SC_,@function
_Z39paged_attention_ll4mi_QKV_mfma16_kernelIDF16_DF16_LN4vllm18Fp8KVCacheDataTypeE0EDF16_Li32ELi128ELi256ELb1ELi14EL8MFMAType0EEvPKT_PKT0_S8_ifPKiSA_SA_iPKfiiiPfSD_PS3_PT2_iSC_SC_: ; @_Z39paged_attention_ll4mi_QKV_mfma16_kernelIDF16_DF16_LN4vllm18Fp8KVCacheDataTypeE0EDF16_Li32ELi128ELi256ELb1ELi14EL8MFMAType0EEvPKT_PKT0_S8_ifPKiSA_SA_iPKfiiiPfSD_PS3_PT2_iSC_SC_
; %bb.0:
	s_mov_b64 s[46:47], s[2:3]
	s_mov_b64 s[44:45], s[0:1]
	s_load_dwordx2 s[0:1], s[4:5], 0x30
	s_add_u32 s44, s44, s9
	s_addc_u32 s45, s45, 0
	s_mov_b32 s26, s7
	s_mov_b64 s[10:11], 0
	s_waitcnt lgkmcnt(0)
	s_cmp_lg_u64 s[0:1], 0
	s_cselect_b64 s[2:3], -1, 0
	s_and_b64 vcc, exec, s[2:3]
	s_cbranch_vccz .LBB165_7
; %bb.1:
	s_add_i32 s12, s6, 1
	s_mov_b32 s13, 0
	s_lshl_b64 s[14:15], s[12:13], 2
	s_add_u32 s14, s0, s14
	s_mov_b32 s7, s13
	s_addc_u32 s15, s1, s15
	s_lshl_b64 s[12:13], s[6:7], 2
	s_add_u32 s12, s0, s12
	s_addc_u32 s13, s1, s13
	s_load_dword s9, s[14:15], 0x0
	s_load_dword s16, s[12:13], 0x0
	s_waitcnt lgkmcnt(0)
	s_sub_i32 s9, s9, s16
	s_cmp_eq_u32 s9, 1
	s_cselect_b64 s[12:13], -1, 0
	s_andn2_b64 vcc, exec, s[10:11]
	s_cbranch_vccnz .LBB165_3
.LBB165_2:
	s_mov_b32 s7, 0
	s_mov_b64 s[12:13], -1
.LBB165_3:
	s_andn2_b64 vcc, exec, s[12:13]
	s_cbranch_vccnz .LBB165_22
; %bb.4:
	s_load_dwordx2 s[12:13], s[4:5], 0x28
	s_lshl_b64 s[10:11], s[6:7], 2
	s_waitcnt lgkmcnt(0)
	s_add_u32 s12, s12, s10
	s_addc_u32 s13, s13, s11
	s_load_dword s33, s[12:13], 0x0
	s_lshl_b32 s16, s26, 8
	s_waitcnt lgkmcnt(0)
	s_cmp_ge_i32 s16, s33
	s_cbranch_scc1 .LBB165_22
; %bb.5:
	s_add_i32 s14, s33, 31
	s_load_dwordx2 s[12:13], s[4:5], 0x20
	s_load_dword s9, s[4:5], 0x38
	s_ashr_i32 s15, s14, 31
	v_and_b32_e32 v1, 0xcf, v0
	s_lshr_b32 s15, s15, 27
	v_add_u32_e32 v1, s16, v1
	s_add_i32 s14, s14, s15
	v_ashrrev_i32_e32 v2, 31, v1
	s_ashr_i32 s19, s14, 5
	v_lshrrev_b32_e32 v6, 27, v2
	s_add_i32 s19, s19, -1
	v_add_u32_e32 v2, v1, v6
	s_waitcnt lgkmcnt(0)
	s_mul_i32 s14, s6, s9
	s_mov_b32 s15, 0
	v_ashrrev_i32_e32 v2, 5, v2
	v_mov_b32_e32 v7, s19
	v_cmp_gt_i32_e32 vcc, s33, v1
	s_lshl_b64 s[14:15], s[14:15], 2
	v_cndmask_b32_e32 v2, v7, v2, vcc
	s_add_u32 s17, s12, s14
	v_ashrrev_i32_e32 v3, 31, v2
	s_addc_u32 s18, s13, s15
	v_lshlrev_b64 v[2:3], 2, v[2:3]
	v_mov_b32_e32 v4, s18
	v_add_co_u32_e32 v2, vcc, s17, v2
	v_addc_co_u32_e32 v3, vcc, v4, v3, vcc
	v_or_b32_e32 v4, 16, v1
	v_add_u32_e32 v5, v4, v6
	v_ashrrev_i32_e32 v5, 5, v5
	v_cmp_gt_i32_e32 vcc, s33, v4
	v_cndmask_b32_e32 v4, v7, v5, vcc
	v_ashrrev_i32_e32 v5, 31, v4
	v_lshlrev_b64 v[4:5], 2, v[4:5]
	v_mov_b32_e32 v9, s18
	v_add_co_u32_e32 v8, vcc, s17, v4
	v_or_b32_e32 v4, 32, v1
	v_addc_co_u32_e32 v9, vcc, v9, v5, vcc
	v_add_u32_e32 v5, v4, v6
	v_ashrrev_i32_e32 v5, 5, v5
	v_cmp_gt_i32_e32 vcc, s33, v4
	v_cndmask_b32_e32 v4, v7, v5, vcc
	v_ashrrev_i32_e32 v5, 31, v4
	v_lshlrev_b64 v[4:5], 2, v[4:5]
	v_mov_b32_e32 v11, s18
	v_add_co_u32_e32 v10, vcc, s17, v4
	v_or_b32_e32 v1, 48, v1
	v_addc_co_u32_e32 v11, vcc, v11, v5, vcc
	v_add_u32_e32 v4, v1, v6
	v_ashrrev_i32_e32 v4, 5, v4
	v_cmp_gt_i32_e32 vcc, s33, v1
	v_cndmask_b32_e32 v4, v7, v4, vcc
	v_ashrrev_i32_e32 v5, 31, v4
	v_lshlrev_b64 v[4:5], 2, v[4:5]
	v_mov_b32_e32 v1, s18
	v_add_co_u32_e32 v12, vcc, s17, v4
	v_addc_co_u32_e32 v13, vcc, v1, v5, vcc
	global_load_dword v7, v[2:3], off
	global_load_dword v6, v[8:9], off
	;; [unrolled: 1-line block ×4, first 2 shown]
	s_andn2_b64 vcc, exec, s[2:3]
	s_cbranch_vccnz .LBB165_8
; %bb.6:
	s_add_u32 s0, s0, s10
	s_addc_u32 s1, s1, s11
	s_load_dword s9, s[0:1], 0x0
	s_branch .LBB165_9
.LBB165_7:
	s_mov_b64 s[12:13], 0
	s_branch .LBB165_2
.LBB165_8:
	s_mov_b32 s9, s6
.LBB165_9:
	s_load_dwordx2 s[12:13], s[4:5], 0x8
	s_load_dwordx4 s[0:3], s[4:5], 0x48
	v_lshrrev_b32_e32 v85, 6, v0
	v_bfe_u32 v1, v0, 4, 2
	v_lshl_or_b32 v8, v85, 2, v1
	v_and_b32_e32 v84, 15, v0
	v_lshlrev_b32_e32 v2, 3, v84
	v_cmp_lt_u32_e32 vcc, 13, v8
	s_and_saveexec_b64 s[10:11], vcc
	s_xor_b64 s[10:11], exec, s[10:11]
; %bb.10:
	v_mov_b32_e32 v3, 0
                                        ; implicit-def: $vgpr8
; %bb.11:
	s_or_saveexec_b64 s[14:15], s[10:11]
	s_load_dwordx2 s[10:11], s[4:5], 0x10
	s_mul_i32 s27, s8, 14
	s_xor_b64 exec, exec, s[14:15]
	s_cbranch_execz .LBB165_13
; %bb.12:
	s_load_dwordx2 s[20:21], s[4:5], 0x0
	s_waitcnt lgkmcnt(0)
	s_ashr_i32 s3, s0, 31
	s_mul_hi_u32 s22, s9, s0
	s_mul_i32 s3, s9, s3
	s_add_i32 s23, s22, s3
	s_mul_i32 s22, s9, s0
	s_lshl_b64 s[22:23], s[22:23], 1
	v_add_lshl_u32 v10, v8, s27, 7
	s_add_u32 s0, s20, s22
	v_ashrrev_i32_e32 v11, 31, v10
	s_addc_u32 s3, s21, s23
	v_lshlrev_b64 v[10:11], 1, v[10:11]
	v_mov_b32_e32 v3, s3
	v_add_co_u32_e32 v9, vcc, s0, v10
	v_addc_co_u32_e32 v3, vcc, v3, v11, vcc
	v_lshlrev_b32_e32 v10, 1, v2
	v_add_co_u32_e32 v10, vcc, v9, v10
	v_addc_co_u32_e32 v11, vcc, 0, v3, vcc
	global_load_dwordx4 v[10:13], v[10:11], off
	v_and_b32_e32 v9, 3, v0
	v_lshlrev_b32_e32 v14, 9, v84
	v_lshlrev_b32_e32 v8, 5, v8
	;; [unrolled: 1-line block ×3, first 2 shown]
	v_and_b32_e32 v14, 0x1800, v14
	v_mov_b32_e32 v3, 0
	v_or3_b32 v8, v14, v9, v8
	s_waitcnt vmcnt(0)
	ds_write_b128 v8, v[10:13]
.LBB165_13:
	s_or_b64 exec, exec, s[14:15]
	s_waitcnt lgkmcnt(0)
	s_mul_i32 s2, s8, s2
	s_mov_b32 s3, 0
	s_lshl_b64 s[2:3], s[2:3], 1
	s_add_u32 s0, s12, s2
	s_waitcnt vmcnt(3)
	v_mad_i64_i32 v[8:9], s[8:9], v7, s1, 0
	s_addc_u32 s12, s13, s3
	v_lshlrev_b64 v[8:9], 1, v[8:9]
	v_mov_b32_e32 v7, s12
	v_add_co_u32_e32 v8, vcc, s0, v8
	v_addc_co_u32_e32 v7, vcc, v7, v9, vcc
	v_lshlrev_b64 v[14:15], 1, v[2:3]
	v_add_co_u32_e32 v8, vcc, v8, v14
	v_lshlrev_b32_e32 v12, 9, v1
	v_addc_co_u32_e32 v7, vcc, v7, v15, vcc
	v_add_co_u32_e32 v2, vcc, v8, v12
	v_addc_co_u32_e32 v3, vcc, 0, v7, vcc
	v_or_b32_e32 v10, 0x1000, v12
	s_barrier
	global_load_dwordx4 v[38:41], v[2:3], off
	global_load_dwordx4 v[34:37], v[2:3], off offset:2048
	v_add_co_u32_e32 v2, vcc, v8, v10
	v_addc_co_u32_e32 v3, vcc, 0, v7, vcc
	v_or_b32_e32 v11, 0x1800, v12
	v_add_co_u32_e32 v8, vcc, v8, v11
	v_addc_co_u32_e32 v9, vcc, 0, v7, vcc
	global_load_dwordx4 v[46:49], v[2:3], off
	global_load_dwordx4 v[58:61], v[8:9], off
	s_waitcnt vmcnt(6)
	v_mad_i64_i32 v[2:3], s[8:9], v6, s1, 0
	v_lshlrev_b64 v[2:3], 1, v[2:3]
	v_mov_b32_e32 v6, s12
	v_add_co_u32_e32 v2, vcc, s0, v2
	v_addc_co_u32_e32 v3, vcc, v6, v3, vcc
	v_mov_b32_e32 v6, 0x100
	v_lshl_or_b32 v8, v84, 4, v6
	v_add_co_u32_e32 v6, vcc, v2, v8
	v_addc_co_u32_e32 v7, vcc, 0, v3, vcc
	v_add_co_u32_e32 v2, vcc, v6, v12
	v_addc_co_u32_e32 v3, vcc, 0, v7, vcc
	global_load_dwordx4 v[74:77], v[2:3], off
	global_load_dwordx4 v[70:73], v[2:3], off offset:2048
	v_add_co_u32_e32 v2, vcc, v6, v10
	v_addc_co_u32_e32 v3, vcc, 0, v7, vcc
	v_add_co_u32_e32 v6, vcc, v6, v11
	v_addc_co_u32_e32 v7, vcc, 0, v7, vcc
	global_load_dwordx4 v[78:81], v[2:3], off
	global_load_dwordx4 v[66:69], v[6:7], off
	s_waitcnt vmcnt(9)
	v_mad_i64_i32 v[2:3], s[8:9], v5, s1, 0
	v_lshlrev_b64 v[2:3], 1, v[2:3]
	v_mov_b32_e32 v5, s12
	v_add_co_u32_e32 v2, vcc, s0, v2
	v_addc_co_u32_e32 v3, vcc, v5, v3, vcc
	v_add_co_u32_e32 v5, vcc, v2, v14
	buffer_store_dword v14, off, s[44:47], 0 ; 4-byte Folded Spill
	s_nop 0
	buffer_store_dword v15, off, s[44:47], 0 offset:4 ; 4-byte Folded Spill
	v_and_b32_e32 v94, 63, v0
	v_mov_b32_e32 v87, 0
	v_addc_co_u32_e32 v7, vcc, v3, v15, vcc
	v_add_co_u32_e32 v2, vcc, v5, v12
	v_addc_co_u32_e32 v3, vcc, 0, v7, vcc
	global_load_dwordx4 v[62:65], v[2:3], off
	global_load_dwordx4 v[42:45], v[2:3], off offset:2048
	v_add_co_u32_e32 v2, vcc, v5, v10
	v_addc_co_u32_e32 v3, vcc, 0, v7, vcc
	v_add_co_u32_e32 v6, vcc, v5, v11
	v_addc_co_u32_e32 v7, vcc, 0, v7, vcc
	global_load_dwordx4 v[26:29], v[2:3], off
	global_load_dwordx4 v[18:21], v[6:7], off
	s_waitcnt vmcnt(14)
	v_mad_i64_i32 v[2:3], s[8:9], v4, s1, 0
	v_lshlrev_b64 v[2:3], 1, v[2:3]
	v_mov_b32_e32 v4, s12
	v_add_co_u32_e32 v2, vcc, s0, v2
	v_addc_co_u32_e32 v3, vcc, v4, v3, vcc
	v_add_co_u32_e32 v4, vcc, v2, v8
	v_addc_co_u32_e32 v5, vcc, 0, v3, vcc
	;; [unrolled: 2-line block ×3, first 2 shown]
	global_load_dwordx4 v[14:17], v[2:3], off
	global_load_dwordx4 v[6:9], v[2:3], off offset:2048
	v_add_co_u32_e32 v2, vcc, v4, v10
	v_addc_co_u32_e32 v3, vcc, 0, v5, vcc
	v_add_co_u32_e32 v10, vcc, v4, v11
	v_addc_co_u32_e32 v11, vcc, 0, v5, vcc
	global_load_dwordx4 v[2:5], v[2:3], off
	s_nop 0
	global_load_dwordx4 v[50:53], v[10:11], off
	v_add_u32_e32 v10, -14, v84
	v_cmp_gt_u32_e32 vcc, 14, v84
	v_cndmask_b32_e32 v10, v10, v84, vcc
	v_lshl_add_u32 v54, v10, 5, v12
	ds_read_b128 v[30:33], v54
	ds_read_b128 v[22:25], v54 offset:2048
	ds_read_b128 v[10:13], v54 offset:4096
	;; [unrolled: 1-line block ×3, first 2 shown]
	s_and_saveexec_b64 s[8:9], vcc
	s_cbranch_execz .LBB165_15
; %bb.14:
	s_load_dwordx2 s[12:13], s[4:5], 0x40
	v_add_u32_e32 v82, s27, v84
	v_ashrrev_i32_e32 v83, 31, v82
	v_lshlrev_b64 v[82:83], 2, v[82:83]
	s_waitcnt lgkmcnt(0)
	v_mov_b32_e32 v87, s13
	v_add_co_u32_e32 v82, vcc, s12, v82
	v_addc_co_u32_e32 v83, vcc, v87, v83, vcc
	global_load_dword v87, v[82:83], off
.LBB165_15:
	s_or_b64 exec, exec, s[8:9]
	s_waitcnt vmcnt(17) lgkmcnt(3)
	v_mfma_f32_16x16x16f16 v[88:91], v[38:39], v[30:31], 0
	s_ashr_i32 s0, s16, 31
	s_lshr_b32 s0, s0, 27
	s_add_u32 s2, s10, s2
	s_addc_u32 s3, s11, s3
	s_mov_b32 s40, 0xff7fffff
	v_mfma_f32_16x16x16f16 v[38:41], v[40:41], v[32:33], v[88:91]
	s_waitcnt vmcnt(16) lgkmcnt(2)
	v_mfma_f32_16x16x16f16 v[38:41], v[34:35], v[22:23], v[38:41]
	s_nop 4
	v_lshl_or_b32 v88, v85, 4, v84
	v_mfma_f32_16x16x16f16 v[34:37], v[36:37], v[24:25], v[38:41]
	s_waitcnt vmcnt(15) lgkmcnt(1)
	v_mfma_f32_16x16x16f16 v[34:37], v[46:47], v[10:11], v[34:37]
	v_and_or_b32 v46, v0, 48, s16
	s_nop 3
	v_add_u32_e32 v38, s0, v46
	v_ashrrev_i32_e32 v38, 5, v38
	v_mov_b32_e32 v47, s19
	v_cmp_gt_i32_e32 vcc, s33, v46
	v_cndmask_b32_e32 v38, v47, v38, vcc
	v_ashrrev_i32_e32 v39, 31, v38
	v_mfma_f32_16x16x16f16 v[34:37], v[48:49], v[12:13], v[34:37]
	v_or_b32_e32 v40, 64, v46
	v_add_u32_e32 v41, s0, v40
	v_ashrrev_i32_e32 v41, 5, v41
	v_mov_b32_e32 v48, s18
	s_waitcnt vmcnt(14) lgkmcnt(0)
	v_mfma_f32_16x16x16f16 v[34:37], v[58:59], v[54:55], v[34:37]
	v_mfma_f32_16x16x16f16 v[58:61], v[60:61], v[56:57], v[34:37]
	s_waitcnt vmcnt(13)
	v_mfma_f32_16x16x16f16 v[34:37], v[74:75], v[30:31], 0
	v_mfma_f32_16x16x16f16 v[34:37], v[76:77], v[32:33], v[34:37]
	v_lshlrev_b32_e32 v76, 6, v88
	s_waitcnt vmcnt(12)
	v_mfma_f32_16x16x16f16 v[34:37], v[70:71], v[22:23], v[34:37]
	v_mfma_f32_16x16x16f16 v[34:37], v[72:73], v[24:25], v[34:37]
	s_waitcnt vmcnt(11)
	v_mfma_f32_16x16x16f16 v[34:37], v[78:79], v[10:11], v[34:37]
	v_mfma_f32_16x16x16f16 v[34:37], v[80:81], v[12:13], v[34:37]
	;; [unrolled: 3-line block ×3, first 2 shown]
	s_nop 7
	s_nop 1
	v_lshlrev_b64 v[34:35], 2, v[38:39]
	v_mov_b32_e32 v36, s18
	v_add_co_u32_e32 v38, vcc, s17, v34
	v_addc_co_u32_e32 v39, vcc, v36, v35, vcc
	v_cmp_gt_i32_e32 vcc, s33, v40
	v_cndmask_b32_e32 v40, v47, v41, vcc
	v_ashrrev_i32_e32 v41, 31, v40
	v_lshlrev_b64 v[40:41], 2, v[40:41]
	v_add_co_u32_e32 v40, vcc, s17, v40
	v_addc_co_u32_e32 v41, vcc, v48, v41, vcc
	global_load_dword v48, v[38:39], off
	s_nop 0
	global_load_dword v40, v[40:41], off
	v_or_b32_e32 v38, 0x80, v46
	v_add_u32_e32 v39, s0, v38
	v_ashrrev_i32_e32 v39, 5, v39
	v_cmp_gt_i32_e32 vcc, s33, v38
	v_cndmask_b32_e32 v38, v47, v39, vcc
	v_ashrrev_i32_e32 v39, 31, v38
	v_lshlrev_b64 v[38:39], 2, v[38:39]
	v_mov_b32_e32 v41, s18
	v_add_co_u32_e32 v38, vcc, s17, v38
	v_addc_co_u32_e32 v39, vcc, v41, v39, vcc
	s_waitcnt vmcnt(9)
	v_mfma_f32_16x16x16f16 v[34:37], v[62:63], v[30:31], 0
	global_load_dword v62, v[38:39], off
	v_or_b32_e32 v38, 0xc0, v46
	v_add_u32_e32 v39, s0, v38
	v_ashrrev_i32_e32 v39, 5, v39
	v_cmp_gt_i32_e32 vcc, s33, v38
	v_cndmask_b32_e32 v38, v47, v39, vcc
	v_ashrrev_i32_e32 v39, 31, v38
	v_mfma_f32_16x16x16f16 v[34:37], v[64:65], v[32:33], v[34:37]
	s_load_dword s0, s[4:5], 0x1c
	s_waitcnt lgkmcnt(0)
	v_pk_mul_f32 v[58:59], s[0:1], v[58:59] op_sel_hi:[0,1]
	s_waitcnt vmcnt(9)
	v_mfma_f32_16x16x16f16 v[34:37], v[42:43], v[22:23], v[34:37]
	v_mfma_f32_16x16x16f16 v[34:37], v[44:45], v[24:25], v[34:37]
	s_waitcnt vmcnt(8)
	v_mfma_f32_16x16x16f16 v[34:37], v[26:27], v[10:11], v[34:37]
	v_lshlrev_b64 v[26:27], 2, v[38:39]
	v_mov_b32_e32 v39, s18
	v_add_co_u32_e32 v38, vcc, s17, v26
	v_addc_co_u32_e32 v39, vcc, v39, v27, vcc
	global_load_dword v63, v[38:39], off
	v_mfma_f32_16x16x16f16 v[26:29], v[28:29], v[12:13], v[34:37]
	s_waitcnt vmcnt(8)
	v_mfma_f32_16x16x16f16 v[26:29], v[18:19], v[54:55], v[26:29]
	s_nop 4
	v_and_b32_e32 v34, 16, v0
	v_lshlrev_b32_e32 v34, 1, v34
	v_mov_b32_e32 v18, s3
	v_add_co_u32_e32 v74, vcc, s2, v34
	v_addc_co_u32_e32 v75, vcc, 0, v18, vcc
	v_mfma_f32_16x16x16f16 v[90:93], v[20:21], v[56:57], v[26:29]
	v_add_co_u32_e32 v77, vcc, v74, v76
	v_addc_co_u32_e32 v78, vcc, 0, v75, vcc
	s_waitcnt vmcnt(3)
	v_mad_i64_i32 v[18:19], s[2:3], v48, s1, 0
	v_lshlrev_b64 v[70:71], 1, v[18:19]
	v_mfma_f32_16x16x16f16 v[18:21], v[14:15], v[30:31], 0
	v_add_co_u32_e32 v14, vcc, v77, v70
	v_addc_co_u32_e32 v15, vcc, v78, v71, vcc
	global_load_dwordx4 v[46:49], v[14:15], off
	global_load_dwordx4 v[42:45], v[14:15], off offset:16
	s_waitcnt vmcnt(4)
	v_mad_i64_i32 v[14:15], s[2:3], v40, s1, 0
	v_lshlrev_b64 v[72:73], 1, v[14:15]
	v_mfma_f32_16x16x16f16 v[14:17], v[16:17], v[32:33], v[18:21]
	v_mfma_f32_16x16x16f16 v[14:17], v[6:7], v[22:23], v[14:17]
	s_nop 5
	v_add_co_u32_e32 v18, vcc, v77, v72
	v_addc_co_u32_e32 v19, vcc, v78, v73, vcc
	global_load_dwordx4 v[38:41], v[18:19], off
	global_load_dwordx4 v[34:37], v[18:19], off offset:16
	s_waitcnt vmcnt(5)
	v_mad_i64_i32 v[18:19], s[2:3], v62, s1, 0
	v_lshlrev_b64 v[64:65], 1, v[18:19]
	v_add_co_u32_e32 v6, vcc, v77, v64
	v_addc_co_u32_e32 v7, vcc, v78, v65, vcc
	global_load_dwordx4 v[30:33], v[6:7], off
	global_load_dwordx4 v[26:29], v[6:7], off offset:16
	v_mfma_f32_16x16x16f16 v[6:9], v[8:9], v[24:25], v[14:17]
	v_mfma_f32_16x16x16f16 v[6:9], v[2:3], v[10:11], v[6:9]
	v_or_b32_e32 v2, 0x1000, v76
	s_waitcnt vmcnt(6)
	s_nop 3
	v_mad_i64_i32 v[14:15], s[2:3], v63, s1, 0
	v_mfma_f32_16x16x16f16 v[10:13], v[4:5], v[12:13], v[6:9]
	v_lshlrev_b64 v[62:63], 1, v[14:15]
	v_add_co_u32_e32 v14, vcc, v77, v62
	v_addc_co_u32_e32 v15, vcc, v78, v63, vcc
	v_add_co_u32_e32 v89, vcc, v74, v2
	v_mfma_f32_16x16x16f16 v[80:83], v[50:51], v[54:55], v[10:13]
	v_addc_co_u32_e32 v86, vcc, 0, v75, vcc
	v_pk_mul_f32 v[74:75], s[0:1], v[68:69] op_sel_hi:[0,1]
	v_pk_mul_f32 v[76:77], s[0:1], v[66:67] op_sel_hi:[0,1]
	;; [unrolled: 1-line block ×3, first 2 shown]
	v_add_co_u32_e32 v2, vcc, v89, v70
	v_mfma_f32_16x16x16f16 v[50:53], v[52:53], v[56:57], v[80:83]
	v_addc_co_u32_e32 v3, vcc, v86, v71, vcc
	v_add_co_u32_e32 v70, vcc, v89, v72
	v_addc_co_u32_e32 v71, vcc, v86, v73, vcc
	global_load_dwordx4 v[22:25], v[14:15], off
	global_load_dwordx4 v[18:21], v[14:15], off offset:16
	s_nop 5
	v_pk_mul_f32 v[68:69], s[0:1], v[50:51] op_sel_hi:[0,1]
	v_and_b32_e32 v50, 0xc0, v0
	v_add_u32_e32 v50, s16, v50
	v_lshl_or_b32 v50, v1, 2, v50
	v_or_b32_e32 v51, 1, v50
	v_pk_mul_f32 v[66:67], s[0:1], v[52:53] op_sel_hi:[0,1]
	v_subrev_u32_e32 v52, s33, v51
	v_add_u32_e32 v54, 1, v52
	v_add_u32_e32 v55, 2, v52
	v_cvt_f32_i32_e32 v53, v52
	v_cvt_f32_i32_e32 v54, v54
	;; [unrolled: 1-line block ×3, first 2 shown]
	v_add_u32_e32 v56, 3, v52
	v_fma_f32 v58, v87, v53, v58
	v_fmac_f32_e32 v59, v87, v54
	v_fma_f32 v78, v87, v55, v78
	v_add_u32_e32 v53, 16, v52
	v_add_u32_e32 v54, 17, v52
	v_add_u32_e32 v55, 18, v52
	v_cvt_f32_i32_e32 v56, v56
	v_cvt_f32_i32_e32 v53, v53
	;; [unrolled: 1-line block ×4, first 2 shown]
	v_fmac_f32_e32 v79, v87, v56
	v_add_u32_e32 v56, 19, v52
	v_fma_f32 v76, v87, v53, v76
	v_fmac_f32_e32 v77, v87, v54
	v_fma_f32 v74, v87, v55, v74
	v_add_u32_e32 v53, 32, v52
	v_add_u32_e32 v54, 33, v52
	;; [unrolled: 1-line block ×3, first 2 shown]
	v_cvt_f32_i32_e32 v56, v56
	v_cvt_f32_i32_e32 v53, v53
	;; [unrolled: 1-line block ×4, first 2 shown]
	global_load_dwordx4 v[6:9], v[2:3], off
	s_nop 0
	global_load_dwordx4 v[2:5], v[2:3], off offset:16
	s_nop 0
	global_load_dwordx4 v[14:17], v[70:71], off
	global_load_dwordx4 v[10:13], v[70:71], off offset:16
	v_pk_mul_f32 v[70:71], s[0:1], v[92:93] op_sel_hi:[0,1]
	v_pk_mul_f32 v[72:73], s[0:1], v[90:91] op_sel_hi:[0,1]
	v_fmac_f32_e32 v75, v87, v56
	v_add_u32_e32 v56, 35, v52
	v_fma_f32 v72, v87, v53, v72
	v_fmac_f32_e32 v73, v87, v54
	v_fma_f32 v70, v87, v55, v70
	v_add_u32_e32 v53, 48, v52
	v_add_u32_e32 v54, 49, v52
	v_add_u32_e32 v55, 50, v52
	v_add_u32_e32 v52, 51, v52
	v_cvt_f32_i32_e32 v52, v52
	v_cvt_f32_i32_e32 v53, v53
	;; [unrolled: 1-line block ×3, first 2 shown]
	v_cmp_gt_i32_e64 s[28:29], s33, v50
	v_fmac_f32_e32 v67, v87, v52
	v_mov_b32_e32 v52, 0xff7fffff
	v_cmp_gt_i32_e64 s[30:31], s33, v51
	v_fma_f32 v68, v87, v53, v68
	v_cndmask_b32_e64 v53, v52, v58, s[28:29]
	v_cndmask_b32_e64 v51, v52, v59, s[30:31]
	v_fmac_f32_e32 v69, v87, v54
	v_max3_f32 v51, v53, s40, v51
	v_or_b32_e32 v53, 2, v50
	v_or_b32_e32 v54, 3, v50
	v_cmp_gt_i32_e64 s[34:35], s33, v53
	v_cmp_gt_i32_e64 s[36:37], s33, v54
	v_cndmask_b32_e64 v53, v52, v78, s[34:35]
	v_cndmask_b32_e64 v54, v52, v79, s[36:37]
	v_max3_f32 v51, v51, v53, v54
	v_or_b32_e32 v53, 16, v50
	v_or_b32_e32 v54, 17, v50
	v_cmp_gt_i32_e64 s[22:23], s33, v53
	v_cmp_gt_i32_e64 s[24:25], s33, v54
	v_cndmask_b32_e64 v53, v52, v76, s[22:23]
	v_cndmask_b32_e64 v54, v52, v77, s[24:25]
	;; [unrolled: 7-line block ×3, first 2 shown]
	v_cvt_f32_i32_e32 v56, v56
	v_max3_f32 v51, v51, v53, v54
	v_or_b32_e32 v53, 32, v50
	v_or_b32_e32 v54, 33, v50
	v_cmp_gt_i32_e64 s[14:15], s33, v53
	v_cmp_gt_i32_e64 s[16:17], s33, v54
	v_cndmask_b32_e64 v53, v52, v72, s[14:15]
	v_cndmask_b32_e64 v54, v52, v73, s[16:17]
	v_max3_f32 v51, v51, v53, v54
	v_or_b32_e32 v53, 34, v50
	v_or_b32_e32 v54, 35, v50
	v_fmac_f32_e32 v71, v87, v56
	v_cmp_gt_i32_e64 s[10:11], s33, v53
	v_cmp_gt_i32_e64 s[12:13], s33, v54
	v_cndmask_b32_e64 v53, v52, v70, s[10:11]
	v_cndmask_b32_e64 v54, v52, v71, s[12:13]
	v_cvt_f32_i32_e32 v55, v55
	v_max3_f32 v51, v51, v53, v54
	v_or_b32_e32 v53, 48, v50
	v_or_b32_e32 v54, 49, v50
	v_cmp_gt_i32_e64 s[2:3], s33, v53
	v_cmp_gt_i32_e64 s[8:9], s33, v54
	v_cndmask_b32_e64 v53, v52, v68, s[2:3]
	v_cndmask_b32_e64 v54, v52, v69, s[8:9]
	v_max3_f32 v51, v51, v53, v54
	v_or_b32_e32 v53, 50, v50
	v_or_b32_e32 v50, 51, v50
	v_fma_f32 v66, v87, v55, v66
	v_cmp_gt_i32_e32 vcc, s33, v53
	v_cmp_gt_i32_e64 s[0:1], s33, v50
	v_cndmask_b32_e32 v53, v52, v66, vcc
	v_cndmask_b32_e64 v50, v52, v67, s[0:1]
	v_max3_f32 v60, v51, v53, v50
	v_mbcnt_lo_u32_b32 v50, -1, 0
	v_mbcnt_hi_u32_b32 v61, -1, v50
	v_and_b32_e32 v50, 64, v61
	v_add_u32_e32 v80, 64, v50
	v_xor_b32_e32 v50, 32, v61
	v_cmp_lt_i32_e64 s[38:39], v50, v80
	v_cndmask_b32_e64 v50, v61, v50, s[38:39]
	v_lshlrev_b32_e32 v82, 2, v50
	ds_bpermute_b32 v81, v82, v60
	v_add_co_u32_e64 v50, s[38:39], v89, v64
	v_addc_co_u32_e64 v51, s[38:39], v86, v65, s[38:39]
	s_waitcnt lgkmcnt(0)
	v_max_f32_e32 v64, v81, v81
	v_max_f32_e32 v64, v60, v64
	v_xor_b32_e32 v60, 16, v61
	v_cmp_lt_i32_e64 s[38:39], v60, v80
	v_cndmask_b32_e64 v60, v61, v60, s[38:39]
	v_lshlrev_b32_e32 v83, 2, v60
	ds_bpermute_b32 v65, v83, v64
	v_add_co_u32_e64 v60, s[38:39], v89, v62
	v_addc_co_u32_e64 v61, s[38:39], v86, v63, s[38:39]
	s_waitcnt lgkmcnt(0)
	v_max_f32_e32 v62, v65, v65
	v_max_f32_e32 v87, v64, v62
	v_sub_f32_e32 v58, v58, v87
	v_mul_f32_e32 v58, 0x3fb8aa3b, v58
	v_exp_f32_e32 v80, v58
	v_sub_f32_e32 v58, v59, v87
	v_mul_f32_e32 v58, 0x3fb8aa3b, v58
	global_load_dwordx4 v[54:57], v[50:51], off
	s_nop 0
	global_load_dwordx4 v[50:53], v[50:51], off offset:16
	v_exp_f32_e32 v81, v58
	global_load_dwordx4 v[62:65], v[60:61], off
	s_nop 0
	global_load_dwordx4 v[58:61], v[60:61], off offset:16
	v_sub_f32_e32 v78, v78, v87
	v_mul_f32_e32 v78, 0x3fb8aa3b, v78
	v_sub_f32_e32 v79, v79, v87
	v_exp_f32_e32 v78, v78
	v_mul_f32_e32 v79, 0x3fb8aa3b, v79
	v_sub_f32_e32 v76, v76, v87
	v_exp_f32_e32 v79, v79
	v_mul_f32_e32 v76, 0x3fb8aa3b, v76
	v_sub_f32_e32 v77, v77, v87
	v_cndmask_b32_e64 v80, 0, v80, s[28:29]
	v_exp_f32_e32 v76, v76
	v_mul_f32_e32 v77, 0x3fb8aa3b, v77
	v_sub_f32_e32 v74, v74, v87
	v_add_f32_e32 v86, 0, v80
	v_cndmask_b32_e64 v81, 0, v81, s[30:31]
	v_exp_f32_e32 v77, v77
	v_mul_f32_e32 v74, 0x3fb8aa3b, v74
	v_sub_f32_e32 v75, v75, v87
	v_add_f32_e32 v86, v86, v81
	;; [unrolled: 5-line block ×10, first 2 shown]
	v_cndmask_b32_e64 v70, 0, v70, s[10:11]
	v_exp_f32_e32 v66, v66
	v_mul_f32_e32 v67, 0x3fb8aa3b, v67
	v_add_f32_e32 v86, v86, v70
	v_cndmask_b32_e64 v71, 0, v71, s[12:13]
	v_exp_f32_e32 v67, v67
	v_add_f32_e32 v86, v86, v71
	v_cndmask_b32_e64 v68, 0, v68, s[2:3]
	v_add_f32_e32 v86, v86, v68
	v_cndmask_b32_e64 v69, 0, v69, s[8:9]
	v_add_f32_e32 v86, v86, v69
	v_cndmask_b32_e32 v66, 0, v66, vcc
	v_add_f32_e32 v86, v86, v66
	v_cndmask_b32_e64 v67, 0, v67, s[0:1]
	v_add_f32_e32 v86, v86, v67
	ds_bpermute_b32 v82, v82, v86
	s_load_dword s3, s[4:5], 0x98
	v_cmp_gt_u32_e32 vcc, 16, v94
	s_waitcnt lgkmcnt(0)
	s_barrier
	v_add_f32_e32 v89, v86, v82
	ds_bpermute_b32 v90, v83, v89
	s_waitcnt lgkmcnt(0)
	s_and_saveexec_b64 s[0:1], vcc
	s_cbranch_execz .LBB165_17
; %bb.16:
	v_add_f32_e32 v82, v89, v90
	v_lshlrev_b32_e32 v83, 2, v88
	ds_write2st64_b32 v83, v87, v82 offset1:1
.LBB165_17:
	s_or_b64 exec, exec, s[0:1]
	v_lshlrev_b32_e32 v87, 2, v84
	s_load_dword s2, s[4:5], 0x94
	s_waitcnt lgkmcnt(0)
	s_barrier
	ds_read2_b32 v[82:83], v87 offset1:16
	ds_read2_b32 v[88:89], v87 offset0:32 offset1:48
	ds_read2_b32 v[90:91], v87 offset0:64 offset1:80
	s_mul_i32 s3, s3, 14
	s_waitcnt lgkmcnt(2)
	v_max3_f32 v86, v82, s40, v83
	s_waitcnt lgkmcnt(1)
	v_max3_f32 v86, v86, v88, v89
	v_sub_f32_e32 v82, v82, v86
	v_mul_f32_e32 v82, 0x3fb8aa3b, v82
	v_exp_f32_e32 v92, v82
	v_sub_f32_e32 v82, v83, v86
	v_mul_f32_e32 v82, 0x3fb8aa3b, v82
	v_exp_f32_e32 v93, v82
	;; [unrolled: 3-line block ×3, first 2 shown]
	ds_read2_b32 v[82:83], v87 offset0:96 offset1:112
	v_sub_f32_e32 v87, v89, v86
	v_mul_f32_e32 v87, 0x3fb8aa3b, v87
	v_exp_f32_e32 v89, v87
	s_waitcnt lgkmcnt(1)
	v_fma_f32 v87, v92, v90, 0
	v_fmac_f32_e32 v87, v93, v91
	s_waitcnt lgkmcnt(0)
	v_fmac_f32_e32 v87, v88, v82
	v_fmac_f32_e32 v87, v89, v83
	v_add_f32_e32 v82, 0x358637bd, v87
	v_div_scale_f32 v83, s[0:1], v82, v82, 1.0
	v_rcp_f32_e32 v90, v83
	s_barrier
	v_fma_f32 v91, -v83, v90, 1.0
	v_fmac_f32_e32 v90, v91, v90
	v_div_scale_f32 v91, vcc, 1.0, v82, 1.0
	v_mul_f32_e32 v94, v91, v90
	v_fma_f32 v95, -v83, v94, v91
	v_fmac_f32_e32 v94, v95, v90
	v_fma_f32 v83, -v83, v94, v91
	v_div_fmas_f32 v83, v83, v90, v94
	v_cmp_eq_u32_e32 vcc, 1, v85
	v_div_fixup_f32 v82, v83, v82, 1.0
	v_cndmask_b32_e32 v83, v92, v93, vcc
	v_cmp_eq_u32_e32 vcc, 2, v85
	v_cndmask_b32_e32 v83, v83, v88, vcc
	v_cmp_eq_u32_e32 vcc, 3, v85
	v_cndmask_b32_e32 v83, v83, v89, vcc
	v_mul_f32_e32 v82, v83, v82
	v_pk_mul_f32 v[78:79], v[82:83], v[78:79] op_sel_hi:[0,1]
	v_pk_mul_f32 v[80:81], v[82:83], v[80:81] op_sel_hi:[0,1]
	v_cvt_f16_f32_e32 v80, v80
	v_cvt_f16_f32_e32 v81, v81
	;; [unrolled: 1-line block ×4, first 2 shown]
	v_pk_mul_f32 v[74:75], v[82:83], v[74:75] op_sel_hi:[0,1]
	v_pk_mul_f32 v[76:77], v[82:83], v[76:77] op_sel_hi:[0,1]
	v_cvt_f16_f32_e32 v76, v76
	v_cvt_f16_f32_e32 v77, v77
	;; [unrolled: 1-line block ×4, first 2 shown]
	v_pack_b32_f16 v80, v80, v81
	v_pack_b32_f16 v81, v78, v79
	v_lshlrev_b32_e32 v79, 3, v1
	v_lshlrev_b32_e32 v78, 5, v84
	;; [unrolled: 1-line block ×3, first 2 shown]
	v_or3_b32 v74, v74, v78, v79
	v_pack_b32_f16 v76, v76, v77
	v_pack_b32_f16 v77, v83, v75
	v_pk_mul_f32 v[70:71], v[82:83], v[70:71] op_sel_hi:[0,1]
	v_pk_mul_f32 v[72:73], v[82:83], v[72:73] op_sel_hi:[0,1]
	;; [unrolled: 1-line block ×4, first 2 shown]
	ds_write2st64_b64 v74, v[80:81], v[76:77] offset1:1
	v_cvt_f16_f32_e32 v72, v72
	v_cvt_f16_f32_e32 v73, v73
	;; [unrolled: 1-line block ×8, first 2 shown]
	v_pack_b32_f16 v66, v72, v73
	v_pack_b32_f16 v67, v70, v71
	v_pack_b32_f16 v68, v68, v69
	v_pack_b32_f16 v69, v75, v76
	v_cmp_gt_u32_e32 vcc, 14, v0
	ds_write2st64_b64 v74, v[66:67], v[68:69] offset0:2 offset1:3
	s_and_saveexec_b64 s[0:1], vcc
	s_cbranch_execz .LBB165_19
; %bb.18:
	v_add_co_u32_e32 v68, vcc, s27, v84
	v_addc_co_u32_e64 v69, s[12:13], 0, 0, vcc
	v_mov_b32_e32 v66, s3
	v_mov_b32_e32 v67, 0
	v_mad_u64_u32 v[68:69], s[12:13], s6, v66, v[68:69]
	v_mov_b32_e32 v66, s26
	s_load_dwordx4 s[8:11], s[4:5], 0x58
	s_mul_i32 s7, s7, s3
	v_mad_u64_u32 v[66:67], s[12:13], v68, s2, v[66:67]
	v_add_u32_e32 v69, s7, v69
	v_mov_b32_e32 v68, v67
	v_mad_u64_u32 v[68:69], s[12:13], v69, s2, v[68:69]
	v_mov_b32_e32 v67, v68
	v_lshlrev_b64 v[66:67], 2, v[66:67]
	s_waitcnt lgkmcnt(0)
	v_mov_b32_e32 v69, s11
	v_add_co_u32_e32 v68, vcc, s10, v66
	v_addc_co_u32_e32 v69, vcc, v69, v67, vcc
	global_store_dword v[68:69], v86, off
	v_mov_b32_e32 v68, s9
	v_add_co_u32_e32 v66, vcc, s8, v66
	v_addc_co_u32_e32 v67, vcc, v68, v67, vcc
	global_store_dword v[66:67], v87, off
.LBB165_19:
	s_or_b64 exec, exec, s[0:1]
	v_lshl_or_b32 v75, v1, 9, v78
	s_waitcnt lgkmcnt(0)
	s_barrier
	ds_read_b128 v[70:73], v75
	ds_read_b128 v[66:69], v75 offset:16
	s_waitcnt vmcnt(15) lgkmcnt(1)
	v_mfma_f32_16x16x16f16 v[76:79], v[46:47], v[70:71], 0
	s_mov_b32 s1, 0
	v_cmp_gt_u32_e32 vcc, 64, v0
	v_mfma_f32_16x16x16f16 v[46:49], v[48:49], v[72:73], v[76:79]
	s_waitcnt vmcnt(14) lgkmcnt(0)
	v_mfma_f32_16x16x16f16 v[46:49], v[42:43], v[66:67], v[46:49]
	v_mfma_f32_16x16x16f16 v[42:45], v[44:45], v[68:69], v[46:49]
	s_nop 7
	s_nop 1
	ds_read_b128 v[46:49], v75 offset:2048
	ds_read_b128 v[76:79], v75 offset:2064
	s_waitcnt vmcnt(13) lgkmcnt(1)
	v_mfma_f32_16x16x16f16 v[42:45], v[38:39], v[46:47], v[42:45]
	v_mfma_f32_16x16x16f16 v[38:41], v[40:41], v[48:49], v[42:45]
	s_waitcnt vmcnt(12) lgkmcnt(0)
	v_mfma_f32_16x16x16f16 v[38:41], v[34:35], v[76:77], v[38:41]
	v_mfma_f32_16x16x16f16 v[34:37], v[36:37], v[78:79], v[38:41]
	s_nop 7
	s_nop 1
	ds_read_b128 v[38:41], v75 offset:4096
	ds_read_b128 v[42:45], v75 offset:4112
	s_waitcnt vmcnt(11) lgkmcnt(1)
	v_mfma_f32_16x16x16f16 v[34:37], v[30:31], v[38:39], v[34:37]
	v_mfma_f32_16x16x16f16 v[30:33], v[32:33], v[40:41], v[34:37]
	s_waitcnt vmcnt(10) lgkmcnt(0)
	v_mfma_f32_16x16x16f16 v[30:33], v[26:27], v[42:43], v[30:33]
	v_mfma_f32_16x16x16f16 v[26:29], v[28:29], v[44:45], v[30:33]
	s_nop 7
	s_nop 1
	ds_read_b128 v[30:33], v75 offset:6144
	ds_read_b128 v[34:37], v75 offset:6160
	s_waitcnt lgkmcnt(0)
	s_barrier
	s_waitcnt vmcnt(9)
	v_mfma_f32_16x16x16f16 v[26:29], v[22:23], v[30:31], v[26:29]
	v_mfma_f32_16x16x16f16 v[22:25], v[24:25], v[32:33], v[26:29]
	s_waitcnt vmcnt(8)
	v_mfma_f32_16x16x16f16 v[22:25], v[18:19], v[34:35], v[22:25]
	v_mfma_f32_16x16x16f16 v[18:21], v[20:21], v[36:37], v[22:25]
	;; [unrolled: 3-line block ×4, first 2 shown]
	s_waitcnt vmcnt(5)
	v_mfma_f32_16x16x16f16 v[2:5], v[14:15], v[46:47], v[2:5]
	s_nop 7
	v_cvt_f16_f32_e32 v6, v18
	v_cvt_f16_f32_e32 v7, v19
	v_cvt_f16_f32_e32 v8, v20
	v_cvt_f16_f32_e32 v9, v21
	v_mfma_f32_16x16x16f16 v[2:5], v[16:17], v[48:49], v[2:5]
	s_waitcnt vmcnt(4)
	v_mfma_f32_16x16x16f16 v[2:5], v[10:11], v[76:77], v[2:5]
	v_mfma_f32_16x16x16f16 v[2:5], v[12:13], v[78:79], v[2:5]
	s_waitcnt vmcnt(3)
	v_mfma_f32_16x16x16f16 v[2:5], v[54:55], v[38:39], v[2:5]
	;; [unrolled: 3-line block ×5, first 2 shown]
	v_mfma_f32_16x16x16f16 v[2:5], v[60:61], v[36:37], v[2:5]
	s_nop 7
	s_nop 2
	v_cvt_f16_f32_e32 v10, v2
	v_cvt_f16_f32_e32 v11, v3
	;; [unrolled: 1-line block ×4, first 2 shown]
	v_pack_b32_f16 v2, v6, v7
	v_pack_b32_f16 v3, v8, v9
	;; [unrolled: 1-line block ×4, first 2 shown]
	ds_write2st64_b64 v74, v[2:3], v[4:5] offset1:1
	s_waitcnt lgkmcnt(0)
	s_barrier
	s_and_saveexec_b64 s[8:9], vcc
	s_cbranch_execz .LBB165_22
; %bb.20:
	v_lshlrev_b32_e32 v4, 6, v84
	v_lshlrev_b32_e32 v3, 4, v0
	v_lshl_or_b32 v0, v0, 10, v4
	v_lshlrev_b32_e32 v2, 5, v1
	v_and_b32_e32 v3, 16, v3
	v_and_b32_e32 v0, 0x1a00, v0
	v_or3_b32 v0, v0, v2, v3
	ds_read_b128 v[6:9], v0 offset:256
	buffer_load_dword v10, off, s[44:47], 0 ; 4-byte Folded Reload
	buffer_load_dword v11, off, s[44:47], 0 offset:4 ; 4-byte Folded Reload
	s_load_dwordx2 s[4:5], s[4:5], 0x68
	s_lshl_b32 s2, s2, 7
	s_mul_i32 s0, s3, s6
	s_mul_hi_u32 s7, s0, s2
	s_mul_i32 s6, s0, s2
	s_lshl_b64 s[6:7], s[6:7], 1
	s_waitcnt lgkmcnt(0)
	s_add_u32 s3, s4, s6
	s_addc_u32 s4, s5, s7
	s_lshl_b32 s0, s26, 7
	s_lshl_b64 s[0:1], s[0:1], 1
	s_add_u32 s0, s3, s0
	s_addc_u32 s1, s4, s1
	v_mov_b32_e32 v4, s1
	v_or_b32_e32 v2, 12, v1
	v_add_u32_e32 v1, s27, v1
	v_add_u32_e32 v5, 4, v1
	s_waitcnt vmcnt(1)
	v_add_co_u32_e32 v3, vcc, s0, v10
	s_waitcnt vmcnt(0)
	v_addc_co_u32_e32 v4, vcc, v4, v11, vcc
	ds_read_b128 v[10:13], v0 offset:128
	ds_read_b128 v[14:17], v0
	v_mad_u64_u32 v[18:19], s[0:1], v1, s2, 0
	v_lshlrev_b64 v[18:19], 1, v[18:19]
	v_add_co_u32_e32 v18, vcc, v3, v18
	v_addc_co_u32_e32 v19, vcc, v4, v19, vcc
	s_waitcnt lgkmcnt(0)
	global_store_dwordx4 v[18:19], v[14:17], off
	v_add_u32_e32 v1, 8, v1
	v_mad_u64_u32 v[14:15], s[0:1], v5, s2, 0
	v_lshlrev_b64 v[14:15], 1, v[14:15]
	v_add_co_u32_e32 v14, vcc, v3, v14
	v_addc_co_u32_e32 v15, vcc, v4, v15, vcc
	global_store_dwordx4 v[14:15], v[10:13], off
	s_nop 0
	v_mad_u64_u32 v[10:11], s[0:1], v1, s2, 0
	v_lshlrev_b64 v[10:11], 1, v[10:11]
	v_add_co_u32_e32 v10, vcc, v3, v10
	v_addc_co_u32_e32 v11, vcc, v4, v11, vcc
	v_cmp_gt_u32_e32 vcc, 14, v2
	global_store_dwordx4 v[10:11], v[6:9], off
	s_and_b64 exec, exec, vcc
	s_cbranch_execz .LBB165_22
; %bb.21:
	ds_read_b128 v[6:9], v0 offset:384
	v_add_u32_e32 v0, s27, v2
	v_mad_u64_u32 v[0:1], s[0:1], v0, s2, 0
	v_lshlrev_b64 v[0:1], 1, v[0:1]
	v_add_co_u32_e32 v0, vcc, v3, v0
	v_addc_co_u32_e32 v1, vcc, v4, v1, vcc
	s_waitcnt lgkmcnt(0)
	global_store_dwordx4 v[0:1], v[6:9], off
.LBB165_22:
	s_endpgm
	.section	.rodata,"a",@progbits
	.p2align	6, 0x0
	.amdhsa_kernel _Z39paged_attention_ll4mi_QKV_mfma16_kernelIDF16_DF16_LN4vllm18Fp8KVCacheDataTypeE0EDF16_Li32ELi128ELi256ELb1ELi14EL8MFMAType0EEvPKT_PKT0_S8_ifPKiSA_SA_iPKfiiiPfSD_PS3_PT2_iSC_SC_
		.amdhsa_group_segment_fixed_size 8192
		.amdhsa_private_segment_fixed_size 12
		.amdhsa_kernarg_size 400
		.amdhsa_user_sgpr_count 6
		.amdhsa_user_sgpr_private_segment_buffer 1
		.amdhsa_user_sgpr_dispatch_ptr 0
		.amdhsa_user_sgpr_queue_ptr 0
		.amdhsa_user_sgpr_kernarg_segment_ptr 1
		.amdhsa_user_sgpr_dispatch_id 0
		.amdhsa_user_sgpr_flat_scratch_init 0
		.amdhsa_user_sgpr_kernarg_preload_length 0
		.amdhsa_user_sgpr_kernarg_preload_offset 0
		.amdhsa_user_sgpr_private_segment_size 0
		.amdhsa_uses_dynamic_stack 0
		.amdhsa_system_sgpr_private_segment_wavefront_offset 1
		.amdhsa_system_sgpr_workgroup_id_x 1
		.amdhsa_system_sgpr_workgroup_id_y 1
		.amdhsa_system_sgpr_workgroup_id_z 1
		.amdhsa_system_sgpr_workgroup_info 0
		.amdhsa_system_vgpr_workitem_id 0
		.amdhsa_next_free_vgpr 96
		.amdhsa_next_free_sgpr 48
		.amdhsa_accum_offset 96
		.amdhsa_reserve_vcc 1
		.amdhsa_reserve_flat_scratch 0
		.amdhsa_float_round_mode_32 0
		.amdhsa_float_round_mode_16_64 0
		.amdhsa_float_denorm_mode_32 3
		.amdhsa_float_denorm_mode_16_64 3
		.amdhsa_dx10_clamp 1
		.amdhsa_ieee_mode 1
		.amdhsa_fp16_overflow 0
		.amdhsa_tg_split 0
		.amdhsa_exception_fp_ieee_invalid_op 0
		.amdhsa_exception_fp_denorm_src 0
		.amdhsa_exception_fp_ieee_div_zero 0
		.amdhsa_exception_fp_ieee_overflow 0
		.amdhsa_exception_fp_ieee_underflow 0
		.amdhsa_exception_fp_ieee_inexact 0
		.amdhsa_exception_int_div_zero 0
	.end_amdhsa_kernel
	.section	.text._Z39paged_attention_ll4mi_QKV_mfma16_kernelIDF16_DF16_LN4vllm18Fp8KVCacheDataTypeE0EDF16_Li32ELi128ELi256ELb1ELi14EL8MFMAType0EEvPKT_PKT0_S8_ifPKiSA_SA_iPKfiiiPfSD_PS3_PT2_iSC_SC_,"axG",@progbits,_Z39paged_attention_ll4mi_QKV_mfma16_kernelIDF16_DF16_LN4vllm18Fp8KVCacheDataTypeE0EDF16_Li32ELi128ELi256ELb1ELi14EL8MFMAType0EEvPKT_PKT0_S8_ifPKiSA_SA_iPKfiiiPfSD_PS3_PT2_iSC_SC_,comdat
.Lfunc_end165:
	.size	_Z39paged_attention_ll4mi_QKV_mfma16_kernelIDF16_DF16_LN4vllm18Fp8KVCacheDataTypeE0EDF16_Li32ELi128ELi256ELb1ELi14EL8MFMAType0EEvPKT_PKT0_S8_ifPKiSA_SA_iPKfiiiPfSD_PS3_PT2_iSC_SC_, .Lfunc_end165-_Z39paged_attention_ll4mi_QKV_mfma16_kernelIDF16_DF16_LN4vllm18Fp8KVCacheDataTypeE0EDF16_Li32ELi128ELi256ELb1ELi14EL8MFMAType0EEvPKT_PKT0_S8_ifPKiSA_SA_iPKfiiiPfSD_PS3_PT2_iSC_SC_
                                        ; -- End function
	.section	.AMDGPU.csdata,"",@progbits
; Kernel info:
; codeLenInByte = 5164
; NumSgprs: 52
; NumVgprs: 96
; NumAgprs: 0
; TotalNumVgprs: 96
; ScratchSize: 12
; MemoryBound: 0
; FloatMode: 240
; IeeeMode: 1
; LDSByteSize: 8192 bytes/workgroup (compile time only)
; SGPRBlocks: 6
; VGPRBlocks: 11
; NumSGPRsForWavesPerEU: 52
; NumVGPRsForWavesPerEU: 96
; AccumOffset: 96
; Occupancy: 5
; WaveLimiterHint : 1
; COMPUTE_PGM_RSRC2:SCRATCH_EN: 1
; COMPUTE_PGM_RSRC2:USER_SGPR: 6
; COMPUTE_PGM_RSRC2:TRAP_HANDLER: 0
; COMPUTE_PGM_RSRC2:TGID_X_EN: 1
; COMPUTE_PGM_RSRC2:TGID_Y_EN: 1
; COMPUTE_PGM_RSRC2:TGID_Z_EN: 1
; COMPUTE_PGM_RSRC2:TIDIG_COMP_CNT: 0
; COMPUTE_PGM_RSRC3_GFX90A:ACCUM_OFFSET: 23
; COMPUTE_PGM_RSRC3_GFX90A:TG_SPLIT: 0
	.section	.text._Z39paged_attention_ll4mi_QKV_mfma16_kernelIDF16_DF16_LN4vllm18Fp8KVCacheDataTypeE0EDF16_Li32ELi128ELi256ELb1ELi15EL8MFMAType0EEvPKT_PKT0_S8_ifPKiSA_SA_iPKfiiiPfSD_PS3_PT2_iSC_SC_,"axG",@progbits,_Z39paged_attention_ll4mi_QKV_mfma16_kernelIDF16_DF16_LN4vllm18Fp8KVCacheDataTypeE0EDF16_Li32ELi128ELi256ELb1ELi15EL8MFMAType0EEvPKT_PKT0_S8_ifPKiSA_SA_iPKfiiiPfSD_PS3_PT2_iSC_SC_,comdat
	.protected	_Z39paged_attention_ll4mi_QKV_mfma16_kernelIDF16_DF16_LN4vllm18Fp8KVCacheDataTypeE0EDF16_Li32ELi128ELi256ELb1ELi15EL8MFMAType0EEvPKT_PKT0_S8_ifPKiSA_SA_iPKfiiiPfSD_PS3_PT2_iSC_SC_ ; -- Begin function _Z39paged_attention_ll4mi_QKV_mfma16_kernelIDF16_DF16_LN4vllm18Fp8KVCacheDataTypeE0EDF16_Li32ELi128ELi256ELb1ELi15EL8MFMAType0EEvPKT_PKT0_S8_ifPKiSA_SA_iPKfiiiPfSD_PS3_PT2_iSC_SC_
	.globl	_Z39paged_attention_ll4mi_QKV_mfma16_kernelIDF16_DF16_LN4vllm18Fp8KVCacheDataTypeE0EDF16_Li32ELi128ELi256ELb1ELi15EL8MFMAType0EEvPKT_PKT0_S8_ifPKiSA_SA_iPKfiiiPfSD_PS3_PT2_iSC_SC_
	.p2align	8
	.type	_Z39paged_attention_ll4mi_QKV_mfma16_kernelIDF16_DF16_LN4vllm18Fp8KVCacheDataTypeE0EDF16_Li32ELi128ELi256ELb1ELi15EL8MFMAType0EEvPKT_PKT0_S8_ifPKiSA_SA_iPKfiiiPfSD_PS3_PT2_iSC_SC_,@function
_Z39paged_attention_ll4mi_QKV_mfma16_kernelIDF16_DF16_LN4vllm18Fp8KVCacheDataTypeE0EDF16_Li32ELi128ELi256ELb1ELi15EL8MFMAType0EEvPKT_PKT0_S8_ifPKiSA_SA_iPKfiiiPfSD_PS3_PT2_iSC_SC_: ; @_Z39paged_attention_ll4mi_QKV_mfma16_kernelIDF16_DF16_LN4vllm18Fp8KVCacheDataTypeE0EDF16_Li32ELi128ELi256ELb1ELi15EL8MFMAType0EEvPKT_PKT0_S8_ifPKiSA_SA_iPKfiiiPfSD_PS3_PT2_iSC_SC_
; %bb.0:
	s_mov_b64 s[46:47], s[2:3]
	s_mov_b64 s[44:45], s[0:1]
	s_load_dwordx2 s[0:1], s[4:5], 0x30
	s_add_u32 s44, s44, s9
	s_addc_u32 s45, s45, 0
	s_mov_b32 s26, s7
	s_mov_b64 s[10:11], 0
	s_waitcnt lgkmcnt(0)
	s_cmp_lg_u64 s[0:1], 0
	s_cselect_b64 s[2:3], -1, 0
	s_and_b64 vcc, exec, s[2:3]
	s_cbranch_vccz .LBB166_7
; %bb.1:
	s_add_i32 s12, s6, 1
	s_mov_b32 s13, 0
	s_lshl_b64 s[14:15], s[12:13], 2
	s_add_u32 s14, s0, s14
	s_mov_b32 s7, s13
	s_addc_u32 s15, s1, s15
	s_lshl_b64 s[12:13], s[6:7], 2
	s_add_u32 s12, s0, s12
	s_addc_u32 s13, s1, s13
	s_load_dword s9, s[14:15], 0x0
	s_load_dword s16, s[12:13], 0x0
	s_waitcnt lgkmcnt(0)
	s_sub_i32 s9, s9, s16
	s_cmp_eq_u32 s9, 1
	s_cselect_b64 s[12:13], -1, 0
	s_andn2_b64 vcc, exec, s[10:11]
	s_cbranch_vccnz .LBB166_3
.LBB166_2:
	s_mov_b32 s7, 0
	s_mov_b64 s[12:13], -1
.LBB166_3:
	s_andn2_b64 vcc, exec, s[12:13]
	s_cbranch_vccnz .LBB166_22
; %bb.4:
	s_load_dwordx2 s[12:13], s[4:5], 0x28
	s_lshl_b64 s[10:11], s[6:7], 2
	s_waitcnt lgkmcnt(0)
	s_add_u32 s12, s12, s10
	s_addc_u32 s13, s13, s11
	s_load_dword s33, s[12:13], 0x0
	s_lshl_b32 s16, s26, 8
	s_waitcnt lgkmcnt(0)
	s_cmp_ge_i32 s16, s33
	s_cbranch_scc1 .LBB166_22
; %bb.5:
	s_add_i32 s14, s33, 31
	s_load_dwordx2 s[12:13], s[4:5], 0x20
	s_load_dword s9, s[4:5], 0x38
	s_ashr_i32 s15, s14, 31
	v_and_b32_e32 v1, 0xcf, v0
	s_lshr_b32 s15, s15, 27
	v_add_u32_e32 v1, s16, v1
	s_add_i32 s14, s14, s15
	v_ashrrev_i32_e32 v2, 31, v1
	s_ashr_i32 s19, s14, 5
	v_lshrrev_b32_e32 v6, 27, v2
	s_add_i32 s19, s19, -1
	v_add_u32_e32 v2, v1, v6
	s_waitcnt lgkmcnt(0)
	s_mul_i32 s14, s6, s9
	s_mov_b32 s15, 0
	v_ashrrev_i32_e32 v2, 5, v2
	v_mov_b32_e32 v7, s19
	v_cmp_gt_i32_e32 vcc, s33, v1
	s_lshl_b64 s[14:15], s[14:15], 2
	v_cndmask_b32_e32 v2, v7, v2, vcc
	s_add_u32 s17, s12, s14
	v_ashrrev_i32_e32 v3, 31, v2
	s_addc_u32 s18, s13, s15
	v_lshlrev_b64 v[2:3], 2, v[2:3]
	v_mov_b32_e32 v4, s18
	v_add_co_u32_e32 v2, vcc, s17, v2
	v_addc_co_u32_e32 v3, vcc, v4, v3, vcc
	v_or_b32_e32 v4, 16, v1
	v_add_u32_e32 v5, v4, v6
	v_ashrrev_i32_e32 v5, 5, v5
	v_cmp_gt_i32_e32 vcc, s33, v4
	v_cndmask_b32_e32 v4, v7, v5, vcc
	v_ashrrev_i32_e32 v5, 31, v4
	v_lshlrev_b64 v[4:5], 2, v[4:5]
	v_mov_b32_e32 v9, s18
	v_add_co_u32_e32 v8, vcc, s17, v4
	v_or_b32_e32 v4, 32, v1
	v_addc_co_u32_e32 v9, vcc, v9, v5, vcc
	v_add_u32_e32 v5, v4, v6
	v_ashrrev_i32_e32 v5, 5, v5
	v_cmp_gt_i32_e32 vcc, s33, v4
	v_cndmask_b32_e32 v4, v7, v5, vcc
	v_ashrrev_i32_e32 v5, 31, v4
	v_lshlrev_b64 v[4:5], 2, v[4:5]
	v_mov_b32_e32 v11, s18
	v_add_co_u32_e32 v10, vcc, s17, v4
	v_or_b32_e32 v1, 48, v1
	v_addc_co_u32_e32 v11, vcc, v11, v5, vcc
	v_add_u32_e32 v4, v1, v6
	v_ashrrev_i32_e32 v4, 5, v4
	v_cmp_gt_i32_e32 vcc, s33, v1
	v_cndmask_b32_e32 v4, v7, v4, vcc
	v_ashrrev_i32_e32 v5, 31, v4
	v_lshlrev_b64 v[4:5], 2, v[4:5]
	v_mov_b32_e32 v1, s18
	v_add_co_u32_e32 v12, vcc, s17, v4
	v_addc_co_u32_e32 v13, vcc, v1, v5, vcc
	global_load_dword v7, v[2:3], off
	global_load_dword v6, v[8:9], off
	;; [unrolled: 1-line block ×4, first 2 shown]
	s_andn2_b64 vcc, exec, s[2:3]
	s_cbranch_vccnz .LBB166_8
; %bb.6:
	s_add_u32 s0, s0, s10
	s_addc_u32 s1, s1, s11
	s_load_dword s9, s[0:1], 0x0
	s_branch .LBB166_9
.LBB166_7:
	s_mov_b64 s[12:13], 0
	s_branch .LBB166_2
.LBB166_8:
	s_mov_b32 s9, s6
.LBB166_9:
	s_load_dwordx2 s[12:13], s[4:5], 0x8
	s_load_dwordx4 s[0:3], s[4:5], 0x48
	v_lshrrev_b32_e32 v85, 6, v0
	v_bfe_u32 v1, v0, 4, 2
	v_lshl_or_b32 v8, v85, 2, v1
	v_and_b32_e32 v84, 15, v0
	v_lshlrev_b32_e32 v2, 3, v84
	v_cmp_lt_u32_e32 vcc, 14, v8
	s_and_saveexec_b64 s[10:11], vcc
	s_xor_b64 s[10:11], exec, s[10:11]
; %bb.10:
	v_mov_b32_e32 v3, 0
                                        ; implicit-def: $vgpr8
; %bb.11:
	s_or_saveexec_b64 s[14:15], s[10:11]
	s_load_dwordx2 s[10:11], s[4:5], 0x10
	s_mul_i32 s27, s8, 15
	s_xor_b64 exec, exec, s[14:15]
	s_cbranch_execz .LBB166_13
; %bb.12:
	s_load_dwordx2 s[20:21], s[4:5], 0x0
	s_waitcnt lgkmcnt(0)
	s_ashr_i32 s3, s0, 31
	s_mul_hi_u32 s22, s9, s0
	s_mul_i32 s3, s9, s3
	s_add_i32 s23, s22, s3
	s_mul_i32 s22, s9, s0
	s_lshl_b64 s[22:23], s[22:23], 1
	v_add_lshl_u32 v10, v8, s27, 7
	s_add_u32 s0, s20, s22
	v_ashrrev_i32_e32 v11, 31, v10
	s_addc_u32 s3, s21, s23
	v_lshlrev_b64 v[10:11], 1, v[10:11]
	v_mov_b32_e32 v3, s3
	v_add_co_u32_e32 v9, vcc, s0, v10
	v_addc_co_u32_e32 v3, vcc, v3, v11, vcc
	v_lshlrev_b32_e32 v10, 1, v2
	v_add_co_u32_e32 v10, vcc, v9, v10
	v_addc_co_u32_e32 v11, vcc, 0, v3, vcc
	global_load_dwordx4 v[10:13], v[10:11], off
	v_and_b32_e32 v9, 3, v0
	v_lshlrev_b32_e32 v14, 9, v84
	v_lshlrev_b32_e32 v8, 5, v8
	;; [unrolled: 1-line block ×3, first 2 shown]
	v_and_b32_e32 v14, 0x1800, v14
	v_mov_b32_e32 v3, 0
	v_or3_b32 v8, v14, v9, v8
	s_waitcnt vmcnt(0)
	ds_write_b128 v8, v[10:13]
.LBB166_13:
	s_or_b64 exec, exec, s[14:15]
	s_waitcnt lgkmcnt(0)
	s_mov_b32 s3, 0
	s_mul_i32 s2, s8, s2
	s_lshl_b64 s[2:3], s[2:3], 1
	s_add_u32 s0, s12, s2
	s_waitcnt vmcnt(3)
	v_mad_i64_i32 v[8:9], s[8:9], v7, s1, 0
	s_addc_u32 s12, s13, s3
	v_lshlrev_b64 v[8:9], 1, v[8:9]
	v_mov_b32_e32 v7, s12
	v_add_co_u32_e32 v8, vcc, s0, v8
	v_addc_co_u32_e32 v7, vcc, v7, v9, vcc
	v_lshlrev_b64 v[14:15], 1, v[2:3]
	v_add_co_u32_e32 v8, vcc, v8, v14
	v_lshlrev_b32_e32 v12, 9, v1
	v_addc_co_u32_e32 v7, vcc, v7, v15, vcc
	v_add_co_u32_e32 v2, vcc, v8, v12
	v_addc_co_u32_e32 v3, vcc, 0, v7, vcc
	v_or_b32_e32 v10, 0x1000, v12
	s_barrier
	global_load_dwordx4 v[38:41], v[2:3], off
	global_load_dwordx4 v[34:37], v[2:3], off offset:2048
	v_add_co_u32_e32 v2, vcc, v8, v10
	v_addc_co_u32_e32 v3, vcc, 0, v7, vcc
	v_or_b32_e32 v11, 0x1800, v12
	v_add_co_u32_e32 v8, vcc, v8, v11
	v_addc_co_u32_e32 v9, vcc, 0, v7, vcc
	global_load_dwordx4 v[46:49], v[2:3], off
	global_load_dwordx4 v[58:61], v[8:9], off
	s_waitcnt vmcnt(6)
	v_mad_i64_i32 v[2:3], s[8:9], v6, s1, 0
	v_lshlrev_b64 v[2:3], 1, v[2:3]
	v_mov_b32_e32 v6, s12
	v_add_co_u32_e32 v2, vcc, s0, v2
	v_addc_co_u32_e32 v3, vcc, v6, v3, vcc
	v_mov_b32_e32 v6, 0x100
	v_lshl_or_b32 v8, v84, 4, v6
	v_add_co_u32_e32 v6, vcc, v2, v8
	v_addc_co_u32_e32 v7, vcc, 0, v3, vcc
	v_add_co_u32_e32 v2, vcc, v6, v12
	v_addc_co_u32_e32 v3, vcc, 0, v7, vcc
	global_load_dwordx4 v[74:77], v[2:3], off
	global_load_dwordx4 v[70:73], v[2:3], off offset:2048
	v_add_co_u32_e32 v2, vcc, v6, v10
	v_addc_co_u32_e32 v3, vcc, 0, v7, vcc
	v_add_co_u32_e32 v6, vcc, v6, v11
	v_addc_co_u32_e32 v7, vcc, 0, v7, vcc
	global_load_dwordx4 v[78:81], v[2:3], off
	global_load_dwordx4 v[66:69], v[6:7], off
	s_waitcnt vmcnt(9)
	v_mad_i64_i32 v[2:3], s[8:9], v5, s1, 0
	v_lshlrev_b64 v[2:3], 1, v[2:3]
	v_mov_b32_e32 v5, s12
	v_add_co_u32_e32 v2, vcc, s0, v2
	v_addc_co_u32_e32 v3, vcc, v5, v3, vcc
	v_add_co_u32_e32 v5, vcc, v2, v14
	buffer_store_dword v14, off, s[44:47], 0 ; 4-byte Folded Spill
	s_nop 0
	buffer_store_dword v15, off, s[44:47], 0 offset:4 ; 4-byte Folded Spill
	v_and_b32_e32 v94, 63, v0
	v_mov_b32_e32 v87, 0
	v_addc_co_u32_e32 v7, vcc, v3, v15, vcc
	v_add_co_u32_e32 v2, vcc, v5, v12
	v_addc_co_u32_e32 v3, vcc, 0, v7, vcc
	global_load_dwordx4 v[62:65], v[2:3], off
	global_load_dwordx4 v[42:45], v[2:3], off offset:2048
	v_add_co_u32_e32 v2, vcc, v5, v10
	v_addc_co_u32_e32 v3, vcc, 0, v7, vcc
	v_add_co_u32_e32 v6, vcc, v5, v11
	v_addc_co_u32_e32 v7, vcc, 0, v7, vcc
	global_load_dwordx4 v[26:29], v[2:3], off
	global_load_dwordx4 v[18:21], v[6:7], off
	s_waitcnt vmcnt(14)
	v_mad_i64_i32 v[2:3], s[8:9], v4, s1, 0
	v_lshlrev_b64 v[2:3], 1, v[2:3]
	v_mov_b32_e32 v4, s12
	v_add_co_u32_e32 v2, vcc, s0, v2
	v_addc_co_u32_e32 v3, vcc, v4, v3, vcc
	v_add_co_u32_e32 v4, vcc, v2, v8
	v_addc_co_u32_e32 v5, vcc, 0, v3, vcc
	v_add_co_u32_e32 v2, vcc, v4, v12
	v_addc_co_u32_e32 v3, vcc, 0, v5, vcc
	global_load_dwordx4 v[14:17], v[2:3], off
	global_load_dwordx4 v[6:9], v[2:3], off offset:2048
	v_add_co_u32_e32 v2, vcc, v4, v10
	v_addc_co_u32_e32 v3, vcc, 0, v5, vcc
	v_add_co_u32_e32 v10, vcc, v4, v11
	v_addc_co_u32_e32 v11, vcc, 0, v5, vcc
	global_load_dwordx4 v[2:5], v[2:3], off
	s_nop 0
	global_load_dwordx4 v[50:53], v[10:11], off
	v_cmp_ne_u32_e32 vcc, 15, v84
	v_cndmask_b32_e32 v10, 0, v84, vcc
	v_lshl_or_b32 v54, v10, 5, v12
	ds_read_b128 v[30:33], v54
	ds_read_b128 v[22:25], v54 offset:2048
	ds_read_b128 v[10:13], v54 offset:4096
	;; [unrolled: 1-line block ×3, first 2 shown]
	s_and_saveexec_b64 s[8:9], vcc
	s_cbranch_execz .LBB166_15
; %bb.14:
	s_load_dwordx2 s[12:13], s[4:5], 0x40
	v_add_u32_e32 v82, s27, v84
	v_ashrrev_i32_e32 v83, 31, v82
	v_lshlrev_b64 v[82:83], 2, v[82:83]
	s_waitcnt lgkmcnt(0)
	v_mov_b32_e32 v87, s13
	v_add_co_u32_e32 v82, vcc, s12, v82
	v_addc_co_u32_e32 v83, vcc, v87, v83, vcc
	global_load_dword v87, v[82:83], off
.LBB166_15:
	s_or_b64 exec, exec, s[8:9]
	s_waitcnt vmcnt(17) lgkmcnt(3)
	v_mfma_f32_16x16x16f16 v[88:91], v[38:39], v[30:31], 0
	s_ashr_i32 s0, s16, 31
	s_lshr_b32 s0, s0, 27
	s_add_u32 s2, s10, s2
	s_addc_u32 s3, s11, s3
	s_mov_b32 s40, 0xff7fffff
	v_mfma_f32_16x16x16f16 v[38:41], v[40:41], v[32:33], v[88:91]
	s_waitcnt vmcnt(16) lgkmcnt(2)
	v_mfma_f32_16x16x16f16 v[38:41], v[34:35], v[22:23], v[38:41]
	s_nop 4
	v_lshl_or_b32 v88, v85, 4, v84
	v_mfma_f32_16x16x16f16 v[34:37], v[36:37], v[24:25], v[38:41]
	s_waitcnt vmcnt(15) lgkmcnt(1)
	v_mfma_f32_16x16x16f16 v[34:37], v[46:47], v[10:11], v[34:37]
	v_and_or_b32 v46, v0, 48, s16
	s_nop 3
	v_add_u32_e32 v38, s0, v46
	v_ashrrev_i32_e32 v38, 5, v38
	v_mov_b32_e32 v47, s19
	v_cmp_gt_i32_e32 vcc, s33, v46
	v_cndmask_b32_e32 v38, v47, v38, vcc
	v_ashrrev_i32_e32 v39, 31, v38
	v_mfma_f32_16x16x16f16 v[34:37], v[48:49], v[12:13], v[34:37]
	v_or_b32_e32 v40, 64, v46
	v_add_u32_e32 v41, s0, v40
	v_ashrrev_i32_e32 v41, 5, v41
	v_mov_b32_e32 v48, s18
	s_waitcnt vmcnt(14) lgkmcnt(0)
	v_mfma_f32_16x16x16f16 v[34:37], v[58:59], v[54:55], v[34:37]
	v_mfma_f32_16x16x16f16 v[58:61], v[60:61], v[56:57], v[34:37]
	s_waitcnt vmcnt(13)
	v_mfma_f32_16x16x16f16 v[34:37], v[74:75], v[30:31], 0
	v_mfma_f32_16x16x16f16 v[34:37], v[76:77], v[32:33], v[34:37]
	v_lshlrev_b32_e32 v76, 6, v88
	s_waitcnt vmcnt(12)
	v_mfma_f32_16x16x16f16 v[34:37], v[70:71], v[22:23], v[34:37]
	v_mfma_f32_16x16x16f16 v[34:37], v[72:73], v[24:25], v[34:37]
	s_waitcnt vmcnt(11)
	v_mfma_f32_16x16x16f16 v[34:37], v[78:79], v[10:11], v[34:37]
	v_mfma_f32_16x16x16f16 v[34:37], v[80:81], v[12:13], v[34:37]
	;; [unrolled: 3-line block ×3, first 2 shown]
	s_nop 7
	s_nop 1
	v_lshlrev_b64 v[34:35], 2, v[38:39]
	v_mov_b32_e32 v36, s18
	v_add_co_u32_e32 v38, vcc, s17, v34
	v_addc_co_u32_e32 v39, vcc, v36, v35, vcc
	v_cmp_gt_i32_e32 vcc, s33, v40
	v_cndmask_b32_e32 v40, v47, v41, vcc
	v_ashrrev_i32_e32 v41, 31, v40
	v_lshlrev_b64 v[40:41], 2, v[40:41]
	v_add_co_u32_e32 v40, vcc, s17, v40
	v_addc_co_u32_e32 v41, vcc, v48, v41, vcc
	global_load_dword v48, v[38:39], off
	s_nop 0
	global_load_dword v40, v[40:41], off
	v_or_b32_e32 v38, 0x80, v46
	v_add_u32_e32 v39, s0, v38
	v_ashrrev_i32_e32 v39, 5, v39
	v_cmp_gt_i32_e32 vcc, s33, v38
	v_cndmask_b32_e32 v38, v47, v39, vcc
	v_ashrrev_i32_e32 v39, 31, v38
	v_lshlrev_b64 v[38:39], 2, v[38:39]
	v_mov_b32_e32 v41, s18
	v_add_co_u32_e32 v38, vcc, s17, v38
	v_addc_co_u32_e32 v39, vcc, v41, v39, vcc
	s_waitcnt vmcnt(9)
	v_mfma_f32_16x16x16f16 v[34:37], v[62:63], v[30:31], 0
	global_load_dword v62, v[38:39], off
	v_or_b32_e32 v38, 0xc0, v46
	v_add_u32_e32 v39, s0, v38
	v_ashrrev_i32_e32 v39, 5, v39
	v_cmp_gt_i32_e32 vcc, s33, v38
	v_cndmask_b32_e32 v38, v47, v39, vcc
	v_ashrrev_i32_e32 v39, 31, v38
	v_mfma_f32_16x16x16f16 v[34:37], v[64:65], v[32:33], v[34:37]
	s_load_dword s0, s[4:5], 0x1c
	s_waitcnt lgkmcnt(0)
	v_pk_mul_f32 v[58:59], s[0:1], v[58:59] op_sel_hi:[0,1]
	s_waitcnt vmcnt(9)
	v_mfma_f32_16x16x16f16 v[34:37], v[42:43], v[22:23], v[34:37]
	v_mfma_f32_16x16x16f16 v[34:37], v[44:45], v[24:25], v[34:37]
	s_waitcnt vmcnt(8)
	v_mfma_f32_16x16x16f16 v[34:37], v[26:27], v[10:11], v[34:37]
	v_lshlrev_b64 v[26:27], 2, v[38:39]
	v_mov_b32_e32 v39, s18
	v_add_co_u32_e32 v38, vcc, s17, v26
	v_addc_co_u32_e32 v39, vcc, v39, v27, vcc
	global_load_dword v63, v[38:39], off
	v_mfma_f32_16x16x16f16 v[26:29], v[28:29], v[12:13], v[34:37]
	s_waitcnt vmcnt(8)
	v_mfma_f32_16x16x16f16 v[26:29], v[18:19], v[54:55], v[26:29]
	s_nop 4
	v_and_b32_e32 v34, 16, v0
	v_lshlrev_b32_e32 v34, 1, v34
	v_mov_b32_e32 v18, s3
	v_add_co_u32_e32 v74, vcc, s2, v34
	v_addc_co_u32_e32 v75, vcc, 0, v18, vcc
	v_mfma_f32_16x16x16f16 v[90:93], v[20:21], v[56:57], v[26:29]
	v_add_co_u32_e32 v77, vcc, v74, v76
	v_addc_co_u32_e32 v78, vcc, 0, v75, vcc
	s_waitcnt vmcnt(3)
	v_mad_i64_i32 v[18:19], s[2:3], v48, s1, 0
	v_lshlrev_b64 v[70:71], 1, v[18:19]
	v_mfma_f32_16x16x16f16 v[18:21], v[14:15], v[30:31], 0
	v_add_co_u32_e32 v14, vcc, v77, v70
	v_addc_co_u32_e32 v15, vcc, v78, v71, vcc
	global_load_dwordx4 v[46:49], v[14:15], off
	global_load_dwordx4 v[42:45], v[14:15], off offset:16
	s_waitcnt vmcnt(4)
	v_mad_i64_i32 v[14:15], s[2:3], v40, s1, 0
	v_lshlrev_b64 v[72:73], 1, v[14:15]
	v_mfma_f32_16x16x16f16 v[14:17], v[16:17], v[32:33], v[18:21]
	v_mfma_f32_16x16x16f16 v[14:17], v[6:7], v[22:23], v[14:17]
	s_nop 5
	v_add_co_u32_e32 v18, vcc, v77, v72
	v_addc_co_u32_e32 v19, vcc, v78, v73, vcc
	global_load_dwordx4 v[38:41], v[18:19], off
	global_load_dwordx4 v[34:37], v[18:19], off offset:16
	s_waitcnt vmcnt(5)
	v_mad_i64_i32 v[18:19], s[2:3], v62, s1, 0
	v_lshlrev_b64 v[64:65], 1, v[18:19]
	v_add_co_u32_e32 v6, vcc, v77, v64
	v_addc_co_u32_e32 v7, vcc, v78, v65, vcc
	global_load_dwordx4 v[30:33], v[6:7], off
	global_load_dwordx4 v[26:29], v[6:7], off offset:16
	v_mfma_f32_16x16x16f16 v[6:9], v[8:9], v[24:25], v[14:17]
	v_mfma_f32_16x16x16f16 v[6:9], v[2:3], v[10:11], v[6:9]
	v_or_b32_e32 v2, 0x1000, v76
	s_waitcnt vmcnt(6)
	s_nop 3
	v_mad_i64_i32 v[14:15], s[2:3], v63, s1, 0
	v_mfma_f32_16x16x16f16 v[10:13], v[4:5], v[12:13], v[6:9]
	v_lshlrev_b64 v[62:63], 1, v[14:15]
	v_add_co_u32_e32 v14, vcc, v77, v62
	v_addc_co_u32_e32 v15, vcc, v78, v63, vcc
	v_add_co_u32_e32 v89, vcc, v74, v2
	v_mfma_f32_16x16x16f16 v[80:83], v[50:51], v[54:55], v[10:13]
	v_addc_co_u32_e32 v86, vcc, 0, v75, vcc
	v_pk_mul_f32 v[74:75], s[0:1], v[68:69] op_sel_hi:[0,1]
	v_pk_mul_f32 v[76:77], s[0:1], v[66:67] op_sel_hi:[0,1]
	;; [unrolled: 1-line block ×3, first 2 shown]
	v_add_co_u32_e32 v2, vcc, v89, v70
	v_mfma_f32_16x16x16f16 v[50:53], v[52:53], v[56:57], v[80:83]
	v_addc_co_u32_e32 v3, vcc, v86, v71, vcc
	v_add_co_u32_e32 v70, vcc, v89, v72
	v_addc_co_u32_e32 v71, vcc, v86, v73, vcc
	global_load_dwordx4 v[22:25], v[14:15], off
	global_load_dwordx4 v[18:21], v[14:15], off offset:16
	s_nop 5
	v_pk_mul_f32 v[68:69], s[0:1], v[50:51] op_sel_hi:[0,1]
	v_and_b32_e32 v50, 0xc0, v0
	v_add_u32_e32 v50, s16, v50
	v_lshl_or_b32 v50, v1, 2, v50
	v_or_b32_e32 v51, 1, v50
	v_pk_mul_f32 v[66:67], s[0:1], v[52:53] op_sel_hi:[0,1]
	v_subrev_u32_e32 v52, s33, v51
	v_add_u32_e32 v54, 1, v52
	v_add_u32_e32 v55, 2, v52
	v_cvt_f32_i32_e32 v53, v52
	v_cvt_f32_i32_e32 v54, v54
	;; [unrolled: 1-line block ×3, first 2 shown]
	v_add_u32_e32 v56, 3, v52
	v_fma_f32 v58, v87, v53, v58
	v_fmac_f32_e32 v59, v87, v54
	v_fma_f32 v78, v87, v55, v78
	v_add_u32_e32 v53, 16, v52
	v_add_u32_e32 v54, 17, v52
	;; [unrolled: 1-line block ×3, first 2 shown]
	v_cvt_f32_i32_e32 v56, v56
	v_cvt_f32_i32_e32 v53, v53
	;; [unrolled: 1-line block ×4, first 2 shown]
	v_fmac_f32_e32 v79, v87, v56
	v_add_u32_e32 v56, 19, v52
	v_fma_f32 v76, v87, v53, v76
	v_fmac_f32_e32 v77, v87, v54
	v_fma_f32 v74, v87, v55, v74
	v_add_u32_e32 v53, 32, v52
	v_add_u32_e32 v54, 33, v52
	v_add_u32_e32 v55, 34, v52
	v_cvt_f32_i32_e32 v56, v56
	v_cvt_f32_i32_e32 v53, v53
	v_cvt_f32_i32_e32 v54, v54
	v_cvt_f32_i32_e32 v55, v55
	global_load_dwordx4 v[6:9], v[2:3], off
	s_nop 0
	global_load_dwordx4 v[2:5], v[2:3], off offset:16
	s_nop 0
	global_load_dwordx4 v[14:17], v[70:71], off
	global_load_dwordx4 v[10:13], v[70:71], off offset:16
	v_pk_mul_f32 v[70:71], s[0:1], v[92:93] op_sel_hi:[0,1]
	v_pk_mul_f32 v[72:73], s[0:1], v[90:91] op_sel_hi:[0,1]
	v_fmac_f32_e32 v75, v87, v56
	v_add_u32_e32 v56, 35, v52
	v_fma_f32 v72, v87, v53, v72
	v_fmac_f32_e32 v73, v87, v54
	v_fma_f32 v70, v87, v55, v70
	v_add_u32_e32 v53, 48, v52
	v_add_u32_e32 v54, 49, v52
	;; [unrolled: 1-line block ×4, first 2 shown]
	v_cvt_f32_i32_e32 v52, v52
	v_cvt_f32_i32_e32 v53, v53
	;; [unrolled: 1-line block ×3, first 2 shown]
	v_cmp_gt_i32_e64 s[28:29], s33, v50
	v_fmac_f32_e32 v67, v87, v52
	v_mov_b32_e32 v52, 0xff7fffff
	v_cmp_gt_i32_e64 s[30:31], s33, v51
	v_fma_f32 v68, v87, v53, v68
	v_cndmask_b32_e64 v53, v52, v58, s[28:29]
	v_cndmask_b32_e64 v51, v52, v59, s[30:31]
	v_fmac_f32_e32 v69, v87, v54
	v_max3_f32 v51, v53, s40, v51
	v_or_b32_e32 v53, 2, v50
	v_or_b32_e32 v54, 3, v50
	v_cmp_gt_i32_e64 s[34:35], s33, v53
	v_cmp_gt_i32_e64 s[36:37], s33, v54
	v_cndmask_b32_e64 v53, v52, v78, s[34:35]
	v_cndmask_b32_e64 v54, v52, v79, s[36:37]
	v_max3_f32 v51, v51, v53, v54
	v_or_b32_e32 v53, 16, v50
	v_or_b32_e32 v54, 17, v50
	v_cmp_gt_i32_e64 s[22:23], s33, v53
	v_cmp_gt_i32_e64 s[24:25], s33, v54
	v_cndmask_b32_e64 v53, v52, v76, s[22:23]
	v_cndmask_b32_e64 v54, v52, v77, s[24:25]
	;; [unrolled: 7-line block ×3, first 2 shown]
	v_cvt_f32_i32_e32 v56, v56
	v_max3_f32 v51, v51, v53, v54
	v_or_b32_e32 v53, 32, v50
	v_or_b32_e32 v54, 33, v50
	v_cmp_gt_i32_e64 s[14:15], s33, v53
	v_cmp_gt_i32_e64 s[16:17], s33, v54
	v_cndmask_b32_e64 v53, v52, v72, s[14:15]
	v_cndmask_b32_e64 v54, v52, v73, s[16:17]
	v_max3_f32 v51, v51, v53, v54
	v_or_b32_e32 v53, 34, v50
	v_or_b32_e32 v54, 35, v50
	v_fmac_f32_e32 v71, v87, v56
	v_cmp_gt_i32_e64 s[10:11], s33, v53
	v_cmp_gt_i32_e64 s[12:13], s33, v54
	v_cndmask_b32_e64 v53, v52, v70, s[10:11]
	v_cndmask_b32_e64 v54, v52, v71, s[12:13]
	v_cvt_f32_i32_e32 v55, v55
	v_max3_f32 v51, v51, v53, v54
	v_or_b32_e32 v53, 48, v50
	v_or_b32_e32 v54, 49, v50
	v_cmp_gt_i32_e64 s[2:3], s33, v53
	v_cmp_gt_i32_e64 s[8:9], s33, v54
	v_cndmask_b32_e64 v53, v52, v68, s[2:3]
	v_cndmask_b32_e64 v54, v52, v69, s[8:9]
	v_max3_f32 v51, v51, v53, v54
	v_or_b32_e32 v53, 50, v50
	v_or_b32_e32 v50, 51, v50
	v_fma_f32 v66, v87, v55, v66
	v_cmp_gt_i32_e32 vcc, s33, v53
	v_cmp_gt_i32_e64 s[0:1], s33, v50
	v_cndmask_b32_e32 v53, v52, v66, vcc
	v_cndmask_b32_e64 v50, v52, v67, s[0:1]
	v_max3_f32 v60, v51, v53, v50
	v_mbcnt_lo_u32_b32 v50, -1, 0
	v_mbcnt_hi_u32_b32 v61, -1, v50
	v_and_b32_e32 v50, 64, v61
	v_add_u32_e32 v80, 64, v50
	v_xor_b32_e32 v50, 32, v61
	v_cmp_lt_i32_e64 s[38:39], v50, v80
	v_cndmask_b32_e64 v50, v61, v50, s[38:39]
	v_lshlrev_b32_e32 v82, 2, v50
	ds_bpermute_b32 v81, v82, v60
	v_add_co_u32_e64 v50, s[38:39], v89, v64
	v_addc_co_u32_e64 v51, s[38:39], v86, v65, s[38:39]
	s_waitcnt lgkmcnt(0)
	v_max_f32_e32 v64, v81, v81
	v_max_f32_e32 v64, v60, v64
	v_xor_b32_e32 v60, 16, v61
	v_cmp_lt_i32_e64 s[38:39], v60, v80
	v_cndmask_b32_e64 v60, v61, v60, s[38:39]
	v_lshlrev_b32_e32 v83, 2, v60
	ds_bpermute_b32 v65, v83, v64
	v_add_co_u32_e64 v60, s[38:39], v89, v62
	v_addc_co_u32_e64 v61, s[38:39], v86, v63, s[38:39]
	s_waitcnt lgkmcnt(0)
	v_max_f32_e32 v62, v65, v65
	v_max_f32_e32 v87, v64, v62
	v_sub_f32_e32 v58, v58, v87
	v_mul_f32_e32 v58, 0x3fb8aa3b, v58
	v_exp_f32_e32 v80, v58
	v_sub_f32_e32 v58, v59, v87
	v_mul_f32_e32 v58, 0x3fb8aa3b, v58
	global_load_dwordx4 v[54:57], v[50:51], off
	s_nop 0
	global_load_dwordx4 v[50:53], v[50:51], off offset:16
	v_exp_f32_e32 v81, v58
	global_load_dwordx4 v[62:65], v[60:61], off
	s_nop 0
	global_load_dwordx4 v[58:61], v[60:61], off offset:16
	v_sub_f32_e32 v78, v78, v87
	v_mul_f32_e32 v78, 0x3fb8aa3b, v78
	v_sub_f32_e32 v79, v79, v87
	v_exp_f32_e32 v78, v78
	v_mul_f32_e32 v79, 0x3fb8aa3b, v79
	v_sub_f32_e32 v76, v76, v87
	v_exp_f32_e32 v79, v79
	v_mul_f32_e32 v76, 0x3fb8aa3b, v76
	v_sub_f32_e32 v77, v77, v87
	v_cndmask_b32_e64 v80, 0, v80, s[28:29]
	v_exp_f32_e32 v76, v76
	v_mul_f32_e32 v77, 0x3fb8aa3b, v77
	v_sub_f32_e32 v74, v74, v87
	v_add_f32_e32 v86, 0, v80
	v_cndmask_b32_e64 v81, 0, v81, s[30:31]
	v_exp_f32_e32 v77, v77
	v_mul_f32_e32 v74, 0x3fb8aa3b, v74
	v_sub_f32_e32 v75, v75, v87
	v_add_f32_e32 v86, v86, v81
	v_cndmask_b32_e64 v78, 0, v78, s[34:35]
	v_exp_f32_e32 v74, v74
	v_mul_f32_e32 v75, 0x3fb8aa3b, v75
	v_sub_f32_e32 v72, v72, v87
	v_add_f32_e32 v86, v86, v78
	v_cndmask_b32_e64 v79, 0, v79, s[36:37]
	v_exp_f32_e32 v75, v75
	v_mul_f32_e32 v72, 0x3fb8aa3b, v72
	v_sub_f32_e32 v73, v73, v87
	v_add_f32_e32 v86, v86, v79
	v_cndmask_b32_e64 v76, 0, v76, s[22:23]
	v_exp_f32_e32 v72, v72
	v_mul_f32_e32 v73, 0x3fb8aa3b, v73
	v_sub_f32_e32 v70, v70, v87
	v_add_f32_e32 v86, v86, v76
	v_cndmask_b32_e64 v77, 0, v77, s[24:25]
	v_exp_f32_e32 v73, v73
	v_mul_f32_e32 v70, 0x3fb8aa3b, v70
	v_sub_f32_e32 v71, v71, v87
	v_add_f32_e32 v86, v86, v77
	v_cndmask_b32_e64 v74, 0, v74, s[18:19]
	v_exp_f32_e32 v70, v70
	v_mul_f32_e32 v71, 0x3fb8aa3b, v71
	v_sub_f32_e32 v68, v68, v87
	v_add_f32_e32 v86, v86, v74
	v_cndmask_b32_e64 v75, 0, v75, s[20:21]
	v_exp_f32_e32 v71, v71
	v_mul_f32_e32 v68, 0x3fb8aa3b, v68
	v_sub_f32_e32 v69, v69, v87
	v_add_f32_e32 v86, v86, v75
	v_cndmask_b32_e64 v72, 0, v72, s[14:15]
	v_exp_f32_e32 v68, v68
	v_mul_f32_e32 v69, 0x3fb8aa3b, v69
	v_sub_f32_e32 v66, v66, v87
	v_add_f32_e32 v86, v86, v72
	v_cndmask_b32_e64 v73, 0, v73, s[16:17]
	v_exp_f32_e32 v69, v69
	v_mul_f32_e32 v66, 0x3fb8aa3b, v66
	v_sub_f32_e32 v67, v67, v87
	v_add_f32_e32 v86, v86, v73
	v_cndmask_b32_e64 v70, 0, v70, s[10:11]
	v_exp_f32_e32 v66, v66
	v_mul_f32_e32 v67, 0x3fb8aa3b, v67
	v_add_f32_e32 v86, v86, v70
	v_cndmask_b32_e64 v71, 0, v71, s[12:13]
	v_exp_f32_e32 v67, v67
	v_add_f32_e32 v86, v86, v71
	v_cndmask_b32_e64 v68, 0, v68, s[2:3]
	v_add_f32_e32 v86, v86, v68
	v_cndmask_b32_e64 v69, 0, v69, s[8:9]
	v_add_f32_e32 v86, v86, v69
	v_cndmask_b32_e32 v66, 0, v66, vcc
	v_add_f32_e32 v86, v86, v66
	v_cndmask_b32_e64 v67, 0, v67, s[0:1]
	v_add_f32_e32 v86, v86, v67
	ds_bpermute_b32 v82, v82, v86
	s_load_dword s3, s[4:5], 0x98
	v_cmp_gt_u32_e32 vcc, 16, v94
	s_waitcnt lgkmcnt(0)
	s_barrier
	v_add_f32_e32 v89, v86, v82
	ds_bpermute_b32 v90, v83, v89
	s_waitcnt lgkmcnt(0)
	s_and_saveexec_b64 s[0:1], vcc
	s_cbranch_execz .LBB166_17
; %bb.16:
	v_add_f32_e32 v82, v89, v90
	v_lshlrev_b32_e32 v83, 2, v88
	ds_write2st64_b32 v83, v87, v82 offset1:1
.LBB166_17:
	s_or_b64 exec, exec, s[0:1]
	v_lshlrev_b32_e32 v87, 2, v84
	s_load_dword s2, s[4:5], 0x94
	s_waitcnt lgkmcnt(0)
	s_barrier
	ds_read2_b32 v[82:83], v87 offset1:16
	ds_read2_b32 v[88:89], v87 offset0:32 offset1:48
	ds_read2_b32 v[90:91], v87 offset0:64 offset1:80
	s_mul_i32 s3, s3, 15
	s_waitcnt lgkmcnt(2)
	v_max3_f32 v86, v82, s40, v83
	s_waitcnt lgkmcnt(1)
	v_max3_f32 v86, v86, v88, v89
	v_sub_f32_e32 v82, v82, v86
	v_mul_f32_e32 v82, 0x3fb8aa3b, v82
	v_exp_f32_e32 v92, v82
	v_sub_f32_e32 v82, v83, v86
	v_mul_f32_e32 v82, 0x3fb8aa3b, v82
	v_exp_f32_e32 v93, v82
	;; [unrolled: 3-line block ×3, first 2 shown]
	ds_read2_b32 v[82:83], v87 offset0:96 offset1:112
	v_sub_f32_e32 v87, v89, v86
	v_mul_f32_e32 v87, 0x3fb8aa3b, v87
	v_exp_f32_e32 v89, v87
	s_waitcnt lgkmcnt(1)
	v_fma_f32 v87, v92, v90, 0
	v_fmac_f32_e32 v87, v93, v91
	s_waitcnt lgkmcnt(0)
	v_fmac_f32_e32 v87, v88, v82
	v_fmac_f32_e32 v87, v89, v83
	v_add_f32_e32 v82, 0x358637bd, v87
	v_div_scale_f32 v83, s[0:1], v82, v82, 1.0
	v_rcp_f32_e32 v90, v83
	s_barrier
	v_fma_f32 v91, -v83, v90, 1.0
	v_fmac_f32_e32 v90, v91, v90
	v_div_scale_f32 v91, vcc, 1.0, v82, 1.0
	v_mul_f32_e32 v94, v91, v90
	v_fma_f32 v95, -v83, v94, v91
	v_fmac_f32_e32 v94, v95, v90
	v_fma_f32 v83, -v83, v94, v91
	v_div_fmas_f32 v83, v83, v90, v94
	v_cmp_eq_u32_e32 vcc, 1, v85
	v_div_fixup_f32 v82, v83, v82, 1.0
	v_cndmask_b32_e32 v83, v92, v93, vcc
	v_cmp_eq_u32_e32 vcc, 2, v85
	v_cndmask_b32_e32 v83, v83, v88, vcc
	v_cmp_eq_u32_e32 vcc, 3, v85
	v_cndmask_b32_e32 v83, v83, v89, vcc
	v_mul_f32_e32 v82, v83, v82
	v_pk_mul_f32 v[78:79], v[82:83], v[78:79] op_sel_hi:[0,1]
	v_pk_mul_f32 v[80:81], v[82:83], v[80:81] op_sel_hi:[0,1]
	v_cvt_f16_f32_e32 v80, v80
	v_cvt_f16_f32_e32 v81, v81
	;; [unrolled: 1-line block ×4, first 2 shown]
	v_pk_mul_f32 v[74:75], v[82:83], v[74:75] op_sel_hi:[0,1]
	v_pk_mul_f32 v[76:77], v[82:83], v[76:77] op_sel_hi:[0,1]
	v_cvt_f16_f32_e32 v76, v76
	v_cvt_f16_f32_e32 v77, v77
	;; [unrolled: 1-line block ×4, first 2 shown]
	v_pack_b32_f16 v80, v80, v81
	v_pack_b32_f16 v81, v78, v79
	v_lshlrev_b32_e32 v79, 3, v1
	v_lshlrev_b32_e32 v78, 5, v84
	v_lshlrev_b32_e32 v74, 11, v85
	v_or3_b32 v74, v74, v78, v79
	v_pack_b32_f16 v76, v76, v77
	v_pack_b32_f16 v77, v83, v75
	v_pk_mul_f32 v[70:71], v[82:83], v[70:71] op_sel_hi:[0,1]
	v_pk_mul_f32 v[72:73], v[82:83], v[72:73] op_sel_hi:[0,1]
	;; [unrolled: 1-line block ×4, first 2 shown]
	ds_write2st64_b64 v74, v[80:81], v[76:77] offset1:1
	v_cvt_f16_f32_e32 v72, v72
	v_cvt_f16_f32_e32 v73, v73
	v_cvt_f16_f32_e32 v70, v70
	v_cvt_f16_f32_e32 v71, v71
	v_cvt_f16_f32_e32 v68, v68
	v_cvt_f16_f32_e32 v69, v69
	v_cvt_f16_f32_e32 v75, v66
	v_cvt_f16_f32_e32 v76, v67
	v_pack_b32_f16 v66, v72, v73
	v_pack_b32_f16 v67, v70, v71
	;; [unrolled: 1-line block ×4, first 2 shown]
	v_cmp_gt_u32_e32 vcc, 15, v0
	ds_write2st64_b64 v74, v[66:67], v[68:69] offset0:2 offset1:3
	s_and_saveexec_b64 s[0:1], vcc
	s_cbranch_execz .LBB166_19
; %bb.18:
	v_add_co_u32_e32 v68, vcc, s27, v84
	v_addc_co_u32_e64 v69, s[12:13], 0, 0, vcc
	v_mov_b32_e32 v66, s3
	v_mov_b32_e32 v67, 0
	v_mad_u64_u32 v[68:69], s[12:13], s6, v66, v[68:69]
	v_mov_b32_e32 v66, s26
	s_load_dwordx4 s[8:11], s[4:5], 0x58
	s_mul_i32 s7, s7, s3
	v_mad_u64_u32 v[66:67], s[12:13], v68, s2, v[66:67]
	v_add_u32_e32 v69, s7, v69
	v_mov_b32_e32 v68, v67
	v_mad_u64_u32 v[68:69], s[12:13], v69, s2, v[68:69]
	v_mov_b32_e32 v67, v68
	v_lshlrev_b64 v[66:67], 2, v[66:67]
	s_waitcnt lgkmcnt(0)
	v_mov_b32_e32 v69, s11
	v_add_co_u32_e32 v68, vcc, s10, v66
	v_addc_co_u32_e32 v69, vcc, v69, v67, vcc
	global_store_dword v[68:69], v86, off
	v_mov_b32_e32 v68, s9
	v_add_co_u32_e32 v66, vcc, s8, v66
	v_addc_co_u32_e32 v67, vcc, v68, v67, vcc
	global_store_dword v[66:67], v87, off
.LBB166_19:
	s_or_b64 exec, exec, s[0:1]
	v_lshl_or_b32 v75, v1, 9, v78
	s_waitcnt lgkmcnt(0)
	s_barrier
	ds_read_b128 v[70:73], v75
	ds_read_b128 v[66:69], v75 offset:16
	s_waitcnt vmcnt(15) lgkmcnt(1)
	v_mfma_f32_16x16x16f16 v[76:79], v[46:47], v[70:71], 0
	s_mov_b32 s1, 0
	v_cmp_gt_u32_e32 vcc, 64, v0
	v_mfma_f32_16x16x16f16 v[46:49], v[48:49], v[72:73], v[76:79]
	s_waitcnt vmcnt(14) lgkmcnt(0)
	v_mfma_f32_16x16x16f16 v[46:49], v[42:43], v[66:67], v[46:49]
	v_mfma_f32_16x16x16f16 v[42:45], v[44:45], v[68:69], v[46:49]
	s_nop 7
	s_nop 1
	ds_read_b128 v[46:49], v75 offset:2048
	ds_read_b128 v[76:79], v75 offset:2064
	s_waitcnt vmcnt(13) lgkmcnt(1)
	v_mfma_f32_16x16x16f16 v[42:45], v[38:39], v[46:47], v[42:45]
	v_mfma_f32_16x16x16f16 v[38:41], v[40:41], v[48:49], v[42:45]
	s_waitcnt vmcnt(12) lgkmcnt(0)
	v_mfma_f32_16x16x16f16 v[38:41], v[34:35], v[76:77], v[38:41]
	v_mfma_f32_16x16x16f16 v[34:37], v[36:37], v[78:79], v[38:41]
	s_nop 7
	s_nop 1
	ds_read_b128 v[38:41], v75 offset:4096
	ds_read_b128 v[42:45], v75 offset:4112
	s_waitcnt vmcnt(11) lgkmcnt(1)
	v_mfma_f32_16x16x16f16 v[34:37], v[30:31], v[38:39], v[34:37]
	v_mfma_f32_16x16x16f16 v[30:33], v[32:33], v[40:41], v[34:37]
	s_waitcnt vmcnt(10) lgkmcnt(0)
	v_mfma_f32_16x16x16f16 v[30:33], v[26:27], v[42:43], v[30:33]
	v_mfma_f32_16x16x16f16 v[26:29], v[28:29], v[44:45], v[30:33]
	s_nop 7
	s_nop 1
	ds_read_b128 v[30:33], v75 offset:6144
	ds_read_b128 v[34:37], v75 offset:6160
	s_waitcnt lgkmcnt(0)
	s_barrier
	s_waitcnt vmcnt(9)
	v_mfma_f32_16x16x16f16 v[26:29], v[22:23], v[30:31], v[26:29]
	v_mfma_f32_16x16x16f16 v[22:25], v[24:25], v[32:33], v[26:29]
	s_waitcnt vmcnt(8)
	v_mfma_f32_16x16x16f16 v[22:25], v[18:19], v[34:35], v[22:25]
	v_mfma_f32_16x16x16f16 v[18:21], v[20:21], v[36:37], v[22:25]
	s_waitcnt vmcnt(7)
	v_mfma_f32_16x16x16f16 v[22:25], v[6:7], v[70:71], 0
	v_mfma_f32_16x16x16f16 v[6:9], v[8:9], v[72:73], v[22:25]
	s_waitcnt vmcnt(6)
	v_mfma_f32_16x16x16f16 v[6:9], v[2:3], v[66:67], v[6:9]
	v_mfma_f32_16x16x16f16 v[2:5], v[4:5], v[68:69], v[6:9]
	s_waitcnt vmcnt(5)
	v_mfma_f32_16x16x16f16 v[2:5], v[14:15], v[46:47], v[2:5]
	s_nop 7
	v_cvt_f16_f32_e32 v6, v18
	v_cvt_f16_f32_e32 v7, v19
	v_cvt_f16_f32_e32 v8, v20
	v_cvt_f16_f32_e32 v9, v21
	v_mfma_f32_16x16x16f16 v[2:5], v[16:17], v[48:49], v[2:5]
	s_waitcnt vmcnt(4)
	v_mfma_f32_16x16x16f16 v[2:5], v[10:11], v[76:77], v[2:5]
	v_mfma_f32_16x16x16f16 v[2:5], v[12:13], v[78:79], v[2:5]
	s_waitcnt vmcnt(3)
	v_mfma_f32_16x16x16f16 v[2:5], v[54:55], v[38:39], v[2:5]
	;; [unrolled: 3-line block ×5, first 2 shown]
	v_mfma_f32_16x16x16f16 v[2:5], v[60:61], v[36:37], v[2:5]
	s_nop 7
	s_nop 2
	v_cvt_f16_f32_e32 v10, v2
	v_cvt_f16_f32_e32 v11, v3
	;; [unrolled: 1-line block ×4, first 2 shown]
	v_pack_b32_f16 v2, v6, v7
	v_pack_b32_f16 v3, v8, v9
	;; [unrolled: 1-line block ×4, first 2 shown]
	ds_write2st64_b64 v74, v[2:3], v[4:5] offset1:1
	s_waitcnt lgkmcnt(0)
	s_barrier
	s_and_saveexec_b64 s[8:9], vcc
	s_cbranch_execz .LBB166_22
; %bb.20:
	v_lshlrev_b32_e32 v4, 6, v84
	v_lshlrev_b32_e32 v3, 4, v0
	v_lshl_or_b32 v0, v0, 10, v4
	v_lshlrev_b32_e32 v2, 5, v1
	v_and_b32_e32 v3, 16, v3
	v_and_b32_e32 v0, 0x1a00, v0
	v_or3_b32 v0, v0, v2, v3
	ds_read_b128 v[4:7], v0 offset:256
	buffer_load_dword v8, off, s[44:47], 0  ; 4-byte Folded Reload
	buffer_load_dword v9, off, s[44:47], 0 offset:4 ; 4-byte Folded Reload
	s_load_dwordx2 s[4:5], s[4:5], 0x68
	s_lshl_b32 s2, s2, 7
	s_mul_i32 s0, s3, s6
	s_mul_hi_u32 s7, s0, s2
	s_mul_i32 s6, s0, s2
	s_lshl_b64 s[6:7], s[6:7], 1
	s_waitcnt lgkmcnt(0)
	s_add_u32 s3, s4, s6
	s_addc_u32 s4, s5, s7
	s_lshl_b32 s0, s26, 7
	s_lshl_b64 s[0:1], s[0:1], 1
	s_add_u32 s0, s3, s0
	s_addc_u32 s1, s4, s1
	v_mov_b32_e32 v3, s1
	v_add_u32_e32 v18, s27, v1
	s_waitcnt vmcnt(1)
	v_add_co_u32_e32 v2, vcc, s0, v8
	s_waitcnt vmcnt(0)
	v_addc_co_u32_e32 v3, vcc, v3, v9, vcc
	ds_read_b128 v[8:11], v0 offset:128
	ds_read_b128 v[12:15], v0
	v_mad_u64_u32 v[16:17], s[0:1], v18, s2, 0
	v_lshlrev_b64 v[16:17], 1, v[16:17]
	v_add_co_u32_e32 v16, vcc, v2, v16
	v_addc_co_u32_e32 v17, vcc, v3, v17, vcc
	s_waitcnt lgkmcnt(0)
	global_store_dwordx4 v[16:17], v[12:15], off
	s_nop 0
	v_add_u32_e32 v12, 4, v18
	v_mad_u64_u32 v[12:13], s[0:1], v12, s2, 0
	v_lshlrev_b64 v[12:13], 1, v[12:13]
	v_add_co_u32_e32 v12, vcc, v2, v12
	v_addc_co_u32_e32 v13, vcc, v3, v13, vcc
	global_store_dwordx4 v[12:13], v[8:11], off
	s_nop 0
	v_add_u32_e32 v8, 8, v18
	v_mad_u64_u32 v[8:9], s[0:1], v8, s2, 0
	v_lshlrev_b64 v[8:9], 1, v[8:9]
	v_add_co_u32_e32 v8, vcc, v2, v8
	v_addc_co_u32_e32 v9, vcc, v3, v9, vcc
	v_cmp_ne_u32_e32 vcc, 3, v1
	global_store_dwordx4 v[8:9], v[4:7], off
	s_and_b64 exec, exec, vcc
	s_cbranch_execz .LBB166_22
; %bb.21:
	ds_read_b128 v[4:7], v0 offset:384
	v_add3_u32 v0, s27, v1, 12
	v_mad_u64_u32 v[0:1], s[0:1], v0, s2, 0
	v_lshlrev_b64 v[0:1], 1, v[0:1]
	v_add_co_u32_e32 v0, vcc, v2, v0
	v_addc_co_u32_e32 v1, vcc, v3, v1, vcc
	s_waitcnt lgkmcnt(0)
	global_store_dwordx4 v[0:1], v[4:7], off
.LBB166_22:
	s_endpgm
	.section	.rodata,"a",@progbits
	.p2align	6, 0x0
	.amdhsa_kernel _Z39paged_attention_ll4mi_QKV_mfma16_kernelIDF16_DF16_LN4vllm18Fp8KVCacheDataTypeE0EDF16_Li32ELi128ELi256ELb1ELi15EL8MFMAType0EEvPKT_PKT0_S8_ifPKiSA_SA_iPKfiiiPfSD_PS3_PT2_iSC_SC_
		.amdhsa_group_segment_fixed_size 8192
		.amdhsa_private_segment_fixed_size 12
		.amdhsa_kernarg_size 400
		.amdhsa_user_sgpr_count 6
		.amdhsa_user_sgpr_private_segment_buffer 1
		.amdhsa_user_sgpr_dispatch_ptr 0
		.amdhsa_user_sgpr_queue_ptr 0
		.amdhsa_user_sgpr_kernarg_segment_ptr 1
		.amdhsa_user_sgpr_dispatch_id 0
		.amdhsa_user_sgpr_flat_scratch_init 0
		.amdhsa_user_sgpr_kernarg_preload_length 0
		.amdhsa_user_sgpr_kernarg_preload_offset 0
		.amdhsa_user_sgpr_private_segment_size 0
		.amdhsa_uses_dynamic_stack 0
		.amdhsa_system_sgpr_private_segment_wavefront_offset 1
		.amdhsa_system_sgpr_workgroup_id_x 1
		.amdhsa_system_sgpr_workgroup_id_y 1
		.amdhsa_system_sgpr_workgroup_id_z 1
		.amdhsa_system_sgpr_workgroup_info 0
		.amdhsa_system_vgpr_workitem_id 0
		.amdhsa_next_free_vgpr 96
		.amdhsa_next_free_sgpr 48
		.amdhsa_accum_offset 96
		.amdhsa_reserve_vcc 1
		.amdhsa_reserve_flat_scratch 0
		.amdhsa_float_round_mode_32 0
		.amdhsa_float_round_mode_16_64 0
		.amdhsa_float_denorm_mode_32 3
		.amdhsa_float_denorm_mode_16_64 3
		.amdhsa_dx10_clamp 1
		.amdhsa_ieee_mode 1
		.amdhsa_fp16_overflow 0
		.amdhsa_tg_split 0
		.amdhsa_exception_fp_ieee_invalid_op 0
		.amdhsa_exception_fp_denorm_src 0
		.amdhsa_exception_fp_ieee_div_zero 0
		.amdhsa_exception_fp_ieee_overflow 0
		.amdhsa_exception_fp_ieee_underflow 0
		.amdhsa_exception_fp_ieee_inexact 0
		.amdhsa_exception_int_div_zero 0
	.end_amdhsa_kernel
	.section	.text._Z39paged_attention_ll4mi_QKV_mfma16_kernelIDF16_DF16_LN4vllm18Fp8KVCacheDataTypeE0EDF16_Li32ELi128ELi256ELb1ELi15EL8MFMAType0EEvPKT_PKT0_S8_ifPKiSA_SA_iPKfiiiPfSD_PS3_PT2_iSC_SC_,"axG",@progbits,_Z39paged_attention_ll4mi_QKV_mfma16_kernelIDF16_DF16_LN4vllm18Fp8KVCacheDataTypeE0EDF16_Li32ELi128ELi256ELb1ELi15EL8MFMAType0EEvPKT_PKT0_S8_ifPKiSA_SA_iPKfiiiPfSD_PS3_PT2_iSC_SC_,comdat
.Lfunc_end166:
	.size	_Z39paged_attention_ll4mi_QKV_mfma16_kernelIDF16_DF16_LN4vllm18Fp8KVCacheDataTypeE0EDF16_Li32ELi128ELi256ELb1ELi15EL8MFMAType0EEvPKT_PKT0_S8_ifPKiSA_SA_iPKfiiiPfSD_PS3_PT2_iSC_SC_, .Lfunc_end166-_Z39paged_attention_ll4mi_QKV_mfma16_kernelIDF16_DF16_LN4vllm18Fp8KVCacheDataTypeE0EDF16_Li32ELi128ELi256ELb1ELi15EL8MFMAType0EEvPKT_PKT0_S8_ifPKiSA_SA_iPKfiiiPfSD_PS3_PT2_iSC_SC_
                                        ; -- End function
	.section	.AMDGPU.csdata,"",@progbits
; Kernel info:
; codeLenInByte = 5164
; NumSgprs: 52
; NumVgprs: 96
; NumAgprs: 0
; TotalNumVgprs: 96
; ScratchSize: 12
; MemoryBound: 0
; FloatMode: 240
; IeeeMode: 1
; LDSByteSize: 8192 bytes/workgroup (compile time only)
; SGPRBlocks: 6
; VGPRBlocks: 11
; NumSGPRsForWavesPerEU: 52
; NumVGPRsForWavesPerEU: 96
; AccumOffset: 96
; Occupancy: 5
; WaveLimiterHint : 1
; COMPUTE_PGM_RSRC2:SCRATCH_EN: 1
; COMPUTE_PGM_RSRC2:USER_SGPR: 6
; COMPUTE_PGM_RSRC2:TRAP_HANDLER: 0
; COMPUTE_PGM_RSRC2:TGID_X_EN: 1
; COMPUTE_PGM_RSRC2:TGID_Y_EN: 1
; COMPUTE_PGM_RSRC2:TGID_Z_EN: 1
; COMPUTE_PGM_RSRC2:TIDIG_COMP_CNT: 0
; COMPUTE_PGM_RSRC3_GFX90A:ACCUM_OFFSET: 23
; COMPUTE_PGM_RSRC3_GFX90A:TG_SPLIT: 0
	.section	.text._Z39paged_attention_ll4mi_QKV_mfma16_kernelIDF16_DF16_LN4vllm18Fp8KVCacheDataTypeE0EDF16_Li32ELi128ELi256ELb1ELi16EL8MFMAType0EEvPKT_PKT0_S8_ifPKiSA_SA_iPKfiiiPfSD_PS3_PT2_iSC_SC_,"axG",@progbits,_Z39paged_attention_ll4mi_QKV_mfma16_kernelIDF16_DF16_LN4vllm18Fp8KVCacheDataTypeE0EDF16_Li32ELi128ELi256ELb1ELi16EL8MFMAType0EEvPKT_PKT0_S8_ifPKiSA_SA_iPKfiiiPfSD_PS3_PT2_iSC_SC_,comdat
	.protected	_Z39paged_attention_ll4mi_QKV_mfma16_kernelIDF16_DF16_LN4vllm18Fp8KVCacheDataTypeE0EDF16_Li32ELi128ELi256ELb1ELi16EL8MFMAType0EEvPKT_PKT0_S8_ifPKiSA_SA_iPKfiiiPfSD_PS3_PT2_iSC_SC_ ; -- Begin function _Z39paged_attention_ll4mi_QKV_mfma16_kernelIDF16_DF16_LN4vllm18Fp8KVCacheDataTypeE0EDF16_Li32ELi128ELi256ELb1ELi16EL8MFMAType0EEvPKT_PKT0_S8_ifPKiSA_SA_iPKfiiiPfSD_PS3_PT2_iSC_SC_
	.globl	_Z39paged_attention_ll4mi_QKV_mfma16_kernelIDF16_DF16_LN4vllm18Fp8KVCacheDataTypeE0EDF16_Li32ELi128ELi256ELb1ELi16EL8MFMAType0EEvPKT_PKT0_S8_ifPKiSA_SA_iPKfiiiPfSD_PS3_PT2_iSC_SC_
	.p2align	8
	.type	_Z39paged_attention_ll4mi_QKV_mfma16_kernelIDF16_DF16_LN4vllm18Fp8KVCacheDataTypeE0EDF16_Li32ELi128ELi256ELb1ELi16EL8MFMAType0EEvPKT_PKT0_S8_ifPKiSA_SA_iPKfiiiPfSD_PS3_PT2_iSC_SC_,@function
_Z39paged_attention_ll4mi_QKV_mfma16_kernelIDF16_DF16_LN4vllm18Fp8KVCacheDataTypeE0EDF16_Li32ELi128ELi256ELb1ELi16EL8MFMAType0EEvPKT_PKT0_S8_ifPKiSA_SA_iPKfiiiPfSD_PS3_PT2_iSC_SC_: ; @_Z39paged_attention_ll4mi_QKV_mfma16_kernelIDF16_DF16_LN4vllm18Fp8KVCacheDataTypeE0EDF16_Li32ELi128ELi256ELb1ELi16EL8MFMAType0EEvPKT_PKT0_S8_ifPKiSA_SA_iPKfiiiPfSD_PS3_PT2_iSC_SC_
; %bb.0:
	s_mov_b64 s[46:47], s[2:3]
	s_mov_b64 s[44:45], s[0:1]
	s_load_dwordx2 s[0:1], s[4:5], 0x30
	s_add_u32 s44, s44, s9
	s_addc_u32 s45, s45, 0
	s_mov_b32 s26, s7
	s_mov_b64 s[10:11], 0
	s_waitcnt lgkmcnt(0)
	s_cmp_lg_u64 s[0:1], 0
	s_cselect_b64 s[2:3], -1, 0
	s_and_b64 vcc, exec, s[2:3]
	s_cbranch_vccz .LBB167_7
; %bb.1:
	s_add_i32 s12, s6, 1
	s_mov_b32 s13, 0
	s_lshl_b64 s[14:15], s[12:13], 2
	s_add_u32 s14, s0, s14
	s_mov_b32 s7, s13
	s_addc_u32 s15, s1, s15
	s_lshl_b64 s[12:13], s[6:7], 2
	s_add_u32 s12, s0, s12
	s_addc_u32 s13, s1, s13
	s_load_dword s9, s[14:15], 0x0
	s_load_dword s16, s[12:13], 0x0
	s_waitcnt lgkmcnt(0)
	s_sub_i32 s9, s9, s16
	s_cmp_eq_u32 s9, 1
	s_cselect_b64 s[12:13], -1, 0
	s_andn2_b64 vcc, exec, s[10:11]
	s_cbranch_vccnz .LBB167_3
.LBB167_2:
	s_mov_b32 s7, 0
	s_mov_b64 s[12:13], -1
.LBB167_3:
	s_andn2_b64 vcc, exec, s[12:13]
	s_cbranch_vccnz .LBB167_19
; %bb.4:
	s_load_dwordx2 s[12:13], s[4:5], 0x28
	s_lshl_b64 s[10:11], s[6:7], 2
	s_waitcnt lgkmcnt(0)
	s_add_u32 s12, s12, s10
	s_addc_u32 s13, s13, s11
	s_load_dword s33, s[12:13], 0x0
	s_lshl_b32 s9, s26, 8
	s_waitcnt lgkmcnt(0)
	s_cmp_ge_i32 s9, s33
	s_cbranch_scc1 .LBB167_19
; %bb.5:
	s_add_i32 s15, s33, 31
	s_load_dwordx2 s[12:13], s[4:5], 0x20
	s_load_dword s14, s[4:5], 0x38
	s_ashr_i32 s16, s15, 31
	v_and_b32_e32 v1, 0xcf, v0
	s_lshr_b32 s16, s16, 27
	v_add_u32_e32 v1, s9, v1
	s_add_i32 s15, s15, s16
	v_ashrrev_i32_e32 v2, 31, v1
	s_ashr_i32 s20, s15, 5
	v_lshrrev_b32_e32 v10, 27, v2
	s_add_i32 s20, s20, -1
	v_add_u32_e32 v2, v1, v10
	s_waitcnt lgkmcnt(0)
	s_mul_i32 s14, s6, s14
	s_mov_b32 s15, 0
	v_ashrrev_i32_e32 v2, 5, v2
	v_mov_b32_e32 v11, s20
	v_cmp_gt_i32_e32 vcc, s33, v1
	s_lshl_b64 s[14:15], s[14:15], 2
	v_cndmask_b32_e32 v2, v11, v2, vcc
	s_add_u32 s18, s12, s14
	v_ashrrev_i32_e32 v3, 31, v2
	s_addc_u32 s19, s13, s15
	v_lshlrev_b64 v[2:3], 2, v[2:3]
	v_mov_b32_e32 v4, s19
	v_add_co_u32_e32 v2, vcc, s18, v2
	v_addc_co_u32_e32 v3, vcc, v4, v3, vcc
	v_or_b32_e32 v4, 16, v1
	v_add_u32_e32 v5, v4, v10
	v_ashrrev_i32_e32 v5, 5, v5
	v_cmp_gt_i32_e32 vcc, s33, v4
	v_cndmask_b32_e32 v4, v11, v5, vcc
	v_ashrrev_i32_e32 v5, 31, v4
	v_lshlrev_b64 v[4:5], 2, v[4:5]
	v_mov_b32_e32 v7, s19
	v_add_co_u32_e32 v6, vcc, s18, v4
	v_or_b32_e32 v4, 32, v1
	v_addc_co_u32_e32 v7, vcc, v7, v5, vcc
	v_add_u32_e32 v5, v4, v10
	v_ashrrev_i32_e32 v5, 5, v5
	v_cmp_gt_i32_e32 vcc, s33, v4
	v_cndmask_b32_e32 v4, v11, v5, vcc
	v_ashrrev_i32_e32 v5, 31, v4
	v_lshlrev_b64 v[4:5], 2, v[4:5]
	v_mov_b32_e32 v9, s19
	v_add_co_u32_e32 v8, vcc, s18, v4
	v_or_b32_e32 v1, 48, v1
	v_addc_co_u32_e32 v9, vcc, v9, v5, vcc
	v_add_u32_e32 v4, v1, v10
	v_ashrrev_i32_e32 v4, 5, v4
	v_cmp_gt_i32_e32 vcc, s33, v1
	v_cndmask_b32_e32 v4, v11, v4, vcc
	v_ashrrev_i32_e32 v5, 31, v4
	v_lshlrev_b64 v[4:5], 2, v[4:5]
	v_mov_b32_e32 v1, s19
	v_add_co_u32_e32 v10, vcc, s18, v4
	v_addc_co_u32_e32 v11, vcc, v1, v5, vcc
	global_load_dword v5, v[2:3], off
	global_load_dword v4, v[6:7], off
	;; [unrolled: 1-line block ×4, first 2 shown]
	s_andn2_b64 vcc, exec, s[2:3]
	s_cbranch_vccnz .LBB167_8
; %bb.6:
	s_add_u32 s0, s0, s10
	s_addc_u32 s1, s1, s11
	s_load_dword s21, s[0:1], 0x0
	s_branch .LBB167_9
.LBB167_7:
	s_mov_b64 s[12:13], 0
	s_branch .LBB167_2
.LBB167_8:
	s_mov_b32 s21, s6
.LBB167_9:
	s_load_dwordx2 s[10:11], s[4:5], 0x40
	s_load_dwordx4 s[12:15], s[4:5], 0x8
	s_load_dwordx4 s[0:3], s[4:5], 0x48
	v_and_b32_e32 v1, 15, v0
	s_waitcnt lgkmcnt(0)
	s_movk_i32 s3, 0xff
	v_lshlrev_b32_e32 v2, 3, v1
	v_cmp_lt_u32_e32 vcc, s3, v0
	s_and_saveexec_b64 s[16:17], vcc
	s_xor_b64 s[16:17], exec, s[16:17]
; %bb.10:
	v_mov_b32_e32 v3, 0
; %bb.11:
	s_or_saveexec_b64 s[16:17], s[16:17]
	v_lshrrev_b32_e32 v72, 6, v0
	v_and_b32_e32 v95, 63, v0
	s_lshl_b32 s27, s8, 4
	v_bfe_u32 v88, v0, 4, 2
	s_xor_b64 exec, exec, s[16:17]
	s_cbranch_execz .LBB167_13
; %bb.12:
	s_load_dwordx2 s[22:23], s[4:5], 0x0
	s_ashr_i32 s3, s0, 31
	s_mul_hi_u32 s24, s21, s0
	s_mul_i32 s3, s21, s3
	v_lshl_or_b32 v10, v72, 2, v88
	s_add_i32 s25, s24, s3
	s_mul_i32 s24, s21, s0
	s_lshl_b64 s[24:25], s[24:25], 1
	v_add_lshl_u32 v6, v10, s27, 7
	s_waitcnt lgkmcnt(0)
	s_add_u32 s0, s22, s24
	v_ashrrev_i32_e32 v7, 31, v6
	s_addc_u32 s3, s23, s25
	v_lshlrev_b64 v[6:7], 1, v[6:7]
	v_mov_b32_e32 v3, s3
	v_add_co_u32_e32 v6, vcc, s0, v6
	v_addc_co_u32_e32 v3, vcc, v3, v7, vcc
	v_lshlrev_b32_e32 v7, 1, v2
	v_add_co_u32_e32 v6, vcc, v6, v7
	v_addc_co_u32_e32 v7, vcc, 0, v3, vcc
	global_load_dwordx4 v[6:9], v[6:7], off
	v_and_b32_e32 v11, 3, v0
	v_lshlrev_b32_e32 v12, 9, v1
	v_lshlrev_b32_e32 v10, 5, v10
	;; [unrolled: 1-line block ×3, first 2 shown]
	v_and_b32_e32 v12, 0x1800, v12
	v_mov_b32_e32 v3, 0
	v_or3_b32 v10, v12, v11, v10
	s_waitcnt vmcnt(0)
	ds_write_b128 v10, v[6:9]
.LBB167_13:
	s_or_b64 exec, exec, s[16:17]
	s_mul_i32 s2, s8, s2
	s_mov_b32 s3, 0
	s_lshl_b64 s[2:3], s[2:3], 1
	s_add_u32 s8, s12, s2
	s_waitcnt vmcnt(3)
	v_mad_i64_i32 v[6:7], s[16:17], v5, s1, 0
	s_addc_u32 s12, s13, s3
	v_lshlrev_b64 v[6:7], 1, v[6:7]
	v_mov_b32_e32 v5, s12
	v_add_co_u32_e32 v6, vcc, s8, v6
	v_addc_co_u32_e32 v5, vcc, v5, v7, vcc
	v_lshlrev_b64 v[48:49], 1, v[2:3]
	v_add_co_u32_e32 v27, vcc, v6, v48
	v_lshlrev_b32_e32 v26, 9, v88
	v_addc_co_u32_e32 v28, vcc, v5, v49, vcc
	v_add_co_u32_e32 v2, vcc, v27, v26
	v_addc_co_u32_e32 v3, vcc, 0, v28, vcc
	s_load_dword s40, s[4:5], 0x98
	s_load_dword s0, s[4:5], 0x1c
	s_waitcnt lgkmcnt(0)
	s_barrier
	global_load_dwordx4 v[10:13], v[2:3], off
	s_waitcnt vmcnt(3)
	v_mad_i64_i32 v[4:5], s[16:17], v4, s1, 0
	v_lshlrev_b64 v[4:5], 1, v[4:5]
	v_mov_b32_e32 v6, s12
	v_add_co_u32_e32 v4, vcc, s8, v4
	v_addc_co_u32_e32 v5, vcc, v6, v5, vcc
	v_mov_b32_e32 v6, 0x100
	v_lshl_or_b32 v29, v1, 4, v6
	v_add_co_u32_e32 v30, vcc, v4, v29
	v_addc_co_u32_e32 v31, vcc, 0, v5, vcc
	v_add_co_u32_e32 v22, vcc, v30, v26
	v_addc_co_u32_e32 v23, vcc, 0, v31, vcc
	global_load_dwordx4 v[18:21], v[22:23], off
	global_load_dwordx4 v[14:17], v[2:3], off offset:2048
	v_lshl_or_b32 v87, v1, 5, v26
	ds_read_b128 v[6:9], v87
	ds_read_b128 v[2:5], v87 offset:2048
	v_or_b32_e32 v54, 0x1000, v26
	global_load_dwordx4 v[36:39], v[22:23], off offset:2048
	v_or_b32_e32 v66, 0x1800, v26
	v_mov_b32_e32 v55, s12
	s_ashr_i32 s13, s9, 31
	v_and_or_b32 v67, v0, 48, s9
	v_mov_b32_e32 v68, s20
	s_mov_b32 s41, 0xff7fffff
	s_waitcnt vmcnt(3) lgkmcnt(1)
	v_mfma_f32_16x16x16f16 v[32:35], v[10:11], v[6:7], 0
	s_waitcnt vmcnt(2)
	v_mfma_f32_16x16x16f16 v[40:43], v[18:19], v[6:7], 0
	v_add_co_u32_e32 v18, vcc, v27, v54
	v_addc_co_u32_e32 v19, vcc, 0, v28, vcc
	v_mfma_f32_16x16x16f16 v[10:13], v[12:13], v[8:9], v[32:35]
	s_nop 6
	global_load_dwordx4 v[32:35], v[18:19], off
	v_add_co_u32_e32 v22, vcc, v30, v54
	v_addc_co_u32_e32 v23, vcc, 0, v31, vcc
	v_mfma_f32_16x16x16f16 v[18:21], v[20:21], v[8:9], v[40:43]
	s_nop 6
	global_load_dwordx4 v[40:43], v[22:23], off
	v_add_co_u32_e32 v22, vcc, v27, v66
	v_addc_co_u32_e32 v23, vcc, 0, v28, vcc
	s_waitcnt vmcnt(3) lgkmcnt(0)
	v_mfma_f32_16x16x16f16 v[10:13], v[14:15], v[2:3], v[10:13]
	v_add_co_u32_e32 v14, vcc, v30, v66
	v_addc_co_u32_e32 v15, vcc, 0, v31, vcc
	global_load_dwordx4 v[44:47], v[22:23], off
	global_load_dwordx4 v[58:61], v[14:15], off
	v_mad_i64_i32 v[14:15], s[16:17], v25, s1, 0
	v_lshlrev_b64 v[14:15], 1, v[14:15]
	v_mov_b32_e32 v22, s12
	v_add_co_u32_e32 v23, vcc, s8, v14
	v_addc_co_u32_e32 v22, vcc, v22, v15, vcc
	v_add_co_u32_e32 v27, vcc, v23, v48
	buffer_store_dword v48, off, s[44:47], 0 ; 4-byte Folded Spill
	s_nop 0
	buffer_store_dword v49, off, s[44:47], 0 offset:4 ; 4-byte Folded Spill
	s_waitcnt vmcnt(6)
	v_mfma_f32_16x16x16f16 v[18:21], v[36:37], v[2:3], v[18:21]
	v_mad_i64_i32 v[24:25], s[16:17], v24, s1, 0
	ds_read_b128 v[50:53], v87 offset:6144
	s_lshr_b32 s12, s13, 27
	s_add_u32 s2, s14, s2
	s_addc_u32 s3, s15, s3
	v_addc_co_u32_e32 v28, vcc, v22, v49, vcc
	v_add_co_u32_e32 v22, vcc, v27, v26
	v_addc_co_u32_e32 v23, vcc, 0, v28, vcc
	v_mfma_f32_16x16x16f16 v[18:21], v[38:39], v[4:5], v[18:21]
	global_load_dwordx4 v[36:39], v[22:23], off
	v_lshlrev_b64 v[48:49], 1, v[24:25]
	v_mfma_f32_16x16x16f16 v[14:17], v[16:17], v[4:5], v[10:13]
	s_nop 6
	ds_read_b128 v[10:13], v87 offset:4096
	s_waitcnt vmcnt(6) lgkmcnt(0)
	v_mfma_f32_16x16x16f16 v[14:17], v[32:33], v[10:11], v[14:17]
	s_waitcnt vmcnt(5)
	v_mfma_f32_16x16x16f16 v[30:33], v[40:41], v[10:11], v[18:21]
	s_nop 6
	v_add_co_u32_e32 v18, vcc, s8, v48
	v_addc_co_u32_e32 v19, vcc, v55, v49, vcc
	v_add_co_u32_e32 v48, vcc, v18, v29
	v_addc_co_u32_e32 v49, vcc, 0, v19, vcc
	;; [unrolled: 2-line block ×3, first 2 shown]
	global_load_dwordx4 v[62:65], v[18:19], off
	v_mfma_f32_16x16x16f16 v[14:17], v[34:35], v[12:13], v[14:17]
	global_load_dwordx4 v[22:25], v[22:23], off offset:2048
	v_add_co_u32_e32 v18, vcc, v27, v66
	v_addc_co_u32_e32 v19, vcc, 0, v28, vcc
	v_add_co_u32_e32 v34, vcc, v48, v26
	s_waitcnt vmcnt(6)
	v_mfma_f32_16x16x16f16 v[14:17], v[44:45], v[50:51], v[14:17]
	v_addc_co_u32_e32 v35, vcc, 0, v49, vcc
	v_add_co_u32_e32 v40, vcc, v48, v54
	v_add_u32_e32 v20, s12, v67
	v_addc_co_u32_e32 v41, vcc, 0, v49, vcc
	v_mfma_f32_16x16x16f16 v[30:33], v[42:43], v[12:13], v[30:33]
	v_ashrrev_i32_e32 v20, 5, v20
	v_cmp_gt_i32_e32 vcc, s33, v67
	v_cndmask_b32_e32 v44, v68, v20, vcc
	v_ashrrev_i32_e32 v45, 31, v44
	v_mov_b32_e32 v42, s19
	v_mov_b32_e32 v43, s19
	v_mfma_f32_16x16x16f16 v[54:57], v[46:47], v[52:53], v[14:17]
	global_load_dwordx4 v[26:29], v[18:19], off
	s_nop 0
	global_load_dwordx4 v[18:21], v[34:35], off
	s_nop 3
	global_load_dwordx4 v[14:17], v[34:35], off offset:2048
	v_lshlrev_b64 v[34:35], 2, v[44:45]
	v_add_co_u32_e32 v34, vcc, s18, v34
	v_addc_co_u32_e32 v35, vcc, v42, v35, vcc
	global_load_dword v42, v[34:35], off
	s_waitcnt vmcnt(9)
	v_mfma_f32_16x16x16f16 v[30:33], v[58:59], v[50:51], v[30:33]
	v_or_b32_e32 v34, 64, v67
	v_add_u32_e32 v35, s12, v34
	v_ashrrev_i32_e32 v35, 5, v35
	v_cmp_gt_i32_e32 vcc, s33, v34
	v_cndmask_b32_e32 v34, v68, v35, vcc
	v_ashrrev_i32_e32 v35, 31, v34
	v_lshlrev_b64 v[34:35], 2, v[34:35]
	v_mfma_f32_16x16x16f16 v[58:61], v[60:61], v[52:53], v[30:33]
	s_nop 6
	v_add_co_u32_e32 v30, vcc, s18, v34
	v_addc_co_u32_e32 v31, vcc, v43, v35, vcc
	global_load_dword v78, v[30:31], off
	v_or_b32_e32 v30, 0x80, v67
	v_add_u32_e32 v31, s12, v30
	v_ashrrev_i32_e32 v31, 5, v31
	v_cmp_gt_i32_e32 vcc, s33, v30
	v_cndmask_b32_e32 v34, v68, v31, vcc
	v_ashrrev_i32_e32 v35, 31, v34
	v_lshlrev_b64 v[34:35], 2, v[34:35]
	s_waitcnt vmcnt(7)
	v_mfma_f32_16x16x16f16 v[30:33], v[36:37], v[6:7], 0
	v_mov_b32_e32 v36, s19
	v_add_co_u32_e32 v34, vcc, s18, v34
	v_addc_co_u32_e32 v35, vcc, v36, v35, vcc
	global_load_dword v80, v[34:35], off
	v_or_b32_e32 v34, 0xc0, v67
	v_mfma_f32_16x16x16f16 v[30:33], v[38:39], v[8:9], v[30:33]
	v_add_u32_e32 v35, s12, v34
	v_ashrrev_i32_e32 v35, 5, v35
	v_cmp_gt_i32_e32 vcc, s33, v34
	v_cndmask_b32_e32 v34, v68, v35, vcc
	global_load_dwordx4 v[68:71], v[40:41], off
	v_ashrrev_i32_e32 v35, 31, v34
	s_waitcnt vmcnt(7)
	v_mfma_f32_16x16x16f16 v[30:33], v[22:23], v[2:3], v[30:33]
	v_lshlrev_b64 v[22:23], 2, v[34:35]
	v_mov_b32_e32 v34, s19
	v_add_co_u32_e32 v22, vcc, s18, v22
	v_addc_co_u32_e32 v23, vcc, v34, v23, vcc
	global_load_dword v81, v[22:23], off
	v_mfma_f32_16x16x16f16 v[22:25], v[24:25], v[4:5], v[30:33]
	s_nop 6
	v_add_co_u32_e32 v30, vcc, v48, v66
	v_addc_co_u32_e32 v31, vcc, 0, v49, vcc
	global_load_dwordx4 v[90:93], v[30:31], off
	v_mfma_f32_16x16x16f16 v[22:25], v[62:63], v[10:11], v[22:25]
	v_or_b32_e32 v66, s27, v1
	v_ashrrev_i32_e32 v67, 31, v66
	v_lshlrev_b64 v[30:31], 2, v[66:67]
	v_mov_b32_e32 v32, s11
	v_add_co_u32_e32 v30, vcc, s10, v30
	v_addc_co_u32_e32 v31, vcc, v32, v31, vcc
	v_mfma_f32_16x16x16f16 v[22:25], v[64:65], v[12:13], v[22:25]
	global_load_dword v89, v[30:31], off
	v_and_b32_e32 v30, 16, v0
	v_lshlrev_b32_e32 v30, 1, v30
	v_add_co_u32_e32 v82, vcc, s2, v30
	v_lshl_or_b32 v67, v72, 4, v1
	v_lshlrev_b32_e32 v84, 6, v67
	s_waitcnt vmcnt(9)
	v_mfma_f32_16x16x16f16 v[22:25], v[26:27], v[50:51], v[22:25]
	v_mov_b32_e32 v26, s3
	v_addc_co_u32_e32 v83, vcc, 0, v26, vcc
	v_add_co_u32_e32 v85, vcc, v82, v84
	v_addc_co_u32_e32 v86, vcc, 0, v83, vcc
	v_mfma_f32_16x16x16f16 v[74:77], v[28:29], v[52:53], v[22:25]
	s_waitcnt vmcnt(6)
	s_nop 5
	v_mad_i64_i32 v[22:23], s[2:3], v42, s1, 0
	v_lshlrev_b64 v[72:73], 1, v[22:23]
	v_mfma_f32_16x16x16f16 v[22:25], v[18:19], v[6:7], 0
	v_add_co_u32_e32 v6, vcc, v85, v72
	v_addc_co_u32_e32 v7, vcc, v86, v73, vcc
	global_load_dwordx4 v[46:49], v[6:7], off
	global_load_dwordx4 v[42:45], v[6:7], off offset:16
	s_waitcnt vmcnt(7)
	v_mad_i64_i32 v[6:7], s[2:3], v78, s1, 0
	v_lshlrev_b64 v[78:79], 1, v[6:7]
	v_mfma_f32_16x16x16f16 v[6:9], v[20:21], v[8:9], v[22:25]
	v_add_co_u32_e32 v18, vcc, v85, v78
	v_addc_co_u32_e32 v19, vcc, v86, v79, vcc
	global_load_dwordx4 v[38:41], v[18:19], off
	global_load_dwordx4 v[34:37], v[18:19], off offset:16
	s_waitcnt vmcnt(8)
	v_mad_i64_i32 v[18:19], s[2:3], v80, s1, 0
	v_mfma_f32_16x16x16f16 v[6:9], v[14:15], v[2:3], v[6:9]
	v_lshlrev_b64 v[64:65], 1, v[18:19]
	v_add_co_u32_e32 v2, vcc, v85, v64
	v_addc_co_u32_e32 v3, vcc, v86, v65, vcc
	global_load_dwordx4 v[30:33], v[2:3], off
	global_load_dwordx4 v[26:29], v[2:3], off offset:16
	v_mfma_f32_16x16x16f16 v[2:5], v[16:17], v[4:5], v[6:9]
	s_waitcnt vmcnt(9)
	v_mfma_f32_16x16x16f16 v[2:5], v[68:69], v[10:11], v[2:5]
	s_waitcnt vmcnt(8)
	s_nop 3
	v_mad_i64_i32 v[6:7], s[2:3], v81, s1, 0
	v_lshlrev_b64 v[62:63], 1, v[6:7]
	v_add_co_u32_e32 v6, vcc, v85, v62
	v_addc_co_u32_e32 v7, vcc, v86, v63, vcc
	v_mfma_f32_16x16x16f16 v[10:13], v[70:71], v[12:13], v[2:5]
	global_load_dwordx4 v[22:25], v[6:7], off
	global_load_dwordx4 v[18:21], v[6:7], off offset:16
	v_or_b32_e32 v6, 0x1000, v84
	v_add_co_u32_e32 v86, vcc, v82, v6
	v_addc_co_u32_e32 v94, vcc, 0, v83, vcc
	v_pk_mul_f32 v[84:85], s[0:1], v[54:55] op_sel_hi:[0,1]
	s_waitcnt vmcnt(9)
	v_mfma_f32_16x16x16f16 v[68:71], v[90:91], v[50:51], v[10:13]
	v_add_co_u32_e32 v2, vcc, v86, v72
	v_addc_co_u32_e32 v3, vcc, v94, v73, vcc
	v_add_co_u32_e32 v72, vcc, v86, v78
	v_addc_co_u32_e32 v73, vcc, v94, v79, vcc
	v_mfma_f32_16x16x16f16 v[50:53], v[92:93], v[52:53], v[68:71]
	v_pk_mul_f32 v[82:83], s[0:1], v[56:57] op_sel_hi:[0,1]
	global_load_dwordx4 v[6:9], v[2:3], off
	s_nop 0
	global_load_dwordx4 v[2:5], v[2:3], off offset:16
	s_nop 0
	global_load_dwordx4 v[14:17], v[72:73], off
	global_load_dwordx4 v[10:13], v[72:73], off offset:16
	v_pk_mul_f32 v[78:79], s[0:1], v[60:61] op_sel_hi:[0,1]
	v_pk_mul_f32 v[72:73], s[0:1], v[76:77] op_sel_hi:[0,1]
	v_pk_mul_f32 v[76:77], s[0:1], v[74:75] op_sel_hi:[0,1]
	v_pk_mul_f32 v[80:81], s[0:1], v[58:59] op_sel_hi:[0,1]
	v_pk_mul_f32 v[70:71], s[0:1], v[50:51] op_sel_hi:[0,1]
	v_and_b32_e32 v50, 0xc0, v0
	v_add_u32_e32 v50, s9, v50
	v_lshl_or_b32 v50, v88, 2, v50
	v_or_b32_e32 v51, 1, v50
	v_pk_mul_f32 v[68:69], s[0:1], v[52:53] op_sel_hi:[0,1]
	v_subrev_u32_e32 v52, s33, v51
	v_add_u32_e32 v54, 1, v52
	v_add_u32_e32 v55, 2, v52
	v_cvt_f32_i32_e32 v53, v52
	v_cvt_f32_i32_e32 v54, v54
	;; [unrolled: 1-line block ×3, first 2 shown]
	v_add_u32_e32 v56, 3, v52
	s_waitcnt vmcnt(12)
	v_fma_f32 v60, v89, v53, v84
	v_fmac_f32_e32 v85, v89, v54
	v_fma_f32 v74, v89, v55, v82
	v_add_u32_e32 v53, 16, v52
	v_add_u32_e32 v54, 17, v52
	;; [unrolled: 1-line block ×3, first 2 shown]
	v_cvt_f32_i32_e32 v56, v56
	v_cvt_f32_i32_e32 v53, v53
	;; [unrolled: 1-line block ×4, first 2 shown]
	v_fmac_f32_e32 v83, v89, v56
	v_add_u32_e32 v56, 19, v52
	v_fma_f32 v75, v89, v53, v80
	v_fmac_f32_e32 v81, v89, v54
	v_fma_f32 v78, v89, v55, v78
	v_add_u32_e32 v53, 32, v52
	v_add_u32_e32 v54, 33, v52
	;; [unrolled: 1-line block ×3, first 2 shown]
	v_cvt_f32_i32_e32 v56, v56
	v_cvt_f32_i32_e32 v53, v53
	;; [unrolled: 1-line block ×4, first 2 shown]
	v_fmac_f32_e32 v79, v89, v56
	v_add_u32_e32 v56, 35, v52
	v_fma_f32 v76, v89, v53, v76
	v_fmac_f32_e32 v77, v89, v54
	v_fma_f32 v72, v89, v55, v72
	v_add_u32_e32 v53, 48, v52
	v_add_u32_e32 v54, 49, v52
	;; [unrolled: 1-line block ×4, first 2 shown]
	v_cvt_f32_i32_e32 v52, v52
	v_cvt_f32_i32_e32 v53, v53
	;; [unrolled: 1-line block ×3, first 2 shown]
	v_cmp_gt_i32_e64 s[28:29], s33, v50
	v_fmac_f32_e32 v69, v89, v52
	v_mov_b32_e32 v52, 0xff7fffff
	v_cmp_gt_i32_e64 s[30:31], s33, v51
	v_fma_f32 v70, v89, v53, v70
	v_cndmask_b32_e64 v53, v52, v60, s[28:29]
	v_cndmask_b32_e64 v51, v52, v85, s[30:31]
	v_fmac_f32_e32 v71, v89, v54
	v_max3_f32 v51, v53, s41, v51
	v_or_b32_e32 v53, 2, v50
	v_or_b32_e32 v54, 3, v50
	v_cmp_gt_i32_e64 s[34:35], s33, v53
	v_cmp_gt_i32_e64 s[36:37], s33, v54
	v_cndmask_b32_e64 v53, v52, v74, s[34:35]
	v_cndmask_b32_e64 v54, v52, v83, s[36:37]
	v_max3_f32 v51, v51, v53, v54
	v_or_b32_e32 v53, 16, v50
	v_or_b32_e32 v54, 17, v50
	v_cmp_gt_i32_e64 s[22:23], s33, v53
	v_cmp_gt_i32_e64 s[24:25], s33, v54
	v_cndmask_b32_e64 v53, v52, v75, s[22:23]
	v_cndmask_b32_e64 v54, v52, v81, s[24:25]
	;; [unrolled: 7-line block ×3, first 2 shown]
	v_cvt_f32_i32_e32 v56, v56
	v_max3_f32 v51, v51, v53, v54
	v_or_b32_e32 v53, 32, v50
	v_or_b32_e32 v54, 33, v50
	v_cmp_gt_i32_e64 s[14:15], s33, v53
	v_cmp_gt_i32_e64 s[16:17], s33, v54
	v_cndmask_b32_e64 v53, v52, v76, s[14:15]
	v_cndmask_b32_e64 v54, v52, v77, s[16:17]
	v_max3_f32 v51, v51, v53, v54
	v_or_b32_e32 v53, 34, v50
	v_or_b32_e32 v54, 35, v50
	v_fmac_f32_e32 v73, v89, v56
	v_cmp_gt_i32_e64 s[10:11], s33, v53
	v_cmp_gt_i32_e64 s[12:13], s33, v54
	v_cndmask_b32_e64 v53, v52, v72, s[10:11]
	v_cndmask_b32_e64 v54, v52, v73, s[12:13]
	v_cvt_f32_i32_e32 v55, v55
	v_max3_f32 v51, v51, v53, v54
	v_or_b32_e32 v53, 48, v50
	v_or_b32_e32 v54, 49, v50
	v_cmp_gt_i32_e64 s[2:3], s33, v53
	v_cmp_gt_i32_e64 s[8:9], s33, v54
	v_cndmask_b32_e64 v53, v52, v70, s[2:3]
	v_cndmask_b32_e64 v54, v52, v71, s[8:9]
	v_max3_f32 v51, v51, v53, v54
	v_or_b32_e32 v53, 50, v50
	v_or_b32_e32 v50, 51, v50
	v_fma_f32 v68, v89, v55, v68
	v_cmp_gt_i32_e32 vcc, s33, v53
	v_cmp_gt_i32_e64 s[0:1], s33, v50
	v_cndmask_b32_e32 v53, v52, v68, vcc
	v_cndmask_b32_e64 v50, v52, v69, s[0:1]
	v_max3_f32 v58, v51, v53, v50
	v_mbcnt_lo_u32_b32 v50, -1, 0
	v_mbcnt_hi_u32_b32 v59, -1, v50
	v_and_b32_e32 v50, 64, v59
	v_add_u32_e32 v61, 64, v50
	v_xor_b32_e32 v50, 32, v59
	v_cmp_lt_i32_e64 s[38:39], v50, v61
	v_cndmask_b32_e64 v50, v59, v50, s[38:39]
	v_lshlrev_b32_e32 v89, 2, v50
	ds_bpermute_b32 v80, v89, v58
	v_add_co_u32_e64 v50, s[38:39], v86, v64
	v_addc_co_u32_e64 v51, s[38:39], v94, v65, s[38:39]
	s_waitcnt lgkmcnt(0)
	v_max_f32_e32 v64, v80, v80
	v_max_f32_e32 v64, v58, v64
	v_xor_b32_e32 v58, 16, v59
	v_cmp_lt_i32_e64 s[38:39], v58, v61
	v_cndmask_b32_e64 v58, v59, v58, s[38:39]
	v_lshlrev_b32_e32 v92, 2, v58
	ds_bpermute_b32 v61, v92, v64
	v_add_co_u32_e64 v58, s[38:39], v86, v62
	v_addc_co_u32_e64 v59, s[38:39], v94, v63, s[38:39]
	s_waitcnt lgkmcnt(0)
	v_max_f32_e32 v61, v61, v61
	v_max_f32_e32 v90, v64, v61
	v_sub_f32_e32 v60, v60, v90
	v_mul_f32_e32 v60, 0x3fb8aa3b, v60
	v_exp_f32_e32 v80, v60
	v_sub_f32_e32 v60, v85, v90
	v_mul_f32_e32 v60, 0x3fb8aa3b, v60
	global_load_dwordx4 v[54:57], v[50:51], off
	s_nop 0
	global_load_dwordx4 v[50:53], v[50:51], off offset:16
	v_exp_f32_e32 v82, v60
	global_load_dwordx4 v[62:65], v[58:59], off
	s_nop 0
	global_load_dwordx4 v[58:61], v[58:59], off offset:16
	v_sub_f32_e32 v74, v74, v90
	v_mul_f32_e32 v74, 0x3fb8aa3b, v74
	v_exp_f32_e32 v74, v74
	v_sub_f32_e32 v75, v75, v90
	v_cndmask_b32_e64 v84, 0, v80, s[28:29]
	v_cndmask_b32_e64 v85, 0, v82, s[30:31]
	v_sub_f32_e32 v82, v83, v90
	v_mul_f32_e32 v75, 0x3fb8aa3b, v75
	v_add_f32_e32 v80, 0, v84
	v_mul_f32_e32 v82, 0x3fb8aa3b, v82
	v_exp_f32_e32 v75, v75
	v_exp_f32_e32 v83, v82
	v_add_f32_e32 v80, v80, v85
	v_cndmask_b32_e64 v82, 0, v74, s[34:35]
	v_add_f32_e32 v74, v80, v82
	v_sub_f32_e32 v80, v81, v90
	v_mul_f32_e32 v80, 0x3fb8aa3b, v80
	v_exp_f32_e32 v81, v80
	v_cndmask_b32_e64 v80, 0, v75, s[22:23]
	v_sub_f32_e32 v75, v78, v90
	v_mul_f32_e32 v75, 0x3fb8aa3b, v75
	v_exp_f32_e32 v75, v75
	v_sub_f32_e32 v78, v79, v90
	v_mul_f32_e32 v78, 0x3fb8aa3b, v78
	v_exp_f32_e32 v79, v78
	v_cndmask_b32_e64 v78, 0, v75, s[18:19]
	v_sub_f32_e32 v75, v76, v90
	v_cndmask_b32_e64 v83, 0, v83, s[36:37]
	v_mul_f32_e32 v75, 0x3fb8aa3b, v75
	v_sub_f32_e32 v76, v77, v90
	v_add_f32_e32 v74, v74, v83
	v_exp_f32_e32 v75, v75
	v_mul_f32_e32 v76, 0x3fb8aa3b, v76
	v_sub_f32_e32 v72, v72, v90
	v_add_f32_e32 v74, v74, v80
	v_cndmask_b32_e64 v81, 0, v81, s[24:25]
	v_exp_f32_e32 v77, v76
	v_mul_f32_e32 v72, 0x3fb8aa3b, v72
	v_sub_f32_e32 v73, v73, v90
	v_add_f32_e32 v74, v74, v81
	v_exp_f32_e32 v72, v72
	v_mul_f32_e32 v73, 0x3fb8aa3b, v73
	v_sub_f32_e32 v70, v70, v90
	v_add_f32_e32 v74, v74, v78
	v_cndmask_b32_e64 v79, 0, v79, s[20:21]
	v_exp_f32_e32 v73, v73
	v_mul_f32_e32 v70, 0x3fb8aa3b, v70
	v_sub_f32_e32 v71, v71, v90
	v_add_f32_e32 v74, v74, v79
	v_cndmask_b32_e64 v76, 0, v75, s[14:15]
	;; [unrolled: 5-line block ×4, first 2 shown]
	v_exp_f32_e32 v68, v68
	v_mul_f32_e32 v69, 0x3fb8aa3b, v69
	v_add_f32_e32 v74, v74, v72
	v_cndmask_b32_e64 v73, 0, v73, s[12:13]
	v_exp_f32_e32 v69, v69
	v_add_f32_e32 v74, v74, v73
	v_cndmask_b32_e64 v70, 0, v70, s[2:3]
	v_add_f32_e32 v74, v74, v70
	v_cndmask_b32_e64 v71, 0, v71, s[8:9]
	v_add_f32_e32 v74, v74, v71
	v_cndmask_b32_e32 v68, 0, v68, vcc
	v_add_f32_e32 v74, v74, v68
	v_cndmask_b32_e64 v69, 0, v69, s[0:1]
	v_add_f32_e32 v74, v74, v69
	ds_bpermute_b32 v75, v89, v74
	v_cmp_gt_u32_e32 vcc, 16, v95
	s_waitcnt lgkmcnt(0)
	s_barrier
	v_add_f32_e32 v91, v74, v75
	ds_bpermute_b32 v92, v92, v91
	s_and_saveexec_b64 s[0:1], vcc
	s_cbranch_execz .LBB167_15
; %bb.14:
	s_waitcnt lgkmcnt(0)
	v_add_f32_e32 v74, v91, v92
	v_lshlrev_b32_e32 v67, 2, v67
	ds_write2st64_b32 v67, v90, v74 offset1:1
.LBB167_15:
	s_or_b64 exec, exec, s[0:1]
	v_lshlrev_b32_e32 v67, 2, v1
	s_load_dword s2, s[4:5], 0x94
	s_waitcnt lgkmcnt(0)
	s_barrier
	ds_read2_b32 v[74:75], v67 offset1:16
	ds_read2_b32 v[90:91], v67 offset0:32 offset1:48
	ds_read2_b32 v[92:93], v67 offset0:64 offset1:80
	s_lshl_b32 s3, s40, 4
	s_waitcnt lgkmcnt(2)
	v_max3_f32 v86, v74, s41, v75
	s_waitcnt lgkmcnt(1)
	v_max3_f32 v89, v86, v90, v91
	v_sub_f32_e32 v74, v74, v89
	v_mul_f32_e32 v74, 0x3fb8aa3b, v74
	v_exp_f32_e32 v86, v74
	v_sub_f32_e32 v74, v75, v89
	v_mul_f32_e32 v74, 0x3fb8aa3b, v74
	v_exp_f32_e32 v94, v74
	;; [unrolled: 3-line block ×3, first 2 shown]
	ds_read2_b32 v[74:75], v67 offset0:96 offset1:112
	v_sub_f32_e32 v67, v91, v89
	v_mul_f32_e32 v67, 0x3fb8aa3b, v67
	v_exp_f32_e32 v67, v67
	s_waitcnt lgkmcnt(1)
	v_fma_f32 v90, v86, v92, 0
	v_fmac_f32_e32 v90, v94, v93
	s_waitcnt lgkmcnt(0)
	v_fmac_f32_e32 v90, v95, v74
	v_fmac_f32_e32 v90, v67, v75
	v_add_f32_e32 v74, 0x358637bd, v90
	v_div_scale_f32 v75, s[0:1], v74, v74, 1.0
	v_rcp_f32_e32 v91, v75
	s_barrier
	v_fma_f32 v92, -v75, v91, 1.0
	v_fmac_f32_e32 v91, v92, v91
	v_div_scale_f32 v92, vcc, 1.0, v74, 1.0
	v_mul_f32_e32 v93, v92, v91
	v_fma_f32 v88, -v75, v93, v92
	v_fmac_f32_e32 v93, v88, v91
	v_fma_f32 v75, -v75, v93, v92
	v_lshrrev_b32_e32 v88, 6, v0
	v_div_fmas_f32 v75, v75, v91, v93
	v_cmp_eq_u32_e32 vcc, 1, v88
	v_div_fixup_f32 v74, v75, v74, 1.0
	v_cndmask_b32_e32 v75, v86, v94, vcc
	v_cmp_eq_u32_e32 vcc, 2, v88
	v_cndmask_b32_e32 v75, v75, v95, vcc
	v_cmp_eq_u32_e32 vcc, 3, v88
	v_cndmask_b32_e32 v67, v75, v67, vcc
	v_mul_f32_e32 v74, v67, v74
	v_pk_mul_f32 v[84:85], v[74:75], v[84:85] op_sel_hi:[0,1]
	v_pk_mul_f32 v[82:83], v[74:75], v[82:83] op_sel_hi:[0,1]
	v_cvt_f16_f32_e32 v67, v84
	v_cvt_f16_f32_e32 v75, v85
	;; [unrolled: 1-line block ×4, first 2 shown]
	v_bfe_u32 v85, v0, 4, 2
	v_pack_b32_f16 v82, v67, v75
	v_lshlrev_b32_e32 v75, 5, v1
	v_pk_mul_f32 v[78:79], v[74:75], v[78:79] op_sel_hi:[0,1]
	v_pack_b32_f16 v83, v84, v83
	v_lshlrev_b32_e32 v67, 3, v85
	v_cvt_f16_f32_e32 v84, v78
	v_lshlrev_b32_e32 v78, 11, v88
	v_pk_mul_f32 v[76:77], v[74:75], v[76:77] op_sel_hi:[0,1]
	v_pk_mul_f32 v[80:81], v[74:75], v[80:81] op_sel_hi:[0,1]
	v_or3_b32 v78, v78, v75, v67
	v_pk_mul_f32 v[72:73], v[74:75], v[72:73] op_sel_hi:[0,1]
	v_cvt_f16_f32_e32 v75, v77
	v_cvt_f16_f32_e32 v80, v80
	;; [unrolled: 1-line block ×4, first 2 shown]
	v_pk_mul_f32 v[68:69], v[74:75], v[68:69] op_sel_hi:[0,1]
	v_pk_mul_f32 v[70:71], v[74:75], v[70:71] op_sel_hi:[0,1]
	v_cvt_f16_f32_e32 v67, v76
	v_cvt_f16_f32_e32 v72, v72
	;; [unrolled: 1-line block ×7, first 2 shown]
	v_pack_b32_f16 v80, v80, v81
	v_pack_b32_f16 v81, v84, v79
	v_pack_b32_f16 v68, v67, v75
	v_pack_b32_f16 v69, v72, v73
	v_pack_b32_f16 v70, v70, v71
	v_pack_b32_f16 v71, v74, v76
	v_cmp_gt_u32_e32 vcc, 16, v0
	ds_write2st64_b64 v78, v[82:83], v[80:81] offset1:1
	ds_write2st64_b64 v78, v[68:69], v[70:71] offset0:2 offset1:3
	s_and_saveexec_b64 s[0:1], vcc
	s_cbranch_execz .LBB167_17
; %bb.16:
	v_mov_b32_e32 v67, 0
	v_mov_b32_e32 v68, s3
	v_mad_u64_u32 v[68:69], s[12:13], s6, v68, v[66:67]
	v_mov_b32_e32 v66, s26
	s_load_dwordx4 s[8:11], s[4:5], 0x58
	s_mul_i32 s7, s7, s3
	v_mad_u64_u32 v[66:67], s[12:13], v68, s2, v[66:67]
	v_add_u32_e32 v69, s7, v69
	v_mov_b32_e32 v68, v67
	v_mad_u64_u32 v[68:69], s[12:13], v69, s2, v[68:69]
	v_mov_b32_e32 v67, v68
	v_lshlrev_b64 v[66:67], 2, v[66:67]
	s_waitcnt lgkmcnt(0)
	v_mov_b32_e32 v69, s11
	v_add_co_u32_e32 v68, vcc, s10, v66
	v_addc_co_u32_e32 v69, vcc, v69, v67, vcc
	global_store_dword v[68:69], v89, off
	v_mov_b32_e32 v68, s9
	v_add_co_u32_e32 v66, vcc, s8, v66
	v_addc_co_u32_e32 v67, vcc, v68, v67, vcc
	global_store_dword v[66:67], v90, off
.LBB167_17:
	s_or_b64 exec, exec, s[0:1]
	s_waitcnt lgkmcnt(0)
	s_barrier
	ds_read_b128 v[70:73], v87
	ds_read_b128 v[66:69], v87 offset:16
	s_waitcnt vmcnt(15) lgkmcnt(1)
	v_mfma_f32_16x16x16f16 v[74:77], v[46:47], v[70:71], 0
	s_mov_b32 s1, 0
	v_cmp_gt_u32_e32 vcc, 64, v0
	v_mfma_f32_16x16x16f16 v[46:49], v[48:49], v[72:73], v[74:77]
	s_waitcnt vmcnt(14) lgkmcnt(0)
	v_mfma_f32_16x16x16f16 v[46:49], v[42:43], v[66:67], v[46:49]
	v_mfma_f32_16x16x16f16 v[42:45], v[44:45], v[68:69], v[46:49]
	s_nop 7
	s_nop 1
	ds_read_b128 v[46:49], v87 offset:2048
	ds_read_b128 v[74:77], v87 offset:2064
	s_waitcnt vmcnt(13) lgkmcnt(1)
	v_mfma_f32_16x16x16f16 v[42:45], v[38:39], v[46:47], v[42:45]
	v_mfma_f32_16x16x16f16 v[38:41], v[40:41], v[48:49], v[42:45]
	s_waitcnt vmcnt(12) lgkmcnt(0)
	v_mfma_f32_16x16x16f16 v[38:41], v[34:35], v[74:75], v[38:41]
	v_mfma_f32_16x16x16f16 v[34:37], v[36:37], v[76:77], v[38:41]
	s_nop 7
	s_nop 1
	ds_read_b128 v[38:41], v87 offset:4096
	ds_read_b128 v[42:45], v87 offset:4112
	s_waitcnt vmcnt(11) lgkmcnt(1)
	v_mfma_f32_16x16x16f16 v[34:37], v[30:31], v[38:39], v[34:37]
	v_mfma_f32_16x16x16f16 v[30:33], v[32:33], v[40:41], v[34:37]
	s_waitcnt vmcnt(10) lgkmcnt(0)
	v_mfma_f32_16x16x16f16 v[30:33], v[26:27], v[42:43], v[30:33]
	v_mfma_f32_16x16x16f16 v[26:29], v[28:29], v[44:45], v[30:33]
	s_nop 7
	s_nop 1
	ds_read_b128 v[30:33], v87 offset:6144
	ds_read_b128 v[34:37], v87 offset:6160
	s_waitcnt lgkmcnt(0)
	s_barrier
	s_waitcnt vmcnt(9)
	v_mfma_f32_16x16x16f16 v[26:29], v[22:23], v[30:31], v[26:29]
	v_mfma_f32_16x16x16f16 v[22:25], v[24:25], v[32:33], v[26:29]
	s_waitcnt vmcnt(8)
	v_mfma_f32_16x16x16f16 v[22:25], v[18:19], v[34:35], v[22:25]
	v_mfma_f32_16x16x16f16 v[18:21], v[20:21], v[36:37], v[22:25]
	;; [unrolled: 3-line block ×4, first 2 shown]
	s_waitcnt vmcnt(5)
	v_mfma_f32_16x16x16f16 v[2:5], v[14:15], v[46:47], v[2:5]
	s_nop 7
	v_cvt_f16_f32_e32 v6, v18
	v_cvt_f16_f32_e32 v7, v19
	;; [unrolled: 1-line block ×4, first 2 shown]
	v_mfma_f32_16x16x16f16 v[2:5], v[16:17], v[48:49], v[2:5]
	s_waitcnt vmcnt(4)
	v_mfma_f32_16x16x16f16 v[2:5], v[10:11], v[74:75], v[2:5]
	v_mfma_f32_16x16x16f16 v[2:5], v[12:13], v[76:77], v[2:5]
	s_waitcnt vmcnt(3)
	v_mfma_f32_16x16x16f16 v[2:5], v[54:55], v[38:39], v[2:5]
	;; [unrolled: 3-line block ×5, first 2 shown]
	v_mfma_f32_16x16x16f16 v[2:5], v[60:61], v[36:37], v[2:5]
	s_nop 7
	s_nop 2
	v_cvt_f16_f32_e32 v10, v2
	v_cvt_f16_f32_e32 v11, v3
	;; [unrolled: 1-line block ×4, first 2 shown]
	v_pack_b32_f16 v2, v6, v7
	v_pack_b32_f16 v3, v8, v9
	;; [unrolled: 1-line block ×4, first 2 shown]
	ds_write2st64_b64 v78, v[2:3], v[4:5] offset1:1
	s_waitcnt lgkmcnt(0)
	s_barrier
	s_and_saveexec_b64 s[8:9], vcc
	s_cbranch_execz .LBB167_19
; %bb.18:
	v_lshlrev_b32_e32 v1, 6, v1
	v_lshlrev_b32_e32 v3, 4, v0
	v_lshl_or_b32 v0, v0, 10, v1
	v_lshlrev_b32_e32 v2, 5, v85
	v_and_b32_e32 v3, 16, v3
	v_and_b32_e32 v0, 0x1a00, v0
	v_or3_b32 v12, v0, v2, v3
	ds_read_b128 v[0:3], v12
	ds_read_b128 v[4:7], v12 offset:128
	ds_read_b128 v[8:11], v12 offset:256
	;; [unrolled: 1-line block ×3, first 2 shown]
	buffer_load_dword v18, off, s[44:47], 0 ; 4-byte Folded Reload
	buffer_load_dword v19, off, s[44:47], 0 offset:4 ; 4-byte Folded Reload
	s_load_dwordx2 s[4:5], s[4:5], 0x68
	s_lshl_b32 s7, s2, 7
	s_mul_i32 s0, s3, s6
	s_mul_hi_u32 s3, s0, s7
	s_mul_i32 s2, s0, s7
	s_lshl_b64 s[2:3], s[2:3], 1
	s_waitcnt lgkmcnt(0)
	s_add_u32 s2, s4, s2
	s_addc_u32 s3, s5, s3
	s_lshl_b32 s0, s26, 7
	s_lshl_b64 s[0:1], s[0:1], 1
	s_add_u32 s0, s2, s0
	s_addc_u32 s1, s3, s1
	v_mov_b32_e32 v16, s1
	v_or_b32_e32 v20, s27, v85
	s_waitcnt vmcnt(1)
	v_add_co_u32_e32 v18, vcc, s0, v18
	s_waitcnt vmcnt(0)
	v_addc_co_u32_e32 v19, vcc, v16, v19, vcc
	v_mad_u64_u32 v[16:17], s[0:1], v20, s7, 0
	v_lshlrev_b64 v[16:17], 1, v[16:17]
	v_add_co_u32_e32 v16, vcc, v18, v16
	v_addc_co_u32_e32 v17, vcc, v19, v17, vcc
	global_store_dwordx4 v[16:17], v[0:3], off
	s_nop 0
	v_or_b32_e32 v0, 4, v20
	v_mad_u64_u32 v[0:1], s[0:1], v0, s7, 0
	v_lshlrev_b64 v[0:1], 1, v[0:1]
	v_add_co_u32_e32 v0, vcc, v18, v0
	v_addc_co_u32_e32 v1, vcc, v19, v1, vcc
	global_store_dwordx4 v[0:1], v[4:7], off
	v_or_b32_e32 v0, 8, v20
	v_mad_u64_u32 v[0:1], s[0:1], v0, s7, 0
	v_lshlrev_b64 v[0:1], 1, v[0:1]
	v_add_co_u32_e32 v0, vcc, v18, v0
	v_addc_co_u32_e32 v1, vcc, v19, v1, vcc
	global_store_dwordx4 v[0:1], v[8:11], off
	;; [unrolled: 6-line block ×3, first 2 shown]
.LBB167_19:
	s_endpgm
	.section	.rodata,"a",@progbits
	.p2align	6, 0x0
	.amdhsa_kernel _Z39paged_attention_ll4mi_QKV_mfma16_kernelIDF16_DF16_LN4vllm18Fp8KVCacheDataTypeE0EDF16_Li32ELi128ELi256ELb1ELi16EL8MFMAType0EEvPKT_PKT0_S8_ifPKiSA_SA_iPKfiiiPfSD_PS3_PT2_iSC_SC_
		.amdhsa_group_segment_fixed_size 8192
		.amdhsa_private_segment_fixed_size 12
		.amdhsa_kernarg_size 400
		.amdhsa_user_sgpr_count 6
		.amdhsa_user_sgpr_private_segment_buffer 1
		.amdhsa_user_sgpr_dispatch_ptr 0
		.amdhsa_user_sgpr_queue_ptr 0
		.amdhsa_user_sgpr_kernarg_segment_ptr 1
		.amdhsa_user_sgpr_dispatch_id 0
		.amdhsa_user_sgpr_flat_scratch_init 0
		.amdhsa_user_sgpr_kernarg_preload_length 0
		.amdhsa_user_sgpr_kernarg_preload_offset 0
		.amdhsa_user_sgpr_private_segment_size 0
		.amdhsa_uses_dynamic_stack 0
		.amdhsa_system_sgpr_private_segment_wavefront_offset 1
		.amdhsa_system_sgpr_workgroup_id_x 1
		.amdhsa_system_sgpr_workgroup_id_y 1
		.amdhsa_system_sgpr_workgroup_id_z 1
		.amdhsa_system_sgpr_workgroup_info 0
		.amdhsa_system_vgpr_workitem_id 0
		.amdhsa_next_free_vgpr 96
		.amdhsa_next_free_sgpr 48
		.amdhsa_accum_offset 96
		.amdhsa_reserve_vcc 1
		.amdhsa_reserve_flat_scratch 0
		.amdhsa_float_round_mode_32 0
		.amdhsa_float_round_mode_16_64 0
		.amdhsa_float_denorm_mode_32 3
		.amdhsa_float_denorm_mode_16_64 3
		.amdhsa_dx10_clamp 1
		.amdhsa_ieee_mode 1
		.amdhsa_fp16_overflow 0
		.amdhsa_tg_split 0
		.amdhsa_exception_fp_ieee_invalid_op 0
		.amdhsa_exception_fp_denorm_src 0
		.amdhsa_exception_fp_ieee_div_zero 0
		.amdhsa_exception_fp_ieee_overflow 0
		.amdhsa_exception_fp_ieee_underflow 0
		.amdhsa_exception_fp_ieee_inexact 0
		.amdhsa_exception_int_div_zero 0
	.end_amdhsa_kernel
	.section	.text._Z39paged_attention_ll4mi_QKV_mfma16_kernelIDF16_DF16_LN4vllm18Fp8KVCacheDataTypeE0EDF16_Li32ELi128ELi256ELb1ELi16EL8MFMAType0EEvPKT_PKT0_S8_ifPKiSA_SA_iPKfiiiPfSD_PS3_PT2_iSC_SC_,"axG",@progbits,_Z39paged_attention_ll4mi_QKV_mfma16_kernelIDF16_DF16_LN4vllm18Fp8KVCacheDataTypeE0EDF16_Li32ELi128ELi256ELb1ELi16EL8MFMAType0EEvPKT_PKT0_S8_ifPKiSA_SA_iPKfiiiPfSD_PS3_PT2_iSC_SC_,comdat
.Lfunc_end167:
	.size	_Z39paged_attention_ll4mi_QKV_mfma16_kernelIDF16_DF16_LN4vllm18Fp8KVCacheDataTypeE0EDF16_Li32ELi128ELi256ELb1ELi16EL8MFMAType0EEvPKT_PKT0_S8_ifPKiSA_SA_iPKfiiiPfSD_PS3_PT2_iSC_SC_, .Lfunc_end167-_Z39paged_attention_ll4mi_QKV_mfma16_kernelIDF16_DF16_LN4vllm18Fp8KVCacheDataTypeE0EDF16_Li32ELi128ELi256ELb1ELi16EL8MFMAType0EEvPKT_PKT0_S8_ifPKiSA_SA_iPKfiiiPfSD_PS3_PT2_iSC_SC_
                                        ; -- End function
	.section	.AMDGPU.csdata,"",@progbits
; Kernel info:
; codeLenInByte = 5096
; NumSgprs: 52
; NumVgprs: 96
; NumAgprs: 0
; TotalNumVgprs: 96
; ScratchSize: 12
; MemoryBound: 0
; FloatMode: 240
; IeeeMode: 1
; LDSByteSize: 8192 bytes/workgroup (compile time only)
; SGPRBlocks: 6
; VGPRBlocks: 11
; NumSGPRsForWavesPerEU: 52
; NumVGPRsForWavesPerEU: 96
; AccumOffset: 96
; Occupancy: 5
; WaveLimiterHint : 1
; COMPUTE_PGM_RSRC2:SCRATCH_EN: 1
; COMPUTE_PGM_RSRC2:USER_SGPR: 6
; COMPUTE_PGM_RSRC2:TRAP_HANDLER: 0
; COMPUTE_PGM_RSRC2:TGID_X_EN: 1
; COMPUTE_PGM_RSRC2:TGID_Y_EN: 1
; COMPUTE_PGM_RSRC2:TGID_Z_EN: 1
; COMPUTE_PGM_RSRC2:TIDIG_COMP_CNT: 0
; COMPUTE_PGM_RSRC3_GFX90A:ACCUM_OFFSET: 23
; COMPUTE_PGM_RSRC3_GFX90A:TG_SPLIT: 0
	.section	.text._Z39paged_attention_ll4mi_QKV_mfma16_kernelIDF16_DF16_LN4vllm18Fp8KVCacheDataTypeE0EDF16_Li32ELi128ELi256ELb1ELi1EL8MFMAType0EEvPKT_PKT0_S8_ifPKiSA_SA_iPKfiiiPfSD_PS3_PT2_iSC_SC_,"axG",@progbits,_Z39paged_attention_ll4mi_QKV_mfma16_kernelIDF16_DF16_LN4vllm18Fp8KVCacheDataTypeE0EDF16_Li32ELi128ELi256ELb1ELi1EL8MFMAType0EEvPKT_PKT0_S8_ifPKiSA_SA_iPKfiiiPfSD_PS3_PT2_iSC_SC_,comdat
	.protected	_Z39paged_attention_ll4mi_QKV_mfma16_kernelIDF16_DF16_LN4vllm18Fp8KVCacheDataTypeE0EDF16_Li32ELi128ELi256ELb1ELi1EL8MFMAType0EEvPKT_PKT0_S8_ifPKiSA_SA_iPKfiiiPfSD_PS3_PT2_iSC_SC_ ; -- Begin function _Z39paged_attention_ll4mi_QKV_mfma16_kernelIDF16_DF16_LN4vllm18Fp8KVCacheDataTypeE0EDF16_Li32ELi128ELi256ELb1ELi1EL8MFMAType0EEvPKT_PKT0_S8_ifPKiSA_SA_iPKfiiiPfSD_PS3_PT2_iSC_SC_
	.globl	_Z39paged_attention_ll4mi_QKV_mfma16_kernelIDF16_DF16_LN4vllm18Fp8KVCacheDataTypeE0EDF16_Li32ELi128ELi256ELb1ELi1EL8MFMAType0EEvPKT_PKT0_S8_ifPKiSA_SA_iPKfiiiPfSD_PS3_PT2_iSC_SC_
	.p2align	8
	.type	_Z39paged_attention_ll4mi_QKV_mfma16_kernelIDF16_DF16_LN4vllm18Fp8KVCacheDataTypeE0EDF16_Li32ELi128ELi256ELb1ELi1EL8MFMAType0EEvPKT_PKT0_S8_ifPKiSA_SA_iPKfiiiPfSD_PS3_PT2_iSC_SC_,@function
_Z39paged_attention_ll4mi_QKV_mfma16_kernelIDF16_DF16_LN4vllm18Fp8KVCacheDataTypeE0EDF16_Li32ELi128ELi256ELb1ELi1EL8MFMAType0EEvPKT_PKT0_S8_ifPKiSA_SA_iPKfiiiPfSD_PS3_PT2_iSC_SC_: ; @_Z39paged_attention_ll4mi_QKV_mfma16_kernelIDF16_DF16_LN4vllm18Fp8KVCacheDataTypeE0EDF16_Li32ELi128ELi256ELb1ELi1EL8MFMAType0EEvPKT_PKT0_S8_ifPKiSA_SA_iPKfiiiPfSD_PS3_PT2_iSC_SC_
; %bb.0:
	s_mov_b64 s[46:47], s[2:3]
	s_mov_b64 s[44:45], s[0:1]
	s_load_dwordx2 s[0:1], s[4:5], 0x30
	s_add_u32 s44, s44, s9
	s_addc_u32 s45, s45, 0
	s_mov_b32 s28, s7
	s_mov_b64 s[10:11], 0
	s_waitcnt lgkmcnt(0)
	s_cmp_lg_u64 s[0:1], 0
	s_cselect_b64 s[2:3], -1, 0
	s_and_b64 vcc, exec, s[2:3]
	s_cbranch_vccz .LBB168_7
; %bb.1:
	s_add_i32 s12, s6, 1
	s_mov_b32 s13, 0
	s_lshl_b64 s[14:15], s[12:13], 2
	s_add_u32 s14, s0, s14
	s_mov_b32 s7, s13
	s_addc_u32 s15, s1, s15
	s_lshl_b64 s[12:13], s[6:7], 2
	s_add_u32 s12, s0, s12
	s_addc_u32 s13, s1, s13
	s_load_dword s9, s[14:15], 0x0
	s_load_dword s16, s[12:13], 0x0
	s_waitcnt lgkmcnt(0)
	s_sub_i32 s9, s9, s16
	s_cmp_eq_u32 s9, 1
	s_cselect_b64 s[12:13], -1, 0
	s_andn2_b64 vcc, exec, s[10:11]
	s_cbranch_vccnz .LBB168_3
.LBB168_2:
	s_mov_b32 s7, 0
	s_mov_b64 s[12:13], -1
.LBB168_3:
	s_andn2_b64 vcc, exec, s[12:13]
	s_cbranch_vccnz .LBB168_21
; %bb.4:
	s_load_dwordx2 s[12:13], s[4:5], 0x28
	s_lshl_b64 s[10:11], s[6:7], 2
	s_waitcnt lgkmcnt(0)
	s_add_u32 s12, s12, s10
	s_addc_u32 s13, s13, s11
	s_load_dword s29, s[12:13], 0x0
	s_lshl_b32 s16, s28, 8
	s_waitcnt lgkmcnt(0)
	s_cmp_ge_i32 s16, s29
	s_cbranch_scc1 .LBB168_21
; %bb.5:
	s_add_i32 s14, s29, 31
	s_load_dwordx2 s[12:13], s[4:5], 0x20
	s_load_dword s9, s[4:5], 0x38
	s_ashr_i32 s15, s14, 31
	v_and_b32_e32 v1, 0xcf, v0
	s_lshr_b32 s15, s15, 27
	v_add_u32_e32 v1, s16, v1
	s_add_i32 s14, s14, s15
	v_ashrrev_i32_e32 v2, 31, v1
	s_ashr_i32 s19, s14, 5
	v_lshrrev_b32_e32 v6, 27, v2
	s_add_i32 s19, s19, -1
	v_add_u32_e32 v2, v1, v6
	s_waitcnt lgkmcnt(0)
	s_mul_i32 s14, s6, s9
	s_mov_b32 s15, 0
	v_ashrrev_i32_e32 v2, 5, v2
	v_mov_b32_e32 v7, s19
	v_cmp_gt_i32_e32 vcc, s29, v1
	s_lshl_b64 s[14:15], s[14:15], 2
	v_cndmask_b32_e32 v2, v7, v2, vcc
	s_add_u32 s17, s12, s14
	v_ashrrev_i32_e32 v3, 31, v2
	s_addc_u32 s18, s13, s15
	v_lshlrev_b64 v[2:3], 2, v[2:3]
	v_mov_b32_e32 v4, s18
	v_add_co_u32_e32 v2, vcc, s17, v2
	v_addc_co_u32_e32 v3, vcc, v4, v3, vcc
	v_or_b32_e32 v4, 16, v1
	v_add_u32_e32 v5, v4, v6
	v_ashrrev_i32_e32 v5, 5, v5
	v_cmp_gt_i32_e32 vcc, s29, v4
	v_cndmask_b32_e32 v4, v7, v5, vcc
	v_ashrrev_i32_e32 v5, 31, v4
	v_lshlrev_b64 v[4:5], 2, v[4:5]
	v_mov_b32_e32 v9, s18
	v_add_co_u32_e32 v8, vcc, s17, v4
	v_or_b32_e32 v4, 32, v1
	v_addc_co_u32_e32 v9, vcc, v9, v5, vcc
	v_add_u32_e32 v5, v4, v6
	v_ashrrev_i32_e32 v5, 5, v5
	v_cmp_gt_i32_e32 vcc, s29, v4
	v_cndmask_b32_e32 v4, v7, v5, vcc
	v_ashrrev_i32_e32 v5, 31, v4
	v_lshlrev_b64 v[4:5], 2, v[4:5]
	v_mov_b32_e32 v11, s18
	v_add_co_u32_e32 v10, vcc, s17, v4
	v_or_b32_e32 v1, 48, v1
	v_addc_co_u32_e32 v11, vcc, v11, v5, vcc
	v_add_u32_e32 v4, v1, v6
	v_ashrrev_i32_e32 v4, 5, v4
	v_cmp_gt_i32_e32 vcc, s29, v1
	v_cndmask_b32_e32 v4, v7, v4, vcc
	v_ashrrev_i32_e32 v5, 31, v4
	v_lshlrev_b64 v[4:5], 2, v[4:5]
	v_mov_b32_e32 v1, s18
	v_add_co_u32_e32 v12, vcc, s17, v4
	v_addc_co_u32_e32 v13, vcc, v1, v5, vcc
	global_load_dword v7, v[2:3], off
	global_load_dword v6, v[8:9], off
	;; [unrolled: 1-line block ×4, first 2 shown]
	s_andn2_b64 vcc, exec, s[2:3]
	s_cbranch_vccnz .LBB168_8
; %bb.6:
	s_add_u32 s0, s0, s10
	s_addc_u32 s1, s1, s11
	s_load_dword s9, s[0:1], 0x0
	s_branch .LBB168_9
.LBB168_7:
	s_mov_b64 s[12:13], 0
	s_branch .LBB168_2
.LBB168_8:
	s_mov_b32 s9, s6
.LBB168_9:
	s_load_dwordx2 s[12:13], s[4:5], 0x8
	s_load_dwordx4 s[0:3], s[4:5], 0x48
	v_lshrrev_b32_e32 v85, 6, v0
	v_bfe_u32 v1, v0, 4, 2
	v_lshl_or_b32 v3, v85, 2, v1
	v_and_b32_e32 v84, 15, v0
	v_lshlrev_b32_e32 v2, 3, v84
	v_cmp_ne_u32_e32 vcc, 0, v3
	s_and_saveexec_b64 s[10:11], vcc
	s_xor_b64 s[10:11], exec, s[10:11]
; %bb.10:
	v_mov_b32_e32 v3, 0
; %bb.11:
	s_or_saveexec_b64 s[14:15], s[10:11]
	s_load_dwordx2 s[10:11], s[4:5], 0x10
	s_xor_b64 exec, exec, s[14:15]
	s_cbranch_execz .LBB168_13
; %bb.12:
	s_load_dwordx2 s[20:21], s[4:5], 0x0
	s_waitcnt lgkmcnt(0)
	s_ashr_i32 s3, s0, 31
	s_mul_hi_u32 s22, s9, s0
	s_mul_i32 s3, s9, s3
	s_add_i32 s23, s22, s3
	s_mul_i32 s22, s9, s0
	s_lshl_b64 s[22:23], s[22:23], 1
	s_add_u32 s0, s20, s22
	s_addc_u32 s3, s21, s23
	s_lshl_b32 s20, s8, 7
	s_ashr_i32 s21, s20, 31
	s_lshl_b64 s[20:21], s[20:21], 1
	s_add_u32 s20, s0, s20
	s_addc_u32 s21, s3, s21
	v_lshlrev_b32_e32 v3, 1, v2
	global_load_dwordx4 v[8:11], v3, s[20:21]
	v_and_b32_e32 v12, 3, v0
	v_lshlrev_b32_e32 v13, 9, v84
	v_lshlrev_b32_e32 v12, 9, v12
	s_movk_i32 s0, 0x1800
	v_mov_b32_e32 v3, 0
	v_and_or_b32 v12, v13, s0, v12
	s_waitcnt vmcnt(0)
	ds_write_b128 v12, v[8:11]
.LBB168_13:
	s_or_b64 exec, exec, s[14:15]
	s_waitcnt lgkmcnt(0)
	s_mul_i32 s2, s8, s2
	s_mov_b32 s3, 0
	s_lshl_b64 s[2:3], s[2:3], 1
	s_add_u32 s0, s12, s2
	s_addc_u32 s9, s13, s3
	s_waitcnt vmcnt(3)
	v_mad_i64_i32 v[8:9], s[12:13], v7, s1, 0
	v_lshlrev_b64 v[8:9], 1, v[8:9]
	v_mov_b32_e32 v7, s9
	v_add_co_u32_e32 v8, vcc, s0, v8
	v_addc_co_u32_e32 v7, vcc, v7, v9, vcc
	v_lshlrev_b64 v[12:13], 1, v[2:3]
	v_add_co_u32_e32 v8, vcc, v8, v12
	v_lshlrev_b32_e32 v54, 9, v1
	v_addc_co_u32_e32 v7, vcc, v7, v13, vcc
	v_add_co_u32_e32 v2, vcc, v8, v54
	v_addc_co_u32_e32 v3, vcc, 0, v7, vcc
	v_or_b32_e32 v10, 0x1000, v54
	s_barrier
	global_load_dwordx4 v[38:41], v[2:3], off
	global_load_dwordx4 v[34:37], v[2:3], off offset:2048
	v_add_co_u32_e32 v2, vcc, v8, v10
	v_addc_co_u32_e32 v3, vcc, 0, v7, vcc
	v_or_b32_e32 v11, 0x1800, v54
	v_add_co_u32_e32 v8, vcc, v8, v11
	v_addc_co_u32_e32 v9, vcc, 0, v7, vcc
	global_load_dwordx4 v[46:49], v[2:3], off
	global_load_dwordx4 v[58:61], v[8:9], off
	s_waitcnt vmcnt(6)
	v_mad_i64_i32 v[2:3], s[12:13], v6, s1, 0
	v_lshlrev_b64 v[2:3], 1, v[2:3]
	v_mov_b32_e32 v6, s9
	v_add_co_u32_e32 v2, vcc, s0, v2
	v_addc_co_u32_e32 v3, vcc, v6, v3, vcc
	v_mov_b32_e32 v6, 0x100
	v_lshl_or_b32 v8, v84, 4, v6
	v_add_co_u32_e32 v6, vcc, v2, v8
	v_addc_co_u32_e32 v7, vcc, 0, v3, vcc
	v_add_co_u32_e32 v2, vcc, v6, v54
	v_addc_co_u32_e32 v3, vcc, 0, v7, vcc
	global_load_dwordx4 v[74:77], v[2:3], off
	global_load_dwordx4 v[70:73], v[2:3], off offset:2048
	v_add_co_u32_e32 v2, vcc, v6, v10
	v_addc_co_u32_e32 v3, vcc, 0, v7, vcc
	v_add_co_u32_e32 v6, vcc, v6, v11
	v_addc_co_u32_e32 v7, vcc, 0, v7, vcc
	global_load_dwordx4 v[78:81], v[2:3], off
	global_load_dwordx4 v[66:69], v[6:7], off
	s_waitcnt vmcnt(9)
	v_mad_i64_i32 v[2:3], s[12:13], v5, s1, 0
	v_lshlrev_b64 v[2:3], 1, v[2:3]
	v_mov_b32_e32 v5, s9
	v_add_co_u32_e32 v2, vcc, s0, v2
	v_addc_co_u32_e32 v3, vcc, v5, v3, vcc
	v_add_co_u32_e32 v5, vcc, v2, v12
	buffer_store_dword v12, off, s[44:47], 0 ; 4-byte Folded Spill
	s_nop 0
	buffer_store_dword v13, off, s[44:47], 0 offset:4 ; 4-byte Folded Spill
	v_and_b32_e32 v94, 63, v0
	v_mov_b32_e32 v87, 0
	v_addc_co_u32_e32 v7, vcc, v3, v13, vcc
	v_add_co_u32_e32 v2, vcc, v5, v54
	v_addc_co_u32_e32 v3, vcc, 0, v7, vcc
	global_load_dwordx4 v[62:65], v[2:3], off
	global_load_dwordx4 v[42:45], v[2:3], off offset:2048
	v_add_co_u32_e32 v2, vcc, v5, v10
	v_addc_co_u32_e32 v3, vcc, 0, v7, vcc
	v_add_co_u32_e32 v6, vcc, v5, v11
	v_addc_co_u32_e32 v7, vcc, 0, v7, vcc
	global_load_dwordx4 v[30:33], v[2:3], off
	global_load_dwordx4 v[22:25], v[6:7], off
	s_waitcnt vmcnt(14)
	v_mad_i64_i32 v[2:3], s[12:13], v4, s1, 0
	v_lshlrev_b64 v[2:3], 1, v[2:3]
	v_mov_b32_e32 v4, s9
	v_add_co_u32_e32 v2, vcc, s0, v2
	v_addc_co_u32_e32 v3, vcc, v4, v3, vcc
	v_add_co_u32_e32 v4, vcc, v2, v8
	v_addc_co_u32_e32 v5, vcc, 0, v3, vcc
	;; [unrolled: 2-line block ×3, first 2 shown]
	global_load_dwordx4 v[14:17], v[2:3], off
	global_load_dwordx4 v[6:9], v[2:3], off offset:2048
	v_add_co_u32_e32 v2, vcc, v4, v10
	v_addc_co_u32_e32 v3, vcc, 0, v5, vcc
	v_add_co_u32_e32 v10, vcc, v4, v11
	v_addc_co_u32_e32 v11, vcc, 0, v5, vcc
	global_load_dwordx4 v[2:5], v[2:3], off
	s_nop 0
	global_load_dwordx4 v[50:53], v[10:11], off
	ds_read_b128 v[26:29], v54
	ds_read_b128 v[18:21], v54 offset:2048
	ds_read_b128 v[10:13], v54 offset:4096
	ds_read_b128 v[54:57], v54 offset:6144
	v_cmp_eq_u32_e32 vcc, 0, v84
	s_and_saveexec_b64 s[12:13], vcc
	s_cbranch_execz .LBB168_15
; %bb.14:
	s_load_dwordx2 s[14:15], s[4:5], 0x40
	s_ashr_i32 s9, s8, 31
	s_lshl_b64 s[20:21], s[8:9], 2
	s_waitcnt lgkmcnt(0)
	s_add_u32 s14, s14, s20
	s_addc_u32 s15, s15, s21
	s_load_dword s0, s[14:15], 0x0
	s_waitcnt lgkmcnt(0)
	v_mov_b32_e32 v87, s0
.LBB168_15:
	s_or_b64 exec, exec, s[12:13]
	s_waitcnt vmcnt(17) lgkmcnt(3)
	v_mfma_f32_16x16x16f16 v[88:91], v[38:39], v[26:27], 0
	s_ashr_i32 s0, s16, 31
	s_lshr_b32 s0, s0, 27
	s_add_u32 s2, s10, s2
	s_addc_u32 s3, s11, s3
	s_mov_b32 s9, 0xff7fffff
	v_mfma_f32_16x16x16f16 v[38:41], v[40:41], v[28:29], v[88:91]
	s_waitcnt vmcnt(16) lgkmcnt(2)
	v_mfma_f32_16x16x16f16 v[38:41], v[34:35], v[18:19], v[38:41]
	s_nop 4
	v_lshl_or_b32 v88, v85, 4, v84
	v_mfma_f32_16x16x16f16 v[34:37], v[36:37], v[20:21], v[38:41]
	s_waitcnt vmcnt(15) lgkmcnt(1)
	v_mfma_f32_16x16x16f16 v[34:37], v[46:47], v[10:11], v[34:37]
	v_and_or_b32 v46, v0, 48, s16
	s_nop 3
	v_add_u32_e32 v38, s0, v46
	v_ashrrev_i32_e32 v38, 5, v38
	v_mov_b32_e32 v47, s19
	v_cmp_gt_i32_e32 vcc, s29, v46
	v_cndmask_b32_e32 v38, v47, v38, vcc
	v_ashrrev_i32_e32 v39, 31, v38
	v_mfma_f32_16x16x16f16 v[34:37], v[48:49], v[12:13], v[34:37]
	v_or_b32_e32 v40, 64, v46
	v_add_u32_e32 v41, s0, v40
	v_ashrrev_i32_e32 v41, 5, v41
	v_mov_b32_e32 v48, s18
	s_waitcnt vmcnt(14) lgkmcnt(0)
	v_mfma_f32_16x16x16f16 v[34:37], v[58:59], v[54:55], v[34:37]
	v_mfma_f32_16x16x16f16 v[58:61], v[60:61], v[56:57], v[34:37]
	s_waitcnt vmcnt(13)
	v_mfma_f32_16x16x16f16 v[34:37], v[74:75], v[26:27], 0
	v_mfma_f32_16x16x16f16 v[34:37], v[76:77], v[28:29], v[34:37]
	v_lshlrev_b32_e32 v76, 6, v88
	s_waitcnt vmcnt(12)
	v_mfma_f32_16x16x16f16 v[34:37], v[70:71], v[18:19], v[34:37]
	v_mfma_f32_16x16x16f16 v[34:37], v[72:73], v[20:21], v[34:37]
	s_waitcnt vmcnt(11)
	v_mfma_f32_16x16x16f16 v[34:37], v[78:79], v[10:11], v[34:37]
	v_mfma_f32_16x16x16f16 v[34:37], v[80:81], v[12:13], v[34:37]
	;; [unrolled: 3-line block ×3, first 2 shown]
	s_nop 7
	s_nop 1
	v_lshlrev_b64 v[34:35], 2, v[38:39]
	v_mov_b32_e32 v36, s18
	v_add_co_u32_e32 v38, vcc, s17, v34
	v_addc_co_u32_e32 v39, vcc, v36, v35, vcc
	v_cmp_gt_i32_e32 vcc, s29, v40
	v_cndmask_b32_e32 v40, v47, v41, vcc
	v_ashrrev_i32_e32 v41, 31, v40
	v_lshlrev_b64 v[40:41], 2, v[40:41]
	v_add_co_u32_e32 v40, vcc, s17, v40
	v_addc_co_u32_e32 v41, vcc, v48, v41, vcc
	global_load_dword v48, v[38:39], off
	s_nop 0
	global_load_dword v40, v[40:41], off
	v_or_b32_e32 v38, 0x80, v46
	v_add_u32_e32 v39, s0, v38
	v_ashrrev_i32_e32 v39, 5, v39
	v_cmp_gt_i32_e32 vcc, s29, v38
	v_cndmask_b32_e32 v38, v47, v39, vcc
	v_ashrrev_i32_e32 v39, 31, v38
	v_lshlrev_b64 v[38:39], 2, v[38:39]
	v_mov_b32_e32 v41, s18
	v_add_co_u32_e32 v38, vcc, s17, v38
	v_addc_co_u32_e32 v39, vcc, v41, v39, vcc
	s_waitcnt vmcnt(9)
	v_mfma_f32_16x16x16f16 v[34:37], v[62:63], v[26:27], 0
	global_load_dword v62, v[38:39], off
	v_or_b32_e32 v38, 0xc0, v46
	v_add_u32_e32 v39, s0, v38
	v_ashrrev_i32_e32 v39, 5, v39
	v_cmp_gt_i32_e32 vcc, s29, v38
	v_cndmask_b32_e32 v38, v47, v39, vcc
	v_ashrrev_i32_e32 v39, 31, v38
	v_mfma_f32_16x16x16f16 v[34:37], v[64:65], v[28:29], v[34:37]
	s_load_dword s0, s[4:5], 0x1c
	s_waitcnt lgkmcnt(0)
	v_pk_mul_f32 v[58:59], s[0:1], v[58:59] op_sel_hi:[0,1]
	s_waitcnt vmcnt(9)
	v_mfma_f32_16x16x16f16 v[34:37], v[42:43], v[18:19], v[34:37]
	v_mfma_f32_16x16x16f16 v[34:37], v[44:45], v[20:21], v[34:37]
	s_waitcnt vmcnt(8)
	v_mfma_f32_16x16x16f16 v[34:37], v[30:31], v[10:11], v[34:37]
	v_lshlrev_b64 v[30:31], 2, v[38:39]
	v_mov_b32_e32 v39, s18
	v_add_co_u32_e32 v38, vcc, s17, v30
	v_addc_co_u32_e32 v39, vcc, v39, v31, vcc
	global_load_dword v63, v[38:39], off
	v_mfma_f32_16x16x16f16 v[30:33], v[32:33], v[12:13], v[34:37]
	s_waitcnt vmcnt(8)
	v_mfma_f32_16x16x16f16 v[30:33], v[22:23], v[54:55], v[30:33]
	s_nop 4
	v_and_b32_e32 v34, 16, v0
	v_lshlrev_b32_e32 v34, 1, v34
	v_mov_b32_e32 v22, s3
	v_add_co_u32_e32 v74, vcc, s2, v34
	v_addc_co_u32_e32 v75, vcc, 0, v22, vcc
	v_mfma_f32_16x16x16f16 v[90:93], v[24:25], v[56:57], v[30:33]
	v_add_co_u32_e32 v77, vcc, v74, v76
	v_addc_co_u32_e32 v78, vcc, 0, v75, vcc
	s_waitcnt vmcnt(3)
	v_mad_i64_i32 v[22:23], s[2:3], v48, s1, 0
	v_lshlrev_b64 v[70:71], 1, v[22:23]
	v_mfma_f32_16x16x16f16 v[22:25], v[14:15], v[26:27], 0
	v_add_co_u32_e32 v14, vcc, v77, v70
	v_addc_co_u32_e32 v15, vcc, v78, v71, vcc
	global_load_dwordx4 v[46:49], v[14:15], off
	global_load_dwordx4 v[42:45], v[14:15], off offset:16
	s_waitcnt vmcnt(4)
	v_mad_i64_i32 v[14:15], s[2:3], v40, s1, 0
	v_lshlrev_b64 v[72:73], 1, v[14:15]
	v_mfma_f32_16x16x16f16 v[14:17], v[16:17], v[28:29], v[22:25]
	v_mfma_f32_16x16x16f16 v[14:17], v[6:7], v[18:19], v[14:17]
	s_nop 5
	v_add_co_u32_e32 v22, vcc, v77, v72
	v_addc_co_u32_e32 v23, vcc, v78, v73, vcc
	global_load_dwordx4 v[38:41], v[22:23], off
	global_load_dwordx4 v[34:37], v[22:23], off offset:16
	s_waitcnt vmcnt(5)
	v_mad_i64_i32 v[22:23], s[2:3], v62, s1, 0
	v_lshlrev_b64 v[64:65], 1, v[22:23]
	v_add_co_u32_e32 v6, vcc, v77, v64
	v_addc_co_u32_e32 v7, vcc, v78, v65, vcc
	global_load_dwordx4 v[30:33], v[6:7], off
	global_load_dwordx4 v[26:29], v[6:7], off offset:16
	v_mfma_f32_16x16x16f16 v[6:9], v[8:9], v[20:21], v[14:17]
	v_mfma_f32_16x16x16f16 v[6:9], v[2:3], v[10:11], v[6:9]
	v_or_b32_e32 v2, 0x1000, v76
	s_waitcnt vmcnt(6)
	s_nop 3
	v_mad_i64_i32 v[14:15], s[2:3], v63, s1, 0
	v_mfma_f32_16x16x16f16 v[10:13], v[4:5], v[12:13], v[6:9]
	v_lshlrev_b64 v[62:63], 1, v[14:15]
	v_add_co_u32_e32 v14, vcc, v77, v62
	v_addc_co_u32_e32 v15, vcc, v78, v63, vcc
	v_add_co_u32_e32 v89, vcc, v74, v2
	v_mfma_f32_16x16x16f16 v[80:83], v[50:51], v[54:55], v[10:13]
	v_addc_co_u32_e32 v86, vcc, 0, v75, vcc
	v_pk_mul_f32 v[74:75], s[0:1], v[68:69] op_sel_hi:[0,1]
	v_pk_mul_f32 v[76:77], s[0:1], v[66:67] op_sel_hi:[0,1]
	;; [unrolled: 1-line block ×3, first 2 shown]
	v_add_co_u32_e32 v2, vcc, v89, v70
	v_mfma_f32_16x16x16f16 v[50:53], v[52:53], v[56:57], v[80:83]
	v_addc_co_u32_e32 v3, vcc, v86, v71, vcc
	v_add_co_u32_e32 v70, vcc, v89, v72
	v_addc_co_u32_e32 v71, vcc, v86, v73, vcc
	global_load_dwordx4 v[22:25], v[14:15], off
	global_load_dwordx4 v[18:21], v[14:15], off offset:16
	s_nop 5
	v_pk_mul_f32 v[68:69], s[0:1], v[50:51] op_sel_hi:[0,1]
	v_and_b32_e32 v50, 0xc0, v0
	v_add_u32_e32 v50, s16, v50
	v_lshl_or_b32 v50, v1, 2, v50
	v_or_b32_e32 v51, 1, v50
	v_pk_mul_f32 v[66:67], s[0:1], v[52:53] op_sel_hi:[0,1]
	v_subrev_u32_e32 v52, s29, v51
	v_add_u32_e32 v54, 1, v52
	v_add_u32_e32 v55, 2, v52
	v_cvt_f32_i32_e32 v53, v52
	v_cvt_f32_i32_e32 v54, v54
	;; [unrolled: 1-line block ×3, first 2 shown]
	v_add_u32_e32 v56, 3, v52
	v_fma_f32 v58, v87, v53, v58
	v_fmac_f32_e32 v59, v87, v54
	v_fma_f32 v78, v87, v55, v78
	v_add_u32_e32 v53, 16, v52
	v_add_u32_e32 v54, 17, v52
	;; [unrolled: 1-line block ×3, first 2 shown]
	v_cvt_f32_i32_e32 v56, v56
	v_cvt_f32_i32_e32 v53, v53
	;; [unrolled: 1-line block ×4, first 2 shown]
	v_fmac_f32_e32 v79, v87, v56
	v_add_u32_e32 v56, 19, v52
	v_fma_f32 v76, v87, v53, v76
	v_fmac_f32_e32 v77, v87, v54
	v_fma_f32 v74, v87, v55, v74
	v_add_u32_e32 v53, 32, v52
	v_add_u32_e32 v54, 33, v52
	;; [unrolled: 1-line block ×3, first 2 shown]
	v_cvt_f32_i32_e32 v56, v56
	v_cvt_f32_i32_e32 v53, v53
	;; [unrolled: 1-line block ×4, first 2 shown]
	global_load_dwordx4 v[6:9], v[2:3], off
	s_nop 0
	global_load_dwordx4 v[2:5], v[2:3], off offset:16
	s_nop 0
	global_load_dwordx4 v[14:17], v[70:71], off
	global_load_dwordx4 v[10:13], v[70:71], off offset:16
	v_pk_mul_f32 v[70:71], s[0:1], v[92:93] op_sel_hi:[0,1]
	v_pk_mul_f32 v[72:73], s[0:1], v[90:91] op_sel_hi:[0,1]
	v_fmac_f32_e32 v75, v87, v56
	v_add_u32_e32 v56, 35, v52
	v_fma_f32 v72, v87, v53, v72
	v_fmac_f32_e32 v73, v87, v54
	v_fma_f32 v70, v87, v55, v70
	v_add_u32_e32 v53, 48, v52
	v_add_u32_e32 v54, 49, v52
	;; [unrolled: 1-line block ×4, first 2 shown]
	v_cvt_f32_i32_e32 v52, v52
	v_cvt_f32_i32_e32 v53, v53
	;; [unrolled: 1-line block ×3, first 2 shown]
	v_cmp_gt_i32_e64 s[30:31], s29, v50
	v_fmac_f32_e32 v67, v87, v52
	v_mov_b32_e32 v52, 0xff7fffff
	v_cmp_gt_i32_e64 s[34:35], s29, v51
	v_fma_f32 v68, v87, v53, v68
	v_cndmask_b32_e64 v53, v52, v58, s[30:31]
	v_cndmask_b32_e64 v51, v52, v59, s[34:35]
	v_fmac_f32_e32 v69, v87, v54
	v_max3_f32 v51, v53, s9, v51
	v_or_b32_e32 v53, 2, v50
	v_or_b32_e32 v54, 3, v50
	v_cmp_gt_i32_e64 s[36:37], s29, v53
	v_cmp_gt_i32_e64 s[38:39], s29, v54
	v_cndmask_b32_e64 v53, v52, v78, s[36:37]
	v_cndmask_b32_e64 v54, v52, v79, s[38:39]
	v_max3_f32 v51, v51, v53, v54
	v_or_b32_e32 v53, 16, v50
	v_or_b32_e32 v54, 17, v50
	v_cmp_gt_i32_e64 s[24:25], s29, v53
	v_cmp_gt_i32_e64 s[26:27], s29, v54
	v_cndmask_b32_e64 v53, v52, v76, s[24:25]
	v_cndmask_b32_e64 v54, v52, v77, s[26:27]
	;; [unrolled: 7-line block ×3, first 2 shown]
	v_cvt_f32_i32_e32 v56, v56
	v_max3_f32 v51, v51, v53, v54
	v_or_b32_e32 v53, 32, v50
	v_or_b32_e32 v54, 33, v50
	v_cmp_gt_i32_e64 s[16:17], s29, v53
	v_cmp_gt_i32_e64 s[18:19], s29, v54
	v_cndmask_b32_e64 v53, v52, v72, s[16:17]
	v_cndmask_b32_e64 v54, v52, v73, s[18:19]
	v_max3_f32 v51, v51, v53, v54
	v_or_b32_e32 v53, 34, v50
	v_or_b32_e32 v54, 35, v50
	v_fmac_f32_e32 v71, v87, v56
	v_cmp_gt_i32_e64 s[12:13], s29, v53
	v_cmp_gt_i32_e64 s[14:15], s29, v54
	v_cndmask_b32_e64 v53, v52, v70, s[12:13]
	v_cndmask_b32_e64 v54, v52, v71, s[14:15]
	v_cvt_f32_i32_e32 v55, v55
	v_max3_f32 v51, v51, v53, v54
	v_or_b32_e32 v53, 48, v50
	v_or_b32_e32 v54, 49, v50
	v_cmp_gt_i32_e64 s[2:3], s29, v53
	v_cmp_gt_i32_e64 s[10:11], s29, v54
	v_cndmask_b32_e64 v53, v52, v68, s[2:3]
	v_cndmask_b32_e64 v54, v52, v69, s[10:11]
	v_max3_f32 v51, v51, v53, v54
	v_or_b32_e32 v53, 50, v50
	v_or_b32_e32 v50, 51, v50
	v_fma_f32 v66, v87, v55, v66
	v_cmp_gt_i32_e32 vcc, s29, v53
	v_cmp_gt_i32_e64 s[0:1], s29, v50
	v_cndmask_b32_e32 v53, v52, v66, vcc
	v_cndmask_b32_e64 v50, v52, v67, s[0:1]
	v_max3_f32 v60, v51, v53, v50
	v_mbcnt_lo_u32_b32 v50, -1, 0
	v_mbcnt_hi_u32_b32 v61, -1, v50
	v_and_b32_e32 v50, 64, v61
	v_add_u32_e32 v80, 64, v50
	v_xor_b32_e32 v50, 32, v61
	v_cmp_lt_i32_e64 s[40:41], v50, v80
	v_cndmask_b32_e64 v50, v61, v50, s[40:41]
	v_lshlrev_b32_e32 v82, 2, v50
	ds_bpermute_b32 v81, v82, v60
	v_add_co_u32_e64 v50, s[40:41], v89, v64
	v_addc_co_u32_e64 v51, s[40:41], v86, v65, s[40:41]
	s_waitcnt lgkmcnt(0)
	v_max_f32_e32 v64, v81, v81
	v_max_f32_e32 v64, v60, v64
	v_xor_b32_e32 v60, 16, v61
	v_cmp_lt_i32_e64 s[40:41], v60, v80
	v_cndmask_b32_e64 v60, v61, v60, s[40:41]
	v_lshlrev_b32_e32 v83, 2, v60
	ds_bpermute_b32 v65, v83, v64
	v_add_co_u32_e64 v60, s[40:41], v89, v62
	v_addc_co_u32_e64 v61, s[40:41], v86, v63, s[40:41]
	s_waitcnt lgkmcnt(0)
	v_max_f32_e32 v62, v65, v65
	v_max_f32_e32 v87, v64, v62
	v_sub_f32_e32 v58, v58, v87
	v_mul_f32_e32 v58, 0x3fb8aa3b, v58
	v_exp_f32_e32 v80, v58
	v_sub_f32_e32 v58, v59, v87
	v_mul_f32_e32 v58, 0x3fb8aa3b, v58
	global_load_dwordx4 v[54:57], v[50:51], off
	s_nop 0
	global_load_dwordx4 v[50:53], v[50:51], off offset:16
	v_exp_f32_e32 v81, v58
	global_load_dwordx4 v[62:65], v[60:61], off
	s_nop 0
	global_load_dwordx4 v[58:61], v[60:61], off offset:16
	v_sub_f32_e32 v78, v78, v87
	v_mul_f32_e32 v78, 0x3fb8aa3b, v78
	v_sub_f32_e32 v79, v79, v87
	v_exp_f32_e32 v78, v78
	v_mul_f32_e32 v79, 0x3fb8aa3b, v79
	v_sub_f32_e32 v76, v76, v87
	v_exp_f32_e32 v79, v79
	v_mul_f32_e32 v76, 0x3fb8aa3b, v76
	v_sub_f32_e32 v77, v77, v87
	v_cndmask_b32_e64 v80, 0, v80, s[30:31]
	v_exp_f32_e32 v76, v76
	v_mul_f32_e32 v77, 0x3fb8aa3b, v77
	v_sub_f32_e32 v74, v74, v87
	v_add_f32_e32 v86, 0, v80
	v_cndmask_b32_e64 v81, 0, v81, s[34:35]
	v_exp_f32_e32 v77, v77
	v_mul_f32_e32 v74, 0x3fb8aa3b, v74
	v_sub_f32_e32 v75, v75, v87
	v_add_f32_e32 v86, v86, v81
	;; [unrolled: 5-line block ×10, first 2 shown]
	v_cndmask_b32_e64 v70, 0, v70, s[12:13]
	v_exp_f32_e32 v66, v66
	v_mul_f32_e32 v67, 0x3fb8aa3b, v67
	v_add_f32_e32 v86, v86, v70
	v_cndmask_b32_e64 v71, 0, v71, s[14:15]
	v_exp_f32_e32 v67, v67
	v_add_f32_e32 v86, v86, v71
	v_cndmask_b32_e64 v68, 0, v68, s[2:3]
	v_add_f32_e32 v86, v86, v68
	v_cndmask_b32_e64 v69, 0, v69, s[10:11]
	v_add_f32_e32 v86, v86, v69
	v_cndmask_b32_e32 v66, 0, v66, vcc
	v_add_f32_e32 v86, v86, v66
	v_cndmask_b32_e64 v67, 0, v67, s[0:1]
	v_add_f32_e32 v86, v86, v67
	ds_bpermute_b32 v82, v82, v86
	v_cmp_lt_u32_e64 s[0:1], 15, v94
	v_cmp_gt_u32_e32 vcc, 16, v94
	s_waitcnt lgkmcnt(0)
	s_barrier
	v_add_f32_e32 v89, v86, v82
	ds_bpermute_b32 v90, v83, v89
	s_waitcnt lgkmcnt(0)
	s_and_saveexec_b64 s[2:3], vcc
	s_cbranch_execz .LBB168_17
; %bb.16:
	v_add_f32_e32 v82, v89, v90
	v_lshlrev_b32_e32 v83, 2, v88
	ds_write2st64_b32 v83, v87, v82 offset1:1
.LBB168_17:
	s_or_b64 exec, exec, s[2:3]
	v_lshlrev_b32_e32 v87, 2, v84
	s_load_dwordx2 s[2:3], s[4:5], 0x94
	s_waitcnt lgkmcnt(0)
	s_barrier
	ds_read2_b32 v[82:83], v87 offset1:16
	ds_read2_b32 v[88:89], v87 offset0:32 offset1:48
	ds_read2_b32 v[90:91], v87 offset0:64 offset1:80
	s_waitcnt lgkmcnt(2)
	v_max3_f32 v86, v82, s9, v83
	s_waitcnt lgkmcnt(1)
	v_max3_f32 v86, v86, v88, v89
	v_sub_f32_e32 v82, v82, v86
	v_mul_f32_e32 v82, 0x3fb8aa3b, v82
	v_exp_f32_e32 v92, v82
	v_sub_f32_e32 v82, v83, v86
	v_mul_f32_e32 v82, 0x3fb8aa3b, v82
	v_exp_f32_e32 v93, v82
	;; [unrolled: 3-line block ×3, first 2 shown]
	ds_read2_b32 v[82:83], v87 offset0:96 offset1:112
	v_sub_f32_e32 v87, v89, v86
	v_mul_f32_e32 v87, 0x3fb8aa3b, v87
	v_exp_f32_e32 v89, v87
	s_waitcnt lgkmcnt(1)
	v_fma_f32 v87, v92, v90, 0
	v_fmac_f32_e32 v87, v93, v91
	s_waitcnt lgkmcnt(0)
	v_fmac_f32_e32 v87, v94, v82
	v_fmac_f32_e32 v87, v89, v83
	v_add_f32_e32 v82, 0x358637bd, v87
	v_div_scale_f32 v83, s[10:11], v82, v82, 1.0
	v_rcp_f32_e32 v90, v83
	v_mov_b32_e32 v88, 0
	s_barrier
	v_fma_f32 v91, -v83, v90, 1.0
	v_fmac_f32_e32 v90, v91, v90
	v_div_scale_f32 v91, vcc, 1.0, v82, 1.0
	v_mul_f32_e32 v95, v91, v90
	v_fma_f32 v1, -v83, v95, v91
	v_fmac_f32_e32 v95, v1, v90
	v_fma_f32 v1, -v83, v95, v91
	v_div_fmas_f32 v1, v1, v90, v95
	v_cmp_eq_u32_e32 vcc, 1, v85
	v_div_fixup_f32 v1, v1, v82, 1.0
	v_cndmask_b32_e32 v82, v92, v93, vcc
	v_cmp_eq_u32_e32 vcc, 2, v85
	v_cndmask_b32_e32 v82, v82, v94, vcc
	v_cmp_eq_u32_e32 vcc, 3, v85
	v_cndmask_b32_e32 v82, v82, v89, vcc
	v_mul_f32_e32 v82, v82, v1
	v_pk_mul_f32 v[78:79], v[82:83], v[78:79] op_sel_hi:[0,1]
	v_cvt_f16_f32_e32 v78, v78
	v_cvt_f16_f32_e32 v79, v79
	v_pk_mul_f32 v[80:81], v[82:83], v[80:81] op_sel_hi:[0,1]
	v_bfe_u32 v83, v0, 4, 2
	v_cvt_f16_f32_e32 v1, v80
	v_cvt_f16_f32_e32 v80, v81
	v_pk_mul_f32 v[74:75], v[82:83], v[74:75] op_sel_hi:[0,1]
	v_pk_mul_f32 v[76:77], v[82:83], v[76:77] op_sel_hi:[0,1]
	v_pack_b32_f16 v81, v78, v79
	v_cvt_f16_f32_e32 v76, v76
	v_cvt_f16_f32_e32 v77, v77
	;; [unrolled: 1-line block ×4, first 2 shown]
	v_pack_b32_f16 v80, v1, v80
	v_lshlrev_b32_e32 v1, 3, v83
	v_lshlrev_b32_e32 v78, 5, v84
	;; [unrolled: 1-line block ×3, first 2 shown]
	v_pk_mul_f32 v[70:71], v[82:83], v[70:71] op_sel_hi:[0,1]
	v_pk_mul_f32 v[72:73], v[82:83], v[72:73] op_sel_hi:[0,1]
	;; [unrolled: 1-line block ×4, first 2 shown]
	v_or3_b32 v74, v74, v78, v1
	v_pack_b32_f16 v76, v76, v77
	v_pack_b32_f16 v77, v79, v75
	v_cvt_f16_f32_e32 v1, v72
	v_cvt_f16_f32_e32 v72, v73
	;; [unrolled: 1-line block ×8, first 2 shown]
	v_pack_b32_f16 v66, v1, v72
	v_pack_b32_f16 v67, v70, v71
	;; [unrolled: 1-line block ×4, first 2 shown]
	v_cmp_eq_u32_e32 vcc, 0, v0
	ds_write2st64_b64 v74, v[80:81], v[76:77] offset1:1
	ds_write2st64_b64 v74, v[66:67], v[68:69] offset0:2 offset1:3
	s_and_saveexec_b64 s[10:11], vcc
	s_cbranch_execz .LBB168_19
; %bb.18:
	s_mul_i32 s7, s7, s3
	s_mul_hi_u32 s9, s6, s3
	s_add_i32 s9, s9, s7
	s_mul_i32 s7, s6, s3
	s_add_u32 s7, s7, s8
	s_addc_u32 s9, s9, 0
	s_load_dwordx4 s[12:15], s[4:5], 0x58
	s_mul_i32 s9, s9, s2
	s_mul_hi_u32 s16, s7, s2
	s_add_i32 s9, s16, s9
	s_mul_i32 s7, s7, s2
	s_add_u32 s16, s7, s28
	s_addc_u32 s17, s9, 0
	s_lshl_b64 s[16:17], s[16:17], 2
	s_waitcnt lgkmcnt(0)
	s_add_u32 s14, s14, s16
	s_addc_u32 s15, s15, s17
	s_add_u32 s12, s12, s16
	s_addc_u32 s13, s13, s17
	global_store_dword v88, v86, s[14:15]
	global_store_dword v88, v87, s[12:13]
.LBB168_19:
	s_or_b64 exec, exec, s[10:11]
	v_lshl_or_b32 v1, v83, 9, v78
	s_waitcnt lgkmcnt(0)
	s_barrier
	ds_read_b128 v[70:73], v1
	ds_read_b128 v[66:69], v1 offset:16
	s_waitcnt vmcnt(15) lgkmcnt(1)
	v_mfma_f32_16x16x16f16 v[76:79], v[46:47], v[70:71], 0
	v_cmp_gt_u32_e32 vcc, 64, v0
	s_xor_b64 s[0:1], s[0:1], -1
	s_mov_b32 s7, 0
	s_and_b64 s[0:1], vcc, s[0:1]
	v_mfma_f32_16x16x16f16 v[46:49], v[48:49], v[72:73], v[76:79]
	s_waitcnt vmcnt(14) lgkmcnt(0)
	v_mfma_f32_16x16x16f16 v[46:49], v[42:43], v[66:67], v[46:49]
	v_mfma_f32_16x16x16f16 v[42:45], v[44:45], v[68:69], v[46:49]
	s_nop 7
	s_nop 1
	ds_read_b128 v[46:49], v1 offset:2048
	ds_read_b128 v[76:79], v1 offset:2064
	s_waitcnt vmcnt(13) lgkmcnt(1)
	v_mfma_f32_16x16x16f16 v[42:45], v[38:39], v[46:47], v[42:45]
	v_mfma_f32_16x16x16f16 v[38:41], v[40:41], v[48:49], v[42:45]
	s_waitcnt vmcnt(12) lgkmcnt(0)
	v_mfma_f32_16x16x16f16 v[38:41], v[34:35], v[76:77], v[38:41]
	v_mfma_f32_16x16x16f16 v[34:37], v[36:37], v[78:79], v[38:41]
	s_nop 7
	s_nop 1
	ds_read_b128 v[38:41], v1 offset:4096
	ds_read_b128 v[42:45], v1 offset:4112
	s_waitcnt vmcnt(11) lgkmcnt(1)
	v_mfma_f32_16x16x16f16 v[34:37], v[30:31], v[38:39], v[34:37]
	v_mfma_f32_16x16x16f16 v[30:33], v[32:33], v[40:41], v[34:37]
	s_waitcnt vmcnt(10) lgkmcnt(0)
	v_mfma_f32_16x16x16f16 v[30:33], v[26:27], v[42:43], v[30:33]
	v_mfma_f32_16x16x16f16 v[26:29], v[28:29], v[44:45], v[30:33]
	s_nop 7
	s_nop 1
	ds_read_b128 v[30:33], v1 offset:6144
	ds_read_b128 v[34:37], v1 offset:6160
	s_waitcnt lgkmcnt(0)
	s_barrier
	s_waitcnt vmcnt(9)
	v_mfma_f32_16x16x16f16 v[26:29], v[22:23], v[30:31], v[26:29]
	v_mfma_f32_16x16x16f16 v[22:25], v[24:25], v[32:33], v[26:29]
	s_waitcnt vmcnt(8)
	v_mfma_f32_16x16x16f16 v[22:25], v[18:19], v[34:35], v[22:25]
	v_mfma_f32_16x16x16f16 v[18:21], v[20:21], v[36:37], v[22:25]
	s_waitcnt vmcnt(7)
	v_mfma_f32_16x16x16f16 v[22:25], v[6:7], v[70:71], 0
	s_nop 7
	s_nop 0
	v_cvt_f16_f32_e32 v1, v18
	v_mfma_f32_16x16x16f16 v[6:9], v[8:9], v[72:73], v[22:25]
	s_waitcnt vmcnt(6)
	v_mfma_f32_16x16x16f16 v[6:9], v[2:3], v[66:67], v[6:9]
	v_mfma_f32_16x16x16f16 v[2:5], v[4:5], v[68:69], v[6:9]
	s_waitcnt vmcnt(5)
	v_mfma_f32_16x16x16f16 v[2:5], v[14:15], v[46:47], v[2:5]
	s_nop 7
	v_cvt_f16_f32_e32 v6, v19
	v_cvt_f16_f32_e32 v7, v20
	;; [unrolled: 1-line block ×3, first 2 shown]
	v_mfma_f32_16x16x16f16 v[2:5], v[16:17], v[48:49], v[2:5]
	s_waitcnt vmcnt(4)
	v_mfma_f32_16x16x16f16 v[2:5], v[10:11], v[76:77], v[2:5]
	v_mfma_f32_16x16x16f16 v[2:5], v[12:13], v[78:79], v[2:5]
	s_waitcnt vmcnt(3)
	v_mfma_f32_16x16x16f16 v[2:5], v[54:55], v[38:39], v[2:5]
	;; [unrolled: 3-line block ×5, first 2 shown]
	v_mfma_f32_16x16x16f16 v[2:5], v[60:61], v[36:37], v[2:5]
	s_nop 7
	s_nop 2
	v_cvt_f16_f32_e32 v9, v2
	v_cvt_f16_f32_e32 v10, v3
	;; [unrolled: 1-line block ×4, first 2 shown]
	v_pack_b32_f16 v2, v1, v6
	v_pack_b32_f16 v3, v7, v8
	;; [unrolled: 1-line block ×4, first 2 shown]
	ds_write2st64_b64 v74, v[2:3], v[4:5] offset1:1
	s_waitcnt lgkmcnt(0)
	s_barrier
	s_and_saveexec_b64 s[10:11], s[0:1]
	s_cbranch_execz .LBB168_21
; %bb.20:
	v_lshlrev_b32_e32 v3, 6, v84
	v_lshlrev_b32_e32 v2, 4, v0
	v_lshl_or_b32 v0, v0, 10, v3
	v_lshlrev_b32_e32 v1, 5, v83
	v_and_b32_e32 v2, 16, v2
	v_and_b32_e32 v0, 0x1a00, v0
	v_or3_b32 v0, v0, v1, v2
	ds_read_b128 v[0:3], v0
	buffer_load_dword v6, off, s[44:47], 0  ; 4-byte Folded Reload
	buffer_load_dword v7, off, s[44:47], 0 offset:4 ; 4-byte Folded Reload
	s_load_dwordx2 s[0:1], s[4:5], 0x68
	s_mul_i32 s4, s3, s6
	s_lshl_b32 s5, s2, 7
	s_mul_hi_u32 s3, s4, s5
	s_mul_i32 s2, s4, s5
	s_lshl_b64 s[2:3], s[2:3], 1
	s_waitcnt lgkmcnt(0)
	s_add_u32 s2, s0, s2
	s_addc_u32 s3, s1, s3
	s_lshl_b32 s6, s28, 7
	s_lshl_b64 s[0:1], s[6:7], 1
	s_add_u32 s2, s2, s0
	s_addc_u32 s3, s3, s1
	s_mul_hi_u32 s1, s5, s8
	s_mul_i32 s0, s5, s8
	s_lshl_b64 s[0:1], s[0:1], 1
	s_add_u32 s0, s2, s0
	s_addc_u32 s1, s3, s1
	v_mov_b32_e32 v5, s1
	s_waitcnt vmcnt(1)
	v_add_co_u32_e32 v4, vcc, s0, v6
	s_waitcnt vmcnt(0)
	v_addc_co_u32_e32 v5, vcc, v5, v7, vcc
	global_store_dwordx4 v[4:5], v[0:3], off
.LBB168_21:
	s_endpgm
	.section	.rodata,"a",@progbits
	.p2align	6, 0x0
	.amdhsa_kernel _Z39paged_attention_ll4mi_QKV_mfma16_kernelIDF16_DF16_LN4vllm18Fp8KVCacheDataTypeE0EDF16_Li32ELi128ELi256ELb1ELi1EL8MFMAType0EEvPKT_PKT0_S8_ifPKiSA_SA_iPKfiiiPfSD_PS3_PT2_iSC_SC_
		.amdhsa_group_segment_fixed_size 8192
		.amdhsa_private_segment_fixed_size 12
		.amdhsa_kernarg_size 400
		.amdhsa_user_sgpr_count 6
		.amdhsa_user_sgpr_private_segment_buffer 1
		.amdhsa_user_sgpr_dispatch_ptr 0
		.amdhsa_user_sgpr_queue_ptr 0
		.amdhsa_user_sgpr_kernarg_segment_ptr 1
		.amdhsa_user_sgpr_dispatch_id 0
		.amdhsa_user_sgpr_flat_scratch_init 0
		.amdhsa_user_sgpr_kernarg_preload_length 0
		.amdhsa_user_sgpr_kernarg_preload_offset 0
		.amdhsa_user_sgpr_private_segment_size 0
		.amdhsa_uses_dynamic_stack 0
		.amdhsa_system_sgpr_private_segment_wavefront_offset 1
		.amdhsa_system_sgpr_workgroup_id_x 1
		.amdhsa_system_sgpr_workgroup_id_y 1
		.amdhsa_system_sgpr_workgroup_id_z 1
		.amdhsa_system_sgpr_workgroup_info 0
		.amdhsa_system_vgpr_workitem_id 0
		.amdhsa_next_free_vgpr 96
		.amdhsa_next_free_sgpr 48
		.amdhsa_accum_offset 96
		.amdhsa_reserve_vcc 1
		.amdhsa_reserve_flat_scratch 0
		.amdhsa_float_round_mode_32 0
		.amdhsa_float_round_mode_16_64 0
		.amdhsa_float_denorm_mode_32 3
		.amdhsa_float_denorm_mode_16_64 3
		.amdhsa_dx10_clamp 1
		.amdhsa_ieee_mode 1
		.amdhsa_fp16_overflow 0
		.amdhsa_tg_split 0
		.amdhsa_exception_fp_ieee_invalid_op 0
		.amdhsa_exception_fp_denorm_src 0
		.amdhsa_exception_fp_ieee_div_zero 0
		.amdhsa_exception_fp_ieee_overflow 0
		.amdhsa_exception_fp_ieee_underflow 0
		.amdhsa_exception_fp_ieee_inexact 0
		.amdhsa_exception_int_div_zero 0
	.end_amdhsa_kernel
	.section	.text._Z39paged_attention_ll4mi_QKV_mfma16_kernelIDF16_DF16_LN4vllm18Fp8KVCacheDataTypeE0EDF16_Li32ELi128ELi256ELb1ELi1EL8MFMAType0EEvPKT_PKT0_S8_ifPKiSA_SA_iPKfiiiPfSD_PS3_PT2_iSC_SC_,"axG",@progbits,_Z39paged_attention_ll4mi_QKV_mfma16_kernelIDF16_DF16_LN4vllm18Fp8KVCacheDataTypeE0EDF16_Li32ELi128ELi256ELb1ELi1EL8MFMAType0EEvPKT_PKT0_S8_ifPKiSA_SA_iPKfiiiPfSD_PS3_PT2_iSC_SC_,comdat
.Lfunc_end168:
	.size	_Z39paged_attention_ll4mi_QKV_mfma16_kernelIDF16_DF16_LN4vllm18Fp8KVCacheDataTypeE0EDF16_Li32ELi128ELi256ELb1ELi1EL8MFMAType0EEvPKT_PKT0_S8_ifPKiSA_SA_iPKfiiiPfSD_PS3_PT2_iSC_SC_, .Lfunc_end168-_Z39paged_attention_ll4mi_QKV_mfma16_kernelIDF16_DF16_LN4vllm18Fp8KVCacheDataTypeE0EDF16_Li32ELi128ELi256ELb1ELi1EL8MFMAType0EEvPKT_PKT0_S8_ifPKiSA_SA_iPKfiiiPfSD_PS3_PT2_iSC_SC_
                                        ; -- End function
	.section	.AMDGPU.csdata,"",@progbits
; Kernel info:
; codeLenInByte = 4940
; NumSgprs: 52
; NumVgprs: 96
; NumAgprs: 0
; TotalNumVgprs: 96
; ScratchSize: 12
; MemoryBound: 0
; FloatMode: 240
; IeeeMode: 1
; LDSByteSize: 8192 bytes/workgroup (compile time only)
; SGPRBlocks: 6
; VGPRBlocks: 11
; NumSGPRsForWavesPerEU: 52
; NumVGPRsForWavesPerEU: 96
; AccumOffset: 96
; Occupancy: 5
; WaveLimiterHint : 1
; COMPUTE_PGM_RSRC2:SCRATCH_EN: 1
; COMPUTE_PGM_RSRC2:USER_SGPR: 6
; COMPUTE_PGM_RSRC2:TRAP_HANDLER: 0
; COMPUTE_PGM_RSRC2:TGID_X_EN: 1
; COMPUTE_PGM_RSRC2:TGID_Y_EN: 1
; COMPUTE_PGM_RSRC2:TGID_Z_EN: 1
; COMPUTE_PGM_RSRC2:TIDIG_COMP_CNT: 0
; COMPUTE_PGM_RSRC3_GFX90A:ACCUM_OFFSET: 23
; COMPUTE_PGM_RSRC3_GFX90A:TG_SPLIT: 0
	.section	.text._Z39paged_attention_ll4mi_QKV_mfma16_kernelIDF16_DF16_LN4vllm18Fp8KVCacheDataTypeE0EDF16_Li32ELi128ELi256ELb1ELi2EL8MFMAType0EEvPKT_PKT0_S8_ifPKiSA_SA_iPKfiiiPfSD_PS3_PT2_iSC_SC_,"axG",@progbits,_Z39paged_attention_ll4mi_QKV_mfma16_kernelIDF16_DF16_LN4vllm18Fp8KVCacheDataTypeE0EDF16_Li32ELi128ELi256ELb1ELi2EL8MFMAType0EEvPKT_PKT0_S8_ifPKiSA_SA_iPKfiiiPfSD_PS3_PT2_iSC_SC_,comdat
	.protected	_Z39paged_attention_ll4mi_QKV_mfma16_kernelIDF16_DF16_LN4vllm18Fp8KVCacheDataTypeE0EDF16_Li32ELi128ELi256ELb1ELi2EL8MFMAType0EEvPKT_PKT0_S8_ifPKiSA_SA_iPKfiiiPfSD_PS3_PT2_iSC_SC_ ; -- Begin function _Z39paged_attention_ll4mi_QKV_mfma16_kernelIDF16_DF16_LN4vllm18Fp8KVCacheDataTypeE0EDF16_Li32ELi128ELi256ELb1ELi2EL8MFMAType0EEvPKT_PKT0_S8_ifPKiSA_SA_iPKfiiiPfSD_PS3_PT2_iSC_SC_
	.globl	_Z39paged_attention_ll4mi_QKV_mfma16_kernelIDF16_DF16_LN4vllm18Fp8KVCacheDataTypeE0EDF16_Li32ELi128ELi256ELb1ELi2EL8MFMAType0EEvPKT_PKT0_S8_ifPKiSA_SA_iPKfiiiPfSD_PS3_PT2_iSC_SC_
	.p2align	8
	.type	_Z39paged_attention_ll4mi_QKV_mfma16_kernelIDF16_DF16_LN4vllm18Fp8KVCacheDataTypeE0EDF16_Li32ELi128ELi256ELb1ELi2EL8MFMAType0EEvPKT_PKT0_S8_ifPKiSA_SA_iPKfiiiPfSD_PS3_PT2_iSC_SC_,@function
_Z39paged_attention_ll4mi_QKV_mfma16_kernelIDF16_DF16_LN4vllm18Fp8KVCacheDataTypeE0EDF16_Li32ELi128ELi256ELb1ELi2EL8MFMAType0EEvPKT_PKT0_S8_ifPKiSA_SA_iPKfiiiPfSD_PS3_PT2_iSC_SC_: ; @_Z39paged_attention_ll4mi_QKV_mfma16_kernelIDF16_DF16_LN4vllm18Fp8KVCacheDataTypeE0EDF16_Li32ELi128ELi256ELb1ELi2EL8MFMAType0EEvPKT_PKT0_S8_ifPKiSA_SA_iPKfiiiPfSD_PS3_PT2_iSC_SC_
; %bb.0:
	s_mov_b64 s[46:47], s[2:3]
	s_mov_b64 s[44:45], s[0:1]
	s_load_dwordx2 s[0:1], s[4:5], 0x30
	s_add_u32 s44, s44, s9
	s_addc_u32 s45, s45, 0
	s_mov_b32 s26, s7
	s_mov_b64 s[10:11], 0
	s_waitcnt lgkmcnt(0)
	s_cmp_lg_u64 s[0:1], 0
	s_cselect_b64 s[2:3], -1, 0
	s_and_b64 vcc, exec, s[2:3]
	s_cbranch_vccz .LBB169_7
; %bb.1:
	s_add_i32 s12, s6, 1
	s_mov_b32 s13, 0
	s_lshl_b64 s[14:15], s[12:13], 2
	s_add_u32 s14, s0, s14
	s_mov_b32 s7, s13
	s_addc_u32 s15, s1, s15
	s_lshl_b64 s[12:13], s[6:7], 2
	s_add_u32 s12, s0, s12
	s_addc_u32 s13, s1, s13
	s_load_dword s9, s[14:15], 0x0
	s_load_dword s16, s[12:13], 0x0
	s_waitcnt lgkmcnt(0)
	s_sub_i32 s9, s9, s16
	s_cmp_eq_u32 s9, 1
	s_cselect_b64 s[12:13], -1, 0
	s_andn2_b64 vcc, exec, s[10:11]
	s_cbranch_vccnz .LBB169_3
.LBB169_2:
	s_mov_b32 s7, 0
	s_mov_b64 s[12:13], -1
.LBB169_3:
	s_andn2_b64 vcc, exec, s[12:13]
	s_cbranch_vccnz .LBB169_21
; %bb.4:
	s_load_dwordx2 s[12:13], s[4:5], 0x28
	s_lshl_b64 s[10:11], s[6:7], 2
	s_waitcnt lgkmcnt(0)
	s_add_u32 s12, s12, s10
	s_addc_u32 s13, s13, s11
	s_load_dword s33, s[12:13], 0x0
	s_lshl_b32 s16, s26, 8
	s_waitcnt lgkmcnt(0)
	s_cmp_ge_i32 s16, s33
	s_cbranch_scc1 .LBB169_21
; %bb.5:
	s_add_i32 s14, s33, 31
	s_load_dwordx2 s[12:13], s[4:5], 0x20
	s_load_dword s9, s[4:5], 0x38
	s_ashr_i32 s15, s14, 31
	v_and_b32_e32 v1, 0xcf, v0
	s_lshr_b32 s15, s15, 27
	v_add_u32_e32 v1, s16, v1
	s_add_i32 s14, s14, s15
	v_ashrrev_i32_e32 v2, 31, v1
	s_ashr_i32 s19, s14, 5
	v_lshrrev_b32_e32 v6, 27, v2
	s_add_i32 s19, s19, -1
	v_add_u32_e32 v2, v1, v6
	s_waitcnt lgkmcnt(0)
	s_mul_i32 s14, s6, s9
	s_mov_b32 s15, 0
	v_ashrrev_i32_e32 v2, 5, v2
	v_mov_b32_e32 v7, s19
	v_cmp_gt_i32_e32 vcc, s33, v1
	s_lshl_b64 s[14:15], s[14:15], 2
	v_cndmask_b32_e32 v2, v7, v2, vcc
	s_add_u32 s17, s12, s14
	v_ashrrev_i32_e32 v3, 31, v2
	s_addc_u32 s18, s13, s15
	v_lshlrev_b64 v[2:3], 2, v[2:3]
	v_mov_b32_e32 v4, s18
	v_add_co_u32_e32 v2, vcc, s17, v2
	v_addc_co_u32_e32 v3, vcc, v4, v3, vcc
	v_or_b32_e32 v4, 16, v1
	v_add_u32_e32 v5, v4, v6
	v_ashrrev_i32_e32 v5, 5, v5
	v_cmp_gt_i32_e32 vcc, s33, v4
	v_cndmask_b32_e32 v4, v7, v5, vcc
	v_ashrrev_i32_e32 v5, 31, v4
	v_lshlrev_b64 v[4:5], 2, v[4:5]
	v_mov_b32_e32 v9, s18
	v_add_co_u32_e32 v8, vcc, s17, v4
	v_or_b32_e32 v4, 32, v1
	v_addc_co_u32_e32 v9, vcc, v9, v5, vcc
	v_add_u32_e32 v5, v4, v6
	v_ashrrev_i32_e32 v5, 5, v5
	v_cmp_gt_i32_e32 vcc, s33, v4
	v_cndmask_b32_e32 v4, v7, v5, vcc
	v_ashrrev_i32_e32 v5, 31, v4
	v_lshlrev_b64 v[4:5], 2, v[4:5]
	v_mov_b32_e32 v11, s18
	v_add_co_u32_e32 v10, vcc, s17, v4
	v_or_b32_e32 v1, 48, v1
	v_addc_co_u32_e32 v11, vcc, v11, v5, vcc
	v_add_u32_e32 v4, v1, v6
	v_ashrrev_i32_e32 v4, 5, v4
	v_cmp_gt_i32_e32 vcc, s33, v1
	v_cndmask_b32_e32 v4, v7, v4, vcc
	v_ashrrev_i32_e32 v5, 31, v4
	v_lshlrev_b64 v[4:5], 2, v[4:5]
	v_mov_b32_e32 v1, s18
	v_add_co_u32_e32 v12, vcc, s17, v4
	v_addc_co_u32_e32 v13, vcc, v1, v5, vcc
	global_load_dword v7, v[2:3], off
	global_load_dword v6, v[8:9], off
	global_load_dword v5, v[10:11], off
	global_load_dword v4, v[12:13], off
	s_andn2_b64 vcc, exec, s[2:3]
	s_cbranch_vccnz .LBB169_8
; %bb.6:
	s_add_u32 s0, s0, s10
	s_addc_u32 s1, s1, s11
	s_load_dword s9, s[0:1], 0x0
	s_branch .LBB169_9
.LBB169_7:
	s_mov_b64 s[12:13], 0
	s_branch .LBB169_2
.LBB169_8:
	s_mov_b32 s9, s6
.LBB169_9:
	s_load_dwordx2 s[12:13], s[4:5], 0x8
	s_load_dwordx4 s[0:3], s[4:5], 0x48
	v_lshrrev_b32_e32 v86, 6, v0
	v_bfe_u32 v1, v0, 4, 2
	v_lshl_or_b32 v8, v86, 2, v1
	v_and_b32_e32 v84, 15, v0
	v_lshlrev_b32_e32 v2, 3, v84
	v_cmp_lt_u32_e32 vcc, 1, v8
	s_and_saveexec_b64 s[10:11], vcc
	s_xor_b64 s[10:11], exec, s[10:11]
; %bb.10:
	v_mov_b32_e32 v3, 0
                                        ; implicit-def: $vgpr8
; %bb.11:
	s_or_saveexec_b64 s[14:15], s[10:11]
	s_load_dwordx2 s[10:11], s[4:5], 0x10
	s_lshl_b32 s27, s8, 1
	s_xor_b64 exec, exec, s[14:15]
	s_cbranch_execz .LBB169_13
; %bb.12:
	s_load_dwordx2 s[20:21], s[4:5], 0x0
	s_waitcnt lgkmcnt(0)
	s_ashr_i32 s3, s0, 31
	s_mul_hi_u32 s22, s9, s0
	s_mul_i32 s3, s9, s3
	s_add_i32 s23, s22, s3
	s_mul_i32 s22, s9, s0
	s_lshl_b64 s[22:23], s[22:23], 1
	v_add_lshl_u32 v10, v1, s27, 7
	s_add_u32 s0, s20, s22
	v_ashrrev_i32_e32 v11, 31, v10
	s_addc_u32 s3, s21, s23
	v_lshlrev_b64 v[10:11], 1, v[10:11]
	v_mov_b32_e32 v3, s3
	v_add_co_u32_e32 v9, vcc, s0, v10
	v_addc_co_u32_e32 v3, vcc, v3, v11, vcc
	v_lshlrev_b32_e32 v10, 1, v2
	v_add_co_u32_e32 v10, vcc, v9, v10
	v_addc_co_u32_e32 v11, vcc, 0, v3, vcc
	global_load_dwordx4 v[10:13], v[10:11], off
	v_and_b32_e32 v9, 3, v0
	v_lshlrev_b32_e32 v14, 9, v84
	v_lshlrev_b32_e32 v8, 5, v8
	;; [unrolled: 1-line block ×3, first 2 shown]
	v_and_b32_e32 v14, 0x1800, v14
	v_mov_b32_e32 v3, 0
	v_or3_b32 v8, v14, v9, v8
	s_waitcnt vmcnt(0)
	ds_write_b128 v8, v[10:13]
.LBB169_13:
	s_or_b64 exec, exec, s[14:15]
	s_waitcnt lgkmcnt(0)
	s_mul_i32 s2, s8, s2
	s_mov_b32 s3, 0
	s_lshl_b64 s[2:3], s[2:3], 1
	s_add_u32 s0, s12, s2
	s_waitcnt vmcnt(3)
	v_mad_i64_i32 v[8:9], s[8:9], v7, s1, 0
	s_addc_u32 s12, s13, s3
	v_lshlrev_b64 v[8:9], 1, v[8:9]
	v_mov_b32_e32 v7, s12
	v_add_co_u32_e32 v8, vcc, s0, v8
	v_addc_co_u32_e32 v7, vcc, v7, v9, vcc
	v_lshlrev_b64 v[14:15], 1, v[2:3]
	v_add_co_u32_e32 v8, vcc, v8, v14
	v_lshlrev_b32_e32 v12, 9, v1
	v_addc_co_u32_e32 v7, vcc, v7, v15, vcc
	v_add_co_u32_e32 v2, vcc, v8, v12
	v_addc_co_u32_e32 v3, vcc, 0, v7, vcc
	v_or_b32_e32 v10, 0x1000, v12
	s_barrier
	global_load_dwordx4 v[38:41], v[2:3], off
	global_load_dwordx4 v[34:37], v[2:3], off offset:2048
	v_add_co_u32_e32 v2, vcc, v8, v10
	v_addc_co_u32_e32 v3, vcc, 0, v7, vcc
	v_or_b32_e32 v11, 0x1800, v12
	v_add_co_u32_e32 v8, vcc, v8, v11
	v_addc_co_u32_e32 v9, vcc, 0, v7, vcc
	global_load_dwordx4 v[46:49], v[2:3], off
	global_load_dwordx4 v[58:61], v[8:9], off
	s_waitcnt vmcnt(6)
	v_mad_i64_i32 v[2:3], s[8:9], v6, s1, 0
	v_lshlrev_b64 v[2:3], 1, v[2:3]
	v_mov_b32_e32 v6, s12
	v_add_co_u32_e32 v2, vcc, s0, v2
	v_addc_co_u32_e32 v3, vcc, v6, v3, vcc
	v_mov_b32_e32 v6, 0x100
	v_lshl_or_b32 v8, v84, 4, v6
	v_add_co_u32_e32 v6, vcc, v2, v8
	v_addc_co_u32_e32 v7, vcc, 0, v3, vcc
	v_add_co_u32_e32 v2, vcc, v6, v12
	v_addc_co_u32_e32 v3, vcc, 0, v7, vcc
	global_load_dwordx4 v[74:77], v[2:3], off
	global_load_dwordx4 v[70:73], v[2:3], off offset:2048
	v_add_co_u32_e32 v2, vcc, v6, v10
	v_addc_co_u32_e32 v3, vcc, 0, v7, vcc
	v_add_co_u32_e32 v6, vcc, v6, v11
	v_addc_co_u32_e32 v7, vcc, 0, v7, vcc
	global_load_dwordx4 v[78:81], v[2:3], off
	global_load_dwordx4 v[66:69], v[6:7], off
	s_waitcnt vmcnt(9)
	v_mad_i64_i32 v[2:3], s[8:9], v5, s1, 0
	v_lshlrev_b64 v[2:3], 1, v[2:3]
	v_mov_b32_e32 v5, s12
	v_add_co_u32_e32 v2, vcc, s0, v2
	v_addc_co_u32_e32 v3, vcc, v5, v3, vcc
	v_add_co_u32_e32 v5, vcc, v2, v14
	buffer_store_dword v14, off, s[44:47], 0 ; 4-byte Folded Spill
	s_nop 0
	buffer_store_dword v15, off, s[44:47], 0 offset:4 ; 4-byte Folded Spill
	v_mov_b32_e32 v87, 0
	v_addc_co_u32_e32 v7, vcc, v3, v15, vcc
	v_add_co_u32_e32 v2, vcc, v5, v12
	v_addc_co_u32_e32 v3, vcc, 0, v7, vcc
	global_load_dwordx4 v[62:65], v[2:3], off
	global_load_dwordx4 v[42:45], v[2:3], off offset:2048
	v_add_co_u32_e32 v2, vcc, v5, v10
	v_addc_co_u32_e32 v3, vcc, 0, v7, vcc
	v_add_co_u32_e32 v6, vcc, v5, v11
	v_addc_co_u32_e32 v7, vcc, 0, v7, vcc
	global_load_dwordx4 v[26:29], v[2:3], off
	global_load_dwordx4 v[18:21], v[6:7], off
	s_waitcnt vmcnt(14)
	v_mad_i64_i32 v[2:3], s[8:9], v4, s1, 0
	v_lshlrev_b64 v[2:3], 1, v[2:3]
	v_mov_b32_e32 v4, s12
	v_add_co_u32_e32 v2, vcc, s0, v2
	v_addc_co_u32_e32 v3, vcc, v4, v3, vcc
	v_add_co_u32_e32 v4, vcc, v2, v8
	v_addc_co_u32_e32 v5, vcc, 0, v3, vcc
	;; [unrolled: 2-line block ×3, first 2 shown]
	global_load_dwordx4 v[14:17], v[2:3], off
	global_load_dwordx4 v[6:9], v[2:3], off offset:2048
	v_add_co_u32_e32 v2, vcc, v4, v10
	v_addc_co_u32_e32 v3, vcc, 0, v5, vcc
	v_add_co_u32_e32 v10, vcc, v4, v11
	v_addc_co_u32_e32 v11, vcc, 0, v5, vcc
	global_load_dwordx4 v[2:5], v[2:3], off
	s_nop 0
	global_load_dwordx4 v[50:53], v[10:11], off
	v_and_b32_e32 v10, 1, v0
	v_lshl_or_b32 v54, v10, 5, v12
	ds_read_b128 v[30:33], v54
	ds_read_b128 v[22:25], v54 offset:2048
	ds_read_b128 v[10:13], v54 offset:4096
	;; [unrolled: 1-line block ×3, first 2 shown]
	v_cmp_gt_u32_e32 vcc, 2, v84
	s_and_saveexec_b64 s[8:9], vcc
	s_cbranch_execz .LBB169_15
; %bb.14:
	s_load_dwordx2 s[12:13], s[4:5], 0x40
	v_or_b32_e32 v82, s27, v84
	v_ashrrev_i32_e32 v83, 31, v82
	v_lshlrev_b64 v[82:83], 2, v[82:83]
	s_waitcnt lgkmcnt(0)
	v_mov_b32_e32 v87, s13
	v_add_co_u32_e32 v82, vcc, s12, v82
	v_addc_co_u32_e32 v83, vcc, v87, v83, vcc
	global_load_dword v87, v[82:83], off
.LBB169_15:
	s_or_b64 exec, exec, s[8:9]
	s_waitcnt vmcnt(17) lgkmcnt(3)
	v_mfma_f32_16x16x16f16 v[88:91], v[38:39], v[30:31], 0
	s_ashr_i32 s0, s16, 31
	s_lshr_b32 s0, s0, 27
	s_add_u32 s2, s10, s2
	s_addc_u32 s3, s11, s3
	s_mov_b32 s40, 0xff7fffff
	v_mfma_f32_16x16x16f16 v[38:41], v[40:41], v[32:33], v[88:91]
	s_waitcnt vmcnt(16) lgkmcnt(2)
	v_mfma_f32_16x16x16f16 v[38:41], v[34:35], v[22:23], v[38:41]
	s_nop 4
	v_lshl_or_b32 v88, v86, 4, v84
	v_mfma_f32_16x16x16f16 v[34:37], v[36:37], v[24:25], v[38:41]
	s_waitcnt vmcnt(15) lgkmcnt(1)
	v_mfma_f32_16x16x16f16 v[34:37], v[46:47], v[10:11], v[34:37]
	v_and_or_b32 v46, v0, 48, s16
	s_nop 3
	v_add_u32_e32 v38, s0, v46
	v_ashrrev_i32_e32 v38, 5, v38
	v_mov_b32_e32 v47, s19
	v_cmp_gt_i32_e32 vcc, s33, v46
	v_cndmask_b32_e32 v38, v47, v38, vcc
	v_ashrrev_i32_e32 v39, 31, v38
	v_mfma_f32_16x16x16f16 v[34:37], v[48:49], v[12:13], v[34:37]
	v_or_b32_e32 v40, 64, v46
	v_add_u32_e32 v41, s0, v40
	v_ashrrev_i32_e32 v41, 5, v41
	v_mov_b32_e32 v48, s18
	s_waitcnt vmcnt(14) lgkmcnt(0)
	v_mfma_f32_16x16x16f16 v[34:37], v[58:59], v[54:55], v[34:37]
	v_mfma_f32_16x16x16f16 v[58:61], v[60:61], v[56:57], v[34:37]
	s_waitcnt vmcnt(13)
	v_mfma_f32_16x16x16f16 v[34:37], v[74:75], v[30:31], 0
	v_mfma_f32_16x16x16f16 v[34:37], v[76:77], v[32:33], v[34:37]
	v_lshlrev_b32_e32 v76, 6, v88
	s_waitcnt vmcnt(12)
	v_mfma_f32_16x16x16f16 v[34:37], v[70:71], v[22:23], v[34:37]
	v_mfma_f32_16x16x16f16 v[34:37], v[72:73], v[24:25], v[34:37]
	s_waitcnt vmcnt(11)
	v_mfma_f32_16x16x16f16 v[34:37], v[78:79], v[10:11], v[34:37]
	v_mfma_f32_16x16x16f16 v[34:37], v[80:81], v[12:13], v[34:37]
	;; [unrolled: 3-line block ×3, first 2 shown]
	s_nop 7
	s_nop 1
	v_lshlrev_b64 v[34:35], 2, v[38:39]
	v_mov_b32_e32 v36, s18
	v_add_co_u32_e32 v38, vcc, s17, v34
	v_addc_co_u32_e32 v39, vcc, v36, v35, vcc
	v_cmp_gt_i32_e32 vcc, s33, v40
	v_cndmask_b32_e32 v40, v47, v41, vcc
	v_ashrrev_i32_e32 v41, 31, v40
	v_lshlrev_b64 v[40:41], 2, v[40:41]
	v_add_co_u32_e32 v40, vcc, s17, v40
	v_addc_co_u32_e32 v41, vcc, v48, v41, vcc
	global_load_dword v48, v[38:39], off
	s_nop 0
	global_load_dword v40, v[40:41], off
	v_or_b32_e32 v38, 0x80, v46
	v_add_u32_e32 v39, s0, v38
	v_ashrrev_i32_e32 v39, 5, v39
	v_cmp_gt_i32_e32 vcc, s33, v38
	v_cndmask_b32_e32 v38, v47, v39, vcc
	v_ashrrev_i32_e32 v39, 31, v38
	v_lshlrev_b64 v[38:39], 2, v[38:39]
	v_mov_b32_e32 v41, s18
	v_add_co_u32_e32 v38, vcc, s17, v38
	v_addc_co_u32_e32 v39, vcc, v41, v39, vcc
	s_waitcnt vmcnt(9)
	v_mfma_f32_16x16x16f16 v[34:37], v[62:63], v[30:31], 0
	global_load_dword v62, v[38:39], off
	v_or_b32_e32 v38, 0xc0, v46
	v_add_u32_e32 v39, s0, v38
	v_ashrrev_i32_e32 v39, 5, v39
	v_cmp_gt_i32_e32 vcc, s33, v38
	v_cndmask_b32_e32 v38, v47, v39, vcc
	v_ashrrev_i32_e32 v39, 31, v38
	v_mfma_f32_16x16x16f16 v[34:37], v[64:65], v[32:33], v[34:37]
	s_load_dword s0, s[4:5], 0x1c
	s_waitcnt lgkmcnt(0)
	v_pk_mul_f32 v[58:59], s[0:1], v[58:59] op_sel_hi:[0,1]
	s_waitcnt vmcnt(9)
	v_mfma_f32_16x16x16f16 v[34:37], v[42:43], v[22:23], v[34:37]
	v_mfma_f32_16x16x16f16 v[34:37], v[44:45], v[24:25], v[34:37]
	s_waitcnt vmcnt(8)
	v_mfma_f32_16x16x16f16 v[34:37], v[26:27], v[10:11], v[34:37]
	v_lshlrev_b64 v[26:27], 2, v[38:39]
	v_mov_b32_e32 v39, s18
	v_add_co_u32_e32 v38, vcc, s17, v26
	v_addc_co_u32_e32 v39, vcc, v39, v27, vcc
	global_load_dword v63, v[38:39], off
	v_mfma_f32_16x16x16f16 v[26:29], v[28:29], v[12:13], v[34:37]
	s_waitcnt vmcnt(8)
	v_mfma_f32_16x16x16f16 v[26:29], v[18:19], v[54:55], v[26:29]
	s_nop 4
	v_and_b32_e32 v34, 16, v0
	v_lshlrev_b32_e32 v34, 1, v34
	v_mov_b32_e32 v18, s3
	v_add_co_u32_e32 v74, vcc, s2, v34
	v_addc_co_u32_e32 v75, vcc, 0, v18, vcc
	v_mfma_f32_16x16x16f16 v[90:93], v[20:21], v[56:57], v[26:29]
	v_add_co_u32_e32 v77, vcc, v74, v76
	v_addc_co_u32_e32 v78, vcc, 0, v75, vcc
	s_waitcnt vmcnt(3)
	v_mad_i64_i32 v[18:19], s[2:3], v48, s1, 0
	v_lshlrev_b64 v[70:71], 1, v[18:19]
	v_mfma_f32_16x16x16f16 v[18:21], v[14:15], v[30:31], 0
	v_add_co_u32_e32 v14, vcc, v77, v70
	v_addc_co_u32_e32 v15, vcc, v78, v71, vcc
	global_load_dwordx4 v[46:49], v[14:15], off
	global_load_dwordx4 v[42:45], v[14:15], off offset:16
	s_waitcnt vmcnt(4)
	v_mad_i64_i32 v[14:15], s[2:3], v40, s1, 0
	v_lshlrev_b64 v[72:73], 1, v[14:15]
	v_mfma_f32_16x16x16f16 v[14:17], v[16:17], v[32:33], v[18:21]
	v_mfma_f32_16x16x16f16 v[14:17], v[6:7], v[22:23], v[14:17]
	s_nop 5
	v_add_co_u32_e32 v18, vcc, v77, v72
	v_addc_co_u32_e32 v19, vcc, v78, v73, vcc
	global_load_dwordx4 v[38:41], v[18:19], off
	global_load_dwordx4 v[34:37], v[18:19], off offset:16
	s_waitcnt vmcnt(5)
	v_mad_i64_i32 v[18:19], s[2:3], v62, s1, 0
	v_lshlrev_b64 v[64:65], 1, v[18:19]
	v_add_co_u32_e32 v6, vcc, v77, v64
	v_addc_co_u32_e32 v7, vcc, v78, v65, vcc
	global_load_dwordx4 v[30:33], v[6:7], off
	global_load_dwordx4 v[26:29], v[6:7], off offset:16
	v_mfma_f32_16x16x16f16 v[6:9], v[8:9], v[24:25], v[14:17]
	v_mfma_f32_16x16x16f16 v[6:9], v[2:3], v[10:11], v[6:9]
	v_or_b32_e32 v2, 0x1000, v76
	s_waitcnt vmcnt(6)
	s_nop 3
	v_mad_i64_i32 v[14:15], s[2:3], v63, s1, 0
	v_mfma_f32_16x16x16f16 v[10:13], v[4:5], v[12:13], v[6:9]
	v_lshlrev_b64 v[62:63], 1, v[14:15]
	v_add_co_u32_e32 v14, vcc, v77, v62
	v_addc_co_u32_e32 v15, vcc, v78, v63, vcc
	v_add_co_u32_e32 v89, vcc, v74, v2
	v_mfma_f32_16x16x16f16 v[80:83], v[50:51], v[54:55], v[10:13]
	v_addc_co_u32_e32 v85, vcc, 0, v75, vcc
	v_pk_mul_f32 v[74:75], s[0:1], v[68:69] op_sel_hi:[0,1]
	v_pk_mul_f32 v[76:77], s[0:1], v[66:67] op_sel_hi:[0,1]
	;; [unrolled: 1-line block ×3, first 2 shown]
	v_add_co_u32_e32 v2, vcc, v89, v70
	v_mfma_f32_16x16x16f16 v[50:53], v[52:53], v[56:57], v[80:83]
	v_addc_co_u32_e32 v3, vcc, v85, v71, vcc
	v_add_co_u32_e32 v70, vcc, v89, v72
	v_addc_co_u32_e32 v71, vcc, v85, v73, vcc
	global_load_dwordx4 v[22:25], v[14:15], off
	global_load_dwordx4 v[18:21], v[14:15], off offset:16
	s_nop 5
	v_pk_mul_f32 v[68:69], s[0:1], v[50:51] op_sel_hi:[0,1]
	v_and_b32_e32 v50, 0xc0, v0
	v_add_u32_e32 v50, s16, v50
	v_lshl_or_b32 v50, v1, 2, v50
	v_or_b32_e32 v51, 1, v50
	v_pk_mul_f32 v[66:67], s[0:1], v[52:53] op_sel_hi:[0,1]
	v_subrev_u32_e32 v52, s33, v51
	v_add_u32_e32 v54, 1, v52
	v_add_u32_e32 v55, 2, v52
	v_cvt_f32_i32_e32 v53, v52
	v_cvt_f32_i32_e32 v54, v54
	;; [unrolled: 1-line block ×3, first 2 shown]
	v_add_u32_e32 v56, 3, v52
	v_fma_f32 v58, v87, v53, v58
	v_fmac_f32_e32 v59, v87, v54
	v_fma_f32 v78, v87, v55, v78
	v_add_u32_e32 v53, 16, v52
	v_add_u32_e32 v54, 17, v52
	;; [unrolled: 1-line block ×3, first 2 shown]
	v_cvt_f32_i32_e32 v56, v56
	v_cvt_f32_i32_e32 v53, v53
	;; [unrolled: 1-line block ×4, first 2 shown]
	v_fmac_f32_e32 v79, v87, v56
	v_add_u32_e32 v56, 19, v52
	v_fma_f32 v76, v87, v53, v76
	v_fmac_f32_e32 v77, v87, v54
	v_fma_f32 v74, v87, v55, v74
	v_add_u32_e32 v53, 32, v52
	v_add_u32_e32 v54, 33, v52
	;; [unrolled: 1-line block ×3, first 2 shown]
	v_cvt_f32_i32_e32 v56, v56
	v_cvt_f32_i32_e32 v53, v53
	;; [unrolled: 1-line block ×4, first 2 shown]
	global_load_dwordx4 v[6:9], v[2:3], off
	s_nop 0
	global_load_dwordx4 v[2:5], v[2:3], off offset:16
	s_nop 0
	global_load_dwordx4 v[14:17], v[70:71], off
	global_load_dwordx4 v[10:13], v[70:71], off offset:16
	v_pk_mul_f32 v[70:71], s[0:1], v[92:93] op_sel_hi:[0,1]
	v_pk_mul_f32 v[72:73], s[0:1], v[90:91] op_sel_hi:[0,1]
	v_fmac_f32_e32 v75, v87, v56
	v_add_u32_e32 v56, 35, v52
	v_fma_f32 v72, v87, v53, v72
	v_fmac_f32_e32 v73, v87, v54
	v_fma_f32 v70, v87, v55, v70
	v_add_u32_e32 v53, 48, v52
	v_add_u32_e32 v54, 49, v52
	;; [unrolled: 1-line block ×4, first 2 shown]
	v_cvt_f32_i32_e32 v52, v52
	v_cvt_f32_i32_e32 v53, v53
	;; [unrolled: 1-line block ×3, first 2 shown]
	v_cmp_gt_i32_e64 s[28:29], s33, v50
	v_fmac_f32_e32 v67, v87, v52
	v_mov_b32_e32 v52, 0xff7fffff
	v_cmp_gt_i32_e64 s[30:31], s33, v51
	v_fma_f32 v68, v87, v53, v68
	v_cndmask_b32_e64 v53, v52, v58, s[28:29]
	v_cndmask_b32_e64 v51, v52, v59, s[30:31]
	v_fmac_f32_e32 v69, v87, v54
	v_max3_f32 v51, v53, s40, v51
	v_or_b32_e32 v53, 2, v50
	v_or_b32_e32 v54, 3, v50
	v_cmp_gt_i32_e64 s[34:35], s33, v53
	v_cmp_gt_i32_e64 s[36:37], s33, v54
	v_cndmask_b32_e64 v53, v52, v78, s[34:35]
	v_cndmask_b32_e64 v54, v52, v79, s[36:37]
	v_max3_f32 v51, v51, v53, v54
	v_or_b32_e32 v53, 16, v50
	v_or_b32_e32 v54, 17, v50
	v_cmp_gt_i32_e64 s[22:23], s33, v53
	v_cmp_gt_i32_e64 s[24:25], s33, v54
	v_cndmask_b32_e64 v53, v52, v76, s[22:23]
	v_cndmask_b32_e64 v54, v52, v77, s[24:25]
	;; [unrolled: 7-line block ×3, first 2 shown]
	v_cvt_f32_i32_e32 v56, v56
	v_max3_f32 v51, v51, v53, v54
	v_or_b32_e32 v53, 32, v50
	v_or_b32_e32 v54, 33, v50
	v_cmp_gt_i32_e64 s[14:15], s33, v53
	v_cmp_gt_i32_e64 s[16:17], s33, v54
	v_cndmask_b32_e64 v53, v52, v72, s[14:15]
	v_cndmask_b32_e64 v54, v52, v73, s[16:17]
	v_max3_f32 v51, v51, v53, v54
	v_or_b32_e32 v53, 34, v50
	v_or_b32_e32 v54, 35, v50
	v_fmac_f32_e32 v71, v87, v56
	v_cmp_gt_i32_e64 s[10:11], s33, v53
	v_cmp_gt_i32_e64 s[12:13], s33, v54
	v_cndmask_b32_e64 v53, v52, v70, s[10:11]
	v_cndmask_b32_e64 v54, v52, v71, s[12:13]
	v_cvt_f32_i32_e32 v55, v55
	v_max3_f32 v51, v51, v53, v54
	v_or_b32_e32 v53, 48, v50
	v_or_b32_e32 v54, 49, v50
	v_cmp_gt_i32_e64 s[2:3], s33, v53
	v_cmp_gt_i32_e64 s[8:9], s33, v54
	v_cndmask_b32_e64 v53, v52, v68, s[2:3]
	v_cndmask_b32_e64 v54, v52, v69, s[8:9]
	v_max3_f32 v51, v51, v53, v54
	v_or_b32_e32 v53, 50, v50
	v_or_b32_e32 v50, 51, v50
	v_fma_f32 v66, v87, v55, v66
	v_cmp_gt_i32_e32 vcc, s33, v53
	v_cmp_gt_i32_e64 s[0:1], s33, v50
	v_cndmask_b32_e32 v53, v52, v66, vcc
	v_cndmask_b32_e64 v50, v52, v67, s[0:1]
	v_max3_f32 v60, v51, v53, v50
	v_mbcnt_lo_u32_b32 v50, -1, 0
	v_mbcnt_hi_u32_b32 v61, -1, v50
	v_and_b32_e32 v50, 64, v61
	v_add_u32_e32 v80, 64, v50
	v_xor_b32_e32 v50, 32, v61
	v_cmp_lt_i32_e64 s[38:39], v50, v80
	v_cndmask_b32_e64 v50, v61, v50, s[38:39]
	v_lshlrev_b32_e32 v82, 2, v50
	ds_bpermute_b32 v81, v82, v60
	v_add_co_u32_e64 v50, s[38:39], v89, v64
	v_addc_co_u32_e64 v51, s[38:39], v85, v65, s[38:39]
	s_waitcnt lgkmcnt(0)
	v_max_f32_e32 v64, v81, v81
	v_max_f32_e32 v64, v60, v64
	v_xor_b32_e32 v60, 16, v61
	v_cmp_lt_i32_e64 s[38:39], v60, v80
	v_cndmask_b32_e64 v60, v61, v60, s[38:39]
	v_lshlrev_b32_e32 v83, 2, v60
	ds_bpermute_b32 v65, v83, v64
	v_add_co_u32_e64 v60, s[38:39], v89, v62
	v_addc_co_u32_e64 v61, s[38:39], v85, v63, s[38:39]
	s_waitcnt lgkmcnt(0)
	v_max_f32_e32 v62, v65, v65
	v_max_f32_e32 v87, v64, v62
	v_sub_f32_e32 v58, v58, v87
	v_mul_f32_e32 v58, 0x3fb8aa3b, v58
	v_exp_f32_e32 v80, v58
	v_sub_f32_e32 v58, v59, v87
	v_mul_f32_e32 v58, 0x3fb8aa3b, v58
	global_load_dwordx4 v[54:57], v[50:51], off
	s_nop 0
	global_load_dwordx4 v[50:53], v[50:51], off offset:16
	v_exp_f32_e32 v81, v58
	global_load_dwordx4 v[62:65], v[60:61], off
	s_nop 0
	global_load_dwordx4 v[58:61], v[60:61], off offset:16
	v_sub_f32_e32 v78, v78, v87
	v_mul_f32_e32 v78, 0x3fb8aa3b, v78
	v_sub_f32_e32 v79, v79, v87
	v_exp_f32_e32 v78, v78
	v_mul_f32_e32 v79, 0x3fb8aa3b, v79
	v_sub_f32_e32 v76, v76, v87
	v_exp_f32_e32 v79, v79
	v_mul_f32_e32 v76, 0x3fb8aa3b, v76
	v_sub_f32_e32 v77, v77, v87
	v_cndmask_b32_e64 v80, 0, v80, s[28:29]
	v_exp_f32_e32 v76, v76
	v_mul_f32_e32 v77, 0x3fb8aa3b, v77
	v_sub_f32_e32 v74, v74, v87
	v_add_f32_e32 v85, 0, v80
	v_cndmask_b32_e64 v81, 0, v81, s[30:31]
	v_exp_f32_e32 v77, v77
	v_mul_f32_e32 v74, 0x3fb8aa3b, v74
	v_sub_f32_e32 v75, v75, v87
	v_add_f32_e32 v85, v85, v81
	;; [unrolled: 5-line block ×10, first 2 shown]
	v_cndmask_b32_e64 v70, 0, v70, s[10:11]
	v_exp_f32_e32 v66, v66
	v_mul_f32_e32 v67, 0x3fb8aa3b, v67
	v_add_f32_e32 v85, v85, v70
	v_cndmask_b32_e64 v71, 0, v71, s[12:13]
	v_exp_f32_e32 v67, v67
	v_add_f32_e32 v85, v85, v71
	v_cndmask_b32_e64 v68, 0, v68, s[2:3]
	v_add_f32_e32 v85, v85, v68
	v_cndmask_b32_e64 v69, 0, v69, s[8:9]
	v_add_f32_e32 v85, v85, v69
	v_cndmask_b32_e32 v66, 0, v66, vcc
	v_add_f32_e32 v85, v85, v66
	v_cndmask_b32_e64 v67, 0, v67, s[0:1]
	v_add_f32_e32 v85, v85, v67
	ds_bpermute_b32 v82, v82, v85
	s_load_dword s3, s[4:5], 0x98
	s_waitcnt lgkmcnt(0)
	s_barrier
	v_add_f32_e32 v89, v85, v82
	ds_bpermute_b32 v90, v83, v89
	v_and_b32_e32 v82, 63, v0
	v_cmp_gt_u32_e32 vcc, 16, v82
	s_and_saveexec_b64 s[0:1], vcc
	s_cbranch_execz .LBB169_17
; %bb.16:
	s_waitcnt lgkmcnt(0)
	v_add_f32_e32 v82, v89, v90
	v_lshlrev_b32_e32 v83, 2, v88
	ds_write2st64_b32 v83, v87, v82 offset1:1
.LBB169_17:
	s_or_b64 exec, exec, s[0:1]
	v_lshlrev_b32_e32 v85, 2, v84
	s_load_dword s2, s[4:5], 0x94
	s_waitcnt lgkmcnt(0)
	s_barrier
	ds_read2_b32 v[82:83], v85 offset1:16
	ds_read2_b32 v[88:89], v85 offset0:32 offset1:48
	ds_read2_b32 v[90:91], v85 offset0:64 offset1:80
	s_lshl_b32 s8, s3, 1
	s_waitcnt lgkmcnt(2)
	v_max3_f32 v87, v82, s40, v83
	s_waitcnt lgkmcnt(1)
	v_max3_f32 v87, v87, v88, v89
	v_sub_f32_e32 v82, v82, v87
	v_mul_f32_e32 v82, 0x3fb8aa3b, v82
	v_exp_f32_e32 v92, v82
	v_sub_f32_e32 v82, v83, v87
	v_mul_f32_e32 v82, 0x3fb8aa3b, v82
	v_exp_f32_e32 v93, v82
	;; [unrolled: 3-line block ×3, first 2 shown]
	ds_read2_b32 v[82:83], v85 offset0:96 offset1:112
	v_sub_f32_e32 v85, v89, v87
	v_mul_f32_e32 v85, 0x3fb8aa3b, v85
	v_exp_f32_e32 v85, v85
	s_waitcnt lgkmcnt(1)
	v_fma_f32 v88, v92, v90, 0
	v_fmac_f32_e32 v88, v93, v91
	s_waitcnt lgkmcnt(0)
	v_fmac_f32_e32 v88, v94, v82
	v_fmac_f32_e32 v88, v85, v83
	v_add_f32_e32 v82, 0x358637bd, v88
	v_div_scale_f32 v83, s[0:1], v82, v82, 1.0
	v_rcp_f32_e32 v89, v83
	s_barrier
	v_fma_f32 v90, -v83, v89, 1.0
	v_fmac_f32_e32 v89, v90, v89
	v_div_scale_f32 v90, vcc, 1.0, v82, 1.0
	v_mul_f32_e32 v91, v90, v89
	v_fma_f32 v95, -v83, v91, v90
	v_fmac_f32_e32 v91, v95, v89
	v_fma_f32 v83, -v83, v91, v90
	v_div_fmas_f32 v83, v83, v89, v91
	v_cmp_eq_u32_e32 vcc, 1, v86
	v_div_fixup_f32 v82, v83, v82, 1.0
	v_cndmask_b32_e32 v83, v92, v93, vcc
	v_cmp_eq_u32_e32 vcc, 2, v86
	v_cndmask_b32_e32 v83, v83, v94, vcc
	v_cmp_eq_u32_e32 vcc, 3, v86
	v_cndmask_b32_e32 v83, v83, v85, vcc
	v_mul_f32_e32 v82, v83, v82
	v_pk_mul_f32 v[78:79], v[82:83], v[78:79] op_sel_hi:[0,1]
	v_pk_mul_f32 v[80:81], v[82:83], v[80:81] op_sel_hi:[0,1]
	v_cvt_f16_f32_e32 v80, v80
	v_cvt_f16_f32_e32 v81, v81
	;; [unrolled: 1-line block ×4, first 2 shown]
	v_pk_mul_f32 v[74:75], v[82:83], v[74:75] op_sel_hi:[0,1]
	v_pk_mul_f32 v[76:77], v[82:83], v[76:77] op_sel_hi:[0,1]
	v_cvt_f16_f32_e32 v76, v76
	v_cvt_f16_f32_e32 v77, v77
	;; [unrolled: 1-line block ×4, first 2 shown]
	v_pack_b32_f16 v80, v80, v81
	v_pack_b32_f16 v81, v78, v79
	v_lshlrev_b32_e32 v79, 3, v1
	v_lshlrev_b32_e32 v78, 5, v84
	;; [unrolled: 1-line block ×3, first 2 shown]
	v_or3_b32 v74, v74, v78, v79
	v_pack_b32_f16 v76, v76, v77
	v_pack_b32_f16 v77, v83, v75
	v_pk_mul_f32 v[70:71], v[82:83], v[70:71] op_sel_hi:[0,1]
	v_pk_mul_f32 v[72:73], v[82:83], v[72:73] op_sel_hi:[0,1]
	;; [unrolled: 1-line block ×4, first 2 shown]
	ds_write2st64_b64 v74, v[80:81], v[76:77] offset1:1
	v_cvt_f16_f32_e32 v72, v72
	v_cvt_f16_f32_e32 v73, v73
	;; [unrolled: 1-line block ×8, first 2 shown]
	v_pack_b32_f16 v66, v72, v73
	v_pack_b32_f16 v67, v70, v71
	;; [unrolled: 1-line block ×4, first 2 shown]
	v_cmp_gt_u32_e32 vcc, 2, v0
	ds_write2st64_b64 v74, v[66:67], v[68:69] offset0:2 offset1:3
	s_and_saveexec_b64 s[0:1], vcc
	s_cbranch_execz .LBB169_19
; %bb.18:
	v_or_b32_e32 v66, s27, v0
	v_mov_b32_e32 v67, 0
	v_mov_b32_e32 v68, s8
	v_mad_u64_u32 v[68:69], s[10:11], s6, v68, v[66:67]
	v_mov_b32_e32 v66, s26
	s_load_dwordx4 s[12:15], s[4:5], 0x58
	s_mul_i32 s3, s7, s8
	v_mad_u64_u32 v[66:67], s[10:11], v68, s2, v[66:67]
	v_add_u32_e32 v69, s3, v69
	v_mov_b32_e32 v68, v67
	v_mad_u64_u32 v[68:69], s[10:11], v69, s2, v[68:69]
	v_mov_b32_e32 v67, v68
	v_lshlrev_b64 v[66:67], 2, v[66:67]
	s_waitcnt lgkmcnt(0)
	v_mov_b32_e32 v69, s15
	v_add_co_u32_e32 v68, vcc, s14, v66
	v_addc_co_u32_e32 v69, vcc, v69, v67, vcc
	global_store_dword v[68:69], v87, off
	v_mov_b32_e32 v68, s13
	v_add_co_u32_e32 v66, vcc, s12, v66
	v_addc_co_u32_e32 v67, vcc, v68, v67, vcc
	global_store_dword v[66:67], v88, off
.LBB169_19:
	s_or_b64 exec, exec, s[0:1]
	v_lshl_or_b32 v75, v1, 9, v78
	s_waitcnt lgkmcnt(0)
	s_barrier
	ds_read_b128 v[70:73], v75
	ds_read_b128 v[66:69], v75 offset:16
	s_waitcnt vmcnt(15) lgkmcnt(1)
	v_mfma_f32_16x16x16f16 v[76:79], v[46:47], v[70:71], 0
	v_cmp_gt_u32_e32 vcc, 64, v0
	s_mov_b32 s3, 0
	v_mfma_f32_16x16x16f16 v[46:49], v[48:49], v[72:73], v[76:79]
	s_waitcnt vmcnt(14) lgkmcnt(0)
	v_mfma_f32_16x16x16f16 v[46:49], v[42:43], v[66:67], v[46:49]
	v_mfma_f32_16x16x16f16 v[42:45], v[44:45], v[68:69], v[46:49]
	s_nop 7
	s_nop 1
	ds_read_b128 v[46:49], v75 offset:2048
	ds_read_b128 v[76:79], v75 offset:2064
	s_waitcnt vmcnt(13) lgkmcnt(1)
	v_mfma_f32_16x16x16f16 v[42:45], v[38:39], v[46:47], v[42:45]
	v_mfma_f32_16x16x16f16 v[38:41], v[40:41], v[48:49], v[42:45]
	s_waitcnt vmcnt(12) lgkmcnt(0)
	v_mfma_f32_16x16x16f16 v[38:41], v[34:35], v[76:77], v[38:41]
	v_mfma_f32_16x16x16f16 v[34:37], v[36:37], v[78:79], v[38:41]
	s_nop 7
	s_nop 1
	ds_read_b128 v[38:41], v75 offset:4096
	ds_read_b128 v[42:45], v75 offset:4112
	s_waitcnt vmcnt(11) lgkmcnt(1)
	v_mfma_f32_16x16x16f16 v[34:37], v[30:31], v[38:39], v[34:37]
	v_mfma_f32_16x16x16f16 v[30:33], v[32:33], v[40:41], v[34:37]
	s_waitcnt vmcnt(10) lgkmcnt(0)
	v_mfma_f32_16x16x16f16 v[30:33], v[26:27], v[42:43], v[30:33]
	v_mfma_f32_16x16x16f16 v[26:29], v[28:29], v[44:45], v[30:33]
	s_nop 7
	s_nop 1
	ds_read_b128 v[30:33], v75 offset:6144
	ds_read_b128 v[34:37], v75 offset:6160
	s_waitcnt lgkmcnt(0)
	s_barrier
	s_waitcnt vmcnt(9)
	v_mfma_f32_16x16x16f16 v[26:29], v[22:23], v[30:31], v[26:29]
	v_mfma_f32_16x16x16f16 v[22:25], v[24:25], v[32:33], v[26:29]
	s_waitcnt vmcnt(8)
	v_mfma_f32_16x16x16f16 v[22:25], v[18:19], v[34:35], v[22:25]
	v_mfma_f32_16x16x16f16 v[18:21], v[20:21], v[36:37], v[22:25]
	;; [unrolled: 3-line block ×4, first 2 shown]
	s_waitcnt vmcnt(5)
	v_mfma_f32_16x16x16f16 v[2:5], v[14:15], v[46:47], v[2:5]
	s_nop 7
	v_cvt_f16_f32_e32 v6, v18
	v_cvt_f16_f32_e32 v7, v19
	;; [unrolled: 1-line block ×4, first 2 shown]
	v_mfma_f32_16x16x16f16 v[2:5], v[16:17], v[48:49], v[2:5]
	s_waitcnt vmcnt(4)
	v_mfma_f32_16x16x16f16 v[2:5], v[10:11], v[76:77], v[2:5]
	v_mfma_f32_16x16x16f16 v[2:5], v[12:13], v[78:79], v[2:5]
	s_waitcnt vmcnt(3)
	v_mfma_f32_16x16x16f16 v[2:5], v[54:55], v[38:39], v[2:5]
	;; [unrolled: 3-line block ×5, first 2 shown]
	v_mfma_f32_16x16x16f16 v[2:5], v[60:61], v[36:37], v[2:5]
	s_nop 7
	s_nop 2
	v_cvt_f16_f32_e32 v10, v2
	v_cvt_f16_f32_e32 v11, v3
	;; [unrolled: 1-line block ×4, first 2 shown]
	v_pack_b32_f16 v2, v6, v7
	v_pack_b32_f16 v3, v8, v9
	;; [unrolled: 1-line block ×4, first 2 shown]
	ds_write2st64_b64 v74, v[2:3], v[4:5] offset1:1
	v_and_b32_e32 v2, 63, v0
	v_cmp_gt_u32_e64 s[0:1], 32, v2
	s_and_b64 s[0:1], vcc, s[0:1]
	s_waitcnt lgkmcnt(0)
	s_barrier
	s_and_saveexec_b64 s[10:11], s[0:1]
	s_cbranch_execz .LBB169_21
; %bb.20:
	s_load_dwordx2 s[0:1], s[4:5], 0x68
	s_mul_i32 s4, s8, s6
	s_lshl_b32 s6, s2, 7
	s_mul_hi_u32 s5, s4, s6
	s_mul_i32 s4, s4, s6
	v_lshlrev_b32_e32 v4, 6, v84
	s_lshl_b64 s[4:5], s[4:5], 1
	v_lshlrev_b32_e32 v3, 4, v0
	v_lshl_or_b32 v0, v0, 10, v4
	s_waitcnt lgkmcnt(0)
	s_add_u32 s4, s0, s4
	v_lshlrev_b32_e32 v2, 5, v1
	v_and_b32_e32 v3, 16, v3
	v_and_b32_e32 v0, 0x1a00, v0
	s_addc_u32 s5, s1, s5
	s_lshl_b32 s2, s26, 7
	v_or3_b32 v0, v0, v2, v3
	s_lshl_b64 s[0:1], s[2:3], 1
	ds_read_b128 v[2:5], v0
	s_add_u32 s2, s4, s0
	v_or_b32_e32 v0, s27, v1
	s_addc_u32 s3, s5, s1
	v_mad_u64_u32 v[0:1], s[0:1], s6, v0, 0
	v_lshlrev_b64 v[0:1], 1, v[0:1]
	v_mov_b32_e32 v6, s3
	v_add_co_u32_e32 v0, vcc, s2, v0
	v_addc_co_u32_e32 v1, vcc, v6, v1, vcc
	buffer_load_dword v6, off, s[44:47], 0  ; 4-byte Folded Reload
	buffer_load_dword v7, off, s[44:47], 0 offset:4 ; 4-byte Folded Reload
	s_waitcnt vmcnt(1)
	v_add_co_u32_e32 v0, vcc, v0, v6
	s_waitcnt vmcnt(0)
	v_addc_co_u32_e32 v1, vcc, v1, v7, vcc
	s_waitcnt lgkmcnt(0)
	global_store_dwordx4 v[0:1], v[2:5], off
.LBB169_21:
	s_endpgm
	.section	.rodata,"a",@progbits
	.p2align	6, 0x0
	.amdhsa_kernel _Z39paged_attention_ll4mi_QKV_mfma16_kernelIDF16_DF16_LN4vllm18Fp8KVCacheDataTypeE0EDF16_Li32ELi128ELi256ELb1ELi2EL8MFMAType0EEvPKT_PKT0_S8_ifPKiSA_SA_iPKfiiiPfSD_PS3_PT2_iSC_SC_
		.amdhsa_group_segment_fixed_size 8192
		.amdhsa_private_segment_fixed_size 12
		.amdhsa_kernarg_size 400
		.amdhsa_user_sgpr_count 6
		.amdhsa_user_sgpr_private_segment_buffer 1
		.amdhsa_user_sgpr_dispatch_ptr 0
		.amdhsa_user_sgpr_queue_ptr 0
		.amdhsa_user_sgpr_kernarg_segment_ptr 1
		.amdhsa_user_sgpr_dispatch_id 0
		.amdhsa_user_sgpr_flat_scratch_init 0
		.amdhsa_user_sgpr_kernarg_preload_length 0
		.amdhsa_user_sgpr_kernarg_preload_offset 0
		.amdhsa_user_sgpr_private_segment_size 0
		.amdhsa_uses_dynamic_stack 0
		.amdhsa_system_sgpr_private_segment_wavefront_offset 1
		.amdhsa_system_sgpr_workgroup_id_x 1
		.amdhsa_system_sgpr_workgroup_id_y 1
		.amdhsa_system_sgpr_workgroup_id_z 1
		.amdhsa_system_sgpr_workgroup_info 0
		.amdhsa_system_vgpr_workitem_id 0
		.amdhsa_next_free_vgpr 96
		.amdhsa_next_free_sgpr 48
		.amdhsa_accum_offset 96
		.amdhsa_reserve_vcc 1
		.amdhsa_reserve_flat_scratch 0
		.amdhsa_float_round_mode_32 0
		.amdhsa_float_round_mode_16_64 0
		.amdhsa_float_denorm_mode_32 3
		.amdhsa_float_denorm_mode_16_64 3
		.amdhsa_dx10_clamp 1
		.amdhsa_ieee_mode 1
		.amdhsa_fp16_overflow 0
		.amdhsa_tg_split 0
		.amdhsa_exception_fp_ieee_invalid_op 0
		.amdhsa_exception_fp_denorm_src 0
		.amdhsa_exception_fp_ieee_div_zero 0
		.amdhsa_exception_fp_ieee_overflow 0
		.amdhsa_exception_fp_ieee_underflow 0
		.amdhsa_exception_fp_ieee_inexact 0
		.amdhsa_exception_int_div_zero 0
	.end_amdhsa_kernel
	.section	.text._Z39paged_attention_ll4mi_QKV_mfma16_kernelIDF16_DF16_LN4vllm18Fp8KVCacheDataTypeE0EDF16_Li32ELi128ELi256ELb1ELi2EL8MFMAType0EEvPKT_PKT0_S8_ifPKiSA_SA_iPKfiiiPfSD_PS3_PT2_iSC_SC_,"axG",@progbits,_Z39paged_attention_ll4mi_QKV_mfma16_kernelIDF16_DF16_LN4vllm18Fp8KVCacheDataTypeE0EDF16_Li32ELi128ELi256ELb1ELi2EL8MFMAType0EEvPKT_PKT0_S8_ifPKiSA_SA_iPKfiiiPfSD_PS3_PT2_iSC_SC_,comdat
.Lfunc_end169:
	.size	_Z39paged_attention_ll4mi_QKV_mfma16_kernelIDF16_DF16_LN4vllm18Fp8KVCacheDataTypeE0EDF16_Li32ELi128ELi256ELb1ELi2EL8MFMAType0EEvPKT_PKT0_S8_ifPKiSA_SA_iPKfiiiPfSD_PS3_PT2_iSC_SC_, .Lfunc_end169-_Z39paged_attention_ll4mi_QKV_mfma16_kernelIDF16_DF16_LN4vllm18Fp8KVCacheDataTypeE0EDF16_Li32ELi128ELi256ELb1ELi2EL8MFMAType0EEvPKT_PKT0_S8_ifPKiSA_SA_iPKfiiiPfSD_PS3_PT2_iSC_SC_
                                        ; -- End function
	.section	.AMDGPU.csdata,"",@progbits
; Kernel info:
; codeLenInByte = 5012
; NumSgprs: 52
; NumVgprs: 96
; NumAgprs: 0
; TotalNumVgprs: 96
; ScratchSize: 12
; MemoryBound: 0
; FloatMode: 240
; IeeeMode: 1
; LDSByteSize: 8192 bytes/workgroup (compile time only)
; SGPRBlocks: 6
; VGPRBlocks: 11
; NumSGPRsForWavesPerEU: 52
; NumVGPRsForWavesPerEU: 96
; AccumOffset: 96
; Occupancy: 5
; WaveLimiterHint : 1
; COMPUTE_PGM_RSRC2:SCRATCH_EN: 1
; COMPUTE_PGM_RSRC2:USER_SGPR: 6
; COMPUTE_PGM_RSRC2:TRAP_HANDLER: 0
; COMPUTE_PGM_RSRC2:TGID_X_EN: 1
; COMPUTE_PGM_RSRC2:TGID_Y_EN: 1
; COMPUTE_PGM_RSRC2:TGID_Z_EN: 1
; COMPUTE_PGM_RSRC2:TIDIG_COMP_CNT: 0
; COMPUTE_PGM_RSRC3_GFX90A:ACCUM_OFFSET: 23
; COMPUTE_PGM_RSRC3_GFX90A:TG_SPLIT: 0
	.section	.text._Z39paged_attention_ll4mi_QKV_mfma16_kernelIDF16_DF16_LN4vllm18Fp8KVCacheDataTypeE0EDF16_Li32ELi128ELi256ELb1ELi3EL8MFMAType0EEvPKT_PKT0_S8_ifPKiSA_SA_iPKfiiiPfSD_PS3_PT2_iSC_SC_,"axG",@progbits,_Z39paged_attention_ll4mi_QKV_mfma16_kernelIDF16_DF16_LN4vllm18Fp8KVCacheDataTypeE0EDF16_Li32ELi128ELi256ELb1ELi3EL8MFMAType0EEvPKT_PKT0_S8_ifPKiSA_SA_iPKfiiiPfSD_PS3_PT2_iSC_SC_,comdat
	.protected	_Z39paged_attention_ll4mi_QKV_mfma16_kernelIDF16_DF16_LN4vllm18Fp8KVCacheDataTypeE0EDF16_Li32ELi128ELi256ELb1ELi3EL8MFMAType0EEvPKT_PKT0_S8_ifPKiSA_SA_iPKfiiiPfSD_PS3_PT2_iSC_SC_ ; -- Begin function _Z39paged_attention_ll4mi_QKV_mfma16_kernelIDF16_DF16_LN4vllm18Fp8KVCacheDataTypeE0EDF16_Li32ELi128ELi256ELb1ELi3EL8MFMAType0EEvPKT_PKT0_S8_ifPKiSA_SA_iPKfiiiPfSD_PS3_PT2_iSC_SC_
	.globl	_Z39paged_attention_ll4mi_QKV_mfma16_kernelIDF16_DF16_LN4vllm18Fp8KVCacheDataTypeE0EDF16_Li32ELi128ELi256ELb1ELi3EL8MFMAType0EEvPKT_PKT0_S8_ifPKiSA_SA_iPKfiiiPfSD_PS3_PT2_iSC_SC_
	.p2align	8
	.type	_Z39paged_attention_ll4mi_QKV_mfma16_kernelIDF16_DF16_LN4vllm18Fp8KVCacheDataTypeE0EDF16_Li32ELi128ELi256ELb1ELi3EL8MFMAType0EEvPKT_PKT0_S8_ifPKiSA_SA_iPKfiiiPfSD_PS3_PT2_iSC_SC_,@function
_Z39paged_attention_ll4mi_QKV_mfma16_kernelIDF16_DF16_LN4vllm18Fp8KVCacheDataTypeE0EDF16_Li32ELi128ELi256ELb1ELi3EL8MFMAType0EEvPKT_PKT0_S8_ifPKiSA_SA_iPKfiiiPfSD_PS3_PT2_iSC_SC_: ; @_Z39paged_attention_ll4mi_QKV_mfma16_kernelIDF16_DF16_LN4vllm18Fp8KVCacheDataTypeE0EDF16_Li32ELi128ELi256ELb1ELi3EL8MFMAType0EEvPKT_PKT0_S8_ifPKiSA_SA_iPKfiiiPfSD_PS3_PT2_iSC_SC_
; %bb.0:
	s_mov_b64 s[46:47], s[2:3]
	s_mov_b64 s[44:45], s[0:1]
	s_load_dwordx2 s[0:1], s[4:5], 0x30
	s_add_u32 s44, s44, s9
	s_addc_u32 s45, s45, 0
	s_mov_b32 s26, s7
	s_mov_b64 s[10:11], 0
	s_waitcnt lgkmcnt(0)
	s_cmp_lg_u64 s[0:1], 0
	s_cselect_b64 s[2:3], -1, 0
	s_and_b64 vcc, exec, s[2:3]
	s_cbranch_vccz .LBB170_7
; %bb.1:
	s_add_i32 s12, s6, 1
	s_mov_b32 s13, 0
	s_lshl_b64 s[14:15], s[12:13], 2
	s_add_u32 s14, s0, s14
	s_mov_b32 s7, s13
	s_addc_u32 s15, s1, s15
	s_lshl_b64 s[12:13], s[6:7], 2
	s_add_u32 s12, s0, s12
	s_addc_u32 s13, s1, s13
	s_load_dword s9, s[14:15], 0x0
	s_load_dword s16, s[12:13], 0x0
	s_waitcnt lgkmcnt(0)
	s_sub_i32 s9, s9, s16
	s_cmp_eq_u32 s9, 1
	s_cselect_b64 s[12:13], -1, 0
	s_andn2_b64 vcc, exec, s[10:11]
	s_cbranch_vccnz .LBB170_3
.LBB170_2:
	s_mov_b32 s7, 0
	s_mov_b64 s[12:13], -1
.LBB170_3:
	s_andn2_b64 vcc, exec, s[12:13]
	s_cbranch_vccnz .LBB170_21
; %bb.4:
	s_load_dwordx2 s[12:13], s[4:5], 0x28
	s_lshl_b64 s[10:11], s[6:7], 2
	s_waitcnt lgkmcnt(0)
	s_add_u32 s12, s12, s10
	s_addc_u32 s13, s13, s11
	s_load_dword s33, s[12:13], 0x0
	s_lshl_b32 s16, s26, 8
	s_waitcnt lgkmcnt(0)
	s_cmp_ge_i32 s16, s33
	s_cbranch_scc1 .LBB170_21
; %bb.5:
	s_add_i32 s14, s33, 31
	s_load_dwordx2 s[12:13], s[4:5], 0x20
	s_load_dword s9, s[4:5], 0x38
	s_ashr_i32 s15, s14, 31
	v_and_b32_e32 v1, 0xcf, v0
	s_lshr_b32 s15, s15, 27
	v_add_u32_e32 v1, s16, v1
	s_add_i32 s14, s14, s15
	v_ashrrev_i32_e32 v2, 31, v1
	s_ashr_i32 s19, s14, 5
	v_lshrrev_b32_e32 v6, 27, v2
	s_add_i32 s19, s19, -1
	v_add_u32_e32 v2, v1, v6
	s_waitcnt lgkmcnt(0)
	s_mul_i32 s14, s6, s9
	s_mov_b32 s15, 0
	v_ashrrev_i32_e32 v2, 5, v2
	v_mov_b32_e32 v7, s19
	v_cmp_gt_i32_e32 vcc, s33, v1
	s_lshl_b64 s[14:15], s[14:15], 2
	v_cndmask_b32_e32 v2, v7, v2, vcc
	s_add_u32 s17, s12, s14
	v_ashrrev_i32_e32 v3, 31, v2
	s_addc_u32 s18, s13, s15
	v_lshlrev_b64 v[2:3], 2, v[2:3]
	v_mov_b32_e32 v4, s18
	v_add_co_u32_e32 v2, vcc, s17, v2
	v_addc_co_u32_e32 v3, vcc, v4, v3, vcc
	v_or_b32_e32 v4, 16, v1
	v_add_u32_e32 v5, v4, v6
	v_ashrrev_i32_e32 v5, 5, v5
	v_cmp_gt_i32_e32 vcc, s33, v4
	v_cndmask_b32_e32 v4, v7, v5, vcc
	v_ashrrev_i32_e32 v5, 31, v4
	v_lshlrev_b64 v[4:5], 2, v[4:5]
	v_mov_b32_e32 v9, s18
	v_add_co_u32_e32 v8, vcc, s17, v4
	v_or_b32_e32 v4, 32, v1
	v_addc_co_u32_e32 v9, vcc, v9, v5, vcc
	v_add_u32_e32 v5, v4, v6
	v_ashrrev_i32_e32 v5, 5, v5
	v_cmp_gt_i32_e32 vcc, s33, v4
	v_cndmask_b32_e32 v4, v7, v5, vcc
	v_ashrrev_i32_e32 v5, 31, v4
	v_lshlrev_b64 v[4:5], 2, v[4:5]
	v_mov_b32_e32 v11, s18
	v_add_co_u32_e32 v10, vcc, s17, v4
	v_or_b32_e32 v1, 48, v1
	v_addc_co_u32_e32 v11, vcc, v11, v5, vcc
	v_add_u32_e32 v4, v1, v6
	v_ashrrev_i32_e32 v4, 5, v4
	v_cmp_gt_i32_e32 vcc, s33, v1
	v_cndmask_b32_e32 v4, v7, v4, vcc
	v_ashrrev_i32_e32 v5, 31, v4
	v_lshlrev_b64 v[4:5], 2, v[4:5]
	v_mov_b32_e32 v1, s18
	v_add_co_u32_e32 v12, vcc, s17, v4
	v_addc_co_u32_e32 v13, vcc, v1, v5, vcc
	global_load_dword v7, v[2:3], off
	global_load_dword v6, v[8:9], off
	;; [unrolled: 1-line block ×4, first 2 shown]
	s_andn2_b64 vcc, exec, s[2:3]
	s_cbranch_vccnz .LBB170_8
; %bb.6:
	s_add_u32 s0, s0, s10
	s_addc_u32 s1, s1, s11
	s_load_dword s9, s[0:1], 0x0
	s_branch .LBB170_9
.LBB170_7:
	s_mov_b64 s[12:13], 0
	s_branch .LBB170_2
.LBB170_8:
	s_mov_b32 s9, s6
.LBB170_9:
	s_load_dwordx2 s[12:13], s[4:5], 0x8
	s_load_dwordx4 s[0:3], s[4:5], 0x48
	v_lshrrev_b32_e32 v86, 6, v0
	v_bfe_u32 v1, v0, 4, 2
	v_lshl_or_b32 v8, v86, 2, v1
	v_and_b32_e32 v84, 15, v0
	s_mul_i32 s27, s8, 3
	v_lshlrev_b32_e32 v2, 3, v84
	v_cmp_lt_u32_e32 vcc, 2, v8
	s_and_saveexec_b64 s[10:11], vcc
	s_xor_b64 s[10:11], exec, s[10:11]
; %bb.10:
	v_mov_b32_e32 v3, 0
                                        ; implicit-def: $vgpr8
; %bb.11:
	s_or_saveexec_b64 s[14:15], s[10:11]
	s_load_dwordx2 s[10:11], s[4:5], 0x10
	v_add_u32_e32 v9, s27, v1
	buffer_store_dword v9, off, s[44:47], 0 ; 4-byte Folded Spill
	s_xor_b64 exec, exec, s[14:15]
	s_cbranch_execz .LBB170_13
; %bb.12:
	buffer_load_dword v3, off, s[44:47], 0  ; 4-byte Folded Reload
	s_load_dwordx2 s[20:21], s[4:5], 0x0
	s_waitcnt lgkmcnt(0)
	s_ashr_i32 s3, s0, 31
	s_mul_hi_u32 s22, s9, s0
	s_mul_i32 s3, s9, s3
	s_add_i32 s23, s22, s3
	s_mul_i32 s22, s9, s0
	s_lshl_b64 s[22:23], s[22:23], 1
	s_add_u32 s0, s20, s22
	s_addc_u32 s3, s21, s23
	v_lshlrev_b32_e32 v14, 9, v84
	v_lshlrev_b32_e32 v8, 5, v8
	v_and_b32_e32 v14, 0x1800, v14
	s_waitcnt vmcnt(0)
	v_lshlrev_b32_e32 v10, 7, v3
	v_ashrrev_i32_e32 v11, 31, v10
	v_lshlrev_b64 v[10:11], 1, v[10:11]
	v_mov_b32_e32 v3, s3
	v_add_co_u32_e32 v9, vcc, s0, v10
	v_addc_co_u32_e32 v3, vcc, v3, v11, vcc
	v_lshlrev_b32_e32 v10, 1, v2
	v_add_co_u32_e32 v10, vcc, v9, v10
	v_addc_co_u32_e32 v11, vcc, 0, v3, vcc
	global_load_dwordx4 v[10:13], v[10:11], off
	v_and_b32_e32 v9, 3, v0
	v_lshlrev_b32_e32 v9, 9, v9
	v_mov_b32_e32 v3, 0
	v_or3_b32 v8, v14, v9, v8
	s_waitcnt vmcnt(0)
	ds_write_b128 v8, v[10:13]
.LBB170_13:
	s_or_b64 exec, exec, s[14:15]
	s_waitcnt lgkmcnt(0)
	s_mul_i32 s2, s8, s2
	s_mov_b32 s3, 0
	s_lshl_b64 s[2:3], s[2:3], 1
	s_add_u32 s0, s12, s2
	s_waitcnt vmcnt(4)
	v_mad_i64_i32 v[8:9], s[8:9], v7, s1, 0
	s_addc_u32 s12, s13, s3
	v_lshlrev_b64 v[8:9], 1, v[8:9]
	v_mov_b32_e32 v7, s12
	v_add_co_u32_e32 v8, vcc, s0, v8
	v_addc_co_u32_e32 v7, vcc, v7, v9, vcc
	v_lshlrev_b64 v[14:15], 1, v[2:3]
	v_add_co_u32_e32 v8, vcc, v8, v14
	v_lshlrev_b32_e32 v12, 9, v1
	v_addc_co_u32_e32 v7, vcc, v7, v15, vcc
	v_add_co_u32_e32 v2, vcc, v8, v12
	v_addc_co_u32_e32 v3, vcc, 0, v7, vcc
	v_or_b32_e32 v10, 0x1000, v12
	s_barrier
	global_load_dwordx4 v[42:45], v[2:3], off
	global_load_dwordx4 v[34:37], v[2:3], off offset:2048
	v_add_co_u32_e32 v2, vcc, v8, v10
	v_addc_co_u32_e32 v3, vcc, 0, v7, vcc
	v_or_b32_e32 v11, 0x1800, v12
	v_add_co_u32_e32 v8, vcc, v8, v11
	v_addc_co_u32_e32 v9, vcc, 0, v7, vcc
	global_load_dwordx4 v[46:49], v[2:3], off
	global_load_dwordx4 v[58:61], v[8:9], off
	s_waitcnt vmcnt(7)
	v_mad_i64_i32 v[2:3], s[8:9], v6, s1, 0
	v_lshlrev_b64 v[2:3], 1, v[2:3]
	v_mov_b32_e32 v6, s12
	v_add_co_u32_e32 v2, vcc, s0, v2
	v_addc_co_u32_e32 v3, vcc, v6, v3, vcc
	v_mov_b32_e32 v6, 0x100
	v_lshl_or_b32 v8, v84, 4, v6
	v_add_co_u32_e32 v6, vcc, v2, v8
	v_addc_co_u32_e32 v7, vcc, 0, v3, vcc
	v_add_co_u32_e32 v2, vcc, v6, v12
	v_addc_co_u32_e32 v3, vcc, 0, v7, vcc
	global_load_dwordx4 v[74:77], v[2:3], off
	global_load_dwordx4 v[70:73], v[2:3], off offset:2048
	v_add_co_u32_e32 v2, vcc, v6, v10
	v_addc_co_u32_e32 v3, vcc, 0, v7, vcc
	v_add_co_u32_e32 v6, vcc, v6, v11
	v_addc_co_u32_e32 v7, vcc, 0, v7, vcc
	global_load_dwordx4 v[78:81], v[2:3], off
	global_load_dwordx4 v[66:69], v[6:7], off
	s_waitcnt vmcnt(10)
	v_mad_i64_i32 v[2:3], s[8:9], v5, s1, 0
	v_lshlrev_b64 v[2:3], 1, v[2:3]
	v_mov_b32_e32 v5, s12
	v_add_co_u32_e32 v2, vcc, s0, v2
	v_addc_co_u32_e32 v3, vcc, v5, v3, vcc
	v_add_co_u32_e32 v5, vcc, v2, v14
	buffer_store_dword v14, off, s[44:47], 0 offset:4 ; 4-byte Folded Spill
	s_nop 0
	buffer_store_dword v15, off, s[44:47], 0 offset:8 ; 4-byte Folded Spill
	v_and_b32_e32 v94, 63, v0
	v_mov_b32_e32 v88, 0
	v_addc_co_u32_e32 v7, vcc, v3, v15, vcc
	v_add_co_u32_e32 v2, vcc, v5, v12
	v_addc_co_u32_e32 v3, vcc, 0, v7, vcc
	global_load_dwordx4 v[62:65], v[2:3], off
	global_load_dwordx4 v[38:41], v[2:3], off offset:2048
	v_add_co_u32_e32 v2, vcc, v5, v10
	v_addc_co_u32_e32 v3, vcc, 0, v7, vcc
	v_add_co_u32_e32 v6, vcc, v5, v11
	v_addc_co_u32_e32 v7, vcc, 0, v7, vcc
	global_load_dwordx4 v[26:29], v[2:3], off
	global_load_dwordx4 v[18:21], v[6:7], off
	s_waitcnt vmcnt(15)
	v_mad_i64_i32 v[2:3], s[8:9], v4, s1, 0
	v_lshlrev_b64 v[2:3], 1, v[2:3]
	v_mov_b32_e32 v4, s12
	v_add_co_u32_e32 v2, vcc, s0, v2
	v_addc_co_u32_e32 v3, vcc, v4, v3, vcc
	v_add_co_u32_e32 v4, vcc, v2, v8
	v_addc_co_u32_e32 v5, vcc, 0, v3, vcc
	;; [unrolled: 2-line block ×3, first 2 shown]
	global_load_dwordx4 v[14:17], v[2:3], off
	global_load_dwordx4 v[6:9], v[2:3], off offset:2048
	v_add_co_u32_e32 v2, vcc, v4, v10
	v_addc_co_u32_e32 v3, vcc, 0, v5, vcc
	v_add_co_u32_e32 v10, vcc, v4, v11
	v_addc_co_u32_e32 v11, vcc, 0, v5, vcc
	global_load_dwordx4 v[2:5], v[2:3], off
	s_nop 0
	global_load_dwordx4 v[50:53], v[10:11], off
	v_mul_lo_u16_e32 v10, 0x56, v84
	v_mov_b32_e32 v11, 3
	v_mul_lo_u16_sdwa v10, v10, v11 dst_sel:DWORD dst_unused:UNUSED_PAD src0_sel:BYTE_1 src1_sel:DWORD
	v_sub_u16_e32 v10, v84, v10
	v_and_b32_e32 v10, 0xff, v10
	v_lshl_add_u32 v54, v10, 5, v12
	ds_read_b128 v[30:33], v54
	ds_read_b128 v[22:25], v54 offset:2048
	ds_read_b128 v[10:13], v54 offset:4096
	;; [unrolled: 1-line block ×3, first 2 shown]
	v_cmp_gt_u32_e32 vcc, 3, v84
	s_and_saveexec_b64 s[8:9], vcc
	s_cbranch_execz .LBB170_15
; %bb.14:
	s_load_dwordx2 s[12:13], s[4:5], 0x40
	v_add_u32_e32 v82, s27, v84
	v_ashrrev_i32_e32 v83, 31, v82
	v_lshlrev_b64 v[82:83], 2, v[82:83]
	s_waitcnt lgkmcnt(0)
	v_mov_b32_e32 v88, s13
	v_add_co_u32_e32 v82, vcc, s12, v82
	v_addc_co_u32_e32 v83, vcc, v88, v83, vcc
	global_load_dword v88, v[82:83], off
.LBB170_15:
	s_or_b64 exec, exec, s[8:9]
	s_waitcnt vmcnt(17) lgkmcnt(3)
	v_mfma_f32_16x16x16f16 v[90:93], v[42:43], v[30:31], 0
	s_ashr_i32 s0, s16, 31
	s_lshr_b32 s0, s0, 27
	s_add_u32 s2, s10, s2
	s_addc_u32 s3, s11, s3
	v_lshl_or_b32 v89, v86, 4, v84
	s_mov_b32 s40, 0xff7fffff
	v_mfma_f32_16x16x16f16 v[42:45], v[44:45], v[32:33], v[90:93]
	s_waitcnt vmcnt(16) lgkmcnt(2)
	v_mfma_f32_16x16x16f16 v[42:45], v[34:35], v[22:23], v[42:45]
	v_mfma_f32_16x16x16f16 v[34:37], v[36:37], v[24:25], v[42:45]
	s_waitcnt vmcnt(15) lgkmcnt(1)
	v_mfma_f32_16x16x16f16 v[34:37], v[46:47], v[10:11], v[34:37]
	v_and_or_b32 v46, v0, 48, s16
	s_nop 6
	v_add_u32_e32 v42, s0, v46
	v_ashrrev_i32_e32 v42, 5, v42
	v_mov_b32_e32 v47, s19
	v_cmp_gt_i32_e32 vcc, s33, v46
	v_cndmask_b32_e32 v42, v47, v42, vcc
	v_ashrrev_i32_e32 v43, 31, v42
	v_mfma_f32_16x16x16f16 v[34:37], v[48:49], v[12:13], v[34:37]
	v_or_b32_e32 v44, 64, v46
	v_add_u32_e32 v45, s0, v44
	v_ashrrev_i32_e32 v45, 5, v45
	v_mov_b32_e32 v48, s18
	s_waitcnt vmcnt(14) lgkmcnt(0)
	v_mfma_f32_16x16x16f16 v[34:37], v[58:59], v[54:55], v[34:37]
	v_mfma_f32_16x16x16f16 v[58:61], v[60:61], v[56:57], v[34:37]
	s_waitcnt vmcnt(13)
	v_mfma_f32_16x16x16f16 v[34:37], v[74:75], v[30:31], 0
	v_mfma_f32_16x16x16f16 v[34:37], v[76:77], v[32:33], v[34:37]
	v_lshlrev_b32_e32 v77, 6, v89
	s_waitcnt vmcnt(12)
	v_mfma_f32_16x16x16f16 v[34:37], v[70:71], v[22:23], v[34:37]
	v_mfma_f32_16x16x16f16 v[34:37], v[72:73], v[24:25], v[34:37]
	s_waitcnt vmcnt(11)
	v_mfma_f32_16x16x16f16 v[34:37], v[78:79], v[10:11], v[34:37]
	v_mfma_f32_16x16x16f16 v[34:37], v[80:81], v[12:13], v[34:37]
	;; [unrolled: 3-line block ×3, first 2 shown]
	s_nop 7
	s_nop 1
	v_lshlrev_b64 v[34:35], 2, v[42:43]
	v_mov_b32_e32 v36, s18
	v_add_co_u32_e32 v42, vcc, s17, v34
	v_addc_co_u32_e32 v43, vcc, v36, v35, vcc
	v_cmp_gt_i32_e32 vcc, s33, v44
	v_cndmask_b32_e32 v44, v47, v45, vcc
	s_waitcnt vmcnt(7)
	v_mfma_f32_16x16x16f16 v[34:37], v[62:63], v[30:31], 0
	v_ashrrev_i32_e32 v45, 31, v44
	v_lshlrev_b64 v[44:45], 2, v[44:45]
	v_add_co_u32_e32 v44, vcc, s17, v44
	v_addc_co_u32_e32 v45, vcc, v48, v45, vcc
	global_load_dword v42, v[42:43], off
	s_nop 0
	global_load_dword v62, v[44:45], off
	v_mfma_f32_16x16x16f16 v[34:37], v[64:65], v[32:33], v[34:37]
	v_or_b32_e32 v43, 0x80, v46
	v_cmp_gt_i32_e32 vcc, s33, v43
	s_waitcnt vmcnt(8)
	v_mfma_f32_16x16x16f16 v[34:37], v[38:39], v[22:23], v[34:37]
	v_add_u32_e32 v38, s0, v43
	v_ashrrev_i32_e32 v38, 5, v38
	v_cndmask_b32_e32 v38, v47, v38, vcc
	v_ashrrev_i32_e32 v39, 31, v38
	v_lshlrev_b64 v[38:39], 2, v[38:39]
	v_mov_b32_e32 v43, s18
	v_add_co_u32_e32 v38, vcc, s17, v38
	v_addc_co_u32_e32 v39, vcc, v43, v39, vcc
	global_load_dword v63, v[38:39], off
	v_mfma_f32_16x16x16f16 v[34:37], v[40:41], v[24:25], v[34:37]
	v_or_b32_e32 v38, 0xc0, v46
	v_add_u32_e32 v39, s0, v38
	v_ashrrev_i32_e32 v39, 5, v39
	v_cmp_gt_i32_e32 vcc, s33, v38
	v_cndmask_b32_e32 v38, v47, v39, vcc
	v_ashrrev_i32_e32 v39, 31, v38
	s_load_dword s0, s[4:5], 0x1c
	s_waitcnt vmcnt(8)
	v_mfma_f32_16x16x16f16 v[34:37], v[26:27], v[10:11], v[34:37]
	v_lshlrev_b64 v[26:27], 2, v[38:39]
	v_mov_b32_e32 v39, s18
	v_add_co_u32_e32 v38, vcc, s17, v26
	v_addc_co_u32_e32 v39, vcc, v39, v27, vcc
	global_load_dword v74, v[38:39], off
	v_mfma_f32_16x16x16f16 v[26:29], v[28:29], v[12:13], v[34:37]
	s_waitcnt lgkmcnt(0)
	v_pk_mul_f32 v[58:59], s[0:1], v[58:59] op_sel_hi:[0,1]
	s_waitcnt vmcnt(8)
	v_mfma_f32_16x16x16f16 v[26:29], v[18:19], v[54:55], v[26:29]
	s_nop 2
	v_and_b32_e32 v34, 16, v0
	v_lshlrev_b32_e32 v34, 1, v34
	v_mov_b32_e32 v18, s3
	v_add_co_u32_e32 v75, vcc, s2, v34
	v_addc_co_u32_e32 v76, vcc, 0, v18, vcc
	v_mfma_f32_16x16x16f16 v[90:93], v[20:21], v[56:57], v[26:29]
	v_add_co_u32_e32 v78, vcc, v75, v77
	v_addc_co_u32_e32 v79, vcc, 0, v76, vcc
	s_waitcnt vmcnt(3)
	v_mad_i64_i32 v[18:19], s[2:3], v42, s1, 0
	v_lshlrev_b64 v[70:71], 1, v[18:19]
	v_mfma_f32_16x16x16f16 v[18:21], v[14:15], v[30:31], 0
	v_add_co_u32_e32 v14, vcc, v78, v70
	v_addc_co_u32_e32 v15, vcc, v79, v71, vcc
	global_load_dwordx4 v[46:49], v[14:15], off
	global_load_dwordx4 v[42:45], v[14:15], off offset:16
	s_waitcnt vmcnt(4)
	v_mad_i64_i32 v[14:15], s[2:3], v62, s1, 0
	v_lshlrev_b64 v[72:73], 1, v[14:15]
	v_mfma_f32_16x16x16f16 v[14:17], v[16:17], v[32:33], v[18:21]
	v_mfma_f32_16x16x16f16 v[14:17], v[6:7], v[22:23], v[14:17]
	s_nop 5
	v_add_co_u32_e32 v18, vcc, v78, v72
	v_addc_co_u32_e32 v19, vcc, v79, v73, vcc
	global_load_dwordx4 v[38:41], v[18:19], off
	global_load_dwordx4 v[34:37], v[18:19], off offset:16
	s_waitcnt vmcnt(5)
	v_mad_i64_i32 v[18:19], s[2:3], v63, s1, 0
	v_lshlrev_b64 v[64:65], 1, v[18:19]
	v_add_co_u32_e32 v6, vcc, v78, v64
	v_addc_co_u32_e32 v7, vcc, v79, v65, vcc
	global_load_dwordx4 v[30:33], v[6:7], off
	global_load_dwordx4 v[26:29], v[6:7], off offset:16
	v_mfma_f32_16x16x16f16 v[6:9], v[8:9], v[24:25], v[14:17]
	v_mfma_f32_16x16x16f16 v[6:9], v[2:3], v[10:11], v[6:9]
	s_waitcnt vmcnt(6)
	s_nop 4
	v_mad_i64_i32 v[14:15], s[2:3], v74, s1, 0
	v_lshlrev_b64 v[62:63], 1, v[14:15]
	v_add_co_u32_e32 v14, vcc, v78, v62
	v_addc_co_u32_e32 v15, vcc, v79, v63, vcc
	v_mfma_f32_16x16x16f16 v[10:13], v[4:5], v[12:13], v[6:9]
	v_or_b32_e32 v2, 0x1000, v77
	v_add_co_u32_e32 v85, vcc, v75, v2
	v_pk_mul_f32 v[74:75], s[0:1], v[68:69] op_sel_hi:[0,1]
	v_addc_co_u32_e32 v87, vcc, 0, v76, vcc
	v_pk_mul_f32 v[76:77], s[0:1], v[66:67] op_sel_hi:[0,1]
	v_mfma_f32_16x16x16f16 v[80:83], v[50:51], v[54:55], v[10:13]
	v_pk_mul_f32 v[78:79], s[0:1], v[60:61] op_sel_hi:[0,1]
	v_add_co_u32_e32 v2, vcc, v85, v70
	v_addc_co_u32_e32 v3, vcc, v87, v71, vcc
	v_add_co_u32_e32 v70, vcc, v85, v72
	v_mfma_f32_16x16x16f16 v[50:53], v[52:53], v[56:57], v[80:83]
	v_addc_co_u32_e32 v71, vcc, v87, v73, vcc
	global_load_dwordx4 v[22:25], v[14:15], off
	global_load_dwordx4 v[18:21], v[14:15], off offset:16
	global_load_dwordx4 v[6:9], v[2:3], off
	s_nop 0
	global_load_dwordx4 v[2:5], v[2:3], off offset:16
	s_nop 0
	global_load_dwordx4 v[14:17], v[70:71], off
	global_load_dwordx4 v[10:13], v[70:71], off offset:16
	v_pk_mul_f32 v[70:71], s[0:1], v[92:93] op_sel_hi:[0,1]
	v_pk_mul_f32 v[72:73], s[0:1], v[90:91] op_sel_hi:[0,1]
	;; [unrolled: 1-line block ×3, first 2 shown]
	v_and_b32_e32 v50, 0xc0, v0
	v_add_u32_e32 v50, s16, v50
	v_lshl_or_b32 v50, v1, 2, v50
	v_or_b32_e32 v51, 1, v50
	v_pk_mul_f32 v[66:67], s[0:1], v[52:53] op_sel_hi:[0,1]
	v_subrev_u32_e32 v52, s33, v51
	v_add_u32_e32 v54, 1, v52
	v_add_u32_e32 v55, 2, v52
	v_cvt_f32_i32_e32 v53, v52
	v_cvt_f32_i32_e32 v54, v54
	;; [unrolled: 1-line block ×3, first 2 shown]
	v_add_u32_e32 v56, 3, v52
	v_fma_f32 v58, v88, v53, v58
	v_fmac_f32_e32 v59, v88, v54
	v_fma_f32 v78, v88, v55, v78
	v_add_u32_e32 v53, 16, v52
	v_add_u32_e32 v54, 17, v52
	;; [unrolled: 1-line block ×3, first 2 shown]
	v_cvt_f32_i32_e32 v56, v56
	v_cvt_f32_i32_e32 v53, v53
	;; [unrolled: 1-line block ×4, first 2 shown]
	v_fmac_f32_e32 v79, v88, v56
	v_add_u32_e32 v56, 19, v52
	v_fma_f32 v76, v88, v53, v76
	v_fmac_f32_e32 v77, v88, v54
	v_fma_f32 v74, v88, v55, v74
	v_add_u32_e32 v53, 32, v52
	v_add_u32_e32 v54, 33, v52
	;; [unrolled: 1-line block ×3, first 2 shown]
	v_cvt_f32_i32_e32 v56, v56
	v_cvt_f32_i32_e32 v53, v53
	;; [unrolled: 1-line block ×4, first 2 shown]
	v_fmac_f32_e32 v75, v88, v56
	v_add_u32_e32 v56, 35, v52
	v_fma_f32 v72, v88, v53, v72
	v_fmac_f32_e32 v73, v88, v54
	v_fma_f32 v70, v88, v55, v70
	v_add_u32_e32 v53, 48, v52
	v_add_u32_e32 v54, 49, v52
	;; [unrolled: 1-line block ×4, first 2 shown]
	v_cvt_f32_i32_e32 v52, v52
	v_cvt_f32_i32_e32 v53, v53
	v_cvt_f32_i32_e32 v54, v54
	v_cmp_gt_i32_e64 s[28:29], s33, v50
	v_fmac_f32_e32 v67, v88, v52
	v_mov_b32_e32 v52, 0xff7fffff
	v_cmp_gt_i32_e64 s[30:31], s33, v51
	v_fma_f32 v68, v88, v53, v68
	v_cndmask_b32_e64 v53, v52, v58, s[28:29]
	v_cndmask_b32_e64 v51, v52, v59, s[30:31]
	v_fmac_f32_e32 v69, v88, v54
	v_max3_f32 v51, v53, s40, v51
	v_or_b32_e32 v53, 2, v50
	v_or_b32_e32 v54, 3, v50
	v_cmp_gt_i32_e64 s[34:35], s33, v53
	v_cmp_gt_i32_e64 s[36:37], s33, v54
	v_cndmask_b32_e64 v53, v52, v78, s[34:35]
	v_cndmask_b32_e64 v54, v52, v79, s[36:37]
	v_max3_f32 v51, v51, v53, v54
	v_or_b32_e32 v53, 16, v50
	v_or_b32_e32 v54, 17, v50
	v_cmp_gt_i32_e64 s[22:23], s33, v53
	v_cmp_gt_i32_e64 s[24:25], s33, v54
	v_cndmask_b32_e64 v53, v52, v76, s[22:23]
	v_cndmask_b32_e64 v54, v52, v77, s[24:25]
	;; [unrolled: 7-line block ×3, first 2 shown]
	v_cvt_f32_i32_e32 v56, v56
	v_max3_f32 v51, v51, v53, v54
	v_or_b32_e32 v53, 32, v50
	v_or_b32_e32 v54, 33, v50
	v_cmp_gt_i32_e64 s[14:15], s33, v53
	v_cmp_gt_i32_e64 s[16:17], s33, v54
	v_cndmask_b32_e64 v53, v52, v72, s[14:15]
	v_cndmask_b32_e64 v54, v52, v73, s[16:17]
	v_max3_f32 v51, v51, v53, v54
	v_or_b32_e32 v53, 34, v50
	v_or_b32_e32 v54, 35, v50
	v_fmac_f32_e32 v71, v88, v56
	v_cmp_gt_i32_e64 s[10:11], s33, v53
	v_cmp_gt_i32_e64 s[12:13], s33, v54
	v_cndmask_b32_e64 v53, v52, v70, s[10:11]
	v_cndmask_b32_e64 v54, v52, v71, s[12:13]
	v_cvt_f32_i32_e32 v55, v55
	v_max3_f32 v51, v51, v53, v54
	v_or_b32_e32 v53, 48, v50
	v_or_b32_e32 v54, 49, v50
	v_cmp_gt_i32_e64 s[2:3], s33, v53
	v_cmp_gt_i32_e64 s[8:9], s33, v54
	v_cndmask_b32_e64 v53, v52, v68, s[2:3]
	v_cndmask_b32_e64 v54, v52, v69, s[8:9]
	v_max3_f32 v51, v51, v53, v54
	v_or_b32_e32 v53, 50, v50
	v_or_b32_e32 v50, 51, v50
	v_fma_f32 v66, v88, v55, v66
	v_cmp_gt_i32_e32 vcc, s33, v53
	v_cmp_gt_i32_e64 s[0:1], s33, v50
	v_cndmask_b32_e32 v53, v52, v66, vcc
	v_cndmask_b32_e64 v50, v52, v67, s[0:1]
	v_max3_f32 v60, v51, v53, v50
	v_mbcnt_lo_u32_b32 v50, -1, 0
	v_mbcnt_hi_u32_b32 v61, -1, v50
	v_and_b32_e32 v50, 64, v61
	v_add_u32_e32 v80, 64, v50
	v_xor_b32_e32 v50, 32, v61
	v_cmp_lt_i32_e64 s[38:39], v50, v80
	v_cndmask_b32_e64 v50, v61, v50, s[38:39]
	v_lshlrev_b32_e32 v82, 2, v50
	ds_bpermute_b32 v81, v82, v60
	v_add_co_u32_e64 v50, s[38:39], v85, v64
	v_addc_co_u32_e64 v51, s[38:39], v87, v65, s[38:39]
	s_waitcnt lgkmcnt(0)
	v_max_f32_e32 v64, v81, v81
	v_max_f32_e32 v64, v60, v64
	v_xor_b32_e32 v60, 16, v61
	v_cmp_lt_i32_e64 s[38:39], v60, v80
	v_cndmask_b32_e64 v60, v61, v60, s[38:39]
	v_lshlrev_b32_e32 v83, 2, v60
	ds_bpermute_b32 v65, v83, v64
	v_add_co_u32_e64 v60, s[38:39], v85, v62
	v_addc_co_u32_e64 v61, s[38:39], v87, v63, s[38:39]
	s_waitcnt lgkmcnt(0)
	v_max_f32_e32 v62, v65, v65
	v_max_f32_e32 v88, v64, v62
	v_sub_f32_e32 v58, v58, v88
	v_mul_f32_e32 v58, 0x3fb8aa3b, v58
	v_exp_f32_e32 v80, v58
	v_sub_f32_e32 v58, v59, v88
	v_mul_f32_e32 v58, 0x3fb8aa3b, v58
	global_load_dwordx4 v[54:57], v[50:51], off
	s_nop 0
	global_load_dwordx4 v[50:53], v[50:51], off offset:16
	v_exp_f32_e32 v81, v58
	global_load_dwordx4 v[62:65], v[60:61], off
	s_nop 0
	global_load_dwordx4 v[58:61], v[60:61], off offset:16
	v_sub_f32_e32 v78, v78, v88
	v_mul_f32_e32 v78, 0x3fb8aa3b, v78
	v_sub_f32_e32 v79, v79, v88
	v_exp_f32_e32 v78, v78
	v_mul_f32_e32 v79, 0x3fb8aa3b, v79
	v_sub_f32_e32 v76, v76, v88
	v_exp_f32_e32 v79, v79
	v_mul_f32_e32 v76, 0x3fb8aa3b, v76
	v_sub_f32_e32 v77, v77, v88
	v_cndmask_b32_e64 v80, 0, v80, s[28:29]
	v_exp_f32_e32 v76, v76
	v_mul_f32_e32 v77, 0x3fb8aa3b, v77
	v_sub_f32_e32 v74, v74, v88
	v_add_f32_e32 v85, 0, v80
	v_cndmask_b32_e64 v81, 0, v81, s[30:31]
	v_exp_f32_e32 v77, v77
	v_mul_f32_e32 v74, 0x3fb8aa3b, v74
	v_sub_f32_e32 v75, v75, v88
	v_add_f32_e32 v85, v85, v81
	;; [unrolled: 5-line block ×10, first 2 shown]
	v_cndmask_b32_e64 v70, 0, v70, s[10:11]
	v_exp_f32_e32 v66, v66
	v_mul_f32_e32 v67, 0x3fb8aa3b, v67
	v_add_f32_e32 v85, v85, v70
	v_cndmask_b32_e64 v71, 0, v71, s[12:13]
	v_exp_f32_e32 v67, v67
	v_add_f32_e32 v85, v85, v71
	v_cndmask_b32_e64 v68, 0, v68, s[2:3]
	v_add_f32_e32 v85, v85, v68
	v_cndmask_b32_e64 v69, 0, v69, s[8:9]
	v_add_f32_e32 v85, v85, v69
	v_cndmask_b32_e32 v66, 0, v66, vcc
	v_add_f32_e32 v85, v85, v66
	v_cndmask_b32_e64 v67, 0, v67, s[0:1]
	v_add_f32_e32 v85, v85, v67
	ds_bpermute_b32 v82, v82, v85
	s_load_dword s8, s[4:5], 0x98
	v_cmp_gt_u32_e32 vcc, 16, v94
	s_waitcnt lgkmcnt(0)
	s_barrier
	v_add_f32_e32 v90, v85, v82
	ds_bpermute_b32 v91, v83, v90
	s_waitcnt lgkmcnt(0)
	s_and_saveexec_b64 s[0:1], vcc
	s_cbranch_execz .LBB170_17
; %bb.16:
	v_add_f32_e32 v82, v90, v91
	v_lshlrev_b32_e32 v83, 2, v89
	ds_write2st64_b32 v83, v88, v82 offset1:1
.LBB170_17:
	s_or_b64 exec, exec, s[0:1]
	v_lshlrev_b32_e32 v85, 2, v84
	s_load_dword s2, s[4:5], 0x94
	s_waitcnt lgkmcnt(0)
	s_barrier
	ds_read2_b32 v[82:83], v85 offset1:16
	ds_read2_b32 v[88:89], v85 offset0:32 offset1:48
	ds_read2_b32 v[90:91], v85 offset0:64 offset1:80
	s_mul_i32 s8, s8, 3
	s_waitcnt lgkmcnt(2)
	v_max3_f32 v87, v82, s40, v83
	s_waitcnt lgkmcnt(1)
	v_max3_f32 v87, v87, v88, v89
	v_sub_f32_e32 v82, v82, v87
	v_mul_f32_e32 v82, 0x3fb8aa3b, v82
	v_exp_f32_e32 v92, v82
	v_sub_f32_e32 v82, v83, v87
	v_mul_f32_e32 v82, 0x3fb8aa3b, v82
	v_exp_f32_e32 v93, v82
	;; [unrolled: 3-line block ×3, first 2 shown]
	ds_read2_b32 v[82:83], v85 offset0:96 offset1:112
	v_sub_f32_e32 v85, v89, v87
	v_mul_f32_e32 v85, 0x3fb8aa3b, v85
	v_exp_f32_e32 v85, v85
	s_waitcnt lgkmcnt(1)
	v_fma_f32 v88, v92, v90, 0
	v_fmac_f32_e32 v88, v93, v91
	s_waitcnt lgkmcnt(0)
	v_fmac_f32_e32 v88, v94, v82
	v_fmac_f32_e32 v88, v85, v83
	v_add_f32_e32 v82, 0x358637bd, v88
	v_div_scale_f32 v83, s[0:1], v82, v82, 1.0
	v_rcp_f32_e32 v89, v83
	s_barrier
	v_fma_f32 v90, -v83, v89, 1.0
	v_fmac_f32_e32 v89, v90, v89
	v_div_scale_f32 v90, vcc, 1.0, v82, 1.0
	v_mul_f32_e32 v91, v90, v89
	v_fma_f32 v95, -v83, v91, v90
	v_fmac_f32_e32 v91, v95, v89
	v_fma_f32 v83, -v83, v91, v90
	v_div_fmas_f32 v83, v83, v89, v91
	v_cmp_eq_u32_e32 vcc, 1, v86
	v_div_fixup_f32 v82, v83, v82, 1.0
	v_cndmask_b32_e32 v83, v92, v93, vcc
	v_cmp_eq_u32_e32 vcc, 2, v86
	v_cndmask_b32_e32 v83, v83, v94, vcc
	v_cmp_eq_u32_e32 vcc, 3, v86
	v_cndmask_b32_e32 v83, v83, v85, vcc
	v_mul_f32_e32 v82, v83, v82
	v_pk_mul_f32 v[78:79], v[82:83], v[78:79] op_sel_hi:[0,1]
	v_pk_mul_f32 v[80:81], v[82:83], v[80:81] op_sel_hi:[0,1]
	v_cvt_f16_f32_e32 v80, v80
	v_cvt_f16_f32_e32 v81, v81
	;; [unrolled: 1-line block ×4, first 2 shown]
	v_pk_mul_f32 v[74:75], v[82:83], v[74:75] op_sel_hi:[0,1]
	v_pk_mul_f32 v[76:77], v[82:83], v[76:77] op_sel_hi:[0,1]
	v_cvt_f16_f32_e32 v76, v76
	v_cvt_f16_f32_e32 v77, v77
	;; [unrolled: 1-line block ×4, first 2 shown]
	v_pack_b32_f16 v80, v80, v81
	v_pack_b32_f16 v81, v78, v79
	v_lshlrev_b32_e32 v79, 3, v1
	v_lshlrev_b32_e32 v78, 5, v84
	;; [unrolled: 1-line block ×3, first 2 shown]
	v_or3_b32 v74, v74, v78, v79
	v_pack_b32_f16 v76, v76, v77
	v_pack_b32_f16 v77, v83, v75
	v_pk_mul_f32 v[70:71], v[82:83], v[70:71] op_sel_hi:[0,1]
	v_pk_mul_f32 v[72:73], v[82:83], v[72:73] op_sel_hi:[0,1]
	v_pk_mul_f32 v[66:67], v[82:83], v[66:67] op_sel_hi:[0,1]
	v_pk_mul_f32 v[68:69], v[82:83], v[68:69] op_sel_hi:[0,1]
	ds_write2st64_b64 v74, v[80:81], v[76:77] offset1:1
	v_cvt_f16_f32_e32 v72, v72
	v_cvt_f16_f32_e32 v73, v73
	;; [unrolled: 1-line block ×8, first 2 shown]
	v_pack_b32_f16 v66, v72, v73
	v_pack_b32_f16 v67, v70, v71
	;; [unrolled: 1-line block ×4, first 2 shown]
	v_cmp_gt_u32_e32 vcc, 3, v0
	ds_write2st64_b64 v74, v[66:67], v[68:69] offset0:2 offset1:3
	s_and_saveexec_b64 s[0:1], vcc
	s_cbranch_execz .LBB170_19
; %bb.18:
	v_add_co_u32_e32 v68, vcc, s27, v84
	v_addc_co_u32_e64 v69, s[10:11], 0, 0, vcc
	v_mov_b32_e32 v66, s8
	v_mov_b32_e32 v67, 0
	v_mad_u64_u32 v[68:69], s[10:11], s6, v66, v[68:69]
	v_mov_b32_e32 v66, s26
	s_load_dwordx4 s[12:15], s[4:5], 0x58
	s_mul_i32 s3, s7, s8
	v_mad_u64_u32 v[66:67], s[10:11], v68, s2, v[66:67]
	v_add_u32_e32 v69, s3, v69
	v_mov_b32_e32 v68, v67
	v_mad_u64_u32 v[68:69], s[10:11], v69, s2, v[68:69]
	v_mov_b32_e32 v67, v68
	v_lshlrev_b64 v[66:67], 2, v[66:67]
	s_waitcnt lgkmcnt(0)
	v_mov_b32_e32 v69, s15
	v_add_co_u32_e32 v68, vcc, s14, v66
	v_addc_co_u32_e32 v69, vcc, v69, v67, vcc
	global_store_dword v[68:69], v87, off
	v_mov_b32_e32 v68, s13
	v_add_co_u32_e32 v66, vcc, s12, v66
	v_addc_co_u32_e32 v67, vcc, v68, v67, vcc
	global_store_dword v[66:67], v88, off
.LBB170_19:
	s_or_b64 exec, exec, s[0:1]
	v_lshl_or_b32 v75, v1, 9, v78
	s_waitcnt lgkmcnt(0)
	s_barrier
	ds_read_b128 v[70:73], v75
	ds_read_b128 v[66:69], v75 offset:16
	s_waitcnt vmcnt(15) lgkmcnt(1)
	v_mfma_f32_16x16x16f16 v[76:79], v[46:47], v[70:71], 0
	v_cmp_gt_u32_e32 vcc, 64, v0
	v_cmp_ne_u32_e64 s[0:1], 3, v1
	s_mov_b32 s3, 0
	s_and_b64 s[0:1], vcc, s[0:1]
	v_mfma_f32_16x16x16f16 v[46:49], v[48:49], v[72:73], v[76:79]
	s_waitcnt vmcnt(14) lgkmcnt(0)
	v_mfma_f32_16x16x16f16 v[46:49], v[42:43], v[66:67], v[46:49]
	v_mfma_f32_16x16x16f16 v[42:45], v[44:45], v[68:69], v[46:49]
	s_nop 7
	s_nop 1
	ds_read_b128 v[46:49], v75 offset:2048
	ds_read_b128 v[76:79], v75 offset:2064
	s_waitcnt vmcnt(13) lgkmcnt(1)
	v_mfma_f32_16x16x16f16 v[42:45], v[38:39], v[46:47], v[42:45]
	v_mfma_f32_16x16x16f16 v[38:41], v[40:41], v[48:49], v[42:45]
	s_waitcnt vmcnt(12) lgkmcnt(0)
	v_mfma_f32_16x16x16f16 v[38:41], v[34:35], v[76:77], v[38:41]
	v_mfma_f32_16x16x16f16 v[34:37], v[36:37], v[78:79], v[38:41]
	s_nop 7
	s_nop 1
	ds_read_b128 v[38:41], v75 offset:4096
	ds_read_b128 v[42:45], v75 offset:4112
	s_waitcnt vmcnt(11) lgkmcnt(1)
	v_mfma_f32_16x16x16f16 v[34:37], v[30:31], v[38:39], v[34:37]
	v_mfma_f32_16x16x16f16 v[30:33], v[32:33], v[40:41], v[34:37]
	s_waitcnt vmcnt(10) lgkmcnt(0)
	v_mfma_f32_16x16x16f16 v[30:33], v[26:27], v[42:43], v[30:33]
	v_mfma_f32_16x16x16f16 v[26:29], v[28:29], v[44:45], v[30:33]
	s_nop 7
	s_nop 1
	ds_read_b128 v[30:33], v75 offset:6144
	ds_read_b128 v[34:37], v75 offset:6160
	s_waitcnt lgkmcnt(0)
	s_barrier
	s_waitcnt vmcnt(9)
	v_mfma_f32_16x16x16f16 v[26:29], v[22:23], v[30:31], v[26:29]
	v_mfma_f32_16x16x16f16 v[22:25], v[24:25], v[32:33], v[26:29]
	s_waitcnt vmcnt(8)
	v_mfma_f32_16x16x16f16 v[22:25], v[18:19], v[34:35], v[22:25]
	v_mfma_f32_16x16x16f16 v[18:21], v[20:21], v[36:37], v[22:25]
	;; [unrolled: 3-line block ×4, first 2 shown]
	s_waitcnt vmcnt(5)
	v_mfma_f32_16x16x16f16 v[2:5], v[14:15], v[46:47], v[2:5]
	s_nop 7
	v_cvt_f16_f32_e32 v6, v18
	v_cvt_f16_f32_e32 v7, v19
	;; [unrolled: 1-line block ×4, first 2 shown]
	v_mfma_f32_16x16x16f16 v[2:5], v[16:17], v[48:49], v[2:5]
	s_waitcnt vmcnt(4)
	v_mfma_f32_16x16x16f16 v[2:5], v[10:11], v[76:77], v[2:5]
	v_mfma_f32_16x16x16f16 v[2:5], v[12:13], v[78:79], v[2:5]
	s_waitcnt vmcnt(3)
	v_mfma_f32_16x16x16f16 v[2:5], v[54:55], v[38:39], v[2:5]
	;; [unrolled: 3-line block ×5, first 2 shown]
	v_mfma_f32_16x16x16f16 v[2:5], v[60:61], v[36:37], v[2:5]
	s_nop 7
	s_nop 2
	v_cvt_f16_f32_e32 v10, v2
	v_cvt_f16_f32_e32 v11, v3
	;; [unrolled: 1-line block ×4, first 2 shown]
	v_pack_b32_f16 v2, v6, v7
	v_pack_b32_f16 v3, v8, v9
	;; [unrolled: 1-line block ×4, first 2 shown]
	ds_write2st64_b64 v74, v[2:3], v[4:5] offset1:1
	s_waitcnt lgkmcnt(0)
	s_barrier
	s_and_saveexec_b64 s[10:11], s[0:1]
	s_cbranch_execz .LBB170_21
; %bb.20:
	buffer_load_dword v4, off, s[44:47], 0  ; 4-byte Folded Reload
	s_load_dwordx2 s[0:1], s[4:5], 0x68
	s_mul_i32 s4, s8, s6
	s_lshl_b32 s6, s2, 7
	s_mul_hi_u32 s5, s4, s6
	s_mul_i32 s4, s4, s6
	s_lshl_b64 s[4:5], s[4:5], 1
	s_waitcnt lgkmcnt(0)
	s_add_u32 s4, s0, s4
	s_addc_u32 s5, s1, s5
	s_lshl_b32 s2, s26, 7
	s_lshl_b64 s[0:1], s[2:3], 1
	v_lshlrev_b32_e32 v3, 6, v84
	s_add_u32 s2, s4, s0
	v_lshlrev_b32_e32 v2, 4, v0
	v_lshl_or_b32 v0, v0, 10, v3
	s_addc_u32 s3, s5, s1
	v_lshlrev_b32_e32 v1, 5, v1
	v_and_b32_e32 v2, 16, v2
	v_and_b32_e32 v0, 0x1a00, v0
	v_or3_b32 v0, v0, v1, v2
	v_mov_b32_e32 v6, s3
	ds_read_b128 v[0:3], v0
	s_waitcnt vmcnt(0)
	v_mad_u64_u32 v[4:5], s[0:1], s6, v4, 0
	v_lshlrev_b64 v[4:5], 1, v[4:5]
	v_add_co_u32_e32 v4, vcc, s2, v4
	v_addc_co_u32_e32 v5, vcc, v6, v5, vcc
	buffer_load_dword v6, off, s[44:47], 0 offset:4 ; 4-byte Folded Reload
	buffer_load_dword v7, off, s[44:47], 0 offset:8 ; 4-byte Folded Reload
	s_waitcnt vmcnt(1)
	v_add_co_u32_e32 v4, vcc, v4, v6
	s_waitcnt vmcnt(0)
	v_addc_co_u32_e32 v5, vcc, v5, v7, vcc
	s_waitcnt lgkmcnt(0)
	global_store_dwordx4 v[4:5], v[0:3], off
.LBB170_21:
	s_endpgm
	.section	.rodata,"a",@progbits
	.p2align	6, 0x0
	.amdhsa_kernel _Z39paged_attention_ll4mi_QKV_mfma16_kernelIDF16_DF16_LN4vllm18Fp8KVCacheDataTypeE0EDF16_Li32ELi128ELi256ELb1ELi3EL8MFMAType0EEvPKT_PKT0_S8_ifPKiSA_SA_iPKfiiiPfSD_PS3_PT2_iSC_SC_
		.amdhsa_group_segment_fixed_size 8192
		.amdhsa_private_segment_fixed_size 16
		.amdhsa_kernarg_size 400
		.amdhsa_user_sgpr_count 6
		.amdhsa_user_sgpr_private_segment_buffer 1
		.amdhsa_user_sgpr_dispatch_ptr 0
		.amdhsa_user_sgpr_queue_ptr 0
		.amdhsa_user_sgpr_kernarg_segment_ptr 1
		.amdhsa_user_sgpr_dispatch_id 0
		.amdhsa_user_sgpr_flat_scratch_init 0
		.amdhsa_user_sgpr_kernarg_preload_length 0
		.amdhsa_user_sgpr_kernarg_preload_offset 0
		.amdhsa_user_sgpr_private_segment_size 0
		.amdhsa_uses_dynamic_stack 0
		.amdhsa_system_sgpr_private_segment_wavefront_offset 1
		.amdhsa_system_sgpr_workgroup_id_x 1
		.amdhsa_system_sgpr_workgroup_id_y 1
		.amdhsa_system_sgpr_workgroup_id_z 1
		.amdhsa_system_sgpr_workgroup_info 0
		.amdhsa_system_vgpr_workitem_id 0
		.amdhsa_next_free_vgpr 96
		.amdhsa_next_free_sgpr 48
		.amdhsa_accum_offset 96
		.amdhsa_reserve_vcc 1
		.amdhsa_reserve_flat_scratch 0
		.amdhsa_float_round_mode_32 0
		.amdhsa_float_round_mode_16_64 0
		.amdhsa_float_denorm_mode_32 3
		.amdhsa_float_denorm_mode_16_64 3
		.amdhsa_dx10_clamp 1
		.amdhsa_ieee_mode 1
		.amdhsa_fp16_overflow 0
		.amdhsa_tg_split 0
		.amdhsa_exception_fp_ieee_invalid_op 0
		.amdhsa_exception_fp_denorm_src 0
		.amdhsa_exception_fp_ieee_div_zero 0
		.amdhsa_exception_fp_ieee_overflow 0
		.amdhsa_exception_fp_ieee_underflow 0
		.amdhsa_exception_fp_ieee_inexact 0
		.amdhsa_exception_int_div_zero 0
	.end_amdhsa_kernel
	.section	.text._Z39paged_attention_ll4mi_QKV_mfma16_kernelIDF16_DF16_LN4vllm18Fp8KVCacheDataTypeE0EDF16_Li32ELi128ELi256ELb1ELi3EL8MFMAType0EEvPKT_PKT0_S8_ifPKiSA_SA_iPKfiiiPfSD_PS3_PT2_iSC_SC_,"axG",@progbits,_Z39paged_attention_ll4mi_QKV_mfma16_kernelIDF16_DF16_LN4vllm18Fp8KVCacheDataTypeE0EDF16_Li32ELi128ELi256ELb1ELi3EL8MFMAType0EEvPKT_PKT0_S8_ifPKiSA_SA_iPKfiiiPfSD_PS3_PT2_iSC_SC_,comdat
.Lfunc_end170:
	.size	_Z39paged_attention_ll4mi_QKV_mfma16_kernelIDF16_DF16_LN4vllm18Fp8KVCacheDataTypeE0EDF16_Li32ELi128ELi256ELb1ELi3EL8MFMAType0EEvPKT_PKT0_S8_ifPKiSA_SA_iPKfiiiPfSD_PS3_PT2_iSC_SC_, .Lfunc_end170-_Z39paged_attention_ll4mi_QKV_mfma16_kernelIDF16_DF16_LN4vllm18Fp8KVCacheDataTypeE0EDF16_Li32ELi128ELi256ELb1ELi3EL8MFMAType0EEvPKT_PKT0_S8_ifPKiSA_SA_iPKfiiiPfSD_PS3_PT2_iSC_SC_
                                        ; -- End function
	.section	.AMDGPU.csdata,"",@progbits
; Kernel info:
; codeLenInByte = 5064
; NumSgprs: 52
; NumVgprs: 96
; NumAgprs: 0
; TotalNumVgprs: 96
; ScratchSize: 16
; MemoryBound: 0
; FloatMode: 240
; IeeeMode: 1
; LDSByteSize: 8192 bytes/workgroup (compile time only)
; SGPRBlocks: 6
; VGPRBlocks: 11
; NumSGPRsForWavesPerEU: 52
; NumVGPRsForWavesPerEU: 96
; AccumOffset: 96
; Occupancy: 5
; WaveLimiterHint : 1
; COMPUTE_PGM_RSRC2:SCRATCH_EN: 1
; COMPUTE_PGM_RSRC2:USER_SGPR: 6
; COMPUTE_PGM_RSRC2:TRAP_HANDLER: 0
; COMPUTE_PGM_RSRC2:TGID_X_EN: 1
; COMPUTE_PGM_RSRC2:TGID_Y_EN: 1
; COMPUTE_PGM_RSRC2:TGID_Z_EN: 1
; COMPUTE_PGM_RSRC2:TIDIG_COMP_CNT: 0
; COMPUTE_PGM_RSRC3_GFX90A:ACCUM_OFFSET: 23
; COMPUTE_PGM_RSRC3_GFX90A:TG_SPLIT: 0
	.section	.text._Z39paged_attention_ll4mi_QKV_mfma16_kernelIDF16_DF16_LN4vllm18Fp8KVCacheDataTypeE0EDF16_Li32ELi128ELi256ELb1ELi4EL8MFMAType0EEvPKT_PKT0_S8_ifPKiSA_SA_iPKfiiiPfSD_PS3_PT2_iSC_SC_,"axG",@progbits,_Z39paged_attention_ll4mi_QKV_mfma16_kernelIDF16_DF16_LN4vllm18Fp8KVCacheDataTypeE0EDF16_Li32ELi128ELi256ELb1ELi4EL8MFMAType0EEvPKT_PKT0_S8_ifPKiSA_SA_iPKfiiiPfSD_PS3_PT2_iSC_SC_,comdat
	.protected	_Z39paged_attention_ll4mi_QKV_mfma16_kernelIDF16_DF16_LN4vllm18Fp8KVCacheDataTypeE0EDF16_Li32ELi128ELi256ELb1ELi4EL8MFMAType0EEvPKT_PKT0_S8_ifPKiSA_SA_iPKfiiiPfSD_PS3_PT2_iSC_SC_ ; -- Begin function _Z39paged_attention_ll4mi_QKV_mfma16_kernelIDF16_DF16_LN4vllm18Fp8KVCacheDataTypeE0EDF16_Li32ELi128ELi256ELb1ELi4EL8MFMAType0EEvPKT_PKT0_S8_ifPKiSA_SA_iPKfiiiPfSD_PS3_PT2_iSC_SC_
	.globl	_Z39paged_attention_ll4mi_QKV_mfma16_kernelIDF16_DF16_LN4vllm18Fp8KVCacheDataTypeE0EDF16_Li32ELi128ELi256ELb1ELi4EL8MFMAType0EEvPKT_PKT0_S8_ifPKiSA_SA_iPKfiiiPfSD_PS3_PT2_iSC_SC_
	.p2align	8
	.type	_Z39paged_attention_ll4mi_QKV_mfma16_kernelIDF16_DF16_LN4vllm18Fp8KVCacheDataTypeE0EDF16_Li32ELi128ELi256ELb1ELi4EL8MFMAType0EEvPKT_PKT0_S8_ifPKiSA_SA_iPKfiiiPfSD_PS3_PT2_iSC_SC_,@function
_Z39paged_attention_ll4mi_QKV_mfma16_kernelIDF16_DF16_LN4vllm18Fp8KVCacheDataTypeE0EDF16_Li32ELi128ELi256ELb1ELi4EL8MFMAType0EEvPKT_PKT0_S8_ifPKiSA_SA_iPKfiiiPfSD_PS3_PT2_iSC_SC_: ; @_Z39paged_attention_ll4mi_QKV_mfma16_kernelIDF16_DF16_LN4vllm18Fp8KVCacheDataTypeE0EDF16_Li32ELi128ELi256ELb1ELi4EL8MFMAType0EEvPKT_PKT0_S8_ifPKiSA_SA_iPKfiiiPfSD_PS3_PT2_iSC_SC_
; %bb.0:
	s_mov_b64 s[46:47], s[2:3]
	s_mov_b64 s[44:45], s[0:1]
	s_load_dwordx2 s[0:1], s[4:5], 0x30
	s_add_u32 s44, s44, s9
	s_addc_u32 s45, s45, 0
	s_mov_b32 s28, s7
	s_mov_b64 s[10:11], 0
	s_waitcnt lgkmcnt(0)
	s_cmp_lg_u64 s[0:1], 0
	s_cselect_b64 s[2:3], -1, 0
	s_and_b64 vcc, exec, s[2:3]
	s_cbranch_vccz .LBB171_7
; %bb.1:
	s_add_i32 s12, s6, 1
	s_mov_b32 s13, 0
	s_lshl_b64 s[14:15], s[12:13], 2
	s_add_u32 s14, s0, s14
	s_mov_b32 s7, s13
	s_addc_u32 s15, s1, s15
	s_lshl_b64 s[12:13], s[6:7], 2
	s_add_u32 s12, s0, s12
	s_addc_u32 s13, s1, s13
	s_load_dword s9, s[14:15], 0x0
	s_load_dword s16, s[12:13], 0x0
	s_waitcnt lgkmcnt(0)
	s_sub_i32 s9, s9, s16
	s_cmp_eq_u32 s9, 1
	s_cselect_b64 s[12:13], -1, 0
	s_andn2_b64 vcc, exec, s[10:11]
	s_cbranch_vccnz .LBB171_3
.LBB171_2:
	s_mov_b32 s7, 0
	s_mov_b64 s[12:13], -1
.LBB171_3:
	s_andn2_b64 vcc, exec, s[12:13]
	s_cbranch_vccnz .LBB171_21
; %bb.4:
	s_load_dwordx2 s[12:13], s[4:5], 0x28
	s_lshl_b64 s[10:11], s[6:7], 2
	s_waitcnt lgkmcnt(0)
	s_add_u32 s12, s12, s10
	s_addc_u32 s13, s13, s11
	s_load_dword s33, s[12:13], 0x0
	s_lshl_b32 s18, s28, 8
	s_waitcnt lgkmcnt(0)
	s_cmp_ge_i32 s18, s33
	s_cbranch_scc1 .LBB171_21
; %bb.5:
	s_add_i32 s14, s33, 31
	s_load_dwordx2 s[12:13], s[4:5], 0x20
	s_load_dword s9, s[4:5], 0x38
	s_ashr_i32 s15, s14, 31
	v_and_b32_e32 v1, 0xcf, v0
	s_lshr_b32 s15, s15, 27
	v_add_u32_e32 v1, s18, v1
	s_add_i32 s14, s14, s15
	v_ashrrev_i32_e32 v2, 31, v1
	s_ashr_i32 s21, s14, 5
	v_lshrrev_b32_e32 v6, 27, v2
	s_add_i32 s21, s21, -1
	v_add_u32_e32 v2, v1, v6
	s_waitcnt lgkmcnt(0)
	s_mul_i32 s14, s6, s9
	s_mov_b32 s15, 0
	v_ashrrev_i32_e32 v2, 5, v2
	v_mov_b32_e32 v7, s21
	v_cmp_gt_i32_e32 vcc, s33, v1
	s_lshl_b64 s[14:15], s[14:15], 2
	v_cndmask_b32_e32 v2, v7, v2, vcc
	s_add_u32 s19, s12, s14
	v_ashrrev_i32_e32 v3, 31, v2
	s_addc_u32 s20, s13, s15
	v_lshlrev_b64 v[2:3], 2, v[2:3]
	v_mov_b32_e32 v4, s20
	v_add_co_u32_e32 v2, vcc, s19, v2
	v_addc_co_u32_e32 v3, vcc, v4, v3, vcc
	v_or_b32_e32 v4, 16, v1
	v_add_u32_e32 v5, v4, v6
	v_ashrrev_i32_e32 v5, 5, v5
	v_cmp_gt_i32_e32 vcc, s33, v4
	v_cndmask_b32_e32 v4, v7, v5, vcc
	v_ashrrev_i32_e32 v5, 31, v4
	v_lshlrev_b64 v[4:5], 2, v[4:5]
	v_mov_b32_e32 v9, s20
	v_add_co_u32_e32 v8, vcc, s19, v4
	v_or_b32_e32 v4, 32, v1
	v_addc_co_u32_e32 v9, vcc, v9, v5, vcc
	v_add_u32_e32 v5, v4, v6
	v_ashrrev_i32_e32 v5, 5, v5
	v_cmp_gt_i32_e32 vcc, s33, v4
	v_cndmask_b32_e32 v4, v7, v5, vcc
	v_ashrrev_i32_e32 v5, 31, v4
	v_lshlrev_b64 v[4:5], 2, v[4:5]
	v_mov_b32_e32 v11, s20
	v_add_co_u32_e32 v10, vcc, s19, v4
	v_or_b32_e32 v1, 48, v1
	v_addc_co_u32_e32 v11, vcc, v11, v5, vcc
	v_add_u32_e32 v4, v1, v6
	v_ashrrev_i32_e32 v4, 5, v4
	v_cmp_gt_i32_e32 vcc, s33, v1
	v_cndmask_b32_e32 v4, v7, v4, vcc
	v_ashrrev_i32_e32 v5, 31, v4
	v_lshlrev_b64 v[4:5], 2, v[4:5]
	v_mov_b32_e32 v1, s20
	v_add_co_u32_e32 v12, vcc, s19, v4
	v_addc_co_u32_e32 v13, vcc, v1, v5, vcc
	global_load_dword v7, v[2:3], off
	global_load_dword v6, v[8:9], off
	;; [unrolled: 1-line block ×4, first 2 shown]
	s_andn2_b64 vcc, exec, s[2:3]
	s_cbranch_vccnz .LBB171_8
; %bb.6:
	s_add_u32 s0, s0, s10
	s_addc_u32 s1, s1, s11
	s_load_dword s9, s[0:1], 0x0
	s_branch .LBB171_9
.LBB171_7:
	s_mov_b64 s[12:13], 0
	s_branch .LBB171_2
.LBB171_8:
	s_mov_b32 s9, s6
.LBB171_9:
	s_load_dwordx2 s[10:11], s[4:5], 0x8
	s_load_dwordx4 s[12:15], s[4:5], 0x48
	v_and_b32_e32 v1, 15, v0
	v_bfe_u32 v86, v0, 4, 2
	s_lshl_b32 s29, s8, 2
	v_lshlrev_b32_e32 v2, 3, v1
	v_cmp_gt_u32_e64 s[0:1], 64, v0
	v_cmp_lt_u32_e32 vcc, 63, v0
	s_and_saveexec_b64 s[2:3], vcc
	s_xor_b64 s[2:3], exec, s[2:3]
; %bb.10:
	v_mov_b32_e32 v3, 0
; %bb.11:
	s_or_saveexec_b64 s[16:17], s[2:3]
	s_load_dwordx2 s[2:3], s[4:5], 0x10
	v_or_b32_e32 v8, s29, v86
	v_lshrrev_b32_e32 v87, 6, v0
	buffer_store_dword v8, off, s[44:47], 0 ; 4-byte Folded Spill
	v_and_b32_e32 v10, 3, v0
	v_lshlrev_b32_e32 v8, 5, v86
	buffer_store_dword v8, off, s[44:47], 0 offset:4 ; 4-byte Folded Spill
	s_xor_b64 exec, exec, s[16:17]
	s_cbranch_execz .LBB171_13
; %bb.12:
	buffer_load_dword v3, off, s[44:47], 0  ; 4-byte Folded Reload
	s_load_dwordx2 s[22:23], s[4:5], 0x0
	s_waitcnt lgkmcnt(0)
	s_ashr_i32 s15, s12, 31
	s_mul_hi_u32 s24, s9, s12
	s_mul_i32 s15, s9, s15
	s_add_i32 s25, s24, s15
	s_mul_i32 s24, s9, s12
	s_lshl_b64 s[24:25], s[24:25], 1
	s_add_u32 s9, s22, s24
	s_addc_u32 s12, s23, s25
	v_lshlrev_b32_e32 v11, 9, v1
	v_and_b32_e32 v11, 0x1800, v11
	s_waitcnt vmcnt(0)
	v_lshlrev_b32_e32 v8, 7, v3
	v_ashrrev_i32_e32 v9, 31, v8
	v_lshlrev_b64 v[8:9], 1, v[8:9]
	v_mov_b32_e32 v3, s12
	v_add_co_u32_e32 v8, vcc, s9, v8
	v_addc_co_u32_e32 v3, vcc, v3, v9, vcc
	v_lshlrev_b32_e32 v9, 1, v2
	v_add_co_u32_e32 v8, vcc, v8, v9
	v_addc_co_u32_e32 v9, vcc, 0, v3, vcc
	global_load_dwordx4 v[12:15], v[8:9], off
	v_lshlrev_b32_e32 v8, 5, v86
	v_lshl_or_b32 v8, v87, 7, v8
	v_lshlrev_b32_e32 v9, 9, v10
	v_mov_b32_e32 v3, 0
	v_or3_b32 v8, v11, v9, v8
	s_waitcnt vmcnt(0)
	ds_write_b128 v8, v[12:15]
.LBB171_13:
	s_or_b64 exec, exec, s[16:17]
	s_waitcnt lgkmcnt(0)
	s_mul_i32 s8, s8, s14
	s_mov_b32 s9, 0
	s_lshl_b64 s[8:9], s[8:9], 1
	s_add_u32 s12, s10, s8
	s_addc_u32 s14, s11, s9
	s_waitcnt vmcnt(5)
	v_mad_i64_i32 v[8:9], s[10:11], v7, s13, 0
	v_lshlrev_b64 v[8:9], 1, v[8:9]
	v_mov_b32_e32 v7, s14
	v_add_co_u32_e32 v8, vcc, s12, v8
	v_addc_co_u32_e32 v7, vcc, v7, v9, vcc
	v_lshlrev_b64 v[14:15], 1, v[2:3]
	v_add_co_u32_e32 v8, vcc, v8, v14
	v_lshlrev_b32_e32 v11, 9, v86
	v_addc_co_u32_e32 v7, vcc, v7, v15, vcc
	v_add_co_u32_e32 v2, vcc, v8, v11
	v_addc_co_u32_e32 v3, vcc, 0, v7, vcc
	v_or_b32_e32 v12, 0x1000, v11
	s_barrier
	global_load_dwordx4 v[42:45], v[2:3], off
	global_load_dwordx4 v[34:37], v[2:3], off offset:2048
	v_add_co_u32_e32 v2, vcc, v8, v12
	v_addc_co_u32_e32 v3, vcc, 0, v7, vcc
	v_or_b32_e32 v13, 0x1800, v11
	v_add_co_u32_e32 v8, vcc, v8, v13
	v_addc_co_u32_e32 v9, vcc, 0, v7, vcc
	global_load_dwordx4 v[46:49], v[2:3], off
	global_load_dwordx4 v[58:61], v[8:9], off
	s_waitcnt vmcnt(8)
	v_mad_i64_i32 v[2:3], s[10:11], v6, s13, 0
	v_lshlrev_b64 v[2:3], 1, v[2:3]
	v_mov_b32_e32 v6, s14
	v_add_co_u32_e32 v2, vcc, s12, v2
	v_addc_co_u32_e32 v3, vcc, v6, v3, vcc
	v_mov_b32_e32 v6, 0x100
	v_lshl_or_b32 v8, v1, 4, v6
	v_add_co_u32_e32 v6, vcc, v2, v8
	v_addc_co_u32_e32 v7, vcc, 0, v3, vcc
	v_add_co_u32_e32 v2, vcc, v6, v11
	v_addc_co_u32_e32 v3, vcc, 0, v7, vcc
	global_load_dwordx4 v[74:77], v[2:3], off
	global_load_dwordx4 v[70:73], v[2:3], off offset:2048
	v_add_co_u32_e32 v2, vcc, v6, v12
	v_addc_co_u32_e32 v3, vcc, 0, v7, vcc
	v_add_co_u32_e32 v6, vcc, v6, v13
	v_addc_co_u32_e32 v7, vcc, 0, v7, vcc
	global_load_dwordx4 v[78:81], v[2:3], off
	global_load_dwordx4 v[66:69], v[6:7], off
	s_waitcnt vmcnt(11)
	v_mad_i64_i32 v[2:3], s[10:11], v5, s13, 0
	v_lshlrev_b64 v[2:3], 1, v[2:3]
	v_mov_b32_e32 v5, s14
	v_add_co_u32_e32 v2, vcc, s12, v2
	v_addc_co_u32_e32 v3, vcc, v5, v3, vcc
	v_add_co_u32_e32 v5, vcc, v2, v14
	buffer_store_dword v14, off, s[44:47], 0 offset:8 ; 4-byte Folded Spill
	s_nop 0
	buffer_store_dword v15, off, s[44:47], 0 offset:12 ; 4-byte Folded Spill
	v_lshl_or_b32 v54, v10, 5, v11
	v_and_b32_e32 v84, 63, v0
	v_mov_b32_e32 v89, 0
	v_addc_co_u32_e32 v7, vcc, v3, v15, vcc
	v_add_co_u32_e32 v2, vcc, v5, v11
	v_addc_co_u32_e32 v3, vcc, 0, v7, vcc
	global_load_dwordx4 v[62:65], v[2:3], off
	global_load_dwordx4 v[38:41], v[2:3], off offset:2048
	v_add_co_u32_e32 v2, vcc, v5, v12
	v_addc_co_u32_e32 v3, vcc, 0, v7, vcc
	v_add_co_u32_e32 v6, vcc, v5, v13
	v_addc_co_u32_e32 v7, vcc, 0, v7, vcc
	global_load_dwordx4 v[26:29], v[2:3], off
	global_load_dwordx4 v[22:25], v[6:7], off
	s_waitcnt vmcnt(16)
	v_mad_i64_i32 v[2:3], s[10:11], v4, s13, 0
	v_lshlrev_b64 v[2:3], 1, v[2:3]
	v_mov_b32_e32 v4, s14
	v_add_co_u32_e32 v2, vcc, s12, v2
	v_addc_co_u32_e32 v3, vcc, v4, v3, vcc
	v_add_co_u32_e32 v4, vcc, v2, v8
	v_addc_co_u32_e32 v5, vcc, 0, v3, vcc
	;; [unrolled: 2-line block ×3, first 2 shown]
	global_load_dwordx4 v[14:17], v[2:3], off
	global_load_dwordx4 v[6:9], v[2:3], off offset:2048
	v_add_co_u32_e32 v2, vcc, v4, v12
	v_addc_co_u32_e32 v3, vcc, 0, v5, vcc
	v_add_co_u32_e32 v12, vcc, v4, v13
	v_addc_co_u32_e32 v13, vcc, 0, v5, vcc
	global_load_dwordx4 v[2:5], v[2:3], off
	s_nop 0
	global_load_dwordx4 v[50:53], v[12:13], off
	ds_read_b128 v[30:33], v54
	ds_read_b128 v[18:21], v54 offset:2048
	ds_read_b128 v[10:13], v54 offset:4096
	;; [unrolled: 1-line block ×3, first 2 shown]
	v_cmp_gt_u32_e32 vcc, 4, v1
	s_and_saveexec_b64 s[10:11], vcc
	s_cbranch_execz .LBB171_15
; %bb.14:
	s_load_dwordx2 s[14:15], s[4:5], 0x40
	v_or_b32_e32 v82, s29, v1
	v_ashrrev_i32_e32 v83, 31, v82
	v_lshlrev_b64 v[82:83], 2, v[82:83]
	s_waitcnt lgkmcnt(0)
	v_mov_b32_e32 v89, s15
	v_add_co_u32_e32 v82, vcc, s14, v82
	v_addc_co_u32_e32 v83, vcc, v89, v83, vcc
	global_load_dword v89, v[82:83], off
.LBB171_15:
	s_or_b64 exec, exec, s[10:11]
	s_waitcnt vmcnt(17) lgkmcnt(3)
	v_mfma_f32_16x16x16f16 v[90:93], v[42:43], v[30:31], 0
	s_ashr_i32 s10, s18, 31
	s_lshr_b32 s10, s10, 27
	s_add_u32 s2, s2, s8
	s_addc_u32 s3, s3, s9
	s_mov_b32 s42, 0xff7fffff
	v_mfma_f32_16x16x16f16 v[42:45], v[44:45], v[32:33], v[90:93]
	s_waitcnt vmcnt(16) lgkmcnt(2)
	v_mfma_f32_16x16x16f16 v[42:45], v[34:35], v[18:19], v[42:45]
	s_nop 4
	v_lshl_or_b32 v90, v87, 4, v1
	v_mfma_f32_16x16x16f16 v[34:37], v[36:37], v[20:21], v[42:45]
	s_waitcnt vmcnt(15) lgkmcnt(1)
	v_mfma_f32_16x16x16f16 v[34:37], v[46:47], v[10:11], v[34:37]
	v_and_or_b32 v46, v0, 48, s18
	s_nop 3
	v_add_u32_e32 v42, s10, v46
	v_ashrrev_i32_e32 v42, 5, v42
	v_mov_b32_e32 v47, s21
	v_cmp_gt_i32_e32 vcc, s33, v46
	v_cndmask_b32_e32 v42, v47, v42, vcc
	v_ashrrev_i32_e32 v43, 31, v42
	v_mfma_f32_16x16x16f16 v[34:37], v[48:49], v[12:13], v[34:37]
	v_or_b32_e32 v44, 64, v46
	v_add_u32_e32 v45, s10, v44
	v_ashrrev_i32_e32 v45, 5, v45
	v_mov_b32_e32 v48, s20
	s_waitcnt vmcnt(14) lgkmcnt(0)
	v_mfma_f32_16x16x16f16 v[34:37], v[58:59], v[54:55], v[34:37]
	v_mfma_f32_16x16x16f16 v[58:61], v[60:61], v[56:57], v[34:37]
	s_waitcnt vmcnt(13)
	v_mfma_f32_16x16x16f16 v[34:37], v[74:75], v[30:31], 0
	v_mfma_f32_16x16x16f16 v[34:37], v[76:77], v[32:33], v[34:37]
	v_lshlrev_b32_e32 v77, 6, v90
	s_waitcnt vmcnt(12)
	v_mfma_f32_16x16x16f16 v[34:37], v[70:71], v[18:19], v[34:37]
	v_mfma_f32_16x16x16f16 v[34:37], v[72:73], v[20:21], v[34:37]
	s_waitcnt vmcnt(11)
	v_mfma_f32_16x16x16f16 v[34:37], v[78:79], v[10:11], v[34:37]
	v_mfma_f32_16x16x16f16 v[34:37], v[80:81], v[12:13], v[34:37]
	;; [unrolled: 3-line block ×3, first 2 shown]
	s_nop 7
	s_nop 1
	v_lshlrev_b64 v[34:35], 2, v[42:43]
	v_mov_b32_e32 v36, s20
	v_add_co_u32_e32 v42, vcc, s19, v34
	v_addc_co_u32_e32 v43, vcc, v36, v35, vcc
	v_cmp_gt_i32_e32 vcc, s33, v44
	v_cndmask_b32_e32 v44, v47, v45, vcc
	s_waitcnt vmcnt(7)
	v_mfma_f32_16x16x16f16 v[34:37], v[62:63], v[30:31], 0
	v_ashrrev_i32_e32 v45, 31, v44
	v_lshlrev_b64 v[44:45], 2, v[44:45]
	v_add_co_u32_e32 v44, vcc, s19, v44
	v_addc_co_u32_e32 v45, vcc, v48, v45, vcc
	global_load_dword v42, v[42:43], off
	s_nop 0
	global_load_dword v62, v[44:45], off
	v_mfma_f32_16x16x16f16 v[34:37], v[64:65], v[32:33], v[34:37]
	v_or_b32_e32 v43, 0x80, v46
	v_cmp_gt_i32_e32 vcc, s33, v43
	s_waitcnt vmcnt(8)
	v_mfma_f32_16x16x16f16 v[34:37], v[38:39], v[18:19], v[34:37]
	v_add_u32_e32 v38, s10, v43
	v_ashrrev_i32_e32 v38, 5, v38
	v_cndmask_b32_e32 v38, v47, v38, vcc
	v_ashrrev_i32_e32 v39, 31, v38
	v_lshlrev_b64 v[38:39], 2, v[38:39]
	v_mov_b32_e32 v43, s20
	v_add_co_u32_e32 v38, vcc, s19, v38
	v_addc_co_u32_e32 v39, vcc, v43, v39, vcc
	global_load_dword v63, v[38:39], off
	v_mfma_f32_16x16x16f16 v[34:37], v[40:41], v[20:21], v[34:37]
	v_or_b32_e32 v38, 0xc0, v46
	v_add_u32_e32 v39, s10, v38
	v_ashrrev_i32_e32 v39, 5, v39
	v_cmp_gt_i32_e32 vcc, s33, v38
	v_cndmask_b32_e32 v38, v47, v39, vcc
	v_ashrrev_i32_e32 v39, 31, v38
	s_load_dword s10, s[4:5], 0x1c
	s_waitcnt vmcnt(8)
	v_mfma_f32_16x16x16f16 v[34:37], v[26:27], v[10:11], v[34:37]
	v_lshlrev_b64 v[26:27], 2, v[38:39]
	v_mov_b32_e32 v39, s20
	v_add_co_u32_e32 v38, vcc, s19, v26
	v_addc_co_u32_e32 v39, vcc, v39, v27, vcc
	global_load_dword v74, v[38:39], off
	v_mfma_f32_16x16x16f16 v[26:29], v[28:29], v[12:13], v[34:37]
	s_waitcnt lgkmcnt(0)
	v_pk_mul_f32 v[58:59], s[10:11], v[58:59] op_sel_hi:[0,1]
	s_waitcnt vmcnt(8)
	v_mfma_f32_16x16x16f16 v[26:29], v[22:23], v[54:55], v[26:29]
	s_nop 2
	v_and_b32_e32 v34, 16, v0
	v_lshlrev_b32_e32 v34, 1, v34
	v_mov_b32_e32 v22, s3
	v_add_co_u32_e32 v75, vcc, s2, v34
	v_addc_co_u32_e32 v76, vcc, 0, v22, vcc
	v_mfma_f32_16x16x16f16 v[92:95], v[24:25], v[56:57], v[26:29]
	v_add_co_u32_e32 v78, vcc, v75, v77
	v_addc_co_u32_e32 v79, vcc, 0, v76, vcc
	s_waitcnt vmcnt(3)
	v_mad_i64_i32 v[22:23], s[2:3], v42, s13, 0
	v_lshlrev_b64 v[70:71], 1, v[22:23]
	v_mfma_f32_16x16x16f16 v[22:25], v[14:15], v[30:31], 0
	v_add_co_u32_e32 v14, vcc, v78, v70
	v_addc_co_u32_e32 v15, vcc, v79, v71, vcc
	global_load_dwordx4 v[46:49], v[14:15], off
	global_load_dwordx4 v[42:45], v[14:15], off offset:16
	s_waitcnt vmcnt(4)
	v_mad_i64_i32 v[14:15], s[2:3], v62, s13, 0
	v_lshlrev_b64 v[72:73], 1, v[14:15]
	v_mfma_f32_16x16x16f16 v[14:17], v[16:17], v[32:33], v[22:25]
	v_mfma_f32_16x16x16f16 v[14:17], v[6:7], v[18:19], v[14:17]
	s_nop 5
	v_add_co_u32_e32 v22, vcc, v78, v72
	v_addc_co_u32_e32 v23, vcc, v79, v73, vcc
	global_load_dwordx4 v[38:41], v[22:23], off
	global_load_dwordx4 v[34:37], v[22:23], off offset:16
	s_waitcnt vmcnt(5)
	v_mad_i64_i32 v[22:23], s[2:3], v63, s13, 0
	v_lshlrev_b64 v[64:65], 1, v[22:23]
	v_add_co_u32_e32 v6, vcc, v78, v64
	v_addc_co_u32_e32 v7, vcc, v79, v65, vcc
	global_load_dwordx4 v[30:33], v[6:7], off
	global_load_dwordx4 v[26:29], v[6:7], off offset:16
	v_mfma_f32_16x16x16f16 v[6:9], v[8:9], v[20:21], v[14:17]
	v_mfma_f32_16x16x16f16 v[6:9], v[2:3], v[10:11], v[6:9]
	s_waitcnt vmcnt(6)
	s_nop 4
	v_mad_i64_i32 v[14:15], s[2:3], v74, s13, 0
	v_lshlrev_b64 v[62:63], 1, v[14:15]
	v_add_co_u32_e32 v14, vcc, v78, v62
	v_addc_co_u32_e32 v15, vcc, v79, v63, vcc
	v_mfma_f32_16x16x16f16 v[10:13], v[4:5], v[12:13], v[6:9]
	v_or_b32_e32 v2, 0x1000, v77
	v_add_co_u32_e32 v91, vcc, v75, v2
	v_pk_mul_f32 v[74:75], s[10:11], v[68:69] op_sel_hi:[0,1]
	v_addc_co_u32_e32 v88, vcc, 0, v76, vcc
	v_pk_mul_f32 v[76:77], s[10:11], v[66:67] op_sel_hi:[0,1]
	v_mfma_f32_16x16x16f16 v[80:83], v[50:51], v[54:55], v[10:13]
	v_pk_mul_f32 v[78:79], s[10:11], v[60:61] op_sel_hi:[0,1]
	v_add_co_u32_e32 v2, vcc, v91, v70
	v_addc_co_u32_e32 v3, vcc, v88, v71, vcc
	v_add_co_u32_e32 v70, vcc, v91, v72
	v_mfma_f32_16x16x16f16 v[50:53], v[52:53], v[56:57], v[80:83]
	v_addc_co_u32_e32 v71, vcc, v88, v73, vcc
	global_load_dwordx4 v[22:25], v[14:15], off
	global_load_dwordx4 v[18:21], v[14:15], off offset:16
	global_load_dwordx4 v[6:9], v[2:3], off
	s_nop 0
	global_load_dwordx4 v[2:5], v[2:3], off offset:16
	s_nop 0
	global_load_dwordx4 v[14:17], v[70:71], off
	global_load_dwordx4 v[10:13], v[70:71], off offset:16
	v_pk_mul_f32 v[70:71], s[10:11], v[94:95] op_sel_hi:[0,1]
	v_pk_mul_f32 v[72:73], s[10:11], v[92:93] op_sel_hi:[0,1]
	;; [unrolled: 1-line block ×3, first 2 shown]
	v_and_b32_e32 v50, 0xc0, v0
	v_add_u32_e32 v50, s18, v50
	v_lshl_or_b32 v50, v86, 2, v50
	v_or_b32_e32 v51, 1, v50
	v_pk_mul_f32 v[66:67], s[10:11], v[52:53] op_sel_hi:[0,1]
	v_subrev_u32_e32 v52, s33, v51
	v_add_u32_e32 v54, 1, v52
	v_add_u32_e32 v55, 2, v52
	v_cvt_f32_i32_e32 v53, v52
	v_cvt_f32_i32_e32 v54, v54
	;; [unrolled: 1-line block ×3, first 2 shown]
	v_add_u32_e32 v56, 3, v52
	v_fma_f32 v58, v89, v53, v58
	v_fmac_f32_e32 v59, v89, v54
	v_fma_f32 v78, v89, v55, v78
	v_add_u32_e32 v53, 16, v52
	v_add_u32_e32 v54, 17, v52
	;; [unrolled: 1-line block ×3, first 2 shown]
	v_cvt_f32_i32_e32 v56, v56
	v_cvt_f32_i32_e32 v53, v53
	;; [unrolled: 1-line block ×4, first 2 shown]
	v_fmac_f32_e32 v79, v89, v56
	v_add_u32_e32 v56, 19, v52
	v_fma_f32 v76, v89, v53, v76
	v_fmac_f32_e32 v77, v89, v54
	v_fma_f32 v74, v89, v55, v74
	v_add_u32_e32 v53, 32, v52
	v_add_u32_e32 v54, 33, v52
	;; [unrolled: 1-line block ×3, first 2 shown]
	v_cvt_f32_i32_e32 v56, v56
	v_cvt_f32_i32_e32 v53, v53
	;; [unrolled: 1-line block ×4, first 2 shown]
	v_fmac_f32_e32 v75, v89, v56
	v_add_u32_e32 v56, 35, v52
	v_fma_f32 v72, v89, v53, v72
	v_fmac_f32_e32 v73, v89, v54
	v_fma_f32 v70, v89, v55, v70
	v_add_u32_e32 v53, 48, v52
	v_add_u32_e32 v54, 49, v52
	;; [unrolled: 1-line block ×4, first 2 shown]
	v_cvt_f32_i32_e32 v52, v52
	v_cvt_f32_i32_e32 v53, v53
	;; [unrolled: 1-line block ×3, first 2 shown]
	v_cmp_gt_i32_e64 s[30:31], s33, v50
	v_fmac_f32_e32 v67, v89, v52
	v_mov_b32_e32 v52, 0xff7fffff
	v_cmp_gt_i32_e64 s[34:35], s33, v51
	v_fma_f32 v68, v89, v53, v68
	v_cndmask_b32_e64 v53, v52, v58, s[30:31]
	v_cndmask_b32_e64 v51, v52, v59, s[34:35]
	v_fmac_f32_e32 v69, v89, v54
	v_max3_f32 v51, v53, s42, v51
	v_or_b32_e32 v53, 2, v50
	v_or_b32_e32 v54, 3, v50
	v_cmp_gt_i32_e64 s[36:37], s33, v53
	v_cmp_gt_i32_e64 s[38:39], s33, v54
	v_cndmask_b32_e64 v53, v52, v78, s[36:37]
	v_cndmask_b32_e64 v54, v52, v79, s[38:39]
	v_max3_f32 v51, v51, v53, v54
	v_or_b32_e32 v53, 16, v50
	v_or_b32_e32 v54, 17, v50
	v_cmp_gt_i32_e64 s[24:25], s33, v53
	v_cmp_gt_i32_e64 s[26:27], s33, v54
	v_cndmask_b32_e64 v53, v52, v76, s[24:25]
	v_cndmask_b32_e64 v54, v52, v77, s[26:27]
	v_max3_f32 v51, v51, v53, v54
	v_or_b32_e32 v53, 18, v50
	v_or_b32_e32 v54, 19, v50
	v_cmp_gt_i32_e64 s[20:21], s33, v53
	v_cmp_gt_i32_e64 s[22:23], s33, v54
	v_cndmask_b32_e64 v53, v52, v74, s[20:21]
	v_cndmask_b32_e64 v54, v52, v75, s[22:23]
	v_cvt_f32_i32_e32 v56, v56
	v_max3_f32 v51, v51, v53, v54
	v_or_b32_e32 v53, 32, v50
	v_or_b32_e32 v54, 33, v50
	v_cmp_gt_i32_e64 s[16:17], s33, v53
	v_cmp_gt_i32_e64 s[18:19], s33, v54
	v_cndmask_b32_e64 v53, v52, v72, s[16:17]
	v_cndmask_b32_e64 v54, v52, v73, s[18:19]
	v_max3_f32 v51, v51, v53, v54
	v_or_b32_e32 v53, 34, v50
	v_or_b32_e32 v54, 35, v50
	v_fmac_f32_e32 v71, v89, v56
	v_cmp_gt_i32_e64 s[12:13], s33, v53
	v_cmp_gt_i32_e64 s[14:15], s33, v54
	v_cndmask_b32_e64 v53, v52, v70, s[12:13]
	v_cndmask_b32_e64 v54, v52, v71, s[14:15]
	v_cvt_f32_i32_e32 v55, v55
	v_max3_f32 v51, v51, v53, v54
	v_or_b32_e32 v53, 48, v50
	v_or_b32_e32 v54, 49, v50
	v_cmp_gt_i32_e64 s[8:9], s33, v53
	v_cmp_gt_i32_e64 s[10:11], s33, v54
	v_cndmask_b32_e64 v53, v52, v68, s[8:9]
	v_cndmask_b32_e64 v54, v52, v69, s[10:11]
	v_max3_f32 v51, v51, v53, v54
	v_or_b32_e32 v53, 50, v50
	v_or_b32_e32 v50, 51, v50
	v_fma_f32 v66, v89, v55, v66
	v_cmp_gt_i32_e32 vcc, s33, v53
	v_cmp_gt_i32_e64 s[2:3], s33, v50
	v_cndmask_b32_e32 v53, v52, v66, vcc
	v_cndmask_b32_e64 v50, v52, v67, s[2:3]
	v_max3_f32 v60, v51, v53, v50
	v_mbcnt_lo_u32_b32 v50, -1, 0
	v_mbcnt_hi_u32_b32 v61, -1, v50
	v_and_b32_e32 v50, 64, v61
	v_add_u32_e32 v80, 64, v50
	v_xor_b32_e32 v50, 32, v61
	v_cmp_lt_i32_e64 s[40:41], v50, v80
	v_cndmask_b32_e64 v50, v61, v50, s[40:41]
	v_lshlrev_b32_e32 v82, 2, v50
	ds_bpermute_b32 v81, v82, v60
	v_add_co_u32_e64 v50, s[40:41], v91, v64
	v_addc_co_u32_e64 v51, s[40:41], v88, v65, s[40:41]
	s_waitcnt lgkmcnt(0)
	v_max_f32_e32 v64, v81, v81
	v_max_f32_e32 v64, v60, v64
	v_xor_b32_e32 v60, 16, v61
	v_cmp_lt_i32_e64 s[40:41], v60, v80
	v_cndmask_b32_e64 v60, v61, v60, s[40:41]
	v_lshlrev_b32_e32 v83, 2, v60
	ds_bpermute_b32 v65, v83, v64
	v_add_co_u32_e64 v60, s[40:41], v91, v62
	v_addc_co_u32_e64 v61, s[40:41], v88, v63, s[40:41]
	s_waitcnt lgkmcnt(0)
	v_max_f32_e32 v62, v65, v65
	v_max_f32_e32 v89, v64, v62
	v_sub_f32_e32 v58, v58, v89
	v_mul_f32_e32 v58, 0x3fb8aa3b, v58
	v_exp_f32_e32 v80, v58
	v_sub_f32_e32 v58, v59, v89
	v_mul_f32_e32 v58, 0x3fb8aa3b, v58
	global_load_dwordx4 v[54:57], v[50:51], off
	s_nop 0
	global_load_dwordx4 v[50:53], v[50:51], off offset:16
	v_exp_f32_e32 v81, v58
	global_load_dwordx4 v[62:65], v[60:61], off
	s_nop 0
	global_load_dwordx4 v[58:61], v[60:61], off offset:16
	v_sub_f32_e32 v78, v78, v89
	v_mul_f32_e32 v78, 0x3fb8aa3b, v78
	v_sub_f32_e32 v79, v79, v89
	v_exp_f32_e32 v78, v78
	v_mul_f32_e32 v79, 0x3fb8aa3b, v79
	v_sub_f32_e32 v76, v76, v89
	v_exp_f32_e32 v79, v79
	v_mul_f32_e32 v76, 0x3fb8aa3b, v76
	v_sub_f32_e32 v77, v77, v89
	v_cndmask_b32_e64 v80, 0, v80, s[30:31]
	v_exp_f32_e32 v76, v76
	v_mul_f32_e32 v77, 0x3fb8aa3b, v77
	v_sub_f32_e32 v74, v74, v89
	v_add_f32_e32 v88, 0, v80
	v_cndmask_b32_e64 v81, 0, v81, s[34:35]
	v_exp_f32_e32 v77, v77
	v_mul_f32_e32 v74, 0x3fb8aa3b, v74
	v_sub_f32_e32 v75, v75, v89
	v_add_f32_e32 v88, v88, v81
	;; [unrolled: 5-line block ×10, first 2 shown]
	v_cndmask_b32_e64 v70, 0, v70, s[12:13]
	v_exp_f32_e32 v66, v66
	v_mul_f32_e32 v67, 0x3fb8aa3b, v67
	v_add_f32_e32 v88, v88, v70
	v_cndmask_b32_e64 v71, 0, v71, s[14:15]
	v_exp_f32_e32 v67, v67
	v_add_f32_e32 v88, v88, v71
	v_cndmask_b32_e64 v68, 0, v68, s[8:9]
	v_add_f32_e32 v88, v88, v68
	v_cndmask_b32_e64 v69, 0, v69, s[10:11]
	v_add_f32_e32 v88, v88, v69
	v_cndmask_b32_e32 v66, 0, v66, vcc
	v_add_f32_e32 v88, v88, v66
	v_cndmask_b32_e64 v67, 0, v67, s[2:3]
	v_add_f32_e32 v88, v88, v67
	ds_bpermute_b32 v82, v82, v88
	s_load_dword s9, s[4:5], 0x98
	v_cmp_gt_u32_e32 vcc, 16, v84
	s_waitcnt lgkmcnt(0)
	s_barrier
	v_add_f32_e32 v91, v88, v82
	ds_bpermute_b32 v92, v83, v91
	s_waitcnt lgkmcnt(0)
	s_and_saveexec_b64 s[2:3], vcc
	s_cbranch_execz .LBB171_17
; %bb.16:
	v_add_f32_e32 v82, v91, v92
	v_lshlrev_b32_e32 v83, 2, v90
	ds_write2st64_b32 v83, v89, v82 offset1:1
.LBB171_17:
	s_or_b64 exec, exec, s[2:3]
	v_lshlrev_b32_e32 v89, 2, v1
	s_load_dword s8, s[4:5], 0x94
	s_waitcnt lgkmcnt(0)
	s_barrier
	ds_read2_b32 v[82:83], v89 offset1:16
	ds_read2_b32 v[90:91], v89 offset0:32 offset1:48
	ds_read2_b32 v[92:93], v89 offset0:64 offset1:80
	s_lshl_b32 s9, s9, 2
	s_waitcnt lgkmcnt(2)
	v_max3_f32 v88, v82, s42, v83
	s_waitcnt lgkmcnt(1)
	v_max3_f32 v88, v88, v90, v91
	v_sub_f32_e32 v82, v82, v88
	v_mul_f32_e32 v82, 0x3fb8aa3b, v82
	v_exp_f32_e32 v94, v82
	v_sub_f32_e32 v82, v83, v88
	v_mul_f32_e32 v82, 0x3fb8aa3b, v82
	v_exp_f32_e32 v95, v82
	;; [unrolled: 3-line block ×3, first 2 shown]
	ds_read2_b32 v[82:83], v89 offset0:96 offset1:112
	v_sub_f32_e32 v89, v91, v88
	v_mul_f32_e32 v89, 0x3fb8aa3b, v89
	v_exp_f32_e32 v91, v89
	s_waitcnt lgkmcnt(1)
	v_fma_f32 v89, v94, v92, 0
	v_fmac_f32_e32 v89, v95, v93
	s_waitcnt lgkmcnt(0)
	v_fmac_f32_e32 v89, v90, v82
	v_fmac_f32_e32 v89, v91, v83
	v_add_f32_e32 v82, 0x358637bd, v89
	v_div_scale_f32 v83, s[2:3], v82, v82, 1.0
	v_rcp_f32_e32 v92, v83
	s_barrier
	v_fma_f32 v93, -v83, v92, 1.0
	v_fmac_f32_e32 v92, v93, v92
	v_div_scale_f32 v93, vcc, 1.0, v82, 1.0
	v_mul_f32_e32 v84, v93, v92
	v_fma_f32 v85, -v83, v84, v93
	v_fmac_f32_e32 v84, v85, v92
	v_fma_f32 v83, -v83, v84, v93
	v_div_fmas_f32 v83, v83, v92, v84
	v_cmp_eq_u32_e32 vcc, 1, v87
	v_div_fixup_f32 v82, v83, v82, 1.0
	v_cndmask_b32_e32 v83, v94, v95, vcc
	v_cmp_eq_u32_e32 vcc, 2, v87
	v_cndmask_b32_e32 v83, v83, v90, vcc
	v_cmp_eq_u32_e32 vcc, 3, v87
	v_cndmask_b32_e32 v83, v83, v91, vcc
	v_mul_f32_e32 v82, v83, v82
	v_pk_mul_f32 v[78:79], v[82:83], v[78:79] op_sel_hi:[0,1]
	v_pk_mul_f32 v[80:81], v[82:83], v[80:81] op_sel_hi:[0,1]
	v_cvt_f16_f32_e32 v80, v80
	v_cvt_f16_f32_e32 v81, v81
	;; [unrolled: 1-line block ×4, first 2 shown]
	v_pk_mul_f32 v[74:75], v[82:83], v[74:75] op_sel_hi:[0,1]
	v_pk_mul_f32 v[76:77], v[82:83], v[76:77] op_sel_hi:[0,1]
	v_cvt_f16_f32_e32 v76, v76
	v_cvt_f16_f32_e32 v77, v77
	;; [unrolled: 1-line block ×4, first 2 shown]
	v_pack_b32_f16 v80, v80, v81
	v_pack_b32_f16 v81, v78, v79
	v_lshlrev_b32_e32 v79, 3, v86
	v_lshlrev_b32_e32 v78, 5, v1
	;; [unrolled: 1-line block ×3, first 2 shown]
	v_or3_b32 v74, v74, v78, v79
	v_pack_b32_f16 v76, v76, v77
	v_pack_b32_f16 v77, v83, v75
	v_pk_mul_f32 v[70:71], v[82:83], v[70:71] op_sel_hi:[0,1]
	v_pk_mul_f32 v[72:73], v[82:83], v[72:73] op_sel_hi:[0,1]
	;; [unrolled: 1-line block ×4, first 2 shown]
	ds_write2st64_b64 v74, v[80:81], v[76:77] offset1:1
	v_cvt_f16_f32_e32 v72, v72
	v_cvt_f16_f32_e32 v73, v73
	;; [unrolled: 1-line block ×8, first 2 shown]
	v_pack_b32_f16 v66, v72, v73
	v_pack_b32_f16 v67, v70, v71
	v_pack_b32_f16 v68, v68, v69
	v_pack_b32_f16 v69, v75, v76
	v_cmp_gt_u32_e32 vcc, 4, v0
	ds_write2st64_b64 v74, v[66:67], v[68:69] offset0:2 offset1:3
	s_and_saveexec_b64 s[2:3], vcc
	s_cbranch_execz .LBB171_19
; %bb.18:
	v_or_b32_e32 v66, s29, v0
	v_mov_b32_e32 v67, 0
	v_mov_b32_e32 v68, s9
	v_mad_u64_u32 v[68:69], s[10:11], s6, v68, v[66:67]
	v_mov_b32_e32 v66, s28
	s_load_dwordx4 s[12:15], s[4:5], 0x58
	s_mul_i32 s7, s7, s9
	v_mad_u64_u32 v[66:67], s[10:11], v68, s8, v[66:67]
	v_add_u32_e32 v69, s7, v69
	v_mov_b32_e32 v68, v67
	v_mad_u64_u32 v[68:69], s[10:11], v69, s8, v[68:69]
	v_mov_b32_e32 v67, v68
	v_lshlrev_b64 v[66:67], 2, v[66:67]
	s_waitcnt lgkmcnt(0)
	v_mov_b32_e32 v69, s15
	v_add_co_u32_e32 v68, vcc, s14, v66
	v_addc_co_u32_e32 v69, vcc, v69, v67, vcc
	global_store_dword v[68:69], v88, off
	v_mov_b32_e32 v68, s13
	v_add_co_u32_e32 v66, vcc, s12, v66
	v_addc_co_u32_e32 v67, vcc, v68, v67, vcc
	global_store_dword v[66:67], v89, off
.LBB171_19:
	s_or_b64 exec, exec, s[2:3]
	v_lshl_or_b32 v75, v86, 9, v78
	s_waitcnt lgkmcnt(0)
	s_barrier
	ds_read_b128 v[70:73], v75
	ds_read_b128 v[66:69], v75 offset:16
	s_waitcnt vmcnt(15) lgkmcnt(1)
	v_mfma_f32_16x16x16f16 v[76:79], v[46:47], v[70:71], 0
	s_mov_b32 s3, 0
	v_mfma_f32_16x16x16f16 v[46:49], v[48:49], v[72:73], v[76:79]
	s_waitcnt vmcnt(14) lgkmcnt(0)
	v_mfma_f32_16x16x16f16 v[46:49], v[42:43], v[66:67], v[46:49]
	v_mfma_f32_16x16x16f16 v[42:45], v[44:45], v[68:69], v[46:49]
	s_nop 7
	s_nop 1
	ds_read_b128 v[46:49], v75 offset:2048
	ds_read_b128 v[76:79], v75 offset:2064
	s_waitcnt vmcnt(13) lgkmcnt(1)
	v_mfma_f32_16x16x16f16 v[42:45], v[38:39], v[46:47], v[42:45]
	v_mfma_f32_16x16x16f16 v[38:41], v[40:41], v[48:49], v[42:45]
	s_waitcnt vmcnt(12) lgkmcnt(0)
	v_mfma_f32_16x16x16f16 v[38:41], v[34:35], v[76:77], v[38:41]
	v_mfma_f32_16x16x16f16 v[34:37], v[36:37], v[78:79], v[38:41]
	s_nop 7
	s_nop 1
	ds_read_b128 v[38:41], v75 offset:4096
	ds_read_b128 v[42:45], v75 offset:4112
	s_waitcnt vmcnt(11) lgkmcnt(1)
	v_mfma_f32_16x16x16f16 v[34:37], v[30:31], v[38:39], v[34:37]
	v_mfma_f32_16x16x16f16 v[30:33], v[32:33], v[40:41], v[34:37]
	s_waitcnt vmcnt(10) lgkmcnt(0)
	v_mfma_f32_16x16x16f16 v[30:33], v[26:27], v[42:43], v[30:33]
	v_mfma_f32_16x16x16f16 v[26:29], v[28:29], v[44:45], v[30:33]
	s_nop 7
	s_nop 1
	ds_read_b128 v[30:33], v75 offset:6144
	ds_read_b128 v[34:37], v75 offset:6160
	s_waitcnt lgkmcnt(0)
	s_barrier
	s_waitcnt vmcnt(9)
	v_mfma_f32_16x16x16f16 v[26:29], v[22:23], v[30:31], v[26:29]
	v_mfma_f32_16x16x16f16 v[22:25], v[24:25], v[32:33], v[26:29]
	s_waitcnt vmcnt(8)
	v_mfma_f32_16x16x16f16 v[22:25], v[18:19], v[34:35], v[22:25]
	v_mfma_f32_16x16x16f16 v[18:21], v[20:21], v[36:37], v[22:25]
	;; [unrolled: 3-line block ×4, first 2 shown]
	s_waitcnt vmcnt(5)
	v_mfma_f32_16x16x16f16 v[2:5], v[14:15], v[46:47], v[2:5]
	s_nop 7
	v_cvt_f16_f32_e32 v6, v18
	v_cvt_f16_f32_e32 v7, v19
	;; [unrolled: 1-line block ×4, first 2 shown]
	v_mfma_f32_16x16x16f16 v[2:5], v[16:17], v[48:49], v[2:5]
	s_waitcnt vmcnt(4)
	v_mfma_f32_16x16x16f16 v[2:5], v[10:11], v[76:77], v[2:5]
	v_mfma_f32_16x16x16f16 v[2:5], v[12:13], v[78:79], v[2:5]
	s_waitcnt vmcnt(3)
	v_mfma_f32_16x16x16f16 v[2:5], v[54:55], v[38:39], v[2:5]
	;; [unrolled: 3-line block ×5, first 2 shown]
	v_mfma_f32_16x16x16f16 v[2:5], v[60:61], v[36:37], v[2:5]
	s_nop 7
	s_nop 2
	v_cvt_f16_f32_e32 v10, v2
	v_cvt_f16_f32_e32 v11, v3
	;; [unrolled: 1-line block ×4, first 2 shown]
	v_pack_b32_f16 v2, v6, v7
	v_pack_b32_f16 v3, v8, v9
	;; [unrolled: 1-line block ×4, first 2 shown]
	ds_write2st64_b64 v74, v[2:3], v[4:5] offset1:1
	s_waitcnt lgkmcnt(0)
	s_barrier
	s_and_saveexec_b64 s[10:11], s[0:1]
	s_cbranch_execz .LBB171_21
; %bb.20:
	v_lshlrev_b32_e32 v1, 6, v1
	v_lshlrev_b32_e32 v2, 4, v0
	v_lshl_or_b32 v0, v0, 10, v1
	buffer_load_dword v1, off, s[44:47], 0 offset:4 ; 4-byte Folded Reload
	buffer_load_dword v4, off, s[44:47], 0  ; 4-byte Folded Reload
	s_load_dwordx2 s[0:1], s[4:5], 0x68
	s_lshl_b32 s7, s8, 7
	s_mul_i32 s2, s9, s6
	s_mul_hi_u32 s5, s2, s7
	s_mul_i32 s4, s2, s7
	s_lshl_b64 s[4:5], s[4:5], 1
	s_waitcnt lgkmcnt(0)
	s_add_u32 s4, s0, s4
	s_addc_u32 s5, s1, s5
	s_lshl_b32 s2, s28, 7
	s_lshl_b64 s[0:1], s[2:3], 1
	s_add_u32 s2, s4, s0
	s_addc_u32 s3, s5, s1
	v_and_b32_e32 v2, 16, v2
	v_and_b32_e32 v0, 0x1a00, v0
	v_mov_b32_e32 v6, s3
	s_waitcnt vmcnt(1)
	v_or3_b32 v0, v0, v1, v2
	s_waitcnt vmcnt(0)
	v_mad_u64_u32 v[4:5], s[0:1], s7, v4, 0
	v_lshlrev_b64 v[4:5], 1, v[4:5]
	v_add_co_u32_e32 v4, vcc, s2, v4
	ds_read_b128 v[0:3], v0
	v_addc_co_u32_e32 v5, vcc, v6, v5, vcc
	buffer_load_dword v6, off, s[44:47], 0 offset:8 ; 4-byte Folded Reload
	buffer_load_dword v7, off, s[44:47], 0 offset:12 ; 4-byte Folded Reload
	s_waitcnt vmcnt(1)
	v_add_co_u32_e32 v4, vcc, v4, v6
	s_waitcnt vmcnt(0)
	v_addc_co_u32_e32 v5, vcc, v5, v7, vcc
	s_waitcnt lgkmcnt(0)
	global_store_dwordx4 v[4:5], v[0:3], off
.LBB171_21:
	s_endpgm
	.section	.rodata,"a",@progbits
	.p2align	6, 0x0
	.amdhsa_kernel _Z39paged_attention_ll4mi_QKV_mfma16_kernelIDF16_DF16_LN4vllm18Fp8KVCacheDataTypeE0EDF16_Li32ELi128ELi256ELb1ELi4EL8MFMAType0EEvPKT_PKT0_S8_ifPKiSA_SA_iPKfiiiPfSD_PS3_PT2_iSC_SC_
		.amdhsa_group_segment_fixed_size 8192
		.amdhsa_private_segment_fixed_size 20
		.amdhsa_kernarg_size 400
		.amdhsa_user_sgpr_count 6
		.amdhsa_user_sgpr_private_segment_buffer 1
		.amdhsa_user_sgpr_dispatch_ptr 0
		.amdhsa_user_sgpr_queue_ptr 0
		.amdhsa_user_sgpr_kernarg_segment_ptr 1
		.amdhsa_user_sgpr_dispatch_id 0
		.amdhsa_user_sgpr_flat_scratch_init 0
		.amdhsa_user_sgpr_kernarg_preload_length 0
		.amdhsa_user_sgpr_kernarg_preload_offset 0
		.amdhsa_user_sgpr_private_segment_size 0
		.amdhsa_uses_dynamic_stack 0
		.amdhsa_system_sgpr_private_segment_wavefront_offset 1
		.amdhsa_system_sgpr_workgroup_id_x 1
		.amdhsa_system_sgpr_workgroup_id_y 1
		.amdhsa_system_sgpr_workgroup_id_z 1
		.amdhsa_system_sgpr_workgroup_info 0
		.amdhsa_system_vgpr_workitem_id 0
		.amdhsa_next_free_vgpr 96
		.amdhsa_next_free_sgpr 48
		.amdhsa_accum_offset 96
		.amdhsa_reserve_vcc 1
		.amdhsa_reserve_flat_scratch 0
		.amdhsa_float_round_mode_32 0
		.amdhsa_float_round_mode_16_64 0
		.amdhsa_float_denorm_mode_32 3
		.amdhsa_float_denorm_mode_16_64 3
		.amdhsa_dx10_clamp 1
		.amdhsa_ieee_mode 1
		.amdhsa_fp16_overflow 0
		.amdhsa_tg_split 0
		.amdhsa_exception_fp_ieee_invalid_op 0
		.amdhsa_exception_fp_denorm_src 0
		.amdhsa_exception_fp_ieee_div_zero 0
		.amdhsa_exception_fp_ieee_overflow 0
		.amdhsa_exception_fp_ieee_underflow 0
		.amdhsa_exception_fp_ieee_inexact 0
		.amdhsa_exception_int_div_zero 0
	.end_amdhsa_kernel
	.section	.text._Z39paged_attention_ll4mi_QKV_mfma16_kernelIDF16_DF16_LN4vllm18Fp8KVCacheDataTypeE0EDF16_Li32ELi128ELi256ELb1ELi4EL8MFMAType0EEvPKT_PKT0_S8_ifPKiSA_SA_iPKfiiiPfSD_PS3_PT2_iSC_SC_,"axG",@progbits,_Z39paged_attention_ll4mi_QKV_mfma16_kernelIDF16_DF16_LN4vllm18Fp8KVCacheDataTypeE0EDF16_Li32ELi128ELi256ELb1ELi4EL8MFMAType0EEvPKT_PKT0_S8_ifPKiSA_SA_iPKfiiiPfSD_PS3_PT2_iSC_SC_,comdat
.Lfunc_end171:
	.size	_Z39paged_attention_ll4mi_QKV_mfma16_kernelIDF16_DF16_LN4vllm18Fp8KVCacheDataTypeE0EDF16_Li32ELi128ELi256ELb1ELi4EL8MFMAType0EEvPKT_PKT0_S8_ifPKiSA_SA_iPKfiiiPfSD_PS3_PT2_iSC_SC_, .Lfunc_end171-_Z39paged_attention_ll4mi_QKV_mfma16_kernelIDF16_DF16_LN4vllm18Fp8KVCacheDataTypeE0EDF16_Li32ELi128ELi256ELb1ELi4EL8MFMAType0EEvPKT_PKT0_S8_ifPKiSA_SA_iPKfiiiPfSD_PS3_PT2_iSC_SC_
                                        ; -- End function
	.section	.AMDGPU.csdata,"",@progbits
; Kernel info:
; codeLenInByte = 5040
; NumSgprs: 52
; NumVgprs: 96
; NumAgprs: 0
; TotalNumVgprs: 96
; ScratchSize: 20
; MemoryBound: 0
; FloatMode: 240
; IeeeMode: 1
; LDSByteSize: 8192 bytes/workgroup (compile time only)
; SGPRBlocks: 6
; VGPRBlocks: 11
; NumSGPRsForWavesPerEU: 52
; NumVGPRsForWavesPerEU: 96
; AccumOffset: 96
; Occupancy: 5
; WaveLimiterHint : 1
; COMPUTE_PGM_RSRC2:SCRATCH_EN: 1
; COMPUTE_PGM_RSRC2:USER_SGPR: 6
; COMPUTE_PGM_RSRC2:TRAP_HANDLER: 0
; COMPUTE_PGM_RSRC2:TGID_X_EN: 1
; COMPUTE_PGM_RSRC2:TGID_Y_EN: 1
; COMPUTE_PGM_RSRC2:TGID_Z_EN: 1
; COMPUTE_PGM_RSRC2:TIDIG_COMP_CNT: 0
; COMPUTE_PGM_RSRC3_GFX90A:ACCUM_OFFSET: 23
; COMPUTE_PGM_RSRC3_GFX90A:TG_SPLIT: 0
	.section	.text._Z38paged_attention_ll4mi_QKV_mfma4_kernelIDF16_DF16_LN4vllm18Fp8KVCacheDataTypeE0EDF16_Li32ELi128ELi256ELb0ELi1EEvPKT_PKT0_S7_ifPKiS9_S9_iPKfiiiPfSC_PS2_PT2_iSB_SB_,"axG",@progbits,_Z38paged_attention_ll4mi_QKV_mfma4_kernelIDF16_DF16_LN4vllm18Fp8KVCacheDataTypeE0EDF16_Li32ELi128ELi256ELb0ELi1EEvPKT_PKT0_S7_ifPKiS9_S9_iPKfiiiPfSC_PS2_PT2_iSB_SB_,comdat
	.protected	_Z38paged_attention_ll4mi_QKV_mfma4_kernelIDF16_DF16_LN4vllm18Fp8KVCacheDataTypeE0EDF16_Li32ELi128ELi256ELb0ELi1EEvPKT_PKT0_S7_ifPKiS9_S9_iPKfiiiPfSC_PS2_PT2_iSB_SB_ ; -- Begin function _Z38paged_attention_ll4mi_QKV_mfma4_kernelIDF16_DF16_LN4vllm18Fp8KVCacheDataTypeE0EDF16_Li32ELi128ELi256ELb0ELi1EEvPKT_PKT0_S7_ifPKiS9_S9_iPKfiiiPfSC_PS2_PT2_iSB_SB_
	.globl	_Z38paged_attention_ll4mi_QKV_mfma4_kernelIDF16_DF16_LN4vllm18Fp8KVCacheDataTypeE0EDF16_Li32ELi128ELi256ELb0ELi1EEvPKT_PKT0_S7_ifPKiS9_S9_iPKfiiiPfSC_PS2_PT2_iSB_SB_
	.p2align	8
	.type	_Z38paged_attention_ll4mi_QKV_mfma4_kernelIDF16_DF16_LN4vllm18Fp8KVCacheDataTypeE0EDF16_Li32ELi128ELi256ELb0ELi1EEvPKT_PKT0_S7_ifPKiS9_S9_iPKfiiiPfSC_PS2_PT2_iSB_SB_,@function
_Z38paged_attention_ll4mi_QKV_mfma4_kernelIDF16_DF16_LN4vllm18Fp8KVCacheDataTypeE0EDF16_Li32ELi128ELi256ELb0ELi1EEvPKT_PKT0_S7_ifPKiS9_S9_iPKfiiiPfSC_PS2_PT2_iSB_SB_: ; @_Z38paged_attention_ll4mi_QKV_mfma4_kernelIDF16_DF16_LN4vllm18Fp8KVCacheDataTypeE0EDF16_Li32ELi128ELi256ELb0ELi1EEvPKT_PKT0_S7_ifPKiS9_S9_iPKfiiiPfSC_PS2_PT2_iSB_SB_
; %bb.0:
	s_load_dwordx2 s[2:3], s[4:5], 0x30
	s_mov_b32 s24, s7
	s_mov_b64 s[0:1], 0
	s_waitcnt lgkmcnt(0)
	s_cmp_lg_u64 s[2:3], 0
	s_cselect_b64 s[10:11], -1, 0
	s_and_b64 vcc, exec, s[10:11]
	s_cbranch_vccz .LBB172_10
; %bb.1:
	s_add_i32 s12, s6, 1
	s_mov_b32 s13, 0
	s_lshl_b64 s[14:15], s[12:13], 2
	s_add_u32 s14, s2, s14
	s_mov_b32 s7, s13
	s_addc_u32 s15, s3, s15
	s_lshl_b64 s[12:13], s[6:7], 2
	s_add_u32 s12, s2, s12
	s_addc_u32 s13, s3, s13
	s_load_dword s9, s[14:15], 0x0
	s_load_dword s16, s[12:13], 0x0
	s_waitcnt lgkmcnt(0)
	s_sub_i32 s9, s9, s16
	s_cmp_eq_u32 s9, 1
	s_cselect_b64 s[12:13], -1, 0
	s_andn2_b64 vcc, exec, s[0:1]
	s_cbranch_vccnz .LBB172_3
.LBB172_2:
	s_mov_b32 s7, 0
	s_mov_b64 s[12:13], -1
.LBB172_3:
	s_andn2_b64 vcc, exec, s[12:13]
	s_cbranch_vccnz .LBB172_25
; %bb.4:
	s_load_dword s9, s[4:5], 0x9c
	s_load_dwordx2 s[0:1], s[4:5], 0x28
	s_add_u32 s28, s4, 0x90
	s_addc_u32 s29, s5, 0
	s_lshl_b64 s[16:17], s[6:7], 2
	s_waitcnt lgkmcnt(0)
	s_and_b32 s12, s9, 0xffff
	s_add_u32 s0, s0, s16
	s_addc_u32 s1, s1, s17
	s_load_dword s9, s[0:1], 0x0
	s_mul_i32 s18, s24, s12
	s_waitcnt lgkmcnt(0)
	s_cmp_ge_i32 s18, s9
	s_cbranch_scc1 .LBB172_25
; %bb.5:
	v_and_b32_e32 v1, 0xc0, v0
	v_add_u32_e32 v2, s18, v1
	v_lshrrev_b32_e32 v70, 6, v0
	v_cmp_le_i32_e64 s[0:1], s9, v2
                                        ; implicit-def: $sgpr20
                                        ; implicit-def: $sgpr19
	s_and_saveexec_b64 s[12:13], s[0:1]
	s_xor_b64 s[12:13], exec, s[12:13]
	s_cbranch_execz .LBB172_7
; %bb.6:
	v_mul_u32_u24_e32 v1, 20, v70
	v_or_b32_e32 v1, 0x1400, v1
	v_mov_b32_e32 v2, 0x1450
	v_mov_b32_e32 v3, 0xff7fffff
	v_mad_u32_u24 v2, v70, 20, v2
	ds_write2_b32 v1, v3, v3 offset1:1
	v_mov_b32_e32 v1, 0
	ds_write2_b32 v2, v1, v1 offset1:1
	v_mov_b32_e32 v2, 0x1408
	s_mov_b32 s19, 0xff7fffff
	s_mov_b32 s20, 0
	v_mad_u32_u24 v2, v70, 20, v2
	v_mov_b32_e32 v4, 0x1458
	v_mad_u32_u24 v4, v70, 20, v4
	ds_write2_b32 v2, v3, v3 offset1:1
	ds_write2_b32 v4, v1, v1 offset1:1
                                        ; implicit-def: $vgpr2
.LBB172_7:
	s_or_saveexec_b64 s[30:31], s[12:13]
	s_load_dwordx2 s[26:27], s[4:5], 0x68
	s_load_dwordx4 s[12:15], s[4:5], 0x58
	s_load_dword s7, s[28:29], 0x4
	v_and_b32_e32 v1, 63, v0
	v_and_b32_e32 v71, 3, v0
	v_mov_b32_e32 v69, s20
	v_mov_b32_e32 v72, s19
	;; [unrolled: 1-line block ×5, first 2 shown]
                                        ; implicit-def: $vgpr15
                                        ; implicit-def: $vgpr3
                                        ; implicit-def: $vgpr7
                                        ; implicit-def: $vgpr11
                                        ; implicit-def: $vgpr19
                                        ; implicit-def: $vgpr23
                                        ; implicit-def: $vgpr31
                                        ; implicit-def: $vgpr39
                                        ; implicit-def: $vgpr27
                                        ; implicit-def: $vgpr35
                                        ; implicit-def: $vgpr43
                                        ; implicit-def: $vgpr47
                                        ; implicit-def: $vgpr51
                                        ; implicit-def: $vgpr55
                                        ; implicit-def: $vgpr59
                                        ; implicit-def: $vgpr63
	s_xor_b64 exec, exec, s[30:31]
	s_cbranch_execz .LBB172_17
; %bb.8:
	s_add_i32 s22, s9, 31
	s_load_dwordx2 s[20:21], s[4:5], 0x20
	s_load_dword s19, s[4:5], 0x38
	s_ashr_i32 s23, s22, 31
	s_lshr_b32 s23, s23, 27
	v_add_u32_e32 v66, s18, v0
	s_add_i32 s22, s22, s23
	v_ashrrev_i32_e32 v3, 31, v66
	s_ashr_i32 s22, s22, 5
	v_lshrrev_b32_e32 v3, 27, v3
	s_add_i32 s25, s22, -1
	v_add_u32_e32 v3, v66, v3
	s_waitcnt lgkmcnt(0)
	s_mul_i32 s22, s6, s19
	s_mov_b32 s23, 0
	v_ashrrev_i32_e32 v3, 5, v3
	v_mov_b32_e32 v4, s25
	v_cmp_gt_i32_e32 vcc, s9, v66
	s_lshl_b64 s[22:23], s[22:23], 2
	v_cndmask_b32_e32 v4, v4, v3, vcc
	s_add_u32 s19, s20, s22
	v_ashrrev_i32_e32 v5, 31, v4
	s_addc_u32 s20, s21, s23
	v_lshlrev_b64 v[4:5], 2, v[4:5]
	v_mov_b32_e32 v3, s20
	v_add_co_u32_e32 v4, vcc, s19, v4
	v_addc_co_u32_e32 v5, vcc, v3, v5, vcc
	v_ashrrev_i32_e32 v3, 31, v2
	v_lshrrev_b32_e32 v3, 27, v3
	v_add_u32_e32 v2, v2, v3
	v_ashrrev_i32_e32 v8, 5, v2
	v_min_i32_e32 v2, s25, v8
	v_ashrrev_i32_e32 v3, 31, v2
	v_lshlrev_b64 v[2:3], 2, v[2:3]
	v_add_co_u32_e32 v6, vcc, s19, v2
	v_add_u32_e32 v2, 1, v8
	v_mov_b32_e32 v7, s20
	v_min_i32_e32 v2, s25, v2
	v_addc_co_u32_e32 v7, vcc, v7, v3, vcc
	v_ashrrev_i32_e32 v3, 31, v2
	v_lshlrev_b64 v[2:3], 2, v[2:3]
	v_mov_b32_e32 v9, s20
	v_add_co_u32_e32 v8, vcc, s19, v2
	v_addc_co_u32_e32 v9, vcc, v9, v3, vcc
	global_load_dword v3, v[4:5], off
	global_load_dword v2, v[6:7], off
	;; [unrolled: 1-line block ×3, first 2 shown]
	s_load_dwordx4 s[20:23], s[4:5], 0x8
	s_andn2_b64 vcc, exec, s[10:11]
	s_cbranch_vccnz .LBB172_11
; %bb.9:
	s_add_u32 s2, s2, s16
	s_addc_u32 s3, s3, s17
	s_load_dword s2, s[2:3], 0x0
	s_branch .LBB172_12
.LBB172_10:
	s_mov_b64 s[12:13], 0
	s_branch .LBB172_2
.LBB172_11:
	s_mov_b32 s2, s6
.LBB172_12:
	s_load_dwordx4 s[16:19], s[4:5], 0x48
	v_cmp_eq_u32_e32 vcc, 0, v71
	s_mov_b32 s3, 0
	v_mov_b32_e32 v67, 0
	v_mov_b32_e32 v19, 0
	;; [unrolled: 1-line block ×6, first 2 shown]
	s_and_saveexec_b64 s[10:11], vcc
	s_cbranch_execz .LBB172_14
; %bb.13:
	s_load_dwordx2 s[34:35], s[4:5], 0x0
	s_waitcnt lgkmcnt(0)
	s_ashr_i32 s19, s16, 31
	s_mul_hi_u32 s25, s2, s16
	s_mul_i32 s19, s2, s19
	s_add_i32 s37, s25, s19
	s_mul_i32 s36, s2, s16
	s_lshl_b64 s[36:37], s[36:37], 1
	s_add_u32 s16, s34, s36
	s_addc_u32 s19, s35, s37
	s_lshl_b32 s2, s8, 7
	s_lshl_b64 s[34:35], s[2:3], 1
	s_add_u32 s34, s16, s34
	s_addc_u32 s35, s19, s35
	v_lshlrev_b32_e32 v4, 2, v1
	global_load_dwordx4 v[56:59], v4, s[34:35]
	v_mov_b32_e32 v67, 1.0
.LBB172_14:
	s_or_b64 exec, exec, s[10:11]
	s_waitcnt vmcnt(2) lgkmcnt(0)
	v_mad_i64_i32 v[4:5], s[10:11], v3, s17, 0
	s_mul_i32 s2, s8, s18
	s_lshl_b64 s[10:11], s[2:3], 1
	s_add_u32 s2, s10, s20
	v_lshlrev_b64 v[4:5], 1, v[4:5]
	s_addc_u32 s3, s11, s21
	v_mov_b32_e32 v3, s3
	v_add_co_u32_e32 v18, vcc, s2, v4
	v_and_b32_e32 v4, 31, v0
	v_addc_co_u32_e32 v3, vcc, v3, v5, vcc
	v_lshlrev_b32_e32 v21, 4, v4
	v_add_co_u32_e32 v16, vcc, v18, v21
	v_addc_co_u32_e32 v17, vcc, 0, v3, vcc
	global_load_dwordx4 v[4:7], v[16:17], off
	global_load_dwordx4 v[8:11], v[16:17], off offset:512
	global_load_dwordx4 v[12:15], v[16:17], off offset:1024
	global_load_dwordx4 v[22:25], v[16:17], off offset:1536
	global_load_dwordx4 v[26:29], v[16:17], off offset:2048
	global_load_dwordx4 v[30:33], v[16:17], off offset:2560
	global_load_dwordx4 v[34:37], v[16:17], off offset:3072
	global_load_dwordx4 v[38:41], v[16:17], off offset:3584
	v_or_b32_e32 v42, 0x1000, v21
	v_add_co_u32_e32 v16, vcc, v18, v42
	v_addc_co_u32_e32 v17, vcc, 0, v3, vcc
	global_load_dwordx4 v[42:45], v[16:17], off
	v_or_b32_e32 v48, 0x1200, v21
	v_add_co_u32_e32 v16, vcc, v18, v48
	v_addc_co_u32_e32 v17, vcc, 0, v3, vcc
	global_load_dwordx4 v[50:53], v[16:17], off
	;; [unrolled: 4-line block ×6, first 2 shown]
	v_or_b32_e32 v16, 0x1c00, v21
	v_add_co_u32_e32 v16, vcc, v18, v16
	v_addc_co_u32_e32 v17, vcc, 0, v3, vcc
	v_mov_b32_e32 v46, 0x1e00
	global_load_dwordx4 v[84:87], v[16:17], off
	v_lshl_or_b32 v46, v0, 4, v46
	s_waitcnt vmcnt(16)
	v_mul_hi_i32 v47, v2, s17
	v_ashrrev_i32_e32 v47, 31, v47
	s_load_dword s2, s[4:5], 0x1c
	s_add_u32 s3, s22, s10
	s_addc_u32 s10, s23, s11
	v_lshlrev_b32_e32 v54, 6, v1
	v_or_b32_e32 v55, 0x1000, v54
	s_waitcnt vmcnt(14)
	v_mfma_f32_4x4x4f16 a[0:3], v[56:57], v[4:5], 0 cbsz:4
	v_add_co_u32_e32 v4, vcc, v18, v46
	v_addc_co_u32_e32 v5, vcc, 0, v3, vcc
	global_load_dwordx4 v[88:91], v[4:5], off
	v_mfma_f32_4x4x4f16 a[0:3], v[58:59], v[6:7], a[0:3] cbsz:4
	v_lshrrev_b32_e32 v18, 29, v47
	s_waitcnt vmcnt(14)
	v_mfma_f32_4x4x4f16 a[0:3], v[56:57], v[8:9], a[0:3] cbsz:4 abid:1
	v_mad_i64_i32 v[2:3], s[4:5], v2, s17, v[18:19]
	v_mfma_f32_4x4x4f16 a[0:3], v[58:59], v[10:11], a[0:3] cbsz:4 abid:1
	v_lshlrev_b64 v[2:3], 1, v[2:3]
	s_waitcnt vmcnt(13)
	v_mfma_f32_4x4x4f16 a[0:3], v[56:57], v[12:13], a[0:3] cbsz:4 abid:2
	v_and_b32_e32 v2, -16, v2
	v_mfma_f32_4x4x4f16 a[0:3], v[58:59], v[14:15], a[0:3] cbsz:4 abid:2
	v_mov_b32_e32 v4, s10
	s_waitcnt vmcnt(12)
	v_mfma_f32_4x4x4f16 a[0:3], v[56:57], v[22:23], a[0:3] cbsz:4 abid:3
	v_add_co_u32_e32 v18, vcc, s3, v2
	v_mfma_f32_4x4x4f16 a[0:3], v[58:59], v[24:25], a[0:3] cbsz:4 abid:3
	v_addc_co_u32_e32 v21, vcc, v4, v3, vcc
	s_waitcnt vmcnt(11)
	v_mfma_f32_4x4x4f16 a[0:3], v[56:57], v[26:27], a[0:3] cbsz:4 abid:4
	v_add_co_u32_e32 v22, vcc, v18, v54
	v_mfma_f32_4x4x4f16 a[0:3], v[58:59], v[28:29], a[0:3] cbsz:4 abid:4
	v_addc_co_u32_e32 v23, vcc, 0, v21, vcc
	s_waitcnt vmcnt(10)
	v_mfma_f32_4x4x4f16 a[0:3], v[56:57], v[30:31], a[0:3] cbsz:4 abid:5
	global_load_dwordx4 v[14:17], v[22:23], off
	global_load_dwordx4 v[2:5], v[22:23], off offset:16
	v_mfma_f32_4x4x4f16 a[0:3], v[58:59], v[32:33], a[0:3] cbsz:4 abid:5
	global_load_dwordx4 v[6:9], v[22:23], off offset:32
	global_load_dwordx4 v[10:13], v[22:23], off offset:48
	s_waitcnt vmcnt(13)
	v_mfma_f32_4x4x4f16 a[0:3], v[56:57], v[34:35], a[0:3] cbsz:4 abid:6
	v_add_co_u32_e32 v22, vcc, v18, v55
	v_mfma_f32_4x4x4f16 a[0:3], v[58:59], v[36:37], a[0:3] cbsz:4 abid:6
	v_mul_hi_i32 v18, v20, s17
	s_waitcnt vmcnt(12)
	v_mfma_f32_4x4x4f16 a[0:3], v[56:57], v[38:39], a[0:3] cbsz:4 abid:7
	v_ashrrev_i32_e32 v18, 31, v18
	v_mfma_f32_4x4x4f16 a[0:3], v[58:59], v[40:41], a[0:3] cbsz:4 abid:7
	v_lshrrev_b32_e32 v18, 29, v18
	s_waitcnt vmcnt(11)
	v_mfma_f32_4x4x4f16 a[0:3], v[56:57], v[42:43], a[0:3] cbsz:4 abid:8
	v_mad_i64_i32 v[18:19], s[4:5], v20, s17, v[18:19]
	v_mfma_f32_4x4x4f16 a[0:3], v[58:59], v[44:45], a[0:3] cbsz:4 abid:8
	v_lshlrev_b64 v[18:19], 1, v[18:19]
	s_waitcnt vmcnt(10)
	v_mfma_f32_4x4x4f16 a[0:3], v[56:57], v[50:51], a[0:3] cbsz:4 abid:9
	v_addc_co_u32_e32 v23, vcc, 0, v21, vcc
	v_mfma_f32_4x4x4f16 a[0:3], v[58:59], v[52:53], a[0:3] cbsz:4 abid:9
	v_and_b32_e32 v18, -16, v18
	s_waitcnt vmcnt(9)
	v_mfma_f32_4x4x4f16 a[0:3], v[56:57], v[60:61], a[0:3] cbsz:4 abid:10
	v_mov_b32_e32 v20, s10
	v_mfma_f32_4x4x4f16 a[0:3], v[58:59], v[62:63], a[0:3] cbsz:4 abid:10
	v_add_co_u32_e32 v52, vcc, s3, v18
	s_waitcnt vmcnt(8)
	v_mfma_f32_4x4x4f16 a[0:3], v[56:57], v[72:73], a[0:3] cbsz:4 abid:11
	v_addc_co_u32_e32 v53, vcc, v20, v19, vcc
	v_mfma_f32_4x4x4f16 a[0:3], v[58:59], v[74:75], a[0:3] cbsz:4 abid:11
	v_add_co_u32_e32 v50, vcc, v52, v54
	s_waitcnt vmcnt(7)
	v_mfma_f32_4x4x4f16 a[0:3], v[56:57], v[76:77], a[0:3] cbsz:4 abid:12
	v_addc_co_u32_e32 v51, vcc, 0, v53, vcc
	;; [unrolled: 5-line block ×3, first 2 shown]
	v_mfma_f32_4x4x4f16 a[0:3], v[58:59], v[82:83], a[0:3] cbsz:4 abid:13
	global_load_dwordx4 v[26:29], v[22:23], off
	global_load_dwordx4 v[34:37], v[22:23], off offset:16
	s_waitcnt vmcnt(7)
	v_mfma_f32_4x4x4f16 a[0:3], v[56:57], v[84:85], a[0:3] cbsz:4 abid:14
	global_load_dwordx4 v[42:45], v[22:23], off offset:32
	global_load_dwordx4 v[46:49], v[22:23], off offset:48
	v_mfma_f32_4x4x4f16 a[0:3], v[58:59], v[86:87], a[0:3] cbsz:4 abid:14
	global_load_dwordx4 v[18:21], v[50:51], off
	global_load_dwordx4 v[22:25], v[50:51], off offset:16
	s_waitcnt vmcnt(10)
	v_mfma_f32_4x4x4f16 a[0:3], v[56:57], v[88:89], a[0:3] cbsz:4 abid:15
	global_load_dwordx4 v[30:33], v[50:51], off offset:32
	global_load_dwordx4 v[38:41], v[50:51], off offset:48
	v_mfma_f32_4x4x4f16 a[0:3], v[58:59], v[90:91], a[0:3] cbsz:4 abid:15
	global_load_dwordx4 v[50:53], v[68:69], off
	global_load_dwordx4 v[54:57], v[68:69], off offset:16
	v_cmp_eq_u32_e32 vcc, 1, v71
	s_nop 1
	v_accvgpr_read_b32 v59, a1
	v_accvgpr_read_b32 v58, a0
	s_waitcnt lgkmcnt(0)
	v_pk_mul_f32 v[72:73], s[2:3], v[58:59] op_sel_hi:[0,1]
	global_load_dwordx4 v[58:61], v[68:69], off offset:32
	global_load_dwordx4 v[62:65], v[68:69], off offset:48
	v_accvgpr_read_b32 v69, a3
	v_accvgpr_read_b32 v68, a2
	v_pk_mul_f32 v[68:69], s[2:3], v[68:69] op_sel_hi:[0,1]
	v_mfma_f32_4x4x1f32 a[0:3], v72, v67, 0
	v_cndmask_b32_e64 v67, 0, 1.0, vcc
	v_cmp_eq_u32_e32 vcc, 2, v71
	s_nop 0
	v_mfma_f32_4x4x1f32 a[0:3], v73, v67, a[0:3]
	v_cndmask_b32_e64 v67, 0, 1.0, vcc
	v_cmp_eq_u32_e32 vcc, 3, v71
	v_mov_b32_e32 v73, 0xff7fffff
	v_mfma_f32_4x4x1f32 a[0:3], v68, v67, a[0:3]
	v_cndmask_b32_e64 v67, 0, 1.0, vcc
	v_lshlrev_b32_e32 v68, 2, v0
	v_and_or_b32 v68, v68, 48, v71
	v_mfma_f32_4x4x1f32 a[0:3], v69, v67, a[0:3]
	v_and_b32_e32 v67, -4, v66
	v_cmp_gt_i32_e32 vcc, s9, v67
	v_or_b32_e32 v66, 3, v66
	v_cmp_gt_i32_e64 s[10:11], s9, v66
	v_lshlrev_b32_e32 v76, 2, v68
	v_accvgpr_read_b32 v69, a0
	v_max_f32_e32 v72, v69, v69
	v_max_f32_e32 v72, 0xff7fffff, v72
	v_accvgpr_read_b32 v74, a1
	v_cndmask_b32_e32 v72, v73, v72, vcc
	v_or_b32_e32 v73, 1, v67
	v_max_f32_e32 v75, v74, v74
	v_max_f32_e32 v75, v72, v75
	v_cmp_gt_i32_e64 s[2:3], s9, v73
	v_accvgpr_read_b32 v73, a2
	v_cndmask_b32_e64 v72, v72, v75, s[2:3]
	v_or_b32_e32 v67, 2, v67
	v_max_f32_e32 v75, v73, v73
	v_max_f32_e32 v75, v72, v75
	v_cmp_gt_i32_e64 s[4:5], s9, v67
	v_cndmask_b32_e64 v67, v72, v75, s[4:5]
	v_accvgpr_read_b32 v75, a3
	v_max_f32_e32 v72, v75, v75
	v_max_f32_e32 v72, v67, v72
	v_cndmask_b32_e64 v66, v67, v72, s[10:11]
	;;#ASMSTART
	v_nop
 v_nop
 v_max_f32_dpp v66, v66, v66 row_ror:4
	;;#ASMEND
	;;#ASMSTART
	v_nop
 v_nop
 v_max_f32_dpp v66, v66, v66 row_ror:8
	;;#ASMEND
	ds_bpermute_b32 v66, v76, v66
	s_waitcnt lgkmcnt(0)
	;;#ASMSTART
	v_nop
 v_nop
 v_max_f32_dpp v66, v66, v66 row_ror:4
	;;#ASMEND
	;;#ASMSTART
	v_nop
 v_nop
 v_max_f32_dpp v72, v66, v66 row_ror:8
	;;#ASMEND
	v_sub_f32_e32 v66, v69, v72
	v_mul_f32_e32 v66, 0x3fb8aa3b, v66
	v_sub_f32_e32 v67, v74, v72
	v_exp_f32_e32 v66, v66
	v_mul_f32_e32 v67, 0x3fb8aa3b, v67
	v_sub_f32_e32 v69, v73, v72
	v_exp_f32_e32 v67, v67
	;; [unrolled: 3-line block ×3, first 2 shown]
	v_mul_f32_e32 v73, 0x3fb8aa3b, v73
	v_exp_f32_e32 v73, v73
	v_cndmask_b32_e32 v66, 0, v66, vcc
	v_add_f32_e32 v68, 0, v66
	v_cndmask_b32_e64 v67, 0, v67, s[2:3]
	v_add_f32_e32 v74, v68, v67
	v_cndmask_b32_e64 v68, 0, v69, s[4:5]
	;; [unrolled: 2-line block ×3, first 2 shown]
	v_add_f32_e32 v73, v74, v69
	;;#ASMSTART
	v_nop
 v_nop
 v_add_f32_dpp v73, v73, v73 row_ror:4
	;;#ASMEND
	;;#ASMSTART
	v_nop
 v_nop
 v_add_f32_dpp v73, v73, v73 row_ror:8
	;;#ASMEND
	ds_bpermute_b32 v73, v76, v73
	s_waitcnt lgkmcnt(0)
	;;#ASMSTART
	v_nop
 v_nop
 v_add_f32_dpp v73, v73, v73 row_ror:4
	;;#ASMEND
	v_cmp_gt_u32_e32 vcc, 4, v1
	;;#ASMSTART
	v_nop
 v_nop
 v_add_f32_dpp v73, v73, v73 row_ror:8
	;;#ASMEND
	s_and_saveexec_b64 s[2:3], vcc
	s_cbranch_execz .LBB172_16
; %bb.15:
	v_mul_u32_u24_e32 v74, 20, v70
	v_lshl_add_u32 v74, v71, 2, v74
	v_add_u32_e32 v74, 0x1400, v74
	ds_write2_b32 v74, v72, v73 offset1:20
.LBB172_16:
	s_or_b64 exec, exec, s[2:3]
.LBB172_17:
	s_or_b64 exec, exec, s[30:31]
	s_waitcnt lgkmcnt(0)
	s_barrier
	s_load_dword s2, s[28:29], 0x8
	v_lshlrev_b32_e32 v73, 2, v71
	v_add_u32_e32 v74, 0x1400, v73
	ds_read2_b32 v[76:77], v74 offset1:5
	ds_read2_b32 v[78:79], v74 offset0:10 offset1:15
	s_mul_i32 s3, s7, s6
	s_waitcnt lgkmcnt(0)
	s_mul_i32 s2, s3, s2
	s_mov_b32 s3, 0xff7fffff
	v_max3_f32 v73, v76, s3, v77
	v_max3_f32 v73, v73, v78, v79
	v_sub_f32_e32 v75, v76, v73
	v_sub_f32_e32 v76, v77, v73
	v_mul_f32_e32 v76, 0x3fb8aa3b, v76
	ds_read2_b32 v[80:81], v74 offset0:20 offset1:25
	v_mul_f32_e32 v75, 0x3fb8aa3b, v75
	v_exp_f32_e32 v83, v76
	ds_read2_b32 v[76:77], v74 offset0:30 offset1:35
	v_sub_f32_e32 v74, v78, v73
	v_exp_f32_e32 v82, v75
	v_mul_f32_e32 v74, 0x3fb8aa3b, v74
	v_exp_f32_e32 v78, v74
	v_sub_f32_e32 v74, v79, v73
	v_mul_f32_e32 v74, 0x3fb8aa3b, v74
	v_exp_f32_e32 v79, v74
	s_waitcnt lgkmcnt(1)
	v_fma_f32 v74, v82, v80, 0
	v_fmac_f32_e32 v74, v83, v81
	s_waitcnt lgkmcnt(0)
	v_fmac_f32_e32 v74, v78, v76
	v_mov_b32_e32 v75, 0
	v_fmac_f32_e32 v74, v79, v77
	s_mov_b32 s3, 0
	v_cmp_eq_u32_e32 vcc, 0, v71
	s_and_saveexec_b64 s[4:5], vcc
	s_cbranch_execz .LBB172_19
; %bb.18:
	s_lshl_b64 s[10:11], s[2:3], 2
	s_add_u32 s6, s12, s10
	s_mov_b32 s25, s3
	s_addc_u32 s9, s13, s11
	s_lshl_b64 s[12:13], s[24:25], 2
	s_add_u32 s6, s6, s12
	s_addc_u32 s9, s9, s13
	s_add_u32 s10, s14, s10
	s_addc_u32 s11, s15, s11
	;; [unrolled: 2-line block ×3, first 2 shown]
	s_mul_i32 s10, s7, s8
	s_mov_b32 s11, s3
	s_lshl_b64 s[10:11], s[10:11], 2
	s_add_u32 s12, s6, s10
	s_addc_u32 s13, s9, s11
	s_add_u32 s10, s14, s10
	s_addc_u32 s11, s15, s11
	global_store_dword v75, v73, s[10:11]
	global_store_dword v75, v74, s[12:13]
.LBB172_19:
	s_or_b64 exec, exec, s[4:5]
	v_lshlrev_b32_e32 v70, 3, v70
	s_and_saveexec_b64 s[4:5], s[0:1]
	s_xor_b64 s[0:1], exec, s[4:5]
	s_cbranch_execz .LBB172_21
; %bb.20:
	s_mov_b32 s4, 0
	s_mov_b32 s5, s4
	s_waitcnt vmcnt(14)
	v_mad_u32_u24 v4, v1, 40, v70
	v_pk_mov_b32 v[2:3], s[4:5], s[4:5] op_sel:[0,1]
	ds_write2st64_b64 v4, v[2:3], v[2:3] offset1:5
                                        ; implicit-def: $vgpr69
                                        ; implicit-def: $vgpr67
                                        ; implicit-def: $vgpr15
                                        ; implicit-def: $vgpr3
                                        ; implicit-def: $vgpr7
                                        ; implicit-def: $vgpr11
                                        ; implicit-def: $vgpr19
                                        ; implicit-def: $vgpr23
                                        ; implicit-def: $vgpr31
                                        ; implicit-def: $vgpr39
                                        ; implicit-def: $vgpr27
                                        ; implicit-def: $vgpr35
                                        ; implicit-def: $vgpr43
                                        ; implicit-def: $vgpr47
                                        ; implicit-def: $vgpr51
                                        ; implicit-def: $vgpr55
                                        ; implicit-def: $vgpr59
                                        ; implicit-def: $vgpr63
                                        ; implicit-def: $vgpr72
                                        ; implicit-def: $vgpr73
                                        ; implicit-def: $vgpr74
                                        ; implicit-def: $vgpr70
.LBB172_21:
	s_andn2_saveexec_b64 s[0:1], s[0:1]
	s_cbranch_execz .LBB172_23
; %bb.22:
	v_add_f32_e32 v71, 0x358637bd, v74
	v_div_scale_f32 v74, s[4:5], v71, v71, 1.0
	v_rcp_f32_e32 v75, v74
	v_sub_f32_e32 v72, v72, v73
	v_mul_f32_e32 v72, 0x3fb8aa3b, v72
	v_exp_f32_e32 v72, v72
	v_fma_f32 v73, -v74, v75, 1.0
	v_fmac_f32_e32 v75, v73, v75
	v_div_scale_f32 v73, vcc, 1.0, v71, 1.0
	v_mul_f32_e32 v76, v73, v75
	v_fma_f32 v77, -v74, v76, v73
	v_fmac_f32_e32 v76, v77, v75
	v_fma_f32 v73, -v74, v76, v73
	v_div_fmas_f32 v73, v73, v75, v76
	v_div_fixup_f32 v71, v73, v71, 1.0
	v_mul_f32_e32 v72, v72, v71
	v_pk_mul_f32 v[68:69], v[68:69], v[72:73] op_sel_hi:[1,0]
	v_pk_mul_f32 v[66:67], v[66:67], v[72:73] op_sel_hi:[1,0]
	v_cvt_f16_f32_e32 v66, v66
	v_cvt_f16_f32_e32 v67, v67
	;; [unrolled: 1-line block ×4, first 2 shown]
	v_pack_b32_f16 v66, v66, v67
	v_pack_b32_f16 v67, v68, v69
	s_waitcnt vmcnt(15)
	s_nop 0
	v_mfma_f32_4x4x4f16 a[0:3], v[66:67], v[14:15], 0 cbsz:4
	v_mfma_f32_4x4x4f16 a[0:3], v[66:67], v[16:17], a[0:3] cbsz:4 abid:1
	s_waitcnt vmcnt(14)
	v_mfma_f32_4x4x4f16 a[0:3], v[66:67], v[2:3], a[0:3] cbsz:4 abid:2
	s_waitcnt vmcnt(11)
	v_mfma_f32_4x4x4f16 a[4:7], v[66:67], v[26:27], 0 cbsz:4
	v_mfma_f32_4x4x4f16 a[0:3], v[66:67], v[4:5], a[0:3] cbsz:4 abid:3
	v_mfma_f32_4x4x4f16 a[4:7], v[66:67], v[28:29], a[4:7] cbsz:4 abid:1
	;; [unrolled: 1-line block ×3, first 2 shown]
	s_waitcnt vmcnt(10)
	v_mfma_f32_4x4x4f16 a[4:7], v[66:67], v[34:35], a[4:7] cbsz:4 abid:2
	v_mfma_f32_4x4x4f16 a[0:3], v[66:67], v[8:9], a[0:3] cbsz:4 abid:5
	v_mad_u32_u24 v9, v1, 40, v70
	v_mfma_f32_4x4x4f16 a[4:7], v[66:67], v[36:37], a[4:7] cbsz:4 abid:3
	v_mfma_f32_4x4x4f16 a[0:3], v[66:67], v[10:11], a[0:3] cbsz:4 abid:6
	s_waitcnt vmcnt(9)
	v_mfma_f32_4x4x4f16 a[4:7], v[66:67], v[42:43], a[4:7] cbsz:4 abid:4
	v_mfma_f32_4x4x4f16 a[0:3], v[66:67], v[12:13], a[0:3] cbsz:4 abid:7
	;; [unrolled: 1-line block ×3, first 2 shown]
	s_waitcnt vmcnt(7)
	v_mfma_f32_4x4x4f16 a[0:3], v[66:67], v[18:19], a[0:3] cbsz:4 abid:8
	v_mfma_f32_4x4x4f16 a[4:7], v[66:67], v[46:47], a[4:7] cbsz:4 abid:6
	;; [unrolled: 1-line block ×4, first 2 shown]
	s_waitcnt vmcnt(6)
	v_mfma_f32_4x4x4f16 a[0:3], v[66:67], v[22:23], a[0:3] cbsz:4 abid:10
	s_waitcnt vmcnt(3)
	v_mfma_f32_4x4x4f16 a[4:7], v[66:67], v[50:51], a[4:7] cbsz:4 abid:8
	v_mfma_f32_4x4x4f16 a[0:3], v[66:67], v[24:25], a[0:3] cbsz:4 abid:11
	v_mfma_f32_4x4x4f16 a[4:7], v[66:67], v[52:53], a[4:7] cbsz:4 abid:9
	v_mfma_f32_4x4x4f16 a[0:3], v[66:67], v[30:31], a[0:3] cbsz:4 abid:12
	s_waitcnt vmcnt(2)
	v_mfma_f32_4x4x4f16 a[4:7], v[66:67], v[54:55], a[4:7] cbsz:4 abid:10
	v_mfma_f32_4x4x4f16 a[0:3], v[66:67], v[32:33], a[0:3] cbsz:4 abid:13
	;; [unrolled: 1-line block ×5, first 2 shown]
	s_waitcnt vmcnt(1)
	v_mfma_f32_4x4x4f16 a[4:7], v[66:67], v[58:59], a[4:7] cbsz:4 abid:12
	s_nop 2
	v_accvgpr_read_b32 v2, a0
	v_accvgpr_read_b32 v3, a1
	;; [unrolled: 1-line block ×4, first 2 shown]
	v_mfma_f32_4x4x4f16 a[0:3], v[66:67], v[60:61], a[4:7] cbsz:4 abid:13
	v_cvt_f16_f32_e32 v2, v2
	v_cvt_f16_f32_e32 v3, v3
	s_waitcnt vmcnt(0)
	v_mfma_f32_4x4x4f16 a[0:3], v[66:67], v[62:63], a[0:3] cbsz:4 abid:14
	v_pack_b32_f16 v2, v2, v3
	v_mfma_f32_4x4x4f16 a[0:3], v[66:67], v[64:65], a[0:3] cbsz:4 abid:15
	v_cvt_f16_f32_e32 v3, v4
	v_cvt_f16_f32_e32 v4, v5
	v_pack_b32_f16 v3, v3, v4
	s_nop 1
	v_accvgpr_read_b32 v5, a0
	v_accvgpr_read_b32 v6, a1
	;; [unrolled: 1-line block ×4, first 2 shown]
	v_cvt_f16_f32_e32 v5, v5
	v_cvt_f16_f32_e32 v6, v6
	;; [unrolled: 1-line block ×4, first 2 shown]
	v_pack_b32_f16 v4, v5, v6
	v_pack_b32_f16 v5, v7, v8
	ds_write2st64_b64 v9, v[2:3], v[4:5] offset1:5
.LBB172_23:
	s_or_b64 exec, exec, s[0:1]
	v_cmp_gt_u32_e32 vcc, 64, v0
	s_waitcnt lgkmcnt(0)
	s_barrier
	s_and_saveexec_b64 s[0:1], vcc
	s_cbranch_execz .LBB172_25
; %bb.24:
	s_waitcnt vmcnt(14)
	v_mov_b32_e32 v2, 0xa00
	v_mad_u32_u24 v2, v1, 40, v2
	s_waitcnt vmcnt(13)
	v_mov_b32_e32 v6, 0xa10
	ds_read2_b64 v[2:5], v2 offset1:1
	s_waitcnt lgkmcnt(0)
	v_mad_u32_u24 v3, v1, 40, v6
	ds_read2_b64 v[6:9], v3 offset1:1
	v_mul_u32_u24_e32 v5, 40, v1
	s_mul_i32 s8, s8, s7
	v_pk_add_f16 v1, v2, 0
	v_pk_add_f16 v1, v1, v4
	s_waitcnt lgkmcnt(0)
	v_pk_add_f16 v1, v1, v6
	s_mov_b32 s1, 0
	s_waitcnt vmcnt(12)
	v_pk_add_f16 v10, v1, v8
	s_lshl_b32 s0, s2, 7
	v_lshl_or_b32 v0, s8, 7, v0
	v_mov_b32_e32 v1, 0
	s_lshl_b64 s[2:3], s[0:1], 1
	v_lshlrev_b64 v[8:9], 1, v[0:1]
	ds_read2_b64 v[0:3], v5 offset1:1
	ds_read2_b64 v[4:7], v5 offset0:2 offset1:3
	s_add_u32 s2, s26, s2
	s_addc_u32 s3, s27, s3
	s_lshl_b32 s0, s24, 7
	s_lshl_b64 s[0:1], s[0:1], 1
	s_add_u32 s0, s2, s0
	s_waitcnt lgkmcnt(1)
	v_pk_add_f16 v0, v0, 0
	s_addc_u32 s1, s3, s1
	v_pk_add_f16 v0, v0, v2
	v_mov_b32_e32 v11, s1
	v_add_co_u32_e32 v8, vcc, s0, v8
	s_waitcnt lgkmcnt(0)
	v_pk_add_f16 v0, v0, v4
	v_addc_co_u32_e32 v9, vcc, v11, v9, vcc
	v_pk_add_f16 v0, v0, v6
	global_store_short v[8:9], v0, off
	global_store_short v[8:9], v10, off offset:128
.LBB172_25:
	s_endpgm
	.section	.rodata,"a",@progbits
	.p2align	6, 0x0
	.amdhsa_kernel _Z38paged_attention_ll4mi_QKV_mfma4_kernelIDF16_DF16_LN4vllm18Fp8KVCacheDataTypeE0EDF16_Li32ELi128ELi256ELb0ELi1EEvPKT_PKT0_S7_ifPKiS9_S9_iPKfiiiPfSC_PS2_PT2_iSB_SB_
		.amdhsa_group_segment_fixed_size 5280
		.amdhsa_private_segment_fixed_size 0
		.amdhsa_kernarg_size 400
		.amdhsa_user_sgpr_count 6
		.amdhsa_user_sgpr_private_segment_buffer 1
		.amdhsa_user_sgpr_dispatch_ptr 0
		.amdhsa_user_sgpr_queue_ptr 0
		.amdhsa_user_sgpr_kernarg_segment_ptr 1
		.amdhsa_user_sgpr_dispatch_id 0
		.amdhsa_user_sgpr_flat_scratch_init 0
		.amdhsa_user_sgpr_kernarg_preload_length 0
		.amdhsa_user_sgpr_kernarg_preload_offset 0
		.amdhsa_user_sgpr_private_segment_size 0
		.amdhsa_uses_dynamic_stack 0
		.amdhsa_system_sgpr_private_segment_wavefront_offset 0
		.amdhsa_system_sgpr_workgroup_id_x 1
		.amdhsa_system_sgpr_workgroup_id_y 1
		.amdhsa_system_sgpr_workgroup_id_z 1
		.amdhsa_system_sgpr_workgroup_info 0
		.amdhsa_system_vgpr_workitem_id 0
		.amdhsa_next_free_vgpr 100
		.amdhsa_next_free_sgpr 38
		.amdhsa_accum_offset 92
		.amdhsa_reserve_vcc 1
		.amdhsa_reserve_flat_scratch 0
		.amdhsa_float_round_mode_32 0
		.amdhsa_float_round_mode_16_64 0
		.amdhsa_float_denorm_mode_32 3
		.amdhsa_float_denorm_mode_16_64 3
		.amdhsa_dx10_clamp 1
		.amdhsa_ieee_mode 1
		.amdhsa_fp16_overflow 0
		.amdhsa_tg_split 0
		.amdhsa_exception_fp_ieee_invalid_op 0
		.amdhsa_exception_fp_denorm_src 0
		.amdhsa_exception_fp_ieee_div_zero 0
		.amdhsa_exception_fp_ieee_overflow 0
		.amdhsa_exception_fp_ieee_underflow 0
		.amdhsa_exception_fp_ieee_inexact 0
		.amdhsa_exception_int_div_zero 0
	.end_amdhsa_kernel
	.section	.text._Z38paged_attention_ll4mi_QKV_mfma4_kernelIDF16_DF16_LN4vllm18Fp8KVCacheDataTypeE0EDF16_Li32ELi128ELi256ELb0ELi1EEvPKT_PKT0_S7_ifPKiS9_S9_iPKfiiiPfSC_PS2_PT2_iSB_SB_,"axG",@progbits,_Z38paged_attention_ll4mi_QKV_mfma4_kernelIDF16_DF16_LN4vllm18Fp8KVCacheDataTypeE0EDF16_Li32ELi128ELi256ELb0ELi1EEvPKT_PKT0_S7_ifPKiS9_S9_iPKfiiiPfSC_PS2_PT2_iSB_SB_,comdat
.Lfunc_end172:
	.size	_Z38paged_attention_ll4mi_QKV_mfma4_kernelIDF16_DF16_LN4vllm18Fp8KVCacheDataTypeE0EDF16_Li32ELi128ELi256ELb0ELi1EEvPKT_PKT0_S7_ifPKiS9_S9_iPKfiiiPfSC_PS2_PT2_iSB_SB_, .Lfunc_end172-_Z38paged_attention_ll4mi_QKV_mfma4_kernelIDF16_DF16_LN4vllm18Fp8KVCacheDataTypeE0EDF16_Li32ELi128ELi256ELb0ELi1EEvPKT_PKT0_S7_ifPKiS9_S9_iPKfiiiPfSC_PS2_PT2_iSB_SB_
                                        ; -- End function
	.section	.AMDGPU.csdata,"",@progbits
; Kernel info:
; codeLenInByte = 3656
; NumSgprs: 42
; NumVgprs: 92
; NumAgprs: 8
; TotalNumVgprs: 100
; ScratchSize: 0
; MemoryBound: 0
; FloatMode: 240
; IeeeMode: 1
; LDSByteSize: 5280 bytes/workgroup (compile time only)
; SGPRBlocks: 5
; VGPRBlocks: 12
; NumSGPRsForWavesPerEU: 42
; NumVGPRsForWavesPerEU: 100
; AccumOffset: 92
; Occupancy: 4
; WaveLimiterHint : 1
; COMPUTE_PGM_RSRC2:SCRATCH_EN: 0
; COMPUTE_PGM_RSRC2:USER_SGPR: 6
; COMPUTE_PGM_RSRC2:TRAP_HANDLER: 0
; COMPUTE_PGM_RSRC2:TGID_X_EN: 1
; COMPUTE_PGM_RSRC2:TGID_Y_EN: 1
; COMPUTE_PGM_RSRC2:TGID_Z_EN: 1
; COMPUTE_PGM_RSRC2:TIDIG_COMP_CNT: 0
; COMPUTE_PGM_RSRC3_GFX90A:ACCUM_OFFSET: 22
; COMPUTE_PGM_RSRC3_GFX90A:TG_SPLIT: 0
	.section	.text._Z38paged_attention_ll4mi_QKV_mfma4_kernelIDF16_DF16_LN4vllm18Fp8KVCacheDataTypeE0EDF16_Li32ELi128ELi256ELb0ELi2EEvPKT_PKT0_S7_ifPKiS9_S9_iPKfiiiPfSC_PS2_PT2_iSB_SB_,"axG",@progbits,_Z38paged_attention_ll4mi_QKV_mfma4_kernelIDF16_DF16_LN4vllm18Fp8KVCacheDataTypeE0EDF16_Li32ELi128ELi256ELb0ELi2EEvPKT_PKT0_S7_ifPKiS9_S9_iPKfiiiPfSC_PS2_PT2_iSB_SB_,comdat
	.protected	_Z38paged_attention_ll4mi_QKV_mfma4_kernelIDF16_DF16_LN4vllm18Fp8KVCacheDataTypeE0EDF16_Li32ELi128ELi256ELb0ELi2EEvPKT_PKT0_S7_ifPKiS9_S9_iPKfiiiPfSC_PS2_PT2_iSB_SB_ ; -- Begin function _Z38paged_attention_ll4mi_QKV_mfma4_kernelIDF16_DF16_LN4vllm18Fp8KVCacheDataTypeE0EDF16_Li32ELi128ELi256ELb0ELi2EEvPKT_PKT0_S7_ifPKiS9_S9_iPKfiiiPfSC_PS2_PT2_iSB_SB_
	.globl	_Z38paged_attention_ll4mi_QKV_mfma4_kernelIDF16_DF16_LN4vllm18Fp8KVCacheDataTypeE0EDF16_Li32ELi128ELi256ELb0ELi2EEvPKT_PKT0_S7_ifPKiS9_S9_iPKfiiiPfSC_PS2_PT2_iSB_SB_
	.p2align	8
	.type	_Z38paged_attention_ll4mi_QKV_mfma4_kernelIDF16_DF16_LN4vllm18Fp8KVCacheDataTypeE0EDF16_Li32ELi128ELi256ELb0ELi2EEvPKT_PKT0_S7_ifPKiS9_S9_iPKfiiiPfSC_PS2_PT2_iSB_SB_,@function
_Z38paged_attention_ll4mi_QKV_mfma4_kernelIDF16_DF16_LN4vllm18Fp8KVCacheDataTypeE0EDF16_Li32ELi128ELi256ELb0ELi2EEvPKT_PKT0_S7_ifPKiS9_S9_iPKfiiiPfSC_PS2_PT2_iSB_SB_: ; @_Z38paged_attention_ll4mi_QKV_mfma4_kernelIDF16_DF16_LN4vllm18Fp8KVCacheDataTypeE0EDF16_Li32ELi128ELi256ELb0ELi2EEvPKT_PKT0_S7_ifPKiS9_S9_iPKfiiiPfSC_PS2_PT2_iSB_SB_
; %bb.0:
	s_load_dwordx2 s[2:3], s[4:5], 0x30
	s_mov_b32 s24, s7
	s_mov_b64 s[0:1], 0
	s_waitcnt lgkmcnt(0)
	s_cmp_lg_u64 s[2:3], 0
	s_cselect_b64 s[10:11], -1, 0
	s_and_b64 vcc, exec, s[10:11]
	s_cbranch_vccz .LBB173_10
; %bb.1:
	s_add_i32 s12, s6, 1
	s_mov_b32 s13, 0
	s_lshl_b64 s[14:15], s[12:13], 2
	s_add_u32 s14, s2, s14
	s_mov_b32 s7, s13
	s_addc_u32 s15, s3, s15
	s_lshl_b64 s[12:13], s[6:7], 2
	s_add_u32 s12, s2, s12
	s_addc_u32 s13, s3, s13
	s_load_dword s9, s[14:15], 0x0
	s_load_dword s16, s[12:13], 0x0
	s_waitcnt lgkmcnt(0)
	s_sub_i32 s9, s9, s16
	s_cmp_eq_u32 s9, 1
	s_cselect_b64 s[12:13], -1, 0
	s_andn2_b64 vcc, exec, s[0:1]
	s_cbranch_vccnz .LBB173_3
.LBB173_2:
	s_mov_b32 s7, 0
	s_mov_b64 s[12:13], -1
.LBB173_3:
	s_andn2_b64 vcc, exec, s[12:13]
	s_cbranch_vccnz .LBB173_25
; %bb.4:
	s_load_dword s9, s[4:5], 0x9c
	s_load_dwordx2 s[0:1], s[4:5], 0x28
	s_add_u32 s28, s4, 0x90
	s_addc_u32 s29, s5, 0
	s_lshl_b64 s[16:17], s[6:7], 2
	s_waitcnt lgkmcnt(0)
	s_and_b32 s12, s9, 0xffff
	s_add_u32 s0, s0, s16
	s_addc_u32 s1, s1, s17
	s_load_dword s9, s[0:1], 0x0
	s_mul_i32 s18, s24, s12
	s_waitcnt lgkmcnt(0)
	s_cmp_ge_i32 s18, s9
	s_cbranch_scc1 .LBB173_25
; %bb.5:
	v_and_b32_e32 v1, 0xc0, v0
	v_add_u32_e32 v2, s18, v1
	v_lshrrev_b32_e32 v70, 6, v0
	v_cmp_le_i32_e64 s[0:1], s9, v2
                                        ; implicit-def: $sgpr20
                                        ; implicit-def: $sgpr19
	s_and_saveexec_b64 s[12:13], s[0:1]
	s_xor_b64 s[12:13], exec, s[12:13]
	s_cbranch_execz .LBB173_7
; %bb.6:
	v_mul_u32_u24_e32 v1, 20, v70
	v_or_b32_e32 v1, 0x1400, v1
	v_mov_b32_e32 v2, 0x1450
	v_mov_b32_e32 v3, 0xff7fffff
	v_mad_u32_u24 v2, v70, 20, v2
	ds_write2_b32 v1, v3, v3 offset1:1
	v_mov_b32_e32 v1, 0
	ds_write2_b32 v2, v1, v1 offset1:1
	v_mov_b32_e32 v2, 0x1408
	s_mov_b32 s19, 0xff7fffff
	s_mov_b32 s20, 0
	v_mad_u32_u24 v2, v70, 20, v2
	v_mov_b32_e32 v4, 0x1458
	v_mad_u32_u24 v4, v70, 20, v4
	ds_write2_b32 v2, v3, v3 offset1:1
	ds_write2_b32 v4, v1, v1 offset1:1
                                        ; implicit-def: $vgpr2
.LBB173_7:
	s_or_saveexec_b64 s[30:31], s[12:13]
	s_load_dwordx2 s[26:27], s[4:5], 0x68
	s_load_dwordx4 s[12:15], s[4:5], 0x58
	s_load_dword s7, s[28:29], 0x4
	v_and_b32_e32 v1, 63, v0
	v_and_b32_e32 v71, 3, v0
	v_mov_b32_e32 v69, s20
	v_mov_b32_e32 v72, s19
	;; [unrolled: 1-line block ×5, first 2 shown]
                                        ; implicit-def: $vgpr15
                                        ; implicit-def: $vgpr3
                                        ; implicit-def: $vgpr7
                                        ; implicit-def: $vgpr11
                                        ; implicit-def: $vgpr19
                                        ; implicit-def: $vgpr23
                                        ; implicit-def: $vgpr31
                                        ; implicit-def: $vgpr39
                                        ; implicit-def: $vgpr27
                                        ; implicit-def: $vgpr35
                                        ; implicit-def: $vgpr43
                                        ; implicit-def: $vgpr47
                                        ; implicit-def: $vgpr55
                                        ; implicit-def: $vgpr63
                                        ; implicit-def: $vgpr51
                                        ; implicit-def: $vgpr59
	s_xor_b64 exec, exec, s[30:31]
	s_cbranch_execz .LBB173_17
; %bb.8:
	s_add_i32 s22, s9, 31
	s_load_dwordx2 s[20:21], s[4:5], 0x20
	s_load_dword s19, s[4:5], 0x38
	s_ashr_i32 s23, s22, 31
	s_lshr_b32 s23, s23, 27
	v_add_u32_e32 v72, s18, v0
	s_add_i32 s22, s22, s23
	v_ashrrev_i32_e32 v3, 31, v72
	s_ashr_i32 s22, s22, 5
	v_lshrrev_b32_e32 v3, 27, v3
	s_add_i32 s25, s22, -1
	v_add_u32_e32 v3, v72, v3
	s_waitcnt lgkmcnt(0)
	s_mul_i32 s22, s6, s19
	s_mov_b32 s23, 0
	v_ashrrev_i32_e32 v3, 5, v3
	v_mov_b32_e32 v4, s25
	v_cmp_gt_i32_e32 vcc, s9, v72
	s_lshl_b64 s[22:23], s[22:23], 2
	v_cndmask_b32_e32 v4, v4, v3, vcc
	s_add_u32 s19, s20, s22
	v_ashrrev_i32_e32 v5, 31, v4
	s_addc_u32 s20, s21, s23
	v_lshlrev_b64 v[4:5], 2, v[4:5]
	v_mov_b32_e32 v3, s20
	v_add_co_u32_e32 v4, vcc, s19, v4
	v_addc_co_u32_e32 v5, vcc, v3, v5, vcc
	v_ashrrev_i32_e32 v3, 31, v2
	v_lshrrev_b32_e32 v3, 27, v3
	v_add_u32_e32 v2, v2, v3
	v_ashrrev_i32_e32 v8, 5, v2
	v_min_i32_e32 v2, s25, v8
	v_ashrrev_i32_e32 v3, 31, v2
	v_lshlrev_b64 v[2:3], 2, v[2:3]
	v_add_co_u32_e32 v6, vcc, s19, v2
	v_add_u32_e32 v2, 1, v8
	v_mov_b32_e32 v7, s20
	v_min_i32_e32 v2, s25, v2
	v_addc_co_u32_e32 v7, vcc, v7, v3, vcc
	v_ashrrev_i32_e32 v3, 31, v2
	v_lshlrev_b64 v[2:3], 2, v[2:3]
	v_mov_b32_e32 v9, s20
	v_add_co_u32_e32 v8, vcc, s19, v2
	v_addc_co_u32_e32 v9, vcc, v9, v3, vcc
	global_load_dword v3, v[4:5], off
	global_load_dword v2, v[6:7], off
	;; [unrolled: 1-line block ×3, first 2 shown]
	s_load_dwordx4 s[20:23], s[4:5], 0x8
	s_andn2_b64 vcc, exec, s[10:11]
	s_cbranch_vccnz .LBB173_11
; %bb.9:
	s_add_u32 s2, s2, s16
	s_addc_u32 s3, s3, s17
	s_load_dword s2, s[2:3], 0x0
	s_branch .LBB173_12
.LBB173_10:
	s_mov_b64 s[12:13], 0
	s_branch .LBB173_2
.LBB173_11:
	s_mov_b32 s2, s6
.LBB173_12:
	s_load_dwordx4 s[16:19], s[4:5], 0x48
	v_cmp_gt_u32_e32 vcc, 2, v71
	s_mov_b32 s3, 0
	v_mov_b32_e32 v19, 0
	v_mov_b32_e32 v66, 0
	;; [unrolled: 1-line block ×5, first 2 shown]
	s_and_saveexec_b64 s[10:11], vcc
	s_cbranch_execz .LBB173_14
; %bb.13:
	s_load_dwordx2 s[34:35], s[4:5], 0x0
	s_waitcnt lgkmcnt(0)
	s_ashr_i32 s19, s16, 31
	s_mul_hi_u32 s25, s2, s16
	s_mul_i32 s19, s2, s19
	s_add_i32 s37, s25, s19
	s_mul_i32 s36, s2, s16
	s_lshl_b64 s[36:37], s[36:37], 1
	s_add_u32 s16, s34, s36
	s_addc_u32 s19, s35, s37
	s_lshl_b32 s2, s8, 8
	s_lshl_b64 s[34:35], s[2:3], 1
	v_lshlrev_b32_e32 v4, 2, v1
	s_add_u32 s34, s16, s34
	v_and_b32_e32 v4, 0xf0, v4
	s_addc_u32 s35, s19, s35
	v_lshl_or_b32 v4, v71, 8, v4
	global_load_dwordx4 v[66:69], v4, s[34:35]
.LBB173_14:
	s_or_b64 exec, exec, s[10:11]
	s_waitcnt vmcnt(2) lgkmcnt(0)
	v_mad_i64_i32 v[4:5], s[10:11], v3, s17, 0
	s_mul_i32 s2, s8, s18
	s_lshl_b64 s[10:11], s[2:3], 1
	s_add_u32 s2, s10, s20
	v_lshlrev_b64 v[4:5], 1, v[4:5]
	s_addc_u32 s3, s11, s21
	v_mov_b32_e32 v3, s3
	v_add_co_u32_e32 v21, vcc, s2, v4
	v_and_b32_e32 v4, 31, v0
	v_addc_co_u32_e32 v3, vcc, v3, v5, vcc
	v_lshlrev_b32_e32 v18, 4, v4
	v_add_co_u32_e32 v16, vcc, v21, v18
	v_addc_co_u32_e32 v17, vcc, 0, v3, vcc
	global_load_dwordx4 v[4:7], v[16:17], off
	global_load_dwordx4 v[8:11], v[16:17], off offset:512
	global_load_dwordx4 v[12:15], v[16:17], off offset:1024
	;; [unrolled: 1-line block ×6, first 2 shown]
	v_mov_b32_e32 v38, 0x1e00
	v_lshl_or_b32 v43, v0, 4, v38
	global_load_dwordx4 v[38:41], v[16:17], off offset:3584
	v_or_b32_e32 v44, 0x1000, v18
	v_add_co_u32_e32 v16, vcc, v21, v44
	v_addc_co_u32_e32 v17, vcc, 0, v3, vcc
	global_load_dwordx4 v[48:51], v[16:17], off
	v_or_b32_e32 v45, 0x1200, v18
	v_add_co_u32_e32 v16, vcc, v21, v45
	v_addc_co_u32_e32 v17, vcc, 0, v3, vcc
	global_load_dwordx4 v[52:55], v[16:17], off
	;; [unrolled: 4-line block ×7, first 2 shown]
	s_waitcnt vmcnt(16)
	v_mul_hi_i32 v42, v2, s17
	v_ashrrev_i32_e32 v42, 31, v42
	v_lshrrev_b32_e32 v18, 29, v42
	s_load_dword s2, s[4:5], 0x1c
	s_add_u32 s3, s22, s10
	s_addc_u32 s10, s23, s11
	v_lshlrev_b32_e32 v64, 6, v1
	v_or_b32_e32 v65, 0x1000, v64
	s_waitcnt vmcnt(14)
	v_mfma_f32_4x4x4f16 a[0:3], v[66:67], v[4:5], 0 cbsz:4
	v_add_co_u32_e32 v4, vcc, v21, v43
	v_addc_co_u32_e32 v5, vcc, 0, v3, vcc
	global_load_dwordx4 v[86:89], v[4:5], off
	v_mfma_f32_4x4x4f16 a[0:3], v[68:69], v[6:7], a[0:3] cbsz:4
	v_mad_i64_i32 v[2:3], s[4:5], v2, s17, v[18:19]
	s_waitcnt vmcnt(14)
	v_mfma_f32_4x4x4f16 a[0:3], v[66:67], v[8:9], a[0:3] cbsz:4 abid:1
	v_lshlrev_b64 v[2:3], 1, v[2:3]
	v_mfma_f32_4x4x4f16 a[0:3], v[68:69], v[10:11], a[0:3] cbsz:4 abid:1
	v_and_b32_e32 v2, -16, v2
	s_waitcnt vmcnt(13)
	v_mfma_f32_4x4x4f16 a[0:3], v[66:67], v[12:13], a[0:3] cbsz:4 abid:2
	v_mov_b32_e32 v4, s10
	v_mfma_f32_4x4x4f16 a[0:3], v[68:69], v[14:15], a[0:3] cbsz:4 abid:2
	v_add_co_u32_e32 v18, vcc, s3, v2
	s_waitcnt vmcnt(12)
	v_mfma_f32_4x4x4f16 a[0:3], v[66:67], v[22:23], a[0:3] cbsz:4 abid:3
	v_addc_co_u32_e32 v21, vcc, v4, v3, vcc
	v_mfma_f32_4x4x4f16 a[0:3], v[68:69], v[24:25], a[0:3] cbsz:4 abid:3
	v_add_co_u32_e32 v22, vcc, v18, v64
	s_waitcnt vmcnt(11)
	v_mfma_f32_4x4x4f16 a[0:3], v[66:67], v[26:27], a[0:3] cbsz:4 abid:4
	v_addc_co_u32_e32 v23, vcc, 0, v21, vcc
	v_mfma_f32_4x4x4f16 a[0:3], v[68:69], v[28:29], a[0:3] cbsz:4 abid:4
	global_load_dwordx4 v[14:17], v[22:23], off
	global_load_dwordx4 v[2:5], v[22:23], off offset:16
	s_waitcnt vmcnt(12)
	v_mfma_f32_4x4x4f16 a[0:3], v[66:67], v[30:31], a[0:3] cbsz:4 abid:5
	global_load_dwordx4 v[6:9], v[22:23], off offset:32
	global_load_dwordx4 v[10:13], v[22:23], off offset:48
	v_mfma_f32_4x4x4f16 a[0:3], v[68:69], v[32:33], a[0:3] cbsz:4 abid:5
	v_add_co_u32_e32 v22, vcc, v18, v65
	s_waitcnt vmcnt(13)
	v_mfma_f32_4x4x4f16 a[0:3], v[66:67], v[34:35], a[0:3] cbsz:4 abid:6
	v_mul_hi_i32 v18, v20, s17
	v_mfma_f32_4x4x4f16 a[0:3], v[68:69], v[36:37], a[0:3] cbsz:4 abid:6
	v_ashrrev_i32_e32 v18, 31, v18
	s_waitcnt vmcnt(12)
	v_mfma_f32_4x4x4f16 a[0:3], v[66:67], v[38:39], a[0:3] cbsz:4 abid:7
	v_lshrrev_b32_e32 v18, 29, v18
	v_mfma_f32_4x4x4f16 a[0:3], v[68:69], v[40:41], a[0:3] cbsz:4 abid:7
	v_mad_i64_i32 v[18:19], s[4:5], v20, s17, v[18:19]
	s_waitcnt vmcnt(11)
	v_mfma_f32_4x4x4f16 a[0:3], v[66:67], v[48:49], a[0:3] cbsz:4 abid:8
	v_lshlrev_b64 v[18:19], 1, v[18:19]
	v_mfma_f32_4x4x4f16 a[0:3], v[68:69], v[50:51], a[0:3] cbsz:4 abid:8
	v_addc_co_u32_e32 v23, vcc, 0, v21, vcc
	s_waitcnt vmcnt(10)
	v_mfma_f32_4x4x4f16 a[0:3], v[66:67], v[52:53], a[0:3] cbsz:4 abid:9
	v_and_b32_e32 v18, -16, v18
	v_mfma_f32_4x4x4f16 a[0:3], v[68:69], v[54:55], a[0:3] cbsz:4 abid:9
	v_mov_b32_e32 v20, s10
	s_waitcnt vmcnt(9)
	v_mfma_f32_4x4x4f16 a[0:3], v[66:67], v[56:57], a[0:3] cbsz:4 abid:10
	v_add_co_u32_e32 v52, vcc, s3, v18
	v_mfma_f32_4x4x4f16 a[0:3], v[68:69], v[58:59], a[0:3] cbsz:4 abid:10
	v_addc_co_u32_e32 v53, vcc, v20, v19, vcc
	s_waitcnt vmcnt(8)
	v_mfma_f32_4x4x4f16 a[0:3], v[66:67], v[60:61], a[0:3] cbsz:4 abid:11
	v_add_co_u32_e32 v50, vcc, v52, v64
	v_mfma_f32_4x4x4f16 a[0:3], v[68:69], v[62:63], a[0:3] cbsz:4 abid:11
	v_addc_co_u32_e32 v51, vcc, 0, v53, vcc
	s_waitcnt vmcnt(7)
	v_mfma_f32_4x4x4f16 a[0:3], v[66:67], v[74:75], a[0:3] cbsz:4 abid:12
	v_add_co_u32_e32 v74, vcc, v52, v65
	v_addc_co_u32_e32 v75, vcc, 0, v53, vcc
	global_load_dwordx4 v[26:29], v[22:23], off
	global_load_dwordx4 v[34:37], v[22:23], off offset:16
	global_load_dwordx4 v[42:45], v[22:23], off offset:32
	;; [unrolled: 1-line block ×3, first 2 shown]
	global_load_dwordx4 v[18:21], v[50:51], off
	s_nop 0
	global_load_dwordx4 v[22:25], v[50:51], off offset:16
	global_load_dwordx4 v[30:33], v[50:51], off offset:32
	;; [unrolled: 1-line block ×3, first 2 shown]
	global_load_dwordx4 v[54:57], v[74:75], off
	global_load_dwordx4 v[62:65], v[74:75], off offset:16
	s_nop 0
	global_load_dwordx4 v[50:53], v[74:75], off offset:32
	global_load_dwordx4 v[58:61], v[74:75], off offset:48
	v_mfma_f32_4x4x4f16 a[0:3], v[68:69], v[76:77], a[0:3] cbsz:4 abid:12
	v_cmp_eq_u32_e32 vcc, 0, v71
	s_waitcnt vmcnt(18)
	v_mfma_f32_4x4x4f16 a[0:3], v[66:67], v[78:79], a[0:3] cbsz:4 abid:13
	v_cndmask_b32_e64 v73, 0, 1.0, vcc
	v_mfma_f32_4x4x4f16 a[0:3], v[68:69], v[80:81], a[0:3] cbsz:4 abid:13
	v_cmp_eq_u32_e32 vcc, 1, v71
	s_waitcnt vmcnt(17)
	v_mfma_f32_4x4x4f16 a[0:3], v[66:67], v[82:83], a[0:3] cbsz:4 abid:14
	v_mfma_f32_4x4x4f16 a[0:3], v[68:69], v[84:85], a[0:3] cbsz:4 abid:14
	s_waitcnt vmcnt(16)
	v_mfma_f32_4x4x4f16 a[0:3], v[66:67], v[86:87], a[0:3] cbsz:4 abid:15
	v_mfma_f32_4x4x4f16 a[0:3], v[68:69], v[88:89], a[0:3] cbsz:4 abid:15
	s_nop 4
	v_accvgpr_read_b32 v69, a1
	v_accvgpr_read_b32 v68, a0
	s_waitcnt lgkmcnt(0)
	v_pk_mul_f32 v[68:69], s[2:3], v[68:69] op_sel_hi:[0,1]
	v_accvgpr_read_b32 v67, a3
	v_accvgpr_read_b32 v66, a2
	v_pk_mul_f32 v[66:67], s[2:3], v[66:67] op_sel_hi:[0,1]
	v_mfma_f32_4x4x1f32 a[0:3], v68, v73, 0
	v_cndmask_b32_e64 v68, 0, 1.0, vcc
	v_cmp_eq_u32_e32 vcc, 2, v71
	v_mov_b32_e32 v73, 0xff7fffff
	v_mfma_f32_4x4x1f32 a[0:3], v69, v68, a[0:3]
	v_cndmask_b32_e64 v68, 0, 1.0, vcc
	v_cmp_eq_u32_e32 vcc, 3, v71
	s_nop 0
	v_mfma_f32_4x4x1f32 a[0:3], v66, v68, a[0:3]
	v_cndmask_b32_e64 v66, 0, 1.0, vcc
	s_nop 1
	v_mfma_f32_4x4x1f32 a[0:3], v67, v66, a[0:3]
	v_and_b32_e32 v66, -4, v72
	v_cmp_gt_i32_e32 vcc, s9, v66
	v_lshlrev_b32_e32 v67, 2, v0
	v_and_or_b32 v67, v67, 48, v71
	v_lshlrev_b32_e32 v76, 2, v67
	v_accvgpr_read_b32 v68, a0
	v_max_f32_e32 v69, v68, v68
	v_max_f32_e32 v69, 0xff7fffff, v69
	v_accvgpr_read_b32 v74, a1
	v_cndmask_b32_e32 v69, v73, v69, vcc
	v_or_b32_e32 v73, 1, v66
	v_max_f32_e32 v75, v74, v74
	v_max_f32_e32 v75, v69, v75
	v_cmp_gt_i32_e64 s[2:3], s9, v73
	v_accvgpr_read_b32 v73, a2
	v_cndmask_b32_e64 v69, v69, v75, s[2:3]
	v_or_b32_e32 v66, 2, v66
	v_max_f32_e32 v75, v73, v73
	v_max_f32_e32 v75, v69, v75
	v_cmp_gt_i32_e64 s[4:5], s9, v66
	v_cndmask_b32_e64 v66, v69, v75, s[4:5]
	v_accvgpr_read_b32 v75, a3
	v_or_b32_e32 v69, 3, v72
	v_max_f32_e32 v72, v75, v75
	v_max_f32_e32 v72, v66, v72
	v_cmp_gt_i32_e64 s[10:11], s9, v69
	v_cndmask_b32_e64 v66, v66, v72, s[10:11]
	;;#ASMSTART
	v_nop
 v_nop
 v_max_f32_dpp v66, v66, v66 row_ror:4
	;;#ASMEND
	;;#ASMSTART
	v_nop
 v_nop
 v_max_f32_dpp v66, v66, v66 row_ror:8
	;;#ASMEND
	ds_bpermute_b32 v66, v76, v66
	s_waitcnt lgkmcnt(0)
	;;#ASMSTART
	v_nop
 v_nop
 v_max_f32_dpp v66, v66, v66 row_ror:4
	;;#ASMEND
	;;#ASMSTART
	v_nop
 v_nop
 v_max_f32_dpp v72, v66, v66 row_ror:8
	;;#ASMEND
	v_sub_f32_e32 v66, v68, v72
	v_mul_f32_e32 v66, 0x3fb8aa3b, v66
	v_sub_f32_e32 v67, v74, v72
	v_exp_f32_e32 v66, v66
	v_mul_f32_e32 v67, 0x3fb8aa3b, v67
	v_sub_f32_e32 v69, v73, v72
	v_exp_f32_e32 v67, v67
	;; [unrolled: 3-line block ×3, first 2 shown]
	v_mul_f32_e32 v73, 0x3fb8aa3b, v73
	v_exp_f32_e32 v73, v73
	v_cndmask_b32_e32 v66, 0, v66, vcc
	v_add_f32_e32 v68, 0, v66
	v_cndmask_b32_e64 v67, 0, v67, s[2:3]
	v_add_f32_e32 v74, v68, v67
	v_cndmask_b32_e64 v68, 0, v69, s[4:5]
	;; [unrolled: 2-line block ×3, first 2 shown]
	v_add_f32_e32 v73, v74, v69
	;;#ASMSTART
	v_nop
 v_nop
 v_add_f32_dpp v73, v73, v73 row_ror:4
	;;#ASMEND
	;;#ASMSTART
	v_nop
 v_nop
 v_add_f32_dpp v73, v73, v73 row_ror:8
	;;#ASMEND
	ds_bpermute_b32 v73, v76, v73
	s_waitcnt lgkmcnt(0)
	;;#ASMSTART
	v_nop
 v_nop
 v_add_f32_dpp v73, v73, v73 row_ror:4
	;;#ASMEND
	v_cmp_gt_u32_e32 vcc, 4, v1
	;;#ASMSTART
	v_nop
 v_nop
 v_add_f32_dpp v73, v73, v73 row_ror:8
	;;#ASMEND
	s_and_saveexec_b64 s[2:3], vcc
	s_cbranch_execz .LBB173_16
; %bb.15:
	v_mul_u32_u24_e32 v74, 20, v70
	v_lshl_add_u32 v74, v71, 2, v74
	v_add_u32_e32 v74, 0x1400, v74
	ds_write2_b32 v74, v72, v73 offset1:20
.LBB173_16:
	s_or_b64 exec, exec, s[2:3]
.LBB173_17:
	s_or_b64 exec, exec, s[30:31]
	s_waitcnt lgkmcnt(0)
	s_barrier
	s_load_dword s2, s[28:29], 0x8
	v_lshlrev_b32_e32 v73, 2, v71
	v_add_u32_e32 v80, 0x1400, v73
	ds_read2_b32 v[74:75], v80 offset1:5
	ds_read2_b32 v[76:77], v80 offset0:10 offset1:15
	s_mul_i32 s3, s6, s7
	s_waitcnt lgkmcnt(0)
	s_mul_i32 s3, s3, s2
	s_lshl_b32 s2, s3, 1
	s_mov_b32 s3, 0xff7fffff
	v_max3_f32 v73, v74, s3, v75
	v_max3_f32 v73, v73, v76, v77
	v_sub_f32_e32 v74, v74, v73
	ds_read2_b32 v[78:79], v80 offset0:20 offset1:25
	v_mul_f32_e32 v74, 0x3fb8aa3b, v74
	v_sub_f32_e32 v75, v75, v73
	v_exp_f32_e32 v74, v74
	v_mul_f32_e32 v75, 0x3fb8aa3b, v75
	v_sub_f32_e32 v76, v76, v73
	v_exp_f32_e32 v75, v75
	ds_read2_b32 v[80:81], v80 offset0:30 offset1:35
	v_mul_f32_e32 v76, 0x3fb8aa3b, v76
	v_sub_f32_e32 v77, v77, v73
	v_exp_f32_e32 v76, v76
	v_mul_f32_e32 v77, 0x3fb8aa3b, v77
	v_exp_f32_e32 v77, v77
	s_waitcnt lgkmcnt(1)
	v_fma_f32 v74, v74, v78, 0
	v_fmac_f32_e32 v74, v75, v79
	s_waitcnt lgkmcnt(0)
	v_fmac_f32_e32 v74, v76, v80
	s_lshl_b32 s8, s8, 1
	v_fmac_f32_e32 v74, v77, v81
	v_cmp_gt_u32_e32 vcc, 2, v71
	s_and_saveexec_b64 s[4:5], vcc
	s_cbranch_execz .LBB173_19
; %bb.18:
	s_mov_b32 s3, 0
	s_lshl_b64 s[10:11], s[2:3], 2
	s_add_u32 s6, s12, s10
	s_mov_b32 s25, s3
	s_addc_u32 s9, s13, s11
	s_lshl_b64 s[12:13], s[24:25], 2
	s_add_u32 s3, s6, s12
	s_addc_u32 s6, s9, s13
	v_or_b32_e32 v71, s8, v71
	s_add_u32 s9, s14, s10
	v_mul_lo_u32 v76, s7, v71
	v_mov_b32_e32 v77, 0
	s_addc_u32 s10, s15, s11
	v_lshlrev_b64 v[76:77], 2, v[76:77]
	s_add_u32 s9, s9, s12
	v_mov_b32_e32 v71, s6
	v_add_co_u32_e32 v78, vcc, s3, v76
	s_addc_u32 s10, s10, s13
	v_addc_co_u32_e32 v79, vcc, v71, v77, vcc
	v_mov_b32_e32 v71, s10
	v_add_co_u32_e32 v76, vcc, s9, v76
	v_addc_co_u32_e32 v77, vcc, v71, v77, vcc
	global_store_dword v[76:77], v73, off
	global_store_dword v[78:79], v74, off
.LBB173_19:
	s_or_b64 exec, exec, s[4:5]
	v_lshlrev_b32_e32 v70, 3, v70
	s_and_saveexec_b64 s[4:5], s[0:1]
	s_xor_b64 s[0:1], exec, s[4:5]
	s_cbranch_execz .LBB173_21
; %bb.20:
	s_mov_b32 s4, 0
	s_mov_b32 s5, s4
	s_waitcnt vmcnt(14)
	v_mad_u32_u24 v4, v1, 40, v70
	v_pk_mov_b32 v[2:3], s[4:5], s[4:5] op_sel:[0,1]
	ds_write2st64_b64 v4, v[2:3], v[2:3] offset1:5
                                        ; implicit-def: $vgpr69
                                        ; implicit-def: $vgpr67
                                        ; implicit-def: $vgpr15
                                        ; implicit-def: $vgpr3
                                        ; implicit-def: $vgpr7
                                        ; implicit-def: $vgpr11
                                        ; implicit-def: $vgpr19
                                        ; implicit-def: $vgpr23
                                        ; implicit-def: $vgpr31
                                        ; implicit-def: $vgpr39
                                        ; implicit-def: $vgpr27
                                        ; implicit-def: $vgpr35
                                        ; implicit-def: $vgpr43
                                        ; implicit-def: $vgpr47
                                        ; implicit-def: $vgpr55
                                        ; implicit-def: $vgpr63
                                        ; implicit-def: $vgpr51
                                        ; implicit-def: $vgpr59
                                        ; implicit-def: $vgpr72
                                        ; implicit-def: $vgpr73
                                        ; implicit-def: $vgpr74
                                        ; implicit-def: $vgpr70
.LBB173_21:
	s_andn2_saveexec_b64 s[0:1], s[0:1]
	s_cbranch_execz .LBB173_23
; %bb.22:
	v_add_f32_e32 v71, 0x358637bd, v74
	v_div_scale_f32 v74, s[4:5], v71, v71, 1.0
	v_rcp_f32_e32 v75, v74
	v_sub_f32_e32 v72, v72, v73
	v_mul_f32_e32 v72, 0x3fb8aa3b, v72
	v_exp_f32_e32 v72, v72
	v_fma_f32 v73, -v74, v75, 1.0
	v_fmac_f32_e32 v75, v73, v75
	v_div_scale_f32 v73, vcc, 1.0, v71, 1.0
	v_mul_f32_e32 v76, v73, v75
	v_fma_f32 v77, -v74, v76, v73
	v_fmac_f32_e32 v76, v77, v75
	v_fma_f32 v73, -v74, v76, v73
	v_div_fmas_f32 v73, v73, v75, v76
	v_div_fixup_f32 v71, v73, v71, 1.0
	v_mul_f32_e32 v72, v72, v71
	v_pk_mul_f32 v[68:69], v[68:69], v[72:73] op_sel_hi:[1,0]
	v_pk_mul_f32 v[66:67], v[66:67], v[72:73] op_sel_hi:[1,0]
	v_cvt_f16_f32_e32 v66, v66
	v_cvt_f16_f32_e32 v67, v67
	v_cvt_f16_f32_e32 v68, v68
	v_cvt_f16_f32_e32 v69, v69
	v_pack_b32_f16 v66, v66, v67
	v_pack_b32_f16 v67, v68, v69
	s_waitcnt vmcnt(15)
	s_nop 0
	v_mfma_f32_4x4x4f16 a[0:3], v[66:67], v[14:15], 0 cbsz:4
	v_mfma_f32_4x4x4f16 a[0:3], v[66:67], v[16:17], a[0:3] cbsz:4 abid:1
	s_waitcnt vmcnt(14)
	v_mfma_f32_4x4x4f16 a[0:3], v[66:67], v[2:3], a[0:3] cbsz:4 abid:2
	s_waitcnt vmcnt(11)
	v_mfma_f32_4x4x4f16 a[4:7], v[66:67], v[26:27], 0 cbsz:4
	v_mfma_f32_4x4x4f16 a[0:3], v[66:67], v[4:5], a[0:3] cbsz:4 abid:3
	v_mfma_f32_4x4x4f16 a[4:7], v[66:67], v[28:29], a[4:7] cbsz:4 abid:1
	;; [unrolled: 1-line block ×3, first 2 shown]
	s_waitcnt vmcnt(10)
	v_mfma_f32_4x4x4f16 a[4:7], v[66:67], v[34:35], a[4:7] cbsz:4 abid:2
	v_mfma_f32_4x4x4f16 a[0:3], v[66:67], v[8:9], a[0:3] cbsz:4 abid:5
	v_mad_u32_u24 v9, v1, 40, v70
	v_mfma_f32_4x4x4f16 a[4:7], v[66:67], v[36:37], a[4:7] cbsz:4 abid:3
	v_mfma_f32_4x4x4f16 a[0:3], v[66:67], v[10:11], a[0:3] cbsz:4 abid:6
	s_waitcnt vmcnt(9)
	v_mfma_f32_4x4x4f16 a[4:7], v[66:67], v[42:43], a[4:7] cbsz:4 abid:4
	v_mfma_f32_4x4x4f16 a[0:3], v[66:67], v[12:13], a[0:3] cbsz:4 abid:7
	;; [unrolled: 1-line block ×3, first 2 shown]
	s_waitcnt vmcnt(7)
	v_mfma_f32_4x4x4f16 a[0:3], v[66:67], v[18:19], a[0:3] cbsz:4 abid:8
	v_mfma_f32_4x4x4f16 a[4:7], v[66:67], v[46:47], a[4:7] cbsz:4 abid:6
	;; [unrolled: 1-line block ×4, first 2 shown]
	s_waitcnt vmcnt(6)
	v_mfma_f32_4x4x4f16 a[0:3], v[66:67], v[22:23], a[0:3] cbsz:4 abid:10
	s_waitcnt vmcnt(3)
	v_mfma_f32_4x4x4f16 a[4:7], v[66:67], v[54:55], a[4:7] cbsz:4 abid:8
	v_mfma_f32_4x4x4f16 a[0:3], v[66:67], v[24:25], a[0:3] cbsz:4 abid:11
	;; [unrolled: 1-line block ×4, first 2 shown]
	s_waitcnt vmcnt(2)
	v_mfma_f32_4x4x4f16 a[4:7], v[66:67], v[62:63], a[4:7] cbsz:4 abid:10
	v_mfma_f32_4x4x4f16 a[0:3], v[66:67], v[32:33], a[0:3] cbsz:4 abid:13
	;; [unrolled: 1-line block ×5, first 2 shown]
	s_waitcnt vmcnt(1)
	v_mfma_f32_4x4x4f16 a[4:7], v[66:67], v[50:51], a[4:7] cbsz:4 abid:12
	s_nop 2
	v_accvgpr_read_b32 v2, a0
	v_accvgpr_read_b32 v3, a1
	;; [unrolled: 1-line block ×4, first 2 shown]
	v_mfma_f32_4x4x4f16 a[0:3], v[66:67], v[52:53], a[4:7] cbsz:4 abid:13
	v_cvt_f16_f32_e32 v2, v2
	v_cvt_f16_f32_e32 v3, v3
	s_waitcnt vmcnt(0)
	v_mfma_f32_4x4x4f16 a[0:3], v[66:67], v[58:59], a[0:3] cbsz:4 abid:14
	v_pack_b32_f16 v2, v2, v3
	v_mfma_f32_4x4x4f16 a[0:3], v[66:67], v[60:61], a[0:3] cbsz:4 abid:15
	v_cvt_f16_f32_e32 v3, v4
	v_cvt_f16_f32_e32 v4, v5
	v_pack_b32_f16 v3, v3, v4
	s_nop 1
	v_accvgpr_read_b32 v5, a0
	v_accvgpr_read_b32 v6, a1
	v_accvgpr_read_b32 v7, a2
	v_accvgpr_read_b32 v8, a3
	v_cvt_f16_f32_e32 v5, v5
	v_cvt_f16_f32_e32 v6, v6
	;; [unrolled: 1-line block ×4, first 2 shown]
	v_pack_b32_f16 v4, v5, v6
	v_pack_b32_f16 v5, v7, v8
	ds_write2st64_b64 v9, v[2:3], v[4:5] offset1:5
.LBB173_23:
	s_or_b64 exec, exec, s[0:1]
	v_cmp_gt_u32_e32 vcc, 64, v0
	s_waitcnt lgkmcnt(0)
	s_barrier
	s_and_saveexec_b64 s[0:1], vcc
	s_cbranch_execz .LBB173_25
; %bb.24:
	s_waitcnt vmcnt(13)
	v_mul_u32_u24_e32 v6, 40, v1
	ds_read2_b64 v[2:5], v6 offset1:1
	s_mov_b32 s1, 0
	s_waitcnt lgkmcnt(0)
	v_mov_b32_e32 v3, 0xa00
	s_lshl_b32 s0, s2, 7
	ds_read2_b64 v[6:9], v6 offset0:2 offset1:3
	v_mad_u32_u24 v3, v1, 40, v3
	v_pk_add_f16 v2, v2, 0
	s_lshl_b64 s[2:3], s[0:1], 1
	s_waitcnt lgkmcnt(0)
	v_pk_add_f16 v7, v2, v4
	v_mov_b32_e32 v9, 0xa10
	ds_read2_b64 v[2:5], v3 offset1:1
	s_add_u32 s2, s26, s2
	v_mad_u32_u24 v1, v1, 40, v9
	s_waitcnt vmcnt(12)
	ds_read2_b64 v[10:13], v1 offset1:1
	s_addc_u32 s3, s27, s3
	s_lshl_b32 s0, s24, 7
	s_lshl_b64 s[0:1], s[0:1], 1
	s_add_u32 s0, s2, s0
	v_pk_add_f16 v1, v7, v6
	s_addc_u32 s1, s3, s1
	s_lshl_b32 s2, s7, 7
	v_pk_add_f16 v6, v1, v8
	s_waitcnt lgkmcnt(1)
	v_pk_add_f16 v1, v2, 0
	s_mul_i32 s3, s2, s8
	v_pk_add_f16 v1, v1, v4
	v_or_b32_e32 v2, s3, v0
	v_mov_b32_e32 v3, 0
	s_waitcnt lgkmcnt(0)
	v_pk_add_f16 v1, v1, v10
	v_lshlrev_b64 v[4:5], 1, v[2:3]
	s_add_i32 s3, s3, s2
	v_pk_add_f16 v7, v1, v12
	v_mov_b32_e32 v1, s1
	v_add_co_u32_e32 v4, vcc, s0, v4
	v_or_b32_e32 v2, s3, v0
	v_addc_co_u32_e32 v5, vcc, v1, v5, vcc
	v_lshlrev_b64 v[0:1], 1, v[2:3]
	v_mov_b32_e32 v2, s1
	v_add_co_u32_e32 v0, vcc, s0, v0
	v_addc_co_u32_e32 v1, vcc, v2, v1, vcc
	global_store_short v[4:5], v6, off
	global_store_short_d16_hi v[0:1], v6, off
	global_store_short v[4:5], v7, off offset:128
	global_store_short_d16_hi v[0:1], v7, off offset:128
.LBB173_25:
	s_endpgm
	.section	.rodata,"a",@progbits
	.p2align	6, 0x0
	.amdhsa_kernel _Z38paged_attention_ll4mi_QKV_mfma4_kernelIDF16_DF16_LN4vllm18Fp8KVCacheDataTypeE0EDF16_Li32ELi128ELi256ELb0ELi2EEvPKT_PKT0_S7_ifPKiS9_S9_iPKfiiiPfSC_PS2_PT2_iSB_SB_
		.amdhsa_group_segment_fixed_size 5280
		.amdhsa_private_segment_fixed_size 0
		.amdhsa_kernarg_size 400
		.amdhsa_user_sgpr_count 6
		.amdhsa_user_sgpr_private_segment_buffer 1
		.amdhsa_user_sgpr_dispatch_ptr 0
		.amdhsa_user_sgpr_queue_ptr 0
		.amdhsa_user_sgpr_kernarg_segment_ptr 1
		.amdhsa_user_sgpr_dispatch_id 0
		.amdhsa_user_sgpr_flat_scratch_init 0
		.amdhsa_user_sgpr_kernarg_preload_length 0
		.amdhsa_user_sgpr_kernarg_preload_offset 0
		.amdhsa_user_sgpr_private_segment_size 0
		.amdhsa_uses_dynamic_stack 0
		.amdhsa_system_sgpr_private_segment_wavefront_offset 0
		.amdhsa_system_sgpr_workgroup_id_x 1
		.amdhsa_system_sgpr_workgroup_id_y 1
		.amdhsa_system_sgpr_workgroup_id_z 1
		.amdhsa_system_sgpr_workgroup_info 0
		.amdhsa_system_vgpr_workitem_id 0
		.amdhsa_next_free_vgpr 100
		.amdhsa_next_free_sgpr 38
		.amdhsa_accum_offset 92
		.amdhsa_reserve_vcc 1
		.amdhsa_reserve_flat_scratch 0
		.amdhsa_float_round_mode_32 0
		.amdhsa_float_round_mode_16_64 0
		.amdhsa_float_denorm_mode_32 3
		.amdhsa_float_denorm_mode_16_64 3
		.amdhsa_dx10_clamp 1
		.amdhsa_ieee_mode 1
		.amdhsa_fp16_overflow 0
		.amdhsa_tg_split 0
		.amdhsa_exception_fp_ieee_invalid_op 0
		.amdhsa_exception_fp_denorm_src 0
		.amdhsa_exception_fp_ieee_div_zero 0
		.amdhsa_exception_fp_ieee_overflow 0
		.amdhsa_exception_fp_ieee_underflow 0
		.amdhsa_exception_fp_ieee_inexact 0
		.amdhsa_exception_int_div_zero 0
	.end_amdhsa_kernel
	.section	.text._Z38paged_attention_ll4mi_QKV_mfma4_kernelIDF16_DF16_LN4vllm18Fp8KVCacheDataTypeE0EDF16_Li32ELi128ELi256ELb0ELi2EEvPKT_PKT0_S7_ifPKiS9_S9_iPKfiiiPfSC_PS2_PT2_iSB_SB_,"axG",@progbits,_Z38paged_attention_ll4mi_QKV_mfma4_kernelIDF16_DF16_LN4vllm18Fp8KVCacheDataTypeE0EDF16_Li32ELi128ELi256ELb0ELi2EEvPKT_PKT0_S7_ifPKiS9_S9_iPKfiiiPfSC_PS2_PT2_iSB_SB_,comdat
.Lfunc_end173:
	.size	_Z38paged_attention_ll4mi_QKV_mfma4_kernelIDF16_DF16_LN4vllm18Fp8KVCacheDataTypeE0EDF16_Li32ELi128ELi256ELb0ELi2EEvPKT_PKT0_S7_ifPKiS9_S9_iPKfiiiPfSC_PS2_PT2_iSB_SB_, .Lfunc_end173-_Z38paged_attention_ll4mi_QKV_mfma4_kernelIDF16_DF16_LN4vllm18Fp8KVCacheDataTypeE0EDF16_Li32ELi128ELi256ELb0ELi2EEvPKT_PKT0_S7_ifPKiS9_S9_iPKfiiiPfSC_PS2_PT2_iSB_SB_
                                        ; -- End function
	.section	.AMDGPU.csdata,"",@progbits
; Kernel info:
; codeLenInByte = 3752
; NumSgprs: 42
; NumVgprs: 90
; NumAgprs: 8
; TotalNumVgprs: 100
; ScratchSize: 0
; MemoryBound: 0
; FloatMode: 240
; IeeeMode: 1
; LDSByteSize: 5280 bytes/workgroup (compile time only)
; SGPRBlocks: 5
; VGPRBlocks: 12
; NumSGPRsForWavesPerEU: 42
; NumVGPRsForWavesPerEU: 100
; AccumOffset: 92
; Occupancy: 4
; WaveLimiterHint : 1
; COMPUTE_PGM_RSRC2:SCRATCH_EN: 0
; COMPUTE_PGM_RSRC2:USER_SGPR: 6
; COMPUTE_PGM_RSRC2:TRAP_HANDLER: 0
; COMPUTE_PGM_RSRC2:TGID_X_EN: 1
; COMPUTE_PGM_RSRC2:TGID_Y_EN: 1
; COMPUTE_PGM_RSRC2:TGID_Z_EN: 1
; COMPUTE_PGM_RSRC2:TIDIG_COMP_CNT: 0
; COMPUTE_PGM_RSRC3_GFX90A:ACCUM_OFFSET: 22
; COMPUTE_PGM_RSRC3_GFX90A:TG_SPLIT: 0
	.section	.text._Z38paged_attention_ll4mi_QKV_mfma4_kernelIDF16_DF16_LN4vllm18Fp8KVCacheDataTypeE0EDF16_Li32ELi128ELi256ELb0ELi3EEvPKT_PKT0_S7_ifPKiS9_S9_iPKfiiiPfSC_PS2_PT2_iSB_SB_,"axG",@progbits,_Z38paged_attention_ll4mi_QKV_mfma4_kernelIDF16_DF16_LN4vllm18Fp8KVCacheDataTypeE0EDF16_Li32ELi128ELi256ELb0ELi3EEvPKT_PKT0_S7_ifPKiS9_S9_iPKfiiiPfSC_PS2_PT2_iSB_SB_,comdat
	.protected	_Z38paged_attention_ll4mi_QKV_mfma4_kernelIDF16_DF16_LN4vllm18Fp8KVCacheDataTypeE0EDF16_Li32ELi128ELi256ELb0ELi3EEvPKT_PKT0_S7_ifPKiS9_S9_iPKfiiiPfSC_PS2_PT2_iSB_SB_ ; -- Begin function _Z38paged_attention_ll4mi_QKV_mfma4_kernelIDF16_DF16_LN4vllm18Fp8KVCacheDataTypeE0EDF16_Li32ELi128ELi256ELb0ELi3EEvPKT_PKT0_S7_ifPKiS9_S9_iPKfiiiPfSC_PS2_PT2_iSB_SB_
	.globl	_Z38paged_attention_ll4mi_QKV_mfma4_kernelIDF16_DF16_LN4vllm18Fp8KVCacheDataTypeE0EDF16_Li32ELi128ELi256ELb0ELi3EEvPKT_PKT0_S7_ifPKiS9_S9_iPKfiiiPfSC_PS2_PT2_iSB_SB_
	.p2align	8
	.type	_Z38paged_attention_ll4mi_QKV_mfma4_kernelIDF16_DF16_LN4vllm18Fp8KVCacheDataTypeE0EDF16_Li32ELi128ELi256ELb0ELi3EEvPKT_PKT0_S7_ifPKiS9_S9_iPKfiiiPfSC_PS2_PT2_iSB_SB_,@function
_Z38paged_attention_ll4mi_QKV_mfma4_kernelIDF16_DF16_LN4vllm18Fp8KVCacheDataTypeE0EDF16_Li32ELi128ELi256ELb0ELi3EEvPKT_PKT0_S7_ifPKiS9_S9_iPKfiiiPfSC_PS2_PT2_iSB_SB_: ; @_Z38paged_attention_ll4mi_QKV_mfma4_kernelIDF16_DF16_LN4vllm18Fp8KVCacheDataTypeE0EDF16_Li32ELi128ELi256ELb0ELi3EEvPKT_PKT0_S7_ifPKiS9_S9_iPKfiiiPfSC_PS2_PT2_iSB_SB_
; %bb.0:
	s_load_dwordx2 s[2:3], s[4:5], 0x30
	s_mov_b32 s24, s7
	s_mov_b64 s[0:1], 0
	s_waitcnt lgkmcnt(0)
	s_cmp_lg_u64 s[2:3], 0
	s_cselect_b64 s[10:11], -1, 0
	s_and_b64 vcc, exec, s[10:11]
	s_cbranch_vccz .LBB174_10
; %bb.1:
	s_add_i32 s12, s6, 1
	s_mov_b32 s13, 0
	s_lshl_b64 s[14:15], s[12:13], 2
	s_add_u32 s14, s2, s14
	s_mov_b32 s7, s13
	s_addc_u32 s15, s3, s15
	s_lshl_b64 s[12:13], s[6:7], 2
	s_add_u32 s12, s2, s12
	s_addc_u32 s13, s3, s13
	s_load_dword s9, s[14:15], 0x0
	s_load_dword s16, s[12:13], 0x0
	s_waitcnt lgkmcnt(0)
	s_sub_i32 s9, s9, s16
	s_cmp_eq_u32 s9, 1
	s_cselect_b64 s[12:13], -1, 0
	s_andn2_b64 vcc, exec, s[0:1]
	s_cbranch_vccnz .LBB174_3
.LBB174_2:
	s_mov_b32 s7, 0
	s_mov_b64 s[12:13], -1
.LBB174_3:
	s_andn2_b64 vcc, exec, s[12:13]
	s_cbranch_vccnz .LBB174_25
; %bb.4:
	s_load_dword s9, s[4:5], 0x9c
	s_load_dwordx2 s[0:1], s[4:5], 0x28
	s_add_u32 s28, s4, 0x90
	s_addc_u32 s29, s5, 0
	s_lshl_b64 s[16:17], s[6:7], 2
	s_waitcnt lgkmcnt(0)
	s_and_b32 s12, s9, 0xffff
	s_add_u32 s0, s0, s16
	s_addc_u32 s1, s1, s17
	s_load_dword s9, s[0:1], 0x0
	s_mul_i32 s18, s24, s12
	s_waitcnt lgkmcnt(0)
	s_cmp_ge_i32 s18, s9
	s_cbranch_scc1 .LBB174_25
; %bb.5:
	v_and_b32_e32 v1, 0xc0, v0
	v_add_u32_e32 v2, s18, v1
	v_lshrrev_b32_e32 v70, 6, v0
	v_cmp_le_i32_e64 s[0:1], s9, v2
                                        ; implicit-def: $sgpr20
                                        ; implicit-def: $sgpr19
	s_and_saveexec_b64 s[12:13], s[0:1]
	s_xor_b64 s[12:13], exec, s[12:13]
	s_cbranch_execz .LBB174_7
; %bb.6:
	v_mul_u32_u24_e32 v1, 20, v70
	v_or_b32_e32 v1, 0x1400, v1
	v_mov_b32_e32 v2, 0x1450
	v_mov_b32_e32 v3, 0xff7fffff
	v_mad_u32_u24 v2, v70, 20, v2
	ds_write2_b32 v1, v3, v3 offset1:1
	v_mov_b32_e32 v1, 0
	ds_write2_b32 v2, v1, v1 offset1:1
	v_mov_b32_e32 v2, 0x1408
	s_mov_b32 s19, 0xff7fffff
	s_mov_b32 s20, 0
	v_mad_u32_u24 v2, v70, 20, v2
	v_mov_b32_e32 v4, 0x1458
	v_mad_u32_u24 v4, v70, 20, v4
	ds_write2_b32 v2, v3, v3 offset1:1
	ds_write2_b32 v4, v1, v1 offset1:1
                                        ; implicit-def: $vgpr2
.LBB174_7:
	s_or_saveexec_b64 s[30:31], s[12:13]
	s_load_dwordx2 s[26:27], s[4:5], 0x68
	s_load_dwordx4 s[12:15], s[4:5], 0x58
	s_load_dword s7, s[28:29], 0x4
	v_and_b32_e32 v1, 63, v0
	v_and_b32_e32 v71, 3, v0
	v_mov_b32_e32 v69, s20
	v_mov_b32_e32 v72, s19
	;; [unrolled: 1-line block ×5, first 2 shown]
                                        ; implicit-def: $vgpr15
                                        ; implicit-def: $vgpr3
                                        ; implicit-def: $vgpr7
                                        ; implicit-def: $vgpr11
                                        ; implicit-def: $vgpr19
                                        ; implicit-def: $vgpr23
                                        ; implicit-def: $vgpr31
                                        ; implicit-def: $vgpr39
                                        ; implicit-def: $vgpr27
                                        ; implicit-def: $vgpr35
                                        ; implicit-def: $vgpr43
                                        ; implicit-def: $vgpr47
                                        ; implicit-def: $vgpr51
                                        ; implicit-def: $vgpr55
                                        ; implicit-def: $vgpr59
                                        ; implicit-def: $vgpr63
	s_xor_b64 exec, exec, s[30:31]
	s_cbranch_execz .LBB174_17
; %bb.8:
	s_add_i32 s22, s9, 31
	s_load_dwordx2 s[20:21], s[4:5], 0x20
	s_load_dword s19, s[4:5], 0x38
	s_ashr_i32 s23, s22, 31
	s_lshr_b32 s23, s23, 27
	v_add_u32_e32 v66, s18, v0
	s_add_i32 s22, s22, s23
	v_ashrrev_i32_e32 v3, 31, v66
	s_ashr_i32 s22, s22, 5
	v_lshrrev_b32_e32 v3, 27, v3
	s_add_i32 s25, s22, -1
	v_add_u32_e32 v3, v66, v3
	s_waitcnt lgkmcnt(0)
	s_mul_i32 s22, s6, s19
	s_mov_b32 s23, 0
	v_ashrrev_i32_e32 v3, 5, v3
	v_mov_b32_e32 v4, s25
	v_cmp_gt_i32_e32 vcc, s9, v66
	s_lshl_b64 s[22:23], s[22:23], 2
	v_cndmask_b32_e32 v4, v4, v3, vcc
	s_add_u32 s19, s20, s22
	v_ashrrev_i32_e32 v5, 31, v4
	s_addc_u32 s20, s21, s23
	v_lshlrev_b64 v[4:5], 2, v[4:5]
	v_mov_b32_e32 v3, s20
	v_add_co_u32_e32 v4, vcc, s19, v4
	v_addc_co_u32_e32 v5, vcc, v3, v5, vcc
	v_ashrrev_i32_e32 v3, 31, v2
	v_lshrrev_b32_e32 v3, 27, v3
	v_add_u32_e32 v2, v2, v3
	v_ashrrev_i32_e32 v8, 5, v2
	v_min_i32_e32 v2, s25, v8
	v_ashrrev_i32_e32 v3, 31, v2
	v_lshlrev_b64 v[2:3], 2, v[2:3]
	v_add_co_u32_e32 v6, vcc, s19, v2
	v_add_u32_e32 v2, 1, v8
	v_mov_b32_e32 v7, s20
	v_min_i32_e32 v2, s25, v2
	v_addc_co_u32_e32 v7, vcc, v7, v3, vcc
	v_ashrrev_i32_e32 v3, 31, v2
	v_lshlrev_b64 v[2:3], 2, v[2:3]
	v_mov_b32_e32 v9, s20
	v_add_co_u32_e32 v8, vcc, s19, v2
	v_addc_co_u32_e32 v9, vcc, v9, v3, vcc
	global_load_dword v3, v[4:5], off
	global_load_dword v2, v[6:7], off
	;; [unrolled: 1-line block ×3, first 2 shown]
	s_load_dwordx4 s[20:23], s[4:5], 0x8
	s_andn2_b64 vcc, exec, s[10:11]
	s_cbranch_vccnz .LBB174_11
; %bb.9:
	s_add_u32 s2, s2, s16
	s_addc_u32 s3, s3, s17
	s_load_dword s2, s[2:3], 0x0
	s_branch .LBB174_12
.LBB174_10:
	s_mov_b64 s[12:13], 0
	s_branch .LBB174_2
.LBB174_11:
	s_mov_b32 s2, s6
.LBB174_12:
	s_load_dwordx4 s[16:19], s[4:5], 0x48
	v_cmp_ne_u32_e32 vcc, 3, v71
	s_mov_b32 s3, 0
	v_mov_b32_e32 v67, 1.0
	v_mov_b32_e32 v19, 0
	v_mov_b32_e32 v56, 0
	;; [unrolled: 1-line block ×5, first 2 shown]
	s_and_saveexec_b64 s[10:11], vcc
	s_cbranch_execz .LBB174_14
; %bb.13:
	s_load_dwordx2 s[34:35], s[4:5], 0x0
	s_waitcnt lgkmcnt(0)
	s_ashr_i32 s19, s16, 31
	s_mul_hi_u32 s25, s2, s16
	s_mul_i32 s19, s2, s19
	s_add_i32 s37, s25, s19
	s_mul_i32 s36, s2, s16
	s_lshl_b64 s[36:37], s[36:37], 1
	s_add_u32 s16, s34, s36
	s_mul_i32 s2, s8, 0x180
	s_addc_u32 s19, s35, s37
	s_lshl_b64 s[34:35], s[2:3], 1
	v_lshlrev_b32_e32 v4, 2, v1
	s_add_u32 s34, s16, s34
	v_and_b32_e32 v4, 0xf0, v4
	s_addc_u32 s35, s19, s35
	v_lshl_or_b32 v4, v71, 8, v4
	global_load_dwordx4 v[56:59], v4, s[34:35]
	v_mov_b32_e32 v67, 0
.LBB174_14:
	s_or_b64 exec, exec, s[10:11]
	s_waitcnt vmcnt(2) lgkmcnt(0)
	v_mad_i64_i32 v[4:5], s[10:11], v3, s17, 0
	s_mul_i32 s2, s8, s18
	s_lshl_b64 s[10:11], s[2:3], 1
	s_add_u32 s2, s10, s20
	v_lshlrev_b64 v[4:5], 1, v[4:5]
	s_addc_u32 s3, s11, s21
	v_mov_b32_e32 v3, s3
	v_add_co_u32_e32 v18, vcc, s2, v4
	v_and_b32_e32 v4, 31, v0
	v_addc_co_u32_e32 v3, vcc, v3, v5, vcc
	v_lshlrev_b32_e32 v21, 4, v4
	v_add_co_u32_e32 v16, vcc, v18, v21
	v_addc_co_u32_e32 v17, vcc, 0, v3, vcc
	global_load_dwordx4 v[4:7], v[16:17], off
	global_load_dwordx4 v[8:11], v[16:17], off offset:512
	global_load_dwordx4 v[12:15], v[16:17], off offset:1024
	;; [unrolled: 1-line block ×7, first 2 shown]
	v_or_b32_e32 v42, 0x1000, v21
	v_add_co_u32_e32 v16, vcc, v18, v42
	v_addc_co_u32_e32 v17, vcc, 0, v3, vcc
	global_load_dwordx4 v[42:45], v[16:17], off
	v_or_b32_e32 v48, 0x1200, v21
	v_add_co_u32_e32 v16, vcc, v18, v48
	v_addc_co_u32_e32 v17, vcc, 0, v3, vcc
	global_load_dwordx4 v[50:53], v[16:17], off
	;; [unrolled: 4-line block ×6, first 2 shown]
	v_or_b32_e32 v16, 0x1c00, v21
	v_add_co_u32_e32 v16, vcc, v18, v16
	v_addc_co_u32_e32 v17, vcc, 0, v3, vcc
	v_mov_b32_e32 v46, 0x1e00
	global_load_dwordx4 v[84:87], v[16:17], off
	v_lshl_or_b32 v46, v0, 4, v46
	s_waitcnt vmcnt(16)
	v_mul_hi_i32 v47, v2, s17
	v_ashrrev_i32_e32 v47, 31, v47
	s_load_dword s2, s[4:5], 0x1c
	s_add_u32 s3, s22, s10
	s_addc_u32 s10, s23, s11
	v_lshlrev_b32_e32 v54, 6, v1
	v_or_b32_e32 v55, 0x1000, v54
	s_waitcnt vmcnt(14)
	v_mfma_f32_4x4x4f16 a[0:3], v[56:57], v[4:5], 0 cbsz:4
	v_add_co_u32_e32 v4, vcc, v18, v46
	v_addc_co_u32_e32 v5, vcc, 0, v3, vcc
	global_load_dwordx4 v[88:91], v[4:5], off
	v_mfma_f32_4x4x4f16 a[0:3], v[58:59], v[6:7], a[0:3] cbsz:4
	v_lshrrev_b32_e32 v18, 29, v47
	s_waitcnt vmcnt(14)
	v_mfma_f32_4x4x4f16 a[0:3], v[56:57], v[8:9], a[0:3] cbsz:4 abid:1
	v_mad_i64_i32 v[2:3], s[4:5], v2, s17, v[18:19]
	v_mfma_f32_4x4x4f16 a[0:3], v[58:59], v[10:11], a[0:3] cbsz:4 abid:1
	v_lshlrev_b64 v[2:3], 1, v[2:3]
	s_waitcnt vmcnt(13)
	v_mfma_f32_4x4x4f16 a[0:3], v[56:57], v[12:13], a[0:3] cbsz:4 abid:2
	v_and_b32_e32 v2, -16, v2
	v_mfma_f32_4x4x4f16 a[0:3], v[58:59], v[14:15], a[0:3] cbsz:4 abid:2
	v_mov_b32_e32 v4, s10
	s_waitcnt vmcnt(12)
	v_mfma_f32_4x4x4f16 a[0:3], v[56:57], v[22:23], a[0:3] cbsz:4 abid:3
	v_add_co_u32_e32 v18, vcc, s3, v2
	v_mfma_f32_4x4x4f16 a[0:3], v[58:59], v[24:25], a[0:3] cbsz:4 abid:3
	v_addc_co_u32_e32 v21, vcc, v4, v3, vcc
	s_waitcnt vmcnt(11)
	v_mfma_f32_4x4x4f16 a[0:3], v[56:57], v[26:27], a[0:3] cbsz:4 abid:4
	v_add_co_u32_e32 v22, vcc, v18, v54
	v_mfma_f32_4x4x4f16 a[0:3], v[58:59], v[28:29], a[0:3] cbsz:4 abid:4
	v_addc_co_u32_e32 v23, vcc, 0, v21, vcc
	s_waitcnt vmcnt(10)
	v_mfma_f32_4x4x4f16 a[0:3], v[56:57], v[30:31], a[0:3] cbsz:4 abid:5
	global_load_dwordx4 v[14:17], v[22:23], off
	global_load_dwordx4 v[2:5], v[22:23], off offset:16
	v_mfma_f32_4x4x4f16 a[0:3], v[58:59], v[32:33], a[0:3] cbsz:4 abid:5
	global_load_dwordx4 v[6:9], v[22:23], off offset:32
	global_load_dwordx4 v[10:13], v[22:23], off offset:48
	s_waitcnt vmcnt(13)
	v_mfma_f32_4x4x4f16 a[0:3], v[56:57], v[34:35], a[0:3] cbsz:4 abid:6
	v_add_co_u32_e32 v22, vcc, v18, v55
	v_mfma_f32_4x4x4f16 a[0:3], v[58:59], v[36:37], a[0:3] cbsz:4 abid:6
	v_mul_hi_i32 v18, v20, s17
	s_waitcnt vmcnt(12)
	v_mfma_f32_4x4x4f16 a[0:3], v[56:57], v[38:39], a[0:3] cbsz:4 abid:7
	v_ashrrev_i32_e32 v18, 31, v18
	v_mfma_f32_4x4x4f16 a[0:3], v[58:59], v[40:41], a[0:3] cbsz:4 abid:7
	v_lshrrev_b32_e32 v18, 29, v18
	s_waitcnt vmcnt(11)
	v_mfma_f32_4x4x4f16 a[0:3], v[56:57], v[42:43], a[0:3] cbsz:4 abid:8
	v_mad_i64_i32 v[18:19], s[4:5], v20, s17, v[18:19]
	v_mfma_f32_4x4x4f16 a[0:3], v[58:59], v[44:45], a[0:3] cbsz:4 abid:8
	v_lshlrev_b64 v[18:19], 1, v[18:19]
	s_waitcnt vmcnt(10)
	v_mfma_f32_4x4x4f16 a[0:3], v[56:57], v[50:51], a[0:3] cbsz:4 abid:9
	v_addc_co_u32_e32 v23, vcc, 0, v21, vcc
	v_mfma_f32_4x4x4f16 a[0:3], v[58:59], v[52:53], a[0:3] cbsz:4 abid:9
	v_and_b32_e32 v18, -16, v18
	s_waitcnt vmcnt(9)
	v_mfma_f32_4x4x4f16 a[0:3], v[56:57], v[60:61], a[0:3] cbsz:4 abid:10
	v_mov_b32_e32 v20, s10
	v_mfma_f32_4x4x4f16 a[0:3], v[58:59], v[62:63], a[0:3] cbsz:4 abid:10
	v_add_co_u32_e32 v52, vcc, s3, v18
	s_waitcnt vmcnt(8)
	v_mfma_f32_4x4x4f16 a[0:3], v[56:57], v[72:73], a[0:3] cbsz:4 abid:11
	v_addc_co_u32_e32 v53, vcc, v20, v19, vcc
	v_mfma_f32_4x4x4f16 a[0:3], v[58:59], v[74:75], a[0:3] cbsz:4 abid:11
	v_add_co_u32_e32 v50, vcc, v52, v54
	s_waitcnt vmcnt(7)
	v_mfma_f32_4x4x4f16 a[0:3], v[56:57], v[76:77], a[0:3] cbsz:4 abid:12
	v_addc_co_u32_e32 v51, vcc, 0, v53, vcc
	;; [unrolled: 5-line block ×3, first 2 shown]
	v_mfma_f32_4x4x4f16 a[0:3], v[58:59], v[82:83], a[0:3] cbsz:4 abid:13
	v_cmp_eq_u32_e32 vcc, 0, v71
	s_waitcnt vmcnt(5)
	v_mfma_f32_4x4x4f16 a[0:3], v[56:57], v[84:85], a[0:3] cbsz:4 abid:14
	global_load_dwordx4 v[26:29], v[22:23], off
	global_load_dwordx4 v[34:37], v[22:23], off offset:16
	v_mfma_f32_4x4x4f16 a[0:3], v[58:59], v[86:87], a[0:3] cbsz:4 abid:14
	global_load_dwordx4 v[42:45], v[22:23], off offset:32
	global_load_dwordx4 v[46:49], v[22:23], off offset:48
	s_waitcnt vmcnt(8)
	v_mfma_f32_4x4x4f16 a[0:3], v[56:57], v[88:89], a[0:3] cbsz:4 abid:15
	global_load_dwordx4 v[18:21], v[50:51], off
	global_load_dwordx4 v[22:25], v[50:51], off offset:16
	v_mfma_f32_4x4x4f16 a[0:3], v[58:59], v[90:91], a[0:3] cbsz:4 abid:15
	global_load_dwordx4 v[30:33], v[50:51], off offset:32
	global_load_dwordx4 v[38:41], v[50:51], off offset:48
	s_nop 0
	global_load_dwordx4 v[50:53], v[68:69], off
	global_load_dwordx4 v[54:57], v[68:69], off offset:16
	v_accvgpr_read_b32 v61, a1
	v_accvgpr_read_b32 v60, a0
	s_waitcnt lgkmcnt(0)
	v_pk_mul_f32 v[60:61], s[2:3], v[60:61] op_sel_hi:[0,1]
	v_accvgpr_read_b32 v59, a3
	v_accvgpr_read_b32 v58, a2
	v_pk_mul_f32 v[72:73], s[2:3], v[58:59] op_sel_hi:[0,1]
	v_cndmask_b32_e64 v58, 0, 1.0, vcc
	v_cmp_eq_u32_e32 vcc, 1, v71
	s_nop 0
	v_mfma_f32_4x4x1f32 a[0:3], v60, v58, 0
	v_cndmask_b32_e64 v58, 0, 1.0, vcc
	v_cmp_eq_u32_e32 vcc, 2, v71
	s_nop 0
	v_mfma_f32_4x4x1f32 a[0:3], v61, v58, a[0:3]
	v_cndmask_b32_e64 v58, 0, 1.0, vcc
	s_nop 1
	v_mfma_f32_4x4x1f32 a[0:3], v72, v58, a[0:3]
	global_load_dwordx4 v[58:61], v[68:69], off offset:32
	global_load_dwordx4 v[62:65], v[68:69], off offset:48
	v_mfma_f32_4x4x1f32 a[0:3], v73, v67, a[0:3]
	v_and_b32_e32 v67, -4, v66
	v_mov_b32_e32 v73, 0xff7fffff
	v_cmp_gt_i32_e32 vcc, s9, v67
	v_or_b32_e32 v66, 3, v66
	v_cmp_gt_i32_e64 s[10:11], s9, v66
	v_accvgpr_read_b32 v69, a0
	v_max_f32_e32 v72, v69, v69
	v_max_f32_e32 v72, 0xff7fffff, v72
	v_accvgpr_read_b32 v74, a1
	v_cndmask_b32_e32 v72, v73, v72, vcc
	v_or_b32_e32 v73, 1, v67
	v_max_f32_e32 v75, v74, v74
	v_max_f32_e32 v75, v72, v75
	v_cmp_gt_i32_e64 s[2:3], s9, v73
	v_accvgpr_read_b32 v73, a2
	v_cndmask_b32_e64 v72, v72, v75, s[2:3]
	v_or_b32_e32 v67, 2, v67
	v_max_f32_e32 v75, v73, v73
	v_max_f32_e32 v75, v72, v75
	v_cmp_gt_i32_e64 s[4:5], s9, v67
	v_cndmask_b32_e64 v67, v72, v75, s[4:5]
	v_accvgpr_read_b32 v75, a3
	v_max_f32_e32 v72, v75, v75
	v_max_f32_e32 v72, v67, v72
	v_lshlrev_b32_e32 v68, 2, v0
	v_cndmask_b32_e64 v66, v67, v72, s[10:11]
	v_and_or_b32 v68, v68, 48, v71
	;;#ASMSTART
	v_nop
 v_nop
 v_max_f32_dpp v66, v66, v66 row_ror:4
	;;#ASMEND
	v_lshlrev_b32_e32 v76, 2, v68
	;;#ASMSTART
	v_nop
 v_nop
 v_max_f32_dpp v66, v66, v66 row_ror:8
	;;#ASMEND
	ds_bpermute_b32 v66, v76, v66
	s_waitcnt lgkmcnt(0)
	;;#ASMSTART
	v_nop
 v_nop
 v_max_f32_dpp v66, v66, v66 row_ror:4
	;;#ASMEND
	;;#ASMSTART
	v_nop
 v_nop
 v_max_f32_dpp v72, v66, v66 row_ror:8
	;;#ASMEND
	v_sub_f32_e32 v66, v69, v72
	v_mul_f32_e32 v66, 0x3fb8aa3b, v66
	v_sub_f32_e32 v67, v74, v72
	v_exp_f32_e32 v66, v66
	v_mul_f32_e32 v67, 0x3fb8aa3b, v67
	v_sub_f32_e32 v69, v73, v72
	v_exp_f32_e32 v67, v67
	;; [unrolled: 3-line block ×3, first 2 shown]
	v_mul_f32_e32 v73, 0x3fb8aa3b, v73
	v_exp_f32_e32 v73, v73
	v_cndmask_b32_e32 v66, 0, v66, vcc
	v_add_f32_e32 v68, 0, v66
	v_cndmask_b32_e64 v67, 0, v67, s[2:3]
	v_add_f32_e32 v74, v68, v67
	v_cndmask_b32_e64 v68, 0, v69, s[4:5]
	;; [unrolled: 2-line block ×3, first 2 shown]
	v_add_f32_e32 v73, v74, v69
	;;#ASMSTART
	v_nop
 v_nop
 v_add_f32_dpp v73, v73, v73 row_ror:4
	;;#ASMEND
	;;#ASMSTART
	v_nop
 v_nop
 v_add_f32_dpp v73, v73, v73 row_ror:8
	;;#ASMEND
	ds_bpermute_b32 v73, v76, v73
	s_waitcnt lgkmcnt(0)
	;;#ASMSTART
	v_nop
 v_nop
 v_add_f32_dpp v73, v73, v73 row_ror:4
	;;#ASMEND
	v_cmp_gt_u32_e32 vcc, 4, v1
	;;#ASMSTART
	v_nop
 v_nop
 v_add_f32_dpp v73, v73, v73 row_ror:8
	;;#ASMEND
	s_and_saveexec_b64 s[2:3], vcc
	s_cbranch_execz .LBB174_16
; %bb.15:
	v_mul_u32_u24_e32 v74, 20, v70
	v_lshl_add_u32 v74, v71, 2, v74
	v_add_u32_e32 v74, 0x1400, v74
	ds_write2_b32 v74, v72, v73 offset1:20
.LBB174_16:
	s_or_b64 exec, exec, s[2:3]
.LBB174_17:
	s_or_b64 exec, exec, s[30:31]
	s_waitcnt lgkmcnt(0)
	s_barrier
	s_load_dword s2, s[28:29], 0x8
	v_lshlrev_b32_e32 v73, 2, v71
	v_add_u32_e32 v80, 0x1400, v73
	ds_read2_b32 v[74:75], v80 offset1:5
	ds_read2_b32 v[76:77], v80 offset0:10 offset1:15
	s_mul_i32 s3, s6, s7
	s_waitcnt lgkmcnt(0)
	s_mul_i32 s2, s3, s2
	s_mov_b32 s3, 0xff7fffff
	v_max3_f32 v73, v74, s3, v75
	v_max3_f32 v73, v73, v76, v77
	v_sub_f32_e32 v74, v74, v73
	ds_read2_b32 v[78:79], v80 offset0:20 offset1:25
	v_mul_f32_e32 v74, 0x3fb8aa3b, v74
	v_sub_f32_e32 v75, v75, v73
	v_exp_f32_e32 v74, v74
	v_mul_f32_e32 v75, 0x3fb8aa3b, v75
	v_sub_f32_e32 v76, v76, v73
	v_exp_f32_e32 v75, v75
	ds_read2_b32 v[80:81], v80 offset0:30 offset1:35
	v_mul_f32_e32 v76, 0x3fb8aa3b, v76
	v_sub_f32_e32 v77, v77, v73
	v_exp_f32_e32 v76, v76
	v_mul_f32_e32 v77, 0x3fb8aa3b, v77
	v_exp_f32_e32 v77, v77
	s_waitcnt lgkmcnt(1)
	v_fma_f32 v74, v74, v78, 0
	v_fmac_f32_e32 v74, v75, v79
	s_waitcnt lgkmcnt(0)
	v_fmac_f32_e32 v74, v76, v80
	s_mul_i32 s8, s8, 3
	s_mul_i32 s2, s2, 3
	v_fmac_f32_e32 v74, v77, v81
	v_cmp_ne_u32_e32 vcc, 3, v71
	s_and_saveexec_b64 s[4:5], vcc
	s_cbranch_execz .LBB174_19
; %bb.18:
	s_mov_b32 s3, 0
	s_lshl_b64 s[10:11], s[2:3], 2
	s_add_u32 s6, s12, s10
	s_mov_b32 s25, s3
	s_addc_u32 s9, s13, s11
	s_lshl_b64 s[12:13], s[24:25], 2
	s_add_u32 s3, s6, s12
	s_addc_u32 s6, s9, s13
	v_add_u32_e32 v71, s8, v71
	s_add_u32 s9, s14, s10
	v_mul_lo_u32 v76, s7, v71
	v_mov_b32_e32 v77, 0
	s_addc_u32 s10, s15, s11
	v_lshlrev_b64 v[76:77], 2, v[76:77]
	s_add_u32 s9, s9, s12
	v_mov_b32_e32 v71, s6
	v_add_co_u32_e32 v78, vcc, s3, v76
	s_addc_u32 s10, s10, s13
	v_addc_co_u32_e32 v79, vcc, v71, v77, vcc
	v_mov_b32_e32 v71, s10
	v_add_co_u32_e32 v76, vcc, s9, v76
	v_addc_co_u32_e32 v77, vcc, v71, v77, vcc
	global_store_dword v[76:77], v73, off
	global_store_dword v[78:79], v74, off
.LBB174_19:
	s_or_b64 exec, exec, s[4:5]
	v_lshlrev_b32_e32 v70, 3, v70
	s_and_saveexec_b64 s[4:5], s[0:1]
	s_xor_b64 s[0:1], exec, s[4:5]
	s_cbranch_execz .LBB174_21
; %bb.20:
	s_mov_b32 s4, 0
	s_mov_b32 s5, s4
	s_waitcnt vmcnt(14)
	v_mad_u32_u24 v4, v1, 40, v70
	v_pk_mov_b32 v[2:3], s[4:5], s[4:5] op_sel:[0,1]
	ds_write2st64_b64 v4, v[2:3], v[2:3] offset1:5
                                        ; implicit-def: $vgpr69
                                        ; implicit-def: $vgpr67
                                        ; implicit-def: $vgpr15
                                        ; implicit-def: $vgpr3
                                        ; implicit-def: $vgpr7
                                        ; implicit-def: $vgpr11
                                        ; implicit-def: $vgpr19
                                        ; implicit-def: $vgpr23
                                        ; implicit-def: $vgpr31
                                        ; implicit-def: $vgpr39
                                        ; implicit-def: $vgpr27
                                        ; implicit-def: $vgpr35
                                        ; implicit-def: $vgpr43
                                        ; implicit-def: $vgpr47
                                        ; implicit-def: $vgpr51
                                        ; implicit-def: $vgpr55
                                        ; implicit-def: $vgpr59
                                        ; implicit-def: $vgpr63
                                        ; implicit-def: $vgpr72
                                        ; implicit-def: $vgpr73
                                        ; implicit-def: $vgpr74
                                        ; implicit-def: $vgpr70
.LBB174_21:
	s_andn2_saveexec_b64 s[0:1], s[0:1]
	s_cbranch_execz .LBB174_23
; %bb.22:
	v_add_f32_e32 v71, 0x358637bd, v74
	v_div_scale_f32 v74, s[4:5], v71, v71, 1.0
	v_rcp_f32_e32 v75, v74
	v_sub_f32_e32 v72, v72, v73
	v_mul_f32_e32 v72, 0x3fb8aa3b, v72
	v_exp_f32_e32 v72, v72
	v_fma_f32 v73, -v74, v75, 1.0
	v_fmac_f32_e32 v75, v73, v75
	v_div_scale_f32 v73, vcc, 1.0, v71, 1.0
	v_mul_f32_e32 v76, v73, v75
	v_fma_f32 v77, -v74, v76, v73
	v_fmac_f32_e32 v76, v77, v75
	v_fma_f32 v73, -v74, v76, v73
	v_div_fmas_f32 v73, v73, v75, v76
	v_div_fixup_f32 v71, v73, v71, 1.0
	v_mul_f32_e32 v72, v72, v71
	v_pk_mul_f32 v[68:69], v[68:69], v[72:73] op_sel_hi:[1,0]
	v_pk_mul_f32 v[66:67], v[66:67], v[72:73] op_sel_hi:[1,0]
	v_cvt_f16_f32_e32 v66, v66
	v_cvt_f16_f32_e32 v67, v67
	;; [unrolled: 1-line block ×4, first 2 shown]
	v_pack_b32_f16 v66, v66, v67
	v_pack_b32_f16 v67, v68, v69
	s_waitcnt vmcnt(15)
	s_nop 0
	v_mfma_f32_4x4x4f16 a[0:3], v[66:67], v[14:15], 0 cbsz:4
	v_mfma_f32_4x4x4f16 a[0:3], v[66:67], v[16:17], a[0:3] cbsz:4 abid:1
	s_waitcnt vmcnt(14)
	v_mfma_f32_4x4x4f16 a[0:3], v[66:67], v[2:3], a[0:3] cbsz:4 abid:2
	s_waitcnt vmcnt(11)
	v_mfma_f32_4x4x4f16 a[4:7], v[66:67], v[26:27], 0 cbsz:4
	v_mfma_f32_4x4x4f16 a[0:3], v[66:67], v[4:5], a[0:3] cbsz:4 abid:3
	v_mfma_f32_4x4x4f16 a[4:7], v[66:67], v[28:29], a[4:7] cbsz:4 abid:1
	;; [unrolled: 1-line block ×3, first 2 shown]
	s_waitcnt vmcnt(10)
	v_mfma_f32_4x4x4f16 a[4:7], v[66:67], v[34:35], a[4:7] cbsz:4 abid:2
	v_mfma_f32_4x4x4f16 a[0:3], v[66:67], v[8:9], a[0:3] cbsz:4 abid:5
	v_mad_u32_u24 v9, v1, 40, v70
	v_mfma_f32_4x4x4f16 a[4:7], v[66:67], v[36:37], a[4:7] cbsz:4 abid:3
	v_mfma_f32_4x4x4f16 a[0:3], v[66:67], v[10:11], a[0:3] cbsz:4 abid:6
	s_waitcnt vmcnt(9)
	v_mfma_f32_4x4x4f16 a[4:7], v[66:67], v[42:43], a[4:7] cbsz:4 abid:4
	v_mfma_f32_4x4x4f16 a[0:3], v[66:67], v[12:13], a[0:3] cbsz:4 abid:7
	v_mfma_f32_4x4x4f16 a[4:7], v[66:67], v[44:45], a[4:7] cbsz:4 abid:5
	s_waitcnt vmcnt(7)
	v_mfma_f32_4x4x4f16 a[0:3], v[66:67], v[18:19], a[0:3] cbsz:4 abid:8
	v_mfma_f32_4x4x4f16 a[4:7], v[66:67], v[46:47], a[4:7] cbsz:4 abid:6
	;; [unrolled: 1-line block ×4, first 2 shown]
	s_waitcnt vmcnt(6)
	v_mfma_f32_4x4x4f16 a[0:3], v[66:67], v[22:23], a[0:3] cbsz:4 abid:10
	s_waitcnt vmcnt(3)
	v_mfma_f32_4x4x4f16 a[4:7], v[66:67], v[50:51], a[4:7] cbsz:4 abid:8
	v_mfma_f32_4x4x4f16 a[0:3], v[66:67], v[24:25], a[0:3] cbsz:4 abid:11
	;; [unrolled: 1-line block ×4, first 2 shown]
	s_waitcnt vmcnt(2)
	v_mfma_f32_4x4x4f16 a[4:7], v[66:67], v[54:55], a[4:7] cbsz:4 abid:10
	v_mfma_f32_4x4x4f16 a[0:3], v[66:67], v[32:33], a[0:3] cbsz:4 abid:13
	;; [unrolled: 1-line block ×5, first 2 shown]
	s_waitcnt vmcnt(1)
	v_mfma_f32_4x4x4f16 a[4:7], v[66:67], v[58:59], a[4:7] cbsz:4 abid:12
	s_nop 2
	v_accvgpr_read_b32 v2, a0
	v_accvgpr_read_b32 v3, a1
	;; [unrolled: 1-line block ×4, first 2 shown]
	v_mfma_f32_4x4x4f16 a[0:3], v[66:67], v[60:61], a[4:7] cbsz:4 abid:13
	v_cvt_f16_f32_e32 v2, v2
	v_cvt_f16_f32_e32 v3, v3
	s_waitcnt vmcnt(0)
	v_mfma_f32_4x4x4f16 a[0:3], v[66:67], v[62:63], a[0:3] cbsz:4 abid:14
	v_pack_b32_f16 v2, v2, v3
	v_mfma_f32_4x4x4f16 a[0:3], v[66:67], v[64:65], a[0:3] cbsz:4 abid:15
	v_cvt_f16_f32_e32 v3, v4
	v_cvt_f16_f32_e32 v4, v5
	v_pack_b32_f16 v3, v3, v4
	s_nop 1
	v_accvgpr_read_b32 v5, a0
	v_accvgpr_read_b32 v6, a1
	;; [unrolled: 1-line block ×4, first 2 shown]
	v_cvt_f16_f32_e32 v5, v5
	v_cvt_f16_f32_e32 v6, v6
	;; [unrolled: 1-line block ×4, first 2 shown]
	v_pack_b32_f16 v4, v5, v6
	v_pack_b32_f16 v5, v7, v8
	ds_write2st64_b64 v9, v[2:3], v[4:5] offset1:5
.LBB174_23:
	s_or_b64 exec, exec, s[0:1]
	v_cmp_gt_u32_e32 vcc, 64, v0
	s_waitcnt lgkmcnt(0)
	s_barrier
	s_and_saveexec_b64 s[0:1], vcc
	s_cbranch_execz .LBB174_25
; %bb.24:
	s_waitcnt vmcnt(13)
	v_mul_u32_u24_e32 v6, 40, v1
	ds_read2_b64 v[2:5], v6 offset1:1
	ds_read2_b64 v[6:9], v6 offset0:2 offset1:3
	s_mov_b32 s1, 0
	s_lshl_b32 s0, s2, 7
	s_lshl_b64 s[2:3], s[0:1], 1
	s_waitcnt lgkmcnt(1)
	v_pk_add_f16 v2, v2, 0
	v_pk_add_f16 v2, v2, v4
	;; [unrolled: 1-line block ×3, first 2 shown]
	s_waitcnt lgkmcnt(0)
	v_pk_add_f16 v2, v2, v6
	v_pk_add_f16 v3, v3, v5
	s_waitcnt vmcnt(12)
	v_pk_add_f16 v10, v2, v8
	v_mov_b32_e32 v2, 0xa00
	v_pk_add_f16 v6, v3, v7
	v_mad_u32_u24 v2, v1, 40, v2
	ds_read2_b64 v[2:5], v2 offset1:1
	v_pk_add_f16 v11, v6, v9
	v_mov_b32_e32 v6, 0xa10
	v_mad_u32_u24 v1, v1, 40, v6
	ds_read2_b64 v[6:9], v1 offset1:1
	s_add_u32 s2, s26, s2
	s_addc_u32 s3, s27, s3
	s_lshl_b32 s0, s24, 7
	s_lshl_b64 s[0:1], s[0:1], 1
	s_waitcnt lgkmcnt(1)
	v_pk_add_f16 v1, v2, 0
	v_pk_add_f16 v2, v3, 0
	s_add_u32 s0, s2, s0
	v_pk_add_f16 v2, v2, v5
	s_addc_u32 s1, s3, s1
	s_lshl_b32 s2, s7, 7
	s_waitcnt lgkmcnt(0)
	v_pk_add_f16 v2, v2, v7
	s_mul_i32 s3, s2, s8
	v_pk_add_f16 v1, v1, v4
	v_pk_add_f16 v9, v2, v9
	v_or_b32_e32 v2, s3, v0
	v_mov_b32_e32 v3, 0
	v_pk_add_f16 v1, v1, v6
	v_lshlrev_b64 v[4:5], 1, v[2:3]
	s_add_i32 s3, s3, s2
	v_pk_add_f16 v8, v1, v8
	v_mov_b32_e32 v1, s1
	v_add_co_u32_e32 v4, vcc, s0, v4
	v_or_b32_e32 v2, s3, v0
	v_addc_co_u32_e32 v5, vcc, v1, v5, vcc
	v_lshlrev_b64 v[6:7], 1, v[2:3]
	s_add_i32 s3, s3, s2
	v_add_co_u32_e32 v6, vcc, s0, v6
	v_or_b32_e32 v2, s3, v0
	v_addc_co_u32_e32 v7, vcc, v1, v7, vcc
	v_lshlrev_b64 v[0:1], 1, v[2:3]
	v_mov_b32_e32 v2, s1
	v_add_co_u32_e32 v0, vcc, s0, v0
	v_addc_co_u32_e32 v1, vcc, v2, v1, vcc
	global_store_short v[4:5], v10, off
	global_store_short_d16_hi v[6:7], v10, off
	global_store_short v[0:1], v11, off
	global_store_short v[4:5], v8, off offset:128
	global_store_short_d16_hi v[6:7], v8, off offset:128
	global_store_short v[0:1], v9, off offset:128
.LBB174_25:
	s_endpgm
	.section	.rodata,"a",@progbits
	.p2align	6, 0x0
	.amdhsa_kernel _Z38paged_attention_ll4mi_QKV_mfma4_kernelIDF16_DF16_LN4vllm18Fp8KVCacheDataTypeE0EDF16_Li32ELi128ELi256ELb0ELi3EEvPKT_PKT0_S7_ifPKiS9_S9_iPKfiiiPfSC_PS2_PT2_iSB_SB_
		.amdhsa_group_segment_fixed_size 5280
		.amdhsa_private_segment_fixed_size 0
		.amdhsa_kernarg_size 400
		.amdhsa_user_sgpr_count 6
		.amdhsa_user_sgpr_private_segment_buffer 1
		.amdhsa_user_sgpr_dispatch_ptr 0
		.amdhsa_user_sgpr_queue_ptr 0
		.amdhsa_user_sgpr_kernarg_segment_ptr 1
		.amdhsa_user_sgpr_dispatch_id 0
		.amdhsa_user_sgpr_flat_scratch_init 0
		.amdhsa_user_sgpr_kernarg_preload_length 0
		.amdhsa_user_sgpr_kernarg_preload_offset 0
		.amdhsa_user_sgpr_private_segment_size 0
		.amdhsa_uses_dynamic_stack 0
		.amdhsa_system_sgpr_private_segment_wavefront_offset 0
		.amdhsa_system_sgpr_workgroup_id_x 1
		.amdhsa_system_sgpr_workgroup_id_y 1
		.amdhsa_system_sgpr_workgroup_id_z 1
		.amdhsa_system_sgpr_workgroup_info 0
		.amdhsa_system_vgpr_workitem_id 0
		.amdhsa_next_free_vgpr 100
		.amdhsa_next_free_sgpr 38
		.amdhsa_accum_offset 92
		.amdhsa_reserve_vcc 1
		.amdhsa_reserve_flat_scratch 0
		.amdhsa_float_round_mode_32 0
		.amdhsa_float_round_mode_16_64 0
		.amdhsa_float_denorm_mode_32 3
		.amdhsa_float_denorm_mode_16_64 3
		.amdhsa_dx10_clamp 1
		.amdhsa_ieee_mode 1
		.amdhsa_fp16_overflow 0
		.amdhsa_tg_split 0
		.amdhsa_exception_fp_ieee_invalid_op 0
		.amdhsa_exception_fp_denorm_src 0
		.amdhsa_exception_fp_ieee_div_zero 0
		.amdhsa_exception_fp_ieee_overflow 0
		.amdhsa_exception_fp_ieee_underflow 0
		.amdhsa_exception_fp_ieee_inexact 0
		.amdhsa_exception_int_div_zero 0
	.end_amdhsa_kernel
	.section	.text._Z38paged_attention_ll4mi_QKV_mfma4_kernelIDF16_DF16_LN4vllm18Fp8KVCacheDataTypeE0EDF16_Li32ELi128ELi256ELb0ELi3EEvPKT_PKT0_S7_ifPKiS9_S9_iPKfiiiPfSC_PS2_PT2_iSB_SB_,"axG",@progbits,_Z38paged_attention_ll4mi_QKV_mfma4_kernelIDF16_DF16_LN4vllm18Fp8KVCacheDataTypeE0EDF16_Li32ELi128ELi256ELb0ELi3EEvPKT_PKT0_S7_ifPKiS9_S9_iPKfiiiPfSC_PS2_PT2_iSB_SB_,comdat
.Lfunc_end174:
	.size	_Z38paged_attention_ll4mi_QKV_mfma4_kernelIDF16_DF16_LN4vllm18Fp8KVCacheDataTypeE0EDF16_Li32ELi128ELi256ELb0ELi3EEvPKT_PKT0_S7_ifPKiS9_S9_iPKfiiiPfSC_PS2_PT2_iSB_SB_, .Lfunc_end174-_Z38paged_attention_ll4mi_QKV_mfma4_kernelIDF16_DF16_LN4vllm18Fp8KVCacheDataTypeE0EDF16_Li32ELi128ELi256ELb0ELi3EEvPKT_PKT0_S7_ifPKiS9_S9_iPKfiiiPfSC_PS2_PT2_iSB_SB_
                                        ; -- End function
	.section	.AMDGPU.csdata,"",@progbits
; Kernel info:
; codeLenInByte = 3852
; NumSgprs: 42
; NumVgprs: 92
; NumAgprs: 8
; TotalNumVgprs: 100
; ScratchSize: 0
; MemoryBound: 0
; FloatMode: 240
; IeeeMode: 1
; LDSByteSize: 5280 bytes/workgroup (compile time only)
; SGPRBlocks: 5
; VGPRBlocks: 12
; NumSGPRsForWavesPerEU: 42
; NumVGPRsForWavesPerEU: 100
; AccumOffset: 92
; Occupancy: 4
; WaveLimiterHint : 1
; COMPUTE_PGM_RSRC2:SCRATCH_EN: 0
; COMPUTE_PGM_RSRC2:USER_SGPR: 6
; COMPUTE_PGM_RSRC2:TRAP_HANDLER: 0
; COMPUTE_PGM_RSRC2:TGID_X_EN: 1
; COMPUTE_PGM_RSRC2:TGID_Y_EN: 1
; COMPUTE_PGM_RSRC2:TGID_Z_EN: 1
; COMPUTE_PGM_RSRC2:TIDIG_COMP_CNT: 0
; COMPUTE_PGM_RSRC3_GFX90A:ACCUM_OFFSET: 22
; COMPUTE_PGM_RSRC3_GFX90A:TG_SPLIT: 0
	.section	.text._Z38paged_attention_ll4mi_QKV_mfma4_kernelIDF16_DF16_LN4vllm18Fp8KVCacheDataTypeE0EDF16_Li32ELi128ELi256ELb0ELi4EEvPKT_PKT0_S7_ifPKiS9_S9_iPKfiiiPfSC_PS2_PT2_iSB_SB_,"axG",@progbits,_Z38paged_attention_ll4mi_QKV_mfma4_kernelIDF16_DF16_LN4vllm18Fp8KVCacheDataTypeE0EDF16_Li32ELi128ELi256ELb0ELi4EEvPKT_PKT0_S7_ifPKiS9_S9_iPKfiiiPfSC_PS2_PT2_iSB_SB_,comdat
	.protected	_Z38paged_attention_ll4mi_QKV_mfma4_kernelIDF16_DF16_LN4vllm18Fp8KVCacheDataTypeE0EDF16_Li32ELi128ELi256ELb0ELi4EEvPKT_PKT0_S7_ifPKiS9_S9_iPKfiiiPfSC_PS2_PT2_iSB_SB_ ; -- Begin function _Z38paged_attention_ll4mi_QKV_mfma4_kernelIDF16_DF16_LN4vllm18Fp8KVCacheDataTypeE0EDF16_Li32ELi128ELi256ELb0ELi4EEvPKT_PKT0_S7_ifPKiS9_S9_iPKfiiiPfSC_PS2_PT2_iSB_SB_
	.globl	_Z38paged_attention_ll4mi_QKV_mfma4_kernelIDF16_DF16_LN4vllm18Fp8KVCacheDataTypeE0EDF16_Li32ELi128ELi256ELb0ELi4EEvPKT_PKT0_S7_ifPKiS9_S9_iPKfiiiPfSC_PS2_PT2_iSB_SB_
	.p2align	8
	.type	_Z38paged_attention_ll4mi_QKV_mfma4_kernelIDF16_DF16_LN4vllm18Fp8KVCacheDataTypeE0EDF16_Li32ELi128ELi256ELb0ELi4EEvPKT_PKT0_S7_ifPKiS9_S9_iPKfiiiPfSC_PS2_PT2_iSB_SB_,@function
_Z38paged_attention_ll4mi_QKV_mfma4_kernelIDF16_DF16_LN4vllm18Fp8KVCacheDataTypeE0EDF16_Li32ELi128ELi256ELb0ELi4EEvPKT_PKT0_S7_ifPKiS9_S9_iPKfiiiPfSC_PS2_PT2_iSB_SB_: ; @_Z38paged_attention_ll4mi_QKV_mfma4_kernelIDF16_DF16_LN4vllm18Fp8KVCacheDataTypeE0EDF16_Li32ELi128ELi256ELb0ELi4EEvPKT_PKT0_S7_ifPKiS9_S9_iPKfiiiPfSC_PS2_PT2_iSB_SB_
; %bb.0:
	s_load_dwordx2 s[10:11], s[4:5], 0x30
	s_mov_b32 s24, s7
	s_mov_b64 s[0:1], 0
	s_waitcnt lgkmcnt(0)
	s_cmp_lg_u64 s[10:11], 0
	s_cselect_b64 s[16:17], -1, 0
	s_and_b64 vcc, exec, s[16:17]
	s_cbranch_vccz .LBB175_20
; %bb.1:
	s_add_i32 s2, s6, 1
	s_mov_b32 s3, 0
	s_lshl_b64 s[12:13], s[2:3], 2
	s_add_u32 s12, s10, s12
	s_mov_b32 s7, s3
	s_addc_u32 s13, s11, s13
	s_lshl_b64 s[2:3], s[6:7], 2
	s_add_u32 s2, s10, s2
	s_addc_u32 s3, s11, s3
	s_load_dword s9, s[12:13], 0x0
	s_load_dword s14, s[2:3], 0x0
	s_mov_b64 s[34:35], s[6:7]
	s_waitcnt lgkmcnt(0)
	s_sub_i32 s2, s9, s14
	s_cmp_eq_u32 s2, 1
	s_cselect_b64 s[2:3], -1, 0
	s_andn2_b64 vcc, exec, s[0:1]
	s_cbranch_vccnz .LBB175_3
.LBB175_2:
	s_mov_b32 s7, 0
	s_mov_b64 s[2:3], -1
	s_mov_b64 s[34:35], s[6:7]
.LBB175_3:
	s_andn2_b64 vcc, exec, s[2:3]
	s_cbranch_vccnz .LBB175_19
; %bb.4:
	s_load_dword s2, s[4:5], 0x9c
	s_load_dwordx2 s[0:1], s[4:5], 0x28
	s_add_u32 s28, s4, 0x90
	s_addc_u32 s29, s5, 0
	s_lshl_b64 s[18:19], s[34:35], 2
	s_waitcnt lgkmcnt(0)
	s_and_b32 s2, s2, 0xffff
	s_add_u32 s0, s0, s18
	s_addc_u32 s1, s1, s19
	s_load_dword s9, s[0:1], 0x0
	s_mul_i32 s20, s24, s2
	s_waitcnt lgkmcnt(0)
	s_cmp_ge_i32 s20, s9
	s_cbranch_scc1 .LBB175_19
; %bb.5:
	v_and_b32_e32 v1, 0xc0, v0
	v_add_u32_e32 v2, s20, v1
	v_lshrrev_b32_e32 v70, 6, v0
	v_cmp_le_i32_e64 s[0:1], s9, v2
                                        ; implicit-def: $sgpr22
                                        ; implicit-def: $sgpr21
	s_and_saveexec_b64 s[2:3], s[0:1]
	s_xor_b64 s[2:3], exec, s[2:3]
	s_cbranch_execz .LBB175_7
; %bb.6:
	v_mul_u32_u24_e32 v1, 20, v70
	v_or_b32_e32 v1, 0x1400, v1
	v_mov_b32_e32 v2, 0x1450
	v_mov_b32_e32 v3, 0xff7fffff
	v_mad_u32_u24 v2, v70, 20, v2
	ds_write2_b32 v1, v3, v3 offset1:1
	v_mov_b32_e32 v1, 0
	ds_write2_b32 v2, v1, v1 offset1:1
	v_mov_b32_e32 v2, 0x1408
	s_mov_b32 s21, 0xff7fffff
	s_mov_b32 s22, 0
	v_mad_u32_u24 v2, v70, 20, v2
	v_mov_b32_e32 v4, 0x1458
	v_mad_u32_u24 v4, v70, 20, v4
	ds_write2_b32 v2, v3, v3 offset1:1
	ds_write2_b32 v4, v1, v1 offset1:1
                                        ; implicit-def: $vgpr2
.LBB175_7:
	s_or_saveexec_b64 s[30:31], s[2:3]
	s_load_dwordx2 s[26:27], s[4:5], 0x68
	s_load_dwordx4 s[12:15], s[4:5], 0x58
	s_load_dword s7, s[28:29], 0x4
	v_and_b32_e32 v1, 63, v0
	v_and_b32_e32 v71, 3, v0
	v_mov_b32_e32 v69, s22
	v_mov_b32_e32 v72, s21
	;; [unrolled: 1-line block ×5, first 2 shown]
                                        ; implicit-def: $vgpr15
                                        ; implicit-def: $vgpr3
                                        ; implicit-def: $vgpr7
                                        ; implicit-def: $vgpr11
                                        ; implicit-def: $vgpr19
                                        ; implicit-def: $vgpr23
                                        ; implicit-def: $vgpr31
                                        ; implicit-def: $vgpr39
                                        ; implicit-def: $vgpr27
                                        ; implicit-def: $vgpr35
                                        ; implicit-def: $vgpr43
                                        ; implicit-def: $vgpr47
                                        ; implicit-def: $vgpr55
                                        ; implicit-def: $vgpr63
                                        ; implicit-def: $vgpr51
                                        ; implicit-def: $vgpr59
	s_xor_b64 exec, exec, s[30:31]
	s_cbranch_execz .LBB175_13
; %bb.8:
	s_add_i32 s22, s9, 31
	s_load_dwordx2 s[2:3], s[4:5], 0x20
	s_load_dword s21, s[4:5], 0x38
	s_ashr_i32 s23, s22, 31
	s_lshr_b32 s23, s23, 27
	v_add_u32_e32 v66, s20, v0
	s_add_i32 s22, s22, s23
	v_ashrrev_i32_e32 v3, 31, v66
	s_ashr_i32 s22, s22, 5
	v_lshrrev_b32_e32 v3, 27, v3
	s_add_i32 s25, s22, -1
	v_add_u32_e32 v3, v66, v3
	s_waitcnt lgkmcnt(0)
	s_mul_i32 s36, s6, s21
	s_mov_b32 s37, 0
	v_ashrrev_i32_e32 v3, 5, v3
	v_mov_b32_e32 v4, s25
	v_cmp_gt_i32_e32 vcc, s9, v66
	s_lshl_b64 s[22:23], s[36:37], 2
	v_cndmask_b32_e32 v4, v4, v3, vcc
	s_add_u32 s2, s2, s22
	v_ashrrev_i32_e32 v5, 31, v4
	s_addc_u32 s3, s3, s23
	v_lshlrev_b64 v[4:5], 2, v[4:5]
	v_mov_b32_e32 v3, s3
	v_add_co_u32_e32 v4, vcc, s2, v4
	v_addc_co_u32_e32 v5, vcc, v3, v5, vcc
	v_ashrrev_i32_e32 v3, 31, v2
	v_lshrrev_b32_e32 v3, 27, v3
	v_add_u32_e32 v2, v2, v3
	v_ashrrev_i32_e32 v8, 5, v2
	v_min_i32_e32 v2, s25, v8
	v_ashrrev_i32_e32 v3, 31, v2
	v_lshlrev_b64 v[2:3], 2, v[2:3]
	v_add_co_u32_e32 v6, vcc, s2, v2
	v_add_u32_e32 v2, 1, v8
	v_mov_b32_e32 v7, s3
	v_min_i32_e32 v2, s25, v2
	v_addc_co_u32_e32 v7, vcc, v7, v3, vcc
	v_ashrrev_i32_e32 v3, 31, v2
	v_lshlrev_b64 v[2:3], 2, v[2:3]
	v_mov_b32_e32 v9, s3
	v_add_co_u32_e32 v8, vcc, s2, v2
	v_addc_co_u32_e32 v9, vcc, v9, v3, vcc
	global_load_dword v3, v[4:5], off
	global_load_dword v2, v[6:7], off
	;; [unrolled: 1-line block ×3, first 2 shown]
	s_load_dwordx4 s[20:23], s[4:5], 0x0
	s_load_dwordx2 s[2:3], s[4:5], 0x10
	s_andn2_b64 vcc, exec, s[16:17]
	s_cbranch_vccnz .LBB175_10
; %bb.9:
	s_add_u32 s10, s10, s18
	s_addc_u32 s11, s11, s19
	s_load_dword s36, s[10:11], 0x0
	s_waitcnt lgkmcnt(0)
	s_mov_b64 s[34:35], s[36:37]
.LBB175_10:
	s_load_dwordx4 s[16:19], s[4:5], 0x48
	v_lshlrev_b32_e32 v4, 2, v1
	v_and_b32_e32 v4, 0xf0, v4
	v_lshl_or_b32 v4, v71, 8, v4
	v_mov_b32_e32 v18, 0x1e00
	s_waitcnt lgkmcnt(0)
	s_ashr_i32 s11, s16, 31
	s_mul_hi_u32 s19, s34, s16
	s_mul_i32 s11, s34, s11
	s_mul_i32 s25, s35, s16
	s_add_i32 s11, s19, s11
	s_mul_i32 s10, s34, s16
	s_add_i32 s11, s11, s25
	s_lshl_b64 s[10:11], s[10:11], 1
	s_add_u32 s16, s20, s10
	s_addc_u32 s19, s21, s11
	s_lshl_b32 s36, s8, 9
	s_lshl_b64 s[10:11], s[36:37], 1
	s_add_u32 s10, s16, s10
	s_addc_u32 s11, s19, s11
	global_load_dwordx4 v[72:75], v4, s[10:11]
	s_waitcnt vmcnt(3)
	v_mad_i64_i32 v[4:5], s[10:11], v3, s17, 0
	s_mul_i32 s36, s8, s18
	s_lshl_b64 s[10:11], s[36:37], 1
	s_add_u32 s16, s10, s22
	v_lshlrev_b64 v[4:5], 1, v[4:5]
	s_addc_u32 s18, s11, s23
	v_mov_b32_e32 v3, s18
	v_add_co_u32_e32 v21, vcc, s16, v4
	v_addc_co_u32_e32 v42, vcc, v3, v5, vcc
	v_and_b32_e32 v3, 31, v0
	v_lshlrev_b32_e32 v3, 4, v3
	v_add_co_u32_e32 v16, vcc, v21, v3
	v_addc_co_u32_e32 v17, vcc, 0, v42, vcc
	global_load_dwordx4 v[4:7], v[16:17], off
	global_load_dwordx4 v[8:11], v[16:17], off offset:512
	global_load_dwordx4 v[12:15], v[16:17], off offset:1024
	;; [unrolled: 1-line block ×7, first 2 shown]
	v_lshl_or_b32 v43, v0, 4, v18
	v_or_b32_e32 v18, 0x1000, v3
	v_add_co_u32_e32 v16, vcc, v21, v18
	v_addc_co_u32_e32 v17, vcc, 0, v42, vcc
	global_load_dwordx4 v[48:51], v[16:17], off
	v_or_b32_e32 v44, 0x1200, v3
	v_add_co_u32_e32 v16, vcc, v21, v44
	v_addc_co_u32_e32 v17, vcc, 0, v42, vcc
	global_load_dwordx4 v[52:55], v[16:17], off
	;; [unrolled: 4-line block ×7, first 2 shown]
	s_waitcnt vmcnt(17)
	v_mul_hi_i32 v3, v2, s17
	v_ashrrev_i32_e32 v3, 31, v3
	v_mov_b32_e32 v19, 0
	v_lshrrev_b32_e32 v18, 29, v3
	v_mad_i64_i32 v[2:3], s[18:19], v2, s17, v[18:19]
	s_load_dword s4, s[4:5], 0x1c
	v_lshlrev_b64 v[2:3], 1, v[2:3]
	s_add_u32 s5, s2, s10
	v_and_b32_e32 v2, -16, v2
	s_addc_u32 s10, s3, s11
	s_waitcnt vmcnt(14)
	v_mfma_f32_4x4x4f16 a[0:3], v[72:73], v[4:5], 0 cbsz:4
	v_add_co_u32_e32 v4, vcc, v21, v43
	v_addc_co_u32_e32 v5, vcc, 0, v42, vcc
	global_load_dwordx4 v[88:91], v[4:5], off
	v_mfma_f32_4x4x4f16 a[0:3], v[74:75], v[6:7], a[0:3] cbsz:4
	v_mov_b32_e32 v4, s10
	s_waitcnt vmcnt(14)
	v_mfma_f32_4x4x4f16 a[0:3], v[72:73], v[8:9], a[0:3] cbsz:4 abid:1
	v_add_co_u32_e32 v18, vcc, s5, v2
	v_mfma_f32_4x4x4f16 a[0:3], v[74:75], v[10:11], a[0:3] cbsz:4 abid:1
	v_addc_co_u32_e32 v21, vcc, v4, v3, vcc
	s_waitcnt vmcnt(13)
	v_mfma_f32_4x4x4f16 a[0:3], v[72:73], v[12:13], a[0:3] cbsz:4 abid:2
	v_mfma_f32_4x4x4f16 a[0:3], v[74:75], v[14:15], a[0:3] cbsz:4 abid:2
	s_waitcnt vmcnt(12)
	v_mfma_f32_4x4x4f16 a[0:3], v[72:73], v[22:23], a[0:3] cbsz:4 abid:3
	v_mfma_f32_4x4x4f16 a[0:3], v[74:75], v[24:25], a[0:3] cbsz:4 abid:3
	v_lshlrev_b32_e32 v24, 6, v1
	s_waitcnt vmcnt(11)
	v_mfma_f32_4x4x4f16 a[0:3], v[72:73], v[26:27], a[0:3] cbsz:4 abid:4
	v_add_co_u32_e32 v22, vcc, v18, v24
	v_mfma_f32_4x4x4f16 a[0:3], v[74:75], v[28:29], a[0:3] cbsz:4 abid:4
	v_addc_co_u32_e32 v23, vcc, 0, v21, vcc
	s_waitcnt vmcnt(10)
	v_mfma_f32_4x4x4f16 a[0:3], v[72:73], v[30:31], a[0:3] cbsz:4 abid:5
	v_or_b32_e32 v64, 0x1000, v24
	v_mfma_f32_4x4x4f16 a[0:3], v[74:75], v[32:33], a[0:3] cbsz:4 abid:5
	global_load_dwordx4 v[14:17], v[22:23], off
	global_load_dwordx4 v[2:5], v[22:23], off offset:16
	s_waitcnt vmcnt(11)
	v_mfma_f32_4x4x4f16 a[0:3], v[72:73], v[34:35], a[0:3] cbsz:4 abid:6
	global_load_dwordx4 v[6:9], v[22:23], off offset:32
	global_load_dwordx4 v[10:13], v[22:23], off offset:48
	v_mfma_f32_4x4x4f16 a[0:3], v[74:75], v[36:37], a[0:3] cbsz:4 abid:6
	v_add_co_u32_e32 v22, vcc, v18, v64
	s_waitcnt vmcnt(12)
	v_mfma_f32_4x4x4f16 a[0:3], v[72:73], v[38:39], a[0:3] cbsz:4 abid:7
	v_mul_hi_i32 v18, v20, s17
	v_mfma_f32_4x4x4f16 a[0:3], v[74:75], v[40:41], a[0:3] cbsz:4 abid:7
	v_ashrrev_i32_e32 v18, 31, v18
	s_waitcnt vmcnt(11)
	v_mfma_f32_4x4x4f16 a[0:3], v[72:73], v[48:49], a[0:3] cbsz:4 abid:8
	v_lshrrev_b32_e32 v18, 29, v18
	v_mfma_f32_4x4x4f16 a[0:3], v[74:75], v[50:51], a[0:3] cbsz:4 abid:8
	v_mad_i64_i32 v[18:19], s[2:3], v20, s17, v[18:19]
	s_waitcnt vmcnt(10)
	v_mfma_f32_4x4x4f16 a[0:3], v[72:73], v[52:53], a[0:3] cbsz:4 abid:9
	v_lshlrev_b64 v[18:19], 1, v[18:19]
	v_mfma_f32_4x4x4f16 a[0:3], v[74:75], v[54:55], a[0:3] cbsz:4 abid:9
	v_addc_co_u32_e32 v23, vcc, 0, v21, vcc
	v_and_b32_e32 v18, -16, v18
	s_waitcnt vmcnt(9)
	v_mfma_f32_4x4x4f16 a[0:3], v[72:73], v[56:57], a[0:3] cbsz:4 abid:10
	v_mov_b32_e32 v20, s10
	v_add_co_u32_e32 v52, vcc, s5, v18
	v_addc_co_u32_e32 v53, vcc, v20, v19, vcc
	v_mfma_f32_4x4x4f16 a[0:3], v[74:75], v[58:59], a[0:3] cbsz:4 abid:10
	v_add_co_u32_e32 v50, vcc, v52, v24
	v_addc_co_u32_e32 v51, vcc, 0, v53, vcc
	s_waitcnt vmcnt(8)
	v_mfma_f32_4x4x4f16 a[0:3], v[72:73], v[60:61], a[0:3] cbsz:4 abid:11
	v_add_co_u32_e32 v68, vcc, v52, v64
	v_addc_co_u32_e32 v69, vcc, 0, v53, vcc
	global_load_dwordx4 v[26:29], v[22:23], off
	global_load_dwordx4 v[34:37], v[22:23], off offset:16
	global_load_dwordx4 v[42:45], v[22:23], off offset:32
	;; [unrolled: 1-line block ×3, first 2 shown]
	v_mfma_f32_4x4x4f16 a[0:3], v[74:75], v[62:63], a[0:3] cbsz:4 abid:11
	global_load_dwordx4 v[18:21], v[50:51], off
	global_load_dwordx4 v[22:25], v[50:51], off offset:16
	global_load_dwordx4 v[30:33], v[50:51], off offset:32
	global_load_dwordx4 v[38:41], v[50:51], off offset:48
	global_load_dwordx4 v[54:57], v[68:69], off
	global_load_dwordx4 v[62:65], v[68:69], off offset:16
	s_nop 0
	global_load_dwordx4 v[50:53], v[68:69], off offset:32
	global_load_dwordx4 v[58:61], v[68:69], off offset:48
	s_waitcnt vmcnt(19)
	v_mfma_f32_4x4x4f16 a[0:3], v[72:73], v[76:77], a[0:3] cbsz:4 abid:12
	v_cmp_eq_u32_e32 vcc, 0, v71
	v_mfma_f32_4x4x4f16 a[0:3], v[74:75], v[78:79], a[0:3] cbsz:4 abid:12
	v_cndmask_b32_e64 v67, 0, 1.0, vcc
	s_waitcnt vmcnt(18)
	v_mfma_f32_4x4x4f16 a[0:3], v[72:73], v[80:81], a[0:3] cbsz:4 abid:13
	v_cmp_eq_u32_e32 vcc, 1, v71
	v_mfma_f32_4x4x4f16 a[0:3], v[74:75], v[82:83], a[0:3] cbsz:4 abid:13
	s_waitcnt vmcnt(17)
	v_mfma_f32_4x4x4f16 a[0:3], v[72:73], v[84:85], a[0:3] cbsz:4 abid:14
	v_mfma_f32_4x4x4f16 a[0:3], v[74:75], v[86:87], a[0:3] cbsz:4 abid:14
	s_waitcnt vmcnt(16)
	v_mfma_f32_4x4x4f16 a[0:3], v[72:73], v[88:89], a[0:3] cbsz:4 abid:15
	v_mfma_f32_4x4x4f16 a[0:3], v[74:75], v[90:91], a[0:3] cbsz:4 abid:15
	s_nop 4
	v_accvgpr_read_b32 v73, a1
	v_accvgpr_read_b32 v72, a0
	s_waitcnt lgkmcnt(0)
	v_pk_mul_f32 v[72:73], s[4:5], v[72:73] op_sel_hi:[0,1]
	v_accvgpr_read_b32 v69, a3
	v_accvgpr_read_b32 v68, a2
	v_pk_mul_f32 v[68:69], s[4:5], v[68:69] op_sel_hi:[0,1]
	v_mfma_f32_4x4x1f32 a[0:3], v72, v67, 0
	v_cndmask_b32_e64 v67, 0, 1.0, vcc
	v_cmp_eq_u32_e32 vcc, 2, v71
	s_nop 0
	v_mfma_f32_4x4x1f32 a[0:3], v73, v67, a[0:3]
	v_cndmask_b32_e64 v67, 0, 1.0, vcc
	v_cmp_eq_u32_e32 vcc, 3, v71
	v_mov_b32_e32 v73, 0xff7fffff
	v_mfma_f32_4x4x1f32 a[0:3], v68, v67, a[0:3]
	v_cndmask_b32_e64 v67, 0, 1.0, vcc
	v_lshlrev_b32_e32 v68, 2, v0
	v_and_or_b32 v68, v68, 48, v71
	v_mfma_f32_4x4x1f32 a[0:3], v69, v67, a[0:3]
	v_and_b32_e32 v67, -4, v66
	v_cmp_gt_i32_e32 vcc, s9, v67
	v_or_b32_e32 v66, 3, v66
	v_cmp_gt_i32_e64 s[10:11], s9, v66
	v_lshlrev_b32_e32 v76, 2, v68
	v_accvgpr_read_b32 v69, a0
	v_max_f32_e32 v72, v69, v69
	v_max_f32_e32 v72, 0xff7fffff, v72
	v_accvgpr_read_b32 v74, a1
	v_cndmask_b32_e32 v72, v73, v72, vcc
	v_or_b32_e32 v73, 1, v67
	v_max_f32_e32 v75, v74, v74
	v_max_f32_e32 v75, v72, v75
	v_cmp_gt_i32_e64 s[2:3], s9, v73
	v_accvgpr_read_b32 v73, a2
	v_cndmask_b32_e64 v72, v72, v75, s[2:3]
	v_or_b32_e32 v67, 2, v67
	v_max_f32_e32 v75, v73, v73
	v_max_f32_e32 v75, v72, v75
	v_cmp_gt_i32_e64 s[4:5], s9, v67
	v_cndmask_b32_e64 v67, v72, v75, s[4:5]
	v_accvgpr_read_b32 v75, a3
	v_max_f32_e32 v72, v75, v75
	v_max_f32_e32 v72, v67, v72
	v_cndmask_b32_e64 v66, v67, v72, s[10:11]
	;;#ASMSTART
	v_nop
 v_nop
 v_max_f32_dpp v66, v66, v66 row_ror:4
	;;#ASMEND
	;;#ASMSTART
	v_nop
 v_nop
 v_max_f32_dpp v66, v66, v66 row_ror:8
	;;#ASMEND
	ds_bpermute_b32 v66, v76, v66
	s_waitcnt lgkmcnt(0)
	;;#ASMSTART
	v_nop
 v_nop
 v_max_f32_dpp v66, v66, v66 row_ror:4
	;;#ASMEND
	;;#ASMSTART
	v_nop
 v_nop
 v_max_f32_dpp v72, v66, v66 row_ror:8
	;;#ASMEND
	v_sub_f32_e32 v66, v69, v72
	v_mul_f32_e32 v66, 0x3fb8aa3b, v66
	v_sub_f32_e32 v67, v74, v72
	v_exp_f32_e32 v66, v66
	v_mul_f32_e32 v67, 0x3fb8aa3b, v67
	v_sub_f32_e32 v69, v73, v72
	v_exp_f32_e32 v67, v67
	;; [unrolled: 3-line block ×3, first 2 shown]
	v_mul_f32_e32 v73, 0x3fb8aa3b, v73
	v_exp_f32_e32 v73, v73
	v_cndmask_b32_e32 v66, 0, v66, vcc
	v_add_f32_e32 v68, 0, v66
	v_cndmask_b32_e64 v67, 0, v67, s[2:3]
	v_add_f32_e32 v74, v68, v67
	v_cndmask_b32_e64 v68, 0, v69, s[4:5]
	;; [unrolled: 2-line block ×3, first 2 shown]
	v_add_f32_e32 v73, v74, v69
	;;#ASMSTART
	v_nop
 v_nop
 v_add_f32_dpp v73, v73, v73 row_ror:4
	;;#ASMEND
	;;#ASMSTART
	v_nop
 v_nop
 v_add_f32_dpp v73, v73, v73 row_ror:8
	;;#ASMEND
	ds_bpermute_b32 v73, v76, v73
	s_waitcnt lgkmcnt(0)
	;;#ASMSTART
	v_nop
 v_nop
 v_add_f32_dpp v73, v73, v73 row_ror:4
	;;#ASMEND
	v_cmp_gt_u32_e32 vcc, 4, v1
	;;#ASMSTART
	v_nop
 v_nop
 v_add_f32_dpp v73, v73, v73 row_ror:8
	;;#ASMEND
	s_and_saveexec_b64 s[2:3], vcc
	s_cbranch_execz .LBB175_12
; %bb.11:
	v_mul_u32_u24_e32 v74, 20, v70
	v_lshl_add_u32 v74, v71, 2, v74
	v_add_u32_e32 v74, 0x1400, v74
	ds_write2_b32 v74, v72, v73 offset1:20
.LBB175_12:
	s_or_b64 exec, exec, s[2:3]
.LBB175_13:
	s_or_b64 exec, exec, s[30:31]
	v_lshlrev_b32_e32 v73, 2, v71
	v_add_u32_e32 v80, 0x1400, v73
	s_waitcnt lgkmcnt(0)
	s_barrier
	s_load_dword s2, s[28:29], 0x8
	ds_read2_b32 v[74:75], v80 offset1:5
	ds_read2_b32 v[76:77], v80 offset0:10 offset1:15
	s_mov_b32 s10, 0xff7fffff
	s_mul_i32 s3, s6, s7
	ds_read2_b32 v[78:79], v80 offset0:20 offset1:25
	s_waitcnt lgkmcnt(0)
	v_max3_f32 v73, v74, s10, v75
	v_max3_f32 v73, v73, v76, v77
	v_sub_f32_e32 v74, v74, v73
	v_mul_f32_e32 v74, 0x3fb8aa3b, v74
	v_sub_f32_e32 v75, v75, v73
	s_mul_i32 s3, s3, s2
	v_exp_f32_e32 v74, v74
	v_mul_f32_e32 v75, 0x3fb8aa3b, v75
	v_sub_f32_e32 v76, v76, v73
	s_lshl_b32 s2, s3, 2
	s_mov_b32 s3, 0
	v_exp_f32_e32 v75, v75
	ds_read2_b32 v[80:81], v80 offset0:30 offset1:35
	v_mul_f32_e32 v76, 0x3fb8aa3b, v76
	v_sub_f32_e32 v77, v77, v73
	s_lshl_b32 s4, s8, 2
	s_lshl_b64 s[8:9], s[2:3], 2
	v_exp_f32_e32 v76, v76
	v_mul_f32_e32 v77, 0x3fb8aa3b, v77
	s_add_u32 s5, s12, s8
	v_exp_f32_e32 v77, v77
	s_addc_u32 s6, s13, s9
	v_fma_f32 v74, v74, v78, 0
	s_mov_b32 s25, s3
	s_add_u32 s10, s14, s8
	v_fmac_f32_e32 v74, v75, v79
	s_addc_u32 s11, s15, s9
	s_lshl_b64 s[8:9], s[24:25], 2
	s_waitcnt lgkmcnt(0)
	v_fmac_f32_e32 v74, v76, v80
	v_or_b32_e32 v71, s4, v71
	s_add_u32 s10, s10, s8
	v_fmac_f32_e32 v74, v77, v81
	v_mul_lo_u32 v76, s7, v71
	v_mov_b32_e32 v77, 0
	s_addc_u32 s11, s11, s9
	v_lshlrev_b64 v[76:77], 2, v[76:77]
	s_add_u32 s5, s5, s8
	v_mov_b32_e32 v71, s11
	v_add_co_u32_e32 v78, vcc, s10, v76
	s_addc_u32 s6, s6, s9
	v_addc_co_u32_e32 v79, vcc, v71, v77, vcc
	v_mov_b32_e32 v71, s6
	v_add_co_u32_e32 v76, vcc, s5, v76
	v_addc_co_u32_e32 v77, vcc, v71, v77, vcc
	v_lshlrev_b32_e32 v70, 3, v70
	global_store_dword v[78:79], v73, off
	global_store_dword v[76:77], v74, off
	s_and_saveexec_b64 s[8:9], s[0:1]
	s_xor_b64 s[0:1], exec, s[8:9]
	s_cbranch_execz .LBB175_15
; %bb.14:
	s_mov_b32 s8, s3
	s_mov_b32 s9, s3
	s_waitcnt vmcnt(16)
	v_mad_u32_u24 v4, v1, 40, v70
	v_pk_mov_b32 v[2:3], s[8:9], s[8:9] op_sel:[0,1]
	ds_write2st64_b64 v4, v[2:3], v[2:3] offset1:5
                                        ; implicit-def: $vgpr69
                                        ; implicit-def: $vgpr67
                                        ; implicit-def: $vgpr15
                                        ; implicit-def: $vgpr3
                                        ; implicit-def: $vgpr7
                                        ; implicit-def: $vgpr11
                                        ; implicit-def: $vgpr19
                                        ; implicit-def: $vgpr23
                                        ; implicit-def: $vgpr31
                                        ; implicit-def: $vgpr39
                                        ; implicit-def: $vgpr27
                                        ; implicit-def: $vgpr35
                                        ; implicit-def: $vgpr43
                                        ; implicit-def: $vgpr47
                                        ; implicit-def: $vgpr55
                                        ; implicit-def: $vgpr63
                                        ; implicit-def: $vgpr51
                                        ; implicit-def: $vgpr59
                                        ; implicit-def: $vgpr72
                                        ; implicit-def: $vgpr73
                                        ; implicit-def: $vgpr74
                                        ; implicit-def: $vgpr70
.LBB175_15:
	s_andn2_saveexec_b64 s[0:1], s[0:1]
	s_cbranch_execz .LBB175_17
; %bb.16:
	v_add_f32_e32 v71, 0x358637bd, v74
	v_div_scale_f32 v74, s[8:9], v71, v71, 1.0
	v_rcp_f32_e32 v75, v74
	v_sub_f32_e32 v72, v72, v73
	v_mul_f32_e32 v72, 0x3fb8aa3b, v72
	v_exp_f32_e32 v72, v72
	v_fma_f32 v73, -v74, v75, 1.0
	v_fmac_f32_e32 v75, v73, v75
	v_div_scale_f32 v73, vcc, 1.0, v71, 1.0
	v_mul_f32_e32 v76, v73, v75
	v_fma_f32 v77, -v74, v76, v73
	v_fmac_f32_e32 v76, v77, v75
	v_fma_f32 v73, -v74, v76, v73
	v_div_fmas_f32 v73, v73, v75, v76
	v_div_fixup_f32 v71, v73, v71, 1.0
	v_mul_f32_e32 v72, v72, v71
	v_pk_mul_f32 v[68:69], v[68:69], v[72:73] op_sel_hi:[1,0]
	v_pk_mul_f32 v[66:67], v[66:67], v[72:73] op_sel_hi:[1,0]
	v_cvt_f16_f32_e32 v66, v66
	v_cvt_f16_f32_e32 v67, v67
	;; [unrolled: 1-line block ×4, first 2 shown]
	v_pack_b32_f16 v66, v66, v67
	v_pack_b32_f16 v67, v68, v69
	s_waitcnt vmcnt(17)
	s_nop 0
	v_mfma_f32_4x4x4f16 a[0:3], v[66:67], v[14:15], 0 cbsz:4
	v_mfma_f32_4x4x4f16 a[0:3], v[66:67], v[16:17], a[0:3] cbsz:4 abid:1
	s_waitcnt vmcnt(16)
	v_mfma_f32_4x4x4f16 a[0:3], v[66:67], v[2:3], a[0:3] cbsz:4 abid:2
	s_waitcnt vmcnt(13)
	v_mfma_f32_4x4x4f16 a[4:7], v[66:67], v[26:27], 0 cbsz:4
	v_mfma_f32_4x4x4f16 a[0:3], v[66:67], v[4:5], a[0:3] cbsz:4 abid:3
	v_mfma_f32_4x4x4f16 a[4:7], v[66:67], v[28:29], a[4:7] cbsz:4 abid:1
	;; [unrolled: 1-line block ×3, first 2 shown]
	s_waitcnt vmcnt(12)
	v_mfma_f32_4x4x4f16 a[4:7], v[66:67], v[34:35], a[4:7] cbsz:4 abid:2
	v_mfma_f32_4x4x4f16 a[0:3], v[66:67], v[8:9], a[0:3] cbsz:4 abid:5
	v_mad_u32_u24 v9, v1, 40, v70
	v_mfma_f32_4x4x4f16 a[4:7], v[66:67], v[36:37], a[4:7] cbsz:4 abid:3
	v_mfma_f32_4x4x4f16 a[0:3], v[66:67], v[10:11], a[0:3] cbsz:4 abid:6
	s_waitcnt vmcnt(11)
	v_mfma_f32_4x4x4f16 a[4:7], v[66:67], v[42:43], a[4:7] cbsz:4 abid:4
	v_mfma_f32_4x4x4f16 a[0:3], v[66:67], v[12:13], a[0:3] cbsz:4 abid:7
	;; [unrolled: 1-line block ×3, first 2 shown]
	s_waitcnt vmcnt(9)
	v_mfma_f32_4x4x4f16 a[0:3], v[66:67], v[18:19], a[0:3] cbsz:4 abid:8
	v_mfma_f32_4x4x4f16 a[4:7], v[66:67], v[46:47], a[4:7] cbsz:4 abid:6
	;; [unrolled: 1-line block ×4, first 2 shown]
	s_waitcnt vmcnt(8)
	v_mfma_f32_4x4x4f16 a[0:3], v[66:67], v[22:23], a[0:3] cbsz:4 abid:10
	s_waitcnt vmcnt(5)
	v_mfma_f32_4x4x4f16 a[4:7], v[66:67], v[54:55], a[4:7] cbsz:4 abid:8
	v_mfma_f32_4x4x4f16 a[0:3], v[66:67], v[24:25], a[0:3] cbsz:4 abid:11
	;; [unrolled: 1-line block ×4, first 2 shown]
	s_waitcnt vmcnt(4)
	v_mfma_f32_4x4x4f16 a[4:7], v[66:67], v[62:63], a[4:7] cbsz:4 abid:10
	v_mfma_f32_4x4x4f16 a[0:3], v[66:67], v[32:33], a[0:3] cbsz:4 abid:13
	;; [unrolled: 1-line block ×5, first 2 shown]
	s_waitcnt vmcnt(3)
	v_mfma_f32_4x4x4f16 a[4:7], v[66:67], v[50:51], a[4:7] cbsz:4 abid:12
	s_nop 2
	v_accvgpr_read_b32 v2, a0
	v_accvgpr_read_b32 v3, a1
	;; [unrolled: 1-line block ×4, first 2 shown]
	v_mfma_f32_4x4x4f16 a[0:3], v[66:67], v[52:53], a[4:7] cbsz:4 abid:13
	v_cvt_f16_f32_e32 v2, v2
	v_cvt_f16_f32_e32 v3, v3
	s_waitcnt vmcnt(2)
	v_mfma_f32_4x4x4f16 a[0:3], v[66:67], v[58:59], a[0:3] cbsz:4 abid:14
	v_pack_b32_f16 v2, v2, v3
	v_mfma_f32_4x4x4f16 a[0:3], v[66:67], v[60:61], a[0:3] cbsz:4 abid:15
	v_cvt_f16_f32_e32 v3, v4
	v_cvt_f16_f32_e32 v4, v5
	v_pack_b32_f16 v3, v3, v4
	s_nop 1
	v_accvgpr_read_b32 v5, a0
	v_accvgpr_read_b32 v6, a1
	v_accvgpr_read_b32 v7, a2
	v_accvgpr_read_b32 v8, a3
	v_cvt_f16_f32_e32 v5, v5
	v_cvt_f16_f32_e32 v6, v6
	;; [unrolled: 1-line block ×4, first 2 shown]
	v_pack_b32_f16 v4, v5, v6
	v_pack_b32_f16 v5, v7, v8
	ds_write2st64_b64 v9, v[2:3], v[4:5] offset1:5
.LBB175_17:
	s_or_b64 exec, exec, s[0:1]
	v_cmp_gt_u32_e32 vcc, 64, v0
	s_waitcnt lgkmcnt(0)
	s_barrier
	s_and_saveexec_b64 s[0:1], vcc
	s_cbranch_execz .LBB175_19
; %bb.18:
	s_waitcnt vmcnt(15)
	v_mul_u32_u24_e32 v6, 40, v1
	ds_read2_b64 v[2:5], v6 offset1:1
	ds_read2_b64 v[6:9], v6 offset0:2 offset1:3
	s_mov_b32 s1, 0
	s_lshl_b32 s0, s2, 7
	s_lshl_b64 s[2:3], s[0:1], 1
	s_waitcnt lgkmcnt(1)
	v_pk_add_f16 v2, v2, 0
	v_pk_add_f16 v2, v2, v4
	;; [unrolled: 1-line block ×3, first 2 shown]
	s_waitcnt lgkmcnt(0)
	v_pk_add_f16 v2, v2, v6
	v_pk_add_f16 v3, v3, v5
	s_waitcnt vmcnt(14)
	v_pk_add_f16 v10, v2, v8
	v_mov_b32_e32 v2, 0xa00
	v_pk_add_f16 v6, v3, v7
	v_mad_u32_u24 v2, v1, 40, v2
	ds_read2_b64 v[2:5], v2 offset1:1
	v_pk_add_f16 v11, v6, v9
	v_mov_b32_e32 v6, 0xa10
	v_mad_u32_u24 v1, v1, 40, v6
	ds_read2_b64 v[6:9], v1 offset1:1
	s_add_u32 s2, s26, s2
	s_addc_u32 s3, s27, s3
	s_lshl_b32 s0, s24, 7
	s_lshl_b64 s[0:1], s[0:1], 1
	s_waitcnt lgkmcnt(1)
	v_pk_add_f16 v1, v2, 0
	v_pk_add_f16 v2, v3, 0
	s_add_u32 s0, s2, s0
	v_pk_add_f16 v2, v2, v5
	s_addc_u32 s1, s3, s1
	s_lshl_b32 s2, s7, 7
	s_waitcnt lgkmcnt(0)
	v_pk_add_f16 v2, v2, v7
	s_mul_i32 s3, s2, s4
	v_pk_add_f16 v1, v1, v4
	v_pk_add_f16 v13, v2, v9
	v_or_b32_e32 v2, s3, v0
	v_mov_b32_e32 v3, 0
	v_pk_add_f16 v1, v1, v6
	v_lshlrev_b64 v[4:5], 1, v[2:3]
	s_add_i32 s3, s3, s2
	v_pk_add_f16 v12, v1, v8
	v_mov_b32_e32 v1, s1
	v_add_co_u32_e32 v4, vcc, s0, v4
	v_or_b32_e32 v2, s3, v0
	v_addc_co_u32_e32 v5, vcc, v1, v5, vcc
	v_lshlrev_b64 v[6:7], 1, v[2:3]
	s_add_i32 s3, s3, s2
	v_add_co_u32_e32 v6, vcc, s0, v6
	v_or_b32_e32 v2, s3, v0
	v_addc_co_u32_e32 v7, vcc, v1, v7, vcc
	v_lshlrev_b64 v[8:9], 1, v[2:3]
	s_add_i32 s3, s3, s2
	v_add_co_u32_e32 v8, vcc, s0, v8
	v_or_b32_e32 v2, s3, v0
	v_addc_co_u32_e32 v9, vcc, v1, v9, vcc
	v_lshlrev_b64 v[0:1], 1, v[2:3]
	v_mov_b32_e32 v2, s1
	v_add_co_u32_e32 v0, vcc, s0, v0
	v_addc_co_u32_e32 v1, vcc, v2, v1, vcc
	global_store_short v[4:5], v10, off
	global_store_short_d16_hi v[6:7], v10, off
	global_store_short v[8:9], v11, off
	global_store_short_d16_hi v[0:1], v11, off
	global_store_short v[4:5], v12, off offset:128
	global_store_short_d16_hi v[6:7], v12, off offset:128
	global_store_short v[8:9], v13, off offset:128
	global_store_short_d16_hi v[0:1], v13, off offset:128
.LBB175_19:
	s_endpgm
.LBB175_20:
	s_mov_b64 s[2:3], 0
                                        ; implicit-def: $sgpr34_sgpr35
	s_branch .LBB175_2
	.section	.rodata,"a",@progbits
	.p2align	6, 0x0
	.amdhsa_kernel _Z38paged_attention_ll4mi_QKV_mfma4_kernelIDF16_DF16_LN4vllm18Fp8KVCacheDataTypeE0EDF16_Li32ELi128ELi256ELb0ELi4EEvPKT_PKT0_S7_ifPKiS9_S9_iPKfiiiPfSC_PS2_PT2_iSB_SB_
		.amdhsa_group_segment_fixed_size 5280
		.amdhsa_private_segment_fixed_size 0
		.amdhsa_kernarg_size 400
		.amdhsa_user_sgpr_count 6
		.amdhsa_user_sgpr_private_segment_buffer 1
		.amdhsa_user_sgpr_dispatch_ptr 0
		.amdhsa_user_sgpr_queue_ptr 0
		.amdhsa_user_sgpr_kernarg_segment_ptr 1
		.amdhsa_user_sgpr_dispatch_id 0
		.amdhsa_user_sgpr_flat_scratch_init 0
		.amdhsa_user_sgpr_kernarg_preload_length 0
		.amdhsa_user_sgpr_kernarg_preload_offset 0
		.amdhsa_user_sgpr_private_segment_size 0
		.amdhsa_uses_dynamic_stack 0
		.amdhsa_system_sgpr_private_segment_wavefront_offset 0
		.amdhsa_system_sgpr_workgroup_id_x 1
		.amdhsa_system_sgpr_workgroup_id_y 1
		.amdhsa_system_sgpr_workgroup_id_z 1
		.amdhsa_system_sgpr_workgroup_info 0
		.amdhsa_system_vgpr_workitem_id 0
		.amdhsa_next_free_vgpr 100
		.amdhsa_next_free_sgpr 38
		.amdhsa_accum_offset 92
		.amdhsa_reserve_vcc 1
		.amdhsa_reserve_flat_scratch 0
		.amdhsa_float_round_mode_32 0
		.amdhsa_float_round_mode_16_64 0
		.amdhsa_float_denorm_mode_32 3
		.amdhsa_float_denorm_mode_16_64 3
		.amdhsa_dx10_clamp 1
		.amdhsa_ieee_mode 1
		.amdhsa_fp16_overflow 0
		.amdhsa_tg_split 0
		.amdhsa_exception_fp_ieee_invalid_op 0
		.amdhsa_exception_fp_denorm_src 0
		.amdhsa_exception_fp_ieee_div_zero 0
		.amdhsa_exception_fp_ieee_overflow 0
		.amdhsa_exception_fp_ieee_underflow 0
		.amdhsa_exception_fp_ieee_inexact 0
		.amdhsa_exception_int_div_zero 0
	.end_amdhsa_kernel
	.section	.text._Z38paged_attention_ll4mi_QKV_mfma4_kernelIDF16_DF16_LN4vllm18Fp8KVCacheDataTypeE0EDF16_Li32ELi128ELi256ELb0ELi4EEvPKT_PKT0_S7_ifPKiS9_S9_iPKfiiiPfSC_PS2_PT2_iSB_SB_,"axG",@progbits,_Z38paged_attention_ll4mi_QKV_mfma4_kernelIDF16_DF16_LN4vllm18Fp8KVCacheDataTypeE0EDF16_Li32ELi128ELi256ELb0ELi4EEvPKT_PKT0_S7_ifPKiS9_S9_iPKfiiiPfSC_PS2_PT2_iSB_SB_,comdat
.Lfunc_end175:
	.size	_Z38paged_attention_ll4mi_QKV_mfma4_kernelIDF16_DF16_LN4vllm18Fp8KVCacheDataTypeE0EDF16_Li32ELi128ELi256ELb0ELi4EEvPKT_PKT0_S7_ifPKiS9_S9_iPKfiiiPfSC_PS2_PT2_iSB_SB_, .Lfunc_end175-_Z38paged_attention_ll4mi_QKV_mfma4_kernelIDF16_DF16_LN4vllm18Fp8KVCacheDataTypeE0EDF16_Li32ELi128ELi256ELb0ELi4EEvPKT_PKT0_S7_ifPKiS9_S9_iPKfiiiPfSC_PS2_PT2_iSB_SB_
                                        ; -- End function
	.section	.AMDGPU.csdata,"",@progbits
; Kernel info:
; codeLenInByte = 3848
; NumSgprs: 42
; NumVgprs: 92
; NumAgprs: 8
; TotalNumVgprs: 100
; ScratchSize: 0
; MemoryBound: 0
; FloatMode: 240
; IeeeMode: 1
; LDSByteSize: 5280 bytes/workgroup (compile time only)
; SGPRBlocks: 5
; VGPRBlocks: 12
; NumSGPRsForWavesPerEU: 42
; NumVGPRsForWavesPerEU: 100
; AccumOffset: 92
; Occupancy: 4
; WaveLimiterHint : 1
; COMPUTE_PGM_RSRC2:SCRATCH_EN: 0
; COMPUTE_PGM_RSRC2:USER_SGPR: 6
; COMPUTE_PGM_RSRC2:TRAP_HANDLER: 0
; COMPUTE_PGM_RSRC2:TGID_X_EN: 1
; COMPUTE_PGM_RSRC2:TGID_Y_EN: 1
; COMPUTE_PGM_RSRC2:TGID_Z_EN: 1
; COMPUTE_PGM_RSRC2:TIDIG_COMP_CNT: 0
; COMPUTE_PGM_RSRC3_GFX90A:ACCUM_OFFSET: 22
; COMPUTE_PGM_RSRC3_GFX90A:TG_SPLIT: 0
	.section	.text._Z39paged_attention_ll4mi_QKV_mfma16_kernelIDF16_DF16_LN4vllm18Fp8KVCacheDataTypeE0EDF16_Li32ELi128ELi256ELb0ELi5EL8MFMAType0EEvPKT_PKT0_S8_ifPKiSA_SA_iPKfiiiPfSD_PS3_PT2_iSC_SC_,"axG",@progbits,_Z39paged_attention_ll4mi_QKV_mfma16_kernelIDF16_DF16_LN4vllm18Fp8KVCacheDataTypeE0EDF16_Li32ELi128ELi256ELb0ELi5EL8MFMAType0EEvPKT_PKT0_S8_ifPKiSA_SA_iPKfiiiPfSD_PS3_PT2_iSC_SC_,comdat
	.protected	_Z39paged_attention_ll4mi_QKV_mfma16_kernelIDF16_DF16_LN4vllm18Fp8KVCacheDataTypeE0EDF16_Li32ELi128ELi256ELb0ELi5EL8MFMAType0EEvPKT_PKT0_S8_ifPKiSA_SA_iPKfiiiPfSD_PS3_PT2_iSC_SC_ ; -- Begin function _Z39paged_attention_ll4mi_QKV_mfma16_kernelIDF16_DF16_LN4vllm18Fp8KVCacheDataTypeE0EDF16_Li32ELi128ELi256ELb0ELi5EL8MFMAType0EEvPKT_PKT0_S8_ifPKiSA_SA_iPKfiiiPfSD_PS3_PT2_iSC_SC_
	.globl	_Z39paged_attention_ll4mi_QKV_mfma16_kernelIDF16_DF16_LN4vllm18Fp8KVCacheDataTypeE0EDF16_Li32ELi128ELi256ELb0ELi5EL8MFMAType0EEvPKT_PKT0_S8_ifPKiSA_SA_iPKfiiiPfSD_PS3_PT2_iSC_SC_
	.p2align	8
	.type	_Z39paged_attention_ll4mi_QKV_mfma16_kernelIDF16_DF16_LN4vllm18Fp8KVCacheDataTypeE0EDF16_Li32ELi128ELi256ELb0ELi5EL8MFMAType0EEvPKT_PKT0_S8_ifPKiSA_SA_iPKfiiiPfSD_PS3_PT2_iSC_SC_,@function
_Z39paged_attention_ll4mi_QKV_mfma16_kernelIDF16_DF16_LN4vllm18Fp8KVCacheDataTypeE0EDF16_Li32ELi128ELi256ELb0ELi5EL8MFMAType0EEvPKT_PKT0_S8_ifPKiSA_SA_iPKfiiiPfSD_PS3_PT2_iSC_SC_: ; @_Z39paged_attention_ll4mi_QKV_mfma16_kernelIDF16_DF16_LN4vllm18Fp8KVCacheDataTypeE0EDF16_Li32ELi128ELi256ELb0ELi5EL8MFMAType0EEvPKT_PKT0_S8_ifPKiSA_SA_iPKfiiiPfSD_PS3_PT2_iSC_SC_
; %bb.0:
	s_mov_b64 s[46:47], s[2:3]
	s_mov_b64 s[44:45], s[0:1]
	s_load_dwordx2 s[0:1], s[4:5], 0x30
	s_add_u32 s44, s44, s9
	s_addc_u32 s45, s45, 0
	s_mov_b32 s26, s7
	s_mov_b64 s[10:11], 0
	s_waitcnt lgkmcnt(0)
	s_cmp_lg_u64 s[0:1], 0
	s_cselect_b64 s[2:3], -1, 0
	s_and_b64 vcc, exec, s[2:3]
	s_cbranch_vccz .LBB176_7
; %bb.1:
	s_add_i32 s12, s6, 1
	s_mov_b32 s13, 0
	s_lshl_b64 s[14:15], s[12:13], 2
	s_add_u32 s14, s0, s14
	s_mov_b32 s7, s13
	s_addc_u32 s15, s1, s15
	s_lshl_b64 s[12:13], s[6:7], 2
	s_add_u32 s12, s0, s12
	s_addc_u32 s13, s1, s13
	s_load_dword s9, s[14:15], 0x0
	s_load_dword s16, s[12:13], 0x0
	s_waitcnt lgkmcnt(0)
	s_sub_i32 s9, s9, s16
	s_cmp_eq_u32 s9, 1
	s_cselect_b64 s[12:13], -1, 0
	s_andn2_b64 vcc, exec, s[10:11]
	s_cbranch_vccnz .LBB176_3
.LBB176_2:
	s_mov_b32 s7, 0
	s_mov_b64 s[12:13], -1
.LBB176_3:
	s_andn2_b64 vcc, exec, s[12:13]
	s_cbranch_vccnz .LBB176_20
; %bb.4:
	s_load_dwordx2 s[12:13], s[4:5], 0x28
	s_lshl_b64 s[10:11], s[6:7], 2
	s_waitcnt lgkmcnt(0)
	s_add_u32 s12, s12, s10
	s_addc_u32 s13, s13, s11
	s_load_dword s33, s[12:13], 0x0
	s_lshl_b32 s9, s26, 8
	s_waitcnt lgkmcnt(0)
	s_cmp_ge_i32 s9, s33
	s_cbranch_scc1 .LBB176_20
; %bb.5:
	s_add_i32 s15, s33, 31
	s_load_dwordx2 s[12:13], s[4:5], 0x20
	s_load_dword s14, s[4:5], 0x38
	s_ashr_i32 s16, s15, 31
	v_and_b32_e32 v1, 0xcf, v0
	s_lshr_b32 s16, s16, 27
	v_add_u32_e32 v1, s9, v1
	s_add_i32 s15, s15, s16
	v_ashrrev_i32_e32 v2, 31, v1
	s_ashr_i32 s18, s15, 5
	v_lshrrev_b32_e32 v10, 27, v2
	s_add_i32 s18, s18, -1
	v_add_u32_e32 v2, v1, v10
	s_waitcnt lgkmcnt(0)
	s_mul_i32 s14, s6, s14
	s_mov_b32 s15, 0
	v_ashrrev_i32_e32 v2, 5, v2
	v_mov_b32_e32 v11, s18
	v_cmp_gt_i32_e32 vcc, s33, v1
	s_lshl_b64 s[14:15], s[14:15], 2
	v_cndmask_b32_e32 v2, v11, v2, vcc
	s_add_u32 s16, s12, s14
	v_ashrrev_i32_e32 v3, 31, v2
	s_addc_u32 s17, s13, s15
	v_lshlrev_b64 v[2:3], 2, v[2:3]
	v_mov_b32_e32 v4, s17
	v_add_co_u32_e32 v2, vcc, s16, v2
	v_addc_co_u32_e32 v3, vcc, v4, v3, vcc
	v_or_b32_e32 v4, 16, v1
	v_add_u32_e32 v5, v4, v10
	v_ashrrev_i32_e32 v5, 5, v5
	v_cmp_gt_i32_e32 vcc, s33, v4
	v_cndmask_b32_e32 v4, v11, v5, vcc
	v_ashrrev_i32_e32 v5, 31, v4
	v_lshlrev_b64 v[4:5], 2, v[4:5]
	v_mov_b32_e32 v7, s17
	v_add_co_u32_e32 v6, vcc, s16, v4
	v_or_b32_e32 v4, 32, v1
	v_addc_co_u32_e32 v7, vcc, v7, v5, vcc
	v_add_u32_e32 v5, v4, v10
	v_ashrrev_i32_e32 v5, 5, v5
	v_cmp_gt_i32_e32 vcc, s33, v4
	v_cndmask_b32_e32 v4, v11, v5, vcc
	v_ashrrev_i32_e32 v5, 31, v4
	v_lshlrev_b64 v[4:5], 2, v[4:5]
	v_mov_b32_e32 v9, s17
	v_add_co_u32_e32 v8, vcc, s16, v4
	v_or_b32_e32 v1, 48, v1
	v_addc_co_u32_e32 v9, vcc, v9, v5, vcc
	v_add_u32_e32 v4, v1, v10
	v_ashrrev_i32_e32 v4, 5, v4
	v_cmp_gt_i32_e32 vcc, s33, v1
	v_cndmask_b32_e32 v4, v11, v4, vcc
	v_ashrrev_i32_e32 v5, 31, v4
	v_lshlrev_b64 v[4:5], 2, v[4:5]
	v_mov_b32_e32 v1, s17
	v_add_co_u32_e32 v10, vcc, s16, v4
	v_addc_co_u32_e32 v11, vcc, v1, v5, vcc
	global_load_dword v5, v[2:3], off
	global_load_dword v4, v[6:7], off
	;; [unrolled: 1-line block ×4, first 2 shown]
	s_andn2_b64 vcc, exec, s[2:3]
	s_cbranch_vccnz .LBB176_8
; %bb.6:
	s_add_u32 s0, s0, s10
	s_addc_u32 s1, s1, s11
	s_load_dword s19, s[0:1], 0x0
	s_branch .LBB176_9
.LBB176_7:
	s_mov_b64 s[12:13], 0
	s_branch .LBB176_2
.LBB176_8:
	s_mov_b32 s19, s6
.LBB176_9:
	s_load_dwordx4 s[12:15], s[4:5], 0x8
	s_load_dwordx4 s[0:3], s[4:5], 0x48
	v_lshrrev_b32_e32 v85, 6, v0
	v_bfe_u32 v1, v0, 4, 2
	v_lshl_or_b32 v6, v85, 2, v1
	v_and_b32_e32 v84, 15, v0
	v_lshlrev_b32_e32 v2, 3, v84
	v_cmp_lt_u32_e32 vcc, 4, v6
	s_and_saveexec_b64 s[10:11], vcc
	s_xor_b64 s[10:11], exec, s[10:11]
; %bb.10:
	v_mov_b32_e32 v3, 0
                                        ; implicit-def: $vgpr6
; %bb.11:
	s_or_saveexec_b64 s[10:11], s[10:11]
	v_and_b32_e32 v86, 63, v0
	s_mul_i32 s27, s8, 5
	s_xor_b64 exec, exec, s[10:11]
	s_cbranch_execz .LBB176_13
; %bb.12:
	s_load_dwordx2 s[20:21], s[4:5], 0x0
	s_waitcnt lgkmcnt(0)
	s_ashr_i32 s3, s0, 31
	s_mul_hi_u32 s22, s19, s0
	s_mul_i32 s3, s19, s3
	s_add_i32 s23, s22, s3
	s_mul_i32 s22, s19, s0
	s_lshl_b64 s[22:23], s[22:23], 1
	v_add_lshl_u32 v8, v6, s27, 7
	s_add_u32 s0, s20, s22
	v_ashrrev_i32_e32 v9, 31, v8
	s_addc_u32 s3, s21, s23
	v_lshlrev_b64 v[8:9], 1, v[8:9]
	v_mov_b32_e32 v3, s3
	v_add_co_u32_e32 v7, vcc, s0, v8
	v_addc_co_u32_e32 v3, vcc, v3, v9, vcc
	v_lshlrev_b32_e32 v8, 1, v2
	v_add_co_u32_e32 v8, vcc, v7, v8
	v_addc_co_u32_e32 v9, vcc, 0, v3, vcc
	global_load_dwordx4 v[8:11], v[8:9], off
	v_and_b32_e32 v7, 3, v0
	v_lshlrev_b32_e32 v12, 9, v84
	v_lshlrev_b32_e32 v6, 5, v6
	;; [unrolled: 1-line block ×3, first 2 shown]
	v_and_b32_e32 v12, 0x1800, v12
	v_mov_b32_e32 v3, 0
	v_or3_b32 v6, v12, v7, v6
	s_waitcnt vmcnt(0)
	ds_write_b128 v6, v[8:11]
.LBB176_13:
	s_or_b64 exec, exec, s[10:11]
	s_waitcnt lgkmcnt(0)
	s_mul_i32 s2, s8, s2
	s_mov_b32 s3, 0
	s_lshl_b64 s[2:3], s[2:3], 1
	s_add_u32 s8, s12, s2
	s_addc_u32 s10, s13, s3
	s_waitcnt vmcnt(3)
	v_mad_i64_i32 v[6:7], s[12:13], v5, s1, 0
	v_lshlrev_b64 v[6:7], 1, v[6:7]
	v_mov_b32_e32 v5, s10
	v_add_co_u32_e32 v6, vcc, s8, v6
	v_addc_co_u32_e32 v5, vcc, v5, v7, vcc
	v_lshlrev_b64 v[50:51], 1, v[2:3]
	v_add_co_u32_e32 v27, vcc, v6, v50
	v_lshlrev_b32_e32 v26, 9, v1
	v_addc_co_u32_e32 v28, vcc, v5, v51, vcc
	v_add_co_u32_e32 v2, vcc, v27, v26
	s_waitcnt vmcnt(2)
	v_mad_i64_i32 v[4:5], s[12:13], v4, s1, 0
	v_addc_co_u32_e32 v3, vcc, 0, v28, vcc
	v_lshlrev_b64 v[4:5], 1, v[4:5]
	v_mov_b32_e32 v6, s10
	v_add_co_u32_e32 v4, vcc, s8, v4
	s_load_dword s40, s[4:5], 0x98
	s_load_dword s0, s[4:5], 0x1c
	s_waitcnt lgkmcnt(0)
	s_barrier
	global_load_dwordx4 v[10:13], v[2:3], off
	global_load_dwordx4 v[14:17], v[2:3], off offset:2048
	v_addc_co_u32_e32 v5, vcc, v6, v5, vcc
	v_mov_b32_e32 v6, 0x100
	v_lshl_or_b32 v29, v84, 4, v6
	v_add_co_u32_e32 v31, vcc, v4, v29
	v_addc_co_u32_e32 v32, vcc, 0, v5, vcc
	v_add_co_u32_e32 v22, vcc, v31, v26
	v_addc_co_u32_e32 v23, vcc, 0, v32, vcc
	global_load_dwordx4 v[18:21], v[22:23], off
	v_mul_lo_u16_e32 v4, 52, v84
	v_mov_b32_e32 v2, 5
	v_mul_lo_u16_sdwa v2, v4, v2 dst_sel:DWORD dst_unused:UNUSED_PAD src0_sel:BYTE_1 src1_sel:DWORD
	v_sub_u16_e32 v2, v84, v2
	v_and_b32_e32 v2, 0xff, v2
	v_lshl_add_u32 v30, v2, 5, v26
	ds_read_b128 v[6:9], v30
	ds_read_b128 v[2:5], v30 offset:2048
	v_or_b32_e32 v54, 0x1000, v26
	global_load_dwordx4 v[38:41], v[22:23], off offset:2048
	v_or_b32_e32 v70, 0x1800, v26
	s_ashr_i32 s11, s9, 31
	v_and_or_b32 v66, v0, 48, s9
	v_lshl_or_b32 v87, v85, 4, v84
	v_lshlrev_b32_e32 v91, 6, v87
	s_mov_b32 s41, 0xff7fffff
	s_waitcnt vmcnt(3) lgkmcnt(1)
	v_mfma_f32_16x16x16f16 v[34:37], v[10:11], v[6:7], 0
	s_waitcnt vmcnt(1)
	v_mfma_f32_16x16x16f16 v[42:45], v[18:19], v[6:7], 0
	v_add_co_u32_e32 v18, vcc, v27, v54
	v_addc_co_u32_e32 v19, vcc, 0, v28, vcc
	v_mfma_f32_16x16x16f16 v[10:13], v[12:13], v[8:9], v[34:37]
	s_nop 6
	global_load_dwordx4 v[34:37], v[18:19], off
	v_add_co_u32_e32 v22, vcc, v31, v54
	v_addc_co_u32_e32 v23, vcc, 0, v32, vcc
	v_mfma_f32_16x16x16f16 v[18:21], v[20:21], v[8:9], v[42:45]
	s_nop 6
	global_load_dwordx4 v[42:45], v[22:23], off
	v_add_co_u32_e32 v22, vcc, v27, v70
	v_addc_co_u32_e32 v23, vcc, 0, v28, vcc
	s_waitcnt lgkmcnt(0)
	v_mfma_f32_16x16x16f16 v[10:13], v[14:15], v[2:3], v[10:13]
	global_load_dwordx4 v[46:49], v[22:23], off
	v_mad_i64_i32 v[14:15], s[12:13], v25, s1, 0
	v_add_co_u32_e32 v22, vcc, v31, v70
	v_lshlrev_b64 v[14:15], 1, v[14:15]
	v_addc_co_u32_e32 v23, vcc, 0, v32, vcc
	global_load_dwordx4 v[58:61], v[22:23], off
	v_mov_b32_e32 v22, s10
	v_add_co_u32_e32 v23, vcc, s8, v14
	v_addc_co_u32_e32 v22, vcc, v22, v15, vcc
	v_add_co_u32_e32 v27, vcc, v23, v50
	buffer_store_dword v50, off, s[44:47], 0 ; 4-byte Folded Spill
	s_nop 0
	buffer_store_dword v51, off, s[44:47], 0 offset:4 ; 4-byte Folded Spill
	s_waitcnt vmcnt(6)
	v_mfma_f32_16x16x16f16 v[18:21], v[38:39], v[2:3], v[18:21]
	v_addc_co_u32_e32 v28, vcc, v22, v51, vcc
	v_add_co_u32_e32 v22, vcc, v27, v26
	v_addc_co_u32_e32 v23, vcc, 0, v28, vcc
	v_mfma_f32_16x16x16f16 v[18:21], v[40:41], v[4:5], v[18:21]
	global_load_dwordx4 v[38:41], v[22:23], off
	v_mfma_f32_16x16x16f16 v[14:17], v[16:17], v[4:5], v[10:13]
	s_nop 6
	ds_read_b128 v[10:13], v30 offset:4096
	ds_read_b128 v[50:53], v30 offset:6144
	global_load_dwordx4 v[30:33], v[22:23], off offset:2048
	v_mad_i64_i32 v[22:23], s[12:13], v24, s1, 0
	s_waitcnt vmcnt(7) lgkmcnt(1)
	v_mfma_f32_16x16x16f16 v[14:17], v[34:35], v[10:11], v[14:17]
	v_lshlrev_b64 v[34:35], 1, v[22:23]
	v_add_co_u32_e32 v22, vcc, v27, v54
	v_addc_co_u32_e32 v23, vcc, 0, v28, vcc
	global_load_dwordx4 v[22:25], v[22:23], off
	v_add_co_u32_e32 v34, vcc, s8, v34
	s_waitcnt vmcnt(7)
	v_mfma_f32_16x16x16f16 v[18:21], v[42:43], v[10:11], v[18:21]
	v_mov_b32_e32 v42, s10
	v_addc_co_u32_e32 v35, vcc, v42, v35, vcc
	v_add_co_u32_e32 v71, vcc, v34, v29
	v_addc_co_u32_e32 v72, vcc, 0, v35, vcc
	v_mfma_f32_16x16x16f16 v[14:17], v[36:37], v[12:13], v[14:17]
	v_add_co_u32_e32 v34, vcc, v27, v70
	v_addc_co_u32_e32 v35, vcc, 0, v28, vcc
	v_add_co_u32_e32 v42, vcc, v71, v26
	v_addc_co_u32_e32 v43, vcc, 0, v72, vcc
	v_mfma_f32_16x16x16f16 v[18:21], v[44:45], v[12:13], v[18:21]
	s_lshr_b32 s10, s11, 27
	v_add_co_u32_e32 v44, vcc, v71, v54
	v_addc_co_u32_e32 v45, vcc, 0, v72, vcc
	v_cmp_gt_i32_e32 vcc, s33, v66
	s_add_u32 s2, s14, s2
	s_waitcnt vmcnt(6) lgkmcnt(0)
	v_mfma_f32_16x16x16f16 v[26:29], v[46:47], v[50:51], v[14:17]
	global_load_dwordx4 v[34:37], v[34:35], off
	s_nop 0
	global_load_dwordx4 v[62:65], v[42:43], off
	s_nop 3
	global_load_dwordx4 v[14:17], v[42:43], off offset:2048
	v_mov_b32_e32 v42, s17
	s_addc_u32 s3, s15, s3
	v_mfma_f32_16x16x16f16 v[54:57], v[48:49], v[52:53], v[26:29]
	s_nop 6
	v_add_u32_e32 v26, s10, v66
	s_waitcnt vmcnt(8)
	v_mfma_f32_16x16x16f16 v[18:21], v[58:59], v[50:51], v[18:21]
	v_ashrrev_i32_e32 v26, 5, v26
	v_mov_b32_e32 v28, s18
	v_cndmask_b32_e32 v26, v28, v26, vcc
	v_ashrrev_i32_e32 v27, 31, v26
	v_lshlrev_b64 v[26:27], 2, v[26:27]
	v_mov_b32_e32 v29, s17
	v_add_co_u32_e32 v26, vcc, s16, v26
	v_addc_co_u32_e32 v27, vcc, v29, v27, vcc
	global_load_dword v29, v[26:27], off
	v_or_b32_e32 v26, 64, v66
	v_mfma_f32_16x16x16f16 v[58:61], v[60:61], v[52:53], v[18:21]
	v_cmp_gt_i32_e32 vcc, s33, v26
	s_nop 5
	v_add_u32_e32 v18, s10, v26
	v_ashrrev_i32_e32 v18, 5, v18
	v_cndmask_b32_e32 v18, v28, v18, vcc
	v_ashrrev_i32_e32 v19, 31, v18
	v_lshlrev_b64 v[26:27], 2, v[18:19]
	s_waitcnt vmcnt(6)
	v_mfma_f32_16x16x16f16 v[18:21], v[38:39], v[6:7], 0
	v_add_co_u32_e32 v26, vcc, s16, v26
	v_addc_co_u32_e32 v27, vcc, v42, v27, vcc
	global_load_dword v38, v[26:27], off
	v_or_b32_e32 v26, 0x80, v66
	v_add_u32_e32 v27, s10, v26
	v_mfma_f32_16x16x16f16 v[18:21], v[40:41], v[8:9], v[18:21]
	v_ashrrev_i32_e32 v27, 5, v27
	v_cmp_gt_i32_e32 vcc, s33, v26
	v_cndmask_b32_e32 v26, v28, v27, vcc
	v_ashrrev_i32_e32 v27, 31, v26
	v_lshlrev_b64 v[26:27], 2, v[26:27]
	v_mov_b32_e32 v39, s17
	v_add_co_u32_e32 v26, vcc, s16, v26
	v_addc_co_u32_e32 v27, vcc, v39, v27, vcc
	s_waitcnt vmcnt(6)
	v_mfma_f32_16x16x16f16 v[18:21], v[30:31], v[2:3], v[18:21]
	global_load_dword v30, v[26:27], off
	v_or_b32_e32 v26, 0xc0, v66
	global_load_dwordx4 v[66:69], v[44:45], off
	v_add_u32_e32 v27, s10, v26
	v_ashrrev_i32_e32 v27, 5, v27
	v_cmp_gt_i32_e32 vcc, s33, v26
	v_cndmask_b32_e32 v26, v28, v27, vcc
	v_mfma_f32_16x16x16f16 v[18:21], v[32:33], v[4:5], v[18:21]
	v_ashrrev_i32_e32 v27, 31, v26
	v_lshlrev_b64 v[26:27], 2, v[26:27]
	v_mov_b32_e32 v28, s17
	v_add_co_u32_e32 v26, vcc, s16, v26
	v_addc_co_u32_e32 v27, vcc, v28, v27, vcc
	global_load_dword v88, v[26:27], off
	s_waitcnt vmcnt(8)
	v_mfma_f32_16x16x16f16 v[18:21], v[22:23], v[10:11], v[18:21]
	v_add_co_u32_e32 v22, vcc, v71, v70
	v_addc_co_u32_e32 v23, vcc, 0, v72, vcc
	global_load_dwordx4 v[70:73], v[22:23], off
	v_and_b32_e32 v22, 16, v0
	v_lshlrev_b32_e32 v22, 1, v22
	v_mfma_f32_16x16x16f16 v[18:21], v[24:25], v[12:13], v[18:21]
	v_mov_b32_e32 v23, s3
	v_add_co_u32_e32 v89, vcc, s2, v22
	v_addc_co_u32_e32 v90, vcc, 0, v23, vcc
	v_add_co_u32_e32 v22, vcc, v89, v91
	s_waitcnt vmcnt(8)
	v_mfma_f32_16x16x16f16 v[18:21], v[34:35], v[50:51], v[18:21]
	v_addc_co_u32_e32 v23, vcc, 0, v90, vcc
	v_mfma_f32_16x16x16f16 v[76:79], v[36:37], v[52:53], v[18:21]
	s_waitcnt vmcnt(5)
	s_nop 7
	v_mad_i64_i32 v[18:19], s[2:3], v29, s1, 0
	v_lshlrev_b64 v[80:81], 1, v[18:19]
	v_mfma_f32_16x16x16f16 v[18:21], v[62:63], v[6:7], 0
	v_add_co_u32_e32 v6, vcc, v22, v80
	v_addc_co_u32_e32 v7, vcc, v23, v81, vcc
	global_load_dwordx4 v[46:49], v[6:7], off
	global_load_dwordx4 v[42:45], v[6:7], off offset:16
	v_pk_mul_f32 v[76:77], s[0:1], v[76:77] op_sel_hi:[0,1]
	v_pk_mul_f32 v[78:79], s[0:1], v[78:79] op_sel_hi:[0,1]
	s_waitcnt vmcnt(6)
	v_mad_i64_i32 v[6:7], s[2:3], v38, s1, 0
	v_lshlrev_b64 v[82:83], 1, v[6:7]
	v_mfma_f32_16x16x16f16 v[6:9], v[64:65], v[8:9], v[18:21]
	v_mfma_f32_16x16x16f16 v[6:9], v[14:15], v[2:3], v[6:9]
	s_nop 5
	v_add_co_u32_e32 v18, vcc, v22, v82
	v_addc_co_u32_e32 v19, vcc, v23, v83, vcc
	global_load_dwordx4 v[38:41], v[18:19], off
	global_load_dwordx4 v[34:37], v[18:19], off offset:16
	s_waitcnt vmcnt(7)
	v_mad_i64_i32 v[18:19], s[2:3], v30, s1, 0
	v_lshlrev_b64 v[64:65], 1, v[18:19]
	v_add_co_u32_e32 v2, vcc, v22, v64
	v_addc_co_u32_e32 v3, vcc, v23, v65, vcc
	global_load_dwordx4 v[30:33], v[2:3], off
	global_load_dwordx4 v[26:29], v[2:3], off offset:16
	v_mfma_f32_16x16x16f16 v[2:5], v[16:17], v[4:5], v[6:9]
	s_waitcnt vmcnt(8)
	v_mfma_f32_16x16x16f16 v[2:5], v[66:67], v[10:11], v[2:5]
	s_waitcnt vmcnt(7)
	s_nop 3
	v_mad_i64_i32 v[6:7], s[2:3], v88, s1, 0
	v_lshlrev_b64 v[62:63], 1, v[6:7]
	v_add_co_u32_e32 v6, vcc, v22, v62
	v_addc_co_u32_e32 v7, vcc, v23, v63, vcc
	v_mfma_f32_16x16x16f16 v[10:13], v[68:69], v[12:13], v[2:5]
	global_load_dwordx4 v[22:25], v[6:7], off
	global_load_dwordx4 v[18:21], v[6:7], off offset:16
	v_or_b32_e32 v6, 0x1000, v91
	v_add_co_u32_e32 v92, vcc, v89, v6
	v_addc_co_u32_e32 v93, vcc, 0, v90, vcc
	s_nop 1
	v_add_co_u32_e32 v2, vcc, v92, v80
	s_waitcnt vmcnt(8)
	v_mfma_f32_16x16x16f16 v[88:91], v[70:71], v[50:51], v[10:13]
	v_addc_co_u32_e32 v3, vcc, v93, v81, vcc
	v_add_co_u32_e32 v66, vcc, v92, v82
	v_addc_co_u32_e32 v67, vcc, v93, v83, vcc
	global_load_dwordx4 v[6:9], v[2:3], off
	s_nop 0
	global_load_dwordx4 v[2:5], v[2:3], off offset:16
	v_mfma_f32_16x16x16f16 v[50:53], v[72:73], v[52:53], v[88:91]
	global_load_dwordx4 v[14:17], v[66:67], off
	global_load_dwordx4 v[10:13], v[66:67], off offset:16
	v_pk_mul_f32 v[68:69], s[0:1], v[54:55] op_sel_hi:[0,1]
	v_pk_mul_f32 v[80:81], s[0:1], v[56:57] op_sel_hi:[0,1]
	;; [unrolled: 1-line block ×4, first 2 shown]
	s_nop 4
	v_pk_mul_f32 v[72:73], s[0:1], v[50:51] op_sel_hi:[0,1]
	v_and_b32_e32 v50, 0xc0, v0
	v_add_u32_e32 v50, s9, v50
	v_lshl_or_b32 v50, v1, 2, v50
	v_pk_mul_f32 v[66:67], s[0:1], v[52:53] op_sel_hi:[0,1]
	v_or_b32_e32 v53, 1, v50
	v_mov_b32_e32 v51, 0xff7fffff
	v_cmp_gt_i32_e64 s[28:29], s33, v50
	v_cmp_gt_i32_e64 s[30:31], s33, v53
	v_cndmask_b32_e64 v52, v51, v68, s[28:29]
	v_cndmask_b32_e64 v53, v51, v69, s[30:31]
	v_max3_f32 v52, v52, s41, v53
	v_or_b32_e32 v53, 2, v50
	v_or_b32_e32 v54, 3, v50
	v_cmp_gt_i32_e64 s[34:35], s33, v53
	v_cmp_gt_i32_e64 s[36:37], s33, v54
	v_cndmask_b32_e64 v53, v51, v80, s[34:35]
	v_cndmask_b32_e64 v54, v51, v81, s[36:37]
	v_max3_f32 v52, v52, v53, v54
	v_or_b32_e32 v53, 16, v50
	v_or_b32_e32 v54, 17, v50
	;; [unrolled: 7-line block ×7, first 2 shown]
	v_cmp_gt_i32_e32 vcc, s33, v53
	v_cmp_gt_i32_e64 s[0:1], s33, v50
	v_cndmask_b32_e32 v53, v51, v66, vcc
	v_cndmask_b32_e64 v50, v51, v67, s[0:1]
	v_max3_f32 v58, v52, v53, v50
	v_mbcnt_lo_u32_b32 v50, -1, 0
	v_mbcnt_hi_u32_b32 v59, -1, v50
	v_and_b32_e32 v50, 64, v59
	v_add_u32_e32 v60, 64, v50
	v_xor_b32_e32 v50, 32, v59
	v_cmp_lt_i32_e64 s[38:39], v50, v60
	v_cndmask_b32_e64 v50, v59, v50, s[38:39]
	v_lshlrev_b32_e32 v89, 2, v50
	ds_bpermute_b32 v61, v89, v58
	v_add_co_u32_e64 v50, s[38:39], v92, v64
	v_addc_co_u32_e64 v51, s[38:39], v93, v65, s[38:39]
	s_waitcnt lgkmcnt(0)
	v_max_f32_e32 v61, v61, v61
	v_max_f32_e32 v61, v58, v61
	v_xor_b32_e32 v58, 16, v59
	v_cmp_lt_i32_e64 s[38:39], v58, v60
	v_cndmask_b32_e64 v58, v59, v58, s[38:39]
	v_lshlrev_b32_e32 v90, 2, v58
	ds_bpermute_b32 v60, v90, v61
	v_add_co_u32_e64 v58, s[38:39], v92, v62
	v_addc_co_u32_e64 v59, s[38:39], v93, v63, s[38:39]
	s_waitcnt lgkmcnt(0)
	v_max_f32_e32 v60, v60, v60
	v_max_f32_e32 v88, v61, v60
	v_sub_f32_e32 v60, v68, v88
	v_mul_f32_e32 v60, 0x3fb8aa3b, v60
	v_exp_f32_e32 v68, v60
	v_sub_f32_e32 v60, v69, v88
	v_mul_f32_e32 v60, 0x3fb8aa3b, v60
	global_load_dwordx4 v[54:57], v[50:51], off
	s_nop 0
	global_load_dwordx4 v[50:53], v[50:51], off offset:16
	v_exp_f32_e32 v69, v60
	global_load_dwordx4 v[62:65], v[58:59], off
	s_nop 0
	global_load_dwordx4 v[58:61], v[58:59], off offset:16
	v_sub_f32_e32 v80, v80, v88
	v_mul_f32_e32 v80, 0x3fb8aa3b, v80
	v_sub_f32_e32 v81, v81, v88
	v_exp_f32_e32 v80, v80
	v_mul_f32_e32 v81, 0x3fb8aa3b, v81
	v_sub_f32_e32 v70, v70, v88
	v_exp_f32_e32 v81, v81
	v_mul_f32_e32 v70, 0x3fb8aa3b, v70
	v_sub_f32_e32 v71, v71, v88
	v_cndmask_b32_e64 v68, 0, v68, s[28:29]
	v_exp_f32_e32 v70, v70
	v_mul_f32_e32 v71, 0x3fb8aa3b, v71
	v_sub_f32_e32 v82, v82, v88
	v_add_f32_e32 v91, 0, v68
	v_cndmask_b32_e64 v69, 0, v69, s[30:31]
	v_exp_f32_e32 v71, v71
	v_mul_f32_e32 v82, 0x3fb8aa3b, v82
	v_sub_f32_e32 v83, v83, v88
	v_add_f32_e32 v91, v91, v69
	;; [unrolled: 5-line block ×10, first 2 shown]
	v_cndmask_b32_e64 v78, 0, v78, s[10:11]
	v_exp_f32_e32 v66, v66
	v_mul_f32_e32 v67, 0x3fb8aa3b, v67
	v_add_f32_e32 v91, v91, v78
	v_cndmask_b32_e64 v79, 0, v79, s[12:13]
	v_exp_f32_e32 v67, v67
	v_add_f32_e32 v91, v91, v79
	v_cndmask_b32_e64 v72, 0, v72, s[2:3]
	v_add_f32_e32 v91, v91, v72
	v_cndmask_b32_e64 v73, 0, v73, s[8:9]
	v_add_f32_e32 v91, v91, v73
	v_cndmask_b32_e32 v66, 0, v66, vcc
	v_add_f32_e32 v91, v91, v66
	v_cndmask_b32_e64 v67, 0, v67, s[0:1]
	v_add_f32_e32 v91, v91, v67
	ds_bpermute_b32 v89, v89, v91
	v_cmp_gt_u32_e64 s[0:1], 16, v86
	s_waitcnt lgkmcnt(0)
	s_barrier
	v_add_f32_e32 v89, v91, v89
	ds_bpermute_b32 v90, v90, v89
	s_and_saveexec_b64 s[2:3], s[0:1]
	s_cbranch_execz .LBB176_15
; %bb.14:
	s_waitcnt lgkmcnt(0)
	v_add_f32_e32 v86, v89, v90
	v_lshlrev_b32_e32 v87, 2, v87
	ds_write2st64_b32 v87, v88, v86 offset1:1
.LBB176_15:
	s_or_b64 exec, exec, s[2:3]
	v_lshlrev_b32_e32 v87, 2, v84
	s_load_dword s8, s[4:5], 0x94
	s_waitcnt lgkmcnt(0)
	s_barrier
	ds_read2_b32 v[88:89], v87 offset1:16
	ds_read2_b32 v[90:91], v87 offset0:32 offset1:48
	ds_read2_b32 v[92:93], v87 offset0:64 offset1:80
	s_mul_i32 s9, s40, 5
	s_waitcnt lgkmcnt(2)
	v_max3_f32 v86, v88, s41, v89
	s_waitcnt lgkmcnt(1)
	v_max3_f32 v86, v86, v90, v91
	v_sub_f32_e32 v88, v88, v86
	v_mul_f32_e32 v88, 0x3fb8aa3b, v88
	v_exp_f32_e32 v94, v88
	v_sub_f32_e32 v88, v89, v86
	v_mul_f32_e32 v88, 0x3fb8aa3b, v88
	v_exp_f32_e32 v95, v88
	;; [unrolled: 3-line block ×3, first 2 shown]
	ds_read2_b32 v[88:89], v87 offset0:96 offset1:112
	v_sub_f32_e32 v87, v91, v86
	v_mul_f32_e32 v87, 0x3fb8aa3b, v87
	v_exp_f32_e32 v91, v87
	s_waitcnt lgkmcnt(1)
	v_fma_f32 v87, v94, v92, 0
	v_fmac_f32_e32 v87, v95, v93
	s_waitcnt lgkmcnt(0)
	v_fmac_f32_e32 v87, v90, v88
	v_fmac_f32_e32 v87, v91, v89
	v_add_f32_e32 v88, 0x358637bd, v87
	v_div_scale_f32 v89, s[2:3], v88, v88, 1.0
	v_rcp_f32_e32 v92, v89
	s_barrier
	v_fma_f32 v93, -v89, v92, 1.0
	v_fmac_f32_e32 v92, v93, v92
	v_div_scale_f32 v93, vcc, 1.0, v88, 1.0
	v_mul_f32_e32 v74, v93, v92
	v_fma_f32 v75, -v89, v74, v93
	v_fmac_f32_e32 v74, v75, v92
	v_fma_f32 v75, -v89, v74, v93
	v_div_fmas_f32 v74, v75, v92, v74
	v_cmp_eq_u32_e32 vcc, 1, v85
	v_cndmask_b32_e32 v75, v94, v95, vcc
	v_cmp_eq_u32_e32 vcc, 2, v85
	v_cndmask_b32_e32 v75, v75, v90, vcc
	v_cmp_eq_u32_e32 vcc, 3, v85
	v_div_fixup_f32 v74, v74, v88, 1.0
	v_cndmask_b32_e32 v75, v75, v91, vcc
	v_mul_f32_e32 v88, v75, v74
	v_pk_mul_f32 v[80:81], v[88:89], v[80:81] op_sel_hi:[0,1]
	v_cvt_f16_f32_e32 v74, v80
	v_cvt_f16_f32_e32 v75, v81
	v_pk_mul_f32 v[68:69], v[88:89], v[68:69] op_sel_hi:[0,1]
	v_cvt_f16_f32_e32 v68, v68
	v_cvt_f16_f32_e32 v69, v69
	v_pk_mul_f32 v[80:81], v[88:89], v[82:83] op_sel_hi:[0,1]
	v_pk_mul_f32 v[70:71], v[88:89], v[70:71] op_sel_hi:[0,1]
	v_pack_b32_f16 v91, v74, v75
	v_cvt_f16_f32_e32 v70, v70
	v_cvt_f16_f32_e32 v71, v71
	;; [unrolled: 1-line block ×4, first 2 shown]
	v_pack_b32_f16 v90, v68, v69
	v_lshlrev_b32_e32 v69, 3, v1
	v_lshlrev_b32_e32 v68, 5, v84
	;; [unrolled: 1-line block ×3, first 2 shown]
	v_or3_b32 v80, v80, v68, v69
	v_pack_b32_f16 v70, v70, v71
	v_pack_b32_f16 v71, v74, v75
	ds_write2st64_b64 v80, v[90:91], v[70:71] offset1:1
	v_pk_mul_f32 v[70:71], v[88:89], v[78:79] op_sel_hi:[0,1]
	v_pk_mul_f32 v[76:77], v[88:89], v[76:77] op_sel_hi:[0,1]
	v_cvt_f16_f32_e32 v69, v76
	v_cvt_f16_f32_e32 v75, v70
	;; [unrolled: 1-line block ×3, first 2 shown]
	v_pk_mul_f32 v[66:67], v[88:89], v[66:67] op_sel_hi:[0,1]
	v_pk_mul_f32 v[70:71], v[88:89], v[72:73] op_sel_hi:[0,1]
	v_cvt_f16_f32_e32 v74, v77
	v_cvt_f16_f32_e32 v70, v70
	;; [unrolled: 1-line block ×5, first 2 shown]
	v_pack_b32_f16 v66, v69, v74
	v_pack_b32_f16 v67, v75, v76
	;; [unrolled: 1-line block ×4, first 2 shown]
	v_cmp_gt_u32_e32 vcc, 5, v0
	ds_write2st64_b64 v80, v[66:67], v[70:71] offset0:2 offset1:3
	s_and_saveexec_b64 s[2:3], vcc
	s_cbranch_execz .LBB176_17
; %bb.16:
	v_add_co_u32_e32 v70, vcc, s27, v84
	v_addc_co_u32_e64 v71, s[10:11], 0, 0, vcc
	v_mov_b32_e32 v66, s9
	v_mov_b32_e32 v67, 0
	v_mad_u64_u32 v[70:71], s[10:11], s6, v66, v[70:71]
	v_mov_b32_e32 v66, s26
	s_load_dwordx4 s[12:15], s[4:5], 0x58
	s_mul_i32 s7, s7, s9
	v_mad_u64_u32 v[66:67], s[10:11], v70, s8, v[66:67]
	v_add_u32_e32 v69, s7, v71
	v_mov_b32_e32 v70, v67
	v_mad_u64_u32 v[70:71], s[10:11], v69, s8, v[70:71]
	v_mov_b32_e32 v67, v70
	v_lshlrev_b64 v[66:67], 2, v[66:67]
	s_waitcnt lgkmcnt(0)
	v_mov_b32_e32 v69, s15
	v_add_co_u32_e32 v70, vcc, s14, v66
	v_addc_co_u32_e32 v71, vcc, v69, v67, vcc
	v_mov_b32_e32 v69, s13
	v_add_co_u32_e32 v66, vcc, s12, v66
	v_addc_co_u32_e32 v67, vcc, v69, v67, vcc
	global_store_dword v[70:71], v86, off
	global_store_dword v[66:67], v87, off
.LBB176_17:
	s_or_b64 exec, exec, s[2:3]
	v_lshl_or_b32 v74, v1, 9, v68
	s_waitcnt lgkmcnt(0)
	s_barrier
	ds_read_b128 v[70:73], v74
	ds_read_b128 v[66:69], v74 offset:16
	s_waitcnt vmcnt(15) lgkmcnt(1)
	v_mfma_f32_16x16x16f16 v[76:79], v[46:47], v[70:71], 0
	s_mov_b32 s3, 0
	v_cmp_gt_u32_e32 vcc, 64, v0
	v_mfma_f32_16x16x16f16 v[46:49], v[48:49], v[72:73], v[76:79]
	s_waitcnt vmcnt(14) lgkmcnt(0)
	v_mfma_f32_16x16x16f16 v[46:49], v[42:43], v[66:67], v[46:49]
	v_mfma_f32_16x16x16f16 v[42:45], v[44:45], v[68:69], v[46:49]
	s_nop 7
	s_nop 1
	ds_read_b128 v[46:49], v74 offset:2048
	ds_read_b128 v[76:79], v74 offset:2064
	s_waitcnt vmcnt(13) lgkmcnt(1)
	v_mfma_f32_16x16x16f16 v[42:45], v[38:39], v[46:47], v[42:45]
	v_mfma_f32_16x16x16f16 v[38:41], v[40:41], v[48:49], v[42:45]
	s_waitcnt vmcnt(12) lgkmcnt(0)
	v_mfma_f32_16x16x16f16 v[38:41], v[34:35], v[76:77], v[38:41]
	v_mfma_f32_16x16x16f16 v[34:37], v[36:37], v[78:79], v[38:41]
	s_nop 7
	s_nop 1
	ds_read_b128 v[38:41], v74 offset:4096
	ds_read_b128 v[42:45], v74 offset:4112
	s_waitcnt vmcnt(11) lgkmcnt(1)
	v_mfma_f32_16x16x16f16 v[34:37], v[30:31], v[38:39], v[34:37]
	v_mfma_f32_16x16x16f16 v[30:33], v[32:33], v[40:41], v[34:37]
	s_waitcnt vmcnt(10) lgkmcnt(0)
	v_mfma_f32_16x16x16f16 v[30:33], v[26:27], v[42:43], v[30:33]
	v_mfma_f32_16x16x16f16 v[26:29], v[28:29], v[44:45], v[30:33]
	s_nop 7
	s_nop 1
	ds_read_b128 v[30:33], v74 offset:6144
	ds_read_b128 v[34:37], v74 offset:6160
	s_waitcnt lgkmcnt(0)
	s_barrier
	s_waitcnt vmcnt(9)
	v_mfma_f32_16x16x16f16 v[26:29], v[22:23], v[30:31], v[26:29]
	v_mfma_f32_16x16x16f16 v[22:25], v[24:25], v[32:33], v[26:29]
	s_waitcnt vmcnt(8)
	v_mfma_f32_16x16x16f16 v[22:25], v[18:19], v[34:35], v[22:25]
	v_mfma_f32_16x16x16f16 v[18:21], v[20:21], v[36:37], v[22:25]
	;; [unrolled: 3-line block ×4, first 2 shown]
	s_waitcnt vmcnt(5)
	v_mfma_f32_16x16x16f16 v[2:5], v[14:15], v[46:47], v[2:5]
	s_nop 7
	v_cvt_f16_f32_e32 v6, v18
	v_cvt_f16_f32_e32 v7, v19
	v_cvt_f16_f32_e32 v8, v20
	v_cvt_f16_f32_e32 v9, v21
	v_mfma_f32_16x16x16f16 v[2:5], v[16:17], v[48:49], v[2:5]
	s_waitcnt vmcnt(4)
	v_mfma_f32_16x16x16f16 v[2:5], v[10:11], v[76:77], v[2:5]
	v_mfma_f32_16x16x16f16 v[2:5], v[12:13], v[78:79], v[2:5]
	s_waitcnt vmcnt(3)
	v_mfma_f32_16x16x16f16 v[2:5], v[54:55], v[38:39], v[2:5]
	;; [unrolled: 3-line block ×5, first 2 shown]
	v_mfma_f32_16x16x16f16 v[2:5], v[60:61], v[36:37], v[2:5]
	s_nop 7
	s_nop 2
	v_cvt_f16_f32_e32 v10, v2
	v_cvt_f16_f32_e32 v11, v3
	;; [unrolled: 1-line block ×4, first 2 shown]
	v_pack_b32_f16 v2, v6, v7
	v_pack_b32_f16 v3, v8, v9
	;; [unrolled: 1-line block ×4, first 2 shown]
	ds_write2st64_b64 v80, v[2:3], v[4:5] offset1:1
	s_waitcnt lgkmcnt(0)
	s_barrier
	s_and_saveexec_b64 s[10:11], vcc
	s_cbranch_execz .LBB176_20
; %bb.18:
	v_lshlrev_b32_e32 v4, 6, v84
	v_lshlrev_b32_e32 v3, 4, v0
	v_lshl_or_b32 v0, v0, 10, v4
	buffer_load_dword v4, off, s[44:47], 0  ; 4-byte Folded Reload
	buffer_load_dword v5, off, s[44:47], 0 offset:4 ; 4-byte Folded Reload
	s_load_dwordx2 s[10:11], s[4:5], 0x68
	s_lshl_b32 s4, s8, 7
	s_mul_i32 s2, s9, s6
	s_mul_hi_u32 s7, s2, s4
	s_mul_i32 s6, s2, s4
	s_lshl_b64 s[6:7], s[6:7], 1
	s_waitcnt lgkmcnt(0)
	s_add_u32 s5, s10, s6
	s_addc_u32 s6, s11, s7
	s_lshl_b32 s2, s26, 7
	s_lshl_b64 s[2:3], s[2:3], 1
	s_add_u32 s2, s5, s2
	v_lshlrev_b32_e32 v2, 5, v1
	v_and_b32_e32 v3, 16, v3
	v_and_b32_e32 v0, 0x1a00, v0
	s_addc_u32 s3, s6, s3
	v_or3_b32 v0, v0, v2, v3
	v_mov_b32_e32 v3, s3
	v_add_u32_e32 v8, s27, v1
	s_waitcnt vmcnt(1)
	v_add_co_u32_e32 v2, vcc, s2, v4
	s_waitcnt vmcnt(0)
	v_addc_co_u32_e32 v3, vcc, v3, v5, vcc
	ds_read_b128 v[4:7], v0
	v_mad_u64_u32 v[8:9], s[2:3], v8, s4, 0
	v_lshlrev_b64 v[8:9], 1, v[8:9]
	v_add_co_u32_e32 v8, vcc, v2, v8
	v_addc_co_u32_e32 v9, vcc, v3, v9, vcc
	s_waitcnt lgkmcnt(0)
	global_store_dwordx4 v[8:9], v[4:7], off
	s_and_b64 exec, exec, s[0:1]
	s_cbranch_execz .LBB176_20
; %bb.19:
	ds_read_b128 v[4:7], v0 offset:128
	v_add3_u32 v0, s27, v1, 4
	v_mad_u64_u32 v[0:1], s[0:1], v0, s4, 0
	v_lshlrev_b64 v[0:1], 1, v[0:1]
	v_add_co_u32_e32 v0, vcc, v2, v0
	v_addc_co_u32_e32 v1, vcc, v3, v1, vcc
	s_waitcnt lgkmcnt(0)
	global_store_dwordx4 v[0:1], v[4:7], off
.LBB176_20:
	s_endpgm
	.section	.rodata,"a",@progbits
	.p2align	6, 0x0
	.amdhsa_kernel _Z39paged_attention_ll4mi_QKV_mfma16_kernelIDF16_DF16_LN4vllm18Fp8KVCacheDataTypeE0EDF16_Li32ELi128ELi256ELb0ELi5EL8MFMAType0EEvPKT_PKT0_S8_ifPKiSA_SA_iPKfiiiPfSD_PS3_PT2_iSC_SC_
		.amdhsa_group_segment_fixed_size 8192
		.amdhsa_private_segment_fixed_size 12
		.amdhsa_kernarg_size 400
		.amdhsa_user_sgpr_count 6
		.amdhsa_user_sgpr_private_segment_buffer 1
		.amdhsa_user_sgpr_dispatch_ptr 0
		.amdhsa_user_sgpr_queue_ptr 0
		.amdhsa_user_sgpr_kernarg_segment_ptr 1
		.amdhsa_user_sgpr_dispatch_id 0
		.amdhsa_user_sgpr_flat_scratch_init 0
		.amdhsa_user_sgpr_kernarg_preload_length 0
		.amdhsa_user_sgpr_kernarg_preload_offset 0
		.amdhsa_user_sgpr_private_segment_size 0
		.amdhsa_uses_dynamic_stack 0
		.amdhsa_system_sgpr_private_segment_wavefront_offset 1
		.amdhsa_system_sgpr_workgroup_id_x 1
		.amdhsa_system_sgpr_workgroup_id_y 1
		.amdhsa_system_sgpr_workgroup_id_z 1
		.amdhsa_system_sgpr_workgroup_info 0
		.amdhsa_system_vgpr_workitem_id 0
		.amdhsa_next_free_vgpr 96
		.amdhsa_next_free_sgpr 48
		.amdhsa_accum_offset 96
		.amdhsa_reserve_vcc 1
		.amdhsa_reserve_flat_scratch 0
		.amdhsa_float_round_mode_32 0
		.amdhsa_float_round_mode_16_64 0
		.amdhsa_float_denorm_mode_32 3
		.amdhsa_float_denorm_mode_16_64 3
		.amdhsa_dx10_clamp 1
		.amdhsa_ieee_mode 1
		.amdhsa_fp16_overflow 0
		.amdhsa_tg_split 0
		.amdhsa_exception_fp_ieee_invalid_op 0
		.amdhsa_exception_fp_denorm_src 0
		.amdhsa_exception_fp_ieee_div_zero 0
		.amdhsa_exception_fp_ieee_overflow 0
		.amdhsa_exception_fp_ieee_underflow 0
		.amdhsa_exception_fp_ieee_inexact 0
		.amdhsa_exception_int_div_zero 0
	.end_amdhsa_kernel
	.section	.text._Z39paged_attention_ll4mi_QKV_mfma16_kernelIDF16_DF16_LN4vllm18Fp8KVCacheDataTypeE0EDF16_Li32ELi128ELi256ELb0ELi5EL8MFMAType0EEvPKT_PKT0_S8_ifPKiSA_SA_iPKfiiiPfSD_PS3_PT2_iSC_SC_,"axG",@progbits,_Z39paged_attention_ll4mi_QKV_mfma16_kernelIDF16_DF16_LN4vllm18Fp8KVCacheDataTypeE0EDF16_Li32ELi128ELi256ELb0ELi5EL8MFMAType0EEvPKT_PKT0_S8_ifPKiSA_SA_iPKfiiiPfSD_PS3_PT2_iSC_SC_,comdat
.Lfunc_end176:
	.size	_Z39paged_attention_ll4mi_QKV_mfma16_kernelIDF16_DF16_LN4vllm18Fp8KVCacheDataTypeE0EDF16_Li32ELi128ELi256ELb0ELi5EL8MFMAType0EEvPKT_PKT0_S8_ifPKiSA_SA_iPKfiiiPfSD_PS3_PT2_iSC_SC_, .Lfunc_end176-_Z39paged_attention_ll4mi_QKV_mfma16_kernelIDF16_DF16_LN4vllm18Fp8KVCacheDataTypeE0EDF16_Li32ELi128ELi256ELb0ELi5EL8MFMAType0EEvPKT_PKT0_S8_ifPKiSA_SA_iPKfiiiPfSD_PS3_PT2_iSC_SC_
                                        ; -- End function
	.section	.AMDGPU.csdata,"",@progbits
; Kernel info:
; codeLenInByte = 4796
; NumSgprs: 52
; NumVgprs: 96
; NumAgprs: 0
; TotalNumVgprs: 96
; ScratchSize: 12
; MemoryBound: 0
; FloatMode: 240
; IeeeMode: 1
; LDSByteSize: 8192 bytes/workgroup (compile time only)
; SGPRBlocks: 6
; VGPRBlocks: 11
; NumSGPRsForWavesPerEU: 52
; NumVGPRsForWavesPerEU: 96
; AccumOffset: 96
; Occupancy: 5
; WaveLimiterHint : 1
; COMPUTE_PGM_RSRC2:SCRATCH_EN: 1
; COMPUTE_PGM_RSRC2:USER_SGPR: 6
; COMPUTE_PGM_RSRC2:TRAP_HANDLER: 0
; COMPUTE_PGM_RSRC2:TGID_X_EN: 1
; COMPUTE_PGM_RSRC2:TGID_Y_EN: 1
; COMPUTE_PGM_RSRC2:TGID_Z_EN: 1
; COMPUTE_PGM_RSRC2:TIDIG_COMP_CNT: 0
; COMPUTE_PGM_RSRC3_GFX90A:ACCUM_OFFSET: 23
; COMPUTE_PGM_RSRC3_GFX90A:TG_SPLIT: 0
	.section	.text._Z39paged_attention_ll4mi_QKV_mfma16_kernelIDF16_DF16_LN4vllm18Fp8KVCacheDataTypeE0EDF16_Li32ELi128ELi256ELb0ELi6EL8MFMAType0EEvPKT_PKT0_S8_ifPKiSA_SA_iPKfiiiPfSD_PS3_PT2_iSC_SC_,"axG",@progbits,_Z39paged_attention_ll4mi_QKV_mfma16_kernelIDF16_DF16_LN4vllm18Fp8KVCacheDataTypeE0EDF16_Li32ELi128ELi256ELb0ELi6EL8MFMAType0EEvPKT_PKT0_S8_ifPKiSA_SA_iPKfiiiPfSD_PS3_PT2_iSC_SC_,comdat
	.protected	_Z39paged_attention_ll4mi_QKV_mfma16_kernelIDF16_DF16_LN4vllm18Fp8KVCacheDataTypeE0EDF16_Li32ELi128ELi256ELb0ELi6EL8MFMAType0EEvPKT_PKT0_S8_ifPKiSA_SA_iPKfiiiPfSD_PS3_PT2_iSC_SC_ ; -- Begin function _Z39paged_attention_ll4mi_QKV_mfma16_kernelIDF16_DF16_LN4vllm18Fp8KVCacheDataTypeE0EDF16_Li32ELi128ELi256ELb0ELi6EL8MFMAType0EEvPKT_PKT0_S8_ifPKiSA_SA_iPKfiiiPfSD_PS3_PT2_iSC_SC_
	.globl	_Z39paged_attention_ll4mi_QKV_mfma16_kernelIDF16_DF16_LN4vllm18Fp8KVCacheDataTypeE0EDF16_Li32ELi128ELi256ELb0ELi6EL8MFMAType0EEvPKT_PKT0_S8_ifPKiSA_SA_iPKfiiiPfSD_PS3_PT2_iSC_SC_
	.p2align	8
	.type	_Z39paged_attention_ll4mi_QKV_mfma16_kernelIDF16_DF16_LN4vllm18Fp8KVCacheDataTypeE0EDF16_Li32ELi128ELi256ELb0ELi6EL8MFMAType0EEvPKT_PKT0_S8_ifPKiSA_SA_iPKfiiiPfSD_PS3_PT2_iSC_SC_,@function
_Z39paged_attention_ll4mi_QKV_mfma16_kernelIDF16_DF16_LN4vllm18Fp8KVCacheDataTypeE0EDF16_Li32ELi128ELi256ELb0ELi6EL8MFMAType0EEvPKT_PKT0_S8_ifPKiSA_SA_iPKfiiiPfSD_PS3_PT2_iSC_SC_: ; @_Z39paged_attention_ll4mi_QKV_mfma16_kernelIDF16_DF16_LN4vllm18Fp8KVCacheDataTypeE0EDF16_Li32ELi128ELi256ELb0ELi6EL8MFMAType0EEvPKT_PKT0_S8_ifPKiSA_SA_iPKfiiiPfSD_PS3_PT2_iSC_SC_
; %bb.0:
	s_mov_b64 s[46:47], s[2:3]
	s_mov_b64 s[44:45], s[0:1]
	s_load_dwordx2 s[0:1], s[4:5], 0x30
	s_add_u32 s44, s44, s9
	s_addc_u32 s45, s45, 0
	s_mov_b32 s26, s7
	s_mov_b64 s[10:11], 0
	s_waitcnt lgkmcnt(0)
	s_cmp_lg_u64 s[0:1], 0
	s_cselect_b64 s[2:3], -1, 0
	s_and_b64 vcc, exec, s[2:3]
	s_cbranch_vccz .LBB177_7
; %bb.1:
	s_add_i32 s12, s6, 1
	s_mov_b32 s13, 0
	s_lshl_b64 s[14:15], s[12:13], 2
	s_add_u32 s14, s0, s14
	s_mov_b32 s7, s13
	s_addc_u32 s15, s1, s15
	s_lshl_b64 s[12:13], s[6:7], 2
	s_add_u32 s12, s0, s12
	s_addc_u32 s13, s1, s13
	s_load_dword s9, s[14:15], 0x0
	s_load_dword s16, s[12:13], 0x0
	s_waitcnt lgkmcnt(0)
	s_sub_i32 s9, s9, s16
	s_cmp_eq_u32 s9, 1
	s_cselect_b64 s[12:13], -1, 0
	s_andn2_b64 vcc, exec, s[10:11]
	s_cbranch_vccnz .LBB177_3
.LBB177_2:
	s_mov_b32 s7, 0
	s_mov_b64 s[12:13], -1
.LBB177_3:
	s_andn2_b64 vcc, exec, s[12:13]
	s_cbranch_vccnz .LBB177_20
; %bb.4:
	s_load_dwordx2 s[12:13], s[4:5], 0x28
	s_lshl_b64 s[10:11], s[6:7], 2
	s_waitcnt lgkmcnt(0)
	s_add_u32 s12, s12, s10
	s_addc_u32 s13, s13, s11
	s_load_dword s33, s[12:13], 0x0
	s_lshl_b32 s9, s26, 8
	s_waitcnt lgkmcnt(0)
	s_cmp_ge_i32 s9, s33
	s_cbranch_scc1 .LBB177_20
; %bb.5:
	s_add_i32 s15, s33, 31
	s_load_dwordx2 s[12:13], s[4:5], 0x20
	s_load_dword s14, s[4:5], 0x38
	s_ashr_i32 s16, s15, 31
	v_and_b32_e32 v1, 0xcf, v0
	s_lshr_b32 s16, s16, 27
	v_add_u32_e32 v1, s9, v1
	s_add_i32 s15, s15, s16
	v_ashrrev_i32_e32 v2, 31, v1
	s_ashr_i32 s18, s15, 5
	v_lshrrev_b32_e32 v10, 27, v2
	s_add_i32 s18, s18, -1
	v_add_u32_e32 v2, v1, v10
	s_waitcnt lgkmcnt(0)
	s_mul_i32 s14, s6, s14
	s_mov_b32 s15, 0
	v_ashrrev_i32_e32 v2, 5, v2
	v_mov_b32_e32 v11, s18
	v_cmp_gt_i32_e32 vcc, s33, v1
	s_lshl_b64 s[14:15], s[14:15], 2
	v_cndmask_b32_e32 v2, v11, v2, vcc
	s_add_u32 s16, s12, s14
	v_ashrrev_i32_e32 v3, 31, v2
	s_addc_u32 s17, s13, s15
	v_lshlrev_b64 v[2:3], 2, v[2:3]
	v_mov_b32_e32 v4, s17
	v_add_co_u32_e32 v2, vcc, s16, v2
	v_addc_co_u32_e32 v3, vcc, v4, v3, vcc
	v_or_b32_e32 v4, 16, v1
	v_add_u32_e32 v5, v4, v10
	v_ashrrev_i32_e32 v5, 5, v5
	v_cmp_gt_i32_e32 vcc, s33, v4
	v_cndmask_b32_e32 v4, v11, v5, vcc
	v_ashrrev_i32_e32 v5, 31, v4
	v_lshlrev_b64 v[4:5], 2, v[4:5]
	v_mov_b32_e32 v7, s17
	v_add_co_u32_e32 v6, vcc, s16, v4
	v_or_b32_e32 v4, 32, v1
	v_addc_co_u32_e32 v7, vcc, v7, v5, vcc
	v_add_u32_e32 v5, v4, v10
	v_ashrrev_i32_e32 v5, 5, v5
	v_cmp_gt_i32_e32 vcc, s33, v4
	v_cndmask_b32_e32 v4, v11, v5, vcc
	v_ashrrev_i32_e32 v5, 31, v4
	v_lshlrev_b64 v[4:5], 2, v[4:5]
	v_mov_b32_e32 v9, s17
	v_add_co_u32_e32 v8, vcc, s16, v4
	v_or_b32_e32 v1, 48, v1
	v_addc_co_u32_e32 v9, vcc, v9, v5, vcc
	v_add_u32_e32 v4, v1, v10
	v_ashrrev_i32_e32 v4, 5, v4
	v_cmp_gt_i32_e32 vcc, s33, v1
	v_cndmask_b32_e32 v4, v11, v4, vcc
	v_ashrrev_i32_e32 v5, 31, v4
	v_lshlrev_b64 v[4:5], 2, v[4:5]
	v_mov_b32_e32 v1, s17
	v_add_co_u32_e32 v10, vcc, s16, v4
	v_addc_co_u32_e32 v11, vcc, v1, v5, vcc
	global_load_dword v5, v[2:3], off
	global_load_dword v4, v[6:7], off
	;; [unrolled: 1-line block ×4, first 2 shown]
	s_andn2_b64 vcc, exec, s[2:3]
	s_cbranch_vccnz .LBB177_8
; %bb.6:
	s_add_u32 s0, s0, s10
	s_addc_u32 s1, s1, s11
	s_load_dword s19, s[0:1], 0x0
	s_branch .LBB177_9
.LBB177_7:
	s_mov_b64 s[12:13], 0
	s_branch .LBB177_2
.LBB177_8:
	s_mov_b32 s19, s6
.LBB177_9:
	s_load_dwordx4 s[12:15], s[4:5], 0x8
	s_load_dwordx4 s[0:3], s[4:5], 0x48
	v_lshrrev_b32_e32 v85, 6, v0
	v_bfe_u32 v1, v0, 4, 2
	v_lshl_or_b32 v6, v85, 2, v1
	v_and_b32_e32 v84, 15, v0
	v_lshlrev_b32_e32 v2, 3, v84
	v_cmp_lt_u32_e32 vcc, 5, v6
	s_and_saveexec_b64 s[10:11], vcc
	s_xor_b64 s[10:11], exec, s[10:11]
; %bb.10:
	v_mov_b32_e32 v3, 0
                                        ; implicit-def: $vgpr6
; %bb.11:
	s_or_saveexec_b64 s[10:11], s[10:11]
	v_and_b32_e32 v86, 63, v0
	s_mul_i32 s27, s8, 6
	s_xor_b64 exec, exec, s[10:11]
	s_cbranch_execz .LBB177_13
; %bb.12:
	s_load_dwordx2 s[20:21], s[4:5], 0x0
	s_waitcnt lgkmcnt(0)
	s_ashr_i32 s3, s0, 31
	s_mul_hi_u32 s22, s19, s0
	s_mul_i32 s3, s19, s3
	s_add_i32 s23, s22, s3
	s_mul_i32 s22, s19, s0
	s_lshl_b64 s[22:23], s[22:23], 1
	v_add_lshl_u32 v8, v6, s27, 7
	s_add_u32 s0, s20, s22
	v_ashrrev_i32_e32 v9, 31, v8
	s_addc_u32 s3, s21, s23
	v_lshlrev_b64 v[8:9], 1, v[8:9]
	v_mov_b32_e32 v3, s3
	v_add_co_u32_e32 v7, vcc, s0, v8
	v_addc_co_u32_e32 v3, vcc, v3, v9, vcc
	v_lshlrev_b32_e32 v8, 1, v2
	v_add_co_u32_e32 v8, vcc, v7, v8
	v_addc_co_u32_e32 v9, vcc, 0, v3, vcc
	global_load_dwordx4 v[8:11], v[8:9], off
	v_and_b32_e32 v7, 3, v0
	v_lshlrev_b32_e32 v12, 9, v84
	v_lshlrev_b32_e32 v6, 5, v6
	;; [unrolled: 1-line block ×3, first 2 shown]
	v_and_b32_e32 v12, 0x1800, v12
	v_mov_b32_e32 v3, 0
	v_or3_b32 v6, v12, v7, v6
	s_waitcnt vmcnt(0)
	ds_write_b128 v6, v[8:11]
.LBB177_13:
	s_or_b64 exec, exec, s[10:11]
	s_waitcnt lgkmcnt(0)
	s_mul_i32 s2, s8, s2
	s_mov_b32 s3, 0
	s_lshl_b64 s[2:3], s[2:3], 1
	s_add_u32 s8, s12, s2
	s_addc_u32 s10, s13, s3
	s_waitcnt vmcnt(3)
	v_mad_i64_i32 v[6:7], s[12:13], v5, s1, 0
	v_lshlrev_b64 v[6:7], 1, v[6:7]
	v_mov_b32_e32 v5, s10
	v_add_co_u32_e32 v6, vcc, s8, v6
	v_addc_co_u32_e32 v5, vcc, v5, v7, vcc
	v_lshlrev_b64 v[50:51], 1, v[2:3]
	v_add_co_u32_e32 v27, vcc, v6, v50
	v_lshlrev_b32_e32 v26, 9, v1
	v_addc_co_u32_e32 v28, vcc, v5, v51, vcc
	v_add_co_u32_e32 v2, vcc, v27, v26
	s_waitcnt vmcnt(2)
	v_mad_i64_i32 v[4:5], s[12:13], v4, s1, 0
	v_addc_co_u32_e32 v3, vcc, 0, v28, vcc
	v_lshlrev_b64 v[4:5], 1, v[4:5]
	v_mov_b32_e32 v6, s10
	v_add_co_u32_e32 v4, vcc, s8, v4
	s_load_dword s40, s[4:5], 0x98
	s_load_dword s0, s[4:5], 0x1c
	s_waitcnt lgkmcnt(0)
	s_barrier
	global_load_dwordx4 v[10:13], v[2:3], off
	global_load_dwordx4 v[14:17], v[2:3], off offset:2048
	v_addc_co_u32_e32 v5, vcc, v6, v5, vcc
	v_mov_b32_e32 v6, 0x100
	v_lshl_or_b32 v29, v84, 4, v6
	v_add_co_u32_e32 v31, vcc, v4, v29
	v_addc_co_u32_e32 v32, vcc, 0, v5, vcc
	v_add_co_u32_e32 v22, vcc, v31, v26
	v_addc_co_u32_e32 v23, vcc, 0, v32, vcc
	global_load_dwordx4 v[18:21], v[22:23], off
	v_mul_lo_u16_e32 v4, 43, v84
	v_mov_b32_e32 v2, 6
	v_mul_lo_u16_sdwa v2, v4, v2 dst_sel:DWORD dst_unused:UNUSED_PAD src0_sel:BYTE_1 src1_sel:DWORD
	v_sub_u16_e32 v2, v84, v2
	v_and_b32_e32 v2, 0xff, v2
	v_lshl_add_u32 v30, v2, 5, v26
	ds_read_b128 v[6:9], v30
	ds_read_b128 v[2:5], v30 offset:2048
	v_or_b32_e32 v54, 0x1000, v26
	global_load_dwordx4 v[38:41], v[22:23], off offset:2048
	v_or_b32_e32 v70, 0x1800, v26
	s_ashr_i32 s11, s9, 31
	v_and_or_b32 v66, v0, 48, s9
	v_lshl_or_b32 v87, v85, 4, v84
	v_lshlrev_b32_e32 v91, 6, v87
	s_mov_b32 s41, 0xff7fffff
	s_waitcnt vmcnt(3) lgkmcnt(1)
	v_mfma_f32_16x16x16f16 v[34:37], v[10:11], v[6:7], 0
	s_waitcnt vmcnt(1)
	v_mfma_f32_16x16x16f16 v[42:45], v[18:19], v[6:7], 0
	v_add_co_u32_e32 v18, vcc, v27, v54
	v_addc_co_u32_e32 v19, vcc, 0, v28, vcc
	v_mfma_f32_16x16x16f16 v[10:13], v[12:13], v[8:9], v[34:37]
	s_nop 6
	global_load_dwordx4 v[34:37], v[18:19], off
	v_add_co_u32_e32 v22, vcc, v31, v54
	v_addc_co_u32_e32 v23, vcc, 0, v32, vcc
	v_mfma_f32_16x16x16f16 v[18:21], v[20:21], v[8:9], v[42:45]
	s_nop 6
	global_load_dwordx4 v[42:45], v[22:23], off
	v_add_co_u32_e32 v22, vcc, v27, v70
	v_addc_co_u32_e32 v23, vcc, 0, v28, vcc
	s_waitcnt lgkmcnt(0)
	v_mfma_f32_16x16x16f16 v[10:13], v[14:15], v[2:3], v[10:13]
	global_load_dwordx4 v[46:49], v[22:23], off
	v_mad_i64_i32 v[14:15], s[12:13], v25, s1, 0
	v_add_co_u32_e32 v22, vcc, v31, v70
	v_lshlrev_b64 v[14:15], 1, v[14:15]
	v_addc_co_u32_e32 v23, vcc, 0, v32, vcc
	global_load_dwordx4 v[58:61], v[22:23], off
	v_mov_b32_e32 v22, s10
	v_add_co_u32_e32 v23, vcc, s8, v14
	v_addc_co_u32_e32 v22, vcc, v22, v15, vcc
	v_add_co_u32_e32 v27, vcc, v23, v50
	buffer_store_dword v50, off, s[44:47], 0 ; 4-byte Folded Spill
	s_nop 0
	buffer_store_dword v51, off, s[44:47], 0 offset:4 ; 4-byte Folded Spill
	s_waitcnt vmcnt(6)
	v_mfma_f32_16x16x16f16 v[18:21], v[38:39], v[2:3], v[18:21]
	v_addc_co_u32_e32 v28, vcc, v22, v51, vcc
	v_add_co_u32_e32 v22, vcc, v27, v26
	v_addc_co_u32_e32 v23, vcc, 0, v28, vcc
	v_mfma_f32_16x16x16f16 v[18:21], v[40:41], v[4:5], v[18:21]
	global_load_dwordx4 v[38:41], v[22:23], off
	v_mfma_f32_16x16x16f16 v[14:17], v[16:17], v[4:5], v[10:13]
	s_nop 6
	ds_read_b128 v[10:13], v30 offset:4096
	ds_read_b128 v[50:53], v30 offset:6144
	global_load_dwordx4 v[30:33], v[22:23], off offset:2048
	v_mad_i64_i32 v[22:23], s[12:13], v24, s1, 0
	s_waitcnt vmcnt(7) lgkmcnt(1)
	v_mfma_f32_16x16x16f16 v[14:17], v[34:35], v[10:11], v[14:17]
	v_lshlrev_b64 v[34:35], 1, v[22:23]
	v_add_co_u32_e32 v22, vcc, v27, v54
	v_addc_co_u32_e32 v23, vcc, 0, v28, vcc
	global_load_dwordx4 v[22:25], v[22:23], off
	v_add_co_u32_e32 v34, vcc, s8, v34
	s_waitcnt vmcnt(7)
	v_mfma_f32_16x16x16f16 v[18:21], v[42:43], v[10:11], v[18:21]
	v_mov_b32_e32 v42, s10
	v_addc_co_u32_e32 v35, vcc, v42, v35, vcc
	v_add_co_u32_e32 v71, vcc, v34, v29
	v_addc_co_u32_e32 v72, vcc, 0, v35, vcc
	v_mfma_f32_16x16x16f16 v[14:17], v[36:37], v[12:13], v[14:17]
	v_add_co_u32_e32 v34, vcc, v27, v70
	v_addc_co_u32_e32 v35, vcc, 0, v28, vcc
	v_add_co_u32_e32 v42, vcc, v71, v26
	v_addc_co_u32_e32 v43, vcc, 0, v72, vcc
	v_mfma_f32_16x16x16f16 v[18:21], v[44:45], v[12:13], v[18:21]
	s_lshr_b32 s10, s11, 27
	v_add_co_u32_e32 v44, vcc, v71, v54
	v_addc_co_u32_e32 v45, vcc, 0, v72, vcc
	v_cmp_gt_i32_e32 vcc, s33, v66
	s_add_u32 s2, s14, s2
	s_waitcnt vmcnt(6) lgkmcnt(0)
	v_mfma_f32_16x16x16f16 v[26:29], v[46:47], v[50:51], v[14:17]
	global_load_dwordx4 v[34:37], v[34:35], off
	s_nop 0
	global_load_dwordx4 v[62:65], v[42:43], off
	s_nop 3
	global_load_dwordx4 v[14:17], v[42:43], off offset:2048
	v_mov_b32_e32 v42, s17
	s_addc_u32 s3, s15, s3
	v_mfma_f32_16x16x16f16 v[54:57], v[48:49], v[52:53], v[26:29]
	s_nop 6
	v_add_u32_e32 v26, s10, v66
	s_waitcnt vmcnt(8)
	v_mfma_f32_16x16x16f16 v[18:21], v[58:59], v[50:51], v[18:21]
	v_ashrrev_i32_e32 v26, 5, v26
	v_mov_b32_e32 v28, s18
	v_cndmask_b32_e32 v26, v28, v26, vcc
	v_ashrrev_i32_e32 v27, 31, v26
	v_lshlrev_b64 v[26:27], 2, v[26:27]
	v_mov_b32_e32 v29, s17
	v_add_co_u32_e32 v26, vcc, s16, v26
	v_addc_co_u32_e32 v27, vcc, v29, v27, vcc
	global_load_dword v29, v[26:27], off
	v_or_b32_e32 v26, 64, v66
	v_mfma_f32_16x16x16f16 v[58:61], v[60:61], v[52:53], v[18:21]
	v_cmp_gt_i32_e32 vcc, s33, v26
	s_nop 5
	v_add_u32_e32 v18, s10, v26
	v_ashrrev_i32_e32 v18, 5, v18
	v_cndmask_b32_e32 v18, v28, v18, vcc
	v_ashrrev_i32_e32 v19, 31, v18
	v_lshlrev_b64 v[26:27], 2, v[18:19]
	s_waitcnt vmcnt(6)
	v_mfma_f32_16x16x16f16 v[18:21], v[38:39], v[6:7], 0
	v_add_co_u32_e32 v26, vcc, s16, v26
	v_addc_co_u32_e32 v27, vcc, v42, v27, vcc
	global_load_dword v38, v[26:27], off
	v_or_b32_e32 v26, 0x80, v66
	v_add_u32_e32 v27, s10, v26
	v_mfma_f32_16x16x16f16 v[18:21], v[40:41], v[8:9], v[18:21]
	v_ashrrev_i32_e32 v27, 5, v27
	v_cmp_gt_i32_e32 vcc, s33, v26
	v_cndmask_b32_e32 v26, v28, v27, vcc
	v_ashrrev_i32_e32 v27, 31, v26
	v_lshlrev_b64 v[26:27], 2, v[26:27]
	v_mov_b32_e32 v39, s17
	v_add_co_u32_e32 v26, vcc, s16, v26
	v_addc_co_u32_e32 v27, vcc, v39, v27, vcc
	s_waitcnt vmcnt(6)
	v_mfma_f32_16x16x16f16 v[18:21], v[30:31], v[2:3], v[18:21]
	global_load_dword v30, v[26:27], off
	v_or_b32_e32 v26, 0xc0, v66
	global_load_dwordx4 v[66:69], v[44:45], off
	v_add_u32_e32 v27, s10, v26
	v_ashrrev_i32_e32 v27, 5, v27
	v_cmp_gt_i32_e32 vcc, s33, v26
	v_cndmask_b32_e32 v26, v28, v27, vcc
	v_mfma_f32_16x16x16f16 v[18:21], v[32:33], v[4:5], v[18:21]
	v_ashrrev_i32_e32 v27, 31, v26
	v_lshlrev_b64 v[26:27], 2, v[26:27]
	v_mov_b32_e32 v28, s17
	v_add_co_u32_e32 v26, vcc, s16, v26
	v_addc_co_u32_e32 v27, vcc, v28, v27, vcc
	global_load_dword v88, v[26:27], off
	s_waitcnt vmcnt(8)
	v_mfma_f32_16x16x16f16 v[18:21], v[22:23], v[10:11], v[18:21]
	v_add_co_u32_e32 v22, vcc, v71, v70
	v_addc_co_u32_e32 v23, vcc, 0, v72, vcc
	global_load_dwordx4 v[70:73], v[22:23], off
	v_and_b32_e32 v22, 16, v0
	v_lshlrev_b32_e32 v22, 1, v22
	v_mfma_f32_16x16x16f16 v[18:21], v[24:25], v[12:13], v[18:21]
	v_mov_b32_e32 v23, s3
	v_add_co_u32_e32 v89, vcc, s2, v22
	v_addc_co_u32_e32 v90, vcc, 0, v23, vcc
	v_add_co_u32_e32 v22, vcc, v89, v91
	s_waitcnt vmcnt(8)
	v_mfma_f32_16x16x16f16 v[18:21], v[34:35], v[50:51], v[18:21]
	v_addc_co_u32_e32 v23, vcc, 0, v90, vcc
	v_mfma_f32_16x16x16f16 v[76:79], v[36:37], v[52:53], v[18:21]
	s_waitcnt vmcnt(5)
	s_nop 7
	v_mad_i64_i32 v[18:19], s[2:3], v29, s1, 0
	v_lshlrev_b64 v[80:81], 1, v[18:19]
	v_mfma_f32_16x16x16f16 v[18:21], v[62:63], v[6:7], 0
	v_add_co_u32_e32 v6, vcc, v22, v80
	v_addc_co_u32_e32 v7, vcc, v23, v81, vcc
	global_load_dwordx4 v[46:49], v[6:7], off
	global_load_dwordx4 v[42:45], v[6:7], off offset:16
	v_pk_mul_f32 v[76:77], s[0:1], v[76:77] op_sel_hi:[0,1]
	v_pk_mul_f32 v[78:79], s[0:1], v[78:79] op_sel_hi:[0,1]
	s_waitcnt vmcnt(6)
	v_mad_i64_i32 v[6:7], s[2:3], v38, s1, 0
	v_lshlrev_b64 v[82:83], 1, v[6:7]
	v_mfma_f32_16x16x16f16 v[6:9], v[64:65], v[8:9], v[18:21]
	v_mfma_f32_16x16x16f16 v[6:9], v[14:15], v[2:3], v[6:9]
	s_nop 5
	v_add_co_u32_e32 v18, vcc, v22, v82
	v_addc_co_u32_e32 v19, vcc, v23, v83, vcc
	global_load_dwordx4 v[38:41], v[18:19], off
	global_load_dwordx4 v[34:37], v[18:19], off offset:16
	s_waitcnt vmcnt(7)
	v_mad_i64_i32 v[18:19], s[2:3], v30, s1, 0
	v_lshlrev_b64 v[64:65], 1, v[18:19]
	v_add_co_u32_e32 v2, vcc, v22, v64
	v_addc_co_u32_e32 v3, vcc, v23, v65, vcc
	global_load_dwordx4 v[30:33], v[2:3], off
	global_load_dwordx4 v[26:29], v[2:3], off offset:16
	v_mfma_f32_16x16x16f16 v[2:5], v[16:17], v[4:5], v[6:9]
	s_waitcnt vmcnt(8)
	v_mfma_f32_16x16x16f16 v[2:5], v[66:67], v[10:11], v[2:5]
	s_waitcnt vmcnt(7)
	s_nop 3
	v_mad_i64_i32 v[6:7], s[2:3], v88, s1, 0
	v_lshlrev_b64 v[62:63], 1, v[6:7]
	v_add_co_u32_e32 v6, vcc, v22, v62
	v_addc_co_u32_e32 v7, vcc, v23, v63, vcc
	v_mfma_f32_16x16x16f16 v[10:13], v[68:69], v[12:13], v[2:5]
	global_load_dwordx4 v[22:25], v[6:7], off
	global_load_dwordx4 v[18:21], v[6:7], off offset:16
	v_or_b32_e32 v6, 0x1000, v91
	v_add_co_u32_e32 v92, vcc, v89, v6
	v_addc_co_u32_e32 v93, vcc, 0, v90, vcc
	s_nop 1
	v_add_co_u32_e32 v2, vcc, v92, v80
	s_waitcnt vmcnt(8)
	v_mfma_f32_16x16x16f16 v[88:91], v[70:71], v[50:51], v[10:13]
	v_addc_co_u32_e32 v3, vcc, v93, v81, vcc
	v_add_co_u32_e32 v66, vcc, v92, v82
	v_addc_co_u32_e32 v67, vcc, v93, v83, vcc
	global_load_dwordx4 v[6:9], v[2:3], off
	s_nop 0
	global_load_dwordx4 v[2:5], v[2:3], off offset:16
	v_mfma_f32_16x16x16f16 v[50:53], v[72:73], v[52:53], v[88:91]
	global_load_dwordx4 v[14:17], v[66:67], off
	global_load_dwordx4 v[10:13], v[66:67], off offset:16
	v_pk_mul_f32 v[68:69], s[0:1], v[54:55] op_sel_hi:[0,1]
	v_pk_mul_f32 v[80:81], s[0:1], v[56:57] op_sel_hi:[0,1]
	v_pk_mul_f32 v[70:71], s[0:1], v[58:59] op_sel_hi:[0,1]
	v_pk_mul_f32 v[82:83], s[0:1], v[60:61] op_sel_hi:[0,1]
	s_nop 4
	v_pk_mul_f32 v[72:73], s[0:1], v[50:51] op_sel_hi:[0,1]
	v_and_b32_e32 v50, 0xc0, v0
	v_add_u32_e32 v50, s9, v50
	v_lshl_or_b32 v50, v1, 2, v50
	v_pk_mul_f32 v[66:67], s[0:1], v[52:53] op_sel_hi:[0,1]
	v_or_b32_e32 v53, 1, v50
	v_mov_b32_e32 v51, 0xff7fffff
	v_cmp_gt_i32_e64 s[28:29], s33, v50
	v_cmp_gt_i32_e64 s[30:31], s33, v53
	v_cndmask_b32_e64 v52, v51, v68, s[28:29]
	v_cndmask_b32_e64 v53, v51, v69, s[30:31]
	v_max3_f32 v52, v52, s41, v53
	v_or_b32_e32 v53, 2, v50
	v_or_b32_e32 v54, 3, v50
	v_cmp_gt_i32_e64 s[34:35], s33, v53
	v_cmp_gt_i32_e64 s[36:37], s33, v54
	v_cndmask_b32_e64 v53, v51, v80, s[34:35]
	v_cndmask_b32_e64 v54, v51, v81, s[36:37]
	v_max3_f32 v52, v52, v53, v54
	v_or_b32_e32 v53, 16, v50
	v_or_b32_e32 v54, 17, v50
	;; [unrolled: 7-line block ×7, first 2 shown]
	v_cmp_gt_i32_e32 vcc, s33, v53
	v_cmp_gt_i32_e64 s[0:1], s33, v50
	v_cndmask_b32_e32 v53, v51, v66, vcc
	v_cndmask_b32_e64 v50, v51, v67, s[0:1]
	v_max3_f32 v58, v52, v53, v50
	v_mbcnt_lo_u32_b32 v50, -1, 0
	v_mbcnt_hi_u32_b32 v59, -1, v50
	v_and_b32_e32 v50, 64, v59
	v_add_u32_e32 v60, 64, v50
	v_xor_b32_e32 v50, 32, v59
	v_cmp_lt_i32_e64 s[38:39], v50, v60
	v_cndmask_b32_e64 v50, v59, v50, s[38:39]
	v_lshlrev_b32_e32 v89, 2, v50
	ds_bpermute_b32 v61, v89, v58
	v_add_co_u32_e64 v50, s[38:39], v92, v64
	v_addc_co_u32_e64 v51, s[38:39], v93, v65, s[38:39]
	s_waitcnt lgkmcnt(0)
	v_max_f32_e32 v61, v61, v61
	v_max_f32_e32 v61, v58, v61
	v_xor_b32_e32 v58, 16, v59
	v_cmp_lt_i32_e64 s[38:39], v58, v60
	v_cndmask_b32_e64 v58, v59, v58, s[38:39]
	v_lshlrev_b32_e32 v90, 2, v58
	ds_bpermute_b32 v60, v90, v61
	v_add_co_u32_e64 v58, s[38:39], v92, v62
	v_addc_co_u32_e64 v59, s[38:39], v93, v63, s[38:39]
	s_waitcnt lgkmcnt(0)
	v_max_f32_e32 v60, v60, v60
	v_max_f32_e32 v88, v61, v60
	v_sub_f32_e32 v60, v68, v88
	v_mul_f32_e32 v60, 0x3fb8aa3b, v60
	v_exp_f32_e32 v68, v60
	v_sub_f32_e32 v60, v69, v88
	v_mul_f32_e32 v60, 0x3fb8aa3b, v60
	global_load_dwordx4 v[54:57], v[50:51], off
	s_nop 0
	global_load_dwordx4 v[50:53], v[50:51], off offset:16
	v_exp_f32_e32 v69, v60
	global_load_dwordx4 v[62:65], v[58:59], off
	s_nop 0
	global_load_dwordx4 v[58:61], v[58:59], off offset:16
	v_sub_f32_e32 v80, v80, v88
	v_mul_f32_e32 v80, 0x3fb8aa3b, v80
	v_sub_f32_e32 v81, v81, v88
	v_exp_f32_e32 v80, v80
	v_mul_f32_e32 v81, 0x3fb8aa3b, v81
	v_sub_f32_e32 v70, v70, v88
	v_exp_f32_e32 v81, v81
	v_mul_f32_e32 v70, 0x3fb8aa3b, v70
	v_sub_f32_e32 v71, v71, v88
	v_cndmask_b32_e64 v68, 0, v68, s[28:29]
	v_exp_f32_e32 v70, v70
	v_mul_f32_e32 v71, 0x3fb8aa3b, v71
	v_sub_f32_e32 v82, v82, v88
	v_add_f32_e32 v91, 0, v68
	v_cndmask_b32_e64 v69, 0, v69, s[30:31]
	v_exp_f32_e32 v71, v71
	v_mul_f32_e32 v82, 0x3fb8aa3b, v82
	v_sub_f32_e32 v83, v83, v88
	v_add_f32_e32 v91, v91, v69
	;; [unrolled: 5-line block ×10, first 2 shown]
	v_cndmask_b32_e64 v78, 0, v78, s[10:11]
	v_exp_f32_e32 v66, v66
	v_mul_f32_e32 v67, 0x3fb8aa3b, v67
	v_add_f32_e32 v91, v91, v78
	v_cndmask_b32_e64 v79, 0, v79, s[12:13]
	v_exp_f32_e32 v67, v67
	v_add_f32_e32 v91, v91, v79
	v_cndmask_b32_e64 v72, 0, v72, s[2:3]
	v_add_f32_e32 v91, v91, v72
	v_cndmask_b32_e64 v73, 0, v73, s[8:9]
	v_add_f32_e32 v91, v91, v73
	v_cndmask_b32_e32 v66, 0, v66, vcc
	v_add_f32_e32 v91, v91, v66
	v_cndmask_b32_e64 v67, 0, v67, s[0:1]
	v_add_f32_e32 v91, v91, v67
	ds_bpermute_b32 v89, v89, v91
	v_cmp_gt_u32_e32 vcc, 16, v86
	s_waitcnt lgkmcnt(0)
	s_barrier
	v_add_f32_e32 v89, v91, v89
	ds_bpermute_b32 v90, v90, v89
	s_and_saveexec_b64 s[0:1], vcc
	s_cbranch_execz .LBB177_15
; %bb.14:
	s_waitcnt lgkmcnt(0)
	v_add_f32_e32 v86, v89, v90
	v_lshlrev_b32_e32 v87, 2, v87
	ds_write2st64_b32 v87, v88, v86 offset1:1
.LBB177_15:
	s_or_b64 exec, exec, s[0:1]
	v_lshlrev_b32_e32 v87, 2, v84
	s_load_dword s2, s[4:5], 0x94
	s_waitcnt lgkmcnt(0)
	s_barrier
	ds_read2_b32 v[88:89], v87 offset1:16
	ds_read2_b32 v[90:91], v87 offset0:32 offset1:48
	ds_read2_b32 v[92:93], v87 offset0:64 offset1:80
	s_mul_i32 s3, s40, 6
	s_waitcnt lgkmcnt(2)
	v_max3_f32 v86, v88, s41, v89
	s_waitcnt lgkmcnt(1)
	v_max3_f32 v86, v86, v90, v91
	v_sub_f32_e32 v88, v88, v86
	v_mul_f32_e32 v88, 0x3fb8aa3b, v88
	v_exp_f32_e32 v94, v88
	v_sub_f32_e32 v88, v89, v86
	v_mul_f32_e32 v88, 0x3fb8aa3b, v88
	v_exp_f32_e32 v95, v88
	;; [unrolled: 3-line block ×3, first 2 shown]
	ds_read2_b32 v[88:89], v87 offset0:96 offset1:112
	v_sub_f32_e32 v87, v91, v86
	v_mul_f32_e32 v87, 0x3fb8aa3b, v87
	v_exp_f32_e32 v91, v87
	s_waitcnt lgkmcnt(1)
	v_fma_f32 v87, v94, v92, 0
	v_fmac_f32_e32 v87, v95, v93
	s_waitcnt lgkmcnt(0)
	v_fmac_f32_e32 v87, v90, v88
	v_fmac_f32_e32 v87, v91, v89
	v_add_f32_e32 v88, 0x358637bd, v87
	v_div_scale_f32 v89, s[0:1], v88, v88, 1.0
	v_rcp_f32_e32 v92, v89
	s_barrier
	v_fma_f32 v93, -v89, v92, 1.0
	v_fmac_f32_e32 v92, v93, v92
	v_div_scale_f32 v93, vcc, 1.0, v88, 1.0
	v_mul_f32_e32 v74, v93, v92
	v_fma_f32 v75, -v89, v74, v93
	v_fmac_f32_e32 v74, v75, v92
	v_fma_f32 v75, -v89, v74, v93
	v_div_fmas_f32 v74, v75, v92, v74
	v_cmp_eq_u32_e32 vcc, 1, v85
	v_cndmask_b32_e32 v75, v94, v95, vcc
	v_cmp_eq_u32_e32 vcc, 2, v85
	v_cndmask_b32_e32 v75, v75, v90, vcc
	v_cmp_eq_u32_e32 vcc, 3, v85
	v_div_fixup_f32 v74, v74, v88, 1.0
	v_cndmask_b32_e32 v75, v75, v91, vcc
	v_mul_f32_e32 v88, v75, v74
	v_pk_mul_f32 v[80:81], v[88:89], v[80:81] op_sel_hi:[0,1]
	v_cvt_f16_f32_e32 v74, v80
	v_cvt_f16_f32_e32 v75, v81
	v_pk_mul_f32 v[68:69], v[88:89], v[68:69] op_sel_hi:[0,1]
	v_cvt_f16_f32_e32 v68, v68
	v_cvt_f16_f32_e32 v69, v69
	v_pk_mul_f32 v[80:81], v[88:89], v[82:83] op_sel_hi:[0,1]
	v_pk_mul_f32 v[70:71], v[88:89], v[70:71] op_sel_hi:[0,1]
	v_pack_b32_f16 v91, v74, v75
	v_cvt_f16_f32_e32 v70, v70
	v_cvt_f16_f32_e32 v71, v71
	;; [unrolled: 1-line block ×4, first 2 shown]
	v_pack_b32_f16 v90, v68, v69
	v_lshlrev_b32_e32 v69, 3, v1
	v_lshlrev_b32_e32 v68, 5, v84
	;; [unrolled: 1-line block ×3, first 2 shown]
	v_or3_b32 v80, v80, v68, v69
	v_pack_b32_f16 v70, v70, v71
	v_pack_b32_f16 v71, v74, v75
	ds_write2st64_b64 v80, v[90:91], v[70:71] offset1:1
	v_pk_mul_f32 v[70:71], v[88:89], v[78:79] op_sel_hi:[0,1]
	v_pk_mul_f32 v[76:77], v[88:89], v[76:77] op_sel_hi:[0,1]
	v_cvt_f16_f32_e32 v69, v76
	v_cvt_f16_f32_e32 v75, v70
	;; [unrolled: 1-line block ×3, first 2 shown]
	v_pk_mul_f32 v[66:67], v[88:89], v[66:67] op_sel_hi:[0,1]
	v_pk_mul_f32 v[70:71], v[88:89], v[72:73] op_sel_hi:[0,1]
	v_cvt_f16_f32_e32 v74, v77
	v_cvt_f16_f32_e32 v70, v70
	;; [unrolled: 1-line block ×5, first 2 shown]
	v_pack_b32_f16 v66, v69, v74
	v_pack_b32_f16 v67, v75, v76
	;; [unrolled: 1-line block ×4, first 2 shown]
	v_cmp_gt_u32_e32 vcc, 6, v0
	ds_write2st64_b64 v80, v[66:67], v[70:71] offset0:2 offset1:3
	s_and_saveexec_b64 s[0:1], vcc
	s_cbranch_execz .LBB177_17
; %bb.16:
	v_add_co_u32_e32 v70, vcc, s27, v84
	v_addc_co_u32_e64 v71, s[12:13], 0, 0, vcc
	v_mov_b32_e32 v66, s3
	v_mov_b32_e32 v67, 0
	v_mad_u64_u32 v[70:71], s[12:13], s6, v66, v[70:71]
	v_mov_b32_e32 v66, s26
	s_load_dwordx4 s[8:11], s[4:5], 0x58
	s_mul_i32 s7, s7, s3
	v_mad_u64_u32 v[66:67], s[12:13], v70, s2, v[66:67]
	v_add_u32_e32 v69, s7, v71
	v_mov_b32_e32 v70, v67
	v_mad_u64_u32 v[70:71], s[12:13], v69, s2, v[70:71]
	v_mov_b32_e32 v67, v70
	v_lshlrev_b64 v[66:67], 2, v[66:67]
	s_waitcnt lgkmcnt(0)
	v_mov_b32_e32 v69, s11
	v_add_co_u32_e32 v70, vcc, s10, v66
	v_addc_co_u32_e32 v71, vcc, v69, v67, vcc
	v_mov_b32_e32 v69, s9
	v_add_co_u32_e32 v66, vcc, s8, v66
	v_addc_co_u32_e32 v67, vcc, v69, v67, vcc
	global_store_dword v[70:71], v86, off
	global_store_dword v[66:67], v87, off
.LBB177_17:
	s_or_b64 exec, exec, s[0:1]
	v_lshl_or_b32 v74, v1, 9, v68
	s_waitcnt lgkmcnt(0)
	s_barrier
	ds_read_b128 v[70:73], v74
	ds_read_b128 v[66:69], v74 offset:16
	s_waitcnt vmcnt(15) lgkmcnt(1)
	v_mfma_f32_16x16x16f16 v[76:79], v[46:47], v[70:71], 0
	s_mov_b32 s1, 0
	v_cmp_gt_u32_e32 vcc, 64, v0
	v_mfma_f32_16x16x16f16 v[46:49], v[48:49], v[72:73], v[76:79]
	s_waitcnt vmcnt(14) lgkmcnt(0)
	v_mfma_f32_16x16x16f16 v[46:49], v[42:43], v[66:67], v[46:49]
	v_mfma_f32_16x16x16f16 v[42:45], v[44:45], v[68:69], v[46:49]
	s_nop 7
	s_nop 1
	ds_read_b128 v[46:49], v74 offset:2048
	ds_read_b128 v[76:79], v74 offset:2064
	s_waitcnt vmcnt(13) lgkmcnt(1)
	v_mfma_f32_16x16x16f16 v[42:45], v[38:39], v[46:47], v[42:45]
	v_mfma_f32_16x16x16f16 v[38:41], v[40:41], v[48:49], v[42:45]
	s_waitcnt vmcnt(12) lgkmcnt(0)
	v_mfma_f32_16x16x16f16 v[38:41], v[34:35], v[76:77], v[38:41]
	v_mfma_f32_16x16x16f16 v[34:37], v[36:37], v[78:79], v[38:41]
	s_nop 7
	s_nop 1
	ds_read_b128 v[38:41], v74 offset:4096
	ds_read_b128 v[42:45], v74 offset:4112
	s_waitcnt vmcnt(11) lgkmcnt(1)
	v_mfma_f32_16x16x16f16 v[34:37], v[30:31], v[38:39], v[34:37]
	v_mfma_f32_16x16x16f16 v[30:33], v[32:33], v[40:41], v[34:37]
	s_waitcnt vmcnt(10) lgkmcnt(0)
	v_mfma_f32_16x16x16f16 v[30:33], v[26:27], v[42:43], v[30:33]
	v_mfma_f32_16x16x16f16 v[26:29], v[28:29], v[44:45], v[30:33]
	s_nop 7
	s_nop 1
	ds_read_b128 v[30:33], v74 offset:6144
	ds_read_b128 v[34:37], v74 offset:6160
	s_waitcnt lgkmcnt(0)
	s_barrier
	s_waitcnt vmcnt(9)
	v_mfma_f32_16x16x16f16 v[26:29], v[22:23], v[30:31], v[26:29]
	v_mfma_f32_16x16x16f16 v[22:25], v[24:25], v[32:33], v[26:29]
	s_waitcnt vmcnt(8)
	v_mfma_f32_16x16x16f16 v[22:25], v[18:19], v[34:35], v[22:25]
	v_mfma_f32_16x16x16f16 v[18:21], v[20:21], v[36:37], v[22:25]
	;; [unrolled: 3-line block ×4, first 2 shown]
	s_waitcnt vmcnt(5)
	v_mfma_f32_16x16x16f16 v[2:5], v[14:15], v[46:47], v[2:5]
	s_nop 7
	v_cvt_f16_f32_e32 v6, v18
	v_cvt_f16_f32_e32 v7, v19
	;; [unrolled: 1-line block ×4, first 2 shown]
	v_mfma_f32_16x16x16f16 v[2:5], v[16:17], v[48:49], v[2:5]
	s_waitcnt vmcnt(4)
	v_mfma_f32_16x16x16f16 v[2:5], v[10:11], v[76:77], v[2:5]
	v_mfma_f32_16x16x16f16 v[2:5], v[12:13], v[78:79], v[2:5]
	s_waitcnt vmcnt(3)
	v_mfma_f32_16x16x16f16 v[2:5], v[54:55], v[38:39], v[2:5]
	;; [unrolled: 3-line block ×5, first 2 shown]
	v_mfma_f32_16x16x16f16 v[2:5], v[60:61], v[36:37], v[2:5]
	s_nop 7
	s_nop 2
	v_cvt_f16_f32_e32 v10, v2
	v_cvt_f16_f32_e32 v11, v3
	;; [unrolled: 1-line block ×4, first 2 shown]
	v_pack_b32_f16 v2, v6, v7
	v_pack_b32_f16 v3, v8, v9
	;; [unrolled: 1-line block ×4, first 2 shown]
	ds_write2st64_b64 v80, v[2:3], v[4:5] offset1:1
	s_waitcnt lgkmcnt(0)
	s_barrier
	s_and_saveexec_b64 s[8:9], vcc
	s_cbranch_execz .LBB177_20
; %bb.18:
	buffer_load_dword v6, off, s[44:47], 0  ; 4-byte Folded Reload
	buffer_load_dword v7, off, s[44:47], 0 offset:4 ; 4-byte Folded Reload
	s_load_dwordx2 s[4:5], s[4:5], 0x68
	s_lshl_b32 s2, s2, 7
	s_mul_i32 s0, s3, s6
	s_mul_hi_u32 s7, s0, s2
	s_mul_i32 s6, s0, s2
	s_lshl_b64 s[6:7], s[6:7], 1
	s_waitcnt lgkmcnt(0)
	s_add_u32 s3, s4, s6
	s_addc_u32 s4, s5, s7
	s_lshl_b32 s0, s26, 7
	v_lshlrev_b32_e32 v5, 6, v84
	s_lshl_b64 s[0:1], s[0:1], 1
	v_lshlrev_b32_e32 v4, 4, v0
	v_lshl_or_b32 v0, v0, 10, v5
	s_add_u32 s0, s3, s0
	v_lshlrev_b32_e32 v3, 5, v1
	v_and_b32_e32 v4, 16, v4
	v_and_b32_e32 v0, 0x1a00, v0
	s_addc_u32 s1, s4, s1
	v_or_b32_e32 v2, 4, v1
	v_or3_b32 v0, v0, v3, v4
	v_mov_b32_e32 v4, s1
	v_add_u32_e32 v1, s27, v1
	s_waitcnt vmcnt(1)
	v_add_co_u32_e32 v3, vcc, s0, v6
	s_waitcnt vmcnt(0)
	v_addc_co_u32_e32 v4, vcc, v4, v7, vcc
	ds_read_b128 v[6:9], v0
	v_mad_u64_u32 v[10:11], s[0:1], v1, s2, 0
	v_lshlrev_b64 v[10:11], 1, v[10:11]
	v_add_co_u32_e32 v10, vcc, v3, v10
	v_addc_co_u32_e32 v11, vcc, v4, v11, vcc
	v_cmp_gt_u32_e32 vcc, 6, v2
	s_waitcnt lgkmcnt(0)
	global_store_dwordx4 v[10:11], v[6:9], off
	s_and_b64 exec, exec, vcc
	s_cbranch_execz .LBB177_20
; %bb.19:
	ds_read_b128 v[6:9], v0 offset:128
	v_add_u32_e32 v0, s27, v2
	v_mad_u64_u32 v[0:1], s[0:1], v0, s2, 0
	v_lshlrev_b64 v[0:1], 1, v[0:1]
	v_add_co_u32_e32 v0, vcc, v3, v0
	v_addc_co_u32_e32 v1, vcc, v4, v1, vcc
	s_waitcnt lgkmcnt(0)
	global_store_dwordx4 v[0:1], v[6:9], off
.LBB177_20:
	s_endpgm
	.section	.rodata,"a",@progbits
	.p2align	6, 0x0
	.amdhsa_kernel _Z39paged_attention_ll4mi_QKV_mfma16_kernelIDF16_DF16_LN4vllm18Fp8KVCacheDataTypeE0EDF16_Li32ELi128ELi256ELb0ELi6EL8MFMAType0EEvPKT_PKT0_S8_ifPKiSA_SA_iPKfiiiPfSD_PS3_PT2_iSC_SC_
		.amdhsa_group_segment_fixed_size 8192
		.amdhsa_private_segment_fixed_size 12
		.amdhsa_kernarg_size 400
		.amdhsa_user_sgpr_count 6
		.amdhsa_user_sgpr_private_segment_buffer 1
		.amdhsa_user_sgpr_dispatch_ptr 0
		.amdhsa_user_sgpr_queue_ptr 0
		.amdhsa_user_sgpr_kernarg_segment_ptr 1
		.amdhsa_user_sgpr_dispatch_id 0
		.amdhsa_user_sgpr_flat_scratch_init 0
		.amdhsa_user_sgpr_kernarg_preload_length 0
		.amdhsa_user_sgpr_kernarg_preload_offset 0
		.amdhsa_user_sgpr_private_segment_size 0
		.amdhsa_uses_dynamic_stack 0
		.amdhsa_system_sgpr_private_segment_wavefront_offset 1
		.amdhsa_system_sgpr_workgroup_id_x 1
		.amdhsa_system_sgpr_workgroup_id_y 1
		.amdhsa_system_sgpr_workgroup_id_z 1
		.amdhsa_system_sgpr_workgroup_info 0
		.amdhsa_system_vgpr_workitem_id 0
		.amdhsa_next_free_vgpr 96
		.amdhsa_next_free_sgpr 48
		.amdhsa_accum_offset 96
		.amdhsa_reserve_vcc 1
		.amdhsa_reserve_flat_scratch 0
		.amdhsa_float_round_mode_32 0
		.amdhsa_float_round_mode_16_64 0
		.amdhsa_float_denorm_mode_32 3
		.amdhsa_float_denorm_mode_16_64 3
		.amdhsa_dx10_clamp 1
		.amdhsa_ieee_mode 1
		.amdhsa_fp16_overflow 0
		.amdhsa_tg_split 0
		.amdhsa_exception_fp_ieee_invalid_op 0
		.amdhsa_exception_fp_denorm_src 0
		.amdhsa_exception_fp_ieee_div_zero 0
		.amdhsa_exception_fp_ieee_overflow 0
		.amdhsa_exception_fp_ieee_underflow 0
		.amdhsa_exception_fp_ieee_inexact 0
		.amdhsa_exception_int_div_zero 0
	.end_amdhsa_kernel
	.section	.text._Z39paged_attention_ll4mi_QKV_mfma16_kernelIDF16_DF16_LN4vllm18Fp8KVCacheDataTypeE0EDF16_Li32ELi128ELi256ELb0ELi6EL8MFMAType0EEvPKT_PKT0_S8_ifPKiSA_SA_iPKfiiiPfSD_PS3_PT2_iSC_SC_,"axG",@progbits,_Z39paged_attention_ll4mi_QKV_mfma16_kernelIDF16_DF16_LN4vllm18Fp8KVCacheDataTypeE0EDF16_Li32ELi128ELi256ELb0ELi6EL8MFMAType0EEvPKT_PKT0_S8_ifPKiSA_SA_iPKfiiiPfSD_PS3_PT2_iSC_SC_,comdat
.Lfunc_end177:
	.size	_Z39paged_attention_ll4mi_QKV_mfma16_kernelIDF16_DF16_LN4vllm18Fp8KVCacheDataTypeE0EDF16_Li32ELi128ELi256ELb0ELi6EL8MFMAType0EEvPKT_PKT0_S8_ifPKiSA_SA_iPKfiiiPfSD_PS3_PT2_iSC_SC_, .Lfunc_end177-_Z39paged_attention_ll4mi_QKV_mfma16_kernelIDF16_DF16_LN4vllm18Fp8KVCacheDataTypeE0EDF16_Li32ELi128ELi256ELb0ELi6EL8MFMAType0EEvPKT_PKT0_S8_ifPKiSA_SA_iPKfiiiPfSD_PS3_PT2_iSC_SC_
                                        ; -- End function
	.section	.AMDGPU.csdata,"",@progbits
; Kernel info:
; codeLenInByte = 4796
; NumSgprs: 52
; NumVgprs: 96
; NumAgprs: 0
; TotalNumVgprs: 96
; ScratchSize: 12
; MemoryBound: 0
; FloatMode: 240
; IeeeMode: 1
; LDSByteSize: 8192 bytes/workgroup (compile time only)
; SGPRBlocks: 6
; VGPRBlocks: 11
; NumSGPRsForWavesPerEU: 52
; NumVGPRsForWavesPerEU: 96
; AccumOffset: 96
; Occupancy: 5
; WaveLimiterHint : 1
; COMPUTE_PGM_RSRC2:SCRATCH_EN: 1
; COMPUTE_PGM_RSRC2:USER_SGPR: 6
; COMPUTE_PGM_RSRC2:TRAP_HANDLER: 0
; COMPUTE_PGM_RSRC2:TGID_X_EN: 1
; COMPUTE_PGM_RSRC2:TGID_Y_EN: 1
; COMPUTE_PGM_RSRC2:TGID_Z_EN: 1
; COMPUTE_PGM_RSRC2:TIDIG_COMP_CNT: 0
; COMPUTE_PGM_RSRC3_GFX90A:ACCUM_OFFSET: 23
; COMPUTE_PGM_RSRC3_GFX90A:TG_SPLIT: 0
	.section	.text._Z39paged_attention_ll4mi_QKV_mfma16_kernelIDF16_DF16_LN4vllm18Fp8KVCacheDataTypeE0EDF16_Li32ELi128ELi256ELb0ELi7EL8MFMAType0EEvPKT_PKT0_S8_ifPKiSA_SA_iPKfiiiPfSD_PS3_PT2_iSC_SC_,"axG",@progbits,_Z39paged_attention_ll4mi_QKV_mfma16_kernelIDF16_DF16_LN4vllm18Fp8KVCacheDataTypeE0EDF16_Li32ELi128ELi256ELb0ELi7EL8MFMAType0EEvPKT_PKT0_S8_ifPKiSA_SA_iPKfiiiPfSD_PS3_PT2_iSC_SC_,comdat
	.protected	_Z39paged_attention_ll4mi_QKV_mfma16_kernelIDF16_DF16_LN4vllm18Fp8KVCacheDataTypeE0EDF16_Li32ELi128ELi256ELb0ELi7EL8MFMAType0EEvPKT_PKT0_S8_ifPKiSA_SA_iPKfiiiPfSD_PS3_PT2_iSC_SC_ ; -- Begin function _Z39paged_attention_ll4mi_QKV_mfma16_kernelIDF16_DF16_LN4vllm18Fp8KVCacheDataTypeE0EDF16_Li32ELi128ELi256ELb0ELi7EL8MFMAType0EEvPKT_PKT0_S8_ifPKiSA_SA_iPKfiiiPfSD_PS3_PT2_iSC_SC_
	.globl	_Z39paged_attention_ll4mi_QKV_mfma16_kernelIDF16_DF16_LN4vllm18Fp8KVCacheDataTypeE0EDF16_Li32ELi128ELi256ELb0ELi7EL8MFMAType0EEvPKT_PKT0_S8_ifPKiSA_SA_iPKfiiiPfSD_PS3_PT2_iSC_SC_
	.p2align	8
	.type	_Z39paged_attention_ll4mi_QKV_mfma16_kernelIDF16_DF16_LN4vllm18Fp8KVCacheDataTypeE0EDF16_Li32ELi128ELi256ELb0ELi7EL8MFMAType0EEvPKT_PKT0_S8_ifPKiSA_SA_iPKfiiiPfSD_PS3_PT2_iSC_SC_,@function
_Z39paged_attention_ll4mi_QKV_mfma16_kernelIDF16_DF16_LN4vllm18Fp8KVCacheDataTypeE0EDF16_Li32ELi128ELi256ELb0ELi7EL8MFMAType0EEvPKT_PKT0_S8_ifPKiSA_SA_iPKfiiiPfSD_PS3_PT2_iSC_SC_: ; @_Z39paged_attention_ll4mi_QKV_mfma16_kernelIDF16_DF16_LN4vllm18Fp8KVCacheDataTypeE0EDF16_Li32ELi128ELi256ELb0ELi7EL8MFMAType0EEvPKT_PKT0_S8_ifPKiSA_SA_iPKfiiiPfSD_PS3_PT2_iSC_SC_
; %bb.0:
	s_mov_b64 s[46:47], s[2:3]
	s_mov_b64 s[44:45], s[0:1]
	s_load_dwordx2 s[0:1], s[4:5], 0x30
	s_add_u32 s44, s44, s9
	s_addc_u32 s45, s45, 0
	s_mov_b32 s26, s7
	s_mov_b64 s[10:11], 0
	s_waitcnt lgkmcnt(0)
	s_cmp_lg_u64 s[0:1], 0
	s_cselect_b64 s[2:3], -1, 0
	s_and_b64 vcc, exec, s[2:3]
	s_cbranch_vccz .LBB178_7
; %bb.1:
	s_add_i32 s12, s6, 1
	s_mov_b32 s13, 0
	s_lshl_b64 s[14:15], s[12:13], 2
	s_add_u32 s14, s0, s14
	s_mov_b32 s7, s13
	s_addc_u32 s15, s1, s15
	s_lshl_b64 s[12:13], s[6:7], 2
	s_add_u32 s12, s0, s12
	s_addc_u32 s13, s1, s13
	s_load_dword s9, s[14:15], 0x0
	s_load_dword s16, s[12:13], 0x0
	s_waitcnt lgkmcnt(0)
	s_sub_i32 s9, s9, s16
	s_cmp_eq_u32 s9, 1
	s_cselect_b64 s[12:13], -1, 0
	s_andn2_b64 vcc, exec, s[10:11]
	s_cbranch_vccnz .LBB178_3
.LBB178_2:
	s_mov_b32 s7, 0
	s_mov_b64 s[12:13], -1
.LBB178_3:
	s_andn2_b64 vcc, exec, s[12:13]
	s_cbranch_vccnz .LBB178_20
; %bb.4:
	s_load_dwordx2 s[12:13], s[4:5], 0x28
	s_lshl_b64 s[10:11], s[6:7], 2
	s_waitcnt lgkmcnt(0)
	s_add_u32 s12, s12, s10
	s_addc_u32 s13, s13, s11
	s_load_dword s33, s[12:13], 0x0
	s_lshl_b32 s9, s26, 8
	s_waitcnt lgkmcnt(0)
	s_cmp_ge_i32 s9, s33
	s_cbranch_scc1 .LBB178_20
; %bb.5:
	s_add_i32 s15, s33, 31
	s_load_dwordx2 s[12:13], s[4:5], 0x20
	s_load_dword s14, s[4:5], 0x38
	s_ashr_i32 s16, s15, 31
	v_and_b32_e32 v1, 0xcf, v0
	s_lshr_b32 s16, s16, 27
	v_add_u32_e32 v1, s9, v1
	s_add_i32 s15, s15, s16
	v_ashrrev_i32_e32 v2, 31, v1
	s_ashr_i32 s18, s15, 5
	v_lshrrev_b32_e32 v10, 27, v2
	s_add_i32 s18, s18, -1
	v_add_u32_e32 v2, v1, v10
	s_waitcnt lgkmcnt(0)
	s_mul_i32 s14, s6, s14
	s_mov_b32 s15, 0
	v_ashrrev_i32_e32 v2, 5, v2
	v_mov_b32_e32 v11, s18
	v_cmp_gt_i32_e32 vcc, s33, v1
	s_lshl_b64 s[14:15], s[14:15], 2
	v_cndmask_b32_e32 v2, v11, v2, vcc
	s_add_u32 s16, s12, s14
	v_ashrrev_i32_e32 v3, 31, v2
	s_addc_u32 s17, s13, s15
	v_lshlrev_b64 v[2:3], 2, v[2:3]
	v_mov_b32_e32 v4, s17
	v_add_co_u32_e32 v2, vcc, s16, v2
	v_addc_co_u32_e32 v3, vcc, v4, v3, vcc
	v_or_b32_e32 v4, 16, v1
	v_add_u32_e32 v5, v4, v10
	v_ashrrev_i32_e32 v5, 5, v5
	v_cmp_gt_i32_e32 vcc, s33, v4
	v_cndmask_b32_e32 v4, v11, v5, vcc
	v_ashrrev_i32_e32 v5, 31, v4
	v_lshlrev_b64 v[4:5], 2, v[4:5]
	v_mov_b32_e32 v7, s17
	v_add_co_u32_e32 v6, vcc, s16, v4
	v_or_b32_e32 v4, 32, v1
	v_addc_co_u32_e32 v7, vcc, v7, v5, vcc
	v_add_u32_e32 v5, v4, v10
	v_ashrrev_i32_e32 v5, 5, v5
	v_cmp_gt_i32_e32 vcc, s33, v4
	v_cndmask_b32_e32 v4, v11, v5, vcc
	v_ashrrev_i32_e32 v5, 31, v4
	v_lshlrev_b64 v[4:5], 2, v[4:5]
	v_mov_b32_e32 v9, s17
	v_add_co_u32_e32 v8, vcc, s16, v4
	v_or_b32_e32 v1, 48, v1
	v_addc_co_u32_e32 v9, vcc, v9, v5, vcc
	v_add_u32_e32 v4, v1, v10
	v_ashrrev_i32_e32 v4, 5, v4
	v_cmp_gt_i32_e32 vcc, s33, v1
	v_cndmask_b32_e32 v4, v11, v4, vcc
	v_ashrrev_i32_e32 v5, 31, v4
	v_lshlrev_b64 v[4:5], 2, v[4:5]
	v_mov_b32_e32 v1, s17
	v_add_co_u32_e32 v10, vcc, s16, v4
	v_addc_co_u32_e32 v11, vcc, v1, v5, vcc
	global_load_dword v5, v[2:3], off
	global_load_dword v4, v[6:7], off
	;; [unrolled: 1-line block ×4, first 2 shown]
	s_andn2_b64 vcc, exec, s[2:3]
	s_cbranch_vccnz .LBB178_8
; %bb.6:
	s_add_u32 s0, s0, s10
	s_addc_u32 s1, s1, s11
	s_load_dword s19, s[0:1], 0x0
	s_branch .LBB178_9
.LBB178_7:
	s_mov_b64 s[12:13], 0
	s_branch .LBB178_2
.LBB178_8:
	s_mov_b32 s19, s6
.LBB178_9:
	s_load_dwordx4 s[12:15], s[4:5], 0x8
	s_load_dwordx4 s[0:3], s[4:5], 0x48
	v_lshrrev_b32_e32 v85, 6, v0
	v_bfe_u32 v1, v0, 4, 2
	v_lshl_or_b32 v6, v85, 2, v1
	v_and_b32_e32 v84, 15, v0
	v_lshlrev_b32_e32 v2, 3, v84
	v_cmp_lt_u32_e32 vcc, 6, v6
	s_and_saveexec_b64 s[10:11], vcc
	s_xor_b64 s[10:11], exec, s[10:11]
; %bb.10:
	v_mov_b32_e32 v3, 0
                                        ; implicit-def: $vgpr6
; %bb.11:
	s_or_saveexec_b64 s[10:11], s[10:11]
	v_and_b32_e32 v86, 63, v0
	s_mul_i32 s27, s8, 7
	s_xor_b64 exec, exec, s[10:11]
	s_cbranch_execz .LBB178_13
; %bb.12:
	s_load_dwordx2 s[20:21], s[4:5], 0x0
	s_waitcnt lgkmcnt(0)
	s_ashr_i32 s3, s0, 31
	s_mul_hi_u32 s22, s19, s0
	s_mul_i32 s3, s19, s3
	s_add_i32 s23, s22, s3
	s_mul_i32 s22, s19, s0
	s_lshl_b64 s[22:23], s[22:23], 1
	v_add_lshl_u32 v8, v6, s27, 7
	s_add_u32 s0, s20, s22
	v_ashrrev_i32_e32 v9, 31, v8
	s_addc_u32 s3, s21, s23
	v_lshlrev_b64 v[8:9], 1, v[8:9]
	v_mov_b32_e32 v3, s3
	v_add_co_u32_e32 v7, vcc, s0, v8
	v_addc_co_u32_e32 v3, vcc, v3, v9, vcc
	v_lshlrev_b32_e32 v8, 1, v2
	v_add_co_u32_e32 v8, vcc, v7, v8
	v_addc_co_u32_e32 v9, vcc, 0, v3, vcc
	global_load_dwordx4 v[8:11], v[8:9], off
	v_and_b32_e32 v7, 3, v0
	v_lshlrev_b32_e32 v12, 9, v84
	v_lshlrev_b32_e32 v6, 5, v6
	v_lshlrev_b32_e32 v7, 9, v7
	v_and_b32_e32 v12, 0x1800, v12
	v_mov_b32_e32 v3, 0
	v_or3_b32 v6, v12, v7, v6
	s_waitcnt vmcnt(0)
	ds_write_b128 v6, v[8:11]
.LBB178_13:
	s_or_b64 exec, exec, s[10:11]
	s_waitcnt lgkmcnt(0)
	s_mul_i32 s2, s8, s2
	s_mov_b32 s3, 0
	s_lshl_b64 s[2:3], s[2:3], 1
	s_add_u32 s8, s12, s2
	s_addc_u32 s10, s13, s3
	s_waitcnt vmcnt(3)
	v_mad_i64_i32 v[6:7], s[12:13], v5, s1, 0
	v_lshlrev_b64 v[6:7], 1, v[6:7]
	v_mov_b32_e32 v5, s10
	v_add_co_u32_e32 v6, vcc, s8, v6
	v_addc_co_u32_e32 v5, vcc, v5, v7, vcc
	v_lshlrev_b64 v[50:51], 1, v[2:3]
	v_add_co_u32_e32 v27, vcc, v6, v50
	v_lshlrev_b32_e32 v26, 9, v1
	v_addc_co_u32_e32 v28, vcc, v5, v51, vcc
	v_add_co_u32_e32 v2, vcc, v27, v26
	s_waitcnt vmcnt(2)
	v_mad_i64_i32 v[4:5], s[12:13], v4, s1, 0
	v_addc_co_u32_e32 v3, vcc, 0, v28, vcc
	v_lshlrev_b64 v[4:5], 1, v[4:5]
	v_mov_b32_e32 v6, s10
	v_add_co_u32_e32 v4, vcc, s8, v4
	s_load_dword s40, s[4:5], 0x98
	s_load_dword s0, s[4:5], 0x1c
	s_waitcnt lgkmcnt(0)
	s_barrier
	global_load_dwordx4 v[10:13], v[2:3], off
	global_load_dwordx4 v[14:17], v[2:3], off offset:2048
	v_addc_co_u32_e32 v5, vcc, v6, v5, vcc
	v_mov_b32_e32 v6, 0x100
	v_lshl_or_b32 v29, v84, 4, v6
	v_add_co_u32_e32 v31, vcc, v4, v29
	v_addc_co_u32_e32 v32, vcc, 0, v5, vcc
	v_add_co_u32_e32 v22, vcc, v31, v26
	v_addc_co_u32_e32 v23, vcc, 0, v32, vcc
	global_load_dwordx4 v[18:21], v[22:23], off
	v_mul_lo_u16_e32 v4, 37, v84
	v_mov_b32_e32 v2, 7
	v_mul_lo_u16_sdwa v2, v4, v2 dst_sel:DWORD dst_unused:UNUSED_PAD src0_sel:BYTE_1 src1_sel:DWORD
	v_sub_u16_e32 v2, v84, v2
	v_and_b32_e32 v2, 0xff, v2
	v_lshl_add_u32 v30, v2, 5, v26
	ds_read_b128 v[6:9], v30
	ds_read_b128 v[2:5], v30 offset:2048
	v_or_b32_e32 v54, 0x1000, v26
	global_load_dwordx4 v[38:41], v[22:23], off offset:2048
	v_or_b32_e32 v70, 0x1800, v26
	s_ashr_i32 s11, s9, 31
	v_and_or_b32 v66, v0, 48, s9
	v_lshl_or_b32 v87, v85, 4, v84
	v_lshlrev_b32_e32 v91, 6, v87
	s_mov_b32 s41, 0xff7fffff
	s_waitcnt vmcnt(3) lgkmcnt(1)
	v_mfma_f32_16x16x16f16 v[34:37], v[10:11], v[6:7], 0
	s_waitcnt vmcnt(1)
	v_mfma_f32_16x16x16f16 v[42:45], v[18:19], v[6:7], 0
	v_add_co_u32_e32 v18, vcc, v27, v54
	v_addc_co_u32_e32 v19, vcc, 0, v28, vcc
	v_mfma_f32_16x16x16f16 v[10:13], v[12:13], v[8:9], v[34:37]
	s_nop 6
	global_load_dwordx4 v[34:37], v[18:19], off
	v_add_co_u32_e32 v22, vcc, v31, v54
	v_addc_co_u32_e32 v23, vcc, 0, v32, vcc
	v_mfma_f32_16x16x16f16 v[18:21], v[20:21], v[8:9], v[42:45]
	s_nop 6
	global_load_dwordx4 v[42:45], v[22:23], off
	v_add_co_u32_e32 v22, vcc, v27, v70
	v_addc_co_u32_e32 v23, vcc, 0, v28, vcc
	s_waitcnt lgkmcnt(0)
	v_mfma_f32_16x16x16f16 v[10:13], v[14:15], v[2:3], v[10:13]
	global_load_dwordx4 v[46:49], v[22:23], off
	v_mad_i64_i32 v[14:15], s[12:13], v25, s1, 0
	v_add_co_u32_e32 v22, vcc, v31, v70
	v_lshlrev_b64 v[14:15], 1, v[14:15]
	v_addc_co_u32_e32 v23, vcc, 0, v32, vcc
	global_load_dwordx4 v[58:61], v[22:23], off
	v_mov_b32_e32 v22, s10
	v_add_co_u32_e32 v23, vcc, s8, v14
	v_addc_co_u32_e32 v22, vcc, v22, v15, vcc
	v_add_co_u32_e32 v27, vcc, v23, v50
	buffer_store_dword v50, off, s[44:47], 0 ; 4-byte Folded Spill
	s_nop 0
	buffer_store_dword v51, off, s[44:47], 0 offset:4 ; 4-byte Folded Spill
	s_waitcnt vmcnt(6)
	v_mfma_f32_16x16x16f16 v[18:21], v[38:39], v[2:3], v[18:21]
	v_addc_co_u32_e32 v28, vcc, v22, v51, vcc
	v_add_co_u32_e32 v22, vcc, v27, v26
	v_addc_co_u32_e32 v23, vcc, 0, v28, vcc
	v_mfma_f32_16x16x16f16 v[18:21], v[40:41], v[4:5], v[18:21]
	global_load_dwordx4 v[38:41], v[22:23], off
	v_mfma_f32_16x16x16f16 v[14:17], v[16:17], v[4:5], v[10:13]
	s_nop 6
	ds_read_b128 v[10:13], v30 offset:4096
	ds_read_b128 v[50:53], v30 offset:6144
	global_load_dwordx4 v[30:33], v[22:23], off offset:2048
	v_mad_i64_i32 v[22:23], s[12:13], v24, s1, 0
	s_waitcnt vmcnt(7) lgkmcnt(1)
	v_mfma_f32_16x16x16f16 v[14:17], v[34:35], v[10:11], v[14:17]
	v_lshlrev_b64 v[34:35], 1, v[22:23]
	v_add_co_u32_e32 v22, vcc, v27, v54
	v_addc_co_u32_e32 v23, vcc, 0, v28, vcc
	global_load_dwordx4 v[22:25], v[22:23], off
	v_add_co_u32_e32 v34, vcc, s8, v34
	s_waitcnt vmcnt(7)
	v_mfma_f32_16x16x16f16 v[18:21], v[42:43], v[10:11], v[18:21]
	v_mov_b32_e32 v42, s10
	v_addc_co_u32_e32 v35, vcc, v42, v35, vcc
	v_add_co_u32_e32 v71, vcc, v34, v29
	v_addc_co_u32_e32 v72, vcc, 0, v35, vcc
	v_mfma_f32_16x16x16f16 v[14:17], v[36:37], v[12:13], v[14:17]
	v_add_co_u32_e32 v34, vcc, v27, v70
	v_addc_co_u32_e32 v35, vcc, 0, v28, vcc
	v_add_co_u32_e32 v42, vcc, v71, v26
	v_addc_co_u32_e32 v43, vcc, 0, v72, vcc
	v_mfma_f32_16x16x16f16 v[18:21], v[44:45], v[12:13], v[18:21]
	s_lshr_b32 s10, s11, 27
	v_add_co_u32_e32 v44, vcc, v71, v54
	v_addc_co_u32_e32 v45, vcc, 0, v72, vcc
	v_cmp_gt_i32_e32 vcc, s33, v66
	s_add_u32 s2, s14, s2
	s_waitcnt vmcnt(6) lgkmcnt(0)
	v_mfma_f32_16x16x16f16 v[26:29], v[46:47], v[50:51], v[14:17]
	global_load_dwordx4 v[34:37], v[34:35], off
	s_nop 0
	global_load_dwordx4 v[62:65], v[42:43], off
	s_nop 3
	global_load_dwordx4 v[14:17], v[42:43], off offset:2048
	v_mov_b32_e32 v42, s17
	s_addc_u32 s3, s15, s3
	v_mfma_f32_16x16x16f16 v[54:57], v[48:49], v[52:53], v[26:29]
	s_nop 6
	v_add_u32_e32 v26, s10, v66
	s_waitcnt vmcnt(8)
	v_mfma_f32_16x16x16f16 v[18:21], v[58:59], v[50:51], v[18:21]
	v_ashrrev_i32_e32 v26, 5, v26
	v_mov_b32_e32 v28, s18
	v_cndmask_b32_e32 v26, v28, v26, vcc
	v_ashrrev_i32_e32 v27, 31, v26
	v_lshlrev_b64 v[26:27], 2, v[26:27]
	v_mov_b32_e32 v29, s17
	v_add_co_u32_e32 v26, vcc, s16, v26
	v_addc_co_u32_e32 v27, vcc, v29, v27, vcc
	global_load_dword v29, v[26:27], off
	v_or_b32_e32 v26, 64, v66
	v_mfma_f32_16x16x16f16 v[58:61], v[60:61], v[52:53], v[18:21]
	v_cmp_gt_i32_e32 vcc, s33, v26
	s_nop 5
	v_add_u32_e32 v18, s10, v26
	v_ashrrev_i32_e32 v18, 5, v18
	v_cndmask_b32_e32 v18, v28, v18, vcc
	v_ashrrev_i32_e32 v19, 31, v18
	v_lshlrev_b64 v[26:27], 2, v[18:19]
	s_waitcnt vmcnt(6)
	v_mfma_f32_16x16x16f16 v[18:21], v[38:39], v[6:7], 0
	v_add_co_u32_e32 v26, vcc, s16, v26
	v_addc_co_u32_e32 v27, vcc, v42, v27, vcc
	global_load_dword v38, v[26:27], off
	v_or_b32_e32 v26, 0x80, v66
	v_add_u32_e32 v27, s10, v26
	v_mfma_f32_16x16x16f16 v[18:21], v[40:41], v[8:9], v[18:21]
	v_ashrrev_i32_e32 v27, 5, v27
	v_cmp_gt_i32_e32 vcc, s33, v26
	v_cndmask_b32_e32 v26, v28, v27, vcc
	v_ashrrev_i32_e32 v27, 31, v26
	v_lshlrev_b64 v[26:27], 2, v[26:27]
	v_mov_b32_e32 v39, s17
	v_add_co_u32_e32 v26, vcc, s16, v26
	v_addc_co_u32_e32 v27, vcc, v39, v27, vcc
	s_waitcnt vmcnt(6)
	v_mfma_f32_16x16x16f16 v[18:21], v[30:31], v[2:3], v[18:21]
	global_load_dword v30, v[26:27], off
	v_or_b32_e32 v26, 0xc0, v66
	global_load_dwordx4 v[66:69], v[44:45], off
	v_add_u32_e32 v27, s10, v26
	v_ashrrev_i32_e32 v27, 5, v27
	v_cmp_gt_i32_e32 vcc, s33, v26
	v_cndmask_b32_e32 v26, v28, v27, vcc
	v_mfma_f32_16x16x16f16 v[18:21], v[32:33], v[4:5], v[18:21]
	v_ashrrev_i32_e32 v27, 31, v26
	v_lshlrev_b64 v[26:27], 2, v[26:27]
	v_mov_b32_e32 v28, s17
	v_add_co_u32_e32 v26, vcc, s16, v26
	v_addc_co_u32_e32 v27, vcc, v28, v27, vcc
	global_load_dword v88, v[26:27], off
	s_waitcnt vmcnt(8)
	v_mfma_f32_16x16x16f16 v[18:21], v[22:23], v[10:11], v[18:21]
	v_add_co_u32_e32 v22, vcc, v71, v70
	v_addc_co_u32_e32 v23, vcc, 0, v72, vcc
	global_load_dwordx4 v[70:73], v[22:23], off
	v_and_b32_e32 v22, 16, v0
	v_lshlrev_b32_e32 v22, 1, v22
	v_mfma_f32_16x16x16f16 v[18:21], v[24:25], v[12:13], v[18:21]
	v_mov_b32_e32 v23, s3
	v_add_co_u32_e32 v89, vcc, s2, v22
	v_addc_co_u32_e32 v90, vcc, 0, v23, vcc
	v_add_co_u32_e32 v22, vcc, v89, v91
	s_waitcnt vmcnt(8)
	v_mfma_f32_16x16x16f16 v[18:21], v[34:35], v[50:51], v[18:21]
	v_addc_co_u32_e32 v23, vcc, 0, v90, vcc
	v_mfma_f32_16x16x16f16 v[76:79], v[36:37], v[52:53], v[18:21]
	s_waitcnt vmcnt(5)
	s_nop 7
	v_mad_i64_i32 v[18:19], s[2:3], v29, s1, 0
	v_lshlrev_b64 v[80:81], 1, v[18:19]
	v_mfma_f32_16x16x16f16 v[18:21], v[62:63], v[6:7], 0
	v_add_co_u32_e32 v6, vcc, v22, v80
	v_addc_co_u32_e32 v7, vcc, v23, v81, vcc
	global_load_dwordx4 v[46:49], v[6:7], off
	global_load_dwordx4 v[42:45], v[6:7], off offset:16
	v_pk_mul_f32 v[76:77], s[0:1], v[76:77] op_sel_hi:[0,1]
	v_pk_mul_f32 v[78:79], s[0:1], v[78:79] op_sel_hi:[0,1]
	s_waitcnt vmcnt(6)
	v_mad_i64_i32 v[6:7], s[2:3], v38, s1, 0
	v_lshlrev_b64 v[82:83], 1, v[6:7]
	v_mfma_f32_16x16x16f16 v[6:9], v[64:65], v[8:9], v[18:21]
	v_mfma_f32_16x16x16f16 v[6:9], v[14:15], v[2:3], v[6:9]
	s_nop 5
	v_add_co_u32_e32 v18, vcc, v22, v82
	v_addc_co_u32_e32 v19, vcc, v23, v83, vcc
	global_load_dwordx4 v[38:41], v[18:19], off
	global_load_dwordx4 v[34:37], v[18:19], off offset:16
	s_waitcnt vmcnt(7)
	v_mad_i64_i32 v[18:19], s[2:3], v30, s1, 0
	v_lshlrev_b64 v[64:65], 1, v[18:19]
	v_add_co_u32_e32 v2, vcc, v22, v64
	v_addc_co_u32_e32 v3, vcc, v23, v65, vcc
	global_load_dwordx4 v[30:33], v[2:3], off
	global_load_dwordx4 v[26:29], v[2:3], off offset:16
	v_mfma_f32_16x16x16f16 v[2:5], v[16:17], v[4:5], v[6:9]
	s_waitcnt vmcnt(8)
	v_mfma_f32_16x16x16f16 v[2:5], v[66:67], v[10:11], v[2:5]
	s_waitcnt vmcnt(7)
	s_nop 3
	v_mad_i64_i32 v[6:7], s[2:3], v88, s1, 0
	v_lshlrev_b64 v[62:63], 1, v[6:7]
	v_add_co_u32_e32 v6, vcc, v22, v62
	v_addc_co_u32_e32 v7, vcc, v23, v63, vcc
	v_mfma_f32_16x16x16f16 v[10:13], v[68:69], v[12:13], v[2:5]
	global_load_dwordx4 v[22:25], v[6:7], off
	global_load_dwordx4 v[18:21], v[6:7], off offset:16
	v_or_b32_e32 v6, 0x1000, v91
	v_add_co_u32_e32 v92, vcc, v89, v6
	v_addc_co_u32_e32 v93, vcc, 0, v90, vcc
	s_nop 1
	v_add_co_u32_e32 v2, vcc, v92, v80
	s_waitcnt vmcnt(8)
	v_mfma_f32_16x16x16f16 v[88:91], v[70:71], v[50:51], v[10:13]
	v_addc_co_u32_e32 v3, vcc, v93, v81, vcc
	v_add_co_u32_e32 v66, vcc, v92, v82
	v_addc_co_u32_e32 v67, vcc, v93, v83, vcc
	global_load_dwordx4 v[6:9], v[2:3], off
	s_nop 0
	global_load_dwordx4 v[2:5], v[2:3], off offset:16
	v_mfma_f32_16x16x16f16 v[50:53], v[72:73], v[52:53], v[88:91]
	global_load_dwordx4 v[14:17], v[66:67], off
	global_load_dwordx4 v[10:13], v[66:67], off offset:16
	v_pk_mul_f32 v[68:69], s[0:1], v[54:55] op_sel_hi:[0,1]
	v_pk_mul_f32 v[80:81], s[0:1], v[56:57] op_sel_hi:[0,1]
	;; [unrolled: 1-line block ×4, first 2 shown]
	s_nop 4
	v_pk_mul_f32 v[72:73], s[0:1], v[50:51] op_sel_hi:[0,1]
	v_and_b32_e32 v50, 0xc0, v0
	v_add_u32_e32 v50, s9, v50
	v_lshl_or_b32 v50, v1, 2, v50
	v_pk_mul_f32 v[66:67], s[0:1], v[52:53] op_sel_hi:[0,1]
	v_or_b32_e32 v53, 1, v50
	v_mov_b32_e32 v51, 0xff7fffff
	v_cmp_gt_i32_e64 s[28:29], s33, v50
	v_cmp_gt_i32_e64 s[30:31], s33, v53
	v_cndmask_b32_e64 v52, v51, v68, s[28:29]
	v_cndmask_b32_e64 v53, v51, v69, s[30:31]
	v_max3_f32 v52, v52, s41, v53
	v_or_b32_e32 v53, 2, v50
	v_or_b32_e32 v54, 3, v50
	v_cmp_gt_i32_e64 s[34:35], s33, v53
	v_cmp_gt_i32_e64 s[36:37], s33, v54
	v_cndmask_b32_e64 v53, v51, v80, s[34:35]
	v_cndmask_b32_e64 v54, v51, v81, s[36:37]
	v_max3_f32 v52, v52, v53, v54
	v_or_b32_e32 v53, 16, v50
	v_or_b32_e32 v54, 17, v50
	;; [unrolled: 7-line block ×7, first 2 shown]
	v_cmp_gt_i32_e32 vcc, s33, v53
	v_cmp_gt_i32_e64 s[0:1], s33, v50
	v_cndmask_b32_e32 v53, v51, v66, vcc
	v_cndmask_b32_e64 v50, v51, v67, s[0:1]
	v_max3_f32 v58, v52, v53, v50
	v_mbcnt_lo_u32_b32 v50, -1, 0
	v_mbcnt_hi_u32_b32 v59, -1, v50
	v_and_b32_e32 v50, 64, v59
	v_add_u32_e32 v60, 64, v50
	v_xor_b32_e32 v50, 32, v59
	v_cmp_lt_i32_e64 s[38:39], v50, v60
	v_cndmask_b32_e64 v50, v59, v50, s[38:39]
	v_lshlrev_b32_e32 v89, 2, v50
	ds_bpermute_b32 v61, v89, v58
	v_add_co_u32_e64 v50, s[38:39], v92, v64
	v_addc_co_u32_e64 v51, s[38:39], v93, v65, s[38:39]
	s_waitcnt lgkmcnt(0)
	v_max_f32_e32 v61, v61, v61
	v_max_f32_e32 v61, v58, v61
	v_xor_b32_e32 v58, 16, v59
	v_cmp_lt_i32_e64 s[38:39], v58, v60
	v_cndmask_b32_e64 v58, v59, v58, s[38:39]
	v_lshlrev_b32_e32 v90, 2, v58
	ds_bpermute_b32 v60, v90, v61
	v_add_co_u32_e64 v58, s[38:39], v92, v62
	v_addc_co_u32_e64 v59, s[38:39], v93, v63, s[38:39]
	s_waitcnt lgkmcnt(0)
	v_max_f32_e32 v60, v60, v60
	v_max_f32_e32 v88, v61, v60
	v_sub_f32_e32 v60, v68, v88
	v_mul_f32_e32 v60, 0x3fb8aa3b, v60
	v_exp_f32_e32 v68, v60
	v_sub_f32_e32 v60, v69, v88
	v_mul_f32_e32 v60, 0x3fb8aa3b, v60
	global_load_dwordx4 v[54:57], v[50:51], off
	s_nop 0
	global_load_dwordx4 v[50:53], v[50:51], off offset:16
	v_exp_f32_e32 v69, v60
	global_load_dwordx4 v[62:65], v[58:59], off
	s_nop 0
	global_load_dwordx4 v[58:61], v[58:59], off offset:16
	v_sub_f32_e32 v80, v80, v88
	v_mul_f32_e32 v80, 0x3fb8aa3b, v80
	v_sub_f32_e32 v81, v81, v88
	v_exp_f32_e32 v80, v80
	v_mul_f32_e32 v81, 0x3fb8aa3b, v81
	v_sub_f32_e32 v70, v70, v88
	v_exp_f32_e32 v81, v81
	v_mul_f32_e32 v70, 0x3fb8aa3b, v70
	v_sub_f32_e32 v71, v71, v88
	v_cndmask_b32_e64 v68, 0, v68, s[28:29]
	v_exp_f32_e32 v70, v70
	v_mul_f32_e32 v71, 0x3fb8aa3b, v71
	v_sub_f32_e32 v82, v82, v88
	v_add_f32_e32 v91, 0, v68
	v_cndmask_b32_e64 v69, 0, v69, s[30:31]
	v_exp_f32_e32 v71, v71
	v_mul_f32_e32 v82, 0x3fb8aa3b, v82
	v_sub_f32_e32 v83, v83, v88
	v_add_f32_e32 v91, v91, v69
	;; [unrolled: 5-line block ×10, first 2 shown]
	v_cndmask_b32_e64 v78, 0, v78, s[10:11]
	v_exp_f32_e32 v66, v66
	v_mul_f32_e32 v67, 0x3fb8aa3b, v67
	v_add_f32_e32 v91, v91, v78
	v_cndmask_b32_e64 v79, 0, v79, s[12:13]
	v_exp_f32_e32 v67, v67
	v_add_f32_e32 v91, v91, v79
	v_cndmask_b32_e64 v72, 0, v72, s[2:3]
	v_add_f32_e32 v91, v91, v72
	v_cndmask_b32_e64 v73, 0, v73, s[8:9]
	v_add_f32_e32 v91, v91, v73
	v_cndmask_b32_e32 v66, 0, v66, vcc
	v_add_f32_e32 v91, v91, v66
	v_cndmask_b32_e64 v67, 0, v67, s[0:1]
	v_add_f32_e32 v91, v91, v67
	ds_bpermute_b32 v89, v89, v91
	v_cmp_gt_u32_e32 vcc, 16, v86
	s_waitcnt lgkmcnt(0)
	s_barrier
	v_add_f32_e32 v89, v91, v89
	ds_bpermute_b32 v90, v90, v89
	s_and_saveexec_b64 s[0:1], vcc
	s_cbranch_execz .LBB178_15
; %bb.14:
	s_waitcnt lgkmcnt(0)
	v_add_f32_e32 v86, v89, v90
	v_lshlrev_b32_e32 v87, 2, v87
	ds_write2st64_b32 v87, v88, v86 offset1:1
.LBB178_15:
	s_or_b64 exec, exec, s[0:1]
	v_lshlrev_b32_e32 v87, 2, v84
	s_load_dword s2, s[4:5], 0x94
	s_waitcnt lgkmcnt(0)
	s_barrier
	ds_read2_b32 v[88:89], v87 offset1:16
	ds_read2_b32 v[90:91], v87 offset0:32 offset1:48
	ds_read2_b32 v[92:93], v87 offset0:64 offset1:80
	s_mul_i32 s3, s40, 7
	s_waitcnt lgkmcnt(2)
	v_max3_f32 v86, v88, s41, v89
	s_waitcnt lgkmcnt(1)
	v_max3_f32 v86, v86, v90, v91
	v_sub_f32_e32 v88, v88, v86
	v_mul_f32_e32 v88, 0x3fb8aa3b, v88
	v_exp_f32_e32 v94, v88
	v_sub_f32_e32 v88, v89, v86
	v_mul_f32_e32 v88, 0x3fb8aa3b, v88
	v_exp_f32_e32 v95, v88
	;; [unrolled: 3-line block ×3, first 2 shown]
	ds_read2_b32 v[88:89], v87 offset0:96 offset1:112
	v_sub_f32_e32 v87, v91, v86
	v_mul_f32_e32 v87, 0x3fb8aa3b, v87
	v_exp_f32_e32 v91, v87
	s_waitcnt lgkmcnt(1)
	v_fma_f32 v87, v94, v92, 0
	v_fmac_f32_e32 v87, v95, v93
	s_waitcnt lgkmcnt(0)
	v_fmac_f32_e32 v87, v90, v88
	v_fmac_f32_e32 v87, v91, v89
	v_add_f32_e32 v88, 0x358637bd, v87
	v_div_scale_f32 v89, s[0:1], v88, v88, 1.0
	v_rcp_f32_e32 v92, v89
	s_barrier
	v_fma_f32 v93, -v89, v92, 1.0
	v_fmac_f32_e32 v92, v93, v92
	v_div_scale_f32 v93, vcc, 1.0, v88, 1.0
	v_mul_f32_e32 v74, v93, v92
	v_fma_f32 v75, -v89, v74, v93
	v_fmac_f32_e32 v74, v75, v92
	v_fma_f32 v75, -v89, v74, v93
	v_div_fmas_f32 v74, v75, v92, v74
	v_cmp_eq_u32_e32 vcc, 1, v85
	v_cndmask_b32_e32 v75, v94, v95, vcc
	v_cmp_eq_u32_e32 vcc, 2, v85
	v_cndmask_b32_e32 v75, v75, v90, vcc
	v_cmp_eq_u32_e32 vcc, 3, v85
	v_div_fixup_f32 v74, v74, v88, 1.0
	v_cndmask_b32_e32 v75, v75, v91, vcc
	v_mul_f32_e32 v88, v75, v74
	v_pk_mul_f32 v[80:81], v[88:89], v[80:81] op_sel_hi:[0,1]
	v_cvt_f16_f32_e32 v74, v80
	v_cvt_f16_f32_e32 v75, v81
	v_pk_mul_f32 v[68:69], v[88:89], v[68:69] op_sel_hi:[0,1]
	v_cvt_f16_f32_e32 v68, v68
	v_cvt_f16_f32_e32 v69, v69
	v_pk_mul_f32 v[80:81], v[88:89], v[82:83] op_sel_hi:[0,1]
	v_pk_mul_f32 v[70:71], v[88:89], v[70:71] op_sel_hi:[0,1]
	v_pack_b32_f16 v91, v74, v75
	v_cvt_f16_f32_e32 v70, v70
	v_cvt_f16_f32_e32 v71, v71
	;; [unrolled: 1-line block ×4, first 2 shown]
	v_pack_b32_f16 v90, v68, v69
	v_lshlrev_b32_e32 v69, 3, v1
	v_lshlrev_b32_e32 v68, 5, v84
	;; [unrolled: 1-line block ×3, first 2 shown]
	v_or3_b32 v80, v80, v68, v69
	v_pack_b32_f16 v70, v70, v71
	v_pack_b32_f16 v71, v74, v75
	ds_write2st64_b64 v80, v[90:91], v[70:71] offset1:1
	v_pk_mul_f32 v[70:71], v[88:89], v[78:79] op_sel_hi:[0,1]
	v_pk_mul_f32 v[76:77], v[88:89], v[76:77] op_sel_hi:[0,1]
	v_cvt_f16_f32_e32 v69, v76
	v_cvt_f16_f32_e32 v75, v70
	;; [unrolled: 1-line block ×3, first 2 shown]
	v_pk_mul_f32 v[66:67], v[88:89], v[66:67] op_sel_hi:[0,1]
	v_pk_mul_f32 v[70:71], v[88:89], v[72:73] op_sel_hi:[0,1]
	v_cvt_f16_f32_e32 v74, v77
	v_cvt_f16_f32_e32 v70, v70
	;; [unrolled: 1-line block ×5, first 2 shown]
	v_pack_b32_f16 v66, v69, v74
	v_pack_b32_f16 v67, v75, v76
	;; [unrolled: 1-line block ×4, first 2 shown]
	v_cmp_gt_u32_e32 vcc, 7, v0
	ds_write2st64_b64 v80, v[66:67], v[70:71] offset0:2 offset1:3
	s_and_saveexec_b64 s[0:1], vcc
	s_cbranch_execz .LBB178_17
; %bb.16:
	v_add_co_u32_e32 v70, vcc, s27, v84
	v_addc_co_u32_e64 v71, s[12:13], 0, 0, vcc
	v_mov_b32_e32 v66, s3
	v_mov_b32_e32 v67, 0
	v_mad_u64_u32 v[70:71], s[12:13], s6, v66, v[70:71]
	v_mov_b32_e32 v66, s26
	s_load_dwordx4 s[8:11], s[4:5], 0x58
	s_mul_i32 s7, s7, s3
	v_mad_u64_u32 v[66:67], s[12:13], v70, s2, v[66:67]
	v_add_u32_e32 v69, s7, v71
	v_mov_b32_e32 v70, v67
	v_mad_u64_u32 v[70:71], s[12:13], v69, s2, v[70:71]
	v_mov_b32_e32 v67, v70
	v_lshlrev_b64 v[66:67], 2, v[66:67]
	s_waitcnt lgkmcnt(0)
	v_mov_b32_e32 v69, s11
	v_add_co_u32_e32 v70, vcc, s10, v66
	v_addc_co_u32_e32 v71, vcc, v69, v67, vcc
	v_mov_b32_e32 v69, s9
	v_add_co_u32_e32 v66, vcc, s8, v66
	v_addc_co_u32_e32 v67, vcc, v69, v67, vcc
	global_store_dword v[70:71], v86, off
	global_store_dword v[66:67], v87, off
.LBB178_17:
	s_or_b64 exec, exec, s[0:1]
	v_lshl_or_b32 v74, v1, 9, v68
	s_waitcnt lgkmcnt(0)
	s_barrier
	ds_read_b128 v[70:73], v74
	ds_read_b128 v[66:69], v74 offset:16
	s_waitcnt vmcnt(15) lgkmcnt(1)
	v_mfma_f32_16x16x16f16 v[76:79], v[46:47], v[70:71], 0
	s_mov_b32 s1, 0
	v_cmp_gt_u32_e32 vcc, 64, v0
	v_mfma_f32_16x16x16f16 v[46:49], v[48:49], v[72:73], v[76:79]
	s_waitcnt vmcnt(14) lgkmcnt(0)
	v_mfma_f32_16x16x16f16 v[46:49], v[42:43], v[66:67], v[46:49]
	v_mfma_f32_16x16x16f16 v[42:45], v[44:45], v[68:69], v[46:49]
	s_nop 7
	s_nop 1
	ds_read_b128 v[46:49], v74 offset:2048
	ds_read_b128 v[76:79], v74 offset:2064
	s_waitcnt vmcnt(13) lgkmcnt(1)
	v_mfma_f32_16x16x16f16 v[42:45], v[38:39], v[46:47], v[42:45]
	v_mfma_f32_16x16x16f16 v[38:41], v[40:41], v[48:49], v[42:45]
	s_waitcnt vmcnt(12) lgkmcnt(0)
	v_mfma_f32_16x16x16f16 v[38:41], v[34:35], v[76:77], v[38:41]
	v_mfma_f32_16x16x16f16 v[34:37], v[36:37], v[78:79], v[38:41]
	s_nop 7
	s_nop 1
	ds_read_b128 v[38:41], v74 offset:4096
	ds_read_b128 v[42:45], v74 offset:4112
	s_waitcnt vmcnt(11) lgkmcnt(1)
	v_mfma_f32_16x16x16f16 v[34:37], v[30:31], v[38:39], v[34:37]
	v_mfma_f32_16x16x16f16 v[30:33], v[32:33], v[40:41], v[34:37]
	s_waitcnt vmcnt(10) lgkmcnt(0)
	v_mfma_f32_16x16x16f16 v[30:33], v[26:27], v[42:43], v[30:33]
	v_mfma_f32_16x16x16f16 v[26:29], v[28:29], v[44:45], v[30:33]
	s_nop 7
	s_nop 1
	ds_read_b128 v[30:33], v74 offset:6144
	ds_read_b128 v[34:37], v74 offset:6160
	s_waitcnt lgkmcnt(0)
	s_barrier
	s_waitcnt vmcnt(9)
	v_mfma_f32_16x16x16f16 v[26:29], v[22:23], v[30:31], v[26:29]
	v_mfma_f32_16x16x16f16 v[22:25], v[24:25], v[32:33], v[26:29]
	s_waitcnt vmcnt(8)
	v_mfma_f32_16x16x16f16 v[22:25], v[18:19], v[34:35], v[22:25]
	v_mfma_f32_16x16x16f16 v[18:21], v[20:21], v[36:37], v[22:25]
	;; [unrolled: 3-line block ×4, first 2 shown]
	s_waitcnt vmcnt(5)
	v_mfma_f32_16x16x16f16 v[2:5], v[14:15], v[46:47], v[2:5]
	s_nop 7
	v_cvt_f16_f32_e32 v6, v18
	v_cvt_f16_f32_e32 v7, v19
	;; [unrolled: 1-line block ×4, first 2 shown]
	v_mfma_f32_16x16x16f16 v[2:5], v[16:17], v[48:49], v[2:5]
	s_waitcnt vmcnt(4)
	v_mfma_f32_16x16x16f16 v[2:5], v[10:11], v[76:77], v[2:5]
	v_mfma_f32_16x16x16f16 v[2:5], v[12:13], v[78:79], v[2:5]
	s_waitcnt vmcnt(3)
	v_mfma_f32_16x16x16f16 v[2:5], v[54:55], v[38:39], v[2:5]
	;; [unrolled: 3-line block ×5, first 2 shown]
	v_mfma_f32_16x16x16f16 v[2:5], v[60:61], v[36:37], v[2:5]
	s_nop 7
	s_nop 2
	v_cvt_f16_f32_e32 v10, v2
	v_cvt_f16_f32_e32 v11, v3
	;; [unrolled: 1-line block ×4, first 2 shown]
	v_pack_b32_f16 v2, v6, v7
	v_pack_b32_f16 v3, v8, v9
	;; [unrolled: 1-line block ×4, first 2 shown]
	ds_write2st64_b64 v80, v[2:3], v[4:5] offset1:1
	s_waitcnt lgkmcnt(0)
	s_barrier
	s_and_saveexec_b64 s[8:9], vcc
	s_cbranch_execz .LBB178_20
; %bb.18:
	v_lshlrev_b32_e32 v4, 6, v84
	v_lshlrev_b32_e32 v3, 4, v0
	v_lshl_or_b32 v0, v0, 10, v4
	buffer_load_dword v4, off, s[44:47], 0  ; 4-byte Folded Reload
	buffer_load_dword v5, off, s[44:47], 0 offset:4 ; 4-byte Folded Reload
	s_load_dwordx2 s[4:5], s[4:5], 0x68
	s_lshl_b32 s2, s2, 7
	s_mul_i32 s0, s3, s6
	s_mul_hi_u32 s7, s0, s2
	s_mul_i32 s6, s0, s2
	s_lshl_b64 s[6:7], s[6:7], 1
	s_waitcnt lgkmcnt(0)
	s_add_u32 s3, s4, s6
	s_addc_u32 s4, s5, s7
	s_lshl_b32 s0, s26, 7
	s_lshl_b64 s[0:1], s[0:1], 1
	s_add_u32 s0, s3, s0
	v_lshlrev_b32_e32 v2, 5, v1
	v_and_b32_e32 v3, 16, v3
	v_and_b32_e32 v0, 0x1a00, v0
	s_addc_u32 s1, s4, s1
	v_or3_b32 v0, v0, v2, v3
	v_mov_b32_e32 v3, s1
	v_add_u32_e32 v8, s27, v1
	s_waitcnt vmcnt(1)
	v_add_co_u32_e32 v2, vcc, s0, v4
	s_waitcnt vmcnt(0)
	v_addc_co_u32_e32 v3, vcc, v3, v5, vcc
	ds_read_b128 v[4:7], v0
	v_mad_u64_u32 v[8:9], s[0:1], v8, s2, 0
	v_lshlrev_b64 v[8:9], 1, v[8:9]
	v_add_co_u32_e32 v8, vcc, v2, v8
	v_addc_co_u32_e32 v9, vcc, v3, v9, vcc
	v_cmp_ne_u32_e32 vcc, 3, v1
	s_waitcnt lgkmcnt(0)
	global_store_dwordx4 v[8:9], v[4:7], off
	s_and_b64 exec, exec, vcc
	s_cbranch_execz .LBB178_20
; %bb.19:
	ds_read_b128 v[4:7], v0 offset:128
	v_add3_u32 v0, s27, v1, 4
	v_mad_u64_u32 v[0:1], s[0:1], v0, s2, 0
	v_lshlrev_b64 v[0:1], 1, v[0:1]
	v_add_co_u32_e32 v0, vcc, v2, v0
	v_addc_co_u32_e32 v1, vcc, v3, v1, vcc
	s_waitcnt lgkmcnt(0)
	global_store_dwordx4 v[0:1], v[4:7], off
.LBB178_20:
	s_endpgm
	.section	.rodata,"a",@progbits
	.p2align	6, 0x0
	.amdhsa_kernel _Z39paged_attention_ll4mi_QKV_mfma16_kernelIDF16_DF16_LN4vllm18Fp8KVCacheDataTypeE0EDF16_Li32ELi128ELi256ELb0ELi7EL8MFMAType0EEvPKT_PKT0_S8_ifPKiSA_SA_iPKfiiiPfSD_PS3_PT2_iSC_SC_
		.amdhsa_group_segment_fixed_size 8192
		.amdhsa_private_segment_fixed_size 12
		.amdhsa_kernarg_size 400
		.amdhsa_user_sgpr_count 6
		.amdhsa_user_sgpr_private_segment_buffer 1
		.amdhsa_user_sgpr_dispatch_ptr 0
		.amdhsa_user_sgpr_queue_ptr 0
		.amdhsa_user_sgpr_kernarg_segment_ptr 1
		.amdhsa_user_sgpr_dispatch_id 0
		.amdhsa_user_sgpr_flat_scratch_init 0
		.amdhsa_user_sgpr_kernarg_preload_length 0
		.amdhsa_user_sgpr_kernarg_preload_offset 0
		.amdhsa_user_sgpr_private_segment_size 0
		.amdhsa_uses_dynamic_stack 0
		.amdhsa_system_sgpr_private_segment_wavefront_offset 1
		.amdhsa_system_sgpr_workgroup_id_x 1
		.amdhsa_system_sgpr_workgroup_id_y 1
		.amdhsa_system_sgpr_workgroup_id_z 1
		.amdhsa_system_sgpr_workgroup_info 0
		.amdhsa_system_vgpr_workitem_id 0
		.amdhsa_next_free_vgpr 96
		.amdhsa_next_free_sgpr 48
		.amdhsa_accum_offset 96
		.amdhsa_reserve_vcc 1
		.amdhsa_reserve_flat_scratch 0
		.amdhsa_float_round_mode_32 0
		.amdhsa_float_round_mode_16_64 0
		.amdhsa_float_denorm_mode_32 3
		.amdhsa_float_denorm_mode_16_64 3
		.amdhsa_dx10_clamp 1
		.amdhsa_ieee_mode 1
		.amdhsa_fp16_overflow 0
		.amdhsa_tg_split 0
		.amdhsa_exception_fp_ieee_invalid_op 0
		.amdhsa_exception_fp_denorm_src 0
		.amdhsa_exception_fp_ieee_div_zero 0
		.amdhsa_exception_fp_ieee_overflow 0
		.amdhsa_exception_fp_ieee_underflow 0
		.amdhsa_exception_fp_ieee_inexact 0
		.amdhsa_exception_int_div_zero 0
	.end_amdhsa_kernel
	.section	.text._Z39paged_attention_ll4mi_QKV_mfma16_kernelIDF16_DF16_LN4vllm18Fp8KVCacheDataTypeE0EDF16_Li32ELi128ELi256ELb0ELi7EL8MFMAType0EEvPKT_PKT0_S8_ifPKiSA_SA_iPKfiiiPfSD_PS3_PT2_iSC_SC_,"axG",@progbits,_Z39paged_attention_ll4mi_QKV_mfma16_kernelIDF16_DF16_LN4vllm18Fp8KVCacheDataTypeE0EDF16_Li32ELi128ELi256ELb0ELi7EL8MFMAType0EEvPKT_PKT0_S8_ifPKiSA_SA_iPKfiiiPfSD_PS3_PT2_iSC_SC_,comdat
.Lfunc_end178:
	.size	_Z39paged_attention_ll4mi_QKV_mfma16_kernelIDF16_DF16_LN4vllm18Fp8KVCacheDataTypeE0EDF16_Li32ELi128ELi256ELb0ELi7EL8MFMAType0EEvPKT_PKT0_S8_ifPKiSA_SA_iPKfiiiPfSD_PS3_PT2_iSC_SC_, .Lfunc_end178-_Z39paged_attention_ll4mi_QKV_mfma16_kernelIDF16_DF16_LN4vllm18Fp8KVCacheDataTypeE0EDF16_Li32ELi128ELi256ELb0ELi7EL8MFMAType0EEvPKT_PKT0_S8_ifPKiSA_SA_iPKfiiiPfSD_PS3_PT2_iSC_SC_
                                        ; -- End function
	.section	.AMDGPU.csdata,"",@progbits
; Kernel info:
; codeLenInByte = 4796
; NumSgprs: 52
; NumVgprs: 96
; NumAgprs: 0
; TotalNumVgprs: 96
; ScratchSize: 12
; MemoryBound: 0
; FloatMode: 240
; IeeeMode: 1
; LDSByteSize: 8192 bytes/workgroup (compile time only)
; SGPRBlocks: 6
; VGPRBlocks: 11
; NumSGPRsForWavesPerEU: 52
; NumVGPRsForWavesPerEU: 96
; AccumOffset: 96
; Occupancy: 5
; WaveLimiterHint : 1
; COMPUTE_PGM_RSRC2:SCRATCH_EN: 1
; COMPUTE_PGM_RSRC2:USER_SGPR: 6
; COMPUTE_PGM_RSRC2:TRAP_HANDLER: 0
; COMPUTE_PGM_RSRC2:TGID_X_EN: 1
; COMPUTE_PGM_RSRC2:TGID_Y_EN: 1
; COMPUTE_PGM_RSRC2:TGID_Z_EN: 1
; COMPUTE_PGM_RSRC2:TIDIG_COMP_CNT: 0
; COMPUTE_PGM_RSRC3_GFX90A:ACCUM_OFFSET: 23
; COMPUTE_PGM_RSRC3_GFX90A:TG_SPLIT: 0
	.section	.text._Z39paged_attention_ll4mi_QKV_mfma16_kernelIDF16_DF16_LN4vllm18Fp8KVCacheDataTypeE0EDF16_Li32ELi128ELi256ELb0ELi8EL8MFMAType0EEvPKT_PKT0_S8_ifPKiSA_SA_iPKfiiiPfSD_PS3_PT2_iSC_SC_,"axG",@progbits,_Z39paged_attention_ll4mi_QKV_mfma16_kernelIDF16_DF16_LN4vllm18Fp8KVCacheDataTypeE0EDF16_Li32ELi128ELi256ELb0ELi8EL8MFMAType0EEvPKT_PKT0_S8_ifPKiSA_SA_iPKfiiiPfSD_PS3_PT2_iSC_SC_,comdat
	.protected	_Z39paged_attention_ll4mi_QKV_mfma16_kernelIDF16_DF16_LN4vllm18Fp8KVCacheDataTypeE0EDF16_Li32ELi128ELi256ELb0ELi8EL8MFMAType0EEvPKT_PKT0_S8_ifPKiSA_SA_iPKfiiiPfSD_PS3_PT2_iSC_SC_ ; -- Begin function _Z39paged_attention_ll4mi_QKV_mfma16_kernelIDF16_DF16_LN4vllm18Fp8KVCacheDataTypeE0EDF16_Li32ELi128ELi256ELb0ELi8EL8MFMAType0EEvPKT_PKT0_S8_ifPKiSA_SA_iPKfiiiPfSD_PS3_PT2_iSC_SC_
	.globl	_Z39paged_attention_ll4mi_QKV_mfma16_kernelIDF16_DF16_LN4vllm18Fp8KVCacheDataTypeE0EDF16_Li32ELi128ELi256ELb0ELi8EL8MFMAType0EEvPKT_PKT0_S8_ifPKiSA_SA_iPKfiiiPfSD_PS3_PT2_iSC_SC_
	.p2align	8
	.type	_Z39paged_attention_ll4mi_QKV_mfma16_kernelIDF16_DF16_LN4vllm18Fp8KVCacheDataTypeE0EDF16_Li32ELi128ELi256ELb0ELi8EL8MFMAType0EEvPKT_PKT0_S8_ifPKiSA_SA_iPKfiiiPfSD_PS3_PT2_iSC_SC_,@function
_Z39paged_attention_ll4mi_QKV_mfma16_kernelIDF16_DF16_LN4vllm18Fp8KVCacheDataTypeE0EDF16_Li32ELi128ELi256ELb0ELi8EL8MFMAType0EEvPKT_PKT0_S8_ifPKiSA_SA_iPKfiiiPfSD_PS3_PT2_iSC_SC_: ; @_Z39paged_attention_ll4mi_QKV_mfma16_kernelIDF16_DF16_LN4vllm18Fp8KVCacheDataTypeE0EDF16_Li32ELi128ELi256ELb0ELi8EL8MFMAType0EEvPKT_PKT0_S8_ifPKiSA_SA_iPKfiiiPfSD_PS3_PT2_iSC_SC_
; %bb.0:
	s_mov_b64 s[46:47], s[2:3]
	s_mov_b64 s[44:45], s[0:1]
	s_load_dwordx2 s[0:1], s[4:5], 0x30
	s_add_u32 s44, s44, s9
	s_addc_u32 s45, s45, 0
	s_mov_b32 s26, s7
	s_mov_b64 s[10:11], 0
	s_waitcnt lgkmcnt(0)
	s_cmp_lg_u64 s[0:1], 0
	s_cselect_b64 s[2:3], -1, 0
	s_and_b64 vcc, exec, s[2:3]
	s_cbranch_vccz .LBB179_7
; %bb.1:
	s_add_i32 s12, s6, 1
	s_mov_b32 s13, 0
	s_lshl_b64 s[14:15], s[12:13], 2
	s_add_u32 s14, s0, s14
	s_mov_b32 s7, s13
	s_addc_u32 s15, s1, s15
	s_lshl_b64 s[12:13], s[6:7], 2
	s_add_u32 s12, s0, s12
	s_addc_u32 s13, s1, s13
	s_load_dword s9, s[14:15], 0x0
	s_load_dword s16, s[12:13], 0x0
	s_waitcnt lgkmcnt(0)
	s_sub_i32 s9, s9, s16
	s_cmp_eq_u32 s9, 1
	s_cselect_b64 s[12:13], -1, 0
	s_andn2_b64 vcc, exec, s[10:11]
	s_cbranch_vccnz .LBB179_3
.LBB179_2:
	s_mov_b32 s7, 0
	s_mov_b64 s[12:13], -1
.LBB179_3:
	s_andn2_b64 vcc, exec, s[12:13]
	s_cbranch_vccnz .LBB179_19
; %bb.4:
	s_load_dwordx2 s[12:13], s[4:5], 0x28
	s_lshl_b64 s[10:11], s[6:7], 2
	s_waitcnt lgkmcnt(0)
	s_add_u32 s12, s12, s10
	s_addc_u32 s13, s13, s11
	s_load_dword s33, s[12:13], 0x0
	s_lshl_b32 s9, s26, 8
	s_waitcnt lgkmcnt(0)
	s_cmp_ge_i32 s9, s33
	s_cbranch_scc1 .LBB179_19
; %bb.5:
	s_add_i32 s15, s33, 31
	s_load_dwordx2 s[12:13], s[4:5], 0x20
	s_load_dword s14, s[4:5], 0x38
	s_ashr_i32 s16, s15, 31
	v_and_b32_e32 v1, 0xcf, v0
	s_lshr_b32 s16, s16, 27
	v_add_u32_e32 v1, s9, v1
	s_add_i32 s15, s15, s16
	v_ashrrev_i32_e32 v2, 31, v1
	s_ashr_i32 s18, s15, 5
	v_lshrrev_b32_e32 v10, 27, v2
	s_add_i32 s18, s18, -1
	v_add_u32_e32 v2, v1, v10
	s_waitcnt lgkmcnt(0)
	s_mul_i32 s14, s6, s14
	s_mov_b32 s15, 0
	v_ashrrev_i32_e32 v2, 5, v2
	v_mov_b32_e32 v11, s18
	v_cmp_gt_i32_e32 vcc, s33, v1
	s_lshl_b64 s[14:15], s[14:15], 2
	v_cndmask_b32_e32 v2, v11, v2, vcc
	s_add_u32 s16, s12, s14
	v_ashrrev_i32_e32 v3, 31, v2
	s_addc_u32 s17, s13, s15
	v_lshlrev_b64 v[2:3], 2, v[2:3]
	v_mov_b32_e32 v4, s17
	v_add_co_u32_e32 v2, vcc, s16, v2
	v_addc_co_u32_e32 v3, vcc, v4, v3, vcc
	v_or_b32_e32 v4, 16, v1
	v_add_u32_e32 v5, v4, v10
	v_ashrrev_i32_e32 v5, 5, v5
	v_cmp_gt_i32_e32 vcc, s33, v4
	v_cndmask_b32_e32 v4, v11, v5, vcc
	v_ashrrev_i32_e32 v5, 31, v4
	v_lshlrev_b64 v[4:5], 2, v[4:5]
	v_mov_b32_e32 v7, s17
	v_add_co_u32_e32 v6, vcc, s16, v4
	v_or_b32_e32 v4, 32, v1
	v_addc_co_u32_e32 v7, vcc, v7, v5, vcc
	v_add_u32_e32 v5, v4, v10
	v_ashrrev_i32_e32 v5, 5, v5
	v_cmp_gt_i32_e32 vcc, s33, v4
	v_cndmask_b32_e32 v4, v11, v5, vcc
	v_ashrrev_i32_e32 v5, 31, v4
	v_lshlrev_b64 v[4:5], 2, v[4:5]
	v_mov_b32_e32 v9, s17
	v_add_co_u32_e32 v8, vcc, s16, v4
	v_or_b32_e32 v1, 48, v1
	v_addc_co_u32_e32 v9, vcc, v9, v5, vcc
	v_add_u32_e32 v4, v1, v10
	v_ashrrev_i32_e32 v4, 5, v4
	v_cmp_gt_i32_e32 vcc, s33, v1
	v_cndmask_b32_e32 v4, v11, v4, vcc
	v_ashrrev_i32_e32 v5, 31, v4
	v_lshlrev_b64 v[4:5], 2, v[4:5]
	v_mov_b32_e32 v1, s17
	v_add_co_u32_e32 v10, vcc, s16, v4
	v_addc_co_u32_e32 v11, vcc, v1, v5, vcc
	global_load_dword v5, v[2:3], off
	global_load_dword v4, v[6:7], off
	;; [unrolled: 1-line block ×4, first 2 shown]
	s_andn2_b64 vcc, exec, s[2:3]
	s_cbranch_vccnz .LBB179_8
; %bb.6:
	s_add_u32 s0, s0, s10
	s_addc_u32 s1, s1, s11
	s_load_dword s19, s[0:1], 0x0
	s_branch .LBB179_9
.LBB179_7:
	s_mov_b64 s[12:13], 0
	s_branch .LBB179_2
.LBB179_8:
	s_mov_b32 s19, s6
.LBB179_9:
	s_load_dwordx4 s[12:15], s[4:5], 0x8
	s_load_dwordx4 s[0:3], s[4:5], 0x48
	v_and_b32_e32 v1, 15, v0
	s_waitcnt lgkmcnt(0)
	s_movk_i32 s3, 0x7f
	v_lshlrev_b32_e32 v2, 3, v1
	v_cmp_lt_u32_e32 vcc, s3, v0
	s_and_saveexec_b64 s[10:11], vcc
	s_xor_b64 s[10:11], exec, s[10:11]
; %bb.10:
	v_mov_b32_e32 v3, 0
; %bb.11:
	s_or_saveexec_b64 s[10:11], s[10:11]
	v_lshrrev_b32_e32 v85, 6, v0
	v_and_b32_e32 v86, 63, v0
	s_lshl_b32 s27, s8, 3
	v_bfe_u32 v84, v0, 4, 2
	s_xor_b64 exec, exec, s[10:11]
	s_cbranch_execz .LBB179_13
; %bb.12:
	s_load_dwordx2 s[20:21], s[4:5], 0x0
	s_ashr_i32 s3, s0, 31
	s_mul_hi_u32 s22, s19, s0
	s_mul_i32 s3, s19, s3
	v_lshl_or_b32 v10, v85, 2, v84
	s_add_i32 s23, s22, s3
	s_mul_i32 s22, s19, s0
	s_lshl_b64 s[22:23], s[22:23], 1
	v_add_lshl_u32 v6, v10, s27, 7
	s_waitcnt lgkmcnt(0)
	s_add_u32 s0, s20, s22
	v_ashrrev_i32_e32 v7, 31, v6
	s_addc_u32 s3, s21, s23
	v_lshlrev_b64 v[6:7], 1, v[6:7]
	v_mov_b32_e32 v3, s3
	v_add_co_u32_e32 v6, vcc, s0, v6
	v_addc_co_u32_e32 v3, vcc, v3, v7, vcc
	v_lshlrev_b32_e32 v7, 1, v2
	v_add_co_u32_e32 v6, vcc, v6, v7
	v_addc_co_u32_e32 v7, vcc, 0, v3, vcc
	global_load_dwordx4 v[6:9], v[6:7], off
	v_and_b32_e32 v11, 3, v0
	v_lshlrev_b32_e32 v12, 9, v1
	v_lshlrev_b32_e32 v10, 5, v10
	;; [unrolled: 1-line block ×3, first 2 shown]
	v_and_b32_e32 v12, 0x1800, v12
	v_mov_b32_e32 v3, 0
	v_or3_b32 v10, v12, v11, v10
	s_waitcnt vmcnt(0)
	ds_write_b128 v10, v[6:9]
.LBB179_13:
	s_or_b64 exec, exec, s[10:11]
	s_mul_i32 s2, s8, s2
	s_mov_b32 s3, 0
	s_lshl_b64 s[2:3], s[2:3], 1
	s_add_u32 s8, s12, s2
	s_addc_u32 s10, s13, s3
	s_waitcnt vmcnt(3)
	v_mad_i64_i32 v[6:7], s[12:13], v5, s1, 0
	v_lshlrev_b64 v[6:7], 1, v[6:7]
	v_mov_b32_e32 v5, s10
	v_add_co_u32_e32 v6, vcc, s8, v6
	v_addc_co_u32_e32 v5, vcc, v5, v7, vcc
	v_lshlrev_b64 v[60:61], 1, v[2:3]
	v_add_co_u32_e32 v27, vcc, v6, v60
	v_lshlrev_b32_e32 v26, 9, v84
	v_addc_co_u32_e32 v28, vcc, v5, v61, vcc
	v_add_co_u32_e32 v2, vcc, v27, v26
	v_addc_co_u32_e32 v3, vcc, 0, v28, vcc
	s_load_dword s40, s[4:5], 0x98
	s_load_dword s0, s[4:5], 0x1c
	s_waitcnt lgkmcnt(0)
	s_barrier
	global_load_dwordx4 v[10:13], v[2:3], off
	s_waitcnt vmcnt(3)
	v_mad_i64_i32 v[4:5], s[12:13], v4, s1, 0
	v_lshlrev_b64 v[4:5], 1, v[4:5]
	v_mov_b32_e32 v6, s10
	v_add_co_u32_e32 v4, vcc, s8, v4
	v_addc_co_u32_e32 v5, vcc, v6, v5, vcc
	v_mov_b32_e32 v6, 0x100
	v_lshl_or_b32 v29, v1, 4, v6
	v_add_co_u32_e32 v30, vcc, v4, v29
	v_addc_co_u32_e32 v31, vcc, 0, v5, vcc
	v_add_co_u32_e32 v22, vcc, v30, v26
	v_addc_co_u32_e32 v23, vcc, 0, v31, vcc
	global_load_dwordx4 v[18:21], v[22:23], off
	global_load_dwordx4 v[14:17], v[2:3], off offset:2048
	v_and_b32_e32 v2, 7, v0
	v_lshl_or_b32 v32, v2, 5, v26
	ds_read_b128 v[6:9], v32
	ds_read_b128 v[2:5], v32 offset:2048
	v_or_b32_e32 v58, 0x1000, v26
	global_load_dwordx4 v[38:41], v[22:23], off offset:2048
	v_add_co_u32_e32 v22, vcc, v27, v58
	v_addc_co_u32_e32 v23, vcc, 0, v28, vcc
	v_or_b32_e32 v62, 0x1800, v26
	s_ashr_i32 s11, s9, 31
	v_and_or_b32 v63, v0, 48, s9
	v_mov_b32_e32 v64, s18
	v_lshl_or_b32 v87, v85, 4, v1
	v_lshlrev_b32_e32 v90, 6, v87
	s_mov_b32 s41, 0xff7fffff
	s_waitcnt vmcnt(3) lgkmcnt(1)
	v_mfma_f32_16x16x16f16 v[34:37], v[10:11], v[6:7], 0
	s_waitcnt vmcnt(2)
	v_mfma_f32_16x16x16f16 v[42:45], v[18:19], v[6:7], 0
	v_mfma_f32_16x16x16f16 v[10:13], v[12:13], v[8:9], v[34:37]
	s_nop 7
	global_load_dwordx4 v[34:37], v[22:23], off
	v_add_co_u32_e32 v22, vcc, v30, v58
	v_addc_co_u32_e32 v23, vcc, 0, v31, vcc
	v_mfma_f32_16x16x16f16 v[18:21], v[20:21], v[8:9], v[42:45]
	global_load_dwordx4 v[46:49], v[22:23], off
	s_waitcnt vmcnt(3) lgkmcnt(0)
	v_mfma_f32_16x16x16f16 v[42:45], v[14:15], v[2:3], v[10:13]
	s_nop 6
	v_add_co_u32_e32 v10, vcc, v27, v62
	v_addc_co_u32_e32 v11, vcc, 0, v28, vcc
	global_load_dwordx4 v[54:57], v[10:11], off
	v_mad_i64_i32 v[10:11], s[12:13], v25, s1, 0
	v_add_co_u32_e32 v30, vcc, v30, v62
	v_lshlrev_b64 v[22:23], 1, v[10:11]
	v_addc_co_u32_e32 v31, vcc, 0, v31, vcc
	v_mov_b32_e32 v25, s10
	v_add_co_u32_e32 v22, vcc, s8, v22
	v_addc_co_u32_e32 v23, vcc, v25, v23, vcc
	ds_read_b128 v[10:13], v32 offset:4096
	ds_read_b128 v[50:53], v32 offset:6144
	global_load_dwordx4 v[30:33], v[30:31], off
	v_add_co_u32_e32 v27, vcc, v22, v60
	buffer_store_dword v60, off, s[44:47], 0 ; 4-byte Folded Spill
	s_nop 0
	buffer_store_dword v61, off, s[44:47], 0 offset:4 ; 4-byte Folded Spill
	s_waitcnt vmcnt(6)
	v_mfma_f32_16x16x16f16 v[18:21], v[38:39], v[2:3], v[18:21]
	v_mov_b32_e32 v28, s10
	s_lshr_b32 s10, s11, 27
	s_add_u32 s2, s14, s2
	s_addc_u32 s3, s15, s3
	v_addc_co_u32_e32 v59, vcc, v23, v61, vcc
	v_add_co_u32_e32 v22, vcc, v27, v26
	v_addc_co_u32_e32 v23, vcc, 0, v59, vcc
	v_mfma_f32_16x16x16f16 v[14:17], v[16:17], v[4:5], v[42:45]
	v_mfma_f32_16x16x16f16 v[18:21], v[40:41], v[4:5], v[18:21]
	global_load_dwordx4 v[38:41], v[22:23], off
	s_nop 4
	global_load_dwordx4 v[42:45], v[22:23], off offset:2048
	v_mad_i64_i32 v[22:23], s[12:13], v24, s1, 0
	s_waitcnt vmcnt(7) lgkmcnt(1)
	v_mfma_f32_16x16x16f16 v[14:17], v[34:35], v[10:11], v[14:17]
	v_lshlrev_b64 v[34:35], 1, v[22:23]
	v_add_co_u32_e32 v22, vcc, v27, v58
	v_addc_co_u32_e32 v23, vcc, 0, v59, vcc
	global_load_dwordx4 v[22:25], v[22:23], off
	v_add_co_u32_e32 v34, vcc, s8, v34
	s_waitcnt vmcnt(7)
	v_mfma_f32_16x16x16f16 v[18:21], v[46:47], v[10:11], v[18:21]
	v_addc_co_u32_e32 v28, vcc, v28, v35, vcc
	v_add_co_u32_e32 v65, vcc, v34, v29
	v_addc_co_u32_e32 v70, vcc, 0, v28, vcc
	v_add_co_u32_e32 v28, vcc, v27, v62
	v_mfma_f32_16x16x16f16 v[14:17], v[36:37], v[12:13], v[14:17]
	v_addc_co_u32_e32 v29, vcc, 0, v59, vcc
	v_add_co_u32_e32 v46, vcc, v65, v26
	v_addc_co_u32_e32 v47, vcc, 0, v70, vcc
	v_add_u32_e32 v35, s10, v63
	v_mfma_f32_16x16x16f16 v[18:21], v[48:49], v[12:13], v[18:21]
	v_add_co_u32_e32 v48, vcc, v65, v58
	v_addc_co_u32_e32 v49, vcc, 0, v70, vcc
	v_ashrrev_i32_e32 v60, 5, v35
	v_cmp_gt_i32_e32 vcc, s33, v63
	s_waitcnt vmcnt(6) lgkmcnt(0)
	v_mfma_f32_16x16x16f16 v[14:17], v[54:55], v[50:51], v[14:17]
	s_waitcnt vmcnt(5)
	v_mfma_f32_16x16x16f16 v[18:21], v[30:31], v[50:51], v[18:21]
	v_mov_b32_e32 v31, s17
	v_mfma_f32_16x16x16f16 v[54:57], v[56:57], v[52:53], v[14:17]
	global_load_dwordx4 v[26:29], v[28:29], off
	s_nop 0
	global_load_dwordx4 v[34:37], v[46:47], off
	s_nop 3
	global_load_dwordx4 v[14:17], v[46:47], off offset:2048
	v_cndmask_b32_e32 v46, v64, v60, vcc
	v_ashrrev_i32_e32 v47, 31, v46
	v_lshlrev_b64 v[46:47], 2, v[46:47]
	v_add_co_u32_e32 v30, vcc, s16, v46
	v_addc_co_u32_e32 v31, vcc, v31, v47, vcc
	global_load_dword v46, v[30:31], off
	v_or_b32_e32 v30, 64, v63
	v_mfma_f32_16x16x16f16 v[58:61], v[32:33], v[52:53], v[18:21]
	v_cmp_gt_i32_e32 vcc, s33, v30
	v_mov_b32_e32 v32, s17
	v_mov_b32_e32 v33, s17
	global_load_dwordx4 v[66:69], v[48:49], off
	s_nop 2
	v_add_u32_e32 v18, s10, v30
	v_ashrrev_i32_e32 v18, 5, v18
	v_cndmask_b32_e32 v18, v64, v18, vcc
	v_ashrrev_i32_e32 v19, 31, v18
	v_lshlrev_b64 v[30:31], 2, v[18:19]
	v_add_co_u32_e32 v30, vcc, s16, v30
	v_addc_co_u32_e32 v31, vcc, v32, v31, vcc
	global_load_dword v32, v[30:31], off
	s_waitcnt vmcnt(8)
	v_mfma_f32_16x16x16f16 v[18:21], v[38:39], v[6:7], 0
	v_or_b32_e32 v30, 0x80, v63
	v_add_u32_e32 v31, s10, v30
	v_ashrrev_i32_e32 v31, 5, v31
	v_cmp_gt_i32_e32 vcc, s33, v30
	v_cndmask_b32_e32 v30, v64, v31, vcc
	v_ashrrev_i32_e32 v31, 31, v30
	v_lshlrev_b64 v[30:31], 2, v[30:31]
	v_mfma_f32_16x16x16f16 v[18:21], v[40:41], v[8:9], v[18:21]
	v_add_co_u32_e32 v30, vcc, s16, v30
	v_addc_co_u32_e32 v31, vcc, v33, v31, vcc
	global_load_dword v33, v[30:31], off
	v_or_b32_e32 v30, 0xc0, v63
	v_add_u32_e32 v31, s10, v30
	s_waitcnt vmcnt(8)
	v_mfma_f32_16x16x16f16 v[18:21], v[42:43], v[2:3], v[18:21]
	v_ashrrev_i32_e32 v31, 5, v31
	v_cmp_gt_i32_e32 vcc, s33, v30
	v_cndmask_b32_e32 v30, v64, v31, vcc
	v_ashrrev_i32_e32 v31, 31, v30
	v_lshlrev_b64 v[30:31], 2, v[30:31]
	v_mov_b32_e32 v38, s17
	v_add_co_u32_e32 v30, vcc, s16, v30
	v_mfma_f32_16x16x16f16 v[18:21], v[44:45], v[4:5], v[18:21]
	v_addc_co_u32_e32 v31, vcc, v38, v31, vcc
	global_load_dword v63, v[30:31], off
	s_waitcnt vmcnt(8)
	v_mfma_f32_16x16x16f16 v[18:21], v[22:23], v[10:11], v[18:21]
	v_add_co_u32_e32 v22, vcc, v65, v62
	v_addc_co_u32_e32 v23, vcc, 0, v70, vcc
	global_load_dwordx4 v[70:73], v[22:23], off
	v_and_b32_e32 v22, 16, v0
	v_lshlrev_b32_e32 v22, 1, v22
	v_mfma_f32_16x16x16f16 v[18:21], v[24:25], v[12:13], v[18:21]
	v_mov_b32_e32 v23, s3
	v_add_co_u32_e32 v88, vcc, s2, v22
	v_addc_co_u32_e32 v89, vcc, 0, v23, vcc
	v_add_co_u32_e32 v22, vcc, v88, v90
	s_waitcnt vmcnt(8)
	v_mfma_f32_16x16x16f16 v[18:21], v[26:27], v[50:51], v[18:21]
	v_addc_co_u32_e32 v23, vcc, 0, v89, vcc
	v_mfma_f32_16x16x16f16 v[76:79], v[28:29], v[52:53], v[18:21]
	s_waitcnt vmcnt(5)
	s_nop 7
	v_mad_i64_i32 v[18:19], s[2:3], v46, s1, 0
	v_lshlrev_b64 v[80:81], 1, v[18:19]
	v_mfma_f32_16x16x16f16 v[18:21], v[34:35], v[6:7], 0
	v_add_co_u32_e32 v6, vcc, v22, v80
	v_addc_co_u32_e32 v7, vcc, v23, v81, vcc
	global_load_dwordx4 v[46:49], v[6:7], off
	global_load_dwordx4 v[42:45], v[6:7], off offset:16
	v_pk_mul_f32 v[76:77], s[0:1], v[76:77] op_sel_hi:[0,1]
	v_pk_mul_f32 v[78:79], s[0:1], v[78:79] op_sel_hi:[0,1]
	s_waitcnt vmcnt(5)
	v_mad_i64_i32 v[6:7], s[2:3], v32, s1, 0
	v_lshlrev_b64 v[82:83], 1, v[6:7]
	v_mfma_f32_16x16x16f16 v[6:9], v[36:37], v[8:9], v[18:21]
	v_mfma_f32_16x16x16f16 v[6:9], v[14:15], v[2:3], v[6:9]
	s_nop 5
	v_add_co_u32_e32 v18, vcc, v22, v82
	v_addc_co_u32_e32 v19, vcc, v23, v83, vcc
	global_load_dwordx4 v[38:41], v[18:19], off
	global_load_dwordx4 v[34:37], v[18:19], off offset:16
	s_waitcnt vmcnt(6)
	v_mad_i64_i32 v[18:19], s[2:3], v33, s1, 0
	v_lshlrev_b64 v[64:65], 1, v[18:19]
	v_add_co_u32_e32 v2, vcc, v22, v64
	v_addc_co_u32_e32 v3, vcc, v23, v65, vcc
	global_load_dwordx4 v[30:33], v[2:3], off
	global_load_dwordx4 v[26:29], v[2:3], off offset:16
	v_mfma_f32_16x16x16f16 v[2:5], v[16:17], v[4:5], v[6:9]
	v_mfma_f32_16x16x16f16 v[2:5], v[66:67], v[10:11], v[2:5]
	s_waitcnt vmcnt(7)
	s_nop 4
	v_mad_i64_i32 v[6:7], s[2:3], v63, s1, 0
	v_lshlrev_b64 v[62:63], 1, v[6:7]
	v_add_co_u32_e32 v6, vcc, v22, v62
	v_addc_co_u32_e32 v7, vcc, v23, v63, vcc
	v_mfma_f32_16x16x16f16 v[10:13], v[68:69], v[12:13], v[2:5]
	global_load_dwordx4 v[22:25], v[6:7], off
	global_load_dwordx4 v[18:21], v[6:7], off offset:16
	v_or_b32_e32 v6, 0x1000, v90
	v_add_co_u32_e32 v92, vcc, v88, v6
	v_addc_co_u32_e32 v93, vcc, 0, v89, vcc
	s_nop 1
	v_add_co_u32_e32 v2, vcc, v92, v80
	s_waitcnt vmcnt(8)
	v_mfma_f32_16x16x16f16 v[88:91], v[70:71], v[50:51], v[10:13]
	v_addc_co_u32_e32 v3, vcc, v93, v81, vcc
	v_add_co_u32_e32 v66, vcc, v92, v82
	v_addc_co_u32_e32 v67, vcc, v93, v83, vcc
	global_load_dwordx4 v[6:9], v[2:3], off
	s_nop 0
	global_load_dwordx4 v[2:5], v[2:3], off offset:16
	v_mfma_f32_16x16x16f16 v[50:53], v[72:73], v[52:53], v[88:91]
	global_load_dwordx4 v[14:17], v[66:67], off
	global_load_dwordx4 v[10:13], v[66:67], off offset:16
	v_pk_mul_f32 v[68:69], s[0:1], v[54:55] op_sel_hi:[0,1]
	v_pk_mul_f32 v[80:81], s[0:1], v[56:57] op_sel_hi:[0,1]
	;; [unrolled: 1-line block ×4, first 2 shown]
	s_nop 4
	v_pk_mul_f32 v[72:73], s[0:1], v[50:51] op_sel_hi:[0,1]
	v_and_b32_e32 v50, 0xc0, v0
	v_add_u32_e32 v50, s9, v50
	v_lshl_or_b32 v50, v84, 2, v50
	v_pk_mul_f32 v[66:67], s[0:1], v[52:53] op_sel_hi:[0,1]
	v_or_b32_e32 v53, 1, v50
	v_mov_b32_e32 v51, 0xff7fffff
	v_cmp_gt_i32_e64 s[28:29], s33, v50
	v_cmp_gt_i32_e64 s[30:31], s33, v53
	v_cndmask_b32_e64 v52, v51, v68, s[28:29]
	v_cndmask_b32_e64 v53, v51, v69, s[30:31]
	v_max3_f32 v52, v52, s41, v53
	v_or_b32_e32 v53, 2, v50
	v_or_b32_e32 v54, 3, v50
	v_cmp_gt_i32_e64 s[34:35], s33, v53
	v_cmp_gt_i32_e64 s[36:37], s33, v54
	v_cndmask_b32_e64 v53, v51, v80, s[34:35]
	v_cndmask_b32_e64 v54, v51, v81, s[36:37]
	v_max3_f32 v52, v52, v53, v54
	v_or_b32_e32 v53, 16, v50
	v_or_b32_e32 v54, 17, v50
	;; [unrolled: 7-line block ×7, first 2 shown]
	v_cmp_gt_i32_e32 vcc, s33, v53
	v_cmp_gt_i32_e64 s[0:1], s33, v50
	v_cndmask_b32_e32 v53, v51, v66, vcc
	v_cndmask_b32_e64 v50, v51, v67, s[0:1]
	v_max3_f32 v58, v52, v53, v50
	v_mbcnt_lo_u32_b32 v50, -1, 0
	v_mbcnt_hi_u32_b32 v59, -1, v50
	v_and_b32_e32 v50, 64, v59
	v_add_u32_e32 v60, 64, v50
	v_xor_b32_e32 v50, 32, v59
	v_cmp_lt_i32_e64 s[38:39], v50, v60
	v_cndmask_b32_e64 v50, v59, v50, s[38:39]
	v_lshlrev_b32_e32 v89, 2, v50
	ds_bpermute_b32 v61, v89, v58
	v_add_co_u32_e64 v50, s[38:39], v92, v64
	v_addc_co_u32_e64 v51, s[38:39], v93, v65, s[38:39]
	s_waitcnt lgkmcnt(0)
	v_max_f32_e32 v61, v61, v61
	v_max_f32_e32 v61, v58, v61
	v_xor_b32_e32 v58, 16, v59
	v_cmp_lt_i32_e64 s[38:39], v58, v60
	v_cndmask_b32_e64 v58, v59, v58, s[38:39]
	v_lshlrev_b32_e32 v90, 2, v58
	ds_bpermute_b32 v60, v90, v61
	v_add_co_u32_e64 v58, s[38:39], v92, v62
	v_addc_co_u32_e64 v59, s[38:39], v93, v63, s[38:39]
	s_waitcnt lgkmcnt(0)
	v_max_f32_e32 v60, v60, v60
	v_max_f32_e32 v88, v61, v60
	v_sub_f32_e32 v60, v68, v88
	v_mul_f32_e32 v60, 0x3fb8aa3b, v60
	v_exp_f32_e32 v68, v60
	v_sub_f32_e32 v60, v69, v88
	v_mul_f32_e32 v60, 0x3fb8aa3b, v60
	global_load_dwordx4 v[54:57], v[50:51], off
	s_nop 0
	global_load_dwordx4 v[50:53], v[50:51], off offset:16
	v_exp_f32_e32 v69, v60
	global_load_dwordx4 v[62:65], v[58:59], off
	s_nop 0
	global_load_dwordx4 v[58:61], v[58:59], off offset:16
	v_sub_f32_e32 v80, v80, v88
	v_mul_f32_e32 v80, 0x3fb8aa3b, v80
	v_sub_f32_e32 v81, v81, v88
	v_exp_f32_e32 v80, v80
	v_mul_f32_e32 v81, 0x3fb8aa3b, v81
	v_sub_f32_e32 v70, v70, v88
	v_exp_f32_e32 v81, v81
	v_mul_f32_e32 v70, 0x3fb8aa3b, v70
	v_sub_f32_e32 v71, v71, v88
	v_cndmask_b32_e64 v68, 0, v68, s[28:29]
	v_exp_f32_e32 v70, v70
	v_mul_f32_e32 v71, 0x3fb8aa3b, v71
	v_sub_f32_e32 v82, v82, v88
	v_add_f32_e32 v91, 0, v68
	v_cndmask_b32_e64 v69, 0, v69, s[30:31]
	v_exp_f32_e32 v71, v71
	v_mul_f32_e32 v82, 0x3fb8aa3b, v82
	v_sub_f32_e32 v83, v83, v88
	v_add_f32_e32 v91, v91, v69
	;; [unrolled: 5-line block ×10, first 2 shown]
	v_cndmask_b32_e64 v78, 0, v78, s[10:11]
	v_exp_f32_e32 v66, v66
	v_mul_f32_e32 v67, 0x3fb8aa3b, v67
	v_add_f32_e32 v91, v91, v78
	v_cndmask_b32_e64 v79, 0, v79, s[12:13]
	v_exp_f32_e32 v67, v67
	v_add_f32_e32 v91, v91, v79
	v_cndmask_b32_e64 v72, 0, v72, s[2:3]
	v_add_f32_e32 v91, v91, v72
	v_cndmask_b32_e64 v73, 0, v73, s[8:9]
	v_add_f32_e32 v91, v91, v73
	v_cndmask_b32_e32 v66, 0, v66, vcc
	v_add_f32_e32 v91, v91, v66
	v_cndmask_b32_e64 v67, 0, v67, s[0:1]
	v_add_f32_e32 v91, v91, v67
	ds_bpermute_b32 v89, v89, v91
	v_cmp_gt_u32_e32 vcc, 16, v86
	s_waitcnt lgkmcnt(0)
	s_barrier
	v_add_f32_e32 v89, v91, v89
	ds_bpermute_b32 v90, v90, v89
	s_and_saveexec_b64 s[0:1], vcc
	s_cbranch_execz .LBB179_15
; %bb.14:
	s_waitcnt lgkmcnt(0)
	v_add_f32_e32 v86, v89, v90
	v_lshlrev_b32_e32 v87, 2, v87
	ds_write2st64_b32 v87, v88, v86 offset1:1
.LBB179_15:
	s_or_b64 exec, exec, s[0:1]
	v_lshlrev_b32_e32 v87, 2, v1
	s_load_dword s2, s[4:5], 0x94
	s_waitcnt lgkmcnt(0)
	s_barrier
	ds_read2_b32 v[88:89], v87 offset1:16
	ds_read2_b32 v[90:91], v87 offset0:32 offset1:48
	ds_read2_b32 v[92:93], v87 offset0:64 offset1:80
	s_lshl_b32 s3, s40, 3
	s_waitcnt lgkmcnt(2)
	v_max3_f32 v86, v88, s41, v89
	s_waitcnt lgkmcnt(1)
	v_max3_f32 v86, v86, v90, v91
	v_sub_f32_e32 v88, v88, v86
	v_mul_f32_e32 v88, 0x3fb8aa3b, v88
	v_exp_f32_e32 v94, v88
	v_sub_f32_e32 v88, v89, v86
	v_mul_f32_e32 v88, 0x3fb8aa3b, v88
	v_exp_f32_e32 v95, v88
	;; [unrolled: 3-line block ×3, first 2 shown]
	ds_read2_b32 v[88:89], v87 offset0:96 offset1:112
	v_sub_f32_e32 v87, v91, v86
	v_mul_f32_e32 v87, 0x3fb8aa3b, v87
	v_exp_f32_e32 v91, v87
	s_waitcnt lgkmcnt(1)
	v_fma_f32 v87, v94, v92, 0
	v_fmac_f32_e32 v87, v95, v93
	s_waitcnt lgkmcnt(0)
	v_fmac_f32_e32 v87, v90, v88
	v_fmac_f32_e32 v87, v91, v89
	v_add_f32_e32 v88, 0x358637bd, v87
	v_div_scale_f32 v89, s[0:1], v88, v88, 1.0
	v_rcp_f32_e32 v92, v89
	s_barrier
	v_fma_f32 v93, -v89, v92, 1.0
	v_fmac_f32_e32 v92, v93, v92
	v_div_scale_f32 v93, vcc, 1.0, v88, 1.0
	v_mul_f32_e32 v74, v93, v92
	v_fma_f32 v75, -v89, v74, v93
	v_fmac_f32_e32 v74, v75, v92
	v_fma_f32 v75, -v89, v74, v93
	v_div_fmas_f32 v74, v75, v92, v74
	v_cmp_eq_u32_e32 vcc, 1, v85
	v_cndmask_b32_e32 v75, v94, v95, vcc
	v_cmp_eq_u32_e32 vcc, 2, v85
	v_cndmask_b32_e32 v75, v75, v90, vcc
	v_cmp_eq_u32_e32 vcc, 3, v85
	v_div_fixup_f32 v74, v74, v88, 1.0
	v_cndmask_b32_e32 v75, v75, v91, vcc
	v_mul_f32_e32 v88, v75, v74
	v_pk_mul_f32 v[80:81], v[88:89], v[80:81] op_sel_hi:[0,1]
	v_cvt_f16_f32_e32 v74, v80
	v_cvt_f16_f32_e32 v75, v81
	v_pk_mul_f32 v[68:69], v[88:89], v[68:69] op_sel_hi:[0,1]
	v_cvt_f16_f32_e32 v68, v68
	v_cvt_f16_f32_e32 v69, v69
	v_pk_mul_f32 v[80:81], v[88:89], v[82:83] op_sel_hi:[0,1]
	v_pk_mul_f32 v[70:71], v[88:89], v[70:71] op_sel_hi:[0,1]
	v_pack_b32_f16 v91, v74, v75
	v_cvt_f16_f32_e32 v70, v70
	v_cvt_f16_f32_e32 v71, v71
	;; [unrolled: 1-line block ×4, first 2 shown]
	v_pack_b32_f16 v90, v68, v69
	v_lshlrev_b32_e32 v69, 3, v84
	v_lshlrev_b32_e32 v68, 5, v1
	v_lshlrev_b32_e32 v80, 11, v85
	v_or3_b32 v80, v80, v68, v69
	v_pack_b32_f16 v70, v70, v71
	v_pack_b32_f16 v71, v74, v75
	ds_write2st64_b64 v80, v[90:91], v[70:71] offset1:1
	v_pk_mul_f32 v[70:71], v[88:89], v[78:79] op_sel_hi:[0,1]
	v_pk_mul_f32 v[76:77], v[88:89], v[76:77] op_sel_hi:[0,1]
	v_cvt_f16_f32_e32 v69, v76
	v_cvt_f16_f32_e32 v75, v70
	;; [unrolled: 1-line block ×3, first 2 shown]
	v_pk_mul_f32 v[66:67], v[88:89], v[66:67] op_sel_hi:[0,1]
	v_pk_mul_f32 v[70:71], v[88:89], v[72:73] op_sel_hi:[0,1]
	v_cvt_f16_f32_e32 v74, v77
	v_cvt_f16_f32_e32 v70, v70
	;; [unrolled: 1-line block ×5, first 2 shown]
	v_pack_b32_f16 v66, v69, v74
	v_pack_b32_f16 v67, v75, v76
	;; [unrolled: 1-line block ×4, first 2 shown]
	v_cmp_gt_u32_e32 vcc, 8, v0
	ds_write2st64_b64 v80, v[66:67], v[70:71] offset0:2 offset1:3
	s_and_saveexec_b64 s[0:1], vcc
	s_cbranch_execz .LBB179_17
; %bb.16:
	v_or_b32_e32 v66, s27, v0
	v_mov_b32_e32 v67, 0
	v_mov_b32_e32 v69, s3
	v_mad_u64_u32 v[70:71], s[12:13], s6, v69, v[66:67]
	v_mov_b32_e32 v66, s26
	s_load_dwordx4 s[8:11], s[4:5], 0x58
	s_mul_i32 s7, s7, s3
	v_mad_u64_u32 v[66:67], s[12:13], v70, s2, v[66:67]
	v_add_u32_e32 v69, s7, v71
	v_mov_b32_e32 v70, v67
	v_mad_u64_u32 v[70:71], s[12:13], v69, s2, v[70:71]
	v_mov_b32_e32 v67, v70
	v_lshlrev_b64 v[66:67], 2, v[66:67]
	s_waitcnt lgkmcnt(0)
	v_mov_b32_e32 v69, s11
	v_add_co_u32_e32 v70, vcc, s10, v66
	v_addc_co_u32_e32 v71, vcc, v69, v67, vcc
	v_mov_b32_e32 v69, s9
	v_add_co_u32_e32 v66, vcc, s8, v66
	v_addc_co_u32_e32 v67, vcc, v69, v67, vcc
	global_store_dword v[70:71], v86, off
	global_store_dword v[66:67], v87, off
.LBB179_17:
	s_or_b64 exec, exec, s[0:1]
	v_lshl_or_b32 v74, v84, 9, v68
	s_waitcnt lgkmcnt(0)
	s_barrier
	ds_read_b128 v[70:73], v74
	ds_read_b128 v[66:69], v74 offset:16
	s_waitcnt vmcnt(15) lgkmcnt(1)
	v_mfma_f32_16x16x16f16 v[76:79], v[46:47], v[70:71], 0
	s_mov_b32 s1, 0
	v_cmp_gt_u32_e32 vcc, 64, v0
	v_mfma_f32_16x16x16f16 v[46:49], v[48:49], v[72:73], v[76:79]
	s_waitcnt vmcnt(14) lgkmcnt(0)
	v_mfma_f32_16x16x16f16 v[46:49], v[42:43], v[66:67], v[46:49]
	v_mfma_f32_16x16x16f16 v[42:45], v[44:45], v[68:69], v[46:49]
	s_nop 7
	s_nop 1
	ds_read_b128 v[46:49], v74 offset:2048
	ds_read_b128 v[76:79], v74 offset:2064
	s_waitcnt vmcnt(13) lgkmcnt(1)
	v_mfma_f32_16x16x16f16 v[42:45], v[38:39], v[46:47], v[42:45]
	v_mfma_f32_16x16x16f16 v[38:41], v[40:41], v[48:49], v[42:45]
	s_waitcnt vmcnt(12) lgkmcnt(0)
	v_mfma_f32_16x16x16f16 v[38:41], v[34:35], v[76:77], v[38:41]
	v_mfma_f32_16x16x16f16 v[34:37], v[36:37], v[78:79], v[38:41]
	s_nop 7
	s_nop 1
	ds_read_b128 v[38:41], v74 offset:4096
	ds_read_b128 v[42:45], v74 offset:4112
	s_waitcnt vmcnt(11) lgkmcnt(1)
	v_mfma_f32_16x16x16f16 v[34:37], v[30:31], v[38:39], v[34:37]
	v_mfma_f32_16x16x16f16 v[30:33], v[32:33], v[40:41], v[34:37]
	s_waitcnt vmcnt(10) lgkmcnt(0)
	v_mfma_f32_16x16x16f16 v[30:33], v[26:27], v[42:43], v[30:33]
	v_mfma_f32_16x16x16f16 v[26:29], v[28:29], v[44:45], v[30:33]
	s_nop 7
	s_nop 1
	ds_read_b128 v[30:33], v74 offset:6144
	ds_read_b128 v[34:37], v74 offset:6160
	s_waitcnt lgkmcnt(0)
	s_barrier
	s_waitcnt vmcnt(9)
	v_mfma_f32_16x16x16f16 v[26:29], v[22:23], v[30:31], v[26:29]
	v_mfma_f32_16x16x16f16 v[22:25], v[24:25], v[32:33], v[26:29]
	s_waitcnt vmcnt(8)
	v_mfma_f32_16x16x16f16 v[22:25], v[18:19], v[34:35], v[22:25]
	v_mfma_f32_16x16x16f16 v[18:21], v[20:21], v[36:37], v[22:25]
	s_waitcnt vmcnt(7)
	v_mfma_f32_16x16x16f16 v[22:25], v[6:7], v[70:71], 0
	v_mfma_f32_16x16x16f16 v[6:9], v[8:9], v[72:73], v[22:25]
	s_waitcnt vmcnt(6)
	v_mfma_f32_16x16x16f16 v[6:9], v[2:3], v[66:67], v[6:9]
	v_mfma_f32_16x16x16f16 v[2:5], v[4:5], v[68:69], v[6:9]
	s_waitcnt vmcnt(5)
	v_mfma_f32_16x16x16f16 v[2:5], v[14:15], v[46:47], v[2:5]
	s_nop 7
	v_cvt_f16_f32_e32 v6, v18
	v_cvt_f16_f32_e32 v7, v19
	;; [unrolled: 1-line block ×4, first 2 shown]
	v_mfma_f32_16x16x16f16 v[2:5], v[16:17], v[48:49], v[2:5]
	s_waitcnt vmcnt(4)
	v_mfma_f32_16x16x16f16 v[2:5], v[10:11], v[76:77], v[2:5]
	v_mfma_f32_16x16x16f16 v[2:5], v[12:13], v[78:79], v[2:5]
	s_waitcnt vmcnt(3)
	v_mfma_f32_16x16x16f16 v[2:5], v[54:55], v[38:39], v[2:5]
	;; [unrolled: 3-line block ×5, first 2 shown]
	v_mfma_f32_16x16x16f16 v[2:5], v[60:61], v[36:37], v[2:5]
	s_nop 7
	s_nop 2
	v_cvt_f16_f32_e32 v10, v2
	v_cvt_f16_f32_e32 v11, v3
	;; [unrolled: 1-line block ×4, first 2 shown]
	v_pack_b32_f16 v2, v6, v7
	v_pack_b32_f16 v3, v8, v9
	;; [unrolled: 1-line block ×4, first 2 shown]
	ds_write2st64_b64 v80, v[2:3], v[4:5] offset1:1
	s_waitcnt lgkmcnt(0)
	s_barrier
	s_and_saveexec_b64 s[8:9], vcc
	s_cbranch_execz .LBB179_19
; %bb.18:
	v_lshlrev_b32_e32 v1, 6, v1
	v_lshlrev_b32_e32 v3, 4, v0
	v_lshl_or_b32 v0, v0, 10, v1
	v_lshlrev_b32_e32 v2, 5, v84
	v_and_b32_e32 v3, 16, v3
	v_and_b32_e32 v0, 0x1a00, v0
	v_or3_b32 v4, v0, v2, v3
	ds_read_b128 v[0:3], v4
	ds_read_b128 v[4:7], v4 offset:128
	buffer_load_dword v10, off, s[44:47], 0 ; 4-byte Folded Reload
	buffer_load_dword v11, off, s[44:47], 0 offset:4 ; 4-byte Folded Reload
	s_load_dwordx2 s[4:5], s[4:5], 0x68
	s_lshl_b32 s7, s2, 7
	s_mul_i32 s0, s3, s6
	s_mul_hi_u32 s3, s0, s7
	s_mul_i32 s2, s0, s7
	s_lshl_b64 s[2:3], s[2:3], 1
	s_waitcnt lgkmcnt(0)
	s_add_u32 s2, s4, s2
	s_addc_u32 s3, s5, s3
	s_lshl_b32 s0, s26, 7
	s_lshl_b64 s[0:1], s[0:1], 1
	s_add_u32 s0, s2, s0
	s_addc_u32 s1, s3, s1
	v_mov_b32_e32 v8, s1
	v_or_b32_e32 v12, s27, v84
	s_waitcnt vmcnt(1)
	v_add_co_u32_e32 v10, vcc, s0, v10
	s_waitcnt vmcnt(0)
	v_addc_co_u32_e32 v11, vcc, v8, v11, vcc
	v_mad_u64_u32 v[8:9], s[0:1], v12, s7, 0
	v_lshlrev_b64 v[8:9], 1, v[8:9]
	v_add_co_u32_e32 v8, vcc, v10, v8
	v_addc_co_u32_e32 v9, vcc, v11, v9, vcc
	global_store_dwordx4 v[8:9], v[0:3], off
	s_nop 0
	v_or_b32_e32 v0, 4, v12
	v_mad_u64_u32 v[0:1], s[0:1], v0, s7, 0
	v_lshlrev_b64 v[0:1], 1, v[0:1]
	v_add_co_u32_e32 v0, vcc, v10, v0
	v_addc_co_u32_e32 v1, vcc, v11, v1, vcc
	global_store_dwordx4 v[0:1], v[4:7], off
.LBB179_19:
	s_endpgm
	.section	.rodata,"a",@progbits
	.p2align	6, 0x0
	.amdhsa_kernel _Z39paged_attention_ll4mi_QKV_mfma16_kernelIDF16_DF16_LN4vllm18Fp8KVCacheDataTypeE0EDF16_Li32ELi128ELi256ELb0ELi8EL8MFMAType0EEvPKT_PKT0_S8_ifPKiSA_SA_iPKfiiiPfSD_PS3_PT2_iSC_SC_
		.amdhsa_group_segment_fixed_size 8192
		.amdhsa_private_segment_fixed_size 12
		.amdhsa_kernarg_size 400
		.amdhsa_user_sgpr_count 6
		.amdhsa_user_sgpr_private_segment_buffer 1
		.amdhsa_user_sgpr_dispatch_ptr 0
		.amdhsa_user_sgpr_queue_ptr 0
		.amdhsa_user_sgpr_kernarg_segment_ptr 1
		.amdhsa_user_sgpr_dispatch_id 0
		.amdhsa_user_sgpr_flat_scratch_init 0
		.amdhsa_user_sgpr_kernarg_preload_length 0
		.amdhsa_user_sgpr_kernarg_preload_offset 0
		.amdhsa_user_sgpr_private_segment_size 0
		.amdhsa_uses_dynamic_stack 0
		.amdhsa_system_sgpr_private_segment_wavefront_offset 1
		.amdhsa_system_sgpr_workgroup_id_x 1
		.amdhsa_system_sgpr_workgroup_id_y 1
		.amdhsa_system_sgpr_workgroup_id_z 1
		.amdhsa_system_sgpr_workgroup_info 0
		.amdhsa_system_vgpr_workitem_id 0
		.amdhsa_next_free_vgpr 96
		.amdhsa_next_free_sgpr 48
		.amdhsa_accum_offset 96
		.amdhsa_reserve_vcc 1
		.amdhsa_reserve_flat_scratch 0
		.amdhsa_float_round_mode_32 0
		.amdhsa_float_round_mode_16_64 0
		.amdhsa_float_denorm_mode_32 3
		.amdhsa_float_denorm_mode_16_64 3
		.amdhsa_dx10_clamp 1
		.amdhsa_ieee_mode 1
		.amdhsa_fp16_overflow 0
		.amdhsa_tg_split 0
		.amdhsa_exception_fp_ieee_invalid_op 0
		.amdhsa_exception_fp_denorm_src 0
		.amdhsa_exception_fp_ieee_div_zero 0
		.amdhsa_exception_fp_ieee_overflow 0
		.amdhsa_exception_fp_ieee_underflow 0
		.amdhsa_exception_fp_ieee_inexact 0
		.amdhsa_exception_int_div_zero 0
	.end_amdhsa_kernel
	.section	.text._Z39paged_attention_ll4mi_QKV_mfma16_kernelIDF16_DF16_LN4vllm18Fp8KVCacheDataTypeE0EDF16_Li32ELi128ELi256ELb0ELi8EL8MFMAType0EEvPKT_PKT0_S8_ifPKiSA_SA_iPKfiiiPfSD_PS3_PT2_iSC_SC_,"axG",@progbits,_Z39paged_attention_ll4mi_QKV_mfma16_kernelIDF16_DF16_LN4vllm18Fp8KVCacheDataTypeE0EDF16_Li32ELi128ELi256ELb0ELi8EL8MFMAType0EEvPKT_PKT0_S8_ifPKiSA_SA_iPKfiiiPfSD_PS3_PT2_iSC_SC_,comdat
.Lfunc_end179:
	.size	_Z39paged_attention_ll4mi_QKV_mfma16_kernelIDF16_DF16_LN4vllm18Fp8KVCacheDataTypeE0EDF16_Li32ELi128ELi256ELb0ELi8EL8MFMAType0EEvPKT_PKT0_S8_ifPKiSA_SA_iPKfiiiPfSD_PS3_PT2_iSC_SC_, .Lfunc_end179-_Z39paged_attention_ll4mi_QKV_mfma16_kernelIDF16_DF16_LN4vllm18Fp8KVCacheDataTypeE0EDF16_Li32ELi128ELi256ELb0ELi8EL8MFMAType0EEvPKT_PKT0_S8_ifPKiSA_SA_iPKfiiiPfSD_PS3_PT2_iSC_SC_
                                        ; -- End function
	.section	.AMDGPU.csdata,"",@progbits
; Kernel info:
; codeLenInByte = 4740
; NumSgprs: 52
; NumVgprs: 96
; NumAgprs: 0
; TotalNumVgprs: 96
; ScratchSize: 12
; MemoryBound: 0
; FloatMode: 240
; IeeeMode: 1
; LDSByteSize: 8192 bytes/workgroup (compile time only)
; SGPRBlocks: 6
; VGPRBlocks: 11
; NumSGPRsForWavesPerEU: 52
; NumVGPRsForWavesPerEU: 96
; AccumOffset: 96
; Occupancy: 5
; WaveLimiterHint : 1
; COMPUTE_PGM_RSRC2:SCRATCH_EN: 1
; COMPUTE_PGM_RSRC2:USER_SGPR: 6
; COMPUTE_PGM_RSRC2:TRAP_HANDLER: 0
; COMPUTE_PGM_RSRC2:TGID_X_EN: 1
; COMPUTE_PGM_RSRC2:TGID_Y_EN: 1
; COMPUTE_PGM_RSRC2:TGID_Z_EN: 1
; COMPUTE_PGM_RSRC2:TIDIG_COMP_CNT: 0
; COMPUTE_PGM_RSRC3_GFX90A:ACCUM_OFFSET: 23
; COMPUTE_PGM_RSRC3_GFX90A:TG_SPLIT: 0
	.section	.text._Z39paged_attention_ll4mi_QKV_mfma16_kernelIDF16_DF16_LN4vllm18Fp8KVCacheDataTypeE0EDF16_Li32ELi128ELi256ELb0ELi9EL8MFMAType0EEvPKT_PKT0_S8_ifPKiSA_SA_iPKfiiiPfSD_PS3_PT2_iSC_SC_,"axG",@progbits,_Z39paged_attention_ll4mi_QKV_mfma16_kernelIDF16_DF16_LN4vllm18Fp8KVCacheDataTypeE0EDF16_Li32ELi128ELi256ELb0ELi9EL8MFMAType0EEvPKT_PKT0_S8_ifPKiSA_SA_iPKfiiiPfSD_PS3_PT2_iSC_SC_,comdat
	.protected	_Z39paged_attention_ll4mi_QKV_mfma16_kernelIDF16_DF16_LN4vllm18Fp8KVCacheDataTypeE0EDF16_Li32ELi128ELi256ELb0ELi9EL8MFMAType0EEvPKT_PKT0_S8_ifPKiSA_SA_iPKfiiiPfSD_PS3_PT2_iSC_SC_ ; -- Begin function _Z39paged_attention_ll4mi_QKV_mfma16_kernelIDF16_DF16_LN4vllm18Fp8KVCacheDataTypeE0EDF16_Li32ELi128ELi256ELb0ELi9EL8MFMAType0EEvPKT_PKT0_S8_ifPKiSA_SA_iPKfiiiPfSD_PS3_PT2_iSC_SC_
	.globl	_Z39paged_attention_ll4mi_QKV_mfma16_kernelIDF16_DF16_LN4vllm18Fp8KVCacheDataTypeE0EDF16_Li32ELi128ELi256ELb0ELi9EL8MFMAType0EEvPKT_PKT0_S8_ifPKiSA_SA_iPKfiiiPfSD_PS3_PT2_iSC_SC_
	.p2align	8
	.type	_Z39paged_attention_ll4mi_QKV_mfma16_kernelIDF16_DF16_LN4vllm18Fp8KVCacheDataTypeE0EDF16_Li32ELi128ELi256ELb0ELi9EL8MFMAType0EEvPKT_PKT0_S8_ifPKiSA_SA_iPKfiiiPfSD_PS3_PT2_iSC_SC_,@function
_Z39paged_attention_ll4mi_QKV_mfma16_kernelIDF16_DF16_LN4vllm18Fp8KVCacheDataTypeE0EDF16_Li32ELi128ELi256ELb0ELi9EL8MFMAType0EEvPKT_PKT0_S8_ifPKiSA_SA_iPKfiiiPfSD_PS3_PT2_iSC_SC_: ; @_Z39paged_attention_ll4mi_QKV_mfma16_kernelIDF16_DF16_LN4vllm18Fp8KVCacheDataTypeE0EDF16_Li32ELi128ELi256ELb0ELi9EL8MFMAType0EEvPKT_PKT0_S8_ifPKiSA_SA_iPKfiiiPfSD_PS3_PT2_iSC_SC_
; %bb.0:
	s_mov_b64 s[46:47], s[2:3]
	s_mov_b64 s[44:45], s[0:1]
	s_load_dwordx2 s[0:1], s[4:5], 0x30
	s_add_u32 s44, s44, s9
	s_addc_u32 s45, s45, 0
	s_mov_b32 s26, s7
	s_mov_b64 s[10:11], 0
	s_waitcnt lgkmcnt(0)
	s_cmp_lg_u64 s[0:1], 0
	s_cselect_b64 s[2:3], -1, 0
	s_and_b64 vcc, exec, s[2:3]
	s_cbranch_vccz .LBB180_7
; %bb.1:
	s_add_i32 s12, s6, 1
	s_mov_b32 s13, 0
	s_lshl_b64 s[14:15], s[12:13], 2
	s_add_u32 s14, s0, s14
	s_mov_b32 s7, s13
	s_addc_u32 s15, s1, s15
	s_lshl_b64 s[12:13], s[6:7], 2
	s_add_u32 s12, s0, s12
	s_addc_u32 s13, s1, s13
	s_load_dword s9, s[14:15], 0x0
	s_load_dword s16, s[12:13], 0x0
	s_waitcnt lgkmcnt(0)
	s_sub_i32 s9, s9, s16
	s_cmp_eq_u32 s9, 1
	s_cselect_b64 s[12:13], -1, 0
	s_andn2_b64 vcc, exec, s[10:11]
	s_cbranch_vccnz .LBB180_3
.LBB180_2:
	s_mov_b32 s7, 0
	s_mov_b64 s[12:13], -1
.LBB180_3:
	s_andn2_b64 vcc, exec, s[12:13]
	s_cbranch_vccnz .LBB180_20
; %bb.4:
	s_load_dwordx2 s[12:13], s[4:5], 0x28
	s_lshl_b64 s[10:11], s[6:7], 2
	s_waitcnt lgkmcnt(0)
	s_add_u32 s12, s12, s10
	s_addc_u32 s13, s13, s11
	s_load_dword s33, s[12:13], 0x0
	s_lshl_b32 s9, s26, 8
	s_waitcnt lgkmcnt(0)
	s_cmp_ge_i32 s9, s33
	s_cbranch_scc1 .LBB180_20
; %bb.5:
	s_add_i32 s15, s33, 31
	s_load_dwordx2 s[12:13], s[4:5], 0x20
	s_load_dword s14, s[4:5], 0x38
	s_ashr_i32 s16, s15, 31
	v_and_b32_e32 v1, 0xcf, v0
	s_lshr_b32 s16, s16, 27
	v_add_u32_e32 v1, s9, v1
	s_add_i32 s15, s15, s16
	v_ashrrev_i32_e32 v2, 31, v1
	s_ashr_i32 s18, s15, 5
	v_lshrrev_b32_e32 v10, 27, v2
	s_add_i32 s18, s18, -1
	v_add_u32_e32 v2, v1, v10
	s_waitcnt lgkmcnt(0)
	s_mul_i32 s14, s6, s14
	s_mov_b32 s15, 0
	v_ashrrev_i32_e32 v2, 5, v2
	v_mov_b32_e32 v11, s18
	v_cmp_gt_i32_e32 vcc, s33, v1
	s_lshl_b64 s[14:15], s[14:15], 2
	v_cndmask_b32_e32 v2, v11, v2, vcc
	s_add_u32 s16, s12, s14
	v_ashrrev_i32_e32 v3, 31, v2
	s_addc_u32 s17, s13, s15
	v_lshlrev_b64 v[2:3], 2, v[2:3]
	v_mov_b32_e32 v4, s17
	v_add_co_u32_e32 v2, vcc, s16, v2
	v_addc_co_u32_e32 v3, vcc, v4, v3, vcc
	v_or_b32_e32 v4, 16, v1
	v_add_u32_e32 v5, v4, v10
	v_ashrrev_i32_e32 v5, 5, v5
	v_cmp_gt_i32_e32 vcc, s33, v4
	v_cndmask_b32_e32 v4, v11, v5, vcc
	v_ashrrev_i32_e32 v5, 31, v4
	v_lshlrev_b64 v[4:5], 2, v[4:5]
	v_mov_b32_e32 v7, s17
	v_add_co_u32_e32 v6, vcc, s16, v4
	v_or_b32_e32 v4, 32, v1
	v_addc_co_u32_e32 v7, vcc, v7, v5, vcc
	v_add_u32_e32 v5, v4, v10
	v_ashrrev_i32_e32 v5, 5, v5
	v_cmp_gt_i32_e32 vcc, s33, v4
	v_cndmask_b32_e32 v4, v11, v5, vcc
	v_ashrrev_i32_e32 v5, 31, v4
	v_lshlrev_b64 v[4:5], 2, v[4:5]
	v_mov_b32_e32 v9, s17
	v_add_co_u32_e32 v8, vcc, s16, v4
	v_or_b32_e32 v1, 48, v1
	v_addc_co_u32_e32 v9, vcc, v9, v5, vcc
	v_add_u32_e32 v4, v1, v10
	v_ashrrev_i32_e32 v4, 5, v4
	v_cmp_gt_i32_e32 vcc, s33, v1
	v_cndmask_b32_e32 v4, v11, v4, vcc
	v_ashrrev_i32_e32 v5, 31, v4
	v_lshlrev_b64 v[4:5], 2, v[4:5]
	v_mov_b32_e32 v1, s17
	v_add_co_u32_e32 v10, vcc, s16, v4
	v_addc_co_u32_e32 v11, vcc, v1, v5, vcc
	global_load_dword v5, v[2:3], off
	global_load_dword v4, v[6:7], off
	;; [unrolled: 1-line block ×4, first 2 shown]
	s_andn2_b64 vcc, exec, s[2:3]
	s_cbranch_vccnz .LBB180_8
; %bb.6:
	s_add_u32 s0, s0, s10
	s_addc_u32 s1, s1, s11
	s_load_dword s19, s[0:1], 0x0
	s_branch .LBB180_9
.LBB180_7:
	s_mov_b64 s[12:13], 0
	s_branch .LBB180_2
.LBB180_8:
	s_mov_b32 s19, s6
.LBB180_9:
	s_load_dwordx4 s[12:15], s[4:5], 0x8
	s_load_dwordx4 s[0:3], s[4:5], 0x48
	v_lshrrev_b32_e32 v85, 6, v0
	v_bfe_u32 v1, v0, 4, 2
	v_lshl_or_b32 v6, v85, 2, v1
	v_and_b32_e32 v84, 15, v0
	v_lshlrev_b32_e32 v2, 3, v84
	v_cmp_lt_u32_e32 vcc, 8, v6
	s_and_saveexec_b64 s[10:11], vcc
	s_xor_b64 s[10:11], exec, s[10:11]
; %bb.10:
	v_mov_b32_e32 v3, 0
                                        ; implicit-def: $vgpr6
; %bb.11:
	s_or_saveexec_b64 s[10:11], s[10:11]
	v_and_b32_e32 v86, 63, v0
	s_mul_i32 s27, s8, 9
	s_xor_b64 exec, exec, s[10:11]
	s_cbranch_execz .LBB180_13
; %bb.12:
	s_load_dwordx2 s[20:21], s[4:5], 0x0
	s_waitcnt lgkmcnt(0)
	s_ashr_i32 s3, s0, 31
	s_mul_hi_u32 s22, s19, s0
	s_mul_i32 s3, s19, s3
	s_add_i32 s23, s22, s3
	s_mul_i32 s22, s19, s0
	s_lshl_b64 s[22:23], s[22:23], 1
	v_add_lshl_u32 v8, v6, s27, 7
	s_add_u32 s0, s20, s22
	v_ashrrev_i32_e32 v9, 31, v8
	s_addc_u32 s3, s21, s23
	v_lshlrev_b64 v[8:9], 1, v[8:9]
	v_mov_b32_e32 v3, s3
	v_add_co_u32_e32 v7, vcc, s0, v8
	v_addc_co_u32_e32 v3, vcc, v3, v9, vcc
	v_lshlrev_b32_e32 v8, 1, v2
	v_add_co_u32_e32 v8, vcc, v7, v8
	v_addc_co_u32_e32 v9, vcc, 0, v3, vcc
	global_load_dwordx4 v[8:11], v[8:9], off
	v_and_b32_e32 v7, 3, v0
	v_lshlrev_b32_e32 v12, 9, v84
	v_lshlrev_b32_e32 v6, 5, v6
	;; [unrolled: 1-line block ×3, first 2 shown]
	v_and_b32_e32 v12, 0x1800, v12
	v_mov_b32_e32 v3, 0
	v_or3_b32 v6, v12, v7, v6
	s_waitcnt vmcnt(0)
	ds_write_b128 v6, v[8:11]
.LBB180_13:
	s_or_b64 exec, exec, s[10:11]
	s_waitcnt lgkmcnt(0)
	s_mul_i32 s2, s8, s2
	s_mov_b32 s3, 0
	s_lshl_b64 s[2:3], s[2:3], 1
	s_add_u32 s8, s12, s2
	s_addc_u32 s10, s13, s3
	s_waitcnt vmcnt(3)
	v_mad_i64_i32 v[6:7], s[12:13], v5, s1, 0
	v_lshlrev_b64 v[6:7], 1, v[6:7]
	v_mov_b32_e32 v5, s10
	v_add_co_u32_e32 v6, vcc, s8, v6
	v_addc_co_u32_e32 v5, vcc, v5, v7, vcc
	v_lshlrev_b64 v[60:61], 1, v[2:3]
	v_add_co_u32_e32 v27, vcc, v6, v60
	v_lshlrev_b32_e32 v26, 9, v1
	v_addc_co_u32_e32 v28, vcc, v5, v61, vcc
	v_add_co_u32_e32 v2, vcc, v27, v26
	v_addc_co_u32_e32 v3, vcc, 0, v28, vcc
	s_load_dword s40, s[4:5], 0x98
	s_load_dword s0, s[4:5], 0x1c
	s_waitcnt lgkmcnt(0)
	s_barrier
	global_load_dwordx4 v[10:13], v[2:3], off
	s_waitcnt vmcnt(3)
	v_mad_i64_i32 v[4:5], s[12:13], v4, s1, 0
	v_lshlrev_b64 v[4:5], 1, v[4:5]
	v_mov_b32_e32 v6, s10
	v_add_co_u32_e32 v4, vcc, s8, v4
	v_addc_co_u32_e32 v5, vcc, v6, v5, vcc
	v_mov_b32_e32 v6, 0x100
	v_lshl_or_b32 v29, v84, 4, v6
	v_add_co_u32_e32 v30, vcc, v4, v29
	v_addc_co_u32_e32 v31, vcc, 0, v5, vcc
	v_add_co_u32_e32 v22, vcc, v30, v26
	v_addc_co_u32_e32 v23, vcc, 0, v31, vcc
	global_load_dwordx4 v[18:21], v[22:23], off
	global_load_dwordx4 v[14:17], v[2:3], off offset:2048
	v_add_u32_e32 v2, -9, v84
	v_cmp_gt_u32_e32 vcc, 9, v84
	v_cndmask_b32_e32 v2, v2, v84, vcc
	v_lshl_add_u32 v32, v2, 5, v26
	ds_read_b128 v[6:9], v32
	ds_read_b128 v[2:5], v32 offset:2048
	v_or_b32_e32 v58, 0x1000, v26
	global_load_dwordx4 v[38:41], v[22:23], off offset:2048
	v_add_co_u32_e32 v22, vcc, v27, v58
	v_addc_co_u32_e32 v23, vcc, 0, v28, vcc
	v_or_b32_e32 v62, 0x1800, v26
	s_ashr_i32 s11, s9, 31
	v_and_or_b32 v63, v0, 48, s9
	v_mov_b32_e32 v66, s18
	v_lshl_or_b32 v87, v85, 4, v84
	v_lshlrev_b32_e32 v90, 6, v87
	s_mov_b32 s41, 0xff7fffff
	s_waitcnt vmcnt(3) lgkmcnt(1)
	v_mfma_f32_16x16x16f16 v[34:37], v[10:11], v[6:7], 0
	s_waitcnt vmcnt(2)
	v_mfma_f32_16x16x16f16 v[42:45], v[18:19], v[6:7], 0
	v_mfma_f32_16x16x16f16 v[10:13], v[12:13], v[8:9], v[34:37]
	s_nop 7
	global_load_dwordx4 v[34:37], v[22:23], off
	v_add_co_u32_e32 v22, vcc, v30, v58
	v_addc_co_u32_e32 v23, vcc, 0, v31, vcc
	v_mfma_f32_16x16x16f16 v[18:21], v[20:21], v[8:9], v[42:45]
	global_load_dwordx4 v[46:49], v[22:23], off
	s_waitcnt vmcnt(3) lgkmcnt(0)
	v_mfma_f32_16x16x16f16 v[42:45], v[14:15], v[2:3], v[10:13]
	s_nop 6
	v_add_co_u32_e32 v10, vcc, v27, v62
	v_addc_co_u32_e32 v11, vcc, 0, v28, vcc
	global_load_dwordx4 v[54:57], v[10:11], off
	v_mad_i64_i32 v[10:11], s[12:13], v25, s1, 0
	v_add_co_u32_e32 v30, vcc, v30, v62
	v_lshlrev_b64 v[22:23], 1, v[10:11]
	v_addc_co_u32_e32 v31, vcc, 0, v31, vcc
	v_mov_b32_e32 v25, s10
	v_add_co_u32_e32 v22, vcc, s8, v22
	v_addc_co_u32_e32 v23, vcc, v25, v23, vcc
	ds_read_b128 v[10:13], v32 offset:4096
	ds_read_b128 v[50:53], v32 offset:6144
	global_load_dwordx4 v[30:33], v[30:31], off
	v_add_co_u32_e32 v27, vcc, v22, v60
	buffer_store_dword v60, off, s[44:47], 0 ; 4-byte Folded Spill
	s_nop 0
	buffer_store_dword v61, off, s[44:47], 0 offset:4 ; 4-byte Folded Spill
	s_waitcnt vmcnt(6)
	v_mfma_f32_16x16x16f16 v[18:21], v[38:39], v[2:3], v[18:21]
	v_mov_b32_e32 v28, s10
	s_lshr_b32 s10, s11, 27
	s_add_u32 s2, s14, s2
	s_addc_u32 s3, s15, s3
	v_addc_co_u32_e32 v59, vcc, v23, v61, vcc
	v_add_co_u32_e32 v22, vcc, v27, v26
	v_addc_co_u32_e32 v23, vcc, 0, v59, vcc
	v_mfma_f32_16x16x16f16 v[14:17], v[16:17], v[4:5], v[42:45]
	v_mfma_f32_16x16x16f16 v[18:21], v[40:41], v[4:5], v[18:21]
	global_load_dwordx4 v[38:41], v[22:23], off
	s_nop 4
	global_load_dwordx4 v[42:45], v[22:23], off offset:2048
	v_mad_i64_i32 v[22:23], s[12:13], v24, s1, 0
	s_waitcnt vmcnt(7) lgkmcnt(1)
	v_mfma_f32_16x16x16f16 v[14:17], v[34:35], v[10:11], v[14:17]
	v_lshlrev_b64 v[34:35], 1, v[22:23]
	v_add_co_u32_e32 v22, vcc, v27, v58
	v_addc_co_u32_e32 v23, vcc, 0, v59, vcc
	global_load_dwordx4 v[22:25], v[22:23], off
	v_add_co_u32_e32 v34, vcc, s8, v34
	s_waitcnt vmcnt(7)
	v_mfma_f32_16x16x16f16 v[18:21], v[46:47], v[10:11], v[18:21]
	v_addc_co_u32_e32 v28, vcc, v28, v35, vcc
	v_add_co_u32_e32 v64, vcc, v34, v29
	v_addc_co_u32_e32 v65, vcc, 0, v28, vcc
	v_add_co_u32_e32 v28, vcc, v27, v62
	v_mfma_f32_16x16x16f16 v[14:17], v[36:37], v[12:13], v[14:17]
	v_addc_co_u32_e32 v29, vcc, 0, v59, vcc
	v_add_co_u32_e32 v46, vcc, v64, v26
	global_load_dwordx4 v[26:29], v[28:29], off
	v_addc_co_u32_e32 v47, vcc, 0, v65, vcc
	v_mfma_f32_16x16x16f16 v[18:21], v[48:49], v[12:13], v[18:21]
	v_add_co_u32_e32 v48, vcc, v64, v58
	v_add_u32_e32 v35, s10, v63
	v_addc_co_u32_e32 v49, vcc, 0, v65, vcc
	v_ashrrev_i32_e32 v60, 5, v35
	v_cmp_gt_i32_e32 vcc, s33, v63
	s_waitcnt vmcnt(7) lgkmcnt(0)
	v_mfma_f32_16x16x16f16 v[14:17], v[54:55], v[50:51], v[14:17]
	s_waitcnt vmcnt(6)
	v_mfma_f32_16x16x16f16 v[18:21], v[30:31], v[50:51], v[18:21]
	v_mov_b32_e32 v31, s17
	v_mfma_f32_16x16x16f16 v[54:57], v[56:57], v[52:53], v[14:17]
	global_load_dwordx4 v[34:37], v[46:47], off
	s_nop 5
	global_load_dwordx4 v[14:17], v[46:47], off offset:2048
	v_cndmask_b32_e32 v46, v66, v60, vcc
	v_ashrrev_i32_e32 v47, 31, v46
	v_lshlrev_b64 v[46:47], 2, v[46:47]
	v_add_co_u32_e32 v30, vcc, s16, v46
	v_addc_co_u32_e32 v31, vcc, v31, v47, vcc
	global_load_dword v46, v[30:31], off
	v_or_b32_e32 v30, 64, v63
	v_mfma_f32_16x16x16f16 v[58:61], v[32:33], v[52:53], v[18:21]
	v_cmp_gt_i32_e32 vcc, s33, v30
	v_mov_b32_e32 v32, s17
	v_mov_b32_e32 v33, s17
	s_nop 3
	v_add_u32_e32 v18, s10, v30
	v_ashrrev_i32_e32 v18, 5, v18
	v_cndmask_b32_e32 v18, v66, v18, vcc
	v_ashrrev_i32_e32 v19, 31, v18
	v_lshlrev_b64 v[30:31], 2, v[18:19]
	v_add_co_u32_e32 v30, vcc, s16, v30
	v_addc_co_u32_e32 v31, vcc, v32, v31, vcc
	global_load_dword v32, v[30:31], off
	s_waitcnt vmcnt(7)
	v_mfma_f32_16x16x16f16 v[18:21], v[38:39], v[6:7], 0
	v_or_b32_e32 v30, 0x80, v63
	v_add_u32_e32 v31, s10, v30
	v_ashrrev_i32_e32 v31, 5, v31
	v_cmp_gt_i32_e32 vcc, s33, v30
	v_cndmask_b32_e32 v30, v66, v31, vcc
	v_ashrrev_i32_e32 v31, 31, v30
	v_lshlrev_b64 v[30:31], 2, v[30:31]
	v_mfma_f32_16x16x16f16 v[18:21], v[40:41], v[8:9], v[18:21]
	v_add_co_u32_e32 v30, vcc, s16, v30
	v_addc_co_u32_e32 v31, vcc, v33, v31, vcc
	global_load_dword v33, v[30:31], off
	v_or_b32_e32 v30, 0xc0, v63
	v_add_u32_e32 v31, s10, v30
	s_waitcnt vmcnt(7)
	v_mfma_f32_16x16x16f16 v[18:21], v[42:43], v[2:3], v[18:21]
	v_ashrrev_i32_e32 v31, 5, v31
	v_cmp_gt_i32_e32 vcc, s33, v30
	v_cndmask_b32_e32 v30, v66, v31, vcc
	global_load_dwordx4 v[66:69], v[48:49], off
	v_ashrrev_i32_e32 v31, 31, v30
	v_lshlrev_b64 v[30:31], 2, v[30:31]
	v_mov_b32_e32 v38, s17
	v_mfma_f32_16x16x16f16 v[18:21], v[44:45], v[4:5], v[18:21]
	v_add_co_u32_e32 v30, vcc, s16, v30
	v_addc_co_u32_e32 v31, vcc, v38, v31, vcc
	global_load_dword v63, v[30:31], off
	s_waitcnt vmcnt(8)
	v_mfma_f32_16x16x16f16 v[18:21], v[22:23], v[10:11], v[18:21]
	v_add_co_u32_e32 v22, vcc, v64, v62
	v_addc_co_u32_e32 v23, vcc, 0, v65, vcc
	global_load_dwordx4 v[70:73], v[22:23], off
	v_and_b32_e32 v22, 16, v0
	v_lshlrev_b32_e32 v22, 1, v22
	v_mfma_f32_16x16x16f16 v[18:21], v[24:25], v[12:13], v[18:21]
	v_mov_b32_e32 v23, s3
	v_add_co_u32_e32 v88, vcc, s2, v22
	v_addc_co_u32_e32 v89, vcc, 0, v23, vcc
	v_add_co_u32_e32 v22, vcc, v88, v90
	s_waitcnt vmcnt(8)
	v_mfma_f32_16x16x16f16 v[18:21], v[26:27], v[50:51], v[18:21]
	v_addc_co_u32_e32 v23, vcc, 0, v89, vcc
	v_mfma_f32_16x16x16f16 v[76:79], v[28:29], v[52:53], v[18:21]
	s_waitcnt vmcnt(5)
	s_nop 7
	v_mad_i64_i32 v[18:19], s[2:3], v46, s1, 0
	v_lshlrev_b64 v[80:81], 1, v[18:19]
	v_mfma_f32_16x16x16f16 v[18:21], v[34:35], v[6:7], 0
	v_add_co_u32_e32 v6, vcc, v22, v80
	v_addc_co_u32_e32 v7, vcc, v23, v81, vcc
	global_load_dwordx4 v[46:49], v[6:7], off
	global_load_dwordx4 v[42:45], v[6:7], off offset:16
	v_pk_mul_f32 v[76:77], s[0:1], v[76:77] op_sel_hi:[0,1]
	v_pk_mul_f32 v[78:79], s[0:1], v[78:79] op_sel_hi:[0,1]
	s_waitcnt vmcnt(6)
	v_mad_i64_i32 v[6:7], s[2:3], v32, s1, 0
	v_lshlrev_b64 v[82:83], 1, v[6:7]
	v_mfma_f32_16x16x16f16 v[6:9], v[36:37], v[8:9], v[18:21]
	v_mfma_f32_16x16x16f16 v[6:9], v[14:15], v[2:3], v[6:9]
	s_nop 5
	v_add_co_u32_e32 v18, vcc, v22, v82
	v_addc_co_u32_e32 v19, vcc, v23, v83, vcc
	global_load_dwordx4 v[38:41], v[18:19], off
	global_load_dwordx4 v[34:37], v[18:19], off offset:16
	s_waitcnt vmcnt(7)
	v_mad_i64_i32 v[18:19], s[2:3], v33, s1, 0
	v_lshlrev_b64 v[64:65], 1, v[18:19]
	v_add_co_u32_e32 v2, vcc, v22, v64
	v_addc_co_u32_e32 v3, vcc, v23, v65, vcc
	global_load_dwordx4 v[30:33], v[2:3], off
	global_load_dwordx4 v[26:29], v[2:3], off offset:16
	v_mfma_f32_16x16x16f16 v[2:5], v[16:17], v[4:5], v[6:9]
	s_waitcnt vmcnt(8)
	v_mfma_f32_16x16x16f16 v[2:5], v[66:67], v[10:11], v[2:5]
	s_waitcnt vmcnt(7)
	s_nop 3
	v_mad_i64_i32 v[6:7], s[2:3], v63, s1, 0
	v_lshlrev_b64 v[62:63], 1, v[6:7]
	v_add_co_u32_e32 v6, vcc, v22, v62
	v_addc_co_u32_e32 v7, vcc, v23, v63, vcc
	v_mfma_f32_16x16x16f16 v[10:13], v[68:69], v[12:13], v[2:5]
	global_load_dwordx4 v[22:25], v[6:7], off
	global_load_dwordx4 v[18:21], v[6:7], off offset:16
	v_or_b32_e32 v6, 0x1000, v90
	v_add_co_u32_e32 v92, vcc, v88, v6
	v_addc_co_u32_e32 v93, vcc, 0, v89, vcc
	s_nop 1
	v_add_co_u32_e32 v2, vcc, v92, v80
	s_waitcnt vmcnt(8)
	v_mfma_f32_16x16x16f16 v[88:91], v[70:71], v[50:51], v[10:13]
	v_addc_co_u32_e32 v3, vcc, v93, v81, vcc
	v_add_co_u32_e32 v66, vcc, v92, v82
	v_addc_co_u32_e32 v67, vcc, v93, v83, vcc
	global_load_dwordx4 v[6:9], v[2:3], off
	s_nop 0
	global_load_dwordx4 v[2:5], v[2:3], off offset:16
	v_mfma_f32_16x16x16f16 v[50:53], v[72:73], v[52:53], v[88:91]
	global_load_dwordx4 v[14:17], v[66:67], off
	global_load_dwordx4 v[10:13], v[66:67], off offset:16
	v_pk_mul_f32 v[68:69], s[0:1], v[54:55] op_sel_hi:[0,1]
	v_pk_mul_f32 v[80:81], s[0:1], v[56:57] op_sel_hi:[0,1]
	;; [unrolled: 1-line block ×4, first 2 shown]
	s_nop 4
	v_pk_mul_f32 v[72:73], s[0:1], v[50:51] op_sel_hi:[0,1]
	v_and_b32_e32 v50, 0xc0, v0
	v_add_u32_e32 v50, s9, v50
	v_lshl_or_b32 v50, v1, 2, v50
	v_pk_mul_f32 v[66:67], s[0:1], v[52:53] op_sel_hi:[0,1]
	v_or_b32_e32 v53, 1, v50
	v_mov_b32_e32 v51, 0xff7fffff
	v_cmp_gt_i32_e64 s[28:29], s33, v50
	v_cmp_gt_i32_e64 s[30:31], s33, v53
	v_cndmask_b32_e64 v52, v51, v68, s[28:29]
	v_cndmask_b32_e64 v53, v51, v69, s[30:31]
	v_max3_f32 v52, v52, s41, v53
	v_or_b32_e32 v53, 2, v50
	v_or_b32_e32 v54, 3, v50
	v_cmp_gt_i32_e64 s[34:35], s33, v53
	v_cmp_gt_i32_e64 s[36:37], s33, v54
	v_cndmask_b32_e64 v53, v51, v80, s[34:35]
	v_cndmask_b32_e64 v54, v51, v81, s[36:37]
	v_max3_f32 v52, v52, v53, v54
	v_or_b32_e32 v53, 16, v50
	v_or_b32_e32 v54, 17, v50
	;; [unrolled: 7-line block ×7, first 2 shown]
	v_cmp_gt_i32_e32 vcc, s33, v53
	v_cmp_gt_i32_e64 s[0:1], s33, v50
	v_cndmask_b32_e32 v53, v51, v66, vcc
	v_cndmask_b32_e64 v50, v51, v67, s[0:1]
	v_max3_f32 v58, v52, v53, v50
	v_mbcnt_lo_u32_b32 v50, -1, 0
	v_mbcnt_hi_u32_b32 v59, -1, v50
	v_and_b32_e32 v50, 64, v59
	v_add_u32_e32 v60, 64, v50
	v_xor_b32_e32 v50, 32, v59
	v_cmp_lt_i32_e64 s[38:39], v50, v60
	v_cndmask_b32_e64 v50, v59, v50, s[38:39]
	v_lshlrev_b32_e32 v89, 2, v50
	ds_bpermute_b32 v61, v89, v58
	v_add_co_u32_e64 v50, s[38:39], v92, v64
	v_addc_co_u32_e64 v51, s[38:39], v93, v65, s[38:39]
	s_waitcnt lgkmcnt(0)
	v_max_f32_e32 v61, v61, v61
	v_max_f32_e32 v61, v58, v61
	v_xor_b32_e32 v58, 16, v59
	v_cmp_lt_i32_e64 s[38:39], v58, v60
	v_cndmask_b32_e64 v58, v59, v58, s[38:39]
	v_lshlrev_b32_e32 v90, 2, v58
	ds_bpermute_b32 v60, v90, v61
	v_add_co_u32_e64 v58, s[38:39], v92, v62
	v_addc_co_u32_e64 v59, s[38:39], v93, v63, s[38:39]
	s_waitcnt lgkmcnt(0)
	v_max_f32_e32 v60, v60, v60
	v_max_f32_e32 v88, v61, v60
	v_sub_f32_e32 v60, v68, v88
	v_mul_f32_e32 v60, 0x3fb8aa3b, v60
	v_exp_f32_e32 v68, v60
	v_sub_f32_e32 v60, v69, v88
	v_mul_f32_e32 v60, 0x3fb8aa3b, v60
	global_load_dwordx4 v[54:57], v[50:51], off
	s_nop 0
	global_load_dwordx4 v[50:53], v[50:51], off offset:16
	v_exp_f32_e32 v69, v60
	global_load_dwordx4 v[62:65], v[58:59], off
	s_nop 0
	global_load_dwordx4 v[58:61], v[58:59], off offset:16
	v_sub_f32_e32 v80, v80, v88
	v_mul_f32_e32 v80, 0x3fb8aa3b, v80
	v_sub_f32_e32 v81, v81, v88
	v_exp_f32_e32 v80, v80
	v_mul_f32_e32 v81, 0x3fb8aa3b, v81
	v_sub_f32_e32 v70, v70, v88
	v_exp_f32_e32 v81, v81
	v_mul_f32_e32 v70, 0x3fb8aa3b, v70
	v_sub_f32_e32 v71, v71, v88
	v_cndmask_b32_e64 v68, 0, v68, s[28:29]
	v_exp_f32_e32 v70, v70
	v_mul_f32_e32 v71, 0x3fb8aa3b, v71
	v_sub_f32_e32 v82, v82, v88
	v_add_f32_e32 v91, 0, v68
	v_cndmask_b32_e64 v69, 0, v69, s[30:31]
	v_exp_f32_e32 v71, v71
	v_mul_f32_e32 v82, 0x3fb8aa3b, v82
	v_sub_f32_e32 v83, v83, v88
	v_add_f32_e32 v91, v91, v69
	;; [unrolled: 5-line block ×10, first 2 shown]
	v_cndmask_b32_e64 v78, 0, v78, s[10:11]
	v_exp_f32_e32 v66, v66
	v_mul_f32_e32 v67, 0x3fb8aa3b, v67
	v_add_f32_e32 v91, v91, v78
	v_cndmask_b32_e64 v79, 0, v79, s[12:13]
	v_exp_f32_e32 v67, v67
	v_add_f32_e32 v91, v91, v79
	v_cndmask_b32_e64 v72, 0, v72, s[2:3]
	v_add_f32_e32 v91, v91, v72
	v_cndmask_b32_e64 v73, 0, v73, s[8:9]
	v_add_f32_e32 v91, v91, v73
	v_cndmask_b32_e32 v66, 0, v66, vcc
	v_add_f32_e32 v91, v91, v66
	v_cndmask_b32_e64 v67, 0, v67, s[0:1]
	v_add_f32_e32 v91, v91, v67
	ds_bpermute_b32 v89, v89, v91
	v_cmp_gt_u32_e64 s[0:1], 16, v86
	s_waitcnt lgkmcnt(0)
	s_barrier
	v_add_f32_e32 v89, v91, v89
	ds_bpermute_b32 v90, v90, v89
	s_and_saveexec_b64 s[2:3], s[0:1]
	s_cbranch_execz .LBB180_15
; %bb.14:
	s_waitcnt lgkmcnt(0)
	v_add_f32_e32 v86, v89, v90
	v_lshlrev_b32_e32 v87, 2, v87
	ds_write2st64_b32 v87, v88, v86 offset1:1
.LBB180_15:
	s_or_b64 exec, exec, s[2:3]
	v_lshlrev_b32_e32 v87, 2, v84
	s_load_dword s8, s[4:5], 0x94
	s_waitcnt lgkmcnt(0)
	s_barrier
	ds_read2_b32 v[88:89], v87 offset1:16
	ds_read2_b32 v[90:91], v87 offset0:32 offset1:48
	ds_read2_b32 v[92:93], v87 offset0:64 offset1:80
	s_mul_i32 s9, s40, 9
	s_waitcnt lgkmcnt(2)
	v_max3_f32 v86, v88, s41, v89
	s_waitcnt lgkmcnt(1)
	v_max3_f32 v86, v86, v90, v91
	v_sub_f32_e32 v88, v88, v86
	v_mul_f32_e32 v88, 0x3fb8aa3b, v88
	v_exp_f32_e32 v94, v88
	v_sub_f32_e32 v88, v89, v86
	v_mul_f32_e32 v88, 0x3fb8aa3b, v88
	v_exp_f32_e32 v95, v88
	v_sub_f32_e32 v88, v90, v86
	v_mul_f32_e32 v88, 0x3fb8aa3b, v88
	v_exp_f32_e32 v90, v88
	ds_read2_b32 v[88:89], v87 offset0:96 offset1:112
	v_sub_f32_e32 v87, v91, v86
	v_mul_f32_e32 v87, 0x3fb8aa3b, v87
	v_exp_f32_e32 v91, v87
	s_waitcnt lgkmcnt(1)
	v_fma_f32 v87, v94, v92, 0
	v_fmac_f32_e32 v87, v95, v93
	s_waitcnt lgkmcnt(0)
	v_fmac_f32_e32 v87, v90, v88
	v_fmac_f32_e32 v87, v91, v89
	v_add_f32_e32 v88, 0x358637bd, v87
	v_div_scale_f32 v89, s[2:3], v88, v88, 1.0
	v_rcp_f32_e32 v92, v89
	s_barrier
	v_fma_f32 v93, -v89, v92, 1.0
	v_fmac_f32_e32 v92, v93, v92
	v_div_scale_f32 v93, vcc, 1.0, v88, 1.0
	v_mul_f32_e32 v74, v93, v92
	v_fma_f32 v75, -v89, v74, v93
	v_fmac_f32_e32 v74, v75, v92
	v_fma_f32 v75, -v89, v74, v93
	v_div_fmas_f32 v74, v75, v92, v74
	v_cmp_eq_u32_e32 vcc, 1, v85
	v_cndmask_b32_e32 v75, v94, v95, vcc
	v_cmp_eq_u32_e32 vcc, 2, v85
	v_cndmask_b32_e32 v75, v75, v90, vcc
	v_cmp_eq_u32_e32 vcc, 3, v85
	v_div_fixup_f32 v74, v74, v88, 1.0
	v_cndmask_b32_e32 v75, v75, v91, vcc
	v_mul_f32_e32 v88, v75, v74
	v_pk_mul_f32 v[80:81], v[88:89], v[80:81] op_sel_hi:[0,1]
	v_cvt_f16_f32_e32 v74, v80
	v_cvt_f16_f32_e32 v75, v81
	v_pk_mul_f32 v[68:69], v[88:89], v[68:69] op_sel_hi:[0,1]
	v_cvt_f16_f32_e32 v68, v68
	v_cvt_f16_f32_e32 v69, v69
	v_pk_mul_f32 v[80:81], v[88:89], v[82:83] op_sel_hi:[0,1]
	v_pk_mul_f32 v[70:71], v[88:89], v[70:71] op_sel_hi:[0,1]
	v_pack_b32_f16 v91, v74, v75
	v_cvt_f16_f32_e32 v70, v70
	v_cvt_f16_f32_e32 v71, v71
	;; [unrolled: 1-line block ×4, first 2 shown]
	v_pack_b32_f16 v90, v68, v69
	v_lshlrev_b32_e32 v69, 3, v1
	v_lshlrev_b32_e32 v68, 5, v84
	;; [unrolled: 1-line block ×3, first 2 shown]
	v_or3_b32 v80, v80, v68, v69
	v_pack_b32_f16 v70, v70, v71
	v_pack_b32_f16 v71, v74, v75
	ds_write2st64_b64 v80, v[90:91], v[70:71] offset1:1
	v_pk_mul_f32 v[70:71], v[88:89], v[78:79] op_sel_hi:[0,1]
	v_pk_mul_f32 v[76:77], v[88:89], v[76:77] op_sel_hi:[0,1]
	v_cvt_f16_f32_e32 v69, v76
	v_cvt_f16_f32_e32 v75, v70
	;; [unrolled: 1-line block ×3, first 2 shown]
	v_pk_mul_f32 v[66:67], v[88:89], v[66:67] op_sel_hi:[0,1]
	v_pk_mul_f32 v[70:71], v[88:89], v[72:73] op_sel_hi:[0,1]
	v_cvt_f16_f32_e32 v74, v77
	v_cvt_f16_f32_e32 v70, v70
	;; [unrolled: 1-line block ×5, first 2 shown]
	v_pack_b32_f16 v66, v69, v74
	v_pack_b32_f16 v67, v75, v76
	;; [unrolled: 1-line block ×4, first 2 shown]
	v_cmp_gt_u32_e32 vcc, 9, v0
	ds_write2st64_b64 v80, v[66:67], v[70:71] offset0:2 offset1:3
	s_and_saveexec_b64 s[2:3], vcc
	s_cbranch_execz .LBB180_17
; %bb.16:
	v_add_co_u32_e32 v70, vcc, s27, v84
	v_addc_co_u32_e64 v71, s[10:11], 0, 0, vcc
	v_mov_b32_e32 v66, s9
	v_mov_b32_e32 v67, 0
	v_mad_u64_u32 v[70:71], s[10:11], s6, v66, v[70:71]
	v_mov_b32_e32 v66, s26
	s_load_dwordx4 s[12:15], s[4:5], 0x58
	s_mul_i32 s7, s7, s9
	v_mad_u64_u32 v[66:67], s[10:11], v70, s8, v[66:67]
	v_add_u32_e32 v69, s7, v71
	v_mov_b32_e32 v70, v67
	v_mad_u64_u32 v[70:71], s[10:11], v69, s8, v[70:71]
	v_mov_b32_e32 v67, v70
	v_lshlrev_b64 v[66:67], 2, v[66:67]
	s_waitcnt lgkmcnt(0)
	v_mov_b32_e32 v69, s15
	v_add_co_u32_e32 v70, vcc, s14, v66
	v_addc_co_u32_e32 v71, vcc, v69, v67, vcc
	v_mov_b32_e32 v69, s13
	v_add_co_u32_e32 v66, vcc, s12, v66
	v_addc_co_u32_e32 v67, vcc, v69, v67, vcc
	global_store_dword v[70:71], v86, off
	global_store_dword v[66:67], v87, off
.LBB180_17:
	s_or_b64 exec, exec, s[2:3]
	v_lshl_or_b32 v74, v1, 9, v68
	s_waitcnt lgkmcnt(0)
	s_barrier
	ds_read_b128 v[70:73], v74
	ds_read_b128 v[66:69], v74 offset:16
	s_waitcnt vmcnt(15) lgkmcnt(1)
	v_mfma_f32_16x16x16f16 v[76:79], v[46:47], v[70:71], 0
	s_mov_b32 s3, 0
	v_cmp_gt_u32_e32 vcc, 64, v0
	v_mfma_f32_16x16x16f16 v[46:49], v[48:49], v[72:73], v[76:79]
	s_waitcnt vmcnt(14) lgkmcnt(0)
	v_mfma_f32_16x16x16f16 v[46:49], v[42:43], v[66:67], v[46:49]
	v_mfma_f32_16x16x16f16 v[42:45], v[44:45], v[68:69], v[46:49]
	s_nop 7
	s_nop 1
	ds_read_b128 v[46:49], v74 offset:2048
	ds_read_b128 v[76:79], v74 offset:2064
	s_waitcnt vmcnt(13) lgkmcnt(1)
	v_mfma_f32_16x16x16f16 v[42:45], v[38:39], v[46:47], v[42:45]
	v_mfma_f32_16x16x16f16 v[38:41], v[40:41], v[48:49], v[42:45]
	s_waitcnt vmcnt(12) lgkmcnt(0)
	v_mfma_f32_16x16x16f16 v[38:41], v[34:35], v[76:77], v[38:41]
	v_mfma_f32_16x16x16f16 v[34:37], v[36:37], v[78:79], v[38:41]
	s_nop 7
	s_nop 1
	ds_read_b128 v[38:41], v74 offset:4096
	ds_read_b128 v[42:45], v74 offset:4112
	s_waitcnt vmcnt(11) lgkmcnt(1)
	v_mfma_f32_16x16x16f16 v[34:37], v[30:31], v[38:39], v[34:37]
	v_mfma_f32_16x16x16f16 v[30:33], v[32:33], v[40:41], v[34:37]
	s_waitcnt vmcnt(10) lgkmcnt(0)
	v_mfma_f32_16x16x16f16 v[30:33], v[26:27], v[42:43], v[30:33]
	v_mfma_f32_16x16x16f16 v[26:29], v[28:29], v[44:45], v[30:33]
	s_nop 7
	s_nop 1
	ds_read_b128 v[30:33], v74 offset:6144
	ds_read_b128 v[34:37], v74 offset:6160
	s_waitcnt lgkmcnt(0)
	s_barrier
	s_waitcnt vmcnt(9)
	v_mfma_f32_16x16x16f16 v[26:29], v[22:23], v[30:31], v[26:29]
	v_mfma_f32_16x16x16f16 v[22:25], v[24:25], v[32:33], v[26:29]
	s_waitcnt vmcnt(8)
	v_mfma_f32_16x16x16f16 v[22:25], v[18:19], v[34:35], v[22:25]
	v_mfma_f32_16x16x16f16 v[18:21], v[20:21], v[36:37], v[22:25]
	;; [unrolled: 3-line block ×4, first 2 shown]
	s_waitcnt vmcnt(5)
	v_mfma_f32_16x16x16f16 v[2:5], v[14:15], v[46:47], v[2:5]
	s_nop 7
	v_cvt_f16_f32_e32 v6, v18
	v_cvt_f16_f32_e32 v7, v19
	;; [unrolled: 1-line block ×4, first 2 shown]
	v_mfma_f32_16x16x16f16 v[2:5], v[16:17], v[48:49], v[2:5]
	s_waitcnt vmcnt(4)
	v_mfma_f32_16x16x16f16 v[2:5], v[10:11], v[76:77], v[2:5]
	v_mfma_f32_16x16x16f16 v[2:5], v[12:13], v[78:79], v[2:5]
	s_waitcnt vmcnt(3)
	v_mfma_f32_16x16x16f16 v[2:5], v[54:55], v[38:39], v[2:5]
	;; [unrolled: 3-line block ×5, first 2 shown]
	v_mfma_f32_16x16x16f16 v[2:5], v[60:61], v[36:37], v[2:5]
	s_nop 7
	s_nop 2
	v_cvt_f16_f32_e32 v10, v2
	v_cvt_f16_f32_e32 v11, v3
	;; [unrolled: 1-line block ×4, first 2 shown]
	v_pack_b32_f16 v2, v6, v7
	v_pack_b32_f16 v3, v8, v9
	;; [unrolled: 1-line block ×4, first 2 shown]
	ds_write2st64_b64 v80, v[2:3], v[4:5] offset1:1
	s_waitcnt lgkmcnt(0)
	s_barrier
	s_and_saveexec_b64 s[10:11], vcc
	s_cbranch_execz .LBB180_20
; %bb.18:
	v_lshlrev_b32_e32 v4, 6, v84
	v_lshlrev_b32_e32 v3, 4, v0
	v_lshl_or_b32 v0, v0, 10, v4
	buffer_load_dword v4, off, s[44:47], 0  ; 4-byte Folded Reload
	buffer_load_dword v5, off, s[44:47], 0 offset:4 ; 4-byte Folded Reload
	s_load_dwordx2 s[10:11], s[4:5], 0x68
	s_lshl_b32 s4, s8, 7
	s_mul_i32 s2, s9, s6
	s_mul_hi_u32 s7, s2, s4
	s_mul_i32 s6, s2, s4
	s_lshl_b64 s[6:7], s[6:7], 1
	s_waitcnt lgkmcnt(0)
	s_add_u32 s5, s10, s6
	s_addc_u32 s6, s11, s7
	s_lshl_b32 s2, s26, 7
	s_lshl_b64 s[2:3], s[2:3], 1
	s_add_u32 s2, s5, s2
	v_lshlrev_b32_e32 v2, 5, v1
	v_and_b32_e32 v3, 16, v3
	v_and_b32_e32 v0, 0x1a00, v0
	s_addc_u32 s3, s6, s3
	v_or3_b32 v0, v0, v2, v3
	v_mov_b32_e32 v3, s3
	v_add_u32_e32 v14, s27, v1
	s_waitcnt vmcnt(1)
	v_add_co_u32_e32 v2, vcc, s2, v4
	s_waitcnt vmcnt(0)
	v_addc_co_u32_e32 v3, vcc, v3, v5, vcc
	ds_read_b128 v[4:7], v0 offset:128
	ds_read_b128 v[8:11], v0
	v_mad_u64_u32 v[12:13], s[2:3], v14, s4, 0
	v_lshlrev_b64 v[12:13], 1, v[12:13]
	v_add_co_u32_e32 v12, vcc, v2, v12
	v_addc_co_u32_e32 v13, vcc, v3, v13, vcc
	s_waitcnt lgkmcnt(0)
	global_store_dwordx4 v[12:13], v[8:11], off
	s_nop 0
	v_add_u32_e32 v8, 4, v14
	v_mad_u64_u32 v[8:9], s[2:3], v8, s4, 0
	v_lshlrev_b64 v[8:9], 1, v[8:9]
	v_add_co_u32_e32 v8, vcc, v2, v8
	v_addc_co_u32_e32 v9, vcc, v3, v9, vcc
	global_store_dwordx4 v[8:9], v[4:7], off
	s_and_b64 exec, exec, s[0:1]
	s_cbranch_execz .LBB180_20
; %bb.19:
	ds_read_b128 v[4:7], v0 offset:256
	v_add3_u32 v0, s27, v1, 8
	v_mad_u64_u32 v[0:1], s[0:1], v0, s4, 0
	v_lshlrev_b64 v[0:1], 1, v[0:1]
	v_add_co_u32_e32 v0, vcc, v2, v0
	v_addc_co_u32_e32 v1, vcc, v3, v1, vcc
	s_waitcnt lgkmcnt(0)
	global_store_dwordx4 v[0:1], v[4:7], off
.LBB180_20:
	s_endpgm
	.section	.rodata,"a",@progbits
	.p2align	6, 0x0
	.amdhsa_kernel _Z39paged_attention_ll4mi_QKV_mfma16_kernelIDF16_DF16_LN4vllm18Fp8KVCacheDataTypeE0EDF16_Li32ELi128ELi256ELb0ELi9EL8MFMAType0EEvPKT_PKT0_S8_ifPKiSA_SA_iPKfiiiPfSD_PS3_PT2_iSC_SC_
		.amdhsa_group_segment_fixed_size 8192
		.amdhsa_private_segment_fixed_size 12
		.amdhsa_kernarg_size 400
		.amdhsa_user_sgpr_count 6
		.amdhsa_user_sgpr_private_segment_buffer 1
		.amdhsa_user_sgpr_dispatch_ptr 0
		.amdhsa_user_sgpr_queue_ptr 0
		.amdhsa_user_sgpr_kernarg_segment_ptr 1
		.amdhsa_user_sgpr_dispatch_id 0
		.amdhsa_user_sgpr_flat_scratch_init 0
		.amdhsa_user_sgpr_kernarg_preload_length 0
		.amdhsa_user_sgpr_kernarg_preload_offset 0
		.amdhsa_user_sgpr_private_segment_size 0
		.amdhsa_uses_dynamic_stack 0
		.amdhsa_system_sgpr_private_segment_wavefront_offset 1
		.amdhsa_system_sgpr_workgroup_id_x 1
		.amdhsa_system_sgpr_workgroup_id_y 1
		.amdhsa_system_sgpr_workgroup_id_z 1
		.amdhsa_system_sgpr_workgroup_info 0
		.amdhsa_system_vgpr_workitem_id 0
		.amdhsa_next_free_vgpr 96
		.amdhsa_next_free_sgpr 48
		.amdhsa_accum_offset 96
		.amdhsa_reserve_vcc 1
		.amdhsa_reserve_flat_scratch 0
		.amdhsa_float_round_mode_32 0
		.amdhsa_float_round_mode_16_64 0
		.amdhsa_float_denorm_mode_32 3
		.amdhsa_float_denorm_mode_16_64 3
		.amdhsa_dx10_clamp 1
		.amdhsa_ieee_mode 1
		.amdhsa_fp16_overflow 0
		.amdhsa_tg_split 0
		.amdhsa_exception_fp_ieee_invalid_op 0
		.amdhsa_exception_fp_denorm_src 0
		.amdhsa_exception_fp_ieee_div_zero 0
		.amdhsa_exception_fp_ieee_overflow 0
		.amdhsa_exception_fp_ieee_underflow 0
		.amdhsa_exception_fp_ieee_inexact 0
		.amdhsa_exception_int_div_zero 0
	.end_amdhsa_kernel
	.section	.text._Z39paged_attention_ll4mi_QKV_mfma16_kernelIDF16_DF16_LN4vllm18Fp8KVCacheDataTypeE0EDF16_Li32ELi128ELi256ELb0ELi9EL8MFMAType0EEvPKT_PKT0_S8_ifPKiSA_SA_iPKfiiiPfSD_PS3_PT2_iSC_SC_,"axG",@progbits,_Z39paged_attention_ll4mi_QKV_mfma16_kernelIDF16_DF16_LN4vllm18Fp8KVCacheDataTypeE0EDF16_Li32ELi128ELi256ELb0ELi9EL8MFMAType0EEvPKT_PKT0_S8_ifPKiSA_SA_iPKfiiiPfSD_PS3_PT2_iSC_SC_,comdat
.Lfunc_end180:
	.size	_Z39paged_attention_ll4mi_QKV_mfma16_kernelIDF16_DF16_LN4vllm18Fp8KVCacheDataTypeE0EDF16_Li32ELi128ELi256ELb0ELi9EL8MFMAType0EEvPKT_PKT0_S8_ifPKiSA_SA_iPKfiiiPfSD_PS3_PT2_iSC_SC_, .Lfunc_end180-_Z39paged_attention_ll4mi_QKV_mfma16_kernelIDF16_DF16_LN4vllm18Fp8KVCacheDataTypeE0EDF16_Li32ELi128ELi256ELb0ELi9EL8MFMAType0EEvPKT_PKT0_S8_ifPKiSA_SA_iPKfiiiPfSD_PS3_PT2_iSC_SC_
                                        ; -- End function
	.section	.AMDGPU.csdata,"",@progbits
; Kernel info:
; codeLenInByte = 4820
; NumSgprs: 52
; NumVgprs: 96
; NumAgprs: 0
; TotalNumVgprs: 96
; ScratchSize: 12
; MemoryBound: 0
; FloatMode: 240
; IeeeMode: 1
; LDSByteSize: 8192 bytes/workgroup (compile time only)
; SGPRBlocks: 6
; VGPRBlocks: 11
; NumSGPRsForWavesPerEU: 52
; NumVGPRsForWavesPerEU: 96
; AccumOffset: 96
; Occupancy: 5
; WaveLimiterHint : 1
; COMPUTE_PGM_RSRC2:SCRATCH_EN: 1
; COMPUTE_PGM_RSRC2:USER_SGPR: 6
; COMPUTE_PGM_RSRC2:TRAP_HANDLER: 0
; COMPUTE_PGM_RSRC2:TGID_X_EN: 1
; COMPUTE_PGM_RSRC2:TGID_Y_EN: 1
; COMPUTE_PGM_RSRC2:TGID_Z_EN: 1
; COMPUTE_PGM_RSRC2:TIDIG_COMP_CNT: 0
; COMPUTE_PGM_RSRC3_GFX90A:ACCUM_OFFSET: 23
; COMPUTE_PGM_RSRC3_GFX90A:TG_SPLIT: 0
	.section	.text._Z39paged_attention_ll4mi_QKV_mfma16_kernelIDF16_DF16_LN4vllm18Fp8KVCacheDataTypeE0EDF16_Li32ELi128ELi256ELb0ELi10EL8MFMAType0EEvPKT_PKT0_S8_ifPKiSA_SA_iPKfiiiPfSD_PS3_PT2_iSC_SC_,"axG",@progbits,_Z39paged_attention_ll4mi_QKV_mfma16_kernelIDF16_DF16_LN4vllm18Fp8KVCacheDataTypeE0EDF16_Li32ELi128ELi256ELb0ELi10EL8MFMAType0EEvPKT_PKT0_S8_ifPKiSA_SA_iPKfiiiPfSD_PS3_PT2_iSC_SC_,comdat
	.protected	_Z39paged_attention_ll4mi_QKV_mfma16_kernelIDF16_DF16_LN4vllm18Fp8KVCacheDataTypeE0EDF16_Li32ELi128ELi256ELb0ELi10EL8MFMAType0EEvPKT_PKT0_S8_ifPKiSA_SA_iPKfiiiPfSD_PS3_PT2_iSC_SC_ ; -- Begin function _Z39paged_attention_ll4mi_QKV_mfma16_kernelIDF16_DF16_LN4vllm18Fp8KVCacheDataTypeE0EDF16_Li32ELi128ELi256ELb0ELi10EL8MFMAType0EEvPKT_PKT0_S8_ifPKiSA_SA_iPKfiiiPfSD_PS3_PT2_iSC_SC_
	.globl	_Z39paged_attention_ll4mi_QKV_mfma16_kernelIDF16_DF16_LN4vllm18Fp8KVCacheDataTypeE0EDF16_Li32ELi128ELi256ELb0ELi10EL8MFMAType0EEvPKT_PKT0_S8_ifPKiSA_SA_iPKfiiiPfSD_PS3_PT2_iSC_SC_
	.p2align	8
	.type	_Z39paged_attention_ll4mi_QKV_mfma16_kernelIDF16_DF16_LN4vllm18Fp8KVCacheDataTypeE0EDF16_Li32ELi128ELi256ELb0ELi10EL8MFMAType0EEvPKT_PKT0_S8_ifPKiSA_SA_iPKfiiiPfSD_PS3_PT2_iSC_SC_,@function
_Z39paged_attention_ll4mi_QKV_mfma16_kernelIDF16_DF16_LN4vllm18Fp8KVCacheDataTypeE0EDF16_Li32ELi128ELi256ELb0ELi10EL8MFMAType0EEvPKT_PKT0_S8_ifPKiSA_SA_iPKfiiiPfSD_PS3_PT2_iSC_SC_: ; @_Z39paged_attention_ll4mi_QKV_mfma16_kernelIDF16_DF16_LN4vllm18Fp8KVCacheDataTypeE0EDF16_Li32ELi128ELi256ELb0ELi10EL8MFMAType0EEvPKT_PKT0_S8_ifPKiSA_SA_iPKfiiiPfSD_PS3_PT2_iSC_SC_
; %bb.0:
	s_mov_b64 s[46:47], s[2:3]
	s_mov_b64 s[44:45], s[0:1]
	s_load_dwordx2 s[0:1], s[4:5], 0x30
	s_add_u32 s44, s44, s9
	s_addc_u32 s45, s45, 0
	s_mov_b32 s26, s7
	s_mov_b64 s[10:11], 0
	s_waitcnt lgkmcnt(0)
	s_cmp_lg_u64 s[0:1], 0
	s_cselect_b64 s[2:3], -1, 0
	s_and_b64 vcc, exec, s[2:3]
	s_cbranch_vccz .LBB181_7
; %bb.1:
	s_add_i32 s12, s6, 1
	s_mov_b32 s13, 0
	s_lshl_b64 s[14:15], s[12:13], 2
	s_add_u32 s14, s0, s14
	s_mov_b32 s7, s13
	s_addc_u32 s15, s1, s15
	s_lshl_b64 s[12:13], s[6:7], 2
	s_add_u32 s12, s0, s12
	s_addc_u32 s13, s1, s13
	s_load_dword s9, s[14:15], 0x0
	s_load_dword s16, s[12:13], 0x0
	s_waitcnt lgkmcnt(0)
	s_sub_i32 s9, s9, s16
	s_cmp_eq_u32 s9, 1
	s_cselect_b64 s[12:13], -1, 0
	s_andn2_b64 vcc, exec, s[10:11]
	s_cbranch_vccnz .LBB181_3
.LBB181_2:
	s_mov_b32 s7, 0
	s_mov_b64 s[12:13], -1
.LBB181_3:
	s_andn2_b64 vcc, exec, s[12:13]
	s_cbranch_vccnz .LBB181_20
; %bb.4:
	s_load_dwordx2 s[12:13], s[4:5], 0x28
	s_lshl_b64 s[10:11], s[6:7], 2
	s_waitcnt lgkmcnt(0)
	s_add_u32 s12, s12, s10
	s_addc_u32 s13, s13, s11
	s_load_dword s33, s[12:13], 0x0
	s_lshl_b32 s9, s26, 8
	s_waitcnt lgkmcnt(0)
	s_cmp_ge_i32 s9, s33
	s_cbranch_scc1 .LBB181_20
; %bb.5:
	s_add_i32 s15, s33, 31
	s_load_dwordx2 s[12:13], s[4:5], 0x20
	s_load_dword s14, s[4:5], 0x38
	s_ashr_i32 s16, s15, 31
	v_and_b32_e32 v1, 0xcf, v0
	s_lshr_b32 s16, s16, 27
	v_add_u32_e32 v1, s9, v1
	s_add_i32 s15, s15, s16
	v_ashrrev_i32_e32 v2, 31, v1
	s_ashr_i32 s18, s15, 5
	v_lshrrev_b32_e32 v10, 27, v2
	s_add_i32 s18, s18, -1
	v_add_u32_e32 v2, v1, v10
	s_waitcnt lgkmcnt(0)
	s_mul_i32 s14, s6, s14
	s_mov_b32 s15, 0
	v_ashrrev_i32_e32 v2, 5, v2
	v_mov_b32_e32 v11, s18
	v_cmp_gt_i32_e32 vcc, s33, v1
	s_lshl_b64 s[14:15], s[14:15], 2
	v_cndmask_b32_e32 v2, v11, v2, vcc
	s_add_u32 s16, s12, s14
	v_ashrrev_i32_e32 v3, 31, v2
	s_addc_u32 s17, s13, s15
	v_lshlrev_b64 v[2:3], 2, v[2:3]
	v_mov_b32_e32 v4, s17
	v_add_co_u32_e32 v2, vcc, s16, v2
	v_addc_co_u32_e32 v3, vcc, v4, v3, vcc
	v_or_b32_e32 v4, 16, v1
	v_add_u32_e32 v5, v4, v10
	v_ashrrev_i32_e32 v5, 5, v5
	v_cmp_gt_i32_e32 vcc, s33, v4
	v_cndmask_b32_e32 v4, v11, v5, vcc
	v_ashrrev_i32_e32 v5, 31, v4
	v_lshlrev_b64 v[4:5], 2, v[4:5]
	v_mov_b32_e32 v7, s17
	v_add_co_u32_e32 v6, vcc, s16, v4
	v_or_b32_e32 v4, 32, v1
	v_addc_co_u32_e32 v7, vcc, v7, v5, vcc
	v_add_u32_e32 v5, v4, v10
	v_ashrrev_i32_e32 v5, 5, v5
	v_cmp_gt_i32_e32 vcc, s33, v4
	v_cndmask_b32_e32 v4, v11, v5, vcc
	v_ashrrev_i32_e32 v5, 31, v4
	v_lshlrev_b64 v[4:5], 2, v[4:5]
	v_mov_b32_e32 v9, s17
	v_add_co_u32_e32 v8, vcc, s16, v4
	v_or_b32_e32 v1, 48, v1
	v_addc_co_u32_e32 v9, vcc, v9, v5, vcc
	v_add_u32_e32 v4, v1, v10
	v_ashrrev_i32_e32 v4, 5, v4
	v_cmp_gt_i32_e32 vcc, s33, v1
	v_cndmask_b32_e32 v4, v11, v4, vcc
	v_ashrrev_i32_e32 v5, 31, v4
	v_lshlrev_b64 v[4:5], 2, v[4:5]
	v_mov_b32_e32 v1, s17
	v_add_co_u32_e32 v10, vcc, s16, v4
	v_addc_co_u32_e32 v11, vcc, v1, v5, vcc
	global_load_dword v5, v[2:3], off
	global_load_dword v4, v[6:7], off
	;; [unrolled: 1-line block ×4, first 2 shown]
	s_andn2_b64 vcc, exec, s[2:3]
	s_cbranch_vccnz .LBB181_8
; %bb.6:
	s_add_u32 s0, s0, s10
	s_addc_u32 s1, s1, s11
	s_load_dword s19, s[0:1], 0x0
	s_branch .LBB181_9
.LBB181_7:
	s_mov_b64 s[12:13], 0
	s_branch .LBB181_2
.LBB181_8:
	s_mov_b32 s19, s6
.LBB181_9:
	s_load_dwordx4 s[12:15], s[4:5], 0x8
	s_load_dwordx4 s[0:3], s[4:5], 0x48
	v_lshrrev_b32_e32 v85, 6, v0
	v_bfe_u32 v1, v0, 4, 2
	v_lshl_or_b32 v6, v85, 2, v1
	v_and_b32_e32 v84, 15, v0
	v_lshlrev_b32_e32 v2, 3, v84
	v_cmp_lt_u32_e32 vcc, 9, v6
	s_and_saveexec_b64 s[10:11], vcc
	s_xor_b64 s[10:11], exec, s[10:11]
; %bb.10:
	v_mov_b32_e32 v3, 0
                                        ; implicit-def: $vgpr6
; %bb.11:
	s_or_saveexec_b64 s[10:11], s[10:11]
	v_and_b32_e32 v86, 63, v0
	s_mul_i32 s27, s8, 10
	s_xor_b64 exec, exec, s[10:11]
	s_cbranch_execz .LBB181_13
; %bb.12:
	s_load_dwordx2 s[20:21], s[4:5], 0x0
	s_waitcnt lgkmcnt(0)
	s_ashr_i32 s3, s0, 31
	s_mul_hi_u32 s22, s19, s0
	s_mul_i32 s3, s19, s3
	s_add_i32 s23, s22, s3
	s_mul_i32 s22, s19, s0
	s_lshl_b64 s[22:23], s[22:23], 1
	v_add_lshl_u32 v8, v6, s27, 7
	s_add_u32 s0, s20, s22
	v_ashrrev_i32_e32 v9, 31, v8
	s_addc_u32 s3, s21, s23
	v_lshlrev_b64 v[8:9], 1, v[8:9]
	v_mov_b32_e32 v3, s3
	v_add_co_u32_e32 v7, vcc, s0, v8
	v_addc_co_u32_e32 v3, vcc, v3, v9, vcc
	v_lshlrev_b32_e32 v8, 1, v2
	v_add_co_u32_e32 v8, vcc, v7, v8
	v_addc_co_u32_e32 v9, vcc, 0, v3, vcc
	global_load_dwordx4 v[8:11], v[8:9], off
	v_and_b32_e32 v7, 3, v0
	v_lshlrev_b32_e32 v12, 9, v84
	v_lshlrev_b32_e32 v6, 5, v6
	;; [unrolled: 1-line block ×3, first 2 shown]
	v_and_b32_e32 v12, 0x1800, v12
	v_mov_b32_e32 v3, 0
	v_or3_b32 v6, v12, v7, v6
	s_waitcnt vmcnt(0)
	ds_write_b128 v6, v[8:11]
.LBB181_13:
	s_or_b64 exec, exec, s[10:11]
	s_waitcnt lgkmcnt(0)
	s_mul_i32 s2, s8, s2
	s_mov_b32 s3, 0
	s_lshl_b64 s[2:3], s[2:3], 1
	s_add_u32 s8, s12, s2
	s_addc_u32 s10, s13, s3
	s_waitcnt vmcnt(3)
	v_mad_i64_i32 v[6:7], s[12:13], v5, s1, 0
	v_lshlrev_b64 v[6:7], 1, v[6:7]
	v_mov_b32_e32 v5, s10
	v_add_co_u32_e32 v6, vcc, s8, v6
	v_addc_co_u32_e32 v5, vcc, v5, v7, vcc
	v_lshlrev_b64 v[60:61], 1, v[2:3]
	v_add_co_u32_e32 v27, vcc, v6, v60
	v_lshlrev_b32_e32 v26, 9, v1
	v_addc_co_u32_e32 v28, vcc, v5, v61, vcc
	v_add_co_u32_e32 v2, vcc, v27, v26
	v_addc_co_u32_e32 v3, vcc, 0, v28, vcc
	s_load_dword s40, s[4:5], 0x98
	s_load_dword s0, s[4:5], 0x1c
	s_waitcnt lgkmcnt(0)
	s_barrier
	global_load_dwordx4 v[10:13], v[2:3], off
	s_waitcnt vmcnt(3)
	v_mad_i64_i32 v[4:5], s[12:13], v4, s1, 0
	v_lshlrev_b64 v[4:5], 1, v[4:5]
	v_mov_b32_e32 v6, s10
	v_add_co_u32_e32 v4, vcc, s8, v4
	v_addc_co_u32_e32 v5, vcc, v6, v5, vcc
	v_mov_b32_e32 v6, 0x100
	v_lshl_or_b32 v29, v84, 4, v6
	v_add_co_u32_e32 v30, vcc, v4, v29
	v_addc_co_u32_e32 v31, vcc, 0, v5, vcc
	v_add_co_u32_e32 v22, vcc, v30, v26
	v_addc_co_u32_e32 v23, vcc, 0, v31, vcc
	global_load_dwordx4 v[18:21], v[22:23], off
	global_load_dwordx4 v[14:17], v[2:3], off offset:2048
	v_add_u32_e32 v2, -10, v84
	v_cmp_gt_u32_e32 vcc, 10, v84
	v_cndmask_b32_e32 v2, v2, v84, vcc
	v_lshl_add_u32 v32, v2, 5, v26
	ds_read_b128 v[6:9], v32
	ds_read_b128 v[2:5], v32 offset:2048
	v_or_b32_e32 v58, 0x1000, v26
	global_load_dwordx4 v[38:41], v[22:23], off offset:2048
	v_add_co_u32_e32 v22, vcc, v27, v58
	v_addc_co_u32_e32 v23, vcc, 0, v28, vcc
	v_or_b32_e32 v62, 0x1800, v26
	s_ashr_i32 s11, s9, 31
	v_and_or_b32 v63, v0, 48, s9
	v_mov_b32_e32 v66, s18
	v_lshl_or_b32 v87, v85, 4, v84
	v_lshlrev_b32_e32 v90, 6, v87
	s_mov_b32 s41, 0xff7fffff
	s_waitcnt vmcnt(3) lgkmcnt(1)
	v_mfma_f32_16x16x16f16 v[34:37], v[10:11], v[6:7], 0
	s_waitcnt vmcnt(2)
	v_mfma_f32_16x16x16f16 v[42:45], v[18:19], v[6:7], 0
	v_mfma_f32_16x16x16f16 v[10:13], v[12:13], v[8:9], v[34:37]
	s_nop 7
	global_load_dwordx4 v[34:37], v[22:23], off
	v_add_co_u32_e32 v22, vcc, v30, v58
	v_addc_co_u32_e32 v23, vcc, 0, v31, vcc
	v_mfma_f32_16x16x16f16 v[18:21], v[20:21], v[8:9], v[42:45]
	global_load_dwordx4 v[46:49], v[22:23], off
	s_waitcnt vmcnt(3) lgkmcnt(0)
	v_mfma_f32_16x16x16f16 v[42:45], v[14:15], v[2:3], v[10:13]
	s_nop 6
	v_add_co_u32_e32 v10, vcc, v27, v62
	v_addc_co_u32_e32 v11, vcc, 0, v28, vcc
	global_load_dwordx4 v[54:57], v[10:11], off
	v_mad_i64_i32 v[10:11], s[12:13], v25, s1, 0
	v_add_co_u32_e32 v30, vcc, v30, v62
	v_lshlrev_b64 v[22:23], 1, v[10:11]
	v_addc_co_u32_e32 v31, vcc, 0, v31, vcc
	v_mov_b32_e32 v25, s10
	v_add_co_u32_e32 v22, vcc, s8, v22
	v_addc_co_u32_e32 v23, vcc, v25, v23, vcc
	ds_read_b128 v[10:13], v32 offset:4096
	ds_read_b128 v[50:53], v32 offset:6144
	global_load_dwordx4 v[30:33], v[30:31], off
	v_add_co_u32_e32 v27, vcc, v22, v60
	buffer_store_dword v60, off, s[44:47], 0 ; 4-byte Folded Spill
	s_nop 0
	buffer_store_dword v61, off, s[44:47], 0 offset:4 ; 4-byte Folded Spill
	s_waitcnt vmcnt(6)
	v_mfma_f32_16x16x16f16 v[18:21], v[38:39], v[2:3], v[18:21]
	v_mov_b32_e32 v28, s10
	s_lshr_b32 s10, s11, 27
	s_add_u32 s2, s14, s2
	s_addc_u32 s3, s15, s3
	v_addc_co_u32_e32 v59, vcc, v23, v61, vcc
	v_add_co_u32_e32 v22, vcc, v27, v26
	v_addc_co_u32_e32 v23, vcc, 0, v59, vcc
	v_mfma_f32_16x16x16f16 v[14:17], v[16:17], v[4:5], v[42:45]
	v_mfma_f32_16x16x16f16 v[18:21], v[40:41], v[4:5], v[18:21]
	global_load_dwordx4 v[38:41], v[22:23], off
	s_nop 4
	global_load_dwordx4 v[42:45], v[22:23], off offset:2048
	v_mad_i64_i32 v[22:23], s[12:13], v24, s1, 0
	s_waitcnt vmcnt(7) lgkmcnt(1)
	v_mfma_f32_16x16x16f16 v[14:17], v[34:35], v[10:11], v[14:17]
	v_lshlrev_b64 v[34:35], 1, v[22:23]
	v_add_co_u32_e32 v22, vcc, v27, v58
	v_addc_co_u32_e32 v23, vcc, 0, v59, vcc
	global_load_dwordx4 v[22:25], v[22:23], off
	v_add_co_u32_e32 v34, vcc, s8, v34
	s_waitcnt vmcnt(7)
	v_mfma_f32_16x16x16f16 v[18:21], v[46:47], v[10:11], v[18:21]
	v_addc_co_u32_e32 v28, vcc, v28, v35, vcc
	v_add_co_u32_e32 v64, vcc, v34, v29
	v_addc_co_u32_e32 v65, vcc, 0, v28, vcc
	v_add_co_u32_e32 v28, vcc, v27, v62
	v_mfma_f32_16x16x16f16 v[14:17], v[36:37], v[12:13], v[14:17]
	v_addc_co_u32_e32 v29, vcc, 0, v59, vcc
	v_add_co_u32_e32 v46, vcc, v64, v26
	global_load_dwordx4 v[26:29], v[28:29], off
	v_addc_co_u32_e32 v47, vcc, 0, v65, vcc
	v_mfma_f32_16x16x16f16 v[18:21], v[48:49], v[12:13], v[18:21]
	v_add_co_u32_e32 v48, vcc, v64, v58
	v_add_u32_e32 v35, s10, v63
	v_addc_co_u32_e32 v49, vcc, 0, v65, vcc
	v_ashrrev_i32_e32 v60, 5, v35
	v_cmp_gt_i32_e32 vcc, s33, v63
	s_waitcnt vmcnt(7) lgkmcnt(0)
	v_mfma_f32_16x16x16f16 v[14:17], v[54:55], v[50:51], v[14:17]
	s_waitcnt vmcnt(6)
	v_mfma_f32_16x16x16f16 v[18:21], v[30:31], v[50:51], v[18:21]
	v_mov_b32_e32 v31, s17
	v_mfma_f32_16x16x16f16 v[54:57], v[56:57], v[52:53], v[14:17]
	global_load_dwordx4 v[34:37], v[46:47], off
	s_nop 5
	global_load_dwordx4 v[14:17], v[46:47], off offset:2048
	v_cndmask_b32_e32 v46, v66, v60, vcc
	v_ashrrev_i32_e32 v47, 31, v46
	v_lshlrev_b64 v[46:47], 2, v[46:47]
	v_add_co_u32_e32 v30, vcc, s16, v46
	v_addc_co_u32_e32 v31, vcc, v31, v47, vcc
	global_load_dword v46, v[30:31], off
	v_or_b32_e32 v30, 64, v63
	v_mfma_f32_16x16x16f16 v[58:61], v[32:33], v[52:53], v[18:21]
	v_cmp_gt_i32_e32 vcc, s33, v30
	v_mov_b32_e32 v32, s17
	v_mov_b32_e32 v33, s17
	s_nop 3
	v_add_u32_e32 v18, s10, v30
	v_ashrrev_i32_e32 v18, 5, v18
	v_cndmask_b32_e32 v18, v66, v18, vcc
	v_ashrrev_i32_e32 v19, 31, v18
	v_lshlrev_b64 v[30:31], 2, v[18:19]
	v_add_co_u32_e32 v30, vcc, s16, v30
	v_addc_co_u32_e32 v31, vcc, v32, v31, vcc
	global_load_dword v32, v[30:31], off
	s_waitcnt vmcnt(7)
	v_mfma_f32_16x16x16f16 v[18:21], v[38:39], v[6:7], 0
	v_or_b32_e32 v30, 0x80, v63
	v_add_u32_e32 v31, s10, v30
	v_ashrrev_i32_e32 v31, 5, v31
	v_cmp_gt_i32_e32 vcc, s33, v30
	v_cndmask_b32_e32 v30, v66, v31, vcc
	v_ashrrev_i32_e32 v31, 31, v30
	v_lshlrev_b64 v[30:31], 2, v[30:31]
	v_mfma_f32_16x16x16f16 v[18:21], v[40:41], v[8:9], v[18:21]
	v_add_co_u32_e32 v30, vcc, s16, v30
	v_addc_co_u32_e32 v31, vcc, v33, v31, vcc
	global_load_dword v33, v[30:31], off
	v_or_b32_e32 v30, 0xc0, v63
	v_add_u32_e32 v31, s10, v30
	s_waitcnt vmcnt(7)
	v_mfma_f32_16x16x16f16 v[18:21], v[42:43], v[2:3], v[18:21]
	v_ashrrev_i32_e32 v31, 5, v31
	v_cmp_gt_i32_e32 vcc, s33, v30
	v_cndmask_b32_e32 v30, v66, v31, vcc
	global_load_dwordx4 v[66:69], v[48:49], off
	v_ashrrev_i32_e32 v31, 31, v30
	v_lshlrev_b64 v[30:31], 2, v[30:31]
	v_mov_b32_e32 v38, s17
	v_mfma_f32_16x16x16f16 v[18:21], v[44:45], v[4:5], v[18:21]
	v_add_co_u32_e32 v30, vcc, s16, v30
	v_addc_co_u32_e32 v31, vcc, v38, v31, vcc
	global_load_dword v63, v[30:31], off
	s_waitcnt vmcnt(8)
	v_mfma_f32_16x16x16f16 v[18:21], v[22:23], v[10:11], v[18:21]
	v_add_co_u32_e32 v22, vcc, v64, v62
	v_addc_co_u32_e32 v23, vcc, 0, v65, vcc
	global_load_dwordx4 v[70:73], v[22:23], off
	v_and_b32_e32 v22, 16, v0
	v_lshlrev_b32_e32 v22, 1, v22
	v_mfma_f32_16x16x16f16 v[18:21], v[24:25], v[12:13], v[18:21]
	v_mov_b32_e32 v23, s3
	v_add_co_u32_e32 v88, vcc, s2, v22
	v_addc_co_u32_e32 v89, vcc, 0, v23, vcc
	v_add_co_u32_e32 v22, vcc, v88, v90
	s_waitcnt vmcnt(8)
	v_mfma_f32_16x16x16f16 v[18:21], v[26:27], v[50:51], v[18:21]
	v_addc_co_u32_e32 v23, vcc, 0, v89, vcc
	v_mfma_f32_16x16x16f16 v[76:79], v[28:29], v[52:53], v[18:21]
	s_waitcnt vmcnt(5)
	s_nop 7
	v_mad_i64_i32 v[18:19], s[2:3], v46, s1, 0
	v_lshlrev_b64 v[80:81], 1, v[18:19]
	v_mfma_f32_16x16x16f16 v[18:21], v[34:35], v[6:7], 0
	v_add_co_u32_e32 v6, vcc, v22, v80
	v_addc_co_u32_e32 v7, vcc, v23, v81, vcc
	global_load_dwordx4 v[46:49], v[6:7], off
	global_load_dwordx4 v[42:45], v[6:7], off offset:16
	v_pk_mul_f32 v[76:77], s[0:1], v[76:77] op_sel_hi:[0,1]
	v_pk_mul_f32 v[78:79], s[0:1], v[78:79] op_sel_hi:[0,1]
	s_waitcnt vmcnt(6)
	v_mad_i64_i32 v[6:7], s[2:3], v32, s1, 0
	v_lshlrev_b64 v[82:83], 1, v[6:7]
	v_mfma_f32_16x16x16f16 v[6:9], v[36:37], v[8:9], v[18:21]
	v_mfma_f32_16x16x16f16 v[6:9], v[14:15], v[2:3], v[6:9]
	s_nop 5
	v_add_co_u32_e32 v18, vcc, v22, v82
	v_addc_co_u32_e32 v19, vcc, v23, v83, vcc
	global_load_dwordx4 v[38:41], v[18:19], off
	global_load_dwordx4 v[34:37], v[18:19], off offset:16
	s_waitcnt vmcnt(7)
	v_mad_i64_i32 v[18:19], s[2:3], v33, s1, 0
	v_lshlrev_b64 v[64:65], 1, v[18:19]
	v_add_co_u32_e32 v2, vcc, v22, v64
	v_addc_co_u32_e32 v3, vcc, v23, v65, vcc
	global_load_dwordx4 v[30:33], v[2:3], off
	global_load_dwordx4 v[26:29], v[2:3], off offset:16
	v_mfma_f32_16x16x16f16 v[2:5], v[16:17], v[4:5], v[6:9]
	s_waitcnt vmcnt(8)
	v_mfma_f32_16x16x16f16 v[2:5], v[66:67], v[10:11], v[2:5]
	s_waitcnt vmcnt(7)
	s_nop 3
	v_mad_i64_i32 v[6:7], s[2:3], v63, s1, 0
	v_lshlrev_b64 v[62:63], 1, v[6:7]
	v_add_co_u32_e32 v6, vcc, v22, v62
	v_addc_co_u32_e32 v7, vcc, v23, v63, vcc
	v_mfma_f32_16x16x16f16 v[10:13], v[68:69], v[12:13], v[2:5]
	global_load_dwordx4 v[22:25], v[6:7], off
	global_load_dwordx4 v[18:21], v[6:7], off offset:16
	v_or_b32_e32 v6, 0x1000, v90
	v_add_co_u32_e32 v92, vcc, v88, v6
	v_addc_co_u32_e32 v93, vcc, 0, v89, vcc
	s_nop 1
	v_add_co_u32_e32 v2, vcc, v92, v80
	s_waitcnt vmcnt(8)
	v_mfma_f32_16x16x16f16 v[88:91], v[70:71], v[50:51], v[10:13]
	v_addc_co_u32_e32 v3, vcc, v93, v81, vcc
	v_add_co_u32_e32 v66, vcc, v92, v82
	v_addc_co_u32_e32 v67, vcc, v93, v83, vcc
	global_load_dwordx4 v[6:9], v[2:3], off
	s_nop 0
	global_load_dwordx4 v[2:5], v[2:3], off offset:16
	v_mfma_f32_16x16x16f16 v[50:53], v[72:73], v[52:53], v[88:91]
	global_load_dwordx4 v[14:17], v[66:67], off
	global_load_dwordx4 v[10:13], v[66:67], off offset:16
	v_pk_mul_f32 v[68:69], s[0:1], v[54:55] op_sel_hi:[0,1]
	v_pk_mul_f32 v[80:81], s[0:1], v[56:57] op_sel_hi:[0,1]
	;; [unrolled: 1-line block ×4, first 2 shown]
	s_nop 4
	v_pk_mul_f32 v[72:73], s[0:1], v[50:51] op_sel_hi:[0,1]
	v_and_b32_e32 v50, 0xc0, v0
	v_add_u32_e32 v50, s9, v50
	v_lshl_or_b32 v50, v1, 2, v50
	v_pk_mul_f32 v[66:67], s[0:1], v[52:53] op_sel_hi:[0,1]
	v_or_b32_e32 v53, 1, v50
	v_mov_b32_e32 v51, 0xff7fffff
	v_cmp_gt_i32_e64 s[28:29], s33, v50
	v_cmp_gt_i32_e64 s[30:31], s33, v53
	v_cndmask_b32_e64 v52, v51, v68, s[28:29]
	v_cndmask_b32_e64 v53, v51, v69, s[30:31]
	v_max3_f32 v52, v52, s41, v53
	v_or_b32_e32 v53, 2, v50
	v_or_b32_e32 v54, 3, v50
	v_cmp_gt_i32_e64 s[34:35], s33, v53
	v_cmp_gt_i32_e64 s[36:37], s33, v54
	v_cndmask_b32_e64 v53, v51, v80, s[34:35]
	v_cndmask_b32_e64 v54, v51, v81, s[36:37]
	v_max3_f32 v52, v52, v53, v54
	v_or_b32_e32 v53, 16, v50
	v_or_b32_e32 v54, 17, v50
	;; [unrolled: 7-line block ×7, first 2 shown]
	v_cmp_gt_i32_e32 vcc, s33, v53
	v_cmp_gt_i32_e64 s[0:1], s33, v50
	v_cndmask_b32_e32 v53, v51, v66, vcc
	v_cndmask_b32_e64 v50, v51, v67, s[0:1]
	v_max3_f32 v58, v52, v53, v50
	v_mbcnt_lo_u32_b32 v50, -1, 0
	v_mbcnt_hi_u32_b32 v59, -1, v50
	v_and_b32_e32 v50, 64, v59
	v_add_u32_e32 v60, 64, v50
	v_xor_b32_e32 v50, 32, v59
	v_cmp_lt_i32_e64 s[38:39], v50, v60
	v_cndmask_b32_e64 v50, v59, v50, s[38:39]
	v_lshlrev_b32_e32 v89, 2, v50
	ds_bpermute_b32 v61, v89, v58
	v_add_co_u32_e64 v50, s[38:39], v92, v64
	v_addc_co_u32_e64 v51, s[38:39], v93, v65, s[38:39]
	s_waitcnt lgkmcnt(0)
	v_max_f32_e32 v61, v61, v61
	v_max_f32_e32 v61, v58, v61
	v_xor_b32_e32 v58, 16, v59
	v_cmp_lt_i32_e64 s[38:39], v58, v60
	v_cndmask_b32_e64 v58, v59, v58, s[38:39]
	v_lshlrev_b32_e32 v90, 2, v58
	ds_bpermute_b32 v60, v90, v61
	v_add_co_u32_e64 v58, s[38:39], v92, v62
	v_addc_co_u32_e64 v59, s[38:39], v93, v63, s[38:39]
	s_waitcnt lgkmcnt(0)
	v_max_f32_e32 v60, v60, v60
	v_max_f32_e32 v88, v61, v60
	v_sub_f32_e32 v60, v68, v88
	v_mul_f32_e32 v60, 0x3fb8aa3b, v60
	v_exp_f32_e32 v68, v60
	v_sub_f32_e32 v60, v69, v88
	v_mul_f32_e32 v60, 0x3fb8aa3b, v60
	global_load_dwordx4 v[54:57], v[50:51], off
	s_nop 0
	global_load_dwordx4 v[50:53], v[50:51], off offset:16
	v_exp_f32_e32 v69, v60
	global_load_dwordx4 v[62:65], v[58:59], off
	s_nop 0
	global_load_dwordx4 v[58:61], v[58:59], off offset:16
	v_sub_f32_e32 v80, v80, v88
	v_mul_f32_e32 v80, 0x3fb8aa3b, v80
	v_sub_f32_e32 v81, v81, v88
	v_exp_f32_e32 v80, v80
	v_mul_f32_e32 v81, 0x3fb8aa3b, v81
	v_sub_f32_e32 v70, v70, v88
	v_exp_f32_e32 v81, v81
	v_mul_f32_e32 v70, 0x3fb8aa3b, v70
	v_sub_f32_e32 v71, v71, v88
	v_cndmask_b32_e64 v68, 0, v68, s[28:29]
	v_exp_f32_e32 v70, v70
	v_mul_f32_e32 v71, 0x3fb8aa3b, v71
	v_sub_f32_e32 v82, v82, v88
	v_add_f32_e32 v91, 0, v68
	v_cndmask_b32_e64 v69, 0, v69, s[30:31]
	v_exp_f32_e32 v71, v71
	v_mul_f32_e32 v82, 0x3fb8aa3b, v82
	v_sub_f32_e32 v83, v83, v88
	v_add_f32_e32 v91, v91, v69
	;; [unrolled: 5-line block ×10, first 2 shown]
	v_cndmask_b32_e64 v78, 0, v78, s[10:11]
	v_exp_f32_e32 v66, v66
	v_mul_f32_e32 v67, 0x3fb8aa3b, v67
	v_add_f32_e32 v91, v91, v78
	v_cndmask_b32_e64 v79, 0, v79, s[12:13]
	v_exp_f32_e32 v67, v67
	v_add_f32_e32 v91, v91, v79
	v_cndmask_b32_e64 v72, 0, v72, s[2:3]
	v_add_f32_e32 v91, v91, v72
	v_cndmask_b32_e64 v73, 0, v73, s[8:9]
	v_add_f32_e32 v91, v91, v73
	v_cndmask_b32_e32 v66, 0, v66, vcc
	v_add_f32_e32 v91, v91, v66
	v_cndmask_b32_e64 v67, 0, v67, s[0:1]
	v_add_f32_e32 v91, v91, v67
	ds_bpermute_b32 v89, v89, v91
	v_cmp_gt_u32_e32 vcc, 16, v86
	s_waitcnt lgkmcnt(0)
	s_barrier
	v_add_f32_e32 v89, v91, v89
	ds_bpermute_b32 v90, v90, v89
	s_and_saveexec_b64 s[0:1], vcc
	s_cbranch_execz .LBB181_15
; %bb.14:
	s_waitcnt lgkmcnt(0)
	v_add_f32_e32 v86, v89, v90
	v_lshlrev_b32_e32 v87, 2, v87
	ds_write2st64_b32 v87, v88, v86 offset1:1
.LBB181_15:
	s_or_b64 exec, exec, s[0:1]
	v_lshlrev_b32_e32 v87, 2, v84
	s_load_dword s2, s[4:5], 0x94
	s_waitcnt lgkmcnt(0)
	s_barrier
	ds_read2_b32 v[88:89], v87 offset1:16
	ds_read2_b32 v[90:91], v87 offset0:32 offset1:48
	ds_read2_b32 v[92:93], v87 offset0:64 offset1:80
	s_mul_i32 s3, s40, 10
	s_waitcnt lgkmcnt(2)
	v_max3_f32 v86, v88, s41, v89
	s_waitcnt lgkmcnt(1)
	v_max3_f32 v86, v86, v90, v91
	v_sub_f32_e32 v88, v88, v86
	v_mul_f32_e32 v88, 0x3fb8aa3b, v88
	v_exp_f32_e32 v94, v88
	v_sub_f32_e32 v88, v89, v86
	v_mul_f32_e32 v88, 0x3fb8aa3b, v88
	v_exp_f32_e32 v95, v88
	;; [unrolled: 3-line block ×3, first 2 shown]
	ds_read2_b32 v[88:89], v87 offset0:96 offset1:112
	v_sub_f32_e32 v87, v91, v86
	v_mul_f32_e32 v87, 0x3fb8aa3b, v87
	v_exp_f32_e32 v91, v87
	s_waitcnt lgkmcnt(1)
	v_fma_f32 v87, v94, v92, 0
	v_fmac_f32_e32 v87, v95, v93
	s_waitcnt lgkmcnt(0)
	v_fmac_f32_e32 v87, v90, v88
	v_fmac_f32_e32 v87, v91, v89
	v_add_f32_e32 v88, 0x358637bd, v87
	v_div_scale_f32 v89, s[0:1], v88, v88, 1.0
	v_rcp_f32_e32 v92, v89
	s_barrier
	v_fma_f32 v93, -v89, v92, 1.0
	v_fmac_f32_e32 v92, v93, v92
	v_div_scale_f32 v93, vcc, 1.0, v88, 1.0
	v_mul_f32_e32 v74, v93, v92
	v_fma_f32 v75, -v89, v74, v93
	v_fmac_f32_e32 v74, v75, v92
	v_fma_f32 v75, -v89, v74, v93
	v_div_fmas_f32 v74, v75, v92, v74
	v_cmp_eq_u32_e32 vcc, 1, v85
	v_cndmask_b32_e32 v75, v94, v95, vcc
	v_cmp_eq_u32_e32 vcc, 2, v85
	v_cndmask_b32_e32 v75, v75, v90, vcc
	v_cmp_eq_u32_e32 vcc, 3, v85
	v_div_fixup_f32 v74, v74, v88, 1.0
	v_cndmask_b32_e32 v75, v75, v91, vcc
	v_mul_f32_e32 v88, v75, v74
	v_pk_mul_f32 v[80:81], v[88:89], v[80:81] op_sel_hi:[0,1]
	v_cvt_f16_f32_e32 v74, v80
	v_cvt_f16_f32_e32 v75, v81
	v_pk_mul_f32 v[68:69], v[88:89], v[68:69] op_sel_hi:[0,1]
	v_cvt_f16_f32_e32 v68, v68
	v_cvt_f16_f32_e32 v69, v69
	v_pk_mul_f32 v[80:81], v[88:89], v[82:83] op_sel_hi:[0,1]
	v_pk_mul_f32 v[70:71], v[88:89], v[70:71] op_sel_hi:[0,1]
	v_pack_b32_f16 v91, v74, v75
	v_cvt_f16_f32_e32 v70, v70
	v_cvt_f16_f32_e32 v71, v71
	;; [unrolled: 1-line block ×4, first 2 shown]
	v_pack_b32_f16 v90, v68, v69
	v_lshlrev_b32_e32 v69, 3, v1
	v_lshlrev_b32_e32 v68, 5, v84
	;; [unrolled: 1-line block ×3, first 2 shown]
	v_or3_b32 v80, v80, v68, v69
	v_pack_b32_f16 v70, v70, v71
	v_pack_b32_f16 v71, v74, v75
	ds_write2st64_b64 v80, v[90:91], v[70:71] offset1:1
	v_pk_mul_f32 v[70:71], v[88:89], v[78:79] op_sel_hi:[0,1]
	v_pk_mul_f32 v[76:77], v[88:89], v[76:77] op_sel_hi:[0,1]
	v_cvt_f16_f32_e32 v69, v76
	v_cvt_f16_f32_e32 v75, v70
	;; [unrolled: 1-line block ×3, first 2 shown]
	v_pk_mul_f32 v[66:67], v[88:89], v[66:67] op_sel_hi:[0,1]
	v_pk_mul_f32 v[70:71], v[88:89], v[72:73] op_sel_hi:[0,1]
	v_cvt_f16_f32_e32 v74, v77
	v_cvt_f16_f32_e32 v70, v70
	;; [unrolled: 1-line block ×5, first 2 shown]
	v_pack_b32_f16 v66, v69, v74
	v_pack_b32_f16 v67, v75, v76
	;; [unrolled: 1-line block ×4, first 2 shown]
	v_cmp_gt_u32_e32 vcc, 10, v0
	ds_write2st64_b64 v80, v[66:67], v[70:71] offset0:2 offset1:3
	s_and_saveexec_b64 s[0:1], vcc
	s_cbranch_execz .LBB181_17
; %bb.16:
	v_add_co_u32_e32 v70, vcc, s27, v84
	v_addc_co_u32_e64 v71, s[12:13], 0, 0, vcc
	v_mov_b32_e32 v66, s3
	v_mov_b32_e32 v67, 0
	v_mad_u64_u32 v[70:71], s[12:13], s6, v66, v[70:71]
	v_mov_b32_e32 v66, s26
	s_load_dwordx4 s[8:11], s[4:5], 0x58
	s_mul_i32 s7, s7, s3
	v_mad_u64_u32 v[66:67], s[12:13], v70, s2, v[66:67]
	v_add_u32_e32 v69, s7, v71
	v_mov_b32_e32 v70, v67
	v_mad_u64_u32 v[70:71], s[12:13], v69, s2, v[70:71]
	v_mov_b32_e32 v67, v70
	v_lshlrev_b64 v[66:67], 2, v[66:67]
	s_waitcnt lgkmcnt(0)
	v_mov_b32_e32 v69, s11
	v_add_co_u32_e32 v70, vcc, s10, v66
	v_addc_co_u32_e32 v71, vcc, v69, v67, vcc
	v_mov_b32_e32 v69, s9
	v_add_co_u32_e32 v66, vcc, s8, v66
	v_addc_co_u32_e32 v67, vcc, v69, v67, vcc
	global_store_dword v[70:71], v86, off
	global_store_dword v[66:67], v87, off
.LBB181_17:
	s_or_b64 exec, exec, s[0:1]
	v_lshl_or_b32 v74, v1, 9, v68
	s_waitcnt lgkmcnt(0)
	s_barrier
	ds_read_b128 v[70:73], v74
	ds_read_b128 v[66:69], v74 offset:16
	s_waitcnt vmcnt(15) lgkmcnt(1)
	v_mfma_f32_16x16x16f16 v[76:79], v[46:47], v[70:71], 0
	s_mov_b32 s1, 0
	v_cmp_gt_u32_e32 vcc, 64, v0
	v_mfma_f32_16x16x16f16 v[46:49], v[48:49], v[72:73], v[76:79]
	s_waitcnt vmcnt(14) lgkmcnt(0)
	v_mfma_f32_16x16x16f16 v[46:49], v[42:43], v[66:67], v[46:49]
	v_mfma_f32_16x16x16f16 v[42:45], v[44:45], v[68:69], v[46:49]
	s_nop 7
	s_nop 1
	ds_read_b128 v[46:49], v74 offset:2048
	ds_read_b128 v[76:79], v74 offset:2064
	s_waitcnt vmcnt(13) lgkmcnt(1)
	v_mfma_f32_16x16x16f16 v[42:45], v[38:39], v[46:47], v[42:45]
	v_mfma_f32_16x16x16f16 v[38:41], v[40:41], v[48:49], v[42:45]
	s_waitcnt vmcnt(12) lgkmcnt(0)
	v_mfma_f32_16x16x16f16 v[38:41], v[34:35], v[76:77], v[38:41]
	v_mfma_f32_16x16x16f16 v[34:37], v[36:37], v[78:79], v[38:41]
	s_nop 7
	s_nop 1
	ds_read_b128 v[38:41], v74 offset:4096
	ds_read_b128 v[42:45], v74 offset:4112
	s_waitcnt vmcnt(11) lgkmcnt(1)
	v_mfma_f32_16x16x16f16 v[34:37], v[30:31], v[38:39], v[34:37]
	v_mfma_f32_16x16x16f16 v[30:33], v[32:33], v[40:41], v[34:37]
	s_waitcnt vmcnt(10) lgkmcnt(0)
	v_mfma_f32_16x16x16f16 v[30:33], v[26:27], v[42:43], v[30:33]
	v_mfma_f32_16x16x16f16 v[26:29], v[28:29], v[44:45], v[30:33]
	s_nop 7
	s_nop 1
	ds_read_b128 v[30:33], v74 offset:6144
	ds_read_b128 v[34:37], v74 offset:6160
	s_waitcnt lgkmcnt(0)
	s_barrier
	s_waitcnt vmcnt(9)
	v_mfma_f32_16x16x16f16 v[26:29], v[22:23], v[30:31], v[26:29]
	v_mfma_f32_16x16x16f16 v[22:25], v[24:25], v[32:33], v[26:29]
	s_waitcnt vmcnt(8)
	v_mfma_f32_16x16x16f16 v[22:25], v[18:19], v[34:35], v[22:25]
	v_mfma_f32_16x16x16f16 v[18:21], v[20:21], v[36:37], v[22:25]
	;; [unrolled: 3-line block ×4, first 2 shown]
	s_waitcnt vmcnt(5)
	v_mfma_f32_16x16x16f16 v[2:5], v[14:15], v[46:47], v[2:5]
	s_nop 7
	v_cvt_f16_f32_e32 v6, v18
	v_cvt_f16_f32_e32 v7, v19
	;; [unrolled: 1-line block ×4, first 2 shown]
	v_mfma_f32_16x16x16f16 v[2:5], v[16:17], v[48:49], v[2:5]
	s_waitcnt vmcnt(4)
	v_mfma_f32_16x16x16f16 v[2:5], v[10:11], v[76:77], v[2:5]
	v_mfma_f32_16x16x16f16 v[2:5], v[12:13], v[78:79], v[2:5]
	s_waitcnt vmcnt(3)
	v_mfma_f32_16x16x16f16 v[2:5], v[54:55], v[38:39], v[2:5]
	;; [unrolled: 3-line block ×5, first 2 shown]
	v_mfma_f32_16x16x16f16 v[2:5], v[60:61], v[36:37], v[2:5]
	s_nop 7
	s_nop 2
	v_cvt_f16_f32_e32 v10, v2
	v_cvt_f16_f32_e32 v11, v3
	;; [unrolled: 1-line block ×4, first 2 shown]
	v_pack_b32_f16 v2, v6, v7
	v_pack_b32_f16 v3, v8, v9
	;; [unrolled: 1-line block ×4, first 2 shown]
	ds_write2st64_b64 v80, v[2:3], v[4:5] offset1:1
	s_waitcnt lgkmcnt(0)
	s_barrier
	s_and_saveexec_b64 s[8:9], vcc
	s_cbranch_execz .LBB181_20
; %bb.18:
	buffer_load_dword v6, off, s[44:47], 0  ; 4-byte Folded Reload
	buffer_load_dword v7, off, s[44:47], 0 offset:4 ; 4-byte Folded Reload
	s_load_dwordx2 s[4:5], s[4:5], 0x68
	s_lshl_b32 s2, s2, 7
	s_mul_i32 s0, s3, s6
	s_mul_hi_u32 s7, s0, s2
	s_mul_i32 s6, s0, s2
	s_lshl_b64 s[6:7], s[6:7], 1
	s_waitcnt lgkmcnt(0)
	s_add_u32 s3, s4, s6
	s_addc_u32 s4, s5, s7
	s_lshl_b32 s0, s26, 7
	v_lshlrev_b32_e32 v4, 6, v84
	s_lshl_b64 s[0:1], s[0:1], 1
	v_lshlrev_b32_e32 v3, 4, v0
	v_lshl_or_b32 v0, v0, 10, v4
	s_add_u32 s0, s3, s0
	v_lshlrev_b32_e32 v2, 5, v1
	v_and_b32_e32 v3, 16, v3
	v_and_b32_e32 v0, 0x1a00, v0
	s_addc_u32 s1, s4, s1
	v_or3_b32 v0, v0, v2, v3
	v_mov_b32_e32 v4, s1
	v_or_b32_e32 v2, 8, v1
	v_add_u32_e32 v1, s27, v1
	s_waitcnt vmcnt(1)
	v_add_co_u32_e32 v3, vcc, s0, v6
	s_waitcnt vmcnt(0)
	v_addc_co_u32_e32 v4, vcc, v4, v7, vcc
	ds_read_b128 v[6:9], v0 offset:128
	ds_read_b128 v[10:13], v0
	v_mad_u64_u32 v[14:15], s[0:1], v1, s2, 0
	v_lshlrev_b64 v[14:15], 1, v[14:15]
	v_add_co_u32_e32 v14, vcc, v3, v14
	v_addc_co_u32_e32 v15, vcc, v4, v15, vcc
	v_add_u32_e32 v1, 4, v1
	s_waitcnt lgkmcnt(0)
	global_store_dwordx4 v[14:15], v[10:13], off
	s_nop 0
	v_mad_u64_u32 v[10:11], s[0:1], v1, s2, 0
	v_lshlrev_b64 v[10:11], 1, v[10:11]
	v_add_co_u32_e32 v10, vcc, v3, v10
	v_addc_co_u32_e32 v11, vcc, v4, v11, vcc
	v_cmp_gt_u32_e32 vcc, 10, v2
	global_store_dwordx4 v[10:11], v[6:9], off
	s_and_b64 exec, exec, vcc
	s_cbranch_execz .LBB181_20
; %bb.19:
	ds_read_b128 v[6:9], v0 offset:256
	v_add_u32_e32 v0, s27, v2
	v_mad_u64_u32 v[0:1], s[0:1], v0, s2, 0
	v_lshlrev_b64 v[0:1], 1, v[0:1]
	v_add_co_u32_e32 v0, vcc, v3, v0
	v_addc_co_u32_e32 v1, vcc, v4, v1, vcc
	s_waitcnt lgkmcnt(0)
	global_store_dwordx4 v[0:1], v[6:9], off
.LBB181_20:
	s_endpgm
	.section	.rodata,"a",@progbits
	.p2align	6, 0x0
	.amdhsa_kernel _Z39paged_attention_ll4mi_QKV_mfma16_kernelIDF16_DF16_LN4vllm18Fp8KVCacheDataTypeE0EDF16_Li32ELi128ELi256ELb0ELi10EL8MFMAType0EEvPKT_PKT0_S8_ifPKiSA_SA_iPKfiiiPfSD_PS3_PT2_iSC_SC_
		.amdhsa_group_segment_fixed_size 8192
		.amdhsa_private_segment_fixed_size 12
		.amdhsa_kernarg_size 400
		.amdhsa_user_sgpr_count 6
		.amdhsa_user_sgpr_private_segment_buffer 1
		.amdhsa_user_sgpr_dispatch_ptr 0
		.amdhsa_user_sgpr_queue_ptr 0
		.amdhsa_user_sgpr_kernarg_segment_ptr 1
		.amdhsa_user_sgpr_dispatch_id 0
		.amdhsa_user_sgpr_flat_scratch_init 0
		.amdhsa_user_sgpr_kernarg_preload_length 0
		.amdhsa_user_sgpr_kernarg_preload_offset 0
		.amdhsa_user_sgpr_private_segment_size 0
		.amdhsa_uses_dynamic_stack 0
		.amdhsa_system_sgpr_private_segment_wavefront_offset 1
		.amdhsa_system_sgpr_workgroup_id_x 1
		.amdhsa_system_sgpr_workgroup_id_y 1
		.amdhsa_system_sgpr_workgroup_id_z 1
		.amdhsa_system_sgpr_workgroup_info 0
		.amdhsa_system_vgpr_workitem_id 0
		.amdhsa_next_free_vgpr 96
		.amdhsa_next_free_sgpr 48
		.amdhsa_accum_offset 96
		.amdhsa_reserve_vcc 1
		.amdhsa_reserve_flat_scratch 0
		.amdhsa_float_round_mode_32 0
		.amdhsa_float_round_mode_16_64 0
		.amdhsa_float_denorm_mode_32 3
		.amdhsa_float_denorm_mode_16_64 3
		.amdhsa_dx10_clamp 1
		.amdhsa_ieee_mode 1
		.amdhsa_fp16_overflow 0
		.amdhsa_tg_split 0
		.amdhsa_exception_fp_ieee_invalid_op 0
		.amdhsa_exception_fp_denorm_src 0
		.amdhsa_exception_fp_ieee_div_zero 0
		.amdhsa_exception_fp_ieee_overflow 0
		.amdhsa_exception_fp_ieee_underflow 0
		.amdhsa_exception_fp_ieee_inexact 0
		.amdhsa_exception_int_div_zero 0
	.end_amdhsa_kernel
	.section	.text._Z39paged_attention_ll4mi_QKV_mfma16_kernelIDF16_DF16_LN4vllm18Fp8KVCacheDataTypeE0EDF16_Li32ELi128ELi256ELb0ELi10EL8MFMAType0EEvPKT_PKT0_S8_ifPKiSA_SA_iPKfiiiPfSD_PS3_PT2_iSC_SC_,"axG",@progbits,_Z39paged_attention_ll4mi_QKV_mfma16_kernelIDF16_DF16_LN4vllm18Fp8KVCacheDataTypeE0EDF16_Li32ELi128ELi256ELb0ELi10EL8MFMAType0EEvPKT_PKT0_S8_ifPKiSA_SA_iPKfiiiPfSD_PS3_PT2_iSC_SC_,comdat
.Lfunc_end181:
	.size	_Z39paged_attention_ll4mi_QKV_mfma16_kernelIDF16_DF16_LN4vllm18Fp8KVCacheDataTypeE0EDF16_Li32ELi128ELi256ELb0ELi10EL8MFMAType0EEvPKT_PKT0_S8_ifPKiSA_SA_iPKfiiiPfSD_PS3_PT2_iSC_SC_, .Lfunc_end181-_Z39paged_attention_ll4mi_QKV_mfma16_kernelIDF16_DF16_LN4vllm18Fp8KVCacheDataTypeE0EDF16_Li32ELi128ELi256ELb0ELi10EL8MFMAType0EEvPKT_PKT0_S8_ifPKiSA_SA_iPKfiiiPfSD_PS3_PT2_iSC_SC_
                                        ; -- End function
	.section	.AMDGPU.csdata,"",@progbits
; Kernel info:
; codeLenInByte = 4820
; NumSgprs: 52
; NumVgprs: 96
; NumAgprs: 0
; TotalNumVgprs: 96
; ScratchSize: 12
; MemoryBound: 0
; FloatMode: 240
; IeeeMode: 1
; LDSByteSize: 8192 bytes/workgroup (compile time only)
; SGPRBlocks: 6
; VGPRBlocks: 11
; NumSGPRsForWavesPerEU: 52
; NumVGPRsForWavesPerEU: 96
; AccumOffset: 96
; Occupancy: 5
; WaveLimiterHint : 1
; COMPUTE_PGM_RSRC2:SCRATCH_EN: 1
; COMPUTE_PGM_RSRC2:USER_SGPR: 6
; COMPUTE_PGM_RSRC2:TRAP_HANDLER: 0
; COMPUTE_PGM_RSRC2:TGID_X_EN: 1
; COMPUTE_PGM_RSRC2:TGID_Y_EN: 1
; COMPUTE_PGM_RSRC2:TGID_Z_EN: 1
; COMPUTE_PGM_RSRC2:TIDIG_COMP_CNT: 0
; COMPUTE_PGM_RSRC3_GFX90A:ACCUM_OFFSET: 23
; COMPUTE_PGM_RSRC3_GFX90A:TG_SPLIT: 0
	.section	.text._Z39paged_attention_ll4mi_QKV_mfma16_kernelIDF16_DF16_LN4vllm18Fp8KVCacheDataTypeE0EDF16_Li32ELi128ELi256ELb0ELi11EL8MFMAType0EEvPKT_PKT0_S8_ifPKiSA_SA_iPKfiiiPfSD_PS3_PT2_iSC_SC_,"axG",@progbits,_Z39paged_attention_ll4mi_QKV_mfma16_kernelIDF16_DF16_LN4vllm18Fp8KVCacheDataTypeE0EDF16_Li32ELi128ELi256ELb0ELi11EL8MFMAType0EEvPKT_PKT0_S8_ifPKiSA_SA_iPKfiiiPfSD_PS3_PT2_iSC_SC_,comdat
	.protected	_Z39paged_attention_ll4mi_QKV_mfma16_kernelIDF16_DF16_LN4vllm18Fp8KVCacheDataTypeE0EDF16_Li32ELi128ELi256ELb0ELi11EL8MFMAType0EEvPKT_PKT0_S8_ifPKiSA_SA_iPKfiiiPfSD_PS3_PT2_iSC_SC_ ; -- Begin function _Z39paged_attention_ll4mi_QKV_mfma16_kernelIDF16_DF16_LN4vllm18Fp8KVCacheDataTypeE0EDF16_Li32ELi128ELi256ELb0ELi11EL8MFMAType0EEvPKT_PKT0_S8_ifPKiSA_SA_iPKfiiiPfSD_PS3_PT2_iSC_SC_
	.globl	_Z39paged_attention_ll4mi_QKV_mfma16_kernelIDF16_DF16_LN4vllm18Fp8KVCacheDataTypeE0EDF16_Li32ELi128ELi256ELb0ELi11EL8MFMAType0EEvPKT_PKT0_S8_ifPKiSA_SA_iPKfiiiPfSD_PS3_PT2_iSC_SC_
	.p2align	8
	.type	_Z39paged_attention_ll4mi_QKV_mfma16_kernelIDF16_DF16_LN4vllm18Fp8KVCacheDataTypeE0EDF16_Li32ELi128ELi256ELb0ELi11EL8MFMAType0EEvPKT_PKT0_S8_ifPKiSA_SA_iPKfiiiPfSD_PS3_PT2_iSC_SC_,@function
_Z39paged_attention_ll4mi_QKV_mfma16_kernelIDF16_DF16_LN4vllm18Fp8KVCacheDataTypeE0EDF16_Li32ELi128ELi256ELb0ELi11EL8MFMAType0EEvPKT_PKT0_S8_ifPKiSA_SA_iPKfiiiPfSD_PS3_PT2_iSC_SC_: ; @_Z39paged_attention_ll4mi_QKV_mfma16_kernelIDF16_DF16_LN4vllm18Fp8KVCacheDataTypeE0EDF16_Li32ELi128ELi256ELb0ELi11EL8MFMAType0EEvPKT_PKT0_S8_ifPKiSA_SA_iPKfiiiPfSD_PS3_PT2_iSC_SC_
; %bb.0:
	s_mov_b64 s[46:47], s[2:3]
	s_mov_b64 s[44:45], s[0:1]
	s_load_dwordx2 s[0:1], s[4:5], 0x30
	s_add_u32 s44, s44, s9
	s_addc_u32 s45, s45, 0
	s_mov_b32 s26, s7
	s_mov_b64 s[10:11], 0
	s_waitcnt lgkmcnt(0)
	s_cmp_lg_u64 s[0:1], 0
	s_cselect_b64 s[2:3], -1, 0
	s_and_b64 vcc, exec, s[2:3]
	s_cbranch_vccz .LBB182_7
; %bb.1:
	s_add_i32 s12, s6, 1
	s_mov_b32 s13, 0
	s_lshl_b64 s[14:15], s[12:13], 2
	s_add_u32 s14, s0, s14
	s_mov_b32 s7, s13
	s_addc_u32 s15, s1, s15
	s_lshl_b64 s[12:13], s[6:7], 2
	s_add_u32 s12, s0, s12
	s_addc_u32 s13, s1, s13
	s_load_dword s9, s[14:15], 0x0
	s_load_dword s16, s[12:13], 0x0
	s_waitcnt lgkmcnt(0)
	s_sub_i32 s9, s9, s16
	s_cmp_eq_u32 s9, 1
	s_cselect_b64 s[12:13], -1, 0
	s_andn2_b64 vcc, exec, s[10:11]
	s_cbranch_vccnz .LBB182_3
.LBB182_2:
	s_mov_b32 s7, 0
	s_mov_b64 s[12:13], -1
.LBB182_3:
	s_andn2_b64 vcc, exec, s[12:13]
	s_cbranch_vccnz .LBB182_20
; %bb.4:
	s_load_dwordx2 s[12:13], s[4:5], 0x28
	s_lshl_b64 s[10:11], s[6:7], 2
	s_waitcnt lgkmcnt(0)
	s_add_u32 s12, s12, s10
	s_addc_u32 s13, s13, s11
	s_load_dword s33, s[12:13], 0x0
	s_lshl_b32 s9, s26, 8
	s_waitcnt lgkmcnt(0)
	s_cmp_ge_i32 s9, s33
	s_cbranch_scc1 .LBB182_20
; %bb.5:
	s_add_i32 s15, s33, 31
	s_load_dwordx2 s[12:13], s[4:5], 0x20
	s_load_dword s14, s[4:5], 0x38
	s_ashr_i32 s16, s15, 31
	v_and_b32_e32 v1, 0xcf, v0
	s_lshr_b32 s16, s16, 27
	v_add_u32_e32 v1, s9, v1
	s_add_i32 s15, s15, s16
	v_ashrrev_i32_e32 v2, 31, v1
	s_ashr_i32 s18, s15, 5
	v_lshrrev_b32_e32 v10, 27, v2
	s_add_i32 s18, s18, -1
	v_add_u32_e32 v2, v1, v10
	s_waitcnt lgkmcnt(0)
	s_mul_i32 s14, s6, s14
	s_mov_b32 s15, 0
	v_ashrrev_i32_e32 v2, 5, v2
	v_mov_b32_e32 v11, s18
	v_cmp_gt_i32_e32 vcc, s33, v1
	s_lshl_b64 s[14:15], s[14:15], 2
	v_cndmask_b32_e32 v2, v11, v2, vcc
	s_add_u32 s16, s12, s14
	v_ashrrev_i32_e32 v3, 31, v2
	s_addc_u32 s17, s13, s15
	v_lshlrev_b64 v[2:3], 2, v[2:3]
	v_mov_b32_e32 v4, s17
	v_add_co_u32_e32 v2, vcc, s16, v2
	v_addc_co_u32_e32 v3, vcc, v4, v3, vcc
	v_or_b32_e32 v4, 16, v1
	v_add_u32_e32 v5, v4, v10
	v_ashrrev_i32_e32 v5, 5, v5
	v_cmp_gt_i32_e32 vcc, s33, v4
	v_cndmask_b32_e32 v4, v11, v5, vcc
	v_ashrrev_i32_e32 v5, 31, v4
	v_lshlrev_b64 v[4:5], 2, v[4:5]
	v_mov_b32_e32 v7, s17
	v_add_co_u32_e32 v6, vcc, s16, v4
	v_or_b32_e32 v4, 32, v1
	v_addc_co_u32_e32 v7, vcc, v7, v5, vcc
	v_add_u32_e32 v5, v4, v10
	v_ashrrev_i32_e32 v5, 5, v5
	v_cmp_gt_i32_e32 vcc, s33, v4
	v_cndmask_b32_e32 v4, v11, v5, vcc
	v_ashrrev_i32_e32 v5, 31, v4
	v_lshlrev_b64 v[4:5], 2, v[4:5]
	v_mov_b32_e32 v9, s17
	v_add_co_u32_e32 v8, vcc, s16, v4
	v_or_b32_e32 v1, 48, v1
	v_addc_co_u32_e32 v9, vcc, v9, v5, vcc
	v_add_u32_e32 v4, v1, v10
	v_ashrrev_i32_e32 v4, 5, v4
	v_cmp_gt_i32_e32 vcc, s33, v1
	v_cndmask_b32_e32 v4, v11, v4, vcc
	v_ashrrev_i32_e32 v5, 31, v4
	v_lshlrev_b64 v[4:5], 2, v[4:5]
	v_mov_b32_e32 v1, s17
	v_add_co_u32_e32 v10, vcc, s16, v4
	v_addc_co_u32_e32 v11, vcc, v1, v5, vcc
	global_load_dword v5, v[2:3], off
	global_load_dword v4, v[6:7], off
	;; [unrolled: 1-line block ×4, first 2 shown]
	s_andn2_b64 vcc, exec, s[2:3]
	s_cbranch_vccnz .LBB182_8
; %bb.6:
	s_add_u32 s0, s0, s10
	s_addc_u32 s1, s1, s11
	s_load_dword s19, s[0:1], 0x0
	s_branch .LBB182_9
.LBB182_7:
	s_mov_b64 s[12:13], 0
	s_branch .LBB182_2
.LBB182_8:
	s_mov_b32 s19, s6
.LBB182_9:
	s_load_dwordx4 s[12:15], s[4:5], 0x8
	s_load_dwordx4 s[0:3], s[4:5], 0x48
	v_lshrrev_b32_e32 v85, 6, v0
	v_bfe_u32 v1, v0, 4, 2
	v_lshl_or_b32 v6, v85, 2, v1
	v_and_b32_e32 v84, 15, v0
	v_lshlrev_b32_e32 v2, 3, v84
	v_cmp_lt_u32_e32 vcc, 10, v6
	s_and_saveexec_b64 s[10:11], vcc
	s_xor_b64 s[10:11], exec, s[10:11]
; %bb.10:
	v_mov_b32_e32 v3, 0
                                        ; implicit-def: $vgpr6
; %bb.11:
	s_or_saveexec_b64 s[10:11], s[10:11]
	v_and_b32_e32 v86, 63, v0
	s_mul_i32 s27, s8, 11
	s_xor_b64 exec, exec, s[10:11]
	s_cbranch_execz .LBB182_13
; %bb.12:
	s_load_dwordx2 s[20:21], s[4:5], 0x0
	s_waitcnt lgkmcnt(0)
	s_ashr_i32 s3, s0, 31
	s_mul_hi_u32 s22, s19, s0
	s_mul_i32 s3, s19, s3
	s_add_i32 s23, s22, s3
	s_mul_i32 s22, s19, s0
	s_lshl_b64 s[22:23], s[22:23], 1
	v_add_lshl_u32 v8, v6, s27, 7
	s_add_u32 s0, s20, s22
	v_ashrrev_i32_e32 v9, 31, v8
	s_addc_u32 s3, s21, s23
	v_lshlrev_b64 v[8:9], 1, v[8:9]
	v_mov_b32_e32 v3, s3
	v_add_co_u32_e32 v7, vcc, s0, v8
	v_addc_co_u32_e32 v3, vcc, v3, v9, vcc
	v_lshlrev_b32_e32 v8, 1, v2
	v_add_co_u32_e32 v8, vcc, v7, v8
	v_addc_co_u32_e32 v9, vcc, 0, v3, vcc
	global_load_dwordx4 v[8:11], v[8:9], off
	v_and_b32_e32 v7, 3, v0
	v_lshlrev_b32_e32 v12, 9, v84
	v_lshlrev_b32_e32 v6, 5, v6
	v_lshlrev_b32_e32 v7, 9, v7
	v_and_b32_e32 v12, 0x1800, v12
	v_mov_b32_e32 v3, 0
	v_or3_b32 v6, v12, v7, v6
	s_waitcnt vmcnt(0)
	ds_write_b128 v6, v[8:11]
.LBB182_13:
	s_or_b64 exec, exec, s[10:11]
	s_waitcnt lgkmcnt(0)
	s_mul_i32 s2, s8, s2
	s_mov_b32 s3, 0
	s_lshl_b64 s[2:3], s[2:3], 1
	s_add_u32 s8, s12, s2
	s_addc_u32 s10, s13, s3
	s_waitcnt vmcnt(3)
	v_mad_i64_i32 v[6:7], s[12:13], v5, s1, 0
	v_lshlrev_b64 v[6:7], 1, v[6:7]
	v_mov_b32_e32 v5, s10
	v_add_co_u32_e32 v6, vcc, s8, v6
	v_addc_co_u32_e32 v5, vcc, v5, v7, vcc
	v_lshlrev_b64 v[60:61], 1, v[2:3]
	v_add_co_u32_e32 v27, vcc, v6, v60
	v_lshlrev_b32_e32 v26, 9, v1
	v_addc_co_u32_e32 v28, vcc, v5, v61, vcc
	v_add_co_u32_e32 v2, vcc, v27, v26
	v_addc_co_u32_e32 v3, vcc, 0, v28, vcc
	s_load_dword s40, s[4:5], 0x98
	s_load_dword s0, s[4:5], 0x1c
	s_waitcnt lgkmcnt(0)
	s_barrier
	global_load_dwordx4 v[10:13], v[2:3], off
	s_waitcnt vmcnt(3)
	v_mad_i64_i32 v[4:5], s[12:13], v4, s1, 0
	v_lshlrev_b64 v[4:5], 1, v[4:5]
	v_mov_b32_e32 v6, s10
	v_add_co_u32_e32 v4, vcc, s8, v4
	v_addc_co_u32_e32 v5, vcc, v6, v5, vcc
	v_mov_b32_e32 v6, 0x100
	v_lshl_or_b32 v29, v84, 4, v6
	v_add_co_u32_e32 v30, vcc, v4, v29
	v_addc_co_u32_e32 v31, vcc, 0, v5, vcc
	v_add_co_u32_e32 v22, vcc, v30, v26
	v_addc_co_u32_e32 v23, vcc, 0, v31, vcc
	global_load_dwordx4 v[18:21], v[22:23], off
	global_load_dwordx4 v[14:17], v[2:3], off offset:2048
	v_add_u32_e32 v2, -11, v84
	v_cmp_gt_u32_e32 vcc, 11, v84
	v_cndmask_b32_e32 v2, v2, v84, vcc
	v_lshl_add_u32 v32, v2, 5, v26
	ds_read_b128 v[6:9], v32
	ds_read_b128 v[2:5], v32 offset:2048
	v_or_b32_e32 v58, 0x1000, v26
	global_load_dwordx4 v[38:41], v[22:23], off offset:2048
	v_add_co_u32_e32 v22, vcc, v27, v58
	v_addc_co_u32_e32 v23, vcc, 0, v28, vcc
	v_or_b32_e32 v62, 0x1800, v26
	s_ashr_i32 s11, s9, 31
	v_and_or_b32 v63, v0, 48, s9
	v_mov_b32_e32 v66, s18
	v_lshl_or_b32 v87, v85, 4, v84
	v_lshlrev_b32_e32 v90, 6, v87
	s_mov_b32 s41, 0xff7fffff
	s_waitcnt vmcnt(3) lgkmcnt(1)
	v_mfma_f32_16x16x16f16 v[34:37], v[10:11], v[6:7], 0
	s_waitcnt vmcnt(2)
	v_mfma_f32_16x16x16f16 v[42:45], v[18:19], v[6:7], 0
	v_mfma_f32_16x16x16f16 v[10:13], v[12:13], v[8:9], v[34:37]
	s_nop 7
	global_load_dwordx4 v[34:37], v[22:23], off
	v_add_co_u32_e32 v22, vcc, v30, v58
	v_addc_co_u32_e32 v23, vcc, 0, v31, vcc
	v_mfma_f32_16x16x16f16 v[18:21], v[20:21], v[8:9], v[42:45]
	global_load_dwordx4 v[46:49], v[22:23], off
	s_waitcnt vmcnt(3) lgkmcnt(0)
	v_mfma_f32_16x16x16f16 v[42:45], v[14:15], v[2:3], v[10:13]
	s_nop 6
	v_add_co_u32_e32 v10, vcc, v27, v62
	v_addc_co_u32_e32 v11, vcc, 0, v28, vcc
	global_load_dwordx4 v[54:57], v[10:11], off
	v_mad_i64_i32 v[10:11], s[12:13], v25, s1, 0
	v_add_co_u32_e32 v30, vcc, v30, v62
	v_lshlrev_b64 v[22:23], 1, v[10:11]
	v_addc_co_u32_e32 v31, vcc, 0, v31, vcc
	v_mov_b32_e32 v25, s10
	v_add_co_u32_e32 v22, vcc, s8, v22
	v_addc_co_u32_e32 v23, vcc, v25, v23, vcc
	ds_read_b128 v[10:13], v32 offset:4096
	ds_read_b128 v[50:53], v32 offset:6144
	global_load_dwordx4 v[30:33], v[30:31], off
	v_add_co_u32_e32 v27, vcc, v22, v60
	buffer_store_dword v60, off, s[44:47], 0 ; 4-byte Folded Spill
	s_nop 0
	buffer_store_dword v61, off, s[44:47], 0 offset:4 ; 4-byte Folded Spill
	s_waitcnt vmcnt(6)
	v_mfma_f32_16x16x16f16 v[18:21], v[38:39], v[2:3], v[18:21]
	v_mov_b32_e32 v28, s10
	s_lshr_b32 s10, s11, 27
	s_add_u32 s2, s14, s2
	s_addc_u32 s3, s15, s3
	v_addc_co_u32_e32 v59, vcc, v23, v61, vcc
	v_add_co_u32_e32 v22, vcc, v27, v26
	v_addc_co_u32_e32 v23, vcc, 0, v59, vcc
	v_mfma_f32_16x16x16f16 v[14:17], v[16:17], v[4:5], v[42:45]
	v_mfma_f32_16x16x16f16 v[18:21], v[40:41], v[4:5], v[18:21]
	global_load_dwordx4 v[38:41], v[22:23], off
	s_nop 4
	global_load_dwordx4 v[42:45], v[22:23], off offset:2048
	v_mad_i64_i32 v[22:23], s[12:13], v24, s1, 0
	s_waitcnt vmcnt(7) lgkmcnt(1)
	v_mfma_f32_16x16x16f16 v[14:17], v[34:35], v[10:11], v[14:17]
	v_lshlrev_b64 v[34:35], 1, v[22:23]
	v_add_co_u32_e32 v22, vcc, v27, v58
	v_addc_co_u32_e32 v23, vcc, 0, v59, vcc
	global_load_dwordx4 v[22:25], v[22:23], off
	v_add_co_u32_e32 v34, vcc, s8, v34
	s_waitcnt vmcnt(7)
	v_mfma_f32_16x16x16f16 v[18:21], v[46:47], v[10:11], v[18:21]
	v_addc_co_u32_e32 v28, vcc, v28, v35, vcc
	v_add_co_u32_e32 v64, vcc, v34, v29
	v_addc_co_u32_e32 v65, vcc, 0, v28, vcc
	v_add_co_u32_e32 v28, vcc, v27, v62
	v_mfma_f32_16x16x16f16 v[14:17], v[36:37], v[12:13], v[14:17]
	v_addc_co_u32_e32 v29, vcc, 0, v59, vcc
	v_add_co_u32_e32 v46, vcc, v64, v26
	global_load_dwordx4 v[26:29], v[28:29], off
	v_addc_co_u32_e32 v47, vcc, 0, v65, vcc
	v_mfma_f32_16x16x16f16 v[18:21], v[48:49], v[12:13], v[18:21]
	v_add_co_u32_e32 v48, vcc, v64, v58
	v_add_u32_e32 v35, s10, v63
	v_addc_co_u32_e32 v49, vcc, 0, v65, vcc
	v_ashrrev_i32_e32 v60, 5, v35
	v_cmp_gt_i32_e32 vcc, s33, v63
	s_waitcnt vmcnt(7) lgkmcnt(0)
	v_mfma_f32_16x16x16f16 v[14:17], v[54:55], v[50:51], v[14:17]
	s_waitcnt vmcnt(6)
	v_mfma_f32_16x16x16f16 v[18:21], v[30:31], v[50:51], v[18:21]
	v_mov_b32_e32 v31, s17
	v_mfma_f32_16x16x16f16 v[54:57], v[56:57], v[52:53], v[14:17]
	global_load_dwordx4 v[34:37], v[46:47], off
	s_nop 5
	global_load_dwordx4 v[14:17], v[46:47], off offset:2048
	v_cndmask_b32_e32 v46, v66, v60, vcc
	v_ashrrev_i32_e32 v47, 31, v46
	v_lshlrev_b64 v[46:47], 2, v[46:47]
	v_add_co_u32_e32 v30, vcc, s16, v46
	v_addc_co_u32_e32 v31, vcc, v31, v47, vcc
	global_load_dword v46, v[30:31], off
	v_or_b32_e32 v30, 64, v63
	v_mfma_f32_16x16x16f16 v[58:61], v[32:33], v[52:53], v[18:21]
	v_cmp_gt_i32_e32 vcc, s33, v30
	v_mov_b32_e32 v32, s17
	v_mov_b32_e32 v33, s17
	s_nop 3
	v_add_u32_e32 v18, s10, v30
	v_ashrrev_i32_e32 v18, 5, v18
	v_cndmask_b32_e32 v18, v66, v18, vcc
	v_ashrrev_i32_e32 v19, 31, v18
	v_lshlrev_b64 v[30:31], 2, v[18:19]
	v_add_co_u32_e32 v30, vcc, s16, v30
	v_addc_co_u32_e32 v31, vcc, v32, v31, vcc
	global_load_dword v32, v[30:31], off
	s_waitcnt vmcnt(7)
	v_mfma_f32_16x16x16f16 v[18:21], v[38:39], v[6:7], 0
	v_or_b32_e32 v30, 0x80, v63
	v_add_u32_e32 v31, s10, v30
	v_ashrrev_i32_e32 v31, 5, v31
	v_cmp_gt_i32_e32 vcc, s33, v30
	v_cndmask_b32_e32 v30, v66, v31, vcc
	v_ashrrev_i32_e32 v31, 31, v30
	v_lshlrev_b64 v[30:31], 2, v[30:31]
	v_mfma_f32_16x16x16f16 v[18:21], v[40:41], v[8:9], v[18:21]
	v_add_co_u32_e32 v30, vcc, s16, v30
	v_addc_co_u32_e32 v31, vcc, v33, v31, vcc
	global_load_dword v33, v[30:31], off
	v_or_b32_e32 v30, 0xc0, v63
	v_add_u32_e32 v31, s10, v30
	s_waitcnt vmcnt(7)
	v_mfma_f32_16x16x16f16 v[18:21], v[42:43], v[2:3], v[18:21]
	v_ashrrev_i32_e32 v31, 5, v31
	v_cmp_gt_i32_e32 vcc, s33, v30
	v_cndmask_b32_e32 v30, v66, v31, vcc
	global_load_dwordx4 v[66:69], v[48:49], off
	v_ashrrev_i32_e32 v31, 31, v30
	v_lshlrev_b64 v[30:31], 2, v[30:31]
	v_mov_b32_e32 v38, s17
	v_mfma_f32_16x16x16f16 v[18:21], v[44:45], v[4:5], v[18:21]
	v_add_co_u32_e32 v30, vcc, s16, v30
	v_addc_co_u32_e32 v31, vcc, v38, v31, vcc
	global_load_dword v63, v[30:31], off
	s_waitcnt vmcnt(8)
	v_mfma_f32_16x16x16f16 v[18:21], v[22:23], v[10:11], v[18:21]
	v_add_co_u32_e32 v22, vcc, v64, v62
	v_addc_co_u32_e32 v23, vcc, 0, v65, vcc
	global_load_dwordx4 v[70:73], v[22:23], off
	v_and_b32_e32 v22, 16, v0
	v_lshlrev_b32_e32 v22, 1, v22
	v_mfma_f32_16x16x16f16 v[18:21], v[24:25], v[12:13], v[18:21]
	v_mov_b32_e32 v23, s3
	v_add_co_u32_e32 v88, vcc, s2, v22
	v_addc_co_u32_e32 v89, vcc, 0, v23, vcc
	v_add_co_u32_e32 v22, vcc, v88, v90
	s_waitcnt vmcnt(8)
	v_mfma_f32_16x16x16f16 v[18:21], v[26:27], v[50:51], v[18:21]
	v_addc_co_u32_e32 v23, vcc, 0, v89, vcc
	v_mfma_f32_16x16x16f16 v[76:79], v[28:29], v[52:53], v[18:21]
	s_waitcnt vmcnt(5)
	s_nop 7
	v_mad_i64_i32 v[18:19], s[2:3], v46, s1, 0
	v_lshlrev_b64 v[80:81], 1, v[18:19]
	v_mfma_f32_16x16x16f16 v[18:21], v[34:35], v[6:7], 0
	v_add_co_u32_e32 v6, vcc, v22, v80
	v_addc_co_u32_e32 v7, vcc, v23, v81, vcc
	global_load_dwordx4 v[46:49], v[6:7], off
	global_load_dwordx4 v[42:45], v[6:7], off offset:16
	v_pk_mul_f32 v[76:77], s[0:1], v[76:77] op_sel_hi:[0,1]
	v_pk_mul_f32 v[78:79], s[0:1], v[78:79] op_sel_hi:[0,1]
	s_waitcnt vmcnt(6)
	v_mad_i64_i32 v[6:7], s[2:3], v32, s1, 0
	v_lshlrev_b64 v[82:83], 1, v[6:7]
	v_mfma_f32_16x16x16f16 v[6:9], v[36:37], v[8:9], v[18:21]
	v_mfma_f32_16x16x16f16 v[6:9], v[14:15], v[2:3], v[6:9]
	s_nop 5
	v_add_co_u32_e32 v18, vcc, v22, v82
	v_addc_co_u32_e32 v19, vcc, v23, v83, vcc
	global_load_dwordx4 v[38:41], v[18:19], off
	global_load_dwordx4 v[34:37], v[18:19], off offset:16
	s_waitcnt vmcnt(7)
	v_mad_i64_i32 v[18:19], s[2:3], v33, s1, 0
	v_lshlrev_b64 v[64:65], 1, v[18:19]
	v_add_co_u32_e32 v2, vcc, v22, v64
	v_addc_co_u32_e32 v3, vcc, v23, v65, vcc
	global_load_dwordx4 v[30:33], v[2:3], off
	global_load_dwordx4 v[26:29], v[2:3], off offset:16
	v_mfma_f32_16x16x16f16 v[2:5], v[16:17], v[4:5], v[6:9]
	s_waitcnt vmcnt(8)
	v_mfma_f32_16x16x16f16 v[2:5], v[66:67], v[10:11], v[2:5]
	s_waitcnt vmcnt(7)
	s_nop 3
	v_mad_i64_i32 v[6:7], s[2:3], v63, s1, 0
	v_lshlrev_b64 v[62:63], 1, v[6:7]
	v_add_co_u32_e32 v6, vcc, v22, v62
	v_addc_co_u32_e32 v7, vcc, v23, v63, vcc
	v_mfma_f32_16x16x16f16 v[10:13], v[68:69], v[12:13], v[2:5]
	global_load_dwordx4 v[22:25], v[6:7], off
	global_load_dwordx4 v[18:21], v[6:7], off offset:16
	v_or_b32_e32 v6, 0x1000, v90
	v_add_co_u32_e32 v92, vcc, v88, v6
	v_addc_co_u32_e32 v93, vcc, 0, v89, vcc
	s_nop 1
	v_add_co_u32_e32 v2, vcc, v92, v80
	s_waitcnt vmcnt(8)
	v_mfma_f32_16x16x16f16 v[88:91], v[70:71], v[50:51], v[10:13]
	v_addc_co_u32_e32 v3, vcc, v93, v81, vcc
	v_add_co_u32_e32 v66, vcc, v92, v82
	v_addc_co_u32_e32 v67, vcc, v93, v83, vcc
	global_load_dwordx4 v[6:9], v[2:3], off
	s_nop 0
	global_load_dwordx4 v[2:5], v[2:3], off offset:16
	v_mfma_f32_16x16x16f16 v[50:53], v[72:73], v[52:53], v[88:91]
	global_load_dwordx4 v[14:17], v[66:67], off
	global_load_dwordx4 v[10:13], v[66:67], off offset:16
	v_pk_mul_f32 v[68:69], s[0:1], v[54:55] op_sel_hi:[0,1]
	v_pk_mul_f32 v[80:81], s[0:1], v[56:57] op_sel_hi:[0,1]
	;; [unrolled: 1-line block ×4, first 2 shown]
	s_nop 4
	v_pk_mul_f32 v[72:73], s[0:1], v[50:51] op_sel_hi:[0,1]
	v_and_b32_e32 v50, 0xc0, v0
	v_add_u32_e32 v50, s9, v50
	v_lshl_or_b32 v50, v1, 2, v50
	v_pk_mul_f32 v[66:67], s[0:1], v[52:53] op_sel_hi:[0,1]
	v_or_b32_e32 v53, 1, v50
	v_mov_b32_e32 v51, 0xff7fffff
	v_cmp_gt_i32_e64 s[28:29], s33, v50
	v_cmp_gt_i32_e64 s[30:31], s33, v53
	v_cndmask_b32_e64 v52, v51, v68, s[28:29]
	v_cndmask_b32_e64 v53, v51, v69, s[30:31]
	v_max3_f32 v52, v52, s41, v53
	v_or_b32_e32 v53, 2, v50
	v_or_b32_e32 v54, 3, v50
	v_cmp_gt_i32_e64 s[34:35], s33, v53
	v_cmp_gt_i32_e64 s[36:37], s33, v54
	v_cndmask_b32_e64 v53, v51, v80, s[34:35]
	v_cndmask_b32_e64 v54, v51, v81, s[36:37]
	v_max3_f32 v52, v52, v53, v54
	v_or_b32_e32 v53, 16, v50
	v_or_b32_e32 v54, 17, v50
	;; [unrolled: 7-line block ×7, first 2 shown]
	v_cmp_gt_i32_e32 vcc, s33, v53
	v_cmp_gt_i32_e64 s[0:1], s33, v50
	v_cndmask_b32_e32 v53, v51, v66, vcc
	v_cndmask_b32_e64 v50, v51, v67, s[0:1]
	v_max3_f32 v58, v52, v53, v50
	v_mbcnt_lo_u32_b32 v50, -1, 0
	v_mbcnt_hi_u32_b32 v59, -1, v50
	v_and_b32_e32 v50, 64, v59
	v_add_u32_e32 v60, 64, v50
	v_xor_b32_e32 v50, 32, v59
	v_cmp_lt_i32_e64 s[38:39], v50, v60
	v_cndmask_b32_e64 v50, v59, v50, s[38:39]
	v_lshlrev_b32_e32 v89, 2, v50
	ds_bpermute_b32 v61, v89, v58
	v_add_co_u32_e64 v50, s[38:39], v92, v64
	v_addc_co_u32_e64 v51, s[38:39], v93, v65, s[38:39]
	s_waitcnt lgkmcnt(0)
	v_max_f32_e32 v61, v61, v61
	v_max_f32_e32 v61, v58, v61
	v_xor_b32_e32 v58, 16, v59
	v_cmp_lt_i32_e64 s[38:39], v58, v60
	v_cndmask_b32_e64 v58, v59, v58, s[38:39]
	v_lshlrev_b32_e32 v90, 2, v58
	ds_bpermute_b32 v60, v90, v61
	v_add_co_u32_e64 v58, s[38:39], v92, v62
	v_addc_co_u32_e64 v59, s[38:39], v93, v63, s[38:39]
	s_waitcnt lgkmcnt(0)
	v_max_f32_e32 v60, v60, v60
	v_max_f32_e32 v88, v61, v60
	v_sub_f32_e32 v60, v68, v88
	v_mul_f32_e32 v60, 0x3fb8aa3b, v60
	v_exp_f32_e32 v68, v60
	v_sub_f32_e32 v60, v69, v88
	v_mul_f32_e32 v60, 0x3fb8aa3b, v60
	global_load_dwordx4 v[54:57], v[50:51], off
	s_nop 0
	global_load_dwordx4 v[50:53], v[50:51], off offset:16
	v_exp_f32_e32 v69, v60
	global_load_dwordx4 v[62:65], v[58:59], off
	s_nop 0
	global_load_dwordx4 v[58:61], v[58:59], off offset:16
	v_sub_f32_e32 v80, v80, v88
	v_mul_f32_e32 v80, 0x3fb8aa3b, v80
	v_sub_f32_e32 v81, v81, v88
	v_exp_f32_e32 v80, v80
	v_mul_f32_e32 v81, 0x3fb8aa3b, v81
	v_sub_f32_e32 v70, v70, v88
	v_exp_f32_e32 v81, v81
	v_mul_f32_e32 v70, 0x3fb8aa3b, v70
	v_sub_f32_e32 v71, v71, v88
	v_cndmask_b32_e64 v68, 0, v68, s[28:29]
	v_exp_f32_e32 v70, v70
	v_mul_f32_e32 v71, 0x3fb8aa3b, v71
	v_sub_f32_e32 v82, v82, v88
	v_add_f32_e32 v91, 0, v68
	v_cndmask_b32_e64 v69, 0, v69, s[30:31]
	v_exp_f32_e32 v71, v71
	v_mul_f32_e32 v82, 0x3fb8aa3b, v82
	v_sub_f32_e32 v83, v83, v88
	v_add_f32_e32 v91, v91, v69
	;; [unrolled: 5-line block ×10, first 2 shown]
	v_cndmask_b32_e64 v78, 0, v78, s[10:11]
	v_exp_f32_e32 v66, v66
	v_mul_f32_e32 v67, 0x3fb8aa3b, v67
	v_add_f32_e32 v91, v91, v78
	v_cndmask_b32_e64 v79, 0, v79, s[12:13]
	v_exp_f32_e32 v67, v67
	v_add_f32_e32 v91, v91, v79
	v_cndmask_b32_e64 v72, 0, v72, s[2:3]
	v_add_f32_e32 v91, v91, v72
	v_cndmask_b32_e64 v73, 0, v73, s[8:9]
	v_add_f32_e32 v91, v91, v73
	v_cndmask_b32_e32 v66, 0, v66, vcc
	v_add_f32_e32 v91, v91, v66
	v_cndmask_b32_e64 v67, 0, v67, s[0:1]
	v_add_f32_e32 v91, v91, v67
	ds_bpermute_b32 v89, v89, v91
	v_cmp_gt_u32_e32 vcc, 16, v86
	s_waitcnt lgkmcnt(0)
	s_barrier
	v_add_f32_e32 v89, v91, v89
	ds_bpermute_b32 v90, v90, v89
	s_and_saveexec_b64 s[0:1], vcc
	s_cbranch_execz .LBB182_15
; %bb.14:
	s_waitcnt lgkmcnt(0)
	v_add_f32_e32 v86, v89, v90
	v_lshlrev_b32_e32 v87, 2, v87
	ds_write2st64_b32 v87, v88, v86 offset1:1
.LBB182_15:
	s_or_b64 exec, exec, s[0:1]
	v_lshlrev_b32_e32 v87, 2, v84
	s_load_dword s2, s[4:5], 0x94
	s_waitcnt lgkmcnt(0)
	s_barrier
	ds_read2_b32 v[88:89], v87 offset1:16
	ds_read2_b32 v[90:91], v87 offset0:32 offset1:48
	ds_read2_b32 v[92:93], v87 offset0:64 offset1:80
	s_mul_i32 s3, s40, 11
	s_waitcnt lgkmcnt(2)
	v_max3_f32 v86, v88, s41, v89
	s_waitcnt lgkmcnt(1)
	v_max3_f32 v86, v86, v90, v91
	v_sub_f32_e32 v88, v88, v86
	v_mul_f32_e32 v88, 0x3fb8aa3b, v88
	v_exp_f32_e32 v94, v88
	v_sub_f32_e32 v88, v89, v86
	v_mul_f32_e32 v88, 0x3fb8aa3b, v88
	v_exp_f32_e32 v95, v88
	;; [unrolled: 3-line block ×3, first 2 shown]
	ds_read2_b32 v[88:89], v87 offset0:96 offset1:112
	v_sub_f32_e32 v87, v91, v86
	v_mul_f32_e32 v87, 0x3fb8aa3b, v87
	v_exp_f32_e32 v91, v87
	s_waitcnt lgkmcnt(1)
	v_fma_f32 v87, v94, v92, 0
	v_fmac_f32_e32 v87, v95, v93
	s_waitcnt lgkmcnt(0)
	v_fmac_f32_e32 v87, v90, v88
	v_fmac_f32_e32 v87, v91, v89
	v_add_f32_e32 v88, 0x358637bd, v87
	v_div_scale_f32 v89, s[0:1], v88, v88, 1.0
	v_rcp_f32_e32 v92, v89
	s_barrier
	v_fma_f32 v93, -v89, v92, 1.0
	v_fmac_f32_e32 v92, v93, v92
	v_div_scale_f32 v93, vcc, 1.0, v88, 1.0
	v_mul_f32_e32 v74, v93, v92
	v_fma_f32 v75, -v89, v74, v93
	v_fmac_f32_e32 v74, v75, v92
	v_fma_f32 v75, -v89, v74, v93
	v_div_fmas_f32 v74, v75, v92, v74
	v_cmp_eq_u32_e32 vcc, 1, v85
	v_cndmask_b32_e32 v75, v94, v95, vcc
	v_cmp_eq_u32_e32 vcc, 2, v85
	v_cndmask_b32_e32 v75, v75, v90, vcc
	v_cmp_eq_u32_e32 vcc, 3, v85
	v_div_fixup_f32 v74, v74, v88, 1.0
	v_cndmask_b32_e32 v75, v75, v91, vcc
	v_mul_f32_e32 v88, v75, v74
	v_pk_mul_f32 v[80:81], v[88:89], v[80:81] op_sel_hi:[0,1]
	v_cvt_f16_f32_e32 v74, v80
	v_cvt_f16_f32_e32 v75, v81
	v_pk_mul_f32 v[68:69], v[88:89], v[68:69] op_sel_hi:[0,1]
	v_cvt_f16_f32_e32 v68, v68
	v_cvt_f16_f32_e32 v69, v69
	v_pk_mul_f32 v[80:81], v[88:89], v[82:83] op_sel_hi:[0,1]
	v_pk_mul_f32 v[70:71], v[88:89], v[70:71] op_sel_hi:[0,1]
	v_pack_b32_f16 v91, v74, v75
	v_cvt_f16_f32_e32 v70, v70
	v_cvt_f16_f32_e32 v71, v71
	v_cvt_f16_f32_e32 v74, v80
	v_cvt_f16_f32_e32 v75, v81
	v_pack_b32_f16 v90, v68, v69
	v_lshlrev_b32_e32 v69, 3, v1
	v_lshlrev_b32_e32 v68, 5, v84
	;; [unrolled: 1-line block ×3, first 2 shown]
	v_or3_b32 v80, v80, v68, v69
	v_pack_b32_f16 v70, v70, v71
	v_pack_b32_f16 v71, v74, v75
	ds_write2st64_b64 v80, v[90:91], v[70:71] offset1:1
	v_pk_mul_f32 v[70:71], v[88:89], v[78:79] op_sel_hi:[0,1]
	v_pk_mul_f32 v[76:77], v[88:89], v[76:77] op_sel_hi:[0,1]
	v_cvt_f16_f32_e32 v69, v76
	v_cvt_f16_f32_e32 v75, v70
	;; [unrolled: 1-line block ×3, first 2 shown]
	v_pk_mul_f32 v[66:67], v[88:89], v[66:67] op_sel_hi:[0,1]
	v_pk_mul_f32 v[70:71], v[88:89], v[72:73] op_sel_hi:[0,1]
	v_cvt_f16_f32_e32 v74, v77
	v_cvt_f16_f32_e32 v70, v70
	;; [unrolled: 1-line block ×5, first 2 shown]
	v_pack_b32_f16 v66, v69, v74
	v_pack_b32_f16 v67, v75, v76
	;; [unrolled: 1-line block ×4, first 2 shown]
	v_cmp_gt_u32_e32 vcc, 11, v0
	ds_write2st64_b64 v80, v[66:67], v[70:71] offset0:2 offset1:3
	s_and_saveexec_b64 s[0:1], vcc
	s_cbranch_execz .LBB182_17
; %bb.16:
	v_add_co_u32_e32 v70, vcc, s27, v84
	v_addc_co_u32_e64 v71, s[12:13], 0, 0, vcc
	v_mov_b32_e32 v66, s3
	v_mov_b32_e32 v67, 0
	v_mad_u64_u32 v[70:71], s[12:13], s6, v66, v[70:71]
	v_mov_b32_e32 v66, s26
	s_load_dwordx4 s[8:11], s[4:5], 0x58
	s_mul_i32 s7, s7, s3
	v_mad_u64_u32 v[66:67], s[12:13], v70, s2, v[66:67]
	v_add_u32_e32 v69, s7, v71
	v_mov_b32_e32 v70, v67
	v_mad_u64_u32 v[70:71], s[12:13], v69, s2, v[70:71]
	v_mov_b32_e32 v67, v70
	v_lshlrev_b64 v[66:67], 2, v[66:67]
	s_waitcnt lgkmcnt(0)
	v_mov_b32_e32 v69, s11
	v_add_co_u32_e32 v70, vcc, s10, v66
	v_addc_co_u32_e32 v71, vcc, v69, v67, vcc
	v_mov_b32_e32 v69, s9
	v_add_co_u32_e32 v66, vcc, s8, v66
	v_addc_co_u32_e32 v67, vcc, v69, v67, vcc
	global_store_dword v[70:71], v86, off
	global_store_dword v[66:67], v87, off
.LBB182_17:
	s_or_b64 exec, exec, s[0:1]
	v_lshl_or_b32 v74, v1, 9, v68
	s_waitcnt lgkmcnt(0)
	s_barrier
	ds_read_b128 v[70:73], v74
	ds_read_b128 v[66:69], v74 offset:16
	s_waitcnt vmcnt(15) lgkmcnt(1)
	v_mfma_f32_16x16x16f16 v[76:79], v[46:47], v[70:71], 0
	s_mov_b32 s1, 0
	v_cmp_gt_u32_e32 vcc, 64, v0
	v_mfma_f32_16x16x16f16 v[46:49], v[48:49], v[72:73], v[76:79]
	s_waitcnt vmcnt(14) lgkmcnt(0)
	v_mfma_f32_16x16x16f16 v[46:49], v[42:43], v[66:67], v[46:49]
	v_mfma_f32_16x16x16f16 v[42:45], v[44:45], v[68:69], v[46:49]
	s_nop 7
	s_nop 1
	ds_read_b128 v[46:49], v74 offset:2048
	ds_read_b128 v[76:79], v74 offset:2064
	s_waitcnt vmcnt(13) lgkmcnt(1)
	v_mfma_f32_16x16x16f16 v[42:45], v[38:39], v[46:47], v[42:45]
	v_mfma_f32_16x16x16f16 v[38:41], v[40:41], v[48:49], v[42:45]
	s_waitcnt vmcnt(12) lgkmcnt(0)
	v_mfma_f32_16x16x16f16 v[38:41], v[34:35], v[76:77], v[38:41]
	v_mfma_f32_16x16x16f16 v[34:37], v[36:37], v[78:79], v[38:41]
	s_nop 7
	s_nop 1
	ds_read_b128 v[38:41], v74 offset:4096
	ds_read_b128 v[42:45], v74 offset:4112
	s_waitcnt vmcnt(11) lgkmcnt(1)
	v_mfma_f32_16x16x16f16 v[34:37], v[30:31], v[38:39], v[34:37]
	v_mfma_f32_16x16x16f16 v[30:33], v[32:33], v[40:41], v[34:37]
	s_waitcnt vmcnt(10) lgkmcnt(0)
	v_mfma_f32_16x16x16f16 v[30:33], v[26:27], v[42:43], v[30:33]
	v_mfma_f32_16x16x16f16 v[26:29], v[28:29], v[44:45], v[30:33]
	s_nop 7
	s_nop 1
	ds_read_b128 v[30:33], v74 offset:6144
	ds_read_b128 v[34:37], v74 offset:6160
	s_waitcnt lgkmcnt(0)
	s_barrier
	s_waitcnt vmcnt(9)
	v_mfma_f32_16x16x16f16 v[26:29], v[22:23], v[30:31], v[26:29]
	v_mfma_f32_16x16x16f16 v[22:25], v[24:25], v[32:33], v[26:29]
	s_waitcnt vmcnt(8)
	v_mfma_f32_16x16x16f16 v[22:25], v[18:19], v[34:35], v[22:25]
	v_mfma_f32_16x16x16f16 v[18:21], v[20:21], v[36:37], v[22:25]
	;; [unrolled: 3-line block ×4, first 2 shown]
	s_waitcnt vmcnt(5)
	v_mfma_f32_16x16x16f16 v[2:5], v[14:15], v[46:47], v[2:5]
	s_nop 7
	v_cvt_f16_f32_e32 v6, v18
	v_cvt_f16_f32_e32 v7, v19
	;; [unrolled: 1-line block ×4, first 2 shown]
	v_mfma_f32_16x16x16f16 v[2:5], v[16:17], v[48:49], v[2:5]
	s_waitcnt vmcnt(4)
	v_mfma_f32_16x16x16f16 v[2:5], v[10:11], v[76:77], v[2:5]
	v_mfma_f32_16x16x16f16 v[2:5], v[12:13], v[78:79], v[2:5]
	s_waitcnt vmcnt(3)
	v_mfma_f32_16x16x16f16 v[2:5], v[54:55], v[38:39], v[2:5]
	;; [unrolled: 3-line block ×5, first 2 shown]
	v_mfma_f32_16x16x16f16 v[2:5], v[60:61], v[36:37], v[2:5]
	s_nop 7
	s_nop 2
	v_cvt_f16_f32_e32 v10, v2
	v_cvt_f16_f32_e32 v11, v3
	;; [unrolled: 1-line block ×4, first 2 shown]
	v_pack_b32_f16 v2, v6, v7
	v_pack_b32_f16 v3, v8, v9
	;; [unrolled: 1-line block ×4, first 2 shown]
	ds_write2st64_b64 v80, v[2:3], v[4:5] offset1:1
	s_waitcnt lgkmcnt(0)
	s_barrier
	s_and_saveexec_b64 s[8:9], vcc
	s_cbranch_execz .LBB182_20
; %bb.18:
	v_lshlrev_b32_e32 v4, 6, v84
	v_lshlrev_b32_e32 v3, 4, v0
	v_lshl_or_b32 v0, v0, 10, v4
	buffer_load_dword v4, off, s[44:47], 0  ; 4-byte Folded Reload
	buffer_load_dword v5, off, s[44:47], 0 offset:4 ; 4-byte Folded Reload
	s_load_dwordx2 s[4:5], s[4:5], 0x68
	s_lshl_b32 s2, s2, 7
	s_mul_i32 s0, s3, s6
	s_mul_hi_u32 s7, s0, s2
	s_mul_i32 s6, s0, s2
	s_lshl_b64 s[6:7], s[6:7], 1
	s_waitcnt lgkmcnt(0)
	s_add_u32 s3, s4, s6
	s_addc_u32 s4, s5, s7
	s_lshl_b32 s0, s26, 7
	s_lshl_b64 s[0:1], s[0:1], 1
	s_add_u32 s0, s3, s0
	v_lshlrev_b32_e32 v2, 5, v1
	v_and_b32_e32 v3, 16, v3
	v_and_b32_e32 v0, 0x1a00, v0
	s_addc_u32 s1, s4, s1
	v_or3_b32 v0, v0, v2, v3
	v_mov_b32_e32 v3, s1
	v_add_u32_e32 v14, s27, v1
	s_waitcnt vmcnt(1)
	v_add_co_u32_e32 v2, vcc, s0, v4
	s_waitcnt vmcnt(0)
	v_addc_co_u32_e32 v3, vcc, v3, v5, vcc
	ds_read_b128 v[4:7], v0 offset:128
	ds_read_b128 v[8:11], v0
	v_mad_u64_u32 v[12:13], s[0:1], v14, s2, 0
	v_lshlrev_b64 v[12:13], 1, v[12:13]
	v_add_co_u32_e32 v12, vcc, v2, v12
	v_addc_co_u32_e32 v13, vcc, v3, v13, vcc
	s_waitcnt lgkmcnt(0)
	global_store_dwordx4 v[12:13], v[8:11], off
	s_nop 0
	v_add_u32_e32 v8, 4, v14
	v_mad_u64_u32 v[8:9], s[0:1], v8, s2, 0
	v_lshlrev_b64 v[8:9], 1, v[8:9]
	v_add_co_u32_e32 v8, vcc, v2, v8
	v_addc_co_u32_e32 v9, vcc, v3, v9, vcc
	v_cmp_ne_u32_e32 vcc, 3, v1
	global_store_dwordx4 v[8:9], v[4:7], off
	s_and_b64 exec, exec, vcc
	s_cbranch_execz .LBB182_20
; %bb.19:
	ds_read_b128 v[4:7], v0 offset:256
	v_add3_u32 v0, s27, v1, 8
	v_mad_u64_u32 v[0:1], s[0:1], v0, s2, 0
	v_lshlrev_b64 v[0:1], 1, v[0:1]
	v_add_co_u32_e32 v0, vcc, v2, v0
	v_addc_co_u32_e32 v1, vcc, v3, v1, vcc
	s_waitcnt lgkmcnt(0)
	global_store_dwordx4 v[0:1], v[4:7], off
.LBB182_20:
	s_endpgm
	.section	.rodata,"a",@progbits
	.p2align	6, 0x0
	.amdhsa_kernel _Z39paged_attention_ll4mi_QKV_mfma16_kernelIDF16_DF16_LN4vllm18Fp8KVCacheDataTypeE0EDF16_Li32ELi128ELi256ELb0ELi11EL8MFMAType0EEvPKT_PKT0_S8_ifPKiSA_SA_iPKfiiiPfSD_PS3_PT2_iSC_SC_
		.amdhsa_group_segment_fixed_size 8192
		.amdhsa_private_segment_fixed_size 12
		.amdhsa_kernarg_size 400
		.amdhsa_user_sgpr_count 6
		.amdhsa_user_sgpr_private_segment_buffer 1
		.amdhsa_user_sgpr_dispatch_ptr 0
		.amdhsa_user_sgpr_queue_ptr 0
		.amdhsa_user_sgpr_kernarg_segment_ptr 1
		.amdhsa_user_sgpr_dispatch_id 0
		.amdhsa_user_sgpr_flat_scratch_init 0
		.amdhsa_user_sgpr_kernarg_preload_length 0
		.amdhsa_user_sgpr_kernarg_preload_offset 0
		.amdhsa_user_sgpr_private_segment_size 0
		.amdhsa_uses_dynamic_stack 0
		.amdhsa_system_sgpr_private_segment_wavefront_offset 1
		.amdhsa_system_sgpr_workgroup_id_x 1
		.amdhsa_system_sgpr_workgroup_id_y 1
		.amdhsa_system_sgpr_workgroup_id_z 1
		.amdhsa_system_sgpr_workgroup_info 0
		.amdhsa_system_vgpr_workitem_id 0
		.amdhsa_next_free_vgpr 96
		.amdhsa_next_free_sgpr 48
		.amdhsa_accum_offset 96
		.amdhsa_reserve_vcc 1
		.amdhsa_reserve_flat_scratch 0
		.amdhsa_float_round_mode_32 0
		.amdhsa_float_round_mode_16_64 0
		.amdhsa_float_denorm_mode_32 3
		.amdhsa_float_denorm_mode_16_64 3
		.amdhsa_dx10_clamp 1
		.amdhsa_ieee_mode 1
		.amdhsa_fp16_overflow 0
		.amdhsa_tg_split 0
		.amdhsa_exception_fp_ieee_invalid_op 0
		.amdhsa_exception_fp_denorm_src 0
		.amdhsa_exception_fp_ieee_div_zero 0
		.amdhsa_exception_fp_ieee_overflow 0
		.amdhsa_exception_fp_ieee_underflow 0
		.amdhsa_exception_fp_ieee_inexact 0
		.amdhsa_exception_int_div_zero 0
	.end_amdhsa_kernel
	.section	.text._Z39paged_attention_ll4mi_QKV_mfma16_kernelIDF16_DF16_LN4vllm18Fp8KVCacheDataTypeE0EDF16_Li32ELi128ELi256ELb0ELi11EL8MFMAType0EEvPKT_PKT0_S8_ifPKiSA_SA_iPKfiiiPfSD_PS3_PT2_iSC_SC_,"axG",@progbits,_Z39paged_attention_ll4mi_QKV_mfma16_kernelIDF16_DF16_LN4vllm18Fp8KVCacheDataTypeE0EDF16_Li32ELi128ELi256ELb0ELi11EL8MFMAType0EEvPKT_PKT0_S8_ifPKiSA_SA_iPKfiiiPfSD_PS3_PT2_iSC_SC_,comdat
.Lfunc_end182:
	.size	_Z39paged_attention_ll4mi_QKV_mfma16_kernelIDF16_DF16_LN4vllm18Fp8KVCacheDataTypeE0EDF16_Li32ELi128ELi256ELb0ELi11EL8MFMAType0EEvPKT_PKT0_S8_ifPKiSA_SA_iPKfiiiPfSD_PS3_PT2_iSC_SC_, .Lfunc_end182-_Z39paged_attention_ll4mi_QKV_mfma16_kernelIDF16_DF16_LN4vllm18Fp8KVCacheDataTypeE0EDF16_Li32ELi128ELi256ELb0ELi11EL8MFMAType0EEvPKT_PKT0_S8_ifPKiSA_SA_iPKfiiiPfSD_PS3_PT2_iSC_SC_
                                        ; -- End function
	.section	.AMDGPU.csdata,"",@progbits
; Kernel info:
; codeLenInByte = 4820
; NumSgprs: 52
; NumVgprs: 96
; NumAgprs: 0
; TotalNumVgprs: 96
; ScratchSize: 12
; MemoryBound: 0
; FloatMode: 240
; IeeeMode: 1
; LDSByteSize: 8192 bytes/workgroup (compile time only)
; SGPRBlocks: 6
; VGPRBlocks: 11
; NumSGPRsForWavesPerEU: 52
; NumVGPRsForWavesPerEU: 96
; AccumOffset: 96
; Occupancy: 5
; WaveLimiterHint : 1
; COMPUTE_PGM_RSRC2:SCRATCH_EN: 1
; COMPUTE_PGM_RSRC2:USER_SGPR: 6
; COMPUTE_PGM_RSRC2:TRAP_HANDLER: 0
; COMPUTE_PGM_RSRC2:TGID_X_EN: 1
; COMPUTE_PGM_RSRC2:TGID_Y_EN: 1
; COMPUTE_PGM_RSRC2:TGID_Z_EN: 1
; COMPUTE_PGM_RSRC2:TIDIG_COMP_CNT: 0
; COMPUTE_PGM_RSRC3_GFX90A:ACCUM_OFFSET: 23
; COMPUTE_PGM_RSRC3_GFX90A:TG_SPLIT: 0
	.section	.text._Z39paged_attention_ll4mi_QKV_mfma16_kernelIDF16_DF16_LN4vllm18Fp8KVCacheDataTypeE0EDF16_Li32ELi128ELi256ELb0ELi12EL8MFMAType0EEvPKT_PKT0_S8_ifPKiSA_SA_iPKfiiiPfSD_PS3_PT2_iSC_SC_,"axG",@progbits,_Z39paged_attention_ll4mi_QKV_mfma16_kernelIDF16_DF16_LN4vllm18Fp8KVCacheDataTypeE0EDF16_Li32ELi128ELi256ELb0ELi12EL8MFMAType0EEvPKT_PKT0_S8_ifPKiSA_SA_iPKfiiiPfSD_PS3_PT2_iSC_SC_,comdat
	.protected	_Z39paged_attention_ll4mi_QKV_mfma16_kernelIDF16_DF16_LN4vllm18Fp8KVCacheDataTypeE0EDF16_Li32ELi128ELi256ELb0ELi12EL8MFMAType0EEvPKT_PKT0_S8_ifPKiSA_SA_iPKfiiiPfSD_PS3_PT2_iSC_SC_ ; -- Begin function _Z39paged_attention_ll4mi_QKV_mfma16_kernelIDF16_DF16_LN4vllm18Fp8KVCacheDataTypeE0EDF16_Li32ELi128ELi256ELb0ELi12EL8MFMAType0EEvPKT_PKT0_S8_ifPKiSA_SA_iPKfiiiPfSD_PS3_PT2_iSC_SC_
	.globl	_Z39paged_attention_ll4mi_QKV_mfma16_kernelIDF16_DF16_LN4vllm18Fp8KVCacheDataTypeE0EDF16_Li32ELi128ELi256ELb0ELi12EL8MFMAType0EEvPKT_PKT0_S8_ifPKiSA_SA_iPKfiiiPfSD_PS3_PT2_iSC_SC_
	.p2align	8
	.type	_Z39paged_attention_ll4mi_QKV_mfma16_kernelIDF16_DF16_LN4vllm18Fp8KVCacheDataTypeE0EDF16_Li32ELi128ELi256ELb0ELi12EL8MFMAType0EEvPKT_PKT0_S8_ifPKiSA_SA_iPKfiiiPfSD_PS3_PT2_iSC_SC_,@function
_Z39paged_attention_ll4mi_QKV_mfma16_kernelIDF16_DF16_LN4vllm18Fp8KVCacheDataTypeE0EDF16_Li32ELi128ELi256ELb0ELi12EL8MFMAType0EEvPKT_PKT0_S8_ifPKiSA_SA_iPKfiiiPfSD_PS3_PT2_iSC_SC_: ; @_Z39paged_attention_ll4mi_QKV_mfma16_kernelIDF16_DF16_LN4vllm18Fp8KVCacheDataTypeE0EDF16_Li32ELi128ELi256ELb0ELi12EL8MFMAType0EEvPKT_PKT0_S8_ifPKiSA_SA_iPKfiiiPfSD_PS3_PT2_iSC_SC_
; %bb.0:
	s_mov_b64 s[46:47], s[2:3]
	s_mov_b64 s[44:45], s[0:1]
	s_load_dwordx2 s[0:1], s[4:5], 0x30
	s_add_u32 s44, s44, s9
	s_addc_u32 s45, s45, 0
	s_mov_b32 s26, s7
	s_mov_b64 s[10:11], 0
	s_waitcnt lgkmcnt(0)
	s_cmp_lg_u64 s[0:1], 0
	s_cselect_b64 s[2:3], -1, 0
	s_and_b64 vcc, exec, s[2:3]
	s_cbranch_vccz .LBB183_7
; %bb.1:
	s_add_i32 s12, s6, 1
	s_mov_b32 s13, 0
	s_lshl_b64 s[14:15], s[12:13], 2
	s_add_u32 s14, s0, s14
	s_mov_b32 s7, s13
	s_addc_u32 s15, s1, s15
	s_lshl_b64 s[12:13], s[6:7], 2
	s_add_u32 s12, s0, s12
	s_addc_u32 s13, s1, s13
	s_load_dword s9, s[14:15], 0x0
	s_load_dword s16, s[12:13], 0x0
	s_waitcnt lgkmcnt(0)
	s_sub_i32 s9, s9, s16
	s_cmp_eq_u32 s9, 1
	s_cselect_b64 s[12:13], -1, 0
	s_andn2_b64 vcc, exec, s[10:11]
	s_cbranch_vccnz .LBB183_3
.LBB183_2:
	s_mov_b32 s7, 0
	s_mov_b64 s[12:13], -1
.LBB183_3:
	s_andn2_b64 vcc, exec, s[12:13]
	s_cbranch_vccnz .LBB183_19
; %bb.4:
	s_load_dwordx2 s[12:13], s[4:5], 0x28
	s_lshl_b64 s[10:11], s[6:7], 2
	s_waitcnt lgkmcnt(0)
	s_add_u32 s12, s12, s10
	s_addc_u32 s13, s13, s11
	s_load_dword s33, s[12:13], 0x0
	s_lshl_b32 s9, s26, 8
	s_waitcnt lgkmcnt(0)
	s_cmp_ge_i32 s9, s33
	s_cbranch_scc1 .LBB183_19
; %bb.5:
	s_add_i32 s15, s33, 31
	s_load_dwordx2 s[12:13], s[4:5], 0x20
	s_load_dword s14, s[4:5], 0x38
	s_ashr_i32 s16, s15, 31
	v_and_b32_e32 v1, 0xcf, v0
	s_lshr_b32 s16, s16, 27
	v_add_u32_e32 v1, s9, v1
	s_add_i32 s15, s15, s16
	v_ashrrev_i32_e32 v2, 31, v1
	s_ashr_i32 s18, s15, 5
	v_lshrrev_b32_e32 v10, 27, v2
	s_add_i32 s18, s18, -1
	v_add_u32_e32 v2, v1, v10
	s_waitcnt lgkmcnt(0)
	s_mul_i32 s14, s6, s14
	s_mov_b32 s15, 0
	v_ashrrev_i32_e32 v2, 5, v2
	v_mov_b32_e32 v11, s18
	v_cmp_gt_i32_e32 vcc, s33, v1
	s_lshl_b64 s[14:15], s[14:15], 2
	v_cndmask_b32_e32 v2, v11, v2, vcc
	s_add_u32 s16, s12, s14
	v_ashrrev_i32_e32 v3, 31, v2
	s_addc_u32 s17, s13, s15
	v_lshlrev_b64 v[2:3], 2, v[2:3]
	v_mov_b32_e32 v4, s17
	v_add_co_u32_e32 v2, vcc, s16, v2
	v_addc_co_u32_e32 v3, vcc, v4, v3, vcc
	v_or_b32_e32 v4, 16, v1
	v_add_u32_e32 v5, v4, v10
	v_ashrrev_i32_e32 v5, 5, v5
	v_cmp_gt_i32_e32 vcc, s33, v4
	v_cndmask_b32_e32 v4, v11, v5, vcc
	v_ashrrev_i32_e32 v5, 31, v4
	v_lshlrev_b64 v[4:5], 2, v[4:5]
	v_mov_b32_e32 v7, s17
	v_add_co_u32_e32 v6, vcc, s16, v4
	v_or_b32_e32 v4, 32, v1
	v_addc_co_u32_e32 v7, vcc, v7, v5, vcc
	v_add_u32_e32 v5, v4, v10
	v_ashrrev_i32_e32 v5, 5, v5
	v_cmp_gt_i32_e32 vcc, s33, v4
	v_cndmask_b32_e32 v4, v11, v5, vcc
	v_ashrrev_i32_e32 v5, 31, v4
	v_lshlrev_b64 v[4:5], 2, v[4:5]
	v_mov_b32_e32 v9, s17
	v_add_co_u32_e32 v8, vcc, s16, v4
	v_or_b32_e32 v1, 48, v1
	v_addc_co_u32_e32 v9, vcc, v9, v5, vcc
	v_add_u32_e32 v4, v1, v10
	v_ashrrev_i32_e32 v4, 5, v4
	v_cmp_gt_i32_e32 vcc, s33, v1
	v_cndmask_b32_e32 v4, v11, v4, vcc
	v_ashrrev_i32_e32 v5, 31, v4
	v_lshlrev_b64 v[4:5], 2, v[4:5]
	v_mov_b32_e32 v1, s17
	v_add_co_u32_e32 v10, vcc, s16, v4
	v_addc_co_u32_e32 v11, vcc, v1, v5, vcc
	global_load_dword v5, v[2:3], off
	global_load_dword v4, v[6:7], off
	;; [unrolled: 1-line block ×4, first 2 shown]
	s_andn2_b64 vcc, exec, s[2:3]
	s_cbranch_vccnz .LBB183_8
; %bb.6:
	s_add_u32 s0, s0, s10
	s_addc_u32 s1, s1, s11
	s_load_dword s19, s[0:1], 0x0
	s_branch .LBB183_9
.LBB183_7:
	s_mov_b64 s[12:13], 0
	s_branch .LBB183_2
.LBB183_8:
	s_mov_b32 s19, s6
.LBB183_9:
	s_load_dwordx4 s[12:15], s[4:5], 0x8
	s_load_dwordx4 s[0:3], s[4:5], 0x48
	v_and_b32_e32 v1, 15, v0
	s_waitcnt lgkmcnt(0)
	s_movk_i32 s3, 0xbf
	v_lshlrev_b32_e32 v2, 3, v1
	v_cmp_lt_u32_e32 vcc, s3, v0
	s_and_saveexec_b64 s[10:11], vcc
	s_xor_b64 s[10:11], exec, s[10:11]
; %bb.10:
	v_mov_b32_e32 v3, 0
; %bb.11:
	s_or_saveexec_b64 s[10:11], s[10:11]
	v_lshrrev_b32_e32 v75, 6, v0
	v_and_b32_e32 v86, 63, v0
	v_bfe_u32 v74, v0, 4, 2
	s_mul_i32 s27, s8, 12
	s_xor_b64 exec, exec, s[10:11]
	s_cbranch_execz .LBB183_13
; %bb.12:
	s_load_dwordx2 s[20:21], s[4:5], 0x0
	s_ashr_i32 s3, s0, 31
	s_mul_hi_u32 s22, s19, s0
	s_mul_i32 s3, s19, s3
	v_lshl_or_b32 v10, v75, 2, v74
	s_add_i32 s23, s22, s3
	s_mul_i32 s22, s19, s0
	s_lshl_b64 s[22:23], s[22:23], 1
	v_add_lshl_u32 v6, v10, s27, 7
	s_waitcnt lgkmcnt(0)
	s_add_u32 s0, s20, s22
	v_ashrrev_i32_e32 v7, 31, v6
	s_addc_u32 s3, s21, s23
	v_lshlrev_b64 v[6:7], 1, v[6:7]
	v_mov_b32_e32 v3, s3
	v_add_co_u32_e32 v6, vcc, s0, v6
	v_addc_co_u32_e32 v3, vcc, v3, v7, vcc
	v_lshlrev_b32_e32 v7, 1, v2
	v_add_co_u32_e32 v6, vcc, v6, v7
	v_addc_co_u32_e32 v7, vcc, 0, v3, vcc
	global_load_dwordx4 v[6:9], v[6:7], off
	v_and_b32_e32 v11, 3, v0
	v_lshlrev_b32_e32 v12, 9, v1
	v_lshlrev_b32_e32 v10, 5, v10
	;; [unrolled: 1-line block ×3, first 2 shown]
	v_and_b32_e32 v12, 0x1800, v12
	v_mov_b32_e32 v3, 0
	v_or3_b32 v10, v12, v11, v10
	s_waitcnt vmcnt(0)
	ds_write_b128 v10, v[6:9]
.LBB183_13:
	s_or_b64 exec, exec, s[10:11]
	s_mul_i32 s2, s8, s2
	s_mov_b32 s3, 0
	s_lshl_b64 s[2:3], s[2:3], 1
	s_add_u32 s8, s12, s2
	s_addc_u32 s10, s13, s3
	s_waitcnt vmcnt(3)
	v_mad_i64_i32 v[6:7], s[12:13], v5, s1, 0
	v_lshlrev_b64 v[6:7], 1, v[6:7]
	v_mov_b32_e32 v5, s10
	v_add_co_u32_e32 v6, vcc, s8, v6
	v_addc_co_u32_e32 v5, vcc, v5, v7, vcc
	v_lshlrev_b64 v[60:61], 1, v[2:3]
	v_add_co_u32_e32 v27, vcc, v6, v60
	v_lshlrev_b32_e32 v26, 9, v74
	v_addc_co_u32_e32 v28, vcc, v5, v61, vcc
	v_add_co_u32_e32 v2, vcc, v27, v26
	v_addc_co_u32_e32 v3, vcc, 0, v28, vcc
	s_load_dword s40, s[4:5], 0x98
	s_load_dword s0, s[4:5], 0x1c
	s_waitcnt lgkmcnt(0)
	s_barrier
	global_load_dwordx4 v[10:13], v[2:3], off
	s_waitcnt vmcnt(3)
	v_mad_i64_i32 v[4:5], s[12:13], v4, s1, 0
	v_lshlrev_b64 v[4:5], 1, v[4:5]
	v_mov_b32_e32 v6, s10
	v_add_co_u32_e32 v4, vcc, s8, v4
	v_addc_co_u32_e32 v5, vcc, v6, v5, vcc
	v_mov_b32_e32 v6, 0x100
	v_lshl_or_b32 v29, v1, 4, v6
	v_add_co_u32_e32 v30, vcc, v4, v29
	v_addc_co_u32_e32 v31, vcc, 0, v5, vcc
	v_add_co_u32_e32 v22, vcc, v30, v26
	v_addc_co_u32_e32 v23, vcc, 0, v31, vcc
	global_load_dwordx4 v[18:21], v[22:23], off
	global_load_dwordx4 v[14:17], v[2:3], off offset:2048
	v_add_u32_e32 v2, -12, v1
	v_cmp_gt_u32_e32 vcc, 12, v1
	v_cndmask_b32_e32 v2, v2, v1, vcc
	v_lshl_add_u32 v32, v2, 5, v26
	ds_read_b128 v[6:9], v32
	ds_read_b128 v[2:5], v32 offset:2048
	v_or_b32_e32 v58, 0x1000, v26
	global_load_dwordx4 v[38:41], v[22:23], off offset:2048
	v_add_co_u32_e32 v22, vcc, v27, v58
	v_addc_co_u32_e32 v23, vcc, 0, v28, vcc
	v_or_b32_e32 v62, 0x1800, v26
	s_ashr_i32 s11, s9, 31
	v_and_or_b32 v63, v0, 48, s9
	v_mov_b32_e32 v66, s18
	v_lshl_or_b32 v87, v75, 4, v1
	v_lshlrev_b32_e32 v90, 6, v87
	s_mov_b32 s41, 0xff7fffff
	v_mov_b32_e32 v85, v74
	s_waitcnt vmcnt(3) lgkmcnt(1)
	v_mfma_f32_16x16x16f16 v[34:37], v[10:11], v[6:7], 0
	s_waitcnt vmcnt(2)
	v_mfma_f32_16x16x16f16 v[42:45], v[18:19], v[6:7], 0
	v_mfma_f32_16x16x16f16 v[10:13], v[12:13], v[8:9], v[34:37]
	s_nop 7
	global_load_dwordx4 v[34:37], v[22:23], off
	v_add_co_u32_e32 v22, vcc, v30, v58
	v_addc_co_u32_e32 v23, vcc, 0, v31, vcc
	v_mfma_f32_16x16x16f16 v[18:21], v[20:21], v[8:9], v[42:45]
	global_load_dwordx4 v[46:49], v[22:23], off
	s_waitcnt vmcnt(3) lgkmcnt(0)
	v_mfma_f32_16x16x16f16 v[42:45], v[14:15], v[2:3], v[10:13]
	s_nop 6
	v_add_co_u32_e32 v10, vcc, v27, v62
	v_addc_co_u32_e32 v11, vcc, 0, v28, vcc
	global_load_dwordx4 v[54:57], v[10:11], off
	v_mad_i64_i32 v[10:11], s[12:13], v25, s1, 0
	v_add_co_u32_e32 v30, vcc, v30, v62
	v_lshlrev_b64 v[22:23], 1, v[10:11]
	v_addc_co_u32_e32 v31, vcc, 0, v31, vcc
	v_mov_b32_e32 v25, s10
	v_add_co_u32_e32 v22, vcc, s8, v22
	v_addc_co_u32_e32 v23, vcc, v25, v23, vcc
	ds_read_b128 v[10:13], v32 offset:4096
	ds_read_b128 v[50:53], v32 offset:6144
	global_load_dwordx4 v[30:33], v[30:31], off
	v_add_co_u32_e32 v27, vcc, v22, v60
	buffer_store_dword v60, off, s[44:47], 0 ; 4-byte Folded Spill
	s_nop 0
	buffer_store_dword v61, off, s[44:47], 0 offset:4 ; 4-byte Folded Spill
	s_waitcnt vmcnt(6)
	v_mfma_f32_16x16x16f16 v[18:21], v[38:39], v[2:3], v[18:21]
	v_mov_b32_e32 v28, s10
	s_lshr_b32 s10, s11, 27
	s_add_u32 s2, s14, s2
	s_addc_u32 s3, s15, s3
	v_addc_co_u32_e32 v59, vcc, v23, v61, vcc
	v_add_co_u32_e32 v22, vcc, v27, v26
	v_addc_co_u32_e32 v23, vcc, 0, v59, vcc
	v_mfma_f32_16x16x16f16 v[14:17], v[16:17], v[4:5], v[42:45]
	v_mfma_f32_16x16x16f16 v[18:21], v[40:41], v[4:5], v[18:21]
	global_load_dwordx4 v[38:41], v[22:23], off
	s_nop 4
	global_load_dwordx4 v[42:45], v[22:23], off offset:2048
	v_mad_i64_i32 v[22:23], s[12:13], v24, s1, 0
	s_waitcnt vmcnt(7) lgkmcnt(1)
	v_mfma_f32_16x16x16f16 v[14:17], v[34:35], v[10:11], v[14:17]
	v_lshlrev_b64 v[34:35], 1, v[22:23]
	v_add_co_u32_e32 v22, vcc, v27, v58
	v_addc_co_u32_e32 v23, vcc, 0, v59, vcc
	global_load_dwordx4 v[22:25], v[22:23], off
	v_add_co_u32_e32 v34, vcc, s8, v34
	s_waitcnt vmcnt(7)
	v_mfma_f32_16x16x16f16 v[18:21], v[46:47], v[10:11], v[18:21]
	v_addc_co_u32_e32 v28, vcc, v28, v35, vcc
	v_add_co_u32_e32 v64, vcc, v34, v29
	v_addc_co_u32_e32 v65, vcc, 0, v28, vcc
	v_add_co_u32_e32 v28, vcc, v27, v62
	v_mfma_f32_16x16x16f16 v[14:17], v[36:37], v[12:13], v[14:17]
	v_addc_co_u32_e32 v29, vcc, 0, v59, vcc
	v_add_co_u32_e32 v46, vcc, v64, v26
	global_load_dwordx4 v[26:29], v[28:29], off
	v_addc_co_u32_e32 v47, vcc, 0, v65, vcc
	v_mfma_f32_16x16x16f16 v[18:21], v[48:49], v[12:13], v[18:21]
	v_add_co_u32_e32 v48, vcc, v64, v58
	v_add_u32_e32 v35, s10, v63
	v_addc_co_u32_e32 v49, vcc, 0, v65, vcc
	v_ashrrev_i32_e32 v60, 5, v35
	v_cmp_gt_i32_e32 vcc, s33, v63
	s_waitcnt vmcnt(7) lgkmcnt(0)
	v_mfma_f32_16x16x16f16 v[14:17], v[54:55], v[50:51], v[14:17]
	s_waitcnt vmcnt(6)
	v_mfma_f32_16x16x16f16 v[18:21], v[30:31], v[50:51], v[18:21]
	v_mov_b32_e32 v31, s17
	v_mfma_f32_16x16x16f16 v[54:57], v[56:57], v[52:53], v[14:17]
	global_load_dwordx4 v[34:37], v[46:47], off
	s_nop 5
	global_load_dwordx4 v[14:17], v[46:47], off offset:2048
	v_cndmask_b32_e32 v46, v66, v60, vcc
	v_ashrrev_i32_e32 v47, 31, v46
	v_lshlrev_b64 v[46:47], 2, v[46:47]
	v_add_co_u32_e32 v30, vcc, s16, v46
	v_addc_co_u32_e32 v31, vcc, v31, v47, vcc
	global_load_dword v46, v[30:31], off
	v_or_b32_e32 v30, 64, v63
	v_mfma_f32_16x16x16f16 v[58:61], v[32:33], v[52:53], v[18:21]
	v_cmp_gt_i32_e32 vcc, s33, v30
	v_mov_b32_e32 v32, s17
	v_mov_b32_e32 v33, s17
	s_nop 3
	v_add_u32_e32 v18, s10, v30
	v_ashrrev_i32_e32 v18, 5, v18
	v_cndmask_b32_e32 v18, v66, v18, vcc
	v_ashrrev_i32_e32 v19, 31, v18
	v_lshlrev_b64 v[30:31], 2, v[18:19]
	v_add_co_u32_e32 v30, vcc, s16, v30
	v_addc_co_u32_e32 v31, vcc, v32, v31, vcc
	global_load_dword v32, v[30:31], off
	s_waitcnt vmcnt(7)
	v_mfma_f32_16x16x16f16 v[18:21], v[38:39], v[6:7], 0
	v_or_b32_e32 v30, 0x80, v63
	v_add_u32_e32 v31, s10, v30
	v_ashrrev_i32_e32 v31, 5, v31
	v_cmp_gt_i32_e32 vcc, s33, v30
	v_cndmask_b32_e32 v30, v66, v31, vcc
	v_ashrrev_i32_e32 v31, 31, v30
	v_lshlrev_b64 v[30:31], 2, v[30:31]
	v_mfma_f32_16x16x16f16 v[18:21], v[40:41], v[8:9], v[18:21]
	v_add_co_u32_e32 v30, vcc, s16, v30
	v_addc_co_u32_e32 v31, vcc, v33, v31, vcc
	global_load_dword v33, v[30:31], off
	v_or_b32_e32 v30, 0xc0, v63
	v_add_u32_e32 v31, s10, v30
	s_waitcnt vmcnt(7)
	v_mfma_f32_16x16x16f16 v[18:21], v[42:43], v[2:3], v[18:21]
	v_ashrrev_i32_e32 v31, 5, v31
	v_cmp_gt_i32_e32 vcc, s33, v30
	v_cndmask_b32_e32 v30, v66, v31, vcc
	global_load_dwordx4 v[66:69], v[48:49], off
	v_ashrrev_i32_e32 v31, 31, v30
	v_lshlrev_b64 v[30:31], 2, v[30:31]
	v_mov_b32_e32 v38, s17
	v_mfma_f32_16x16x16f16 v[18:21], v[44:45], v[4:5], v[18:21]
	v_add_co_u32_e32 v30, vcc, s16, v30
	v_addc_co_u32_e32 v31, vcc, v38, v31, vcc
	global_load_dword v63, v[30:31], off
	s_waitcnt vmcnt(8)
	v_mfma_f32_16x16x16f16 v[18:21], v[22:23], v[10:11], v[18:21]
	v_add_co_u32_e32 v22, vcc, v64, v62
	v_addc_co_u32_e32 v23, vcc, 0, v65, vcc
	global_load_dwordx4 v[70:73], v[22:23], off
	v_and_b32_e32 v22, 16, v0
	v_lshlrev_b32_e32 v22, 1, v22
	v_mfma_f32_16x16x16f16 v[18:21], v[24:25], v[12:13], v[18:21]
	v_mov_b32_e32 v23, s3
	v_add_co_u32_e32 v88, vcc, s2, v22
	v_addc_co_u32_e32 v89, vcc, 0, v23, vcc
	v_add_co_u32_e32 v22, vcc, v88, v90
	s_waitcnt vmcnt(8)
	v_mfma_f32_16x16x16f16 v[18:21], v[26:27], v[50:51], v[18:21]
	v_addc_co_u32_e32 v23, vcc, 0, v89, vcc
	v_mfma_f32_16x16x16f16 v[76:79], v[28:29], v[52:53], v[18:21]
	s_waitcnt vmcnt(5)
	s_nop 7
	v_mad_i64_i32 v[18:19], s[2:3], v46, s1, 0
	v_lshlrev_b64 v[80:81], 1, v[18:19]
	v_mfma_f32_16x16x16f16 v[18:21], v[34:35], v[6:7], 0
	v_add_co_u32_e32 v6, vcc, v22, v80
	v_addc_co_u32_e32 v7, vcc, v23, v81, vcc
	global_load_dwordx4 v[46:49], v[6:7], off
	global_load_dwordx4 v[42:45], v[6:7], off offset:16
	v_pk_mul_f32 v[76:77], s[0:1], v[76:77] op_sel_hi:[0,1]
	v_pk_mul_f32 v[78:79], s[0:1], v[78:79] op_sel_hi:[0,1]
	s_waitcnt vmcnt(6)
	v_mad_i64_i32 v[6:7], s[2:3], v32, s1, 0
	v_lshlrev_b64 v[82:83], 1, v[6:7]
	v_mfma_f32_16x16x16f16 v[6:9], v[36:37], v[8:9], v[18:21]
	v_mfma_f32_16x16x16f16 v[6:9], v[14:15], v[2:3], v[6:9]
	s_nop 5
	v_add_co_u32_e32 v18, vcc, v22, v82
	v_addc_co_u32_e32 v19, vcc, v23, v83, vcc
	global_load_dwordx4 v[38:41], v[18:19], off
	global_load_dwordx4 v[34:37], v[18:19], off offset:16
	s_waitcnt vmcnt(7)
	v_mad_i64_i32 v[18:19], s[2:3], v33, s1, 0
	v_lshlrev_b64 v[64:65], 1, v[18:19]
	v_add_co_u32_e32 v2, vcc, v22, v64
	v_addc_co_u32_e32 v3, vcc, v23, v65, vcc
	global_load_dwordx4 v[30:33], v[2:3], off
	global_load_dwordx4 v[26:29], v[2:3], off offset:16
	v_mfma_f32_16x16x16f16 v[2:5], v[16:17], v[4:5], v[6:9]
	s_waitcnt vmcnt(8)
	v_mfma_f32_16x16x16f16 v[2:5], v[66:67], v[10:11], v[2:5]
	s_waitcnt vmcnt(7)
	s_nop 3
	v_mad_i64_i32 v[6:7], s[2:3], v63, s1, 0
	v_lshlrev_b64 v[62:63], 1, v[6:7]
	v_add_co_u32_e32 v6, vcc, v22, v62
	v_addc_co_u32_e32 v7, vcc, v23, v63, vcc
	v_mfma_f32_16x16x16f16 v[10:13], v[68:69], v[12:13], v[2:5]
	global_load_dwordx4 v[22:25], v[6:7], off
	global_load_dwordx4 v[18:21], v[6:7], off offset:16
	v_or_b32_e32 v6, 0x1000, v90
	v_add_co_u32_e32 v92, vcc, v88, v6
	v_addc_co_u32_e32 v93, vcc, 0, v89, vcc
	s_nop 1
	v_add_co_u32_e32 v2, vcc, v92, v80
	s_waitcnt vmcnt(8)
	v_mfma_f32_16x16x16f16 v[88:91], v[70:71], v[50:51], v[10:13]
	v_addc_co_u32_e32 v3, vcc, v93, v81, vcc
	v_add_co_u32_e32 v66, vcc, v92, v82
	v_addc_co_u32_e32 v67, vcc, v93, v83, vcc
	global_load_dwordx4 v[6:9], v[2:3], off
	s_nop 0
	global_load_dwordx4 v[2:5], v[2:3], off offset:16
	v_mfma_f32_16x16x16f16 v[50:53], v[72:73], v[52:53], v[88:91]
	global_load_dwordx4 v[14:17], v[66:67], off
	global_load_dwordx4 v[10:13], v[66:67], off offset:16
	v_pk_mul_f32 v[68:69], s[0:1], v[54:55] op_sel_hi:[0,1]
	v_pk_mul_f32 v[80:81], s[0:1], v[56:57] op_sel_hi:[0,1]
	;; [unrolled: 1-line block ×4, first 2 shown]
	s_nop 4
	v_pk_mul_f32 v[72:73], s[0:1], v[50:51] op_sel_hi:[0,1]
	v_and_b32_e32 v50, 0xc0, v0
	v_add_u32_e32 v50, s9, v50
	v_lshl_or_b32 v50, v74, 2, v50
	v_pk_mul_f32 v[66:67], s[0:1], v[52:53] op_sel_hi:[0,1]
	v_or_b32_e32 v53, 1, v50
	v_mov_b32_e32 v51, 0xff7fffff
	v_cmp_gt_i32_e64 s[28:29], s33, v50
	v_cmp_gt_i32_e64 s[30:31], s33, v53
	v_cndmask_b32_e64 v52, v51, v68, s[28:29]
	v_cndmask_b32_e64 v53, v51, v69, s[30:31]
	v_max3_f32 v52, v52, s41, v53
	v_or_b32_e32 v53, 2, v50
	v_or_b32_e32 v54, 3, v50
	v_cmp_gt_i32_e64 s[34:35], s33, v53
	v_cmp_gt_i32_e64 s[36:37], s33, v54
	v_cndmask_b32_e64 v53, v51, v80, s[34:35]
	v_cndmask_b32_e64 v54, v51, v81, s[36:37]
	v_max3_f32 v52, v52, v53, v54
	v_or_b32_e32 v53, 16, v50
	v_or_b32_e32 v54, 17, v50
	;; [unrolled: 7-line block ×7, first 2 shown]
	v_cmp_gt_i32_e32 vcc, s33, v53
	v_cmp_gt_i32_e64 s[0:1], s33, v50
	v_cndmask_b32_e32 v53, v51, v66, vcc
	v_cndmask_b32_e64 v50, v51, v67, s[0:1]
	v_max3_f32 v58, v52, v53, v50
	v_mbcnt_lo_u32_b32 v50, -1, 0
	v_mbcnt_hi_u32_b32 v59, -1, v50
	v_and_b32_e32 v50, 64, v59
	v_add_u32_e32 v60, 64, v50
	v_xor_b32_e32 v50, 32, v59
	v_cmp_lt_i32_e64 s[38:39], v50, v60
	v_cndmask_b32_e64 v50, v59, v50, s[38:39]
	v_lshlrev_b32_e32 v89, 2, v50
	ds_bpermute_b32 v61, v89, v58
	v_add_co_u32_e64 v50, s[38:39], v92, v64
	v_addc_co_u32_e64 v51, s[38:39], v93, v65, s[38:39]
	s_waitcnt lgkmcnt(0)
	v_max_f32_e32 v61, v61, v61
	v_max_f32_e32 v61, v58, v61
	v_xor_b32_e32 v58, 16, v59
	v_cmp_lt_i32_e64 s[38:39], v58, v60
	v_cndmask_b32_e64 v58, v59, v58, s[38:39]
	v_lshlrev_b32_e32 v90, 2, v58
	ds_bpermute_b32 v60, v90, v61
	v_add_co_u32_e64 v58, s[38:39], v92, v62
	v_addc_co_u32_e64 v59, s[38:39], v93, v63, s[38:39]
	s_waitcnt lgkmcnt(0)
	v_max_f32_e32 v60, v60, v60
	v_max_f32_e32 v88, v61, v60
	v_sub_f32_e32 v60, v68, v88
	v_mul_f32_e32 v60, 0x3fb8aa3b, v60
	v_exp_f32_e32 v68, v60
	v_sub_f32_e32 v60, v69, v88
	v_mul_f32_e32 v60, 0x3fb8aa3b, v60
	global_load_dwordx4 v[54:57], v[50:51], off
	s_nop 0
	global_load_dwordx4 v[50:53], v[50:51], off offset:16
	v_exp_f32_e32 v69, v60
	global_load_dwordx4 v[62:65], v[58:59], off
	s_nop 0
	global_load_dwordx4 v[58:61], v[58:59], off offset:16
	v_sub_f32_e32 v80, v80, v88
	v_mul_f32_e32 v80, 0x3fb8aa3b, v80
	v_sub_f32_e32 v81, v81, v88
	v_exp_f32_e32 v80, v80
	v_mul_f32_e32 v81, 0x3fb8aa3b, v81
	v_sub_f32_e32 v70, v70, v88
	v_exp_f32_e32 v81, v81
	v_mul_f32_e32 v70, 0x3fb8aa3b, v70
	v_sub_f32_e32 v71, v71, v88
	v_cndmask_b32_e64 v68, 0, v68, s[28:29]
	v_exp_f32_e32 v70, v70
	v_mul_f32_e32 v71, 0x3fb8aa3b, v71
	v_sub_f32_e32 v82, v82, v88
	v_add_f32_e32 v91, 0, v68
	v_cndmask_b32_e64 v69, 0, v69, s[30:31]
	v_exp_f32_e32 v71, v71
	v_mul_f32_e32 v82, 0x3fb8aa3b, v82
	v_sub_f32_e32 v83, v83, v88
	v_add_f32_e32 v91, v91, v69
	;; [unrolled: 5-line block ×10, first 2 shown]
	v_cndmask_b32_e64 v78, 0, v78, s[10:11]
	v_exp_f32_e32 v66, v66
	v_mul_f32_e32 v67, 0x3fb8aa3b, v67
	v_add_f32_e32 v91, v91, v78
	v_cndmask_b32_e64 v79, 0, v79, s[12:13]
	v_exp_f32_e32 v67, v67
	v_add_f32_e32 v91, v91, v79
	v_cndmask_b32_e64 v72, 0, v72, s[2:3]
	v_add_f32_e32 v91, v91, v72
	v_cndmask_b32_e64 v73, 0, v73, s[8:9]
	v_add_f32_e32 v91, v91, v73
	v_cndmask_b32_e32 v66, 0, v66, vcc
	v_add_f32_e32 v91, v91, v66
	v_cndmask_b32_e64 v67, 0, v67, s[0:1]
	v_add_f32_e32 v91, v91, v67
	ds_bpermute_b32 v89, v89, v91
	v_cmp_gt_u32_e32 vcc, 16, v86
	s_waitcnt lgkmcnt(0)
	s_barrier
	v_add_f32_e32 v89, v91, v89
	ds_bpermute_b32 v90, v90, v89
	s_and_saveexec_b64 s[0:1], vcc
	s_cbranch_execz .LBB183_15
; %bb.14:
	s_waitcnt lgkmcnt(0)
	v_add_f32_e32 v86, v89, v90
	v_lshlrev_b32_e32 v87, 2, v87
	ds_write2st64_b32 v87, v88, v86 offset1:1
.LBB183_15:
	s_or_b64 exec, exec, s[0:1]
	v_lshlrev_b32_e32 v87, 2, v1
	s_load_dword s2, s[4:5], 0x94
	s_waitcnt lgkmcnt(0)
	s_barrier
	ds_read2_b32 v[88:89], v87 offset1:16
	ds_read2_b32 v[90:91], v87 offset0:32 offset1:48
	ds_read2_b32 v[92:93], v87 offset0:64 offset1:80
	s_mul_i32 s3, s40, 12
	s_waitcnt lgkmcnt(2)
	v_max3_f32 v86, v88, s41, v89
	s_waitcnt lgkmcnt(1)
	v_max3_f32 v86, v86, v90, v91
	v_sub_f32_e32 v88, v88, v86
	v_mul_f32_e32 v88, 0x3fb8aa3b, v88
	v_exp_f32_e32 v94, v88
	v_sub_f32_e32 v88, v89, v86
	v_mul_f32_e32 v88, 0x3fb8aa3b, v88
	v_exp_f32_e32 v95, v88
	;; [unrolled: 3-line block ×3, first 2 shown]
	ds_read2_b32 v[88:89], v87 offset0:96 offset1:112
	v_sub_f32_e32 v87, v91, v86
	v_mul_f32_e32 v87, 0x3fb8aa3b, v87
	v_exp_f32_e32 v91, v87
	s_waitcnt lgkmcnt(1)
	v_fma_f32 v87, v94, v92, 0
	v_fmac_f32_e32 v87, v95, v93
	s_waitcnt lgkmcnt(0)
	v_fmac_f32_e32 v87, v90, v88
	v_fmac_f32_e32 v87, v91, v89
	v_add_f32_e32 v88, 0x358637bd, v87
	v_div_scale_f32 v89, s[0:1], v88, v88, 1.0
	v_rcp_f32_e32 v92, v89
	s_barrier
	v_fma_f32 v93, -v89, v92, 1.0
	v_fmac_f32_e32 v92, v93, v92
	v_div_scale_f32 v93, vcc, 1.0, v88, 1.0
	v_mul_f32_e32 v84, v93, v92
	v_fma_f32 v74, -v89, v84, v93
	v_fmac_f32_e32 v84, v74, v92
	v_fma_f32 v74, -v89, v84, v93
	v_div_fmas_f32 v74, v74, v92, v84
	v_cmp_eq_u32_e32 vcc, 1, v75
	v_mov_b32_e32 v89, v75
	v_cndmask_b32_e32 v75, v94, v95, vcc
	v_cmp_eq_u32_e32 vcc, 2, v89
	v_cndmask_b32_e32 v75, v75, v90, vcc
	v_cmp_eq_u32_e32 vcc, 3, v89
	v_div_fixup_f32 v74, v74, v88, 1.0
	v_cndmask_b32_e32 v75, v75, v91, vcc
	v_mul_f32_e32 v88, v75, v74
	v_pk_mul_f32 v[80:81], v[88:89], v[80:81] op_sel_hi:[0,1]
	v_cvt_f16_f32_e32 v74, v80
	v_cvt_f16_f32_e32 v75, v81
	v_pk_mul_f32 v[68:69], v[88:89], v[68:69] op_sel_hi:[0,1]
	v_cvt_f16_f32_e32 v68, v68
	v_cvt_f16_f32_e32 v69, v69
	v_pk_mul_f32 v[80:81], v[88:89], v[82:83] op_sel_hi:[0,1]
	v_pk_mul_f32 v[70:71], v[88:89], v[70:71] op_sel_hi:[0,1]
	v_pack_b32_f16 v91, v74, v75
	v_cvt_f16_f32_e32 v70, v70
	v_cvt_f16_f32_e32 v71, v71
	;; [unrolled: 1-line block ×4, first 2 shown]
	v_pack_b32_f16 v90, v68, v69
	v_lshlrev_b32_e32 v69, 3, v85
	v_lshlrev_b32_e32 v68, 5, v1
	;; [unrolled: 1-line block ×3, first 2 shown]
	v_or3_b32 v80, v80, v68, v69
	v_pack_b32_f16 v70, v70, v71
	v_pack_b32_f16 v71, v74, v75
	ds_write2st64_b64 v80, v[90:91], v[70:71] offset1:1
	v_pk_mul_f32 v[70:71], v[88:89], v[78:79] op_sel_hi:[0,1]
	v_pk_mul_f32 v[76:77], v[88:89], v[76:77] op_sel_hi:[0,1]
	v_cvt_f16_f32_e32 v69, v76
	v_cvt_f16_f32_e32 v75, v70
	;; [unrolled: 1-line block ×3, first 2 shown]
	v_pk_mul_f32 v[66:67], v[88:89], v[66:67] op_sel_hi:[0,1]
	v_pk_mul_f32 v[70:71], v[88:89], v[72:73] op_sel_hi:[0,1]
	v_cvt_f16_f32_e32 v74, v77
	v_cvt_f16_f32_e32 v70, v70
	;; [unrolled: 1-line block ×5, first 2 shown]
	v_pack_b32_f16 v66, v69, v74
	v_pack_b32_f16 v67, v75, v76
	;; [unrolled: 1-line block ×4, first 2 shown]
	v_cmp_gt_u32_e32 vcc, 12, v0
	ds_write2st64_b64 v80, v[66:67], v[70:71] offset0:2 offset1:3
	s_and_saveexec_b64 s[0:1], vcc
	s_cbranch_execz .LBB183_17
; %bb.16:
	v_add_co_u32_e32 v70, vcc, s27, v1
	v_addc_co_u32_e64 v71, s[12:13], 0, 0, vcc
	v_mov_b32_e32 v66, s3
	v_mov_b32_e32 v67, 0
	v_mad_u64_u32 v[70:71], s[12:13], s6, v66, v[70:71]
	v_mov_b32_e32 v66, s26
	s_load_dwordx4 s[8:11], s[4:5], 0x58
	s_mul_i32 s7, s7, s3
	v_mad_u64_u32 v[66:67], s[12:13], v70, s2, v[66:67]
	v_add_u32_e32 v69, s7, v71
	v_mov_b32_e32 v70, v67
	v_mad_u64_u32 v[70:71], s[12:13], v69, s2, v[70:71]
	v_mov_b32_e32 v67, v70
	v_lshlrev_b64 v[66:67], 2, v[66:67]
	s_waitcnt lgkmcnt(0)
	v_mov_b32_e32 v69, s11
	v_add_co_u32_e32 v70, vcc, s10, v66
	v_addc_co_u32_e32 v71, vcc, v69, v67, vcc
	v_mov_b32_e32 v69, s9
	v_add_co_u32_e32 v66, vcc, s8, v66
	v_addc_co_u32_e32 v67, vcc, v69, v67, vcc
	global_store_dword v[70:71], v86, off
	global_store_dword v[66:67], v87, off
.LBB183_17:
	s_or_b64 exec, exec, s[0:1]
	v_lshl_or_b32 v74, v85, 9, v68
	s_waitcnt lgkmcnt(0)
	s_barrier
	ds_read_b128 v[70:73], v74
	ds_read_b128 v[66:69], v74 offset:16
	s_waitcnt vmcnt(15) lgkmcnt(1)
	v_mfma_f32_16x16x16f16 v[76:79], v[46:47], v[70:71], 0
	s_mov_b32 s1, 0
	v_cmp_gt_u32_e32 vcc, 64, v0
	v_mfma_f32_16x16x16f16 v[46:49], v[48:49], v[72:73], v[76:79]
	s_waitcnt vmcnt(14) lgkmcnt(0)
	v_mfma_f32_16x16x16f16 v[46:49], v[42:43], v[66:67], v[46:49]
	v_mfma_f32_16x16x16f16 v[42:45], v[44:45], v[68:69], v[46:49]
	s_nop 7
	s_nop 1
	ds_read_b128 v[46:49], v74 offset:2048
	ds_read_b128 v[76:79], v74 offset:2064
	s_waitcnt vmcnt(13) lgkmcnt(1)
	v_mfma_f32_16x16x16f16 v[42:45], v[38:39], v[46:47], v[42:45]
	v_mfma_f32_16x16x16f16 v[38:41], v[40:41], v[48:49], v[42:45]
	s_waitcnt vmcnt(12) lgkmcnt(0)
	v_mfma_f32_16x16x16f16 v[38:41], v[34:35], v[76:77], v[38:41]
	v_mfma_f32_16x16x16f16 v[34:37], v[36:37], v[78:79], v[38:41]
	s_nop 7
	s_nop 1
	ds_read_b128 v[38:41], v74 offset:4096
	ds_read_b128 v[42:45], v74 offset:4112
	s_waitcnt vmcnt(11) lgkmcnt(1)
	v_mfma_f32_16x16x16f16 v[34:37], v[30:31], v[38:39], v[34:37]
	v_mfma_f32_16x16x16f16 v[30:33], v[32:33], v[40:41], v[34:37]
	s_waitcnt vmcnt(10) lgkmcnt(0)
	v_mfma_f32_16x16x16f16 v[30:33], v[26:27], v[42:43], v[30:33]
	v_mfma_f32_16x16x16f16 v[26:29], v[28:29], v[44:45], v[30:33]
	s_nop 7
	s_nop 1
	ds_read_b128 v[30:33], v74 offset:6144
	ds_read_b128 v[34:37], v74 offset:6160
	s_waitcnt lgkmcnt(0)
	s_barrier
	s_waitcnt vmcnt(9)
	v_mfma_f32_16x16x16f16 v[26:29], v[22:23], v[30:31], v[26:29]
	v_mfma_f32_16x16x16f16 v[22:25], v[24:25], v[32:33], v[26:29]
	s_waitcnt vmcnt(8)
	v_mfma_f32_16x16x16f16 v[22:25], v[18:19], v[34:35], v[22:25]
	v_mfma_f32_16x16x16f16 v[18:21], v[20:21], v[36:37], v[22:25]
	;; [unrolled: 3-line block ×4, first 2 shown]
	s_waitcnt vmcnt(5)
	v_mfma_f32_16x16x16f16 v[2:5], v[14:15], v[46:47], v[2:5]
	s_nop 7
	v_cvt_f16_f32_e32 v6, v18
	v_cvt_f16_f32_e32 v7, v19
	;; [unrolled: 1-line block ×4, first 2 shown]
	v_mfma_f32_16x16x16f16 v[2:5], v[16:17], v[48:49], v[2:5]
	s_waitcnt vmcnt(4)
	v_mfma_f32_16x16x16f16 v[2:5], v[10:11], v[76:77], v[2:5]
	v_mfma_f32_16x16x16f16 v[2:5], v[12:13], v[78:79], v[2:5]
	s_waitcnt vmcnt(3)
	v_mfma_f32_16x16x16f16 v[2:5], v[54:55], v[38:39], v[2:5]
	v_mfma_f32_16x16x16f16 v[2:5], v[56:57], v[40:41], v[2:5]
	s_waitcnt vmcnt(2)
	v_mfma_f32_16x16x16f16 v[2:5], v[50:51], v[42:43], v[2:5]
	v_mfma_f32_16x16x16f16 v[2:5], v[52:53], v[44:45], v[2:5]
	s_waitcnt vmcnt(1)
	v_mfma_f32_16x16x16f16 v[2:5], v[62:63], v[30:31], v[2:5]
	v_mfma_f32_16x16x16f16 v[2:5], v[64:65], v[32:33], v[2:5]
	s_waitcnt vmcnt(0)
	v_mfma_f32_16x16x16f16 v[2:5], v[58:59], v[34:35], v[2:5]
	v_mfma_f32_16x16x16f16 v[2:5], v[60:61], v[36:37], v[2:5]
	s_nop 7
	s_nop 2
	v_cvt_f16_f32_e32 v10, v2
	v_cvt_f16_f32_e32 v11, v3
	;; [unrolled: 1-line block ×4, first 2 shown]
	v_pack_b32_f16 v2, v6, v7
	v_pack_b32_f16 v3, v8, v9
	;; [unrolled: 1-line block ×4, first 2 shown]
	ds_write2st64_b64 v80, v[2:3], v[4:5] offset1:1
	s_waitcnt lgkmcnt(0)
	s_barrier
	s_and_saveexec_b64 s[8:9], vcc
	s_cbranch_execz .LBB183_19
; %bb.18:
	v_lshlrev_b32_e32 v1, 6, v1
	v_lshlrev_b32_e32 v3, 4, v0
	v_lshl_or_b32 v0, v0, 10, v1
	v_lshlrev_b32_e32 v2, 5, v85
	v_and_b32_e32 v3, 16, v3
	v_and_b32_e32 v0, 0x1a00, v0
	v_or3_b32 v8, v0, v2, v3
	ds_read_b128 v[0:3], v8
	ds_read_b128 v[4:7], v8 offset:128
	ds_read_b128 v[8:11], v8 offset:256
	buffer_load_dword v16, off, s[44:47], 0 ; 4-byte Folded Reload
	buffer_load_dword v17, off, s[44:47], 0 offset:4 ; 4-byte Folded Reload
	s_load_dwordx2 s[4:5], s[4:5], 0x68
	s_lshl_b32 s7, s2, 7
	s_mul_i32 s0, s3, s6
	s_mul_hi_u32 s3, s0, s7
	s_mul_i32 s2, s0, s7
	s_lshl_b64 s[2:3], s[2:3], 1
	s_waitcnt lgkmcnt(0)
	s_add_u32 s2, s4, s2
	s_addc_u32 s3, s5, s3
	s_lshl_b32 s0, s26, 7
	s_lshl_b64 s[0:1], s[0:1], 1
	s_add_u32 s0, s2, s0
	s_addc_u32 s1, s3, s1
	v_or_b32_e32 v14, s27, v85
	v_mov_b32_e32 v12, s1
	s_waitcnt vmcnt(1)
	v_add_co_u32_e32 v15, vcc, s0, v16
	s_waitcnt vmcnt(0)
	v_addc_co_u32_e32 v16, vcc, v12, v17, vcc
	v_mad_u64_u32 v[12:13], s[0:1], v14, s7, 0
	v_lshlrev_b64 v[12:13], 1, v[12:13]
	v_add_co_u32_e32 v12, vcc, v15, v12
	v_addc_co_u32_e32 v13, vcc, v16, v13, vcc
	global_store_dwordx4 v[12:13], v[0:3], off
	s_nop 0
	v_add_u32_e32 v0, 4, v14
	v_mad_u64_u32 v[0:1], s[0:1], v0, s7, 0
	v_lshlrev_b64 v[0:1], 1, v[0:1]
	v_add_co_u32_e32 v0, vcc, v15, v0
	v_addc_co_u32_e32 v1, vcc, v16, v1, vcc
	global_store_dwordx4 v[0:1], v[4:7], off
	v_add_u32_e32 v0, 8, v14
	v_mad_u64_u32 v[0:1], s[0:1], v0, s7, 0
	v_lshlrev_b64 v[0:1], 1, v[0:1]
	v_add_co_u32_e32 v0, vcc, v15, v0
	v_addc_co_u32_e32 v1, vcc, v16, v1, vcc
	global_store_dwordx4 v[0:1], v[8:11], off
.LBB183_19:
	s_endpgm
	.section	.rodata,"a",@progbits
	.p2align	6, 0x0
	.amdhsa_kernel _Z39paged_attention_ll4mi_QKV_mfma16_kernelIDF16_DF16_LN4vllm18Fp8KVCacheDataTypeE0EDF16_Li32ELi128ELi256ELb0ELi12EL8MFMAType0EEvPKT_PKT0_S8_ifPKiSA_SA_iPKfiiiPfSD_PS3_PT2_iSC_SC_
		.amdhsa_group_segment_fixed_size 8192
		.amdhsa_private_segment_fixed_size 12
		.amdhsa_kernarg_size 400
		.amdhsa_user_sgpr_count 6
		.amdhsa_user_sgpr_private_segment_buffer 1
		.amdhsa_user_sgpr_dispatch_ptr 0
		.amdhsa_user_sgpr_queue_ptr 0
		.amdhsa_user_sgpr_kernarg_segment_ptr 1
		.amdhsa_user_sgpr_dispatch_id 0
		.amdhsa_user_sgpr_flat_scratch_init 0
		.amdhsa_user_sgpr_kernarg_preload_length 0
		.amdhsa_user_sgpr_kernarg_preload_offset 0
		.amdhsa_user_sgpr_private_segment_size 0
		.amdhsa_uses_dynamic_stack 0
		.amdhsa_system_sgpr_private_segment_wavefront_offset 1
		.amdhsa_system_sgpr_workgroup_id_x 1
		.amdhsa_system_sgpr_workgroup_id_y 1
		.amdhsa_system_sgpr_workgroup_id_z 1
		.amdhsa_system_sgpr_workgroup_info 0
		.amdhsa_system_vgpr_workitem_id 0
		.amdhsa_next_free_vgpr 96
		.amdhsa_next_free_sgpr 48
		.amdhsa_accum_offset 96
		.amdhsa_reserve_vcc 1
		.amdhsa_reserve_flat_scratch 0
		.amdhsa_float_round_mode_32 0
		.amdhsa_float_round_mode_16_64 0
		.amdhsa_float_denorm_mode_32 3
		.amdhsa_float_denorm_mode_16_64 3
		.amdhsa_dx10_clamp 1
		.amdhsa_ieee_mode 1
		.amdhsa_fp16_overflow 0
		.amdhsa_tg_split 0
		.amdhsa_exception_fp_ieee_invalid_op 0
		.amdhsa_exception_fp_denorm_src 0
		.amdhsa_exception_fp_ieee_div_zero 0
		.amdhsa_exception_fp_ieee_overflow 0
		.amdhsa_exception_fp_ieee_underflow 0
		.amdhsa_exception_fp_ieee_inexact 0
		.amdhsa_exception_int_div_zero 0
	.end_amdhsa_kernel
	.section	.text._Z39paged_attention_ll4mi_QKV_mfma16_kernelIDF16_DF16_LN4vllm18Fp8KVCacheDataTypeE0EDF16_Li32ELi128ELi256ELb0ELi12EL8MFMAType0EEvPKT_PKT0_S8_ifPKiSA_SA_iPKfiiiPfSD_PS3_PT2_iSC_SC_,"axG",@progbits,_Z39paged_attention_ll4mi_QKV_mfma16_kernelIDF16_DF16_LN4vllm18Fp8KVCacheDataTypeE0EDF16_Li32ELi128ELi256ELb0ELi12EL8MFMAType0EEvPKT_PKT0_S8_ifPKiSA_SA_iPKfiiiPfSD_PS3_PT2_iSC_SC_,comdat
.Lfunc_end183:
	.size	_Z39paged_attention_ll4mi_QKV_mfma16_kernelIDF16_DF16_LN4vllm18Fp8KVCacheDataTypeE0EDF16_Li32ELi128ELi256ELb0ELi12EL8MFMAType0EEvPKT_PKT0_S8_ifPKiSA_SA_iPKfiiiPfSD_PS3_PT2_iSC_SC_, .Lfunc_end183-_Z39paged_attention_ll4mi_QKV_mfma16_kernelIDF16_DF16_LN4vllm18Fp8KVCacheDataTypeE0EDF16_Li32ELi128ELi256ELb0ELi12EL8MFMAType0EEvPKT_PKT0_S8_ifPKiSA_SA_iPKfiiiPfSD_PS3_PT2_iSC_SC_
                                        ; -- End function
	.section	.AMDGPU.csdata,"",@progbits
; Kernel info:
; codeLenInByte = 4808
; NumSgprs: 52
; NumVgprs: 96
; NumAgprs: 0
; TotalNumVgprs: 96
; ScratchSize: 12
; MemoryBound: 0
; FloatMode: 240
; IeeeMode: 1
; LDSByteSize: 8192 bytes/workgroup (compile time only)
; SGPRBlocks: 6
; VGPRBlocks: 11
; NumSGPRsForWavesPerEU: 52
; NumVGPRsForWavesPerEU: 96
; AccumOffset: 96
; Occupancy: 5
; WaveLimiterHint : 1
; COMPUTE_PGM_RSRC2:SCRATCH_EN: 1
; COMPUTE_PGM_RSRC2:USER_SGPR: 6
; COMPUTE_PGM_RSRC2:TRAP_HANDLER: 0
; COMPUTE_PGM_RSRC2:TGID_X_EN: 1
; COMPUTE_PGM_RSRC2:TGID_Y_EN: 1
; COMPUTE_PGM_RSRC2:TGID_Z_EN: 1
; COMPUTE_PGM_RSRC2:TIDIG_COMP_CNT: 0
; COMPUTE_PGM_RSRC3_GFX90A:ACCUM_OFFSET: 23
; COMPUTE_PGM_RSRC3_GFX90A:TG_SPLIT: 0
	.section	.text._Z39paged_attention_ll4mi_QKV_mfma16_kernelIDF16_DF16_LN4vllm18Fp8KVCacheDataTypeE0EDF16_Li32ELi128ELi256ELb0ELi13EL8MFMAType0EEvPKT_PKT0_S8_ifPKiSA_SA_iPKfiiiPfSD_PS3_PT2_iSC_SC_,"axG",@progbits,_Z39paged_attention_ll4mi_QKV_mfma16_kernelIDF16_DF16_LN4vllm18Fp8KVCacheDataTypeE0EDF16_Li32ELi128ELi256ELb0ELi13EL8MFMAType0EEvPKT_PKT0_S8_ifPKiSA_SA_iPKfiiiPfSD_PS3_PT2_iSC_SC_,comdat
	.protected	_Z39paged_attention_ll4mi_QKV_mfma16_kernelIDF16_DF16_LN4vllm18Fp8KVCacheDataTypeE0EDF16_Li32ELi128ELi256ELb0ELi13EL8MFMAType0EEvPKT_PKT0_S8_ifPKiSA_SA_iPKfiiiPfSD_PS3_PT2_iSC_SC_ ; -- Begin function _Z39paged_attention_ll4mi_QKV_mfma16_kernelIDF16_DF16_LN4vllm18Fp8KVCacheDataTypeE0EDF16_Li32ELi128ELi256ELb0ELi13EL8MFMAType0EEvPKT_PKT0_S8_ifPKiSA_SA_iPKfiiiPfSD_PS3_PT2_iSC_SC_
	.globl	_Z39paged_attention_ll4mi_QKV_mfma16_kernelIDF16_DF16_LN4vllm18Fp8KVCacheDataTypeE0EDF16_Li32ELi128ELi256ELb0ELi13EL8MFMAType0EEvPKT_PKT0_S8_ifPKiSA_SA_iPKfiiiPfSD_PS3_PT2_iSC_SC_
	.p2align	8
	.type	_Z39paged_attention_ll4mi_QKV_mfma16_kernelIDF16_DF16_LN4vllm18Fp8KVCacheDataTypeE0EDF16_Li32ELi128ELi256ELb0ELi13EL8MFMAType0EEvPKT_PKT0_S8_ifPKiSA_SA_iPKfiiiPfSD_PS3_PT2_iSC_SC_,@function
_Z39paged_attention_ll4mi_QKV_mfma16_kernelIDF16_DF16_LN4vllm18Fp8KVCacheDataTypeE0EDF16_Li32ELi128ELi256ELb0ELi13EL8MFMAType0EEvPKT_PKT0_S8_ifPKiSA_SA_iPKfiiiPfSD_PS3_PT2_iSC_SC_: ; @_Z39paged_attention_ll4mi_QKV_mfma16_kernelIDF16_DF16_LN4vllm18Fp8KVCacheDataTypeE0EDF16_Li32ELi128ELi256ELb0ELi13EL8MFMAType0EEvPKT_PKT0_S8_ifPKiSA_SA_iPKfiiiPfSD_PS3_PT2_iSC_SC_
; %bb.0:
	s_mov_b64 s[46:47], s[2:3]
	s_mov_b64 s[44:45], s[0:1]
	s_load_dwordx2 s[0:1], s[4:5], 0x30
	s_add_u32 s44, s44, s9
	s_addc_u32 s45, s45, 0
	s_mov_b32 s26, s7
	s_mov_b64 s[10:11], 0
	s_waitcnt lgkmcnt(0)
	s_cmp_lg_u64 s[0:1], 0
	s_cselect_b64 s[2:3], -1, 0
	s_and_b64 vcc, exec, s[2:3]
	s_cbranch_vccz .LBB184_7
; %bb.1:
	s_add_i32 s12, s6, 1
	s_mov_b32 s13, 0
	s_lshl_b64 s[14:15], s[12:13], 2
	s_add_u32 s14, s0, s14
	s_mov_b32 s7, s13
	s_addc_u32 s15, s1, s15
	s_lshl_b64 s[12:13], s[6:7], 2
	s_add_u32 s12, s0, s12
	s_addc_u32 s13, s1, s13
	s_load_dword s9, s[14:15], 0x0
	s_load_dword s16, s[12:13], 0x0
	s_waitcnt lgkmcnt(0)
	s_sub_i32 s9, s9, s16
	s_cmp_eq_u32 s9, 1
	s_cselect_b64 s[12:13], -1, 0
	s_andn2_b64 vcc, exec, s[10:11]
	s_cbranch_vccnz .LBB184_3
.LBB184_2:
	s_mov_b32 s7, 0
	s_mov_b64 s[12:13], -1
.LBB184_3:
	s_andn2_b64 vcc, exec, s[12:13]
	s_cbranch_vccnz .LBB184_20
; %bb.4:
	s_load_dwordx2 s[12:13], s[4:5], 0x28
	s_lshl_b64 s[10:11], s[6:7], 2
	s_waitcnt lgkmcnt(0)
	s_add_u32 s12, s12, s10
	s_addc_u32 s13, s13, s11
	s_load_dword s33, s[12:13], 0x0
	s_lshl_b32 s9, s26, 8
	s_waitcnt lgkmcnt(0)
	s_cmp_ge_i32 s9, s33
	s_cbranch_scc1 .LBB184_20
; %bb.5:
	s_add_i32 s15, s33, 31
	s_load_dwordx2 s[12:13], s[4:5], 0x20
	s_load_dword s14, s[4:5], 0x38
	s_ashr_i32 s16, s15, 31
	v_and_b32_e32 v1, 0xcf, v0
	s_lshr_b32 s16, s16, 27
	v_add_u32_e32 v1, s9, v1
	s_add_i32 s15, s15, s16
	v_ashrrev_i32_e32 v2, 31, v1
	s_ashr_i32 s18, s15, 5
	v_lshrrev_b32_e32 v10, 27, v2
	s_add_i32 s18, s18, -1
	v_add_u32_e32 v2, v1, v10
	s_waitcnt lgkmcnt(0)
	s_mul_i32 s14, s6, s14
	s_mov_b32 s15, 0
	v_ashrrev_i32_e32 v2, 5, v2
	v_mov_b32_e32 v11, s18
	v_cmp_gt_i32_e32 vcc, s33, v1
	s_lshl_b64 s[14:15], s[14:15], 2
	v_cndmask_b32_e32 v2, v11, v2, vcc
	s_add_u32 s16, s12, s14
	v_ashrrev_i32_e32 v3, 31, v2
	s_addc_u32 s17, s13, s15
	v_lshlrev_b64 v[2:3], 2, v[2:3]
	v_mov_b32_e32 v4, s17
	v_add_co_u32_e32 v2, vcc, s16, v2
	v_addc_co_u32_e32 v3, vcc, v4, v3, vcc
	v_or_b32_e32 v4, 16, v1
	v_add_u32_e32 v5, v4, v10
	v_ashrrev_i32_e32 v5, 5, v5
	v_cmp_gt_i32_e32 vcc, s33, v4
	v_cndmask_b32_e32 v4, v11, v5, vcc
	v_ashrrev_i32_e32 v5, 31, v4
	v_lshlrev_b64 v[4:5], 2, v[4:5]
	v_mov_b32_e32 v7, s17
	v_add_co_u32_e32 v6, vcc, s16, v4
	v_or_b32_e32 v4, 32, v1
	v_addc_co_u32_e32 v7, vcc, v7, v5, vcc
	v_add_u32_e32 v5, v4, v10
	v_ashrrev_i32_e32 v5, 5, v5
	v_cmp_gt_i32_e32 vcc, s33, v4
	v_cndmask_b32_e32 v4, v11, v5, vcc
	v_ashrrev_i32_e32 v5, 31, v4
	v_lshlrev_b64 v[4:5], 2, v[4:5]
	v_mov_b32_e32 v9, s17
	v_add_co_u32_e32 v8, vcc, s16, v4
	v_or_b32_e32 v1, 48, v1
	v_addc_co_u32_e32 v9, vcc, v9, v5, vcc
	v_add_u32_e32 v4, v1, v10
	v_ashrrev_i32_e32 v4, 5, v4
	v_cmp_gt_i32_e32 vcc, s33, v1
	v_cndmask_b32_e32 v4, v11, v4, vcc
	v_ashrrev_i32_e32 v5, 31, v4
	v_lshlrev_b64 v[4:5], 2, v[4:5]
	v_mov_b32_e32 v1, s17
	v_add_co_u32_e32 v10, vcc, s16, v4
	v_addc_co_u32_e32 v11, vcc, v1, v5, vcc
	global_load_dword v5, v[2:3], off
	global_load_dword v4, v[6:7], off
	;; [unrolled: 1-line block ×4, first 2 shown]
	s_andn2_b64 vcc, exec, s[2:3]
	s_cbranch_vccnz .LBB184_8
; %bb.6:
	s_add_u32 s0, s0, s10
	s_addc_u32 s1, s1, s11
	s_load_dword s19, s[0:1], 0x0
	s_branch .LBB184_9
.LBB184_7:
	s_mov_b64 s[12:13], 0
	s_branch .LBB184_2
.LBB184_8:
	s_mov_b32 s19, s6
.LBB184_9:
	s_load_dwordx4 s[12:15], s[4:5], 0x8
	s_load_dwordx4 s[0:3], s[4:5], 0x48
	v_lshrrev_b32_e32 v85, 6, v0
	v_bfe_u32 v1, v0, 4, 2
	v_lshl_or_b32 v6, v85, 2, v1
	v_and_b32_e32 v84, 15, v0
	v_lshlrev_b32_e32 v2, 3, v84
	v_cmp_lt_u32_e32 vcc, 12, v6
	s_and_saveexec_b64 s[10:11], vcc
	s_xor_b64 s[10:11], exec, s[10:11]
; %bb.10:
	v_mov_b32_e32 v3, 0
                                        ; implicit-def: $vgpr6
; %bb.11:
	s_or_saveexec_b64 s[10:11], s[10:11]
	v_and_b32_e32 v86, 63, v0
	s_mul_i32 s27, s8, 13
	s_xor_b64 exec, exec, s[10:11]
	s_cbranch_execz .LBB184_13
; %bb.12:
	s_load_dwordx2 s[20:21], s[4:5], 0x0
	s_waitcnt lgkmcnt(0)
	s_ashr_i32 s3, s0, 31
	s_mul_hi_u32 s22, s19, s0
	s_mul_i32 s3, s19, s3
	s_add_i32 s23, s22, s3
	s_mul_i32 s22, s19, s0
	s_lshl_b64 s[22:23], s[22:23], 1
	v_add_lshl_u32 v8, v6, s27, 7
	s_add_u32 s0, s20, s22
	v_ashrrev_i32_e32 v9, 31, v8
	s_addc_u32 s3, s21, s23
	v_lshlrev_b64 v[8:9], 1, v[8:9]
	v_mov_b32_e32 v3, s3
	v_add_co_u32_e32 v7, vcc, s0, v8
	v_addc_co_u32_e32 v3, vcc, v3, v9, vcc
	v_lshlrev_b32_e32 v8, 1, v2
	v_add_co_u32_e32 v8, vcc, v7, v8
	v_addc_co_u32_e32 v9, vcc, 0, v3, vcc
	global_load_dwordx4 v[8:11], v[8:9], off
	v_and_b32_e32 v7, 3, v0
	v_lshlrev_b32_e32 v12, 9, v84
	v_lshlrev_b32_e32 v6, 5, v6
	;; [unrolled: 1-line block ×3, first 2 shown]
	v_and_b32_e32 v12, 0x1800, v12
	v_mov_b32_e32 v3, 0
	v_or3_b32 v6, v12, v7, v6
	s_waitcnt vmcnt(0)
	ds_write_b128 v6, v[8:11]
.LBB184_13:
	s_or_b64 exec, exec, s[10:11]
	s_waitcnt lgkmcnt(0)
	s_mul_i32 s2, s8, s2
	s_mov_b32 s3, 0
	s_lshl_b64 s[2:3], s[2:3], 1
	s_add_u32 s8, s12, s2
	s_addc_u32 s10, s13, s3
	s_waitcnt vmcnt(3)
	v_mad_i64_i32 v[6:7], s[12:13], v5, s1, 0
	v_lshlrev_b64 v[6:7], 1, v[6:7]
	v_mov_b32_e32 v5, s10
	v_add_co_u32_e32 v6, vcc, s8, v6
	v_addc_co_u32_e32 v5, vcc, v5, v7, vcc
	v_lshlrev_b64 v[60:61], 1, v[2:3]
	v_add_co_u32_e32 v27, vcc, v6, v60
	v_lshlrev_b32_e32 v26, 9, v1
	v_addc_co_u32_e32 v28, vcc, v5, v61, vcc
	v_add_co_u32_e32 v2, vcc, v27, v26
	v_addc_co_u32_e32 v3, vcc, 0, v28, vcc
	s_load_dword s40, s[4:5], 0x98
	s_load_dword s0, s[4:5], 0x1c
	s_waitcnt lgkmcnt(0)
	s_barrier
	global_load_dwordx4 v[10:13], v[2:3], off
	s_waitcnt vmcnt(3)
	v_mad_i64_i32 v[4:5], s[12:13], v4, s1, 0
	v_lshlrev_b64 v[4:5], 1, v[4:5]
	v_mov_b32_e32 v6, s10
	v_add_co_u32_e32 v4, vcc, s8, v4
	v_addc_co_u32_e32 v5, vcc, v6, v5, vcc
	v_mov_b32_e32 v6, 0x100
	v_lshl_or_b32 v29, v84, 4, v6
	v_add_co_u32_e32 v30, vcc, v4, v29
	v_addc_co_u32_e32 v31, vcc, 0, v5, vcc
	v_add_co_u32_e32 v22, vcc, v30, v26
	v_addc_co_u32_e32 v23, vcc, 0, v31, vcc
	global_load_dwordx4 v[18:21], v[22:23], off
	global_load_dwordx4 v[14:17], v[2:3], off offset:2048
	v_add_u32_e32 v2, -13, v84
	v_cmp_gt_u32_e32 vcc, 13, v84
	v_cndmask_b32_e32 v2, v2, v84, vcc
	v_lshl_add_u32 v32, v2, 5, v26
	ds_read_b128 v[6:9], v32
	ds_read_b128 v[2:5], v32 offset:2048
	v_or_b32_e32 v58, 0x1000, v26
	global_load_dwordx4 v[38:41], v[22:23], off offset:2048
	v_add_co_u32_e32 v22, vcc, v27, v58
	v_addc_co_u32_e32 v23, vcc, 0, v28, vcc
	v_or_b32_e32 v62, 0x1800, v26
	s_ashr_i32 s11, s9, 31
	v_and_or_b32 v63, v0, 48, s9
	v_mov_b32_e32 v66, s18
	v_lshl_or_b32 v87, v85, 4, v84
	v_lshlrev_b32_e32 v90, 6, v87
	s_mov_b32 s41, 0xff7fffff
	s_waitcnt vmcnt(3) lgkmcnt(1)
	v_mfma_f32_16x16x16f16 v[34:37], v[10:11], v[6:7], 0
	s_waitcnt vmcnt(2)
	v_mfma_f32_16x16x16f16 v[42:45], v[18:19], v[6:7], 0
	v_mfma_f32_16x16x16f16 v[10:13], v[12:13], v[8:9], v[34:37]
	s_nop 7
	global_load_dwordx4 v[34:37], v[22:23], off
	v_add_co_u32_e32 v22, vcc, v30, v58
	v_addc_co_u32_e32 v23, vcc, 0, v31, vcc
	v_mfma_f32_16x16x16f16 v[18:21], v[20:21], v[8:9], v[42:45]
	global_load_dwordx4 v[46:49], v[22:23], off
	s_waitcnt vmcnt(3) lgkmcnt(0)
	v_mfma_f32_16x16x16f16 v[42:45], v[14:15], v[2:3], v[10:13]
	s_nop 6
	v_add_co_u32_e32 v10, vcc, v27, v62
	v_addc_co_u32_e32 v11, vcc, 0, v28, vcc
	global_load_dwordx4 v[54:57], v[10:11], off
	v_mad_i64_i32 v[10:11], s[12:13], v25, s1, 0
	v_add_co_u32_e32 v30, vcc, v30, v62
	v_lshlrev_b64 v[22:23], 1, v[10:11]
	v_addc_co_u32_e32 v31, vcc, 0, v31, vcc
	v_mov_b32_e32 v25, s10
	v_add_co_u32_e32 v22, vcc, s8, v22
	v_addc_co_u32_e32 v23, vcc, v25, v23, vcc
	ds_read_b128 v[10:13], v32 offset:4096
	ds_read_b128 v[50:53], v32 offset:6144
	global_load_dwordx4 v[30:33], v[30:31], off
	v_add_co_u32_e32 v27, vcc, v22, v60
	buffer_store_dword v60, off, s[44:47], 0 ; 4-byte Folded Spill
	s_nop 0
	buffer_store_dword v61, off, s[44:47], 0 offset:4 ; 4-byte Folded Spill
	s_waitcnt vmcnt(6)
	v_mfma_f32_16x16x16f16 v[18:21], v[38:39], v[2:3], v[18:21]
	v_mov_b32_e32 v28, s10
	s_lshr_b32 s10, s11, 27
	s_add_u32 s2, s14, s2
	s_addc_u32 s3, s15, s3
	v_addc_co_u32_e32 v59, vcc, v23, v61, vcc
	v_add_co_u32_e32 v22, vcc, v27, v26
	v_addc_co_u32_e32 v23, vcc, 0, v59, vcc
	v_mfma_f32_16x16x16f16 v[14:17], v[16:17], v[4:5], v[42:45]
	v_mfma_f32_16x16x16f16 v[18:21], v[40:41], v[4:5], v[18:21]
	global_load_dwordx4 v[38:41], v[22:23], off
	s_nop 4
	global_load_dwordx4 v[42:45], v[22:23], off offset:2048
	v_mad_i64_i32 v[22:23], s[12:13], v24, s1, 0
	s_waitcnt vmcnt(7) lgkmcnt(1)
	v_mfma_f32_16x16x16f16 v[14:17], v[34:35], v[10:11], v[14:17]
	v_lshlrev_b64 v[34:35], 1, v[22:23]
	v_add_co_u32_e32 v22, vcc, v27, v58
	v_addc_co_u32_e32 v23, vcc, 0, v59, vcc
	global_load_dwordx4 v[22:25], v[22:23], off
	v_add_co_u32_e32 v34, vcc, s8, v34
	s_waitcnt vmcnt(7)
	v_mfma_f32_16x16x16f16 v[18:21], v[46:47], v[10:11], v[18:21]
	v_addc_co_u32_e32 v28, vcc, v28, v35, vcc
	v_add_co_u32_e32 v64, vcc, v34, v29
	v_addc_co_u32_e32 v65, vcc, 0, v28, vcc
	v_add_co_u32_e32 v28, vcc, v27, v62
	v_mfma_f32_16x16x16f16 v[14:17], v[36:37], v[12:13], v[14:17]
	v_addc_co_u32_e32 v29, vcc, 0, v59, vcc
	v_add_co_u32_e32 v46, vcc, v64, v26
	global_load_dwordx4 v[26:29], v[28:29], off
	v_addc_co_u32_e32 v47, vcc, 0, v65, vcc
	v_mfma_f32_16x16x16f16 v[18:21], v[48:49], v[12:13], v[18:21]
	v_add_co_u32_e32 v48, vcc, v64, v58
	v_add_u32_e32 v35, s10, v63
	v_addc_co_u32_e32 v49, vcc, 0, v65, vcc
	v_ashrrev_i32_e32 v60, 5, v35
	v_cmp_gt_i32_e32 vcc, s33, v63
	s_waitcnt vmcnt(7) lgkmcnt(0)
	v_mfma_f32_16x16x16f16 v[14:17], v[54:55], v[50:51], v[14:17]
	s_waitcnt vmcnt(6)
	v_mfma_f32_16x16x16f16 v[18:21], v[30:31], v[50:51], v[18:21]
	v_mov_b32_e32 v31, s17
	v_mfma_f32_16x16x16f16 v[54:57], v[56:57], v[52:53], v[14:17]
	global_load_dwordx4 v[34:37], v[46:47], off
	s_nop 5
	global_load_dwordx4 v[14:17], v[46:47], off offset:2048
	v_cndmask_b32_e32 v46, v66, v60, vcc
	v_ashrrev_i32_e32 v47, 31, v46
	v_lshlrev_b64 v[46:47], 2, v[46:47]
	v_add_co_u32_e32 v30, vcc, s16, v46
	v_addc_co_u32_e32 v31, vcc, v31, v47, vcc
	global_load_dword v46, v[30:31], off
	v_or_b32_e32 v30, 64, v63
	v_mfma_f32_16x16x16f16 v[58:61], v[32:33], v[52:53], v[18:21]
	v_cmp_gt_i32_e32 vcc, s33, v30
	v_mov_b32_e32 v32, s17
	v_mov_b32_e32 v33, s17
	s_nop 3
	v_add_u32_e32 v18, s10, v30
	v_ashrrev_i32_e32 v18, 5, v18
	v_cndmask_b32_e32 v18, v66, v18, vcc
	v_ashrrev_i32_e32 v19, 31, v18
	v_lshlrev_b64 v[30:31], 2, v[18:19]
	v_add_co_u32_e32 v30, vcc, s16, v30
	v_addc_co_u32_e32 v31, vcc, v32, v31, vcc
	global_load_dword v32, v[30:31], off
	s_waitcnt vmcnt(7)
	v_mfma_f32_16x16x16f16 v[18:21], v[38:39], v[6:7], 0
	v_or_b32_e32 v30, 0x80, v63
	v_add_u32_e32 v31, s10, v30
	v_ashrrev_i32_e32 v31, 5, v31
	v_cmp_gt_i32_e32 vcc, s33, v30
	v_cndmask_b32_e32 v30, v66, v31, vcc
	v_ashrrev_i32_e32 v31, 31, v30
	v_lshlrev_b64 v[30:31], 2, v[30:31]
	v_mfma_f32_16x16x16f16 v[18:21], v[40:41], v[8:9], v[18:21]
	v_add_co_u32_e32 v30, vcc, s16, v30
	v_addc_co_u32_e32 v31, vcc, v33, v31, vcc
	global_load_dword v33, v[30:31], off
	v_or_b32_e32 v30, 0xc0, v63
	v_add_u32_e32 v31, s10, v30
	s_waitcnt vmcnt(7)
	v_mfma_f32_16x16x16f16 v[18:21], v[42:43], v[2:3], v[18:21]
	v_ashrrev_i32_e32 v31, 5, v31
	v_cmp_gt_i32_e32 vcc, s33, v30
	v_cndmask_b32_e32 v30, v66, v31, vcc
	global_load_dwordx4 v[66:69], v[48:49], off
	v_ashrrev_i32_e32 v31, 31, v30
	v_lshlrev_b64 v[30:31], 2, v[30:31]
	v_mov_b32_e32 v38, s17
	v_mfma_f32_16x16x16f16 v[18:21], v[44:45], v[4:5], v[18:21]
	v_add_co_u32_e32 v30, vcc, s16, v30
	v_addc_co_u32_e32 v31, vcc, v38, v31, vcc
	global_load_dword v63, v[30:31], off
	s_waitcnt vmcnt(8)
	v_mfma_f32_16x16x16f16 v[18:21], v[22:23], v[10:11], v[18:21]
	v_add_co_u32_e32 v22, vcc, v64, v62
	v_addc_co_u32_e32 v23, vcc, 0, v65, vcc
	global_load_dwordx4 v[70:73], v[22:23], off
	v_and_b32_e32 v22, 16, v0
	v_lshlrev_b32_e32 v22, 1, v22
	v_mfma_f32_16x16x16f16 v[18:21], v[24:25], v[12:13], v[18:21]
	v_mov_b32_e32 v23, s3
	v_add_co_u32_e32 v88, vcc, s2, v22
	v_addc_co_u32_e32 v89, vcc, 0, v23, vcc
	v_add_co_u32_e32 v22, vcc, v88, v90
	s_waitcnt vmcnt(8)
	v_mfma_f32_16x16x16f16 v[18:21], v[26:27], v[50:51], v[18:21]
	v_addc_co_u32_e32 v23, vcc, 0, v89, vcc
	v_mfma_f32_16x16x16f16 v[76:79], v[28:29], v[52:53], v[18:21]
	s_waitcnt vmcnt(5)
	s_nop 7
	v_mad_i64_i32 v[18:19], s[2:3], v46, s1, 0
	v_lshlrev_b64 v[80:81], 1, v[18:19]
	v_mfma_f32_16x16x16f16 v[18:21], v[34:35], v[6:7], 0
	v_add_co_u32_e32 v6, vcc, v22, v80
	v_addc_co_u32_e32 v7, vcc, v23, v81, vcc
	global_load_dwordx4 v[46:49], v[6:7], off
	global_load_dwordx4 v[42:45], v[6:7], off offset:16
	v_pk_mul_f32 v[76:77], s[0:1], v[76:77] op_sel_hi:[0,1]
	v_pk_mul_f32 v[78:79], s[0:1], v[78:79] op_sel_hi:[0,1]
	s_waitcnt vmcnt(6)
	v_mad_i64_i32 v[6:7], s[2:3], v32, s1, 0
	v_lshlrev_b64 v[82:83], 1, v[6:7]
	v_mfma_f32_16x16x16f16 v[6:9], v[36:37], v[8:9], v[18:21]
	v_mfma_f32_16x16x16f16 v[6:9], v[14:15], v[2:3], v[6:9]
	s_nop 5
	v_add_co_u32_e32 v18, vcc, v22, v82
	v_addc_co_u32_e32 v19, vcc, v23, v83, vcc
	global_load_dwordx4 v[38:41], v[18:19], off
	global_load_dwordx4 v[34:37], v[18:19], off offset:16
	s_waitcnt vmcnt(7)
	v_mad_i64_i32 v[18:19], s[2:3], v33, s1, 0
	v_lshlrev_b64 v[64:65], 1, v[18:19]
	v_add_co_u32_e32 v2, vcc, v22, v64
	v_addc_co_u32_e32 v3, vcc, v23, v65, vcc
	global_load_dwordx4 v[30:33], v[2:3], off
	global_load_dwordx4 v[26:29], v[2:3], off offset:16
	v_mfma_f32_16x16x16f16 v[2:5], v[16:17], v[4:5], v[6:9]
	s_waitcnt vmcnt(8)
	v_mfma_f32_16x16x16f16 v[2:5], v[66:67], v[10:11], v[2:5]
	s_waitcnt vmcnt(7)
	s_nop 3
	v_mad_i64_i32 v[6:7], s[2:3], v63, s1, 0
	v_lshlrev_b64 v[62:63], 1, v[6:7]
	v_add_co_u32_e32 v6, vcc, v22, v62
	v_addc_co_u32_e32 v7, vcc, v23, v63, vcc
	v_mfma_f32_16x16x16f16 v[10:13], v[68:69], v[12:13], v[2:5]
	global_load_dwordx4 v[22:25], v[6:7], off
	global_load_dwordx4 v[18:21], v[6:7], off offset:16
	v_or_b32_e32 v6, 0x1000, v90
	v_add_co_u32_e32 v92, vcc, v88, v6
	v_addc_co_u32_e32 v93, vcc, 0, v89, vcc
	s_nop 1
	v_add_co_u32_e32 v2, vcc, v92, v80
	s_waitcnt vmcnt(8)
	v_mfma_f32_16x16x16f16 v[88:91], v[70:71], v[50:51], v[10:13]
	v_addc_co_u32_e32 v3, vcc, v93, v81, vcc
	v_add_co_u32_e32 v66, vcc, v92, v82
	v_addc_co_u32_e32 v67, vcc, v93, v83, vcc
	global_load_dwordx4 v[6:9], v[2:3], off
	s_nop 0
	global_load_dwordx4 v[2:5], v[2:3], off offset:16
	v_mfma_f32_16x16x16f16 v[50:53], v[72:73], v[52:53], v[88:91]
	global_load_dwordx4 v[14:17], v[66:67], off
	global_load_dwordx4 v[10:13], v[66:67], off offset:16
	v_pk_mul_f32 v[68:69], s[0:1], v[54:55] op_sel_hi:[0,1]
	v_pk_mul_f32 v[80:81], s[0:1], v[56:57] op_sel_hi:[0,1]
	;; [unrolled: 1-line block ×4, first 2 shown]
	s_nop 4
	v_pk_mul_f32 v[72:73], s[0:1], v[50:51] op_sel_hi:[0,1]
	v_and_b32_e32 v50, 0xc0, v0
	v_add_u32_e32 v50, s9, v50
	v_lshl_or_b32 v50, v1, 2, v50
	v_pk_mul_f32 v[66:67], s[0:1], v[52:53] op_sel_hi:[0,1]
	v_or_b32_e32 v53, 1, v50
	v_mov_b32_e32 v51, 0xff7fffff
	v_cmp_gt_i32_e64 s[28:29], s33, v50
	v_cmp_gt_i32_e64 s[30:31], s33, v53
	v_cndmask_b32_e64 v52, v51, v68, s[28:29]
	v_cndmask_b32_e64 v53, v51, v69, s[30:31]
	v_max3_f32 v52, v52, s41, v53
	v_or_b32_e32 v53, 2, v50
	v_or_b32_e32 v54, 3, v50
	v_cmp_gt_i32_e64 s[34:35], s33, v53
	v_cmp_gt_i32_e64 s[36:37], s33, v54
	v_cndmask_b32_e64 v53, v51, v80, s[34:35]
	v_cndmask_b32_e64 v54, v51, v81, s[36:37]
	v_max3_f32 v52, v52, v53, v54
	v_or_b32_e32 v53, 16, v50
	v_or_b32_e32 v54, 17, v50
	v_cmp_gt_i32_e64 s[22:23], s33, v53
	v_cmp_gt_i32_e64 s[24:25], s33, v54
	v_cndmask_b32_e64 v53, v51, v70, s[22:23]
	v_cndmask_b32_e64 v54, v51, v71, s[24:25]
	v_max3_f32 v52, v52, v53, v54
	v_or_b32_e32 v53, 18, v50
	v_or_b32_e32 v54, 19, v50
	v_cmp_gt_i32_e64 s[18:19], s33, v53
	v_cmp_gt_i32_e64 s[20:21], s33, v54
	v_cndmask_b32_e64 v53, v51, v82, s[18:19]
	v_cndmask_b32_e64 v54, v51, v83, s[20:21]
	v_max3_f32 v52, v52, v53, v54
	v_or_b32_e32 v53, 32, v50
	v_or_b32_e32 v54, 33, v50
	v_cmp_gt_i32_e64 s[14:15], s33, v53
	v_cmp_gt_i32_e64 s[16:17], s33, v54
	v_cndmask_b32_e64 v53, v51, v76, s[14:15]
	v_cndmask_b32_e64 v54, v51, v77, s[16:17]
	v_max3_f32 v52, v52, v53, v54
	v_or_b32_e32 v53, 34, v50
	v_or_b32_e32 v54, 35, v50
	v_cmp_gt_i32_e64 s[10:11], s33, v53
	v_cmp_gt_i32_e64 s[12:13], s33, v54
	v_cndmask_b32_e64 v53, v51, v78, s[10:11]
	v_cndmask_b32_e64 v54, v51, v79, s[12:13]
	v_max3_f32 v52, v52, v53, v54
	v_or_b32_e32 v53, 48, v50
	v_or_b32_e32 v54, 49, v50
	v_cmp_gt_i32_e64 s[2:3], s33, v53
	v_cmp_gt_i32_e64 s[8:9], s33, v54
	v_cndmask_b32_e64 v53, v51, v72, s[2:3]
	v_cndmask_b32_e64 v54, v51, v73, s[8:9]
	v_max3_f32 v52, v52, v53, v54
	v_or_b32_e32 v53, 50, v50
	v_or_b32_e32 v50, 51, v50
	v_cmp_gt_i32_e32 vcc, s33, v53
	v_cmp_gt_i32_e64 s[0:1], s33, v50
	v_cndmask_b32_e32 v53, v51, v66, vcc
	v_cndmask_b32_e64 v50, v51, v67, s[0:1]
	v_max3_f32 v58, v52, v53, v50
	v_mbcnt_lo_u32_b32 v50, -1, 0
	v_mbcnt_hi_u32_b32 v59, -1, v50
	v_and_b32_e32 v50, 64, v59
	v_add_u32_e32 v60, 64, v50
	v_xor_b32_e32 v50, 32, v59
	v_cmp_lt_i32_e64 s[38:39], v50, v60
	v_cndmask_b32_e64 v50, v59, v50, s[38:39]
	v_lshlrev_b32_e32 v89, 2, v50
	ds_bpermute_b32 v61, v89, v58
	v_add_co_u32_e64 v50, s[38:39], v92, v64
	v_addc_co_u32_e64 v51, s[38:39], v93, v65, s[38:39]
	s_waitcnt lgkmcnt(0)
	v_max_f32_e32 v61, v61, v61
	v_max_f32_e32 v61, v58, v61
	v_xor_b32_e32 v58, 16, v59
	v_cmp_lt_i32_e64 s[38:39], v58, v60
	v_cndmask_b32_e64 v58, v59, v58, s[38:39]
	v_lshlrev_b32_e32 v90, 2, v58
	ds_bpermute_b32 v60, v90, v61
	v_add_co_u32_e64 v58, s[38:39], v92, v62
	v_addc_co_u32_e64 v59, s[38:39], v93, v63, s[38:39]
	s_waitcnt lgkmcnt(0)
	v_max_f32_e32 v60, v60, v60
	v_max_f32_e32 v88, v61, v60
	v_sub_f32_e32 v60, v68, v88
	v_mul_f32_e32 v60, 0x3fb8aa3b, v60
	v_exp_f32_e32 v68, v60
	v_sub_f32_e32 v60, v69, v88
	v_mul_f32_e32 v60, 0x3fb8aa3b, v60
	global_load_dwordx4 v[54:57], v[50:51], off
	s_nop 0
	global_load_dwordx4 v[50:53], v[50:51], off offset:16
	v_exp_f32_e32 v69, v60
	global_load_dwordx4 v[62:65], v[58:59], off
	s_nop 0
	global_load_dwordx4 v[58:61], v[58:59], off offset:16
	v_sub_f32_e32 v80, v80, v88
	v_mul_f32_e32 v80, 0x3fb8aa3b, v80
	v_sub_f32_e32 v81, v81, v88
	v_exp_f32_e32 v80, v80
	v_mul_f32_e32 v81, 0x3fb8aa3b, v81
	v_sub_f32_e32 v70, v70, v88
	v_exp_f32_e32 v81, v81
	v_mul_f32_e32 v70, 0x3fb8aa3b, v70
	v_sub_f32_e32 v71, v71, v88
	v_cndmask_b32_e64 v68, 0, v68, s[28:29]
	v_exp_f32_e32 v70, v70
	v_mul_f32_e32 v71, 0x3fb8aa3b, v71
	v_sub_f32_e32 v82, v82, v88
	v_add_f32_e32 v91, 0, v68
	v_cndmask_b32_e64 v69, 0, v69, s[30:31]
	v_exp_f32_e32 v71, v71
	v_mul_f32_e32 v82, 0x3fb8aa3b, v82
	v_sub_f32_e32 v83, v83, v88
	v_add_f32_e32 v91, v91, v69
	;; [unrolled: 5-line block ×10, first 2 shown]
	v_cndmask_b32_e64 v78, 0, v78, s[10:11]
	v_exp_f32_e32 v66, v66
	v_mul_f32_e32 v67, 0x3fb8aa3b, v67
	v_add_f32_e32 v91, v91, v78
	v_cndmask_b32_e64 v79, 0, v79, s[12:13]
	v_exp_f32_e32 v67, v67
	v_add_f32_e32 v91, v91, v79
	v_cndmask_b32_e64 v72, 0, v72, s[2:3]
	v_add_f32_e32 v91, v91, v72
	v_cndmask_b32_e64 v73, 0, v73, s[8:9]
	v_add_f32_e32 v91, v91, v73
	v_cndmask_b32_e32 v66, 0, v66, vcc
	v_add_f32_e32 v91, v91, v66
	v_cndmask_b32_e64 v67, 0, v67, s[0:1]
	v_add_f32_e32 v91, v91, v67
	ds_bpermute_b32 v89, v89, v91
	v_cmp_gt_u32_e64 s[0:1], 16, v86
	s_waitcnt lgkmcnt(0)
	s_barrier
	v_add_f32_e32 v89, v91, v89
	ds_bpermute_b32 v90, v90, v89
	s_and_saveexec_b64 s[2:3], s[0:1]
	s_cbranch_execz .LBB184_15
; %bb.14:
	s_waitcnt lgkmcnt(0)
	v_add_f32_e32 v86, v89, v90
	v_lshlrev_b32_e32 v87, 2, v87
	ds_write2st64_b32 v87, v88, v86 offset1:1
.LBB184_15:
	s_or_b64 exec, exec, s[2:3]
	v_lshlrev_b32_e32 v87, 2, v84
	s_load_dword s8, s[4:5], 0x94
	s_waitcnt lgkmcnt(0)
	s_barrier
	ds_read2_b32 v[88:89], v87 offset1:16
	ds_read2_b32 v[90:91], v87 offset0:32 offset1:48
	ds_read2_b32 v[92:93], v87 offset0:64 offset1:80
	s_mul_i32 s9, s40, 13
	s_waitcnt lgkmcnt(2)
	v_max3_f32 v86, v88, s41, v89
	s_waitcnt lgkmcnt(1)
	v_max3_f32 v86, v86, v90, v91
	v_sub_f32_e32 v88, v88, v86
	v_mul_f32_e32 v88, 0x3fb8aa3b, v88
	v_exp_f32_e32 v94, v88
	v_sub_f32_e32 v88, v89, v86
	v_mul_f32_e32 v88, 0x3fb8aa3b, v88
	v_exp_f32_e32 v95, v88
	;; [unrolled: 3-line block ×3, first 2 shown]
	ds_read2_b32 v[88:89], v87 offset0:96 offset1:112
	v_sub_f32_e32 v87, v91, v86
	v_mul_f32_e32 v87, 0x3fb8aa3b, v87
	v_exp_f32_e32 v91, v87
	s_waitcnt lgkmcnt(1)
	v_fma_f32 v87, v94, v92, 0
	v_fmac_f32_e32 v87, v95, v93
	s_waitcnt lgkmcnt(0)
	v_fmac_f32_e32 v87, v90, v88
	v_fmac_f32_e32 v87, v91, v89
	v_add_f32_e32 v88, 0x358637bd, v87
	v_div_scale_f32 v89, s[2:3], v88, v88, 1.0
	v_rcp_f32_e32 v92, v89
	s_barrier
	v_fma_f32 v93, -v89, v92, 1.0
	v_fmac_f32_e32 v92, v93, v92
	v_div_scale_f32 v93, vcc, 1.0, v88, 1.0
	v_mul_f32_e32 v74, v93, v92
	v_fma_f32 v75, -v89, v74, v93
	v_fmac_f32_e32 v74, v75, v92
	v_fma_f32 v75, -v89, v74, v93
	v_div_fmas_f32 v74, v75, v92, v74
	v_cmp_eq_u32_e32 vcc, 1, v85
	v_cndmask_b32_e32 v75, v94, v95, vcc
	v_cmp_eq_u32_e32 vcc, 2, v85
	v_cndmask_b32_e32 v75, v75, v90, vcc
	v_cmp_eq_u32_e32 vcc, 3, v85
	v_div_fixup_f32 v74, v74, v88, 1.0
	v_cndmask_b32_e32 v75, v75, v91, vcc
	v_mul_f32_e32 v88, v75, v74
	v_pk_mul_f32 v[80:81], v[88:89], v[80:81] op_sel_hi:[0,1]
	v_cvt_f16_f32_e32 v74, v80
	v_cvt_f16_f32_e32 v75, v81
	v_pk_mul_f32 v[68:69], v[88:89], v[68:69] op_sel_hi:[0,1]
	v_cvt_f16_f32_e32 v68, v68
	v_cvt_f16_f32_e32 v69, v69
	v_pk_mul_f32 v[80:81], v[88:89], v[82:83] op_sel_hi:[0,1]
	v_pk_mul_f32 v[70:71], v[88:89], v[70:71] op_sel_hi:[0,1]
	v_pack_b32_f16 v91, v74, v75
	v_cvt_f16_f32_e32 v70, v70
	v_cvt_f16_f32_e32 v71, v71
	;; [unrolled: 1-line block ×4, first 2 shown]
	v_pack_b32_f16 v90, v68, v69
	v_lshlrev_b32_e32 v69, 3, v1
	v_lshlrev_b32_e32 v68, 5, v84
	v_lshlrev_b32_e32 v80, 11, v85
	v_or3_b32 v80, v80, v68, v69
	v_pack_b32_f16 v70, v70, v71
	v_pack_b32_f16 v71, v74, v75
	ds_write2st64_b64 v80, v[90:91], v[70:71] offset1:1
	v_pk_mul_f32 v[70:71], v[88:89], v[78:79] op_sel_hi:[0,1]
	v_pk_mul_f32 v[76:77], v[88:89], v[76:77] op_sel_hi:[0,1]
	v_cvt_f16_f32_e32 v69, v76
	v_cvt_f16_f32_e32 v75, v70
	v_cvt_f16_f32_e32 v76, v71
	v_pk_mul_f32 v[66:67], v[88:89], v[66:67] op_sel_hi:[0,1]
	v_pk_mul_f32 v[70:71], v[88:89], v[72:73] op_sel_hi:[0,1]
	v_cvt_f16_f32_e32 v74, v77
	v_cvt_f16_f32_e32 v70, v70
	;; [unrolled: 1-line block ×5, first 2 shown]
	v_pack_b32_f16 v66, v69, v74
	v_pack_b32_f16 v67, v75, v76
	;; [unrolled: 1-line block ×4, first 2 shown]
	v_cmp_gt_u32_e32 vcc, 13, v0
	ds_write2st64_b64 v80, v[66:67], v[70:71] offset0:2 offset1:3
	s_and_saveexec_b64 s[2:3], vcc
	s_cbranch_execz .LBB184_17
; %bb.16:
	v_add_co_u32_e32 v70, vcc, s27, v84
	v_addc_co_u32_e64 v71, s[10:11], 0, 0, vcc
	v_mov_b32_e32 v66, s9
	v_mov_b32_e32 v67, 0
	v_mad_u64_u32 v[70:71], s[10:11], s6, v66, v[70:71]
	v_mov_b32_e32 v66, s26
	s_load_dwordx4 s[12:15], s[4:5], 0x58
	s_mul_i32 s7, s7, s9
	v_mad_u64_u32 v[66:67], s[10:11], v70, s8, v[66:67]
	v_add_u32_e32 v69, s7, v71
	v_mov_b32_e32 v70, v67
	v_mad_u64_u32 v[70:71], s[10:11], v69, s8, v[70:71]
	v_mov_b32_e32 v67, v70
	v_lshlrev_b64 v[66:67], 2, v[66:67]
	s_waitcnt lgkmcnt(0)
	v_mov_b32_e32 v69, s15
	v_add_co_u32_e32 v70, vcc, s14, v66
	v_addc_co_u32_e32 v71, vcc, v69, v67, vcc
	v_mov_b32_e32 v69, s13
	v_add_co_u32_e32 v66, vcc, s12, v66
	v_addc_co_u32_e32 v67, vcc, v69, v67, vcc
	global_store_dword v[70:71], v86, off
	global_store_dword v[66:67], v87, off
.LBB184_17:
	s_or_b64 exec, exec, s[2:3]
	v_lshl_or_b32 v74, v1, 9, v68
	s_waitcnt lgkmcnt(0)
	s_barrier
	ds_read_b128 v[70:73], v74
	ds_read_b128 v[66:69], v74 offset:16
	s_waitcnt vmcnt(15) lgkmcnt(1)
	v_mfma_f32_16x16x16f16 v[76:79], v[46:47], v[70:71], 0
	s_mov_b32 s3, 0
	v_cmp_gt_u32_e32 vcc, 64, v0
	v_mfma_f32_16x16x16f16 v[46:49], v[48:49], v[72:73], v[76:79]
	s_waitcnt vmcnt(14) lgkmcnt(0)
	v_mfma_f32_16x16x16f16 v[46:49], v[42:43], v[66:67], v[46:49]
	v_mfma_f32_16x16x16f16 v[42:45], v[44:45], v[68:69], v[46:49]
	s_nop 7
	s_nop 1
	ds_read_b128 v[46:49], v74 offset:2048
	ds_read_b128 v[76:79], v74 offset:2064
	s_waitcnt vmcnt(13) lgkmcnt(1)
	v_mfma_f32_16x16x16f16 v[42:45], v[38:39], v[46:47], v[42:45]
	v_mfma_f32_16x16x16f16 v[38:41], v[40:41], v[48:49], v[42:45]
	s_waitcnt vmcnt(12) lgkmcnt(0)
	v_mfma_f32_16x16x16f16 v[38:41], v[34:35], v[76:77], v[38:41]
	v_mfma_f32_16x16x16f16 v[34:37], v[36:37], v[78:79], v[38:41]
	s_nop 7
	s_nop 1
	ds_read_b128 v[38:41], v74 offset:4096
	ds_read_b128 v[42:45], v74 offset:4112
	s_waitcnt vmcnt(11) lgkmcnt(1)
	v_mfma_f32_16x16x16f16 v[34:37], v[30:31], v[38:39], v[34:37]
	v_mfma_f32_16x16x16f16 v[30:33], v[32:33], v[40:41], v[34:37]
	s_waitcnt vmcnt(10) lgkmcnt(0)
	v_mfma_f32_16x16x16f16 v[30:33], v[26:27], v[42:43], v[30:33]
	v_mfma_f32_16x16x16f16 v[26:29], v[28:29], v[44:45], v[30:33]
	s_nop 7
	s_nop 1
	ds_read_b128 v[30:33], v74 offset:6144
	ds_read_b128 v[34:37], v74 offset:6160
	s_waitcnt lgkmcnt(0)
	s_barrier
	s_waitcnt vmcnt(9)
	v_mfma_f32_16x16x16f16 v[26:29], v[22:23], v[30:31], v[26:29]
	v_mfma_f32_16x16x16f16 v[22:25], v[24:25], v[32:33], v[26:29]
	s_waitcnt vmcnt(8)
	v_mfma_f32_16x16x16f16 v[22:25], v[18:19], v[34:35], v[22:25]
	v_mfma_f32_16x16x16f16 v[18:21], v[20:21], v[36:37], v[22:25]
	;; [unrolled: 3-line block ×4, first 2 shown]
	s_waitcnt vmcnt(5)
	v_mfma_f32_16x16x16f16 v[2:5], v[14:15], v[46:47], v[2:5]
	s_nop 7
	v_cvt_f16_f32_e32 v6, v18
	v_cvt_f16_f32_e32 v7, v19
	;; [unrolled: 1-line block ×4, first 2 shown]
	v_mfma_f32_16x16x16f16 v[2:5], v[16:17], v[48:49], v[2:5]
	s_waitcnt vmcnt(4)
	v_mfma_f32_16x16x16f16 v[2:5], v[10:11], v[76:77], v[2:5]
	v_mfma_f32_16x16x16f16 v[2:5], v[12:13], v[78:79], v[2:5]
	s_waitcnt vmcnt(3)
	v_mfma_f32_16x16x16f16 v[2:5], v[54:55], v[38:39], v[2:5]
	v_mfma_f32_16x16x16f16 v[2:5], v[56:57], v[40:41], v[2:5]
	s_waitcnt vmcnt(2)
	v_mfma_f32_16x16x16f16 v[2:5], v[50:51], v[42:43], v[2:5]
	v_mfma_f32_16x16x16f16 v[2:5], v[52:53], v[44:45], v[2:5]
	s_waitcnt vmcnt(1)
	v_mfma_f32_16x16x16f16 v[2:5], v[62:63], v[30:31], v[2:5]
	v_mfma_f32_16x16x16f16 v[2:5], v[64:65], v[32:33], v[2:5]
	s_waitcnt vmcnt(0)
	v_mfma_f32_16x16x16f16 v[2:5], v[58:59], v[34:35], v[2:5]
	v_mfma_f32_16x16x16f16 v[2:5], v[60:61], v[36:37], v[2:5]
	s_nop 7
	s_nop 2
	v_cvt_f16_f32_e32 v10, v2
	v_cvt_f16_f32_e32 v11, v3
	;; [unrolled: 1-line block ×4, first 2 shown]
	v_pack_b32_f16 v2, v6, v7
	v_pack_b32_f16 v3, v8, v9
	;; [unrolled: 1-line block ×4, first 2 shown]
	ds_write2st64_b64 v80, v[2:3], v[4:5] offset1:1
	s_waitcnt lgkmcnt(0)
	s_barrier
	s_and_saveexec_b64 s[10:11], vcc
	s_cbranch_execz .LBB184_20
; %bb.18:
	v_lshlrev_b32_e32 v4, 6, v84
	v_lshlrev_b32_e32 v3, 4, v0
	v_lshl_or_b32 v0, v0, 10, v4
	v_lshlrev_b32_e32 v2, 5, v1
	v_and_b32_e32 v3, 16, v3
	v_and_b32_e32 v0, 0x1a00, v0
	v_or3_b32 v0, v0, v2, v3
	ds_read_b128 v[4:7], v0 offset:256
	buffer_load_dword v8, off, s[44:47], 0  ; 4-byte Folded Reload
	buffer_load_dword v9, off, s[44:47], 0 offset:4 ; 4-byte Folded Reload
	s_load_dwordx2 s[10:11], s[4:5], 0x68
	s_lshl_b32 s4, s8, 7
	s_mul_i32 s2, s9, s6
	s_mul_hi_u32 s7, s2, s4
	s_mul_i32 s6, s2, s4
	s_lshl_b64 s[6:7], s[6:7], 1
	s_waitcnt lgkmcnt(0)
	s_add_u32 s5, s10, s6
	s_addc_u32 s6, s11, s7
	s_lshl_b32 s2, s26, 7
	s_lshl_b64 s[2:3], s[2:3], 1
	s_add_u32 s2, s5, s2
	s_addc_u32 s3, s6, s3
	v_mov_b32_e32 v3, s3
	v_add_u32_e32 v18, s27, v1
	s_waitcnt vmcnt(1)
	v_add_co_u32_e32 v2, vcc, s2, v8
	s_waitcnt vmcnt(0)
	v_addc_co_u32_e32 v3, vcc, v3, v9, vcc
	ds_read_b128 v[8:11], v0 offset:128
	ds_read_b128 v[12:15], v0
	v_mad_u64_u32 v[16:17], s[2:3], v18, s4, 0
	v_lshlrev_b64 v[16:17], 1, v[16:17]
	v_add_co_u32_e32 v16, vcc, v2, v16
	v_addc_co_u32_e32 v17, vcc, v3, v17, vcc
	s_waitcnt lgkmcnt(0)
	global_store_dwordx4 v[16:17], v[12:15], off
	s_nop 0
	v_add_u32_e32 v12, 4, v18
	v_mad_u64_u32 v[12:13], s[2:3], v12, s4, 0
	v_lshlrev_b64 v[12:13], 1, v[12:13]
	v_add_co_u32_e32 v12, vcc, v2, v12
	v_addc_co_u32_e32 v13, vcc, v3, v13, vcc
	global_store_dwordx4 v[12:13], v[8:11], off
	s_nop 0
	v_add_u32_e32 v8, 8, v18
	v_mad_u64_u32 v[8:9], s[2:3], v8, s4, 0
	v_lshlrev_b64 v[8:9], 1, v[8:9]
	v_add_co_u32_e32 v8, vcc, v2, v8
	v_addc_co_u32_e32 v9, vcc, v3, v9, vcc
	global_store_dwordx4 v[8:9], v[4:7], off
	s_and_b64 exec, exec, s[0:1]
	s_cbranch_execz .LBB184_20
; %bb.19:
	ds_read_b128 v[4:7], v0 offset:384
	v_add3_u32 v0, s27, v1, 12
	v_mad_u64_u32 v[0:1], s[0:1], v0, s4, 0
	v_lshlrev_b64 v[0:1], 1, v[0:1]
	v_add_co_u32_e32 v0, vcc, v2, v0
	v_addc_co_u32_e32 v1, vcc, v3, v1, vcc
	s_waitcnt lgkmcnt(0)
	global_store_dwordx4 v[0:1], v[4:7], off
.LBB184_20:
	s_endpgm
	.section	.rodata,"a",@progbits
	.p2align	6, 0x0
	.amdhsa_kernel _Z39paged_attention_ll4mi_QKV_mfma16_kernelIDF16_DF16_LN4vllm18Fp8KVCacheDataTypeE0EDF16_Li32ELi128ELi256ELb0ELi13EL8MFMAType0EEvPKT_PKT0_S8_ifPKiSA_SA_iPKfiiiPfSD_PS3_PT2_iSC_SC_
		.amdhsa_group_segment_fixed_size 8192
		.amdhsa_private_segment_fixed_size 12
		.amdhsa_kernarg_size 400
		.amdhsa_user_sgpr_count 6
		.amdhsa_user_sgpr_private_segment_buffer 1
		.amdhsa_user_sgpr_dispatch_ptr 0
		.amdhsa_user_sgpr_queue_ptr 0
		.amdhsa_user_sgpr_kernarg_segment_ptr 1
		.amdhsa_user_sgpr_dispatch_id 0
		.amdhsa_user_sgpr_flat_scratch_init 0
		.amdhsa_user_sgpr_kernarg_preload_length 0
		.amdhsa_user_sgpr_kernarg_preload_offset 0
		.amdhsa_user_sgpr_private_segment_size 0
		.amdhsa_uses_dynamic_stack 0
		.amdhsa_system_sgpr_private_segment_wavefront_offset 1
		.amdhsa_system_sgpr_workgroup_id_x 1
		.amdhsa_system_sgpr_workgroup_id_y 1
		.amdhsa_system_sgpr_workgroup_id_z 1
		.amdhsa_system_sgpr_workgroup_info 0
		.amdhsa_system_vgpr_workitem_id 0
		.amdhsa_next_free_vgpr 96
		.amdhsa_next_free_sgpr 48
		.amdhsa_accum_offset 96
		.amdhsa_reserve_vcc 1
		.amdhsa_reserve_flat_scratch 0
		.amdhsa_float_round_mode_32 0
		.amdhsa_float_round_mode_16_64 0
		.amdhsa_float_denorm_mode_32 3
		.amdhsa_float_denorm_mode_16_64 3
		.amdhsa_dx10_clamp 1
		.amdhsa_ieee_mode 1
		.amdhsa_fp16_overflow 0
		.amdhsa_tg_split 0
		.amdhsa_exception_fp_ieee_invalid_op 0
		.amdhsa_exception_fp_denorm_src 0
		.amdhsa_exception_fp_ieee_div_zero 0
		.amdhsa_exception_fp_ieee_overflow 0
		.amdhsa_exception_fp_ieee_underflow 0
		.amdhsa_exception_fp_ieee_inexact 0
		.amdhsa_exception_int_div_zero 0
	.end_amdhsa_kernel
	.section	.text._Z39paged_attention_ll4mi_QKV_mfma16_kernelIDF16_DF16_LN4vllm18Fp8KVCacheDataTypeE0EDF16_Li32ELi128ELi256ELb0ELi13EL8MFMAType0EEvPKT_PKT0_S8_ifPKiSA_SA_iPKfiiiPfSD_PS3_PT2_iSC_SC_,"axG",@progbits,_Z39paged_attention_ll4mi_QKV_mfma16_kernelIDF16_DF16_LN4vllm18Fp8KVCacheDataTypeE0EDF16_Li32ELi128ELi256ELb0ELi13EL8MFMAType0EEvPKT_PKT0_S8_ifPKiSA_SA_iPKfiiiPfSD_PS3_PT2_iSC_SC_,comdat
.Lfunc_end184:
	.size	_Z39paged_attention_ll4mi_QKV_mfma16_kernelIDF16_DF16_LN4vllm18Fp8KVCacheDataTypeE0EDF16_Li32ELi128ELi256ELb0ELi13EL8MFMAType0EEvPKT_PKT0_S8_ifPKiSA_SA_iPKfiiiPfSD_PS3_PT2_iSC_SC_, .Lfunc_end184-_Z39paged_attention_ll4mi_QKV_mfma16_kernelIDF16_DF16_LN4vllm18Fp8KVCacheDataTypeE0EDF16_Li32ELi128ELi256ELb0ELi13EL8MFMAType0EEvPKT_PKT0_S8_ifPKiSA_SA_iPKfiiiPfSD_PS3_PT2_iSC_SC_
                                        ; -- End function
	.section	.AMDGPU.csdata,"",@progbits
; Kernel info:
; codeLenInByte = 4868
; NumSgprs: 52
; NumVgprs: 96
; NumAgprs: 0
; TotalNumVgprs: 96
; ScratchSize: 12
; MemoryBound: 0
; FloatMode: 240
; IeeeMode: 1
; LDSByteSize: 8192 bytes/workgroup (compile time only)
; SGPRBlocks: 6
; VGPRBlocks: 11
; NumSGPRsForWavesPerEU: 52
; NumVGPRsForWavesPerEU: 96
; AccumOffset: 96
; Occupancy: 5
; WaveLimiterHint : 1
; COMPUTE_PGM_RSRC2:SCRATCH_EN: 1
; COMPUTE_PGM_RSRC2:USER_SGPR: 6
; COMPUTE_PGM_RSRC2:TRAP_HANDLER: 0
; COMPUTE_PGM_RSRC2:TGID_X_EN: 1
; COMPUTE_PGM_RSRC2:TGID_Y_EN: 1
; COMPUTE_PGM_RSRC2:TGID_Z_EN: 1
; COMPUTE_PGM_RSRC2:TIDIG_COMP_CNT: 0
; COMPUTE_PGM_RSRC3_GFX90A:ACCUM_OFFSET: 23
; COMPUTE_PGM_RSRC3_GFX90A:TG_SPLIT: 0
	.section	.text._Z39paged_attention_ll4mi_QKV_mfma16_kernelIDF16_DF16_LN4vllm18Fp8KVCacheDataTypeE0EDF16_Li32ELi128ELi256ELb0ELi14EL8MFMAType0EEvPKT_PKT0_S8_ifPKiSA_SA_iPKfiiiPfSD_PS3_PT2_iSC_SC_,"axG",@progbits,_Z39paged_attention_ll4mi_QKV_mfma16_kernelIDF16_DF16_LN4vllm18Fp8KVCacheDataTypeE0EDF16_Li32ELi128ELi256ELb0ELi14EL8MFMAType0EEvPKT_PKT0_S8_ifPKiSA_SA_iPKfiiiPfSD_PS3_PT2_iSC_SC_,comdat
	.protected	_Z39paged_attention_ll4mi_QKV_mfma16_kernelIDF16_DF16_LN4vllm18Fp8KVCacheDataTypeE0EDF16_Li32ELi128ELi256ELb0ELi14EL8MFMAType0EEvPKT_PKT0_S8_ifPKiSA_SA_iPKfiiiPfSD_PS3_PT2_iSC_SC_ ; -- Begin function _Z39paged_attention_ll4mi_QKV_mfma16_kernelIDF16_DF16_LN4vllm18Fp8KVCacheDataTypeE0EDF16_Li32ELi128ELi256ELb0ELi14EL8MFMAType0EEvPKT_PKT0_S8_ifPKiSA_SA_iPKfiiiPfSD_PS3_PT2_iSC_SC_
	.globl	_Z39paged_attention_ll4mi_QKV_mfma16_kernelIDF16_DF16_LN4vllm18Fp8KVCacheDataTypeE0EDF16_Li32ELi128ELi256ELb0ELi14EL8MFMAType0EEvPKT_PKT0_S8_ifPKiSA_SA_iPKfiiiPfSD_PS3_PT2_iSC_SC_
	.p2align	8
	.type	_Z39paged_attention_ll4mi_QKV_mfma16_kernelIDF16_DF16_LN4vllm18Fp8KVCacheDataTypeE0EDF16_Li32ELi128ELi256ELb0ELi14EL8MFMAType0EEvPKT_PKT0_S8_ifPKiSA_SA_iPKfiiiPfSD_PS3_PT2_iSC_SC_,@function
_Z39paged_attention_ll4mi_QKV_mfma16_kernelIDF16_DF16_LN4vllm18Fp8KVCacheDataTypeE0EDF16_Li32ELi128ELi256ELb0ELi14EL8MFMAType0EEvPKT_PKT0_S8_ifPKiSA_SA_iPKfiiiPfSD_PS3_PT2_iSC_SC_: ; @_Z39paged_attention_ll4mi_QKV_mfma16_kernelIDF16_DF16_LN4vllm18Fp8KVCacheDataTypeE0EDF16_Li32ELi128ELi256ELb0ELi14EL8MFMAType0EEvPKT_PKT0_S8_ifPKiSA_SA_iPKfiiiPfSD_PS3_PT2_iSC_SC_
; %bb.0:
	s_mov_b64 s[46:47], s[2:3]
	s_mov_b64 s[44:45], s[0:1]
	s_load_dwordx2 s[0:1], s[4:5], 0x30
	s_add_u32 s44, s44, s9
	s_addc_u32 s45, s45, 0
	s_mov_b32 s26, s7
	s_mov_b64 s[10:11], 0
	s_waitcnt lgkmcnt(0)
	s_cmp_lg_u64 s[0:1], 0
	s_cselect_b64 s[2:3], -1, 0
	s_and_b64 vcc, exec, s[2:3]
	s_cbranch_vccz .LBB185_7
; %bb.1:
	s_add_i32 s12, s6, 1
	s_mov_b32 s13, 0
	s_lshl_b64 s[14:15], s[12:13], 2
	s_add_u32 s14, s0, s14
	s_mov_b32 s7, s13
	s_addc_u32 s15, s1, s15
	s_lshl_b64 s[12:13], s[6:7], 2
	s_add_u32 s12, s0, s12
	s_addc_u32 s13, s1, s13
	s_load_dword s9, s[14:15], 0x0
	s_load_dword s16, s[12:13], 0x0
	s_waitcnt lgkmcnt(0)
	s_sub_i32 s9, s9, s16
	s_cmp_eq_u32 s9, 1
	s_cselect_b64 s[12:13], -1, 0
	s_andn2_b64 vcc, exec, s[10:11]
	s_cbranch_vccnz .LBB185_3
.LBB185_2:
	s_mov_b32 s7, 0
	s_mov_b64 s[12:13], -1
.LBB185_3:
	s_andn2_b64 vcc, exec, s[12:13]
	s_cbranch_vccnz .LBB185_20
; %bb.4:
	s_load_dwordx2 s[12:13], s[4:5], 0x28
	s_lshl_b64 s[10:11], s[6:7], 2
	s_waitcnt lgkmcnt(0)
	s_add_u32 s12, s12, s10
	s_addc_u32 s13, s13, s11
	s_load_dword s33, s[12:13], 0x0
	s_lshl_b32 s9, s26, 8
	s_waitcnt lgkmcnt(0)
	s_cmp_ge_i32 s9, s33
	s_cbranch_scc1 .LBB185_20
; %bb.5:
	s_add_i32 s15, s33, 31
	s_load_dwordx2 s[12:13], s[4:5], 0x20
	s_load_dword s14, s[4:5], 0x38
	s_ashr_i32 s16, s15, 31
	v_and_b32_e32 v1, 0xcf, v0
	s_lshr_b32 s16, s16, 27
	v_add_u32_e32 v1, s9, v1
	s_add_i32 s15, s15, s16
	v_ashrrev_i32_e32 v2, 31, v1
	s_ashr_i32 s18, s15, 5
	v_lshrrev_b32_e32 v10, 27, v2
	s_add_i32 s18, s18, -1
	v_add_u32_e32 v2, v1, v10
	s_waitcnt lgkmcnt(0)
	s_mul_i32 s14, s6, s14
	s_mov_b32 s15, 0
	v_ashrrev_i32_e32 v2, 5, v2
	v_mov_b32_e32 v11, s18
	v_cmp_gt_i32_e32 vcc, s33, v1
	s_lshl_b64 s[14:15], s[14:15], 2
	v_cndmask_b32_e32 v2, v11, v2, vcc
	s_add_u32 s16, s12, s14
	v_ashrrev_i32_e32 v3, 31, v2
	s_addc_u32 s17, s13, s15
	v_lshlrev_b64 v[2:3], 2, v[2:3]
	v_mov_b32_e32 v4, s17
	v_add_co_u32_e32 v2, vcc, s16, v2
	v_addc_co_u32_e32 v3, vcc, v4, v3, vcc
	v_or_b32_e32 v4, 16, v1
	v_add_u32_e32 v5, v4, v10
	v_ashrrev_i32_e32 v5, 5, v5
	v_cmp_gt_i32_e32 vcc, s33, v4
	v_cndmask_b32_e32 v4, v11, v5, vcc
	v_ashrrev_i32_e32 v5, 31, v4
	v_lshlrev_b64 v[4:5], 2, v[4:5]
	v_mov_b32_e32 v7, s17
	v_add_co_u32_e32 v6, vcc, s16, v4
	v_or_b32_e32 v4, 32, v1
	v_addc_co_u32_e32 v7, vcc, v7, v5, vcc
	v_add_u32_e32 v5, v4, v10
	v_ashrrev_i32_e32 v5, 5, v5
	v_cmp_gt_i32_e32 vcc, s33, v4
	v_cndmask_b32_e32 v4, v11, v5, vcc
	v_ashrrev_i32_e32 v5, 31, v4
	v_lshlrev_b64 v[4:5], 2, v[4:5]
	v_mov_b32_e32 v9, s17
	v_add_co_u32_e32 v8, vcc, s16, v4
	v_or_b32_e32 v1, 48, v1
	v_addc_co_u32_e32 v9, vcc, v9, v5, vcc
	v_add_u32_e32 v4, v1, v10
	v_ashrrev_i32_e32 v4, 5, v4
	v_cmp_gt_i32_e32 vcc, s33, v1
	v_cndmask_b32_e32 v4, v11, v4, vcc
	v_ashrrev_i32_e32 v5, 31, v4
	v_lshlrev_b64 v[4:5], 2, v[4:5]
	v_mov_b32_e32 v1, s17
	v_add_co_u32_e32 v10, vcc, s16, v4
	v_addc_co_u32_e32 v11, vcc, v1, v5, vcc
	global_load_dword v5, v[2:3], off
	global_load_dword v4, v[6:7], off
	;; [unrolled: 1-line block ×4, first 2 shown]
	s_andn2_b64 vcc, exec, s[2:3]
	s_cbranch_vccnz .LBB185_8
; %bb.6:
	s_add_u32 s0, s0, s10
	s_addc_u32 s1, s1, s11
	s_load_dword s19, s[0:1], 0x0
	s_branch .LBB185_9
.LBB185_7:
	s_mov_b64 s[12:13], 0
	s_branch .LBB185_2
.LBB185_8:
	s_mov_b32 s19, s6
.LBB185_9:
	s_load_dwordx4 s[12:15], s[4:5], 0x8
	s_load_dwordx4 s[0:3], s[4:5], 0x48
	v_lshrrev_b32_e32 v85, 6, v0
	v_bfe_u32 v1, v0, 4, 2
	v_lshl_or_b32 v6, v85, 2, v1
	v_and_b32_e32 v84, 15, v0
	v_lshlrev_b32_e32 v2, 3, v84
	v_cmp_lt_u32_e32 vcc, 13, v6
	s_and_saveexec_b64 s[10:11], vcc
	s_xor_b64 s[10:11], exec, s[10:11]
; %bb.10:
	v_mov_b32_e32 v3, 0
                                        ; implicit-def: $vgpr6
; %bb.11:
	s_or_saveexec_b64 s[10:11], s[10:11]
	v_and_b32_e32 v86, 63, v0
	s_mul_i32 s27, s8, 14
	s_xor_b64 exec, exec, s[10:11]
	s_cbranch_execz .LBB185_13
; %bb.12:
	s_load_dwordx2 s[20:21], s[4:5], 0x0
	s_waitcnt lgkmcnt(0)
	s_ashr_i32 s3, s0, 31
	s_mul_hi_u32 s22, s19, s0
	s_mul_i32 s3, s19, s3
	s_add_i32 s23, s22, s3
	s_mul_i32 s22, s19, s0
	s_lshl_b64 s[22:23], s[22:23], 1
	v_add_lshl_u32 v8, v6, s27, 7
	s_add_u32 s0, s20, s22
	v_ashrrev_i32_e32 v9, 31, v8
	s_addc_u32 s3, s21, s23
	v_lshlrev_b64 v[8:9], 1, v[8:9]
	v_mov_b32_e32 v3, s3
	v_add_co_u32_e32 v7, vcc, s0, v8
	v_addc_co_u32_e32 v3, vcc, v3, v9, vcc
	v_lshlrev_b32_e32 v8, 1, v2
	v_add_co_u32_e32 v8, vcc, v7, v8
	v_addc_co_u32_e32 v9, vcc, 0, v3, vcc
	global_load_dwordx4 v[8:11], v[8:9], off
	v_and_b32_e32 v7, 3, v0
	v_lshlrev_b32_e32 v12, 9, v84
	v_lshlrev_b32_e32 v6, 5, v6
	;; [unrolled: 1-line block ×3, first 2 shown]
	v_and_b32_e32 v12, 0x1800, v12
	v_mov_b32_e32 v3, 0
	v_or3_b32 v6, v12, v7, v6
	s_waitcnt vmcnt(0)
	ds_write_b128 v6, v[8:11]
.LBB185_13:
	s_or_b64 exec, exec, s[10:11]
	s_waitcnt lgkmcnt(0)
	s_mul_i32 s2, s8, s2
	s_mov_b32 s3, 0
	s_lshl_b64 s[2:3], s[2:3], 1
	s_add_u32 s8, s12, s2
	s_addc_u32 s10, s13, s3
	s_waitcnt vmcnt(3)
	v_mad_i64_i32 v[6:7], s[12:13], v5, s1, 0
	v_lshlrev_b64 v[6:7], 1, v[6:7]
	v_mov_b32_e32 v5, s10
	v_add_co_u32_e32 v6, vcc, s8, v6
	v_addc_co_u32_e32 v5, vcc, v5, v7, vcc
	v_lshlrev_b64 v[60:61], 1, v[2:3]
	v_add_co_u32_e32 v27, vcc, v6, v60
	v_lshlrev_b32_e32 v26, 9, v1
	v_addc_co_u32_e32 v28, vcc, v5, v61, vcc
	v_add_co_u32_e32 v2, vcc, v27, v26
	v_addc_co_u32_e32 v3, vcc, 0, v28, vcc
	s_load_dword s40, s[4:5], 0x98
	s_load_dword s0, s[4:5], 0x1c
	s_waitcnt lgkmcnt(0)
	s_barrier
	global_load_dwordx4 v[10:13], v[2:3], off
	s_waitcnt vmcnt(3)
	v_mad_i64_i32 v[4:5], s[12:13], v4, s1, 0
	v_lshlrev_b64 v[4:5], 1, v[4:5]
	v_mov_b32_e32 v6, s10
	v_add_co_u32_e32 v4, vcc, s8, v4
	v_addc_co_u32_e32 v5, vcc, v6, v5, vcc
	v_mov_b32_e32 v6, 0x100
	v_lshl_or_b32 v29, v84, 4, v6
	v_add_co_u32_e32 v30, vcc, v4, v29
	v_addc_co_u32_e32 v31, vcc, 0, v5, vcc
	v_add_co_u32_e32 v22, vcc, v30, v26
	v_addc_co_u32_e32 v23, vcc, 0, v31, vcc
	global_load_dwordx4 v[18:21], v[22:23], off
	global_load_dwordx4 v[14:17], v[2:3], off offset:2048
	v_add_u32_e32 v2, -14, v84
	v_cmp_gt_u32_e32 vcc, 14, v84
	v_cndmask_b32_e32 v2, v2, v84, vcc
	v_lshl_add_u32 v32, v2, 5, v26
	ds_read_b128 v[6:9], v32
	ds_read_b128 v[2:5], v32 offset:2048
	v_or_b32_e32 v58, 0x1000, v26
	global_load_dwordx4 v[38:41], v[22:23], off offset:2048
	v_add_co_u32_e32 v22, vcc, v27, v58
	v_addc_co_u32_e32 v23, vcc, 0, v28, vcc
	v_or_b32_e32 v62, 0x1800, v26
	s_ashr_i32 s11, s9, 31
	v_and_or_b32 v63, v0, 48, s9
	v_mov_b32_e32 v66, s18
	v_lshl_or_b32 v87, v85, 4, v84
	v_lshlrev_b32_e32 v90, 6, v87
	s_mov_b32 s41, 0xff7fffff
	s_waitcnt vmcnt(3) lgkmcnt(1)
	v_mfma_f32_16x16x16f16 v[34:37], v[10:11], v[6:7], 0
	s_waitcnt vmcnt(2)
	v_mfma_f32_16x16x16f16 v[42:45], v[18:19], v[6:7], 0
	v_mfma_f32_16x16x16f16 v[10:13], v[12:13], v[8:9], v[34:37]
	s_nop 7
	global_load_dwordx4 v[34:37], v[22:23], off
	v_add_co_u32_e32 v22, vcc, v30, v58
	v_addc_co_u32_e32 v23, vcc, 0, v31, vcc
	v_mfma_f32_16x16x16f16 v[18:21], v[20:21], v[8:9], v[42:45]
	global_load_dwordx4 v[46:49], v[22:23], off
	s_waitcnt vmcnt(3) lgkmcnt(0)
	v_mfma_f32_16x16x16f16 v[42:45], v[14:15], v[2:3], v[10:13]
	s_nop 6
	v_add_co_u32_e32 v10, vcc, v27, v62
	v_addc_co_u32_e32 v11, vcc, 0, v28, vcc
	global_load_dwordx4 v[54:57], v[10:11], off
	v_mad_i64_i32 v[10:11], s[12:13], v25, s1, 0
	v_add_co_u32_e32 v30, vcc, v30, v62
	v_lshlrev_b64 v[22:23], 1, v[10:11]
	v_addc_co_u32_e32 v31, vcc, 0, v31, vcc
	v_mov_b32_e32 v25, s10
	v_add_co_u32_e32 v22, vcc, s8, v22
	v_addc_co_u32_e32 v23, vcc, v25, v23, vcc
	ds_read_b128 v[10:13], v32 offset:4096
	ds_read_b128 v[50:53], v32 offset:6144
	global_load_dwordx4 v[30:33], v[30:31], off
	v_add_co_u32_e32 v27, vcc, v22, v60
	buffer_store_dword v60, off, s[44:47], 0 ; 4-byte Folded Spill
	s_nop 0
	buffer_store_dword v61, off, s[44:47], 0 offset:4 ; 4-byte Folded Spill
	s_waitcnt vmcnt(6)
	v_mfma_f32_16x16x16f16 v[18:21], v[38:39], v[2:3], v[18:21]
	v_mov_b32_e32 v28, s10
	s_lshr_b32 s10, s11, 27
	s_add_u32 s2, s14, s2
	s_addc_u32 s3, s15, s3
	v_addc_co_u32_e32 v59, vcc, v23, v61, vcc
	v_add_co_u32_e32 v22, vcc, v27, v26
	v_addc_co_u32_e32 v23, vcc, 0, v59, vcc
	v_mfma_f32_16x16x16f16 v[14:17], v[16:17], v[4:5], v[42:45]
	v_mfma_f32_16x16x16f16 v[18:21], v[40:41], v[4:5], v[18:21]
	global_load_dwordx4 v[38:41], v[22:23], off
	s_nop 4
	global_load_dwordx4 v[42:45], v[22:23], off offset:2048
	v_mad_i64_i32 v[22:23], s[12:13], v24, s1, 0
	s_waitcnt vmcnt(7) lgkmcnt(1)
	v_mfma_f32_16x16x16f16 v[14:17], v[34:35], v[10:11], v[14:17]
	v_lshlrev_b64 v[34:35], 1, v[22:23]
	v_add_co_u32_e32 v22, vcc, v27, v58
	v_addc_co_u32_e32 v23, vcc, 0, v59, vcc
	global_load_dwordx4 v[22:25], v[22:23], off
	v_add_co_u32_e32 v34, vcc, s8, v34
	s_waitcnt vmcnt(7)
	v_mfma_f32_16x16x16f16 v[18:21], v[46:47], v[10:11], v[18:21]
	v_addc_co_u32_e32 v28, vcc, v28, v35, vcc
	v_add_co_u32_e32 v64, vcc, v34, v29
	v_addc_co_u32_e32 v65, vcc, 0, v28, vcc
	v_add_co_u32_e32 v28, vcc, v27, v62
	v_mfma_f32_16x16x16f16 v[14:17], v[36:37], v[12:13], v[14:17]
	v_addc_co_u32_e32 v29, vcc, 0, v59, vcc
	v_add_co_u32_e32 v46, vcc, v64, v26
	global_load_dwordx4 v[26:29], v[28:29], off
	v_addc_co_u32_e32 v47, vcc, 0, v65, vcc
	v_mfma_f32_16x16x16f16 v[18:21], v[48:49], v[12:13], v[18:21]
	v_add_co_u32_e32 v48, vcc, v64, v58
	v_add_u32_e32 v35, s10, v63
	v_addc_co_u32_e32 v49, vcc, 0, v65, vcc
	v_ashrrev_i32_e32 v60, 5, v35
	v_cmp_gt_i32_e32 vcc, s33, v63
	s_waitcnt vmcnt(7) lgkmcnt(0)
	v_mfma_f32_16x16x16f16 v[14:17], v[54:55], v[50:51], v[14:17]
	s_waitcnt vmcnt(6)
	v_mfma_f32_16x16x16f16 v[18:21], v[30:31], v[50:51], v[18:21]
	v_mov_b32_e32 v31, s17
	v_mfma_f32_16x16x16f16 v[54:57], v[56:57], v[52:53], v[14:17]
	global_load_dwordx4 v[34:37], v[46:47], off
	s_nop 5
	global_load_dwordx4 v[14:17], v[46:47], off offset:2048
	v_cndmask_b32_e32 v46, v66, v60, vcc
	v_ashrrev_i32_e32 v47, 31, v46
	v_lshlrev_b64 v[46:47], 2, v[46:47]
	v_add_co_u32_e32 v30, vcc, s16, v46
	v_addc_co_u32_e32 v31, vcc, v31, v47, vcc
	global_load_dword v46, v[30:31], off
	v_or_b32_e32 v30, 64, v63
	v_mfma_f32_16x16x16f16 v[58:61], v[32:33], v[52:53], v[18:21]
	v_cmp_gt_i32_e32 vcc, s33, v30
	v_mov_b32_e32 v32, s17
	v_mov_b32_e32 v33, s17
	s_nop 3
	v_add_u32_e32 v18, s10, v30
	v_ashrrev_i32_e32 v18, 5, v18
	v_cndmask_b32_e32 v18, v66, v18, vcc
	v_ashrrev_i32_e32 v19, 31, v18
	v_lshlrev_b64 v[30:31], 2, v[18:19]
	v_add_co_u32_e32 v30, vcc, s16, v30
	v_addc_co_u32_e32 v31, vcc, v32, v31, vcc
	global_load_dword v32, v[30:31], off
	s_waitcnt vmcnt(7)
	v_mfma_f32_16x16x16f16 v[18:21], v[38:39], v[6:7], 0
	v_or_b32_e32 v30, 0x80, v63
	v_add_u32_e32 v31, s10, v30
	v_ashrrev_i32_e32 v31, 5, v31
	v_cmp_gt_i32_e32 vcc, s33, v30
	v_cndmask_b32_e32 v30, v66, v31, vcc
	v_ashrrev_i32_e32 v31, 31, v30
	v_lshlrev_b64 v[30:31], 2, v[30:31]
	v_mfma_f32_16x16x16f16 v[18:21], v[40:41], v[8:9], v[18:21]
	v_add_co_u32_e32 v30, vcc, s16, v30
	v_addc_co_u32_e32 v31, vcc, v33, v31, vcc
	global_load_dword v33, v[30:31], off
	v_or_b32_e32 v30, 0xc0, v63
	v_add_u32_e32 v31, s10, v30
	s_waitcnt vmcnt(7)
	v_mfma_f32_16x16x16f16 v[18:21], v[42:43], v[2:3], v[18:21]
	v_ashrrev_i32_e32 v31, 5, v31
	v_cmp_gt_i32_e32 vcc, s33, v30
	v_cndmask_b32_e32 v30, v66, v31, vcc
	global_load_dwordx4 v[66:69], v[48:49], off
	v_ashrrev_i32_e32 v31, 31, v30
	v_lshlrev_b64 v[30:31], 2, v[30:31]
	v_mov_b32_e32 v38, s17
	v_mfma_f32_16x16x16f16 v[18:21], v[44:45], v[4:5], v[18:21]
	v_add_co_u32_e32 v30, vcc, s16, v30
	v_addc_co_u32_e32 v31, vcc, v38, v31, vcc
	global_load_dword v63, v[30:31], off
	s_waitcnt vmcnt(8)
	v_mfma_f32_16x16x16f16 v[18:21], v[22:23], v[10:11], v[18:21]
	v_add_co_u32_e32 v22, vcc, v64, v62
	v_addc_co_u32_e32 v23, vcc, 0, v65, vcc
	global_load_dwordx4 v[70:73], v[22:23], off
	v_and_b32_e32 v22, 16, v0
	v_lshlrev_b32_e32 v22, 1, v22
	v_mfma_f32_16x16x16f16 v[18:21], v[24:25], v[12:13], v[18:21]
	v_mov_b32_e32 v23, s3
	v_add_co_u32_e32 v88, vcc, s2, v22
	v_addc_co_u32_e32 v89, vcc, 0, v23, vcc
	v_add_co_u32_e32 v22, vcc, v88, v90
	s_waitcnt vmcnt(8)
	v_mfma_f32_16x16x16f16 v[18:21], v[26:27], v[50:51], v[18:21]
	v_addc_co_u32_e32 v23, vcc, 0, v89, vcc
	v_mfma_f32_16x16x16f16 v[76:79], v[28:29], v[52:53], v[18:21]
	s_waitcnt vmcnt(5)
	s_nop 7
	v_mad_i64_i32 v[18:19], s[2:3], v46, s1, 0
	v_lshlrev_b64 v[80:81], 1, v[18:19]
	v_mfma_f32_16x16x16f16 v[18:21], v[34:35], v[6:7], 0
	v_add_co_u32_e32 v6, vcc, v22, v80
	v_addc_co_u32_e32 v7, vcc, v23, v81, vcc
	global_load_dwordx4 v[46:49], v[6:7], off
	global_load_dwordx4 v[42:45], v[6:7], off offset:16
	v_pk_mul_f32 v[76:77], s[0:1], v[76:77] op_sel_hi:[0,1]
	v_pk_mul_f32 v[78:79], s[0:1], v[78:79] op_sel_hi:[0,1]
	s_waitcnt vmcnt(6)
	v_mad_i64_i32 v[6:7], s[2:3], v32, s1, 0
	v_lshlrev_b64 v[82:83], 1, v[6:7]
	v_mfma_f32_16x16x16f16 v[6:9], v[36:37], v[8:9], v[18:21]
	v_mfma_f32_16x16x16f16 v[6:9], v[14:15], v[2:3], v[6:9]
	s_nop 5
	v_add_co_u32_e32 v18, vcc, v22, v82
	v_addc_co_u32_e32 v19, vcc, v23, v83, vcc
	global_load_dwordx4 v[38:41], v[18:19], off
	global_load_dwordx4 v[34:37], v[18:19], off offset:16
	s_waitcnt vmcnt(7)
	v_mad_i64_i32 v[18:19], s[2:3], v33, s1, 0
	v_lshlrev_b64 v[64:65], 1, v[18:19]
	v_add_co_u32_e32 v2, vcc, v22, v64
	v_addc_co_u32_e32 v3, vcc, v23, v65, vcc
	global_load_dwordx4 v[30:33], v[2:3], off
	global_load_dwordx4 v[26:29], v[2:3], off offset:16
	v_mfma_f32_16x16x16f16 v[2:5], v[16:17], v[4:5], v[6:9]
	s_waitcnt vmcnt(8)
	v_mfma_f32_16x16x16f16 v[2:5], v[66:67], v[10:11], v[2:5]
	s_waitcnt vmcnt(7)
	s_nop 3
	v_mad_i64_i32 v[6:7], s[2:3], v63, s1, 0
	v_lshlrev_b64 v[62:63], 1, v[6:7]
	v_add_co_u32_e32 v6, vcc, v22, v62
	v_addc_co_u32_e32 v7, vcc, v23, v63, vcc
	v_mfma_f32_16x16x16f16 v[10:13], v[68:69], v[12:13], v[2:5]
	global_load_dwordx4 v[22:25], v[6:7], off
	global_load_dwordx4 v[18:21], v[6:7], off offset:16
	v_or_b32_e32 v6, 0x1000, v90
	v_add_co_u32_e32 v92, vcc, v88, v6
	v_addc_co_u32_e32 v93, vcc, 0, v89, vcc
	s_nop 1
	v_add_co_u32_e32 v2, vcc, v92, v80
	s_waitcnt vmcnt(8)
	v_mfma_f32_16x16x16f16 v[88:91], v[70:71], v[50:51], v[10:13]
	v_addc_co_u32_e32 v3, vcc, v93, v81, vcc
	v_add_co_u32_e32 v66, vcc, v92, v82
	v_addc_co_u32_e32 v67, vcc, v93, v83, vcc
	global_load_dwordx4 v[6:9], v[2:3], off
	s_nop 0
	global_load_dwordx4 v[2:5], v[2:3], off offset:16
	v_mfma_f32_16x16x16f16 v[50:53], v[72:73], v[52:53], v[88:91]
	global_load_dwordx4 v[14:17], v[66:67], off
	global_load_dwordx4 v[10:13], v[66:67], off offset:16
	v_pk_mul_f32 v[68:69], s[0:1], v[54:55] op_sel_hi:[0,1]
	v_pk_mul_f32 v[80:81], s[0:1], v[56:57] op_sel_hi:[0,1]
	;; [unrolled: 1-line block ×4, first 2 shown]
	s_nop 4
	v_pk_mul_f32 v[72:73], s[0:1], v[50:51] op_sel_hi:[0,1]
	v_and_b32_e32 v50, 0xc0, v0
	v_add_u32_e32 v50, s9, v50
	v_lshl_or_b32 v50, v1, 2, v50
	v_pk_mul_f32 v[66:67], s[0:1], v[52:53] op_sel_hi:[0,1]
	v_or_b32_e32 v53, 1, v50
	v_mov_b32_e32 v51, 0xff7fffff
	v_cmp_gt_i32_e64 s[28:29], s33, v50
	v_cmp_gt_i32_e64 s[30:31], s33, v53
	v_cndmask_b32_e64 v52, v51, v68, s[28:29]
	v_cndmask_b32_e64 v53, v51, v69, s[30:31]
	v_max3_f32 v52, v52, s41, v53
	v_or_b32_e32 v53, 2, v50
	v_or_b32_e32 v54, 3, v50
	v_cmp_gt_i32_e64 s[34:35], s33, v53
	v_cmp_gt_i32_e64 s[36:37], s33, v54
	v_cndmask_b32_e64 v53, v51, v80, s[34:35]
	v_cndmask_b32_e64 v54, v51, v81, s[36:37]
	v_max3_f32 v52, v52, v53, v54
	v_or_b32_e32 v53, 16, v50
	v_or_b32_e32 v54, 17, v50
	;; [unrolled: 7-line block ×7, first 2 shown]
	v_cmp_gt_i32_e32 vcc, s33, v53
	v_cmp_gt_i32_e64 s[0:1], s33, v50
	v_cndmask_b32_e32 v53, v51, v66, vcc
	v_cndmask_b32_e64 v50, v51, v67, s[0:1]
	v_max3_f32 v58, v52, v53, v50
	v_mbcnt_lo_u32_b32 v50, -1, 0
	v_mbcnt_hi_u32_b32 v59, -1, v50
	v_and_b32_e32 v50, 64, v59
	v_add_u32_e32 v60, 64, v50
	v_xor_b32_e32 v50, 32, v59
	v_cmp_lt_i32_e64 s[38:39], v50, v60
	v_cndmask_b32_e64 v50, v59, v50, s[38:39]
	v_lshlrev_b32_e32 v89, 2, v50
	ds_bpermute_b32 v61, v89, v58
	v_add_co_u32_e64 v50, s[38:39], v92, v64
	v_addc_co_u32_e64 v51, s[38:39], v93, v65, s[38:39]
	s_waitcnt lgkmcnt(0)
	v_max_f32_e32 v61, v61, v61
	v_max_f32_e32 v61, v58, v61
	v_xor_b32_e32 v58, 16, v59
	v_cmp_lt_i32_e64 s[38:39], v58, v60
	v_cndmask_b32_e64 v58, v59, v58, s[38:39]
	v_lshlrev_b32_e32 v90, 2, v58
	ds_bpermute_b32 v60, v90, v61
	v_add_co_u32_e64 v58, s[38:39], v92, v62
	v_addc_co_u32_e64 v59, s[38:39], v93, v63, s[38:39]
	s_waitcnt lgkmcnt(0)
	v_max_f32_e32 v60, v60, v60
	v_max_f32_e32 v88, v61, v60
	v_sub_f32_e32 v60, v68, v88
	v_mul_f32_e32 v60, 0x3fb8aa3b, v60
	v_exp_f32_e32 v68, v60
	v_sub_f32_e32 v60, v69, v88
	v_mul_f32_e32 v60, 0x3fb8aa3b, v60
	global_load_dwordx4 v[54:57], v[50:51], off
	s_nop 0
	global_load_dwordx4 v[50:53], v[50:51], off offset:16
	v_exp_f32_e32 v69, v60
	global_load_dwordx4 v[62:65], v[58:59], off
	s_nop 0
	global_load_dwordx4 v[58:61], v[58:59], off offset:16
	v_sub_f32_e32 v80, v80, v88
	v_mul_f32_e32 v80, 0x3fb8aa3b, v80
	v_sub_f32_e32 v81, v81, v88
	v_exp_f32_e32 v80, v80
	v_mul_f32_e32 v81, 0x3fb8aa3b, v81
	v_sub_f32_e32 v70, v70, v88
	v_exp_f32_e32 v81, v81
	v_mul_f32_e32 v70, 0x3fb8aa3b, v70
	v_sub_f32_e32 v71, v71, v88
	v_cndmask_b32_e64 v68, 0, v68, s[28:29]
	v_exp_f32_e32 v70, v70
	v_mul_f32_e32 v71, 0x3fb8aa3b, v71
	v_sub_f32_e32 v82, v82, v88
	v_add_f32_e32 v91, 0, v68
	v_cndmask_b32_e64 v69, 0, v69, s[30:31]
	v_exp_f32_e32 v71, v71
	v_mul_f32_e32 v82, 0x3fb8aa3b, v82
	v_sub_f32_e32 v83, v83, v88
	v_add_f32_e32 v91, v91, v69
	;; [unrolled: 5-line block ×10, first 2 shown]
	v_cndmask_b32_e64 v78, 0, v78, s[10:11]
	v_exp_f32_e32 v66, v66
	v_mul_f32_e32 v67, 0x3fb8aa3b, v67
	v_add_f32_e32 v91, v91, v78
	v_cndmask_b32_e64 v79, 0, v79, s[12:13]
	v_exp_f32_e32 v67, v67
	v_add_f32_e32 v91, v91, v79
	v_cndmask_b32_e64 v72, 0, v72, s[2:3]
	v_add_f32_e32 v91, v91, v72
	v_cndmask_b32_e64 v73, 0, v73, s[8:9]
	v_add_f32_e32 v91, v91, v73
	v_cndmask_b32_e32 v66, 0, v66, vcc
	v_add_f32_e32 v91, v91, v66
	v_cndmask_b32_e64 v67, 0, v67, s[0:1]
	v_add_f32_e32 v91, v91, v67
	ds_bpermute_b32 v89, v89, v91
	v_cmp_gt_u32_e32 vcc, 16, v86
	s_waitcnt lgkmcnt(0)
	s_barrier
	v_add_f32_e32 v89, v91, v89
	ds_bpermute_b32 v90, v90, v89
	s_and_saveexec_b64 s[0:1], vcc
	s_cbranch_execz .LBB185_15
; %bb.14:
	s_waitcnt lgkmcnt(0)
	v_add_f32_e32 v86, v89, v90
	v_lshlrev_b32_e32 v87, 2, v87
	ds_write2st64_b32 v87, v88, v86 offset1:1
.LBB185_15:
	s_or_b64 exec, exec, s[0:1]
	v_lshlrev_b32_e32 v87, 2, v84
	s_load_dword s2, s[4:5], 0x94
	s_waitcnt lgkmcnt(0)
	s_barrier
	ds_read2_b32 v[88:89], v87 offset1:16
	ds_read2_b32 v[90:91], v87 offset0:32 offset1:48
	ds_read2_b32 v[92:93], v87 offset0:64 offset1:80
	s_mul_i32 s3, s40, 14
	s_waitcnt lgkmcnt(2)
	v_max3_f32 v86, v88, s41, v89
	s_waitcnt lgkmcnt(1)
	v_max3_f32 v86, v86, v90, v91
	v_sub_f32_e32 v88, v88, v86
	v_mul_f32_e32 v88, 0x3fb8aa3b, v88
	v_exp_f32_e32 v94, v88
	v_sub_f32_e32 v88, v89, v86
	v_mul_f32_e32 v88, 0x3fb8aa3b, v88
	v_exp_f32_e32 v95, v88
	;; [unrolled: 3-line block ×3, first 2 shown]
	ds_read2_b32 v[88:89], v87 offset0:96 offset1:112
	v_sub_f32_e32 v87, v91, v86
	v_mul_f32_e32 v87, 0x3fb8aa3b, v87
	v_exp_f32_e32 v91, v87
	s_waitcnt lgkmcnt(1)
	v_fma_f32 v87, v94, v92, 0
	v_fmac_f32_e32 v87, v95, v93
	s_waitcnt lgkmcnt(0)
	v_fmac_f32_e32 v87, v90, v88
	v_fmac_f32_e32 v87, v91, v89
	v_add_f32_e32 v88, 0x358637bd, v87
	v_div_scale_f32 v89, s[0:1], v88, v88, 1.0
	v_rcp_f32_e32 v92, v89
	s_barrier
	v_fma_f32 v93, -v89, v92, 1.0
	v_fmac_f32_e32 v92, v93, v92
	v_div_scale_f32 v93, vcc, 1.0, v88, 1.0
	v_mul_f32_e32 v74, v93, v92
	v_fma_f32 v75, -v89, v74, v93
	v_fmac_f32_e32 v74, v75, v92
	v_fma_f32 v75, -v89, v74, v93
	v_div_fmas_f32 v74, v75, v92, v74
	v_cmp_eq_u32_e32 vcc, 1, v85
	v_cndmask_b32_e32 v75, v94, v95, vcc
	v_cmp_eq_u32_e32 vcc, 2, v85
	v_cndmask_b32_e32 v75, v75, v90, vcc
	v_cmp_eq_u32_e32 vcc, 3, v85
	v_div_fixup_f32 v74, v74, v88, 1.0
	v_cndmask_b32_e32 v75, v75, v91, vcc
	v_mul_f32_e32 v88, v75, v74
	v_pk_mul_f32 v[80:81], v[88:89], v[80:81] op_sel_hi:[0,1]
	v_cvt_f16_f32_e32 v74, v80
	v_cvt_f16_f32_e32 v75, v81
	v_pk_mul_f32 v[68:69], v[88:89], v[68:69] op_sel_hi:[0,1]
	v_cvt_f16_f32_e32 v68, v68
	v_cvt_f16_f32_e32 v69, v69
	v_pk_mul_f32 v[80:81], v[88:89], v[82:83] op_sel_hi:[0,1]
	v_pk_mul_f32 v[70:71], v[88:89], v[70:71] op_sel_hi:[0,1]
	v_pack_b32_f16 v91, v74, v75
	v_cvt_f16_f32_e32 v70, v70
	v_cvt_f16_f32_e32 v71, v71
	v_cvt_f16_f32_e32 v74, v80
	v_cvt_f16_f32_e32 v75, v81
	v_pack_b32_f16 v90, v68, v69
	v_lshlrev_b32_e32 v69, 3, v1
	v_lshlrev_b32_e32 v68, 5, v84
	;; [unrolled: 1-line block ×3, first 2 shown]
	v_or3_b32 v80, v80, v68, v69
	v_pack_b32_f16 v70, v70, v71
	v_pack_b32_f16 v71, v74, v75
	ds_write2st64_b64 v80, v[90:91], v[70:71] offset1:1
	v_pk_mul_f32 v[70:71], v[88:89], v[78:79] op_sel_hi:[0,1]
	v_pk_mul_f32 v[76:77], v[88:89], v[76:77] op_sel_hi:[0,1]
	v_cvt_f16_f32_e32 v69, v76
	v_cvt_f16_f32_e32 v75, v70
	;; [unrolled: 1-line block ×3, first 2 shown]
	v_pk_mul_f32 v[66:67], v[88:89], v[66:67] op_sel_hi:[0,1]
	v_pk_mul_f32 v[70:71], v[88:89], v[72:73] op_sel_hi:[0,1]
	v_cvt_f16_f32_e32 v74, v77
	v_cvt_f16_f32_e32 v70, v70
	;; [unrolled: 1-line block ×5, first 2 shown]
	v_pack_b32_f16 v66, v69, v74
	v_pack_b32_f16 v67, v75, v76
	;; [unrolled: 1-line block ×4, first 2 shown]
	v_cmp_gt_u32_e32 vcc, 14, v0
	ds_write2st64_b64 v80, v[66:67], v[70:71] offset0:2 offset1:3
	s_and_saveexec_b64 s[0:1], vcc
	s_cbranch_execz .LBB185_17
; %bb.16:
	v_add_co_u32_e32 v70, vcc, s27, v84
	v_addc_co_u32_e64 v71, s[12:13], 0, 0, vcc
	v_mov_b32_e32 v66, s3
	v_mov_b32_e32 v67, 0
	v_mad_u64_u32 v[70:71], s[12:13], s6, v66, v[70:71]
	v_mov_b32_e32 v66, s26
	s_load_dwordx4 s[8:11], s[4:5], 0x58
	s_mul_i32 s7, s7, s3
	v_mad_u64_u32 v[66:67], s[12:13], v70, s2, v[66:67]
	v_add_u32_e32 v69, s7, v71
	v_mov_b32_e32 v70, v67
	v_mad_u64_u32 v[70:71], s[12:13], v69, s2, v[70:71]
	v_mov_b32_e32 v67, v70
	v_lshlrev_b64 v[66:67], 2, v[66:67]
	s_waitcnt lgkmcnt(0)
	v_mov_b32_e32 v69, s11
	v_add_co_u32_e32 v70, vcc, s10, v66
	v_addc_co_u32_e32 v71, vcc, v69, v67, vcc
	v_mov_b32_e32 v69, s9
	v_add_co_u32_e32 v66, vcc, s8, v66
	v_addc_co_u32_e32 v67, vcc, v69, v67, vcc
	global_store_dword v[70:71], v86, off
	global_store_dword v[66:67], v87, off
.LBB185_17:
	s_or_b64 exec, exec, s[0:1]
	v_lshl_or_b32 v74, v1, 9, v68
	s_waitcnt lgkmcnt(0)
	s_barrier
	ds_read_b128 v[70:73], v74
	ds_read_b128 v[66:69], v74 offset:16
	s_waitcnt vmcnt(15) lgkmcnt(1)
	v_mfma_f32_16x16x16f16 v[76:79], v[46:47], v[70:71], 0
	s_mov_b32 s1, 0
	v_cmp_gt_u32_e32 vcc, 64, v0
	v_mfma_f32_16x16x16f16 v[46:49], v[48:49], v[72:73], v[76:79]
	s_waitcnt vmcnt(14) lgkmcnt(0)
	v_mfma_f32_16x16x16f16 v[46:49], v[42:43], v[66:67], v[46:49]
	v_mfma_f32_16x16x16f16 v[42:45], v[44:45], v[68:69], v[46:49]
	s_nop 7
	s_nop 1
	ds_read_b128 v[46:49], v74 offset:2048
	ds_read_b128 v[76:79], v74 offset:2064
	s_waitcnt vmcnt(13) lgkmcnt(1)
	v_mfma_f32_16x16x16f16 v[42:45], v[38:39], v[46:47], v[42:45]
	v_mfma_f32_16x16x16f16 v[38:41], v[40:41], v[48:49], v[42:45]
	s_waitcnt vmcnt(12) lgkmcnt(0)
	v_mfma_f32_16x16x16f16 v[38:41], v[34:35], v[76:77], v[38:41]
	v_mfma_f32_16x16x16f16 v[34:37], v[36:37], v[78:79], v[38:41]
	s_nop 7
	s_nop 1
	ds_read_b128 v[38:41], v74 offset:4096
	ds_read_b128 v[42:45], v74 offset:4112
	s_waitcnt vmcnt(11) lgkmcnt(1)
	v_mfma_f32_16x16x16f16 v[34:37], v[30:31], v[38:39], v[34:37]
	v_mfma_f32_16x16x16f16 v[30:33], v[32:33], v[40:41], v[34:37]
	s_waitcnt vmcnt(10) lgkmcnt(0)
	v_mfma_f32_16x16x16f16 v[30:33], v[26:27], v[42:43], v[30:33]
	v_mfma_f32_16x16x16f16 v[26:29], v[28:29], v[44:45], v[30:33]
	s_nop 7
	s_nop 1
	ds_read_b128 v[30:33], v74 offset:6144
	ds_read_b128 v[34:37], v74 offset:6160
	s_waitcnt lgkmcnt(0)
	s_barrier
	s_waitcnt vmcnt(9)
	v_mfma_f32_16x16x16f16 v[26:29], v[22:23], v[30:31], v[26:29]
	v_mfma_f32_16x16x16f16 v[22:25], v[24:25], v[32:33], v[26:29]
	s_waitcnt vmcnt(8)
	v_mfma_f32_16x16x16f16 v[22:25], v[18:19], v[34:35], v[22:25]
	v_mfma_f32_16x16x16f16 v[18:21], v[20:21], v[36:37], v[22:25]
	;; [unrolled: 3-line block ×4, first 2 shown]
	s_waitcnt vmcnt(5)
	v_mfma_f32_16x16x16f16 v[2:5], v[14:15], v[46:47], v[2:5]
	s_nop 7
	v_cvt_f16_f32_e32 v6, v18
	v_cvt_f16_f32_e32 v7, v19
	;; [unrolled: 1-line block ×4, first 2 shown]
	v_mfma_f32_16x16x16f16 v[2:5], v[16:17], v[48:49], v[2:5]
	s_waitcnt vmcnt(4)
	v_mfma_f32_16x16x16f16 v[2:5], v[10:11], v[76:77], v[2:5]
	v_mfma_f32_16x16x16f16 v[2:5], v[12:13], v[78:79], v[2:5]
	s_waitcnt vmcnt(3)
	v_mfma_f32_16x16x16f16 v[2:5], v[54:55], v[38:39], v[2:5]
	v_mfma_f32_16x16x16f16 v[2:5], v[56:57], v[40:41], v[2:5]
	s_waitcnt vmcnt(2)
	v_mfma_f32_16x16x16f16 v[2:5], v[50:51], v[42:43], v[2:5]
	v_mfma_f32_16x16x16f16 v[2:5], v[52:53], v[44:45], v[2:5]
	s_waitcnt vmcnt(1)
	v_mfma_f32_16x16x16f16 v[2:5], v[62:63], v[30:31], v[2:5]
	v_mfma_f32_16x16x16f16 v[2:5], v[64:65], v[32:33], v[2:5]
	s_waitcnt vmcnt(0)
	v_mfma_f32_16x16x16f16 v[2:5], v[58:59], v[34:35], v[2:5]
	v_mfma_f32_16x16x16f16 v[2:5], v[60:61], v[36:37], v[2:5]
	s_nop 7
	s_nop 2
	v_cvt_f16_f32_e32 v10, v2
	v_cvt_f16_f32_e32 v11, v3
	;; [unrolled: 1-line block ×4, first 2 shown]
	v_pack_b32_f16 v2, v6, v7
	v_pack_b32_f16 v3, v8, v9
	;; [unrolled: 1-line block ×4, first 2 shown]
	ds_write2st64_b64 v80, v[2:3], v[4:5] offset1:1
	s_waitcnt lgkmcnt(0)
	s_barrier
	s_and_saveexec_b64 s[8:9], vcc
	s_cbranch_execz .LBB185_20
; %bb.18:
	v_lshlrev_b32_e32 v4, 6, v84
	v_lshlrev_b32_e32 v3, 4, v0
	v_lshl_or_b32 v0, v0, 10, v4
	v_lshlrev_b32_e32 v2, 5, v1
	v_and_b32_e32 v3, 16, v3
	v_and_b32_e32 v0, 0x1a00, v0
	v_or3_b32 v0, v0, v2, v3
	ds_read_b128 v[6:9], v0 offset:256
	buffer_load_dword v10, off, s[44:47], 0 ; 4-byte Folded Reload
	buffer_load_dword v11, off, s[44:47], 0 offset:4 ; 4-byte Folded Reload
	s_load_dwordx2 s[4:5], s[4:5], 0x68
	s_lshl_b32 s2, s2, 7
	s_mul_i32 s0, s3, s6
	s_mul_hi_u32 s7, s0, s2
	s_mul_i32 s6, s0, s2
	s_lshl_b64 s[6:7], s[6:7], 1
	s_waitcnt lgkmcnt(0)
	s_add_u32 s3, s4, s6
	s_addc_u32 s4, s5, s7
	s_lshl_b32 s0, s26, 7
	s_lshl_b64 s[0:1], s[0:1], 1
	s_add_u32 s0, s3, s0
	s_addc_u32 s1, s4, s1
	v_mov_b32_e32 v4, s1
	v_or_b32_e32 v2, 12, v1
	v_add_u32_e32 v1, s27, v1
	v_add_u32_e32 v5, 4, v1
	s_waitcnt vmcnt(1)
	v_add_co_u32_e32 v3, vcc, s0, v10
	s_waitcnt vmcnt(0)
	v_addc_co_u32_e32 v4, vcc, v4, v11, vcc
	ds_read_b128 v[10:13], v0 offset:128
	ds_read_b128 v[14:17], v0
	v_mad_u64_u32 v[18:19], s[0:1], v1, s2, 0
	v_lshlrev_b64 v[18:19], 1, v[18:19]
	v_add_co_u32_e32 v18, vcc, v3, v18
	v_addc_co_u32_e32 v19, vcc, v4, v19, vcc
	s_waitcnt lgkmcnt(0)
	global_store_dwordx4 v[18:19], v[14:17], off
	v_add_u32_e32 v1, 8, v1
	v_mad_u64_u32 v[14:15], s[0:1], v5, s2, 0
	v_lshlrev_b64 v[14:15], 1, v[14:15]
	v_add_co_u32_e32 v14, vcc, v3, v14
	v_addc_co_u32_e32 v15, vcc, v4, v15, vcc
	global_store_dwordx4 v[14:15], v[10:13], off
	s_nop 0
	v_mad_u64_u32 v[10:11], s[0:1], v1, s2, 0
	v_lshlrev_b64 v[10:11], 1, v[10:11]
	v_add_co_u32_e32 v10, vcc, v3, v10
	v_addc_co_u32_e32 v11, vcc, v4, v11, vcc
	v_cmp_gt_u32_e32 vcc, 14, v2
	global_store_dwordx4 v[10:11], v[6:9], off
	s_and_b64 exec, exec, vcc
	s_cbranch_execz .LBB185_20
; %bb.19:
	ds_read_b128 v[6:9], v0 offset:384
	v_add_u32_e32 v0, s27, v2
	v_mad_u64_u32 v[0:1], s[0:1], v0, s2, 0
	v_lshlrev_b64 v[0:1], 1, v[0:1]
	v_add_co_u32_e32 v0, vcc, v3, v0
	v_addc_co_u32_e32 v1, vcc, v4, v1, vcc
	s_waitcnt lgkmcnt(0)
	global_store_dwordx4 v[0:1], v[6:9], off
.LBB185_20:
	s_endpgm
	.section	.rodata,"a",@progbits
	.p2align	6, 0x0
	.amdhsa_kernel _Z39paged_attention_ll4mi_QKV_mfma16_kernelIDF16_DF16_LN4vllm18Fp8KVCacheDataTypeE0EDF16_Li32ELi128ELi256ELb0ELi14EL8MFMAType0EEvPKT_PKT0_S8_ifPKiSA_SA_iPKfiiiPfSD_PS3_PT2_iSC_SC_
		.amdhsa_group_segment_fixed_size 8192
		.amdhsa_private_segment_fixed_size 12
		.amdhsa_kernarg_size 400
		.amdhsa_user_sgpr_count 6
		.amdhsa_user_sgpr_private_segment_buffer 1
		.amdhsa_user_sgpr_dispatch_ptr 0
		.amdhsa_user_sgpr_queue_ptr 0
		.amdhsa_user_sgpr_kernarg_segment_ptr 1
		.amdhsa_user_sgpr_dispatch_id 0
		.amdhsa_user_sgpr_flat_scratch_init 0
		.amdhsa_user_sgpr_kernarg_preload_length 0
		.amdhsa_user_sgpr_kernarg_preload_offset 0
		.amdhsa_user_sgpr_private_segment_size 0
		.amdhsa_uses_dynamic_stack 0
		.amdhsa_system_sgpr_private_segment_wavefront_offset 1
		.amdhsa_system_sgpr_workgroup_id_x 1
		.amdhsa_system_sgpr_workgroup_id_y 1
		.amdhsa_system_sgpr_workgroup_id_z 1
		.amdhsa_system_sgpr_workgroup_info 0
		.amdhsa_system_vgpr_workitem_id 0
		.amdhsa_next_free_vgpr 96
		.amdhsa_next_free_sgpr 48
		.amdhsa_accum_offset 96
		.amdhsa_reserve_vcc 1
		.amdhsa_reserve_flat_scratch 0
		.amdhsa_float_round_mode_32 0
		.amdhsa_float_round_mode_16_64 0
		.amdhsa_float_denorm_mode_32 3
		.amdhsa_float_denorm_mode_16_64 3
		.amdhsa_dx10_clamp 1
		.amdhsa_ieee_mode 1
		.amdhsa_fp16_overflow 0
		.amdhsa_tg_split 0
		.amdhsa_exception_fp_ieee_invalid_op 0
		.amdhsa_exception_fp_denorm_src 0
		.amdhsa_exception_fp_ieee_div_zero 0
		.amdhsa_exception_fp_ieee_overflow 0
		.amdhsa_exception_fp_ieee_underflow 0
		.amdhsa_exception_fp_ieee_inexact 0
		.amdhsa_exception_int_div_zero 0
	.end_amdhsa_kernel
	.section	.text._Z39paged_attention_ll4mi_QKV_mfma16_kernelIDF16_DF16_LN4vllm18Fp8KVCacheDataTypeE0EDF16_Li32ELi128ELi256ELb0ELi14EL8MFMAType0EEvPKT_PKT0_S8_ifPKiSA_SA_iPKfiiiPfSD_PS3_PT2_iSC_SC_,"axG",@progbits,_Z39paged_attention_ll4mi_QKV_mfma16_kernelIDF16_DF16_LN4vllm18Fp8KVCacheDataTypeE0EDF16_Li32ELi128ELi256ELb0ELi14EL8MFMAType0EEvPKT_PKT0_S8_ifPKiSA_SA_iPKfiiiPfSD_PS3_PT2_iSC_SC_,comdat
.Lfunc_end185:
	.size	_Z39paged_attention_ll4mi_QKV_mfma16_kernelIDF16_DF16_LN4vllm18Fp8KVCacheDataTypeE0EDF16_Li32ELi128ELi256ELb0ELi14EL8MFMAType0EEvPKT_PKT0_S8_ifPKiSA_SA_iPKfiiiPfSD_PS3_PT2_iSC_SC_, .Lfunc_end185-_Z39paged_attention_ll4mi_QKV_mfma16_kernelIDF16_DF16_LN4vllm18Fp8KVCacheDataTypeE0EDF16_Li32ELi128ELi256ELb0ELi14EL8MFMAType0EEvPKT_PKT0_S8_ifPKiSA_SA_iPKfiiiPfSD_PS3_PT2_iSC_SC_
                                        ; -- End function
	.section	.AMDGPU.csdata,"",@progbits
; Kernel info:
; codeLenInByte = 4864
; NumSgprs: 52
; NumVgprs: 96
; NumAgprs: 0
; TotalNumVgprs: 96
; ScratchSize: 12
; MemoryBound: 0
; FloatMode: 240
; IeeeMode: 1
; LDSByteSize: 8192 bytes/workgroup (compile time only)
; SGPRBlocks: 6
; VGPRBlocks: 11
; NumSGPRsForWavesPerEU: 52
; NumVGPRsForWavesPerEU: 96
; AccumOffset: 96
; Occupancy: 5
; WaveLimiterHint : 1
; COMPUTE_PGM_RSRC2:SCRATCH_EN: 1
; COMPUTE_PGM_RSRC2:USER_SGPR: 6
; COMPUTE_PGM_RSRC2:TRAP_HANDLER: 0
; COMPUTE_PGM_RSRC2:TGID_X_EN: 1
; COMPUTE_PGM_RSRC2:TGID_Y_EN: 1
; COMPUTE_PGM_RSRC2:TGID_Z_EN: 1
; COMPUTE_PGM_RSRC2:TIDIG_COMP_CNT: 0
; COMPUTE_PGM_RSRC3_GFX90A:ACCUM_OFFSET: 23
; COMPUTE_PGM_RSRC3_GFX90A:TG_SPLIT: 0
	.section	.text._Z39paged_attention_ll4mi_QKV_mfma16_kernelIDF16_DF16_LN4vllm18Fp8KVCacheDataTypeE0EDF16_Li32ELi128ELi256ELb0ELi15EL8MFMAType0EEvPKT_PKT0_S8_ifPKiSA_SA_iPKfiiiPfSD_PS3_PT2_iSC_SC_,"axG",@progbits,_Z39paged_attention_ll4mi_QKV_mfma16_kernelIDF16_DF16_LN4vllm18Fp8KVCacheDataTypeE0EDF16_Li32ELi128ELi256ELb0ELi15EL8MFMAType0EEvPKT_PKT0_S8_ifPKiSA_SA_iPKfiiiPfSD_PS3_PT2_iSC_SC_,comdat
	.protected	_Z39paged_attention_ll4mi_QKV_mfma16_kernelIDF16_DF16_LN4vllm18Fp8KVCacheDataTypeE0EDF16_Li32ELi128ELi256ELb0ELi15EL8MFMAType0EEvPKT_PKT0_S8_ifPKiSA_SA_iPKfiiiPfSD_PS3_PT2_iSC_SC_ ; -- Begin function _Z39paged_attention_ll4mi_QKV_mfma16_kernelIDF16_DF16_LN4vllm18Fp8KVCacheDataTypeE0EDF16_Li32ELi128ELi256ELb0ELi15EL8MFMAType0EEvPKT_PKT0_S8_ifPKiSA_SA_iPKfiiiPfSD_PS3_PT2_iSC_SC_
	.globl	_Z39paged_attention_ll4mi_QKV_mfma16_kernelIDF16_DF16_LN4vllm18Fp8KVCacheDataTypeE0EDF16_Li32ELi128ELi256ELb0ELi15EL8MFMAType0EEvPKT_PKT0_S8_ifPKiSA_SA_iPKfiiiPfSD_PS3_PT2_iSC_SC_
	.p2align	8
	.type	_Z39paged_attention_ll4mi_QKV_mfma16_kernelIDF16_DF16_LN4vllm18Fp8KVCacheDataTypeE0EDF16_Li32ELi128ELi256ELb0ELi15EL8MFMAType0EEvPKT_PKT0_S8_ifPKiSA_SA_iPKfiiiPfSD_PS3_PT2_iSC_SC_,@function
_Z39paged_attention_ll4mi_QKV_mfma16_kernelIDF16_DF16_LN4vllm18Fp8KVCacheDataTypeE0EDF16_Li32ELi128ELi256ELb0ELi15EL8MFMAType0EEvPKT_PKT0_S8_ifPKiSA_SA_iPKfiiiPfSD_PS3_PT2_iSC_SC_: ; @_Z39paged_attention_ll4mi_QKV_mfma16_kernelIDF16_DF16_LN4vllm18Fp8KVCacheDataTypeE0EDF16_Li32ELi128ELi256ELb0ELi15EL8MFMAType0EEvPKT_PKT0_S8_ifPKiSA_SA_iPKfiiiPfSD_PS3_PT2_iSC_SC_
; %bb.0:
	s_mov_b64 s[46:47], s[2:3]
	s_mov_b64 s[44:45], s[0:1]
	s_load_dwordx2 s[0:1], s[4:5], 0x30
	s_add_u32 s44, s44, s9
	s_addc_u32 s45, s45, 0
	s_mov_b32 s26, s7
	s_mov_b64 s[10:11], 0
	s_waitcnt lgkmcnt(0)
	s_cmp_lg_u64 s[0:1], 0
	s_cselect_b64 s[2:3], -1, 0
	s_and_b64 vcc, exec, s[2:3]
	s_cbranch_vccz .LBB186_7
; %bb.1:
	s_add_i32 s12, s6, 1
	s_mov_b32 s13, 0
	s_lshl_b64 s[14:15], s[12:13], 2
	s_add_u32 s14, s0, s14
	s_mov_b32 s7, s13
	s_addc_u32 s15, s1, s15
	s_lshl_b64 s[12:13], s[6:7], 2
	s_add_u32 s12, s0, s12
	s_addc_u32 s13, s1, s13
	s_load_dword s9, s[14:15], 0x0
	s_load_dword s16, s[12:13], 0x0
	s_waitcnt lgkmcnt(0)
	s_sub_i32 s9, s9, s16
	s_cmp_eq_u32 s9, 1
	s_cselect_b64 s[12:13], -1, 0
	s_andn2_b64 vcc, exec, s[10:11]
	s_cbranch_vccnz .LBB186_3
.LBB186_2:
	s_mov_b32 s7, 0
	s_mov_b64 s[12:13], -1
.LBB186_3:
	s_andn2_b64 vcc, exec, s[12:13]
	s_cbranch_vccnz .LBB186_20
; %bb.4:
	s_load_dwordx2 s[12:13], s[4:5], 0x28
	s_lshl_b64 s[10:11], s[6:7], 2
	s_waitcnt lgkmcnt(0)
	s_add_u32 s12, s12, s10
	s_addc_u32 s13, s13, s11
	s_load_dword s33, s[12:13], 0x0
	s_lshl_b32 s9, s26, 8
	s_waitcnt lgkmcnt(0)
	s_cmp_ge_i32 s9, s33
	s_cbranch_scc1 .LBB186_20
; %bb.5:
	s_add_i32 s15, s33, 31
	s_load_dwordx2 s[12:13], s[4:5], 0x20
	s_load_dword s14, s[4:5], 0x38
	s_ashr_i32 s16, s15, 31
	v_and_b32_e32 v1, 0xcf, v0
	s_lshr_b32 s16, s16, 27
	v_add_u32_e32 v1, s9, v1
	s_add_i32 s15, s15, s16
	v_ashrrev_i32_e32 v2, 31, v1
	s_ashr_i32 s18, s15, 5
	v_lshrrev_b32_e32 v10, 27, v2
	s_add_i32 s18, s18, -1
	v_add_u32_e32 v2, v1, v10
	s_waitcnt lgkmcnt(0)
	s_mul_i32 s14, s6, s14
	s_mov_b32 s15, 0
	v_ashrrev_i32_e32 v2, 5, v2
	v_mov_b32_e32 v11, s18
	v_cmp_gt_i32_e32 vcc, s33, v1
	s_lshl_b64 s[14:15], s[14:15], 2
	v_cndmask_b32_e32 v2, v11, v2, vcc
	s_add_u32 s16, s12, s14
	v_ashrrev_i32_e32 v3, 31, v2
	s_addc_u32 s17, s13, s15
	v_lshlrev_b64 v[2:3], 2, v[2:3]
	v_mov_b32_e32 v4, s17
	v_add_co_u32_e32 v2, vcc, s16, v2
	v_addc_co_u32_e32 v3, vcc, v4, v3, vcc
	v_or_b32_e32 v4, 16, v1
	v_add_u32_e32 v5, v4, v10
	v_ashrrev_i32_e32 v5, 5, v5
	v_cmp_gt_i32_e32 vcc, s33, v4
	v_cndmask_b32_e32 v4, v11, v5, vcc
	v_ashrrev_i32_e32 v5, 31, v4
	v_lshlrev_b64 v[4:5], 2, v[4:5]
	v_mov_b32_e32 v7, s17
	v_add_co_u32_e32 v6, vcc, s16, v4
	v_or_b32_e32 v4, 32, v1
	v_addc_co_u32_e32 v7, vcc, v7, v5, vcc
	v_add_u32_e32 v5, v4, v10
	v_ashrrev_i32_e32 v5, 5, v5
	v_cmp_gt_i32_e32 vcc, s33, v4
	v_cndmask_b32_e32 v4, v11, v5, vcc
	v_ashrrev_i32_e32 v5, 31, v4
	v_lshlrev_b64 v[4:5], 2, v[4:5]
	v_mov_b32_e32 v9, s17
	v_add_co_u32_e32 v8, vcc, s16, v4
	v_or_b32_e32 v1, 48, v1
	v_addc_co_u32_e32 v9, vcc, v9, v5, vcc
	v_add_u32_e32 v4, v1, v10
	v_ashrrev_i32_e32 v4, 5, v4
	v_cmp_gt_i32_e32 vcc, s33, v1
	v_cndmask_b32_e32 v4, v11, v4, vcc
	v_ashrrev_i32_e32 v5, 31, v4
	v_lshlrev_b64 v[4:5], 2, v[4:5]
	v_mov_b32_e32 v1, s17
	v_add_co_u32_e32 v10, vcc, s16, v4
	v_addc_co_u32_e32 v11, vcc, v1, v5, vcc
	global_load_dword v5, v[2:3], off
	global_load_dword v4, v[6:7], off
	;; [unrolled: 1-line block ×4, first 2 shown]
	s_andn2_b64 vcc, exec, s[2:3]
	s_cbranch_vccnz .LBB186_8
; %bb.6:
	s_add_u32 s0, s0, s10
	s_addc_u32 s1, s1, s11
	s_load_dword s19, s[0:1], 0x0
	s_branch .LBB186_9
.LBB186_7:
	s_mov_b64 s[12:13], 0
	s_branch .LBB186_2
.LBB186_8:
	s_mov_b32 s19, s6
.LBB186_9:
	s_load_dwordx4 s[12:15], s[4:5], 0x8
	s_load_dwordx4 s[0:3], s[4:5], 0x48
	v_lshrrev_b32_e32 v85, 6, v0
	v_bfe_u32 v1, v0, 4, 2
	v_lshl_or_b32 v6, v85, 2, v1
	v_and_b32_e32 v84, 15, v0
	v_lshlrev_b32_e32 v2, 3, v84
	v_cmp_lt_u32_e32 vcc, 14, v6
	s_and_saveexec_b64 s[10:11], vcc
	s_xor_b64 s[10:11], exec, s[10:11]
; %bb.10:
	v_mov_b32_e32 v3, 0
                                        ; implicit-def: $vgpr6
; %bb.11:
	s_or_saveexec_b64 s[10:11], s[10:11]
	v_and_b32_e32 v86, 63, v0
	s_mul_i32 s27, s8, 15
	s_xor_b64 exec, exec, s[10:11]
	s_cbranch_execz .LBB186_13
; %bb.12:
	s_load_dwordx2 s[20:21], s[4:5], 0x0
	s_waitcnt lgkmcnt(0)
	s_ashr_i32 s3, s0, 31
	s_mul_hi_u32 s22, s19, s0
	s_mul_i32 s3, s19, s3
	s_add_i32 s23, s22, s3
	s_mul_i32 s22, s19, s0
	s_lshl_b64 s[22:23], s[22:23], 1
	v_add_lshl_u32 v8, v6, s27, 7
	s_add_u32 s0, s20, s22
	v_ashrrev_i32_e32 v9, 31, v8
	s_addc_u32 s3, s21, s23
	v_lshlrev_b64 v[8:9], 1, v[8:9]
	v_mov_b32_e32 v3, s3
	v_add_co_u32_e32 v7, vcc, s0, v8
	v_addc_co_u32_e32 v3, vcc, v3, v9, vcc
	v_lshlrev_b32_e32 v8, 1, v2
	v_add_co_u32_e32 v8, vcc, v7, v8
	v_addc_co_u32_e32 v9, vcc, 0, v3, vcc
	global_load_dwordx4 v[8:11], v[8:9], off
	v_and_b32_e32 v7, 3, v0
	v_lshlrev_b32_e32 v12, 9, v84
	v_lshlrev_b32_e32 v6, 5, v6
	;; [unrolled: 1-line block ×3, first 2 shown]
	v_and_b32_e32 v12, 0x1800, v12
	v_mov_b32_e32 v3, 0
	v_or3_b32 v6, v12, v7, v6
	s_waitcnt vmcnt(0)
	ds_write_b128 v6, v[8:11]
.LBB186_13:
	s_or_b64 exec, exec, s[10:11]
	s_waitcnt lgkmcnt(0)
	s_mov_b32 s3, 0
	s_mul_i32 s2, s8, s2
	s_lshl_b64 s[2:3], s[2:3], 1
	s_add_u32 s8, s12, s2
	s_addc_u32 s10, s13, s3
	s_waitcnt vmcnt(3)
	v_mad_i64_i32 v[6:7], s[12:13], v5, s1, 0
	v_lshlrev_b64 v[6:7], 1, v[6:7]
	v_mov_b32_e32 v5, s10
	v_add_co_u32_e32 v6, vcc, s8, v6
	v_addc_co_u32_e32 v5, vcc, v5, v7, vcc
	v_lshlrev_b64 v[60:61], 1, v[2:3]
	v_add_co_u32_e32 v27, vcc, v6, v60
	v_lshlrev_b32_e32 v26, 9, v1
	v_addc_co_u32_e32 v28, vcc, v5, v61, vcc
	v_add_co_u32_e32 v2, vcc, v27, v26
	v_addc_co_u32_e32 v3, vcc, 0, v28, vcc
	s_load_dword s40, s[4:5], 0x98
	s_load_dword s0, s[4:5], 0x1c
	s_waitcnt lgkmcnt(0)
	s_barrier
	global_load_dwordx4 v[10:13], v[2:3], off
	s_waitcnt vmcnt(3)
	v_mad_i64_i32 v[4:5], s[12:13], v4, s1, 0
	v_lshlrev_b64 v[4:5], 1, v[4:5]
	v_mov_b32_e32 v6, s10
	v_add_co_u32_e32 v4, vcc, s8, v4
	v_addc_co_u32_e32 v5, vcc, v6, v5, vcc
	v_mov_b32_e32 v6, 0x100
	v_lshl_or_b32 v29, v84, 4, v6
	v_add_co_u32_e32 v30, vcc, v4, v29
	v_addc_co_u32_e32 v31, vcc, 0, v5, vcc
	v_add_co_u32_e32 v22, vcc, v30, v26
	v_addc_co_u32_e32 v23, vcc, 0, v31, vcc
	global_load_dwordx4 v[18:21], v[22:23], off
	global_load_dwordx4 v[14:17], v[2:3], off offset:2048
	v_cmp_ne_u32_e32 vcc, 15, v84
	v_cndmask_b32_e32 v2, 0, v84, vcc
	v_lshl_or_b32 v32, v2, 5, v26
	ds_read_b128 v[6:9], v32
	ds_read_b128 v[2:5], v32 offset:2048
	v_or_b32_e32 v58, 0x1000, v26
	global_load_dwordx4 v[38:41], v[22:23], off offset:2048
	v_add_co_u32_e32 v22, vcc, v27, v58
	v_addc_co_u32_e32 v23, vcc, 0, v28, vcc
	v_or_b32_e32 v62, 0x1800, v26
	s_ashr_i32 s11, s9, 31
	v_and_or_b32 v63, v0, 48, s9
	v_mov_b32_e32 v64, s18
	v_lshl_or_b32 v87, v85, 4, v84
	v_lshlrev_b32_e32 v90, 6, v87
	s_mov_b32 s41, 0xff7fffff
	s_waitcnt vmcnt(3) lgkmcnt(1)
	v_mfma_f32_16x16x16f16 v[34:37], v[10:11], v[6:7], 0
	s_waitcnt vmcnt(2)
	v_mfma_f32_16x16x16f16 v[42:45], v[18:19], v[6:7], 0
	v_mfma_f32_16x16x16f16 v[10:13], v[12:13], v[8:9], v[34:37]
	s_nop 7
	global_load_dwordx4 v[34:37], v[22:23], off
	v_add_co_u32_e32 v22, vcc, v30, v58
	v_addc_co_u32_e32 v23, vcc, 0, v31, vcc
	v_mfma_f32_16x16x16f16 v[18:21], v[20:21], v[8:9], v[42:45]
	global_load_dwordx4 v[46:49], v[22:23], off
	s_waitcnt vmcnt(3) lgkmcnt(0)
	v_mfma_f32_16x16x16f16 v[42:45], v[14:15], v[2:3], v[10:13]
	s_nop 6
	v_add_co_u32_e32 v10, vcc, v27, v62
	v_addc_co_u32_e32 v11, vcc, 0, v28, vcc
	global_load_dwordx4 v[54:57], v[10:11], off
	v_mad_i64_i32 v[10:11], s[12:13], v25, s1, 0
	v_add_co_u32_e32 v30, vcc, v30, v62
	v_lshlrev_b64 v[22:23], 1, v[10:11]
	v_addc_co_u32_e32 v31, vcc, 0, v31, vcc
	v_mov_b32_e32 v25, s10
	v_add_co_u32_e32 v22, vcc, s8, v22
	v_addc_co_u32_e32 v23, vcc, v25, v23, vcc
	ds_read_b128 v[10:13], v32 offset:4096
	ds_read_b128 v[50:53], v32 offset:6144
	global_load_dwordx4 v[30:33], v[30:31], off
	v_add_co_u32_e32 v27, vcc, v22, v60
	buffer_store_dword v60, off, s[44:47], 0 ; 4-byte Folded Spill
	s_nop 0
	buffer_store_dword v61, off, s[44:47], 0 offset:4 ; 4-byte Folded Spill
	s_waitcnt vmcnt(6)
	v_mfma_f32_16x16x16f16 v[18:21], v[38:39], v[2:3], v[18:21]
	v_mov_b32_e32 v28, s10
	s_lshr_b32 s10, s11, 27
	s_add_u32 s2, s14, s2
	s_addc_u32 s3, s15, s3
	v_addc_co_u32_e32 v59, vcc, v23, v61, vcc
	v_add_co_u32_e32 v22, vcc, v27, v26
	v_addc_co_u32_e32 v23, vcc, 0, v59, vcc
	v_mfma_f32_16x16x16f16 v[14:17], v[16:17], v[4:5], v[42:45]
	v_mfma_f32_16x16x16f16 v[18:21], v[40:41], v[4:5], v[18:21]
	global_load_dwordx4 v[38:41], v[22:23], off
	s_nop 4
	global_load_dwordx4 v[42:45], v[22:23], off offset:2048
	v_mad_i64_i32 v[22:23], s[12:13], v24, s1, 0
	s_waitcnt vmcnt(7) lgkmcnt(1)
	v_mfma_f32_16x16x16f16 v[14:17], v[34:35], v[10:11], v[14:17]
	v_lshlrev_b64 v[34:35], 1, v[22:23]
	v_add_co_u32_e32 v22, vcc, v27, v58
	v_addc_co_u32_e32 v23, vcc, 0, v59, vcc
	global_load_dwordx4 v[22:25], v[22:23], off
	v_add_co_u32_e32 v34, vcc, s8, v34
	s_waitcnt vmcnt(7)
	v_mfma_f32_16x16x16f16 v[18:21], v[46:47], v[10:11], v[18:21]
	v_addc_co_u32_e32 v28, vcc, v28, v35, vcc
	v_add_co_u32_e32 v65, vcc, v34, v29
	v_addc_co_u32_e32 v70, vcc, 0, v28, vcc
	v_add_co_u32_e32 v28, vcc, v27, v62
	v_mfma_f32_16x16x16f16 v[14:17], v[36:37], v[12:13], v[14:17]
	v_addc_co_u32_e32 v29, vcc, 0, v59, vcc
	v_add_co_u32_e32 v46, vcc, v65, v26
	v_addc_co_u32_e32 v47, vcc, 0, v70, vcc
	v_add_u32_e32 v35, s10, v63
	v_mfma_f32_16x16x16f16 v[18:21], v[48:49], v[12:13], v[18:21]
	v_add_co_u32_e32 v48, vcc, v65, v58
	v_addc_co_u32_e32 v49, vcc, 0, v70, vcc
	v_ashrrev_i32_e32 v60, 5, v35
	v_cmp_gt_i32_e32 vcc, s33, v63
	s_waitcnt vmcnt(6) lgkmcnt(0)
	v_mfma_f32_16x16x16f16 v[14:17], v[54:55], v[50:51], v[14:17]
	s_waitcnt vmcnt(5)
	v_mfma_f32_16x16x16f16 v[18:21], v[30:31], v[50:51], v[18:21]
	v_mov_b32_e32 v31, s17
	v_mfma_f32_16x16x16f16 v[54:57], v[56:57], v[52:53], v[14:17]
	global_load_dwordx4 v[26:29], v[28:29], off
	s_nop 0
	global_load_dwordx4 v[34:37], v[46:47], off
	s_nop 3
	global_load_dwordx4 v[14:17], v[46:47], off offset:2048
	v_cndmask_b32_e32 v46, v64, v60, vcc
	v_ashrrev_i32_e32 v47, 31, v46
	v_lshlrev_b64 v[46:47], 2, v[46:47]
	v_add_co_u32_e32 v30, vcc, s16, v46
	v_addc_co_u32_e32 v31, vcc, v31, v47, vcc
	global_load_dword v46, v[30:31], off
	v_or_b32_e32 v30, 64, v63
	v_mfma_f32_16x16x16f16 v[58:61], v[32:33], v[52:53], v[18:21]
	v_cmp_gt_i32_e32 vcc, s33, v30
	v_mov_b32_e32 v32, s17
	v_mov_b32_e32 v33, s17
	global_load_dwordx4 v[66:69], v[48:49], off
	s_nop 2
	v_add_u32_e32 v18, s10, v30
	v_ashrrev_i32_e32 v18, 5, v18
	v_cndmask_b32_e32 v18, v64, v18, vcc
	v_ashrrev_i32_e32 v19, 31, v18
	v_lshlrev_b64 v[30:31], 2, v[18:19]
	v_add_co_u32_e32 v30, vcc, s16, v30
	v_addc_co_u32_e32 v31, vcc, v32, v31, vcc
	global_load_dword v32, v[30:31], off
	s_waitcnt vmcnt(8)
	v_mfma_f32_16x16x16f16 v[18:21], v[38:39], v[6:7], 0
	v_or_b32_e32 v30, 0x80, v63
	v_add_u32_e32 v31, s10, v30
	v_ashrrev_i32_e32 v31, 5, v31
	v_cmp_gt_i32_e32 vcc, s33, v30
	v_cndmask_b32_e32 v30, v64, v31, vcc
	v_ashrrev_i32_e32 v31, 31, v30
	v_lshlrev_b64 v[30:31], 2, v[30:31]
	v_mfma_f32_16x16x16f16 v[18:21], v[40:41], v[8:9], v[18:21]
	v_add_co_u32_e32 v30, vcc, s16, v30
	v_addc_co_u32_e32 v31, vcc, v33, v31, vcc
	global_load_dword v33, v[30:31], off
	v_or_b32_e32 v30, 0xc0, v63
	v_add_u32_e32 v31, s10, v30
	s_waitcnt vmcnt(8)
	v_mfma_f32_16x16x16f16 v[18:21], v[42:43], v[2:3], v[18:21]
	v_ashrrev_i32_e32 v31, 5, v31
	v_cmp_gt_i32_e32 vcc, s33, v30
	v_cndmask_b32_e32 v30, v64, v31, vcc
	v_ashrrev_i32_e32 v31, 31, v30
	v_lshlrev_b64 v[30:31], 2, v[30:31]
	v_mov_b32_e32 v38, s17
	v_add_co_u32_e32 v30, vcc, s16, v30
	v_mfma_f32_16x16x16f16 v[18:21], v[44:45], v[4:5], v[18:21]
	v_addc_co_u32_e32 v31, vcc, v38, v31, vcc
	global_load_dword v63, v[30:31], off
	s_waitcnt vmcnt(8)
	v_mfma_f32_16x16x16f16 v[18:21], v[22:23], v[10:11], v[18:21]
	v_add_co_u32_e32 v22, vcc, v65, v62
	v_addc_co_u32_e32 v23, vcc, 0, v70, vcc
	global_load_dwordx4 v[70:73], v[22:23], off
	v_and_b32_e32 v22, 16, v0
	v_lshlrev_b32_e32 v22, 1, v22
	v_mfma_f32_16x16x16f16 v[18:21], v[24:25], v[12:13], v[18:21]
	v_mov_b32_e32 v23, s3
	v_add_co_u32_e32 v88, vcc, s2, v22
	v_addc_co_u32_e32 v89, vcc, 0, v23, vcc
	v_add_co_u32_e32 v22, vcc, v88, v90
	s_waitcnt vmcnt(8)
	v_mfma_f32_16x16x16f16 v[18:21], v[26:27], v[50:51], v[18:21]
	v_addc_co_u32_e32 v23, vcc, 0, v89, vcc
	v_mfma_f32_16x16x16f16 v[76:79], v[28:29], v[52:53], v[18:21]
	s_waitcnt vmcnt(5)
	s_nop 7
	v_mad_i64_i32 v[18:19], s[2:3], v46, s1, 0
	v_lshlrev_b64 v[80:81], 1, v[18:19]
	v_mfma_f32_16x16x16f16 v[18:21], v[34:35], v[6:7], 0
	v_add_co_u32_e32 v6, vcc, v22, v80
	v_addc_co_u32_e32 v7, vcc, v23, v81, vcc
	global_load_dwordx4 v[46:49], v[6:7], off
	global_load_dwordx4 v[42:45], v[6:7], off offset:16
	v_pk_mul_f32 v[76:77], s[0:1], v[76:77] op_sel_hi:[0,1]
	v_pk_mul_f32 v[78:79], s[0:1], v[78:79] op_sel_hi:[0,1]
	s_waitcnt vmcnt(5)
	v_mad_i64_i32 v[6:7], s[2:3], v32, s1, 0
	v_lshlrev_b64 v[82:83], 1, v[6:7]
	v_mfma_f32_16x16x16f16 v[6:9], v[36:37], v[8:9], v[18:21]
	v_mfma_f32_16x16x16f16 v[6:9], v[14:15], v[2:3], v[6:9]
	s_nop 5
	v_add_co_u32_e32 v18, vcc, v22, v82
	v_addc_co_u32_e32 v19, vcc, v23, v83, vcc
	global_load_dwordx4 v[38:41], v[18:19], off
	global_load_dwordx4 v[34:37], v[18:19], off offset:16
	s_waitcnt vmcnt(6)
	v_mad_i64_i32 v[18:19], s[2:3], v33, s1, 0
	v_lshlrev_b64 v[64:65], 1, v[18:19]
	v_add_co_u32_e32 v2, vcc, v22, v64
	v_addc_co_u32_e32 v3, vcc, v23, v65, vcc
	global_load_dwordx4 v[30:33], v[2:3], off
	global_load_dwordx4 v[26:29], v[2:3], off offset:16
	v_mfma_f32_16x16x16f16 v[2:5], v[16:17], v[4:5], v[6:9]
	v_mfma_f32_16x16x16f16 v[2:5], v[66:67], v[10:11], v[2:5]
	s_waitcnt vmcnt(7)
	s_nop 4
	v_mad_i64_i32 v[6:7], s[2:3], v63, s1, 0
	v_lshlrev_b64 v[62:63], 1, v[6:7]
	v_add_co_u32_e32 v6, vcc, v22, v62
	v_addc_co_u32_e32 v7, vcc, v23, v63, vcc
	v_mfma_f32_16x16x16f16 v[10:13], v[68:69], v[12:13], v[2:5]
	global_load_dwordx4 v[22:25], v[6:7], off
	global_load_dwordx4 v[18:21], v[6:7], off offset:16
	v_or_b32_e32 v6, 0x1000, v90
	v_add_co_u32_e32 v92, vcc, v88, v6
	v_addc_co_u32_e32 v93, vcc, 0, v89, vcc
	s_nop 1
	v_add_co_u32_e32 v2, vcc, v92, v80
	s_waitcnt vmcnt(8)
	v_mfma_f32_16x16x16f16 v[88:91], v[70:71], v[50:51], v[10:13]
	v_addc_co_u32_e32 v3, vcc, v93, v81, vcc
	v_add_co_u32_e32 v66, vcc, v92, v82
	v_addc_co_u32_e32 v67, vcc, v93, v83, vcc
	global_load_dwordx4 v[6:9], v[2:3], off
	s_nop 0
	global_load_dwordx4 v[2:5], v[2:3], off offset:16
	v_mfma_f32_16x16x16f16 v[50:53], v[72:73], v[52:53], v[88:91]
	global_load_dwordx4 v[14:17], v[66:67], off
	global_load_dwordx4 v[10:13], v[66:67], off offset:16
	v_pk_mul_f32 v[68:69], s[0:1], v[54:55] op_sel_hi:[0,1]
	v_pk_mul_f32 v[80:81], s[0:1], v[56:57] op_sel_hi:[0,1]
	;; [unrolled: 1-line block ×4, first 2 shown]
	s_nop 4
	v_pk_mul_f32 v[72:73], s[0:1], v[50:51] op_sel_hi:[0,1]
	v_and_b32_e32 v50, 0xc0, v0
	v_add_u32_e32 v50, s9, v50
	v_lshl_or_b32 v50, v1, 2, v50
	v_pk_mul_f32 v[66:67], s[0:1], v[52:53] op_sel_hi:[0,1]
	v_or_b32_e32 v53, 1, v50
	v_mov_b32_e32 v51, 0xff7fffff
	v_cmp_gt_i32_e64 s[28:29], s33, v50
	v_cmp_gt_i32_e64 s[30:31], s33, v53
	v_cndmask_b32_e64 v52, v51, v68, s[28:29]
	v_cndmask_b32_e64 v53, v51, v69, s[30:31]
	v_max3_f32 v52, v52, s41, v53
	v_or_b32_e32 v53, 2, v50
	v_or_b32_e32 v54, 3, v50
	v_cmp_gt_i32_e64 s[34:35], s33, v53
	v_cmp_gt_i32_e64 s[36:37], s33, v54
	v_cndmask_b32_e64 v53, v51, v80, s[34:35]
	v_cndmask_b32_e64 v54, v51, v81, s[36:37]
	v_max3_f32 v52, v52, v53, v54
	v_or_b32_e32 v53, 16, v50
	v_or_b32_e32 v54, 17, v50
	;; [unrolled: 7-line block ×7, first 2 shown]
	v_cmp_gt_i32_e32 vcc, s33, v53
	v_cmp_gt_i32_e64 s[0:1], s33, v50
	v_cndmask_b32_e32 v53, v51, v66, vcc
	v_cndmask_b32_e64 v50, v51, v67, s[0:1]
	v_max3_f32 v58, v52, v53, v50
	v_mbcnt_lo_u32_b32 v50, -1, 0
	v_mbcnt_hi_u32_b32 v59, -1, v50
	v_and_b32_e32 v50, 64, v59
	v_add_u32_e32 v60, 64, v50
	v_xor_b32_e32 v50, 32, v59
	v_cmp_lt_i32_e64 s[38:39], v50, v60
	v_cndmask_b32_e64 v50, v59, v50, s[38:39]
	v_lshlrev_b32_e32 v89, 2, v50
	ds_bpermute_b32 v61, v89, v58
	v_add_co_u32_e64 v50, s[38:39], v92, v64
	v_addc_co_u32_e64 v51, s[38:39], v93, v65, s[38:39]
	s_waitcnt lgkmcnt(0)
	v_max_f32_e32 v61, v61, v61
	v_max_f32_e32 v61, v58, v61
	v_xor_b32_e32 v58, 16, v59
	v_cmp_lt_i32_e64 s[38:39], v58, v60
	v_cndmask_b32_e64 v58, v59, v58, s[38:39]
	v_lshlrev_b32_e32 v90, 2, v58
	ds_bpermute_b32 v60, v90, v61
	v_add_co_u32_e64 v58, s[38:39], v92, v62
	v_addc_co_u32_e64 v59, s[38:39], v93, v63, s[38:39]
	s_waitcnt lgkmcnt(0)
	v_max_f32_e32 v60, v60, v60
	v_max_f32_e32 v88, v61, v60
	v_sub_f32_e32 v60, v68, v88
	v_mul_f32_e32 v60, 0x3fb8aa3b, v60
	v_exp_f32_e32 v68, v60
	v_sub_f32_e32 v60, v69, v88
	v_mul_f32_e32 v60, 0x3fb8aa3b, v60
	global_load_dwordx4 v[54:57], v[50:51], off
	s_nop 0
	global_load_dwordx4 v[50:53], v[50:51], off offset:16
	v_exp_f32_e32 v69, v60
	global_load_dwordx4 v[62:65], v[58:59], off
	s_nop 0
	global_load_dwordx4 v[58:61], v[58:59], off offset:16
	v_sub_f32_e32 v80, v80, v88
	v_mul_f32_e32 v80, 0x3fb8aa3b, v80
	v_sub_f32_e32 v81, v81, v88
	v_exp_f32_e32 v80, v80
	v_mul_f32_e32 v81, 0x3fb8aa3b, v81
	v_sub_f32_e32 v70, v70, v88
	v_exp_f32_e32 v81, v81
	v_mul_f32_e32 v70, 0x3fb8aa3b, v70
	v_sub_f32_e32 v71, v71, v88
	v_cndmask_b32_e64 v68, 0, v68, s[28:29]
	v_exp_f32_e32 v70, v70
	v_mul_f32_e32 v71, 0x3fb8aa3b, v71
	v_sub_f32_e32 v82, v82, v88
	v_add_f32_e32 v91, 0, v68
	v_cndmask_b32_e64 v69, 0, v69, s[30:31]
	v_exp_f32_e32 v71, v71
	v_mul_f32_e32 v82, 0x3fb8aa3b, v82
	v_sub_f32_e32 v83, v83, v88
	v_add_f32_e32 v91, v91, v69
	;; [unrolled: 5-line block ×10, first 2 shown]
	v_cndmask_b32_e64 v78, 0, v78, s[10:11]
	v_exp_f32_e32 v66, v66
	v_mul_f32_e32 v67, 0x3fb8aa3b, v67
	v_add_f32_e32 v91, v91, v78
	v_cndmask_b32_e64 v79, 0, v79, s[12:13]
	v_exp_f32_e32 v67, v67
	v_add_f32_e32 v91, v91, v79
	v_cndmask_b32_e64 v72, 0, v72, s[2:3]
	v_add_f32_e32 v91, v91, v72
	v_cndmask_b32_e64 v73, 0, v73, s[8:9]
	v_add_f32_e32 v91, v91, v73
	v_cndmask_b32_e32 v66, 0, v66, vcc
	v_add_f32_e32 v91, v91, v66
	v_cndmask_b32_e64 v67, 0, v67, s[0:1]
	v_add_f32_e32 v91, v91, v67
	ds_bpermute_b32 v89, v89, v91
	v_cmp_gt_u32_e32 vcc, 16, v86
	s_waitcnt lgkmcnt(0)
	s_barrier
	v_add_f32_e32 v89, v91, v89
	ds_bpermute_b32 v90, v90, v89
	s_and_saveexec_b64 s[0:1], vcc
	s_cbranch_execz .LBB186_15
; %bb.14:
	s_waitcnt lgkmcnt(0)
	v_add_f32_e32 v86, v89, v90
	v_lshlrev_b32_e32 v87, 2, v87
	ds_write2st64_b32 v87, v88, v86 offset1:1
.LBB186_15:
	s_or_b64 exec, exec, s[0:1]
	v_lshlrev_b32_e32 v87, 2, v84
	s_load_dword s2, s[4:5], 0x94
	s_waitcnt lgkmcnt(0)
	s_barrier
	ds_read2_b32 v[88:89], v87 offset1:16
	ds_read2_b32 v[90:91], v87 offset0:32 offset1:48
	ds_read2_b32 v[92:93], v87 offset0:64 offset1:80
	s_mul_i32 s3, s40, 15
	s_waitcnt lgkmcnt(2)
	v_max3_f32 v86, v88, s41, v89
	s_waitcnt lgkmcnt(1)
	v_max3_f32 v86, v86, v90, v91
	v_sub_f32_e32 v88, v88, v86
	v_mul_f32_e32 v88, 0x3fb8aa3b, v88
	v_exp_f32_e32 v94, v88
	v_sub_f32_e32 v88, v89, v86
	v_mul_f32_e32 v88, 0x3fb8aa3b, v88
	v_exp_f32_e32 v95, v88
	;; [unrolled: 3-line block ×3, first 2 shown]
	ds_read2_b32 v[88:89], v87 offset0:96 offset1:112
	v_sub_f32_e32 v87, v91, v86
	v_mul_f32_e32 v87, 0x3fb8aa3b, v87
	v_exp_f32_e32 v91, v87
	s_waitcnt lgkmcnt(1)
	v_fma_f32 v87, v94, v92, 0
	v_fmac_f32_e32 v87, v95, v93
	s_waitcnt lgkmcnt(0)
	v_fmac_f32_e32 v87, v90, v88
	v_fmac_f32_e32 v87, v91, v89
	v_add_f32_e32 v88, 0x358637bd, v87
	v_div_scale_f32 v89, s[0:1], v88, v88, 1.0
	v_rcp_f32_e32 v92, v89
	s_barrier
	v_fma_f32 v93, -v89, v92, 1.0
	v_fmac_f32_e32 v92, v93, v92
	v_div_scale_f32 v93, vcc, 1.0, v88, 1.0
	v_mul_f32_e32 v74, v93, v92
	v_fma_f32 v75, -v89, v74, v93
	v_fmac_f32_e32 v74, v75, v92
	v_fma_f32 v75, -v89, v74, v93
	v_div_fmas_f32 v74, v75, v92, v74
	v_cmp_eq_u32_e32 vcc, 1, v85
	v_cndmask_b32_e32 v75, v94, v95, vcc
	v_cmp_eq_u32_e32 vcc, 2, v85
	v_cndmask_b32_e32 v75, v75, v90, vcc
	v_cmp_eq_u32_e32 vcc, 3, v85
	v_div_fixup_f32 v74, v74, v88, 1.0
	v_cndmask_b32_e32 v75, v75, v91, vcc
	v_mul_f32_e32 v88, v75, v74
	v_pk_mul_f32 v[80:81], v[88:89], v[80:81] op_sel_hi:[0,1]
	v_cvt_f16_f32_e32 v74, v80
	v_cvt_f16_f32_e32 v75, v81
	v_pk_mul_f32 v[68:69], v[88:89], v[68:69] op_sel_hi:[0,1]
	v_cvt_f16_f32_e32 v68, v68
	v_cvt_f16_f32_e32 v69, v69
	v_pk_mul_f32 v[80:81], v[88:89], v[82:83] op_sel_hi:[0,1]
	v_pk_mul_f32 v[70:71], v[88:89], v[70:71] op_sel_hi:[0,1]
	v_pack_b32_f16 v91, v74, v75
	v_cvt_f16_f32_e32 v70, v70
	v_cvt_f16_f32_e32 v71, v71
	v_cvt_f16_f32_e32 v74, v80
	v_cvt_f16_f32_e32 v75, v81
	v_pack_b32_f16 v90, v68, v69
	v_lshlrev_b32_e32 v69, 3, v1
	v_lshlrev_b32_e32 v68, 5, v84
	;; [unrolled: 1-line block ×3, first 2 shown]
	v_or3_b32 v80, v80, v68, v69
	v_pack_b32_f16 v70, v70, v71
	v_pack_b32_f16 v71, v74, v75
	ds_write2st64_b64 v80, v[90:91], v[70:71] offset1:1
	v_pk_mul_f32 v[70:71], v[88:89], v[78:79] op_sel_hi:[0,1]
	v_pk_mul_f32 v[76:77], v[88:89], v[76:77] op_sel_hi:[0,1]
	v_cvt_f16_f32_e32 v69, v76
	v_cvt_f16_f32_e32 v75, v70
	;; [unrolled: 1-line block ×3, first 2 shown]
	v_pk_mul_f32 v[66:67], v[88:89], v[66:67] op_sel_hi:[0,1]
	v_pk_mul_f32 v[70:71], v[88:89], v[72:73] op_sel_hi:[0,1]
	v_cvt_f16_f32_e32 v74, v77
	v_cvt_f16_f32_e32 v70, v70
	v_cvt_f16_f32_e32 v71, v71
	v_cvt_f16_f32_e32 v72, v66
	v_cvt_f16_f32_e32 v73, v67
	v_pack_b32_f16 v66, v69, v74
	v_pack_b32_f16 v67, v75, v76
	v_pack_b32_f16 v70, v70, v71
	v_pack_b32_f16 v71, v72, v73
	v_cmp_gt_u32_e32 vcc, 15, v0
	ds_write2st64_b64 v80, v[66:67], v[70:71] offset0:2 offset1:3
	s_and_saveexec_b64 s[0:1], vcc
	s_cbranch_execz .LBB186_17
; %bb.16:
	v_add_co_u32_e32 v70, vcc, s27, v84
	v_addc_co_u32_e64 v71, s[12:13], 0, 0, vcc
	v_mov_b32_e32 v66, s3
	v_mov_b32_e32 v67, 0
	v_mad_u64_u32 v[70:71], s[12:13], s6, v66, v[70:71]
	v_mov_b32_e32 v66, s26
	s_load_dwordx4 s[8:11], s[4:5], 0x58
	s_mul_i32 s7, s7, s3
	v_mad_u64_u32 v[66:67], s[12:13], v70, s2, v[66:67]
	v_add_u32_e32 v69, s7, v71
	v_mov_b32_e32 v70, v67
	v_mad_u64_u32 v[70:71], s[12:13], v69, s2, v[70:71]
	v_mov_b32_e32 v67, v70
	v_lshlrev_b64 v[66:67], 2, v[66:67]
	s_waitcnt lgkmcnt(0)
	v_mov_b32_e32 v69, s11
	v_add_co_u32_e32 v70, vcc, s10, v66
	v_addc_co_u32_e32 v71, vcc, v69, v67, vcc
	v_mov_b32_e32 v69, s9
	v_add_co_u32_e32 v66, vcc, s8, v66
	v_addc_co_u32_e32 v67, vcc, v69, v67, vcc
	global_store_dword v[70:71], v86, off
	global_store_dword v[66:67], v87, off
.LBB186_17:
	s_or_b64 exec, exec, s[0:1]
	v_lshl_or_b32 v74, v1, 9, v68
	s_waitcnt lgkmcnt(0)
	s_barrier
	ds_read_b128 v[70:73], v74
	ds_read_b128 v[66:69], v74 offset:16
	s_waitcnt vmcnt(15) lgkmcnt(1)
	v_mfma_f32_16x16x16f16 v[76:79], v[46:47], v[70:71], 0
	s_mov_b32 s1, 0
	v_cmp_gt_u32_e32 vcc, 64, v0
	v_mfma_f32_16x16x16f16 v[46:49], v[48:49], v[72:73], v[76:79]
	s_waitcnt vmcnt(14) lgkmcnt(0)
	v_mfma_f32_16x16x16f16 v[46:49], v[42:43], v[66:67], v[46:49]
	v_mfma_f32_16x16x16f16 v[42:45], v[44:45], v[68:69], v[46:49]
	s_nop 7
	s_nop 1
	ds_read_b128 v[46:49], v74 offset:2048
	ds_read_b128 v[76:79], v74 offset:2064
	s_waitcnt vmcnt(13) lgkmcnt(1)
	v_mfma_f32_16x16x16f16 v[42:45], v[38:39], v[46:47], v[42:45]
	v_mfma_f32_16x16x16f16 v[38:41], v[40:41], v[48:49], v[42:45]
	s_waitcnt vmcnt(12) lgkmcnt(0)
	v_mfma_f32_16x16x16f16 v[38:41], v[34:35], v[76:77], v[38:41]
	v_mfma_f32_16x16x16f16 v[34:37], v[36:37], v[78:79], v[38:41]
	s_nop 7
	s_nop 1
	ds_read_b128 v[38:41], v74 offset:4096
	ds_read_b128 v[42:45], v74 offset:4112
	s_waitcnt vmcnt(11) lgkmcnt(1)
	v_mfma_f32_16x16x16f16 v[34:37], v[30:31], v[38:39], v[34:37]
	v_mfma_f32_16x16x16f16 v[30:33], v[32:33], v[40:41], v[34:37]
	s_waitcnt vmcnt(10) lgkmcnt(0)
	v_mfma_f32_16x16x16f16 v[30:33], v[26:27], v[42:43], v[30:33]
	v_mfma_f32_16x16x16f16 v[26:29], v[28:29], v[44:45], v[30:33]
	s_nop 7
	s_nop 1
	ds_read_b128 v[30:33], v74 offset:6144
	ds_read_b128 v[34:37], v74 offset:6160
	s_waitcnt lgkmcnt(0)
	s_barrier
	s_waitcnt vmcnt(9)
	v_mfma_f32_16x16x16f16 v[26:29], v[22:23], v[30:31], v[26:29]
	v_mfma_f32_16x16x16f16 v[22:25], v[24:25], v[32:33], v[26:29]
	s_waitcnt vmcnt(8)
	v_mfma_f32_16x16x16f16 v[22:25], v[18:19], v[34:35], v[22:25]
	v_mfma_f32_16x16x16f16 v[18:21], v[20:21], v[36:37], v[22:25]
	;; [unrolled: 3-line block ×4, first 2 shown]
	s_waitcnt vmcnt(5)
	v_mfma_f32_16x16x16f16 v[2:5], v[14:15], v[46:47], v[2:5]
	s_nop 7
	v_cvt_f16_f32_e32 v6, v18
	v_cvt_f16_f32_e32 v7, v19
	;; [unrolled: 1-line block ×4, first 2 shown]
	v_mfma_f32_16x16x16f16 v[2:5], v[16:17], v[48:49], v[2:5]
	s_waitcnt vmcnt(4)
	v_mfma_f32_16x16x16f16 v[2:5], v[10:11], v[76:77], v[2:5]
	v_mfma_f32_16x16x16f16 v[2:5], v[12:13], v[78:79], v[2:5]
	s_waitcnt vmcnt(3)
	v_mfma_f32_16x16x16f16 v[2:5], v[54:55], v[38:39], v[2:5]
	;; [unrolled: 3-line block ×5, first 2 shown]
	v_mfma_f32_16x16x16f16 v[2:5], v[60:61], v[36:37], v[2:5]
	s_nop 7
	s_nop 2
	v_cvt_f16_f32_e32 v10, v2
	v_cvt_f16_f32_e32 v11, v3
	;; [unrolled: 1-line block ×4, first 2 shown]
	v_pack_b32_f16 v2, v6, v7
	v_pack_b32_f16 v3, v8, v9
	v_pack_b32_f16 v4, v10, v11
	v_pack_b32_f16 v5, v12, v5
	ds_write2st64_b64 v80, v[2:3], v[4:5] offset1:1
	s_waitcnt lgkmcnt(0)
	s_barrier
	s_and_saveexec_b64 s[8:9], vcc
	s_cbranch_execz .LBB186_20
; %bb.18:
	v_lshlrev_b32_e32 v4, 6, v84
	v_lshlrev_b32_e32 v3, 4, v0
	v_lshl_or_b32 v0, v0, 10, v4
	v_lshlrev_b32_e32 v2, 5, v1
	v_and_b32_e32 v3, 16, v3
	v_and_b32_e32 v0, 0x1a00, v0
	v_or3_b32 v0, v0, v2, v3
	ds_read_b128 v[4:7], v0 offset:256
	buffer_load_dword v8, off, s[44:47], 0  ; 4-byte Folded Reload
	buffer_load_dword v9, off, s[44:47], 0 offset:4 ; 4-byte Folded Reload
	s_load_dwordx2 s[4:5], s[4:5], 0x68
	s_lshl_b32 s2, s2, 7
	s_mul_i32 s0, s3, s6
	s_mul_hi_u32 s7, s0, s2
	s_mul_i32 s6, s0, s2
	s_lshl_b64 s[6:7], s[6:7], 1
	s_waitcnt lgkmcnt(0)
	s_add_u32 s3, s4, s6
	s_addc_u32 s4, s5, s7
	s_lshl_b32 s0, s26, 7
	s_lshl_b64 s[0:1], s[0:1], 1
	s_add_u32 s0, s3, s0
	s_addc_u32 s1, s4, s1
	v_mov_b32_e32 v3, s1
	v_add_u32_e32 v18, s27, v1
	s_waitcnt vmcnt(1)
	v_add_co_u32_e32 v2, vcc, s0, v8
	s_waitcnt vmcnt(0)
	v_addc_co_u32_e32 v3, vcc, v3, v9, vcc
	ds_read_b128 v[8:11], v0 offset:128
	ds_read_b128 v[12:15], v0
	v_mad_u64_u32 v[16:17], s[0:1], v18, s2, 0
	v_lshlrev_b64 v[16:17], 1, v[16:17]
	v_add_co_u32_e32 v16, vcc, v2, v16
	v_addc_co_u32_e32 v17, vcc, v3, v17, vcc
	s_waitcnt lgkmcnt(0)
	global_store_dwordx4 v[16:17], v[12:15], off
	s_nop 0
	v_add_u32_e32 v12, 4, v18
	v_mad_u64_u32 v[12:13], s[0:1], v12, s2, 0
	v_lshlrev_b64 v[12:13], 1, v[12:13]
	v_add_co_u32_e32 v12, vcc, v2, v12
	v_addc_co_u32_e32 v13, vcc, v3, v13, vcc
	global_store_dwordx4 v[12:13], v[8:11], off
	s_nop 0
	v_add_u32_e32 v8, 8, v18
	v_mad_u64_u32 v[8:9], s[0:1], v8, s2, 0
	v_lshlrev_b64 v[8:9], 1, v[8:9]
	v_add_co_u32_e32 v8, vcc, v2, v8
	v_addc_co_u32_e32 v9, vcc, v3, v9, vcc
	v_cmp_ne_u32_e32 vcc, 3, v1
	global_store_dwordx4 v[8:9], v[4:7], off
	s_and_b64 exec, exec, vcc
	s_cbranch_execz .LBB186_20
; %bb.19:
	ds_read_b128 v[4:7], v0 offset:384
	v_add3_u32 v0, s27, v1, 12
	v_mad_u64_u32 v[0:1], s[0:1], v0, s2, 0
	v_lshlrev_b64 v[0:1], 1, v[0:1]
	v_add_co_u32_e32 v0, vcc, v2, v0
	v_addc_co_u32_e32 v1, vcc, v3, v1, vcc
	s_waitcnt lgkmcnt(0)
	global_store_dwordx4 v[0:1], v[4:7], off
.LBB186_20:
	s_endpgm
	.section	.rodata,"a",@progbits
	.p2align	6, 0x0
	.amdhsa_kernel _Z39paged_attention_ll4mi_QKV_mfma16_kernelIDF16_DF16_LN4vllm18Fp8KVCacheDataTypeE0EDF16_Li32ELi128ELi256ELb0ELi15EL8MFMAType0EEvPKT_PKT0_S8_ifPKiSA_SA_iPKfiiiPfSD_PS3_PT2_iSC_SC_
		.amdhsa_group_segment_fixed_size 8192
		.amdhsa_private_segment_fixed_size 12
		.amdhsa_kernarg_size 400
		.amdhsa_user_sgpr_count 6
		.amdhsa_user_sgpr_private_segment_buffer 1
		.amdhsa_user_sgpr_dispatch_ptr 0
		.amdhsa_user_sgpr_queue_ptr 0
		.amdhsa_user_sgpr_kernarg_segment_ptr 1
		.amdhsa_user_sgpr_dispatch_id 0
		.amdhsa_user_sgpr_flat_scratch_init 0
		.amdhsa_user_sgpr_kernarg_preload_length 0
		.amdhsa_user_sgpr_kernarg_preload_offset 0
		.amdhsa_user_sgpr_private_segment_size 0
		.amdhsa_uses_dynamic_stack 0
		.amdhsa_system_sgpr_private_segment_wavefront_offset 1
		.amdhsa_system_sgpr_workgroup_id_x 1
		.amdhsa_system_sgpr_workgroup_id_y 1
		.amdhsa_system_sgpr_workgroup_id_z 1
		.amdhsa_system_sgpr_workgroup_info 0
		.amdhsa_system_vgpr_workitem_id 0
		.amdhsa_next_free_vgpr 96
		.amdhsa_next_free_sgpr 48
		.amdhsa_accum_offset 96
		.amdhsa_reserve_vcc 1
		.amdhsa_reserve_flat_scratch 0
		.amdhsa_float_round_mode_32 0
		.amdhsa_float_round_mode_16_64 0
		.amdhsa_float_denorm_mode_32 3
		.amdhsa_float_denorm_mode_16_64 3
		.amdhsa_dx10_clamp 1
		.amdhsa_ieee_mode 1
		.amdhsa_fp16_overflow 0
		.amdhsa_tg_split 0
		.amdhsa_exception_fp_ieee_invalid_op 0
		.amdhsa_exception_fp_denorm_src 0
		.amdhsa_exception_fp_ieee_div_zero 0
		.amdhsa_exception_fp_ieee_overflow 0
		.amdhsa_exception_fp_ieee_underflow 0
		.amdhsa_exception_fp_ieee_inexact 0
		.amdhsa_exception_int_div_zero 0
	.end_amdhsa_kernel
	.section	.text._Z39paged_attention_ll4mi_QKV_mfma16_kernelIDF16_DF16_LN4vllm18Fp8KVCacheDataTypeE0EDF16_Li32ELi128ELi256ELb0ELi15EL8MFMAType0EEvPKT_PKT0_S8_ifPKiSA_SA_iPKfiiiPfSD_PS3_PT2_iSC_SC_,"axG",@progbits,_Z39paged_attention_ll4mi_QKV_mfma16_kernelIDF16_DF16_LN4vllm18Fp8KVCacheDataTypeE0EDF16_Li32ELi128ELi256ELb0ELi15EL8MFMAType0EEvPKT_PKT0_S8_ifPKiSA_SA_iPKfiiiPfSD_PS3_PT2_iSC_SC_,comdat
.Lfunc_end186:
	.size	_Z39paged_attention_ll4mi_QKV_mfma16_kernelIDF16_DF16_LN4vllm18Fp8KVCacheDataTypeE0EDF16_Li32ELi128ELi256ELb0ELi15EL8MFMAType0EEvPKT_PKT0_S8_ifPKiSA_SA_iPKfiiiPfSD_PS3_PT2_iSC_SC_, .Lfunc_end186-_Z39paged_attention_ll4mi_QKV_mfma16_kernelIDF16_DF16_LN4vllm18Fp8KVCacheDataTypeE0EDF16_Li32ELi128ELi256ELb0ELi15EL8MFMAType0EEvPKT_PKT0_S8_ifPKiSA_SA_iPKfiiiPfSD_PS3_PT2_iSC_SC_
                                        ; -- End function
	.section	.AMDGPU.csdata,"",@progbits
; Kernel info:
; codeLenInByte = 4864
; NumSgprs: 52
; NumVgprs: 96
; NumAgprs: 0
; TotalNumVgprs: 96
; ScratchSize: 12
; MemoryBound: 0
; FloatMode: 240
; IeeeMode: 1
; LDSByteSize: 8192 bytes/workgroup (compile time only)
; SGPRBlocks: 6
; VGPRBlocks: 11
; NumSGPRsForWavesPerEU: 52
; NumVGPRsForWavesPerEU: 96
; AccumOffset: 96
; Occupancy: 5
; WaveLimiterHint : 1
; COMPUTE_PGM_RSRC2:SCRATCH_EN: 1
; COMPUTE_PGM_RSRC2:USER_SGPR: 6
; COMPUTE_PGM_RSRC2:TRAP_HANDLER: 0
; COMPUTE_PGM_RSRC2:TGID_X_EN: 1
; COMPUTE_PGM_RSRC2:TGID_Y_EN: 1
; COMPUTE_PGM_RSRC2:TGID_Z_EN: 1
; COMPUTE_PGM_RSRC2:TIDIG_COMP_CNT: 0
; COMPUTE_PGM_RSRC3_GFX90A:ACCUM_OFFSET: 23
; COMPUTE_PGM_RSRC3_GFX90A:TG_SPLIT: 0
	.section	.text._Z39paged_attention_ll4mi_QKV_mfma16_kernelIDF16_DF16_LN4vllm18Fp8KVCacheDataTypeE0EDF16_Li32ELi128ELi256ELb0ELi16EL8MFMAType0EEvPKT_PKT0_S8_ifPKiSA_SA_iPKfiiiPfSD_PS3_PT2_iSC_SC_,"axG",@progbits,_Z39paged_attention_ll4mi_QKV_mfma16_kernelIDF16_DF16_LN4vllm18Fp8KVCacheDataTypeE0EDF16_Li32ELi128ELi256ELb0ELi16EL8MFMAType0EEvPKT_PKT0_S8_ifPKiSA_SA_iPKfiiiPfSD_PS3_PT2_iSC_SC_,comdat
	.protected	_Z39paged_attention_ll4mi_QKV_mfma16_kernelIDF16_DF16_LN4vllm18Fp8KVCacheDataTypeE0EDF16_Li32ELi128ELi256ELb0ELi16EL8MFMAType0EEvPKT_PKT0_S8_ifPKiSA_SA_iPKfiiiPfSD_PS3_PT2_iSC_SC_ ; -- Begin function _Z39paged_attention_ll4mi_QKV_mfma16_kernelIDF16_DF16_LN4vllm18Fp8KVCacheDataTypeE0EDF16_Li32ELi128ELi256ELb0ELi16EL8MFMAType0EEvPKT_PKT0_S8_ifPKiSA_SA_iPKfiiiPfSD_PS3_PT2_iSC_SC_
	.globl	_Z39paged_attention_ll4mi_QKV_mfma16_kernelIDF16_DF16_LN4vllm18Fp8KVCacheDataTypeE0EDF16_Li32ELi128ELi256ELb0ELi16EL8MFMAType0EEvPKT_PKT0_S8_ifPKiSA_SA_iPKfiiiPfSD_PS3_PT2_iSC_SC_
	.p2align	8
	.type	_Z39paged_attention_ll4mi_QKV_mfma16_kernelIDF16_DF16_LN4vllm18Fp8KVCacheDataTypeE0EDF16_Li32ELi128ELi256ELb0ELi16EL8MFMAType0EEvPKT_PKT0_S8_ifPKiSA_SA_iPKfiiiPfSD_PS3_PT2_iSC_SC_,@function
_Z39paged_attention_ll4mi_QKV_mfma16_kernelIDF16_DF16_LN4vllm18Fp8KVCacheDataTypeE0EDF16_Li32ELi128ELi256ELb0ELi16EL8MFMAType0EEvPKT_PKT0_S8_ifPKiSA_SA_iPKfiiiPfSD_PS3_PT2_iSC_SC_: ; @_Z39paged_attention_ll4mi_QKV_mfma16_kernelIDF16_DF16_LN4vllm18Fp8KVCacheDataTypeE0EDF16_Li32ELi128ELi256ELb0ELi16EL8MFMAType0EEvPKT_PKT0_S8_ifPKiSA_SA_iPKfiiiPfSD_PS3_PT2_iSC_SC_
; %bb.0:
	s_mov_b64 s[46:47], s[2:3]
	s_mov_b64 s[44:45], s[0:1]
	s_load_dwordx2 s[0:1], s[4:5], 0x30
	s_add_u32 s44, s44, s9
	s_addc_u32 s45, s45, 0
	s_mov_b32 s26, s7
	s_mov_b64 s[10:11], 0
	s_waitcnt lgkmcnt(0)
	s_cmp_lg_u64 s[0:1], 0
	s_cselect_b64 s[2:3], -1, 0
	s_and_b64 vcc, exec, s[2:3]
	s_cbranch_vccz .LBB187_7
; %bb.1:
	s_add_i32 s12, s6, 1
	s_mov_b32 s13, 0
	s_lshl_b64 s[14:15], s[12:13], 2
	s_add_u32 s14, s0, s14
	s_mov_b32 s7, s13
	s_addc_u32 s15, s1, s15
	s_lshl_b64 s[12:13], s[6:7], 2
	s_add_u32 s12, s0, s12
	s_addc_u32 s13, s1, s13
	s_load_dword s9, s[14:15], 0x0
	s_load_dword s16, s[12:13], 0x0
	s_waitcnt lgkmcnt(0)
	s_sub_i32 s9, s9, s16
	s_cmp_eq_u32 s9, 1
	s_cselect_b64 s[12:13], -1, 0
	s_andn2_b64 vcc, exec, s[10:11]
	s_cbranch_vccnz .LBB187_3
.LBB187_2:
	s_mov_b32 s7, 0
	s_mov_b64 s[12:13], -1
.LBB187_3:
	s_andn2_b64 vcc, exec, s[12:13]
	s_cbranch_vccnz .LBB187_19
; %bb.4:
	s_load_dwordx2 s[12:13], s[4:5], 0x28
	s_lshl_b64 s[10:11], s[6:7], 2
	s_waitcnt lgkmcnt(0)
	s_add_u32 s12, s12, s10
	s_addc_u32 s13, s13, s11
	s_load_dword s33, s[12:13], 0x0
	s_lshl_b32 s9, s26, 8
	s_waitcnt lgkmcnt(0)
	s_cmp_ge_i32 s9, s33
	s_cbranch_scc1 .LBB187_19
; %bb.5:
	s_add_i32 s15, s33, 31
	s_load_dwordx2 s[12:13], s[4:5], 0x20
	s_load_dword s14, s[4:5], 0x38
	s_ashr_i32 s16, s15, 31
	v_and_b32_e32 v1, 0xcf, v0
	s_lshr_b32 s16, s16, 27
	v_add_u32_e32 v1, s9, v1
	s_add_i32 s15, s15, s16
	v_ashrrev_i32_e32 v2, 31, v1
	s_ashr_i32 s18, s15, 5
	v_lshrrev_b32_e32 v10, 27, v2
	s_add_i32 s18, s18, -1
	v_add_u32_e32 v2, v1, v10
	s_waitcnt lgkmcnt(0)
	s_mul_i32 s14, s6, s14
	s_mov_b32 s15, 0
	v_ashrrev_i32_e32 v2, 5, v2
	v_mov_b32_e32 v11, s18
	v_cmp_gt_i32_e32 vcc, s33, v1
	s_lshl_b64 s[14:15], s[14:15], 2
	v_cndmask_b32_e32 v2, v11, v2, vcc
	s_add_u32 s16, s12, s14
	v_ashrrev_i32_e32 v3, 31, v2
	s_addc_u32 s17, s13, s15
	v_lshlrev_b64 v[2:3], 2, v[2:3]
	v_mov_b32_e32 v4, s17
	v_add_co_u32_e32 v2, vcc, s16, v2
	v_addc_co_u32_e32 v3, vcc, v4, v3, vcc
	v_or_b32_e32 v4, 16, v1
	v_add_u32_e32 v5, v4, v10
	v_ashrrev_i32_e32 v5, 5, v5
	v_cmp_gt_i32_e32 vcc, s33, v4
	v_cndmask_b32_e32 v4, v11, v5, vcc
	v_ashrrev_i32_e32 v5, 31, v4
	v_lshlrev_b64 v[4:5], 2, v[4:5]
	v_mov_b32_e32 v7, s17
	v_add_co_u32_e32 v6, vcc, s16, v4
	v_or_b32_e32 v4, 32, v1
	v_addc_co_u32_e32 v7, vcc, v7, v5, vcc
	v_add_u32_e32 v5, v4, v10
	v_ashrrev_i32_e32 v5, 5, v5
	v_cmp_gt_i32_e32 vcc, s33, v4
	v_cndmask_b32_e32 v4, v11, v5, vcc
	v_ashrrev_i32_e32 v5, 31, v4
	v_lshlrev_b64 v[4:5], 2, v[4:5]
	v_mov_b32_e32 v9, s17
	v_add_co_u32_e32 v8, vcc, s16, v4
	v_or_b32_e32 v1, 48, v1
	v_addc_co_u32_e32 v9, vcc, v9, v5, vcc
	v_add_u32_e32 v4, v1, v10
	v_ashrrev_i32_e32 v4, 5, v4
	v_cmp_gt_i32_e32 vcc, s33, v1
	v_cndmask_b32_e32 v4, v11, v4, vcc
	v_ashrrev_i32_e32 v5, 31, v4
	v_lshlrev_b64 v[4:5], 2, v[4:5]
	v_mov_b32_e32 v1, s17
	v_add_co_u32_e32 v10, vcc, s16, v4
	v_addc_co_u32_e32 v11, vcc, v1, v5, vcc
	global_load_dword v5, v[2:3], off
	global_load_dword v4, v[6:7], off
	global_load_dword v25, v[8:9], off
	global_load_dword v24, v[10:11], off
	s_andn2_b64 vcc, exec, s[2:3]
	s_cbranch_vccnz .LBB187_8
; %bb.6:
	s_add_u32 s0, s0, s10
	s_addc_u32 s1, s1, s11
	s_load_dword s19, s[0:1], 0x0
	s_branch .LBB187_9
.LBB187_7:
	s_mov_b64 s[12:13], 0
	s_branch .LBB187_2
.LBB187_8:
	s_mov_b32 s19, s6
.LBB187_9:
	s_load_dwordx4 s[12:15], s[4:5], 0x8
	s_load_dwordx4 s[0:3], s[4:5], 0x48
	v_and_b32_e32 v86, 15, v0
	s_waitcnt lgkmcnt(0)
	s_movk_i32 s3, 0xff
	v_lshlrev_b32_e32 v2, 3, v86
	v_cmp_lt_u32_e32 vcc, s3, v0
	s_and_saveexec_b64 s[10:11], vcc
	s_xor_b64 s[10:11], exec, s[10:11]
; %bb.10:
	v_mov_b32_e32 v3, 0
; %bb.11:
	s_or_saveexec_b64 s[10:11], s[10:11]
	v_lshrrev_b32_e32 v1, 6, v0
	v_and_b32_e32 v87, 63, v0
	s_lshl_b32 s27, s8, 4
	v_bfe_u32 v74, v0, 4, 2
	s_xor_b64 exec, exec, s[10:11]
	s_cbranch_execz .LBB187_13
; %bb.12:
	s_load_dwordx2 s[20:21], s[4:5], 0x0
	s_ashr_i32 s3, s0, 31
	s_mul_hi_u32 s22, s19, s0
	s_mul_i32 s3, s19, s3
	v_lshl_or_b32 v10, v1, 2, v74
	s_add_i32 s23, s22, s3
	s_mul_i32 s22, s19, s0
	s_lshl_b64 s[22:23], s[22:23], 1
	v_add_lshl_u32 v6, v10, s27, 7
	s_waitcnt lgkmcnt(0)
	s_add_u32 s0, s20, s22
	v_ashrrev_i32_e32 v7, 31, v6
	s_addc_u32 s3, s21, s23
	v_lshlrev_b64 v[6:7], 1, v[6:7]
	v_mov_b32_e32 v3, s3
	v_add_co_u32_e32 v6, vcc, s0, v6
	v_addc_co_u32_e32 v3, vcc, v3, v7, vcc
	v_lshlrev_b32_e32 v7, 1, v2
	v_add_co_u32_e32 v6, vcc, v6, v7
	v_addc_co_u32_e32 v7, vcc, 0, v3, vcc
	global_load_dwordx4 v[6:9], v[6:7], off
	v_and_b32_e32 v11, 3, v0
	v_lshlrev_b32_e32 v12, 9, v86
	v_lshlrev_b32_e32 v10, 5, v10
	v_lshlrev_b32_e32 v11, 9, v11
	v_and_b32_e32 v12, 0x1800, v12
	v_mov_b32_e32 v3, 0
	v_or3_b32 v10, v12, v11, v10
	s_waitcnt vmcnt(0)
	ds_write_b128 v10, v[6:9]
.LBB187_13:
	s_or_b64 exec, exec, s[10:11]
	s_mul_i32 s2, s8, s2
	s_mov_b32 s3, 0
	s_lshl_b64 s[2:3], s[2:3], 1
	s_add_u32 s8, s12, s2
	s_addc_u32 s10, s13, s3
	s_waitcnt vmcnt(3)
	v_mad_i64_i32 v[6:7], s[12:13], v5, s1, 0
	v_lshlrev_b64 v[6:7], 1, v[6:7]
	v_mov_b32_e32 v5, s10
	v_add_co_u32_e32 v6, vcc, s8, v6
	v_addc_co_u32_e32 v5, vcc, v5, v7, vcc
	v_lshlrev_b64 v[58:59], 1, v[2:3]
	v_add_co_u32_e32 v27, vcc, v6, v58
	v_lshlrev_b32_e32 v26, 9, v74
	v_addc_co_u32_e32 v28, vcc, v5, v59, vcc
	v_add_co_u32_e32 v2, vcc, v27, v26
	v_addc_co_u32_e32 v3, vcc, 0, v28, vcc
	s_load_dword s40, s[4:5], 0x98
	s_load_dword s0, s[4:5], 0x1c
	s_waitcnt lgkmcnt(0)
	s_barrier
	global_load_dwordx4 v[10:13], v[2:3], off
	s_waitcnt vmcnt(3)
	v_mad_i64_i32 v[4:5], s[12:13], v4, s1, 0
	v_lshlrev_b64 v[4:5], 1, v[4:5]
	v_mov_b32_e32 v6, s10
	v_add_co_u32_e32 v4, vcc, s8, v4
	v_addc_co_u32_e32 v5, vcc, v6, v5, vcc
	v_mov_b32_e32 v6, 0x100
	v_lshl_or_b32 v29, v86, 4, v6
	v_add_co_u32_e32 v30, vcc, v4, v29
	v_addc_co_u32_e32 v31, vcc, 0, v5, vcc
	v_add_co_u32_e32 v22, vcc, v30, v26
	v_addc_co_u32_e32 v23, vcc, 0, v31, vcc
	global_load_dwordx4 v[18:21], v[22:23], off
	global_load_dwordx4 v[14:17], v[2:3], off offset:2048
	v_lshl_or_b32 v85, v86, 5, v26
	ds_read_b128 v[6:9], v85
	ds_read_b128 v[2:5], v85 offset:2048
	v_or_b32_e32 v48, 0x1000, v26
	global_load_dwordx4 v[36:39], v[22:23], off offset:2048
	v_add_co_u32_e32 v22, vcc, v27, v48
	v_addc_co_u32_e32 v23, vcc, 0, v28, vcc
	v_or_b32_e32 v49, 0x1800, v26
	s_ashr_i32 s11, s9, 31
	v_and_or_b32 v66, v0, 48, s9
	v_mov_b32_e32 v67, s18
	v_lshl_or_b32 v88, v1, 4, v86
	v_lshlrev_b32_e32 v92, 6, v88
	s_mov_b32 s41, 0xff7fffff
	v_mov_b32_e32 v1, v74
	s_waitcnt vmcnt(3) lgkmcnt(1)
	v_mfma_f32_16x16x16f16 v[32:35], v[10:11], v[6:7], 0
	s_waitcnt vmcnt(2)
	v_mfma_f32_16x16x16f16 v[40:43], v[18:19], v[6:7], 0
	v_mfma_f32_16x16x16f16 v[10:13], v[12:13], v[8:9], v[32:35]
	;; [unrolled: 1-line block ×3, first 2 shown]
	s_nop 6
	global_load_dwordx4 v[32:35], v[22:23], off
	v_add_co_u32_e32 v22, vcc, v30, v48
	v_addc_co_u32_e32 v23, vcc, 0, v31, vcc
	global_load_dwordx4 v[44:47], v[22:23], off
	s_waitcnt vmcnt(3) lgkmcnt(0)
	v_mfma_f32_16x16x16f16 v[40:43], v[14:15], v[2:3], v[10:13]
	s_nop 6
	v_add_co_u32_e32 v10, vcc, v27, v49
	v_addc_co_u32_e32 v11, vcc, 0, v28, vcc
	global_load_dwordx4 v[54:57], v[10:11], off
	v_mad_i64_i32 v[10:11], s[12:13], v25, s1, 0
	v_add_co_u32_e32 v30, vcc, v30, v49
	v_lshlrev_b64 v[22:23], 1, v[10:11]
	v_addc_co_u32_e32 v31, vcc, 0, v31, vcc
	v_mov_b32_e32 v25, s10
	v_add_co_u32_e32 v22, vcc, s8, v22
	v_addc_co_u32_e32 v23, vcc, v25, v23, vcc
	ds_read_b128 v[10:13], v85 offset:4096
	ds_read_b128 v[50:53], v85 offset:6144
	v_mfma_f32_16x16x16f16 v[14:17], v[16:17], v[4:5], v[40:43]
	v_add_co_u32_e32 v27, vcc, v22, v58
	v_mov_b32_e32 v28, s10
	s_lshr_b32 s10, s11, 27
	s_add_u32 s2, s14, s2
	s_nop 2
	global_load_dwordx4 v[40:43], v[30:31], off
	s_nop 0
	buffer_store_dword v58, off, s[44:47], 0 ; 4-byte Folded Spill
	s_nop 0
	buffer_store_dword v59, off, s[44:47], 0 offset:4 ; 4-byte Folded Spill
	s_waitcnt vmcnt(6)
	v_mfma_f32_16x16x16f16 v[18:21], v[36:37], v[2:3], v[18:21]
	s_addc_u32 s3, s15, s3
	v_addc_co_u32_e32 v58, vcc, v23, v59, vcc
	v_add_co_u32_e32 v22, vcc, v27, v26
	v_addc_co_u32_e32 v23, vcc, 0, v58, vcc
	v_mfma_f32_16x16x16f16 v[18:21], v[38:39], v[4:5], v[18:21]
	s_waitcnt vmcnt(5) lgkmcnt(1)
	v_mfma_f32_16x16x16f16 v[14:17], v[32:33], v[10:11], v[14:17]
	global_load_dwordx4 v[30:33], v[22:23], off
	global_load_dwordx4 v[36:39], v[22:23], off offset:2048
	v_mad_i64_i32 v[22:23], s[12:13], v24, s1, 0
	s_waitcnt vmcnt(6)
	v_mfma_f32_16x16x16f16 v[18:21], v[44:45], v[10:11], v[18:21]
	v_lshlrev_b64 v[44:45], 1, v[22:23]
	v_add_co_u32_e32 v22, vcc, v27, v48
	v_addc_co_u32_e32 v23, vcc, 0, v58, vcc
	global_load_dwordx4 v[22:25], v[22:23], off
	v_mfma_f32_16x16x16f16 v[14:17], v[34:35], v[12:13], v[14:17]
	v_add_co_u32_e32 v34, vcc, s8, v44
	v_addc_co_u32_e32 v28, vcc, v28, v45, vcc
	v_add_co_u32_e32 v70, vcc, v34, v29
	v_addc_co_u32_e32 v71, vcc, 0, v28, vcc
	v_mfma_f32_16x16x16f16 v[18:21], v[46:47], v[12:13], v[18:21]
	v_add_co_u32_e32 v28, vcc, v27, v49
	v_addc_co_u32_e32 v29, vcc, 0, v58, vcc
	v_add_u32_e32 v35, s10, v66
	v_add_co_u32_e32 v34, vcc, v70, v26
	s_waitcnt vmcnt(6) lgkmcnt(0)
	v_mfma_f32_16x16x16f16 v[14:17], v[54:55], v[50:51], v[14:17]
	v_ashrrev_i32_e32 v46, 5, v35
	v_addc_co_u32_e32 v35, vcc, 0, v71, vcc
	v_add_co_u32_e32 v44, vcc, v70, v48
	v_addc_co_u32_e32 v45, vcc, 0, v71, vcc
	s_waitcnt vmcnt(5)
	v_mfma_f32_16x16x16f16 v[18:21], v[40:41], v[50:51], v[18:21]
	v_cmp_gt_i32_e32 vcc, s33, v66
	v_cndmask_b32_e32 v46, v67, v46, vcc
	v_ashrrev_i32_e32 v47, 31, v46
	v_mov_b32_e32 v40, s17
	v_mov_b32_e32 v41, s17
	v_mfma_f32_16x16x16f16 v[54:57], v[56:57], v[52:53], v[14:17]
	global_load_dwordx4 v[26:29], v[28:29], off
	s_nop 0
	global_load_dwordx4 v[62:65], v[34:35], off
	s_nop 3
	global_load_dwordx4 v[14:17], v[34:35], off offset:2048
	v_lshlrev_b64 v[34:35], 2, v[46:47]
	v_add_co_u32_e32 v34, vcc, s16, v34
	v_addc_co_u32_e32 v35, vcc, v40, v35, vcc
	global_load_dword v40, v[34:35], off
	v_or_b32_e32 v34, 64, v66
	v_mfma_f32_16x16x16f16 v[58:61], v[42:43], v[52:53], v[18:21]
	v_cmp_gt_i32_e32 vcc, s33, v34
	s_nop 5
	v_add_u32_e32 v18, s10, v34
	v_ashrrev_i32_e32 v18, 5, v18
	v_cndmask_b32_e32 v18, v67, v18, vcc
	v_ashrrev_i32_e32 v19, 31, v18
	v_lshlrev_b64 v[34:35], 2, v[18:19]
	s_waitcnt vmcnt(6)
	v_mfma_f32_16x16x16f16 v[18:21], v[30:31], v[6:7], 0
	v_add_co_u32_e32 v30, vcc, s16, v34
	v_addc_co_u32_e32 v31, vcc, v41, v35, vcc
	global_load_dword v34, v[30:31], off
	v_or_b32_e32 v30, 0x80, v66
	v_add_u32_e32 v31, s10, v30
	v_ashrrev_i32_e32 v31, 5, v31
	v_cmp_gt_i32_e32 vcc, s33, v30
	v_cndmask_b32_e32 v30, v67, v31, vcc
	v_ashrrev_i32_e32 v31, 31, v30
	v_lshlrev_b64 v[30:31], 2, v[30:31]
	v_mfma_f32_16x16x16f16 v[18:21], v[32:33], v[8:9], v[18:21]
	v_mov_b32_e32 v32, s17
	v_add_co_u32_e32 v30, vcc, s16, v30
	v_addc_co_u32_e32 v31, vcc, v32, v31, vcc
	global_load_dword v32, v[30:31], off
	v_or_b32_e32 v30, 0xc0, v66
	s_waitcnt vmcnt(7)
	v_mfma_f32_16x16x16f16 v[18:21], v[36:37], v[2:3], v[18:21]
	v_add_u32_e32 v31, s10, v30
	v_ashrrev_i32_e32 v31, 5, v31
	v_cmp_gt_i32_e32 vcc, s33, v30
	v_cndmask_b32_e32 v30, v67, v31, vcc
	global_load_dwordx4 v[66:69], v[44:45], off
	v_ashrrev_i32_e32 v31, 31, v30
	v_lshlrev_b64 v[30:31], 2, v[30:31]
	v_mfma_f32_16x16x16f16 v[18:21], v[38:39], v[4:5], v[18:21]
	v_mov_b32_e32 v33, s17
	v_add_co_u32_e32 v30, vcc, s16, v30
	v_addc_co_u32_e32 v31, vcc, v33, v31, vcc
	global_load_dword v89, v[30:31], off
	s_waitcnt vmcnt(8)
	v_mfma_f32_16x16x16f16 v[18:21], v[22:23], v[10:11], v[18:21]
	v_add_co_u32_e32 v22, vcc, v70, v49
	v_addc_co_u32_e32 v23, vcc, 0, v71, vcc
	global_load_dwordx4 v[70:73], v[22:23], off
	v_and_b32_e32 v22, 16, v0
	v_lshlrev_b32_e32 v22, 1, v22
	v_mfma_f32_16x16x16f16 v[18:21], v[24:25], v[12:13], v[18:21]
	v_mov_b32_e32 v23, s3
	v_add_co_u32_e32 v90, vcc, s2, v22
	v_addc_co_u32_e32 v91, vcc, 0, v23, vcc
	v_add_co_u32_e32 v22, vcc, v90, v92
	s_waitcnt vmcnt(8)
	v_mfma_f32_16x16x16f16 v[18:21], v[26:27], v[50:51], v[18:21]
	v_addc_co_u32_e32 v23, vcc, 0, v91, vcc
	v_mfma_f32_16x16x16f16 v[76:79], v[28:29], v[52:53], v[18:21]
	s_waitcnt vmcnt(5)
	s_nop 7
	v_mad_i64_i32 v[18:19], s[2:3], v40, s1, 0
	v_lshlrev_b64 v[80:81], 1, v[18:19]
	v_mfma_f32_16x16x16f16 v[18:21], v[62:63], v[6:7], 0
	v_add_co_u32_e32 v6, vcc, v22, v80
	v_addc_co_u32_e32 v7, vcc, v23, v81, vcc
	global_load_dwordx4 v[46:49], v[6:7], off
	global_load_dwordx4 v[42:45], v[6:7], off offset:16
	v_pk_mul_f32 v[76:77], s[0:1], v[76:77] op_sel_hi:[0,1]
	v_pk_mul_f32 v[78:79], s[0:1], v[78:79] op_sel_hi:[0,1]
	s_waitcnt vmcnt(6)
	v_mad_i64_i32 v[6:7], s[2:3], v34, s1, 0
	v_lshlrev_b64 v[82:83], 1, v[6:7]
	v_mfma_f32_16x16x16f16 v[6:9], v[64:65], v[8:9], v[18:21]
	v_mfma_f32_16x16x16f16 v[6:9], v[14:15], v[2:3], v[6:9]
	s_nop 5
	v_add_co_u32_e32 v18, vcc, v22, v82
	v_addc_co_u32_e32 v19, vcc, v23, v83, vcc
	global_load_dwordx4 v[38:41], v[18:19], off
	global_load_dwordx4 v[34:37], v[18:19], off offset:16
	s_waitcnt vmcnt(7)
	v_mad_i64_i32 v[18:19], s[2:3], v32, s1, 0
	v_lshlrev_b64 v[64:65], 1, v[18:19]
	v_add_co_u32_e32 v2, vcc, v22, v64
	v_addc_co_u32_e32 v3, vcc, v23, v65, vcc
	global_load_dwordx4 v[30:33], v[2:3], off
	global_load_dwordx4 v[26:29], v[2:3], off offset:16
	v_mfma_f32_16x16x16f16 v[2:5], v[16:17], v[4:5], v[6:9]
	s_waitcnt vmcnt(8)
	v_mfma_f32_16x16x16f16 v[2:5], v[66:67], v[10:11], v[2:5]
	s_waitcnt vmcnt(7)
	s_nop 3
	v_mad_i64_i32 v[6:7], s[2:3], v89, s1, 0
	v_lshlrev_b64 v[62:63], 1, v[6:7]
	v_add_co_u32_e32 v6, vcc, v22, v62
	v_addc_co_u32_e32 v7, vcc, v23, v63, vcc
	v_mfma_f32_16x16x16f16 v[10:13], v[68:69], v[12:13], v[2:5]
	global_load_dwordx4 v[22:25], v[6:7], off
	global_load_dwordx4 v[18:21], v[6:7], off offset:16
	v_or_b32_e32 v6, 0x1000, v92
	v_add_co_u32_e32 v89, vcc, v90, v6
	v_addc_co_u32_e32 v94, vcc, 0, v91, vcc
	s_nop 1
	v_add_co_u32_e32 v2, vcc, v89, v80
	s_waitcnt vmcnt(8)
	v_mfma_f32_16x16x16f16 v[90:93], v[70:71], v[50:51], v[10:13]
	v_addc_co_u32_e32 v3, vcc, v94, v81, vcc
	v_add_co_u32_e32 v66, vcc, v89, v82
	v_addc_co_u32_e32 v67, vcc, v94, v83, vcc
	global_load_dwordx4 v[6:9], v[2:3], off
	s_nop 0
	global_load_dwordx4 v[2:5], v[2:3], off offset:16
	v_mfma_f32_16x16x16f16 v[50:53], v[72:73], v[52:53], v[90:93]
	global_load_dwordx4 v[14:17], v[66:67], off
	global_load_dwordx4 v[10:13], v[66:67], off offset:16
	v_pk_mul_f32 v[68:69], s[0:1], v[54:55] op_sel_hi:[0,1]
	v_pk_mul_f32 v[80:81], s[0:1], v[56:57] op_sel_hi:[0,1]
	;; [unrolled: 1-line block ×4, first 2 shown]
	s_nop 4
	v_pk_mul_f32 v[72:73], s[0:1], v[50:51] op_sel_hi:[0,1]
	v_and_b32_e32 v50, 0xc0, v0
	v_add_u32_e32 v50, s9, v50
	v_lshl_or_b32 v50, v74, 2, v50
	v_pk_mul_f32 v[66:67], s[0:1], v[52:53] op_sel_hi:[0,1]
	v_or_b32_e32 v53, 1, v50
	v_mov_b32_e32 v51, 0xff7fffff
	v_cmp_gt_i32_e64 s[28:29], s33, v50
	v_cmp_gt_i32_e64 s[30:31], s33, v53
	v_cndmask_b32_e64 v52, v51, v68, s[28:29]
	v_cndmask_b32_e64 v53, v51, v69, s[30:31]
	v_max3_f32 v52, v52, s41, v53
	v_or_b32_e32 v53, 2, v50
	v_or_b32_e32 v54, 3, v50
	v_cmp_gt_i32_e64 s[34:35], s33, v53
	v_cmp_gt_i32_e64 s[36:37], s33, v54
	v_cndmask_b32_e64 v53, v51, v80, s[34:35]
	v_cndmask_b32_e64 v54, v51, v81, s[36:37]
	v_max3_f32 v52, v52, v53, v54
	v_or_b32_e32 v53, 16, v50
	v_or_b32_e32 v54, 17, v50
	;; [unrolled: 7-line block ×7, first 2 shown]
	v_cmp_gt_i32_e32 vcc, s33, v53
	v_cmp_gt_i32_e64 s[0:1], s33, v50
	v_cndmask_b32_e32 v53, v51, v66, vcc
	v_cndmask_b32_e64 v50, v51, v67, s[0:1]
	v_max3_f32 v58, v52, v53, v50
	v_mbcnt_lo_u32_b32 v50, -1, 0
	v_mbcnt_hi_u32_b32 v59, -1, v50
	v_and_b32_e32 v50, 64, v59
	v_add_u32_e32 v60, 64, v50
	v_xor_b32_e32 v50, 32, v59
	v_cmp_lt_i32_e64 s[38:39], v50, v60
	v_cndmask_b32_e64 v50, v59, v50, s[38:39]
	v_lshlrev_b32_e32 v90, 2, v50
	ds_bpermute_b32 v61, v90, v58
	v_add_co_u32_e64 v50, s[38:39], v89, v64
	v_addc_co_u32_e64 v51, s[38:39], v94, v65, s[38:39]
	s_waitcnt lgkmcnt(0)
	v_max_f32_e32 v61, v61, v61
	v_max_f32_e32 v61, v58, v61
	v_xor_b32_e32 v58, 16, v59
	v_cmp_lt_i32_e64 s[38:39], v58, v60
	v_cndmask_b32_e64 v58, v59, v58, s[38:39]
	v_lshlrev_b32_e32 v91, 2, v58
	ds_bpermute_b32 v60, v91, v61
	v_add_co_u32_e64 v58, s[38:39], v89, v62
	v_addc_co_u32_e64 v59, s[38:39], v94, v63, s[38:39]
	s_waitcnt lgkmcnt(0)
	v_max_f32_e32 v60, v60, v60
	v_max_f32_e32 v89, v61, v60
	v_sub_f32_e32 v60, v68, v89
	v_mul_f32_e32 v60, 0x3fb8aa3b, v60
	v_exp_f32_e32 v68, v60
	v_sub_f32_e32 v60, v69, v89
	v_mul_f32_e32 v60, 0x3fb8aa3b, v60
	global_load_dwordx4 v[54:57], v[50:51], off
	s_nop 0
	global_load_dwordx4 v[50:53], v[50:51], off offset:16
	v_exp_f32_e32 v69, v60
	global_load_dwordx4 v[62:65], v[58:59], off
	s_nop 0
	global_load_dwordx4 v[58:61], v[58:59], off offset:16
	v_sub_f32_e32 v80, v80, v89
	v_mul_f32_e32 v80, 0x3fb8aa3b, v80
	v_sub_f32_e32 v81, v81, v89
	v_exp_f32_e32 v80, v80
	v_mul_f32_e32 v81, 0x3fb8aa3b, v81
	v_sub_f32_e32 v70, v70, v89
	v_exp_f32_e32 v81, v81
	v_mul_f32_e32 v70, 0x3fb8aa3b, v70
	v_sub_f32_e32 v71, v71, v89
	v_cndmask_b32_e64 v68, 0, v68, s[28:29]
	v_exp_f32_e32 v70, v70
	v_mul_f32_e32 v71, 0x3fb8aa3b, v71
	v_sub_f32_e32 v82, v82, v89
	v_add_f32_e32 v92, 0, v68
	v_cndmask_b32_e64 v69, 0, v69, s[30:31]
	v_exp_f32_e32 v71, v71
	v_mul_f32_e32 v82, 0x3fb8aa3b, v82
	v_sub_f32_e32 v83, v83, v89
	v_add_f32_e32 v92, v92, v69
	;; [unrolled: 5-line block ×10, first 2 shown]
	v_cndmask_b32_e64 v78, 0, v78, s[10:11]
	v_exp_f32_e32 v66, v66
	v_mul_f32_e32 v67, 0x3fb8aa3b, v67
	v_add_f32_e32 v92, v92, v78
	v_cndmask_b32_e64 v79, 0, v79, s[12:13]
	v_exp_f32_e32 v67, v67
	v_add_f32_e32 v92, v92, v79
	v_cndmask_b32_e64 v72, 0, v72, s[2:3]
	v_add_f32_e32 v92, v92, v72
	v_cndmask_b32_e64 v73, 0, v73, s[8:9]
	v_add_f32_e32 v92, v92, v73
	v_cndmask_b32_e32 v66, 0, v66, vcc
	v_add_f32_e32 v92, v92, v66
	v_cndmask_b32_e64 v67, 0, v67, s[0:1]
	v_add_f32_e32 v92, v92, v67
	ds_bpermute_b32 v90, v90, v92
	v_cmp_gt_u32_e32 vcc, 16, v87
	s_waitcnt lgkmcnt(0)
	s_barrier
	v_add_f32_e32 v90, v92, v90
	ds_bpermute_b32 v91, v91, v90
	s_and_saveexec_b64 s[0:1], vcc
	s_cbranch_execz .LBB187_15
; %bb.14:
	s_waitcnt lgkmcnt(0)
	v_add_f32_e32 v87, v90, v91
	v_lshlrev_b32_e32 v88, 2, v88
	ds_write2st64_b32 v88, v89, v87 offset1:1
.LBB187_15:
	s_or_b64 exec, exec, s[0:1]
	v_lshlrev_b32_e32 v94, 2, v86
	s_load_dword s2, s[4:5], 0x94
	s_waitcnt lgkmcnt(0)
	s_barrier
	ds_read2_b32 v[88:89], v94 offset1:16
	ds_read2_b32 v[90:91], v94 offset0:32 offset1:48
	ds_read2_b32 v[92:93], v94 offset0:64 offset1:80
	;; [unrolled: 1-line block ×3, first 2 shown]
	s_waitcnt lgkmcnt(0)
	v_max3_f32 v87, v88, s41, v89
	v_max3_f32 v87, v87, v90, v91
	v_sub_f32_e32 v88, v88, v87
	v_mul_f32_e32 v88, 0x3fb8aa3b, v88
	v_exp_f32_e32 v84, v88
	v_sub_f32_e32 v88, v89, v87
	v_mul_f32_e32 v88, 0x3fb8aa3b, v88
	v_exp_f32_e32 v89, v88
	;; [unrolled: 3-line block ×4, first 2 shown]
	v_fma_f32 v88, v84, v92, 0
	v_fmac_f32_e32 v88, v89, v93
	v_fmac_f32_e32 v88, v90, v94
	;; [unrolled: 1-line block ×3, first 2 shown]
	v_add_f32_e32 v92, 0x358637bd, v88
	v_div_scale_f32 v93, s[0:1], v92, v92, 1.0
	v_rcp_f32_e32 v94, v93
	s_barrier
	s_lshl_b32 s3, s40, 4
	v_fma_f32 v95, -v93, v94, 1.0
	v_fmac_f32_e32 v94, v95, v94
	v_div_scale_f32 v95, vcc, 1.0, v92, 1.0
	v_mul_f32_e32 v74, v95, v94
	v_fma_f32 v75, -v93, v74, v95
	v_fmac_f32_e32 v74, v75, v94
	v_fma_f32 v75, -v93, v74, v95
	v_mov_b32_e32 v93, v86
	v_lshrrev_b32_e32 v86, 6, v0
	v_div_fmas_f32 v74, v75, v94, v74
	v_cmp_eq_u32_e32 vcc, 1, v86
	v_cndmask_b32_e32 v75, v84, v89, vcc
	v_cmp_eq_u32_e32 vcc, 2, v86
	v_cndmask_b32_e32 v75, v75, v90, vcc
	v_cmp_eq_u32_e32 vcc, 3, v86
	v_div_fixup_f32 v74, v74, v92, 1.0
	v_cndmask_b32_e32 v75, v75, v91, vcc
	v_mul_f32_e32 v90, v75, v74
	v_pk_mul_f32 v[80:81], v[90:91], v[80:81] op_sel_hi:[0,1]
	v_pk_mul_f32 v[68:69], v[90:91], v[68:69] op_sel_hi:[0,1]
	v_cvt_f16_f32_e32 v68, v68
	v_cvt_f16_f32_e32 v69, v69
	;; [unrolled: 1-line block ×4, first 2 shown]
	v_pk_mul_f32 v[80:81], v[90:91], v[82:83] op_sel_hi:[0,1]
	v_pk_mul_f32 v[70:71], v[90:91], v[70:71] op_sel_hi:[0,1]
	v_cvt_f16_f32_e32 v70, v70
	v_cvt_f16_f32_e32 v71, v71
	;; [unrolled: 1-line block ×4, first 2 shown]
	v_mov_b32_e32 v84, v1
	v_pack_b32_f16 v68, v68, v69
	v_pack_b32_f16 v69, v74, v75
	v_lshlrev_b32_e32 v74, 3, v84
	v_lshlrev_b32_e32 v75, 5, v93
	;; [unrolled: 1-line block ×3, first 2 shown]
	v_or3_b32 v80, v80, v75, v74
	v_pack_b32_f16 v70, v70, v71
	v_pack_b32_f16 v71, v82, v81
	ds_write2st64_b64 v80, v[68:69], v[70:71] offset1:1
	v_pk_mul_f32 v[68:69], v[90:91], v[78:79] op_sel_hi:[0,1]
	v_pk_mul_f32 v[70:71], v[90:91], v[76:77] op_sel_hi:[0,1]
	v_cvt_f16_f32_e32 v74, v68
	v_cvt_f16_f32_e32 v75, v69
	v_pk_mul_f32 v[66:67], v[90:91], v[66:67] op_sel_hi:[0,1]
	v_pk_mul_f32 v[68:69], v[90:91], v[72:73] op_sel_hi:[0,1]
	v_cvt_f16_f32_e32 v70, v70
	v_cvt_f16_f32_e32 v71, v71
	;; [unrolled: 1-line block ×6, first 2 shown]
	v_pack_b32_f16 v66, v70, v71
	v_pack_b32_f16 v67, v74, v75
	v_pack_b32_f16 v68, v68, v69
	v_pack_b32_f16 v69, v72, v73
	v_cmp_gt_u32_e32 vcc, 16, v0
	ds_write2st64_b64 v80, v[66:67], v[68:69] offset0:2 offset1:3
	s_and_saveexec_b64 s[0:1], vcc
	s_cbranch_execz .LBB187_17
; %bb.16:
	v_or_b32_e32 v66, s27, v0
	v_mov_b32_e32 v67, 0
	v_mov_b32_e32 v68, s3
	v_mad_u64_u32 v[68:69], s[12:13], s6, v68, v[66:67]
	v_mov_b32_e32 v66, s26
	s_load_dwordx4 s[8:11], s[4:5], 0x58
	s_mul_i32 s7, s7, s3
	v_mad_u64_u32 v[66:67], s[12:13], v68, s2, v[66:67]
	v_add_u32_e32 v69, s7, v69
	v_mov_b32_e32 v68, v67
	v_mad_u64_u32 v[68:69], s[12:13], v69, s2, v[68:69]
	v_mov_b32_e32 v67, v68
	v_lshlrev_b64 v[66:67], 2, v[66:67]
	s_waitcnt lgkmcnt(0)
	v_mov_b32_e32 v69, s11
	v_add_co_u32_e32 v68, vcc, s10, v66
	v_addc_co_u32_e32 v69, vcc, v69, v67, vcc
	global_store_dword v[68:69], v87, off
	v_mov_b32_e32 v68, s9
	v_add_co_u32_e32 v66, vcc, s8, v66
	v_addc_co_u32_e32 v67, vcc, v68, v67, vcc
	global_store_dword v[66:67], v88, off
.LBB187_17:
	s_or_b64 exec, exec, s[0:1]
	s_waitcnt lgkmcnt(0)
	s_barrier
	ds_read_b128 v[70:73], v85
	ds_read_b128 v[66:69], v85 offset:16
	s_waitcnt vmcnt(15) lgkmcnt(1)
	v_mfma_f32_16x16x16f16 v[76:79], v[46:47], v[70:71], 0
	s_mov_b32 s1, 0
	v_cmp_gt_u32_e32 vcc, 64, v0
	v_mfma_f32_16x16x16f16 v[46:49], v[48:49], v[72:73], v[76:79]
	s_waitcnt vmcnt(14) lgkmcnt(0)
	v_mfma_f32_16x16x16f16 v[46:49], v[42:43], v[66:67], v[46:49]
	v_mfma_f32_16x16x16f16 v[42:45], v[44:45], v[68:69], v[46:49]
	s_nop 7
	s_nop 1
	ds_read_b128 v[46:49], v85 offset:2048
	ds_read_b128 v[76:79], v85 offset:2064
	s_waitcnt vmcnt(13) lgkmcnt(1)
	v_mfma_f32_16x16x16f16 v[42:45], v[38:39], v[46:47], v[42:45]
	v_mfma_f32_16x16x16f16 v[38:41], v[40:41], v[48:49], v[42:45]
	s_waitcnt vmcnt(12) lgkmcnt(0)
	v_mfma_f32_16x16x16f16 v[38:41], v[34:35], v[76:77], v[38:41]
	v_mfma_f32_16x16x16f16 v[34:37], v[36:37], v[78:79], v[38:41]
	s_nop 7
	s_nop 1
	ds_read_b128 v[38:41], v85 offset:4096
	ds_read_b128 v[42:45], v85 offset:4112
	s_waitcnt vmcnt(11) lgkmcnt(1)
	v_mfma_f32_16x16x16f16 v[34:37], v[30:31], v[38:39], v[34:37]
	v_mfma_f32_16x16x16f16 v[30:33], v[32:33], v[40:41], v[34:37]
	s_waitcnt vmcnt(10) lgkmcnt(0)
	v_mfma_f32_16x16x16f16 v[30:33], v[26:27], v[42:43], v[30:33]
	v_mfma_f32_16x16x16f16 v[26:29], v[28:29], v[44:45], v[30:33]
	s_nop 7
	s_nop 1
	ds_read_b128 v[30:33], v85 offset:6144
	ds_read_b128 v[34:37], v85 offset:6160
	s_waitcnt lgkmcnt(0)
	s_barrier
	s_waitcnt vmcnt(9)
	v_mfma_f32_16x16x16f16 v[26:29], v[22:23], v[30:31], v[26:29]
	v_mfma_f32_16x16x16f16 v[22:25], v[24:25], v[32:33], v[26:29]
	s_waitcnt vmcnt(8)
	v_mfma_f32_16x16x16f16 v[22:25], v[18:19], v[34:35], v[22:25]
	v_mfma_f32_16x16x16f16 v[18:21], v[20:21], v[36:37], v[22:25]
	;; [unrolled: 3-line block ×4, first 2 shown]
	s_waitcnt vmcnt(5)
	v_mfma_f32_16x16x16f16 v[2:5], v[14:15], v[46:47], v[2:5]
	s_nop 7
	v_cvt_f16_f32_e32 v6, v18
	v_cvt_f16_f32_e32 v7, v19
	;; [unrolled: 1-line block ×4, first 2 shown]
	v_mfma_f32_16x16x16f16 v[2:5], v[16:17], v[48:49], v[2:5]
	s_waitcnt vmcnt(4)
	v_mfma_f32_16x16x16f16 v[2:5], v[10:11], v[76:77], v[2:5]
	v_mfma_f32_16x16x16f16 v[2:5], v[12:13], v[78:79], v[2:5]
	s_waitcnt vmcnt(3)
	v_mfma_f32_16x16x16f16 v[2:5], v[54:55], v[38:39], v[2:5]
	;; [unrolled: 3-line block ×5, first 2 shown]
	v_mfma_f32_16x16x16f16 v[2:5], v[60:61], v[36:37], v[2:5]
	s_nop 7
	s_nop 2
	v_cvt_f16_f32_e32 v10, v2
	v_cvt_f16_f32_e32 v11, v3
	;; [unrolled: 1-line block ×4, first 2 shown]
	v_pack_b32_f16 v2, v6, v7
	v_pack_b32_f16 v3, v8, v9
	;; [unrolled: 1-line block ×4, first 2 shown]
	ds_write2st64_b64 v80, v[2:3], v[4:5] offset1:1
	s_waitcnt lgkmcnt(0)
	s_barrier
	s_and_saveexec_b64 s[8:9], vcc
	s_cbranch_execz .LBB187_19
; %bb.18:
	v_lshlrev_b32_e32 v1, 6, v93
	v_lshlrev_b32_e32 v3, 4, v0
	v_lshl_or_b32 v0, v0, 10, v1
	v_lshlrev_b32_e32 v2, 5, v84
	v_and_b32_e32 v3, 16, v3
	v_and_b32_e32 v0, 0x1a00, v0
	v_or3_b32 v12, v0, v2, v3
	ds_read_b128 v[0:3], v12
	ds_read_b128 v[4:7], v12 offset:128
	ds_read_b128 v[8:11], v12 offset:256
	;; [unrolled: 1-line block ×3, first 2 shown]
	buffer_load_dword v18, off, s[44:47], 0 ; 4-byte Folded Reload
	buffer_load_dword v19, off, s[44:47], 0 offset:4 ; 4-byte Folded Reload
	s_load_dwordx2 s[4:5], s[4:5], 0x68
	s_lshl_b32 s7, s2, 7
	s_mul_i32 s0, s3, s6
	s_mul_hi_u32 s3, s0, s7
	s_mul_i32 s2, s0, s7
	s_lshl_b64 s[2:3], s[2:3], 1
	s_waitcnt lgkmcnt(0)
	s_add_u32 s2, s4, s2
	s_addc_u32 s3, s5, s3
	s_lshl_b32 s0, s26, 7
	s_lshl_b64 s[0:1], s[0:1], 1
	s_add_u32 s0, s2, s0
	s_addc_u32 s1, s3, s1
	v_mov_b32_e32 v16, s1
	v_or_b32_e32 v20, s27, v84
	s_waitcnt vmcnt(1)
	v_add_co_u32_e32 v18, vcc, s0, v18
	s_waitcnt vmcnt(0)
	v_addc_co_u32_e32 v19, vcc, v16, v19, vcc
	v_mad_u64_u32 v[16:17], s[0:1], v20, s7, 0
	v_lshlrev_b64 v[16:17], 1, v[16:17]
	v_add_co_u32_e32 v16, vcc, v18, v16
	v_addc_co_u32_e32 v17, vcc, v19, v17, vcc
	global_store_dwordx4 v[16:17], v[0:3], off
	s_nop 0
	v_or_b32_e32 v0, 4, v20
	v_mad_u64_u32 v[0:1], s[0:1], v0, s7, 0
	v_lshlrev_b64 v[0:1], 1, v[0:1]
	v_add_co_u32_e32 v0, vcc, v18, v0
	v_addc_co_u32_e32 v1, vcc, v19, v1, vcc
	global_store_dwordx4 v[0:1], v[4:7], off
	v_or_b32_e32 v0, 8, v20
	v_mad_u64_u32 v[0:1], s[0:1], v0, s7, 0
	v_lshlrev_b64 v[0:1], 1, v[0:1]
	v_add_co_u32_e32 v0, vcc, v18, v0
	v_addc_co_u32_e32 v1, vcc, v19, v1, vcc
	global_store_dwordx4 v[0:1], v[8:11], off
	;; [unrolled: 6-line block ×3, first 2 shown]
.LBB187_19:
	s_endpgm
	.section	.rodata,"a",@progbits
	.p2align	6, 0x0
	.amdhsa_kernel _Z39paged_attention_ll4mi_QKV_mfma16_kernelIDF16_DF16_LN4vllm18Fp8KVCacheDataTypeE0EDF16_Li32ELi128ELi256ELb0ELi16EL8MFMAType0EEvPKT_PKT0_S8_ifPKiSA_SA_iPKfiiiPfSD_PS3_PT2_iSC_SC_
		.amdhsa_group_segment_fixed_size 8192
		.amdhsa_private_segment_fixed_size 12
		.amdhsa_kernarg_size 400
		.amdhsa_user_sgpr_count 6
		.amdhsa_user_sgpr_private_segment_buffer 1
		.amdhsa_user_sgpr_dispatch_ptr 0
		.amdhsa_user_sgpr_queue_ptr 0
		.amdhsa_user_sgpr_kernarg_segment_ptr 1
		.amdhsa_user_sgpr_dispatch_id 0
		.amdhsa_user_sgpr_flat_scratch_init 0
		.amdhsa_user_sgpr_kernarg_preload_length 0
		.amdhsa_user_sgpr_kernarg_preload_offset 0
		.amdhsa_user_sgpr_private_segment_size 0
		.amdhsa_uses_dynamic_stack 0
		.amdhsa_system_sgpr_private_segment_wavefront_offset 1
		.amdhsa_system_sgpr_workgroup_id_x 1
		.amdhsa_system_sgpr_workgroup_id_y 1
		.amdhsa_system_sgpr_workgroup_id_z 1
		.amdhsa_system_sgpr_workgroup_info 0
		.amdhsa_system_vgpr_workitem_id 0
		.amdhsa_next_free_vgpr 96
		.amdhsa_next_free_sgpr 48
		.amdhsa_accum_offset 96
		.amdhsa_reserve_vcc 1
		.amdhsa_reserve_flat_scratch 0
		.amdhsa_float_round_mode_32 0
		.amdhsa_float_round_mode_16_64 0
		.amdhsa_float_denorm_mode_32 3
		.amdhsa_float_denorm_mode_16_64 3
		.amdhsa_dx10_clamp 1
		.amdhsa_ieee_mode 1
		.amdhsa_fp16_overflow 0
		.amdhsa_tg_split 0
		.amdhsa_exception_fp_ieee_invalid_op 0
		.amdhsa_exception_fp_denorm_src 0
		.amdhsa_exception_fp_ieee_div_zero 0
		.amdhsa_exception_fp_ieee_overflow 0
		.amdhsa_exception_fp_ieee_underflow 0
		.amdhsa_exception_fp_ieee_inexact 0
		.amdhsa_exception_int_div_zero 0
	.end_amdhsa_kernel
	.section	.text._Z39paged_attention_ll4mi_QKV_mfma16_kernelIDF16_DF16_LN4vllm18Fp8KVCacheDataTypeE0EDF16_Li32ELi128ELi256ELb0ELi16EL8MFMAType0EEvPKT_PKT0_S8_ifPKiSA_SA_iPKfiiiPfSD_PS3_PT2_iSC_SC_,"axG",@progbits,_Z39paged_attention_ll4mi_QKV_mfma16_kernelIDF16_DF16_LN4vllm18Fp8KVCacheDataTypeE0EDF16_Li32ELi128ELi256ELb0ELi16EL8MFMAType0EEvPKT_PKT0_S8_ifPKiSA_SA_iPKfiiiPfSD_PS3_PT2_iSC_SC_,comdat
.Lfunc_end187:
	.size	_Z39paged_attention_ll4mi_QKV_mfma16_kernelIDF16_DF16_LN4vllm18Fp8KVCacheDataTypeE0EDF16_Li32ELi128ELi256ELb0ELi16EL8MFMAType0EEvPKT_PKT0_S8_ifPKiSA_SA_iPKfiiiPfSD_PS3_PT2_iSC_SC_, .Lfunc_end187-_Z39paged_attention_ll4mi_QKV_mfma16_kernelIDF16_DF16_LN4vllm18Fp8KVCacheDataTypeE0EDF16_Li32ELi128ELi256ELb0ELi16EL8MFMAType0EEvPKT_PKT0_S8_ifPKiSA_SA_iPKfiiiPfSD_PS3_PT2_iSC_SC_
                                        ; -- End function
	.section	.AMDGPU.csdata,"",@progbits
; Kernel info:
; codeLenInByte = 4828
; NumSgprs: 52
; NumVgprs: 96
; NumAgprs: 0
; TotalNumVgprs: 96
; ScratchSize: 12
; MemoryBound: 0
; FloatMode: 240
; IeeeMode: 1
; LDSByteSize: 8192 bytes/workgroup (compile time only)
; SGPRBlocks: 6
; VGPRBlocks: 11
; NumSGPRsForWavesPerEU: 52
; NumVGPRsForWavesPerEU: 96
; AccumOffset: 96
; Occupancy: 5
; WaveLimiterHint : 1
; COMPUTE_PGM_RSRC2:SCRATCH_EN: 1
; COMPUTE_PGM_RSRC2:USER_SGPR: 6
; COMPUTE_PGM_RSRC2:TRAP_HANDLER: 0
; COMPUTE_PGM_RSRC2:TGID_X_EN: 1
; COMPUTE_PGM_RSRC2:TGID_Y_EN: 1
; COMPUTE_PGM_RSRC2:TGID_Z_EN: 1
; COMPUTE_PGM_RSRC2:TIDIG_COMP_CNT: 0
; COMPUTE_PGM_RSRC3_GFX90A:ACCUM_OFFSET: 23
; COMPUTE_PGM_RSRC3_GFX90A:TG_SPLIT: 0
	.section	.text._Z39paged_attention_ll4mi_QKV_mfma16_kernelIDF16_DF16_LN4vllm18Fp8KVCacheDataTypeE0EDF16_Li32ELi128ELi256ELb0ELi1EL8MFMAType0EEvPKT_PKT0_S8_ifPKiSA_SA_iPKfiiiPfSD_PS3_PT2_iSC_SC_,"axG",@progbits,_Z39paged_attention_ll4mi_QKV_mfma16_kernelIDF16_DF16_LN4vllm18Fp8KVCacheDataTypeE0EDF16_Li32ELi128ELi256ELb0ELi1EL8MFMAType0EEvPKT_PKT0_S8_ifPKiSA_SA_iPKfiiiPfSD_PS3_PT2_iSC_SC_,comdat
	.protected	_Z39paged_attention_ll4mi_QKV_mfma16_kernelIDF16_DF16_LN4vllm18Fp8KVCacheDataTypeE0EDF16_Li32ELi128ELi256ELb0ELi1EL8MFMAType0EEvPKT_PKT0_S8_ifPKiSA_SA_iPKfiiiPfSD_PS3_PT2_iSC_SC_ ; -- Begin function _Z39paged_attention_ll4mi_QKV_mfma16_kernelIDF16_DF16_LN4vllm18Fp8KVCacheDataTypeE0EDF16_Li32ELi128ELi256ELb0ELi1EL8MFMAType0EEvPKT_PKT0_S8_ifPKiSA_SA_iPKfiiiPfSD_PS3_PT2_iSC_SC_
	.globl	_Z39paged_attention_ll4mi_QKV_mfma16_kernelIDF16_DF16_LN4vllm18Fp8KVCacheDataTypeE0EDF16_Li32ELi128ELi256ELb0ELi1EL8MFMAType0EEvPKT_PKT0_S8_ifPKiSA_SA_iPKfiiiPfSD_PS3_PT2_iSC_SC_
	.p2align	8
	.type	_Z39paged_attention_ll4mi_QKV_mfma16_kernelIDF16_DF16_LN4vllm18Fp8KVCacheDataTypeE0EDF16_Li32ELi128ELi256ELb0ELi1EL8MFMAType0EEvPKT_PKT0_S8_ifPKiSA_SA_iPKfiiiPfSD_PS3_PT2_iSC_SC_,@function
_Z39paged_attention_ll4mi_QKV_mfma16_kernelIDF16_DF16_LN4vllm18Fp8KVCacheDataTypeE0EDF16_Li32ELi128ELi256ELb0ELi1EL8MFMAType0EEvPKT_PKT0_S8_ifPKiSA_SA_iPKfiiiPfSD_PS3_PT2_iSC_SC_: ; @_Z39paged_attention_ll4mi_QKV_mfma16_kernelIDF16_DF16_LN4vllm18Fp8KVCacheDataTypeE0EDF16_Li32ELi128ELi256ELb0ELi1EL8MFMAType0EEvPKT_PKT0_S8_ifPKiSA_SA_iPKfiiiPfSD_PS3_PT2_iSC_SC_
; %bb.0:
	s_mov_b64 s[46:47], s[2:3]
	s_mov_b64 s[44:45], s[0:1]
	s_load_dwordx2 s[0:1], s[4:5], 0x30
	s_add_u32 s44, s44, s9
	s_addc_u32 s45, s45, 0
	s_mov_b32 s9, s7
	s_mov_b64 s[10:11], 0
	s_waitcnt lgkmcnt(0)
	s_cmp_lg_u64 s[0:1], 0
	s_cselect_b64 s[2:3], -1, 0
	s_and_b64 vcc, exec, s[2:3]
	s_cbranch_vccz .LBB188_7
; %bb.1:
	s_add_i32 s12, s6, 1
	s_mov_b32 s13, 0
	s_lshl_b64 s[14:15], s[12:13], 2
	s_add_u32 s14, s0, s14
	s_mov_b32 s7, s13
	s_addc_u32 s15, s1, s15
	s_lshl_b64 s[12:13], s[6:7], 2
	s_add_u32 s12, s0, s12
	s_addc_u32 s13, s1, s13
	s_load_dword s16, s[14:15], 0x0
	s_load_dword s17, s[12:13], 0x0
	s_waitcnt lgkmcnt(0)
	s_sub_i32 s12, s16, s17
	s_cmp_eq_u32 s12, 1
	s_cselect_b64 s[12:13], -1, 0
	s_andn2_b64 vcc, exec, s[10:11]
	s_cbranch_vccnz .LBB188_3
.LBB188_2:
	s_mov_b32 s7, 0
	s_mov_b64 s[12:13], -1
.LBB188_3:
	s_andn2_b64 vcc, exec, s[12:13]
	s_cbranch_vccnz .LBB188_19
; %bb.4:
	s_load_dwordx2 s[12:13], s[4:5], 0x28
	s_lshl_b64 s[10:11], s[6:7], 2
	s_waitcnt lgkmcnt(0)
	s_add_u32 s12, s12, s10
	s_addc_u32 s13, s13, s11
	s_load_dword s33, s[12:13], 0x0
	s_lshl_b32 s16, s9, 8
	s_waitcnt lgkmcnt(0)
	s_cmp_ge_i32 s16, s33
	s_cbranch_scc1 .LBB188_19
; %bb.5:
	s_add_i32 s15, s33, 31
	s_load_dwordx2 s[12:13], s[4:5], 0x20
	s_load_dword s14, s[4:5], 0x38
	s_ashr_i32 s17, s15, 31
	v_and_b32_e32 v1, 0xcf, v0
	s_lshr_b32 s17, s17, 27
	v_add_u32_e32 v1, s16, v1
	s_add_i32 s15, s15, s17
	v_ashrrev_i32_e32 v2, 31, v1
	s_ashr_i32 s19, s15, 5
	v_lshrrev_b32_e32 v10, 27, v2
	s_add_i32 s19, s19, -1
	v_add_u32_e32 v2, v1, v10
	s_waitcnt lgkmcnt(0)
	s_mul_i32 s14, s6, s14
	s_mov_b32 s15, 0
	v_ashrrev_i32_e32 v2, 5, v2
	v_mov_b32_e32 v11, s19
	v_cmp_gt_i32_e32 vcc, s33, v1
	s_lshl_b64 s[14:15], s[14:15], 2
	v_cndmask_b32_e32 v2, v11, v2, vcc
	s_add_u32 s17, s12, s14
	v_ashrrev_i32_e32 v3, 31, v2
	s_addc_u32 s18, s13, s15
	v_lshlrev_b64 v[2:3], 2, v[2:3]
	v_mov_b32_e32 v4, s18
	v_add_co_u32_e32 v2, vcc, s17, v2
	v_addc_co_u32_e32 v3, vcc, v4, v3, vcc
	v_or_b32_e32 v4, 16, v1
	v_add_u32_e32 v5, v4, v10
	v_ashrrev_i32_e32 v5, 5, v5
	v_cmp_gt_i32_e32 vcc, s33, v4
	v_cndmask_b32_e32 v4, v11, v5, vcc
	v_ashrrev_i32_e32 v5, 31, v4
	v_lshlrev_b64 v[4:5], 2, v[4:5]
	v_mov_b32_e32 v7, s18
	v_add_co_u32_e32 v6, vcc, s17, v4
	v_or_b32_e32 v4, 32, v1
	v_addc_co_u32_e32 v7, vcc, v7, v5, vcc
	v_add_u32_e32 v5, v4, v10
	v_ashrrev_i32_e32 v5, 5, v5
	v_cmp_gt_i32_e32 vcc, s33, v4
	v_cndmask_b32_e32 v4, v11, v5, vcc
	v_ashrrev_i32_e32 v5, 31, v4
	v_lshlrev_b64 v[4:5], 2, v[4:5]
	v_mov_b32_e32 v9, s18
	v_add_co_u32_e32 v8, vcc, s17, v4
	v_or_b32_e32 v1, 48, v1
	v_addc_co_u32_e32 v9, vcc, v9, v5, vcc
	v_add_u32_e32 v4, v1, v10
	v_ashrrev_i32_e32 v4, 5, v4
	v_cmp_gt_i32_e32 vcc, s33, v1
	v_cndmask_b32_e32 v4, v11, v4, vcc
	v_ashrrev_i32_e32 v5, 31, v4
	v_lshlrev_b64 v[4:5], 2, v[4:5]
	v_mov_b32_e32 v1, s18
	v_add_co_u32_e32 v10, vcc, s17, v4
	v_addc_co_u32_e32 v11, vcc, v1, v5, vcc
	global_load_dword v5, v[2:3], off
	global_load_dword v4, v[6:7], off
	;; [unrolled: 1-line block ×4, first 2 shown]
	s_andn2_b64 vcc, exec, s[2:3]
	s_cbranch_vccnz .LBB188_8
; %bb.6:
	s_add_u32 s0, s0, s10
	s_addc_u32 s1, s1, s11
	s_load_dword s20, s[0:1], 0x0
	s_branch .LBB188_9
.LBB188_7:
	s_mov_b64 s[12:13], 0
	s_branch .LBB188_2
.LBB188_8:
	s_mov_b32 s20, s6
.LBB188_9:
	s_load_dwordx4 s[12:15], s[4:5], 0x8
	s_load_dwordx4 s[0:3], s[4:5], 0x48
	v_lshrrev_b32_e32 v85, 6, v0
	v_bfe_u32 v1, v0, 4, 2
	v_lshl_or_b32 v3, v85, 2, v1
	v_and_b32_e32 v84, 15, v0
	v_lshlrev_b32_e32 v2, 3, v84
	v_cmp_ne_u32_e32 vcc, 0, v3
	s_and_saveexec_b64 s[10:11], vcc
	s_xor_b64 s[10:11], exec, s[10:11]
; %bb.10:
	v_mov_b32_e32 v3, 0
; %bb.11:
	s_or_saveexec_b64 s[10:11], s[10:11]
	v_and_b32_e32 v86, 63, v0
	s_xor_b64 exec, exec, s[10:11]
	s_cbranch_execz .LBB188_13
; %bb.12:
	s_load_dwordx2 s[22:23], s[4:5], 0x0
	s_waitcnt lgkmcnt(0)
	s_ashr_i32 s3, s0, 31
	s_mul_hi_u32 s21, s20, s0
	s_mul_i32 s3, s20, s3
	s_add_i32 s21, s21, s3
	s_mul_i32 s20, s20, s0
	s_lshl_b64 s[20:21], s[20:21], 1
	s_add_u32 s0, s22, s20
	s_addc_u32 s3, s23, s21
	s_lshl_b32 s20, s8, 7
	s_ashr_i32 s21, s20, 31
	s_lshl_b64 s[20:21], s[20:21], 1
	s_add_u32 s20, s0, s20
	s_addc_u32 s21, s3, s21
	v_lshlrev_b32_e32 v3, 1, v2
	global_load_dwordx4 v[6:9], v3, s[20:21]
	v_and_b32_e32 v10, 3, v0
	v_lshlrev_b32_e32 v11, 9, v84
	v_lshlrev_b32_e32 v10, 9, v10
	s_movk_i32 s0, 0x1800
	v_mov_b32_e32 v3, 0
	v_and_or_b32 v10, v11, s0, v10
	s_waitcnt vmcnt(0)
	ds_write_b128 v10, v[6:9]
.LBB188_13:
	s_or_b64 exec, exec, s[10:11]
	s_waitcnt lgkmcnt(0)
	s_mul_i32 s2, s8, s2
	s_mov_b32 s3, 0
	s_lshl_b64 s[2:3], s[2:3], 1
	s_add_u32 s0, s12, s2
	s_addc_u32 s10, s13, s3
	s_waitcnt vmcnt(3)
	v_mad_i64_i32 v[6:7], s[12:13], v5, s1, 0
	v_lshlrev_b64 v[6:7], 1, v[6:7]
	v_mov_b32_e32 v5, s10
	v_add_co_u32_e32 v6, vcc, s0, v6
	v_addc_co_u32_e32 v5, vcc, v5, v7, vcc
	v_lshlrev_b64 v[54:55], 1, v[2:3]
	v_add_co_u32_e32 v27, vcc, v6, v54
	v_lshlrev_b32_e32 v26, 9, v1
	v_addc_co_u32_e32 v28, vcc, v5, v55, vcc
	v_add_co_u32_e32 v2, vcc, v27, v26
	v_addc_co_u32_e32 v3, vcc, 0, v28, vcc
	s_barrier
	global_load_dwordx4 v[10:13], v[2:3], off
	s_waitcnt vmcnt(3)
	v_mad_i64_i32 v[4:5], s[12:13], v4, s1, 0
	v_lshlrev_b64 v[4:5], 1, v[4:5]
	v_mov_b32_e32 v6, s10
	v_add_co_u32_e32 v4, vcc, s0, v4
	v_addc_co_u32_e32 v5, vcc, v6, v5, vcc
	v_mov_b32_e32 v6, 0x100
	v_lshl_or_b32 v29, v84, 4, v6
	v_add_co_u32_e32 v30, vcc, v4, v29
	v_addc_co_u32_e32 v31, vcc, 0, v5, vcc
	v_add_co_u32_e32 v22, vcc, v30, v26
	v_addc_co_u32_e32 v23, vcc, 0, v31, vcc
	global_load_dwordx4 v[18:21], v[22:23], off
	global_load_dwordx4 v[14:17], v[2:3], off offset:2048
	ds_read_b128 v[6:9], v26
	ds_read_b128 v[2:5], v26 offset:2048
	v_or_b32_e32 v48, 0x1000, v26
	global_load_dwordx4 v[36:39], v[22:23], off offset:2048
	v_or_b32_e32 v49, 0x1800, v26
	s_ashr_i32 s11, s16, 31
	v_and_or_b32 v66, v0, 48, s16
	v_mov_b32_e32 v67, s19
	v_lshl_or_b32 v87, v85, 4, v84
	v_lshlrev_b32_e32 v91, 6, v87
	s_mov_b32 s40, 0xff7fffff
	s_waitcnt vmcnt(3) lgkmcnt(1)
	v_mfma_f32_16x16x16f16 v[32:35], v[10:11], v[6:7], 0
	v_mfma_f32_16x16x16f16 v[10:13], v[12:13], v[8:9], v[32:35]
	s_waitcnt vmcnt(2)
	v_mfma_f32_16x16x16f16 v[40:43], v[18:19], v[6:7], 0
	v_add_co_u32_e32 v18, vcc, v27, v48
	v_addc_co_u32_e32 v19, vcc, 0, v28, vcc
	v_add_co_u32_e32 v22, vcc, v30, v48
	v_addc_co_u32_e32 v23, vcc, 0, v31, vcc
	s_waitcnt vmcnt(1) lgkmcnt(0)
	v_mfma_f32_16x16x16f16 v[10:13], v[14:15], v[2:3], v[10:13]
	v_add_co_u32_e32 v14, vcc, v27, v49
	v_addc_co_u32_e32 v15, vcc, 0, v28, vcc
	global_load_dwordx4 v[32:35], v[18:19], off
	global_load_dwordx4 v[44:47], v[14:15], off
	v_add_co_u32_e32 v14, vcc, v30, v49
	v_addc_co_u32_e32 v15, vcc, 0, v31, vcc
	v_mfma_f32_16x16x16f16 v[18:21], v[20:21], v[8:9], v[40:43]
	global_load_dwordx4 v[56:59], v[14:15], off
	v_mov_b32_e32 v28, s10
	s_nop 4
	global_load_dwordx4 v[40:43], v[22:23], off
	v_mad_i64_i32 v[22:23], s[12:13], v25, s1, 0
	v_lshlrev_b64 v[22:23], 1, v[22:23]
	v_mov_b32_e32 v25, s10
	v_add_co_u32_e32 v22, vcc, s0, v22
	v_addc_co_u32_e32 v23, vcc, v25, v23, vcc
	v_mfma_f32_16x16x16f16 v[14:17], v[16:17], v[4:5], v[10:13]
	s_nop 6
	ds_read_b128 v[10:13], v26 offset:4096
	ds_read_b128 v[50:53], v26 offset:6144
	v_add_co_u32_e32 v27, vcc, v22, v54
	buffer_store_dword v54, off, s[44:47], 0 ; 4-byte Folded Spill
	s_nop 0
	buffer_store_dword v55, off, s[44:47], 0 offset:4 ; 4-byte Folded Spill
	s_lshr_b32 s10, s11, 27
	s_add_u32 s2, s14, s2
	s_addc_u32 s3, s15, s3
	s_waitcnt vmcnt(6)
	v_mfma_f32_16x16x16f16 v[18:21], v[36:37], v[2:3], v[18:21]
	v_addc_co_u32_e32 v54, vcc, v23, v55, vcc
	v_add_co_u32_e32 v22, vcc, v27, v26
	v_addc_co_u32_e32 v23, vcc, 0, v54, vcc
	v_mfma_f32_16x16x16f16 v[18:21], v[38:39], v[4:5], v[18:21]
	s_waitcnt vmcnt(5) lgkmcnt(1)
	v_mfma_f32_16x16x16f16 v[14:17], v[32:33], v[10:11], v[14:17]
	global_load_dwordx4 v[30:33], v[22:23], off
	global_load_dwordx4 v[36:39], v[22:23], off offset:2048
	v_mad_i64_i32 v[22:23], s[12:13], v24, s1, 0
	s_waitcnt vmcnt(4)
	v_mfma_f32_16x16x16f16 v[18:21], v[40:41], v[10:11], v[18:21]
	v_lshlrev_b64 v[40:41], 1, v[22:23]
	v_add_co_u32_e32 v22, vcc, v27, v48
	v_addc_co_u32_e32 v23, vcc, 0, v54, vcc
	global_load_dwordx4 v[22:25], v[22:23], off
	v_mfma_f32_16x16x16f16 v[14:17], v[34:35], v[12:13], v[14:17]
	v_add_co_u32_e32 v34, vcc, s0, v40
	v_addc_co_u32_e32 v28, vcc, v28, v41, vcc
	v_add_co_u32_e32 v70, vcc, v34, v29
	v_addc_co_u32_e32 v71, vcc, 0, v28, vcc
	v_mfma_f32_16x16x16f16 v[18:21], v[42:43], v[12:13], v[18:21]
	v_add_co_u32_e32 v28, vcc, v27, v49
	v_addc_co_u32_e32 v29, vcc, 0, v54, vcc
	v_add_u32_e32 v35, s10, v66
	v_ashrrev_i32_e32 v55, 5, v35
	s_load_dword s0, s[4:5], 0x1c
	s_waitcnt lgkmcnt(0)
	v_mfma_f32_16x16x16f16 v[40:43], v[44:45], v[50:51], v[14:17]
	s_nop 6
	v_add_co_u32_e32 v14, vcc, v70, v26
	v_addc_co_u32_e32 v15, vcc, 0, v71, vcc
	v_add_co_u32_e32 v34, vcc, v70, v48
	v_addc_co_u32_e32 v35, vcc, 0, v71, vcc
	v_mfma_f32_16x16x16f16 v[18:21], v[56:57], v[50:51], v[18:21]
	v_cmp_gt_i32_e32 vcc, s33, v66
	global_load_dwordx4 v[26:29], v[28:29], off
	s_nop 0
	global_load_dwordx4 v[62:65], v[14:15], off
	s_nop 0
	global_load_dwordx4 v[14:17], v[14:15], off offset:2048
	v_cndmask_b32_e32 v44, v67, v55, vcc
	v_ashrrev_i32_e32 v45, 31, v44
	v_lshlrev_b64 v[44:45], 2, v[44:45]
	v_mfma_f32_16x16x16f16 v[54:57], v[46:47], v[52:53], v[40:43]
	s_nop 6
	v_mov_b32_e32 v41, s18
	v_add_co_u32_e32 v40, vcc, s17, v44
	v_addc_co_u32_e32 v41, vcc, v41, v45, vcc
	global_load_dword v42, v[40:41], off
	v_or_b32_e32 v40, 64, v66
	v_mfma_f32_16x16x16f16 v[58:61], v[58:59], v[52:53], v[18:21]
	v_cmp_gt_i32_e32 vcc, s33, v40
	v_mov_b32_e32 v43, s18
	s_nop 4
	v_add_u32_e32 v18, s10, v40
	v_ashrrev_i32_e32 v18, 5, v18
	v_cndmask_b32_e32 v18, v67, v18, vcc
	v_ashrrev_i32_e32 v19, 31, v18
	v_lshlrev_b64 v[40:41], 2, v[18:19]
	s_waitcnt vmcnt(6)
	v_mfma_f32_16x16x16f16 v[18:21], v[30:31], v[6:7], 0
	v_add_co_u32_e32 v30, vcc, s17, v40
	v_addc_co_u32_e32 v31, vcc, v43, v41, vcc
	global_load_dword v40, v[30:31], off
	v_or_b32_e32 v30, 0x80, v66
	v_add_u32_e32 v31, s10, v30
	v_ashrrev_i32_e32 v31, 5, v31
	v_cmp_gt_i32_e32 vcc, s33, v30
	v_cndmask_b32_e32 v30, v67, v31, vcc
	v_ashrrev_i32_e32 v31, 31, v30
	v_lshlrev_b64 v[30:31], 2, v[30:31]
	v_mfma_f32_16x16x16f16 v[18:21], v[32:33], v[8:9], v[18:21]
	v_mov_b32_e32 v32, s18
	v_add_co_u32_e32 v30, vcc, s17, v30
	v_addc_co_u32_e32 v31, vcc, v32, v31, vcc
	global_load_dword v32, v[30:31], off
	v_or_b32_e32 v30, 0xc0, v66
	s_waitcnt vmcnt(7)
	v_mfma_f32_16x16x16f16 v[18:21], v[36:37], v[2:3], v[18:21]
	v_add_u32_e32 v31, s10, v30
	v_ashrrev_i32_e32 v31, 5, v31
	v_cmp_gt_i32_e32 vcc, s33, v30
	v_cndmask_b32_e32 v30, v67, v31, vcc
	global_load_dwordx4 v[66:69], v[34:35], off
	v_ashrrev_i32_e32 v31, 31, v30
	v_lshlrev_b64 v[30:31], 2, v[30:31]
	v_mfma_f32_16x16x16f16 v[18:21], v[38:39], v[4:5], v[18:21]
	v_mov_b32_e32 v33, s18
	v_add_co_u32_e32 v30, vcc, s17, v30
	v_addc_co_u32_e32 v31, vcc, v33, v31, vcc
	global_load_dword v88, v[30:31], off
	s_waitcnt vmcnt(8)
	v_mfma_f32_16x16x16f16 v[18:21], v[22:23], v[10:11], v[18:21]
	v_add_co_u32_e32 v22, vcc, v70, v49
	v_addc_co_u32_e32 v23, vcc, 0, v71, vcc
	global_load_dwordx4 v[70:73], v[22:23], off
	v_and_b32_e32 v22, 16, v0
	v_lshlrev_b32_e32 v22, 1, v22
	v_mfma_f32_16x16x16f16 v[18:21], v[24:25], v[12:13], v[18:21]
	v_mov_b32_e32 v23, s3
	v_add_co_u32_e32 v89, vcc, s2, v22
	v_addc_co_u32_e32 v90, vcc, 0, v23, vcc
	v_add_co_u32_e32 v22, vcc, v89, v91
	s_waitcnt vmcnt(8)
	v_mfma_f32_16x16x16f16 v[18:21], v[26:27], v[50:51], v[18:21]
	v_addc_co_u32_e32 v23, vcc, 0, v90, vcc
	v_mfma_f32_16x16x16f16 v[76:79], v[28:29], v[52:53], v[18:21]
	s_waitcnt vmcnt(5)
	s_nop 7
	v_mad_i64_i32 v[18:19], s[2:3], v42, s1, 0
	v_lshlrev_b64 v[80:81], 1, v[18:19]
	v_mfma_f32_16x16x16f16 v[18:21], v[62:63], v[6:7], 0
	v_add_co_u32_e32 v6, vcc, v22, v80
	v_addc_co_u32_e32 v7, vcc, v23, v81, vcc
	global_load_dwordx4 v[46:49], v[6:7], off
	global_load_dwordx4 v[42:45], v[6:7], off offset:16
	v_pk_mul_f32 v[76:77], s[0:1], v[76:77] op_sel_hi:[0,1]
	v_pk_mul_f32 v[78:79], s[0:1], v[78:79] op_sel_hi:[0,1]
	s_waitcnt vmcnt(6)
	v_mad_i64_i32 v[6:7], s[2:3], v40, s1, 0
	v_lshlrev_b64 v[82:83], 1, v[6:7]
	v_mfma_f32_16x16x16f16 v[6:9], v[64:65], v[8:9], v[18:21]
	v_mfma_f32_16x16x16f16 v[6:9], v[14:15], v[2:3], v[6:9]
	s_nop 5
	v_add_co_u32_e32 v18, vcc, v22, v82
	v_addc_co_u32_e32 v19, vcc, v23, v83, vcc
	global_load_dwordx4 v[38:41], v[18:19], off
	global_load_dwordx4 v[34:37], v[18:19], off offset:16
	s_waitcnt vmcnt(7)
	v_mad_i64_i32 v[18:19], s[2:3], v32, s1, 0
	v_lshlrev_b64 v[64:65], 1, v[18:19]
	v_add_co_u32_e32 v2, vcc, v22, v64
	v_addc_co_u32_e32 v3, vcc, v23, v65, vcc
	global_load_dwordx4 v[30:33], v[2:3], off
	global_load_dwordx4 v[26:29], v[2:3], off offset:16
	v_mfma_f32_16x16x16f16 v[2:5], v[16:17], v[4:5], v[6:9]
	s_waitcnt vmcnt(8)
	v_mfma_f32_16x16x16f16 v[2:5], v[66:67], v[10:11], v[2:5]
	s_waitcnt vmcnt(7)
	s_nop 3
	v_mad_i64_i32 v[6:7], s[2:3], v88, s1, 0
	v_lshlrev_b64 v[62:63], 1, v[6:7]
	v_add_co_u32_e32 v6, vcc, v22, v62
	v_addc_co_u32_e32 v7, vcc, v23, v63, vcc
	v_mfma_f32_16x16x16f16 v[10:13], v[68:69], v[12:13], v[2:5]
	global_load_dwordx4 v[22:25], v[6:7], off
	global_load_dwordx4 v[18:21], v[6:7], off offset:16
	v_or_b32_e32 v6, 0x1000, v91
	v_add_co_u32_e32 v92, vcc, v89, v6
	v_addc_co_u32_e32 v93, vcc, 0, v90, vcc
	s_nop 1
	v_add_co_u32_e32 v2, vcc, v92, v80
	s_waitcnt vmcnt(8)
	v_mfma_f32_16x16x16f16 v[88:91], v[70:71], v[50:51], v[10:13]
	v_addc_co_u32_e32 v3, vcc, v93, v81, vcc
	v_add_co_u32_e32 v66, vcc, v92, v82
	v_addc_co_u32_e32 v67, vcc, v93, v83, vcc
	global_load_dwordx4 v[6:9], v[2:3], off
	s_nop 0
	global_load_dwordx4 v[2:5], v[2:3], off offset:16
	v_mfma_f32_16x16x16f16 v[50:53], v[72:73], v[52:53], v[88:91]
	global_load_dwordx4 v[14:17], v[66:67], off
	global_load_dwordx4 v[10:13], v[66:67], off offset:16
	v_pk_mul_f32 v[68:69], s[0:1], v[54:55] op_sel_hi:[0,1]
	v_pk_mul_f32 v[80:81], s[0:1], v[56:57] op_sel_hi:[0,1]
	;; [unrolled: 1-line block ×4, first 2 shown]
	s_nop 4
	v_pk_mul_f32 v[72:73], s[0:1], v[50:51] op_sel_hi:[0,1]
	v_and_b32_e32 v50, 0xc0, v0
	v_add_u32_e32 v50, s16, v50
	v_lshl_or_b32 v50, v1, 2, v50
	v_pk_mul_f32 v[66:67], s[0:1], v[52:53] op_sel_hi:[0,1]
	v_or_b32_e32 v53, 1, v50
	v_mov_b32_e32 v51, 0xff7fffff
	v_cmp_gt_i32_e64 s[28:29], s33, v50
	v_cmp_gt_i32_e64 s[30:31], s33, v53
	v_cndmask_b32_e64 v52, v51, v68, s[28:29]
	v_cndmask_b32_e64 v53, v51, v69, s[30:31]
	v_max3_f32 v52, v52, s40, v53
	v_or_b32_e32 v53, 2, v50
	v_or_b32_e32 v54, 3, v50
	v_cmp_gt_i32_e64 s[34:35], s33, v53
	v_cmp_gt_i32_e64 s[36:37], s33, v54
	v_cndmask_b32_e64 v53, v51, v80, s[34:35]
	v_cndmask_b32_e64 v54, v51, v81, s[36:37]
	v_max3_f32 v52, v52, v53, v54
	v_or_b32_e32 v53, 16, v50
	v_or_b32_e32 v54, 17, v50
	;; [unrolled: 7-line block ×7, first 2 shown]
	v_cmp_gt_i32_e32 vcc, s33, v53
	v_cmp_gt_i32_e64 s[0:1], s33, v50
	v_cndmask_b32_e32 v53, v51, v66, vcc
	v_cndmask_b32_e64 v50, v51, v67, s[0:1]
	v_max3_f32 v58, v52, v53, v50
	v_mbcnt_lo_u32_b32 v50, -1, 0
	v_mbcnt_hi_u32_b32 v59, -1, v50
	v_and_b32_e32 v50, 64, v59
	v_add_u32_e32 v60, 64, v50
	v_xor_b32_e32 v50, 32, v59
	v_cmp_lt_i32_e64 s[38:39], v50, v60
	v_cndmask_b32_e64 v50, v59, v50, s[38:39]
	v_lshlrev_b32_e32 v89, 2, v50
	ds_bpermute_b32 v61, v89, v58
	v_add_co_u32_e64 v50, s[38:39], v92, v64
	v_addc_co_u32_e64 v51, s[38:39], v93, v65, s[38:39]
	s_waitcnt lgkmcnt(0)
	v_max_f32_e32 v61, v61, v61
	v_max_f32_e32 v61, v58, v61
	v_xor_b32_e32 v58, 16, v59
	v_cmp_lt_i32_e64 s[38:39], v58, v60
	v_cndmask_b32_e64 v58, v59, v58, s[38:39]
	v_lshlrev_b32_e32 v90, 2, v58
	ds_bpermute_b32 v60, v90, v61
	v_add_co_u32_e64 v58, s[38:39], v92, v62
	v_addc_co_u32_e64 v59, s[38:39], v93, v63, s[38:39]
	s_waitcnt lgkmcnt(0)
	v_max_f32_e32 v60, v60, v60
	v_max_f32_e32 v88, v61, v60
	v_sub_f32_e32 v60, v68, v88
	v_mul_f32_e32 v60, 0x3fb8aa3b, v60
	v_exp_f32_e32 v68, v60
	v_sub_f32_e32 v60, v69, v88
	v_mul_f32_e32 v60, 0x3fb8aa3b, v60
	global_load_dwordx4 v[54:57], v[50:51], off
	s_nop 0
	global_load_dwordx4 v[50:53], v[50:51], off offset:16
	v_exp_f32_e32 v69, v60
	global_load_dwordx4 v[62:65], v[58:59], off
	s_nop 0
	global_load_dwordx4 v[58:61], v[58:59], off offset:16
	v_sub_f32_e32 v80, v80, v88
	v_mul_f32_e32 v80, 0x3fb8aa3b, v80
	v_sub_f32_e32 v81, v81, v88
	v_exp_f32_e32 v80, v80
	v_mul_f32_e32 v81, 0x3fb8aa3b, v81
	v_sub_f32_e32 v70, v70, v88
	v_exp_f32_e32 v81, v81
	v_mul_f32_e32 v70, 0x3fb8aa3b, v70
	v_sub_f32_e32 v71, v71, v88
	v_cndmask_b32_e64 v68, 0, v68, s[28:29]
	v_exp_f32_e32 v70, v70
	v_mul_f32_e32 v71, 0x3fb8aa3b, v71
	v_sub_f32_e32 v82, v82, v88
	v_add_f32_e32 v91, 0, v68
	v_cndmask_b32_e64 v69, 0, v69, s[30:31]
	v_exp_f32_e32 v71, v71
	v_mul_f32_e32 v82, 0x3fb8aa3b, v82
	v_sub_f32_e32 v83, v83, v88
	v_add_f32_e32 v91, v91, v69
	v_cndmask_b32_e64 v80, 0, v80, s[34:35]
	v_exp_f32_e32 v82, v82
	v_mul_f32_e32 v83, 0x3fb8aa3b, v83
	v_sub_f32_e32 v76, v76, v88
	v_add_f32_e32 v91, v91, v80
	v_cndmask_b32_e64 v81, 0, v81, s[36:37]
	v_exp_f32_e32 v83, v83
	v_mul_f32_e32 v76, 0x3fb8aa3b, v76
	v_sub_f32_e32 v77, v77, v88
	v_add_f32_e32 v91, v91, v81
	v_cndmask_b32_e64 v70, 0, v70, s[22:23]
	v_exp_f32_e32 v76, v76
	v_mul_f32_e32 v77, 0x3fb8aa3b, v77
	v_sub_f32_e32 v78, v78, v88
	v_add_f32_e32 v91, v91, v70
	v_cndmask_b32_e64 v71, 0, v71, s[24:25]
	v_exp_f32_e32 v77, v77
	v_mul_f32_e32 v78, 0x3fb8aa3b, v78
	v_sub_f32_e32 v79, v79, v88
	v_add_f32_e32 v91, v91, v71
	v_cndmask_b32_e64 v82, 0, v82, s[18:19]
	v_exp_f32_e32 v78, v78
	v_mul_f32_e32 v79, 0x3fb8aa3b, v79
	v_sub_f32_e32 v72, v72, v88
	v_add_f32_e32 v91, v91, v82
	v_cndmask_b32_e64 v83, 0, v83, s[20:21]
	v_exp_f32_e32 v79, v79
	v_mul_f32_e32 v72, 0x3fb8aa3b, v72
	v_sub_f32_e32 v73, v73, v88
	v_add_f32_e32 v91, v91, v83
	v_cndmask_b32_e64 v76, 0, v76, s[14:15]
	v_exp_f32_e32 v72, v72
	v_mul_f32_e32 v73, 0x3fb8aa3b, v73
	v_sub_f32_e32 v66, v66, v88
	v_add_f32_e32 v91, v91, v76
	v_cndmask_b32_e64 v77, 0, v77, s[16:17]
	v_exp_f32_e32 v73, v73
	v_mul_f32_e32 v66, 0x3fb8aa3b, v66
	v_sub_f32_e32 v67, v67, v88
	v_add_f32_e32 v91, v91, v77
	v_cndmask_b32_e64 v78, 0, v78, s[10:11]
	v_exp_f32_e32 v66, v66
	v_mul_f32_e32 v67, 0x3fb8aa3b, v67
	v_add_f32_e32 v91, v91, v78
	v_cndmask_b32_e64 v79, 0, v79, s[12:13]
	v_exp_f32_e32 v67, v67
	v_add_f32_e32 v91, v91, v79
	v_cndmask_b32_e64 v72, 0, v72, s[2:3]
	v_add_f32_e32 v91, v91, v72
	v_cndmask_b32_e64 v73, 0, v73, s[26:27]
	v_add_f32_e32 v91, v91, v73
	v_cndmask_b32_e32 v66, 0, v66, vcc
	v_add_f32_e32 v91, v91, v66
	v_cndmask_b32_e64 v67, 0, v67, s[0:1]
	v_add_f32_e32 v91, v91, v67
	ds_bpermute_b32 v89, v89, v91
	v_cmp_lt_u32_e64 s[0:1], 15, v86
	v_cmp_gt_u32_e32 vcc, 16, v86
	s_waitcnt lgkmcnt(0)
	s_barrier
	v_add_f32_e32 v89, v91, v89
	ds_bpermute_b32 v90, v90, v89
	s_waitcnt lgkmcnt(0)
	s_and_saveexec_b64 s[2:3], vcc
	s_cbranch_execz .LBB188_15
; %bb.14:
	v_add_f32_e32 v86, v89, v90
	v_lshlrev_b32_e32 v87, 2, v87
	ds_write2st64_b32 v87, v88, v86 offset1:1
.LBB188_15:
	s_or_b64 exec, exec, s[2:3]
	v_lshlrev_b32_e32 v87, 2, v84
	s_load_dwordx2 s[2:3], s[4:5], 0x94
	s_waitcnt lgkmcnt(0)
	s_barrier
	ds_read2_b32 v[88:89], v87 offset1:16
	ds_read2_b32 v[90:91], v87 offset0:32 offset1:48
	ds_read2_b32 v[92:93], v87 offset0:64 offset1:80
	s_waitcnt lgkmcnt(2)
	v_max3_f32 v86, v88, s40, v89
	s_waitcnt lgkmcnt(1)
	v_max3_f32 v86, v86, v90, v91
	v_sub_f32_e32 v88, v88, v86
	v_mul_f32_e32 v88, 0x3fb8aa3b, v88
	v_exp_f32_e32 v94, v88
	v_sub_f32_e32 v88, v89, v86
	v_mul_f32_e32 v88, 0x3fb8aa3b, v88
	v_exp_f32_e32 v95, v88
	;; [unrolled: 3-line block ×3, first 2 shown]
	ds_read2_b32 v[88:89], v87 offset0:96 offset1:112
	v_sub_f32_e32 v87, v91, v86
	v_mul_f32_e32 v87, 0x3fb8aa3b, v87
	v_exp_f32_e32 v91, v87
	s_waitcnt lgkmcnt(1)
	v_fma_f32 v87, v94, v92, 0
	v_fmac_f32_e32 v87, v95, v93
	s_waitcnt lgkmcnt(0)
	v_fmac_f32_e32 v87, v90, v88
	v_fmac_f32_e32 v87, v91, v89
	v_add_f32_e32 v89, 0x358637bd, v87
	v_div_scale_f32 v92, s[10:11], v89, v89, 1.0
	v_rcp_f32_e32 v93, v92
	s_barrier
	v_fma_f32 v74, -v92, v93, 1.0
	v_fmac_f32_e32 v93, v74, v93
	v_div_scale_f32 v74, vcc, 1.0, v89, 1.0
	v_mul_f32_e32 v75, v74, v93
	v_fma_f32 v1, -v92, v75, v74
	v_fmac_f32_e32 v75, v1, v93
	v_fma_f32 v1, -v92, v75, v74
	v_div_fmas_f32 v1, v1, v93, v75
	v_cmp_eq_u32_e32 vcc, 1, v85
	v_cndmask_b32_e32 v74, v94, v95, vcc
	v_cmp_eq_u32_e32 vcc, 2, v85
	v_cndmask_b32_e32 v74, v74, v90, vcc
	v_cmp_eq_u32_e32 vcc, 3, v85
	v_div_fixup_f32 v1, v1, v89, 1.0
	v_cndmask_b32_e32 v74, v74, v91, vcc
	v_mul_f32_e32 v90, v74, v1
	v_pk_mul_f32 v[80:81], v[90:91], v[80:81] op_sel_hi:[0,1]
	v_pk_mul_f32 v[68:69], v[90:91], v[68:69] op_sel_hi:[0,1]
	v_cvt_f16_f32_e32 v1, v68
	v_cvt_f16_f32_e32 v68, v69
	;; [unrolled: 1-line block ×4, first 2 shown]
	v_pk_mul_f32 v[80:81], v[90:91], v[82:83] op_sel_hi:[0,1]
	v_pk_mul_f32 v[70:71], v[90:91], v[70:71] op_sel_hi:[0,1]
	v_bfe_u32 v89, v0, 4, 2
	v_pack_b32_f16 v93, v69, v74
	v_cvt_f16_f32_e32 v69, v70
	v_cvt_f16_f32_e32 v70, v71
	;; [unrolled: 1-line block ×4, first 2 shown]
	v_pack_b32_f16 v92, v1, v68
	v_lshlrev_b32_e32 v1, 3, v89
	v_lshlrev_b32_e32 v68, 5, v84
	;; [unrolled: 1-line block ×3, first 2 shown]
	v_or3_b32 v80, v75, v68, v1
	v_pack_b32_f16 v70, v69, v70
	v_pack_b32_f16 v71, v71, v74
	ds_write2st64_b64 v80, v[92:93], v[70:71] offset1:1
	v_pk_mul_f32 v[70:71], v[90:91], v[78:79] op_sel_hi:[0,1]
	v_pk_mul_f32 v[76:77], v[90:91], v[76:77] op_sel_hi:[0,1]
	v_cvt_f16_f32_e32 v74, v70
	v_cvt_f16_f32_e32 v75, v71
	v_pk_mul_f32 v[66:67], v[90:91], v[66:67] op_sel_hi:[0,1]
	v_pk_mul_f32 v[70:71], v[90:91], v[72:73] op_sel_hi:[0,1]
	v_cvt_f16_f32_e32 v1, v76
	v_cvt_f16_f32_e32 v69, v77
	;; [unrolled: 1-line block ×6, first 2 shown]
	v_mov_b32_e32 v88, 0
	v_pack_b32_f16 v66, v1, v69
	v_pack_b32_f16 v67, v74, v75
	;; [unrolled: 1-line block ×4, first 2 shown]
	v_cmp_eq_u32_e32 vcc, 0, v0
	ds_write2st64_b64 v80, v[66:67], v[70:71] offset0:2 offset1:3
	s_and_saveexec_b64 s[10:11], vcc
	s_cbranch_execz .LBB188_17
; %bb.16:
	s_mul_i32 s7, s7, s3
	s_mul_hi_u32 s16, s6, s3
	s_add_i32 s16, s16, s7
	s_mul_i32 s7, s6, s3
	s_add_u32 s7, s7, s8
	s_addc_u32 s16, s16, 0
	s_load_dwordx4 s[12:15], s[4:5], 0x58
	s_mul_i32 s16, s16, s2
	s_mul_hi_u32 s17, s7, s2
	s_add_i32 s17, s17, s16
	s_mul_i32 s7, s7, s2
	s_add_u32 s16, s7, s9
	s_addc_u32 s17, s17, 0
	s_lshl_b64 s[16:17], s[16:17], 2
	s_waitcnt lgkmcnt(0)
	s_add_u32 s14, s14, s16
	s_addc_u32 s15, s15, s17
	s_add_u32 s12, s12, s16
	s_addc_u32 s13, s13, s17
	global_store_dword v88, v86, s[14:15]
	global_store_dword v88, v87, s[12:13]
.LBB188_17:
	s_or_b64 exec, exec, s[10:11]
	v_lshl_or_b32 v1, v89, 9, v68
	s_waitcnt lgkmcnt(0)
	s_barrier
	ds_read_b128 v[70:73], v1
	ds_read_b128 v[66:69], v1 offset:16
	s_waitcnt vmcnt(15) lgkmcnt(1)
	v_mfma_f32_16x16x16f16 v[76:79], v[46:47], v[70:71], 0
	v_cmp_gt_u32_e32 vcc, 64, v0
	s_xor_b64 s[0:1], s[0:1], -1
	s_mov_b32 s7, 0
	s_and_b64 s[0:1], vcc, s[0:1]
	v_mfma_f32_16x16x16f16 v[46:49], v[48:49], v[72:73], v[76:79]
	s_waitcnt vmcnt(14) lgkmcnt(0)
	v_mfma_f32_16x16x16f16 v[46:49], v[42:43], v[66:67], v[46:49]
	v_mfma_f32_16x16x16f16 v[42:45], v[44:45], v[68:69], v[46:49]
	s_nop 7
	s_nop 1
	ds_read_b128 v[46:49], v1 offset:2048
	ds_read_b128 v[76:79], v1 offset:2064
	s_waitcnt vmcnt(13) lgkmcnt(1)
	v_mfma_f32_16x16x16f16 v[42:45], v[38:39], v[46:47], v[42:45]
	v_mfma_f32_16x16x16f16 v[38:41], v[40:41], v[48:49], v[42:45]
	s_waitcnt vmcnt(12) lgkmcnt(0)
	v_mfma_f32_16x16x16f16 v[38:41], v[34:35], v[76:77], v[38:41]
	v_mfma_f32_16x16x16f16 v[34:37], v[36:37], v[78:79], v[38:41]
	s_nop 7
	s_nop 1
	ds_read_b128 v[38:41], v1 offset:4096
	ds_read_b128 v[42:45], v1 offset:4112
	s_waitcnt vmcnt(11) lgkmcnt(1)
	v_mfma_f32_16x16x16f16 v[34:37], v[30:31], v[38:39], v[34:37]
	v_mfma_f32_16x16x16f16 v[30:33], v[32:33], v[40:41], v[34:37]
	s_waitcnt vmcnt(10) lgkmcnt(0)
	v_mfma_f32_16x16x16f16 v[30:33], v[26:27], v[42:43], v[30:33]
	v_mfma_f32_16x16x16f16 v[26:29], v[28:29], v[44:45], v[30:33]
	s_nop 7
	s_nop 1
	ds_read_b128 v[30:33], v1 offset:6144
	ds_read_b128 v[34:37], v1 offset:6160
	s_waitcnt lgkmcnt(0)
	s_barrier
	s_waitcnt vmcnt(9)
	v_mfma_f32_16x16x16f16 v[26:29], v[22:23], v[30:31], v[26:29]
	v_mfma_f32_16x16x16f16 v[22:25], v[24:25], v[32:33], v[26:29]
	s_waitcnt vmcnt(8)
	v_mfma_f32_16x16x16f16 v[22:25], v[18:19], v[34:35], v[22:25]
	v_mfma_f32_16x16x16f16 v[18:21], v[20:21], v[36:37], v[22:25]
	s_waitcnt vmcnt(7)
	v_mfma_f32_16x16x16f16 v[22:25], v[6:7], v[70:71], 0
	s_nop 7
	s_nop 0
	v_cvt_f16_f32_e32 v1, v18
	v_mfma_f32_16x16x16f16 v[6:9], v[8:9], v[72:73], v[22:25]
	s_waitcnt vmcnt(6)
	v_mfma_f32_16x16x16f16 v[6:9], v[2:3], v[66:67], v[6:9]
	v_mfma_f32_16x16x16f16 v[2:5], v[4:5], v[68:69], v[6:9]
	s_waitcnt vmcnt(5)
	v_mfma_f32_16x16x16f16 v[2:5], v[14:15], v[46:47], v[2:5]
	s_nop 7
	v_cvt_f16_f32_e32 v6, v19
	v_cvt_f16_f32_e32 v7, v20
	;; [unrolled: 1-line block ×3, first 2 shown]
	v_mfma_f32_16x16x16f16 v[2:5], v[16:17], v[48:49], v[2:5]
	s_waitcnt vmcnt(4)
	v_mfma_f32_16x16x16f16 v[2:5], v[10:11], v[76:77], v[2:5]
	v_mfma_f32_16x16x16f16 v[2:5], v[12:13], v[78:79], v[2:5]
	s_waitcnt vmcnt(3)
	v_mfma_f32_16x16x16f16 v[2:5], v[54:55], v[38:39], v[2:5]
	;; [unrolled: 3-line block ×5, first 2 shown]
	v_mfma_f32_16x16x16f16 v[2:5], v[60:61], v[36:37], v[2:5]
	s_nop 7
	s_nop 2
	v_cvt_f16_f32_e32 v9, v2
	v_cvt_f16_f32_e32 v10, v3
	;; [unrolled: 1-line block ×4, first 2 shown]
	v_pack_b32_f16 v2, v1, v6
	v_pack_b32_f16 v3, v7, v8
	v_pack_b32_f16 v4, v9, v10
	v_pack_b32_f16 v5, v11, v5
	ds_write2st64_b64 v80, v[2:3], v[4:5] offset1:1
	s_waitcnt lgkmcnt(0)
	s_barrier
	s_and_saveexec_b64 s[10:11], s[0:1]
	s_cbranch_execz .LBB188_19
; %bb.18:
	v_lshlrev_b32_e32 v3, 6, v84
	v_lshlrev_b32_e32 v2, 4, v0
	v_lshl_or_b32 v0, v0, 10, v3
	v_lshlrev_b32_e32 v1, 5, v89
	v_and_b32_e32 v2, 16, v2
	v_and_b32_e32 v0, 0x1a00, v0
	v_or3_b32 v0, v0, v1, v2
	ds_read_b128 v[0:3], v0
	buffer_load_dword v6, off, s[44:47], 0  ; 4-byte Folded Reload
	buffer_load_dword v7, off, s[44:47], 0 offset:4 ; 4-byte Folded Reload
	s_load_dwordx2 s[0:1], s[4:5], 0x68
	s_mul_i32 s4, s3, s6
	s_lshl_b32 s5, s2, 7
	s_mul_hi_u32 s3, s4, s5
	s_mul_i32 s2, s4, s5
	s_lshl_b64 s[2:3], s[2:3], 1
	s_waitcnt lgkmcnt(0)
	s_add_u32 s2, s0, s2
	s_addc_u32 s3, s1, s3
	s_lshl_b32 s6, s9, 7
	s_lshl_b64 s[0:1], s[6:7], 1
	s_add_u32 s2, s2, s0
	s_addc_u32 s3, s3, s1
	s_mul_hi_u32 s1, s5, s8
	s_mul_i32 s0, s5, s8
	s_lshl_b64 s[0:1], s[0:1], 1
	s_add_u32 s0, s2, s0
	s_addc_u32 s1, s3, s1
	v_mov_b32_e32 v5, s1
	s_waitcnt vmcnt(1)
	v_add_co_u32_e32 v4, vcc, s0, v6
	s_waitcnt vmcnt(0)
	v_addc_co_u32_e32 v5, vcc, v5, v7, vcc
	global_store_dwordx4 v[4:5], v[0:3], off
.LBB188_19:
	s_endpgm
	.section	.rodata,"a",@progbits
	.p2align	6, 0x0
	.amdhsa_kernel _Z39paged_attention_ll4mi_QKV_mfma16_kernelIDF16_DF16_LN4vllm18Fp8KVCacheDataTypeE0EDF16_Li32ELi128ELi256ELb0ELi1EL8MFMAType0EEvPKT_PKT0_S8_ifPKiSA_SA_iPKfiiiPfSD_PS3_PT2_iSC_SC_
		.amdhsa_group_segment_fixed_size 8192
		.amdhsa_private_segment_fixed_size 12
		.amdhsa_kernarg_size 400
		.amdhsa_user_sgpr_count 6
		.amdhsa_user_sgpr_private_segment_buffer 1
		.amdhsa_user_sgpr_dispatch_ptr 0
		.amdhsa_user_sgpr_queue_ptr 0
		.amdhsa_user_sgpr_kernarg_segment_ptr 1
		.amdhsa_user_sgpr_dispatch_id 0
		.amdhsa_user_sgpr_flat_scratch_init 0
		.amdhsa_user_sgpr_kernarg_preload_length 0
		.amdhsa_user_sgpr_kernarg_preload_offset 0
		.amdhsa_user_sgpr_private_segment_size 0
		.amdhsa_uses_dynamic_stack 0
		.amdhsa_system_sgpr_private_segment_wavefront_offset 1
		.amdhsa_system_sgpr_workgroup_id_x 1
		.amdhsa_system_sgpr_workgroup_id_y 1
		.amdhsa_system_sgpr_workgroup_id_z 1
		.amdhsa_system_sgpr_workgroup_info 0
		.amdhsa_system_vgpr_workitem_id 0
		.amdhsa_next_free_vgpr 96
		.amdhsa_next_free_sgpr 48
		.amdhsa_accum_offset 96
		.amdhsa_reserve_vcc 1
		.amdhsa_reserve_flat_scratch 0
		.amdhsa_float_round_mode_32 0
		.amdhsa_float_round_mode_16_64 0
		.amdhsa_float_denorm_mode_32 3
		.amdhsa_float_denorm_mode_16_64 3
		.amdhsa_dx10_clamp 1
		.amdhsa_ieee_mode 1
		.amdhsa_fp16_overflow 0
		.amdhsa_tg_split 0
		.amdhsa_exception_fp_ieee_invalid_op 0
		.amdhsa_exception_fp_denorm_src 0
		.amdhsa_exception_fp_ieee_div_zero 0
		.amdhsa_exception_fp_ieee_overflow 0
		.amdhsa_exception_fp_ieee_underflow 0
		.amdhsa_exception_fp_ieee_inexact 0
		.amdhsa_exception_int_div_zero 0
	.end_amdhsa_kernel
	.section	.text._Z39paged_attention_ll4mi_QKV_mfma16_kernelIDF16_DF16_LN4vllm18Fp8KVCacheDataTypeE0EDF16_Li32ELi128ELi256ELb0ELi1EL8MFMAType0EEvPKT_PKT0_S8_ifPKiSA_SA_iPKfiiiPfSD_PS3_PT2_iSC_SC_,"axG",@progbits,_Z39paged_attention_ll4mi_QKV_mfma16_kernelIDF16_DF16_LN4vllm18Fp8KVCacheDataTypeE0EDF16_Li32ELi128ELi256ELb0ELi1EL8MFMAType0EEvPKT_PKT0_S8_ifPKiSA_SA_iPKfiiiPfSD_PS3_PT2_iSC_SC_,comdat
.Lfunc_end188:
	.size	_Z39paged_attention_ll4mi_QKV_mfma16_kernelIDF16_DF16_LN4vllm18Fp8KVCacheDataTypeE0EDF16_Li32ELi128ELi256ELb0ELi1EL8MFMAType0EEvPKT_PKT0_S8_ifPKiSA_SA_iPKfiiiPfSD_PS3_PT2_iSC_SC_, .Lfunc_end188-_Z39paged_attention_ll4mi_QKV_mfma16_kernelIDF16_DF16_LN4vllm18Fp8KVCacheDataTypeE0EDF16_Li32ELi128ELi256ELb0ELi1EL8MFMAType0EEvPKT_PKT0_S8_ifPKiSA_SA_iPKfiiiPfSD_PS3_PT2_iSC_SC_
                                        ; -- End function
	.section	.AMDGPU.csdata,"",@progbits
; Kernel info:
; codeLenInByte = 4640
; NumSgprs: 52
; NumVgprs: 96
; NumAgprs: 0
; TotalNumVgprs: 96
; ScratchSize: 12
; MemoryBound: 0
; FloatMode: 240
; IeeeMode: 1
; LDSByteSize: 8192 bytes/workgroup (compile time only)
; SGPRBlocks: 6
; VGPRBlocks: 11
; NumSGPRsForWavesPerEU: 52
; NumVGPRsForWavesPerEU: 96
; AccumOffset: 96
; Occupancy: 5
; WaveLimiterHint : 1
; COMPUTE_PGM_RSRC2:SCRATCH_EN: 1
; COMPUTE_PGM_RSRC2:USER_SGPR: 6
; COMPUTE_PGM_RSRC2:TRAP_HANDLER: 0
; COMPUTE_PGM_RSRC2:TGID_X_EN: 1
; COMPUTE_PGM_RSRC2:TGID_Y_EN: 1
; COMPUTE_PGM_RSRC2:TGID_Z_EN: 1
; COMPUTE_PGM_RSRC2:TIDIG_COMP_CNT: 0
; COMPUTE_PGM_RSRC3_GFX90A:ACCUM_OFFSET: 23
; COMPUTE_PGM_RSRC3_GFX90A:TG_SPLIT: 0
	.section	.text._Z39paged_attention_ll4mi_QKV_mfma16_kernelIDF16_DF16_LN4vllm18Fp8KVCacheDataTypeE0EDF16_Li32ELi128ELi256ELb0ELi2EL8MFMAType0EEvPKT_PKT0_S8_ifPKiSA_SA_iPKfiiiPfSD_PS3_PT2_iSC_SC_,"axG",@progbits,_Z39paged_attention_ll4mi_QKV_mfma16_kernelIDF16_DF16_LN4vllm18Fp8KVCacheDataTypeE0EDF16_Li32ELi128ELi256ELb0ELi2EL8MFMAType0EEvPKT_PKT0_S8_ifPKiSA_SA_iPKfiiiPfSD_PS3_PT2_iSC_SC_,comdat
	.protected	_Z39paged_attention_ll4mi_QKV_mfma16_kernelIDF16_DF16_LN4vllm18Fp8KVCacheDataTypeE0EDF16_Li32ELi128ELi256ELb0ELi2EL8MFMAType0EEvPKT_PKT0_S8_ifPKiSA_SA_iPKfiiiPfSD_PS3_PT2_iSC_SC_ ; -- Begin function _Z39paged_attention_ll4mi_QKV_mfma16_kernelIDF16_DF16_LN4vllm18Fp8KVCacheDataTypeE0EDF16_Li32ELi128ELi256ELb0ELi2EL8MFMAType0EEvPKT_PKT0_S8_ifPKiSA_SA_iPKfiiiPfSD_PS3_PT2_iSC_SC_
	.globl	_Z39paged_attention_ll4mi_QKV_mfma16_kernelIDF16_DF16_LN4vllm18Fp8KVCacheDataTypeE0EDF16_Li32ELi128ELi256ELb0ELi2EL8MFMAType0EEvPKT_PKT0_S8_ifPKiSA_SA_iPKfiiiPfSD_PS3_PT2_iSC_SC_
	.p2align	8
	.type	_Z39paged_attention_ll4mi_QKV_mfma16_kernelIDF16_DF16_LN4vllm18Fp8KVCacheDataTypeE0EDF16_Li32ELi128ELi256ELb0ELi2EL8MFMAType0EEvPKT_PKT0_S8_ifPKiSA_SA_iPKfiiiPfSD_PS3_PT2_iSC_SC_,@function
_Z39paged_attention_ll4mi_QKV_mfma16_kernelIDF16_DF16_LN4vllm18Fp8KVCacheDataTypeE0EDF16_Li32ELi128ELi256ELb0ELi2EL8MFMAType0EEvPKT_PKT0_S8_ifPKiSA_SA_iPKfiiiPfSD_PS3_PT2_iSC_SC_: ; @_Z39paged_attention_ll4mi_QKV_mfma16_kernelIDF16_DF16_LN4vllm18Fp8KVCacheDataTypeE0EDF16_Li32ELi128ELi256ELb0ELi2EL8MFMAType0EEvPKT_PKT0_S8_ifPKiSA_SA_iPKfiiiPfSD_PS3_PT2_iSC_SC_
; %bb.0:
	s_mov_b64 s[46:47], s[2:3]
	s_mov_b64 s[44:45], s[0:1]
	s_load_dwordx2 s[0:1], s[4:5], 0x30
	s_add_u32 s44, s44, s9
	s_addc_u32 s45, s45, 0
	s_mov_b32 s26, s7
	s_mov_b64 s[10:11], 0
	s_waitcnt lgkmcnt(0)
	s_cmp_lg_u64 s[0:1], 0
	s_cselect_b64 s[2:3], -1, 0
	s_and_b64 vcc, exec, s[2:3]
	s_cbranch_vccz .LBB189_7
; %bb.1:
	s_add_i32 s12, s6, 1
	s_mov_b32 s13, 0
	s_lshl_b64 s[14:15], s[12:13], 2
	s_add_u32 s14, s0, s14
	s_mov_b32 s7, s13
	s_addc_u32 s15, s1, s15
	s_lshl_b64 s[12:13], s[6:7], 2
	s_add_u32 s12, s0, s12
	s_addc_u32 s13, s1, s13
	s_load_dword s9, s[14:15], 0x0
	s_load_dword s16, s[12:13], 0x0
	s_waitcnt lgkmcnt(0)
	s_sub_i32 s9, s9, s16
	s_cmp_eq_u32 s9, 1
	s_cselect_b64 s[12:13], -1, 0
	s_andn2_b64 vcc, exec, s[10:11]
	s_cbranch_vccnz .LBB189_3
.LBB189_2:
	s_mov_b32 s7, 0
	s_mov_b64 s[12:13], -1
.LBB189_3:
	s_andn2_b64 vcc, exec, s[12:13]
	s_cbranch_vccnz .LBB189_19
; %bb.4:
	s_load_dwordx2 s[12:13], s[4:5], 0x28
	s_lshl_b64 s[10:11], s[6:7], 2
	s_waitcnt lgkmcnt(0)
	s_add_u32 s12, s12, s10
	s_addc_u32 s13, s13, s11
	s_load_dword s33, s[12:13], 0x0
	s_lshl_b32 s9, s26, 8
	s_waitcnt lgkmcnt(0)
	s_cmp_ge_i32 s9, s33
	s_cbranch_scc1 .LBB189_19
; %bb.5:
	s_add_i32 s15, s33, 31
	s_load_dwordx2 s[12:13], s[4:5], 0x20
	s_load_dword s14, s[4:5], 0x38
	s_ashr_i32 s16, s15, 31
	v_and_b32_e32 v1, 0xcf, v0
	s_lshr_b32 s16, s16, 27
	v_add_u32_e32 v1, s9, v1
	s_add_i32 s15, s15, s16
	v_ashrrev_i32_e32 v2, 31, v1
	s_ashr_i32 s18, s15, 5
	v_lshrrev_b32_e32 v10, 27, v2
	s_add_i32 s18, s18, -1
	v_add_u32_e32 v2, v1, v10
	s_waitcnt lgkmcnt(0)
	s_mul_i32 s14, s6, s14
	s_mov_b32 s15, 0
	v_ashrrev_i32_e32 v2, 5, v2
	v_mov_b32_e32 v11, s18
	v_cmp_gt_i32_e32 vcc, s33, v1
	s_lshl_b64 s[14:15], s[14:15], 2
	v_cndmask_b32_e32 v2, v11, v2, vcc
	s_add_u32 s16, s12, s14
	v_ashrrev_i32_e32 v3, 31, v2
	s_addc_u32 s17, s13, s15
	v_lshlrev_b64 v[2:3], 2, v[2:3]
	v_mov_b32_e32 v4, s17
	v_add_co_u32_e32 v2, vcc, s16, v2
	v_addc_co_u32_e32 v3, vcc, v4, v3, vcc
	v_or_b32_e32 v4, 16, v1
	v_add_u32_e32 v5, v4, v10
	v_ashrrev_i32_e32 v5, 5, v5
	v_cmp_gt_i32_e32 vcc, s33, v4
	v_cndmask_b32_e32 v4, v11, v5, vcc
	v_ashrrev_i32_e32 v5, 31, v4
	v_lshlrev_b64 v[4:5], 2, v[4:5]
	v_mov_b32_e32 v7, s17
	v_add_co_u32_e32 v6, vcc, s16, v4
	v_or_b32_e32 v4, 32, v1
	v_addc_co_u32_e32 v7, vcc, v7, v5, vcc
	v_add_u32_e32 v5, v4, v10
	v_ashrrev_i32_e32 v5, 5, v5
	v_cmp_gt_i32_e32 vcc, s33, v4
	v_cndmask_b32_e32 v4, v11, v5, vcc
	v_ashrrev_i32_e32 v5, 31, v4
	v_lshlrev_b64 v[4:5], 2, v[4:5]
	v_mov_b32_e32 v9, s17
	v_add_co_u32_e32 v8, vcc, s16, v4
	v_or_b32_e32 v1, 48, v1
	v_addc_co_u32_e32 v9, vcc, v9, v5, vcc
	v_add_u32_e32 v4, v1, v10
	v_ashrrev_i32_e32 v4, 5, v4
	v_cmp_gt_i32_e32 vcc, s33, v1
	v_cndmask_b32_e32 v4, v11, v4, vcc
	v_ashrrev_i32_e32 v5, 31, v4
	v_lshlrev_b64 v[4:5], 2, v[4:5]
	v_mov_b32_e32 v1, s17
	v_add_co_u32_e32 v10, vcc, s16, v4
	v_addc_co_u32_e32 v11, vcc, v1, v5, vcc
	global_load_dword v5, v[2:3], off
	global_load_dword v4, v[6:7], off
	;; [unrolled: 1-line block ×4, first 2 shown]
	s_andn2_b64 vcc, exec, s[2:3]
	s_cbranch_vccnz .LBB189_8
; %bb.6:
	s_add_u32 s0, s0, s10
	s_addc_u32 s1, s1, s11
	s_load_dword s19, s[0:1], 0x0
	s_branch .LBB189_9
.LBB189_7:
	s_mov_b64 s[12:13], 0
	s_branch .LBB189_2
.LBB189_8:
	s_mov_b32 s19, s6
.LBB189_9:
	s_load_dwordx4 s[12:15], s[4:5], 0x8
	s_load_dwordx4 s[0:3], s[4:5], 0x48
	v_lshrrev_b32_e32 v86, 6, v0
	v_bfe_u32 v1, v0, 4, 2
	v_lshl_or_b32 v6, v86, 2, v1
	v_and_b32_e32 v84, 15, v0
	v_lshlrev_b32_e32 v2, 3, v84
	v_cmp_lt_u32_e32 vcc, 1, v6
	s_and_saveexec_b64 s[10:11], vcc
	s_xor_b64 s[10:11], exec, s[10:11]
; %bb.10:
	v_mov_b32_e32 v3, 0
                                        ; implicit-def: $vgpr6
; %bb.11:
	s_or_saveexec_b64 s[10:11], s[10:11]
	s_lshl_b32 s27, s8, 1
	s_xor_b64 exec, exec, s[10:11]
	s_cbranch_execz .LBB189_13
; %bb.12:
	s_load_dwordx2 s[20:21], s[4:5], 0x0
	s_waitcnt lgkmcnt(0)
	s_ashr_i32 s3, s0, 31
	s_mul_hi_u32 s22, s19, s0
	s_mul_i32 s3, s19, s3
	s_add_i32 s23, s22, s3
	s_mul_i32 s22, s19, s0
	s_lshl_b64 s[22:23], s[22:23], 1
	v_add_lshl_u32 v8, v1, s27, 7
	s_add_u32 s0, s20, s22
	v_ashrrev_i32_e32 v9, 31, v8
	s_addc_u32 s3, s21, s23
	v_lshlrev_b64 v[8:9], 1, v[8:9]
	v_mov_b32_e32 v3, s3
	v_add_co_u32_e32 v7, vcc, s0, v8
	v_addc_co_u32_e32 v3, vcc, v3, v9, vcc
	v_lshlrev_b32_e32 v8, 1, v2
	v_add_co_u32_e32 v8, vcc, v7, v8
	v_addc_co_u32_e32 v9, vcc, 0, v3, vcc
	global_load_dwordx4 v[8:11], v[8:9], off
	v_and_b32_e32 v7, 3, v0
	v_lshlrev_b32_e32 v12, 9, v84
	v_lshlrev_b32_e32 v6, 5, v6
	;; [unrolled: 1-line block ×3, first 2 shown]
	v_and_b32_e32 v12, 0x1800, v12
	v_mov_b32_e32 v3, 0
	v_or3_b32 v6, v12, v7, v6
	s_waitcnt vmcnt(0)
	ds_write_b128 v6, v[8:11]
.LBB189_13:
	s_or_b64 exec, exec, s[10:11]
	s_waitcnt lgkmcnt(0)
	s_mul_i32 s2, s8, s2
	s_mov_b32 s3, 0
	s_lshl_b64 s[2:3], s[2:3], 1
	s_add_u32 s8, s12, s2
	s_addc_u32 s10, s13, s3
	s_waitcnt vmcnt(3)
	v_mad_i64_i32 v[6:7], s[12:13], v5, s1, 0
	v_lshlrev_b64 v[6:7], 1, v[6:7]
	v_mov_b32_e32 v5, s10
	v_add_co_u32_e32 v6, vcc, s8, v6
	v_addc_co_u32_e32 v5, vcc, v5, v7, vcc
	v_lshlrev_b64 v[60:61], 1, v[2:3]
	v_add_co_u32_e32 v27, vcc, v6, v60
	v_lshlrev_b32_e32 v26, 9, v1
	v_addc_co_u32_e32 v28, vcc, v5, v61, vcc
	v_add_co_u32_e32 v2, vcc, v27, v26
	v_addc_co_u32_e32 v3, vcc, 0, v28, vcc
	s_load_dword s40, s[4:5], 0x98
	s_load_dword s0, s[4:5], 0x1c
	s_waitcnt lgkmcnt(0)
	s_barrier
	global_load_dwordx4 v[10:13], v[2:3], off
	s_waitcnt vmcnt(3)
	v_mad_i64_i32 v[4:5], s[12:13], v4, s1, 0
	v_lshlrev_b64 v[4:5], 1, v[4:5]
	v_mov_b32_e32 v6, s10
	v_add_co_u32_e32 v4, vcc, s8, v4
	v_addc_co_u32_e32 v5, vcc, v6, v5, vcc
	v_mov_b32_e32 v6, 0x100
	v_lshl_or_b32 v29, v84, 4, v6
	v_add_co_u32_e32 v30, vcc, v4, v29
	v_addc_co_u32_e32 v31, vcc, 0, v5, vcc
	v_add_co_u32_e32 v22, vcc, v30, v26
	v_addc_co_u32_e32 v23, vcc, 0, v31, vcc
	global_load_dwordx4 v[18:21], v[22:23], off
	global_load_dwordx4 v[14:17], v[2:3], off offset:2048
	v_and_b32_e32 v2, 1, v0
	v_lshl_or_b32 v32, v2, 5, v26
	ds_read_b128 v[6:9], v32
	ds_read_b128 v[2:5], v32 offset:2048
	v_or_b32_e32 v58, 0x1000, v26
	global_load_dwordx4 v[38:41], v[22:23], off offset:2048
	v_add_co_u32_e32 v22, vcc, v27, v58
	v_addc_co_u32_e32 v23, vcc, 0, v28, vcc
	v_or_b32_e32 v62, 0x1800, v26
	s_ashr_i32 s11, s9, 31
	v_and_or_b32 v63, v0, 48, s9
	v_mov_b32_e32 v64, s18
	v_lshl_or_b32 v87, v86, 4, v84
	v_lshlrev_b32_e32 v90, 6, v87
	s_mov_b32 s41, 0xff7fffff
	v_and_b32_e32 v74, 63, v0
	s_waitcnt vmcnt(3) lgkmcnt(1)
	v_mfma_f32_16x16x16f16 v[34:37], v[10:11], v[6:7], 0
	s_waitcnt vmcnt(2)
	v_mfma_f32_16x16x16f16 v[42:45], v[18:19], v[6:7], 0
	v_mfma_f32_16x16x16f16 v[10:13], v[12:13], v[8:9], v[34:37]
	s_nop 7
	global_load_dwordx4 v[34:37], v[22:23], off
	v_add_co_u32_e32 v22, vcc, v30, v58
	v_addc_co_u32_e32 v23, vcc, 0, v31, vcc
	v_mfma_f32_16x16x16f16 v[18:21], v[20:21], v[8:9], v[42:45]
	global_load_dwordx4 v[46:49], v[22:23], off
	s_waitcnt vmcnt(3) lgkmcnt(0)
	v_mfma_f32_16x16x16f16 v[42:45], v[14:15], v[2:3], v[10:13]
	s_nop 6
	v_add_co_u32_e32 v10, vcc, v27, v62
	v_addc_co_u32_e32 v11, vcc, 0, v28, vcc
	global_load_dwordx4 v[54:57], v[10:11], off
	v_mad_i64_i32 v[10:11], s[12:13], v25, s1, 0
	v_add_co_u32_e32 v30, vcc, v30, v62
	v_lshlrev_b64 v[22:23], 1, v[10:11]
	v_addc_co_u32_e32 v31, vcc, 0, v31, vcc
	v_mov_b32_e32 v25, s10
	v_add_co_u32_e32 v22, vcc, s8, v22
	v_addc_co_u32_e32 v23, vcc, v25, v23, vcc
	ds_read_b128 v[10:13], v32 offset:4096
	ds_read_b128 v[50:53], v32 offset:6144
	global_load_dwordx4 v[30:33], v[30:31], off
	v_add_co_u32_e32 v27, vcc, v22, v60
	buffer_store_dword v60, off, s[44:47], 0 ; 4-byte Folded Spill
	s_nop 0
	buffer_store_dword v61, off, s[44:47], 0 offset:4 ; 4-byte Folded Spill
	s_waitcnt vmcnt(6)
	v_mfma_f32_16x16x16f16 v[18:21], v[38:39], v[2:3], v[18:21]
	v_mov_b32_e32 v28, s10
	s_lshr_b32 s10, s11, 27
	s_add_u32 s2, s14, s2
	s_addc_u32 s3, s15, s3
	v_addc_co_u32_e32 v59, vcc, v23, v61, vcc
	v_add_co_u32_e32 v22, vcc, v27, v26
	v_addc_co_u32_e32 v23, vcc, 0, v59, vcc
	v_mfma_f32_16x16x16f16 v[14:17], v[16:17], v[4:5], v[42:45]
	v_mfma_f32_16x16x16f16 v[18:21], v[40:41], v[4:5], v[18:21]
	global_load_dwordx4 v[38:41], v[22:23], off
	s_nop 4
	global_load_dwordx4 v[42:45], v[22:23], off offset:2048
	v_mad_i64_i32 v[22:23], s[12:13], v24, s1, 0
	s_waitcnt vmcnt(7) lgkmcnt(1)
	v_mfma_f32_16x16x16f16 v[14:17], v[34:35], v[10:11], v[14:17]
	v_lshlrev_b64 v[34:35], 1, v[22:23]
	v_add_co_u32_e32 v22, vcc, v27, v58
	v_addc_co_u32_e32 v23, vcc, 0, v59, vcc
	global_load_dwordx4 v[22:25], v[22:23], off
	v_add_co_u32_e32 v34, vcc, s8, v34
	s_waitcnt vmcnt(7)
	v_mfma_f32_16x16x16f16 v[18:21], v[46:47], v[10:11], v[18:21]
	v_addc_co_u32_e32 v28, vcc, v28, v35, vcc
	v_add_co_u32_e32 v65, vcc, v34, v29
	v_addc_co_u32_e32 v70, vcc, 0, v28, vcc
	v_add_co_u32_e32 v28, vcc, v27, v62
	v_mfma_f32_16x16x16f16 v[14:17], v[36:37], v[12:13], v[14:17]
	v_addc_co_u32_e32 v29, vcc, 0, v59, vcc
	v_add_co_u32_e32 v46, vcc, v65, v26
	v_addc_co_u32_e32 v47, vcc, 0, v70, vcc
	v_add_u32_e32 v35, s10, v63
	v_mfma_f32_16x16x16f16 v[18:21], v[48:49], v[12:13], v[18:21]
	v_add_co_u32_e32 v48, vcc, v65, v58
	v_addc_co_u32_e32 v49, vcc, 0, v70, vcc
	v_ashrrev_i32_e32 v60, 5, v35
	v_cmp_gt_i32_e32 vcc, s33, v63
	s_waitcnt vmcnt(6) lgkmcnt(0)
	v_mfma_f32_16x16x16f16 v[14:17], v[54:55], v[50:51], v[14:17]
	s_waitcnt vmcnt(5)
	v_mfma_f32_16x16x16f16 v[18:21], v[30:31], v[50:51], v[18:21]
	v_mov_b32_e32 v31, s17
	v_mfma_f32_16x16x16f16 v[54:57], v[56:57], v[52:53], v[14:17]
	global_load_dwordx4 v[26:29], v[28:29], off
	s_nop 0
	global_load_dwordx4 v[34:37], v[46:47], off
	s_nop 3
	global_load_dwordx4 v[14:17], v[46:47], off offset:2048
	v_cndmask_b32_e32 v46, v64, v60, vcc
	v_ashrrev_i32_e32 v47, 31, v46
	v_lshlrev_b64 v[46:47], 2, v[46:47]
	v_add_co_u32_e32 v30, vcc, s16, v46
	v_addc_co_u32_e32 v31, vcc, v31, v47, vcc
	global_load_dword v46, v[30:31], off
	v_or_b32_e32 v30, 64, v63
	v_mfma_f32_16x16x16f16 v[58:61], v[32:33], v[52:53], v[18:21]
	v_cmp_gt_i32_e32 vcc, s33, v30
	v_mov_b32_e32 v32, s17
	v_mov_b32_e32 v33, s17
	global_load_dwordx4 v[66:69], v[48:49], off
	s_nop 2
	v_add_u32_e32 v18, s10, v30
	v_ashrrev_i32_e32 v18, 5, v18
	v_cndmask_b32_e32 v18, v64, v18, vcc
	v_ashrrev_i32_e32 v19, 31, v18
	v_lshlrev_b64 v[30:31], 2, v[18:19]
	v_add_co_u32_e32 v30, vcc, s16, v30
	v_addc_co_u32_e32 v31, vcc, v32, v31, vcc
	global_load_dword v32, v[30:31], off
	s_waitcnt vmcnt(8)
	v_mfma_f32_16x16x16f16 v[18:21], v[38:39], v[6:7], 0
	v_or_b32_e32 v30, 0x80, v63
	v_add_u32_e32 v31, s10, v30
	v_ashrrev_i32_e32 v31, 5, v31
	v_cmp_gt_i32_e32 vcc, s33, v30
	v_cndmask_b32_e32 v30, v64, v31, vcc
	v_ashrrev_i32_e32 v31, 31, v30
	v_lshlrev_b64 v[30:31], 2, v[30:31]
	v_mfma_f32_16x16x16f16 v[18:21], v[40:41], v[8:9], v[18:21]
	v_add_co_u32_e32 v30, vcc, s16, v30
	v_addc_co_u32_e32 v31, vcc, v33, v31, vcc
	global_load_dword v33, v[30:31], off
	v_or_b32_e32 v30, 0xc0, v63
	v_add_u32_e32 v31, s10, v30
	s_waitcnt vmcnt(8)
	v_mfma_f32_16x16x16f16 v[18:21], v[42:43], v[2:3], v[18:21]
	v_ashrrev_i32_e32 v31, 5, v31
	v_cmp_gt_i32_e32 vcc, s33, v30
	v_cndmask_b32_e32 v30, v64, v31, vcc
	v_ashrrev_i32_e32 v31, 31, v30
	v_lshlrev_b64 v[30:31], 2, v[30:31]
	v_mov_b32_e32 v38, s17
	v_add_co_u32_e32 v30, vcc, s16, v30
	v_mfma_f32_16x16x16f16 v[18:21], v[44:45], v[4:5], v[18:21]
	v_addc_co_u32_e32 v31, vcc, v38, v31, vcc
	global_load_dword v63, v[30:31], off
	s_waitcnt vmcnt(8)
	v_mfma_f32_16x16x16f16 v[18:21], v[22:23], v[10:11], v[18:21]
	v_add_co_u32_e32 v22, vcc, v65, v62
	v_addc_co_u32_e32 v23, vcc, 0, v70, vcc
	global_load_dwordx4 v[70:73], v[22:23], off
	v_and_b32_e32 v22, 16, v0
	v_lshlrev_b32_e32 v22, 1, v22
	v_mfma_f32_16x16x16f16 v[18:21], v[24:25], v[12:13], v[18:21]
	v_mov_b32_e32 v23, s3
	v_add_co_u32_e32 v88, vcc, s2, v22
	v_addc_co_u32_e32 v89, vcc, 0, v23, vcc
	v_add_co_u32_e32 v22, vcc, v88, v90
	s_waitcnt vmcnt(8)
	v_mfma_f32_16x16x16f16 v[18:21], v[26:27], v[50:51], v[18:21]
	v_addc_co_u32_e32 v23, vcc, 0, v89, vcc
	v_mfma_f32_16x16x16f16 v[76:79], v[28:29], v[52:53], v[18:21]
	s_waitcnt vmcnt(5)
	s_nop 7
	v_mad_i64_i32 v[18:19], s[2:3], v46, s1, 0
	v_lshlrev_b64 v[80:81], 1, v[18:19]
	v_mfma_f32_16x16x16f16 v[18:21], v[34:35], v[6:7], 0
	v_add_co_u32_e32 v6, vcc, v22, v80
	v_addc_co_u32_e32 v7, vcc, v23, v81, vcc
	global_load_dwordx4 v[46:49], v[6:7], off
	global_load_dwordx4 v[42:45], v[6:7], off offset:16
	v_pk_mul_f32 v[76:77], s[0:1], v[76:77] op_sel_hi:[0,1]
	v_pk_mul_f32 v[78:79], s[0:1], v[78:79] op_sel_hi:[0,1]
	s_waitcnt vmcnt(5)
	v_mad_i64_i32 v[6:7], s[2:3], v32, s1, 0
	v_lshlrev_b64 v[82:83], 1, v[6:7]
	v_mfma_f32_16x16x16f16 v[6:9], v[36:37], v[8:9], v[18:21]
	v_mfma_f32_16x16x16f16 v[6:9], v[14:15], v[2:3], v[6:9]
	s_nop 5
	v_add_co_u32_e32 v18, vcc, v22, v82
	v_addc_co_u32_e32 v19, vcc, v23, v83, vcc
	global_load_dwordx4 v[38:41], v[18:19], off
	global_load_dwordx4 v[34:37], v[18:19], off offset:16
	s_waitcnt vmcnt(6)
	v_mad_i64_i32 v[18:19], s[2:3], v33, s1, 0
	v_lshlrev_b64 v[64:65], 1, v[18:19]
	v_add_co_u32_e32 v2, vcc, v22, v64
	v_addc_co_u32_e32 v3, vcc, v23, v65, vcc
	global_load_dwordx4 v[30:33], v[2:3], off
	global_load_dwordx4 v[26:29], v[2:3], off offset:16
	v_mfma_f32_16x16x16f16 v[2:5], v[16:17], v[4:5], v[6:9]
	v_mfma_f32_16x16x16f16 v[2:5], v[66:67], v[10:11], v[2:5]
	s_waitcnt vmcnt(7)
	s_nop 4
	v_mad_i64_i32 v[6:7], s[2:3], v63, s1, 0
	v_lshlrev_b64 v[62:63], 1, v[6:7]
	v_add_co_u32_e32 v6, vcc, v22, v62
	v_addc_co_u32_e32 v7, vcc, v23, v63, vcc
	v_mfma_f32_16x16x16f16 v[10:13], v[68:69], v[12:13], v[2:5]
	global_load_dwordx4 v[22:25], v[6:7], off
	global_load_dwordx4 v[18:21], v[6:7], off offset:16
	v_or_b32_e32 v6, 0x1000, v90
	v_add_co_u32_e32 v92, vcc, v88, v6
	v_addc_co_u32_e32 v93, vcc, 0, v89, vcc
	s_nop 1
	v_add_co_u32_e32 v2, vcc, v92, v80
	s_waitcnt vmcnt(8)
	v_mfma_f32_16x16x16f16 v[88:91], v[70:71], v[50:51], v[10:13]
	v_addc_co_u32_e32 v3, vcc, v93, v81, vcc
	v_add_co_u32_e32 v66, vcc, v92, v82
	v_addc_co_u32_e32 v67, vcc, v93, v83, vcc
	global_load_dwordx4 v[6:9], v[2:3], off
	s_nop 0
	global_load_dwordx4 v[2:5], v[2:3], off offset:16
	v_mfma_f32_16x16x16f16 v[50:53], v[72:73], v[52:53], v[88:91]
	global_load_dwordx4 v[14:17], v[66:67], off
	global_load_dwordx4 v[10:13], v[66:67], off offset:16
	v_pk_mul_f32 v[68:69], s[0:1], v[54:55] op_sel_hi:[0,1]
	v_pk_mul_f32 v[80:81], s[0:1], v[56:57] op_sel_hi:[0,1]
	;; [unrolled: 1-line block ×4, first 2 shown]
	s_nop 4
	v_pk_mul_f32 v[72:73], s[0:1], v[50:51] op_sel_hi:[0,1]
	v_and_b32_e32 v50, 0xc0, v0
	v_add_u32_e32 v50, s9, v50
	v_lshl_or_b32 v50, v1, 2, v50
	v_pk_mul_f32 v[66:67], s[0:1], v[52:53] op_sel_hi:[0,1]
	v_or_b32_e32 v53, 1, v50
	v_mov_b32_e32 v51, 0xff7fffff
	v_cmp_gt_i32_e64 s[28:29], s33, v50
	v_cmp_gt_i32_e64 s[30:31], s33, v53
	v_cndmask_b32_e64 v52, v51, v68, s[28:29]
	v_cndmask_b32_e64 v53, v51, v69, s[30:31]
	v_max3_f32 v52, v52, s41, v53
	v_or_b32_e32 v53, 2, v50
	v_or_b32_e32 v54, 3, v50
	v_cmp_gt_i32_e64 s[34:35], s33, v53
	v_cmp_gt_i32_e64 s[36:37], s33, v54
	v_cndmask_b32_e64 v53, v51, v80, s[34:35]
	v_cndmask_b32_e64 v54, v51, v81, s[36:37]
	v_max3_f32 v52, v52, v53, v54
	v_or_b32_e32 v53, 16, v50
	v_or_b32_e32 v54, 17, v50
	;; [unrolled: 7-line block ×7, first 2 shown]
	v_cmp_gt_i32_e32 vcc, s33, v53
	v_cmp_gt_i32_e64 s[0:1], s33, v50
	v_cndmask_b32_e32 v53, v51, v66, vcc
	v_cndmask_b32_e64 v50, v51, v67, s[0:1]
	v_max3_f32 v58, v52, v53, v50
	v_mbcnt_lo_u32_b32 v50, -1, 0
	v_mbcnt_hi_u32_b32 v59, -1, v50
	v_and_b32_e32 v50, 64, v59
	v_add_u32_e32 v60, 64, v50
	v_xor_b32_e32 v50, 32, v59
	v_cmp_lt_i32_e64 s[38:39], v50, v60
	v_cndmask_b32_e64 v50, v59, v50, s[38:39]
	v_lshlrev_b32_e32 v89, 2, v50
	ds_bpermute_b32 v61, v89, v58
	v_add_co_u32_e64 v50, s[38:39], v92, v64
	v_addc_co_u32_e64 v51, s[38:39], v93, v65, s[38:39]
	s_waitcnt lgkmcnt(0)
	v_max_f32_e32 v61, v61, v61
	v_max_f32_e32 v61, v58, v61
	v_xor_b32_e32 v58, 16, v59
	v_cmp_lt_i32_e64 s[38:39], v58, v60
	v_cndmask_b32_e64 v58, v59, v58, s[38:39]
	v_lshlrev_b32_e32 v90, 2, v58
	ds_bpermute_b32 v60, v90, v61
	v_add_co_u32_e64 v58, s[38:39], v92, v62
	v_addc_co_u32_e64 v59, s[38:39], v93, v63, s[38:39]
	s_waitcnt lgkmcnt(0)
	v_max_f32_e32 v60, v60, v60
	v_max_f32_e32 v88, v61, v60
	v_sub_f32_e32 v60, v68, v88
	v_mul_f32_e32 v60, 0x3fb8aa3b, v60
	v_exp_f32_e32 v68, v60
	v_sub_f32_e32 v60, v69, v88
	v_mul_f32_e32 v60, 0x3fb8aa3b, v60
	global_load_dwordx4 v[54:57], v[50:51], off
	s_nop 0
	global_load_dwordx4 v[50:53], v[50:51], off offset:16
	v_exp_f32_e32 v69, v60
	global_load_dwordx4 v[62:65], v[58:59], off
	s_nop 0
	global_load_dwordx4 v[58:61], v[58:59], off offset:16
	v_sub_f32_e32 v80, v80, v88
	v_mul_f32_e32 v80, 0x3fb8aa3b, v80
	v_sub_f32_e32 v81, v81, v88
	v_exp_f32_e32 v80, v80
	v_mul_f32_e32 v81, 0x3fb8aa3b, v81
	v_sub_f32_e32 v70, v70, v88
	v_exp_f32_e32 v81, v81
	v_mul_f32_e32 v70, 0x3fb8aa3b, v70
	v_sub_f32_e32 v71, v71, v88
	v_cndmask_b32_e64 v68, 0, v68, s[28:29]
	v_exp_f32_e32 v70, v70
	v_mul_f32_e32 v71, 0x3fb8aa3b, v71
	v_sub_f32_e32 v82, v82, v88
	v_add_f32_e32 v91, 0, v68
	v_cndmask_b32_e64 v69, 0, v69, s[30:31]
	v_exp_f32_e32 v71, v71
	v_mul_f32_e32 v82, 0x3fb8aa3b, v82
	v_sub_f32_e32 v83, v83, v88
	v_add_f32_e32 v91, v91, v69
	;; [unrolled: 5-line block ×10, first 2 shown]
	v_cndmask_b32_e64 v78, 0, v78, s[10:11]
	v_exp_f32_e32 v66, v66
	v_mul_f32_e32 v67, 0x3fb8aa3b, v67
	v_add_f32_e32 v91, v91, v78
	v_cndmask_b32_e64 v79, 0, v79, s[12:13]
	v_exp_f32_e32 v67, v67
	v_add_f32_e32 v91, v91, v79
	v_cndmask_b32_e64 v72, 0, v72, s[2:3]
	v_add_f32_e32 v91, v91, v72
	v_cndmask_b32_e64 v73, 0, v73, s[8:9]
	v_add_f32_e32 v91, v91, v73
	v_cndmask_b32_e32 v66, 0, v66, vcc
	v_add_f32_e32 v91, v91, v66
	v_cndmask_b32_e64 v67, 0, v67, s[0:1]
	v_add_f32_e32 v91, v91, v67
	ds_bpermute_b32 v89, v89, v91
	v_cmp_gt_u32_e32 vcc, 16, v74
	s_waitcnt lgkmcnt(0)
	s_barrier
	v_add_f32_e32 v89, v91, v89
	ds_bpermute_b32 v90, v90, v89
	s_and_saveexec_b64 s[0:1], vcc
	s_cbranch_execz .LBB189_15
; %bb.14:
	s_waitcnt lgkmcnt(0)
	v_add_f32_e32 v89, v89, v90
	v_lshlrev_b32_e32 v87, 2, v87
	ds_write2st64_b32 v87, v88, v89 offset1:1
.LBB189_15:
	s_or_b64 exec, exec, s[0:1]
	v_lshlrev_b32_e32 v94, 2, v84
	s_load_dword s2, s[4:5], 0x94
	s_waitcnt lgkmcnt(0)
	s_barrier
	ds_read2_b32 v[88:89], v94 offset1:16
	ds_read2_b32 v[90:91], v94 offset0:32 offset1:48
	ds_read2_b32 v[92:93], v94 offset0:64 offset1:80
	;; [unrolled: 1-line block ×3, first 2 shown]
	s_waitcnt lgkmcnt(0)
	v_max3_f32 v87, v88, s41, v89
	v_max3_f32 v87, v87, v90, v91
	v_sub_f32_e32 v88, v88, v87
	v_mul_f32_e32 v88, 0x3fb8aa3b, v88
	v_exp_f32_e32 v85, v88
	v_sub_f32_e32 v88, v89, v87
	v_mul_f32_e32 v88, 0x3fb8aa3b, v88
	v_exp_f32_e32 v89, v88
	;; [unrolled: 3-line block ×4, first 2 shown]
	v_fma_f32 v88, v85, v92, 0
	v_fmac_f32_e32 v88, v89, v93
	v_fmac_f32_e32 v88, v90, v94
	;; [unrolled: 1-line block ×3, first 2 shown]
	v_add_f32_e32 v92, 0x358637bd, v88
	v_div_scale_f32 v93, s[0:1], v92, v92, 1.0
	v_rcp_f32_e32 v94, v93
	s_barrier
	s_lshl_b32 s8, s40, 1
	v_fma_f32 v95, -v93, v94, 1.0
	v_fmac_f32_e32 v94, v95, v94
	v_div_scale_f32 v95, vcc, 1.0, v92, 1.0
	v_mul_f32_e32 v74, v95, v94
	v_fma_f32 v75, -v93, v74, v95
	v_fmac_f32_e32 v74, v75, v94
	v_fma_f32 v75, -v93, v74, v95
	v_div_fmas_f32 v74, v75, v94, v74
	v_cmp_eq_u32_e32 vcc, 1, v86
	v_cndmask_b32_e32 v75, v85, v89, vcc
	v_cmp_eq_u32_e32 vcc, 2, v86
	v_cndmask_b32_e32 v75, v75, v90, vcc
	v_cmp_eq_u32_e32 vcc, 3, v86
	v_div_fixup_f32 v74, v74, v92, 1.0
	v_cndmask_b32_e32 v75, v75, v91, vcc
	v_mul_f32_e32 v90, v75, v74
	v_pk_mul_f32 v[80:81], v[90:91], v[80:81] op_sel_hi:[0,1]
	v_cvt_f16_f32_e32 v74, v80
	v_cvt_f16_f32_e32 v75, v81
	v_pk_mul_f32 v[68:69], v[90:91], v[68:69] op_sel_hi:[0,1]
	v_cvt_f16_f32_e32 v68, v68
	v_cvt_f16_f32_e32 v69, v69
	v_pk_mul_f32 v[80:81], v[90:91], v[82:83] op_sel_hi:[0,1]
	v_pk_mul_f32 v[70:71], v[90:91], v[70:71] op_sel_hi:[0,1]
	v_pack_b32_f16 v93, v74, v75
	v_cvt_f16_f32_e32 v70, v70
	v_cvt_f16_f32_e32 v71, v71
	;; [unrolled: 1-line block ×4, first 2 shown]
	v_pack_b32_f16 v92, v68, v69
	v_lshlrev_b32_e32 v69, 3, v1
	v_lshlrev_b32_e32 v68, 5, v84
	;; [unrolled: 1-line block ×3, first 2 shown]
	v_or3_b32 v80, v80, v68, v69
	v_pack_b32_f16 v70, v70, v71
	v_pack_b32_f16 v71, v74, v75
	ds_write2st64_b64 v80, v[92:93], v[70:71] offset1:1
	v_pk_mul_f32 v[70:71], v[90:91], v[78:79] op_sel_hi:[0,1]
	v_pk_mul_f32 v[76:77], v[90:91], v[76:77] op_sel_hi:[0,1]
	v_cvt_f16_f32_e32 v69, v76
	v_cvt_f16_f32_e32 v75, v70
	;; [unrolled: 1-line block ×3, first 2 shown]
	v_pk_mul_f32 v[66:67], v[90:91], v[66:67] op_sel_hi:[0,1]
	v_pk_mul_f32 v[70:71], v[90:91], v[72:73] op_sel_hi:[0,1]
	v_cvt_f16_f32_e32 v74, v77
	v_cvt_f16_f32_e32 v70, v70
	;; [unrolled: 1-line block ×5, first 2 shown]
	v_pack_b32_f16 v66, v69, v74
	v_pack_b32_f16 v67, v75, v76
	;; [unrolled: 1-line block ×4, first 2 shown]
	v_cmp_gt_u32_e32 vcc, 2, v0
	ds_write2st64_b64 v80, v[66:67], v[70:71] offset0:2 offset1:3
	s_and_saveexec_b64 s[0:1], vcc
	s_cbranch_execz .LBB189_17
; %bb.16:
	v_or_b32_e32 v66, s27, v0
	v_mov_b32_e32 v67, 0
	v_mov_b32_e32 v69, s8
	v_mad_u64_u32 v[70:71], s[10:11], s6, v69, v[66:67]
	v_mov_b32_e32 v66, s26
	s_load_dwordx4 s[12:15], s[4:5], 0x58
	s_mul_i32 s3, s7, s8
	v_mad_u64_u32 v[66:67], s[10:11], v70, s2, v[66:67]
	v_add_u32_e32 v69, s3, v71
	v_mov_b32_e32 v70, v67
	v_mad_u64_u32 v[70:71], s[10:11], v69, s2, v[70:71]
	v_mov_b32_e32 v67, v70
	v_lshlrev_b64 v[66:67], 2, v[66:67]
	s_waitcnt lgkmcnt(0)
	v_mov_b32_e32 v69, s15
	v_add_co_u32_e32 v70, vcc, s14, v66
	v_addc_co_u32_e32 v71, vcc, v69, v67, vcc
	v_mov_b32_e32 v69, s13
	v_add_co_u32_e32 v66, vcc, s12, v66
	v_addc_co_u32_e32 v67, vcc, v69, v67, vcc
	global_store_dword v[70:71], v87, off
	global_store_dword v[66:67], v88, off
.LBB189_17:
	s_or_b64 exec, exec, s[0:1]
	v_lshl_or_b32 v74, v1, 9, v68
	s_waitcnt lgkmcnt(0)
	s_barrier
	ds_read_b128 v[70:73], v74
	ds_read_b128 v[66:69], v74 offset:16
	s_waitcnt vmcnt(15) lgkmcnt(1)
	v_mfma_f32_16x16x16f16 v[76:79], v[46:47], v[70:71], 0
	v_cmp_gt_u32_e32 vcc, 64, v0
	s_mov_b32 s3, 0
	v_mfma_f32_16x16x16f16 v[46:49], v[48:49], v[72:73], v[76:79]
	s_waitcnt vmcnt(14) lgkmcnt(0)
	v_mfma_f32_16x16x16f16 v[46:49], v[42:43], v[66:67], v[46:49]
	v_mfma_f32_16x16x16f16 v[42:45], v[44:45], v[68:69], v[46:49]
	s_nop 7
	s_nop 1
	ds_read_b128 v[46:49], v74 offset:2048
	ds_read_b128 v[76:79], v74 offset:2064
	s_waitcnt vmcnt(13) lgkmcnt(1)
	v_mfma_f32_16x16x16f16 v[42:45], v[38:39], v[46:47], v[42:45]
	v_mfma_f32_16x16x16f16 v[38:41], v[40:41], v[48:49], v[42:45]
	s_waitcnt vmcnt(12) lgkmcnt(0)
	v_mfma_f32_16x16x16f16 v[38:41], v[34:35], v[76:77], v[38:41]
	v_mfma_f32_16x16x16f16 v[34:37], v[36:37], v[78:79], v[38:41]
	s_nop 7
	s_nop 1
	ds_read_b128 v[38:41], v74 offset:4096
	ds_read_b128 v[42:45], v74 offset:4112
	s_waitcnt vmcnt(11) lgkmcnt(1)
	v_mfma_f32_16x16x16f16 v[34:37], v[30:31], v[38:39], v[34:37]
	v_mfma_f32_16x16x16f16 v[30:33], v[32:33], v[40:41], v[34:37]
	s_waitcnt vmcnt(10) lgkmcnt(0)
	v_mfma_f32_16x16x16f16 v[30:33], v[26:27], v[42:43], v[30:33]
	v_mfma_f32_16x16x16f16 v[26:29], v[28:29], v[44:45], v[30:33]
	s_nop 7
	s_nop 1
	ds_read_b128 v[30:33], v74 offset:6144
	ds_read_b128 v[34:37], v74 offset:6160
	s_waitcnt lgkmcnt(0)
	s_barrier
	s_waitcnt vmcnt(9)
	v_mfma_f32_16x16x16f16 v[26:29], v[22:23], v[30:31], v[26:29]
	v_mfma_f32_16x16x16f16 v[22:25], v[24:25], v[32:33], v[26:29]
	s_waitcnt vmcnt(8)
	v_mfma_f32_16x16x16f16 v[22:25], v[18:19], v[34:35], v[22:25]
	v_mfma_f32_16x16x16f16 v[18:21], v[20:21], v[36:37], v[22:25]
	s_waitcnt vmcnt(7)
	v_mfma_f32_16x16x16f16 v[22:25], v[6:7], v[70:71], 0
	v_mfma_f32_16x16x16f16 v[6:9], v[8:9], v[72:73], v[22:25]
	s_waitcnt vmcnt(6)
	v_mfma_f32_16x16x16f16 v[6:9], v[2:3], v[66:67], v[6:9]
	v_mfma_f32_16x16x16f16 v[2:5], v[4:5], v[68:69], v[6:9]
	s_waitcnt vmcnt(5)
	v_mfma_f32_16x16x16f16 v[2:5], v[14:15], v[46:47], v[2:5]
	s_nop 7
	v_cvt_f16_f32_e32 v6, v18
	v_cvt_f16_f32_e32 v7, v19
	;; [unrolled: 1-line block ×4, first 2 shown]
	v_mfma_f32_16x16x16f16 v[2:5], v[16:17], v[48:49], v[2:5]
	s_waitcnt vmcnt(4)
	v_mfma_f32_16x16x16f16 v[2:5], v[10:11], v[76:77], v[2:5]
	v_mfma_f32_16x16x16f16 v[2:5], v[12:13], v[78:79], v[2:5]
	s_waitcnt vmcnt(3)
	v_mfma_f32_16x16x16f16 v[2:5], v[54:55], v[38:39], v[2:5]
	;; [unrolled: 3-line block ×5, first 2 shown]
	v_mfma_f32_16x16x16f16 v[2:5], v[60:61], v[36:37], v[2:5]
	s_nop 7
	s_nop 2
	v_cvt_f16_f32_e32 v10, v2
	v_cvt_f16_f32_e32 v11, v3
	;; [unrolled: 1-line block ×4, first 2 shown]
	v_pack_b32_f16 v2, v6, v7
	v_pack_b32_f16 v3, v8, v9
	v_pack_b32_f16 v4, v10, v11
	v_pack_b32_f16 v5, v12, v5
	ds_write2st64_b64 v80, v[2:3], v[4:5] offset1:1
	v_and_b32_e32 v2, 63, v0
	v_cmp_gt_u32_e64 s[0:1], 32, v2
	s_and_b64 s[0:1], vcc, s[0:1]
	s_waitcnt lgkmcnt(0)
	s_barrier
	s_and_saveexec_b64 s[10:11], s[0:1]
	s_cbranch_execz .LBB189_19
; %bb.18:
	s_load_dwordx2 s[0:1], s[4:5], 0x68
	s_mul_i32 s4, s8, s6
	s_lshl_b32 s6, s2, 7
	s_mul_hi_u32 s5, s4, s6
	s_mul_i32 s4, s4, s6
	v_lshlrev_b32_e32 v4, 6, v84
	s_lshl_b64 s[4:5], s[4:5], 1
	v_lshlrev_b32_e32 v3, 4, v0
	v_lshl_or_b32 v0, v0, 10, v4
	s_waitcnt lgkmcnt(0)
	s_add_u32 s4, s0, s4
	v_lshlrev_b32_e32 v2, 5, v1
	v_and_b32_e32 v3, 16, v3
	v_and_b32_e32 v0, 0x1a00, v0
	s_addc_u32 s5, s1, s5
	s_lshl_b32 s2, s26, 7
	v_or3_b32 v0, v0, v2, v3
	s_lshl_b64 s[0:1], s[2:3], 1
	ds_read_b128 v[2:5], v0
	s_add_u32 s2, s4, s0
	v_or_b32_e32 v0, s27, v1
	s_addc_u32 s3, s5, s1
	v_mad_u64_u32 v[0:1], s[0:1], s6, v0, 0
	v_lshlrev_b64 v[0:1], 1, v[0:1]
	v_mov_b32_e32 v6, s3
	v_add_co_u32_e32 v0, vcc, s2, v0
	v_addc_co_u32_e32 v1, vcc, v6, v1, vcc
	buffer_load_dword v6, off, s[44:47], 0  ; 4-byte Folded Reload
	buffer_load_dword v7, off, s[44:47], 0 offset:4 ; 4-byte Folded Reload
	s_waitcnt vmcnt(1)
	v_add_co_u32_e32 v0, vcc, v0, v6
	s_waitcnt vmcnt(0)
	v_addc_co_u32_e32 v1, vcc, v1, v7, vcc
	s_waitcnt lgkmcnt(0)
	global_store_dwordx4 v[0:1], v[2:5], off
.LBB189_19:
	s_endpgm
	.section	.rodata,"a",@progbits
	.p2align	6, 0x0
	.amdhsa_kernel _Z39paged_attention_ll4mi_QKV_mfma16_kernelIDF16_DF16_LN4vllm18Fp8KVCacheDataTypeE0EDF16_Li32ELi128ELi256ELb0ELi2EL8MFMAType0EEvPKT_PKT0_S8_ifPKiSA_SA_iPKfiiiPfSD_PS3_PT2_iSC_SC_
		.amdhsa_group_segment_fixed_size 8192
		.amdhsa_private_segment_fixed_size 12
		.amdhsa_kernarg_size 400
		.amdhsa_user_sgpr_count 6
		.amdhsa_user_sgpr_private_segment_buffer 1
		.amdhsa_user_sgpr_dispatch_ptr 0
		.amdhsa_user_sgpr_queue_ptr 0
		.amdhsa_user_sgpr_kernarg_segment_ptr 1
		.amdhsa_user_sgpr_dispatch_id 0
		.amdhsa_user_sgpr_flat_scratch_init 0
		.amdhsa_user_sgpr_kernarg_preload_length 0
		.amdhsa_user_sgpr_kernarg_preload_offset 0
		.amdhsa_user_sgpr_private_segment_size 0
		.amdhsa_uses_dynamic_stack 0
		.amdhsa_system_sgpr_private_segment_wavefront_offset 1
		.amdhsa_system_sgpr_workgroup_id_x 1
		.amdhsa_system_sgpr_workgroup_id_y 1
		.amdhsa_system_sgpr_workgroup_id_z 1
		.amdhsa_system_sgpr_workgroup_info 0
		.amdhsa_system_vgpr_workitem_id 0
		.amdhsa_next_free_vgpr 96
		.amdhsa_next_free_sgpr 48
		.amdhsa_accum_offset 96
		.amdhsa_reserve_vcc 1
		.amdhsa_reserve_flat_scratch 0
		.amdhsa_float_round_mode_32 0
		.amdhsa_float_round_mode_16_64 0
		.amdhsa_float_denorm_mode_32 3
		.amdhsa_float_denorm_mode_16_64 3
		.amdhsa_dx10_clamp 1
		.amdhsa_ieee_mode 1
		.amdhsa_fp16_overflow 0
		.amdhsa_tg_split 0
		.amdhsa_exception_fp_ieee_invalid_op 0
		.amdhsa_exception_fp_denorm_src 0
		.amdhsa_exception_fp_ieee_div_zero 0
		.amdhsa_exception_fp_ieee_overflow 0
		.amdhsa_exception_fp_ieee_underflow 0
		.amdhsa_exception_fp_ieee_inexact 0
		.amdhsa_exception_int_div_zero 0
	.end_amdhsa_kernel
	.section	.text._Z39paged_attention_ll4mi_QKV_mfma16_kernelIDF16_DF16_LN4vllm18Fp8KVCacheDataTypeE0EDF16_Li32ELi128ELi256ELb0ELi2EL8MFMAType0EEvPKT_PKT0_S8_ifPKiSA_SA_iPKfiiiPfSD_PS3_PT2_iSC_SC_,"axG",@progbits,_Z39paged_attention_ll4mi_QKV_mfma16_kernelIDF16_DF16_LN4vllm18Fp8KVCacheDataTypeE0EDF16_Li32ELi128ELi256ELb0ELi2EL8MFMAType0EEvPKT_PKT0_S8_ifPKiSA_SA_iPKfiiiPfSD_PS3_PT2_iSC_SC_,comdat
.Lfunc_end189:
	.size	_Z39paged_attention_ll4mi_QKV_mfma16_kernelIDF16_DF16_LN4vllm18Fp8KVCacheDataTypeE0EDF16_Li32ELi128ELi256ELb0ELi2EL8MFMAType0EEvPKT_PKT0_S8_ifPKiSA_SA_iPKfiiiPfSD_PS3_PT2_iSC_SC_, .Lfunc_end189-_Z39paged_attention_ll4mi_QKV_mfma16_kernelIDF16_DF16_LN4vllm18Fp8KVCacheDataTypeE0EDF16_Li32ELi128ELi256ELb0ELi2EL8MFMAType0EEvPKT_PKT0_S8_ifPKiSA_SA_iPKfiiiPfSD_PS3_PT2_iSC_SC_
                                        ; -- End function
	.section	.AMDGPU.csdata,"",@progbits
; Kernel info:
; codeLenInByte = 4696
; NumSgprs: 52
; NumVgprs: 96
; NumAgprs: 0
; TotalNumVgprs: 96
; ScratchSize: 12
; MemoryBound: 0
; FloatMode: 240
; IeeeMode: 1
; LDSByteSize: 8192 bytes/workgroup (compile time only)
; SGPRBlocks: 6
; VGPRBlocks: 11
; NumSGPRsForWavesPerEU: 52
; NumVGPRsForWavesPerEU: 96
; AccumOffset: 96
; Occupancy: 5
; WaveLimiterHint : 1
; COMPUTE_PGM_RSRC2:SCRATCH_EN: 1
; COMPUTE_PGM_RSRC2:USER_SGPR: 6
; COMPUTE_PGM_RSRC2:TRAP_HANDLER: 0
; COMPUTE_PGM_RSRC2:TGID_X_EN: 1
; COMPUTE_PGM_RSRC2:TGID_Y_EN: 1
; COMPUTE_PGM_RSRC2:TGID_Z_EN: 1
; COMPUTE_PGM_RSRC2:TIDIG_COMP_CNT: 0
; COMPUTE_PGM_RSRC3_GFX90A:ACCUM_OFFSET: 23
; COMPUTE_PGM_RSRC3_GFX90A:TG_SPLIT: 0
	.section	.text._Z39paged_attention_ll4mi_QKV_mfma16_kernelIDF16_DF16_LN4vllm18Fp8KVCacheDataTypeE0EDF16_Li32ELi128ELi256ELb0ELi3EL8MFMAType0EEvPKT_PKT0_S8_ifPKiSA_SA_iPKfiiiPfSD_PS3_PT2_iSC_SC_,"axG",@progbits,_Z39paged_attention_ll4mi_QKV_mfma16_kernelIDF16_DF16_LN4vllm18Fp8KVCacheDataTypeE0EDF16_Li32ELi128ELi256ELb0ELi3EL8MFMAType0EEvPKT_PKT0_S8_ifPKiSA_SA_iPKfiiiPfSD_PS3_PT2_iSC_SC_,comdat
	.protected	_Z39paged_attention_ll4mi_QKV_mfma16_kernelIDF16_DF16_LN4vllm18Fp8KVCacheDataTypeE0EDF16_Li32ELi128ELi256ELb0ELi3EL8MFMAType0EEvPKT_PKT0_S8_ifPKiSA_SA_iPKfiiiPfSD_PS3_PT2_iSC_SC_ ; -- Begin function _Z39paged_attention_ll4mi_QKV_mfma16_kernelIDF16_DF16_LN4vllm18Fp8KVCacheDataTypeE0EDF16_Li32ELi128ELi256ELb0ELi3EL8MFMAType0EEvPKT_PKT0_S8_ifPKiSA_SA_iPKfiiiPfSD_PS3_PT2_iSC_SC_
	.globl	_Z39paged_attention_ll4mi_QKV_mfma16_kernelIDF16_DF16_LN4vllm18Fp8KVCacheDataTypeE0EDF16_Li32ELi128ELi256ELb0ELi3EL8MFMAType0EEvPKT_PKT0_S8_ifPKiSA_SA_iPKfiiiPfSD_PS3_PT2_iSC_SC_
	.p2align	8
	.type	_Z39paged_attention_ll4mi_QKV_mfma16_kernelIDF16_DF16_LN4vllm18Fp8KVCacheDataTypeE0EDF16_Li32ELi128ELi256ELb0ELi3EL8MFMAType0EEvPKT_PKT0_S8_ifPKiSA_SA_iPKfiiiPfSD_PS3_PT2_iSC_SC_,@function
_Z39paged_attention_ll4mi_QKV_mfma16_kernelIDF16_DF16_LN4vllm18Fp8KVCacheDataTypeE0EDF16_Li32ELi128ELi256ELb0ELi3EL8MFMAType0EEvPKT_PKT0_S8_ifPKiSA_SA_iPKfiiiPfSD_PS3_PT2_iSC_SC_: ; @_Z39paged_attention_ll4mi_QKV_mfma16_kernelIDF16_DF16_LN4vllm18Fp8KVCacheDataTypeE0EDF16_Li32ELi128ELi256ELb0ELi3EL8MFMAType0EEvPKT_PKT0_S8_ifPKiSA_SA_iPKfiiiPfSD_PS3_PT2_iSC_SC_
; %bb.0:
	s_mov_b64 s[46:47], s[2:3]
	s_mov_b64 s[44:45], s[0:1]
	s_load_dwordx2 s[0:1], s[4:5], 0x30
	s_add_u32 s44, s44, s9
	s_addc_u32 s45, s45, 0
	s_mov_b32 s26, s7
	s_mov_b64 s[10:11], 0
	s_waitcnt lgkmcnt(0)
	s_cmp_lg_u64 s[0:1], 0
	s_cselect_b64 s[2:3], -1, 0
	s_and_b64 vcc, exec, s[2:3]
	s_cbranch_vccz .LBB190_7
; %bb.1:
	s_add_i32 s12, s6, 1
	s_mov_b32 s13, 0
	s_lshl_b64 s[14:15], s[12:13], 2
	s_add_u32 s14, s0, s14
	s_mov_b32 s7, s13
	s_addc_u32 s15, s1, s15
	s_lshl_b64 s[12:13], s[6:7], 2
	s_add_u32 s12, s0, s12
	s_addc_u32 s13, s1, s13
	s_load_dword s9, s[14:15], 0x0
	s_load_dword s16, s[12:13], 0x0
	s_waitcnt lgkmcnt(0)
	s_sub_i32 s9, s9, s16
	s_cmp_eq_u32 s9, 1
	s_cselect_b64 s[12:13], -1, 0
	s_andn2_b64 vcc, exec, s[10:11]
	s_cbranch_vccnz .LBB190_3
.LBB190_2:
	s_mov_b32 s7, 0
	s_mov_b64 s[12:13], -1
.LBB190_3:
	s_andn2_b64 vcc, exec, s[12:13]
	s_cbranch_vccnz .LBB190_19
; %bb.4:
	s_load_dwordx2 s[12:13], s[4:5], 0x28
	s_lshl_b64 s[10:11], s[6:7], 2
	s_waitcnt lgkmcnt(0)
	s_add_u32 s12, s12, s10
	s_addc_u32 s13, s13, s11
	s_load_dword s33, s[12:13], 0x0
	s_lshl_b32 s9, s26, 8
	s_waitcnt lgkmcnt(0)
	s_cmp_ge_i32 s9, s33
	s_cbranch_scc1 .LBB190_19
; %bb.5:
	s_add_i32 s15, s33, 31
	s_load_dwordx2 s[12:13], s[4:5], 0x20
	s_load_dword s14, s[4:5], 0x38
	s_ashr_i32 s16, s15, 31
	v_and_b32_e32 v1, 0xcf, v0
	s_lshr_b32 s16, s16, 27
	v_add_u32_e32 v1, s9, v1
	s_add_i32 s15, s15, s16
	v_ashrrev_i32_e32 v2, 31, v1
	s_ashr_i32 s18, s15, 5
	v_lshrrev_b32_e32 v10, 27, v2
	s_add_i32 s18, s18, -1
	v_add_u32_e32 v2, v1, v10
	s_waitcnt lgkmcnt(0)
	s_mul_i32 s14, s6, s14
	s_mov_b32 s15, 0
	v_ashrrev_i32_e32 v2, 5, v2
	v_mov_b32_e32 v11, s18
	v_cmp_gt_i32_e32 vcc, s33, v1
	s_lshl_b64 s[14:15], s[14:15], 2
	v_cndmask_b32_e32 v2, v11, v2, vcc
	s_add_u32 s16, s12, s14
	v_ashrrev_i32_e32 v3, 31, v2
	s_addc_u32 s17, s13, s15
	v_lshlrev_b64 v[2:3], 2, v[2:3]
	v_mov_b32_e32 v4, s17
	v_add_co_u32_e32 v2, vcc, s16, v2
	v_addc_co_u32_e32 v3, vcc, v4, v3, vcc
	v_or_b32_e32 v4, 16, v1
	v_add_u32_e32 v5, v4, v10
	v_ashrrev_i32_e32 v5, 5, v5
	v_cmp_gt_i32_e32 vcc, s33, v4
	v_cndmask_b32_e32 v4, v11, v5, vcc
	v_ashrrev_i32_e32 v5, 31, v4
	v_lshlrev_b64 v[4:5], 2, v[4:5]
	v_mov_b32_e32 v7, s17
	v_add_co_u32_e32 v6, vcc, s16, v4
	v_or_b32_e32 v4, 32, v1
	v_addc_co_u32_e32 v7, vcc, v7, v5, vcc
	v_add_u32_e32 v5, v4, v10
	v_ashrrev_i32_e32 v5, 5, v5
	v_cmp_gt_i32_e32 vcc, s33, v4
	v_cndmask_b32_e32 v4, v11, v5, vcc
	v_ashrrev_i32_e32 v5, 31, v4
	v_lshlrev_b64 v[4:5], 2, v[4:5]
	v_mov_b32_e32 v9, s17
	v_add_co_u32_e32 v8, vcc, s16, v4
	v_or_b32_e32 v1, 48, v1
	v_addc_co_u32_e32 v9, vcc, v9, v5, vcc
	v_add_u32_e32 v4, v1, v10
	v_ashrrev_i32_e32 v4, 5, v4
	v_cmp_gt_i32_e32 vcc, s33, v1
	v_cndmask_b32_e32 v4, v11, v4, vcc
	v_ashrrev_i32_e32 v5, 31, v4
	v_lshlrev_b64 v[4:5], 2, v[4:5]
	v_mov_b32_e32 v1, s17
	v_add_co_u32_e32 v10, vcc, s16, v4
	v_addc_co_u32_e32 v11, vcc, v1, v5, vcc
	global_load_dword v5, v[2:3], off
	global_load_dword v4, v[6:7], off
	global_load_dword v25, v[8:9], off
	global_load_dword v24, v[10:11], off
	s_andn2_b64 vcc, exec, s[2:3]
	s_cbranch_vccnz .LBB190_8
; %bb.6:
	s_add_u32 s0, s0, s10
	s_addc_u32 s1, s1, s11
	s_load_dword s19, s[0:1], 0x0
	s_branch .LBB190_9
.LBB190_7:
	s_mov_b64 s[12:13], 0
	s_branch .LBB190_2
.LBB190_8:
	s_mov_b32 s19, s6
.LBB190_9:
	s_load_dwordx4 s[12:15], s[4:5], 0x8
	s_load_dwordx4 s[0:3], s[4:5], 0x48
	v_lshrrev_b32_e32 v86, 6, v0
	v_bfe_u32 v1, v0, 4, 2
	v_lshl_or_b32 v6, v86, 2, v1
	v_and_b32_e32 v84, 15, v0
	s_mul_i32 s27, s8, 3
	v_lshlrev_b32_e32 v2, 3, v84
	v_cmp_lt_u32_e32 vcc, 2, v6
	s_and_saveexec_b64 s[10:11], vcc
	s_xor_b64 s[10:11], exec, s[10:11]
; %bb.10:
	v_mov_b32_e32 v3, 0
                                        ; implicit-def: $vgpr6
; %bb.11:
	s_or_saveexec_b64 s[10:11], s[10:11]
	v_and_b32_e32 v87, 63, v0
	v_add_u32_e32 v7, s27, v1
	buffer_store_dword v7, off, s[44:47], 0 ; 4-byte Folded Spill
	s_xor_b64 exec, exec, s[10:11]
	s_cbranch_execz .LBB190_13
; %bb.12:
	buffer_load_dword v3, off, s[44:47], 0  ; 4-byte Folded Reload
	s_load_dwordx2 s[20:21], s[4:5], 0x0
	s_waitcnt lgkmcnt(0)
	s_ashr_i32 s3, s0, 31
	s_mul_hi_u32 s22, s19, s0
	s_mul_i32 s3, s19, s3
	s_add_i32 s23, s22, s3
	s_mul_i32 s22, s19, s0
	s_lshl_b64 s[22:23], s[22:23], 1
	s_add_u32 s0, s20, s22
	s_addc_u32 s3, s21, s23
	v_lshlrev_b32_e32 v12, 9, v84
	v_lshlrev_b32_e32 v6, 5, v6
	v_and_b32_e32 v12, 0x1800, v12
	s_waitcnt vmcnt(0)
	v_lshlrev_b32_e32 v8, 7, v3
	v_ashrrev_i32_e32 v9, 31, v8
	v_lshlrev_b64 v[8:9], 1, v[8:9]
	v_mov_b32_e32 v3, s3
	v_add_co_u32_e32 v7, vcc, s0, v8
	v_addc_co_u32_e32 v3, vcc, v3, v9, vcc
	v_lshlrev_b32_e32 v8, 1, v2
	v_add_co_u32_e32 v8, vcc, v7, v8
	v_addc_co_u32_e32 v9, vcc, 0, v3, vcc
	global_load_dwordx4 v[8:11], v[8:9], off
	v_and_b32_e32 v7, 3, v0
	v_lshlrev_b32_e32 v7, 9, v7
	v_mov_b32_e32 v3, 0
	v_or3_b32 v6, v12, v7, v6
	s_waitcnt vmcnt(0)
	ds_write_b128 v6, v[8:11]
.LBB190_13:
	s_or_b64 exec, exec, s[10:11]
	s_waitcnt lgkmcnt(0)
	s_mul_i32 s2, s8, s2
	s_mov_b32 s3, 0
	s_lshl_b64 s[2:3], s[2:3], 1
	s_add_u32 s8, s12, s2
	s_addc_u32 s10, s13, s3
	s_waitcnt vmcnt(4)
	v_mad_i64_i32 v[6:7], s[12:13], v5, s1, 0
	v_lshlrev_b64 v[6:7], 1, v[6:7]
	v_mov_b32_e32 v5, s10
	v_add_co_u32_e32 v6, vcc, s8, v6
	v_addc_co_u32_e32 v5, vcc, v5, v7, vcc
	v_lshlrev_b64 v[50:51], 1, v[2:3]
	v_add_co_u32_e32 v27, vcc, v6, v50
	v_lshlrev_b32_e32 v26, 9, v1
	v_addc_co_u32_e32 v28, vcc, v5, v51, vcc
	v_add_co_u32_e32 v2, vcc, v27, v26
	s_waitcnt vmcnt(3)
	v_mad_i64_i32 v[4:5], s[12:13], v4, s1, 0
	v_addc_co_u32_e32 v3, vcc, 0, v28, vcc
	v_lshlrev_b64 v[4:5], 1, v[4:5]
	v_mov_b32_e32 v6, s10
	v_add_co_u32_e32 v4, vcc, s8, v4
	s_load_dword s40, s[4:5], 0x98
	s_load_dword s0, s[4:5], 0x1c
	s_waitcnt lgkmcnt(0)
	s_barrier
	global_load_dwordx4 v[10:13], v[2:3], off
	global_load_dwordx4 v[14:17], v[2:3], off offset:2048
	v_addc_co_u32_e32 v5, vcc, v6, v5, vcc
	v_mov_b32_e32 v6, 0x100
	v_lshl_or_b32 v29, v84, 4, v6
	v_add_co_u32_e32 v31, vcc, v4, v29
	v_addc_co_u32_e32 v32, vcc, 0, v5, vcc
	v_add_co_u32_e32 v22, vcc, v31, v26
	v_addc_co_u32_e32 v23, vcc, 0, v32, vcc
	global_load_dwordx4 v[18:21], v[22:23], off
	v_mul_lo_u16_e32 v4, 0x56, v84
	v_mov_b32_e32 v2, 3
	v_mul_lo_u16_sdwa v2, v4, v2 dst_sel:DWORD dst_unused:UNUSED_PAD src0_sel:BYTE_1 src1_sel:DWORD
	v_sub_u16_e32 v2, v84, v2
	v_and_b32_e32 v2, 0xff, v2
	v_lshl_add_u32 v30, v2, 5, v26
	ds_read_b128 v[6:9], v30
	ds_read_b128 v[2:5], v30 offset:2048
	v_or_b32_e32 v54, 0x1000, v26
	global_load_dwordx4 v[38:41], v[22:23], off offset:2048
	v_or_b32_e32 v70, 0x1800, v26
	s_ashr_i32 s11, s9, 31
	v_and_or_b32 v66, v0, 48, s9
	v_lshl_or_b32 v88, v86, 4, v84
	v_lshlrev_b32_e32 v92, 6, v88
	s_mov_b32 s41, 0xff7fffff
	s_waitcnt vmcnt(3) lgkmcnt(1)
	v_mfma_f32_16x16x16f16 v[34:37], v[10:11], v[6:7], 0
	s_waitcnt vmcnt(1)
	v_mfma_f32_16x16x16f16 v[42:45], v[18:19], v[6:7], 0
	v_add_co_u32_e32 v18, vcc, v27, v54
	v_addc_co_u32_e32 v19, vcc, 0, v28, vcc
	v_mfma_f32_16x16x16f16 v[10:13], v[12:13], v[8:9], v[34:37]
	s_nop 6
	global_load_dwordx4 v[34:37], v[18:19], off
	v_add_co_u32_e32 v22, vcc, v31, v54
	v_addc_co_u32_e32 v23, vcc, 0, v32, vcc
	v_mfma_f32_16x16x16f16 v[18:21], v[20:21], v[8:9], v[42:45]
	s_nop 6
	global_load_dwordx4 v[42:45], v[22:23], off
	v_add_co_u32_e32 v22, vcc, v27, v70
	v_addc_co_u32_e32 v23, vcc, 0, v28, vcc
	s_waitcnt lgkmcnt(0)
	v_mfma_f32_16x16x16f16 v[10:13], v[14:15], v[2:3], v[10:13]
	global_load_dwordx4 v[46:49], v[22:23], off
	v_mad_i64_i32 v[14:15], s[12:13], v25, s1, 0
	v_add_co_u32_e32 v22, vcc, v31, v70
	v_lshlrev_b64 v[14:15], 1, v[14:15]
	v_addc_co_u32_e32 v23, vcc, 0, v32, vcc
	global_load_dwordx4 v[58:61], v[22:23], off
	v_mov_b32_e32 v22, s10
	v_add_co_u32_e32 v23, vcc, s8, v14
	v_addc_co_u32_e32 v22, vcc, v22, v15, vcc
	v_add_co_u32_e32 v27, vcc, v23, v50
	buffer_store_dword v50, off, s[44:47], 0 offset:4 ; 4-byte Folded Spill
	s_nop 0
	buffer_store_dword v51, off, s[44:47], 0 offset:8 ; 4-byte Folded Spill
	s_waitcnt vmcnt(6)
	v_mfma_f32_16x16x16f16 v[18:21], v[38:39], v[2:3], v[18:21]
	v_addc_co_u32_e32 v28, vcc, v22, v51, vcc
	v_add_co_u32_e32 v22, vcc, v27, v26
	v_addc_co_u32_e32 v23, vcc, 0, v28, vcc
	v_mfma_f32_16x16x16f16 v[18:21], v[40:41], v[4:5], v[18:21]
	global_load_dwordx4 v[38:41], v[22:23], off
	v_mfma_f32_16x16x16f16 v[14:17], v[16:17], v[4:5], v[10:13]
	s_nop 6
	ds_read_b128 v[10:13], v30 offset:4096
	ds_read_b128 v[50:53], v30 offset:6144
	global_load_dwordx4 v[30:33], v[22:23], off offset:2048
	v_mad_i64_i32 v[22:23], s[12:13], v24, s1, 0
	s_waitcnt vmcnt(7) lgkmcnt(1)
	v_mfma_f32_16x16x16f16 v[14:17], v[34:35], v[10:11], v[14:17]
	v_lshlrev_b64 v[34:35], 1, v[22:23]
	v_add_co_u32_e32 v22, vcc, v27, v54
	v_addc_co_u32_e32 v23, vcc, 0, v28, vcc
	global_load_dwordx4 v[22:25], v[22:23], off
	v_add_co_u32_e32 v34, vcc, s8, v34
	s_waitcnt vmcnt(7)
	v_mfma_f32_16x16x16f16 v[18:21], v[42:43], v[10:11], v[18:21]
	v_mov_b32_e32 v42, s10
	v_addc_co_u32_e32 v35, vcc, v42, v35, vcc
	v_add_co_u32_e32 v71, vcc, v34, v29
	v_addc_co_u32_e32 v72, vcc, 0, v35, vcc
	v_mfma_f32_16x16x16f16 v[14:17], v[36:37], v[12:13], v[14:17]
	v_add_co_u32_e32 v34, vcc, v27, v70
	v_addc_co_u32_e32 v35, vcc, 0, v28, vcc
	v_add_co_u32_e32 v42, vcc, v71, v26
	v_addc_co_u32_e32 v43, vcc, 0, v72, vcc
	v_mfma_f32_16x16x16f16 v[18:21], v[44:45], v[12:13], v[18:21]
	s_lshr_b32 s10, s11, 27
	v_add_co_u32_e32 v44, vcc, v71, v54
	v_addc_co_u32_e32 v45, vcc, 0, v72, vcc
	v_cmp_gt_i32_e32 vcc, s33, v66
	s_add_u32 s2, s14, s2
	s_waitcnt vmcnt(6) lgkmcnt(0)
	v_mfma_f32_16x16x16f16 v[26:29], v[46:47], v[50:51], v[14:17]
	global_load_dwordx4 v[34:37], v[34:35], off
	s_nop 0
	global_load_dwordx4 v[62:65], v[42:43], off
	s_nop 3
	global_load_dwordx4 v[14:17], v[42:43], off offset:2048
	v_mov_b32_e32 v42, s17
	s_addc_u32 s3, s15, s3
	v_mfma_f32_16x16x16f16 v[54:57], v[48:49], v[52:53], v[26:29]
	s_nop 6
	v_add_u32_e32 v26, s10, v66
	s_waitcnt vmcnt(8)
	v_mfma_f32_16x16x16f16 v[18:21], v[58:59], v[50:51], v[18:21]
	v_ashrrev_i32_e32 v26, 5, v26
	v_mov_b32_e32 v28, s18
	v_cndmask_b32_e32 v26, v28, v26, vcc
	v_ashrrev_i32_e32 v27, 31, v26
	v_lshlrev_b64 v[26:27], 2, v[26:27]
	v_mov_b32_e32 v29, s17
	v_add_co_u32_e32 v26, vcc, s16, v26
	v_addc_co_u32_e32 v27, vcc, v29, v27, vcc
	global_load_dword v29, v[26:27], off
	v_or_b32_e32 v26, 64, v66
	v_mfma_f32_16x16x16f16 v[58:61], v[60:61], v[52:53], v[18:21]
	v_cmp_gt_i32_e32 vcc, s33, v26
	s_nop 5
	v_add_u32_e32 v18, s10, v26
	v_ashrrev_i32_e32 v18, 5, v18
	v_cndmask_b32_e32 v18, v28, v18, vcc
	v_ashrrev_i32_e32 v19, 31, v18
	v_lshlrev_b64 v[26:27], 2, v[18:19]
	s_waitcnt vmcnt(6)
	v_mfma_f32_16x16x16f16 v[18:21], v[38:39], v[6:7], 0
	v_add_co_u32_e32 v26, vcc, s16, v26
	v_addc_co_u32_e32 v27, vcc, v42, v27, vcc
	global_load_dword v38, v[26:27], off
	v_or_b32_e32 v26, 0x80, v66
	v_add_u32_e32 v27, s10, v26
	v_mfma_f32_16x16x16f16 v[18:21], v[40:41], v[8:9], v[18:21]
	v_ashrrev_i32_e32 v27, 5, v27
	v_cmp_gt_i32_e32 vcc, s33, v26
	v_cndmask_b32_e32 v26, v28, v27, vcc
	v_ashrrev_i32_e32 v27, 31, v26
	v_lshlrev_b64 v[26:27], 2, v[26:27]
	v_mov_b32_e32 v39, s17
	v_add_co_u32_e32 v26, vcc, s16, v26
	v_addc_co_u32_e32 v27, vcc, v39, v27, vcc
	s_waitcnt vmcnt(6)
	v_mfma_f32_16x16x16f16 v[18:21], v[30:31], v[2:3], v[18:21]
	global_load_dword v30, v[26:27], off
	v_or_b32_e32 v26, 0xc0, v66
	global_load_dwordx4 v[66:69], v[44:45], off
	v_add_u32_e32 v27, s10, v26
	v_ashrrev_i32_e32 v27, 5, v27
	v_cmp_gt_i32_e32 vcc, s33, v26
	v_cndmask_b32_e32 v26, v28, v27, vcc
	v_mfma_f32_16x16x16f16 v[18:21], v[32:33], v[4:5], v[18:21]
	v_ashrrev_i32_e32 v27, 31, v26
	v_lshlrev_b64 v[26:27], 2, v[26:27]
	v_mov_b32_e32 v28, s17
	v_add_co_u32_e32 v26, vcc, s16, v26
	v_addc_co_u32_e32 v27, vcc, v28, v27, vcc
	global_load_dword v89, v[26:27], off
	s_waitcnt vmcnt(8)
	v_mfma_f32_16x16x16f16 v[18:21], v[22:23], v[10:11], v[18:21]
	v_add_co_u32_e32 v22, vcc, v71, v70
	v_addc_co_u32_e32 v23, vcc, 0, v72, vcc
	global_load_dwordx4 v[70:73], v[22:23], off
	v_and_b32_e32 v22, 16, v0
	v_lshlrev_b32_e32 v22, 1, v22
	v_mfma_f32_16x16x16f16 v[18:21], v[24:25], v[12:13], v[18:21]
	v_mov_b32_e32 v23, s3
	v_add_co_u32_e32 v90, vcc, s2, v22
	v_addc_co_u32_e32 v91, vcc, 0, v23, vcc
	v_add_co_u32_e32 v22, vcc, v90, v92
	s_waitcnt vmcnt(8)
	v_mfma_f32_16x16x16f16 v[18:21], v[34:35], v[50:51], v[18:21]
	v_addc_co_u32_e32 v23, vcc, 0, v91, vcc
	v_mfma_f32_16x16x16f16 v[76:79], v[36:37], v[52:53], v[18:21]
	s_waitcnt vmcnt(5)
	s_nop 7
	v_mad_i64_i32 v[18:19], s[2:3], v29, s1, 0
	v_lshlrev_b64 v[80:81], 1, v[18:19]
	v_mfma_f32_16x16x16f16 v[18:21], v[62:63], v[6:7], 0
	v_add_co_u32_e32 v6, vcc, v22, v80
	v_addc_co_u32_e32 v7, vcc, v23, v81, vcc
	global_load_dwordx4 v[46:49], v[6:7], off
	global_load_dwordx4 v[42:45], v[6:7], off offset:16
	v_pk_mul_f32 v[76:77], s[0:1], v[76:77] op_sel_hi:[0,1]
	v_pk_mul_f32 v[78:79], s[0:1], v[78:79] op_sel_hi:[0,1]
	s_waitcnt vmcnt(6)
	v_mad_i64_i32 v[6:7], s[2:3], v38, s1, 0
	v_lshlrev_b64 v[82:83], 1, v[6:7]
	v_mfma_f32_16x16x16f16 v[6:9], v[64:65], v[8:9], v[18:21]
	v_mfma_f32_16x16x16f16 v[6:9], v[14:15], v[2:3], v[6:9]
	s_nop 5
	v_add_co_u32_e32 v18, vcc, v22, v82
	v_addc_co_u32_e32 v19, vcc, v23, v83, vcc
	global_load_dwordx4 v[38:41], v[18:19], off
	global_load_dwordx4 v[34:37], v[18:19], off offset:16
	s_waitcnt vmcnt(7)
	v_mad_i64_i32 v[18:19], s[2:3], v30, s1, 0
	v_lshlrev_b64 v[64:65], 1, v[18:19]
	v_add_co_u32_e32 v2, vcc, v22, v64
	v_addc_co_u32_e32 v3, vcc, v23, v65, vcc
	global_load_dwordx4 v[30:33], v[2:3], off
	global_load_dwordx4 v[26:29], v[2:3], off offset:16
	v_mfma_f32_16x16x16f16 v[2:5], v[16:17], v[4:5], v[6:9]
	s_waitcnt vmcnt(8)
	v_mfma_f32_16x16x16f16 v[2:5], v[66:67], v[10:11], v[2:5]
	s_waitcnt vmcnt(7)
	s_nop 3
	v_mad_i64_i32 v[6:7], s[2:3], v89, s1, 0
	v_lshlrev_b64 v[62:63], 1, v[6:7]
	v_add_co_u32_e32 v6, vcc, v22, v62
	v_addc_co_u32_e32 v7, vcc, v23, v63, vcc
	v_mfma_f32_16x16x16f16 v[10:13], v[68:69], v[12:13], v[2:5]
	global_load_dwordx4 v[22:25], v[6:7], off
	global_load_dwordx4 v[18:21], v[6:7], off offset:16
	v_or_b32_e32 v6, 0x1000, v92
	v_add_co_u32_e32 v89, vcc, v90, v6
	v_addc_co_u32_e32 v94, vcc, 0, v91, vcc
	s_nop 1
	v_add_co_u32_e32 v2, vcc, v89, v80
	s_waitcnt vmcnt(8)
	v_mfma_f32_16x16x16f16 v[90:93], v[70:71], v[50:51], v[10:13]
	v_addc_co_u32_e32 v3, vcc, v94, v81, vcc
	v_add_co_u32_e32 v66, vcc, v89, v82
	v_addc_co_u32_e32 v67, vcc, v94, v83, vcc
	global_load_dwordx4 v[6:9], v[2:3], off
	s_nop 0
	global_load_dwordx4 v[2:5], v[2:3], off offset:16
	v_mfma_f32_16x16x16f16 v[50:53], v[72:73], v[52:53], v[90:93]
	global_load_dwordx4 v[14:17], v[66:67], off
	global_load_dwordx4 v[10:13], v[66:67], off offset:16
	v_pk_mul_f32 v[68:69], s[0:1], v[54:55] op_sel_hi:[0,1]
	v_pk_mul_f32 v[80:81], s[0:1], v[56:57] op_sel_hi:[0,1]
	;; [unrolled: 1-line block ×4, first 2 shown]
	s_nop 4
	v_pk_mul_f32 v[72:73], s[0:1], v[50:51] op_sel_hi:[0,1]
	v_and_b32_e32 v50, 0xc0, v0
	v_add_u32_e32 v50, s9, v50
	v_lshl_or_b32 v50, v1, 2, v50
	v_pk_mul_f32 v[66:67], s[0:1], v[52:53] op_sel_hi:[0,1]
	v_or_b32_e32 v53, 1, v50
	v_mov_b32_e32 v51, 0xff7fffff
	v_cmp_gt_i32_e64 s[28:29], s33, v50
	v_cmp_gt_i32_e64 s[30:31], s33, v53
	v_cndmask_b32_e64 v52, v51, v68, s[28:29]
	v_cndmask_b32_e64 v53, v51, v69, s[30:31]
	v_max3_f32 v52, v52, s41, v53
	v_or_b32_e32 v53, 2, v50
	v_or_b32_e32 v54, 3, v50
	v_cmp_gt_i32_e64 s[34:35], s33, v53
	v_cmp_gt_i32_e64 s[36:37], s33, v54
	v_cndmask_b32_e64 v53, v51, v80, s[34:35]
	v_cndmask_b32_e64 v54, v51, v81, s[36:37]
	v_max3_f32 v52, v52, v53, v54
	v_or_b32_e32 v53, 16, v50
	v_or_b32_e32 v54, 17, v50
	;; [unrolled: 7-line block ×7, first 2 shown]
	v_cmp_gt_i32_e32 vcc, s33, v53
	v_cmp_gt_i32_e64 s[0:1], s33, v50
	v_cndmask_b32_e32 v53, v51, v66, vcc
	v_cndmask_b32_e64 v50, v51, v67, s[0:1]
	v_max3_f32 v58, v52, v53, v50
	v_mbcnt_lo_u32_b32 v50, -1, 0
	v_mbcnt_hi_u32_b32 v59, -1, v50
	v_and_b32_e32 v50, 64, v59
	v_add_u32_e32 v60, 64, v50
	v_xor_b32_e32 v50, 32, v59
	v_cmp_lt_i32_e64 s[38:39], v50, v60
	v_cndmask_b32_e64 v50, v59, v50, s[38:39]
	v_lshlrev_b32_e32 v90, 2, v50
	ds_bpermute_b32 v61, v90, v58
	v_add_co_u32_e64 v50, s[38:39], v89, v64
	v_addc_co_u32_e64 v51, s[38:39], v94, v65, s[38:39]
	s_waitcnt lgkmcnt(0)
	v_max_f32_e32 v61, v61, v61
	v_max_f32_e32 v61, v58, v61
	v_xor_b32_e32 v58, 16, v59
	v_cmp_lt_i32_e64 s[38:39], v58, v60
	v_cndmask_b32_e64 v58, v59, v58, s[38:39]
	v_lshlrev_b32_e32 v91, 2, v58
	ds_bpermute_b32 v60, v91, v61
	v_add_co_u32_e64 v58, s[38:39], v89, v62
	v_addc_co_u32_e64 v59, s[38:39], v94, v63, s[38:39]
	s_waitcnt lgkmcnt(0)
	v_max_f32_e32 v60, v60, v60
	v_max_f32_e32 v89, v61, v60
	v_sub_f32_e32 v60, v68, v89
	v_mul_f32_e32 v60, 0x3fb8aa3b, v60
	v_exp_f32_e32 v68, v60
	v_sub_f32_e32 v60, v69, v89
	v_mul_f32_e32 v60, 0x3fb8aa3b, v60
	global_load_dwordx4 v[54:57], v[50:51], off
	s_nop 0
	global_load_dwordx4 v[50:53], v[50:51], off offset:16
	v_exp_f32_e32 v69, v60
	global_load_dwordx4 v[62:65], v[58:59], off
	s_nop 0
	global_load_dwordx4 v[58:61], v[58:59], off offset:16
	v_sub_f32_e32 v80, v80, v89
	v_mul_f32_e32 v80, 0x3fb8aa3b, v80
	v_sub_f32_e32 v81, v81, v89
	v_exp_f32_e32 v80, v80
	v_mul_f32_e32 v81, 0x3fb8aa3b, v81
	v_sub_f32_e32 v70, v70, v89
	v_exp_f32_e32 v81, v81
	v_mul_f32_e32 v70, 0x3fb8aa3b, v70
	v_sub_f32_e32 v71, v71, v89
	v_cndmask_b32_e64 v68, 0, v68, s[28:29]
	v_exp_f32_e32 v70, v70
	v_mul_f32_e32 v71, 0x3fb8aa3b, v71
	v_sub_f32_e32 v82, v82, v89
	v_add_f32_e32 v92, 0, v68
	v_cndmask_b32_e64 v69, 0, v69, s[30:31]
	v_exp_f32_e32 v71, v71
	v_mul_f32_e32 v82, 0x3fb8aa3b, v82
	v_sub_f32_e32 v83, v83, v89
	v_add_f32_e32 v92, v92, v69
	;; [unrolled: 5-line block ×10, first 2 shown]
	v_cndmask_b32_e64 v78, 0, v78, s[10:11]
	v_exp_f32_e32 v66, v66
	v_mul_f32_e32 v67, 0x3fb8aa3b, v67
	v_add_f32_e32 v92, v92, v78
	v_cndmask_b32_e64 v79, 0, v79, s[12:13]
	v_exp_f32_e32 v67, v67
	v_add_f32_e32 v92, v92, v79
	v_cndmask_b32_e64 v72, 0, v72, s[2:3]
	v_add_f32_e32 v92, v92, v72
	v_cndmask_b32_e64 v73, 0, v73, s[8:9]
	v_add_f32_e32 v92, v92, v73
	v_cndmask_b32_e32 v66, 0, v66, vcc
	v_add_f32_e32 v92, v92, v66
	v_cndmask_b32_e64 v67, 0, v67, s[0:1]
	v_add_f32_e32 v92, v92, v67
	ds_bpermute_b32 v90, v90, v92
	v_cmp_gt_u32_e32 vcc, 16, v87
	s_waitcnt lgkmcnt(0)
	s_barrier
	v_add_f32_e32 v90, v92, v90
	ds_bpermute_b32 v91, v91, v90
	s_and_saveexec_b64 s[0:1], vcc
	s_cbranch_execz .LBB190_15
; %bb.14:
	s_waitcnt lgkmcnt(0)
	v_add_f32_e32 v87, v90, v91
	v_lshlrev_b32_e32 v88, 2, v88
	ds_write2st64_b32 v88, v89, v87 offset1:1
.LBB190_15:
	s_or_b64 exec, exec, s[0:1]
	v_lshlrev_b32_e32 v94, 2, v84
	s_load_dword s2, s[4:5], 0x94
	s_waitcnt lgkmcnt(0)
	s_barrier
	ds_read2_b32 v[88:89], v94 offset1:16
	ds_read2_b32 v[90:91], v94 offset0:32 offset1:48
	ds_read2_b32 v[92:93], v94 offset0:64 offset1:80
	;; [unrolled: 1-line block ×3, first 2 shown]
	s_waitcnt lgkmcnt(0)
	v_max3_f32 v87, v88, s41, v89
	v_max3_f32 v87, v87, v90, v91
	v_sub_f32_e32 v88, v88, v87
	v_mul_f32_e32 v88, 0x3fb8aa3b, v88
	v_exp_f32_e32 v85, v88
	v_sub_f32_e32 v88, v89, v87
	v_mul_f32_e32 v88, 0x3fb8aa3b, v88
	v_exp_f32_e32 v89, v88
	;; [unrolled: 3-line block ×4, first 2 shown]
	v_fma_f32 v88, v85, v92, 0
	v_fmac_f32_e32 v88, v89, v93
	v_fmac_f32_e32 v88, v90, v94
	;; [unrolled: 1-line block ×3, first 2 shown]
	v_add_f32_e32 v92, 0x358637bd, v88
	v_div_scale_f32 v93, s[0:1], v92, v92, 1.0
	v_rcp_f32_e32 v94, v93
	s_barrier
	s_mul_i32 s8, s40, 3
	v_fma_f32 v95, -v93, v94, 1.0
	v_fmac_f32_e32 v94, v95, v94
	v_div_scale_f32 v95, vcc, 1.0, v92, 1.0
	v_mul_f32_e32 v74, v95, v94
	v_fma_f32 v75, -v93, v74, v95
	v_fmac_f32_e32 v74, v75, v94
	v_fma_f32 v75, -v93, v74, v95
	v_div_fmas_f32 v74, v75, v94, v74
	v_cmp_eq_u32_e32 vcc, 1, v86
	v_cndmask_b32_e32 v75, v85, v89, vcc
	v_cmp_eq_u32_e32 vcc, 2, v86
	v_cndmask_b32_e32 v75, v75, v90, vcc
	v_cmp_eq_u32_e32 vcc, 3, v86
	v_div_fixup_f32 v74, v74, v92, 1.0
	v_cndmask_b32_e32 v75, v75, v91, vcc
	v_mul_f32_e32 v90, v75, v74
	v_pk_mul_f32 v[80:81], v[90:91], v[80:81] op_sel_hi:[0,1]
	v_cvt_f16_f32_e32 v74, v80
	v_cvt_f16_f32_e32 v75, v81
	v_pk_mul_f32 v[68:69], v[90:91], v[68:69] op_sel_hi:[0,1]
	v_cvt_f16_f32_e32 v68, v68
	v_cvt_f16_f32_e32 v69, v69
	v_pk_mul_f32 v[80:81], v[90:91], v[82:83] op_sel_hi:[0,1]
	v_pk_mul_f32 v[70:71], v[90:91], v[70:71] op_sel_hi:[0,1]
	v_pack_b32_f16 v93, v74, v75
	v_cvt_f16_f32_e32 v70, v70
	v_cvt_f16_f32_e32 v71, v71
	;; [unrolled: 1-line block ×4, first 2 shown]
	v_pack_b32_f16 v92, v68, v69
	v_lshlrev_b32_e32 v69, 3, v1
	v_lshlrev_b32_e32 v68, 5, v84
	;; [unrolled: 1-line block ×3, first 2 shown]
	v_or3_b32 v80, v80, v68, v69
	v_pack_b32_f16 v70, v70, v71
	v_pack_b32_f16 v71, v74, v75
	ds_write2st64_b64 v80, v[92:93], v[70:71] offset1:1
	v_pk_mul_f32 v[70:71], v[90:91], v[78:79] op_sel_hi:[0,1]
	v_pk_mul_f32 v[76:77], v[90:91], v[76:77] op_sel_hi:[0,1]
	v_cvt_f16_f32_e32 v69, v76
	v_cvt_f16_f32_e32 v75, v70
	;; [unrolled: 1-line block ×3, first 2 shown]
	v_pk_mul_f32 v[66:67], v[90:91], v[66:67] op_sel_hi:[0,1]
	v_pk_mul_f32 v[70:71], v[90:91], v[72:73] op_sel_hi:[0,1]
	v_cvt_f16_f32_e32 v74, v77
	v_cvt_f16_f32_e32 v70, v70
	;; [unrolled: 1-line block ×5, first 2 shown]
	v_pack_b32_f16 v66, v69, v74
	v_pack_b32_f16 v67, v75, v76
	;; [unrolled: 1-line block ×4, first 2 shown]
	v_cmp_gt_u32_e32 vcc, 3, v0
	ds_write2st64_b64 v80, v[66:67], v[70:71] offset0:2 offset1:3
	s_and_saveexec_b64 s[0:1], vcc
	s_cbranch_execz .LBB190_17
; %bb.16:
	v_add_co_u32_e32 v70, vcc, s27, v84
	v_addc_co_u32_e64 v71, s[10:11], 0, 0, vcc
	v_mov_b32_e32 v66, s8
	v_mov_b32_e32 v67, 0
	v_mad_u64_u32 v[70:71], s[10:11], s6, v66, v[70:71]
	v_mov_b32_e32 v66, s26
	s_load_dwordx4 s[12:15], s[4:5], 0x58
	s_mul_i32 s3, s7, s8
	v_mad_u64_u32 v[66:67], s[10:11], v70, s2, v[66:67]
	v_add_u32_e32 v69, s3, v71
	v_mov_b32_e32 v70, v67
	v_mad_u64_u32 v[70:71], s[10:11], v69, s2, v[70:71]
	v_mov_b32_e32 v67, v70
	v_lshlrev_b64 v[66:67], 2, v[66:67]
	s_waitcnt lgkmcnt(0)
	v_mov_b32_e32 v69, s15
	v_add_co_u32_e32 v70, vcc, s14, v66
	v_addc_co_u32_e32 v71, vcc, v69, v67, vcc
	v_mov_b32_e32 v69, s13
	v_add_co_u32_e32 v66, vcc, s12, v66
	v_addc_co_u32_e32 v67, vcc, v69, v67, vcc
	global_store_dword v[70:71], v87, off
	global_store_dword v[66:67], v88, off
.LBB190_17:
	s_or_b64 exec, exec, s[0:1]
	v_lshl_or_b32 v74, v1, 9, v68
	s_waitcnt lgkmcnt(0)
	s_barrier
	ds_read_b128 v[70:73], v74
	ds_read_b128 v[66:69], v74 offset:16
	s_waitcnt vmcnt(15) lgkmcnt(1)
	v_mfma_f32_16x16x16f16 v[76:79], v[46:47], v[70:71], 0
	v_cmp_gt_u32_e32 vcc, 64, v0
	v_cmp_ne_u32_e64 s[0:1], 3, v1
	s_mov_b32 s3, 0
	s_and_b64 s[0:1], vcc, s[0:1]
	v_mfma_f32_16x16x16f16 v[46:49], v[48:49], v[72:73], v[76:79]
	s_waitcnt vmcnt(14) lgkmcnt(0)
	v_mfma_f32_16x16x16f16 v[46:49], v[42:43], v[66:67], v[46:49]
	v_mfma_f32_16x16x16f16 v[42:45], v[44:45], v[68:69], v[46:49]
	s_nop 7
	s_nop 1
	ds_read_b128 v[46:49], v74 offset:2048
	ds_read_b128 v[76:79], v74 offset:2064
	s_waitcnt vmcnt(13) lgkmcnt(1)
	v_mfma_f32_16x16x16f16 v[42:45], v[38:39], v[46:47], v[42:45]
	v_mfma_f32_16x16x16f16 v[38:41], v[40:41], v[48:49], v[42:45]
	s_waitcnt vmcnt(12) lgkmcnt(0)
	v_mfma_f32_16x16x16f16 v[38:41], v[34:35], v[76:77], v[38:41]
	v_mfma_f32_16x16x16f16 v[34:37], v[36:37], v[78:79], v[38:41]
	s_nop 7
	s_nop 1
	ds_read_b128 v[38:41], v74 offset:4096
	ds_read_b128 v[42:45], v74 offset:4112
	s_waitcnt vmcnt(11) lgkmcnt(1)
	v_mfma_f32_16x16x16f16 v[34:37], v[30:31], v[38:39], v[34:37]
	v_mfma_f32_16x16x16f16 v[30:33], v[32:33], v[40:41], v[34:37]
	s_waitcnt vmcnt(10) lgkmcnt(0)
	v_mfma_f32_16x16x16f16 v[30:33], v[26:27], v[42:43], v[30:33]
	v_mfma_f32_16x16x16f16 v[26:29], v[28:29], v[44:45], v[30:33]
	s_nop 7
	s_nop 1
	ds_read_b128 v[30:33], v74 offset:6144
	ds_read_b128 v[34:37], v74 offset:6160
	s_waitcnt lgkmcnt(0)
	s_barrier
	s_waitcnt vmcnt(9)
	v_mfma_f32_16x16x16f16 v[26:29], v[22:23], v[30:31], v[26:29]
	v_mfma_f32_16x16x16f16 v[22:25], v[24:25], v[32:33], v[26:29]
	s_waitcnt vmcnt(8)
	v_mfma_f32_16x16x16f16 v[22:25], v[18:19], v[34:35], v[22:25]
	v_mfma_f32_16x16x16f16 v[18:21], v[20:21], v[36:37], v[22:25]
	;; [unrolled: 3-line block ×4, first 2 shown]
	s_waitcnt vmcnt(5)
	v_mfma_f32_16x16x16f16 v[2:5], v[14:15], v[46:47], v[2:5]
	s_nop 7
	v_cvt_f16_f32_e32 v6, v18
	v_cvt_f16_f32_e32 v7, v19
	;; [unrolled: 1-line block ×4, first 2 shown]
	v_mfma_f32_16x16x16f16 v[2:5], v[16:17], v[48:49], v[2:5]
	s_waitcnt vmcnt(4)
	v_mfma_f32_16x16x16f16 v[2:5], v[10:11], v[76:77], v[2:5]
	v_mfma_f32_16x16x16f16 v[2:5], v[12:13], v[78:79], v[2:5]
	s_waitcnt vmcnt(3)
	v_mfma_f32_16x16x16f16 v[2:5], v[54:55], v[38:39], v[2:5]
	v_mfma_f32_16x16x16f16 v[2:5], v[56:57], v[40:41], v[2:5]
	s_waitcnt vmcnt(2)
	v_mfma_f32_16x16x16f16 v[2:5], v[50:51], v[42:43], v[2:5]
	v_mfma_f32_16x16x16f16 v[2:5], v[52:53], v[44:45], v[2:5]
	s_waitcnt vmcnt(1)
	v_mfma_f32_16x16x16f16 v[2:5], v[62:63], v[30:31], v[2:5]
	v_mfma_f32_16x16x16f16 v[2:5], v[64:65], v[32:33], v[2:5]
	s_waitcnt vmcnt(0)
	v_mfma_f32_16x16x16f16 v[2:5], v[58:59], v[34:35], v[2:5]
	v_mfma_f32_16x16x16f16 v[2:5], v[60:61], v[36:37], v[2:5]
	s_nop 7
	s_nop 2
	v_cvt_f16_f32_e32 v10, v2
	v_cvt_f16_f32_e32 v11, v3
	;; [unrolled: 1-line block ×4, first 2 shown]
	v_pack_b32_f16 v2, v6, v7
	v_pack_b32_f16 v3, v8, v9
	;; [unrolled: 1-line block ×4, first 2 shown]
	ds_write2st64_b64 v80, v[2:3], v[4:5] offset1:1
	s_waitcnt lgkmcnt(0)
	s_barrier
	s_and_saveexec_b64 s[10:11], s[0:1]
	s_cbranch_execz .LBB190_19
; %bb.18:
	buffer_load_dword v4, off, s[44:47], 0  ; 4-byte Folded Reload
	s_load_dwordx2 s[0:1], s[4:5], 0x68
	s_mul_i32 s4, s8, s6
	s_lshl_b32 s6, s2, 7
	s_mul_hi_u32 s5, s4, s6
	s_mul_i32 s4, s4, s6
	s_lshl_b64 s[4:5], s[4:5], 1
	s_waitcnt lgkmcnt(0)
	s_add_u32 s4, s0, s4
	s_addc_u32 s5, s1, s5
	s_lshl_b32 s2, s26, 7
	s_lshl_b64 s[0:1], s[2:3], 1
	v_lshlrev_b32_e32 v3, 6, v84
	s_add_u32 s2, s4, s0
	v_lshlrev_b32_e32 v2, 4, v0
	v_lshl_or_b32 v0, v0, 10, v3
	s_addc_u32 s3, s5, s1
	v_lshlrev_b32_e32 v1, 5, v1
	v_and_b32_e32 v2, 16, v2
	v_and_b32_e32 v0, 0x1a00, v0
	v_or3_b32 v0, v0, v1, v2
	v_mov_b32_e32 v6, s3
	ds_read_b128 v[0:3], v0
	s_waitcnt vmcnt(0)
	v_mad_u64_u32 v[4:5], s[0:1], s6, v4, 0
	v_lshlrev_b64 v[4:5], 1, v[4:5]
	v_add_co_u32_e32 v4, vcc, s2, v4
	v_addc_co_u32_e32 v5, vcc, v6, v5, vcc
	buffer_load_dword v6, off, s[44:47], 0 offset:4 ; 4-byte Folded Reload
	buffer_load_dword v7, off, s[44:47], 0 offset:8 ; 4-byte Folded Reload
	s_waitcnt vmcnt(1)
	v_add_co_u32_e32 v4, vcc, v4, v6
	s_waitcnt vmcnt(0)
	v_addc_co_u32_e32 v5, vcc, v5, v7, vcc
	s_waitcnt lgkmcnt(0)
	global_store_dwordx4 v[4:5], v[0:3], off
.LBB190_19:
	s_endpgm
	.section	.rodata,"a",@progbits
	.p2align	6, 0x0
	.amdhsa_kernel _Z39paged_attention_ll4mi_QKV_mfma16_kernelIDF16_DF16_LN4vllm18Fp8KVCacheDataTypeE0EDF16_Li32ELi128ELi256ELb0ELi3EL8MFMAType0EEvPKT_PKT0_S8_ifPKiSA_SA_iPKfiiiPfSD_PS3_PT2_iSC_SC_
		.amdhsa_group_segment_fixed_size 8192
		.amdhsa_private_segment_fixed_size 16
		.amdhsa_kernarg_size 400
		.amdhsa_user_sgpr_count 6
		.amdhsa_user_sgpr_private_segment_buffer 1
		.amdhsa_user_sgpr_dispatch_ptr 0
		.amdhsa_user_sgpr_queue_ptr 0
		.amdhsa_user_sgpr_kernarg_segment_ptr 1
		.amdhsa_user_sgpr_dispatch_id 0
		.amdhsa_user_sgpr_flat_scratch_init 0
		.amdhsa_user_sgpr_kernarg_preload_length 0
		.amdhsa_user_sgpr_kernarg_preload_offset 0
		.amdhsa_user_sgpr_private_segment_size 0
		.amdhsa_uses_dynamic_stack 0
		.amdhsa_system_sgpr_private_segment_wavefront_offset 1
		.amdhsa_system_sgpr_workgroup_id_x 1
		.amdhsa_system_sgpr_workgroup_id_y 1
		.amdhsa_system_sgpr_workgroup_id_z 1
		.amdhsa_system_sgpr_workgroup_info 0
		.amdhsa_system_vgpr_workitem_id 0
		.amdhsa_next_free_vgpr 96
		.amdhsa_next_free_sgpr 48
		.amdhsa_accum_offset 96
		.amdhsa_reserve_vcc 1
		.amdhsa_reserve_flat_scratch 0
		.amdhsa_float_round_mode_32 0
		.amdhsa_float_round_mode_16_64 0
		.amdhsa_float_denorm_mode_32 3
		.amdhsa_float_denorm_mode_16_64 3
		.amdhsa_dx10_clamp 1
		.amdhsa_ieee_mode 1
		.amdhsa_fp16_overflow 0
		.amdhsa_tg_split 0
		.amdhsa_exception_fp_ieee_invalid_op 0
		.amdhsa_exception_fp_denorm_src 0
		.amdhsa_exception_fp_ieee_div_zero 0
		.amdhsa_exception_fp_ieee_overflow 0
		.amdhsa_exception_fp_ieee_underflow 0
		.amdhsa_exception_fp_ieee_inexact 0
		.amdhsa_exception_int_div_zero 0
	.end_amdhsa_kernel
	.section	.text._Z39paged_attention_ll4mi_QKV_mfma16_kernelIDF16_DF16_LN4vllm18Fp8KVCacheDataTypeE0EDF16_Li32ELi128ELi256ELb0ELi3EL8MFMAType0EEvPKT_PKT0_S8_ifPKiSA_SA_iPKfiiiPfSD_PS3_PT2_iSC_SC_,"axG",@progbits,_Z39paged_attention_ll4mi_QKV_mfma16_kernelIDF16_DF16_LN4vllm18Fp8KVCacheDataTypeE0EDF16_Li32ELi128ELi256ELb0ELi3EL8MFMAType0EEvPKT_PKT0_S8_ifPKiSA_SA_iPKfiiiPfSD_PS3_PT2_iSC_SC_,comdat
.Lfunc_end190:
	.size	_Z39paged_attention_ll4mi_QKV_mfma16_kernelIDF16_DF16_LN4vllm18Fp8KVCacheDataTypeE0EDF16_Li32ELi128ELi256ELb0ELi3EL8MFMAType0EEvPKT_PKT0_S8_ifPKiSA_SA_iPKfiiiPfSD_PS3_PT2_iSC_SC_, .Lfunc_end190-_Z39paged_attention_ll4mi_QKV_mfma16_kernelIDF16_DF16_LN4vllm18Fp8KVCacheDataTypeE0EDF16_Li32ELi128ELi256ELb0ELi3EL8MFMAType0EEvPKT_PKT0_S8_ifPKiSA_SA_iPKfiiiPfSD_PS3_PT2_iSC_SC_
                                        ; -- End function
	.section	.AMDGPU.csdata,"",@progbits
; Kernel info:
; codeLenInByte = 4764
; NumSgprs: 52
; NumVgprs: 96
; NumAgprs: 0
; TotalNumVgprs: 96
; ScratchSize: 16
; MemoryBound: 0
; FloatMode: 240
; IeeeMode: 1
; LDSByteSize: 8192 bytes/workgroup (compile time only)
; SGPRBlocks: 6
; VGPRBlocks: 11
; NumSGPRsForWavesPerEU: 52
; NumVGPRsForWavesPerEU: 96
; AccumOffset: 96
; Occupancy: 5
; WaveLimiterHint : 1
; COMPUTE_PGM_RSRC2:SCRATCH_EN: 1
; COMPUTE_PGM_RSRC2:USER_SGPR: 6
; COMPUTE_PGM_RSRC2:TRAP_HANDLER: 0
; COMPUTE_PGM_RSRC2:TGID_X_EN: 1
; COMPUTE_PGM_RSRC2:TGID_Y_EN: 1
; COMPUTE_PGM_RSRC2:TGID_Z_EN: 1
; COMPUTE_PGM_RSRC2:TIDIG_COMP_CNT: 0
; COMPUTE_PGM_RSRC3_GFX90A:ACCUM_OFFSET: 23
; COMPUTE_PGM_RSRC3_GFX90A:TG_SPLIT: 0
	.section	.text._Z39paged_attention_ll4mi_QKV_mfma16_kernelIDF16_DF16_LN4vllm18Fp8KVCacheDataTypeE0EDF16_Li32ELi128ELi256ELb0ELi4EL8MFMAType0EEvPKT_PKT0_S8_ifPKiSA_SA_iPKfiiiPfSD_PS3_PT2_iSC_SC_,"axG",@progbits,_Z39paged_attention_ll4mi_QKV_mfma16_kernelIDF16_DF16_LN4vllm18Fp8KVCacheDataTypeE0EDF16_Li32ELi128ELi256ELb0ELi4EL8MFMAType0EEvPKT_PKT0_S8_ifPKiSA_SA_iPKfiiiPfSD_PS3_PT2_iSC_SC_,comdat
	.protected	_Z39paged_attention_ll4mi_QKV_mfma16_kernelIDF16_DF16_LN4vllm18Fp8KVCacheDataTypeE0EDF16_Li32ELi128ELi256ELb0ELi4EL8MFMAType0EEvPKT_PKT0_S8_ifPKiSA_SA_iPKfiiiPfSD_PS3_PT2_iSC_SC_ ; -- Begin function _Z39paged_attention_ll4mi_QKV_mfma16_kernelIDF16_DF16_LN4vllm18Fp8KVCacheDataTypeE0EDF16_Li32ELi128ELi256ELb0ELi4EL8MFMAType0EEvPKT_PKT0_S8_ifPKiSA_SA_iPKfiiiPfSD_PS3_PT2_iSC_SC_
	.globl	_Z39paged_attention_ll4mi_QKV_mfma16_kernelIDF16_DF16_LN4vllm18Fp8KVCacheDataTypeE0EDF16_Li32ELi128ELi256ELb0ELi4EL8MFMAType0EEvPKT_PKT0_S8_ifPKiSA_SA_iPKfiiiPfSD_PS3_PT2_iSC_SC_
	.p2align	8
	.type	_Z39paged_attention_ll4mi_QKV_mfma16_kernelIDF16_DF16_LN4vllm18Fp8KVCacheDataTypeE0EDF16_Li32ELi128ELi256ELb0ELi4EL8MFMAType0EEvPKT_PKT0_S8_ifPKiSA_SA_iPKfiiiPfSD_PS3_PT2_iSC_SC_,@function
_Z39paged_attention_ll4mi_QKV_mfma16_kernelIDF16_DF16_LN4vllm18Fp8KVCacheDataTypeE0EDF16_Li32ELi128ELi256ELb0ELi4EL8MFMAType0EEvPKT_PKT0_S8_ifPKiSA_SA_iPKfiiiPfSD_PS3_PT2_iSC_SC_: ; @_Z39paged_attention_ll4mi_QKV_mfma16_kernelIDF16_DF16_LN4vllm18Fp8KVCacheDataTypeE0EDF16_Li32ELi128ELi256ELb0ELi4EL8MFMAType0EEvPKT_PKT0_S8_ifPKiSA_SA_iPKfiiiPfSD_PS3_PT2_iSC_SC_
; %bb.0:
	s_mov_b64 s[46:47], s[2:3]
	s_mov_b64 s[44:45], s[0:1]
	s_load_dwordx2 s[0:1], s[4:5], 0x30
	s_add_u32 s44, s44, s9
	s_addc_u32 s45, s45, 0
	s_mov_b32 s28, s7
	s_mov_b64 s[10:11], 0
	s_waitcnt lgkmcnt(0)
	s_cmp_lg_u64 s[0:1], 0
	s_cselect_b64 s[2:3], -1, 0
	s_and_b64 vcc, exec, s[2:3]
	s_cbranch_vccz .LBB191_7
; %bb.1:
	s_add_i32 s12, s6, 1
	s_mov_b32 s13, 0
	s_lshl_b64 s[14:15], s[12:13], 2
	s_add_u32 s14, s0, s14
	s_mov_b32 s7, s13
	s_addc_u32 s15, s1, s15
	s_lshl_b64 s[12:13], s[6:7], 2
	s_add_u32 s12, s0, s12
	s_addc_u32 s13, s1, s13
	s_load_dword s9, s[14:15], 0x0
	s_load_dword s16, s[12:13], 0x0
	s_waitcnt lgkmcnt(0)
	s_sub_i32 s9, s9, s16
	s_cmp_eq_u32 s9, 1
	s_cselect_b64 s[12:13], -1, 0
	s_andn2_b64 vcc, exec, s[10:11]
	s_cbranch_vccnz .LBB191_3
.LBB191_2:
	s_mov_b32 s7, 0
	s_mov_b64 s[12:13], -1
.LBB191_3:
	s_andn2_b64 vcc, exec, s[12:13]
	s_cbranch_vccnz .LBB191_19
; %bb.4:
	s_load_dwordx2 s[12:13], s[4:5], 0x28
	s_lshl_b64 s[10:11], s[6:7], 2
	s_waitcnt lgkmcnt(0)
	s_add_u32 s12, s12, s10
	s_addc_u32 s13, s13, s11
	s_load_dword s33, s[12:13], 0x0
	s_lshl_b32 s20, s28, 8
	s_waitcnt lgkmcnt(0)
	s_cmp_ge_i32 s20, s33
	s_cbranch_scc1 .LBB191_19
; %bb.5:
	s_add_i32 s14, s33, 31
	s_load_dwordx2 s[12:13], s[4:5], 0x20
	s_load_dword s9, s[4:5], 0x38
	s_ashr_i32 s15, s14, 31
	v_and_b32_e32 v1, 0xcf, v0
	s_lshr_b32 s15, s15, 27
	v_add_u32_e32 v1, s20, v1
	s_add_i32 s14, s14, s15
	v_ashrrev_i32_e32 v2, 31, v1
	s_ashr_i32 s23, s14, 5
	v_lshrrev_b32_e32 v6, 27, v2
	s_add_i32 s23, s23, -1
	v_add_u32_e32 v2, v1, v6
	s_waitcnt lgkmcnt(0)
	s_mul_i32 s14, s6, s9
	s_mov_b32 s15, 0
	v_ashrrev_i32_e32 v2, 5, v2
	v_mov_b32_e32 v7, s23
	v_cmp_gt_i32_e32 vcc, s33, v1
	s_lshl_b64 s[14:15], s[14:15], 2
	v_cndmask_b32_e32 v2, v7, v2, vcc
	s_add_u32 s21, s12, s14
	v_ashrrev_i32_e32 v3, 31, v2
	s_addc_u32 s22, s13, s15
	v_lshlrev_b64 v[2:3], 2, v[2:3]
	v_mov_b32_e32 v4, s22
	v_add_co_u32_e32 v2, vcc, s21, v2
	v_addc_co_u32_e32 v3, vcc, v4, v3, vcc
	v_or_b32_e32 v4, 16, v1
	v_add_u32_e32 v5, v4, v6
	v_ashrrev_i32_e32 v5, 5, v5
	v_cmp_gt_i32_e32 vcc, s33, v4
	v_cndmask_b32_e32 v4, v7, v5, vcc
	v_ashrrev_i32_e32 v5, 31, v4
	v_lshlrev_b64 v[4:5], 2, v[4:5]
	v_mov_b32_e32 v9, s22
	v_add_co_u32_e32 v8, vcc, s21, v4
	v_or_b32_e32 v4, 32, v1
	v_addc_co_u32_e32 v9, vcc, v9, v5, vcc
	v_add_u32_e32 v5, v4, v6
	v_ashrrev_i32_e32 v5, 5, v5
	v_cmp_gt_i32_e32 vcc, s33, v4
	v_cndmask_b32_e32 v4, v7, v5, vcc
	v_ashrrev_i32_e32 v5, 31, v4
	v_lshlrev_b64 v[4:5], 2, v[4:5]
	v_mov_b32_e32 v11, s22
	v_add_co_u32_e32 v10, vcc, s21, v4
	v_or_b32_e32 v1, 48, v1
	v_addc_co_u32_e32 v11, vcc, v11, v5, vcc
	v_add_u32_e32 v4, v1, v6
	v_ashrrev_i32_e32 v4, 5, v4
	v_cmp_gt_i32_e32 vcc, s33, v1
	v_cndmask_b32_e32 v4, v7, v4, vcc
	v_ashrrev_i32_e32 v5, 31, v4
	v_lshlrev_b64 v[4:5], 2, v[4:5]
	v_mov_b32_e32 v1, s22
	v_add_co_u32_e32 v12, vcc, s21, v4
	v_addc_co_u32_e32 v13, vcc, v1, v5, vcc
	global_load_dword v6, v[2:3], off
	global_load_dword v4, v[8:9], off
	global_load_dword v25, v[10:11], off
	global_load_dword v24, v[12:13], off
	s_andn2_b64 vcc, exec, s[2:3]
	s_cbranch_vccnz .LBB191_8
; %bb.6:
	s_add_u32 s0, s0, s10
	s_addc_u32 s1, s1, s11
	s_load_dword s9, s[0:1], 0x0
	s_branch .LBB191_9
.LBB191_7:
	s_mov_b64 s[12:13], 0
	s_branch .LBB191_2
.LBB191_8:
	s_mov_b32 s9, s6
.LBB191_9:
	s_load_dwordx4 s[16:19], s[4:5], 0x8
	s_load_dwordx4 s[12:15], s[4:5], 0x48
	v_and_b32_e32 v1, 15, v0
	v_bfe_u32 v86, v0, 4, 2
	s_lshl_b32 s29, s8, 2
	v_lshlrev_b32_e32 v2, 3, v1
	v_cmp_gt_u32_e64 s[0:1], 64, v0
	v_cmp_lt_u32_e32 vcc, 63, v0
	s_and_saveexec_b64 s[2:3], vcc
	s_xor_b64 s[2:3], exec, s[2:3]
; %bb.10:
	v_mov_b32_e32 v3, 0
; %bb.11:
	s_or_saveexec_b64 s[2:3], s[2:3]
	v_or_b32_e32 v5, s29, v86
	v_lshrrev_b32_e32 v87, 6, v0
	v_and_b32_e32 v88, 63, v0
	buffer_store_dword v5, off, s[44:47], 0 ; 4-byte Folded Spill
	v_and_b32_e32 v5, 3, v0
	v_lshlrev_b32_e32 v7, 5, v86
	buffer_store_dword v7, off, s[44:47], 0 offset:4 ; 4-byte Folded Spill
	s_xor_b64 exec, exec, s[2:3]
	s_cbranch_execz .LBB191_13
; %bb.12:
	buffer_load_dword v3, off, s[44:47], 0  ; 4-byte Folded Reload
	s_load_dwordx2 s[10:11], s[4:5], 0x0
	s_waitcnt lgkmcnt(0)
	s_ashr_i32 s15, s12, 31
	s_mul_hi_u32 s24, s9, s12
	s_mul_i32 s15, s9, s15
	s_add_i32 s25, s24, s15
	s_mul_i32 s24, s9, s12
	s_lshl_b64 s[24:25], s[24:25], 1
	s_add_u32 s9, s10, s24
	s_addc_u32 s10, s11, s25
	v_lshlrev_b32_e32 v13, 9, v1
	v_lshlrev_b32_e32 v12, 9, v5
	v_and_b32_e32 v13, 0x1800, v13
	s_waitcnt vmcnt(0)
	v_lshlrev_b32_e32 v8, 7, v3
	v_ashrrev_i32_e32 v9, 31, v8
	v_lshlrev_b64 v[8:9], 1, v[8:9]
	v_mov_b32_e32 v3, s10
	v_add_co_u32_e32 v7, vcc, s9, v8
	v_addc_co_u32_e32 v3, vcc, v3, v9, vcc
	v_lshlrev_b32_e32 v8, 1, v2
	v_add_co_u32_e32 v8, vcc, v7, v8
	v_addc_co_u32_e32 v9, vcc, 0, v3, vcc
	global_load_dwordx4 v[8:11], v[8:9], off
	v_lshlrev_b32_e32 v7, 5, v86
	v_lshl_or_b32 v7, v87, 7, v7
	v_mov_b32_e32 v3, 0
	v_or3_b32 v7, v13, v12, v7
	s_waitcnt vmcnt(0)
	ds_write_b128 v7, v[8:11]
.LBB191_13:
	s_or_b64 exec, exec, s[2:3]
	s_waitcnt lgkmcnt(0)
	s_mul_i32 s8, s8, s14
	s_mov_b32 s9, 0
	s_lshl_b64 s[8:9], s[8:9], 1
	s_add_u32 s3, s16, s8
	s_waitcnt vmcnt(5)
	v_mad_i64_i32 v[6:7], s[14:15], v6, s13, 0
	s_addc_u32 s10, s17, s9
	v_lshlrev_b64 v[6:7], 1, v[6:7]
	v_mov_b32_e32 v8, s10
	v_add_co_u32_e32 v6, vcc, s3, v6
	v_addc_co_u32_e32 v7, vcc, v8, v7, vcc
	v_lshlrev_b64 v[60:61], 1, v[2:3]
	v_add_co_u32_e32 v27, vcc, v6, v60
	v_lshlrev_b32_e32 v26, 9, v86
	v_addc_co_u32_e32 v28, vcc, v7, v61, vcc
	v_add_co_u32_e32 v2, vcc, v27, v26
	v_addc_co_u32_e32 v3, vcc, 0, v28, vcc
	s_load_dword s42, s[4:5], 0x98
	s_load_dword s2, s[4:5], 0x1c
	s_waitcnt lgkmcnt(0)
	s_barrier
	global_load_dwordx4 v[10:13], v[2:3], off
	s_waitcnt vmcnt(5)
	v_mad_i64_i32 v[6:7], s[14:15], v4, s13, 0
	v_lshlrev_b64 v[6:7], 1, v[6:7]
	v_mov_b32_e32 v4, s10
	v_add_co_u32_e32 v6, vcc, s3, v6
	v_addc_co_u32_e32 v4, vcc, v4, v7, vcc
	v_mov_b32_e32 v7, 0x100
	v_lshl_or_b32 v29, v1, 4, v7
	v_add_co_u32_e32 v30, vcc, v6, v29
	v_addc_co_u32_e32 v31, vcc, 0, v4, vcc
	v_add_co_u32_e32 v22, vcc, v30, v26
	v_addc_co_u32_e32 v23, vcc, 0, v31, vcc
	global_load_dwordx4 v[18:21], v[22:23], off
	global_load_dwordx4 v[14:17], v[2:3], off offset:2048
	v_lshl_or_b32 v32, v5, 5, v26
	ds_read_b128 v[6:9], v32
	ds_read_b128 v[2:5], v32 offset:2048
	v_or_b32_e32 v58, 0x1000, v26
	global_load_dwordx4 v[38:41], v[22:23], off offset:2048
	v_add_co_u32_e32 v22, vcc, v27, v58
	v_addc_co_u32_e32 v23, vcc, 0, v28, vcc
	v_or_b32_e32 v62, 0x1800, v26
	s_ashr_i32 s11, s20, 31
	v_and_or_b32 v63, v0, 48, s20
	v_mov_b32_e32 v64, s23
	v_lshl_or_b32 v89, v87, 4, v1
	v_lshlrev_b32_e32 v92, 6, v89
	s_mov_b32 s43, 0xff7fffff
	s_waitcnt vmcnt(3) lgkmcnt(1)
	v_mfma_f32_16x16x16f16 v[34:37], v[10:11], v[6:7], 0
	s_waitcnt vmcnt(2)
	v_mfma_f32_16x16x16f16 v[42:45], v[18:19], v[6:7], 0
	v_mfma_f32_16x16x16f16 v[10:13], v[12:13], v[8:9], v[34:37]
	s_nop 7
	global_load_dwordx4 v[34:37], v[22:23], off
	v_add_co_u32_e32 v22, vcc, v30, v58
	v_addc_co_u32_e32 v23, vcc, 0, v31, vcc
	v_mfma_f32_16x16x16f16 v[18:21], v[20:21], v[8:9], v[42:45]
	global_load_dwordx4 v[46:49], v[22:23], off
	s_waitcnt vmcnt(3) lgkmcnt(0)
	v_mfma_f32_16x16x16f16 v[42:45], v[14:15], v[2:3], v[10:13]
	s_nop 6
	v_add_co_u32_e32 v10, vcc, v27, v62
	v_addc_co_u32_e32 v11, vcc, 0, v28, vcc
	global_load_dwordx4 v[54:57], v[10:11], off
	v_mad_i64_i32 v[10:11], s[14:15], v25, s13, 0
	v_add_co_u32_e32 v30, vcc, v30, v62
	v_lshlrev_b64 v[22:23], 1, v[10:11]
	v_addc_co_u32_e32 v31, vcc, 0, v31, vcc
	v_mov_b32_e32 v25, s10
	v_add_co_u32_e32 v22, vcc, s3, v22
	v_addc_co_u32_e32 v23, vcc, v25, v23, vcc
	ds_read_b128 v[10:13], v32 offset:4096
	ds_read_b128 v[50:53], v32 offset:6144
	global_load_dwordx4 v[30:33], v[30:31], off
	v_add_co_u32_e32 v27, vcc, v22, v60
	buffer_store_dword v60, off, s[44:47], 0 offset:8 ; 4-byte Folded Spill
	s_nop 0
	buffer_store_dword v61, off, s[44:47], 0 offset:12 ; 4-byte Folded Spill
	s_waitcnt vmcnt(6)
	v_mfma_f32_16x16x16f16 v[18:21], v[38:39], v[2:3], v[18:21]
	v_mov_b32_e32 v28, s10
	s_lshr_b32 s10, s11, 27
	v_addc_co_u32_e32 v59, vcc, v23, v61, vcc
	v_add_co_u32_e32 v22, vcc, v27, v26
	v_addc_co_u32_e32 v23, vcc, 0, v59, vcc
	v_mfma_f32_16x16x16f16 v[14:17], v[16:17], v[4:5], v[42:45]
	v_mfma_f32_16x16x16f16 v[18:21], v[40:41], v[4:5], v[18:21]
	global_load_dwordx4 v[38:41], v[22:23], off
	s_nop 4
	global_load_dwordx4 v[42:45], v[22:23], off offset:2048
	v_mad_i64_i32 v[22:23], s[14:15], v24, s13, 0
	s_waitcnt vmcnt(7) lgkmcnt(1)
	v_mfma_f32_16x16x16f16 v[14:17], v[34:35], v[10:11], v[14:17]
	v_lshlrev_b64 v[34:35], 1, v[22:23]
	v_add_co_u32_e32 v22, vcc, v27, v58
	v_addc_co_u32_e32 v23, vcc, 0, v59, vcc
	global_load_dwordx4 v[22:25], v[22:23], off
	v_add_co_u32_e32 v34, vcc, s3, v34
	s_waitcnt vmcnt(7)
	v_mfma_f32_16x16x16f16 v[18:21], v[46:47], v[10:11], v[18:21]
	v_addc_co_u32_e32 v28, vcc, v28, v35, vcc
	v_add_co_u32_e32 v65, vcc, v34, v29
	v_addc_co_u32_e32 v70, vcc, 0, v28, vcc
	v_add_co_u32_e32 v28, vcc, v27, v62
	v_mfma_f32_16x16x16f16 v[14:17], v[36:37], v[12:13], v[14:17]
	v_addc_co_u32_e32 v29, vcc, 0, v59, vcc
	v_add_co_u32_e32 v46, vcc, v65, v26
	v_addc_co_u32_e32 v47, vcc, 0, v70, vcc
	v_add_u32_e32 v35, s10, v63
	v_mfma_f32_16x16x16f16 v[18:21], v[48:49], v[12:13], v[18:21]
	v_add_co_u32_e32 v48, vcc, v65, v58
	v_addc_co_u32_e32 v49, vcc, 0, v70, vcc
	v_ashrrev_i32_e32 v34, 5, v35
	v_cmp_gt_i32_e32 vcc, s33, v63
	v_cndmask_b32_e32 v58, v64, v34, vcc
	s_waitcnt vmcnt(6) lgkmcnt(0)
	v_mfma_f32_16x16x16f16 v[14:17], v[54:55], v[50:51], v[14:17]
	v_ashrrev_i32_e32 v59, 31, v58
	s_add_u32 s3, s18, s8
	s_addc_u32 s8, s19, s9
	s_waitcnt vmcnt(5)
	v_mfma_f32_16x16x16f16 v[18:21], v[30:31], v[50:51], v[18:21]
	v_mov_b32_e32 v31, s22
	v_mfma_f32_16x16x16f16 v[54:57], v[56:57], v[52:53], v[14:17]
	global_load_dwordx4 v[26:29], v[28:29], off
	s_nop 0
	global_load_dwordx4 v[34:37], v[46:47], off
	s_nop 3
	global_load_dwordx4 v[14:17], v[46:47], off offset:2048
	v_lshlrev_b64 v[46:47], 2, v[58:59]
	v_add_co_u32_e32 v30, vcc, s21, v46
	v_addc_co_u32_e32 v31, vcc, v31, v47, vcc
	global_load_dword v46, v[30:31], off
	v_or_b32_e32 v30, 64, v63
	v_mfma_f32_16x16x16f16 v[58:61], v[32:33], v[52:53], v[18:21]
	v_cmp_gt_i32_e32 vcc, s33, v30
	v_mov_b32_e32 v32, s22
	v_mov_b32_e32 v33, s22
	global_load_dwordx4 v[66:69], v[48:49], off
	s_nop 2
	v_add_u32_e32 v18, s10, v30
	v_ashrrev_i32_e32 v18, 5, v18
	v_cndmask_b32_e32 v18, v64, v18, vcc
	v_ashrrev_i32_e32 v19, 31, v18
	v_lshlrev_b64 v[30:31], 2, v[18:19]
	v_add_co_u32_e32 v30, vcc, s21, v30
	v_addc_co_u32_e32 v31, vcc, v32, v31, vcc
	global_load_dword v32, v[30:31], off
	s_waitcnt vmcnt(8)
	v_mfma_f32_16x16x16f16 v[18:21], v[38:39], v[6:7], 0
	v_or_b32_e32 v30, 0x80, v63
	v_add_u32_e32 v31, s10, v30
	v_ashrrev_i32_e32 v31, 5, v31
	v_cmp_gt_i32_e32 vcc, s33, v30
	v_cndmask_b32_e32 v30, v64, v31, vcc
	v_ashrrev_i32_e32 v31, 31, v30
	v_lshlrev_b64 v[30:31], 2, v[30:31]
	v_mfma_f32_16x16x16f16 v[18:21], v[40:41], v[8:9], v[18:21]
	v_add_co_u32_e32 v30, vcc, s21, v30
	v_addc_co_u32_e32 v31, vcc, v33, v31, vcc
	global_load_dword v33, v[30:31], off
	v_or_b32_e32 v30, 0xc0, v63
	v_add_u32_e32 v31, s10, v30
	s_waitcnt vmcnt(8)
	v_mfma_f32_16x16x16f16 v[18:21], v[42:43], v[2:3], v[18:21]
	v_ashrrev_i32_e32 v31, 5, v31
	v_cmp_gt_i32_e32 vcc, s33, v30
	v_cndmask_b32_e32 v30, v64, v31, vcc
	v_ashrrev_i32_e32 v31, 31, v30
	v_lshlrev_b64 v[30:31], 2, v[30:31]
	v_mov_b32_e32 v38, s22
	v_add_co_u32_e32 v30, vcc, s21, v30
	v_mfma_f32_16x16x16f16 v[18:21], v[44:45], v[4:5], v[18:21]
	v_addc_co_u32_e32 v31, vcc, v38, v31, vcc
	global_load_dword v63, v[30:31], off
	s_waitcnt vmcnt(8)
	v_mfma_f32_16x16x16f16 v[18:21], v[22:23], v[10:11], v[18:21]
	v_add_co_u32_e32 v22, vcc, v65, v62
	v_addc_co_u32_e32 v23, vcc, 0, v70, vcc
	global_load_dwordx4 v[70:73], v[22:23], off
	v_and_b32_e32 v22, 16, v0
	v_mov_b32_e32 v23, s8
	v_mfma_f32_16x16x16f16 v[18:21], v[24:25], v[12:13], v[18:21]
	v_lshlrev_b32_e32 v22, 1, v22
	v_add_co_u32_e32 v90, vcc, s3, v22
	v_addc_co_u32_e32 v91, vcc, 0, v23, vcc
	v_add_co_u32_e32 v22, vcc, v90, v92
	s_waitcnt vmcnt(8)
	v_mfma_f32_16x16x16f16 v[18:21], v[26:27], v[50:51], v[18:21]
	v_addc_co_u32_e32 v23, vcc, 0, v91, vcc
	v_mfma_f32_16x16x16f16 v[76:79], v[28:29], v[52:53], v[18:21]
	s_waitcnt vmcnt(5)
	s_nop 7
	v_mad_i64_i32 v[18:19], s[8:9], v46, s13, 0
	v_lshlrev_b64 v[80:81], 1, v[18:19]
	v_mfma_f32_16x16x16f16 v[18:21], v[34:35], v[6:7], 0
	v_add_co_u32_e32 v6, vcc, v22, v80
	v_addc_co_u32_e32 v7, vcc, v23, v81, vcc
	global_load_dwordx4 v[46:49], v[6:7], off
	global_load_dwordx4 v[42:45], v[6:7], off offset:16
	v_pk_mul_f32 v[76:77], s[2:3], v[76:77] op_sel_hi:[0,1]
	v_pk_mul_f32 v[78:79], s[2:3], v[78:79] op_sel_hi:[0,1]
	s_waitcnt vmcnt(5)
	v_mad_i64_i32 v[6:7], s[8:9], v32, s13, 0
	v_lshlrev_b64 v[82:83], 1, v[6:7]
	v_mfma_f32_16x16x16f16 v[6:9], v[36:37], v[8:9], v[18:21]
	v_mfma_f32_16x16x16f16 v[6:9], v[14:15], v[2:3], v[6:9]
	s_nop 5
	v_add_co_u32_e32 v18, vcc, v22, v82
	v_addc_co_u32_e32 v19, vcc, v23, v83, vcc
	global_load_dwordx4 v[38:41], v[18:19], off
	global_load_dwordx4 v[34:37], v[18:19], off offset:16
	s_waitcnt vmcnt(6)
	v_mad_i64_i32 v[18:19], s[8:9], v33, s13, 0
	v_lshlrev_b64 v[64:65], 1, v[18:19]
	v_add_co_u32_e32 v2, vcc, v22, v64
	v_addc_co_u32_e32 v3, vcc, v23, v65, vcc
	global_load_dwordx4 v[30:33], v[2:3], off
	global_load_dwordx4 v[26:29], v[2:3], off offset:16
	v_mfma_f32_16x16x16f16 v[2:5], v[16:17], v[4:5], v[6:9]
	v_mfma_f32_16x16x16f16 v[2:5], v[66:67], v[10:11], v[2:5]
	s_waitcnt vmcnt(7)
	s_nop 4
	v_mad_i64_i32 v[6:7], s[8:9], v63, s13, 0
	v_lshlrev_b64 v[62:63], 1, v[6:7]
	v_add_co_u32_e32 v6, vcc, v22, v62
	v_addc_co_u32_e32 v7, vcc, v23, v63, vcc
	v_mfma_f32_16x16x16f16 v[10:13], v[68:69], v[12:13], v[2:5]
	global_load_dwordx4 v[22:25], v[6:7], off
	global_load_dwordx4 v[18:21], v[6:7], off offset:16
	v_or_b32_e32 v6, 0x1000, v92
	v_add_co_u32_e32 v94, vcc, v90, v6
	v_addc_co_u32_e32 v95, vcc, 0, v91, vcc
	s_nop 1
	v_add_co_u32_e32 v2, vcc, v94, v80
	s_waitcnt vmcnt(8)
	v_mfma_f32_16x16x16f16 v[90:93], v[70:71], v[50:51], v[10:13]
	v_addc_co_u32_e32 v3, vcc, v95, v81, vcc
	v_add_co_u32_e32 v66, vcc, v94, v82
	v_addc_co_u32_e32 v67, vcc, v95, v83, vcc
	global_load_dwordx4 v[6:9], v[2:3], off
	s_nop 0
	global_load_dwordx4 v[2:5], v[2:3], off offset:16
	v_mfma_f32_16x16x16f16 v[50:53], v[72:73], v[52:53], v[90:93]
	global_load_dwordx4 v[14:17], v[66:67], off
	global_load_dwordx4 v[10:13], v[66:67], off offset:16
	v_pk_mul_f32 v[68:69], s[2:3], v[54:55] op_sel_hi:[0,1]
	v_pk_mul_f32 v[80:81], s[2:3], v[56:57] op_sel_hi:[0,1]
	;; [unrolled: 1-line block ×4, first 2 shown]
	s_nop 4
	v_pk_mul_f32 v[72:73], s[2:3], v[50:51] op_sel_hi:[0,1]
	v_and_b32_e32 v50, 0xc0, v0
	v_add_u32_e32 v50, s20, v50
	v_lshl_or_b32 v50, v86, 2, v50
	v_pk_mul_f32 v[66:67], s[2:3], v[52:53] op_sel_hi:[0,1]
	v_or_b32_e32 v53, 1, v50
	v_mov_b32_e32 v51, 0xff7fffff
	v_cmp_gt_i32_e64 s[30:31], s33, v50
	v_cmp_gt_i32_e64 s[34:35], s33, v53
	v_cndmask_b32_e64 v52, v51, v68, s[30:31]
	v_cndmask_b32_e64 v53, v51, v69, s[34:35]
	v_max3_f32 v52, v52, s43, v53
	v_or_b32_e32 v53, 2, v50
	v_or_b32_e32 v54, 3, v50
	v_cmp_gt_i32_e64 s[36:37], s33, v53
	v_cmp_gt_i32_e64 s[38:39], s33, v54
	v_cndmask_b32_e64 v53, v51, v80, s[36:37]
	v_cndmask_b32_e64 v54, v51, v81, s[38:39]
	v_max3_f32 v52, v52, v53, v54
	v_or_b32_e32 v53, 16, v50
	v_or_b32_e32 v54, 17, v50
	;; [unrolled: 7-line block ×7, first 2 shown]
	v_cmp_gt_i32_e32 vcc, s33, v53
	v_cmp_gt_i32_e64 s[2:3], s33, v50
	v_cndmask_b32_e32 v53, v51, v66, vcc
	v_cndmask_b32_e64 v50, v51, v67, s[2:3]
	v_max3_f32 v58, v52, v53, v50
	v_mbcnt_lo_u32_b32 v50, -1, 0
	v_mbcnt_hi_u32_b32 v59, -1, v50
	v_and_b32_e32 v50, 64, v59
	v_add_u32_e32 v60, 64, v50
	v_xor_b32_e32 v50, 32, v59
	v_cmp_lt_i32_e64 s[40:41], v50, v60
	v_cndmask_b32_e64 v50, v59, v50, s[40:41]
	v_lshlrev_b32_e32 v91, 2, v50
	ds_bpermute_b32 v61, v91, v58
	v_add_co_u32_e64 v50, s[40:41], v94, v64
	v_addc_co_u32_e64 v51, s[40:41], v95, v65, s[40:41]
	s_waitcnt lgkmcnt(0)
	v_max_f32_e32 v61, v61, v61
	v_max_f32_e32 v61, v58, v61
	v_xor_b32_e32 v58, 16, v59
	v_cmp_lt_i32_e64 s[40:41], v58, v60
	v_cndmask_b32_e64 v58, v59, v58, s[40:41]
	v_lshlrev_b32_e32 v92, 2, v58
	ds_bpermute_b32 v60, v92, v61
	v_add_co_u32_e64 v58, s[40:41], v94, v62
	v_addc_co_u32_e64 v59, s[40:41], v95, v63, s[40:41]
	s_waitcnt lgkmcnt(0)
	v_max_f32_e32 v60, v60, v60
	v_max_f32_e32 v90, v61, v60
	v_sub_f32_e32 v60, v68, v90
	v_mul_f32_e32 v60, 0x3fb8aa3b, v60
	v_exp_f32_e32 v68, v60
	v_sub_f32_e32 v60, v69, v90
	v_mul_f32_e32 v60, 0x3fb8aa3b, v60
	global_load_dwordx4 v[54:57], v[50:51], off
	s_nop 0
	global_load_dwordx4 v[50:53], v[50:51], off offset:16
	v_exp_f32_e32 v69, v60
	global_load_dwordx4 v[62:65], v[58:59], off
	s_nop 0
	global_load_dwordx4 v[58:61], v[58:59], off offset:16
	v_sub_f32_e32 v80, v80, v90
	v_mul_f32_e32 v80, 0x3fb8aa3b, v80
	v_sub_f32_e32 v81, v81, v90
	v_exp_f32_e32 v80, v80
	v_mul_f32_e32 v81, 0x3fb8aa3b, v81
	v_sub_f32_e32 v70, v70, v90
	v_exp_f32_e32 v81, v81
	v_mul_f32_e32 v70, 0x3fb8aa3b, v70
	v_sub_f32_e32 v71, v71, v90
	v_cndmask_b32_e64 v68, 0, v68, s[30:31]
	v_exp_f32_e32 v70, v70
	v_mul_f32_e32 v71, 0x3fb8aa3b, v71
	v_sub_f32_e32 v82, v82, v90
	v_add_f32_e32 v93, 0, v68
	v_cndmask_b32_e64 v69, 0, v69, s[34:35]
	v_exp_f32_e32 v71, v71
	v_mul_f32_e32 v82, 0x3fb8aa3b, v82
	v_sub_f32_e32 v83, v83, v90
	v_add_f32_e32 v93, v93, v69
	;; [unrolled: 5-line block ×10, first 2 shown]
	v_cndmask_b32_e64 v78, 0, v78, s[12:13]
	v_exp_f32_e32 v66, v66
	v_mul_f32_e32 v67, 0x3fb8aa3b, v67
	v_add_f32_e32 v93, v93, v78
	v_cndmask_b32_e64 v79, 0, v79, s[14:15]
	v_exp_f32_e32 v67, v67
	v_add_f32_e32 v93, v93, v79
	v_cndmask_b32_e64 v72, 0, v72, s[8:9]
	v_add_f32_e32 v93, v93, v72
	v_cndmask_b32_e64 v73, 0, v73, s[10:11]
	v_add_f32_e32 v93, v93, v73
	v_cndmask_b32_e32 v66, 0, v66, vcc
	v_add_f32_e32 v93, v93, v66
	v_cndmask_b32_e64 v67, 0, v67, s[2:3]
	v_add_f32_e32 v93, v93, v67
	ds_bpermute_b32 v91, v91, v93
	v_cmp_gt_u32_e32 vcc, 16, v88
	s_waitcnt lgkmcnt(0)
	s_barrier
	v_add_f32_e32 v91, v93, v91
	ds_bpermute_b32 v92, v92, v91
	s_and_saveexec_b64 s[2:3], vcc
	s_cbranch_execz .LBB191_15
; %bb.14:
	s_waitcnt lgkmcnt(0)
	v_add_f32_e32 v88, v91, v92
	v_lshlrev_b32_e32 v89, 2, v89
	ds_write2st64_b32 v89, v90, v88 offset1:1
.LBB191_15:
	s_or_b64 exec, exec, s[2:3]
	v_lshlrev_b32_e32 v89, 2, v1
	s_load_dword s8, s[4:5], 0x94
	s_waitcnt lgkmcnt(0)
	s_barrier
	ds_read2_b32 v[90:91], v89 offset1:16
	ds_read2_b32 v[92:93], v89 offset0:32 offset1:48
	ds_read2_b32 v[94:95], v89 offset0:64 offset1:80
	s_lshl_b32 s9, s42, 2
	s_waitcnt lgkmcnt(2)
	v_max3_f32 v88, v90, s43, v91
	s_waitcnt lgkmcnt(1)
	v_max3_f32 v88, v88, v92, v93
	v_sub_f32_e32 v90, v90, v88
	v_mul_f32_e32 v90, 0x3fb8aa3b, v90
	v_exp_f32_e32 v84, v90
	v_sub_f32_e32 v90, v91, v88
	v_mul_f32_e32 v90, 0x3fb8aa3b, v90
	v_exp_f32_e32 v85, v90
	v_sub_f32_e32 v90, v92, v88
	v_mul_f32_e32 v90, 0x3fb8aa3b, v90
	v_exp_f32_e32 v92, v90
	ds_read2_b32 v[90:91], v89 offset0:96 offset1:112
	v_sub_f32_e32 v89, v93, v88
	v_mul_f32_e32 v89, 0x3fb8aa3b, v89
	v_exp_f32_e32 v93, v89
	s_waitcnt lgkmcnt(1)
	v_fma_f32 v89, v84, v94, 0
	v_fmac_f32_e32 v89, v85, v95
	s_waitcnt lgkmcnt(0)
	v_fmac_f32_e32 v89, v92, v90
	v_fmac_f32_e32 v89, v93, v91
	v_add_f32_e32 v90, 0x358637bd, v89
	v_div_scale_f32 v91, s[2:3], v90, v90, 1.0
	v_rcp_f32_e32 v94, v91
	s_barrier
	v_fma_f32 v95, -v91, v94, 1.0
	v_fmac_f32_e32 v94, v95, v94
	v_div_scale_f32 v95, vcc, 1.0, v90, 1.0
	v_mul_f32_e32 v74, v95, v94
	v_fma_f32 v75, -v91, v74, v95
	v_fmac_f32_e32 v74, v75, v94
	v_fma_f32 v75, -v91, v74, v95
	v_div_fmas_f32 v74, v75, v94, v74
	v_cmp_eq_u32_e32 vcc, 1, v87
	v_cndmask_b32_e32 v75, v84, v85, vcc
	v_cmp_eq_u32_e32 vcc, 2, v87
	v_cndmask_b32_e32 v75, v75, v92, vcc
	v_cmp_eq_u32_e32 vcc, 3, v87
	v_div_fixup_f32 v74, v74, v90, 1.0
	v_cndmask_b32_e32 v75, v75, v93, vcc
	v_mul_f32_e32 v90, v75, v74
	v_pk_mul_f32 v[80:81], v[90:91], v[80:81] op_sel_hi:[0,1]
	v_cvt_f16_f32_e32 v74, v80
	v_cvt_f16_f32_e32 v75, v81
	v_pk_mul_f32 v[68:69], v[90:91], v[68:69] op_sel_hi:[0,1]
	v_cvt_f16_f32_e32 v68, v68
	v_cvt_f16_f32_e32 v69, v69
	v_pk_mul_f32 v[80:81], v[90:91], v[82:83] op_sel_hi:[0,1]
	v_pk_mul_f32 v[70:71], v[90:91], v[70:71] op_sel_hi:[0,1]
	v_pack_b32_f16 v93, v74, v75
	v_cvt_f16_f32_e32 v70, v70
	v_cvt_f16_f32_e32 v71, v71
	;; [unrolled: 1-line block ×4, first 2 shown]
	v_pack_b32_f16 v92, v68, v69
	v_lshlrev_b32_e32 v69, 3, v86
	v_lshlrev_b32_e32 v68, 5, v1
	;; [unrolled: 1-line block ×3, first 2 shown]
	v_or3_b32 v80, v80, v68, v69
	v_pack_b32_f16 v70, v70, v71
	v_pack_b32_f16 v71, v74, v75
	ds_write2st64_b64 v80, v[92:93], v[70:71] offset1:1
	v_pk_mul_f32 v[70:71], v[90:91], v[78:79] op_sel_hi:[0,1]
	v_pk_mul_f32 v[76:77], v[90:91], v[76:77] op_sel_hi:[0,1]
	v_cvt_f16_f32_e32 v69, v76
	v_cvt_f16_f32_e32 v75, v70
	;; [unrolled: 1-line block ×3, first 2 shown]
	v_pk_mul_f32 v[66:67], v[90:91], v[66:67] op_sel_hi:[0,1]
	v_pk_mul_f32 v[70:71], v[90:91], v[72:73] op_sel_hi:[0,1]
	v_cvt_f16_f32_e32 v74, v77
	v_cvt_f16_f32_e32 v70, v70
	;; [unrolled: 1-line block ×5, first 2 shown]
	v_pack_b32_f16 v66, v69, v74
	v_pack_b32_f16 v67, v75, v76
	;; [unrolled: 1-line block ×4, first 2 shown]
	v_cmp_gt_u32_e32 vcc, 4, v0
	ds_write2st64_b64 v80, v[66:67], v[70:71] offset0:2 offset1:3
	s_and_saveexec_b64 s[2:3], vcc
	s_cbranch_execz .LBB191_17
; %bb.16:
	v_or_b32_e32 v66, s29, v0
	v_mov_b32_e32 v67, 0
	v_mov_b32_e32 v69, s9
	v_mad_u64_u32 v[70:71], s[10:11], s6, v69, v[66:67]
	v_mov_b32_e32 v66, s28
	s_load_dwordx4 s[12:15], s[4:5], 0x58
	s_mul_i32 s7, s7, s9
	v_mad_u64_u32 v[66:67], s[10:11], v70, s8, v[66:67]
	v_add_u32_e32 v69, s7, v71
	v_mov_b32_e32 v70, v67
	v_mad_u64_u32 v[70:71], s[10:11], v69, s8, v[70:71]
	v_mov_b32_e32 v67, v70
	v_lshlrev_b64 v[66:67], 2, v[66:67]
	s_waitcnt lgkmcnt(0)
	v_mov_b32_e32 v69, s15
	v_add_co_u32_e32 v70, vcc, s14, v66
	v_addc_co_u32_e32 v71, vcc, v69, v67, vcc
	v_mov_b32_e32 v69, s13
	v_add_co_u32_e32 v66, vcc, s12, v66
	v_addc_co_u32_e32 v67, vcc, v69, v67, vcc
	global_store_dword v[70:71], v88, off
	global_store_dword v[66:67], v89, off
.LBB191_17:
	s_or_b64 exec, exec, s[2:3]
	v_lshl_or_b32 v74, v86, 9, v68
	s_waitcnt lgkmcnt(0)
	s_barrier
	ds_read_b128 v[70:73], v74
	ds_read_b128 v[66:69], v74 offset:16
	s_waitcnt vmcnt(15) lgkmcnt(1)
	v_mfma_f32_16x16x16f16 v[76:79], v[46:47], v[70:71], 0
	s_mov_b32 s3, 0
	v_mfma_f32_16x16x16f16 v[46:49], v[48:49], v[72:73], v[76:79]
	s_waitcnt vmcnt(14) lgkmcnt(0)
	v_mfma_f32_16x16x16f16 v[46:49], v[42:43], v[66:67], v[46:49]
	v_mfma_f32_16x16x16f16 v[42:45], v[44:45], v[68:69], v[46:49]
	s_nop 7
	s_nop 1
	ds_read_b128 v[46:49], v74 offset:2048
	ds_read_b128 v[76:79], v74 offset:2064
	s_waitcnt vmcnt(13) lgkmcnt(1)
	v_mfma_f32_16x16x16f16 v[42:45], v[38:39], v[46:47], v[42:45]
	v_mfma_f32_16x16x16f16 v[38:41], v[40:41], v[48:49], v[42:45]
	s_waitcnt vmcnt(12) lgkmcnt(0)
	v_mfma_f32_16x16x16f16 v[38:41], v[34:35], v[76:77], v[38:41]
	v_mfma_f32_16x16x16f16 v[34:37], v[36:37], v[78:79], v[38:41]
	s_nop 7
	s_nop 1
	ds_read_b128 v[38:41], v74 offset:4096
	ds_read_b128 v[42:45], v74 offset:4112
	s_waitcnt vmcnt(11) lgkmcnt(1)
	v_mfma_f32_16x16x16f16 v[34:37], v[30:31], v[38:39], v[34:37]
	v_mfma_f32_16x16x16f16 v[30:33], v[32:33], v[40:41], v[34:37]
	s_waitcnt vmcnt(10) lgkmcnt(0)
	v_mfma_f32_16x16x16f16 v[30:33], v[26:27], v[42:43], v[30:33]
	v_mfma_f32_16x16x16f16 v[26:29], v[28:29], v[44:45], v[30:33]
	s_nop 7
	s_nop 1
	ds_read_b128 v[30:33], v74 offset:6144
	ds_read_b128 v[34:37], v74 offset:6160
	s_waitcnt lgkmcnt(0)
	s_barrier
	s_waitcnt vmcnt(9)
	v_mfma_f32_16x16x16f16 v[26:29], v[22:23], v[30:31], v[26:29]
	v_mfma_f32_16x16x16f16 v[22:25], v[24:25], v[32:33], v[26:29]
	s_waitcnt vmcnt(8)
	v_mfma_f32_16x16x16f16 v[22:25], v[18:19], v[34:35], v[22:25]
	v_mfma_f32_16x16x16f16 v[18:21], v[20:21], v[36:37], v[22:25]
	;; [unrolled: 3-line block ×4, first 2 shown]
	s_waitcnt vmcnt(5)
	v_mfma_f32_16x16x16f16 v[2:5], v[14:15], v[46:47], v[2:5]
	s_nop 7
	v_cvt_f16_f32_e32 v6, v18
	v_cvt_f16_f32_e32 v7, v19
	v_cvt_f16_f32_e32 v8, v20
	v_cvt_f16_f32_e32 v9, v21
	v_mfma_f32_16x16x16f16 v[2:5], v[16:17], v[48:49], v[2:5]
	s_waitcnt vmcnt(4)
	v_mfma_f32_16x16x16f16 v[2:5], v[10:11], v[76:77], v[2:5]
	v_mfma_f32_16x16x16f16 v[2:5], v[12:13], v[78:79], v[2:5]
	s_waitcnt vmcnt(3)
	v_mfma_f32_16x16x16f16 v[2:5], v[54:55], v[38:39], v[2:5]
	;; [unrolled: 3-line block ×5, first 2 shown]
	v_mfma_f32_16x16x16f16 v[2:5], v[60:61], v[36:37], v[2:5]
	s_nop 7
	s_nop 2
	v_cvt_f16_f32_e32 v10, v2
	v_cvt_f16_f32_e32 v11, v3
	;; [unrolled: 1-line block ×4, first 2 shown]
	v_pack_b32_f16 v2, v6, v7
	v_pack_b32_f16 v3, v8, v9
	;; [unrolled: 1-line block ×4, first 2 shown]
	ds_write2st64_b64 v80, v[2:3], v[4:5] offset1:1
	s_waitcnt lgkmcnt(0)
	s_barrier
	s_and_saveexec_b64 s[10:11], s[0:1]
	s_cbranch_execz .LBB191_19
; %bb.18:
	v_lshlrev_b32_e32 v1, 6, v1
	v_lshlrev_b32_e32 v2, 4, v0
	v_lshl_or_b32 v0, v0, 10, v1
	buffer_load_dword v1, off, s[44:47], 0 offset:4 ; 4-byte Folded Reload
	buffer_load_dword v4, off, s[44:47], 0  ; 4-byte Folded Reload
	s_load_dwordx2 s[0:1], s[4:5], 0x68
	s_lshl_b32 s7, s8, 7
	s_mul_i32 s2, s9, s6
	s_mul_hi_u32 s5, s2, s7
	s_mul_i32 s4, s2, s7
	s_lshl_b64 s[4:5], s[4:5], 1
	s_waitcnt lgkmcnt(0)
	s_add_u32 s4, s0, s4
	s_addc_u32 s5, s1, s5
	s_lshl_b32 s2, s28, 7
	s_lshl_b64 s[0:1], s[2:3], 1
	s_add_u32 s2, s4, s0
	s_addc_u32 s3, s5, s1
	v_and_b32_e32 v2, 16, v2
	v_and_b32_e32 v0, 0x1a00, v0
	v_mov_b32_e32 v6, s3
	s_waitcnt vmcnt(1)
	v_or3_b32 v0, v0, v1, v2
	s_waitcnt vmcnt(0)
	v_mad_u64_u32 v[4:5], s[0:1], s7, v4, 0
	v_lshlrev_b64 v[4:5], 1, v[4:5]
	v_add_co_u32_e32 v4, vcc, s2, v4
	ds_read_b128 v[0:3], v0
	v_addc_co_u32_e32 v5, vcc, v6, v5, vcc
	buffer_load_dword v6, off, s[44:47], 0 offset:8 ; 4-byte Folded Reload
	buffer_load_dword v7, off, s[44:47], 0 offset:12 ; 4-byte Folded Reload
	s_waitcnt vmcnt(1)
	v_add_co_u32_e32 v4, vcc, v4, v6
	s_waitcnt vmcnt(0)
	v_addc_co_u32_e32 v5, vcc, v5, v7, vcc
	s_waitcnt lgkmcnt(0)
	global_store_dwordx4 v[4:5], v[0:3], off
.LBB191_19:
	s_endpgm
	.section	.rodata,"a",@progbits
	.p2align	6, 0x0
	.amdhsa_kernel _Z39paged_attention_ll4mi_QKV_mfma16_kernelIDF16_DF16_LN4vllm18Fp8KVCacheDataTypeE0EDF16_Li32ELi128ELi256ELb0ELi4EL8MFMAType0EEvPKT_PKT0_S8_ifPKiSA_SA_iPKfiiiPfSD_PS3_PT2_iSC_SC_
		.amdhsa_group_segment_fixed_size 8192
		.amdhsa_private_segment_fixed_size 20
		.amdhsa_kernarg_size 400
		.amdhsa_user_sgpr_count 6
		.amdhsa_user_sgpr_private_segment_buffer 1
		.amdhsa_user_sgpr_dispatch_ptr 0
		.amdhsa_user_sgpr_queue_ptr 0
		.amdhsa_user_sgpr_kernarg_segment_ptr 1
		.amdhsa_user_sgpr_dispatch_id 0
		.amdhsa_user_sgpr_flat_scratch_init 0
		.amdhsa_user_sgpr_kernarg_preload_length 0
		.amdhsa_user_sgpr_kernarg_preload_offset 0
		.amdhsa_user_sgpr_private_segment_size 0
		.amdhsa_uses_dynamic_stack 0
		.amdhsa_system_sgpr_private_segment_wavefront_offset 1
		.amdhsa_system_sgpr_workgroup_id_x 1
		.amdhsa_system_sgpr_workgroup_id_y 1
		.amdhsa_system_sgpr_workgroup_id_z 1
		.amdhsa_system_sgpr_workgroup_info 0
		.amdhsa_system_vgpr_workitem_id 0
		.amdhsa_next_free_vgpr 96
		.amdhsa_next_free_sgpr 48
		.amdhsa_accum_offset 96
		.amdhsa_reserve_vcc 1
		.amdhsa_reserve_flat_scratch 0
		.amdhsa_float_round_mode_32 0
		.amdhsa_float_round_mode_16_64 0
		.amdhsa_float_denorm_mode_32 3
		.amdhsa_float_denorm_mode_16_64 3
		.amdhsa_dx10_clamp 1
		.amdhsa_ieee_mode 1
		.amdhsa_fp16_overflow 0
		.amdhsa_tg_split 0
		.amdhsa_exception_fp_ieee_invalid_op 0
		.amdhsa_exception_fp_denorm_src 0
		.amdhsa_exception_fp_ieee_div_zero 0
		.amdhsa_exception_fp_ieee_overflow 0
		.amdhsa_exception_fp_ieee_underflow 0
		.amdhsa_exception_fp_ieee_inexact 0
		.amdhsa_exception_int_div_zero 0
	.end_amdhsa_kernel
	.section	.text._Z39paged_attention_ll4mi_QKV_mfma16_kernelIDF16_DF16_LN4vllm18Fp8KVCacheDataTypeE0EDF16_Li32ELi128ELi256ELb0ELi4EL8MFMAType0EEvPKT_PKT0_S8_ifPKiSA_SA_iPKfiiiPfSD_PS3_PT2_iSC_SC_,"axG",@progbits,_Z39paged_attention_ll4mi_QKV_mfma16_kernelIDF16_DF16_LN4vllm18Fp8KVCacheDataTypeE0EDF16_Li32ELi128ELi256ELb0ELi4EL8MFMAType0EEvPKT_PKT0_S8_ifPKiSA_SA_iPKfiiiPfSD_PS3_PT2_iSC_SC_,comdat
.Lfunc_end191:
	.size	_Z39paged_attention_ll4mi_QKV_mfma16_kernelIDF16_DF16_LN4vllm18Fp8KVCacheDataTypeE0EDF16_Li32ELi128ELi256ELb0ELi4EL8MFMAType0EEvPKT_PKT0_S8_ifPKiSA_SA_iPKfiiiPfSD_PS3_PT2_iSC_SC_, .Lfunc_end191-_Z39paged_attention_ll4mi_QKV_mfma16_kernelIDF16_DF16_LN4vllm18Fp8KVCacheDataTypeE0EDF16_Li32ELi128ELi256ELb0ELi4EL8MFMAType0EEvPKT_PKT0_S8_ifPKiSA_SA_iPKfiiiPfSD_PS3_PT2_iSC_SC_
                                        ; -- End function
	.section	.AMDGPU.csdata,"",@progbits
; Kernel info:
; codeLenInByte = 4740
; NumSgprs: 52
; NumVgprs: 96
; NumAgprs: 0
; TotalNumVgprs: 96
; ScratchSize: 20
; MemoryBound: 0
; FloatMode: 240
; IeeeMode: 1
; LDSByteSize: 8192 bytes/workgroup (compile time only)
; SGPRBlocks: 6
; VGPRBlocks: 11
; NumSGPRsForWavesPerEU: 52
; NumVGPRsForWavesPerEU: 96
; AccumOffset: 96
; Occupancy: 5
; WaveLimiterHint : 1
; COMPUTE_PGM_RSRC2:SCRATCH_EN: 1
; COMPUTE_PGM_RSRC2:USER_SGPR: 6
; COMPUTE_PGM_RSRC2:TRAP_HANDLER: 0
; COMPUTE_PGM_RSRC2:TGID_X_EN: 1
; COMPUTE_PGM_RSRC2:TGID_Y_EN: 1
; COMPUTE_PGM_RSRC2:TGID_Z_EN: 1
; COMPUTE_PGM_RSRC2:TIDIG_COMP_CNT: 0
; COMPUTE_PGM_RSRC3_GFX90A:ACCUM_OFFSET: 23
; COMPUTE_PGM_RSRC3_GFX90A:TG_SPLIT: 0
	.section	.text._Z38paged_attention_ll4mi_QKV_mfma4_kernelI14__hip_bfloat16S0_LN4vllm18Fp8KVCacheDataTypeE0ES0_Li16ELi64ELi256ELb1ELi1EEvPKT_PKT0_S8_ifPKiSA_SA_iPKfiiiPfSD_PS3_PT2_iSC_SC_,"axG",@progbits,_Z38paged_attention_ll4mi_QKV_mfma4_kernelI14__hip_bfloat16S0_LN4vllm18Fp8KVCacheDataTypeE0ES0_Li16ELi64ELi256ELb1ELi1EEvPKT_PKT0_S8_ifPKiSA_SA_iPKfiiiPfSD_PS3_PT2_iSC_SC_,comdat
	.protected	_Z38paged_attention_ll4mi_QKV_mfma4_kernelI14__hip_bfloat16S0_LN4vllm18Fp8KVCacheDataTypeE0ES0_Li16ELi64ELi256ELb1ELi1EEvPKT_PKT0_S8_ifPKiSA_SA_iPKfiiiPfSD_PS3_PT2_iSC_SC_ ; -- Begin function _Z38paged_attention_ll4mi_QKV_mfma4_kernelI14__hip_bfloat16S0_LN4vllm18Fp8KVCacheDataTypeE0ES0_Li16ELi64ELi256ELb1ELi1EEvPKT_PKT0_S8_ifPKiSA_SA_iPKfiiiPfSD_PS3_PT2_iSC_SC_
	.globl	_Z38paged_attention_ll4mi_QKV_mfma4_kernelI14__hip_bfloat16S0_LN4vllm18Fp8KVCacheDataTypeE0ES0_Li16ELi64ELi256ELb1ELi1EEvPKT_PKT0_S8_ifPKiSA_SA_iPKfiiiPfSD_PS3_PT2_iSC_SC_
	.p2align	8
	.type	_Z38paged_attention_ll4mi_QKV_mfma4_kernelI14__hip_bfloat16S0_LN4vllm18Fp8KVCacheDataTypeE0ES0_Li16ELi64ELi256ELb1ELi1EEvPKT_PKT0_S8_ifPKiSA_SA_iPKfiiiPfSD_PS3_PT2_iSC_SC_,@function
_Z38paged_attention_ll4mi_QKV_mfma4_kernelI14__hip_bfloat16S0_LN4vllm18Fp8KVCacheDataTypeE0ES0_Li16ELi64ELi256ELb1ELi1EEvPKT_PKT0_S8_ifPKiSA_SA_iPKfiiiPfSD_PS3_PT2_iSC_SC_: ; @_Z38paged_attention_ll4mi_QKV_mfma4_kernelI14__hip_bfloat16S0_LN4vllm18Fp8KVCacheDataTypeE0ES0_Li16ELi64ELi256ELb1ELi1EEvPKT_PKT0_S8_ifPKiSA_SA_iPKfiiiPfSD_PS3_PT2_iSC_SC_
; %bb.0:
	s_load_dwordx2 s[2:3], s[4:5], 0x30
	s_mov_b32 s20, s7
	s_mov_b64 s[0:1], 0
	s_waitcnt lgkmcnt(0)
	s_cmp_lg_u64 s[2:3], 0
	s_cselect_b64 s[10:11], -1, 0
	s_and_b64 vcc, exec, s[10:11]
	s_cbranch_vccz .LBB192_10
; %bb.1:
	s_add_i32 s12, s6, 1
	s_mov_b32 s13, 0
	s_lshl_b64 s[14:15], s[12:13], 2
	s_add_u32 s14, s2, s14
	s_mov_b32 s7, s13
	s_addc_u32 s15, s3, s15
	s_lshl_b64 s[12:13], s[6:7], 2
	s_add_u32 s12, s2, s12
	s_addc_u32 s13, s3, s13
	s_load_dword s9, s[14:15], 0x0
	s_load_dword s16, s[12:13], 0x0
	s_waitcnt lgkmcnt(0)
	s_sub_i32 s9, s9, s16
	s_cmp_eq_u32 s9, 1
	s_cselect_b64 s[12:13], -1, 0
	s_andn2_b64 vcc, exec, s[0:1]
	s_cbranch_vccnz .LBB192_3
.LBB192_2:
	s_mov_b32 s7, 0
	s_mov_b64 s[12:13], -1
.LBB192_3:
	s_andn2_b64 vcc, exec, s[12:13]
	s_cbranch_vccnz .LBB192_25
; %bb.4:
	s_load_dword s9, s[4:5], 0x9c
	s_load_dwordx2 s[0:1], s[4:5], 0x28
	s_add_u32 s24, s4, 0x90
	s_addc_u32 s25, s5, 0
	s_lshl_b64 s[16:17], s[6:7], 2
	s_waitcnt lgkmcnt(0)
	s_and_b32 s9, s9, 0xffff
	s_add_u32 s0, s0, s16
	s_addc_u32 s1, s1, s17
	s_load_dword s21, s[0:1], 0x0
	s_mul_i32 s9, s20, s9
	s_waitcnt lgkmcnt(0)
	s_cmp_ge_i32 s9, s21
	s_cbranch_scc1 .LBB192_25
; %bb.5:
	v_and_b32_e32 v2, 0xc0, v0
	v_add_u32_e32 v2, s9, v2
	v_lshrrev_b32_e32 v1, 6, v0
	v_cmp_gt_i32_e64 s[0:1], s21, v2
	v_cmp_le_i32_e32 vcc, s21, v2
                                        ; implicit-def: $sgpr19
                                        ; implicit-def: $sgpr18
	s_and_saveexec_b64 s[12:13], vcc
	s_xor_b64 s[12:13], exec, s[12:13]
	s_cbranch_execz .LBB192_7
; %bb.6:
	v_mul_u32_u24_e32 v2, 20, v1
	v_or_b32_e32 v2, 0xa00, v2
	v_mov_b32_e32 v3, 0xa50
	v_mov_b32_e32 v4, 0xff7fffff
	v_mad_u32_u24 v3, v1, 20, v3
	ds_write2_b32 v2, v4, v4 offset1:1
	v_mov_b32_e32 v2, 0
	ds_write2_b32 v3, v2, v2 offset1:1
	v_mov_b32_e32 v3, 0xa08
	s_mov_b32 s18, 0xff7fffff
	s_mov_b32 s19, 0
	v_mad_u32_u24 v3, v1, 20, v3
	v_mov_b32_e32 v5, 0xa58
	v_mad_u32_u24 v5, v1, 20, v5
	ds_write2_b32 v3, v4, v4 offset1:1
	ds_write2_b32 v5, v2, v2 offset1:1
                                        ; implicit-def: $vgpr2
.LBB192_7:
	s_or_saveexec_b64 s[26:27], s[12:13]
	s_load_dwordx2 s[22:23], s[4:5], 0x68
	s_load_dwordx4 s[12:15], s[4:5], 0x58
	s_load_dword s7, s[24:25], 0x4
	v_and_b32_e32 v54, 63, v0
	v_and_b32_e32 v55, 3, v0
	v_mov_b32_e32 v37, s19
	v_mov_b32_e32 v40, s18
	;; [unrolled: 1-line block ×5, first 2 shown]
                                        ; implicit-def: $vgpr3
                                        ; implicit-def: $vgpr7
                                        ; implicit-def: $vgpr11
                                        ; implicit-def: $vgpr15
                                        ; implicit-def: $vgpr19
                                        ; implicit-def: $vgpr23
                                        ; implicit-def: $vgpr27
                                        ; implicit-def: $vgpr31
	s_xor_b64 exec, exec, s[26:27]
	s_cbranch_execz .LBB192_19
; %bb.8:
	s_add_i32 s29, s21, 15
	s_load_dwordx2 s[18:19], s[4:5], 0x20
	s_load_dword s28, s[4:5], 0x38
	s_ashr_i32 s30, s29, 31
	s_lshr_b32 s30, s30, 28
	v_add_u32_e32 v56, s9, v0
	s_add_i32 s29, s29, s30
	v_ashrrev_i32_e32 v3, 31, v56
	s_ashr_i32 s29, s29, 4
	v_lshrrev_b32_e32 v3, 28, v3
	s_add_i32 s30, s29, -1
	v_add_u32_e32 v3, v56, v3
	s_waitcnt lgkmcnt(0)
	s_mul_i32 s28, s6, s28
	s_mov_b32 s29, 0
	v_ashrrev_i32_e32 v3, 4, v3
	v_mov_b32_e32 v4, s30
	v_cmp_gt_i32_e32 vcc, s21, v56
	s_lshl_b64 s[28:29], s[28:29], 2
	v_cndmask_b32_e32 v4, v4, v3, vcc
	s_add_u32 s18, s18, s28
	v_ashrrev_i32_e32 v5, 31, v4
	s_addc_u32 s19, s19, s29
	v_lshlrev_b64 v[4:5], 2, v[4:5]
	v_mov_b32_e32 v3, s19
	v_add_co_u32_e32 v4, vcc, s18, v4
	v_addc_co_u32_e32 v5, vcc, v3, v5, vcc
	v_ashrrev_i32_e32 v3, 31, v2
	v_lshrrev_b32_e32 v3, 28, v3
	v_add_u32_e32 v2, v2, v3
	v_ashrrev_i32_e32 v10, 4, v2
	v_min_i32_e32 v2, s30, v10
	v_ashrrev_i32_e32 v3, 31, v2
	v_lshlrev_b64 v[2:3], 2, v[2:3]
	v_add_co_u32_e32 v6, vcc, s18, v2
	v_add_u32_e32 v2, 1, v10
	v_mov_b32_e32 v7, s19
	v_min_i32_e32 v2, s30, v2
	v_addc_co_u32_e32 v7, vcc, v7, v3, vcc
	v_ashrrev_i32_e32 v3, 31, v2
	v_lshlrev_b64 v[2:3], 2, v[2:3]
	v_add_co_u32_e32 v8, vcc, s18, v2
	v_add_u32_e32 v2, 2, v10
	v_mov_b32_e32 v9, s19
	v_min_i32_e32 v2, s30, v2
	v_addc_co_u32_e32 v9, vcc, v9, v3, vcc
	;; [unrolled: 7-line block ×3, first 2 shown]
	v_ashrrev_i32_e32 v3, 31, v2
	v_lshlrev_b64 v[2:3], 2, v[2:3]
	v_mov_b32_e32 v10, s19
	v_add_co_u32_e32 v14, vcc, s18, v2
	v_addc_co_u32_e32 v15, vcc, v10, v3, vcc
	global_load_dword v3, v[4:5], off
	global_load_dword v2, v[6:7], off
	;; [unrolled: 1-line block ×5, first 2 shown]
	s_load_dwordx2 s[30:31], s[4:5], 0x8
	s_andn2_b64 vcc, exec, s[10:11]
	s_cbranch_vccnz .LBB192_11
; %bb.9:
	s_add_u32 s2, s2, s16
	s_addc_u32 s3, s3, s17
	s_load_dword s9, s[2:3], 0x0
	s_branch .LBB192_12
.LBB192_10:
	s_mov_b64 s[12:13], 0
	s_branch .LBB192_2
.LBB192_11:
	s_mov_b32 s9, s6
.LBB192_12:
	s_load_dwordx2 s[10:11], s[4:5], 0x10
	s_load_dwordx4 s[16:19], s[4:5], 0x48
	v_cmp_eq_u32_e32 vcc, 0, v55
	s_mov_b32 s29, 0
	v_mov_b32_e32 v59, 0
	v_mov_b32_e32 v26, 0
	;; [unrolled: 1-line block ×5, first 2 shown]
	s_and_saveexec_b64 s[2:3], vcc
	s_cbranch_execz .LBB192_14
; %bb.13:
	s_load_dwordx2 s[34:35], s[4:5], 0x0
	s_waitcnt lgkmcnt(0)
	s_ashr_i32 s19, s16, 31
	s_mul_hi_u32 s28, s9, s16
	s_mul_i32 s19, s9, s19
	s_add_i32 s37, s28, s19
	s_mul_i32 s36, s9, s16
	s_lshl_b64 s[36:37], s[36:37], 1
	s_add_u32 s9, s34, s36
	s_addc_u32 s16, s35, s37
	s_lshl_b32 s28, s8, 6
	s_lshl_b64 s[34:35], s[28:29], 1
	s_add_u32 s34, s9, s34
	s_addc_u32 s35, s16, s35
	v_lshlrev_b32_e32 v4, 2, v54
	global_load_dwordx4 v[26:29], v4, s[34:35]
.LBB192_14:
	s_or_b64 exec, exec, s[2:3]
	s_waitcnt lgkmcnt(0)
	s_mul_i32 s28, s8, s18
	s_waitcnt vmcnt(4)
	v_mad_i64_i32 v[4:5], s[2:3], v3, s17, 0
	s_lshl_b64 s[18:19], s[28:29], 1
	s_add_u32 s2, s18, s30
	v_lshlrev_b64 v[4:5], 1, v[4:5]
	s_addc_u32 s3, s19, s31
	v_mov_b32_e32 v3, s3
	v_add_co_u32_e64 v4, s[2:3], s2, v4
	v_addc_co_u32_e64 v3, s[2:3], v3, v5, s[2:3]
	v_and_b32_e32 v5, 15, v0
	v_lshlrev_b32_e32 v5, 4, v5
	v_add_co_u32_e64 v4, s[2:3], v4, v5
	v_addc_co_u32_e64 v5, s[2:3], 0, v3, s[2:3]
	global_load_dwordx4 v[50:53], v[4:5], off
	global_load_dwordx4 v[46:49], v[4:5], off offset:256
	global_load_dwordx4 v[22:25], v[4:5], off offset:512
	;; [unrolled: 1-line block ×7, first 2 shown]
	v_mov_b32_e32 v60, 0
	s_and_saveexec_b64 s[2:3], vcc
	s_cbranch_execz .LBB192_16
; %bb.15:
	s_load_dwordx2 s[30:31], s[4:5], 0x40
	s_mov_b32 s9, s29
	s_lshl_b64 s[28:29], s[8:9], 2
	v_mov_b32_e32 v59, 1.0
	s_waitcnt lgkmcnt(0)
	s_add_u32 s28, s30, s28
	s_addc_u32 s29, s31, s29
	s_load_dword s9, s[28:29], 0x0
	s_waitcnt lgkmcnt(0)
	v_mov_b32_e32 v60, s9
.LBB192_16:
	s_or_b64 exec, exec, s[2:3]
	s_waitcnt vmcnt(7)
	v_mfma_f32_4x4x4bf16_1k a[0:3], v[26:27], v[50:51], 0 cbsz:4
	s_add_u32 s3, s10, s18
	v_mfma_f32_4x4x4bf16_1k a[0:3], v[28:29], v[52:53], a[0:3] cbsz:4
	v_lshlrev_b32_e32 v3, 5, v54
	s_waitcnt vmcnt(6)
	v_mfma_f32_4x4x4bf16_1k a[0:3], v[26:27], v[46:47], a[0:3] cbsz:4 abid:1
	v_add_co_u32_e32 v61, vcc, s3, v3
	v_mfma_f32_4x4x4bf16_1k a[0:3], v[28:29], v[48:49], a[0:3] cbsz:4 abid:1
	v_mul_hi_i32 v3, v2, s17
	s_waitcnt vmcnt(5)
	v_mfma_f32_4x4x4bf16_1k a[0:3], v[26:27], v[22:23], a[0:3] cbsz:4 abid:2
	v_ashrrev_i32_e32 v3, 31, v3
	v_mfma_f32_4x4x4bf16_1k a[0:3], v[28:29], v[24:25], a[0:3] cbsz:4 abid:2
	s_load_dword s2, s[4:5], 0x1c
	s_waitcnt vmcnt(4)
	v_mfma_f32_4x4x4bf16_1k a[0:3], v[26:27], v[18:19], a[0:3] cbsz:4 abid:3
	s_addc_u32 s4, s11, s19
	v_mfma_f32_4x4x4bf16_1k a[0:3], v[28:29], v[20:21], a[0:3] cbsz:4 abid:3
	v_lshrrev_b32_e32 v62, 29, v3
	s_waitcnt vmcnt(3)
	v_mfma_f32_4x4x4bf16_1k a[0:3], v[26:27], v[42:43], a[0:3] cbsz:4 abid:4
	v_mov_b32_e32 v63, 0
	v_mfma_f32_4x4x4bf16_1k a[0:3], v[28:29], v[44:45], a[0:3] cbsz:4 abid:4
	v_mul_hi_i32 v11, v10, s17
	s_waitcnt vmcnt(2)
	v_mfma_f32_4x4x4bf16_1k a[0:3], v[26:27], v[38:39], a[0:3] cbsz:4 abid:5
	v_mov_b32_e32 v4, s4
	v_mfma_f32_4x4x4bf16_1k a[0:3], v[28:29], v[40:41], a[0:3] cbsz:4 abid:5
	v_mad_i64_i32 v[2:3], s[4:5], v2, s17, v[62:63]
	v_ashrrev_i32_e32 v11, 31, v11
	v_lshlrev_b64 v[2:3], 1, v[2:3]
	v_lshrrev_b32_e32 v62, 29, v11
	v_mul_hi_i32 v50, v58, s17
	s_waitcnt vmcnt(1)
	v_mfma_f32_4x4x4bf16_1k a[0:3], v[26:27], v[34:35], a[0:3] cbsz:4 abid:6
	v_addc_co_u32_e32 v66, vcc, 0, v4, vcc
	v_and_b32_e32 v2, -16, v2
	v_mad_i64_i32 v[10:11], s[4:5], v10, s17, v[62:63]
	v_ashrrev_i32_e32 v50, 31, v50
	v_add_co_u32_e32 v12, vcc, v61, v2
	v_lshlrev_b64 v[10:11], 1, v[10:11]
	v_lshrrev_b32_e32 v62, 29, v50
	v_mul_hi_i32 v42, v57, s17
	v_mfma_f32_4x4x4bf16_1k a[0:3], v[28:29], v[36:37], a[0:3] cbsz:4 abid:6
	v_addc_co_u32_e32 v13, vcc, v66, v3, vcc
	v_and_b32_e32 v10, -16, v10
	v_mad_i64_i32 v[46:47], s[4:5], v58, s17, v[62:63]
	v_ashrrev_i32_e32 v42, 31, v42
	v_add_co_u32_e32 v64, vcc, v61, v10
	v_lshlrev_b64 v[22:23], 1, v[46:47]
	v_lshrrev_b32_e32 v62, 29, v42
	s_waitcnt vmcnt(0)
	v_mfma_f32_4x4x4bf16_1k a[0:3], v[26:27], v[30:31], a[0:3] cbsz:4 abid:7
	v_addc_co_u32_e32 v65, vcc, v66, v11, vcc
	v_and_b32_e32 v22, -16, v22
	v_mad_i64_i32 v[38:39], s[4:5], v57, s17, v[62:63]
	v_add_co_u32_e32 v46, vcc, v61, v22
	v_lshlrev_b64 v[34:35], 1, v[38:39]
	v_mfma_f32_4x4x4bf16_1k a[0:3], v[28:29], v[32:33], a[0:3] cbsz:4 abid:7
	v_addc_co_u32_e32 v47, vcc, v66, v23, vcc
	v_and_b32_e32 v34, -16, v34
	v_add_co_u32_e32 v34, vcc, v61, v34
	s_nop 1
	v_accvgpr_read_b32 v27, a1
	v_addc_co_u32_e32 v35, vcc, v66, v35, vcc
	v_accvgpr_read_b32 v26, a0
	global_load_dwordx4 v[2:5], v[12:13], off
	global_load_dwordx4 v[6:9], v[12:13], off offset:16
	s_nop 0
	global_load_dwordx4 v[10:13], v[64:65], off
	global_load_dwordx4 v[14:17], v[64:65], off offset:16
	global_load_dwordx4 v[18:21], v[46:47], off
	global_load_dwordx4 v[22:25], v[46:47], off offset:16
	s_waitcnt lgkmcnt(0)
	v_pk_mul_f32 v[36:37], s[2:3], v[26:27] op_sel_hi:[0,1]
	global_load_dwordx4 v[26:29], v[34:35], off
	global_load_dwordx4 v[30:33], v[34:35], off offset:16
	v_accvgpr_read_b32 v35, a3
	v_accvgpr_read_b32 v34, a2
	v_pk_mul_f32 v[34:35], s[2:3], v[34:35] op_sel_hi:[0,1]
	v_mfma_f32_4x4x1f32 a[0:3], v36, v59, 0
	v_cmp_eq_u32_e32 vcc, 1, v55
	v_cndmask_b32_e64 v36, 0, 1.0, vcc
	v_cmp_eq_u32_e32 vcc, 2, v55
	v_mov_b32_e32 v41, 0xff7fffff
	v_mfma_f32_4x4x1f32 a[0:3], v37, v36, a[0:3]
	v_cndmask_b32_e64 v36, 0, 1.0, vcc
	v_cmp_eq_u32_e32 vcc, 3, v55
	s_nop 0
	v_mfma_f32_4x4x1f32 a[0:3], v34, v36, a[0:3]
	v_cndmask_b32_e64 v34, 0, 1.0, vcc
	s_nop 1
	v_mfma_f32_4x4x1f32 a[0:3], v35, v34, a[0:3]
	v_and_b32_e32 v34, -4, v56
	v_subrev_u32_e32 v35, s21, v34
	v_add_u32_e32 v36, 1, v35
	v_cvt_f32_i32_e32 v36, v36
	v_add_u32_e32 v37, 2, v35
	v_cvt_f32_i32_e32 v37, v37
	v_accvgpr_read_b32 v38, a0
	v_fma_f32 v36, v60, v36, v38
	v_accvgpr_read_b32 v38, a1
	v_fma_f32 v37, v60, v37, v38
	v_add_u32_e32 v38, 3, v35
	v_cvt_f32_i32_e32 v38, v38
	v_add_u32_e32 v35, 4, v35
	v_max_f32_e32 v40, 0xff7fffff, v36
	v_cmp_gt_i32_e32 vcc, s21, v34
	v_cvt_f32_i32_e32 v35, v35
	v_cndmask_b32_e32 v40, v41, v40, vcc
	v_or_b32_e32 v41, 1, v34
	v_accvgpr_read_b32 v39, a2
	v_max_f32_e32 v42, v40, v37
	v_cmp_gt_i32_e64 s[2:3], s21, v41
	v_fma_f32 v38, v60, v38, v39
	v_cndmask_b32_e64 v40, v40, v42, s[2:3]
	v_or_b32_e32 v34, 2, v34
	v_accvgpr_read_b32 v39, a3
	v_max_f32_e32 v41, v40, v38
	v_cmp_gt_i32_e64 s[4:5], s21, v34
	v_fmac_f32_e32 v39, v60, v35
	v_cndmask_b32_e64 v34, v40, v41, s[4:5]
	v_or_b32_e32 v40, 3, v56
	v_max_f32_e32 v41, v34, v39
	v_cmp_gt_i32_e64 s[10:11], s21, v40
	v_lshlrev_b32_e32 v35, 2, v0
	v_cndmask_b32_e64 v34, v34, v41, s[10:11]
	v_and_or_b32 v35, v35, 48, v55
	;;#ASMSTART
	v_nop
 v_nop
 v_max_f32_dpp v34, v34, v34 row_ror:4
	;;#ASMEND
	v_lshlrev_b32_e32 v41, 2, v35
	;;#ASMSTART
	v_nop
 v_nop
 v_max_f32_dpp v34, v34, v34 row_ror:8
	;;#ASMEND
	ds_bpermute_b32 v34, v41, v34
	s_waitcnt lgkmcnt(0)
	;;#ASMSTART
	v_nop
 v_nop
 v_max_f32_dpp v34, v34, v34 row_ror:4
	;;#ASMEND
	;;#ASMSTART
	v_nop
 v_nop
 v_max_f32_dpp v40, v34, v34 row_ror:8
	;;#ASMEND
	v_sub_f32_e32 v34, v36, v40
	v_mul_f32_e32 v34, 0x3fb8aa3b, v34
	v_sub_f32_e32 v35, v37, v40
	v_exp_f32_e32 v34, v34
	v_mul_f32_e32 v35, 0x3fb8aa3b, v35
	v_sub_f32_e32 v37, v38, v40
	v_exp_f32_e32 v35, v35
	;; [unrolled: 3-line block ×3, first 2 shown]
	v_mul_f32_e32 v38, 0x3fb8aa3b, v38
	v_exp_f32_e32 v38, v38
	v_cndmask_b32_e32 v34, 0, v34, vcc
	v_add_f32_e32 v36, 0, v34
	v_cndmask_b32_e64 v35, 0, v35, s[2:3]
	v_add_f32_e32 v39, v36, v35
	v_cndmask_b32_e64 v36, 0, v37, s[4:5]
	;; [unrolled: 2-line block ×3, first 2 shown]
	v_add_f32_e32 v38, v39, v37
	;;#ASMSTART
	v_nop
 v_nop
 v_add_f32_dpp v38, v38, v38 row_ror:4
	;;#ASMEND
	;;#ASMSTART
	v_nop
 v_nop
 v_add_f32_dpp v38, v38, v38 row_ror:8
	;;#ASMEND
	ds_bpermute_b32 v38, v41, v38
	s_waitcnt lgkmcnt(0)
	;;#ASMSTART
	v_nop
 v_nop
 v_add_f32_dpp v38, v38, v38 row_ror:4
	;;#ASMEND
	v_cmp_gt_u32_e32 vcc, 4, v54
	;;#ASMSTART
	v_nop
 v_nop
 v_add_f32_dpp v38, v38, v38 row_ror:8
	;;#ASMEND
	s_and_saveexec_b64 s[2:3], vcc
	s_cbranch_execz .LBB192_18
; %bb.17:
	v_mul_u32_u24_e32 v39, 20, v1
	v_lshl_add_u32 v39, v55, 2, v39
	v_add_u32_e32 v39, 0x800, v39
	ds_write2_b32 v39, v40, v38 offset0:128 offset1:148
.LBB192_18:
	s_or_b64 exec, exec, s[2:3]
.LBB192_19:
	s_or_b64 exec, exec, s[26:27]
	s_waitcnt lgkmcnt(0)
	s_barrier
	s_load_dword s2, s[24:25], 0x8
	v_lshlrev_b32_e32 v38, 2, v55
	v_add_u32_e32 v46, 0x800, v38
	ds_read2_b32 v[38:39], v46 offset0:128 offset1:133
	ds_read2_b32 v[42:43], v46 offset0:138 offset1:143
	s_mul_i32 s3, s7, s6
	s_waitcnt lgkmcnt(0)
	s_mul_i32 s2, s3, s2
	s_mov_b32 s3, 0xff7fffff
	v_max3_f32 v41, v38, s3, v39
	v_max3_f32 v41, v41, v42, v43
	v_sub_f32_e32 v38, v38, v41
	ds_read2_b32 v[44:45], v46 offset0:148 offset1:153
	v_mul_f32_e32 v38, 0x3fb8aa3b, v38
	v_sub_f32_e32 v39, v39, v41
	v_sub_f32_e32 v42, v42, v41
	v_exp_f32_e32 v48, v38
	v_mul_f32_e32 v39, 0x3fb8aa3b, v39
	v_mul_f32_e32 v42, 0x3fb8aa3b, v42
	v_exp_f32_e32 v39, v39
	ds_read2_b32 v[46:47], v46 offset0:158 offset1:163
	v_exp_f32_e32 v49, v42
	v_sub_f32_e32 v42, v43, v41
	v_mul_f32_e32 v42, 0x3fb8aa3b, v42
	v_exp_f32_e32 v43, v42
	s_waitcnt lgkmcnt(1)
	v_fma_f32 v42, v48, v44, 0
	v_fmac_f32_e32 v42, v39, v45
	s_waitcnt lgkmcnt(0)
	v_fmac_f32_e32 v42, v49, v46
	v_mov_b32_e32 v38, 0
	v_fmac_f32_e32 v42, v43, v47
	s_mov_b32 s3, 0
	v_cmp_eq_u32_e32 vcc, 0, v55
	s_and_saveexec_b64 s[4:5], vcc
	s_cbranch_execz .LBB192_21
; %bb.20:
	s_lshl_b64 s[10:11], s[2:3], 2
	s_add_u32 s6, s12, s10
	s_mov_b32 s21, s3
	s_addc_u32 s9, s13, s11
	s_lshl_b64 s[12:13], s[20:21], 2
	s_add_u32 s6, s6, s12
	s_addc_u32 s9, s9, s13
	s_add_u32 s10, s14, s10
	s_addc_u32 s11, s15, s11
	;; [unrolled: 2-line block ×3, first 2 shown]
	s_mul_i32 s10, s7, s8
	s_mov_b32 s11, s3
	s_lshl_b64 s[10:11], s[10:11], 2
	s_add_u32 s12, s6, s10
	s_addc_u32 s13, s9, s11
	s_add_u32 s10, s14, s10
	s_addc_u32 s11, s15, s11
	global_store_dword v38, v41, s[10:11]
	global_store_dword v38, v42, s[12:13]
.LBB192_21:
	s_or_b64 exec, exec, s[4:5]
	v_mov_b32_e32 v39, 0
	s_and_saveexec_b64 s[4:5], s[0:1]
	s_cbranch_execz .LBB192_23
; %bb.22:
	v_add_f32_e32 v38, 0x358637bd, v42
	v_div_scale_f32 v39, s[0:1], v38, v38, 1.0
	v_rcp_f32_e32 v42, v39
	v_div_scale_f32 v43, vcc, 1.0, v38, 1.0
	v_sub_f32_e32 v40, v40, v41
	v_fma_f32 v44, -v39, v42, 1.0
	v_fmac_f32_e32 v42, v44, v42
	v_mul_f32_e32 v44, v43, v42
	v_fma_f32 v45, -v39, v44, v43
	v_mul_f32_e32 v40, 0x3fb8aa3b, v40
	v_fmac_f32_e32 v44, v45, v42
	v_exp_f32_e32 v40, v40
	v_fma_f32 v39, -v39, v44, v43
	v_div_fmas_f32 v39, v39, v42, v44
	v_div_fixup_f32 v38, v39, v38, 1.0
	v_mul_f32_e32 v38, v40, v38
	v_pk_mul_f32 v[34:35], v[34:35], v[38:39] op_sel_hi:[1,0]
	v_pk_mul_f32 v[36:37], v[36:37], v[38:39] op_sel_hi:[1,0]
	v_bfe_u32 v38, v35, 16, 1
	v_bfe_u32 v39, v34, 16, 1
	s_movk_i32 s0, 0x7fff
	v_add3_u32 v34, v34, v39, s0
	v_add3_u32 v35, v35, v38, s0
	s_mov_b32 s1, 0x7060302
	v_perm_b32 v34, v35, v34, s1
	v_bfe_u32 v35, v37, 16, 1
	v_bfe_u32 v38, v36, 16, 1
	v_add3_u32 v36, v36, v38, s0
	v_add3_u32 v35, v37, v35, s0
	v_perm_b32 v35, v35, v36, s1
	s_waitcnt vmcnt(7)
	s_nop 0
	v_mfma_f32_4x4x4bf16_1k a[0:3], v[34:35], v[2:3], 0 cbsz:4
	v_mfma_f32_4x4x4bf16_1k a[0:3], v[34:35], v[4:5], a[0:3] cbsz:4 abid:1
	s_waitcnt vmcnt(6)
	v_mfma_f32_4x4x4bf16_1k a[0:3], v[34:35], v[6:7], a[0:3] cbsz:4 abid:2
	v_mfma_f32_4x4x4bf16_1k a[0:3], v[34:35], v[8:9], a[0:3] cbsz:4 abid:3
	s_waitcnt vmcnt(5)
	v_mfma_f32_4x4x4bf16_1k a[0:3], v[34:35], v[10:11], a[0:3] cbsz:4 abid:4
	v_mfma_f32_4x4x4bf16_1k a[0:3], v[34:35], v[12:13], a[0:3] cbsz:4 abid:5
	s_waitcnt vmcnt(4)
	v_mfma_f32_4x4x4bf16_1k a[0:3], v[34:35], v[14:15], a[0:3] cbsz:4 abid:6
	v_mfma_f32_4x4x4bf16_1k a[0:3], v[34:35], v[16:17], a[0:3] cbsz:4 abid:7
	s_waitcnt vmcnt(3)
	v_mfma_f32_4x4x4bf16_1k a[0:3], v[34:35], v[18:19], a[0:3] cbsz:4 abid:8
	v_mfma_f32_4x4x4bf16_1k a[0:3], v[34:35], v[20:21], a[0:3] cbsz:4 abid:9
	s_waitcnt vmcnt(2)
	v_mfma_f32_4x4x4bf16_1k a[0:3], v[34:35], v[22:23], a[0:3] cbsz:4 abid:10
	v_mfma_f32_4x4x4bf16_1k a[0:3], v[34:35], v[24:25], a[0:3] cbsz:4 abid:11
	s_waitcnt vmcnt(1)
	v_mfma_f32_4x4x4bf16_1k a[0:3], v[34:35], v[26:27], a[0:3] cbsz:4 abid:12
	v_mfma_f32_4x4x4bf16_1k a[0:3], v[34:35], v[28:29], a[0:3] cbsz:4 abid:13
	s_waitcnt vmcnt(0)
	v_mfma_f32_4x4x4bf16_1k a[0:3], v[34:35], v[30:31], a[0:3] cbsz:4 abid:14
	v_mfma_f32_4x4x4bf16_1k a[0:3], v[34:35], v[32:33], a[0:3] cbsz:4 abid:15
	s_nop 4
	v_accvgpr_read_b32 v5, a1
	v_accvgpr_read_b32 v2, a2
	;; [unrolled: 1-line block ×4, first 2 shown]
	v_bfe_u32 v6, v5, 16, 1
	v_bfe_u32 v7, v4, 16, 1
	;; [unrolled: 1-line block ×3, first 2 shown]
	v_add3_u32 v5, v5, v6, s0
	v_bfe_u32 v6, v2, 16, 1
	v_add3_u32 v4, v4, v7, s0
	v_add3_u32 v2, v2, v6, s0
	;; [unrolled: 1-line block ×3, first 2 shown]
	v_perm_b32 v39, v3, v2, s1
	v_perm_b32 v38, v5, v4, s1
.LBB192_23:
	s_or_b64 exec, exec, s[4:5]
	v_lshlrev_b32_e32 v1, 3, v1
	v_mad_u32_u24 v1, v54, 40, v1
	v_cmp_gt_u32_e32 vcc, 64, v0
	ds_write_b64 v1, v[38:39]
	s_waitcnt lgkmcnt(0)
	s_barrier
	s_and_saveexec_b64 s[0:1], vcc
	s_cbranch_execz .LBB192_25
; %bb.24:
	s_lshl_b32 s0, s2, 6
	s_mov_b32 s1, 0
	s_lshl_b64 s[2:3], s[0:1], 1
	s_add_u32 s2, s22, s2
	s_addc_u32 s3, s23, s3
	s_lshl_b32 s0, s20, 6
	s_lshl_b64 s[0:1], s[0:1], 1
	s_add_u32 s0, s2, s0
	s_mul_i32 s2, s8, s7
	v_lshl_or_b32 v0, s2, 6, v0
	v_mov_b32_e32 v1, 0
	s_waitcnt vmcnt(6)
	v_mul_u32_u24_e32 v7, 40, v54
	v_lshlrev_b64 v[4:5], 1, v[0:1]
	ds_read2_b64 v[0:3], v7 offset1:1
	s_addc_u32 s1, s3, s1
	v_mov_b32_e32 v6, s1
	v_add_co_u32_e32 v8, vcc, s0, v4
	v_addc_co_u32_e32 v9, vcc, v6, v5, vcc
	ds_read2_b64 v[4:7], v7 offset0:2 offset1:3
	s_waitcnt lgkmcnt(1)
	v_lshlrev_b32_e32 v0, 16, v0
	v_add_f32_e32 v0, 0, v0
	v_and_b32_e32 v0, 0xffff0000, v0
	v_lshlrev_b32_e32 v1, 16, v2
	v_add_f32_e32 v0, v0, v1
	v_and_b32_e32 v0, 0xffff0000, v0
	s_waitcnt lgkmcnt(0)
	v_lshlrev_b32_e32 v1, 16, v4
	v_add_f32_e32 v0, v0, v1
	v_and_b32_e32 v0, 0xffff0000, v0
	v_lshlrev_b32_e32 v1, 16, v6
	v_add_f32_e32 v0, v0, v1
	global_store_short_d16_hi v[8:9], v0, off
.LBB192_25:
	s_endpgm
	.section	.rodata,"a",@progbits
	.p2align	6, 0x0
	.amdhsa_kernel _Z38paged_attention_ll4mi_QKV_mfma4_kernelI14__hip_bfloat16S0_LN4vllm18Fp8KVCacheDataTypeE0ES0_Li16ELi64ELi256ELb1ELi1EEvPKT_PKT0_S8_ifPKiSA_SA_iPKfiiiPfSD_PS3_PT2_iSC_SC_
		.amdhsa_group_segment_fixed_size 2720
		.amdhsa_private_segment_fixed_size 0
		.amdhsa_kernarg_size 400
		.amdhsa_user_sgpr_count 6
		.amdhsa_user_sgpr_private_segment_buffer 1
		.amdhsa_user_sgpr_dispatch_ptr 0
		.amdhsa_user_sgpr_queue_ptr 0
		.amdhsa_user_sgpr_kernarg_segment_ptr 1
		.amdhsa_user_sgpr_dispatch_id 0
		.amdhsa_user_sgpr_flat_scratch_init 0
		.amdhsa_user_sgpr_kernarg_preload_length 0
		.amdhsa_user_sgpr_kernarg_preload_offset 0
		.amdhsa_user_sgpr_private_segment_size 0
		.amdhsa_uses_dynamic_stack 0
		.amdhsa_system_sgpr_private_segment_wavefront_offset 0
		.amdhsa_system_sgpr_workgroup_id_x 1
		.amdhsa_system_sgpr_workgroup_id_y 1
		.amdhsa_system_sgpr_workgroup_id_z 1
		.amdhsa_system_sgpr_workgroup_info 0
		.amdhsa_system_vgpr_workitem_id 0
		.amdhsa_next_free_vgpr 72
		.amdhsa_next_free_sgpr 38
		.amdhsa_accum_offset 68
		.amdhsa_reserve_vcc 1
		.amdhsa_reserve_flat_scratch 0
		.amdhsa_float_round_mode_32 0
		.amdhsa_float_round_mode_16_64 0
		.amdhsa_float_denorm_mode_32 3
		.amdhsa_float_denorm_mode_16_64 3
		.amdhsa_dx10_clamp 1
		.amdhsa_ieee_mode 1
		.amdhsa_fp16_overflow 0
		.amdhsa_tg_split 0
		.amdhsa_exception_fp_ieee_invalid_op 0
		.amdhsa_exception_fp_denorm_src 0
		.amdhsa_exception_fp_ieee_div_zero 0
		.amdhsa_exception_fp_ieee_overflow 0
		.amdhsa_exception_fp_ieee_underflow 0
		.amdhsa_exception_fp_ieee_inexact 0
		.amdhsa_exception_int_div_zero 0
	.end_amdhsa_kernel
	.section	.text._Z38paged_attention_ll4mi_QKV_mfma4_kernelI14__hip_bfloat16S0_LN4vllm18Fp8KVCacheDataTypeE0ES0_Li16ELi64ELi256ELb1ELi1EEvPKT_PKT0_S8_ifPKiSA_SA_iPKfiiiPfSD_PS3_PT2_iSC_SC_,"axG",@progbits,_Z38paged_attention_ll4mi_QKV_mfma4_kernelI14__hip_bfloat16S0_LN4vllm18Fp8KVCacheDataTypeE0ES0_Li16ELi64ELi256ELb1ELi1EEvPKT_PKT0_S8_ifPKiSA_SA_iPKfiiiPfSD_PS3_PT2_iSC_SC_,comdat
.Lfunc_end192:
	.size	_Z38paged_attention_ll4mi_QKV_mfma4_kernelI14__hip_bfloat16S0_LN4vllm18Fp8KVCacheDataTypeE0ES0_Li16ELi64ELi256ELb1ELi1EEvPKT_PKT0_S8_ifPKiSA_SA_iPKfiiiPfSD_PS3_PT2_iSC_SC_, .Lfunc_end192-_Z38paged_attention_ll4mi_QKV_mfma4_kernelI14__hip_bfloat16S0_LN4vllm18Fp8KVCacheDataTypeE0ES0_Li16ELi64ELi256ELb1ELi1EEvPKT_PKT0_S8_ifPKiSA_SA_iPKfiiiPfSD_PS3_PT2_iSC_SC_
                                        ; -- End function
	.section	.AMDGPU.csdata,"",@progbits
; Kernel info:
; codeLenInByte = 3284
; NumSgprs: 42
; NumVgprs: 67
; NumAgprs: 4
; TotalNumVgprs: 72
; ScratchSize: 0
; MemoryBound: 0
; FloatMode: 240
; IeeeMode: 1
; LDSByteSize: 2720 bytes/workgroup (compile time only)
; SGPRBlocks: 5
; VGPRBlocks: 8
; NumSGPRsForWavesPerEU: 42
; NumVGPRsForWavesPerEU: 72
; AccumOffset: 68
; Occupancy: 7
; WaveLimiterHint : 1
; COMPUTE_PGM_RSRC2:SCRATCH_EN: 0
; COMPUTE_PGM_RSRC2:USER_SGPR: 6
; COMPUTE_PGM_RSRC2:TRAP_HANDLER: 0
; COMPUTE_PGM_RSRC2:TGID_X_EN: 1
; COMPUTE_PGM_RSRC2:TGID_Y_EN: 1
; COMPUTE_PGM_RSRC2:TGID_Z_EN: 1
; COMPUTE_PGM_RSRC2:TIDIG_COMP_CNT: 0
; COMPUTE_PGM_RSRC3_GFX90A:ACCUM_OFFSET: 16
; COMPUTE_PGM_RSRC3_GFX90A:TG_SPLIT: 0
	.section	.text._Z38paged_attention_ll4mi_QKV_mfma4_kernelI14__hip_bfloat16S0_LN4vllm18Fp8KVCacheDataTypeE0ES0_Li16ELi64ELi256ELb1ELi2EEvPKT_PKT0_S8_ifPKiSA_SA_iPKfiiiPfSD_PS3_PT2_iSC_SC_,"axG",@progbits,_Z38paged_attention_ll4mi_QKV_mfma4_kernelI14__hip_bfloat16S0_LN4vllm18Fp8KVCacheDataTypeE0ES0_Li16ELi64ELi256ELb1ELi2EEvPKT_PKT0_S8_ifPKiSA_SA_iPKfiiiPfSD_PS3_PT2_iSC_SC_,comdat
	.protected	_Z38paged_attention_ll4mi_QKV_mfma4_kernelI14__hip_bfloat16S0_LN4vllm18Fp8KVCacheDataTypeE0ES0_Li16ELi64ELi256ELb1ELi2EEvPKT_PKT0_S8_ifPKiSA_SA_iPKfiiiPfSD_PS3_PT2_iSC_SC_ ; -- Begin function _Z38paged_attention_ll4mi_QKV_mfma4_kernelI14__hip_bfloat16S0_LN4vllm18Fp8KVCacheDataTypeE0ES0_Li16ELi64ELi256ELb1ELi2EEvPKT_PKT0_S8_ifPKiSA_SA_iPKfiiiPfSD_PS3_PT2_iSC_SC_
	.globl	_Z38paged_attention_ll4mi_QKV_mfma4_kernelI14__hip_bfloat16S0_LN4vllm18Fp8KVCacheDataTypeE0ES0_Li16ELi64ELi256ELb1ELi2EEvPKT_PKT0_S8_ifPKiSA_SA_iPKfiiiPfSD_PS3_PT2_iSC_SC_
	.p2align	8
	.type	_Z38paged_attention_ll4mi_QKV_mfma4_kernelI14__hip_bfloat16S0_LN4vllm18Fp8KVCacheDataTypeE0ES0_Li16ELi64ELi256ELb1ELi2EEvPKT_PKT0_S8_ifPKiSA_SA_iPKfiiiPfSD_PS3_PT2_iSC_SC_,@function
_Z38paged_attention_ll4mi_QKV_mfma4_kernelI14__hip_bfloat16S0_LN4vllm18Fp8KVCacheDataTypeE0ES0_Li16ELi64ELi256ELb1ELi2EEvPKT_PKT0_S8_ifPKiSA_SA_iPKfiiiPfSD_PS3_PT2_iSC_SC_: ; @_Z38paged_attention_ll4mi_QKV_mfma4_kernelI14__hip_bfloat16S0_LN4vllm18Fp8KVCacheDataTypeE0ES0_Li16ELi64ELi256ELb1ELi2EEvPKT_PKT0_S8_ifPKiSA_SA_iPKfiiiPfSD_PS3_PT2_iSC_SC_
; %bb.0:
	s_load_dwordx2 s[2:3], s[4:5], 0x30
	s_mov_b32 s10, s7
	s_mov_b64 s[0:1], 0
	s_waitcnt lgkmcnt(0)
	s_cmp_lg_u64 s[2:3], 0
	s_cselect_b64 s[16:17], -1, 0
	s_and_b64 vcc, exec, s[16:17]
	s_cbranch_vccz .LBB193_10
; %bb.1:
	s_add_i32 s12, s6, 1
	s_mov_b32 s13, 0
	s_lshl_b64 s[14:15], s[12:13], 2
	s_add_u32 s14, s2, s14
	s_mov_b32 s7, s13
	s_addc_u32 s15, s3, s15
	s_lshl_b64 s[12:13], s[6:7], 2
	s_add_u32 s12, s2, s12
	s_addc_u32 s13, s3, s13
	s_load_dword s9, s[14:15], 0x0
	s_load_dword s11, s[12:13], 0x0
	s_waitcnt lgkmcnt(0)
	s_sub_i32 s9, s9, s11
	s_cmp_eq_u32 s9, 1
	s_cselect_b64 s[12:13], -1, 0
	s_andn2_b64 vcc, exec, s[0:1]
	s_cbranch_vccnz .LBB193_3
.LBB193_2:
	s_mov_b32 s7, 0
	s_mov_b64 s[12:13], -1
.LBB193_3:
	s_andn2_b64 vcc, exec, s[12:13]
	s_cbranch_vccnz .LBB193_25
; %bb.4:
	s_load_dword s9, s[4:5], 0x9c
	s_load_dwordx2 s[0:1], s[4:5], 0x28
	s_add_u32 s22, s4, 0x90
	s_addc_u32 s23, s5, 0
	s_lshl_b64 s[18:19], s[6:7], 2
	s_waitcnt lgkmcnt(0)
	s_and_b32 s9, s9, 0xffff
	s_add_u32 s0, s0, s18
	s_addc_u32 s1, s1, s19
	s_load_dword s11, s[0:1], 0x0
	s_mul_i32 s9, s10, s9
	s_waitcnt lgkmcnt(0)
	s_cmp_ge_i32 s9, s11
	s_cbranch_scc1 .LBB193_25
; %bb.5:
	v_and_b32_e32 v2, 0xc0, v0
	v_add_u32_e32 v2, s9, v2
	v_lshrrev_b32_e32 v1, 6, v0
	v_cmp_gt_i32_e64 s[0:1], s11, v2
	v_cmp_le_i32_e32 vcc, s11, v2
                                        ; implicit-def: $sgpr27
                                        ; implicit-def: $sgpr26
	s_and_saveexec_b64 s[12:13], vcc
	s_xor_b64 s[12:13], exec, s[12:13]
	s_cbranch_execz .LBB193_7
; %bb.6:
	v_mul_u32_u24_e32 v2, 20, v1
	v_or_b32_e32 v2, 0xa00, v2
	v_mov_b32_e32 v3, 0xa50
	v_mov_b32_e32 v4, 0xff7fffff
	v_mad_u32_u24 v3, v1, 20, v3
	ds_write2_b32 v2, v4, v4 offset1:1
	v_mov_b32_e32 v2, 0
	ds_write2_b32 v3, v2, v2 offset1:1
	v_mov_b32_e32 v3, 0xa08
	s_mov_b32 s26, 0xff7fffff
	s_mov_b32 s27, 0
	v_mad_u32_u24 v3, v1, 20, v3
	v_mov_b32_e32 v5, 0xa58
	v_mad_u32_u24 v5, v1, 20, v5
	ds_write2_b32 v3, v4, v4 offset1:1
	ds_write2_b32 v5, v2, v2 offset1:1
                                        ; implicit-def: $vgpr2
.LBB193_7:
	s_or_saveexec_b64 s[24:25], s[12:13]
	s_load_dwordx2 s[20:21], s[4:5], 0x68
	s_load_dwordx4 s[12:15], s[4:5], 0x58
	s_load_dword s33, s[22:23], 0x4
	v_and_b32_e32 v56, 63, v0
	v_and_b32_e32 v57, 3, v0
	s_lshl_b32 s7, s8, 1
	v_mov_b32_e32 v37, s27
	v_mov_b32_e32 v40, s26
	;; [unrolled: 1-line block ×5, first 2 shown]
                                        ; implicit-def: $vgpr3
                                        ; implicit-def: $vgpr7
                                        ; implicit-def: $vgpr11
                                        ; implicit-def: $vgpr15
                                        ; implicit-def: $vgpr19
                                        ; implicit-def: $vgpr23
                                        ; implicit-def: $vgpr27
                                        ; implicit-def: $vgpr31
	s_xor_b64 exec, exec, s[24:25]
	s_cbranch_execz .LBB193_19
; %bb.8:
	s_add_i32 s29, s11, 15
	s_load_dwordx2 s[26:27], s[4:5], 0x20
	s_load_dword s28, s[4:5], 0x38
	s_ashr_i32 s30, s29, 31
	s_lshr_b32 s30, s30, 28
	v_add_u32_e32 v58, s9, v0
	s_add_i32 s29, s29, s30
	v_ashrrev_i32_e32 v3, 31, v58
	s_ashr_i32 s29, s29, 4
	v_lshrrev_b32_e32 v3, 28, v3
	s_add_i32 s30, s29, -1
	v_add_u32_e32 v3, v58, v3
	s_waitcnt lgkmcnt(0)
	s_mul_i32 s28, s6, s28
	s_mov_b32 s29, 0
	v_ashrrev_i32_e32 v3, 4, v3
	v_mov_b32_e32 v4, s30
	v_cmp_gt_i32_e32 vcc, s11, v58
	s_lshl_b64 s[28:29], s[28:29], 2
	v_cndmask_b32_e32 v4, v4, v3, vcc
	s_add_u32 s26, s26, s28
	v_ashrrev_i32_e32 v5, 31, v4
	s_addc_u32 s27, s27, s29
	v_lshlrev_b64 v[4:5], 2, v[4:5]
	v_mov_b32_e32 v3, s27
	v_add_co_u32_e32 v4, vcc, s26, v4
	v_addc_co_u32_e32 v5, vcc, v3, v5, vcc
	v_ashrrev_i32_e32 v3, 31, v2
	v_lshrrev_b32_e32 v3, 28, v3
	v_add_u32_e32 v2, v2, v3
	v_ashrrev_i32_e32 v10, 4, v2
	v_min_i32_e32 v2, s30, v10
	v_ashrrev_i32_e32 v3, 31, v2
	v_lshlrev_b64 v[2:3], 2, v[2:3]
	v_add_co_u32_e32 v6, vcc, s26, v2
	v_add_u32_e32 v2, 1, v10
	v_mov_b32_e32 v7, s27
	v_min_i32_e32 v2, s30, v2
	v_addc_co_u32_e32 v7, vcc, v7, v3, vcc
	v_ashrrev_i32_e32 v3, 31, v2
	v_lshlrev_b64 v[2:3], 2, v[2:3]
	v_add_co_u32_e32 v8, vcc, s26, v2
	v_add_u32_e32 v2, 2, v10
	v_mov_b32_e32 v9, s27
	v_min_i32_e32 v2, s30, v2
	v_addc_co_u32_e32 v9, vcc, v9, v3, vcc
	;; [unrolled: 7-line block ×3, first 2 shown]
	v_ashrrev_i32_e32 v3, 31, v2
	v_lshlrev_b64 v[2:3], 2, v[2:3]
	v_mov_b32_e32 v10, s27
	v_add_co_u32_e32 v14, vcc, s26, v2
	v_addc_co_u32_e32 v15, vcc, v10, v3, vcc
	global_load_dword v3, v[4:5], off
	global_load_dword v2, v[6:7], off
	;; [unrolled: 1-line block ×5, first 2 shown]
	s_load_dwordx2 s[28:29], s[4:5], 0x8
	s_andn2_b64 vcc, exec, s[16:17]
	s_cbranch_vccnz .LBB193_11
; %bb.9:
	s_add_u32 s2, s2, s18
	s_addc_u32 s3, s3, s19
	s_load_dword s2, s[2:3], 0x0
	s_branch .LBB193_12
.LBB193_10:
	s_mov_b64 s[12:13], 0
	s_branch .LBB193_2
.LBB193_11:
	s_mov_b32 s2, s6
.LBB193_12:
	s_load_dwordx2 s[26:27], s[4:5], 0x10
	s_load_dwordx4 s[16:19], s[4:5], 0x48
	v_cmp_gt_u32_e32 vcc, 2, v57
	s_mov_b32 s3, 0
	v_mov_b32_e32 v59, 0
	v_mov_b32_e32 v32, 0
	;; [unrolled: 1-line block ×5, first 2 shown]
	s_and_saveexec_b64 s[30:31], vcc
	s_cbranch_execz .LBB193_14
; %bb.13:
	s_load_dwordx2 s[34:35], s[4:5], 0x0
	s_waitcnt lgkmcnt(0)
	s_ashr_i32 s9, s16, 31
	s_mul_hi_u32 s19, s2, s16
	s_mul_i32 s9, s2, s9
	s_add_i32 s37, s19, s9
	s_mul_i32 s36, s2, s16
	s_lshl_b64 s[36:37], s[36:37], 1
	s_add_u32 s9, s34, s36
	s_addc_u32 s16, s35, s37
	s_lshl_b32 s2, s8, 7
	s_lshl_b64 s[34:35], s[2:3], 1
	s_add_u32 s34, s9, s34
	v_lshlrev_b32_e32 v4, 3, v57
	v_lshrrev_b32_e32 v5, 2, v56
	s_addc_u32 s35, s16, s35
	v_add_lshl_u32 v4, v4, v5, 4
	global_load_dwordx4 v[32:35], v4, s[34:35]
.LBB193_14:
	s_or_b64 exec, exec, s[30:31]
	s_waitcnt lgkmcnt(0)
	s_mul_i32 s2, s8, s18
	s_lshl_b64 s[8:9], s[2:3], 1
	s_waitcnt vmcnt(4)
	v_mad_i64_i32 v[4:5], s[30:31], v3, s17, 0
	s_add_u32 s2, s8, s28
	v_lshlrev_b64 v[4:5], 1, v[4:5]
	s_addc_u32 s3, s9, s29
	v_mov_b32_e32 v3, s3
	v_add_co_u32_e64 v4, s[2:3], s2, v4
	v_addc_co_u32_e64 v3, s[2:3], v3, v5, s[2:3]
	v_and_b32_e32 v5, 15, v0
	v_lshlrev_b32_e32 v5, 4, v5
	v_add_co_u32_e64 v4, s[2:3], v4, v5
	v_addc_co_u32_e64 v5, s[2:3], 0, v3, s[2:3]
	global_load_dwordx4 v[52:55], v[4:5], off
	global_load_dwordx4 v[22:25], v[4:5], off offset:256
	global_load_dwordx4 v[18:21], v[4:5], off offset:512
	;; [unrolled: 1-line block ×7, first 2 shown]
	s_and_saveexec_b64 s[2:3], vcc
	s_cbranch_execz .LBB193_16
; %bb.15:
	s_load_dwordx2 s[18:19], s[4:5], 0x40
	v_or_b32_e32 v4, s7, v57
	v_mov_b32_e32 v5, 0
	v_lshlrev_b64 v[4:5], 2, v[4:5]
	s_waitcnt lgkmcnt(0)
	v_mov_b32_e32 v3, s19
	v_add_co_u32_e32 v4, vcc, s18, v4
	v_addc_co_u32_e32 v5, vcc, v3, v5, vcc
	global_load_dword v59, v[4:5], off
.LBB193_16:
	s_or_b64 exec, exec, s[2:3]
	s_waitcnt vmcnt(7)
	v_mfma_f32_4x4x4bf16_1k a[0:3], v[32:33], v[52:53], 0 cbsz:4
	s_add_u32 s3, s26, s8
	v_mfma_f32_4x4x4bf16_1k a[0:3], v[34:35], v[54:55], a[0:3] cbsz:4
	v_lshlrev_b32_e32 v3, 5, v56
	s_waitcnt vmcnt(6)
	v_mfma_f32_4x4x4bf16_1k a[0:3], v[32:33], v[22:23], a[0:3] cbsz:4 abid:1
	v_add_co_u32_e32 v64, vcc, s3, v3
	v_mfma_f32_4x4x4bf16_1k a[0:3], v[34:35], v[24:25], a[0:3] cbsz:4 abid:1
	v_mul_hi_i32 v3, v2, s17
	s_waitcnt vmcnt(5)
	v_mfma_f32_4x4x4bf16_1k a[0:3], v[32:33], v[18:19], a[0:3] cbsz:4 abid:2
	v_ashrrev_i32_e32 v3, 31, v3
	v_mfma_f32_4x4x4bf16_1k a[0:3], v[34:35], v[20:21], a[0:3] cbsz:4 abid:2
	v_mul_hi_i32 v11, v10, s17
	s_waitcnt vmcnt(4)
	v_mfma_f32_4x4x4bf16_1k a[0:3], v[32:33], v[48:49], a[0:3] cbsz:4 abid:3
	s_load_dword s2, s[4:5], 0x1c
	v_mfma_f32_4x4x4bf16_1k a[0:3], v[34:35], v[50:51], a[0:3] cbsz:4 abid:3
	s_addc_u32 s4, s27, s9
	v_lshrrev_b32_e32 v60, 29, v3
	v_mov_b32_e32 v61, 0
	v_ashrrev_i32_e32 v11, 31, v11
	v_mov_b32_e32 v4, s4
	v_mad_i64_i32 v[2:3], s[4:5], v2, s17, v[60:61]
	v_lshrrev_b32_e32 v60, 29, v11
	s_waitcnt vmcnt(3)
	v_mfma_f32_4x4x4bf16_1k a[0:3], v[32:33], v[44:45], a[0:3] cbsz:4 abid:4
	v_mad_i64_i32 v[10:11], s[4:5], v10, s17, v[60:61]
	v_mul_hi_i32 v60, v31, s17
	v_lshlrev_b64 v[2:3], 1, v[2:3]
	v_ashrrev_i32_e32 v52, 31, v60
	v_mfma_f32_4x4x4bf16_1k a[0:3], v[34:35], v[46:47], a[0:3] cbsz:4 abid:4
	v_addc_co_u32_e32 v65, vcc, 0, v4, vcc
	v_and_b32_e32 v2, -16, v2
	v_lshrrev_b32_e32 v60, 29, v52
	v_add_co_u32_e32 v12, vcc, v64, v2
	v_lshlrev_b64 v[10:11], 1, v[10:11]
	v_mad_i64_i32 v[22:23], s[4:5], v31, s17, v[60:61]
	v_mul_hi_i32 v31, v30, s17
	s_waitcnt vmcnt(2)
	v_mfma_f32_4x4x4bf16_1k a[0:3], v[32:33], v[40:41], a[0:3] cbsz:4 abid:5
	v_addc_co_u32_e32 v13, vcc, v65, v3, vcc
	v_and_b32_e32 v10, -16, v10
	v_ashrrev_i32_e32 v31, 31, v31
	v_add_co_u32_e32 v62, vcc, v64, v10
	v_lshlrev_b64 v[22:23], 1, v[22:23]
	v_lshrrev_b32_e32 v60, 29, v31
	v_mfma_f32_4x4x4bf16_1k a[0:3], v[34:35], v[42:43], a[0:3] cbsz:4 abid:5
	v_addc_co_u32_e32 v63, vcc, v65, v11, vcc
	v_and_b32_e32 v18, -16, v22
	v_mad_i64_i32 v[30:31], s[4:5], v30, s17, v[60:61]
	v_add_co_u32_e32 v52, vcc, v64, v18
	v_lshlrev_b64 v[30:31], 1, v[30:31]
	s_waitcnt vmcnt(1)
	v_mfma_f32_4x4x4bf16_1k a[0:3], v[32:33], v[26:27], a[0:3] cbsz:4 abid:6
	v_addc_co_u32_e32 v53, vcc, v65, v23, vcc
	v_and_b32_e32 v26, -16, v30
	v_mfma_f32_4x4x4bf16_1k a[0:3], v[34:35], v[28:29], a[0:3] cbsz:4 abid:6
	v_add_co_u32_e32 v40, vcc, v64, v26
	v_addc_co_u32_e32 v41, vcc, v65, v31, vcc
	global_load_dwordx4 v[2:5], v[12:13], off
	global_load_dwordx4 v[6:9], v[12:13], off offset:16
	s_nop 0
	global_load_dwordx4 v[10:13], v[62:63], off
	global_load_dwordx4 v[14:17], v[62:63], off offset:16
	global_load_dwordx4 v[18:21], v[52:53], off
	global_load_dwordx4 v[22:25], v[52:53], off offset:16
	s_waitcnt vmcnt(6)
	v_mfma_f32_4x4x4bf16_1k a[0:3], v[32:33], v[36:37], a[0:3] cbsz:4 abid:7
	global_load_dwordx4 v[26:29], v[40:41], off
	global_load_dwordx4 v[30:33], v[40:41], off offset:16
	v_mfma_f32_4x4x4bf16_1k a[0:3], v[34:35], v[38:39], a[0:3] cbsz:4 abid:7
	v_cmp_eq_u32_e32 vcc, 0, v57
	v_cndmask_b32_e64 v38, 0, 1.0, vcc
	v_cmp_eq_u32_e32 vcc, 1, v57
	v_mov_b32_e32 v41, 0xff7fffff
	s_nop 0
	v_accvgpr_read_b32 v37, a1
	v_accvgpr_read_b32 v36, a0
	s_waitcnt lgkmcnt(0)
	v_pk_mul_f32 v[36:37], s[2:3], v[36:37] op_sel_hi:[0,1]
	v_accvgpr_read_b32 v35, a3
	v_accvgpr_read_b32 v34, a2
	v_pk_mul_f32 v[34:35], s[2:3], v[34:35] op_sel_hi:[0,1]
	v_mfma_f32_4x4x1f32 a[0:3], v36, v38, 0
	v_cndmask_b32_e64 v36, 0, 1.0, vcc
	v_cmp_eq_u32_e32 vcc, 2, v57
	s_nop 0
	v_mfma_f32_4x4x1f32 a[0:3], v37, v36, a[0:3]
	v_cndmask_b32_e64 v36, 0, 1.0, vcc
	v_cmp_eq_u32_e32 vcc, 3, v57
	s_nop 0
	v_mfma_f32_4x4x1f32 a[0:3], v34, v36, a[0:3]
	v_cndmask_b32_e64 v34, 0, 1.0, vcc
	s_nop 1
	v_mfma_f32_4x4x1f32 a[0:3], v35, v34, a[0:3]
	v_and_b32_e32 v34, -4, v58
	v_subrev_u32_e32 v35, s11, v34
	v_add_u32_e32 v36, 1, v35
	v_cvt_f32_i32_e32 v36, v36
	v_add_u32_e32 v37, 2, v35
	v_cvt_f32_i32_e32 v37, v37
	v_accvgpr_read_b32 v38, a0
	v_fma_f32 v36, v59, v36, v38
	v_accvgpr_read_b32 v38, a1
	v_fma_f32 v37, v59, v37, v38
	v_add_u32_e32 v38, 3, v35
	v_cvt_f32_i32_e32 v38, v38
	v_add_u32_e32 v35, 4, v35
	v_max_f32_e32 v40, 0xff7fffff, v36
	v_cmp_gt_i32_e32 vcc, s11, v34
	v_cvt_f32_i32_e32 v35, v35
	v_cndmask_b32_e32 v40, v41, v40, vcc
	v_or_b32_e32 v41, 1, v34
	v_accvgpr_read_b32 v39, a2
	v_max_f32_e32 v42, v40, v37
	v_cmp_gt_i32_e64 s[2:3], s11, v41
	v_fma_f32 v38, v59, v38, v39
	v_cndmask_b32_e64 v40, v40, v42, s[2:3]
	v_or_b32_e32 v34, 2, v34
	v_accvgpr_read_b32 v39, a3
	v_max_f32_e32 v41, v40, v38
	v_cmp_gt_i32_e64 s[4:5], s11, v34
	v_fmac_f32_e32 v39, v59, v35
	v_cndmask_b32_e64 v34, v40, v41, s[4:5]
	v_or_b32_e32 v40, 3, v58
	v_max_f32_e32 v41, v34, v39
	v_cmp_gt_i32_e64 s[8:9], s11, v40
	v_lshlrev_b32_e32 v35, 2, v0
	v_cndmask_b32_e64 v34, v34, v41, s[8:9]
	v_and_or_b32 v35, v35, 48, v57
	;;#ASMSTART
	v_nop
 v_nop
 v_max_f32_dpp v34, v34, v34 row_ror:4
	;;#ASMEND
	v_lshlrev_b32_e32 v41, 2, v35
	;;#ASMSTART
	v_nop
 v_nop
 v_max_f32_dpp v34, v34, v34 row_ror:8
	;;#ASMEND
	ds_bpermute_b32 v34, v41, v34
	s_waitcnt lgkmcnt(0)
	;;#ASMSTART
	v_nop
 v_nop
 v_max_f32_dpp v34, v34, v34 row_ror:4
	;;#ASMEND
	;;#ASMSTART
	v_nop
 v_nop
 v_max_f32_dpp v40, v34, v34 row_ror:8
	;;#ASMEND
	v_sub_f32_e32 v34, v36, v40
	v_mul_f32_e32 v34, 0x3fb8aa3b, v34
	v_sub_f32_e32 v35, v37, v40
	v_exp_f32_e32 v34, v34
	v_mul_f32_e32 v35, 0x3fb8aa3b, v35
	v_sub_f32_e32 v37, v38, v40
	v_exp_f32_e32 v35, v35
	;; [unrolled: 3-line block ×3, first 2 shown]
	v_mul_f32_e32 v38, 0x3fb8aa3b, v38
	v_exp_f32_e32 v38, v38
	v_cndmask_b32_e32 v34, 0, v34, vcc
	v_add_f32_e32 v36, 0, v34
	v_cndmask_b32_e64 v35, 0, v35, s[2:3]
	v_add_f32_e32 v39, v36, v35
	v_cndmask_b32_e64 v36, 0, v37, s[4:5]
	;; [unrolled: 2-line block ×3, first 2 shown]
	v_add_f32_e32 v38, v39, v37
	;;#ASMSTART
	v_nop
 v_nop
 v_add_f32_dpp v38, v38, v38 row_ror:4
	;;#ASMEND
	;;#ASMSTART
	v_nop
 v_nop
 v_add_f32_dpp v38, v38, v38 row_ror:8
	;;#ASMEND
	ds_bpermute_b32 v38, v41, v38
	s_waitcnt lgkmcnt(0)
	;;#ASMSTART
	v_nop
 v_nop
 v_add_f32_dpp v38, v38, v38 row_ror:4
	;;#ASMEND
	v_cmp_gt_u32_e32 vcc, 4, v56
	;;#ASMSTART
	v_nop
 v_nop
 v_add_f32_dpp v38, v38, v38 row_ror:8
	;;#ASMEND
	s_and_saveexec_b64 s[2:3], vcc
	s_cbranch_execz .LBB193_18
; %bb.17:
	v_mul_u32_u24_e32 v39, 20, v1
	v_lshl_add_u32 v39, v57, 2, v39
	v_add_u32_e32 v39, 0x800, v39
	ds_write2_b32 v39, v40, v38 offset0:128 offset1:148
.LBB193_18:
	s_or_b64 exec, exec, s[2:3]
.LBB193_19:
	s_or_b64 exec, exec, s[24:25]
	s_waitcnt lgkmcnt(0)
	s_barrier
	s_load_dword s2, s[22:23], 0x8
	v_lshlrev_b32_e32 v38, 2, v57
	v_add_u32_e32 v46, 0x800, v38
	ds_read2_b32 v[38:39], v46 offset0:128 offset1:133
	ds_read2_b32 v[42:43], v46 offset0:138 offset1:143
	s_mul_i32 s3, s6, s33
	s_waitcnt lgkmcnt(0)
	s_mul_i32 s3, s3, s2
	s_lshl_b32 s2, s3, 1
	s_mov_b32 s3, 0xff7fffff
	v_max3_f32 v41, v38, s3, v39
	v_max3_f32 v41, v41, v42, v43
	v_sub_f32_e32 v38, v38, v41
	v_mul_f32_e32 v38, 0x3fb8aa3b, v38
	ds_read2_b32 v[44:45], v46 offset0:148 offset1:153
	v_exp_f32_e32 v47, v38
	v_sub_f32_e32 v38, v39, v41
	v_sub_f32_e32 v42, v42, v41
	v_mul_f32_e32 v38, 0x3fb8aa3b, v38
	v_mul_f32_e32 v42, 0x3fb8aa3b, v42
	v_exp_f32_e32 v48, v38
	ds_read2_b32 v[38:39], v46 offset0:158 offset1:163
	v_exp_f32_e32 v46, v42
	v_sub_f32_e32 v42, v43, v41
	v_mul_f32_e32 v42, 0x3fb8aa3b, v42
	v_exp_f32_e32 v43, v42
	s_waitcnt lgkmcnt(1)
	v_fma_f32 v42, v47, v44, 0
	v_fmac_f32_e32 v42, v48, v45
	s_waitcnt lgkmcnt(0)
	v_fmac_f32_e32 v42, v46, v38
	v_fmac_f32_e32 v42, v43, v39
	v_cmp_gt_u32_e32 vcc, 2, v57
	s_and_saveexec_b64 s[4:5], vcc
	s_cbranch_execz .LBB193_21
; %bb.20:
	s_mov_b32 s3, 0
	s_lshl_b64 s[8:9], s[2:3], 2
	s_add_u32 s6, s12, s8
	s_mov_b32 s11, s3
	s_addc_u32 s16, s13, s9
	s_lshl_b64 s[12:13], s[10:11], 2
	s_add_u32 s3, s6, s12
	s_addc_u32 s6, s16, s13
	v_or_b32_e32 v38, s7, v57
	s_add_u32 s8, s14, s8
	v_mul_lo_u32 v38, s33, v38
	v_mov_b32_e32 v39, 0
	s_addc_u32 s9, s15, s9
	v_lshlrev_b64 v[38:39], 2, v[38:39]
	s_add_u32 s8, s8, s12
	v_mov_b32_e32 v43, s6
	v_add_co_u32_e32 v44, vcc, s3, v38
	s_addc_u32 s9, s9, s13
	v_addc_co_u32_e32 v45, vcc, v43, v39, vcc
	v_mov_b32_e32 v43, s9
	v_add_co_u32_e32 v38, vcc, s8, v38
	v_addc_co_u32_e32 v39, vcc, v43, v39, vcc
	global_store_dword v[38:39], v41, off
	global_store_dword v[44:45], v42, off
.LBB193_21:
	s_or_b64 exec, exec, s[4:5]
	v_mov_b32_e32 v38, 0
	v_mov_b32_e32 v39, 0
	s_and_saveexec_b64 s[4:5], s[0:1]
	s_cbranch_execz .LBB193_23
; %bb.22:
	v_add_f32_e32 v38, 0x358637bd, v42
	v_div_scale_f32 v39, s[0:1], v38, v38, 1.0
	v_rcp_f32_e32 v42, v39
	v_div_scale_f32 v43, vcc, 1.0, v38, 1.0
	v_sub_f32_e32 v40, v40, v41
	v_fma_f32 v44, -v39, v42, 1.0
	v_fmac_f32_e32 v42, v44, v42
	v_mul_f32_e32 v44, v43, v42
	v_fma_f32 v45, -v39, v44, v43
	v_mul_f32_e32 v40, 0x3fb8aa3b, v40
	v_fmac_f32_e32 v44, v45, v42
	v_exp_f32_e32 v40, v40
	v_fma_f32 v39, -v39, v44, v43
	v_div_fmas_f32 v39, v39, v42, v44
	v_div_fixup_f32 v38, v39, v38, 1.0
	v_mul_f32_e32 v38, v40, v38
	v_pk_mul_f32 v[34:35], v[34:35], v[38:39] op_sel_hi:[1,0]
	v_pk_mul_f32 v[36:37], v[36:37], v[38:39] op_sel_hi:[1,0]
	v_bfe_u32 v38, v35, 16, 1
	v_bfe_u32 v39, v34, 16, 1
	s_movk_i32 s0, 0x7fff
	v_add3_u32 v34, v34, v39, s0
	v_add3_u32 v35, v35, v38, s0
	s_mov_b32 s1, 0x7060302
	v_perm_b32 v34, v35, v34, s1
	v_bfe_u32 v35, v37, 16, 1
	v_bfe_u32 v38, v36, 16, 1
	v_add3_u32 v36, v36, v38, s0
	v_add3_u32 v35, v37, v35, s0
	v_perm_b32 v35, v35, v36, s1
	s_waitcnt vmcnt(7)
	s_nop 0
	v_mfma_f32_4x4x4bf16_1k a[0:3], v[34:35], v[2:3], 0 cbsz:4
	v_mfma_f32_4x4x4bf16_1k a[0:3], v[34:35], v[4:5], a[0:3] cbsz:4 abid:1
	s_waitcnt vmcnt(6)
	v_mfma_f32_4x4x4bf16_1k a[0:3], v[34:35], v[6:7], a[0:3] cbsz:4 abid:2
	v_mfma_f32_4x4x4bf16_1k a[0:3], v[34:35], v[8:9], a[0:3] cbsz:4 abid:3
	s_waitcnt vmcnt(5)
	v_mfma_f32_4x4x4bf16_1k a[0:3], v[34:35], v[10:11], a[0:3] cbsz:4 abid:4
	;; [unrolled: 3-line block ×7, first 2 shown]
	v_mfma_f32_4x4x4bf16_1k a[0:3], v[34:35], v[32:33], a[0:3] cbsz:4 abid:15
	s_nop 4
	v_accvgpr_read_b32 v5, a1
	v_accvgpr_read_b32 v2, a2
	;; [unrolled: 1-line block ×4, first 2 shown]
	v_bfe_u32 v6, v5, 16, 1
	v_bfe_u32 v7, v4, 16, 1
	;; [unrolled: 1-line block ×3, first 2 shown]
	v_add3_u32 v5, v5, v6, s0
	v_bfe_u32 v6, v2, 16, 1
	v_add3_u32 v4, v4, v7, s0
	v_add3_u32 v2, v2, v6, s0
	;; [unrolled: 1-line block ×3, first 2 shown]
	v_perm_b32 v39, v3, v2, s1
	v_perm_b32 v38, v5, v4, s1
.LBB193_23:
	s_or_b64 exec, exec, s[4:5]
	v_lshlrev_b32_e32 v1, 3, v1
	v_mad_u32_u24 v1, v56, 40, v1
	v_cmp_gt_u32_e32 vcc, 64, v0
	ds_write_b64 v1, v[38:39]
	s_waitcnt lgkmcnt(0)
	s_barrier
	s_and_saveexec_b64 s[0:1], vcc
	s_cbranch_execz .LBB193_25
; %bb.24:
	v_mul_u32_u24_e32 v1, 40, v56
	s_waitcnt vmcnt(7)
	ds_read2_b64 v[2:5], v1 offset1:1
	s_waitcnt vmcnt(6)
	ds_read2_b64 v[6:9], v1 offset0:2 offset1:3
	s_mov_b32 s1, 0
	s_lshl_b32 s0, s2, 6
	s_lshl_b64 s[2:3], s[0:1], 1
	s_waitcnt lgkmcnt(1)
	v_and_b32_e32 v1, 0xffff0000, v2
	v_add_f32_e32 v1, 0, v1
	v_and_b32_e32 v3, 0xffff0000, v4
	v_and_b32_e32 v1, 0xffff0000, v1
	v_add_f32_e32 v1, v1, v3
	s_waitcnt lgkmcnt(0)
	v_and_b32_e32 v5, 0xffff0000, v6
	v_and_b32_e32 v1, 0xffff0000, v1
	v_add_f32_e32 v1, v1, v5
	v_and_b32_e32 v1, 0xffff0000, v1
	v_and_b32_e32 v3, 0xffff0000, v8
	v_add_f32_e32 v7, v1, v3
	v_lshlrev_b32_e32 v1, 16, v2
	s_add_u32 s2, s20, s2
	v_add_f32_e32 v1, 0, v1
	s_addc_u32 s3, s21, s3
	s_lshl_b32 s0, s10, 6
	v_and_b32_e32 v1, 0xffff0000, v1
	v_lshlrev_b32_e32 v2, 16, v4
	s_lshl_b64 s[0:1], s[0:1], 1
	v_add_f32_e32 v1, v1, v2
	s_add_u32 s0, s2, s0
	v_and_b32_e32 v1, 0xffff0000, v1
	v_lshlrev_b32_e32 v2, 16, v6
	s_addc_u32 s1, s3, s1
	s_lshl_b32 s2, s33, 6
	v_add_f32_e32 v1, v1, v2
	v_and_b32_e32 v1, 0xffff0000, v1
	v_lshlrev_b32_e32 v2, 16, v8
	s_mul_i32 s3, s2, s7
	v_add_f32_e32 v1, v1, v2
	v_or_b32_e32 v2, s3, v0
	v_mov_b32_e32 v3, 0
	v_lshlrev_b64 v[4:5], 1, v[2:3]
	v_mov_b32_e32 v2, s1
	v_add_co_u32_e32 v4, vcc, s0, v4
	s_add_i32 s3, s3, s2
	v_addc_co_u32_e32 v5, vcc, v2, v5, vcc
	v_or_b32_e32 v2, s3, v0
	global_store_short_d16_hi v[4:5], v1, off
	v_lshlrev_b64 v[0:1], 1, v[2:3]
	v_mov_b32_e32 v2, s1
	v_add_co_u32_e32 v0, vcc, s0, v0
	v_addc_co_u32_e32 v1, vcc, v2, v1, vcc
	global_store_short_d16_hi v[0:1], v7, off
.LBB193_25:
	s_endpgm
	.section	.rodata,"a",@progbits
	.p2align	6, 0x0
	.amdhsa_kernel _Z38paged_attention_ll4mi_QKV_mfma4_kernelI14__hip_bfloat16S0_LN4vllm18Fp8KVCacheDataTypeE0ES0_Li16ELi64ELi256ELb1ELi2EEvPKT_PKT0_S8_ifPKiSA_SA_iPKfiiiPfSD_PS3_PT2_iSC_SC_
		.amdhsa_group_segment_fixed_size 2720
		.amdhsa_private_segment_fixed_size 0
		.amdhsa_kernarg_size 400
		.amdhsa_user_sgpr_count 6
		.amdhsa_user_sgpr_private_segment_buffer 1
		.amdhsa_user_sgpr_dispatch_ptr 0
		.amdhsa_user_sgpr_queue_ptr 0
		.amdhsa_user_sgpr_kernarg_segment_ptr 1
		.amdhsa_user_sgpr_dispatch_id 0
		.amdhsa_user_sgpr_flat_scratch_init 0
		.amdhsa_user_sgpr_kernarg_preload_length 0
		.amdhsa_user_sgpr_kernarg_preload_offset 0
		.amdhsa_user_sgpr_private_segment_size 0
		.amdhsa_uses_dynamic_stack 0
		.amdhsa_system_sgpr_private_segment_wavefront_offset 0
		.amdhsa_system_sgpr_workgroup_id_x 1
		.amdhsa_system_sgpr_workgroup_id_y 1
		.amdhsa_system_sgpr_workgroup_id_z 1
		.amdhsa_system_sgpr_workgroup_info 0
		.amdhsa_system_vgpr_workitem_id 0
		.amdhsa_next_free_vgpr 72
		.amdhsa_next_free_sgpr 38
		.amdhsa_accum_offset 68
		.amdhsa_reserve_vcc 1
		.amdhsa_reserve_flat_scratch 0
		.amdhsa_float_round_mode_32 0
		.amdhsa_float_round_mode_16_64 0
		.amdhsa_float_denorm_mode_32 3
		.amdhsa_float_denorm_mode_16_64 3
		.amdhsa_dx10_clamp 1
		.amdhsa_ieee_mode 1
		.amdhsa_fp16_overflow 0
		.amdhsa_tg_split 0
		.amdhsa_exception_fp_ieee_invalid_op 0
		.amdhsa_exception_fp_denorm_src 0
		.amdhsa_exception_fp_ieee_div_zero 0
		.amdhsa_exception_fp_ieee_overflow 0
		.amdhsa_exception_fp_ieee_underflow 0
		.amdhsa_exception_fp_ieee_inexact 0
		.amdhsa_exception_int_div_zero 0
	.end_amdhsa_kernel
	.section	.text._Z38paged_attention_ll4mi_QKV_mfma4_kernelI14__hip_bfloat16S0_LN4vllm18Fp8KVCacheDataTypeE0ES0_Li16ELi64ELi256ELb1ELi2EEvPKT_PKT0_S8_ifPKiSA_SA_iPKfiiiPfSD_PS3_PT2_iSC_SC_,"axG",@progbits,_Z38paged_attention_ll4mi_QKV_mfma4_kernelI14__hip_bfloat16S0_LN4vllm18Fp8KVCacheDataTypeE0ES0_Li16ELi64ELi256ELb1ELi2EEvPKT_PKT0_S8_ifPKiSA_SA_iPKfiiiPfSD_PS3_PT2_iSC_SC_,comdat
.Lfunc_end193:
	.size	_Z38paged_attention_ll4mi_QKV_mfma4_kernelI14__hip_bfloat16S0_LN4vllm18Fp8KVCacheDataTypeE0ES0_Li16ELi64ELi256ELb1ELi2EEvPKT_PKT0_S8_ifPKiSA_SA_iPKfiiiPfSD_PS3_PT2_iSC_SC_, .Lfunc_end193-_Z38paged_attention_ll4mi_QKV_mfma4_kernelI14__hip_bfloat16S0_LN4vllm18Fp8KVCacheDataTypeE0ES0_Li16ELi64ELi256ELb1ELi2EEvPKT_PKT0_S8_ifPKiSA_SA_iPKfiiiPfSD_PS3_PT2_iSC_SC_
                                        ; -- End function
	.section	.AMDGPU.csdata,"",@progbits
; Kernel info:
; codeLenInByte = 3448
; NumSgprs: 42
; NumVgprs: 66
; NumAgprs: 4
; TotalNumVgprs: 72
; ScratchSize: 0
; MemoryBound: 0
; FloatMode: 240
; IeeeMode: 1
; LDSByteSize: 2720 bytes/workgroup (compile time only)
; SGPRBlocks: 5
; VGPRBlocks: 8
; NumSGPRsForWavesPerEU: 42
; NumVGPRsForWavesPerEU: 72
; AccumOffset: 68
; Occupancy: 7
; WaveLimiterHint : 1
; COMPUTE_PGM_RSRC2:SCRATCH_EN: 0
; COMPUTE_PGM_RSRC2:USER_SGPR: 6
; COMPUTE_PGM_RSRC2:TRAP_HANDLER: 0
; COMPUTE_PGM_RSRC2:TGID_X_EN: 1
; COMPUTE_PGM_RSRC2:TGID_Y_EN: 1
; COMPUTE_PGM_RSRC2:TGID_Z_EN: 1
; COMPUTE_PGM_RSRC2:TIDIG_COMP_CNT: 0
; COMPUTE_PGM_RSRC3_GFX90A:ACCUM_OFFSET: 16
; COMPUTE_PGM_RSRC3_GFX90A:TG_SPLIT: 0
	.section	.text._Z38paged_attention_ll4mi_QKV_mfma4_kernelI14__hip_bfloat16S0_LN4vllm18Fp8KVCacheDataTypeE0ES0_Li16ELi64ELi256ELb1ELi3EEvPKT_PKT0_S8_ifPKiSA_SA_iPKfiiiPfSD_PS3_PT2_iSC_SC_,"axG",@progbits,_Z38paged_attention_ll4mi_QKV_mfma4_kernelI14__hip_bfloat16S0_LN4vllm18Fp8KVCacheDataTypeE0ES0_Li16ELi64ELi256ELb1ELi3EEvPKT_PKT0_S8_ifPKiSA_SA_iPKfiiiPfSD_PS3_PT2_iSC_SC_,comdat
	.protected	_Z38paged_attention_ll4mi_QKV_mfma4_kernelI14__hip_bfloat16S0_LN4vllm18Fp8KVCacheDataTypeE0ES0_Li16ELi64ELi256ELb1ELi3EEvPKT_PKT0_S8_ifPKiSA_SA_iPKfiiiPfSD_PS3_PT2_iSC_SC_ ; -- Begin function _Z38paged_attention_ll4mi_QKV_mfma4_kernelI14__hip_bfloat16S0_LN4vllm18Fp8KVCacheDataTypeE0ES0_Li16ELi64ELi256ELb1ELi3EEvPKT_PKT0_S8_ifPKiSA_SA_iPKfiiiPfSD_PS3_PT2_iSC_SC_
	.globl	_Z38paged_attention_ll4mi_QKV_mfma4_kernelI14__hip_bfloat16S0_LN4vllm18Fp8KVCacheDataTypeE0ES0_Li16ELi64ELi256ELb1ELi3EEvPKT_PKT0_S8_ifPKiSA_SA_iPKfiiiPfSD_PS3_PT2_iSC_SC_
	.p2align	8
	.type	_Z38paged_attention_ll4mi_QKV_mfma4_kernelI14__hip_bfloat16S0_LN4vllm18Fp8KVCacheDataTypeE0ES0_Li16ELi64ELi256ELb1ELi3EEvPKT_PKT0_S8_ifPKiSA_SA_iPKfiiiPfSD_PS3_PT2_iSC_SC_,@function
_Z38paged_attention_ll4mi_QKV_mfma4_kernelI14__hip_bfloat16S0_LN4vllm18Fp8KVCacheDataTypeE0ES0_Li16ELi64ELi256ELb1ELi3EEvPKT_PKT0_S8_ifPKiSA_SA_iPKfiiiPfSD_PS3_PT2_iSC_SC_: ; @_Z38paged_attention_ll4mi_QKV_mfma4_kernelI14__hip_bfloat16S0_LN4vllm18Fp8KVCacheDataTypeE0ES0_Li16ELi64ELi256ELb1ELi3EEvPKT_PKT0_S8_ifPKiSA_SA_iPKfiiiPfSD_PS3_PT2_iSC_SC_
; %bb.0:
	s_load_dwordx2 s[2:3], s[4:5], 0x30
	s_mov_b32 s10, s7
	s_mov_b64 s[0:1], 0
	s_waitcnt lgkmcnt(0)
	s_cmp_lg_u64 s[2:3], 0
	s_cselect_b64 s[16:17], -1, 0
	s_and_b64 vcc, exec, s[16:17]
	s_cbranch_vccz .LBB194_10
; %bb.1:
	s_add_i32 s12, s6, 1
	s_mov_b32 s13, 0
	s_lshl_b64 s[14:15], s[12:13], 2
	s_add_u32 s14, s2, s14
	s_mov_b32 s7, s13
	s_addc_u32 s15, s3, s15
	s_lshl_b64 s[12:13], s[6:7], 2
	s_add_u32 s12, s2, s12
	s_addc_u32 s13, s3, s13
	s_load_dword s9, s[14:15], 0x0
	s_load_dword s11, s[12:13], 0x0
	s_waitcnt lgkmcnt(0)
	s_sub_i32 s9, s9, s11
	s_cmp_eq_u32 s9, 1
	s_cselect_b64 s[12:13], -1, 0
	s_andn2_b64 vcc, exec, s[0:1]
	s_cbranch_vccnz .LBB194_3
.LBB194_2:
	s_mov_b32 s7, 0
	s_mov_b64 s[12:13], -1
.LBB194_3:
	s_andn2_b64 vcc, exec, s[12:13]
	s_cbranch_vccnz .LBB194_25
; %bb.4:
	s_load_dword s9, s[4:5], 0x9c
	s_load_dwordx2 s[0:1], s[4:5], 0x28
	s_add_u32 s22, s4, 0x90
	s_addc_u32 s23, s5, 0
	s_lshl_b64 s[18:19], s[6:7], 2
	s_waitcnt lgkmcnt(0)
	s_and_b32 s9, s9, 0xffff
	s_add_u32 s0, s0, s18
	s_addc_u32 s1, s1, s19
	s_load_dword s11, s[0:1], 0x0
	s_mul_i32 s9, s10, s9
	s_waitcnt lgkmcnt(0)
	s_cmp_ge_i32 s9, s11
	s_cbranch_scc1 .LBB194_25
; %bb.5:
	v_and_b32_e32 v2, 0xc0, v0
	v_add_u32_e32 v2, s9, v2
	v_lshrrev_b32_e32 v1, 6, v0
	v_cmp_gt_i32_e64 s[0:1], s11, v2
	v_cmp_le_i32_e32 vcc, s11, v2
                                        ; implicit-def: $sgpr27
                                        ; implicit-def: $sgpr26
	s_and_saveexec_b64 s[12:13], vcc
	s_xor_b64 s[12:13], exec, s[12:13]
	s_cbranch_execz .LBB194_7
; %bb.6:
	v_mul_u32_u24_e32 v2, 20, v1
	v_or_b32_e32 v2, 0xa00, v2
	v_mov_b32_e32 v3, 0xa50
	v_mov_b32_e32 v4, 0xff7fffff
	v_mad_u32_u24 v3, v1, 20, v3
	ds_write2_b32 v2, v4, v4 offset1:1
	v_mov_b32_e32 v2, 0
	ds_write2_b32 v3, v2, v2 offset1:1
	v_mov_b32_e32 v3, 0xa08
	s_mov_b32 s26, 0xff7fffff
	s_mov_b32 s27, 0
	v_mad_u32_u24 v3, v1, 20, v3
	v_mov_b32_e32 v5, 0xa58
	v_mad_u32_u24 v5, v1, 20, v5
	ds_write2_b32 v3, v4, v4 offset1:1
	ds_write2_b32 v5, v2, v2 offset1:1
                                        ; implicit-def: $vgpr2
.LBB194_7:
	s_or_saveexec_b64 s[24:25], s[12:13]
	s_load_dwordx2 s[20:21], s[4:5], 0x68
	s_load_dwordx4 s[12:15], s[4:5], 0x58
	s_load_dword s33, s[22:23], 0x4
	v_and_b32_e32 v56, 63, v0
	v_and_b32_e32 v57, 3, v0
	s_mul_i32 s7, s8, 3
	v_mov_b32_e32 v37, s27
	v_mov_b32_e32 v40, s26
	;; [unrolled: 1-line block ×5, first 2 shown]
                                        ; implicit-def: $vgpr3
                                        ; implicit-def: $vgpr7
                                        ; implicit-def: $vgpr11
                                        ; implicit-def: $vgpr15
                                        ; implicit-def: $vgpr19
                                        ; implicit-def: $vgpr23
                                        ; implicit-def: $vgpr27
                                        ; implicit-def: $vgpr31
	s_xor_b64 exec, exec, s[24:25]
	s_cbranch_execz .LBB194_19
; %bb.8:
	s_add_i32 s29, s11, 15
	s_load_dwordx2 s[26:27], s[4:5], 0x20
	s_load_dword s28, s[4:5], 0x38
	s_ashr_i32 s30, s29, 31
	s_lshr_b32 s30, s30, 28
	v_add_u32_e32 v58, s9, v0
	s_add_i32 s29, s29, s30
	v_ashrrev_i32_e32 v3, 31, v58
	s_ashr_i32 s29, s29, 4
	v_lshrrev_b32_e32 v3, 28, v3
	s_add_i32 s30, s29, -1
	v_add_u32_e32 v3, v58, v3
	s_waitcnt lgkmcnt(0)
	s_mul_i32 s28, s6, s28
	s_mov_b32 s29, 0
	v_ashrrev_i32_e32 v3, 4, v3
	v_mov_b32_e32 v4, s30
	v_cmp_gt_i32_e32 vcc, s11, v58
	s_lshl_b64 s[28:29], s[28:29], 2
	v_cndmask_b32_e32 v4, v4, v3, vcc
	s_add_u32 s26, s26, s28
	v_ashrrev_i32_e32 v5, 31, v4
	s_addc_u32 s27, s27, s29
	v_lshlrev_b64 v[4:5], 2, v[4:5]
	v_mov_b32_e32 v3, s27
	v_add_co_u32_e32 v4, vcc, s26, v4
	v_addc_co_u32_e32 v5, vcc, v3, v5, vcc
	v_ashrrev_i32_e32 v3, 31, v2
	v_lshrrev_b32_e32 v3, 28, v3
	v_add_u32_e32 v2, v2, v3
	v_ashrrev_i32_e32 v10, 4, v2
	v_min_i32_e32 v2, s30, v10
	v_ashrrev_i32_e32 v3, 31, v2
	v_lshlrev_b64 v[2:3], 2, v[2:3]
	v_add_co_u32_e32 v6, vcc, s26, v2
	v_add_u32_e32 v2, 1, v10
	v_mov_b32_e32 v7, s27
	v_min_i32_e32 v2, s30, v2
	v_addc_co_u32_e32 v7, vcc, v7, v3, vcc
	v_ashrrev_i32_e32 v3, 31, v2
	v_lshlrev_b64 v[2:3], 2, v[2:3]
	v_add_co_u32_e32 v8, vcc, s26, v2
	v_add_u32_e32 v2, 2, v10
	v_mov_b32_e32 v9, s27
	v_min_i32_e32 v2, s30, v2
	v_addc_co_u32_e32 v9, vcc, v9, v3, vcc
	;; [unrolled: 7-line block ×3, first 2 shown]
	v_ashrrev_i32_e32 v3, 31, v2
	v_lshlrev_b64 v[2:3], 2, v[2:3]
	v_mov_b32_e32 v10, s27
	v_add_co_u32_e32 v14, vcc, s26, v2
	v_addc_co_u32_e32 v15, vcc, v10, v3, vcc
	global_load_dword v3, v[4:5], off
	global_load_dword v2, v[6:7], off
	;; [unrolled: 1-line block ×5, first 2 shown]
	s_load_dwordx2 s[28:29], s[4:5], 0x8
	s_andn2_b64 vcc, exec, s[16:17]
	s_cbranch_vccnz .LBB194_11
; %bb.9:
	s_add_u32 s2, s2, s18
	s_addc_u32 s3, s3, s19
	s_load_dword s2, s[2:3], 0x0
	s_branch .LBB194_12
.LBB194_10:
	s_mov_b64 s[12:13], 0
	s_branch .LBB194_2
.LBB194_11:
	s_mov_b32 s2, s6
.LBB194_12:
	s_load_dwordx2 s[26:27], s[4:5], 0x10
	s_load_dwordx4 s[16:19], s[4:5], 0x48
	v_cmp_ne_u32_e32 vcc, 3, v57
	s_mov_b32 s3, 0
	v_mov_b32_e32 v54, 0
	v_mov_b32_e32 v26, 0
	;; [unrolled: 1-line block ×5, first 2 shown]
	s_and_saveexec_b64 s[30:31], vcc
	s_cbranch_execz .LBB194_14
; %bb.13:
	s_load_dwordx2 s[34:35], s[4:5], 0x0
	s_waitcnt lgkmcnt(0)
	s_ashr_i32 s9, s16, 31
	s_mul_hi_u32 s19, s2, s16
	s_mul_i32 s9, s2, s9
	s_add_i32 s37, s19, s9
	s_mul_i32 s36, s2, s16
	s_lshl_b64 s[36:37], s[36:37], 1
	s_add_u32 s9, s34, s36
	s_mul_i32 s2, s8, 0xc0
	s_addc_u32 s16, s35, s37
	s_lshl_b64 s[34:35], s[2:3], 1
	s_add_u32 s34, s9, s34
	v_lshlrev_b32_e32 v4, 3, v57
	v_lshrrev_b32_e32 v5, 2, v56
	s_addc_u32 s35, s16, s35
	v_add_lshl_u32 v4, v4, v5, 4
	global_load_dwordx4 v[26:29], v4, s[34:35]
.LBB194_14:
	s_or_b64 exec, exec, s[30:31]
	s_waitcnt lgkmcnt(0)
	s_mul_i32 s2, s8, s18
	s_lshl_b64 s[8:9], s[2:3], 1
	s_waitcnt vmcnt(4)
	v_mad_i64_i32 v[4:5], s[30:31], v3, s17, 0
	s_add_u32 s2, s8, s28
	v_lshlrev_b64 v[4:5], 1, v[4:5]
	s_addc_u32 s3, s9, s29
	v_mov_b32_e32 v3, s3
	v_add_co_u32_e64 v4, s[2:3], s2, v4
	v_addc_co_u32_e64 v3, s[2:3], v3, v5, s[2:3]
	v_and_b32_e32 v5, 15, v0
	v_lshlrev_b32_e32 v5, 4, v5
	v_add_co_u32_e64 v4, s[2:3], v4, v5
	v_addc_co_u32_e64 v5, s[2:3], 0, v3, s[2:3]
	global_load_dwordx4 v[50:53], v[4:5], off
	global_load_dwordx4 v[46:49], v[4:5], off offset:256
	global_load_dwordx4 v[22:25], v[4:5], off offset:512
	;; [unrolled: 1-line block ×7, first 2 shown]
	v_mov_b32_e32 v55, 1.0
	s_and_saveexec_b64 s[2:3], vcc
	s_cbranch_execz .LBB194_16
; %bb.15:
	s_load_dwordx2 s[18:19], s[4:5], 0x40
	v_add_u32_e32 v54, s7, v57
	v_mov_b32_e32 v55, 0
	v_lshlrev_b64 v[4:5], 2, v[54:55]
	s_waitcnt lgkmcnt(0)
	v_mov_b32_e32 v3, s19
	v_add_co_u32_e32 v4, vcc, s18, v4
	v_addc_co_u32_e32 v5, vcc, v3, v5, vcc
	global_load_dword v54, v[4:5], off
.LBB194_16:
	s_or_b64 exec, exec, s[2:3]
	s_waitcnt vmcnt(7)
	v_mfma_f32_4x4x4bf16_1k a[0:3], v[26:27], v[50:51], 0 cbsz:4
	s_add_u32 s3, s26, s8
	v_mfma_f32_4x4x4bf16_1k a[0:3], v[28:29], v[52:53], a[0:3] cbsz:4
	v_lshlrev_b32_e32 v3, 5, v56
	s_waitcnt vmcnt(6)
	v_mfma_f32_4x4x4bf16_1k a[0:3], v[26:27], v[46:47], a[0:3] cbsz:4 abid:1
	v_add_co_u32_e32 v61, vcc, s3, v3
	v_mfma_f32_4x4x4bf16_1k a[0:3], v[28:29], v[48:49], a[0:3] cbsz:4 abid:1
	v_mul_hi_i32 v3, v2, s17
	s_waitcnt vmcnt(5)
	v_mfma_f32_4x4x4bf16_1k a[0:3], v[26:27], v[22:23], a[0:3] cbsz:4 abid:2
	v_ashrrev_i32_e32 v3, 31, v3
	v_mfma_f32_4x4x4bf16_1k a[0:3], v[28:29], v[24:25], a[0:3] cbsz:4 abid:2
	s_load_dword s2, s[4:5], 0x1c
	s_waitcnt vmcnt(4)
	v_mfma_f32_4x4x4bf16_1k a[0:3], v[26:27], v[18:19], a[0:3] cbsz:4 abid:3
	s_addc_u32 s4, s27, s9
	v_mfma_f32_4x4x4bf16_1k a[0:3], v[28:29], v[20:21], a[0:3] cbsz:4 abid:3
	v_lshrrev_b32_e32 v62, 29, v3
	s_waitcnt vmcnt(3)
	v_mfma_f32_4x4x4bf16_1k a[0:3], v[26:27], v[42:43], a[0:3] cbsz:4 abid:4
	v_mov_b32_e32 v63, 0
	v_mfma_f32_4x4x4bf16_1k a[0:3], v[28:29], v[44:45], a[0:3] cbsz:4 abid:4
	v_mul_hi_i32 v11, v10, s17
	s_waitcnt vmcnt(2)
	v_mfma_f32_4x4x4bf16_1k a[0:3], v[26:27], v[38:39], a[0:3] cbsz:4 abid:5
	v_mov_b32_e32 v4, s4
	v_mfma_f32_4x4x4bf16_1k a[0:3], v[28:29], v[40:41], a[0:3] cbsz:4 abid:5
	v_mad_i64_i32 v[2:3], s[4:5], v2, s17, v[62:63]
	s_waitcnt vmcnt(1)
	v_mfma_f32_4x4x4bf16_1k a[0:3], v[26:27], v[34:35], a[0:3] cbsz:4 abid:6
	v_ashrrev_i32_e32 v11, 31, v11
	v_mfma_f32_4x4x4bf16_1k a[0:3], v[28:29], v[36:37], a[0:3] cbsz:4 abid:6
	v_lshlrev_b64 v[2:3], 1, v[2:3]
	v_lshrrev_b32_e32 v62, 29, v11
	v_mul_hi_i32 v50, v60, s17
	v_addc_co_u32_e32 v66, vcc, 0, v4, vcc
	v_and_b32_e32 v2, -16, v2
	v_mad_i64_i32 v[10:11], s[4:5], v10, s17, v[62:63]
	v_ashrrev_i32_e32 v50, 31, v50
	s_waitcnt vmcnt(0)
	v_mfma_f32_4x4x4bf16_1k a[0:3], v[26:27], v[30:31], a[0:3] cbsz:4 abid:7
	v_add_co_u32_e32 v12, vcc, v61, v2
	v_lshlrev_b64 v[10:11], 1, v[10:11]
	v_lshrrev_b32_e32 v62, 29, v50
	v_mul_hi_i32 v42, v59, s17
	v_addc_co_u32_e32 v13, vcc, v66, v3, vcc
	v_and_b32_e32 v10, -16, v10
	v_mad_i64_i32 v[46:47], s[4:5], v60, s17, v[62:63]
	v_ashrrev_i32_e32 v42, 31, v42
	v_mfma_f32_4x4x4bf16_1k a[0:3], v[28:29], v[32:33], a[0:3] cbsz:4 abid:7
	v_add_co_u32_e32 v64, vcc, v61, v10
	v_lshlrev_b64 v[22:23], 1, v[46:47]
	v_lshrrev_b32_e32 v62, 29, v42
	v_addc_co_u32_e32 v65, vcc, v66, v11, vcc
	v_and_b32_e32 v22, -16, v22
	v_mad_i64_i32 v[38:39], s[4:5], v59, s17, v[62:63]
	v_accvgpr_read_b32 v29, a1
	v_add_co_u32_e32 v46, vcc, v61, v22
	v_lshlrev_b64 v[34:35], 1, v[38:39]
	v_accvgpr_read_b32 v28, a0
	v_addc_co_u32_e32 v47, vcc, v66, v23, vcc
	v_and_b32_e32 v34, -16, v34
	s_waitcnt lgkmcnt(0)
	v_pk_mul_f32 v[28:29], s[2:3], v[28:29] op_sel_hi:[0,1]
	v_add_co_u32_e32 v34, vcc, v61, v34
	v_addc_co_u32_e32 v35, vcc, v66, v35, vcc
	v_accvgpr_read_b32 v27, a3
	v_accvgpr_read_b32 v26, a2
	v_cmp_eq_u32_e32 vcc, 0, v57
	v_pk_mul_f32 v[36:37], s[2:3], v[26:27] op_sel_hi:[0,1]
	v_cndmask_b32_e64 v26, 0, 1.0, vcc
	v_cmp_eq_u32_e32 vcc, 1, v57
	global_load_dwordx4 v[2:5], v[12:13], off
	global_load_dwordx4 v[6:9], v[12:13], off offset:16
	v_mfma_f32_4x4x1f32 a[0:3], v28, v26, 0
	v_cndmask_b32_e64 v26, 0, 1.0, vcc
	v_cmp_eq_u32_e32 vcc, 2, v57
	global_load_dwordx4 v[10:13], v[64:65], off
	global_load_dwordx4 v[14:17], v[64:65], off offset:16
	v_mfma_f32_4x4x1f32 a[0:3], v29, v26, a[0:3]
	v_cndmask_b32_e64 v26, 0, 1.0, vcc
	global_load_dwordx4 v[18:21], v[46:47], off
	global_load_dwordx4 v[22:25], v[46:47], off offset:16
	v_mfma_f32_4x4x1f32 a[0:3], v36, v26, a[0:3]
	global_load_dwordx4 v[26:29], v[34:35], off
	global_load_dwordx4 v[30:33], v[34:35], off offset:16
	v_and_b32_e32 v34, -4, v58
	v_subrev_u32_e32 v35, s11, v34
	v_add_u32_e32 v36, 1, v35
	v_mfma_f32_4x4x1f32 a[0:3], v37, v55, a[0:3]
	v_cvt_f32_i32_e32 v36, v36
	v_add_u32_e32 v37, 2, v35
	v_cvt_f32_i32_e32 v37, v37
	v_mov_b32_e32 v41, 0xff7fffff
	v_cmp_gt_i32_e32 vcc, s11, v34
	v_accvgpr_read_b32 v38, a0
	v_fma_f32 v36, v54, v36, v38
	v_accvgpr_read_b32 v38, a1
	v_fma_f32 v37, v54, v37, v38
	v_add_u32_e32 v38, 3, v35
	v_cvt_f32_i32_e32 v38, v38
	v_add_u32_e32 v35, 4, v35
	v_max_f32_e32 v40, 0xff7fffff, v36
	v_cvt_f32_i32_e32 v35, v35
	v_cndmask_b32_e32 v40, v41, v40, vcc
	v_or_b32_e32 v41, 1, v34
	v_accvgpr_read_b32 v39, a2
	v_max_f32_e32 v42, v40, v37
	v_cmp_gt_i32_e64 s[2:3], s11, v41
	v_fma_f32 v38, v54, v38, v39
	v_cndmask_b32_e64 v40, v40, v42, s[2:3]
	v_or_b32_e32 v34, 2, v34
	v_accvgpr_read_b32 v39, a3
	v_max_f32_e32 v41, v40, v38
	v_cmp_gt_i32_e64 s[4:5], s11, v34
	v_fmac_f32_e32 v39, v54, v35
	v_cndmask_b32_e64 v34, v40, v41, s[4:5]
	v_or_b32_e32 v40, 3, v58
	v_max_f32_e32 v41, v34, v39
	v_cmp_gt_i32_e64 s[8:9], s11, v40
	v_lshlrev_b32_e32 v35, 2, v0
	v_cndmask_b32_e64 v34, v34, v41, s[8:9]
	v_and_or_b32 v35, v35, 48, v57
	;;#ASMSTART
	v_nop
 v_nop
 v_max_f32_dpp v34, v34, v34 row_ror:4
	;;#ASMEND
	v_lshlrev_b32_e32 v41, 2, v35
	;;#ASMSTART
	v_nop
 v_nop
 v_max_f32_dpp v34, v34, v34 row_ror:8
	;;#ASMEND
	ds_bpermute_b32 v34, v41, v34
	s_waitcnt lgkmcnt(0)
	;;#ASMSTART
	v_nop
 v_nop
 v_max_f32_dpp v34, v34, v34 row_ror:4
	;;#ASMEND
	;;#ASMSTART
	v_nop
 v_nop
 v_max_f32_dpp v40, v34, v34 row_ror:8
	;;#ASMEND
	v_sub_f32_e32 v34, v36, v40
	v_mul_f32_e32 v34, 0x3fb8aa3b, v34
	v_sub_f32_e32 v35, v37, v40
	v_exp_f32_e32 v34, v34
	v_mul_f32_e32 v35, 0x3fb8aa3b, v35
	v_sub_f32_e32 v37, v38, v40
	v_exp_f32_e32 v35, v35
	v_mul_f32_e32 v37, 0x3fb8aa3b, v37
	v_sub_f32_e32 v38, v39, v40
	v_exp_f32_e32 v37, v37
	v_mul_f32_e32 v38, 0x3fb8aa3b, v38
	v_exp_f32_e32 v38, v38
	v_cndmask_b32_e32 v34, 0, v34, vcc
	v_add_f32_e32 v36, 0, v34
	v_cndmask_b32_e64 v35, 0, v35, s[2:3]
	v_add_f32_e32 v39, v36, v35
	v_cndmask_b32_e64 v36, 0, v37, s[4:5]
	;; [unrolled: 2-line block ×3, first 2 shown]
	v_add_f32_e32 v38, v39, v37
	;;#ASMSTART
	v_nop
 v_nop
 v_add_f32_dpp v38, v38, v38 row_ror:4
	;;#ASMEND
	;;#ASMSTART
	v_nop
 v_nop
 v_add_f32_dpp v38, v38, v38 row_ror:8
	;;#ASMEND
	ds_bpermute_b32 v38, v41, v38
	s_waitcnt lgkmcnt(0)
	;;#ASMSTART
	v_nop
 v_nop
 v_add_f32_dpp v38, v38, v38 row_ror:4
	;;#ASMEND
	v_cmp_gt_u32_e32 vcc, 4, v56
	;;#ASMSTART
	v_nop
 v_nop
 v_add_f32_dpp v38, v38, v38 row_ror:8
	;;#ASMEND
	s_and_saveexec_b64 s[2:3], vcc
	s_cbranch_execz .LBB194_18
; %bb.17:
	v_mul_u32_u24_e32 v39, 20, v1
	v_lshl_add_u32 v39, v57, 2, v39
	v_add_u32_e32 v39, 0x800, v39
	ds_write2_b32 v39, v40, v38 offset0:128 offset1:148
.LBB194_18:
	s_or_b64 exec, exec, s[2:3]
.LBB194_19:
	s_or_b64 exec, exec, s[24:25]
	s_waitcnt lgkmcnt(0)
	s_barrier
	s_load_dword s2, s[22:23], 0x8
	v_lshlrev_b32_e32 v38, 2, v57
	v_add_u32_e32 v46, 0x800, v38
	ds_read2_b32 v[38:39], v46 offset0:128 offset1:133
	ds_read2_b32 v[42:43], v46 offset0:138 offset1:143
	s_mul_i32 s3, s6, s33
	s_waitcnt lgkmcnt(0)
	s_mul_i32 s2, s3, s2
	s_mov_b32 s3, 0xff7fffff
	v_max3_f32 v41, v38, s3, v39
	v_max3_f32 v41, v41, v42, v43
	v_sub_f32_e32 v38, v38, v41
	v_mul_f32_e32 v38, 0x3fb8aa3b, v38
	ds_read2_b32 v[44:45], v46 offset0:148 offset1:153
	v_exp_f32_e32 v47, v38
	v_sub_f32_e32 v38, v39, v41
	v_sub_f32_e32 v42, v42, v41
	v_mul_f32_e32 v38, 0x3fb8aa3b, v38
	v_mul_f32_e32 v42, 0x3fb8aa3b, v42
	v_exp_f32_e32 v48, v38
	ds_read2_b32 v[38:39], v46 offset0:158 offset1:163
	v_exp_f32_e32 v46, v42
	v_sub_f32_e32 v42, v43, v41
	v_mul_f32_e32 v42, 0x3fb8aa3b, v42
	v_exp_f32_e32 v43, v42
	s_waitcnt lgkmcnt(1)
	v_fma_f32 v42, v47, v44, 0
	v_fmac_f32_e32 v42, v48, v45
	s_waitcnt lgkmcnt(0)
	v_fmac_f32_e32 v42, v46, v38
	s_mul_i32 s2, s2, 3
	v_fmac_f32_e32 v42, v43, v39
	v_cmp_ne_u32_e32 vcc, 3, v57
	s_and_saveexec_b64 s[4:5], vcc
	s_cbranch_execz .LBB194_21
; %bb.20:
	s_mov_b32 s3, 0
	s_lshl_b64 s[8:9], s[2:3], 2
	s_add_u32 s6, s12, s8
	s_mov_b32 s11, s3
	s_addc_u32 s16, s13, s9
	s_lshl_b64 s[12:13], s[10:11], 2
	s_add_u32 s3, s6, s12
	s_addc_u32 s6, s16, s13
	v_add_u32_e32 v38, s7, v57
	s_add_u32 s8, s14, s8
	v_mul_lo_u32 v38, s33, v38
	v_mov_b32_e32 v39, 0
	s_addc_u32 s9, s15, s9
	v_lshlrev_b64 v[38:39], 2, v[38:39]
	s_add_u32 s8, s8, s12
	v_mov_b32_e32 v43, s6
	v_add_co_u32_e32 v44, vcc, s3, v38
	s_addc_u32 s9, s9, s13
	v_addc_co_u32_e32 v45, vcc, v43, v39, vcc
	v_mov_b32_e32 v43, s9
	v_add_co_u32_e32 v38, vcc, s8, v38
	v_addc_co_u32_e32 v39, vcc, v43, v39, vcc
	global_store_dword v[38:39], v41, off
	global_store_dword v[44:45], v42, off
.LBB194_21:
	s_or_b64 exec, exec, s[4:5]
	v_mov_b32_e32 v38, 0
	v_mov_b32_e32 v39, 0
	s_and_saveexec_b64 s[4:5], s[0:1]
	s_cbranch_execz .LBB194_23
; %bb.22:
	v_add_f32_e32 v38, 0x358637bd, v42
	v_div_scale_f32 v39, s[0:1], v38, v38, 1.0
	v_rcp_f32_e32 v42, v39
	v_div_scale_f32 v43, vcc, 1.0, v38, 1.0
	v_sub_f32_e32 v40, v40, v41
	v_fma_f32 v44, -v39, v42, 1.0
	v_fmac_f32_e32 v42, v44, v42
	v_mul_f32_e32 v44, v43, v42
	v_fma_f32 v45, -v39, v44, v43
	v_mul_f32_e32 v40, 0x3fb8aa3b, v40
	v_fmac_f32_e32 v44, v45, v42
	v_exp_f32_e32 v40, v40
	v_fma_f32 v39, -v39, v44, v43
	v_div_fmas_f32 v39, v39, v42, v44
	v_div_fixup_f32 v38, v39, v38, 1.0
	v_mul_f32_e32 v38, v40, v38
	v_pk_mul_f32 v[34:35], v[34:35], v[38:39] op_sel_hi:[1,0]
	v_pk_mul_f32 v[36:37], v[36:37], v[38:39] op_sel_hi:[1,0]
	v_bfe_u32 v38, v35, 16, 1
	v_bfe_u32 v39, v34, 16, 1
	s_movk_i32 s0, 0x7fff
	v_add3_u32 v34, v34, v39, s0
	v_add3_u32 v35, v35, v38, s0
	s_mov_b32 s1, 0x7060302
	v_perm_b32 v34, v35, v34, s1
	v_bfe_u32 v35, v37, 16, 1
	v_bfe_u32 v38, v36, 16, 1
	v_add3_u32 v36, v36, v38, s0
	v_add3_u32 v35, v37, v35, s0
	v_perm_b32 v35, v35, v36, s1
	s_waitcnt vmcnt(7)
	s_nop 0
	v_mfma_f32_4x4x4bf16_1k a[0:3], v[34:35], v[2:3], 0 cbsz:4
	v_mfma_f32_4x4x4bf16_1k a[0:3], v[34:35], v[4:5], a[0:3] cbsz:4 abid:1
	s_waitcnt vmcnt(6)
	v_mfma_f32_4x4x4bf16_1k a[0:3], v[34:35], v[6:7], a[0:3] cbsz:4 abid:2
	v_mfma_f32_4x4x4bf16_1k a[0:3], v[34:35], v[8:9], a[0:3] cbsz:4 abid:3
	s_waitcnt vmcnt(5)
	v_mfma_f32_4x4x4bf16_1k a[0:3], v[34:35], v[10:11], a[0:3] cbsz:4 abid:4
	v_mfma_f32_4x4x4bf16_1k a[0:3], v[34:35], v[12:13], a[0:3] cbsz:4 abid:5
	s_waitcnt vmcnt(4)
	v_mfma_f32_4x4x4bf16_1k a[0:3], v[34:35], v[14:15], a[0:3] cbsz:4 abid:6
	v_mfma_f32_4x4x4bf16_1k a[0:3], v[34:35], v[16:17], a[0:3] cbsz:4 abid:7
	s_waitcnt vmcnt(3)
	v_mfma_f32_4x4x4bf16_1k a[0:3], v[34:35], v[18:19], a[0:3] cbsz:4 abid:8
	v_mfma_f32_4x4x4bf16_1k a[0:3], v[34:35], v[20:21], a[0:3] cbsz:4 abid:9
	s_waitcnt vmcnt(2)
	v_mfma_f32_4x4x4bf16_1k a[0:3], v[34:35], v[22:23], a[0:3] cbsz:4 abid:10
	v_mfma_f32_4x4x4bf16_1k a[0:3], v[34:35], v[24:25], a[0:3] cbsz:4 abid:11
	s_waitcnt vmcnt(1)
	v_mfma_f32_4x4x4bf16_1k a[0:3], v[34:35], v[26:27], a[0:3] cbsz:4 abid:12
	v_mfma_f32_4x4x4bf16_1k a[0:3], v[34:35], v[28:29], a[0:3] cbsz:4 abid:13
	s_waitcnt vmcnt(0)
	v_mfma_f32_4x4x4bf16_1k a[0:3], v[34:35], v[30:31], a[0:3] cbsz:4 abid:14
	v_mfma_f32_4x4x4bf16_1k a[0:3], v[34:35], v[32:33], a[0:3] cbsz:4 abid:15
	s_nop 4
	v_accvgpr_read_b32 v5, a1
	v_accvgpr_read_b32 v2, a2
	;; [unrolled: 1-line block ×4, first 2 shown]
	v_bfe_u32 v6, v5, 16, 1
	v_bfe_u32 v7, v4, 16, 1
	;; [unrolled: 1-line block ×3, first 2 shown]
	v_add3_u32 v5, v5, v6, s0
	v_bfe_u32 v6, v2, 16, 1
	v_add3_u32 v4, v4, v7, s0
	v_add3_u32 v2, v2, v6, s0
	;; [unrolled: 1-line block ×3, first 2 shown]
	v_perm_b32 v39, v3, v2, s1
	v_perm_b32 v38, v5, v4, s1
.LBB194_23:
	s_or_b64 exec, exec, s[4:5]
	v_lshlrev_b32_e32 v1, 3, v1
	v_mad_u32_u24 v1, v56, 40, v1
	v_cmp_gt_u32_e32 vcc, 64, v0
	ds_write_b64 v1, v[38:39]
	s_waitcnt lgkmcnt(0)
	s_barrier
	s_and_saveexec_b64 s[0:1], vcc
	s_cbranch_execz .LBB194_25
; %bb.24:
	v_mul_u32_u24_e32 v1, 40, v56
	s_waitcnt vmcnt(7)
	ds_read2_b64 v[2:5], v1 offset1:1
	s_waitcnt vmcnt(6)
	ds_read2_b64 v[6:9], v1 offset0:2 offset1:3
	s_mov_b32 s1, 0
	s_lshl_b32 s0, s2, 6
	s_lshl_b64 s[2:3], s[0:1], 1
	s_waitcnt lgkmcnt(1)
	v_and_b32_e32 v1, 0xffff0000, v2
	v_lshlrev_b32_e32 v3, 16, v3
	v_add_f32_e32 v1, 0, v1
	v_add_f32_e32 v3, 0, v3
	v_and_b32_e32 v1, 0xffff0000, v1
	s_waitcnt vmcnt(5)
	v_and_b32_e32 v10, 0xffff0000, v4
	v_and_b32_e32 v3, 0xffff0000, v3
	v_add_f32_e32 v1, v1, v10
	v_lshlrev_b32_e32 v5, 16, v5
	v_and_b32_e32 v1, 0xffff0000, v1
	v_add_f32_e32 v3, v3, v5
	s_waitcnt lgkmcnt(0)
	v_and_b32_e32 v5, 0xffff0000, v6
	v_and_b32_e32 v3, 0xffff0000, v3
	v_add_f32_e32 v1, v1, v5
	v_lshlrev_b32_e32 v5, 16, v7
	v_and_b32_e32 v1, 0xffff0000, v1
	v_add_f32_e32 v3, v3, v5
	v_and_b32_e32 v5, 0xffff0000, v8
	v_lshlrev_b32_e32 v2, 16, v2
	v_and_b32_e32 v3, 0xffff0000, v3
	v_add_f32_e32 v1, v1, v5
	v_lshlrev_b32_e32 v5, 16, v9
	s_add_u32 s2, s20, s2
	v_add_f32_e32 v2, 0, v2
	v_add_f32_e32 v7, v3, v5
	s_addc_u32 s3, s21, s3
	s_lshl_b32 s0, s10, 6
	v_and_b32_e32 v2, 0xffff0000, v2
	v_lshlrev_b32_e32 v3, 16, v4
	s_lshl_b64 s[0:1], s[0:1], 1
	v_add_f32_e32 v2, v2, v3
	s_add_u32 s0, s2, s0
	v_and_b32_e32 v2, 0xffff0000, v2
	v_lshlrev_b32_e32 v3, 16, v6
	s_addc_u32 s1, s3, s1
	s_lshl_b32 s2, s33, 6
	v_add_f32_e32 v2, v2, v3
	v_and_b32_e32 v2, 0xffff0000, v2
	v_lshlrev_b32_e32 v3, 16, v8
	s_mul_i32 s3, s2, s7
	v_add_f32_e32 v6, v2, v3
	v_or_b32_e32 v2, s3, v0
	v_mov_b32_e32 v3, 0
	v_lshlrev_b64 v[4:5], 1, v[2:3]
	v_mov_b32_e32 v2, s1
	v_add_co_u32_e32 v4, vcc, s0, v4
	s_add_i32 s3, s3, s2
	v_addc_co_u32_e32 v5, vcc, v2, v5, vcc
	v_or_b32_e32 v2, s3, v0
	global_store_short_d16_hi v[4:5], v6, off
	v_lshlrev_b64 v[4:5], 1, v[2:3]
	v_mov_b32_e32 v2, s1
	v_add_co_u32_e32 v4, vcc, s0, v4
	s_add_i32 s3, s3, s2
	v_addc_co_u32_e32 v5, vcc, v2, v5, vcc
	v_or_b32_e32 v2, s3, v0
	global_store_short_d16_hi v[4:5], v1, off
	v_lshlrev_b64 v[0:1], 1, v[2:3]
	v_mov_b32_e32 v2, s1
	v_add_co_u32_e32 v0, vcc, s0, v0
	v_addc_co_u32_e32 v1, vcc, v2, v1, vcc
	global_store_short_d16_hi v[0:1], v7, off
.LBB194_25:
	s_endpgm
	.section	.rodata,"a",@progbits
	.p2align	6, 0x0
	.amdhsa_kernel _Z38paged_attention_ll4mi_QKV_mfma4_kernelI14__hip_bfloat16S0_LN4vllm18Fp8KVCacheDataTypeE0ES0_Li16ELi64ELi256ELb1ELi3EEvPKT_PKT0_S8_ifPKiSA_SA_iPKfiiiPfSD_PS3_PT2_iSC_SC_
		.amdhsa_group_segment_fixed_size 2720
		.amdhsa_private_segment_fixed_size 0
		.amdhsa_kernarg_size 400
		.amdhsa_user_sgpr_count 6
		.amdhsa_user_sgpr_private_segment_buffer 1
		.amdhsa_user_sgpr_dispatch_ptr 0
		.amdhsa_user_sgpr_queue_ptr 0
		.amdhsa_user_sgpr_kernarg_segment_ptr 1
		.amdhsa_user_sgpr_dispatch_id 0
		.amdhsa_user_sgpr_flat_scratch_init 0
		.amdhsa_user_sgpr_kernarg_preload_length 0
		.amdhsa_user_sgpr_kernarg_preload_offset 0
		.amdhsa_user_sgpr_private_segment_size 0
		.amdhsa_uses_dynamic_stack 0
		.amdhsa_system_sgpr_private_segment_wavefront_offset 0
		.amdhsa_system_sgpr_workgroup_id_x 1
		.amdhsa_system_sgpr_workgroup_id_y 1
		.amdhsa_system_sgpr_workgroup_id_z 1
		.amdhsa_system_sgpr_workgroup_info 0
		.amdhsa_system_vgpr_workitem_id 0
		.amdhsa_next_free_vgpr 72
		.amdhsa_next_free_sgpr 38
		.amdhsa_accum_offset 68
		.amdhsa_reserve_vcc 1
		.amdhsa_reserve_flat_scratch 0
		.amdhsa_float_round_mode_32 0
		.amdhsa_float_round_mode_16_64 0
		.amdhsa_float_denorm_mode_32 3
		.amdhsa_float_denorm_mode_16_64 3
		.amdhsa_dx10_clamp 1
		.amdhsa_ieee_mode 1
		.amdhsa_fp16_overflow 0
		.amdhsa_tg_split 0
		.amdhsa_exception_fp_ieee_invalid_op 0
		.amdhsa_exception_fp_denorm_src 0
		.amdhsa_exception_fp_ieee_div_zero 0
		.amdhsa_exception_fp_ieee_overflow 0
		.amdhsa_exception_fp_ieee_underflow 0
		.amdhsa_exception_fp_ieee_inexact 0
		.amdhsa_exception_int_div_zero 0
	.end_amdhsa_kernel
	.section	.text._Z38paged_attention_ll4mi_QKV_mfma4_kernelI14__hip_bfloat16S0_LN4vllm18Fp8KVCacheDataTypeE0ES0_Li16ELi64ELi256ELb1ELi3EEvPKT_PKT0_S8_ifPKiSA_SA_iPKfiiiPfSD_PS3_PT2_iSC_SC_,"axG",@progbits,_Z38paged_attention_ll4mi_QKV_mfma4_kernelI14__hip_bfloat16S0_LN4vllm18Fp8KVCacheDataTypeE0ES0_Li16ELi64ELi256ELb1ELi3EEvPKT_PKT0_S8_ifPKiSA_SA_iPKfiiiPfSD_PS3_PT2_iSC_SC_,comdat
.Lfunc_end194:
	.size	_Z38paged_attention_ll4mi_QKV_mfma4_kernelI14__hip_bfloat16S0_LN4vllm18Fp8KVCacheDataTypeE0ES0_Li16ELi64ELi256ELb1ELi3EEvPKT_PKT0_S8_ifPKiSA_SA_iPKfiiiPfSD_PS3_PT2_iSC_SC_, .Lfunc_end194-_Z38paged_attention_ll4mi_QKV_mfma4_kernelI14__hip_bfloat16S0_LN4vllm18Fp8KVCacheDataTypeE0ES0_Li16ELi64ELi256ELb1ELi3EEvPKT_PKT0_S8_ifPKiSA_SA_iPKfiiiPfSD_PS3_PT2_iSC_SC_
                                        ; -- End function
	.section	.AMDGPU.csdata,"",@progbits
; Kernel info:
; codeLenInByte = 3520
; NumSgprs: 42
; NumVgprs: 67
; NumAgprs: 4
; TotalNumVgprs: 72
; ScratchSize: 0
; MemoryBound: 0
; FloatMode: 240
; IeeeMode: 1
; LDSByteSize: 2720 bytes/workgroup (compile time only)
; SGPRBlocks: 5
; VGPRBlocks: 8
; NumSGPRsForWavesPerEU: 42
; NumVGPRsForWavesPerEU: 72
; AccumOffset: 68
; Occupancy: 7
; WaveLimiterHint : 1
; COMPUTE_PGM_RSRC2:SCRATCH_EN: 0
; COMPUTE_PGM_RSRC2:USER_SGPR: 6
; COMPUTE_PGM_RSRC2:TRAP_HANDLER: 0
; COMPUTE_PGM_RSRC2:TGID_X_EN: 1
; COMPUTE_PGM_RSRC2:TGID_Y_EN: 1
; COMPUTE_PGM_RSRC2:TGID_Z_EN: 1
; COMPUTE_PGM_RSRC2:TIDIG_COMP_CNT: 0
; COMPUTE_PGM_RSRC3_GFX90A:ACCUM_OFFSET: 16
; COMPUTE_PGM_RSRC3_GFX90A:TG_SPLIT: 0
	.section	.text._Z38paged_attention_ll4mi_QKV_mfma4_kernelI14__hip_bfloat16S0_LN4vllm18Fp8KVCacheDataTypeE0ES0_Li16ELi64ELi256ELb1ELi4EEvPKT_PKT0_S8_ifPKiSA_SA_iPKfiiiPfSD_PS3_PT2_iSC_SC_,"axG",@progbits,_Z38paged_attention_ll4mi_QKV_mfma4_kernelI14__hip_bfloat16S0_LN4vllm18Fp8KVCacheDataTypeE0ES0_Li16ELi64ELi256ELb1ELi4EEvPKT_PKT0_S8_ifPKiSA_SA_iPKfiiiPfSD_PS3_PT2_iSC_SC_,comdat
	.protected	_Z38paged_attention_ll4mi_QKV_mfma4_kernelI14__hip_bfloat16S0_LN4vllm18Fp8KVCacheDataTypeE0ES0_Li16ELi64ELi256ELb1ELi4EEvPKT_PKT0_S8_ifPKiSA_SA_iPKfiiiPfSD_PS3_PT2_iSC_SC_ ; -- Begin function _Z38paged_attention_ll4mi_QKV_mfma4_kernelI14__hip_bfloat16S0_LN4vllm18Fp8KVCacheDataTypeE0ES0_Li16ELi64ELi256ELb1ELi4EEvPKT_PKT0_S8_ifPKiSA_SA_iPKfiiiPfSD_PS3_PT2_iSC_SC_
	.globl	_Z38paged_attention_ll4mi_QKV_mfma4_kernelI14__hip_bfloat16S0_LN4vllm18Fp8KVCacheDataTypeE0ES0_Li16ELi64ELi256ELb1ELi4EEvPKT_PKT0_S8_ifPKiSA_SA_iPKfiiiPfSD_PS3_PT2_iSC_SC_
	.p2align	8
	.type	_Z38paged_attention_ll4mi_QKV_mfma4_kernelI14__hip_bfloat16S0_LN4vllm18Fp8KVCacheDataTypeE0ES0_Li16ELi64ELi256ELb1ELi4EEvPKT_PKT0_S8_ifPKiSA_SA_iPKfiiiPfSD_PS3_PT2_iSC_SC_,@function
_Z38paged_attention_ll4mi_QKV_mfma4_kernelI14__hip_bfloat16S0_LN4vllm18Fp8KVCacheDataTypeE0ES0_Li16ELi64ELi256ELb1ELi4EEvPKT_PKT0_S8_ifPKiSA_SA_iPKfiiiPfSD_PS3_PT2_iSC_SC_: ; @_Z38paged_attention_ll4mi_QKV_mfma4_kernelI14__hip_bfloat16S0_LN4vllm18Fp8KVCacheDataTypeE0ES0_Li16ELi64ELi256ELb1ELi4EEvPKT_PKT0_S8_ifPKiSA_SA_iPKfiiiPfSD_PS3_PT2_iSC_SC_
; %bb.0:
	s_load_dwordx2 s[2:3], s[4:5], 0x30
	s_mov_b32 s10, s7
	s_mov_b64 s[0:1], 0
	s_waitcnt lgkmcnt(0)
	s_cmp_lg_u64 s[2:3], 0
	s_cselect_b64 s[16:17], -1, 0
	s_and_b64 vcc, exec, s[16:17]
	s_cbranch_vccz .LBB195_18
; %bb.1:
	s_add_i32 s12, s6, 1
	s_mov_b32 s13, 0
	s_lshl_b64 s[14:15], s[12:13], 2
	s_add_u32 s14, s2, s14
	s_mov_b32 s7, s13
	s_addc_u32 s15, s3, s15
	s_lshl_b64 s[12:13], s[6:7], 2
	s_add_u32 s12, s2, s12
	s_addc_u32 s13, s3, s13
	s_load_dword s9, s[14:15], 0x0
	s_load_dword s11, s[12:13], 0x0
	s_mov_b64 s[30:31], s[6:7]
	s_waitcnt lgkmcnt(0)
	s_sub_i32 s9, s9, s11
	s_cmp_eq_u32 s9, 1
	s_cselect_b64 s[12:13], -1, 0
	s_andn2_b64 vcc, exec, s[0:1]
	s_cbranch_vccnz .LBB195_3
.LBB195_2:
	s_mov_b32 s7, 0
	s_mov_b64 s[12:13], -1
	s_mov_b64 s[30:31], s[6:7]
.LBB195_3:
	s_andn2_b64 vcc, exec, s[12:13]
	s_cbranch_vccnz .LBB195_17
; %bb.4:
	s_load_dword s7, s[4:5], 0x9c
	s_load_dwordx2 s[0:1], s[4:5], 0x28
	s_add_u32 s26, s4, 0x90
	s_addc_u32 s27, s5, 0
	s_lshl_b64 s[18:19], s[30:31], 2
	s_waitcnt lgkmcnt(0)
	s_and_b32 s7, s7, 0xffff
	s_add_u32 s0, s0, s18
	s_addc_u32 s1, s1, s19
	s_load_dword s9, s[0:1], 0x0
	s_mul_i32 s11, s10, s7
	s_waitcnt lgkmcnt(0)
	s_cmp_ge_i32 s11, s9
	s_cbranch_scc1 .LBB195_17
; %bb.5:
	v_and_b32_e32 v2, 0xc0, v0
	v_and_b32_e32 v41, 3, v0
	s_lshl_b32 s7, s8, 2
	v_add_u32_e32 v2, s11, v2
	v_lshrrev_b32_e32 v1, 6, v0
	v_cmp_gt_i32_e64 s[0:1], s9, v2
	v_cmp_le_i32_e32 vcc, s9, v2
	v_or_b32_e32 v34, s7, v41
                                        ; implicit-def: $sgpr21
                                        ; implicit-def: $sgpr20
	s_and_saveexec_b64 s[12:13], vcc
	s_xor_b64 s[12:13], exec, s[12:13]
	s_cbranch_execz .LBB195_7
; %bb.6:
	v_mul_u32_u24_e32 v2, 20, v1
	v_or_b32_e32 v2, 0xa00, v2
	v_mov_b32_e32 v3, 0xa50
	v_mov_b32_e32 v4, 0xff7fffff
	v_mad_u32_u24 v3, v1, 20, v3
	ds_write2_b32 v2, v4, v4 offset1:1
	v_mov_b32_e32 v2, 0
	ds_write2_b32 v3, v2, v2 offset1:1
	v_mov_b32_e32 v3, 0xa08
	s_mov_b32 s20, 0xff7fffff
	s_mov_b32 s21, 0
	v_mad_u32_u24 v3, v1, 20, v3
	v_mov_b32_e32 v5, 0xa58
	v_or_b32_e32 v34, s7, v41
	v_mad_u32_u24 v5, v1, 20, v5
	ds_write2_b32 v3, v4, v4 offset1:1
	ds_write2_b32 v5, v2, v2 offset1:1
                                        ; implicit-def: $vgpr2
.LBB195_7:
	s_or_saveexec_b64 s[28:29], s[12:13]
	s_load_dwordx2 s[24:25], s[4:5], 0x68
	s_load_dwordx4 s[12:15], s[4:5], 0x58
	s_load_dword s33, s[26:27], 0x4
	v_and_b32_e32 v40, 63, v0
	v_mov_b32_e32 v39, s21
	v_mov_b32_e32 v42, s20
	;; [unrolled: 1-line block ×5, first 2 shown]
                                        ; implicit-def: $vgpr3
                                        ; implicit-def: $vgpr7
                                        ; implicit-def: $vgpr11
                                        ; implicit-def: $vgpr15
                                        ; implicit-def: $vgpr19
                                        ; implicit-def: $vgpr23
                                        ; implicit-def: $vgpr27
                                        ; implicit-def: $vgpr31
	s_xor_b64 exec, exec, s[28:29]
	s_cbranch_execz .LBB195_13
; %bb.8:
	s_add_i32 s23, s9, 15
	s_load_dwordx2 s[20:21], s[4:5], 0x20
	s_load_dword s22, s[4:5], 0x38
	s_ashr_i32 s34, s23, 31
	s_lshr_b32 s34, s34, 28
	v_add_u32_e32 v36, s11, v0
	s_add_i32 s23, s23, s34
	v_ashrrev_i32_e32 v3, 31, v36
	s_ashr_i32 s23, s23, 4
	v_lshrrev_b32_e32 v3, 28, v3
	s_add_i32 s34, s23, -1
	v_add_u32_e32 v3, v36, v3
	s_waitcnt lgkmcnt(0)
	s_mul_i32 s38, s6, s22
	s_mov_b32 s39, 0
	v_ashrrev_i32_e32 v3, 4, v3
	v_mov_b32_e32 v4, s34
	v_cmp_gt_i32_e32 vcc, s9, v36
	s_lshl_b64 s[22:23], s[38:39], 2
	v_cndmask_b32_e32 v4, v4, v3, vcc
	s_add_u32 s20, s20, s22
	v_ashrrev_i32_e32 v5, 31, v4
	s_addc_u32 s21, s21, s23
	v_lshlrev_b64 v[4:5], 2, v[4:5]
	v_mov_b32_e32 v3, s21
	v_add_co_u32_e32 v8, vcc, s20, v4
	v_addc_co_u32_e32 v9, vcc, v3, v5, vcc
	v_ashrrev_i32_e32 v3, 31, v2
	v_lshrrev_b32_e32 v3, 28, v3
	v_add_u32_e32 v2, v2, v3
	v_ashrrev_i32_e32 v4, 4, v2
	v_min_i32_e32 v2, s34, v4
	v_ashrrev_i32_e32 v3, 31, v2
	v_lshlrev_b64 v[2:3], 2, v[2:3]
	v_add_co_u32_e32 v10, vcc, s20, v2
	v_add_u32_e32 v2, 1, v4
	v_mov_b32_e32 v5, s21
	v_min_i32_e32 v2, s34, v2
	v_addc_co_u32_e32 v11, vcc, v5, v3, vcc
	v_ashrrev_i32_e32 v3, 31, v2
	v_lshlrev_b64 v[2:3], 2, v[2:3]
	v_add_co_u32_e32 v12, vcc, s20, v2
	v_add_u32_e32 v2, 2, v4
	v_min_i32_e32 v2, s34, v2
	v_addc_co_u32_e32 v13, vcc, v5, v3, vcc
	v_ashrrev_i32_e32 v3, 31, v2
	v_lshlrev_b64 v[2:3], 2, v[2:3]
	v_add_co_u32_e32 v14, vcc, s20, v2
	v_add_u32_e32 v2, 3, v4
	v_min_i32_e32 v2, s34, v2
	v_addc_co_u32_e32 v15, vcc, v5, v3, vcc
	v_ashrrev_i32_e32 v3, 31, v2
	v_lshlrev_b64 v[2:3], 2, v[2:3]
	v_mov_b32_e32 v4, s21
	v_add_co_u32_e32 v16, vcc, s20, v2
	v_addc_co_u32_e32 v17, vcc, v4, v3, vcc
	global_load_dword v6, v[8:9], off
	global_load_dword v2, v[10:11], off
	;; [unrolled: 1-line block ×5, first 2 shown]
	s_load_dwordx2 s[36:37], s[4:5], 0x40
	s_load_dwordx4 s[20:23], s[4:5], 0x0
	s_load_dwordx2 s[34:35], s[4:5], 0x10
	s_andn2_b64 vcc, exec, s[16:17]
	s_cbranch_vccnz .LBB195_10
; %bb.9:
	s_add_u32 s2, s2, s18
	s_addc_u32 s3, s3, s19
	s_load_dword s38, s[2:3], 0x0
	s_waitcnt lgkmcnt(0)
	s_mov_b64 s[30:31], s[38:39]
.LBB195_10:
	s_load_dwordx4 s[16:19], s[4:5], 0x48
	v_lshrrev_b32_e32 v7, 2, v40
	v_lshlrev_b32_e32 v8, 3, v41
	v_add_lshl_u32 v7, v8, v7, 4
	v_mov_b32_e32 v35, 0
	s_waitcnt lgkmcnt(0)
	s_ashr_i32 s3, s16, 31
	s_mul_hi_u32 s11, s30, s16
	s_mul_i32 s3, s30, s3
	s_mul_i32 s19, s31, s16
	s_add_i32 s3, s11, s3
	s_mul_i32 s2, s30, s16
	s_add_i32 s3, s3, s19
	s_lshl_b64 s[2:3], s[2:3], 1
	s_add_u32 s11, s20, s2
	s_addc_u32 s16, s21, s3
	s_lshl_b32 s38, s8, 8
	s_lshl_b64 s[2:3], s[38:39], 1
	s_add_u32 s2, s11, s2
	s_addc_u32 s3, s16, s3
	global_load_dwordx4 v[42:45], v7, s[2:3]
	s_waitcnt vmcnt(5)
	v_mad_i64_i32 v[6:7], s[2:3], v6, s17, 0
	s_mul_i32 s38, s8, s18
	s_lshl_b64 s[2:3], s[38:39], 1
	s_add_u32 s8, s2, s22
	v_lshlrev_b64 v[6:7], 1, v[6:7]
	s_addc_u32 s11, s3, s23
	v_mov_b32_e32 v8, s11
	v_add_co_u32_e32 v6, vcc, s8, v6
	v_addc_co_u32_e32 v7, vcc, v8, v7, vcc
	v_and_b32_e32 v8, 15, v0
	v_lshlrev_b32_e32 v8, 4, v8
	v_add_co_u32_e32 v38, vcc, v6, v8
	v_addc_co_u32_e32 v39, vcc, 0, v7, vcc
	global_load_dwordx4 v[6:9], v[38:39], off
	global_load_dwordx4 v[10:13], v[38:39], off offset:256
	global_load_dwordx4 v[14:17], v[38:39], off offset:512
	;; [unrolled: 1-line block ×7, first 2 shown]
	v_lshlrev_b64 v[50:51], 2, v[34:35]
	v_mov_b32_e32 v37, s37
	v_add_co_u32_e32 v50, vcc, s36, v50
	v_addc_co_u32_e32 v51, vcc, v37, v51, vcc
	v_mov_b32_e32 v53, v35
	v_mov_b32_e32 v39, v35
	;; [unrolled: 1-line block ×4, first 2 shown]
	global_load_dword v35, v[50:51], off
	s_waitcnt vmcnt(13)
	v_mul_hi_i32 v37, v2, s17
	s_waitcnt vmcnt(12)
	v_mul_hi_i32 v38, v3, s17
	;; [unrolled: 2-line block ×4, first 2 shown]
	v_ashrrev_i32_e32 v37, 31, v37
	v_ashrrev_i32_e32 v38, 31, v38
	;; [unrolled: 1-line block ×4, first 2 shown]
	v_lshrrev_b32_e32 v52, 29, v37
	v_lshrrev_b32_e32 v38, 29, v38
	;; [unrolled: 1-line block ×4, first 2 shown]
	v_mad_i64_i32 v[50:51], s[18:19], v2, s17, v[52:53]
	s_add_u32 s2, s34, s2
	v_lshlrev_b32_e32 v58, 5, v40
	v_mad_i64_i32 v[2:3], s[18:19], v3, s17, v[38:39]
	v_mad_i64_i32 v[38:39], s[18:19], v4, s17, v[54:55]
	;; [unrolled: 1-line block ×3, first 2 shown]
	v_lshlrev_b64 v[50:51], 1, v[50:51]
	s_addc_u32 s3, s35, s3
	v_lshlrev_b64 v[52:53], 1, v[4:5]
	v_and_b32_e32 v4, -16, v50
	v_add_co_u32_e32 v50, vcc, s2, v58
	v_and_b32_e32 v37, -16, v52
	v_lshlrev_b64 v[2:3], 1, v[2:3]
	v_and_b32_e32 v2, -16, v2
	v_lshlrev_b64 v[38:39], 1, v[38:39]
	v_and_b32_e32 v5, -16, v38
	s_load_dword s4, s[4:5], 0x1c
	s_waitcnt vmcnt(8)
	v_mfma_f32_4x4x4bf16_1k a[0:3], v[42:43], v[6:7], 0 cbsz:4
	v_mov_b32_e32 v6, s3
	v_mfma_f32_4x4x4bf16_1k a[0:3], v[44:45], v[8:9], a[0:3] cbsz:4
	v_addc_co_u32_e32 v52, vcc, 0, v6, vcc
	s_waitcnt vmcnt(7)
	v_mfma_f32_4x4x4bf16_1k a[0:3], v[42:43], v[10:11], a[0:3] cbsz:4 abid:1
	v_add_co_u32_e32 v10, vcc, v50, v4
	v_mfma_f32_4x4x4bf16_1k a[0:3], v[44:45], v[12:13], a[0:3] cbsz:4 abid:1
	v_addc_co_u32_e32 v11, vcc, v52, v51, vcc
	s_waitcnt vmcnt(6)
	v_mfma_f32_4x4x4bf16_1k a[0:3], v[42:43], v[14:15], a[0:3] cbsz:4 abid:2
	v_mfma_f32_4x4x4bf16_1k a[0:3], v[44:45], v[16:17], a[0:3] cbsz:4 abid:2
	s_waitcnt vmcnt(5)
	v_mfma_f32_4x4x4bf16_1k a[0:3], v[42:43], v[18:19], a[0:3] cbsz:4 abid:3
	v_add_co_u32_e32 v18, vcc, v50, v2
	v_mfma_f32_4x4x4bf16_1k a[0:3], v[44:45], v[20:21], a[0:3] cbsz:4 abid:3
	v_addc_co_u32_e32 v19, vcc, v52, v3, vcc
	s_waitcnt vmcnt(4)
	v_mfma_f32_4x4x4bf16_1k a[0:3], v[42:43], v[22:23], a[0:3] cbsz:4 abid:4
	v_add_co_u32_e32 v38, vcc, v50, v5
	v_mfma_f32_4x4x4bf16_1k a[0:3], v[44:45], v[24:25], a[0:3] cbsz:4 abid:4
	v_addc_co_u32_e32 v39, vcc, v52, v39, vcc
	s_waitcnt vmcnt(3)
	v_mfma_f32_4x4x4bf16_1k a[0:3], v[42:43], v[26:27], a[0:3] cbsz:4 abid:5
	global_load_dwordx4 v[2:5], v[10:11], off
	global_load_dwordx4 v[6:9], v[10:11], off offset:16
	v_mfma_f32_4x4x4bf16_1k a[0:3], v[44:45], v[28:29], a[0:3] cbsz:4 abid:5
	global_load_dwordx4 v[10:13], v[18:19], off
	global_load_dwordx4 v[14:17], v[18:19], off offset:16
	s_waitcnt vmcnt(6)
	v_mfma_f32_4x4x4bf16_1k a[0:3], v[42:43], v[30:31], a[0:3] cbsz:4 abid:6
	global_load_dwordx4 v[18:21], v[38:39], off
	global_load_dwordx4 v[22:25], v[38:39], off offset:16
	v_add_co_u32_e32 v38, vcc, v50, v37
	v_addc_co_u32_e32 v39, vcc, v52, v53, vcc
	v_mfma_f32_4x4x4bf16_1k a[0:3], v[44:45], v[32:33], a[0:3] cbsz:4 abid:6
	global_load_dwordx4 v[26:29], v[38:39], off
	global_load_dwordx4 v[30:33], v[38:39], off offset:16
	s_waitcnt vmcnt(9)
	v_mfma_f32_4x4x4bf16_1k a[0:3], v[42:43], v[46:47], a[0:3] cbsz:4 abid:7
	v_cmp_eq_u32_e32 vcc, 0, v41
	v_mfma_f32_4x4x4bf16_1k a[0:3], v[44:45], v[48:49], a[0:3] cbsz:4 abid:7
	v_cndmask_b32_e64 v37, 0, 1.0, vcc
	v_cmp_eq_u32_e32 vcc, 1, v41
	s_nop 2
	v_accvgpr_read_b32 v43, a1
	v_accvgpr_read_b32 v42, a0
	s_waitcnt lgkmcnt(0)
	v_pk_mul_f32 v[42:43], s[4:5], v[42:43] op_sel_hi:[0,1]
	v_accvgpr_read_b32 v39, a3
	v_accvgpr_read_b32 v38, a2
	v_pk_mul_f32 v[38:39], s[4:5], v[38:39] op_sel_hi:[0,1]
	v_mfma_f32_4x4x1f32 a[0:3], v42, v37, 0
	v_cndmask_b32_e64 v37, 0, 1.0, vcc
	v_cmp_eq_u32_e32 vcc, 2, v41
	s_nop 0
	v_mfma_f32_4x4x1f32 a[0:3], v43, v37, a[0:3]
	v_cndmask_b32_e64 v37, 0, 1.0, vcc
	v_cmp_eq_u32_e32 vcc, 3, v41
	s_nop 0
	v_mfma_f32_4x4x1f32 a[0:3], v38, v37, a[0:3]
	v_cndmask_b32_e64 v37, 0, 1.0, vcc
	s_nop 1
	v_mfma_f32_4x4x1f32 a[0:3], v39, v37, a[0:3]
	v_and_b32_e32 v37, -4, v36
	v_subrev_u32_e32 v38, s9, v37
	v_add_u32_e32 v39, 1, v38
	v_cvt_f32_i32_e32 v39, v39
	v_add_u32_e32 v42, 2, v38
	v_cvt_f32_i32_e32 v42, v42
	v_accvgpr_read_b32 v43, a0
	s_waitcnt vmcnt(8)
	v_fma_f32 v39, v35, v39, v43
	v_accvgpr_read_b32 v43, a1
	v_fma_f32 v43, v35, v42, v43
	v_add_u32_e32 v42, 3, v38
	v_add_u32_e32 v38, 4, v38
	v_cvt_f32_i32_e32 v42, v42
	v_cvt_f32_i32_e32 v38, v38
	v_accvgpr_read_b32 v44, a2
	v_accvgpr_read_b32 v45, a3
	v_fma_f32 v44, v35, v42, v44
	v_fmac_f32_e32 v45, v35, v38
	v_max_f32_e32 v38, 0xff7fffff, v39
	v_mov_b32_e32 v42, 0xff7fffff
	v_cmp_gt_i32_e32 vcc, s9, v37
	v_cndmask_b32_e32 v38, v42, v38, vcc
	v_or_b32_e32 v42, 1, v37
	v_max_f32_e32 v46, v38, v43
	v_cmp_gt_i32_e64 s[2:3], s9, v42
	v_cndmask_b32_e64 v38, v38, v46, s[2:3]
	v_or_b32_e32 v37, 2, v37
	v_max_f32_e32 v42, v38, v44
	v_cmp_gt_i32_e64 s[4:5], s9, v37
	v_cndmask_b32_e64 v37, v38, v42, s[4:5]
	v_or_b32_e32 v36, 3, v36
	v_max_f32_e32 v38, v37, v45
	v_cmp_gt_i32_e64 s[8:9], s9, v36
	v_lshlrev_b32_e32 v35, 2, v0
	v_cndmask_b32_e64 v36, v37, v38, s[8:9]
	v_and_or_b32 v35, v35, 48, v41
	;;#ASMSTART
	v_nop
 v_nop
 v_max_f32_dpp v36, v36, v36 row_ror:4
	;;#ASMEND
	v_lshlrev_b32_e32 v35, 2, v35
	;;#ASMSTART
	v_nop
 v_nop
 v_max_f32_dpp v36, v36, v36 row_ror:8
	;;#ASMEND
	ds_bpermute_b32 v36, v35, v36
	s_waitcnt lgkmcnt(0)
	;;#ASMSTART
	v_nop
 v_nop
 v_max_f32_dpp v36, v36, v36 row_ror:4
	;;#ASMEND
	;;#ASMSTART
	v_nop
 v_nop
 v_max_f32_dpp v42, v36, v36 row_ror:8
	;;#ASMEND
	v_sub_f32_e32 v36, v39, v42
	v_mul_f32_e32 v36, 0x3fb8aa3b, v36
	v_sub_f32_e32 v37, v43, v42
	v_exp_f32_e32 v36, v36
	v_mul_f32_e32 v37, 0x3fb8aa3b, v37
	v_sub_f32_e32 v39, v44, v42
	v_exp_f32_e32 v37, v37
	;; [unrolled: 3-line block ×3, first 2 shown]
	v_mul_f32_e32 v43, 0x3fb8aa3b, v43
	v_exp_f32_e32 v43, v43
	v_cndmask_b32_e32 v36, 0, v36, vcc
	v_add_f32_e32 v38, 0, v36
	v_cndmask_b32_e64 v37, 0, v37, s[2:3]
	v_add_f32_e32 v44, v38, v37
	v_cndmask_b32_e64 v38, 0, v39, s[4:5]
	;; [unrolled: 2-line block ×3, first 2 shown]
	v_add_f32_e32 v43, v44, v39
	;;#ASMSTART
	v_nop
 v_nop
 v_add_f32_dpp v43, v43, v43 row_ror:4
	;;#ASMEND
	;;#ASMSTART
	v_nop
 v_nop
 v_add_f32_dpp v43, v43, v43 row_ror:8
	;;#ASMEND
	ds_bpermute_b32 v35, v35, v43
	s_waitcnt lgkmcnt(0)
	;;#ASMSTART
	v_nop
 v_nop
 v_add_f32_dpp v35, v35, v35 row_ror:4
	;;#ASMEND
	v_cmp_gt_u32_e32 vcc, 4, v40
	;;#ASMSTART
	v_nop
 v_nop
 v_add_f32_dpp v35, v35, v35 row_ror:8
	;;#ASMEND
	s_and_saveexec_b64 s[2:3], vcc
	s_cbranch_execz .LBB195_12
; %bb.11:
	v_mul_u32_u24_e32 v43, 20, v1
	v_lshl_add_u32 v43, v41, 2, v43
	v_add_u32_e32 v43, 0x800, v43
	ds_write2_b32 v43, v42, v35 offset0:128 offset1:148
.LBB195_12:
	s_or_b64 exec, exec, s[2:3]
.LBB195_13:
	s_or_b64 exec, exec, s[28:29]
	v_lshlrev_b32_e32 v35, 2, v41
	v_add_u32_e32 v35, 0x800, v35
	s_waitcnt lgkmcnt(0)
	s_barrier
	s_load_dword s2, s[26:27], 0x8
	ds_read2_b32 v[44:45], v35 offset0:128 offset1:133
	ds_read2_b32 v[46:47], v35 offset0:138 offset1:143
	s_mov_b32 s8, 0xff7fffff
	s_mul_i32 s3, s6, s33
	ds_read2_b32 v[48:49], v35 offset0:148 offset1:153
	s_waitcnt lgkmcnt(0)
	v_max3_f32 v41, v44, s8, v45
	v_max3_f32 v41, v41, v46, v47
	v_sub_f32_e32 v43, v44, v41
	v_sub_f32_e32 v44, v45, v41
	s_mul_i32 s3, s3, s2
	v_mul_f32_e32 v43, 0x3fb8aa3b, v43
	v_mul_f32_e32 v44, 0x3fb8aa3b, v44
	s_lshl_b32 s2, s3, 2
	s_mov_b32 s3, 0
	v_exp_f32_e32 v43, v43
	v_exp_f32_e32 v50, v44
	ds_read2_b32 v[44:45], v35 offset0:158 offset1:163
	v_sub_f32_e32 v35, v46, v41
	s_lshl_b64 s[4:5], s[2:3], 2
	v_mul_f32_e32 v35, 0x3fb8aa3b, v35
	v_sub_f32_e32 v46, v47, v41
	s_mov_b32 s11, s3
	s_add_u32 s3, s12, s4
	v_exp_f32_e32 v35, v35
	v_mul_f32_e32 v46, 0x3fb8aa3b, v46
	s_addc_u32 s6, s13, s5
	v_exp_f32_e32 v46, v46
	s_add_u32 s8, s14, s4
	v_fma_f32 v43, v43, v48, 0
	s_addc_u32 s9, s15, s5
	s_lshl_b64 s[4:5], s[10:11], 2
	v_fmac_f32_e32 v43, v50, v49
	s_add_u32 s8, s8, s4
	s_waitcnt lgkmcnt(0)
	v_fmac_f32_e32 v43, v35, v44
	v_mul_lo_u32 v34, s33, v34
	v_mov_b32_e32 v35, 0
	s_addc_u32 s9, s9, s5
	v_fmac_f32_e32 v43, v46, v45
	v_lshlrev_b64 v[44:45], 2, v[34:35]
	s_add_u32 s3, s3, s4
	v_mov_b32_e32 v34, s9
	v_add_co_u32_e32 v46, vcc, s8, v44
	s_addc_u32 s4, s6, s5
	v_addc_co_u32_e32 v47, vcc, v34, v45, vcc
	v_mov_b32_e32 v34, s4
	v_add_co_u32_e32 v44, vcc, s3, v44
	v_addc_co_u32_e32 v45, vcc, v34, v45, vcc
	v_mov_b32_e32 v34, v35
	global_store_dword v[46:47], v41, off
	global_store_dword v[44:45], v43, off
	s_and_saveexec_b64 s[4:5], s[0:1]
	s_cbranch_execz .LBB195_15
; %bb.14:
	v_add_f32_e32 v34, 0x358637bd, v43
	v_div_scale_f32 v35, s[0:1], v34, v34, 1.0
	v_rcp_f32_e32 v43, v35
	v_div_scale_f32 v44, vcc, 1.0, v34, 1.0
	v_sub_f32_e32 v41, v42, v41
	v_fma_f32 v45, -v35, v43, 1.0
	v_fmac_f32_e32 v43, v45, v43
	v_mul_f32_e32 v45, v44, v43
	v_fma_f32 v46, -v35, v45, v44
	v_mul_f32_e32 v41, 0x3fb8aa3b, v41
	v_fmac_f32_e32 v45, v46, v43
	v_exp_f32_e32 v41, v41
	v_fma_f32 v35, -v35, v45, v44
	v_div_fmas_f32 v35, v35, v43, v45
	v_div_fixup_f32 v34, v35, v34, 1.0
	v_mul_f32_e32 v34, v41, v34
	v_pk_mul_f32 v[38:39], v[38:39], v[34:35] op_sel_hi:[1,0]
	v_pk_mul_f32 v[34:35], v[36:37], v[34:35] op_sel_hi:[1,0]
	v_bfe_u32 v36, v35, 16, 1
	v_bfe_u32 v37, v34, 16, 1
	s_movk_i32 s0, 0x7fff
	v_add3_u32 v34, v34, v37, s0
	v_add3_u32 v35, v35, v36, s0
	s_mov_b32 s1, 0x7060302
	v_perm_b32 v34, v35, v34, s1
	v_bfe_u32 v35, v39, 16, 1
	v_bfe_u32 v36, v38, 16, 1
	v_add3_u32 v36, v38, v36, s0
	v_add3_u32 v35, v39, v35, s0
	v_perm_b32 v35, v35, v36, s1
	s_waitcnt vmcnt(9)
	s_nop 0
	v_mfma_f32_4x4x4bf16_1k a[0:3], v[34:35], v[2:3], 0 cbsz:4
	v_mfma_f32_4x4x4bf16_1k a[0:3], v[34:35], v[4:5], a[0:3] cbsz:4 abid:1
	s_waitcnt vmcnt(8)
	v_mfma_f32_4x4x4bf16_1k a[0:3], v[34:35], v[6:7], a[0:3] cbsz:4 abid:2
	v_mfma_f32_4x4x4bf16_1k a[0:3], v[34:35], v[8:9], a[0:3] cbsz:4 abid:3
	s_waitcnt vmcnt(7)
	v_mfma_f32_4x4x4bf16_1k a[0:3], v[34:35], v[10:11], a[0:3] cbsz:4 abid:4
	v_mfma_f32_4x4x4bf16_1k a[0:3], v[34:35], v[12:13], a[0:3] cbsz:4 abid:5
	s_waitcnt vmcnt(6)
	v_mfma_f32_4x4x4bf16_1k a[0:3], v[34:35], v[14:15], a[0:3] cbsz:4 abid:6
	v_mfma_f32_4x4x4bf16_1k a[0:3], v[34:35], v[16:17], a[0:3] cbsz:4 abid:7
	s_waitcnt vmcnt(5)
	v_mfma_f32_4x4x4bf16_1k a[0:3], v[34:35], v[18:19], a[0:3] cbsz:4 abid:8
	v_mfma_f32_4x4x4bf16_1k a[0:3], v[34:35], v[20:21], a[0:3] cbsz:4 abid:9
	s_waitcnt vmcnt(4)
	v_mfma_f32_4x4x4bf16_1k a[0:3], v[34:35], v[22:23], a[0:3] cbsz:4 abid:10
	v_mfma_f32_4x4x4bf16_1k a[0:3], v[34:35], v[24:25], a[0:3] cbsz:4 abid:11
	s_waitcnt vmcnt(3)
	v_mfma_f32_4x4x4bf16_1k a[0:3], v[34:35], v[26:27], a[0:3] cbsz:4 abid:12
	v_mfma_f32_4x4x4bf16_1k a[0:3], v[34:35], v[28:29], a[0:3] cbsz:4 abid:13
	s_waitcnt vmcnt(2)
	v_mfma_f32_4x4x4bf16_1k a[0:3], v[34:35], v[30:31], a[0:3] cbsz:4 abid:14
	v_mfma_f32_4x4x4bf16_1k a[0:3], v[34:35], v[32:33], a[0:3] cbsz:4 abid:15
	s_nop 4
	v_accvgpr_read_b32 v5, a1
	v_accvgpr_read_b32 v2, a2
	;; [unrolled: 1-line block ×4, first 2 shown]
	v_bfe_u32 v6, v5, 16, 1
	v_bfe_u32 v7, v4, 16, 1
	;; [unrolled: 1-line block ×3, first 2 shown]
	v_add3_u32 v5, v5, v6, s0
	v_bfe_u32 v6, v2, 16, 1
	v_add3_u32 v4, v4, v7, s0
	v_add3_u32 v2, v2, v6, s0
	;; [unrolled: 1-line block ×3, first 2 shown]
	v_perm_b32 v35, v3, v2, s1
	v_perm_b32 v34, v5, v4, s1
.LBB195_15:
	s_or_b64 exec, exec, s[4:5]
	v_lshlrev_b32_e32 v1, 3, v1
	v_mad_u32_u24 v1, v40, 40, v1
	v_cmp_gt_u32_e32 vcc, 64, v0
	ds_write_b64 v1, v[34:35]
	s_waitcnt lgkmcnt(0)
	s_barrier
	s_and_saveexec_b64 s[0:1], vcc
	s_cbranch_execz .LBB195_17
; %bb.16:
	v_mul_u32_u24_e32 v1, 40, v40
	s_waitcnt vmcnt(9)
	ds_read2_b64 v[2:5], v1 offset1:1
	s_waitcnt vmcnt(8)
	ds_read2_b64 v[6:9], v1 offset0:2 offset1:3
	s_mov_b32 s1, 0
	s_lshl_b32 s0, s2, 6
	s_lshl_b64 s[2:3], s[0:1], 1
	s_waitcnt lgkmcnt(1)
	v_lshlrev_b32_e32 v1, 16, v2
	v_and_b32_e32 v2, 0xffff0000, v2
	v_add_f32_e32 v1, 0, v1
	v_add_f32_e32 v2, 0, v2
	s_waitcnt vmcnt(7)
	v_lshlrev_b32_e32 v10, 16, v3
	v_and_b32_e32 v3, 0xffff0000, v3
	v_and_b32_e32 v1, 0xffff0000, v1
	;; [unrolled: 1-line block ×3, first 2 shown]
	v_add_f32_e32 v3, 0, v3
	v_lshlrev_b32_e32 v11, 16, v4
	v_and_b32_e32 v4, 0xffff0000, v4
	v_add_f32_e32 v10, 0, v10
	v_and_b32_e32 v3, 0xffff0000, v3
	v_add_f32_e32 v1, v1, v11
	v_add_f32_e32 v2, v2, v4
	v_lshlrev_b32_e32 v4, 16, v5
	v_and_b32_e32 v5, 0xffff0000, v5
	v_and_b32_e32 v10, 0xffff0000, v10
	;; [unrolled: 1-line block ×3, first 2 shown]
	v_add_f32_e32 v3, v3, v5
	s_waitcnt lgkmcnt(0)
	v_lshlrev_b32_e32 v5, 16, v6
	v_and_b32_e32 v2, 0xffff0000, v2
	v_add_f32_e32 v4, v10, v4
	v_add_f32_e32 v1, v1, v5
	v_and_b32_e32 v5, 0xffff0000, v6
	v_and_b32_e32 v4, 0xffff0000, v4
	v_add_f32_e32 v2, v2, v5
	v_lshlrev_b32_e32 v5, 16, v7
	s_add_u32 s2, s24, s2
	v_and_b32_e32 v3, 0xffff0000, v3
	v_add_f32_e32 v4, v4, v5
	v_and_b32_e32 v5, 0xffff0000, v7
	s_addc_u32 s3, s25, s3
	s_lshl_b32 s0, s10, 6
	v_and_b32_e32 v1, 0xffff0000, v1
	v_add_f32_e32 v3, v3, v5
	v_lshlrev_b32_e32 v5, 16, v8
	s_lshl_b64 s[0:1], s[0:1], 1
	v_and_b32_e32 v2, 0xffff0000, v2
	v_add_f32_e32 v1, v1, v5
	v_and_b32_e32 v5, 0xffff0000, v8
	s_add_u32 s0, s2, s0
	v_and_b32_e32 v4, 0xffff0000, v4
	v_add_f32_e32 v6, v2, v5
	v_lshlrev_b32_e32 v2, 16, v9
	s_addc_u32 s1, s3, s1
	s_lshl_b32 s2, s33, 6
	v_and_b32_e32 v3, 0xffff0000, v3
	v_add_f32_e32 v7, v4, v2
	v_and_b32_e32 v2, 0xffff0000, v9
	s_mul_i32 s3, s2, s7
	v_add_f32_e32 v8, v3, v2
	v_or_b32_e32 v2, s3, v0
	v_mov_b32_e32 v3, 0
	v_lshlrev_b64 v[4:5], 1, v[2:3]
	v_mov_b32_e32 v2, s1
	v_add_co_u32_e32 v4, vcc, s0, v4
	s_add_i32 s3, s3, s2
	v_addc_co_u32_e32 v5, vcc, v2, v5, vcc
	v_or_b32_e32 v2, s3, v0
	global_store_short_d16_hi v[4:5], v1, off
	v_lshlrev_b64 v[4:5], 1, v[2:3]
	v_mov_b32_e32 v1, s1
	v_add_co_u32_e32 v4, vcc, s0, v4
	s_add_i32 s3, s3, s2
	v_addc_co_u32_e32 v5, vcc, v1, v5, vcc
	v_or_b32_e32 v2, s3, v0
	global_store_short_d16_hi v[4:5], v6, off
	v_lshlrev_b64 v[4:5], 1, v[2:3]
	s_add_i32 s3, s3, s2
	v_add_co_u32_e32 v4, vcc, s0, v4
	v_or_b32_e32 v2, s3, v0
	v_addc_co_u32_e32 v5, vcc, v1, v5, vcc
	v_lshlrev_b64 v[0:1], 1, v[2:3]
	v_mov_b32_e32 v2, s1
	v_add_co_u32_e32 v0, vcc, s0, v0
	v_addc_co_u32_e32 v1, vcc, v2, v1, vcc
	global_store_short_d16_hi v[4:5], v7, off
	global_store_short_d16_hi v[0:1], v8, off
.LBB195_17:
	s_endpgm
.LBB195_18:
	s_mov_b64 s[12:13], 0
                                        ; implicit-def: $sgpr30_sgpr31
	s_branch .LBB195_2
	.section	.rodata,"a",@progbits
	.p2align	6, 0x0
	.amdhsa_kernel _Z38paged_attention_ll4mi_QKV_mfma4_kernelI14__hip_bfloat16S0_LN4vllm18Fp8KVCacheDataTypeE0ES0_Li16ELi64ELi256ELb1ELi4EEvPKT_PKT0_S8_ifPKiSA_SA_iPKfiiiPfSD_PS3_PT2_iSC_SC_
		.amdhsa_group_segment_fixed_size 2720
		.amdhsa_private_segment_fixed_size 0
		.amdhsa_kernarg_size 400
		.amdhsa_user_sgpr_count 6
		.amdhsa_user_sgpr_private_segment_buffer 1
		.amdhsa_user_sgpr_dispatch_ptr 0
		.amdhsa_user_sgpr_queue_ptr 0
		.amdhsa_user_sgpr_kernarg_segment_ptr 1
		.amdhsa_user_sgpr_dispatch_id 0
		.amdhsa_user_sgpr_flat_scratch_init 0
		.amdhsa_user_sgpr_kernarg_preload_length 0
		.amdhsa_user_sgpr_kernarg_preload_offset 0
		.amdhsa_user_sgpr_private_segment_size 0
		.amdhsa_uses_dynamic_stack 0
		.amdhsa_system_sgpr_private_segment_wavefront_offset 0
		.amdhsa_system_sgpr_workgroup_id_x 1
		.amdhsa_system_sgpr_workgroup_id_y 1
		.amdhsa_system_sgpr_workgroup_id_z 1
		.amdhsa_system_sgpr_workgroup_info 0
		.amdhsa_system_vgpr_workitem_id 0
		.amdhsa_next_free_vgpr 64
		.amdhsa_next_free_sgpr 40
		.amdhsa_accum_offset 60
		.amdhsa_reserve_vcc 1
		.amdhsa_reserve_flat_scratch 0
		.amdhsa_float_round_mode_32 0
		.amdhsa_float_round_mode_16_64 0
		.amdhsa_float_denorm_mode_32 3
		.amdhsa_float_denorm_mode_16_64 3
		.amdhsa_dx10_clamp 1
		.amdhsa_ieee_mode 1
		.amdhsa_fp16_overflow 0
		.amdhsa_tg_split 0
		.amdhsa_exception_fp_ieee_invalid_op 0
		.amdhsa_exception_fp_denorm_src 0
		.amdhsa_exception_fp_ieee_div_zero 0
		.amdhsa_exception_fp_ieee_overflow 0
		.amdhsa_exception_fp_ieee_underflow 0
		.amdhsa_exception_fp_ieee_inexact 0
		.amdhsa_exception_int_div_zero 0
	.end_amdhsa_kernel
	.section	.text._Z38paged_attention_ll4mi_QKV_mfma4_kernelI14__hip_bfloat16S0_LN4vllm18Fp8KVCacheDataTypeE0ES0_Li16ELi64ELi256ELb1ELi4EEvPKT_PKT0_S8_ifPKiSA_SA_iPKfiiiPfSD_PS3_PT2_iSC_SC_,"axG",@progbits,_Z38paged_attention_ll4mi_QKV_mfma4_kernelI14__hip_bfloat16S0_LN4vllm18Fp8KVCacheDataTypeE0ES0_Li16ELi64ELi256ELb1ELi4EEvPKT_PKT0_S8_ifPKiSA_SA_iPKfiiiPfSD_PS3_PT2_iSC_SC_,comdat
.Lfunc_end195:
	.size	_Z38paged_attention_ll4mi_QKV_mfma4_kernelI14__hip_bfloat16S0_LN4vllm18Fp8KVCacheDataTypeE0ES0_Li16ELi64ELi256ELb1ELi4EEvPKT_PKT0_S8_ifPKiSA_SA_iPKfiiiPfSD_PS3_PT2_iSC_SC_, .Lfunc_end195-_Z38paged_attention_ll4mi_QKV_mfma4_kernelI14__hip_bfloat16S0_LN4vllm18Fp8KVCacheDataTypeE0ES0_Li16ELi64ELi256ELb1ELi4EEvPKT_PKT0_S8_ifPKiSA_SA_iPKfiiiPfSD_PS3_PT2_iSC_SC_
                                        ; -- End function
	.section	.AMDGPU.csdata,"",@progbits
; Kernel info:
; codeLenInByte = 3576
; NumSgprs: 44
; NumVgprs: 59
; NumAgprs: 4
; TotalNumVgprs: 64
; ScratchSize: 0
; MemoryBound: 0
; FloatMode: 240
; IeeeMode: 1
; LDSByteSize: 2720 bytes/workgroup (compile time only)
; SGPRBlocks: 5
; VGPRBlocks: 7
; NumSGPRsForWavesPerEU: 44
; NumVGPRsForWavesPerEU: 64
; AccumOffset: 60
; Occupancy: 8
; WaveLimiterHint : 1
; COMPUTE_PGM_RSRC2:SCRATCH_EN: 0
; COMPUTE_PGM_RSRC2:USER_SGPR: 6
; COMPUTE_PGM_RSRC2:TRAP_HANDLER: 0
; COMPUTE_PGM_RSRC2:TGID_X_EN: 1
; COMPUTE_PGM_RSRC2:TGID_Y_EN: 1
; COMPUTE_PGM_RSRC2:TGID_Z_EN: 1
; COMPUTE_PGM_RSRC2:TIDIG_COMP_CNT: 0
; COMPUTE_PGM_RSRC3_GFX90A:ACCUM_OFFSET: 14
; COMPUTE_PGM_RSRC3_GFX90A:TG_SPLIT: 0
	.section	.text._Z39paged_attention_ll4mi_QKV_mfma16_kernelI14__hip_bfloat16S0_LN4vllm18Fp8KVCacheDataTypeE0ES0_Li16ELi64ELi256ELb1ELi5EL8MFMAType0EEvPKT_PKT0_S9_ifPKiSB_SB_iPKfiiiPfSE_PS4_PT2_iSD_SD_,"axG",@progbits,_Z39paged_attention_ll4mi_QKV_mfma16_kernelI14__hip_bfloat16S0_LN4vllm18Fp8KVCacheDataTypeE0ES0_Li16ELi64ELi256ELb1ELi5EL8MFMAType0EEvPKT_PKT0_S9_ifPKiSB_SB_iPKfiiiPfSE_PS4_PT2_iSD_SD_,comdat
	.protected	_Z39paged_attention_ll4mi_QKV_mfma16_kernelI14__hip_bfloat16S0_LN4vllm18Fp8KVCacheDataTypeE0ES0_Li16ELi64ELi256ELb1ELi5EL8MFMAType0EEvPKT_PKT0_S9_ifPKiSB_SB_iPKfiiiPfSE_PS4_PT2_iSD_SD_ ; -- Begin function _Z39paged_attention_ll4mi_QKV_mfma16_kernelI14__hip_bfloat16S0_LN4vllm18Fp8KVCacheDataTypeE0ES0_Li16ELi64ELi256ELb1ELi5EL8MFMAType0EEvPKT_PKT0_S9_ifPKiSB_SB_iPKfiiiPfSE_PS4_PT2_iSD_SD_
	.globl	_Z39paged_attention_ll4mi_QKV_mfma16_kernelI14__hip_bfloat16S0_LN4vllm18Fp8KVCacheDataTypeE0ES0_Li16ELi64ELi256ELb1ELi5EL8MFMAType0EEvPKT_PKT0_S9_ifPKiSB_SB_iPKfiiiPfSE_PS4_PT2_iSD_SD_
	.p2align	8
	.type	_Z39paged_attention_ll4mi_QKV_mfma16_kernelI14__hip_bfloat16S0_LN4vllm18Fp8KVCacheDataTypeE0ES0_Li16ELi64ELi256ELb1ELi5EL8MFMAType0EEvPKT_PKT0_S9_ifPKiSB_SB_iPKfiiiPfSE_PS4_PT2_iSD_SD_,@function
_Z39paged_attention_ll4mi_QKV_mfma16_kernelI14__hip_bfloat16S0_LN4vllm18Fp8KVCacheDataTypeE0ES0_Li16ELi64ELi256ELb1ELi5EL8MFMAType0EEvPKT_PKT0_S9_ifPKiSB_SB_iPKfiiiPfSE_PS4_PT2_iSD_SD_: ; @_Z39paged_attention_ll4mi_QKV_mfma16_kernelI14__hip_bfloat16S0_LN4vllm18Fp8KVCacheDataTypeE0ES0_Li16ELi64ELi256ELb1ELi5EL8MFMAType0EEvPKT_PKT0_S9_ifPKiSB_SB_iPKfiiiPfSE_PS4_PT2_iSD_SD_
; %bb.0:
	s_load_dwordx2 s[0:1], s[4:5], 0x30
	s_mov_b32 s28, s7
	s_mov_b64 s[10:11], 0
	s_waitcnt lgkmcnt(0)
	s_cmp_lg_u64 s[0:1], 0
	s_cselect_b64 s[2:3], -1, 0
	s_and_b64 vcc, exec, s[2:3]
	s_cbranch_vccz .LBB196_7
; %bb.1:
	s_add_i32 s12, s6, 1
	s_mov_b32 s13, 0
	s_lshl_b64 s[14:15], s[12:13], 2
	s_add_u32 s14, s0, s14
	s_mov_b32 s7, s13
	s_addc_u32 s15, s1, s15
	s_lshl_b64 s[12:13], s[6:7], 2
	s_add_u32 s12, s0, s12
	s_addc_u32 s13, s1, s13
	s_load_dword s9, s[14:15], 0x0
	s_load_dword s16, s[12:13], 0x0
	s_waitcnt lgkmcnt(0)
	s_sub_i32 s9, s9, s16
	s_cmp_eq_u32 s9, 1
	s_cselect_b64 s[12:13], -1, 0
	s_andn2_b64 vcc, exec, s[10:11]
	s_cbranch_vccnz .LBB196_3
.LBB196_2:
	s_mov_b32 s7, 0
	s_mov_b64 s[12:13], -1
.LBB196_3:
	s_andn2_b64 vcc, exec, s[12:13]
	s_cbranch_vccnz .LBB196_20
; %bb.4:
	s_load_dwordx2 s[12:13], s[4:5], 0x28
	s_lshl_b64 s[10:11], s[6:7], 2
	s_waitcnt lgkmcnt(0)
	s_add_u32 s12, s12, s10
	s_addc_u32 s13, s13, s11
	s_load_dword s33, s[12:13], 0x0
	s_lshl_b32 s14, s28, 8
	s_waitcnt lgkmcnt(0)
	s_cmp_ge_i32 s14, s33
	s_cbranch_scc1 .LBB196_20
; %bb.5:
	s_add_i32 s15, s33, 15
	s_load_dwordx2 s[12:13], s[4:5], 0x20
	s_load_dword s9, s[4:5], 0x38
	s_ashr_i32 s16, s15, 31
	v_and_b32_e32 v1, 0xcf, v0
	s_lshr_b32 s16, s16, 28
	v_add_u32_e32 v1, s14, v1
	s_add_i32 s15, s15, s16
	v_ashrrev_i32_e32 v2, 31, v1
	s_ashr_i32 s17, s15, 4
	v_lshrrev_b32_e32 v4, 28, v2
	s_add_i32 s17, s17, -1
	v_add_u32_e32 v2, v1, v4
	s_waitcnt lgkmcnt(0)
	s_mul_i32 s18, s6, s9
	s_mov_b32 s19, 0
	v_ashrrev_i32_e32 v2, 4, v2
	v_mov_b32_e32 v5, s17
	v_cmp_gt_i32_e32 vcc, s33, v1
	s_lshl_b64 s[18:19], s[18:19], 2
	v_cndmask_b32_e32 v2, v5, v2, vcc
	s_add_u32 s15, s12, s18
	v_ashrrev_i32_e32 v3, 31, v2
	s_addc_u32 s16, s13, s19
	v_lshlrev_b64 v[2:3], 2, v[2:3]
	v_mov_b32_e32 v7, s16
	v_add_co_u32_e32 v6, vcc, s15, v2
	v_or_b32_e32 v2, 16, v1
	v_addc_co_u32_e32 v7, vcc, v7, v3, vcc
	v_add_u32_e32 v3, v2, v4
	v_ashrrev_i32_e32 v3, 4, v3
	v_cmp_gt_i32_e32 vcc, s33, v2
	v_cndmask_b32_e32 v2, v5, v3, vcc
	v_ashrrev_i32_e32 v3, 31, v2
	v_lshlrev_b64 v[2:3], 2, v[2:3]
	v_mov_b32_e32 v9, s16
	v_add_co_u32_e32 v8, vcc, s15, v2
	v_or_b32_e32 v2, 32, v1
	v_addc_co_u32_e32 v9, vcc, v9, v3, vcc
	v_add_u32_e32 v3, v2, v4
	v_ashrrev_i32_e32 v3, 4, v3
	v_cmp_gt_i32_e32 vcc, s33, v2
	v_cndmask_b32_e32 v2, v5, v3, vcc
	v_ashrrev_i32_e32 v3, 31, v2
	;; [unrolled: 10-line block ×3, first 2 shown]
	v_lshlrev_b64 v[2:3], 2, v[2:3]
	v_mov_b32_e32 v1, s16
	v_add_co_u32_e32 v12, vcc, s15, v2
	v_addc_co_u32_e32 v13, vcc, v1, v3, vcc
	global_load_dword v5, v[6:7], off
	global_load_dword v4, v[8:9], off
	;; [unrolled: 1-line block ×4, first 2 shown]
	s_load_dwordx2 s[12:13], s[4:5], 0x8
	s_andn2_b64 vcc, exec, s[2:3]
	s_cbranch_vccnz .LBB196_8
; %bb.6:
	s_add_u32 s0, s0, s10
	s_addc_u32 s1, s1, s11
	s_load_dword s9, s[0:1], 0x0
	s_branch .LBB196_9
.LBB196_7:
	s_mov_b64 s[12:13], 0
	s_branch .LBB196_2
.LBB196_8:
	s_mov_b32 s9, s6
.LBB196_9:
	s_load_dwordx2 s[2:3], s[4:5], 0x10
	s_load_dwordx4 s[44:47], s[4:5], 0x48
	v_lshrrev_b32_e32 v53, 6, v0
	v_bfe_u32 v1, v0, 4, 2
	v_lshl_or_b32 v6, v53, 2, v1
	v_and_b32_e32 v52, 15, v0
	v_lshlrev_b32_e32 v7, 3, v52
	v_cmp_gt_u32_e32 vcc, 5, v6
	v_cmp_gt_u32_e64 s[0:1], 8, v52
	s_mul_i32 s29, s8, 5
	s_and_b64 s[18:19], s[0:1], vcc
	v_lshlrev_b32_e32 v50, 1, v7
	s_and_saveexec_b64 s[10:11], s[18:19]
	s_cbranch_execz .LBB196_11
; %bb.10:
	s_load_dwordx2 s[18:19], s[4:5], 0x0
	s_waitcnt lgkmcnt(0)
	s_ashr_i32 s20, s44, 31
	s_mul_hi_u32 s21, s9, s44
	s_mul_i32 s20, s9, s20
	s_add_i32 s21, s21, s20
	s_mul_i32 s20, s9, s44
	s_lshl_b64 s[20:21], s[20:21], 1
	v_add_lshl_u32 v8, v6, s29, 6
	s_add_u32 s9, s18, s20
	v_ashrrev_i32_e32 v9, 31, v8
	s_addc_u32 s18, s19, s21
	v_lshlrev_b64 v[8:9], 1, v[8:9]
	v_mov_b32_e32 v7, s18
	v_add_co_u32_e32 v8, vcc, s9, v8
	v_addc_co_u32_e32 v7, vcc, v7, v9, vcc
	v_add_co_u32_e32 v8, vcc, v8, v50
	v_addc_co_u32_e32 v9, vcc, 0, v7, vcc
	global_load_dwordx4 v[8:11], v[8:9], off
	v_and_b32_e32 v7, 3, v0
	v_lshlrev_b32_e32 v12, 9, v52
	v_lshlrev_b32_e32 v6, 5, v6
	;; [unrolled: 1-line block ×3, first 2 shown]
	v_and_b32_e32 v12, 0x1800, v12
	v_or3_b32 v6, v12, v7, v6
	s_waitcnt vmcnt(0)
	ds_write_b128 v6, v[8:11]
.LBB196_11:
	s_or_b64 exec, exec, s[10:11]
	s_waitcnt lgkmcnt(0)
	s_mul_i32 s8, s8, s46
	s_mov_b32 s9, 0
	s_lshl_b64 s[8:9], s[8:9], 1
	s_add_u32 s10, s12, s8
	v_lshlrev_b32_e32 v51, 4, v0
	s_addc_u32 s11, s13, s9
	v_and_b32_e32 v6, 0xf0, v51
	v_mov_b32_e32 v7, s11
	v_add_co_u32_e32 v18, vcc, s10, v6
	v_addc_co_u32_e32 v19, vcc, 0, v7, vcc
	s_waitcnt vmcnt(3)
	v_mad_i64_i32 v[6:7], s[10:11], v5, s45, 0
	v_lshlrev_b64 v[6:7], 1, v[6:7]
	v_add_co_u32_e32 v5, vcc, v18, v6
	v_addc_co_u32_e32 v7, vcc, v19, v7, vcc
	v_and_b32_e32 v20, 0x300, v51
	v_add_co_u32_e32 v6, vcc, v5, v20
	s_waitcnt vmcnt(2)
	v_mad_i64_i32 v[4:5], s[10:11], v4, s45, 0
	v_addc_co_u32_e32 v7, vcc, 0, v7, vcc
	v_lshlrev_b64 v[4:5], 1, v[4:5]
	v_add_co_u32_e32 v4, vcc, v18, v4
	v_addc_co_u32_e32 v5, vcc, v19, v5, vcc
	v_add_co_u32_e32 v4, vcc, v4, v20
	v_addc_co_u32_e32 v5, vcc, 0, v5, vcc
	s_barrier
	global_load_dwordx4 v[38:41], v[6:7], off
	global_load_dwordx4 v[34:37], v[6:7], off offset:1024
	global_load_dwordx4 v[30:33], v[4:5], off
	global_load_dwordx4 v[14:17], v[4:5], off offset:1024
	s_waitcnt vmcnt(5)
	v_mad_i64_i32 v[4:5], s[10:11], v3, s45, 0
	v_lshlrev_b64 v[4:5], 1, v[4:5]
	v_add_co_u32_e32 v3, vcc, v18, v4
	v_addc_co_u32_e32 v5, vcc, v19, v5, vcc
	v_add_co_u32_e32 v4, vcc, v3, v20
	s_waitcnt vmcnt(4)
	v_mad_i64_i32 v[2:3], s[10:11], v2, s45, 0
	v_addc_co_u32_e32 v5, vcc, 0, v5, vcc
	v_lshlrev_b64 v[2:3], 1, v[2:3]
	v_add_co_u32_e32 v2, vcc, v18, v2
	v_addc_co_u32_e32 v3, vcc, v19, v3, vcc
	v_add_co_u32_e32 v22, vcc, v2, v20
	v_addc_co_u32_e32 v23, vcc, 0, v3, vcc
	global_load_dwordx4 v[10:13], v[4:5], off
	global_load_dwordx4 v[6:9], v[4:5], off offset:1024
	s_nop 0
	global_load_dwordx4 v[2:5], v[22:23], off
	global_load_dwordx4 v[18:21], v[22:23], off offset:1024
	v_mul_lo_u16_e32 v22, 52, v52
	v_mov_b32_e32 v23, 5
	v_mul_lo_u16_sdwa v22, v22, v23 dst_sel:DWORD dst_unused:UNUSED_PAD src0_sel:BYTE_1 src1_sel:DWORD
	v_sub_u16_e32 v22, v52, v22
	v_lshlrev_b32_sdwa v22, v23, v22 dst_sel:DWORD dst_unused:UNUSED_PAD src0_sel:DWORD src1_sel:BYTE_0
	v_lshl_add_u32 v22, v1, 9, v22
	ds_read_b128 v[26:29], v22
	ds_read_b128 v[22:25], v22 offset:2048
	v_and_b32_e32 v54, 63, v0
	v_cmp_gt_u32_e32 vcc, 5, v52
	v_mov_b32_e32 v48, 0
	s_and_saveexec_b64 s[10:11], vcc
	s_cbranch_execz .LBB196_13
; %bb.12:
	s_load_dwordx2 s[12:13], s[4:5], 0x40
	v_add_u32_e32 v42, s29, v52
	v_ashrrev_i32_e32 v43, 31, v42
	v_lshlrev_b64 v[42:43], 2, v[42:43]
	s_waitcnt lgkmcnt(0)
	v_mov_b32_e32 v44, s13
	v_add_co_u32_e32 v42, vcc, s12, v42
	v_addc_co_u32_e32 v43, vcc, v44, v43, vcc
	global_load_dword v48, v[42:43], off
.LBB196_13:
	s_or_b64 exec, exec, s[10:11]
	s_waitcnt vmcnt(7) lgkmcnt(1)
	v_mfma_f32_16x16x16bf16_1k v[42:45], v[38:39], v[26:27], 0
	s_add_u32 s2, s2, s8
	v_lshlrev_b32_e32 v55, 5, v52
	s_addc_u32 s3, s3, s9
	s_load_dword s10, s[4:5], 0x1c
	s_mov_b32 s42, 0xff7fffff
	v_mfma_f32_16x16x16bf16_1k v[38:41], v[40:41], v[28:29], v[42:45]
	s_waitcnt vmcnt(6) lgkmcnt(0)
	v_mfma_f32_16x16x16bf16_1k v[38:41], v[34:35], v[22:23], v[38:41]
	s_nop 4
	v_and_or_b32 v44, v0, 48, s14
	v_mov_b32_e32 v45, s17
	v_cmp_gt_i32_e32 vcc, s33, v44
	v_mfma_f32_16x16x16bf16_1k v[34:37], v[36:37], v[24:25], v[38:41]
	s_nop 6
	v_ashrrev_i32_e32 v38, 4, v44
	v_cndmask_b32_e32 v42, v45, v38, vcc
	v_ashrrev_i32_e32 v43, 31, v42
	s_waitcnt vmcnt(5)
	v_mfma_f32_16x16x16bf16_1k v[38:41], v[30:31], v[26:27], 0
	v_lshlrev_b64 v[30:31], 2, v[42:43]
	v_mov_b32_e32 v42, s16
	v_add_co_u32_e32 v30, vcc, s15, v30
	v_addc_co_u32_e32 v31, vcc, v42, v31, vcc
	global_load_dword v42, v[30:31], off
	v_mfma_f32_16x16x16bf16_1k v[30:33], v[32:33], v[28:29], v[38:41]
	v_pk_mul_f32 v[46:47], s[10:11], v[36:37] op_sel_hi:[0,1]
	s_nop 5
	v_or_b32_e32 v38, 64, v44
	v_ashrrev_i32_e32 v39, 4, v38
	v_cmp_gt_i32_e32 vcc, s33, v38
	v_cndmask_b32_e32 v38, v45, v39, vcc
	v_ashrrev_i32_e32 v39, 31, v38
	v_lshlrev_b64 v[38:39], 2, v[38:39]
	s_waitcnt vmcnt(5)
	v_mfma_f32_16x16x16bf16_1k v[30:33], v[14:15], v[22:23], v[30:33]
	v_mov_b32_e32 v40, s16
	v_add_co_u32_e32 v14, vcc, s15, v38
	v_addc_co_u32_e32 v15, vcc, v40, v39, vcc
	global_load_dword v40, v[14:15], off
	v_or_b32_e32 v14, 0x80, v44
	v_ashrrev_i32_e32 v15, 4, v14
	v_cmp_gt_i32_e32 vcc, s33, v14
	v_cndmask_b32_e32 v14, v45, v15, vcc
	v_ashrrev_i32_e32 v15, 31, v14
	v_lshlrev_b64 v[14:15], 2, v[14:15]
	v_mfma_f32_16x16x16bf16_1k v[30:33], v[16:17], v[24:25], v[30:33]
	v_mov_b32_e32 v16, s16
	v_add_co_u32_e32 v38, vcc, s15, v14
	v_addc_co_u32_e32 v39, vcc, v16, v15, vcc
	global_load_dword v38, v[38:39], off
	s_waitcnt vmcnt(6)
	v_mfma_f32_16x16x16bf16_1k v[14:17], v[10:11], v[26:27], 0
	v_mfma_f32_16x16x16bf16_1k v[10:13], v[12:13], v[28:29], v[14:17]
	s_nop 7
	s_nop 1
	v_or_b32_e32 v14, 0xc0, v44
	v_ashrrev_i32_e32 v15, 4, v14
	v_cmp_gt_i32_e32 vcc, s33, v14
	v_cndmask_b32_e32 v14, v45, v15, vcc
	s_waitcnt vmcnt(5)
	v_mfma_f32_16x16x16bf16_1k v[10:13], v[6:7], v[22:23], v[10:13]
	v_ashrrev_i32_e32 v15, 31, v14
	v_lshlrev_b64 v[14:15], 2, v[14:15]
	v_mov_b32_e32 v16, s16
	v_add_co_u32_e32 v6, vcc, s15, v14
	v_addc_co_u32_e32 v7, vcc, v16, v15, vcc
	global_load_dword v49, v[6:7], off
	v_lshl_or_b32 v6, v53, 9, v55
	v_mov_b32_e32 v7, s3
	v_add_co_u32_e32 v60, vcc, s2, v6
	v_addc_co_u32_e32 v61, vcc, 0, v7, vcc
	v_mfma_f32_16x16x16bf16_1k v[56:59], v[8:9], v[24:25], v[10:13]
	v_pk_mul_f32 v[44:45], s[10:11], v[30:31] op_sel_hi:[0,1]
	s_waitcnt vmcnt(3)
	v_mad_i64_i32 v[6:7], s[2:3], v42, s45, 0
	s_nop 3
	v_lshlrev_b64 v[10:11], 1, v[6:7]
	v_mfma_f32_16x16x16bf16_1k v[6:9], v[2:3], v[26:27], 0
	v_add_co_u32_e32 v2, vcc, v60, v10
	v_addc_co_u32_e32 v3, vcc, v61, v11, vcc
	global_load_dwordx4 v[14:17], v[2:3], off
	global_load_dwordx4 v[10:13], v[2:3], off offset:16
	v_pk_mul_f32 v[42:43], s[10:11], v[32:33] op_sel_hi:[0,1]
	s_waitcnt vmcnt(4)
	v_mad_i64_i32 v[2:3], s[2:3], v40, s45, 0
	v_mfma_f32_16x16x16bf16_1k v[26:29], v[4:5], v[28:29], v[6:9]
	v_lshlrev_b64 v[2:3], 1, v[2:3]
	v_add_co_u32_e32 v2, vcc, v60, v2
	v_addc_co_u32_e32 v3, vcc, v61, v3, vcc
	v_pk_mul_f32 v[40:41], s[10:11], v[56:57] op_sel_hi:[0,1]
	s_nop 2
	global_load_dwordx4 v[6:9], v[2:3], off
	s_nop 0
	global_load_dwordx4 v[2:5], v[2:3], off offset:16
	v_mfma_f32_16x16x16bf16_1k v[26:29], v[18:19], v[22:23], v[26:29]
	v_pk_mul_f32 v[18:19], s[10:11], v[34:35] op_sel_hi:[0,1]
	s_waitcnt vmcnt(5)
	v_mad_i64_i32 v[38:39], s[2:3], v38, s45, 0
	v_lshlrev_b64 v[38:39], 1, v[38:39]
	v_add_co_u32_e32 v22, vcc, v60, v38
	v_mfma_f32_16x16x16bf16_1k v[24:27], v[20:21], v[24:25], v[26:29]
	v_and_b32_e32 v20, 0xc0, v0
	v_add_u32_e32 v20, s14, v20
	v_lshl_or_b32 v20, v1, 2, v20
	v_or_b32_e32 v21, 1, v20
	v_addc_co_u32_e32 v23, vcc, v61, v39, vcc
	v_pk_mul_f32 v[38:39], s[10:11], v[58:59] op_sel_hi:[0,1]
	s_nop 4
	v_pk_mul_f32 v[36:37], s[10:11], v[24:25] op_sel_hi:[0,1]
	v_subrev_u32_e32 v24, s33, v21
	v_pk_mul_f32 v[34:35], s[10:11], v[26:27] op_sel_hi:[0,1]
	v_add_u32_e32 v26, 1, v24
	v_add_u32_e32 v27, 2, v24
	v_cvt_f32_i32_e32 v25, v24
	v_cvt_f32_i32_e32 v26, v26
	;; [unrolled: 1-line block ×3, first 2 shown]
	v_add_u32_e32 v28, 3, v24
	v_fma_f32 v18, v48, v25, v18
	v_fmac_f32_e32 v19, v48, v26
	v_fma_f32 v46, v48, v27, v46
	v_add_u32_e32 v25, 16, v24
	v_add_u32_e32 v26, 17, v24
	;; [unrolled: 1-line block ×3, first 2 shown]
	v_cvt_f32_i32_e32 v28, v28
	v_cvt_f32_i32_e32 v25, v25
	;; [unrolled: 1-line block ×4, first 2 shown]
	v_fmac_f32_e32 v47, v48, v28
	v_add_u32_e32 v28, 19, v24
	v_fma_f32 v44, v48, v25, v44
	v_fmac_f32_e32 v45, v48, v26
	v_fma_f32 v42, v48, v27, v42
	v_add_u32_e32 v25, 32, v24
	v_add_u32_e32 v26, 33, v24
	;; [unrolled: 1-line block ×3, first 2 shown]
	v_cvt_f32_i32_e32 v28, v28
	v_cvt_f32_i32_e32 v25, v25
	;; [unrolled: 1-line block ×4, first 2 shown]
	v_fmac_f32_e32 v43, v48, v28
	v_add_u32_e32 v28, 35, v24
	v_fma_f32 v40, v48, v25, v40
	v_fmac_f32_e32 v41, v48, v26
	v_fma_f32 v38, v48, v27, v38
	v_add_u32_e32 v25, 48, v24
	v_add_u32_e32 v26, 49, v24
	;; [unrolled: 1-line block ×4, first 2 shown]
	v_cvt_f32_i32_e32 v24, v24
	v_cvt_f32_i32_e32 v25, v25
	;; [unrolled: 1-line block ×3, first 2 shown]
	v_cmp_gt_i32_e64 s[30:31], s33, v20
	v_fmac_f32_e32 v35, v48, v24
	v_mov_b32_e32 v24, 0xff7fffff
	v_cmp_gt_i32_e64 s[34:35], s33, v21
	v_fma_f32 v36, v48, v25, v36
	v_cndmask_b32_e64 v25, v24, v18, s[30:31]
	v_cndmask_b32_e64 v21, v24, v19, s[34:35]
	v_fmac_f32_e32 v37, v48, v26
	v_max3_f32 v21, v25, s42, v21
	v_or_b32_e32 v25, 2, v20
	v_or_b32_e32 v26, 3, v20
	v_cmp_gt_i32_e64 s[36:37], s33, v25
	v_cmp_gt_i32_e64 s[38:39], s33, v26
	v_cndmask_b32_e64 v25, v24, v46, s[36:37]
	v_cndmask_b32_e64 v26, v24, v47, s[38:39]
	v_max3_f32 v21, v21, v25, v26
	v_or_b32_e32 v25, 16, v20
	v_or_b32_e32 v26, 17, v20
	v_cmp_gt_i32_e64 s[24:25], s33, v25
	v_cmp_gt_i32_e64 s[26:27], s33, v26
	v_cndmask_b32_e64 v25, v24, v44, s[24:25]
	v_cndmask_b32_e64 v26, v24, v45, s[26:27]
	;; [unrolled: 7-line block ×3, first 2 shown]
	v_cvt_f32_i32_e32 v28, v28
	v_max3_f32 v21, v21, v25, v26
	v_or_b32_e32 v25, 32, v20
	v_or_b32_e32 v26, 33, v20
	v_cmp_gt_i32_e64 s[16:17], s33, v25
	v_cmp_gt_i32_e64 s[18:19], s33, v26
	v_cndmask_b32_e64 v25, v24, v40, s[16:17]
	v_cndmask_b32_e64 v26, v24, v41, s[18:19]
	v_max3_f32 v21, v21, v25, v26
	v_or_b32_e32 v25, 34, v20
	v_or_b32_e32 v26, 35, v20
	v_fmac_f32_e32 v39, v48, v28
	v_cmp_gt_i32_e64 s[12:13], s33, v25
	v_cmp_gt_i32_e64 s[14:15], s33, v26
	v_cndmask_b32_e64 v25, v24, v38, s[12:13]
	v_cndmask_b32_e64 v26, v24, v39, s[14:15]
	v_cvt_f32_i32_e32 v27, v27
	v_max3_f32 v21, v21, v25, v26
	v_or_b32_e32 v25, 48, v20
	v_or_b32_e32 v26, 49, v20
	v_cmp_gt_i32_e64 s[8:9], s33, v25
	v_cmp_gt_i32_e64 s[10:11], s33, v26
	v_cndmask_b32_e64 v25, v24, v36, s[8:9]
	v_cndmask_b32_e64 v26, v24, v37, s[10:11]
	v_max3_f32 v21, v21, v25, v26
	v_or_b32_e32 v25, 50, v20
	v_or_b32_e32 v20, 51, v20
	v_fma_f32 v34, v48, v27, v34
	v_cmp_gt_i32_e32 vcc, s33, v25
	v_cmp_gt_i32_e64 s[2:3], s33, v20
	v_cndmask_b32_e32 v25, v24, v34, vcc
	v_cndmask_b32_e64 v20, v24, v35, s[2:3]
	v_max3_f32 v26, v21, v25, v20
	v_mbcnt_lo_u32_b32 v20, -1, 0
	v_mbcnt_hi_u32_b32 v27, -1, v20
	v_and_b32_e32 v20, 64, v27
	v_add_u32_e32 v28, 64, v20
	v_xor_b32_e32 v20, 32, v27
	v_cmp_lt_i32_e64 s[40:41], v20, v28
	v_cndmask_b32_e64 v20, v27, v20, s[40:41]
	v_lshlrev_b32_e32 v57, 2, v20
	ds_bpermute_b32 v29, v57, v26
	s_waitcnt vmcnt(4)
	v_mad_i64_i32 v[20:21], s[40:41], v49, s45, 0
	v_lshlrev_b64 v[20:21], 1, v[20:21]
	global_load_dwordx4 v[30:33], v[22:23], off
	s_nop 0
	global_load_dwordx4 v[22:25], v[22:23], off offset:16
	s_waitcnt lgkmcnt(0)
	v_max_f32_e32 v29, v29, v29
	v_max_f32_e32 v26, v26, v29
	v_xor_b32_e32 v29, 16, v27
	v_cmp_lt_i32_e64 s[40:41], v29, v28
	v_cndmask_b32_e64 v27, v27, v29, s[40:41]
	v_lshlrev_b32_e32 v59, 2, v27
	ds_bpermute_b32 v27, v59, v26
	v_add_co_u32_e64 v20, s[40:41], v60, v20
	v_addc_co_u32_e64 v21, s[40:41], v61, v21, s[40:41]
	s_waitcnt lgkmcnt(0)
	v_max_f32_e32 v27, v27, v27
	v_max_f32_e32 v56, v26, v27
	v_sub_f32_e32 v18, v18, v56
	v_mul_f32_e32 v18, 0x3fb8aa3b, v18
	v_exp_f32_e32 v48, v18
	v_sub_f32_e32 v18, v19, v56
	v_mul_f32_e32 v18, 0x3fb8aa3b, v18
	v_exp_f32_e32 v49, v18
	global_load_dwordx4 v[26:29], v[20:21], off
	s_nop 0
	global_load_dwordx4 v[18:21], v[20:21], off offset:16
	v_sub_f32_e32 v46, v46, v56
	v_mul_f32_e32 v46, 0x3fb8aa3b, v46
	v_sub_f32_e32 v47, v47, v56
	v_exp_f32_e32 v46, v46
	v_mul_f32_e32 v47, 0x3fb8aa3b, v47
	v_sub_f32_e32 v44, v44, v56
	v_exp_f32_e32 v47, v47
	v_mul_f32_e32 v44, 0x3fb8aa3b, v44
	v_sub_f32_e32 v45, v45, v56
	v_cndmask_b32_e64 v48, 0, v48, s[30:31]
	v_exp_f32_e32 v44, v44
	v_mul_f32_e32 v45, 0x3fb8aa3b, v45
	v_sub_f32_e32 v42, v42, v56
	v_add_f32_e32 v58, 0, v48
	v_cndmask_b32_e64 v49, 0, v49, s[34:35]
	v_exp_f32_e32 v45, v45
	v_mul_f32_e32 v42, 0x3fb8aa3b, v42
	v_sub_f32_e32 v43, v43, v56
	v_add_f32_e32 v58, v58, v49
	v_cndmask_b32_e64 v46, 0, v46, s[36:37]
	v_exp_f32_e32 v42, v42
	v_mul_f32_e32 v43, 0x3fb8aa3b, v43
	v_sub_f32_e32 v40, v40, v56
	v_add_f32_e32 v58, v58, v46
	v_cndmask_b32_e64 v47, 0, v47, s[38:39]
	v_exp_f32_e32 v43, v43
	v_mul_f32_e32 v40, 0x3fb8aa3b, v40
	v_sub_f32_e32 v41, v41, v56
	v_add_f32_e32 v58, v58, v47
	v_cndmask_b32_e64 v44, 0, v44, s[24:25]
	v_exp_f32_e32 v40, v40
	v_mul_f32_e32 v41, 0x3fb8aa3b, v41
	v_sub_f32_e32 v38, v38, v56
	v_add_f32_e32 v58, v58, v44
	v_cndmask_b32_e64 v45, 0, v45, s[26:27]
	v_exp_f32_e32 v41, v41
	v_mul_f32_e32 v38, 0x3fb8aa3b, v38
	v_sub_f32_e32 v39, v39, v56
	v_add_f32_e32 v58, v58, v45
	v_cndmask_b32_e64 v42, 0, v42, s[20:21]
	v_exp_f32_e32 v38, v38
	v_mul_f32_e32 v39, 0x3fb8aa3b, v39
	v_sub_f32_e32 v36, v36, v56
	v_add_f32_e32 v58, v58, v42
	v_cndmask_b32_e64 v43, 0, v43, s[22:23]
	v_exp_f32_e32 v39, v39
	v_mul_f32_e32 v36, 0x3fb8aa3b, v36
	v_sub_f32_e32 v37, v37, v56
	v_add_f32_e32 v58, v58, v43
	v_cndmask_b32_e64 v40, 0, v40, s[16:17]
	v_exp_f32_e32 v36, v36
	v_mul_f32_e32 v37, 0x3fb8aa3b, v37
	v_sub_f32_e32 v34, v34, v56
	v_add_f32_e32 v58, v58, v40
	v_cndmask_b32_e64 v41, 0, v41, s[18:19]
	v_exp_f32_e32 v37, v37
	v_mul_f32_e32 v34, 0x3fb8aa3b, v34
	v_sub_f32_e32 v35, v35, v56
	v_add_f32_e32 v58, v58, v41
	v_cndmask_b32_e64 v38, 0, v38, s[12:13]
	v_exp_f32_e32 v34, v34
	v_mul_f32_e32 v35, 0x3fb8aa3b, v35
	v_add_f32_e32 v58, v58, v38
	v_cndmask_b32_e64 v39, 0, v39, s[14:15]
	v_exp_f32_e32 v35, v35
	v_add_f32_e32 v58, v58, v39
	v_cndmask_b32_e64 v36, 0, v36, s[8:9]
	v_add_f32_e32 v58, v58, v36
	v_cndmask_b32_e64 v37, 0, v37, s[10:11]
	v_add_f32_e32 v58, v58, v37
	v_cndmask_b32_e32 v34, 0, v34, vcc
	v_add_f32_e32 v58, v58, v34
	v_cndmask_b32_e64 v35, 0, v35, s[2:3]
	v_add_f32_e32 v58, v58, v35
	ds_bpermute_b32 v57, v57, v58
	s_load_dword s11, s[4:5], 0x98
	v_cmp_gt_u32_e64 s[2:3], 16, v54
	s_waitcnt lgkmcnt(0)
	s_barrier
	v_add_f32_e32 v58, v58, v57
	ds_bpermute_b32 v59, v59, v58
	v_lshlrev_b32_e32 v57, 2, v52
	s_waitcnt lgkmcnt(0)
	s_and_saveexec_b64 s[8:9], s[2:3]
	s_cbranch_execz .LBB196_15
; %bb.14:
	v_add_f32_e32 v54, v58, v59
	v_lshl_or_b32 v58, v53, 6, v57
	ds_write2st64_b32 v58, v56, v54 offset1:1
.LBB196_15:
	s_or_b64 exec, exec, s[8:9]
	s_load_dword s10, s[4:5], 0x94
	s_waitcnt lgkmcnt(0)
	s_barrier
	ds_read2_b32 v[58:59], v57 offset1:16
	ds_read2_b32 v[60:61], v57 offset0:32 offset1:48
	ds_read2_b32 v[62:63], v57 offset0:64 offset1:80
	s_movk_i32 s12, 0x7fff
	s_mov_b32 s13, 0x7060302
	s_waitcnt lgkmcnt(2)
	v_max3_f32 v54, v58, s42, v59
	s_waitcnt lgkmcnt(1)
	v_max3_f32 v54, v54, v60, v61
	v_sub_f32_e32 v56, v58, v54
	v_mul_f32_e32 v56, 0x3fb8aa3b, v56
	v_exp_f32_e32 v64, v56
	v_sub_f32_e32 v56, v59, v54
	v_mul_f32_e32 v56, 0x3fb8aa3b, v56
	v_exp_f32_e32 v65, v56
	;; [unrolled: 3-line block ×3, first 2 shown]
	ds_read2_b32 v[58:59], v57 offset0:96 offset1:112
	v_sub_f32_e32 v56, v61, v54
	v_mul_f32_e32 v56, 0x3fb8aa3b, v56
	v_exp_f32_e32 v57, v56
	s_waitcnt lgkmcnt(1)
	v_fma_f32 v56, v64, v62, 0
	v_fmac_f32_e32 v56, v65, v63
	s_waitcnt lgkmcnt(0)
	v_fmac_f32_e32 v56, v60, v58
	v_fmac_f32_e32 v56, v57, v59
	v_add_f32_e32 v58, 0x358637bd, v56
	v_div_scale_f32 v59, s[8:9], v58, v58, 1.0
	v_rcp_f32_e32 v61, v59
	s_mul_i32 s11, s11, 5
	s_barrier
	v_fma_f32 v62, -v59, v61, 1.0
	v_fmac_f32_e32 v61, v62, v61
	v_div_scale_f32 v62, vcc, 1.0, v58, 1.0
	v_mul_f32_e32 v63, v62, v61
	v_fma_f32 v66, -v59, v63, v62
	v_fmac_f32_e32 v63, v66, v61
	v_fma_f32 v59, -v59, v63, v62
	v_div_fmas_f32 v59, v59, v61, v63
	v_cmp_eq_u32_e32 vcc, 1, v53
	v_div_fixup_f32 v58, v59, v58, 1.0
	v_cndmask_b32_e32 v59, v64, v65, vcc
	v_cmp_eq_u32_e32 vcc, 2, v53
	v_cndmask_b32_e32 v59, v59, v60, vcc
	v_cmp_eq_u32_e32 vcc, 3, v53
	v_cndmask_b32_e32 v57, v59, v57, vcc
	v_mul_f32_e32 v58, v57, v58
	v_pk_mul_f32 v[48:49], v[58:59], v[48:49] op_sel_hi:[0,1]
	v_pk_mul_f32 v[46:47], v[58:59], v[46:47] op_sel_hi:[0,1]
	v_bfe_u32 v57, v49, 16, 1
	v_bfe_u32 v59, v48, 16, 1
	v_add3_u32 v48, v48, v59, s12
	v_add3_u32 v49, v49, v57, s12
	v_perm_b32 v48, v49, v48, s13
	v_bfe_u32 v49, v47, 16, 1
	v_bfe_u32 v57, v46, 16, 1
	v_add3_u32 v46, v46, v57, s12
	v_add3_u32 v47, v47, v49, s12
	v_perm_b32 v49, v47, v46, s13
	v_lshlrev_b32_e32 v46, 3, v1
	v_lshlrev_b32_e32 v47, 11, v53
	v_pk_mul_f32 v[44:45], v[58:59], v[44:45] op_sel_hi:[0,1]
	v_or3_b32 v46, v47, v55, v46
	v_bfe_u32 v47, v45, 16, 1
	v_bfe_u32 v53, v44, 16, 1
	v_pk_mul_f32 v[42:43], v[58:59], v[42:43] op_sel_hi:[0,1]
	v_add3_u32 v44, v44, v53, s12
	v_add3_u32 v45, v45, v47, s12
	v_perm_b32 v44, v45, v44, s13
	v_bfe_u32 v45, v43, 16, 1
	v_bfe_u32 v47, v42, 16, 1
	v_add3_u32 v42, v42, v47, s12
	v_add3_u32 v43, v43, v45, s12
	v_pk_mul_f32 v[40:41], v[58:59], v[40:41] op_sel_hi:[0,1]
	v_perm_b32 v45, v43, v42, s13
	v_bfe_u32 v42, v41, 16, 1
	v_bfe_u32 v43, v40, 16, 1
	v_pk_mul_f32 v[38:39], v[58:59], v[38:39] op_sel_hi:[0,1]
	v_add3_u32 v40, v40, v43, s12
	v_add3_u32 v41, v41, v42, s12
	v_perm_b32 v40, v41, v40, s13
	v_bfe_u32 v41, v39, 16, 1
	v_bfe_u32 v42, v38, 16, 1
	v_add3_u32 v38, v38, v42, s12
	v_add3_u32 v39, v39, v41, s12
	v_pk_mul_f32 v[36:37], v[58:59], v[36:37] op_sel_hi:[0,1]
	v_perm_b32 v41, v39, v38, s13
	v_bfe_u32 v38, v37, 16, 1
	v_bfe_u32 v39, v36, 16, 1
	v_pk_mul_f32 v[34:35], v[58:59], v[34:35] op_sel_hi:[0,1]
	v_add3_u32 v36, v36, v39, s12
	v_add3_u32 v37, v37, v38, s12
	v_perm_b32 v36, v37, v36, s13
	v_bfe_u32 v37, v35, 16, 1
	v_bfe_u32 v38, v34, 16, 1
	v_add3_u32 v34, v34, v38, s12
	v_add3_u32 v35, v35, v37, s12
	v_perm_b32 v37, v35, v34, s13
	v_cmp_gt_u32_e32 vcc, 5, v0
	ds_write2st64_b64 v46, v[48:49], v[44:45] offset1:1
	ds_write2st64_b64 v46, v[40:41], v[36:37] offset0:2 offset1:3
	s_and_saveexec_b64 s[8:9], vcc
	s_cbranch_execz .LBB196_17
; %bb.16:
	v_add_co_u32_e32 v36, vcc, s29, v52
	v_addc_co_u32_e64 v37, s[14:15], 0, 0, vcc
	v_mov_b32_e32 v34, s11
	v_mov_b32_e32 v35, 0
	v_mad_u64_u32 v[36:37], s[14:15], s6, v34, v[36:37]
	v_mov_b32_e32 v34, s28
	s_load_dwordx4 s[16:19], s[4:5], 0x58
	s_mul_i32 s7, s7, s11
	v_mad_u64_u32 v[34:35], s[14:15], v36, s10, v[34:35]
	v_add_u32_e32 v37, s7, v37
	v_mov_b32_e32 v36, v35
	v_mad_u64_u32 v[36:37], s[14:15], v37, s10, v[36:37]
	v_mov_b32_e32 v35, v36
	v_lshlrev_b64 v[34:35], 2, v[34:35]
	s_waitcnt lgkmcnt(0)
	v_mov_b32_e32 v37, s19
	v_add_co_u32_e32 v36, vcc, s18, v34
	v_addc_co_u32_e32 v37, vcc, v37, v35, vcc
	global_store_dword v[36:37], v54, off
	v_mov_b32_e32 v36, s17
	v_add_co_u32_e32 v34, vcc, s16, v34
	v_addc_co_u32_e32 v35, vcc, v36, v35, vcc
	global_store_dword v[34:35], v56, off
.LBB196_17:
	s_or_b64 exec, exec, s[8:9]
	v_lshl_or_b32 v47, v1, 9, v55
	s_waitcnt lgkmcnt(0)
	s_barrier
	ds_read_b128 v[34:37], v47
	ds_read_b128 v[38:41], v47 offset:16
	s_waitcnt vmcnt(7) lgkmcnt(1)
	v_mfma_f32_16x16x16bf16_1k v[42:45], v[14:15], v[34:35], 0
	v_cmp_gt_u32_e32 vcc, 64, v0
	s_mov_b32 s7, 0
	s_and_b64 s[0:1], vcc, s[0:1]
	v_mfma_f32_16x16x16bf16_1k v[14:17], v[16:17], v[36:37], v[42:45]
	s_waitcnt vmcnt(6) lgkmcnt(0)
	v_mfma_f32_16x16x16bf16_1k v[14:17], v[10:11], v[38:39], v[14:17]
	v_mfma_f32_16x16x16bf16_1k v[10:13], v[12:13], v[40:41], v[14:17]
	s_nop 7
	s_nop 1
	ds_read_b128 v[14:17], v47 offset:2048
	ds_read_b128 v[34:37], v47 offset:2064
	s_waitcnt vmcnt(5) lgkmcnt(1)
	v_mfma_f32_16x16x16bf16_1k v[10:13], v[6:7], v[14:15], v[10:13]
	v_mfma_f32_16x16x16bf16_1k v[6:9], v[8:9], v[16:17], v[10:13]
	s_waitcnt vmcnt(4) lgkmcnt(0)
	v_mfma_f32_16x16x16bf16_1k v[6:9], v[2:3], v[34:35], v[6:9]
	v_mfma_f32_16x16x16bf16_1k v[2:5], v[4:5], v[36:37], v[6:9]
	s_nop 7
	s_nop 1
	ds_read_b128 v[6:9], v47 offset:4096
	ds_read_b128 v[10:13], v47 offset:4112
	s_waitcnt vmcnt(3) lgkmcnt(1)
	v_mfma_f32_16x16x16bf16_1k v[2:5], v[30:31], v[6:7], v[2:5]
	v_mfma_f32_16x16x16bf16_1k v[2:5], v[32:33], v[8:9], v[2:5]
	s_waitcnt vmcnt(2) lgkmcnt(0)
	v_mfma_f32_16x16x16bf16_1k v[2:5], v[22:23], v[10:11], v[2:5]
	v_mfma_f32_16x16x16bf16_1k v[2:5], v[24:25], v[12:13], v[2:5]
	ds_read_b128 v[6:9], v47 offset:6144
	ds_read_b128 v[10:13], v47 offset:6160
	s_waitcnt lgkmcnt(0)
	s_barrier
	s_waitcnt vmcnt(1)
	v_mfma_f32_16x16x16bf16_1k v[2:5], v[26:27], v[6:7], v[2:5]
	v_mfma_f32_16x16x16bf16_1k v[2:5], v[28:29], v[8:9], v[2:5]
	s_waitcnt vmcnt(0)
	v_mfma_f32_16x16x16bf16_1k v[2:5], v[18:19], v[10:11], v[2:5]
	v_mfma_f32_16x16x16bf16_1k v[2:5], v[20:21], v[12:13], v[2:5]
	s_nop 7
	s_nop 2
	v_bfe_u32 v6, v3, 16, 1
	v_bfe_u32 v7, v2, 16, 1
	;; [unrolled: 1-line block ×4, first 2 shown]
	v_add3_u32 v2, v2, v7, s12
	v_add3_u32 v3, v3, v6, s12
	v_add3_u32 v4, v4, v9, s12
	v_add3_u32 v5, v5, v8, s12
	v_perm_b32 v2, v3, v2, s13
	v_perm_b32 v3, v5, v4, s13
	ds_write_b64 v46, v[2:3]
	s_waitcnt lgkmcnt(0)
	s_barrier
	s_and_saveexec_b64 s[8:9], s[0:1]
	s_cbranch_execz .LBB196_20
; %bb.18:
	s_load_dwordx2 s[4:5], s[4:5], 0x68
	s_lshl_b32 s0, s10, 6
	s_mul_i32 s1, s11, s6
	s_mul_hi_u32 s9, s1, s0
	s_mul_i32 s8, s1, s0
	s_lshl_b64 s[8:9], s[8:9], 1
	s_waitcnt lgkmcnt(0)
	s_add_u32 s1, s4, s8
	v_lshlrev_b32_e32 v0, 10, v0
	s_addc_u32 s8, s5, s9
	s_lshl_b32 s6, s28, 6
	v_and_b32_e32 v0, 0x1800, v0
	v_lshlrev_b32_e32 v2, 5, v1
	v_and_b32_e32 v3, 16, v51
	s_lshl_b64 s[4:5], s[6:7], 1
	v_or3_b32 v0, v0, v2, v3
	s_add_u32 s1, s1, s4
	s_addc_u32 s4, s8, s5
	ds_read_b128 v[4:7], v0
	v_add_u32_e32 v8, s29, v1
	v_mov_b32_e32 v3, s4
	v_add_co_u32_e32 v2, vcc, s1, v50
	v_mad_u64_u32 v[8:9], s[4:5], v8, s0, 0
	v_addc_co_u32_e32 v3, vcc, 0, v3, vcc
	v_lshlrev_b64 v[8:9], 1, v[8:9]
	v_add_co_u32_e32 v8, vcc, v2, v8
	v_addc_co_u32_e32 v9, vcc, v3, v9, vcc
	s_waitcnt lgkmcnt(0)
	global_store_dwordx4 v[8:9], v[4:7], off
	s_and_b64 exec, exec, s[2:3]
	s_cbranch_execz .LBB196_20
; %bb.19:
	ds_read_b128 v[4:7], v0 offset:128
	v_add3_u32 v0, s29, v1, 4
	v_mad_u64_u32 v[0:1], s[0:1], v0, s0, 0
	v_lshlrev_b64 v[0:1], 1, v[0:1]
	v_add_co_u32_e32 v0, vcc, v2, v0
	v_addc_co_u32_e32 v1, vcc, v3, v1, vcc
	s_waitcnt lgkmcnt(0)
	global_store_dwordx4 v[0:1], v[4:7], off
.LBB196_20:
	s_endpgm
	.section	.rodata,"a",@progbits
	.p2align	6, 0x0
	.amdhsa_kernel _Z39paged_attention_ll4mi_QKV_mfma16_kernelI14__hip_bfloat16S0_LN4vllm18Fp8KVCacheDataTypeE0ES0_Li16ELi64ELi256ELb1ELi5EL8MFMAType0EEvPKT_PKT0_S9_ifPKiSB_SB_iPKfiiiPfSE_PS4_PT2_iSD_SD_
		.amdhsa_group_segment_fixed_size 8192
		.amdhsa_private_segment_fixed_size 0
		.amdhsa_kernarg_size 400
		.amdhsa_user_sgpr_count 6
		.amdhsa_user_sgpr_private_segment_buffer 1
		.amdhsa_user_sgpr_dispatch_ptr 0
		.amdhsa_user_sgpr_queue_ptr 0
		.amdhsa_user_sgpr_kernarg_segment_ptr 1
		.amdhsa_user_sgpr_dispatch_id 0
		.amdhsa_user_sgpr_flat_scratch_init 0
		.amdhsa_user_sgpr_kernarg_preload_length 0
		.amdhsa_user_sgpr_kernarg_preload_offset 0
		.amdhsa_user_sgpr_private_segment_size 0
		.amdhsa_uses_dynamic_stack 0
		.amdhsa_system_sgpr_private_segment_wavefront_offset 0
		.amdhsa_system_sgpr_workgroup_id_x 1
		.amdhsa_system_sgpr_workgroup_id_y 1
		.amdhsa_system_sgpr_workgroup_id_z 1
		.amdhsa_system_sgpr_workgroup_info 0
		.amdhsa_system_vgpr_workitem_id 0
		.amdhsa_next_free_vgpr 67
		.amdhsa_next_free_sgpr 48
		.amdhsa_accum_offset 68
		.amdhsa_reserve_vcc 1
		.amdhsa_reserve_flat_scratch 0
		.amdhsa_float_round_mode_32 0
		.amdhsa_float_round_mode_16_64 0
		.amdhsa_float_denorm_mode_32 3
		.amdhsa_float_denorm_mode_16_64 3
		.amdhsa_dx10_clamp 1
		.amdhsa_ieee_mode 1
		.amdhsa_fp16_overflow 0
		.amdhsa_tg_split 0
		.amdhsa_exception_fp_ieee_invalid_op 0
		.amdhsa_exception_fp_denorm_src 0
		.amdhsa_exception_fp_ieee_div_zero 0
		.amdhsa_exception_fp_ieee_overflow 0
		.amdhsa_exception_fp_ieee_underflow 0
		.amdhsa_exception_fp_ieee_inexact 0
		.amdhsa_exception_int_div_zero 0
	.end_amdhsa_kernel
	.section	.text._Z39paged_attention_ll4mi_QKV_mfma16_kernelI14__hip_bfloat16S0_LN4vllm18Fp8KVCacheDataTypeE0ES0_Li16ELi64ELi256ELb1ELi5EL8MFMAType0EEvPKT_PKT0_S9_ifPKiSB_SB_iPKfiiiPfSE_PS4_PT2_iSD_SD_,"axG",@progbits,_Z39paged_attention_ll4mi_QKV_mfma16_kernelI14__hip_bfloat16S0_LN4vllm18Fp8KVCacheDataTypeE0ES0_Li16ELi64ELi256ELb1ELi5EL8MFMAType0EEvPKT_PKT0_S9_ifPKiSB_SB_iPKfiiiPfSE_PS4_PT2_iSD_SD_,comdat
.Lfunc_end196:
	.size	_Z39paged_attention_ll4mi_QKV_mfma16_kernelI14__hip_bfloat16S0_LN4vllm18Fp8KVCacheDataTypeE0ES0_Li16ELi64ELi256ELb1ELi5EL8MFMAType0EEvPKT_PKT0_S9_ifPKiSB_SB_iPKfiiiPfSE_PS4_PT2_iSD_SD_, .Lfunc_end196-_Z39paged_attention_ll4mi_QKV_mfma16_kernelI14__hip_bfloat16S0_LN4vllm18Fp8KVCacheDataTypeE0ES0_Li16ELi64ELi256ELb1ELi5EL8MFMAType0EEvPKT_PKT0_S9_ifPKiSB_SB_iPKfiiiPfSE_PS4_PT2_iSD_SD_
                                        ; -- End function
	.section	.AMDGPU.csdata,"",@progbits
; Kernel info:
; codeLenInByte = 4536
; NumSgprs: 52
; NumVgprs: 67
; NumAgprs: 0
; TotalNumVgprs: 67
; ScratchSize: 0
; MemoryBound: 0
; FloatMode: 240
; IeeeMode: 1
; LDSByteSize: 8192 bytes/workgroup (compile time only)
; SGPRBlocks: 6
; VGPRBlocks: 8
; NumSGPRsForWavesPerEU: 52
; NumVGPRsForWavesPerEU: 67
; AccumOffset: 68
; Occupancy: 7
; WaveLimiterHint : 1
; COMPUTE_PGM_RSRC2:SCRATCH_EN: 0
; COMPUTE_PGM_RSRC2:USER_SGPR: 6
; COMPUTE_PGM_RSRC2:TRAP_HANDLER: 0
; COMPUTE_PGM_RSRC2:TGID_X_EN: 1
; COMPUTE_PGM_RSRC2:TGID_Y_EN: 1
; COMPUTE_PGM_RSRC2:TGID_Z_EN: 1
; COMPUTE_PGM_RSRC2:TIDIG_COMP_CNT: 0
; COMPUTE_PGM_RSRC3_GFX90A:ACCUM_OFFSET: 16
; COMPUTE_PGM_RSRC3_GFX90A:TG_SPLIT: 0
	.section	.text._Z39paged_attention_ll4mi_QKV_mfma16_kernelI14__hip_bfloat16S0_LN4vllm18Fp8KVCacheDataTypeE0ES0_Li16ELi64ELi256ELb1ELi6EL8MFMAType0EEvPKT_PKT0_S9_ifPKiSB_SB_iPKfiiiPfSE_PS4_PT2_iSD_SD_,"axG",@progbits,_Z39paged_attention_ll4mi_QKV_mfma16_kernelI14__hip_bfloat16S0_LN4vllm18Fp8KVCacheDataTypeE0ES0_Li16ELi64ELi256ELb1ELi6EL8MFMAType0EEvPKT_PKT0_S9_ifPKiSB_SB_iPKfiiiPfSE_PS4_PT2_iSD_SD_,comdat
	.protected	_Z39paged_attention_ll4mi_QKV_mfma16_kernelI14__hip_bfloat16S0_LN4vllm18Fp8KVCacheDataTypeE0ES0_Li16ELi64ELi256ELb1ELi6EL8MFMAType0EEvPKT_PKT0_S9_ifPKiSB_SB_iPKfiiiPfSE_PS4_PT2_iSD_SD_ ; -- Begin function _Z39paged_attention_ll4mi_QKV_mfma16_kernelI14__hip_bfloat16S0_LN4vllm18Fp8KVCacheDataTypeE0ES0_Li16ELi64ELi256ELb1ELi6EL8MFMAType0EEvPKT_PKT0_S9_ifPKiSB_SB_iPKfiiiPfSE_PS4_PT2_iSD_SD_
	.globl	_Z39paged_attention_ll4mi_QKV_mfma16_kernelI14__hip_bfloat16S0_LN4vllm18Fp8KVCacheDataTypeE0ES0_Li16ELi64ELi256ELb1ELi6EL8MFMAType0EEvPKT_PKT0_S9_ifPKiSB_SB_iPKfiiiPfSE_PS4_PT2_iSD_SD_
	.p2align	8
	.type	_Z39paged_attention_ll4mi_QKV_mfma16_kernelI14__hip_bfloat16S0_LN4vllm18Fp8KVCacheDataTypeE0ES0_Li16ELi64ELi256ELb1ELi6EL8MFMAType0EEvPKT_PKT0_S9_ifPKiSB_SB_iPKfiiiPfSE_PS4_PT2_iSD_SD_,@function
_Z39paged_attention_ll4mi_QKV_mfma16_kernelI14__hip_bfloat16S0_LN4vllm18Fp8KVCacheDataTypeE0ES0_Li16ELi64ELi256ELb1ELi6EL8MFMAType0EEvPKT_PKT0_S9_ifPKiSB_SB_iPKfiiiPfSE_PS4_PT2_iSD_SD_: ; @_Z39paged_attention_ll4mi_QKV_mfma16_kernelI14__hip_bfloat16S0_LN4vllm18Fp8KVCacheDataTypeE0ES0_Li16ELi64ELi256ELb1ELi6EL8MFMAType0EEvPKT_PKT0_S9_ifPKiSB_SB_iPKfiiiPfSE_PS4_PT2_iSD_SD_
; %bb.0:
	s_load_dwordx2 s[0:1], s[4:5], 0x30
	s_mov_b32 s28, s7
	s_mov_b64 s[10:11], 0
	s_waitcnt lgkmcnt(0)
	s_cmp_lg_u64 s[0:1], 0
	s_cselect_b64 s[2:3], -1, 0
	s_and_b64 vcc, exec, s[2:3]
	s_cbranch_vccz .LBB197_7
; %bb.1:
	s_add_i32 s12, s6, 1
	s_mov_b32 s13, 0
	s_lshl_b64 s[14:15], s[12:13], 2
	s_add_u32 s14, s0, s14
	s_mov_b32 s7, s13
	s_addc_u32 s15, s1, s15
	s_lshl_b64 s[12:13], s[6:7], 2
	s_add_u32 s12, s0, s12
	s_addc_u32 s13, s1, s13
	s_load_dword s9, s[14:15], 0x0
	s_load_dword s16, s[12:13], 0x0
	s_waitcnt lgkmcnt(0)
	s_sub_i32 s9, s9, s16
	s_cmp_eq_u32 s9, 1
	s_cselect_b64 s[12:13], -1, 0
	s_andn2_b64 vcc, exec, s[10:11]
	s_cbranch_vccnz .LBB197_3
.LBB197_2:
	s_mov_b32 s7, 0
	s_mov_b64 s[12:13], -1
.LBB197_3:
	s_andn2_b64 vcc, exec, s[12:13]
	s_cbranch_vccnz .LBB197_20
; %bb.4:
	s_load_dwordx2 s[12:13], s[4:5], 0x28
	s_lshl_b64 s[10:11], s[6:7], 2
	s_waitcnt lgkmcnt(0)
	s_add_u32 s12, s12, s10
	s_addc_u32 s13, s13, s11
	s_load_dword s33, s[12:13], 0x0
	s_lshl_b32 s14, s28, 8
	s_waitcnt lgkmcnt(0)
	s_cmp_ge_i32 s14, s33
	s_cbranch_scc1 .LBB197_20
; %bb.5:
	s_add_i32 s15, s33, 15
	s_load_dwordx2 s[12:13], s[4:5], 0x20
	s_load_dword s9, s[4:5], 0x38
	s_ashr_i32 s16, s15, 31
	v_and_b32_e32 v1, 0xcf, v0
	s_lshr_b32 s16, s16, 28
	v_add_u32_e32 v1, s14, v1
	s_add_i32 s15, s15, s16
	v_ashrrev_i32_e32 v2, 31, v1
	s_ashr_i32 s17, s15, 4
	v_lshrrev_b32_e32 v4, 28, v2
	s_add_i32 s17, s17, -1
	v_add_u32_e32 v2, v1, v4
	s_waitcnt lgkmcnt(0)
	s_mul_i32 s18, s6, s9
	s_mov_b32 s19, 0
	v_ashrrev_i32_e32 v2, 4, v2
	v_mov_b32_e32 v5, s17
	v_cmp_gt_i32_e32 vcc, s33, v1
	s_lshl_b64 s[18:19], s[18:19], 2
	v_cndmask_b32_e32 v2, v5, v2, vcc
	s_add_u32 s15, s12, s18
	v_ashrrev_i32_e32 v3, 31, v2
	s_addc_u32 s16, s13, s19
	v_lshlrev_b64 v[2:3], 2, v[2:3]
	v_mov_b32_e32 v7, s16
	v_add_co_u32_e32 v6, vcc, s15, v2
	v_or_b32_e32 v2, 16, v1
	v_addc_co_u32_e32 v7, vcc, v7, v3, vcc
	v_add_u32_e32 v3, v2, v4
	v_ashrrev_i32_e32 v3, 4, v3
	v_cmp_gt_i32_e32 vcc, s33, v2
	v_cndmask_b32_e32 v2, v5, v3, vcc
	v_ashrrev_i32_e32 v3, 31, v2
	v_lshlrev_b64 v[2:3], 2, v[2:3]
	v_mov_b32_e32 v9, s16
	v_add_co_u32_e32 v8, vcc, s15, v2
	v_or_b32_e32 v2, 32, v1
	v_addc_co_u32_e32 v9, vcc, v9, v3, vcc
	v_add_u32_e32 v3, v2, v4
	v_ashrrev_i32_e32 v3, 4, v3
	v_cmp_gt_i32_e32 vcc, s33, v2
	v_cndmask_b32_e32 v2, v5, v3, vcc
	v_ashrrev_i32_e32 v3, 31, v2
	;; [unrolled: 10-line block ×3, first 2 shown]
	v_lshlrev_b64 v[2:3], 2, v[2:3]
	v_mov_b32_e32 v1, s16
	v_add_co_u32_e32 v12, vcc, s15, v2
	v_addc_co_u32_e32 v13, vcc, v1, v3, vcc
	global_load_dword v5, v[6:7], off
	global_load_dword v4, v[8:9], off
	;; [unrolled: 1-line block ×4, first 2 shown]
	s_load_dwordx2 s[12:13], s[4:5], 0x8
	s_andn2_b64 vcc, exec, s[2:3]
	s_cbranch_vccnz .LBB197_8
; %bb.6:
	s_add_u32 s0, s0, s10
	s_addc_u32 s1, s1, s11
	s_load_dword s9, s[0:1], 0x0
	s_branch .LBB197_9
.LBB197_7:
	s_mov_b64 s[12:13], 0
	s_branch .LBB197_2
.LBB197_8:
	s_mov_b32 s9, s6
.LBB197_9:
	s_load_dwordx2 s[2:3], s[4:5], 0x10
	s_load_dwordx4 s[44:47], s[4:5], 0x48
	v_lshrrev_b32_e32 v53, 6, v0
	v_bfe_u32 v1, v0, 4, 2
	v_lshl_or_b32 v6, v53, 2, v1
	v_and_b32_e32 v52, 15, v0
	v_lshlrev_b32_e32 v7, 3, v52
	v_cmp_gt_u32_e32 vcc, 6, v6
	v_cmp_gt_u32_e64 s[0:1], 8, v52
	s_mul_i32 s29, s8, 6
	s_and_b64 s[18:19], s[0:1], vcc
	v_lshlrev_b32_e32 v50, 1, v7
	s_and_saveexec_b64 s[10:11], s[18:19]
	s_cbranch_execz .LBB197_11
; %bb.10:
	s_load_dwordx2 s[18:19], s[4:5], 0x0
	s_waitcnt lgkmcnt(0)
	s_ashr_i32 s20, s44, 31
	s_mul_hi_u32 s21, s9, s44
	s_mul_i32 s20, s9, s20
	s_add_i32 s21, s21, s20
	s_mul_i32 s20, s9, s44
	s_lshl_b64 s[20:21], s[20:21], 1
	v_add_lshl_u32 v8, v6, s29, 6
	s_add_u32 s9, s18, s20
	v_ashrrev_i32_e32 v9, 31, v8
	s_addc_u32 s18, s19, s21
	v_lshlrev_b64 v[8:9], 1, v[8:9]
	v_mov_b32_e32 v7, s18
	v_add_co_u32_e32 v8, vcc, s9, v8
	v_addc_co_u32_e32 v7, vcc, v7, v9, vcc
	v_add_co_u32_e32 v8, vcc, v8, v50
	v_addc_co_u32_e32 v9, vcc, 0, v7, vcc
	global_load_dwordx4 v[8:11], v[8:9], off
	v_and_b32_e32 v7, 3, v0
	v_lshlrev_b32_e32 v12, 9, v52
	v_lshlrev_b32_e32 v6, 5, v6
	;; [unrolled: 1-line block ×3, first 2 shown]
	v_and_b32_e32 v12, 0x1800, v12
	v_or3_b32 v6, v12, v7, v6
	s_waitcnt vmcnt(0)
	ds_write_b128 v6, v[8:11]
.LBB197_11:
	s_or_b64 exec, exec, s[10:11]
	s_waitcnt lgkmcnt(0)
	s_mul_i32 s8, s8, s46
	s_mov_b32 s9, 0
	s_lshl_b64 s[8:9], s[8:9], 1
	s_add_u32 s10, s12, s8
	v_lshlrev_b32_e32 v51, 4, v0
	s_addc_u32 s11, s13, s9
	v_and_b32_e32 v6, 0xf0, v51
	v_mov_b32_e32 v7, s11
	v_add_co_u32_e32 v18, vcc, s10, v6
	v_addc_co_u32_e32 v19, vcc, 0, v7, vcc
	s_waitcnt vmcnt(3)
	v_mad_i64_i32 v[6:7], s[10:11], v5, s45, 0
	v_lshlrev_b64 v[6:7], 1, v[6:7]
	v_add_co_u32_e32 v5, vcc, v18, v6
	v_addc_co_u32_e32 v7, vcc, v19, v7, vcc
	v_and_b32_e32 v20, 0x300, v51
	v_add_co_u32_e32 v6, vcc, v5, v20
	s_waitcnt vmcnt(2)
	v_mad_i64_i32 v[4:5], s[10:11], v4, s45, 0
	v_addc_co_u32_e32 v7, vcc, 0, v7, vcc
	v_lshlrev_b64 v[4:5], 1, v[4:5]
	v_add_co_u32_e32 v4, vcc, v18, v4
	v_addc_co_u32_e32 v5, vcc, v19, v5, vcc
	v_add_co_u32_e32 v4, vcc, v4, v20
	v_addc_co_u32_e32 v5, vcc, 0, v5, vcc
	s_barrier
	global_load_dwordx4 v[38:41], v[6:7], off
	global_load_dwordx4 v[34:37], v[6:7], off offset:1024
	global_load_dwordx4 v[30:33], v[4:5], off
	global_load_dwordx4 v[14:17], v[4:5], off offset:1024
	s_waitcnt vmcnt(5)
	v_mad_i64_i32 v[4:5], s[10:11], v3, s45, 0
	v_lshlrev_b64 v[4:5], 1, v[4:5]
	v_add_co_u32_e32 v3, vcc, v18, v4
	v_addc_co_u32_e32 v5, vcc, v19, v5, vcc
	v_add_co_u32_e32 v4, vcc, v3, v20
	s_waitcnt vmcnt(4)
	v_mad_i64_i32 v[2:3], s[10:11], v2, s45, 0
	v_addc_co_u32_e32 v5, vcc, 0, v5, vcc
	v_lshlrev_b64 v[2:3], 1, v[2:3]
	v_add_co_u32_e32 v2, vcc, v18, v2
	v_addc_co_u32_e32 v3, vcc, v19, v3, vcc
	v_add_co_u32_e32 v22, vcc, v2, v20
	v_addc_co_u32_e32 v23, vcc, 0, v3, vcc
	global_load_dwordx4 v[10:13], v[4:5], off
	global_load_dwordx4 v[6:9], v[4:5], off offset:1024
	s_nop 0
	global_load_dwordx4 v[2:5], v[22:23], off
	global_load_dwordx4 v[18:21], v[22:23], off offset:1024
	v_mul_lo_u16_e32 v22, 43, v52
	v_mov_b32_e32 v23, 6
	v_mul_lo_u16_sdwa v22, v22, v23 dst_sel:DWORD dst_unused:UNUSED_PAD src0_sel:BYTE_1 src1_sel:DWORD
	v_sub_u16_e32 v22, v52, v22
	v_mov_b32_e32 v23, 5
	v_lshlrev_b32_sdwa v22, v23, v22 dst_sel:DWORD dst_unused:UNUSED_PAD src0_sel:DWORD src1_sel:BYTE_0
	v_lshl_add_u32 v22, v1, 9, v22
	ds_read_b128 v[26:29], v22
	ds_read_b128 v[22:25], v22 offset:2048
	v_and_b32_e32 v54, 63, v0
	v_cmp_gt_u32_e32 vcc, 6, v52
	v_mov_b32_e32 v48, 0
	s_and_saveexec_b64 s[10:11], vcc
	s_cbranch_execz .LBB197_13
; %bb.12:
	s_load_dwordx2 s[12:13], s[4:5], 0x40
	v_add_u32_e32 v42, s29, v52
	v_ashrrev_i32_e32 v43, 31, v42
	v_lshlrev_b64 v[42:43], 2, v[42:43]
	s_waitcnt lgkmcnt(0)
	v_mov_b32_e32 v44, s13
	v_add_co_u32_e32 v42, vcc, s12, v42
	v_addc_co_u32_e32 v43, vcc, v44, v43, vcc
	global_load_dword v48, v[42:43], off
.LBB197_13:
	s_or_b64 exec, exec, s[10:11]
	s_waitcnt vmcnt(7) lgkmcnt(1)
	v_mfma_f32_16x16x16bf16_1k v[42:45], v[38:39], v[26:27], 0
	s_add_u32 s2, s2, s8
	v_lshlrev_b32_e32 v55, 5, v52
	s_addc_u32 s3, s3, s9
	s_load_dword s10, s[4:5], 0x1c
	s_mov_b32 s42, 0xff7fffff
	v_mfma_f32_16x16x16bf16_1k v[38:41], v[40:41], v[28:29], v[42:45]
	s_waitcnt vmcnt(6) lgkmcnt(0)
	v_mfma_f32_16x16x16bf16_1k v[38:41], v[34:35], v[22:23], v[38:41]
	s_nop 4
	v_and_or_b32 v44, v0, 48, s14
	v_mov_b32_e32 v45, s17
	v_cmp_gt_i32_e32 vcc, s33, v44
	v_mfma_f32_16x16x16bf16_1k v[34:37], v[36:37], v[24:25], v[38:41]
	s_nop 6
	v_ashrrev_i32_e32 v38, 4, v44
	v_cndmask_b32_e32 v42, v45, v38, vcc
	v_ashrrev_i32_e32 v43, 31, v42
	s_waitcnt vmcnt(5)
	v_mfma_f32_16x16x16bf16_1k v[38:41], v[30:31], v[26:27], 0
	v_lshlrev_b64 v[30:31], 2, v[42:43]
	v_mov_b32_e32 v42, s16
	v_add_co_u32_e32 v30, vcc, s15, v30
	v_addc_co_u32_e32 v31, vcc, v42, v31, vcc
	global_load_dword v42, v[30:31], off
	v_mfma_f32_16x16x16bf16_1k v[30:33], v[32:33], v[28:29], v[38:41]
	v_pk_mul_f32 v[46:47], s[10:11], v[36:37] op_sel_hi:[0,1]
	s_nop 5
	v_or_b32_e32 v38, 64, v44
	v_ashrrev_i32_e32 v39, 4, v38
	v_cmp_gt_i32_e32 vcc, s33, v38
	v_cndmask_b32_e32 v38, v45, v39, vcc
	v_ashrrev_i32_e32 v39, 31, v38
	v_lshlrev_b64 v[38:39], 2, v[38:39]
	s_waitcnt vmcnt(5)
	v_mfma_f32_16x16x16bf16_1k v[30:33], v[14:15], v[22:23], v[30:33]
	v_mov_b32_e32 v40, s16
	v_add_co_u32_e32 v14, vcc, s15, v38
	v_addc_co_u32_e32 v15, vcc, v40, v39, vcc
	global_load_dword v40, v[14:15], off
	v_or_b32_e32 v14, 0x80, v44
	v_ashrrev_i32_e32 v15, 4, v14
	v_cmp_gt_i32_e32 vcc, s33, v14
	v_cndmask_b32_e32 v14, v45, v15, vcc
	v_ashrrev_i32_e32 v15, 31, v14
	v_lshlrev_b64 v[14:15], 2, v[14:15]
	v_mfma_f32_16x16x16bf16_1k v[30:33], v[16:17], v[24:25], v[30:33]
	v_mov_b32_e32 v16, s16
	v_add_co_u32_e32 v38, vcc, s15, v14
	v_addc_co_u32_e32 v39, vcc, v16, v15, vcc
	global_load_dword v38, v[38:39], off
	s_waitcnt vmcnt(6)
	v_mfma_f32_16x16x16bf16_1k v[14:17], v[10:11], v[26:27], 0
	v_mfma_f32_16x16x16bf16_1k v[10:13], v[12:13], v[28:29], v[14:17]
	s_nop 7
	s_nop 1
	v_or_b32_e32 v14, 0xc0, v44
	v_ashrrev_i32_e32 v15, 4, v14
	v_cmp_gt_i32_e32 vcc, s33, v14
	v_cndmask_b32_e32 v14, v45, v15, vcc
	s_waitcnt vmcnt(5)
	v_mfma_f32_16x16x16bf16_1k v[10:13], v[6:7], v[22:23], v[10:13]
	v_ashrrev_i32_e32 v15, 31, v14
	v_lshlrev_b64 v[14:15], 2, v[14:15]
	v_mov_b32_e32 v16, s16
	v_add_co_u32_e32 v6, vcc, s15, v14
	v_addc_co_u32_e32 v7, vcc, v16, v15, vcc
	global_load_dword v49, v[6:7], off
	v_lshl_or_b32 v6, v53, 9, v55
	v_mov_b32_e32 v7, s3
	v_add_co_u32_e32 v60, vcc, s2, v6
	v_addc_co_u32_e32 v61, vcc, 0, v7, vcc
	v_mfma_f32_16x16x16bf16_1k v[56:59], v[8:9], v[24:25], v[10:13]
	v_pk_mul_f32 v[44:45], s[10:11], v[30:31] op_sel_hi:[0,1]
	s_waitcnt vmcnt(3)
	v_mad_i64_i32 v[6:7], s[2:3], v42, s45, 0
	s_nop 3
	v_lshlrev_b64 v[10:11], 1, v[6:7]
	v_mfma_f32_16x16x16bf16_1k v[6:9], v[2:3], v[26:27], 0
	v_add_co_u32_e32 v2, vcc, v60, v10
	v_addc_co_u32_e32 v3, vcc, v61, v11, vcc
	global_load_dwordx4 v[14:17], v[2:3], off
	global_load_dwordx4 v[10:13], v[2:3], off offset:16
	v_pk_mul_f32 v[42:43], s[10:11], v[32:33] op_sel_hi:[0,1]
	s_waitcnt vmcnt(4)
	v_mad_i64_i32 v[2:3], s[2:3], v40, s45, 0
	v_mfma_f32_16x16x16bf16_1k v[26:29], v[4:5], v[28:29], v[6:9]
	v_lshlrev_b64 v[2:3], 1, v[2:3]
	v_add_co_u32_e32 v2, vcc, v60, v2
	v_addc_co_u32_e32 v3, vcc, v61, v3, vcc
	v_pk_mul_f32 v[40:41], s[10:11], v[56:57] op_sel_hi:[0,1]
	s_nop 2
	global_load_dwordx4 v[6:9], v[2:3], off
	s_nop 0
	global_load_dwordx4 v[2:5], v[2:3], off offset:16
	v_mfma_f32_16x16x16bf16_1k v[26:29], v[18:19], v[22:23], v[26:29]
	v_pk_mul_f32 v[18:19], s[10:11], v[34:35] op_sel_hi:[0,1]
	s_waitcnt vmcnt(5)
	v_mad_i64_i32 v[38:39], s[2:3], v38, s45, 0
	v_lshlrev_b64 v[38:39], 1, v[38:39]
	v_add_co_u32_e32 v22, vcc, v60, v38
	v_mfma_f32_16x16x16bf16_1k v[24:27], v[20:21], v[24:25], v[26:29]
	v_and_b32_e32 v20, 0xc0, v0
	v_add_u32_e32 v20, s14, v20
	v_lshl_or_b32 v20, v1, 2, v20
	v_or_b32_e32 v21, 1, v20
	v_addc_co_u32_e32 v23, vcc, v61, v39, vcc
	v_pk_mul_f32 v[38:39], s[10:11], v[58:59] op_sel_hi:[0,1]
	s_nop 4
	v_pk_mul_f32 v[36:37], s[10:11], v[24:25] op_sel_hi:[0,1]
	v_subrev_u32_e32 v24, s33, v21
	v_pk_mul_f32 v[34:35], s[10:11], v[26:27] op_sel_hi:[0,1]
	v_add_u32_e32 v26, 1, v24
	v_add_u32_e32 v27, 2, v24
	v_cvt_f32_i32_e32 v25, v24
	v_cvt_f32_i32_e32 v26, v26
	;; [unrolled: 1-line block ×3, first 2 shown]
	v_add_u32_e32 v28, 3, v24
	v_fma_f32 v18, v48, v25, v18
	v_fmac_f32_e32 v19, v48, v26
	v_fma_f32 v46, v48, v27, v46
	v_add_u32_e32 v25, 16, v24
	v_add_u32_e32 v26, 17, v24
	;; [unrolled: 1-line block ×3, first 2 shown]
	v_cvt_f32_i32_e32 v28, v28
	v_cvt_f32_i32_e32 v25, v25
	;; [unrolled: 1-line block ×4, first 2 shown]
	v_fmac_f32_e32 v47, v48, v28
	v_add_u32_e32 v28, 19, v24
	v_fma_f32 v44, v48, v25, v44
	v_fmac_f32_e32 v45, v48, v26
	v_fma_f32 v42, v48, v27, v42
	v_add_u32_e32 v25, 32, v24
	v_add_u32_e32 v26, 33, v24
	;; [unrolled: 1-line block ×3, first 2 shown]
	v_cvt_f32_i32_e32 v28, v28
	v_cvt_f32_i32_e32 v25, v25
	;; [unrolled: 1-line block ×4, first 2 shown]
	v_fmac_f32_e32 v43, v48, v28
	v_add_u32_e32 v28, 35, v24
	v_fma_f32 v40, v48, v25, v40
	v_fmac_f32_e32 v41, v48, v26
	v_fma_f32 v38, v48, v27, v38
	v_add_u32_e32 v25, 48, v24
	v_add_u32_e32 v26, 49, v24
	;; [unrolled: 1-line block ×4, first 2 shown]
	v_cvt_f32_i32_e32 v24, v24
	v_cvt_f32_i32_e32 v25, v25
	;; [unrolled: 1-line block ×3, first 2 shown]
	v_cmp_gt_i32_e64 s[30:31], s33, v20
	v_fmac_f32_e32 v35, v48, v24
	v_mov_b32_e32 v24, 0xff7fffff
	v_cmp_gt_i32_e64 s[34:35], s33, v21
	v_fma_f32 v36, v48, v25, v36
	v_cndmask_b32_e64 v25, v24, v18, s[30:31]
	v_cndmask_b32_e64 v21, v24, v19, s[34:35]
	v_fmac_f32_e32 v37, v48, v26
	v_max3_f32 v21, v25, s42, v21
	v_or_b32_e32 v25, 2, v20
	v_or_b32_e32 v26, 3, v20
	v_cmp_gt_i32_e64 s[36:37], s33, v25
	v_cmp_gt_i32_e64 s[38:39], s33, v26
	v_cndmask_b32_e64 v25, v24, v46, s[36:37]
	v_cndmask_b32_e64 v26, v24, v47, s[38:39]
	v_max3_f32 v21, v21, v25, v26
	v_or_b32_e32 v25, 16, v20
	v_or_b32_e32 v26, 17, v20
	v_cmp_gt_i32_e64 s[24:25], s33, v25
	v_cmp_gt_i32_e64 s[26:27], s33, v26
	v_cndmask_b32_e64 v25, v24, v44, s[24:25]
	v_cndmask_b32_e64 v26, v24, v45, s[26:27]
	;; [unrolled: 7-line block ×3, first 2 shown]
	v_cvt_f32_i32_e32 v28, v28
	v_max3_f32 v21, v21, v25, v26
	v_or_b32_e32 v25, 32, v20
	v_or_b32_e32 v26, 33, v20
	v_cmp_gt_i32_e64 s[16:17], s33, v25
	v_cmp_gt_i32_e64 s[18:19], s33, v26
	v_cndmask_b32_e64 v25, v24, v40, s[16:17]
	v_cndmask_b32_e64 v26, v24, v41, s[18:19]
	v_max3_f32 v21, v21, v25, v26
	v_or_b32_e32 v25, 34, v20
	v_or_b32_e32 v26, 35, v20
	v_fmac_f32_e32 v39, v48, v28
	v_cmp_gt_i32_e64 s[12:13], s33, v25
	v_cmp_gt_i32_e64 s[14:15], s33, v26
	v_cndmask_b32_e64 v25, v24, v38, s[12:13]
	v_cndmask_b32_e64 v26, v24, v39, s[14:15]
	v_cvt_f32_i32_e32 v27, v27
	v_max3_f32 v21, v21, v25, v26
	v_or_b32_e32 v25, 48, v20
	v_or_b32_e32 v26, 49, v20
	v_cmp_gt_i32_e64 s[8:9], s33, v25
	v_cmp_gt_i32_e64 s[10:11], s33, v26
	v_cndmask_b32_e64 v25, v24, v36, s[8:9]
	v_cndmask_b32_e64 v26, v24, v37, s[10:11]
	v_max3_f32 v21, v21, v25, v26
	v_or_b32_e32 v25, 50, v20
	v_or_b32_e32 v20, 51, v20
	v_fma_f32 v34, v48, v27, v34
	v_cmp_gt_i32_e32 vcc, s33, v25
	v_cmp_gt_i32_e64 s[2:3], s33, v20
	v_cndmask_b32_e32 v25, v24, v34, vcc
	v_cndmask_b32_e64 v20, v24, v35, s[2:3]
	v_max3_f32 v26, v21, v25, v20
	v_mbcnt_lo_u32_b32 v20, -1, 0
	v_mbcnt_hi_u32_b32 v27, -1, v20
	v_and_b32_e32 v20, 64, v27
	v_add_u32_e32 v28, 64, v20
	v_xor_b32_e32 v20, 32, v27
	v_cmp_lt_i32_e64 s[40:41], v20, v28
	v_cndmask_b32_e64 v20, v27, v20, s[40:41]
	v_lshlrev_b32_e32 v57, 2, v20
	ds_bpermute_b32 v29, v57, v26
	s_waitcnt vmcnt(4)
	v_mad_i64_i32 v[20:21], s[40:41], v49, s45, 0
	v_lshlrev_b64 v[20:21], 1, v[20:21]
	global_load_dwordx4 v[30:33], v[22:23], off
	s_nop 0
	global_load_dwordx4 v[22:25], v[22:23], off offset:16
	s_waitcnt lgkmcnt(0)
	v_max_f32_e32 v29, v29, v29
	v_max_f32_e32 v26, v26, v29
	v_xor_b32_e32 v29, 16, v27
	v_cmp_lt_i32_e64 s[40:41], v29, v28
	v_cndmask_b32_e64 v27, v27, v29, s[40:41]
	v_lshlrev_b32_e32 v59, 2, v27
	ds_bpermute_b32 v27, v59, v26
	v_add_co_u32_e64 v20, s[40:41], v60, v20
	v_addc_co_u32_e64 v21, s[40:41], v61, v21, s[40:41]
	s_waitcnt lgkmcnt(0)
	v_max_f32_e32 v27, v27, v27
	v_max_f32_e32 v56, v26, v27
	v_sub_f32_e32 v18, v18, v56
	v_mul_f32_e32 v18, 0x3fb8aa3b, v18
	v_exp_f32_e32 v48, v18
	v_sub_f32_e32 v18, v19, v56
	v_mul_f32_e32 v18, 0x3fb8aa3b, v18
	v_exp_f32_e32 v49, v18
	global_load_dwordx4 v[26:29], v[20:21], off
	s_nop 0
	global_load_dwordx4 v[18:21], v[20:21], off offset:16
	v_sub_f32_e32 v46, v46, v56
	v_mul_f32_e32 v46, 0x3fb8aa3b, v46
	v_sub_f32_e32 v47, v47, v56
	v_exp_f32_e32 v46, v46
	v_mul_f32_e32 v47, 0x3fb8aa3b, v47
	v_sub_f32_e32 v44, v44, v56
	v_exp_f32_e32 v47, v47
	v_mul_f32_e32 v44, 0x3fb8aa3b, v44
	v_sub_f32_e32 v45, v45, v56
	v_cndmask_b32_e64 v48, 0, v48, s[30:31]
	v_exp_f32_e32 v44, v44
	v_mul_f32_e32 v45, 0x3fb8aa3b, v45
	v_sub_f32_e32 v42, v42, v56
	v_add_f32_e32 v58, 0, v48
	v_cndmask_b32_e64 v49, 0, v49, s[34:35]
	v_exp_f32_e32 v45, v45
	v_mul_f32_e32 v42, 0x3fb8aa3b, v42
	v_sub_f32_e32 v43, v43, v56
	v_add_f32_e32 v58, v58, v49
	;; [unrolled: 5-line block ×10, first 2 shown]
	v_cndmask_b32_e64 v38, 0, v38, s[12:13]
	v_exp_f32_e32 v34, v34
	v_mul_f32_e32 v35, 0x3fb8aa3b, v35
	v_add_f32_e32 v58, v58, v38
	v_cndmask_b32_e64 v39, 0, v39, s[14:15]
	v_exp_f32_e32 v35, v35
	v_add_f32_e32 v58, v58, v39
	v_cndmask_b32_e64 v36, 0, v36, s[8:9]
	v_add_f32_e32 v58, v58, v36
	v_cndmask_b32_e64 v37, 0, v37, s[10:11]
	v_add_f32_e32 v58, v58, v37
	v_cndmask_b32_e32 v34, 0, v34, vcc
	v_add_f32_e32 v58, v58, v34
	v_cndmask_b32_e64 v35, 0, v35, s[2:3]
	v_add_f32_e32 v58, v58, v35
	ds_bpermute_b32 v57, v57, v58
	s_load_dword s9, s[4:5], 0x98
	v_cmp_gt_u32_e32 vcc, 16, v54
	s_waitcnt lgkmcnt(0)
	s_barrier
	v_add_f32_e32 v58, v58, v57
	ds_bpermute_b32 v59, v59, v58
	v_lshlrev_b32_e32 v57, 2, v52
	s_waitcnt lgkmcnt(0)
	s_and_saveexec_b64 s[2:3], vcc
	s_cbranch_execz .LBB197_15
; %bb.14:
	v_add_f32_e32 v54, v58, v59
	v_lshl_or_b32 v58, v53, 6, v57
	ds_write2st64_b32 v58, v56, v54 offset1:1
.LBB197_15:
	s_or_b64 exec, exec, s[2:3]
	s_load_dword s8, s[4:5], 0x94
	s_waitcnt lgkmcnt(0)
	s_barrier
	ds_read2_b32 v[58:59], v57 offset1:16
	ds_read2_b32 v[60:61], v57 offset0:32 offset1:48
	ds_read2_b32 v[62:63], v57 offset0:64 offset1:80
	s_movk_i32 s10, 0x7fff
	s_mov_b32 s11, 0x7060302
	s_waitcnt lgkmcnt(2)
	v_max3_f32 v54, v58, s42, v59
	s_waitcnt lgkmcnt(1)
	v_max3_f32 v54, v54, v60, v61
	v_sub_f32_e32 v56, v58, v54
	v_mul_f32_e32 v56, 0x3fb8aa3b, v56
	v_exp_f32_e32 v64, v56
	v_sub_f32_e32 v56, v59, v54
	v_mul_f32_e32 v56, 0x3fb8aa3b, v56
	v_exp_f32_e32 v65, v56
	;; [unrolled: 3-line block ×3, first 2 shown]
	ds_read2_b32 v[58:59], v57 offset0:96 offset1:112
	v_sub_f32_e32 v56, v61, v54
	v_mul_f32_e32 v56, 0x3fb8aa3b, v56
	v_exp_f32_e32 v57, v56
	s_waitcnt lgkmcnt(1)
	v_fma_f32 v56, v64, v62, 0
	v_fmac_f32_e32 v56, v65, v63
	s_waitcnt lgkmcnt(0)
	v_fmac_f32_e32 v56, v60, v58
	v_fmac_f32_e32 v56, v57, v59
	v_add_f32_e32 v58, 0x358637bd, v56
	v_div_scale_f32 v59, s[2:3], v58, v58, 1.0
	v_rcp_f32_e32 v61, v59
	s_mul_i32 s9, s9, 6
	s_barrier
	v_fma_f32 v62, -v59, v61, 1.0
	v_fmac_f32_e32 v61, v62, v61
	v_div_scale_f32 v62, vcc, 1.0, v58, 1.0
	v_mul_f32_e32 v63, v62, v61
	v_fma_f32 v66, -v59, v63, v62
	v_fmac_f32_e32 v63, v66, v61
	v_fma_f32 v59, -v59, v63, v62
	v_div_fmas_f32 v59, v59, v61, v63
	v_cmp_eq_u32_e32 vcc, 1, v53
	v_div_fixup_f32 v58, v59, v58, 1.0
	v_cndmask_b32_e32 v59, v64, v65, vcc
	v_cmp_eq_u32_e32 vcc, 2, v53
	v_cndmask_b32_e32 v59, v59, v60, vcc
	v_cmp_eq_u32_e32 vcc, 3, v53
	v_cndmask_b32_e32 v57, v59, v57, vcc
	v_mul_f32_e32 v58, v57, v58
	v_pk_mul_f32 v[48:49], v[58:59], v[48:49] op_sel_hi:[0,1]
	v_pk_mul_f32 v[46:47], v[58:59], v[46:47] op_sel_hi:[0,1]
	v_bfe_u32 v57, v49, 16, 1
	v_bfe_u32 v59, v48, 16, 1
	v_add3_u32 v48, v48, v59, s10
	v_add3_u32 v49, v49, v57, s10
	v_perm_b32 v48, v49, v48, s11
	v_bfe_u32 v49, v47, 16, 1
	v_bfe_u32 v57, v46, 16, 1
	v_add3_u32 v46, v46, v57, s10
	v_add3_u32 v47, v47, v49, s10
	v_perm_b32 v49, v47, v46, s11
	v_lshlrev_b32_e32 v46, 3, v1
	v_lshlrev_b32_e32 v47, 11, v53
	v_pk_mul_f32 v[44:45], v[58:59], v[44:45] op_sel_hi:[0,1]
	v_or3_b32 v46, v47, v55, v46
	v_bfe_u32 v47, v45, 16, 1
	v_bfe_u32 v53, v44, 16, 1
	v_pk_mul_f32 v[42:43], v[58:59], v[42:43] op_sel_hi:[0,1]
	v_add3_u32 v44, v44, v53, s10
	v_add3_u32 v45, v45, v47, s10
	v_perm_b32 v44, v45, v44, s11
	v_bfe_u32 v45, v43, 16, 1
	v_bfe_u32 v47, v42, 16, 1
	v_add3_u32 v42, v42, v47, s10
	v_add3_u32 v43, v43, v45, s10
	v_pk_mul_f32 v[40:41], v[58:59], v[40:41] op_sel_hi:[0,1]
	v_perm_b32 v45, v43, v42, s11
	v_bfe_u32 v42, v41, 16, 1
	v_bfe_u32 v43, v40, 16, 1
	v_pk_mul_f32 v[38:39], v[58:59], v[38:39] op_sel_hi:[0,1]
	v_add3_u32 v40, v40, v43, s10
	v_add3_u32 v41, v41, v42, s10
	v_perm_b32 v40, v41, v40, s11
	v_bfe_u32 v41, v39, 16, 1
	v_bfe_u32 v42, v38, 16, 1
	v_add3_u32 v38, v38, v42, s10
	v_add3_u32 v39, v39, v41, s10
	v_pk_mul_f32 v[36:37], v[58:59], v[36:37] op_sel_hi:[0,1]
	v_perm_b32 v41, v39, v38, s11
	v_bfe_u32 v38, v37, 16, 1
	v_bfe_u32 v39, v36, 16, 1
	v_pk_mul_f32 v[34:35], v[58:59], v[34:35] op_sel_hi:[0,1]
	v_add3_u32 v36, v36, v39, s10
	v_add3_u32 v37, v37, v38, s10
	v_perm_b32 v36, v37, v36, s11
	v_bfe_u32 v37, v35, 16, 1
	v_bfe_u32 v38, v34, 16, 1
	v_add3_u32 v34, v34, v38, s10
	v_add3_u32 v35, v35, v37, s10
	v_perm_b32 v37, v35, v34, s11
	v_cmp_gt_u32_e32 vcc, 6, v0
	ds_write2st64_b64 v46, v[48:49], v[44:45] offset1:1
	ds_write2st64_b64 v46, v[40:41], v[36:37] offset0:2 offset1:3
	s_and_saveexec_b64 s[2:3], vcc
	s_cbranch_execz .LBB197_17
; %bb.16:
	v_add_co_u32_e32 v36, vcc, s29, v52
	v_addc_co_u32_e64 v37, s[16:17], 0, 0, vcc
	v_mov_b32_e32 v34, s9
	v_mov_b32_e32 v35, 0
	v_mad_u64_u32 v[36:37], s[16:17], s6, v34, v[36:37]
	v_mov_b32_e32 v34, s28
	s_load_dwordx4 s[12:15], s[4:5], 0x58
	s_mul_i32 s7, s7, s9
	v_mad_u64_u32 v[34:35], s[16:17], v36, s8, v[34:35]
	v_add_u32_e32 v37, s7, v37
	v_mov_b32_e32 v36, v35
	v_mad_u64_u32 v[36:37], s[16:17], v37, s8, v[36:37]
	v_mov_b32_e32 v35, v36
	v_lshlrev_b64 v[34:35], 2, v[34:35]
	s_waitcnt lgkmcnt(0)
	v_mov_b32_e32 v37, s15
	v_add_co_u32_e32 v36, vcc, s14, v34
	v_addc_co_u32_e32 v37, vcc, v37, v35, vcc
	global_store_dword v[36:37], v54, off
	v_mov_b32_e32 v36, s13
	v_add_co_u32_e32 v34, vcc, s12, v34
	v_addc_co_u32_e32 v35, vcc, v36, v35, vcc
	global_store_dword v[34:35], v56, off
.LBB197_17:
	s_or_b64 exec, exec, s[2:3]
	v_lshl_or_b32 v47, v1, 9, v55
	s_waitcnt lgkmcnt(0)
	s_barrier
	ds_read_b128 v[34:37], v47
	ds_read_b128 v[38:41], v47 offset:16
	s_waitcnt vmcnt(7) lgkmcnt(1)
	v_mfma_f32_16x16x16bf16_1k v[42:45], v[14:15], v[34:35], 0
	v_cmp_gt_u32_e32 vcc, 64, v0
	s_mov_b32 s3, 0
	s_and_b64 s[0:1], vcc, s[0:1]
	v_mfma_f32_16x16x16bf16_1k v[14:17], v[16:17], v[36:37], v[42:45]
	s_waitcnt vmcnt(6) lgkmcnt(0)
	v_mfma_f32_16x16x16bf16_1k v[14:17], v[10:11], v[38:39], v[14:17]
	v_mfma_f32_16x16x16bf16_1k v[10:13], v[12:13], v[40:41], v[14:17]
	s_nop 7
	s_nop 1
	ds_read_b128 v[14:17], v47 offset:2048
	ds_read_b128 v[34:37], v47 offset:2064
	s_waitcnt vmcnt(5) lgkmcnt(1)
	v_mfma_f32_16x16x16bf16_1k v[10:13], v[6:7], v[14:15], v[10:13]
	v_mfma_f32_16x16x16bf16_1k v[6:9], v[8:9], v[16:17], v[10:13]
	s_waitcnt vmcnt(4) lgkmcnt(0)
	v_mfma_f32_16x16x16bf16_1k v[6:9], v[2:3], v[34:35], v[6:9]
	v_mfma_f32_16x16x16bf16_1k v[2:5], v[4:5], v[36:37], v[6:9]
	s_nop 7
	s_nop 1
	ds_read_b128 v[6:9], v47 offset:4096
	ds_read_b128 v[10:13], v47 offset:4112
	s_waitcnt vmcnt(3) lgkmcnt(1)
	v_mfma_f32_16x16x16bf16_1k v[2:5], v[30:31], v[6:7], v[2:5]
	v_mfma_f32_16x16x16bf16_1k v[2:5], v[32:33], v[8:9], v[2:5]
	s_waitcnt vmcnt(2) lgkmcnt(0)
	v_mfma_f32_16x16x16bf16_1k v[2:5], v[22:23], v[10:11], v[2:5]
	v_mfma_f32_16x16x16bf16_1k v[2:5], v[24:25], v[12:13], v[2:5]
	ds_read_b128 v[6:9], v47 offset:6144
	ds_read_b128 v[10:13], v47 offset:6160
	s_waitcnt lgkmcnt(0)
	s_barrier
	s_waitcnt vmcnt(1)
	v_mfma_f32_16x16x16bf16_1k v[2:5], v[26:27], v[6:7], v[2:5]
	v_mfma_f32_16x16x16bf16_1k v[2:5], v[28:29], v[8:9], v[2:5]
	s_waitcnt vmcnt(0)
	v_mfma_f32_16x16x16bf16_1k v[2:5], v[18:19], v[10:11], v[2:5]
	v_mfma_f32_16x16x16bf16_1k v[2:5], v[20:21], v[12:13], v[2:5]
	s_nop 7
	s_nop 2
	v_bfe_u32 v6, v3, 16, 1
	v_bfe_u32 v7, v2, 16, 1
	;; [unrolled: 1-line block ×4, first 2 shown]
	v_add3_u32 v2, v2, v7, s10
	v_add3_u32 v3, v3, v6, s10
	;; [unrolled: 1-line block ×4, first 2 shown]
	v_perm_b32 v2, v3, v2, s11
	v_perm_b32 v3, v5, v4, s11
	ds_write_b64 v46, v[2:3]
	s_waitcnt lgkmcnt(0)
	s_barrier
	s_and_saveexec_b64 s[10:11], s[0:1]
	s_cbranch_execz .LBB197_20
; %bb.18:
	s_load_dwordx2 s[4:5], s[4:5], 0x68
	s_lshl_b32 s0, s8, 6
	s_mul_i32 s1, s9, s6
	s_mul_hi_u32 s7, s1, s0
	s_mul_i32 s6, s1, s0
	s_lshl_b64 s[6:7], s[6:7], 1
	s_waitcnt lgkmcnt(0)
	s_add_u32 s1, s4, s6
	s_addc_u32 s4, s5, s7
	s_lshl_b32 s2, s28, 6
	v_lshlrev_b32_e32 v0, 10, v0
	s_lshl_b64 s[2:3], s[2:3], 1
	v_and_b32_e32 v2, 0x1800, v0
	v_lshlrev_b32_e32 v3, 5, v1
	v_and_b32_e32 v4, 16, v51
	s_add_u32 s1, s1, s2
	v_or_b32_e32 v0, 4, v1
	v_or3_b32 v2, v2, v3, v4
	s_addc_u32 s2, s4, s3
	v_add_u32_e32 v1, s29, v1
	v_mov_b32_e32 v4, s2
	v_add_co_u32_e32 v3, vcc, s1, v50
	ds_read_b128 v[6:9], v2
	v_mad_u64_u32 v[10:11], s[2:3], v1, s0, 0
	v_addc_co_u32_e32 v4, vcc, 0, v4, vcc
	v_lshlrev_b64 v[10:11], 1, v[10:11]
	v_add_co_u32_e32 v10, vcc, v3, v10
	v_addc_co_u32_e32 v11, vcc, v4, v11, vcc
	v_cmp_gt_u32_e32 vcc, 6, v0
	s_waitcnt lgkmcnt(0)
	global_store_dwordx4 v[10:11], v[6:9], off
	s_and_b64 exec, exec, vcc
	s_cbranch_execz .LBB197_20
; %bb.19:
	ds_read_b128 v[6:9], v2 offset:128
	v_add_u32_e32 v0, s29, v0
	v_mad_u64_u32 v[0:1], s[0:1], v0, s0, 0
	v_lshlrev_b64 v[0:1], 1, v[0:1]
	v_add_co_u32_e32 v0, vcc, v3, v0
	v_addc_co_u32_e32 v1, vcc, v4, v1, vcc
	s_waitcnt lgkmcnt(0)
	global_store_dwordx4 v[0:1], v[6:9], off
.LBB197_20:
	s_endpgm
	.section	.rodata,"a",@progbits
	.p2align	6, 0x0
	.amdhsa_kernel _Z39paged_attention_ll4mi_QKV_mfma16_kernelI14__hip_bfloat16S0_LN4vllm18Fp8KVCacheDataTypeE0ES0_Li16ELi64ELi256ELb1ELi6EL8MFMAType0EEvPKT_PKT0_S9_ifPKiSB_SB_iPKfiiiPfSE_PS4_PT2_iSD_SD_
		.amdhsa_group_segment_fixed_size 8192
		.amdhsa_private_segment_fixed_size 0
		.amdhsa_kernarg_size 400
		.amdhsa_user_sgpr_count 6
		.amdhsa_user_sgpr_private_segment_buffer 1
		.amdhsa_user_sgpr_dispatch_ptr 0
		.amdhsa_user_sgpr_queue_ptr 0
		.amdhsa_user_sgpr_kernarg_segment_ptr 1
		.amdhsa_user_sgpr_dispatch_id 0
		.amdhsa_user_sgpr_flat_scratch_init 0
		.amdhsa_user_sgpr_kernarg_preload_length 0
		.amdhsa_user_sgpr_kernarg_preload_offset 0
		.amdhsa_user_sgpr_private_segment_size 0
		.amdhsa_uses_dynamic_stack 0
		.amdhsa_system_sgpr_private_segment_wavefront_offset 0
		.amdhsa_system_sgpr_workgroup_id_x 1
		.amdhsa_system_sgpr_workgroup_id_y 1
		.amdhsa_system_sgpr_workgroup_id_z 1
		.amdhsa_system_sgpr_workgroup_info 0
		.amdhsa_system_vgpr_workitem_id 0
		.amdhsa_next_free_vgpr 67
		.amdhsa_next_free_sgpr 48
		.amdhsa_accum_offset 68
		.amdhsa_reserve_vcc 1
		.amdhsa_reserve_flat_scratch 0
		.amdhsa_float_round_mode_32 0
		.amdhsa_float_round_mode_16_64 0
		.amdhsa_float_denorm_mode_32 3
		.amdhsa_float_denorm_mode_16_64 3
		.amdhsa_dx10_clamp 1
		.amdhsa_ieee_mode 1
		.amdhsa_fp16_overflow 0
		.amdhsa_tg_split 0
		.amdhsa_exception_fp_ieee_invalid_op 0
		.amdhsa_exception_fp_denorm_src 0
		.amdhsa_exception_fp_ieee_div_zero 0
		.amdhsa_exception_fp_ieee_overflow 0
		.amdhsa_exception_fp_ieee_underflow 0
		.amdhsa_exception_fp_ieee_inexact 0
		.amdhsa_exception_int_div_zero 0
	.end_amdhsa_kernel
	.section	.text._Z39paged_attention_ll4mi_QKV_mfma16_kernelI14__hip_bfloat16S0_LN4vllm18Fp8KVCacheDataTypeE0ES0_Li16ELi64ELi256ELb1ELi6EL8MFMAType0EEvPKT_PKT0_S9_ifPKiSB_SB_iPKfiiiPfSE_PS4_PT2_iSD_SD_,"axG",@progbits,_Z39paged_attention_ll4mi_QKV_mfma16_kernelI14__hip_bfloat16S0_LN4vllm18Fp8KVCacheDataTypeE0ES0_Li16ELi64ELi256ELb1ELi6EL8MFMAType0EEvPKT_PKT0_S9_ifPKiSB_SB_iPKfiiiPfSE_PS4_PT2_iSD_SD_,comdat
.Lfunc_end197:
	.size	_Z39paged_attention_ll4mi_QKV_mfma16_kernelI14__hip_bfloat16S0_LN4vllm18Fp8KVCacheDataTypeE0ES0_Li16ELi64ELi256ELb1ELi6EL8MFMAType0EEvPKT_PKT0_S9_ifPKiSB_SB_iPKfiiiPfSE_PS4_PT2_iSD_SD_, .Lfunc_end197-_Z39paged_attention_ll4mi_QKV_mfma16_kernelI14__hip_bfloat16S0_LN4vllm18Fp8KVCacheDataTypeE0ES0_Li16ELi64ELi256ELb1ELi6EL8MFMAType0EEvPKT_PKT0_S9_ifPKiSB_SB_iPKfiiiPfSE_PS4_PT2_iSD_SD_
                                        ; -- End function
	.section	.AMDGPU.csdata,"",@progbits
; Kernel info:
; codeLenInByte = 4540
; NumSgprs: 52
; NumVgprs: 67
; NumAgprs: 0
; TotalNumVgprs: 67
; ScratchSize: 0
; MemoryBound: 0
; FloatMode: 240
; IeeeMode: 1
; LDSByteSize: 8192 bytes/workgroup (compile time only)
; SGPRBlocks: 6
; VGPRBlocks: 8
; NumSGPRsForWavesPerEU: 52
; NumVGPRsForWavesPerEU: 67
; AccumOffset: 68
; Occupancy: 7
; WaveLimiterHint : 1
; COMPUTE_PGM_RSRC2:SCRATCH_EN: 0
; COMPUTE_PGM_RSRC2:USER_SGPR: 6
; COMPUTE_PGM_RSRC2:TRAP_HANDLER: 0
; COMPUTE_PGM_RSRC2:TGID_X_EN: 1
; COMPUTE_PGM_RSRC2:TGID_Y_EN: 1
; COMPUTE_PGM_RSRC2:TGID_Z_EN: 1
; COMPUTE_PGM_RSRC2:TIDIG_COMP_CNT: 0
; COMPUTE_PGM_RSRC3_GFX90A:ACCUM_OFFSET: 16
; COMPUTE_PGM_RSRC3_GFX90A:TG_SPLIT: 0
	.section	.text._Z39paged_attention_ll4mi_QKV_mfma16_kernelI14__hip_bfloat16S0_LN4vllm18Fp8KVCacheDataTypeE0ES0_Li16ELi64ELi256ELb1ELi7EL8MFMAType0EEvPKT_PKT0_S9_ifPKiSB_SB_iPKfiiiPfSE_PS4_PT2_iSD_SD_,"axG",@progbits,_Z39paged_attention_ll4mi_QKV_mfma16_kernelI14__hip_bfloat16S0_LN4vllm18Fp8KVCacheDataTypeE0ES0_Li16ELi64ELi256ELb1ELi7EL8MFMAType0EEvPKT_PKT0_S9_ifPKiSB_SB_iPKfiiiPfSE_PS4_PT2_iSD_SD_,comdat
	.protected	_Z39paged_attention_ll4mi_QKV_mfma16_kernelI14__hip_bfloat16S0_LN4vllm18Fp8KVCacheDataTypeE0ES0_Li16ELi64ELi256ELb1ELi7EL8MFMAType0EEvPKT_PKT0_S9_ifPKiSB_SB_iPKfiiiPfSE_PS4_PT2_iSD_SD_ ; -- Begin function _Z39paged_attention_ll4mi_QKV_mfma16_kernelI14__hip_bfloat16S0_LN4vllm18Fp8KVCacheDataTypeE0ES0_Li16ELi64ELi256ELb1ELi7EL8MFMAType0EEvPKT_PKT0_S9_ifPKiSB_SB_iPKfiiiPfSE_PS4_PT2_iSD_SD_
	.globl	_Z39paged_attention_ll4mi_QKV_mfma16_kernelI14__hip_bfloat16S0_LN4vllm18Fp8KVCacheDataTypeE0ES0_Li16ELi64ELi256ELb1ELi7EL8MFMAType0EEvPKT_PKT0_S9_ifPKiSB_SB_iPKfiiiPfSE_PS4_PT2_iSD_SD_
	.p2align	8
	.type	_Z39paged_attention_ll4mi_QKV_mfma16_kernelI14__hip_bfloat16S0_LN4vllm18Fp8KVCacheDataTypeE0ES0_Li16ELi64ELi256ELb1ELi7EL8MFMAType0EEvPKT_PKT0_S9_ifPKiSB_SB_iPKfiiiPfSE_PS4_PT2_iSD_SD_,@function
_Z39paged_attention_ll4mi_QKV_mfma16_kernelI14__hip_bfloat16S0_LN4vllm18Fp8KVCacheDataTypeE0ES0_Li16ELi64ELi256ELb1ELi7EL8MFMAType0EEvPKT_PKT0_S9_ifPKiSB_SB_iPKfiiiPfSE_PS4_PT2_iSD_SD_: ; @_Z39paged_attention_ll4mi_QKV_mfma16_kernelI14__hip_bfloat16S0_LN4vllm18Fp8KVCacheDataTypeE0ES0_Li16ELi64ELi256ELb1ELi7EL8MFMAType0EEvPKT_PKT0_S9_ifPKiSB_SB_iPKfiiiPfSE_PS4_PT2_iSD_SD_
; %bb.0:
	s_load_dwordx2 s[0:1], s[4:5], 0x30
	s_mov_b32 s28, s7
	s_mov_b64 s[10:11], 0
	s_waitcnt lgkmcnt(0)
	s_cmp_lg_u64 s[0:1], 0
	s_cselect_b64 s[2:3], -1, 0
	s_and_b64 vcc, exec, s[2:3]
	s_cbranch_vccz .LBB198_7
; %bb.1:
	s_add_i32 s12, s6, 1
	s_mov_b32 s13, 0
	s_lshl_b64 s[14:15], s[12:13], 2
	s_add_u32 s14, s0, s14
	s_mov_b32 s7, s13
	s_addc_u32 s15, s1, s15
	s_lshl_b64 s[12:13], s[6:7], 2
	s_add_u32 s12, s0, s12
	s_addc_u32 s13, s1, s13
	s_load_dword s9, s[14:15], 0x0
	s_load_dword s16, s[12:13], 0x0
	s_waitcnt lgkmcnt(0)
	s_sub_i32 s9, s9, s16
	s_cmp_eq_u32 s9, 1
	s_cselect_b64 s[12:13], -1, 0
	s_andn2_b64 vcc, exec, s[10:11]
	s_cbranch_vccnz .LBB198_3
.LBB198_2:
	s_mov_b32 s7, 0
	s_mov_b64 s[12:13], -1
.LBB198_3:
	s_andn2_b64 vcc, exec, s[12:13]
	s_cbranch_vccnz .LBB198_20
; %bb.4:
	s_load_dwordx2 s[12:13], s[4:5], 0x28
	s_lshl_b64 s[10:11], s[6:7], 2
	s_waitcnt lgkmcnt(0)
	s_add_u32 s12, s12, s10
	s_addc_u32 s13, s13, s11
	s_load_dword s33, s[12:13], 0x0
	s_lshl_b32 s14, s28, 8
	s_waitcnt lgkmcnt(0)
	s_cmp_ge_i32 s14, s33
	s_cbranch_scc1 .LBB198_20
; %bb.5:
	s_add_i32 s15, s33, 15
	s_load_dwordx2 s[12:13], s[4:5], 0x20
	s_load_dword s9, s[4:5], 0x38
	s_ashr_i32 s16, s15, 31
	v_and_b32_e32 v1, 0xcf, v0
	s_lshr_b32 s16, s16, 28
	v_add_u32_e32 v1, s14, v1
	s_add_i32 s15, s15, s16
	v_ashrrev_i32_e32 v2, 31, v1
	s_ashr_i32 s17, s15, 4
	v_lshrrev_b32_e32 v4, 28, v2
	s_add_i32 s17, s17, -1
	v_add_u32_e32 v2, v1, v4
	s_waitcnt lgkmcnt(0)
	s_mul_i32 s18, s6, s9
	s_mov_b32 s19, 0
	v_ashrrev_i32_e32 v2, 4, v2
	v_mov_b32_e32 v5, s17
	v_cmp_gt_i32_e32 vcc, s33, v1
	s_lshl_b64 s[18:19], s[18:19], 2
	v_cndmask_b32_e32 v2, v5, v2, vcc
	s_add_u32 s15, s12, s18
	v_ashrrev_i32_e32 v3, 31, v2
	s_addc_u32 s16, s13, s19
	v_lshlrev_b64 v[2:3], 2, v[2:3]
	v_mov_b32_e32 v7, s16
	v_add_co_u32_e32 v6, vcc, s15, v2
	v_or_b32_e32 v2, 16, v1
	v_addc_co_u32_e32 v7, vcc, v7, v3, vcc
	v_add_u32_e32 v3, v2, v4
	v_ashrrev_i32_e32 v3, 4, v3
	v_cmp_gt_i32_e32 vcc, s33, v2
	v_cndmask_b32_e32 v2, v5, v3, vcc
	v_ashrrev_i32_e32 v3, 31, v2
	v_lshlrev_b64 v[2:3], 2, v[2:3]
	v_mov_b32_e32 v9, s16
	v_add_co_u32_e32 v8, vcc, s15, v2
	v_or_b32_e32 v2, 32, v1
	v_addc_co_u32_e32 v9, vcc, v9, v3, vcc
	v_add_u32_e32 v3, v2, v4
	v_ashrrev_i32_e32 v3, 4, v3
	v_cmp_gt_i32_e32 vcc, s33, v2
	v_cndmask_b32_e32 v2, v5, v3, vcc
	v_ashrrev_i32_e32 v3, 31, v2
	v_lshlrev_b64 v[2:3], 2, v[2:3]
	v_mov_b32_e32 v11, s16
	v_add_co_u32_e32 v10, vcc, s15, v2
	v_or_b32_e32 v1, 48, v1
	v_addc_co_u32_e32 v11, vcc, v11, v3, vcc
	v_add_u32_e32 v2, v1, v4
	v_ashrrev_i32_e32 v2, 4, v2
	v_cmp_gt_i32_e32 vcc, s33, v1
	v_cndmask_b32_e32 v2, v5, v2, vcc
	v_ashrrev_i32_e32 v3, 31, v2
	v_lshlrev_b64 v[2:3], 2, v[2:3]
	v_mov_b32_e32 v1, s16
	v_add_co_u32_e32 v12, vcc, s15, v2
	v_addc_co_u32_e32 v13, vcc, v1, v3, vcc
	global_load_dword v5, v[6:7], off
	global_load_dword v4, v[8:9], off
	;; [unrolled: 1-line block ×4, first 2 shown]
	s_load_dwordx2 s[12:13], s[4:5], 0x8
	s_andn2_b64 vcc, exec, s[2:3]
	s_cbranch_vccnz .LBB198_8
; %bb.6:
	s_add_u32 s0, s0, s10
	s_addc_u32 s1, s1, s11
	s_load_dword s9, s[0:1], 0x0
	s_branch .LBB198_9
.LBB198_7:
	s_mov_b64 s[12:13], 0
	s_branch .LBB198_2
.LBB198_8:
	s_mov_b32 s9, s6
.LBB198_9:
	s_load_dwordx2 s[2:3], s[4:5], 0x10
	s_load_dwordx4 s[44:47], s[4:5], 0x48
	v_lshrrev_b32_e32 v53, 6, v0
	v_bfe_u32 v1, v0, 4, 2
	v_lshl_or_b32 v6, v53, 2, v1
	v_and_b32_e32 v52, 15, v0
	v_lshlrev_b32_e32 v7, 3, v52
	v_cmp_gt_u32_e32 vcc, 7, v6
	v_cmp_gt_u32_e64 s[0:1], 8, v52
	s_mul_i32 s29, s8, 7
	s_and_b64 s[18:19], s[0:1], vcc
	v_lshlrev_b32_e32 v50, 1, v7
	s_and_saveexec_b64 s[10:11], s[18:19]
	s_cbranch_execz .LBB198_11
; %bb.10:
	s_load_dwordx2 s[18:19], s[4:5], 0x0
	s_waitcnt lgkmcnt(0)
	s_ashr_i32 s20, s44, 31
	s_mul_hi_u32 s21, s9, s44
	s_mul_i32 s20, s9, s20
	s_add_i32 s21, s21, s20
	s_mul_i32 s20, s9, s44
	s_lshl_b64 s[20:21], s[20:21], 1
	v_add_lshl_u32 v8, v6, s29, 6
	s_add_u32 s9, s18, s20
	v_ashrrev_i32_e32 v9, 31, v8
	s_addc_u32 s18, s19, s21
	v_lshlrev_b64 v[8:9], 1, v[8:9]
	v_mov_b32_e32 v7, s18
	v_add_co_u32_e32 v8, vcc, s9, v8
	v_addc_co_u32_e32 v7, vcc, v7, v9, vcc
	v_add_co_u32_e32 v8, vcc, v8, v50
	v_addc_co_u32_e32 v9, vcc, 0, v7, vcc
	global_load_dwordx4 v[8:11], v[8:9], off
	v_and_b32_e32 v7, 3, v0
	v_lshlrev_b32_e32 v12, 9, v52
	v_lshlrev_b32_e32 v6, 5, v6
	;; [unrolled: 1-line block ×3, first 2 shown]
	v_and_b32_e32 v12, 0x1800, v12
	v_or3_b32 v6, v12, v7, v6
	s_waitcnt vmcnt(0)
	ds_write_b128 v6, v[8:11]
.LBB198_11:
	s_or_b64 exec, exec, s[10:11]
	s_waitcnt lgkmcnt(0)
	s_mul_i32 s8, s8, s46
	s_mov_b32 s9, 0
	s_lshl_b64 s[8:9], s[8:9], 1
	s_add_u32 s10, s12, s8
	v_lshlrev_b32_e32 v51, 4, v0
	s_addc_u32 s11, s13, s9
	v_and_b32_e32 v6, 0xf0, v51
	v_mov_b32_e32 v7, s11
	v_add_co_u32_e32 v18, vcc, s10, v6
	v_addc_co_u32_e32 v19, vcc, 0, v7, vcc
	s_waitcnt vmcnt(3)
	v_mad_i64_i32 v[6:7], s[10:11], v5, s45, 0
	v_lshlrev_b64 v[6:7], 1, v[6:7]
	v_add_co_u32_e32 v5, vcc, v18, v6
	v_addc_co_u32_e32 v7, vcc, v19, v7, vcc
	v_and_b32_e32 v20, 0x300, v51
	v_add_co_u32_e32 v6, vcc, v5, v20
	s_waitcnt vmcnt(2)
	v_mad_i64_i32 v[4:5], s[10:11], v4, s45, 0
	v_addc_co_u32_e32 v7, vcc, 0, v7, vcc
	v_lshlrev_b64 v[4:5], 1, v[4:5]
	v_add_co_u32_e32 v4, vcc, v18, v4
	v_addc_co_u32_e32 v5, vcc, v19, v5, vcc
	v_add_co_u32_e32 v4, vcc, v4, v20
	v_addc_co_u32_e32 v5, vcc, 0, v5, vcc
	s_barrier
	global_load_dwordx4 v[38:41], v[6:7], off
	global_load_dwordx4 v[34:37], v[6:7], off offset:1024
	global_load_dwordx4 v[30:33], v[4:5], off
	global_load_dwordx4 v[14:17], v[4:5], off offset:1024
	s_waitcnt vmcnt(5)
	v_mad_i64_i32 v[4:5], s[10:11], v3, s45, 0
	v_lshlrev_b64 v[4:5], 1, v[4:5]
	v_add_co_u32_e32 v3, vcc, v18, v4
	v_addc_co_u32_e32 v5, vcc, v19, v5, vcc
	v_add_co_u32_e32 v4, vcc, v3, v20
	s_waitcnt vmcnt(4)
	v_mad_i64_i32 v[2:3], s[10:11], v2, s45, 0
	v_addc_co_u32_e32 v5, vcc, 0, v5, vcc
	v_lshlrev_b64 v[2:3], 1, v[2:3]
	v_add_co_u32_e32 v2, vcc, v18, v2
	v_addc_co_u32_e32 v3, vcc, v19, v3, vcc
	v_add_co_u32_e32 v22, vcc, v2, v20
	v_addc_co_u32_e32 v23, vcc, 0, v3, vcc
	global_load_dwordx4 v[10:13], v[4:5], off
	global_load_dwordx4 v[6:9], v[4:5], off offset:1024
	s_nop 0
	global_load_dwordx4 v[2:5], v[22:23], off
	global_load_dwordx4 v[18:21], v[22:23], off offset:1024
	v_mul_lo_u16_e32 v22, 37, v52
	v_mov_b32_e32 v23, 7
	v_mul_lo_u16_sdwa v22, v22, v23 dst_sel:DWORD dst_unused:UNUSED_PAD src0_sel:BYTE_1 src1_sel:DWORD
	v_sub_u16_e32 v22, v52, v22
	v_mov_b32_e32 v23, 5
	v_lshlrev_b32_sdwa v22, v23, v22 dst_sel:DWORD dst_unused:UNUSED_PAD src0_sel:DWORD src1_sel:BYTE_0
	v_lshl_add_u32 v22, v1, 9, v22
	ds_read_b128 v[26:29], v22
	ds_read_b128 v[22:25], v22 offset:2048
	v_and_b32_e32 v54, 63, v0
	v_cmp_gt_u32_e32 vcc, 7, v52
	v_mov_b32_e32 v48, 0
	s_and_saveexec_b64 s[10:11], vcc
	s_cbranch_execz .LBB198_13
; %bb.12:
	s_load_dwordx2 s[12:13], s[4:5], 0x40
	v_add_u32_e32 v42, s29, v52
	v_ashrrev_i32_e32 v43, 31, v42
	v_lshlrev_b64 v[42:43], 2, v[42:43]
	s_waitcnt lgkmcnt(0)
	v_mov_b32_e32 v44, s13
	v_add_co_u32_e32 v42, vcc, s12, v42
	v_addc_co_u32_e32 v43, vcc, v44, v43, vcc
	global_load_dword v48, v[42:43], off
.LBB198_13:
	s_or_b64 exec, exec, s[10:11]
	s_waitcnt vmcnt(7) lgkmcnt(1)
	v_mfma_f32_16x16x16bf16_1k v[42:45], v[38:39], v[26:27], 0
	s_add_u32 s2, s2, s8
	v_lshlrev_b32_e32 v55, 5, v52
	s_addc_u32 s3, s3, s9
	s_load_dword s10, s[4:5], 0x1c
	s_mov_b32 s42, 0xff7fffff
	v_mfma_f32_16x16x16bf16_1k v[38:41], v[40:41], v[28:29], v[42:45]
	s_waitcnt vmcnt(6) lgkmcnt(0)
	v_mfma_f32_16x16x16bf16_1k v[38:41], v[34:35], v[22:23], v[38:41]
	s_nop 4
	v_and_or_b32 v44, v0, 48, s14
	v_mov_b32_e32 v45, s17
	v_cmp_gt_i32_e32 vcc, s33, v44
	v_mfma_f32_16x16x16bf16_1k v[34:37], v[36:37], v[24:25], v[38:41]
	s_nop 6
	v_ashrrev_i32_e32 v38, 4, v44
	v_cndmask_b32_e32 v42, v45, v38, vcc
	v_ashrrev_i32_e32 v43, 31, v42
	s_waitcnt vmcnt(5)
	v_mfma_f32_16x16x16bf16_1k v[38:41], v[30:31], v[26:27], 0
	v_lshlrev_b64 v[30:31], 2, v[42:43]
	v_mov_b32_e32 v42, s16
	v_add_co_u32_e32 v30, vcc, s15, v30
	v_addc_co_u32_e32 v31, vcc, v42, v31, vcc
	global_load_dword v42, v[30:31], off
	v_mfma_f32_16x16x16bf16_1k v[30:33], v[32:33], v[28:29], v[38:41]
	v_pk_mul_f32 v[46:47], s[10:11], v[36:37] op_sel_hi:[0,1]
	s_nop 5
	v_or_b32_e32 v38, 64, v44
	v_ashrrev_i32_e32 v39, 4, v38
	v_cmp_gt_i32_e32 vcc, s33, v38
	v_cndmask_b32_e32 v38, v45, v39, vcc
	v_ashrrev_i32_e32 v39, 31, v38
	v_lshlrev_b64 v[38:39], 2, v[38:39]
	s_waitcnt vmcnt(5)
	v_mfma_f32_16x16x16bf16_1k v[30:33], v[14:15], v[22:23], v[30:33]
	v_mov_b32_e32 v40, s16
	v_add_co_u32_e32 v14, vcc, s15, v38
	v_addc_co_u32_e32 v15, vcc, v40, v39, vcc
	global_load_dword v40, v[14:15], off
	v_or_b32_e32 v14, 0x80, v44
	v_ashrrev_i32_e32 v15, 4, v14
	v_cmp_gt_i32_e32 vcc, s33, v14
	v_cndmask_b32_e32 v14, v45, v15, vcc
	v_ashrrev_i32_e32 v15, 31, v14
	v_lshlrev_b64 v[14:15], 2, v[14:15]
	v_mfma_f32_16x16x16bf16_1k v[30:33], v[16:17], v[24:25], v[30:33]
	v_mov_b32_e32 v16, s16
	v_add_co_u32_e32 v38, vcc, s15, v14
	v_addc_co_u32_e32 v39, vcc, v16, v15, vcc
	global_load_dword v38, v[38:39], off
	s_waitcnt vmcnt(6)
	v_mfma_f32_16x16x16bf16_1k v[14:17], v[10:11], v[26:27], 0
	v_mfma_f32_16x16x16bf16_1k v[10:13], v[12:13], v[28:29], v[14:17]
	s_nop 7
	s_nop 1
	v_or_b32_e32 v14, 0xc0, v44
	v_ashrrev_i32_e32 v15, 4, v14
	v_cmp_gt_i32_e32 vcc, s33, v14
	v_cndmask_b32_e32 v14, v45, v15, vcc
	s_waitcnt vmcnt(5)
	v_mfma_f32_16x16x16bf16_1k v[10:13], v[6:7], v[22:23], v[10:13]
	v_ashrrev_i32_e32 v15, 31, v14
	v_lshlrev_b64 v[14:15], 2, v[14:15]
	v_mov_b32_e32 v16, s16
	v_add_co_u32_e32 v6, vcc, s15, v14
	v_addc_co_u32_e32 v7, vcc, v16, v15, vcc
	global_load_dword v49, v[6:7], off
	v_lshl_or_b32 v6, v53, 9, v55
	v_mov_b32_e32 v7, s3
	v_add_co_u32_e32 v60, vcc, s2, v6
	v_addc_co_u32_e32 v61, vcc, 0, v7, vcc
	v_mfma_f32_16x16x16bf16_1k v[56:59], v[8:9], v[24:25], v[10:13]
	v_pk_mul_f32 v[44:45], s[10:11], v[30:31] op_sel_hi:[0,1]
	s_waitcnt vmcnt(3)
	v_mad_i64_i32 v[6:7], s[2:3], v42, s45, 0
	s_nop 3
	v_lshlrev_b64 v[10:11], 1, v[6:7]
	v_mfma_f32_16x16x16bf16_1k v[6:9], v[2:3], v[26:27], 0
	v_add_co_u32_e32 v2, vcc, v60, v10
	v_addc_co_u32_e32 v3, vcc, v61, v11, vcc
	global_load_dwordx4 v[14:17], v[2:3], off
	global_load_dwordx4 v[10:13], v[2:3], off offset:16
	v_pk_mul_f32 v[42:43], s[10:11], v[32:33] op_sel_hi:[0,1]
	s_waitcnt vmcnt(4)
	v_mad_i64_i32 v[2:3], s[2:3], v40, s45, 0
	v_mfma_f32_16x16x16bf16_1k v[26:29], v[4:5], v[28:29], v[6:9]
	v_lshlrev_b64 v[2:3], 1, v[2:3]
	v_add_co_u32_e32 v2, vcc, v60, v2
	v_addc_co_u32_e32 v3, vcc, v61, v3, vcc
	v_pk_mul_f32 v[40:41], s[10:11], v[56:57] op_sel_hi:[0,1]
	s_nop 2
	global_load_dwordx4 v[6:9], v[2:3], off
	s_nop 0
	global_load_dwordx4 v[2:5], v[2:3], off offset:16
	v_mfma_f32_16x16x16bf16_1k v[26:29], v[18:19], v[22:23], v[26:29]
	v_pk_mul_f32 v[18:19], s[10:11], v[34:35] op_sel_hi:[0,1]
	s_waitcnt vmcnt(5)
	v_mad_i64_i32 v[38:39], s[2:3], v38, s45, 0
	v_lshlrev_b64 v[38:39], 1, v[38:39]
	v_add_co_u32_e32 v22, vcc, v60, v38
	v_mfma_f32_16x16x16bf16_1k v[24:27], v[20:21], v[24:25], v[26:29]
	v_and_b32_e32 v20, 0xc0, v0
	v_add_u32_e32 v20, s14, v20
	v_lshl_or_b32 v20, v1, 2, v20
	v_or_b32_e32 v21, 1, v20
	v_addc_co_u32_e32 v23, vcc, v61, v39, vcc
	v_pk_mul_f32 v[38:39], s[10:11], v[58:59] op_sel_hi:[0,1]
	s_nop 4
	v_pk_mul_f32 v[36:37], s[10:11], v[24:25] op_sel_hi:[0,1]
	v_subrev_u32_e32 v24, s33, v21
	v_pk_mul_f32 v[34:35], s[10:11], v[26:27] op_sel_hi:[0,1]
	v_add_u32_e32 v26, 1, v24
	v_add_u32_e32 v27, 2, v24
	v_cvt_f32_i32_e32 v25, v24
	v_cvt_f32_i32_e32 v26, v26
	;; [unrolled: 1-line block ×3, first 2 shown]
	v_add_u32_e32 v28, 3, v24
	v_fma_f32 v18, v48, v25, v18
	v_fmac_f32_e32 v19, v48, v26
	v_fma_f32 v46, v48, v27, v46
	v_add_u32_e32 v25, 16, v24
	v_add_u32_e32 v26, 17, v24
	;; [unrolled: 1-line block ×3, first 2 shown]
	v_cvt_f32_i32_e32 v28, v28
	v_cvt_f32_i32_e32 v25, v25
	;; [unrolled: 1-line block ×4, first 2 shown]
	v_fmac_f32_e32 v47, v48, v28
	v_add_u32_e32 v28, 19, v24
	v_fma_f32 v44, v48, v25, v44
	v_fmac_f32_e32 v45, v48, v26
	v_fma_f32 v42, v48, v27, v42
	v_add_u32_e32 v25, 32, v24
	v_add_u32_e32 v26, 33, v24
	;; [unrolled: 1-line block ×3, first 2 shown]
	v_cvt_f32_i32_e32 v28, v28
	v_cvt_f32_i32_e32 v25, v25
	;; [unrolled: 1-line block ×4, first 2 shown]
	v_fmac_f32_e32 v43, v48, v28
	v_add_u32_e32 v28, 35, v24
	v_fma_f32 v40, v48, v25, v40
	v_fmac_f32_e32 v41, v48, v26
	v_fma_f32 v38, v48, v27, v38
	v_add_u32_e32 v25, 48, v24
	v_add_u32_e32 v26, 49, v24
	;; [unrolled: 1-line block ×4, first 2 shown]
	v_cvt_f32_i32_e32 v24, v24
	v_cvt_f32_i32_e32 v25, v25
	;; [unrolled: 1-line block ×3, first 2 shown]
	v_cmp_gt_i32_e64 s[30:31], s33, v20
	v_fmac_f32_e32 v35, v48, v24
	v_mov_b32_e32 v24, 0xff7fffff
	v_cmp_gt_i32_e64 s[34:35], s33, v21
	v_fma_f32 v36, v48, v25, v36
	v_cndmask_b32_e64 v25, v24, v18, s[30:31]
	v_cndmask_b32_e64 v21, v24, v19, s[34:35]
	v_fmac_f32_e32 v37, v48, v26
	v_max3_f32 v21, v25, s42, v21
	v_or_b32_e32 v25, 2, v20
	v_or_b32_e32 v26, 3, v20
	v_cmp_gt_i32_e64 s[36:37], s33, v25
	v_cmp_gt_i32_e64 s[38:39], s33, v26
	v_cndmask_b32_e64 v25, v24, v46, s[36:37]
	v_cndmask_b32_e64 v26, v24, v47, s[38:39]
	v_max3_f32 v21, v21, v25, v26
	v_or_b32_e32 v25, 16, v20
	v_or_b32_e32 v26, 17, v20
	v_cmp_gt_i32_e64 s[24:25], s33, v25
	v_cmp_gt_i32_e64 s[26:27], s33, v26
	v_cndmask_b32_e64 v25, v24, v44, s[24:25]
	v_cndmask_b32_e64 v26, v24, v45, s[26:27]
	;; [unrolled: 7-line block ×3, first 2 shown]
	v_cvt_f32_i32_e32 v28, v28
	v_max3_f32 v21, v21, v25, v26
	v_or_b32_e32 v25, 32, v20
	v_or_b32_e32 v26, 33, v20
	v_cmp_gt_i32_e64 s[16:17], s33, v25
	v_cmp_gt_i32_e64 s[18:19], s33, v26
	v_cndmask_b32_e64 v25, v24, v40, s[16:17]
	v_cndmask_b32_e64 v26, v24, v41, s[18:19]
	v_max3_f32 v21, v21, v25, v26
	v_or_b32_e32 v25, 34, v20
	v_or_b32_e32 v26, 35, v20
	v_fmac_f32_e32 v39, v48, v28
	v_cmp_gt_i32_e64 s[12:13], s33, v25
	v_cmp_gt_i32_e64 s[14:15], s33, v26
	v_cndmask_b32_e64 v25, v24, v38, s[12:13]
	v_cndmask_b32_e64 v26, v24, v39, s[14:15]
	v_cvt_f32_i32_e32 v27, v27
	v_max3_f32 v21, v21, v25, v26
	v_or_b32_e32 v25, 48, v20
	v_or_b32_e32 v26, 49, v20
	v_cmp_gt_i32_e64 s[8:9], s33, v25
	v_cmp_gt_i32_e64 s[10:11], s33, v26
	v_cndmask_b32_e64 v25, v24, v36, s[8:9]
	v_cndmask_b32_e64 v26, v24, v37, s[10:11]
	v_max3_f32 v21, v21, v25, v26
	v_or_b32_e32 v25, 50, v20
	v_or_b32_e32 v20, 51, v20
	v_fma_f32 v34, v48, v27, v34
	v_cmp_gt_i32_e32 vcc, s33, v25
	v_cmp_gt_i32_e64 s[2:3], s33, v20
	v_cndmask_b32_e32 v25, v24, v34, vcc
	v_cndmask_b32_e64 v20, v24, v35, s[2:3]
	v_max3_f32 v26, v21, v25, v20
	v_mbcnt_lo_u32_b32 v20, -1, 0
	v_mbcnt_hi_u32_b32 v27, -1, v20
	v_and_b32_e32 v20, 64, v27
	v_add_u32_e32 v28, 64, v20
	v_xor_b32_e32 v20, 32, v27
	v_cmp_lt_i32_e64 s[40:41], v20, v28
	v_cndmask_b32_e64 v20, v27, v20, s[40:41]
	v_lshlrev_b32_e32 v57, 2, v20
	ds_bpermute_b32 v29, v57, v26
	s_waitcnt vmcnt(4)
	v_mad_i64_i32 v[20:21], s[40:41], v49, s45, 0
	v_lshlrev_b64 v[20:21], 1, v[20:21]
	global_load_dwordx4 v[30:33], v[22:23], off
	s_nop 0
	global_load_dwordx4 v[22:25], v[22:23], off offset:16
	s_waitcnt lgkmcnt(0)
	v_max_f32_e32 v29, v29, v29
	v_max_f32_e32 v26, v26, v29
	v_xor_b32_e32 v29, 16, v27
	v_cmp_lt_i32_e64 s[40:41], v29, v28
	v_cndmask_b32_e64 v27, v27, v29, s[40:41]
	v_lshlrev_b32_e32 v59, 2, v27
	ds_bpermute_b32 v27, v59, v26
	v_add_co_u32_e64 v20, s[40:41], v60, v20
	v_addc_co_u32_e64 v21, s[40:41], v61, v21, s[40:41]
	s_waitcnt lgkmcnt(0)
	v_max_f32_e32 v27, v27, v27
	v_max_f32_e32 v56, v26, v27
	v_sub_f32_e32 v18, v18, v56
	v_mul_f32_e32 v18, 0x3fb8aa3b, v18
	v_exp_f32_e32 v48, v18
	v_sub_f32_e32 v18, v19, v56
	v_mul_f32_e32 v18, 0x3fb8aa3b, v18
	v_exp_f32_e32 v49, v18
	global_load_dwordx4 v[26:29], v[20:21], off
	s_nop 0
	global_load_dwordx4 v[18:21], v[20:21], off offset:16
	v_sub_f32_e32 v46, v46, v56
	v_mul_f32_e32 v46, 0x3fb8aa3b, v46
	v_sub_f32_e32 v47, v47, v56
	v_exp_f32_e32 v46, v46
	v_mul_f32_e32 v47, 0x3fb8aa3b, v47
	v_sub_f32_e32 v44, v44, v56
	v_exp_f32_e32 v47, v47
	v_mul_f32_e32 v44, 0x3fb8aa3b, v44
	v_sub_f32_e32 v45, v45, v56
	v_cndmask_b32_e64 v48, 0, v48, s[30:31]
	v_exp_f32_e32 v44, v44
	v_mul_f32_e32 v45, 0x3fb8aa3b, v45
	v_sub_f32_e32 v42, v42, v56
	v_add_f32_e32 v58, 0, v48
	v_cndmask_b32_e64 v49, 0, v49, s[34:35]
	v_exp_f32_e32 v45, v45
	v_mul_f32_e32 v42, 0x3fb8aa3b, v42
	v_sub_f32_e32 v43, v43, v56
	v_add_f32_e32 v58, v58, v49
	;; [unrolled: 5-line block ×10, first 2 shown]
	v_cndmask_b32_e64 v38, 0, v38, s[12:13]
	v_exp_f32_e32 v34, v34
	v_mul_f32_e32 v35, 0x3fb8aa3b, v35
	v_add_f32_e32 v58, v58, v38
	v_cndmask_b32_e64 v39, 0, v39, s[14:15]
	v_exp_f32_e32 v35, v35
	v_add_f32_e32 v58, v58, v39
	v_cndmask_b32_e64 v36, 0, v36, s[8:9]
	v_add_f32_e32 v58, v58, v36
	v_cndmask_b32_e64 v37, 0, v37, s[10:11]
	v_add_f32_e32 v58, v58, v37
	v_cndmask_b32_e32 v34, 0, v34, vcc
	v_add_f32_e32 v58, v58, v34
	v_cndmask_b32_e64 v35, 0, v35, s[2:3]
	v_add_f32_e32 v58, v58, v35
	ds_bpermute_b32 v57, v57, v58
	s_load_dword s9, s[4:5], 0x98
	v_cmp_gt_u32_e32 vcc, 16, v54
	s_waitcnt lgkmcnt(0)
	s_barrier
	v_add_f32_e32 v58, v58, v57
	ds_bpermute_b32 v59, v59, v58
	v_lshlrev_b32_e32 v57, 2, v52
	s_waitcnt lgkmcnt(0)
	s_and_saveexec_b64 s[2:3], vcc
	s_cbranch_execz .LBB198_15
; %bb.14:
	v_add_f32_e32 v54, v58, v59
	v_lshl_or_b32 v58, v53, 6, v57
	ds_write2st64_b32 v58, v56, v54 offset1:1
.LBB198_15:
	s_or_b64 exec, exec, s[2:3]
	s_load_dword s8, s[4:5], 0x94
	s_waitcnt lgkmcnt(0)
	s_barrier
	ds_read2_b32 v[58:59], v57 offset1:16
	ds_read2_b32 v[60:61], v57 offset0:32 offset1:48
	ds_read2_b32 v[62:63], v57 offset0:64 offset1:80
	s_movk_i32 s10, 0x7fff
	s_mov_b32 s11, 0x7060302
	s_waitcnt lgkmcnt(2)
	v_max3_f32 v54, v58, s42, v59
	s_waitcnt lgkmcnt(1)
	v_max3_f32 v54, v54, v60, v61
	v_sub_f32_e32 v56, v58, v54
	v_mul_f32_e32 v56, 0x3fb8aa3b, v56
	v_exp_f32_e32 v64, v56
	v_sub_f32_e32 v56, v59, v54
	v_mul_f32_e32 v56, 0x3fb8aa3b, v56
	v_exp_f32_e32 v65, v56
	;; [unrolled: 3-line block ×3, first 2 shown]
	ds_read2_b32 v[58:59], v57 offset0:96 offset1:112
	v_sub_f32_e32 v56, v61, v54
	v_mul_f32_e32 v56, 0x3fb8aa3b, v56
	v_exp_f32_e32 v57, v56
	s_waitcnt lgkmcnt(1)
	v_fma_f32 v56, v64, v62, 0
	v_fmac_f32_e32 v56, v65, v63
	s_waitcnt lgkmcnt(0)
	v_fmac_f32_e32 v56, v60, v58
	v_fmac_f32_e32 v56, v57, v59
	v_add_f32_e32 v58, 0x358637bd, v56
	v_div_scale_f32 v59, s[2:3], v58, v58, 1.0
	v_rcp_f32_e32 v61, v59
	s_mul_i32 s9, s9, 7
	s_barrier
	v_fma_f32 v62, -v59, v61, 1.0
	v_fmac_f32_e32 v61, v62, v61
	v_div_scale_f32 v62, vcc, 1.0, v58, 1.0
	v_mul_f32_e32 v63, v62, v61
	v_fma_f32 v66, -v59, v63, v62
	v_fmac_f32_e32 v63, v66, v61
	v_fma_f32 v59, -v59, v63, v62
	v_div_fmas_f32 v59, v59, v61, v63
	v_cmp_eq_u32_e32 vcc, 1, v53
	v_div_fixup_f32 v58, v59, v58, 1.0
	v_cndmask_b32_e32 v59, v64, v65, vcc
	v_cmp_eq_u32_e32 vcc, 2, v53
	v_cndmask_b32_e32 v59, v59, v60, vcc
	v_cmp_eq_u32_e32 vcc, 3, v53
	v_cndmask_b32_e32 v57, v59, v57, vcc
	v_mul_f32_e32 v58, v57, v58
	v_pk_mul_f32 v[48:49], v[58:59], v[48:49] op_sel_hi:[0,1]
	v_pk_mul_f32 v[46:47], v[58:59], v[46:47] op_sel_hi:[0,1]
	v_bfe_u32 v57, v49, 16, 1
	v_bfe_u32 v59, v48, 16, 1
	v_add3_u32 v48, v48, v59, s10
	v_add3_u32 v49, v49, v57, s10
	v_perm_b32 v48, v49, v48, s11
	v_bfe_u32 v49, v47, 16, 1
	v_bfe_u32 v57, v46, 16, 1
	v_add3_u32 v46, v46, v57, s10
	v_add3_u32 v47, v47, v49, s10
	v_perm_b32 v49, v47, v46, s11
	v_lshlrev_b32_e32 v46, 3, v1
	v_lshlrev_b32_e32 v47, 11, v53
	v_pk_mul_f32 v[44:45], v[58:59], v[44:45] op_sel_hi:[0,1]
	v_or3_b32 v46, v47, v55, v46
	v_bfe_u32 v47, v45, 16, 1
	v_bfe_u32 v53, v44, 16, 1
	v_pk_mul_f32 v[42:43], v[58:59], v[42:43] op_sel_hi:[0,1]
	v_add3_u32 v44, v44, v53, s10
	v_add3_u32 v45, v45, v47, s10
	v_perm_b32 v44, v45, v44, s11
	v_bfe_u32 v45, v43, 16, 1
	v_bfe_u32 v47, v42, 16, 1
	v_add3_u32 v42, v42, v47, s10
	v_add3_u32 v43, v43, v45, s10
	v_pk_mul_f32 v[40:41], v[58:59], v[40:41] op_sel_hi:[0,1]
	v_perm_b32 v45, v43, v42, s11
	v_bfe_u32 v42, v41, 16, 1
	v_bfe_u32 v43, v40, 16, 1
	v_pk_mul_f32 v[38:39], v[58:59], v[38:39] op_sel_hi:[0,1]
	v_add3_u32 v40, v40, v43, s10
	v_add3_u32 v41, v41, v42, s10
	v_perm_b32 v40, v41, v40, s11
	v_bfe_u32 v41, v39, 16, 1
	v_bfe_u32 v42, v38, 16, 1
	v_add3_u32 v38, v38, v42, s10
	v_add3_u32 v39, v39, v41, s10
	v_pk_mul_f32 v[36:37], v[58:59], v[36:37] op_sel_hi:[0,1]
	v_perm_b32 v41, v39, v38, s11
	v_bfe_u32 v38, v37, 16, 1
	v_bfe_u32 v39, v36, 16, 1
	v_pk_mul_f32 v[34:35], v[58:59], v[34:35] op_sel_hi:[0,1]
	v_add3_u32 v36, v36, v39, s10
	v_add3_u32 v37, v37, v38, s10
	v_perm_b32 v36, v37, v36, s11
	v_bfe_u32 v37, v35, 16, 1
	v_bfe_u32 v38, v34, 16, 1
	v_add3_u32 v34, v34, v38, s10
	v_add3_u32 v35, v35, v37, s10
	v_perm_b32 v37, v35, v34, s11
	v_cmp_gt_u32_e32 vcc, 7, v0
	ds_write2st64_b64 v46, v[48:49], v[44:45] offset1:1
	ds_write2st64_b64 v46, v[40:41], v[36:37] offset0:2 offset1:3
	s_and_saveexec_b64 s[2:3], vcc
	s_cbranch_execz .LBB198_17
; %bb.16:
	v_add_co_u32_e32 v36, vcc, s29, v52
	v_addc_co_u32_e64 v37, s[16:17], 0, 0, vcc
	v_mov_b32_e32 v34, s9
	v_mov_b32_e32 v35, 0
	v_mad_u64_u32 v[36:37], s[16:17], s6, v34, v[36:37]
	v_mov_b32_e32 v34, s28
	s_load_dwordx4 s[12:15], s[4:5], 0x58
	s_mul_i32 s7, s7, s9
	v_mad_u64_u32 v[34:35], s[16:17], v36, s8, v[34:35]
	v_add_u32_e32 v37, s7, v37
	v_mov_b32_e32 v36, v35
	v_mad_u64_u32 v[36:37], s[16:17], v37, s8, v[36:37]
	v_mov_b32_e32 v35, v36
	v_lshlrev_b64 v[34:35], 2, v[34:35]
	s_waitcnt lgkmcnt(0)
	v_mov_b32_e32 v37, s15
	v_add_co_u32_e32 v36, vcc, s14, v34
	v_addc_co_u32_e32 v37, vcc, v37, v35, vcc
	global_store_dword v[36:37], v54, off
	v_mov_b32_e32 v36, s13
	v_add_co_u32_e32 v34, vcc, s12, v34
	v_addc_co_u32_e32 v35, vcc, v36, v35, vcc
	global_store_dword v[34:35], v56, off
.LBB198_17:
	s_or_b64 exec, exec, s[2:3]
	v_lshl_or_b32 v47, v1, 9, v55
	s_waitcnt lgkmcnt(0)
	s_barrier
	ds_read_b128 v[34:37], v47
	ds_read_b128 v[38:41], v47 offset:16
	s_waitcnt vmcnt(7) lgkmcnt(1)
	v_mfma_f32_16x16x16bf16_1k v[42:45], v[14:15], v[34:35], 0
	v_cmp_gt_u32_e32 vcc, 64, v0
	s_mov_b32 s3, 0
	s_and_b64 s[0:1], vcc, s[0:1]
	v_mfma_f32_16x16x16bf16_1k v[14:17], v[16:17], v[36:37], v[42:45]
	s_waitcnt vmcnt(6) lgkmcnt(0)
	v_mfma_f32_16x16x16bf16_1k v[14:17], v[10:11], v[38:39], v[14:17]
	v_mfma_f32_16x16x16bf16_1k v[10:13], v[12:13], v[40:41], v[14:17]
	s_nop 7
	s_nop 1
	ds_read_b128 v[14:17], v47 offset:2048
	ds_read_b128 v[34:37], v47 offset:2064
	s_waitcnt vmcnt(5) lgkmcnt(1)
	v_mfma_f32_16x16x16bf16_1k v[10:13], v[6:7], v[14:15], v[10:13]
	v_mfma_f32_16x16x16bf16_1k v[6:9], v[8:9], v[16:17], v[10:13]
	s_waitcnt vmcnt(4) lgkmcnt(0)
	v_mfma_f32_16x16x16bf16_1k v[6:9], v[2:3], v[34:35], v[6:9]
	v_mfma_f32_16x16x16bf16_1k v[2:5], v[4:5], v[36:37], v[6:9]
	s_nop 7
	s_nop 1
	ds_read_b128 v[6:9], v47 offset:4096
	ds_read_b128 v[10:13], v47 offset:4112
	s_waitcnt vmcnt(3) lgkmcnt(1)
	v_mfma_f32_16x16x16bf16_1k v[2:5], v[30:31], v[6:7], v[2:5]
	v_mfma_f32_16x16x16bf16_1k v[2:5], v[32:33], v[8:9], v[2:5]
	s_waitcnt vmcnt(2) lgkmcnt(0)
	v_mfma_f32_16x16x16bf16_1k v[2:5], v[22:23], v[10:11], v[2:5]
	v_mfma_f32_16x16x16bf16_1k v[2:5], v[24:25], v[12:13], v[2:5]
	ds_read_b128 v[6:9], v47 offset:6144
	ds_read_b128 v[10:13], v47 offset:6160
	s_waitcnt lgkmcnt(0)
	s_barrier
	s_waitcnt vmcnt(1)
	v_mfma_f32_16x16x16bf16_1k v[2:5], v[26:27], v[6:7], v[2:5]
	v_mfma_f32_16x16x16bf16_1k v[2:5], v[28:29], v[8:9], v[2:5]
	s_waitcnt vmcnt(0)
	v_mfma_f32_16x16x16bf16_1k v[2:5], v[18:19], v[10:11], v[2:5]
	v_mfma_f32_16x16x16bf16_1k v[2:5], v[20:21], v[12:13], v[2:5]
	s_nop 7
	s_nop 2
	v_bfe_u32 v6, v3, 16, 1
	v_bfe_u32 v7, v2, 16, 1
	;; [unrolled: 1-line block ×4, first 2 shown]
	v_add3_u32 v2, v2, v7, s10
	v_add3_u32 v3, v3, v6, s10
	;; [unrolled: 1-line block ×4, first 2 shown]
	v_perm_b32 v2, v3, v2, s11
	v_perm_b32 v3, v5, v4, s11
	ds_write_b64 v46, v[2:3]
	s_waitcnt lgkmcnt(0)
	s_barrier
	s_and_saveexec_b64 s[10:11], s[0:1]
	s_cbranch_execz .LBB198_20
; %bb.18:
	s_load_dwordx2 s[4:5], s[4:5], 0x68
	s_lshl_b32 s0, s8, 6
	s_mul_i32 s1, s9, s6
	s_mul_hi_u32 s7, s1, s0
	s_mul_i32 s6, s1, s0
	s_lshl_b64 s[6:7], s[6:7], 1
	s_waitcnt lgkmcnt(0)
	s_add_u32 s1, s4, s6
	s_addc_u32 s4, s5, s7
	s_lshl_b32 s2, s28, 6
	v_lshlrev_b32_e32 v0, 10, v0
	s_lshl_b64 s[2:3], s[2:3], 1
	v_and_b32_e32 v0, 0x1800, v0
	v_lshlrev_b32_e32 v2, 5, v1
	v_and_b32_e32 v3, 16, v51
	s_add_u32 s1, s1, s2
	v_or3_b32 v0, v0, v2, v3
	s_addc_u32 s2, s4, s3
	v_add_u32_e32 v8, s29, v1
	v_mov_b32_e32 v3, s2
	v_add_co_u32_e32 v2, vcc, s1, v50
	ds_read_b128 v[4:7], v0
	v_mad_u64_u32 v[8:9], s[2:3], v8, s0, 0
	v_addc_co_u32_e32 v3, vcc, 0, v3, vcc
	v_lshlrev_b64 v[8:9], 1, v[8:9]
	v_add_co_u32_e32 v8, vcc, v2, v8
	v_addc_co_u32_e32 v9, vcc, v3, v9, vcc
	v_cmp_ne_u32_e32 vcc, 3, v1
	s_waitcnt lgkmcnt(0)
	global_store_dwordx4 v[8:9], v[4:7], off
	s_and_b64 exec, exec, vcc
	s_cbranch_execz .LBB198_20
; %bb.19:
	ds_read_b128 v[4:7], v0 offset:128
	v_add3_u32 v0, s29, v1, 4
	v_mad_u64_u32 v[0:1], s[0:1], v0, s0, 0
	v_lshlrev_b64 v[0:1], 1, v[0:1]
	v_add_co_u32_e32 v0, vcc, v2, v0
	v_addc_co_u32_e32 v1, vcc, v3, v1, vcc
	s_waitcnt lgkmcnt(0)
	global_store_dwordx4 v[0:1], v[4:7], off
.LBB198_20:
	s_endpgm
	.section	.rodata,"a",@progbits
	.p2align	6, 0x0
	.amdhsa_kernel _Z39paged_attention_ll4mi_QKV_mfma16_kernelI14__hip_bfloat16S0_LN4vllm18Fp8KVCacheDataTypeE0ES0_Li16ELi64ELi256ELb1ELi7EL8MFMAType0EEvPKT_PKT0_S9_ifPKiSB_SB_iPKfiiiPfSE_PS4_PT2_iSD_SD_
		.amdhsa_group_segment_fixed_size 8192
		.amdhsa_private_segment_fixed_size 0
		.amdhsa_kernarg_size 400
		.amdhsa_user_sgpr_count 6
		.amdhsa_user_sgpr_private_segment_buffer 1
		.amdhsa_user_sgpr_dispatch_ptr 0
		.amdhsa_user_sgpr_queue_ptr 0
		.amdhsa_user_sgpr_kernarg_segment_ptr 1
		.amdhsa_user_sgpr_dispatch_id 0
		.amdhsa_user_sgpr_flat_scratch_init 0
		.amdhsa_user_sgpr_kernarg_preload_length 0
		.amdhsa_user_sgpr_kernarg_preload_offset 0
		.amdhsa_user_sgpr_private_segment_size 0
		.amdhsa_uses_dynamic_stack 0
		.amdhsa_system_sgpr_private_segment_wavefront_offset 0
		.amdhsa_system_sgpr_workgroup_id_x 1
		.amdhsa_system_sgpr_workgroup_id_y 1
		.amdhsa_system_sgpr_workgroup_id_z 1
		.amdhsa_system_sgpr_workgroup_info 0
		.amdhsa_system_vgpr_workitem_id 0
		.amdhsa_next_free_vgpr 67
		.amdhsa_next_free_sgpr 48
		.amdhsa_accum_offset 68
		.amdhsa_reserve_vcc 1
		.amdhsa_reserve_flat_scratch 0
		.amdhsa_float_round_mode_32 0
		.amdhsa_float_round_mode_16_64 0
		.amdhsa_float_denorm_mode_32 3
		.amdhsa_float_denorm_mode_16_64 3
		.amdhsa_dx10_clamp 1
		.amdhsa_ieee_mode 1
		.amdhsa_fp16_overflow 0
		.amdhsa_tg_split 0
		.amdhsa_exception_fp_ieee_invalid_op 0
		.amdhsa_exception_fp_denorm_src 0
		.amdhsa_exception_fp_ieee_div_zero 0
		.amdhsa_exception_fp_ieee_overflow 0
		.amdhsa_exception_fp_ieee_underflow 0
		.amdhsa_exception_fp_ieee_inexact 0
		.amdhsa_exception_int_div_zero 0
	.end_amdhsa_kernel
	.section	.text._Z39paged_attention_ll4mi_QKV_mfma16_kernelI14__hip_bfloat16S0_LN4vllm18Fp8KVCacheDataTypeE0ES0_Li16ELi64ELi256ELb1ELi7EL8MFMAType0EEvPKT_PKT0_S9_ifPKiSB_SB_iPKfiiiPfSE_PS4_PT2_iSD_SD_,"axG",@progbits,_Z39paged_attention_ll4mi_QKV_mfma16_kernelI14__hip_bfloat16S0_LN4vllm18Fp8KVCacheDataTypeE0ES0_Li16ELi64ELi256ELb1ELi7EL8MFMAType0EEvPKT_PKT0_S9_ifPKiSB_SB_iPKfiiiPfSE_PS4_PT2_iSD_SD_,comdat
.Lfunc_end198:
	.size	_Z39paged_attention_ll4mi_QKV_mfma16_kernelI14__hip_bfloat16S0_LN4vllm18Fp8KVCacheDataTypeE0ES0_Li16ELi64ELi256ELb1ELi7EL8MFMAType0EEvPKT_PKT0_S9_ifPKiSB_SB_iPKfiiiPfSE_PS4_PT2_iSD_SD_, .Lfunc_end198-_Z39paged_attention_ll4mi_QKV_mfma16_kernelI14__hip_bfloat16S0_LN4vllm18Fp8KVCacheDataTypeE0ES0_Li16ELi64ELi256ELb1ELi7EL8MFMAType0EEvPKT_PKT0_S9_ifPKiSB_SB_iPKfiiiPfSE_PS4_PT2_iSD_SD_
                                        ; -- End function
	.section	.AMDGPU.csdata,"",@progbits
; Kernel info:
; codeLenInByte = 4540
; NumSgprs: 52
; NumVgprs: 67
; NumAgprs: 0
; TotalNumVgprs: 67
; ScratchSize: 0
; MemoryBound: 0
; FloatMode: 240
; IeeeMode: 1
; LDSByteSize: 8192 bytes/workgroup (compile time only)
; SGPRBlocks: 6
; VGPRBlocks: 8
; NumSGPRsForWavesPerEU: 52
; NumVGPRsForWavesPerEU: 67
; AccumOffset: 68
; Occupancy: 7
; WaveLimiterHint : 1
; COMPUTE_PGM_RSRC2:SCRATCH_EN: 0
; COMPUTE_PGM_RSRC2:USER_SGPR: 6
; COMPUTE_PGM_RSRC2:TRAP_HANDLER: 0
; COMPUTE_PGM_RSRC2:TGID_X_EN: 1
; COMPUTE_PGM_RSRC2:TGID_Y_EN: 1
; COMPUTE_PGM_RSRC2:TGID_Z_EN: 1
; COMPUTE_PGM_RSRC2:TIDIG_COMP_CNT: 0
; COMPUTE_PGM_RSRC3_GFX90A:ACCUM_OFFSET: 16
; COMPUTE_PGM_RSRC3_GFX90A:TG_SPLIT: 0
	.section	.text._Z39paged_attention_ll4mi_QKV_mfma16_kernelI14__hip_bfloat16S0_LN4vllm18Fp8KVCacheDataTypeE0ES0_Li16ELi64ELi256ELb1ELi8EL8MFMAType0EEvPKT_PKT0_S9_ifPKiSB_SB_iPKfiiiPfSE_PS4_PT2_iSD_SD_,"axG",@progbits,_Z39paged_attention_ll4mi_QKV_mfma16_kernelI14__hip_bfloat16S0_LN4vllm18Fp8KVCacheDataTypeE0ES0_Li16ELi64ELi256ELb1ELi8EL8MFMAType0EEvPKT_PKT0_S9_ifPKiSB_SB_iPKfiiiPfSE_PS4_PT2_iSD_SD_,comdat
	.protected	_Z39paged_attention_ll4mi_QKV_mfma16_kernelI14__hip_bfloat16S0_LN4vllm18Fp8KVCacheDataTypeE0ES0_Li16ELi64ELi256ELb1ELi8EL8MFMAType0EEvPKT_PKT0_S9_ifPKiSB_SB_iPKfiiiPfSE_PS4_PT2_iSD_SD_ ; -- Begin function _Z39paged_attention_ll4mi_QKV_mfma16_kernelI14__hip_bfloat16S0_LN4vllm18Fp8KVCacheDataTypeE0ES0_Li16ELi64ELi256ELb1ELi8EL8MFMAType0EEvPKT_PKT0_S9_ifPKiSB_SB_iPKfiiiPfSE_PS4_PT2_iSD_SD_
	.globl	_Z39paged_attention_ll4mi_QKV_mfma16_kernelI14__hip_bfloat16S0_LN4vllm18Fp8KVCacheDataTypeE0ES0_Li16ELi64ELi256ELb1ELi8EL8MFMAType0EEvPKT_PKT0_S9_ifPKiSB_SB_iPKfiiiPfSE_PS4_PT2_iSD_SD_
	.p2align	8
	.type	_Z39paged_attention_ll4mi_QKV_mfma16_kernelI14__hip_bfloat16S0_LN4vllm18Fp8KVCacheDataTypeE0ES0_Li16ELi64ELi256ELb1ELi8EL8MFMAType0EEvPKT_PKT0_S9_ifPKiSB_SB_iPKfiiiPfSE_PS4_PT2_iSD_SD_,@function
_Z39paged_attention_ll4mi_QKV_mfma16_kernelI14__hip_bfloat16S0_LN4vllm18Fp8KVCacheDataTypeE0ES0_Li16ELi64ELi256ELb1ELi8EL8MFMAType0EEvPKT_PKT0_S9_ifPKiSB_SB_iPKfiiiPfSE_PS4_PT2_iSD_SD_: ; @_Z39paged_attention_ll4mi_QKV_mfma16_kernelI14__hip_bfloat16S0_LN4vllm18Fp8KVCacheDataTypeE0ES0_Li16ELi64ELi256ELb1ELi8EL8MFMAType0EEvPKT_PKT0_S9_ifPKiSB_SB_iPKfiiiPfSE_PS4_PT2_iSD_SD_
; %bb.0:
	s_load_dwordx2 s[0:1], s[4:5], 0x30
	s_mov_b32 s28, s7
	s_mov_b64 s[10:11], 0
	s_waitcnt lgkmcnt(0)
	s_cmp_lg_u64 s[0:1], 0
	s_cselect_b64 s[2:3], -1, 0
	s_and_b64 vcc, exec, s[2:3]
	s_cbranch_vccz .LBB199_7
; %bb.1:
	s_add_i32 s12, s6, 1
	s_mov_b32 s13, 0
	s_lshl_b64 s[14:15], s[12:13], 2
	s_add_u32 s14, s0, s14
	s_mov_b32 s7, s13
	s_addc_u32 s15, s1, s15
	s_lshl_b64 s[12:13], s[6:7], 2
	s_add_u32 s12, s0, s12
	s_addc_u32 s13, s1, s13
	s_load_dword s9, s[14:15], 0x0
	s_load_dword s16, s[12:13], 0x0
	s_waitcnt lgkmcnt(0)
	s_sub_i32 s9, s9, s16
	s_cmp_eq_u32 s9, 1
	s_cselect_b64 s[12:13], -1, 0
	s_andn2_b64 vcc, exec, s[10:11]
	s_cbranch_vccnz .LBB199_3
.LBB199_2:
	s_mov_b32 s7, 0
	s_mov_b64 s[12:13], -1
.LBB199_3:
	s_andn2_b64 vcc, exec, s[12:13]
	s_cbranch_vccnz .LBB199_19
; %bb.4:
	s_load_dwordx2 s[12:13], s[4:5], 0x28
	s_lshl_b64 s[10:11], s[6:7], 2
	s_waitcnt lgkmcnt(0)
	s_add_u32 s12, s12, s10
	s_addc_u32 s13, s13, s11
	s_load_dword s33, s[12:13], 0x0
	s_lshl_b32 s14, s28, 8
	s_waitcnt lgkmcnt(0)
	s_cmp_ge_i32 s14, s33
	s_cbranch_scc1 .LBB199_19
; %bb.5:
	s_add_i32 s15, s33, 15
	s_load_dwordx2 s[12:13], s[4:5], 0x20
	s_load_dword s9, s[4:5], 0x38
	s_ashr_i32 s16, s15, 31
	v_and_b32_e32 v1, 0xcf, v0
	s_lshr_b32 s16, s16, 28
	v_add_u32_e32 v1, s14, v1
	s_add_i32 s15, s15, s16
	v_ashrrev_i32_e32 v2, 31, v1
	s_ashr_i32 s17, s15, 4
	v_lshrrev_b32_e32 v4, 28, v2
	s_add_i32 s17, s17, -1
	v_add_u32_e32 v2, v1, v4
	s_waitcnt lgkmcnt(0)
	s_mul_i32 s18, s6, s9
	s_mov_b32 s19, 0
	v_ashrrev_i32_e32 v2, 4, v2
	v_mov_b32_e32 v5, s17
	v_cmp_gt_i32_e32 vcc, s33, v1
	s_lshl_b64 s[18:19], s[18:19], 2
	v_cndmask_b32_e32 v2, v5, v2, vcc
	s_add_u32 s15, s12, s18
	v_ashrrev_i32_e32 v3, 31, v2
	s_addc_u32 s16, s13, s19
	v_lshlrev_b64 v[2:3], 2, v[2:3]
	v_mov_b32_e32 v7, s16
	v_add_co_u32_e32 v6, vcc, s15, v2
	v_or_b32_e32 v2, 16, v1
	v_addc_co_u32_e32 v7, vcc, v7, v3, vcc
	v_add_u32_e32 v3, v2, v4
	v_ashrrev_i32_e32 v3, 4, v3
	v_cmp_gt_i32_e32 vcc, s33, v2
	v_cndmask_b32_e32 v2, v5, v3, vcc
	v_ashrrev_i32_e32 v3, 31, v2
	v_lshlrev_b64 v[2:3], 2, v[2:3]
	v_mov_b32_e32 v9, s16
	v_add_co_u32_e32 v8, vcc, s15, v2
	v_or_b32_e32 v2, 32, v1
	v_addc_co_u32_e32 v9, vcc, v9, v3, vcc
	v_add_u32_e32 v3, v2, v4
	v_ashrrev_i32_e32 v3, 4, v3
	v_cmp_gt_i32_e32 vcc, s33, v2
	v_cndmask_b32_e32 v2, v5, v3, vcc
	v_ashrrev_i32_e32 v3, 31, v2
	;; [unrolled: 10-line block ×3, first 2 shown]
	v_lshlrev_b64 v[2:3], 2, v[2:3]
	v_mov_b32_e32 v1, s16
	v_add_co_u32_e32 v12, vcc, s15, v2
	v_addc_co_u32_e32 v13, vcc, v1, v3, vcc
	global_load_dword v5, v[6:7], off
	global_load_dword v4, v[8:9], off
	;; [unrolled: 1-line block ×4, first 2 shown]
	s_load_dwordx2 s[12:13], s[4:5], 0x8
	s_andn2_b64 vcc, exec, s[2:3]
	s_cbranch_vccnz .LBB199_8
; %bb.6:
	s_add_u32 s0, s0, s10
	s_addc_u32 s1, s1, s11
	s_load_dword s9, s[0:1], 0x0
	s_branch .LBB199_9
.LBB199_7:
	s_mov_b64 s[12:13], 0
	s_branch .LBB199_2
.LBB199_8:
	s_mov_b32 s9, s6
.LBB199_9:
	s_load_dwordx2 s[2:3], s[4:5], 0x10
	s_load_dwordx4 s[44:47], s[4:5], 0x48
	v_and_b32_e32 v53, 15, v0
	s_movk_i32 s0, 0x80
	v_lshlrev_b32_e32 v6, 3, v53
	v_cmp_gt_u32_e32 vcc, s0, v0
	v_cmp_gt_u32_e64 s[0:1], 8, v53
	v_lshrrev_b32_e32 v52, 6, v0
	v_bfe_u32 v1, v0, 4, 2
	s_lshl_b32 s29, s8, 3
	s_and_b64 s[18:19], vcc, s[0:1]
	v_lshlrev_b32_e32 v50, 1, v6
	s_and_saveexec_b64 s[10:11], s[18:19]
	s_cbranch_execz .LBB199_11
; %bb.10:
	s_load_dwordx2 s[18:19], s[4:5], 0x0
	s_waitcnt lgkmcnt(0)
	s_ashr_i32 s20, s44, 31
	s_mul_hi_u32 s21, s9, s44
	s_mul_i32 s20, s9, s20
	v_lshl_or_b32 v10, v52, 2, v1
	s_add_i32 s21, s21, s20
	s_mul_i32 s20, s9, s44
	s_lshl_b64 s[20:21], s[20:21], 1
	v_add_lshl_u32 v6, v10, s29, 6
	s_add_u32 s9, s18, s20
	v_ashrrev_i32_e32 v7, 31, v6
	s_addc_u32 s18, s19, s21
	v_lshlrev_b64 v[6:7], 1, v[6:7]
	v_mov_b32_e32 v8, s18
	v_add_co_u32_e32 v6, vcc, s9, v6
	v_addc_co_u32_e32 v7, vcc, v8, v7, vcc
	v_add_co_u32_e32 v6, vcc, v6, v50
	v_addc_co_u32_e32 v7, vcc, 0, v7, vcc
	global_load_dwordx4 v[6:9], v[6:7], off
	v_and_b32_e32 v11, 3, v0
	v_lshlrev_b32_e32 v12, 9, v53
	v_lshlrev_b32_e32 v10, 5, v10
	;; [unrolled: 1-line block ×3, first 2 shown]
	v_and_b32_e32 v12, 0x1800, v12
	v_or3_b32 v10, v12, v11, v10
	s_waitcnt vmcnt(0)
	ds_write_b128 v10, v[6:9]
.LBB199_11:
	s_or_b64 exec, exec, s[10:11]
	s_waitcnt lgkmcnt(0)
	s_mul_i32 s8, s8, s46
	s_mov_b32 s9, 0
	s_lshl_b64 s[8:9], s[8:9], 1
	s_add_u32 s10, s12, s8
	v_lshlrev_b32_e32 v51, 4, v0
	s_addc_u32 s11, s13, s9
	v_and_b32_e32 v6, 0xf0, v51
	v_mov_b32_e32 v7, s11
	v_add_co_u32_e32 v8, vcc, s10, v6
	v_addc_co_u32_e32 v9, vcc, 0, v7, vcc
	s_waitcnt vmcnt(3)
	v_mad_i64_i32 v[6:7], s[10:11], v5, s45, 0
	v_lshlrev_b64 v[6:7], 1, v[6:7]
	v_add_co_u32_e32 v5, vcc, v8, v6
	v_addc_co_u32_e32 v7, vcc, v9, v7, vcc
	v_and_b32_e32 v18, 0x300, v51
	v_add_co_u32_e32 v6, vcc, v5, v18
	s_waitcnt vmcnt(2)
	v_mad_i64_i32 v[4:5], s[10:11], v4, s45, 0
	v_addc_co_u32_e32 v7, vcc, 0, v7, vcc
	v_lshlrev_b64 v[4:5], 1, v[4:5]
	v_add_co_u32_e32 v4, vcc, v8, v4
	v_addc_co_u32_e32 v5, vcc, v9, v5, vcc
	v_add_co_u32_e32 v4, vcc, v4, v18
	v_addc_co_u32_e32 v5, vcc, 0, v5, vcc
	s_barrier
	global_load_dwordx4 v[38:41], v[6:7], off
	global_load_dwordx4 v[34:37], v[6:7], off offset:1024
	global_load_dwordx4 v[30:33], v[4:5], off
	global_load_dwordx4 v[26:29], v[4:5], off offset:1024
	s_waitcnt vmcnt(5)
	v_mad_i64_i32 v[4:5], s[10:11], v3, s45, 0
	v_lshlrev_b64 v[4:5], 1, v[4:5]
	v_add_co_u32_e32 v3, vcc, v8, v4
	v_addc_co_u32_e32 v5, vcc, v9, v5, vcc
	v_add_co_u32_e32 v4, vcc, v3, v18
	s_waitcnt vmcnt(4)
	v_mad_i64_i32 v[2:3], s[10:11], v2, s45, 0
	v_addc_co_u32_e32 v5, vcc, 0, v5, vcc
	v_lshlrev_b64 v[2:3], 1, v[2:3]
	v_add_co_u32_e32 v2, vcc, v8, v2
	v_addc_co_u32_e32 v3, vcc, v9, v3, vcc
	v_add_co_u32_e32 v6, vcc, v2, v18
	v_addc_co_u32_e32 v7, vcc, 0, v3, vcc
	global_load_dwordx4 v[14:17], v[4:5], off
	global_load_dwordx4 v[10:13], v[4:5], off offset:1024
	s_nop 0
	global_load_dwordx4 v[2:5], v[6:7], off
	global_load_dwordx4 v[18:21], v[6:7], off offset:1024
	v_and_b32_e32 v6, 7, v0
	v_lshlrev_b32_e32 v6, 5, v6
	v_lshl_or_b32 v22, v1, 9, v6
	ds_read_b128 v[6:9], v22
	ds_read_b128 v[22:25], v22 offset:2048
	v_and_b32_e32 v54, 63, v0
	v_mov_b32_e32 v48, 0
	s_and_saveexec_b64 s[10:11], s[0:1]
	s_cbranch_execz .LBB199_13
; %bb.12:
	s_load_dwordx2 s[12:13], s[4:5], 0x40
	v_or_b32_e32 v42, s29, v53
	v_ashrrev_i32_e32 v43, 31, v42
	v_lshlrev_b64 v[42:43], 2, v[42:43]
	s_waitcnt lgkmcnt(0)
	v_mov_b32_e32 v44, s13
	v_add_co_u32_e32 v42, vcc, s12, v42
	v_addc_co_u32_e32 v43, vcc, v44, v43, vcc
	global_load_dword v48, v[42:43], off
.LBB199_13:
	s_or_b64 exec, exec, s[10:11]
	s_waitcnt vmcnt(7) lgkmcnt(1)
	v_mfma_f32_16x16x16bf16_1k v[42:45], v[38:39], v[6:7], 0
	s_load_dword s10, s[4:5], 0x1c
	s_add_u32 s2, s2, s8
	v_lshlrev_b32_e32 v55, 5, v53
	s_addc_u32 s3, s3, s9
	s_mov_b32 s42, 0xff7fffff
	v_mfma_f32_16x16x16bf16_1k v[38:41], v[40:41], v[8:9], v[42:45]
	s_waitcnt vmcnt(6) lgkmcnt(0)
	v_mfma_f32_16x16x16bf16_1k v[38:41], v[34:35], v[22:23], v[38:41]
	s_nop 4
	v_and_or_b32 v44, v0, 48, s14
	v_mov_b32_e32 v45, s17
	v_cmp_gt_i32_e32 vcc, s33, v44
	v_mfma_f32_16x16x16bf16_1k v[34:37], v[36:37], v[24:25], v[38:41]
	s_nop 6
	v_ashrrev_i32_e32 v38, 4, v44
	v_cndmask_b32_e32 v42, v45, v38, vcc
	s_waitcnt vmcnt(5)
	v_mfma_f32_16x16x16bf16_1k v[38:41], v[30:31], v[6:7], 0
	v_ashrrev_i32_e32 v43, 31, v42
	v_lshlrev_b64 v[30:31], 2, v[42:43]
	v_mov_b32_e32 v42, s16
	v_add_co_u32_e32 v30, vcc, s15, v30
	v_addc_co_u32_e32 v31, vcc, v42, v31, vcc
	global_load_dword v42, v[30:31], off
	v_mfma_f32_16x16x16bf16_1k v[30:33], v[32:33], v[8:9], v[38:41]
	s_nop 6
	v_or_b32_e32 v38, 64, v44
	v_ashrrev_i32_e32 v39, 4, v38
	v_cmp_gt_i32_e32 vcc, s33, v38
	v_cndmask_b32_e32 v38, v45, v39, vcc
	v_ashrrev_i32_e32 v39, 31, v38
	s_waitcnt vmcnt(5)
	v_mfma_f32_16x16x16bf16_1k v[30:33], v[26:27], v[22:23], v[30:33]
	v_lshlrev_b64 v[38:39], 2, v[38:39]
	v_mov_b32_e32 v40, s16
	v_add_co_u32_e32 v26, vcc, s15, v38
	v_addc_co_u32_e32 v27, vcc, v40, v39, vcc
	global_load_dword v43, v[26:27], off
	v_or_b32_e32 v26, 0x80, v44
	v_ashrrev_i32_e32 v27, 4, v26
	v_cmp_gt_i32_e32 vcc, s33, v26
	v_cndmask_b32_e32 v38, v45, v27, vcc
	v_ashrrev_i32_e32 v39, 31, v38
	v_mfma_f32_16x16x16bf16_1k v[26:29], v[28:29], v[24:25], v[30:33]
	s_nop 6
	v_lshlrev_b64 v[30:31], 2, v[38:39]
	v_mov_b32_e32 v32, s16
	v_add_co_u32_e32 v38, vcc, s15, v30
	v_addc_co_u32_e32 v39, vcc, v32, v31, vcc
	global_load_dword v46, v[38:39], off
	s_waitcnt vmcnt(6)
	v_mfma_f32_16x16x16bf16_1k v[30:33], v[14:15], v[6:7], 0
	v_mfma_f32_16x16x16bf16_1k v[14:17], v[16:17], v[8:9], v[30:33]
	s_nop 7
	s_nop 1
	v_or_b32_e32 v30, 0xc0, v44
	v_ashrrev_i32_e32 v31, 4, v30
	v_cmp_gt_i32_e32 vcc, s33, v30
	v_cndmask_b32_e32 v30, v45, v31, vcc
	v_ashrrev_i32_e32 v31, 31, v30
	v_lshlrev_b64 v[30:31], 2, v[30:31]
	v_mov_b32_e32 v32, s16
	s_waitcnt vmcnt(5)
	v_mfma_f32_16x16x16bf16_1k v[14:17], v[10:11], v[22:23], v[14:17]
	v_add_co_u32_e32 v10, vcc, s15, v30
	v_addc_co_u32_e32 v11, vcc, v32, v31, vcc
	global_load_dword v49, v[10:11], off
	v_pk_mul_f32 v[44:45], s[10:11], v[26:27] op_sel_hi:[0,1]
	v_lshl_or_b32 v10, v52, 9, v55
	s_waitcnt vmcnt(5)
	v_mfma_f32_16x16x16bf16_1k v[38:41], v[2:3], v[6:7], 0
	v_mov_b32_e32 v11, s3
	v_add_co_u32_e32 v60, vcc, s2, v10
	v_addc_co_u32_e32 v61, vcc, 0, v11, vcc
	s_waitcnt vmcnt(3)
	v_mad_i64_i32 v[10:11], s[2:3], v42, s45, 0
	v_mfma_f32_16x16x16bf16_1k v[38:41], v[4:5], v[8:9], v[38:41]
	v_lshlrev_b64 v[10:11], 1, v[10:11]
	v_add_co_u32_e32 v2, vcc, v60, v10
	v_addc_co_u32_e32 v3, vcc, v61, v11, vcc
	v_mfma_f32_16x16x16bf16_1k v[56:59], v[18:19], v[22:23], v[38:41]
	v_pk_mul_f32 v[18:19], s[10:11], v[34:35] op_sel_hi:[0,1]
	v_mfma_f32_16x16x16bf16_1k v[30:33], v[12:13], v[24:25], v[14:17]
	s_nop 6
	global_load_dwordx4 v[14:17], v[2:3], off
	global_load_dwordx4 v[10:13], v[2:3], off offset:16
	s_waitcnt vmcnt(4)
	v_mad_i64_i32 v[2:3], s[2:3], v43, s45, 0
	v_lshlrev_b64 v[2:3], 1, v[2:3]
	v_add_co_u32_e32 v2, vcc, v60, v2
	v_mfma_f32_16x16x16bf16_1k v[24:27], v[20:21], v[24:25], v[56:59]
	v_and_b32_e32 v20, 0xc0, v0
	v_add_u32_e32 v20, s14, v20
	v_lshl_or_b32 v20, v1, 2, v20
	v_or_b32_e32 v21, 1, v20
	v_addc_co_u32_e32 v3, vcc, v61, v3, vcc
	v_pk_mul_f32 v[38:39], s[10:11], v[32:33] op_sel_hi:[0,1]
	s_nop 4
	v_pk_mul_f32 v[34:35], s[10:11], v[26:27] op_sel_hi:[0,1]
	v_pk_mul_f32 v[40:41], s[10:11], v[30:31] op_sel_hi:[0,1]
	v_cmp_gt_i32_e64 s[30:31], s33, v20
	v_cmp_gt_i32_e64 s[34:35], s33, v21
	global_load_dwordx4 v[6:9], v[2:3], off
	s_nop 0
	global_load_dwordx4 v[2:5], v[2:3], off offset:16
	s_waitcnt vmcnt(5)
	v_mad_i64_i32 v[42:43], s[2:3], v46, s45, 0
	v_pk_mul_f32 v[46:47], s[10:11], v[36:37] op_sel_hi:[0,1]
	v_pk_mul_f32 v[36:37], s[10:11], v[24:25] op_sel_hi:[0,1]
	v_subrev_u32_e32 v24, s33, v21
	v_add_u32_e32 v26, 1, v24
	v_add_u32_e32 v27, 2, v24
	v_cvt_f32_i32_e32 v25, v24
	v_cvt_f32_i32_e32 v26, v26
	;; [unrolled: 1-line block ×3, first 2 shown]
	v_lshlrev_b64 v[42:43], 1, v[42:43]
	v_add_co_u32_e32 v22, vcc, v60, v42
	v_addc_co_u32_e32 v23, vcc, v61, v43, vcc
	v_pk_mul_f32 v[42:43], s[10:11], v[28:29] op_sel_hi:[0,1]
	v_add_u32_e32 v28, 3, v24
	v_fma_f32 v18, v48, v25, v18
	v_fmac_f32_e32 v19, v48, v26
	v_fma_f32 v46, v48, v27, v46
	v_add_u32_e32 v25, 16, v24
	v_add_u32_e32 v26, 17, v24
	;; [unrolled: 1-line block ×3, first 2 shown]
	v_cvt_f32_i32_e32 v28, v28
	v_cvt_f32_i32_e32 v25, v25
	;; [unrolled: 1-line block ×4, first 2 shown]
	v_fmac_f32_e32 v47, v48, v28
	v_add_u32_e32 v28, 19, v24
	v_fma_f32 v44, v48, v25, v44
	v_fmac_f32_e32 v45, v48, v26
	v_fma_f32 v42, v48, v27, v42
	v_add_u32_e32 v25, 32, v24
	v_add_u32_e32 v26, 33, v24
	;; [unrolled: 1-line block ×3, first 2 shown]
	v_cvt_f32_i32_e32 v28, v28
	v_cvt_f32_i32_e32 v25, v25
	;; [unrolled: 1-line block ×4, first 2 shown]
	v_fmac_f32_e32 v43, v48, v28
	v_add_u32_e32 v28, 35, v24
	v_fma_f32 v40, v48, v25, v40
	v_fmac_f32_e32 v41, v48, v26
	v_fma_f32 v38, v48, v27, v38
	v_add_u32_e32 v25, 48, v24
	v_add_u32_e32 v26, 49, v24
	;; [unrolled: 1-line block ×4, first 2 shown]
	v_cvt_f32_i32_e32 v24, v24
	v_cvt_f32_i32_e32 v25, v25
	;; [unrolled: 1-line block ×4, first 2 shown]
	v_fmac_f32_e32 v35, v48, v24
	v_mov_b32_e32 v24, 0xff7fffff
	v_fma_f32 v36, v48, v25, v36
	v_cndmask_b32_e64 v25, v24, v18, s[30:31]
	v_cndmask_b32_e64 v21, v24, v19, s[34:35]
	v_fmac_f32_e32 v37, v48, v26
	v_max3_f32 v21, v25, s42, v21
	v_or_b32_e32 v25, 2, v20
	v_or_b32_e32 v26, 3, v20
	v_cmp_gt_i32_e64 s[36:37], s33, v25
	v_cmp_gt_i32_e64 s[38:39], s33, v26
	v_cndmask_b32_e64 v25, v24, v46, s[36:37]
	v_cndmask_b32_e64 v26, v24, v47, s[38:39]
	v_max3_f32 v21, v21, v25, v26
	v_or_b32_e32 v25, 16, v20
	v_or_b32_e32 v26, 17, v20
	v_cmp_gt_i32_e64 s[24:25], s33, v25
	v_cmp_gt_i32_e64 s[26:27], s33, v26
	v_cndmask_b32_e64 v25, v24, v44, s[24:25]
	v_cndmask_b32_e64 v26, v24, v45, s[26:27]
	;; [unrolled: 7-line block ×4, first 2 shown]
	v_max3_f32 v21, v21, v25, v26
	v_or_b32_e32 v25, 34, v20
	v_or_b32_e32 v26, 35, v20
	v_fmac_f32_e32 v39, v48, v28
	v_cmp_gt_i32_e64 s[12:13], s33, v25
	v_cmp_gt_i32_e64 s[14:15], s33, v26
	v_cndmask_b32_e64 v25, v24, v38, s[12:13]
	v_cndmask_b32_e64 v26, v24, v39, s[14:15]
	v_cvt_f32_i32_e32 v27, v27
	v_max3_f32 v21, v21, v25, v26
	v_or_b32_e32 v25, 48, v20
	v_or_b32_e32 v26, 49, v20
	v_cmp_gt_i32_e64 s[8:9], s33, v25
	v_cmp_gt_i32_e64 s[10:11], s33, v26
	v_cndmask_b32_e64 v25, v24, v36, s[8:9]
	v_cndmask_b32_e64 v26, v24, v37, s[10:11]
	v_max3_f32 v21, v21, v25, v26
	v_or_b32_e32 v25, 50, v20
	v_or_b32_e32 v20, 51, v20
	v_fma_f32 v34, v48, v27, v34
	v_cmp_gt_i32_e32 vcc, s33, v25
	v_cmp_gt_i32_e64 s[2:3], s33, v20
	v_cndmask_b32_e32 v25, v24, v34, vcc
	v_cndmask_b32_e64 v20, v24, v35, s[2:3]
	v_max3_f32 v26, v21, v25, v20
	v_mbcnt_lo_u32_b32 v20, -1, 0
	v_mbcnt_hi_u32_b32 v27, -1, v20
	v_and_b32_e32 v20, 64, v27
	v_add_u32_e32 v28, 64, v20
	v_xor_b32_e32 v20, 32, v27
	v_cmp_lt_i32_e64 s[40:41], v20, v28
	v_cndmask_b32_e64 v20, v27, v20, s[40:41]
	v_lshlrev_b32_e32 v57, 2, v20
	ds_bpermute_b32 v29, v57, v26
	s_waitcnt vmcnt(4)
	v_mad_i64_i32 v[20:21], s[40:41], v49, s45, 0
	v_lshlrev_b64 v[20:21], 1, v[20:21]
	global_load_dwordx4 v[30:33], v[22:23], off
	s_nop 0
	global_load_dwordx4 v[22:25], v[22:23], off offset:16
	s_waitcnt lgkmcnt(0)
	v_max_f32_e32 v29, v29, v29
	v_max_f32_e32 v26, v26, v29
	v_xor_b32_e32 v29, 16, v27
	v_cmp_lt_i32_e64 s[40:41], v29, v28
	v_cndmask_b32_e64 v27, v27, v29, s[40:41]
	v_lshlrev_b32_e32 v58, 2, v27
	ds_bpermute_b32 v27, v58, v26
	v_add_co_u32_e64 v20, s[40:41], v60, v20
	v_addc_co_u32_e64 v21, s[40:41], v61, v21, s[40:41]
	s_waitcnt lgkmcnt(0)
	v_max_f32_e32 v27, v27, v27
	v_max_f32_e32 v56, v26, v27
	v_sub_f32_e32 v18, v18, v56
	v_mul_f32_e32 v18, 0x3fb8aa3b, v18
	v_exp_f32_e32 v48, v18
	v_sub_f32_e32 v18, v19, v56
	v_mul_f32_e32 v18, 0x3fb8aa3b, v18
	v_exp_f32_e32 v49, v18
	global_load_dwordx4 v[26:29], v[20:21], off
	s_nop 0
	global_load_dwordx4 v[18:21], v[20:21], off offset:16
	v_sub_f32_e32 v46, v46, v56
	v_mul_f32_e32 v46, 0x3fb8aa3b, v46
	v_sub_f32_e32 v47, v47, v56
	v_exp_f32_e32 v46, v46
	v_mul_f32_e32 v47, 0x3fb8aa3b, v47
	v_sub_f32_e32 v44, v44, v56
	v_exp_f32_e32 v47, v47
	v_mul_f32_e32 v44, 0x3fb8aa3b, v44
	v_sub_f32_e32 v45, v45, v56
	v_cndmask_b32_e64 v48, 0, v48, s[30:31]
	v_exp_f32_e32 v44, v44
	v_mul_f32_e32 v45, 0x3fb8aa3b, v45
	v_sub_f32_e32 v42, v42, v56
	v_add_f32_e32 v59, 0, v48
	v_cndmask_b32_e64 v49, 0, v49, s[34:35]
	v_exp_f32_e32 v45, v45
	v_mul_f32_e32 v42, 0x3fb8aa3b, v42
	v_sub_f32_e32 v43, v43, v56
	v_add_f32_e32 v59, v59, v49
	;; [unrolled: 5-line block ×10, first 2 shown]
	v_cndmask_b32_e64 v38, 0, v38, s[12:13]
	v_exp_f32_e32 v34, v34
	v_mul_f32_e32 v35, 0x3fb8aa3b, v35
	v_add_f32_e32 v59, v59, v38
	v_cndmask_b32_e64 v39, 0, v39, s[14:15]
	v_exp_f32_e32 v35, v35
	v_add_f32_e32 v59, v59, v39
	v_cndmask_b32_e64 v36, 0, v36, s[8:9]
	v_add_f32_e32 v59, v59, v36
	v_cndmask_b32_e64 v37, 0, v37, s[10:11]
	v_add_f32_e32 v59, v59, v37
	v_cndmask_b32_e32 v34, 0, v34, vcc
	v_add_f32_e32 v59, v59, v34
	v_cndmask_b32_e64 v35, 0, v35, s[2:3]
	v_add_f32_e32 v59, v59, v35
	ds_bpermute_b32 v57, v57, v59
	s_load_dword s9, s[4:5], 0x98
	v_cmp_gt_u32_e32 vcc, 16, v54
	v_lshlrev_b32_e32 v54, 2, v53
	s_waitcnt lgkmcnt(0)
	v_add_f32_e32 v57, v59, v57
	ds_bpermute_b32 v58, v58, v57
	s_barrier
	s_waitcnt lgkmcnt(0)
	s_and_saveexec_b64 s[2:3], vcc
	s_cbranch_execz .LBB199_15
; %bb.14:
	v_add_f32_e32 v53, v57, v58
	v_lshl_or_b32 v57, v52, 6, v54
	ds_write2st64_b32 v57, v56, v53 offset1:1
.LBB199_15:
	s_or_b64 exec, exec, s[2:3]
	s_load_dword s8, s[4:5], 0x94
	s_waitcnt lgkmcnt(0)
	s_barrier
	ds_read2_b32 v[56:57], v54 offset1:16
	ds_read2_b32 v[58:59], v54 offset0:32 offset1:48
	ds_read2_b32 v[60:61], v54 offset0:64 offset1:80
	s_movk_i32 s10, 0x7fff
	s_mov_b32 s11, 0x7060302
	s_waitcnt lgkmcnt(2)
	v_max3_f32 v53, v56, s42, v57
	s_waitcnt lgkmcnt(1)
	v_max3_f32 v53, v53, v58, v59
	v_sub_f32_e32 v56, v56, v53
	v_mul_f32_e32 v56, 0x3fb8aa3b, v56
	v_exp_f32_e32 v62, v56
	v_sub_f32_e32 v56, v57, v53
	v_mul_f32_e32 v56, 0x3fb8aa3b, v56
	v_exp_f32_e32 v63, v56
	;; [unrolled: 3-line block ×3, first 2 shown]
	ds_read2_b32 v[56:57], v54 offset0:96 offset1:112
	v_sub_f32_e32 v54, v59, v53
	v_mul_f32_e32 v54, 0x3fb8aa3b, v54
	v_exp_f32_e32 v59, v54
	s_waitcnt lgkmcnt(1)
	v_fma_f32 v54, v62, v60, 0
	v_fmac_f32_e32 v54, v63, v61
	s_waitcnt lgkmcnt(0)
	v_fmac_f32_e32 v54, v58, v56
	v_fmac_f32_e32 v54, v59, v57
	v_add_f32_e32 v56, 0x358637bd, v54
	v_div_scale_f32 v57, s[2:3], v56, v56, 1.0
	v_rcp_f32_e32 v60, v57
	s_lshl_b32 s9, s9, 3
	s_barrier
	v_fma_f32 v61, -v57, v60, 1.0
	v_fmac_f32_e32 v60, v61, v60
	v_div_scale_f32 v61, vcc, 1.0, v56, 1.0
	v_mul_f32_e32 v64, v61, v60
	v_fma_f32 v65, -v57, v64, v61
	v_fmac_f32_e32 v64, v65, v60
	v_fma_f32 v57, -v57, v64, v61
	v_div_fmas_f32 v57, v57, v60, v64
	v_cmp_eq_u32_e32 vcc, 1, v52
	v_div_fixup_f32 v56, v57, v56, 1.0
	v_cndmask_b32_e32 v57, v62, v63, vcc
	v_cmp_eq_u32_e32 vcc, 2, v52
	v_cndmask_b32_e32 v57, v57, v58, vcc
	v_cmp_eq_u32_e32 vcc, 3, v52
	v_cndmask_b32_e32 v57, v57, v59, vcc
	v_mul_f32_e32 v56, v57, v56
	v_pk_mul_f32 v[48:49], v[56:57], v[48:49] op_sel_hi:[0,1]
	v_pk_mul_f32 v[46:47], v[56:57], v[46:47] op_sel_hi:[0,1]
	v_bfe_u32 v57, v49, 16, 1
	v_bfe_u32 v58, v48, 16, 1
	v_add3_u32 v48, v48, v58, s10
	v_add3_u32 v49, v49, v57, s10
	v_perm_b32 v48, v49, v48, s11
	v_bfe_u32 v49, v47, 16, 1
	v_bfe_u32 v57, v46, 16, 1
	v_add3_u32 v46, v46, v57, s10
	v_add3_u32 v47, v47, v49, s10
	v_perm_b32 v49, v47, v46, s11
	v_lshlrev_b32_e32 v46, 3, v1
	v_lshlrev_b32_e32 v47, 11, v52
	v_pk_mul_f32 v[44:45], v[56:57], v[44:45] op_sel_hi:[0,1]
	v_or3_b32 v46, v47, v55, v46
	v_bfe_u32 v47, v45, 16, 1
	v_bfe_u32 v52, v44, 16, 1
	v_pk_mul_f32 v[42:43], v[56:57], v[42:43] op_sel_hi:[0,1]
	v_add3_u32 v44, v44, v52, s10
	v_add3_u32 v45, v45, v47, s10
	v_perm_b32 v44, v45, v44, s11
	v_bfe_u32 v45, v43, 16, 1
	v_bfe_u32 v47, v42, 16, 1
	v_add3_u32 v42, v42, v47, s10
	v_add3_u32 v43, v43, v45, s10
	v_pk_mul_f32 v[40:41], v[56:57], v[40:41] op_sel_hi:[0,1]
	v_perm_b32 v45, v43, v42, s11
	v_bfe_u32 v42, v41, 16, 1
	v_bfe_u32 v43, v40, 16, 1
	v_pk_mul_f32 v[38:39], v[56:57], v[38:39] op_sel_hi:[0,1]
	v_add3_u32 v40, v40, v43, s10
	v_add3_u32 v41, v41, v42, s10
	v_perm_b32 v40, v41, v40, s11
	v_bfe_u32 v41, v39, 16, 1
	v_bfe_u32 v42, v38, 16, 1
	v_add3_u32 v38, v38, v42, s10
	v_add3_u32 v39, v39, v41, s10
	v_pk_mul_f32 v[36:37], v[56:57], v[36:37] op_sel_hi:[0,1]
	v_perm_b32 v41, v39, v38, s11
	v_bfe_u32 v38, v37, 16, 1
	v_bfe_u32 v39, v36, 16, 1
	v_pk_mul_f32 v[34:35], v[56:57], v[34:35] op_sel_hi:[0,1]
	v_add3_u32 v36, v36, v39, s10
	v_add3_u32 v37, v37, v38, s10
	v_perm_b32 v36, v37, v36, s11
	v_bfe_u32 v37, v35, 16, 1
	v_bfe_u32 v38, v34, 16, 1
	v_add3_u32 v34, v34, v38, s10
	v_add3_u32 v35, v35, v37, s10
	v_perm_b32 v37, v35, v34, s11
	v_cmp_gt_u32_e32 vcc, 8, v0
	ds_write2st64_b64 v46, v[48:49], v[44:45] offset1:1
	ds_write2st64_b64 v46, v[40:41], v[36:37] offset0:2 offset1:3
	s_and_saveexec_b64 s[2:3], vcc
	s_cbranch_execz .LBB199_17
; %bb.16:
	v_or_b32_e32 v34, s29, v0
	v_mov_b32_e32 v35, 0
	v_mov_b32_e32 v36, s9
	v_mad_u64_u32 v[36:37], s[16:17], s6, v36, v[34:35]
	v_mov_b32_e32 v34, s28
	s_load_dwordx4 s[12:15], s[4:5], 0x58
	s_mul_i32 s7, s7, s9
	v_mad_u64_u32 v[34:35], s[16:17], v36, s8, v[34:35]
	v_add_u32_e32 v37, s7, v37
	v_mov_b32_e32 v36, v35
	v_mad_u64_u32 v[36:37], s[16:17], v37, s8, v[36:37]
	v_mov_b32_e32 v35, v36
	v_lshlrev_b64 v[34:35], 2, v[34:35]
	s_waitcnt lgkmcnt(0)
	v_mov_b32_e32 v37, s15
	v_add_co_u32_e32 v36, vcc, s14, v34
	v_addc_co_u32_e32 v37, vcc, v37, v35, vcc
	global_store_dword v[36:37], v53, off
	v_mov_b32_e32 v36, s13
	v_add_co_u32_e32 v34, vcc, s12, v34
	v_addc_co_u32_e32 v35, vcc, v36, v35, vcc
	global_store_dword v[34:35], v54, off
.LBB199_17:
	s_or_b64 exec, exec, s[2:3]
	v_lshl_or_b32 v47, v1, 9, v55
	s_waitcnt lgkmcnt(0)
	s_barrier
	ds_read_b128 v[34:37], v47
	ds_read_b128 v[38:41], v47 offset:16
	s_waitcnt vmcnt(7) lgkmcnt(1)
	v_mfma_f32_16x16x16bf16_1k v[42:45], v[14:15], v[34:35], 0
	v_cmp_gt_u32_e32 vcc, 64, v0
	s_mov_b32 s3, 0
	s_and_b64 s[0:1], vcc, s[0:1]
	v_mfma_f32_16x16x16bf16_1k v[14:17], v[16:17], v[36:37], v[42:45]
	s_waitcnt vmcnt(6) lgkmcnt(0)
	v_mfma_f32_16x16x16bf16_1k v[14:17], v[10:11], v[38:39], v[14:17]
	v_mfma_f32_16x16x16bf16_1k v[10:13], v[12:13], v[40:41], v[14:17]
	s_nop 7
	s_nop 1
	ds_read_b128 v[14:17], v47 offset:2048
	ds_read_b128 v[34:37], v47 offset:2064
	s_waitcnt vmcnt(5) lgkmcnt(1)
	v_mfma_f32_16x16x16bf16_1k v[10:13], v[6:7], v[14:15], v[10:13]
	v_mfma_f32_16x16x16bf16_1k v[6:9], v[8:9], v[16:17], v[10:13]
	s_waitcnt vmcnt(4) lgkmcnt(0)
	v_mfma_f32_16x16x16bf16_1k v[6:9], v[2:3], v[34:35], v[6:9]
	v_mfma_f32_16x16x16bf16_1k v[2:5], v[4:5], v[36:37], v[6:9]
	s_nop 7
	s_nop 1
	ds_read_b128 v[6:9], v47 offset:4096
	ds_read_b128 v[10:13], v47 offset:4112
	s_waitcnt vmcnt(3) lgkmcnt(1)
	v_mfma_f32_16x16x16bf16_1k v[2:5], v[30:31], v[6:7], v[2:5]
	v_mfma_f32_16x16x16bf16_1k v[2:5], v[32:33], v[8:9], v[2:5]
	s_waitcnt vmcnt(2) lgkmcnt(0)
	v_mfma_f32_16x16x16bf16_1k v[2:5], v[22:23], v[10:11], v[2:5]
	v_mfma_f32_16x16x16bf16_1k v[2:5], v[24:25], v[12:13], v[2:5]
	ds_read_b128 v[6:9], v47 offset:6144
	ds_read_b128 v[10:13], v47 offset:6160
	s_waitcnt lgkmcnt(0)
	s_barrier
	s_waitcnt vmcnt(1)
	v_mfma_f32_16x16x16bf16_1k v[2:5], v[26:27], v[6:7], v[2:5]
	v_mfma_f32_16x16x16bf16_1k v[2:5], v[28:29], v[8:9], v[2:5]
	s_waitcnt vmcnt(0)
	v_mfma_f32_16x16x16bf16_1k v[2:5], v[18:19], v[10:11], v[2:5]
	v_mfma_f32_16x16x16bf16_1k v[2:5], v[20:21], v[12:13], v[2:5]
	s_nop 7
	s_nop 2
	v_bfe_u32 v6, v3, 16, 1
	v_bfe_u32 v7, v2, 16, 1
	;; [unrolled: 1-line block ×4, first 2 shown]
	v_add3_u32 v2, v2, v7, s10
	v_add3_u32 v3, v3, v6, s10
	;; [unrolled: 1-line block ×4, first 2 shown]
	v_perm_b32 v2, v3, v2, s11
	v_perm_b32 v3, v5, v4, s11
	ds_write_b64 v46, v[2:3]
	s_waitcnt lgkmcnt(0)
	s_barrier
	s_and_saveexec_b64 s[10:11], s[0:1]
	s_cbranch_execz .LBB199_19
; %bb.18:
	s_load_dwordx2 s[0:1], s[4:5], 0x68
	s_lshl_b32 s7, s8, 6
	s_mul_i32 s2, s9, s6
	s_mul_hi_u32 s5, s2, s7
	s_mul_i32 s4, s2, s7
	s_lshl_b64 s[4:5], s[4:5], 1
	s_waitcnt lgkmcnt(0)
	s_add_u32 s4, s0, s4
	s_addc_u32 s5, s1, s5
	s_lshl_b32 s2, s28, 6
	v_lshlrev_b32_e32 v0, 10, v0
	s_lshl_b64 s[0:1], s[2:3], 1
	v_and_b32_e32 v0, 0x1800, v0
	v_lshlrev_b32_e32 v2, 5, v1
	v_and_b32_e32 v3, 16, v51
	s_add_u32 s0, s4, s0
	v_or3_b32 v0, v0, v2, v3
	s_addc_u32 s1, s5, s1
	ds_read_b128 v[2:5], v0
	ds_read_b128 v[6:9], v0 offset:128
	v_mov_b32_e32 v0, s1
	v_add_co_u32_e32 v10, vcc, s0, v50
	v_or_b32_e32 v12, s29, v1
	v_addc_co_u32_e32 v11, vcc, 0, v0, vcc
	v_mad_u64_u32 v[0:1], s[0:1], v12, s7, 0
	v_lshlrev_b64 v[0:1], 1, v[0:1]
	v_add_co_u32_e32 v0, vcc, v10, v0
	v_addc_co_u32_e32 v1, vcc, v11, v1, vcc
	s_waitcnt lgkmcnt(1)
	global_store_dwordx4 v[0:1], v[2:5], off
	v_or_b32_e32 v0, 4, v12
	v_mad_u64_u32 v[0:1], s[0:1], v0, s7, 0
	v_lshlrev_b64 v[0:1], 1, v[0:1]
	v_add_co_u32_e32 v0, vcc, v10, v0
	v_addc_co_u32_e32 v1, vcc, v11, v1, vcc
	s_waitcnt lgkmcnt(0)
	global_store_dwordx4 v[0:1], v[6:9], off
.LBB199_19:
	s_endpgm
	.section	.rodata,"a",@progbits
	.p2align	6, 0x0
	.amdhsa_kernel _Z39paged_attention_ll4mi_QKV_mfma16_kernelI14__hip_bfloat16S0_LN4vllm18Fp8KVCacheDataTypeE0ES0_Li16ELi64ELi256ELb1ELi8EL8MFMAType0EEvPKT_PKT0_S9_ifPKiSB_SB_iPKfiiiPfSE_PS4_PT2_iSD_SD_
		.amdhsa_group_segment_fixed_size 8192
		.amdhsa_private_segment_fixed_size 0
		.amdhsa_kernarg_size 400
		.amdhsa_user_sgpr_count 6
		.amdhsa_user_sgpr_private_segment_buffer 1
		.amdhsa_user_sgpr_dispatch_ptr 0
		.amdhsa_user_sgpr_queue_ptr 0
		.amdhsa_user_sgpr_kernarg_segment_ptr 1
		.amdhsa_user_sgpr_dispatch_id 0
		.amdhsa_user_sgpr_flat_scratch_init 0
		.amdhsa_user_sgpr_kernarg_preload_length 0
		.amdhsa_user_sgpr_kernarg_preload_offset 0
		.amdhsa_user_sgpr_private_segment_size 0
		.amdhsa_uses_dynamic_stack 0
		.amdhsa_system_sgpr_private_segment_wavefront_offset 0
		.amdhsa_system_sgpr_workgroup_id_x 1
		.amdhsa_system_sgpr_workgroup_id_y 1
		.amdhsa_system_sgpr_workgroup_id_z 1
		.amdhsa_system_sgpr_workgroup_info 0
		.amdhsa_system_vgpr_workitem_id 0
		.amdhsa_next_free_vgpr 66
		.amdhsa_next_free_sgpr 48
		.amdhsa_accum_offset 68
		.amdhsa_reserve_vcc 1
		.amdhsa_reserve_flat_scratch 0
		.amdhsa_float_round_mode_32 0
		.amdhsa_float_round_mode_16_64 0
		.amdhsa_float_denorm_mode_32 3
		.amdhsa_float_denorm_mode_16_64 3
		.amdhsa_dx10_clamp 1
		.amdhsa_ieee_mode 1
		.amdhsa_fp16_overflow 0
		.amdhsa_tg_split 0
		.amdhsa_exception_fp_ieee_invalid_op 0
		.amdhsa_exception_fp_denorm_src 0
		.amdhsa_exception_fp_ieee_div_zero 0
		.amdhsa_exception_fp_ieee_overflow 0
		.amdhsa_exception_fp_ieee_underflow 0
		.amdhsa_exception_fp_ieee_inexact 0
		.amdhsa_exception_int_div_zero 0
	.end_amdhsa_kernel
	.section	.text._Z39paged_attention_ll4mi_QKV_mfma16_kernelI14__hip_bfloat16S0_LN4vllm18Fp8KVCacheDataTypeE0ES0_Li16ELi64ELi256ELb1ELi8EL8MFMAType0EEvPKT_PKT0_S9_ifPKiSB_SB_iPKfiiiPfSE_PS4_PT2_iSD_SD_,"axG",@progbits,_Z39paged_attention_ll4mi_QKV_mfma16_kernelI14__hip_bfloat16S0_LN4vllm18Fp8KVCacheDataTypeE0ES0_Li16ELi64ELi256ELb1ELi8EL8MFMAType0EEvPKT_PKT0_S9_ifPKiSB_SB_iPKfiiiPfSE_PS4_PT2_iSD_SD_,comdat
.Lfunc_end199:
	.size	_Z39paged_attention_ll4mi_QKV_mfma16_kernelI14__hip_bfloat16S0_LN4vllm18Fp8KVCacheDataTypeE0ES0_Li16ELi64ELi256ELb1ELi8EL8MFMAType0EEvPKT_PKT0_S9_ifPKiSB_SB_iPKfiiiPfSE_PS4_PT2_iSD_SD_, .Lfunc_end199-_Z39paged_attention_ll4mi_QKV_mfma16_kernelI14__hip_bfloat16S0_LN4vllm18Fp8KVCacheDataTypeE0ES0_Li16ELi64ELi256ELb1ELi8EL8MFMAType0EEvPKT_PKT0_S9_ifPKiSB_SB_iPKfiiiPfSE_PS4_PT2_iSD_SD_
                                        ; -- End function
	.section	.AMDGPU.csdata,"",@progbits
; Kernel info:
; codeLenInByte = 4496
; NumSgprs: 52
; NumVgprs: 66
; NumAgprs: 0
; TotalNumVgprs: 66
; ScratchSize: 0
; MemoryBound: 0
; FloatMode: 240
; IeeeMode: 1
; LDSByteSize: 8192 bytes/workgroup (compile time only)
; SGPRBlocks: 6
; VGPRBlocks: 8
; NumSGPRsForWavesPerEU: 52
; NumVGPRsForWavesPerEU: 66
; AccumOffset: 68
; Occupancy: 7
; WaveLimiterHint : 1
; COMPUTE_PGM_RSRC2:SCRATCH_EN: 0
; COMPUTE_PGM_RSRC2:USER_SGPR: 6
; COMPUTE_PGM_RSRC2:TRAP_HANDLER: 0
; COMPUTE_PGM_RSRC2:TGID_X_EN: 1
; COMPUTE_PGM_RSRC2:TGID_Y_EN: 1
; COMPUTE_PGM_RSRC2:TGID_Z_EN: 1
; COMPUTE_PGM_RSRC2:TIDIG_COMP_CNT: 0
; COMPUTE_PGM_RSRC3_GFX90A:ACCUM_OFFSET: 16
; COMPUTE_PGM_RSRC3_GFX90A:TG_SPLIT: 0
	.section	.text._Z39paged_attention_ll4mi_QKV_mfma16_kernelI14__hip_bfloat16S0_LN4vllm18Fp8KVCacheDataTypeE0ES0_Li16ELi64ELi256ELb1ELi9EL8MFMAType0EEvPKT_PKT0_S9_ifPKiSB_SB_iPKfiiiPfSE_PS4_PT2_iSD_SD_,"axG",@progbits,_Z39paged_attention_ll4mi_QKV_mfma16_kernelI14__hip_bfloat16S0_LN4vllm18Fp8KVCacheDataTypeE0ES0_Li16ELi64ELi256ELb1ELi9EL8MFMAType0EEvPKT_PKT0_S9_ifPKiSB_SB_iPKfiiiPfSE_PS4_PT2_iSD_SD_,comdat
	.protected	_Z39paged_attention_ll4mi_QKV_mfma16_kernelI14__hip_bfloat16S0_LN4vllm18Fp8KVCacheDataTypeE0ES0_Li16ELi64ELi256ELb1ELi9EL8MFMAType0EEvPKT_PKT0_S9_ifPKiSB_SB_iPKfiiiPfSE_PS4_PT2_iSD_SD_ ; -- Begin function _Z39paged_attention_ll4mi_QKV_mfma16_kernelI14__hip_bfloat16S0_LN4vllm18Fp8KVCacheDataTypeE0ES0_Li16ELi64ELi256ELb1ELi9EL8MFMAType0EEvPKT_PKT0_S9_ifPKiSB_SB_iPKfiiiPfSE_PS4_PT2_iSD_SD_
	.globl	_Z39paged_attention_ll4mi_QKV_mfma16_kernelI14__hip_bfloat16S0_LN4vllm18Fp8KVCacheDataTypeE0ES0_Li16ELi64ELi256ELb1ELi9EL8MFMAType0EEvPKT_PKT0_S9_ifPKiSB_SB_iPKfiiiPfSE_PS4_PT2_iSD_SD_
	.p2align	8
	.type	_Z39paged_attention_ll4mi_QKV_mfma16_kernelI14__hip_bfloat16S0_LN4vllm18Fp8KVCacheDataTypeE0ES0_Li16ELi64ELi256ELb1ELi9EL8MFMAType0EEvPKT_PKT0_S9_ifPKiSB_SB_iPKfiiiPfSE_PS4_PT2_iSD_SD_,@function
_Z39paged_attention_ll4mi_QKV_mfma16_kernelI14__hip_bfloat16S0_LN4vllm18Fp8KVCacheDataTypeE0ES0_Li16ELi64ELi256ELb1ELi9EL8MFMAType0EEvPKT_PKT0_S9_ifPKiSB_SB_iPKfiiiPfSE_PS4_PT2_iSD_SD_: ; @_Z39paged_attention_ll4mi_QKV_mfma16_kernelI14__hip_bfloat16S0_LN4vllm18Fp8KVCacheDataTypeE0ES0_Li16ELi64ELi256ELb1ELi9EL8MFMAType0EEvPKT_PKT0_S9_ifPKiSB_SB_iPKfiiiPfSE_PS4_PT2_iSD_SD_
; %bb.0:
	s_load_dwordx2 s[0:1], s[4:5], 0x30
	s_mov_b32 s28, s7
	s_mov_b64 s[10:11], 0
	s_waitcnt lgkmcnt(0)
	s_cmp_lg_u64 s[0:1], 0
	s_cselect_b64 s[2:3], -1, 0
	s_and_b64 vcc, exec, s[2:3]
	s_cbranch_vccz .LBB200_7
; %bb.1:
	s_add_i32 s12, s6, 1
	s_mov_b32 s13, 0
	s_lshl_b64 s[14:15], s[12:13], 2
	s_add_u32 s14, s0, s14
	s_mov_b32 s7, s13
	s_addc_u32 s15, s1, s15
	s_lshl_b64 s[12:13], s[6:7], 2
	s_add_u32 s12, s0, s12
	s_addc_u32 s13, s1, s13
	s_load_dword s9, s[14:15], 0x0
	s_load_dword s16, s[12:13], 0x0
	s_waitcnt lgkmcnt(0)
	s_sub_i32 s9, s9, s16
	s_cmp_eq_u32 s9, 1
	s_cselect_b64 s[12:13], -1, 0
	s_andn2_b64 vcc, exec, s[10:11]
	s_cbranch_vccnz .LBB200_3
.LBB200_2:
	s_mov_b32 s7, 0
	s_mov_b64 s[12:13], -1
.LBB200_3:
	s_andn2_b64 vcc, exec, s[12:13]
	s_cbranch_vccnz .LBB200_20
; %bb.4:
	s_load_dwordx2 s[12:13], s[4:5], 0x28
	s_lshl_b64 s[10:11], s[6:7], 2
	s_waitcnt lgkmcnt(0)
	s_add_u32 s12, s12, s10
	s_addc_u32 s13, s13, s11
	s_load_dword s33, s[12:13], 0x0
	s_lshl_b32 s14, s28, 8
	s_waitcnt lgkmcnt(0)
	s_cmp_ge_i32 s14, s33
	s_cbranch_scc1 .LBB200_20
; %bb.5:
	s_add_i32 s15, s33, 15
	s_load_dwordx2 s[12:13], s[4:5], 0x20
	s_load_dword s9, s[4:5], 0x38
	s_ashr_i32 s16, s15, 31
	v_and_b32_e32 v1, 0xcf, v0
	s_lshr_b32 s16, s16, 28
	v_add_u32_e32 v1, s14, v1
	s_add_i32 s15, s15, s16
	v_ashrrev_i32_e32 v2, 31, v1
	s_ashr_i32 s17, s15, 4
	v_lshrrev_b32_e32 v4, 28, v2
	s_add_i32 s17, s17, -1
	v_add_u32_e32 v2, v1, v4
	s_waitcnt lgkmcnt(0)
	s_mul_i32 s18, s6, s9
	s_mov_b32 s19, 0
	v_ashrrev_i32_e32 v2, 4, v2
	v_mov_b32_e32 v5, s17
	v_cmp_gt_i32_e32 vcc, s33, v1
	s_lshl_b64 s[18:19], s[18:19], 2
	v_cndmask_b32_e32 v2, v5, v2, vcc
	s_add_u32 s15, s12, s18
	v_ashrrev_i32_e32 v3, 31, v2
	s_addc_u32 s16, s13, s19
	v_lshlrev_b64 v[2:3], 2, v[2:3]
	v_mov_b32_e32 v7, s16
	v_add_co_u32_e32 v6, vcc, s15, v2
	v_or_b32_e32 v2, 16, v1
	v_addc_co_u32_e32 v7, vcc, v7, v3, vcc
	v_add_u32_e32 v3, v2, v4
	v_ashrrev_i32_e32 v3, 4, v3
	v_cmp_gt_i32_e32 vcc, s33, v2
	v_cndmask_b32_e32 v2, v5, v3, vcc
	v_ashrrev_i32_e32 v3, 31, v2
	v_lshlrev_b64 v[2:3], 2, v[2:3]
	v_mov_b32_e32 v9, s16
	v_add_co_u32_e32 v8, vcc, s15, v2
	v_or_b32_e32 v2, 32, v1
	v_addc_co_u32_e32 v9, vcc, v9, v3, vcc
	v_add_u32_e32 v3, v2, v4
	v_ashrrev_i32_e32 v3, 4, v3
	v_cmp_gt_i32_e32 vcc, s33, v2
	v_cndmask_b32_e32 v2, v5, v3, vcc
	v_ashrrev_i32_e32 v3, 31, v2
	;; [unrolled: 10-line block ×3, first 2 shown]
	v_lshlrev_b64 v[2:3], 2, v[2:3]
	v_mov_b32_e32 v1, s16
	v_add_co_u32_e32 v12, vcc, s15, v2
	v_addc_co_u32_e32 v13, vcc, v1, v3, vcc
	global_load_dword v5, v[6:7], off
	global_load_dword v4, v[8:9], off
	global_load_dword v3, v[10:11], off
	global_load_dword v2, v[12:13], off
	s_load_dwordx2 s[12:13], s[4:5], 0x8
	s_andn2_b64 vcc, exec, s[2:3]
	s_cbranch_vccnz .LBB200_8
; %bb.6:
	s_add_u32 s0, s0, s10
	s_addc_u32 s1, s1, s11
	s_load_dword s9, s[0:1], 0x0
	s_branch .LBB200_9
.LBB200_7:
	s_mov_b64 s[12:13], 0
	s_branch .LBB200_2
.LBB200_8:
	s_mov_b32 s9, s6
.LBB200_9:
	s_load_dwordx2 s[2:3], s[4:5], 0x10
	s_load_dwordx4 s[44:47], s[4:5], 0x48
	v_lshrrev_b32_e32 v53, 6, v0
	v_bfe_u32 v1, v0, 4, 2
	v_lshl_or_b32 v6, v53, 2, v1
	v_and_b32_e32 v52, 15, v0
	v_lshlrev_b32_e32 v7, 3, v52
	v_cmp_gt_u32_e32 vcc, 9, v6
	v_cmp_gt_u32_e64 s[0:1], 8, v52
	s_mul_i32 s29, s8, 9
	s_and_b64 s[18:19], s[0:1], vcc
	v_lshlrev_b32_e32 v50, 1, v7
	s_and_saveexec_b64 s[10:11], s[18:19]
	s_cbranch_execz .LBB200_11
; %bb.10:
	s_load_dwordx2 s[18:19], s[4:5], 0x0
	s_waitcnt lgkmcnt(0)
	s_ashr_i32 s20, s44, 31
	s_mul_hi_u32 s21, s9, s44
	s_mul_i32 s20, s9, s20
	s_add_i32 s21, s21, s20
	s_mul_i32 s20, s9, s44
	s_lshl_b64 s[20:21], s[20:21], 1
	v_add_lshl_u32 v8, v6, s29, 6
	s_add_u32 s9, s18, s20
	v_ashrrev_i32_e32 v9, 31, v8
	s_addc_u32 s18, s19, s21
	v_lshlrev_b64 v[8:9], 1, v[8:9]
	v_mov_b32_e32 v7, s18
	v_add_co_u32_e32 v8, vcc, s9, v8
	v_addc_co_u32_e32 v7, vcc, v7, v9, vcc
	v_add_co_u32_e32 v8, vcc, v8, v50
	v_addc_co_u32_e32 v9, vcc, 0, v7, vcc
	global_load_dwordx4 v[8:11], v[8:9], off
	v_and_b32_e32 v7, 3, v0
	v_lshlrev_b32_e32 v12, 9, v52
	v_lshlrev_b32_e32 v6, 5, v6
	;; [unrolled: 1-line block ×3, first 2 shown]
	v_and_b32_e32 v12, 0x1800, v12
	v_or3_b32 v6, v12, v7, v6
	s_waitcnt vmcnt(0)
	ds_write_b128 v6, v[8:11]
.LBB200_11:
	s_or_b64 exec, exec, s[10:11]
	s_waitcnt lgkmcnt(0)
	s_mul_i32 s8, s8, s46
	s_mov_b32 s9, 0
	s_lshl_b64 s[8:9], s[8:9], 1
	s_add_u32 s10, s12, s8
	v_lshlrev_b32_e32 v51, 4, v0
	s_addc_u32 s11, s13, s9
	v_and_b32_e32 v6, 0xf0, v51
	v_mov_b32_e32 v7, s11
	v_add_co_u32_e32 v18, vcc, s10, v6
	v_addc_co_u32_e32 v19, vcc, 0, v7, vcc
	s_waitcnt vmcnt(3)
	v_mad_i64_i32 v[6:7], s[10:11], v5, s45, 0
	v_lshlrev_b64 v[6:7], 1, v[6:7]
	v_add_co_u32_e32 v5, vcc, v18, v6
	v_addc_co_u32_e32 v7, vcc, v19, v7, vcc
	v_and_b32_e32 v20, 0x300, v51
	v_add_co_u32_e32 v6, vcc, v5, v20
	s_waitcnt vmcnt(2)
	v_mad_i64_i32 v[4:5], s[10:11], v4, s45, 0
	v_addc_co_u32_e32 v7, vcc, 0, v7, vcc
	v_lshlrev_b64 v[4:5], 1, v[4:5]
	v_add_co_u32_e32 v4, vcc, v18, v4
	v_addc_co_u32_e32 v5, vcc, v19, v5, vcc
	v_add_co_u32_e32 v4, vcc, v4, v20
	v_addc_co_u32_e32 v5, vcc, 0, v5, vcc
	s_barrier
	global_load_dwordx4 v[38:41], v[6:7], off
	global_load_dwordx4 v[34:37], v[6:7], off offset:1024
	global_load_dwordx4 v[30:33], v[4:5], off
	global_load_dwordx4 v[14:17], v[4:5], off offset:1024
	s_waitcnt vmcnt(5)
	v_mad_i64_i32 v[4:5], s[10:11], v3, s45, 0
	v_lshlrev_b64 v[4:5], 1, v[4:5]
	v_add_co_u32_e32 v3, vcc, v18, v4
	v_addc_co_u32_e32 v5, vcc, v19, v5, vcc
	v_add_co_u32_e32 v4, vcc, v3, v20
	s_waitcnt vmcnt(4)
	v_mad_i64_i32 v[2:3], s[10:11], v2, s45, 0
	v_addc_co_u32_e32 v5, vcc, 0, v5, vcc
	v_lshlrev_b64 v[2:3], 1, v[2:3]
	v_add_co_u32_e32 v2, vcc, v18, v2
	v_addc_co_u32_e32 v3, vcc, v19, v3, vcc
	v_add_co_u32_e32 v22, vcc, v2, v20
	v_addc_co_u32_e32 v23, vcc, 0, v3, vcc
	global_load_dwordx4 v[10:13], v[4:5], off
	global_load_dwordx4 v[6:9], v[4:5], off offset:1024
	s_nop 0
	global_load_dwordx4 v[2:5], v[22:23], off
	global_load_dwordx4 v[18:21], v[22:23], off offset:1024
	v_add_u32_e32 v22, -9, v52
	v_cmp_gt_u32_e32 vcc, 9, v52
	v_cndmask_b32_e32 v22, v22, v52, vcc
	v_lshlrev_b32_e32 v22, 5, v22
	v_lshl_add_u32 v22, v1, 9, v22
	ds_read_b128 v[26:29], v22
	ds_read_b128 v[22:25], v22 offset:2048
	v_and_b32_e32 v54, 63, v0
	v_mov_b32_e32 v48, 0
	s_and_saveexec_b64 s[10:11], vcc
	s_cbranch_execz .LBB200_13
; %bb.12:
	s_load_dwordx2 s[12:13], s[4:5], 0x40
	v_add_u32_e32 v42, s29, v52
	v_ashrrev_i32_e32 v43, 31, v42
	v_lshlrev_b64 v[42:43], 2, v[42:43]
	s_waitcnt lgkmcnt(0)
	v_mov_b32_e32 v44, s13
	v_add_co_u32_e32 v42, vcc, s12, v42
	v_addc_co_u32_e32 v43, vcc, v44, v43, vcc
	global_load_dword v48, v[42:43], off
.LBB200_13:
	s_or_b64 exec, exec, s[10:11]
	s_waitcnt vmcnt(7) lgkmcnt(1)
	v_mfma_f32_16x16x16bf16_1k v[42:45], v[38:39], v[26:27], 0
	s_add_u32 s2, s2, s8
	v_lshlrev_b32_e32 v55, 5, v52
	s_addc_u32 s3, s3, s9
	s_load_dword s10, s[4:5], 0x1c
	s_mov_b32 s42, 0xff7fffff
	v_mfma_f32_16x16x16bf16_1k v[38:41], v[40:41], v[28:29], v[42:45]
	s_waitcnt vmcnt(6) lgkmcnt(0)
	v_mfma_f32_16x16x16bf16_1k v[38:41], v[34:35], v[22:23], v[38:41]
	s_nop 4
	v_and_or_b32 v44, v0, 48, s14
	v_mov_b32_e32 v45, s17
	v_cmp_gt_i32_e32 vcc, s33, v44
	v_mfma_f32_16x16x16bf16_1k v[34:37], v[36:37], v[24:25], v[38:41]
	s_nop 6
	v_ashrrev_i32_e32 v38, 4, v44
	v_cndmask_b32_e32 v42, v45, v38, vcc
	v_ashrrev_i32_e32 v43, 31, v42
	s_waitcnt vmcnt(5)
	v_mfma_f32_16x16x16bf16_1k v[38:41], v[30:31], v[26:27], 0
	v_lshlrev_b64 v[30:31], 2, v[42:43]
	v_mov_b32_e32 v42, s16
	v_add_co_u32_e32 v30, vcc, s15, v30
	v_addc_co_u32_e32 v31, vcc, v42, v31, vcc
	global_load_dword v42, v[30:31], off
	v_mfma_f32_16x16x16bf16_1k v[30:33], v[32:33], v[28:29], v[38:41]
	v_pk_mul_f32 v[46:47], s[10:11], v[36:37] op_sel_hi:[0,1]
	s_nop 5
	v_or_b32_e32 v38, 64, v44
	v_ashrrev_i32_e32 v39, 4, v38
	v_cmp_gt_i32_e32 vcc, s33, v38
	v_cndmask_b32_e32 v38, v45, v39, vcc
	v_ashrrev_i32_e32 v39, 31, v38
	v_lshlrev_b64 v[38:39], 2, v[38:39]
	s_waitcnt vmcnt(5)
	v_mfma_f32_16x16x16bf16_1k v[30:33], v[14:15], v[22:23], v[30:33]
	v_mov_b32_e32 v40, s16
	v_add_co_u32_e32 v14, vcc, s15, v38
	v_addc_co_u32_e32 v15, vcc, v40, v39, vcc
	global_load_dword v40, v[14:15], off
	v_or_b32_e32 v14, 0x80, v44
	v_ashrrev_i32_e32 v15, 4, v14
	v_cmp_gt_i32_e32 vcc, s33, v14
	v_cndmask_b32_e32 v14, v45, v15, vcc
	v_ashrrev_i32_e32 v15, 31, v14
	v_lshlrev_b64 v[14:15], 2, v[14:15]
	v_mfma_f32_16x16x16bf16_1k v[30:33], v[16:17], v[24:25], v[30:33]
	v_mov_b32_e32 v16, s16
	v_add_co_u32_e32 v38, vcc, s15, v14
	v_addc_co_u32_e32 v39, vcc, v16, v15, vcc
	global_load_dword v38, v[38:39], off
	s_waitcnt vmcnt(6)
	v_mfma_f32_16x16x16bf16_1k v[14:17], v[10:11], v[26:27], 0
	v_mfma_f32_16x16x16bf16_1k v[10:13], v[12:13], v[28:29], v[14:17]
	s_nop 7
	s_nop 1
	v_or_b32_e32 v14, 0xc0, v44
	v_ashrrev_i32_e32 v15, 4, v14
	v_cmp_gt_i32_e32 vcc, s33, v14
	v_cndmask_b32_e32 v14, v45, v15, vcc
	s_waitcnt vmcnt(5)
	v_mfma_f32_16x16x16bf16_1k v[10:13], v[6:7], v[22:23], v[10:13]
	v_ashrrev_i32_e32 v15, 31, v14
	v_lshlrev_b64 v[14:15], 2, v[14:15]
	v_mov_b32_e32 v16, s16
	v_add_co_u32_e32 v6, vcc, s15, v14
	v_addc_co_u32_e32 v7, vcc, v16, v15, vcc
	global_load_dword v49, v[6:7], off
	v_lshl_or_b32 v6, v53, 9, v55
	v_mov_b32_e32 v7, s3
	v_add_co_u32_e32 v60, vcc, s2, v6
	v_addc_co_u32_e32 v61, vcc, 0, v7, vcc
	v_mfma_f32_16x16x16bf16_1k v[56:59], v[8:9], v[24:25], v[10:13]
	v_pk_mul_f32 v[44:45], s[10:11], v[30:31] op_sel_hi:[0,1]
	s_waitcnt vmcnt(3)
	v_mad_i64_i32 v[6:7], s[2:3], v42, s45, 0
	s_nop 3
	v_lshlrev_b64 v[10:11], 1, v[6:7]
	v_mfma_f32_16x16x16bf16_1k v[6:9], v[2:3], v[26:27], 0
	v_add_co_u32_e32 v2, vcc, v60, v10
	v_addc_co_u32_e32 v3, vcc, v61, v11, vcc
	global_load_dwordx4 v[14:17], v[2:3], off
	global_load_dwordx4 v[10:13], v[2:3], off offset:16
	v_pk_mul_f32 v[42:43], s[10:11], v[32:33] op_sel_hi:[0,1]
	s_waitcnt vmcnt(4)
	v_mad_i64_i32 v[2:3], s[2:3], v40, s45, 0
	v_mfma_f32_16x16x16bf16_1k v[26:29], v[4:5], v[28:29], v[6:9]
	v_lshlrev_b64 v[2:3], 1, v[2:3]
	v_add_co_u32_e32 v2, vcc, v60, v2
	v_addc_co_u32_e32 v3, vcc, v61, v3, vcc
	v_pk_mul_f32 v[40:41], s[10:11], v[56:57] op_sel_hi:[0,1]
	s_nop 2
	global_load_dwordx4 v[6:9], v[2:3], off
	s_nop 0
	global_load_dwordx4 v[2:5], v[2:3], off offset:16
	v_mfma_f32_16x16x16bf16_1k v[26:29], v[18:19], v[22:23], v[26:29]
	v_pk_mul_f32 v[18:19], s[10:11], v[34:35] op_sel_hi:[0,1]
	s_waitcnt vmcnt(5)
	v_mad_i64_i32 v[38:39], s[2:3], v38, s45, 0
	v_lshlrev_b64 v[38:39], 1, v[38:39]
	v_add_co_u32_e32 v22, vcc, v60, v38
	v_mfma_f32_16x16x16bf16_1k v[24:27], v[20:21], v[24:25], v[26:29]
	v_and_b32_e32 v20, 0xc0, v0
	v_add_u32_e32 v20, s14, v20
	v_lshl_or_b32 v20, v1, 2, v20
	v_or_b32_e32 v21, 1, v20
	v_addc_co_u32_e32 v23, vcc, v61, v39, vcc
	v_pk_mul_f32 v[38:39], s[10:11], v[58:59] op_sel_hi:[0,1]
	s_nop 4
	v_pk_mul_f32 v[36:37], s[10:11], v[24:25] op_sel_hi:[0,1]
	v_subrev_u32_e32 v24, s33, v21
	v_pk_mul_f32 v[34:35], s[10:11], v[26:27] op_sel_hi:[0,1]
	v_add_u32_e32 v26, 1, v24
	v_add_u32_e32 v27, 2, v24
	v_cvt_f32_i32_e32 v25, v24
	v_cvt_f32_i32_e32 v26, v26
	;; [unrolled: 1-line block ×3, first 2 shown]
	v_add_u32_e32 v28, 3, v24
	v_fma_f32 v18, v48, v25, v18
	v_fmac_f32_e32 v19, v48, v26
	v_fma_f32 v46, v48, v27, v46
	v_add_u32_e32 v25, 16, v24
	v_add_u32_e32 v26, 17, v24
	;; [unrolled: 1-line block ×3, first 2 shown]
	v_cvt_f32_i32_e32 v28, v28
	v_cvt_f32_i32_e32 v25, v25
	;; [unrolled: 1-line block ×4, first 2 shown]
	v_fmac_f32_e32 v47, v48, v28
	v_add_u32_e32 v28, 19, v24
	v_fma_f32 v44, v48, v25, v44
	v_fmac_f32_e32 v45, v48, v26
	v_fma_f32 v42, v48, v27, v42
	v_add_u32_e32 v25, 32, v24
	v_add_u32_e32 v26, 33, v24
	;; [unrolled: 1-line block ×3, first 2 shown]
	v_cvt_f32_i32_e32 v28, v28
	v_cvt_f32_i32_e32 v25, v25
	;; [unrolled: 1-line block ×4, first 2 shown]
	v_fmac_f32_e32 v43, v48, v28
	v_add_u32_e32 v28, 35, v24
	v_fma_f32 v40, v48, v25, v40
	v_fmac_f32_e32 v41, v48, v26
	v_fma_f32 v38, v48, v27, v38
	v_add_u32_e32 v25, 48, v24
	v_add_u32_e32 v26, 49, v24
	;; [unrolled: 1-line block ×4, first 2 shown]
	v_cvt_f32_i32_e32 v24, v24
	v_cvt_f32_i32_e32 v25, v25
	;; [unrolled: 1-line block ×3, first 2 shown]
	v_cmp_gt_i32_e64 s[30:31], s33, v20
	v_fmac_f32_e32 v35, v48, v24
	v_mov_b32_e32 v24, 0xff7fffff
	v_cmp_gt_i32_e64 s[34:35], s33, v21
	v_fma_f32 v36, v48, v25, v36
	v_cndmask_b32_e64 v25, v24, v18, s[30:31]
	v_cndmask_b32_e64 v21, v24, v19, s[34:35]
	v_fmac_f32_e32 v37, v48, v26
	v_max3_f32 v21, v25, s42, v21
	v_or_b32_e32 v25, 2, v20
	v_or_b32_e32 v26, 3, v20
	v_cmp_gt_i32_e64 s[36:37], s33, v25
	v_cmp_gt_i32_e64 s[38:39], s33, v26
	v_cndmask_b32_e64 v25, v24, v46, s[36:37]
	v_cndmask_b32_e64 v26, v24, v47, s[38:39]
	v_max3_f32 v21, v21, v25, v26
	v_or_b32_e32 v25, 16, v20
	v_or_b32_e32 v26, 17, v20
	v_cmp_gt_i32_e64 s[24:25], s33, v25
	v_cmp_gt_i32_e64 s[26:27], s33, v26
	v_cndmask_b32_e64 v25, v24, v44, s[24:25]
	v_cndmask_b32_e64 v26, v24, v45, s[26:27]
	;; [unrolled: 7-line block ×3, first 2 shown]
	v_cvt_f32_i32_e32 v28, v28
	v_max3_f32 v21, v21, v25, v26
	v_or_b32_e32 v25, 32, v20
	v_or_b32_e32 v26, 33, v20
	v_cmp_gt_i32_e64 s[16:17], s33, v25
	v_cmp_gt_i32_e64 s[18:19], s33, v26
	v_cndmask_b32_e64 v25, v24, v40, s[16:17]
	v_cndmask_b32_e64 v26, v24, v41, s[18:19]
	v_max3_f32 v21, v21, v25, v26
	v_or_b32_e32 v25, 34, v20
	v_or_b32_e32 v26, 35, v20
	v_fmac_f32_e32 v39, v48, v28
	v_cmp_gt_i32_e64 s[12:13], s33, v25
	v_cmp_gt_i32_e64 s[14:15], s33, v26
	v_cndmask_b32_e64 v25, v24, v38, s[12:13]
	v_cndmask_b32_e64 v26, v24, v39, s[14:15]
	v_cvt_f32_i32_e32 v27, v27
	v_max3_f32 v21, v21, v25, v26
	v_or_b32_e32 v25, 48, v20
	v_or_b32_e32 v26, 49, v20
	v_cmp_gt_i32_e64 s[8:9], s33, v25
	v_cmp_gt_i32_e64 s[10:11], s33, v26
	v_cndmask_b32_e64 v25, v24, v36, s[8:9]
	v_cndmask_b32_e64 v26, v24, v37, s[10:11]
	v_max3_f32 v21, v21, v25, v26
	v_or_b32_e32 v25, 50, v20
	v_or_b32_e32 v20, 51, v20
	v_fma_f32 v34, v48, v27, v34
	v_cmp_gt_i32_e32 vcc, s33, v25
	v_cmp_gt_i32_e64 s[2:3], s33, v20
	v_cndmask_b32_e32 v25, v24, v34, vcc
	v_cndmask_b32_e64 v20, v24, v35, s[2:3]
	v_max3_f32 v26, v21, v25, v20
	v_mbcnt_lo_u32_b32 v20, -1, 0
	v_mbcnt_hi_u32_b32 v27, -1, v20
	v_and_b32_e32 v20, 64, v27
	v_add_u32_e32 v28, 64, v20
	v_xor_b32_e32 v20, 32, v27
	v_cmp_lt_i32_e64 s[40:41], v20, v28
	v_cndmask_b32_e64 v20, v27, v20, s[40:41]
	v_lshlrev_b32_e32 v57, 2, v20
	ds_bpermute_b32 v29, v57, v26
	s_waitcnt vmcnt(4)
	v_mad_i64_i32 v[20:21], s[40:41], v49, s45, 0
	v_lshlrev_b64 v[20:21], 1, v[20:21]
	global_load_dwordx4 v[30:33], v[22:23], off
	s_nop 0
	global_load_dwordx4 v[22:25], v[22:23], off offset:16
	s_waitcnt lgkmcnt(0)
	v_max_f32_e32 v29, v29, v29
	v_max_f32_e32 v26, v26, v29
	v_xor_b32_e32 v29, 16, v27
	v_cmp_lt_i32_e64 s[40:41], v29, v28
	v_cndmask_b32_e64 v27, v27, v29, s[40:41]
	v_lshlrev_b32_e32 v59, 2, v27
	ds_bpermute_b32 v27, v59, v26
	v_add_co_u32_e64 v20, s[40:41], v60, v20
	v_addc_co_u32_e64 v21, s[40:41], v61, v21, s[40:41]
	s_waitcnt lgkmcnt(0)
	v_max_f32_e32 v27, v27, v27
	v_max_f32_e32 v56, v26, v27
	v_sub_f32_e32 v18, v18, v56
	v_mul_f32_e32 v18, 0x3fb8aa3b, v18
	v_exp_f32_e32 v48, v18
	v_sub_f32_e32 v18, v19, v56
	v_mul_f32_e32 v18, 0x3fb8aa3b, v18
	v_exp_f32_e32 v49, v18
	global_load_dwordx4 v[26:29], v[20:21], off
	s_nop 0
	global_load_dwordx4 v[18:21], v[20:21], off offset:16
	v_sub_f32_e32 v46, v46, v56
	v_mul_f32_e32 v46, 0x3fb8aa3b, v46
	v_sub_f32_e32 v47, v47, v56
	v_exp_f32_e32 v46, v46
	v_mul_f32_e32 v47, 0x3fb8aa3b, v47
	v_sub_f32_e32 v44, v44, v56
	v_exp_f32_e32 v47, v47
	v_mul_f32_e32 v44, 0x3fb8aa3b, v44
	v_sub_f32_e32 v45, v45, v56
	v_cndmask_b32_e64 v48, 0, v48, s[30:31]
	v_exp_f32_e32 v44, v44
	v_mul_f32_e32 v45, 0x3fb8aa3b, v45
	v_sub_f32_e32 v42, v42, v56
	v_add_f32_e32 v58, 0, v48
	v_cndmask_b32_e64 v49, 0, v49, s[34:35]
	v_exp_f32_e32 v45, v45
	v_mul_f32_e32 v42, 0x3fb8aa3b, v42
	v_sub_f32_e32 v43, v43, v56
	v_add_f32_e32 v58, v58, v49
	v_cndmask_b32_e64 v46, 0, v46, s[36:37]
	v_exp_f32_e32 v42, v42
	v_mul_f32_e32 v43, 0x3fb8aa3b, v43
	v_sub_f32_e32 v40, v40, v56
	v_add_f32_e32 v58, v58, v46
	v_cndmask_b32_e64 v47, 0, v47, s[38:39]
	v_exp_f32_e32 v43, v43
	v_mul_f32_e32 v40, 0x3fb8aa3b, v40
	v_sub_f32_e32 v41, v41, v56
	v_add_f32_e32 v58, v58, v47
	v_cndmask_b32_e64 v44, 0, v44, s[24:25]
	v_exp_f32_e32 v40, v40
	v_mul_f32_e32 v41, 0x3fb8aa3b, v41
	v_sub_f32_e32 v38, v38, v56
	v_add_f32_e32 v58, v58, v44
	v_cndmask_b32_e64 v45, 0, v45, s[26:27]
	v_exp_f32_e32 v41, v41
	v_mul_f32_e32 v38, 0x3fb8aa3b, v38
	v_sub_f32_e32 v39, v39, v56
	v_add_f32_e32 v58, v58, v45
	v_cndmask_b32_e64 v42, 0, v42, s[20:21]
	v_exp_f32_e32 v38, v38
	v_mul_f32_e32 v39, 0x3fb8aa3b, v39
	v_sub_f32_e32 v36, v36, v56
	v_add_f32_e32 v58, v58, v42
	v_cndmask_b32_e64 v43, 0, v43, s[22:23]
	v_exp_f32_e32 v39, v39
	v_mul_f32_e32 v36, 0x3fb8aa3b, v36
	v_sub_f32_e32 v37, v37, v56
	v_add_f32_e32 v58, v58, v43
	v_cndmask_b32_e64 v40, 0, v40, s[16:17]
	v_exp_f32_e32 v36, v36
	v_mul_f32_e32 v37, 0x3fb8aa3b, v37
	v_sub_f32_e32 v34, v34, v56
	v_add_f32_e32 v58, v58, v40
	v_cndmask_b32_e64 v41, 0, v41, s[18:19]
	v_exp_f32_e32 v37, v37
	v_mul_f32_e32 v34, 0x3fb8aa3b, v34
	v_sub_f32_e32 v35, v35, v56
	v_add_f32_e32 v58, v58, v41
	v_cndmask_b32_e64 v38, 0, v38, s[12:13]
	v_exp_f32_e32 v34, v34
	v_mul_f32_e32 v35, 0x3fb8aa3b, v35
	v_add_f32_e32 v58, v58, v38
	v_cndmask_b32_e64 v39, 0, v39, s[14:15]
	v_exp_f32_e32 v35, v35
	v_add_f32_e32 v58, v58, v39
	v_cndmask_b32_e64 v36, 0, v36, s[8:9]
	v_add_f32_e32 v58, v58, v36
	v_cndmask_b32_e64 v37, 0, v37, s[10:11]
	v_add_f32_e32 v58, v58, v37
	v_cndmask_b32_e32 v34, 0, v34, vcc
	v_add_f32_e32 v58, v58, v34
	v_cndmask_b32_e64 v35, 0, v35, s[2:3]
	v_add_f32_e32 v58, v58, v35
	ds_bpermute_b32 v57, v57, v58
	s_load_dword s11, s[4:5], 0x98
	v_cmp_gt_u32_e64 s[2:3], 16, v54
	s_waitcnt lgkmcnt(0)
	s_barrier
	v_add_f32_e32 v58, v58, v57
	ds_bpermute_b32 v59, v59, v58
	v_lshlrev_b32_e32 v57, 2, v52
	s_waitcnt lgkmcnt(0)
	s_and_saveexec_b64 s[8:9], s[2:3]
	s_cbranch_execz .LBB200_15
; %bb.14:
	v_add_f32_e32 v54, v58, v59
	v_lshl_or_b32 v58, v53, 6, v57
	ds_write2st64_b32 v58, v56, v54 offset1:1
.LBB200_15:
	s_or_b64 exec, exec, s[8:9]
	s_load_dword s10, s[4:5], 0x94
	s_waitcnt lgkmcnt(0)
	s_barrier
	ds_read2_b32 v[58:59], v57 offset1:16
	ds_read2_b32 v[60:61], v57 offset0:32 offset1:48
	ds_read2_b32 v[62:63], v57 offset0:64 offset1:80
	s_movk_i32 s12, 0x7fff
	s_mov_b32 s13, 0x7060302
	s_waitcnt lgkmcnt(2)
	v_max3_f32 v54, v58, s42, v59
	s_waitcnt lgkmcnt(1)
	v_max3_f32 v54, v54, v60, v61
	v_sub_f32_e32 v56, v58, v54
	v_mul_f32_e32 v56, 0x3fb8aa3b, v56
	v_exp_f32_e32 v64, v56
	v_sub_f32_e32 v56, v59, v54
	v_mul_f32_e32 v56, 0x3fb8aa3b, v56
	v_exp_f32_e32 v65, v56
	;; [unrolled: 3-line block ×3, first 2 shown]
	ds_read2_b32 v[58:59], v57 offset0:96 offset1:112
	v_sub_f32_e32 v56, v61, v54
	v_mul_f32_e32 v56, 0x3fb8aa3b, v56
	v_exp_f32_e32 v57, v56
	s_waitcnt lgkmcnt(1)
	v_fma_f32 v56, v64, v62, 0
	v_fmac_f32_e32 v56, v65, v63
	s_waitcnt lgkmcnt(0)
	v_fmac_f32_e32 v56, v60, v58
	v_fmac_f32_e32 v56, v57, v59
	v_add_f32_e32 v58, 0x358637bd, v56
	v_div_scale_f32 v59, s[8:9], v58, v58, 1.0
	v_rcp_f32_e32 v61, v59
	s_mul_i32 s11, s11, 9
	s_barrier
	v_fma_f32 v62, -v59, v61, 1.0
	v_fmac_f32_e32 v61, v62, v61
	v_div_scale_f32 v62, vcc, 1.0, v58, 1.0
	v_mul_f32_e32 v63, v62, v61
	v_fma_f32 v66, -v59, v63, v62
	v_fmac_f32_e32 v63, v66, v61
	v_fma_f32 v59, -v59, v63, v62
	v_div_fmas_f32 v59, v59, v61, v63
	v_cmp_eq_u32_e32 vcc, 1, v53
	v_div_fixup_f32 v58, v59, v58, 1.0
	v_cndmask_b32_e32 v59, v64, v65, vcc
	v_cmp_eq_u32_e32 vcc, 2, v53
	v_cndmask_b32_e32 v59, v59, v60, vcc
	v_cmp_eq_u32_e32 vcc, 3, v53
	v_cndmask_b32_e32 v57, v59, v57, vcc
	v_mul_f32_e32 v58, v57, v58
	v_pk_mul_f32 v[48:49], v[58:59], v[48:49] op_sel_hi:[0,1]
	v_pk_mul_f32 v[46:47], v[58:59], v[46:47] op_sel_hi:[0,1]
	v_bfe_u32 v57, v49, 16, 1
	v_bfe_u32 v59, v48, 16, 1
	v_add3_u32 v48, v48, v59, s12
	v_add3_u32 v49, v49, v57, s12
	v_perm_b32 v48, v49, v48, s13
	v_bfe_u32 v49, v47, 16, 1
	v_bfe_u32 v57, v46, 16, 1
	v_add3_u32 v46, v46, v57, s12
	v_add3_u32 v47, v47, v49, s12
	v_perm_b32 v49, v47, v46, s13
	v_lshlrev_b32_e32 v46, 3, v1
	v_lshlrev_b32_e32 v47, 11, v53
	v_pk_mul_f32 v[44:45], v[58:59], v[44:45] op_sel_hi:[0,1]
	v_or3_b32 v46, v47, v55, v46
	v_bfe_u32 v47, v45, 16, 1
	v_bfe_u32 v53, v44, 16, 1
	v_pk_mul_f32 v[42:43], v[58:59], v[42:43] op_sel_hi:[0,1]
	v_add3_u32 v44, v44, v53, s12
	v_add3_u32 v45, v45, v47, s12
	v_perm_b32 v44, v45, v44, s13
	v_bfe_u32 v45, v43, 16, 1
	v_bfe_u32 v47, v42, 16, 1
	v_add3_u32 v42, v42, v47, s12
	v_add3_u32 v43, v43, v45, s12
	v_pk_mul_f32 v[40:41], v[58:59], v[40:41] op_sel_hi:[0,1]
	v_perm_b32 v45, v43, v42, s13
	v_bfe_u32 v42, v41, 16, 1
	v_bfe_u32 v43, v40, 16, 1
	v_pk_mul_f32 v[38:39], v[58:59], v[38:39] op_sel_hi:[0,1]
	v_add3_u32 v40, v40, v43, s12
	v_add3_u32 v41, v41, v42, s12
	v_perm_b32 v40, v41, v40, s13
	v_bfe_u32 v41, v39, 16, 1
	v_bfe_u32 v42, v38, 16, 1
	v_add3_u32 v38, v38, v42, s12
	v_add3_u32 v39, v39, v41, s12
	v_pk_mul_f32 v[36:37], v[58:59], v[36:37] op_sel_hi:[0,1]
	v_perm_b32 v41, v39, v38, s13
	v_bfe_u32 v38, v37, 16, 1
	v_bfe_u32 v39, v36, 16, 1
	v_pk_mul_f32 v[34:35], v[58:59], v[34:35] op_sel_hi:[0,1]
	v_add3_u32 v36, v36, v39, s12
	v_add3_u32 v37, v37, v38, s12
	v_perm_b32 v36, v37, v36, s13
	v_bfe_u32 v37, v35, 16, 1
	v_bfe_u32 v38, v34, 16, 1
	v_add3_u32 v34, v34, v38, s12
	v_add3_u32 v35, v35, v37, s12
	v_perm_b32 v37, v35, v34, s13
	v_cmp_gt_u32_e32 vcc, 9, v0
	ds_write2st64_b64 v46, v[48:49], v[44:45] offset1:1
	ds_write2st64_b64 v46, v[40:41], v[36:37] offset0:2 offset1:3
	s_and_saveexec_b64 s[8:9], vcc
	s_cbranch_execz .LBB200_17
; %bb.16:
	v_add_co_u32_e32 v36, vcc, s29, v52
	v_addc_co_u32_e64 v37, s[14:15], 0, 0, vcc
	v_mov_b32_e32 v34, s11
	v_mov_b32_e32 v35, 0
	v_mad_u64_u32 v[36:37], s[14:15], s6, v34, v[36:37]
	v_mov_b32_e32 v34, s28
	s_load_dwordx4 s[16:19], s[4:5], 0x58
	s_mul_i32 s7, s7, s11
	v_mad_u64_u32 v[34:35], s[14:15], v36, s10, v[34:35]
	v_add_u32_e32 v37, s7, v37
	v_mov_b32_e32 v36, v35
	v_mad_u64_u32 v[36:37], s[14:15], v37, s10, v[36:37]
	v_mov_b32_e32 v35, v36
	v_lshlrev_b64 v[34:35], 2, v[34:35]
	s_waitcnt lgkmcnt(0)
	v_mov_b32_e32 v37, s19
	v_add_co_u32_e32 v36, vcc, s18, v34
	v_addc_co_u32_e32 v37, vcc, v37, v35, vcc
	global_store_dword v[36:37], v54, off
	v_mov_b32_e32 v36, s17
	v_add_co_u32_e32 v34, vcc, s16, v34
	v_addc_co_u32_e32 v35, vcc, v36, v35, vcc
	global_store_dword v[34:35], v56, off
.LBB200_17:
	s_or_b64 exec, exec, s[8:9]
	v_lshl_or_b32 v47, v1, 9, v55
	s_waitcnt lgkmcnt(0)
	s_barrier
	ds_read_b128 v[34:37], v47
	ds_read_b128 v[38:41], v47 offset:16
	s_waitcnt vmcnt(7) lgkmcnt(1)
	v_mfma_f32_16x16x16bf16_1k v[42:45], v[14:15], v[34:35], 0
	v_cmp_gt_u32_e32 vcc, 64, v0
	s_mov_b32 s7, 0
	s_and_b64 s[0:1], vcc, s[0:1]
	v_mfma_f32_16x16x16bf16_1k v[14:17], v[16:17], v[36:37], v[42:45]
	s_waitcnt vmcnt(6) lgkmcnt(0)
	v_mfma_f32_16x16x16bf16_1k v[14:17], v[10:11], v[38:39], v[14:17]
	v_mfma_f32_16x16x16bf16_1k v[10:13], v[12:13], v[40:41], v[14:17]
	s_nop 7
	s_nop 1
	ds_read_b128 v[14:17], v47 offset:2048
	ds_read_b128 v[34:37], v47 offset:2064
	s_waitcnt vmcnt(5) lgkmcnt(1)
	v_mfma_f32_16x16x16bf16_1k v[10:13], v[6:7], v[14:15], v[10:13]
	v_mfma_f32_16x16x16bf16_1k v[6:9], v[8:9], v[16:17], v[10:13]
	s_waitcnt vmcnt(4) lgkmcnt(0)
	v_mfma_f32_16x16x16bf16_1k v[6:9], v[2:3], v[34:35], v[6:9]
	v_mfma_f32_16x16x16bf16_1k v[2:5], v[4:5], v[36:37], v[6:9]
	s_nop 7
	s_nop 1
	ds_read_b128 v[6:9], v47 offset:4096
	ds_read_b128 v[10:13], v47 offset:4112
	s_waitcnt vmcnt(3) lgkmcnt(1)
	v_mfma_f32_16x16x16bf16_1k v[2:5], v[30:31], v[6:7], v[2:5]
	v_mfma_f32_16x16x16bf16_1k v[2:5], v[32:33], v[8:9], v[2:5]
	s_waitcnt vmcnt(2) lgkmcnt(0)
	v_mfma_f32_16x16x16bf16_1k v[2:5], v[22:23], v[10:11], v[2:5]
	v_mfma_f32_16x16x16bf16_1k v[2:5], v[24:25], v[12:13], v[2:5]
	ds_read_b128 v[6:9], v47 offset:6144
	ds_read_b128 v[10:13], v47 offset:6160
	s_waitcnt lgkmcnt(0)
	s_barrier
	s_waitcnt vmcnt(1)
	v_mfma_f32_16x16x16bf16_1k v[2:5], v[26:27], v[6:7], v[2:5]
	v_mfma_f32_16x16x16bf16_1k v[2:5], v[28:29], v[8:9], v[2:5]
	s_waitcnt vmcnt(0)
	v_mfma_f32_16x16x16bf16_1k v[2:5], v[18:19], v[10:11], v[2:5]
	v_mfma_f32_16x16x16bf16_1k v[2:5], v[20:21], v[12:13], v[2:5]
	s_nop 7
	s_nop 2
	v_bfe_u32 v6, v3, 16, 1
	v_bfe_u32 v7, v2, 16, 1
	;; [unrolled: 1-line block ×4, first 2 shown]
	v_add3_u32 v2, v2, v7, s12
	v_add3_u32 v3, v3, v6, s12
	;; [unrolled: 1-line block ×4, first 2 shown]
	v_perm_b32 v2, v3, v2, s13
	v_perm_b32 v3, v5, v4, s13
	ds_write_b64 v46, v[2:3]
	s_waitcnt lgkmcnt(0)
	s_barrier
	s_and_saveexec_b64 s[8:9], s[0:1]
	s_cbranch_execz .LBB200_20
; %bb.18:
	s_load_dwordx2 s[4:5], s[4:5], 0x68
	s_lshl_b32 s0, s10, 6
	s_mul_i32 s1, s11, s6
	s_mul_hi_u32 s9, s1, s0
	s_mul_i32 s8, s1, s0
	s_lshl_b64 s[8:9], s[8:9], 1
	s_waitcnt lgkmcnt(0)
	s_add_u32 s1, s4, s8
	v_lshlrev_b32_e32 v0, 10, v0
	s_addc_u32 s8, s5, s9
	s_lshl_b32 s6, s28, 6
	v_and_b32_e32 v0, 0x1800, v0
	v_lshlrev_b32_e32 v2, 5, v1
	v_and_b32_e32 v3, 16, v51
	s_lshl_b64 s[4:5], s[6:7], 1
	v_or3_b32 v0, v0, v2, v3
	s_add_u32 s1, s1, s4
	s_addc_u32 s4, s8, s5
	ds_read_b128 v[4:7], v0 offset:128
	ds_read_b128 v[8:11], v0
	v_add_u32_e32 v14, s29, v1
	v_mov_b32_e32 v3, s4
	v_add_co_u32_e32 v2, vcc, s1, v50
	v_mad_u64_u32 v[12:13], s[4:5], v14, s0, 0
	v_addc_co_u32_e32 v3, vcc, 0, v3, vcc
	v_lshlrev_b64 v[12:13], 1, v[12:13]
	v_add_co_u32_e32 v12, vcc, v2, v12
	v_addc_co_u32_e32 v13, vcc, v3, v13, vcc
	s_waitcnt lgkmcnt(0)
	global_store_dwordx4 v[12:13], v[8:11], off
	s_nop 0
	v_add_u32_e32 v8, 4, v14
	v_mad_u64_u32 v[8:9], s[4:5], v8, s0, 0
	v_lshlrev_b64 v[8:9], 1, v[8:9]
	v_add_co_u32_e32 v8, vcc, v2, v8
	v_addc_co_u32_e32 v9, vcc, v3, v9, vcc
	global_store_dwordx4 v[8:9], v[4:7], off
	s_and_b64 exec, exec, s[2:3]
	s_cbranch_execz .LBB200_20
; %bb.19:
	ds_read_b128 v[4:7], v0 offset:256
	v_add3_u32 v0, s29, v1, 8
	v_mad_u64_u32 v[0:1], s[0:1], v0, s0, 0
	v_lshlrev_b64 v[0:1], 1, v[0:1]
	v_add_co_u32_e32 v0, vcc, v2, v0
	v_addc_co_u32_e32 v1, vcc, v3, v1, vcc
	s_waitcnt lgkmcnt(0)
	global_store_dwordx4 v[0:1], v[4:7], off
.LBB200_20:
	s_endpgm
	.section	.rodata,"a",@progbits
	.p2align	6, 0x0
	.amdhsa_kernel _Z39paged_attention_ll4mi_QKV_mfma16_kernelI14__hip_bfloat16S0_LN4vllm18Fp8KVCacheDataTypeE0ES0_Li16ELi64ELi256ELb1ELi9EL8MFMAType0EEvPKT_PKT0_S9_ifPKiSB_SB_iPKfiiiPfSE_PS4_PT2_iSD_SD_
		.amdhsa_group_segment_fixed_size 8192
		.amdhsa_private_segment_fixed_size 0
		.amdhsa_kernarg_size 400
		.amdhsa_user_sgpr_count 6
		.amdhsa_user_sgpr_private_segment_buffer 1
		.amdhsa_user_sgpr_dispatch_ptr 0
		.amdhsa_user_sgpr_queue_ptr 0
		.amdhsa_user_sgpr_kernarg_segment_ptr 1
		.amdhsa_user_sgpr_dispatch_id 0
		.amdhsa_user_sgpr_flat_scratch_init 0
		.amdhsa_user_sgpr_kernarg_preload_length 0
		.amdhsa_user_sgpr_kernarg_preload_offset 0
		.amdhsa_user_sgpr_private_segment_size 0
		.amdhsa_uses_dynamic_stack 0
		.amdhsa_system_sgpr_private_segment_wavefront_offset 0
		.amdhsa_system_sgpr_workgroup_id_x 1
		.amdhsa_system_sgpr_workgroup_id_y 1
		.amdhsa_system_sgpr_workgroup_id_z 1
		.amdhsa_system_sgpr_workgroup_info 0
		.amdhsa_system_vgpr_workitem_id 0
		.amdhsa_next_free_vgpr 67
		.amdhsa_next_free_sgpr 48
		.amdhsa_accum_offset 68
		.amdhsa_reserve_vcc 1
		.amdhsa_reserve_flat_scratch 0
		.amdhsa_float_round_mode_32 0
		.amdhsa_float_round_mode_16_64 0
		.amdhsa_float_denorm_mode_32 3
		.amdhsa_float_denorm_mode_16_64 3
		.amdhsa_dx10_clamp 1
		.amdhsa_ieee_mode 1
		.amdhsa_fp16_overflow 0
		.amdhsa_tg_split 0
		.amdhsa_exception_fp_ieee_invalid_op 0
		.amdhsa_exception_fp_denorm_src 0
		.amdhsa_exception_fp_ieee_div_zero 0
		.amdhsa_exception_fp_ieee_overflow 0
		.amdhsa_exception_fp_ieee_underflow 0
		.amdhsa_exception_fp_ieee_inexact 0
		.amdhsa_exception_int_div_zero 0
	.end_amdhsa_kernel
	.section	.text._Z39paged_attention_ll4mi_QKV_mfma16_kernelI14__hip_bfloat16S0_LN4vllm18Fp8KVCacheDataTypeE0ES0_Li16ELi64ELi256ELb1ELi9EL8MFMAType0EEvPKT_PKT0_S9_ifPKiSB_SB_iPKfiiiPfSE_PS4_PT2_iSD_SD_,"axG",@progbits,_Z39paged_attention_ll4mi_QKV_mfma16_kernelI14__hip_bfloat16S0_LN4vllm18Fp8KVCacheDataTypeE0ES0_Li16ELi64ELi256ELb1ELi9EL8MFMAType0EEvPKT_PKT0_S9_ifPKiSB_SB_iPKfiiiPfSE_PS4_PT2_iSD_SD_,comdat
.Lfunc_end200:
	.size	_Z39paged_attention_ll4mi_QKV_mfma16_kernelI14__hip_bfloat16S0_LN4vllm18Fp8KVCacheDataTypeE0ES0_Li16ELi64ELi256ELb1ELi9EL8MFMAType0EEvPKT_PKT0_S9_ifPKiSB_SB_iPKfiiiPfSE_PS4_PT2_iSD_SD_, .Lfunc_end200-_Z39paged_attention_ll4mi_QKV_mfma16_kernelI14__hip_bfloat16S0_LN4vllm18Fp8KVCacheDataTypeE0ES0_Li16ELi64ELi256ELb1ELi9EL8MFMAType0EEvPKT_PKT0_S9_ifPKiSB_SB_iPKfiiiPfSE_PS4_PT2_iSD_SD_
                                        ; -- End function
	.section	.AMDGPU.csdata,"",@progbits
; Kernel info:
; codeLenInByte = 4568
; NumSgprs: 52
; NumVgprs: 67
; NumAgprs: 0
; TotalNumVgprs: 67
; ScratchSize: 0
; MemoryBound: 0
; FloatMode: 240
; IeeeMode: 1
; LDSByteSize: 8192 bytes/workgroup (compile time only)
; SGPRBlocks: 6
; VGPRBlocks: 8
; NumSGPRsForWavesPerEU: 52
; NumVGPRsForWavesPerEU: 67
; AccumOffset: 68
; Occupancy: 7
; WaveLimiterHint : 1
; COMPUTE_PGM_RSRC2:SCRATCH_EN: 0
; COMPUTE_PGM_RSRC2:USER_SGPR: 6
; COMPUTE_PGM_RSRC2:TRAP_HANDLER: 0
; COMPUTE_PGM_RSRC2:TGID_X_EN: 1
; COMPUTE_PGM_RSRC2:TGID_Y_EN: 1
; COMPUTE_PGM_RSRC2:TGID_Z_EN: 1
; COMPUTE_PGM_RSRC2:TIDIG_COMP_CNT: 0
; COMPUTE_PGM_RSRC3_GFX90A:ACCUM_OFFSET: 16
; COMPUTE_PGM_RSRC3_GFX90A:TG_SPLIT: 0
	.section	.text._Z39paged_attention_ll4mi_QKV_mfma16_kernelI14__hip_bfloat16S0_LN4vllm18Fp8KVCacheDataTypeE0ES0_Li16ELi64ELi256ELb1ELi10EL8MFMAType0EEvPKT_PKT0_S9_ifPKiSB_SB_iPKfiiiPfSE_PS4_PT2_iSD_SD_,"axG",@progbits,_Z39paged_attention_ll4mi_QKV_mfma16_kernelI14__hip_bfloat16S0_LN4vllm18Fp8KVCacheDataTypeE0ES0_Li16ELi64ELi256ELb1ELi10EL8MFMAType0EEvPKT_PKT0_S9_ifPKiSB_SB_iPKfiiiPfSE_PS4_PT2_iSD_SD_,comdat
	.protected	_Z39paged_attention_ll4mi_QKV_mfma16_kernelI14__hip_bfloat16S0_LN4vllm18Fp8KVCacheDataTypeE0ES0_Li16ELi64ELi256ELb1ELi10EL8MFMAType0EEvPKT_PKT0_S9_ifPKiSB_SB_iPKfiiiPfSE_PS4_PT2_iSD_SD_ ; -- Begin function _Z39paged_attention_ll4mi_QKV_mfma16_kernelI14__hip_bfloat16S0_LN4vllm18Fp8KVCacheDataTypeE0ES0_Li16ELi64ELi256ELb1ELi10EL8MFMAType0EEvPKT_PKT0_S9_ifPKiSB_SB_iPKfiiiPfSE_PS4_PT2_iSD_SD_
	.globl	_Z39paged_attention_ll4mi_QKV_mfma16_kernelI14__hip_bfloat16S0_LN4vllm18Fp8KVCacheDataTypeE0ES0_Li16ELi64ELi256ELb1ELi10EL8MFMAType0EEvPKT_PKT0_S9_ifPKiSB_SB_iPKfiiiPfSE_PS4_PT2_iSD_SD_
	.p2align	8
	.type	_Z39paged_attention_ll4mi_QKV_mfma16_kernelI14__hip_bfloat16S0_LN4vllm18Fp8KVCacheDataTypeE0ES0_Li16ELi64ELi256ELb1ELi10EL8MFMAType0EEvPKT_PKT0_S9_ifPKiSB_SB_iPKfiiiPfSE_PS4_PT2_iSD_SD_,@function
_Z39paged_attention_ll4mi_QKV_mfma16_kernelI14__hip_bfloat16S0_LN4vllm18Fp8KVCacheDataTypeE0ES0_Li16ELi64ELi256ELb1ELi10EL8MFMAType0EEvPKT_PKT0_S9_ifPKiSB_SB_iPKfiiiPfSE_PS4_PT2_iSD_SD_: ; @_Z39paged_attention_ll4mi_QKV_mfma16_kernelI14__hip_bfloat16S0_LN4vllm18Fp8KVCacheDataTypeE0ES0_Li16ELi64ELi256ELb1ELi10EL8MFMAType0EEvPKT_PKT0_S9_ifPKiSB_SB_iPKfiiiPfSE_PS4_PT2_iSD_SD_
; %bb.0:
	s_load_dwordx2 s[0:1], s[4:5], 0x30
	s_mov_b32 s28, s7
	s_mov_b64 s[10:11], 0
	s_waitcnt lgkmcnt(0)
	s_cmp_lg_u64 s[0:1], 0
	s_cselect_b64 s[2:3], -1, 0
	s_and_b64 vcc, exec, s[2:3]
	s_cbranch_vccz .LBB201_7
; %bb.1:
	s_add_i32 s12, s6, 1
	s_mov_b32 s13, 0
	s_lshl_b64 s[14:15], s[12:13], 2
	s_add_u32 s14, s0, s14
	s_mov_b32 s7, s13
	s_addc_u32 s15, s1, s15
	s_lshl_b64 s[12:13], s[6:7], 2
	s_add_u32 s12, s0, s12
	s_addc_u32 s13, s1, s13
	s_load_dword s9, s[14:15], 0x0
	s_load_dword s16, s[12:13], 0x0
	s_waitcnt lgkmcnt(0)
	s_sub_i32 s9, s9, s16
	s_cmp_eq_u32 s9, 1
	s_cselect_b64 s[12:13], -1, 0
	s_andn2_b64 vcc, exec, s[10:11]
	s_cbranch_vccnz .LBB201_3
.LBB201_2:
	s_mov_b32 s7, 0
	s_mov_b64 s[12:13], -1
.LBB201_3:
	s_andn2_b64 vcc, exec, s[12:13]
	s_cbranch_vccnz .LBB201_20
; %bb.4:
	s_load_dwordx2 s[12:13], s[4:5], 0x28
	s_lshl_b64 s[10:11], s[6:7], 2
	s_waitcnt lgkmcnt(0)
	s_add_u32 s12, s12, s10
	s_addc_u32 s13, s13, s11
	s_load_dword s33, s[12:13], 0x0
	s_lshl_b32 s14, s28, 8
	s_waitcnt lgkmcnt(0)
	s_cmp_ge_i32 s14, s33
	s_cbranch_scc1 .LBB201_20
; %bb.5:
	s_add_i32 s15, s33, 15
	s_load_dwordx2 s[12:13], s[4:5], 0x20
	s_load_dword s9, s[4:5], 0x38
	s_ashr_i32 s16, s15, 31
	v_and_b32_e32 v1, 0xcf, v0
	s_lshr_b32 s16, s16, 28
	v_add_u32_e32 v1, s14, v1
	s_add_i32 s15, s15, s16
	v_ashrrev_i32_e32 v2, 31, v1
	s_ashr_i32 s17, s15, 4
	v_lshrrev_b32_e32 v4, 28, v2
	s_add_i32 s17, s17, -1
	v_add_u32_e32 v2, v1, v4
	s_waitcnt lgkmcnt(0)
	s_mul_i32 s18, s6, s9
	s_mov_b32 s19, 0
	v_ashrrev_i32_e32 v2, 4, v2
	v_mov_b32_e32 v5, s17
	v_cmp_gt_i32_e32 vcc, s33, v1
	s_lshl_b64 s[18:19], s[18:19], 2
	v_cndmask_b32_e32 v2, v5, v2, vcc
	s_add_u32 s15, s12, s18
	v_ashrrev_i32_e32 v3, 31, v2
	s_addc_u32 s16, s13, s19
	v_lshlrev_b64 v[2:3], 2, v[2:3]
	v_mov_b32_e32 v7, s16
	v_add_co_u32_e32 v6, vcc, s15, v2
	v_or_b32_e32 v2, 16, v1
	v_addc_co_u32_e32 v7, vcc, v7, v3, vcc
	v_add_u32_e32 v3, v2, v4
	v_ashrrev_i32_e32 v3, 4, v3
	v_cmp_gt_i32_e32 vcc, s33, v2
	v_cndmask_b32_e32 v2, v5, v3, vcc
	v_ashrrev_i32_e32 v3, 31, v2
	v_lshlrev_b64 v[2:3], 2, v[2:3]
	v_mov_b32_e32 v9, s16
	v_add_co_u32_e32 v8, vcc, s15, v2
	v_or_b32_e32 v2, 32, v1
	v_addc_co_u32_e32 v9, vcc, v9, v3, vcc
	v_add_u32_e32 v3, v2, v4
	v_ashrrev_i32_e32 v3, 4, v3
	v_cmp_gt_i32_e32 vcc, s33, v2
	v_cndmask_b32_e32 v2, v5, v3, vcc
	v_ashrrev_i32_e32 v3, 31, v2
	;; [unrolled: 10-line block ×3, first 2 shown]
	v_lshlrev_b64 v[2:3], 2, v[2:3]
	v_mov_b32_e32 v1, s16
	v_add_co_u32_e32 v12, vcc, s15, v2
	v_addc_co_u32_e32 v13, vcc, v1, v3, vcc
	global_load_dword v5, v[6:7], off
	global_load_dword v4, v[8:9], off
	;; [unrolled: 1-line block ×4, first 2 shown]
	s_load_dwordx2 s[12:13], s[4:5], 0x8
	s_andn2_b64 vcc, exec, s[2:3]
	s_cbranch_vccnz .LBB201_8
; %bb.6:
	s_add_u32 s0, s0, s10
	s_addc_u32 s1, s1, s11
	s_load_dword s9, s[0:1], 0x0
	s_branch .LBB201_9
.LBB201_7:
	s_mov_b64 s[12:13], 0
	s_branch .LBB201_2
.LBB201_8:
	s_mov_b32 s9, s6
.LBB201_9:
	s_load_dwordx2 s[2:3], s[4:5], 0x10
	s_load_dwordx4 s[44:47], s[4:5], 0x48
	v_lshrrev_b32_e32 v53, 6, v0
	v_bfe_u32 v1, v0, 4, 2
	v_lshl_or_b32 v6, v53, 2, v1
	v_and_b32_e32 v52, 15, v0
	v_lshlrev_b32_e32 v7, 3, v52
	v_cmp_gt_u32_e32 vcc, 10, v6
	v_cmp_gt_u32_e64 s[0:1], 8, v52
	s_mul_i32 s29, s8, 10
	s_and_b64 s[18:19], s[0:1], vcc
	v_lshlrev_b32_e32 v50, 1, v7
	s_and_saveexec_b64 s[10:11], s[18:19]
	s_cbranch_execz .LBB201_11
; %bb.10:
	s_load_dwordx2 s[18:19], s[4:5], 0x0
	s_waitcnt lgkmcnt(0)
	s_ashr_i32 s20, s44, 31
	s_mul_hi_u32 s21, s9, s44
	s_mul_i32 s20, s9, s20
	s_add_i32 s21, s21, s20
	s_mul_i32 s20, s9, s44
	s_lshl_b64 s[20:21], s[20:21], 1
	v_add_lshl_u32 v8, v6, s29, 6
	s_add_u32 s9, s18, s20
	v_ashrrev_i32_e32 v9, 31, v8
	s_addc_u32 s18, s19, s21
	v_lshlrev_b64 v[8:9], 1, v[8:9]
	v_mov_b32_e32 v7, s18
	v_add_co_u32_e32 v8, vcc, s9, v8
	v_addc_co_u32_e32 v7, vcc, v7, v9, vcc
	v_add_co_u32_e32 v8, vcc, v8, v50
	v_addc_co_u32_e32 v9, vcc, 0, v7, vcc
	global_load_dwordx4 v[8:11], v[8:9], off
	v_and_b32_e32 v7, 3, v0
	v_lshlrev_b32_e32 v12, 9, v52
	v_lshlrev_b32_e32 v6, 5, v6
	;; [unrolled: 1-line block ×3, first 2 shown]
	v_and_b32_e32 v12, 0x1800, v12
	v_or3_b32 v6, v12, v7, v6
	s_waitcnt vmcnt(0)
	ds_write_b128 v6, v[8:11]
.LBB201_11:
	s_or_b64 exec, exec, s[10:11]
	s_waitcnt lgkmcnt(0)
	s_mul_i32 s8, s8, s46
	s_mov_b32 s9, 0
	s_lshl_b64 s[8:9], s[8:9], 1
	s_add_u32 s10, s12, s8
	v_lshlrev_b32_e32 v51, 4, v0
	s_addc_u32 s11, s13, s9
	v_and_b32_e32 v6, 0xf0, v51
	v_mov_b32_e32 v7, s11
	v_add_co_u32_e32 v18, vcc, s10, v6
	v_addc_co_u32_e32 v19, vcc, 0, v7, vcc
	s_waitcnt vmcnt(3)
	v_mad_i64_i32 v[6:7], s[10:11], v5, s45, 0
	v_lshlrev_b64 v[6:7], 1, v[6:7]
	v_add_co_u32_e32 v5, vcc, v18, v6
	v_addc_co_u32_e32 v7, vcc, v19, v7, vcc
	v_and_b32_e32 v20, 0x300, v51
	v_add_co_u32_e32 v6, vcc, v5, v20
	s_waitcnt vmcnt(2)
	v_mad_i64_i32 v[4:5], s[10:11], v4, s45, 0
	v_addc_co_u32_e32 v7, vcc, 0, v7, vcc
	v_lshlrev_b64 v[4:5], 1, v[4:5]
	v_add_co_u32_e32 v4, vcc, v18, v4
	v_addc_co_u32_e32 v5, vcc, v19, v5, vcc
	v_add_co_u32_e32 v4, vcc, v4, v20
	v_addc_co_u32_e32 v5, vcc, 0, v5, vcc
	s_barrier
	global_load_dwordx4 v[38:41], v[6:7], off
	global_load_dwordx4 v[34:37], v[6:7], off offset:1024
	global_load_dwordx4 v[30:33], v[4:5], off
	global_load_dwordx4 v[14:17], v[4:5], off offset:1024
	s_waitcnt vmcnt(5)
	v_mad_i64_i32 v[4:5], s[10:11], v3, s45, 0
	v_lshlrev_b64 v[4:5], 1, v[4:5]
	v_add_co_u32_e32 v3, vcc, v18, v4
	v_addc_co_u32_e32 v5, vcc, v19, v5, vcc
	v_add_co_u32_e32 v4, vcc, v3, v20
	s_waitcnt vmcnt(4)
	v_mad_i64_i32 v[2:3], s[10:11], v2, s45, 0
	v_addc_co_u32_e32 v5, vcc, 0, v5, vcc
	v_lshlrev_b64 v[2:3], 1, v[2:3]
	v_add_co_u32_e32 v2, vcc, v18, v2
	v_addc_co_u32_e32 v3, vcc, v19, v3, vcc
	v_add_co_u32_e32 v22, vcc, v2, v20
	v_addc_co_u32_e32 v23, vcc, 0, v3, vcc
	global_load_dwordx4 v[10:13], v[4:5], off
	global_load_dwordx4 v[6:9], v[4:5], off offset:1024
	s_nop 0
	global_load_dwordx4 v[2:5], v[22:23], off
	global_load_dwordx4 v[18:21], v[22:23], off offset:1024
	v_add_u32_e32 v22, -10, v52
	v_cmp_gt_u32_e32 vcc, 10, v52
	v_cndmask_b32_e32 v22, v22, v52, vcc
	v_lshlrev_b32_e32 v22, 5, v22
	v_lshl_add_u32 v22, v1, 9, v22
	ds_read_b128 v[26:29], v22
	ds_read_b128 v[22:25], v22 offset:2048
	v_and_b32_e32 v54, 63, v0
	v_mov_b32_e32 v48, 0
	s_and_saveexec_b64 s[10:11], vcc
	s_cbranch_execz .LBB201_13
; %bb.12:
	s_load_dwordx2 s[12:13], s[4:5], 0x40
	v_add_u32_e32 v42, s29, v52
	v_ashrrev_i32_e32 v43, 31, v42
	v_lshlrev_b64 v[42:43], 2, v[42:43]
	s_waitcnt lgkmcnt(0)
	v_mov_b32_e32 v44, s13
	v_add_co_u32_e32 v42, vcc, s12, v42
	v_addc_co_u32_e32 v43, vcc, v44, v43, vcc
	global_load_dword v48, v[42:43], off
.LBB201_13:
	s_or_b64 exec, exec, s[10:11]
	s_waitcnt vmcnt(7) lgkmcnt(1)
	v_mfma_f32_16x16x16bf16_1k v[42:45], v[38:39], v[26:27], 0
	s_add_u32 s2, s2, s8
	v_lshlrev_b32_e32 v55, 5, v52
	s_addc_u32 s3, s3, s9
	s_load_dword s10, s[4:5], 0x1c
	s_mov_b32 s42, 0xff7fffff
	v_mfma_f32_16x16x16bf16_1k v[38:41], v[40:41], v[28:29], v[42:45]
	s_waitcnt vmcnt(6) lgkmcnt(0)
	v_mfma_f32_16x16x16bf16_1k v[38:41], v[34:35], v[22:23], v[38:41]
	s_nop 4
	v_and_or_b32 v44, v0, 48, s14
	v_mov_b32_e32 v45, s17
	v_cmp_gt_i32_e32 vcc, s33, v44
	v_mfma_f32_16x16x16bf16_1k v[34:37], v[36:37], v[24:25], v[38:41]
	s_nop 6
	v_ashrrev_i32_e32 v38, 4, v44
	v_cndmask_b32_e32 v42, v45, v38, vcc
	v_ashrrev_i32_e32 v43, 31, v42
	s_waitcnt vmcnt(5)
	v_mfma_f32_16x16x16bf16_1k v[38:41], v[30:31], v[26:27], 0
	v_lshlrev_b64 v[30:31], 2, v[42:43]
	v_mov_b32_e32 v42, s16
	v_add_co_u32_e32 v30, vcc, s15, v30
	v_addc_co_u32_e32 v31, vcc, v42, v31, vcc
	global_load_dword v42, v[30:31], off
	v_mfma_f32_16x16x16bf16_1k v[30:33], v[32:33], v[28:29], v[38:41]
	v_pk_mul_f32 v[46:47], s[10:11], v[36:37] op_sel_hi:[0,1]
	s_nop 5
	v_or_b32_e32 v38, 64, v44
	v_ashrrev_i32_e32 v39, 4, v38
	v_cmp_gt_i32_e32 vcc, s33, v38
	v_cndmask_b32_e32 v38, v45, v39, vcc
	v_ashrrev_i32_e32 v39, 31, v38
	v_lshlrev_b64 v[38:39], 2, v[38:39]
	s_waitcnt vmcnt(5)
	v_mfma_f32_16x16x16bf16_1k v[30:33], v[14:15], v[22:23], v[30:33]
	v_mov_b32_e32 v40, s16
	v_add_co_u32_e32 v14, vcc, s15, v38
	v_addc_co_u32_e32 v15, vcc, v40, v39, vcc
	global_load_dword v40, v[14:15], off
	v_or_b32_e32 v14, 0x80, v44
	v_ashrrev_i32_e32 v15, 4, v14
	v_cmp_gt_i32_e32 vcc, s33, v14
	v_cndmask_b32_e32 v14, v45, v15, vcc
	v_ashrrev_i32_e32 v15, 31, v14
	v_lshlrev_b64 v[14:15], 2, v[14:15]
	v_mfma_f32_16x16x16bf16_1k v[30:33], v[16:17], v[24:25], v[30:33]
	v_mov_b32_e32 v16, s16
	v_add_co_u32_e32 v38, vcc, s15, v14
	v_addc_co_u32_e32 v39, vcc, v16, v15, vcc
	global_load_dword v38, v[38:39], off
	s_waitcnt vmcnt(6)
	v_mfma_f32_16x16x16bf16_1k v[14:17], v[10:11], v[26:27], 0
	v_mfma_f32_16x16x16bf16_1k v[10:13], v[12:13], v[28:29], v[14:17]
	s_nop 7
	s_nop 1
	v_or_b32_e32 v14, 0xc0, v44
	v_ashrrev_i32_e32 v15, 4, v14
	v_cmp_gt_i32_e32 vcc, s33, v14
	v_cndmask_b32_e32 v14, v45, v15, vcc
	s_waitcnt vmcnt(5)
	v_mfma_f32_16x16x16bf16_1k v[10:13], v[6:7], v[22:23], v[10:13]
	v_ashrrev_i32_e32 v15, 31, v14
	v_lshlrev_b64 v[14:15], 2, v[14:15]
	v_mov_b32_e32 v16, s16
	v_add_co_u32_e32 v6, vcc, s15, v14
	v_addc_co_u32_e32 v7, vcc, v16, v15, vcc
	global_load_dword v49, v[6:7], off
	v_lshl_or_b32 v6, v53, 9, v55
	v_mov_b32_e32 v7, s3
	v_add_co_u32_e32 v60, vcc, s2, v6
	v_addc_co_u32_e32 v61, vcc, 0, v7, vcc
	v_mfma_f32_16x16x16bf16_1k v[56:59], v[8:9], v[24:25], v[10:13]
	v_pk_mul_f32 v[44:45], s[10:11], v[30:31] op_sel_hi:[0,1]
	s_waitcnt vmcnt(3)
	v_mad_i64_i32 v[6:7], s[2:3], v42, s45, 0
	s_nop 3
	v_lshlrev_b64 v[10:11], 1, v[6:7]
	v_mfma_f32_16x16x16bf16_1k v[6:9], v[2:3], v[26:27], 0
	v_add_co_u32_e32 v2, vcc, v60, v10
	v_addc_co_u32_e32 v3, vcc, v61, v11, vcc
	global_load_dwordx4 v[14:17], v[2:3], off
	global_load_dwordx4 v[10:13], v[2:3], off offset:16
	v_pk_mul_f32 v[42:43], s[10:11], v[32:33] op_sel_hi:[0,1]
	s_waitcnt vmcnt(4)
	v_mad_i64_i32 v[2:3], s[2:3], v40, s45, 0
	v_mfma_f32_16x16x16bf16_1k v[26:29], v[4:5], v[28:29], v[6:9]
	v_lshlrev_b64 v[2:3], 1, v[2:3]
	v_add_co_u32_e32 v2, vcc, v60, v2
	v_addc_co_u32_e32 v3, vcc, v61, v3, vcc
	v_pk_mul_f32 v[40:41], s[10:11], v[56:57] op_sel_hi:[0,1]
	s_nop 2
	global_load_dwordx4 v[6:9], v[2:3], off
	s_nop 0
	global_load_dwordx4 v[2:5], v[2:3], off offset:16
	v_mfma_f32_16x16x16bf16_1k v[26:29], v[18:19], v[22:23], v[26:29]
	v_pk_mul_f32 v[18:19], s[10:11], v[34:35] op_sel_hi:[0,1]
	s_waitcnt vmcnt(5)
	v_mad_i64_i32 v[38:39], s[2:3], v38, s45, 0
	v_lshlrev_b64 v[38:39], 1, v[38:39]
	v_add_co_u32_e32 v22, vcc, v60, v38
	v_mfma_f32_16x16x16bf16_1k v[24:27], v[20:21], v[24:25], v[26:29]
	v_and_b32_e32 v20, 0xc0, v0
	v_add_u32_e32 v20, s14, v20
	v_lshl_or_b32 v20, v1, 2, v20
	v_or_b32_e32 v21, 1, v20
	v_addc_co_u32_e32 v23, vcc, v61, v39, vcc
	v_pk_mul_f32 v[38:39], s[10:11], v[58:59] op_sel_hi:[0,1]
	s_nop 4
	v_pk_mul_f32 v[36:37], s[10:11], v[24:25] op_sel_hi:[0,1]
	v_subrev_u32_e32 v24, s33, v21
	v_pk_mul_f32 v[34:35], s[10:11], v[26:27] op_sel_hi:[0,1]
	v_add_u32_e32 v26, 1, v24
	v_add_u32_e32 v27, 2, v24
	v_cvt_f32_i32_e32 v25, v24
	v_cvt_f32_i32_e32 v26, v26
	;; [unrolled: 1-line block ×3, first 2 shown]
	v_add_u32_e32 v28, 3, v24
	v_fma_f32 v18, v48, v25, v18
	v_fmac_f32_e32 v19, v48, v26
	v_fma_f32 v46, v48, v27, v46
	v_add_u32_e32 v25, 16, v24
	v_add_u32_e32 v26, 17, v24
	;; [unrolled: 1-line block ×3, first 2 shown]
	v_cvt_f32_i32_e32 v28, v28
	v_cvt_f32_i32_e32 v25, v25
	;; [unrolled: 1-line block ×4, first 2 shown]
	v_fmac_f32_e32 v47, v48, v28
	v_add_u32_e32 v28, 19, v24
	v_fma_f32 v44, v48, v25, v44
	v_fmac_f32_e32 v45, v48, v26
	v_fma_f32 v42, v48, v27, v42
	v_add_u32_e32 v25, 32, v24
	v_add_u32_e32 v26, 33, v24
	;; [unrolled: 1-line block ×3, first 2 shown]
	v_cvt_f32_i32_e32 v28, v28
	v_cvt_f32_i32_e32 v25, v25
	;; [unrolled: 1-line block ×4, first 2 shown]
	v_fmac_f32_e32 v43, v48, v28
	v_add_u32_e32 v28, 35, v24
	v_fma_f32 v40, v48, v25, v40
	v_fmac_f32_e32 v41, v48, v26
	v_fma_f32 v38, v48, v27, v38
	v_add_u32_e32 v25, 48, v24
	v_add_u32_e32 v26, 49, v24
	;; [unrolled: 1-line block ×4, first 2 shown]
	v_cvt_f32_i32_e32 v24, v24
	v_cvt_f32_i32_e32 v25, v25
	;; [unrolled: 1-line block ×3, first 2 shown]
	v_cmp_gt_i32_e64 s[30:31], s33, v20
	v_fmac_f32_e32 v35, v48, v24
	v_mov_b32_e32 v24, 0xff7fffff
	v_cmp_gt_i32_e64 s[34:35], s33, v21
	v_fma_f32 v36, v48, v25, v36
	v_cndmask_b32_e64 v25, v24, v18, s[30:31]
	v_cndmask_b32_e64 v21, v24, v19, s[34:35]
	v_fmac_f32_e32 v37, v48, v26
	v_max3_f32 v21, v25, s42, v21
	v_or_b32_e32 v25, 2, v20
	v_or_b32_e32 v26, 3, v20
	v_cmp_gt_i32_e64 s[36:37], s33, v25
	v_cmp_gt_i32_e64 s[38:39], s33, v26
	v_cndmask_b32_e64 v25, v24, v46, s[36:37]
	v_cndmask_b32_e64 v26, v24, v47, s[38:39]
	v_max3_f32 v21, v21, v25, v26
	v_or_b32_e32 v25, 16, v20
	v_or_b32_e32 v26, 17, v20
	v_cmp_gt_i32_e64 s[24:25], s33, v25
	v_cmp_gt_i32_e64 s[26:27], s33, v26
	v_cndmask_b32_e64 v25, v24, v44, s[24:25]
	v_cndmask_b32_e64 v26, v24, v45, s[26:27]
	;; [unrolled: 7-line block ×3, first 2 shown]
	v_cvt_f32_i32_e32 v28, v28
	v_max3_f32 v21, v21, v25, v26
	v_or_b32_e32 v25, 32, v20
	v_or_b32_e32 v26, 33, v20
	v_cmp_gt_i32_e64 s[16:17], s33, v25
	v_cmp_gt_i32_e64 s[18:19], s33, v26
	v_cndmask_b32_e64 v25, v24, v40, s[16:17]
	v_cndmask_b32_e64 v26, v24, v41, s[18:19]
	v_max3_f32 v21, v21, v25, v26
	v_or_b32_e32 v25, 34, v20
	v_or_b32_e32 v26, 35, v20
	v_fmac_f32_e32 v39, v48, v28
	v_cmp_gt_i32_e64 s[12:13], s33, v25
	v_cmp_gt_i32_e64 s[14:15], s33, v26
	v_cndmask_b32_e64 v25, v24, v38, s[12:13]
	v_cndmask_b32_e64 v26, v24, v39, s[14:15]
	v_cvt_f32_i32_e32 v27, v27
	v_max3_f32 v21, v21, v25, v26
	v_or_b32_e32 v25, 48, v20
	v_or_b32_e32 v26, 49, v20
	v_cmp_gt_i32_e64 s[8:9], s33, v25
	v_cmp_gt_i32_e64 s[10:11], s33, v26
	v_cndmask_b32_e64 v25, v24, v36, s[8:9]
	v_cndmask_b32_e64 v26, v24, v37, s[10:11]
	v_max3_f32 v21, v21, v25, v26
	v_or_b32_e32 v25, 50, v20
	v_or_b32_e32 v20, 51, v20
	v_fma_f32 v34, v48, v27, v34
	v_cmp_gt_i32_e32 vcc, s33, v25
	v_cmp_gt_i32_e64 s[2:3], s33, v20
	v_cndmask_b32_e32 v25, v24, v34, vcc
	v_cndmask_b32_e64 v20, v24, v35, s[2:3]
	v_max3_f32 v26, v21, v25, v20
	v_mbcnt_lo_u32_b32 v20, -1, 0
	v_mbcnt_hi_u32_b32 v27, -1, v20
	v_and_b32_e32 v20, 64, v27
	v_add_u32_e32 v28, 64, v20
	v_xor_b32_e32 v20, 32, v27
	v_cmp_lt_i32_e64 s[40:41], v20, v28
	v_cndmask_b32_e64 v20, v27, v20, s[40:41]
	v_lshlrev_b32_e32 v57, 2, v20
	ds_bpermute_b32 v29, v57, v26
	s_waitcnt vmcnt(4)
	v_mad_i64_i32 v[20:21], s[40:41], v49, s45, 0
	v_lshlrev_b64 v[20:21], 1, v[20:21]
	global_load_dwordx4 v[30:33], v[22:23], off
	s_nop 0
	global_load_dwordx4 v[22:25], v[22:23], off offset:16
	s_waitcnt lgkmcnt(0)
	v_max_f32_e32 v29, v29, v29
	v_max_f32_e32 v26, v26, v29
	v_xor_b32_e32 v29, 16, v27
	v_cmp_lt_i32_e64 s[40:41], v29, v28
	v_cndmask_b32_e64 v27, v27, v29, s[40:41]
	v_lshlrev_b32_e32 v59, 2, v27
	ds_bpermute_b32 v27, v59, v26
	v_add_co_u32_e64 v20, s[40:41], v60, v20
	v_addc_co_u32_e64 v21, s[40:41], v61, v21, s[40:41]
	s_waitcnt lgkmcnt(0)
	v_max_f32_e32 v27, v27, v27
	v_max_f32_e32 v56, v26, v27
	v_sub_f32_e32 v18, v18, v56
	v_mul_f32_e32 v18, 0x3fb8aa3b, v18
	v_exp_f32_e32 v48, v18
	v_sub_f32_e32 v18, v19, v56
	v_mul_f32_e32 v18, 0x3fb8aa3b, v18
	v_exp_f32_e32 v49, v18
	global_load_dwordx4 v[26:29], v[20:21], off
	s_nop 0
	global_load_dwordx4 v[18:21], v[20:21], off offset:16
	v_sub_f32_e32 v46, v46, v56
	v_mul_f32_e32 v46, 0x3fb8aa3b, v46
	v_sub_f32_e32 v47, v47, v56
	v_exp_f32_e32 v46, v46
	v_mul_f32_e32 v47, 0x3fb8aa3b, v47
	v_sub_f32_e32 v44, v44, v56
	v_exp_f32_e32 v47, v47
	v_mul_f32_e32 v44, 0x3fb8aa3b, v44
	v_sub_f32_e32 v45, v45, v56
	v_cndmask_b32_e64 v48, 0, v48, s[30:31]
	v_exp_f32_e32 v44, v44
	v_mul_f32_e32 v45, 0x3fb8aa3b, v45
	v_sub_f32_e32 v42, v42, v56
	v_add_f32_e32 v58, 0, v48
	v_cndmask_b32_e64 v49, 0, v49, s[34:35]
	v_exp_f32_e32 v45, v45
	v_mul_f32_e32 v42, 0x3fb8aa3b, v42
	v_sub_f32_e32 v43, v43, v56
	v_add_f32_e32 v58, v58, v49
	;; [unrolled: 5-line block ×10, first 2 shown]
	v_cndmask_b32_e64 v38, 0, v38, s[12:13]
	v_exp_f32_e32 v34, v34
	v_mul_f32_e32 v35, 0x3fb8aa3b, v35
	v_add_f32_e32 v58, v58, v38
	v_cndmask_b32_e64 v39, 0, v39, s[14:15]
	v_exp_f32_e32 v35, v35
	v_add_f32_e32 v58, v58, v39
	v_cndmask_b32_e64 v36, 0, v36, s[8:9]
	v_add_f32_e32 v58, v58, v36
	v_cndmask_b32_e64 v37, 0, v37, s[10:11]
	v_add_f32_e32 v58, v58, v37
	v_cndmask_b32_e32 v34, 0, v34, vcc
	v_add_f32_e32 v58, v58, v34
	v_cndmask_b32_e64 v35, 0, v35, s[2:3]
	v_add_f32_e32 v58, v58, v35
	ds_bpermute_b32 v57, v57, v58
	s_load_dword s9, s[4:5], 0x98
	v_cmp_gt_u32_e32 vcc, 16, v54
	s_waitcnt lgkmcnt(0)
	s_barrier
	v_add_f32_e32 v58, v58, v57
	ds_bpermute_b32 v59, v59, v58
	v_lshlrev_b32_e32 v57, 2, v52
	s_waitcnt lgkmcnt(0)
	s_and_saveexec_b64 s[2:3], vcc
	s_cbranch_execz .LBB201_15
; %bb.14:
	v_add_f32_e32 v54, v58, v59
	v_lshl_or_b32 v58, v53, 6, v57
	ds_write2st64_b32 v58, v56, v54 offset1:1
.LBB201_15:
	s_or_b64 exec, exec, s[2:3]
	s_load_dword s8, s[4:5], 0x94
	s_waitcnt lgkmcnt(0)
	s_barrier
	ds_read2_b32 v[58:59], v57 offset1:16
	ds_read2_b32 v[60:61], v57 offset0:32 offset1:48
	ds_read2_b32 v[62:63], v57 offset0:64 offset1:80
	s_movk_i32 s10, 0x7fff
	s_mov_b32 s11, 0x7060302
	s_waitcnt lgkmcnt(2)
	v_max3_f32 v54, v58, s42, v59
	s_waitcnt lgkmcnt(1)
	v_max3_f32 v54, v54, v60, v61
	v_sub_f32_e32 v56, v58, v54
	v_mul_f32_e32 v56, 0x3fb8aa3b, v56
	v_exp_f32_e32 v64, v56
	v_sub_f32_e32 v56, v59, v54
	v_mul_f32_e32 v56, 0x3fb8aa3b, v56
	v_exp_f32_e32 v65, v56
	;; [unrolled: 3-line block ×3, first 2 shown]
	ds_read2_b32 v[58:59], v57 offset0:96 offset1:112
	v_sub_f32_e32 v56, v61, v54
	v_mul_f32_e32 v56, 0x3fb8aa3b, v56
	v_exp_f32_e32 v57, v56
	s_waitcnt lgkmcnt(1)
	v_fma_f32 v56, v64, v62, 0
	v_fmac_f32_e32 v56, v65, v63
	s_waitcnt lgkmcnt(0)
	v_fmac_f32_e32 v56, v60, v58
	v_fmac_f32_e32 v56, v57, v59
	v_add_f32_e32 v58, 0x358637bd, v56
	v_div_scale_f32 v59, s[2:3], v58, v58, 1.0
	v_rcp_f32_e32 v61, v59
	s_mul_i32 s9, s9, 10
	s_barrier
	v_fma_f32 v62, -v59, v61, 1.0
	v_fmac_f32_e32 v61, v62, v61
	v_div_scale_f32 v62, vcc, 1.0, v58, 1.0
	v_mul_f32_e32 v63, v62, v61
	v_fma_f32 v66, -v59, v63, v62
	v_fmac_f32_e32 v63, v66, v61
	v_fma_f32 v59, -v59, v63, v62
	v_div_fmas_f32 v59, v59, v61, v63
	v_cmp_eq_u32_e32 vcc, 1, v53
	v_div_fixup_f32 v58, v59, v58, 1.0
	v_cndmask_b32_e32 v59, v64, v65, vcc
	v_cmp_eq_u32_e32 vcc, 2, v53
	v_cndmask_b32_e32 v59, v59, v60, vcc
	v_cmp_eq_u32_e32 vcc, 3, v53
	v_cndmask_b32_e32 v57, v59, v57, vcc
	v_mul_f32_e32 v58, v57, v58
	v_pk_mul_f32 v[48:49], v[58:59], v[48:49] op_sel_hi:[0,1]
	v_pk_mul_f32 v[46:47], v[58:59], v[46:47] op_sel_hi:[0,1]
	v_bfe_u32 v57, v49, 16, 1
	v_bfe_u32 v59, v48, 16, 1
	v_add3_u32 v48, v48, v59, s10
	v_add3_u32 v49, v49, v57, s10
	v_perm_b32 v48, v49, v48, s11
	v_bfe_u32 v49, v47, 16, 1
	v_bfe_u32 v57, v46, 16, 1
	v_add3_u32 v46, v46, v57, s10
	v_add3_u32 v47, v47, v49, s10
	v_perm_b32 v49, v47, v46, s11
	v_lshlrev_b32_e32 v46, 3, v1
	v_lshlrev_b32_e32 v47, 11, v53
	v_pk_mul_f32 v[44:45], v[58:59], v[44:45] op_sel_hi:[0,1]
	v_or3_b32 v46, v47, v55, v46
	v_bfe_u32 v47, v45, 16, 1
	v_bfe_u32 v53, v44, 16, 1
	v_pk_mul_f32 v[42:43], v[58:59], v[42:43] op_sel_hi:[0,1]
	v_add3_u32 v44, v44, v53, s10
	v_add3_u32 v45, v45, v47, s10
	v_perm_b32 v44, v45, v44, s11
	v_bfe_u32 v45, v43, 16, 1
	v_bfe_u32 v47, v42, 16, 1
	v_add3_u32 v42, v42, v47, s10
	v_add3_u32 v43, v43, v45, s10
	v_pk_mul_f32 v[40:41], v[58:59], v[40:41] op_sel_hi:[0,1]
	v_perm_b32 v45, v43, v42, s11
	v_bfe_u32 v42, v41, 16, 1
	v_bfe_u32 v43, v40, 16, 1
	v_pk_mul_f32 v[38:39], v[58:59], v[38:39] op_sel_hi:[0,1]
	v_add3_u32 v40, v40, v43, s10
	v_add3_u32 v41, v41, v42, s10
	v_perm_b32 v40, v41, v40, s11
	v_bfe_u32 v41, v39, 16, 1
	v_bfe_u32 v42, v38, 16, 1
	v_add3_u32 v38, v38, v42, s10
	v_add3_u32 v39, v39, v41, s10
	v_pk_mul_f32 v[36:37], v[58:59], v[36:37] op_sel_hi:[0,1]
	v_perm_b32 v41, v39, v38, s11
	v_bfe_u32 v38, v37, 16, 1
	v_bfe_u32 v39, v36, 16, 1
	v_pk_mul_f32 v[34:35], v[58:59], v[34:35] op_sel_hi:[0,1]
	v_add3_u32 v36, v36, v39, s10
	v_add3_u32 v37, v37, v38, s10
	v_perm_b32 v36, v37, v36, s11
	v_bfe_u32 v37, v35, 16, 1
	v_bfe_u32 v38, v34, 16, 1
	v_add3_u32 v34, v34, v38, s10
	v_add3_u32 v35, v35, v37, s10
	v_perm_b32 v37, v35, v34, s11
	v_cmp_gt_u32_e32 vcc, 10, v0
	ds_write2st64_b64 v46, v[48:49], v[44:45] offset1:1
	ds_write2st64_b64 v46, v[40:41], v[36:37] offset0:2 offset1:3
	s_and_saveexec_b64 s[2:3], vcc
	s_cbranch_execz .LBB201_17
; %bb.16:
	v_add_co_u32_e32 v36, vcc, s29, v52
	v_addc_co_u32_e64 v37, s[16:17], 0, 0, vcc
	v_mov_b32_e32 v34, s9
	v_mov_b32_e32 v35, 0
	v_mad_u64_u32 v[36:37], s[16:17], s6, v34, v[36:37]
	v_mov_b32_e32 v34, s28
	s_load_dwordx4 s[12:15], s[4:5], 0x58
	s_mul_i32 s7, s7, s9
	v_mad_u64_u32 v[34:35], s[16:17], v36, s8, v[34:35]
	v_add_u32_e32 v37, s7, v37
	v_mov_b32_e32 v36, v35
	v_mad_u64_u32 v[36:37], s[16:17], v37, s8, v[36:37]
	v_mov_b32_e32 v35, v36
	v_lshlrev_b64 v[34:35], 2, v[34:35]
	s_waitcnt lgkmcnt(0)
	v_mov_b32_e32 v37, s15
	v_add_co_u32_e32 v36, vcc, s14, v34
	v_addc_co_u32_e32 v37, vcc, v37, v35, vcc
	global_store_dword v[36:37], v54, off
	v_mov_b32_e32 v36, s13
	v_add_co_u32_e32 v34, vcc, s12, v34
	v_addc_co_u32_e32 v35, vcc, v36, v35, vcc
	global_store_dword v[34:35], v56, off
.LBB201_17:
	s_or_b64 exec, exec, s[2:3]
	v_lshl_or_b32 v47, v1, 9, v55
	s_waitcnt lgkmcnt(0)
	s_barrier
	ds_read_b128 v[34:37], v47
	ds_read_b128 v[38:41], v47 offset:16
	s_waitcnt vmcnt(7) lgkmcnt(1)
	v_mfma_f32_16x16x16bf16_1k v[42:45], v[14:15], v[34:35], 0
	v_cmp_gt_u32_e32 vcc, 64, v0
	s_mov_b32 s3, 0
	s_and_b64 s[0:1], vcc, s[0:1]
	v_mfma_f32_16x16x16bf16_1k v[14:17], v[16:17], v[36:37], v[42:45]
	s_waitcnt vmcnt(6) lgkmcnt(0)
	v_mfma_f32_16x16x16bf16_1k v[14:17], v[10:11], v[38:39], v[14:17]
	v_mfma_f32_16x16x16bf16_1k v[10:13], v[12:13], v[40:41], v[14:17]
	s_nop 7
	s_nop 1
	ds_read_b128 v[14:17], v47 offset:2048
	ds_read_b128 v[34:37], v47 offset:2064
	s_waitcnt vmcnt(5) lgkmcnt(1)
	v_mfma_f32_16x16x16bf16_1k v[10:13], v[6:7], v[14:15], v[10:13]
	v_mfma_f32_16x16x16bf16_1k v[6:9], v[8:9], v[16:17], v[10:13]
	s_waitcnt vmcnt(4) lgkmcnt(0)
	v_mfma_f32_16x16x16bf16_1k v[6:9], v[2:3], v[34:35], v[6:9]
	v_mfma_f32_16x16x16bf16_1k v[2:5], v[4:5], v[36:37], v[6:9]
	s_nop 7
	s_nop 1
	ds_read_b128 v[6:9], v47 offset:4096
	ds_read_b128 v[10:13], v47 offset:4112
	s_waitcnt vmcnt(3) lgkmcnt(1)
	v_mfma_f32_16x16x16bf16_1k v[2:5], v[30:31], v[6:7], v[2:5]
	v_mfma_f32_16x16x16bf16_1k v[2:5], v[32:33], v[8:9], v[2:5]
	s_waitcnt vmcnt(2) lgkmcnt(0)
	v_mfma_f32_16x16x16bf16_1k v[2:5], v[22:23], v[10:11], v[2:5]
	v_mfma_f32_16x16x16bf16_1k v[2:5], v[24:25], v[12:13], v[2:5]
	ds_read_b128 v[6:9], v47 offset:6144
	ds_read_b128 v[10:13], v47 offset:6160
	s_waitcnt lgkmcnt(0)
	s_barrier
	s_waitcnt vmcnt(1)
	v_mfma_f32_16x16x16bf16_1k v[2:5], v[26:27], v[6:7], v[2:5]
	v_mfma_f32_16x16x16bf16_1k v[2:5], v[28:29], v[8:9], v[2:5]
	s_waitcnt vmcnt(0)
	v_mfma_f32_16x16x16bf16_1k v[2:5], v[18:19], v[10:11], v[2:5]
	v_mfma_f32_16x16x16bf16_1k v[2:5], v[20:21], v[12:13], v[2:5]
	s_nop 7
	s_nop 2
	v_bfe_u32 v6, v3, 16, 1
	v_bfe_u32 v7, v2, 16, 1
	;; [unrolled: 1-line block ×4, first 2 shown]
	v_add3_u32 v2, v2, v7, s10
	v_add3_u32 v3, v3, v6, s10
	;; [unrolled: 1-line block ×4, first 2 shown]
	v_perm_b32 v2, v3, v2, s11
	v_perm_b32 v3, v5, v4, s11
	ds_write_b64 v46, v[2:3]
	s_waitcnt lgkmcnt(0)
	s_barrier
	s_and_saveexec_b64 s[10:11], s[0:1]
	s_cbranch_execz .LBB201_20
; %bb.18:
	s_load_dwordx2 s[4:5], s[4:5], 0x68
	s_lshl_b32 s0, s8, 6
	s_mul_i32 s1, s9, s6
	s_mul_hi_u32 s7, s1, s0
	s_mul_i32 s6, s1, s0
	s_lshl_b64 s[6:7], s[6:7], 1
	s_waitcnt lgkmcnt(0)
	s_add_u32 s1, s4, s6
	v_lshlrev_b32_e32 v0, 10, v0
	s_addc_u32 s4, s5, s7
	s_lshl_b32 s2, s28, 6
	v_and_b32_e32 v0, 0x1800, v0
	v_lshlrev_b32_e32 v2, 5, v1
	v_and_b32_e32 v3, 16, v51
	s_lshl_b64 s[2:3], s[2:3], 1
	v_or3_b32 v0, v0, v2, v3
	s_add_u32 s1, s1, s2
	v_or_b32_e32 v2, 8, v1
	s_addc_u32 s2, s4, s3
	ds_read_b128 v[6:9], v0 offset:128
	ds_read_b128 v[10:13], v0
	v_add_u32_e32 v1, s29, v1
	v_mov_b32_e32 v4, s2
	v_add_co_u32_e32 v3, vcc, s1, v50
	v_mad_u64_u32 v[14:15], s[2:3], v1, s0, 0
	v_addc_co_u32_e32 v4, vcc, 0, v4, vcc
	v_lshlrev_b64 v[14:15], 1, v[14:15]
	v_add_co_u32_e32 v14, vcc, v3, v14
	v_addc_co_u32_e32 v15, vcc, v4, v15, vcc
	v_add_u32_e32 v1, 4, v1
	s_waitcnt lgkmcnt(0)
	global_store_dwordx4 v[14:15], v[10:13], off
	s_nop 0
	v_mad_u64_u32 v[10:11], s[2:3], v1, s0, 0
	v_lshlrev_b64 v[10:11], 1, v[10:11]
	v_add_co_u32_e32 v10, vcc, v3, v10
	v_addc_co_u32_e32 v11, vcc, v4, v11, vcc
	v_cmp_gt_u32_e32 vcc, 10, v2
	global_store_dwordx4 v[10:11], v[6:9], off
	s_and_b64 exec, exec, vcc
	s_cbranch_execz .LBB201_20
; %bb.19:
	ds_read_b128 v[6:9], v0 offset:256
	v_add_u32_e32 v0, s29, v2
	v_mad_u64_u32 v[0:1], s[0:1], v0, s0, 0
	v_lshlrev_b64 v[0:1], 1, v[0:1]
	v_add_co_u32_e32 v0, vcc, v3, v0
	v_addc_co_u32_e32 v1, vcc, v4, v1, vcc
	s_waitcnt lgkmcnt(0)
	global_store_dwordx4 v[0:1], v[6:9], off
.LBB201_20:
	s_endpgm
	.section	.rodata,"a",@progbits
	.p2align	6, 0x0
	.amdhsa_kernel _Z39paged_attention_ll4mi_QKV_mfma16_kernelI14__hip_bfloat16S0_LN4vllm18Fp8KVCacheDataTypeE0ES0_Li16ELi64ELi256ELb1ELi10EL8MFMAType0EEvPKT_PKT0_S9_ifPKiSB_SB_iPKfiiiPfSE_PS4_PT2_iSD_SD_
		.amdhsa_group_segment_fixed_size 8192
		.amdhsa_private_segment_fixed_size 0
		.amdhsa_kernarg_size 400
		.amdhsa_user_sgpr_count 6
		.amdhsa_user_sgpr_private_segment_buffer 1
		.amdhsa_user_sgpr_dispatch_ptr 0
		.amdhsa_user_sgpr_queue_ptr 0
		.amdhsa_user_sgpr_kernarg_segment_ptr 1
		.amdhsa_user_sgpr_dispatch_id 0
		.amdhsa_user_sgpr_flat_scratch_init 0
		.amdhsa_user_sgpr_kernarg_preload_length 0
		.amdhsa_user_sgpr_kernarg_preload_offset 0
		.amdhsa_user_sgpr_private_segment_size 0
		.amdhsa_uses_dynamic_stack 0
		.amdhsa_system_sgpr_private_segment_wavefront_offset 0
		.amdhsa_system_sgpr_workgroup_id_x 1
		.amdhsa_system_sgpr_workgroup_id_y 1
		.amdhsa_system_sgpr_workgroup_id_z 1
		.amdhsa_system_sgpr_workgroup_info 0
		.amdhsa_system_vgpr_workitem_id 0
		.amdhsa_next_free_vgpr 67
		.amdhsa_next_free_sgpr 48
		.amdhsa_accum_offset 68
		.amdhsa_reserve_vcc 1
		.amdhsa_reserve_flat_scratch 0
		.amdhsa_float_round_mode_32 0
		.amdhsa_float_round_mode_16_64 0
		.amdhsa_float_denorm_mode_32 3
		.amdhsa_float_denorm_mode_16_64 3
		.amdhsa_dx10_clamp 1
		.amdhsa_ieee_mode 1
		.amdhsa_fp16_overflow 0
		.amdhsa_tg_split 0
		.amdhsa_exception_fp_ieee_invalid_op 0
		.amdhsa_exception_fp_denorm_src 0
		.amdhsa_exception_fp_ieee_div_zero 0
		.amdhsa_exception_fp_ieee_overflow 0
		.amdhsa_exception_fp_ieee_underflow 0
		.amdhsa_exception_fp_ieee_inexact 0
		.amdhsa_exception_int_div_zero 0
	.end_amdhsa_kernel
	.section	.text._Z39paged_attention_ll4mi_QKV_mfma16_kernelI14__hip_bfloat16S0_LN4vllm18Fp8KVCacheDataTypeE0ES0_Li16ELi64ELi256ELb1ELi10EL8MFMAType0EEvPKT_PKT0_S9_ifPKiSB_SB_iPKfiiiPfSE_PS4_PT2_iSD_SD_,"axG",@progbits,_Z39paged_attention_ll4mi_QKV_mfma16_kernelI14__hip_bfloat16S0_LN4vllm18Fp8KVCacheDataTypeE0ES0_Li16ELi64ELi256ELb1ELi10EL8MFMAType0EEvPKT_PKT0_S9_ifPKiSB_SB_iPKfiiiPfSE_PS4_PT2_iSD_SD_,comdat
.Lfunc_end201:
	.size	_Z39paged_attention_ll4mi_QKV_mfma16_kernelI14__hip_bfloat16S0_LN4vllm18Fp8KVCacheDataTypeE0ES0_Li16ELi64ELi256ELb1ELi10EL8MFMAType0EEvPKT_PKT0_S9_ifPKiSB_SB_iPKfiiiPfSE_PS4_PT2_iSD_SD_, .Lfunc_end201-_Z39paged_attention_ll4mi_QKV_mfma16_kernelI14__hip_bfloat16S0_LN4vllm18Fp8KVCacheDataTypeE0ES0_Li16ELi64ELi256ELb1ELi10EL8MFMAType0EEvPKT_PKT0_S9_ifPKiSB_SB_iPKfiiiPfSE_PS4_PT2_iSD_SD_
                                        ; -- End function
	.section	.AMDGPU.csdata,"",@progbits
; Kernel info:
; codeLenInByte = 4568
; NumSgprs: 52
; NumVgprs: 67
; NumAgprs: 0
; TotalNumVgprs: 67
; ScratchSize: 0
; MemoryBound: 0
; FloatMode: 240
; IeeeMode: 1
; LDSByteSize: 8192 bytes/workgroup (compile time only)
; SGPRBlocks: 6
; VGPRBlocks: 8
; NumSGPRsForWavesPerEU: 52
; NumVGPRsForWavesPerEU: 67
; AccumOffset: 68
; Occupancy: 7
; WaveLimiterHint : 1
; COMPUTE_PGM_RSRC2:SCRATCH_EN: 0
; COMPUTE_PGM_RSRC2:USER_SGPR: 6
; COMPUTE_PGM_RSRC2:TRAP_HANDLER: 0
; COMPUTE_PGM_RSRC2:TGID_X_EN: 1
; COMPUTE_PGM_RSRC2:TGID_Y_EN: 1
; COMPUTE_PGM_RSRC2:TGID_Z_EN: 1
; COMPUTE_PGM_RSRC2:TIDIG_COMP_CNT: 0
; COMPUTE_PGM_RSRC3_GFX90A:ACCUM_OFFSET: 16
; COMPUTE_PGM_RSRC3_GFX90A:TG_SPLIT: 0
	.section	.text._Z39paged_attention_ll4mi_QKV_mfma16_kernelI14__hip_bfloat16S0_LN4vllm18Fp8KVCacheDataTypeE0ES0_Li16ELi64ELi256ELb1ELi11EL8MFMAType0EEvPKT_PKT0_S9_ifPKiSB_SB_iPKfiiiPfSE_PS4_PT2_iSD_SD_,"axG",@progbits,_Z39paged_attention_ll4mi_QKV_mfma16_kernelI14__hip_bfloat16S0_LN4vllm18Fp8KVCacheDataTypeE0ES0_Li16ELi64ELi256ELb1ELi11EL8MFMAType0EEvPKT_PKT0_S9_ifPKiSB_SB_iPKfiiiPfSE_PS4_PT2_iSD_SD_,comdat
	.protected	_Z39paged_attention_ll4mi_QKV_mfma16_kernelI14__hip_bfloat16S0_LN4vllm18Fp8KVCacheDataTypeE0ES0_Li16ELi64ELi256ELb1ELi11EL8MFMAType0EEvPKT_PKT0_S9_ifPKiSB_SB_iPKfiiiPfSE_PS4_PT2_iSD_SD_ ; -- Begin function _Z39paged_attention_ll4mi_QKV_mfma16_kernelI14__hip_bfloat16S0_LN4vllm18Fp8KVCacheDataTypeE0ES0_Li16ELi64ELi256ELb1ELi11EL8MFMAType0EEvPKT_PKT0_S9_ifPKiSB_SB_iPKfiiiPfSE_PS4_PT2_iSD_SD_
	.globl	_Z39paged_attention_ll4mi_QKV_mfma16_kernelI14__hip_bfloat16S0_LN4vllm18Fp8KVCacheDataTypeE0ES0_Li16ELi64ELi256ELb1ELi11EL8MFMAType0EEvPKT_PKT0_S9_ifPKiSB_SB_iPKfiiiPfSE_PS4_PT2_iSD_SD_
	.p2align	8
	.type	_Z39paged_attention_ll4mi_QKV_mfma16_kernelI14__hip_bfloat16S0_LN4vllm18Fp8KVCacheDataTypeE0ES0_Li16ELi64ELi256ELb1ELi11EL8MFMAType0EEvPKT_PKT0_S9_ifPKiSB_SB_iPKfiiiPfSE_PS4_PT2_iSD_SD_,@function
_Z39paged_attention_ll4mi_QKV_mfma16_kernelI14__hip_bfloat16S0_LN4vllm18Fp8KVCacheDataTypeE0ES0_Li16ELi64ELi256ELb1ELi11EL8MFMAType0EEvPKT_PKT0_S9_ifPKiSB_SB_iPKfiiiPfSE_PS4_PT2_iSD_SD_: ; @_Z39paged_attention_ll4mi_QKV_mfma16_kernelI14__hip_bfloat16S0_LN4vllm18Fp8KVCacheDataTypeE0ES0_Li16ELi64ELi256ELb1ELi11EL8MFMAType0EEvPKT_PKT0_S9_ifPKiSB_SB_iPKfiiiPfSE_PS4_PT2_iSD_SD_
; %bb.0:
	s_load_dwordx2 s[0:1], s[4:5], 0x30
	s_mov_b32 s28, s7
	s_mov_b64 s[10:11], 0
	s_waitcnt lgkmcnt(0)
	s_cmp_lg_u64 s[0:1], 0
	s_cselect_b64 s[2:3], -1, 0
	s_and_b64 vcc, exec, s[2:3]
	s_cbranch_vccz .LBB202_7
; %bb.1:
	s_add_i32 s12, s6, 1
	s_mov_b32 s13, 0
	s_lshl_b64 s[14:15], s[12:13], 2
	s_add_u32 s14, s0, s14
	s_mov_b32 s7, s13
	s_addc_u32 s15, s1, s15
	s_lshl_b64 s[12:13], s[6:7], 2
	s_add_u32 s12, s0, s12
	s_addc_u32 s13, s1, s13
	s_load_dword s9, s[14:15], 0x0
	s_load_dword s16, s[12:13], 0x0
	s_waitcnt lgkmcnt(0)
	s_sub_i32 s9, s9, s16
	s_cmp_eq_u32 s9, 1
	s_cselect_b64 s[12:13], -1, 0
	s_andn2_b64 vcc, exec, s[10:11]
	s_cbranch_vccnz .LBB202_3
.LBB202_2:
	s_mov_b32 s7, 0
	s_mov_b64 s[12:13], -1
.LBB202_3:
	s_andn2_b64 vcc, exec, s[12:13]
	s_cbranch_vccnz .LBB202_20
; %bb.4:
	s_load_dwordx2 s[12:13], s[4:5], 0x28
	s_lshl_b64 s[10:11], s[6:7], 2
	s_waitcnt lgkmcnt(0)
	s_add_u32 s12, s12, s10
	s_addc_u32 s13, s13, s11
	s_load_dword s33, s[12:13], 0x0
	s_lshl_b32 s14, s28, 8
	s_waitcnt lgkmcnt(0)
	s_cmp_ge_i32 s14, s33
	s_cbranch_scc1 .LBB202_20
; %bb.5:
	s_add_i32 s15, s33, 15
	s_load_dwordx2 s[12:13], s[4:5], 0x20
	s_load_dword s9, s[4:5], 0x38
	s_ashr_i32 s16, s15, 31
	v_and_b32_e32 v1, 0xcf, v0
	s_lshr_b32 s16, s16, 28
	v_add_u32_e32 v1, s14, v1
	s_add_i32 s15, s15, s16
	v_ashrrev_i32_e32 v2, 31, v1
	s_ashr_i32 s17, s15, 4
	v_lshrrev_b32_e32 v4, 28, v2
	s_add_i32 s17, s17, -1
	v_add_u32_e32 v2, v1, v4
	s_waitcnt lgkmcnt(0)
	s_mul_i32 s18, s6, s9
	s_mov_b32 s19, 0
	v_ashrrev_i32_e32 v2, 4, v2
	v_mov_b32_e32 v5, s17
	v_cmp_gt_i32_e32 vcc, s33, v1
	s_lshl_b64 s[18:19], s[18:19], 2
	v_cndmask_b32_e32 v2, v5, v2, vcc
	s_add_u32 s15, s12, s18
	v_ashrrev_i32_e32 v3, 31, v2
	s_addc_u32 s16, s13, s19
	v_lshlrev_b64 v[2:3], 2, v[2:3]
	v_mov_b32_e32 v7, s16
	v_add_co_u32_e32 v6, vcc, s15, v2
	v_or_b32_e32 v2, 16, v1
	v_addc_co_u32_e32 v7, vcc, v7, v3, vcc
	v_add_u32_e32 v3, v2, v4
	v_ashrrev_i32_e32 v3, 4, v3
	v_cmp_gt_i32_e32 vcc, s33, v2
	v_cndmask_b32_e32 v2, v5, v3, vcc
	v_ashrrev_i32_e32 v3, 31, v2
	v_lshlrev_b64 v[2:3], 2, v[2:3]
	v_mov_b32_e32 v9, s16
	v_add_co_u32_e32 v8, vcc, s15, v2
	v_or_b32_e32 v2, 32, v1
	v_addc_co_u32_e32 v9, vcc, v9, v3, vcc
	v_add_u32_e32 v3, v2, v4
	v_ashrrev_i32_e32 v3, 4, v3
	v_cmp_gt_i32_e32 vcc, s33, v2
	v_cndmask_b32_e32 v2, v5, v3, vcc
	v_ashrrev_i32_e32 v3, 31, v2
	;; [unrolled: 10-line block ×3, first 2 shown]
	v_lshlrev_b64 v[2:3], 2, v[2:3]
	v_mov_b32_e32 v1, s16
	v_add_co_u32_e32 v12, vcc, s15, v2
	v_addc_co_u32_e32 v13, vcc, v1, v3, vcc
	global_load_dword v5, v[6:7], off
	global_load_dword v4, v[8:9], off
	;; [unrolled: 1-line block ×4, first 2 shown]
	s_load_dwordx2 s[12:13], s[4:5], 0x8
	s_andn2_b64 vcc, exec, s[2:3]
	s_cbranch_vccnz .LBB202_8
; %bb.6:
	s_add_u32 s0, s0, s10
	s_addc_u32 s1, s1, s11
	s_load_dword s9, s[0:1], 0x0
	s_branch .LBB202_9
.LBB202_7:
	s_mov_b64 s[12:13], 0
	s_branch .LBB202_2
.LBB202_8:
	s_mov_b32 s9, s6
.LBB202_9:
	s_load_dwordx2 s[2:3], s[4:5], 0x10
	s_load_dwordx4 s[44:47], s[4:5], 0x48
	v_lshrrev_b32_e32 v53, 6, v0
	v_bfe_u32 v1, v0, 4, 2
	v_lshl_or_b32 v6, v53, 2, v1
	v_and_b32_e32 v52, 15, v0
	v_lshlrev_b32_e32 v7, 3, v52
	v_cmp_gt_u32_e32 vcc, 11, v6
	v_cmp_gt_u32_e64 s[0:1], 8, v52
	s_mul_i32 s29, s8, 11
	s_and_b64 s[18:19], s[0:1], vcc
	v_lshlrev_b32_e32 v50, 1, v7
	s_and_saveexec_b64 s[10:11], s[18:19]
	s_cbranch_execz .LBB202_11
; %bb.10:
	s_load_dwordx2 s[18:19], s[4:5], 0x0
	s_waitcnt lgkmcnt(0)
	s_ashr_i32 s20, s44, 31
	s_mul_hi_u32 s21, s9, s44
	s_mul_i32 s20, s9, s20
	s_add_i32 s21, s21, s20
	s_mul_i32 s20, s9, s44
	s_lshl_b64 s[20:21], s[20:21], 1
	v_add_lshl_u32 v8, v6, s29, 6
	s_add_u32 s9, s18, s20
	v_ashrrev_i32_e32 v9, 31, v8
	s_addc_u32 s18, s19, s21
	v_lshlrev_b64 v[8:9], 1, v[8:9]
	v_mov_b32_e32 v7, s18
	v_add_co_u32_e32 v8, vcc, s9, v8
	v_addc_co_u32_e32 v7, vcc, v7, v9, vcc
	v_add_co_u32_e32 v8, vcc, v8, v50
	v_addc_co_u32_e32 v9, vcc, 0, v7, vcc
	global_load_dwordx4 v[8:11], v[8:9], off
	v_and_b32_e32 v7, 3, v0
	v_lshlrev_b32_e32 v12, 9, v52
	v_lshlrev_b32_e32 v6, 5, v6
	;; [unrolled: 1-line block ×3, first 2 shown]
	v_and_b32_e32 v12, 0x1800, v12
	v_or3_b32 v6, v12, v7, v6
	s_waitcnt vmcnt(0)
	ds_write_b128 v6, v[8:11]
.LBB202_11:
	s_or_b64 exec, exec, s[10:11]
	s_waitcnt lgkmcnt(0)
	s_mul_i32 s8, s8, s46
	s_mov_b32 s9, 0
	s_lshl_b64 s[8:9], s[8:9], 1
	s_add_u32 s10, s12, s8
	v_lshlrev_b32_e32 v51, 4, v0
	s_addc_u32 s11, s13, s9
	v_and_b32_e32 v6, 0xf0, v51
	v_mov_b32_e32 v7, s11
	v_add_co_u32_e32 v18, vcc, s10, v6
	v_addc_co_u32_e32 v19, vcc, 0, v7, vcc
	s_waitcnt vmcnt(3)
	v_mad_i64_i32 v[6:7], s[10:11], v5, s45, 0
	v_lshlrev_b64 v[6:7], 1, v[6:7]
	v_add_co_u32_e32 v5, vcc, v18, v6
	v_addc_co_u32_e32 v7, vcc, v19, v7, vcc
	v_and_b32_e32 v20, 0x300, v51
	v_add_co_u32_e32 v6, vcc, v5, v20
	s_waitcnt vmcnt(2)
	v_mad_i64_i32 v[4:5], s[10:11], v4, s45, 0
	v_addc_co_u32_e32 v7, vcc, 0, v7, vcc
	v_lshlrev_b64 v[4:5], 1, v[4:5]
	v_add_co_u32_e32 v4, vcc, v18, v4
	v_addc_co_u32_e32 v5, vcc, v19, v5, vcc
	v_add_co_u32_e32 v4, vcc, v4, v20
	v_addc_co_u32_e32 v5, vcc, 0, v5, vcc
	s_barrier
	global_load_dwordx4 v[38:41], v[6:7], off
	global_load_dwordx4 v[34:37], v[6:7], off offset:1024
	global_load_dwordx4 v[30:33], v[4:5], off
	global_load_dwordx4 v[14:17], v[4:5], off offset:1024
	s_waitcnt vmcnt(5)
	v_mad_i64_i32 v[4:5], s[10:11], v3, s45, 0
	v_lshlrev_b64 v[4:5], 1, v[4:5]
	v_add_co_u32_e32 v3, vcc, v18, v4
	v_addc_co_u32_e32 v5, vcc, v19, v5, vcc
	v_add_co_u32_e32 v4, vcc, v3, v20
	s_waitcnt vmcnt(4)
	v_mad_i64_i32 v[2:3], s[10:11], v2, s45, 0
	v_addc_co_u32_e32 v5, vcc, 0, v5, vcc
	v_lshlrev_b64 v[2:3], 1, v[2:3]
	v_add_co_u32_e32 v2, vcc, v18, v2
	v_addc_co_u32_e32 v3, vcc, v19, v3, vcc
	v_add_co_u32_e32 v22, vcc, v2, v20
	v_addc_co_u32_e32 v23, vcc, 0, v3, vcc
	global_load_dwordx4 v[10:13], v[4:5], off
	global_load_dwordx4 v[6:9], v[4:5], off offset:1024
	s_nop 0
	global_load_dwordx4 v[2:5], v[22:23], off
	global_load_dwordx4 v[18:21], v[22:23], off offset:1024
	v_add_u32_e32 v22, -11, v52
	v_cmp_gt_u32_e32 vcc, 11, v52
	v_cndmask_b32_e32 v22, v22, v52, vcc
	v_lshlrev_b32_e32 v22, 5, v22
	v_lshl_add_u32 v22, v1, 9, v22
	ds_read_b128 v[26:29], v22
	ds_read_b128 v[22:25], v22 offset:2048
	v_and_b32_e32 v54, 63, v0
	v_mov_b32_e32 v48, 0
	s_and_saveexec_b64 s[10:11], vcc
	s_cbranch_execz .LBB202_13
; %bb.12:
	s_load_dwordx2 s[12:13], s[4:5], 0x40
	v_add_u32_e32 v42, s29, v52
	v_ashrrev_i32_e32 v43, 31, v42
	v_lshlrev_b64 v[42:43], 2, v[42:43]
	s_waitcnt lgkmcnt(0)
	v_mov_b32_e32 v44, s13
	v_add_co_u32_e32 v42, vcc, s12, v42
	v_addc_co_u32_e32 v43, vcc, v44, v43, vcc
	global_load_dword v48, v[42:43], off
.LBB202_13:
	s_or_b64 exec, exec, s[10:11]
	s_waitcnt vmcnt(7) lgkmcnt(1)
	v_mfma_f32_16x16x16bf16_1k v[42:45], v[38:39], v[26:27], 0
	s_add_u32 s2, s2, s8
	v_lshlrev_b32_e32 v55, 5, v52
	s_addc_u32 s3, s3, s9
	s_load_dword s10, s[4:5], 0x1c
	s_mov_b32 s42, 0xff7fffff
	v_mfma_f32_16x16x16bf16_1k v[38:41], v[40:41], v[28:29], v[42:45]
	s_waitcnt vmcnt(6) lgkmcnt(0)
	v_mfma_f32_16x16x16bf16_1k v[38:41], v[34:35], v[22:23], v[38:41]
	s_nop 4
	v_and_or_b32 v44, v0, 48, s14
	v_mov_b32_e32 v45, s17
	v_cmp_gt_i32_e32 vcc, s33, v44
	v_mfma_f32_16x16x16bf16_1k v[34:37], v[36:37], v[24:25], v[38:41]
	s_nop 6
	v_ashrrev_i32_e32 v38, 4, v44
	v_cndmask_b32_e32 v42, v45, v38, vcc
	v_ashrrev_i32_e32 v43, 31, v42
	s_waitcnt vmcnt(5)
	v_mfma_f32_16x16x16bf16_1k v[38:41], v[30:31], v[26:27], 0
	v_lshlrev_b64 v[30:31], 2, v[42:43]
	v_mov_b32_e32 v42, s16
	v_add_co_u32_e32 v30, vcc, s15, v30
	v_addc_co_u32_e32 v31, vcc, v42, v31, vcc
	global_load_dword v42, v[30:31], off
	v_mfma_f32_16x16x16bf16_1k v[30:33], v[32:33], v[28:29], v[38:41]
	v_pk_mul_f32 v[46:47], s[10:11], v[36:37] op_sel_hi:[0,1]
	s_nop 5
	v_or_b32_e32 v38, 64, v44
	v_ashrrev_i32_e32 v39, 4, v38
	v_cmp_gt_i32_e32 vcc, s33, v38
	v_cndmask_b32_e32 v38, v45, v39, vcc
	v_ashrrev_i32_e32 v39, 31, v38
	v_lshlrev_b64 v[38:39], 2, v[38:39]
	s_waitcnt vmcnt(5)
	v_mfma_f32_16x16x16bf16_1k v[30:33], v[14:15], v[22:23], v[30:33]
	v_mov_b32_e32 v40, s16
	v_add_co_u32_e32 v14, vcc, s15, v38
	v_addc_co_u32_e32 v15, vcc, v40, v39, vcc
	global_load_dword v40, v[14:15], off
	v_or_b32_e32 v14, 0x80, v44
	v_ashrrev_i32_e32 v15, 4, v14
	v_cmp_gt_i32_e32 vcc, s33, v14
	v_cndmask_b32_e32 v14, v45, v15, vcc
	v_ashrrev_i32_e32 v15, 31, v14
	v_lshlrev_b64 v[14:15], 2, v[14:15]
	v_mfma_f32_16x16x16bf16_1k v[30:33], v[16:17], v[24:25], v[30:33]
	v_mov_b32_e32 v16, s16
	v_add_co_u32_e32 v38, vcc, s15, v14
	v_addc_co_u32_e32 v39, vcc, v16, v15, vcc
	global_load_dword v38, v[38:39], off
	s_waitcnt vmcnt(6)
	v_mfma_f32_16x16x16bf16_1k v[14:17], v[10:11], v[26:27], 0
	v_mfma_f32_16x16x16bf16_1k v[10:13], v[12:13], v[28:29], v[14:17]
	s_nop 7
	s_nop 1
	v_or_b32_e32 v14, 0xc0, v44
	v_ashrrev_i32_e32 v15, 4, v14
	v_cmp_gt_i32_e32 vcc, s33, v14
	v_cndmask_b32_e32 v14, v45, v15, vcc
	s_waitcnt vmcnt(5)
	v_mfma_f32_16x16x16bf16_1k v[10:13], v[6:7], v[22:23], v[10:13]
	v_ashrrev_i32_e32 v15, 31, v14
	v_lshlrev_b64 v[14:15], 2, v[14:15]
	v_mov_b32_e32 v16, s16
	v_add_co_u32_e32 v6, vcc, s15, v14
	v_addc_co_u32_e32 v7, vcc, v16, v15, vcc
	global_load_dword v49, v[6:7], off
	v_lshl_or_b32 v6, v53, 9, v55
	v_mov_b32_e32 v7, s3
	v_add_co_u32_e32 v60, vcc, s2, v6
	v_addc_co_u32_e32 v61, vcc, 0, v7, vcc
	v_mfma_f32_16x16x16bf16_1k v[56:59], v[8:9], v[24:25], v[10:13]
	v_pk_mul_f32 v[44:45], s[10:11], v[30:31] op_sel_hi:[0,1]
	s_waitcnt vmcnt(3)
	v_mad_i64_i32 v[6:7], s[2:3], v42, s45, 0
	s_nop 3
	v_lshlrev_b64 v[10:11], 1, v[6:7]
	v_mfma_f32_16x16x16bf16_1k v[6:9], v[2:3], v[26:27], 0
	v_add_co_u32_e32 v2, vcc, v60, v10
	v_addc_co_u32_e32 v3, vcc, v61, v11, vcc
	global_load_dwordx4 v[14:17], v[2:3], off
	global_load_dwordx4 v[10:13], v[2:3], off offset:16
	v_pk_mul_f32 v[42:43], s[10:11], v[32:33] op_sel_hi:[0,1]
	s_waitcnt vmcnt(4)
	v_mad_i64_i32 v[2:3], s[2:3], v40, s45, 0
	v_mfma_f32_16x16x16bf16_1k v[26:29], v[4:5], v[28:29], v[6:9]
	v_lshlrev_b64 v[2:3], 1, v[2:3]
	v_add_co_u32_e32 v2, vcc, v60, v2
	v_addc_co_u32_e32 v3, vcc, v61, v3, vcc
	v_pk_mul_f32 v[40:41], s[10:11], v[56:57] op_sel_hi:[0,1]
	s_nop 2
	global_load_dwordx4 v[6:9], v[2:3], off
	s_nop 0
	global_load_dwordx4 v[2:5], v[2:3], off offset:16
	v_mfma_f32_16x16x16bf16_1k v[26:29], v[18:19], v[22:23], v[26:29]
	v_pk_mul_f32 v[18:19], s[10:11], v[34:35] op_sel_hi:[0,1]
	s_waitcnt vmcnt(5)
	v_mad_i64_i32 v[38:39], s[2:3], v38, s45, 0
	v_lshlrev_b64 v[38:39], 1, v[38:39]
	v_add_co_u32_e32 v22, vcc, v60, v38
	v_mfma_f32_16x16x16bf16_1k v[24:27], v[20:21], v[24:25], v[26:29]
	v_and_b32_e32 v20, 0xc0, v0
	v_add_u32_e32 v20, s14, v20
	v_lshl_or_b32 v20, v1, 2, v20
	v_or_b32_e32 v21, 1, v20
	v_addc_co_u32_e32 v23, vcc, v61, v39, vcc
	v_pk_mul_f32 v[38:39], s[10:11], v[58:59] op_sel_hi:[0,1]
	s_nop 4
	v_pk_mul_f32 v[36:37], s[10:11], v[24:25] op_sel_hi:[0,1]
	v_subrev_u32_e32 v24, s33, v21
	v_pk_mul_f32 v[34:35], s[10:11], v[26:27] op_sel_hi:[0,1]
	v_add_u32_e32 v26, 1, v24
	v_add_u32_e32 v27, 2, v24
	v_cvt_f32_i32_e32 v25, v24
	v_cvt_f32_i32_e32 v26, v26
	;; [unrolled: 1-line block ×3, first 2 shown]
	v_add_u32_e32 v28, 3, v24
	v_fma_f32 v18, v48, v25, v18
	v_fmac_f32_e32 v19, v48, v26
	v_fma_f32 v46, v48, v27, v46
	v_add_u32_e32 v25, 16, v24
	v_add_u32_e32 v26, 17, v24
	;; [unrolled: 1-line block ×3, first 2 shown]
	v_cvt_f32_i32_e32 v28, v28
	v_cvt_f32_i32_e32 v25, v25
	;; [unrolled: 1-line block ×4, first 2 shown]
	v_fmac_f32_e32 v47, v48, v28
	v_add_u32_e32 v28, 19, v24
	v_fma_f32 v44, v48, v25, v44
	v_fmac_f32_e32 v45, v48, v26
	v_fma_f32 v42, v48, v27, v42
	v_add_u32_e32 v25, 32, v24
	v_add_u32_e32 v26, 33, v24
	;; [unrolled: 1-line block ×3, first 2 shown]
	v_cvt_f32_i32_e32 v28, v28
	v_cvt_f32_i32_e32 v25, v25
	;; [unrolled: 1-line block ×4, first 2 shown]
	v_fmac_f32_e32 v43, v48, v28
	v_add_u32_e32 v28, 35, v24
	v_fma_f32 v40, v48, v25, v40
	v_fmac_f32_e32 v41, v48, v26
	v_fma_f32 v38, v48, v27, v38
	v_add_u32_e32 v25, 48, v24
	v_add_u32_e32 v26, 49, v24
	;; [unrolled: 1-line block ×4, first 2 shown]
	v_cvt_f32_i32_e32 v24, v24
	v_cvt_f32_i32_e32 v25, v25
	;; [unrolled: 1-line block ×3, first 2 shown]
	v_cmp_gt_i32_e64 s[30:31], s33, v20
	v_fmac_f32_e32 v35, v48, v24
	v_mov_b32_e32 v24, 0xff7fffff
	v_cmp_gt_i32_e64 s[34:35], s33, v21
	v_fma_f32 v36, v48, v25, v36
	v_cndmask_b32_e64 v25, v24, v18, s[30:31]
	v_cndmask_b32_e64 v21, v24, v19, s[34:35]
	v_fmac_f32_e32 v37, v48, v26
	v_max3_f32 v21, v25, s42, v21
	v_or_b32_e32 v25, 2, v20
	v_or_b32_e32 v26, 3, v20
	v_cmp_gt_i32_e64 s[36:37], s33, v25
	v_cmp_gt_i32_e64 s[38:39], s33, v26
	v_cndmask_b32_e64 v25, v24, v46, s[36:37]
	v_cndmask_b32_e64 v26, v24, v47, s[38:39]
	v_max3_f32 v21, v21, v25, v26
	v_or_b32_e32 v25, 16, v20
	v_or_b32_e32 v26, 17, v20
	v_cmp_gt_i32_e64 s[24:25], s33, v25
	v_cmp_gt_i32_e64 s[26:27], s33, v26
	v_cndmask_b32_e64 v25, v24, v44, s[24:25]
	v_cndmask_b32_e64 v26, v24, v45, s[26:27]
	;; [unrolled: 7-line block ×3, first 2 shown]
	v_cvt_f32_i32_e32 v28, v28
	v_max3_f32 v21, v21, v25, v26
	v_or_b32_e32 v25, 32, v20
	v_or_b32_e32 v26, 33, v20
	v_cmp_gt_i32_e64 s[16:17], s33, v25
	v_cmp_gt_i32_e64 s[18:19], s33, v26
	v_cndmask_b32_e64 v25, v24, v40, s[16:17]
	v_cndmask_b32_e64 v26, v24, v41, s[18:19]
	v_max3_f32 v21, v21, v25, v26
	v_or_b32_e32 v25, 34, v20
	v_or_b32_e32 v26, 35, v20
	v_fmac_f32_e32 v39, v48, v28
	v_cmp_gt_i32_e64 s[12:13], s33, v25
	v_cmp_gt_i32_e64 s[14:15], s33, v26
	v_cndmask_b32_e64 v25, v24, v38, s[12:13]
	v_cndmask_b32_e64 v26, v24, v39, s[14:15]
	v_cvt_f32_i32_e32 v27, v27
	v_max3_f32 v21, v21, v25, v26
	v_or_b32_e32 v25, 48, v20
	v_or_b32_e32 v26, 49, v20
	v_cmp_gt_i32_e64 s[8:9], s33, v25
	v_cmp_gt_i32_e64 s[10:11], s33, v26
	v_cndmask_b32_e64 v25, v24, v36, s[8:9]
	v_cndmask_b32_e64 v26, v24, v37, s[10:11]
	v_max3_f32 v21, v21, v25, v26
	v_or_b32_e32 v25, 50, v20
	v_or_b32_e32 v20, 51, v20
	v_fma_f32 v34, v48, v27, v34
	v_cmp_gt_i32_e32 vcc, s33, v25
	v_cmp_gt_i32_e64 s[2:3], s33, v20
	v_cndmask_b32_e32 v25, v24, v34, vcc
	v_cndmask_b32_e64 v20, v24, v35, s[2:3]
	v_max3_f32 v26, v21, v25, v20
	v_mbcnt_lo_u32_b32 v20, -1, 0
	v_mbcnt_hi_u32_b32 v27, -1, v20
	v_and_b32_e32 v20, 64, v27
	v_add_u32_e32 v28, 64, v20
	v_xor_b32_e32 v20, 32, v27
	v_cmp_lt_i32_e64 s[40:41], v20, v28
	v_cndmask_b32_e64 v20, v27, v20, s[40:41]
	v_lshlrev_b32_e32 v57, 2, v20
	ds_bpermute_b32 v29, v57, v26
	s_waitcnt vmcnt(4)
	v_mad_i64_i32 v[20:21], s[40:41], v49, s45, 0
	v_lshlrev_b64 v[20:21], 1, v[20:21]
	global_load_dwordx4 v[30:33], v[22:23], off
	s_nop 0
	global_load_dwordx4 v[22:25], v[22:23], off offset:16
	s_waitcnt lgkmcnt(0)
	v_max_f32_e32 v29, v29, v29
	v_max_f32_e32 v26, v26, v29
	v_xor_b32_e32 v29, 16, v27
	v_cmp_lt_i32_e64 s[40:41], v29, v28
	v_cndmask_b32_e64 v27, v27, v29, s[40:41]
	v_lshlrev_b32_e32 v59, 2, v27
	ds_bpermute_b32 v27, v59, v26
	v_add_co_u32_e64 v20, s[40:41], v60, v20
	v_addc_co_u32_e64 v21, s[40:41], v61, v21, s[40:41]
	s_waitcnt lgkmcnt(0)
	v_max_f32_e32 v27, v27, v27
	v_max_f32_e32 v56, v26, v27
	v_sub_f32_e32 v18, v18, v56
	v_mul_f32_e32 v18, 0x3fb8aa3b, v18
	v_exp_f32_e32 v48, v18
	v_sub_f32_e32 v18, v19, v56
	v_mul_f32_e32 v18, 0x3fb8aa3b, v18
	v_exp_f32_e32 v49, v18
	global_load_dwordx4 v[26:29], v[20:21], off
	s_nop 0
	global_load_dwordx4 v[18:21], v[20:21], off offset:16
	v_sub_f32_e32 v46, v46, v56
	v_mul_f32_e32 v46, 0x3fb8aa3b, v46
	v_sub_f32_e32 v47, v47, v56
	v_exp_f32_e32 v46, v46
	v_mul_f32_e32 v47, 0x3fb8aa3b, v47
	v_sub_f32_e32 v44, v44, v56
	v_exp_f32_e32 v47, v47
	v_mul_f32_e32 v44, 0x3fb8aa3b, v44
	v_sub_f32_e32 v45, v45, v56
	v_cndmask_b32_e64 v48, 0, v48, s[30:31]
	v_exp_f32_e32 v44, v44
	v_mul_f32_e32 v45, 0x3fb8aa3b, v45
	v_sub_f32_e32 v42, v42, v56
	v_add_f32_e32 v58, 0, v48
	v_cndmask_b32_e64 v49, 0, v49, s[34:35]
	v_exp_f32_e32 v45, v45
	v_mul_f32_e32 v42, 0x3fb8aa3b, v42
	v_sub_f32_e32 v43, v43, v56
	v_add_f32_e32 v58, v58, v49
	;; [unrolled: 5-line block ×10, first 2 shown]
	v_cndmask_b32_e64 v38, 0, v38, s[12:13]
	v_exp_f32_e32 v34, v34
	v_mul_f32_e32 v35, 0x3fb8aa3b, v35
	v_add_f32_e32 v58, v58, v38
	v_cndmask_b32_e64 v39, 0, v39, s[14:15]
	v_exp_f32_e32 v35, v35
	v_add_f32_e32 v58, v58, v39
	v_cndmask_b32_e64 v36, 0, v36, s[8:9]
	v_add_f32_e32 v58, v58, v36
	v_cndmask_b32_e64 v37, 0, v37, s[10:11]
	v_add_f32_e32 v58, v58, v37
	v_cndmask_b32_e32 v34, 0, v34, vcc
	v_add_f32_e32 v58, v58, v34
	v_cndmask_b32_e64 v35, 0, v35, s[2:3]
	v_add_f32_e32 v58, v58, v35
	ds_bpermute_b32 v57, v57, v58
	s_load_dword s9, s[4:5], 0x98
	v_cmp_gt_u32_e32 vcc, 16, v54
	s_waitcnt lgkmcnt(0)
	s_barrier
	v_add_f32_e32 v58, v58, v57
	ds_bpermute_b32 v59, v59, v58
	v_lshlrev_b32_e32 v57, 2, v52
	s_waitcnt lgkmcnt(0)
	s_and_saveexec_b64 s[2:3], vcc
	s_cbranch_execz .LBB202_15
; %bb.14:
	v_add_f32_e32 v54, v58, v59
	v_lshl_or_b32 v58, v53, 6, v57
	ds_write2st64_b32 v58, v56, v54 offset1:1
.LBB202_15:
	s_or_b64 exec, exec, s[2:3]
	s_load_dword s8, s[4:5], 0x94
	s_waitcnt lgkmcnt(0)
	s_barrier
	ds_read2_b32 v[58:59], v57 offset1:16
	ds_read2_b32 v[60:61], v57 offset0:32 offset1:48
	ds_read2_b32 v[62:63], v57 offset0:64 offset1:80
	s_movk_i32 s10, 0x7fff
	s_mov_b32 s11, 0x7060302
	s_waitcnt lgkmcnt(2)
	v_max3_f32 v54, v58, s42, v59
	s_waitcnt lgkmcnt(1)
	v_max3_f32 v54, v54, v60, v61
	v_sub_f32_e32 v56, v58, v54
	v_mul_f32_e32 v56, 0x3fb8aa3b, v56
	v_exp_f32_e32 v64, v56
	v_sub_f32_e32 v56, v59, v54
	v_mul_f32_e32 v56, 0x3fb8aa3b, v56
	v_exp_f32_e32 v65, v56
	;; [unrolled: 3-line block ×3, first 2 shown]
	ds_read2_b32 v[58:59], v57 offset0:96 offset1:112
	v_sub_f32_e32 v56, v61, v54
	v_mul_f32_e32 v56, 0x3fb8aa3b, v56
	v_exp_f32_e32 v57, v56
	s_waitcnt lgkmcnt(1)
	v_fma_f32 v56, v64, v62, 0
	v_fmac_f32_e32 v56, v65, v63
	s_waitcnt lgkmcnt(0)
	v_fmac_f32_e32 v56, v60, v58
	v_fmac_f32_e32 v56, v57, v59
	v_add_f32_e32 v58, 0x358637bd, v56
	v_div_scale_f32 v59, s[2:3], v58, v58, 1.0
	v_rcp_f32_e32 v61, v59
	s_mul_i32 s9, s9, 11
	s_barrier
	v_fma_f32 v62, -v59, v61, 1.0
	v_fmac_f32_e32 v61, v62, v61
	v_div_scale_f32 v62, vcc, 1.0, v58, 1.0
	v_mul_f32_e32 v63, v62, v61
	v_fma_f32 v66, -v59, v63, v62
	v_fmac_f32_e32 v63, v66, v61
	v_fma_f32 v59, -v59, v63, v62
	v_div_fmas_f32 v59, v59, v61, v63
	v_cmp_eq_u32_e32 vcc, 1, v53
	v_div_fixup_f32 v58, v59, v58, 1.0
	v_cndmask_b32_e32 v59, v64, v65, vcc
	v_cmp_eq_u32_e32 vcc, 2, v53
	v_cndmask_b32_e32 v59, v59, v60, vcc
	v_cmp_eq_u32_e32 vcc, 3, v53
	v_cndmask_b32_e32 v57, v59, v57, vcc
	v_mul_f32_e32 v58, v57, v58
	v_pk_mul_f32 v[48:49], v[58:59], v[48:49] op_sel_hi:[0,1]
	v_pk_mul_f32 v[46:47], v[58:59], v[46:47] op_sel_hi:[0,1]
	v_bfe_u32 v57, v49, 16, 1
	v_bfe_u32 v59, v48, 16, 1
	v_add3_u32 v48, v48, v59, s10
	v_add3_u32 v49, v49, v57, s10
	v_perm_b32 v48, v49, v48, s11
	v_bfe_u32 v49, v47, 16, 1
	v_bfe_u32 v57, v46, 16, 1
	v_add3_u32 v46, v46, v57, s10
	v_add3_u32 v47, v47, v49, s10
	v_perm_b32 v49, v47, v46, s11
	v_lshlrev_b32_e32 v46, 3, v1
	v_lshlrev_b32_e32 v47, 11, v53
	v_pk_mul_f32 v[44:45], v[58:59], v[44:45] op_sel_hi:[0,1]
	v_or3_b32 v46, v47, v55, v46
	v_bfe_u32 v47, v45, 16, 1
	v_bfe_u32 v53, v44, 16, 1
	v_pk_mul_f32 v[42:43], v[58:59], v[42:43] op_sel_hi:[0,1]
	v_add3_u32 v44, v44, v53, s10
	v_add3_u32 v45, v45, v47, s10
	v_perm_b32 v44, v45, v44, s11
	v_bfe_u32 v45, v43, 16, 1
	v_bfe_u32 v47, v42, 16, 1
	v_add3_u32 v42, v42, v47, s10
	v_add3_u32 v43, v43, v45, s10
	v_pk_mul_f32 v[40:41], v[58:59], v[40:41] op_sel_hi:[0,1]
	v_perm_b32 v45, v43, v42, s11
	v_bfe_u32 v42, v41, 16, 1
	v_bfe_u32 v43, v40, 16, 1
	v_pk_mul_f32 v[38:39], v[58:59], v[38:39] op_sel_hi:[0,1]
	v_add3_u32 v40, v40, v43, s10
	v_add3_u32 v41, v41, v42, s10
	v_perm_b32 v40, v41, v40, s11
	v_bfe_u32 v41, v39, 16, 1
	v_bfe_u32 v42, v38, 16, 1
	v_add3_u32 v38, v38, v42, s10
	v_add3_u32 v39, v39, v41, s10
	v_pk_mul_f32 v[36:37], v[58:59], v[36:37] op_sel_hi:[0,1]
	v_perm_b32 v41, v39, v38, s11
	v_bfe_u32 v38, v37, 16, 1
	v_bfe_u32 v39, v36, 16, 1
	v_pk_mul_f32 v[34:35], v[58:59], v[34:35] op_sel_hi:[0,1]
	v_add3_u32 v36, v36, v39, s10
	v_add3_u32 v37, v37, v38, s10
	v_perm_b32 v36, v37, v36, s11
	v_bfe_u32 v37, v35, 16, 1
	v_bfe_u32 v38, v34, 16, 1
	v_add3_u32 v34, v34, v38, s10
	v_add3_u32 v35, v35, v37, s10
	v_perm_b32 v37, v35, v34, s11
	v_cmp_gt_u32_e32 vcc, 11, v0
	ds_write2st64_b64 v46, v[48:49], v[44:45] offset1:1
	ds_write2st64_b64 v46, v[40:41], v[36:37] offset0:2 offset1:3
	s_and_saveexec_b64 s[2:3], vcc
	s_cbranch_execz .LBB202_17
; %bb.16:
	v_add_co_u32_e32 v36, vcc, s29, v52
	v_addc_co_u32_e64 v37, s[16:17], 0, 0, vcc
	v_mov_b32_e32 v34, s9
	v_mov_b32_e32 v35, 0
	v_mad_u64_u32 v[36:37], s[16:17], s6, v34, v[36:37]
	v_mov_b32_e32 v34, s28
	s_load_dwordx4 s[12:15], s[4:5], 0x58
	s_mul_i32 s7, s7, s9
	v_mad_u64_u32 v[34:35], s[16:17], v36, s8, v[34:35]
	v_add_u32_e32 v37, s7, v37
	v_mov_b32_e32 v36, v35
	v_mad_u64_u32 v[36:37], s[16:17], v37, s8, v[36:37]
	v_mov_b32_e32 v35, v36
	v_lshlrev_b64 v[34:35], 2, v[34:35]
	s_waitcnt lgkmcnt(0)
	v_mov_b32_e32 v37, s15
	v_add_co_u32_e32 v36, vcc, s14, v34
	v_addc_co_u32_e32 v37, vcc, v37, v35, vcc
	global_store_dword v[36:37], v54, off
	v_mov_b32_e32 v36, s13
	v_add_co_u32_e32 v34, vcc, s12, v34
	v_addc_co_u32_e32 v35, vcc, v36, v35, vcc
	global_store_dword v[34:35], v56, off
.LBB202_17:
	s_or_b64 exec, exec, s[2:3]
	v_lshl_or_b32 v47, v1, 9, v55
	s_waitcnt lgkmcnt(0)
	s_barrier
	ds_read_b128 v[34:37], v47
	ds_read_b128 v[38:41], v47 offset:16
	s_waitcnt vmcnt(7) lgkmcnt(1)
	v_mfma_f32_16x16x16bf16_1k v[42:45], v[14:15], v[34:35], 0
	v_cmp_gt_u32_e32 vcc, 64, v0
	s_mov_b32 s3, 0
	s_and_b64 s[0:1], vcc, s[0:1]
	v_mfma_f32_16x16x16bf16_1k v[14:17], v[16:17], v[36:37], v[42:45]
	s_waitcnt vmcnt(6) lgkmcnt(0)
	v_mfma_f32_16x16x16bf16_1k v[14:17], v[10:11], v[38:39], v[14:17]
	v_mfma_f32_16x16x16bf16_1k v[10:13], v[12:13], v[40:41], v[14:17]
	s_nop 7
	s_nop 1
	ds_read_b128 v[14:17], v47 offset:2048
	ds_read_b128 v[34:37], v47 offset:2064
	s_waitcnt vmcnt(5) lgkmcnt(1)
	v_mfma_f32_16x16x16bf16_1k v[10:13], v[6:7], v[14:15], v[10:13]
	v_mfma_f32_16x16x16bf16_1k v[6:9], v[8:9], v[16:17], v[10:13]
	s_waitcnt vmcnt(4) lgkmcnt(0)
	v_mfma_f32_16x16x16bf16_1k v[6:9], v[2:3], v[34:35], v[6:9]
	v_mfma_f32_16x16x16bf16_1k v[2:5], v[4:5], v[36:37], v[6:9]
	s_nop 7
	s_nop 1
	ds_read_b128 v[6:9], v47 offset:4096
	ds_read_b128 v[10:13], v47 offset:4112
	s_waitcnt vmcnt(3) lgkmcnt(1)
	v_mfma_f32_16x16x16bf16_1k v[2:5], v[30:31], v[6:7], v[2:5]
	v_mfma_f32_16x16x16bf16_1k v[2:5], v[32:33], v[8:9], v[2:5]
	s_waitcnt vmcnt(2) lgkmcnt(0)
	v_mfma_f32_16x16x16bf16_1k v[2:5], v[22:23], v[10:11], v[2:5]
	v_mfma_f32_16x16x16bf16_1k v[2:5], v[24:25], v[12:13], v[2:5]
	ds_read_b128 v[6:9], v47 offset:6144
	ds_read_b128 v[10:13], v47 offset:6160
	s_waitcnt lgkmcnt(0)
	s_barrier
	s_waitcnt vmcnt(1)
	v_mfma_f32_16x16x16bf16_1k v[2:5], v[26:27], v[6:7], v[2:5]
	v_mfma_f32_16x16x16bf16_1k v[2:5], v[28:29], v[8:9], v[2:5]
	s_waitcnt vmcnt(0)
	v_mfma_f32_16x16x16bf16_1k v[2:5], v[18:19], v[10:11], v[2:5]
	v_mfma_f32_16x16x16bf16_1k v[2:5], v[20:21], v[12:13], v[2:5]
	s_nop 7
	s_nop 2
	v_bfe_u32 v6, v3, 16, 1
	v_bfe_u32 v7, v2, 16, 1
	;; [unrolled: 1-line block ×4, first 2 shown]
	v_add3_u32 v2, v2, v7, s10
	v_add3_u32 v3, v3, v6, s10
	;; [unrolled: 1-line block ×4, first 2 shown]
	v_perm_b32 v2, v3, v2, s11
	v_perm_b32 v3, v5, v4, s11
	ds_write_b64 v46, v[2:3]
	s_waitcnt lgkmcnt(0)
	s_barrier
	s_and_saveexec_b64 s[10:11], s[0:1]
	s_cbranch_execz .LBB202_20
; %bb.18:
	s_load_dwordx2 s[4:5], s[4:5], 0x68
	s_lshl_b32 s0, s8, 6
	s_mul_i32 s1, s9, s6
	s_mul_hi_u32 s7, s1, s0
	s_mul_i32 s6, s1, s0
	s_lshl_b64 s[6:7], s[6:7], 1
	s_waitcnt lgkmcnt(0)
	s_add_u32 s1, s4, s6
	v_lshlrev_b32_e32 v0, 10, v0
	s_addc_u32 s4, s5, s7
	s_lshl_b32 s2, s28, 6
	v_and_b32_e32 v0, 0x1800, v0
	v_lshlrev_b32_e32 v2, 5, v1
	v_and_b32_e32 v3, 16, v51
	s_lshl_b64 s[2:3], s[2:3], 1
	v_or3_b32 v0, v0, v2, v3
	s_add_u32 s1, s1, s2
	s_addc_u32 s2, s4, s3
	ds_read_b128 v[4:7], v0 offset:128
	ds_read_b128 v[8:11], v0
	v_add_u32_e32 v14, s29, v1
	v_mov_b32_e32 v3, s2
	v_add_co_u32_e32 v2, vcc, s1, v50
	v_mad_u64_u32 v[12:13], s[2:3], v14, s0, 0
	v_addc_co_u32_e32 v3, vcc, 0, v3, vcc
	v_lshlrev_b64 v[12:13], 1, v[12:13]
	v_add_co_u32_e32 v12, vcc, v2, v12
	v_addc_co_u32_e32 v13, vcc, v3, v13, vcc
	s_waitcnt lgkmcnt(0)
	global_store_dwordx4 v[12:13], v[8:11], off
	s_nop 0
	v_add_u32_e32 v8, 4, v14
	v_mad_u64_u32 v[8:9], s[2:3], v8, s0, 0
	v_lshlrev_b64 v[8:9], 1, v[8:9]
	v_add_co_u32_e32 v8, vcc, v2, v8
	v_addc_co_u32_e32 v9, vcc, v3, v9, vcc
	v_cmp_ne_u32_e32 vcc, 3, v1
	global_store_dwordx4 v[8:9], v[4:7], off
	s_and_b64 exec, exec, vcc
	s_cbranch_execz .LBB202_20
; %bb.19:
	ds_read_b128 v[4:7], v0 offset:256
	v_add3_u32 v0, s29, v1, 8
	v_mad_u64_u32 v[0:1], s[0:1], v0, s0, 0
	v_lshlrev_b64 v[0:1], 1, v[0:1]
	v_add_co_u32_e32 v0, vcc, v2, v0
	v_addc_co_u32_e32 v1, vcc, v3, v1, vcc
	s_waitcnt lgkmcnt(0)
	global_store_dwordx4 v[0:1], v[4:7], off
.LBB202_20:
	s_endpgm
	.section	.rodata,"a",@progbits
	.p2align	6, 0x0
	.amdhsa_kernel _Z39paged_attention_ll4mi_QKV_mfma16_kernelI14__hip_bfloat16S0_LN4vllm18Fp8KVCacheDataTypeE0ES0_Li16ELi64ELi256ELb1ELi11EL8MFMAType0EEvPKT_PKT0_S9_ifPKiSB_SB_iPKfiiiPfSE_PS4_PT2_iSD_SD_
		.amdhsa_group_segment_fixed_size 8192
		.amdhsa_private_segment_fixed_size 0
		.amdhsa_kernarg_size 400
		.amdhsa_user_sgpr_count 6
		.amdhsa_user_sgpr_private_segment_buffer 1
		.amdhsa_user_sgpr_dispatch_ptr 0
		.amdhsa_user_sgpr_queue_ptr 0
		.amdhsa_user_sgpr_kernarg_segment_ptr 1
		.amdhsa_user_sgpr_dispatch_id 0
		.amdhsa_user_sgpr_flat_scratch_init 0
		.amdhsa_user_sgpr_kernarg_preload_length 0
		.amdhsa_user_sgpr_kernarg_preload_offset 0
		.amdhsa_user_sgpr_private_segment_size 0
		.amdhsa_uses_dynamic_stack 0
		.amdhsa_system_sgpr_private_segment_wavefront_offset 0
		.amdhsa_system_sgpr_workgroup_id_x 1
		.amdhsa_system_sgpr_workgroup_id_y 1
		.amdhsa_system_sgpr_workgroup_id_z 1
		.amdhsa_system_sgpr_workgroup_info 0
		.amdhsa_system_vgpr_workitem_id 0
		.amdhsa_next_free_vgpr 67
		.amdhsa_next_free_sgpr 48
		.amdhsa_accum_offset 68
		.amdhsa_reserve_vcc 1
		.amdhsa_reserve_flat_scratch 0
		.amdhsa_float_round_mode_32 0
		.amdhsa_float_round_mode_16_64 0
		.amdhsa_float_denorm_mode_32 3
		.amdhsa_float_denorm_mode_16_64 3
		.amdhsa_dx10_clamp 1
		.amdhsa_ieee_mode 1
		.amdhsa_fp16_overflow 0
		.amdhsa_tg_split 0
		.amdhsa_exception_fp_ieee_invalid_op 0
		.amdhsa_exception_fp_denorm_src 0
		.amdhsa_exception_fp_ieee_div_zero 0
		.amdhsa_exception_fp_ieee_overflow 0
		.amdhsa_exception_fp_ieee_underflow 0
		.amdhsa_exception_fp_ieee_inexact 0
		.amdhsa_exception_int_div_zero 0
	.end_amdhsa_kernel
	.section	.text._Z39paged_attention_ll4mi_QKV_mfma16_kernelI14__hip_bfloat16S0_LN4vllm18Fp8KVCacheDataTypeE0ES0_Li16ELi64ELi256ELb1ELi11EL8MFMAType0EEvPKT_PKT0_S9_ifPKiSB_SB_iPKfiiiPfSE_PS4_PT2_iSD_SD_,"axG",@progbits,_Z39paged_attention_ll4mi_QKV_mfma16_kernelI14__hip_bfloat16S0_LN4vllm18Fp8KVCacheDataTypeE0ES0_Li16ELi64ELi256ELb1ELi11EL8MFMAType0EEvPKT_PKT0_S9_ifPKiSB_SB_iPKfiiiPfSE_PS4_PT2_iSD_SD_,comdat
.Lfunc_end202:
	.size	_Z39paged_attention_ll4mi_QKV_mfma16_kernelI14__hip_bfloat16S0_LN4vllm18Fp8KVCacheDataTypeE0ES0_Li16ELi64ELi256ELb1ELi11EL8MFMAType0EEvPKT_PKT0_S9_ifPKiSB_SB_iPKfiiiPfSE_PS4_PT2_iSD_SD_, .Lfunc_end202-_Z39paged_attention_ll4mi_QKV_mfma16_kernelI14__hip_bfloat16S0_LN4vllm18Fp8KVCacheDataTypeE0ES0_Li16ELi64ELi256ELb1ELi11EL8MFMAType0EEvPKT_PKT0_S9_ifPKiSB_SB_iPKfiiiPfSE_PS4_PT2_iSD_SD_
                                        ; -- End function
	.section	.AMDGPU.csdata,"",@progbits
; Kernel info:
; codeLenInByte = 4568
; NumSgprs: 52
; NumVgprs: 67
; NumAgprs: 0
; TotalNumVgprs: 67
; ScratchSize: 0
; MemoryBound: 0
; FloatMode: 240
; IeeeMode: 1
; LDSByteSize: 8192 bytes/workgroup (compile time only)
; SGPRBlocks: 6
; VGPRBlocks: 8
; NumSGPRsForWavesPerEU: 52
; NumVGPRsForWavesPerEU: 67
; AccumOffset: 68
; Occupancy: 7
; WaveLimiterHint : 1
; COMPUTE_PGM_RSRC2:SCRATCH_EN: 0
; COMPUTE_PGM_RSRC2:USER_SGPR: 6
; COMPUTE_PGM_RSRC2:TRAP_HANDLER: 0
; COMPUTE_PGM_RSRC2:TGID_X_EN: 1
; COMPUTE_PGM_RSRC2:TGID_Y_EN: 1
; COMPUTE_PGM_RSRC2:TGID_Z_EN: 1
; COMPUTE_PGM_RSRC2:TIDIG_COMP_CNT: 0
; COMPUTE_PGM_RSRC3_GFX90A:ACCUM_OFFSET: 16
; COMPUTE_PGM_RSRC3_GFX90A:TG_SPLIT: 0
	.section	.text._Z39paged_attention_ll4mi_QKV_mfma16_kernelI14__hip_bfloat16S0_LN4vllm18Fp8KVCacheDataTypeE0ES0_Li16ELi64ELi256ELb1ELi12EL8MFMAType0EEvPKT_PKT0_S9_ifPKiSB_SB_iPKfiiiPfSE_PS4_PT2_iSD_SD_,"axG",@progbits,_Z39paged_attention_ll4mi_QKV_mfma16_kernelI14__hip_bfloat16S0_LN4vllm18Fp8KVCacheDataTypeE0ES0_Li16ELi64ELi256ELb1ELi12EL8MFMAType0EEvPKT_PKT0_S9_ifPKiSB_SB_iPKfiiiPfSE_PS4_PT2_iSD_SD_,comdat
	.protected	_Z39paged_attention_ll4mi_QKV_mfma16_kernelI14__hip_bfloat16S0_LN4vllm18Fp8KVCacheDataTypeE0ES0_Li16ELi64ELi256ELb1ELi12EL8MFMAType0EEvPKT_PKT0_S9_ifPKiSB_SB_iPKfiiiPfSE_PS4_PT2_iSD_SD_ ; -- Begin function _Z39paged_attention_ll4mi_QKV_mfma16_kernelI14__hip_bfloat16S0_LN4vllm18Fp8KVCacheDataTypeE0ES0_Li16ELi64ELi256ELb1ELi12EL8MFMAType0EEvPKT_PKT0_S9_ifPKiSB_SB_iPKfiiiPfSE_PS4_PT2_iSD_SD_
	.globl	_Z39paged_attention_ll4mi_QKV_mfma16_kernelI14__hip_bfloat16S0_LN4vllm18Fp8KVCacheDataTypeE0ES0_Li16ELi64ELi256ELb1ELi12EL8MFMAType0EEvPKT_PKT0_S9_ifPKiSB_SB_iPKfiiiPfSE_PS4_PT2_iSD_SD_
	.p2align	8
	.type	_Z39paged_attention_ll4mi_QKV_mfma16_kernelI14__hip_bfloat16S0_LN4vllm18Fp8KVCacheDataTypeE0ES0_Li16ELi64ELi256ELb1ELi12EL8MFMAType0EEvPKT_PKT0_S9_ifPKiSB_SB_iPKfiiiPfSE_PS4_PT2_iSD_SD_,@function
_Z39paged_attention_ll4mi_QKV_mfma16_kernelI14__hip_bfloat16S0_LN4vllm18Fp8KVCacheDataTypeE0ES0_Li16ELi64ELi256ELb1ELi12EL8MFMAType0EEvPKT_PKT0_S9_ifPKiSB_SB_iPKfiiiPfSE_PS4_PT2_iSD_SD_: ; @_Z39paged_attention_ll4mi_QKV_mfma16_kernelI14__hip_bfloat16S0_LN4vllm18Fp8KVCacheDataTypeE0ES0_Li16ELi64ELi256ELb1ELi12EL8MFMAType0EEvPKT_PKT0_S9_ifPKiSB_SB_iPKfiiiPfSE_PS4_PT2_iSD_SD_
; %bb.0:
	s_load_dwordx2 s[0:1], s[4:5], 0x30
	s_mov_b32 s28, s7
	s_mov_b64 s[10:11], 0
	s_waitcnt lgkmcnt(0)
	s_cmp_lg_u64 s[0:1], 0
	s_cselect_b64 s[2:3], -1, 0
	s_and_b64 vcc, exec, s[2:3]
	s_cbranch_vccz .LBB203_7
; %bb.1:
	s_add_i32 s12, s6, 1
	s_mov_b32 s13, 0
	s_lshl_b64 s[14:15], s[12:13], 2
	s_add_u32 s14, s0, s14
	s_mov_b32 s7, s13
	s_addc_u32 s15, s1, s15
	s_lshl_b64 s[12:13], s[6:7], 2
	s_add_u32 s12, s0, s12
	s_addc_u32 s13, s1, s13
	s_load_dword s9, s[14:15], 0x0
	s_load_dword s16, s[12:13], 0x0
	s_waitcnt lgkmcnt(0)
	s_sub_i32 s9, s9, s16
	s_cmp_eq_u32 s9, 1
	s_cselect_b64 s[12:13], -1, 0
	s_andn2_b64 vcc, exec, s[10:11]
	s_cbranch_vccnz .LBB203_3
.LBB203_2:
	s_mov_b32 s7, 0
	s_mov_b64 s[12:13], -1
.LBB203_3:
	s_andn2_b64 vcc, exec, s[12:13]
	s_cbranch_vccnz .LBB203_19
; %bb.4:
	s_load_dwordx2 s[12:13], s[4:5], 0x28
	s_lshl_b64 s[10:11], s[6:7], 2
	s_waitcnt lgkmcnt(0)
	s_add_u32 s12, s12, s10
	s_addc_u32 s13, s13, s11
	s_load_dword s33, s[12:13], 0x0
	s_lshl_b32 s14, s28, 8
	s_waitcnt lgkmcnt(0)
	s_cmp_ge_i32 s14, s33
	s_cbranch_scc1 .LBB203_19
; %bb.5:
	s_add_i32 s15, s33, 15
	s_load_dwordx2 s[12:13], s[4:5], 0x20
	s_load_dword s9, s[4:5], 0x38
	s_ashr_i32 s16, s15, 31
	v_and_b32_e32 v1, 0xcf, v0
	s_lshr_b32 s16, s16, 28
	v_add_u32_e32 v1, s14, v1
	s_add_i32 s15, s15, s16
	v_ashrrev_i32_e32 v2, 31, v1
	s_ashr_i32 s17, s15, 4
	v_lshrrev_b32_e32 v4, 28, v2
	s_add_i32 s17, s17, -1
	v_add_u32_e32 v2, v1, v4
	s_waitcnt lgkmcnt(0)
	s_mul_i32 s18, s6, s9
	s_mov_b32 s19, 0
	v_ashrrev_i32_e32 v2, 4, v2
	v_mov_b32_e32 v5, s17
	v_cmp_gt_i32_e32 vcc, s33, v1
	s_lshl_b64 s[18:19], s[18:19], 2
	v_cndmask_b32_e32 v2, v5, v2, vcc
	s_add_u32 s15, s12, s18
	v_ashrrev_i32_e32 v3, 31, v2
	s_addc_u32 s16, s13, s19
	v_lshlrev_b64 v[2:3], 2, v[2:3]
	v_mov_b32_e32 v7, s16
	v_add_co_u32_e32 v6, vcc, s15, v2
	v_or_b32_e32 v2, 16, v1
	v_addc_co_u32_e32 v7, vcc, v7, v3, vcc
	v_add_u32_e32 v3, v2, v4
	v_ashrrev_i32_e32 v3, 4, v3
	v_cmp_gt_i32_e32 vcc, s33, v2
	v_cndmask_b32_e32 v2, v5, v3, vcc
	v_ashrrev_i32_e32 v3, 31, v2
	v_lshlrev_b64 v[2:3], 2, v[2:3]
	v_mov_b32_e32 v9, s16
	v_add_co_u32_e32 v8, vcc, s15, v2
	v_or_b32_e32 v2, 32, v1
	v_addc_co_u32_e32 v9, vcc, v9, v3, vcc
	v_add_u32_e32 v3, v2, v4
	v_ashrrev_i32_e32 v3, 4, v3
	v_cmp_gt_i32_e32 vcc, s33, v2
	v_cndmask_b32_e32 v2, v5, v3, vcc
	v_ashrrev_i32_e32 v3, 31, v2
	v_lshlrev_b64 v[2:3], 2, v[2:3]
	v_mov_b32_e32 v11, s16
	v_add_co_u32_e32 v10, vcc, s15, v2
	v_or_b32_e32 v1, 48, v1
	v_addc_co_u32_e32 v11, vcc, v11, v3, vcc
	v_add_u32_e32 v2, v1, v4
	v_ashrrev_i32_e32 v2, 4, v2
	v_cmp_gt_i32_e32 vcc, s33, v1
	v_cndmask_b32_e32 v2, v5, v2, vcc
	v_ashrrev_i32_e32 v3, 31, v2
	v_lshlrev_b64 v[2:3], 2, v[2:3]
	v_mov_b32_e32 v1, s16
	v_add_co_u32_e32 v12, vcc, s15, v2
	v_addc_co_u32_e32 v13, vcc, v1, v3, vcc
	global_load_dword v5, v[6:7], off
	global_load_dword v4, v[8:9], off
	;; [unrolled: 1-line block ×4, first 2 shown]
	s_load_dwordx2 s[12:13], s[4:5], 0x8
	s_andn2_b64 vcc, exec, s[2:3]
	s_cbranch_vccnz .LBB203_8
; %bb.6:
	s_add_u32 s0, s0, s10
	s_addc_u32 s1, s1, s11
	s_load_dword s9, s[0:1], 0x0
	s_branch .LBB203_9
.LBB203_7:
	s_mov_b64 s[12:13], 0
	s_branch .LBB203_2
.LBB203_8:
	s_mov_b32 s9, s6
.LBB203_9:
	s_load_dwordx2 s[2:3], s[4:5], 0x10
	s_load_dwordx4 s[44:47], s[4:5], 0x48
	v_and_b32_e32 v52, 15, v0
	s_movk_i32 s0, 0xc0
	v_lshlrev_b32_e32 v6, 3, v52
	v_cmp_gt_u32_e32 vcc, s0, v0
	v_cmp_gt_u32_e64 s[0:1], 8, v52
	v_lshrrev_b32_e32 v53, 6, v0
	v_bfe_u32 v1, v0, 4, 2
	s_mul_i32 s29, s8, 12
	s_and_b64 s[18:19], vcc, s[0:1]
	v_lshlrev_b32_e32 v50, 1, v6
	s_and_saveexec_b64 s[10:11], s[18:19]
	s_cbranch_execz .LBB203_11
; %bb.10:
	s_load_dwordx2 s[18:19], s[4:5], 0x0
	s_waitcnt lgkmcnt(0)
	s_ashr_i32 s20, s44, 31
	s_mul_hi_u32 s21, s9, s44
	s_mul_i32 s20, s9, s20
	v_lshl_or_b32 v10, v53, 2, v1
	s_add_i32 s21, s21, s20
	s_mul_i32 s20, s9, s44
	s_lshl_b64 s[20:21], s[20:21], 1
	v_add_lshl_u32 v6, v10, s29, 6
	s_add_u32 s9, s18, s20
	v_ashrrev_i32_e32 v7, 31, v6
	s_addc_u32 s18, s19, s21
	v_lshlrev_b64 v[6:7], 1, v[6:7]
	v_mov_b32_e32 v8, s18
	v_add_co_u32_e32 v6, vcc, s9, v6
	v_addc_co_u32_e32 v7, vcc, v8, v7, vcc
	v_add_co_u32_e32 v6, vcc, v6, v50
	v_addc_co_u32_e32 v7, vcc, 0, v7, vcc
	global_load_dwordx4 v[6:9], v[6:7], off
	v_and_b32_e32 v11, 3, v0
	v_lshlrev_b32_e32 v12, 9, v52
	v_lshlrev_b32_e32 v10, 5, v10
	;; [unrolled: 1-line block ×3, first 2 shown]
	v_and_b32_e32 v12, 0x1800, v12
	v_or3_b32 v10, v12, v11, v10
	s_waitcnt vmcnt(0)
	ds_write_b128 v10, v[6:9]
.LBB203_11:
	s_or_b64 exec, exec, s[10:11]
	s_waitcnt lgkmcnt(0)
	s_mul_i32 s8, s8, s46
	s_mov_b32 s9, 0
	s_lshl_b64 s[8:9], s[8:9], 1
	s_add_u32 s10, s12, s8
	v_lshlrev_b32_e32 v51, 4, v0
	s_addc_u32 s11, s13, s9
	v_and_b32_e32 v6, 0xf0, v51
	v_mov_b32_e32 v7, s11
	v_add_co_u32_e32 v18, vcc, s10, v6
	v_addc_co_u32_e32 v19, vcc, 0, v7, vcc
	s_waitcnt vmcnt(3)
	v_mad_i64_i32 v[6:7], s[10:11], v5, s45, 0
	v_lshlrev_b64 v[6:7], 1, v[6:7]
	v_add_co_u32_e32 v5, vcc, v18, v6
	v_addc_co_u32_e32 v7, vcc, v19, v7, vcc
	v_and_b32_e32 v20, 0x300, v51
	v_add_co_u32_e32 v6, vcc, v5, v20
	s_waitcnt vmcnt(2)
	v_mad_i64_i32 v[4:5], s[10:11], v4, s45, 0
	v_addc_co_u32_e32 v7, vcc, 0, v7, vcc
	v_lshlrev_b64 v[4:5], 1, v[4:5]
	v_add_co_u32_e32 v4, vcc, v18, v4
	v_addc_co_u32_e32 v5, vcc, v19, v5, vcc
	v_add_co_u32_e32 v4, vcc, v4, v20
	v_addc_co_u32_e32 v5, vcc, 0, v5, vcc
	s_barrier
	global_load_dwordx4 v[38:41], v[6:7], off
	global_load_dwordx4 v[34:37], v[6:7], off offset:1024
	global_load_dwordx4 v[30:33], v[4:5], off
	global_load_dwordx4 v[14:17], v[4:5], off offset:1024
	s_waitcnt vmcnt(5)
	v_mad_i64_i32 v[4:5], s[10:11], v3, s45, 0
	v_lshlrev_b64 v[4:5], 1, v[4:5]
	v_add_co_u32_e32 v3, vcc, v18, v4
	v_addc_co_u32_e32 v5, vcc, v19, v5, vcc
	v_add_co_u32_e32 v4, vcc, v3, v20
	s_waitcnt vmcnt(4)
	v_mad_i64_i32 v[2:3], s[10:11], v2, s45, 0
	v_addc_co_u32_e32 v5, vcc, 0, v5, vcc
	v_lshlrev_b64 v[2:3], 1, v[2:3]
	v_add_co_u32_e32 v2, vcc, v18, v2
	v_addc_co_u32_e32 v3, vcc, v19, v3, vcc
	v_add_co_u32_e32 v22, vcc, v2, v20
	v_addc_co_u32_e32 v23, vcc, 0, v3, vcc
	global_load_dwordx4 v[10:13], v[4:5], off
	global_load_dwordx4 v[6:9], v[4:5], off offset:1024
	s_nop 0
	global_load_dwordx4 v[2:5], v[22:23], off
	global_load_dwordx4 v[18:21], v[22:23], off offset:1024
	v_add_u32_e32 v22, -12, v52
	v_cmp_gt_u32_e32 vcc, 12, v52
	v_cndmask_b32_e32 v22, v22, v52, vcc
	v_lshlrev_b32_e32 v22, 5, v22
	v_lshl_add_u32 v22, v1, 9, v22
	ds_read_b128 v[26:29], v22
	ds_read_b128 v[22:25], v22 offset:2048
	v_and_b32_e32 v54, 63, v0
	v_mov_b32_e32 v48, 0
	s_and_saveexec_b64 s[10:11], vcc
	s_cbranch_execz .LBB203_13
; %bb.12:
	s_load_dwordx2 s[12:13], s[4:5], 0x40
	v_add_u32_e32 v42, s29, v52
	v_ashrrev_i32_e32 v43, 31, v42
	v_lshlrev_b64 v[42:43], 2, v[42:43]
	s_waitcnt lgkmcnt(0)
	v_mov_b32_e32 v44, s13
	v_add_co_u32_e32 v42, vcc, s12, v42
	v_addc_co_u32_e32 v43, vcc, v44, v43, vcc
	global_load_dword v48, v[42:43], off
.LBB203_13:
	s_or_b64 exec, exec, s[10:11]
	s_waitcnt vmcnt(7) lgkmcnt(1)
	v_mfma_f32_16x16x16bf16_1k v[42:45], v[38:39], v[26:27], 0
	s_add_u32 s2, s2, s8
	v_lshlrev_b32_e32 v55, 5, v52
	s_addc_u32 s3, s3, s9
	s_load_dword s10, s[4:5], 0x1c
	s_mov_b32 s42, 0xff7fffff
	v_mfma_f32_16x16x16bf16_1k v[38:41], v[40:41], v[28:29], v[42:45]
	s_waitcnt vmcnt(6) lgkmcnt(0)
	v_mfma_f32_16x16x16bf16_1k v[38:41], v[34:35], v[22:23], v[38:41]
	s_nop 4
	v_and_or_b32 v44, v0, 48, s14
	v_mov_b32_e32 v45, s17
	v_cmp_gt_i32_e32 vcc, s33, v44
	v_mfma_f32_16x16x16bf16_1k v[34:37], v[36:37], v[24:25], v[38:41]
	s_nop 6
	v_ashrrev_i32_e32 v38, 4, v44
	v_cndmask_b32_e32 v42, v45, v38, vcc
	v_ashrrev_i32_e32 v43, 31, v42
	s_waitcnt vmcnt(5)
	v_mfma_f32_16x16x16bf16_1k v[38:41], v[30:31], v[26:27], 0
	v_lshlrev_b64 v[30:31], 2, v[42:43]
	v_mov_b32_e32 v42, s16
	v_add_co_u32_e32 v30, vcc, s15, v30
	v_addc_co_u32_e32 v31, vcc, v42, v31, vcc
	global_load_dword v42, v[30:31], off
	v_mfma_f32_16x16x16bf16_1k v[30:33], v[32:33], v[28:29], v[38:41]
	v_pk_mul_f32 v[46:47], s[10:11], v[36:37] op_sel_hi:[0,1]
	s_nop 5
	v_or_b32_e32 v38, 64, v44
	v_ashrrev_i32_e32 v39, 4, v38
	v_cmp_gt_i32_e32 vcc, s33, v38
	v_cndmask_b32_e32 v38, v45, v39, vcc
	v_ashrrev_i32_e32 v39, 31, v38
	v_lshlrev_b64 v[38:39], 2, v[38:39]
	s_waitcnt vmcnt(5)
	v_mfma_f32_16x16x16bf16_1k v[30:33], v[14:15], v[22:23], v[30:33]
	v_mov_b32_e32 v40, s16
	v_add_co_u32_e32 v14, vcc, s15, v38
	v_addc_co_u32_e32 v15, vcc, v40, v39, vcc
	global_load_dword v40, v[14:15], off
	v_or_b32_e32 v14, 0x80, v44
	v_ashrrev_i32_e32 v15, 4, v14
	v_cmp_gt_i32_e32 vcc, s33, v14
	v_cndmask_b32_e32 v14, v45, v15, vcc
	v_ashrrev_i32_e32 v15, 31, v14
	v_lshlrev_b64 v[14:15], 2, v[14:15]
	v_mfma_f32_16x16x16bf16_1k v[30:33], v[16:17], v[24:25], v[30:33]
	v_mov_b32_e32 v16, s16
	v_add_co_u32_e32 v38, vcc, s15, v14
	v_addc_co_u32_e32 v39, vcc, v16, v15, vcc
	global_load_dword v38, v[38:39], off
	s_waitcnt vmcnt(6)
	v_mfma_f32_16x16x16bf16_1k v[14:17], v[10:11], v[26:27], 0
	v_mfma_f32_16x16x16bf16_1k v[10:13], v[12:13], v[28:29], v[14:17]
	s_nop 7
	s_nop 1
	v_or_b32_e32 v14, 0xc0, v44
	v_ashrrev_i32_e32 v15, 4, v14
	v_cmp_gt_i32_e32 vcc, s33, v14
	v_cndmask_b32_e32 v14, v45, v15, vcc
	s_waitcnt vmcnt(5)
	v_mfma_f32_16x16x16bf16_1k v[10:13], v[6:7], v[22:23], v[10:13]
	v_ashrrev_i32_e32 v15, 31, v14
	v_lshlrev_b64 v[14:15], 2, v[14:15]
	v_mov_b32_e32 v16, s16
	v_add_co_u32_e32 v6, vcc, s15, v14
	v_addc_co_u32_e32 v7, vcc, v16, v15, vcc
	global_load_dword v49, v[6:7], off
	v_lshl_or_b32 v6, v53, 9, v55
	v_mov_b32_e32 v7, s3
	v_add_co_u32_e32 v60, vcc, s2, v6
	v_addc_co_u32_e32 v61, vcc, 0, v7, vcc
	v_mfma_f32_16x16x16bf16_1k v[56:59], v[8:9], v[24:25], v[10:13]
	v_pk_mul_f32 v[44:45], s[10:11], v[30:31] op_sel_hi:[0,1]
	s_waitcnt vmcnt(3)
	v_mad_i64_i32 v[6:7], s[2:3], v42, s45, 0
	s_nop 3
	v_lshlrev_b64 v[10:11], 1, v[6:7]
	v_mfma_f32_16x16x16bf16_1k v[6:9], v[2:3], v[26:27], 0
	v_add_co_u32_e32 v2, vcc, v60, v10
	v_addc_co_u32_e32 v3, vcc, v61, v11, vcc
	global_load_dwordx4 v[14:17], v[2:3], off
	global_load_dwordx4 v[10:13], v[2:3], off offset:16
	v_pk_mul_f32 v[42:43], s[10:11], v[32:33] op_sel_hi:[0,1]
	s_waitcnt vmcnt(4)
	v_mad_i64_i32 v[2:3], s[2:3], v40, s45, 0
	v_mfma_f32_16x16x16bf16_1k v[26:29], v[4:5], v[28:29], v[6:9]
	v_lshlrev_b64 v[2:3], 1, v[2:3]
	v_add_co_u32_e32 v2, vcc, v60, v2
	v_addc_co_u32_e32 v3, vcc, v61, v3, vcc
	v_pk_mul_f32 v[40:41], s[10:11], v[56:57] op_sel_hi:[0,1]
	s_nop 2
	global_load_dwordx4 v[6:9], v[2:3], off
	s_nop 0
	global_load_dwordx4 v[2:5], v[2:3], off offset:16
	v_mfma_f32_16x16x16bf16_1k v[26:29], v[18:19], v[22:23], v[26:29]
	v_pk_mul_f32 v[18:19], s[10:11], v[34:35] op_sel_hi:[0,1]
	s_waitcnt vmcnt(5)
	v_mad_i64_i32 v[38:39], s[2:3], v38, s45, 0
	v_lshlrev_b64 v[38:39], 1, v[38:39]
	v_add_co_u32_e32 v22, vcc, v60, v38
	v_mfma_f32_16x16x16bf16_1k v[24:27], v[20:21], v[24:25], v[26:29]
	v_and_b32_e32 v20, 0xc0, v0
	v_add_u32_e32 v20, s14, v20
	v_lshl_or_b32 v20, v1, 2, v20
	v_or_b32_e32 v21, 1, v20
	v_addc_co_u32_e32 v23, vcc, v61, v39, vcc
	v_pk_mul_f32 v[38:39], s[10:11], v[58:59] op_sel_hi:[0,1]
	s_nop 4
	v_pk_mul_f32 v[36:37], s[10:11], v[24:25] op_sel_hi:[0,1]
	v_subrev_u32_e32 v24, s33, v21
	v_pk_mul_f32 v[34:35], s[10:11], v[26:27] op_sel_hi:[0,1]
	v_add_u32_e32 v26, 1, v24
	v_add_u32_e32 v27, 2, v24
	v_cvt_f32_i32_e32 v25, v24
	v_cvt_f32_i32_e32 v26, v26
	;; [unrolled: 1-line block ×3, first 2 shown]
	v_add_u32_e32 v28, 3, v24
	v_fma_f32 v18, v48, v25, v18
	v_fmac_f32_e32 v19, v48, v26
	v_fma_f32 v46, v48, v27, v46
	v_add_u32_e32 v25, 16, v24
	v_add_u32_e32 v26, 17, v24
	;; [unrolled: 1-line block ×3, first 2 shown]
	v_cvt_f32_i32_e32 v28, v28
	v_cvt_f32_i32_e32 v25, v25
	;; [unrolled: 1-line block ×4, first 2 shown]
	v_fmac_f32_e32 v47, v48, v28
	v_add_u32_e32 v28, 19, v24
	v_fma_f32 v44, v48, v25, v44
	v_fmac_f32_e32 v45, v48, v26
	v_fma_f32 v42, v48, v27, v42
	v_add_u32_e32 v25, 32, v24
	v_add_u32_e32 v26, 33, v24
	;; [unrolled: 1-line block ×3, first 2 shown]
	v_cvt_f32_i32_e32 v28, v28
	v_cvt_f32_i32_e32 v25, v25
	;; [unrolled: 1-line block ×4, first 2 shown]
	v_fmac_f32_e32 v43, v48, v28
	v_add_u32_e32 v28, 35, v24
	v_fma_f32 v40, v48, v25, v40
	v_fmac_f32_e32 v41, v48, v26
	v_fma_f32 v38, v48, v27, v38
	v_add_u32_e32 v25, 48, v24
	v_add_u32_e32 v26, 49, v24
	v_add_u32_e32 v27, 50, v24
	v_add_u32_e32 v24, 51, v24
	v_cvt_f32_i32_e32 v24, v24
	v_cvt_f32_i32_e32 v25, v25
	;; [unrolled: 1-line block ×3, first 2 shown]
	v_cmp_gt_i32_e64 s[30:31], s33, v20
	v_fmac_f32_e32 v35, v48, v24
	v_mov_b32_e32 v24, 0xff7fffff
	v_cmp_gt_i32_e64 s[34:35], s33, v21
	v_fma_f32 v36, v48, v25, v36
	v_cndmask_b32_e64 v25, v24, v18, s[30:31]
	v_cndmask_b32_e64 v21, v24, v19, s[34:35]
	v_fmac_f32_e32 v37, v48, v26
	v_max3_f32 v21, v25, s42, v21
	v_or_b32_e32 v25, 2, v20
	v_or_b32_e32 v26, 3, v20
	v_cmp_gt_i32_e64 s[36:37], s33, v25
	v_cmp_gt_i32_e64 s[38:39], s33, v26
	v_cndmask_b32_e64 v25, v24, v46, s[36:37]
	v_cndmask_b32_e64 v26, v24, v47, s[38:39]
	v_max3_f32 v21, v21, v25, v26
	v_or_b32_e32 v25, 16, v20
	v_or_b32_e32 v26, 17, v20
	v_cmp_gt_i32_e64 s[24:25], s33, v25
	v_cmp_gt_i32_e64 s[26:27], s33, v26
	v_cndmask_b32_e64 v25, v24, v44, s[24:25]
	v_cndmask_b32_e64 v26, v24, v45, s[26:27]
	;; [unrolled: 7-line block ×3, first 2 shown]
	v_cvt_f32_i32_e32 v28, v28
	v_max3_f32 v21, v21, v25, v26
	v_or_b32_e32 v25, 32, v20
	v_or_b32_e32 v26, 33, v20
	v_cmp_gt_i32_e64 s[16:17], s33, v25
	v_cmp_gt_i32_e64 s[18:19], s33, v26
	v_cndmask_b32_e64 v25, v24, v40, s[16:17]
	v_cndmask_b32_e64 v26, v24, v41, s[18:19]
	v_max3_f32 v21, v21, v25, v26
	v_or_b32_e32 v25, 34, v20
	v_or_b32_e32 v26, 35, v20
	v_fmac_f32_e32 v39, v48, v28
	v_cmp_gt_i32_e64 s[12:13], s33, v25
	v_cmp_gt_i32_e64 s[14:15], s33, v26
	v_cndmask_b32_e64 v25, v24, v38, s[12:13]
	v_cndmask_b32_e64 v26, v24, v39, s[14:15]
	v_cvt_f32_i32_e32 v27, v27
	v_max3_f32 v21, v21, v25, v26
	v_or_b32_e32 v25, 48, v20
	v_or_b32_e32 v26, 49, v20
	v_cmp_gt_i32_e64 s[8:9], s33, v25
	v_cmp_gt_i32_e64 s[10:11], s33, v26
	v_cndmask_b32_e64 v25, v24, v36, s[8:9]
	v_cndmask_b32_e64 v26, v24, v37, s[10:11]
	v_max3_f32 v21, v21, v25, v26
	v_or_b32_e32 v25, 50, v20
	v_or_b32_e32 v20, 51, v20
	v_fma_f32 v34, v48, v27, v34
	v_cmp_gt_i32_e32 vcc, s33, v25
	v_cmp_gt_i32_e64 s[2:3], s33, v20
	v_cndmask_b32_e32 v25, v24, v34, vcc
	v_cndmask_b32_e64 v20, v24, v35, s[2:3]
	v_max3_f32 v26, v21, v25, v20
	v_mbcnt_lo_u32_b32 v20, -1, 0
	v_mbcnt_hi_u32_b32 v27, -1, v20
	v_and_b32_e32 v20, 64, v27
	v_add_u32_e32 v28, 64, v20
	v_xor_b32_e32 v20, 32, v27
	v_cmp_lt_i32_e64 s[40:41], v20, v28
	v_cndmask_b32_e64 v20, v27, v20, s[40:41]
	v_lshlrev_b32_e32 v57, 2, v20
	ds_bpermute_b32 v29, v57, v26
	s_waitcnt vmcnt(4)
	v_mad_i64_i32 v[20:21], s[40:41], v49, s45, 0
	v_lshlrev_b64 v[20:21], 1, v[20:21]
	global_load_dwordx4 v[30:33], v[22:23], off
	s_nop 0
	global_load_dwordx4 v[22:25], v[22:23], off offset:16
	s_waitcnt lgkmcnt(0)
	v_max_f32_e32 v29, v29, v29
	v_max_f32_e32 v26, v26, v29
	v_xor_b32_e32 v29, 16, v27
	v_cmp_lt_i32_e64 s[40:41], v29, v28
	v_cndmask_b32_e64 v27, v27, v29, s[40:41]
	v_lshlrev_b32_e32 v59, 2, v27
	ds_bpermute_b32 v27, v59, v26
	v_add_co_u32_e64 v20, s[40:41], v60, v20
	v_addc_co_u32_e64 v21, s[40:41], v61, v21, s[40:41]
	s_waitcnt lgkmcnt(0)
	v_max_f32_e32 v27, v27, v27
	v_max_f32_e32 v56, v26, v27
	v_sub_f32_e32 v18, v18, v56
	v_mul_f32_e32 v18, 0x3fb8aa3b, v18
	v_exp_f32_e32 v48, v18
	v_sub_f32_e32 v18, v19, v56
	v_mul_f32_e32 v18, 0x3fb8aa3b, v18
	v_exp_f32_e32 v49, v18
	global_load_dwordx4 v[26:29], v[20:21], off
	s_nop 0
	global_load_dwordx4 v[18:21], v[20:21], off offset:16
	v_sub_f32_e32 v46, v46, v56
	v_mul_f32_e32 v46, 0x3fb8aa3b, v46
	v_sub_f32_e32 v47, v47, v56
	v_exp_f32_e32 v46, v46
	v_mul_f32_e32 v47, 0x3fb8aa3b, v47
	v_sub_f32_e32 v44, v44, v56
	v_exp_f32_e32 v47, v47
	v_mul_f32_e32 v44, 0x3fb8aa3b, v44
	v_sub_f32_e32 v45, v45, v56
	v_cndmask_b32_e64 v48, 0, v48, s[30:31]
	v_exp_f32_e32 v44, v44
	v_mul_f32_e32 v45, 0x3fb8aa3b, v45
	v_sub_f32_e32 v42, v42, v56
	v_add_f32_e32 v58, 0, v48
	v_cndmask_b32_e64 v49, 0, v49, s[34:35]
	v_exp_f32_e32 v45, v45
	v_mul_f32_e32 v42, 0x3fb8aa3b, v42
	v_sub_f32_e32 v43, v43, v56
	v_add_f32_e32 v58, v58, v49
	;; [unrolled: 5-line block ×10, first 2 shown]
	v_cndmask_b32_e64 v38, 0, v38, s[12:13]
	v_exp_f32_e32 v34, v34
	v_mul_f32_e32 v35, 0x3fb8aa3b, v35
	v_add_f32_e32 v58, v58, v38
	v_cndmask_b32_e64 v39, 0, v39, s[14:15]
	v_exp_f32_e32 v35, v35
	v_add_f32_e32 v58, v58, v39
	v_cndmask_b32_e64 v36, 0, v36, s[8:9]
	v_add_f32_e32 v58, v58, v36
	v_cndmask_b32_e64 v37, 0, v37, s[10:11]
	v_add_f32_e32 v58, v58, v37
	v_cndmask_b32_e32 v34, 0, v34, vcc
	v_add_f32_e32 v58, v58, v34
	v_cndmask_b32_e64 v35, 0, v35, s[2:3]
	v_add_f32_e32 v58, v58, v35
	ds_bpermute_b32 v57, v57, v58
	s_load_dword s9, s[4:5], 0x98
	v_cmp_gt_u32_e32 vcc, 16, v54
	s_waitcnt lgkmcnt(0)
	s_barrier
	v_add_f32_e32 v58, v58, v57
	ds_bpermute_b32 v59, v59, v58
	v_lshlrev_b32_e32 v57, 2, v52
	s_waitcnt lgkmcnt(0)
	s_and_saveexec_b64 s[2:3], vcc
	s_cbranch_execz .LBB203_15
; %bb.14:
	v_add_f32_e32 v54, v58, v59
	v_lshl_or_b32 v58, v53, 6, v57
	ds_write2st64_b32 v58, v56, v54 offset1:1
.LBB203_15:
	s_or_b64 exec, exec, s[2:3]
	s_load_dword s8, s[4:5], 0x94
	s_waitcnt lgkmcnt(0)
	s_barrier
	ds_read2_b32 v[58:59], v57 offset1:16
	ds_read2_b32 v[60:61], v57 offset0:32 offset1:48
	ds_read2_b32 v[62:63], v57 offset0:64 offset1:80
	s_movk_i32 s10, 0x7fff
	s_mov_b32 s11, 0x7060302
	s_waitcnt lgkmcnt(2)
	v_max3_f32 v54, v58, s42, v59
	s_waitcnt lgkmcnt(1)
	v_max3_f32 v54, v54, v60, v61
	v_sub_f32_e32 v56, v58, v54
	v_mul_f32_e32 v56, 0x3fb8aa3b, v56
	v_exp_f32_e32 v64, v56
	v_sub_f32_e32 v56, v59, v54
	v_mul_f32_e32 v56, 0x3fb8aa3b, v56
	v_exp_f32_e32 v65, v56
	;; [unrolled: 3-line block ×3, first 2 shown]
	ds_read2_b32 v[58:59], v57 offset0:96 offset1:112
	v_sub_f32_e32 v56, v61, v54
	v_mul_f32_e32 v56, 0x3fb8aa3b, v56
	v_exp_f32_e32 v57, v56
	s_waitcnt lgkmcnt(1)
	v_fma_f32 v56, v64, v62, 0
	v_fmac_f32_e32 v56, v65, v63
	s_waitcnt lgkmcnt(0)
	v_fmac_f32_e32 v56, v60, v58
	v_fmac_f32_e32 v56, v57, v59
	v_add_f32_e32 v58, 0x358637bd, v56
	v_div_scale_f32 v59, s[2:3], v58, v58, 1.0
	v_rcp_f32_e32 v61, v59
	s_mul_i32 s9, s9, 12
	s_barrier
	v_fma_f32 v62, -v59, v61, 1.0
	v_fmac_f32_e32 v61, v62, v61
	v_div_scale_f32 v62, vcc, 1.0, v58, 1.0
	v_mul_f32_e32 v63, v62, v61
	v_fma_f32 v66, -v59, v63, v62
	v_fmac_f32_e32 v63, v66, v61
	v_fma_f32 v59, -v59, v63, v62
	v_div_fmas_f32 v59, v59, v61, v63
	v_cmp_eq_u32_e32 vcc, 1, v53
	v_div_fixup_f32 v58, v59, v58, 1.0
	v_cndmask_b32_e32 v59, v64, v65, vcc
	v_cmp_eq_u32_e32 vcc, 2, v53
	v_cndmask_b32_e32 v59, v59, v60, vcc
	v_cmp_eq_u32_e32 vcc, 3, v53
	v_cndmask_b32_e32 v57, v59, v57, vcc
	v_mul_f32_e32 v58, v57, v58
	v_pk_mul_f32 v[48:49], v[58:59], v[48:49] op_sel_hi:[0,1]
	v_pk_mul_f32 v[46:47], v[58:59], v[46:47] op_sel_hi:[0,1]
	v_bfe_u32 v57, v49, 16, 1
	v_bfe_u32 v59, v48, 16, 1
	v_add3_u32 v48, v48, v59, s10
	v_add3_u32 v49, v49, v57, s10
	v_perm_b32 v48, v49, v48, s11
	v_bfe_u32 v49, v47, 16, 1
	v_bfe_u32 v57, v46, 16, 1
	v_add3_u32 v46, v46, v57, s10
	v_add3_u32 v47, v47, v49, s10
	v_perm_b32 v49, v47, v46, s11
	v_lshlrev_b32_e32 v46, 3, v1
	v_lshlrev_b32_e32 v47, 11, v53
	v_pk_mul_f32 v[44:45], v[58:59], v[44:45] op_sel_hi:[0,1]
	v_or3_b32 v46, v47, v55, v46
	v_bfe_u32 v47, v45, 16, 1
	v_bfe_u32 v53, v44, 16, 1
	v_pk_mul_f32 v[42:43], v[58:59], v[42:43] op_sel_hi:[0,1]
	v_add3_u32 v44, v44, v53, s10
	v_add3_u32 v45, v45, v47, s10
	v_perm_b32 v44, v45, v44, s11
	v_bfe_u32 v45, v43, 16, 1
	v_bfe_u32 v47, v42, 16, 1
	v_add3_u32 v42, v42, v47, s10
	v_add3_u32 v43, v43, v45, s10
	v_pk_mul_f32 v[40:41], v[58:59], v[40:41] op_sel_hi:[0,1]
	v_perm_b32 v45, v43, v42, s11
	v_bfe_u32 v42, v41, 16, 1
	v_bfe_u32 v43, v40, 16, 1
	v_pk_mul_f32 v[38:39], v[58:59], v[38:39] op_sel_hi:[0,1]
	v_add3_u32 v40, v40, v43, s10
	v_add3_u32 v41, v41, v42, s10
	v_perm_b32 v40, v41, v40, s11
	v_bfe_u32 v41, v39, 16, 1
	v_bfe_u32 v42, v38, 16, 1
	v_add3_u32 v38, v38, v42, s10
	v_add3_u32 v39, v39, v41, s10
	v_pk_mul_f32 v[36:37], v[58:59], v[36:37] op_sel_hi:[0,1]
	v_perm_b32 v41, v39, v38, s11
	v_bfe_u32 v38, v37, 16, 1
	v_bfe_u32 v39, v36, 16, 1
	v_pk_mul_f32 v[34:35], v[58:59], v[34:35] op_sel_hi:[0,1]
	v_add3_u32 v36, v36, v39, s10
	v_add3_u32 v37, v37, v38, s10
	v_perm_b32 v36, v37, v36, s11
	v_bfe_u32 v37, v35, 16, 1
	v_bfe_u32 v38, v34, 16, 1
	v_add3_u32 v34, v34, v38, s10
	v_add3_u32 v35, v35, v37, s10
	v_perm_b32 v37, v35, v34, s11
	v_cmp_gt_u32_e32 vcc, 12, v0
	ds_write2st64_b64 v46, v[48:49], v[44:45] offset1:1
	ds_write2st64_b64 v46, v[40:41], v[36:37] offset0:2 offset1:3
	s_and_saveexec_b64 s[2:3], vcc
	s_cbranch_execz .LBB203_17
; %bb.16:
	v_add_co_u32_e32 v36, vcc, s29, v52
	v_addc_co_u32_e64 v37, s[16:17], 0, 0, vcc
	v_mov_b32_e32 v34, s9
	v_mov_b32_e32 v35, 0
	v_mad_u64_u32 v[36:37], s[16:17], s6, v34, v[36:37]
	v_mov_b32_e32 v34, s28
	s_load_dwordx4 s[12:15], s[4:5], 0x58
	s_mul_i32 s7, s7, s9
	v_mad_u64_u32 v[34:35], s[16:17], v36, s8, v[34:35]
	v_add_u32_e32 v37, s7, v37
	v_mov_b32_e32 v36, v35
	v_mad_u64_u32 v[36:37], s[16:17], v37, s8, v[36:37]
	v_mov_b32_e32 v35, v36
	v_lshlrev_b64 v[34:35], 2, v[34:35]
	s_waitcnt lgkmcnt(0)
	v_mov_b32_e32 v37, s15
	v_add_co_u32_e32 v36, vcc, s14, v34
	v_addc_co_u32_e32 v37, vcc, v37, v35, vcc
	global_store_dword v[36:37], v54, off
	v_mov_b32_e32 v36, s13
	v_add_co_u32_e32 v34, vcc, s12, v34
	v_addc_co_u32_e32 v35, vcc, v36, v35, vcc
	global_store_dword v[34:35], v56, off
.LBB203_17:
	s_or_b64 exec, exec, s[2:3]
	v_lshl_or_b32 v47, v1, 9, v55
	s_waitcnt lgkmcnt(0)
	s_barrier
	ds_read_b128 v[34:37], v47
	ds_read_b128 v[38:41], v47 offset:16
	s_waitcnt vmcnt(7) lgkmcnt(1)
	v_mfma_f32_16x16x16bf16_1k v[42:45], v[14:15], v[34:35], 0
	v_cmp_gt_u32_e32 vcc, 64, v0
	s_mov_b32 s3, 0
	s_and_b64 s[0:1], vcc, s[0:1]
	v_mfma_f32_16x16x16bf16_1k v[14:17], v[16:17], v[36:37], v[42:45]
	s_waitcnt vmcnt(6) lgkmcnt(0)
	v_mfma_f32_16x16x16bf16_1k v[14:17], v[10:11], v[38:39], v[14:17]
	v_mfma_f32_16x16x16bf16_1k v[10:13], v[12:13], v[40:41], v[14:17]
	s_nop 7
	s_nop 1
	ds_read_b128 v[14:17], v47 offset:2048
	ds_read_b128 v[34:37], v47 offset:2064
	s_waitcnt vmcnt(5) lgkmcnt(1)
	v_mfma_f32_16x16x16bf16_1k v[10:13], v[6:7], v[14:15], v[10:13]
	v_mfma_f32_16x16x16bf16_1k v[6:9], v[8:9], v[16:17], v[10:13]
	s_waitcnt vmcnt(4) lgkmcnt(0)
	v_mfma_f32_16x16x16bf16_1k v[6:9], v[2:3], v[34:35], v[6:9]
	v_mfma_f32_16x16x16bf16_1k v[2:5], v[4:5], v[36:37], v[6:9]
	s_nop 7
	s_nop 1
	ds_read_b128 v[6:9], v47 offset:4096
	ds_read_b128 v[10:13], v47 offset:4112
	s_waitcnt vmcnt(3) lgkmcnt(1)
	v_mfma_f32_16x16x16bf16_1k v[2:5], v[30:31], v[6:7], v[2:5]
	v_mfma_f32_16x16x16bf16_1k v[2:5], v[32:33], v[8:9], v[2:5]
	s_waitcnt vmcnt(2) lgkmcnt(0)
	v_mfma_f32_16x16x16bf16_1k v[2:5], v[22:23], v[10:11], v[2:5]
	v_mfma_f32_16x16x16bf16_1k v[2:5], v[24:25], v[12:13], v[2:5]
	ds_read_b128 v[6:9], v47 offset:6144
	ds_read_b128 v[10:13], v47 offset:6160
	s_waitcnt lgkmcnt(0)
	s_barrier
	s_waitcnt vmcnt(1)
	v_mfma_f32_16x16x16bf16_1k v[2:5], v[26:27], v[6:7], v[2:5]
	v_mfma_f32_16x16x16bf16_1k v[2:5], v[28:29], v[8:9], v[2:5]
	s_waitcnt vmcnt(0)
	v_mfma_f32_16x16x16bf16_1k v[2:5], v[18:19], v[10:11], v[2:5]
	v_mfma_f32_16x16x16bf16_1k v[2:5], v[20:21], v[12:13], v[2:5]
	s_nop 7
	s_nop 2
	v_bfe_u32 v6, v3, 16, 1
	v_bfe_u32 v7, v2, 16, 1
	;; [unrolled: 1-line block ×4, first 2 shown]
	v_add3_u32 v2, v2, v7, s10
	v_add3_u32 v3, v3, v6, s10
	v_add3_u32 v4, v4, v9, s10
	v_add3_u32 v5, v5, v8, s10
	v_perm_b32 v2, v3, v2, s11
	v_perm_b32 v3, v5, v4, s11
	ds_write_b64 v46, v[2:3]
	s_waitcnt lgkmcnt(0)
	s_barrier
	s_and_saveexec_b64 s[10:11], s[0:1]
	s_cbranch_execz .LBB203_19
; %bb.18:
	s_load_dwordx2 s[0:1], s[4:5], 0x68
	s_lshl_b32 s7, s8, 6
	s_mul_i32 s2, s9, s6
	s_mul_hi_u32 s5, s2, s7
	s_mul_i32 s4, s2, s7
	s_lshl_b64 s[4:5], s[4:5], 1
	s_waitcnt lgkmcnt(0)
	s_add_u32 s4, s0, s4
	s_addc_u32 s5, s1, s5
	s_lshl_b32 s2, s28, 6
	v_lshlrev_b32_e32 v0, 10, v0
	s_lshl_b64 s[0:1], s[2:3], 1
	v_and_b32_e32 v0, 0x1800, v0
	v_lshlrev_b32_e32 v2, 5, v1
	v_and_b32_e32 v3, 16, v51
	s_add_u32 s0, s4, s0
	v_or3_b32 v0, v0, v2, v3
	s_addc_u32 s1, s5, s1
	ds_read_b128 v[2:5], v0
	ds_read_b128 v[6:9], v0 offset:128
	ds_read_b128 v[10:13], v0 offset:256
	v_or_b32_e32 v14, s29, v1
	v_mov_b32_e32 v0, s1
	v_add_co_u32_e32 v15, vcc, s0, v50
	v_addc_co_u32_e32 v16, vcc, 0, v0, vcc
	v_mad_u64_u32 v[0:1], s[0:1], v14, s7, 0
	v_lshlrev_b64 v[0:1], 1, v[0:1]
	v_add_co_u32_e32 v0, vcc, v15, v0
	v_addc_co_u32_e32 v1, vcc, v16, v1, vcc
	s_waitcnt lgkmcnt(2)
	global_store_dwordx4 v[0:1], v[2:5], off
	v_add_u32_e32 v0, 4, v14
	v_mad_u64_u32 v[0:1], s[0:1], v0, s7, 0
	v_lshlrev_b64 v[0:1], 1, v[0:1]
	v_add_co_u32_e32 v0, vcc, v15, v0
	v_addc_co_u32_e32 v1, vcc, v16, v1, vcc
	s_waitcnt lgkmcnt(1)
	global_store_dwordx4 v[0:1], v[6:9], off
	v_add_u32_e32 v0, 8, v14
	v_mad_u64_u32 v[0:1], s[0:1], v0, s7, 0
	v_lshlrev_b64 v[0:1], 1, v[0:1]
	v_add_co_u32_e32 v0, vcc, v15, v0
	v_addc_co_u32_e32 v1, vcc, v16, v1, vcc
	s_waitcnt lgkmcnt(0)
	global_store_dwordx4 v[0:1], v[10:13], off
.LBB203_19:
	s_endpgm
	.section	.rodata,"a",@progbits
	.p2align	6, 0x0
	.amdhsa_kernel _Z39paged_attention_ll4mi_QKV_mfma16_kernelI14__hip_bfloat16S0_LN4vllm18Fp8KVCacheDataTypeE0ES0_Li16ELi64ELi256ELb1ELi12EL8MFMAType0EEvPKT_PKT0_S9_ifPKiSB_SB_iPKfiiiPfSE_PS4_PT2_iSD_SD_
		.amdhsa_group_segment_fixed_size 8192
		.amdhsa_private_segment_fixed_size 0
		.amdhsa_kernarg_size 400
		.amdhsa_user_sgpr_count 6
		.amdhsa_user_sgpr_private_segment_buffer 1
		.amdhsa_user_sgpr_dispatch_ptr 0
		.amdhsa_user_sgpr_queue_ptr 0
		.amdhsa_user_sgpr_kernarg_segment_ptr 1
		.amdhsa_user_sgpr_dispatch_id 0
		.amdhsa_user_sgpr_flat_scratch_init 0
		.amdhsa_user_sgpr_kernarg_preload_length 0
		.amdhsa_user_sgpr_kernarg_preload_offset 0
		.amdhsa_user_sgpr_private_segment_size 0
		.amdhsa_uses_dynamic_stack 0
		.amdhsa_system_sgpr_private_segment_wavefront_offset 0
		.amdhsa_system_sgpr_workgroup_id_x 1
		.amdhsa_system_sgpr_workgroup_id_y 1
		.amdhsa_system_sgpr_workgroup_id_z 1
		.amdhsa_system_sgpr_workgroup_info 0
		.amdhsa_system_vgpr_workitem_id 0
		.amdhsa_next_free_vgpr 67
		.amdhsa_next_free_sgpr 48
		.amdhsa_accum_offset 68
		.amdhsa_reserve_vcc 1
		.amdhsa_reserve_flat_scratch 0
		.amdhsa_float_round_mode_32 0
		.amdhsa_float_round_mode_16_64 0
		.amdhsa_float_denorm_mode_32 3
		.amdhsa_float_denorm_mode_16_64 3
		.amdhsa_dx10_clamp 1
		.amdhsa_ieee_mode 1
		.amdhsa_fp16_overflow 0
		.amdhsa_tg_split 0
		.amdhsa_exception_fp_ieee_invalid_op 0
		.amdhsa_exception_fp_denorm_src 0
		.amdhsa_exception_fp_ieee_div_zero 0
		.amdhsa_exception_fp_ieee_overflow 0
		.amdhsa_exception_fp_ieee_underflow 0
		.amdhsa_exception_fp_ieee_inexact 0
		.amdhsa_exception_int_div_zero 0
	.end_amdhsa_kernel
	.section	.text._Z39paged_attention_ll4mi_QKV_mfma16_kernelI14__hip_bfloat16S0_LN4vllm18Fp8KVCacheDataTypeE0ES0_Li16ELi64ELi256ELb1ELi12EL8MFMAType0EEvPKT_PKT0_S9_ifPKiSB_SB_iPKfiiiPfSE_PS4_PT2_iSD_SD_,"axG",@progbits,_Z39paged_attention_ll4mi_QKV_mfma16_kernelI14__hip_bfloat16S0_LN4vllm18Fp8KVCacheDataTypeE0ES0_Li16ELi64ELi256ELb1ELi12EL8MFMAType0EEvPKT_PKT0_S9_ifPKiSB_SB_iPKfiiiPfSE_PS4_PT2_iSD_SD_,comdat
.Lfunc_end203:
	.size	_Z39paged_attention_ll4mi_QKV_mfma16_kernelI14__hip_bfloat16S0_LN4vllm18Fp8KVCacheDataTypeE0ES0_Li16ELi64ELi256ELb1ELi12EL8MFMAType0EEvPKT_PKT0_S9_ifPKiSB_SB_iPKfiiiPfSE_PS4_PT2_iSD_SD_, .Lfunc_end203-_Z39paged_attention_ll4mi_QKV_mfma16_kernelI14__hip_bfloat16S0_LN4vllm18Fp8KVCacheDataTypeE0ES0_Li16ELi64ELi256ELb1ELi12EL8MFMAType0EEvPKT_PKT0_S9_ifPKiSB_SB_iPKfiiiPfSE_PS4_PT2_iSD_SD_
                                        ; -- End function
	.section	.AMDGPU.csdata,"",@progbits
; Kernel info:
; codeLenInByte = 4556
; NumSgprs: 52
; NumVgprs: 67
; NumAgprs: 0
; TotalNumVgprs: 67
; ScratchSize: 0
; MemoryBound: 0
; FloatMode: 240
; IeeeMode: 1
; LDSByteSize: 8192 bytes/workgroup (compile time only)
; SGPRBlocks: 6
; VGPRBlocks: 8
; NumSGPRsForWavesPerEU: 52
; NumVGPRsForWavesPerEU: 67
; AccumOffset: 68
; Occupancy: 7
; WaveLimiterHint : 1
; COMPUTE_PGM_RSRC2:SCRATCH_EN: 0
; COMPUTE_PGM_RSRC2:USER_SGPR: 6
; COMPUTE_PGM_RSRC2:TRAP_HANDLER: 0
; COMPUTE_PGM_RSRC2:TGID_X_EN: 1
; COMPUTE_PGM_RSRC2:TGID_Y_EN: 1
; COMPUTE_PGM_RSRC2:TGID_Z_EN: 1
; COMPUTE_PGM_RSRC2:TIDIG_COMP_CNT: 0
; COMPUTE_PGM_RSRC3_GFX90A:ACCUM_OFFSET: 16
; COMPUTE_PGM_RSRC3_GFX90A:TG_SPLIT: 0
	.section	.text._Z39paged_attention_ll4mi_QKV_mfma16_kernelI14__hip_bfloat16S0_LN4vllm18Fp8KVCacheDataTypeE0ES0_Li16ELi64ELi256ELb1ELi13EL8MFMAType0EEvPKT_PKT0_S9_ifPKiSB_SB_iPKfiiiPfSE_PS4_PT2_iSD_SD_,"axG",@progbits,_Z39paged_attention_ll4mi_QKV_mfma16_kernelI14__hip_bfloat16S0_LN4vllm18Fp8KVCacheDataTypeE0ES0_Li16ELi64ELi256ELb1ELi13EL8MFMAType0EEvPKT_PKT0_S9_ifPKiSB_SB_iPKfiiiPfSE_PS4_PT2_iSD_SD_,comdat
	.protected	_Z39paged_attention_ll4mi_QKV_mfma16_kernelI14__hip_bfloat16S0_LN4vllm18Fp8KVCacheDataTypeE0ES0_Li16ELi64ELi256ELb1ELi13EL8MFMAType0EEvPKT_PKT0_S9_ifPKiSB_SB_iPKfiiiPfSE_PS4_PT2_iSD_SD_ ; -- Begin function _Z39paged_attention_ll4mi_QKV_mfma16_kernelI14__hip_bfloat16S0_LN4vllm18Fp8KVCacheDataTypeE0ES0_Li16ELi64ELi256ELb1ELi13EL8MFMAType0EEvPKT_PKT0_S9_ifPKiSB_SB_iPKfiiiPfSE_PS4_PT2_iSD_SD_
	.globl	_Z39paged_attention_ll4mi_QKV_mfma16_kernelI14__hip_bfloat16S0_LN4vllm18Fp8KVCacheDataTypeE0ES0_Li16ELi64ELi256ELb1ELi13EL8MFMAType0EEvPKT_PKT0_S9_ifPKiSB_SB_iPKfiiiPfSE_PS4_PT2_iSD_SD_
	.p2align	8
	.type	_Z39paged_attention_ll4mi_QKV_mfma16_kernelI14__hip_bfloat16S0_LN4vllm18Fp8KVCacheDataTypeE0ES0_Li16ELi64ELi256ELb1ELi13EL8MFMAType0EEvPKT_PKT0_S9_ifPKiSB_SB_iPKfiiiPfSE_PS4_PT2_iSD_SD_,@function
_Z39paged_attention_ll4mi_QKV_mfma16_kernelI14__hip_bfloat16S0_LN4vllm18Fp8KVCacheDataTypeE0ES0_Li16ELi64ELi256ELb1ELi13EL8MFMAType0EEvPKT_PKT0_S9_ifPKiSB_SB_iPKfiiiPfSE_PS4_PT2_iSD_SD_: ; @_Z39paged_attention_ll4mi_QKV_mfma16_kernelI14__hip_bfloat16S0_LN4vllm18Fp8KVCacheDataTypeE0ES0_Li16ELi64ELi256ELb1ELi13EL8MFMAType0EEvPKT_PKT0_S9_ifPKiSB_SB_iPKfiiiPfSE_PS4_PT2_iSD_SD_
; %bb.0:
	s_load_dwordx2 s[0:1], s[4:5], 0x30
	s_mov_b32 s28, s7
	s_mov_b64 s[10:11], 0
	s_waitcnt lgkmcnt(0)
	s_cmp_lg_u64 s[0:1], 0
	s_cselect_b64 s[2:3], -1, 0
	s_and_b64 vcc, exec, s[2:3]
	s_cbranch_vccz .LBB204_7
; %bb.1:
	s_add_i32 s12, s6, 1
	s_mov_b32 s13, 0
	s_lshl_b64 s[14:15], s[12:13], 2
	s_add_u32 s14, s0, s14
	s_mov_b32 s7, s13
	s_addc_u32 s15, s1, s15
	s_lshl_b64 s[12:13], s[6:7], 2
	s_add_u32 s12, s0, s12
	s_addc_u32 s13, s1, s13
	s_load_dword s9, s[14:15], 0x0
	s_load_dword s16, s[12:13], 0x0
	s_waitcnt lgkmcnt(0)
	s_sub_i32 s9, s9, s16
	s_cmp_eq_u32 s9, 1
	s_cselect_b64 s[12:13], -1, 0
	s_andn2_b64 vcc, exec, s[10:11]
	s_cbranch_vccnz .LBB204_3
.LBB204_2:
	s_mov_b32 s7, 0
	s_mov_b64 s[12:13], -1
.LBB204_3:
	s_andn2_b64 vcc, exec, s[12:13]
	s_cbranch_vccnz .LBB204_20
; %bb.4:
	s_load_dwordx2 s[12:13], s[4:5], 0x28
	s_lshl_b64 s[10:11], s[6:7], 2
	s_waitcnt lgkmcnt(0)
	s_add_u32 s12, s12, s10
	s_addc_u32 s13, s13, s11
	s_load_dword s33, s[12:13], 0x0
	s_lshl_b32 s14, s28, 8
	s_waitcnt lgkmcnt(0)
	s_cmp_ge_i32 s14, s33
	s_cbranch_scc1 .LBB204_20
; %bb.5:
	s_add_i32 s15, s33, 15
	s_load_dwordx2 s[12:13], s[4:5], 0x20
	s_load_dword s9, s[4:5], 0x38
	s_ashr_i32 s16, s15, 31
	v_and_b32_e32 v1, 0xcf, v0
	s_lshr_b32 s16, s16, 28
	v_add_u32_e32 v1, s14, v1
	s_add_i32 s15, s15, s16
	v_ashrrev_i32_e32 v2, 31, v1
	s_ashr_i32 s17, s15, 4
	v_lshrrev_b32_e32 v4, 28, v2
	s_add_i32 s17, s17, -1
	v_add_u32_e32 v2, v1, v4
	s_waitcnt lgkmcnt(0)
	s_mul_i32 s18, s6, s9
	s_mov_b32 s19, 0
	v_ashrrev_i32_e32 v2, 4, v2
	v_mov_b32_e32 v5, s17
	v_cmp_gt_i32_e32 vcc, s33, v1
	s_lshl_b64 s[18:19], s[18:19], 2
	v_cndmask_b32_e32 v2, v5, v2, vcc
	s_add_u32 s15, s12, s18
	v_ashrrev_i32_e32 v3, 31, v2
	s_addc_u32 s16, s13, s19
	v_lshlrev_b64 v[2:3], 2, v[2:3]
	v_mov_b32_e32 v7, s16
	v_add_co_u32_e32 v6, vcc, s15, v2
	v_or_b32_e32 v2, 16, v1
	v_addc_co_u32_e32 v7, vcc, v7, v3, vcc
	v_add_u32_e32 v3, v2, v4
	v_ashrrev_i32_e32 v3, 4, v3
	v_cmp_gt_i32_e32 vcc, s33, v2
	v_cndmask_b32_e32 v2, v5, v3, vcc
	v_ashrrev_i32_e32 v3, 31, v2
	v_lshlrev_b64 v[2:3], 2, v[2:3]
	v_mov_b32_e32 v9, s16
	v_add_co_u32_e32 v8, vcc, s15, v2
	v_or_b32_e32 v2, 32, v1
	v_addc_co_u32_e32 v9, vcc, v9, v3, vcc
	v_add_u32_e32 v3, v2, v4
	v_ashrrev_i32_e32 v3, 4, v3
	v_cmp_gt_i32_e32 vcc, s33, v2
	v_cndmask_b32_e32 v2, v5, v3, vcc
	v_ashrrev_i32_e32 v3, 31, v2
	;; [unrolled: 10-line block ×3, first 2 shown]
	v_lshlrev_b64 v[2:3], 2, v[2:3]
	v_mov_b32_e32 v1, s16
	v_add_co_u32_e32 v12, vcc, s15, v2
	v_addc_co_u32_e32 v13, vcc, v1, v3, vcc
	global_load_dword v5, v[6:7], off
	global_load_dword v4, v[8:9], off
	;; [unrolled: 1-line block ×4, first 2 shown]
	s_load_dwordx2 s[12:13], s[4:5], 0x8
	s_andn2_b64 vcc, exec, s[2:3]
	s_cbranch_vccnz .LBB204_8
; %bb.6:
	s_add_u32 s0, s0, s10
	s_addc_u32 s1, s1, s11
	s_load_dword s9, s[0:1], 0x0
	s_branch .LBB204_9
.LBB204_7:
	s_mov_b64 s[12:13], 0
	s_branch .LBB204_2
.LBB204_8:
	s_mov_b32 s9, s6
.LBB204_9:
	s_load_dwordx2 s[2:3], s[4:5], 0x10
	s_load_dwordx4 s[44:47], s[4:5], 0x48
	v_lshrrev_b32_e32 v53, 6, v0
	v_bfe_u32 v1, v0, 4, 2
	v_lshl_or_b32 v6, v53, 2, v1
	v_and_b32_e32 v52, 15, v0
	v_lshlrev_b32_e32 v7, 3, v52
	v_cmp_gt_u32_e32 vcc, 13, v6
	v_cmp_gt_u32_e64 s[0:1], 8, v52
	s_mul_i32 s29, s8, 13
	s_and_b64 s[18:19], s[0:1], vcc
	v_lshlrev_b32_e32 v50, 1, v7
	s_and_saveexec_b64 s[10:11], s[18:19]
	s_cbranch_execz .LBB204_11
; %bb.10:
	s_load_dwordx2 s[18:19], s[4:5], 0x0
	s_waitcnt lgkmcnt(0)
	s_ashr_i32 s20, s44, 31
	s_mul_hi_u32 s21, s9, s44
	s_mul_i32 s20, s9, s20
	s_add_i32 s21, s21, s20
	s_mul_i32 s20, s9, s44
	s_lshl_b64 s[20:21], s[20:21], 1
	v_add_lshl_u32 v8, v6, s29, 6
	s_add_u32 s9, s18, s20
	v_ashrrev_i32_e32 v9, 31, v8
	s_addc_u32 s18, s19, s21
	v_lshlrev_b64 v[8:9], 1, v[8:9]
	v_mov_b32_e32 v7, s18
	v_add_co_u32_e32 v8, vcc, s9, v8
	v_addc_co_u32_e32 v7, vcc, v7, v9, vcc
	v_add_co_u32_e32 v8, vcc, v8, v50
	v_addc_co_u32_e32 v9, vcc, 0, v7, vcc
	global_load_dwordx4 v[8:11], v[8:9], off
	v_and_b32_e32 v7, 3, v0
	v_lshlrev_b32_e32 v12, 9, v52
	v_lshlrev_b32_e32 v6, 5, v6
	;; [unrolled: 1-line block ×3, first 2 shown]
	v_and_b32_e32 v12, 0x1800, v12
	v_or3_b32 v6, v12, v7, v6
	s_waitcnt vmcnt(0)
	ds_write_b128 v6, v[8:11]
.LBB204_11:
	s_or_b64 exec, exec, s[10:11]
	s_waitcnt lgkmcnt(0)
	s_mul_i32 s8, s8, s46
	s_mov_b32 s9, 0
	s_lshl_b64 s[8:9], s[8:9], 1
	s_add_u32 s10, s12, s8
	v_lshlrev_b32_e32 v51, 4, v0
	s_addc_u32 s11, s13, s9
	v_and_b32_e32 v6, 0xf0, v51
	v_mov_b32_e32 v7, s11
	v_add_co_u32_e32 v18, vcc, s10, v6
	v_addc_co_u32_e32 v19, vcc, 0, v7, vcc
	s_waitcnt vmcnt(3)
	v_mad_i64_i32 v[6:7], s[10:11], v5, s45, 0
	v_lshlrev_b64 v[6:7], 1, v[6:7]
	v_add_co_u32_e32 v5, vcc, v18, v6
	v_addc_co_u32_e32 v7, vcc, v19, v7, vcc
	v_and_b32_e32 v20, 0x300, v51
	v_add_co_u32_e32 v6, vcc, v5, v20
	s_waitcnt vmcnt(2)
	v_mad_i64_i32 v[4:5], s[10:11], v4, s45, 0
	v_addc_co_u32_e32 v7, vcc, 0, v7, vcc
	v_lshlrev_b64 v[4:5], 1, v[4:5]
	v_add_co_u32_e32 v4, vcc, v18, v4
	v_addc_co_u32_e32 v5, vcc, v19, v5, vcc
	v_add_co_u32_e32 v4, vcc, v4, v20
	v_addc_co_u32_e32 v5, vcc, 0, v5, vcc
	s_barrier
	global_load_dwordx4 v[38:41], v[6:7], off
	global_load_dwordx4 v[34:37], v[6:7], off offset:1024
	global_load_dwordx4 v[30:33], v[4:5], off
	global_load_dwordx4 v[14:17], v[4:5], off offset:1024
	s_waitcnt vmcnt(5)
	v_mad_i64_i32 v[4:5], s[10:11], v3, s45, 0
	v_lshlrev_b64 v[4:5], 1, v[4:5]
	v_add_co_u32_e32 v3, vcc, v18, v4
	v_addc_co_u32_e32 v5, vcc, v19, v5, vcc
	v_add_co_u32_e32 v4, vcc, v3, v20
	s_waitcnt vmcnt(4)
	v_mad_i64_i32 v[2:3], s[10:11], v2, s45, 0
	v_addc_co_u32_e32 v5, vcc, 0, v5, vcc
	v_lshlrev_b64 v[2:3], 1, v[2:3]
	v_add_co_u32_e32 v2, vcc, v18, v2
	v_addc_co_u32_e32 v3, vcc, v19, v3, vcc
	v_add_co_u32_e32 v22, vcc, v2, v20
	v_addc_co_u32_e32 v23, vcc, 0, v3, vcc
	global_load_dwordx4 v[10:13], v[4:5], off
	global_load_dwordx4 v[6:9], v[4:5], off offset:1024
	s_nop 0
	global_load_dwordx4 v[2:5], v[22:23], off
	global_load_dwordx4 v[18:21], v[22:23], off offset:1024
	v_add_u32_e32 v22, -13, v52
	v_cmp_gt_u32_e32 vcc, 13, v52
	v_cndmask_b32_e32 v22, v22, v52, vcc
	v_lshlrev_b32_e32 v22, 5, v22
	v_lshl_add_u32 v22, v1, 9, v22
	ds_read_b128 v[26:29], v22
	ds_read_b128 v[22:25], v22 offset:2048
	v_and_b32_e32 v54, 63, v0
	v_mov_b32_e32 v48, 0
	s_and_saveexec_b64 s[10:11], vcc
	s_cbranch_execz .LBB204_13
; %bb.12:
	s_load_dwordx2 s[12:13], s[4:5], 0x40
	v_add_u32_e32 v42, s29, v52
	v_ashrrev_i32_e32 v43, 31, v42
	v_lshlrev_b64 v[42:43], 2, v[42:43]
	s_waitcnt lgkmcnt(0)
	v_mov_b32_e32 v44, s13
	v_add_co_u32_e32 v42, vcc, s12, v42
	v_addc_co_u32_e32 v43, vcc, v44, v43, vcc
	global_load_dword v48, v[42:43], off
.LBB204_13:
	s_or_b64 exec, exec, s[10:11]
	s_waitcnt vmcnt(7) lgkmcnt(1)
	v_mfma_f32_16x16x16bf16_1k v[42:45], v[38:39], v[26:27], 0
	s_add_u32 s2, s2, s8
	v_lshlrev_b32_e32 v55, 5, v52
	s_addc_u32 s3, s3, s9
	s_load_dword s10, s[4:5], 0x1c
	s_mov_b32 s42, 0xff7fffff
	v_mfma_f32_16x16x16bf16_1k v[38:41], v[40:41], v[28:29], v[42:45]
	s_waitcnt vmcnt(6) lgkmcnt(0)
	v_mfma_f32_16x16x16bf16_1k v[38:41], v[34:35], v[22:23], v[38:41]
	s_nop 4
	v_and_or_b32 v44, v0, 48, s14
	v_mov_b32_e32 v45, s17
	v_cmp_gt_i32_e32 vcc, s33, v44
	v_mfma_f32_16x16x16bf16_1k v[34:37], v[36:37], v[24:25], v[38:41]
	s_nop 6
	v_ashrrev_i32_e32 v38, 4, v44
	v_cndmask_b32_e32 v42, v45, v38, vcc
	v_ashrrev_i32_e32 v43, 31, v42
	s_waitcnt vmcnt(5)
	v_mfma_f32_16x16x16bf16_1k v[38:41], v[30:31], v[26:27], 0
	v_lshlrev_b64 v[30:31], 2, v[42:43]
	v_mov_b32_e32 v42, s16
	v_add_co_u32_e32 v30, vcc, s15, v30
	v_addc_co_u32_e32 v31, vcc, v42, v31, vcc
	global_load_dword v42, v[30:31], off
	v_mfma_f32_16x16x16bf16_1k v[30:33], v[32:33], v[28:29], v[38:41]
	v_pk_mul_f32 v[46:47], s[10:11], v[36:37] op_sel_hi:[0,1]
	s_nop 5
	v_or_b32_e32 v38, 64, v44
	v_ashrrev_i32_e32 v39, 4, v38
	v_cmp_gt_i32_e32 vcc, s33, v38
	v_cndmask_b32_e32 v38, v45, v39, vcc
	v_ashrrev_i32_e32 v39, 31, v38
	v_lshlrev_b64 v[38:39], 2, v[38:39]
	s_waitcnt vmcnt(5)
	v_mfma_f32_16x16x16bf16_1k v[30:33], v[14:15], v[22:23], v[30:33]
	v_mov_b32_e32 v40, s16
	v_add_co_u32_e32 v14, vcc, s15, v38
	v_addc_co_u32_e32 v15, vcc, v40, v39, vcc
	global_load_dword v40, v[14:15], off
	v_or_b32_e32 v14, 0x80, v44
	v_ashrrev_i32_e32 v15, 4, v14
	v_cmp_gt_i32_e32 vcc, s33, v14
	v_cndmask_b32_e32 v14, v45, v15, vcc
	v_ashrrev_i32_e32 v15, 31, v14
	v_lshlrev_b64 v[14:15], 2, v[14:15]
	v_mfma_f32_16x16x16bf16_1k v[30:33], v[16:17], v[24:25], v[30:33]
	v_mov_b32_e32 v16, s16
	v_add_co_u32_e32 v38, vcc, s15, v14
	v_addc_co_u32_e32 v39, vcc, v16, v15, vcc
	global_load_dword v38, v[38:39], off
	s_waitcnt vmcnt(6)
	v_mfma_f32_16x16x16bf16_1k v[14:17], v[10:11], v[26:27], 0
	v_mfma_f32_16x16x16bf16_1k v[10:13], v[12:13], v[28:29], v[14:17]
	s_nop 7
	s_nop 1
	v_or_b32_e32 v14, 0xc0, v44
	v_ashrrev_i32_e32 v15, 4, v14
	v_cmp_gt_i32_e32 vcc, s33, v14
	v_cndmask_b32_e32 v14, v45, v15, vcc
	s_waitcnt vmcnt(5)
	v_mfma_f32_16x16x16bf16_1k v[10:13], v[6:7], v[22:23], v[10:13]
	v_ashrrev_i32_e32 v15, 31, v14
	v_lshlrev_b64 v[14:15], 2, v[14:15]
	v_mov_b32_e32 v16, s16
	v_add_co_u32_e32 v6, vcc, s15, v14
	v_addc_co_u32_e32 v7, vcc, v16, v15, vcc
	global_load_dword v49, v[6:7], off
	v_lshl_or_b32 v6, v53, 9, v55
	v_mov_b32_e32 v7, s3
	v_add_co_u32_e32 v60, vcc, s2, v6
	v_addc_co_u32_e32 v61, vcc, 0, v7, vcc
	v_mfma_f32_16x16x16bf16_1k v[56:59], v[8:9], v[24:25], v[10:13]
	v_pk_mul_f32 v[44:45], s[10:11], v[30:31] op_sel_hi:[0,1]
	s_waitcnt vmcnt(3)
	v_mad_i64_i32 v[6:7], s[2:3], v42, s45, 0
	s_nop 3
	v_lshlrev_b64 v[10:11], 1, v[6:7]
	v_mfma_f32_16x16x16bf16_1k v[6:9], v[2:3], v[26:27], 0
	v_add_co_u32_e32 v2, vcc, v60, v10
	v_addc_co_u32_e32 v3, vcc, v61, v11, vcc
	global_load_dwordx4 v[14:17], v[2:3], off
	global_load_dwordx4 v[10:13], v[2:3], off offset:16
	v_pk_mul_f32 v[42:43], s[10:11], v[32:33] op_sel_hi:[0,1]
	s_waitcnt vmcnt(4)
	v_mad_i64_i32 v[2:3], s[2:3], v40, s45, 0
	v_mfma_f32_16x16x16bf16_1k v[26:29], v[4:5], v[28:29], v[6:9]
	v_lshlrev_b64 v[2:3], 1, v[2:3]
	v_add_co_u32_e32 v2, vcc, v60, v2
	v_addc_co_u32_e32 v3, vcc, v61, v3, vcc
	v_pk_mul_f32 v[40:41], s[10:11], v[56:57] op_sel_hi:[0,1]
	s_nop 2
	global_load_dwordx4 v[6:9], v[2:3], off
	s_nop 0
	global_load_dwordx4 v[2:5], v[2:3], off offset:16
	v_mfma_f32_16x16x16bf16_1k v[26:29], v[18:19], v[22:23], v[26:29]
	v_pk_mul_f32 v[18:19], s[10:11], v[34:35] op_sel_hi:[0,1]
	s_waitcnt vmcnt(5)
	v_mad_i64_i32 v[38:39], s[2:3], v38, s45, 0
	v_lshlrev_b64 v[38:39], 1, v[38:39]
	v_add_co_u32_e32 v22, vcc, v60, v38
	v_mfma_f32_16x16x16bf16_1k v[24:27], v[20:21], v[24:25], v[26:29]
	v_and_b32_e32 v20, 0xc0, v0
	v_add_u32_e32 v20, s14, v20
	v_lshl_or_b32 v20, v1, 2, v20
	v_or_b32_e32 v21, 1, v20
	v_addc_co_u32_e32 v23, vcc, v61, v39, vcc
	v_pk_mul_f32 v[38:39], s[10:11], v[58:59] op_sel_hi:[0,1]
	s_nop 4
	v_pk_mul_f32 v[36:37], s[10:11], v[24:25] op_sel_hi:[0,1]
	v_subrev_u32_e32 v24, s33, v21
	v_pk_mul_f32 v[34:35], s[10:11], v[26:27] op_sel_hi:[0,1]
	v_add_u32_e32 v26, 1, v24
	v_add_u32_e32 v27, 2, v24
	v_cvt_f32_i32_e32 v25, v24
	v_cvt_f32_i32_e32 v26, v26
	;; [unrolled: 1-line block ×3, first 2 shown]
	v_add_u32_e32 v28, 3, v24
	v_fma_f32 v18, v48, v25, v18
	v_fmac_f32_e32 v19, v48, v26
	v_fma_f32 v46, v48, v27, v46
	v_add_u32_e32 v25, 16, v24
	v_add_u32_e32 v26, 17, v24
	;; [unrolled: 1-line block ×3, first 2 shown]
	v_cvt_f32_i32_e32 v28, v28
	v_cvt_f32_i32_e32 v25, v25
	;; [unrolled: 1-line block ×4, first 2 shown]
	v_fmac_f32_e32 v47, v48, v28
	v_add_u32_e32 v28, 19, v24
	v_fma_f32 v44, v48, v25, v44
	v_fmac_f32_e32 v45, v48, v26
	v_fma_f32 v42, v48, v27, v42
	v_add_u32_e32 v25, 32, v24
	v_add_u32_e32 v26, 33, v24
	;; [unrolled: 1-line block ×3, first 2 shown]
	v_cvt_f32_i32_e32 v28, v28
	v_cvt_f32_i32_e32 v25, v25
	;; [unrolled: 1-line block ×4, first 2 shown]
	v_fmac_f32_e32 v43, v48, v28
	v_add_u32_e32 v28, 35, v24
	v_fma_f32 v40, v48, v25, v40
	v_fmac_f32_e32 v41, v48, v26
	v_fma_f32 v38, v48, v27, v38
	v_add_u32_e32 v25, 48, v24
	v_add_u32_e32 v26, 49, v24
	;; [unrolled: 1-line block ×4, first 2 shown]
	v_cvt_f32_i32_e32 v24, v24
	v_cvt_f32_i32_e32 v25, v25
	;; [unrolled: 1-line block ×3, first 2 shown]
	v_cmp_gt_i32_e64 s[30:31], s33, v20
	v_fmac_f32_e32 v35, v48, v24
	v_mov_b32_e32 v24, 0xff7fffff
	v_cmp_gt_i32_e64 s[34:35], s33, v21
	v_fma_f32 v36, v48, v25, v36
	v_cndmask_b32_e64 v25, v24, v18, s[30:31]
	v_cndmask_b32_e64 v21, v24, v19, s[34:35]
	v_fmac_f32_e32 v37, v48, v26
	v_max3_f32 v21, v25, s42, v21
	v_or_b32_e32 v25, 2, v20
	v_or_b32_e32 v26, 3, v20
	v_cmp_gt_i32_e64 s[36:37], s33, v25
	v_cmp_gt_i32_e64 s[38:39], s33, v26
	v_cndmask_b32_e64 v25, v24, v46, s[36:37]
	v_cndmask_b32_e64 v26, v24, v47, s[38:39]
	v_max3_f32 v21, v21, v25, v26
	v_or_b32_e32 v25, 16, v20
	v_or_b32_e32 v26, 17, v20
	v_cmp_gt_i32_e64 s[24:25], s33, v25
	v_cmp_gt_i32_e64 s[26:27], s33, v26
	v_cndmask_b32_e64 v25, v24, v44, s[24:25]
	v_cndmask_b32_e64 v26, v24, v45, s[26:27]
	;; [unrolled: 7-line block ×3, first 2 shown]
	v_cvt_f32_i32_e32 v28, v28
	v_max3_f32 v21, v21, v25, v26
	v_or_b32_e32 v25, 32, v20
	v_or_b32_e32 v26, 33, v20
	v_cmp_gt_i32_e64 s[16:17], s33, v25
	v_cmp_gt_i32_e64 s[18:19], s33, v26
	v_cndmask_b32_e64 v25, v24, v40, s[16:17]
	v_cndmask_b32_e64 v26, v24, v41, s[18:19]
	v_max3_f32 v21, v21, v25, v26
	v_or_b32_e32 v25, 34, v20
	v_or_b32_e32 v26, 35, v20
	v_fmac_f32_e32 v39, v48, v28
	v_cmp_gt_i32_e64 s[12:13], s33, v25
	v_cmp_gt_i32_e64 s[14:15], s33, v26
	v_cndmask_b32_e64 v25, v24, v38, s[12:13]
	v_cndmask_b32_e64 v26, v24, v39, s[14:15]
	v_cvt_f32_i32_e32 v27, v27
	v_max3_f32 v21, v21, v25, v26
	v_or_b32_e32 v25, 48, v20
	v_or_b32_e32 v26, 49, v20
	v_cmp_gt_i32_e64 s[8:9], s33, v25
	v_cmp_gt_i32_e64 s[10:11], s33, v26
	v_cndmask_b32_e64 v25, v24, v36, s[8:9]
	v_cndmask_b32_e64 v26, v24, v37, s[10:11]
	v_max3_f32 v21, v21, v25, v26
	v_or_b32_e32 v25, 50, v20
	v_or_b32_e32 v20, 51, v20
	v_fma_f32 v34, v48, v27, v34
	v_cmp_gt_i32_e32 vcc, s33, v25
	v_cmp_gt_i32_e64 s[2:3], s33, v20
	v_cndmask_b32_e32 v25, v24, v34, vcc
	v_cndmask_b32_e64 v20, v24, v35, s[2:3]
	v_max3_f32 v26, v21, v25, v20
	v_mbcnt_lo_u32_b32 v20, -1, 0
	v_mbcnt_hi_u32_b32 v27, -1, v20
	v_and_b32_e32 v20, 64, v27
	v_add_u32_e32 v28, 64, v20
	v_xor_b32_e32 v20, 32, v27
	v_cmp_lt_i32_e64 s[40:41], v20, v28
	v_cndmask_b32_e64 v20, v27, v20, s[40:41]
	v_lshlrev_b32_e32 v57, 2, v20
	ds_bpermute_b32 v29, v57, v26
	s_waitcnt vmcnt(4)
	v_mad_i64_i32 v[20:21], s[40:41], v49, s45, 0
	v_lshlrev_b64 v[20:21], 1, v[20:21]
	global_load_dwordx4 v[30:33], v[22:23], off
	s_nop 0
	global_load_dwordx4 v[22:25], v[22:23], off offset:16
	s_waitcnt lgkmcnt(0)
	v_max_f32_e32 v29, v29, v29
	v_max_f32_e32 v26, v26, v29
	v_xor_b32_e32 v29, 16, v27
	v_cmp_lt_i32_e64 s[40:41], v29, v28
	v_cndmask_b32_e64 v27, v27, v29, s[40:41]
	v_lshlrev_b32_e32 v59, 2, v27
	ds_bpermute_b32 v27, v59, v26
	v_add_co_u32_e64 v20, s[40:41], v60, v20
	v_addc_co_u32_e64 v21, s[40:41], v61, v21, s[40:41]
	s_waitcnt lgkmcnt(0)
	v_max_f32_e32 v27, v27, v27
	v_max_f32_e32 v56, v26, v27
	v_sub_f32_e32 v18, v18, v56
	v_mul_f32_e32 v18, 0x3fb8aa3b, v18
	v_exp_f32_e32 v48, v18
	v_sub_f32_e32 v18, v19, v56
	v_mul_f32_e32 v18, 0x3fb8aa3b, v18
	v_exp_f32_e32 v49, v18
	global_load_dwordx4 v[26:29], v[20:21], off
	s_nop 0
	global_load_dwordx4 v[18:21], v[20:21], off offset:16
	v_sub_f32_e32 v46, v46, v56
	v_mul_f32_e32 v46, 0x3fb8aa3b, v46
	v_sub_f32_e32 v47, v47, v56
	v_exp_f32_e32 v46, v46
	v_mul_f32_e32 v47, 0x3fb8aa3b, v47
	v_sub_f32_e32 v44, v44, v56
	v_exp_f32_e32 v47, v47
	v_mul_f32_e32 v44, 0x3fb8aa3b, v44
	v_sub_f32_e32 v45, v45, v56
	v_cndmask_b32_e64 v48, 0, v48, s[30:31]
	v_exp_f32_e32 v44, v44
	v_mul_f32_e32 v45, 0x3fb8aa3b, v45
	v_sub_f32_e32 v42, v42, v56
	v_add_f32_e32 v58, 0, v48
	v_cndmask_b32_e64 v49, 0, v49, s[34:35]
	v_exp_f32_e32 v45, v45
	v_mul_f32_e32 v42, 0x3fb8aa3b, v42
	v_sub_f32_e32 v43, v43, v56
	v_add_f32_e32 v58, v58, v49
	;; [unrolled: 5-line block ×10, first 2 shown]
	v_cndmask_b32_e64 v38, 0, v38, s[12:13]
	v_exp_f32_e32 v34, v34
	v_mul_f32_e32 v35, 0x3fb8aa3b, v35
	v_add_f32_e32 v58, v58, v38
	v_cndmask_b32_e64 v39, 0, v39, s[14:15]
	v_exp_f32_e32 v35, v35
	v_add_f32_e32 v58, v58, v39
	v_cndmask_b32_e64 v36, 0, v36, s[8:9]
	v_add_f32_e32 v58, v58, v36
	v_cndmask_b32_e64 v37, 0, v37, s[10:11]
	v_add_f32_e32 v58, v58, v37
	v_cndmask_b32_e32 v34, 0, v34, vcc
	v_add_f32_e32 v58, v58, v34
	v_cndmask_b32_e64 v35, 0, v35, s[2:3]
	v_add_f32_e32 v58, v58, v35
	ds_bpermute_b32 v57, v57, v58
	s_load_dword s11, s[4:5], 0x98
	v_cmp_gt_u32_e64 s[2:3], 16, v54
	s_waitcnt lgkmcnt(0)
	s_barrier
	v_add_f32_e32 v58, v58, v57
	ds_bpermute_b32 v59, v59, v58
	v_lshlrev_b32_e32 v57, 2, v52
	s_waitcnt lgkmcnt(0)
	s_and_saveexec_b64 s[8:9], s[2:3]
	s_cbranch_execz .LBB204_15
; %bb.14:
	v_add_f32_e32 v54, v58, v59
	v_lshl_or_b32 v58, v53, 6, v57
	ds_write2st64_b32 v58, v56, v54 offset1:1
.LBB204_15:
	s_or_b64 exec, exec, s[8:9]
	s_load_dword s10, s[4:5], 0x94
	s_waitcnt lgkmcnt(0)
	s_barrier
	ds_read2_b32 v[58:59], v57 offset1:16
	ds_read2_b32 v[60:61], v57 offset0:32 offset1:48
	ds_read2_b32 v[62:63], v57 offset0:64 offset1:80
	s_movk_i32 s12, 0x7fff
	s_mov_b32 s13, 0x7060302
	s_waitcnt lgkmcnt(2)
	v_max3_f32 v54, v58, s42, v59
	s_waitcnt lgkmcnt(1)
	v_max3_f32 v54, v54, v60, v61
	v_sub_f32_e32 v56, v58, v54
	v_mul_f32_e32 v56, 0x3fb8aa3b, v56
	v_exp_f32_e32 v64, v56
	v_sub_f32_e32 v56, v59, v54
	v_mul_f32_e32 v56, 0x3fb8aa3b, v56
	v_exp_f32_e32 v65, v56
	;; [unrolled: 3-line block ×3, first 2 shown]
	ds_read2_b32 v[58:59], v57 offset0:96 offset1:112
	v_sub_f32_e32 v56, v61, v54
	v_mul_f32_e32 v56, 0x3fb8aa3b, v56
	v_exp_f32_e32 v57, v56
	s_waitcnt lgkmcnt(1)
	v_fma_f32 v56, v64, v62, 0
	v_fmac_f32_e32 v56, v65, v63
	s_waitcnt lgkmcnt(0)
	v_fmac_f32_e32 v56, v60, v58
	v_fmac_f32_e32 v56, v57, v59
	v_add_f32_e32 v58, 0x358637bd, v56
	v_div_scale_f32 v59, s[8:9], v58, v58, 1.0
	v_rcp_f32_e32 v61, v59
	s_mul_i32 s11, s11, 13
	s_barrier
	v_fma_f32 v62, -v59, v61, 1.0
	v_fmac_f32_e32 v61, v62, v61
	v_div_scale_f32 v62, vcc, 1.0, v58, 1.0
	v_mul_f32_e32 v63, v62, v61
	v_fma_f32 v66, -v59, v63, v62
	v_fmac_f32_e32 v63, v66, v61
	v_fma_f32 v59, -v59, v63, v62
	v_div_fmas_f32 v59, v59, v61, v63
	v_cmp_eq_u32_e32 vcc, 1, v53
	v_div_fixup_f32 v58, v59, v58, 1.0
	v_cndmask_b32_e32 v59, v64, v65, vcc
	v_cmp_eq_u32_e32 vcc, 2, v53
	v_cndmask_b32_e32 v59, v59, v60, vcc
	v_cmp_eq_u32_e32 vcc, 3, v53
	v_cndmask_b32_e32 v57, v59, v57, vcc
	v_mul_f32_e32 v58, v57, v58
	v_pk_mul_f32 v[48:49], v[58:59], v[48:49] op_sel_hi:[0,1]
	v_pk_mul_f32 v[46:47], v[58:59], v[46:47] op_sel_hi:[0,1]
	v_bfe_u32 v57, v49, 16, 1
	v_bfe_u32 v59, v48, 16, 1
	v_add3_u32 v48, v48, v59, s12
	v_add3_u32 v49, v49, v57, s12
	v_perm_b32 v48, v49, v48, s13
	v_bfe_u32 v49, v47, 16, 1
	v_bfe_u32 v57, v46, 16, 1
	v_add3_u32 v46, v46, v57, s12
	v_add3_u32 v47, v47, v49, s12
	v_perm_b32 v49, v47, v46, s13
	v_lshlrev_b32_e32 v46, 3, v1
	v_lshlrev_b32_e32 v47, 11, v53
	v_pk_mul_f32 v[44:45], v[58:59], v[44:45] op_sel_hi:[0,1]
	v_or3_b32 v46, v47, v55, v46
	v_bfe_u32 v47, v45, 16, 1
	v_bfe_u32 v53, v44, 16, 1
	v_pk_mul_f32 v[42:43], v[58:59], v[42:43] op_sel_hi:[0,1]
	v_add3_u32 v44, v44, v53, s12
	v_add3_u32 v45, v45, v47, s12
	v_perm_b32 v44, v45, v44, s13
	v_bfe_u32 v45, v43, 16, 1
	v_bfe_u32 v47, v42, 16, 1
	v_add3_u32 v42, v42, v47, s12
	v_add3_u32 v43, v43, v45, s12
	v_pk_mul_f32 v[40:41], v[58:59], v[40:41] op_sel_hi:[0,1]
	v_perm_b32 v45, v43, v42, s13
	v_bfe_u32 v42, v41, 16, 1
	v_bfe_u32 v43, v40, 16, 1
	v_pk_mul_f32 v[38:39], v[58:59], v[38:39] op_sel_hi:[0,1]
	v_add3_u32 v40, v40, v43, s12
	v_add3_u32 v41, v41, v42, s12
	v_perm_b32 v40, v41, v40, s13
	v_bfe_u32 v41, v39, 16, 1
	v_bfe_u32 v42, v38, 16, 1
	v_add3_u32 v38, v38, v42, s12
	v_add3_u32 v39, v39, v41, s12
	v_pk_mul_f32 v[36:37], v[58:59], v[36:37] op_sel_hi:[0,1]
	v_perm_b32 v41, v39, v38, s13
	v_bfe_u32 v38, v37, 16, 1
	v_bfe_u32 v39, v36, 16, 1
	v_pk_mul_f32 v[34:35], v[58:59], v[34:35] op_sel_hi:[0,1]
	v_add3_u32 v36, v36, v39, s12
	v_add3_u32 v37, v37, v38, s12
	v_perm_b32 v36, v37, v36, s13
	v_bfe_u32 v37, v35, 16, 1
	v_bfe_u32 v38, v34, 16, 1
	v_add3_u32 v34, v34, v38, s12
	v_add3_u32 v35, v35, v37, s12
	v_perm_b32 v37, v35, v34, s13
	v_cmp_gt_u32_e32 vcc, 13, v0
	ds_write2st64_b64 v46, v[48:49], v[44:45] offset1:1
	ds_write2st64_b64 v46, v[40:41], v[36:37] offset0:2 offset1:3
	s_and_saveexec_b64 s[8:9], vcc
	s_cbranch_execz .LBB204_17
; %bb.16:
	v_add_co_u32_e32 v36, vcc, s29, v52
	v_addc_co_u32_e64 v37, s[14:15], 0, 0, vcc
	v_mov_b32_e32 v34, s11
	v_mov_b32_e32 v35, 0
	v_mad_u64_u32 v[36:37], s[14:15], s6, v34, v[36:37]
	v_mov_b32_e32 v34, s28
	s_load_dwordx4 s[16:19], s[4:5], 0x58
	s_mul_i32 s7, s7, s11
	v_mad_u64_u32 v[34:35], s[14:15], v36, s10, v[34:35]
	v_add_u32_e32 v37, s7, v37
	v_mov_b32_e32 v36, v35
	v_mad_u64_u32 v[36:37], s[14:15], v37, s10, v[36:37]
	v_mov_b32_e32 v35, v36
	v_lshlrev_b64 v[34:35], 2, v[34:35]
	s_waitcnt lgkmcnt(0)
	v_mov_b32_e32 v37, s19
	v_add_co_u32_e32 v36, vcc, s18, v34
	v_addc_co_u32_e32 v37, vcc, v37, v35, vcc
	global_store_dword v[36:37], v54, off
	v_mov_b32_e32 v36, s17
	v_add_co_u32_e32 v34, vcc, s16, v34
	v_addc_co_u32_e32 v35, vcc, v36, v35, vcc
	global_store_dword v[34:35], v56, off
.LBB204_17:
	s_or_b64 exec, exec, s[8:9]
	v_lshl_or_b32 v47, v1, 9, v55
	s_waitcnt lgkmcnt(0)
	s_barrier
	ds_read_b128 v[34:37], v47
	ds_read_b128 v[38:41], v47 offset:16
	s_waitcnt vmcnt(7) lgkmcnt(1)
	v_mfma_f32_16x16x16bf16_1k v[42:45], v[14:15], v[34:35], 0
	v_cmp_gt_u32_e32 vcc, 64, v0
	s_mov_b32 s7, 0
	s_and_b64 s[0:1], vcc, s[0:1]
	v_mfma_f32_16x16x16bf16_1k v[14:17], v[16:17], v[36:37], v[42:45]
	s_waitcnt vmcnt(6) lgkmcnt(0)
	v_mfma_f32_16x16x16bf16_1k v[14:17], v[10:11], v[38:39], v[14:17]
	v_mfma_f32_16x16x16bf16_1k v[10:13], v[12:13], v[40:41], v[14:17]
	s_nop 7
	s_nop 1
	ds_read_b128 v[14:17], v47 offset:2048
	ds_read_b128 v[34:37], v47 offset:2064
	s_waitcnt vmcnt(5) lgkmcnt(1)
	v_mfma_f32_16x16x16bf16_1k v[10:13], v[6:7], v[14:15], v[10:13]
	v_mfma_f32_16x16x16bf16_1k v[6:9], v[8:9], v[16:17], v[10:13]
	s_waitcnt vmcnt(4) lgkmcnt(0)
	v_mfma_f32_16x16x16bf16_1k v[6:9], v[2:3], v[34:35], v[6:9]
	v_mfma_f32_16x16x16bf16_1k v[2:5], v[4:5], v[36:37], v[6:9]
	s_nop 7
	s_nop 1
	ds_read_b128 v[6:9], v47 offset:4096
	ds_read_b128 v[10:13], v47 offset:4112
	s_waitcnt vmcnt(3) lgkmcnt(1)
	v_mfma_f32_16x16x16bf16_1k v[2:5], v[30:31], v[6:7], v[2:5]
	v_mfma_f32_16x16x16bf16_1k v[2:5], v[32:33], v[8:9], v[2:5]
	s_waitcnt vmcnt(2) lgkmcnt(0)
	v_mfma_f32_16x16x16bf16_1k v[2:5], v[22:23], v[10:11], v[2:5]
	v_mfma_f32_16x16x16bf16_1k v[2:5], v[24:25], v[12:13], v[2:5]
	ds_read_b128 v[6:9], v47 offset:6144
	ds_read_b128 v[10:13], v47 offset:6160
	s_waitcnt lgkmcnt(0)
	s_barrier
	s_waitcnt vmcnt(1)
	v_mfma_f32_16x16x16bf16_1k v[2:5], v[26:27], v[6:7], v[2:5]
	v_mfma_f32_16x16x16bf16_1k v[2:5], v[28:29], v[8:9], v[2:5]
	s_waitcnt vmcnt(0)
	v_mfma_f32_16x16x16bf16_1k v[2:5], v[18:19], v[10:11], v[2:5]
	v_mfma_f32_16x16x16bf16_1k v[2:5], v[20:21], v[12:13], v[2:5]
	s_nop 7
	s_nop 2
	v_bfe_u32 v6, v3, 16, 1
	v_bfe_u32 v7, v2, 16, 1
	;; [unrolled: 1-line block ×4, first 2 shown]
	v_add3_u32 v2, v2, v7, s12
	v_add3_u32 v3, v3, v6, s12
	;; [unrolled: 1-line block ×4, first 2 shown]
	v_perm_b32 v2, v3, v2, s13
	v_perm_b32 v3, v5, v4, s13
	ds_write_b64 v46, v[2:3]
	s_waitcnt lgkmcnt(0)
	s_barrier
	s_and_saveexec_b64 s[8:9], s[0:1]
	s_cbranch_execz .LBB204_20
; %bb.18:
	s_load_dwordx2 s[4:5], s[4:5], 0x68
	s_lshl_b32 s0, s10, 6
	s_mul_i32 s1, s11, s6
	s_mul_hi_u32 s9, s1, s0
	s_mul_i32 s8, s1, s0
	s_lshl_b64 s[8:9], s[8:9], 1
	s_waitcnt lgkmcnt(0)
	s_add_u32 s1, s4, s8
	v_lshlrev_b32_e32 v0, 10, v0
	s_addc_u32 s8, s5, s9
	s_lshl_b32 s6, s28, 6
	v_and_b32_e32 v0, 0x1800, v0
	v_lshlrev_b32_e32 v2, 5, v1
	v_and_b32_e32 v3, 16, v51
	s_lshl_b64 s[4:5], s[6:7], 1
	v_or3_b32 v0, v0, v2, v3
	s_add_u32 s1, s1, s4
	ds_read_b128 v[4:7], v0 offset:256
	s_addc_u32 s4, s8, s5
	ds_read_b128 v[8:11], v0 offset:128
	ds_read_b128 v[12:15], v0
	v_add_u32_e32 v18, s29, v1
	v_mov_b32_e32 v3, s4
	v_add_co_u32_e32 v2, vcc, s1, v50
	v_mad_u64_u32 v[16:17], s[4:5], v18, s0, 0
	v_addc_co_u32_e32 v3, vcc, 0, v3, vcc
	v_lshlrev_b64 v[16:17], 1, v[16:17]
	v_add_co_u32_e32 v16, vcc, v2, v16
	v_addc_co_u32_e32 v17, vcc, v3, v17, vcc
	s_waitcnt lgkmcnt(0)
	global_store_dwordx4 v[16:17], v[12:15], off
	s_nop 0
	v_add_u32_e32 v12, 4, v18
	v_mad_u64_u32 v[12:13], s[4:5], v12, s0, 0
	v_lshlrev_b64 v[12:13], 1, v[12:13]
	v_add_co_u32_e32 v12, vcc, v2, v12
	v_addc_co_u32_e32 v13, vcc, v3, v13, vcc
	global_store_dwordx4 v[12:13], v[8:11], off
	s_nop 0
	v_add_u32_e32 v8, 8, v18
	v_mad_u64_u32 v[8:9], s[4:5], v8, s0, 0
	v_lshlrev_b64 v[8:9], 1, v[8:9]
	v_add_co_u32_e32 v8, vcc, v2, v8
	v_addc_co_u32_e32 v9, vcc, v3, v9, vcc
	global_store_dwordx4 v[8:9], v[4:7], off
	s_and_b64 exec, exec, s[2:3]
	s_cbranch_execz .LBB204_20
; %bb.19:
	ds_read_b128 v[4:7], v0 offset:384
	v_add3_u32 v0, s29, v1, 12
	v_mad_u64_u32 v[0:1], s[0:1], v0, s0, 0
	v_lshlrev_b64 v[0:1], 1, v[0:1]
	v_add_co_u32_e32 v0, vcc, v2, v0
	v_addc_co_u32_e32 v1, vcc, v3, v1, vcc
	s_waitcnt lgkmcnt(0)
	global_store_dwordx4 v[0:1], v[4:7], off
.LBB204_20:
	s_endpgm
	.section	.rodata,"a",@progbits
	.p2align	6, 0x0
	.amdhsa_kernel _Z39paged_attention_ll4mi_QKV_mfma16_kernelI14__hip_bfloat16S0_LN4vllm18Fp8KVCacheDataTypeE0ES0_Li16ELi64ELi256ELb1ELi13EL8MFMAType0EEvPKT_PKT0_S9_ifPKiSB_SB_iPKfiiiPfSE_PS4_PT2_iSD_SD_
		.amdhsa_group_segment_fixed_size 8192
		.amdhsa_private_segment_fixed_size 0
		.amdhsa_kernarg_size 400
		.amdhsa_user_sgpr_count 6
		.amdhsa_user_sgpr_private_segment_buffer 1
		.amdhsa_user_sgpr_dispatch_ptr 0
		.amdhsa_user_sgpr_queue_ptr 0
		.amdhsa_user_sgpr_kernarg_segment_ptr 1
		.amdhsa_user_sgpr_dispatch_id 0
		.amdhsa_user_sgpr_flat_scratch_init 0
		.amdhsa_user_sgpr_kernarg_preload_length 0
		.amdhsa_user_sgpr_kernarg_preload_offset 0
		.amdhsa_user_sgpr_private_segment_size 0
		.amdhsa_uses_dynamic_stack 0
		.amdhsa_system_sgpr_private_segment_wavefront_offset 0
		.amdhsa_system_sgpr_workgroup_id_x 1
		.amdhsa_system_sgpr_workgroup_id_y 1
		.amdhsa_system_sgpr_workgroup_id_z 1
		.amdhsa_system_sgpr_workgroup_info 0
		.amdhsa_system_vgpr_workitem_id 0
		.amdhsa_next_free_vgpr 67
		.amdhsa_next_free_sgpr 48
		.amdhsa_accum_offset 68
		.amdhsa_reserve_vcc 1
		.amdhsa_reserve_flat_scratch 0
		.amdhsa_float_round_mode_32 0
		.amdhsa_float_round_mode_16_64 0
		.amdhsa_float_denorm_mode_32 3
		.amdhsa_float_denorm_mode_16_64 3
		.amdhsa_dx10_clamp 1
		.amdhsa_ieee_mode 1
		.amdhsa_fp16_overflow 0
		.amdhsa_tg_split 0
		.amdhsa_exception_fp_ieee_invalid_op 0
		.amdhsa_exception_fp_denorm_src 0
		.amdhsa_exception_fp_ieee_div_zero 0
		.amdhsa_exception_fp_ieee_overflow 0
		.amdhsa_exception_fp_ieee_underflow 0
		.amdhsa_exception_fp_ieee_inexact 0
		.amdhsa_exception_int_div_zero 0
	.end_amdhsa_kernel
	.section	.text._Z39paged_attention_ll4mi_QKV_mfma16_kernelI14__hip_bfloat16S0_LN4vllm18Fp8KVCacheDataTypeE0ES0_Li16ELi64ELi256ELb1ELi13EL8MFMAType0EEvPKT_PKT0_S9_ifPKiSB_SB_iPKfiiiPfSE_PS4_PT2_iSD_SD_,"axG",@progbits,_Z39paged_attention_ll4mi_QKV_mfma16_kernelI14__hip_bfloat16S0_LN4vllm18Fp8KVCacheDataTypeE0ES0_Li16ELi64ELi256ELb1ELi13EL8MFMAType0EEvPKT_PKT0_S9_ifPKiSB_SB_iPKfiiiPfSE_PS4_PT2_iSD_SD_,comdat
.Lfunc_end204:
	.size	_Z39paged_attention_ll4mi_QKV_mfma16_kernelI14__hip_bfloat16S0_LN4vllm18Fp8KVCacheDataTypeE0ES0_Li16ELi64ELi256ELb1ELi13EL8MFMAType0EEvPKT_PKT0_S9_ifPKiSB_SB_iPKfiiiPfSE_PS4_PT2_iSD_SD_, .Lfunc_end204-_Z39paged_attention_ll4mi_QKV_mfma16_kernelI14__hip_bfloat16S0_LN4vllm18Fp8KVCacheDataTypeE0ES0_Li16ELi64ELi256ELb1ELi13EL8MFMAType0EEvPKT_PKT0_S9_ifPKiSB_SB_iPKfiiiPfSE_PS4_PT2_iSD_SD_
                                        ; -- End function
	.section	.AMDGPU.csdata,"",@progbits
; Kernel info:
; codeLenInByte = 4616
; NumSgprs: 52
; NumVgprs: 67
; NumAgprs: 0
; TotalNumVgprs: 67
; ScratchSize: 0
; MemoryBound: 0
; FloatMode: 240
; IeeeMode: 1
; LDSByteSize: 8192 bytes/workgroup (compile time only)
; SGPRBlocks: 6
; VGPRBlocks: 8
; NumSGPRsForWavesPerEU: 52
; NumVGPRsForWavesPerEU: 67
; AccumOffset: 68
; Occupancy: 7
; WaveLimiterHint : 1
; COMPUTE_PGM_RSRC2:SCRATCH_EN: 0
; COMPUTE_PGM_RSRC2:USER_SGPR: 6
; COMPUTE_PGM_RSRC2:TRAP_HANDLER: 0
; COMPUTE_PGM_RSRC2:TGID_X_EN: 1
; COMPUTE_PGM_RSRC2:TGID_Y_EN: 1
; COMPUTE_PGM_RSRC2:TGID_Z_EN: 1
; COMPUTE_PGM_RSRC2:TIDIG_COMP_CNT: 0
; COMPUTE_PGM_RSRC3_GFX90A:ACCUM_OFFSET: 16
; COMPUTE_PGM_RSRC3_GFX90A:TG_SPLIT: 0
	.section	.text._Z39paged_attention_ll4mi_QKV_mfma16_kernelI14__hip_bfloat16S0_LN4vllm18Fp8KVCacheDataTypeE0ES0_Li16ELi64ELi256ELb1ELi14EL8MFMAType0EEvPKT_PKT0_S9_ifPKiSB_SB_iPKfiiiPfSE_PS4_PT2_iSD_SD_,"axG",@progbits,_Z39paged_attention_ll4mi_QKV_mfma16_kernelI14__hip_bfloat16S0_LN4vllm18Fp8KVCacheDataTypeE0ES0_Li16ELi64ELi256ELb1ELi14EL8MFMAType0EEvPKT_PKT0_S9_ifPKiSB_SB_iPKfiiiPfSE_PS4_PT2_iSD_SD_,comdat
	.protected	_Z39paged_attention_ll4mi_QKV_mfma16_kernelI14__hip_bfloat16S0_LN4vllm18Fp8KVCacheDataTypeE0ES0_Li16ELi64ELi256ELb1ELi14EL8MFMAType0EEvPKT_PKT0_S9_ifPKiSB_SB_iPKfiiiPfSE_PS4_PT2_iSD_SD_ ; -- Begin function _Z39paged_attention_ll4mi_QKV_mfma16_kernelI14__hip_bfloat16S0_LN4vllm18Fp8KVCacheDataTypeE0ES0_Li16ELi64ELi256ELb1ELi14EL8MFMAType0EEvPKT_PKT0_S9_ifPKiSB_SB_iPKfiiiPfSE_PS4_PT2_iSD_SD_
	.globl	_Z39paged_attention_ll4mi_QKV_mfma16_kernelI14__hip_bfloat16S0_LN4vllm18Fp8KVCacheDataTypeE0ES0_Li16ELi64ELi256ELb1ELi14EL8MFMAType0EEvPKT_PKT0_S9_ifPKiSB_SB_iPKfiiiPfSE_PS4_PT2_iSD_SD_
	.p2align	8
	.type	_Z39paged_attention_ll4mi_QKV_mfma16_kernelI14__hip_bfloat16S0_LN4vllm18Fp8KVCacheDataTypeE0ES0_Li16ELi64ELi256ELb1ELi14EL8MFMAType0EEvPKT_PKT0_S9_ifPKiSB_SB_iPKfiiiPfSE_PS4_PT2_iSD_SD_,@function
_Z39paged_attention_ll4mi_QKV_mfma16_kernelI14__hip_bfloat16S0_LN4vllm18Fp8KVCacheDataTypeE0ES0_Li16ELi64ELi256ELb1ELi14EL8MFMAType0EEvPKT_PKT0_S9_ifPKiSB_SB_iPKfiiiPfSE_PS4_PT2_iSD_SD_: ; @_Z39paged_attention_ll4mi_QKV_mfma16_kernelI14__hip_bfloat16S0_LN4vllm18Fp8KVCacheDataTypeE0ES0_Li16ELi64ELi256ELb1ELi14EL8MFMAType0EEvPKT_PKT0_S9_ifPKiSB_SB_iPKfiiiPfSE_PS4_PT2_iSD_SD_
; %bb.0:
	s_load_dwordx2 s[0:1], s[4:5], 0x30
	s_mov_b32 s28, s7
	s_mov_b64 s[10:11], 0
	s_waitcnt lgkmcnt(0)
	s_cmp_lg_u64 s[0:1], 0
	s_cselect_b64 s[2:3], -1, 0
	s_and_b64 vcc, exec, s[2:3]
	s_cbranch_vccz .LBB205_7
; %bb.1:
	s_add_i32 s12, s6, 1
	s_mov_b32 s13, 0
	s_lshl_b64 s[14:15], s[12:13], 2
	s_add_u32 s14, s0, s14
	s_mov_b32 s7, s13
	s_addc_u32 s15, s1, s15
	s_lshl_b64 s[12:13], s[6:7], 2
	s_add_u32 s12, s0, s12
	s_addc_u32 s13, s1, s13
	s_load_dword s9, s[14:15], 0x0
	s_load_dword s16, s[12:13], 0x0
	s_waitcnt lgkmcnt(0)
	s_sub_i32 s9, s9, s16
	s_cmp_eq_u32 s9, 1
	s_cselect_b64 s[12:13], -1, 0
	s_andn2_b64 vcc, exec, s[10:11]
	s_cbranch_vccnz .LBB205_3
.LBB205_2:
	s_mov_b32 s7, 0
	s_mov_b64 s[12:13], -1
.LBB205_3:
	s_andn2_b64 vcc, exec, s[12:13]
	s_cbranch_vccnz .LBB205_20
; %bb.4:
	s_load_dwordx2 s[12:13], s[4:5], 0x28
	s_lshl_b64 s[10:11], s[6:7], 2
	s_waitcnt lgkmcnt(0)
	s_add_u32 s12, s12, s10
	s_addc_u32 s13, s13, s11
	s_load_dword s33, s[12:13], 0x0
	s_lshl_b32 s14, s28, 8
	s_waitcnt lgkmcnt(0)
	s_cmp_ge_i32 s14, s33
	s_cbranch_scc1 .LBB205_20
; %bb.5:
	s_add_i32 s15, s33, 15
	s_load_dwordx2 s[12:13], s[4:5], 0x20
	s_load_dword s9, s[4:5], 0x38
	s_ashr_i32 s16, s15, 31
	v_and_b32_e32 v1, 0xcf, v0
	s_lshr_b32 s16, s16, 28
	v_add_u32_e32 v1, s14, v1
	s_add_i32 s15, s15, s16
	v_ashrrev_i32_e32 v2, 31, v1
	s_ashr_i32 s17, s15, 4
	v_lshrrev_b32_e32 v4, 28, v2
	s_add_i32 s17, s17, -1
	v_add_u32_e32 v2, v1, v4
	s_waitcnt lgkmcnt(0)
	s_mul_i32 s18, s6, s9
	s_mov_b32 s19, 0
	v_ashrrev_i32_e32 v2, 4, v2
	v_mov_b32_e32 v5, s17
	v_cmp_gt_i32_e32 vcc, s33, v1
	s_lshl_b64 s[18:19], s[18:19], 2
	v_cndmask_b32_e32 v2, v5, v2, vcc
	s_add_u32 s15, s12, s18
	v_ashrrev_i32_e32 v3, 31, v2
	s_addc_u32 s16, s13, s19
	v_lshlrev_b64 v[2:3], 2, v[2:3]
	v_mov_b32_e32 v7, s16
	v_add_co_u32_e32 v6, vcc, s15, v2
	v_or_b32_e32 v2, 16, v1
	v_addc_co_u32_e32 v7, vcc, v7, v3, vcc
	v_add_u32_e32 v3, v2, v4
	v_ashrrev_i32_e32 v3, 4, v3
	v_cmp_gt_i32_e32 vcc, s33, v2
	v_cndmask_b32_e32 v2, v5, v3, vcc
	v_ashrrev_i32_e32 v3, 31, v2
	v_lshlrev_b64 v[2:3], 2, v[2:3]
	v_mov_b32_e32 v9, s16
	v_add_co_u32_e32 v8, vcc, s15, v2
	v_or_b32_e32 v2, 32, v1
	v_addc_co_u32_e32 v9, vcc, v9, v3, vcc
	v_add_u32_e32 v3, v2, v4
	v_ashrrev_i32_e32 v3, 4, v3
	v_cmp_gt_i32_e32 vcc, s33, v2
	v_cndmask_b32_e32 v2, v5, v3, vcc
	v_ashrrev_i32_e32 v3, 31, v2
	;; [unrolled: 10-line block ×3, first 2 shown]
	v_lshlrev_b64 v[2:3], 2, v[2:3]
	v_mov_b32_e32 v1, s16
	v_add_co_u32_e32 v12, vcc, s15, v2
	v_addc_co_u32_e32 v13, vcc, v1, v3, vcc
	global_load_dword v5, v[6:7], off
	global_load_dword v4, v[8:9], off
	;; [unrolled: 1-line block ×4, first 2 shown]
	s_load_dwordx2 s[12:13], s[4:5], 0x8
	s_andn2_b64 vcc, exec, s[2:3]
	s_cbranch_vccnz .LBB205_8
; %bb.6:
	s_add_u32 s0, s0, s10
	s_addc_u32 s1, s1, s11
	s_load_dword s9, s[0:1], 0x0
	s_branch .LBB205_9
.LBB205_7:
	s_mov_b64 s[12:13], 0
	s_branch .LBB205_2
.LBB205_8:
	s_mov_b32 s9, s6
.LBB205_9:
	s_load_dwordx2 s[2:3], s[4:5], 0x10
	s_load_dwordx4 s[44:47], s[4:5], 0x48
	v_lshrrev_b32_e32 v53, 6, v0
	v_bfe_u32 v1, v0, 4, 2
	v_lshl_or_b32 v6, v53, 2, v1
	v_and_b32_e32 v52, 15, v0
	v_lshlrev_b32_e32 v7, 3, v52
	v_cmp_gt_u32_e32 vcc, 14, v6
	v_cmp_gt_u32_e64 s[0:1], 8, v52
	s_mul_i32 s29, s8, 14
	s_and_b64 s[18:19], s[0:1], vcc
	v_lshlrev_b32_e32 v50, 1, v7
	s_and_saveexec_b64 s[10:11], s[18:19]
	s_cbranch_execz .LBB205_11
; %bb.10:
	s_load_dwordx2 s[18:19], s[4:5], 0x0
	s_waitcnt lgkmcnt(0)
	s_ashr_i32 s20, s44, 31
	s_mul_hi_u32 s21, s9, s44
	s_mul_i32 s20, s9, s20
	s_add_i32 s21, s21, s20
	s_mul_i32 s20, s9, s44
	s_lshl_b64 s[20:21], s[20:21], 1
	v_add_lshl_u32 v8, v6, s29, 6
	s_add_u32 s9, s18, s20
	v_ashrrev_i32_e32 v9, 31, v8
	s_addc_u32 s18, s19, s21
	v_lshlrev_b64 v[8:9], 1, v[8:9]
	v_mov_b32_e32 v7, s18
	v_add_co_u32_e32 v8, vcc, s9, v8
	v_addc_co_u32_e32 v7, vcc, v7, v9, vcc
	v_add_co_u32_e32 v8, vcc, v8, v50
	v_addc_co_u32_e32 v9, vcc, 0, v7, vcc
	global_load_dwordx4 v[8:11], v[8:9], off
	v_and_b32_e32 v7, 3, v0
	v_lshlrev_b32_e32 v12, 9, v52
	v_lshlrev_b32_e32 v6, 5, v6
	;; [unrolled: 1-line block ×3, first 2 shown]
	v_and_b32_e32 v12, 0x1800, v12
	v_or3_b32 v6, v12, v7, v6
	s_waitcnt vmcnt(0)
	ds_write_b128 v6, v[8:11]
.LBB205_11:
	s_or_b64 exec, exec, s[10:11]
	s_waitcnt lgkmcnt(0)
	s_mul_i32 s8, s8, s46
	s_mov_b32 s9, 0
	s_lshl_b64 s[8:9], s[8:9], 1
	s_add_u32 s10, s12, s8
	v_lshlrev_b32_e32 v51, 4, v0
	s_addc_u32 s11, s13, s9
	v_and_b32_e32 v6, 0xf0, v51
	v_mov_b32_e32 v7, s11
	v_add_co_u32_e32 v18, vcc, s10, v6
	v_addc_co_u32_e32 v19, vcc, 0, v7, vcc
	s_waitcnt vmcnt(3)
	v_mad_i64_i32 v[6:7], s[10:11], v5, s45, 0
	v_lshlrev_b64 v[6:7], 1, v[6:7]
	v_add_co_u32_e32 v5, vcc, v18, v6
	v_addc_co_u32_e32 v7, vcc, v19, v7, vcc
	v_and_b32_e32 v20, 0x300, v51
	v_add_co_u32_e32 v6, vcc, v5, v20
	s_waitcnt vmcnt(2)
	v_mad_i64_i32 v[4:5], s[10:11], v4, s45, 0
	v_addc_co_u32_e32 v7, vcc, 0, v7, vcc
	v_lshlrev_b64 v[4:5], 1, v[4:5]
	v_add_co_u32_e32 v4, vcc, v18, v4
	v_addc_co_u32_e32 v5, vcc, v19, v5, vcc
	v_add_co_u32_e32 v4, vcc, v4, v20
	v_addc_co_u32_e32 v5, vcc, 0, v5, vcc
	s_barrier
	global_load_dwordx4 v[38:41], v[6:7], off
	global_load_dwordx4 v[34:37], v[6:7], off offset:1024
	global_load_dwordx4 v[30:33], v[4:5], off
	global_load_dwordx4 v[14:17], v[4:5], off offset:1024
	s_waitcnt vmcnt(5)
	v_mad_i64_i32 v[4:5], s[10:11], v3, s45, 0
	v_lshlrev_b64 v[4:5], 1, v[4:5]
	v_add_co_u32_e32 v3, vcc, v18, v4
	v_addc_co_u32_e32 v5, vcc, v19, v5, vcc
	v_add_co_u32_e32 v4, vcc, v3, v20
	s_waitcnt vmcnt(4)
	v_mad_i64_i32 v[2:3], s[10:11], v2, s45, 0
	v_addc_co_u32_e32 v5, vcc, 0, v5, vcc
	v_lshlrev_b64 v[2:3], 1, v[2:3]
	v_add_co_u32_e32 v2, vcc, v18, v2
	v_addc_co_u32_e32 v3, vcc, v19, v3, vcc
	v_add_co_u32_e32 v22, vcc, v2, v20
	v_addc_co_u32_e32 v23, vcc, 0, v3, vcc
	global_load_dwordx4 v[10:13], v[4:5], off
	global_load_dwordx4 v[6:9], v[4:5], off offset:1024
	s_nop 0
	global_load_dwordx4 v[2:5], v[22:23], off
	global_load_dwordx4 v[18:21], v[22:23], off offset:1024
	v_add_u32_e32 v22, -14, v52
	v_cmp_gt_u32_e32 vcc, 14, v52
	v_cndmask_b32_e32 v22, v22, v52, vcc
	v_lshlrev_b32_e32 v22, 5, v22
	v_lshl_add_u32 v22, v1, 9, v22
	ds_read_b128 v[26:29], v22
	ds_read_b128 v[22:25], v22 offset:2048
	v_and_b32_e32 v54, 63, v0
	v_mov_b32_e32 v48, 0
	s_and_saveexec_b64 s[10:11], vcc
	s_cbranch_execz .LBB205_13
; %bb.12:
	s_load_dwordx2 s[12:13], s[4:5], 0x40
	v_add_u32_e32 v42, s29, v52
	v_ashrrev_i32_e32 v43, 31, v42
	v_lshlrev_b64 v[42:43], 2, v[42:43]
	s_waitcnt lgkmcnt(0)
	v_mov_b32_e32 v44, s13
	v_add_co_u32_e32 v42, vcc, s12, v42
	v_addc_co_u32_e32 v43, vcc, v44, v43, vcc
	global_load_dword v48, v[42:43], off
.LBB205_13:
	s_or_b64 exec, exec, s[10:11]
	s_waitcnt vmcnt(7) lgkmcnt(1)
	v_mfma_f32_16x16x16bf16_1k v[42:45], v[38:39], v[26:27], 0
	s_add_u32 s2, s2, s8
	v_lshlrev_b32_e32 v55, 5, v52
	s_addc_u32 s3, s3, s9
	s_load_dword s10, s[4:5], 0x1c
	s_mov_b32 s42, 0xff7fffff
	v_mfma_f32_16x16x16bf16_1k v[38:41], v[40:41], v[28:29], v[42:45]
	s_waitcnt vmcnt(6) lgkmcnt(0)
	v_mfma_f32_16x16x16bf16_1k v[38:41], v[34:35], v[22:23], v[38:41]
	s_nop 4
	v_and_or_b32 v44, v0, 48, s14
	v_mov_b32_e32 v45, s17
	v_cmp_gt_i32_e32 vcc, s33, v44
	v_mfma_f32_16x16x16bf16_1k v[34:37], v[36:37], v[24:25], v[38:41]
	s_nop 6
	v_ashrrev_i32_e32 v38, 4, v44
	v_cndmask_b32_e32 v42, v45, v38, vcc
	v_ashrrev_i32_e32 v43, 31, v42
	s_waitcnt vmcnt(5)
	v_mfma_f32_16x16x16bf16_1k v[38:41], v[30:31], v[26:27], 0
	v_lshlrev_b64 v[30:31], 2, v[42:43]
	v_mov_b32_e32 v42, s16
	v_add_co_u32_e32 v30, vcc, s15, v30
	v_addc_co_u32_e32 v31, vcc, v42, v31, vcc
	global_load_dword v42, v[30:31], off
	v_mfma_f32_16x16x16bf16_1k v[30:33], v[32:33], v[28:29], v[38:41]
	v_pk_mul_f32 v[46:47], s[10:11], v[36:37] op_sel_hi:[0,1]
	s_nop 5
	v_or_b32_e32 v38, 64, v44
	v_ashrrev_i32_e32 v39, 4, v38
	v_cmp_gt_i32_e32 vcc, s33, v38
	v_cndmask_b32_e32 v38, v45, v39, vcc
	v_ashrrev_i32_e32 v39, 31, v38
	v_lshlrev_b64 v[38:39], 2, v[38:39]
	s_waitcnt vmcnt(5)
	v_mfma_f32_16x16x16bf16_1k v[30:33], v[14:15], v[22:23], v[30:33]
	v_mov_b32_e32 v40, s16
	v_add_co_u32_e32 v14, vcc, s15, v38
	v_addc_co_u32_e32 v15, vcc, v40, v39, vcc
	global_load_dword v40, v[14:15], off
	v_or_b32_e32 v14, 0x80, v44
	v_ashrrev_i32_e32 v15, 4, v14
	v_cmp_gt_i32_e32 vcc, s33, v14
	v_cndmask_b32_e32 v14, v45, v15, vcc
	v_ashrrev_i32_e32 v15, 31, v14
	v_lshlrev_b64 v[14:15], 2, v[14:15]
	v_mfma_f32_16x16x16bf16_1k v[30:33], v[16:17], v[24:25], v[30:33]
	v_mov_b32_e32 v16, s16
	v_add_co_u32_e32 v38, vcc, s15, v14
	v_addc_co_u32_e32 v39, vcc, v16, v15, vcc
	global_load_dword v38, v[38:39], off
	s_waitcnt vmcnt(6)
	v_mfma_f32_16x16x16bf16_1k v[14:17], v[10:11], v[26:27], 0
	v_mfma_f32_16x16x16bf16_1k v[10:13], v[12:13], v[28:29], v[14:17]
	s_nop 7
	s_nop 1
	v_or_b32_e32 v14, 0xc0, v44
	v_ashrrev_i32_e32 v15, 4, v14
	v_cmp_gt_i32_e32 vcc, s33, v14
	v_cndmask_b32_e32 v14, v45, v15, vcc
	s_waitcnt vmcnt(5)
	v_mfma_f32_16x16x16bf16_1k v[10:13], v[6:7], v[22:23], v[10:13]
	v_ashrrev_i32_e32 v15, 31, v14
	v_lshlrev_b64 v[14:15], 2, v[14:15]
	v_mov_b32_e32 v16, s16
	v_add_co_u32_e32 v6, vcc, s15, v14
	v_addc_co_u32_e32 v7, vcc, v16, v15, vcc
	global_load_dword v49, v[6:7], off
	v_lshl_or_b32 v6, v53, 9, v55
	v_mov_b32_e32 v7, s3
	v_add_co_u32_e32 v60, vcc, s2, v6
	v_addc_co_u32_e32 v61, vcc, 0, v7, vcc
	v_mfma_f32_16x16x16bf16_1k v[56:59], v[8:9], v[24:25], v[10:13]
	v_pk_mul_f32 v[44:45], s[10:11], v[30:31] op_sel_hi:[0,1]
	s_waitcnt vmcnt(3)
	v_mad_i64_i32 v[6:7], s[2:3], v42, s45, 0
	s_nop 3
	v_lshlrev_b64 v[10:11], 1, v[6:7]
	v_mfma_f32_16x16x16bf16_1k v[6:9], v[2:3], v[26:27], 0
	v_add_co_u32_e32 v2, vcc, v60, v10
	v_addc_co_u32_e32 v3, vcc, v61, v11, vcc
	global_load_dwordx4 v[14:17], v[2:3], off
	global_load_dwordx4 v[10:13], v[2:3], off offset:16
	v_pk_mul_f32 v[42:43], s[10:11], v[32:33] op_sel_hi:[0,1]
	s_waitcnt vmcnt(4)
	v_mad_i64_i32 v[2:3], s[2:3], v40, s45, 0
	v_mfma_f32_16x16x16bf16_1k v[26:29], v[4:5], v[28:29], v[6:9]
	v_lshlrev_b64 v[2:3], 1, v[2:3]
	v_add_co_u32_e32 v2, vcc, v60, v2
	v_addc_co_u32_e32 v3, vcc, v61, v3, vcc
	v_pk_mul_f32 v[40:41], s[10:11], v[56:57] op_sel_hi:[0,1]
	s_nop 2
	global_load_dwordx4 v[6:9], v[2:3], off
	s_nop 0
	global_load_dwordx4 v[2:5], v[2:3], off offset:16
	v_mfma_f32_16x16x16bf16_1k v[26:29], v[18:19], v[22:23], v[26:29]
	v_pk_mul_f32 v[18:19], s[10:11], v[34:35] op_sel_hi:[0,1]
	s_waitcnt vmcnt(5)
	v_mad_i64_i32 v[38:39], s[2:3], v38, s45, 0
	v_lshlrev_b64 v[38:39], 1, v[38:39]
	v_add_co_u32_e32 v22, vcc, v60, v38
	v_mfma_f32_16x16x16bf16_1k v[24:27], v[20:21], v[24:25], v[26:29]
	v_and_b32_e32 v20, 0xc0, v0
	v_add_u32_e32 v20, s14, v20
	v_lshl_or_b32 v20, v1, 2, v20
	v_or_b32_e32 v21, 1, v20
	v_addc_co_u32_e32 v23, vcc, v61, v39, vcc
	v_pk_mul_f32 v[38:39], s[10:11], v[58:59] op_sel_hi:[0,1]
	s_nop 4
	v_pk_mul_f32 v[36:37], s[10:11], v[24:25] op_sel_hi:[0,1]
	v_subrev_u32_e32 v24, s33, v21
	v_pk_mul_f32 v[34:35], s[10:11], v[26:27] op_sel_hi:[0,1]
	v_add_u32_e32 v26, 1, v24
	v_add_u32_e32 v27, 2, v24
	v_cvt_f32_i32_e32 v25, v24
	v_cvt_f32_i32_e32 v26, v26
	;; [unrolled: 1-line block ×3, first 2 shown]
	v_add_u32_e32 v28, 3, v24
	v_fma_f32 v18, v48, v25, v18
	v_fmac_f32_e32 v19, v48, v26
	v_fma_f32 v46, v48, v27, v46
	v_add_u32_e32 v25, 16, v24
	v_add_u32_e32 v26, 17, v24
	;; [unrolled: 1-line block ×3, first 2 shown]
	v_cvt_f32_i32_e32 v28, v28
	v_cvt_f32_i32_e32 v25, v25
	;; [unrolled: 1-line block ×4, first 2 shown]
	v_fmac_f32_e32 v47, v48, v28
	v_add_u32_e32 v28, 19, v24
	v_fma_f32 v44, v48, v25, v44
	v_fmac_f32_e32 v45, v48, v26
	v_fma_f32 v42, v48, v27, v42
	v_add_u32_e32 v25, 32, v24
	v_add_u32_e32 v26, 33, v24
	;; [unrolled: 1-line block ×3, first 2 shown]
	v_cvt_f32_i32_e32 v28, v28
	v_cvt_f32_i32_e32 v25, v25
	;; [unrolled: 1-line block ×4, first 2 shown]
	v_fmac_f32_e32 v43, v48, v28
	v_add_u32_e32 v28, 35, v24
	v_fma_f32 v40, v48, v25, v40
	v_fmac_f32_e32 v41, v48, v26
	v_fma_f32 v38, v48, v27, v38
	v_add_u32_e32 v25, 48, v24
	v_add_u32_e32 v26, 49, v24
	;; [unrolled: 1-line block ×4, first 2 shown]
	v_cvt_f32_i32_e32 v24, v24
	v_cvt_f32_i32_e32 v25, v25
	;; [unrolled: 1-line block ×3, first 2 shown]
	v_cmp_gt_i32_e64 s[30:31], s33, v20
	v_fmac_f32_e32 v35, v48, v24
	v_mov_b32_e32 v24, 0xff7fffff
	v_cmp_gt_i32_e64 s[34:35], s33, v21
	v_fma_f32 v36, v48, v25, v36
	v_cndmask_b32_e64 v25, v24, v18, s[30:31]
	v_cndmask_b32_e64 v21, v24, v19, s[34:35]
	v_fmac_f32_e32 v37, v48, v26
	v_max3_f32 v21, v25, s42, v21
	v_or_b32_e32 v25, 2, v20
	v_or_b32_e32 v26, 3, v20
	v_cmp_gt_i32_e64 s[36:37], s33, v25
	v_cmp_gt_i32_e64 s[38:39], s33, v26
	v_cndmask_b32_e64 v25, v24, v46, s[36:37]
	v_cndmask_b32_e64 v26, v24, v47, s[38:39]
	v_max3_f32 v21, v21, v25, v26
	v_or_b32_e32 v25, 16, v20
	v_or_b32_e32 v26, 17, v20
	v_cmp_gt_i32_e64 s[24:25], s33, v25
	v_cmp_gt_i32_e64 s[26:27], s33, v26
	v_cndmask_b32_e64 v25, v24, v44, s[24:25]
	v_cndmask_b32_e64 v26, v24, v45, s[26:27]
	;; [unrolled: 7-line block ×3, first 2 shown]
	v_cvt_f32_i32_e32 v28, v28
	v_max3_f32 v21, v21, v25, v26
	v_or_b32_e32 v25, 32, v20
	v_or_b32_e32 v26, 33, v20
	v_cmp_gt_i32_e64 s[16:17], s33, v25
	v_cmp_gt_i32_e64 s[18:19], s33, v26
	v_cndmask_b32_e64 v25, v24, v40, s[16:17]
	v_cndmask_b32_e64 v26, v24, v41, s[18:19]
	v_max3_f32 v21, v21, v25, v26
	v_or_b32_e32 v25, 34, v20
	v_or_b32_e32 v26, 35, v20
	v_fmac_f32_e32 v39, v48, v28
	v_cmp_gt_i32_e64 s[12:13], s33, v25
	v_cmp_gt_i32_e64 s[14:15], s33, v26
	v_cndmask_b32_e64 v25, v24, v38, s[12:13]
	v_cndmask_b32_e64 v26, v24, v39, s[14:15]
	v_cvt_f32_i32_e32 v27, v27
	v_max3_f32 v21, v21, v25, v26
	v_or_b32_e32 v25, 48, v20
	v_or_b32_e32 v26, 49, v20
	v_cmp_gt_i32_e64 s[8:9], s33, v25
	v_cmp_gt_i32_e64 s[10:11], s33, v26
	v_cndmask_b32_e64 v25, v24, v36, s[8:9]
	v_cndmask_b32_e64 v26, v24, v37, s[10:11]
	v_max3_f32 v21, v21, v25, v26
	v_or_b32_e32 v25, 50, v20
	v_or_b32_e32 v20, 51, v20
	v_fma_f32 v34, v48, v27, v34
	v_cmp_gt_i32_e32 vcc, s33, v25
	v_cmp_gt_i32_e64 s[2:3], s33, v20
	v_cndmask_b32_e32 v25, v24, v34, vcc
	v_cndmask_b32_e64 v20, v24, v35, s[2:3]
	v_max3_f32 v26, v21, v25, v20
	v_mbcnt_lo_u32_b32 v20, -1, 0
	v_mbcnt_hi_u32_b32 v27, -1, v20
	v_and_b32_e32 v20, 64, v27
	v_add_u32_e32 v28, 64, v20
	v_xor_b32_e32 v20, 32, v27
	v_cmp_lt_i32_e64 s[40:41], v20, v28
	v_cndmask_b32_e64 v20, v27, v20, s[40:41]
	v_lshlrev_b32_e32 v57, 2, v20
	ds_bpermute_b32 v29, v57, v26
	s_waitcnt vmcnt(4)
	v_mad_i64_i32 v[20:21], s[40:41], v49, s45, 0
	v_lshlrev_b64 v[20:21], 1, v[20:21]
	global_load_dwordx4 v[30:33], v[22:23], off
	s_nop 0
	global_load_dwordx4 v[22:25], v[22:23], off offset:16
	s_waitcnt lgkmcnt(0)
	v_max_f32_e32 v29, v29, v29
	v_max_f32_e32 v26, v26, v29
	v_xor_b32_e32 v29, 16, v27
	v_cmp_lt_i32_e64 s[40:41], v29, v28
	v_cndmask_b32_e64 v27, v27, v29, s[40:41]
	v_lshlrev_b32_e32 v59, 2, v27
	ds_bpermute_b32 v27, v59, v26
	v_add_co_u32_e64 v20, s[40:41], v60, v20
	v_addc_co_u32_e64 v21, s[40:41], v61, v21, s[40:41]
	s_waitcnt lgkmcnt(0)
	v_max_f32_e32 v27, v27, v27
	v_max_f32_e32 v56, v26, v27
	v_sub_f32_e32 v18, v18, v56
	v_mul_f32_e32 v18, 0x3fb8aa3b, v18
	v_exp_f32_e32 v48, v18
	v_sub_f32_e32 v18, v19, v56
	v_mul_f32_e32 v18, 0x3fb8aa3b, v18
	v_exp_f32_e32 v49, v18
	global_load_dwordx4 v[26:29], v[20:21], off
	s_nop 0
	global_load_dwordx4 v[18:21], v[20:21], off offset:16
	v_sub_f32_e32 v46, v46, v56
	v_mul_f32_e32 v46, 0x3fb8aa3b, v46
	v_sub_f32_e32 v47, v47, v56
	v_exp_f32_e32 v46, v46
	v_mul_f32_e32 v47, 0x3fb8aa3b, v47
	v_sub_f32_e32 v44, v44, v56
	v_exp_f32_e32 v47, v47
	v_mul_f32_e32 v44, 0x3fb8aa3b, v44
	v_sub_f32_e32 v45, v45, v56
	v_cndmask_b32_e64 v48, 0, v48, s[30:31]
	v_exp_f32_e32 v44, v44
	v_mul_f32_e32 v45, 0x3fb8aa3b, v45
	v_sub_f32_e32 v42, v42, v56
	v_add_f32_e32 v58, 0, v48
	v_cndmask_b32_e64 v49, 0, v49, s[34:35]
	v_exp_f32_e32 v45, v45
	v_mul_f32_e32 v42, 0x3fb8aa3b, v42
	v_sub_f32_e32 v43, v43, v56
	v_add_f32_e32 v58, v58, v49
	;; [unrolled: 5-line block ×10, first 2 shown]
	v_cndmask_b32_e64 v38, 0, v38, s[12:13]
	v_exp_f32_e32 v34, v34
	v_mul_f32_e32 v35, 0x3fb8aa3b, v35
	v_add_f32_e32 v58, v58, v38
	v_cndmask_b32_e64 v39, 0, v39, s[14:15]
	v_exp_f32_e32 v35, v35
	v_add_f32_e32 v58, v58, v39
	v_cndmask_b32_e64 v36, 0, v36, s[8:9]
	v_add_f32_e32 v58, v58, v36
	v_cndmask_b32_e64 v37, 0, v37, s[10:11]
	v_add_f32_e32 v58, v58, v37
	v_cndmask_b32_e32 v34, 0, v34, vcc
	v_add_f32_e32 v58, v58, v34
	v_cndmask_b32_e64 v35, 0, v35, s[2:3]
	v_add_f32_e32 v58, v58, v35
	ds_bpermute_b32 v57, v57, v58
	s_load_dword s9, s[4:5], 0x98
	v_cmp_gt_u32_e32 vcc, 16, v54
	s_waitcnt lgkmcnt(0)
	s_barrier
	v_add_f32_e32 v58, v58, v57
	ds_bpermute_b32 v59, v59, v58
	v_lshlrev_b32_e32 v57, 2, v52
	s_waitcnt lgkmcnt(0)
	s_and_saveexec_b64 s[2:3], vcc
	s_cbranch_execz .LBB205_15
; %bb.14:
	v_add_f32_e32 v54, v58, v59
	v_lshl_or_b32 v58, v53, 6, v57
	ds_write2st64_b32 v58, v56, v54 offset1:1
.LBB205_15:
	s_or_b64 exec, exec, s[2:3]
	s_load_dword s8, s[4:5], 0x94
	s_waitcnt lgkmcnt(0)
	s_barrier
	ds_read2_b32 v[58:59], v57 offset1:16
	ds_read2_b32 v[60:61], v57 offset0:32 offset1:48
	ds_read2_b32 v[62:63], v57 offset0:64 offset1:80
	s_movk_i32 s10, 0x7fff
	s_mov_b32 s11, 0x7060302
	s_waitcnt lgkmcnt(2)
	v_max3_f32 v54, v58, s42, v59
	s_waitcnt lgkmcnt(1)
	v_max3_f32 v54, v54, v60, v61
	v_sub_f32_e32 v56, v58, v54
	v_mul_f32_e32 v56, 0x3fb8aa3b, v56
	v_exp_f32_e32 v64, v56
	v_sub_f32_e32 v56, v59, v54
	v_mul_f32_e32 v56, 0x3fb8aa3b, v56
	v_exp_f32_e32 v65, v56
	;; [unrolled: 3-line block ×3, first 2 shown]
	ds_read2_b32 v[58:59], v57 offset0:96 offset1:112
	v_sub_f32_e32 v56, v61, v54
	v_mul_f32_e32 v56, 0x3fb8aa3b, v56
	v_exp_f32_e32 v57, v56
	s_waitcnt lgkmcnt(1)
	v_fma_f32 v56, v64, v62, 0
	v_fmac_f32_e32 v56, v65, v63
	s_waitcnt lgkmcnt(0)
	v_fmac_f32_e32 v56, v60, v58
	v_fmac_f32_e32 v56, v57, v59
	v_add_f32_e32 v58, 0x358637bd, v56
	v_div_scale_f32 v59, s[2:3], v58, v58, 1.0
	v_rcp_f32_e32 v61, v59
	s_mul_i32 s9, s9, 14
	s_barrier
	v_fma_f32 v62, -v59, v61, 1.0
	v_fmac_f32_e32 v61, v62, v61
	v_div_scale_f32 v62, vcc, 1.0, v58, 1.0
	v_mul_f32_e32 v63, v62, v61
	v_fma_f32 v66, -v59, v63, v62
	v_fmac_f32_e32 v63, v66, v61
	v_fma_f32 v59, -v59, v63, v62
	v_div_fmas_f32 v59, v59, v61, v63
	v_cmp_eq_u32_e32 vcc, 1, v53
	v_div_fixup_f32 v58, v59, v58, 1.0
	v_cndmask_b32_e32 v59, v64, v65, vcc
	v_cmp_eq_u32_e32 vcc, 2, v53
	v_cndmask_b32_e32 v59, v59, v60, vcc
	v_cmp_eq_u32_e32 vcc, 3, v53
	v_cndmask_b32_e32 v57, v59, v57, vcc
	v_mul_f32_e32 v58, v57, v58
	v_pk_mul_f32 v[48:49], v[58:59], v[48:49] op_sel_hi:[0,1]
	v_pk_mul_f32 v[46:47], v[58:59], v[46:47] op_sel_hi:[0,1]
	v_bfe_u32 v57, v49, 16, 1
	v_bfe_u32 v59, v48, 16, 1
	v_add3_u32 v48, v48, v59, s10
	v_add3_u32 v49, v49, v57, s10
	v_perm_b32 v48, v49, v48, s11
	v_bfe_u32 v49, v47, 16, 1
	v_bfe_u32 v57, v46, 16, 1
	v_add3_u32 v46, v46, v57, s10
	v_add3_u32 v47, v47, v49, s10
	v_perm_b32 v49, v47, v46, s11
	v_lshlrev_b32_e32 v46, 3, v1
	v_lshlrev_b32_e32 v47, 11, v53
	v_pk_mul_f32 v[44:45], v[58:59], v[44:45] op_sel_hi:[0,1]
	v_or3_b32 v46, v47, v55, v46
	v_bfe_u32 v47, v45, 16, 1
	v_bfe_u32 v53, v44, 16, 1
	v_pk_mul_f32 v[42:43], v[58:59], v[42:43] op_sel_hi:[0,1]
	v_add3_u32 v44, v44, v53, s10
	v_add3_u32 v45, v45, v47, s10
	v_perm_b32 v44, v45, v44, s11
	v_bfe_u32 v45, v43, 16, 1
	v_bfe_u32 v47, v42, 16, 1
	v_add3_u32 v42, v42, v47, s10
	v_add3_u32 v43, v43, v45, s10
	v_pk_mul_f32 v[40:41], v[58:59], v[40:41] op_sel_hi:[0,1]
	v_perm_b32 v45, v43, v42, s11
	v_bfe_u32 v42, v41, 16, 1
	v_bfe_u32 v43, v40, 16, 1
	v_pk_mul_f32 v[38:39], v[58:59], v[38:39] op_sel_hi:[0,1]
	v_add3_u32 v40, v40, v43, s10
	v_add3_u32 v41, v41, v42, s10
	v_perm_b32 v40, v41, v40, s11
	v_bfe_u32 v41, v39, 16, 1
	v_bfe_u32 v42, v38, 16, 1
	v_add3_u32 v38, v38, v42, s10
	v_add3_u32 v39, v39, v41, s10
	v_pk_mul_f32 v[36:37], v[58:59], v[36:37] op_sel_hi:[0,1]
	v_perm_b32 v41, v39, v38, s11
	v_bfe_u32 v38, v37, 16, 1
	v_bfe_u32 v39, v36, 16, 1
	v_pk_mul_f32 v[34:35], v[58:59], v[34:35] op_sel_hi:[0,1]
	v_add3_u32 v36, v36, v39, s10
	v_add3_u32 v37, v37, v38, s10
	v_perm_b32 v36, v37, v36, s11
	v_bfe_u32 v37, v35, 16, 1
	v_bfe_u32 v38, v34, 16, 1
	v_add3_u32 v34, v34, v38, s10
	v_add3_u32 v35, v35, v37, s10
	v_perm_b32 v37, v35, v34, s11
	v_cmp_gt_u32_e32 vcc, 14, v0
	ds_write2st64_b64 v46, v[48:49], v[44:45] offset1:1
	ds_write2st64_b64 v46, v[40:41], v[36:37] offset0:2 offset1:3
	s_and_saveexec_b64 s[2:3], vcc
	s_cbranch_execz .LBB205_17
; %bb.16:
	v_add_co_u32_e32 v36, vcc, s29, v52
	v_addc_co_u32_e64 v37, s[16:17], 0, 0, vcc
	v_mov_b32_e32 v34, s9
	v_mov_b32_e32 v35, 0
	v_mad_u64_u32 v[36:37], s[16:17], s6, v34, v[36:37]
	v_mov_b32_e32 v34, s28
	s_load_dwordx4 s[12:15], s[4:5], 0x58
	s_mul_i32 s7, s7, s9
	v_mad_u64_u32 v[34:35], s[16:17], v36, s8, v[34:35]
	v_add_u32_e32 v37, s7, v37
	v_mov_b32_e32 v36, v35
	v_mad_u64_u32 v[36:37], s[16:17], v37, s8, v[36:37]
	v_mov_b32_e32 v35, v36
	v_lshlrev_b64 v[34:35], 2, v[34:35]
	s_waitcnt lgkmcnt(0)
	v_mov_b32_e32 v37, s15
	v_add_co_u32_e32 v36, vcc, s14, v34
	v_addc_co_u32_e32 v37, vcc, v37, v35, vcc
	global_store_dword v[36:37], v54, off
	v_mov_b32_e32 v36, s13
	v_add_co_u32_e32 v34, vcc, s12, v34
	v_addc_co_u32_e32 v35, vcc, v36, v35, vcc
	global_store_dword v[34:35], v56, off
.LBB205_17:
	s_or_b64 exec, exec, s[2:3]
	v_lshl_or_b32 v47, v1, 9, v55
	s_waitcnt lgkmcnt(0)
	s_barrier
	ds_read_b128 v[34:37], v47
	ds_read_b128 v[38:41], v47 offset:16
	s_waitcnt vmcnt(7) lgkmcnt(1)
	v_mfma_f32_16x16x16bf16_1k v[42:45], v[14:15], v[34:35], 0
	v_cmp_gt_u32_e32 vcc, 64, v0
	s_mov_b32 s3, 0
	s_and_b64 s[0:1], vcc, s[0:1]
	v_mfma_f32_16x16x16bf16_1k v[14:17], v[16:17], v[36:37], v[42:45]
	s_waitcnt vmcnt(6) lgkmcnt(0)
	v_mfma_f32_16x16x16bf16_1k v[14:17], v[10:11], v[38:39], v[14:17]
	v_mfma_f32_16x16x16bf16_1k v[10:13], v[12:13], v[40:41], v[14:17]
	s_nop 7
	s_nop 1
	ds_read_b128 v[14:17], v47 offset:2048
	ds_read_b128 v[34:37], v47 offset:2064
	s_waitcnt vmcnt(5) lgkmcnt(1)
	v_mfma_f32_16x16x16bf16_1k v[10:13], v[6:7], v[14:15], v[10:13]
	v_mfma_f32_16x16x16bf16_1k v[6:9], v[8:9], v[16:17], v[10:13]
	s_waitcnt vmcnt(4) lgkmcnt(0)
	v_mfma_f32_16x16x16bf16_1k v[6:9], v[2:3], v[34:35], v[6:9]
	v_mfma_f32_16x16x16bf16_1k v[2:5], v[4:5], v[36:37], v[6:9]
	s_nop 7
	s_nop 1
	ds_read_b128 v[6:9], v47 offset:4096
	ds_read_b128 v[10:13], v47 offset:4112
	s_waitcnt vmcnt(3) lgkmcnt(1)
	v_mfma_f32_16x16x16bf16_1k v[2:5], v[30:31], v[6:7], v[2:5]
	v_mfma_f32_16x16x16bf16_1k v[2:5], v[32:33], v[8:9], v[2:5]
	s_waitcnt vmcnt(2) lgkmcnt(0)
	v_mfma_f32_16x16x16bf16_1k v[2:5], v[22:23], v[10:11], v[2:5]
	v_mfma_f32_16x16x16bf16_1k v[2:5], v[24:25], v[12:13], v[2:5]
	ds_read_b128 v[6:9], v47 offset:6144
	ds_read_b128 v[10:13], v47 offset:6160
	s_waitcnt lgkmcnt(0)
	s_barrier
	s_waitcnt vmcnt(1)
	v_mfma_f32_16x16x16bf16_1k v[2:5], v[26:27], v[6:7], v[2:5]
	v_mfma_f32_16x16x16bf16_1k v[2:5], v[28:29], v[8:9], v[2:5]
	s_waitcnt vmcnt(0)
	v_mfma_f32_16x16x16bf16_1k v[2:5], v[18:19], v[10:11], v[2:5]
	v_mfma_f32_16x16x16bf16_1k v[2:5], v[20:21], v[12:13], v[2:5]
	s_nop 7
	s_nop 2
	v_bfe_u32 v6, v3, 16, 1
	v_bfe_u32 v7, v2, 16, 1
	;; [unrolled: 1-line block ×4, first 2 shown]
	v_add3_u32 v2, v2, v7, s10
	v_add3_u32 v3, v3, v6, s10
	;; [unrolled: 1-line block ×4, first 2 shown]
	v_perm_b32 v2, v3, v2, s11
	v_perm_b32 v3, v5, v4, s11
	ds_write_b64 v46, v[2:3]
	s_waitcnt lgkmcnt(0)
	s_barrier
	s_and_saveexec_b64 s[10:11], s[0:1]
	s_cbranch_execz .LBB205_20
; %bb.18:
	s_load_dwordx2 s[4:5], s[4:5], 0x68
	s_lshl_b32 s0, s8, 6
	s_mul_i32 s1, s9, s6
	s_mul_hi_u32 s7, s1, s0
	s_mul_i32 s6, s1, s0
	s_lshl_b64 s[6:7], s[6:7], 1
	s_waitcnt lgkmcnt(0)
	s_add_u32 s1, s4, s6
	v_lshlrev_b32_e32 v0, 10, v0
	s_addc_u32 s4, s5, s7
	s_lshl_b32 s2, s28, 6
	v_and_b32_e32 v0, 0x1800, v0
	v_lshlrev_b32_e32 v2, 5, v1
	v_and_b32_e32 v3, 16, v51
	s_lshl_b64 s[2:3], s[2:3], 1
	v_or3_b32 v0, v0, v2, v3
	s_add_u32 s1, s1, s2
	ds_read_b128 v[6:9], v0 offset:256
	v_or_b32_e32 v2, 12, v1
	s_addc_u32 s2, s4, s3
	ds_read_b128 v[10:13], v0 offset:128
	ds_read_b128 v[14:17], v0
	v_add_u32_e32 v1, s29, v1
	v_mov_b32_e32 v4, s2
	v_add_co_u32_e32 v3, vcc, s1, v50
	v_mad_u64_u32 v[18:19], s[2:3], v1, s0, 0
	v_addc_co_u32_e32 v4, vcc, 0, v4, vcc
	v_lshlrev_b64 v[18:19], 1, v[18:19]
	v_add_co_u32_e32 v18, vcc, v3, v18
	v_addc_co_u32_e32 v19, vcc, v4, v19, vcc
	v_add_u32_e32 v5, 4, v1
	s_waitcnt lgkmcnt(0)
	global_store_dwordx4 v[18:19], v[14:17], off
	v_add_u32_e32 v1, 8, v1
	v_mad_u64_u32 v[14:15], s[2:3], v5, s0, 0
	v_lshlrev_b64 v[14:15], 1, v[14:15]
	v_add_co_u32_e32 v14, vcc, v3, v14
	v_addc_co_u32_e32 v15, vcc, v4, v15, vcc
	global_store_dwordx4 v[14:15], v[10:13], off
	s_nop 0
	v_mad_u64_u32 v[10:11], s[2:3], v1, s0, 0
	v_lshlrev_b64 v[10:11], 1, v[10:11]
	v_add_co_u32_e32 v10, vcc, v3, v10
	v_addc_co_u32_e32 v11, vcc, v4, v11, vcc
	v_cmp_gt_u32_e32 vcc, 14, v2
	global_store_dwordx4 v[10:11], v[6:9], off
	s_and_b64 exec, exec, vcc
	s_cbranch_execz .LBB205_20
; %bb.19:
	ds_read_b128 v[6:9], v0 offset:384
	v_add_u32_e32 v0, s29, v2
	v_mad_u64_u32 v[0:1], s[0:1], v0, s0, 0
	v_lshlrev_b64 v[0:1], 1, v[0:1]
	v_add_co_u32_e32 v0, vcc, v3, v0
	v_addc_co_u32_e32 v1, vcc, v4, v1, vcc
	s_waitcnt lgkmcnt(0)
	global_store_dwordx4 v[0:1], v[6:9], off
.LBB205_20:
	s_endpgm
	.section	.rodata,"a",@progbits
	.p2align	6, 0x0
	.amdhsa_kernel _Z39paged_attention_ll4mi_QKV_mfma16_kernelI14__hip_bfloat16S0_LN4vllm18Fp8KVCacheDataTypeE0ES0_Li16ELi64ELi256ELb1ELi14EL8MFMAType0EEvPKT_PKT0_S9_ifPKiSB_SB_iPKfiiiPfSE_PS4_PT2_iSD_SD_
		.amdhsa_group_segment_fixed_size 8192
		.amdhsa_private_segment_fixed_size 0
		.amdhsa_kernarg_size 400
		.amdhsa_user_sgpr_count 6
		.amdhsa_user_sgpr_private_segment_buffer 1
		.amdhsa_user_sgpr_dispatch_ptr 0
		.amdhsa_user_sgpr_queue_ptr 0
		.amdhsa_user_sgpr_kernarg_segment_ptr 1
		.amdhsa_user_sgpr_dispatch_id 0
		.amdhsa_user_sgpr_flat_scratch_init 0
		.amdhsa_user_sgpr_kernarg_preload_length 0
		.amdhsa_user_sgpr_kernarg_preload_offset 0
		.amdhsa_user_sgpr_private_segment_size 0
		.amdhsa_uses_dynamic_stack 0
		.amdhsa_system_sgpr_private_segment_wavefront_offset 0
		.amdhsa_system_sgpr_workgroup_id_x 1
		.amdhsa_system_sgpr_workgroup_id_y 1
		.amdhsa_system_sgpr_workgroup_id_z 1
		.amdhsa_system_sgpr_workgroup_info 0
		.amdhsa_system_vgpr_workitem_id 0
		.amdhsa_next_free_vgpr 67
		.amdhsa_next_free_sgpr 48
		.amdhsa_accum_offset 68
		.amdhsa_reserve_vcc 1
		.amdhsa_reserve_flat_scratch 0
		.amdhsa_float_round_mode_32 0
		.amdhsa_float_round_mode_16_64 0
		.amdhsa_float_denorm_mode_32 3
		.amdhsa_float_denorm_mode_16_64 3
		.amdhsa_dx10_clamp 1
		.amdhsa_ieee_mode 1
		.amdhsa_fp16_overflow 0
		.amdhsa_tg_split 0
		.amdhsa_exception_fp_ieee_invalid_op 0
		.amdhsa_exception_fp_denorm_src 0
		.amdhsa_exception_fp_ieee_div_zero 0
		.amdhsa_exception_fp_ieee_overflow 0
		.amdhsa_exception_fp_ieee_underflow 0
		.amdhsa_exception_fp_ieee_inexact 0
		.amdhsa_exception_int_div_zero 0
	.end_amdhsa_kernel
	.section	.text._Z39paged_attention_ll4mi_QKV_mfma16_kernelI14__hip_bfloat16S0_LN4vllm18Fp8KVCacheDataTypeE0ES0_Li16ELi64ELi256ELb1ELi14EL8MFMAType0EEvPKT_PKT0_S9_ifPKiSB_SB_iPKfiiiPfSE_PS4_PT2_iSD_SD_,"axG",@progbits,_Z39paged_attention_ll4mi_QKV_mfma16_kernelI14__hip_bfloat16S0_LN4vllm18Fp8KVCacheDataTypeE0ES0_Li16ELi64ELi256ELb1ELi14EL8MFMAType0EEvPKT_PKT0_S9_ifPKiSB_SB_iPKfiiiPfSE_PS4_PT2_iSD_SD_,comdat
.Lfunc_end205:
	.size	_Z39paged_attention_ll4mi_QKV_mfma16_kernelI14__hip_bfloat16S0_LN4vllm18Fp8KVCacheDataTypeE0ES0_Li16ELi64ELi256ELb1ELi14EL8MFMAType0EEvPKT_PKT0_S9_ifPKiSB_SB_iPKfiiiPfSE_PS4_PT2_iSD_SD_, .Lfunc_end205-_Z39paged_attention_ll4mi_QKV_mfma16_kernelI14__hip_bfloat16S0_LN4vllm18Fp8KVCacheDataTypeE0ES0_Li16ELi64ELi256ELb1ELi14EL8MFMAType0EEvPKT_PKT0_S9_ifPKiSB_SB_iPKfiiiPfSE_PS4_PT2_iSD_SD_
                                        ; -- End function
	.section	.AMDGPU.csdata,"",@progbits
; Kernel info:
; codeLenInByte = 4612
; NumSgprs: 52
; NumVgprs: 67
; NumAgprs: 0
; TotalNumVgprs: 67
; ScratchSize: 0
; MemoryBound: 0
; FloatMode: 240
; IeeeMode: 1
; LDSByteSize: 8192 bytes/workgroup (compile time only)
; SGPRBlocks: 6
; VGPRBlocks: 8
; NumSGPRsForWavesPerEU: 52
; NumVGPRsForWavesPerEU: 67
; AccumOffset: 68
; Occupancy: 7
; WaveLimiterHint : 1
; COMPUTE_PGM_RSRC2:SCRATCH_EN: 0
; COMPUTE_PGM_RSRC2:USER_SGPR: 6
; COMPUTE_PGM_RSRC2:TRAP_HANDLER: 0
; COMPUTE_PGM_RSRC2:TGID_X_EN: 1
; COMPUTE_PGM_RSRC2:TGID_Y_EN: 1
; COMPUTE_PGM_RSRC2:TGID_Z_EN: 1
; COMPUTE_PGM_RSRC2:TIDIG_COMP_CNT: 0
; COMPUTE_PGM_RSRC3_GFX90A:ACCUM_OFFSET: 16
; COMPUTE_PGM_RSRC3_GFX90A:TG_SPLIT: 0
	.section	.text._Z39paged_attention_ll4mi_QKV_mfma16_kernelI14__hip_bfloat16S0_LN4vllm18Fp8KVCacheDataTypeE0ES0_Li16ELi64ELi256ELb1ELi15EL8MFMAType0EEvPKT_PKT0_S9_ifPKiSB_SB_iPKfiiiPfSE_PS4_PT2_iSD_SD_,"axG",@progbits,_Z39paged_attention_ll4mi_QKV_mfma16_kernelI14__hip_bfloat16S0_LN4vllm18Fp8KVCacheDataTypeE0ES0_Li16ELi64ELi256ELb1ELi15EL8MFMAType0EEvPKT_PKT0_S9_ifPKiSB_SB_iPKfiiiPfSE_PS4_PT2_iSD_SD_,comdat
	.protected	_Z39paged_attention_ll4mi_QKV_mfma16_kernelI14__hip_bfloat16S0_LN4vllm18Fp8KVCacheDataTypeE0ES0_Li16ELi64ELi256ELb1ELi15EL8MFMAType0EEvPKT_PKT0_S9_ifPKiSB_SB_iPKfiiiPfSE_PS4_PT2_iSD_SD_ ; -- Begin function _Z39paged_attention_ll4mi_QKV_mfma16_kernelI14__hip_bfloat16S0_LN4vllm18Fp8KVCacheDataTypeE0ES0_Li16ELi64ELi256ELb1ELi15EL8MFMAType0EEvPKT_PKT0_S9_ifPKiSB_SB_iPKfiiiPfSE_PS4_PT2_iSD_SD_
	.globl	_Z39paged_attention_ll4mi_QKV_mfma16_kernelI14__hip_bfloat16S0_LN4vllm18Fp8KVCacheDataTypeE0ES0_Li16ELi64ELi256ELb1ELi15EL8MFMAType0EEvPKT_PKT0_S9_ifPKiSB_SB_iPKfiiiPfSE_PS4_PT2_iSD_SD_
	.p2align	8
	.type	_Z39paged_attention_ll4mi_QKV_mfma16_kernelI14__hip_bfloat16S0_LN4vllm18Fp8KVCacheDataTypeE0ES0_Li16ELi64ELi256ELb1ELi15EL8MFMAType0EEvPKT_PKT0_S9_ifPKiSB_SB_iPKfiiiPfSE_PS4_PT2_iSD_SD_,@function
_Z39paged_attention_ll4mi_QKV_mfma16_kernelI14__hip_bfloat16S0_LN4vllm18Fp8KVCacheDataTypeE0ES0_Li16ELi64ELi256ELb1ELi15EL8MFMAType0EEvPKT_PKT0_S9_ifPKiSB_SB_iPKfiiiPfSE_PS4_PT2_iSD_SD_: ; @_Z39paged_attention_ll4mi_QKV_mfma16_kernelI14__hip_bfloat16S0_LN4vllm18Fp8KVCacheDataTypeE0ES0_Li16ELi64ELi256ELb1ELi15EL8MFMAType0EEvPKT_PKT0_S9_ifPKiSB_SB_iPKfiiiPfSE_PS4_PT2_iSD_SD_
; %bb.0:
	s_load_dwordx2 s[0:1], s[4:5], 0x30
	s_mov_b32 s28, s7
	s_mov_b64 s[10:11], 0
	s_waitcnt lgkmcnt(0)
	s_cmp_lg_u64 s[0:1], 0
	s_cselect_b64 s[2:3], -1, 0
	s_and_b64 vcc, exec, s[2:3]
	s_cbranch_vccz .LBB206_7
; %bb.1:
	s_add_i32 s12, s6, 1
	s_mov_b32 s13, 0
	s_lshl_b64 s[14:15], s[12:13], 2
	s_add_u32 s14, s0, s14
	s_mov_b32 s7, s13
	s_addc_u32 s15, s1, s15
	s_lshl_b64 s[12:13], s[6:7], 2
	s_add_u32 s12, s0, s12
	s_addc_u32 s13, s1, s13
	s_load_dword s9, s[14:15], 0x0
	s_load_dword s16, s[12:13], 0x0
	s_waitcnt lgkmcnt(0)
	s_sub_i32 s9, s9, s16
	s_cmp_eq_u32 s9, 1
	s_cselect_b64 s[12:13], -1, 0
	s_andn2_b64 vcc, exec, s[10:11]
	s_cbranch_vccnz .LBB206_3
.LBB206_2:
	s_mov_b32 s7, 0
	s_mov_b64 s[12:13], -1
.LBB206_3:
	s_andn2_b64 vcc, exec, s[12:13]
	s_cbranch_vccnz .LBB206_20
; %bb.4:
	s_load_dwordx2 s[12:13], s[4:5], 0x28
	s_lshl_b64 s[10:11], s[6:7], 2
	s_waitcnt lgkmcnt(0)
	s_add_u32 s12, s12, s10
	s_addc_u32 s13, s13, s11
	s_load_dword s33, s[12:13], 0x0
	s_lshl_b32 s14, s28, 8
	s_waitcnt lgkmcnt(0)
	s_cmp_ge_i32 s14, s33
	s_cbranch_scc1 .LBB206_20
; %bb.5:
	s_add_i32 s15, s33, 15
	s_load_dwordx2 s[12:13], s[4:5], 0x20
	s_load_dword s9, s[4:5], 0x38
	s_ashr_i32 s16, s15, 31
	v_and_b32_e32 v1, 0xcf, v0
	s_lshr_b32 s16, s16, 28
	v_add_u32_e32 v1, s14, v1
	s_add_i32 s15, s15, s16
	v_ashrrev_i32_e32 v2, 31, v1
	s_ashr_i32 s17, s15, 4
	v_lshrrev_b32_e32 v4, 28, v2
	s_add_i32 s17, s17, -1
	v_add_u32_e32 v2, v1, v4
	s_waitcnt lgkmcnt(0)
	s_mul_i32 s18, s6, s9
	s_mov_b32 s19, 0
	v_ashrrev_i32_e32 v2, 4, v2
	v_mov_b32_e32 v5, s17
	v_cmp_gt_i32_e32 vcc, s33, v1
	s_lshl_b64 s[18:19], s[18:19], 2
	v_cndmask_b32_e32 v2, v5, v2, vcc
	s_add_u32 s15, s12, s18
	v_ashrrev_i32_e32 v3, 31, v2
	s_addc_u32 s16, s13, s19
	v_lshlrev_b64 v[2:3], 2, v[2:3]
	v_mov_b32_e32 v7, s16
	v_add_co_u32_e32 v6, vcc, s15, v2
	v_or_b32_e32 v2, 16, v1
	v_addc_co_u32_e32 v7, vcc, v7, v3, vcc
	v_add_u32_e32 v3, v2, v4
	v_ashrrev_i32_e32 v3, 4, v3
	v_cmp_gt_i32_e32 vcc, s33, v2
	v_cndmask_b32_e32 v2, v5, v3, vcc
	v_ashrrev_i32_e32 v3, 31, v2
	v_lshlrev_b64 v[2:3], 2, v[2:3]
	v_mov_b32_e32 v9, s16
	v_add_co_u32_e32 v8, vcc, s15, v2
	v_or_b32_e32 v2, 32, v1
	v_addc_co_u32_e32 v9, vcc, v9, v3, vcc
	v_add_u32_e32 v3, v2, v4
	v_ashrrev_i32_e32 v3, 4, v3
	v_cmp_gt_i32_e32 vcc, s33, v2
	v_cndmask_b32_e32 v2, v5, v3, vcc
	v_ashrrev_i32_e32 v3, 31, v2
	;; [unrolled: 10-line block ×3, first 2 shown]
	v_lshlrev_b64 v[2:3], 2, v[2:3]
	v_mov_b32_e32 v1, s16
	v_add_co_u32_e32 v12, vcc, s15, v2
	v_addc_co_u32_e32 v13, vcc, v1, v3, vcc
	global_load_dword v5, v[6:7], off
	global_load_dword v4, v[8:9], off
	;; [unrolled: 1-line block ×4, first 2 shown]
	s_load_dwordx2 s[12:13], s[4:5], 0x8
	s_andn2_b64 vcc, exec, s[2:3]
	s_cbranch_vccnz .LBB206_8
; %bb.6:
	s_add_u32 s0, s0, s10
	s_addc_u32 s1, s1, s11
	s_load_dword s9, s[0:1], 0x0
	s_branch .LBB206_9
.LBB206_7:
	s_mov_b64 s[12:13], 0
	s_branch .LBB206_2
.LBB206_8:
	s_mov_b32 s9, s6
.LBB206_9:
	s_load_dwordx2 s[2:3], s[4:5], 0x10
	s_load_dwordx4 s[44:47], s[4:5], 0x48
	v_lshrrev_b32_e32 v53, 6, v0
	v_bfe_u32 v1, v0, 4, 2
	v_lshl_or_b32 v6, v53, 2, v1
	v_and_b32_e32 v52, 15, v0
	v_lshlrev_b32_e32 v7, 3, v52
	v_cmp_gt_u32_e32 vcc, 15, v6
	v_cmp_gt_u32_e64 s[0:1], 8, v52
	s_mul_i32 s29, s8, 15
	s_and_b64 s[18:19], s[0:1], vcc
	v_lshlrev_b32_e32 v50, 1, v7
	s_and_saveexec_b64 s[10:11], s[18:19]
	s_cbranch_execz .LBB206_11
; %bb.10:
	s_load_dwordx2 s[18:19], s[4:5], 0x0
	s_waitcnt lgkmcnt(0)
	s_ashr_i32 s20, s44, 31
	s_mul_hi_u32 s21, s9, s44
	s_mul_i32 s20, s9, s20
	s_add_i32 s21, s21, s20
	s_mul_i32 s20, s9, s44
	s_lshl_b64 s[20:21], s[20:21], 1
	v_add_lshl_u32 v8, v6, s29, 6
	s_add_u32 s9, s18, s20
	v_ashrrev_i32_e32 v9, 31, v8
	s_addc_u32 s18, s19, s21
	v_lshlrev_b64 v[8:9], 1, v[8:9]
	v_mov_b32_e32 v7, s18
	v_add_co_u32_e32 v8, vcc, s9, v8
	v_addc_co_u32_e32 v7, vcc, v7, v9, vcc
	v_add_co_u32_e32 v8, vcc, v8, v50
	v_addc_co_u32_e32 v9, vcc, 0, v7, vcc
	global_load_dwordx4 v[8:11], v[8:9], off
	v_and_b32_e32 v7, 3, v0
	v_lshlrev_b32_e32 v12, 9, v52
	v_lshlrev_b32_e32 v6, 5, v6
	;; [unrolled: 1-line block ×3, first 2 shown]
	v_and_b32_e32 v12, 0x1800, v12
	v_or3_b32 v6, v12, v7, v6
	s_waitcnt vmcnt(0)
	ds_write_b128 v6, v[8:11]
.LBB206_11:
	s_or_b64 exec, exec, s[10:11]
	s_waitcnt lgkmcnt(0)
	s_mov_b32 s9, 0
	s_mul_i32 s8, s8, s46
	s_lshl_b64 s[8:9], s[8:9], 1
	s_add_u32 s10, s12, s8
	v_lshlrev_b32_e32 v51, 4, v0
	s_addc_u32 s11, s13, s9
	v_and_b32_e32 v6, 0xf0, v51
	v_mov_b32_e32 v7, s11
	v_add_co_u32_e32 v18, vcc, s10, v6
	v_addc_co_u32_e32 v19, vcc, 0, v7, vcc
	s_waitcnt vmcnt(3)
	v_mad_i64_i32 v[6:7], s[10:11], v5, s45, 0
	v_lshlrev_b64 v[6:7], 1, v[6:7]
	v_add_co_u32_e32 v5, vcc, v18, v6
	v_addc_co_u32_e32 v7, vcc, v19, v7, vcc
	v_and_b32_e32 v20, 0x300, v51
	v_add_co_u32_e32 v6, vcc, v5, v20
	s_waitcnt vmcnt(2)
	v_mad_i64_i32 v[4:5], s[10:11], v4, s45, 0
	v_addc_co_u32_e32 v7, vcc, 0, v7, vcc
	v_lshlrev_b64 v[4:5], 1, v[4:5]
	v_add_co_u32_e32 v4, vcc, v18, v4
	v_addc_co_u32_e32 v5, vcc, v19, v5, vcc
	v_add_co_u32_e32 v4, vcc, v4, v20
	v_addc_co_u32_e32 v5, vcc, 0, v5, vcc
	s_barrier
	global_load_dwordx4 v[38:41], v[6:7], off
	global_load_dwordx4 v[34:37], v[6:7], off offset:1024
	global_load_dwordx4 v[30:33], v[4:5], off
	global_load_dwordx4 v[14:17], v[4:5], off offset:1024
	s_waitcnt vmcnt(5)
	v_mad_i64_i32 v[4:5], s[10:11], v3, s45, 0
	v_lshlrev_b64 v[4:5], 1, v[4:5]
	v_add_co_u32_e32 v3, vcc, v18, v4
	v_addc_co_u32_e32 v5, vcc, v19, v5, vcc
	v_add_co_u32_e32 v4, vcc, v3, v20
	s_waitcnt vmcnt(4)
	v_mad_i64_i32 v[2:3], s[10:11], v2, s45, 0
	v_addc_co_u32_e32 v5, vcc, 0, v5, vcc
	v_lshlrev_b64 v[2:3], 1, v[2:3]
	v_add_co_u32_e32 v2, vcc, v18, v2
	v_addc_co_u32_e32 v3, vcc, v19, v3, vcc
	v_add_co_u32_e32 v22, vcc, v2, v20
	v_addc_co_u32_e32 v23, vcc, 0, v3, vcc
	global_load_dwordx4 v[10:13], v[4:5], off
	global_load_dwordx4 v[6:9], v[4:5], off offset:1024
	s_nop 0
	global_load_dwordx4 v[2:5], v[22:23], off
	global_load_dwordx4 v[18:21], v[22:23], off offset:1024
	v_cmp_ne_u32_e32 vcc, 15, v52
	v_cndmask_b32_e32 v22, 0, v52, vcc
	v_lshlrev_b32_e32 v22, 5, v22
	v_lshl_or_b32 v22, v1, 9, v22
	ds_read_b128 v[26:29], v22
	ds_read_b128 v[22:25], v22 offset:2048
	v_and_b32_e32 v54, 63, v0
	v_mov_b32_e32 v48, 0
	s_and_saveexec_b64 s[10:11], vcc
	s_cbranch_execz .LBB206_13
; %bb.12:
	s_load_dwordx2 s[12:13], s[4:5], 0x40
	v_add_u32_e32 v42, s29, v52
	v_ashrrev_i32_e32 v43, 31, v42
	v_lshlrev_b64 v[42:43], 2, v[42:43]
	s_waitcnt lgkmcnt(0)
	v_mov_b32_e32 v44, s13
	v_add_co_u32_e32 v42, vcc, s12, v42
	v_addc_co_u32_e32 v43, vcc, v44, v43, vcc
	global_load_dword v48, v[42:43], off
.LBB206_13:
	s_or_b64 exec, exec, s[10:11]
	s_waitcnt vmcnt(7) lgkmcnt(1)
	v_mfma_f32_16x16x16bf16_1k v[42:45], v[38:39], v[26:27], 0
	s_add_u32 s2, s2, s8
	v_lshlrev_b32_e32 v55, 5, v52
	s_addc_u32 s3, s3, s9
	s_load_dword s10, s[4:5], 0x1c
	s_mov_b32 s42, 0xff7fffff
	v_mfma_f32_16x16x16bf16_1k v[38:41], v[40:41], v[28:29], v[42:45]
	s_waitcnt vmcnt(6) lgkmcnt(0)
	v_mfma_f32_16x16x16bf16_1k v[38:41], v[34:35], v[22:23], v[38:41]
	s_nop 4
	v_and_or_b32 v44, v0, 48, s14
	v_mov_b32_e32 v45, s17
	v_cmp_gt_i32_e32 vcc, s33, v44
	v_mfma_f32_16x16x16bf16_1k v[34:37], v[36:37], v[24:25], v[38:41]
	s_nop 6
	v_ashrrev_i32_e32 v38, 4, v44
	v_cndmask_b32_e32 v42, v45, v38, vcc
	v_ashrrev_i32_e32 v43, 31, v42
	s_waitcnt vmcnt(5)
	v_mfma_f32_16x16x16bf16_1k v[38:41], v[30:31], v[26:27], 0
	v_lshlrev_b64 v[30:31], 2, v[42:43]
	v_mov_b32_e32 v42, s16
	v_add_co_u32_e32 v30, vcc, s15, v30
	v_addc_co_u32_e32 v31, vcc, v42, v31, vcc
	global_load_dword v42, v[30:31], off
	v_mfma_f32_16x16x16bf16_1k v[30:33], v[32:33], v[28:29], v[38:41]
	v_pk_mul_f32 v[46:47], s[10:11], v[36:37] op_sel_hi:[0,1]
	s_nop 5
	v_or_b32_e32 v38, 64, v44
	v_ashrrev_i32_e32 v39, 4, v38
	v_cmp_gt_i32_e32 vcc, s33, v38
	v_cndmask_b32_e32 v38, v45, v39, vcc
	v_ashrrev_i32_e32 v39, 31, v38
	v_lshlrev_b64 v[38:39], 2, v[38:39]
	s_waitcnt vmcnt(5)
	v_mfma_f32_16x16x16bf16_1k v[30:33], v[14:15], v[22:23], v[30:33]
	v_mov_b32_e32 v40, s16
	v_add_co_u32_e32 v14, vcc, s15, v38
	v_addc_co_u32_e32 v15, vcc, v40, v39, vcc
	global_load_dword v40, v[14:15], off
	v_or_b32_e32 v14, 0x80, v44
	v_ashrrev_i32_e32 v15, 4, v14
	v_cmp_gt_i32_e32 vcc, s33, v14
	v_cndmask_b32_e32 v14, v45, v15, vcc
	v_ashrrev_i32_e32 v15, 31, v14
	v_lshlrev_b64 v[14:15], 2, v[14:15]
	v_mfma_f32_16x16x16bf16_1k v[30:33], v[16:17], v[24:25], v[30:33]
	v_mov_b32_e32 v16, s16
	v_add_co_u32_e32 v38, vcc, s15, v14
	v_addc_co_u32_e32 v39, vcc, v16, v15, vcc
	global_load_dword v38, v[38:39], off
	s_waitcnt vmcnt(6)
	v_mfma_f32_16x16x16bf16_1k v[14:17], v[10:11], v[26:27], 0
	v_mfma_f32_16x16x16bf16_1k v[10:13], v[12:13], v[28:29], v[14:17]
	s_nop 7
	s_nop 1
	v_or_b32_e32 v14, 0xc0, v44
	v_ashrrev_i32_e32 v15, 4, v14
	v_cmp_gt_i32_e32 vcc, s33, v14
	v_cndmask_b32_e32 v14, v45, v15, vcc
	s_waitcnt vmcnt(5)
	v_mfma_f32_16x16x16bf16_1k v[10:13], v[6:7], v[22:23], v[10:13]
	v_ashrrev_i32_e32 v15, 31, v14
	v_lshlrev_b64 v[14:15], 2, v[14:15]
	v_mov_b32_e32 v16, s16
	v_add_co_u32_e32 v6, vcc, s15, v14
	v_addc_co_u32_e32 v7, vcc, v16, v15, vcc
	global_load_dword v49, v[6:7], off
	v_lshl_or_b32 v6, v53, 9, v55
	v_mov_b32_e32 v7, s3
	v_add_co_u32_e32 v60, vcc, s2, v6
	v_addc_co_u32_e32 v61, vcc, 0, v7, vcc
	v_mfma_f32_16x16x16bf16_1k v[56:59], v[8:9], v[24:25], v[10:13]
	v_pk_mul_f32 v[44:45], s[10:11], v[30:31] op_sel_hi:[0,1]
	s_waitcnt vmcnt(3)
	v_mad_i64_i32 v[6:7], s[2:3], v42, s45, 0
	s_nop 3
	v_lshlrev_b64 v[10:11], 1, v[6:7]
	v_mfma_f32_16x16x16bf16_1k v[6:9], v[2:3], v[26:27], 0
	v_add_co_u32_e32 v2, vcc, v60, v10
	v_addc_co_u32_e32 v3, vcc, v61, v11, vcc
	global_load_dwordx4 v[14:17], v[2:3], off
	global_load_dwordx4 v[10:13], v[2:3], off offset:16
	v_pk_mul_f32 v[42:43], s[10:11], v[32:33] op_sel_hi:[0,1]
	s_waitcnt vmcnt(4)
	v_mad_i64_i32 v[2:3], s[2:3], v40, s45, 0
	v_mfma_f32_16x16x16bf16_1k v[26:29], v[4:5], v[28:29], v[6:9]
	v_lshlrev_b64 v[2:3], 1, v[2:3]
	v_add_co_u32_e32 v2, vcc, v60, v2
	v_addc_co_u32_e32 v3, vcc, v61, v3, vcc
	v_pk_mul_f32 v[40:41], s[10:11], v[56:57] op_sel_hi:[0,1]
	s_nop 2
	global_load_dwordx4 v[6:9], v[2:3], off
	s_nop 0
	global_load_dwordx4 v[2:5], v[2:3], off offset:16
	v_mfma_f32_16x16x16bf16_1k v[26:29], v[18:19], v[22:23], v[26:29]
	v_pk_mul_f32 v[18:19], s[10:11], v[34:35] op_sel_hi:[0,1]
	s_waitcnt vmcnt(5)
	v_mad_i64_i32 v[38:39], s[2:3], v38, s45, 0
	v_lshlrev_b64 v[38:39], 1, v[38:39]
	v_add_co_u32_e32 v22, vcc, v60, v38
	v_mfma_f32_16x16x16bf16_1k v[24:27], v[20:21], v[24:25], v[26:29]
	v_and_b32_e32 v20, 0xc0, v0
	v_add_u32_e32 v20, s14, v20
	v_lshl_or_b32 v20, v1, 2, v20
	v_or_b32_e32 v21, 1, v20
	v_addc_co_u32_e32 v23, vcc, v61, v39, vcc
	v_pk_mul_f32 v[38:39], s[10:11], v[58:59] op_sel_hi:[0,1]
	s_nop 4
	v_pk_mul_f32 v[36:37], s[10:11], v[24:25] op_sel_hi:[0,1]
	v_subrev_u32_e32 v24, s33, v21
	v_pk_mul_f32 v[34:35], s[10:11], v[26:27] op_sel_hi:[0,1]
	v_add_u32_e32 v26, 1, v24
	v_add_u32_e32 v27, 2, v24
	v_cvt_f32_i32_e32 v25, v24
	v_cvt_f32_i32_e32 v26, v26
	;; [unrolled: 1-line block ×3, first 2 shown]
	v_add_u32_e32 v28, 3, v24
	v_fma_f32 v18, v48, v25, v18
	v_fmac_f32_e32 v19, v48, v26
	v_fma_f32 v46, v48, v27, v46
	v_add_u32_e32 v25, 16, v24
	v_add_u32_e32 v26, 17, v24
	;; [unrolled: 1-line block ×3, first 2 shown]
	v_cvt_f32_i32_e32 v28, v28
	v_cvt_f32_i32_e32 v25, v25
	;; [unrolled: 1-line block ×4, first 2 shown]
	v_fmac_f32_e32 v47, v48, v28
	v_add_u32_e32 v28, 19, v24
	v_fma_f32 v44, v48, v25, v44
	v_fmac_f32_e32 v45, v48, v26
	v_fma_f32 v42, v48, v27, v42
	v_add_u32_e32 v25, 32, v24
	v_add_u32_e32 v26, 33, v24
	;; [unrolled: 1-line block ×3, first 2 shown]
	v_cvt_f32_i32_e32 v28, v28
	v_cvt_f32_i32_e32 v25, v25
	v_cvt_f32_i32_e32 v26, v26
	v_cvt_f32_i32_e32 v27, v27
	v_fmac_f32_e32 v43, v48, v28
	v_add_u32_e32 v28, 35, v24
	v_fma_f32 v40, v48, v25, v40
	v_fmac_f32_e32 v41, v48, v26
	v_fma_f32 v38, v48, v27, v38
	v_add_u32_e32 v25, 48, v24
	v_add_u32_e32 v26, 49, v24
	;; [unrolled: 1-line block ×4, first 2 shown]
	v_cvt_f32_i32_e32 v24, v24
	v_cvt_f32_i32_e32 v25, v25
	;; [unrolled: 1-line block ×3, first 2 shown]
	v_cmp_gt_i32_e64 s[30:31], s33, v20
	v_fmac_f32_e32 v35, v48, v24
	v_mov_b32_e32 v24, 0xff7fffff
	v_cmp_gt_i32_e64 s[34:35], s33, v21
	v_fma_f32 v36, v48, v25, v36
	v_cndmask_b32_e64 v25, v24, v18, s[30:31]
	v_cndmask_b32_e64 v21, v24, v19, s[34:35]
	v_fmac_f32_e32 v37, v48, v26
	v_max3_f32 v21, v25, s42, v21
	v_or_b32_e32 v25, 2, v20
	v_or_b32_e32 v26, 3, v20
	v_cmp_gt_i32_e64 s[36:37], s33, v25
	v_cmp_gt_i32_e64 s[38:39], s33, v26
	v_cndmask_b32_e64 v25, v24, v46, s[36:37]
	v_cndmask_b32_e64 v26, v24, v47, s[38:39]
	v_max3_f32 v21, v21, v25, v26
	v_or_b32_e32 v25, 16, v20
	v_or_b32_e32 v26, 17, v20
	v_cmp_gt_i32_e64 s[24:25], s33, v25
	v_cmp_gt_i32_e64 s[26:27], s33, v26
	v_cndmask_b32_e64 v25, v24, v44, s[24:25]
	v_cndmask_b32_e64 v26, v24, v45, s[26:27]
	;; [unrolled: 7-line block ×3, first 2 shown]
	v_cvt_f32_i32_e32 v28, v28
	v_max3_f32 v21, v21, v25, v26
	v_or_b32_e32 v25, 32, v20
	v_or_b32_e32 v26, 33, v20
	v_cmp_gt_i32_e64 s[16:17], s33, v25
	v_cmp_gt_i32_e64 s[18:19], s33, v26
	v_cndmask_b32_e64 v25, v24, v40, s[16:17]
	v_cndmask_b32_e64 v26, v24, v41, s[18:19]
	v_max3_f32 v21, v21, v25, v26
	v_or_b32_e32 v25, 34, v20
	v_or_b32_e32 v26, 35, v20
	v_fmac_f32_e32 v39, v48, v28
	v_cmp_gt_i32_e64 s[12:13], s33, v25
	v_cmp_gt_i32_e64 s[14:15], s33, v26
	v_cndmask_b32_e64 v25, v24, v38, s[12:13]
	v_cndmask_b32_e64 v26, v24, v39, s[14:15]
	v_cvt_f32_i32_e32 v27, v27
	v_max3_f32 v21, v21, v25, v26
	v_or_b32_e32 v25, 48, v20
	v_or_b32_e32 v26, 49, v20
	v_cmp_gt_i32_e64 s[8:9], s33, v25
	v_cmp_gt_i32_e64 s[10:11], s33, v26
	v_cndmask_b32_e64 v25, v24, v36, s[8:9]
	v_cndmask_b32_e64 v26, v24, v37, s[10:11]
	v_max3_f32 v21, v21, v25, v26
	v_or_b32_e32 v25, 50, v20
	v_or_b32_e32 v20, 51, v20
	v_fma_f32 v34, v48, v27, v34
	v_cmp_gt_i32_e32 vcc, s33, v25
	v_cmp_gt_i32_e64 s[2:3], s33, v20
	v_cndmask_b32_e32 v25, v24, v34, vcc
	v_cndmask_b32_e64 v20, v24, v35, s[2:3]
	v_max3_f32 v26, v21, v25, v20
	v_mbcnt_lo_u32_b32 v20, -1, 0
	v_mbcnt_hi_u32_b32 v27, -1, v20
	v_and_b32_e32 v20, 64, v27
	v_add_u32_e32 v28, 64, v20
	v_xor_b32_e32 v20, 32, v27
	v_cmp_lt_i32_e64 s[40:41], v20, v28
	v_cndmask_b32_e64 v20, v27, v20, s[40:41]
	v_lshlrev_b32_e32 v57, 2, v20
	ds_bpermute_b32 v29, v57, v26
	s_waitcnt vmcnt(4)
	v_mad_i64_i32 v[20:21], s[40:41], v49, s45, 0
	v_lshlrev_b64 v[20:21], 1, v[20:21]
	global_load_dwordx4 v[30:33], v[22:23], off
	s_nop 0
	global_load_dwordx4 v[22:25], v[22:23], off offset:16
	s_waitcnt lgkmcnt(0)
	v_max_f32_e32 v29, v29, v29
	v_max_f32_e32 v26, v26, v29
	v_xor_b32_e32 v29, 16, v27
	v_cmp_lt_i32_e64 s[40:41], v29, v28
	v_cndmask_b32_e64 v27, v27, v29, s[40:41]
	v_lshlrev_b32_e32 v59, 2, v27
	ds_bpermute_b32 v27, v59, v26
	v_add_co_u32_e64 v20, s[40:41], v60, v20
	v_addc_co_u32_e64 v21, s[40:41], v61, v21, s[40:41]
	s_waitcnt lgkmcnt(0)
	v_max_f32_e32 v27, v27, v27
	v_max_f32_e32 v56, v26, v27
	v_sub_f32_e32 v18, v18, v56
	v_mul_f32_e32 v18, 0x3fb8aa3b, v18
	v_exp_f32_e32 v48, v18
	v_sub_f32_e32 v18, v19, v56
	v_mul_f32_e32 v18, 0x3fb8aa3b, v18
	v_exp_f32_e32 v49, v18
	global_load_dwordx4 v[26:29], v[20:21], off
	s_nop 0
	global_load_dwordx4 v[18:21], v[20:21], off offset:16
	v_sub_f32_e32 v46, v46, v56
	v_mul_f32_e32 v46, 0x3fb8aa3b, v46
	v_sub_f32_e32 v47, v47, v56
	v_exp_f32_e32 v46, v46
	v_mul_f32_e32 v47, 0x3fb8aa3b, v47
	v_sub_f32_e32 v44, v44, v56
	v_exp_f32_e32 v47, v47
	v_mul_f32_e32 v44, 0x3fb8aa3b, v44
	v_sub_f32_e32 v45, v45, v56
	v_cndmask_b32_e64 v48, 0, v48, s[30:31]
	v_exp_f32_e32 v44, v44
	v_mul_f32_e32 v45, 0x3fb8aa3b, v45
	v_sub_f32_e32 v42, v42, v56
	v_add_f32_e32 v58, 0, v48
	v_cndmask_b32_e64 v49, 0, v49, s[34:35]
	v_exp_f32_e32 v45, v45
	v_mul_f32_e32 v42, 0x3fb8aa3b, v42
	v_sub_f32_e32 v43, v43, v56
	v_add_f32_e32 v58, v58, v49
	;; [unrolled: 5-line block ×10, first 2 shown]
	v_cndmask_b32_e64 v38, 0, v38, s[12:13]
	v_exp_f32_e32 v34, v34
	v_mul_f32_e32 v35, 0x3fb8aa3b, v35
	v_add_f32_e32 v58, v58, v38
	v_cndmask_b32_e64 v39, 0, v39, s[14:15]
	v_exp_f32_e32 v35, v35
	v_add_f32_e32 v58, v58, v39
	v_cndmask_b32_e64 v36, 0, v36, s[8:9]
	v_add_f32_e32 v58, v58, v36
	v_cndmask_b32_e64 v37, 0, v37, s[10:11]
	v_add_f32_e32 v58, v58, v37
	v_cndmask_b32_e32 v34, 0, v34, vcc
	v_add_f32_e32 v58, v58, v34
	v_cndmask_b32_e64 v35, 0, v35, s[2:3]
	v_add_f32_e32 v58, v58, v35
	ds_bpermute_b32 v57, v57, v58
	s_load_dword s9, s[4:5], 0x98
	v_cmp_gt_u32_e32 vcc, 16, v54
	s_waitcnt lgkmcnt(0)
	s_barrier
	v_add_f32_e32 v58, v58, v57
	ds_bpermute_b32 v59, v59, v58
	v_lshlrev_b32_e32 v57, 2, v52
	s_waitcnt lgkmcnt(0)
	s_and_saveexec_b64 s[2:3], vcc
	s_cbranch_execz .LBB206_15
; %bb.14:
	v_add_f32_e32 v54, v58, v59
	v_lshl_or_b32 v58, v53, 6, v57
	ds_write2st64_b32 v58, v56, v54 offset1:1
.LBB206_15:
	s_or_b64 exec, exec, s[2:3]
	s_load_dword s8, s[4:5], 0x94
	s_waitcnt lgkmcnt(0)
	s_barrier
	ds_read2_b32 v[58:59], v57 offset1:16
	ds_read2_b32 v[60:61], v57 offset0:32 offset1:48
	ds_read2_b32 v[62:63], v57 offset0:64 offset1:80
	s_movk_i32 s10, 0x7fff
	s_mov_b32 s11, 0x7060302
	s_waitcnt lgkmcnt(2)
	v_max3_f32 v54, v58, s42, v59
	s_waitcnt lgkmcnt(1)
	v_max3_f32 v54, v54, v60, v61
	v_sub_f32_e32 v56, v58, v54
	v_mul_f32_e32 v56, 0x3fb8aa3b, v56
	v_exp_f32_e32 v64, v56
	v_sub_f32_e32 v56, v59, v54
	v_mul_f32_e32 v56, 0x3fb8aa3b, v56
	v_exp_f32_e32 v65, v56
	;; [unrolled: 3-line block ×3, first 2 shown]
	ds_read2_b32 v[58:59], v57 offset0:96 offset1:112
	v_sub_f32_e32 v56, v61, v54
	v_mul_f32_e32 v56, 0x3fb8aa3b, v56
	v_exp_f32_e32 v57, v56
	s_waitcnt lgkmcnt(1)
	v_fma_f32 v56, v64, v62, 0
	v_fmac_f32_e32 v56, v65, v63
	s_waitcnt lgkmcnt(0)
	v_fmac_f32_e32 v56, v60, v58
	v_fmac_f32_e32 v56, v57, v59
	v_add_f32_e32 v58, 0x358637bd, v56
	v_div_scale_f32 v59, s[2:3], v58, v58, 1.0
	v_rcp_f32_e32 v61, v59
	s_mul_i32 s9, s9, 15
	s_barrier
	v_fma_f32 v62, -v59, v61, 1.0
	v_fmac_f32_e32 v61, v62, v61
	v_div_scale_f32 v62, vcc, 1.0, v58, 1.0
	v_mul_f32_e32 v63, v62, v61
	v_fma_f32 v66, -v59, v63, v62
	v_fmac_f32_e32 v63, v66, v61
	v_fma_f32 v59, -v59, v63, v62
	v_div_fmas_f32 v59, v59, v61, v63
	v_cmp_eq_u32_e32 vcc, 1, v53
	v_div_fixup_f32 v58, v59, v58, 1.0
	v_cndmask_b32_e32 v59, v64, v65, vcc
	v_cmp_eq_u32_e32 vcc, 2, v53
	v_cndmask_b32_e32 v59, v59, v60, vcc
	v_cmp_eq_u32_e32 vcc, 3, v53
	v_cndmask_b32_e32 v57, v59, v57, vcc
	v_mul_f32_e32 v58, v57, v58
	v_pk_mul_f32 v[48:49], v[58:59], v[48:49] op_sel_hi:[0,1]
	v_pk_mul_f32 v[46:47], v[58:59], v[46:47] op_sel_hi:[0,1]
	v_bfe_u32 v57, v49, 16, 1
	v_bfe_u32 v59, v48, 16, 1
	v_add3_u32 v48, v48, v59, s10
	v_add3_u32 v49, v49, v57, s10
	v_perm_b32 v48, v49, v48, s11
	v_bfe_u32 v49, v47, 16, 1
	v_bfe_u32 v57, v46, 16, 1
	v_add3_u32 v46, v46, v57, s10
	v_add3_u32 v47, v47, v49, s10
	v_perm_b32 v49, v47, v46, s11
	v_lshlrev_b32_e32 v46, 3, v1
	v_lshlrev_b32_e32 v47, 11, v53
	v_pk_mul_f32 v[44:45], v[58:59], v[44:45] op_sel_hi:[0,1]
	v_or3_b32 v46, v47, v55, v46
	v_bfe_u32 v47, v45, 16, 1
	v_bfe_u32 v53, v44, 16, 1
	v_pk_mul_f32 v[42:43], v[58:59], v[42:43] op_sel_hi:[0,1]
	v_add3_u32 v44, v44, v53, s10
	v_add3_u32 v45, v45, v47, s10
	v_perm_b32 v44, v45, v44, s11
	v_bfe_u32 v45, v43, 16, 1
	v_bfe_u32 v47, v42, 16, 1
	v_add3_u32 v42, v42, v47, s10
	v_add3_u32 v43, v43, v45, s10
	v_pk_mul_f32 v[40:41], v[58:59], v[40:41] op_sel_hi:[0,1]
	v_perm_b32 v45, v43, v42, s11
	v_bfe_u32 v42, v41, 16, 1
	v_bfe_u32 v43, v40, 16, 1
	v_pk_mul_f32 v[38:39], v[58:59], v[38:39] op_sel_hi:[0,1]
	v_add3_u32 v40, v40, v43, s10
	v_add3_u32 v41, v41, v42, s10
	v_perm_b32 v40, v41, v40, s11
	v_bfe_u32 v41, v39, 16, 1
	v_bfe_u32 v42, v38, 16, 1
	v_add3_u32 v38, v38, v42, s10
	v_add3_u32 v39, v39, v41, s10
	v_pk_mul_f32 v[36:37], v[58:59], v[36:37] op_sel_hi:[0,1]
	v_perm_b32 v41, v39, v38, s11
	v_bfe_u32 v38, v37, 16, 1
	v_bfe_u32 v39, v36, 16, 1
	v_pk_mul_f32 v[34:35], v[58:59], v[34:35] op_sel_hi:[0,1]
	v_add3_u32 v36, v36, v39, s10
	v_add3_u32 v37, v37, v38, s10
	v_perm_b32 v36, v37, v36, s11
	v_bfe_u32 v37, v35, 16, 1
	v_bfe_u32 v38, v34, 16, 1
	v_add3_u32 v34, v34, v38, s10
	v_add3_u32 v35, v35, v37, s10
	v_perm_b32 v37, v35, v34, s11
	v_cmp_gt_u32_e32 vcc, 15, v0
	ds_write2st64_b64 v46, v[48:49], v[44:45] offset1:1
	ds_write2st64_b64 v46, v[40:41], v[36:37] offset0:2 offset1:3
	s_and_saveexec_b64 s[2:3], vcc
	s_cbranch_execz .LBB206_17
; %bb.16:
	v_add_co_u32_e32 v36, vcc, s29, v52
	v_addc_co_u32_e64 v37, s[16:17], 0, 0, vcc
	v_mov_b32_e32 v34, s9
	v_mov_b32_e32 v35, 0
	v_mad_u64_u32 v[36:37], s[16:17], s6, v34, v[36:37]
	v_mov_b32_e32 v34, s28
	s_load_dwordx4 s[12:15], s[4:5], 0x58
	s_mul_i32 s7, s7, s9
	v_mad_u64_u32 v[34:35], s[16:17], v36, s8, v[34:35]
	v_add_u32_e32 v37, s7, v37
	v_mov_b32_e32 v36, v35
	v_mad_u64_u32 v[36:37], s[16:17], v37, s8, v[36:37]
	v_mov_b32_e32 v35, v36
	v_lshlrev_b64 v[34:35], 2, v[34:35]
	s_waitcnt lgkmcnt(0)
	v_mov_b32_e32 v37, s15
	v_add_co_u32_e32 v36, vcc, s14, v34
	v_addc_co_u32_e32 v37, vcc, v37, v35, vcc
	global_store_dword v[36:37], v54, off
	v_mov_b32_e32 v36, s13
	v_add_co_u32_e32 v34, vcc, s12, v34
	v_addc_co_u32_e32 v35, vcc, v36, v35, vcc
	global_store_dword v[34:35], v56, off
.LBB206_17:
	s_or_b64 exec, exec, s[2:3]
	v_lshl_or_b32 v47, v1, 9, v55
	s_waitcnt lgkmcnt(0)
	s_barrier
	ds_read_b128 v[34:37], v47
	ds_read_b128 v[38:41], v47 offset:16
	s_waitcnt vmcnt(7) lgkmcnt(1)
	v_mfma_f32_16x16x16bf16_1k v[42:45], v[14:15], v[34:35], 0
	v_cmp_gt_u32_e32 vcc, 64, v0
	s_mov_b32 s3, 0
	s_and_b64 s[0:1], vcc, s[0:1]
	v_mfma_f32_16x16x16bf16_1k v[14:17], v[16:17], v[36:37], v[42:45]
	s_waitcnt vmcnt(6) lgkmcnt(0)
	v_mfma_f32_16x16x16bf16_1k v[14:17], v[10:11], v[38:39], v[14:17]
	v_mfma_f32_16x16x16bf16_1k v[10:13], v[12:13], v[40:41], v[14:17]
	s_nop 7
	s_nop 1
	ds_read_b128 v[14:17], v47 offset:2048
	ds_read_b128 v[34:37], v47 offset:2064
	s_waitcnt vmcnt(5) lgkmcnt(1)
	v_mfma_f32_16x16x16bf16_1k v[10:13], v[6:7], v[14:15], v[10:13]
	v_mfma_f32_16x16x16bf16_1k v[6:9], v[8:9], v[16:17], v[10:13]
	s_waitcnt vmcnt(4) lgkmcnt(0)
	v_mfma_f32_16x16x16bf16_1k v[6:9], v[2:3], v[34:35], v[6:9]
	v_mfma_f32_16x16x16bf16_1k v[2:5], v[4:5], v[36:37], v[6:9]
	s_nop 7
	s_nop 1
	ds_read_b128 v[6:9], v47 offset:4096
	ds_read_b128 v[10:13], v47 offset:4112
	s_waitcnt vmcnt(3) lgkmcnt(1)
	v_mfma_f32_16x16x16bf16_1k v[2:5], v[30:31], v[6:7], v[2:5]
	v_mfma_f32_16x16x16bf16_1k v[2:5], v[32:33], v[8:9], v[2:5]
	s_waitcnt vmcnt(2) lgkmcnt(0)
	v_mfma_f32_16x16x16bf16_1k v[2:5], v[22:23], v[10:11], v[2:5]
	v_mfma_f32_16x16x16bf16_1k v[2:5], v[24:25], v[12:13], v[2:5]
	ds_read_b128 v[6:9], v47 offset:6144
	ds_read_b128 v[10:13], v47 offset:6160
	s_waitcnt lgkmcnt(0)
	s_barrier
	s_waitcnt vmcnt(1)
	v_mfma_f32_16x16x16bf16_1k v[2:5], v[26:27], v[6:7], v[2:5]
	v_mfma_f32_16x16x16bf16_1k v[2:5], v[28:29], v[8:9], v[2:5]
	s_waitcnt vmcnt(0)
	v_mfma_f32_16x16x16bf16_1k v[2:5], v[18:19], v[10:11], v[2:5]
	v_mfma_f32_16x16x16bf16_1k v[2:5], v[20:21], v[12:13], v[2:5]
	s_nop 7
	s_nop 2
	v_bfe_u32 v6, v3, 16, 1
	v_bfe_u32 v7, v2, 16, 1
	;; [unrolled: 1-line block ×4, first 2 shown]
	v_add3_u32 v2, v2, v7, s10
	v_add3_u32 v3, v3, v6, s10
	;; [unrolled: 1-line block ×4, first 2 shown]
	v_perm_b32 v2, v3, v2, s11
	v_perm_b32 v3, v5, v4, s11
	ds_write_b64 v46, v[2:3]
	s_waitcnt lgkmcnt(0)
	s_barrier
	s_and_saveexec_b64 s[10:11], s[0:1]
	s_cbranch_execz .LBB206_20
; %bb.18:
	s_load_dwordx2 s[4:5], s[4:5], 0x68
	s_lshl_b32 s0, s8, 6
	s_mul_i32 s1, s9, s6
	s_mul_hi_u32 s7, s1, s0
	s_mul_i32 s6, s1, s0
	s_lshl_b64 s[6:7], s[6:7], 1
	s_waitcnt lgkmcnt(0)
	s_add_u32 s1, s4, s6
	v_lshlrev_b32_e32 v0, 10, v0
	s_addc_u32 s4, s5, s7
	s_lshl_b32 s2, s28, 6
	v_and_b32_e32 v0, 0x1800, v0
	v_lshlrev_b32_e32 v2, 5, v1
	v_and_b32_e32 v3, 16, v51
	s_lshl_b64 s[2:3], s[2:3], 1
	v_or3_b32 v0, v0, v2, v3
	s_add_u32 s1, s1, s2
	ds_read_b128 v[4:7], v0 offset:256
	s_addc_u32 s2, s4, s3
	ds_read_b128 v[8:11], v0 offset:128
	ds_read_b128 v[12:15], v0
	v_add_u32_e32 v18, s29, v1
	v_mov_b32_e32 v3, s2
	v_add_co_u32_e32 v2, vcc, s1, v50
	v_mad_u64_u32 v[16:17], s[2:3], v18, s0, 0
	v_addc_co_u32_e32 v3, vcc, 0, v3, vcc
	v_lshlrev_b64 v[16:17], 1, v[16:17]
	v_add_co_u32_e32 v16, vcc, v2, v16
	v_addc_co_u32_e32 v17, vcc, v3, v17, vcc
	s_waitcnt lgkmcnt(0)
	global_store_dwordx4 v[16:17], v[12:15], off
	s_nop 0
	v_add_u32_e32 v12, 4, v18
	v_mad_u64_u32 v[12:13], s[2:3], v12, s0, 0
	v_lshlrev_b64 v[12:13], 1, v[12:13]
	v_add_co_u32_e32 v12, vcc, v2, v12
	v_addc_co_u32_e32 v13, vcc, v3, v13, vcc
	global_store_dwordx4 v[12:13], v[8:11], off
	s_nop 0
	v_add_u32_e32 v8, 8, v18
	v_mad_u64_u32 v[8:9], s[2:3], v8, s0, 0
	v_lshlrev_b64 v[8:9], 1, v[8:9]
	v_add_co_u32_e32 v8, vcc, v2, v8
	v_addc_co_u32_e32 v9, vcc, v3, v9, vcc
	v_cmp_ne_u32_e32 vcc, 3, v1
	global_store_dwordx4 v[8:9], v[4:7], off
	s_and_b64 exec, exec, vcc
	s_cbranch_execz .LBB206_20
; %bb.19:
	ds_read_b128 v[4:7], v0 offset:384
	v_add3_u32 v0, s29, v1, 12
	v_mad_u64_u32 v[0:1], s[0:1], v0, s0, 0
	v_lshlrev_b64 v[0:1], 1, v[0:1]
	v_add_co_u32_e32 v0, vcc, v2, v0
	v_addc_co_u32_e32 v1, vcc, v3, v1, vcc
	s_waitcnt lgkmcnt(0)
	global_store_dwordx4 v[0:1], v[4:7], off
.LBB206_20:
	s_endpgm
	.section	.rodata,"a",@progbits
	.p2align	6, 0x0
	.amdhsa_kernel _Z39paged_attention_ll4mi_QKV_mfma16_kernelI14__hip_bfloat16S0_LN4vllm18Fp8KVCacheDataTypeE0ES0_Li16ELi64ELi256ELb1ELi15EL8MFMAType0EEvPKT_PKT0_S9_ifPKiSB_SB_iPKfiiiPfSE_PS4_PT2_iSD_SD_
		.amdhsa_group_segment_fixed_size 8192
		.amdhsa_private_segment_fixed_size 0
		.amdhsa_kernarg_size 400
		.amdhsa_user_sgpr_count 6
		.amdhsa_user_sgpr_private_segment_buffer 1
		.amdhsa_user_sgpr_dispatch_ptr 0
		.amdhsa_user_sgpr_queue_ptr 0
		.amdhsa_user_sgpr_kernarg_segment_ptr 1
		.amdhsa_user_sgpr_dispatch_id 0
		.amdhsa_user_sgpr_flat_scratch_init 0
		.amdhsa_user_sgpr_kernarg_preload_length 0
		.amdhsa_user_sgpr_kernarg_preload_offset 0
		.amdhsa_user_sgpr_private_segment_size 0
		.amdhsa_uses_dynamic_stack 0
		.amdhsa_system_sgpr_private_segment_wavefront_offset 0
		.amdhsa_system_sgpr_workgroup_id_x 1
		.amdhsa_system_sgpr_workgroup_id_y 1
		.amdhsa_system_sgpr_workgroup_id_z 1
		.amdhsa_system_sgpr_workgroup_info 0
		.amdhsa_system_vgpr_workitem_id 0
		.amdhsa_next_free_vgpr 67
		.amdhsa_next_free_sgpr 48
		.amdhsa_accum_offset 68
		.amdhsa_reserve_vcc 1
		.amdhsa_reserve_flat_scratch 0
		.amdhsa_float_round_mode_32 0
		.amdhsa_float_round_mode_16_64 0
		.amdhsa_float_denorm_mode_32 3
		.amdhsa_float_denorm_mode_16_64 3
		.amdhsa_dx10_clamp 1
		.amdhsa_ieee_mode 1
		.amdhsa_fp16_overflow 0
		.amdhsa_tg_split 0
		.amdhsa_exception_fp_ieee_invalid_op 0
		.amdhsa_exception_fp_denorm_src 0
		.amdhsa_exception_fp_ieee_div_zero 0
		.amdhsa_exception_fp_ieee_overflow 0
		.amdhsa_exception_fp_ieee_underflow 0
		.amdhsa_exception_fp_ieee_inexact 0
		.amdhsa_exception_int_div_zero 0
	.end_amdhsa_kernel
	.section	.text._Z39paged_attention_ll4mi_QKV_mfma16_kernelI14__hip_bfloat16S0_LN4vllm18Fp8KVCacheDataTypeE0ES0_Li16ELi64ELi256ELb1ELi15EL8MFMAType0EEvPKT_PKT0_S9_ifPKiSB_SB_iPKfiiiPfSE_PS4_PT2_iSD_SD_,"axG",@progbits,_Z39paged_attention_ll4mi_QKV_mfma16_kernelI14__hip_bfloat16S0_LN4vllm18Fp8KVCacheDataTypeE0ES0_Li16ELi64ELi256ELb1ELi15EL8MFMAType0EEvPKT_PKT0_S9_ifPKiSB_SB_iPKfiiiPfSE_PS4_PT2_iSD_SD_,comdat
.Lfunc_end206:
	.size	_Z39paged_attention_ll4mi_QKV_mfma16_kernelI14__hip_bfloat16S0_LN4vllm18Fp8KVCacheDataTypeE0ES0_Li16ELi64ELi256ELb1ELi15EL8MFMAType0EEvPKT_PKT0_S9_ifPKiSB_SB_iPKfiiiPfSE_PS4_PT2_iSD_SD_, .Lfunc_end206-_Z39paged_attention_ll4mi_QKV_mfma16_kernelI14__hip_bfloat16S0_LN4vllm18Fp8KVCacheDataTypeE0ES0_Li16ELi64ELi256ELb1ELi15EL8MFMAType0EEvPKT_PKT0_S9_ifPKiSB_SB_iPKfiiiPfSE_PS4_PT2_iSD_SD_
                                        ; -- End function
	.section	.AMDGPU.csdata,"",@progbits
; Kernel info:
; codeLenInByte = 4612
; NumSgprs: 52
; NumVgprs: 67
; NumAgprs: 0
; TotalNumVgprs: 67
; ScratchSize: 0
; MemoryBound: 0
; FloatMode: 240
; IeeeMode: 1
; LDSByteSize: 8192 bytes/workgroup (compile time only)
; SGPRBlocks: 6
; VGPRBlocks: 8
; NumSGPRsForWavesPerEU: 52
; NumVGPRsForWavesPerEU: 67
; AccumOffset: 68
; Occupancy: 7
; WaveLimiterHint : 1
; COMPUTE_PGM_RSRC2:SCRATCH_EN: 0
; COMPUTE_PGM_RSRC2:USER_SGPR: 6
; COMPUTE_PGM_RSRC2:TRAP_HANDLER: 0
; COMPUTE_PGM_RSRC2:TGID_X_EN: 1
; COMPUTE_PGM_RSRC2:TGID_Y_EN: 1
; COMPUTE_PGM_RSRC2:TGID_Z_EN: 1
; COMPUTE_PGM_RSRC2:TIDIG_COMP_CNT: 0
; COMPUTE_PGM_RSRC3_GFX90A:ACCUM_OFFSET: 16
; COMPUTE_PGM_RSRC3_GFX90A:TG_SPLIT: 0
	.section	.text._Z39paged_attention_ll4mi_QKV_mfma16_kernelI14__hip_bfloat16S0_LN4vllm18Fp8KVCacheDataTypeE0ES0_Li16ELi64ELi256ELb1ELi16EL8MFMAType0EEvPKT_PKT0_S9_ifPKiSB_SB_iPKfiiiPfSE_PS4_PT2_iSD_SD_,"axG",@progbits,_Z39paged_attention_ll4mi_QKV_mfma16_kernelI14__hip_bfloat16S0_LN4vllm18Fp8KVCacheDataTypeE0ES0_Li16ELi64ELi256ELb1ELi16EL8MFMAType0EEvPKT_PKT0_S9_ifPKiSB_SB_iPKfiiiPfSE_PS4_PT2_iSD_SD_,comdat
	.protected	_Z39paged_attention_ll4mi_QKV_mfma16_kernelI14__hip_bfloat16S0_LN4vllm18Fp8KVCacheDataTypeE0ES0_Li16ELi64ELi256ELb1ELi16EL8MFMAType0EEvPKT_PKT0_S9_ifPKiSB_SB_iPKfiiiPfSE_PS4_PT2_iSD_SD_ ; -- Begin function _Z39paged_attention_ll4mi_QKV_mfma16_kernelI14__hip_bfloat16S0_LN4vllm18Fp8KVCacheDataTypeE0ES0_Li16ELi64ELi256ELb1ELi16EL8MFMAType0EEvPKT_PKT0_S9_ifPKiSB_SB_iPKfiiiPfSE_PS4_PT2_iSD_SD_
	.globl	_Z39paged_attention_ll4mi_QKV_mfma16_kernelI14__hip_bfloat16S0_LN4vllm18Fp8KVCacheDataTypeE0ES0_Li16ELi64ELi256ELb1ELi16EL8MFMAType0EEvPKT_PKT0_S9_ifPKiSB_SB_iPKfiiiPfSE_PS4_PT2_iSD_SD_
	.p2align	8
	.type	_Z39paged_attention_ll4mi_QKV_mfma16_kernelI14__hip_bfloat16S0_LN4vllm18Fp8KVCacheDataTypeE0ES0_Li16ELi64ELi256ELb1ELi16EL8MFMAType0EEvPKT_PKT0_S9_ifPKiSB_SB_iPKfiiiPfSE_PS4_PT2_iSD_SD_,@function
_Z39paged_attention_ll4mi_QKV_mfma16_kernelI14__hip_bfloat16S0_LN4vllm18Fp8KVCacheDataTypeE0ES0_Li16ELi64ELi256ELb1ELi16EL8MFMAType0EEvPKT_PKT0_S9_ifPKiSB_SB_iPKfiiiPfSE_PS4_PT2_iSD_SD_: ; @_Z39paged_attention_ll4mi_QKV_mfma16_kernelI14__hip_bfloat16S0_LN4vllm18Fp8KVCacheDataTypeE0ES0_Li16ELi64ELi256ELb1ELi16EL8MFMAType0EEvPKT_PKT0_S9_ifPKiSB_SB_iPKfiiiPfSE_PS4_PT2_iSD_SD_
; %bb.0:
	s_load_dwordx2 s[0:1], s[4:5], 0x30
	s_mov_b32 s28, s7
	s_mov_b64 s[2:3], 0
	s_waitcnt lgkmcnt(0)
	s_cmp_lg_u64 s[0:1], 0
	s_cselect_b64 s[10:11], -1, 0
	s_and_b64 vcc, exec, s[10:11]
	s_cbranch_vccz .LBB207_7
; %bb.1:
	s_add_i32 s12, s6, 1
	s_mov_b32 s13, 0
	s_lshl_b64 s[14:15], s[12:13], 2
	s_add_u32 s14, s0, s14
	s_mov_b32 s7, s13
	s_addc_u32 s15, s1, s15
	s_lshl_b64 s[12:13], s[6:7], 2
	s_add_u32 s12, s0, s12
	s_addc_u32 s13, s1, s13
	s_load_dword s9, s[14:15], 0x0
	s_load_dword s16, s[12:13], 0x0
	s_waitcnt lgkmcnt(0)
	s_sub_i32 s9, s9, s16
	s_cmp_eq_u32 s9, 1
	s_cselect_b64 s[12:13], -1, 0
	s_andn2_b64 vcc, exec, s[2:3]
	s_cbranch_vccnz .LBB207_3
.LBB207_2:
	s_mov_b32 s7, 0
	s_mov_b64 s[12:13], -1
.LBB207_3:
	s_andn2_b64 vcc, exec, s[12:13]
	s_cbranch_vccnz .LBB207_17
; %bb.4:
	s_load_dwordx2 s[2:3], s[4:5], 0x28
	s_lshl_b64 s[16:17], s[6:7], 2
	s_waitcnt lgkmcnt(0)
	s_add_u32 s2, s2, s16
	s_addc_u32 s3, s3, s17
	s_load_dword s40, s[2:3], 0x0
	s_lshl_b32 s18, s28, 8
	s_waitcnt lgkmcnt(0)
	s_cmp_ge_i32 s18, s40
	s_cbranch_scc1 .LBB207_17
; %bb.5:
	s_add_i32 s12, s40, 15
	s_load_dwordx2 s[2:3], s[4:5], 0x20
	s_load_dword s9, s[4:5], 0x38
	s_ashr_i32 s13, s12, 31
	v_and_b32_e32 v1, 0xcf, v0
	s_lshr_b32 s13, s13, 28
	v_add_u32_e32 v1, s18, v1
	s_add_i32 s12, s12, s13
	v_ashrrev_i32_e32 v2, 31, v1
	s_ashr_i32 s21, s12, 4
	v_lshrrev_b32_e32 v4, 28, v2
	s_add_i32 s21, s21, -1
	v_add_u32_e32 v2, v1, v4
	s_waitcnt lgkmcnt(0)
	s_mul_i32 s12, s6, s9
	s_mov_b32 s13, 0
	v_ashrrev_i32_e32 v2, 4, v2
	v_mov_b32_e32 v5, s21
	v_cmp_gt_i32_e32 vcc, s40, v1
	s_lshl_b64 s[12:13], s[12:13], 2
	v_cndmask_b32_e32 v2, v5, v2, vcc
	s_add_u32 s19, s2, s12
	v_ashrrev_i32_e32 v3, 31, v2
	s_addc_u32 s20, s3, s13
	v_lshlrev_b64 v[2:3], 2, v[2:3]
	v_mov_b32_e32 v7, s20
	v_add_co_u32_e32 v6, vcc, s19, v2
	v_or_b32_e32 v2, 16, v1
	v_addc_co_u32_e32 v7, vcc, v7, v3, vcc
	v_add_u32_e32 v3, v2, v4
	v_ashrrev_i32_e32 v3, 4, v3
	v_cmp_gt_i32_e32 vcc, s40, v2
	v_cndmask_b32_e32 v2, v5, v3, vcc
	v_ashrrev_i32_e32 v3, 31, v2
	v_lshlrev_b64 v[2:3], 2, v[2:3]
	v_mov_b32_e32 v9, s20
	v_add_co_u32_e32 v8, vcc, s19, v2
	v_or_b32_e32 v2, 32, v1
	v_addc_co_u32_e32 v9, vcc, v9, v3, vcc
	v_add_u32_e32 v3, v2, v4
	v_ashrrev_i32_e32 v3, 4, v3
	v_cmp_gt_i32_e32 vcc, s40, v2
	v_cndmask_b32_e32 v2, v5, v3, vcc
	v_ashrrev_i32_e32 v3, 31, v2
	;; [unrolled: 10-line block ×3, first 2 shown]
	v_lshlrev_b64 v[2:3], 2, v[2:3]
	v_mov_b32_e32 v1, s20
	v_add_co_u32_e32 v12, vcc, s19, v2
	v_addc_co_u32_e32 v13, vcc, v1, v3, vcc
	global_load_dword v5, v[6:7], off
	global_load_dword v4, v[8:9], off
	;; [unrolled: 1-line block ×4, first 2 shown]
	s_load_dwordx2 s[2:3], s[4:5], 0x40
	s_load_dwordx4 s[12:15], s[4:5], 0x8
	s_andn2_b64 vcc, exec, s[10:11]
	s_cbranch_vccnz .LBB207_8
; %bb.6:
	s_add_u32 s0, s0, s16
	s_addc_u32 s1, s1, s17
	s_load_dword s9, s[0:1], 0x0
	s_branch .LBB207_9
.LBB207_7:
	s_mov_b64 s[12:13], 0
	s_branch .LBB207_2
.LBB207_8:
	s_mov_b32 s9, s6
.LBB207_9:
	s_load_dwordx4 s[44:47], s[4:5], 0x48
	v_and_b32_e32 v57, 15, v0
	s_movk_i32 s0, 0x100
	v_lshlrev_b32_e32 v6, 3, v57
	v_cmp_gt_u32_e32 vcc, s0, v0
	v_cmp_gt_u32_e64 s[0:1], 8, v57
	v_lshrrev_b32_e32 v55, 6, v0
	v_and_b32_e32 v56, 63, v0
	v_bfe_u32 v1, v0, 4, 2
	s_lshl_b32 s29, s8, 4
	s_and_b64 s[16:17], vcc, s[0:1]
	v_lshlrev_b32_e32 v52, 1, v6
	s_and_saveexec_b64 s[10:11], s[16:17]
	s_cbranch_execz .LBB207_11
; %bb.10:
	s_load_dwordx2 s[16:17], s[4:5], 0x0
	s_waitcnt lgkmcnt(0)
	s_ashr_i32 s22, s44, 31
	s_mul_hi_u32 s23, s9, s44
	s_mul_i32 s22, s9, s22
	v_lshl_or_b32 v10, v55, 2, v1
	s_add_i32 s23, s23, s22
	s_mul_i32 s22, s9, s44
	s_lshl_b64 s[22:23], s[22:23], 1
	v_add_lshl_u32 v6, v10, s29, 6
	s_add_u32 s9, s16, s22
	v_ashrrev_i32_e32 v7, 31, v6
	s_addc_u32 s16, s17, s23
	v_lshlrev_b64 v[6:7], 1, v[6:7]
	v_mov_b32_e32 v8, s16
	v_add_co_u32_e32 v6, vcc, s9, v6
	v_addc_co_u32_e32 v7, vcc, v8, v7, vcc
	v_add_co_u32_e32 v6, vcc, v6, v52
	v_addc_co_u32_e32 v7, vcc, 0, v7, vcc
	global_load_dwordx4 v[6:9], v[6:7], off
	v_and_b32_e32 v11, 3, v0
	v_lshlrev_b32_e32 v12, 9, v57
	v_lshlrev_b32_e32 v10, 5, v10
	;; [unrolled: 1-line block ×3, first 2 shown]
	v_and_b32_e32 v12, 0x1800, v12
	v_or3_b32 v10, v12, v11, v10
	s_waitcnt vmcnt(0)
	ds_write_b128 v10, v[6:9]
.LBB207_11:
	s_or_b64 exec, exec, s[10:11]
	s_waitcnt lgkmcnt(0)
	s_mul_i32 s8, s8, s46
	s_mov_b32 s9, 0
	s_lshl_b64 s[8:9], s[8:9], 1
	s_add_u32 s11, s12, s8
	v_lshlrev_b32_e32 v53, 4, v0
	s_addc_u32 s12, s13, s9
	v_and_b32_e32 v6, 0xf0, v53
	v_mov_b32_e32 v7, s12
	v_add_co_u32_e32 v28, vcc, s11, v6
	v_addc_co_u32_e32 v29, vcc, 0, v7, vcc
	s_waitcnt vmcnt(3)
	v_mad_i64_i32 v[6:7], s[12:13], v5, s45, 0
	v_lshlrev_b64 v[6:7], 1, v[6:7]
	v_add_co_u32_e32 v5, vcc, v28, v6
	v_addc_co_u32_e32 v6, vcc, v29, v7, vcc
	v_and_b32_e32 v30, 0x300, v53
	v_add_co_u32_e32 v18, vcc, v5, v30
	v_addc_co_u32_e32 v19, vcc, 0, v6, vcc
	s_load_dword s33, s[4:5], 0x98
	s_load_dword s10, s[4:5], 0x1c
	s_waitcnt lgkmcnt(0)
	s_barrier
	global_load_dwordx4 v[6:9], v[18:19], off
	s_waitcnt vmcnt(3)
	v_mad_i64_i32 v[4:5], s[12:13], v4, s45, 0
	v_lshlrev_b64 v[4:5], 1, v[4:5]
	v_add_co_u32_e32 v4, vcc, v28, v4
	v_addc_co_u32_e32 v5, vcc, v29, v5, vcc
	v_add_co_u32_e32 v4, vcc, v4, v30
	v_addc_co_u32_e32 v5, vcc, 0, v5, vcc
	global_load_dwordx4 v[22:25], v[4:5], off
	global_load_dwordx4 v[10:13], v[18:19], off offset:1024
	global_load_dwordx4 v[14:17], v[4:5], off offset:1024
	s_waitcnt vmcnt(5)
	v_mad_i64_i32 v[4:5], s[12:13], v3, s45, 0
	v_lshlrev_b64 v[32:33], 1, v[4:5]
	v_add_co_u32_e32 v31, vcc, v28, v32
	v_addc_co_u32_e32 v36, vcc, v29, v33, vcc
	v_lshlrev_b32_e32 v58, 5, v57
	v_add_co_u32_e32 v44, vcc, v31, v30
	v_lshl_or_b32 v54, v1, 9, v58
	v_addc_co_u32_e32 v45, vcc, 0, v36, vcc
	s_waitcnt vmcnt(4)
	v_mad_i64_i32 v[26:27], s[12:13], v2, s45, 0
	ds_read_b128 v[2:5], v54
	ds_read_b128 v[18:21], v54 offset:2048
	global_load_dwordx4 v[36:39], v[44:45], off
	v_and_or_b32 v59, v0, 48, s18
	global_load_dwordx4 v[44:47], v[44:45], off offset:1024
	v_mov_b32_e32 v60, s21
	v_cmp_gt_i32_e32 vcc, s40, v59
	v_or_b32_e32 v50, 64, v59
	v_lshlrev_b64 v[26:27], 1, v[26:27]
	v_mov_b32_e32 v31, s20
	v_or_b32_e32 v51, 0x80, v59
	v_mov_b32_e32 v48, s20
	v_mov_b32_e32 v49, s20
	s_mov_b32 s42, 0xff7fffff
	s_waitcnt vmcnt(4) lgkmcnt(1)
	v_mfma_f32_16x16x16bf16_1k v[40:43], v[22:23], v[2:3], 0
	v_mfma_f32_16x16x16bf16_1k v[32:35], v[6:7], v[2:3], 0
	v_ashrrev_i32_e32 v6, 4, v59
	v_cndmask_b32_e32 v22, v60, v6, vcc
	v_cmp_gt_i32_e32 vcc, s40, v50
	v_ashrrev_i32_e32 v23, 31, v22
	v_mfma_f32_16x16x16bf16_1k v[6:9], v[8:9], v[4:5], v[32:35]
	s_nop 6
	v_ashrrev_i32_e32 v32, 4, v50
	v_cndmask_b32_e32 v32, v60, v32, vcc
	v_add_co_u32_e32 v26, vcc, v28, v26
	v_addc_co_u32_e32 v27, vcc, v29, v27, vcc
	v_lshlrev_b64 v[34:35], 2, v[22:23]
	v_mfma_f32_16x16x16bf16_1k v[22:25], v[24:25], v[4:5], v[40:43]
	v_ashrrev_i32_e32 v33, 4, v51
	s_nop 5
	v_add_co_u32_e32 v40, vcc, v26, v30
	v_addc_co_u32_e32 v41, vcc, 0, v27, vcc
	global_load_dwordx4 v[26:29], v[40:41], off
	s_waitcnt vmcnt(4) lgkmcnt(0)
	v_mfma_f32_16x16x16bf16_1k v[6:9], v[10:11], v[18:19], v[6:9]
	v_add_co_u32_e32 v10, vcc, s19, v34
	v_addc_co_u32_e32 v11, vcc, v31, v35, vcc
	global_load_dword v61, v[10:11], off
	v_cmp_gt_i32_e32 vcc, s40, v51
	v_cndmask_b32_e32 v10, v60, v33, vcc
	v_ashrrev_i32_e32 v33, 31, v32
	s_waitcnt vmcnt(4)
	v_mfma_f32_16x16x16bf16_1k v[22:25], v[14:15], v[18:19], v[22:25]
	v_lshlrev_b64 v[14:15], 2, v[32:33]
	v_add_co_u32_e32 v14, vcc, s19, v14
	v_ashrrev_i32_e32 v11, 31, v10
	v_addc_co_u32_e32 v15, vcc, v48, v15, vcc
	v_or_b32_e32 v34, s29, v57
	v_mfma_f32_16x16x16bf16_1k v[30:33], v[12:13], v[20:21], v[6:9]
	global_load_dword v62, v[14:15], off
	v_ashrrev_i32_e32 v35, 31, v34
	v_mov_b32_e32 v12, s3
	v_lshlrev_b32_e32 v57, 2, v57
	s_nop 2
	v_lshlrev_b64 v[6:7], 2, v[10:11]
	v_add_co_u32_e32 v6, vcc, s19, v6
	v_addc_co_u32_e32 v7, vcc, v49, v7, vcc
	global_load_dwordx4 v[48:51], v[40:41], off offset:1024
	global_load_dword v63, v[6:7], off
	v_lshlrev_b64 v[10:11], 2, v[34:35]
	v_add_co_u32_e32 v10, vcc, s2, v10
	v_addc_co_u32_e32 v11, vcc, v12, v11, vcc
	global_load_dword v35, v[10:11], off
	s_waitcnt vmcnt(7)
	v_mfma_f32_16x16x16bf16_1k v[6:9], v[36:37], v[2:3], 0
	v_or_b32_e32 v10, 0xc0, v59
	v_ashrrev_i32_e32 v11, 4, v10
	v_cmp_gt_i32_e32 vcc, s40, v10
	v_cndmask_b32_e32 v10, v60, v11, vcc
	v_ashrrev_i32_e32 v11, 31, v10
	v_lshlrev_b64 v[10:11], 2, v[10:11]
	v_mov_b32_e32 v12, s20
	v_mfma_f32_16x16x16bf16_1k v[6:9], v[38:39], v[4:5], v[6:9]
	v_add_co_u32_e32 v10, vcc, s19, v10
	v_addc_co_u32_e32 v11, vcc, v12, v11, vcc
	global_load_dword v59, v[10:11], off
	s_add_u32 s2, s14, s8
	s_addc_u32 s3, s15, s9
	s_waitcnt vmcnt(7)
	v_mfma_f32_16x16x16bf16_1k v[6:9], v[44:45], v[18:19], v[6:9]
	v_lshl_or_b32 v10, v55, 9, v58
	v_mov_b32_e32 v11, s3
	v_add_co_u32_e32 v60, vcc, s2, v10
	v_addc_co_u32_e32 v64, vcc, 0, v11, vcc
	v_mfma_f32_16x16x16bf16_1k v[36:39], v[46:47], v[20:21], v[6:9]
	v_mfma_f32_16x16x16bf16_1k v[40:43], v[16:17], v[20:21], v[22:25]
	s_waitcnt vmcnt(5)
	s_nop 4
	v_mad_i64_i32 v[6:7], s[2:3], v61, s45, 0
	v_lshlrev_b64 v[10:11], 1, v[6:7]
	v_mfma_f32_16x16x16bf16_1k v[6:9], v[26:27], v[2:3], 0
	v_add_co_u32_e32 v2, vcc, v60, v10
	s_nop 0
	v_pk_mul_f32 v[46:47], s[10:11], v[40:41] op_sel_hi:[0,1]
	v_pk_mul_f32 v[40:41], s[10:11], v[38:39] op_sel_hi:[0,1]
	v_addc_co_u32_e32 v3, vcc, v64, v11, vcc
	v_pk_mul_f32 v[44:45], s[10:11], v[42:43] op_sel_hi:[0,1]
	v_mfma_f32_16x16x16bf16_1k v[22:25], v[28:29], v[4:5], v[6:9]
	v_pk_mul_f32 v[42:43], s[10:11], v[36:37] op_sel_hi:[0,1]
	global_load_dwordx4 v[14:17], v[2:3], off
	global_load_dwordx4 v[10:13], v[2:3], off offset:16
	s_waitcnt vmcnt(6)
	v_mad_i64_i32 v[2:3], s[2:3], v62, s45, 0
	v_lshlrev_b64 v[2:3], 1, v[2:3]
	v_add_co_u32_e32 v2, vcc, v60, v2
	v_addc_co_u32_e32 v3, vcc, v64, v3, vcc
	global_load_dwordx4 v[6:9], v[2:3], off
	s_nop 0
	global_load_dwordx4 v[2:5], v[2:3], off offset:16
	s_waitcnt vmcnt(6)
	v_mad_i64_i32 v[26:27], s[2:3], v63, s45, 0
	v_lshlrev_b64 v[28:29], 1, v[26:27]
	v_mfma_f32_16x16x16bf16_1k v[24:27], v[48:49], v[18:19], v[22:25]
	v_pk_mul_f32 v[48:49], s[10:11], v[32:33] op_sel_hi:[0,1]
	v_pk_mul_f32 v[18:19], s[10:11], v[30:31] op_sel_hi:[0,1]
	v_mfma_f32_16x16x16bf16_1k v[24:27], v[50:51], v[20:21], v[24:27]
	v_and_b32_e32 v20, 0xc0, v0
	v_add_u32_e32 v20, s18, v20
	v_lshl_or_b32 v20, v1, 2, v20
	v_or_b32_e32 v21, 1, v20
	v_add_co_u32_e32 v22, vcc, v60, v28
	v_cmp_gt_i32_e64 s[30:31], s40, v20
	s_nop 4
	v_pk_mul_f32 v[38:39], s[10:11], v[24:25] op_sel_hi:[0,1]
	v_subrev_u32_e32 v24, s40, v21
	v_pk_mul_f32 v[36:37], s[10:11], v[26:27] op_sel_hi:[0,1]
	v_add_u32_e32 v26, 1, v24
	v_add_u32_e32 v27, 2, v24
	v_cvt_f32_i32_e32 v25, v24
	v_cvt_f32_i32_e32 v26, v26
	;; [unrolled: 1-line block ×3, first 2 shown]
	v_add_u32_e32 v28, 3, v24
	s_waitcnt vmcnt(5)
	v_fma_f32 v18, v35, v25, v18
	v_fmac_f32_e32 v19, v35, v26
	v_fma_f32 v48, v35, v27, v48
	v_add_u32_e32 v25, 16, v24
	v_add_u32_e32 v26, 17, v24
	;; [unrolled: 1-line block ×3, first 2 shown]
	v_cvt_f32_i32_e32 v28, v28
	v_cvt_f32_i32_e32 v25, v25
	;; [unrolled: 1-line block ×4, first 2 shown]
	v_fmac_f32_e32 v49, v35, v28
	v_add_u32_e32 v28, 19, v24
	v_fma_f32 v46, v35, v25, v46
	v_fmac_f32_e32 v47, v35, v26
	v_fma_f32 v44, v35, v27, v44
	v_add_u32_e32 v25, 32, v24
	v_add_u32_e32 v26, 33, v24
	;; [unrolled: 1-line block ×3, first 2 shown]
	v_cvt_f32_i32_e32 v28, v28
	v_cvt_f32_i32_e32 v25, v25
	;; [unrolled: 1-line block ×4, first 2 shown]
	v_fmac_f32_e32 v45, v35, v28
	v_add_u32_e32 v28, 35, v24
	v_fma_f32 v42, v35, v25, v42
	v_fmac_f32_e32 v43, v35, v26
	v_fma_f32 v40, v35, v27, v40
	v_add_u32_e32 v25, 48, v24
	v_add_u32_e32 v26, 49, v24
	;; [unrolled: 1-line block ×4, first 2 shown]
	v_cvt_f32_i32_e32 v24, v24
	v_cvt_f32_i32_e32 v25, v25
	;; [unrolled: 1-line block ×3, first 2 shown]
	v_cmp_gt_i32_e64 s[34:35], s40, v21
	v_fmac_f32_e32 v37, v35, v24
	v_mov_b32_e32 v24, 0xff7fffff
	v_fma_f32 v38, v35, v25, v38
	v_cndmask_b32_e64 v25, v24, v18, s[30:31]
	v_cndmask_b32_e64 v21, v24, v19, s[34:35]
	v_fmac_f32_e32 v39, v35, v26
	v_max3_f32 v21, v25, s42, v21
	v_or_b32_e32 v25, 2, v20
	v_or_b32_e32 v26, 3, v20
	v_cmp_gt_i32_e64 s[36:37], s40, v25
	v_cmp_gt_i32_e64 s[38:39], s40, v26
	v_cndmask_b32_e64 v25, v24, v48, s[36:37]
	v_cndmask_b32_e64 v26, v24, v49, s[38:39]
	v_max3_f32 v21, v21, v25, v26
	v_or_b32_e32 v25, 16, v20
	v_or_b32_e32 v26, 17, v20
	v_cmp_gt_i32_e64 s[24:25], s40, v25
	v_cmp_gt_i32_e64 s[26:27], s40, v26
	v_cndmask_b32_e64 v25, v24, v46, s[24:25]
	v_cndmask_b32_e64 v26, v24, v47, s[26:27]
	;; [unrolled: 7-line block ×3, first 2 shown]
	v_cvt_f32_i32_e32 v28, v28
	v_max3_f32 v21, v21, v25, v26
	v_or_b32_e32 v25, 32, v20
	v_or_b32_e32 v26, 33, v20
	v_cmp_gt_i32_e64 s[16:17], s40, v25
	v_cmp_gt_i32_e64 s[18:19], s40, v26
	v_cndmask_b32_e64 v25, v24, v42, s[16:17]
	v_cndmask_b32_e64 v26, v24, v43, s[18:19]
	v_max3_f32 v21, v21, v25, v26
	v_or_b32_e32 v25, 34, v20
	v_or_b32_e32 v26, 35, v20
	v_fmac_f32_e32 v41, v35, v28
	v_cmp_gt_i32_e64 s[12:13], s40, v25
	v_cmp_gt_i32_e64 s[14:15], s40, v26
	v_cndmask_b32_e64 v25, v24, v40, s[12:13]
	v_cndmask_b32_e64 v26, v24, v41, s[14:15]
	v_cvt_f32_i32_e32 v27, v27
	v_max3_f32 v21, v21, v25, v26
	v_or_b32_e32 v25, 48, v20
	v_or_b32_e32 v26, 49, v20
	v_cmp_gt_i32_e64 s[8:9], s40, v25
	v_cmp_gt_i32_e64 s[10:11], s40, v26
	v_cndmask_b32_e64 v25, v24, v38, s[8:9]
	v_cndmask_b32_e64 v26, v24, v39, s[10:11]
	v_addc_co_u32_e32 v23, vcc, v64, v29, vcc
	v_max3_f32 v21, v21, v25, v26
	v_or_b32_e32 v25, 50, v20
	v_or_b32_e32 v20, 51, v20
	v_fma_f32 v36, v35, v27, v36
	v_cmp_gt_i32_e32 vcc, s40, v25
	v_cmp_gt_i32_e64 s[2:3], s40, v20
	v_cndmask_b32_e32 v25, v24, v36, vcc
	v_cndmask_b32_e64 v20, v24, v37, s[2:3]
	v_max3_f32 v26, v21, v25, v20
	v_mbcnt_lo_u32_b32 v20, -1, 0
	v_mbcnt_hi_u32_b32 v27, -1, v20
	v_and_b32_e32 v20, 64, v27
	v_add_u32_e32 v28, 64, v20
	v_xor_b32_e32 v20, 32, v27
	v_cmp_lt_i32_e64 s[40:41], v20, v28
	v_cndmask_b32_e64 v20, v27, v20, s[40:41]
	v_lshlrev_b32_e32 v61, 2, v20
	ds_bpermute_b32 v29, v61, v26
	s_waitcnt vmcnt(4)
	v_mad_i64_i32 v[20:21], s[40:41], v59, s45, 0
	v_lshlrev_b64 v[20:21], 1, v[20:21]
	global_load_dwordx4 v[30:33], v[22:23], off
	s_nop 0
	global_load_dwordx4 v[22:25], v[22:23], off offset:16
	s_waitcnt lgkmcnt(0)
	v_max_f32_e32 v29, v29, v29
	v_max_f32_e32 v26, v26, v29
	v_xor_b32_e32 v29, 16, v27
	v_cmp_lt_i32_e64 s[40:41], v29, v28
	v_cndmask_b32_e64 v27, v27, v29, s[40:41]
	v_lshlrev_b32_e32 v62, 2, v27
	ds_bpermute_b32 v27, v62, v26
	v_add_co_u32_e64 v20, s[40:41], v60, v20
	v_addc_co_u32_e64 v21, s[40:41], v64, v21, s[40:41]
	s_waitcnt lgkmcnt(0)
	v_max_f32_e32 v27, v27, v27
	v_max_f32_e32 v35, v26, v27
	v_sub_f32_e32 v18, v18, v35
	v_mul_f32_e32 v18, 0x3fb8aa3b, v18
	v_exp_f32_e32 v50, v18
	v_sub_f32_e32 v18, v19, v35
	v_mul_f32_e32 v18, 0x3fb8aa3b, v18
	v_exp_f32_e32 v51, v18
	global_load_dwordx4 v[26:29], v[20:21], off
	s_nop 0
	global_load_dwordx4 v[18:21], v[20:21], off offset:16
	v_sub_f32_e32 v48, v48, v35
	v_mul_f32_e32 v48, 0x3fb8aa3b, v48
	v_sub_f32_e32 v49, v49, v35
	v_exp_f32_e32 v48, v48
	v_mul_f32_e32 v49, 0x3fb8aa3b, v49
	v_sub_f32_e32 v46, v46, v35
	v_exp_f32_e32 v49, v49
	v_mul_f32_e32 v46, 0x3fb8aa3b, v46
	v_sub_f32_e32 v47, v47, v35
	v_cndmask_b32_e64 v50, 0, v50, s[30:31]
	v_exp_f32_e32 v46, v46
	v_mul_f32_e32 v47, 0x3fb8aa3b, v47
	v_sub_f32_e32 v44, v44, v35
	v_add_f32_e32 v59, 0, v50
	v_cndmask_b32_e64 v51, 0, v51, s[34:35]
	v_exp_f32_e32 v47, v47
	v_mul_f32_e32 v44, 0x3fb8aa3b, v44
	v_sub_f32_e32 v45, v45, v35
	v_add_f32_e32 v59, v59, v51
	;; [unrolled: 5-line block ×10, first 2 shown]
	v_cndmask_b32_e64 v40, 0, v40, s[12:13]
	v_exp_f32_e32 v36, v36
	v_mul_f32_e32 v37, 0x3fb8aa3b, v37
	v_add_f32_e32 v59, v59, v40
	v_cndmask_b32_e64 v41, 0, v41, s[14:15]
	v_exp_f32_e32 v37, v37
	v_add_f32_e32 v59, v59, v41
	v_cndmask_b32_e64 v38, 0, v38, s[8:9]
	v_add_f32_e32 v59, v59, v38
	v_cndmask_b32_e64 v39, 0, v39, s[10:11]
	v_add_f32_e32 v59, v59, v39
	v_cndmask_b32_e32 v36, 0, v36, vcc
	v_add_f32_e32 v59, v59, v36
	v_cndmask_b32_e64 v37, 0, v37, s[2:3]
	v_add_f32_e32 v59, v59, v37
	ds_bpermute_b32 v60, v61, v59
	v_cmp_gt_u32_e32 vcc, 16, v56
	s_waitcnt lgkmcnt(0)
	s_barrier
	v_add_f32_e32 v59, v59, v60
	ds_bpermute_b32 v60, v62, v59
	s_and_saveexec_b64 s[2:3], vcc
	s_cbranch_execz .LBB207_13
; %bb.12:
	s_waitcnt lgkmcnt(0)
	v_add_f32_e32 v56, v59, v60
	v_lshl_or_b32 v59, v55, 6, v57
	ds_write2st64_b32 v59, v35, v56 offset1:1
.LBB207_13:
	s_or_b64 exec, exec, s[2:3]
	s_load_dword s8, s[4:5], 0x94
	s_waitcnt lgkmcnt(0)
	s_barrier
	ds_read2_b32 v[60:61], v57 offset1:16
	ds_read2_b32 v[62:63], v57 offset0:32 offset1:48
	ds_read2_b32 v[64:65], v57 offset0:64 offset1:80
	s_movk_i32 s10, 0x7fff
	s_mov_b32 s11, 0x7060302
	s_waitcnt lgkmcnt(2)
	v_max3_f32 v35, v60, s42, v61
	s_waitcnt lgkmcnt(1)
	v_max3_f32 v56, v35, v62, v63
	v_sub_f32_e32 v35, v60, v56
	v_mul_f32_e32 v35, 0x3fb8aa3b, v35
	v_sub_f32_e32 v59, v61, v56
	v_sub_f32_e32 v60, v62, v56
	v_exp_f32_e32 v35, v35
	v_mul_f32_e32 v59, 0x3fb8aa3b, v59
	v_mul_f32_e32 v60, 0x3fb8aa3b, v60
	v_exp_f32_e32 v59, v59
	v_exp_f32_e32 v62, v60
	ds_read2_b32 v[60:61], v57 offset0:96 offset1:112
	v_sub_f32_e32 v57, v63, v56
	v_mul_f32_e32 v57, 0x3fb8aa3b, v57
	v_exp_f32_e32 v63, v57
	s_waitcnt lgkmcnt(1)
	v_fma_f32 v57, v35, v64, 0
	v_fmac_f32_e32 v57, v59, v65
	s_waitcnt lgkmcnt(0)
	v_fmac_f32_e32 v57, v62, v60
	v_fmac_f32_e32 v57, v63, v61
	v_add_f32_e32 v60, 0x358637bd, v57
	v_div_scale_f32 v61, s[2:3], v60, v60, 1.0
	v_rcp_f32_e32 v64, v61
	s_lshl_b32 s9, s33, 4
	s_barrier
	v_fma_f32 v65, -v61, v64, 1.0
	v_fmac_f32_e32 v64, v65, v64
	v_div_scale_f32 v65, vcc, 1.0, v60, 1.0
	v_mul_f32_e32 v66, v65, v64
	v_fma_f32 v67, -v61, v66, v65
	v_fmac_f32_e32 v66, v67, v64
	v_fma_f32 v61, -v61, v66, v65
	v_div_fmas_f32 v61, v61, v64, v66
	v_cmp_eq_u32_e32 vcc, 1, v55
	v_cndmask_b32_e32 v35, v35, v59, vcc
	v_cmp_eq_u32_e32 vcc, 2, v55
	v_cndmask_b32_e32 v35, v35, v62, vcc
	v_cmp_eq_u32_e32 vcc, 3, v55
	v_div_fixup_f32 v60, v61, v60, 1.0
	v_cndmask_b32_e32 v35, v35, v63, vcc
	v_mul_f32_e32 v60, v35, v60
	v_pk_mul_f32 v[50:51], v[60:61], v[50:51] op_sel_hi:[0,1]
	v_bfe_u32 v35, v51, 16, 1
	v_bfe_u32 v59, v50, 16, 1
	v_pk_mul_f32 v[48:49], v[60:61], v[48:49] op_sel_hi:[0,1]
	v_add3_u32 v50, v50, v59, s10
	v_add3_u32 v35, v51, v35, s10
	v_perm_b32 v50, v35, v50, s11
	v_bfe_u32 v35, v49, 16, 1
	v_bfe_u32 v51, v48, 16, 1
	v_add3_u32 v48, v48, v51, s10
	v_add3_u32 v35, v49, v35, s10
	v_perm_b32 v51, v35, v48, s11
	v_lshlrev_b32_e32 v35, 3, v1
	v_lshlrev_b32_e32 v48, 11, v55
	v_pk_mul_f32 v[46:47], v[60:61], v[46:47] op_sel_hi:[0,1]
	v_or3_b32 v48, v48, v58, v35
	v_bfe_u32 v35, v47, 16, 1
	v_bfe_u32 v49, v46, 16, 1
	v_pk_mul_f32 v[44:45], v[60:61], v[44:45] op_sel_hi:[0,1]
	v_add3_u32 v46, v46, v49, s10
	v_add3_u32 v35, v47, v35, s10
	v_perm_b32 v46, v35, v46, s11
	v_bfe_u32 v35, v45, 16, 1
	v_bfe_u32 v47, v44, 16, 1
	v_add3_u32 v44, v44, v47, s10
	v_add3_u32 v35, v45, v35, s10
	v_pk_mul_f32 v[42:43], v[60:61], v[42:43] op_sel_hi:[0,1]
	v_perm_b32 v47, v35, v44, s11
	v_bfe_u32 v35, v43, 16, 1
	v_bfe_u32 v44, v42, 16, 1
	v_pk_mul_f32 v[40:41], v[60:61], v[40:41] op_sel_hi:[0,1]
	v_add3_u32 v42, v42, v44, s10
	v_add3_u32 v35, v43, v35, s10
	v_perm_b32 v42, v35, v42, s11
	v_bfe_u32 v35, v41, 16, 1
	v_bfe_u32 v43, v40, 16, 1
	v_add3_u32 v40, v40, v43, s10
	v_add3_u32 v35, v41, v35, s10
	v_pk_mul_f32 v[38:39], v[60:61], v[38:39] op_sel_hi:[0,1]
	v_perm_b32 v43, v35, v40, s11
	v_bfe_u32 v35, v39, 16, 1
	v_bfe_u32 v40, v38, 16, 1
	v_pk_mul_f32 v[36:37], v[60:61], v[36:37] op_sel_hi:[0,1]
	v_add3_u32 v38, v38, v40, s10
	v_add3_u32 v35, v39, v35, s10
	v_perm_b32 v38, v35, v38, s11
	v_bfe_u32 v35, v37, 16, 1
	v_bfe_u32 v39, v36, 16, 1
	v_add3_u32 v36, v36, v39, s10
	v_add3_u32 v35, v37, v35, s10
	v_perm_b32 v39, v35, v36, s11
	v_cmp_gt_u32_e32 vcc, 16, v0
	ds_write2st64_b64 v48, v[50:51], v[46:47] offset1:1
	ds_write2st64_b64 v48, v[42:43], v[38:39] offset0:2 offset1:3
	s_and_saveexec_b64 s[2:3], vcc
	s_cbranch_execz .LBB207_15
; %bb.14:
	v_mov_b32_e32 v35, 0
	v_mov_b32_e32 v36, s9
	v_mad_u64_u32 v[36:37], s[16:17], s6, v36, v[34:35]
	v_mov_b32_e32 v34, s28
	s_load_dwordx4 s[12:15], s[4:5], 0x58
	s_mul_i32 s7, s7, s9
	v_mad_u64_u32 v[34:35], s[16:17], v36, s8, v[34:35]
	v_add_u32_e32 v37, s7, v37
	v_mov_b32_e32 v36, v35
	v_mad_u64_u32 v[36:37], s[16:17], v37, s8, v[36:37]
	v_mov_b32_e32 v35, v36
	v_lshlrev_b64 v[34:35], 2, v[34:35]
	s_waitcnt lgkmcnt(0)
	v_mov_b32_e32 v37, s15
	v_add_co_u32_e32 v36, vcc, s14, v34
	v_addc_co_u32_e32 v37, vcc, v37, v35, vcc
	global_store_dword v[36:37], v56, off
	v_mov_b32_e32 v36, s13
	v_add_co_u32_e32 v34, vcc, s12, v34
	v_addc_co_u32_e32 v35, vcc, v36, v35, vcc
	global_store_dword v[34:35], v57, off
.LBB207_15:
	s_or_b64 exec, exec, s[2:3]
	s_waitcnt lgkmcnt(0)
	s_barrier
	ds_read_b128 v[34:37], v54
	ds_read_b128 v[38:41], v54 offset:16
	s_waitcnt vmcnt(7) lgkmcnt(1)
	v_mfma_f32_16x16x16bf16_1k v[42:45], v[14:15], v[34:35], 0
	v_cmp_gt_u32_e32 vcc, 64, v0
	s_mov_b32 s3, 0
	s_and_b64 s[0:1], vcc, s[0:1]
	v_mfma_f32_16x16x16bf16_1k v[14:17], v[16:17], v[36:37], v[42:45]
	s_waitcnt vmcnt(6) lgkmcnt(0)
	v_mfma_f32_16x16x16bf16_1k v[14:17], v[10:11], v[38:39], v[14:17]
	v_mfma_f32_16x16x16bf16_1k v[10:13], v[12:13], v[40:41], v[14:17]
	s_nop 7
	s_nop 1
	ds_read_b128 v[14:17], v54 offset:2048
	ds_read_b128 v[34:37], v54 offset:2064
	s_waitcnt vmcnt(5) lgkmcnt(1)
	v_mfma_f32_16x16x16bf16_1k v[10:13], v[6:7], v[14:15], v[10:13]
	v_mfma_f32_16x16x16bf16_1k v[6:9], v[8:9], v[16:17], v[10:13]
	s_waitcnt vmcnt(4) lgkmcnt(0)
	v_mfma_f32_16x16x16bf16_1k v[6:9], v[2:3], v[34:35], v[6:9]
	v_mfma_f32_16x16x16bf16_1k v[2:5], v[4:5], v[36:37], v[6:9]
	s_nop 7
	s_nop 1
	ds_read_b128 v[6:9], v54 offset:4096
	ds_read_b128 v[10:13], v54 offset:4112
	s_waitcnt vmcnt(3) lgkmcnt(1)
	v_mfma_f32_16x16x16bf16_1k v[2:5], v[30:31], v[6:7], v[2:5]
	v_mfma_f32_16x16x16bf16_1k v[2:5], v[32:33], v[8:9], v[2:5]
	s_waitcnt vmcnt(2) lgkmcnt(0)
	v_mfma_f32_16x16x16bf16_1k v[2:5], v[22:23], v[10:11], v[2:5]
	v_mfma_f32_16x16x16bf16_1k v[2:5], v[24:25], v[12:13], v[2:5]
	ds_read_b128 v[6:9], v54 offset:6144
	ds_read_b128 v[10:13], v54 offset:6160
	s_waitcnt lgkmcnt(0)
	s_barrier
	s_waitcnt vmcnt(1)
	v_mfma_f32_16x16x16bf16_1k v[2:5], v[26:27], v[6:7], v[2:5]
	v_mfma_f32_16x16x16bf16_1k v[2:5], v[28:29], v[8:9], v[2:5]
	s_waitcnt vmcnt(0)
	v_mfma_f32_16x16x16bf16_1k v[2:5], v[18:19], v[10:11], v[2:5]
	v_mfma_f32_16x16x16bf16_1k v[2:5], v[20:21], v[12:13], v[2:5]
	s_nop 7
	s_nop 2
	v_bfe_u32 v6, v3, 16, 1
	v_bfe_u32 v7, v2, 16, 1
	;; [unrolled: 1-line block ×4, first 2 shown]
	v_add3_u32 v2, v2, v7, s10
	v_add3_u32 v3, v3, v6, s10
	;; [unrolled: 1-line block ×4, first 2 shown]
	v_perm_b32 v2, v3, v2, s11
	v_perm_b32 v3, v5, v4, s11
	ds_write_b64 v48, v[2:3]
	s_waitcnt lgkmcnt(0)
	s_barrier
	s_and_saveexec_b64 s[10:11], s[0:1]
	s_cbranch_execz .LBB207_17
; %bb.16:
	s_load_dwordx2 s[0:1], s[4:5], 0x68
	s_lshl_b32 s7, s8, 6
	s_mul_i32 s2, s9, s6
	s_mul_hi_u32 s5, s2, s7
	s_mul_i32 s4, s2, s7
	s_lshl_b64 s[4:5], s[4:5], 1
	s_waitcnt lgkmcnt(0)
	s_add_u32 s4, s0, s4
	s_addc_u32 s5, s1, s5
	s_lshl_b32 s2, s28, 6
	v_lshlrev_b32_e32 v0, 10, v0
	s_lshl_b64 s[0:1], s[2:3], 1
	v_and_b32_e32 v0, 0x1800, v0
	v_lshlrev_b32_e32 v2, 5, v1
	v_and_b32_e32 v3, 16, v53
	s_add_u32 s0, s4, s0
	v_or3_b32 v0, v0, v2, v3
	s_addc_u32 s1, s5, s1
	ds_read_b128 v[2:5], v0
	ds_read_b128 v[6:9], v0 offset:128
	ds_read_b128 v[10:13], v0 offset:256
	;; [unrolled: 1-line block ×3, first 2 shown]
	v_mov_b32_e32 v0, s1
	v_add_co_u32_e32 v18, vcc, s0, v52
	v_or_b32_e32 v20, s29, v1
	v_addc_co_u32_e32 v19, vcc, 0, v0, vcc
	v_mad_u64_u32 v[0:1], s[0:1], v20, s7, 0
	v_lshlrev_b64 v[0:1], 1, v[0:1]
	v_add_co_u32_e32 v0, vcc, v18, v0
	v_addc_co_u32_e32 v1, vcc, v19, v1, vcc
	s_waitcnt lgkmcnt(3)
	global_store_dwordx4 v[0:1], v[2:5], off
	v_or_b32_e32 v0, 4, v20
	v_mad_u64_u32 v[0:1], s[0:1], v0, s7, 0
	v_lshlrev_b64 v[0:1], 1, v[0:1]
	v_add_co_u32_e32 v0, vcc, v18, v0
	v_addc_co_u32_e32 v1, vcc, v19, v1, vcc
	s_waitcnt lgkmcnt(2)
	global_store_dwordx4 v[0:1], v[6:9], off
	v_or_b32_e32 v0, 8, v20
	;; [unrolled: 7-line block ×3, first 2 shown]
	v_mad_u64_u32 v[0:1], s[0:1], v0, s7, 0
	v_lshlrev_b64 v[0:1], 1, v[0:1]
	v_add_co_u32_e32 v0, vcc, v18, v0
	v_addc_co_u32_e32 v1, vcc, v19, v1, vcc
	s_waitcnt lgkmcnt(0)
	global_store_dwordx4 v[0:1], v[14:17], off
.LBB207_17:
	s_endpgm
	.section	.rodata,"a",@progbits
	.p2align	6, 0x0
	.amdhsa_kernel _Z39paged_attention_ll4mi_QKV_mfma16_kernelI14__hip_bfloat16S0_LN4vllm18Fp8KVCacheDataTypeE0ES0_Li16ELi64ELi256ELb1ELi16EL8MFMAType0EEvPKT_PKT0_S9_ifPKiSB_SB_iPKfiiiPfSE_PS4_PT2_iSD_SD_
		.amdhsa_group_segment_fixed_size 8192
		.amdhsa_private_segment_fixed_size 0
		.amdhsa_kernarg_size 400
		.amdhsa_user_sgpr_count 6
		.amdhsa_user_sgpr_private_segment_buffer 1
		.amdhsa_user_sgpr_dispatch_ptr 0
		.amdhsa_user_sgpr_queue_ptr 0
		.amdhsa_user_sgpr_kernarg_segment_ptr 1
		.amdhsa_user_sgpr_dispatch_id 0
		.amdhsa_user_sgpr_flat_scratch_init 0
		.amdhsa_user_sgpr_kernarg_preload_length 0
		.amdhsa_user_sgpr_kernarg_preload_offset 0
		.amdhsa_user_sgpr_private_segment_size 0
		.amdhsa_uses_dynamic_stack 0
		.amdhsa_system_sgpr_private_segment_wavefront_offset 0
		.amdhsa_system_sgpr_workgroup_id_x 1
		.amdhsa_system_sgpr_workgroup_id_y 1
		.amdhsa_system_sgpr_workgroup_id_z 1
		.amdhsa_system_sgpr_workgroup_info 0
		.amdhsa_system_vgpr_workitem_id 0
		.amdhsa_next_free_vgpr 68
		.amdhsa_next_free_sgpr 48
		.amdhsa_accum_offset 68
		.amdhsa_reserve_vcc 1
		.amdhsa_reserve_flat_scratch 0
		.amdhsa_float_round_mode_32 0
		.amdhsa_float_round_mode_16_64 0
		.amdhsa_float_denorm_mode_32 3
		.amdhsa_float_denorm_mode_16_64 3
		.amdhsa_dx10_clamp 1
		.amdhsa_ieee_mode 1
		.amdhsa_fp16_overflow 0
		.amdhsa_tg_split 0
		.amdhsa_exception_fp_ieee_invalid_op 0
		.amdhsa_exception_fp_denorm_src 0
		.amdhsa_exception_fp_ieee_div_zero 0
		.amdhsa_exception_fp_ieee_overflow 0
		.amdhsa_exception_fp_ieee_underflow 0
		.amdhsa_exception_fp_ieee_inexact 0
		.amdhsa_exception_int_div_zero 0
	.end_amdhsa_kernel
	.section	.text._Z39paged_attention_ll4mi_QKV_mfma16_kernelI14__hip_bfloat16S0_LN4vllm18Fp8KVCacheDataTypeE0ES0_Li16ELi64ELi256ELb1ELi16EL8MFMAType0EEvPKT_PKT0_S9_ifPKiSB_SB_iPKfiiiPfSE_PS4_PT2_iSD_SD_,"axG",@progbits,_Z39paged_attention_ll4mi_QKV_mfma16_kernelI14__hip_bfloat16S0_LN4vllm18Fp8KVCacheDataTypeE0ES0_Li16ELi64ELi256ELb1ELi16EL8MFMAType0EEvPKT_PKT0_S9_ifPKiSB_SB_iPKfiiiPfSE_PS4_PT2_iSD_SD_,comdat
.Lfunc_end207:
	.size	_Z39paged_attention_ll4mi_QKV_mfma16_kernelI14__hip_bfloat16S0_LN4vllm18Fp8KVCacheDataTypeE0ES0_Li16ELi64ELi256ELb1ELi16EL8MFMAType0EEvPKT_PKT0_S9_ifPKiSB_SB_iPKfiiiPfSE_PS4_PT2_iSD_SD_, .Lfunc_end207-_Z39paged_attention_ll4mi_QKV_mfma16_kernelI14__hip_bfloat16S0_LN4vllm18Fp8KVCacheDataTypeE0ES0_Li16ELi64ELi256ELb1ELi16EL8MFMAType0EEvPKT_PKT0_S9_ifPKiSB_SB_iPKfiiiPfSE_PS4_PT2_iSD_SD_
                                        ; -- End function
	.section	.AMDGPU.csdata,"",@progbits
; Kernel info:
; codeLenInByte = 4532
; NumSgprs: 52
; NumVgprs: 68
; NumAgprs: 0
; TotalNumVgprs: 68
; ScratchSize: 0
; MemoryBound: 0
; FloatMode: 240
; IeeeMode: 1
; LDSByteSize: 8192 bytes/workgroup (compile time only)
; SGPRBlocks: 6
; VGPRBlocks: 8
; NumSGPRsForWavesPerEU: 52
; NumVGPRsForWavesPerEU: 68
; AccumOffset: 68
; Occupancy: 7
; WaveLimiterHint : 1
; COMPUTE_PGM_RSRC2:SCRATCH_EN: 0
; COMPUTE_PGM_RSRC2:USER_SGPR: 6
; COMPUTE_PGM_RSRC2:TRAP_HANDLER: 0
; COMPUTE_PGM_RSRC2:TGID_X_EN: 1
; COMPUTE_PGM_RSRC2:TGID_Y_EN: 1
; COMPUTE_PGM_RSRC2:TGID_Z_EN: 1
; COMPUTE_PGM_RSRC2:TIDIG_COMP_CNT: 0
; COMPUTE_PGM_RSRC3_GFX90A:ACCUM_OFFSET: 16
; COMPUTE_PGM_RSRC3_GFX90A:TG_SPLIT: 0
	.section	.text._Z35paged_attention_ll4mi_reduce_kernelI14__hip_bfloat16S0_Li64ELi64ELi256ELi1EEvPT0_PKfS4_PKT_PKiS9_iS4_,"axG",@progbits,_Z35paged_attention_ll4mi_reduce_kernelI14__hip_bfloat16S0_Li64ELi64ELi256ELi1EEvPT0_PKfS4_PKT_PKiS9_iS4_,comdat
	.protected	_Z35paged_attention_ll4mi_reduce_kernelI14__hip_bfloat16S0_Li64ELi64ELi256ELi1EEvPT0_PKfS4_PKT_PKiS9_iS4_ ; -- Begin function _Z35paged_attention_ll4mi_reduce_kernelI14__hip_bfloat16S0_Li64ELi64ELi256ELi1EEvPT0_PKfS4_PKT_PKiS9_iS4_
	.globl	_Z35paged_attention_ll4mi_reduce_kernelI14__hip_bfloat16S0_Li64ELi64ELi256ELi1EEvPT0_PKfS4_PKT_PKiS9_iS4_
	.p2align	8
	.type	_Z35paged_attention_ll4mi_reduce_kernelI14__hip_bfloat16S0_Li64ELi64ELi256ELi1EEvPT0_PKfS4_PKT_PKiS9_iS4_,@function
_Z35paged_attention_ll4mi_reduce_kernelI14__hip_bfloat16S0_Li64ELi64ELi256ELi1EEvPT0_PKfS4_PKT_PKiS9_iS4_: ; @_Z35paged_attention_ll4mi_reduce_kernelI14__hip_bfloat16S0_Li64ELi64ELi256ELi1EEvPT0_PKfS4_PKT_PKiS9_iS4_
; %bb.0:
	s_load_dwordx2 s[16:17], s[4:5], 0x28
	s_mov_b32 s2, s7
	s_mov_b64 s[0:1], 0
	s_waitcnt lgkmcnt(0)
	s_cmp_lg_u64 s[16:17], 0
	s_cselect_b64 s[18:19], -1, 0
	s_and_b64 vcc, exec, s[18:19]
	s_cbranch_vccz .LBB208_23
; %bb.1:
	s_add_i32 s8, s2, 1
	s_mov_b32 s9, 0
	s_lshl_b64 s[10:11], s[8:9], 2
	s_add_u32 s10, s16, s10
	s_mov_b32 s3, s9
	s_addc_u32 s11, s17, s11
	s_lshl_b64 s[8:9], s[2:3], 2
	s_add_u32 s8, s16, s8
	s_addc_u32 s9, s17, s9
	s_load_dword s7, s[10:11], 0x0
	s_load_dword s12, s[8:9], 0x0
	s_waitcnt lgkmcnt(0)
	s_sub_i32 s7, s7, s12
	s_cmp_eq_u32 s7, 1
	s_cselect_b64 s[8:9], -1, 0
	s_andn2_b64 vcc, exec, s[0:1]
	s_cbranch_vccnz .LBB208_3
.LBB208_2:
	s_mov_b32 s3, 0
	s_mov_b64 s[8:9], -1
.LBB208_3:
	s_andn2_b64 vcc, exec, s[8:9]
	s_cbranch_vccz .LBB208_5
; %bb.4:
	s_endpgm
.LBB208_5:
	s_load_dwordx4 s[8:11], s[4:5], 0x18
	s_load_dword s13, s[4:5], 0x30
	s_lshl_b64 s[20:21], s[2:3], 2
	v_cmp_lt_u32_e32 vcc, 63, v0
	s_waitcnt lgkmcnt(0)
	s_add_u32 s0, s10, s20
	s_addc_u32 s1, s11, s21
	s_load_dword s26, s[0:1], 0x0
	s_load_dword s7, s[4:5], 0x40
	s_mul_i32 s10, s6, s13
	s_mul_i32 s11, s2, s13
	s_waitcnt lgkmcnt(0)
	s_add_i32 s12, s26, 0xff
	s_ashr_i32 s0, s12, 31
	s_lshr_b32 s0, s0, 24
	s_add_i32 s12, s12, s0
	s_and_saveexec_b64 s[0:1], vcc
	s_xor_b64 s[0:1], exec, s[0:1]
	s_or_saveexec_b64 s[22:23], s[0:1]
	s_ashr_i32 s27, s12, 8
	v_mov_b32_e32 v1, s10
	s_mul_i32 s24, s11, s7
	s_xor_b64 exec, exec, s[22:23]
	s_cbranch_execz .LBB208_9
; %bb.6:
	s_load_dwordx4 s[12:15], s[4:5], 0x8
	s_mov_b32 s25, 0
	s_lshl_b64 s[28:29], s[24:25], 2
	s_mov_b32 s11, s25
	v_cmp_gt_u32_e32 vcc, s27, v0
	s_waitcnt lgkmcnt(0)
	s_add_u32 s0, s14, s28
	s_addc_u32 s1, s15, s29
	s_lshl_b64 s[14:15], s[10:11], 2
	s_add_u32 s0, s0, s14
	s_addc_u32 s1, s1, s15
	s_add_i32 s11, s27, -1
	v_mov_b32_e32 v1, s11
	v_cndmask_b32_e32 v2, v1, v0, vcc
	v_ashrrev_i32_e32 v3, 31, v2
	v_lshlrev_b64 v[2:3], 2, v[2:3]
	v_mov_b32_e32 v1, s1
	v_add_co_u32_e64 v4, s[0:1], s0, v2
	v_addc_co_u32_e64 v5, s[0:1], v1, v3, s[0:1]
	global_load_dword v1, v[4:5], off
	s_add_u32 s0, s12, s28
	s_addc_u32 s1, s13, s29
	s_add_u32 s0, s0, s14
	s_addc_u32 s1, s1, s15
	v_mov_b32_e32 v4, s1
	v_add_co_u32_e64 v2, s[0:1], s0, v2
	v_addc_co_u32_e64 v3, s[0:1], v4, v3, s[0:1]
	global_load_dword v2, v[2:3], off
	v_mbcnt_lo_u32_b32 v3, -1, 0
	v_mbcnt_hi_u32_b32 v3, -1, v3
	v_and_b32_e32 v4, 64, v3
	v_xor_b32_e32 v5, 32, v3
	v_add_u32_e32 v4, 64, v4
	v_cmp_lt_i32_e64 s[0:1], v5, v4
	v_cndmask_b32_e64 v5, v3, v5, s[0:1]
	v_lshlrev_b32_e32 v5, 2, v5
	v_xor_b32_e32 v6, 16, v3
	v_cmp_lt_i32_e64 s[0:1], v6, v4
	v_cndmask_b32_e64 v6, v3, v6, s[0:1]
	v_lshlrev_b32_e32 v6, 2, v6
	v_xor_b32_e32 v9, 8, v3
	;; [unrolled: 4-line block ×5, first 2 shown]
	v_cmp_lt_i32_e64 s[0:1], v12, v4
	v_cndmask_b32_e64 v3, v3, v12, s[0:1]
	v_lshlrev_b32_e32 v3, 2, v3
	s_mov_b32 s0, 0x3fb8aa3b
	s_mov_b32 s11, 0x42b17218
	s_waitcnt vmcnt(1)
	ds_bpermute_b32 v7, v5, v1
	v_max_f32_e32 v8, v1, v1
	s_waitcnt lgkmcnt(0)
	v_max_f32_e32 v7, v7, v7
	v_max_f32_e32 v7, v8, v7
	ds_bpermute_b32 v8, v6, v7
	s_waitcnt lgkmcnt(0)
	v_max_f32_e32 v8, v8, v8
	v_max_f32_e32 v7, v7, v8
	ds_bpermute_b32 v8, v9, v7
	;; [unrolled: 4-line block ×5, first 2 shown]
	s_waitcnt lgkmcnt(0)
	v_max_f32_e32 v7, v7, v7
	v_max_f32_e32 v4, v4, v7
	v_sub_f32_e32 v1, v1, v4
	v_mul_f32_e32 v4, 0x3fb8aa3b, v1
	v_fma_f32 v7, v1, s0, -v4
	v_rndne_f32_e32 v8, v4
	v_fmac_f32_e32 v7, 0x32a5705f, v1
	v_sub_f32_e32 v4, v4, v8
	v_add_f32_e32 v4, v4, v7
	v_cvt_i32_f32_e32 v8, v8
	v_exp_f32_e32 v4, v4
	s_mov_b32 s0, 0xc2ce8ed0
	v_cmp_ngt_f32_e64 s[0:1], s0, v1
	v_mov_b32_e32 v7, 0x7f800000
	v_ldexp_f32 v4, v4, v8
	v_cndmask_b32_e64 v4, 0, v4, s[0:1]
	v_cmp_nlt_f32_e64 s[0:1], s11, v1
	v_cndmask_b32_e64 v1, v7, v4, s[0:1]
	v_cndmask_b32_e32 v1, 0, v1, vcc
	s_waitcnt vmcnt(0)
	v_mul_f32_e32 v4, v1, v2
	ds_bpermute_b32 v1, v5, v4
	v_cmp_eq_u32_e32 vcc, 0, v0
	s_waitcnt lgkmcnt(0)
	v_add_f32_e32 v1, v4, v1
	ds_bpermute_b32 v2, v6, v1
	s_waitcnt lgkmcnt(0)
	v_add_f32_e32 v1, v1, v2
	ds_bpermute_b32 v2, v9, v1
	;; [unrolled: 3-line block ×5, first 2 shown]
	v_lshlrev_b32_e32 v3, 2, v0
	ds_write_b32 v3, v4
	s_and_saveexec_b64 s[0:1], vcc
	s_cbranch_execz .LBB208_8
; %bb.7:
	s_waitcnt lgkmcnt(1)
	v_add_f32_e32 v1, v1, v2
	v_mov_b32_e32 v2, 0
	ds_write_b32 v2, v1 offset:256
.LBB208_8:
	s_or_b64 exec, exec, s[0:1]
	v_mov_b32_e32 v1, s10
.LBB208_9:
	s_or_b64 exec, exec, s[22:23]
	s_lshl_b32 s0, s24, 6
	s_mov_b32 s1, 0
	s_waitcnt lgkmcnt(1)
	v_lshlrev_b32_e32 v2, 6, v1
	v_mov_b32_e32 v3, 0
	s_lshl_b64 s[0:1], s[0:1], 1
	s_add_u32 s0, s8, s0
	v_lshlrev_b64 v[4:5], 1, v[2:3]
	s_addc_u32 s1, s9, s1
	v_add_co_u32_e32 v4, vcc, s0, v4
	s_lshl_b32 s0, s27, 6
	s_sub_i32 s8, s0, 64
	s_cmp_lt_i32 s26, 1
	v_mov_b32_e32 v1, s1
	s_cselect_b32 s0, s8, 0
	v_addc_co_u32_e32 v1, vcc, v1, v5, vcc
	v_lshlrev_b32_e32 v2, 1, v0
	s_ashr_i32 s1, s0, 31
	v_add_co_u32_e32 v0, vcc, v4, v2
	s_lshl_b64 s[0:1], s[0:1], 1
	v_addc_co_u32_e32 v1, vcc, 0, v1, vcc
	s_cmpk_lt_i32 s26, 0x101
	v_add_co_u32_e32 v4, vcc, s0, v0
	s_cselect_b32 s0, s8, 64
	v_mov_b32_e32 v5, s1
	s_ashr_i32 s1, s0, 31
	s_lshl_b64 s[0:1], s[0:1], 1
	v_addc_co_u32_e32 v5, vcc, v1, v5, vcc
	s_cmpk_lt_i32 s26, 0x201
	v_add_co_u32_e32 v6, vcc, s0, v0
	s_cselect_b32 s0, s8, 0x80
	v_mov_b32_e32 v7, s1
	s_ashr_i32 s1, s0, 31
	;; [unrolled: 7-line block ×8, first 2 shown]
	s_lshl_b64 s[0:1], s[0:1], 1
	v_addc_co_u32_e32 v19, vcc, v1, v19, vcc
	s_cmpk_lt_i32 s26, 0x901
	global_load_ushort v45, v[4:5], off
	global_load_ushort v44, v[6:7], off
	;; [unrolled: 1-line block ×8, first 2 shown]
	v_add_co_u32_e32 v4, vcc, s0, v0
	s_cselect_b32 s0, s8, 0x240
	v_mov_b32_e32 v5, s1
	s_ashr_i32 s1, s0, 31
	s_lshl_b64 s[0:1], s[0:1], 1
	v_addc_co_u32_e32 v5, vcc, v1, v5, vcc
	s_cmpk_lt_i32 s26, 0xa01
	v_add_co_u32_e32 v6, vcc, s0, v0
	s_cselect_b32 s0, s8, 0x280
	v_mov_b32_e32 v7, s1
	s_ashr_i32 s1, s0, 31
	s_lshl_b64 s[0:1], s[0:1], 1
	v_addc_co_u32_e32 v7, vcc, v1, v7, vcc
	s_cmpk_lt_i32 s26, 0xb01
	;; [unrolled: 7-line block ×6, first 2 shown]
	v_add_co_u32_e32 v16, vcc, s0, v0
	s_cselect_b32 s0, s8, 0x3c0
	v_mov_b32_e32 v17, s1
	s_ashr_i32 s1, s0, 31
	v_addc_co_u32_e32 v17, vcc, v1, v17, vcc
	s_lshl_b64 s[0:1], s[0:1], 1
	v_mov_b32_e32 v19, s1
	v_add_co_u32_e32 v18, vcc, s0, v0
	v_addc_co_u32_e32 v19, vcc, v1, v19, vcc
	global_load_ushort v52, v[4:5], off
	global_load_ushort v53, v[6:7], off
	;; [unrolled: 1-line block ×8, first 2 shown]
	s_cmpk_gt_i32 s26, 0x1000
	s_cselect_b64 s[0:1], -1, 0
	s_cmpk_lt_i32 s26, 0x1001
	v_mov_b32_e32 v62, 0
	v_mov_b32_e32 v63, 0
	;; [unrolled: 1-line block ×48, first 2 shown]
	s_waitcnt lgkmcnt(0)
	; wave barrier
	s_waitcnt lgkmcnt(0)
	s_cbranch_scc1 .LBB208_12
; %bb.10:
	s_cmpk_lt_u32 s26, 0x1101
	s_cselect_b32 s10, s8, 0x440
	s_ashr_i32 s11, s10, 31
	s_lshl_b64 s[10:11], s[10:11], 1
	s_cmpk_lt_u32 s26, 0x1201
	v_add_co_u32_e32 v4, vcc, s10, v0
	s_cselect_b32 s10, s8, 0x480
	v_mov_b32_e32 v5, s11
	s_ashr_i32 s11, s10, 31
	s_lshl_b64 s[10:11], s[10:11], 1
	v_addc_co_u32_e32 v5, vcc, v1, v5, vcc
	s_cmpk_lt_u32 s26, 0x1301
	v_add_co_u32_e32 v6, vcc, s10, v0
	s_cselect_b32 s10, s8, 0x4c0
	v_mov_b32_e32 v7, s11
	s_ashr_i32 s11, s10, 31
	s_lshl_b64 s[10:11], s[10:11], 1
	v_addc_co_u32_e32 v7, vcc, v1, v7, vcc
	;; [unrolled: 7-line block ×7, first 2 shown]
	s_cmpk_lt_u32 s26, 0x1901
	global_load_ushort v61, v[0:1], off offset:2048
	global_load_ushort v60, v[4:5], off
	global_load_ushort v59, v[6:7], off
	;; [unrolled: 1-line block ×7, first 2 shown]
	v_add_co_u32_e32 v4, vcc, s10, v0
	s_cselect_b32 s10, s8, 0x640
	v_mov_b32_e32 v5, s11
	s_ashr_i32 s11, s10, 31
	s_lshl_b64 s[10:11], s[10:11], 1
	v_addc_co_u32_e32 v5, vcc, v1, v5, vcc
	s_cmpk_lt_u32 s26, 0x1a01
	v_add_co_u32_e32 v6, vcc, s10, v0
	s_cselect_b32 s10, s8, 0x680
	v_mov_b32_e32 v7, s11
	s_ashr_i32 s11, s10, 31
	s_lshl_b64 s[10:11], s[10:11], 1
	v_addc_co_u32_e32 v7, vcc, v1, v7, vcc
	s_cmpk_lt_u32 s26, 0x1b01
	;; [unrolled: 7-line block ×6, first 2 shown]
	v_add_co_u32_e32 v16, vcc, s10, v0
	s_cselect_b32 s10, s8, 0x7c0
	v_mov_b32_e32 v17, s11
	s_ashr_i32 s11, s10, 31
	v_addc_co_u32_e32 v17, vcc, v1, v17, vcc
	s_lshl_b64 s[10:11], s[10:11], 1
	v_mov_b32_e32 v19, s11
	v_add_co_u32_e32 v18, vcc, s10, v0
	v_addc_co_u32_e32 v19, vcc, v1, v19, vcc
	global_load_ushort v69, v[4:5], off
	global_load_ushort v68, v[6:7], off
	global_load_ushort v67, v[8:9], off
	global_load_ushort v66, v[10:11], off
	global_load_ushort v65, v[12:13], off
	global_load_ushort v64, v[14:15], off
	global_load_ushort v63, v[16:17], off
	global_load_ushort v62, v[18:19], off
	s_cmpk_lt_u32 s26, 0x2001
	v_mov_b32_e32 v35, 0
	v_mov_b32_e32 v33, 0
	;; [unrolled: 1-line block ×32, first 2 shown]
	s_cbranch_scc1 .LBB208_12
; %bb.11:
	s_cmpk_lt_u32 s26, 0x2101
	s_cselect_b32 s10, s8, 0x840
	s_ashr_i32 s11, s10, 31
	s_lshl_b64 s[10:11], s[10:11], 1
	s_cmpk_lt_u32 s26, 0x2201
	v_add_co_u32_e32 v4, vcc, s10, v0
	s_cselect_b32 s10, s8, 0x880
	v_mov_b32_e32 v5, s11
	s_ashr_i32 s11, s10, 31
	s_lshl_b64 s[10:11], s[10:11], 1
	v_addc_co_u32_e32 v5, vcc, v1, v5, vcc
	s_cmpk_lt_u32 s26, 0x2301
	v_add_co_u32_e32 v6, vcc, s10, v0
	s_cselect_b32 s10, s8, 0x8c0
	v_mov_b32_e32 v7, s11
	s_ashr_i32 s11, s10, 31
	s_lshl_b64 s[10:11], s[10:11], 1
	v_addc_co_u32_e32 v7, vcc, v1, v7, vcc
	s_cmpk_lt_u32 s26, 0x2401
	v_add_co_u32_e32 v8, vcc, s10, v0
	s_cselect_b32 s10, s8, 0x900
	v_mov_b32_e32 v9, s11
	s_ashr_i32 s11, s10, 31
	s_lshl_b64 s[10:11], s[10:11], 1
	v_addc_co_u32_e32 v9, vcc, v1, v9, vcc
	s_cmpk_lt_u32 s26, 0x2501
	v_add_co_u32_e32 v10, vcc, s10, v0
	s_cselect_b32 s10, s8, 0x940
	v_mov_b32_e32 v11, s11
	s_ashr_i32 s11, s10, 31
	s_lshl_b64 s[10:11], s[10:11], 1
	v_addc_co_u32_e32 v11, vcc, v1, v11, vcc
	s_cmpk_lt_u32 s26, 0x2601
	v_add_co_u32_e32 v12, vcc, s10, v0
	s_cselect_b32 s10, s8, 0x980
	v_mov_b32_e32 v13, s11
	s_ashr_i32 s11, s10, 31
	s_lshl_b64 s[10:11], s[10:11], 1
	v_addc_co_u32_e32 v13, vcc, v1, v13, vcc
	s_cmpk_lt_u32 s26, 0x2701
	v_add_co_u32_e32 v14, vcc, s10, v0
	s_cselect_b32 s10, s8, 0x9c0
	v_mov_b32_e32 v15, s11
	s_ashr_i32 s11, s10, 31
	s_lshl_b64 s[10:11], s[10:11], 1
	v_addc_co_u32_e32 v15, vcc, v1, v15, vcc
	s_cmpk_lt_u32 s26, 0x2801
	v_add_co_u32_e32 v16, vcc, s10, v0
	s_cselect_b32 s10, s8, 0xa00
	v_mov_b32_e32 v17, s11
	s_ashr_i32 s11, s10, 31
	s_lshl_b64 s[10:11], s[10:11], 1
	v_addc_co_u32_e32 v17, vcc, v1, v17, vcc
	s_cmpk_lt_u32 s26, 0x2901
	v_add_co_u32_e32 v18, vcc, s10, v0
	s_cselect_b32 s10, s8, 0xa40
	v_mov_b32_e32 v19, s11
	s_ashr_i32 s11, s10, 31
	s_lshl_b64 s[10:11], s[10:11], 1
	v_addc_co_u32_e32 v19, vcc, v1, v19, vcc
	s_cmpk_lt_u32 s26, 0x2a01
	v_add_co_u32_e32 v20, vcc, s10, v0
	s_cselect_b32 s10, s8, 0xa80
	v_mov_b32_e32 v21, s11
	s_ashr_i32 s11, s10, 31
	s_lshl_b64 s[10:11], s[10:11], 1
	v_addc_co_u32_e32 v21, vcc, v1, v21, vcc
	s_cmpk_lt_u32 s26, 0x2b01
	v_add_co_u32_e32 v22, vcc, s10, v0
	s_cselect_b32 s10, s8, 0xac0
	v_mov_b32_e32 v23, s11
	s_ashr_i32 s11, s10, 31
	s_lshl_b64 s[10:11], s[10:11], 1
	v_addc_co_u32_e32 v23, vcc, v1, v23, vcc
	s_cmpk_lt_u32 s26, 0x2c01
	v_add_co_u32_e32 v28, vcc, s10, v0
	s_cselect_b32 s10, s8, 0xb00
	v_mov_b32_e32 v24, s11
	s_ashr_i32 s11, s10, 31
	s_lshl_b64 s[10:11], s[10:11], 1
	v_addc_co_u32_e32 v29, vcc, v1, v24, vcc
	s_cmpk_lt_u32 s26, 0x2d01
	v_add_co_u32_e32 v30, vcc, s10, v0
	s_cselect_b32 s10, s8, 0xb40
	v_mov_b32_e32 v24, s11
	s_ashr_i32 s11, s10, 31
	s_lshl_b64 s[10:11], s[10:11], 1
	v_addc_co_u32_e32 v31, vcc, v1, v24, vcc
	s_cmpk_lt_u32 s26, 0x2e01
	v_add_co_u32_e32 v34, vcc, s10, v0
	s_cselect_b32 s10, s8, 0xb80
	v_mov_b32_e32 v24, s11
	s_ashr_i32 s11, s10, 31
	s_lshl_b64 s[10:11], s[10:11], 1
	v_addc_co_u32_e32 v35, vcc, v1, v24, vcc
	s_cmpk_lt_u32 s26, 0x2f01
	v_add_co_u32_e32 v70, vcc, s10, v0
	s_cselect_b32 s10, s8, 0xbc0
	v_mov_b32_e32 v24, s11
	s_ashr_i32 s11, s10, 31
	s_lshl_b64 s[10:11], s[10:11], 1
	v_addc_co_u32_e32 v71, vcc, v1, v24, vcc
	s_cmpk_lt_u32 s26, 0x3001
	v_add_co_u32_e32 v24, vcc, s10, v0
	s_cselect_b32 s10, s8, 0xc00
	v_mov_b32_e32 v25, s11
	s_ashr_i32 s11, s10, 31
	s_lshl_b64 s[10:11], s[10:11], 1
	v_addc_co_u32_e32 v25, vcc, v1, v25, vcc
	s_cmpk_lt_u32 s26, 0x3101
	v_add_co_u32_e32 v26, vcc, s10, v0
	s_cselect_b32 s10, s8, 0xc40
	v_mov_b32_e32 v27, s11
	s_ashr_i32 s11, s10, 31
	s_lshl_b64 s[10:11], s[10:11], 1
	v_addc_co_u32_e32 v27, vcc, v1, v27, vcc
	s_cmpk_lt_u32 s26, 0x3201
	v_add_co_u32_e32 v32, vcc, s10, v0
	s_cselect_b32 s10, s8, 0xc80
	v_mov_b32_e32 v33, s11
	s_ashr_i32 s11, s10, 31
	s_lshl_b64 s[10:11], s[10:11], 1
	v_addc_co_u32_e32 v33, vcc, v1, v33, vcc
	s_cmpk_lt_u32 s26, 0x3301
	v_add_co_u32_e32 v36, vcc, s10, v0
	s_cselect_b32 s10, s8, 0xcc0
	v_mov_b32_e32 v37, s11
	s_ashr_i32 s11, s10, 31
	s_lshl_b64 s[10:11], s[10:11], 1
	v_addc_co_u32_e32 v37, vcc, v1, v37, vcc
	s_cmpk_lt_u32 s26, 0x3401
	v_add_co_u32_e32 v72, vcc, s10, v0
	s_cselect_b32 s10, s8, 0xd00
	v_mov_b32_e32 v73, s11
	s_ashr_i32 s11, s10, 31
	s_lshl_b64 s[10:11], s[10:11], 1
	v_addc_co_u32_e32 v73, vcc, v1, v73, vcc
	s_cmpk_lt_u32 s26, 0x3501
	v_add_co_u32_e32 v74, vcc, s10, v0
	s_cselect_b32 s10, s8, 0xd40
	v_mov_b32_e32 v75, s11
	s_ashr_i32 s11, s10, 31
	s_lshl_b64 s[10:11], s[10:11], 1
	v_addc_co_u32_e32 v75, vcc, v1, v75, vcc
	s_cmpk_lt_u32 s26, 0x3601
	v_add_co_u32_e32 v76, vcc, s10, v0
	s_cselect_b32 s10, s8, 0xd80
	v_mov_b32_e32 v77, s11
	s_ashr_i32 s11, s10, 31
	s_lshl_b64 s[10:11], s[10:11], 1
	v_addc_co_u32_e32 v77, vcc, v1, v77, vcc
	s_cmpk_lt_u32 s26, 0x3701
	v_add_co_u32_e32 v78, vcc, s10, v0
	s_cselect_b32 s10, s8, 0xdc0
	v_mov_b32_e32 v79, s11
	s_ashr_i32 s11, s10, 31
	s_lshl_b64 s[10:11], s[10:11], 1
	v_addc_co_u32_e32 v79, vcc, v1, v79, vcc
	s_cmpk_lt_u32 s26, 0x3801
	v_add_co_u32_e32 v80, vcc, s10, v0
	s_cselect_b32 s10, s8, 0xe00
	v_mov_b32_e32 v81, s11
	s_ashr_i32 s11, s10, 31
	s_lshl_b64 s[10:11], s[10:11], 1
	v_addc_co_u32_e32 v81, vcc, v1, v81, vcc
	s_cmpk_lt_u32 s26, 0x3901
	v_add_co_u32_e32 v82, vcc, s10, v0
	s_cselect_b32 s10, s8, 0xe40
	v_mov_b32_e32 v83, s11
	s_ashr_i32 s11, s10, 31
	s_lshl_b64 s[10:11], s[10:11], 1
	v_addc_co_u32_e32 v83, vcc, v1, v83, vcc
	s_cmpk_lt_u32 s26, 0x3a01
	v_add_co_u32_e32 v84, vcc, s10, v0
	s_cselect_b32 s10, s8, 0xe80
	v_mov_b32_e32 v85, s11
	s_ashr_i32 s11, s10, 31
	s_lshl_b64 s[10:11], s[10:11], 1
	v_addc_co_u32_e32 v85, vcc, v1, v85, vcc
	s_cmpk_lt_u32 s26, 0x3b01
	v_add_co_u32_e32 v86, vcc, s10, v0
	s_cselect_b32 s10, s8, 0xec0
	v_mov_b32_e32 v87, s11
	s_ashr_i32 s11, s10, 31
	s_lshl_b64 s[10:11], s[10:11], 1
	v_addc_co_u32_e32 v87, vcc, v1, v87, vcc
	s_cmpk_lt_u32 s26, 0x3c01
	v_add_co_u32_e32 v88, vcc, s10, v0
	s_cselect_b32 s10, s8, 0xf00
	v_mov_b32_e32 v89, s11
	s_ashr_i32 s11, s10, 31
	s_lshl_b64 s[10:11], s[10:11], 1
	v_addc_co_u32_e32 v89, vcc, v1, v89, vcc
	s_cmpk_lt_u32 s26, 0x3d01
	v_add_co_u32_e32 v90, vcc, s10, v0
	s_cselect_b32 s10, s8, 0xf40
	v_mov_b32_e32 v91, s11
	s_ashr_i32 s11, s10, 31
	s_lshl_b64 s[10:11], s[10:11], 1
	v_addc_co_u32_e32 v91, vcc, v1, v91, vcc
	s_cmpk_lt_u32 s26, 0x3e01
	v_add_co_u32_e32 v92, vcc, s10, v0
	s_cselect_b32 s10, s8, 0xf80
	v_mov_b32_e32 v93, s11
	s_ashr_i32 s11, s10, 31
	s_lshl_b64 s[10:11], s[10:11], 1
	s_cmpk_lt_u32 s26, 0x3f01
	s_cselect_b32 s8, s8, 0xfc0
	v_addc_co_u32_e32 v93, vcc, v1, v93, vcc
	s_ashr_i32 s9, s8, 31
	v_mov_b32_e32 v95, s11
	v_add_co_u32_e32 v94, vcc, s10, v0
	s_lshl_b64 s[8:9], s[8:9], 1
	v_addc_co_u32_e32 v95, vcc, v1, v95, vcc
	v_mov_b32_e32 v98, s9
	s_movk_i32 s9, 0x1000
	v_add_co_u32_e32 v96, vcc, s9, v0
	v_addc_co_u32_e32 v97, vcc, 0, v1, vcc
	v_add_co_u32_e32 v0, vcc, s8, v0
	v_addc_co_u32_e32 v1, vcc, v1, v98, vcc
	global_load_ushort v99, v[96:97], off
	global_load_ushort v100, v[4:5], off
	;; [unrolled: 1-line block ×15, first 2 shown]
                                        ; kill: killed $vgpr28 killed $vgpr29
                                        ; kill: killed $vgpr8 killed $vgpr9
                                        ; kill: killed $vgpr70 killed $vgpr71
                                        ; kill: killed $vgpr14 killed $vgpr15
                                        ; kill: killed $vgpr20 killed $vgpr21
                                        ; kill: killed $vgpr4 killed $vgpr5
                                        ; kill: killed $vgpr30 killed $vgpr31
                                        ; kill: killed $vgpr10 killed $vgpr11
                                        ; kill: killed $vgpr16 killed $vgpr17
                                        ; kill: killed $vgpr22 killed $vgpr23
                                        ; kill: killed $vgpr6 killed $vgpr7
                                        ; kill: killed $vgpr96 killed $vgpr97
                                        ; kill: killed $vgpr34 killed $vgpr35
                                        ; kill: killed $vgpr12 killed $vgpr13
                                        ; kill: killed $vgpr18 killed $vgpr19
	global_load_ushort v4, v[24:25], off
	global_load_ushort v5, v[26:27], off
	global_load_ushort v6, v[32:33], off
	global_load_ushort v7, v[36:37], off
	global_load_ushort v8, v[72:73], off
	global_load_ushort v9, v[82:83], off
	global_load_ushort v10, v[80:81], off
	global_load_ushort v11, v[78:79], off
	global_load_ushort v12, v[76:77], off
	global_load_ushort v13, v[74:75], off
	global_load_ushort v70, v[84:85], off
	global_load_ushort v71, v[94:95], off
	global_load_ushort v96, v[92:93], off
	global_load_ushort v97, v[90:91], off
	global_load_ushort v114, v[88:89], off
                                        ; kill: killed $vgpr88 killed $vgpr89
                                        ; kill: killed $vgpr72 killed $vgpr73
                                        ; kill: killed $vgpr94 killed $vgpr95
                                        ; kill: killed $vgpr78 killed $vgpr79
                                        ; kill: killed $vgpr84 killed $vgpr85
                                        ; kill: killed $vgpr32 killed $vgpr33
                                        ; kill: killed $vgpr90 killed $vgpr91
                                        ; kill: killed $vgpr74 killed $vgpr75
                                        ; kill: killed $vgpr80 killed $vgpr81
                                        ; kill: killed $vgpr24 killed $vgpr25
                                        ; kill: killed $vgpr36 killed $vgpr37
                                        ; kill: killed $vgpr92 killed $vgpr93
                                        ; kill: killed $vgpr76 killed $vgpr77
                                        ; kill: killed $vgpr82 killed $vgpr83
                                        ; kill: killed $vgpr26 killed $vgpr27
	global_load_ushort v36, v[86:87], off
	s_waitcnt vmcnt(30)
	v_lshlrev_b32_e32 v35, 16, v99
	global_load_ushort v0, v[0:1], off
	s_waitcnt vmcnt(30)
	v_lshlrev_b32_e32 v33, 16, v100
	s_waitcnt vmcnt(28)
	v_lshlrev_b32_e32 v31, 16, v102
	v_lshlrev_b32_e32 v34, 16, v101
	s_waitcnt vmcnt(26)
	v_lshlrev_b32_e32 v29, 16, v104
	;; [unrolled: 3-line block ×7, first 2 shown]
	s_waitcnt vmcnt(16)
	v_lshlrev_b32_e32 v20, 16, v4
	s_waitcnt vmcnt(15)
	v_lshlrev_b32_e32 v19, 16, v5
	;; [unrolled: 2-line block ×7, first 2 shown]
	v_lshlrev_b32_e32 v12, 16, v11
	v_lshlrev_b32_e32 v13, 16, v10
	;; [unrolled: 1-line block ×3, first 2 shown]
	s_waitcnt vmcnt(6)
	v_lshlrev_b32_e32 v11, 16, v70
	s_waitcnt vmcnt(2)
	v_lshlrev_b32_e32 v9, 16, v114
	v_lshlrev_b32_e32 v6, 16, v97
	;; [unrolled: 1-line block ×4, first 2 shown]
	s_waitcnt vmcnt(1)
	v_lshlrev_b32_e32 v8, 16, v36
	s_waitcnt vmcnt(0)
	v_lshlrev_b32_e32 v5, 16, v0
.LBB208_12:
	ds_read_b128 v[70:73], v3
	s_waitcnt vmcnt(15)
	v_lshlrev_b32_e32 v0, 16, v45
	ds_read_b128 v[74:77], v3 offset:16
	ds_read_b128 v[78:81], v3 offset:32
	;; [unrolled: 1-line block ×3, first 2 shown]
	s_waitcnt vmcnt(10)
	v_lshlrev_b32_e32 v1, 16, v41
	s_load_dwordx2 s[8:9], s[4:5], 0x38
	s_waitcnt lgkmcnt(0)
	v_fma_f32 v36, v70, v0, 0
	v_lshlrev_b32_e32 v0, 16, v44
	v_fmac_f32_e32 v36, v71, v0
	v_lshlrev_b32_e32 v0, 16, v43
	v_fmac_f32_e32 v36, v72, v0
	;; [unrolled: 2-line block ×3, first 2 shown]
	v_lshlrev_b32_e32 v0, 16, v40
	v_pk_mul_f32 v[0:1], v[74:75], v[0:1]
	v_add_f32_e32 v0, v36, v0
	v_add_f32_e32 v36, v0, v1
	s_waitcnt vmcnt(8)
	v_lshlrev_b32_e32 v1, 16, v39
	v_lshlrev_b32_e32 v0, 16, v38
	v_pk_mul_f32 v[0:1], v[76:77], v[0:1]
	v_add_f32_e32 v0, v36, v0
	v_add_f32_e32 v36, v0, v1
	s_waitcnt vmcnt(6)
	v_lshlrev_b32_e32 v1, 16, v53
	;; [unrolled: 6-line block ×5, first 2 shown]
	v_lshlrev_b32_e32 v0, 16, v46
	v_pk_mul_f32 v[0:1], v[84:85], v[0:1]
	v_add_f32_e32 v0, v36, v0
	s_andn2_b64 vcc, exec, s[0:1]
	v_add_f32_e32 v0, v0, v1
	s_cbranch_vccnz .LBB208_15
; %bb.13:
	ds_read_b128 v[36:39], v3 offset:64
	v_lshlrev_b32_e32 v1, 16, v61
	ds_read_b128 v[40:43], v3 offset:80
	ds_read_b128 v[44:47], v3 offset:96
	;; [unrolled: 1-line block ×3, first 2 shown]
	s_cmpk_lt_u32 s26, 0x2001
	s_waitcnt lgkmcnt(3)
	v_fmac_f32_e32 v0, v36, v1
	v_lshlrev_b32_e32 v1, 16, v60
	v_fmac_f32_e32 v0, v37, v1
	v_lshlrev_b32_e32 v1, 16, v59
	v_fmac_f32_e32 v0, v38, v1
	v_lshlrev_b32_e32 v1, 16, v58
	v_fmac_f32_e32 v0, v39, v1
	v_lshlrev_b32_e32 v1, 16, v57
	s_waitcnt lgkmcnt(2)
	v_fmac_f32_e32 v0, v40, v1
	v_lshlrev_b32_e32 v1, 16, v56
	v_fmac_f32_e32 v0, v41, v1
	v_lshlrev_b32_e32 v1, 16, v55
	v_fmac_f32_e32 v0, v42, v1
	v_lshlrev_b32_e32 v1, 16, v54
	v_fmac_f32_e32 v0, v43, v1
	v_lshlrev_b32_e32 v1, 16, v69
	s_waitcnt lgkmcnt(1)
	v_fmac_f32_e32 v0, v44, v1
	v_lshlrev_b32_e32 v1, 16, v68
	v_fmac_f32_e32 v0, v45, v1
	v_lshlrev_b32_e32 v1, 16, v67
	v_fmac_f32_e32 v0, v46, v1
	v_lshlrev_b32_e32 v1, 16, v66
	v_fmac_f32_e32 v0, v47, v1
	v_lshlrev_b32_e32 v1, 16, v65
	s_waitcnt lgkmcnt(0)
	v_fmac_f32_e32 v0, v48, v1
	v_lshlrev_b32_e32 v1, 16, v64
	v_fmac_f32_e32 v0, v49, v1
	v_lshlrev_b32_e32 v1, 16, v63
	;; [unrolled: 2-line block ×3, first 2 shown]
	v_fmac_f32_e32 v0, v51, v1
	s_cbranch_scc1 .LBB208_15
; %bb.14:
	v_mov_b32_e32 v52, 0
	ds_read_b128 v[36:39], v52 offset:128
	ds_read_b128 v[40:43], v52 offset:144
	;; [unrolled: 1-line block ×4, first 2 shown]
	s_waitcnt lgkmcnt(3)
	v_fmac_f32_e32 v0, v36, v35
	v_fmac_f32_e32 v0, v37, v33
	v_fmac_f32_e32 v0, v38, v34
	v_fmac_f32_e32 v0, v39, v31
	s_waitcnt lgkmcnt(2)
	v_fmac_f32_e32 v0, v40, v32
	v_fmac_f32_e32 v0, v41, v29
	v_fmac_f32_e32 v0, v42, v30
	v_fmac_f32_e32 v0, v43, v27
	;; [unrolled: 5-line block ×3, first 2 shown]
	s_waitcnt lgkmcnt(0)
	v_fmac_f32_e32 v0, v48, v24
	ds_read_b128 v[24:27], v52 offset:192
	v_fmac_f32_e32 v0, v49, v21
	v_fmac_f32_e32 v0, v50, v22
	;; [unrolled: 1-line block ×3, first 2 shown]
	ds_read_b128 v[20:23], v52 offset:208
	s_waitcnt lgkmcnt(1)
	v_fmac_f32_e32 v0, v24, v19
	v_fmac_f32_e32 v0, v25, v17
	;; [unrolled: 1-line block ×4, first 2 shown]
	s_waitcnt lgkmcnt(0)
	v_pk_mul_f32 v[14:15], v[20:21], v[14:15]
	v_add_f32_e32 v0, v0, v14
	v_add_f32_e32 v18, v0, v15
	ds_read_b128 v[14:17], v52 offset:224
	v_pk_mul_f32 v[0:1], v[22:23], v[12:13]
	v_add_f32_e32 v0, v18, v0
	ds_read_b128 v[18:21], v52 offset:240
	v_add_f32_e32 v12, v0, v1
	s_waitcnt lgkmcnt(1)
	v_pk_mul_f32 v[0:1], v[14:15], v[10:11]
	v_add_f32_e32 v0, v12, v0
	v_add_f32_e32 v10, v0, v1
	v_pk_mul_f32 v[0:1], v[16:17], v[8:9]
	v_add_f32_e32 v0, v10, v0
	v_add_f32_e32 v8, v0, v1
	s_waitcnt lgkmcnt(0)
	v_pk_mul_f32 v[0:1], v[18:19], v[6:7]
	v_add_f32_e32 v0, v8, v0
	v_add_f32_e32 v6, v0, v1
	v_pk_mul_f32 v[0:1], v[20:21], v[4:5]
	v_add_f32_e32 v0, v6, v0
	v_add_f32_e32 v0, v0, v1
.LBB208_15:
	ds_read_b32 v1, v3 offset:256
	s_cmp_eq_u64 s[8:9], 0
	s_cbranch_scc1 .LBB208_24
; %bb.16:
	s_load_dword s8, s[8:9], 0x0
	s_waitcnt lgkmcnt(0)
	v_div_scale_f32 v3, s[0:1], s8, s8, 1.0
	v_rcp_f32_e32 v4, v3
	v_div_scale_f32 v5, vcc, 1.0, s8, 1.0
	v_fma_f32 v6, -v3, v4, 1.0
	v_fmac_f32_e32 v4, v6, v4
	v_mul_f32_e32 v6, v5, v4
	v_fma_f32 v7, -v3, v6, v5
	v_fmac_f32_e32 v6, v7, v4
	v_fma_f32 v3, -v3, v6, v5
	v_div_fmas_f32 v3, v3, v4, v6
	v_div_fixup_f32 v3, v3, s8, 1.0
	s_andn2_b64 vcc, exec, s[18:19]
	s_cbranch_vccnz .LBB208_18
.LBB208_17:
	s_add_u32 s0, s16, s20
	s_addc_u32 s1, s17, s21
	s_load_dword s2, s[0:1], 0x0
	s_mov_b32 s3, 0
.LBB208_18:
	s_waitcnt lgkmcnt(0)
	v_add_f32_e32 v1, 0x358637bd, v1
	v_div_scale_f32 v4, s[0:1], v1, v1, 1.0
	v_rcp_f32_e32 v5, v4
	s_load_dwordx2 s[0:1], s[4:5], 0x0
	s_mov_b32 s4, 0x7f800000
	v_fma_f32 v6, -v4, v5, 1.0
	v_fmac_f32_e32 v5, v6, v5
	v_div_scale_f32 v6, vcc, 1.0, v1, 1.0
	v_mul_f32_e32 v7, v6, v5
	v_fma_f32 v8, -v4, v7, v6
	v_fmac_f32_e32 v7, v8, v5
	v_fma_f32 v4, -v4, v7, v6
	v_div_fmas_f32 v4, v4, v5, v7
	v_div_fixup_f32 v1, v4, v1, 1.0
	v_mul_f32_e32 v0, v0, v1
	v_mul_f32_e32 v1, v0, v3
	v_and_b32_e32 v0, 0x7f800000, v1
	v_cmp_ne_u32_e32 vcc, s4, v0
                                        ; implicit-def: $vgpr0
	s_and_saveexec_b64 s[4:5], vcc
	s_xor_b64 s[4:5], exec, s[4:5]
; %bb.19:
	v_bfe_u32 v0, v1, 16, 1
	s_movk_i32 s8, 0x7fff
	v_add3_u32 v0, v1, v0, s8
                                        ; implicit-def: $vgpr1
; %bb.20:
	s_andn2_saveexec_b64 s[4:5], s[4:5]
; %bb.21:
	v_mov_b32_e32 v0, 0
	v_or_b32_e32 v3, 0x10000, v1
	v_cmp_eq_u32_sdwa vcc, v1, v0 src0_sel:WORD_0 src1_sel:DWORD
	v_cndmask_b32_e32 v0, v3, v1, vcc
; %bb.22:
	s_or_b64 exec, exec, s[4:5]
	s_mul_i32 s3, s7, s3
	s_mul_hi_u32 s4, s7, s2
	s_add_i32 s3, s4, s3
	s_mul_i32 s2, s7, s2
	s_lshl_b64 s[2:3], s[2:3], 7
	s_waitcnt lgkmcnt(0)
	s_add_u32 s2, s0, s2
	s_mov_b32 s7, 0
	s_addc_u32 s3, s1, s3
	s_lshl_b64 s[0:1], s[6:7], 7
	s_add_u32 s0, s2, s0
	s_addc_u32 s1, s3, s1
	global_store_short_d16_hi v2, v0, s[0:1]
	s_endpgm
.LBB208_23:
	s_mov_b64 s[8:9], 0
	s_branch .LBB208_2
.LBB208_24:
	v_mov_b32_e32 v3, 1.0
	s_andn2_b64 vcc, exec, s[18:19]
	s_cbranch_vccz .LBB208_17
	s_branch .LBB208_18
	.section	.rodata,"a",@progbits
	.p2align	6, 0x0
	.amdhsa_kernel _Z35paged_attention_ll4mi_reduce_kernelI14__hip_bfloat16S0_Li64ELi64ELi256ELi1EEvPT0_PKfS4_PKT_PKiS9_iS4_
		.amdhsa_group_segment_fixed_size 260
		.amdhsa_private_segment_fixed_size 0
		.amdhsa_kernarg_size 320
		.amdhsa_user_sgpr_count 6
		.amdhsa_user_sgpr_private_segment_buffer 1
		.amdhsa_user_sgpr_dispatch_ptr 0
		.amdhsa_user_sgpr_queue_ptr 0
		.amdhsa_user_sgpr_kernarg_segment_ptr 1
		.amdhsa_user_sgpr_dispatch_id 0
		.amdhsa_user_sgpr_flat_scratch_init 0
		.amdhsa_user_sgpr_kernarg_preload_length 0
		.amdhsa_user_sgpr_kernarg_preload_offset 0
		.amdhsa_user_sgpr_private_segment_size 0
		.amdhsa_uses_dynamic_stack 0
		.amdhsa_system_sgpr_private_segment_wavefront_offset 0
		.amdhsa_system_sgpr_workgroup_id_x 1
		.amdhsa_system_sgpr_workgroup_id_y 1
		.amdhsa_system_sgpr_workgroup_id_z 0
		.amdhsa_system_sgpr_workgroup_info 0
		.amdhsa_system_vgpr_workitem_id 0
		.amdhsa_next_free_vgpr 115
		.amdhsa_next_free_sgpr 30
		.amdhsa_accum_offset 116
		.amdhsa_reserve_vcc 1
		.amdhsa_reserve_flat_scratch 0
		.amdhsa_float_round_mode_32 0
		.amdhsa_float_round_mode_16_64 0
		.amdhsa_float_denorm_mode_32 3
		.amdhsa_float_denorm_mode_16_64 3
		.amdhsa_dx10_clamp 1
		.amdhsa_ieee_mode 1
		.amdhsa_fp16_overflow 0
		.amdhsa_tg_split 0
		.amdhsa_exception_fp_ieee_invalid_op 0
		.amdhsa_exception_fp_denorm_src 0
		.amdhsa_exception_fp_ieee_div_zero 0
		.amdhsa_exception_fp_ieee_overflow 0
		.amdhsa_exception_fp_ieee_underflow 0
		.amdhsa_exception_fp_ieee_inexact 0
		.amdhsa_exception_int_div_zero 0
	.end_amdhsa_kernel
	.section	.text._Z35paged_attention_ll4mi_reduce_kernelI14__hip_bfloat16S0_Li64ELi64ELi256ELi1EEvPT0_PKfS4_PKT_PKiS9_iS4_,"axG",@progbits,_Z35paged_attention_ll4mi_reduce_kernelI14__hip_bfloat16S0_Li64ELi64ELi256ELi1EEvPT0_PKfS4_PKT_PKiS9_iS4_,comdat
.Lfunc_end208:
	.size	_Z35paged_attention_ll4mi_reduce_kernelI14__hip_bfloat16S0_Li64ELi64ELi256ELi1EEvPT0_PKfS4_PKT_PKiS9_iS4_, .Lfunc_end208-_Z35paged_attention_ll4mi_reduce_kernelI14__hip_bfloat16S0_Li64ELi64ELi256ELi1EEvPT0_PKfS4_PKT_PKiS9_iS4_
                                        ; -- End function
	.section	.AMDGPU.csdata,"",@progbits
; Kernel info:
; codeLenInByte = 5208
; NumSgprs: 34
; NumVgprs: 115
; NumAgprs: 0
; TotalNumVgprs: 115
; ScratchSize: 0
; MemoryBound: 0
; FloatMode: 240
; IeeeMode: 1
; LDSByteSize: 260 bytes/workgroup (compile time only)
; SGPRBlocks: 4
; VGPRBlocks: 14
; NumSGPRsForWavesPerEU: 34
; NumVGPRsForWavesPerEU: 115
; AccumOffset: 116
; Occupancy: 4
; WaveLimiterHint : 1
; COMPUTE_PGM_RSRC2:SCRATCH_EN: 0
; COMPUTE_PGM_RSRC2:USER_SGPR: 6
; COMPUTE_PGM_RSRC2:TRAP_HANDLER: 0
; COMPUTE_PGM_RSRC2:TGID_X_EN: 1
; COMPUTE_PGM_RSRC2:TGID_Y_EN: 1
; COMPUTE_PGM_RSRC2:TGID_Z_EN: 0
; COMPUTE_PGM_RSRC2:TIDIG_COMP_CNT: 0
; COMPUTE_PGM_RSRC3_GFX90A:ACCUM_OFFSET: 28
; COMPUTE_PGM_RSRC3_GFX90A:TG_SPLIT: 0
	.section	.text._Z35paged_attention_ll4mi_reduce_kernelI14__hip_bfloat16S0_Li64ELi64ELi256ELi2EEvPT0_PKfS4_PKT_PKiS9_iS4_,"axG",@progbits,_Z35paged_attention_ll4mi_reduce_kernelI14__hip_bfloat16S0_Li64ELi64ELi256ELi2EEvPT0_PKfS4_PKT_PKiS9_iS4_,comdat
	.protected	_Z35paged_attention_ll4mi_reduce_kernelI14__hip_bfloat16S0_Li64ELi64ELi256ELi2EEvPT0_PKfS4_PKT_PKiS9_iS4_ ; -- Begin function _Z35paged_attention_ll4mi_reduce_kernelI14__hip_bfloat16S0_Li64ELi64ELi256ELi2EEvPT0_PKfS4_PKT_PKiS9_iS4_
	.globl	_Z35paged_attention_ll4mi_reduce_kernelI14__hip_bfloat16S0_Li64ELi64ELi256ELi2EEvPT0_PKfS4_PKT_PKiS9_iS4_
	.p2align	8
	.type	_Z35paged_attention_ll4mi_reduce_kernelI14__hip_bfloat16S0_Li64ELi64ELi256ELi2EEvPT0_PKfS4_PKT_PKiS9_iS4_,@function
_Z35paged_attention_ll4mi_reduce_kernelI14__hip_bfloat16S0_Li64ELi64ELi256ELi2EEvPT0_PKfS4_PKT_PKiS9_iS4_: ; @_Z35paged_attention_ll4mi_reduce_kernelI14__hip_bfloat16S0_Li64ELi64ELi256ELi2EEvPT0_PKfS4_PKT_PKiS9_iS4_
; %bb.0:
	s_load_dwordx2 s[18:19], s[4:5], 0x28
	s_mov_b32 s16, s7
	s_mov_b64 s[0:1], 0
	s_waitcnt lgkmcnt(0)
	s_cmp_lg_u64 s[18:19], 0
	s_cselect_b64 s[20:21], -1, 0
	s_and_b64 vcc, exec, s[20:21]
	s_cbranch_vccz .LBB209_25
; %bb.1:
	s_add_i32 s2, s16, 1
	s_mov_b32 s3, 0
	s_lshl_b64 s[8:9], s[2:3], 2
	s_add_u32 s8, s18, s8
	s_mov_b32 s17, s3
	s_addc_u32 s9, s19, s9
	s_lshl_b64 s[2:3], s[16:17], 2
	s_add_u32 s2, s18, s2
	s_addc_u32 s3, s19, s3
	s_load_dword s7, s[8:9], 0x0
	s_load_dword s10, s[2:3], 0x0
	s_waitcnt lgkmcnt(0)
	s_sub_i32 s2, s7, s10
	s_cmp_eq_u32 s2, 1
	s_cselect_b64 s[2:3], -1, 0
	s_andn2_b64 vcc, exec, s[0:1]
	s_cbranch_vccnz .LBB209_3
.LBB209_2:
	s_mov_b32 s17, 0
	s_mov_b64 s[2:3], -1
.LBB209_3:
	s_andn2_b64 vcc, exec, s[2:3]
	s_cbranch_vccz .LBB209_5
; %bb.4:
	s_endpgm
.LBB209_5:
	s_load_dwordx4 s[8:11], s[4:5], 0x18
	s_load_dword s12, s[4:5], 0x30
	s_lshl_b64 s[22:23], s[16:17], 2
	v_cmp_lt_u32_e32 vcc, 63, v0
	s_waitcnt lgkmcnt(0)
	s_add_u32 s0, s10, s22
	s_addc_u32 s1, s11, s23
	s_load_dword s28, s[0:1], 0x0
	s_load_dword s7, s[4:5], 0x40
	s_mul_i32 s10, s6, s12
	s_mul_i32 s2, s16, s12
	s_waitcnt lgkmcnt(0)
	s_add_i32 s3, s28, 0xff
	s_ashr_i32 s0, s3, 31
	s_lshr_b32 s0, s0, 24
	s_add_i32 s3, s3, s0
	s_and_saveexec_b64 s[0:1], vcc
	s_xor_b64 s[0:1], exec, s[0:1]
	s_or_saveexec_b64 s[24:25], s[0:1]
	s_ashr_i32 s29, s3, 8
	v_mov_b32_e32 v1, s10
	s_mul_i32 s26, s2, s7
	s_xor_b64 exec, exec, s[24:25]
	s_cbranch_execz .LBB209_9
; %bb.6:
	s_load_dwordx4 s[12:15], s[4:5], 0x8
	s_mov_b32 s27, 0
	s_add_i32 s0, s29, -1
	s_lshl_b64 s[30:31], s[26:27], 2
	s_mov_b32 s11, s27
	v_mov_b32_e32 v1, s0
	v_cmp_gt_u32_e32 vcc, s29, v0
	v_or_b32_e32 v3, 64, v0
	s_waitcnt lgkmcnt(0)
	s_add_u32 s2, s14, s30
	v_cndmask_b32_e32 v2, v1, v0, vcc
	v_cmp_gt_u32_e64 s[0:1], s29, v3
	s_addc_u32 s3, s15, s31
	s_lshl_b64 s[14:15], s[10:11], 2
	v_cndmask_b32_e64 v4, v1, v3, s[0:1]
	s_add_u32 s11, s2, s14
	v_ashrrev_i32_e32 v3, 31, v2
	s_addc_u32 s27, s3, s15
	v_lshlrev_b64 v[2:3], 2, v[2:3]
	v_mov_b32_e32 v1, s27
	v_add_co_u32_e64 v6, s[2:3], s11, v2
	v_ashrrev_i32_e32 v5, 31, v4
	v_addc_co_u32_e64 v7, s[2:3], v1, v3, s[2:3]
	v_lshlrev_b64 v[4:5], 2, v[4:5]
	v_add_co_u32_e64 v8, s[2:3], s11, v4
	v_addc_co_u32_e64 v9, s[2:3], v1, v5, s[2:3]
	global_load_dword v1, v[8:9], off
	global_load_dword v10, v[6:7], off
	v_mbcnt_lo_u32_b32 v6, -1, 0
	v_mbcnt_hi_u32_b32 v6, -1, v6
	v_and_b32_e32 v7, 64, v6
	v_xor_b32_e32 v8, 32, v6
	v_add_u32_e32 v7, 64, v7
	v_cmp_lt_i32_e64 s[2:3], v8, v7
	v_cndmask_b32_e64 v8, v6, v8, s[2:3]
	s_add_u32 s2, s12, s30
	s_addc_u32 s3, s13, s31
	s_add_u32 s11, s2, s14
	s_addc_u32 s2, s3, s15
	v_mov_b32_e32 v9, s2
	v_mov_b32_e32 v11, s2
	v_add_co_u32_e64 v2, s[2:3], s11, v2
	v_addc_co_u32_e64 v3, s[2:3], v9, v3, s[2:3]
	v_add_co_u32_e64 v4, s[2:3], s11, v4
	v_addc_co_u32_e64 v5, s[2:3], v11, v5, s[2:3]
	global_load_dword v9, v[2:3], off
	global_load_dword v11, v[4:5], off
	v_lshlrev_b32_e32 v2, 2, v8
	v_xor_b32_e32 v5, 16, v6
	v_cmp_lt_i32_e64 s[2:3], v5, v7
	v_cndmask_b32_e64 v5, v6, v5, s[2:3]
	v_lshlrev_b32_e32 v5, 2, v5
	v_xor_b32_e32 v8, 8, v6
	v_cmp_lt_i32_e64 s[2:3], v8, v7
	v_cndmask_b32_e64 v8, v6, v8, s[2:3]
	;; [unrolled: 4-line block ×5, first 2 shown]
	v_lshlrev_b32_e32 v6, 2, v6
	s_mov_b32 s2, 0x3fb8aa3b
	s_mov_b32 s11, 0xc2ce8ed0
	;; [unrolled: 1-line block ×3, first 2 shown]
	s_waitcnt vmcnt(3)
	v_max_f32_e32 v3, v1, v1
	s_waitcnt vmcnt(2)
	v_max_f32_e32 v4, v10, v10
	v_max_f32_e32 v3, v4, v3
	ds_bpermute_b32 v4, v2, v3
	s_waitcnt lgkmcnt(0)
	v_max_f32_e32 v4, v4, v4
	v_max_f32_e32 v3, v3, v4
	ds_bpermute_b32 v4, v5, v3
	s_waitcnt lgkmcnt(0)
	;; [unrolled: 4-line block ×6, first 2 shown]
	v_max_f32_e32 v4, v4, v4
	v_max_f32_e32 v3, v3, v4
	v_sub_f32_e32 v4, v10, v3
	v_sub_f32_e32 v1, v1, v3
	v_mul_f32_e32 v3, 0x3fb8aa3b, v4
	v_mul_f32_e32 v7, 0x3fb8aa3b, v1
	v_fma_f32 v10, v4, s2, -v3
	v_rndne_f32_e32 v14, v3
	v_fma_f32 v15, v1, s2, -v7
	v_rndne_f32_e32 v16, v7
	v_fmac_f32_e32 v10, 0x32a5705f, v4
	v_sub_f32_e32 v3, v3, v14
	v_fmac_f32_e32 v15, 0x32a5705f, v1
	v_sub_f32_e32 v7, v7, v16
	v_add_f32_e32 v3, v3, v10
	v_cvt_i32_f32_e32 v14, v14
	v_add_f32_e32 v7, v7, v15
	v_exp_f32_e32 v3, v3
	v_cvt_i32_f32_e32 v16, v16
	v_exp_f32_e32 v7, v7
	v_cmp_ngt_f32_e64 s[2:3], s11, v4
	v_ldexp_f32 v3, v3, v14
	v_cndmask_b32_e64 v3, 0, v3, s[2:3]
	v_ldexp_f32 v7, v7, v16
	v_cmp_ngt_f32_e64 s[2:3], s11, v1
	v_mov_b32_e32 v10, 0x7f800000
	v_cndmask_b32_e64 v7, 0, v7, s[2:3]
	v_cmp_nlt_f32_e64 s[2:3], s12, v4
	v_cndmask_b32_e64 v3, v10, v3, s[2:3]
	v_cmp_nlt_f32_e64 s[2:3], s12, v1
	v_cndmask_b32_e64 v1, v10, v7, s[2:3]
	v_cndmask_b32_e32 v3, 0, v3, vcc
	v_cndmask_b32_e64 v1, 0, v1, s[0:1]
	v_lshlrev_b32_e32 v15, 2, v0
	s_waitcnt vmcnt(1)
	v_mul_f32_e32 v3, v9, v3
	s_waitcnt vmcnt(0)
	v_mul_f32_e32 v4, v11, v1
	ds_write2st64_b32 v15, v3, v4 offset1:1
	v_fmac_f32_e32 v3, v11, v1
	ds_bpermute_b32 v1, v2, v3
	v_cmp_eq_u32_e32 vcc, 0, v0
	s_waitcnt lgkmcnt(0)
	v_add_f32_e32 v1, v3, v1
	ds_bpermute_b32 v2, v5, v1
	s_waitcnt lgkmcnt(0)
	v_add_f32_e32 v1, v1, v2
	ds_bpermute_b32 v2, v8, v1
	;; [unrolled: 3-line block ×5, first 2 shown]
	s_and_saveexec_b64 s[0:1], vcc
	s_cbranch_execz .LBB209_8
; %bb.7:
	s_waitcnt lgkmcnt(0)
	v_add_f32_e32 v1, v1, v2
	v_mov_b32_e32 v2, 0
	ds_write_b32 v2, v1 offset:512
.LBB209_8:
	s_or_b64 exec, exec, s[0:1]
	v_mov_b32_e32 v1, s10
.LBB209_9:
	s_or_b64 exec, exec, s[24:25]
	s_lshl_b32 s0, s26, 6
	s_mov_b32 s1, 0
	s_waitcnt lgkmcnt(0)
	v_lshlrev_b32_e32 v2, 6, v1
	v_mov_b32_e32 v3, 0
	s_lshl_b64 s[0:1], s[0:1], 1
	s_add_u32 s0, s8, s0
	v_lshlrev_b64 v[4:5], 1, v[2:3]
	s_addc_u32 s1, s9, s1
	v_add_co_u32_e32 v2, vcc, s0, v4
	s_lshl_b32 s0, s29, 6
	s_sub_i32 s8, s0, 64
	s_cmp_lt_i32 s28, 1
	v_mov_b32_e32 v1, s1
	s_cselect_b32 s0, s8, 0
	v_addc_co_u32_e32 v1, vcc, v1, v5, vcc
	v_lshlrev_b32_e32 v118, 1, v0
	s_ashr_i32 s1, s0, 31
	v_add_co_u32_e32 v0, vcc, v2, v118
	s_lshl_b64 s[0:1], s[0:1], 1
	v_addc_co_u32_e32 v1, vcc, 0, v1, vcc
	s_cmpk_lt_i32 s28, 0x101
	v_add_co_u32_e32 v4, vcc, s0, v0
	s_cselect_b32 s0, s8, 64
	v_mov_b32_e32 v2, s1
	s_ashr_i32 s1, s0, 31
	s_lshl_b64 s[0:1], s[0:1], 1
	v_addc_co_u32_e32 v5, vcc, v1, v2, vcc
	s_cmpk_lt_i32 s28, 0x201
	v_add_co_u32_e32 v6, vcc, s0, v0
	s_cselect_b32 s0, s8, 0x80
	v_mov_b32_e32 v2, s1
	s_ashr_i32 s1, s0, 31
	;; [unrolled: 7-line block ×8, first 2 shown]
	s_lshl_b64 s[0:1], s[0:1], 1
	v_addc_co_u32_e32 v19, vcc, v1, v2, vcc
	s_cmpk_lt_i32 s28, 0x901
	global_load_ushort v42, v[4:5], off
	global_load_ushort v41, v[6:7], off
	global_load_ushort v40, v[8:9], off
	global_load_ushort v39, v[10:11], off
	global_load_ushort v37, v[12:13], off
	global_load_ushort v38, v[14:15], off
	global_load_ushort v2, v[16:17], off
	global_load_ushort v36, v[18:19], off
	v_add_co_u32_e32 v4, vcc, s0, v0
	s_cselect_b32 s0, s8, 0x240
	v_mov_b32_e32 v5, s1
	s_ashr_i32 s1, s0, 31
	s_lshl_b64 s[0:1], s[0:1], 1
	v_addc_co_u32_e32 v5, vcc, v1, v5, vcc
	s_cmpk_lt_i32 s28, 0xa01
	v_add_co_u32_e32 v6, vcc, s0, v0
	s_cselect_b32 s0, s8, 0x280
	v_mov_b32_e32 v7, s1
	s_ashr_i32 s1, s0, 31
	s_lshl_b64 s[0:1], s[0:1], 1
	v_addc_co_u32_e32 v7, vcc, v1, v7, vcc
	s_cmpk_lt_i32 s28, 0xb01
	v_add_co_u32_e32 v8, vcc, s0, v0
	s_cselect_b32 s0, s8, 0x2c0
	v_mov_b32_e32 v9, s1
	s_ashr_i32 s1, s0, 31
	s_lshl_b64 s[0:1], s[0:1], 1
	v_addc_co_u32_e32 v9, vcc, v1, v9, vcc
	s_cmpk_lt_i32 s28, 0xc01
	v_add_co_u32_e32 v10, vcc, s0, v0
	s_cselect_b32 s0, s8, 0x300
	v_mov_b32_e32 v11, s1
	s_ashr_i32 s1, s0, 31
	s_lshl_b64 s[0:1], s[0:1], 1
	v_addc_co_u32_e32 v11, vcc, v1, v11, vcc
	s_cmpk_lt_i32 s28, 0xd01
	v_add_co_u32_e32 v12, vcc, s0, v0
	s_cselect_b32 s0, s8, 0x340
	v_mov_b32_e32 v13, s1
	s_ashr_i32 s1, s0, 31
	s_lshl_b64 s[0:1], s[0:1], 1
	v_addc_co_u32_e32 v13, vcc, v1, v13, vcc
	s_cmpk_lt_i32 s28, 0xe01
	v_add_co_u32_e32 v14, vcc, s0, v0
	s_cselect_b32 s0, s8, 0x380
	v_mov_b32_e32 v15, s1
	s_ashr_i32 s1, s0, 31
	s_lshl_b64 s[0:1], s[0:1], 1
	v_addc_co_u32_e32 v15, vcc, v1, v15, vcc
	s_cmpk_lt_i32 s28, 0xf01
	v_add_co_u32_e32 v16, vcc, s0, v0
	s_cselect_b32 s0, s8, 0x3c0
	v_mov_b32_e32 v17, s1
	s_ashr_i32 s1, s0, 31
	v_addc_co_u32_e32 v17, vcc, v1, v17, vcc
	s_lshl_b64 s[0:1], s[0:1], 1
	v_mov_b32_e32 v19, s1
	v_add_co_u32_e32 v18, vcc, s0, v0
	v_addc_co_u32_e32 v19, vcc, v1, v19, vcc
	global_load_ushort v49, v[4:5], off
	global_load_ushort v50, v[6:7], off
	;; [unrolled: 1-line block ×8, first 2 shown]
	s_cmpk_gt_i32 s28, 0x1000
	s_cselect_b64 s[0:1], -1, 0
	s_cmpk_lt_i32 s28, 0x1001
	v_mov_b32_e32 v59, 0
	v_mov_b32_e32 v60, 0
	;; [unrolled: 1-line block ×48, first 2 shown]
	s_waitcnt lgkmcnt(0)
	; wave barrier
	s_cbranch_scc1 .LBB209_12
; %bb.10:
	s_cmpk_lt_u32 s28, 0x1101
	s_cselect_b32 s2, s8, 0x440
	s_ashr_i32 s3, s2, 31
	s_lshl_b64 s[2:3], s[2:3], 1
	s_cmpk_lt_u32 s28, 0x1201
	v_add_co_u32_e32 v4, vcc, s2, v0
	s_cselect_b32 s2, s8, 0x480
	v_mov_b32_e32 v5, s3
	s_ashr_i32 s3, s2, 31
	s_lshl_b64 s[2:3], s[2:3], 1
	v_addc_co_u32_e32 v5, vcc, v1, v5, vcc
	s_cmpk_lt_u32 s28, 0x1301
	v_add_co_u32_e32 v6, vcc, s2, v0
	s_cselect_b32 s2, s8, 0x4c0
	v_mov_b32_e32 v7, s3
	s_ashr_i32 s3, s2, 31
	s_lshl_b64 s[2:3], s[2:3], 1
	v_addc_co_u32_e32 v7, vcc, v1, v7, vcc
	;; [unrolled: 7-line block ×7, first 2 shown]
	s_cmpk_lt_u32 s28, 0x1901
	global_load_ushort v58, v[0:1], off offset:2048
	global_load_ushort v57, v[4:5], off
	global_load_ushort v56, v[6:7], off
	;; [unrolled: 1-line block ×7, first 2 shown]
	v_add_co_u32_e32 v4, vcc, s2, v0
	s_cselect_b32 s2, s8, 0x640
	v_mov_b32_e32 v5, s3
	s_ashr_i32 s3, s2, 31
	s_lshl_b64 s[2:3], s[2:3], 1
	v_addc_co_u32_e32 v5, vcc, v1, v5, vcc
	s_cmpk_lt_u32 s28, 0x1a01
	v_add_co_u32_e32 v6, vcc, s2, v0
	s_cselect_b32 s2, s8, 0x680
	v_mov_b32_e32 v7, s3
	s_ashr_i32 s3, s2, 31
	s_lshl_b64 s[2:3], s[2:3], 1
	v_addc_co_u32_e32 v7, vcc, v1, v7, vcc
	s_cmpk_lt_u32 s28, 0x1b01
	;; [unrolled: 7-line block ×6, first 2 shown]
	v_add_co_u32_e32 v16, vcc, s2, v0
	s_cselect_b32 s2, s8, 0x7c0
	v_mov_b32_e32 v17, s3
	s_ashr_i32 s3, s2, 31
	v_addc_co_u32_e32 v17, vcc, v1, v17, vcc
	s_lshl_b64 s[2:3], s[2:3], 1
	v_mov_b32_e32 v19, s3
	v_add_co_u32_e32 v18, vcc, s2, v0
	v_addc_co_u32_e32 v19, vcc, v1, v19, vcc
	global_load_ushort v66, v[4:5], off
	global_load_ushort v65, v[6:7], off
	;; [unrolled: 1-line block ×8, first 2 shown]
	s_cmpk_lt_u32 s28, 0x2001
	v_mov_b32_e32 v35, 0
	v_mov_b32_e32 v33, 0
	;; [unrolled: 1-line block ×32, first 2 shown]
	s_cbranch_scc1 .LBB209_12
; %bb.11:
	s_cmpk_lt_u32 s28, 0x2101
	s_cselect_b32 s2, s8, 0x840
	s_ashr_i32 s3, s2, 31
	s_lshl_b64 s[2:3], s[2:3], 1
	s_cmpk_lt_u32 s28, 0x2201
	v_add_co_u32_e32 v4, vcc, s2, v0
	s_cselect_b32 s2, s8, 0x880
	v_mov_b32_e32 v5, s3
	s_ashr_i32 s3, s2, 31
	s_lshl_b64 s[2:3], s[2:3], 1
	v_addc_co_u32_e32 v5, vcc, v1, v5, vcc
	s_cmpk_lt_u32 s28, 0x2301
	v_add_co_u32_e32 v6, vcc, s2, v0
	s_cselect_b32 s2, s8, 0x8c0
	v_mov_b32_e32 v7, s3
	s_ashr_i32 s3, s2, 31
	s_lshl_b64 s[2:3], s[2:3], 1
	v_addc_co_u32_e32 v7, vcc, v1, v7, vcc
	;; [unrolled: 7-line block ×30, first 2 shown]
	v_mov_b32_e32 v67, s3
	s_movk_i32 s3, 0x1000
	v_add_co_u32_e32 v96, vcc, s3, v0
	v_addc_co_u32_e32 v97, vcc, 0, v1, vcc
	global_load_ushort v98, v[96:97], off
	global_load_ushort v99, v[4:5], off
	;; [unrolled: 1-line block ×15, first 2 shown]
                                        ; kill: killed $vgpr96 killed $vgpr97
                                        ; kill: killed $vgpr68 killed $vgpr69
                                        ; kill: killed $vgpr12 killed $vgpr13
                                        ; kill: killed $vgpr18 killed $vgpr19
                                        ; kill: killed $vgpr26 killed $vgpr27
                                        ; kill: killed $vgpr8 killed $vgpr9
                                        ; kill: killed $vgpr70 killed $vgpr71
                                        ; kill: killed $vgpr14 killed $vgpr15
                                        ; kill: killed $vgpr20 killed $vgpr21
                                        ; kill: killed $vgpr4 killed $vgpr5
                                        ; kill: killed $vgpr30 killed $vgpr31
                                        ; kill: killed $vgpr10 killed $vgpr11
                                        ; kill: killed $vgpr16 killed $vgpr17
                                        ; kill: killed $vgpr22 killed $vgpr23
                                        ; kill: killed $vgpr6 killed $vgpr7
	global_load_ushort v6, v[24:25], off
	global_load_ushort v7, v[28:29], off
	;; [unrolled: 1-line block ×15, first 2 shown]
                                        ; kill: killed $vgpr92 killed $vgpr93
                                        ; kill: killed $vgpr76 killed $vgpr77
                                        ; kill: killed $vgpr82 killed $vgpr83
                                        ; kill: killed $vgpr28 killed $vgpr29
                                        ; kill: killed $vgpr88 killed $vgpr89
                                        ; kill: killed $vgpr72 killed $vgpr73
                                        ; kill: killed $vgpr94 killed $vgpr95
                                        ; kill: killed $vgpr78 killed $vgpr79
                                        ; kill: killed $vgpr84 killed $vgpr85
                                        ; kill: killed $vgpr32 killed $vgpr33
                                        ; kill: killed $vgpr90 killed $vgpr91
                                        ; kill: killed $vgpr74 killed $vgpr75
                                        ; kill: killed $vgpr80 killed $vgpr81
                                        ; kill: killed $vgpr24 killed $vgpr25
                                        ; kill: killed $vgpr34 killed $vgpr35
	global_load_ushort v72, v[86:87], off
	v_add_co_u32_e32 v4, vcc, s2, v0
	v_addc_co_u32_e32 v5, vcc, v1, v67, vcc
	global_load_ushort v5, v[4:5], off
	s_waitcnt vmcnt(31)
	v_lshlrev_b32_e32 v35, 16, v98
	s_waitcnt vmcnt(30)
	v_lshlrev_b32_e32 v33, 16, v99
	;; [unrolled: 2-line block ×32, first 2 shown]
.LBB209_12:
	ds_read_b128 v[68:71], v3
	s_waitcnt vmcnt(15)
	v_lshlrev_b32_e32 v42, 16, v42
	s_waitcnt vmcnt(14)
	v_lshlrev_b32_e32 v41, 16, v41
	ds_read_b128 v[72:75], v3 offset:16
	ds_read_b128 v[76:79], v3 offset:32
	;; [unrolled: 1-line block ×3, first 2 shown]
	s_waitcnt vmcnt(13)
	v_lshlrev_b32_e32 v40, 16, v40
	s_waitcnt lgkmcnt(3)
	v_fma_f32 v42, v68, v42, 0
	v_fmac_f32_e32 v42, v69, v41
	v_fmac_f32_e32 v42, v70, v40
	s_waitcnt vmcnt(12)
	v_lshlrev_b32_e32 v39, 16, v39
	v_fmac_f32_e32 v42, v71, v39
	s_waitcnt vmcnt(10)
	v_lshlrev_b32_e32 v39, 16, v38
	v_lshlrev_b32_e32 v38, 16, v37
	s_waitcnt lgkmcnt(2)
	v_pk_mul_f32 v[38:39], v[72:73], v[38:39]
	v_add_f32_e32 v37, v42, v38
	v_add_f32_e32 v38, v37, v39
	s_waitcnt vmcnt(8)
	v_lshlrev_b32_e32 v37, 16, v36
	v_lshlrev_b32_e32 v36, 16, v2
	v_pk_mul_f32 v[36:37], v[74:75], v[36:37]
	v_add_f32_e32 v2, v38, v36
	v_add_f32_e32 v2, v2, v37
	s_waitcnt vmcnt(6)
	v_lshlrev_b32_e32 v37, 16, v50
	v_lshlrev_b32_e32 v36, 16, v49
	s_waitcnt lgkmcnt(1)
	v_pk_mul_f32 v[36:37], v[76:77], v[36:37]
	v_add_f32_e32 v2, v2, v36
	v_add_f32_e32 v2, v2, v37
	s_waitcnt vmcnt(4)
	v_lshlrev_b32_e32 v37, 16, v48
	v_lshlrev_b32_e32 v36, 16, v47
	v_pk_mul_f32 v[36:37], v[78:79], v[36:37]
	v_add_f32_e32 v2, v2, v36
	v_add_f32_e32 v2, v2, v37
	s_waitcnt vmcnt(2)
	v_lshlrev_b32_e32 v37, 16, v46
	v_lshlrev_b32_e32 v36, 16, v45
	s_waitcnt lgkmcnt(0)
	v_pk_mul_f32 v[36:37], v[80:81], v[36:37]
	v_add_f32_e32 v2, v2, v36
	v_add_f32_e32 v2, v2, v37
	s_waitcnt vmcnt(0)
	v_lshlrev_b32_e32 v37, 16, v44
	v_lshlrev_b32_e32 v36, 16, v43
	v_pk_mul_f32 v[36:37], v[82:83], v[36:37]
	v_add_f32_e32 v2, v2, v36
	s_andn2_b64 vcc, exec, s[0:1]
	v_add_f32_e32 v119, v2, v37
	s_cbranch_vccnz .LBB209_15
; %bb.13:
	ds_read_b128 v[36:39], v3 offset:64
	v_lshlrev_b32_e32 v2, 16, v58
	ds_read_b128 v[40:43], v3 offset:80
	ds_read_b128 v[44:47], v3 offset:96
	;; [unrolled: 1-line block ×3, first 2 shown]
	s_cmpk_lt_u32 s28, 0x2001
	s_waitcnt lgkmcnt(3)
	v_fmac_f32_e32 v119, v36, v2
	v_lshlrev_b32_e32 v2, 16, v57
	v_fmac_f32_e32 v119, v37, v2
	v_lshlrev_b32_e32 v2, 16, v56
	v_fmac_f32_e32 v119, v38, v2
	v_lshlrev_b32_e32 v2, 16, v55
	v_fmac_f32_e32 v119, v39, v2
	v_lshlrev_b32_e32 v2, 16, v54
	s_waitcnt lgkmcnt(2)
	v_fmac_f32_e32 v119, v40, v2
	v_lshlrev_b32_e32 v2, 16, v53
	v_fmac_f32_e32 v119, v41, v2
	v_lshlrev_b32_e32 v2, 16, v52
	v_fmac_f32_e32 v119, v42, v2
	v_lshlrev_b32_e32 v2, 16, v51
	v_fmac_f32_e32 v119, v43, v2
	v_lshlrev_b32_e32 v2, 16, v66
	;; [unrolled: 9-line block ×3, first 2 shown]
	s_waitcnt lgkmcnt(0)
	v_fmac_f32_e32 v119, v68, v2
	v_lshlrev_b32_e32 v2, 16, v61
	v_fmac_f32_e32 v119, v69, v2
	v_lshlrev_b32_e32 v2, 16, v60
	;; [unrolled: 2-line block ×3, first 2 shown]
	v_fmac_f32_e32 v119, v71, v2
	s_cbranch_scc1 .LBB209_15
; %bb.14:
	v_mov_b32_e32 v52, 0
	ds_read_b128 v[36:39], v52 offset:128
	ds_read_b128 v[40:43], v52 offset:144
	;; [unrolled: 1-line block ×4, first 2 shown]
	s_waitcnt lgkmcnt(3)
	v_fmac_f32_e32 v119, v36, v35
	v_fmac_f32_e32 v119, v37, v33
	v_fmac_f32_e32 v119, v38, v34
	v_fmac_f32_e32 v119, v39, v31
	s_waitcnt lgkmcnt(2)
	v_fmac_f32_e32 v119, v40, v32
	v_fmac_f32_e32 v119, v41, v29
	v_fmac_f32_e32 v119, v42, v30
	v_fmac_f32_e32 v119, v43, v27
	;; [unrolled: 5-line block ×3, first 2 shown]
	s_waitcnt lgkmcnt(0)
	v_fmac_f32_e32 v119, v48, v24
	ds_read_b128 v[24:27], v52 offset:192
	v_fmac_f32_e32 v119, v49, v21
	v_fmac_f32_e32 v119, v50, v22
	;; [unrolled: 1-line block ×3, first 2 shown]
	ds_read_b128 v[20:23], v52 offset:208
	s_waitcnt lgkmcnt(1)
	v_fmac_f32_e32 v119, v24, v19
	v_fmac_f32_e32 v119, v25, v17
	;; [unrolled: 1-line block ×4, first 2 shown]
	s_waitcnt lgkmcnt(0)
	v_pk_mul_f32 v[2:3], v[20:21], v[14:15]
	ds_read_b128 v[14:17], v52 offset:224
	v_add_f32_e32 v2, v119, v2
	v_add_f32_e32 v18, v2, v3
	v_pk_mul_f32 v[2:3], v[22:23], v[12:13]
	v_add_f32_e32 v2, v18, v2
	ds_read_b128 v[18:21], v52 offset:240
	v_add_f32_e32 v12, v2, v3
	s_waitcnt lgkmcnt(1)
	v_pk_mul_f32 v[2:3], v[14:15], v[10:11]
	v_add_f32_e32 v2, v12, v2
	v_add_f32_e32 v10, v2, v3
	v_pk_mul_f32 v[2:3], v[16:17], v[8:9]
	v_add_f32_e32 v2, v10, v2
	v_add_f32_e32 v8, v2, v3
	s_waitcnt lgkmcnt(0)
	v_pk_mul_f32 v[2:3], v[18:19], v[6:7]
	v_add_f32_e32 v2, v8, v2
	v_add_f32_e32 v6, v2, v3
	v_pk_mul_f32 v[2:3], v[20:21], v[4:5]
	v_add_f32_e32 v2, v6, v2
	v_add_f32_e32 v119, v2, v3
.LBB209_15:
	s_load_dwordx2 s[0:1], s[4:5], 0x38
	s_cmpk_lt_i32 s28, 0x4001
	s_cbranch_scc1 .LBB209_17
; %bb.16:
	s_cmpk_lt_u32 s28, 0x4101
	s_cselect_b32 s2, s8, 0x1040
	s_ashr_i32 s3, s2, 31
	s_lshl_b64 s[2:3], s[2:3], 1
	s_cmpk_lt_u32 s28, 0x4201
	v_add_co_u32_e32 v30, vcc, s2, v0
	s_cselect_b32 s2, s8, 0x1080
	v_mov_b32_e32 v2, s3
	s_ashr_i32 s3, s2, 31
	s_lshl_b64 s[2:3], s[2:3], 1
	v_addc_co_u32_e32 v31, vcc, v1, v2, vcc
	s_cmpk_lt_u32 s28, 0x4301
	v_add_co_u32_e32 v32, vcc, s2, v0
	s_cselect_b32 s2, s8, 0x10c0
	v_mov_b32_e32 v2, s3
	s_ashr_i32 s3, s2, 31
	s_lshl_b64 s[2:3], s[2:3], 1
	v_addc_co_u32_e32 v33, vcc, v1, v2, vcc
	;; [unrolled: 7-line block ×55, first 2 shown]
	s_cmpk_lt_u32 s28, 0x7901
	v_add_co_u32_e32 v112, vcc, s2, v0
	s_cselect_b32 s2, s8, 0x1e40
	v_mov_b32_e32 v113, s3
	s_ashr_i32 s3, s2, 31
	v_addc_co_u32_e32 v113, vcc, v1, v113, vcc
	s_lshl_b64 s[2:3], s[2:3], 1
	v_mov_b32_e32 v115, s3
	v_add_co_u32_e32 v114, vcc, s2, v0
	v_addc_co_u32_e32 v115, vcc, v1, v115, vcc
	s_movk_i32 s2, 0x2000
	v_add_co_u32_e32 v116, vcc, s2, v0
	v_addc_co_u32_e32 v117, vcc, 0, v1, vcc
	global_load_ushort v120, v[116:117], off
	global_load_ushort v121, v[30:31], off
	global_load_ushort v122, v[32:33], off
	global_load_ushort v123, v[36:37], off
	global_load_ushort v124, v[40:41], off
	s_cmpk_lt_u32 s28, 0x7a01
	global_load_ushort v42, v[42:43], off
	s_nop 0
	global_load_ushort v43, v[44:45], off
	global_load_ushort v125, v[50:51], off
	s_cselect_b32 s2, s8, 0x1e80
	global_load_ushort v44, v[52:53], off
	global_load_ushort v45, v[56:57], off
	;; [unrolled: 1-line block ×4, first 2 shown]
	s_ashr_i32 s3, s2, 31
	global_load_ushort v52, v[64:65], off
	global_load_ushort v53, v[66:67], off
	;; [unrolled: 1-line block ×5, first 2 shown]
	s_lshl_b64 s[2:3], s[2:3], 1
	s_cmpk_lt_u32 s28, 0x7b01
	v_add_co_u32_e32 v116, vcc, s2, v0
	s_cselect_b32 s2, s8, 0x1ec0
	v_mov_b32_e32 v117, s3
	s_ashr_i32 s3, s2, 31
	s_lshl_b64 s[2:3], s[2:3], 1
	v_addc_co_u32_e32 v117, vcc, v1, v117, vcc
	s_cmpk_lt_u32 s28, 0x7c01
	v_add_co_u32_e32 v30, vcc, s2, v0
	s_cselect_b32 s2, s8, 0x1f00
	v_mov_b32_e32 v31, s3
	s_ashr_i32 s3, s2, 31
	s_lshl_b64 s[2:3], s[2:3], 1
	v_addc_co_u32_e32 v31, vcc, v1, v31, vcc
	s_cmpk_lt_u32 s28, 0x7d01
	v_add_co_u32_e32 v32, vcc, s2, v0
	s_cselect_b32 s2, s8, 0x1f40
	v_mov_b32_e32 v33, s3
	s_ashr_i32 s3, s2, 31
	s_lshl_b64 s[2:3], s[2:3], 1
	v_addc_co_u32_e32 v33, vcc, v1, v33, vcc
	s_cmpk_lt_u32 s28, 0x7e01
	v_add_co_u32_e32 v36, vcc, s2, v0
	s_cselect_b32 s2, s8, 0x1f80
	v_mov_b32_e32 v37, s3
	s_ashr_i32 s3, s2, 31
	s_lshl_b64 s[2:3], s[2:3], 1
	v_addc_co_u32_e32 v37, vcc, v1, v37, vcc
	s_cmpk_lt_u32 s28, 0x7f01
	v_add_co_u32_e32 v40, vcc, s2, v0
	s_cselect_b32 s2, s8, 0x1fc0
	v_mov_b32_e32 v41, s3
	s_ashr_i32 s3, s2, 31
	v_addc_co_u32_e32 v41, vcc, v1, v41, vcc
	s_lshl_b64 s[2:3], s[2:3], 1
	v_mov_b32_e32 v58, s3
	v_add_co_u32_e32 v0, vcc, s2, v0
	v_addc_co_u32_e32 v1, vcc, v1, v58, vcc
	global_load_ushort v58, v[2:3], off
	global_load_ushort v62, v[4:5], off
	;; [unrolled: 1-line block ×10, first 2 shown]
	v_mov_b32_e32 v37, 0
	global_load_ushort v40, v[8:9], off
	ds_read_b128 v[0:3], v37 offset:256
	ds_read_b128 v[4:7], v37 offset:272
	global_load_ushort v41, v[10:11], off
	global_load_ushort v75, v[12:13], off
	ds_read_b128 v[8:11], v37 offset:288
	ds_read_b128 v[30:33], v37 offset:304
	global_load_ushort v12, v[14:15], off
	global_load_ushort v13, v[16:17], off
	s_waitcnt vmcnt(31)
	v_lshlrev_b32_e32 v36, 16, v120
	s_waitcnt lgkmcnt(0)
	v_fmac_f32_e32 v119, v0, v36
	s_waitcnt vmcnt(30)
	v_lshlrev_b32_e32 v0, 16, v121
	v_fmac_f32_e32 v119, v1, v0
	s_waitcnt vmcnt(29)
	v_lshlrev_b32_e32 v0, 16, v122
	;; [unrolled: 3-line block ×8, first 2 shown]
	v_fmac_f32_e32 v119, v8, v0
	global_load_ushort v8, v[54:55], off
	s_waitcnt vmcnt(23)
	v_lshlrev_b32_e32 v0, 16, v45
	v_fmac_f32_e32 v119, v9, v0
	s_waitcnt vmcnt(22)
	v_lshlrev_b32_e32 v0, 16, v50
	v_fmac_f32_e32 v119, v10, v0
	global_load_ushort v10, v[76:77], off
	s_waitcnt vmcnt(22)
	v_lshlrev_b32_e32 v0, 16, v51
	v_fmac_f32_e32 v119, v11, v0
	s_waitcnt vmcnt(21)
	v_lshlrev_b32_e32 v0, 16, v52
	v_fmac_f32_e32 v119, v30, v0
	global_load_ushort v30, v[90:91], off
	s_waitcnt vmcnt(21)
	v_lshlrev_b32_e32 v0, 16, v53
	v_fmac_f32_e32 v119, v31, v0
	s_waitcnt vmcnt(20)
	v_lshlrev_b32_e32 v0, 16, v56
	v_fmac_f32_e32 v119, v32, v0
	s_waitcnt vmcnt(19)
	v_lshlrev_b32_e32 v0, 16, v57
	v_fmac_f32_e32 v119, v33, v0
	ds_read_b128 v[0:3], v37 offset:320
	ds_read_b128 v[4:7], v37 offset:336
	s_waitcnt vmcnt(18)
	v_lshlrev_b32_e32 v33, 16, v59
	global_load_ushort v9, v[68:69], off
	global_load_ushort v11, v[80:81], off
	;; [unrolled: 1-line block ×3, first 2 shown]
	s_waitcnt lgkmcnt(1)
	v_fmac_f32_e32 v119, v0, v33
	global_load_ushort v33, v[98:99], off
	global_load_ushort v14, v[18:19], off
	;; [unrolled: 1-line block ×6, first 2 shown]
	s_waitcnt vmcnt(26)
	v_lshlrev_b32_e32 v0, 16, v58
	global_load_ushort v18, v[26:27], off
	global_load_ushort v19, v[28:29], off
	;; [unrolled: 1-line block ×19, first 2 shown]
	v_fmac_f32_e32 v119, v1, v0
	s_waitcnt vmcnt(44)
	v_lshlrev_b32_e32 v0, 16, v62
	v_fmac_f32_e32 v119, v2, v0
	s_waitcnt vmcnt(36)
	v_lshlrev_b32_e32 v0, 16, v74
	v_fmac_f32_e32 v119, v3, v0
	s_waitcnt vmcnt(35)
	v_lshlrev_b32_e32 v0, 16, v40
	global_load_ushort v40, v[112:113], off
	s_waitcnt lgkmcnt(0)
	v_fmac_f32_e32 v119, v4, v0
	s_waitcnt vmcnt(35)
	v_lshlrev_b32_e32 v0, 16, v41
	v_fmac_f32_e32 v119, v5, v0
	s_waitcnt vmcnt(34)
	v_lshlrev_b32_e32 v0, 16, v75
	v_fmac_f32_e32 v119, v6, v0
	ds_read_b128 v[0:3], v37 offset:352
	s_waitcnt vmcnt(33)
	v_lshlrev_b32_e32 v4, 16, v12
	v_fmac_f32_e32 v119, v7, v4
	ds_read_b128 v[4:7], v37 offset:368
	s_waitcnt vmcnt(32)
	v_lshlrev_b32_e32 v12, 16, v13
	s_waitcnt lgkmcnt(1)
	v_fmac_f32_e32 v119, v0, v12
	s_waitcnt vmcnt(24)
	v_lshlrev_b32_e32 v0, 16, v14
	v_fmac_f32_e32 v119, v1, v0
	s_waitcnt vmcnt(23)
	v_lshlrev_b32_e32 v0, 16, v15
	;; [unrolled: 3-line block ×4, first 2 shown]
	s_waitcnt lgkmcnt(0)
	v_fmac_f32_e32 v119, v4, v0
	s_waitcnt vmcnt(19)
	v_lshlrev_b32_e32 v0, 16, v18
	v_fmac_f32_e32 v119, v5, v0
	s_waitcnt vmcnt(18)
	v_lshlrev_b32_e32 v0, 16, v19
	v_fmac_f32_e32 v119, v6, v0
	ds_read_b128 v[0:3], v37 offset:384
	s_waitcnt vmcnt(17)
	v_lshlrev_b32_e32 v4, 16, v20
	v_fmac_f32_e32 v119, v7, v4
	ds_read_b128 v[4:7], v37 offset:400
	s_waitcnt vmcnt(16)
	v_lshlrev_b32_e32 v12, 16, v21
	s_waitcnt lgkmcnt(1)
	v_fmac_f32_e32 v119, v0, v12
	s_waitcnt vmcnt(15)
	v_lshlrev_b32_e32 v0, 16, v22
	v_fmac_f32_e32 v119, v1, v0
	s_waitcnt vmcnt(14)
	v_lshlrev_b32_e32 v0, 16, v23
	v_fmac_f32_e32 v119, v2, v0
	v_lshlrev_b32_e32 v0, 16, v8
	v_fmac_f32_e32 v119, v3, v0
	s_waitcnt vmcnt(13)
	v_lshlrev_b32_e32 v0, 16, v24
	s_waitcnt lgkmcnt(0)
	v_fmac_f32_e32 v119, v4, v0
	v_lshlrev_b32_e32 v0, 16, v9
	v_fmac_f32_e32 v119, v5, v0
	s_waitcnt vmcnt(12)
	v_lshlrev_b32_e32 v0, 16, v25
	v_fmac_f32_e32 v119, v6, v0
	ds_read_b128 v[0:3], v37 offset:416
	v_lshlrev_b32_e32 v4, 16, v10
	v_fmac_f32_e32 v119, v7, v4
	ds_read_b128 v[4:7], v37 offset:432
	v_lshlrev_b32_e32 v8, 16, v11
	s_waitcnt lgkmcnt(1)
	v_fmac_f32_e32 v119, v0, v8
	s_waitcnt vmcnt(11)
	v_lshlrev_b32_e32 v0, 16, v26
	v_fmac_f32_e32 v119, v1, v0
	s_waitcnt vmcnt(10)
	v_lshlrev_b32_e32 v0, 16, v27
	;; [unrolled: 3-line block ×4, first 2 shown]
	s_waitcnt lgkmcnt(0)
	v_fmac_f32_e32 v119, v4, v0
	v_lshlrev_b32_e32 v0, 16, v30
	v_fmac_f32_e32 v119, v5, v0
	v_lshlrev_b32_e32 v0, 16, v31
	v_fmac_f32_e32 v119, v6, v0
	ds_read_b128 v[0:3], v37 offset:448
	v_lshlrev_b32_e32 v4, 16, v32
	v_fmac_f32_e32 v119, v7, v4
	ds_read_b128 v[4:7], v37 offset:464
	s_waitcnt vmcnt(7)
	v_lshlrev_b32_e32 v8, 16, v34
	s_waitcnt lgkmcnt(1)
	v_fmac_f32_e32 v119, v0, v8
	v_lshlrev_b32_e32 v0, 16, v33
	v_fmac_f32_e32 v119, v1, v0
	s_waitcnt vmcnt(6)
	v_lshlrev_b32_e32 v0, 16, v35
	v_fmac_f32_e32 v119, v2, v0
	s_waitcnt vmcnt(5)
	;; [unrolled: 3-line block ×3, first 2 shown]
	v_lshlrev_b32_e32 v1, 16, v39
	v_lshlrev_b32_e32 v0, 16, v38
	s_waitcnt lgkmcnt(0)
	v_pk_mul_f32 v[0:1], v[4:5], v[0:1]
	v_add_f32_e32 v0, v119, v0
	v_add_f32_e32 v2, v0, v1
	s_waitcnt vmcnt(1)
	v_lshlrev_b32_e32 v1, 16, v43
	v_lshlrev_b32_e32 v0, 16, v42
	v_pk_mul_f32 v[4:5], v[6:7], v[0:1]
	v_add_f32_e32 v4, v2, v4
	ds_read_b128 v[0:3], v37 offset:480
	v_lshlrev_b32_e32 v9, 16, v63
	s_waitcnt vmcnt(0)
	v_lshlrev_b32_e32 v8, 16, v40
	v_add_f32_e32 v10, v4, v5
	ds_read_b128 v[4:7], v37 offset:496
	s_waitcnt lgkmcnt(1)
	v_pk_mul_f32 v[0:1], v[0:1], v[8:9]
	v_add_f32_e32 v0, v10, v0
	v_add_f32_e32 v8, v0, v1
	v_lshlrev_b32_e32 v1, 16, v65
	v_lshlrev_b32_e32 v0, 16, v64
	v_pk_mul_f32 v[0:1], v[2:3], v[0:1]
	v_add_f32_e32 v0, v8, v0
	v_add_f32_e32 v2, v0, v1
	v_lshlrev_b32_e32 v1, 16, v67
	v_lshlrev_b32_e32 v0, 16, v66
	s_waitcnt lgkmcnt(0)
	v_pk_mul_f32 v[0:1], v[4:5], v[0:1]
	v_add_f32_e32 v0, v2, v0
	v_add_f32_e32 v2, v0, v1
	v_lshlrev_b32_e32 v1, 16, v73
	v_lshlrev_b32_e32 v0, 16, v72
	v_pk_mul_f32 v[0:1], v[6:7], v[0:1]
	v_add_f32_e32 v0, v2, v0
	v_add_f32_e32 v119, v0, v1
.LBB209_17:
	v_mov_b32_e32 v0, 0
	ds_read_b32 v0, v0 offset:512
	s_waitcnt lgkmcnt(0)
	s_cmp_eq_u64 s[0:1], 0
	s_cbranch_scc1 .LBB209_26
; %bb.18:
	s_load_dword s2, s[0:1], 0x0
	s_waitcnt lgkmcnt(0)
	v_div_scale_f32 v1, s[0:1], s2, s2, 1.0
	v_rcp_f32_e32 v2, v1
	v_div_scale_f32 v3, vcc, 1.0, s2, 1.0
	v_fma_f32 v4, -v1, v2, 1.0
	v_fmac_f32_e32 v2, v4, v2
	v_mul_f32_e32 v4, v3, v2
	v_fma_f32 v5, -v1, v4, v3
	v_fmac_f32_e32 v4, v5, v2
	v_fma_f32 v1, -v1, v4, v3
	v_div_fmas_f32 v1, v1, v2, v4
	v_div_fixup_f32 v1, v1, s2, 1.0
	s_andn2_b64 vcc, exec, s[20:21]
	s_cbranch_vccnz .LBB209_20
.LBB209_19:
	s_add_u32 s0, s18, s22
	s_addc_u32 s1, s19, s23
	s_load_dword s16, s[0:1], 0x0
	s_mov_b32 s17, 0
.LBB209_20:
	v_add_f32_e32 v0, 0x358637bd, v0
	v_div_scale_f32 v2, s[0:1], v0, v0, 1.0
	v_rcp_f32_e32 v3, v2
	s_load_dwordx2 s[0:1], s[4:5], 0x0
	s_mov_b32 s2, 0x7f800000
	v_fma_f32 v4, -v2, v3, 1.0
	v_fmac_f32_e32 v3, v4, v3
	v_div_scale_f32 v4, vcc, 1.0, v0, 1.0
	v_mul_f32_e32 v5, v4, v3
	v_fma_f32 v6, -v2, v5, v4
	v_fmac_f32_e32 v5, v6, v3
	v_fma_f32 v2, -v2, v5, v4
	v_div_fmas_f32 v2, v2, v3, v5
	v_div_fixup_f32 v0, v2, v0, 1.0
	v_mul_f32_e32 v0, v119, v0
	v_mul_f32_e32 v1, v0, v1
	v_and_b32_e32 v0, 0x7f800000, v1
	v_cmp_ne_u32_e32 vcc, s2, v0
                                        ; implicit-def: $vgpr0
	s_and_saveexec_b64 s[2:3], vcc
	s_xor_b64 s[2:3], exec, s[2:3]
; %bb.21:
	v_bfe_u32 v0, v1, 16, 1
	s_movk_i32 s4, 0x7fff
	v_add3_u32 v0, v1, v0, s4
                                        ; implicit-def: $vgpr1
; %bb.22:
	s_andn2_saveexec_b64 s[2:3], s[2:3]
; %bb.23:
	v_mov_b32_e32 v0, 0
	v_or_b32_e32 v2, 0x10000, v1
	v_cmp_eq_u32_sdwa vcc, v1, v0 src0_sel:WORD_0 src1_sel:DWORD
	v_cndmask_b32_e32 v0, v2, v1, vcc
; %bb.24:
	s_or_b64 exec, exec, s[2:3]
	s_mul_i32 s2, s7, s17
	s_waitcnt lgkmcnt(0)
	s_mul_hi_u32 s3, s7, s16
	s_add_i32 s3, s3, s2
	s_mul_i32 s2, s7, s16
	s_lshl_b64 s[2:3], s[2:3], 7
	s_add_u32 s2, s0, s2
	s_mov_b32 s7, 0
	s_addc_u32 s3, s1, s3
	s_lshl_b64 s[0:1], s[6:7], 7
	s_add_u32 s0, s2, s0
	s_addc_u32 s1, s3, s1
	global_store_short_d16_hi v118, v0, s[0:1]
	s_endpgm
.LBB209_25:
	s_mov_b64 s[2:3], 0
	s_branch .LBB209_2
.LBB209_26:
	v_mov_b32_e32 v1, 1.0
	s_andn2_b64 vcc, exec, s[20:21]
	s_cbranch_vccz .LBB209_19
	s_branch .LBB209_20
	.section	.rodata,"a",@progbits
	.p2align	6, 0x0
	.amdhsa_kernel _Z35paged_attention_ll4mi_reduce_kernelI14__hip_bfloat16S0_Li64ELi64ELi256ELi2EEvPT0_PKfS4_PKT_PKiS9_iS4_
		.amdhsa_group_segment_fixed_size 516
		.amdhsa_private_segment_fixed_size 0
		.amdhsa_kernarg_size 320
		.amdhsa_user_sgpr_count 6
		.amdhsa_user_sgpr_private_segment_buffer 1
		.amdhsa_user_sgpr_dispatch_ptr 0
		.amdhsa_user_sgpr_queue_ptr 0
		.amdhsa_user_sgpr_kernarg_segment_ptr 1
		.amdhsa_user_sgpr_dispatch_id 0
		.amdhsa_user_sgpr_flat_scratch_init 0
		.amdhsa_user_sgpr_kernarg_preload_length 0
		.amdhsa_user_sgpr_kernarg_preload_offset 0
		.amdhsa_user_sgpr_private_segment_size 0
		.amdhsa_uses_dynamic_stack 0
		.amdhsa_system_sgpr_private_segment_wavefront_offset 0
		.amdhsa_system_sgpr_workgroup_id_x 1
		.amdhsa_system_sgpr_workgroup_id_y 1
		.amdhsa_system_sgpr_workgroup_id_z 0
		.amdhsa_system_sgpr_workgroup_info 0
		.amdhsa_system_vgpr_workitem_id 0
		.amdhsa_next_free_vgpr 126
		.amdhsa_next_free_sgpr 32
		.amdhsa_accum_offset 128
		.amdhsa_reserve_vcc 1
		.amdhsa_reserve_flat_scratch 0
		.amdhsa_float_round_mode_32 0
		.amdhsa_float_round_mode_16_64 0
		.amdhsa_float_denorm_mode_32 3
		.amdhsa_float_denorm_mode_16_64 3
		.amdhsa_dx10_clamp 1
		.amdhsa_ieee_mode 1
		.amdhsa_fp16_overflow 0
		.amdhsa_tg_split 0
		.amdhsa_exception_fp_ieee_invalid_op 0
		.amdhsa_exception_fp_denorm_src 0
		.amdhsa_exception_fp_ieee_div_zero 0
		.amdhsa_exception_fp_ieee_overflow 0
		.amdhsa_exception_fp_ieee_underflow 0
		.amdhsa_exception_fp_ieee_inexact 0
		.amdhsa_exception_int_div_zero 0
	.end_amdhsa_kernel
	.section	.text._Z35paged_attention_ll4mi_reduce_kernelI14__hip_bfloat16S0_Li64ELi64ELi256ELi2EEvPT0_PKfS4_PKT_PKiS9_iS4_,"axG",@progbits,_Z35paged_attention_ll4mi_reduce_kernelI14__hip_bfloat16S0_Li64ELi64ELi256ELi2EEvPT0_PKfS4_PKT_PKiS9_iS4_,comdat
.Lfunc_end209:
	.size	_Z35paged_attention_ll4mi_reduce_kernelI14__hip_bfloat16S0_Li64ELi64ELi256ELi2EEvPT0_PKfS4_PKT_PKiS9_iS4_, .Lfunc_end209-_Z35paged_attention_ll4mi_reduce_kernelI14__hip_bfloat16S0_Li64ELi64ELi256ELi2EEvPT0_PKfS4_PKT_PKiS9_iS4_
                                        ; -- End function
	.section	.AMDGPU.csdata,"",@progbits
; Kernel info:
; codeLenInByte = 8968
; NumSgprs: 36
; NumVgprs: 126
; NumAgprs: 0
; TotalNumVgprs: 126
; ScratchSize: 0
; MemoryBound: 0
; FloatMode: 240
; IeeeMode: 1
; LDSByteSize: 516 bytes/workgroup (compile time only)
; SGPRBlocks: 4
; VGPRBlocks: 15
; NumSGPRsForWavesPerEU: 36
; NumVGPRsForWavesPerEU: 126
; AccumOffset: 128
; Occupancy: 4
; WaveLimiterHint : 1
; COMPUTE_PGM_RSRC2:SCRATCH_EN: 0
; COMPUTE_PGM_RSRC2:USER_SGPR: 6
; COMPUTE_PGM_RSRC2:TRAP_HANDLER: 0
; COMPUTE_PGM_RSRC2:TGID_X_EN: 1
; COMPUTE_PGM_RSRC2:TGID_Y_EN: 1
; COMPUTE_PGM_RSRC2:TGID_Z_EN: 0
; COMPUTE_PGM_RSRC2:TIDIG_COMP_CNT: 0
; COMPUTE_PGM_RSRC3_GFX90A:ACCUM_OFFSET: 31
; COMPUTE_PGM_RSRC3_GFX90A:TG_SPLIT: 0
	.section	.text._Z35paged_attention_ll4mi_reduce_kernelI14__hip_bfloat16S0_Li64ELi64ELi256ELi3EEvPT0_PKfS4_PKT_PKiS9_iS4_,"axG",@progbits,_Z35paged_attention_ll4mi_reduce_kernelI14__hip_bfloat16S0_Li64ELi64ELi256ELi3EEvPT0_PKfS4_PKT_PKiS9_iS4_,comdat
	.protected	_Z35paged_attention_ll4mi_reduce_kernelI14__hip_bfloat16S0_Li64ELi64ELi256ELi3EEvPT0_PKfS4_PKT_PKiS9_iS4_ ; -- Begin function _Z35paged_attention_ll4mi_reduce_kernelI14__hip_bfloat16S0_Li64ELi64ELi256ELi3EEvPT0_PKfS4_PKT_PKiS9_iS4_
	.globl	_Z35paged_attention_ll4mi_reduce_kernelI14__hip_bfloat16S0_Li64ELi64ELi256ELi3EEvPT0_PKfS4_PKT_PKiS9_iS4_
	.p2align	8
	.type	_Z35paged_attention_ll4mi_reduce_kernelI14__hip_bfloat16S0_Li64ELi64ELi256ELi3EEvPT0_PKfS4_PKT_PKiS9_iS4_,@function
_Z35paged_attention_ll4mi_reduce_kernelI14__hip_bfloat16S0_Li64ELi64ELi256ELi3EEvPT0_PKfS4_PKT_PKiS9_iS4_: ; @_Z35paged_attention_ll4mi_reduce_kernelI14__hip_bfloat16S0_Li64ELi64ELi256ELi3EEvPT0_PKfS4_PKT_PKiS9_iS4_
; %bb.0:
	s_load_dwordx2 s[20:21], s[4:5], 0x28
	s_mov_b32 s10, s7
	s_mov_b64 s[0:1], 0
	s_waitcnt lgkmcnt(0)
	s_cmp_lg_u64 s[20:21], 0
	s_cselect_b64 s[22:23], -1, 0
	s_and_b64 vcc, exec, s[22:23]
	s_cbranch_vccz .LBB210_25
; %bb.1:
	s_add_i32 s2, s10, 1
	s_mov_b32 s3, 0
	s_lshl_b64 s[8:9], s[2:3], 2
	s_add_u32 s8, s20, s8
	s_mov_b32 s11, s3
	s_addc_u32 s9, s21, s9
	s_lshl_b64 s[2:3], s[10:11], 2
	s_add_u32 s2, s20, s2
	s_addc_u32 s3, s21, s3
	s_load_dword s7, s[8:9], 0x0
	s_load_dword s12, s[2:3], 0x0
	s_waitcnt lgkmcnt(0)
	s_sub_i32 s2, s7, s12
	s_cmp_eq_u32 s2, 1
	s_cselect_b64 s[2:3], -1, 0
	s_andn2_b64 vcc, exec, s[0:1]
	s_cbranch_vccnz .LBB210_3
.LBB210_2:
	s_mov_b32 s11, 0
	s_mov_b64 s[2:3], -1
.LBB210_3:
	s_andn2_b64 vcc, exec, s[2:3]
	s_cbranch_vccz .LBB210_5
; %bb.4:
	s_endpgm
.LBB210_5:
	s_load_dwordx4 s[12:15], s[4:5], 0x18
	s_load_dword s8, s[4:5], 0x30
	s_lshl_b64 s[24:25], s[10:11], 2
	v_cmp_lt_u32_e32 vcc, 63, v0
	s_waitcnt lgkmcnt(0)
	s_add_u32 s0, s14, s24
	s_addc_u32 s1, s15, s25
	s_load_dword s33, s[0:1], 0x0
	s_load_dword s7, s[4:5], 0x40
	s_mul_i32 s14, s6, s8
	s_mul_i32 s2, s10, s8
	s_waitcnt lgkmcnt(0)
	s_add_i32 s3, s33, 0xff
	s_ashr_i32 s0, s3, 31
	s_lshr_b32 s0, s0, 24
	s_add_i32 s3, s3, s0
	s_and_saveexec_b64 s[0:1], vcc
	s_xor_b64 s[0:1], exec, s[0:1]
	s_or_saveexec_b64 s[26:27], s[0:1]
	s_ashr_i32 s34, s3, 8
	v_mov_b32_e32 v1, s14
	s_mul_i32 s28, s2, s7
	s_xor_b64 exec, exec, s[26:27]
	s_cbranch_execz .LBB210_9
; %bb.6:
	s_load_dwordx4 s[16:19], s[4:5], 0x8
	s_mov_b32 s29, 0
	s_add_i32 s0, s34, -1
	v_or_b32_e32 v3, 64, v0
	v_mov_b32_e32 v1, s0
	v_cmp_gt_u32_e64 s[0:1], s34, v3
	s_lshl_b64 s[30:31], s[28:29], 2
	s_mov_b32 s15, s29
	v_cmp_gt_u32_e64 s[2:3], s34, v0
	v_cndmask_b32_e64 v4, v1, v3, s[0:1]
	v_or_b32_e32 v3, 0x80, v0
	s_waitcnt lgkmcnt(0)
	s_add_u32 s8, s18, s30
	v_cndmask_b32_e64 v2, v1, v0, s[2:3]
	v_cmp_gt_u32_e32 vcc, s34, v3
	s_addc_u32 s9, s19, s31
	s_lshl_b64 s[18:19], s[14:15], 2
	v_cndmask_b32_e32 v6, v1, v3, vcc
	s_add_u32 s15, s8, s18
	v_ashrrev_i32_e32 v3, 31, v2
	s_addc_u32 s29, s9, s19
	v_lshlrev_b64 v[2:3], 2, v[2:3]
	v_mov_b32_e32 v1, s29
	v_add_co_u32_e64 v8, s[8:9], s15, v2
	v_ashrrev_i32_e32 v5, 31, v4
	v_addc_co_u32_e64 v9, s[8:9], v1, v3, s[8:9]
	v_lshlrev_b64 v[4:5], 2, v[4:5]
	v_add_co_u32_e64 v10, s[8:9], s15, v4
	v_ashrrev_i32_e32 v7, 31, v6
	v_addc_co_u32_e64 v11, s[8:9], v1, v5, s[8:9]
	v_lshlrev_b64 v[6:7], 2, v[6:7]
	v_add_co_u32_e64 v12, s[8:9], s15, v6
	v_addc_co_u32_e64 v13, s[8:9], v1, v7, s[8:9]
	global_load_dword v1, v[8:9], off
	global_load_dword v14, v[10:11], off
	;; [unrolled: 1-line block ×3, first 2 shown]
	v_mbcnt_lo_u32_b32 v8, -1, 0
	v_mbcnt_hi_u32_b32 v8, -1, v8
	v_and_b32_e32 v9, 64, v8
	v_xor_b32_e32 v10, 32, v8
	v_add_u32_e32 v9, 64, v9
	v_xor_b32_e32 v11, 16, v8
	v_cmp_lt_i32_e64 s[8:9], v10, v9
	v_xor_b32_e32 v12, 8, v8
	v_cndmask_b32_e64 v10, v8, v10, s[8:9]
	v_cmp_lt_i32_e64 s[8:9], v11, v9
	v_cndmask_b32_e64 v11, v8, v11, s[8:9]
	v_cmp_lt_i32_e64 s[8:9], v12, v9
	v_cndmask_b32_e64 v12, v8, v12, s[8:9]
	s_add_u32 s8, s16, s30
	s_addc_u32 s9, s17, s31
	s_add_u32 s15, s8, s18
	s_addc_u32 s16, s9, s19
	v_mov_b32_e32 v13, s16
	v_add_co_u32_e64 v2, s[8:9], s15, v2
	v_addc_co_u32_e64 v3, s[8:9], v13, v3, s[8:9]
	global_load_dword v13, v[2:3], off
	v_lshlrev_b32_e32 v10, 2, v10
	v_mov_b32_e32 v3, s16
	v_add_co_u32_e64 v2, s[8:9], s15, v4
	v_addc_co_u32_e64 v3, s[8:9], v3, v5, s[8:9]
	global_load_dword v4, v[2:3], off
	v_mov_b32_e32 v3, s16
	v_lshlrev_b32_e32 v11, 2, v11
	v_lshlrev_b32_e32 v12, 2, v12
	s_mov_b32 s16, 0x42b17218
	s_waitcnt vmcnt(2)
	v_max3_f32 v16, v1, v14, v15
	ds_bpermute_b32 v17, v10, v16
	s_waitcnt lgkmcnt(0)
	v_max_f32_e32 v2, v17, v17
	v_max_f32_e32 v5, v16, v2
	v_add_co_u32_e64 v2, s[8:9], s15, v6
	v_addc_co_u32_e64 v3, s[8:9], v3, v7, s[8:9]
	global_load_dword v3, v[2:3], off
	ds_bpermute_b32 v16, v11, v5
	v_xor_b32_e32 v6, 4, v8
	v_cmp_lt_i32_e64 s[8:9], v6, v9
	v_cndmask_b32_e64 v6, v8, v6, s[8:9]
	v_lshlrev_b32_e32 v6, 2, v6
	s_waitcnt lgkmcnt(0)
	v_max_f32_e32 v2, v16, v16
	v_max_f32_e32 v2, v5, v2
	ds_bpermute_b32 v5, v12, v2
	v_xor_b32_e32 v7, 2, v8
	v_cmp_lt_i32_e64 s[8:9], v7, v9
	v_cndmask_b32_e64 v7, v8, v7, s[8:9]
	v_lshlrev_b32_e32 v7, 2, v7
	s_waitcnt lgkmcnt(0)
	v_max_f32_e32 v5, v5, v5
	v_max_f32_e32 v2, v2, v5
	;; [unrolled: 8-line block ×3, first 2 shown]
	ds_bpermute_b32 v5, v7, v2
	s_mov_b32 s8, 0x3fb8aa3b
	s_mov_b32 s15, 0xc2ce8ed0
	v_mov_b32_e32 v9, 0x7f800000
	s_waitcnt lgkmcnt(0)
	v_max_f32_e32 v5, v5, v5
	v_max_f32_e32 v2, v2, v5
	ds_bpermute_b32 v5, v8, v2
	s_waitcnt lgkmcnt(0)
	v_max_f32_e32 v5, v5, v5
	v_max_f32_e32 v2, v2, v5
	v_sub_f32_e32 v1, v1, v2
	v_sub_f32_e32 v5, v14, v2
	v_mul_f32_e32 v14, 0x3fb8aa3b, v1
	v_sub_f32_e32 v2, v15, v2
	v_mul_f32_e32 v15, 0x3fb8aa3b, v5
	v_fma_f32 v17, v1, s8, -v14
	v_rndne_f32_e32 v18, v14
	v_fma_f32 v19, v5, s8, -v15
	v_rndne_f32_e32 v20, v15
	v_fmac_f32_e32 v17, 0x32a5705f, v1
	v_sub_f32_e32 v14, v14, v18
	v_fmac_f32_e32 v19, 0x32a5705f, v5
	v_sub_f32_e32 v15, v15, v20
	v_add_f32_e32 v14, v14, v17
	v_cvt_i32_f32_e32 v18, v18
	v_add_f32_e32 v15, v15, v19
	v_exp_f32_e32 v14, v14
	v_cvt_i32_f32_e32 v20, v20
	v_exp_f32_e32 v15, v15
	v_mul_f32_e32 v16, 0x3fb8aa3b, v2
	v_fma_f32 v17, v2, s8, -v16
	v_ldexp_f32 v14, v14, v18
	v_cmp_ngt_f32_e64 s[8:9], s15, v1
	v_ldexp_f32 v15, v15, v20
	v_cndmask_b32_e64 v14, 0, v14, s[8:9]
	v_cmp_ngt_f32_e64 s[8:9], s15, v5
	v_cndmask_b32_e64 v15, 0, v15, s[8:9]
	v_cmp_nlt_f32_e64 s[8:9], s16, v1
	v_cndmask_b32_e64 v1, v9, v14, s[8:9]
	v_cndmask_b32_e64 v1, 0, v1, s[2:3]
	s_waitcnt vmcnt(2)
	v_mul_f32_e32 v1, v13, v1
	v_rndne_f32_e32 v13, v16
	v_fmac_f32_e32 v17, 0x32a5705f, v2
	v_sub_f32_e32 v14, v16, v13
	v_add_f32_e32 v14, v14, v17
	v_exp_f32_e32 v14, v14
	v_cvt_i32_f32_e32 v13, v13
	v_cmp_nlt_f32_e64 s[2:3], s16, v5
	v_cndmask_b32_e64 v5, v9, v15, s[2:3]
	v_cndmask_b32_e64 v5, 0, v5, s[0:1]
	v_ldexp_f32 v13, v14, v13
	v_cmp_ngt_f32_e64 s[0:1], s15, v2
	v_cndmask_b32_e64 v13, 0, v13, s[0:1]
	v_cmp_nlt_f32_e64 s[0:1], s16, v2
	s_waitcnt vmcnt(1)
	v_mul_f32_e32 v15, v4, v5
	v_cndmask_b32_e64 v2, v9, v13, s[0:1]
	v_lshlrev_b32_e32 v13, 2, v0
	v_cndmask_b32_e32 v9, 0, v2, vcc
	ds_write2st64_b32 v13, v1, v15 offset1:1
	v_fmac_f32_e32 v1, v4, v5
	s_waitcnt vmcnt(0)
	v_fmac_f32_e32 v1, v3, v9
	ds_bpermute_b32 v2, v10, v1
	v_mul_f32_e32 v3, v3, v9
	v_cmp_eq_u32_e32 vcc, 0, v0
	ds_write_b32 v13, v3 offset:512
	s_waitcnt lgkmcnt(1)
	v_add_f32_e32 v1, v1, v2
	ds_bpermute_b32 v2, v11, v1
	s_waitcnt lgkmcnt(0)
	v_add_f32_e32 v1, v1, v2
	ds_bpermute_b32 v2, v12, v1
	;; [unrolled: 3-line block ×5, first 2 shown]
	s_and_saveexec_b64 s[0:1], vcc
	s_cbranch_execz .LBB210_8
; %bb.7:
	s_waitcnt lgkmcnt(0)
	v_add_f32_e32 v1, v1, v2
	v_mov_b32_e32 v2, 0
	ds_write_b32 v2, v1 offset:768
.LBB210_8:
	s_or_b64 exec, exec, s[0:1]
	v_mov_b32_e32 v1, s14
.LBB210_9:
	s_or_b64 exec, exec, s[26:27]
	s_lshl_b32 s0, s28, 6
	s_mov_b32 s1, 0
	s_waitcnt lgkmcnt(0)
	v_lshlrev_b32_e32 v2, 6, v1
	v_mov_b32_e32 v3, 0
	s_lshl_b64 s[0:1], s[0:1], 1
	s_add_u32 s0, s12, s0
	v_lshlrev_b64 v[4:5], 1, v[2:3]
	s_addc_u32 s1, s13, s1
	v_add_co_u32_e32 v2, vcc, s0, v4
	s_lshl_b32 s0, s34, 6
	s_sub_i32 s8, s0, 64
	s_cmp_lt_i32 s33, 1
	v_mov_b32_e32 v1, s1
	s_cselect_b32 s0, s8, 0
	v_addc_co_u32_e32 v1, vcc, v1, v5, vcc
	v_lshlrev_b32_e32 v118, 1, v0
	s_ashr_i32 s1, s0, 31
	v_add_co_u32_e32 v0, vcc, v2, v118
	s_lshl_b64 s[0:1], s[0:1], 1
	v_addc_co_u32_e32 v1, vcc, 0, v1, vcc
	s_cmpk_lt_i32 s33, 0x101
	v_add_co_u32_e32 v4, vcc, s0, v0
	s_cselect_b32 s0, s8, 64
	v_mov_b32_e32 v2, s1
	s_ashr_i32 s1, s0, 31
	s_lshl_b64 s[0:1], s[0:1], 1
	v_addc_co_u32_e32 v5, vcc, v1, v2, vcc
	s_cmpk_lt_i32 s33, 0x201
	v_add_co_u32_e32 v6, vcc, s0, v0
	s_cselect_b32 s0, s8, 0x80
	v_mov_b32_e32 v2, s1
	s_ashr_i32 s1, s0, 31
	;; [unrolled: 7-line block ×8, first 2 shown]
	s_lshl_b64 s[0:1], s[0:1], 1
	v_addc_co_u32_e32 v19, vcc, v1, v2, vcc
	s_cmpk_lt_i32 s33, 0x901
	global_load_ushort v42, v[4:5], off
	global_load_ushort v41, v[6:7], off
	global_load_ushort v40, v[8:9], off
	global_load_ushort v39, v[10:11], off
	global_load_ushort v37, v[12:13], off
	global_load_ushort v38, v[14:15], off
	global_load_ushort v2, v[16:17], off
	global_load_ushort v36, v[18:19], off
	v_add_co_u32_e32 v4, vcc, s0, v0
	s_cselect_b32 s0, s8, 0x240
	v_mov_b32_e32 v5, s1
	s_ashr_i32 s1, s0, 31
	s_lshl_b64 s[0:1], s[0:1], 1
	v_addc_co_u32_e32 v5, vcc, v1, v5, vcc
	s_cmpk_lt_i32 s33, 0xa01
	v_add_co_u32_e32 v6, vcc, s0, v0
	s_cselect_b32 s0, s8, 0x280
	v_mov_b32_e32 v7, s1
	s_ashr_i32 s1, s0, 31
	s_lshl_b64 s[0:1], s[0:1], 1
	v_addc_co_u32_e32 v7, vcc, v1, v7, vcc
	s_cmpk_lt_i32 s33, 0xb01
	v_add_co_u32_e32 v8, vcc, s0, v0
	s_cselect_b32 s0, s8, 0x2c0
	v_mov_b32_e32 v9, s1
	s_ashr_i32 s1, s0, 31
	s_lshl_b64 s[0:1], s[0:1], 1
	v_addc_co_u32_e32 v9, vcc, v1, v9, vcc
	s_cmpk_lt_i32 s33, 0xc01
	v_add_co_u32_e32 v10, vcc, s0, v0
	s_cselect_b32 s0, s8, 0x300
	v_mov_b32_e32 v11, s1
	s_ashr_i32 s1, s0, 31
	s_lshl_b64 s[0:1], s[0:1], 1
	v_addc_co_u32_e32 v11, vcc, v1, v11, vcc
	s_cmpk_lt_i32 s33, 0xd01
	v_add_co_u32_e32 v12, vcc, s0, v0
	s_cselect_b32 s0, s8, 0x340
	v_mov_b32_e32 v13, s1
	s_ashr_i32 s1, s0, 31
	s_lshl_b64 s[0:1], s[0:1], 1
	v_addc_co_u32_e32 v13, vcc, v1, v13, vcc
	s_cmpk_lt_i32 s33, 0xe01
	v_add_co_u32_e32 v14, vcc, s0, v0
	s_cselect_b32 s0, s8, 0x380
	v_mov_b32_e32 v15, s1
	s_ashr_i32 s1, s0, 31
	s_lshl_b64 s[0:1], s[0:1], 1
	v_addc_co_u32_e32 v15, vcc, v1, v15, vcc
	s_cmpk_lt_i32 s33, 0xf01
	v_add_co_u32_e32 v16, vcc, s0, v0
	s_cselect_b32 s0, s8, 0x3c0
	v_mov_b32_e32 v17, s1
	s_ashr_i32 s1, s0, 31
	v_addc_co_u32_e32 v17, vcc, v1, v17, vcc
	s_lshl_b64 s[0:1], s[0:1], 1
	v_mov_b32_e32 v19, s1
	v_add_co_u32_e32 v18, vcc, s0, v0
	v_addc_co_u32_e32 v19, vcc, v1, v19, vcc
	global_load_ushort v49, v[4:5], off
	global_load_ushort v50, v[6:7], off
	;; [unrolled: 1-line block ×8, first 2 shown]
	s_cmpk_gt_i32 s33, 0x1000
	s_cselect_b64 s[0:1], -1, 0
	s_cmpk_lt_i32 s33, 0x1001
	v_mov_b32_e32 v59, 0
	v_mov_b32_e32 v60, 0
	;; [unrolled: 1-line block ×48, first 2 shown]
	s_waitcnt lgkmcnt(0)
	; wave barrier
	s_cbranch_scc1 .LBB210_12
; %bb.10:
	s_cmpk_lt_u32 s33, 0x1101
	s_cselect_b32 s2, s8, 0x440
	s_ashr_i32 s3, s2, 31
	s_lshl_b64 s[2:3], s[2:3], 1
	s_cmpk_lt_u32 s33, 0x1201
	v_add_co_u32_e32 v4, vcc, s2, v0
	s_cselect_b32 s2, s8, 0x480
	v_mov_b32_e32 v5, s3
	s_ashr_i32 s3, s2, 31
	s_lshl_b64 s[2:3], s[2:3], 1
	v_addc_co_u32_e32 v5, vcc, v1, v5, vcc
	s_cmpk_lt_u32 s33, 0x1301
	v_add_co_u32_e32 v6, vcc, s2, v0
	s_cselect_b32 s2, s8, 0x4c0
	v_mov_b32_e32 v7, s3
	s_ashr_i32 s3, s2, 31
	s_lshl_b64 s[2:3], s[2:3], 1
	v_addc_co_u32_e32 v7, vcc, v1, v7, vcc
	;; [unrolled: 7-line block ×7, first 2 shown]
	s_cmpk_lt_u32 s33, 0x1901
	global_load_ushort v58, v[0:1], off offset:2048
	global_load_ushort v57, v[4:5], off
	global_load_ushort v56, v[6:7], off
	;; [unrolled: 1-line block ×7, first 2 shown]
	v_add_co_u32_e32 v4, vcc, s2, v0
	s_cselect_b32 s2, s8, 0x640
	v_mov_b32_e32 v5, s3
	s_ashr_i32 s3, s2, 31
	s_lshl_b64 s[2:3], s[2:3], 1
	v_addc_co_u32_e32 v5, vcc, v1, v5, vcc
	s_cmpk_lt_u32 s33, 0x1a01
	v_add_co_u32_e32 v6, vcc, s2, v0
	s_cselect_b32 s2, s8, 0x680
	v_mov_b32_e32 v7, s3
	s_ashr_i32 s3, s2, 31
	s_lshl_b64 s[2:3], s[2:3], 1
	v_addc_co_u32_e32 v7, vcc, v1, v7, vcc
	s_cmpk_lt_u32 s33, 0x1b01
	;; [unrolled: 7-line block ×6, first 2 shown]
	v_add_co_u32_e32 v16, vcc, s2, v0
	s_cselect_b32 s2, s8, 0x7c0
	v_mov_b32_e32 v17, s3
	s_ashr_i32 s3, s2, 31
	v_addc_co_u32_e32 v17, vcc, v1, v17, vcc
	s_lshl_b64 s[2:3], s[2:3], 1
	v_mov_b32_e32 v19, s3
	v_add_co_u32_e32 v18, vcc, s2, v0
	v_addc_co_u32_e32 v19, vcc, v1, v19, vcc
	global_load_ushort v66, v[4:5], off
	global_load_ushort v65, v[6:7], off
	;; [unrolled: 1-line block ×8, first 2 shown]
	s_cmpk_lt_u32 s33, 0x2001
	v_mov_b32_e32 v35, 0
	v_mov_b32_e32 v33, 0
	;; [unrolled: 1-line block ×32, first 2 shown]
	s_cbranch_scc1 .LBB210_12
; %bb.11:
	s_cmpk_lt_u32 s33, 0x2101
	s_cselect_b32 s2, s8, 0x840
	s_ashr_i32 s3, s2, 31
	s_lshl_b64 s[2:3], s[2:3], 1
	s_cmpk_lt_u32 s33, 0x2201
	v_add_co_u32_e32 v4, vcc, s2, v0
	s_cselect_b32 s2, s8, 0x880
	v_mov_b32_e32 v5, s3
	s_ashr_i32 s3, s2, 31
	s_lshl_b64 s[2:3], s[2:3], 1
	v_addc_co_u32_e32 v5, vcc, v1, v5, vcc
	s_cmpk_lt_u32 s33, 0x2301
	v_add_co_u32_e32 v6, vcc, s2, v0
	s_cselect_b32 s2, s8, 0x8c0
	v_mov_b32_e32 v7, s3
	s_ashr_i32 s3, s2, 31
	s_lshl_b64 s[2:3], s[2:3], 1
	v_addc_co_u32_e32 v7, vcc, v1, v7, vcc
	;; [unrolled: 7-line block ×30, first 2 shown]
	v_mov_b32_e32 v67, s3
	s_movk_i32 s3, 0x1000
	v_add_co_u32_e32 v96, vcc, s3, v0
	v_addc_co_u32_e32 v97, vcc, 0, v1, vcc
	global_load_ushort v98, v[96:97], off
	global_load_ushort v99, v[4:5], off
	;; [unrolled: 1-line block ×15, first 2 shown]
                                        ; kill: killed $vgpr16 killed $vgpr17
                                        ; kill: killed $vgpr22 killed $vgpr23
                                        ; kill: killed $vgpr6 killed $vgpr7
                                        ; kill: killed $vgpr96 killed $vgpr97
                                        ; kill: killed $vgpr34 killed $vgpr35
                                        ; kill: killed $vgpr12 killed $vgpr13
                                        ; kill: killed $vgpr18 killed $vgpr19
                                        ; kill: killed $vgpr26 killed $vgpr27
                                        ; kill: killed $vgpr8 killed $vgpr9
                                        ; kill: killed $vgpr68 killed $vgpr69
                                        ; kill: killed $vgpr14 killed $vgpr15
                                        ; kill: killed $vgpr20 killed $vgpr21
                                        ; kill: killed $vgpr4 killed $vgpr5
                                        ; kill: killed $vgpr30 killed $vgpr31
                                        ; kill: killed $vgpr10 killed $vgpr11
	global_load_ushort v6, v[24:25], off
	global_load_ushort v7, v[28:29], off
	;; [unrolled: 1-line block ×15, first 2 shown]
                                        ; kill: killed $vgpr80 killed $vgpr81
                                        ; kill: killed $vgpr24 killed $vgpr25
                                        ; kill: killed $vgpr70 killed $vgpr71
                                        ; kill: killed $vgpr92 killed $vgpr93
                                        ; kill: killed $vgpr76 killed $vgpr77
                                        ; kill: killed $vgpr82 killed $vgpr83
                                        ; kill: killed $vgpr28 killed $vgpr29
                                        ; kill: killed $vgpr88 killed $vgpr89
                                        ; kill: killed $vgpr72 killed $vgpr73
                                        ; kill: killed $vgpr94 killed $vgpr95
                                        ; kill: killed $vgpr78 killed $vgpr79
                                        ; kill: killed $vgpr84 killed $vgpr85
                                        ; kill: killed $vgpr32 killed $vgpr33
                                        ; kill: killed $vgpr90 killed $vgpr91
                                        ; kill: killed $vgpr74 killed $vgpr75
	global_load_ushort v70, v[86:87], off
	v_add_co_u32_e32 v4, vcc, s2, v0
	v_addc_co_u32_e32 v5, vcc, v1, v67, vcc
	global_load_ushort v5, v[4:5], off
	s_waitcnt vmcnt(31)
	v_lshlrev_b32_e32 v35, 16, v98
	s_waitcnt vmcnt(30)
	v_lshlrev_b32_e32 v33, 16, v99
	;; [unrolled: 2-line block ×32, first 2 shown]
.LBB210_12:
	ds_read_b128 v[68:71], v3
	s_waitcnt vmcnt(15)
	v_lshlrev_b32_e32 v42, 16, v42
	s_waitcnt vmcnt(14)
	v_lshlrev_b32_e32 v41, 16, v41
	ds_read_b128 v[72:75], v3 offset:16
	ds_read_b128 v[76:79], v3 offset:32
	;; [unrolled: 1-line block ×3, first 2 shown]
	s_waitcnt vmcnt(13)
	v_lshlrev_b32_e32 v40, 16, v40
	s_waitcnt lgkmcnt(3)
	v_fma_f32 v42, v68, v42, 0
	v_fmac_f32_e32 v42, v69, v41
	v_fmac_f32_e32 v42, v70, v40
	s_waitcnt vmcnt(12)
	v_lshlrev_b32_e32 v39, 16, v39
	v_fmac_f32_e32 v42, v71, v39
	s_waitcnt vmcnt(10)
	v_lshlrev_b32_e32 v39, 16, v38
	v_lshlrev_b32_e32 v38, 16, v37
	s_waitcnt lgkmcnt(2)
	v_pk_mul_f32 v[38:39], v[72:73], v[38:39]
	v_add_f32_e32 v37, v42, v38
	v_add_f32_e32 v38, v37, v39
	s_waitcnt vmcnt(8)
	v_lshlrev_b32_e32 v37, 16, v36
	v_lshlrev_b32_e32 v36, 16, v2
	v_pk_mul_f32 v[36:37], v[74:75], v[36:37]
	v_add_f32_e32 v2, v38, v36
	v_add_f32_e32 v2, v2, v37
	s_waitcnt vmcnt(6)
	v_lshlrev_b32_e32 v37, 16, v50
	v_lshlrev_b32_e32 v36, 16, v49
	s_waitcnt lgkmcnt(1)
	v_pk_mul_f32 v[36:37], v[76:77], v[36:37]
	v_add_f32_e32 v2, v2, v36
	v_add_f32_e32 v2, v2, v37
	s_waitcnt vmcnt(4)
	v_lshlrev_b32_e32 v37, 16, v48
	v_lshlrev_b32_e32 v36, 16, v47
	v_pk_mul_f32 v[36:37], v[78:79], v[36:37]
	v_add_f32_e32 v2, v2, v36
	v_add_f32_e32 v2, v2, v37
	s_waitcnt vmcnt(2)
	v_lshlrev_b32_e32 v37, 16, v46
	v_lshlrev_b32_e32 v36, 16, v45
	s_waitcnt lgkmcnt(0)
	v_pk_mul_f32 v[36:37], v[80:81], v[36:37]
	v_add_f32_e32 v2, v2, v36
	v_add_f32_e32 v2, v2, v37
	s_waitcnt vmcnt(0)
	v_lshlrev_b32_e32 v37, 16, v44
	v_lshlrev_b32_e32 v36, 16, v43
	v_pk_mul_f32 v[36:37], v[82:83], v[36:37]
	v_add_f32_e32 v2, v2, v36
	s_andn2_b64 vcc, exec, s[0:1]
	v_add_f32_e32 v119, v2, v37
	s_cbranch_vccnz .LBB210_15
; %bb.13:
	ds_read_b128 v[36:39], v3 offset:64
	v_lshlrev_b32_e32 v2, 16, v58
	ds_read_b128 v[40:43], v3 offset:80
	ds_read_b128 v[44:47], v3 offset:96
	;; [unrolled: 1-line block ×3, first 2 shown]
	s_cmpk_lt_u32 s33, 0x2001
	s_waitcnt lgkmcnt(3)
	v_fmac_f32_e32 v119, v36, v2
	v_lshlrev_b32_e32 v2, 16, v57
	v_fmac_f32_e32 v119, v37, v2
	v_lshlrev_b32_e32 v2, 16, v56
	v_fmac_f32_e32 v119, v38, v2
	v_lshlrev_b32_e32 v2, 16, v55
	v_fmac_f32_e32 v119, v39, v2
	v_lshlrev_b32_e32 v2, 16, v54
	s_waitcnt lgkmcnt(2)
	v_fmac_f32_e32 v119, v40, v2
	v_lshlrev_b32_e32 v2, 16, v53
	v_fmac_f32_e32 v119, v41, v2
	v_lshlrev_b32_e32 v2, 16, v52
	v_fmac_f32_e32 v119, v42, v2
	v_lshlrev_b32_e32 v2, 16, v51
	v_fmac_f32_e32 v119, v43, v2
	v_lshlrev_b32_e32 v2, 16, v66
	s_waitcnt lgkmcnt(1)
	v_fmac_f32_e32 v119, v44, v2
	v_lshlrev_b32_e32 v2, 16, v65
	v_fmac_f32_e32 v119, v45, v2
	v_lshlrev_b32_e32 v2, 16, v64
	v_fmac_f32_e32 v119, v46, v2
	v_lshlrev_b32_e32 v2, 16, v63
	v_fmac_f32_e32 v119, v47, v2
	v_lshlrev_b32_e32 v2, 16, v62
	s_waitcnt lgkmcnt(0)
	v_fmac_f32_e32 v119, v68, v2
	v_lshlrev_b32_e32 v2, 16, v61
	v_fmac_f32_e32 v119, v69, v2
	v_lshlrev_b32_e32 v2, 16, v60
	;; [unrolled: 2-line block ×3, first 2 shown]
	v_fmac_f32_e32 v119, v71, v2
	s_cbranch_scc1 .LBB210_15
; %bb.14:
	v_mov_b32_e32 v52, 0
	ds_read_b128 v[36:39], v52 offset:128
	ds_read_b128 v[40:43], v52 offset:144
	;; [unrolled: 1-line block ×4, first 2 shown]
	s_waitcnt lgkmcnt(3)
	v_fmac_f32_e32 v119, v36, v35
	v_fmac_f32_e32 v119, v37, v33
	v_fmac_f32_e32 v119, v38, v34
	v_fmac_f32_e32 v119, v39, v31
	s_waitcnt lgkmcnt(2)
	v_fmac_f32_e32 v119, v40, v32
	v_fmac_f32_e32 v119, v41, v29
	v_fmac_f32_e32 v119, v42, v30
	v_fmac_f32_e32 v119, v43, v27
	;; [unrolled: 5-line block ×3, first 2 shown]
	s_waitcnt lgkmcnt(0)
	v_fmac_f32_e32 v119, v48, v24
	ds_read_b128 v[24:27], v52 offset:192
	v_fmac_f32_e32 v119, v49, v21
	v_fmac_f32_e32 v119, v50, v22
	;; [unrolled: 1-line block ×3, first 2 shown]
	ds_read_b128 v[20:23], v52 offset:208
	s_waitcnt lgkmcnt(1)
	v_fmac_f32_e32 v119, v24, v19
	v_fmac_f32_e32 v119, v25, v17
	;; [unrolled: 1-line block ×4, first 2 shown]
	s_waitcnt lgkmcnt(0)
	v_pk_mul_f32 v[2:3], v[20:21], v[14:15]
	ds_read_b128 v[14:17], v52 offset:224
	v_add_f32_e32 v2, v119, v2
	v_add_f32_e32 v18, v2, v3
	v_pk_mul_f32 v[2:3], v[22:23], v[12:13]
	v_add_f32_e32 v2, v18, v2
	ds_read_b128 v[18:21], v52 offset:240
	v_add_f32_e32 v12, v2, v3
	s_waitcnt lgkmcnt(1)
	v_pk_mul_f32 v[2:3], v[14:15], v[10:11]
	v_add_f32_e32 v2, v12, v2
	v_add_f32_e32 v10, v2, v3
	v_pk_mul_f32 v[2:3], v[16:17], v[8:9]
	v_add_f32_e32 v2, v10, v2
	v_add_f32_e32 v8, v2, v3
	s_waitcnt lgkmcnt(0)
	v_pk_mul_f32 v[2:3], v[18:19], v[6:7]
	v_add_f32_e32 v2, v8, v2
	v_add_f32_e32 v6, v2, v3
	v_pk_mul_f32 v[2:3], v[20:21], v[4:5]
	v_add_f32_e32 v2, v6, v2
	v_add_f32_e32 v119, v2, v3
.LBB210_15:
	s_cmpk_lt_i32 s33, 0x4001
	s_cbranch_scc0 .LBB210_26
; %bb.16:
	s_load_dwordx2 s[0:1], s[4:5], 0x38
	s_cmp_lt_i32 s33, 0x8001
	s_cbranch_scc0 .LBB210_27
.LBB210_17:
	v_mov_b32_e32 v0, 0
	ds_read_b32 v0, v0 offset:768
	s_waitcnt lgkmcnt(0)
	s_cmp_eq_u64 s[0:1], 0
	s_cbranch_scc1 .LBB210_28
.LBB210_18:
	s_load_dword s2, s[0:1], 0x0
	s_waitcnt lgkmcnt(0)
	v_div_scale_f32 v1, s[0:1], s2, s2, 1.0
	v_rcp_f32_e32 v2, v1
	v_div_scale_f32 v3, vcc, 1.0, s2, 1.0
	v_fma_f32 v4, -v1, v2, 1.0
	v_fmac_f32_e32 v2, v4, v2
	v_mul_f32_e32 v4, v3, v2
	v_fma_f32 v5, -v1, v4, v3
	v_fmac_f32_e32 v4, v5, v2
	v_fma_f32 v1, -v1, v4, v3
	v_div_fmas_f32 v1, v1, v2, v4
	v_div_fixup_f32 v1, v1, s2, 1.0
	s_andn2_b64 vcc, exec, s[22:23]
	s_cbranch_vccnz .LBB210_20
.LBB210_19:
	s_add_u32 s0, s20, s24
	s_addc_u32 s1, s21, s25
	s_load_dword s10, s[0:1], 0x0
	s_mov_b32 s11, 0
.LBB210_20:
	s_waitcnt lgkmcnt(0)
	v_add_f32_e32 v0, 0x358637bd, v0
	v_div_scale_f32 v2, s[0:1], v0, v0, 1.0
	v_rcp_f32_e32 v3, v2
	s_load_dwordx2 s[0:1], s[4:5], 0x0
	s_mov_b32 s2, 0x7f800000
	v_fma_f32 v4, -v2, v3, 1.0
	v_fmac_f32_e32 v3, v4, v3
	v_div_scale_f32 v4, vcc, 1.0, v0, 1.0
	v_mul_f32_e32 v5, v4, v3
	v_fma_f32 v6, -v2, v5, v4
	v_fmac_f32_e32 v5, v6, v3
	v_fma_f32 v2, -v2, v5, v4
	v_div_fmas_f32 v2, v2, v3, v5
	v_div_fixup_f32 v0, v2, v0, 1.0
	v_mul_f32_e32 v0, v119, v0
	v_mul_f32_e32 v1, v0, v1
	v_and_b32_e32 v0, 0x7f800000, v1
	v_cmp_ne_u32_e32 vcc, s2, v0
                                        ; implicit-def: $vgpr0
	s_and_saveexec_b64 s[2:3], vcc
	s_xor_b64 s[2:3], exec, s[2:3]
; %bb.21:
	v_bfe_u32 v0, v1, 16, 1
	s_movk_i32 s4, 0x7fff
	v_add3_u32 v0, v1, v0, s4
                                        ; implicit-def: $vgpr1
; %bb.22:
	s_andn2_saveexec_b64 s[2:3], s[2:3]
; %bb.23:
	v_mov_b32_e32 v0, 0
	v_or_b32_e32 v2, 0x10000, v1
	v_cmp_eq_u32_sdwa vcc, v1, v0 src0_sel:WORD_0 src1_sel:DWORD
	v_cndmask_b32_e32 v0, v2, v1, vcc
; %bb.24:
	s_or_b64 exec, exec, s[2:3]
	s_mul_i32 s2, s7, s11
	s_mul_hi_u32 s3, s7, s10
	s_add_i32 s3, s3, s2
	s_mul_i32 s2, s7, s10
	s_lshl_b64 s[2:3], s[2:3], 7
	s_waitcnt lgkmcnt(0)
	s_add_u32 s2, s0, s2
	s_mov_b32 s7, 0
	s_addc_u32 s3, s1, s3
	s_lshl_b64 s[0:1], s[6:7], 7
	s_add_u32 s0, s2, s0
	s_addc_u32 s1, s3, s1
	global_store_short_d16_hi v118, v0, s[0:1]
	s_endpgm
.LBB210_25:
	s_mov_b64 s[2:3], 0
	s_branch .LBB210_2
.LBB210_26:
	s_cmpk_lt_i32 s33, 0x4101
	s_cselect_b32 s0, s8, 0x1040
	s_ashr_i32 s1, s0, 31
	s_lshl_b64 s[0:1], s[0:1], 1
	s_cmpk_lt_i32 s33, 0x4201
	v_add_co_u32_e32 v30, vcc, s0, v0
	s_cselect_b32 s0, s8, 0x1080
	v_mov_b32_e32 v2, s1
	s_ashr_i32 s1, s0, 31
	s_lshl_b64 s[0:1], s[0:1], 1
	v_addc_co_u32_e32 v31, vcc, v1, v2, vcc
	s_cmpk_lt_i32 s33, 0x4301
	v_add_co_u32_e32 v32, vcc, s0, v0
	s_cselect_b32 s0, s8, 0x10c0
	v_mov_b32_e32 v2, s1
	s_ashr_i32 s1, s0, 31
	s_lshl_b64 s[0:1], s[0:1], 1
	v_addc_co_u32_e32 v33, vcc, v1, v2, vcc
	;; [unrolled: 7-line block ×55, first 2 shown]
	s_cmpk_lt_i32 s33, 0x7901
	v_add_co_u32_e32 v112, vcc, s0, v0
	s_cselect_b32 s0, s8, 0x1e40
	v_mov_b32_e32 v113, s1
	s_ashr_i32 s1, s0, 31
	v_addc_co_u32_e32 v113, vcc, v1, v113, vcc
	s_lshl_b64 s[0:1], s[0:1], 1
	v_mov_b32_e32 v115, s1
	v_add_co_u32_e32 v114, vcc, s0, v0
	v_addc_co_u32_e32 v115, vcc, v1, v115, vcc
	s_movk_i32 s0, 0x2000
	v_add_co_u32_e32 v116, vcc, s0, v0
	v_addc_co_u32_e32 v117, vcc, 0, v1, vcc
	global_load_ushort v120, v[116:117], off
	global_load_ushort v125, v[42:43], off
	;; [unrolled: 1-line block ×8, first 2 shown]
	s_cmpk_lt_i32 s33, 0x7a01
	global_load_ushort v44, v[52:53], off
	global_load_ushort v45, v[56:57], off
	;; [unrolled: 1-line block ×4, first 2 shown]
	s_cselect_b32 s0, s8, 0x1e80
	global_load_ushort v52, v[64:65], off
	global_load_ushort v53, v[66:67], off
	;; [unrolled: 1-line block ×5, first 2 shown]
	s_ashr_i32 s1, s0, 31
	s_lshl_b64 s[0:1], s[0:1], 1
	s_cmpk_lt_i32 s33, 0x7b01
	v_add_co_u32_e32 v116, vcc, s0, v0
	s_cselect_b32 s0, s8, 0x1ec0
	v_mov_b32_e32 v117, s1
	s_ashr_i32 s1, s0, 31
	s_lshl_b64 s[0:1], s[0:1], 1
	v_addc_co_u32_e32 v117, vcc, v1, v117, vcc
	s_cmpk_lt_i32 s33, 0x7c01
	v_add_co_u32_e32 v30, vcc, s0, v0
	s_cselect_b32 s0, s8, 0x1f00
	v_mov_b32_e32 v31, s1
	s_ashr_i32 s1, s0, 31
	s_lshl_b64 s[0:1], s[0:1], 1
	v_addc_co_u32_e32 v31, vcc, v1, v31, vcc
	;; [unrolled: 7-line block ×4, first 2 shown]
	s_cmpk_lt_i32 s33, 0x7f01
	v_add_co_u32_e32 v40, vcc, s0, v0
	s_cselect_b32 s0, s8, 0x1fc0
	v_mov_b32_e32 v41, s1
	s_ashr_i32 s1, s0, 31
	v_addc_co_u32_e32 v41, vcc, v1, v41, vcc
	s_lshl_b64 s[0:1], s[0:1], 1
	v_mov_b32_e32 v43, s1
	v_add_co_u32_e32 v42, vcc, s0, v0
	v_addc_co_u32_e32 v43, vcc, v1, v43, vcc
	global_load_ushort v59, v[2:3], off
	global_load_ushort v62, v[4:5], off
	;; [unrolled: 1-line block ×10, first 2 shown]
	v_mov_b32_e32 v37, 0
	global_load_ushort v40, v[8:9], off
	ds_read_b128 v[2:5], v37 offset:256
	ds_read_b128 v[6:9], v37 offset:272
	global_load_ushort v41, v[10:11], off
	global_load_ushort v42, v[12:13], off
	ds_read_b128 v[10:13], v37 offset:288
	ds_read_b128 v[30:33], v37 offset:304
	global_load_ushort v14, v[14:15], off
	s_waitcnt vmcnt(30)
	v_lshlrev_b32_e32 v36, 16, v120
	s_waitcnt lgkmcnt(3)
	v_fmac_f32_e32 v119, v2, v36
	s_waitcnt vmcnt(28)
	v_lshlrev_b32_e32 v2, 16, v121
	v_fmac_f32_e32 v119, v3, v2
	s_waitcnt vmcnt(27)
	v_lshlrev_b32_e32 v2, 16, v122
	;; [unrolled: 3-line block ×4, first 2 shown]
	s_waitcnt lgkmcnt(2)
	v_fmac_f32_e32 v119, v6, v2
	v_lshlrev_b32_e32 v2, 16, v125
	v_fmac_f32_e32 v119, v7, v2
	s_waitcnt vmcnt(24)
	v_lshlrev_b32_e32 v2, 16, v126
	v_fmac_f32_e32 v119, v8, v2
	s_waitcnt vmcnt(23)
	;; [unrolled: 3-line block ×3, first 2 shown]
	v_lshlrev_b32_e32 v2, 16, v44
	s_waitcnt lgkmcnt(1)
	v_fmac_f32_e32 v119, v10, v2
	global_load_ushort v10, v[54:55], off
	s_waitcnt vmcnt(22)
	v_lshlrev_b32_e32 v2, 16, v45
	v_fmac_f32_e32 v119, v11, v2
	s_waitcnt vmcnt(21)
	v_lshlrev_b32_e32 v2, 16, v50
	v_fmac_f32_e32 v119, v12, v2
	;; [unrolled: 3-line block ×3, first 2 shown]
	s_waitcnt vmcnt(19)
	v_lshlrev_b32_e32 v2, 16, v52
	s_waitcnt lgkmcnt(0)
	v_fmac_f32_e32 v119, v30, v2
	global_load_ushort v30, v[86:87], off
	global_load_ushort v36, v[96:97], off
	;; [unrolled: 1-line block ×4, first 2 shown]
	s_waitcnt vmcnt(22)
	v_lshlrev_b32_e32 v2, 16, v53
	v_fmac_f32_e32 v119, v31, v2
	global_load_ushort v31, v[88:89], off
	global_load_ushort v16, v[18:19], off
	;; [unrolled: 1-line block ×4, first 2 shown]
	s_waitcnt vmcnt(25)
	v_lshlrev_b32_e32 v2, 16, v56
	v_fmac_f32_e32 v119, v32, v2
	global_load_ushort v32, v[90:91], off
	global_load_ushort v18, v[22:23], off
	;; [unrolled: 1-line block ×6, first 2 shown]
	s_waitcnt vmcnt(30)
	v_lshlrev_b32_e32 v2, 16, v57
	v_fmac_f32_e32 v119, v33, v2
	global_load_ushort v33, v[94:95], off
	global_load_ushort v22, v[34:35], off
	;; [unrolled: 1-line block ×10, first 2 shown]
	ds_read_b128 v[2:5], v37 offset:320
	ds_read_b128 v[6:9], v37 offset:336
	s_waitcnt vmcnt(39)
	v_lshlrev_b32_e32 v35, 16, v58
	global_load_ushort v38, v[100:101], off
	s_waitcnt lgkmcnt(1)
	v_fmac_f32_e32 v119, v2, v35
	global_load_ushort v35, v[98:99], off
	global_load_ushort v39, v[102:103], off
	;; [unrolled: 1-line block ×6, first 2 shown]
	s_waitcnt vmcnt(45)
	v_lshlrev_b32_e32 v2, 16, v59
	v_fmac_f32_e32 v119, v3, v2
	s_waitcnt vmcnt(44)
	v_lshlrev_b32_e32 v2, 16, v62
	v_fmac_f32_e32 v119, v4, v2
	;; [unrolled: 3-line block ×3, first 2 shown]
	s_waitcnt vmcnt(35)
	v_lshlrev_b32_e32 v2, 16, v40
	global_load_ushort v40, v[112:113], off
	s_waitcnt lgkmcnt(0)
	v_fmac_f32_e32 v119, v6, v2
	s_waitcnt vmcnt(35)
	v_lshlrev_b32_e32 v2, 16, v41
	v_fmac_f32_e32 v119, v7, v2
	s_waitcnt vmcnt(34)
	v_lshlrev_b32_e32 v2, 16, v42
	v_fmac_f32_e32 v119, v8, v2
	ds_read_b128 v[2:5], v37 offset:352
	s_waitcnt vmcnt(33)
	v_lshlrev_b32_e32 v6, 16, v14
	v_fmac_f32_e32 v119, v9, v6
	ds_read_b128 v[6:9], v37 offset:368
	s_waitcnt vmcnt(29)
	v_lshlrev_b32_e32 v14, 16, v15
	s_waitcnt lgkmcnt(1)
	v_fmac_f32_e32 v119, v2, v14
	s_waitcnt vmcnt(26)
	v_lshlrev_b32_e32 v2, 16, v16
	v_fmac_f32_e32 v119, v3, v2
	s_waitcnt vmcnt(25)
	v_lshlrev_b32_e32 v2, 16, v17
	;; [unrolled: 3-line block ×4, first 2 shown]
	s_waitcnt lgkmcnt(0)
	v_fmac_f32_e32 v119, v6, v2
	s_waitcnt vmcnt(20)
	v_lshlrev_b32_e32 v2, 16, v20
	v_fmac_f32_e32 v119, v7, v2
	s_waitcnt vmcnt(19)
	v_lshlrev_b32_e32 v2, 16, v21
	v_fmac_f32_e32 v119, v8, v2
	ds_read_b128 v[2:5], v37 offset:384
	s_waitcnt vmcnt(16)
	v_lshlrev_b32_e32 v6, 16, v22
	v_fmac_f32_e32 v119, v9, v6
	ds_read_b128 v[6:9], v37 offset:400
	s_waitcnt vmcnt(15)
	v_lshlrev_b32_e32 v14, 16, v23
	s_waitcnt lgkmcnt(1)
	v_fmac_f32_e32 v119, v2, v14
	s_waitcnt vmcnt(14)
	v_lshlrev_b32_e32 v2, 16, v24
	v_fmac_f32_e32 v119, v3, v2
	s_waitcnt vmcnt(13)
	v_lshlrev_b32_e32 v2, 16, v25
	v_fmac_f32_e32 v119, v4, v2
	v_lshlrev_b32_e32 v2, 16, v10
	v_fmac_f32_e32 v119, v5, v2
	s_waitcnt vmcnt(12)
	v_lshlrev_b32_e32 v2, 16, v26
	s_waitcnt lgkmcnt(0)
	v_fmac_f32_e32 v119, v6, v2
	v_lshlrev_b32_e32 v2, 16, v11
	v_fmac_f32_e32 v119, v7, v2
	s_waitcnt vmcnt(11)
	v_lshlrev_b32_e32 v2, 16, v27
	v_fmac_f32_e32 v119, v8, v2
	ds_read_b128 v[2:5], v37 offset:416
	v_lshlrev_b32_e32 v6, 16, v12
	v_fmac_f32_e32 v119, v9, v6
	ds_read_b128 v[6:9], v37 offset:432
	v_lshlrev_b32_e32 v10, 16, v13
	s_waitcnt lgkmcnt(1)
	v_fmac_f32_e32 v119, v2, v10
	s_waitcnt vmcnt(10)
	v_lshlrev_b32_e32 v2, 16, v28
	v_fmac_f32_e32 v119, v3, v2
	s_waitcnt vmcnt(9)
	v_lshlrev_b32_e32 v2, 16, v29
	v_fmac_f32_e32 v119, v4, v2
	v_lshlrev_b32_e32 v2, 16, v30
	v_fmac_f32_e32 v119, v5, v2
	v_lshlrev_b32_e32 v2, 16, v31
	s_waitcnt lgkmcnt(0)
	v_fmac_f32_e32 v119, v6, v2
	v_lshlrev_b32_e32 v2, 16, v32
	v_fmac_f32_e32 v119, v7, v2
	s_waitcnt vmcnt(8)
	v_lshlrev_b32_e32 v2, 16, v34
	v_fmac_f32_e32 v119, v8, v2
	ds_read_b128 v[2:5], v37 offset:448
	v_lshlrev_b32_e32 v6, 16, v33
	v_fmac_f32_e32 v119, v9, v6
	ds_read_b128 v[6:9], v37 offset:464
	v_lshlrev_b32_e32 v10, 16, v36
	s_waitcnt lgkmcnt(1)
	v_fmac_f32_e32 v119, v2, v10
	s_waitcnt vmcnt(6)
	v_lshlrev_b32_e32 v2, 16, v35
	v_fmac_f32_e32 v119, v3, v2
	v_lshlrev_b32_e32 v2, 16, v38
	v_fmac_f32_e32 v119, v4, v2
	s_waitcnt vmcnt(5)
	v_lshlrev_b32_e32 v2, 16, v39
	v_fmac_f32_e32 v119, v5, v2
	s_waitcnt vmcnt(3)
	v_lshlrev_b32_e32 v3, 16, v44
	v_lshlrev_b32_e32 v2, 16, v43
	s_waitcnt lgkmcnt(0)
	v_pk_mul_f32 v[2:3], v[6:7], v[2:3]
	v_add_f32_e32 v2, v119, v2
	v_add_f32_e32 v4, v2, v3
	s_waitcnt vmcnt(1)
	v_lshlrev_b32_e32 v3, 16, v46
	v_lshlrev_b32_e32 v2, 16, v45
	v_pk_mul_f32 v[6:7], v[8:9], v[2:3]
	v_add_f32_e32 v6, v4, v6
	ds_read_b128 v[2:5], v37 offset:480
	v_lshlrev_b32_e32 v11, 16, v63
	s_waitcnt vmcnt(0)
	v_lshlrev_b32_e32 v10, 16, v40
	v_add_f32_e32 v12, v6, v7
	ds_read_b128 v[6:9], v37 offset:496
	s_waitcnt lgkmcnt(1)
	v_pk_mul_f32 v[2:3], v[2:3], v[10:11]
	v_add_f32_e32 v2, v12, v2
	v_add_f32_e32 v10, v2, v3
	v_lshlrev_b32_e32 v3, 16, v65
	v_lshlrev_b32_e32 v2, 16, v64
	v_pk_mul_f32 v[2:3], v[4:5], v[2:3]
	v_add_f32_e32 v2, v10, v2
	v_add_f32_e32 v4, v2, v3
	v_lshlrev_b32_e32 v3, 16, v67
	v_lshlrev_b32_e32 v2, 16, v66
	s_waitcnt lgkmcnt(0)
	v_pk_mul_f32 v[2:3], v[6:7], v[2:3]
	v_add_f32_e32 v2, v4, v2
	v_add_f32_e32 v4, v2, v3
	v_lshlrev_b32_e32 v3, 16, v73
	v_lshlrev_b32_e32 v2, 16, v72
	v_pk_mul_f32 v[2:3], v[8:9], v[2:3]
	v_add_f32_e32 v2, v4, v2
	v_add_f32_e32 v119, v2, v3
	s_load_dwordx2 s[0:1], s[4:5], 0x38
	s_cmp_lt_i32 s33, 0x8001
	s_cbranch_scc1 .LBB210_17
.LBB210_27:
	s_cmp_lt_i32 s33, 0x8101
	s_cselect_b32 s2, s8, 0x2040
	s_ashr_i32 s3, s2, 31
	s_lshl_b64 s[2:3], s[2:3], 1
	s_cmp_lt_i32 s33, 0x8201
	v_add_co_u32_e32 v30, vcc, s2, v0
	s_cselect_b32 s2, s8, 0x2080
	v_mov_b32_e32 v2, s3
	s_ashr_i32 s3, s2, 31
	s_lshl_b64 s[2:3], s[2:3], 1
	v_addc_co_u32_e32 v31, vcc, v1, v2, vcc
	s_cmp_lt_i32 s33, 0x8301
	v_add_co_u32_e32 v32, vcc, s2, v0
	s_cselect_b32 s2, s8, 0x20c0
	v_mov_b32_e32 v2, s3
	s_ashr_i32 s3, s2, 31
	s_lshl_b64 s[2:3], s[2:3], 1
	v_addc_co_u32_e32 v33, vcc, v1, v2, vcc
	s_cmp_lt_i32 s33, 0x8401
	v_add_co_u32_e32 v36, vcc, s2, v0
	s_cselect_b32 s2, s8, 0x2100
	v_mov_b32_e32 v2, s3
	s_ashr_i32 s3, s2, 31
	s_lshl_b64 s[2:3], s[2:3], 1
	v_addc_co_u32_e32 v37, vcc, v1, v2, vcc
	s_cmp_lt_i32 s33, 0x8501
	v_add_co_u32_e32 v40, vcc, s2, v0
	s_cselect_b32 s2, s8, 0x2140
	v_mov_b32_e32 v2, s3
	s_ashr_i32 s3, s2, 31
	s_lshl_b64 s[2:3], s[2:3], 1
	v_addc_co_u32_e32 v41, vcc, v1, v2, vcc
	s_cmp_lt_i32 s33, 0x8601
	v_add_co_u32_e32 v42, vcc, s2, v0
	s_cselect_b32 s2, s8, 0x2180
	v_mov_b32_e32 v2, s3
	s_ashr_i32 s3, s2, 31
	s_lshl_b64 s[2:3], s[2:3], 1
	v_addc_co_u32_e32 v43, vcc, v1, v2, vcc
	s_cmp_lt_i32 s33, 0x8701
	v_add_co_u32_e32 v44, vcc, s2, v0
	s_cselect_b32 s2, s8, 0x21c0
	v_mov_b32_e32 v2, s3
	s_ashr_i32 s3, s2, 31
	s_lshl_b64 s[2:3], s[2:3], 1
	v_addc_co_u32_e32 v45, vcc, v1, v2, vcc
	s_cmp_lt_i32 s33, 0x8801
	v_add_co_u32_e32 v50, vcc, s2, v0
	s_cselect_b32 s2, s8, 0x2200
	v_mov_b32_e32 v2, s3
	s_ashr_i32 s3, s2, 31
	s_lshl_b64 s[2:3], s[2:3], 1
	v_addc_co_u32_e32 v51, vcc, v1, v2, vcc
	s_cmp_lt_i32 s33, 0x8901
	v_add_co_u32_e32 v52, vcc, s2, v0
	s_cselect_b32 s2, s8, 0x2240
	v_mov_b32_e32 v2, s3
	s_ashr_i32 s3, s2, 31
	s_lshl_b64 s[2:3], s[2:3], 1
	v_addc_co_u32_e32 v53, vcc, v1, v2, vcc
	s_cmp_lt_i32 s33, 0x8a01
	v_add_co_u32_e32 v56, vcc, s2, v0
	s_cselect_b32 s2, s8, 0x2280
	v_mov_b32_e32 v2, s3
	s_ashr_i32 s3, s2, 31
	s_lshl_b64 s[2:3], s[2:3], 1
	v_addc_co_u32_e32 v57, vcc, v1, v2, vcc
	s_cmp_lt_i32 s33, 0x8b01
	v_add_co_u32_e32 v58, vcc, s2, v0
	s_cselect_b32 s2, s8, 0x22c0
	v_mov_b32_e32 v2, s3
	s_ashr_i32 s3, s2, 31
	s_lshl_b64 s[2:3], s[2:3], 1
	v_addc_co_u32_e32 v59, vcc, v1, v2, vcc
	s_cmp_lt_i32 s33, 0x8c01
	v_add_co_u32_e32 v62, vcc, s2, v0
	s_cselect_b32 s2, s8, 0x2300
	v_mov_b32_e32 v2, s3
	s_ashr_i32 s3, s2, 31
	s_lshl_b64 s[2:3], s[2:3], 1
	v_addc_co_u32_e32 v63, vcc, v1, v2, vcc
	s_cmp_lt_i32 s33, 0x8d01
	v_add_co_u32_e32 v64, vcc, s2, v0
	s_cselect_b32 s2, s8, 0x2340
	v_mov_b32_e32 v2, s3
	s_ashr_i32 s3, s2, 31
	s_lshl_b64 s[2:3], s[2:3], 1
	v_addc_co_u32_e32 v65, vcc, v1, v2, vcc
	s_cmp_lt_i32 s33, 0x8e01
	v_add_co_u32_e32 v66, vcc, s2, v0
	s_cselect_b32 s2, s8, 0x2380
	v_mov_b32_e32 v2, s3
	s_ashr_i32 s3, s2, 31
	s_lshl_b64 s[2:3], s[2:3], 1
	v_addc_co_u32_e32 v67, vcc, v1, v2, vcc
	s_cmp_lt_i32 s33, 0x8f01
	v_add_co_u32_e32 v72, vcc, s2, v0
	s_cselect_b32 s2, s8, 0x23c0
	v_mov_b32_e32 v2, s3
	s_ashr_i32 s3, s2, 31
	s_lshl_b64 s[2:3], s[2:3], 1
	v_addc_co_u32_e32 v73, vcc, v1, v2, vcc
	s_cmp_lt_i32 s33, 0x9001
	v_add_co_u32_e32 v74, vcc, s2, v0
	s_cselect_b32 s2, s8, 0x2400
	v_mov_b32_e32 v2, s3
	s_ashr_i32 s3, s2, 31
	s_lshl_b64 s[2:3], s[2:3], 1
	v_addc_co_u32_e32 v75, vcc, v1, v2, vcc
	s_cmp_lt_i32 s33, 0x9101
	v_add_co_u32_e32 v78, vcc, s2, v0
	s_cselect_b32 s2, s8, 0x2440
	v_mov_b32_e32 v2, s3
	s_ashr_i32 s3, s2, 31
	s_lshl_b64 s[2:3], s[2:3], 1
	v_addc_co_u32_e32 v79, vcc, v1, v2, vcc
	s_cmp_lt_i32 s33, 0x9201
	v_add_co_u32_e32 v2, vcc, s2, v0
	s_cselect_b32 s2, s8, 0x2480
	v_mov_b32_e32 v3, s3
	s_ashr_i32 s3, s2, 31
	s_lshl_b64 s[2:3], s[2:3], 1
	v_addc_co_u32_e32 v3, vcc, v1, v3, vcc
	s_cmp_lt_i32 s33, 0x9301
	v_add_co_u32_e32 v4, vcc, s2, v0
	s_cselect_b32 s2, s8, 0x24c0
	v_mov_b32_e32 v5, s3
	s_ashr_i32 s3, s2, 31
	s_lshl_b64 s[2:3], s[2:3], 1
	v_addc_co_u32_e32 v5, vcc, v1, v5, vcc
	s_cmp_lt_i32 s33, 0x9401
	v_add_co_u32_e32 v6, vcc, s2, v0
	s_cselect_b32 s2, s8, 0x2500
	v_mov_b32_e32 v7, s3
	s_ashr_i32 s3, s2, 31
	s_lshl_b64 s[2:3], s[2:3], 1
	v_addc_co_u32_e32 v7, vcc, v1, v7, vcc
	s_cmp_lt_i32 s33, 0x9501
	v_add_co_u32_e32 v8, vcc, s2, v0
	s_cselect_b32 s2, s8, 0x2540
	v_mov_b32_e32 v9, s3
	s_ashr_i32 s3, s2, 31
	s_lshl_b64 s[2:3], s[2:3], 1
	v_addc_co_u32_e32 v9, vcc, v1, v9, vcc
	s_cmp_lt_i32 s33, 0x9601
	v_add_co_u32_e32 v10, vcc, s2, v0
	s_cselect_b32 s2, s8, 0x2580
	v_mov_b32_e32 v11, s3
	s_ashr_i32 s3, s2, 31
	s_lshl_b64 s[2:3], s[2:3], 1
	v_addc_co_u32_e32 v11, vcc, v1, v11, vcc
	s_cmp_lt_i32 s33, 0x9701
	v_add_co_u32_e32 v12, vcc, s2, v0
	s_cselect_b32 s2, s8, 0x25c0
	v_mov_b32_e32 v13, s3
	s_ashr_i32 s3, s2, 31
	s_lshl_b64 s[2:3], s[2:3], 1
	v_addc_co_u32_e32 v13, vcc, v1, v13, vcc
	s_cmp_lt_i32 s33, 0x9801
	v_add_co_u32_e32 v14, vcc, s2, v0
	s_cselect_b32 s2, s8, 0x2600
	v_mov_b32_e32 v15, s3
	s_ashr_i32 s3, s2, 31
	s_lshl_b64 s[2:3], s[2:3], 1
	v_addc_co_u32_e32 v15, vcc, v1, v15, vcc
	s_cmp_lt_i32 s33, 0x9901
	v_add_co_u32_e32 v16, vcc, s2, v0
	s_cselect_b32 s2, s8, 0x2640
	v_mov_b32_e32 v17, s3
	s_ashr_i32 s3, s2, 31
	s_lshl_b64 s[2:3], s[2:3], 1
	v_addc_co_u32_e32 v17, vcc, v1, v17, vcc
	s_cmp_lt_i32 s33, 0x9a01
	v_add_co_u32_e32 v18, vcc, s2, v0
	s_cselect_b32 s2, s8, 0x2680
	v_mov_b32_e32 v19, s3
	s_ashr_i32 s3, s2, 31
	s_lshl_b64 s[2:3], s[2:3], 1
	v_addc_co_u32_e32 v19, vcc, v1, v19, vcc
	s_cmp_lt_i32 s33, 0x9b01
	v_add_co_u32_e32 v20, vcc, s2, v0
	s_cselect_b32 s2, s8, 0x26c0
	v_mov_b32_e32 v21, s3
	s_ashr_i32 s3, s2, 31
	s_lshl_b64 s[2:3], s[2:3], 1
	v_addc_co_u32_e32 v21, vcc, v1, v21, vcc
	s_cmp_lt_i32 s33, 0x9c01
	v_add_co_u32_e32 v22, vcc, s2, v0
	s_cselect_b32 s2, s8, 0x2700
	v_mov_b32_e32 v23, s3
	s_ashr_i32 s3, s2, 31
	s_lshl_b64 s[2:3], s[2:3], 1
	v_addc_co_u32_e32 v23, vcc, v1, v23, vcc
	s_cmp_lt_i32 s33, 0x9d01
	v_add_co_u32_e32 v24, vcc, s2, v0
	s_cselect_b32 s2, s8, 0x2740
	v_mov_b32_e32 v25, s3
	s_ashr_i32 s3, s2, 31
	s_lshl_b64 s[2:3], s[2:3], 1
	v_addc_co_u32_e32 v25, vcc, v1, v25, vcc
	s_cmp_lt_i32 s33, 0x9e01
	v_add_co_u32_e32 v26, vcc, s2, v0
	s_cselect_b32 s2, s8, 0x2780
	v_mov_b32_e32 v27, s3
	s_ashr_i32 s3, s2, 31
	s_lshl_b64 s[2:3], s[2:3], 1
	v_addc_co_u32_e32 v27, vcc, v1, v27, vcc
	s_cmp_lt_i32 s33, 0x9f01
	v_add_co_u32_e32 v28, vcc, s2, v0
	s_cselect_b32 s2, s8, 0x27c0
	v_mov_b32_e32 v29, s3
	s_ashr_i32 s3, s2, 31
	s_lshl_b64 s[2:3], s[2:3], 1
	v_addc_co_u32_e32 v29, vcc, v1, v29, vcc
	s_cmp_lt_i32 s33, 0xa001
	v_add_co_u32_e32 v34, vcc, s2, v0
	s_cselect_b32 s2, s8, 0x2800
	v_mov_b32_e32 v35, s3
	s_ashr_i32 s3, s2, 31
	s_lshl_b64 s[2:3], s[2:3], 1
	v_addc_co_u32_e32 v35, vcc, v1, v35, vcc
	s_cmp_lt_i32 s33, 0xa101
	v_add_co_u32_e32 v38, vcc, s2, v0
	s_cselect_b32 s2, s8, 0x2840
	v_mov_b32_e32 v39, s3
	s_ashr_i32 s3, s2, 31
	s_lshl_b64 s[2:3], s[2:3], 1
	v_addc_co_u32_e32 v39, vcc, v1, v39, vcc
	s_cmp_lt_i32 s33, 0xa201
	v_add_co_u32_e32 v46, vcc, s2, v0
	s_cselect_b32 s2, s8, 0x2880
	v_mov_b32_e32 v47, s3
	s_ashr_i32 s3, s2, 31
	s_lshl_b64 s[2:3], s[2:3], 1
	v_addc_co_u32_e32 v47, vcc, v1, v47, vcc
	s_cmp_lt_i32 s33, 0xa301
	v_add_co_u32_e32 v48, vcc, s2, v0
	s_cselect_b32 s2, s8, 0x28c0
	v_mov_b32_e32 v49, s3
	s_ashr_i32 s3, s2, 31
	s_lshl_b64 s[2:3], s[2:3], 1
	v_addc_co_u32_e32 v49, vcc, v1, v49, vcc
	s_cmp_lt_i32 s33, 0xa401
	v_add_co_u32_e32 v54, vcc, s2, v0
	s_cselect_b32 s2, s8, 0x2900
	v_mov_b32_e32 v55, s3
	s_ashr_i32 s3, s2, 31
	s_lshl_b64 s[2:3], s[2:3], 1
	v_addc_co_u32_e32 v55, vcc, v1, v55, vcc
	s_cmp_lt_i32 s33, 0xa501
	v_add_co_u32_e32 v60, vcc, s2, v0
	s_cselect_b32 s2, s8, 0x2940
	v_mov_b32_e32 v61, s3
	s_ashr_i32 s3, s2, 31
	s_lshl_b64 s[2:3], s[2:3], 1
	v_addc_co_u32_e32 v61, vcc, v1, v61, vcc
	s_cmp_lt_i32 s33, 0xa601
	v_add_co_u32_e32 v68, vcc, s2, v0
	s_cselect_b32 s2, s8, 0x2980
	v_mov_b32_e32 v69, s3
	s_ashr_i32 s3, s2, 31
	s_lshl_b64 s[2:3], s[2:3], 1
	v_addc_co_u32_e32 v69, vcc, v1, v69, vcc
	s_cmp_lt_i32 s33, 0xa701
	v_add_co_u32_e32 v70, vcc, s2, v0
	s_cselect_b32 s2, s8, 0x29c0
	v_mov_b32_e32 v71, s3
	s_ashr_i32 s3, s2, 31
	s_lshl_b64 s[2:3], s[2:3], 1
	v_addc_co_u32_e32 v71, vcc, v1, v71, vcc
	s_cmp_lt_i32 s33, 0xa801
	v_add_co_u32_e32 v76, vcc, s2, v0
	s_cselect_b32 s2, s8, 0x2a00
	v_mov_b32_e32 v77, s3
	s_ashr_i32 s3, s2, 31
	s_lshl_b64 s[2:3], s[2:3], 1
	v_addc_co_u32_e32 v77, vcc, v1, v77, vcc
	s_cmp_lt_i32 s33, 0xa901
	v_add_co_u32_e32 v80, vcc, s2, v0
	s_cselect_b32 s2, s8, 0x2a40
	v_mov_b32_e32 v81, s3
	s_ashr_i32 s3, s2, 31
	s_lshl_b64 s[2:3], s[2:3], 1
	v_addc_co_u32_e32 v81, vcc, v1, v81, vcc
	s_cmp_lt_i32 s33, 0xaa01
	v_add_co_u32_e32 v82, vcc, s2, v0
	s_cselect_b32 s2, s8, 0x2a80
	v_mov_b32_e32 v83, s3
	s_ashr_i32 s3, s2, 31
	s_lshl_b64 s[2:3], s[2:3], 1
	v_addc_co_u32_e32 v83, vcc, v1, v83, vcc
	s_cmp_lt_i32 s33, 0xab01
	v_add_co_u32_e32 v84, vcc, s2, v0
	s_cselect_b32 s2, s8, 0x2ac0
	v_mov_b32_e32 v85, s3
	s_ashr_i32 s3, s2, 31
	s_lshl_b64 s[2:3], s[2:3], 1
	v_addc_co_u32_e32 v85, vcc, v1, v85, vcc
	s_cmp_lt_i32 s33, 0xac01
	v_add_co_u32_e32 v86, vcc, s2, v0
	s_cselect_b32 s2, s8, 0x2b00
	v_mov_b32_e32 v87, s3
	s_ashr_i32 s3, s2, 31
	s_lshl_b64 s[2:3], s[2:3], 1
	v_addc_co_u32_e32 v87, vcc, v1, v87, vcc
	s_cmp_lt_i32 s33, 0xad01
	v_add_co_u32_e32 v88, vcc, s2, v0
	s_cselect_b32 s2, s8, 0x2b40
	v_mov_b32_e32 v89, s3
	s_ashr_i32 s3, s2, 31
	s_lshl_b64 s[2:3], s[2:3], 1
	v_addc_co_u32_e32 v89, vcc, v1, v89, vcc
	s_cmp_lt_i32 s33, 0xae01
	v_add_co_u32_e32 v90, vcc, s2, v0
	s_cselect_b32 s2, s8, 0x2b80
	v_mov_b32_e32 v91, s3
	s_ashr_i32 s3, s2, 31
	s_lshl_b64 s[2:3], s[2:3], 1
	v_addc_co_u32_e32 v91, vcc, v1, v91, vcc
	s_cmp_lt_i32 s33, 0xaf01
	v_add_co_u32_e32 v92, vcc, s2, v0
	s_cselect_b32 s2, s8, 0x2bc0
	v_mov_b32_e32 v93, s3
	s_ashr_i32 s3, s2, 31
	s_lshl_b64 s[2:3], s[2:3], 1
	v_addc_co_u32_e32 v93, vcc, v1, v93, vcc
	s_cmp_lt_i32 s33, 0xb001
	v_add_co_u32_e32 v94, vcc, s2, v0
	s_cselect_b32 s2, s8, 0x2c00
	v_mov_b32_e32 v95, s3
	s_ashr_i32 s3, s2, 31
	s_lshl_b64 s[2:3], s[2:3], 1
	v_addc_co_u32_e32 v95, vcc, v1, v95, vcc
	s_cmp_lt_i32 s33, 0xb101
	v_add_co_u32_e32 v96, vcc, s2, v0
	s_cselect_b32 s2, s8, 0x2c40
	v_mov_b32_e32 v97, s3
	s_ashr_i32 s3, s2, 31
	s_lshl_b64 s[2:3], s[2:3], 1
	v_addc_co_u32_e32 v97, vcc, v1, v97, vcc
	s_cmp_lt_i32 s33, 0xb201
	v_add_co_u32_e32 v98, vcc, s2, v0
	s_cselect_b32 s2, s8, 0x2c80
	v_mov_b32_e32 v99, s3
	s_ashr_i32 s3, s2, 31
	s_lshl_b64 s[2:3], s[2:3], 1
	v_addc_co_u32_e32 v99, vcc, v1, v99, vcc
	s_cmp_lt_i32 s33, 0xb301
	v_add_co_u32_e32 v100, vcc, s2, v0
	s_cselect_b32 s2, s8, 0x2cc0
	v_mov_b32_e32 v101, s3
	s_ashr_i32 s3, s2, 31
	s_lshl_b64 s[2:3], s[2:3], 1
	v_addc_co_u32_e32 v101, vcc, v1, v101, vcc
	s_cmp_lt_i32 s33, 0xb401
	v_add_co_u32_e32 v102, vcc, s2, v0
	s_cselect_b32 s2, s8, 0x2d00
	v_mov_b32_e32 v103, s3
	s_ashr_i32 s3, s2, 31
	s_lshl_b64 s[2:3], s[2:3], 1
	v_addc_co_u32_e32 v103, vcc, v1, v103, vcc
	s_cmp_lt_i32 s33, 0xb501
	v_add_co_u32_e32 v104, vcc, s2, v0
	s_cselect_b32 s2, s8, 0x2d40
	v_mov_b32_e32 v105, s3
	s_ashr_i32 s3, s2, 31
	s_lshl_b64 s[2:3], s[2:3], 1
	v_addc_co_u32_e32 v105, vcc, v1, v105, vcc
	s_cmp_lt_i32 s33, 0xb601
	v_add_co_u32_e32 v106, vcc, s2, v0
	s_cselect_b32 s2, s8, 0x2d80
	v_mov_b32_e32 v107, s3
	s_ashr_i32 s3, s2, 31
	s_lshl_b64 s[2:3], s[2:3], 1
	v_addc_co_u32_e32 v107, vcc, v1, v107, vcc
	s_cmp_lt_i32 s33, 0xb701
	v_add_co_u32_e32 v108, vcc, s2, v0
	s_cselect_b32 s2, s8, 0x2dc0
	v_mov_b32_e32 v109, s3
	s_ashr_i32 s3, s2, 31
	s_lshl_b64 s[2:3], s[2:3], 1
	v_addc_co_u32_e32 v109, vcc, v1, v109, vcc
	s_cmp_lt_i32 s33, 0xb801
	v_add_co_u32_e32 v110, vcc, s2, v0
	s_cselect_b32 s2, s8, 0x2e00
	v_mov_b32_e32 v111, s3
	s_ashr_i32 s3, s2, 31
	s_lshl_b64 s[2:3], s[2:3], 1
	v_addc_co_u32_e32 v111, vcc, v1, v111, vcc
	s_cmp_lt_i32 s33, 0xb901
	v_add_co_u32_e32 v112, vcc, s2, v0
	s_cselect_b32 s2, s8, 0x2e40
	v_mov_b32_e32 v113, s3
	s_ashr_i32 s3, s2, 31
	v_addc_co_u32_e32 v113, vcc, v1, v113, vcc
	s_lshl_b64 s[2:3], s[2:3], 1
	v_mov_b32_e32 v115, s3
	v_add_co_u32_e32 v114, vcc, s2, v0
	v_addc_co_u32_e32 v115, vcc, v1, v115, vcc
	s_movk_i32 s2, 0x4000
	v_add_co_u32_e32 v116, vcc, s2, v0
	v_addc_co_u32_e32 v117, vcc, 0, v1, vcc
	global_load_ushort v120, v[116:117], off
	global_load_ushort v121, v[30:31], off
	;; [unrolled: 1-line block ×5, first 2 shown]
	s_cmp_lt_i32 s33, 0xba01
	global_load_ushort v42, v[42:43], off
	s_nop 0
	global_load_ushort v43, v[44:45], off
	global_load_ushort v125, v[50:51], off
	s_cselect_b32 s2, s8, 0x2e80
	global_load_ushort v44, v[52:53], off
	global_load_ushort v45, v[56:57], off
	;; [unrolled: 1-line block ×4, first 2 shown]
	s_ashr_i32 s3, s2, 31
	global_load_ushort v52, v[64:65], off
	global_load_ushort v53, v[66:67], off
	;; [unrolled: 1-line block ×5, first 2 shown]
	s_lshl_b64 s[2:3], s[2:3], 1
	s_cmp_lt_i32 s33, 0xbb01
	v_add_co_u32_e32 v116, vcc, s2, v0
	s_cselect_b32 s2, s8, 0x2ec0
	v_mov_b32_e32 v117, s3
	s_ashr_i32 s3, s2, 31
	s_lshl_b64 s[2:3], s[2:3], 1
	v_addc_co_u32_e32 v117, vcc, v1, v117, vcc
	s_cmp_lt_i32 s33, 0xbc01
	v_add_co_u32_e32 v30, vcc, s2, v0
	s_cselect_b32 s2, s8, 0x2f00
	v_mov_b32_e32 v31, s3
	s_ashr_i32 s3, s2, 31
	s_lshl_b64 s[2:3], s[2:3], 1
	v_addc_co_u32_e32 v31, vcc, v1, v31, vcc
	;; [unrolled: 7-line block ×4, first 2 shown]
	s_cmp_lt_i32 s33, 0xbf01
	v_add_co_u32_e32 v40, vcc, s2, v0
	s_cselect_b32 s2, s8, 0x2fc0
	v_mov_b32_e32 v41, s3
	s_ashr_i32 s3, s2, 31
	v_addc_co_u32_e32 v41, vcc, v1, v41, vcc
	s_lshl_b64 s[2:3], s[2:3], 1
	v_mov_b32_e32 v58, s3
	v_add_co_u32_e32 v0, vcc, s2, v0
	v_addc_co_u32_e32 v1, vcc, v1, v58, vcc
	global_load_ushort v58, v[2:3], off
	global_load_ushort v62, v[4:5], off
	;; [unrolled: 1-line block ×10, first 2 shown]
	v_mov_b32_e32 v37, 0
	global_load_ushort v40, v[8:9], off
	ds_read_b128 v[0:3], v37 offset:512
	ds_read_b128 v[4:7], v37 offset:528
	global_load_ushort v41, v[10:11], off
	global_load_ushort v75, v[12:13], off
	ds_read_b128 v[8:11], v37 offset:544
	ds_read_b128 v[30:33], v37 offset:560
	global_load_ushort v12, v[14:15], off
	global_load_ushort v13, v[16:17], off
	s_waitcnt vmcnt(31)
	v_lshlrev_b32_e32 v36, 16, v120
	s_waitcnt lgkmcnt(0)
	v_fmac_f32_e32 v119, v0, v36
	s_waitcnt vmcnt(30)
	v_lshlrev_b32_e32 v0, 16, v121
	v_fmac_f32_e32 v119, v1, v0
	s_waitcnt vmcnt(29)
	v_lshlrev_b32_e32 v0, 16, v122
	;; [unrolled: 3-line block ×8, first 2 shown]
	v_fmac_f32_e32 v119, v8, v0
	global_load_ushort v8, v[54:55], off
	s_waitcnt vmcnt(23)
	v_lshlrev_b32_e32 v0, 16, v45
	v_fmac_f32_e32 v119, v9, v0
	s_waitcnt vmcnt(22)
	v_lshlrev_b32_e32 v0, 16, v50
	v_fmac_f32_e32 v119, v10, v0
	global_load_ushort v10, v[76:77], off
	s_waitcnt vmcnt(22)
	v_lshlrev_b32_e32 v0, 16, v51
	v_fmac_f32_e32 v119, v11, v0
	s_waitcnt vmcnt(21)
	v_lshlrev_b32_e32 v0, 16, v52
	v_fmac_f32_e32 v119, v30, v0
	global_load_ushort v30, v[90:91], off
	s_waitcnt vmcnt(21)
	v_lshlrev_b32_e32 v0, 16, v53
	v_fmac_f32_e32 v119, v31, v0
	s_waitcnt vmcnt(20)
	v_lshlrev_b32_e32 v0, 16, v56
	v_fmac_f32_e32 v119, v32, v0
	s_waitcnt vmcnt(19)
	v_lshlrev_b32_e32 v0, 16, v57
	v_fmac_f32_e32 v119, v33, v0
	ds_read_b128 v[0:3], v37 offset:576
	ds_read_b128 v[4:7], v37 offset:592
	s_waitcnt vmcnt(18)
	v_lshlrev_b32_e32 v33, 16, v59
	global_load_ushort v9, v[68:69], off
	global_load_ushort v11, v[80:81], off
	;; [unrolled: 1-line block ×3, first 2 shown]
	s_waitcnt lgkmcnt(1)
	v_fmac_f32_e32 v119, v0, v33
	global_load_ushort v33, v[98:99], off
	global_load_ushort v14, v[18:19], off
	;; [unrolled: 1-line block ×6, first 2 shown]
	s_waitcnt vmcnt(26)
	v_lshlrev_b32_e32 v0, 16, v58
	global_load_ushort v18, v[26:27], off
	global_load_ushort v19, v[28:29], off
	;; [unrolled: 1-line block ×19, first 2 shown]
	v_fmac_f32_e32 v119, v1, v0
	s_waitcnt vmcnt(44)
	v_lshlrev_b32_e32 v0, 16, v62
	v_fmac_f32_e32 v119, v2, v0
	s_waitcnt vmcnt(36)
	v_lshlrev_b32_e32 v0, 16, v74
	;; [unrolled: 3-line block ×3, first 2 shown]
	global_load_ushort v40, v[112:113], off
	s_waitcnt lgkmcnt(0)
	v_fmac_f32_e32 v119, v4, v0
	s_waitcnt vmcnt(35)
	v_lshlrev_b32_e32 v0, 16, v41
	v_fmac_f32_e32 v119, v5, v0
	s_waitcnt vmcnt(34)
	v_lshlrev_b32_e32 v0, 16, v75
	v_fmac_f32_e32 v119, v6, v0
	ds_read_b128 v[0:3], v37 offset:608
	s_waitcnt vmcnt(33)
	v_lshlrev_b32_e32 v4, 16, v12
	v_fmac_f32_e32 v119, v7, v4
	ds_read_b128 v[4:7], v37 offset:624
	s_waitcnt vmcnt(32)
	v_lshlrev_b32_e32 v12, 16, v13
	s_waitcnt lgkmcnt(1)
	v_fmac_f32_e32 v119, v0, v12
	s_waitcnt vmcnt(24)
	v_lshlrev_b32_e32 v0, 16, v14
	v_fmac_f32_e32 v119, v1, v0
	s_waitcnt vmcnt(23)
	v_lshlrev_b32_e32 v0, 16, v15
	;; [unrolled: 3-line block ×4, first 2 shown]
	s_waitcnt lgkmcnt(0)
	v_fmac_f32_e32 v119, v4, v0
	s_waitcnt vmcnt(19)
	v_lshlrev_b32_e32 v0, 16, v18
	v_fmac_f32_e32 v119, v5, v0
	s_waitcnt vmcnt(18)
	v_lshlrev_b32_e32 v0, 16, v19
	v_fmac_f32_e32 v119, v6, v0
	ds_read_b128 v[0:3], v37 offset:640
	s_waitcnt vmcnt(17)
	v_lshlrev_b32_e32 v4, 16, v20
	v_fmac_f32_e32 v119, v7, v4
	ds_read_b128 v[4:7], v37 offset:656
	s_waitcnt vmcnt(16)
	v_lshlrev_b32_e32 v12, 16, v21
	s_waitcnt lgkmcnt(1)
	v_fmac_f32_e32 v119, v0, v12
	s_waitcnt vmcnt(15)
	v_lshlrev_b32_e32 v0, 16, v22
	v_fmac_f32_e32 v119, v1, v0
	s_waitcnt vmcnt(14)
	v_lshlrev_b32_e32 v0, 16, v23
	v_fmac_f32_e32 v119, v2, v0
	v_lshlrev_b32_e32 v0, 16, v8
	v_fmac_f32_e32 v119, v3, v0
	s_waitcnt vmcnt(13)
	v_lshlrev_b32_e32 v0, 16, v24
	s_waitcnt lgkmcnt(0)
	v_fmac_f32_e32 v119, v4, v0
	v_lshlrev_b32_e32 v0, 16, v9
	v_fmac_f32_e32 v119, v5, v0
	s_waitcnt vmcnt(12)
	v_lshlrev_b32_e32 v0, 16, v25
	v_fmac_f32_e32 v119, v6, v0
	ds_read_b128 v[0:3], v37 offset:672
	v_lshlrev_b32_e32 v4, 16, v10
	v_fmac_f32_e32 v119, v7, v4
	ds_read_b128 v[4:7], v37 offset:688
	v_lshlrev_b32_e32 v8, 16, v11
	s_waitcnt lgkmcnt(1)
	v_fmac_f32_e32 v119, v0, v8
	s_waitcnt vmcnt(11)
	v_lshlrev_b32_e32 v0, 16, v26
	v_fmac_f32_e32 v119, v1, v0
	s_waitcnt vmcnt(10)
	v_lshlrev_b32_e32 v0, 16, v27
	;; [unrolled: 3-line block ×4, first 2 shown]
	s_waitcnt lgkmcnt(0)
	v_fmac_f32_e32 v119, v4, v0
	v_lshlrev_b32_e32 v0, 16, v30
	v_fmac_f32_e32 v119, v5, v0
	v_lshlrev_b32_e32 v0, 16, v31
	v_fmac_f32_e32 v119, v6, v0
	ds_read_b128 v[0:3], v37 offset:704
	v_lshlrev_b32_e32 v4, 16, v32
	v_fmac_f32_e32 v119, v7, v4
	ds_read_b128 v[4:7], v37 offset:720
	s_waitcnt vmcnt(7)
	v_lshlrev_b32_e32 v8, 16, v34
	s_waitcnt lgkmcnt(1)
	v_fmac_f32_e32 v119, v0, v8
	v_lshlrev_b32_e32 v0, 16, v33
	v_fmac_f32_e32 v119, v1, v0
	s_waitcnt vmcnt(6)
	v_lshlrev_b32_e32 v0, 16, v35
	v_fmac_f32_e32 v119, v2, v0
	s_waitcnt vmcnt(5)
	;; [unrolled: 3-line block ×3, first 2 shown]
	v_lshlrev_b32_e32 v1, 16, v39
	v_lshlrev_b32_e32 v0, 16, v38
	s_waitcnt lgkmcnt(0)
	v_pk_mul_f32 v[0:1], v[4:5], v[0:1]
	v_add_f32_e32 v0, v119, v0
	v_add_f32_e32 v2, v0, v1
	s_waitcnt vmcnt(1)
	v_lshlrev_b32_e32 v1, 16, v43
	v_lshlrev_b32_e32 v0, 16, v42
	v_pk_mul_f32 v[4:5], v[6:7], v[0:1]
	v_add_f32_e32 v4, v2, v4
	ds_read_b128 v[0:3], v37 offset:736
	v_lshlrev_b32_e32 v9, 16, v63
	s_waitcnt vmcnt(0)
	v_lshlrev_b32_e32 v8, 16, v40
	v_add_f32_e32 v10, v4, v5
	ds_read_b128 v[4:7], v37 offset:752
	s_waitcnt lgkmcnt(1)
	v_pk_mul_f32 v[0:1], v[0:1], v[8:9]
	v_add_f32_e32 v0, v10, v0
	v_add_f32_e32 v8, v0, v1
	v_lshlrev_b32_e32 v1, 16, v65
	v_lshlrev_b32_e32 v0, 16, v64
	v_pk_mul_f32 v[0:1], v[2:3], v[0:1]
	v_add_f32_e32 v0, v8, v0
	v_add_f32_e32 v2, v0, v1
	v_lshlrev_b32_e32 v1, 16, v67
	v_lshlrev_b32_e32 v0, 16, v66
	s_waitcnt lgkmcnt(0)
	v_pk_mul_f32 v[0:1], v[4:5], v[0:1]
	v_add_f32_e32 v0, v2, v0
	v_add_f32_e32 v2, v0, v1
	v_lshlrev_b32_e32 v1, 16, v73
	v_lshlrev_b32_e32 v0, 16, v72
	v_pk_mul_f32 v[0:1], v[6:7], v[0:1]
	v_add_f32_e32 v0, v2, v0
	v_add_f32_e32 v119, v0, v1
	v_mov_b32_e32 v0, 0
	ds_read_b32 v0, v0 offset:768
	s_cmp_eq_u64 s[0:1], 0
	s_cbranch_scc0 .LBB210_18
.LBB210_28:
	v_mov_b32_e32 v1, 1.0
	s_andn2_b64 vcc, exec, s[22:23]
	s_cbranch_vccz .LBB210_19
	s_branch .LBB210_20
	.section	.rodata,"a",@progbits
	.p2align	6, 0x0
	.amdhsa_kernel _Z35paged_attention_ll4mi_reduce_kernelI14__hip_bfloat16S0_Li64ELi64ELi256ELi3EEvPT0_PKfS4_PKT_PKiS9_iS4_
		.amdhsa_group_segment_fixed_size 772
		.amdhsa_private_segment_fixed_size 0
		.amdhsa_kernarg_size 320
		.amdhsa_user_sgpr_count 6
		.amdhsa_user_sgpr_private_segment_buffer 1
		.amdhsa_user_sgpr_dispatch_ptr 0
		.amdhsa_user_sgpr_queue_ptr 0
		.amdhsa_user_sgpr_kernarg_segment_ptr 1
		.amdhsa_user_sgpr_dispatch_id 0
		.amdhsa_user_sgpr_flat_scratch_init 0
		.amdhsa_user_sgpr_kernarg_preload_length 0
		.amdhsa_user_sgpr_kernarg_preload_offset 0
		.amdhsa_user_sgpr_private_segment_size 0
		.amdhsa_uses_dynamic_stack 0
		.amdhsa_system_sgpr_private_segment_wavefront_offset 0
		.amdhsa_system_sgpr_workgroup_id_x 1
		.amdhsa_system_sgpr_workgroup_id_y 1
		.amdhsa_system_sgpr_workgroup_id_z 0
		.amdhsa_system_sgpr_workgroup_info 0
		.amdhsa_system_vgpr_workitem_id 0
		.amdhsa_next_free_vgpr 128
		.amdhsa_next_free_sgpr 35
		.amdhsa_accum_offset 128
		.amdhsa_reserve_vcc 1
		.amdhsa_reserve_flat_scratch 0
		.amdhsa_float_round_mode_32 0
		.amdhsa_float_round_mode_16_64 0
		.amdhsa_float_denorm_mode_32 3
		.amdhsa_float_denorm_mode_16_64 3
		.amdhsa_dx10_clamp 1
		.amdhsa_ieee_mode 1
		.amdhsa_fp16_overflow 0
		.amdhsa_tg_split 0
		.amdhsa_exception_fp_ieee_invalid_op 0
		.amdhsa_exception_fp_denorm_src 0
		.amdhsa_exception_fp_ieee_div_zero 0
		.amdhsa_exception_fp_ieee_overflow 0
		.amdhsa_exception_fp_ieee_underflow 0
		.amdhsa_exception_fp_ieee_inexact 0
		.amdhsa_exception_int_div_zero 0
	.end_amdhsa_kernel
	.section	.text._Z35paged_attention_ll4mi_reduce_kernelI14__hip_bfloat16S0_Li64ELi64ELi256ELi3EEvPT0_PKfS4_PKT_PKiS9_iS4_,"axG",@progbits,_Z35paged_attention_ll4mi_reduce_kernelI14__hip_bfloat16S0_Li64ELi64ELi256ELi3EEvPT0_PKfS4_PKT_PKiS9_iS4_,comdat
.Lfunc_end210:
	.size	_Z35paged_attention_ll4mi_reduce_kernelI14__hip_bfloat16S0_Li64ELi64ELi256ELi3EEvPT0_PKfS4_PKT_PKiS9_iS4_, .Lfunc_end210-_Z35paged_attention_ll4mi_reduce_kernelI14__hip_bfloat16S0_Li64ELi64ELi256ELi3EEvPT0_PKfS4_PKT_PKiS9_iS4_
                                        ; -- End function
	.section	.AMDGPU.csdata,"",@progbits
; Kernel info:
; codeLenInByte = 12944
; NumSgprs: 39
; NumVgprs: 128
; NumAgprs: 0
; TotalNumVgprs: 128
; ScratchSize: 0
; MemoryBound: 0
; FloatMode: 240
; IeeeMode: 1
; LDSByteSize: 772 bytes/workgroup (compile time only)
; SGPRBlocks: 4
; VGPRBlocks: 15
; NumSGPRsForWavesPerEU: 39
; NumVGPRsForWavesPerEU: 128
; AccumOffset: 128
; Occupancy: 4
; WaveLimiterHint : 1
; COMPUTE_PGM_RSRC2:SCRATCH_EN: 0
; COMPUTE_PGM_RSRC2:USER_SGPR: 6
; COMPUTE_PGM_RSRC2:TRAP_HANDLER: 0
; COMPUTE_PGM_RSRC2:TGID_X_EN: 1
; COMPUTE_PGM_RSRC2:TGID_Y_EN: 1
; COMPUTE_PGM_RSRC2:TGID_Z_EN: 0
; COMPUTE_PGM_RSRC2:TIDIG_COMP_CNT: 0
; COMPUTE_PGM_RSRC3_GFX90A:ACCUM_OFFSET: 31
; COMPUTE_PGM_RSRC3_GFX90A:TG_SPLIT: 0
	.section	.text._Z35paged_attention_ll4mi_reduce_kernelI14__hip_bfloat16S0_Li64ELi64ELi256ELi4EEvPT0_PKfS4_PKT_PKiS9_iS4_,"axG",@progbits,_Z35paged_attention_ll4mi_reduce_kernelI14__hip_bfloat16S0_Li64ELi64ELi256ELi4EEvPT0_PKfS4_PKT_PKiS9_iS4_,comdat
	.protected	_Z35paged_attention_ll4mi_reduce_kernelI14__hip_bfloat16S0_Li64ELi64ELi256ELi4EEvPT0_PKfS4_PKT_PKiS9_iS4_ ; -- Begin function _Z35paged_attention_ll4mi_reduce_kernelI14__hip_bfloat16S0_Li64ELi64ELi256ELi4EEvPT0_PKfS4_PKT_PKiS9_iS4_
	.globl	_Z35paged_attention_ll4mi_reduce_kernelI14__hip_bfloat16S0_Li64ELi64ELi256ELi4EEvPT0_PKfS4_PKT_PKiS9_iS4_
	.p2align	8
	.type	_Z35paged_attention_ll4mi_reduce_kernelI14__hip_bfloat16S0_Li64ELi64ELi256ELi4EEvPT0_PKfS4_PKT_PKiS9_iS4_,@function
_Z35paged_attention_ll4mi_reduce_kernelI14__hip_bfloat16S0_Li64ELi64ELi256ELi4EEvPT0_PKfS4_PKT_PKiS9_iS4_: ; @_Z35paged_attention_ll4mi_reduce_kernelI14__hip_bfloat16S0_Li64ELi64ELi256ELi4EEvPT0_PKfS4_PKT_PKiS9_iS4_
; %bb.0:
	s_load_dwordx2 s[22:23], s[4:5], 0x28
	s_mov_b32 s20, s7
	s_mov_b64 s[0:1], 0
	s_waitcnt lgkmcnt(0)
	s_cmp_lg_u64 s[22:23], 0
	s_cselect_b64 s[24:25], -1, 0
	s_and_b64 vcc, exec, s[24:25]
	s_cbranch_vccz .LBB211_27
; %bb.1:
	s_add_i32 s2, s20, 1
	s_mov_b32 s3, 0
	s_lshl_b64 s[8:9], s[2:3], 2
	s_add_u32 s8, s22, s8
	s_mov_b32 s21, s3
	s_addc_u32 s9, s23, s9
	s_lshl_b64 s[2:3], s[20:21], 2
	s_add_u32 s2, s22, s2
	s_addc_u32 s3, s23, s3
	s_load_dword s7, s[8:9], 0x0
	s_load_dword s10, s[2:3], 0x0
	s_waitcnt lgkmcnt(0)
	s_sub_i32 s2, s7, s10
	s_cmp_eq_u32 s2, 1
	s_cselect_b64 s[2:3], -1, 0
	s_andn2_b64 vcc, exec, s[0:1]
	s_cbranch_vccnz .LBB211_3
.LBB211_2:
	s_mov_b32 s21, 0
	s_mov_b64 s[2:3], -1
.LBB211_3:
	s_andn2_b64 vcc, exec, s[2:3]
	s_cbranch_vccz .LBB211_5
; %bb.4:
	s_endpgm
.LBB211_5:
	s_load_dwordx4 s[12:15], s[4:5], 0x18
	s_load_dword s8, s[4:5], 0x30
	s_lshl_b64 s[26:27], s[20:21], 2
	v_cmp_lt_u32_e32 vcc, 63, v0
	s_waitcnt lgkmcnt(0)
	s_add_u32 s0, s14, s26
	s_addc_u32 s1, s15, s27
	s_load_dword s36, s[0:1], 0x0
	s_load_dword s7, s[4:5], 0x40
	s_mul_i32 s14, s6, s8
	s_mul_i32 s2, s20, s8
	s_waitcnt lgkmcnt(0)
	s_add_i32 s3, s36, 0xff
	s_ashr_i32 s0, s3, 31
	s_lshr_b32 s0, s0, 24
	s_add_i32 s3, s3, s0
	s_and_saveexec_b64 s[0:1], vcc
	s_xor_b64 s[0:1], exec, s[0:1]
	s_or_saveexec_b64 s[28:29], s[0:1]
	s_ashr_i32 s33, s3, 8
	v_mov_b32_e32 v1, s14
	s_mul_i32 s30, s2, s7
	s_xor_b64 exec, exec, s[28:29]
	s_cbranch_execz .LBB211_9
; %bb.6:
	s_load_dwordx4 s[16:19], s[4:5], 0x8
	s_add_i32 s0, s33, -1
	v_or_b32_e32 v3, 64, v0
	v_mov_b32_e32 v1, s0
	v_cmp_gt_u32_e64 s[2:3], s33, v3
	s_mov_b32 s31, 0
	v_cndmask_b32_e64 v4, v1, v3, s[2:3]
	v_or_b32_e32 v3, 0x80, v0
	v_cmp_gt_u32_e64 s[0:1], s33, v3
	s_lshl_b64 s[34:35], s[30:31], 2
	s_mov_b32 s15, s31
	v_cmp_gt_u32_e64 s[8:9], s33, v0
	v_cndmask_b32_e64 v6, v1, v3, s[0:1]
	v_or_b32_e32 v3, 0xc0, v0
	s_waitcnt lgkmcnt(0)
	s_add_u32 s10, s18, s34
	v_cndmask_b32_e64 v2, v1, v0, s[8:9]
	v_cmp_gt_u32_e32 vcc, s33, v3
	s_addc_u32 s11, s19, s35
	s_lshl_b64 s[18:19], s[14:15], 2
	v_cndmask_b32_e32 v8, v1, v3, vcc
	s_add_u32 s15, s10, s18
	v_ashrrev_i32_e32 v3, 31, v2
	s_addc_u32 s31, s11, s19
	v_lshlrev_b64 v[2:3], 2, v[2:3]
	v_mov_b32_e32 v1, s31
	v_add_co_u32_e64 v10, s[10:11], s15, v2
	v_ashrrev_i32_e32 v5, 31, v4
	v_addc_co_u32_e64 v11, s[10:11], v1, v3, s[10:11]
	v_lshlrev_b64 v[4:5], 2, v[4:5]
	v_add_co_u32_e64 v12, s[10:11], s15, v4
	v_ashrrev_i32_e32 v7, 31, v6
	v_addc_co_u32_e64 v13, s[10:11], v1, v5, s[10:11]
	v_lshlrev_b64 v[6:7], 2, v[6:7]
	global_load_dword v1, v[10:11], off
	global_load_dword v14, v[12:13], off
	v_mov_b32_e32 v9, s31
	v_add_co_u32_e64 v10, s[10:11], s15, v6
	v_addc_co_u32_e64 v11, s[10:11], v9, v7, s[10:11]
	v_ashrrev_i32_e32 v9, 31, v8
	v_lshlrev_b64 v[8:9], 2, v[8:9]
	v_mov_b32_e32 v13, s31
	v_add_co_u32_e64 v12, s[10:11], s15, v8
	v_addc_co_u32_e64 v13, s[10:11], v13, v9, s[10:11]
	global_load_dword v15, v[10:11], off
	global_load_dword v16, v[12:13], off
	v_mbcnt_lo_u32_b32 v10, -1, 0
	v_mbcnt_hi_u32_b32 v10, -1, v10
	v_and_b32_e32 v11, 64, v10
	v_xor_b32_e32 v12, 32, v10
	v_add_u32_e32 v11, 64, v11
	v_xor_b32_e32 v13, 16, v10
	v_cmp_lt_i32_e64 s[10:11], v12, v11
	v_xor_b32_e32 v17, 8, v10
	v_cndmask_b32_e64 v12, v10, v12, s[10:11]
	v_cmp_lt_i32_e64 s[10:11], v13, v11
	v_xor_b32_e32 v18, 4, v10
	v_cndmask_b32_e64 v13, v10, v13, s[10:11]
	;; [unrolled: 3-line block ×3, first 2 shown]
	v_cmp_lt_i32_e64 s[10:11], v18, v11
	v_cndmask_b32_e64 v18, v10, v18, s[10:11]
	v_cmp_lt_i32_e64 s[10:11], v19, v11
	v_cndmask_b32_e64 v19, v10, v19, s[10:11]
	s_add_u32 s10, s16, s34
	s_addc_u32 s11, s17, s35
	s_add_u32 s15, s10, s18
	s_addc_u32 s16, s11, s19
	v_mov_b32_e32 v21, s16
	v_add_co_u32_e64 v2, s[10:11], s15, v2
	v_addc_co_u32_e64 v3, s[10:11], v21, v3, s[10:11]
	global_load_dword v21, v[2:3], off
	v_lshlrev_b32_e32 v12, 2, v12
	v_mov_b32_e32 v3, s16
	v_lshlrev_b32_e32 v13, 2, v13
	v_xor_b32_e32 v20, 1, v10
	s_mov_b32 s17, 0x42b17218
	s_waitcnt vmcnt(4)
	v_max_f32_e32 v22, v1, v1
	s_waitcnt vmcnt(3)
	v_max_f32_e32 v2, v14, v14
	v_max_f32_e32 v2, v22, v2
	s_waitcnt vmcnt(1)
	v_max3_f32 v22, v2, v15, v16
	ds_bpermute_b32 v23, v12, v22
	v_add_co_u32_e64 v2, s[10:11], s15, v4
	v_addc_co_u32_e64 v3, s[10:11], v3, v5, s[10:11]
	global_load_dword v24, v[2:3], off
	s_waitcnt lgkmcnt(0)
	v_max_f32_e32 v2, v23, v23
	v_max_f32_e32 v2, v22, v2
	ds_bpermute_b32 v3, v13, v2
	v_cmp_lt_i32_e64 s[10:11], v20, v11
	v_cndmask_b32_e64 v4, v10, v20, s[10:11]
	v_lshlrev_b32_e32 v10, 2, v17
	v_lshlrev_b32_e32 v11, 2, v18
	s_waitcnt lgkmcnt(0)
	v_max_f32_e32 v3, v3, v3
	v_max_f32_e32 v2, v2, v3
	ds_bpermute_b32 v3, v10, v2
	v_lshlrev_b32_e32 v17, 2, v19
	v_lshlrev_b32_e32 v18, 2, v4
	v_mov_b32_e32 v4, s16
	v_mov_b32_e32 v5, s16
	s_waitcnt lgkmcnt(0)
	v_max_f32_e32 v3, v3, v3
	v_max_f32_e32 v19, v2, v3
	ds_bpermute_b32 v20, v11, v19
	v_add_co_u32_e64 v2, s[10:11], s15, v6
	v_addc_co_u32_e64 v3, s[10:11], v4, v7, s[10:11]
	s_waitcnt lgkmcnt(0)
	v_max_f32_e32 v4, v20, v20
	v_max_f32_e32 v6, v19, v4
	v_add_co_u32_e64 v4, s[10:11], s15, v8
	v_addc_co_u32_e64 v5, s[10:11], v5, v9, s[10:11]
	global_load_dword v8, v[2:3], off
	global_load_dword v9, v[4:5], off
	ds_bpermute_b32 v7, v17, v6
	s_mov_b32 s15, 0x3fb8aa3b
	s_mov_b32 s16, 0xc2ce8ed0
	s_waitcnt lgkmcnt(0)
	v_max_f32_e32 v2, v7, v7
	v_max_f32_e32 v2, v6, v2
	ds_bpermute_b32 v3, v18, v2
	s_waitcnt lgkmcnt(0)
	v_max_f32_e32 v3, v3, v3
	v_max_f32_e32 v2, v2, v3
	v_sub_f32_e32 v1, v1, v2
	v_mul_f32_e32 v3, 0x3fb8aa3b, v1
	v_fma_f32 v4, v1, s15, -v3
	v_rndne_f32_e32 v5, v3
	v_fmac_f32_e32 v4, 0x32a5705f, v1
	v_sub_f32_e32 v3, v3, v5
	v_add_f32_e32 v3, v3, v4
	v_cvt_i32_f32_e32 v5, v5
	v_exp_f32_e32 v3, v3
	v_cmp_ngt_f32_e64 s[10:11], s16, v1
	v_mov_b32_e32 v4, 0x7f800000
	v_ldexp_f32 v3, v3, v5
	v_sub_f32_e32 v5, v14, v2
	v_mul_f32_e32 v6, 0x3fb8aa3b, v5
	v_fma_f32 v7, v5, s15, -v6
	v_rndne_f32_e32 v14, v6
	v_fmac_f32_e32 v7, 0x32a5705f, v5
	v_sub_f32_e32 v6, v6, v14
	v_add_f32_e32 v6, v6, v7
	v_exp_f32_e32 v6, v6
	v_cvt_i32_f32_e32 v7, v14
	v_cndmask_b32_e64 v3, 0, v3, s[10:11]
	v_cmp_nlt_f32_e64 s[10:11], s17, v1
	v_cndmask_b32_e64 v1, v4, v3, s[10:11]
	v_ldexp_f32 v3, v6, v7
	v_sub_f32_e32 v6, v15, v2
	v_mul_f32_e32 v7, 0x3fb8aa3b, v6
	v_fma_f32 v14, v6, s15, -v7
	v_rndne_f32_e32 v15, v7
	v_fmac_f32_e32 v14, 0x32a5705f, v6
	v_sub_f32_e32 v7, v7, v15
	v_add_f32_e32 v7, v7, v14
	v_exp_f32_e32 v7, v7
	v_cvt_i32_f32_e32 v14, v15
	v_sub_f32_e32 v2, v16, v2
	v_cndmask_b32_e64 v1, 0, v1, s[8:9]
	v_cmp_ngt_f32_e64 s[8:9], s16, v5
	v_ldexp_f32 v7, v7, v14
	v_mul_f32_e32 v14, 0x3fb8aa3b, v2
	v_fma_f32 v15, v2, s15, -v14
	v_rndne_f32_e32 v16, v14
	v_fmac_f32_e32 v15, 0x32a5705f, v2
	v_sub_f32_e32 v14, v14, v16
	v_cndmask_b32_e64 v3, 0, v3, s[8:9]
	v_cmp_nlt_f32_e64 s[8:9], s17, v5
	v_add_f32_e32 v14, v14, v15
	v_cndmask_b32_e64 v3, v4, v3, s[8:9]
	v_exp_f32_e32 v14, v14
	v_cvt_i32_f32_e32 v15, v16
	v_cndmask_b32_e64 v3, 0, v3, s[2:3]
	v_cmp_ngt_f32_e64 s[2:3], s16, v6
	v_cndmask_b32_e64 v7, 0, v7, s[2:3]
	v_cmp_nlt_f32_e64 s[2:3], s17, v6
	v_cndmask_b32_e64 v6, v4, v7, s[2:3]
	v_cndmask_b32_e64 v6, 0, v6, s[0:1]
	v_ldexp_f32 v7, v14, v15
	v_cmp_ngt_f32_e64 s[0:1], s16, v2
	v_cndmask_b32_e64 v7, 0, v7, s[0:1]
	v_cmp_nlt_f32_e64 s[0:1], s17, v2
	s_waitcnt vmcnt(3)
	v_mul_f32_e32 v1, v21, v1
	s_waitcnt vmcnt(2)
	v_mul_f32_e32 v5, v24, v3
	v_cndmask_b32_e64 v2, v4, v7, s[0:1]
	v_lshlrev_b32_e32 v7, 2, v0
	ds_write2st64_b32 v7, v1, v5 offset1:1
	v_fmac_f32_e32 v1, v24, v3
	v_cndmask_b32_e32 v4, 0, v2, vcc
	s_waitcnt vmcnt(1)
	v_fmac_f32_e32 v1, v8, v6
	s_waitcnt vmcnt(0)
	v_fmac_f32_e32 v1, v9, v4
	ds_bpermute_b32 v2, v12, v1
	v_mul_f32_e32 v3, v8, v6
	v_mul_f32_e32 v4, v9, v4
	v_cmp_eq_u32_e32 vcc, 0, v0
	ds_write2st64_b32 v7, v3, v4 offset0:2 offset1:3
	s_waitcnt lgkmcnt(1)
	v_add_f32_e32 v1, v1, v2
	ds_bpermute_b32 v2, v13, v1
	s_waitcnt lgkmcnt(0)
	v_add_f32_e32 v1, v1, v2
	ds_bpermute_b32 v2, v10, v1
	;; [unrolled: 3-line block ×5, first 2 shown]
	s_and_saveexec_b64 s[0:1], vcc
	s_cbranch_execz .LBB211_8
; %bb.7:
	s_waitcnt lgkmcnt(0)
	v_add_f32_e32 v1, v1, v2
	v_mov_b32_e32 v2, 0
	ds_write_b32 v2, v1 offset:1024
.LBB211_8:
	s_or_b64 exec, exec, s[0:1]
	v_mov_b32_e32 v1, s14
.LBB211_9:
	s_or_b64 exec, exec, s[28:29]
	s_lshl_b32 s0, s30, 6
	s_mov_b32 s1, 0
	s_lshl_b64 s[0:1], s[0:1], 1
	s_add_u32 s0, s12, s0
	s_addc_u32 s1, s13, s1
	s_lshl_b32 s10, s33, 6
	s_waitcnt lgkmcnt(0)
	v_lshlrev_b32_e32 v2, 6, v1
	v_mov_b32_e32 v3, 0
	s_sub_i32 s11, s10, 64
	v_lshlrev_b64 v[4:5], 1, v[2:3]
	s_cmp_lt_i32 s36, 1
	v_mov_b32_e32 v1, s1
	v_add_co_u32_e32 v2, vcc, s0, v4
	s_cselect_b32 s0, s11, 0
	v_addc_co_u32_e32 v1, vcc, v1, v5, vcc
	v_lshlrev_b32_e32 v118, 1, v0
	s_ashr_i32 s1, s0, 31
	v_add_co_u32_e32 v0, vcc, v2, v118
	s_lshl_b64 s[0:1], s[0:1], 1
	v_addc_co_u32_e32 v1, vcc, 0, v1, vcc
	s_cmpk_lt_i32 s36, 0x101
	v_add_co_u32_e32 v4, vcc, s0, v0
	s_cselect_b32 s0, s11, 64
	v_mov_b32_e32 v2, s1
	s_ashr_i32 s1, s0, 31
	s_lshl_b64 s[0:1], s[0:1], 1
	v_addc_co_u32_e32 v5, vcc, v1, v2, vcc
	s_cmpk_lt_i32 s36, 0x201
	v_add_co_u32_e32 v6, vcc, s0, v0
	s_cselect_b32 s0, s11, 0x80
	v_mov_b32_e32 v2, s1
	s_ashr_i32 s1, s0, 31
	;; [unrolled: 7-line block ×8, first 2 shown]
	s_lshl_b64 s[0:1], s[0:1], 1
	v_addc_co_u32_e32 v19, vcc, v1, v2, vcc
	s_cmpk_lt_i32 s36, 0x901
	global_load_ushort v44, v[4:5], off
	global_load_ushort v43, v[6:7], off
	global_load_ushort v42, v[8:9], off
	global_load_ushort v41, v[10:11], off
	global_load_ushort v39, v[12:13], off
	global_load_ushort v40, v[14:15], off
	global_load_ushort v2, v[16:17], off
	global_load_ushort v38, v[18:19], off
	v_add_co_u32_e32 v4, vcc, s0, v0
	s_cselect_b32 s0, s11, 0x240
	v_mov_b32_e32 v5, s1
	s_ashr_i32 s1, s0, 31
	s_lshl_b64 s[0:1], s[0:1], 1
	v_addc_co_u32_e32 v5, vcc, v1, v5, vcc
	s_cmpk_lt_i32 s36, 0xa01
	v_add_co_u32_e32 v6, vcc, s0, v0
	s_cselect_b32 s0, s11, 0x280
	v_mov_b32_e32 v7, s1
	s_ashr_i32 s1, s0, 31
	s_lshl_b64 s[0:1], s[0:1], 1
	v_addc_co_u32_e32 v7, vcc, v1, v7, vcc
	s_cmpk_lt_i32 s36, 0xb01
	;; [unrolled: 7-line block ×6, first 2 shown]
	v_add_co_u32_e32 v16, vcc, s0, v0
	s_cselect_b32 s0, s11, 0x3c0
	v_mov_b32_e32 v17, s1
	s_ashr_i32 s1, s0, 31
	v_addc_co_u32_e32 v17, vcc, v1, v17, vcc
	s_lshl_b64 s[0:1], s[0:1], 1
	v_mov_b32_e32 v19, s1
	v_add_co_u32_e32 v18, vcc, s0, v0
	v_addc_co_u32_e32 v19, vcc, v1, v19, vcc
	global_load_ushort v51, v[4:5], off
	global_load_ushort v52, v[6:7], off
	;; [unrolled: 1-line block ×8, first 2 shown]
	s_cmpk_gt_i32 s36, 0x1000
	s_cselect_b64 s[8:9], -1, 0
	s_cmpk_lt_i32 s36, 0x1001
	v_mov_b32_e32 v61, 0
	v_mov_b32_e32 v62, 0
	;; [unrolled: 1-line block ×48, first 2 shown]
	s_waitcnt lgkmcnt(0)
	; wave barrier
	s_cbranch_scc1 .LBB211_12
; %bb.10:
	s_cmpk_lt_u32 s36, 0x1101
	s_cselect_b32 s0, s11, 0x440
	s_ashr_i32 s1, s0, 31
	s_lshl_b64 s[0:1], s[0:1], 1
	s_cmpk_lt_u32 s36, 0x1201
	v_add_co_u32_e32 v4, vcc, s0, v0
	s_cselect_b32 s0, s11, 0x480
	v_mov_b32_e32 v5, s1
	s_ashr_i32 s1, s0, 31
	s_lshl_b64 s[0:1], s[0:1], 1
	v_addc_co_u32_e32 v5, vcc, v1, v5, vcc
	s_cmpk_lt_u32 s36, 0x1301
	v_add_co_u32_e32 v6, vcc, s0, v0
	s_cselect_b32 s0, s11, 0x4c0
	v_mov_b32_e32 v7, s1
	s_ashr_i32 s1, s0, 31
	s_lshl_b64 s[0:1], s[0:1], 1
	v_addc_co_u32_e32 v7, vcc, v1, v7, vcc
	;; [unrolled: 7-line block ×7, first 2 shown]
	s_cmpk_lt_u32 s36, 0x1901
	global_load_ushort v60, v[0:1], off offset:2048
	global_load_ushort v59, v[4:5], off
	global_load_ushort v58, v[6:7], off
	;; [unrolled: 1-line block ×7, first 2 shown]
	v_add_co_u32_e32 v4, vcc, s0, v0
	s_cselect_b32 s0, s11, 0x640
	v_mov_b32_e32 v5, s1
	s_ashr_i32 s1, s0, 31
	s_lshl_b64 s[0:1], s[0:1], 1
	v_addc_co_u32_e32 v5, vcc, v1, v5, vcc
	s_cmpk_lt_u32 s36, 0x1a01
	v_add_co_u32_e32 v6, vcc, s0, v0
	s_cselect_b32 s0, s11, 0x680
	v_mov_b32_e32 v7, s1
	s_ashr_i32 s1, s0, 31
	s_lshl_b64 s[0:1], s[0:1], 1
	v_addc_co_u32_e32 v7, vcc, v1, v7, vcc
	s_cmpk_lt_u32 s36, 0x1b01
	;; [unrolled: 7-line block ×6, first 2 shown]
	v_add_co_u32_e32 v16, vcc, s0, v0
	s_cselect_b32 s0, s11, 0x7c0
	v_mov_b32_e32 v17, s1
	s_ashr_i32 s1, s0, 31
	v_addc_co_u32_e32 v17, vcc, v1, v17, vcc
	s_lshl_b64 s[0:1], s[0:1], 1
	v_mov_b32_e32 v19, s1
	v_add_co_u32_e32 v18, vcc, s0, v0
	v_addc_co_u32_e32 v19, vcc, v1, v19, vcc
	global_load_ushort v68, v[4:5], off
	global_load_ushort v67, v[6:7], off
	;; [unrolled: 1-line block ×8, first 2 shown]
	s_cmpk_lt_u32 s36, 0x2001
	v_mov_b32_e32 v35, 0
	v_mov_b32_e32 v33, 0
	;; [unrolled: 1-line block ×32, first 2 shown]
	s_cbranch_scc1 .LBB211_12
; %bb.11:
	s_cmpk_lt_u32 s36, 0x2101
	s_cselect_b32 s0, s11, 0x840
	s_ashr_i32 s1, s0, 31
	s_lshl_b64 s[0:1], s[0:1], 1
	s_cmpk_lt_u32 s36, 0x2201
	v_add_co_u32_e32 v4, vcc, s0, v0
	s_cselect_b32 s0, s11, 0x880
	v_mov_b32_e32 v5, s1
	s_ashr_i32 s1, s0, 31
	s_lshl_b64 s[0:1], s[0:1], 1
	v_addc_co_u32_e32 v5, vcc, v1, v5, vcc
	s_cmpk_lt_u32 s36, 0x2301
	v_add_co_u32_e32 v6, vcc, s0, v0
	s_cselect_b32 s0, s11, 0x8c0
	v_mov_b32_e32 v7, s1
	s_ashr_i32 s1, s0, 31
	s_lshl_b64 s[0:1], s[0:1], 1
	v_addc_co_u32_e32 v7, vcc, v1, v7, vcc
	;; [unrolled: 7-line block ×30, first 2 shown]
	v_mov_b32_e32 v69, s1
	s_movk_i32 s1, 0x1000
	v_add_co_u32_e32 v96, vcc, s1, v0
	v_addc_co_u32_e32 v97, vcc, 0, v1, vcc
	global_load_ushort v98, v[96:97], off
	global_load_ushort v99, v[4:5], off
	;; [unrolled: 1-line block ×15, first 2 shown]
                                        ; kill: killed $vgpr28 killed $vgpr29
                                        ; kill: killed $vgpr8 killed $vgpr9
                                        ; kill: killed $vgpr70 killed $vgpr71
                                        ; kill: killed $vgpr14 killed $vgpr15
                                        ; kill: killed $vgpr20 killed $vgpr21
                                        ; kill: killed $vgpr4 killed $vgpr5
                                        ; kill: killed $vgpr30 killed $vgpr31
                                        ; kill: killed $vgpr10 killed $vgpr11
                                        ; kill: killed $vgpr16 killed $vgpr17
                                        ; kill: killed $vgpr22 killed $vgpr23
                                        ; kill: killed $vgpr6 killed $vgpr7
                                        ; kill: killed $vgpr96 killed $vgpr97
                                        ; kill: killed $vgpr34 killed $vgpr35
                                        ; kill: killed $vgpr12 killed $vgpr13
                                        ; kill: killed $vgpr18 killed $vgpr19
	global_load_ushort v6, v[24:25], off
	global_load_ushort v7, v[26:27], off
	;; [unrolled: 1-line block ×15, first 2 shown]
                                        ; kill: killed $vgpr88 killed $vgpr89
                                        ; kill: killed $vgpr72 killed $vgpr73
                                        ; kill: killed $vgpr94 killed $vgpr95
                                        ; kill: killed $vgpr78 killed $vgpr79
                                        ; kill: killed $vgpr84 killed $vgpr85
                                        ; kill: killed $vgpr32 killed $vgpr33
                                        ; kill: killed $vgpr90 killed $vgpr91
                                        ; kill: killed $vgpr74 killed $vgpr75
                                        ; kill: killed $vgpr80 killed $vgpr81
                                        ; kill: killed $vgpr24 killed $vgpr25
                                        ; kill: killed $vgpr36 killed $vgpr37
                                        ; kill: killed $vgpr92 killed $vgpr93
                                        ; kill: killed $vgpr76 killed $vgpr77
                                        ; kill: killed $vgpr82 killed $vgpr83
                                        ; kill: killed $vgpr26 killed $vgpr27
	global_load_ushort v36, v[86:87], off
	v_add_co_u32_e32 v4, vcc, s0, v0
	v_addc_co_u32_e32 v5, vcc, v1, v69, vcc
	global_load_ushort v5, v[4:5], off
	s_waitcnt vmcnt(31)
	v_lshlrev_b32_e32 v35, 16, v98
	s_waitcnt vmcnt(30)
	v_lshlrev_b32_e32 v33, 16, v99
	s_waitcnt vmcnt(29)
	v_lshlrev_b32_e32 v34, 16, v100
	s_waitcnt vmcnt(28)
	v_lshlrev_b32_e32 v31, 16, v101
	s_waitcnt vmcnt(27)
	v_lshlrev_b32_e32 v32, 16, v102
	s_waitcnt vmcnt(26)
	v_lshlrev_b32_e32 v29, 16, v103
	s_waitcnt vmcnt(25)
	v_lshlrev_b32_e32 v30, 16, v104
	s_waitcnt vmcnt(24)
	v_lshlrev_b32_e32 v27, 16, v105
	s_waitcnt vmcnt(23)
	v_lshlrev_b32_e32 v28, 16, v106
	s_waitcnt vmcnt(22)
	v_lshlrev_b32_e32 v25, 16, v107
	s_waitcnt vmcnt(21)
	v_lshlrev_b32_e32 v26, 16, v108
	s_waitcnt vmcnt(20)
	v_lshlrev_b32_e32 v23, 16, v109
	s_waitcnt vmcnt(19)
	v_lshlrev_b32_e32 v24, 16, v110
	s_waitcnt vmcnt(18)
	v_lshlrev_b32_e32 v21, 16, v111
	s_waitcnt vmcnt(17)
	v_lshlrev_b32_e32 v22, 16, v112
	s_waitcnt vmcnt(16)
	v_lshlrev_b32_e32 v20, 16, v6
	s_waitcnt vmcnt(15)
	v_lshlrev_b32_e32 v19, 16, v7
	s_waitcnt vmcnt(14)
	v_lshlrev_b32_e32 v17, 16, v8
	s_waitcnt vmcnt(13)
	v_lshlrev_b32_e32 v18, 16, v9
	s_waitcnt vmcnt(12)
	v_lshlrev_b32_e32 v16, 16, v10
	s_waitcnt vmcnt(11)
	v_lshlrev_b32_e32 v10, 16, v11
	s_waitcnt vmcnt(10)
	v_lshlrev_b32_e32 v13, 16, v13
	s_waitcnt vmcnt(9)
	v_lshlrev_b32_e32 v12, 16, v12
	s_waitcnt vmcnt(8)
	v_lshlrev_b32_e32 v15, 16, v15
	s_waitcnt vmcnt(7)
	v_lshlrev_b32_e32 v14, 16, v14
	s_waitcnt vmcnt(6)
	v_lshlrev_b32_e32 v11, 16, v70
	s_waitcnt vmcnt(5)
	v_lshlrev_b32_e32 v4, 16, v71
	s_waitcnt vmcnt(4)
	v_lshlrev_b32_e32 v7, 16, v96
	s_waitcnt vmcnt(3)
	v_lshlrev_b32_e32 v6, 16, v97
	s_waitcnt vmcnt(2)
	v_lshlrev_b32_e32 v9, 16, v113
	s_waitcnt vmcnt(1)
	v_lshlrev_b32_e32 v8, 16, v36
	s_waitcnt vmcnt(0)
	v_lshlrev_b32_e32 v5, 16, v5
.LBB211_12:
	s_load_dwordx2 s[0:1], s[4:5], 0x0
	s_load_dwordx2 s[2:3], s[4:5], 0x38
	ds_read_b128 v[70:73], v3
	s_waitcnt vmcnt(15)
	v_lshlrev_b32_e32 v36, 16, v44
	ds_read_b128 v[74:77], v3 offset:16
	ds_read_b128 v[78:81], v3 offset:32
	ds_read_b128 v[82:85], v3 offset:48
	s_waitcnt vmcnt(10)
	v_lshlrev_b32_e32 v37, 16, v40
	s_and_b64 vcc, exec, s[8:9]
	s_waitcnt lgkmcnt(0)
	v_fma_f32 v44, v70, v36, 0
	v_lshlrev_b32_e32 v36, 16, v43
	v_fmac_f32_e32 v44, v71, v36
	v_lshlrev_b32_e32 v36, 16, v42
	v_fmac_f32_e32 v44, v72, v36
	v_lshlrev_b32_e32 v36, 16, v41
	v_fmac_f32_e32 v44, v73, v36
	v_lshlrev_b32_e32 v36, 16, v39
	v_pk_mul_f32 v[36:37], v[74:75], v[36:37]
	v_add_f32_e32 v36, v44, v36
	v_add_f32_e32 v39, v36, v37
	s_waitcnt vmcnt(8)
	v_lshlrev_b32_e32 v37, 16, v38
	v_lshlrev_b32_e32 v36, 16, v2
	v_pk_mul_f32 v[36:37], v[76:77], v[36:37]
	v_add_f32_e32 v2, v39, v36
	v_add_f32_e32 v2, v2, v37
	s_waitcnt vmcnt(6)
	v_lshlrev_b32_e32 v37, 16, v52
	;; [unrolled: 6-line block ×5, first 2 shown]
	v_lshlrev_b32_e32 v36, 16, v45
	v_pk_mul_f32 v[36:37], v[84:85], v[36:37]
	v_add_f32_e32 v2, v2, v36
	v_add_f32_e32 v119, v2, v37
	s_cbranch_vccz .LBB211_15
; %bb.13:
	ds_read_b128 v[36:39], v3 offset:64
	v_lshlrev_b32_e32 v2, 16, v60
	ds_read_b128 v[40:43], v3 offset:80
	ds_read_b128 v[44:47], v3 offset:96
	;; [unrolled: 1-line block ×3, first 2 shown]
	s_cmpk_lt_u32 s36, 0x2001
	s_waitcnt lgkmcnt(3)
	v_fmac_f32_e32 v119, v36, v2
	v_lshlrev_b32_e32 v2, 16, v59
	v_fmac_f32_e32 v119, v37, v2
	v_lshlrev_b32_e32 v2, 16, v58
	v_fmac_f32_e32 v119, v38, v2
	v_lshlrev_b32_e32 v2, 16, v57
	v_fmac_f32_e32 v119, v39, v2
	v_lshlrev_b32_e32 v2, 16, v56
	s_waitcnt lgkmcnt(2)
	v_fmac_f32_e32 v119, v40, v2
	v_lshlrev_b32_e32 v2, 16, v55
	v_fmac_f32_e32 v119, v41, v2
	v_lshlrev_b32_e32 v2, 16, v54
	v_fmac_f32_e32 v119, v42, v2
	v_lshlrev_b32_e32 v2, 16, v53
	v_fmac_f32_e32 v119, v43, v2
	v_lshlrev_b32_e32 v2, 16, v68
	;; [unrolled: 9-line block ×3, first 2 shown]
	s_waitcnt lgkmcnt(0)
	v_fmac_f32_e32 v119, v48, v2
	v_lshlrev_b32_e32 v2, 16, v63
	v_fmac_f32_e32 v119, v49, v2
	v_lshlrev_b32_e32 v2, 16, v62
	;; [unrolled: 2-line block ×3, first 2 shown]
	v_fmac_f32_e32 v119, v51, v2
	s_cbranch_scc1 .LBB211_15
; %bb.14:
	v_mov_b32_e32 v52, 0
	ds_read_b128 v[36:39], v52 offset:128
	ds_read_b128 v[40:43], v52 offset:144
	;; [unrolled: 1-line block ×4, first 2 shown]
	s_waitcnt lgkmcnt(3)
	v_fmac_f32_e32 v119, v36, v35
	v_fmac_f32_e32 v119, v37, v33
	v_fmac_f32_e32 v119, v38, v34
	v_fmac_f32_e32 v119, v39, v31
	s_waitcnt lgkmcnt(2)
	v_fmac_f32_e32 v119, v40, v32
	v_fmac_f32_e32 v119, v41, v29
	v_fmac_f32_e32 v119, v42, v30
	v_fmac_f32_e32 v119, v43, v27
	;; [unrolled: 5-line block ×3, first 2 shown]
	s_waitcnt lgkmcnt(0)
	v_fmac_f32_e32 v119, v48, v24
	ds_read_b128 v[24:27], v52 offset:192
	v_fmac_f32_e32 v119, v49, v21
	v_fmac_f32_e32 v119, v50, v22
	;; [unrolled: 1-line block ×3, first 2 shown]
	ds_read_b128 v[20:23], v52 offset:208
	s_waitcnt lgkmcnt(1)
	v_fmac_f32_e32 v119, v24, v19
	v_fmac_f32_e32 v119, v25, v17
	;; [unrolled: 1-line block ×4, first 2 shown]
	s_waitcnt lgkmcnt(0)
	v_pk_mul_f32 v[2:3], v[20:21], v[14:15]
	ds_read_b128 v[14:17], v52 offset:224
	v_add_f32_e32 v2, v119, v2
	v_add_f32_e32 v18, v2, v3
	v_pk_mul_f32 v[2:3], v[22:23], v[12:13]
	v_add_f32_e32 v2, v18, v2
	ds_read_b128 v[18:21], v52 offset:240
	v_add_f32_e32 v12, v2, v3
	s_waitcnt lgkmcnt(1)
	v_pk_mul_f32 v[2:3], v[14:15], v[10:11]
	v_add_f32_e32 v2, v12, v2
	v_add_f32_e32 v10, v2, v3
	v_pk_mul_f32 v[2:3], v[16:17], v[8:9]
	v_add_f32_e32 v2, v10, v2
	v_add_f32_e32 v8, v2, v3
	s_waitcnt lgkmcnt(0)
	v_pk_mul_f32 v[2:3], v[18:19], v[6:7]
	v_add_f32_e32 v2, v8, v2
	v_add_f32_e32 v6, v2, v3
	v_pk_mul_f32 v[2:3], v[20:21], v[4:5]
	v_add_f32_e32 v2, v6, v2
	v_add_f32_e32 v119, v2, v3
.LBB211_15:
	s_movk_i32 s4, 0x1fc0
	s_movk_i32 s5, 0x100
	s_mov_b32 s8, 64
	s_branch .LBB211_17
.LBB211_16:                             ;   in Loop: Header=BB211_17 Depth=1
	s_addk_i32 s4, 0x1000
	s_addk_i32 s5, 0x100
	s_add_i32 s8, s8, 64
	s_cmpk_eq_i32 s4, 0x4fc0
	s_cbranch_scc1 .LBB211_19
.LBB211_17:                             ; =>This Inner Loop Header: Depth=1
	s_cmp_le_i32 s33, s8
	s_cbranch_scc1 .LBB211_16
; %bb.18:                               ;   in Loop: Header=BB211_17 Depth=1
	s_add_i32 s9, s4, 0xfffff040
	s_cmp_lt_i32 s9, s10
	s_cselect_b32 s12, s9, s11
	s_ashr_i32 s13, s12, 31
	s_lshl_b64 s[12:13], s[12:13], 1
	s_add_i32 s9, s4, 0xfffff080
	s_cmp_lt_i32 s9, s10
	v_add_co_u32_e32 v4, vcc, s12, v0
	s_cselect_b32 s12, s9, s11
	v_mov_b32_e32 v2, s13
	s_ashr_i32 s13, s12, 31
	s_lshl_b64 s[12:13], s[12:13], 1
	s_add_i32 s9, s4, 0xfffff0c0
	v_addc_co_u32_e32 v5, vcc, v1, v2, vcc
	s_cmp_lt_i32 s9, s10
	v_add_co_u32_e32 v2, vcc, s12, v0
	s_cselect_b32 s12, s9, s11
	v_mov_b32_e32 v3, s13
	s_ashr_i32 s13, s12, 31
	s_lshl_b64 s[12:13], s[12:13], 1
	s_add_i32 s9, s4, 0xfffff100
	v_addc_co_u32_e32 v3, vcc, v1, v3, vcc
	;; [unrolled: 8-line block ×21, first 2 shown]
	s_cmp_lt_i32 s9, s10
	global_load_ushort v120, v[4:5], off
	global_load_ushort v122, v[6:7], off
	;; [unrolled: 1-line block ×4, first 2 shown]
	v_add_co_u32_e32 v44, vcc, s12, v0
	s_cselect_b32 s12, s9, s11
	v_mov_b32_e32 v45, s13
	s_ashr_i32 s13, s12, 31
	s_lshl_b64 s[12:13], s[12:13], 1
	s_add_i32 s9, s4, 0xfffff600
	v_addc_co_u32_e32 v45, vcc, v1, v45, vcc
	s_cmp_lt_i32 s9, s10
	v_add_co_u32_e32 v46, vcc, s12, v0
	s_cselect_b32 s12, s9, s11
	v_mov_b32_e32 v47, s13
	s_ashr_i32 s13, s12, 31
	s_lshl_b64 s[12:13], s[12:13], 1
	s_add_i32 s9, s4, 0xfffff640
	v_addc_co_u32_e32 v47, vcc, v1, v47, vcc
	s_cmp_lt_i32 s9, s10
	;; [unrolled: 8-line block ×8, first 2 shown]
	global_load_ushort v121, v[2:3], off
	v_add_co_u32_e32 v60, vcc, s12, v0
	s_cselect_b32 s12, s9, s11
	v_mov_b32_e32 v61, s13
	s_ashr_i32 s13, s12, 31
	s_lshl_b64 s[12:13], s[12:13], 1
	s_add_i32 s9, s4, 0xfffff800
	v_addc_co_u32_e32 v61, vcc, v1, v61, vcc
	s_cmp_lt_i32 s9, s10
	v_add_co_u32_e32 v62, vcc, s12, v0
	s_cselect_b32 s12, s9, s11
	global_load_ushort v125, v[12:13], off
	global_load_ushort v126, v[14:15], off
	v_mov_b32_e32 v63, s13
	s_ashr_i32 s13, s12, 31
	global_load_ushort v127, v[16:17], off
	global_load_ushort v128, v[18:19], off
	;; [unrolled: 1-line block ×3, first 2 shown]
	s_lshl_b64 s[12:13], s[12:13], 1
	s_add_i32 s9, s4, 0xfffff840
	v_addc_co_u32_e32 v63, vcc, v1, v63, vcc
	s_cmp_lt_i32 s9, s10
	v_add_co_u32_e32 v64, vcc, s12, v0
	s_cselect_b32 s12, s9, s11
	v_mov_b32_e32 v65, s13
	s_ashr_i32 s13, s12, 31
	s_lshl_b64 s[12:13], s[12:13], 1
	s_add_i32 s9, s4, 0xfffff880
	v_addc_co_u32_e32 v65, vcc, v1, v65, vcc
	s_cmp_lt_i32 s9, s10
	v_add_co_u32_e32 v66, vcc, s12, v0
	s_cselect_b32 s12, s9, s11
	v_mov_b32_e32 v67, s13
	s_ashr_i32 s13, s12, 31
	global_load_ushort v130, v[22:23], off
	global_load_ushort v131, v[24:25], off
	s_lshl_b64 s[12:13], s[12:13], 1
	s_add_i32 s9, s4, 0xfffff8c0
	v_addc_co_u32_e32 v67, vcc, v1, v67, vcc
	s_cmp_lt_i32 s9, s10
	global_load_ushort v132, v[26:27], off
	global_load_ushort v133, v[28:29], off
	v_add_co_u32_e32 v68, vcc, s12, v0
	s_cselect_b32 s12, s9, s11
	v_mov_b32_e32 v69, s13
	s_ashr_i32 s13, s12, 31
	s_lshl_b64 s[12:13], s[12:13], 1
	s_add_i32 s9, s4, 0xfffff900
	v_addc_co_u32_e32 v69, vcc, v1, v69, vcc
	s_cmp_lt_i32 s9, s10
	v_add_co_u32_e32 v70, vcc, s12, v0
	s_cselect_b32 s12, s9, s11
	v_mov_b32_e32 v71, s13
	s_ashr_i32 s13, s12, 31
	global_load_ushort v134, v[30:31], off
	global_load_ushort v135, v[32:33], off
	s_lshl_b64 s[12:13], s[12:13], 1
	s_add_i32 s9, s4, 0xfffff940
	v_addc_co_u32_e32 v71, vcc, v1, v71, vcc
	s_cmp_lt_i32 s9, s10
	v_add_co_u32_e32 v72, vcc, s12, v0
	s_cselect_b32 s12, s9, s11
	v_mov_b32_e32 v73, s13
	s_ashr_i32 s13, s12, 31
	s_lshl_b64 s[12:13], s[12:13], 1
	s_add_i32 s9, s4, 0xfffff980
	global_load_ushort v30, v[34:35], off
	global_load_ushort v31, v[36:37], off
	;; [unrolled: 1-line block ×4, first 2 shown]
	v_addc_co_u32_e32 v73, vcc, v1, v73, vcc
	s_cmp_lt_i32 s9, s10
	v_add_co_u32_e32 v74, vcc, s12, v0
	s_cselect_b32 s12, s9, s11
	v_mov_b32_e32 v75, s13
	s_ashr_i32 s13, s12, 31
	s_lshl_b64 s[12:13], s[12:13], 1
	s_add_i32 s9, s4, 0xfffff9c0
	v_addc_co_u32_e32 v75, vcc, v1, v75, vcc
	s_cmp_lt_i32 s9, s10
	v_add_co_u32_e32 v76, vcc, s12, v0
	s_cselect_b32 s12, s9, s11
	v_mov_b32_e32 v77, s13
	s_ashr_i32 s13, s12, 31
	s_lshl_b64 s[12:13], s[12:13], 1
	s_add_i32 s9, s4, 0xfffffa00
	v_addc_co_u32_e32 v77, vcc, v1, v77, vcc
	s_cmp_lt_i32 s9, s10
	v_add_co_u32_e32 v78, vcc, s12, v0
	s_cselect_b32 s12, s9, s11
	global_load_ushort v34, v[42:43], off
	global_load_ushort v35, v[44:45], off
	v_mov_b32_e32 v79, s13
	s_ashr_i32 s13, s12, 31
	s_lshl_b64 s[12:13], s[12:13], 1
	s_add_i32 s9, s4, 0xfffffa40
	v_addc_co_u32_e32 v79, vcc, v1, v79, vcc
	s_cmp_lt_i32 s9, s10
	v_add_co_u32_e32 v80, vcc, s12, v0
	s_cselect_b32 s12, s9, s11
	v_mov_b32_e32 v81, s13
	s_ashr_i32 s13, s12, 31
	global_load_ushort v38, v[46:47], off
	s_lshl_b64 s[12:13], s[12:13], 1
	s_add_i32 s9, s4, 0xfffffa80
	v_mov_b32_e32 v37, s5
	v_addc_co_u32_e32 v81, vcc, v1, v81, vcc
	s_cmp_lt_i32 s9, s10
	ds_read_b128 v[14:17], v37
	ds_read_b128 v[18:21], v37 offset:16
	global_load_ushort v39, v[48:49], off
	v_add_co_u32_e32 v82, vcc, s12, v0
	s_cselect_b32 s12, s9, s11
	v_mov_b32_e32 v83, s13
	s_ashr_i32 s13, s12, 31
	s_lshl_b64 s[12:13], s[12:13], 1
	s_add_i32 s9, s4, 0xfffffac0
	v_addc_co_u32_e32 v83, vcc, v1, v83, vcc
	s_cmp_lt_i32 s9, s10
	s_waitcnt vmcnt(23)
	v_lshlrev_b32_e32 v36, 16, v120
	v_add_co_u32_e32 v84, vcc, s12, v0
	s_cselect_b32 s12, s9, s11
	ds_read_b128 v[22:25], v37 offset:32
	ds_read_b128 v[26:29], v37 offset:48
	s_waitcnt lgkmcnt(3)
	v_fmac_f32_e32 v119, v14, v36
	global_load_ushort v36, v[50:51], off
	global_load_ushort v40, v[52:53], off
	;; [unrolled: 1-line block ×6, first 2 shown]
	v_mov_b32_e32 v85, s13
	s_ashr_i32 s13, s12, 31
	s_lshl_b64 s[12:13], s[12:13], 1
	s_add_i32 s9, s4, 0xfffffb00
	v_addc_co_u32_e32 v85, vcc, v1, v85, vcc
	s_cmp_lt_i32 s9, s10
	v_add_co_u32_e32 v86, vcc, s12, v0
	s_cselect_b32 s12, s9, s11
	v_mov_b32_e32 v87, s13
	s_ashr_i32 s13, s12, 31
	s_lshl_b64 s[12:13], s[12:13], 1
	s_add_i32 s9, s4, 0xfffffb40
	v_addc_co_u32_e32 v87, vcc, v1, v87, vcc
	s_cmp_lt_i32 s9, s10
	v_add_co_u32_e32 v88, vcc, s12, v0
	s_cselect_b32 s12, s9, s11
	;; [unrolled: 8-line block ×7, first 2 shown]
	v_mov_b32_e32 v99, s13
	s_ashr_i32 s13, s12, 31
	s_lshl_b64 s[12:13], s[12:13], 1
	s_add_i32 s9, s4, 0xfffffcc0
	v_addc_co_u32_e32 v99, vcc, v1, v99, vcc
	s_cmp_lt_i32 s9, s10
	s_waitcnt vmcnt(25)
	v_lshlrev_b32_e32 v14, 16, v121
	v_add_co_u32_e32 v100, vcc, s12, v0
	s_cselect_b32 s12, s9, s11
	v_fmac_f32_e32 v119, v15, v14
	v_lshlrev_b32_e32 v14, 16, v122
	v_mov_b32_e32 v101, s13
	s_ashr_i32 s13, s12, 31
	v_fmac_f32_e32 v119, v16, v14
	v_lshlrev_b32_e32 v14, 16, v123
	s_lshl_b64 s[12:13], s[12:13], 1
	s_add_i32 s9, s4, 0xfffffd00
	v_fmac_f32_e32 v119, v17, v14
	v_lshlrev_b32_e32 v14, 16, v124
	v_addc_co_u32_e32 v101, vcc, v1, v101, vcc
	s_cmp_lt_i32 s9, s10
	s_waitcnt lgkmcnt(2)
	v_fmac_f32_e32 v119, v18, v14
	s_waitcnt vmcnt(24)
	v_lshlrev_b32_e32 v14, 16, v125
	v_add_co_u32_e32 v102, vcc, s12, v0
	s_cselect_b32 s12, s9, s11
	v_fmac_f32_e32 v119, v19, v14
	s_waitcnt vmcnt(23)
	v_lshlrev_b32_e32 v14, 16, v126
	v_mov_b32_e32 v103, s13
	s_ashr_i32 s13, s12, 31
	v_fmac_f32_e32 v119, v20, v14
	s_waitcnt vmcnt(22)
	v_lshlrev_b32_e32 v14, 16, v127
	s_lshl_b64 s[12:13], s[12:13], 1
	s_add_i32 s9, s4, 0xfffffd40
	v_fmac_f32_e32 v119, v21, v14
	s_waitcnt vmcnt(21)
	v_lshlrev_b32_e32 v14, 16, v128
	v_addc_co_u32_e32 v103, vcc, v1, v103, vcc
	s_cmp_lt_i32 s9, s10
	s_waitcnt lgkmcnt(1)
	v_fmac_f32_e32 v119, v22, v14
	global_load_ushort v22, v[62:63], off
	v_add_co_u32_e32 v104, vcc, s12, v0
	s_cselect_b32 s12, s9, s11
	v_mov_b32_e32 v105, s13
	s_ashr_i32 s13, s12, 31
	s_lshl_b64 s[12:13], s[12:13], 1
	s_add_i32 s9, s4, 0xfffffd80
	s_waitcnt vmcnt(21)
	v_lshlrev_b32_e32 v14, 16, v129
	v_addc_co_u32_e32 v105, vcc, v1, v105, vcc
	s_cmp_lt_i32 s9, s10
	v_fmac_f32_e32 v119, v23, v14
	global_load_ushort v23, v[64:65], off
	v_add_co_u32_e32 v106, vcc, s12, v0
	s_cselect_b32 s12, s9, s11
	s_waitcnt vmcnt(21)
	v_lshlrev_b32_e32 v14, 16, v130
	global_load_ushort v45, v[66:67], off
	v_mov_b32_e32 v107, s13
	s_ashr_i32 s13, s12, 31
	v_fmac_f32_e32 v119, v24, v14
	global_load_ushort v24, v[68:69], off
	s_waitcnt vmcnt(22)
	v_lshlrev_b32_e32 v14, 16, v131
	s_lshl_b64 s[12:13], s[12:13], 1
	s_add_i32 s9, s4, 0xfffffdc0
	v_fmac_f32_e32 v119, v25, v14
	global_load_ushort v25, v[70:71], off
	global_load_ushort v46, v[72:73], off
	v_addc_co_u32_e32 v107, vcc, v1, v107, vcc
	s_cmp_lt_i32 s9, s10
	s_waitcnt vmcnt(23)
	v_lshlrev_b32_e32 v14, 16, v132
	v_add_co_u32_e32 v110, vcc, s12, v0
	s_cselect_b32 s12, s9, s11
	s_waitcnt lgkmcnt(0)
	v_fmac_f32_e32 v119, v26, v14
	global_load_ushort v26, v[74:75], off
	global_load_ushort v47, v[76:77], off
	v_mov_b32_e32 v108, s13
	s_ashr_i32 s13, s12, 31
	s_waitcnt vmcnt(24)
	v_lshlrev_b32_e32 v14, 16, v133
	s_lshl_b64 s[12:13], s[12:13], 1
	s_add_i32 s9, s4, 0xfffffe00
	v_fmac_f32_e32 v119, v27, v14
	global_load_ushort v27, v[78:79], off
	v_addc_co_u32_e32 v111, vcc, v1, v108, vcc
	s_cmp_lt_i32 s9, s10
	v_add_co_u32_e32 v108, vcc, s12, v0
	s_cselect_b32 s12, s9, s11
	s_waitcnt vmcnt(24)
	v_lshlrev_b32_e32 v14, 16, v134
	v_mov_b32_e32 v109, s13
	s_ashr_i32 s13, s12, 31
	v_fmac_f32_e32 v119, v28, v14
	global_load_ushort v28, v[80:81], off
	s_waitcnt vmcnt(24)
	v_lshlrev_b32_e32 v14, 16, v135
	s_lshl_b64 s[12:13], s[12:13], 1
	s_add_i32 s9, s4, 0xfffffe40
	v_fmac_f32_e32 v119, v29, v14
	ds_read_b128 v[14:17], v37 offset:64
	ds_read_b128 v[18:21], v37 offset:80
	v_addc_co_u32_e32 v109, vcc, v1, v109, vcc
	s_cmp_lt_i32 s9, s10
	global_load_ushort v48, v[82:83], off
	global_load_ushort v29, v[84:85], off
	;; [unrolled: 1-line block ×4, first 2 shown]
	v_add_co_u32_e32 v114, vcc, s12, v0
	s_cselect_b32 s12, s9, s11
	v_mov_b32_e32 v112, s13
	s_ashr_i32 s13, s12, 31
	s_lshl_b64 s[12:13], s[12:13], 1
	s_add_i32 s9, s4, 0xfffffe80
	s_waitcnt vmcnt(27)
	v_lshlrev_b32_e32 v30, 16, v30
	v_addc_co_u32_e32 v115, vcc, v1, v112, vcc
	s_cmp_lt_i32 s9, s10
	s_waitcnt lgkmcnt(1)
	v_fmac_f32_e32 v119, v14, v30
	global_load_ushort v30, v[90:91], off
	v_add_co_u32_e32 v112, vcc, s12, v0
	s_cselect_b32 s12, s9, s11
	s_waitcnt vmcnt(27)
	v_lshlrev_b32_e32 v14, 16, v31
	global_load_ushort v31, v[92:93], off
	global_load_ushort v51, v[94:95], off
	v_mov_b32_e32 v113, s13
	s_ashr_i32 s13, s12, 31
	s_lshl_b64 s[12:13], s[12:13], 1
	s_add_i32 s9, s4, 0xfffffec0
	v_addc_co_u32_e32 v113, vcc, v1, v113, vcc
	s_cmp_lt_i32 s9, s10
	v_add_co_u32_e32 v116, vcc, s12, v0
	s_cselect_b32 s12, s9, s11
	v_mov_b32_e32 v117, s13
	s_ashr_i32 s13, s12, 31
	v_fmac_f32_e32 v119, v15, v14
	s_waitcnt vmcnt(28)
	v_lshlrev_b32_e32 v14, 16, v32
	global_load_ushort v32, v[96:97], off
	s_lshl_b64 s[12:13], s[12:13], 1
	s_add_i32 s9, s4, 0xffffff00
	v_fmac_f32_e32 v119, v16, v14
	s_waitcnt vmcnt(28)
	v_lshlrev_b32_e32 v14, 16, v33
	global_load_ushort v33, v[98:99], off
	v_addc_co_u32_e32 v117, vcc, v1, v117, vcc
	s_cmp_lt_i32 s9, s10
	v_fmac_f32_e32 v119, v17, v14
	s_waitcnt vmcnt(28)
	v_lshlrev_b32_e32 v14, 16, v34
	global_load_ushort v34, v[100:101], off
	global_load_ushort v52, v[102:103], off
	v_add_co_u32_e32 v2, vcc, s12, v0
	s_cselect_b32 s12, s9, s11
	v_mov_b32_e32 v4, s13
	s_ashr_i32 s13, s12, 31
	s_lshl_b64 s[12:13], s[12:13], 1
	s_add_i32 s9, s4, 0xffffff40
	s_waitcnt lgkmcnt(0)
	v_fmac_f32_e32 v119, v18, v14
	s_waitcnt vmcnt(29)
	v_lshlrev_b32_e32 v14, 16, v35
	global_load_ushort v35, v[104:105], off
	global_load_ushort v53, v[106:107], off
	;; [unrolled: 1-line block ×3, first 2 shown]
	v_addc_co_u32_e32 v3, vcc, v1, v4, vcc
	s_cmp_lt_i32 s9, s10
	v_add_co_u32_e32 v4, vcc, s12, v0
	s_cselect_b32 s12, s9, s11
	v_mov_b32_e32 v5, s13
	s_ashr_i32 s13, s12, 31
	v_fmac_f32_e32 v119, v19, v14
	s_waitcnt vmcnt(31)
	v_lshlrev_b32_e32 v14, 16, v38
	global_load_ushort v38, v[108:109], off
	global_load_ushort v55, v[114:115], off
	s_lshl_b64 s[12:13], s[12:13], 1
	s_add_i32 s9, s4, 0xffffff80
	v_addc_co_u32_e32 v5, vcc, v1, v5, vcc
	s_cmp_lt_i32 s9, s10
	v_fmac_f32_e32 v119, v20, v14
	s_waitcnt vmcnt(32)
	v_lshlrev_b32_e32 v14, 16, v39
	v_add_co_u32_e32 v6, vcc, s12, v0
	s_cselect_b32 s12, s9, s11
	v_fmac_f32_e32 v119, v21, v14
	ds_read_b128 v[14:17], v37 offset:96
	v_mov_b32_e32 v7, s13
	s_ashr_i32 s13, s12, 31
	s_lshl_b64 s[12:13], s[12:13], 1
	s_sub_i32 s9, s4, 64
	v_addc_co_u32_e32 v7, vcc, v1, v7, vcc
	s_cmp_lt_i32 s9, s10
	global_load_ushort v39, v[112:113], off
	global_load_ushort v56, v[116:117], off
	v_add_co_u32_e32 v10, vcc, s12, v0
	s_cselect_b32 s12, s9, s11
	s_waitcnt vmcnt(33)
	v_lshlrev_b32_e32 v36, 16, v36
	v_mov_b32_e32 v8, s13
	s_ashr_i32 s13, s12, 31
	s_waitcnt lgkmcnt(0)
	v_fmac_f32_e32 v119, v14, v36
	s_waitcnt vmcnt(32)
	v_lshlrev_b32_e32 v14, 16, v40
	s_lshl_b64 s[12:13], s[12:13], 1
	ds_read_b128 v[18:21], v37 offset:112
	v_fmac_f32_e32 v119, v15, v14
	global_load_ushort v14, v[2:3], off
	global_load_ushort v15, v[4:5], off
	v_addc_co_u32_e32 v11, vcc, v1, v8, vcc
	s_cmp_lt_i32 s4, s10
	v_add_co_u32_e32 v8, vcc, s12, v0
	s_cselect_b32 s12, s4, s11
	s_waitcnt vmcnt(33)
	v_lshlrev_b32_e32 v2, 16, v41
	v_mov_b32_e32 v9, s13
	s_ashr_i32 s13, s12, 31
	v_fmac_f32_e32 v119, v16, v2
	global_load_ushort v16, v[6:7], off
	global_load_ushort v36, v[10:11], off
	v_addc_co_u32_e32 v9, vcc, v1, v9, vcc
	s_lshl_b64 s[12:13], s[12:13], 1
	s_waitcnt vmcnt(34)
	v_lshlrev_b32_e32 v2, 16, v42
	v_mov_b32_e32 v13, s13
	v_add_co_u32_e32 v12, vcc, s12, v0
	v_fmac_f32_e32 v119, v17, v2
	s_waitcnt vmcnt(33)
	v_lshlrev_b32_e32 v2, 16, v43
	v_addc_co_u32_e32 v13, vcc, v1, v13, vcc
	s_waitcnt lgkmcnt(0)
	v_fmac_f32_e32 v119, v18, v2
	global_load_ushort v17, v[8:9], off
	global_load_ushort v18, v[12:13], off
	s_waitcnt vmcnt(34)
	v_lshlrev_b32_e32 v2, 16, v44
	v_fmac_f32_e32 v119, v19, v2
	s_waitcnt vmcnt(33)
	v_lshlrev_b32_e32 v2, 16, v22
	v_fmac_f32_e32 v119, v20, v2
	ds_read_b128 v[2:5], v37 offset:128
	s_waitcnt vmcnt(32)
	v_lshlrev_b32_e32 v6, 16, v23
	v_fmac_f32_e32 v119, v21, v6
	ds_read_b128 v[6:9], v37 offset:144
	s_waitcnt vmcnt(31)
	v_lshlrev_b32_e32 v10, 16, v45
	s_waitcnt lgkmcnt(1)
	v_fmac_f32_e32 v119, v2, v10
	s_waitcnt vmcnt(30)
	v_lshlrev_b32_e32 v2, 16, v24
	v_fmac_f32_e32 v119, v3, v2
	s_waitcnt vmcnt(29)
	v_lshlrev_b32_e32 v2, 16, v25
	;; [unrolled: 3-line block ×4, first 2 shown]
	s_waitcnt lgkmcnt(0)
	v_fmac_f32_e32 v119, v6, v2
	s_waitcnt vmcnt(26)
	v_lshlrev_b32_e32 v2, 16, v47
	v_fmac_f32_e32 v119, v7, v2
	s_waitcnt vmcnt(25)
	v_lshlrev_b32_e32 v2, 16, v27
	v_fmac_f32_e32 v119, v8, v2
	ds_read_b128 v[2:5], v37 offset:160
	s_waitcnt vmcnt(24)
	v_lshlrev_b32_e32 v6, 16, v28
	v_fmac_f32_e32 v119, v9, v6
	ds_read_b128 v[6:9], v37 offset:176
	s_waitcnt vmcnt(23)
	v_lshlrev_b32_e32 v10, 16, v48
	s_waitcnt lgkmcnt(1)
	v_fmac_f32_e32 v119, v2, v10
	s_waitcnt vmcnt(22)
	v_lshlrev_b32_e32 v2, 16, v29
	v_fmac_f32_e32 v119, v3, v2
	s_waitcnt vmcnt(21)
	v_lshlrev_b32_e32 v2, 16, v49
	;; [unrolled: 3-line block ×4, first 2 shown]
	s_waitcnt lgkmcnt(0)
	v_fmac_f32_e32 v119, v6, v2
	s_waitcnt vmcnt(18)
	v_lshlrev_b32_e32 v2, 16, v31
	v_fmac_f32_e32 v119, v7, v2
	s_waitcnt vmcnt(17)
	v_lshlrev_b32_e32 v2, 16, v51
	v_fmac_f32_e32 v119, v8, v2
	ds_read_b128 v[2:5], v37 offset:192
	s_waitcnt vmcnt(16)
	v_lshlrev_b32_e32 v6, 16, v32
	v_fmac_f32_e32 v119, v9, v6
	ds_read_b128 v[6:9], v37 offset:208
	s_waitcnt vmcnt(15)
	v_lshlrev_b32_e32 v10, 16, v33
	s_waitcnt lgkmcnt(1)
	v_fmac_f32_e32 v119, v2, v10
	s_waitcnt vmcnt(14)
	v_lshlrev_b32_e32 v2, 16, v34
	v_fmac_f32_e32 v119, v3, v2
	s_waitcnt vmcnt(13)
	v_lshlrev_b32_e32 v2, 16, v52
	;; [unrolled: 3-line block ×4, first 2 shown]
	v_lshlrev_b32_e32 v2, 16, v53
	s_waitcnt lgkmcnt(0)
	v_pk_mul_f32 v[2:3], v[6:7], v[2:3]
	v_add_f32_e32 v2, v119, v2
	v_add_f32_e32 v4, v2, v3
	s_waitcnt vmcnt(8)
	v_lshlrev_b32_e32 v3, 16, v55
	v_lshlrev_b32_e32 v2, 16, v38
	v_pk_mul_f32 v[6:7], v[8:9], v[2:3]
	v_add_f32_e32 v6, v4, v6
	ds_read_b128 v[2:5], v37 offset:224
	s_waitcnt vmcnt(6)
	v_lshlrev_b32_e32 v11, 16, v56
	v_lshlrev_b32_e32 v10, 16, v39
	v_add_f32_e32 v12, v6, v7
	ds_read_b128 v[6:9], v37 offset:240
	s_waitcnt lgkmcnt(1)
	v_pk_mul_f32 v[2:3], v[2:3], v[10:11]
	v_add_f32_e32 v2, v12, v2
	v_add_f32_e32 v10, v2, v3
	s_waitcnt vmcnt(4)
	v_lshlrev_b32_e32 v3, 16, v15
	v_lshlrev_b32_e32 v2, 16, v14
	v_pk_mul_f32 v[2:3], v[4:5], v[2:3]
	v_add_f32_e32 v2, v10, v2
	v_add_f32_e32 v4, v2, v3
	s_waitcnt vmcnt(2)
	v_lshlrev_b32_e32 v3, 16, v36
	v_lshlrev_b32_e32 v2, 16, v16
	s_waitcnt lgkmcnt(0)
	v_pk_mul_f32 v[2:3], v[6:7], v[2:3]
	v_add_f32_e32 v2, v4, v2
	v_add_f32_e32 v4, v2, v3
	s_waitcnt vmcnt(0)
	v_lshlrev_b32_e32 v3, 16, v18
	v_lshlrev_b32_e32 v2, 16, v17
	v_pk_mul_f32 v[2:3], v[8:9], v[2:3]
	v_add_f32_e32 v2, v4, v2
	v_add_f32_e32 v119, v2, v3
	s_branch .LBB211_16
.LBB211_19:
	v_mov_b32_e32 v0, 0
	ds_read_b32 v0, v0 offset:1024
	s_cmp_lg_u64 s[2:3], 0
	s_cbranch_scc0 .LBB211_28
; %bb.20:
	s_load_dword s4, s[2:3], 0x0
	s_waitcnt lgkmcnt(0)
	v_div_scale_f32 v1, s[2:3], s4, s4, 1.0
	v_rcp_f32_e32 v2, v1
	v_div_scale_f32 v3, vcc, 1.0, s4, 1.0
	v_fma_f32 v4, -v1, v2, 1.0
	v_fmac_f32_e32 v2, v4, v2
	v_mul_f32_e32 v4, v3, v2
	v_fma_f32 v5, -v1, v4, v3
	v_fmac_f32_e32 v4, v5, v2
	v_fma_f32 v1, -v1, v4, v3
	v_div_fmas_f32 v1, v1, v2, v4
	v_div_fixup_f32 v1, v1, s4, 1.0
	s_andn2_b64 vcc, exec, s[24:25]
	s_cbranch_vccnz .LBB211_22
.LBB211_21:
	s_add_u32 s2, s22, s26
	s_addc_u32 s3, s23, s27
	s_load_dword s20, s[2:3], 0x0
	s_mov_b32 s21, 0
.LBB211_22:
	s_waitcnt lgkmcnt(0)
	v_add_f32_e32 v0, 0x358637bd, v0
	v_div_scale_f32 v2, s[2:3], v0, v0, 1.0
	v_rcp_f32_e32 v3, v2
	v_div_scale_f32 v4, vcc, 1.0, v0, 1.0
	s_mov_b32 s2, 0x7f800000
	v_fma_f32 v5, -v2, v3, 1.0
	v_fmac_f32_e32 v3, v5, v3
	v_mul_f32_e32 v5, v4, v3
	v_fma_f32 v6, -v2, v5, v4
	v_fmac_f32_e32 v5, v6, v3
	v_fma_f32 v2, -v2, v5, v4
	v_div_fmas_f32 v2, v2, v3, v5
	v_div_fixup_f32 v0, v2, v0, 1.0
	v_mul_f32_e32 v0, v119, v0
	v_mul_f32_e32 v1, v0, v1
	v_and_b32_e32 v0, 0x7f800000, v1
	v_cmp_ne_u32_e32 vcc, s2, v0
                                        ; implicit-def: $vgpr0
	s_and_saveexec_b64 s[2:3], vcc
	s_xor_b64 s[2:3], exec, s[2:3]
; %bb.23:
	v_bfe_u32 v0, v1, 16, 1
	s_movk_i32 s4, 0x7fff
	v_add3_u32 v0, v1, v0, s4
                                        ; implicit-def: $vgpr1
; %bb.24:
	s_andn2_saveexec_b64 s[2:3], s[2:3]
; %bb.25:
	v_mov_b32_e32 v0, 0
	v_or_b32_e32 v2, 0x10000, v1
	v_cmp_eq_u32_sdwa vcc, v1, v0 src0_sel:WORD_0 src1_sel:DWORD
	v_cndmask_b32_e32 v0, v2, v1, vcc
; %bb.26:
	s_or_b64 exec, exec, s[2:3]
	s_mul_i32 s2, s7, s21
	s_mul_hi_u32 s3, s7, s20
	s_add_i32 s3, s3, s2
	s_mul_i32 s2, s7, s20
	s_lshl_b64 s[2:3], s[2:3], 7
	s_add_u32 s2, s0, s2
	s_mov_b32 s7, 0
	s_addc_u32 s3, s1, s3
	s_lshl_b64 s[0:1], s[6:7], 7
	s_add_u32 s0, s2, s0
	s_addc_u32 s1, s3, s1
	global_store_short_d16_hi v118, v0, s[0:1]
	s_endpgm
.LBB211_27:
	s_mov_b64 s[2:3], 0
	s_branch .LBB211_2
.LBB211_28:
	v_mov_b32_e32 v1, 1.0
	s_andn2_b64 vcc, exec, s[24:25]
	s_cbranch_vccz .LBB211_21
	s_branch .LBB211_22
	.section	.rodata,"a",@progbits
	.p2align	6, 0x0
	.amdhsa_kernel _Z35paged_attention_ll4mi_reduce_kernelI14__hip_bfloat16S0_Li64ELi64ELi256ELi4EEvPT0_PKfS4_PKT_PKiS9_iS4_
		.amdhsa_group_segment_fixed_size 1028
		.amdhsa_private_segment_fixed_size 0
		.amdhsa_kernarg_size 320
		.amdhsa_user_sgpr_count 6
		.amdhsa_user_sgpr_private_segment_buffer 1
		.amdhsa_user_sgpr_dispatch_ptr 0
		.amdhsa_user_sgpr_queue_ptr 0
		.amdhsa_user_sgpr_kernarg_segment_ptr 1
		.amdhsa_user_sgpr_dispatch_id 0
		.amdhsa_user_sgpr_flat_scratch_init 0
		.amdhsa_user_sgpr_kernarg_preload_length 0
		.amdhsa_user_sgpr_kernarg_preload_offset 0
		.amdhsa_user_sgpr_private_segment_size 0
		.amdhsa_uses_dynamic_stack 0
		.amdhsa_system_sgpr_private_segment_wavefront_offset 0
		.amdhsa_system_sgpr_workgroup_id_x 1
		.amdhsa_system_sgpr_workgroup_id_y 1
		.amdhsa_system_sgpr_workgroup_id_z 0
		.amdhsa_system_sgpr_workgroup_info 0
		.amdhsa_system_vgpr_workitem_id 0
		.amdhsa_next_free_vgpr 136
		.amdhsa_next_free_sgpr 37
		.amdhsa_accum_offset 136
		.amdhsa_reserve_vcc 1
		.amdhsa_reserve_flat_scratch 0
		.amdhsa_float_round_mode_32 0
		.amdhsa_float_round_mode_16_64 0
		.amdhsa_float_denorm_mode_32 3
		.amdhsa_float_denorm_mode_16_64 3
		.amdhsa_dx10_clamp 1
		.amdhsa_ieee_mode 1
		.amdhsa_fp16_overflow 0
		.amdhsa_tg_split 0
		.amdhsa_exception_fp_ieee_invalid_op 0
		.amdhsa_exception_fp_denorm_src 0
		.amdhsa_exception_fp_ieee_div_zero 0
		.amdhsa_exception_fp_ieee_overflow 0
		.amdhsa_exception_fp_ieee_underflow 0
		.amdhsa_exception_fp_ieee_inexact 0
		.amdhsa_exception_int_div_zero 0
	.end_amdhsa_kernel
	.section	.text._Z35paged_attention_ll4mi_reduce_kernelI14__hip_bfloat16S0_Li64ELi64ELi256ELi4EEvPT0_PKfS4_PKT_PKiS9_iS4_,"axG",@progbits,_Z35paged_attention_ll4mi_reduce_kernelI14__hip_bfloat16S0_Li64ELi64ELi256ELi4EEvPT0_PKfS4_PKT_PKiS9_iS4_,comdat
.Lfunc_end211:
	.size	_Z35paged_attention_ll4mi_reduce_kernelI14__hip_bfloat16S0_Li64ELi64ELi256ELi4EEvPT0_PKfS4_PKT_PKiS9_iS4_, .Lfunc_end211-_Z35paged_attention_ll4mi_reduce_kernelI14__hip_bfloat16S0_Li64ELi64ELi256ELi4EEvPT0_PKfS4_PKT_PKiS9_iS4_
                                        ; -- End function
	.section	.AMDGPU.csdata,"",@progbits
; Kernel info:
; codeLenInByte = 9704
; NumSgprs: 41
; NumVgprs: 136
; NumAgprs: 0
; TotalNumVgprs: 136
; ScratchSize: 0
; MemoryBound: 0
; FloatMode: 240
; IeeeMode: 1
; LDSByteSize: 1028 bytes/workgroup (compile time only)
; SGPRBlocks: 5
; VGPRBlocks: 16
; NumSGPRsForWavesPerEU: 41
; NumVGPRsForWavesPerEU: 136
; AccumOffset: 136
; Occupancy: 3
; WaveLimiterHint : 1
; COMPUTE_PGM_RSRC2:SCRATCH_EN: 0
; COMPUTE_PGM_RSRC2:USER_SGPR: 6
; COMPUTE_PGM_RSRC2:TRAP_HANDLER: 0
; COMPUTE_PGM_RSRC2:TGID_X_EN: 1
; COMPUTE_PGM_RSRC2:TGID_Y_EN: 1
; COMPUTE_PGM_RSRC2:TGID_Z_EN: 0
; COMPUTE_PGM_RSRC2:TIDIG_COMP_CNT: 0
; COMPUTE_PGM_RSRC3_GFX90A:ACCUM_OFFSET: 33
; COMPUTE_PGM_RSRC3_GFX90A:TG_SPLIT: 0
	.section	.text._Z35paged_attention_ll4mi_reduce_kernelI14__hip_bfloat16S0_Li64ELi64ELi256ELi5EEvPT0_PKfS4_PKT_PKiS9_iS4_,"axG",@progbits,_Z35paged_attention_ll4mi_reduce_kernelI14__hip_bfloat16S0_Li64ELi64ELi256ELi5EEvPT0_PKfS4_PKT_PKiS9_iS4_,comdat
	.protected	_Z35paged_attention_ll4mi_reduce_kernelI14__hip_bfloat16S0_Li64ELi64ELi256ELi5EEvPT0_PKfS4_PKT_PKiS9_iS4_ ; -- Begin function _Z35paged_attention_ll4mi_reduce_kernelI14__hip_bfloat16S0_Li64ELi64ELi256ELi5EEvPT0_PKfS4_PKT_PKiS9_iS4_
	.globl	_Z35paged_attention_ll4mi_reduce_kernelI14__hip_bfloat16S0_Li64ELi64ELi256ELi5EEvPT0_PKfS4_PKT_PKiS9_iS4_
	.p2align	8
	.type	_Z35paged_attention_ll4mi_reduce_kernelI14__hip_bfloat16S0_Li64ELi64ELi256ELi5EEvPT0_PKfS4_PKT_PKiS9_iS4_,@function
_Z35paged_attention_ll4mi_reduce_kernelI14__hip_bfloat16S0_Li64ELi64ELi256ELi5EEvPT0_PKfS4_PKT_PKiS9_iS4_: ; @_Z35paged_attention_ll4mi_reduce_kernelI14__hip_bfloat16S0_Li64ELi64ELi256ELi5EEvPT0_PKfS4_PKT_PKiS9_iS4_
; %bb.0:
	s_load_dwordx2 s[24:25], s[4:5], 0x28
	s_mov_b32 s14, s7
	s_mov_b64 s[0:1], 0
	s_waitcnt lgkmcnt(0)
	s_cmp_lg_u64 s[24:25], 0
	s_cselect_b64 s[26:27], -1, 0
	s_and_b64 vcc, exec, s[26:27]
	s_cbranch_vccz .LBB212_27
; %bb.1:
	s_add_i32 s2, s14, 1
	s_mov_b32 s3, 0
	s_lshl_b64 s[8:9], s[2:3], 2
	s_add_u32 s8, s24, s8
	s_mov_b32 s15, s3
	s_addc_u32 s9, s25, s9
	s_lshl_b64 s[2:3], s[14:15], 2
	s_add_u32 s2, s24, s2
	s_addc_u32 s3, s25, s3
	s_load_dword s7, s[8:9], 0x0
	s_load_dword s10, s[2:3], 0x0
	s_waitcnt lgkmcnt(0)
	s_sub_i32 s2, s7, s10
	s_cmp_eq_u32 s2, 1
	s_cselect_b64 s[2:3], -1, 0
	s_andn2_b64 vcc, exec, s[0:1]
	s_cbranch_vccnz .LBB212_3
.LBB212_2:
	s_mov_b32 s15, 0
	s_mov_b64 s[2:3], -1
.LBB212_3:
	s_andn2_b64 vcc, exec, s[2:3]
	s_cbranch_vccz .LBB212_5
; %bb.4:
	s_endpgm
.LBB212_5:
	s_load_dwordx4 s[16:19], s[4:5], 0x18
	s_load_dword s8, s[4:5], 0x30
	s_lshl_b64 s[28:29], s[14:15], 2
	v_cmp_lt_u32_e32 vcc, 63, v0
	s_waitcnt lgkmcnt(0)
	s_add_u32 s0, s18, s28
	s_addc_u32 s1, s19, s29
	s_load_dword s38, s[0:1], 0x0
	s_load_dword s7, s[4:5], 0x40
	s_mul_i32 s18, s6, s8
	s_mul_i32 s2, s14, s8
	s_waitcnt lgkmcnt(0)
	s_add_i32 s3, s38, 0xff
	s_ashr_i32 s0, s3, 31
	s_lshr_b32 s0, s0, 24
	s_add_i32 s3, s3, s0
	s_and_saveexec_b64 s[0:1], vcc
	s_xor_b64 s[0:1], exec, s[0:1]
	s_or_saveexec_b64 s[30:31], s[0:1]
	s_ashr_i32 s33, s3, 8
	v_mov_b32_e32 v1, s18
	s_mul_i32 s34, s2, s7
	s_xor_b64 exec, exec, s[30:31]
	s_cbranch_execz .LBB212_9
; %bb.6:
	s_add_i32 s0, s33, -1
	v_or_b32_e32 v3, 64, v0
	s_load_dwordx4 s[20:23], s[4:5], 0x8
	v_mov_b32_e32 v1, s0
	v_cmp_gt_u32_e64 s[8:9], s33, v3
	v_cndmask_b32_e64 v4, v1, v3, s[8:9]
	v_or_b32_e32 v3, 0x80, v0
	v_cmp_gt_u32_e64 s[2:3], s33, v3
	s_mov_b32 s35, 0
	v_cndmask_b32_e64 v6, v1, v3, s[2:3]
	v_or_b32_e32 v3, 0xc0, v0
	v_cmp_gt_u32_e64 s[0:1], s33, v3
	s_lshl_b64 s[36:37], s[34:35], 2
	s_mov_b32 s19, s35
	v_cmp_gt_u32_e64 s[10:11], s33, v0
	v_cndmask_b32_e64 v8, v1, v3, s[0:1]
	v_or_b32_e32 v3, 0x100, v0
	s_waitcnt lgkmcnt(0)
	s_add_u32 s12, s22, s36
	v_cndmask_b32_e64 v2, v1, v0, s[10:11]
	v_cmp_gt_u32_e32 vcc, s33, v3
	s_addc_u32 s13, s23, s37
	s_lshl_b64 s[22:23], s[18:19], 2
	v_cndmask_b32_e32 v10, v1, v3, vcc
	s_add_u32 s19, s12, s22
	v_ashrrev_i32_e32 v3, 31, v2
	s_addc_u32 s35, s13, s23
	v_lshlrev_b64 v[2:3], 2, v[2:3]
	v_mov_b32_e32 v1, s35
	v_add_co_u32_e64 v12, s[12:13], s19, v2
	v_ashrrev_i32_e32 v5, 31, v4
	v_addc_co_u32_e64 v13, s[12:13], v1, v3, s[12:13]
	v_lshlrev_b64 v[4:5], 2, v[4:5]
	v_add_co_u32_e64 v14, s[12:13], s19, v4
	v_ashrrev_i32_e32 v7, 31, v6
	v_addc_co_u32_e64 v15, s[12:13], v1, v5, s[12:13]
	v_lshlrev_b64 v[6:7], 2, v[6:7]
	;; [unrolled: 4-line block ×4, first 2 shown]
	v_add_co_u32_e64 v20, s[12:13], s19, v10
	v_addc_co_u32_e64 v21, s[12:13], v1, v11, s[12:13]
	global_load_dword v1, v[12:13], off
	global_load_dword v22, v[14:15], off
	;; [unrolled: 1-line block ×5, first 2 shown]
	v_mbcnt_lo_u32_b32 v12, -1, 0
	v_mbcnt_hi_u32_b32 v12, -1, v12
	v_and_b32_e32 v13, 64, v12
	v_xor_b32_e32 v14, 32, v12
	v_add_u32_e32 v13, 64, v13
	v_xor_b32_e32 v15, 16, v12
	v_cmp_lt_i32_e64 s[12:13], v14, v13
	v_xor_b32_e32 v16, 8, v12
	v_cndmask_b32_e64 v14, v12, v14, s[12:13]
	v_cmp_lt_i32_e64 s[12:13], v15, v13
	v_cndmask_b32_e64 v15, v12, v15, s[12:13]
	v_cmp_lt_i32_e64 s[12:13], v16, v13
	v_cndmask_b32_e64 v16, v12, v16, s[12:13]
	v_lshlrev_b32_e32 v14, 2, v14
	s_add_u32 s12, s20, s36
	s_addc_u32 s13, s21, s37
	s_add_u32 s19, s12, s22
	s_addc_u32 s20, s13, s23
	v_mov_b32_e32 v20, s20
	v_add_co_u32_e64 v2, s[12:13], s19, v2
	v_addc_co_u32_e64 v3, s[12:13], v20, v3, s[12:13]
	global_load_dword v20, v[2:3], off
	v_lshlrev_b32_e32 v15, 2, v15
	v_lshlrev_b32_e32 v16, 2, v16
	v_xor_b32_e32 v17, 4, v12
	v_cmp_lt_i32_e64 s[12:13], v17, v13
	v_cndmask_b32_e64 v17, v12, v17, s[12:13]
	v_lshlrev_b32_e32 v17, 2, v17
	v_xor_b32_e32 v18, 2, v12
	v_xor_b32_e32 v19, 1, v12
	s_mov_b32 s21, 0x42b17218
	s_waitcnt vmcnt(3)
	v_max3_f32 v21, v1, v22, v23
	s_waitcnt vmcnt(1)
	v_max3_f32 v21, v21, v24, v25
	ds_bpermute_b32 v26, v14, v21
	s_waitcnt lgkmcnt(0)
	v_max_f32_e32 v2, v26, v26
	v_max_f32_e32 v2, v21, v2
	ds_bpermute_b32 v3, v15, v2
	v_mov_b32_e32 v21, s20
	s_waitcnt lgkmcnt(0)
	v_max_f32_e32 v3, v3, v3
	v_max_f32_e32 v26, v2, v3
	ds_bpermute_b32 v27, v16, v26
	v_add_co_u32_e64 v2, s[12:13], s19, v4
	v_addc_co_u32_e64 v3, s[12:13], v21, v5, s[12:13]
	s_waitcnt lgkmcnt(0)
	v_max_f32_e32 v4, v27, v27
	v_max_f32_e32 v4, v26, v4
	ds_bpermute_b32 v5, v17, v4
	v_cmp_lt_i32_e64 s[12:13], v18, v13
	global_load_dword v21, v[2:3], off
	v_cndmask_b32_e64 v2, v12, v18, s[12:13]
	v_lshlrev_b32_e32 v18, 2, v2
	s_waitcnt lgkmcnt(0)
	v_max_f32_e32 v2, v5, v5
	v_max_f32_e32 v2, v4, v2
	ds_bpermute_b32 v3, v18, v2
	v_cmp_lt_i32_e64 s[12:13], v19, v13
	v_cndmask_b32_e64 v4, v12, v19, s[12:13]
	v_lshlrev_b32_e32 v12, 2, v4
	v_mov_b32_e32 v4, s20
	s_waitcnt lgkmcnt(0)
	v_max_f32_e32 v3, v3, v3
	v_max_f32_e32 v13, v2, v3
	v_add_co_u32_e64 v2, s[12:13], s19, v6
	v_addc_co_u32_e64 v3, s[12:13], v4, v7, s[12:13]
	v_mov_b32_e32 v5, s20
	v_add_co_u32_e64 v4, s[12:13], s19, v8
	v_addc_co_u32_e64 v5, s[12:13], v5, v9, s[12:13]
	v_mov_b32_e32 v7, s20
	v_add_co_u32_e64 v6, s[12:13], s19, v10
	v_addc_co_u32_e64 v7, s[12:13], v7, v11, s[12:13]
	global_load_dword v8, v[2:3], off
	global_load_dword v9, v[4:5], off
	;; [unrolled: 1-line block ×3, first 2 shown]
	ds_bpermute_b32 v19, v12, v13
	s_mov_b32 s19, 0x3fb8aa3b
	s_mov_b32 s20, 0xc2ce8ed0
	s_waitcnt lgkmcnt(0)
	v_max_f32_e32 v2, v19, v19
	v_max_f32_e32 v2, v13, v2
	v_sub_f32_e32 v1, v1, v2
	v_mul_f32_e32 v3, 0x3fb8aa3b, v1
	v_fma_f32 v4, v1, s19, -v3
	v_rndne_f32_e32 v5, v3
	v_fmac_f32_e32 v4, 0x32a5705f, v1
	v_sub_f32_e32 v3, v3, v5
	v_add_f32_e32 v3, v3, v4
	v_cvt_i32_f32_e32 v4, v5
	v_sub_f32_e32 v5, v22, v2
	v_mul_f32_e32 v6, 0x3fb8aa3b, v5
	v_fma_f32 v7, v5, s19, -v6
	v_rndne_f32_e32 v11, v6
	v_exp_f32_e32 v3, v3
	v_fmac_f32_e32 v7, 0x32a5705f, v5
	v_sub_f32_e32 v6, v6, v11
	v_add_f32_e32 v6, v6, v7
	v_exp_f32_e32 v6, v6
	v_cvt_i32_f32_e32 v7, v11
	v_ldexp_f32 v3, v3, v4
	v_cmp_ngt_f32_e64 s[12:13], s20, v1
	v_cndmask_b32_e64 v3, 0, v3, s[12:13]
	v_mov_b32_e32 v4, 0x7f800000
	v_cmp_nlt_f32_e64 s[12:13], s21, v1
	v_cndmask_b32_e64 v1, v4, v3, s[12:13]
	v_ldexp_f32 v3, v6, v7
	v_sub_f32_e32 v6, v23, v2
	v_mul_f32_e32 v7, 0x3fb8aa3b, v6
	v_fma_f32 v11, v6, s19, -v7
	v_rndne_f32_e32 v13, v7
	v_fmac_f32_e32 v11, 0x32a5705f, v6
	v_sub_f32_e32 v7, v7, v13
	v_add_f32_e32 v7, v7, v11
	v_exp_f32_e32 v7, v7
	v_cvt_i32_f32_e32 v11, v13
	v_cndmask_b32_e64 v1, 0, v1, s[10:11]
	s_waitcnt vmcnt(4)
	v_mul_f32_e32 v1, v20, v1
	v_cmp_ngt_f32_e64 s[10:11], s20, v5
	v_ldexp_f32 v7, v7, v11
	v_sub_f32_e32 v11, v24, v2
	v_mul_f32_e32 v13, 0x3fb8aa3b, v11
	v_fma_f32 v19, v11, s19, -v13
	v_rndne_f32_e32 v20, v13
	v_fmac_f32_e32 v19, 0x32a5705f, v11
	v_sub_f32_e32 v13, v13, v20
	v_add_f32_e32 v13, v13, v19
	v_cndmask_b32_e64 v3, 0, v3, s[10:11]
	v_cmp_nlt_f32_e64 s[10:11], s21, v5
	v_exp_f32_e32 v13, v13
	v_cvt_i32_f32_e32 v19, v20
	v_cndmask_b32_e64 v3, v4, v3, s[10:11]
	v_cndmask_b32_e64 v3, 0, v3, s[8:9]
	v_cmp_ngt_f32_e64 s[8:9], s20, v6
	v_cndmask_b32_e64 v7, 0, v7, s[8:9]
	v_cmp_nlt_f32_e64 s[8:9], s21, v6
	v_sub_f32_e32 v2, v25, v2
	v_cndmask_b32_e64 v6, v4, v7, s[8:9]
	v_ldexp_f32 v7, v13, v19
	v_mul_f32_e32 v13, 0x3fb8aa3b, v2
	v_fma_f32 v19, v2, s19, -v13
	v_rndne_f32_e32 v20, v13
	v_fmac_f32_e32 v19, 0x32a5705f, v2
	v_sub_f32_e32 v13, v13, v20
	v_add_f32_e32 v13, v13, v19
	v_exp_f32_e32 v13, v13
	v_cvt_i32_f32_e32 v19, v20
	v_cndmask_b32_e64 v6, 0, v6, s[2:3]
	v_cmp_ngt_f32_e64 s[2:3], s20, v11
	v_cndmask_b32_e64 v7, 0, v7, s[2:3]
	v_cmp_nlt_f32_e64 s[2:3], s21, v11
	v_cndmask_b32_e64 v7, v4, v7, s[2:3]
	v_cndmask_b32_e64 v7, 0, v7, s[0:1]
	v_ldexp_f32 v11, v13, v19
	v_cmp_ngt_f32_e64 s[0:1], s20, v2
	v_cndmask_b32_e64 v11, 0, v11, s[0:1]
	v_cmp_nlt_f32_e64 s[0:1], s21, v2
	s_waitcnt vmcnt(3)
	v_mul_f32_e32 v5, v21, v3
	v_cndmask_b32_e64 v2, v4, v11, s[0:1]
	v_lshlrev_b32_e32 v11, 2, v0
	ds_write2st64_b32 v11, v1, v5 offset1:1
	v_fmac_f32_e32 v1, v21, v3
	s_waitcnt vmcnt(2)
	v_fmac_f32_e32 v1, v8, v6
	v_cndmask_b32_e32 v4, 0, v2, vcc
	s_waitcnt vmcnt(1)
	v_fmac_f32_e32 v1, v9, v7
	s_waitcnt vmcnt(0)
	v_fmac_f32_e32 v1, v10, v4
	ds_bpermute_b32 v2, v14, v1
	v_mul_f32_e32 v3, v8, v6
	v_mul_f32_e32 v5, v9, v7
	v_cmp_eq_u32_e32 vcc, 0, v0
	v_mul_f32_e32 v4, v10, v4
	s_waitcnt lgkmcnt(0)
	v_add_f32_e32 v1, v1, v2
	ds_bpermute_b32 v2, v15, v1
	ds_write2st64_b32 v11, v3, v5 offset0:2 offset1:3
	ds_write_b32 v11, v4 offset:1024
	s_waitcnt lgkmcnt(2)
	v_add_f32_e32 v1, v1, v2
	ds_bpermute_b32 v2, v16, v1
	s_waitcnt lgkmcnt(0)
	v_add_f32_e32 v1, v1, v2
	ds_bpermute_b32 v2, v17, v1
	;; [unrolled: 3-line block ×4, first 2 shown]
	s_and_saveexec_b64 s[0:1], vcc
	s_cbranch_execz .LBB212_8
; %bb.7:
	s_waitcnt lgkmcnt(0)
	v_add_f32_e32 v1, v1, v2
	v_mov_b32_e32 v2, 0
	ds_write_b32 v2, v1 offset:1280
.LBB212_8:
	s_or_b64 exec, exec, s[0:1]
	v_mov_b32_e32 v1, s18
.LBB212_9:
	s_or_b64 exec, exec, s[30:31]
	s_lshl_b32 s0, s34, 6
	s_mov_b32 s1, 0
	s_lshl_b64 s[0:1], s[0:1], 1
	s_add_u32 s0, s16, s0
	s_addc_u32 s1, s17, s1
	s_lshl_b32 s10, s33, 6
	s_waitcnt lgkmcnt(0)
	v_lshlrev_b32_e32 v2, 6, v1
	v_mov_b32_e32 v3, 0
	s_sub_i32 s11, s10, 64
	v_lshlrev_b64 v[4:5], 1, v[2:3]
	s_cmp_lt_i32 s38, 1
	v_mov_b32_e32 v1, s1
	v_add_co_u32_e32 v2, vcc, s0, v4
	s_cselect_b32 s0, s11, 0
	v_addc_co_u32_e32 v1, vcc, v1, v5, vcc
	v_lshlrev_b32_e32 v118, 1, v0
	s_ashr_i32 s1, s0, 31
	v_add_co_u32_e32 v0, vcc, v2, v118
	s_lshl_b64 s[0:1], s[0:1], 1
	v_addc_co_u32_e32 v1, vcc, 0, v1, vcc
	s_cmpk_lt_i32 s38, 0x101
	v_add_co_u32_e32 v4, vcc, s0, v0
	s_cselect_b32 s0, s11, 64
	v_mov_b32_e32 v2, s1
	s_ashr_i32 s1, s0, 31
	s_lshl_b64 s[0:1], s[0:1], 1
	v_addc_co_u32_e32 v5, vcc, v1, v2, vcc
	s_cmpk_lt_i32 s38, 0x201
	v_add_co_u32_e32 v6, vcc, s0, v0
	s_cselect_b32 s0, s11, 0x80
	v_mov_b32_e32 v2, s1
	s_ashr_i32 s1, s0, 31
	;; [unrolled: 7-line block ×8, first 2 shown]
	s_lshl_b64 s[0:1], s[0:1], 1
	v_addc_co_u32_e32 v19, vcc, v1, v2, vcc
	s_cmpk_lt_i32 s38, 0x901
	global_load_ushort v44, v[4:5], off
	global_load_ushort v43, v[6:7], off
	;; [unrolled: 1-line block ×8, first 2 shown]
	v_add_co_u32_e32 v4, vcc, s0, v0
	s_cselect_b32 s0, s11, 0x240
	v_mov_b32_e32 v5, s1
	s_ashr_i32 s1, s0, 31
	s_lshl_b64 s[0:1], s[0:1], 1
	v_addc_co_u32_e32 v5, vcc, v1, v5, vcc
	s_cmpk_lt_i32 s38, 0xa01
	v_add_co_u32_e32 v6, vcc, s0, v0
	s_cselect_b32 s0, s11, 0x280
	v_mov_b32_e32 v7, s1
	s_ashr_i32 s1, s0, 31
	s_lshl_b64 s[0:1], s[0:1], 1
	v_addc_co_u32_e32 v7, vcc, v1, v7, vcc
	s_cmpk_lt_i32 s38, 0xb01
	;; [unrolled: 7-line block ×6, first 2 shown]
	v_add_co_u32_e32 v16, vcc, s0, v0
	s_cselect_b32 s0, s11, 0x3c0
	v_mov_b32_e32 v17, s1
	s_ashr_i32 s1, s0, 31
	v_addc_co_u32_e32 v17, vcc, v1, v17, vcc
	s_lshl_b64 s[0:1], s[0:1], 1
	v_mov_b32_e32 v19, s1
	v_add_co_u32_e32 v18, vcc, s0, v0
	v_addc_co_u32_e32 v19, vcc, v1, v19, vcc
	global_load_ushort v51, v[4:5], off
	global_load_ushort v52, v[6:7], off
	;; [unrolled: 1-line block ×8, first 2 shown]
	s_cmpk_gt_i32 s38, 0x1000
	s_cselect_b64 s[8:9], -1, 0
	s_cmpk_lt_i32 s38, 0x1001
	v_mov_b32_e32 v61, 0
	v_mov_b32_e32 v62, 0
	;; [unrolled: 1-line block ×48, first 2 shown]
	s_waitcnt lgkmcnt(0)
	; wave barrier
	s_cbranch_scc1 .LBB212_12
; %bb.10:
	s_cmpk_lt_u32 s38, 0x1101
	s_cselect_b32 s0, s11, 0x440
	s_ashr_i32 s1, s0, 31
	s_lshl_b64 s[0:1], s[0:1], 1
	s_cmpk_lt_u32 s38, 0x1201
	v_add_co_u32_e32 v4, vcc, s0, v0
	s_cselect_b32 s0, s11, 0x480
	v_mov_b32_e32 v5, s1
	s_ashr_i32 s1, s0, 31
	s_lshl_b64 s[0:1], s[0:1], 1
	v_addc_co_u32_e32 v5, vcc, v1, v5, vcc
	s_cmpk_lt_u32 s38, 0x1301
	v_add_co_u32_e32 v6, vcc, s0, v0
	s_cselect_b32 s0, s11, 0x4c0
	v_mov_b32_e32 v7, s1
	s_ashr_i32 s1, s0, 31
	s_lshl_b64 s[0:1], s[0:1], 1
	v_addc_co_u32_e32 v7, vcc, v1, v7, vcc
	;; [unrolled: 7-line block ×7, first 2 shown]
	s_cmpk_lt_u32 s38, 0x1901
	global_load_ushort v60, v[0:1], off offset:2048
	global_load_ushort v59, v[4:5], off
	global_load_ushort v58, v[6:7], off
	;; [unrolled: 1-line block ×7, first 2 shown]
	v_add_co_u32_e32 v4, vcc, s0, v0
	s_cselect_b32 s0, s11, 0x640
	v_mov_b32_e32 v5, s1
	s_ashr_i32 s1, s0, 31
	s_lshl_b64 s[0:1], s[0:1], 1
	v_addc_co_u32_e32 v5, vcc, v1, v5, vcc
	s_cmpk_lt_u32 s38, 0x1a01
	v_add_co_u32_e32 v6, vcc, s0, v0
	s_cselect_b32 s0, s11, 0x680
	v_mov_b32_e32 v7, s1
	s_ashr_i32 s1, s0, 31
	s_lshl_b64 s[0:1], s[0:1], 1
	v_addc_co_u32_e32 v7, vcc, v1, v7, vcc
	s_cmpk_lt_u32 s38, 0x1b01
	;; [unrolled: 7-line block ×6, first 2 shown]
	v_add_co_u32_e32 v16, vcc, s0, v0
	s_cselect_b32 s0, s11, 0x7c0
	v_mov_b32_e32 v17, s1
	s_ashr_i32 s1, s0, 31
	v_addc_co_u32_e32 v17, vcc, v1, v17, vcc
	s_lshl_b64 s[0:1], s[0:1], 1
	v_mov_b32_e32 v19, s1
	v_add_co_u32_e32 v18, vcc, s0, v0
	v_addc_co_u32_e32 v19, vcc, v1, v19, vcc
	global_load_ushort v68, v[4:5], off
	global_load_ushort v67, v[6:7], off
	;; [unrolled: 1-line block ×8, first 2 shown]
	s_cmpk_lt_u32 s38, 0x2001
	v_mov_b32_e32 v35, 0
	v_mov_b32_e32 v33, 0
	;; [unrolled: 1-line block ×32, first 2 shown]
	s_cbranch_scc1 .LBB212_12
; %bb.11:
	s_cmpk_lt_u32 s38, 0x2101
	s_cselect_b32 s0, s11, 0x840
	s_ashr_i32 s1, s0, 31
	s_lshl_b64 s[0:1], s[0:1], 1
	s_cmpk_lt_u32 s38, 0x2201
	v_add_co_u32_e32 v4, vcc, s0, v0
	s_cselect_b32 s0, s11, 0x880
	v_mov_b32_e32 v5, s1
	s_ashr_i32 s1, s0, 31
	s_lshl_b64 s[0:1], s[0:1], 1
	v_addc_co_u32_e32 v5, vcc, v1, v5, vcc
	s_cmpk_lt_u32 s38, 0x2301
	v_add_co_u32_e32 v6, vcc, s0, v0
	s_cselect_b32 s0, s11, 0x8c0
	v_mov_b32_e32 v7, s1
	s_ashr_i32 s1, s0, 31
	s_lshl_b64 s[0:1], s[0:1], 1
	v_addc_co_u32_e32 v7, vcc, v1, v7, vcc
	;; [unrolled: 7-line block ×30, first 2 shown]
	v_mov_b32_e32 v69, s1
	s_movk_i32 s1, 0x1000
	v_add_co_u32_e32 v96, vcc, s1, v0
	v_addc_co_u32_e32 v97, vcc, 0, v1, vcc
	global_load_ushort v98, v[96:97], off
	global_load_ushort v99, v[4:5], off
	;; [unrolled: 1-line block ×15, first 2 shown]
                                        ; kill: killed $vgpr28 killed $vgpr29
                                        ; kill: killed $vgpr8 killed $vgpr9
                                        ; kill: killed $vgpr70 killed $vgpr71
                                        ; kill: killed $vgpr14 killed $vgpr15
                                        ; kill: killed $vgpr20 killed $vgpr21
                                        ; kill: killed $vgpr4 killed $vgpr5
                                        ; kill: killed $vgpr30 killed $vgpr31
                                        ; kill: killed $vgpr10 killed $vgpr11
                                        ; kill: killed $vgpr16 killed $vgpr17
                                        ; kill: killed $vgpr22 killed $vgpr23
                                        ; kill: killed $vgpr6 killed $vgpr7
                                        ; kill: killed $vgpr96 killed $vgpr97
                                        ; kill: killed $vgpr34 killed $vgpr35
                                        ; kill: killed $vgpr12 killed $vgpr13
                                        ; kill: killed $vgpr18 killed $vgpr19
	global_load_ushort v6, v[24:25], off
	global_load_ushort v7, v[26:27], off
	global_load_ushort v8, v[32:33], off
	global_load_ushort v9, v[36:37], off
	global_load_ushort v10, v[72:73], off
	global_load_ushort v11, v[82:83], off
	global_load_ushort v13, v[80:81], off
	global_load_ushort v12, v[78:79], off
	global_load_ushort v15, v[76:77], off
	global_load_ushort v14, v[74:75], off
	global_load_ushort v70, v[84:85], off
	global_load_ushort v71, v[94:95], off
	global_load_ushort v96, v[92:93], off
	global_load_ushort v97, v[90:91], off
	global_load_ushort v113, v[88:89], off
                                        ; kill: killed $vgpr88 killed $vgpr89
                                        ; kill: killed $vgpr72 killed $vgpr73
                                        ; kill: killed $vgpr94 killed $vgpr95
                                        ; kill: killed $vgpr78 killed $vgpr79
                                        ; kill: killed $vgpr84 killed $vgpr85
                                        ; kill: killed $vgpr32 killed $vgpr33
                                        ; kill: killed $vgpr90 killed $vgpr91
                                        ; kill: killed $vgpr74 killed $vgpr75
                                        ; kill: killed $vgpr80 killed $vgpr81
                                        ; kill: killed $vgpr24 killed $vgpr25
                                        ; kill: killed $vgpr36 killed $vgpr37
                                        ; kill: killed $vgpr92 killed $vgpr93
                                        ; kill: killed $vgpr76 killed $vgpr77
                                        ; kill: killed $vgpr82 killed $vgpr83
                                        ; kill: killed $vgpr26 killed $vgpr27
	global_load_ushort v36, v[86:87], off
	v_add_co_u32_e32 v4, vcc, s0, v0
	v_addc_co_u32_e32 v5, vcc, v1, v69, vcc
	global_load_ushort v5, v[4:5], off
	s_waitcnt vmcnt(31)
	v_lshlrev_b32_e32 v35, 16, v98
	s_waitcnt vmcnt(30)
	v_lshlrev_b32_e32 v33, 16, v99
	s_waitcnt vmcnt(29)
	v_lshlrev_b32_e32 v34, 16, v100
	s_waitcnt vmcnt(28)
	v_lshlrev_b32_e32 v31, 16, v101
	s_waitcnt vmcnt(27)
	v_lshlrev_b32_e32 v32, 16, v102
	s_waitcnt vmcnt(26)
	v_lshlrev_b32_e32 v29, 16, v103
	s_waitcnt vmcnt(25)
	v_lshlrev_b32_e32 v30, 16, v104
	s_waitcnt vmcnt(24)
	v_lshlrev_b32_e32 v27, 16, v105
	s_waitcnt vmcnt(23)
	v_lshlrev_b32_e32 v28, 16, v106
	s_waitcnt vmcnt(22)
	v_lshlrev_b32_e32 v25, 16, v107
	s_waitcnt vmcnt(21)
	v_lshlrev_b32_e32 v26, 16, v108
	s_waitcnt vmcnt(20)
	v_lshlrev_b32_e32 v23, 16, v109
	s_waitcnt vmcnt(19)
	v_lshlrev_b32_e32 v24, 16, v110
	s_waitcnt vmcnt(18)
	v_lshlrev_b32_e32 v21, 16, v111
	s_waitcnt vmcnt(17)
	v_lshlrev_b32_e32 v22, 16, v112
	s_waitcnt vmcnt(16)
	v_lshlrev_b32_e32 v20, 16, v6
	s_waitcnt vmcnt(15)
	v_lshlrev_b32_e32 v19, 16, v7
	s_waitcnt vmcnt(14)
	v_lshlrev_b32_e32 v17, 16, v8
	s_waitcnt vmcnt(13)
	v_lshlrev_b32_e32 v18, 16, v9
	s_waitcnt vmcnt(12)
	v_lshlrev_b32_e32 v16, 16, v10
	s_waitcnt vmcnt(11)
	v_lshlrev_b32_e32 v10, 16, v11
	s_waitcnt vmcnt(10)
	v_lshlrev_b32_e32 v13, 16, v13
	s_waitcnt vmcnt(9)
	v_lshlrev_b32_e32 v12, 16, v12
	s_waitcnt vmcnt(8)
	v_lshlrev_b32_e32 v15, 16, v15
	s_waitcnt vmcnt(7)
	v_lshlrev_b32_e32 v14, 16, v14
	s_waitcnt vmcnt(6)
	v_lshlrev_b32_e32 v11, 16, v70
	s_waitcnt vmcnt(5)
	v_lshlrev_b32_e32 v4, 16, v71
	s_waitcnt vmcnt(4)
	v_lshlrev_b32_e32 v7, 16, v96
	s_waitcnt vmcnt(3)
	v_lshlrev_b32_e32 v6, 16, v97
	s_waitcnt vmcnt(2)
	v_lshlrev_b32_e32 v9, 16, v113
	s_waitcnt vmcnt(1)
	v_lshlrev_b32_e32 v8, 16, v36
	s_waitcnt vmcnt(0)
	v_lshlrev_b32_e32 v5, 16, v5
.LBB212_12:
	s_load_dwordx2 s[0:1], s[4:5], 0x0
	s_load_dwordx2 s[2:3], s[4:5], 0x38
	ds_read_b128 v[70:73], v3
	s_waitcnt vmcnt(15)
	v_lshlrev_b32_e32 v36, 16, v44
	ds_read_b128 v[74:77], v3 offset:16
	ds_read_b128 v[78:81], v3 offset:32
	;; [unrolled: 1-line block ×3, first 2 shown]
	s_waitcnt vmcnt(10)
	v_lshlrev_b32_e32 v37, 16, v40
	s_and_b64 vcc, exec, s[8:9]
	s_waitcnt lgkmcnt(0)
	v_fma_f32 v44, v70, v36, 0
	v_lshlrev_b32_e32 v36, 16, v43
	v_fmac_f32_e32 v44, v71, v36
	v_lshlrev_b32_e32 v36, 16, v42
	v_fmac_f32_e32 v44, v72, v36
	;; [unrolled: 2-line block ×3, first 2 shown]
	v_lshlrev_b32_e32 v36, 16, v39
	v_pk_mul_f32 v[36:37], v[74:75], v[36:37]
	v_add_f32_e32 v36, v44, v36
	v_add_f32_e32 v39, v36, v37
	s_waitcnt vmcnt(8)
	v_lshlrev_b32_e32 v37, 16, v38
	v_lshlrev_b32_e32 v36, 16, v2
	v_pk_mul_f32 v[36:37], v[76:77], v[36:37]
	v_add_f32_e32 v2, v39, v36
	v_add_f32_e32 v2, v2, v37
	s_waitcnt vmcnt(6)
	v_lshlrev_b32_e32 v37, 16, v52
	;; [unrolled: 6-line block ×5, first 2 shown]
	v_lshlrev_b32_e32 v36, 16, v45
	v_pk_mul_f32 v[36:37], v[84:85], v[36:37]
	v_add_f32_e32 v2, v2, v36
	v_add_f32_e32 v119, v2, v37
	s_cbranch_vccz .LBB212_15
; %bb.13:
	ds_read_b128 v[36:39], v3 offset:64
	v_lshlrev_b32_e32 v2, 16, v60
	ds_read_b128 v[40:43], v3 offset:80
	ds_read_b128 v[44:47], v3 offset:96
	;; [unrolled: 1-line block ×3, first 2 shown]
	s_cmpk_lt_u32 s38, 0x2001
	s_waitcnt lgkmcnt(3)
	v_fmac_f32_e32 v119, v36, v2
	v_lshlrev_b32_e32 v2, 16, v59
	v_fmac_f32_e32 v119, v37, v2
	v_lshlrev_b32_e32 v2, 16, v58
	v_fmac_f32_e32 v119, v38, v2
	v_lshlrev_b32_e32 v2, 16, v57
	v_fmac_f32_e32 v119, v39, v2
	v_lshlrev_b32_e32 v2, 16, v56
	s_waitcnt lgkmcnt(2)
	v_fmac_f32_e32 v119, v40, v2
	v_lshlrev_b32_e32 v2, 16, v55
	v_fmac_f32_e32 v119, v41, v2
	v_lshlrev_b32_e32 v2, 16, v54
	v_fmac_f32_e32 v119, v42, v2
	v_lshlrev_b32_e32 v2, 16, v53
	v_fmac_f32_e32 v119, v43, v2
	v_lshlrev_b32_e32 v2, 16, v68
	;; [unrolled: 9-line block ×3, first 2 shown]
	s_waitcnt lgkmcnt(0)
	v_fmac_f32_e32 v119, v48, v2
	v_lshlrev_b32_e32 v2, 16, v63
	v_fmac_f32_e32 v119, v49, v2
	v_lshlrev_b32_e32 v2, 16, v62
	;; [unrolled: 2-line block ×3, first 2 shown]
	v_fmac_f32_e32 v119, v51, v2
	s_cbranch_scc1 .LBB212_15
; %bb.14:
	v_mov_b32_e32 v52, 0
	ds_read_b128 v[36:39], v52 offset:128
	ds_read_b128 v[40:43], v52 offset:144
	;; [unrolled: 1-line block ×4, first 2 shown]
	s_waitcnt lgkmcnt(3)
	v_fmac_f32_e32 v119, v36, v35
	v_fmac_f32_e32 v119, v37, v33
	v_fmac_f32_e32 v119, v38, v34
	v_fmac_f32_e32 v119, v39, v31
	s_waitcnt lgkmcnt(2)
	v_fmac_f32_e32 v119, v40, v32
	v_fmac_f32_e32 v119, v41, v29
	v_fmac_f32_e32 v119, v42, v30
	v_fmac_f32_e32 v119, v43, v27
	;; [unrolled: 5-line block ×3, first 2 shown]
	s_waitcnt lgkmcnt(0)
	v_fmac_f32_e32 v119, v48, v24
	ds_read_b128 v[24:27], v52 offset:192
	v_fmac_f32_e32 v119, v49, v21
	v_fmac_f32_e32 v119, v50, v22
	;; [unrolled: 1-line block ×3, first 2 shown]
	ds_read_b128 v[20:23], v52 offset:208
	s_waitcnt lgkmcnt(1)
	v_fmac_f32_e32 v119, v24, v19
	v_fmac_f32_e32 v119, v25, v17
	v_fmac_f32_e32 v119, v26, v18
	v_fmac_f32_e32 v119, v27, v16
	s_waitcnt lgkmcnt(0)
	v_pk_mul_f32 v[2:3], v[20:21], v[14:15]
	ds_read_b128 v[14:17], v52 offset:224
	v_add_f32_e32 v2, v119, v2
	v_add_f32_e32 v18, v2, v3
	v_pk_mul_f32 v[2:3], v[22:23], v[12:13]
	v_add_f32_e32 v2, v18, v2
	ds_read_b128 v[18:21], v52 offset:240
	v_add_f32_e32 v12, v2, v3
	s_waitcnt lgkmcnt(1)
	v_pk_mul_f32 v[2:3], v[14:15], v[10:11]
	v_add_f32_e32 v2, v12, v2
	v_add_f32_e32 v10, v2, v3
	v_pk_mul_f32 v[2:3], v[16:17], v[8:9]
	v_add_f32_e32 v2, v10, v2
	v_add_f32_e32 v8, v2, v3
	s_waitcnt lgkmcnt(0)
	v_pk_mul_f32 v[2:3], v[18:19], v[6:7]
	v_add_f32_e32 v2, v8, v2
	v_add_f32_e32 v6, v2, v3
	v_pk_mul_f32 v[2:3], v[20:21], v[4:5]
	v_add_f32_e32 v2, v6, v2
	v_add_f32_e32 v119, v2, v3
.LBB212_15:
	s_movk_i32 s4, 0x1fc0
	s_movk_i32 s5, 0x100
	s_mov_b32 s8, 64
	s_branch .LBB212_17
.LBB212_16:                             ;   in Loop: Header=BB212_17 Depth=1
	s_addk_i32 s4, 0x1000
	s_addk_i32 s5, 0x100
	s_add_i32 s8, s8, 64
	s_cmpk_eq_i32 s4, 0x5fc0
	s_cbranch_scc1 .LBB212_19
.LBB212_17:                             ; =>This Inner Loop Header: Depth=1
	s_cmp_le_i32 s33, s8
	s_cbranch_scc1 .LBB212_16
; %bb.18:                               ;   in Loop: Header=BB212_17 Depth=1
	s_add_i32 s9, s4, 0xfffff040
	s_cmp_lt_i32 s9, s10
	s_cselect_b32 s12, s9, s11
	s_ashr_i32 s13, s12, 31
	s_lshl_b64 s[12:13], s[12:13], 1
	s_add_i32 s9, s4, 0xfffff080
	s_cmp_lt_i32 s9, s10
	v_add_co_u32_e32 v4, vcc, s12, v0
	s_cselect_b32 s12, s9, s11
	v_mov_b32_e32 v2, s13
	s_ashr_i32 s13, s12, 31
	s_lshl_b64 s[12:13], s[12:13], 1
	s_add_i32 s9, s4, 0xfffff0c0
	v_addc_co_u32_e32 v5, vcc, v1, v2, vcc
	s_cmp_lt_i32 s9, s10
	v_add_co_u32_e32 v2, vcc, s12, v0
	s_cselect_b32 s12, s9, s11
	v_mov_b32_e32 v3, s13
	s_ashr_i32 s13, s12, 31
	s_lshl_b64 s[12:13], s[12:13], 1
	s_add_i32 s9, s4, 0xfffff100
	v_addc_co_u32_e32 v3, vcc, v1, v3, vcc
	s_cmp_lt_i32 s9, s10
	v_add_co_u32_e32 v6, vcc, s12, v0
	s_cselect_b32 s12, s9, s11
	v_mov_b32_e32 v7, s13
	s_ashr_i32 s13, s12, 31
	s_lshl_b64 s[12:13], s[12:13], 1
	s_add_i32 s9, s4, 0xfffff140
	v_addc_co_u32_e32 v7, vcc, v1, v7, vcc
	s_cmp_lt_i32 s9, s10
	v_add_co_u32_e32 v8, vcc, s12, v0
	s_cselect_b32 s12, s9, s11
	v_mov_b32_e32 v9, s13
	s_ashr_i32 s13, s12, 31
	s_lshl_b64 s[12:13], s[12:13], 1
	s_add_i32 s9, s4, 0xfffff180
	v_addc_co_u32_e32 v9, vcc, v1, v9, vcc
	s_cmp_lt_i32 s9, s10
	v_add_co_u32_e32 v10, vcc, s12, v0
	s_cselect_b32 s12, s9, s11
	v_mov_b32_e32 v11, s13
	s_ashr_i32 s13, s12, 31
	s_lshl_b64 s[12:13], s[12:13], 1
	s_add_i32 s9, s4, 0xfffff1c0
	v_addc_co_u32_e32 v11, vcc, v1, v11, vcc
	s_cmp_lt_i32 s9, s10
	v_add_co_u32_e32 v12, vcc, s12, v0
	s_cselect_b32 s12, s9, s11
	v_mov_b32_e32 v13, s13
	s_ashr_i32 s13, s12, 31
	s_lshl_b64 s[12:13], s[12:13], 1
	s_add_i32 s9, s4, 0xfffff200
	v_addc_co_u32_e32 v13, vcc, v1, v13, vcc
	s_cmp_lt_i32 s9, s10
	v_add_co_u32_e32 v14, vcc, s12, v0
	s_cselect_b32 s12, s9, s11
	v_mov_b32_e32 v15, s13
	s_ashr_i32 s13, s12, 31
	s_lshl_b64 s[12:13], s[12:13], 1
	s_add_i32 s9, s4, 0xfffff240
	v_addc_co_u32_e32 v15, vcc, v1, v15, vcc
	s_cmp_lt_i32 s9, s10
	v_add_co_u32_e32 v16, vcc, s12, v0
	s_cselect_b32 s12, s9, s11
	v_mov_b32_e32 v17, s13
	s_ashr_i32 s13, s12, 31
	s_lshl_b64 s[12:13], s[12:13], 1
	s_add_i32 s9, s4, 0xfffff280
	v_addc_co_u32_e32 v17, vcc, v1, v17, vcc
	s_cmp_lt_i32 s9, s10
	v_add_co_u32_e32 v18, vcc, s12, v0
	s_cselect_b32 s12, s9, s11
	v_mov_b32_e32 v19, s13
	s_ashr_i32 s13, s12, 31
	s_lshl_b64 s[12:13], s[12:13], 1
	s_add_i32 s9, s4, 0xfffff2c0
	v_addc_co_u32_e32 v19, vcc, v1, v19, vcc
	s_cmp_lt_i32 s9, s10
	v_add_co_u32_e32 v20, vcc, s12, v0
	s_cselect_b32 s12, s9, s11
	v_mov_b32_e32 v21, s13
	s_ashr_i32 s13, s12, 31
	s_lshl_b64 s[12:13], s[12:13], 1
	s_add_i32 s9, s4, 0xfffff300
	v_addc_co_u32_e32 v21, vcc, v1, v21, vcc
	s_cmp_lt_i32 s9, s10
	v_add_co_u32_e32 v22, vcc, s12, v0
	s_cselect_b32 s12, s9, s11
	v_mov_b32_e32 v23, s13
	s_ashr_i32 s13, s12, 31
	s_lshl_b64 s[12:13], s[12:13], 1
	s_add_i32 s9, s4, 0xfffff340
	v_addc_co_u32_e32 v23, vcc, v1, v23, vcc
	s_cmp_lt_i32 s9, s10
	v_add_co_u32_e32 v24, vcc, s12, v0
	s_cselect_b32 s12, s9, s11
	v_mov_b32_e32 v25, s13
	s_ashr_i32 s13, s12, 31
	s_lshl_b64 s[12:13], s[12:13], 1
	s_add_i32 s9, s4, 0xfffff380
	v_addc_co_u32_e32 v25, vcc, v1, v25, vcc
	s_cmp_lt_i32 s9, s10
	v_add_co_u32_e32 v26, vcc, s12, v0
	s_cselect_b32 s12, s9, s11
	v_mov_b32_e32 v27, s13
	s_ashr_i32 s13, s12, 31
	s_lshl_b64 s[12:13], s[12:13], 1
	s_add_i32 s9, s4, 0xfffff3c0
	v_addc_co_u32_e32 v27, vcc, v1, v27, vcc
	s_cmp_lt_i32 s9, s10
	v_add_co_u32_e32 v28, vcc, s12, v0
	s_cselect_b32 s12, s9, s11
	v_mov_b32_e32 v29, s13
	s_ashr_i32 s13, s12, 31
	s_lshl_b64 s[12:13], s[12:13], 1
	s_add_i32 s9, s4, 0xfffff400
	v_addc_co_u32_e32 v29, vcc, v1, v29, vcc
	s_cmp_lt_i32 s9, s10
	v_add_co_u32_e32 v30, vcc, s12, v0
	s_cselect_b32 s12, s9, s11
	v_mov_b32_e32 v31, s13
	s_ashr_i32 s13, s12, 31
	s_lshl_b64 s[12:13], s[12:13], 1
	s_add_i32 s9, s4, 0xfffff440
	v_addc_co_u32_e32 v31, vcc, v1, v31, vcc
	s_cmp_lt_i32 s9, s10
	v_add_co_u32_e32 v32, vcc, s12, v0
	s_cselect_b32 s12, s9, s11
	v_mov_b32_e32 v33, s13
	s_ashr_i32 s13, s12, 31
	s_lshl_b64 s[12:13], s[12:13], 1
	s_add_i32 s9, s4, 0xfffff480
	v_addc_co_u32_e32 v33, vcc, v1, v33, vcc
	s_cmp_lt_i32 s9, s10
	v_add_co_u32_e32 v34, vcc, s12, v0
	s_cselect_b32 s12, s9, s11
	v_mov_b32_e32 v35, s13
	s_ashr_i32 s13, s12, 31
	s_lshl_b64 s[12:13], s[12:13], 1
	s_add_i32 s9, s4, 0xfffff4c0
	v_addc_co_u32_e32 v35, vcc, v1, v35, vcc
	s_cmp_lt_i32 s9, s10
	v_add_co_u32_e32 v36, vcc, s12, v0
	s_cselect_b32 s12, s9, s11
	v_mov_b32_e32 v37, s13
	s_ashr_i32 s13, s12, 31
	s_lshl_b64 s[12:13], s[12:13], 1
	s_add_i32 s9, s4, 0xfffff500
	v_addc_co_u32_e32 v37, vcc, v1, v37, vcc
	s_cmp_lt_i32 s9, s10
	v_add_co_u32_e32 v38, vcc, s12, v0
	s_cselect_b32 s12, s9, s11
	v_mov_b32_e32 v39, s13
	s_ashr_i32 s13, s12, 31
	s_lshl_b64 s[12:13], s[12:13], 1
	s_add_i32 s9, s4, 0xfffff540
	v_addc_co_u32_e32 v39, vcc, v1, v39, vcc
	s_cmp_lt_i32 s9, s10
	v_add_co_u32_e32 v40, vcc, s12, v0
	s_cselect_b32 s12, s9, s11
	v_mov_b32_e32 v41, s13
	s_ashr_i32 s13, s12, 31
	s_lshl_b64 s[12:13], s[12:13], 1
	s_add_i32 s9, s4, 0xfffff580
	v_addc_co_u32_e32 v41, vcc, v1, v41, vcc
	s_cmp_lt_i32 s9, s10
	v_add_co_u32_e32 v42, vcc, s12, v0
	s_cselect_b32 s12, s9, s11
	v_mov_b32_e32 v43, s13
	s_ashr_i32 s13, s12, 31
	s_lshl_b64 s[12:13], s[12:13], 1
	s_add_i32 s9, s4, 0xfffff5c0
	v_addc_co_u32_e32 v43, vcc, v1, v43, vcc
	s_cmp_lt_i32 s9, s10
	global_load_ushort v120, v[4:5], off
	global_load_ushort v122, v[6:7], off
	;; [unrolled: 1-line block ×4, first 2 shown]
	v_add_co_u32_e32 v44, vcc, s12, v0
	s_cselect_b32 s12, s9, s11
	v_mov_b32_e32 v45, s13
	s_ashr_i32 s13, s12, 31
	s_lshl_b64 s[12:13], s[12:13], 1
	s_add_i32 s9, s4, 0xfffff600
	v_addc_co_u32_e32 v45, vcc, v1, v45, vcc
	s_cmp_lt_i32 s9, s10
	v_add_co_u32_e32 v46, vcc, s12, v0
	s_cselect_b32 s12, s9, s11
	v_mov_b32_e32 v47, s13
	s_ashr_i32 s13, s12, 31
	s_lshl_b64 s[12:13], s[12:13], 1
	s_add_i32 s9, s4, 0xfffff640
	v_addc_co_u32_e32 v47, vcc, v1, v47, vcc
	s_cmp_lt_i32 s9, s10
	;; [unrolled: 8-line block ×8, first 2 shown]
	global_load_ushort v121, v[2:3], off
	v_add_co_u32_e32 v60, vcc, s12, v0
	s_cselect_b32 s12, s9, s11
	v_mov_b32_e32 v61, s13
	s_ashr_i32 s13, s12, 31
	s_lshl_b64 s[12:13], s[12:13], 1
	s_add_i32 s9, s4, 0xfffff800
	v_addc_co_u32_e32 v61, vcc, v1, v61, vcc
	s_cmp_lt_i32 s9, s10
	v_add_co_u32_e32 v62, vcc, s12, v0
	s_cselect_b32 s12, s9, s11
	global_load_ushort v125, v[12:13], off
	global_load_ushort v126, v[14:15], off
	v_mov_b32_e32 v63, s13
	s_ashr_i32 s13, s12, 31
	global_load_ushort v127, v[16:17], off
	global_load_ushort v128, v[18:19], off
	;; [unrolled: 1-line block ×3, first 2 shown]
	s_lshl_b64 s[12:13], s[12:13], 1
	s_add_i32 s9, s4, 0xfffff840
	v_addc_co_u32_e32 v63, vcc, v1, v63, vcc
	s_cmp_lt_i32 s9, s10
	v_add_co_u32_e32 v64, vcc, s12, v0
	s_cselect_b32 s12, s9, s11
	v_mov_b32_e32 v65, s13
	s_ashr_i32 s13, s12, 31
	s_lshl_b64 s[12:13], s[12:13], 1
	s_add_i32 s9, s4, 0xfffff880
	v_addc_co_u32_e32 v65, vcc, v1, v65, vcc
	s_cmp_lt_i32 s9, s10
	v_add_co_u32_e32 v66, vcc, s12, v0
	s_cselect_b32 s12, s9, s11
	v_mov_b32_e32 v67, s13
	s_ashr_i32 s13, s12, 31
	global_load_ushort v130, v[22:23], off
	global_load_ushort v131, v[24:25], off
	s_lshl_b64 s[12:13], s[12:13], 1
	s_add_i32 s9, s4, 0xfffff8c0
	v_addc_co_u32_e32 v67, vcc, v1, v67, vcc
	s_cmp_lt_i32 s9, s10
	global_load_ushort v132, v[26:27], off
	global_load_ushort v133, v[28:29], off
	v_add_co_u32_e32 v68, vcc, s12, v0
	s_cselect_b32 s12, s9, s11
	v_mov_b32_e32 v69, s13
	s_ashr_i32 s13, s12, 31
	s_lshl_b64 s[12:13], s[12:13], 1
	s_add_i32 s9, s4, 0xfffff900
	v_addc_co_u32_e32 v69, vcc, v1, v69, vcc
	s_cmp_lt_i32 s9, s10
	v_add_co_u32_e32 v70, vcc, s12, v0
	s_cselect_b32 s12, s9, s11
	v_mov_b32_e32 v71, s13
	s_ashr_i32 s13, s12, 31
	global_load_ushort v134, v[30:31], off
	global_load_ushort v135, v[32:33], off
	s_lshl_b64 s[12:13], s[12:13], 1
	s_add_i32 s9, s4, 0xfffff940
	v_addc_co_u32_e32 v71, vcc, v1, v71, vcc
	s_cmp_lt_i32 s9, s10
	v_add_co_u32_e32 v72, vcc, s12, v0
	s_cselect_b32 s12, s9, s11
	v_mov_b32_e32 v73, s13
	s_ashr_i32 s13, s12, 31
	s_lshl_b64 s[12:13], s[12:13], 1
	s_add_i32 s9, s4, 0xfffff980
	global_load_ushort v30, v[34:35], off
	global_load_ushort v31, v[36:37], off
	;; [unrolled: 1-line block ×4, first 2 shown]
	v_addc_co_u32_e32 v73, vcc, v1, v73, vcc
	s_cmp_lt_i32 s9, s10
	v_add_co_u32_e32 v74, vcc, s12, v0
	s_cselect_b32 s12, s9, s11
	v_mov_b32_e32 v75, s13
	s_ashr_i32 s13, s12, 31
	s_lshl_b64 s[12:13], s[12:13], 1
	s_add_i32 s9, s4, 0xfffff9c0
	v_addc_co_u32_e32 v75, vcc, v1, v75, vcc
	s_cmp_lt_i32 s9, s10
	v_add_co_u32_e32 v76, vcc, s12, v0
	s_cselect_b32 s12, s9, s11
	v_mov_b32_e32 v77, s13
	s_ashr_i32 s13, s12, 31
	s_lshl_b64 s[12:13], s[12:13], 1
	s_add_i32 s9, s4, 0xfffffa00
	v_addc_co_u32_e32 v77, vcc, v1, v77, vcc
	s_cmp_lt_i32 s9, s10
	v_add_co_u32_e32 v78, vcc, s12, v0
	s_cselect_b32 s12, s9, s11
	global_load_ushort v34, v[42:43], off
	global_load_ushort v35, v[44:45], off
	v_mov_b32_e32 v79, s13
	s_ashr_i32 s13, s12, 31
	s_lshl_b64 s[12:13], s[12:13], 1
	s_add_i32 s9, s4, 0xfffffa40
	v_addc_co_u32_e32 v79, vcc, v1, v79, vcc
	s_cmp_lt_i32 s9, s10
	v_add_co_u32_e32 v80, vcc, s12, v0
	s_cselect_b32 s12, s9, s11
	v_mov_b32_e32 v81, s13
	s_ashr_i32 s13, s12, 31
	global_load_ushort v38, v[46:47], off
	s_lshl_b64 s[12:13], s[12:13], 1
	s_add_i32 s9, s4, 0xfffffa80
	v_mov_b32_e32 v37, s5
	v_addc_co_u32_e32 v81, vcc, v1, v81, vcc
	s_cmp_lt_i32 s9, s10
	ds_read_b128 v[14:17], v37
	ds_read_b128 v[18:21], v37 offset:16
	global_load_ushort v39, v[48:49], off
	v_add_co_u32_e32 v82, vcc, s12, v0
	s_cselect_b32 s12, s9, s11
	v_mov_b32_e32 v83, s13
	s_ashr_i32 s13, s12, 31
	s_lshl_b64 s[12:13], s[12:13], 1
	s_add_i32 s9, s4, 0xfffffac0
	v_addc_co_u32_e32 v83, vcc, v1, v83, vcc
	s_cmp_lt_i32 s9, s10
	s_waitcnt vmcnt(23)
	v_lshlrev_b32_e32 v36, 16, v120
	v_add_co_u32_e32 v84, vcc, s12, v0
	s_cselect_b32 s12, s9, s11
	ds_read_b128 v[22:25], v37 offset:32
	ds_read_b128 v[26:29], v37 offset:48
	s_waitcnt lgkmcnt(3)
	v_fmac_f32_e32 v119, v14, v36
	global_load_ushort v36, v[50:51], off
	global_load_ushort v40, v[52:53], off
	;; [unrolled: 1-line block ×6, first 2 shown]
	v_mov_b32_e32 v85, s13
	s_ashr_i32 s13, s12, 31
	s_lshl_b64 s[12:13], s[12:13], 1
	s_add_i32 s9, s4, 0xfffffb00
	v_addc_co_u32_e32 v85, vcc, v1, v85, vcc
	s_cmp_lt_i32 s9, s10
	v_add_co_u32_e32 v86, vcc, s12, v0
	s_cselect_b32 s12, s9, s11
	v_mov_b32_e32 v87, s13
	s_ashr_i32 s13, s12, 31
	s_lshl_b64 s[12:13], s[12:13], 1
	s_add_i32 s9, s4, 0xfffffb40
	v_addc_co_u32_e32 v87, vcc, v1, v87, vcc
	s_cmp_lt_i32 s9, s10
	v_add_co_u32_e32 v88, vcc, s12, v0
	s_cselect_b32 s12, s9, s11
	;; [unrolled: 8-line block ×7, first 2 shown]
	v_mov_b32_e32 v99, s13
	s_ashr_i32 s13, s12, 31
	s_lshl_b64 s[12:13], s[12:13], 1
	s_add_i32 s9, s4, 0xfffffcc0
	v_addc_co_u32_e32 v99, vcc, v1, v99, vcc
	s_cmp_lt_i32 s9, s10
	s_waitcnt vmcnt(25)
	v_lshlrev_b32_e32 v14, 16, v121
	v_add_co_u32_e32 v100, vcc, s12, v0
	s_cselect_b32 s12, s9, s11
	v_fmac_f32_e32 v119, v15, v14
	v_lshlrev_b32_e32 v14, 16, v122
	v_mov_b32_e32 v101, s13
	s_ashr_i32 s13, s12, 31
	v_fmac_f32_e32 v119, v16, v14
	v_lshlrev_b32_e32 v14, 16, v123
	s_lshl_b64 s[12:13], s[12:13], 1
	s_add_i32 s9, s4, 0xfffffd00
	v_fmac_f32_e32 v119, v17, v14
	v_lshlrev_b32_e32 v14, 16, v124
	v_addc_co_u32_e32 v101, vcc, v1, v101, vcc
	s_cmp_lt_i32 s9, s10
	s_waitcnt lgkmcnt(2)
	v_fmac_f32_e32 v119, v18, v14
	s_waitcnt vmcnt(24)
	v_lshlrev_b32_e32 v14, 16, v125
	v_add_co_u32_e32 v102, vcc, s12, v0
	s_cselect_b32 s12, s9, s11
	v_fmac_f32_e32 v119, v19, v14
	s_waitcnt vmcnt(23)
	v_lshlrev_b32_e32 v14, 16, v126
	v_mov_b32_e32 v103, s13
	s_ashr_i32 s13, s12, 31
	v_fmac_f32_e32 v119, v20, v14
	s_waitcnt vmcnt(22)
	v_lshlrev_b32_e32 v14, 16, v127
	s_lshl_b64 s[12:13], s[12:13], 1
	s_add_i32 s9, s4, 0xfffffd40
	v_fmac_f32_e32 v119, v21, v14
	s_waitcnt vmcnt(21)
	v_lshlrev_b32_e32 v14, 16, v128
	v_addc_co_u32_e32 v103, vcc, v1, v103, vcc
	s_cmp_lt_i32 s9, s10
	s_waitcnt lgkmcnt(1)
	v_fmac_f32_e32 v119, v22, v14
	global_load_ushort v22, v[62:63], off
	v_add_co_u32_e32 v104, vcc, s12, v0
	s_cselect_b32 s12, s9, s11
	v_mov_b32_e32 v105, s13
	s_ashr_i32 s13, s12, 31
	s_lshl_b64 s[12:13], s[12:13], 1
	s_add_i32 s9, s4, 0xfffffd80
	s_waitcnt vmcnt(21)
	v_lshlrev_b32_e32 v14, 16, v129
	v_addc_co_u32_e32 v105, vcc, v1, v105, vcc
	s_cmp_lt_i32 s9, s10
	v_fmac_f32_e32 v119, v23, v14
	global_load_ushort v23, v[64:65], off
	v_add_co_u32_e32 v106, vcc, s12, v0
	s_cselect_b32 s12, s9, s11
	s_waitcnt vmcnt(21)
	v_lshlrev_b32_e32 v14, 16, v130
	global_load_ushort v45, v[66:67], off
	v_mov_b32_e32 v107, s13
	s_ashr_i32 s13, s12, 31
	v_fmac_f32_e32 v119, v24, v14
	global_load_ushort v24, v[68:69], off
	s_waitcnt vmcnt(22)
	v_lshlrev_b32_e32 v14, 16, v131
	s_lshl_b64 s[12:13], s[12:13], 1
	s_add_i32 s9, s4, 0xfffffdc0
	v_fmac_f32_e32 v119, v25, v14
	global_load_ushort v25, v[70:71], off
	global_load_ushort v46, v[72:73], off
	v_addc_co_u32_e32 v107, vcc, v1, v107, vcc
	s_cmp_lt_i32 s9, s10
	s_waitcnt vmcnt(23)
	v_lshlrev_b32_e32 v14, 16, v132
	v_add_co_u32_e32 v110, vcc, s12, v0
	s_cselect_b32 s12, s9, s11
	s_waitcnt lgkmcnt(0)
	v_fmac_f32_e32 v119, v26, v14
	global_load_ushort v26, v[74:75], off
	global_load_ushort v47, v[76:77], off
	v_mov_b32_e32 v108, s13
	s_ashr_i32 s13, s12, 31
	s_waitcnt vmcnt(24)
	v_lshlrev_b32_e32 v14, 16, v133
	s_lshl_b64 s[12:13], s[12:13], 1
	s_add_i32 s9, s4, 0xfffffe00
	v_fmac_f32_e32 v119, v27, v14
	global_load_ushort v27, v[78:79], off
	v_addc_co_u32_e32 v111, vcc, v1, v108, vcc
	s_cmp_lt_i32 s9, s10
	v_add_co_u32_e32 v108, vcc, s12, v0
	s_cselect_b32 s12, s9, s11
	s_waitcnt vmcnt(24)
	v_lshlrev_b32_e32 v14, 16, v134
	v_mov_b32_e32 v109, s13
	s_ashr_i32 s13, s12, 31
	v_fmac_f32_e32 v119, v28, v14
	global_load_ushort v28, v[80:81], off
	s_waitcnt vmcnt(24)
	v_lshlrev_b32_e32 v14, 16, v135
	s_lshl_b64 s[12:13], s[12:13], 1
	s_add_i32 s9, s4, 0xfffffe40
	v_fmac_f32_e32 v119, v29, v14
	ds_read_b128 v[14:17], v37 offset:64
	ds_read_b128 v[18:21], v37 offset:80
	v_addc_co_u32_e32 v109, vcc, v1, v109, vcc
	s_cmp_lt_i32 s9, s10
	global_load_ushort v48, v[82:83], off
	global_load_ushort v29, v[84:85], off
	;; [unrolled: 1-line block ×4, first 2 shown]
	v_add_co_u32_e32 v114, vcc, s12, v0
	s_cselect_b32 s12, s9, s11
	v_mov_b32_e32 v112, s13
	s_ashr_i32 s13, s12, 31
	s_lshl_b64 s[12:13], s[12:13], 1
	s_add_i32 s9, s4, 0xfffffe80
	s_waitcnt vmcnt(27)
	v_lshlrev_b32_e32 v30, 16, v30
	v_addc_co_u32_e32 v115, vcc, v1, v112, vcc
	s_cmp_lt_i32 s9, s10
	s_waitcnt lgkmcnt(1)
	v_fmac_f32_e32 v119, v14, v30
	global_load_ushort v30, v[90:91], off
	v_add_co_u32_e32 v112, vcc, s12, v0
	s_cselect_b32 s12, s9, s11
	s_waitcnt vmcnt(27)
	v_lshlrev_b32_e32 v14, 16, v31
	global_load_ushort v31, v[92:93], off
	global_load_ushort v51, v[94:95], off
	v_mov_b32_e32 v113, s13
	s_ashr_i32 s13, s12, 31
	s_lshl_b64 s[12:13], s[12:13], 1
	s_add_i32 s9, s4, 0xfffffec0
	v_addc_co_u32_e32 v113, vcc, v1, v113, vcc
	s_cmp_lt_i32 s9, s10
	v_add_co_u32_e32 v116, vcc, s12, v0
	s_cselect_b32 s12, s9, s11
	v_mov_b32_e32 v117, s13
	s_ashr_i32 s13, s12, 31
	v_fmac_f32_e32 v119, v15, v14
	s_waitcnt vmcnt(28)
	v_lshlrev_b32_e32 v14, 16, v32
	global_load_ushort v32, v[96:97], off
	s_lshl_b64 s[12:13], s[12:13], 1
	s_add_i32 s9, s4, 0xffffff00
	v_fmac_f32_e32 v119, v16, v14
	s_waitcnt vmcnt(28)
	v_lshlrev_b32_e32 v14, 16, v33
	global_load_ushort v33, v[98:99], off
	v_addc_co_u32_e32 v117, vcc, v1, v117, vcc
	s_cmp_lt_i32 s9, s10
	v_fmac_f32_e32 v119, v17, v14
	s_waitcnt vmcnt(28)
	v_lshlrev_b32_e32 v14, 16, v34
	global_load_ushort v34, v[100:101], off
	global_load_ushort v52, v[102:103], off
	v_add_co_u32_e32 v2, vcc, s12, v0
	s_cselect_b32 s12, s9, s11
	v_mov_b32_e32 v4, s13
	s_ashr_i32 s13, s12, 31
	s_lshl_b64 s[12:13], s[12:13], 1
	s_add_i32 s9, s4, 0xffffff40
	s_waitcnt lgkmcnt(0)
	v_fmac_f32_e32 v119, v18, v14
	s_waitcnt vmcnt(29)
	v_lshlrev_b32_e32 v14, 16, v35
	global_load_ushort v35, v[104:105], off
	global_load_ushort v53, v[106:107], off
	;; [unrolled: 1-line block ×3, first 2 shown]
	v_addc_co_u32_e32 v3, vcc, v1, v4, vcc
	s_cmp_lt_i32 s9, s10
	v_add_co_u32_e32 v4, vcc, s12, v0
	s_cselect_b32 s12, s9, s11
	v_mov_b32_e32 v5, s13
	s_ashr_i32 s13, s12, 31
	v_fmac_f32_e32 v119, v19, v14
	s_waitcnt vmcnt(31)
	v_lshlrev_b32_e32 v14, 16, v38
	global_load_ushort v38, v[108:109], off
	global_load_ushort v55, v[114:115], off
	s_lshl_b64 s[12:13], s[12:13], 1
	s_add_i32 s9, s4, 0xffffff80
	v_addc_co_u32_e32 v5, vcc, v1, v5, vcc
	s_cmp_lt_i32 s9, s10
	v_fmac_f32_e32 v119, v20, v14
	s_waitcnt vmcnt(32)
	v_lshlrev_b32_e32 v14, 16, v39
	v_add_co_u32_e32 v6, vcc, s12, v0
	s_cselect_b32 s12, s9, s11
	v_fmac_f32_e32 v119, v21, v14
	ds_read_b128 v[14:17], v37 offset:96
	v_mov_b32_e32 v7, s13
	s_ashr_i32 s13, s12, 31
	s_lshl_b64 s[12:13], s[12:13], 1
	s_sub_i32 s9, s4, 64
	v_addc_co_u32_e32 v7, vcc, v1, v7, vcc
	s_cmp_lt_i32 s9, s10
	global_load_ushort v39, v[112:113], off
	global_load_ushort v56, v[116:117], off
	v_add_co_u32_e32 v10, vcc, s12, v0
	s_cselect_b32 s12, s9, s11
	s_waitcnt vmcnt(33)
	v_lshlrev_b32_e32 v36, 16, v36
	v_mov_b32_e32 v8, s13
	s_ashr_i32 s13, s12, 31
	s_waitcnt lgkmcnt(0)
	v_fmac_f32_e32 v119, v14, v36
	s_waitcnt vmcnt(32)
	v_lshlrev_b32_e32 v14, 16, v40
	s_lshl_b64 s[12:13], s[12:13], 1
	ds_read_b128 v[18:21], v37 offset:112
	v_fmac_f32_e32 v119, v15, v14
	global_load_ushort v14, v[2:3], off
	global_load_ushort v15, v[4:5], off
	v_addc_co_u32_e32 v11, vcc, v1, v8, vcc
	s_cmp_lt_i32 s4, s10
	v_add_co_u32_e32 v8, vcc, s12, v0
	s_cselect_b32 s12, s4, s11
	s_waitcnt vmcnt(33)
	v_lshlrev_b32_e32 v2, 16, v41
	v_mov_b32_e32 v9, s13
	s_ashr_i32 s13, s12, 31
	v_fmac_f32_e32 v119, v16, v2
	global_load_ushort v16, v[6:7], off
	global_load_ushort v36, v[10:11], off
	v_addc_co_u32_e32 v9, vcc, v1, v9, vcc
	s_lshl_b64 s[12:13], s[12:13], 1
	s_waitcnt vmcnt(34)
	v_lshlrev_b32_e32 v2, 16, v42
	v_mov_b32_e32 v13, s13
	v_add_co_u32_e32 v12, vcc, s12, v0
	v_fmac_f32_e32 v119, v17, v2
	s_waitcnt vmcnt(33)
	v_lshlrev_b32_e32 v2, 16, v43
	v_addc_co_u32_e32 v13, vcc, v1, v13, vcc
	s_waitcnt lgkmcnt(0)
	v_fmac_f32_e32 v119, v18, v2
	global_load_ushort v17, v[8:9], off
	global_load_ushort v18, v[12:13], off
	s_waitcnt vmcnt(34)
	v_lshlrev_b32_e32 v2, 16, v44
	v_fmac_f32_e32 v119, v19, v2
	s_waitcnt vmcnt(33)
	v_lshlrev_b32_e32 v2, 16, v22
	v_fmac_f32_e32 v119, v20, v2
	ds_read_b128 v[2:5], v37 offset:128
	s_waitcnt vmcnt(32)
	v_lshlrev_b32_e32 v6, 16, v23
	v_fmac_f32_e32 v119, v21, v6
	ds_read_b128 v[6:9], v37 offset:144
	s_waitcnt vmcnt(31)
	v_lshlrev_b32_e32 v10, 16, v45
	s_waitcnt lgkmcnt(1)
	v_fmac_f32_e32 v119, v2, v10
	s_waitcnt vmcnt(30)
	v_lshlrev_b32_e32 v2, 16, v24
	v_fmac_f32_e32 v119, v3, v2
	s_waitcnt vmcnt(29)
	v_lshlrev_b32_e32 v2, 16, v25
	;; [unrolled: 3-line block ×4, first 2 shown]
	s_waitcnt lgkmcnt(0)
	v_fmac_f32_e32 v119, v6, v2
	s_waitcnt vmcnt(26)
	v_lshlrev_b32_e32 v2, 16, v47
	v_fmac_f32_e32 v119, v7, v2
	s_waitcnt vmcnt(25)
	v_lshlrev_b32_e32 v2, 16, v27
	v_fmac_f32_e32 v119, v8, v2
	ds_read_b128 v[2:5], v37 offset:160
	s_waitcnt vmcnt(24)
	v_lshlrev_b32_e32 v6, 16, v28
	v_fmac_f32_e32 v119, v9, v6
	ds_read_b128 v[6:9], v37 offset:176
	s_waitcnt vmcnt(23)
	v_lshlrev_b32_e32 v10, 16, v48
	s_waitcnt lgkmcnt(1)
	v_fmac_f32_e32 v119, v2, v10
	s_waitcnt vmcnt(22)
	v_lshlrev_b32_e32 v2, 16, v29
	v_fmac_f32_e32 v119, v3, v2
	s_waitcnt vmcnt(21)
	v_lshlrev_b32_e32 v2, 16, v49
	;; [unrolled: 3-line block ×4, first 2 shown]
	s_waitcnt lgkmcnt(0)
	v_fmac_f32_e32 v119, v6, v2
	s_waitcnt vmcnt(18)
	v_lshlrev_b32_e32 v2, 16, v31
	v_fmac_f32_e32 v119, v7, v2
	s_waitcnt vmcnt(17)
	v_lshlrev_b32_e32 v2, 16, v51
	v_fmac_f32_e32 v119, v8, v2
	ds_read_b128 v[2:5], v37 offset:192
	s_waitcnt vmcnt(16)
	v_lshlrev_b32_e32 v6, 16, v32
	v_fmac_f32_e32 v119, v9, v6
	ds_read_b128 v[6:9], v37 offset:208
	s_waitcnt vmcnt(15)
	v_lshlrev_b32_e32 v10, 16, v33
	s_waitcnt lgkmcnt(1)
	v_fmac_f32_e32 v119, v2, v10
	s_waitcnt vmcnt(14)
	v_lshlrev_b32_e32 v2, 16, v34
	v_fmac_f32_e32 v119, v3, v2
	s_waitcnt vmcnt(13)
	v_lshlrev_b32_e32 v2, 16, v52
	;; [unrolled: 3-line block ×4, first 2 shown]
	v_lshlrev_b32_e32 v2, 16, v53
	s_waitcnt lgkmcnt(0)
	v_pk_mul_f32 v[2:3], v[6:7], v[2:3]
	v_add_f32_e32 v2, v119, v2
	v_add_f32_e32 v4, v2, v3
	s_waitcnt vmcnt(8)
	v_lshlrev_b32_e32 v3, 16, v55
	v_lshlrev_b32_e32 v2, 16, v38
	v_pk_mul_f32 v[6:7], v[8:9], v[2:3]
	v_add_f32_e32 v6, v4, v6
	ds_read_b128 v[2:5], v37 offset:224
	s_waitcnt vmcnt(6)
	v_lshlrev_b32_e32 v11, 16, v56
	v_lshlrev_b32_e32 v10, 16, v39
	v_add_f32_e32 v12, v6, v7
	ds_read_b128 v[6:9], v37 offset:240
	s_waitcnt lgkmcnt(1)
	v_pk_mul_f32 v[2:3], v[2:3], v[10:11]
	v_add_f32_e32 v2, v12, v2
	v_add_f32_e32 v10, v2, v3
	s_waitcnt vmcnt(4)
	v_lshlrev_b32_e32 v3, 16, v15
	v_lshlrev_b32_e32 v2, 16, v14
	v_pk_mul_f32 v[2:3], v[4:5], v[2:3]
	v_add_f32_e32 v2, v10, v2
	v_add_f32_e32 v4, v2, v3
	s_waitcnt vmcnt(2)
	v_lshlrev_b32_e32 v3, 16, v36
	v_lshlrev_b32_e32 v2, 16, v16
	s_waitcnt lgkmcnt(0)
	v_pk_mul_f32 v[2:3], v[6:7], v[2:3]
	v_add_f32_e32 v2, v4, v2
	v_add_f32_e32 v4, v2, v3
	s_waitcnt vmcnt(0)
	v_lshlrev_b32_e32 v3, 16, v18
	v_lshlrev_b32_e32 v2, 16, v17
	v_pk_mul_f32 v[2:3], v[8:9], v[2:3]
	v_add_f32_e32 v2, v4, v2
	v_add_f32_e32 v119, v2, v3
	s_branch .LBB212_16
.LBB212_19:
	v_mov_b32_e32 v0, 0
	ds_read_b32 v0, v0 offset:1280
	s_cmp_lg_u64 s[2:3], 0
	s_cbranch_scc0 .LBB212_28
; %bb.20:
	s_load_dword s4, s[2:3], 0x0
	s_waitcnt lgkmcnt(0)
	v_div_scale_f32 v1, s[2:3], s4, s4, 1.0
	v_rcp_f32_e32 v2, v1
	v_div_scale_f32 v3, vcc, 1.0, s4, 1.0
	v_fma_f32 v4, -v1, v2, 1.0
	v_fmac_f32_e32 v2, v4, v2
	v_mul_f32_e32 v4, v3, v2
	v_fma_f32 v5, -v1, v4, v3
	v_fmac_f32_e32 v4, v5, v2
	v_fma_f32 v1, -v1, v4, v3
	v_div_fmas_f32 v1, v1, v2, v4
	v_div_fixup_f32 v1, v1, s4, 1.0
	s_andn2_b64 vcc, exec, s[26:27]
	s_cbranch_vccnz .LBB212_22
.LBB212_21:
	s_add_u32 s2, s24, s28
	s_addc_u32 s3, s25, s29
	s_load_dword s14, s[2:3], 0x0
	s_mov_b32 s15, 0
.LBB212_22:
	s_waitcnt lgkmcnt(0)
	v_add_f32_e32 v0, 0x358637bd, v0
	v_div_scale_f32 v2, s[2:3], v0, v0, 1.0
	v_rcp_f32_e32 v3, v2
	v_div_scale_f32 v4, vcc, 1.0, v0, 1.0
	s_mov_b32 s2, 0x7f800000
	v_fma_f32 v5, -v2, v3, 1.0
	v_fmac_f32_e32 v3, v5, v3
	v_mul_f32_e32 v5, v4, v3
	v_fma_f32 v6, -v2, v5, v4
	v_fmac_f32_e32 v5, v6, v3
	v_fma_f32 v2, -v2, v5, v4
	v_div_fmas_f32 v2, v2, v3, v5
	v_div_fixup_f32 v0, v2, v0, 1.0
	v_mul_f32_e32 v0, v119, v0
	v_mul_f32_e32 v1, v0, v1
	v_and_b32_e32 v0, 0x7f800000, v1
	v_cmp_ne_u32_e32 vcc, s2, v0
                                        ; implicit-def: $vgpr0
	s_and_saveexec_b64 s[2:3], vcc
	s_xor_b64 s[2:3], exec, s[2:3]
; %bb.23:
	v_bfe_u32 v0, v1, 16, 1
	s_movk_i32 s4, 0x7fff
	v_add3_u32 v0, v1, v0, s4
                                        ; implicit-def: $vgpr1
; %bb.24:
	s_andn2_saveexec_b64 s[2:3], s[2:3]
; %bb.25:
	v_mov_b32_e32 v0, 0
	v_or_b32_e32 v2, 0x10000, v1
	v_cmp_eq_u32_sdwa vcc, v1, v0 src0_sel:WORD_0 src1_sel:DWORD
	v_cndmask_b32_e32 v0, v2, v1, vcc
; %bb.26:
	s_or_b64 exec, exec, s[2:3]
	s_mul_i32 s2, s7, s15
	s_mul_hi_u32 s3, s7, s14
	s_add_i32 s3, s3, s2
	s_mul_i32 s2, s7, s14
	s_lshl_b64 s[2:3], s[2:3], 7
	s_add_u32 s2, s0, s2
	s_mov_b32 s7, 0
	s_addc_u32 s3, s1, s3
	s_lshl_b64 s[0:1], s[6:7], 7
	s_add_u32 s0, s2, s0
	s_addc_u32 s1, s3, s1
	global_store_short_d16_hi v118, v0, s[0:1]
	s_endpgm
.LBB212_27:
	s_mov_b64 s[2:3], 0
	s_branch .LBB212_2
.LBB212_28:
	v_mov_b32_e32 v1, 1.0
	s_andn2_b64 vcc, exec, s[26:27]
	s_cbranch_vccz .LBB212_21
	s_branch .LBB212_22
	.section	.rodata,"a",@progbits
	.p2align	6, 0x0
	.amdhsa_kernel _Z35paged_attention_ll4mi_reduce_kernelI14__hip_bfloat16S0_Li64ELi64ELi256ELi5EEvPT0_PKfS4_PKT_PKiS9_iS4_
		.amdhsa_group_segment_fixed_size 1284
		.amdhsa_private_segment_fixed_size 0
		.amdhsa_kernarg_size 320
		.amdhsa_user_sgpr_count 6
		.amdhsa_user_sgpr_private_segment_buffer 1
		.amdhsa_user_sgpr_dispatch_ptr 0
		.amdhsa_user_sgpr_queue_ptr 0
		.amdhsa_user_sgpr_kernarg_segment_ptr 1
		.amdhsa_user_sgpr_dispatch_id 0
		.amdhsa_user_sgpr_flat_scratch_init 0
		.amdhsa_user_sgpr_kernarg_preload_length 0
		.amdhsa_user_sgpr_kernarg_preload_offset 0
		.amdhsa_user_sgpr_private_segment_size 0
		.amdhsa_uses_dynamic_stack 0
		.amdhsa_system_sgpr_private_segment_wavefront_offset 0
		.amdhsa_system_sgpr_workgroup_id_x 1
		.amdhsa_system_sgpr_workgroup_id_y 1
		.amdhsa_system_sgpr_workgroup_id_z 0
		.amdhsa_system_sgpr_workgroup_info 0
		.amdhsa_system_vgpr_workitem_id 0
		.amdhsa_next_free_vgpr 136
		.amdhsa_next_free_sgpr 39
		.amdhsa_accum_offset 136
		.amdhsa_reserve_vcc 1
		.amdhsa_reserve_flat_scratch 0
		.amdhsa_float_round_mode_32 0
		.amdhsa_float_round_mode_16_64 0
		.amdhsa_float_denorm_mode_32 3
		.amdhsa_float_denorm_mode_16_64 3
		.amdhsa_dx10_clamp 1
		.amdhsa_ieee_mode 1
		.amdhsa_fp16_overflow 0
		.amdhsa_tg_split 0
		.amdhsa_exception_fp_ieee_invalid_op 0
		.amdhsa_exception_fp_denorm_src 0
		.amdhsa_exception_fp_ieee_div_zero 0
		.amdhsa_exception_fp_ieee_overflow 0
		.amdhsa_exception_fp_ieee_underflow 0
		.amdhsa_exception_fp_ieee_inexact 0
		.amdhsa_exception_int_div_zero 0
	.end_amdhsa_kernel
	.section	.text._Z35paged_attention_ll4mi_reduce_kernelI14__hip_bfloat16S0_Li64ELi64ELi256ELi5EEvPT0_PKfS4_PKT_PKiS9_iS4_,"axG",@progbits,_Z35paged_attention_ll4mi_reduce_kernelI14__hip_bfloat16S0_Li64ELi64ELi256ELi5EEvPT0_PKfS4_PKT_PKiS9_iS4_,comdat
.Lfunc_end212:
	.size	_Z35paged_attention_ll4mi_reduce_kernelI14__hip_bfloat16S0_Li64ELi64ELi256ELi5EEvPT0_PKfS4_PKT_PKiS9_iS4_, .Lfunc_end212-_Z35paged_attention_ll4mi_reduce_kernelI14__hip_bfloat16S0_Li64ELi64ELi256ELi5EEvPT0_PKfS4_PKT_PKiS9_iS4_
                                        ; -- End function
	.section	.AMDGPU.csdata,"",@progbits
; Kernel info:
; codeLenInByte = 9892
; NumSgprs: 43
; NumVgprs: 136
; NumAgprs: 0
; TotalNumVgprs: 136
; ScratchSize: 0
; MemoryBound: 0
; FloatMode: 240
; IeeeMode: 1
; LDSByteSize: 1284 bytes/workgroup (compile time only)
; SGPRBlocks: 5
; VGPRBlocks: 16
; NumSGPRsForWavesPerEU: 43
; NumVGPRsForWavesPerEU: 136
; AccumOffset: 136
; Occupancy: 3
; WaveLimiterHint : 1
; COMPUTE_PGM_RSRC2:SCRATCH_EN: 0
; COMPUTE_PGM_RSRC2:USER_SGPR: 6
; COMPUTE_PGM_RSRC2:TRAP_HANDLER: 0
; COMPUTE_PGM_RSRC2:TGID_X_EN: 1
; COMPUTE_PGM_RSRC2:TGID_Y_EN: 1
; COMPUTE_PGM_RSRC2:TGID_Z_EN: 0
; COMPUTE_PGM_RSRC2:TIDIG_COMP_CNT: 0
; COMPUTE_PGM_RSRC3_GFX90A:ACCUM_OFFSET: 33
; COMPUTE_PGM_RSRC3_GFX90A:TG_SPLIT: 0
	.section	.text._Z35paged_attention_ll4mi_reduce_kernelI14__hip_bfloat16S0_Li64ELi64ELi256ELi6EEvPT0_PKfS4_PKT_PKiS9_iS4_,"axG",@progbits,_Z35paged_attention_ll4mi_reduce_kernelI14__hip_bfloat16S0_Li64ELi64ELi256ELi6EEvPT0_PKfS4_PKT_PKiS9_iS4_,comdat
	.protected	_Z35paged_attention_ll4mi_reduce_kernelI14__hip_bfloat16S0_Li64ELi64ELi256ELi6EEvPT0_PKfS4_PKT_PKiS9_iS4_ ; -- Begin function _Z35paged_attention_ll4mi_reduce_kernelI14__hip_bfloat16S0_Li64ELi64ELi256ELi6EEvPT0_PKfS4_PKT_PKiS9_iS4_
	.globl	_Z35paged_attention_ll4mi_reduce_kernelI14__hip_bfloat16S0_Li64ELi64ELi256ELi6EEvPT0_PKfS4_PKT_PKiS9_iS4_
	.p2align	8
	.type	_Z35paged_attention_ll4mi_reduce_kernelI14__hip_bfloat16S0_Li64ELi64ELi256ELi6EEvPT0_PKfS4_PKT_PKiS9_iS4_,@function
_Z35paged_attention_ll4mi_reduce_kernelI14__hip_bfloat16S0_Li64ELi64ELi256ELi6EEvPT0_PKfS4_PKT_PKiS9_iS4_: ; @_Z35paged_attention_ll4mi_reduce_kernelI14__hip_bfloat16S0_Li64ELi64ELi256ELi6EEvPT0_PKfS4_PKT_PKiS9_iS4_
; %bb.0:
	s_load_dwordx2 s[26:27], s[4:5], 0x28
	s_mov_b32 s24, s7
	s_mov_b64 s[0:1], 0
	s_waitcnt lgkmcnt(0)
	s_cmp_lg_u64 s[26:27], 0
	s_cselect_b64 s[28:29], -1, 0
	s_and_b64 vcc, exec, s[28:29]
	s_cbranch_vccz .LBB213_27
; %bb.1:
	s_add_i32 s2, s24, 1
	s_mov_b32 s3, 0
	s_lshl_b64 s[8:9], s[2:3], 2
	s_add_u32 s8, s26, s8
	s_mov_b32 s25, s3
	s_addc_u32 s9, s27, s9
	s_lshl_b64 s[2:3], s[24:25], 2
	s_add_u32 s2, s26, s2
	s_addc_u32 s3, s27, s3
	s_load_dword s7, s[8:9], 0x0
	s_load_dword s10, s[2:3], 0x0
	s_waitcnt lgkmcnt(0)
	s_sub_i32 s2, s7, s10
	s_cmp_eq_u32 s2, 1
	s_cselect_b64 s[2:3], -1, 0
	s_andn2_b64 vcc, exec, s[0:1]
	s_cbranch_vccnz .LBB213_3
.LBB213_2:
	s_mov_b32 s25, 0
	s_mov_b64 s[2:3], -1
.LBB213_3:
	s_andn2_b64 vcc, exec, s[2:3]
	s_cbranch_vccz .LBB213_5
; %bb.4:
	s_endpgm
.LBB213_5:
	s_load_dwordx4 s[16:19], s[4:5], 0x18
	s_load_dword s8, s[4:5], 0x30
	s_lshl_b64 s[30:31], s[24:25], 2
	v_cmp_lt_u32_e32 vcc, 63, v0
	s_waitcnt lgkmcnt(0)
	s_add_u32 s0, s18, s30
	s_addc_u32 s1, s19, s31
	s_load_dword s40, s[0:1], 0x0
	s_load_dword s7, s[4:5], 0x40
	s_mul_i32 s18, s6, s8
	s_mul_i32 s2, s24, s8
	s_waitcnt lgkmcnt(0)
	s_add_i32 s3, s40, 0xff
	s_ashr_i32 s0, s3, 31
	s_lshr_b32 s0, s0, 24
	s_add_i32 s3, s3, s0
	s_and_saveexec_b64 s[0:1], vcc
	s_xor_b64 s[0:1], exec, s[0:1]
	s_or_saveexec_b64 s[34:35], s[0:1]
	s_ashr_i32 s33, s3, 8
	v_mov_b32_e32 v1, s18
	s_mul_i32 s36, s2, s7
	s_xor_b64 exec, exec, s[34:35]
	s_cbranch_execz .LBB213_9
; %bb.6:
	s_add_i32 s0, s33, -1
	v_or_b32_e32 v3, 64, v0
	v_mov_b32_e32 v1, s0
	v_cmp_gt_u32_e64 s[10:11], s33, v3
	v_cndmask_b32_e64 v4, v1, v3, s[10:11]
	v_or_b32_e32 v3, 0x80, v0
	s_load_dwordx4 s[20:23], s[4:5], 0x8
	v_cmp_gt_u32_e64 s[8:9], s33, v3
	v_cndmask_b32_e64 v6, v1, v3, s[8:9]
	v_or_b32_e32 v3, 0xc0, v0
	v_cmp_gt_u32_e64 s[2:3], s33, v3
	s_mov_b32 s37, 0
	v_cndmask_b32_e64 v8, v1, v3, s[2:3]
	v_or_b32_e32 v3, 0x100, v0
	v_cmp_gt_u32_e64 s[0:1], s33, v3
	s_lshl_b64 s[38:39], s[36:37], 2
	s_mov_b32 s19, s37
	v_cmp_gt_u32_e64 s[12:13], s33, v0
	v_cndmask_b32_e64 v10, v1, v3, s[0:1]
	v_or_b32_e32 v3, 0x140, v0
	s_waitcnt lgkmcnt(0)
	s_add_u32 s14, s22, s38
	v_cndmask_b32_e64 v2, v1, v0, s[12:13]
	v_cmp_gt_u32_e32 vcc, s33, v3
	s_addc_u32 s15, s23, s39
	s_lshl_b64 s[22:23], s[18:19], 2
	v_cndmask_b32_e32 v12, v1, v3, vcc
	s_add_u32 s19, s14, s22
	v_ashrrev_i32_e32 v3, 31, v2
	s_addc_u32 s37, s15, s23
	v_lshlrev_b64 v[2:3], 2, v[2:3]
	v_mov_b32_e32 v1, s37
	v_add_co_u32_e64 v14, s[14:15], s19, v2
	v_ashrrev_i32_e32 v5, 31, v4
	v_addc_co_u32_e64 v15, s[14:15], v1, v3, s[14:15]
	v_lshlrev_b64 v[4:5], 2, v[4:5]
	v_add_co_u32_e64 v16, s[14:15], s19, v4
	v_ashrrev_i32_e32 v7, 31, v6
	v_addc_co_u32_e64 v17, s[14:15], v1, v5, s[14:15]
	v_lshlrev_b64 v[6:7], 2, v[6:7]
	;; [unrolled: 4-line block ×5, first 2 shown]
	v_add_co_u32_e64 v24, s[14:15], s19, v12
	v_addc_co_u32_e64 v25, s[14:15], v1, v13, s[14:15]
	global_load_dword v1, v[14:15], off
	global_load_dword v26, v[16:17], off
	;; [unrolled: 1-line block ×6, first 2 shown]
	v_mbcnt_lo_u32_b32 v14, -1, 0
	v_mbcnt_hi_u32_b32 v14, -1, v14
	v_and_b32_e32 v15, 64, v14
	v_xor_b32_e32 v16, 32, v14
	v_add_u32_e32 v15, 64, v15
	v_cmp_lt_i32_e64 s[14:15], v16, v15
	v_cndmask_b32_e64 v16, v14, v16, s[14:15]
	v_lshlrev_b32_e32 v16, 2, v16
	v_xor_b32_e32 v17, 16, v14
	v_cmp_lt_i32_e64 s[14:15], v17, v15
	v_cndmask_b32_e64 v17, v14, v17, s[14:15]
	v_lshlrev_b32_e32 v17, 2, v17
	v_xor_b32_e32 v18, 8, v14
	;; [unrolled: 4-line block ×3, first 2 shown]
	v_cmp_lt_i32_e64 s[14:15], v19, v15
	v_cndmask_b32_e64 v19, v14, v19, s[14:15]
	s_add_u32 s14, s20, s38
	v_lshlrev_b32_e32 v19, 2, v19
	s_addc_u32 s15, s21, s39
	s_add_u32 s19, s14, s22
	s_addc_u32 s20, s15, s23
	v_mov_b32_e32 v22, s20
	v_add_co_u32_e64 v2, s[14:15], s19, v2
	v_addc_co_u32_e64 v3, s[14:15], v22, v3, s[14:15]
	global_load_dword v22, v[2:3], off
	v_mov_b32_e32 v3, s20
	s_mov_b32 s21, 0x42b17218
	s_waitcnt vmcnt(6)
	v_max_f32_e32 v21, v1, v1
	s_waitcnt vmcnt(5)
	v_max_f32_e32 v20, v26, v26
	v_max_f32_e32 v20, v21, v20
	s_waitcnt vmcnt(3)
	v_max3_f32 v20, v20, v27, v28
	s_waitcnt vmcnt(1)
	v_max3_f32 v20, v20, v29, v30
	ds_bpermute_b32 v21, v16, v20
	s_waitcnt lgkmcnt(0)
	v_max_f32_e32 v21, v21, v21
	v_max_f32_e32 v20, v20, v21
	ds_bpermute_b32 v21, v17, v20
	s_waitcnt lgkmcnt(0)
	v_max_f32_e32 v21, v21, v21
	v_max_f32_e32 v20, v20, v21
	;; [unrolled: 4-line block ×4, first 2 shown]
	v_xor_b32_e32 v2, 2, v14
	v_cmp_lt_i32_e64 s[14:15], v2, v15
	v_cndmask_b32_e64 v2, v14, v2, s[14:15]
	v_lshlrev_b32_e32 v21, 2, v2
	ds_bpermute_b32 v23, v21, v20
	v_add_co_u32_e64 v2, s[14:15], s19, v4
	v_addc_co_u32_e64 v3, s[14:15], v3, v5, s[14:15]
	global_load_dword v24, v[2:3], off
	s_waitcnt lgkmcnt(0)
	v_max_f32_e32 v2, v23, v23
	v_max_f32_e32 v4, v20, v2
	v_xor_b32_e32 v2, 1, v14
	v_cmp_lt_i32_e64 s[14:15], v2, v15
	v_cndmask_b32_e64 v2, v14, v2, s[14:15]
	v_lshlrev_b32_e32 v14, 2, v2
	v_mov_b32_e32 v3, s20
	v_add_co_u32_e64 v2, s[14:15], s19, v6
	v_addc_co_u32_e64 v3, s[14:15], v3, v7, s[14:15]
	global_load_dword v6, v[2:3], off
	ds_bpermute_b32 v5, v14, v4
	v_mov_b32_e32 v3, s20
	v_add_co_u32_e64 v2, s[14:15], s19, v8
	v_addc_co_u32_e64 v3, s[14:15], v3, v9, s[14:15]
	global_load_dword v7, v[2:3], off
	s_waitcnt lgkmcnt(0)
	v_max_f32_e32 v5, v5, v5
	v_max_f32_e32 v9, v4, v5
	v_sub_f32_e32 v1, v1, v9
	v_mov_b32_e32 v3, s20
	v_mov_b32_e32 v8, s20
	s_mov_b32 s20, 0x3fb8aa3b
	v_mul_f32_e32 v4, 0x3fb8aa3b, v1
	v_add_co_u32_e64 v2, s[14:15], s19, v10
	v_fma_f32 v5, v1, s20, -v4
	v_rndne_f32_e32 v10, v4
	v_fmac_f32_e32 v5, 0x32a5705f, v1
	v_sub_f32_e32 v4, v4, v10
	v_addc_co_u32_e64 v3, s[14:15], v3, v11, s[14:15]
	v_add_f32_e32 v4, v4, v5
	v_exp_f32_e32 v11, v4
	v_add_co_u32_e64 v4, s[14:15], s19, v12
	v_addc_co_u32_e64 v5, s[14:15], v8, v13, s[14:15]
	global_load_dword v8, v[2:3], off
	global_load_dword v12, v[4:5], off
	v_cvt_i32_f32_e32 v10, v10
	v_sub_f32_e32 v4, v26, v9
	v_mul_f32_e32 v5, 0x3fb8aa3b, v4
	s_mov_b32 s19, 0xc2ce8ed0
	v_ldexp_f32 v2, v11, v10
	v_fma_f32 v10, v4, s20, -v5
	v_rndne_f32_e32 v11, v5
	v_fmac_f32_e32 v10, 0x32a5705f, v4
	v_sub_f32_e32 v5, v5, v11
	v_add_f32_e32 v5, v5, v10
	v_cmp_ngt_f32_e64 s[14:15], s19, v1
	v_exp_f32_e32 v5, v5
	v_cvt_i32_f32_e32 v10, v11
	v_cndmask_b32_e64 v2, 0, v2, s[14:15]
	v_mov_b32_e32 v3, 0x7f800000
	v_cmp_nlt_f32_e64 s[14:15], s21, v1
	v_cndmask_b32_e64 v1, v3, v2, s[14:15]
	v_cndmask_b32_e64 v1, 0, v1, s[12:13]
	v_sub_f32_e32 v2, v27, v9
	s_waitcnt vmcnt(5)
	v_mul_f32_e32 v11, v22, v1
	v_ldexp_f32 v1, v5, v10
	v_mul_f32_e32 v5, 0x3fb8aa3b, v2
	v_fma_f32 v10, v2, s20, -v5
	v_rndne_f32_e32 v13, v5
	v_fmac_f32_e32 v10, 0x32a5705f, v2
	v_sub_f32_e32 v5, v5, v13
	v_add_f32_e32 v5, v5, v10
	v_cmp_ngt_f32_e64 s[12:13], s19, v4
	v_exp_f32_e32 v5, v5
	v_cvt_i32_f32_e32 v10, v13
	v_cndmask_b32_e64 v1, 0, v1, s[12:13]
	v_cmp_nlt_f32_e64 s[12:13], s21, v4
	v_cndmask_b32_e64 v1, v3, v1, s[12:13]
	v_cndmask_b32_e64 v1, 0, v1, s[10:11]
	v_cmp_ngt_f32_e64 s[10:11], s19, v2
	s_waitcnt vmcnt(4)
	v_mul_f32_e32 v4, v24, v1
	v_ldexp_f32 v1, v5, v10
	v_sub_f32_e32 v5, v28, v9
	v_mul_f32_e32 v10, 0x3fb8aa3b, v5
	v_fma_f32 v13, v5, s20, -v10
	v_rndne_f32_e32 v15, v10
	v_fmac_f32_e32 v13, 0x32a5705f, v5
	v_sub_f32_e32 v10, v10, v15
	v_add_f32_e32 v10, v10, v13
	v_exp_f32_e32 v10, v10
	v_cvt_i32_f32_e32 v13, v15
	v_cndmask_b32_e64 v1, 0, v1, s[10:11]
	v_cmp_nlt_f32_e64 s[10:11], s21, v2
	v_cndmask_b32_e64 v1, v3, v1, s[10:11]
	v_cndmask_b32_e64 v1, 0, v1, s[8:9]
	v_sub_f32_e32 v2, v29, v9
	s_waitcnt vmcnt(3)
	v_mul_f32_e32 v6, v6, v1
	v_ldexp_f32 v1, v10, v13
	v_mul_f32_e32 v10, 0x3fb8aa3b, v2
	v_fma_f32 v13, v2, s20, -v10
	v_rndne_f32_e32 v15, v10
	v_cmp_ngt_f32_e64 s[8:9], s19, v5
	v_fmac_f32_e32 v13, 0x32a5705f, v2
	v_sub_f32_e32 v10, v10, v15
	v_cndmask_b32_e64 v1, 0, v1, s[8:9]
	v_add_f32_e32 v10, v10, v13
	v_cmp_nlt_f32_e64 s[8:9], s21, v5
	v_exp_f32_e32 v10, v10
	v_cvt_i32_f32_e32 v13, v15
	v_cndmask_b32_e64 v1, v3, v1, s[8:9]
	v_cndmask_b32_e64 v1, 0, v1, s[2:3]
	s_waitcnt vmcnt(2)
	v_mul_f32_e32 v5, v7, v1
	v_sub_f32_e32 v7, v30, v9
	v_mul_f32_e32 v9, 0x3fb8aa3b, v7
	v_ldexp_f32 v1, v10, v13
	v_fma_f32 v10, v7, s20, -v9
	v_rndne_f32_e32 v13, v9
	v_fmac_f32_e32 v10, 0x32a5705f, v7
	v_sub_f32_e32 v9, v9, v13
	v_add_f32_e32 v9, v9, v10
	v_cmp_ngt_f32_e64 s[2:3], s19, v2
	v_exp_f32_e32 v9, v9
	v_cvt_i32_f32_e32 v10, v13
	v_cndmask_b32_e64 v1, 0, v1, s[2:3]
	v_cmp_nlt_f32_e64 s[2:3], s21, v2
	v_cndmask_b32_e64 v1, v3, v1, s[2:3]
	v_cndmask_b32_e64 v1, 0, v1, s[0:1]
	s_waitcnt vmcnt(1)
	v_mul_f32_e32 v8, v8, v1
	v_ldexp_f32 v1, v9, v10
	v_cmp_ngt_f32_e64 s[0:1], s19, v7
	v_cndmask_b32_e64 v1, 0, v1, s[0:1]
	v_cmp_nlt_f32_e64 s[0:1], s21, v7
	v_cndmask_b32_e64 v1, v3, v1, s[0:1]
	v_cndmask_b32_e32 v1, 0, v1, vcc
	s_waitcnt vmcnt(0)
	v_mul_f32_e32 v3, v12, v1
	v_add_f32_e32 v1, v11, v4
	v_add_f32_e32 v1, v1, v6
	;; [unrolled: 1-line block ×5, first 2 shown]
	ds_bpermute_b32 v2, v16, v1
	v_lshlrev_b32_e32 v7, 2, v0
	v_cmp_eq_u32_e32 vcc, 0, v0
	ds_write2st64_b32 v7, v11, v4 offset1:1
	ds_write2st64_b32 v7, v6, v5 offset0:2 offset1:3
	ds_write2st64_b32 v7, v8, v3 offset0:4 offset1:5
	s_waitcnt lgkmcnt(3)
	v_add_f32_e32 v1, v1, v2
	ds_bpermute_b32 v2, v17, v1
	s_waitcnt lgkmcnt(0)
	v_add_f32_e32 v1, v1, v2
	ds_bpermute_b32 v2, v18, v1
	;; [unrolled: 3-line block ×5, first 2 shown]
	s_and_saveexec_b64 s[0:1], vcc
	s_cbranch_execz .LBB213_8
; %bb.7:
	s_waitcnt lgkmcnt(0)
	v_add_f32_e32 v1, v1, v2
	v_mov_b32_e32 v2, 0
	ds_write_b32 v2, v1 offset:1536
.LBB213_8:
	s_or_b64 exec, exec, s[0:1]
	v_mov_b32_e32 v1, s18
.LBB213_9:
	s_or_b64 exec, exec, s[34:35]
	s_lshl_b32 s0, s36, 6
	s_mov_b32 s1, 0
	s_lshl_b64 s[0:1], s[0:1], 1
	s_add_u32 s0, s16, s0
	s_addc_u32 s1, s17, s1
	s_lshl_b32 s10, s33, 6
	s_waitcnt lgkmcnt(0)
	v_lshlrev_b32_e32 v2, 6, v1
	v_mov_b32_e32 v3, 0
	s_sub_i32 s11, s10, 64
	v_lshlrev_b64 v[4:5], 1, v[2:3]
	s_cmp_lt_i32 s40, 1
	v_mov_b32_e32 v1, s1
	v_add_co_u32_e32 v2, vcc, s0, v4
	s_cselect_b32 s0, s11, 0
	v_addc_co_u32_e32 v1, vcc, v1, v5, vcc
	v_lshlrev_b32_e32 v118, 1, v0
	s_ashr_i32 s1, s0, 31
	v_add_co_u32_e32 v0, vcc, v2, v118
	s_lshl_b64 s[0:1], s[0:1], 1
	v_addc_co_u32_e32 v1, vcc, 0, v1, vcc
	s_cmpk_lt_i32 s40, 0x101
	v_add_co_u32_e32 v4, vcc, s0, v0
	s_cselect_b32 s0, s11, 64
	v_mov_b32_e32 v2, s1
	s_ashr_i32 s1, s0, 31
	s_lshl_b64 s[0:1], s[0:1], 1
	v_addc_co_u32_e32 v5, vcc, v1, v2, vcc
	s_cmpk_lt_i32 s40, 0x201
	v_add_co_u32_e32 v6, vcc, s0, v0
	s_cselect_b32 s0, s11, 0x80
	v_mov_b32_e32 v2, s1
	s_ashr_i32 s1, s0, 31
	;; [unrolled: 7-line block ×8, first 2 shown]
	s_lshl_b64 s[0:1], s[0:1], 1
	v_addc_co_u32_e32 v19, vcc, v1, v2, vcc
	s_cmpk_lt_i32 s40, 0x901
	global_load_ushort v44, v[4:5], off
	global_load_ushort v43, v[6:7], off
	;; [unrolled: 1-line block ×8, first 2 shown]
	v_add_co_u32_e32 v4, vcc, s0, v0
	s_cselect_b32 s0, s11, 0x240
	v_mov_b32_e32 v5, s1
	s_ashr_i32 s1, s0, 31
	s_lshl_b64 s[0:1], s[0:1], 1
	v_addc_co_u32_e32 v5, vcc, v1, v5, vcc
	s_cmpk_lt_i32 s40, 0xa01
	v_add_co_u32_e32 v6, vcc, s0, v0
	s_cselect_b32 s0, s11, 0x280
	v_mov_b32_e32 v7, s1
	s_ashr_i32 s1, s0, 31
	s_lshl_b64 s[0:1], s[0:1], 1
	v_addc_co_u32_e32 v7, vcc, v1, v7, vcc
	s_cmpk_lt_i32 s40, 0xb01
	v_add_co_u32_e32 v8, vcc, s0, v0
	s_cselect_b32 s0, s11, 0x2c0
	v_mov_b32_e32 v9, s1
	s_ashr_i32 s1, s0, 31
	s_lshl_b64 s[0:1], s[0:1], 1
	v_addc_co_u32_e32 v9, vcc, v1, v9, vcc
	s_cmpk_lt_i32 s40, 0xc01
	v_add_co_u32_e32 v10, vcc, s0, v0
	s_cselect_b32 s0, s11, 0x300
	v_mov_b32_e32 v11, s1
	s_ashr_i32 s1, s0, 31
	s_lshl_b64 s[0:1], s[0:1], 1
	v_addc_co_u32_e32 v11, vcc, v1, v11, vcc
	s_cmpk_lt_i32 s40, 0xd01
	v_add_co_u32_e32 v12, vcc, s0, v0
	s_cselect_b32 s0, s11, 0x340
	v_mov_b32_e32 v13, s1
	s_ashr_i32 s1, s0, 31
	s_lshl_b64 s[0:1], s[0:1], 1
	v_addc_co_u32_e32 v13, vcc, v1, v13, vcc
	s_cmpk_lt_i32 s40, 0xe01
	v_add_co_u32_e32 v14, vcc, s0, v0
	s_cselect_b32 s0, s11, 0x380
	v_mov_b32_e32 v15, s1
	s_ashr_i32 s1, s0, 31
	s_lshl_b64 s[0:1], s[0:1], 1
	v_addc_co_u32_e32 v15, vcc, v1, v15, vcc
	s_cmpk_lt_i32 s40, 0xf01
	v_add_co_u32_e32 v16, vcc, s0, v0
	s_cselect_b32 s0, s11, 0x3c0
	v_mov_b32_e32 v17, s1
	s_ashr_i32 s1, s0, 31
	v_addc_co_u32_e32 v17, vcc, v1, v17, vcc
	s_lshl_b64 s[0:1], s[0:1], 1
	v_mov_b32_e32 v19, s1
	v_add_co_u32_e32 v18, vcc, s0, v0
	v_addc_co_u32_e32 v19, vcc, v1, v19, vcc
	global_load_ushort v51, v[4:5], off
	global_load_ushort v52, v[6:7], off
	;; [unrolled: 1-line block ×8, first 2 shown]
	s_cmpk_gt_i32 s40, 0x1000
	s_cselect_b64 s[8:9], -1, 0
	s_cmpk_lt_i32 s40, 0x1001
	v_mov_b32_e32 v61, 0
	v_mov_b32_e32 v62, 0
	;; [unrolled: 1-line block ×48, first 2 shown]
	s_waitcnt lgkmcnt(0)
	; wave barrier
	s_cbranch_scc1 .LBB213_12
; %bb.10:
	s_cmpk_lt_u32 s40, 0x1101
	s_cselect_b32 s0, s11, 0x440
	s_ashr_i32 s1, s0, 31
	s_lshl_b64 s[0:1], s[0:1], 1
	s_cmpk_lt_u32 s40, 0x1201
	v_add_co_u32_e32 v4, vcc, s0, v0
	s_cselect_b32 s0, s11, 0x480
	v_mov_b32_e32 v5, s1
	s_ashr_i32 s1, s0, 31
	s_lshl_b64 s[0:1], s[0:1], 1
	v_addc_co_u32_e32 v5, vcc, v1, v5, vcc
	s_cmpk_lt_u32 s40, 0x1301
	v_add_co_u32_e32 v6, vcc, s0, v0
	s_cselect_b32 s0, s11, 0x4c0
	v_mov_b32_e32 v7, s1
	s_ashr_i32 s1, s0, 31
	s_lshl_b64 s[0:1], s[0:1], 1
	v_addc_co_u32_e32 v7, vcc, v1, v7, vcc
	;; [unrolled: 7-line block ×7, first 2 shown]
	s_cmpk_lt_u32 s40, 0x1901
	global_load_ushort v60, v[0:1], off offset:2048
	global_load_ushort v59, v[4:5], off
	global_load_ushort v58, v[6:7], off
	;; [unrolled: 1-line block ×7, first 2 shown]
	v_add_co_u32_e32 v4, vcc, s0, v0
	s_cselect_b32 s0, s11, 0x640
	v_mov_b32_e32 v5, s1
	s_ashr_i32 s1, s0, 31
	s_lshl_b64 s[0:1], s[0:1], 1
	v_addc_co_u32_e32 v5, vcc, v1, v5, vcc
	s_cmpk_lt_u32 s40, 0x1a01
	v_add_co_u32_e32 v6, vcc, s0, v0
	s_cselect_b32 s0, s11, 0x680
	v_mov_b32_e32 v7, s1
	s_ashr_i32 s1, s0, 31
	s_lshl_b64 s[0:1], s[0:1], 1
	v_addc_co_u32_e32 v7, vcc, v1, v7, vcc
	s_cmpk_lt_u32 s40, 0x1b01
	;; [unrolled: 7-line block ×6, first 2 shown]
	v_add_co_u32_e32 v16, vcc, s0, v0
	s_cselect_b32 s0, s11, 0x7c0
	v_mov_b32_e32 v17, s1
	s_ashr_i32 s1, s0, 31
	v_addc_co_u32_e32 v17, vcc, v1, v17, vcc
	s_lshl_b64 s[0:1], s[0:1], 1
	v_mov_b32_e32 v19, s1
	v_add_co_u32_e32 v18, vcc, s0, v0
	v_addc_co_u32_e32 v19, vcc, v1, v19, vcc
	global_load_ushort v68, v[4:5], off
	global_load_ushort v67, v[6:7], off
	;; [unrolled: 1-line block ×8, first 2 shown]
	s_cmpk_lt_u32 s40, 0x2001
	v_mov_b32_e32 v35, 0
	v_mov_b32_e32 v33, 0
	;; [unrolled: 1-line block ×32, first 2 shown]
	s_cbranch_scc1 .LBB213_12
; %bb.11:
	s_cmpk_lt_u32 s40, 0x2101
	s_cselect_b32 s0, s11, 0x840
	s_ashr_i32 s1, s0, 31
	s_lshl_b64 s[0:1], s[0:1], 1
	s_cmpk_lt_u32 s40, 0x2201
	v_add_co_u32_e32 v4, vcc, s0, v0
	s_cselect_b32 s0, s11, 0x880
	v_mov_b32_e32 v5, s1
	s_ashr_i32 s1, s0, 31
	s_lshl_b64 s[0:1], s[0:1], 1
	v_addc_co_u32_e32 v5, vcc, v1, v5, vcc
	s_cmpk_lt_u32 s40, 0x2301
	v_add_co_u32_e32 v6, vcc, s0, v0
	s_cselect_b32 s0, s11, 0x8c0
	v_mov_b32_e32 v7, s1
	s_ashr_i32 s1, s0, 31
	s_lshl_b64 s[0:1], s[0:1], 1
	v_addc_co_u32_e32 v7, vcc, v1, v7, vcc
	;; [unrolled: 7-line block ×30, first 2 shown]
	v_mov_b32_e32 v69, s1
	s_movk_i32 s1, 0x1000
	v_add_co_u32_e32 v96, vcc, s1, v0
	v_addc_co_u32_e32 v97, vcc, 0, v1, vcc
	global_load_ushort v98, v[96:97], off
	global_load_ushort v99, v[4:5], off
	;; [unrolled: 1-line block ×15, first 2 shown]
                                        ; kill: killed $vgpr18 killed $vgpr19
                                        ; kill: killed $vgpr26 killed $vgpr27
                                        ; kill: killed $vgpr8 killed $vgpr9
                                        ; kill: killed $vgpr70 killed $vgpr71
                                        ; kill: killed $vgpr14 killed $vgpr15
                                        ; kill: killed $vgpr20 killed $vgpr21
                                        ; kill: killed $vgpr4 killed $vgpr5
                                        ; kill: killed $vgpr30 killed $vgpr31
                                        ; kill: killed $vgpr10 killed $vgpr11
                                        ; kill: killed $vgpr16 killed $vgpr17
                                        ; kill: killed $vgpr22 killed $vgpr23
                                        ; kill: killed $vgpr6 killed $vgpr7
                                        ; kill: killed $vgpr96 killed $vgpr97
                                        ; kill: killed $vgpr34 killed $vgpr35
                                        ; kill: killed $vgpr12 killed $vgpr13
	global_load_ushort v6, v[24:25], off
	global_load_ushort v7, v[28:29], off
	;; [unrolled: 1-line block ×15, first 2 shown]
                                        ; kill: killed $vgpr82 killed $vgpr83
                                        ; kill: killed $vgpr28 killed $vgpr29
                                        ; kill: killed $vgpr88 killed $vgpr89
                                        ; kill: killed $vgpr72 killed $vgpr73
                                        ; kill: killed $vgpr94 killed $vgpr95
                                        ; kill: killed $vgpr78 killed $vgpr79
                                        ; kill: killed $vgpr84 killed $vgpr85
                                        ; kill: killed $vgpr32 killed $vgpr33
                                        ; kill: killed $vgpr90 killed $vgpr91
                                        ; kill: killed $vgpr74 killed $vgpr75
                                        ; kill: killed $vgpr80 killed $vgpr81
                                        ; kill: killed $vgpr24 killed $vgpr25
                                        ; kill: killed $vgpr36 killed $vgpr37
                                        ; kill: killed $vgpr92 killed $vgpr93
                                        ; kill: killed $vgpr76 killed $vgpr77
	global_load_ushort v36, v[86:87], off
	v_add_co_u32_e32 v4, vcc, s0, v0
	v_addc_co_u32_e32 v5, vcc, v1, v69, vcc
	global_load_ushort v5, v[4:5], off
	s_waitcnt vmcnt(31)
	v_lshlrev_b32_e32 v35, 16, v98
	s_waitcnt vmcnt(30)
	v_lshlrev_b32_e32 v33, 16, v99
	;; [unrolled: 2-line block ×32, first 2 shown]
.LBB213_12:
	s_load_dwordx2 s[0:1], s[4:5], 0x0
	s_load_dwordx2 s[2:3], s[4:5], 0x38
	ds_read_b128 v[70:73], v3
	s_waitcnt vmcnt(15)
	v_lshlrev_b32_e32 v36, 16, v44
	ds_read_b128 v[74:77], v3 offset:16
	ds_read_b128 v[78:81], v3 offset:32
	ds_read_b128 v[82:85], v3 offset:48
	s_waitcnt vmcnt(10)
	v_lshlrev_b32_e32 v37, 16, v40
	s_and_b64 vcc, exec, s[8:9]
	s_waitcnt lgkmcnt(0)
	v_fma_f32 v44, v70, v36, 0
	v_lshlrev_b32_e32 v36, 16, v43
	v_fmac_f32_e32 v44, v71, v36
	v_lshlrev_b32_e32 v36, 16, v42
	v_fmac_f32_e32 v44, v72, v36
	;; [unrolled: 2-line block ×3, first 2 shown]
	v_lshlrev_b32_e32 v36, 16, v39
	v_pk_mul_f32 v[36:37], v[74:75], v[36:37]
	v_add_f32_e32 v36, v44, v36
	v_add_f32_e32 v39, v36, v37
	s_waitcnt vmcnt(8)
	v_lshlrev_b32_e32 v37, 16, v38
	v_lshlrev_b32_e32 v36, 16, v2
	v_pk_mul_f32 v[36:37], v[76:77], v[36:37]
	v_add_f32_e32 v2, v39, v36
	v_add_f32_e32 v2, v2, v37
	s_waitcnt vmcnt(6)
	v_lshlrev_b32_e32 v37, 16, v52
	;; [unrolled: 6-line block ×5, first 2 shown]
	v_lshlrev_b32_e32 v36, 16, v45
	v_pk_mul_f32 v[36:37], v[84:85], v[36:37]
	v_add_f32_e32 v2, v2, v36
	v_add_f32_e32 v119, v2, v37
	s_cbranch_vccz .LBB213_15
; %bb.13:
	ds_read_b128 v[36:39], v3 offset:64
	v_lshlrev_b32_e32 v2, 16, v60
	ds_read_b128 v[40:43], v3 offset:80
	ds_read_b128 v[44:47], v3 offset:96
	;; [unrolled: 1-line block ×3, first 2 shown]
	s_cmpk_lt_u32 s40, 0x2001
	s_waitcnt lgkmcnt(3)
	v_fmac_f32_e32 v119, v36, v2
	v_lshlrev_b32_e32 v2, 16, v59
	v_fmac_f32_e32 v119, v37, v2
	v_lshlrev_b32_e32 v2, 16, v58
	v_fmac_f32_e32 v119, v38, v2
	v_lshlrev_b32_e32 v2, 16, v57
	v_fmac_f32_e32 v119, v39, v2
	v_lshlrev_b32_e32 v2, 16, v56
	s_waitcnt lgkmcnt(2)
	v_fmac_f32_e32 v119, v40, v2
	v_lshlrev_b32_e32 v2, 16, v55
	v_fmac_f32_e32 v119, v41, v2
	v_lshlrev_b32_e32 v2, 16, v54
	v_fmac_f32_e32 v119, v42, v2
	v_lshlrev_b32_e32 v2, 16, v53
	v_fmac_f32_e32 v119, v43, v2
	v_lshlrev_b32_e32 v2, 16, v68
	;; [unrolled: 9-line block ×3, first 2 shown]
	s_waitcnt lgkmcnt(0)
	v_fmac_f32_e32 v119, v48, v2
	v_lshlrev_b32_e32 v2, 16, v63
	v_fmac_f32_e32 v119, v49, v2
	v_lshlrev_b32_e32 v2, 16, v62
	;; [unrolled: 2-line block ×3, first 2 shown]
	v_fmac_f32_e32 v119, v51, v2
	s_cbranch_scc1 .LBB213_15
; %bb.14:
	v_mov_b32_e32 v52, 0
	ds_read_b128 v[36:39], v52 offset:128
	ds_read_b128 v[40:43], v52 offset:144
	;; [unrolled: 1-line block ×4, first 2 shown]
	s_waitcnt lgkmcnt(3)
	v_fmac_f32_e32 v119, v36, v35
	v_fmac_f32_e32 v119, v37, v33
	v_fmac_f32_e32 v119, v38, v34
	v_fmac_f32_e32 v119, v39, v31
	s_waitcnt lgkmcnt(2)
	v_fmac_f32_e32 v119, v40, v32
	v_fmac_f32_e32 v119, v41, v29
	v_fmac_f32_e32 v119, v42, v30
	v_fmac_f32_e32 v119, v43, v27
	;; [unrolled: 5-line block ×3, first 2 shown]
	s_waitcnt lgkmcnt(0)
	v_fmac_f32_e32 v119, v48, v24
	ds_read_b128 v[24:27], v52 offset:192
	v_fmac_f32_e32 v119, v49, v21
	v_fmac_f32_e32 v119, v50, v22
	;; [unrolled: 1-line block ×3, first 2 shown]
	ds_read_b128 v[20:23], v52 offset:208
	s_waitcnt lgkmcnt(1)
	v_fmac_f32_e32 v119, v24, v19
	v_fmac_f32_e32 v119, v25, v17
	;; [unrolled: 1-line block ×4, first 2 shown]
	s_waitcnt lgkmcnt(0)
	v_pk_mul_f32 v[2:3], v[20:21], v[14:15]
	ds_read_b128 v[14:17], v52 offset:224
	v_add_f32_e32 v2, v119, v2
	v_add_f32_e32 v18, v2, v3
	v_pk_mul_f32 v[2:3], v[22:23], v[12:13]
	v_add_f32_e32 v2, v18, v2
	ds_read_b128 v[18:21], v52 offset:240
	v_add_f32_e32 v12, v2, v3
	s_waitcnt lgkmcnt(1)
	v_pk_mul_f32 v[2:3], v[14:15], v[10:11]
	v_add_f32_e32 v2, v12, v2
	v_add_f32_e32 v10, v2, v3
	v_pk_mul_f32 v[2:3], v[16:17], v[8:9]
	v_add_f32_e32 v2, v10, v2
	v_add_f32_e32 v8, v2, v3
	s_waitcnt lgkmcnt(0)
	v_pk_mul_f32 v[2:3], v[18:19], v[6:7]
	v_add_f32_e32 v2, v8, v2
	v_add_f32_e32 v6, v2, v3
	v_pk_mul_f32 v[2:3], v[20:21], v[4:5]
	v_add_f32_e32 v2, v6, v2
	v_add_f32_e32 v119, v2, v3
.LBB213_15:
	s_movk_i32 s4, 0x1fc0
	s_movk_i32 s5, 0x100
	s_mov_b32 s8, 64
	s_branch .LBB213_17
.LBB213_16:                             ;   in Loop: Header=BB213_17 Depth=1
	s_addk_i32 s4, 0x1000
	s_addk_i32 s5, 0x100
	s_add_i32 s8, s8, 64
	s_cmpk_eq_i32 s4, 0x6fc0
	s_cbranch_scc1 .LBB213_19
.LBB213_17:                             ; =>This Inner Loop Header: Depth=1
	s_cmp_le_i32 s33, s8
	s_cbranch_scc1 .LBB213_16
; %bb.18:                               ;   in Loop: Header=BB213_17 Depth=1
	s_add_i32 s9, s4, 0xfffff040
	s_cmp_lt_i32 s9, s10
	s_cselect_b32 s12, s9, s11
	s_ashr_i32 s13, s12, 31
	s_lshl_b64 s[12:13], s[12:13], 1
	s_add_i32 s9, s4, 0xfffff080
	s_cmp_lt_i32 s9, s10
	v_add_co_u32_e32 v4, vcc, s12, v0
	s_cselect_b32 s12, s9, s11
	v_mov_b32_e32 v2, s13
	s_ashr_i32 s13, s12, 31
	s_lshl_b64 s[12:13], s[12:13], 1
	s_add_i32 s9, s4, 0xfffff0c0
	v_addc_co_u32_e32 v5, vcc, v1, v2, vcc
	s_cmp_lt_i32 s9, s10
	v_add_co_u32_e32 v2, vcc, s12, v0
	s_cselect_b32 s12, s9, s11
	v_mov_b32_e32 v3, s13
	s_ashr_i32 s13, s12, 31
	s_lshl_b64 s[12:13], s[12:13], 1
	s_add_i32 s9, s4, 0xfffff100
	v_addc_co_u32_e32 v3, vcc, v1, v3, vcc
	;; [unrolled: 8-line block ×21, first 2 shown]
	s_cmp_lt_i32 s9, s10
	global_load_ushort v120, v[4:5], off
	global_load_ushort v122, v[6:7], off
	;; [unrolled: 1-line block ×4, first 2 shown]
	v_add_co_u32_e32 v44, vcc, s12, v0
	s_cselect_b32 s12, s9, s11
	v_mov_b32_e32 v45, s13
	s_ashr_i32 s13, s12, 31
	s_lshl_b64 s[12:13], s[12:13], 1
	s_add_i32 s9, s4, 0xfffff600
	v_addc_co_u32_e32 v45, vcc, v1, v45, vcc
	s_cmp_lt_i32 s9, s10
	v_add_co_u32_e32 v46, vcc, s12, v0
	s_cselect_b32 s12, s9, s11
	v_mov_b32_e32 v47, s13
	s_ashr_i32 s13, s12, 31
	s_lshl_b64 s[12:13], s[12:13], 1
	s_add_i32 s9, s4, 0xfffff640
	v_addc_co_u32_e32 v47, vcc, v1, v47, vcc
	s_cmp_lt_i32 s9, s10
	;; [unrolled: 8-line block ×8, first 2 shown]
	global_load_ushort v121, v[2:3], off
	v_add_co_u32_e32 v60, vcc, s12, v0
	s_cselect_b32 s12, s9, s11
	v_mov_b32_e32 v61, s13
	s_ashr_i32 s13, s12, 31
	s_lshl_b64 s[12:13], s[12:13], 1
	s_add_i32 s9, s4, 0xfffff800
	v_addc_co_u32_e32 v61, vcc, v1, v61, vcc
	s_cmp_lt_i32 s9, s10
	v_add_co_u32_e32 v62, vcc, s12, v0
	s_cselect_b32 s12, s9, s11
	global_load_ushort v125, v[12:13], off
	global_load_ushort v126, v[14:15], off
	v_mov_b32_e32 v63, s13
	s_ashr_i32 s13, s12, 31
	global_load_ushort v127, v[16:17], off
	global_load_ushort v128, v[18:19], off
	;; [unrolled: 1-line block ×3, first 2 shown]
	s_lshl_b64 s[12:13], s[12:13], 1
	s_add_i32 s9, s4, 0xfffff840
	v_addc_co_u32_e32 v63, vcc, v1, v63, vcc
	s_cmp_lt_i32 s9, s10
	v_add_co_u32_e32 v64, vcc, s12, v0
	s_cselect_b32 s12, s9, s11
	v_mov_b32_e32 v65, s13
	s_ashr_i32 s13, s12, 31
	s_lshl_b64 s[12:13], s[12:13], 1
	s_add_i32 s9, s4, 0xfffff880
	v_addc_co_u32_e32 v65, vcc, v1, v65, vcc
	s_cmp_lt_i32 s9, s10
	v_add_co_u32_e32 v66, vcc, s12, v0
	s_cselect_b32 s12, s9, s11
	v_mov_b32_e32 v67, s13
	s_ashr_i32 s13, s12, 31
	global_load_ushort v130, v[22:23], off
	global_load_ushort v131, v[24:25], off
	s_lshl_b64 s[12:13], s[12:13], 1
	s_add_i32 s9, s4, 0xfffff8c0
	v_addc_co_u32_e32 v67, vcc, v1, v67, vcc
	s_cmp_lt_i32 s9, s10
	global_load_ushort v132, v[26:27], off
	global_load_ushort v133, v[28:29], off
	v_add_co_u32_e32 v68, vcc, s12, v0
	s_cselect_b32 s12, s9, s11
	v_mov_b32_e32 v69, s13
	s_ashr_i32 s13, s12, 31
	s_lshl_b64 s[12:13], s[12:13], 1
	s_add_i32 s9, s4, 0xfffff900
	v_addc_co_u32_e32 v69, vcc, v1, v69, vcc
	s_cmp_lt_i32 s9, s10
	v_add_co_u32_e32 v70, vcc, s12, v0
	s_cselect_b32 s12, s9, s11
	v_mov_b32_e32 v71, s13
	s_ashr_i32 s13, s12, 31
	global_load_ushort v134, v[30:31], off
	global_load_ushort v135, v[32:33], off
	s_lshl_b64 s[12:13], s[12:13], 1
	s_add_i32 s9, s4, 0xfffff940
	v_addc_co_u32_e32 v71, vcc, v1, v71, vcc
	s_cmp_lt_i32 s9, s10
	v_add_co_u32_e32 v72, vcc, s12, v0
	s_cselect_b32 s12, s9, s11
	v_mov_b32_e32 v73, s13
	s_ashr_i32 s13, s12, 31
	s_lshl_b64 s[12:13], s[12:13], 1
	s_add_i32 s9, s4, 0xfffff980
	global_load_ushort v30, v[34:35], off
	global_load_ushort v31, v[36:37], off
	;; [unrolled: 1-line block ×4, first 2 shown]
	v_addc_co_u32_e32 v73, vcc, v1, v73, vcc
	s_cmp_lt_i32 s9, s10
	v_add_co_u32_e32 v74, vcc, s12, v0
	s_cselect_b32 s12, s9, s11
	v_mov_b32_e32 v75, s13
	s_ashr_i32 s13, s12, 31
	s_lshl_b64 s[12:13], s[12:13], 1
	s_add_i32 s9, s4, 0xfffff9c0
	v_addc_co_u32_e32 v75, vcc, v1, v75, vcc
	s_cmp_lt_i32 s9, s10
	v_add_co_u32_e32 v76, vcc, s12, v0
	s_cselect_b32 s12, s9, s11
	v_mov_b32_e32 v77, s13
	s_ashr_i32 s13, s12, 31
	s_lshl_b64 s[12:13], s[12:13], 1
	s_add_i32 s9, s4, 0xfffffa00
	v_addc_co_u32_e32 v77, vcc, v1, v77, vcc
	s_cmp_lt_i32 s9, s10
	v_add_co_u32_e32 v78, vcc, s12, v0
	s_cselect_b32 s12, s9, s11
	global_load_ushort v34, v[42:43], off
	global_load_ushort v35, v[44:45], off
	v_mov_b32_e32 v79, s13
	s_ashr_i32 s13, s12, 31
	s_lshl_b64 s[12:13], s[12:13], 1
	s_add_i32 s9, s4, 0xfffffa40
	v_addc_co_u32_e32 v79, vcc, v1, v79, vcc
	s_cmp_lt_i32 s9, s10
	v_add_co_u32_e32 v80, vcc, s12, v0
	s_cselect_b32 s12, s9, s11
	v_mov_b32_e32 v81, s13
	s_ashr_i32 s13, s12, 31
	global_load_ushort v38, v[46:47], off
	s_lshl_b64 s[12:13], s[12:13], 1
	s_add_i32 s9, s4, 0xfffffa80
	v_mov_b32_e32 v37, s5
	v_addc_co_u32_e32 v81, vcc, v1, v81, vcc
	s_cmp_lt_i32 s9, s10
	ds_read_b128 v[14:17], v37
	ds_read_b128 v[18:21], v37 offset:16
	global_load_ushort v39, v[48:49], off
	v_add_co_u32_e32 v82, vcc, s12, v0
	s_cselect_b32 s12, s9, s11
	v_mov_b32_e32 v83, s13
	s_ashr_i32 s13, s12, 31
	s_lshl_b64 s[12:13], s[12:13], 1
	s_add_i32 s9, s4, 0xfffffac0
	v_addc_co_u32_e32 v83, vcc, v1, v83, vcc
	s_cmp_lt_i32 s9, s10
	s_waitcnt vmcnt(23)
	v_lshlrev_b32_e32 v36, 16, v120
	v_add_co_u32_e32 v84, vcc, s12, v0
	s_cselect_b32 s12, s9, s11
	ds_read_b128 v[22:25], v37 offset:32
	ds_read_b128 v[26:29], v37 offset:48
	s_waitcnt lgkmcnt(3)
	v_fmac_f32_e32 v119, v14, v36
	global_load_ushort v36, v[50:51], off
	global_load_ushort v40, v[52:53], off
	;; [unrolled: 1-line block ×6, first 2 shown]
	v_mov_b32_e32 v85, s13
	s_ashr_i32 s13, s12, 31
	s_lshl_b64 s[12:13], s[12:13], 1
	s_add_i32 s9, s4, 0xfffffb00
	v_addc_co_u32_e32 v85, vcc, v1, v85, vcc
	s_cmp_lt_i32 s9, s10
	v_add_co_u32_e32 v86, vcc, s12, v0
	s_cselect_b32 s12, s9, s11
	v_mov_b32_e32 v87, s13
	s_ashr_i32 s13, s12, 31
	s_lshl_b64 s[12:13], s[12:13], 1
	s_add_i32 s9, s4, 0xfffffb40
	v_addc_co_u32_e32 v87, vcc, v1, v87, vcc
	s_cmp_lt_i32 s9, s10
	v_add_co_u32_e32 v88, vcc, s12, v0
	s_cselect_b32 s12, s9, s11
	v_mov_b32_e32 v89, s13
	s_ashr_i32 s13, s12, 31
	s_lshl_b64 s[12:13], s[12:13], 1
	s_add_i32 s9, s4, 0xfffffb80
	v_addc_co_u32_e32 v89, vcc, v1, v89, vcc
	s_cmp_lt_i32 s9, s10
	v_add_co_u32_e32 v90, vcc, s12, v0
	s_cselect_b32 s12, s9, s11
	v_mov_b32_e32 v91, s13
	s_ashr_i32 s13, s12, 31
	s_lshl_b64 s[12:13], s[12:13], 1
	s_add_i32 s9, s4, 0xfffffbc0
	v_addc_co_u32_e32 v91, vcc, v1, v91, vcc
	s_cmp_lt_i32 s9, s10
	v_add_co_u32_e32 v92, vcc, s12, v0
	s_cselect_b32 s12, s9, s11
	v_mov_b32_e32 v93, s13
	s_ashr_i32 s13, s12, 31
	s_lshl_b64 s[12:13], s[12:13], 1
	s_add_i32 s9, s4, 0xfffffc00
	v_addc_co_u32_e32 v93, vcc, v1, v93, vcc
	s_cmp_lt_i32 s9, s10
	v_add_co_u32_e32 v94, vcc, s12, v0
	s_cselect_b32 s12, s9, s11
	v_mov_b32_e32 v95, s13
	s_ashr_i32 s13, s12, 31
	s_lshl_b64 s[12:13], s[12:13], 1
	s_add_i32 s9, s4, 0xfffffc40
	v_addc_co_u32_e32 v95, vcc, v1, v95, vcc
	s_cmp_lt_i32 s9, s10
	v_add_co_u32_e32 v96, vcc, s12, v0
	s_cselect_b32 s12, s9, s11
	v_mov_b32_e32 v97, s13
	s_ashr_i32 s13, s12, 31
	s_lshl_b64 s[12:13], s[12:13], 1
	s_add_i32 s9, s4, 0xfffffc80
	v_addc_co_u32_e32 v97, vcc, v1, v97, vcc
	s_cmp_lt_i32 s9, s10
	v_add_co_u32_e32 v98, vcc, s12, v0
	s_cselect_b32 s12, s9, s11
	v_mov_b32_e32 v99, s13
	s_ashr_i32 s13, s12, 31
	s_lshl_b64 s[12:13], s[12:13], 1
	s_add_i32 s9, s4, 0xfffffcc0
	v_addc_co_u32_e32 v99, vcc, v1, v99, vcc
	s_cmp_lt_i32 s9, s10
	s_waitcnt vmcnt(25)
	v_lshlrev_b32_e32 v14, 16, v121
	v_add_co_u32_e32 v100, vcc, s12, v0
	s_cselect_b32 s12, s9, s11
	v_fmac_f32_e32 v119, v15, v14
	v_lshlrev_b32_e32 v14, 16, v122
	v_mov_b32_e32 v101, s13
	s_ashr_i32 s13, s12, 31
	v_fmac_f32_e32 v119, v16, v14
	v_lshlrev_b32_e32 v14, 16, v123
	s_lshl_b64 s[12:13], s[12:13], 1
	s_add_i32 s9, s4, 0xfffffd00
	v_fmac_f32_e32 v119, v17, v14
	v_lshlrev_b32_e32 v14, 16, v124
	v_addc_co_u32_e32 v101, vcc, v1, v101, vcc
	s_cmp_lt_i32 s9, s10
	s_waitcnt lgkmcnt(2)
	v_fmac_f32_e32 v119, v18, v14
	s_waitcnt vmcnt(24)
	v_lshlrev_b32_e32 v14, 16, v125
	v_add_co_u32_e32 v102, vcc, s12, v0
	s_cselect_b32 s12, s9, s11
	v_fmac_f32_e32 v119, v19, v14
	s_waitcnt vmcnt(23)
	v_lshlrev_b32_e32 v14, 16, v126
	v_mov_b32_e32 v103, s13
	s_ashr_i32 s13, s12, 31
	v_fmac_f32_e32 v119, v20, v14
	s_waitcnt vmcnt(22)
	v_lshlrev_b32_e32 v14, 16, v127
	s_lshl_b64 s[12:13], s[12:13], 1
	s_add_i32 s9, s4, 0xfffffd40
	v_fmac_f32_e32 v119, v21, v14
	s_waitcnt vmcnt(21)
	v_lshlrev_b32_e32 v14, 16, v128
	v_addc_co_u32_e32 v103, vcc, v1, v103, vcc
	s_cmp_lt_i32 s9, s10
	s_waitcnt lgkmcnt(1)
	v_fmac_f32_e32 v119, v22, v14
	global_load_ushort v22, v[62:63], off
	v_add_co_u32_e32 v104, vcc, s12, v0
	s_cselect_b32 s12, s9, s11
	v_mov_b32_e32 v105, s13
	s_ashr_i32 s13, s12, 31
	s_lshl_b64 s[12:13], s[12:13], 1
	s_add_i32 s9, s4, 0xfffffd80
	s_waitcnt vmcnt(21)
	v_lshlrev_b32_e32 v14, 16, v129
	v_addc_co_u32_e32 v105, vcc, v1, v105, vcc
	s_cmp_lt_i32 s9, s10
	v_fmac_f32_e32 v119, v23, v14
	global_load_ushort v23, v[64:65], off
	v_add_co_u32_e32 v106, vcc, s12, v0
	s_cselect_b32 s12, s9, s11
	s_waitcnt vmcnt(21)
	v_lshlrev_b32_e32 v14, 16, v130
	global_load_ushort v45, v[66:67], off
	v_mov_b32_e32 v107, s13
	s_ashr_i32 s13, s12, 31
	v_fmac_f32_e32 v119, v24, v14
	global_load_ushort v24, v[68:69], off
	s_waitcnt vmcnt(22)
	v_lshlrev_b32_e32 v14, 16, v131
	s_lshl_b64 s[12:13], s[12:13], 1
	s_add_i32 s9, s4, 0xfffffdc0
	v_fmac_f32_e32 v119, v25, v14
	global_load_ushort v25, v[70:71], off
	global_load_ushort v46, v[72:73], off
	v_addc_co_u32_e32 v107, vcc, v1, v107, vcc
	s_cmp_lt_i32 s9, s10
	s_waitcnt vmcnt(23)
	v_lshlrev_b32_e32 v14, 16, v132
	v_add_co_u32_e32 v110, vcc, s12, v0
	s_cselect_b32 s12, s9, s11
	s_waitcnt lgkmcnt(0)
	v_fmac_f32_e32 v119, v26, v14
	global_load_ushort v26, v[74:75], off
	global_load_ushort v47, v[76:77], off
	v_mov_b32_e32 v108, s13
	s_ashr_i32 s13, s12, 31
	s_waitcnt vmcnt(24)
	v_lshlrev_b32_e32 v14, 16, v133
	s_lshl_b64 s[12:13], s[12:13], 1
	s_add_i32 s9, s4, 0xfffffe00
	v_fmac_f32_e32 v119, v27, v14
	global_load_ushort v27, v[78:79], off
	v_addc_co_u32_e32 v111, vcc, v1, v108, vcc
	s_cmp_lt_i32 s9, s10
	v_add_co_u32_e32 v108, vcc, s12, v0
	s_cselect_b32 s12, s9, s11
	s_waitcnt vmcnt(24)
	v_lshlrev_b32_e32 v14, 16, v134
	v_mov_b32_e32 v109, s13
	s_ashr_i32 s13, s12, 31
	v_fmac_f32_e32 v119, v28, v14
	global_load_ushort v28, v[80:81], off
	s_waitcnt vmcnt(24)
	v_lshlrev_b32_e32 v14, 16, v135
	s_lshl_b64 s[12:13], s[12:13], 1
	s_add_i32 s9, s4, 0xfffffe40
	v_fmac_f32_e32 v119, v29, v14
	ds_read_b128 v[14:17], v37 offset:64
	ds_read_b128 v[18:21], v37 offset:80
	v_addc_co_u32_e32 v109, vcc, v1, v109, vcc
	s_cmp_lt_i32 s9, s10
	global_load_ushort v48, v[82:83], off
	global_load_ushort v29, v[84:85], off
	;; [unrolled: 1-line block ×4, first 2 shown]
	v_add_co_u32_e32 v114, vcc, s12, v0
	s_cselect_b32 s12, s9, s11
	v_mov_b32_e32 v112, s13
	s_ashr_i32 s13, s12, 31
	s_lshl_b64 s[12:13], s[12:13], 1
	s_add_i32 s9, s4, 0xfffffe80
	s_waitcnt vmcnt(27)
	v_lshlrev_b32_e32 v30, 16, v30
	v_addc_co_u32_e32 v115, vcc, v1, v112, vcc
	s_cmp_lt_i32 s9, s10
	s_waitcnt lgkmcnt(1)
	v_fmac_f32_e32 v119, v14, v30
	global_load_ushort v30, v[90:91], off
	v_add_co_u32_e32 v112, vcc, s12, v0
	s_cselect_b32 s12, s9, s11
	s_waitcnt vmcnt(27)
	v_lshlrev_b32_e32 v14, 16, v31
	global_load_ushort v31, v[92:93], off
	global_load_ushort v51, v[94:95], off
	v_mov_b32_e32 v113, s13
	s_ashr_i32 s13, s12, 31
	s_lshl_b64 s[12:13], s[12:13], 1
	s_add_i32 s9, s4, 0xfffffec0
	v_addc_co_u32_e32 v113, vcc, v1, v113, vcc
	s_cmp_lt_i32 s9, s10
	v_add_co_u32_e32 v116, vcc, s12, v0
	s_cselect_b32 s12, s9, s11
	v_mov_b32_e32 v117, s13
	s_ashr_i32 s13, s12, 31
	v_fmac_f32_e32 v119, v15, v14
	s_waitcnt vmcnt(28)
	v_lshlrev_b32_e32 v14, 16, v32
	global_load_ushort v32, v[96:97], off
	s_lshl_b64 s[12:13], s[12:13], 1
	s_add_i32 s9, s4, 0xffffff00
	v_fmac_f32_e32 v119, v16, v14
	s_waitcnt vmcnt(28)
	v_lshlrev_b32_e32 v14, 16, v33
	global_load_ushort v33, v[98:99], off
	v_addc_co_u32_e32 v117, vcc, v1, v117, vcc
	s_cmp_lt_i32 s9, s10
	v_fmac_f32_e32 v119, v17, v14
	s_waitcnt vmcnt(28)
	v_lshlrev_b32_e32 v14, 16, v34
	global_load_ushort v34, v[100:101], off
	global_load_ushort v52, v[102:103], off
	v_add_co_u32_e32 v2, vcc, s12, v0
	s_cselect_b32 s12, s9, s11
	v_mov_b32_e32 v4, s13
	s_ashr_i32 s13, s12, 31
	s_lshl_b64 s[12:13], s[12:13], 1
	s_add_i32 s9, s4, 0xffffff40
	s_waitcnt lgkmcnt(0)
	v_fmac_f32_e32 v119, v18, v14
	s_waitcnt vmcnt(29)
	v_lshlrev_b32_e32 v14, 16, v35
	global_load_ushort v35, v[104:105], off
	global_load_ushort v53, v[106:107], off
	;; [unrolled: 1-line block ×3, first 2 shown]
	v_addc_co_u32_e32 v3, vcc, v1, v4, vcc
	s_cmp_lt_i32 s9, s10
	v_add_co_u32_e32 v4, vcc, s12, v0
	s_cselect_b32 s12, s9, s11
	v_mov_b32_e32 v5, s13
	s_ashr_i32 s13, s12, 31
	v_fmac_f32_e32 v119, v19, v14
	s_waitcnt vmcnt(31)
	v_lshlrev_b32_e32 v14, 16, v38
	global_load_ushort v38, v[108:109], off
	global_load_ushort v55, v[114:115], off
	s_lshl_b64 s[12:13], s[12:13], 1
	s_add_i32 s9, s4, 0xffffff80
	v_addc_co_u32_e32 v5, vcc, v1, v5, vcc
	s_cmp_lt_i32 s9, s10
	v_fmac_f32_e32 v119, v20, v14
	s_waitcnt vmcnt(32)
	v_lshlrev_b32_e32 v14, 16, v39
	v_add_co_u32_e32 v6, vcc, s12, v0
	s_cselect_b32 s12, s9, s11
	v_fmac_f32_e32 v119, v21, v14
	ds_read_b128 v[14:17], v37 offset:96
	v_mov_b32_e32 v7, s13
	s_ashr_i32 s13, s12, 31
	s_lshl_b64 s[12:13], s[12:13], 1
	s_sub_i32 s9, s4, 64
	v_addc_co_u32_e32 v7, vcc, v1, v7, vcc
	s_cmp_lt_i32 s9, s10
	global_load_ushort v39, v[112:113], off
	global_load_ushort v56, v[116:117], off
	v_add_co_u32_e32 v10, vcc, s12, v0
	s_cselect_b32 s12, s9, s11
	s_waitcnt vmcnt(33)
	v_lshlrev_b32_e32 v36, 16, v36
	v_mov_b32_e32 v8, s13
	s_ashr_i32 s13, s12, 31
	s_waitcnt lgkmcnt(0)
	v_fmac_f32_e32 v119, v14, v36
	s_waitcnt vmcnt(32)
	v_lshlrev_b32_e32 v14, 16, v40
	s_lshl_b64 s[12:13], s[12:13], 1
	ds_read_b128 v[18:21], v37 offset:112
	v_fmac_f32_e32 v119, v15, v14
	global_load_ushort v14, v[2:3], off
	global_load_ushort v15, v[4:5], off
	v_addc_co_u32_e32 v11, vcc, v1, v8, vcc
	s_cmp_lt_i32 s4, s10
	v_add_co_u32_e32 v8, vcc, s12, v0
	s_cselect_b32 s12, s4, s11
	s_waitcnt vmcnt(33)
	v_lshlrev_b32_e32 v2, 16, v41
	v_mov_b32_e32 v9, s13
	s_ashr_i32 s13, s12, 31
	v_fmac_f32_e32 v119, v16, v2
	global_load_ushort v16, v[6:7], off
	global_load_ushort v36, v[10:11], off
	v_addc_co_u32_e32 v9, vcc, v1, v9, vcc
	s_lshl_b64 s[12:13], s[12:13], 1
	s_waitcnt vmcnt(34)
	v_lshlrev_b32_e32 v2, 16, v42
	v_mov_b32_e32 v13, s13
	v_add_co_u32_e32 v12, vcc, s12, v0
	v_fmac_f32_e32 v119, v17, v2
	s_waitcnt vmcnt(33)
	v_lshlrev_b32_e32 v2, 16, v43
	v_addc_co_u32_e32 v13, vcc, v1, v13, vcc
	s_waitcnt lgkmcnt(0)
	v_fmac_f32_e32 v119, v18, v2
	global_load_ushort v17, v[8:9], off
	global_load_ushort v18, v[12:13], off
	s_waitcnt vmcnt(34)
	v_lshlrev_b32_e32 v2, 16, v44
	v_fmac_f32_e32 v119, v19, v2
	s_waitcnt vmcnt(33)
	v_lshlrev_b32_e32 v2, 16, v22
	v_fmac_f32_e32 v119, v20, v2
	ds_read_b128 v[2:5], v37 offset:128
	s_waitcnt vmcnt(32)
	v_lshlrev_b32_e32 v6, 16, v23
	v_fmac_f32_e32 v119, v21, v6
	ds_read_b128 v[6:9], v37 offset:144
	s_waitcnt vmcnt(31)
	v_lshlrev_b32_e32 v10, 16, v45
	s_waitcnt lgkmcnt(1)
	v_fmac_f32_e32 v119, v2, v10
	s_waitcnt vmcnt(30)
	v_lshlrev_b32_e32 v2, 16, v24
	v_fmac_f32_e32 v119, v3, v2
	s_waitcnt vmcnt(29)
	v_lshlrev_b32_e32 v2, 16, v25
	v_fmac_f32_e32 v119, v4, v2
	s_waitcnt vmcnt(28)
	v_lshlrev_b32_e32 v2, 16, v46
	v_fmac_f32_e32 v119, v5, v2
	s_waitcnt vmcnt(27)
	v_lshlrev_b32_e32 v2, 16, v26
	s_waitcnt lgkmcnt(0)
	v_fmac_f32_e32 v119, v6, v2
	s_waitcnt vmcnt(26)
	v_lshlrev_b32_e32 v2, 16, v47
	v_fmac_f32_e32 v119, v7, v2
	s_waitcnt vmcnt(25)
	v_lshlrev_b32_e32 v2, 16, v27
	v_fmac_f32_e32 v119, v8, v2
	ds_read_b128 v[2:5], v37 offset:160
	s_waitcnt vmcnt(24)
	v_lshlrev_b32_e32 v6, 16, v28
	v_fmac_f32_e32 v119, v9, v6
	ds_read_b128 v[6:9], v37 offset:176
	s_waitcnt vmcnt(23)
	v_lshlrev_b32_e32 v10, 16, v48
	s_waitcnt lgkmcnt(1)
	v_fmac_f32_e32 v119, v2, v10
	s_waitcnt vmcnt(22)
	v_lshlrev_b32_e32 v2, 16, v29
	v_fmac_f32_e32 v119, v3, v2
	s_waitcnt vmcnt(21)
	v_lshlrev_b32_e32 v2, 16, v49
	;; [unrolled: 3-line block ×4, first 2 shown]
	s_waitcnt lgkmcnt(0)
	v_fmac_f32_e32 v119, v6, v2
	s_waitcnt vmcnt(18)
	v_lshlrev_b32_e32 v2, 16, v31
	v_fmac_f32_e32 v119, v7, v2
	s_waitcnt vmcnt(17)
	v_lshlrev_b32_e32 v2, 16, v51
	v_fmac_f32_e32 v119, v8, v2
	ds_read_b128 v[2:5], v37 offset:192
	s_waitcnt vmcnt(16)
	v_lshlrev_b32_e32 v6, 16, v32
	v_fmac_f32_e32 v119, v9, v6
	ds_read_b128 v[6:9], v37 offset:208
	s_waitcnt vmcnt(15)
	v_lshlrev_b32_e32 v10, 16, v33
	s_waitcnt lgkmcnt(1)
	v_fmac_f32_e32 v119, v2, v10
	s_waitcnt vmcnt(14)
	v_lshlrev_b32_e32 v2, 16, v34
	v_fmac_f32_e32 v119, v3, v2
	s_waitcnt vmcnt(13)
	v_lshlrev_b32_e32 v2, 16, v52
	;; [unrolled: 3-line block ×4, first 2 shown]
	v_lshlrev_b32_e32 v2, 16, v53
	s_waitcnt lgkmcnt(0)
	v_pk_mul_f32 v[2:3], v[6:7], v[2:3]
	v_add_f32_e32 v2, v119, v2
	v_add_f32_e32 v4, v2, v3
	s_waitcnt vmcnt(8)
	v_lshlrev_b32_e32 v3, 16, v55
	v_lshlrev_b32_e32 v2, 16, v38
	v_pk_mul_f32 v[6:7], v[8:9], v[2:3]
	v_add_f32_e32 v6, v4, v6
	ds_read_b128 v[2:5], v37 offset:224
	s_waitcnt vmcnt(6)
	v_lshlrev_b32_e32 v11, 16, v56
	v_lshlrev_b32_e32 v10, 16, v39
	v_add_f32_e32 v12, v6, v7
	ds_read_b128 v[6:9], v37 offset:240
	s_waitcnt lgkmcnt(1)
	v_pk_mul_f32 v[2:3], v[2:3], v[10:11]
	v_add_f32_e32 v2, v12, v2
	v_add_f32_e32 v10, v2, v3
	s_waitcnt vmcnt(4)
	v_lshlrev_b32_e32 v3, 16, v15
	v_lshlrev_b32_e32 v2, 16, v14
	v_pk_mul_f32 v[2:3], v[4:5], v[2:3]
	v_add_f32_e32 v2, v10, v2
	v_add_f32_e32 v4, v2, v3
	s_waitcnt vmcnt(2)
	v_lshlrev_b32_e32 v3, 16, v36
	v_lshlrev_b32_e32 v2, 16, v16
	s_waitcnt lgkmcnt(0)
	v_pk_mul_f32 v[2:3], v[6:7], v[2:3]
	v_add_f32_e32 v2, v4, v2
	v_add_f32_e32 v4, v2, v3
	s_waitcnt vmcnt(0)
	v_lshlrev_b32_e32 v3, 16, v18
	v_lshlrev_b32_e32 v2, 16, v17
	v_pk_mul_f32 v[2:3], v[8:9], v[2:3]
	v_add_f32_e32 v2, v4, v2
	v_add_f32_e32 v119, v2, v3
	s_branch .LBB213_16
.LBB213_19:
	v_mov_b32_e32 v0, 0
	ds_read_b32 v0, v0 offset:1536
	s_cmp_lg_u64 s[2:3], 0
	s_cbranch_scc0 .LBB213_28
; %bb.20:
	s_load_dword s4, s[2:3], 0x0
	s_waitcnt lgkmcnt(0)
	v_div_scale_f32 v1, s[2:3], s4, s4, 1.0
	v_rcp_f32_e32 v2, v1
	v_div_scale_f32 v3, vcc, 1.0, s4, 1.0
	v_fma_f32 v4, -v1, v2, 1.0
	v_fmac_f32_e32 v2, v4, v2
	v_mul_f32_e32 v4, v3, v2
	v_fma_f32 v5, -v1, v4, v3
	v_fmac_f32_e32 v4, v5, v2
	v_fma_f32 v1, -v1, v4, v3
	v_div_fmas_f32 v1, v1, v2, v4
	v_div_fixup_f32 v1, v1, s4, 1.0
	s_andn2_b64 vcc, exec, s[28:29]
	s_cbranch_vccnz .LBB213_22
.LBB213_21:
	s_add_u32 s2, s26, s30
	s_addc_u32 s3, s27, s31
	s_load_dword s24, s[2:3], 0x0
	s_mov_b32 s25, 0
.LBB213_22:
	s_waitcnt lgkmcnt(0)
	v_add_f32_e32 v0, 0x358637bd, v0
	v_div_scale_f32 v2, s[2:3], v0, v0, 1.0
	v_rcp_f32_e32 v3, v2
	v_div_scale_f32 v4, vcc, 1.0, v0, 1.0
	s_mov_b32 s2, 0x7f800000
	v_fma_f32 v5, -v2, v3, 1.0
	v_fmac_f32_e32 v3, v5, v3
	v_mul_f32_e32 v5, v4, v3
	v_fma_f32 v6, -v2, v5, v4
	v_fmac_f32_e32 v5, v6, v3
	v_fma_f32 v2, -v2, v5, v4
	v_div_fmas_f32 v2, v2, v3, v5
	v_div_fixup_f32 v0, v2, v0, 1.0
	v_mul_f32_e32 v0, v119, v0
	v_mul_f32_e32 v1, v0, v1
	v_and_b32_e32 v0, 0x7f800000, v1
	v_cmp_ne_u32_e32 vcc, s2, v0
                                        ; implicit-def: $vgpr0
	s_and_saveexec_b64 s[2:3], vcc
	s_xor_b64 s[2:3], exec, s[2:3]
; %bb.23:
	v_bfe_u32 v0, v1, 16, 1
	s_movk_i32 s4, 0x7fff
	v_add3_u32 v0, v1, v0, s4
                                        ; implicit-def: $vgpr1
; %bb.24:
	s_andn2_saveexec_b64 s[2:3], s[2:3]
; %bb.25:
	v_mov_b32_e32 v0, 0
	v_or_b32_e32 v2, 0x10000, v1
	v_cmp_eq_u32_sdwa vcc, v1, v0 src0_sel:WORD_0 src1_sel:DWORD
	v_cndmask_b32_e32 v0, v2, v1, vcc
; %bb.26:
	s_or_b64 exec, exec, s[2:3]
	s_mul_i32 s2, s7, s25
	s_mul_hi_u32 s3, s7, s24
	s_add_i32 s3, s3, s2
	s_mul_i32 s2, s7, s24
	s_lshl_b64 s[2:3], s[2:3], 7
	s_add_u32 s2, s0, s2
	s_mov_b32 s7, 0
	s_addc_u32 s3, s1, s3
	s_lshl_b64 s[0:1], s[6:7], 7
	s_add_u32 s0, s2, s0
	s_addc_u32 s1, s3, s1
	global_store_short_d16_hi v118, v0, s[0:1]
	s_endpgm
.LBB213_27:
	s_mov_b64 s[2:3], 0
	s_branch .LBB213_2
.LBB213_28:
	v_mov_b32_e32 v1, 1.0
	s_andn2_b64 vcc, exec, s[28:29]
	s_cbranch_vccz .LBB213_21
	s_branch .LBB213_22
	.section	.rodata,"a",@progbits
	.p2align	6, 0x0
	.amdhsa_kernel _Z35paged_attention_ll4mi_reduce_kernelI14__hip_bfloat16S0_Li64ELi64ELi256ELi6EEvPT0_PKfS4_PKT_PKiS9_iS4_
		.amdhsa_group_segment_fixed_size 1540
		.amdhsa_private_segment_fixed_size 0
		.amdhsa_kernarg_size 320
		.amdhsa_user_sgpr_count 6
		.amdhsa_user_sgpr_private_segment_buffer 1
		.amdhsa_user_sgpr_dispatch_ptr 0
		.amdhsa_user_sgpr_queue_ptr 0
		.amdhsa_user_sgpr_kernarg_segment_ptr 1
		.amdhsa_user_sgpr_dispatch_id 0
		.amdhsa_user_sgpr_flat_scratch_init 0
		.amdhsa_user_sgpr_kernarg_preload_length 0
		.amdhsa_user_sgpr_kernarg_preload_offset 0
		.amdhsa_user_sgpr_private_segment_size 0
		.amdhsa_uses_dynamic_stack 0
		.amdhsa_system_sgpr_private_segment_wavefront_offset 0
		.amdhsa_system_sgpr_workgroup_id_x 1
		.amdhsa_system_sgpr_workgroup_id_y 1
		.amdhsa_system_sgpr_workgroup_id_z 0
		.amdhsa_system_sgpr_workgroup_info 0
		.amdhsa_system_vgpr_workitem_id 0
		.amdhsa_next_free_vgpr 136
		.amdhsa_next_free_sgpr 41
		.amdhsa_accum_offset 136
		.amdhsa_reserve_vcc 1
		.amdhsa_reserve_flat_scratch 0
		.amdhsa_float_round_mode_32 0
		.amdhsa_float_round_mode_16_64 0
		.amdhsa_float_denorm_mode_32 3
		.amdhsa_float_denorm_mode_16_64 3
		.amdhsa_dx10_clamp 1
		.amdhsa_ieee_mode 1
		.amdhsa_fp16_overflow 0
		.amdhsa_tg_split 0
		.amdhsa_exception_fp_ieee_invalid_op 0
		.amdhsa_exception_fp_denorm_src 0
		.amdhsa_exception_fp_ieee_div_zero 0
		.amdhsa_exception_fp_ieee_overflow 0
		.amdhsa_exception_fp_ieee_underflow 0
		.amdhsa_exception_fp_ieee_inexact 0
		.amdhsa_exception_int_div_zero 0
	.end_amdhsa_kernel
	.section	.text._Z35paged_attention_ll4mi_reduce_kernelI14__hip_bfloat16S0_Li64ELi64ELi256ELi6EEvPT0_PKfS4_PKT_PKiS9_iS4_,"axG",@progbits,_Z35paged_attention_ll4mi_reduce_kernelI14__hip_bfloat16S0_Li64ELi64ELi256ELi6EEvPT0_PKfS4_PKT_PKiS9_iS4_,comdat
.Lfunc_end213:
	.size	_Z35paged_attention_ll4mi_reduce_kernelI14__hip_bfloat16S0_Li64ELi64ELi256ELi6EEvPT0_PKfS4_PKT_PKiS9_iS4_, .Lfunc_end213-_Z35paged_attention_ll4mi_reduce_kernelI14__hip_bfloat16S0_Li64ELi64ELi256ELi6EEvPT0_PKfS4_PKT_PKiS9_iS4_
                                        ; -- End function
	.section	.AMDGPU.csdata,"",@progbits
; Kernel info:
; codeLenInByte = 10108
; NumSgprs: 45
; NumVgprs: 136
; NumAgprs: 0
; TotalNumVgprs: 136
; ScratchSize: 0
; MemoryBound: 0
; FloatMode: 240
; IeeeMode: 1
; LDSByteSize: 1540 bytes/workgroup (compile time only)
; SGPRBlocks: 5
; VGPRBlocks: 16
; NumSGPRsForWavesPerEU: 45
; NumVGPRsForWavesPerEU: 136
; AccumOffset: 136
; Occupancy: 3
; WaveLimiterHint : 1
; COMPUTE_PGM_RSRC2:SCRATCH_EN: 0
; COMPUTE_PGM_RSRC2:USER_SGPR: 6
; COMPUTE_PGM_RSRC2:TRAP_HANDLER: 0
; COMPUTE_PGM_RSRC2:TGID_X_EN: 1
; COMPUTE_PGM_RSRC2:TGID_Y_EN: 1
; COMPUTE_PGM_RSRC2:TGID_Z_EN: 0
; COMPUTE_PGM_RSRC2:TIDIG_COMP_CNT: 0
; COMPUTE_PGM_RSRC3_GFX90A:ACCUM_OFFSET: 33
; COMPUTE_PGM_RSRC3_GFX90A:TG_SPLIT: 0
	.section	.text._Z35paged_attention_ll4mi_reduce_kernelI14__hip_bfloat16S0_Li64ELi64ELi256ELi7EEvPT0_PKfS4_PKT_PKiS9_iS4_,"axG",@progbits,_Z35paged_attention_ll4mi_reduce_kernelI14__hip_bfloat16S0_Li64ELi64ELi256ELi7EEvPT0_PKfS4_PKT_PKiS9_iS4_,comdat
	.protected	_Z35paged_attention_ll4mi_reduce_kernelI14__hip_bfloat16S0_Li64ELi64ELi256ELi7EEvPT0_PKfS4_PKT_PKiS9_iS4_ ; -- Begin function _Z35paged_attention_ll4mi_reduce_kernelI14__hip_bfloat16S0_Li64ELi64ELi256ELi7EEvPT0_PKfS4_PKT_PKiS9_iS4_
	.globl	_Z35paged_attention_ll4mi_reduce_kernelI14__hip_bfloat16S0_Li64ELi64ELi256ELi7EEvPT0_PKfS4_PKT_PKiS9_iS4_
	.p2align	8
	.type	_Z35paged_attention_ll4mi_reduce_kernelI14__hip_bfloat16S0_Li64ELi64ELi256ELi7EEvPT0_PKfS4_PKT_PKiS9_iS4_,@function
_Z35paged_attention_ll4mi_reduce_kernelI14__hip_bfloat16S0_Li64ELi64ELi256ELi7EEvPT0_PKfS4_PKT_PKiS9_iS4_: ; @_Z35paged_attention_ll4mi_reduce_kernelI14__hip_bfloat16S0_Li64ELi64ELi256ELi7EEvPT0_PKfS4_PKT_PKiS9_iS4_
; %bb.0:
	s_load_dwordx2 s[28:29], s[4:5], 0x28
	s_mov_b32 s18, s7
	s_mov_b64 s[0:1], 0
	s_waitcnt lgkmcnt(0)
	s_cmp_lg_u64 s[28:29], 0
	s_cselect_b64 s[30:31], -1, 0
	s_and_b64 vcc, exec, s[30:31]
	s_cbranch_vccz .LBB214_27
; %bb.1:
	s_add_i32 s2, s18, 1
	s_mov_b32 s3, 0
	s_lshl_b64 s[8:9], s[2:3], 2
	s_add_u32 s8, s28, s8
	s_mov_b32 s19, s3
	s_addc_u32 s9, s29, s9
	s_lshl_b64 s[2:3], s[18:19], 2
	s_add_u32 s2, s28, s2
	s_addc_u32 s3, s29, s3
	s_load_dword s7, s[8:9], 0x0
	s_load_dword s10, s[2:3], 0x0
	s_waitcnt lgkmcnt(0)
	s_sub_i32 s2, s7, s10
	s_cmp_eq_u32 s2, 1
	s_cselect_b64 s[2:3], -1, 0
	s_andn2_b64 vcc, exec, s[0:1]
	s_cbranch_vccnz .LBB214_3
.LBB214_2:
	s_mov_b32 s19, 0
	s_mov_b64 s[2:3], -1
.LBB214_3:
	s_andn2_b64 vcc, exec, s[2:3]
	s_cbranch_vccz .LBB214_5
; %bb.4:
	s_endpgm
.LBB214_5:
	s_load_dwordx4 s[20:23], s[4:5], 0x18
	s_load_dword s8, s[4:5], 0x30
	s_lshl_b64 s[34:35], s[18:19], 2
	v_cmp_lt_u32_e32 vcc, 63, v0
	s_waitcnt lgkmcnt(0)
	s_add_u32 s0, s22, s34
	s_addc_u32 s1, s23, s35
	s_load_dword s42, s[0:1], 0x0
	s_load_dword s7, s[4:5], 0x40
	s_mul_i32 s22, s6, s8
	s_mul_i32 s2, s18, s8
	s_waitcnt lgkmcnt(0)
	s_add_i32 s3, s42, 0xff
	s_ashr_i32 s0, s3, 31
	s_lshr_b32 s0, s0, 24
	s_add_i32 s3, s3, s0
	s_and_saveexec_b64 s[0:1], vcc
	s_xor_b64 s[0:1], exec, s[0:1]
	s_or_saveexec_b64 s[36:37], s[0:1]
	s_ashr_i32 s33, s3, 8
	v_mov_b32_e32 v1, s22
	s_mul_i32 s38, s2, s7
	s_xor_b64 exec, exec, s[36:37]
	s_cbranch_execz .LBB214_9
; %bb.6:
	s_add_i32 s0, s33, -1
	v_or_b32_e32 v3, 64, v0
	v_mov_b32_e32 v1, s0
	v_cmp_gt_u32_e64 s[12:13], s33, v3
	v_cndmask_b32_e64 v4, v1, v3, s[12:13]
	v_or_b32_e32 v3, 0x80, v0
	v_cmp_gt_u32_e64 s[10:11], s33, v3
	v_cndmask_b32_e64 v6, v1, v3, s[10:11]
	v_or_b32_e32 v3, 0xc0, v0
	s_load_dwordx4 s[24:27], s[4:5], 0x8
	v_cmp_gt_u32_e64 s[8:9], s33, v3
	v_cndmask_b32_e64 v8, v1, v3, s[8:9]
	v_or_b32_e32 v3, 0x100, v0
	v_cmp_gt_u32_e64 s[2:3], s33, v3
	s_mov_b32 s39, 0
	v_cndmask_b32_e64 v10, v1, v3, s[2:3]
	v_or_b32_e32 v3, 0x140, v0
	v_cmp_gt_u32_e64 s[0:1], s33, v3
	s_lshl_b64 s[40:41], s[38:39], 2
	s_mov_b32 s23, s39
	v_cmp_gt_u32_e64 s[14:15], s33, v0
	v_cndmask_b32_e64 v12, v1, v3, s[0:1]
	v_or_b32_e32 v3, 0x180, v0
	s_waitcnt lgkmcnt(0)
	s_add_u32 s16, s26, s40
	v_cndmask_b32_e64 v2, v1, v0, s[14:15]
	v_cmp_gt_u32_e32 vcc, s33, v3
	s_addc_u32 s17, s27, s41
	s_lshl_b64 s[26:27], s[22:23], 2
	v_cndmask_b32_e32 v14, v1, v3, vcc
	s_add_u32 s23, s16, s26
	v_ashrrev_i32_e32 v3, 31, v2
	s_addc_u32 s39, s17, s27
	v_lshlrev_b64 v[2:3], 2, v[2:3]
	v_mov_b32_e32 v1, s39
	v_add_co_u32_e64 v16, s[16:17], s23, v2
	v_ashrrev_i32_e32 v5, 31, v4
	v_addc_co_u32_e64 v17, s[16:17], v1, v3, s[16:17]
	v_lshlrev_b64 v[4:5], 2, v[4:5]
	v_add_co_u32_e64 v18, s[16:17], s23, v4
	v_ashrrev_i32_e32 v7, 31, v6
	v_addc_co_u32_e64 v19, s[16:17], v1, v5, s[16:17]
	v_lshlrev_b64 v[6:7], 2, v[6:7]
	;; [unrolled: 4-line block ×6, first 2 shown]
	v_add_co_u32_e64 v28, s[16:17], s23, v14
	v_addc_co_u32_e64 v29, s[16:17], v1, v15, s[16:17]
	global_load_dword v1, v[16:17], off
	global_load_dword v30, v[18:19], off
	;; [unrolled: 1-line block ×7, first 2 shown]
	v_mbcnt_lo_u32_b32 v16, -1, 0
	v_mbcnt_hi_u32_b32 v16, -1, v16
	v_and_b32_e32 v17, 64, v16
	v_add_u32_e32 v17, 64, v17
	v_xor_b32_e32 v19, 32, v16
	v_cmp_lt_i32_e64 s[16:17], v19, v17
	v_cndmask_b32_e64 v19, v16, v19, s[16:17]
	v_lshlrev_b32_e32 v19, 2, v19
	v_xor_b32_e32 v25, 1, v16
	s_waitcnt vmcnt(4)
	v_max3_f32 v18, v1, v30, v31
	s_waitcnt vmcnt(2)
	v_max3_f32 v18, v18, v32, v33
	;; [unrolled: 2-line block ×3, first 2 shown]
	ds_bpermute_b32 v20, v19, v18
	s_waitcnt lgkmcnt(0)
	v_max_f32_e32 v20, v20, v20
	v_max_f32_e32 v18, v18, v20
	v_xor_b32_e32 v20, 16, v16
	v_cmp_lt_i32_e64 s[16:17], v20, v17
	v_cndmask_b32_e64 v20, v16, v20, s[16:17]
	v_lshlrev_b32_e32 v20, 2, v20
	ds_bpermute_b32 v21, v20, v18
	s_waitcnt lgkmcnt(0)
	v_max_f32_e32 v21, v21, v21
	v_max_f32_e32 v18, v18, v21
	v_xor_b32_e32 v21, 8, v16
	v_cmp_lt_i32_e64 s[16:17], v21, v17
	v_cndmask_b32_e64 v21, v16, v21, s[16:17]
	v_lshlrev_b32_e32 v21, 2, v21
	;; [unrolled: 8-line block ×3, first 2 shown]
	ds_bpermute_b32 v23, v22, v18
	s_waitcnt lgkmcnt(0)
	v_max_f32_e32 v23, v23, v23
	v_max_f32_e32 v18, v18, v23
	v_xor_b32_e32 v23, 2, v16
	v_cmp_lt_i32_e64 s[16:17], v23, v17
	v_cndmask_b32_e64 v23, v16, v23, s[16:17]
	s_add_u32 s16, s24, s40
	s_addc_u32 s17, s25, s41
	s_add_u32 s23, s16, s26
	s_addc_u32 s24, s17, s27
	v_mov_b32_e32 v24, s24
	v_add_co_u32_e64 v2, s[16:17], s23, v2
	v_addc_co_u32_e64 v3, s[16:17], v24, v3, s[16:17]
	v_lshlrev_b32_e32 v23, 2, v23
	global_load_dword v24, v[2:3], off
	ds_bpermute_b32 v2, v23, v18
	v_mov_b32_e32 v3, s24
	s_mov_b32 s25, 0x42b17218
	s_waitcnt lgkmcnt(0)
	v_max_f32_e32 v2, v2, v2
	v_max_f32_e32 v18, v18, v2
	v_add_co_u32_e64 v2, s[16:17], s23, v4
	v_addc_co_u32_e64 v3, s[16:17], v3, v5, s[16:17]
	v_cmp_lt_i32_e64 s[16:17], v25, v17
	global_load_dword v26, v[2:3], off
	v_cndmask_b32_e64 v2, v16, v25, s[16:17]
	v_lshlrev_b32_e32 v16, 2, v2
	v_mov_b32_e32 v3, s24
	v_add_co_u32_e64 v2, s[16:17], s23, v6
	v_addc_co_u32_e64 v3, s[16:17], v3, v7, s[16:17]
	global_load_dword v25, v[2:3], off
	v_mov_b32_e32 v3, s24
	v_add_co_u32_e64 v2, s[16:17], s23, v8
	ds_bpermute_b32 v17, v16, v18
	v_addc_co_u32_e64 v3, s[16:17], v3, v9, s[16:17]
	global_load_dword v2, v[2:3], off
	v_mov_b32_e32 v5, s24
	v_add_co_u32_e64 v4, s[16:17], s23, v10
	v_addc_co_u32_e64 v5, s[16:17], v5, v11, s[16:17]
	s_waitcnt lgkmcnt(0)
	v_max_f32_e32 v10, v17, v17
	v_mov_b32_e32 v7, s24
	v_add_co_u32_e64 v6, s[16:17], s23, v12
	v_max_f32_e32 v10, v18, v10
	v_addc_co_u32_e64 v7, s[16:17], v7, v13, s[16:17]
	v_sub_f32_e32 v1, v1, v10
	v_add_co_u32_e64 v8, s[16:17], s23, v14
	s_mov_b32 s23, 0x3fb8aa3b
	v_mul_f32_e32 v3, 0x3fb8aa3b, v1
	v_fma_f32 v11, v1, s23, -v3
	v_rndne_f32_e32 v12, v3
	v_mov_b32_e32 v9, s24
	v_fmac_f32_e32 v11, 0x32a5705f, v1
	v_sub_f32_e32 v3, v3, v12
	v_addc_co_u32_e64 v9, s[16:17], v9, v15, s[16:17]
	v_add_f32_e32 v3, v3, v11
	v_cvt_i32_f32_e32 v11, v12
	global_load_dword v12, v[4:5], off
	global_load_dword v13, v[6:7], off
	;; [unrolled: 1-line block ×3, first 2 shown]
	v_sub_f32_e32 v5, v30, v10
	v_mul_f32_e32 v6, 0x3fb8aa3b, v5
	v_fma_f32 v7, v5, s23, -v6
	v_rndne_f32_e32 v8, v6
	v_exp_f32_e32 v3, v3
	v_fmac_f32_e32 v7, 0x32a5705f, v5
	v_sub_f32_e32 v6, v6, v8
	v_add_f32_e32 v6, v6, v7
	v_exp_f32_e32 v6, v6
	v_cvt_i32_f32_e32 v7, v8
	s_mov_b32 s24, 0xc2ce8ed0
	v_ldexp_f32 v3, v3, v11
	v_cmp_ngt_f32_e64 s[16:17], s24, v1
	v_cndmask_b32_e64 v3, 0, v3, s[16:17]
	v_mov_b32_e32 v4, 0x7f800000
	v_cmp_nlt_f32_e64 s[16:17], s25, v1
	v_cndmask_b32_e64 v1, v4, v3, s[16:17]
	v_ldexp_f32 v3, v6, v7
	v_sub_f32_e32 v6, v31, v10
	v_mul_f32_e32 v7, 0x3fb8aa3b, v6
	v_fma_f32 v8, v6, s23, -v7
	v_rndne_f32_e32 v9, v7
	v_fmac_f32_e32 v8, 0x32a5705f, v6
	v_sub_f32_e32 v7, v7, v9
	v_add_f32_e32 v7, v7, v8
	v_exp_f32_e32 v7, v7
	v_cvt_i32_f32_e32 v8, v9
	v_cndmask_b32_e64 v1, 0, v1, s[14:15]
	v_cmp_ngt_f32_e64 s[14:15], s24, v5
	v_cndmask_b32_e64 v3, 0, v3, s[14:15]
	v_cmp_nlt_f32_e64 s[14:15], s25, v5
	v_ldexp_f32 v5, v7, v8
	v_sub_f32_e32 v7, v32, v10
	v_mul_f32_e32 v8, 0x3fb8aa3b, v7
	v_fma_f32 v9, v7, s23, -v8
	v_rndne_f32_e32 v11, v8
	v_fmac_f32_e32 v9, 0x32a5705f, v7
	v_sub_f32_e32 v8, v8, v11
	v_add_f32_e32 v8, v8, v9
	v_exp_f32_e32 v8, v8
	v_cvt_i32_f32_e32 v9, v11
	v_cndmask_b32_e64 v3, v4, v3, s[14:15]
	v_cndmask_b32_e64 v3, 0, v3, s[12:13]
	v_cmp_ngt_f32_e64 s[12:13], s24, v6
	v_cndmask_b32_e64 v5, 0, v5, s[12:13]
	v_cmp_nlt_f32_e64 s[12:13], s25, v6
	v_ldexp_f32 v6, v8, v9
	v_sub_f32_e32 v8, v33, v10
	v_mul_f32_e32 v9, 0x3fb8aa3b, v8
	v_fma_f32 v11, v8, s23, -v9
	v_rndne_f32_e32 v15, v9
	v_fmac_f32_e32 v11, 0x32a5705f, v8
	v_sub_f32_e32 v9, v9, v15
	v_cndmask_b32_e64 v5, v4, v5, s[12:13]
	v_add_f32_e32 v9, v9, v11
	v_cndmask_b32_e64 v5, 0, v5, s[10:11]
	v_cmp_ngt_f32_e64 s[10:11], s24, v7
	v_exp_f32_e32 v9, v9
	v_cvt_i32_f32_e32 v11, v15
	v_cndmask_b32_e64 v6, 0, v6, s[10:11]
	v_cmp_nlt_f32_e64 s[10:11], s25, v7
	v_cndmask_b32_e64 v6, v4, v6, s[10:11]
	v_cndmask_b32_e64 v6, 0, v6, s[8:9]
	v_sub_f32_e32 v7, v34, v10
	s_waitcnt vmcnt(3)
	v_mul_f32_e32 v6, v2, v6
	v_ldexp_f32 v2, v9, v11
	v_mul_f32_e32 v9, 0x3fb8aa3b, v7
	v_fma_f32 v11, v7, s23, -v9
	v_rndne_f32_e32 v15, v9
	v_fmac_f32_e32 v11, 0x32a5705f, v7
	v_sub_f32_e32 v9, v9, v15
	v_add_f32_e32 v9, v9, v11
	v_cmp_ngt_f32_e64 s[8:9], s24, v8
	v_exp_f32_e32 v9, v9
	v_cvt_i32_f32_e32 v11, v15
	v_cndmask_b32_e64 v2, 0, v2, s[8:9]
	v_cmp_nlt_f32_e64 s[8:9], s25, v8
	v_cndmask_b32_e64 v2, v4, v2, s[8:9]
	v_cndmask_b32_e64 v2, 0, v2, s[2:3]
	s_waitcnt vmcnt(2)
	v_mul_f32_e32 v8, v12, v2
	v_ldexp_f32 v2, v9, v11
	v_sub_f32_e32 v9, v35, v10
	v_mul_f32_e32 v10, 0x3fb8aa3b, v9
	v_fma_f32 v11, v9, s23, -v10
	v_rndne_f32_e32 v12, v10
	v_fmac_f32_e32 v11, 0x32a5705f, v9
	v_sub_f32_e32 v10, v10, v12
	v_add_f32_e32 v10, v10, v11
	v_cmp_ngt_f32_e64 s[2:3], s24, v7
	v_exp_f32_e32 v10, v10
	v_cvt_i32_f32_e32 v11, v12
	v_cndmask_b32_e64 v2, 0, v2, s[2:3]
	v_cmp_nlt_f32_e64 s[2:3], s25, v7
	v_cndmask_b32_e64 v2, v4, v2, s[2:3]
	v_cndmask_b32_e64 v2, 0, v2, s[0:1]
	s_waitcnt vmcnt(1)
	v_mul_f32_e32 v7, v13, v2
	v_ldexp_f32 v2, v10, v11
	v_cmp_ngt_f32_e64 s[0:1], s24, v9
	v_mul_f32_e32 v1, v24, v1
	v_mul_f32_e32 v3, v26, v3
	v_cndmask_b32_e64 v2, 0, v2, s[0:1]
	v_cmp_nlt_f32_e64 s[0:1], s25, v9
	v_mul_f32_e32 v5, v25, v5
	v_cndmask_b32_e64 v2, v4, v2, s[0:1]
	v_add_f32_e32 v4, v1, v3
	v_add_f32_e32 v4, v4, v5
	;; [unrolled: 1-line block ×4, first 2 shown]
	v_cndmask_b32_e32 v2, 0, v2, vcc
	v_add_f32_e32 v4, v4, v7
	s_waitcnt vmcnt(0)
	v_fmac_f32_e32 v4, v14, v2
	ds_bpermute_b32 v9, v19, v4
	v_lshlrev_b32_e32 v11, 2, v0
	ds_write2st64_b32 v11, v1, v3 offset1:1
	v_mul_f32_e32 v10, v14, v2
	v_cmp_eq_u32_e32 vcc, 0, v0
	s_waitcnt lgkmcnt(1)
	v_add_f32_e32 v4, v4, v9
	ds_bpermute_b32 v9, v20, v4
	ds_write2st64_b32 v11, v5, v6 offset0:2 offset1:3
	ds_write2st64_b32 v11, v8, v7 offset0:4 offset1:5
	ds_write_b32 v11, v10 offset:1536
	s_waitcnt lgkmcnt(3)
	v_add_f32_e32 v4, v4, v9
	ds_bpermute_b32 v9, v21, v4
	s_waitcnt lgkmcnt(0)
	v_add_f32_e32 v4, v4, v9
	ds_bpermute_b32 v9, v22, v4
	;; [unrolled: 3-line block ×4, first 2 shown]
	s_and_saveexec_b64 s[0:1], vcc
	s_cbranch_execz .LBB214_8
; %bb.7:
	s_waitcnt lgkmcnt(0)
	v_add_f32_e32 v1, v1, v2
	v_mov_b32_e32 v2, 0
	ds_write_b32 v2, v1 offset:1792
.LBB214_8:
	s_or_b64 exec, exec, s[0:1]
	v_mov_b32_e32 v1, s22
.LBB214_9:
	s_or_b64 exec, exec, s[36:37]
	s_lshl_b32 s0, s38, 6
	s_mov_b32 s1, 0
	s_lshl_b64 s[0:1], s[0:1], 1
	s_add_u32 s0, s20, s0
	s_addc_u32 s1, s21, s1
	s_lshl_b32 s10, s33, 6
	s_waitcnt lgkmcnt(0)
	v_lshlrev_b32_e32 v2, 6, v1
	v_mov_b32_e32 v3, 0
	s_sub_i32 s11, s10, 64
	v_lshlrev_b64 v[4:5], 1, v[2:3]
	s_cmp_lt_i32 s42, 1
	v_mov_b32_e32 v1, s1
	v_add_co_u32_e32 v2, vcc, s0, v4
	s_cselect_b32 s0, s11, 0
	v_addc_co_u32_e32 v1, vcc, v1, v5, vcc
	v_lshlrev_b32_e32 v118, 1, v0
	s_ashr_i32 s1, s0, 31
	v_add_co_u32_e32 v0, vcc, v2, v118
	s_lshl_b64 s[0:1], s[0:1], 1
	v_addc_co_u32_e32 v1, vcc, 0, v1, vcc
	s_cmpk_lt_i32 s42, 0x101
	v_add_co_u32_e32 v4, vcc, s0, v0
	s_cselect_b32 s0, s11, 64
	v_mov_b32_e32 v2, s1
	s_ashr_i32 s1, s0, 31
	s_lshl_b64 s[0:1], s[0:1], 1
	v_addc_co_u32_e32 v5, vcc, v1, v2, vcc
	s_cmpk_lt_i32 s42, 0x201
	v_add_co_u32_e32 v6, vcc, s0, v0
	s_cselect_b32 s0, s11, 0x80
	v_mov_b32_e32 v2, s1
	s_ashr_i32 s1, s0, 31
	;; [unrolled: 7-line block ×8, first 2 shown]
	s_lshl_b64 s[0:1], s[0:1], 1
	v_addc_co_u32_e32 v19, vcc, v1, v2, vcc
	s_cmpk_lt_i32 s42, 0x901
	global_load_ushort v44, v[4:5], off
	global_load_ushort v43, v[6:7], off
	global_load_ushort v42, v[8:9], off
	global_load_ushort v41, v[10:11], off
	global_load_ushort v39, v[12:13], off
	global_load_ushort v40, v[14:15], off
	global_load_ushort v2, v[16:17], off
	global_load_ushort v38, v[18:19], off
	v_add_co_u32_e32 v4, vcc, s0, v0
	s_cselect_b32 s0, s11, 0x240
	v_mov_b32_e32 v5, s1
	s_ashr_i32 s1, s0, 31
	s_lshl_b64 s[0:1], s[0:1], 1
	v_addc_co_u32_e32 v5, vcc, v1, v5, vcc
	s_cmpk_lt_i32 s42, 0xa01
	v_add_co_u32_e32 v6, vcc, s0, v0
	s_cselect_b32 s0, s11, 0x280
	v_mov_b32_e32 v7, s1
	s_ashr_i32 s1, s0, 31
	s_lshl_b64 s[0:1], s[0:1], 1
	v_addc_co_u32_e32 v7, vcc, v1, v7, vcc
	s_cmpk_lt_i32 s42, 0xb01
	;; [unrolled: 7-line block ×6, first 2 shown]
	v_add_co_u32_e32 v16, vcc, s0, v0
	s_cselect_b32 s0, s11, 0x3c0
	v_mov_b32_e32 v17, s1
	s_ashr_i32 s1, s0, 31
	v_addc_co_u32_e32 v17, vcc, v1, v17, vcc
	s_lshl_b64 s[0:1], s[0:1], 1
	v_mov_b32_e32 v19, s1
	v_add_co_u32_e32 v18, vcc, s0, v0
	v_addc_co_u32_e32 v19, vcc, v1, v19, vcc
	global_load_ushort v51, v[4:5], off
	global_load_ushort v52, v[6:7], off
	;; [unrolled: 1-line block ×8, first 2 shown]
	s_cmpk_gt_i32 s42, 0x1000
	s_cselect_b64 s[8:9], -1, 0
	s_cmpk_lt_i32 s42, 0x1001
	v_mov_b32_e32 v61, 0
	v_mov_b32_e32 v62, 0
	v_mov_b32_e32 v63, 0
	v_mov_b32_e32 v64, 0
	v_mov_b32_e32 v65, 0
	v_mov_b32_e32 v66, 0
	v_mov_b32_e32 v67, 0
	v_mov_b32_e32 v68, 0
	v_mov_b32_e32 v53, 0
	v_mov_b32_e32 v54, 0
	v_mov_b32_e32 v55, 0
	v_mov_b32_e32 v56, 0
	v_mov_b32_e32 v57, 0
	v_mov_b32_e32 v58, 0
	v_mov_b32_e32 v59, 0
	v_mov_b32_e32 v60, 0
	v_mov_b32_e32 v4, 0
	v_mov_b32_e32 v5, 0
	v_mov_b32_e32 v6, 0
	v_mov_b32_e32 v7, 0
	v_mov_b32_e32 v8, 0
	v_mov_b32_e32 v9, 0
	v_mov_b32_e32 v10, 0
	v_mov_b32_e32 v11, 0
	v_mov_b32_e32 v12, 0
	v_mov_b32_e32 v13, 0
	v_mov_b32_e32 v14, 0
	v_mov_b32_e32 v15, 0
	v_mov_b32_e32 v16, 0
	v_mov_b32_e32 v18, 0
	v_mov_b32_e32 v17, 0
	v_mov_b32_e32 v19, 0
	v_mov_b32_e32 v20, 0
	v_mov_b32_e32 v22, 0
	v_mov_b32_e32 v21, 0
	v_mov_b32_e32 v24, 0
	v_mov_b32_e32 v23, 0
	v_mov_b32_e32 v26, 0
	v_mov_b32_e32 v25, 0
	v_mov_b32_e32 v28, 0
	v_mov_b32_e32 v27, 0
	v_mov_b32_e32 v30, 0
	v_mov_b32_e32 v29, 0
	v_mov_b32_e32 v32, 0
	v_mov_b32_e32 v31, 0
	v_mov_b32_e32 v34, 0
	v_mov_b32_e32 v33, 0
	v_mov_b32_e32 v35, 0
	s_waitcnt lgkmcnt(0)
	; wave barrier
	s_cbranch_scc1 .LBB214_12
; %bb.10:
	s_cmpk_lt_u32 s42, 0x1101
	s_cselect_b32 s0, s11, 0x440
	s_ashr_i32 s1, s0, 31
	s_lshl_b64 s[0:1], s[0:1], 1
	s_cmpk_lt_u32 s42, 0x1201
	v_add_co_u32_e32 v4, vcc, s0, v0
	s_cselect_b32 s0, s11, 0x480
	v_mov_b32_e32 v5, s1
	s_ashr_i32 s1, s0, 31
	s_lshl_b64 s[0:1], s[0:1], 1
	v_addc_co_u32_e32 v5, vcc, v1, v5, vcc
	s_cmpk_lt_u32 s42, 0x1301
	v_add_co_u32_e32 v6, vcc, s0, v0
	s_cselect_b32 s0, s11, 0x4c0
	v_mov_b32_e32 v7, s1
	s_ashr_i32 s1, s0, 31
	s_lshl_b64 s[0:1], s[0:1], 1
	v_addc_co_u32_e32 v7, vcc, v1, v7, vcc
	;; [unrolled: 7-line block ×7, first 2 shown]
	s_cmpk_lt_u32 s42, 0x1901
	global_load_ushort v60, v[0:1], off offset:2048
	global_load_ushort v59, v[4:5], off
	global_load_ushort v58, v[6:7], off
	;; [unrolled: 1-line block ×7, first 2 shown]
	v_add_co_u32_e32 v4, vcc, s0, v0
	s_cselect_b32 s0, s11, 0x640
	v_mov_b32_e32 v5, s1
	s_ashr_i32 s1, s0, 31
	s_lshl_b64 s[0:1], s[0:1], 1
	v_addc_co_u32_e32 v5, vcc, v1, v5, vcc
	s_cmpk_lt_u32 s42, 0x1a01
	v_add_co_u32_e32 v6, vcc, s0, v0
	s_cselect_b32 s0, s11, 0x680
	v_mov_b32_e32 v7, s1
	s_ashr_i32 s1, s0, 31
	s_lshl_b64 s[0:1], s[0:1], 1
	v_addc_co_u32_e32 v7, vcc, v1, v7, vcc
	s_cmpk_lt_u32 s42, 0x1b01
	;; [unrolled: 7-line block ×6, first 2 shown]
	v_add_co_u32_e32 v16, vcc, s0, v0
	s_cselect_b32 s0, s11, 0x7c0
	v_mov_b32_e32 v17, s1
	s_ashr_i32 s1, s0, 31
	v_addc_co_u32_e32 v17, vcc, v1, v17, vcc
	s_lshl_b64 s[0:1], s[0:1], 1
	v_mov_b32_e32 v19, s1
	v_add_co_u32_e32 v18, vcc, s0, v0
	v_addc_co_u32_e32 v19, vcc, v1, v19, vcc
	global_load_ushort v68, v[4:5], off
	global_load_ushort v67, v[6:7], off
	;; [unrolled: 1-line block ×8, first 2 shown]
	s_cmpk_lt_u32 s42, 0x2001
	v_mov_b32_e32 v35, 0
	v_mov_b32_e32 v33, 0
	;; [unrolled: 1-line block ×32, first 2 shown]
	s_cbranch_scc1 .LBB214_12
; %bb.11:
	s_cmpk_lt_u32 s42, 0x2101
	s_cselect_b32 s0, s11, 0x840
	s_ashr_i32 s1, s0, 31
	s_lshl_b64 s[0:1], s[0:1], 1
	s_cmpk_lt_u32 s42, 0x2201
	v_add_co_u32_e32 v4, vcc, s0, v0
	s_cselect_b32 s0, s11, 0x880
	v_mov_b32_e32 v5, s1
	s_ashr_i32 s1, s0, 31
	s_lshl_b64 s[0:1], s[0:1], 1
	v_addc_co_u32_e32 v5, vcc, v1, v5, vcc
	s_cmpk_lt_u32 s42, 0x2301
	v_add_co_u32_e32 v6, vcc, s0, v0
	s_cselect_b32 s0, s11, 0x8c0
	v_mov_b32_e32 v7, s1
	s_ashr_i32 s1, s0, 31
	s_lshl_b64 s[0:1], s[0:1], 1
	v_addc_co_u32_e32 v7, vcc, v1, v7, vcc
	;; [unrolled: 7-line block ×30, first 2 shown]
	v_mov_b32_e32 v69, s1
	s_movk_i32 s1, 0x1000
	v_add_co_u32_e32 v96, vcc, s1, v0
	v_addc_co_u32_e32 v97, vcc, 0, v1, vcc
	global_load_ushort v98, v[96:97], off
	global_load_ushort v99, v[4:5], off
	;; [unrolled: 1-line block ×15, first 2 shown]
                                        ; kill: killed $vgpr28 killed $vgpr29
                                        ; kill: killed $vgpr8 killed $vgpr9
                                        ; kill: killed $vgpr70 killed $vgpr71
                                        ; kill: killed $vgpr14 killed $vgpr15
                                        ; kill: killed $vgpr20 killed $vgpr21
                                        ; kill: killed $vgpr4 killed $vgpr5
                                        ; kill: killed $vgpr30 killed $vgpr31
                                        ; kill: killed $vgpr10 killed $vgpr11
                                        ; kill: killed $vgpr16 killed $vgpr17
                                        ; kill: killed $vgpr22 killed $vgpr23
                                        ; kill: killed $vgpr6 killed $vgpr7
                                        ; kill: killed $vgpr96 killed $vgpr97
                                        ; kill: killed $vgpr34 killed $vgpr35
                                        ; kill: killed $vgpr12 killed $vgpr13
                                        ; kill: killed $vgpr18 killed $vgpr19
	global_load_ushort v6, v[24:25], off
	global_load_ushort v7, v[26:27], off
	global_load_ushort v8, v[32:33], off
	global_load_ushort v9, v[36:37], off
	global_load_ushort v10, v[72:73], off
	global_load_ushort v11, v[82:83], off
	global_load_ushort v13, v[80:81], off
	global_load_ushort v12, v[78:79], off
	global_load_ushort v15, v[76:77], off
	global_load_ushort v14, v[74:75], off
	global_load_ushort v70, v[84:85], off
	global_load_ushort v71, v[94:95], off
	global_load_ushort v96, v[92:93], off
	global_load_ushort v97, v[90:91], off
	global_load_ushort v113, v[88:89], off
                                        ; kill: killed $vgpr88 killed $vgpr89
                                        ; kill: killed $vgpr72 killed $vgpr73
                                        ; kill: killed $vgpr94 killed $vgpr95
                                        ; kill: killed $vgpr78 killed $vgpr79
                                        ; kill: killed $vgpr84 killed $vgpr85
                                        ; kill: killed $vgpr32 killed $vgpr33
                                        ; kill: killed $vgpr90 killed $vgpr91
                                        ; kill: killed $vgpr74 killed $vgpr75
                                        ; kill: killed $vgpr80 killed $vgpr81
                                        ; kill: killed $vgpr24 killed $vgpr25
                                        ; kill: killed $vgpr36 killed $vgpr37
                                        ; kill: killed $vgpr92 killed $vgpr93
                                        ; kill: killed $vgpr76 killed $vgpr77
                                        ; kill: killed $vgpr82 killed $vgpr83
                                        ; kill: killed $vgpr26 killed $vgpr27
	global_load_ushort v36, v[86:87], off
	v_add_co_u32_e32 v4, vcc, s0, v0
	v_addc_co_u32_e32 v5, vcc, v1, v69, vcc
	global_load_ushort v5, v[4:5], off
	s_waitcnt vmcnt(31)
	v_lshlrev_b32_e32 v35, 16, v98
	s_waitcnt vmcnt(30)
	v_lshlrev_b32_e32 v33, 16, v99
	;; [unrolled: 2-line block ×32, first 2 shown]
.LBB214_12:
	s_load_dwordx2 s[0:1], s[4:5], 0x0
	s_load_dwordx2 s[2:3], s[4:5], 0x38
	ds_read_b128 v[70:73], v3
	s_waitcnt vmcnt(15)
	v_lshlrev_b32_e32 v36, 16, v44
	ds_read_b128 v[74:77], v3 offset:16
	ds_read_b128 v[78:81], v3 offset:32
	;; [unrolled: 1-line block ×3, first 2 shown]
	s_waitcnt vmcnt(10)
	v_lshlrev_b32_e32 v37, 16, v40
	s_and_b64 vcc, exec, s[8:9]
	s_waitcnt lgkmcnt(0)
	v_fma_f32 v44, v70, v36, 0
	v_lshlrev_b32_e32 v36, 16, v43
	v_fmac_f32_e32 v44, v71, v36
	v_lshlrev_b32_e32 v36, 16, v42
	v_fmac_f32_e32 v44, v72, v36
	;; [unrolled: 2-line block ×3, first 2 shown]
	v_lshlrev_b32_e32 v36, 16, v39
	v_pk_mul_f32 v[36:37], v[74:75], v[36:37]
	v_add_f32_e32 v36, v44, v36
	v_add_f32_e32 v39, v36, v37
	s_waitcnt vmcnt(8)
	v_lshlrev_b32_e32 v37, 16, v38
	v_lshlrev_b32_e32 v36, 16, v2
	v_pk_mul_f32 v[36:37], v[76:77], v[36:37]
	v_add_f32_e32 v2, v39, v36
	v_add_f32_e32 v2, v2, v37
	s_waitcnt vmcnt(6)
	v_lshlrev_b32_e32 v37, 16, v52
	;; [unrolled: 6-line block ×5, first 2 shown]
	v_lshlrev_b32_e32 v36, 16, v45
	v_pk_mul_f32 v[36:37], v[84:85], v[36:37]
	v_add_f32_e32 v2, v2, v36
	v_add_f32_e32 v119, v2, v37
	s_cbranch_vccz .LBB214_15
; %bb.13:
	ds_read_b128 v[36:39], v3 offset:64
	v_lshlrev_b32_e32 v2, 16, v60
	ds_read_b128 v[40:43], v3 offset:80
	ds_read_b128 v[44:47], v3 offset:96
	;; [unrolled: 1-line block ×3, first 2 shown]
	s_cmpk_lt_u32 s42, 0x2001
	s_waitcnt lgkmcnt(3)
	v_fmac_f32_e32 v119, v36, v2
	v_lshlrev_b32_e32 v2, 16, v59
	v_fmac_f32_e32 v119, v37, v2
	v_lshlrev_b32_e32 v2, 16, v58
	v_fmac_f32_e32 v119, v38, v2
	v_lshlrev_b32_e32 v2, 16, v57
	v_fmac_f32_e32 v119, v39, v2
	v_lshlrev_b32_e32 v2, 16, v56
	s_waitcnt lgkmcnt(2)
	v_fmac_f32_e32 v119, v40, v2
	v_lshlrev_b32_e32 v2, 16, v55
	v_fmac_f32_e32 v119, v41, v2
	v_lshlrev_b32_e32 v2, 16, v54
	v_fmac_f32_e32 v119, v42, v2
	v_lshlrev_b32_e32 v2, 16, v53
	v_fmac_f32_e32 v119, v43, v2
	v_lshlrev_b32_e32 v2, 16, v68
	s_waitcnt lgkmcnt(1)
	v_fmac_f32_e32 v119, v44, v2
	v_lshlrev_b32_e32 v2, 16, v67
	v_fmac_f32_e32 v119, v45, v2
	v_lshlrev_b32_e32 v2, 16, v66
	v_fmac_f32_e32 v119, v46, v2
	v_lshlrev_b32_e32 v2, 16, v65
	v_fmac_f32_e32 v119, v47, v2
	v_lshlrev_b32_e32 v2, 16, v64
	s_waitcnt lgkmcnt(0)
	v_fmac_f32_e32 v119, v48, v2
	v_lshlrev_b32_e32 v2, 16, v63
	v_fmac_f32_e32 v119, v49, v2
	v_lshlrev_b32_e32 v2, 16, v62
	;; [unrolled: 2-line block ×3, first 2 shown]
	v_fmac_f32_e32 v119, v51, v2
	s_cbranch_scc1 .LBB214_15
; %bb.14:
	v_mov_b32_e32 v52, 0
	ds_read_b128 v[36:39], v52 offset:128
	ds_read_b128 v[40:43], v52 offset:144
	;; [unrolled: 1-line block ×4, first 2 shown]
	s_waitcnt lgkmcnt(3)
	v_fmac_f32_e32 v119, v36, v35
	v_fmac_f32_e32 v119, v37, v33
	v_fmac_f32_e32 v119, v38, v34
	v_fmac_f32_e32 v119, v39, v31
	s_waitcnt lgkmcnt(2)
	v_fmac_f32_e32 v119, v40, v32
	v_fmac_f32_e32 v119, v41, v29
	v_fmac_f32_e32 v119, v42, v30
	v_fmac_f32_e32 v119, v43, v27
	;; [unrolled: 5-line block ×3, first 2 shown]
	s_waitcnt lgkmcnt(0)
	v_fmac_f32_e32 v119, v48, v24
	ds_read_b128 v[24:27], v52 offset:192
	v_fmac_f32_e32 v119, v49, v21
	v_fmac_f32_e32 v119, v50, v22
	;; [unrolled: 1-line block ×3, first 2 shown]
	ds_read_b128 v[20:23], v52 offset:208
	s_waitcnt lgkmcnt(1)
	v_fmac_f32_e32 v119, v24, v19
	v_fmac_f32_e32 v119, v25, v17
	;; [unrolled: 1-line block ×4, first 2 shown]
	s_waitcnt lgkmcnt(0)
	v_pk_mul_f32 v[2:3], v[20:21], v[14:15]
	ds_read_b128 v[14:17], v52 offset:224
	v_add_f32_e32 v2, v119, v2
	v_add_f32_e32 v18, v2, v3
	v_pk_mul_f32 v[2:3], v[22:23], v[12:13]
	v_add_f32_e32 v2, v18, v2
	ds_read_b128 v[18:21], v52 offset:240
	v_add_f32_e32 v12, v2, v3
	s_waitcnt lgkmcnt(1)
	v_pk_mul_f32 v[2:3], v[14:15], v[10:11]
	v_add_f32_e32 v2, v12, v2
	v_add_f32_e32 v10, v2, v3
	v_pk_mul_f32 v[2:3], v[16:17], v[8:9]
	v_add_f32_e32 v2, v10, v2
	v_add_f32_e32 v8, v2, v3
	s_waitcnt lgkmcnt(0)
	v_pk_mul_f32 v[2:3], v[18:19], v[6:7]
	v_add_f32_e32 v2, v8, v2
	v_add_f32_e32 v6, v2, v3
	v_pk_mul_f32 v[2:3], v[20:21], v[4:5]
	v_add_f32_e32 v2, v6, v2
	v_add_f32_e32 v119, v2, v3
.LBB214_15:
	s_movk_i32 s4, 0x1fc0
	s_movk_i32 s5, 0x100
	s_mov_b32 s8, 64
	s_branch .LBB214_17
.LBB214_16:                             ;   in Loop: Header=BB214_17 Depth=1
	s_addk_i32 s4, 0x1000
	s_addk_i32 s5, 0x100
	s_add_i32 s8, s8, 64
	s_cmpk_eq_i32 s4, 0x7fc0
	s_cbranch_scc1 .LBB214_19
.LBB214_17:                             ; =>This Inner Loop Header: Depth=1
	s_cmp_le_i32 s33, s8
	s_cbranch_scc1 .LBB214_16
; %bb.18:                               ;   in Loop: Header=BB214_17 Depth=1
	s_add_i32 s9, s4, 0xfffff040
	s_cmp_lt_i32 s9, s10
	s_cselect_b32 s12, s9, s11
	s_ashr_i32 s13, s12, 31
	s_lshl_b64 s[12:13], s[12:13], 1
	s_add_i32 s9, s4, 0xfffff080
	s_cmp_lt_i32 s9, s10
	v_add_co_u32_e32 v4, vcc, s12, v0
	s_cselect_b32 s12, s9, s11
	v_mov_b32_e32 v2, s13
	s_ashr_i32 s13, s12, 31
	s_lshl_b64 s[12:13], s[12:13], 1
	s_add_i32 s9, s4, 0xfffff0c0
	v_addc_co_u32_e32 v5, vcc, v1, v2, vcc
	s_cmp_lt_i32 s9, s10
	v_add_co_u32_e32 v2, vcc, s12, v0
	s_cselect_b32 s12, s9, s11
	v_mov_b32_e32 v3, s13
	s_ashr_i32 s13, s12, 31
	s_lshl_b64 s[12:13], s[12:13], 1
	s_add_i32 s9, s4, 0xfffff100
	v_addc_co_u32_e32 v3, vcc, v1, v3, vcc
	;; [unrolled: 8-line block ×21, first 2 shown]
	s_cmp_lt_i32 s9, s10
	global_load_ushort v120, v[4:5], off
	global_load_ushort v122, v[6:7], off
	;; [unrolled: 1-line block ×4, first 2 shown]
	v_add_co_u32_e32 v44, vcc, s12, v0
	s_cselect_b32 s12, s9, s11
	v_mov_b32_e32 v45, s13
	s_ashr_i32 s13, s12, 31
	s_lshl_b64 s[12:13], s[12:13], 1
	s_add_i32 s9, s4, 0xfffff600
	v_addc_co_u32_e32 v45, vcc, v1, v45, vcc
	s_cmp_lt_i32 s9, s10
	v_add_co_u32_e32 v46, vcc, s12, v0
	s_cselect_b32 s12, s9, s11
	v_mov_b32_e32 v47, s13
	s_ashr_i32 s13, s12, 31
	s_lshl_b64 s[12:13], s[12:13], 1
	s_add_i32 s9, s4, 0xfffff640
	v_addc_co_u32_e32 v47, vcc, v1, v47, vcc
	s_cmp_lt_i32 s9, s10
	;; [unrolled: 8-line block ×8, first 2 shown]
	global_load_ushort v121, v[2:3], off
	v_add_co_u32_e32 v60, vcc, s12, v0
	s_cselect_b32 s12, s9, s11
	v_mov_b32_e32 v61, s13
	s_ashr_i32 s13, s12, 31
	s_lshl_b64 s[12:13], s[12:13], 1
	s_add_i32 s9, s4, 0xfffff800
	v_addc_co_u32_e32 v61, vcc, v1, v61, vcc
	s_cmp_lt_i32 s9, s10
	v_add_co_u32_e32 v62, vcc, s12, v0
	s_cselect_b32 s12, s9, s11
	global_load_ushort v125, v[12:13], off
	global_load_ushort v126, v[14:15], off
	v_mov_b32_e32 v63, s13
	s_ashr_i32 s13, s12, 31
	global_load_ushort v127, v[16:17], off
	global_load_ushort v128, v[18:19], off
	global_load_ushort v129, v[20:21], off
	s_lshl_b64 s[12:13], s[12:13], 1
	s_add_i32 s9, s4, 0xfffff840
	v_addc_co_u32_e32 v63, vcc, v1, v63, vcc
	s_cmp_lt_i32 s9, s10
	v_add_co_u32_e32 v64, vcc, s12, v0
	s_cselect_b32 s12, s9, s11
	v_mov_b32_e32 v65, s13
	s_ashr_i32 s13, s12, 31
	s_lshl_b64 s[12:13], s[12:13], 1
	s_add_i32 s9, s4, 0xfffff880
	v_addc_co_u32_e32 v65, vcc, v1, v65, vcc
	s_cmp_lt_i32 s9, s10
	v_add_co_u32_e32 v66, vcc, s12, v0
	s_cselect_b32 s12, s9, s11
	v_mov_b32_e32 v67, s13
	s_ashr_i32 s13, s12, 31
	global_load_ushort v130, v[22:23], off
	global_load_ushort v131, v[24:25], off
	s_lshl_b64 s[12:13], s[12:13], 1
	s_add_i32 s9, s4, 0xfffff8c0
	v_addc_co_u32_e32 v67, vcc, v1, v67, vcc
	s_cmp_lt_i32 s9, s10
	global_load_ushort v132, v[26:27], off
	global_load_ushort v133, v[28:29], off
	v_add_co_u32_e32 v68, vcc, s12, v0
	s_cselect_b32 s12, s9, s11
	v_mov_b32_e32 v69, s13
	s_ashr_i32 s13, s12, 31
	s_lshl_b64 s[12:13], s[12:13], 1
	s_add_i32 s9, s4, 0xfffff900
	v_addc_co_u32_e32 v69, vcc, v1, v69, vcc
	s_cmp_lt_i32 s9, s10
	v_add_co_u32_e32 v70, vcc, s12, v0
	s_cselect_b32 s12, s9, s11
	v_mov_b32_e32 v71, s13
	s_ashr_i32 s13, s12, 31
	global_load_ushort v134, v[30:31], off
	global_load_ushort v135, v[32:33], off
	s_lshl_b64 s[12:13], s[12:13], 1
	s_add_i32 s9, s4, 0xfffff940
	v_addc_co_u32_e32 v71, vcc, v1, v71, vcc
	s_cmp_lt_i32 s9, s10
	v_add_co_u32_e32 v72, vcc, s12, v0
	s_cselect_b32 s12, s9, s11
	v_mov_b32_e32 v73, s13
	s_ashr_i32 s13, s12, 31
	s_lshl_b64 s[12:13], s[12:13], 1
	s_add_i32 s9, s4, 0xfffff980
	global_load_ushort v30, v[34:35], off
	global_load_ushort v31, v[36:37], off
	global_load_ushort v32, v[38:39], off
	global_load_ushort v33, v[40:41], off
	v_addc_co_u32_e32 v73, vcc, v1, v73, vcc
	s_cmp_lt_i32 s9, s10
	v_add_co_u32_e32 v74, vcc, s12, v0
	s_cselect_b32 s12, s9, s11
	v_mov_b32_e32 v75, s13
	s_ashr_i32 s13, s12, 31
	s_lshl_b64 s[12:13], s[12:13], 1
	s_add_i32 s9, s4, 0xfffff9c0
	v_addc_co_u32_e32 v75, vcc, v1, v75, vcc
	s_cmp_lt_i32 s9, s10
	v_add_co_u32_e32 v76, vcc, s12, v0
	s_cselect_b32 s12, s9, s11
	v_mov_b32_e32 v77, s13
	s_ashr_i32 s13, s12, 31
	s_lshl_b64 s[12:13], s[12:13], 1
	s_add_i32 s9, s4, 0xfffffa00
	v_addc_co_u32_e32 v77, vcc, v1, v77, vcc
	s_cmp_lt_i32 s9, s10
	v_add_co_u32_e32 v78, vcc, s12, v0
	s_cselect_b32 s12, s9, s11
	global_load_ushort v34, v[42:43], off
	global_load_ushort v35, v[44:45], off
	v_mov_b32_e32 v79, s13
	s_ashr_i32 s13, s12, 31
	s_lshl_b64 s[12:13], s[12:13], 1
	s_add_i32 s9, s4, 0xfffffa40
	v_addc_co_u32_e32 v79, vcc, v1, v79, vcc
	s_cmp_lt_i32 s9, s10
	v_add_co_u32_e32 v80, vcc, s12, v0
	s_cselect_b32 s12, s9, s11
	v_mov_b32_e32 v81, s13
	s_ashr_i32 s13, s12, 31
	global_load_ushort v38, v[46:47], off
	s_lshl_b64 s[12:13], s[12:13], 1
	s_add_i32 s9, s4, 0xfffffa80
	v_mov_b32_e32 v37, s5
	v_addc_co_u32_e32 v81, vcc, v1, v81, vcc
	s_cmp_lt_i32 s9, s10
	ds_read_b128 v[14:17], v37
	ds_read_b128 v[18:21], v37 offset:16
	global_load_ushort v39, v[48:49], off
	v_add_co_u32_e32 v82, vcc, s12, v0
	s_cselect_b32 s12, s9, s11
	v_mov_b32_e32 v83, s13
	s_ashr_i32 s13, s12, 31
	s_lshl_b64 s[12:13], s[12:13], 1
	s_add_i32 s9, s4, 0xfffffac0
	v_addc_co_u32_e32 v83, vcc, v1, v83, vcc
	s_cmp_lt_i32 s9, s10
	s_waitcnt vmcnt(23)
	v_lshlrev_b32_e32 v36, 16, v120
	v_add_co_u32_e32 v84, vcc, s12, v0
	s_cselect_b32 s12, s9, s11
	ds_read_b128 v[22:25], v37 offset:32
	ds_read_b128 v[26:29], v37 offset:48
	s_waitcnt lgkmcnt(3)
	v_fmac_f32_e32 v119, v14, v36
	global_load_ushort v36, v[50:51], off
	global_load_ushort v40, v[52:53], off
	;; [unrolled: 1-line block ×6, first 2 shown]
	v_mov_b32_e32 v85, s13
	s_ashr_i32 s13, s12, 31
	s_lshl_b64 s[12:13], s[12:13], 1
	s_add_i32 s9, s4, 0xfffffb00
	v_addc_co_u32_e32 v85, vcc, v1, v85, vcc
	s_cmp_lt_i32 s9, s10
	v_add_co_u32_e32 v86, vcc, s12, v0
	s_cselect_b32 s12, s9, s11
	v_mov_b32_e32 v87, s13
	s_ashr_i32 s13, s12, 31
	s_lshl_b64 s[12:13], s[12:13], 1
	s_add_i32 s9, s4, 0xfffffb40
	v_addc_co_u32_e32 v87, vcc, v1, v87, vcc
	s_cmp_lt_i32 s9, s10
	v_add_co_u32_e32 v88, vcc, s12, v0
	s_cselect_b32 s12, s9, s11
	;; [unrolled: 8-line block ×7, first 2 shown]
	v_mov_b32_e32 v99, s13
	s_ashr_i32 s13, s12, 31
	s_lshl_b64 s[12:13], s[12:13], 1
	s_add_i32 s9, s4, 0xfffffcc0
	v_addc_co_u32_e32 v99, vcc, v1, v99, vcc
	s_cmp_lt_i32 s9, s10
	s_waitcnt vmcnt(25)
	v_lshlrev_b32_e32 v14, 16, v121
	v_add_co_u32_e32 v100, vcc, s12, v0
	s_cselect_b32 s12, s9, s11
	v_fmac_f32_e32 v119, v15, v14
	v_lshlrev_b32_e32 v14, 16, v122
	v_mov_b32_e32 v101, s13
	s_ashr_i32 s13, s12, 31
	v_fmac_f32_e32 v119, v16, v14
	v_lshlrev_b32_e32 v14, 16, v123
	s_lshl_b64 s[12:13], s[12:13], 1
	s_add_i32 s9, s4, 0xfffffd00
	v_fmac_f32_e32 v119, v17, v14
	v_lshlrev_b32_e32 v14, 16, v124
	v_addc_co_u32_e32 v101, vcc, v1, v101, vcc
	s_cmp_lt_i32 s9, s10
	s_waitcnt lgkmcnt(2)
	v_fmac_f32_e32 v119, v18, v14
	s_waitcnt vmcnt(24)
	v_lshlrev_b32_e32 v14, 16, v125
	v_add_co_u32_e32 v102, vcc, s12, v0
	s_cselect_b32 s12, s9, s11
	v_fmac_f32_e32 v119, v19, v14
	s_waitcnt vmcnt(23)
	v_lshlrev_b32_e32 v14, 16, v126
	v_mov_b32_e32 v103, s13
	s_ashr_i32 s13, s12, 31
	v_fmac_f32_e32 v119, v20, v14
	s_waitcnt vmcnt(22)
	v_lshlrev_b32_e32 v14, 16, v127
	s_lshl_b64 s[12:13], s[12:13], 1
	s_add_i32 s9, s4, 0xfffffd40
	v_fmac_f32_e32 v119, v21, v14
	s_waitcnt vmcnt(21)
	v_lshlrev_b32_e32 v14, 16, v128
	v_addc_co_u32_e32 v103, vcc, v1, v103, vcc
	s_cmp_lt_i32 s9, s10
	s_waitcnt lgkmcnt(1)
	v_fmac_f32_e32 v119, v22, v14
	global_load_ushort v22, v[62:63], off
	v_add_co_u32_e32 v104, vcc, s12, v0
	s_cselect_b32 s12, s9, s11
	v_mov_b32_e32 v105, s13
	s_ashr_i32 s13, s12, 31
	s_lshl_b64 s[12:13], s[12:13], 1
	s_add_i32 s9, s4, 0xfffffd80
	s_waitcnt vmcnt(21)
	v_lshlrev_b32_e32 v14, 16, v129
	v_addc_co_u32_e32 v105, vcc, v1, v105, vcc
	s_cmp_lt_i32 s9, s10
	v_fmac_f32_e32 v119, v23, v14
	global_load_ushort v23, v[64:65], off
	v_add_co_u32_e32 v106, vcc, s12, v0
	s_cselect_b32 s12, s9, s11
	s_waitcnt vmcnt(21)
	v_lshlrev_b32_e32 v14, 16, v130
	global_load_ushort v45, v[66:67], off
	v_mov_b32_e32 v107, s13
	s_ashr_i32 s13, s12, 31
	v_fmac_f32_e32 v119, v24, v14
	global_load_ushort v24, v[68:69], off
	s_waitcnt vmcnt(22)
	v_lshlrev_b32_e32 v14, 16, v131
	s_lshl_b64 s[12:13], s[12:13], 1
	s_add_i32 s9, s4, 0xfffffdc0
	v_fmac_f32_e32 v119, v25, v14
	global_load_ushort v25, v[70:71], off
	global_load_ushort v46, v[72:73], off
	v_addc_co_u32_e32 v107, vcc, v1, v107, vcc
	s_cmp_lt_i32 s9, s10
	s_waitcnt vmcnt(23)
	v_lshlrev_b32_e32 v14, 16, v132
	v_add_co_u32_e32 v110, vcc, s12, v0
	s_cselect_b32 s12, s9, s11
	s_waitcnt lgkmcnt(0)
	v_fmac_f32_e32 v119, v26, v14
	global_load_ushort v26, v[74:75], off
	global_load_ushort v47, v[76:77], off
	v_mov_b32_e32 v108, s13
	s_ashr_i32 s13, s12, 31
	s_waitcnt vmcnt(24)
	v_lshlrev_b32_e32 v14, 16, v133
	s_lshl_b64 s[12:13], s[12:13], 1
	s_add_i32 s9, s4, 0xfffffe00
	v_fmac_f32_e32 v119, v27, v14
	global_load_ushort v27, v[78:79], off
	v_addc_co_u32_e32 v111, vcc, v1, v108, vcc
	s_cmp_lt_i32 s9, s10
	v_add_co_u32_e32 v108, vcc, s12, v0
	s_cselect_b32 s12, s9, s11
	s_waitcnt vmcnt(24)
	v_lshlrev_b32_e32 v14, 16, v134
	v_mov_b32_e32 v109, s13
	s_ashr_i32 s13, s12, 31
	v_fmac_f32_e32 v119, v28, v14
	global_load_ushort v28, v[80:81], off
	s_waitcnt vmcnt(24)
	v_lshlrev_b32_e32 v14, 16, v135
	s_lshl_b64 s[12:13], s[12:13], 1
	s_add_i32 s9, s4, 0xfffffe40
	v_fmac_f32_e32 v119, v29, v14
	ds_read_b128 v[14:17], v37 offset:64
	ds_read_b128 v[18:21], v37 offset:80
	v_addc_co_u32_e32 v109, vcc, v1, v109, vcc
	s_cmp_lt_i32 s9, s10
	global_load_ushort v48, v[82:83], off
	global_load_ushort v29, v[84:85], off
	;; [unrolled: 1-line block ×4, first 2 shown]
	v_add_co_u32_e32 v114, vcc, s12, v0
	s_cselect_b32 s12, s9, s11
	v_mov_b32_e32 v112, s13
	s_ashr_i32 s13, s12, 31
	s_lshl_b64 s[12:13], s[12:13], 1
	s_add_i32 s9, s4, 0xfffffe80
	s_waitcnt vmcnt(27)
	v_lshlrev_b32_e32 v30, 16, v30
	v_addc_co_u32_e32 v115, vcc, v1, v112, vcc
	s_cmp_lt_i32 s9, s10
	s_waitcnt lgkmcnt(1)
	v_fmac_f32_e32 v119, v14, v30
	global_load_ushort v30, v[90:91], off
	v_add_co_u32_e32 v112, vcc, s12, v0
	s_cselect_b32 s12, s9, s11
	s_waitcnt vmcnt(27)
	v_lshlrev_b32_e32 v14, 16, v31
	global_load_ushort v31, v[92:93], off
	global_load_ushort v51, v[94:95], off
	v_mov_b32_e32 v113, s13
	s_ashr_i32 s13, s12, 31
	s_lshl_b64 s[12:13], s[12:13], 1
	s_add_i32 s9, s4, 0xfffffec0
	v_addc_co_u32_e32 v113, vcc, v1, v113, vcc
	s_cmp_lt_i32 s9, s10
	v_add_co_u32_e32 v116, vcc, s12, v0
	s_cselect_b32 s12, s9, s11
	v_mov_b32_e32 v117, s13
	s_ashr_i32 s13, s12, 31
	v_fmac_f32_e32 v119, v15, v14
	s_waitcnt vmcnt(28)
	v_lshlrev_b32_e32 v14, 16, v32
	global_load_ushort v32, v[96:97], off
	s_lshl_b64 s[12:13], s[12:13], 1
	s_add_i32 s9, s4, 0xffffff00
	v_fmac_f32_e32 v119, v16, v14
	s_waitcnt vmcnt(28)
	v_lshlrev_b32_e32 v14, 16, v33
	global_load_ushort v33, v[98:99], off
	v_addc_co_u32_e32 v117, vcc, v1, v117, vcc
	s_cmp_lt_i32 s9, s10
	v_fmac_f32_e32 v119, v17, v14
	s_waitcnt vmcnt(28)
	v_lshlrev_b32_e32 v14, 16, v34
	global_load_ushort v34, v[100:101], off
	global_load_ushort v52, v[102:103], off
	v_add_co_u32_e32 v2, vcc, s12, v0
	s_cselect_b32 s12, s9, s11
	v_mov_b32_e32 v4, s13
	s_ashr_i32 s13, s12, 31
	s_lshl_b64 s[12:13], s[12:13], 1
	s_add_i32 s9, s4, 0xffffff40
	s_waitcnt lgkmcnt(0)
	v_fmac_f32_e32 v119, v18, v14
	s_waitcnt vmcnt(29)
	v_lshlrev_b32_e32 v14, 16, v35
	global_load_ushort v35, v[104:105], off
	global_load_ushort v53, v[106:107], off
	;; [unrolled: 1-line block ×3, first 2 shown]
	v_addc_co_u32_e32 v3, vcc, v1, v4, vcc
	s_cmp_lt_i32 s9, s10
	v_add_co_u32_e32 v4, vcc, s12, v0
	s_cselect_b32 s12, s9, s11
	v_mov_b32_e32 v5, s13
	s_ashr_i32 s13, s12, 31
	v_fmac_f32_e32 v119, v19, v14
	s_waitcnt vmcnt(31)
	v_lshlrev_b32_e32 v14, 16, v38
	global_load_ushort v38, v[108:109], off
	global_load_ushort v55, v[114:115], off
	s_lshl_b64 s[12:13], s[12:13], 1
	s_add_i32 s9, s4, 0xffffff80
	v_addc_co_u32_e32 v5, vcc, v1, v5, vcc
	s_cmp_lt_i32 s9, s10
	v_fmac_f32_e32 v119, v20, v14
	s_waitcnt vmcnt(32)
	v_lshlrev_b32_e32 v14, 16, v39
	v_add_co_u32_e32 v6, vcc, s12, v0
	s_cselect_b32 s12, s9, s11
	v_fmac_f32_e32 v119, v21, v14
	ds_read_b128 v[14:17], v37 offset:96
	v_mov_b32_e32 v7, s13
	s_ashr_i32 s13, s12, 31
	s_lshl_b64 s[12:13], s[12:13], 1
	s_sub_i32 s9, s4, 64
	v_addc_co_u32_e32 v7, vcc, v1, v7, vcc
	s_cmp_lt_i32 s9, s10
	global_load_ushort v39, v[112:113], off
	global_load_ushort v56, v[116:117], off
	v_add_co_u32_e32 v10, vcc, s12, v0
	s_cselect_b32 s12, s9, s11
	s_waitcnt vmcnt(33)
	v_lshlrev_b32_e32 v36, 16, v36
	v_mov_b32_e32 v8, s13
	s_ashr_i32 s13, s12, 31
	s_waitcnt lgkmcnt(0)
	v_fmac_f32_e32 v119, v14, v36
	s_waitcnt vmcnt(32)
	v_lshlrev_b32_e32 v14, 16, v40
	s_lshl_b64 s[12:13], s[12:13], 1
	ds_read_b128 v[18:21], v37 offset:112
	v_fmac_f32_e32 v119, v15, v14
	global_load_ushort v14, v[2:3], off
	global_load_ushort v15, v[4:5], off
	v_addc_co_u32_e32 v11, vcc, v1, v8, vcc
	s_cmp_lt_i32 s4, s10
	v_add_co_u32_e32 v8, vcc, s12, v0
	s_cselect_b32 s12, s4, s11
	s_waitcnt vmcnt(33)
	v_lshlrev_b32_e32 v2, 16, v41
	v_mov_b32_e32 v9, s13
	s_ashr_i32 s13, s12, 31
	v_fmac_f32_e32 v119, v16, v2
	global_load_ushort v16, v[6:7], off
	global_load_ushort v36, v[10:11], off
	v_addc_co_u32_e32 v9, vcc, v1, v9, vcc
	s_lshl_b64 s[12:13], s[12:13], 1
	s_waitcnt vmcnt(34)
	v_lshlrev_b32_e32 v2, 16, v42
	v_mov_b32_e32 v13, s13
	v_add_co_u32_e32 v12, vcc, s12, v0
	v_fmac_f32_e32 v119, v17, v2
	s_waitcnt vmcnt(33)
	v_lshlrev_b32_e32 v2, 16, v43
	v_addc_co_u32_e32 v13, vcc, v1, v13, vcc
	s_waitcnt lgkmcnt(0)
	v_fmac_f32_e32 v119, v18, v2
	global_load_ushort v17, v[8:9], off
	global_load_ushort v18, v[12:13], off
	s_waitcnt vmcnt(34)
	v_lshlrev_b32_e32 v2, 16, v44
	v_fmac_f32_e32 v119, v19, v2
	s_waitcnt vmcnt(33)
	v_lshlrev_b32_e32 v2, 16, v22
	v_fmac_f32_e32 v119, v20, v2
	ds_read_b128 v[2:5], v37 offset:128
	s_waitcnt vmcnt(32)
	v_lshlrev_b32_e32 v6, 16, v23
	v_fmac_f32_e32 v119, v21, v6
	ds_read_b128 v[6:9], v37 offset:144
	s_waitcnt vmcnt(31)
	v_lshlrev_b32_e32 v10, 16, v45
	s_waitcnt lgkmcnt(1)
	v_fmac_f32_e32 v119, v2, v10
	s_waitcnt vmcnt(30)
	v_lshlrev_b32_e32 v2, 16, v24
	v_fmac_f32_e32 v119, v3, v2
	s_waitcnt vmcnt(29)
	v_lshlrev_b32_e32 v2, 16, v25
	;; [unrolled: 3-line block ×4, first 2 shown]
	s_waitcnt lgkmcnt(0)
	v_fmac_f32_e32 v119, v6, v2
	s_waitcnt vmcnt(26)
	v_lshlrev_b32_e32 v2, 16, v47
	v_fmac_f32_e32 v119, v7, v2
	s_waitcnt vmcnt(25)
	v_lshlrev_b32_e32 v2, 16, v27
	v_fmac_f32_e32 v119, v8, v2
	ds_read_b128 v[2:5], v37 offset:160
	s_waitcnt vmcnt(24)
	v_lshlrev_b32_e32 v6, 16, v28
	v_fmac_f32_e32 v119, v9, v6
	ds_read_b128 v[6:9], v37 offset:176
	s_waitcnt vmcnt(23)
	v_lshlrev_b32_e32 v10, 16, v48
	s_waitcnt lgkmcnt(1)
	v_fmac_f32_e32 v119, v2, v10
	s_waitcnt vmcnt(22)
	v_lshlrev_b32_e32 v2, 16, v29
	v_fmac_f32_e32 v119, v3, v2
	s_waitcnt vmcnt(21)
	v_lshlrev_b32_e32 v2, 16, v49
	;; [unrolled: 3-line block ×4, first 2 shown]
	s_waitcnt lgkmcnt(0)
	v_fmac_f32_e32 v119, v6, v2
	s_waitcnt vmcnt(18)
	v_lshlrev_b32_e32 v2, 16, v31
	v_fmac_f32_e32 v119, v7, v2
	s_waitcnt vmcnt(17)
	v_lshlrev_b32_e32 v2, 16, v51
	v_fmac_f32_e32 v119, v8, v2
	ds_read_b128 v[2:5], v37 offset:192
	s_waitcnt vmcnt(16)
	v_lshlrev_b32_e32 v6, 16, v32
	v_fmac_f32_e32 v119, v9, v6
	ds_read_b128 v[6:9], v37 offset:208
	s_waitcnt vmcnt(15)
	v_lshlrev_b32_e32 v10, 16, v33
	s_waitcnt lgkmcnt(1)
	v_fmac_f32_e32 v119, v2, v10
	s_waitcnt vmcnt(14)
	v_lshlrev_b32_e32 v2, 16, v34
	v_fmac_f32_e32 v119, v3, v2
	s_waitcnt vmcnt(13)
	v_lshlrev_b32_e32 v2, 16, v52
	;; [unrolled: 3-line block ×4, first 2 shown]
	v_lshlrev_b32_e32 v2, 16, v53
	s_waitcnt lgkmcnt(0)
	v_pk_mul_f32 v[2:3], v[6:7], v[2:3]
	v_add_f32_e32 v2, v119, v2
	v_add_f32_e32 v4, v2, v3
	s_waitcnt vmcnt(8)
	v_lshlrev_b32_e32 v3, 16, v55
	v_lshlrev_b32_e32 v2, 16, v38
	v_pk_mul_f32 v[6:7], v[8:9], v[2:3]
	v_add_f32_e32 v6, v4, v6
	ds_read_b128 v[2:5], v37 offset:224
	s_waitcnt vmcnt(6)
	v_lshlrev_b32_e32 v11, 16, v56
	v_lshlrev_b32_e32 v10, 16, v39
	v_add_f32_e32 v12, v6, v7
	ds_read_b128 v[6:9], v37 offset:240
	s_waitcnt lgkmcnt(1)
	v_pk_mul_f32 v[2:3], v[2:3], v[10:11]
	v_add_f32_e32 v2, v12, v2
	v_add_f32_e32 v10, v2, v3
	s_waitcnt vmcnt(4)
	v_lshlrev_b32_e32 v3, 16, v15
	v_lshlrev_b32_e32 v2, 16, v14
	v_pk_mul_f32 v[2:3], v[4:5], v[2:3]
	v_add_f32_e32 v2, v10, v2
	v_add_f32_e32 v4, v2, v3
	s_waitcnt vmcnt(2)
	v_lshlrev_b32_e32 v3, 16, v36
	v_lshlrev_b32_e32 v2, 16, v16
	s_waitcnt lgkmcnt(0)
	v_pk_mul_f32 v[2:3], v[6:7], v[2:3]
	v_add_f32_e32 v2, v4, v2
	v_add_f32_e32 v4, v2, v3
	s_waitcnt vmcnt(0)
	v_lshlrev_b32_e32 v3, 16, v18
	v_lshlrev_b32_e32 v2, 16, v17
	v_pk_mul_f32 v[2:3], v[8:9], v[2:3]
	v_add_f32_e32 v2, v4, v2
	v_add_f32_e32 v119, v2, v3
	s_branch .LBB214_16
.LBB214_19:
	v_mov_b32_e32 v0, 0
	ds_read_b32 v0, v0 offset:1792
	s_cmp_lg_u64 s[2:3], 0
	s_cbranch_scc0 .LBB214_28
; %bb.20:
	s_load_dword s4, s[2:3], 0x0
	s_waitcnt lgkmcnt(0)
	v_div_scale_f32 v1, s[2:3], s4, s4, 1.0
	v_rcp_f32_e32 v2, v1
	v_div_scale_f32 v3, vcc, 1.0, s4, 1.0
	v_fma_f32 v4, -v1, v2, 1.0
	v_fmac_f32_e32 v2, v4, v2
	v_mul_f32_e32 v4, v3, v2
	v_fma_f32 v5, -v1, v4, v3
	v_fmac_f32_e32 v4, v5, v2
	v_fma_f32 v1, -v1, v4, v3
	v_div_fmas_f32 v1, v1, v2, v4
	v_div_fixup_f32 v1, v1, s4, 1.0
	s_andn2_b64 vcc, exec, s[30:31]
	s_cbranch_vccnz .LBB214_22
.LBB214_21:
	s_add_u32 s2, s28, s34
	s_addc_u32 s3, s29, s35
	s_load_dword s18, s[2:3], 0x0
	s_mov_b32 s19, 0
.LBB214_22:
	s_waitcnt lgkmcnt(0)
	v_add_f32_e32 v0, 0x358637bd, v0
	v_div_scale_f32 v2, s[2:3], v0, v0, 1.0
	v_rcp_f32_e32 v3, v2
	v_div_scale_f32 v4, vcc, 1.0, v0, 1.0
	s_mov_b32 s2, 0x7f800000
	v_fma_f32 v5, -v2, v3, 1.0
	v_fmac_f32_e32 v3, v5, v3
	v_mul_f32_e32 v5, v4, v3
	v_fma_f32 v6, -v2, v5, v4
	v_fmac_f32_e32 v5, v6, v3
	v_fma_f32 v2, -v2, v5, v4
	v_div_fmas_f32 v2, v2, v3, v5
	v_div_fixup_f32 v0, v2, v0, 1.0
	v_mul_f32_e32 v0, v119, v0
	v_mul_f32_e32 v1, v0, v1
	v_and_b32_e32 v0, 0x7f800000, v1
	v_cmp_ne_u32_e32 vcc, s2, v0
                                        ; implicit-def: $vgpr0
	s_and_saveexec_b64 s[2:3], vcc
	s_xor_b64 s[2:3], exec, s[2:3]
; %bb.23:
	v_bfe_u32 v0, v1, 16, 1
	s_movk_i32 s4, 0x7fff
	v_add3_u32 v0, v1, v0, s4
                                        ; implicit-def: $vgpr1
; %bb.24:
	s_andn2_saveexec_b64 s[2:3], s[2:3]
; %bb.25:
	v_mov_b32_e32 v0, 0
	v_or_b32_e32 v2, 0x10000, v1
	v_cmp_eq_u32_sdwa vcc, v1, v0 src0_sel:WORD_0 src1_sel:DWORD
	v_cndmask_b32_e32 v0, v2, v1, vcc
; %bb.26:
	s_or_b64 exec, exec, s[2:3]
	s_mul_i32 s2, s7, s19
	s_mul_hi_u32 s3, s7, s18
	s_add_i32 s3, s3, s2
	s_mul_i32 s2, s7, s18
	s_lshl_b64 s[2:3], s[2:3], 7
	s_add_u32 s2, s0, s2
	s_mov_b32 s7, 0
	s_addc_u32 s3, s1, s3
	s_lshl_b64 s[0:1], s[6:7], 7
	s_add_u32 s0, s2, s0
	s_addc_u32 s1, s3, s1
	global_store_short_d16_hi v118, v0, s[0:1]
	s_endpgm
.LBB214_27:
	s_mov_b64 s[2:3], 0
	s_branch .LBB214_2
.LBB214_28:
	v_mov_b32_e32 v1, 1.0
	s_andn2_b64 vcc, exec, s[30:31]
	s_cbranch_vccz .LBB214_21
	s_branch .LBB214_22
	.section	.rodata,"a",@progbits
	.p2align	6, 0x0
	.amdhsa_kernel _Z35paged_attention_ll4mi_reduce_kernelI14__hip_bfloat16S0_Li64ELi64ELi256ELi7EEvPT0_PKfS4_PKT_PKiS9_iS4_
		.amdhsa_group_segment_fixed_size 1796
		.amdhsa_private_segment_fixed_size 0
		.amdhsa_kernarg_size 320
		.amdhsa_user_sgpr_count 6
		.amdhsa_user_sgpr_private_segment_buffer 1
		.amdhsa_user_sgpr_dispatch_ptr 0
		.amdhsa_user_sgpr_queue_ptr 0
		.amdhsa_user_sgpr_kernarg_segment_ptr 1
		.amdhsa_user_sgpr_dispatch_id 0
		.amdhsa_user_sgpr_flat_scratch_init 0
		.amdhsa_user_sgpr_kernarg_preload_length 0
		.amdhsa_user_sgpr_kernarg_preload_offset 0
		.amdhsa_user_sgpr_private_segment_size 0
		.amdhsa_uses_dynamic_stack 0
		.amdhsa_system_sgpr_private_segment_wavefront_offset 0
		.amdhsa_system_sgpr_workgroup_id_x 1
		.amdhsa_system_sgpr_workgroup_id_y 1
		.amdhsa_system_sgpr_workgroup_id_z 0
		.amdhsa_system_sgpr_workgroup_info 0
		.amdhsa_system_vgpr_workitem_id 0
		.amdhsa_next_free_vgpr 136
		.amdhsa_next_free_sgpr 43
		.amdhsa_accum_offset 136
		.amdhsa_reserve_vcc 1
		.amdhsa_reserve_flat_scratch 0
		.amdhsa_float_round_mode_32 0
		.amdhsa_float_round_mode_16_64 0
		.amdhsa_float_denorm_mode_32 3
		.amdhsa_float_denorm_mode_16_64 3
		.amdhsa_dx10_clamp 1
		.amdhsa_ieee_mode 1
		.amdhsa_fp16_overflow 0
		.amdhsa_tg_split 0
		.amdhsa_exception_fp_ieee_invalid_op 0
		.amdhsa_exception_fp_denorm_src 0
		.amdhsa_exception_fp_ieee_div_zero 0
		.amdhsa_exception_fp_ieee_overflow 0
		.amdhsa_exception_fp_ieee_underflow 0
		.amdhsa_exception_fp_ieee_inexact 0
		.amdhsa_exception_int_div_zero 0
	.end_amdhsa_kernel
	.section	.text._Z35paged_attention_ll4mi_reduce_kernelI14__hip_bfloat16S0_Li64ELi64ELi256ELi7EEvPT0_PKfS4_PKT_PKiS9_iS4_,"axG",@progbits,_Z35paged_attention_ll4mi_reduce_kernelI14__hip_bfloat16S0_Li64ELi64ELi256ELi7EEvPT0_PKfS4_PKT_PKiS9_iS4_,comdat
.Lfunc_end214:
	.size	_Z35paged_attention_ll4mi_reduce_kernelI14__hip_bfloat16S0_Li64ELi64ELi256ELi7EEvPT0_PKfS4_PKT_PKiS9_iS4_, .Lfunc_end214-_Z35paged_attention_ll4mi_reduce_kernelI14__hip_bfloat16S0_Li64ELi64ELi256ELi7EEvPT0_PKfS4_PKT_PKiS9_iS4_
                                        ; -- End function
	.section	.AMDGPU.csdata,"",@progbits
; Kernel info:
; codeLenInByte = 10292
; NumSgprs: 47
; NumVgprs: 136
; NumAgprs: 0
; TotalNumVgprs: 136
; ScratchSize: 0
; MemoryBound: 0
; FloatMode: 240
; IeeeMode: 1
; LDSByteSize: 1796 bytes/workgroup (compile time only)
; SGPRBlocks: 5
; VGPRBlocks: 16
; NumSGPRsForWavesPerEU: 47
; NumVGPRsForWavesPerEU: 136
; AccumOffset: 136
; Occupancy: 3
; WaveLimiterHint : 1
; COMPUTE_PGM_RSRC2:SCRATCH_EN: 0
; COMPUTE_PGM_RSRC2:USER_SGPR: 6
; COMPUTE_PGM_RSRC2:TRAP_HANDLER: 0
; COMPUTE_PGM_RSRC2:TGID_X_EN: 1
; COMPUTE_PGM_RSRC2:TGID_Y_EN: 1
; COMPUTE_PGM_RSRC2:TGID_Z_EN: 0
; COMPUTE_PGM_RSRC2:TIDIG_COMP_CNT: 0
; COMPUTE_PGM_RSRC3_GFX90A:ACCUM_OFFSET: 33
; COMPUTE_PGM_RSRC3_GFX90A:TG_SPLIT: 0
	.section	.text._Z35paged_attention_ll4mi_reduce_kernelI14__hip_bfloat16S0_Li64ELi64ELi256ELi8EEvPT0_PKfS4_PKT_PKiS9_iS4_,"axG",@progbits,_Z35paged_attention_ll4mi_reduce_kernelI14__hip_bfloat16S0_Li64ELi64ELi256ELi8EEvPT0_PKfS4_PKT_PKiS9_iS4_,comdat
	.protected	_Z35paged_attention_ll4mi_reduce_kernelI14__hip_bfloat16S0_Li64ELi64ELi256ELi8EEvPT0_PKfS4_PKT_PKiS9_iS4_ ; -- Begin function _Z35paged_attention_ll4mi_reduce_kernelI14__hip_bfloat16S0_Li64ELi64ELi256ELi8EEvPT0_PKfS4_PKT_PKiS9_iS4_
	.globl	_Z35paged_attention_ll4mi_reduce_kernelI14__hip_bfloat16S0_Li64ELi64ELi256ELi8EEvPT0_PKfS4_PKT_PKiS9_iS4_
	.p2align	8
	.type	_Z35paged_attention_ll4mi_reduce_kernelI14__hip_bfloat16S0_Li64ELi64ELi256ELi8EEvPT0_PKfS4_PKT_PKiS9_iS4_,@function
_Z35paged_attention_ll4mi_reduce_kernelI14__hip_bfloat16S0_Li64ELi64ELi256ELi8EEvPT0_PKfS4_PKT_PKiS9_iS4_: ; @_Z35paged_attention_ll4mi_reduce_kernelI14__hip_bfloat16S0_Li64ELi64ELi256ELi8EEvPT0_PKfS4_PKT_PKiS9_iS4_
; %bb.0:
	s_load_dwordx2 s[30:31], s[4:5], 0x28
	s_mov_b32 s28, s7
	s_mov_b64 s[0:1], 0
	s_waitcnt lgkmcnt(0)
	s_cmp_lg_u64 s[30:31], 0
	s_cselect_b64 s[34:35], -1, 0
	s_and_b64 vcc, exec, s[34:35]
	s_cbranch_vccz .LBB215_27
; %bb.1:
	s_add_i32 s2, s28, 1
	s_mov_b32 s3, 0
	s_lshl_b64 s[8:9], s[2:3], 2
	s_add_u32 s8, s30, s8
	s_mov_b32 s29, s3
	s_addc_u32 s9, s31, s9
	s_lshl_b64 s[2:3], s[28:29], 2
	s_add_u32 s2, s30, s2
	s_addc_u32 s3, s31, s3
	s_load_dword s7, s[8:9], 0x0
	s_load_dword s10, s[2:3], 0x0
	s_waitcnt lgkmcnt(0)
	s_sub_i32 s2, s7, s10
	s_cmp_eq_u32 s2, 1
	s_cselect_b64 s[2:3], -1, 0
	s_andn2_b64 vcc, exec, s[0:1]
	s_cbranch_vccnz .LBB215_3
.LBB215_2:
	s_mov_b32 s29, 0
	s_mov_b64 s[2:3], -1
.LBB215_3:
	s_andn2_b64 vcc, exec, s[2:3]
	s_cbranch_vccz .LBB215_5
; %bb.4:
	s_endpgm
.LBB215_5:
	s_load_dwordx4 s[20:23], s[4:5], 0x18
	s_load_dword s8, s[4:5], 0x30
	s_lshl_b64 s[36:37], s[28:29], 2
	v_cmp_lt_u32_e32 vcc, 63, v0
	s_waitcnt lgkmcnt(0)
	s_add_u32 s0, s22, s36
	s_addc_u32 s1, s23, s37
	s_load_dword s44, s[0:1], 0x0
	s_load_dword s7, s[4:5], 0x40
	s_mul_i32 s22, s6, s8
	s_mul_i32 s2, s28, s8
	s_waitcnt lgkmcnt(0)
	s_add_i32 s3, s44, 0xff
	s_ashr_i32 s0, s3, 31
	s_lshr_b32 s0, s0, 24
	s_add_i32 s3, s3, s0
	s_and_saveexec_b64 s[0:1], vcc
	s_xor_b64 s[0:1], exec, s[0:1]
	s_or_saveexec_b64 s[38:39], s[0:1]
	s_ashr_i32 s33, s3, 8
	v_mov_b32_e32 v1, s22
	s_mul_i32 s40, s2, s7
	s_xor_b64 exec, exec, s[38:39]
	s_cbranch_execz .LBB215_9
; %bb.6:
	s_add_i32 s0, s33, -1
	v_or_b32_e32 v3, 64, v0
	v_mov_b32_e32 v1, s0
	v_cmp_gt_u32_e64 s[14:15], s33, v3
	v_cndmask_b32_e64 v4, v1, v3, s[14:15]
	v_or_b32_e32 v3, 0x80, v0
	v_cmp_gt_u32_e64 s[12:13], s33, v3
	v_cndmask_b32_e64 v6, v1, v3, s[12:13]
	v_or_b32_e32 v3, 0xc0, v0
	v_cmp_gt_u32_e64 s[10:11], s33, v3
	v_cndmask_b32_e64 v8, v1, v3, s[10:11]
	v_or_b32_e32 v3, 0x100, v0
	s_load_dwordx4 s[24:27], s[4:5], 0x8
	v_cmp_gt_u32_e64 s[8:9], s33, v3
	v_cndmask_b32_e64 v10, v1, v3, s[8:9]
	v_or_b32_e32 v3, 0x140, v0
	v_cmp_gt_u32_e64 s[2:3], s33, v3
	s_mov_b32 s41, 0
	v_cndmask_b32_e64 v12, v1, v3, s[2:3]
	v_or_b32_e32 v3, 0x180, v0
	v_cmp_gt_u32_e64 s[0:1], s33, v3
	s_lshl_b64 s[42:43], s[40:41], 2
	s_mov_b32 s23, s41
	v_cmp_gt_u32_e64 s[16:17], s33, v0
	v_cndmask_b32_e64 v14, v1, v3, s[0:1]
	v_or_b32_e32 v3, 0x1c0, v0
	s_waitcnt lgkmcnt(0)
	s_add_u32 s18, s26, s42
	v_cndmask_b32_e64 v2, v1, v0, s[16:17]
	v_cmp_gt_u32_e32 vcc, s33, v3
	s_addc_u32 s19, s27, s43
	s_lshl_b64 s[26:27], s[22:23], 2
	v_cndmask_b32_e32 v16, v1, v3, vcc
	s_add_u32 s23, s18, s26
	v_ashrrev_i32_e32 v3, 31, v2
	s_addc_u32 s41, s19, s27
	v_lshlrev_b64 v[2:3], 2, v[2:3]
	v_mov_b32_e32 v1, s41
	v_add_co_u32_e64 v18, s[18:19], s23, v2
	v_ashrrev_i32_e32 v5, 31, v4
	v_addc_co_u32_e64 v19, s[18:19], v1, v3, s[18:19]
	v_lshlrev_b64 v[4:5], 2, v[4:5]
	v_add_co_u32_e64 v20, s[18:19], s23, v4
	v_ashrrev_i32_e32 v7, 31, v6
	v_addc_co_u32_e64 v21, s[18:19], v1, v5, s[18:19]
	v_lshlrev_b64 v[6:7], 2, v[6:7]
	;; [unrolled: 4-line block ×7, first 2 shown]
	v_add_co_u32_e64 v32, s[18:19], s23, v16
	v_addc_co_u32_e64 v33, s[18:19], v1, v17, s[18:19]
	global_load_dword v1, v[18:19], off
	s_nop 0
	global_load_dword v18, v[20:21], off
	global_load_dword v19, v[22:23], off
	;; [unrolled: 1-line block ×7, first 2 shown]
	s_waitcnt vmcnt(7)
	v_max_f32_e32 v21, v1, v1
	s_waitcnt vmcnt(6)
	v_max_f32_e32 v20, v18, v18
	v_max_f32_e32 v20, v21, v20
	v_mbcnt_lo_u32_b32 v21, -1, 0
	v_mbcnt_hi_u32_b32 v21, -1, v21
	v_and_b32_e32 v22, 64, v21
	v_add_u32_e32 v22, 64, v22
	v_xor_b32_e32 v23, 32, v21
	s_waitcnt vmcnt(4)
	v_max3_f32 v20, v20, v19, v34
	v_cmp_lt_i32_e64 s[18:19], v23, v22
	s_waitcnt vmcnt(2)
	v_max3_f32 v20, v20, v35, v36
	v_cndmask_b32_e64 v23, v21, v23, s[18:19]
	s_waitcnt vmcnt(0)
	v_max3_f32 v20, v20, v37, v38
	v_lshlrev_b32_e32 v23, 2, v23
	ds_bpermute_b32 v24, v23, v20
	s_waitcnt lgkmcnt(0)
	v_max_f32_e32 v24, v24, v24
	v_max_f32_e32 v20, v20, v24
	v_xor_b32_e32 v24, 16, v21
	v_cmp_lt_i32_e64 s[18:19], v24, v22
	v_cndmask_b32_e64 v24, v21, v24, s[18:19]
	v_lshlrev_b32_e32 v24, 2, v24
	ds_bpermute_b32 v25, v24, v20
	s_waitcnt lgkmcnt(0)
	v_max_f32_e32 v25, v25, v25
	v_max_f32_e32 v20, v20, v25
	v_xor_b32_e32 v25, 8, v21
	v_cmp_lt_i32_e64 s[18:19], v25, v22
	v_cndmask_b32_e64 v25, v21, v25, s[18:19]
	v_lshlrev_b32_e32 v25, 2, v25
	ds_bpermute_b32 v26, v25, v20
	s_waitcnt lgkmcnt(0)
	v_max_f32_e32 v26, v26, v26
	v_max_f32_e32 v20, v20, v26
	v_xor_b32_e32 v26, 4, v21
	v_cmp_lt_i32_e64 s[18:19], v26, v22
	v_cndmask_b32_e64 v26, v21, v26, s[18:19]
	v_lshlrev_b32_e32 v26, 2, v26
	ds_bpermute_b32 v27, v26, v20
	s_waitcnt lgkmcnt(0)
	v_max_f32_e32 v27, v27, v27
	v_max_f32_e32 v20, v20, v27
	v_xor_b32_e32 v27, 2, v21
	v_cmp_lt_i32_e64 s[18:19], v27, v22
	v_cndmask_b32_e64 v27, v21, v27, s[18:19]
	v_lshlrev_b32_e32 v27, 2, v27
	s_add_u32 s18, s24, s42
	ds_bpermute_b32 v28, v27, v20
	s_addc_u32 s19, s25, s43
	s_add_u32 s23, s18, s26
	s_addc_u32 s24, s19, s27
	v_mov_b32_e32 v29, s24
	v_add_co_u32_e64 v2, s[18:19], s23, v2
	v_addc_co_u32_e64 v3, s[18:19], v29, v3, s[18:19]
	global_load_dword v29, v[2:3], off
	s_waitcnt lgkmcnt(0)
	v_max_f32_e32 v2, v28, v28
	v_max_f32_e32 v20, v20, v2
	v_xor_b32_e32 v2, 1, v21
	v_cmp_lt_i32_e64 s[18:19], v2, v22
	v_cndmask_b32_e64 v2, v21, v2, s[18:19]
	v_lshlrev_b32_e32 v21, 2, v2
	v_mov_b32_e32 v3, s24
	v_add_co_u32_e64 v2, s[18:19], s23, v4
	v_addc_co_u32_e64 v3, s[18:19], v3, v5, s[18:19]
	global_load_dword v28, v[2:3], off
	v_mov_b32_e32 v3, s24
	v_add_co_u32_e64 v2, s[18:19], s23, v6
	v_addc_co_u32_e64 v3, s[18:19], v3, v7, s[18:19]
	global_load_dword v30, v[2:3], off
	v_mov_b32_e32 v3, s24
	v_add_co_u32_e64 v2, s[18:19], s23, v8
	v_addc_co_u32_e64 v3, s[18:19], v3, v9, s[18:19]
	ds_bpermute_b32 v22, v21, v20
	global_load_dword v2, v[2:3], off
	v_mov_b32_e32 v5, s24
	v_add_co_u32_e64 v4, s[18:19], s23, v10
	v_addc_co_u32_e64 v5, s[18:19], v5, v11, s[18:19]
	v_mov_b32_e32 v7, s24
	v_add_co_u32_e64 v6, s[18:19], s23, v12
	v_addc_co_u32_e64 v7, s[18:19], v7, v13, s[18:19]
	s_waitcnt lgkmcnt(0)
	v_max_f32_e32 v12, v22, v22
	v_mov_b32_e32 v9, s24
	v_add_co_u32_e64 v8, s[18:19], s23, v14
	v_max_f32_e32 v12, v20, v12
	v_addc_co_u32_e64 v9, s[18:19], v9, v15, s[18:19]
	v_sub_f32_e32 v1, v1, v12
	v_add_co_u32_e64 v10, s[18:19], s23, v16
	s_mov_b32 s23, 0x3fb8aa3b
	v_mul_f32_e32 v3, 0x3fb8aa3b, v1
	v_fma_f32 v13, v1, s23, -v3
	v_rndne_f32_e32 v14, v3
	v_mov_b32_e32 v11, s24
	v_fmac_f32_e32 v13, 0x32a5705f, v1
	v_sub_f32_e32 v3, v3, v14
	v_addc_co_u32_e64 v11, s[18:19], v11, v17, s[18:19]
	v_add_f32_e32 v3, v3, v13
	v_cvt_i32_f32_e32 v13, v14
	global_load_dword v14, v[4:5], off
	global_load_dword v15, v[6:7], off
	;; [unrolled: 1-line block ×4, first 2 shown]
	v_sub_f32_e32 v5, v18, v12
	v_mul_f32_e32 v6, 0x3fb8aa3b, v5
	v_fma_f32 v7, v5, s23, -v6
	v_rndne_f32_e32 v8, v6
	v_exp_f32_e32 v3, v3
	v_fmac_f32_e32 v7, 0x32a5705f, v5
	v_sub_f32_e32 v6, v6, v8
	v_add_f32_e32 v6, v6, v7
	v_exp_f32_e32 v6, v6
	v_cvt_i32_f32_e32 v7, v8
	s_mov_b32 s24, 0xc2ce8ed0
	v_ldexp_f32 v3, v3, v13
	v_cmp_ngt_f32_e64 s[18:19], s24, v1
	s_mov_b32 s25, 0x42b17218
	v_cndmask_b32_e64 v3, 0, v3, s[18:19]
	v_mov_b32_e32 v4, 0x7f800000
	v_cmp_nlt_f32_e64 s[18:19], s25, v1
	v_cndmask_b32_e64 v1, v4, v3, s[18:19]
	v_ldexp_f32 v3, v6, v7
	v_sub_f32_e32 v6, v19, v12
	v_mul_f32_e32 v7, 0x3fb8aa3b, v6
	v_fma_f32 v8, v6, s23, -v7
	v_rndne_f32_e32 v9, v7
	v_fmac_f32_e32 v8, 0x32a5705f, v6
	v_sub_f32_e32 v7, v7, v9
	v_add_f32_e32 v7, v7, v8
	v_exp_f32_e32 v7, v7
	v_cvt_i32_f32_e32 v8, v9
	v_cndmask_b32_e64 v1, 0, v1, s[16:17]
	v_cmp_ngt_f32_e64 s[16:17], s24, v5
	v_cndmask_b32_e64 v3, 0, v3, s[16:17]
	v_cmp_nlt_f32_e64 s[16:17], s25, v5
	v_ldexp_f32 v5, v7, v8
	v_sub_f32_e32 v7, v34, v12
	v_mul_f32_e32 v8, 0x3fb8aa3b, v7
	v_fma_f32 v9, v7, s23, -v8
	v_rndne_f32_e32 v10, v8
	v_fmac_f32_e32 v9, 0x32a5705f, v7
	v_sub_f32_e32 v8, v8, v10
	v_add_f32_e32 v8, v8, v9
	v_exp_f32_e32 v8, v8
	v_cvt_i32_f32_e32 v9, v10
	v_cndmask_b32_e64 v3, v4, v3, s[16:17]
	v_cndmask_b32_e64 v3, 0, v3, s[14:15]
	v_cmp_ngt_f32_e64 s[14:15], s24, v6
	v_cndmask_b32_e64 v5, 0, v5, s[14:15]
	v_cmp_nlt_f32_e64 s[14:15], s25, v6
	v_ldexp_f32 v6, v8, v9
	v_sub_f32_e32 v8, v35, v12
	v_mul_f32_e32 v9, 0x3fb8aa3b, v8
	v_fma_f32 v10, v8, s23, -v9
	v_rndne_f32_e32 v11, v9
	v_fmac_f32_e32 v10, 0x32a5705f, v8
	v_sub_f32_e32 v9, v9, v11
	v_cndmask_b32_e64 v5, v4, v5, s[14:15]
	v_add_f32_e32 v9, v9, v10
	v_cndmask_b32_e64 v5, 0, v5, s[12:13]
	v_cmp_ngt_f32_e64 s[12:13], s24, v7
	v_exp_f32_e32 v9, v9
	v_cvt_i32_f32_e32 v10, v11
	v_cndmask_b32_e64 v6, 0, v6, s[12:13]
	v_cmp_nlt_f32_e64 s[12:13], s25, v7
	v_cndmask_b32_e64 v6, v4, v6, s[12:13]
	v_cndmask_b32_e64 v6, 0, v6, s[10:11]
	v_sub_f32_e32 v7, v36, v12
	s_waitcnt vmcnt(4)
	v_mul_f32_e32 v6, v2, v6
	v_ldexp_f32 v2, v9, v10
	v_mul_f32_e32 v9, 0x3fb8aa3b, v7
	v_fma_f32 v10, v7, s23, -v9
	v_rndne_f32_e32 v11, v9
	v_fmac_f32_e32 v10, 0x32a5705f, v7
	v_sub_f32_e32 v9, v9, v11
	v_add_f32_e32 v9, v9, v10
	v_cmp_ngt_f32_e64 s[10:11], s24, v8
	v_exp_f32_e32 v9, v9
	v_cvt_i32_f32_e32 v10, v11
	v_cndmask_b32_e64 v2, 0, v2, s[10:11]
	v_cmp_nlt_f32_e64 s[10:11], s25, v8
	v_cndmask_b32_e64 v2, v4, v2, s[10:11]
	v_cndmask_b32_e64 v2, 0, v2, s[8:9]
	s_waitcnt vmcnt(3)
	v_mul_f32_e32 v8, v14, v2
	v_ldexp_f32 v2, v9, v10
	v_sub_f32_e32 v9, v37, v12
	v_mul_f32_e32 v10, 0x3fb8aa3b, v9
	v_fma_f32 v11, v9, s23, -v10
	v_rndne_f32_e32 v13, v10
	v_fmac_f32_e32 v11, 0x32a5705f, v9
	v_sub_f32_e32 v10, v10, v13
	v_add_f32_e32 v10, v10, v11
	v_cmp_ngt_f32_e64 s[8:9], s24, v7
	v_exp_f32_e32 v10, v10
	v_cvt_i32_f32_e32 v11, v13
	v_cndmask_b32_e64 v2, 0, v2, s[8:9]
	v_cmp_nlt_f32_e64 s[8:9], s25, v7
	v_cndmask_b32_e64 v2, v4, v2, s[8:9]
	v_cndmask_b32_e64 v2, 0, v2, s[2:3]
	s_waitcnt vmcnt(2)
	v_mul_f32_e32 v7, v15, v2
	v_ldexp_f32 v2, v10, v11
	v_sub_f32_e32 v10, v38, v12
	v_mul_f32_e32 v11, 0x3fb8aa3b, v10
	v_fma_f32 v12, v10, s23, -v11
	v_rndne_f32_e32 v13, v11
	v_fmac_f32_e32 v12, 0x32a5705f, v10
	v_sub_f32_e32 v11, v11, v13
	v_add_f32_e32 v11, v11, v12
	v_exp_f32_e32 v11, v11
	v_cvt_i32_f32_e32 v12, v13
	v_cmp_ngt_f32_e64 s[2:3], s24, v9
	v_cndmask_b32_e64 v2, 0, v2, s[2:3]
	v_cmp_nlt_f32_e64 s[2:3], s25, v9
	v_cndmask_b32_e64 v2, v4, v2, s[2:3]
	v_cndmask_b32_e64 v2, 0, v2, s[0:1]
	v_ldexp_f32 v9, v11, v12
	v_cmp_ngt_f32_e64 s[0:1], s24, v10
	v_mul_f32_e32 v1, v29, v1
	v_mul_f32_e32 v3, v28, v3
	v_cndmask_b32_e64 v9, 0, v9, s[0:1]
	v_cmp_nlt_f32_e64 s[0:1], s25, v10
	v_mul_f32_e32 v5, v30, v5
	v_cndmask_b32_e64 v4, v4, v9, s[0:1]
	v_add_f32_e32 v9, v1, v3
	v_add_f32_e32 v9, v9, v5
	v_add_f32_e32 v9, v9, v6
	v_add_f32_e32 v9, v9, v8
	v_add_f32_e32 v9, v9, v7
	v_cndmask_b32_e32 v4, 0, v4, vcc
	s_waitcnt vmcnt(1)
	v_fmac_f32_e32 v9, v16, v2
	s_waitcnt vmcnt(0)
	v_fmac_f32_e32 v9, v17, v4
	ds_bpermute_b32 v10, v23, v9
	v_lshlrev_b32_e32 v12, 2, v0
	ds_write2st64_b32 v12, v1, v3 offset1:1
	v_mul_f32_e32 v11, v16, v2
	v_cmp_eq_u32_e32 vcc, 0, v0
	s_waitcnt lgkmcnt(1)
	v_add_f32_e32 v9, v9, v10
	ds_bpermute_b32 v10, v24, v9
	v_mul_f32_e32 v4, v17, v4
	ds_write2st64_b32 v12, v5, v6 offset0:2 offset1:3
	ds_write2st64_b32 v12, v8, v7 offset0:4 offset1:5
	;; [unrolled: 1-line block ×3, first 2 shown]
	s_waitcnt lgkmcnt(3)
	v_add_f32_e32 v9, v9, v10
	ds_bpermute_b32 v10, v25, v9
	s_waitcnt lgkmcnt(0)
	v_add_f32_e32 v9, v9, v10
	ds_bpermute_b32 v10, v26, v9
	;; [unrolled: 3-line block ×4, first 2 shown]
	s_and_saveexec_b64 s[0:1], vcc
	s_cbranch_execz .LBB215_8
; %bb.7:
	s_waitcnt lgkmcnt(0)
	v_add_f32_e32 v1, v1, v2
	v_mov_b32_e32 v2, 0
	ds_write_b32 v2, v1 offset:2048
.LBB215_8:
	s_or_b64 exec, exec, s[0:1]
	v_mov_b32_e32 v1, s22
.LBB215_9:
	s_or_b64 exec, exec, s[38:39]
	s_lshl_b32 s0, s40, 6
	s_mov_b32 s1, 0
	s_lshl_b64 s[0:1], s[0:1], 1
	s_add_u32 s0, s20, s0
	s_addc_u32 s1, s21, s1
	s_lshl_b32 s10, s33, 6
	s_waitcnt lgkmcnt(0)
	v_lshlrev_b32_e32 v2, 6, v1
	v_mov_b32_e32 v3, 0
	s_sub_i32 s11, s10, 64
	v_lshlrev_b64 v[4:5], 1, v[2:3]
	s_cmp_lt_i32 s44, 1
	v_mov_b32_e32 v1, s1
	v_add_co_u32_e32 v2, vcc, s0, v4
	s_cselect_b32 s0, s11, 0
	v_addc_co_u32_e32 v1, vcc, v1, v5, vcc
	v_lshlrev_b32_e32 v118, 1, v0
	s_ashr_i32 s1, s0, 31
	v_add_co_u32_e32 v0, vcc, v2, v118
	s_lshl_b64 s[0:1], s[0:1], 1
	v_addc_co_u32_e32 v1, vcc, 0, v1, vcc
	s_cmpk_lt_i32 s44, 0x101
	v_add_co_u32_e32 v4, vcc, s0, v0
	s_cselect_b32 s0, s11, 64
	v_mov_b32_e32 v2, s1
	s_ashr_i32 s1, s0, 31
	s_lshl_b64 s[0:1], s[0:1], 1
	v_addc_co_u32_e32 v5, vcc, v1, v2, vcc
	s_cmpk_lt_i32 s44, 0x201
	v_add_co_u32_e32 v6, vcc, s0, v0
	s_cselect_b32 s0, s11, 0x80
	v_mov_b32_e32 v2, s1
	s_ashr_i32 s1, s0, 31
	;; [unrolled: 7-line block ×8, first 2 shown]
	s_lshl_b64 s[0:1], s[0:1], 1
	v_addc_co_u32_e32 v19, vcc, v1, v2, vcc
	s_cmpk_lt_i32 s44, 0x901
	global_load_ushort v44, v[4:5], off
	global_load_ushort v43, v[6:7], off
	;; [unrolled: 1-line block ×8, first 2 shown]
	v_add_co_u32_e32 v4, vcc, s0, v0
	s_cselect_b32 s0, s11, 0x240
	v_mov_b32_e32 v5, s1
	s_ashr_i32 s1, s0, 31
	s_lshl_b64 s[0:1], s[0:1], 1
	v_addc_co_u32_e32 v5, vcc, v1, v5, vcc
	s_cmpk_lt_i32 s44, 0xa01
	v_add_co_u32_e32 v6, vcc, s0, v0
	s_cselect_b32 s0, s11, 0x280
	v_mov_b32_e32 v7, s1
	s_ashr_i32 s1, s0, 31
	s_lshl_b64 s[0:1], s[0:1], 1
	v_addc_co_u32_e32 v7, vcc, v1, v7, vcc
	s_cmpk_lt_i32 s44, 0xb01
	;; [unrolled: 7-line block ×6, first 2 shown]
	v_add_co_u32_e32 v16, vcc, s0, v0
	s_cselect_b32 s0, s11, 0x3c0
	v_mov_b32_e32 v17, s1
	s_ashr_i32 s1, s0, 31
	v_addc_co_u32_e32 v17, vcc, v1, v17, vcc
	s_lshl_b64 s[0:1], s[0:1], 1
	v_mov_b32_e32 v19, s1
	v_add_co_u32_e32 v18, vcc, s0, v0
	v_addc_co_u32_e32 v19, vcc, v1, v19, vcc
	global_load_ushort v51, v[4:5], off
	global_load_ushort v52, v[6:7], off
	;; [unrolled: 1-line block ×8, first 2 shown]
	s_cmpk_gt_i32 s44, 0x1000
	s_cselect_b64 s[8:9], -1, 0
	s_cmpk_lt_i32 s44, 0x1001
	v_mov_b32_e32 v61, 0
	v_mov_b32_e32 v62, 0
	;; [unrolled: 1-line block ×48, first 2 shown]
	s_waitcnt lgkmcnt(0)
	; wave barrier
	s_cbranch_scc1 .LBB215_12
; %bb.10:
	s_cmpk_lt_u32 s44, 0x1101
	s_cselect_b32 s0, s11, 0x440
	s_ashr_i32 s1, s0, 31
	s_lshl_b64 s[0:1], s[0:1], 1
	s_cmpk_lt_u32 s44, 0x1201
	v_add_co_u32_e32 v4, vcc, s0, v0
	s_cselect_b32 s0, s11, 0x480
	v_mov_b32_e32 v5, s1
	s_ashr_i32 s1, s0, 31
	s_lshl_b64 s[0:1], s[0:1], 1
	v_addc_co_u32_e32 v5, vcc, v1, v5, vcc
	s_cmpk_lt_u32 s44, 0x1301
	v_add_co_u32_e32 v6, vcc, s0, v0
	s_cselect_b32 s0, s11, 0x4c0
	v_mov_b32_e32 v7, s1
	s_ashr_i32 s1, s0, 31
	s_lshl_b64 s[0:1], s[0:1], 1
	v_addc_co_u32_e32 v7, vcc, v1, v7, vcc
	s_cmpk_lt_u32 s44, 0x1401
	v_add_co_u32_e32 v8, vcc, s0, v0
	s_cselect_b32 s0, s11, 0x500
	v_mov_b32_e32 v9, s1
	s_ashr_i32 s1, s0, 31
	s_lshl_b64 s[0:1], s[0:1], 1
	v_addc_co_u32_e32 v9, vcc, v1, v9, vcc
	s_cmpk_lt_u32 s44, 0x1501
	v_add_co_u32_e32 v10, vcc, s0, v0
	s_cselect_b32 s0, s11, 0x540
	v_mov_b32_e32 v11, s1
	s_ashr_i32 s1, s0, 31
	s_lshl_b64 s[0:1], s[0:1], 1
	v_addc_co_u32_e32 v11, vcc, v1, v11, vcc
	s_cmpk_lt_u32 s44, 0x1601
	v_add_co_u32_e32 v12, vcc, s0, v0
	s_cselect_b32 s0, s11, 0x580
	v_mov_b32_e32 v13, s1
	s_ashr_i32 s1, s0, 31
	s_lshl_b64 s[0:1], s[0:1], 1
	v_addc_co_u32_e32 v13, vcc, v1, v13, vcc
	s_cmpk_lt_u32 s44, 0x1701
	v_add_co_u32_e32 v14, vcc, s0, v0
	s_cselect_b32 s0, s11, 0x5c0
	v_mov_b32_e32 v15, s1
	s_ashr_i32 s1, s0, 31
	s_lshl_b64 s[0:1], s[0:1], 1
	v_addc_co_u32_e32 v15, vcc, v1, v15, vcc
	s_cmpk_lt_u32 s44, 0x1801
	v_add_co_u32_e32 v16, vcc, s0, v0
	s_cselect_b32 s0, s11, 0x600
	v_mov_b32_e32 v17, s1
	s_ashr_i32 s1, s0, 31
	s_lshl_b64 s[0:1], s[0:1], 1
	v_addc_co_u32_e32 v17, vcc, v1, v17, vcc
	s_cmpk_lt_u32 s44, 0x1901
	global_load_ushort v60, v[0:1], off offset:2048
	global_load_ushort v59, v[4:5], off
	global_load_ushort v58, v[6:7], off
	;; [unrolled: 1-line block ×7, first 2 shown]
	v_add_co_u32_e32 v4, vcc, s0, v0
	s_cselect_b32 s0, s11, 0x640
	v_mov_b32_e32 v5, s1
	s_ashr_i32 s1, s0, 31
	s_lshl_b64 s[0:1], s[0:1], 1
	v_addc_co_u32_e32 v5, vcc, v1, v5, vcc
	s_cmpk_lt_u32 s44, 0x1a01
	v_add_co_u32_e32 v6, vcc, s0, v0
	s_cselect_b32 s0, s11, 0x680
	v_mov_b32_e32 v7, s1
	s_ashr_i32 s1, s0, 31
	s_lshl_b64 s[0:1], s[0:1], 1
	v_addc_co_u32_e32 v7, vcc, v1, v7, vcc
	s_cmpk_lt_u32 s44, 0x1b01
	;; [unrolled: 7-line block ×6, first 2 shown]
	v_add_co_u32_e32 v16, vcc, s0, v0
	s_cselect_b32 s0, s11, 0x7c0
	v_mov_b32_e32 v17, s1
	s_ashr_i32 s1, s0, 31
	v_addc_co_u32_e32 v17, vcc, v1, v17, vcc
	s_lshl_b64 s[0:1], s[0:1], 1
	v_mov_b32_e32 v19, s1
	v_add_co_u32_e32 v18, vcc, s0, v0
	v_addc_co_u32_e32 v19, vcc, v1, v19, vcc
	global_load_ushort v68, v[4:5], off
	global_load_ushort v67, v[6:7], off
	;; [unrolled: 1-line block ×8, first 2 shown]
	s_cmpk_lt_u32 s44, 0x2001
	v_mov_b32_e32 v35, 0
	v_mov_b32_e32 v33, 0
	;; [unrolled: 1-line block ×32, first 2 shown]
	s_cbranch_scc1 .LBB215_12
; %bb.11:
	s_cmpk_lt_u32 s44, 0x2101
	s_cselect_b32 s0, s11, 0x840
	s_ashr_i32 s1, s0, 31
	s_lshl_b64 s[0:1], s[0:1], 1
	s_cmpk_lt_u32 s44, 0x2201
	v_add_co_u32_e32 v4, vcc, s0, v0
	s_cselect_b32 s0, s11, 0x880
	v_mov_b32_e32 v5, s1
	s_ashr_i32 s1, s0, 31
	s_lshl_b64 s[0:1], s[0:1], 1
	v_addc_co_u32_e32 v5, vcc, v1, v5, vcc
	s_cmpk_lt_u32 s44, 0x2301
	v_add_co_u32_e32 v6, vcc, s0, v0
	s_cselect_b32 s0, s11, 0x8c0
	v_mov_b32_e32 v7, s1
	s_ashr_i32 s1, s0, 31
	s_lshl_b64 s[0:1], s[0:1], 1
	v_addc_co_u32_e32 v7, vcc, v1, v7, vcc
	;; [unrolled: 7-line block ×30, first 2 shown]
	v_mov_b32_e32 v69, s1
	s_movk_i32 s1, 0x1000
	v_add_co_u32_e32 v96, vcc, s1, v0
	v_addc_co_u32_e32 v97, vcc, 0, v1, vcc
	global_load_ushort v98, v[96:97], off
	global_load_ushort v99, v[4:5], off
	;; [unrolled: 1-line block ×15, first 2 shown]
                                        ; kill: killed $vgpr18 killed $vgpr19
                                        ; kill: killed $vgpr26 killed $vgpr27
                                        ; kill: killed $vgpr8 killed $vgpr9
                                        ; kill: killed $vgpr70 killed $vgpr71
                                        ; kill: killed $vgpr14 killed $vgpr15
                                        ; kill: killed $vgpr20 killed $vgpr21
                                        ; kill: killed $vgpr4 killed $vgpr5
                                        ; kill: killed $vgpr30 killed $vgpr31
                                        ; kill: killed $vgpr10 killed $vgpr11
                                        ; kill: killed $vgpr16 killed $vgpr17
                                        ; kill: killed $vgpr22 killed $vgpr23
                                        ; kill: killed $vgpr6 killed $vgpr7
                                        ; kill: killed $vgpr96 killed $vgpr97
                                        ; kill: killed $vgpr34 killed $vgpr35
                                        ; kill: killed $vgpr12 killed $vgpr13
	global_load_ushort v6, v[24:25], off
	global_load_ushort v7, v[28:29], off
	;; [unrolled: 1-line block ×15, first 2 shown]
                                        ; kill: killed $vgpr28 killed $vgpr29
                                        ; kill: killed $vgpr88 killed $vgpr89
                                        ; kill: killed $vgpr72 killed $vgpr73
                                        ; kill: killed $vgpr94 killed $vgpr95
                                        ; kill: killed $vgpr78 killed $vgpr79
                                        ; kill: killed $vgpr84 killed $vgpr85
                                        ; kill: killed $vgpr32 killed $vgpr33
                                        ; kill: killed $vgpr90 killed $vgpr91
                                        ; kill: killed $vgpr74 killed $vgpr75
                                        ; kill: killed $vgpr80 killed $vgpr81
                                        ; kill: killed $vgpr24 killed $vgpr25
                                        ; kill: killed $vgpr36 killed $vgpr37
                                        ; kill: killed $vgpr92 killed $vgpr93
                                        ; kill: killed $vgpr76 killed $vgpr77
                                        ; kill: killed $vgpr82 killed $vgpr83
	global_load_ushort v36, v[86:87], off
	v_add_co_u32_e32 v4, vcc, s0, v0
	v_addc_co_u32_e32 v5, vcc, v1, v69, vcc
	global_load_ushort v5, v[4:5], off
	s_waitcnt vmcnt(31)
	v_lshlrev_b32_e32 v35, 16, v98
	s_waitcnt vmcnt(30)
	v_lshlrev_b32_e32 v33, 16, v99
	;; [unrolled: 2-line block ×32, first 2 shown]
.LBB215_12:
	s_load_dwordx2 s[0:1], s[4:5], 0x0
	s_load_dwordx2 s[2:3], s[4:5], 0x38
	ds_read_b128 v[70:73], v3
	s_waitcnt vmcnt(15)
	v_lshlrev_b32_e32 v36, 16, v44
	ds_read_b128 v[74:77], v3 offset:16
	ds_read_b128 v[78:81], v3 offset:32
	;; [unrolled: 1-line block ×3, first 2 shown]
	s_waitcnt vmcnt(10)
	v_lshlrev_b32_e32 v37, 16, v40
	s_and_b64 vcc, exec, s[8:9]
	s_waitcnt lgkmcnt(0)
	v_fma_f32 v44, v70, v36, 0
	v_lshlrev_b32_e32 v36, 16, v43
	v_fmac_f32_e32 v44, v71, v36
	v_lshlrev_b32_e32 v36, 16, v42
	v_fmac_f32_e32 v44, v72, v36
	;; [unrolled: 2-line block ×3, first 2 shown]
	v_lshlrev_b32_e32 v36, 16, v39
	v_pk_mul_f32 v[36:37], v[74:75], v[36:37]
	v_add_f32_e32 v36, v44, v36
	v_add_f32_e32 v39, v36, v37
	s_waitcnt vmcnt(8)
	v_lshlrev_b32_e32 v37, 16, v38
	v_lshlrev_b32_e32 v36, 16, v2
	v_pk_mul_f32 v[36:37], v[76:77], v[36:37]
	v_add_f32_e32 v2, v39, v36
	v_add_f32_e32 v2, v2, v37
	s_waitcnt vmcnt(6)
	v_lshlrev_b32_e32 v37, 16, v52
	;; [unrolled: 6-line block ×5, first 2 shown]
	v_lshlrev_b32_e32 v36, 16, v45
	v_pk_mul_f32 v[36:37], v[84:85], v[36:37]
	v_add_f32_e32 v2, v2, v36
	v_add_f32_e32 v119, v2, v37
	s_cbranch_vccz .LBB215_15
; %bb.13:
	ds_read_b128 v[36:39], v3 offset:64
	v_lshlrev_b32_e32 v2, 16, v60
	ds_read_b128 v[40:43], v3 offset:80
	ds_read_b128 v[44:47], v3 offset:96
	;; [unrolled: 1-line block ×3, first 2 shown]
	s_cmpk_lt_u32 s44, 0x2001
	s_waitcnt lgkmcnt(3)
	v_fmac_f32_e32 v119, v36, v2
	v_lshlrev_b32_e32 v2, 16, v59
	v_fmac_f32_e32 v119, v37, v2
	v_lshlrev_b32_e32 v2, 16, v58
	v_fmac_f32_e32 v119, v38, v2
	v_lshlrev_b32_e32 v2, 16, v57
	v_fmac_f32_e32 v119, v39, v2
	v_lshlrev_b32_e32 v2, 16, v56
	s_waitcnt lgkmcnt(2)
	v_fmac_f32_e32 v119, v40, v2
	v_lshlrev_b32_e32 v2, 16, v55
	v_fmac_f32_e32 v119, v41, v2
	v_lshlrev_b32_e32 v2, 16, v54
	v_fmac_f32_e32 v119, v42, v2
	v_lshlrev_b32_e32 v2, 16, v53
	v_fmac_f32_e32 v119, v43, v2
	v_lshlrev_b32_e32 v2, 16, v68
	;; [unrolled: 9-line block ×3, first 2 shown]
	s_waitcnt lgkmcnt(0)
	v_fmac_f32_e32 v119, v48, v2
	v_lshlrev_b32_e32 v2, 16, v63
	v_fmac_f32_e32 v119, v49, v2
	v_lshlrev_b32_e32 v2, 16, v62
	;; [unrolled: 2-line block ×3, first 2 shown]
	v_fmac_f32_e32 v119, v51, v2
	s_cbranch_scc1 .LBB215_15
; %bb.14:
	v_mov_b32_e32 v52, 0
	ds_read_b128 v[36:39], v52 offset:128
	ds_read_b128 v[40:43], v52 offset:144
	;; [unrolled: 1-line block ×4, first 2 shown]
	s_waitcnt lgkmcnt(3)
	v_fmac_f32_e32 v119, v36, v35
	v_fmac_f32_e32 v119, v37, v33
	v_fmac_f32_e32 v119, v38, v34
	v_fmac_f32_e32 v119, v39, v31
	s_waitcnt lgkmcnt(2)
	v_fmac_f32_e32 v119, v40, v32
	v_fmac_f32_e32 v119, v41, v29
	v_fmac_f32_e32 v119, v42, v30
	v_fmac_f32_e32 v119, v43, v27
	;; [unrolled: 5-line block ×3, first 2 shown]
	s_waitcnt lgkmcnt(0)
	v_fmac_f32_e32 v119, v48, v24
	ds_read_b128 v[24:27], v52 offset:192
	v_fmac_f32_e32 v119, v49, v21
	v_fmac_f32_e32 v119, v50, v22
	;; [unrolled: 1-line block ×3, first 2 shown]
	ds_read_b128 v[20:23], v52 offset:208
	s_waitcnt lgkmcnt(1)
	v_fmac_f32_e32 v119, v24, v19
	v_fmac_f32_e32 v119, v25, v17
	;; [unrolled: 1-line block ×4, first 2 shown]
	s_waitcnt lgkmcnt(0)
	v_pk_mul_f32 v[2:3], v[20:21], v[14:15]
	ds_read_b128 v[14:17], v52 offset:224
	v_add_f32_e32 v2, v119, v2
	v_add_f32_e32 v18, v2, v3
	v_pk_mul_f32 v[2:3], v[22:23], v[12:13]
	v_add_f32_e32 v2, v18, v2
	ds_read_b128 v[18:21], v52 offset:240
	v_add_f32_e32 v12, v2, v3
	s_waitcnt lgkmcnt(1)
	v_pk_mul_f32 v[2:3], v[14:15], v[10:11]
	v_add_f32_e32 v2, v12, v2
	v_add_f32_e32 v10, v2, v3
	v_pk_mul_f32 v[2:3], v[16:17], v[8:9]
	v_add_f32_e32 v2, v10, v2
	v_add_f32_e32 v8, v2, v3
	s_waitcnt lgkmcnt(0)
	v_pk_mul_f32 v[2:3], v[18:19], v[6:7]
	v_add_f32_e32 v2, v8, v2
	v_add_f32_e32 v6, v2, v3
	v_pk_mul_f32 v[2:3], v[20:21], v[4:5]
	v_add_f32_e32 v2, v6, v2
	v_add_f32_e32 v119, v2, v3
.LBB215_15:
	s_movk_i32 s4, 0x1fc0
	s_movk_i32 s5, 0x100
	s_mov_b32 s8, 64
	s_branch .LBB215_17
.LBB215_16:                             ;   in Loop: Header=BB215_17 Depth=1
	s_addk_i32 s4, 0x1000
	s_addk_i32 s5, 0x100
	s_add_i32 s8, s8, 64
	s_cmpk_eq_u32 s4, 0x8fc0
	s_cbranch_scc1 .LBB215_19
.LBB215_17:                             ; =>This Inner Loop Header: Depth=1
	s_cmp_le_i32 s33, s8
	s_cbranch_scc1 .LBB215_16
; %bb.18:                               ;   in Loop: Header=BB215_17 Depth=1
	s_add_i32 s9, s4, 0xfffff040
	s_cmp_lt_i32 s9, s10
	s_cselect_b32 s12, s9, s11
	s_ashr_i32 s13, s12, 31
	s_lshl_b64 s[12:13], s[12:13], 1
	s_add_i32 s9, s4, 0xfffff080
	s_cmp_lt_i32 s9, s10
	v_add_co_u32_e32 v4, vcc, s12, v0
	s_cselect_b32 s12, s9, s11
	v_mov_b32_e32 v2, s13
	s_ashr_i32 s13, s12, 31
	s_lshl_b64 s[12:13], s[12:13], 1
	s_add_i32 s9, s4, 0xfffff0c0
	v_addc_co_u32_e32 v5, vcc, v1, v2, vcc
	s_cmp_lt_i32 s9, s10
	v_add_co_u32_e32 v2, vcc, s12, v0
	s_cselect_b32 s12, s9, s11
	v_mov_b32_e32 v3, s13
	s_ashr_i32 s13, s12, 31
	s_lshl_b64 s[12:13], s[12:13], 1
	s_add_i32 s9, s4, 0xfffff100
	v_addc_co_u32_e32 v3, vcc, v1, v3, vcc
	;; [unrolled: 8-line block ×21, first 2 shown]
	s_cmp_lt_i32 s9, s10
	global_load_ushort v120, v[4:5], off
	global_load_ushort v122, v[6:7], off
	global_load_ushort v123, v[8:9], off
	global_load_ushort v124, v[10:11], off
	v_add_co_u32_e32 v44, vcc, s12, v0
	s_cselect_b32 s12, s9, s11
	v_mov_b32_e32 v45, s13
	s_ashr_i32 s13, s12, 31
	s_lshl_b64 s[12:13], s[12:13], 1
	s_add_i32 s9, s4, 0xfffff600
	v_addc_co_u32_e32 v45, vcc, v1, v45, vcc
	s_cmp_lt_i32 s9, s10
	v_add_co_u32_e32 v46, vcc, s12, v0
	s_cselect_b32 s12, s9, s11
	v_mov_b32_e32 v47, s13
	s_ashr_i32 s13, s12, 31
	s_lshl_b64 s[12:13], s[12:13], 1
	s_add_i32 s9, s4, 0xfffff640
	v_addc_co_u32_e32 v47, vcc, v1, v47, vcc
	s_cmp_lt_i32 s9, s10
	;; [unrolled: 8-line block ×8, first 2 shown]
	global_load_ushort v121, v[2:3], off
	v_add_co_u32_e32 v60, vcc, s12, v0
	s_cselect_b32 s12, s9, s11
	v_mov_b32_e32 v61, s13
	s_ashr_i32 s13, s12, 31
	s_lshl_b64 s[12:13], s[12:13], 1
	s_add_i32 s9, s4, 0xfffff800
	v_addc_co_u32_e32 v61, vcc, v1, v61, vcc
	s_cmp_lt_i32 s9, s10
	v_add_co_u32_e32 v62, vcc, s12, v0
	s_cselect_b32 s12, s9, s11
	global_load_ushort v125, v[12:13], off
	global_load_ushort v126, v[14:15], off
	v_mov_b32_e32 v63, s13
	s_ashr_i32 s13, s12, 31
	global_load_ushort v127, v[16:17], off
	global_load_ushort v128, v[18:19], off
	;; [unrolled: 1-line block ×3, first 2 shown]
	s_lshl_b64 s[12:13], s[12:13], 1
	s_add_i32 s9, s4, 0xfffff840
	v_addc_co_u32_e32 v63, vcc, v1, v63, vcc
	s_cmp_lt_i32 s9, s10
	v_add_co_u32_e32 v64, vcc, s12, v0
	s_cselect_b32 s12, s9, s11
	v_mov_b32_e32 v65, s13
	s_ashr_i32 s13, s12, 31
	s_lshl_b64 s[12:13], s[12:13], 1
	s_add_i32 s9, s4, 0xfffff880
	v_addc_co_u32_e32 v65, vcc, v1, v65, vcc
	s_cmp_lt_i32 s9, s10
	v_add_co_u32_e32 v66, vcc, s12, v0
	s_cselect_b32 s12, s9, s11
	v_mov_b32_e32 v67, s13
	s_ashr_i32 s13, s12, 31
	global_load_ushort v130, v[22:23], off
	global_load_ushort v131, v[24:25], off
	s_lshl_b64 s[12:13], s[12:13], 1
	s_add_i32 s9, s4, 0xfffff8c0
	v_addc_co_u32_e32 v67, vcc, v1, v67, vcc
	s_cmp_lt_i32 s9, s10
	global_load_ushort v132, v[26:27], off
	global_load_ushort v133, v[28:29], off
	v_add_co_u32_e32 v68, vcc, s12, v0
	s_cselect_b32 s12, s9, s11
	v_mov_b32_e32 v69, s13
	s_ashr_i32 s13, s12, 31
	s_lshl_b64 s[12:13], s[12:13], 1
	s_add_i32 s9, s4, 0xfffff900
	v_addc_co_u32_e32 v69, vcc, v1, v69, vcc
	s_cmp_lt_i32 s9, s10
	v_add_co_u32_e32 v70, vcc, s12, v0
	s_cselect_b32 s12, s9, s11
	v_mov_b32_e32 v71, s13
	s_ashr_i32 s13, s12, 31
	global_load_ushort v134, v[30:31], off
	global_load_ushort v135, v[32:33], off
	s_lshl_b64 s[12:13], s[12:13], 1
	s_add_i32 s9, s4, 0xfffff940
	v_addc_co_u32_e32 v71, vcc, v1, v71, vcc
	s_cmp_lt_i32 s9, s10
	v_add_co_u32_e32 v72, vcc, s12, v0
	s_cselect_b32 s12, s9, s11
	v_mov_b32_e32 v73, s13
	s_ashr_i32 s13, s12, 31
	s_lshl_b64 s[12:13], s[12:13], 1
	s_add_i32 s9, s4, 0xfffff980
	global_load_ushort v30, v[34:35], off
	global_load_ushort v31, v[36:37], off
	;; [unrolled: 1-line block ×4, first 2 shown]
	v_addc_co_u32_e32 v73, vcc, v1, v73, vcc
	s_cmp_lt_i32 s9, s10
	v_add_co_u32_e32 v74, vcc, s12, v0
	s_cselect_b32 s12, s9, s11
	v_mov_b32_e32 v75, s13
	s_ashr_i32 s13, s12, 31
	s_lshl_b64 s[12:13], s[12:13], 1
	s_add_i32 s9, s4, 0xfffff9c0
	v_addc_co_u32_e32 v75, vcc, v1, v75, vcc
	s_cmp_lt_i32 s9, s10
	v_add_co_u32_e32 v76, vcc, s12, v0
	s_cselect_b32 s12, s9, s11
	v_mov_b32_e32 v77, s13
	s_ashr_i32 s13, s12, 31
	s_lshl_b64 s[12:13], s[12:13], 1
	s_add_i32 s9, s4, 0xfffffa00
	v_addc_co_u32_e32 v77, vcc, v1, v77, vcc
	s_cmp_lt_i32 s9, s10
	v_add_co_u32_e32 v78, vcc, s12, v0
	s_cselect_b32 s12, s9, s11
	global_load_ushort v34, v[42:43], off
	global_load_ushort v35, v[44:45], off
	v_mov_b32_e32 v79, s13
	s_ashr_i32 s13, s12, 31
	s_lshl_b64 s[12:13], s[12:13], 1
	s_add_i32 s9, s4, 0xfffffa40
	v_addc_co_u32_e32 v79, vcc, v1, v79, vcc
	s_cmp_lt_i32 s9, s10
	v_add_co_u32_e32 v80, vcc, s12, v0
	s_cselect_b32 s12, s9, s11
	v_mov_b32_e32 v81, s13
	s_ashr_i32 s13, s12, 31
	global_load_ushort v38, v[46:47], off
	s_lshl_b64 s[12:13], s[12:13], 1
	s_add_i32 s9, s4, 0xfffffa80
	v_mov_b32_e32 v37, s5
	v_addc_co_u32_e32 v81, vcc, v1, v81, vcc
	s_cmp_lt_i32 s9, s10
	ds_read_b128 v[14:17], v37
	ds_read_b128 v[18:21], v37 offset:16
	global_load_ushort v39, v[48:49], off
	v_add_co_u32_e32 v82, vcc, s12, v0
	s_cselect_b32 s12, s9, s11
	v_mov_b32_e32 v83, s13
	s_ashr_i32 s13, s12, 31
	s_lshl_b64 s[12:13], s[12:13], 1
	s_add_i32 s9, s4, 0xfffffac0
	v_addc_co_u32_e32 v83, vcc, v1, v83, vcc
	s_cmp_lt_i32 s9, s10
	s_waitcnt vmcnt(23)
	v_lshlrev_b32_e32 v36, 16, v120
	v_add_co_u32_e32 v84, vcc, s12, v0
	s_cselect_b32 s12, s9, s11
	ds_read_b128 v[22:25], v37 offset:32
	ds_read_b128 v[26:29], v37 offset:48
	s_waitcnt lgkmcnt(3)
	v_fmac_f32_e32 v119, v14, v36
	global_load_ushort v36, v[50:51], off
	global_load_ushort v40, v[52:53], off
	;; [unrolled: 1-line block ×6, first 2 shown]
	v_mov_b32_e32 v85, s13
	s_ashr_i32 s13, s12, 31
	s_lshl_b64 s[12:13], s[12:13], 1
	s_add_i32 s9, s4, 0xfffffb00
	v_addc_co_u32_e32 v85, vcc, v1, v85, vcc
	s_cmp_lt_i32 s9, s10
	v_add_co_u32_e32 v86, vcc, s12, v0
	s_cselect_b32 s12, s9, s11
	v_mov_b32_e32 v87, s13
	s_ashr_i32 s13, s12, 31
	s_lshl_b64 s[12:13], s[12:13], 1
	s_add_i32 s9, s4, 0xfffffb40
	v_addc_co_u32_e32 v87, vcc, v1, v87, vcc
	s_cmp_lt_i32 s9, s10
	v_add_co_u32_e32 v88, vcc, s12, v0
	s_cselect_b32 s12, s9, s11
	;; [unrolled: 8-line block ×7, first 2 shown]
	v_mov_b32_e32 v99, s13
	s_ashr_i32 s13, s12, 31
	s_lshl_b64 s[12:13], s[12:13], 1
	s_add_i32 s9, s4, 0xfffffcc0
	v_addc_co_u32_e32 v99, vcc, v1, v99, vcc
	s_cmp_lt_i32 s9, s10
	s_waitcnt vmcnt(25)
	v_lshlrev_b32_e32 v14, 16, v121
	v_add_co_u32_e32 v100, vcc, s12, v0
	s_cselect_b32 s12, s9, s11
	v_fmac_f32_e32 v119, v15, v14
	v_lshlrev_b32_e32 v14, 16, v122
	v_mov_b32_e32 v101, s13
	s_ashr_i32 s13, s12, 31
	v_fmac_f32_e32 v119, v16, v14
	v_lshlrev_b32_e32 v14, 16, v123
	s_lshl_b64 s[12:13], s[12:13], 1
	s_add_i32 s9, s4, 0xfffffd00
	v_fmac_f32_e32 v119, v17, v14
	v_lshlrev_b32_e32 v14, 16, v124
	v_addc_co_u32_e32 v101, vcc, v1, v101, vcc
	s_cmp_lt_i32 s9, s10
	s_waitcnt lgkmcnt(2)
	v_fmac_f32_e32 v119, v18, v14
	s_waitcnt vmcnt(24)
	v_lshlrev_b32_e32 v14, 16, v125
	v_add_co_u32_e32 v102, vcc, s12, v0
	s_cselect_b32 s12, s9, s11
	v_fmac_f32_e32 v119, v19, v14
	s_waitcnt vmcnt(23)
	v_lshlrev_b32_e32 v14, 16, v126
	v_mov_b32_e32 v103, s13
	s_ashr_i32 s13, s12, 31
	v_fmac_f32_e32 v119, v20, v14
	s_waitcnt vmcnt(22)
	v_lshlrev_b32_e32 v14, 16, v127
	s_lshl_b64 s[12:13], s[12:13], 1
	s_add_i32 s9, s4, 0xfffffd40
	v_fmac_f32_e32 v119, v21, v14
	s_waitcnt vmcnt(21)
	v_lshlrev_b32_e32 v14, 16, v128
	v_addc_co_u32_e32 v103, vcc, v1, v103, vcc
	s_cmp_lt_i32 s9, s10
	s_waitcnt lgkmcnt(1)
	v_fmac_f32_e32 v119, v22, v14
	global_load_ushort v22, v[62:63], off
	v_add_co_u32_e32 v104, vcc, s12, v0
	s_cselect_b32 s12, s9, s11
	v_mov_b32_e32 v105, s13
	s_ashr_i32 s13, s12, 31
	s_lshl_b64 s[12:13], s[12:13], 1
	s_add_i32 s9, s4, 0xfffffd80
	s_waitcnt vmcnt(21)
	v_lshlrev_b32_e32 v14, 16, v129
	v_addc_co_u32_e32 v105, vcc, v1, v105, vcc
	s_cmp_lt_i32 s9, s10
	v_fmac_f32_e32 v119, v23, v14
	global_load_ushort v23, v[64:65], off
	v_add_co_u32_e32 v106, vcc, s12, v0
	s_cselect_b32 s12, s9, s11
	s_waitcnt vmcnt(21)
	v_lshlrev_b32_e32 v14, 16, v130
	global_load_ushort v45, v[66:67], off
	v_mov_b32_e32 v107, s13
	s_ashr_i32 s13, s12, 31
	v_fmac_f32_e32 v119, v24, v14
	global_load_ushort v24, v[68:69], off
	s_waitcnt vmcnt(22)
	v_lshlrev_b32_e32 v14, 16, v131
	s_lshl_b64 s[12:13], s[12:13], 1
	s_add_i32 s9, s4, 0xfffffdc0
	v_fmac_f32_e32 v119, v25, v14
	global_load_ushort v25, v[70:71], off
	global_load_ushort v46, v[72:73], off
	v_addc_co_u32_e32 v107, vcc, v1, v107, vcc
	s_cmp_lt_i32 s9, s10
	s_waitcnt vmcnt(23)
	v_lshlrev_b32_e32 v14, 16, v132
	v_add_co_u32_e32 v110, vcc, s12, v0
	s_cselect_b32 s12, s9, s11
	s_waitcnt lgkmcnt(0)
	v_fmac_f32_e32 v119, v26, v14
	global_load_ushort v26, v[74:75], off
	global_load_ushort v47, v[76:77], off
	v_mov_b32_e32 v108, s13
	s_ashr_i32 s13, s12, 31
	s_waitcnt vmcnt(24)
	v_lshlrev_b32_e32 v14, 16, v133
	s_lshl_b64 s[12:13], s[12:13], 1
	s_add_i32 s9, s4, 0xfffffe00
	v_fmac_f32_e32 v119, v27, v14
	global_load_ushort v27, v[78:79], off
	v_addc_co_u32_e32 v111, vcc, v1, v108, vcc
	s_cmp_lt_i32 s9, s10
	v_add_co_u32_e32 v108, vcc, s12, v0
	s_cselect_b32 s12, s9, s11
	s_waitcnt vmcnt(24)
	v_lshlrev_b32_e32 v14, 16, v134
	v_mov_b32_e32 v109, s13
	s_ashr_i32 s13, s12, 31
	v_fmac_f32_e32 v119, v28, v14
	global_load_ushort v28, v[80:81], off
	s_waitcnt vmcnt(24)
	v_lshlrev_b32_e32 v14, 16, v135
	s_lshl_b64 s[12:13], s[12:13], 1
	s_add_i32 s9, s4, 0xfffffe40
	v_fmac_f32_e32 v119, v29, v14
	ds_read_b128 v[14:17], v37 offset:64
	ds_read_b128 v[18:21], v37 offset:80
	v_addc_co_u32_e32 v109, vcc, v1, v109, vcc
	s_cmp_lt_i32 s9, s10
	global_load_ushort v48, v[82:83], off
	global_load_ushort v29, v[84:85], off
	;; [unrolled: 1-line block ×4, first 2 shown]
	v_add_co_u32_e32 v114, vcc, s12, v0
	s_cselect_b32 s12, s9, s11
	v_mov_b32_e32 v112, s13
	s_ashr_i32 s13, s12, 31
	s_lshl_b64 s[12:13], s[12:13], 1
	s_add_i32 s9, s4, 0xfffffe80
	s_waitcnt vmcnt(27)
	v_lshlrev_b32_e32 v30, 16, v30
	v_addc_co_u32_e32 v115, vcc, v1, v112, vcc
	s_cmp_lt_i32 s9, s10
	s_waitcnt lgkmcnt(1)
	v_fmac_f32_e32 v119, v14, v30
	global_load_ushort v30, v[90:91], off
	v_add_co_u32_e32 v112, vcc, s12, v0
	s_cselect_b32 s12, s9, s11
	s_waitcnt vmcnt(27)
	v_lshlrev_b32_e32 v14, 16, v31
	global_load_ushort v31, v[92:93], off
	global_load_ushort v51, v[94:95], off
	v_mov_b32_e32 v113, s13
	s_ashr_i32 s13, s12, 31
	s_lshl_b64 s[12:13], s[12:13], 1
	s_add_i32 s9, s4, 0xfffffec0
	v_addc_co_u32_e32 v113, vcc, v1, v113, vcc
	s_cmp_lt_i32 s9, s10
	v_add_co_u32_e32 v116, vcc, s12, v0
	s_cselect_b32 s12, s9, s11
	v_mov_b32_e32 v117, s13
	s_ashr_i32 s13, s12, 31
	v_fmac_f32_e32 v119, v15, v14
	s_waitcnt vmcnt(28)
	v_lshlrev_b32_e32 v14, 16, v32
	global_load_ushort v32, v[96:97], off
	s_lshl_b64 s[12:13], s[12:13], 1
	s_add_i32 s9, s4, 0xffffff00
	v_fmac_f32_e32 v119, v16, v14
	s_waitcnt vmcnt(28)
	v_lshlrev_b32_e32 v14, 16, v33
	global_load_ushort v33, v[98:99], off
	v_addc_co_u32_e32 v117, vcc, v1, v117, vcc
	s_cmp_lt_i32 s9, s10
	v_fmac_f32_e32 v119, v17, v14
	s_waitcnt vmcnt(28)
	v_lshlrev_b32_e32 v14, 16, v34
	global_load_ushort v34, v[100:101], off
	global_load_ushort v52, v[102:103], off
	v_add_co_u32_e32 v2, vcc, s12, v0
	s_cselect_b32 s12, s9, s11
	v_mov_b32_e32 v4, s13
	s_ashr_i32 s13, s12, 31
	s_lshl_b64 s[12:13], s[12:13], 1
	s_add_i32 s9, s4, 0xffffff40
	s_waitcnt lgkmcnt(0)
	v_fmac_f32_e32 v119, v18, v14
	s_waitcnt vmcnt(29)
	v_lshlrev_b32_e32 v14, 16, v35
	global_load_ushort v35, v[104:105], off
	global_load_ushort v53, v[106:107], off
	global_load_ushort v54, v[110:111], off
	v_addc_co_u32_e32 v3, vcc, v1, v4, vcc
	s_cmp_lt_i32 s9, s10
	v_add_co_u32_e32 v4, vcc, s12, v0
	s_cselect_b32 s12, s9, s11
	v_mov_b32_e32 v5, s13
	s_ashr_i32 s13, s12, 31
	v_fmac_f32_e32 v119, v19, v14
	s_waitcnt vmcnt(31)
	v_lshlrev_b32_e32 v14, 16, v38
	global_load_ushort v38, v[108:109], off
	global_load_ushort v55, v[114:115], off
	s_lshl_b64 s[12:13], s[12:13], 1
	s_add_i32 s9, s4, 0xffffff80
	v_addc_co_u32_e32 v5, vcc, v1, v5, vcc
	s_cmp_lt_i32 s9, s10
	v_fmac_f32_e32 v119, v20, v14
	s_waitcnt vmcnt(32)
	v_lshlrev_b32_e32 v14, 16, v39
	v_add_co_u32_e32 v6, vcc, s12, v0
	s_cselect_b32 s12, s9, s11
	v_fmac_f32_e32 v119, v21, v14
	ds_read_b128 v[14:17], v37 offset:96
	v_mov_b32_e32 v7, s13
	s_ashr_i32 s13, s12, 31
	s_lshl_b64 s[12:13], s[12:13], 1
	s_sub_i32 s9, s4, 64
	v_addc_co_u32_e32 v7, vcc, v1, v7, vcc
	s_cmp_lt_i32 s9, s10
	global_load_ushort v39, v[112:113], off
	global_load_ushort v56, v[116:117], off
	v_add_co_u32_e32 v10, vcc, s12, v0
	s_cselect_b32 s12, s9, s11
	s_waitcnt vmcnt(33)
	v_lshlrev_b32_e32 v36, 16, v36
	v_mov_b32_e32 v8, s13
	s_ashr_i32 s13, s12, 31
	s_waitcnt lgkmcnt(0)
	v_fmac_f32_e32 v119, v14, v36
	s_waitcnt vmcnt(32)
	v_lshlrev_b32_e32 v14, 16, v40
	s_lshl_b64 s[12:13], s[12:13], 1
	ds_read_b128 v[18:21], v37 offset:112
	v_fmac_f32_e32 v119, v15, v14
	global_load_ushort v14, v[2:3], off
	global_load_ushort v15, v[4:5], off
	v_addc_co_u32_e32 v11, vcc, v1, v8, vcc
	s_cmp_lt_i32 s4, s10
	v_add_co_u32_e32 v8, vcc, s12, v0
	s_cselect_b32 s12, s4, s11
	s_waitcnt vmcnt(33)
	v_lshlrev_b32_e32 v2, 16, v41
	v_mov_b32_e32 v9, s13
	s_ashr_i32 s13, s12, 31
	v_fmac_f32_e32 v119, v16, v2
	global_load_ushort v16, v[6:7], off
	global_load_ushort v36, v[10:11], off
	v_addc_co_u32_e32 v9, vcc, v1, v9, vcc
	s_lshl_b64 s[12:13], s[12:13], 1
	s_waitcnt vmcnt(34)
	v_lshlrev_b32_e32 v2, 16, v42
	v_mov_b32_e32 v13, s13
	v_add_co_u32_e32 v12, vcc, s12, v0
	v_fmac_f32_e32 v119, v17, v2
	s_waitcnt vmcnt(33)
	v_lshlrev_b32_e32 v2, 16, v43
	v_addc_co_u32_e32 v13, vcc, v1, v13, vcc
	s_waitcnt lgkmcnt(0)
	v_fmac_f32_e32 v119, v18, v2
	global_load_ushort v17, v[8:9], off
	global_load_ushort v18, v[12:13], off
	s_waitcnt vmcnt(34)
	v_lshlrev_b32_e32 v2, 16, v44
	v_fmac_f32_e32 v119, v19, v2
	s_waitcnt vmcnt(33)
	v_lshlrev_b32_e32 v2, 16, v22
	v_fmac_f32_e32 v119, v20, v2
	ds_read_b128 v[2:5], v37 offset:128
	s_waitcnt vmcnt(32)
	v_lshlrev_b32_e32 v6, 16, v23
	v_fmac_f32_e32 v119, v21, v6
	ds_read_b128 v[6:9], v37 offset:144
	s_waitcnt vmcnt(31)
	v_lshlrev_b32_e32 v10, 16, v45
	s_waitcnt lgkmcnt(1)
	v_fmac_f32_e32 v119, v2, v10
	s_waitcnt vmcnt(30)
	v_lshlrev_b32_e32 v2, 16, v24
	v_fmac_f32_e32 v119, v3, v2
	s_waitcnt vmcnt(29)
	v_lshlrev_b32_e32 v2, 16, v25
	;; [unrolled: 3-line block ×4, first 2 shown]
	s_waitcnt lgkmcnt(0)
	v_fmac_f32_e32 v119, v6, v2
	s_waitcnt vmcnt(26)
	v_lshlrev_b32_e32 v2, 16, v47
	v_fmac_f32_e32 v119, v7, v2
	s_waitcnt vmcnt(25)
	v_lshlrev_b32_e32 v2, 16, v27
	v_fmac_f32_e32 v119, v8, v2
	ds_read_b128 v[2:5], v37 offset:160
	s_waitcnt vmcnt(24)
	v_lshlrev_b32_e32 v6, 16, v28
	v_fmac_f32_e32 v119, v9, v6
	ds_read_b128 v[6:9], v37 offset:176
	s_waitcnt vmcnt(23)
	v_lshlrev_b32_e32 v10, 16, v48
	s_waitcnt lgkmcnt(1)
	v_fmac_f32_e32 v119, v2, v10
	s_waitcnt vmcnt(22)
	v_lshlrev_b32_e32 v2, 16, v29
	v_fmac_f32_e32 v119, v3, v2
	s_waitcnt vmcnt(21)
	v_lshlrev_b32_e32 v2, 16, v49
	;; [unrolled: 3-line block ×4, first 2 shown]
	s_waitcnt lgkmcnt(0)
	v_fmac_f32_e32 v119, v6, v2
	s_waitcnt vmcnt(18)
	v_lshlrev_b32_e32 v2, 16, v31
	v_fmac_f32_e32 v119, v7, v2
	s_waitcnt vmcnt(17)
	v_lshlrev_b32_e32 v2, 16, v51
	v_fmac_f32_e32 v119, v8, v2
	ds_read_b128 v[2:5], v37 offset:192
	s_waitcnt vmcnt(16)
	v_lshlrev_b32_e32 v6, 16, v32
	v_fmac_f32_e32 v119, v9, v6
	ds_read_b128 v[6:9], v37 offset:208
	s_waitcnt vmcnt(15)
	v_lshlrev_b32_e32 v10, 16, v33
	s_waitcnt lgkmcnt(1)
	v_fmac_f32_e32 v119, v2, v10
	s_waitcnt vmcnt(14)
	v_lshlrev_b32_e32 v2, 16, v34
	v_fmac_f32_e32 v119, v3, v2
	s_waitcnt vmcnt(13)
	v_lshlrev_b32_e32 v2, 16, v52
	;; [unrolled: 3-line block ×4, first 2 shown]
	v_lshlrev_b32_e32 v2, 16, v53
	s_waitcnt lgkmcnt(0)
	v_pk_mul_f32 v[2:3], v[6:7], v[2:3]
	v_add_f32_e32 v2, v119, v2
	v_add_f32_e32 v4, v2, v3
	s_waitcnt vmcnt(8)
	v_lshlrev_b32_e32 v3, 16, v55
	v_lshlrev_b32_e32 v2, 16, v38
	v_pk_mul_f32 v[6:7], v[8:9], v[2:3]
	v_add_f32_e32 v6, v4, v6
	ds_read_b128 v[2:5], v37 offset:224
	s_waitcnt vmcnt(6)
	v_lshlrev_b32_e32 v11, 16, v56
	v_lshlrev_b32_e32 v10, 16, v39
	v_add_f32_e32 v12, v6, v7
	ds_read_b128 v[6:9], v37 offset:240
	s_waitcnt lgkmcnt(1)
	v_pk_mul_f32 v[2:3], v[2:3], v[10:11]
	v_add_f32_e32 v2, v12, v2
	v_add_f32_e32 v10, v2, v3
	s_waitcnt vmcnt(4)
	v_lshlrev_b32_e32 v3, 16, v15
	v_lshlrev_b32_e32 v2, 16, v14
	v_pk_mul_f32 v[2:3], v[4:5], v[2:3]
	v_add_f32_e32 v2, v10, v2
	v_add_f32_e32 v4, v2, v3
	s_waitcnt vmcnt(2)
	v_lshlrev_b32_e32 v3, 16, v36
	v_lshlrev_b32_e32 v2, 16, v16
	s_waitcnt lgkmcnt(0)
	v_pk_mul_f32 v[2:3], v[6:7], v[2:3]
	v_add_f32_e32 v2, v4, v2
	v_add_f32_e32 v4, v2, v3
	s_waitcnt vmcnt(0)
	v_lshlrev_b32_e32 v3, 16, v18
	v_lshlrev_b32_e32 v2, 16, v17
	v_pk_mul_f32 v[2:3], v[8:9], v[2:3]
	v_add_f32_e32 v2, v4, v2
	v_add_f32_e32 v119, v2, v3
	s_branch .LBB215_16
.LBB215_19:
	v_mov_b32_e32 v0, 0
	ds_read_b32 v0, v0 offset:2048
	s_cmp_lg_u64 s[2:3], 0
	s_cbranch_scc0 .LBB215_28
; %bb.20:
	s_load_dword s4, s[2:3], 0x0
	s_waitcnt lgkmcnt(0)
	v_div_scale_f32 v1, s[2:3], s4, s4, 1.0
	v_rcp_f32_e32 v2, v1
	v_div_scale_f32 v3, vcc, 1.0, s4, 1.0
	v_fma_f32 v4, -v1, v2, 1.0
	v_fmac_f32_e32 v2, v4, v2
	v_mul_f32_e32 v4, v3, v2
	v_fma_f32 v5, -v1, v4, v3
	v_fmac_f32_e32 v4, v5, v2
	v_fma_f32 v1, -v1, v4, v3
	v_div_fmas_f32 v1, v1, v2, v4
	v_div_fixup_f32 v1, v1, s4, 1.0
	s_andn2_b64 vcc, exec, s[34:35]
	s_cbranch_vccnz .LBB215_22
.LBB215_21:
	s_add_u32 s2, s30, s36
	s_addc_u32 s3, s31, s37
	s_load_dword s28, s[2:3], 0x0
	s_mov_b32 s29, 0
.LBB215_22:
	s_waitcnt lgkmcnt(0)
	v_add_f32_e32 v0, 0x358637bd, v0
	v_div_scale_f32 v2, s[2:3], v0, v0, 1.0
	v_rcp_f32_e32 v3, v2
	v_div_scale_f32 v4, vcc, 1.0, v0, 1.0
	s_mov_b32 s2, 0x7f800000
	v_fma_f32 v5, -v2, v3, 1.0
	v_fmac_f32_e32 v3, v5, v3
	v_mul_f32_e32 v5, v4, v3
	v_fma_f32 v6, -v2, v5, v4
	v_fmac_f32_e32 v5, v6, v3
	v_fma_f32 v2, -v2, v5, v4
	v_div_fmas_f32 v2, v2, v3, v5
	v_div_fixup_f32 v0, v2, v0, 1.0
	v_mul_f32_e32 v0, v119, v0
	v_mul_f32_e32 v1, v0, v1
	v_and_b32_e32 v0, 0x7f800000, v1
	v_cmp_ne_u32_e32 vcc, s2, v0
                                        ; implicit-def: $vgpr0
	s_and_saveexec_b64 s[2:3], vcc
	s_xor_b64 s[2:3], exec, s[2:3]
; %bb.23:
	v_bfe_u32 v0, v1, 16, 1
	s_movk_i32 s4, 0x7fff
	v_add3_u32 v0, v1, v0, s4
                                        ; implicit-def: $vgpr1
; %bb.24:
	s_andn2_saveexec_b64 s[2:3], s[2:3]
; %bb.25:
	v_mov_b32_e32 v0, 0
	v_or_b32_e32 v2, 0x10000, v1
	v_cmp_eq_u32_sdwa vcc, v1, v0 src0_sel:WORD_0 src1_sel:DWORD
	v_cndmask_b32_e32 v0, v2, v1, vcc
; %bb.26:
	s_or_b64 exec, exec, s[2:3]
	s_mul_i32 s2, s7, s29
	s_mul_hi_u32 s3, s7, s28
	s_add_i32 s3, s3, s2
	s_mul_i32 s2, s7, s28
	s_lshl_b64 s[2:3], s[2:3], 7
	s_add_u32 s2, s0, s2
	s_mov_b32 s7, 0
	s_addc_u32 s3, s1, s3
	s_lshl_b64 s[0:1], s[6:7], 7
	s_add_u32 s0, s2, s0
	s_addc_u32 s1, s3, s1
	global_store_short_d16_hi v118, v0, s[0:1]
	s_endpgm
.LBB215_27:
	s_mov_b64 s[2:3], 0
	s_branch .LBB215_2
.LBB215_28:
	v_mov_b32_e32 v1, 1.0
	s_andn2_b64 vcc, exec, s[34:35]
	s_cbranch_vccz .LBB215_21
	s_branch .LBB215_22
	.section	.rodata,"a",@progbits
	.p2align	6, 0x0
	.amdhsa_kernel _Z35paged_attention_ll4mi_reduce_kernelI14__hip_bfloat16S0_Li64ELi64ELi256ELi8EEvPT0_PKfS4_PKT_PKiS9_iS4_
		.amdhsa_group_segment_fixed_size 2052
		.amdhsa_private_segment_fixed_size 0
		.amdhsa_kernarg_size 320
		.amdhsa_user_sgpr_count 6
		.amdhsa_user_sgpr_private_segment_buffer 1
		.amdhsa_user_sgpr_dispatch_ptr 0
		.amdhsa_user_sgpr_queue_ptr 0
		.amdhsa_user_sgpr_kernarg_segment_ptr 1
		.amdhsa_user_sgpr_dispatch_id 0
		.amdhsa_user_sgpr_flat_scratch_init 0
		.amdhsa_user_sgpr_kernarg_preload_length 0
		.amdhsa_user_sgpr_kernarg_preload_offset 0
		.amdhsa_user_sgpr_private_segment_size 0
		.amdhsa_uses_dynamic_stack 0
		.amdhsa_system_sgpr_private_segment_wavefront_offset 0
		.amdhsa_system_sgpr_workgroup_id_x 1
		.amdhsa_system_sgpr_workgroup_id_y 1
		.amdhsa_system_sgpr_workgroup_id_z 0
		.amdhsa_system_sgpr_workgroup_info 0
		.amdhsa_system_vgpr_workitem_id 0
		.amdhsa_next_free_vgpr 136
		.amdhsa_next_free_sgpr 45
		.amdhsa_accum_offset 136
		.amdhsa_reserve_vcc 1
		.amdhsa_reserve_flat_scratch 0
		.amdhsa_float_round_mode_32 0
		.amdhsa_float_round_mode_16_64 0
		.amdhsa_float_denorm_mode_32 3
		.amdhsa_float_denorm_mode_16_64 3
		.amdhsa_dx10_clamp 1
		.amdhsa_ieee_mode 1
		.amdhsa_fp16_overflow 0
		.amdhsa_tg_split 0
		.amdhsa_exception_fp_ieee_invalid_op 0
		.amdhsa_exception_fp_denorm_src 0
		.amdhsa_exception_fp_ieee_div_zero 0
		.amdhsa_exception_fp_ieee_overflow 0
		.amdhsa_exception_fp_ieee_underflow 0
		.amdhsa_exception_fp_ieee_inexact 0
		.amdhsa_exception_int_div_zero 0
	.end_amdhsa_kernel
	.section	.text._Z35paged_attention_ll4mi_reduce_kernelI14__hip_bfloat16S0_Li64ELi64ELi256ELi8EEvPT0_PKfS4_PKT_PKiS9_iS4_,"axG",@progbits,_Z35paged_attention_ll4mi_reduce_kernelI14__hip_bfloat16S0_Li64ELi64ELi256ELi8EEvPT0_PKfS4_PKT_PKiS9_iS4_,comdat
.Lfunc_end215:
	.size	_Z35paged_attention_ll4mi_reduce_kernelI14__hip_bfloat16S0_Li64ELi64ELi256ELi8EEvPT0_PKfS4_PKT_PKiS9_iS4_, .Lfunc_end215-_Z35paged_attention_ll4mi_reduce_kernelI14__hip_bfloat16S0_Li64ELi64ELi256ELi8EEvPT0_PKfS4_PKT_PKiS9_iS4_
                                        ; -- End function
	.section	.AMDGPU.csdata,"",@progbits
; Kernel info:
; codeLenInByte = 10512
; NumSgprs: 49
; NumVgprs: 136
; NumAgprs: 0
; TotalNumVgprs: 136
; ScratchSize: 0
; MemoryBound: 0
; FloatMode: 240
; IeeeMode: 1
; LDSByteSize: 2052 bytes/workgroup (compile time only)
; SGPRBlocks: 6
; VGPRBlocks: 16
; NumSGPRsForWavesPerEU: 49
; NumVGPRsForWavesPerEU: 136
; AccumOffset: 136
; Occupancy: 3
; WaveLimiterHint : 1
; COMPUTE_PGM_RSRC2:SCRATCH_EN: 0
; COMPUTE_PGM_RSRC2:USER_SGPR: 6
; COMPUTE_PGM_RSRC2:TRAP_HANDLER: 0
; COMPUTE_PGM_RSRC2:TGID_X_EN: 1
; COMPUTE_PGM_RSRC2:TGID_Y_EN: 1
; COMPUTE_PGM_RSRC2:TGID_Z_EN: 0
; COMPUTE_PGM_RSRC2:TIDIG_COMP_CNT: 0
; COMPUTE_PGM_RSRC3_GFX90A:ACCUM_OFFSET: 33
; COMPUTE_PGM_RSRC3_GFX90A:TG_SPLIT: 0
	.section	.text._Z39paged_attention_ll4mi_QKV_mfma16_kernelI14__hip_bfloat16S0_LN4vllm18Fp8KVCacheDataTypeE0ES0_Li16ELi64ELi256ELb1ELi1EL8MFMAType0EEvPKT_PKT0_S9_ifPKiSB_SB_iPKfiiiPfSE_PS4_PT2_iSD_SD_,"axG",@progbits,_Z39paged_attention_ll4mi_QKV_mfma16_kernelI14__hip_bfloat16S0_LN4vllm18Fp8KVCacheDataTypeE0ES0_Li16ELi64ELi256ELb1ELi1EL8MFMAType0EEvPKT_PKT0_S9_ifPKiSB_SB_iPKfiiiPfSE_PS4_PT2_iSD_SD_,comdat
	.protected	_Z39paged_attention_ll4mi_QKV_mfma16_kernelI14__hip_bfloat16S0_LN4vllm18Fp8KVCacheDataTypeE0ES0_Li16ELi64ELi256ELb1ELi1EL8MFMAType0EEvPKT_PKT0_S9_ifPKiSB_SB_iPKfiiiPfSE_PS4_PT2_iSD_SD_ ; -- Begin function _Z39paged_attention_ll4mi_QKV_mfma16_kernelI14__hip_bfloat16S0_LN4vllm18Fp8KVCacheDataTypeE0ES0_Li16ELi64ELi256ELb1ELi1EL8MFMAType0EEvPKT_PKT0_S9_ifPKiSB_SB_iPKfiiiPfSE_PS4_PT2_iSD_SD_
	.globl	_Z39paged_attention_ll4mi_QKV_mfma16_kernelI14__hip_bfloat16S0_LN4vllm18Fp8KVCacheDataTypeE0ES0_Li16ELi64ELi256ELb1ELi1EL8MFMAType0EEvPKT_PKT0_S9_ifPKiSB_SB_iPKfiiiPfSE_PS4_PT2_iSD_SD_
	.p2align	8
	.type	_Z39paged_attention_ll4mi_QKV_mfma16_kernelI14__hip_bfloat16S0_LN4vllm18Fp8KVCacheDataTypeE0ES0_Li16ELi64ELi256ELb1ELi1EL8MFMAType0EEvPKT_PKT0_S9_ifPKiSB_SB_iPKfiiiPfSE_PS4_PT2_iSD_SD_,@function
_Z39paged_attention_ll4mi_QKV_mfma16_kernelI14__hip_bfloat16S0_LN4vllm18Fp8KVCacheDataTypeE0ES0_Li16ELi64ELi256ELb1ELi1EL8MFMAType0EEvPKT_PKT0_S9_ifPKiSB_SB_iPKfiiiPfSE_PS4_PT2_iSD_SD_: ; @_Z39paged_attention_ll4mi_QKV_mfma16_kernelI14__hip_bfloat16S0_LN4vllm18Fp8KVCacheDataTypeE0ES0_Li16ELi64ELi256ELb1ELi1EL8MFMAType0EEvPKT_PKT0_S9_ifPKiSB_SB_iPKfiiiPfSE_PS4_PT2_iSD_SD_
; %bb.0:
	s_load_dwordx2 s[0:1], s[4:5], 0x30
	s_mov_b32 s30, s7
	s_mov_b64 s[10:11], 0
	s_waitcnt lgkmcnt(0)
	s_cmp_lg_u64 s[0:1], 0
	s_cselect_b64 s[2:3], -1, 0
	s_and_b64 vcc, exec, s[2:3]
	s_cbranch_vccz .LBB216_7
; %bb.1:
	s_add_i32 s12, s6, 1
	s_mov_b32 s13, 0
	s_lshl_b64 s[14:15], s[12:13], 2
	s_add_u32 s14, s0, s14
	s_mov_b32 s7, s13
	s_addc_u32 s15, s1, s15
	s_lshl_b64 s[12:13], s[6:7], 2
	s_add_u32 s12, s0, s12
	s_addc_u32 s13, s1, s13
	s_load_dword s9, s[14:15], 0x0
	s_load_dword s16, s[12:13], 0x0
	s_waitcnt lgkmcnt(0)
	s_sub_i32 s9, s9, s16
	s_cmp_eq_u32 s9, 1
	s_cselect_b64 s[12:13], -1, 0
	s_andn2_b64 vcc, exec, s[10:11]
	s_cbranch_vccnz .LBB216_3
.LBB216_2:
	s_mov_b32 s7, 0
	s_mov_b64 s[12:13], -1
.LBB216_3:
	s_andn2_b64 vcc, exec, s[12:13]
	s_cbranch_vccnz .LBB216_19
; %bb.4:
	s_load_dwordx2 s[12:13], s[4:5], 0x28
	s_lshl_b64 s[10:11], s[6:7], 2
	s_waitcnt lgkmcnt(0)
	s_add_u32 s12, s12, s10
	s_addc_u32 s13, s13, s11
	s_load_dword s31, s[12:13], 0x0
	s_lshl_b32 s14, s30, 8
	s_waitcnt lgkmcnt(0)
	s_cmp_ge_i32 s14, s31
	s_cbranch_scc1 .LBB216_19
; %bb.5:
	s_add_i32 s15, s31, 15
	s_load_dwordx2 s[12:13], s[4:5], 0x20
	s_load_dword s9, s[4:5], 0x38
	s_ashr_i32 s16, s15, 31
	v_and_b32_e32 v1, 0xcf, v0
	s_lshr_b32 s16, s16, 28
	v_add_u32_e32 v1, s14, v1
	s_add_i32 s15, s15, s16
	v_ashrrev_i32_e32 v2, 31, v1
	s_ashr_i32 s17, s15, 4
	v_lshrrev_b32_e32 v4, 28, v2
	s_add_i32 s17, s17, -1
	v_add_u32_e32 v2, v1, v4
	s_waitcnt lgkmcnt(0)
	s_mul_i32 s18, s6, s9
	s_mov_b32 s19, 0
	v_ashrrev_i32_e32 v2, 4, v2
	v_mov_b32_e32 v5, s17
	v_cmp_gt_i32_e32 vcc, s31, v1
	s_lshl_b64 s[18:19], s[18:19], 2
	v_cndmask_b32_e32 v2, v5, v2, vcc
	s_add_u32 s15, s12, s18
	v_ashrrev_i32_e32 v3, 31, v2
	s_addc_u32 s16, s13, s19
	v_lshlrev_b64 v[2:3], 2, v[2:3]
	v_mov_b32_e32 v7, s16
	v_add_co_u32_e32 v6, vcc, s15, v2
	v_or_b32_e32 v2, 16, v1
	v_addc_co_u32_e32 v7, vcc, v7, v3, vcc
	v_add_u32_e32 v3, v2, v4
	v_ashrrev_i32_e32 v3, 4, v3
	v_cmp_gt_i32_e32 vcc, s31, v2
	v_cndmask_b32_e32 v2, v5, v3, vcc
	v_ashrrev_i32_e32 v3, 31, v2
	v_lshlrev_b64 v[2:3], 2, v[2:3]
	v_mov_b32_e32 v9, s16
	v_add_co_u32_e32 v8, vcc, s15, v2
	v_or_b32_e32 v2, 32, v1
	v_addc_co_u32_e32 v9, vcc, v9, v3, vcc
	v_add_u32_e32 v3, v2, v4
	v_ashrrev_i32_e32 v3, 4, v3
	v_cmp_gt_i32_e32 vcc, s31, v2
	v_cndmask_b32_e32 v2, v5, v3, vcc
	v_ashrrev_i32_e32 v3, 31, v2
	;; [unrolled: 10-line block ×3, first 2 shown]
	v_lshlrev_b64 v[2:3], 2, v[2:3]
	v_mov_b32_e32 v1, s16
	v_add_co_u32_e32 v12, vcc, s15, v2
	v_addc_co_u32_e32 v13, vcc, v1, v3, vcc
	global_load_dword v5, v[6:7], off
	global_load_dword v4, v[8:9], off
	;; [unrolled: 1-line block ×4, first 2 shown]
	s_load_dwordx2 s[12:13], s[4:5], 0x8
	s_andn2_b64 vcc, exec, s[2:3]
	s_cbranch_vccnz .LBB216_8
; %bb.6:
	s_add_u32 s0, s0, s10
	s_addc_u32 s1, s1, s11
	s_load_dword s9, s[0:1], 0x0
	s_branch .LBB216_9
.LBB216_7:
	s_mov_b64 s[12:13], 0
	s_branch .LBB216_2
.LBB216_8:
	s_mov_b32 s9, s6
.LBB216_9:
	s_load_dwordx2 s[2:3], s[4:5], 0x10
	s_load_dwordx4 s[44:47], s[4:5], 0x48
	v_lshrrev_b32_e32 v52, 6, v0
	v_bfe_u32 v50, v0, 4, 2
	v_lshl_or_b32 v1, v52, 2, v50
	v_and_b32_e32 v53, 15, v0
	v_lshlrev_b32_e32 v6, 3, v53
	v_cmp_eq_u32_e32 vcc, 0, v1
	v_cmp_gt_u32_e64 s[0:1], 8, v53
	s_and_b64 s[18:19], s[0:1], vcc
	v_lshlrev_b32_e32 v1, 1, v6
	s_and_saveexec_b64 s[10:11], s[18:19]
	s_cbranch_execz .LBB216_11
; %bb.10:
	s_load_dwordx2 s[18:19], s[4:5], 0x0
	s_waitcnt lgkmcnt(0)
	s_ashr_i32 s20, s44, 31
	s_mul_hi_u32 s21, s9, s44
	s_mul_i32 s20, s9, s20
	s_add_i32 s21, s21, s20
	s_mul_i32 s20, s9, s44
	s_lshl_b64 s[20:21], s[20:21], 1
	s_add_u32 s9, s18, s20
	s_addc_u32 s20, s19, s21
	s_lshl_b32 s18, s8, 6
	s_ashr_i32 s19, s18, 31
	s_lshl_b64 s[18:19], s[18:19], 1
	s_add_u32 s18, s9, s18
	s_addc_u32 s19, s20, s19
	global_load_dwordx4 v[6:9], v1, s[18:19]
	v_and_b32_e32 v10, 3, v0
	v_lshlrev_b32_e32 v11, 9, v53
	v_lshlrev_b32_e32 v10, 9, v10
	s_movk_i32 s9, 0x1800
	v_and_or_b32 v10, v11, s9, v10
	s_waitcnt vmcnt(0)
	ds_write_b128 v10, v[6:9]
.LBB216_11:
	s_or_b64 exec, exec, s[10:11]
	s_waitcnt lgkmcnt(0)
	s_mul_i32 s10, s8, s46
	s_mov_b32 s11, 0
	s_lshl_b64 s[10:11], s[10:11], 1
	s_add_u32 s9, s12, s10
	v_lshlrev_b32_e32 v51, 4, v0
	s_addc_u32 s12, s13, s11
	v_and_b32_e32 v6, 0xf0, v51
	v_mov_b32_e32 v7, s12
	v_add_co_u32_e32 v8, vcc, s9, v6
	v_addc_co_u32_e32 v9, vcc, 0, v7, vcc
	s_waitcnt vmcnt(3)
	v_mad_i64_i32 v[6:7], s[12:13], v5, s45, 0
	v_lshlrev_b64 v[6:7], 1, v[6:7]
	v_add_co_u32_e32 v5, vcc, v8, v6
	v_addc_co_u32_e32 v7, vcc, v9, v7, vcc
	v_and_b32_e32 v18, 0x300, v51
	v_add_co_u32_e32 v6, vcc, v5, v18
	s_waitcnt vmcnt(2)
	v_mad_i64_i32 v[4:5], s[12:13], v4, s45, 0
	v_addc_co_u32_e32 v7, vcc, 0, v7, vcc
	v_lshlrev_b64 v[4:5], 1, v[4:5]
	v_add_co_u32_e32 v4, vcc, v8, v4
	v_addc_co_u32_e32 v5, vcc, v9, v5, vcc
	v_add_co_u32_e32 v4, vcc, v4, v18
	v_addc_co_u32_e32 v5, vcc, 0, v5, vcc
	s_barrier
	global_load_dwordx4 v[38:41], v[6:7], off
	global_load_dwordx4 v[34:37], v[6:7], off offset:1024
	global_load_dwordx4 v[30:33], v[4:5], off
	global_load_dwordx4 v[26:29], v[4:5], off offset:1024
	s_waitcnt vmcnt(5)
	v_mad_i64_i32 v[4:5], s[12:13], v3, s45, 0
	v_lshlrev_b64 v[4:5], 1, v[4:5]
	v_add_co_u32_e32 v3, vcc, v8, v4
	v_addc_co_u32_e32 v5, vcc, v9, v5, vcc
	v_add_co_u32_e32 v4, vcc, v3, v18
	s_waitcnt vmcnt(4)
	v_mad_i64_i32 v[2:3], s[12:13], v2, s45, 0
	v_addc_co_u32_e32 v5, vcc, 0, v5, vcc
	v_lshlrev_b64 v[2:3], 1, v[2:3]
	v_add_co_u32_e32 v2, vcc, v8, v2
	v_addc_co_u32_e32 v3, vcc, v9, v3, vcc
	v_add_co_u32_e32 v6, vcc, v2, v18
	v_addc_co_u32_e32 v7, vcc, 0, v3, vcc
	global_load_dwordx4 v[14:17], v[4:5], off
	global_load_dwordx4 v[10:13], v[4:5], off offset:1024
	s_nop 0
	global_load_dwordx4 v[2:5], v[6:7], off
	global_load_dwordx4 v[18:21], v[6:7], off offset:1024
	v_lshlrev_b32_e32 v22, 9, v50
	ds_read_b128 v[6:9], v22
	ds_read_b128 v[22:25], v22 offset:2048
	v_and_b32_e32 v54, 63, v0
	v_cmp_eq_u32_e32 vcc, 0, v53
	v_mov_b32_e32 v48, 0
	s_and_saveexec_b64 s[12:13], vcc
	s_cbranch_execz .LBB216_13
; %bb.12:
	s_load_dwordx2 s[18:19], s[4:5], 0x40
	s_ashr_i32 s9, s8, 31
	s_lshl_b64 s[20:21], s[8:9], 2
	s_waitcnt lgkmcnt(0)
	s_add_u32 s18, s18, s20
	s_addc_u32 s19, s19, s21
	s_load_dword s9, s[18:19], 0x0
	s_waitcnt lgkmcnt(0)
	v_mov_b32_e32 v48, s9
.LBB216_13:
	s_or_b64 exec, exec, s[12:13]
	s_waitcnt vmcnt(7) lgkmcnt(1)
	v_mfma_f32_16x16x16bf16_1k v[42:45], v[38:39], v[6:7], 0
	s_load_dword s12, s[4:5], 0x1c
	s_add_u32 s2, s2, s10
	v_lshlrev_b32_e32 v55, 5, v53
	s_addc_u32 s3, s3, s11
	s_mov_b32 s9, 0xff7fffff
	v_mfma_f32_16x16x16bf16_1k v[38:41], v[40:41], v[8:9], v[42:45]
	s_waitcnt vmcnt(6) lgkmcnt(0)
	v_mfma_f32_16x16x16bf16_1k v[38:41], v[34:35], v[22:23], v[38:41]
	s_nop 4
	v_and_or_b32 v44, v0, 48, s14
	v_mov_b32_e32 v45, s17
	v_cmp_gt_i32_e32 vcc, s31, v44
	v_mfma_f32_16x16x16bf16_1k v[34:37], v[36:37], v[24:25], v[38:41]
	s_nop 6
	v_ashrrev_i32_e32 v38, 4, v44
	v_cndmask_b32_e32 v42, v45, v38, vcc
	s_waitcnt vmcnt(5)
	v_mfma_f32_16x16x16bf16_1k v[38:41], v[30:31], v[6:7], 0
	v_ashrrev_i32_e32 v43, 31, v42
	v_lshlrev_b64 v[30:31], 2, v[42:43]
	v_mov_b32_e32 v42, s16
	v_add_co_u32_e32 v30, vcc, s15, v30
	v_addc_co_u32_e32 v31, vcc, v42, v31, vcc
	global_load_dword v42, v[30:31], off
	v_mfma_f32_16x16x16bf16_1k v[30:33], v[32:33], v[8:9], v[38:41]
	s_nop 6
	v_or_b32_e32 v38, 64, v44
	v_ashrrev_i32_e32 v39, 4, v38
	v_cmp_gt_i32_e32 vcc, s31, v38
	v_cndmask_b32_e32 v38, v45, v39, vcc
	v_ashrrev_i32_e32 v39, 31, v38
	s_waitcnt vmcnt(5)
	v_mfma_f32_16x16x16bf16_1k v[30:33], v[26:27], v[22:23], v[30:33]
	v_lshlrev_b64 v[38:39], 2, v[38:39]
	v_mov_b32_e32 v40, s16
	v_add_co_u32_e32 v26, vcc, s15, v38
	v_addc_co_u32_e32 v27, vcc, v40, v39, vcc
	global_load_dword v43, v[26:27], off
	v_or_b32_e32 v26, 0x80, v44
	v_ashrrev_i32_e32 v27, 4, v26
	v_cmp_gt_i32_e32 vcc, s31, v26
	v_cndmask_b32_e32 v38, v45, v27, vcc
	v_ashrrev_i32_e32 v39, 31, v38
	v_mfma_f32_16x16x16bf16_1k v[26:29], v[28:29], v[24:25], v[30:33]
	s_nop 6
	v_lshlrev_b64 v[30:31], 2, v[38:39]
	v_mov_b32_e32 v32, s16
	v_add_co_u32_e32 v38, vcc, s15, v30
	v_addc_co_u32_e32 v39, vcc, v32, v31, vcc
	global_load_dword v46, v[38:39], off
	s_waitcnt vmcnt(6)
	v_mfma_f32_16x16x16bf16_1k v[30:33], v[14:15], v[6:7], 0
	v_mfma_f32_16x16x16bf16_1k v[14:17], v[16:17], v[8:9], v[30:33]
	s_nop 7
	s_nop 1
	v_or_b32_e32 v30, 0xc0, v44
	v_ashrrev_i32_e32 v31, 4, v30
	v_cmp_gt_i32_e32 vcc, s31, v30
	v_cndmask_b32_e32 v30, v45, v31, vcc
	v_ashrrev_i32_e32 v31, 31, v30
	v_lshlrev_b64 v[30:31], 2, v[30:31]
	v_mov_b32_e32 v32, s16
	s_waitcnt vmcnt(5)
	v_mfma_f32_16x16x16bf16_1k v[14:17], v[10:11], v[22:23], v[14:17]
	v_add_co_u32_e32 v10, vcc, s15, v30
	v_addc_co_u32_e32 v11, vcc, v32, v31, vcc
	global_load_dword v49, v[10:11], off
	v_pk_mul_f32 v[44:45], s[12:13], v[26:27] op_sel_hi:[0,1]
	v_lshl_or_b32 v10, v52, 9, v55
	s_waitcnt vmcnt(5)
	v_mfma_f32_16x16x16bf16_1k v[38:41], v[2:3], v[6:7], 0
	v_mov_b32_e32 v11, s3
	v_add_co_u32_e32 v60, vcc, s2, v10
	v_addc_co_u32_e32 v61, vcc, 0, v11, vcc
	s_waitcnt vmcnt(3)
	v_mad_i64_i32 v[10:11], s[2:3], v42, s45, 0
	v_mfma_f32_16x16x16bf16_1k v[38:41], v[4:5], v[8:9], v[38:41]
	v_lshlrev_b64 v[10:11], 1, v[10:11]
	v_add_co_u32_e32 v2, vcc, v60, v10
	v_addc_co_u32_e32 v3, vcc, v61, v11, vcc
	v_mfma_f32_16x16x16bf16_1k v[56:59], v[18:19], v[22:23], v[38:41]
	v_pk_mul_f32 v[18:19], s[12:13], v[34:35] op_sel_hi:[0,1]
	v_mfma_f32_16x16x16bf16_1k v[30:33], v[12:13], v[24:25], v[14:17]
	s_nop 6
	global_load_dwordx4 v[14:17], v[2:3], off
	global_load_dwordx4 v[10:13], v[2:3], off offset:16
	s_waitcnt vmcnt(4)
	v_mad_i64_i32 v[2:3], s[2:3], v43, s45, 0
	v_lshlrev_b64 v[2:3], 1, v[2:3]
	v_add_co_u32_e32 v2, vcc, v60, v2
	v_mfma_f32_16x16x16bf16_1k v[24:27], v[20:21], v[24:25], v[56:59]
	v_and_b32_e32 v20, 0xc0, v0
	v_add_u32_e32 v20, s14, v20
	v_lshl_or_b32 v20, v50, 2, v20
	v_or_b32_e32 v21, 1, v20
	v_addc_co_u32_e32 v3, vcc, v61, v3, vcc
	v_pk_mul_f32 v[38:39], s[12:13], v[32:33] op_sel_hi:[0,1]
	s_nop 4
	v_pk_mul_f32 v[34:35], s[12:13], v[26:27] op_sel_hi:[0,1]
	v_pk_mul_f32 v[40:41], s[12:13], v[30:31] op_sel_hi:[0,1]
	v_cmp_gt_i32_e64 s[34:35], s31, v20
	v_cmp_gt_i32_e64 s[36:37], s31, v21
	global_load_dwordx4 v[6:9], v[2:3], off
	s_nop 0
	global_load_dwordx4 v[2:5], v[2:3], off offset:16
	s_waitcnt vmcnt(5)
	v_mad_i64_i32 v[42:43], s[2:3], v46, s45, 0
	v_pk_mul_f32 v[46:47], s[12:13], v[36:37] op_sel_hi:[0,1]
	v_pk_mul_f32 v[36:37], s[12:13], v[24:25] op_sel_hi:[0,1]
	v_subrev_u32_e32 v24, s31, v21
	v_add_u32_e32 v26, 1, v24
	v_add_u32_e32 v27, 2, v24
	v_cvt_f32_i32_e32 v25, v24
	v_cvt_f32_i32_e32 v26, v26
	;; [unrolled: 1-line block ×3, first 2 shown]
	v_lshlrev_b64 v[42:43], 1, v[42:43]
	v_add_co_u32_e32 v22, vcc, v60, v42
	v_addc_co_u32_e32 v23, vcc, v61, v43, vcc
	v_pk_mul_f32 v[42:43], s[12:13], v[28:29] op_sel_hi:[0,1]
	v_add_u32_e32 v28, 3, v24
	v_fma_f32 v18, v48, v25, v18
	v_fmac_f32_e32 v19, v48, v26
	v_fma_f32 v46, v48, v27, v46
	v_add_u32_e32 v25, 16, v24
	v_add_u32_e32 v26, 17, v24
	;; [unrolled: 1-line block ×3, first 2 shown]
	v_cvt_f32_i32_e32 v28, v28
	v_cvt_f32_i32_e32 v25, v25
	;; [unrolled: 1-line block ×4, first 2 shown]
	v_fmac_f32_e32 v47, v48, v28
	v_add_u32_e32 v28, 19, v24
	v_fma_f32 v44, v48, v25, v44
	v_fmac_f32_e32 v45, v48, v26
	v_fma_f32 v42, v48, v27, v42
	v_add_u32_e32 v25, 32, v24
	v_add_u32_e32 v26, 33, v24
	;; [unrolled: 1-line block ×3, first 2 shown]
	v_cvt_f32_i32_e32 v28, v28
	v_cvt_f32_i32_e32 v25, v25
	;; [unrolled: 1-line block ×4, first 2 shown]
	v_fmac_f32_e32 v43, v48, v28
	v_add_u32_e32 v28, 35, v24
	v_fma_f32 v40, v48, v25, v40
	v_fmac_f32_e32 v41, v48, v26
	v_fma_f32 v38, v48, v27, v38
	v_add_u32_e32 v25, 48, v24
	v_add_u32_e32 v26, 49, v24
	;; [unrolled: 1-line block ×4, first 2 shown]
	v_cvt_f32_i32_e32 v24, v24
	v_cvt_f32_i32_e32 v25, v25
	;; [unrolled: 1-line block ×4, first 2 shown]
	v_fmac_f32_e32 v35, v48, v24
	v_mov_b32_e32 v24, 0xff7fffff
	v_fma_f32 v36, v48, v25, v36
	v_cndmask_b32_e64 v25, v24, v18, s[34:35]
	v_cndmask_b32_e64 v21, v24, v19, s[36:37]
	v_fmac_f32_e32 v37, v48, v26
	v_max3_f32 v21, v25, s9, v21
	v_or_b32_e32 v25, 2, v20
	v_or_b32_e32 v26, 3, v20
	v_cmp_gt_i32_e64 s[38:39], s31, v25
	v_cmp_gt_i32_e64 s[40:41], s31, v26
	v_cndmask_b32_e64 v25, v24, v46, s[38:39]
	v_cndmask_b32_e64 v26, v24, v47, s[40:41]
	v_max3_f32 v21, v21, v25, v26
	v_or_b32_e32 v25, 16, v20
	v_or_b32_e32 v26, 17, v20
	v_cmp_gt_i32_e64 s[26:27], s31, v25
	v_cmp_gt_i32_e64 s[28:29], s31, v26
	v_cndmask_b32_e64 v25, v24, v44, s[26:27]
	v_cndmask_b32_e64 v26, v24, v45, s[28:29]
	;; [unrolled: 7-line block ×4, first 2 shown]
	v_max3_f32 v21, v21, v25, v26
	v_or_b32_e32 v25, 34, v20
	v_or_b32_e32 v26, 35, v20
	v_fmac_f32_e32 v39, v48, v28
	v_cmp_gt_i32_e64 s[14:15], s31, v25
	v_cmp_gt_i32_e64 s[16:17], s31, v26
	v_cndmask_b32_e64 v25, v24, v38, s[14:15]
	v_cndmask_b32_e64 v26, v24, v39, s[16:17]
	v_cvt_f32_i32_e32 v27, v27
	v_max3_f32 v21, v21, v25, v26
	v_or_b32_e32 v25, 48, v20
	v_or_b32_e32 v26, 49, v20
	v_cmp_gt_i32_e64 s[10:11], s31, v25
	v_cmp_gt_i32_e64 s[12:13], s31, v26
	v_cndmask_b32_e64 v25, v24, v36, s[10:11]
	v_cndmask_b32_e64 v26, v24, v37, s[12:13]
	v_max3_f32 v21, v21, v25, v26
	v_or_b32_e32 v25, 50, v20
	v_or_b32_e32 v20, 51, v20
	v_fma_f32 v34, v48, v27, v34
	v_cmp_gt_i32_e32 vcc, s31, v25
	v_cmp_gt_i32_e64 s[2:3], s31, v20
	v_cndmask_b32_e32 v25, v24, v34, vcc
	v_cndmask_b32_e64 v20, v24, v35, s[2:3]
	v_max3_f32 v26, v21, v25, v20
	v_mbcnt_lo_u32_b32 v20, -1, 0
	v_mbcnt_hi_u32_b32 v27, -1, v20
	v_and_b32_e32 v20, 64, v27
	v_add_u32_e32 v28, 64, v20
	v_xor_b32_e32 v20, 32, v27
	v_cmp_lt_i32_e64 s[42:43], v20, v28
	v_cndmask_b32_e64 v20, v27, v20, s[42:43]
	v_lshlrev_b32_e32 v57, 2, v20
	ds_bpermute_b32 v29, v57, v26
	s_waitcnt vmcnt(4)
	v_mad_i64_i32 v[20:21], s[42:43], v49, s45, 0
	v_lshlrev_b64 v[20:21], 1, v[20:21]
	global_load_dwordx4 v[30:33], v[22:23], off
	s_nop 0
	global_load_dwordx4 v[22:25], v[22:23], off offset:16
	s_waitcnt lgkmcnt(0)
	v_max_f32_e32 v29, v29, v29
	v_max_f32_e32 v26, v26, v29
	v_xor_b32_e32 v29, 16, v27
	v_cmp_lt_i32_e64 s[42:43], v29, v28
	v_cndmask_b32_e64 v27, v27, v29, s[42:43]
	v_lshlrev_b32_e32 v58, 2, v27
	ds_bpermute_b32 v27, v58, v26
	v_add_co_u32_e64 v20, s[42:43], v60, v20
	v_addc_co_u32_e64 v21, s[42:43], v61, v21, s[42:43]
	s_waitcnt lgkmcnt(0)
	v_max_f32_e32 v27, v27, v27
	v_max_f32_e32 v56, v26, v27
	v_sub_f32_e32 v18, v18, v56
	v_mul_f32_e32 v18, 0x3fb8aa3b, v18
	v_exp_f32_e32 v48, v18
	v_sub_f32_e32 v18, v19, v56
	v_mul_f32_e32 v18, 0x3fb8aa3b, v18
	v_exp_f32_e32 v49, v18
	global_load_dwordx4 v[26:29], v[20:21], off
	s_nop 0
	global_load_dwordx4 v[18:21], v[20:21], off offset:16
	v_sub_f32_e32 v46, v46, v56
	v_mul_f32_e32 v46, 0x3fb8aa3b, v46
	v_sub_f32_e32 v47, v47, v56
	v_exp_f32_e32 v46, v46
	v_mul_f32_e32 v47, 0x3fb8aa3b, v47
	v_sub_f32_e32 v44, v44, v56
	v_exp_f32_e32 v47, v47
	v_mul_f32_e32 v44, 0x3fb8aa3b, v44
	v_sub_f32_e32 v45, v45, v56
	v_cndmask_b32_e64 v48, 0, v48, s[34:35]
	v_exp_f32_e32 v44, v44
	v_mul_f32_e32 v45, 0x3fb8aa3b, v45
	v_sub_f32_e32 v42, v42, v56
	v_add_f32_e32 v59, 0, v48
	v_cndmask_b32_e64 v49, 0, v49, s[36:37]
	v_exp_f32_e32 v45, v45
	v_mul_f32_e32 v42, 0x3fb8aa3b, v42
	v_sub_f32_e32 v43, v43, v56
	v_add_f32_e32 v59, v59, v49
	;; [unrolled: 5-line block ×10, first 2 shown]
	v_cndmask_b32_e64 v38, 0, v38, s[14:15]
	v_exp_f32_e32 v34, v34
	v_mul_f32_e32 v35, 0x3fb8aa3b, v35
	v_add_f32_e32 v59, v59, v38
	v_cndmask_b32_e64 v39, 0, v39, s[16:17]
	v_exp_f32_e32 v35, v35
	v_add_f32_e32 v59, v59, v39
	v_cndmask_b32_e64 v36, 0, v36, s[10:11]
	v_add_f32_e32 v59, v59, v36
	v_cndmask_b32_e64 v37, 0, v37, s[12:13]
	v_add_f32_e32 v59, v59, v37
	v_cndmask_b32_e32 v34, 0, v34, vcc
	v_add_f32_e32 v59, v59, v34
	v_cndmask_b32_e64 v35, 0, v35, s[2:3]
	v_add_f32_e32 v59, v59, v35
	ds_bpermute_b32 v57, v57, v59
	v_cmp_gt_u32_e64 s[2:3], 16, v54
	v_lshlrev_b32_e32 v54, 2, v53
	s_waitcnt lgkmcnt(0)
	s_barrier
	v_add_f32_e32 v57, v59, v57
	ds_bpermute_b32 v58, v58, v57
	s_waitcnt lgkmcnt(0)
	s_and_saveexec_b64 s[10:11], s[2:3]
	s_cbranch_execz .LBB216_15
; %bb.14:
	v_add_f32_e32 v53, v57, v58
	v_lshl_or_b32 v57, v52, 6, v54
	ds_write2st64_b32 v57, v56, v53 offset1:1
.LBB216_15:
	s_or_b64 exec, exec, s[10:11]
	s_load_dwordx2 s[10:11], s[4:5], 0x94
	s_waitcnt lgkmcnt(0)
	s_barrier
	ds_read2_b32 v[56:57], v54 offset1:16
	ds_read2_b32 v[58:59], v54 offset0:32 offset1:48
	ds_read2_b32 v[60:61], v54 offset0:64 offset1:80
	s_mov_b32 s14, 0x7060302
	s_waitcnt lgkmcnt(2)
	v_max3_f32 v53, v56, s9, v57
	s_waitcnt lgkmcnt(1)
	v_max3_f32 v53, v53, v58, v59
	v_sub_f32_e32 v56, v56, v53
	v_mul_f32_e32 v56, 0x3fb8aa3b, v56
	v_exp_f32_e32 v62, v56
	v_sub_f32_e32 v56, v57, v53
	v_mul_f32_e32 v56, 0x3fb8aa3b, v56
	v_exp_f32_e32 v63, v56
	;; [unrolled: 3-line block ×3, first 2 shown]
	ds_read2_b32 v[56:57], v54 offset0:96 offset1:112
	v_sub_f32_e32 v54, v59, v53
	v_mul_f32_e32 v54, 0x3fb8aa3b, v54
	v_exp_f32_e32 v59, v54
	s_waitcnt lgkmcnt(1)
	v_fma_f32 v54, v62, v60, 0
	v_fmac_f32_e32 v54, v63, v61
	s_waitcnt lgkmcnt(0)
	v_fmac_f32_e32 v54, v58, v56
	v_fmac_f32_e32 v54, v59, v57
	v_add_f32_e32 v57, 0x358637bd, v54
	v_div_scale_f32 v60, s[12:13], v57, v57, 1.0
	v_rcp_f32_e32 v61, v60
	s_movk_i32 s9, 0x7fff
	v_mov_b32_e32 v56, 0
	v_fma_f32 v64, -v60, v61, 1.0
	v_fmac_f32_e32 v61, v64, v61
	v_div_scale_f32 v64, vcc, 1.0, v57, 1.0
	v_mul_f32_e32 v65, v64, v61
	v_fma_f32 v66, -v60, v65, v64
	v_fmac_f32_e32 v65, v66, v61
	v_fma_f32 v60, -v60, v65, v64
	v_div_fmas_f32 v60, v60, v61, v65
	v_cmp_eq_u32_e32 vcc, 1, v52
	v_div_fixup_f32 v57, v60, v57, 1.0
	v_cndmask_b32_e32 v60, v62, v63, vcc
	v_cmp_eq_u32_e32 vcc, 2, v52
	v_cndmask_b32_e32 v58, v60, v58, vcc
	v_cmp_eq_u32_e32 vcc, 3, v52
	v_cndmask_b32_e32 v58, v58, v59, vcc
	v_mul_f32_e32 v58, v58, v57
	v_pk_mul_f32 v[48:49], v[58:59], v[48:49] op_sel_hi:[0,1]
	v_pk_mul_f32 v[46:47], v[58:59], v[46:47] op_sel_hi:[0,1]
	v_bfe_u32 v57, v49, 16, 1
	v_bfe_u32 v59, v48, 16, 1
	v_add3_u32 v48, v48, v59, s9
	v_add3_u32 v49, v49, v57, s9
	v_perm_b32 v48, v49, v48, s14
	v_bfe_u32 v49, v47, 16, 1
	v_bfe_u32 v57, v46, 16, 1
	v_add3_u32 v46, v46, v57, s9
	v_add3_u32 v47, v47, v49, s9
	v_perm_b32 v49, v47, v46, s14
	v_lshlrev_b32_e32 v46, 3, v50
	v_lshlrev_b32_e32 v47, 11, v52
	v_pk_mul_f32 v[44:45], v[58:59], v[44:45] op_sel_hi:[0,1]
	v_or3_b32 v46, v47, v55, v46
	v_bfe_u32 v47, v45, 16, 1
	v_bfe_u32 v52, v44, 16, 1
	v_pk_mul_f32 v[42:43], v[58:59], v[42:43] op_sel_hi:[0,1]
	v_add3_u32 v44, v44, v52, s9
	v_add3_u32 v45, v45, v47, s9
	v_perm_b32 v44, v45, v44, s14
	v_bfe_u32 v45, v43, 16, 1
	v_bfe_u32 v47, v42, 16, 1
	v_add3_u32 v42, v42, v47, s9
	v_add3_u32 v43, v43, v45, s9
	v_pk_mul_f32 v[40:41], v[58:59], v[40:41] op_sel_hi:[0,1]
	v_perm_b32 v45, v43, v42, s14
	v_bfe_u32 v42, v41, 16, 1
	v_bfe_u32 v43, v40, 16, 1
	v_pk_mul_f32 v[38:39], v[58:59], v[38:39] op_sel_hi:[0,1]
	v_add3_u32 v40, v40, v43, s9
	v_add3_u32 v41, v41, v42, s9
	v_perm_b32 v40, v41, v40, s14
	v_bfe_u32 v41, v39, 16, 1
	v_bfe_u32 v42, v38, 16, 1
	v_add3_u32 v38, v38, v42, s9
	v_add3_u32 v39, v39, v41, s9
	v_pk_mul_f32 v[36:37], v[58:59], v[36:37] op_sel_hi:[0,1]
	v_perm_b32 v41, v39, v38, s14
	v_bfe_u32 v38, v37, 16, 1
	v_bfe_u32 v39, v36, 16, 1
	v_pk_mul_f32 v[34:35], v[58:59], v[34:35] op_sel_hi:[0,1]
	v_add3_u32 v36, v36, v39, s9
	v_add3_u32 v37, v37, v38, s9
	v_perm_b32 v36, v37, v36, s14
	v_bfe_u32 v37, v35, 16, 1
	v_bfe_u32 v38, v34, 16, 1
	v_add3_u32 v34, v34, v38, s9
	v_add3_u32 v35, v35, v37, s9
	v_perm_b32 v37, v35, v34, s14
	v_cmp_eq_u32_e32 vcc, 0, v0
	s_barrier
	ds_write2st64_b64 v46, v[48:49], v[44:45] offset1:1
	ds_write2st64_b64 v46, v[40:41], v[36:37] offset0:2 offset1:3
	s_and_saveexec_b64 s[12:13], vcc
	s_cbranch_execz .LBB216_17
; %bb.16:
	s_mul_i32 s7, s7, s11
	s_mul_hi_u32 s15, s6, s11
	s_add_i32 s15, s15, s7
	s_mul_i32 s7, s6, s11
	s_add_u32 s7, s7, s8
	s_addc_u32 s15, s15, 0
	s_load_dwordx4 s[16:19], s[4:5], 0x58
	s_mul_i32 s15, s15, s10
	s_mul_hi_u32 s20, s7, s10
	s_add_i32 s15, s20, s15
	s_mul_i32 s7, s7, s10
	s_add_u32 s20, s7, s30
	s_addc_u32 s21, s15, 0
	s_lshl_b64 s[20:21], s[20:21], 2
	s_waitcnt lgkmcnt(0)
	s_add_u32 s18, s18, s20
	s_addc_u32 s19, s19, s21
	s_add_u32 s16, s16, s20
	s_addc_u32 s17, s17, s21
	global_store_dword v56, v53, s[18:19]
	global_store_dword v56, v54, s[16:17]
.LBB216_17:
	s_or_b64 exec, exec, s[12:13]
	v_lshl_or_b32 v47, v50, 9, v55
	s_waitcnt lgkmcnt(0)
	s_barrier
	ds_read_b128 v[34:37], v47
	ds_read_b128 v[38:41], v47 offset:16
	s_waitcnt vmcnt(7) lgkmcnt(1)
	v_mfma_f32_16x16x16bf16_1k v[42:45], v[14:15], v[34:35], 0
	v_cmp_gt_u32_e32 vcc, 64, v0
	s_and_b64 s[0:1], s[0:1], vcc
	s_mov_b32 s7, 0
	s_and_b64 s[0:1], s[0:1], s[2:3]
	v_mfma_f32_16x16x16bf16_1k v[14:17], v[16:17], v[36:37], v[42:45]
	s_waitcnt vmcnt(6) lgkmcnt(0)
	v_mfma_f32_16x16x16bf16_1k v[14:17], v[10:11], v[38:39], v[14:17]
	v_mfma_f32_16x16x16bf16_1k v[10:13], v[12:13], v[40:41], v[14:17]
	s_nop 7
	s_nop 1
	ds_read_b128 v[14:17], v47 offset:2048
	ds_read_b128 v[34:37], v47 offset:2064
	s_waitcnt vmcnt(5) lgkmcnt(1)
	v_mfma_f32_16x16x16bf16_1k v[10:13], v[6:7], v[14:15], v[10:13]
	v_mfma_f32_16x16x16bf16_1k v[6:9], v[8:9], v[16:17], v[10:13]
	s_waitcnt vmcnt(4) lgkmcnt(0)
	v_mfma_f32_16x16x16bf16_1k v[6:9], v[2:3], v[34:35], v[6:9]
	v_mfma_f32_16x16x16bf16_1k v[2:5], v[4:5], v[36:37], v[6:9]
	s_nop 7
	s_nop 1
	ds_read_b128 v[6:9], v47 offset:4096
	ds_read_b128 v[10:13], v47 offset:4112
	s_waitcnt vmcnt(3) lgkmcnt(1)
	v_mfma_f32_16x16x16bf16_1k v[2:5], v[30:31], v[6:7], v[2:5]
	v_mfma_f32_16x16x16bf16_1k v[2:5], v[32:33], v[8:9], v[2:5]
	s_waitcnt vmcnt(2) lgkmcnt(0)
	v_mfma_f32_16x16x16bf16_1k v[2:5], v[22:23], v[10:11], v[2:5]
	v_mfma_f32_16x16x16bf16_1k v[2:5], v[24:25], v[12:13], v[2:5]
	ds_read_b128 v[6:9], v47 offset:6144
	ds_read_b128 v[10:13], v47 offset:6160
	s_waitcnt lgkmcnt(0)
	s_barrier
	s_waitcnt vmcnt(1)
	v_mfma_f32_16x16x16bf16_1k v[2:5], v[26:27], v[6:7], v[2:5]
	v_mfma_f32_16x16x16bf16_1k v[2:5], v[28:29], v[8:9], v[2:5]
	s_waitcnt vmcnt(0)
	v_mfma_f32_16x16x16bf16_1k v[2:5], v[18:19], v[10:11], v[2:5]
	v_mfma_f32_16x16x16bf16_1k v[2:5], v[20:21], v[12:13], v[2:5]
	s_nop 7
	s_nop 2
	v_bfe_u32 v6, v3, 16, 1
	v_bfe_u32 v7, v2, 16, 1
	;; [unrolled: 1-line block ×4, first 2 shown]
	v_add3_u32 v2, v2, v7, s9
	v_add3_u32 v3, v3, v6, s9
	;; [unrolled: 1-line block ×4, first 2 shown]
	v_perm_b32 v2, v3, v2, s14
	v_perm_b32 v3, v5, v4, s14
	ds_write_b64 v46, v[2:3]
	s_waitcnt lgkmcnt(0)
	s_barrier
	s_and_saveexec_b64 s[2:3], s[0:1]
	s_cbranch_execz .LBB216_19
; %bb.18:
	s_load_dwordx2 s[0:1], s[4:5], 0x68
	s_mul_i32 s2, s11, s6
	s_lshl_b32 s4, s10, 6
	s_mul_hi_u32 s3, s2, s4
	s_mul_i32 s2, s2, s4
	s_lshl_b64 s[2:3], s[2:3], 1
	v_lshlrev_b32_e32 v0, 10, v0
	s_waitcnt lgkmcnt(0)
	s_add_u32 s2, s0, s2
	v_and_b32_e32 v0, 0x1800, v0
	v_lshlrev_b32_e32 v2, 5, v50
	v_and_b32_e32 v3, 16, v51
	s_addc_u32 s3, s1, s3
	s_lshl_b32 s6, s30, 6
	v_or3_b32 v0, v0, v2, v3
	s_lshl_b64 s[0:1], s[6:7], 1
	ds_read_b128 v[2:5], v0
	s_add_u32 s2, s2, s0
	s_addc_u32 s3, s3, s1
	s_mul_hi_u32 s1, s4, s8
	s_mul_i32 s0, s4, s8
	s_lshl_b64 s[0:1], s[0:1], 1
	s_add_u32 s0, s2, s0
	s_addc_u32 s1, s3, s1
	s_waitcnt lgkmcnt(0)
	global_store_dwordx4 v1, v[2:5], s[0:1]
.LBB216_19:
	s_endpgm
	.section	.rodata,"a",@progbits
	.p2align	6, 0x0
	.amdhsa_kernel _Z39paged_attention_ll4mi_QKV_mfma16_kernelI14__hip_bfloat16S0_LN4vllm18Fp8KVCacheDataTypeE0ES0_Li16ELi64ELi256ELb1ELi1EL8MFMAType0EEvPKT_PKT0_S9_ifPKiSB_SB_iPKfiiiPfSE_PS4_PT2_iSD_SD_
		.amdhsa_group_segment_fixed_size 8192
		.amdhsa_private_segment_fixed_size 0
		.amdhsa_kernarg_size 400
		.amdhsa_user_sgpr_count 6
		.amdhsa_user_sgpr_private_segment_buffer 1
		.amdhsa_user_sgpr_dispatch_ptr 0
		.amdhsa_user_sgpr_queue_ptr 0
		.amdhsa_user_sgpr_kernarg_segment_ptr 1
		.amdhsa_user_sgpr_dispatch_id 0
		.amdhsa_user_sgpr_flat_scratch_init 0
		.amdhsa_user_sgpr_kernarg_preload_length 0
		.amdhsa_user_sgpr_kernarg_preload_offset 0
		.amdhsa_user_sgpr_private_segment_size 0
		.amdhsa_uses_dynamic_stack 0
		.amdhsa_system_sgpr_private_segment_wavefront_offset 0
		.amdhsa_system_sgpr_workgroup_id_x 1
		.amdhsa_system_sgpr_workgroup_id_y 1
		.amdhsa_system_sgpr_workgroup_id_z 1
		.amdhsa_system_sgpr_workgroup_info 0
		.amdhsa_system_vgpr_workitem_id 0
		.amdhsa_next_free_vgpr 67
		.amdhsa_next_free_sgpr 48
		.amdhsa_accum_offset 68
		.amdhsa_reserve_vcc 1
		.amdhsa_reserve_flat_scratch 0
		.amdhsa_float_round_mode_32 0
		.amdhsa_float_round_mode_16_64 0
		.amdhsa_float_denorm_mode_32 3
		.amdhsa_float_denorm_mode_16_64 3
		.amdhsa_dx10_clamp 1
		.amdhsa_ieee_mode 1
		.amdhsa_fp16_overflow 0
		.amdhsa_tg_split 0
		.amdhsa_exception_fp_ieee_invalid_op 0
		.amdhsa_exception_fp_denorm_src 0
		.amdhsa_exception_fp_ieee_div_zero 0
		.amdhsa_exception_fp_ieee_overflow 0
		.amdhsa_exception_fp_ieee_underflow 0
		.amdhsa_exception_fp_ieee_inexact 0
		.amdhsa_exception_int_div_zero 0
	.end_amdhsa_kernel
	.section	.text._Z39paged_attention_ll4mi_QKV_mfma16_kernelI14__hip_bfloat16S0_LN4vllm18Fp8KVCacheDataTypeE0ES0_Li16ELi64ELi256ELb1ELi1EL8MFMAType0EEvPKT_PKT0_S9_ifPKiSB_SB_iPKfiiiPfSE_PS4_PT2_iSD_SD_,"axG",@progbits,_Z39paged_attention_ll4mi_QKV_mfma16_kernelI14__hip_bfloat16S0_LN4vllm18Fp8KVCacheDataTypeE0ES0_Li16ELi64ELi256ELb1ELi1EL8MFMAType0EEvPKT_PKT0_S9_ifPKiSB_SB_iPKfiiiPfSE_PS4_PT2_iSD_SD_,comdat
.Lfunc_end216:
	.size	_Z39paged_attention_ll4mi_QKV_mfma16_kernelI14__hip_bfloat16S0_LN4vllm18Fp8KVCacheDataTypeE0ES0_Li16ELi64ELi256ELb1ELi1EL8MFMAType0EEvPKT_PKT0_S9_ifPKiSB_SB_iPKfiiiPfSE_PS4_PT2_iSD_SD_, .Lfunc_end216-_Z39paged_attention_ll4mi_QKV_mfma16_kernelI14__hip_bfloat16S0_LN4vllm18Fp8KVCacheDataTypeE0ES0_Li16ELi64ELi256ELb1ELi1EL8MFMAType0EEvPKT_PKT0_S9_ifPKiSB_SB_iPKfiiiPfSE_PS4_PT2_iSD_SD_
                                        ; -- End function
	.section	.AMDGPU.csdata,"",@progbits
; Kernel info:
; codeLenInByte = 4360
; NumSgprs: 52
; NumVgprs: 67
; NumAgprs: 0
; TotalNumVgprs: 67
; ScratchSize: 0
; MemoryBound: 0
; FloatMode: 240
; IeeeMode: 1
; LDSByteSize: 8192 bytes/workgroup (compile time only)
; SGPRBlocks: 6
; VGPRBlocks: 8
; NumSGPRsForWavesPerEU: 52
; NumVGPRsForWavesPerEU: 67
; AccumOffset: 68
; Occupancy: 7
; WaveLimiterHint : 1
; COMPUTE_PGM_RSRC2:SCRATCH_EN: 0
; COMPUTE_PGM_RSRC2:USER_SGPR: 6
; COMPUTE_PGM_RSRC2:TRAP_HANDLER: 0
; COMPUTE_PGM_RSRC2:TGID_X_EN: 1
; COMPUTE_PGM_RSRC2:TGID_Y_EN: 1
; COMPUTE_PGM_RSRC2:TGID_Z_EN: 1
; COMPUTE_PGM_RSRC2:TIDIG_COMP_CNT: 0
; COMPUTE_PGM_RSRC3_GFX90A:ACCUM_OFFSET: 16
; COMPUTE_PGM_RSRC3_GFX90A:TG_SPLIT: 0
	.section	.text._Z39paged_attention_ll4mi_QKV_mfma16_kernelI14__hip_bfloat16S0_LN4vllm18Fp8KVCacheDataTypeE0ES0_Li16ELi64ELi256ELb1ELi2EL8MFMAType0EEvPKT_PKT0_S9_ifPKiSB_SB_iPKfiiiPfSE_PS4_PT2_iSD_SD_,"axG",@progbits,_Z39paged_attention_ll4mi_QKV_mfma16_kernelI14__hip_bfloat16S0_LN4vllm18Fp8KVCacheDataTypeE0ES0_Li16ELi64ELi256ELb1ELi2EL8MFMAType0EEvPKT_PKT0_S9_ifPKiSB_SB_iPKfiiiPfSE_PS4_PT2_iSD_SD_,comdat
	.protected	_Z39paged_attention_ll4mi_QKV_mfma16_kernelI14__hip_bfloat16S0_LN4vllm18Fp8KVCacheDataTypeE0ES0_Li16ELi64ELi256ELb1ELi2EL8MFMAType0EEvPKT_PKT0_S9_ifPKiSB_SB_iPKfiiiPfSE_PS4_PT2_iSD_SD_ ; -- Begin function _Z39paged_attention_ll4mi_QKV_mfma16_kernelI14__hip_bfloat16S0_LN4vllm18Fp8KVCacheDataTypeE0ES0_Li16ELi64ELi256ELb1ELi2EL8MFMAType0EEvPKT_PKT0_S9_ifPKiSB_SB_iPKfiiiPfSE_PS4_PT2_iSD_SD_
	.globl	_Z39paged_attention_ll4mi_QKV_mfma16_kernelI14__hip_bfloat16S0_LN4vllm18Fp8KVCacheDataTypeE0ES0_Li16ELi64ELi256ELb1ELi2EL8MFMAType0EEvPKT_PKT0_S9_ifPKiSB_SB_iPKfiiiPfSE_PS4_PT2_iSD_SD_
	.p2align	8
	.type	_Z39paged_attention_ll4mi_QKV_mfma16_kernelI14__hip_bfloat16S0_LN4vllm18Fp8KVCacheDataTypeE0ES0_Li16ELi64ELi256ELb1ELi2EL8MFMAType0EEvPKT_PKT0_S9_ifPKiSB_SB_iPKfiiiPfSE_PS4_PT2_iSD_SD_,@function
_Z39paged_attention_ll4mi_QKV_mfma16_kernelI14__hip_bfloat16S0_LN4vllm18Fp8KVCacheDataTypeE0ES0_Li16ELi64ELi256ELb1ELi2EL8MFMAType0EEvPKT_PKT0_S9_ifPKiSB_SB_iPKfiiiPfSE_PS4_PT2_iSD_SD_: ; @_Z39paged_attention_ll4mi_QKV_mfma16_kernelI14__hip_bfloat16S0_LN4vllm18Fp8KVCacheDataTypeE0ES0_Li16ELi64ELi256ELb1ELi2EL8MFMAType0EEvPKT_PKT0_S9_ifPKiSB_SB_iPKfiiiPfSE_PS4_PT2_iSD_SD_
; %bb.0:
	s_load_dwordx2 s[0:1], s[4:5], 0x30
	s_mov_b32 s28, s7
	s_mov_b64 s[10:11], 0
	s_waitcnt lgkmcnt(0)
	s_cmp_lg_u64 s[0:1], 0
	s_cselect_b64 s[2:3], -1, 0
	s_and_b64 vcc, exec, s[2:3]
	s_cbranch_vccz .LBB217_7
; %bb.1:
	s_add_i32 s12, s6, 1
	s_mov_b32 s13, 0
	s_lshl_b64 s[14:15], s[12:13], 2
	s_add_u32 s14, s0, s14
	s_mov_b32 s7, s13
	s_addc_u32 s15, s1, s15
	s_lshl_b64 s[12:13], s[6:7], 2
	s_add_u32 s12, s0, s12
	s_addc_u32 s13, s1, s13
	s_load_dword s9, s[14:15], 0x0
	s_load_dword s16, s[12:13], 0x0
	s_waitcnt lgkmcnt(0)
	s_sub_i32 s9, s9, s16
	s_cmp_eq_u32 s9, 1
	s_cselect_b64 s[12:13], -1, 0
	s_andn2_b64 vcc, exec, s[10:11]
	s_cbranch_vccnz .LBB217_3
.LBB217_2:
	s_mov_b32 s7, 0
	s_mov_b64 s[12:13], -1
.LBB217_3:
	s_andn2_b64 vcc, exec, s[12:13]
	s_cbranch_vccnz .LBB217_19
; %bb.4:
	s_load_dwordx2 s[12:13], s[4:5], 0x28
	s_lshl_b64 s[10:11], s[6:7], 2
	s_waitcnt lgkmcnt(0)
	s_add_u32 s12, s12, s10
	s_addc_u32 s13, s13, s11
	s_load_dword s33, s[12:13], 0x0
	s_lshl_b32 s14, s28, 8
	s_waitcnt lgkmcnt(0)
	s_cmp_ge_i32 s14, s33
	s_cbranch_scc1 .LBB217_19
; %bb.5:
	s_add_i32 s15, s33, 15
	s_load_dwordx2 s[12:13], s[4:5], 0x20
	s_load_dword s9, s[4:5], 0x38
	s_ashr_i32 s16, s15, 31
	v_and_b32_e32 v1, 0xcf, v0
	s_lshr_b32 s16, s16, 28
	v_add_u32_e32 v1, s14, v1
	s_add_i32 s15, s15, s16
	v_ashrrev_i32_e32 v2, 31, v1
	s_ashr_i32 s17, s15, 4
	v_lshrrev_b32_e32 v4, 28, v2
	s_add_i32 s17, s17, -1
	v_add_u32_e32 v2, v1, v4
	s_waitcnt lgkmcnt(0)
	s_mul_i32 s18, s6, s9
	s_mov_b32 s19, 0
	v_ashrrev_i32_e32 v2, 4, v2
	v_mov_b32_e32 v5, s17
	v_cmp_gt_i32_e32 vcc, s33, v1
	s_lshl_b64 s[18:19], s[18:19], 2
	v_cndmask_b32_e32 v2, v5, v2, vcc
	s_add_u32 s15, s12, s18
	v_ashrrev_i32_e32 v3, 31, v2
	s_addc_u32 s16, s13, s19
	v_lshlrev_b64 v[2:3], 2, v[2:3]
	v_mov_b32_e32 v7, s16
	v_add_co_u32_e32 v6, vcc, s15, v2
	v_or_b32_e32 v2, 16, v1
	v_addc_co_u32_e32 v7, vcc, v7, v3, vcc
	v_add_u32_e32 v3, v2, v4
	v_ashrrev_i32_e32 v3, 4, v3
	v_cmp_gt_i32_e32 vcc, s33, v2
	v_cndmask_b32_e32 v2, v5, v3, vcc
	v_ashrrev_i32_e32 v3, 31, v2
	v_lshlrev_b64 v[2:3], 2, v[2:3]
	v_mov_b32_e32 v9, s16
	v_add_co_u32_e32 v8, vcc, s15, v2
	v_or_b32_e32 v2, 32, v1
	v_addc_co_u32_e32 v9, vcc, v9, v3, vcc
	v_add_u32_e32 v3, v2, v4
	v_ashrrev_i32_e32 v3, 4, v3
	v_cmp_gt_i32_e32 vcc, s33, v2
	v_cndmask_b32_e32 v2, v5, v3, vcc
	v_ashrrev_i32_e32 v3, 31, v2
	;; [unrolled: 10-line block ×3, first 2 shown]
	v_lshlrev_b64 v[2:3], 2, v[2:3]
	v_mov_b32_e32 v1, s16
	v_add_co_u32_e32 v12, vcc, s15, v2
	v_addc_co_u32_e32 v13, vcc, v1, v3, vcc
	global_load_dword v5, v[6:7], off
	global_load_dword v4, v[8:9], off
	;; [unrolled: 1-line block ×4, first 2 shown]
	s_load_dwordx2 s[12:13], s[4:5], 0x8
	s_andn2_b64 vcc, exec, s[2:3]
	s_cbranch_vccnz .LBB217_8
; %bb.6:
	s_add_u32 s0, s0, s10
	s_addc_u32 s1, s1, s11
	s_load_dword s9, s[0:1], 0x0
	s_branch .LBB217_9
.LBB217_7:
	s_mov_b64 s[12:13], 0
	s_branch .LBB217_2
.LBB217_8:
	s_mov_b32 s9, s6
.LBB217_9:
	s_load_dwordx2 s[2:3], s[4:5], 0x10
	s_load_dwordx4 s[44:47], s[4:5], 0x48
	v_lshrrev_b32_e32 v53, 6, v0
	v_bfe_u32 v1, v0, 4, 2
	v_lshl_or_b32 v6, v53, 2, v1
	v_and_b32_e32 v54, 15, v0
	v_lshlrev_b32_e32 v7, 3, v54
	v_cmp_gt_u32_e32 vcc, 2, v6
	v_cmp_gt_u32_e64 s[0:1], 8, v54
	s_lshl_b32 s29, s8, 1
	s_and_b64 s[18:19], s[0:1], vcc
	v_lshlrev_b32_e32 v50, 1, v7
	s_and_saveexec_b64 s[10:11], s[18:19]
	s_cbranch_execz .LBB217_11
; %bb.10:
	s_load_dwordx2 s[18:19], s[4:5], 0x0
	s_waitcnt lgkmcnt(0)
	s_ashr_i32 s20, s44, 31
	s_mul_hi_u32 s21, s9, s44
	s_mul_i32 s20, s9, s20
	s_add_i32 s21, s21, s20
	s_mul_i32 s20, s9, s44
	s_lshl_b64 s[20:21], s[20:21], 1
	v_add_lshl_u32 v8, v1, s29, 6
	s_add_u32 s9, s18, s20
	v_ashrrev_i32_e32 v9, 31, v8
	s_addc_u32 s18, s19, s21
	v_lshlrev_b64 v[8:9], 1, v[8:9]
	v_mov_b32_e32 v7, s18
	v_add_co_u32_e32 v8, vcc, s9, v8
	v_addc_co_u32_e32 v7, vcc, v7, v9, vcc
	v_add_co_u32_e32 v8, vcc, v8, v50
	v_addc_co_u32_e32 v9, vcc, 0, v7, vcc
	global_load_dwordx4 v[8:11], v[8:9], off
	v_and_b32_e32 v7, 3, v0
	v_lshlrev_b32_e32 v12, 9, v54
	v_lshlrev_b32_e32 v6, 5, v6
	;; [unrolled: 1-line block ×3, first 2 shown]
	v_and_b32_e32 v12, 0x1800, v12
	v_or3_b32 v6, v12, v7, v6
	s_waitcnt vmcnt(0)
	ds_write_b128 v6, v[8:11]
.LBB217_11:
	s_or_b64 exec, exec, s[10:11]
	s_waitcnt lgkmcnt(0)
	s_mul_i32 s8, s8, s46
	s_mov_b32 s9, 0
	s_lshl_b64 s[8:9], s[8:9], 1
	s_add_u32 s10, s12, s8
	v_lshlrev_b32_e32 v51, 4, v0
	s_addc_u32 s11, s13, s9
	v_and_b32_e32 v6, 0xf0, v51
	v_mov_b32_e32 v7, s11
	v_add_co_u32_e32 v8, vcc, s10, v6
	v_addc_co_u32_e32 v9, vcc, 0, v7, vcc
	s_waitcnt vmcnt(3)
	v_mad_i64_i32 v[6:7], s[10:11], v5, s45, 0
	v_lshlrev_b64 v[6:7], 1, v[6:7]
	v_add_co_u32_e32 v5, vcc, v8, v6
	v_addc_co_u32_e32 v7, vcc, v9, v7, vcc
	v_and_b32_e32 v18, 0x300, v51
	v_add_co_u32_e32 v6, vcc, v5, v18
	s_waitcnt vmcnt(2)
	v_mad_i64_i32 v[4:5], s[10:11], v4, s45, 0
	v_addc_co_u32_e32 v7, vcc, 0, v7, vcc
	v_lshlrev_b64 v[4:5], 1, v[4:5]
	v_add_co_u32_e32 v4, vcc, v8, v4
	v_addc_co_u32_e32 v5, vcc, v9, v5, vcc
	v_add_co_u32_e32 v4, vcc, v4, v18
	v_addc_co_u32_e32 v5, vcc, 0, v5, vcc
	s_barrier
	global_load_dwordx4 v[38:41], v[6:7], off
	global_load_dwordx4 v[34:37], v[6:7], off offset:1024
	global_load_dwordx4 v[30:33], v[4:5], off
	global_load_dwordx4 v[26:29], v[4:5], off offset:1024
	s_waitcnt vmcnt(5)
	v_mad_i64_i32 v[4:5], s[10:11], v3, s45, 0
	v_lshlrev_b64 v[4:5], 1, v[4:5]
	v_add_co_u32_e32 v3, vcc, v8, v4
	v_addc_co_u32_e32 v5, vcc, v9, v5, vcc
	v_add_co_u32_e32 v4, vcc, v3, v18
	s_waitcnt vmcnt(4)
	v_mad_i64_i32 v[2:3], s[10:11], v2, s45, 0
	v_addc_co_u32_e32 v5, vcc, 0, v5, vcc
	v_lshlrev_b64 v[2:3], 1, v[2:3]
	v_add_co_u32_e32 v2, vcc, v8, v2
	v_addc_co_u32_e32 v3, vcc, v9, v3, vcc
	v_add_co_u32_e32 v6, vcc, v2, v18
	v_addc_co_u32_e32 v7, vcc, 0, v3, vcc
	global_load_dwordx4 v[14:17], v[4:5], off
	global_load_dwordx4 v[10:13], v[4:5], off offset:1024
	s_nop 0
	global_load_dwordx4 v[2:5], v[6:7], off
	global_load_dwordx4 v[18:21], v[6:7], off offset:1024
	v_and_b32_e32 v6, 1, v0
	v_lshlrev_b32_e32 v6, 5, v6
	v_lshl_or_b32 v22, v1, 9, v6
	ds_read_b128 v[6:9], v22
	ds_read_b128 v[22:25], v22 offset:2048
	v_and_b32_e32 v52, 63, v0
	v_cmp_gt_u32_e32 vcc, 2, v54
	v_mov_b32_e32 v48, 0
	s_and_saveexec_b64 s[10:11], vcc
	s_cbranch_execz .LBB217_13
; %bb.12:
	s_load_dwordx2 s[12:13], s[4:5], 0x40
	v_or_b32_e32 v42, s29, v54
	v_ashrrev_i32_e32 v43, 31, v42
	v_lshlrev_b64 v[42:43], 2, v[42:43]
	s_waitcnt lgkmcnt(0)
	v_mov_b32_e32 v44, s13
	v_add_co_u32_e32 v42, vcc, s12, v42
	v_addc_co_u32_e32 v43, vcc, v44, v43, vcc
	global_load_dword v48, v[42:43], off
.LBB217_13:
	s_or_b64 exec, exec, s[10:11]
	s_waitcnt vmcnt(7) lgkmcnt(1)
	v_mfma_f32_16x16x16bf16_1k v[42:45], v[38:39], v[6:7], 0
	s_load_dword s10, s[4:5], 0x1c
	s_add_u32 s2, s2, s8
	v_lshlrev_b32_e32 v55, 5, v54
	s_addc_u32 s3, s3, s9
	s_mov_b32 s42, 0xff7fffff
	v_mfma_f32_16x16x16bf16_1k v[38:41], v[40:41], v[8:9], v[42:45]
	s_waitcnt vmcnt(6) lgkmcnt(0)
	v_mfma_f32_16x16x16bf16_1k v[38:41], v[34:35], v[22:23], v[38:41]
	s_nop 4
	v_and_or_b32 v44, v0, 48, s14
	v_mov_b32_e32 v45, s17
	v_cmp_gt_i32_e32 vcc, s33, v44
	v_mfma_f32_16x16x16bf16_1k v[34:37], v[36:37], v[24:25], v[38:41]
	s_nop 6
	v_ashrrev_i32_e32 v38, 4, v44
	v_cndmask_b32_e32 v42, v45, v38, vcc
	s_waitcnt vmcnt(5)
	v_mfma_f32_16x16x16bf16_1k v[38:41], v[30:31], v[6:7], 0
	v_ashrrev_i32_e32 v43, 31, v42
	v_lshlrev_b64 v[30:31], 2, v[42:43]
	v_mov_b32_e32 v42, s16
	v_add_co_u32_e32 v30, vcc, s15, v30
	v_addc_co_u32_e32 v31, vcc, v42, v31, vcc
	global_load_dword v42, v[30:31], off
	v_mfma_f32_16x16x16bf16_1k v[30:33], v[32:33], v[8:9], v[38:41]
	s_nop 6
	v_or_b32_e32 v38, 64, v44
	v_ashrrev_i32_e32 v39, 4, v38
	v_cmp_gt_i32_e32 vcc, s33, v38
	v_cndmask_b32_e32 v38, v45, v39, vcc
	v_ashrrev_i32_e32 v39, 31, v38
	s_waitcnt vmcnt(5)
	v_mfma_f32_16x16x16bf16_1k v[30:33], v[26:27], v[22:23], v[30:33]
	v_lshlrev_b64 v[38:39], 2, v[38:39]
	v_mov_b32_e32 v40, s16
	v_add_co_u32_e32 v26, vcc, s15, v38
	v_addc_co_u32_e32 v27, vcc, v40, v39, vcc
	global_load_dword v43, v[26:27], off
	v_or_b32_e32 v26, 0x80, v44
	v_ashrrev_i32_e32 v27, 4, v26
	v_cmp_gt_i32_e32 vcc, s33, v26
	v_cndmask_b32_e32 v38, v45, v27, vcc
	v_ashrrev_i32_e32 v39, 31, v38
	v_mfma_f32_16x16x16bf16_1k v[26:29], v[28:29], v[24:25], v[30:33]
	s_nop 6
	v_lshlrev_b64 v[30:31], 2, v[38:39]
	v_mov_b32_e32 v32, s16
	v_add_co_u32_e32 v38, vcc, s15, v30
	v_addc_co_u32_e32 v39, vcc, v32, v31, vcc
	global_load_dword v46, v[38:39], off
	s_waitcnt vmcnt(6)
	v_mfma_f32_16x16x16bf16_1k v[30:33], v[14:15], v[6:7], 0
	v_mfma_f32_16x16x16bf16_1k v[14:17], v[16:17], v[8:9], v[30:33]
	s_nop 7
	s_nop 1
	v_or_b32_e32 v30, 0xc0, v44
	v_ashrrev_i32_e32 v31, 4, v30
	v_cmp_gt_i32_e32 vcc, s33, v30
	v_cndmask_b32_e32 v30, v45, v31, vcc
	v_ashrrev_i32_e32 v31, 31, v30
	v_lshlrev_b64 v[30:31], 2, v[30:31]
	v_mov_b32_e32 v32, s16
	s_waitcnt vmcnt(5)
	v_mfma_f32_16x16x16bf16_1k v[14:17], v[10:11], v[22:23], v[14:17]
	v_add_co_u32_e32 v10, vcc, s15, v30
	v_addc_co_u32_e32 v11, vcc, v32, v31, vcc
	global_load_dword v49, v[10:11], off
	v_pk_mul_f32 v[44:45], s[10:11], v[26:27] op_sel_hi:[0,1]
	v_lshl_or_b32 v10, v53, 9, v55
	s_waitcnt vmcnt(5)
	v_mfma_f32_16x16x16bf16_1k v[38:41], v[2:3], v[6:7], 0
	v_mov_b32_e32 v11, s3
	v_add_co_u32_e32 v60, vcc, s2, v10
	v_addc_co_u32_e32 v61, vcc, 0, v11, vcc
	s_waitcnt vmcnt(3)
	v_mad_i64_i32 v[10:11], s[2:3], v42, s45, 0
	v_mfma_f32_16x16x16bf16_1k v[38:41], v[4:5], v[8:9], v[38:41]
	v_lshlrev_b64 v[10:11], 1, v[10:11]
	v_add_co_u32_e32 v2, vcc, v60, v10
	v_addc_co_u32_e32 v3, vcc, v61, v11, vcc
	v_mfma_f32_16x16x16bf16_1k v[56:59], v[18:19], v[22:23], v[38:41]
	v_pk_mul_f32 v[18:19], s[10:11], v[34:35] op_sel_hi:[0,1]
	v_mfma_f32_16x16x16bf16_1k v[30:33], v[12:13], v[24:25], v[14:17]
	s_nop 6
	global_load_dwordx4 v[14:17], v[2:3], off
	global_load_dwordx4 v[10:13], v[2:3], off offset:16
	s_waitcnt vmcnt(4)
	v_mad_i64_i32 v[2:3], s[2:3], v43, s45, 0
	v_lshlrev_b64 v[2:3], 1, v[2:3]
	v_add_co_u32_e32 v2, vcc, v60, v2
	v_mfma_f32_16x16x16bf16_1k v[24:27], v[20:21], v[24:25], v[56:59]
	v_and_b32_e32 v20, 0xc0, v0
	v_add_u32_e32 v20, s14, v20
	v_lshl_or_b32 v20, v1, 2, v20
	v_or_b32_e32 v21, 1, v20
	v_addc_co_u32_e32 v3, vcc, v61, v3, vcc
	v_pk_mul_f32 v[38:39], s[10:11], v[32:33] op_sel_hi:[0,1]
	s_nop 4
	v_pk_mul_f32 v[34:35], s[10:11], v[26:27] op_sel_hi:[0,1]
	v_pk_mul_f32 v[40:41], s[10:11], v[30:31] op_sel_hi:[0,1]
	v_cmp_gt_i32_e64 s[30:31], s33, v20
	v_cmp_gt_i32_e64 s[34:35], s33, v21
	global_load_dwordx4 v[6:9], v[2:3], off
	s_nop 0
	global_load_dwordx4 v[2:5], v[2:3], off offset:16
	s_waitcnt vmcnt(5)
	v_mad_i64_i32 v[42:43], s[2:3], v46, s45, 0
	v_pk_mul_f32 v[46:47], s[10:11], v[36:37] op_sel_hi:[0,1]
	v_pk_mul_f32 v[36:37], s[10:11], v[24:25] op_sel_hi:[0,1]
	v_subrev_u32_e32 v24, s33, v21
	v_add_u32_e32 v26, 1, v24
	v_add_u32_e32 v27, 2, v24
	v_cvt_f32_i32_e32 v25, v24
	v_cvt_f32_i32_e32 v26, v26
	v_cvt_f32_i32_e32 v27, v27
	v_lshlrev_b64 v[42:43], 1, v[42:43]
	v_add_co_u32_e32 v22, vcc, v60, v42
	v_addc_co_u32_e32 v23, vcc, v61, v43, vcc
	v_pk_mul_f32 v[42:43], s[10:11], v[28:29] op_sel_hi:[0,1]
	v_add_u32_e32 v28, 3, v24
	v_fma_f32 v18, v48, v25, v18
	v_fmac_f32_e32 v19, v48, v26
	v_fma_f32 v46, v48, v27, v46
	v_add_u32_e32 v25, 16, v24
	v_add_u32_e32 v26, 17, v24
	;; [unrolled: 1-line block ×3, first 2 shown]
	v_cvt_f32_i32_e32 v28, v28
	v_cvt_f32_i32_e32 v25, v25
	;; [unrolled: 1-line block ×4, first 2 shown]
	v_fmac_f32_e32 v47, v48, v28
	v_add_u32_e32 v28, 19, v24
	v_fma_f32 v44, v48, v25, v44
	v_fmac_f32_e32 v45, v48, v26
	v_fma_f32 v42, v48, v27, v42
	v_add_u32_e32 v25, 32, v24
	v_add_u32_e32 v26, 33, v24
	;; [unrolled: 1-line block ×3, first 2 shown]
	v_cvt_f32_i32_e32 v28, v28
	v_cvt_f32_i32_e32 v25, v25
	;; [unrolled: 1-line block ×4, first 2 shown]
	v_fmac_f32_e32 v43, v48, v28
	v_add_u32_e32 v28, 35, v24
	v_fma_f32 v40, v48, v25, v40
	v_fmac_f32_e32 v41, v48, v26
	v_fma_f32 v38, v48, v27, v38
	v_add_u32_e32 v25, 48, v24
	v_add_u32_e32 v26, 49, v24
	;; [unrolled: 1-line block ×4, first 2 shown]
	v_cvt_f32_i32_e32 v24, v24
	v_cvt_f32_i32_e32 v25, v25
	;; [unrolled: 1-line block ×4, first 2 shown]
	v_fmac_f32_e32 v35, v48, v24
	v_mov_b32_e32 v24, 0xff7fffff
	v_fma_f32 v36, v48, v25, v36
	v_cndmask_b32_e64 v25, v24, v18, s[30:31]
	v_cndmask_b32_e64 v21, v24, v19, s[34:35]
	v_fmac_f32_e32 v37, v48, v26
	v_max3_f32 v21, v25, s42, v21
	v_or_b32_e32 v25, 2, v20
	v_or_b32_e32 v26, 3, v20
	v_cmp_gt_i32_e64 s[36:37], s33, v25
	v_cmp_gt_i32_e64 s[38:39], s33, v26
	v_cndmask_b32_e64 v25, v24, v46, s[36:37]
	v_cndmask_b32_e64 v26, v24, v47, s[38:39]
	v_max3_f32 v21, v21, v25, v26
	v_or_b32_e32 v25, 16, v20
	v_or_b32_e32 v26, 17, v20
	v_cmp_gt_i32_e64 s[24:25], s33, v25
	v_cmp_gt_i32_e64 s[26:27], s33, v26
	v_cndmask_b32_e64 v25, v24, v44, s[24:25]
	v_cndmask_b32_e64 v26, v24, v45, s[26:27]
	;; [unrolled: 7-line block ×4, first 2 shown]
	v_max3_f32 v21, v21, v25, v26
	v_or_b32_e32 v25, 34, v20
	v_or_b32_e32 v26, 35, v20
	v_fmac_f32_e32 v39, v48, v28
	v_cmp_gt_i32_e64 s[12:13], s33, v25
	v_cmp_gt_i32_e64 s[14:15], s33, v26
	v_cndmask_b32_e64 v25, v24, v38, s[12:13]
	v_cndmask_b32_e64 v26, v24, v39, s[14:15]
	v_cvt_f32_i32_e32 v27, v27
	v_max3_f32 v21, v21, v25, v26
	v_or_b32_e32 v25, 48, v20
	v_or_b32_e32 v26, 49, v20
	v_cmp_gt_i32_e64 s[8:9], s33, v25
	v_cmp_gt_i32_e64 s[10:11], s33, v26
	v_cndmask_b32_e64 v25, v24, v36, s[8:9]
	v_cndmask_b32_e64 v26, v24, v37, s[10:11]
	v_max3_f32 v21, v21, v25, v26
	v_or_b32_e32 v25, 50, v20
	v_or_b32_e32 v20, 51, v20
	v_fma_f32 v34, v48, v27, v34
	v_cmp_gt_i32_e32 vcc, s33, v25
	v_cmp_gt_i32_e64 s[2:3], s33, v20
	v_cndmask_b32_e32 v25, v24, v34, vcc
	v_cndmask_b32_e64 v20, v24, v35, s[2:3]
	v_max3_f32 v26, v21, v25, v20
	v_mbcnt_lo_u32_b32 v20, -1, 0
	v_mbcnt_hi_u32_b32 v27, -1, v20
	v_and_b32_e32 v20, 64, v27
	v_add_u32_e32 v28, 64, v20
	v_xor_b32_e32 v20, 32, v27
	v_cmp_lt_i32_e64 s[40:41], v20, v28
	v_cndmask_b32_e64 v20, v27, v20, s[40:41]
	v_lshlrev_b32_e32 v57, 2, v20
	ds_bpermute_b32 v29, v57, v26
	s_waitcnt vmcnt(4)
	v_mad_i64_i32 v[20:21], s[40:41], v49, s45, 0
	v_lshlrev_b64 v[20:21], 1, v[20:21]
	global_load_dwordx4 v[30:33], v[22:23], off
	s_nop 0
	global_load_dwordx4 v[22:25], v[22:23], off offset:16
	s_waitcnt lgkmcnt(0)
	v_max_f32_e32 v29, v29, v29
	v_max_f32_e32 v26, v26, v29
	v_xor_b32_e32 v29, 16, v27
	v_cmp_lt_i32_e64 s[40:41], v29, v28
	v_cndmask_b32_e64 v27, v27, v29, s[40:41]
	v_lshlrev_b32_e32 v59, 2, v27
	ds_bpermute_b32 v27, v59, v26
	v_add_co_u32_e64 v20, s[40:41], v60, v20
	v_addc_co_u32_e64 v21, s[40:41], v61, v21, s[40:41]
	s_waitcnt lgkmcnt(0)
	v_max_f32_e32 v27, v27, v27
	v_max_f32_e32 v56, v26, v27
	v_sub_f32_e32 v18, v18, v56
	v_mul_f32_e32 v18, 0x3fb8aa3b, v18
	v_exp_f32_e32 v48, v18
	v_sub_f32_e32 v18, v19, v56
	v_mul_f32_e32 v18, 0x3fb8aa3b, v18
	v_exp_f32_e32 v49, v18
	global_load_dwordx4 v[26:29], v[20:21], off
	s_nop 0
	global_load_dwordx4 v[18:21], v[20:21], off offset:16
	v_sub_f32_e32 v46, v46, v56
	v_mul_f32_e32 v46, 0x3fb8aa3b, v46
	v_sub_f32_e32 v47, v47, v56
	v_exp_f32_e32 v46, v46
	v_mul_f32_e32 v47, 0x3fb8aa3b, v47
	v_sub_f32_e32 v44, v44, v56
	v_exp_f32_e32 v47, v47
	v_mul_f32_e32 v44, 0x3fb8aa3b, v44
	v_sub_f32_e32 v45, v45, v56
	v_cndmask_b32_e64 v48, 0, v48, s[30:31]
	v_exp_f32_e32 v44, v44
	v_mul_f32_e32 v45, 0x3fb8aa3b, v45
	v_sub_f32_e32 v42, v42, v56
	v_add_f32_e32 v58, 0, v48
	v_cndmask_b32_e64 v49, 0, v49, s[34:35]
	v_exp_f32_e32 v45, v45
	v_mul_f32_e32 v42, 0x3fb8aa3b, v42
	v_sub_f32_e32 v43, v43, v56
	v_add_f32_e32 v58, v58, v49
	;; [unrolled: 5-line block ×10, first 2 shown]
	v_cndmask_b32_e64 v38, 0, v38, s[12:13]
	v_exp_f32_e32 v34, v34
	v_mul_f32_e32 v35, 0x3fb8aa3b, v35
	v_add_f32_e32 v58, v58, v38
	v_cndmask_b32_e64 v39, 0, v39, s[14:15]
	v_exp_f32_e32 v35, v35
	v_add_f32_e32 v58, v58, v39
	v_cndmask_b32_e64 v36, 0, v36, s[8:9]
	v_add_f32_e32 v58, v58, v36
	v_cndmask_b32_e64 v37, 0, v37, s[10:11]
	v_add_f32_e32 v58, v58, v37
	v_cndmask_b32_e32 v34, 0, v34, vcc
	v_add_f32_e32 v58, v58, v34
	v_cndmask_b32_e64 v35, 0, v35, s[2:3]
	v_add_f32_e32 v58, v58, v35
	ds_bpermute_b32 v57, v57, v58
	s_load_dword s9, s[4:5], 0x98
	v_cmp_gt_u32_e32 vcc, 16, v52
	s_waitcnt lgkmcnt(0)
	s_barrier
	v_add_f32_e32 v58, v58, v57
	ds_bpermute_b32 v59, v59, v58
	v_lshlrev_b32_e32 v57, 2, v54
	s_waitcnt lgkmcnt(0)
	s_and_saveexec_b64 s[2:3], vcc
	s_cbranch_execz .LBB217_15
; %bb.14:
	v_add_f32_e32 v54, v58, v59
	v_lshl_or_b32 v58, v53, 6, v57
	ds_write2st64_b32 v58, v56, v54 offset1:1
.LBB217_15:
	s_or_b64 exec, exec, s[2:3]
	s_load_dword s8, s[4:5], 0x94
	s_waitcnt lgkmcnt(0)
	s_barrier
	ds_read2_b32 v[58:59], v57 offset1:16
	ds_read2_b32 v[60:61], v57 offset0:32 offset1:48
	ds_read2_b32 v[62:63], v57 offset0:64 offset1:80
	s_movk_i32 s10, 0x7fff
	s_mov_b32 s11, 0x7060302
	s_waitcnt lgkmcnt(2)
	v_max3_f32 v54, v58, s42, v59
	s_waitcnt lgkmcnt(1)
	v_max3_f32 v54, v54, v60, v61
	v_sub_f32_e32 v56, v58, v54
	v_mul_f32_e32 v56, 0x3fb8aa3b, v56
	v_exp_f32_e32 v64, v56
	v_sub_f32_e32 v56, v59, v54
	v_mul_f32_e32 v56, 0x3fb8aa3b, v56
	v_exp_f32_e32 v65, v56
	;; [unrolled: 3-line block ×3, first 2 shown]
	ds_read2_b32 v[58:59], v57 offset0:96 offset1:112
	v_sub_f32_e32 v56, v61, v54
	v_mul_f32_e32 v56, 0x3fb8aa3b, v56
	v_exp_f32_e32 v57, v56
	s_waitcnt lgkmcnt(1)
	v_fma_f32 v56, v64, v62, 0
	v_fmac_f32_e32 v56, v65, v63
	s_waitcnt lgkmcnt(0)
	v_fmac_f32_e32 v56, v60, v58
	v_fmac_f32_e32 v56, v57, v59
	v_add_f32_e32 v58, 0x358637bd, v56
	v_div_scale_f32 v59, s[2:3], v58, v58, 1.0
	v_rcp_f32_e32 v61, v59
	s_lshl_b32 s9, s9, 1
	s_barrier
	v_fma_f32 v62, -v59, v61, 1.0
	v_fmac_f32_e32 v61, v62, v61
	v_div_scale_f32 v62, vcc, 1.0, v58, 1.0
	v_mul_f32_e32 v63, v62, v61
	v_fma_f32 v66, -v59, v63, v62
	v_fmac_f32_e32 v63, v66, v61
	v_fma_f32 v59, -v59, v63, v62
	v_div_fmas_f32 v59, v59, v61, v63
	v_cmp_eq_u32_e32 vcc, 1, v53
	v_div_fixup_f32 v58, v59, v58, 1.0
	v_cndmask_b32_e32 v59, v64, v65, vcc
	v_cmp_eq_u32_e32 vcc, 2, v53
	v_cndmask_b32_e32 v59, v59, v60, vcc
	v_cmp_eq_u32_e32 vcc, 3, v53
	v_cndmask_b32_e32 v57, v59, v57, vcc
	v_mul_f32_e32 v58, v57, v58
	v_pk_mul_f32 v[48:49], v[58:59], v[48:49] op_sel_hi:[0,1]
	v_pk_mul_f32 v[46:47], v[58:59], v[46:47] op_sel_hi:[0,1]
	v_bfe_u32 v57, v49, 16, 1
	v_bfe_u32 v59, v48, 16, 1
	v_add3_u32 v48, v48, v59, s10
	v_add3_u32 v49, v49, v57, s10
	v_perm_b32 v48, v49, v48, s11
	v_bfe_u32 v49, v47, 16, 1
	v_bfe_u32 v57, v46, 16, 1
	v_add3_u32 v46, v46, v57, s10
	v_add3_u32 v47, v47, v49, s10
	v_perm_b32 v49, v47, v46, s11
	v_lshlrev_b32_e32 v46, 3, v1
	v_lshlrev_b32_e32 v47, 11, v53
	v_pk_mul_f32 v[44:45], v[58:59], v[44:45] op_sel_hi:[0,1]
	v_or3_b32 v46, v47, v55, v46
	v_bfe_u32 v47, v45, 16, 1
	v_bfe_u32 v53, v44, 16, 1
	v_pk_mul_f32 v[42:43], v[58:59], v[42:43] op_sel_hi:[0,1]
	v_add3_u32 v44, v44, v53, s10
	v_add3_u32 v45, v45, v47, s10
	v_perm_b32 v44, v45, v44, s11
	v_bfe_u32 v45, v43, 16, 1
	v_bfe_u32 v47, v42, 16, 1
	v_add3_u32 v42, v42, v47, s10
	v_add3_u32 v43, v43, v45, s10
	v_pk_mul_f32 v[40:41], v[58:59], v[40:41] op_sel_hi:[0,1]
	v_perm_b32 v45, v43, v42, s11
	v_bfe_u32 v42, v41, 16, 1
	v_bfe_u32 v43, v40, 16, 1
	v_pk_mul_f32 v[38:39], v[58:59], v[38:39] op_sel_hi:[0,1]
	v_add3_u32 v40, v40, v43, s10
	v_add3_u32 v41, v41, v42, s10
	v_perm_b32 v40, v41, v40, s11
	v_bfe_u32 v41, v39, 16, 1
	v_bfe_u32 v42, v38, 16, 1
	v_add3_u32 v38, v38, v42, s10
	v_add3_u32 v39, v39, v41, s10
	v_pk_mul_f32 v[36:37], v[58:59], v[36:37] op_sel_hi:[0,1]
	v_perm_b32 v41, v39, v38, s11
	v_bfe_u32 v38, v37, 16, 1
	v_bfe_u32 v39, v36, 16, 1
	v_pk_mul_f32 v[34:35], v[58:59], v[34:35] op_sel_hi:[0,1]
	v_add3_u32 v36, v36, v39, s10
	v_add3_u32 v37, v37, v38, s10
	v_perm_b32 v36, v37, v36, s11
	v_bfe_u32 v37, v35, 16, 1
	v_bfe_u32 v38, v34, 16, 1
	v_add3_u32 v34, v34, v38, s10
	v_add3_u32 v35, v35, v37, s10
	v_perm_b32 v37, v35, v34, s11
	v_cmp_gt_u32_e32 vcc, 2, v0
	ds_write2st64_b64 v46, v[48:49], v[44:45] offset1:1
	ds_write2st64_b64 v46, v[40:41], v[36:37] offset0:2 offset1:3
	s_and_saveexec_b64 s[2:3], vcc
	s_cbranch_execz .LBB217_17
; %bb.16:
	v_or_b32_e32 v34, s29, v0
	v_mov_b32_e32 v35, 0
	v_mov_b32_e32 v36, s9
	v_mad_u64_u32 v[36:37], s[16:17], s6, v36, v[34:35]
	v_mov_b32_e32 v34, s28
	s_load_dwordx4 s[12:15], s[4:5], 0x58
	s_mul_i32 s7, s7, s9
	v_mad_u64_u32 v[34:35], s[16:17], v36, s8, v[34:35]
	v_add_u32_e32 v37, s7, v37
	v_mov_b32_e32 v36, v35
	v_mad_u64_u32 v[36:37], s[16:17], v37, s8, v[36:37]
	v_mov_b32_e32 v35, v36
	v_lshlrev_b64 v[34:35], 2, v[34:35]
	s_waitcnt lgkmcnt(0)
	v_mov_b32_e32 v37, s15
	v_add_co_u32_e32 v36, vcc, s14, v34
	v_addc_co_u32_e32 v37, vcc, v37, v35, vcc
	global_store_dword v[36:37], v54, off
	v_mov_b32_e32 v36, s13
	v_add_co_u32_e32 v34, vcc, s12, v34
	v_addc_co_u32_e32 v35, vcc, v36, v35, vcc
	global_store_dword v[34:35], v56, off
.LBB217_17:
	s_or_b64 exec, exec, s[2:3]
	v_lshl_or_b32 v47, v1, 9, v55
	s_waitcnt lgkmcnt(0)
	s_barrier
	ds_read_b128 v[34:37], v47
	ds_read_b128 v[38:41], v47 offset:16
	s_waitcnt vmcnt(7) lgkmcnt(1)
	v_mfma_f32_16x16x16bf16_1k v[42:45], v[14:15], v[34:35], 0
	v_cmp_gt_u32_e32 vcc, 64, v0
	v_cmp_gt_u32_e64 s[2:3], 32, v52
	s_and_b64 s[2:3], s[2:3], vcc
	s_mov_b32 s7, 0
	s_and_b64 s[0:1], s[2:3], s[0:1]
	v_mfma_f32_16x16x16bf16_1k v[14:17], v[16:17], v[36:37], v[42:45]
	s_waitcnt vmcnt(6) lgkmcnt(0)
	v_mfma_f32_16x16x16bf16_1k v[14:17], v[10:11], v[38:39], v[14:17]
	v_mfma_f32_16x16x16bf16_1k v[10:13], v[12:13], v[40:41], v[14:17]
	s_nop 7
	s_nop 1
	ds_read_b128 v[14:17], v47 offset:2048
	ds_read_b128 v[34:37], v47 offset:2064
	s_waitcnt vmcnt(5) lgkmcnt(1)
	v_mfma_f32_16x16x16bf16_1k v[10:13], v[6:7], v[14:15], v[10:13]
	v_mfma_f32_16x16x16bf16_1k v[6:9], v[8:9], v[16:17], v[10:13]
	s_waitcnt vmcnt(4) lgkmcnt(0)
	v_mfma_f32_16x16x16bf16_1k v[6:9], v[2:3], v[34:35], v[6:9]
	v_mfma_f32_16x16x16bf16_1k v[2:5], v[4:5], v[36:37], v[6:9]
	s_nop 7
	s_nop 1
	ds_read_b128 v[6:9], v47 offset:4096
	ds_read_b128 v[10:13], v47 offset:4112
	s_waitcnt vmcnt(3) lgkmcnt(1)
	v_mfma_f32_16x16x16bf16_1k v[2:5], v[30:31], v[6:7], v[2:5]
	v_mfma_f32_16x16x16bf16_1k v[2:5], v[32:33], v[8:9], v[2:5]
	s_waitcnt vmcnt(2) lgkmcnt(0)
	v_mfma_f32_16x16x16bf16_1k v[2:5], v[22:23], v[10:11], v[2:5]
	v_mfma_f32_16x16x16bf16_1k v[2:5], v[24:25], v[12:13], v[2:5]
	ds_read_b128 v[6:9], v47 offset:6144
	ds_read_b128 v[10:13], v47 offset:6160
	s_waitcnt lgkmcnt(0)
	s_barrier
	s_waitcnt vmcnt(1)
	v_mfma_f32_16x16x16bf16_1k v[2:5], v[26:27], v[6:7], v[2:5]
	v_mfma_f32_16x16x16bf16_1k v[2:5], v[28:29], v[8:9], v[2:5]
	s_waitcnt vmcnt(0)
	v_mfma_f32_16x16x16bf16_1k v[2:5], v[18:19], v[10:11], v[2:5]
	v_mfma_f32_16x16x16bf16_1k v[2:5], v[20:21], v[12:13], v[2:5]
	s_nop 7
	s_nop 2
	v_bfe_u32 v6, v3, 16, 1
	v_bfe_u32 v7, v2, 16, 1
	;; [unrolled: 1-line block ×4, first 2 shown]
	v_add3_u32 v2, v2, v7, s10
	v_add3_u32 v3, v3, v6, s10
	;; [unrolled: 1-line block ×4, first 2 shown]
	v_perm_b32 v2, v3, v2, s11
	v_perm_b32 v3, v5, v4, s11
	ds_write_b64 v46, v[2:3]
	s_waitcnt lgkmcnt(0)
	s_barrier
	s_and_saveexec_b64 s[2:3], s[0:1]
	s_cbranch_execz .LBB217_19
; %bb.18:
	s_load_dwordx2 s[0:1], s[4:5], 0x68
	s_mul_i32 s2, s9, s6
	s_lshl_b32 s4, s8, 6
	s_mul_hi_u32 s3, s2, s4
	s_mul_i32 s2, s2, s4
	s_lshl_b64 s[2:3], s[2:3], 1
	v_lshlrev_b32_e32 v0, 10, v0
	s_waitcnt lgkmcnt(0)
	s_add_u32 s2, s0, s2
	v_and_b32_e32 v0, 0x1800, v0
	v_lshlrev_b32_e32 v2, 5, v1
	v_and_b32_e32 v3, 16, v51
	s_addc_u32 s3, s1, s3
	s_lshl_b32 s6, s28, 6
	v_or3_b32 v0, v0, v2, v3
	s_lshl_b64 s[0:1], s[6:7], 1
	ds_read_b128 v[2:5], v0
	s_add_u32 s2, s2, s0
	v_or_b32_e32 v0, s29, v1
	s_addc_u32 s3, s3, s1
	v_mad_u64_u32 v[0:1], s[0:1], s4, v0, 0
	v_lshlrev_b64 v[0:1], 1, v[0:1]
	v_mov_b32_e32 v6, s3
	v_add_co_u32_e32 v0, vcc, s2, v0
	v_addc_co_u32_e32 v1, vcc, v6, v1, vcc
	v_add_co_u32_e32 v0, vcc, v0, v50
	v_addc_co_u32_e32 v1, vcc, 0, v1, vcc
	s_waitcnt lgkmcnt(0)
	global_store_dwordx4 v[0:1], v[2:5], off
.LBB217_19:
	s_endpgm
	.section	.rodata,"a",@progbits
	.p2align	6, 0x0
	.amdhsa_kernel _Z39paged_attention_ll4mi_QKV_mfma16_kernelI14__hip_bfloat16S0_LN4vllm18Fp8KVCacheDataTypeE0ES0_Li16ELi64ELi256ELb1ELi2EL8MFMAType0EEvPKT_PKT0_S9_ifPKiSB_SB_iPKfiiiPfSE_PS4_PT2_iSD_SD_
		.amdhsa_group_segment_fixed_size 8192
		.amdhsa_private_segment_fixed_size 0
		.amdhsa_kernarg_size 400
		.amdhsa_user_sgpr_count 6
		.amdhsa_user_sgpr_private_segment_buffer 1
		.amdhsa_user_sgpr_dispatch_ptr 0
		.amdhsa_user_sgpr_queue_ptr 0
		.amdhsa_user_sgpr_kernarg_segment_ptr 1
		.amdhsa_user_sgpr_dispatch_id 0
		.amdhsa_user_sgpr_flat_scratch_init 0
		.amdhsa_user_sgpr_kernarg_preload_length 0
		.amdhsa_user_sgpr_kernarg_preload_offset 0
		.amdhsa_user_sgpr_private_segment_size 0
		.amdhsa_uses_dynamic_stack 0
		.amdhsa_system_sgpr_private_segment_wavefront_offset 0
		.amdhsa_system_sgpr_workgroup_id_x 1
		.amdhsa_system_sgpr_workgroup_id_y 1
		.amdhsa_system_sgpr_workgroup_id_z 1
		.amdhsa_system_sgpr_workgroup_info 0
		.amdhsa_system_vgpr_workitem_id 0
		.amdhsa_next_free_vgpr 67
		.amdhsa_next_free_sgpr 48
		.amdhsa_accum_offset 68
		.amdhsa_reserve_vcc 1
		.amdhsa_reserve_flat_scratch 0
		.amdhsa_float_round_mode_32 0
		.amdhsa_float_round_mode_16_64 0
		.amdhsa_float_denorm_mode_32 3
		.amdhsa_float_denorm_mode_16_64 3
		.amdhsa_dx10_clamp 1
		.amdhsa_ieee_mode 1
		.amdhsa_fp16_overflow 0
		.amdhsa_tg_split 0
		.amdhsa_exception_fp_ieee_invalid_op 0
		.amdhsa_exception_fp_denorm_src 0
		.amdhsa_exception_fp_ieee_div_zero 0
		.amdhsa_exception_fp_ieee_overflow 0
		.amdhsa_exception_fp_ieee_underflow 0
		.amdhsa_exception_fp_ieee_inexact 0
		.amdhsa_exception_int_div_zero 0
	.end_amdhsa_kernel
	.section	.text._Z39paged_attention_ll4mi_QKV_mfma16_kernelI14__hip_bfloat16S0_LN4vllm18Fp8KVCacheDataTypeE0ES0_Li16ELi64ELi256ELb1ELi2EL8MFMAType0EEvPKT_PKT0_S9_ifPKiSB_SB_iPKfiiiPfSE_PS4_PT2_iSD_SD_,"axG",@progbits,_Z39paged_attention_ll4mi_QKV_mfma16_kernelI14__hip_bfloat16S0_LN4vllm18Fp8KVCacheDataTypeE0ES0_Li16ELi64ELi256ELb1ELi2EL8MFMAType0EEvPKT_PKT0_S9_ifPKiSB_SB_iPKfiiiPfSE_PS4_PT2_iSD_SD_,comdat
.Lfunc_end217:
	.size	_Z39paged_attention_ll4mi_QKV_mfma16_kernelI14__hip_bfloat16S0_LN4vllm18Fp8KVCacheDataTypeE0ES0_Li16ELi64ELi256ELb1ELi2EL8MFMAType0EEvPKT_PKT0_S9_ifPKiSB_SB_iPKfiiiPfSE_PS4_PT2_iSD_SD_, .Lfunc_end217-_Z39paged_attention_ll4mi_QKV_mfma16_kernelI14__hip_bfloat16S0_LN4vllm18Fp8KVCacheDataTypeE0ES0_Li16ELi64ELi256ELb1ELi2EL8MFMAType0EEvPKT_PKT0_S9_ifPKiSB_SB_iPKfiiiPfSE_PS4_PT2_iSD_SD_
                                        ; -- End function
	.section	.AMDGPU.csdata,"",@progbits
; Kernel info:
; codeLenInByte = 4460
; NumSgprs: 52
; NumVgprs: 67
; NumAgprs: 0
; TotalNumVgprs: 67
; ScratchSize: 0
; MemoryBound: 0
; FloatMode: 240
; IeeeMode: 1
; LDSByteSize: 8192 bytes/workgroup (compile time only)
; SGPRBlocks: 6
; VGPRBlocks: 8
; NumSGPRsForWavesPerEU: 52
; NumVGPRsForWavesPerEU: 67
; AccumOffset: 68
; Occupancy: 7
; WaveLimiterHint : 1
; COMPUTE_PGM_RSRC2:SCRATCH_EN: 0
; COMPUTE_PGM_RSRC2:USER_SGPR: 6
; COMPUTE_PGM_RSRC2:TRAP_HANDLER: 0
; COMPUTE_PGM_RSRC2:TGID_X_EN: 1
; COMPUTE_PGM_RSRC2:TGID_Y_EN: 1
; COMPUTE_PGM_RSRC2:TGID_Z_EN: 1
; COMPUTE_PGM_RSRC2:TIDIG_COMP_CNT: 0
; COMPUTE_PGM_RSRC3_GFX90A:ACCUM_OFFSET: 16
; COMPUTE_PGM_RSRC3_GFX90A:TG_SPLIT: 0
	.section	.text._Z39paged_attention_ll4mi_QKV_mfma16_kernelI14__hip_bfloat16S0_LN4vllm18Fp8KVCacheDataTypeE0ES0_Li16ELi64ELi256ELb1ELi3EL8MFMAType0EEvPKT_PKT0_S9_ifPKiSB_SB_iPKfiiiPfSE_PS4_PT2_iSD_SD_,"axG",@progbits,_Z39paged_attention_ll4mi_QKV_mfma16_kernelI14__hip_bfloat16S0_LN4vllm18Fp8KVCacheDataTypeE0ES0_Li16ELi64ELi256ELb1ELi3EL8MFMAType0EEvPKT_PKT0_S9_ifPKiSB_SB_iPKfiiiPfSE_PS4_PT2_iSD_SD_,comdat
	.protected	_Z39paged_attention_ll4mi_QKV_mfma16_kernelI14__hip_bfloat16S0_LN4vllm18Fp8KVCacheDataTypeE0ES0_Li16ELi64ELi256ELb1ELi3EL8MFMAType0EEvPKT_PKT0_S9_ifPKiSB_SB_iPKfiiiPfSE_PS4_PT2_iSD_SD_ ; -- Begin function _Z39paged_attention_ll4mi_QKV_mfma16_kernelI14__hip_bfloat16S0_LN4vllm18Fp8KVCacheDataTypeE0ES0_Li16ELi64ELi256ELb1ELi3EL8MFMAType0EEvPKT_PKT0_S9_ifPKiSB_SB_iPKfiiiPfSE_PS4_PT2_iSD_SD_
	.globl	_Z39paged_attention_ll4mi_QKV_mfma16_kernelI14__hip_bfloat16S0_LN4vllm18Fp8KVCacheDataTypeE0ES0_Li16ELi64ELi256ELb1ELi3EL8MFMAType0EEvPKT_PKT0_S9_ifPKiSB_SB_iPKfiiiPfSE_PS4_PT2_iSD_SD_
	.p2align	8
	.type	_Z39paged_attention_ll4mi_QKV_mfma16_kernelI14__hip_bfloat16S0_LN4vllm18Fp8KVCacheDataTypeE0ES0_Li16ELi64ELi256ELb1ELi3EL8MFMAType0EEvPKT_PKT0_S9_ifPKiSB_SB_iPKfiiiPfSE_PS4_PT2_iSD_SD_,@function
_Z39paged_attention_ll4mi_QKV_mfma16_kernelI14__hip_bfloat16S0_LN4vllm18Fp8KVCacheDataTypeE0ES0_Li16ELi64ELi256ELb1ELi3EL8MFMAType0EEvPKT_PKT0_S9_ifPKiSB_SB_iPKfiiiPfSE_PS4_PT2_iSD_SD_: ; @_Z39paged_attention_ll4mi_QKV_mfma16_kernelI14__hip_bfloat16S0_LN4vllm18Fp8KVCacheDataTypeE0ES0_Li16ELi64ELi256ELb1ELi3EL8MFMAType0EEvPKT_PKT0_S9_ifPKiSB_SB_iPKfiiiPfSE_PS4_PT2_iSD_SD_
; %bb.0:
	s_load_dwordx2 s[0:1], s[4:5], 0x30
	s_mov_b32 s28, s7
	s_mov_b64 s[10:11], 0
	s_waitcnt lgkmcnt(0)
	s_cmp_lg_u64 s[0:1], 0
	s_cselect_b64 s[2:3], -1, 0
	s_and_b64 vcc, exec, s[2:3]
	s_cbranch_vccz .LBB218_7
; %bb.1:
	s_add_i32 s12, s6, 1
	s_mov_b32 s13, 0
	s_lshl_b64 s[14:15], s[12:13], 2
	s_add_u32 s14, s0, s14
	s_mov_b32 s7, s13
	s_addc_u32 s15, s1, s15
	s_lshl_b64 s[12:13], s[6:7], 2
	s_add_u32 s12, s0, s12
	s_addc_u32 s13, s1, s13
	s_load_dword s9, s[14:15], 0x0
	s_load_dword s16, s[12:13], 0x0
	s_waitcnt lgkmcnt(0)
	s_sub_i32 s9, s9, s16
	s_cmp_eq_u32 s9, 1
	s_cselect_b64 s[12:13], -1, 0
	s_andn2_b64 vcc, exec, s[10:11]
	s_cbranch_vccnz .LBB218_3
.LBB218_2:
	s_mov_b32 s7, 0
	s_mov_b64 s[12:13], -1
.LBB218_3:
	s_andn2_b64 vcc, exec, s[12:13]
	s_cbranch_vccnz .LBB218_19
; %bb.4:
	s_load_dwordx2 s[12:13], s[4:5], 0x28
	s_lshl_b64 s[10:11], s[6:7], 2
	s_waitcnt lgkmcnt(0)
	s_add_u32 s12, s12, s10
	s_addc_u32 s13, s13, s11
	s_load_dword s33, s[12:13], 0x0
	s_lshl_b32 s14, s28, 8
	s_waitcnt lgkmcnt(0)
	s_cmp_ge_i32 s14, s33
	s_cbranch_scc1 .LBB218_19
; %bb.5:
	s_add_i32 s15, s33, 15
	s_load_dwordx2 s[12:13], s[4:5], 0x20
	s_load_dword s9, s[4:5], 0x38
	s_ashr_i32 s16, s15, 31
	v_and_b32_e32 v1, 0xcf, v0
	s_lshr_b32 s16, s16, 28
	v_add_u32_e32 v1, s14, v1
	s_add_i32 s15, s15, s16
	v_ashrrev_i32_e32 v2, 31, v1
	s_ashr_i32 s17, s15, 4
	v_lshrrev_b32_e32 v4, 28, v2
	s_add_i32 s17, s17, -1
	v_add_u32_e32 v2, v1, v4
	s_waitcnt lgkmcnt(0)
	s_mul_i32 s18, s6, s9
	s_mov_b32 s19, 0
	v_ashrrev_i32_e32 v2, 4, v2
	v_mov_b32_e32 v5, s17
	v_cmp_gt_i32_e32 vcc, s33, v1
	s_lshl_b64 s[18:19], s[18:19], 2
	v_cndmask_b32_e32 v2, v5, v2, vcc
	s_add_u32 s15, s12, s18
	v_ashrrev_i32_e32 v3, 31, v2
	s_addc_u32 s16, s13, s19
	v_lshlrev_b64 v[2:3], 2, v[2:3]
	v_mov_b32_e32 v7, s16
	v_add_co_u32_e32 v6, vcc, s15, v2
	v_or_b32_e32 v2, 16, v1
	v_addc_co_u32_e32 v7, vcc, v7, v3, vcc
	v_add_u32_e32 v3, v2, v4
	v_ashrrev_i32_e32 v3, 4, v3
	v_cmp_gt_i32_e32 vcc, s33, v2
	v_cndmask_b32_e32 v2, v5, v3, vcc
	v_ashrrev_i32_e32 v3, 31, v2
	v_lshlrev_b64 v[2:3], 2, v[2:3]
	v_mov_b32_e32 v9, s16
	v_add_co_u32_e32 v8, vcc, s15, v2
	v_or_b32_e32 v2, 32, v1
	v_addc_co_u32_e32 v9, vcc, v9, v3, vcc
	v_add_u32_e32 v3, v2, v4
	v_ashrrev_i32_e32 v3, 4, v3
	v_cmp_gt_i32_e32 vcc, s33, v2
	v_cndmask_b32_e32 v2, v5, v3, vcc
	v_ashrrev_i32_e32 v3, 31, v2
	;; [unrolled: 10-line block ×3, first 2 shown]
	v_lshlrev_b64 v[2:3], 2, v[2:3]
	v_mov_b32_e32 v1, s16
	v_add_co_u32_e32 v12, vcc, s15, v2
	v_addc_co_u32_e32 v13, vcc, v1, v3, vcc
	global_load_dword v5, v[6:7], off
	global_load_dword v4, v[8:9], off
	global_load_dword v3, v[10:11], off
	global_load_dword v2, v[12:13], off
	s_load_dwordx2 s[12:13], s[4:5], 0x8
	s_andn2_b64 vcc, exec, s[2:3]
	s_cbranch_vccnz .LBB218_8
; %bb.6:
	s_add_u32 s0, s0, s10
	s_addc_u32 s1, s1, s11
	s_load_dword s9, s[0:1], 0x0
	s_branch .LBB218_9
.LBB218_7:
	s_mov_b64 s[12:13], 0
	s_branch .LBB218_2
.LBB218_8:
	s_mov_b32 s9, s6
.LBB218_9:
	s_load_dwordx2 s[2:3], s[4:5], 0x10
	s_load_dwordx4 s[44:47], s[4:5], 0x48
	v_lshrrev_b32_e32 v54, 6, v0
	v_bfe_u32 v51, v0, 4, 2
	v_lshl_or_b32 v6, v54, 2, v51
	v_and_b32_e32 v53, 15, v0
	s_mul_i32 s29, s8, 3
	v_lshlrev_b32_e32 v7, 3, v53
	v_cmp_gt_u32_e32 vcc, 3, v6
	v_cmp_gt_u32_e64 s[0:1], 8, v53
	v_add_u32_e32 v1, s29, v51
	s_and_b64 s[18:19], s[0:1], vcc
	v_lshlrev_b32_e32 v50, 1, v7
	s_and_saveexec_b64 s[10:11], s[18:19]
	s_cbranch_execz .LBB218_11
; %bb.10:
	s_load_dwordx2 s[18:19], s[4:5], 0x0
	s_waitcnt lgkmcnt(0)
	s_ashr_i32 s20, s44, 31
	s_mul_hi_u32 s21, s9, s44
	s_mul_i32 s20, s9, s20
	s_add_i32 s21, s21, s20
	s_mul_i32 s20, s9, s44
	s_lshl_b64 s[20:21], s[20:21], 1
	v_lshlrev_b32_e32 v8, 6, v1
	s_add_u32 s9, s18, s20
	v_ashrrev_i32_e32 v9, 31, v8
	s_addc_u32 s18, s19, s21
	v_lshlrev_b64 v[8:9], 1, v[8:9]
	v_mov_b32_e32 v7, s18
	v_add_co_u32_e32 v8, vcc, s9, v8
	v_addc_co_u32_e32 v7, vcc, v7, v9, vcc
	v_add_co_u32_e32 v8, vcc, v8, v50
	v_addc_co_u32_e32 v9, vcc, 0, v7, vcc
	global_load_dwordx4 v[8:11], v[8:9], off
	v_and_b32_e32 v7, 3, v0
	v_lshlrev_b32_e32 v12, 9, v53
	v_lshlrev_b32_e32 v6, 5, v6
	;; [unrolled: 1-line block ×3, first 2 shown]
	v_and_b32_e32 v12, 0x1800, v12
	v_or3_b32 v6, v12, v7, v6
	s_waitcnt vmcnt(0)
	ds_write_b128 v6, v[8:11]
.LBB218_11:
	s_or_b64 exec, exec, s[10:11]
	s_waitcnt lgkmcnt(0)
	s_mul_i32 s8, s8, s46
	s_mov_b32 s9, 0
	s_lshl_b64 s[8:9], s[8:9], 1
	s_add_u32 s10, s12, s8
	v_lshlrev_b32_e32 v52, 4, v0
	s_addc_u32 s11, s13, s9
	v_and_b32_e32 v6, 0xf0, v52
	v_mov_b32_e32 v7, s11
	v_add_co_u32_e32 v18, vcc, s10, v6
	v_addc_co_u32_e32 v19, vcc, 0, v7, vcc
	s_waitcnt vmcnt(3)
	v_mad_i64_i32 v[6:7], s[10:11], v5, s45, 0
	v_lshlrev_b64 v[6:7], 1, v[6:7]
	v_add_co_u32_e32 v5, vcc, v18, v6
	v_addc_co_u32_e32 v7, vcc, v19, v7, vcc
	v_and_b32_e32 v20, 0x300, v52
	v_add_co_u32_e32 v6, vcc, v5, v20
	s_waitcnt vmcnt(2)
	v_mad_i64_i32 v[4:5], s[10:11], v4, s45, 0
	v_addc_co_u32_e32 v7, vcc, 0, v7, vcc
	v_lshlrev_b64 v[4:5], 1, v[4:5]
	v_add_co_u32_e32 v4, vcc, v18, v4
	v_addc_co_u32_e32 v5, vcc, v19, v5, vcc
	v_add_co_u32_e32 v4, vcc, v4, v20
	v_addc_co_u32_e32 v5, vcc, 0, v5, vcc
	s_barrier
	global_load_dwordx4 v[38:41], v[6:7], off
	global_load_dwordx4 v[34:37], v[6:7], off offset:1024
	global_load_dwordx4 v[30:33], v[4:5], off
	global_load_dwordx4 v[14:17], v[4:5], off offset:1024
	s_waitcnt vmcnt(5)
	v_mad_i64_i32 v[4:5], s[10:11], v3, s45, 0
	v_lshlrev_b64 v[4:5], 1, v[4:5]
	v_add_co_u32_e32 v3, vcc, v18, v4
	v_addc_co_u32_e32 v5, vcc, v19, v5, vcc
	v_add_co_u32_e32 v4, vcc, v3, v20
	s_waitcnt vmcnt(4)
	v_mad_i64_i32 v[2:3], s[10:11], v2, s45, 0
	v_addc_co_u32_e32 v5, vcc, 0, v5, vcc
	v_lshlrev_b64 v[2:3], 1, v[2:3]
	v_add_co_u32_e32 v2, vcc, v18, v2
	v_addc_co_u32_e32 v3, vcc, v19, v3, vcc
	v_add_co_u32_e32 v22, vcc, v2, v20
	v_addc_co_u32_e32 v23, vcc, 0, v3, vcc
	global_load_dwordx4 v[10:13], v[4:5], off
	global_load_dwordx4 v[6:9], v[4:5], off offset:1024
	s_nop 0
	global_load_dwordx4 v[2:5], v[22:23], off
	global_load_dwordx4 v[18:21], v[22:23], off offset:1024
	v_mul_lo_u16_e32 v22, 0x56, v53
	v_mov_b32_e32 v23, 3
	v_mul_lo_u16_sdwa v22, v22, v23 dst_sel:DWORD dst_unused:UNUSED_PAD src0_sel:BYTE_1 src1_sel:DWORD
	v_sub_u16_e32 v22, v53, v22
	v_mov_b32_e32 v23, 5
	v_lshlrev_b32_sdwa v22, v23, v22 dst_sel:DWORD dst_unused:UNUSED_PAD src0_sel:DWORD src1_sel:BYTE_0
	v_lshl_add_u32 v22, v51, 9, v22
	ds_read_b128 v[26:29], v22
	ds_read_b128 v[22:25], v22 offset:2048
	v_and_b32_e32 v55, 63, v0
	v_cmp_gt_u32_e32 vcc, 3, v53
	v_mov_b32_e32 v48, 0
	s_and_saveexec_b64 s[10:11], vcc
	s_cbranch_execz .LBB218_13
; %bb.12:
	s_load_dwordx2 s[12:13], s[4:5], 0x40
	v_add_u32_e32 v42, s29, v53
	v_ashrrev_i32_e32 v43, 31, v42
	v_lshlrev_b64 v[42:43], 2, v[42:43]
	s_waitcnt lgkmcnt(0)
	v_mov_b32_e32 v44, s13
	v_add_co_u32_e32 v42, vcc, s12, v42
	v_addc_co_u32_e32 v43, vcc, v44, v43, vcc
	global_load_dword v48, v[42:43], off
.LBB218_13:
	s_or_b64 exec, exec, s[10:11]
	s_waitcnt vmcnt(7) lgkmcnt(1)
	v_mfma_f32_16x16x16bf16_1k v[42:45], v[38:39], v[26:27], 0
	s_add_u32 s2, s2, s8
	v_lshlrev_b32_e32 v56, 5, v53
	s_addc_u32 s3, s3, s9
	s_load_dword s10, s[4:5], 0x1c
	s_mov_b32 s42, 0xff7fffff
	v_mfma_f32_16x16x16bf16_1k v[38:41], v[40:41], v[28:29], v[42:45]
	s_waitcnt vmcnt(6) lgkmcnt(0)
	v_mfma_f32_16x16x16bf16_1k v[38:41], v[34:35], v[22:23], v[38:41]
	s_nop 4
	v_and_or_b32 v44, v0, 48, s14
	v_mov_b32_e32 v45, s17
	v_cmp_gt_i32_e32 vcc, s33, v44
	v_mfma_f32_16x16x16bf16_1k v[34:37], v[36:37], v[24:25], v[38:41]
	s_nop 6
	v_ashrrev_i32_e32 v38, 4, v44
	v_cndmask_b32_e32 v42, v45, v38, vcc
	v_ashrrev_i32_e32 v43, 31, v42
	s_waitcnt vmcnt(5)
	v_mfma_f32_16x16x16bf16_1k v[38:41], v[30:31], v[26:27], 0
	v_lshlrev_b64 v[30:31], 2, v[42:43]
	v_mov_b32_e32 v42, s16
	v_add_co_u32_e32 v30, vcc, s15, v30
	v_addc_co_u32_e32 v31, vcc, v42, v31, vcc
	global_load_dword v42, v[30:31], off
	v_mfma_f32_16x16x16bf16_1k v[30:33], v[32:33], v[28:29], v[38:41]
	v_pk_mul_f32 v[46:47], s[10:11], v[36:37] op_sel_hi:[0,1]
	s_nop 5
	v_or_b32_e32 v38, 64, v44
	v_ashrrev_i32_e32 v39, 4, v38
	v_cmp_gt_i32_e32 vcc, s33, v38
	v_cndmask_b32_e32 v38, v45, v39, vcc
	v_ashrrev_i32_e32 v39, 31, v38
	v_lshlrev_b64 v[38:39], 2, v[38:39]
	s_waitcnt vmcnt(5)
	v_mfma_f32_16x16x16bf16_1k v[30:33], v[14:15], v[22:23], v[30:33]
	v_mov_b32_e32 v40, s16
	v_add_co_u32_e32 v14, vcc, s15, v38
	v_addc_co_u32_e32 v15, vcc, v40, v39, vcc
	global_load_dword v40, v[14:15], off
	v_or_b32_e32 v14, 0x80, v44
	v_ashrrev_i32_e32 v15, 4, v14
	v_cmp_gt_i32_e32 vcc, s33, v14
	v_cndmask_b32_e32 v14, v45, v15, vcc
	v_ashrrev_i32_e32 v15, 31, v14
	v_lshlrev_b64 v[14:15], 2, v[14:15]
	v_mfma_f32_16x16x16bf16_1k v[30:33], v[16:17], v[24:25], v[30:33]
	v_mov_b32_e32 v16, s16
	v_add_co_u32_e32 v38, vcc, s15, v14
	v_addc_co_u32_e32 v39, vcc, v16, v15, vcc
	global_load_dword v38, v[38:39], off
	s_waitcnt vmcnt(6)
	v_mfma_f32_16x16x16bf16_1k v[14:17], v[10:11], v[26:27], 0
	v_mfma_f32_16x16x16bf16_1k v[10:13], v[12:13], v[28:29], v[14:17]
	s_nop 7
	s_nop 1
	v_or_b32_e32 v14, 0xc0, v44
	v_ashrrev_i32_e32 v15, 4, v14
	v_cmp_gt_i32_e32 vcc, s33, v14
	v_cndmask_b32_e32 v14, v45, v15, vcc
	s_waitcnt vmcnt(5)
	v_mfma_f32_16x16x16bf16_1k v[10:13], v[6:7], v[22:23], v[10:13]
	v_ashrrev_i32_e32 v15, 31, v14
	v_lshlrev_b64 v[14:15], 2, v[14:15]
	v_mov_b32_e32 v16, s16
	v_add_co_u32_e32 v6, vcc, s15, v14
	v_addc_co_u32_e32 v7, vcc, v16, v15, vcc
	global_load_dword v49, v[6:7], off
	v_lshl_or_b32 v6, v54, 9, v56
	v_mov_b32_e32 v7, s3
	v_add_co_u32_e32 v57, vcc, s2, v6
	v_addc_co_u32_e32 v62, vcc, 0, v7, vcc
	v_mfma_f32_16x16x16bf16_1k v[58:61], v[8:9], v[24:25], v[10:13]
	v_pk_mul_f32 v[44:45], s[10:11], v[30:31] op_sel_hi:[0,1]
	s_waitcnt vmcnt(3)
	v_mad_i64_i32 v[6:7], s[2:3], v42, s45, 0
	s_nop 3
	v_lshlrev_b64 v[10:11], 1, v[6:7]
	v_mfma_f32_16x16x16bf16_1k v[6:9], v[2:3], v[26:27], 0
	v_add_co_u32_e32 v2, vcc, v57, v10
	v_addc_co_u32_e32 v3, vcc, v62, v11, vcc
	global_load_dwordx4 v[14:17], v[2:3], off
	global_load_dwordx4 v[10:13], v[2:3], off offset:16
	v_pk_mul_f32 v[42:43], s[10:11], v[32:33] op_sel_hi:[0,1]
	s_waitcnt vmcnt(4)
	v_mad_i64_i32 v[2:3], s[2:3], v40, s45, 0
	v_mfma_f32_16x16x16bf16_1k v[26:29], v[4:5], v[28:29], v[6:9]
	v_lshlrev_b64 v[2:3], 1, v[2:3]
	v_add_co_u32_e32 v2, vcc, v57, v2
	v_addc_co_u32_e32 v3, vcc, v62, v3, vcc
	v_pk_mul_f32 v[40:41], s[10:11], v[58:59] op_sel_hi:[0,1]
	s_nop 2
	global_load_dwordx4 v[6:9], v[2:3], off
	s_nop 0
	global_load_dwordx4 v[2:5], v[2:3], off offset:16
	v_mfma_f32_16x16x16bf16_1k v[26:29], v[18:19], v[22:23], v[26:29]
	v_pk_mul_f32 v[18:19], s[10:11], v[34:35] op_sel_hi:[0,1]
	s_waitcnt vmcnt(5)
	v_mad_i64_i32 v[38:39], s[2:3], v38, s45, 0
	v_lshlrev_b64 v[38:39], 1, v[38:39]
	v_add_co_u32_e32 v22, vcc, v57, v38
	v_mfma_f32_16x16x16bf16_1k v[24:27], v[20:21], v[24:25], v[26:29]
	v_and_b32_e32 v20, 0xc0, v0
	v_add_u32_e32 v20, s14, v20
	v_lshl_or_b32 v20, v51, 2, v20
	v_or_b32_e32 v21, 1, v20
	v_addc_co_u32_e32 v23, vcc, v62, v39, vcc
	v_pk_mul_f32 v[38:39], s[10:11], v[60:61] op_sel_hi:[0,1]
	s_nop 4
	v_pk_mul_f32 v[36:37], s[10:11], v[24:25] op_sel_hi:[0,1]
	v_subrev_u32_e32 v24, s33, v21
	v_pk_mul_f32 v[34:35], s[10:11], v[26:27] op_sel_hi:[0,1]
	v_add_u32_e32 v26, 1, v24
	v_add_u32_e32 v27, 2, v24
	v_cvt_f32_i32_e32 v25, v24
	v_cvt_f32_i32_e32 v26, v26
	;; [unrolled: 1-line block ×3, first 2 shown]
	v_add_u32_e32 v28, 3, v24
	v_fma_f32 v18, v48, v25, v18
	v_fmac_f32_e32 v19, v48, v26
	v_fma_f32 v46, v48, v27, v46
	v_add_u32_e32 v25, 16, v24
	v_add_u32_e32 v26, 17, v24
	;; [unrolled: 1-line block ×3, first 2 shown]
	v_cvt_f32_i32_e32 v28, v28
	v_cvt_f32_i32_e32 v25, v25
	;; [unrolled: 1-line block ×4, first 2 shown]
	v_fmac_f32_e32 v47, v48, v28
	v_add_u32_e32 v28, 19, v24
	v_fma_f32 v44, v48, v25, v44
	v_fmac_f32_e32 v45, v48, v26
	v_fma_f32 v42, v48, v27, v42
	v_add_u32_e32 v25, 32, v24
	v_add_u32_e32 v26, 33, v24
	;; [unrolled: 1-line block ×3, first 2 shown]
	v_cvt_f32_i32_e32 v28, v28
	v_cvt_f32_i32_e32 v25, v25
	;; [unrolled: 1-line block ×4, first 2 shown]
	v_fmac_f32_e32 v43, v48, v28
	v_add_u32_e32 v28, 35, v24
	v_fma_f32 v40, v48, v25, v40
	v_fmac_f32_e32 v41, v48, v26
	v_fma_f32 v38, v48, v27, v38
	v_add_u32_e32 v25, 48, v24
	v_add_u32_e32 v26, 49, v24
	;; [unrolled: 1-line block ×4, first 2 shown]
	v_cvt_f32_i32_e32 v24, v24
	v_cvt_f32_i32_e32 v25, v25
	;; [unrolled: 1-line block ×3, first 2 shown]
	v_cmp_gt_i32_e64 s[30:31], s33, v20
	v_fmac_f32_e32 v35, v48, v24
	v_mov_b32_e32 v24, 0xff7fffff
	v_cmp_gt_i32_e64 s[34:35], s33, v21
	v_fma_f32 v36, v48, v25, v36
	v_cndmask_b32_e64 v25, v24, v18, s[30:31]
	v_cndmask_b32_e64 v21, v24, v19, s[34:35]
	v_fmac_f32_e32 v37, v48, v26
	v_max3_f32 v21, v25, s42, v21
	v_or_b32_e32 v25, 2, v20
	v_or_b32_e32 v26, 3, v20
	v_cmp_gt_i32_e64 s[36:37], s33, v25
	v_cmp_gt_i32_e64 s[38:39], s33, v26
	v_cndmask_b32_e64 v25, v24, v46, s[36:37]
	v_cndmask_b32_e64 v26, v24, v47, s[38:39]
	v_max3_f32 v21, v21, v25, v26
	v_or_b32_e32 v25, 16, v20
	v_or_b32_e32 v26, 17, v20
	v_cmp_gt_i32_e64 s[24:25], s33, v25
	v_cmp_gt_i32_e64 s[26:27], s33, v26
	v_cndmask_b32_e64 v25, v24, v44, s[24:25]
	v_cndmask_b32_e64 v26, v24, v45, s[26:27]
	;; [unrolled: 7-line block ×3, first 2 shown]
	v_cvt_f32_i32_e32 v28, v28
	v_max3_f32 v21, v21, v25, v26
	v_or_b32_e32 v25, 32, v20
	v_or_b32_e32 v26, 33, v20
	v_cmp_gt_i32_e64 s[16:17], s33, v25
	v_cmp_gt_i32_e64 s[18:19], s33, v26
	v_cndmask_b32_e64 v25, v24, v40, s[16:17]
	v_cndmask_b32_e64 v26, v24, v41, s[18:19]
	v_max3_f32 v21, v21, v25, v26
	v_or_b32_e32 v25, 34, v20
	v_or_b32_e32 v26, 35, v20
	v_fmac_f32_e32 v39, v48, v28
	v_cmp_gt_i32_e64 s[12:13], s33, v25
	v_cmp_gt_i32_e64 s[14:15], s33, v26
	v_cndmask_b32_e64 v25, v24, v38, s[12:13]
	v_cndmask_b32_e64 v26, v24, v39, s[14:15]
	v_cvt_f32_i32_e32 v27, v27
	v_max3_f32 v21, v21, v25, v26
	v_or_b32_e32 v25, 48, v20
	v_or_b32_e32 v26, 49, v20
	v_cmp_gt_i32_e64 s[8:9], s33, v25
	v_cmp_gt_i32_e64 s[10:11], s33, v26
	v_cndmask_b32_e64 v25, v24, v36, s[8:9]
	v_cndmask_b32_e64 v26, v24, v37, s[10:11]
	v_max3_f32 v21, v21, v25, v26
	v_or_b32_e32 v25, 50, v20
	v_or_b32_e32 v20, 51, v20
	v_fma_f32 v34, v48, v27, v34
	v_cmp_gt_i32_e32 vcc, s33, v25
	v_cmp_gt_i32_e64 s[2:3], s33, v20
	v_cndmask_b32_e32 v25, v24, v34, vcc
	v_cndmask_b32_e64 v20, v24, v35, s[2:3]
	v_max3_f32 v26, v21, v25, v20
	v_mbcnt_lo_u32_b32 v20, -1, 0
	v_mbcnt_hi_u32_b32 v27, -1, v20
	v_and_b32_e32 v20, 64, v27
	v_add_u32_e32 v28, 64, v20
	v_xor_b32_e32 v20, 32, v27
	v_cmp_lt_i32_e64 s[40:41], v20, v28
	v_cndmask_b32_e64 v20, v27, v20, s[40:41]
	v_lshlrev_b32_e32 v58, 2, v20
	ds_bpermute_b32 v29, v58, v26
	s_waitcnt vmcnt(4)
	v_mad_i64_i32 v[20:21], s[40:41], v49, s45, 0
	v_lshlrev_b64 v[20:21], 1, v[20:21]
	global_load_dwordx4 v[30:33], v[22:23], off
	s_nop 0
	global_load_dwordx4 v[22:25], v[22:23], off offset:16
	s_waitcnt lgkmcnt(0)
	v_max_f32_e32 v29, v29, v29
	v_max_f32_e32 v26, v26, v29
	v_xor_b32_e32 v29, 16, v27
	v_cmp_lt_i32_e64 s[40:41], v29, v28
	v_cndmask_b32_e64 v27, v27, v29, s[40:41]
	v_lshlrev_b32_e32 v60, 2, v27
	ds_bpermute_b32 v27, v60, v26
	v_add_co_u32_e64 v20, s[40:41], v57, v20
	v_addc_co_u32_e64 v21, s[40:41], v62, v21, s[40:41]
	s_waitcnt lgkmcnt(0)
	v_max_f32_e32 v27, v27, v27
	v_max_f32_e32 v57, v26, v27
	v_sub_f32_e32 v18, v18, v57
	v_mul_f32_e32 v18, 0x3fb8aa3b, v18
	v_exp_f32_e32 v48, v18
	v_sub_f32_e32 v18, v19, v57
	v_mul_f32_e32 v18, 0x3fb8aa3b, v18
	v_exp_f32_e32 v49, v18
	global_load_dwordx4 v[26:29], v[20:21], off
	s_nop 0
	global_load_dwordx4 v[18:21], v[20:21], off offset:16
	v_sub_f32_e32 v46, v46, v57
	v_mul_f32_e32 v46, 0x3fb8aa3b, v46
	v_sub_f32_e32 v47, v47, v57
	v_exp_f32_e32 v46, v46
	v_mul_f32_e32 v47, 0x3fb8aa3b, v47
	v_sub_f32_e32 v44, v44, v57
	v_exp_f32_e32 v47, v47
	v_mul_f32_e32 v44, 0x3fb8aa3b, v44
	v_sub_f32_e32 v45, v45, v57
	v_cndmask_b32_e64 v48, 0, v48, s[30:31]
	v_exp_f32_e32 v44, v44
	v_mul_f32_e32 v45, 0x3fb8aa3b, v45
	v_sub_f32_e32 v42, v42, v57
	v_add_f32_e32 v59, 0, v48
	v_cndmask_b32_e64 v49, 0, v49, s[34:35]
	v_exp_f32_e32 v45, v45
	v_mul_f32_e32 v42, 0x3fb8aa3b, v42
	v_sub_f32_e32 v43, v43, v57
	v_add_f32_e32 v59, v59, v49
	;; [unrolled: 5-line block ×10, first 2 shown]
	v_cndmask_b32_e64 v38, 0, v38, s[12:13]
	v_exp_f32_e32 v34, v34
	v_mul_f32_e32 v35, 0x3fb8aa3b, v35
	v_add_f32_e32 v59, v59, v38
	v_cndmask_b32_e64 v39, 0, v39, s[14:15]
	v_exp_f32_e32 v35, v35
	v_add_f32_e32 v59, v59, v39
	v_cndmask_b32_e64 v36, 0, v36, s[8:9]
	v_add_f32_e32 v59, v59, v36
	v_cndmask_b32_e64 v37, 0, v37, s[10:11]
	v_add_f32_e32 v59, v59, v37
	v_cndmask_b32_e32 v34, 0, v34, vcc
	v_add_f32_e32 v59, v59, v34
	v_cndmask_b32_e64 v35, 0, v35, s[2:3]
	v_add_f32_e32 v59, v59, v35
	ds_bpermute_b32 v58, v58, v59
	s_load_dword s9, s[4:5], 0x98
	v_cmp_gt_u32_e32 vcc, 16, v55
	s_waitcnt lgkmcnt(0)
	s_barrier
	v_add_f32_e32 v59, v59, v58
	ds_bpermute_b32 v60, v60, v59
	v_lshlrev_b32_e32 v58, 2, v53
	s_waitcnt lgkmcnt(0)
	s_and_saveexec_b64 s[2:3], vcc
	s_cbranch_execz .LBB218_15
; %bb.14:
	v_add_f32_e32 v55, v59, v60
	v_lshl_or_b32 v59, v54, 6, v58
	ds_write2st64_b32 v59, v57, v55 offset1:1
.LBB218_15:
	s_or_b64 exec, exec, s[2:3]
	s_load_dword s8, s[4:5], 0x94
	s_waitcnt lgkmcnt(0)
	s_barrier
	ds_read2_b32 v[60:61], v58 offset1:16
	ds_read2_b32 v[62:63], v58 offset0:32 offset1:48
	ds_read2_b32 v[64:65], v58 offset0:64 offset1:80
	;; [unrolled: 1-line block ×3, first 2 shown]
	s_movk_i32 s10, 0x7fff
	s_waitcnt lgkmcnt(3)
	v_max3_f32 v55, v60, s42, v61
	s_waitcnt lgkmcnt(2)
	v_max3_f32 v55, v55, v62, v63
	v_sub_f32_e32 v57, v60, v55
	v_mul_f32_e32 v57, 0x3fb8aa3b, v57
	v_exp_f32_e32 v60, v57
	v_sub_f32_e32 v57, v61, v55
	v_mul_f32_e32 v57, 0x3fb8aa3b, v57
	v_exp_f32_e32 v61, v57
	;; [unrolled: 3-line block ×4, first 2 shown]
	s_waitcnt lgkmcnt(1)
	v_fma_f32 v57, v60, v64, 0
	v_fmac_f32_e32 v57, v61, v65
	s_waitcnt lgkmcnt(0)
	v_fmac_f32_e32 v57, v62, v58
	v_fmac_f32_e32 v57, v63, v59
	v_add_f32_e32 v58, 0x358637bd, v57
	v_div_scale_f32 v59, s[2:3], v58, v58, 1.0
	v_rcp_f32_e32 v64, v59
	s_mov_b32 s11, 0x7060302
	s_mul_i32 s9, s9, 3
	v_fma_f32 v65, -v59, v64, 1.0
	v_fmac_f32_e32 v64, v65, v64
	v_div_scale_f32 v65, vcc, 1.0, v58, 1.0
	v_mul_f32_e32 v66, v65, v64
	v_fma_f32 v67, -v59, v66, v65
	v_fmac_f32_e32 v66, v67, v64
	v_fma_f32 v59, -v59, v66, v65
	v_div_fmas_f32 v59, v59, v64, v66
	v_cmp_eq_u32_e32 vcc, 1, v54
	v_div_fixup_f32 v58, v59, v58, 1.0
	v_cndmask_b32_e32 v59, v60, v61, vcc
	v_cmp_eq_u32_e32 vcc, 2, v54
	v_cndmask_b32_e32 v59, v59, v62, vcc
	v_cmp_eq_u32_e32 vcc, 3, v54
	v_cndmask_b32_e32 v59, v59, v63, vcc
	v_mul_f32_e32 v58, v59, v58
	v_pk_mul_f32 v[48:49], v[58:59], v[48:49] op_sel_hi:[0,1]
	v_pk_mul_f32 v[46:47], v[58:59], v[46:47] op_sel_hi:[0,1]
	v_bfe_u32 v59, v49, 16, 1
	v_bfe_u32 v60, v48, 16, 1
	v_add3_u32 v48, v48, v60, s10
	v_add3_u32 v49, v49, v59, s10
	v_perm_b32 v48, v49, v48, s11
	v_bfe_u32 v49, v47, 16, 1
	v_bfe_u32 v59, v46, 16, 1
	v_add3_u32 v46, v46, v59, s10
	v_add3_u32 v47, v47, v49, s10
	v_perm_b32 v49, v47, v46, s11
	v_lshlrev_b32_e32 v46, 3, v51
	v_lshlrev_b32_e32 v47, 11, v54
	v_pk_mul_f32 v[44:45], v[58:59], v[44:45] op_sel_hi:[0,1]
	v_or3_b32 v46, v47, v56, v46
	v_bfe_u32 v47, v45, 16, 1
	v_bfe_u32 v54, v44, 16, 1
	v_pk_mul_f32 v[42:43], v[58:59], v[42:43] op_sel_hi:[0,1]
	v_add3_u32 v44, v44, v54, s10
	v_add3_u32 v45, v45, v47, s10
	v_perm_b32 v44, v45, v44, s11
	v_bfe_u32 v45, v43, 16, 1
	v_bfe_u32 v47, v42, 16, 1
	v_add3_u32 v42, v42, v47, s10
	v_add3_u32 v43, v43, v45, s10
	v_pk_mul_f32 v[40:41], v[58:59], v[40:41] op_sel_hi:[0,1]
	v_perm_b32 v45, v43, v42, s11
	v_bfe_u32 v42, v41, 16, 1
	v_bfe_u32 v43, v40, 16, 1
	v_pk_mul_f32 v[38:39], v[58:59], v[38:39] op_sel_hi:[0,1]
	v_add3_u32 v40, v40, v43, s10
	v_add3_u32 v41, v41, v42, s10
	v_perm_b32 v40, v41, v40, s11
	v_bfe_u32 v41, v39, 16, 1
	v_bfe_u32 v42, v38, 16, 1
	v_add3_u32 v38, v38, v42, s10
	v_add3_u32 v39, v39, v41, s10
	v_pk_mul_f32 v[36:37], v[58:59], v[36:37] op_sel_hi:[0,1]
	v_perm_b32 v41, v39, v38, s11
	v_bfe_u32 v38, v37, 16, 1
	v_bfe_u32 v39, v36, 16, 1
	v_pk_mul_f32 v[34:35], v[58:59], v[34:35] op_sel_hi:[0,1]
	v_add3_u32 v36, v36, v39, s10
	v_add3_u32 v37, v37, v38, s10
	v_perm_b32 v36, v37, v36, s11
	v_bfe_u32 v37, v35, 16, 1
	v_bfe_u32 v38, v34, 16, 1
	v_add3_u32 v34, v34, v38, s10
	v_add3_u32 v35, v35, v37, s10
	v_perm_b32 v37, v35, v34, s11
	v_cmp_gt_u32_e32 vcc, 3, v0
	s_barrier
	ds_write2st64_b64 v46, v[48:49], v[44:45] offset1:1
	ds_write2st64_b64 v46, v[40:41], v[36:37] offset0:2 offset1:3
	s_and_saveexec_b64 s[2:3], vcc
	s_cbranch_execz .LBB218_17
; %bb.16:
	v_add_co_u32_e32 v36, vcc, s29, v53
	v_addc_co_u32_e64 v37, s[16:17], 0, 0, vcc
	v_mov_b32_e32 v34, s9
	v_mov_b32_e32 v35, 0
	v_mad_u64_u32 v[36:37], s[16:17], s6, v34, v[36:37]
	v_mov_b32_e32 v34, s28
	s_load_dwordx4 s[12:15], s[4:5], 0x58
	s_mul_i32 s7, s7, s9
	v_mad_u64_u32 v[34:35], s[16:17], v36, s8, v[34:35]
	v_add_u32_e32 v37, s7, v37
	v_mov_b32_e32 v36, v35
	v_mad_u64_u32 v[36:37], s[16:17], v37, s8, v[36:37]
	v_mov_b32_e32 v35, v36
	v_lshlrev_b64 v[34:35], 2, v[34:35]
	s_waitcnt lgkmcnt(0)
	v_mov_b32_e32 v37, s15
	v_add_co_u32_e32 v36, vcc, s14, v34
	v_addc_co_u32_e32 v37, vcc, v37, v35, vcc
	global_store_dword v[36:37], v55, off
	v_mov_b32_e32 v36, s13
	v_add_co_u32_e32 v34, vcc, s12, v34
	v_addc_co_u32_e32 v35, vcc, v36, v35, vcc
	global_store_dword v[34:35], v57, off
.LBB218_17:
	s_or_b64 exec, exec, s[2:3]
	v_lshl_or_b32 v47, v51, 9, v56
	s_waitcnt lgkmcnt(0)
	s_barrier
	ds_read_b128 v[34:37], v47
	ds_read_b128 v[38:41], v47 offset:16
	s_waitcnt vmcnt(7) lgkmcnt(1)
	v_mfma_f32_16x16x16bf16_1k v[42:45], v[14:15], v[34:35], 0
	v_cmp_gt_u32_e32 vcc, 64, v0
	v_cmp_ne_u32_e64 s[2:3], 3, v51
	s_and_b64 s[2:3], s[2:3], vcc
	s_mov_b32 s7, 0
	s_and_b64 s[0:1], s[2:3], s[0:1]
	v_mfma_f32_16x16x16bf16_1k v[14:17], v[16:17], v[36:37], v[42:45]
	s_waitcnt vmcnt(6) lgkmcnt(0)
	v_mfma_f32_16x16x16bf16_1k v[14:17], v[10:11], v[38:39], v[14:17]
	v_mfma_f32_16x16x16bf16_1k v[10:13], v[12:13], v[40:41], v[14:17]
	s_nop 7
	s_nop 1
	ds_read_b128 v[14:17], v47 offset:2048
	ds_read_b128 v[34:37], v47 offset:2064
	s_waitcnt vmcnt(5) lgkmcnt(1)
	v_mfma_f32_16x16x16bf16_1k v[10:13], v[6:7], v[14:15], v[10:13]
	v_mfma_f32_16x16x16bf16_1k v[6:9], v[8:9], v[16:17], v[10:13]
	s_waitcnt vmcnt(4) lgkmcnt(0)
	v_mfma_f32_16x16x16bf16_1k v[6:9], v[2:3], v[34:35], v[6:9]
	v_mfma_f32_16x16x16bf16_1k v[2:5], v[4:5], v[36:37], v[6:9]
	s_nop 7
	s_nop 1
	ds_read_b128 v[6:9], v47 offset:4096
	ds_read_b128 v[10:13], v47 offset:4112
	s_waitcnt vmcnt(3) lgkmcnt(1)
	v_mfma_f32_16x16x16bf16_1k v[2:5], v[30:31], v[6:7], v[2:5]
	v_mfma_f32_16x16x16bf16_1k v[2:5], v[32:33], v[8:9], v[2:5]
	s_waitcnt vmcnt(2) lgkmcnt(0)
	v_mfma_f32_16x16x16bf16_1k v[2:5], v[22:23], v[10:11], v[2:5]
	v_mfma_f32_16x16x16bf16_1k v[2:5], v[24:25], v[12:13], v[2:5]
	ds_read_b128 v[6:9], v47 offset:6144
	ds_read_b128 v[10:13], v47 offset:6160
	s_waitcnt lgkmcnt(0)
	s_barrier
	s_waitcnt vmcnt(1)
	v_mfma_f32_16x16x16bf16_1k v[2:5], v[26:27], v[6:7], v[2:5]
	v_mfma_f32_16x16x16bf16_1k v[2:5], v[28:29], v[8:9], v[2:5]
	s_waitcnt vmcnt(0)
	v_mfma_f32_16x16x16bf16_1k v[2:5], v[18:19], v[10:11], v[2:5]
	v_mfma_f32_16x16x16bf16_1k v[2:5], v[20:21], v[12:13], v[2:5]
	s_nop 7
	s_nop 2
	v_bfe_u32 v6, v3, 16, 1
	v_bfe_u32 v7, v2, 16, 1
	;; [unrolled: 1-line block ×4, first 2 shown]
	v_add3_u32 v2, v2, v7, s10
	v_add3_u32 v3, v3, v6, s10
	;; [unrolled: 1-line block ×4, first 2 shown]
	v_perm_b32 v2, v3, v2, s11
	v_perm_b32 v3, v5, v4, s11
	ds_write_b64 v46, v[2:3]
	s_waitcnt lgkmcnt(0)
	s_barrier
	s_and_saveexec_b64 s[2:3], s[0:1]
	s_cbranch_execz .LBB218_19
; %bb.18:
	s_load_dwordx2 s[0:1], s[4:5], 0x68
	s_mul_i32 s2, s9, s6
	s_lshl_b32 s4, s8, 6
	s_mul_hi_u32 s3, s2, s4
	s_mul_i32 s2, s2, s4
	s_lshl_b64 s[2:3], s[2:3], 1
	s_waitcnt lgkmcnt(0)
	s_add_u32 s2, s0, s2
	v_lshlrev_b32_e32 v0, 10, v0
	s_addc_u32 s3, s1, s3
	s_lshl_b32 s6, s28, 6
	v_and_b32_e32 v0, 0x1800, v0
	v_lshlrev_b32_e32 v2, 5, v51
	v_and_b32_e32 v3, 16, v52
	s_lshl_b64 s[0:1], s[6:7], 1
	v_or3_b32 v0, v0, v2, v3
	s_add_u32 s2, s2, s0
	ds_read_b128 v[2:5], v0
	s_addc_u32 s3, s3, s1
	v_mad_u64_u32 v[0:1], s[0:1], s4, v1, 0
	v_lshlrev_b64 v[0:1], 1, v[0:1]
	v_mov_b32_e32 v6, s3
	v_add_co_u32_e32 v0, vcc, s2, v0
	v_addc_co_u32_e32 v1, vcc, v6, v1, vcc
	v_add_co_u32_e32 v0, vcc, v0, v50
	v_addc_co_u32_e32 v1, vcc, 0, v1, vcc
	s_waitcnt lgkmcnt(0)
	global_store_dwordx4 v[0:1], v[2:5], off
.LBB218_19:
	s_endpgm
	.section	.rodata,"a",@progbits
	.p2align	6, 0x0
	.amdhsa_kernel _Z39paged_attention_ll4mi_QKV_mfma16_kernelI14__hip_bfloat16S0_LN4vllm18Fp8KVCacheDataTypeE0ES0_Li16ELi64ELi256ELb1ELi3EL8MFMAType0EEvPKT_PKT0_S9_ifPKiSB_SB_iPKfiiiPfSE_PS4_PT2_iSD_SD_
		.amdhsa_group_segment_fixed_size 8192
		.amdhsa_private_segment_fixed_size 0
		.amdhsa_kernarg_size 400
		.amdhsa_user_sgpr_count 6
		.amdhsa_user_sgpr_private_segment_buffer 1
		.amdhsa_user_sgpr_dispatch_ptr 0
		.amdhsa_user_sgpr_queue_ptr 0
		.amdhsa_user_sgpr_kernarg_segment_ptr 1
		.amdhsa_user_sgpr_dispatch_id 0
		.amdhsa_user_sgpr_flat_scratch_init 0
		.amdhsa_user_sgpr_kernarg_preload_length 0
		.amdhsa_user_sgpr_kernarg_preload_offset 0
		.amdhsa_user_sgpr_private_segment_size 0
		.amdhsa_uses_dynamic_stack 0
		.amdhsa_system_sgpr_private_segment_wavefront_offset 0
		.amdhsa_system_sgpr_workgroup_id_x 1
		.amdhsa_system_sgpr_workgroup_id_y 1
		.amdhsa_system_sgpr_workgroup_id_z 1
		.amdhsa_system_sgpr_workgroup_info 0
		.amdhsa_system_vgpr_workitem_id 0
		.amdhsa_next_free_vgpr 68
		.amdhsa_next_free_sgpr 48
		.amdhsa_accum_offset 68
		.amdhsa_reserve_vcc 1
		.amdhsa_reserve_flat_scratch 0
		.amdhsa_float_round_mode_32 0
		.amdhsa_float_round_mode_16_64 0
		.amdhsa_float_denorm_mode_32 3
		.amdhsa_float_denorm_mode_16_64 3
		.amdhsa_dx10_clamp 1
		.amdhsa_ieee_mode 1
		.amdhsa_fp16_overflow 0
		.amdhsa_tg_split 0
		.amdhsa_exception_fp_ieee_invalid_op 0
		.amdhsa_exception_fp_denorm_src 0
		.amdhsa_exception_fp_ieee_div_zero 0
		.amdhsa_exception_fp_ieee_overflow 0
		.amdhsa_exception_fp_ieee_underflow 0
		.amdhsa_exception_fp_ieee_inexact 0
		.amdhsa_exception_int_div_zero 0
	.end_amdhsa_kernel
	.section	.text._Z39paged_attention_ll4mi_QKV_mfma16_kernelI14__hip_bfloat16S0_LN4vllm18Fp8KVCacheDataTypeE0ES0_Li16ELi64ELi256ELb1ELi3EL8MFMAType0EEvPKT_PKT0_S9_ifPKiSB_SB_iPKfiiiPfSE_PS4_PT2_iSD_SD_,"axG",@progbits,_Z39paged_attention_ll4mi_QKV_mfma16_kernelI14__hip_bfloat16S0_LN4vllm18Fp8KVCacheDataTypeE0ES0_Li16ELi64ELi256ELb1ELi3EL8MFMAType0EEvPKT_PKT0_S9_ifPKiSB_SB_iPKfiiiPfSE_PS4_PT2_iSD_SD_,comdat
.Lfunc_end218:
	.size	_Z39paged_attention_ll4mi_QKV_mfma16_kernelI14__hip_bfloat16S0_LN4vllm18Fp8KVCacheDataTypeE0ES0_Li16ELi64ELi256ELb1ELi3EL8MFMAType0EEvPKT_PKT0_S9_ifPKiSB_SB_iPKfiiiPfSE_PS4_PT2_iSD_SD_, .Lfunc_end218-_Z39paged_attention_ll4mi_QKV_mfma16_kernelI14__hip_bfloat16S0_LN4vllm18Fp8KVCacheDataTypeE0ES0_Li16ELi64ELi256ELb1ELi3EL8MFMAType0EEvPKT_PKT0_S9_ifPKiSB_SB_iPKfiiiPfSE_PS4_PT2_iSD_SD_
                                        ; -- End function
	.section	.AMDGPU.csdata,"",@progbits
; Kernel info:
; codeLenInByte = 4488
; NumSgprs: 52
; NumVgprs: 68
; NumAgprs: 0
; TotalNumVgprs: 68
; ScratchSize: 0
; MemoryBound: 0
; FloatMode: 240
; IeeeMode: 1
; LDSByteSize: 8192 bytes/workgroup (compile time only)
; SGPRBlocks: 6
; VGPRBlocks: 8
; NumSGPRsForWavesPerEU: 52
; NumVGPRsForWavesPerEU: 68
; AccumOffset: 68
; Occupancy: 7
; WaveLimiterHint : 1
; COMPUTE_PGM_RSRC2:SCRATCH_EN: 0
; COMPUTE_PGM_RSRC2:USER_SGPR: 6
; COMPUTE_PGM_RSRC2:TRAP_HANDLER: 0
; COMPUTE_PGM_RSRC2:TGID_X_EN: 1
; COMPUTE_PGM_RSRC2:TGID_Y_EN: 1
; COMPUTE_PGM_RSRC2:TGID_Z_EN: 1
; COMPUTE_PGM_RSRC2:TIDIG_COMP_CNT: 0
; COMPUTE_PGM_RSRC3_GFX90A:ACCUM_OFFSET: 16
; COMPUTE_PGM_RSRC3_GFX90A:TG_SPLIT: 0
	.section	.text._Z39paged_attention_ll4mi_QKV_mfma16_kernelI14__hip_bfloat16S0_LN4vllm18Fp8KVCacheDataTypeE0ES0_Li16ELi64ELi256ELb1ELi4EL8MFMAType0EEvPKT_PKT0_S9_ifPKiSB_SB_iPKfiiiPfSE_PS4_PT2_iSD_SD_,"axG",@progbits,_Z39paged_attention_ll4mi_QKV_mfma16_kernelI14__hip_bfloat16S0_LN4vllm18Fp8KVCacheDataTypeE0ES0_Li16ELi64ELi256ELb1ELi4EL8MFMAType0EEvPKT_PKT0_S9_ifPKiSB_SB_iPKfiiiPfSE_PS4_PT2_iSD_SD_,comdat
	.protected	_Z39paged_attention_ll4mi_QKV_mfma16_kernelI14__hip_bfloat16S0_LN4vllm18Fp8KVCacheDataTypeE0ES0_Li16ELi64ELi256ELb1ELi4EL8MFMAType0EEvPKT_PKT0_S9_ifPKiSB_SB_iPKfiiiPfSE_PS4_PT2_iSD_SD_ ; -- Begin function _Z39paged_attention_ll4mi_QKV_mfma16_kernelI14__hip_bfloat16S0_LN4vllm18Fp8KVCacheDataTypeE0ES0_Li16ELi64ELi256ELb1ELi4EL8MFMAType0EEvPKT_PKT0_S9_ifPKiSB_SB_iPKfiiiPfSE_PS4_PT2_iSD_SD_
	.globl	_Z39paged_attention_ll4mi_QKV_mfma16_kernelI14__hip_bfloat16S0_LN4vllm18Fp8KVCacheDataTypeE0ES0_Li16ELi64ELi256ELb1ELi4EL8MFMAType0EEvPKT_PKT0_S9_ifPKiSB_SB_iPKfiiiPfSE_PS4_PT2_iSD_SD_
	.p2align	8
	.type	_Z39paged_attention_ll4mi_QKV_mfma16_kernelI14__hip_bfloat16S0_LN4vllm18Fp8KVCacheDataTypeE0ES0_Li16ELi64ELi256ELb1ELi4EL8MFMAType0EEvPKT_PKT0_S9_ifPKiSB_SB_iPKfiiiPfSE_PS4_PT2_iSD_SD_,@function
_Z39paged_attention_ll4mi_QKV_mfma16_kernelI14__hip_bfloat16S0_LN4vllm18Fp8KVCacheDataTypeE0ES0_Li16ELi64ELi256ELb1ELi4EL8MFMAType0EEvPKT_PKT0_S9_ifPKiSB_SB_iPKfiiiPfSE_PS4_PT2_iSD_SD_: ; @_Z39paged_attention_ll4mi_QKV_mfma16_kernelI14__hip_bfloat16S0_LN4vllm18Fp8KVCacheDataTypeE0ES0_Li16ELi64ELi256ELb1ELi4EL8MFMAType0EEvPKT_PKT0_S9_ifPKiSB_SB_iPKfiiiPfSE_PS4_PT2_iSD_SD_
; %bb.0:
	s_load_dwordx2 s[0:1], s[4:5], 0x30
	s_mov_b32 s26, s7
	s_mov_b64 s[10:11], 0
	s_waitcnt lgkmcnt(0)
	s_cmp_lg_u64 s[0:1], 0
	s_cselect_b64 s[2:3], -1, 0
	s_and_b64 vcc, exec, s[2:3]
	s_cbranch_vccz .LBB219_7
; %bb.1:
	s_add_i32 s12, s6, 1
	s_mov_b32 s13, 0
	s_lshl_b64 s[14:15], s[12:13], 2
	s_add_u32 s14, s0, s14
	s_mov_b32 s7, s13
	s_addc_u32 s15, s1, s15
	s_lshl_b64 s[12:13], s[6:7], 2
	s_add_u32 s12, s0, s12
	s_addc_u32 s13, s1, s13
	s_load_dword s9, s[14:15], 0x0
	s_load_dword s16, s[12:13], 0x0
	s_waitcnt lgkmcnt(0)
	s_sub_i32 s9, s9, s16
	s_cmp_eq_u32 s9, 1
	s_cselect_b64 s[12:13], -1, 0
	s_andn2_b64 vcc, exec, s[10:11]
	s_cbranch_vccnz .LBB219_3
.LBB219_2:
	s_mov_b32 s7, 0
	s_mov_b64 s[12:13], -1
.LBB219_3:
	s_andn2_b64 vcc, exec, s[12:13]
	s_cbranch_vccnz .LBB219_19
; %bb.4:
	s_load_dwordx2 s[12:13], s[4:5], 0x28
	s_lshl_b64 s[10:11], s[6:7], 2
	s_waitcnt lgkmcnt(0)
	s_add_u32 s12, s12, s10
	s_addc_u32 s13, s13, s11
	s_load_dword s33, s[12:13], 0x0
	s_lshl_b32 s14, s26, 8
	s_waitcnt lgkmcnt(0)
	s_cmp_ge_i32 s14, s33
	s_cbranch_scc1 .LBB219_19
; %bb.5:
	s_add_i32 s15, s33, 15
	s_load_dwordx2 s[12:13], s[4:5], 0x20
	s_load_dword s9, s[4:5], 0x38
	s_ashr_i32 s16, s15, 31
	v_and_b32_e32 v1, 0xcf, v0
	s_lshr_b32 s16, s16, 28
	v_add_u32_e32 v1, s14, v1
	s_add_i32 s15, s15, s16
	v_ashrrev_i32_e32 v2, 31, v1
	s_ashr_i32 s17, s15, 4
	v_lshrrev_b32_e32 v4, 28, v2
	s_add_i32 s17, s17, -1
	v_add_u32_e32 v2, v1, v4
	s_waitcnt lgkmcnt(0)
	s_mul_i32 s18, s6, s9
	s_mov_b32 s19, 0
	v_ashrrev_i32_e32 v2, 4, v2
	v_mov_b32_e32 v5, s17
	v_cmp_gt_i32_e32 vcc, s33, v1
	s_lshl_b64 s[18:19], s[18:19], 2
	v_cndmask_b32_e32 v2, v5, v2, vcc
	s_add_u32 s15, s12, s18
	v_ashrrev_i32_e32 v3, 31, v2
	s_addc_u32 s16, s13, s19
	v_lshlrev_b64 v[2:3], 2, v[2:3]
	v_mov_b32_e32 v7, s16
	v_add_co_u32_e32 v6, vcc, s15, v2
	v_or_b32_e32 v2, 16, v1
	v_addc_co_u32_e32 v7, vcc, v7, v3, vcc
	v_add_u32_e32 v3, v2, v4
	v_ashrrev_i32_e32 v3, 4, v3
	v_cmp_gt_i32_e32 vcc, s33, v2
	v_cndmask_b32_e32 v2, v5, v3, vcc
	v_ashrrev_i32_e32 v3, 31, v2
	v_lshlrev_b64 v[2:3], 2, v[2:3]
	v_mov_b32_e32 v9, s16
	v_add_co_u32_e32 v8, vcc, s15, v2
	v_or_b32_e32 v2, 32, v1
	v_addc_co_u32_e32 v9, vcc, v9, v3, vcc
	v_add_u32_e32 v3, v2, v4
	v_ashrrev_i32_e32 v3, 4, v3
	v_cmp_gt_i32_e32 vcc, s33, v2
	v_cndmask_b32_e32 v2, v5, v3, vcc
	v_ashrrev_i32_e32 v3, 31, v2
	;; [unrolled: 10-line block ×3, first 2 shown]
	v_lshlrev_b64 v[2:3], 2, v[2:3]
	v_mov_b32_e32 v1, s16
	v_add_co_u32_e32 v12, vcc, s15, v2
	v_addc_co_u32_e32 v13, vcc, v1, v3, vcc
	global_load_dword v5, v[6:7], off
	global_load_dword v4, v[8:9], off
	;; [unrolled: 1-line block ×4, first 2 shown]
	s_load_dwordx2 s[12:13], s[4:5], 0x8
	s_andn2_b64 vcc, exec, s[2:3]
	s_cbranch_vccnz .LBB219_8
; %bb.6:
	s_add_u32 s0, s0, s10
	s_addc_u32 s1, s1, s11
	s_load_dword s9, s[0:1], 0x0
	s_branch .LBB219_9
.LBB219_7:
	s_mov_b64 s[12:13], 0
	s_branch .LBB219_2
.LBB219_8:
	s_mov_b32 s9, s6
.LBB219_9:
	s_load_dwordx2 s[2:3], s[4:5], 0x10
	s_load_dwordx4 s[40:43], s[4:5], 0x48
	v_and_b32_e32 v55, 15, v0
	v_bfe_u32 v53, v0, 4, 2
	s_lshl_b32 s27, s8, 2
	v_lshlrev_b32_e32 v7, 3, v55
	v_cmp_gt_u32_e32 vcc, 64, v0
	v_cmp_gt_u32_e64 s[0:1], 8, v55
	v_lshrrev_b32_e32 v54, 6, v0
	v_or_b32_e32 v1, s27, v53
	v_and_b32_e32 v6, 3, v0
	s_and_b64 s[44:45], vcc, s[0:1]
	v_lshlrev_b32_e32 v50, 1, v7
	v_lshlrev_b32_e32 v51, 5, v53
	s_and_saveexec_b64 s[0:1], s[44:45]
	s_cbranch_execz .LBB219_11
; %bb.10:
	s_load_dwordx2 s[10:11], s[4:5], 0x0
	s_waitcnt lgkmcnt(0)
	s_ashr_i32 s18, s40, 31
	s_mul_hi_u32 s19, s9, s40
	s_mul_i32 s18, s9, s18
	s_add_i32 s19, s19, s18
	s_mul_i32 s18, s9, s40
	s_lshl_b64 s[18:19], s[18:19], 1
	v_lshlrev_b32_e32 v8, 6, v1
	s_add_u32 s9, s10, s18
	v_ashrrev_i32_e32 v9, 31, v8
	s_addc_u32 s10, s11, s19
	v_lshlrev_b64 v[8:9], 1, v[8:9]
	v_mov_b32_e32 v7, s10
	v_add_co_u32_e32 v8, vcc, s9, v8
	v_addc_co_u32_e32 v7, vcc, v7, v9, vcc
	v_add_co_u32_e32 v8, vcc, v8, v50
	v_addc_co_u32_e32 v9, vcc, 0, v7, vcc
	global_load_dwordx4 v[8:11], v[8:9], off
	v_lshlrev_b32_e32 v13, 9, v55
	v_lshl_or_b32 v7, v54, 7, v51
	v_lshlrev_b32_e32 v12, 9, v6
	v_and_b32_e32 v13, 0x1800, v13
	v_or3_b32 v7, v13, v12, v7
	s_waitcnt vmcnt(0)
	ds_write_b128 v7, v[8:11]
.LBB219_11:
	s_or_b64 exec, exec, s[0:1]
	s_waitcnt lgkmcnt(0)
	s_mul_i32 s0, s8, s42
	s_mov_b32 s1, 0
	s_lshl_b64 s[0:1], s[0:1], 1
	s_add_u32 s8, s12, s0
	v_lshlrev_b32_e32 v52, 4, v0
	s_addc_u32 s9, s13, s1
	v_and_b32_e32 v7, 0xf0, v52
	v_mov_b32_e32 v8, s9
	v_add_co_u32_e32 v7, vcc, s8, v7
	v_addc_co_u32_e32 v18, vcc, 0, v8, vcc
	s_waitcnt vmcnt(3)
	v_mad_i64_i32 v[8:9], s[8:9], v5, s41, 0
	v_lshlrev_b64 v[8:9], 1, v[8:9]
	v_add_co_u32_e32 v5, vcc, v7, v8
	v_addc_co_u32_e32 v9, vcc, v18, v9, vcc
	v_and_b32_e32 v19, 0x300, v52
	v_add_co_u32_e32 v8, vcc, v5, v19
	s_waitcnt vmcnt(2)
	v_mad_i64_i32 v[4:5], s[8:9], v4, s41, 0
	v_addc_co_u32_e32 v9, vcc, 0, v9, vcc
	v_lshlrev_b64 v[4:5], 1, v[4:5]
	v_add_co_u32_e32 v4, vcc, v7, v4
	v_addc_co_u32_e32 v5, vcc, v18, v5, vcc
	v_add_co_u32_e32 v4, vcc, v4, v19
	v_addc_co_u32_e32 v5, vcc, 0, v5, vcc
	s_barrier
	global_load_dwordx4 v[38:41], v[8:9], off
	global_load_dwordx4 v[34:37], v[8:9], off offset:1024
	global_load_dwordx4 v[30:33], v[4:5], off
	global_load_dwordx4 v[26:29], v[4:5], off offset:1024
	s_waitcnt vmcnt(5)
	v_mad_i64_i32 v[4:5], s[8:9], v3, s41, 0
	v_lshlrev_b64 v[4:5], 1, v[4:5]
	v_add_co_u32_e32 v3, vcc, v7, v4
	v_addc_co_u32_e32 v5, vcc, v18, v5, vcc
	v_add_co_u32_e32 v4, vcc, v3, v19
	s_waitcnt vmcnt(4)
	v_mad_i64_i32 v[2:3], s[8:9], v2, s41, 0
	v_addc_co_u32_e32 v5, vcc, 0, v5, vcc
	v_lshlrev_b64 v[2:3], 1, v[2:3]
	v_add_co_u32_e32 v2, vcc, v7, v2
	v_addc_co_u32_e32 v3, vcc, v18, v3, vcc
	v_add_co_u32_e32 v8, vcc, v2, v19
	v_addc_co_u32_e32 v9, vcc, 0, v3, vcc
	global_load_dwordx4 v[14:17], v[4:5], off
	global_load_dwordx4 v[10:13], v[4:5], off offset:1024
	s_nop 0
	global_load_dwordx4 v[2:5], v[8:9], off
	global_load_dwordx4 v[18:21], v[8:9], off offset:1024
	v_lshlrev_b32_e32 v6, 5, v6
	v_lshl_or_b32 v22, v53, 9, v6
	ds_read_b128 v[6:9], v22
	ds_read_b128 v[22:25], v22 offset:2048
	v_and_b32_e32 v56, 63, v0
	v_cmp_gt_u32_e32 vcc, 4, v55
	v_mov_b32_e32 v48, 0
	s_and_saveexec_b64 s[8:9], vcc
	s_cbranch_execz .LBB219_13
; %bb.12:
	s_load_dwordx2 s[10:11], s[4:5], 0x40
	v_or_b32_e32 v42, s27, v55
	v_ashrrev_i32_e32 v43, 31, v42
	v_lshlrev_b64 v[42:43], 2, v[42:43]
	s_waitcnt lgkmcnt(0)
	v_mov_b32_e32 v44, s11
	v_add_co_u32_e32 v42, vcc, s10, v42
	v_addc_co_u32_e32 v43, vcc, v44, v43, vcc
	global_load_dword v48, v[42:43], off
.LBB219_13:
	s_or_b64 exec, exec, s[8:9]
	s_waitcnt vmcnt(7) lgkmcnt(1)
	v_mfma_f32_16x16x16bf16_1k v[42:45], v[38:39], v[6:7], 0
	s_load_dword s8, s[4:5], 0x1c
	s_add_u32 s0, s2, s0
	v_lshlrev_b32_e32 v57, 5, v55
	s_addc_u32 s1, s3, s1
	s_mov_b32 s40, 0xff7fffff
	v_mfma_f32_16x16x16bf16_1k v[38:41], v[40:41], v[8:9], v[42:45]
	s_waitcnt vmcnt(6) lgkmcnt(0)
	v_mfma_f32_16x16x16bf16_1k v[38:41], v[34:35], v[22:23], v[38:41]
	s_nop 4
	v_and_or_b32 v44, v0, 48, s14
	v_mov_b32_e32 v45, s17
	v_cmp_gt_i32_e32 vcc, s33, v44
	v_mfma_f32_16x16x16bf16_1k v[34:37], v[36:37], v[24:25], v[38:41]
	s_nop 6
	v_ashrrev_i32_e32 v38, 4, v44
	v_cndmask_b32_e32 v42, v45, v38, vcc
	s_waitcnt vmcnt(5)
	v_mfma_f32_16x16x16bf16_1k v[38:41], v[30:31], v[6:7], 0
	v_ashrrev_i32_e32 v43, 31, v42
	v_lshlrev_b64 v[30:31], 2, v[42:43]
	v_mov_b32_e32 v42, s16
	v_add_co_u32_e32 v30, vcc, s15, v30
	v_addc_co_u32_e32 v31, vcc, v42, v31, vcc
	global_load_dword v42, v[30:31], off
	v_mfma_f32_16x16x16bf16_1k v[30:33], v[32:33], v[8:9], v[38:41]
	s_nop 6
	v_or_b32_e32 v38, 64, v44
	v_ashrrev_i32_e32 v39, 4, v38
	v_cmp_gt_i32_e32 vcc, s33, v38
	v_cndmask_b32_e32 v38, v45, v39, vcc
	v_ashrrev_i32_e32 v39, 31, v38
	s_waitcnt vmcnt(5)
	v_mfma_f32_16x16x16bf16_1k v[30:33], v[26:27], v[22:23], v[30:33]
	v_lshlrev_b64 v[38:39], 2, v[38:39]
	v_mov_b32_e32 v40, s16
	v_add_co_u32_e32 v26, vcc, s15, v38
	v_addc_co_u32_e32 v27, vcc, v40, v39, vcc
	global_load_dword v43, v[26:27], off
	v_or_b32_e32 v26, 0x80, v44
	v_ashrrev_i32_e32 v27, 4, v26
	v_cmp_gt_i32_e32 vcc, s33, v26
	v_cndmask_b32_e32 v38, v45, v27, vcc
	v_ashrrev_i32_e32 v39, 31, v38
	v_mfma_f32_16x16x16bf16_1k v[26:29], v[28:29], v[24:25], v[30:33]
	s_nop 6
	v_lshlrev_b64 v[30:31], 2, v[38:39]
	v_mov_b32_e32 v32, s16
	v_add_co_u32_e32 v38, vcc, s15, v30
	v_addc_co_u32_e32 v39, vcc, v32, v31, vcc
	global_load_dword v46, v[38:39], off
	s_waitcnt vmcnt(6)
	v_mfma_f32_16x16x16bf16_1k v[30:33], v[14:15], v[6:7], 0
	v_mfma_f32_16x16x16bf16_1k v[14:17], v[16:17], v[8:9], v[30:33]
	s_nop 7
	s_nop 1
	v_or_b32_e32 v30, 0xc0, v44
	v_ashrrev_i32_e32 v31, 4, v30
	v_cmp_gt_i32_e32 vcc, s33, v30
	v_cndmask_b32_e32 v30, v45, v31, vcc
	v_ashrrev_i32_e32 v31, 31, v30
	v_lshlrev_b64 v[30:31], 2, v[30:31]
	v_mov_b32_e32 v32, s16
	s_waitcnt vmcnt(5)
	v_mfma_f32_16x16x16bf16_1k v[14:17], v[10:11], v[22:23], v[14:17]
	v_add_co_u32_e32 v10, vcc, s15, v30
	v_addc_co_u32_e32 v11, vcc, v32, v31, vcc
	global_load_dword v49, v[10:11], off
	v_pk_mul_f32 v[44:45], s[8:9], v[26:27] op_sel_hi:[0,1]
	v_lshl_or_b32 v10, v54, 9, v57
	s_waitcnt vmcnt(5)
	v_mfma_f32_16x16x16bf16_1k v[38:41], v[2:3], v[6:7], 0
	v_mov_b32_e32 v11, s1
	v_add_co_u32_e32 v62, vcc, s0, v10
	v_addc_co_u32_e32 v63, vcc, 0, v11, vcc
	s_waitcnt vmcnt(3)
	v_mad_i64_i32 v[10:11], s[0:1], v42, s41, 0
	v_mfma_f32_16x16x16bf16_1k v[38:41], v[4:5], v[8:9], v[38:41]
	v_lshlrev_b64 v[10:11], 1, v[10:11]
	v_add_co_u32_e32 v2, vcc, v62, v10
	v_addc_co_u32_e32 v3, vcc, v63, v11, vcc
	v_mfma_f32_16x16x16bf16_1k v[58:61], v[18:19], v[22:23], v[38:41]
	v_pk_mul_f32 v[18:19], s[8:9], v[34:35] op_sel_hi:[0,1]
	v_mfma_f32_16x16x16bf16_1k v[30:33], v[12:13], v[24:25], v[14:17]
	s_nop 6
	global_load_dwordx4 v[14:17], v[2:3], off
	global_load_dwordx4 v[10:13], v[2:3], off offset:16
	s_waitcnt vmcnt(4)
	v_mad_i64_i32 v[2:3], s[0:1], v43, s41, 0
	v_lshlrev_b64 v[2:3], 1, v[2:3]
	v_add_co_u32_e32 v2, vcc, v62, v2
	v_mfma_f32_16x16x16bf16_1k v[24:27], v[20:21], v[24:25], v[58:61]
	v_and_b32_e32 v20, 0xc0, v0
	v_add_u32_e32 v20, s14, v20
	v_lshl_or_b32 v20, v53, 2, v20
	v_or_b32_e32 v21, 1, v20
	v_addc_co_u32_e32 v3, vcc, v63, v3, vcc
	v_pk_mul_f32 v[38:39], s[8:9], v[32:33] op_sel_hi:[0,1]
	s_nop 4
	v_pk_mul_f32 v[34:35], s[8:9], v[26:27] op_sel_hi:[0,1]
	v_pk_mul_f32 v[40:41], s[8:9], v[30:31] op_sel_hi:[0,1]
	v_cmp_gt_i32_e64 s[28:29], s33, v20
	v_cmp_gt_i32_e64 s[30:31], s33, v21
	global_load_dwordx4 v[6:9], v[2:3], off
	s_nop 0
	global_load_dwordx4 v[2:5], v[2:3], off offset:16
	s_waitcnt vmcnt(5)
	v_mad_i64_i32 v[42:43], s[0:1], v46, s41, 0
	v_pk_mul_f32 v[46:47], s[8:9], v[36:37] op_sel_hi:[0,1]
	v_pk_mul_f32 v[36:37], s[8:9], v[24:25] op_sel_hi:[0,1]
	v_subrev_u32_e32 v24, s33, v21
	v_add_u32_e32 v26, 1, v24
	v_add_u32_e32 v27, 2, v24
	v_cvt_f32_i32_e32 v25, v24
	v_cvt_f32_i32_e32 v26, v26
	v_cvt_f32_i32_e32 v27, v27
	v_lshlrev_b64 v[42:43], 1, v[42:43]
	v_add_co_u32_e32 v22, vcc, v62, v42
	v_addc_co_u32_e32 v23, vcc, v63, v43, vcc
	v_pk_mul_f32 v[42:43], s[8:9], v[28:29] op_sel_hi:[0,1]
	v_add_u32_e32 v28, 3, v24
	v_fma_f32 v18, v48, v25, v18
	v_fmac_f32_e32 v19, v48, v26
	v_fma_f32 v46, v48, v27, v46
	v_add_u32_e32 v25, 16, v24
	v_add_u32_e32 v26, 17, v24
	;; [unrolled: 1-line block ×3, first 2 shown]
	v_cvt_f32_i32_e32 v28, v28
	v_cvt_f32_i32_e32 v25, v25
	;; [unrolled: 1-line block ×4, first 2 shown]
	v_fmac_f32_e32 v47, v48, v28
	v_add_u32_e32 v28, 19, v24
	v_fma_f32 v44, v48, v25, v44
	v_fmac_f32_e32 v45, v48, v26
	v_fma_f32 v42, v48, v27, v42
	v_add_u32_e32 v25, 32, v24
	v_add_u32_e32 v26, 33, v24
	;; [unrolled: 1-line block ×3, first 2 shown]
	v_cvt_f32_i32_e32 v28, v28
	v_cvt_f32_i32_e32 v25, v25
	;; [unrolled: 1-line block ×4, first 2 shown]
	v_fmac_f32_e32 v43, v48, v28
	v_add_u32_e32 v28, 35, v24
	v_fma_f32 v40, v48, v25, v40
	v_fmac_f32_e32 v41, v48, v26
	v_fma_f32 v38, v48, v27, v38
	v_add_u32_e32 v25, 48, v24
	v_add_u32_e32 v26, 49, v24
	;; [unrolled: 1-line block ×4, first 2 shown]
	v_cvt_f32_i32_e32 v24, v24
	v_cvt_f32_i32_e32 v25, v25
	;; [unrolled: 1-line block ×4, first 2 shown]
	v_fmac_f32_e32 v35, v48, v24
	v_mov_b32_e32 v24, 0xff7fffff
	v_fma_f32 v36, v48, v25, v36
	v_cndmask_b32_e64 v25, v24, v18, s[28:29]
	v_cndmask_b32_e64 v21, v24, v19, s[30:31]
	v_fmac_f32_e32 v37, v48, v26
	v_max3_f32 v21, v25, s40, v21
	v_or_b32_e32 v25, 2, v20
	v_or_b32_e32 v26, 3, v20
	v_cmp_gt_i32_e64 s[34:35], s33, v25
	v_cmp_gt_i32_e64 s[36:37], s33, v26
	v_cndmask_b32_e64 v25, v24, v46, s[34:35]
	v_cndmask_b32_e64 v26, v24, v47, s[36:37]
	v_max3_f32 v21, v21, v25, v26
	v_or_b32_e32 v25, 16, v20
	v_or_b32_e32 v26, 17, v20
	v_cmp_gt_i32_e64 s[22:23], s33, v25
	v_cmp_gt_i32_e64 s[24:25], s33, v26
	v_cndmask_b32_e64 v25, v24, v44, s[22:23]
	v_cndmask_b32_e64 v26, v24, v45, s[24:25]
	;; [unrolled: 7-line block ×4, first 2 shown]
	v_max3_f32 v21, v21, v25, v26
	v_or_b32_e32 v25, 34, v20
	v_or_b32_e32 v26, 35, v20
	v_fmac_f32_e32 v39, v48, v28
	v_cmp_gt_i32_e64 s[10:11], s33, v25
	v_cmp_gt_i32_e64 s[12:13], s33, v26
	v_cndmask_b32_e64 v25, v24, v38, s[10:11]
	v_cndmask_b32_e64 v26, v24, v39, s[12:13]
	v_cvt_f32_i32_e32 v27, v27
	v_max3_f32 v21, v21, v25, v26
	v_or_b32_e32 v25, 48, v20
	v_or_b32_e32 v26, 49, v20
	v_cmp_gt_i32_e64 s[2:3], s33, v25
	v_cmp_gt_i32_e64 s[8:9], s33, v26
	v_cndmask_b32_e64 v25, v24, v36, s[2:3]
	v_cndmask_b32_e64 v26, v24, v37, s[8:9]
	v_max3_f32 v21, v21, v25, v26
	v_or_b32_e32 v25, 50, v20
	v_or_b32_e32 v20, 51, v20
	v_fma_f32 v34, v48, v27, v34
	v_cmp_gt_i32_e32 vcc, s33, v25
	v_cmp_gt_i32_e64 s[0:1], s33, v20
	v_cndmask_b32_e32 v25, v24, v34, vcc
	v_cndmask_b32_e64 v20, v24, v35, s[0:1]
	v_max3_f32 v26, v21, v25, v20
	v_mbcnt_lo_u32_b32 v20, -1, 0
	v_mbcnt_hi_u32_b32 v27, -1, v20
	v_and_b32_e32 v20, 64, v27
	v_add_u32_e32 v28, 64, v20
	v_xor_b32_e32 v20, 32, v27
	v_cmp_lt_i32_e64 s[38:39], v20, v28
	v_cndmask_b32_e64 v20, v27, v20, s[38:39]
	v_lshlrev_b32_e32 v59, 2, v20
	ds_bpermute_b32 v29, v59, v26
	s_waitcnt vmcnt(4)
	v_mad_i64_i32 v[20:21], s[38:39], v49, s41, 0
	v_lshlrev_b64 v[20:21], 1, v[20:21]
	global_load_dwordx4 v[30:33], v[22:23], off
	s_nop 0
	global_load_dwordx4 v[22:25], v[22:23], off offset:16
	s_waitcnt lgkmcnt(0)
	v_max_f32_e32 v29, v29, v29
	v_max_f32_e32 v26, v26, v29
	v_xor_b32_e32 v29, 16, v27
	v_cmp_lt_i32_e64 s[38:39], v29, v28
	v_cndmask_b32_e64 v27, v27, v29, s[38:39]
	v_lshlrev_b32_e32 v60, 2, v27
	ds_bpermute_b32 v27, v60, v26
	v_add_co_u32_e64 v20, s[38:39], v62, v20
	v_addc_co_u32_e64 v21, s[38:39], v63, v21, s[38:39]
	s_waitcnt lgkmcnt(0)
	v_max_f32_e32 v27, v27, v27
	v_max_f32_e32 v58, v26, v27
	v_sub_f32_e32 v18, v18, v58
	v_mul_f32_e32 v18, 0x3fb8aa3b, v18
	v_exp_f32_e32 v48, v18
	v_sub_f32_e32 v18, v19, v58
	v_mul_f32_e32 v18, 0x3fb8aa3b, v18
	v_exp_f32_e32 v49, v18
	global_load_dwordx4 v[26:29], v[20:21], off
	s_nop 0
	global_load_dwordx4 v[18:21], v[20:21], off offset:16
	v_sub_f32_e32 v46, v46, v58
	v_mul_f32_e32 v46, 0x3fb8aa3b, v46
	v_sub_f32_e32 v47, v47, v58
	v_exp_f32_e32 v46, v46
	v_mul_f32_e32 v47, 0x3fb8aa3b, v47
	v_sub_f32_e32 v44, v44, v58
	v_exp_f32_e32 v47, v47
	v_mul_f32_e32 v44, 0x3fb8aa3b, v44
	v_sub_f32_e32 v45, v45, v58
	v_cndmask_b32_e64 v48, 0, v48, s[28:29]
	v_exp_f32_e32 v44, v44
	v_mul_f32_e32 v45, 0x3fb8aa3b, v45
	v_sub_f32_e32 v42, v42, v58
	v_add_f32_e32 v61, 0, v48
	v_cndmask_b32_e64 v49, 0, v49, s[30:31]
	v_exp_f32_e32 v45, v45
	v_mul_f32_e32 v42, 0x3fb8aa3b, v42
	v_sub_f32_e32 v43, v43, v58
	v_add_f32_e32 v61, v61, v49
	;; [unrolled: 5-line block ×10, first 2 shown]
	v_cndmask_b32_e64 v38, 0, v38, s[10:11]
	v_exp_f32_e32 v34, v34
	v_mul_f32_e32 v35, 0x3fb8aa3b, v35
	v_add_f32_e32 v61, v61, v38
	v_cndmask_b32_e64 v39, 0, v39, s[12:13]
	v_exp_f32_e32 v35, v35
	v_add_f32_e32 v61, v61, v39
	v_cndmask_b32_e64 v36, 0, v36, s[2:3]
	v_add_f32_e32 v61, v61, v36
	v_cndmask_b32_e64 v37, 0, v37, s[8:9]
	v_add_f32_e32 v61, v61, v37
	v_cndmask_b32_e32 v34, 0, v34, vcc
	v_add_f32_e32 v61, v61, v34
	v_cndmask_b32_e64 v35, 0, v35, s[0:1]
	v_add_f32_e32 v61, v61, v35
	ds_bpermute_b32 v59, v59, v61
	s_load_dword s3, s[4:5], 0x98
	v_cmp_gt_u32_e32 vcc, 16, v56
	v_lshlrev_b32_e32 v56, 2, v55
	s_waitcnt lgkmcnt(0)
	v_add_f32_e32 v59, v61, v59
	ds_bpermute_b32 v60, v60, v59
	s_barrier
	s_waitcnt lgkmcnt(0)
	s_and_saveexec_b64 s[0:1], vcc
	s_cbranch_execz .LBB219_15
; %bb.14:
	v_add_f32_e32 v55, v59, v60
	v_lshl_or_b32 v59, v54, 6, v56
	ds_write2st64_b32 v59, v58, v55 offset1:1
.LBB219_15:
	s_or_b64 exec, exec, s[0:1]
	s_load_dword s2, s[4:5], 0x94
	s_waitcnt lgkmcnt(0)
	s_barrier
	ds_read2_b32 v[58:59], v56 offset1:16
	ds_read2_b32 v[60:61], v56 offset0:32 offset1:48
	ds_read2_b32 v[62:63], v56 offset0:64 offset1:80
	s_movk_i32 s8, 0x7fff
	s_mov_b32 s9, 0x7060302
	s_waitcnt lgkmcnt(2)
	v_max3_f32 v55, v58, s40, v59
	s_waitcnt lgkmcnt(1)
	v_max3_f32 v55, v55, v60, v61
	v_sub_f32_e32 v58, v58, v55
	v_mul_f32_e32 v58, 0x3fb8aa3b, v58
	v_exp_f32_e32 v64, v58
	v_sub_f32_e32 v58, v59, v55
	v_mul_f32_e32 v58, 0x3fb8aa3b, v58
	v_exp_f32_e32 v65, v58
	;; [unrolled: 3-line block ×3, first 2 shown]
	ds_read2_b32 v[58:59], v56 offset0:96 offset1:112
	v_sub_f32_e32 v56, v61, v55
	v_mul_f32_e32 v56, 0x3fb8aa3b, v56
	v_exp_f32_e32 v61, v56
	s_waitcnt lgkmcnt(1)
	v_fma_f32 v56, v64, v62, 0
	v_fmac_f32_e32 v56, v65, v63
	s_waitcnt lgkmcnt(0)
	v_fmac_f32_e32 v56, v60, v58
	v_fmac_f32_e32 v56, v61, v59
	v_add_f32_e32 v58, 0x358637bd, v56
	v_div_scale_f32 v59, s[0:1], v58, v58, 1.0
	v_rcp_f32_e32 v62, v59
	s_lshl_b32 s3, s3, 2
	s_barrier
	v_fma_f32 v63, -v59, v62, 1.0
	v_fmac_f32_e32 v62, v63, v62
	v_div_scale_f32 v63, vcc, 1.0, v58, 1.0
	v_mul_f32_e32 v66, v63, v62
	v_fma_f32 v67, -v59, v66, v63
	v_fmac_f32_e32 v66, v67, v62
	v_fma_f32 v59, -v59, v66, v63
	v_div_fmas_f32 v59, v59, v62, v66
	v_cmp_eq_u32_e32 vcc, 1, v54
	v_div_fixup_f32 v58, v59, v58, 1.0
	v_cndmask_b32_e32 v59, v64, v65, vcc
	v_cmp_eq_u32_e32 vcc, 2, v54
	v_cndmask_b32_e32 v59, v59, v60, vcc
	v_cmp_eq_u32_e32 vcc, 3, v54
	v_cndmask_b32_e32 v59, v59, v61, vcc
	v_mul_f32_e32 v58, v59, v58
	v_pk_mul_f32 v[48:49], v[58:59], v[48:49] op_sel_hi:[0,1]
	v_pk_mul_f32 v[46:47], v[58:59], v[46:47] op_sel_hi:[0,1]
	v_bfe_u32 v59, v49, 16, 1
	v_bfe_u32 v60, v48, 16, 1
	v_add3_u32 v48, v48, v60, s8
	v_add3_u32 v49, v49, v59, s8
	v_perm_b32 v48, v49, v48, s9
	v_bfe_u32 v49, v47, 16, 1
	v_bfe_u32 v59, v46, 16, 1
	v_add3_u32 v46, v46, v59, s8
	v_add3_u32 v47, v47, v49, s8
	v_perm_b32 v49, v47, v46, s9
	v_lshlrev_b32_e32 v46, 3, v53
	v_lshlrev_b32_e32 v47, 11, v54
	v_pk_mul_f32 v[44:45], v[58:59], v[44:45] op_sel_hi:[0,1]
	v_or3_b32 v46, v47, v57, v46
	v_bfe_u32 v47, v45, 16, 1
	v_bfe_u32 v54, v44, 16, 1
	v_pk_mul_f32 v[42:43], v[58:59], v[42:43] op_sel_hi:[0,1]
	v_add3_u32 v44, v44, v54, s8
	v_add3_u32 v45, v45, v47, s8
	v_perm_b32 v44, v45, v44, s9
	v_bfe_u32 v45, v43, 16, 1
	v_bfe_u32 v47, v42, 16, 1
	v_add3_u32 v42, v42, v47, s8
	v_add3_u32 v43, v43, v45, s8
	v_pk_mul_f32 v[40:41], v[58:59], v[40:41] op_sel_hi:[0,1]
	v_perm_b32 v45, v43, v42, s9
	v_bfe_u32 v42, v41, 16, 1
	v_bfe_u32 v43, v40, 16, 1
	v_pk_mul_f32 v[38:39], v[58:59], v[38:39] op_sel_hi:[0,1]
	v_add3_u32 v40, v40, v43, s8
	v_add3_u32 v41, v41, v42, s8
	v_perm_b32 v40, v41, v40, s9
	v_bfe_u32 v41, v39, 16, 1
	v_bfe_u32 v42, v38, 16, 1
	v_add3_u32 v38, v38, v42, s8
	v_add3_u32 v39, v39, v41, s8
	v_pk_mul_f32 v[36:37], v[58:59], v[36:37] op_sel_hi:[0,1]
	v_perm_b32 v41, v39, v38, s9
	v_bfe_u32 v38, v37, 16, 1
	v_bfe_u32 v39, v36, 16, 1
	v_pk_mul_f32 v[34:35], v[58:59], v[34:35] op_sel_hi:[0,1]
	v_add3_u32 v36, v36, v39, s8
	v_add3_u32 v37, v37, v38, s8
	v_perm_b32 v36, v37, v36, s9
	v_bfe_u32 v37, v35, 16, 1
	v_bfe_u32 v38, v34, 16, 1
	v_add3_u32 v34, v34, v38, s8
	v_add3_u32 v35, v35, v37, s8
	v_perm_b32 v37, v35, v34, s9
	v_cmp_gt_u32_e32 vcc, 4, v0
	ds_write2st64_b64 v46, v[48:49], v[44:45] offset1:1
	ds_write2st64_b64 v46, v[40:41], v[36:37] offset0:2 offset1:3
	s_and_saveexec_b64 s[0:1], vcc
	s_cbranch_execz .LBB219_17
; %bb.16:
	v_or_b32_e32 v34, s27, v0
	v_mov_b32_e32 v35, 0
	v_mov_b32_e32 v36, s3
	v_mad_u64_u32 v[36:37], s[10:11], s6, v36, v[34:35]
	v_mov_b32_e32 v34, s26
	s_load_dwordx4 s[12:15], s[4:5], 0x58
	s_mul_i32 s7, s7, s3
	v_mad_u64_u32 v[34:35], s[10:11], v36, s2, v[34:35]
	v_add_u32_e32 v37, s7, v37
	v_mov_b32_e32 v36, v35
	v_mad_u64_u32 v[36:37], s[10:11], v37, s2, v[36:37]
	v_mov_b32_e32 v35, v36
	v_lshlrev_b64 v[34:35], 2, v[34:35]
	s_waitcnt lgkmcnt(0)
	v_mov_b32_e32 v37, s15
	v_add_co_u32_e32 v36, vcc, s14, v34
	v_addc_co_u32_e32 v37, vcc, v37, v35, vcc
	global_store_dword v[36:37], v55, off
	v_mov_b32_e32 v36, s13
	v_add_co_u32_e32 v34, vcc, s12, v34
	v_addc_co_u32_e32 v35, vcc, v36, v35, vcc
	global_store_dword v[34:35], v56, off
.LBB219_17:
	s_or_b64 exec, exec, s[0:1]
	v_lshl_or_b32 v47, v53, 9, v57
	s_waitcnt lgkmcnt(0)
	s_barrier
	ds_read_b128 v[34:37], v47
	ds_read_b128 v[38:41], v47 offset:16
	s_waitcnt vmcnt(7) lgkmcnt(1)
	v_mfma_f32_16x16x16bf16_1k v[42:45], v[14:15], v[34:35], 0
	s_mov_b32 s1, 0
	v_mfma_f32_16x16x16bf16_1k v[14:17], v[16:17], v[36:37], v[42:45]
	s_waitcnt vmcnt(6) lgkmcnt(0)
	v_mfma_f32_16x16x16bf16_1k v[14:17], v[10:11], v[38:39], v[14:17]
	v_mfma_f32_16x16x16bf16_1k v[10:13], v[12:13], v[40:41], v[14:17]
	s_nop 7
	s_nop 1
	ds_read_b128 v[14:17], v47 offset:2048
	ds_read_b128 v[34:37], v47 offset:2064
	s_waitcnt vmcnt(5) lgkmcnt(1)
	v_mfma_f32_16x16x16bf16_1k v[10:13], v[6:7], v[14:15], v[10:13]
	v_mfma_f32_16x16x16bf16_1k v[6:9], v[8:9], v[16:17], v[10:13]
	s_waitcnt vmcnt(4) lgkmcnt(0)
	v_mfma_f32_16x16x16bf16_1k v[6:9], v[2:3], v[34:35], v[6:9]
	v_mfma_f32_16x16x16bf16_1k v[2:5], v[4:5], v[36:37], v[6:9]
	s_nop 7
	s_nop 1
	ds_read_b128 v[6:9], v47 offset:4096
	ds_read_b128 v[10:13], v47 offset:4112
	s_waitcnt vmcnt(3) lgkmcnt(1)
	v_mfma_f32_16x16x16bf16_1k v[2:5], v[30:31], v[6:7], v[2:5]
	v_mfma_f32_16x16x16bf16_1k v[2:5], v[32:33], v[8:9], v[2:5]
	s_waitcnt vmcnt(2) lgkmcnt(0)
	v_mfma_f32_16x16x16bf16_1k v[2:5], v[22:23], v[10:11], v[2:5]
	v_mfma_f32_16x16x16bf16_1k v[2:5], v[24:25], v[12:13], v[2:5]
	ds_read_b128 v[6:9], v47 offset:6144
	ds_read_b128 v[10:13], v47 offset:6160
	s_waitcnt lgkmcnt(0)
	s_barrier
	s_waitcnt vmcnt(1)
	v_mfma_f32_16x16x16bf16_1k v[2:5], v[26:27], v[6:7], v[2:5]
	v_mfma_f32_16x16x16bf16_1k v[2:5], v[28:29], v[8:9], v[2:5]
	s_waitcnt vmcnt(0)
	v_mfma_f32_16x16x16bf16_1k v[2:5], v[18:19], v[10:11], v[2:5]
	v_mfma_f32_16x16x16bf16_1k v[2:5], v[20:21], v[12:13], v[2:5]
	s_nop 7
	s_nop 2
	v_bfe_u32 v6, v3, 16, 1
	v_bfe_u32 v7, v2, 16, 1
	;; [unrolled: 1-line block ×4, first 2 shown]
	v_add3_u32 v2, v2, v7, s8
	v_add3_u32 v3, v3, v6, s8
	;; [unrolled: 1-line block ×4, first 2 shown]
	v_perm_b32 v2, v3, v2, s9
	v_perm_b32 v3, v5, v4, s9
	ds_write_b64 v46, v[2:3]
	s_waitcnt lgkmcnt(0)
	s_barrier
	s_and_saveexec_b64 s[8:9], s[44:45]
	s_cbranch_execz .LBB219_19
; %bb.18:
	s_load_dwordx2 s[4:5], s[4:5], 0x68
	s_lshl_b32 s7, s2, 6
	s_mul_i32 s0, s3, s6
	s_mul_hi_u32 s3, s0, s7
	s_mul_i32 s2, s0, s7
	s_lshl_b64 s[2:3], s[2:3], 1
	s_waitcnt lgkmcnt(0)
	s_add_u32 s2, s4, s2
	v_lshlrev_b32_e32 v0, 10, v0
	s_addc_u32 s3, s5, s3
	s_lshl_b32 s0, s26, 6
	v_and_b32_e32 v0, 0x1800, v0
	v_and_b32_e32 v2, 16, v52
	s_lshl_b64 s[0:1], s[0:1], 1
	v_or3_b32 v0, v0, v51, v2
	s_add_u32 s2, s2, s0
	ds_read_b128 v[2:5], v0
	s_addc_u32 s3, s3, s1
	v_mad_u64_u32 v[0:1], s[0:1], s7, v1, 0
	v_lshlrev_b64 v[0:1], 1, v[0:1]
	v_mov_b32_e32 v6, s3
	v_add_co_u32_e32 v0, vcc, s2, v0
	v_addc_co_u32_e32 v1, vcc, v6, v1, vcc
	v_add_co_u32_e32 v0, vcc, v0, v50
	v_addc_co_u32_e32 v1, vcc, 0, v1, vcc
	s_waitcnt lgkmcnt(0)
	global_store_dwordx4 v[0:1], v[2:5], off
.LBB219_19:
	s_endpgm
	.section	.rodata,"a",@progbits
	.p2align	6, 0x0
	.amdhsa_kernel _Z39paged_attention_ll4mi_QKV_mfma16_kernelI14__hip_bfloat16S0_LN4vllm18Fp8KVCacheDataTypeE0ES0_Li16ELi64ELi256ELb1ELi4EL8MFMAType0EEvPKT_PKT0_S9_ifPKiSB_SB_iPKfiiiPfSE_PS4_PT2_iSD_SD_
		.amdhsa_group_segment_fixed_size 8192
		.amdhsa_private_segment_fixed_size 0
		.amdhsa_kernarg_size 400
		.amdhsa_user_sgpr_count 6
		.amdhsa_user_sgpr_private_segment_buffer 1
		.amdhsa_user_sgpr_dispatch_ptr 0
		.amdhsa_user_sgpr_queue_ptr 0
		.amdhsa_user_sgpr_kernarg_segment_ptr 1
		.amdhsa_user_sgpr_dispatch_id 0
		.amdhsa_user_sgpr_flat_scratch_init 0
		.amdhsa_user_sgpr_kernarg_preload_length 0
		.amdhsa_user_sgpr_kernarg_preload_offset 0
		.amdhsa_user_sgpr_private_segment_size 0
		.amdhsa_uses_dynamic_stack 0
		.amdhsa_system_sgpr_private_segment_wavefront_offset 0
		.amdhsa_system_sgpr_workgroup_id_x 1
		.amdhsa_system_sgpr_workgroup_id_y 1
		.amdhsa_system_sgpr_workgroup_id_z 1
		.amdhsa_system_sgpr_workgroup_info 0
		.amdhsa_system_vgpr_workitem_id 0
		.amdhsa_next_free_vgpr 68
		.amdhsa_next_free_sgpr 46
		.amdhsa_accum_offset 68
		.amdhsa_reserve_vcc 1
		.amdhsa_reserve_flat_scratch 0
		.amdhsa_float_round_mode_32 0
		.amdhsa_float_round_mode_16_64 0
		.amdhsa_float_denorm_mode_32 3
		.amdhsa_float_denorm_mode_16_64 3
		.amdhsa_dx10_clamp 1
		.amdhsa_ieee_mode 1
		.amdhsa_fp16_overflow 0
		.amdhsa_tg_split 0
		.amdhsa_exception_fp_ieee_invalid_op 0
		.amdhsa_exception_fp_denorm_src 0
		.amdhsa_exception_fp_ieee_div_zero 0
		.amdhsa_exception_fp_ieee_overflow 0
		.amdhsa_exception_fp_ieee_underflow 0
		.amdhsa_exception_fp_ieee_inexact 0
		.amdhsa_exception_int_div_zero 0
	.end_amdhsa_kernel
	.section	.text._Z39paged_attention_ll4mi_QKV_mfma16_kernelI14__hip_bfloat16S0_LN4vllm18Fp8KVCacheDataTypeE0ES0_Li16ELi64ELi256ELb1ELi4EL8MFMAType0EEvPKT_PKT0_S9_ifPKiSB_SB_iPKfiiiPfSE_PS4_PT2_iSD_SD_,"axG",@progbits,_Z39paged_attention_ll4mi_QKV_mfma16_kernelI14__hip_bfloat16S0_LN4vllm18Fp8KVCacheDataTypeE0ES0_Li16ELi64ELi256ELb1ELi4EL8MFMAType0EEvPKT_PKT0_S9_ifPKiSB_SB_iPKfiiiPfSE_PS4_PT2_iSD_SD_,comdat
.Lfunc_end219:
	.size	_Z39paged_attention_ll4mi_QKV_mfma16_kernelI14__hip_bfloat16S0_LN4vllm18Fp8KVCacheDataTypeE0ES0_Li16ELi64ELi256ELb1ELi4EL8MFMAType0EEvPKT_PKT0_S9_ifPKiSB_SB_iPKfiiiPfSE_PS4_PT2_iSD_SD_, .Lfunc_end219-_Z39paged_attention_ll4mi_QKV_mfma16_kernelI14__hip_bfloat16S0_LN4vllm18Fp8KVCacheDataTypeE0ES0_Li16ELi64ELi256ELb1ELi4EL8MFMAType0EEvPKT_PKT0_S9_ifPKiSB_SB_iPKfiiiPfSE_PS4_PT2_iSD_SD_
                                        ; -- End function
	.section	.AMDGPU.csdata,"",@progbits
; Kernel info:
; codeLenInByte = 4428
; NumSgprs: 50
; NumVgprs: 68
; NumAgprs: 0
; TotalNumVgprs: 68
; ScratchSize: 0
; MemoryBound: 0
; FloatMode: 240
; IeeeMode: 1
; LDSByteSize: 8192 bytes/workgroup (compile time only)
; SGPRBlocks: 6
; VGPRBlocks: 8
; NumSGPRsForWavesPerEU: 50
; NumVGPRsForWavesPerEU: 68
; AccumOffset: 68
; Occupancy: 7
; WaveLimiterHint : 1
; COMPUTE_PGM_RSRC2:SCRATCH_EN: 0
; COMPUTE_PGM_RSRC2:USER_SGPR: 6
; COMPUTE_PGM_RSRC2:TRAP_HANDLER: 0
; COMPUTE_PGM_RSRC2:TGID_X_EN: 1
; COMPUTE_PGM_RSRC2:TGID_Y_EN: 1
; COMPUTE_PGM_RSRC2:TGID_Z_EN: 1
; COMPUTE_PGM_RSRC2:TIDIG_COMP_CNT: 0
; COMPUTE_PGM_RSRC3_GFX90A:ACCUM_OFFSET: 16
; COMPUTE_PGM_RSRC3_GFX90A:TG_SPLIT: 0
	.section	.text._Z35paged_attention_ll4mi_reduce_kernelI14__hip_bfloat16S0_Li64ELi64ELi256ELi9EEvPT0_PKfS4_PKT_PKiS9_iS4_,"axG",@progbits,_Z35paged_attention_ll4mi_reduce_kernelI14__hip_bfloat16S0_Li64ELi64ELi256ELi9EEvPT0_PKfS4_PKT_PKiS9_iS4_,comdat
	.protected	_Z35paged_attention_ll4mi_reduce_kernelI14__hip_bfloat16S0_Li64ELi64ELi256ELi9EEvPT0_PKfS4_PKT_PKiS9_iS4_ ; -- Begin function _Z35paged_attention_ll4mi_reduce_kernelI14__hip_bfloat16S0_Li64ELi64ELi256ELi9EEvPT0_PKfS4_PKT_PKiS9_iS4_
	.globl	_Z35paged_attention_ll4mi_reduce_kernelI14__hip_bfloat16S0_Li64ELi64ELi256ELi9EEvPT0_PKfS4_PKT_PKiS9_iS4_
	.p2align	8
	.type	_Z35paged_attention_ll4mi_reduce_kernelI14__hip_bfloat16S0_Li64ELi64ELi256ELi9EEvPT0_PKfS4_PKT_PKiS9_iS4_,@function
_Z35paged_attention_ll4mi_reduce_kernelI14__hip_bfloat16S0_Li64ELi64ELi256ELi9EEvPT0_PKfS4_PKT_PKiS9_iS4_: ; @_Z35paged_attention_ll4mi_reduce_kernelI14__hip_bfloat16S0_Li64ELi64ELi256ELi9EEvPT0_PKfS4_PKT_PKiS9_iS4_
; %bb.0:
	s_load_dwordx2 s[34:35], s[4:5], 0x28
	s_mov_b32 s22, s7
	s_mov_b64 s[0:1], 0
	s_waitcnt lgkmcnt(0)
	s_cmp_lg_u64 s[34:35], 0
	s_cselect_b64 s[36:37], -1, 0
	s_and_b64 vcc, exec, s[36:37]
	s_cbranch_vccz .LBB220_27
; %bb.1:
	s_add_i32 s2, s22, 1
	s_mov_b32 s3, 0
	s_lshl_b64 s[8:9], s[2:3], 2
	s_add_u32 s8, s34, s8
	s_mov_b32 s23, s3
	s_addc_u32 s9, s35, s9
	s_lshl_b64 s[2:3], s[22:23], 2
	s_add_u32 s2, s34, s2
	s_addc_u32 s3, s35, s3
	s_load_dword s7, s[8:9], 0x0
	s_load_dword s10, s[2:3], 0x0
	s_waitcnt lgkmcnt(0)
	s_sub_i32 s2, s7, s10
	s_cmp_eq_u32 s2, 1
	s_cselect_b64 s[2:3], -1, 0
	s_andn2_b64 vcc, exec, s[0:1]
	s_cbranch_vccnz .LBB220_3
.LBB220_2:
	s_mov_b32 s23, 0
	s_mov_b64 s[2:3], -1
.LBB220_3:
	s_andn2_b64 vcc, exec, s[2:3]
	s_cbranch_vccz .LBB220_5
; %bb.4:
	s_endpgm
.LBB220_5:
	s_load_dwordx4 s[24:27], s[4:5], 0x18
	s_load_dword s8, s[4:5], 0x30
	s_lshl_b64 s[38:39], s[22:23], 2
	v_cmp_lt_u32_e32 vcc, 63, v0
	s_waitcnt lgkmcnt(0)
	s_add_u32 s0, s26, s38
	s_addc_u32 s1, s27, s39
	s_load_dword s46, s[0:1], 0x0
	s_load_dword s7, s[4:5], 0x40
	s_mul_i32 s26, s6, s8
	s_mul_i32 s2, s22, s8
	s_waitcnt lgkmcnt(0)
	s_add_i32 s3, s46, 0xff
	s_ashr_i32 s0, s3, 31
	s_lshr_b32 s0, s0, 24
	s_add_i32 s3, s3, s0
	s_and_saveexec_b64 s[0:1], vcc
	s_xor_b64 s[0:1], exec, s[0:1]
	s_or_saveexec_b64 s[40:41], s[0:1]
	s_ashr_i32 s33, s3, 8
	v_mov_b32_e32 v1, s26
	s_mul_i32 s42, s2, s7
	s_xor_b64 exec, exec, s[40:41]
	s_cbranch_execz .LBB220_9
; %bb.6:
	s_add_i32 s0, s33, -1
	v_or_b32_e32 v3, 64, v0
	v_mov_b32_e32 v1, s0
	v_cmp_gt_u32_e64 s[16:17], s33, v3
	v_cndmask_b32_e64 v4, v1, v3, s[16:17]
	v_or_b32_e32 v3, 0x80, v0
	v_cmp_gt_u32_e64 s[14:15], s33, v3
	v_cndmask_b32_e64 v6, v1, v3, s[14:15]
	v_or_b32_e32 v3, 0xc0, v0
	;; [unrolled: 3-line block ×4, first 2 shown]
	s_load_dwordx4 s[28:31], s[4:5], 0x8
	v_cmp_gt_u32_e64 s[8:9], s33, v3
	v_cndmask_b32_e64 v12, v1, v3, s[8:9]
	v_or_b32_e32 v3, 0x180, v0
	v_cmp_gt_u32_e64 s[2:3], s33, v3
	s_mov_b32 s43, 0
	v_cndmask_b32_e64 v14, v1, v3, s[2:3]
	v_or_b32_e32 v3, 0x1c0, v0
	v_cmp_gt_u32_e64 s[0:1], s33, v3
	s_lshl_b64 s[44:45], s[42:43], 2
	s_mov_b32 s27, s43
	v_cmp_gt_u32_e64 s[18:19], s33, v0
	v_cndmask_b32_e64 v16, v1, v3, s[0:1]
	v_or_b32_e32 v3, 0x200, v0
	s_waitcnt lgkmcnt(0)
	s_add_u32 s20, s30, s44
	v_cndmask_b32_e64 v2, v1, v0, s[18:19]
	v_cmp_gt_u32_e32 vcc, s33, v3
	s_addc_u32 s21, s31, s45
	s_lshl_b64 s[30:31], s[26:27], 2
	v_cndmask_b32_e32 v18, v1, v3, vcc
	s_add_u32 s27, s20, s30
	v_ashrrev_i32_e32 v3, 31, v2
	s_addc_u32 s43, s21, s31
	v_lshlrev_b64 v[2:3], 2, v[2:3]
	v_mov_b32_e32 v1, s43
	v_add_co_u32_e64 v20, s[20:21], s27, v2
	v_ashrrev_i32_e32 v5, 31, v4
	v_addc_co_u32_e64 v21, s[20:21], v1, v3, s[20:21]
	v_lshlrev_b64 v[4:5], 2, v[4:5]
	v_add_co_u32_e64 v22, s[20:21], s27, v4
	v_ashrrev_i32_e32 v7, 31, v6
	v_addc_co_u32_e64 v23, s[20:21], v1, v5, s[20:21]
	v_lshlrev_b64 v[6:7], 2, v[6:7]
	;; [unrolled: 4-line block ×8, first 2 shown]
	global_load_dword v1, v[20:21], off
	global_load_dword v36, v[22:23], off
	;; [unrolled: 1-line block ×8, first 2 shown]
	v_mov_b32_e32 v21, s43
	v_add_co_u32_e64 v20, s[20:21], s27, v18
	v_addc_co_u32_e64 v21, s[20:21], v21, v19, s[20:21]
	global_load_dword v20, v[20:21], off
	v_mbcnt_lo_u32_b32 v22, -1, 0
	v_mbcnt_hi_u32_b32 v22, -1, v22
	v_and_b32_e32 v23, 64, v22
	v_add_u32_e32 v23, 64, v23
	v_xor_b32_e32 v24, 32, v22
	v_cmp_lt_i32_e64 s[20:21], v24, v23
	v_cndmask_b32_e64 v24, v22, v24, s[20:21]
	v_lshlrev_b32_e32 v24, 2, v24
	s_waitcnt vmcnt(6)
	v_max3_f32 v21, v1, v36, v37
	s_waitcnt vmcnt(4)
	v_max3_f32 v21, v21, v38, v39
	;; [unrolled: 2-line block ×4, first 2 shown]
	ds_bpermute_b32 v25, v24, v21
	s_waitcnt lgkmcnt(0)
	v_max_f32_e32 v25, v25, v25
	v_max_f32_e32 v21, v21, v25
	v_xor_b32_e32 v25, 16, v22
	v_cmp_lt_i32_e64 s[20:21], v25, v23
	v_cndmask_b32_e64 v25, v22, v25, s[20:21]
	v_lshlrev_b32_e32 v25, 2, v25
	ds_bpermute_b32 v26, v25, v21
	s_waitcnt lgkmcnt(0)
	v_max_f32_e32 v26, v26, v26
	v_max_f32_e32 v21, v21, v26
	v_xor_b32_e32 v26, 8, v22
	v_cmp_lt_i32_e64 s[20:21], v26, v23
	v_cndmask_b32_e64 v26, v22, v26, s[20:21]
	v_lshlrev_b32_e32 v26, 2, v26
	;; [unrolled: 8-line block ×4, first 2 shown]
	ds_bpermute_b32 v29, v28, v21
	s_waitcnt lgkmcnt(0)
	v_max_f32_e32 v29, v29, v29
	v_max_f32_e32 v21, v21, v29
	v_xor_b32_e32 v29, 1, v22
	v_cmp_lt_i32_e64 s[20:21], v29, v23
	v_cndmask_b32_e64 v22, v22, v29, s[20:21]
	s_add_u32 s20, s28, s44
	s_addc_u32 s21, s29, s45
	s_add_u32 s27, s20, s30
	s_addc_u32 s28, s21, s31
	v_mov_b32_e32 v23, s28
	v_add_co_u32_e64 v2, s[20:21], s27, v2
	v_addc_co_u32_e64 v3, s[20:21], v23, v3, s[20:21]
	global_load_dword v23, v[2:3], off
	v_mov_b32_e32 v3, s28
	v_add_co_u32_e64 v2, s[20:21], s27, v4
	v_addc_co_u32_e64 v3, s[20:21], v3, v5, s[20:21]
	v_mov_b32_e32 v5, s28
	v_add_co_u32_e64 v4, s[20:21], s27, v6
	v_addc_co_u32_e64 v5, s[20:21], v5, v7, s[20:21]
	global_load_dword v30, v[2:3], off
	global_load_dword v31, v[4:5], off
	v_mov_b32_e32 v3, s28
	v_add_co_u32_e64 v2, s[20:21], s27, v8
	v_addc_co_u32_e64 v3, s[20:21], v3, v9, s[20:21]
	v_mov_b32_e32 v5, s28
	v_add_co_u32_e64 v4, s[20:21], s27, v10
	v_addc_co_u32_e64 v5, s[20:21], v5, v11, s[20:21]
	;; [unrolled: 3-line block ×5, first 2 shown]
	global_load_dword v12, v[2:3], off
	global_load_dword v13, v[4:5], off
	;; [unrolled: 1-line block ×5, first 2 shown]
	v_lshlrev_b32_e32 v22, 2, v22
	ds_bpermute_b32 v29, v22, v21
	v_mov_b32_e32 v3, s28
	s_mov_b32 s28, 0x3fb8aa3b
	s_mov_b32 s29, 0x42b17218
	s_waitcnt lgkmcnt(0)
	v_max_f32_e32 v2, v29, v29
	v_max_f32_e32 v4, v21, v2
	v_sub_f32_e32 v1, v1, v4
	v_mul_f32_e32 v2, 0x3fb8aa3b, v1
	v_fma_f32 v5, v1, s28, -v2
	v_rndne_f32_e32 v6, v2
	v_fmac_f32_e32 v5, 0x32a5705f, v1
	v_sub_f32_e32 v2, v2, v6
	v_add_f32_e32 v2, v2, v5
	v_exp_f32_e32 v5, v2
	v_cvt_i32_f32_e32 v6, v6
	v_add_co_u32_e64 v2, s[20:21], s27, v18
	v_addc_co_u32_e64 v3, s[20:21], v3, v19, s[20:21]
	global_load_dword v2, v[2:3], off
	v_ldexp_f32 v3, v5, v6
	v_sub_f32_e32 v6, v36, v4
	v_mul_f32_e32 v7, 0x3fb8aa3b, v6
	v_fma_f32 v8, v6, s28, -v7
	v_rndne_f32_e32 v9, v7
	v_fmac_f32_e32 v8, 0x32a5705f, v6
	v_sub_f32_e32 v7, v7, v9
	v_add_f32_e32 v7, v7, v8
	v_exp_f32_e32 v7, v7
	v_cvt_i32_f32_e32 v8, v9
	s_mov_b32 s27, 0xc2ce8ed0
	v_cmp_ngt_f32_e64 s[20:21], s27, v1
	v_cndmask_b32_e64 v3, 0, v3, s[20:21]
	v_mov_b32_e32 v5, 0x7f800000
	v_cmp_nlt_f32_e64 s[20:21], s29, v1
	v_cndmask_b32_e64 v1, v5, v3, s[20:21]
	v_ldexp_f32 v3, v7, v8
	v_sub_f32_e32 v7, v37, v4
	v_mul_f32_e32 v8, 0x3fb8aa3b, v7
	v_fma_f32 v9, v7, s28, -v8
	v_rndne_f32_e32 v10, v8
	v_fmac_f32_e32 v9, 0x32a5705f, v7
	v_sub_f32_e32 v8, v8, v10
	v_add_f32_e32 v8, v8, v9
	v_exp_f32_e32 v8, v8
	v_cvt_i32_f32_e32 v9, v10
	v_cndmask_b32_e64 v1, 0, v1, s[18:19]
	v_cmp_ngt_f32_e64 s[18:19], s27, v6
	v_cndmask_b32_e64 v3, 0, v3, s[18:19]
	v_cmp_nlt_f32_e64 s[18:19], s29, v6
	v_ldexp_f32 v6, v8, v9
	v_sub_f32_e32 v8, v38, v4
	v_mul_f32_e32 v9, 0x3fb8aa3b, v8
	v_fma_f32 v10, v8, s28, -v9
	v_rndne_f32_e32 v11, v9
	v_fmac_f32_e32 v10, 0x32a5705f, v8
	v_sub_f32_e32 v9, v9, v11
	v_add_f32_e32 v9, v9, v10
	v_exp_f32_e32 v9, v9
	v_cvt_i32_f32_e32 v10, v11
	v_cndmask_b32_e64 v3, v5, v3, s[18:19]
	v_cndmask_b32_e64 v3, 0, v3, s[16:17]
	v_cmp_ngt_f32_e64 s[16:17], s27, v7
	v_cndmask_b32_e64 v6, 0, v6, s[16:17]
	v_cmp_nlt_f32_e64 s[16:17], s29, v7
	v_ldexp_f32 v7, v9, v10
	v_sub_f32_e32 v9, v39, v4
	v_mul_f32_e32 v10, 0x3fb8aa3b, v9
	v_fma_f32 v11, v9, s28, -v10
	v_rndne_f32_e32 v17, v10
	v_fmac_f32_e32 v11, 0x32a5705f, v9
	v_sub_f32_e32 v10, v10, v17
	v_add_f32_e32 v10, v10, v11
	v_exp_f32_e32 v10, v10
	v_cvt_i32_f32_e32 v11, v17
	v_cndmask_b32_e64 v6, v5, v6, s[16:17]
	v_cndmask_b32_e64 v6, 0, v6, s[14:15]
	v_cmp_ngt_f32_e64 s[14:15], s27, v8
	v_cndmask_b32_e64 v7, 0, v7, s[14:15]
	v_cmp_nlt_f32_e64 s[14:15], s29, v8
	v_cndmask_b32_e64 v7, v5, v7, s[14:15]
	v_ldexp_f32 v8, v10, v11
	v_sub_f32_e32 v10, v40, v4
	v_cndmask_b32_e64 v7, 0, v7, s[12:13]
	v_mul_f32_e32 v11, 0x3fb8aa3b, v10
	s_waitcnt vmcnt(5)
	v_mul_f32_e32 v7, v12, v7
	v_fma_f32 v12, v10, s28, -v11
	v_rndne_f32_e32 v17, v11
	v_fmac_f32_e32 v12, 0x32a5705f, v10
	v_sub_f32_e32 v11, v11, v17
	v_add_f32_e32 v11, v11, v12
	v_exp_f32_e32 v11, v11
	v_cvt_i32_f32_e32 v12, v17
	v_cmp_ngt_f32_e64 s[12:13], s27, v9
	v_cndmask_b32_e64 v8, 0, v8, s[12:13]
	v_cmp_nlt_f32_e64 s[12:13], s29, v9
	v_cndmask_b32_e64 v8, v5, v8, s[12:13]
	v_ldexp_f32 v9, v11, v12
	v_sub_f32_e32 v11, v41, v4
	v_cndmask_b32_e64 v8, 0, v8, s[10:11]
	v_mul_f32_e32 v12, 0x3fb8aa3b, v11
	s_waitcnt vmcnt(4)
	v_mul_f32_e32 v8, v13, v8
	v_fma_f32 v13, v11, s28, -v12
	v_rndne_f32_e32 v17, v12
	v_fmac_f32_e32 v13, 0x32a5705f, v11
	v_sub_f32_e32 v12, v12, v17
	v_add_f32_e32 v12, v12, v13
	v_exp_f32_e32 v12, v12
	v_cvt_i32_f32_e32 v13, v17
	;; [unrolled: 17-line block ×3, first 2 shown]
	v_cmp_ngt_f32_e64 s[8:9], s27, v11
	v_sub_f32_e32 v4, v20, v4
	v_cndmask_b32_e64 v10, 0, v10, s[8:9]
	v_cmp_nlt_f32_e64 s[8:9], s29, v11
	v_ldexp_f32 v11, v13, v14
	v_mul_f32_e32 v13, 0x3fb8aa3b, v4
	v_fma_f32 v14, v4, s28, -v13
	v_rndne_f32_e32 v17, v13
	v_fmac_f32_e32 v14, 0x32a5705f, v4
	v_sub_f32_e32 v13, v13, v17
	v_add_f32_e32 v13, v13, v14
	v_cndmask_b32_e64 v10, v5, v10, s[8:9]
	v_exp_f32_e32 v13, v13
	v_cvt_i32_f32_e32 v14, v17
	v_cndmask_b32_e64 v10, 0, v10, s[2:3]
	v_cmp_ngt_f32_e64 s[2:3], s27, v12
	v_cndmask_b32_e64 v11, 0, v11, s[2:3]
	v_cmp_nlt_f32_e64 s[2:3], s29, v12
	v_cndmask_b32_e64 v11, v5, v11, s[2:3]
	v_cndmask_b32_e64 v11, 0, v11, s[0:1]
	v_ldexp_f32 v12, v13, v14
	v_cmp_ngt_f32_e64 s[0:1], s27, v4
	v_mul_f32_e32 v1, v23, v1
	v_mul_f32_e32 v3, v30, v3
	v_cndmask_b32_e64 v12, 0, v12, s[0:1]
	v_cmp_nlt_f32_e64 s[0:1], s29, v4
	v_mul_f32_e32 v6, v31, v6
	v_cndmask_b32_e64 v4, v5, v12, s[0:1]
	v_add_f32_e32 v5, v1, v3
	v_add_f32_e32 v5, v5, v6
	;; [unrolled: 1-line block ×5, first 2 shown]
	s_waitcnt vmcnt(2)
	v_fmac_f32_e32 v5, v15, v10
	v_cndmask_b32_e32 v4, 0, v4, vcc
	s_waitcnt vmcnt(1)
	v_fmac_f32_e32 v5, v16, v11
	s_waitcnt vmcnt(0)
	v_fmac_f32_e32 v5, v2, v4
	ds_bpermute_b32 v12, v24, v5
	v_lshlrev_b32_e32 v13, 2, v0
	ds_write2st64_b32 v13, v1, v3 offset1:1
	ds_write2st64_b32 v13, v6, v7 offset0:2 offset1:3
	v_mul_f32_e32 v4, v2, v4
	v_cmp_eq_u32_e32 vcc, 0, v0
	s_waitcnt lgkmcnt(2)
	v_add_f32_e32 v5, v5, v12
	ds_bpermute_b32 v12, v25, v5
	v_mul_f32_e32 v10, v15, v10
	v_mul_f32_e32 v11, v16, v11
	ds_write2st64_b32 v13, v8, v9 offset0:4 offset1:5
	ds_write2st64_b32 v13, v10, v11 offset0:6 offset1:7
	ds_write_b32 v13, v4 offset:2048
	s_waitcnt lgkmcnt(3)
	v_add_f32_e32 v5, v5, v12
	ds_bpermute_b32 v12, v26, v5
	s_waitcnt lgkmcnt(0)
	v_add_f32_e32 v5, v5, v12
	ds_bpermute_b32 v12, v27, v5
	;; [unrolled: 3-line block ×4, first 2 shown]
	s_and_saveexec_b64 s[0:1], vcc
	s_cbranch_execz .LBB220_8
; %bb.7:
	s_waitcnt lgkmcnt(0)
	v_add_f32_e32 v1, v1, v2
	v_mov_b32_e32 v2, 0
	ds_write_b32 v2, v1 offset:2304
.LBB220_8:
	s_or_b64 exec, exec, s[0:1]
	v_mov_b32_e32 v1, s26
.LBB220_9:
	s_or_b64 exec, exec, s[40:41]
	s_lshl_b32 s0, s42, 6
	s_mov_b32 s1, 0
	s_lshl_b64 s[0:1], s[0:1], 1
	s_add_u32 s0, s24, s0
	s_addc_u32 s1, s25, s1
	s_lshl_b32 s10, s33, 6
	s_waitcnt lgkmcnt(0)
	v_lshlrev_b32_e32 v2, 6, v1
	v_mov_b32_e32 v3, 0
	s_sub_i32 s11, s10, 64
	v_lshlrev_b64 v[4:5], 1, v[2:3]
	s_cmp_lt_i32 s46, 1
	v_mov_b32_e32 v1, s1
	v_add_co_u32_e32 v2, vcc, s0, v4
	s_cselect_b32 s0, s11, 0
	v_addc_co_u32_e32 v1, vcc, v1, v5, vcc
	v_lshlrev_b32_e32 v118, 1, v0
	s_ashr_i32 s1, s0, 31
	v_add_co_u32_e32 v0, vcc, v2, v118
	s_lshl_b64 s[0:1], s[0:1], 1
	v_addc_co_u32_e32 v1, vcc, 0, v1, vcc
	s_cmpk_lt_i32 s46, 0x101
	v_add_co_u32_e32 v4, vcc, s0, v0
	s_cselect_b32 s0, s11, 64
	v_mov_b32_e32 v2, s1
	s_ashr_i32 s1, s0, 31
	s_lshl_b64 s[0:1], s[0:1], 1
	v_addc_co_u32_e32 v5, vcc, v1, v2, vcc
	s_cmpk_lt_i32 s46, 0x201
	v_add_co_u32_e32 v6, vcc, s0, v0
	s_cselect_b32 s0, s11, 0x80
	v_mov_b32_e32 v2, s1
	s_ashr_i32 s1, s0, 31
	;; [unrolled: 7-line block ×8, first 2 shown]
	s_lshl_b64 s[0:1], s[0:1], 1
	v_addc_co_u32_e32 v19, vcc, v1, v2, vcc
	s_cmpk_lt_i32 s46, 0x901
	global_load_ushort v44, v[4:5], off
	global_load_ushort v43, v[6:7], off
	;; [unrolled: 1-line block ×8, first 2 shown]
	v_add_co_u32_e32 v4, vcc, s0, v0
	s_cselect_b32 s0, s11, 0x240
	v_mov_b32_e32 v5, s1
	s_ashr_i32 s1, s0, 31
	s_lshl_b64 s[0:1], s[0:1], 1
	v_addc_co_u32_e32 v5, vcc, v1, v5, vcc
	s_cmpk_lt_i32 s46, 0xa01
	v_add_co_u32_e32 v6, vcc, s0, v0
	s_cselect_b32 s0, s11, 0x280
	v_mov_b32_e32 v7, s1
	s_ashr_i32 s1, s0, 31
	s_lshl_b64 s[0:1], s[0:1], 1
	v_addc_co_u32_e32 v7, vcc, v1, v7, vcc
	s_cmpk_lt_i32 s46, 0xb01
	;; [unrolled: 7-line block ×6, first 2 shown]
	v_add_co_u32_e32 v16, vcc, s0, v0
	s_cselect_b32 s0, s11, 0x3c0
	v_mov_b32_e32 v17, s1
	s_ashr_i32 s1, s0, 31
	v_addc_co_u32_e32 v17, vcc, v1, v17, vcc
	s_lshl_b64 s[0:1], s[0:1], 1
	v_mov_b32_e32 v19, s1
	v_add_co_u32_e32 v18, vcc, s0, v0
	v_addc_co_u32_e32 v19, vcc, v1, v19, vcc
	global_load_ushort v51, v[4:5], off
	global_load_ushort v52, v[6:7], off
	;; [unrolled: 1-line block ×8, first 2 shown]
	s_cmpk_gt_i32 s46, 0x1000
	s_cselect_b64 s[8:9], -1, 0
	s_cmpk_lt_i32 s46, 0x1001
	v_mov_b32_e32 v61, 0
	v_mov_b32_e32 v62, 0
	;; [unrolled: 1-line block ×48, first 2 shown]
	s_waitcnt lgkmcnt(0)
	; wave barrier
	s_cbranch_scc1 .LBB220_12
; %bb.10:
	s_cmpk_lt_u32 s46, 0x1101
	s_cselect_b32 s0, s11, 0x440
	s_ashr_i32 s1, s0, 31
	s_lshl_b64 s[0:1], s[0:1], 1
	s_cmpk_lt_u32 s46, 0x1201
	v_add_co_u32_e32 v4, vcc, s0, v0
	s_cselect_b32 s0, s11, 0x480
	v_mov_b32_e32 v5, s1
	s_ashr_i32 s1, s0, 31
	s_lshl_b64 s[0:1], s[0:1], 1
	v_addc_co_u32_e32 v5, vcc, v1, v5, vcc
	s_cmpk_lt_u32 s46, 0x1301
	v_add_co_u32_e32 v6, vcc, s0, v0
	s_cselect_b32 s0, s11, 0x4c0
	v_mov_b32_e32 v7, s1
	s_ashr_i32 s1, s0, 31
	s_lshl_b64 s[0:1], s[0:1], 1
	v_addc_co_u32_e32 v7, vcc, v1, v7, vcc
	;; [unrolled: 7-line block ×7, first 2 shown]
	s_cmpk_lt_u32 s46, 0x1901
	global_load_ushort v60, v[0:1], off offset:2048
	global_load_ushort v59, v[4:5], off
	global_load_ushort v58, v[6:7], off
	global_load_ushort v57, v[8:9], off
	global_load_ushort v56, v[10:11], off
	global_load_ushort v55, v[12:13], off
	global_load_ushort v54, v[14:15], off
	global_load_ushort v53, v[16:17], off
	v_add_co_u32_e32 v4, vcc, s0, v0
	s_cselect_b32 s0, s11, 0x640
	v_mov_b32_e32 v5, s1
	s_ashr_i32 s1, s0, 31
	s_lshl_b64 s[0:1], s[0:1], 1
	v_addc_co_u32_e32 v5, vcc, v1, v5, vcc
	s_cmpk_lt_u32 s46, 0x1a01
	v_add_co_u32_e32 v6, vcc, s0, v0
	s_cselect_b32 s0, s11, 0x680
	v_mov_b32_e32 v7, s1
	s_ashr_i32 s1, s0, 31
	s_lshl_b64 s[0:1], s[0:1], 1
	v_addc_co_u32_e32 v7, vcc, v1, v7, vcc
	s_cmpk_lt_u32 s46, 0x1b01
	;; [unrolled: 7-line block ×6, first 2 shown]
	v_add_co_u32_e32 v16, vcc, s0, v0
	s_cselect_b32 s0, s11, 0x7c0
	v_mov_b32_e32 v17, s1
	s_ashr_i32 s1, s0, 31
	v_addc_co_u32_e32 v17, vcc, v1, v17, vcc
	s_lshl_b64 s[0:1], s[0:1], 1
	v_mov_b32_e32 v19, s1
	v_add_co_u32_e32 v18, vcc, s0, v0
	v_addc_co_u32_e32 v19, vcc, v1, v19, vcc
	global_load_ushort v68, v[4:5], off
	global_load_ushort v67, v[6:7], off
	;; [unrolled: 1-line block ×8, first 2 shown]
	s_cmpk_lt_u32 s46, 0x2001
	v_mov_b32_e32 v35, 0
	v_mov_b32_e32 v33, 0
	v_mov_b32_e32 v34, 0
	v_mov_b32_e32 v31, 0
	v_mov_b32_e32 v32, 0
	v_mov_b32_e32 v29, 0
	v_mov_b32_e32 v30, 0
	v_mov_b32_e32 v27, 0
	v_mov_b32_e32 v28, 0
	v_mov_b32_e32 v25, 0
	v_mov_b32_e32 v26, 0
	v_mov_b32_e32 v23, 0
	v_mov_b32_e32 v24, 0
	v_mov_b32_e32 v21, 0
	v_mov_b32_e32 v22, 0
	v_mov_b32_e32 v20, 0
	v_mov_b32_e32 v19, 0
	v_mov_b32_e32 v17, 0
	v_mov_b32_e32 v18, 0
	v_mov_b32_e32 v16, 0
	v_mov_b32_e32 v15, 0
	v_mov_b32_e32 v14, 0
	v_mov_b32_e32 v13, 0
	v_mov_b32_e32 v12, 0
	v_mov_b32_e32 v11, 0
	v_mov_b32_e32 v10, 0
	v_mov_b32_e32 v9, 0
	v_mov_b32_e32 v8, 0
	v_mov_b32_e32 v7, 0
	v_mov_b32_e32 v6, 0
	v_mov_b32_e32 v5, 0
	v_mov_b32_e32 v4, 0
	s_cbranch_scc1 .LBB220_12
; %bb.11:
	s_cmpk_lt_u32 s46, 0x2101
	s_cselect_b32 s0, s11, 0x840
	s_ashr_i32 s1, s0, 31
	s_lshl_b64 s[0:1], s[0:1], 1
	s_cmpk_lt_u32 s46, 0x2201
	v_add_co_u32_e32 v4, vcc, s0, v0
	s_cselect_b32 s0, s11, 0x880
	v_mov_b32_e32 v5, s1
	s_ashr_i32 s1, s0, 31
	s_lshl_b64 s[0:1], s[0:1], 1
	v_addc_co_u32_e32 v5, vcc, v1, v5, vcc
	s_cmpk_lt_u32 s46, 0x2301
	v_add_co_u32_e32 v6, vcc, s0, v0
	s_cselect_b32 s0, s11, 0x8c0
	v_mov_b32_e32 v7, s1
	s_ashr_i32 s1, s0, 31
	s_lshl_b64 s[0:1], s[0:1], 1
	v_addc_co_u32_e32 v7, vcc, v1, v7, vcc
	;; [unrolled: 7-line block ×30, first 2 shown]
	v_mov_b32_e32 v69, s1
	s_movk_i32 s1, 0x1000
	v_add_co_u32_e32 v96, vcc, s1, v0
	v_addc_co_u32_e32 v97, vcc, 0, v1, vcc
	global_load_ushort v98, v[96:97], off
	global_load_ushort v99, v[4:5], off
	;; [unrolled: 1-line block ×15, first 2 shown]
                                        ; kill: killed $vgpr28 killed $vgpr29
                                        ; kill: killed $vgpr8 killed $vgpr9
                                        ; kill: killed $vgpr70 killed $vgpr71
                                        ; kill: killed $vgpr14 killed $vgpr15
                                        ; kill: killed $vgpr20 killed $vgpr21
                                        ; kill: killed $vgpr4 killed $vgpr5
                                        ; kill: killed $vgpr30 killed $vgpr31
                                        ; kill: killed $vgpr10 killed $vgpr11
                                        ; kill: killed $vgpr16 killed $vgpr17
                                        ; kill: killed $vgpr22 killed $vgpr23
                                        ; kill: killed $vgpr6 killed $vgpr7
                                        ; kill: killed $vgpr96 killed $vgpr97
                                        ; kill: killed $vgpr34 killed $vgpr35
                                        ; kill: killed $vgpr12 killed $vgpr13
                                        ; kill: killed $vgpr18 killed $vgpr19
	global_load_ushort v6, v[24:25], off
	global_load_ushort v7, v[26:27], off
	;; [unrolled: 1-line block ×15, first 2 shown]
                                        ; kill: killed $vgpr88 killed $vgpr89
                                        ; kill: killed $vgpr72 killed $vgpr73
                                        ; kill: killed $vgpr94 killed $vgpr95
                                        ; kill: killed $vgpr78 killed $vgpr79
                                        ; kill: killed $vgpr84 killed $vgpr85
                                        ; kill: killed $vgpr32 killed $vgpr33
                                        ; kill: killed $vgpr90 killed $vgpr91
                                        ; kill: killed $vgpr74 killed $vgpr75
                                        ; kill: killed $vgpr80 killed $vgpr81
                                        ; kill: killed $vgpr24 killed $vgpr25
                                        ; kill: killed $vgpr36 killed $vgpr37
                                        ; kill: killed $vgpr92 killed $vgpr93
                                        ; kill: killed $vgpr76 killed $vgpr77
                                        ; kill: killed $vgpr82 killed $vgpr83
                                        ; kill: killed $vgpr26 killed $vgpr27
	global_load_ushort v36, v[86:87], off
	v_add_co_u32_e32 v4, vcc, s0, v0
	v_addc_co_u32_e32 v5, vcc, v1, v69, vcc
	global_load_ushort v5, v[4:5], off
	s_waitcnt vmcnt(31)
	v_lshlrev_b32_e32 v35, 16, v98
	s_waitcnt vmcnt(30)
	v_lshlrev_b32_e32 v33, 16, v99
	s_waitcnt vmcnt(29)
	v_lshlrev_b32_e32 v34, 16, v100
	s_waitcnt vmcnt(28)
	v_lshlrev_b32_e32 v31, 16, v101
	s_waitcnt vmcnt(27)
	v_lshlrev_b32_e32 v32, 16, v102
	s_waitcnt vmcnt(26)
	v_lshlrev_b32_e32 v29, 16, v103
	s_waitcnt vmcnt(25)
	v_lshlrev_b32_e32 v30, 16, v104
	s_waitcnt vmcnt(24)
	v_lshlrev_b32_e32 v27, 16, v105
	s_waitcnt vmcnt(23)
	v_lshlrev_b32_e32 v28, 16, v106
	s_waitcnt vmcnt(22)
	v_lshlrev_b32_e32 v25, 16, v107
	s_waitcnt vmcnt(21)
	v_lshlrev_b32_e32 v26, 16, v108
	s_waitcnt vmcnt(20)
	v_lshlrev_b32_e32 v23, 16, v109
	s_waitcnt vmcnt(19)
	v_lshlrev_b32_e32 v24, 16, v110
	s_waitcnt vmcnt(18)
	v_lshlrev_b32_e32 v21, 16, v111
	s_waitcnt vmcnt(17)
	v_lshlrev_b32_e32 v22, 16, v112
	s_waitcnt vmcnt(16)
	v_lshlrev_b32_e32 v20, 16, v6
	s_waitcnt vmcnt(15)
	v_lshlrev_b32_e32 v19, 16, v7
	s_waitcnt vmcnt(14)
	v_lshlrev_b32_e32 v17, 16, v8
	s_waitcnt vmcnt(13)
	v_lshlrev_b32_e32 v18, 16, v9
	s_waitcnt vmcnt(12)
	v_lshlrev_b32_e32 v16, 16, v10
	s_waitcnt vmcnt(11)
	v_lshlrev_b32_e32 v10, 16, v11
	s_waitcnt vmcnt(10)
	v_lshlrev_b32_e32 v13, 16, v13
	s_waitcnt vmcnt(9)
	v_lshlrev_b32_e32 v12, 16, v12
	s_waitcnt vmcnt(8)
	v_lshlrev_b32_e32 v15, 16, v15
	s_waitcnt vmcnt(7)
	v_lshlrev_b32_e32 v14, 16, v14
	s_waitcnt vmcnt(6)
	v_lshlrev_b32_e32 v11, 16, v70
	s_waitcnt vmcnt(5)
	v_lshlrev_b32_e32 v4, 16, v71
	s_waitcnt vmcnt(4)
	v_lshlrev_b32_e32 v7, 16, v96
	s_waitcnt vmcnt(3)
	v_lshlrev_b32_e32 v6, 16, v97
	s_waitcnt vmcnt(2)
	v_lshlrev_b32_e32 v9, 16, v113
	s_waitcnt vmcnt(1)
	v_lshlrev_b32_e32 v8, 16, v36
	s_waitcnt vmcnt(0)
	v_lshlrev_b32_e32 v5, 16, v5
.LBB220_12:
	s_load_dwordx2 s[0:1], s[4:5], 0x0
	s_load_dwordx2 s[2:3], s[4:5], 0x38
	ds_read_b128 v[70:73], v3
	s_waitcnt vmcnt(15)
	v_lshlrev_b32_e32 v36, 16, v44
	ds_read_b128 v[74:77], v3 offset:16
	ds_read_b128 v[78:81], v3 offset:32
	;; [unrolled: 1-line block ×3, first 2 shown]
	s_waitcnt vmcnt(10)
	v_lshlrev_b32_e32 v37, 16, v40
	s_and_b64 vcc, exec, s[8:9]
	s_waitcnt lgkmcnt(0)
	v_fma_f32 v44, v70, v36, 0
	v_lshlrev_b32_e32 v36, 16, v43
	v_fmac_f32_e32 v44, v71, v36
	v_lshlrev_b32_e32 v36, 16, v42
	v_fmac_f32_e32 v44, v72, v36
	;; [unrolled: 2-line block ×3, first 2 shown]
	v_lshlrev_b32_e32 v36, 16, v39
	v_pk_mul_f32 v[36:37], v[74:75], v[36:37]
	v_add_f32_e32 v36, v44, v36
	v_add_f32_e32 v39, v36, v37
	s_waitcnt vmcnt(8)
	v_lshlrev_b32_e32 v37, 16, v38
	v_lshlrev_b32_e32 v36, 16, v2
	v_pk_mul_f32 v[36:37], v[76:77], v[36:37]
	v_add_f32_e32 v2, v39, v36
	v_add_f32_e32 v2, v2, v37
	s_waitcnt vmcnt(6)
	v_lshlrev_b32_e32 v37, 16, v52
	;; [unrolled: 6-line block ×5, first 2 shown]
	v_lshlrev_b32_e32 v36, 16, v45
	v_pk_mul_f32 v[36:37], v[84:85], v[36:37]
	v_add_f32_e32 v2, v2, v36
	v_add_f32_e32 v119, v2, v37
	s_cbranch_vccz .LBB220_15
; %bb.13:
	ds_read_b128 v[36:39], v3 offset:64
	v_lshlrev_b32_e32 v2, 16, v60
	ds_read_b128 v[40:43], v3 offset:80
	ds_read_b128 v[44:47], v3 offset:96
	;; [unrolled: 1-line block ×3, first 2 shown]
	s_cmpk_lt_u32 s46, 0x2001
	s_waitcnt lgkmcnt(3)
	v_fmac_f32_e32 v119, v36, v2
	v_lshlrev_b32_e32 v2, 16, v59
	v_fmac_f32_e32 v119, v37, v2
	v_lshlrev_b32_e32 v2, 16, v58
	v_fmac_f32_e32 v119, v38, v2
	v_lshlrev_b32_e32 v2, 16, v57
	v_fmac_f32_e32 v119, v39, v2
	v_lshlrev_b32_e32 v2, 16, v56
	s_waitcnt lgkmcnt(2)
	v_fmac_f32_e32 v119, v40, v2
	v_lshlrev_b32_e32 v2, 16, v55
	v_fmac_f32_e32 v119, v41, v2
	v_lshlrev_b32_e32 v2, 16, v54
	v_fmac_f32_e32 v119, v42, v2
	v_lshlrev_b32_e32 v2, 16, v53
	v_fmac_f32_e32 v119, v43, v2
	v_lshlrev_b32_e32 v2, 16, v68
	;; [unrolled: 9-line block ×3, first 2 shown]
	s_waitcnt lgkmcnt(0)
	v_fmac_f32_e32 v119, v48, v2
	v_lshlrev_b32_e32 v2, 16, v63
	v_fmac_f32_e32 v119, v49, v2
	v_lshlrev_b32_e32 v2, 16, v62
	;; [unrolled: 2-line block ×3, first 2 shown]
	v_fmac_f32_e32 v119, v51, v2
	s_cbranch_scc1 .LBB220_15
; %bb.14:
	v_mov_b32_e32 v52, 0
	ds_read_b128 v[36:39], v52 offset:128
	ds_read_b128 v[40:43], v52 offset:144
	;; [unrolled: 1-line block ×4, first 2 shown]
	s_waitcnt lgkmcnt(3)
	v_fmac_f32_e32 v119, v36, v35
	v_fmac_f32_e32 v119, v37, v33
	v_fmac_f32_e32 v119, v38, v34
	v_fmac_f32_e32 v119, v39, v31
	s_waitcnt lgkmcnt(2)
	v_fmac_f32_e32 v119, v40, v32
	v_fmac_f32_e32 v119, v41, v29
	v_fmac_f32_e32 v119, v42, v30
	v_fmac_f32_e32 v119, v43, v27
	;; [unrolled: 5-line block ×3, first 2 shown]
	s_waitcnt lgkmcnt(0)
	v_fmac_f32_e32 v119, v48, v24
	ds_read_b128 v[24:27], v52 offset:192
	v_fmac_f32_e32 v119, v49, v21
	v_fmac_f32_e32 v119, v50, v22
	v_fmac_f32_e32 v119, v51, v20
	ds_read_b128 v[20:23], v52 offset:208
	s_waitcnt lgkmcnt(1)
	v_fmac_f32_e32 v119, v24, v19
	v_fmac_f32_e32 v119, v25, v17
	;; [unrolled: 1-line block ×4, first 2 shown]
	s_waitcnt lgkmcnt(0)
	v_pk_mul_f32 v[2:3], v[20:21], v[14:15]
	ds_read_b128 v[14:17], v52 offset:224
	v_add_f32_e32 v2, v119, v2
	v_add_f32_e32 v18, v2, v3
	v_pk_mul_f32 v[2:3], v[22:23], v[12:13]
	v_add_f32_e32 v2, v18, v2
	ds_read_b128 v[18:21], v52 offset:240
	v_add_f32_e32 v12, v2, v3
	s_waitcnt lgkmcnt(1)
	v_pk_mul_f32 v[2:3], v[14:15], v[10:11]
	v_add_f32_e32 v2, v12, v2
	v_add_f32_e32 v10, v2, v3
	v_pk_mul_f32 v[2:3], v[16:17], v[8:9]
	v_add_f32_e32 v2, v10, v2
	v_add_f32_e32 v8, v2, v3
	s_waitcnt lgkmcnt(0)
	v_pk_mul_f32 v[2:3], v[18:19], v[6:7]
	v_add_f32_e32 v2, v8, v2
	v_add_f32_e32 v6, v2, v3
	v_pk_mul_f32 v[2:3], v[20:21], v[4:5]
	v_add_f32_e32 v2, v6, v2
	v_add_f32_e32 v119, v2, v3
.LBB220_15:
	s_movk_i32 s4, 0x1fc0
	s_movk_i32 s5, 0x100
	s_mov_b32 s8, 64
	s_branch .LBB220_17
.LBB220_16:                             ;   in Loop: Header=BB220_17 Depth=1
	s_addk_i32 s4, 0x1000
	s_addk_i32 s5, 0x100
	s_add_i32 s8, s8, 64
	s_cmpk_eq_u32 s4, 0x9fc0
	s_cbranch_scc1 .LBB220_19
.LBB220_17:                             ; =>This Inner Loop Header: Depth=1
	s_cmp_le_i32 s33, s8
	s_cbranch_scc1 .LBB220_16
; %bb.18:                               ;   in Loop: Header=BB220_17 Depth=1
	s_add_i32 s9, s4, 0xfffff040
	s_cmp_lt_i32 s9, s10
	s_cselect_b32 s12, s9, s11
	s_ashr_i32 s13, s12, 31
	s_lshl_b64 s[12:13], s[12:13], 1
	s_add_i32 s9, s4, 0xfffff080
	s_cmp_lt_i32 s9, s10
	v_add_co_u32_e32 v4, vcc, s12, v0
	s_cselect_b32 s12, s9, s11
	v_mov_b32_e32 v2, s13
	s_ashr_i32 s13, s12, 31
	s_lshl_b64 s[12:13], s[12:13], 1
	s_add_i32 s9, s4, 0xfffff0c0
	v_addc_co_u32_e32 v5, vcc, v1, v2, vcc
	s_cmp_lt_i32 s9, s10
	v_add_co_u32_e32 v2, vcc, s12, v0
	s_cselect_b32 s12, s9, s11
	v_mov_b32_e32 v3, s13
	s_ashr_i32 s13, s12, 31
	s_lshl_b64 s[12:13], s[12:13], 1
	s_add_i32 s9, s4, 0xfffff100
	v_addc_co_u32_e32 v3, vcc, v1, v3, vcc
	;; [unrolled: 8-line block ×21, first 2 shown]
	s_cmp_lt_i32 s9, s10
	global_load_ushort v120, v[4:5], off
	global_load_ushort v122, v[6:7], off
	;; [unrolled: 1-line block ×4, first 2 shown]
	v_add_co_u32_e32 v44, vcc, s12, v0
	s_cselect_b32 s12, s9, s11
	v_mov_b32_e32 v45, s13
	s_ashr_i32 s13, s12, 31
	s_lshl_b64 s[12:13], s[12:13], 1
	s_add_i32 s9, s4, 0xfffff600
	v_addc_co_u32_e32 v45, vcc, v1, v45, vcc
	s_cmp_lt_i32 s9, s10
	v_add_co_u32_e32 v46, vcc, s12, v0
	s_cselect_b32 s12, s9, s11
	v_mov_b32_e32 v47, s13
	s_ashr_i32 s13, s12, 31
	s_lshl_b64 s[12:13], s[12:13], 1
	s_add_i32 s9, s4, 0xfffff640
	v_addc_co_u32_e32 v47, vcc, v1, v47, vcc
	s_cmp_lt_i32 s9, s10
	;; [unrolled: 8-line block ×8, first 2 shown]
	global_load_ushort v121, v[2:3], off
	v_add_co_u32_e32 v60, vcc, s12, v0
	s_cselect_b32 s12, s9, s11
	v_mov_b32_e32 v61, s13
	s_ashr_i32 s13, s12, 31
	s_lshl_b64 s[12:13], s[12:13], 1
	s_add_i32 s9, s4, 0xfffff800
	v_addc_co_u32_e32 v61, vcc, v1, v61, vcc
	s_cmp_lt_i32 s9, s10
	v_add_co_u32_e32 v62, vcc, s12, v0
	s_cselect_b32 s12, s9, s11
	global_load_ushort v125, v[12:13], off
	global_load_ushort v126, v[14:15], off
	v_mov_b32_e32 v63, s13
	s_ashr_i32 s13, s12, 31
	global_load_ushort v127, v[16:17], off
	global_load_ushort v128, v[18:19], off
	global_load_ushort v129, v[20:21], off
	s_lshl_b64 s[12:13], s[12:13], 1
	s_add_i32 s9, s4, 0xfffff840
	v_addc_co_u32_e32 v63, vcc, v1, v63, vcc
	s_cmp_lt_i32 s9, s10
	v_add_co_u32_e32 v64, vcc, s12, v0
	s_cselect_b32 s12, s9, s11
	v_mov_b32_e32 v65, s13
	s_ashr_i32 s13, s12, 31
	s_lshl_b64 s[12:13], s[12:13], 1
	s_add_i32 s9, s4, 0xfffff880
	v_addc_co_u32_e32 v65, vcc, v1, v65, vcc
	s_cmp_lt_i32 s9, s10
	v_add_co_u32_e32 v66, vcc, s12, v0
	s_cselect_b32 s12, s9, s11
	v_mov_b32_e32 v67, s13
	s_ashr_i32 s13, s12, 31
	global_load_ushort v130, v[22:23], off
	global_load_ushort v131, v[24:25], off
	s_lshl_b64 s[12:13], s[12:13], 1
	s_add_i32 s9, s4, 0xfffff8c0
	v_addc_co_u32_e32 v67, vcc, v1, v67, vcc
	s_cmp_lt_i32 s9, s10
	global_load_ushort v132, v[26:27], off
	global_load_ushort v133, v[28:29], off
	v_add_co_u32_e32 v68, vcc, s12, v0
	s_cselect_b32 s12, s9, s11
	v_mov_b32_e32 v69, s13
	s_ashr_i32 s13, s12, 31
	s_lshl_b64 s[12:13], s[12:13], 1
	s_add_i32 s9, s4, 0xfffff900
	v_addc_co_u32_e32 v69, vcc, v1, v69, vcc
	s_cmp_lt_i32 s9, s10
	v_add_co_u32_e32 v70, vcc, s12, v0
	s_cselect_b32 s12, s9, s11
	v_mov_b32_e32 v71, s13
	s_ashr_i32 s13, s12, 31
	global_load_ushort v134, v[30:31], off
	global_load_ushort v135, v[32:33], off
	s_lshl_b64 s[12:13], s[12:13], 1
	s_add_i32 s9, s4, 0xfffff940
	v_addc_co_u32_e32 v71, vcc, v1, v71, vcc
	s_cmp_lt_i32 s9, s10
	v_add_co_u32_e32 v72, vcc, s12, v0
	s_cselect_b32 s12, s9, s11
	v_mov_b32_e32 v73, s13
	s_ashr_i32 s13, s12, 31
	s_lshl_b64 s[12:13], s[12:13], 1
	s_add_i32 s9, s4, 0xfffff980
	global_load_ushort v30, v[34:35], off
	global_load_ushort v31, v[36:37], off
	;; [unrolled: 1-line block ×4, first 2 shown]
	v_addc_co_u32_e32 v73, vcc, v1, v73, vcc
	s_cmp_lt_i32 s9, s10
	v_add_co_u32_e32 v74, vcc, s12, v0
	s_cselect_b32 s12, s9, s11
	v_mov_b32_e32 v75, s13
	s_ashr_i32 s13, s12, 31
	s_lshl_b64 s[12:13], s[12:13], 1
	s_add_i32 s9, s4, 0xfffff9c0
	v_addc_co_u32_e32 v75, vcc, v1, v75, vcc
	s_cmp_lt_i32 s9, s10
	v_add_co_u32_e32 v76, vcc, s12, v0
	s_cselect_b32 s12, s9, s11
	v_mov_b32_e32 v77, s13
	s_ashr_i32 s13, s12, 31
	s_lshl_b64 s[12:13], s[12:13], 1
	s_add_i32 s9, s4, 0xfffffa00
	v_addc_co_u32_e32 v77, vcc, v1, v77, vcc
	s_cmp_lt_i32 s9, s10
	v_add_co_u32_e32 v78, vcc, s12, v0
	s_cselect_b32 s12, s9, s11
	global_load_ushort v34, v[42:43], off
	global_load_ushort v35, v[44:45], off
	v_mov_b32_e32 v79, s13
	s_ashr_i32 s13, s12, 31
	s_lshl_b64 s[12:13], s[12:13], 1
	s_add_i32 s9, s4, 0xfffffa40
	v_addc_co_u32_e32 v79, vcc, v1, v79, vcc
	s_cmp_lt_i32 s9, s10
	v_add_co_u32_e32 v80, vcc, s12, v0
	s_cselect_b32 s12, s9, s11
	v_mov_b32_e32 v81, s13
	s_ashr_i32 s13, s12, 31
	global_load_ushort v38, v[46:47], off
	s_lshl_b64 s[12:13], s[12:13], 1
	s_add_i32 s9, s4, 0xfffffa80
	v_mov_b32_e32 v37, s5
	v_addc_co_u32_e32 v81, vcc, v1, v81, vcc
	s_cmp_lt_i32 s9, s10
	ds_read_b128 v[14:17], v37
	ds_read_b128 v[18:21], v37 offset:16
	global_load_ushort v39, v[48:49], off
	v_add_co_u32_e32 v82, vcc, s12, v0
	s_cselect_b32 s12, s9, s11
	v_mov_b32_e32 v83, s13
	s_ashr_i32 s13, s12, 31
	s_lshl_b64 s[12:13], s[12:13], 1
	s_add_i32 s9, s4, 0xfffffac0
	v_addc_co_u32_e32 v83, vcc, v1, v83, vcc
	s_cmp_lt_i32 s9, s10
	s_waitcnt vmcnt(23)
	v_lshlrev_b32_e32 v36, 16, v120
	v_add_co_u32_e32 v84, vcc, s12, v0
	s_cselect_b32 s12, s9, s11
	ds_read_b128 v[22:25], v37 offset:32
	ds_read_b128 v[26:29], v37 offset:48
	s_waitcnt lgkmcnt(3)
	v_fmac_f32_e32 v119, v14, v36
	global_load_ushort v36, v[50:51], off
	global_load_ushort v40, v[52:53], off
	;; [unrolled: 1-line block ×6, first 2 shown]
	v_mov_b32_e32 v85, s13
	s_ashr_i32 s13, s12, 31
	s_lshl_b64 s[12:13], s[12:13], 1
	s_add_i32 s9, s4, 0xfffffb00
	v_addc_co_u32_e32 v85, vcc, v1, v85, vcc
	s_cmp_lt_i32 s9, s10
	v_add_co_u32_e32 v86, vcc, s12, v0
	s_cselect_b32 s12, s9, s11
	v_mov_b32_e32 v87, s13
	s_ashr_i32 s13, s12, 31
	s_lshl_b64 s[12:13], s[12:13], 1
	s_add_i32 s9, s4, 0xfffffb40
	v_addc_co_u32_e32 v87, vcc, v1, v87, vcc
	s_cmp_lt_i32 s9, s10
	v_add_co_u32_e32 v88, vcc, s12, v0
	s_cselect_b32 s12, s9, s11
	;; [unrolled: 8-line block ×7, first 2 shown]
	v_mov_b32_e32 v99, s13
	s_ashr_i32 s13, s12, 31
	s_lshl_b64 s[12:13], s[12:13], 1
	s_add_i32 s9, s4, 0xfffffcc0
	v_addc_co_u32_e32 v99, vcc, v1, v99, vcc
	s_cmp_lt_i32 s9, s10
	s_waitcnt vmcnt(25)
	v_lshlrev_b32_e32 v14, 16, v121
	v_add_co_u32_e32 v100, vcc, s12, v0
	s_cselect_b32 s12, s9, s11
	v_fmac_f32_e32 v119, v15, v14
	v_lshlrev_b32_e32 v14, 16, v122
	v_mov_b32_e32 v101, s13
	s_ashr_i32 s13, s12, 31
	v_fmac_f32_e32 v119, v16, v14
	v_lshlrev_b32_e32 v14, 16, v123
	s_lshl_b64 s[12:13], s[12:13], 1
	s_add_i32 s9, s4, 0xfffffd00
	v_fmac_f32_e32 v119, v17, v14
	v_lshlrev_b32_e32 v14, 16, v124
	v_addc_co_u32_e32 v101, vcc, v1, v101, vcc
	s_cmp_lt_i32 s9, s10
	s_waitcnt lgkmcnt(2)
	v_fmac_f32_e32 v119, v18, v14
	s_waitcnt vmcnt(24)
	v_lshlrev_b32_e32 v14, 16, v125
	v_add_co_u32_e32 v102, vcc, s12, v0
	s_cselect_b32 s12, s9, s11
	v_fmac_f32_e32 v119, v19, v14
	s_waitcnt vmcnt(23)
	v_lshlrev_b32_e32 v14, 16, v126
	v_mov_b32_e32 v103, s13
	s_ashr_i32 s13, s12, 31
	v_fmac_f32_e32 v119, v20, v14
	s_waitcnt vmcnt(22)
	v_lshlrev_b32_e32 v14, 16, v127
	s_lshl_b64 s[12:13], s[12:13], 1
	s_add_i32 s9, s4, 0xfffffd40
	v_fmac_f32_e32 v119, v21, v14
	s_waitcnt vmcnt(21)
	v_lshlrev_b32_e32 v14, 16, v128
	v_addc_co_u32_e32 v103, vcc, v1, v103, vcc
	s_cmp_lt_i32 s9, s10
	s_waitcnt lgkmcnt(1)
	v_fmac_f32_e32 v119, v22, v14
	global_load_ushort v22, v[62:63], off
	v_add_co_u32_e32 v104, vcc, s12, v0
	s_cselect_b32 s12, s9, s11
	v_mov_b32_e32 v105, s13
	s_ashr_i32 s13, s12, 31
	s_lshl_b64 s[12:13], s[12:13], 1
	s_add_i32 s9, s4, 0xfffffd80
	s_waitcnt vmcnt(21)
	v_lshlrev_b32_e32 v14, 16, v129
	v_addc_co_u32_e32 v105, vcc, v1, v105, vcc
	s_cmp_lt_i32 s9, s10
	v_fmac_f32_e32 v119, v23, v14
	global_load_ushort v23, v[64:65], off
	v_add_co_u32_e32 v106, vcc, s12, v0
	s_cselect_b32 s12, s9, s11
	s_waitcnt vmcnt(21)
	v_lshlrev_b32_e32 v14, 16, v130
	global_load_ushort v45, v[66:67], off
	v_mov_b32_e32 v107, s13
	s_ashr_i32 s13, s12, 31
	v_fmac_f32_e32 v119, v24, v14
	global_load_ushort v24, v[68:69], off
	s_waitcnt vmcnt(22)
	v_lshlrev_b32_e32 v14, 16, v131
	s_lshl_b64 s[12:13], s[12:13], 1
	s_add_i32 s9, s4, 0xfffffdc0
	v_fmac_f32_e32 v119, v25, v14
	global_load_ushort v25, v[70:71], off
	global_load_ushort v46, v[72:73], off
	v_addc_co_u32_e32 v107, vcc, v1, v107, vcc
	s_cmp_lt_i32 s9, s10
	s_waitcnt vmcnt(23)
	v_lshlrev_b32_e32 v14, 16, v132
	v_add_co_u32_e32 v110, vcc, s12, v0
	s_cselect_b32 s12, s9, s11
	s_waitcnt lgkmcnt(0)
	v_fmac_f32_e32 v119, v26, v14
	global_load_ushort v26, v[74:75], off
	global_load_ushort v47, v[76:77], off
	v_mov_b32_e32 v108, s13
	s_ashr_i32 s13, s12, 31
	s_waitcnt vmcnt(24)
	v_lshlrev_b32_e32 v14, 16, v133
	s_lshl_b64 s[12:13], s[12:13], 1
	s_add_i32 s9, s4, 0xfffffe00
	v_fmac_f32_e32 v119, v27, v14
	global_load_ushort v27, v[78:79], off
	v_addc_co_u32_e32 v111, vcc, v1, v108, vcc
	s_cmp_lt_i32 s9, s10
	v_add_co_u32_e32 v108, vcc, s12, v0
	s_cselect_b32 s12, s9, s11
	s_waitcnt vmcnt(24)
	v_lshlrev_b32_e32 v14, 16, v134
	v_mov_b32_e32 v109, s13
	s_ashr_i32 s13, s12, 31
	v_fmac_f32_e32 v119, v28, v14
	global_load_ushort v28, v[80:81], off
	s_waitcnt vmcnt(24)
	v_lshlrev_b32_e32 v14, 16, v135
	s_lshl_b64 s[12:13], s[12:13], 1
	s_add_i32 s9, s4, 0xfffffe40
	v_fmac_f32_e32 v119, v29, v14
	ds_read_b128 v[14:17], v37 offset:64
	ds_read_b128 v[18:21], v37 offset:80
	v_addc_co_u32_e32 v109, vcc, v1, v109, vcc
	s_cmp_lt_i32 s9, s10
	global_load_ushort v48, v[82:83], off
	global_load_ushort v29, v[84:85], off
	global_load_ushort v49, v[86:87], off
	global_load_ushort v50, v[88:89], off
	v_add_co_u32_e32 v114, vcc, s12, v0
	s_cselect_b32 s12, s9, s11
	v_mov_b32_e32 v112, s13
	s_ashr_i32 s13, s12, 31
	s_lshl_b64 s[12:13], s[12:13], 1
	s_add_i32 s9, s4, 0xfffffe80
	s_waitcnt vmcnt(27)
	v_lshlrev_b32_e32 v30, 16, v30
	v_addc_co_u32_e32 v115, vcc, v1, v112, vcc
	s_cmp_lt_i32 s9, s10
	s_waitcnt lgkmcnt(1)
	v_fmac_f32_e32 v119, v14, v30
	global_load_ushort v30, v[90:91], off
	v_add_co_u32_e32 v112, vcc, s12, v0
	s_cselect_b32 s12, s9, s11
	s_waitcnt vmcnt(27)
	v_lshlrev_b32_e32 v14, 16, v31
	global_load_ushort v31, v[92:93], off
	global_load_ushort v51, v[94:95], off
	v_mov_b32_e32 v113, s13
	s_ashr_i32 s13, s12, 31
	s_lshl_b64 s[12:13], s[12:13], 1
	s_add_i32 s9, s4, 0xfffffec0
	v_addc_co_u32_e32 v113, vcc, v1, v113, vcc
	s_cmp_lt_i32 s9, s10
	v_add_co_u32_e32 v116, vcc, s12, v0
	s_cselect_b32 s12, s9, s11
	v_mov_b32_e32 v117, s13
	s_ashr_i32 s13, s12, 31
	v_fmac_f32_e32 v119, v15, v14
	s_waitcnt vmcnt(28)
	v_lshlrev_b32_e32 v14, 16, v32
	global_load_ushort v32, v[96:97], off
	s_lshl_b64 s[12:13], s[12:13], 1
	s_add_i32 s9, s4, 0xffffff00
	v_fmac_f32_e32 v119, v16, v14
	s_waitcnt vmcnt(28)
	v_lshlrev_b32_e32 v14, 16, v33
	global_load_ushort v33, v[98:99], off
	v_addc_co_u32_e32 v117, vcc, v1, v117, vcc
	s_cmp_lt_i32 s9, s10
	v_fmac_f32_e32 v119, v17, v14
	s_waitcnt vmcnt(28)
	v_lshlrev_b32_e32 v14, 16, v34
	global_load_ushort v34, v[100:101], off
	global_load_ushort v52, v[102:103], off
	v_add_co_u32_e32 v2, vcc, s12, v0
	s_cselect_b32 s12, s9, s11
	v_mov_b32_e32 v4, s13
	s_ashr_i32 s13, s12, 31
	s_lshl_b64 s[12:13], s[12:13], 1
	s_add_i32 s9, s4, 0xffffff40
	s_waitcnt lgkmcnt(0)
	v_fmac_f32_e32 v119, v18, v14
	s_waitcnt vmcnt(29)
	v_lshlrev_b32_e32 v14, 16, v35
	global_load_ushort v35, v[104:105], off
	global_load_ushort v53, v[106:107], off
	;; [unrolled: 1-line block ×3, first 2 shown]
	v_addc_co_u32_e32 v3, vcc, v1, v4, vcc
	s_cmp_lt_i32 s9, s10
	v_add_co_u32_e32 v4, vcc, s12, v0
	s_cselect_b32 s12, s9, s11
	v_mov_b32_e32 v5, s13
	s_ashr_i32 s13, s12, 31
	v_fmac_f32_e32 v119, v19, v14
	s_waitcnt vmcnt(31)
	v_lshlrev_b32_e32 v14, 16, v38
	global_load_ushort v38, v[108:109], off
	global_load_ushort v55, v[114:115], off
	s_lshl_b64 s[12:13], s[12:13], 1
	s_add_i32 s9, s4, 0xffffff80
	v_addc_co_u32_e32 v5, vcc, v1, v5, vcc
	s_cmp_lt_i32 s9, s10
	v_fmac_f32_e32 v119, v20, v14
	s_waitcnt vmcnt(32)
	v_lshlrev_b32_e32 v14, 16, v39
	v_add_co_u32_e32 v6, vcc, s12, v0
	s_cselect_b32 s12, s9, s11
	v_fmac_f32_e32 v119, v21, v14
	ds_read_b128 v[14:17], v37 offset:96
	v_mov_b32_e32 v7, s13
	s_ashr_i32 s13, s12, 31
	s_lshl_b64 s[12:13], s[12:13], 1
	s_sub_i32 s9, s4, 64
	v_addc_co_u32_e32 v7, vcc, v1, v7, vcc
	s_cmp_lt_i32 s9, s10
	global_load_ushort v39, v[112:113], off
	global_load_ushort v56, v[116:117], off
	v_add_co_u32_e32 v10, vcc, s12, v0
	s_cselect_b32 s12, s9, s11
	s_waitcnt vmcnt(33)
	v_lshlrev_b32_e32 v36, 16, v36
	v_mov_b32_e32 v8, s13
	s_ashr_i32 s13, s12, 31
	s_waitcnt lgkmcnt(0)
	v_fmac_f32_e32 v119, v14, v36
	s_waitcnt vmcnt(32)
	v_lshlrev_b32_e32 v14, 16, v40
	s_lshl_b64 s[12:13], s[12:13], 1
	ds_read_b128 v[18:21], v37 offset:112
	v_fmac_f32_e32 v119, v15, v14
	global_load_ushort v14, v[2:3], off
	global_load_ushort v15, v[4:5], off
	v_addc_co_u32_e32 v11, vcc, v1, v8, vcc
	s_cmp_lt_i32 s4, s10
	v_add_co_u32_e32 v8, vcc, s12, v0
	s_cselect_b32 s12, s4, s11
	s_waitcnt vmcnt(33)
	v_lshlrev_b32_e32 v2, 16, v41
	v_mov_b32_e32 v9, s13
	s_ashr_i32 s13, s12, 31
	v_fmac_f32_e32 v119, v16, v2
	global_load_ushort v16, v[6:7], off
	global_load_ushort v36, v[10:11], off
	v_addc_co_u32_e32 v9, vcc, v1, v9, vcc
	s_lshl_b64 s[12:13], s[12:13], 1
	s_waitcnt vmcnt(34)
	v_lshlrev_b32_e32 v2, 16, v42
	v_mov_b32_e32 v13, s13
	v_add_co_u32_e32 v12, vcc, s12, v0
	v_fmac_f32_e32 v119, v17, v2
	s_waitcnt vmcnt(33)
	v_lshlrev_b32_e32 v2, 16, v43
	v_addc_co_u32_e32 v13, vcc, v1, v13, vcc
	s_waitcnt lgkmcnt(0)
	v_fmac_f32_e32 v119, v18, v2
	global_load_ushort v17, v[8:9], off
	global_load_ushort v18, v[12:13], off
	s_waitcnt vmcnt(34)
	v_lshlrev_b32_e32 v2, 16, v44
	v_fmac_f32_e32 v119, v19, v2
	s_waitcnt vmcnt(33)
	v_lshlrev_b32_e32 v2, 16, v22
	v_fmac_f32_e32 v119, v20, v2
	ds_read_b128 v[2:5], v37 offset:128
	s_waitcnt vmcnt(32)
	v_lshlrev_b32_e32 v6, 16, v23
	v_fmac_f32_e32 v119, v21, v6
	ds_read_b128 v[6:9], v37 offset:144
	s_waitcnt vmcnt(31)
	v_lshlrev_b32_e32 v10, 16, v45
	s_waitcnt lgkmcnt(1)
	v_fmac_f32_e32 v119, v2, v10
	s_waitcnt vmcnt(30)
	v_lshlrev_b32_e32 v2, 16, v24
	v_fmac_f32_e32 v119, v3, v2
	s_waitcnt vmcnt(29)
	v_lshlrev_b32_e32 v2, 16, v25
	;; [unrolled: 3-line block ×4, first 2 shown]
	s_waitcnt lgkmcnt(0)
	v_fmac_f32_e32 v119, v6, v2
	s_waitcnt vmcnt(26)
	v_lshlrev_b32_e32 v2, 16, v47
	v_fmac_f32_e32 v119, v7, v2
	s_waitcnt vmcnt(25)
	v_lshlrev_b32_e32 v2, 16, v27
	v_fmac_f32_e32 v119, v8, v2
	ds_read_b128 v[2:5], v37 offset:160
	s_waitcnt vmcnt(24)
	v_lshlrev_b32_e32 v6, 16, v28
	v_fmac_f32_e32 v119, v9, v6
	ds_read_b128 v[6:9], v37 offset:176
	s_waitcnt vmcnt(23)
	v_lshlrev_b32_e32 v10, 16, v48
	s_waitcnt lgkmcnt(1)
	v_fmac_f32_e32 v119, v2, v10
	s_waitcnt vmcnt(22)
	v_lshlrev_b32_e32 v2, 16, v29
	v_fmac_f32_e32 v119, v3, v2
	s_waitcnt vmcnt(21)
	v_lshlrev_b32_e32 v2, 16, v49
	;; [unrolled: 3-line block ×4, first 2 shown]
	s_waitcnt lgkmcnt(0)
	v_fmac_f32_e32 v119, v6, v2
	s_waitcnt vmcnt(18)
	v_lshlrev_b32_e32 v2, 16, v31
	v_fmac_f32_e32 v119, v7, v2
	s_waitcnt vmcnt(17)
	v_lshlrev_b32_e32 v2, 16, v51
	v_fmac_f32_e32 v119, v8, v2
	ds_read_b128 v[2:5], v37 offset:192
	s_waitcnt vmcnt(16)
	v_lshlrev_b32_e32 v6, 16, v32
	v_fmac_f32_e32 v119, v9, v6
	ds_read_b128 v[6:9], v37 offset:208
	s_waitcnt vmcnt(15)
	v_lshlrev_b32_e32 v10, 16, v33
	s_waitcnt lgkmcnt(1)
	v_fmac_f32_e32 v119, v2, v10
	s_waitcnt vmcnt(14)
	v_lshlrev_b32_e32 v2, 16, v34
	v_fmac_f32_e32 v119, v3, v2
	s_waitcnt vmcnt(13)
	v_lshlrev_b32_e32 v2, 16, v52
	;; [unrolled: 3-line block ×4, first 2 shown]
	v_lshlrev_b32_e32 v2, 16, v53
	s_waitcnt lgkmcnt(0)
	v_pk_mul_f32 v[2:3], v[6:7], v[2:3]
	v_add_f32_e32 v2, v119, v2
	v_add_f32_e32 v4, v2, v3
	s_waitcnt vmcnt(8)
	v_lshlrev_b32_e32 v3, 16, v55
	v_lshlrev_b32_e32 v2, 16, v38
	v_pk_mul_f32 v[6:7], v[8:9], v[2:3]
	v_add_f32_e32 v6, v4, v6
	ds_read_b128 v[2:5], v37 offset:224
	s_waitcnt vmcnt(6)
	v_lshlrev_b32_e32 v11, 16, v56
	v_lshlrev_b32_e32 v10, 16, v39
	v_add_f32_e32 v12, v6, v7
	ds_read_b128 v[6:9], v37 offset:240
	s_waitcnt lgkmcnt(1)
	v_pk_mul_f32 v[2:3], v[2:3], v[10:11]
	v_add_f32_e32 v2, v12, v2
	v_add_f32_e32 v10, v2, v3
	s_waitcnt vmcnt(4)
	v_lshlrev_b32_e32 v3, 16, v15
	v_lshlrev_b32_e32 v2, 16, v14
	v_pk_mul_f32 v[2:3], v[4:5], v[2:3]
	v_add_f32_e32 v2, v10, v2
	v_add_f32_e32 v4, v2, v3
	s_waitcnt vmcnt(2)
	v_lshlrev_b32_e32 v3, 16, v36
	v_lshlrev_b32_e32 v2, 16, v16
	s_waitcnt lgkmcnt(0)
	v_pk_mul_f32 v[2:3], v[6:7], v[2:3]
	v_add_f32_e32 v2, v4, v2
	v_add_f32_e32 v4, v2, v3
	s_waitcnt vmcnt(0)
	v_lshlrev_b32_e32 v3, 16, v18
	v_lshlrev_b32_e32 v2, 16, v17
	v_pk_mul_f32 v[2:3], v[8:9], v[2:3]
	v_add_f32_e32 v2, v4, v2
	v_add_f32_e32 v119, v2, v3
	s_branch .LBB220_16
.LBB220_19:
	v_mov_b32_e32 v0, 0
	ds_read_b32 v0, v0 offset:2304
	s_cmp_lg_u64 s[2:3], 0
	s_cbranch_scc0 .LBB220_28
; %bb.20:
	s_load_dword s4, s[2:3], 0x0
	s_waitcnt lgkmcnt(0)
	v_div_scale_f32 v1, s[2:3], s4, s4, 1.0
	v_rcp_f32_e32 v2, v1
	v_div_scale_f32 v3, vcc, 1.0, s4, 1.0
	v_fma_f32 v4, -v1, v2, 1.0
	v_fmac_f32_e32 v2, v4, v2
	v_mul_f32_e32 v4, v3, v2
	v_fma_f32 v5, -v1, v4, v3
	v_fmac_f32_e32 v4, v5, v2
	v_fma_f32 v1, -v1, v4, v3
	v_div_fmas_f32 v1, v1, v2, v4
	v_div_fixup_f32 v1, v1, s4, 1.0
	s_andn2_b64 vcc, exec, s[36:37]
	s_cbranch_vccnz .LBB220_22
.LBB220_21:
	s_add_u32 s2, s34, s38
	s_addc_u32 s3, s35, s39
	s_load_dword s22, s[2:3], 0x0
	s_mov_b32 s23, 0
.LBB220_22:
	s_waitcnt lgkmcnt(0)
	v_add_f32_e32 v0, 0x358637bd, v0
	v_div_scale_f32 v2, s[2:3], v0, v0, 1.0
	v_rcp_f32_e32 v3, v2
	v_div_scale_f32 v4, vcc, 1.0, v0, 1.0
	s_mov_b32 s2, 0x7f800000
	v_fma_f32 v5, -v2, v3, 1.0
	v_fmac_f32_e32 v3, v5, v3
	v_mul_f32_e32 v5, v4, v3
	v_fma_f32 v6, -v2, v5, v4
	v_fmac_f32_e32 v5, v6, v3
	v_fma_f32 v2, -v2, v5, v4
	v_div_fmas_f32 v2, v2, v3, v5
	v_div_fixup_f32 v0, v2, v0, 1.0
	v_mul_f32_e32 v0, v119, v0
	v_mul_f32_e32 v1, v0, v1
	v_and_b32_e32 v0, 0x7f800000, v1
	v_cmp_ne_u32_e32 vcc, s2, v0
                                        ; implicit-def: $vgpr0
	s_and_saveexec_b64 s[2:3], vcc
	s_xor_b64 s[2:3], exec, s[2:3]
; %bb.23:
	v_bfe_u32 v0, v1, 16, 1
	s_movk_i32 s4, 0x7fff
	v_add3_u32 v0, v1, v0, s4
                                        ; implicit-def: $vgpr1
; %bb.24:
	s_andn2_saveexec_b64 s[2:3], s[2:3]
; %bb.25:
	v_mov_b32_e32 v0, 0
	v_or_b32_e32 v2, 0x10000, v1
	v_cmp_eq_u32_sdwa vcc, v1, v0 src0_sel:WORD_0 src1_sel:DWORD
	v_cndmask_b32_e32 v0, v2, v1, vcc
; %bb.26:
	s_or_b64 exec, exec, s[2:3]
	s_mul_i32 s2, s7, s23
	s_mul_hi_u32 s3, s7, s22
	s_add_i32 s3, s3, s2
	s_mul_i32 s2, s7, s22
	s_lshl_b64 s[2:3], s[2:3], 7
	s_add_u32 s2, s0, s2
	s_mov_b32 s7, 0
	s_addc_u32 s3, s1, s3
	s_lshl_b64 s[0:1], s[6:7], 7
	s_add_u32 s0, s2, s0
	s_addc_u32 s1, s3, s1
	global_store_short_d16_hi v118, v0, s[0:1]
	s_endpgm
.LBB220_27:
	s_mov_b64 s[2:3], 0
	s_branch .LBB220_2
.LBB220_28:
	v_mov_b32_e32 v1, 1.0
	s_andn2_b64 vcc, exec, s[36:37]
	s_cbranch_vccz .LBB220_21
	s_branch .LBB220_22
	.section	.rodata,"a",@progbits
	.p2align	6, 0x0
	.amdhsa_kernel _Z35paged_attention_ll4mi_reduce_kernelI14__hip_bfloat16S0_Li64ELi64ELi256ELi9EEvPT0_PKfS4_PKT_PKiS9_iS4_
		.amdhsa_group_segment_fixed_size 2308
		.amdhsa_private_segment_fixed_size 0
		.amdhsa_kernarg_size 320
		.amdhsa_user_sgpr_count 6
		.amdhsa_user_sgpr_private_segment_buffer 1
		.amdhsa_user_sgpr_dispatch_ptr 0
		.amdhsa_user_sgpr_queue_ptr 0
		.amdhsa_user_sgpr_kernarg_segment_ptr 1
		.amdhsa_user_sgpr_dispatch_id 0
		.amdhsa_user_sgpr_flat_scratch_init 0
		.amdhsa_user_sgpr_kernarg_preload_length 0
		.amdhsa_user_sgpr_kernarg_preload_offset 0
		.amdhsa_user_sgpr_private_segment_size 0
		.amdhsa_uses_dynamic_stack 0
		.amdhsa_system_sgpr_private_segment_wavefront_offset 0
		.amdhsa_system_sgpr_workgroup_id_x 1
		.amdhsa_system_sgpr_workgroup_id_y 1
		.amdhsa_system_sgpr_workgroup_id_z 0
		.amdhsa_system_sgpr_workgroup_info 0
		.amdhsa_system_vgpr_workitem_id 0
		.amdhsa_next_free_vgpr 136
		.amdhsa_next_free_sgpr 47
		.amdhsa_accum_offset 136
		.amdhsa_reserve_vcc 1
		.amdhsa_reserve_flat_scratch 0
		.amdhsa_float_round_mode_32 0
		.amdhsa_float_round_mode_16_64 0
		.amdhsa_float_denorm_mode_32 3
		.amdhsa_float_denorm_mode_16_64 3
		.amdhsa_dx10_clamp 1
		.amdhsa_ieee_mode 1
		.amdhsa_fp16_overflow 0
		.amdhsa_tg_split 0
		.amdhsa_exception_fp_ieee_invalid_op 0
		.amdhsa_exception_fp_denorm_src 0
		.amdhsa_exception_fp_ieee_div_zero 0
		.amdhsa_exception_fp_ieee_overflow 0
		.amdhsa_exception_fp_ieee_underflow 0
		.amdhsa_exception_fp_ieee_inexact 0
		.amdhsa_exception_int_div_zero 0
	.end_amdhsa_kernel
	.section	.text._Z35paged_attention_ll4mi_reduce_kernelI14__hip_bfloat16S0_Li64ELi64ELi256ELi9EEvPT0_PKfS4_PKT_PKiS9_iS4_,"axG",@progbits,_Z35paged_attention_ll4mi_reduce_kernelI14__hip_bfloat16S0_Li64ELi64ELi256ELi9EEvPT0_PKfS4_PKT_PKiS9_iS4_,comdat
.Lfunc_end220:
	.size	_Z35paged_attention_ll4mi_reduce_kernelI14__hip_bfloat16S0_Li64ELi64ELi256ELi9EEvPT0_PKfS4_PKT_PKiS9_iS4_, .Lfunc_end220-_Z35paged_attention_ll4mi_reduce_kernelI14__hip_bfloat16S0_Li64ELi64ELi256ELi9EEvPT0_PKfS4_PKT_PKiS9_iS4_
                                        ; -- End function
	.section	.AMDGPU.csdata,"",@progbits
; Kernel info:
; codeLenInByte = 10708
; NumSgprs: 51
; NumVgprs: 136
; NumAgprs: 0
; TotalNumVgprs: 136
; ScratchSize: 0
; MemoryBound: 0
; FloatMode: 240
; IeeeMode: 1
; LDSByteSize: 2308 bytes/workgroup (compile time only)
; SGPRBlocks: 6
; VGPRBlocks: 16
; NumSGPRsForWavesPerEU: 51
; NumVGPRsForWavesPerEU: 136
; AccumOffset: 136
; Occupancy: 3
; WaveLimiterHint : 1
; COMPUTE_PGM_RSRC2:SCRATCH_EN: 0
; COMPUTE_PGM_RSRC2:USER_SGPR: 6
; COMPUTE_PGM_RSRC2:TRAP_HANDLER: 0
; COMPUTE_PGM_RSRC2:TGID_X_EN: 1
; COMPUTE_PGM_RSRC2:TGID_Y_EN: 1
; COMPUTE_PGM_RSRC2:TGID_Z_EN: 0
; COMPUTE_PGM_RSRC2:TIDIG_COMP_CNT: 0
; COMPUTE_PGM_RSRC3_GFX90A:ACCUM_OFFSET: 33
; COMPUTE_PGM_RSRC3_GFX90A:TG_SPLIT: 0
	.section	.text._Z35paged_attention_ll4mi_reduce_kernelI14__hip_bfloat16S0_Li64ELi64ELi256ELi10EEvPT0_PKfS4_PKT_PKiS9_iS4_,"axG",@progbits,_Z35paged_attention_ll4mi_reduce_kernelI14__hip_bfloat16S0_Li64ELi64ELi256ELi10EEvPT0_PKfS4_PKT_PKiS9_iS4_,comdat
	.protected	_Z35paged_attention_ll4mi_reduce_kernelI14__hip_bfloat16S0_Li64ELi64ELi256ELi10EEvPT0_PKfS4_PKT_PKiS9_iS4_ ; -- Begin function _Z35paged_attention_ll4mi_reduce_kernelI14__hip_bfloat16S0_Li64ELi64ELi256ELi10EEvPT0_PKfS4_PKT_PKiS9_iS4_
	.globl	_Z35paged_attention_ll4mi_reduce_kernelI14__hip_bfloat16S0_Li64ELi64ELi256ELi10EEvPT0_PKfS4_PKT_PKiS9_iS4_
	.p2align	8
	.type	_Z35paged_attention_ll4mi_reduce_kernelI14__hip_bfloat16S0_Li64ELi64ELi256ELi10EEvPT0_PKfS4_PKT_PKiS9_iS4_,@function
_Z35paged_attention_ll4mi_reduce_kernelI14__hip_bfloat16S0_Li64ELi64ELi256ELi10EEvPT0_PKfS4_PKT_PKiS9_iS4_: ; @_Z35paged_attention_ll4mi_reduce_kernelI14__hip_bfloat16S0_Li64ELi64ELi256ELi10EEvPT0_PKfS4_PKT_PKiS9_iS4_
; %bb.0:
	s_load_dwordx2 s[36:37], s[4:5], 0x28
	s_mov_b32 s34, s7
	s_mov_b64 s[0:1], 0
	s_waitcnt lgkmcnt(0)
	s_cmp_lg_u64 s[36:37], 0
	s_cselect_b64 s[38:39], -1, 0
	s_and_b64 vcc, exec, s[38:39]
	s_cbranch_vccz .LBB221_27
; %bb.1:
	s_add_i32 s2, s34, 1
	s_mov_b32 s3, 0
	s_lshl_b64 s[8:9], s[2:3], 2
	s_add_u32 s8, s36, s8
	s_mov_b32 s35, s3
	s_addc_u32 s9, s37, s9
	s_lshl_b64 s[2:3], s[34:35], 2
	s_add_u32 s2, s36, s2
	s_addc_u32 s3, s37, s3
	s_load_dword s7, s[8:9], 0x0
	s_load_dword s10, s[2:3], 0x0
	s_waitcnt lgkmcnt(0)
	s_sub_i32 s2, s7, s10
	s_cmp_eq_u32 s2, 1
	s_cselect_b64 s[2:3], -1, 0
	s_andn2_b64 vcc, exec, s[0:1]
	s_cbranch_vccnz .LBB221_3
.LBB221_2:
	s_mov_b32 s35, 0
	s_mov_b64 s[2:3], -1
.LBB221_3:
	s_andn2_b64 vcc, exec, s[2:3]
	s_cbranch_vccz .LBB221_5
; %bb.4:
	s_endpgm
.LBB221_5:
	s_load_dwordx4 s[24:27], s[4:5], 0x18
	s_load_dword s8, s[4:5], 0x30
	s_lshl_b64 s[40:41], s[34:35], 2
	v_cmp_lt_u32_e32 vcc, 63, v0
	s_waitcnt lgkmcnt(0)
	s_add_u32 s0, s26, s40
	s_addc_u32 s1, s27, s41
	s_load_dword s48, s[0:1], 0x0
	s_load_dword s7, s[4:5], 0x40
	s_mul_i32 s26, s6, s8
	s_mul_i32 s2, s34, s8
	s_waitcnt lgkmcnt(0)
	s_add_i32 s3, s48, 0xff
	s_ashr_i32 s0, s3, 31
	s_lshr_b32 s0, s0, 24
	s_add_i32 s3, s3, s0
	s_and_saveexec_b64 s[0:1], vcc
	s_xor_b64 s[0:1], exec, s[0:1]
	s_or_saveexec_b64 s[42:43], s[0:1]
	s_ashr_i32 s33, s3, 8
	v_mov_b32_e32 v1, s26
	s_mul_i32 s44, s2, s7
	s_xor_b64 exec, exec, s[42:43]
	s_cbranch_execz .LBB221_9
; %bb.6:
	s_add_i32 s0, s33, -1
	v_or_b32_e32 v3, 64, v0
	v_mov_b32_e32 v1, s0
	v_cmp_gt_u32_e64 s[18:19], s33, v3
	v_cndmask_b32_e64 v4, v1, v3, s[18:19]
	v_or_b32_e32 v3, 0x80, v0
	v_cmp_gt_u32_e64 s[16:17], s33, v3
	v_cndmask_b32_e64 v6, v1, v3, s[16:17]
	v_or_b32_e32 v3, 0xc0, v0
	;; [unrolled: 3-line block ×5, first 2 shown]
	s_load_dwordx4 s[28:31], s[4:5], 0x8
	v_cmp_gt_u32_e64 s[8:9], s33, v3
	v_cndmask_b32_e64 v14, v1, v3, s[8:9]
	v_or_b32_e32 v3, 0x1c0, v0
	v_cmp_gt_u32_e64 s[2:3], s33, v3
	s_mov_b32 s45, 0
	v_cndmask_b32_e64 v16, v1, v3, s[2:3]
	v_or_b32_e32 v3, 0x200, v0
	v_cmp_gt_u32_e64 s[0:1], s33, v3
	s_lshl_b64 s[46:47], s[44:45], 2
	s_mov_b32 s27, s45
	v_cmp_gt_u32_e64 s[20:21], s33, v0
	v_cndmask_b32_e64 v18, v1, v3, s[0:1]
	v_or_b32_e32 v3, 0x240, v0
	s_waitcnt lgkmcnt(0)
	s_add_u32 s22, s30, s46
	v_cndmask_b32_e64 v2, v1, v0, s[20:21]
	v_cmp_gt_u32_e32 vcc, s33, v3
	s_addc_u32 s23, s31, s47
	s_lshl_b64 s[30:31], s[26:27], 2
	v_cndmask_b32_e32 v20, v1, v3, vcc
	s_add_u32 s27, s22, s30
	v_ashrrev_i32_e32 v3, 31, v2
	s_addc_u32 s45, s23, s31
	v_lshlrev_b64 v[2:3], 2, v[2:3]
	v_mov_b32_e32 v1, s45
	v_add_co_u32_e64 v22, s[22:23], s27, v2
	v_ashrrev_i32_e32 v5, 31, v4
	v_addc_co_u32_e64 v23, s[22:23], v1, v3, s[22:23]
	v_lshlrev_b64 v[4:5], 2, v[4:5]
	v_add_co_u32_e64 v24, s[22:23], s27, v4
	v_ashrrev_i32_e32 v7, 31, v6
	v_addc_co_u32_e64 v25, s[22:23], v1, v5, s[22:23]
	v_lshlrev_b64 v[6:7], 2, v[6:7]
	;; [unrolled: 4-line block ×8, first 2 shown]
	global_load_dword v1, v[22:23], off
	global_load_dword v38, v[24:25], off
	s_nop 0
	global_load_dword v26, v[26:27], off
	s_nop 0
	;; [unrolled: 2-line block ×3, first 2 shown]
	global_load_dword v28, v[30:31], off
	global_load_dword v29, v[32:33], off
	s_nop 0
	global_load_dword v30, v[34:35], off
	global_load_dword v31, v[36:37], off
	v_mov_b32_e32 v21, s45
	v_add_co_u32_e64 v22, s[22:23], s27, v18
	v_addc_co_u32_e64 v23, s[22:23], v21, v19, s[22:23]
	v_ashrrev_i32_e32 v21, 31, v20
	v_lshlrev_b64 v[20:21], 2, v[20:21]
	v_mov_b32_e32 v25, s45
	v_add_co_u32_e64 v24, s[22:23], s27, v20
	v_addc_co_u32_e64 v25, s[22:23], v25, v21, s[22:23]
	global_load_dword v22, v[22:23], off
	s_nop 0
	global_load_dword v23, v[24:25], off
	s_waitcnt vmcnt(9)
	v_max_f32_e32 v25, v1, v1
	s_waitcnt vmcnt(8)
	v_max_f32_e32 v24, v38, v38
	v_max_f32_e32 v24, v25, v24
	v_mbcnt_lo_u32_b32 v25, -1, 0
	v_mbcnt_hi_u32_b32 v25, -1, v25
	v_and_b32_e32 v32, 64, v25
	s_waitcnt vmcnt(6)
	v_max3_f32 v24, v24, v26, v27
	v_add_u32_e32 v32, 64, v32
	v_xor_b32_e32 v33, 32, v25
	s_waitcnt vmcnt(4)
	v_max3_f32 v24, v24, v28, v29
	v_cmp_lt_i32_e64 s[22:23], v33, v32
	s_waitcnt vmcnt(2)
	v_max3_f32 v24, v24, v30, v31
	v_cndmask_b32_e64 v33, v25, v33, s[22:23]
	v_lshlrev_b32_e32 v33, 2, v33
	s_waitcnt vmcnt(0)
	v_max3_f32 v24, v24, v22, v23
	ds_bpermute_b32 v34, v33, v24
	s_waitcnt lgkmcnt(0)
	v_max_f32_e32 v34, v34, v34
	v_max_f32_e32 v24, v24, v34
	v_xor_b32_e32 v34, 16, v25
	v_cmp_lt_i32_e64 s[22:23], v34, v32
	v_cndmask_b32_e64 v34, v25, v34, s[22:23]
	v_lshlrev_b32_e32 v34, 2, v34
	ds_bpermute_b32 v35, v34, v24
	s_waitcnt lgkmcnt(0)
	v_max_f32_e32 v35, v35, v35
	v_max_f32_e32 v24, v24, v35
	v_xor_b32_e32 v35, 8, v25
	v_cmp_lt_i32_e64 s[22:23], v35, v32
	v_cndmask_b32_e64 v35, v25, v35, s[22:23]
	v_lshlrev_b32_e32 v35, 2, v35
	;; [unrolled: 8-line block ×4, first 2 shown]
	ds_bpermute_b32 v39, v37, v24
	s_waitcnt lgkmcnt(0)
	v_max_f32_e32 v39, v39, v39
	v_max_f32_e32 v24, v24, v39
	v_xor_b32_e32 v39, 1, v25
	v_cmp_lt_i32_e64 s[22:23], v39, v32
	v_cndmask_b32_e64 v25, v25, v39, s[22:23]
	s_add_u32 s22, s28, s46
	s_addc_u32 s23, s29, s47
	s_add_u32 s28, s22, s30
	s_addc_u32 s27, s23, s31
	v_mov_b32_e32 v39, s27
	v_add_co_u32_e64 v2, s[22:23], s28, v2
	v_addc_co_u32_e64 v3, s[22:23], v39, v3, s[22:23]
	v_add_co_u32_e64 v4, s[22:23], s28, v4
	v_addc_co_u32_e64 v5, s[22:23], v39, v5, s[22:23]
	global_load_dword v39, v[2:3], off
	global_load_dword v40, v[4:5], off
	v_mov_b32_e32 v3, s27
	v_add_co_u32_e64 v2, s[22:23], s28, v6
	v_addc_co_u32_e64 v3, s[22:23], v3, v7, s[22:23]
	v_mov_b32_e32 v5, s27
	v_add_co_u32_e64 v4, s[22:23], s28, v8
	v_addc_co_u32_e64 v5, s[22:23], v5, v9, s[22:23]
	;; [unrolled: 3-line block ×6, first 2 shown]
	global_load_dword v14, v[2:3], off
	global_load_dword v15, v[4:5], off
	;; [unrolled: 1-line block ×6, first 2 shown]
	v_lshlrev_b32_e32 v25, 2, v25
	ds_bpermute_b32 v32, v25, v24
	v_mov_b32_e32 v3, s27
	v_mov_b32_e32 v5, s27
	s_mov_b32 s27, 0x3fb8aa3b
	v_add_co_u32_e64 v2, s[22:23], s28, v18
	s_waitcnt lgkmcnt(0)
	v_max_f32_e32 v4, v32, v32
	v_max_f32_e32 v6, v24, v4
	v_sub_f32_e32 v1, v1, v6
	v_mul_f32_e32 v4, 0x3fb8aa3b, v1
	v_fma_f32 v7, v1, s27, -v4
	v_rndne_f32_e32 v8, v4
	v_fmac_f32_e32 v7, 0x32a5705f, v1
	v_sub_f32_e32 v4, v4, v8
	v_add_f32_e32 v4, v4, v7
	v_addc_co_u32_e64 v3, s[22:23], v3, v19, s[22:23]
	v_exp_f32_e32 v7, v4
	v_cvt_i32_f32_e32 v8, v8
	v_add_co_u32_e64 v4, s[22:23], s28, v20
	v_addc_co_u32_e64 v5, s[22:23], v5, v21, s[22:23]
	global_load_dword v9, v[2:3], off
	global_load_dword v10, v[4:5], off
	v_sub_f32_e32 v4, v38, v6
	v_mul_f32_e32 v5, 0x3fb8aa3b, v4
	v_ldexp_f32 v2, v7, v8
	v_fma_f32 v7, v4, s27, -v5
	v_rndne_f32_e32 v8, v5
	v_fmac_f32_e32 v7, 0x32a5705f, v4
	v_sub_f32_e32 v5, v5, v8
	v_add_f32_e32 v5, v5, v7
	v_exp_f32_e32 v5, v5
	v_cvt_i32_f32_e32 v7, v8
	s_mov_b32 s28, 0xc2ce8ed0
	v_cmp_ngt_f32_e64 s[22:23], s28, v1
	s_mov_b32 s29, 0x42b17218
	v_cndmask_b32_e64 v2, 0, v2, s[22:23]
	v_mov_b32_e32 v3, 0x7f800000
	v_cmp_nlt_f32_e64 s[22:23], s29, v1
	v_cndmask_b32_e64 v1, v3, v2, s[22:23]
	v_ldexp_f32 v2, v5, v7
	v_sub_f32_e32 v5, v26, v6
	v_mul_f32_e32 v7, 0x3fb8aa3b, v5
	v_fma_f32 v8, v5, s27, -v7
	v_rndne_f32_e32 v11, v7
	v_fmac_f32_e32 v8, 0x32a5705f, v5
	v_sub_f32_e32 v7, v7, v11
	v_add_f32_e32 v7, v7, v8
	v_exp_f32_e32 v7, v7
	v_cvt_i32_f32_e32 v8, v11
	v_cndmask_b32_e64 v1, 0, v1, s[20:21]
	v_cmp_ngt_f32_e64 s[20:21], s28, v4
	v_cndmask_b32_e64 v2, 0, v2, s[20:21]
	v_cmp_nlt_f32_e64 s[20:21], s29, v4
	v_ldexp_f32 v4, v7, v8
	v_sub_f32_e32 v7, v27, v6
	v_mul_f32_e32 v8, 0x3fb8aa3b, v7
	v_fma_f32 v11, v7, s27, -v8
	v_rndne_f32_e32 v12, v8
	v_fmac_f32_e32 v11, 0x32a5705f, v7
	v_sub_f32_e32 v8, v8, v12
	v_add_f32_e32 v8, v8, v11
	v_exp_f32_e32 v8, v8
	v_cvt_i32_f32_e32 v11, v12
	v_cndmask_b32_e64 v2, v3, v2, s[20:21]
	v_cndmask_b32_e64 v2, 0, v2, s[18:19]
	v_cmp_ngt_f32_e64 s[18:19], s28, v5
	v_cndmask_b32_e64 v4, 0, v4, s[18:19]
	v_cmp_nlt_f32_e64 s[18:19], s29, v5
	v_ldexp_f32 v5, v8, v11
	v_sub_f32_e32 v8, v28, v6
	v_mul_f32_e32 v11, 0x3fb8aa3b, v8
	v_fma_f32 v12, v8, s27, -v11
	v_rndne_f32_e32 v13, v11
	v_fmac_f32_e32 v12, 0x32a5705f, v8
	v_sub_f32_e32 v11, v11, v13
	v_add_f32_e32 v11, v11, v12
	v_exp_f32_e32 v11, v11
	v_cvt_i32_f32_e32 v12, v13
	v_cndmask_b32_e64 v4, v3, v4, s[18:19]
	v_cndmask_b32_e64 v4, 0, v4, s[16:17]
	v_cmp_ngt_f32_e64 s[16:17], s28, v7
	v_cndmask_b32_e64 v5, 0, v5, s[16:17]
	v_cmp_nlt_f32_e64 s[16:17], s29, v7
	v_ldexp_f32 v7, v11, v12
	v_sub_f32_e32 v11, v29, v6
	v_mul_f32_e32 v12, 0x3fb8aa3b, v11
	s_waitcnt vmcnt(7)
	v_mul_f32_e32 v4, v14, v4
	v_fma_f32 v13, v11, s27, -v12
	v_rndne_f32_e32 v14, v12
	v_fmac_f32_e32 v13, 0x32a5705f, v11
	v_sub_f32_e32 v12, v12, v14
	v_add_f32_e32 v12, v12, v13
	v_exp_f32_e32 v12, v12
	v_cvt_i32_f32_e32 v13, v14
	v_cndmask_b32_e64 v5, v3, v5, s[16:17]
	v_cndmask_b32_e64 v5, 0, v5, s[14:15]
	v_cmp_ngt_f32_e64 s[14:15], s28, v8
	v_cndmask_b32_e64 v7, 0, v7, s[14:15]
	v_cmp_nlt_f32_e64 s[14:15], s29, v8
	v_ldexp_f32 v8, v12, v13
	v_sub_f32_e32 v12, v30, v6
	v_mul_f32_e32 v13, 0x3fb8aa3b, v12
	s_waitcnt vmcnt(6)
	v_mul_f32_e32 v5, v15, v5
	v_fma_f32 v14, v12, s27, -v13
	v_rndne_f32_e32 v15, v13
	v_fmac_f32_e32 v14, 0x32a5705f, v12
	v_sub_f32_e32 v13, v13, v15
	v_add_f32_e32 v13, v13, v14
	v_exp_f32_e32 v13, v13
	v_cvt_i32_f32_e32 v14, v15
	v_cndmask_b32_e64 v7, v3, v7, s[14:15]
	v_cndmask_b32_e64 v7, 0, v7, s[12:13]
	v_cmp_ngt_f32_e64 s[12:13], s28, v11
	v_cndmask_b32_e64 v8, 0, v8, s[12:13]
	v_cmp_nlt_f32_e64 s[12:13], s29, v11
	v_ldexp_f32 v11, v13, v14
	v_sub_f32_e32 v13, v31, v6
	v_mul_f32_e32 v14, 0x3fb8aa3b, v13
	s_waitcnt vmcnt(5)
	v_mul_f32_e32 v7, v16, v7
	v_fma_f32 v15, v13, s27, -v14
	v_rndne_f32_e32 v16, v14
	v_fmac_f32_e32 v15, 0x32a5705f, v13
	v_sub_f32_e32 v14, v14, v16
	v_add_f32_e32 v14, v14, v15
	v_exp_f32_e32 v14, v14
	v_cvt_i32_f32_e32 v15, v16
	v_cndmask_b32_e64 v8, v3, v8, s[12:13]
	v_cndmask_b32_e64 v8, 0, v8, s[10:11]
	v_cmp_ngt_f32_e64 s[10:11], s28, v12
	v_cndmask_b32_e64 v11, 0, v11, s[10:11]
	v_cmp_nlt_f32_e64 s[10:11], s29, v12
	v_ldexp_f32 v12, v14, v15
	v_sub_f32_e32 v14, v22, v6
	v_mul_f32_e32 v15, 0x3fb8aa3b, v14
	s_waitcnt vmcnt(4)
	v_mul_f32_e32 v8, v17, v8
	v_fma_f32 v16, v14, s27, -v15
	v_rndne_f32_e32 v17, v15
	v_fmac_f32_e32 v16, 0x32a5705f, v14
	v_sub_f32_e32 v15, v15, v17
	v_add_f32_e32 v15, v15, v16
	v_exp_f32_e32 v15, v15
	v_cvt_i32_f32_e32 v16, v17
	v_cndmask_b32_e64 v11, v3, v11, s[10:11]
	v_cndmask_b32_e64 v11, 0, v11, s[8:9]
	v_cmp_ngt_f32_e64 s[8:9], s28, v13
	v_sub_f32_e32 v6, v23, v6
	v_cndmask_b32_e64 v12, 0, v12, s[8:9]
	v_cmp_nlt_f32_e64 s[8:9], s29, v13
	v_ldexp_f32 v13, v15, v16
	v_mul_f32_e32 v15, 0x3fb8aa3b, v6
	v_fma_f32 v16, v6, s27, -v15
	v_rndne_f32_e32 v17, v15
	v_fmac_f32_e32 v16, 0x32a5705f, v6
	v_sub_f32_e32 v15, v15, v17
	v_add_f32_e32 v15, v15, v16
	v_cndmask_b32_e64 v12, v3, v12, s[8:9]
	v_exp_f32_e32 v15, v15
	v_cvt_i32_f32_e32 v16, v17
	v_cndmask_b32_e64 v12, 0, v12, s[2:3]
	v_cmp_ngt_f32_e64 s[2:3], s28, v14
	v_cndmask_b32_e64 v13, 0, v13, s[2:3]
	v_cmp_nlt_f32_e64 s[2:3], s29, v14
	v_cndmask_b32_e64 v13, v3, v13, s[2:3]
	v_mul_f32_e32 v1, v39, v1
	v_mul_f32_e32 v2, v40, v2
	v_cndmask_b32_e64 v13, 0, v13, s[0:1]
	v_ldexp_f32 v14, v15, v16
	v_cmp_ngt_f32_e64 s[0:1], s28, v6
	v_cndmask_b32_e64 v14, 0, v14, s[0:1]
	v_cmp_nlt_f32_e64 s[0:1], s29, v6
	v_add_f32_e32 v6, v1, v2
	v_add_f32_e32 v6, v6, v4
	;; [unrolled: 1-line block ×5, first 2 shown]
	s_waitcnt vmcnt(3)
	v_fmac_f32_e32 v6, v41, v11
	v_cndmask_b32_e64 v3, v3, v14, s[0:1]
	s_waitcnt vmcnt(2)
	v_fmac_f32_e32 v6, v42, v12
	v_cndmask_b32_e32 v3, 0, v3, vcc
	s_waitcnt vmcnt(1)
	v_fmac_f32_e32 v6, v9, v13
	s_waitcnt vmcnt(0)
	v_fmac_f32_e32 v6, v10, v3
	ds_bpermute_b32 v14, v33, v6
	v_mul_f32_e32 v9, v9, v13
	v_mul_f32_e32 v3, v10, v3
	v_lshlrev_b32_e32 v10, 2, v0
	ds_write2st64_b32 v10, v1, v2 offset1:1
	ds_write2st64_b32 v10, v4, v5 offset0:2 offset1:3
	s_waitcnt lgkmcnt(2)
	v_add_f32_e32 v6, v6, v14
	ds_bpermute_b32 v14, v34, v6
	v_cmp_eq_u32_e32 vcc, 0, v0
	v_mul_f32_e32 v11, v41, v11
	v_mul_f32_e32 v12, v42, v12
	ds_write2st64_b32 v10, v7, v8 offset0:4 offset1:5
	ds_write2st64_b32 v10, v11, v12 offset0:6 offset1:7
	;; [unrolled: 1-line block ×3, first 2 shown]
	s_waitcnt lgkmcnt(3)
	v_add_f32_e32 v6, v6, v14
	ds_bpermute_b32 v14, v35, v6
	s_waitcnt lgkmcnt(0)
	v_add_f32_e32 v6, v6, v14
	ds_bpermute_b32 v14, v36, v6
	;; [unrolled: 3-line block ×4, first 2 shown]
	s_and_saveexec_b64 s[0:1], vcc
	s_cbranch_execz .LBB221_8
; %bb.7:
	s_waitcnt lgkmcnt(0)
	v_add_f32_e32 v1, v1, v2
	v_mov_b32_e32 v2, 0
	ds_write_b32 v2, v1 offset:2560
.LBB221_8:
	s_or_b64 exec, exec, s[0:1]
	v_mov_b32_e32 v1, s26
.LBB221_9:
	s_or_b64 exec, exec, s[42:43]
	s_lshl_b32 s0, s44, 6
	s_mov_b32 s1, 0
	s_lshl_b64 s[0:1], s[0:1], 1
	s_add_u32 s0, s24, s0
	s_addc_u32 s1, s25, s1
	s_lshl_b32 s10, s33, 6
	s_waitcnt lgkmcnt(0)
	v_lshlrev_b32_e32 v2, 6, v1
	v_mov_b32_e32 v3, 0
	s_sub_i32 s11, s10, 64
	v_lshlrev_b64 v[4:5], 1, v[2:3]
	s_cmp_lt_i32 s48, 1
	v_mov_b32_e32 v1, s1
	v_add_co_u32_e32 v2, vcc, s0, v4
	s_cselect_b32 s0, s11, 0
	v_addc_co_u32_e32 v1, vcc, v1, v5, vcc
	v_lshlrev_b32_e32 v118, 1, v0
	s_ashr_i32 s1, s0, 31
	v_add_co_u32_e32 v0, vcc, v2, v118
	s_lshl_b64 s[0:1], s[0:1], 1
	v_addc_co_u32_e32 v1, vcc, 0, v1, vcc
	s_cmpk_lt_i32 s48, 0x101
	v_add_co_u32_e32 v4, vcc, s0, v0
	s_cselect_b32 s0, s11, 64
	v_mov_b32_e32 v2, s1
	s_ashr_i32 s1, s0, 31
	s_lshl_b64 s[0:1], s[0:1], 1
	v_addc_co_u32_e32 v5, vcc, v1, v2, vcc
	s_cmpk_lt_i32 s48, 0x201
	v_add_co_u32_e32 v6, vcc, s0, v0
	s_cselect_b32 s0, s11, 0x80
	v_mov_b32_e32 v2, s1
	s_ashr_i32 s1, s0, 31
	;; [unrolled: 7-line block ×8, first 2 shown]
	s_lshl_b64 s[0:1], s[0:1], 1
	v_addc_co_u32_e32 v19, vcc, v1, v2, vcc
	s_cmpk_lt_i32 s48, 0x901
	global_load_ushort v44, v[4:5], off
	global_load_ushort v43, v[6:7], off
	global_load_ushort v42, v[8:9], off
	global_load_ushort v41, v[10:11], off
	global_load_ushort v39, v[12:13], off
	global_load_ushort v40, v[14:15], off
	global_load_ushort v2, v[16:17], off
	global_load_ushort v38, v[18:19], off
	v_add_co_u32_e32 v4, vcc, s0, v0
	s_cselect_b32 s0, s11, 0x240
	v_mov_b32_e32 v5, s1
	s_ashr_i32 s1, s0, 31
	s_lshl_b64 s[0:1], s[0:1], 1
	v_addc_co_u32_e32 v5, vcc, v1, v5, vcc
	s_cmpk_lt_i32 s48, 0xa01
	v_add_co_u32_e32 v6, vcc, s0, v0
	s_cselect_b32 s0, s11, 0x280
	v_mov_b32_e32 v7, s1
	s_ashr_i32 s1, s0, 31
	s_lshl_b64 s[0:1], s[0:1], 1
	v_addc_co_u32_e32 v7, vcc, v1, v7, vcc
	s_cmpk_lt_i32 s48, 0xb01
	;; [unrolled: 7-line block ×6, first 2 shown]
	v_add_co_u32_e32 v16, vcc, s0, v0
	s_cselect_b32 s0, s11, 0x3c0
	v_mov_b32_e32 v17, s1
	s_ashr_i32 s1, s0, 31
	v_addc_co_u32_e32 v17, vcc, v1, v17, vcc
	s_lshl_b64 s[0:1], s[0:1], 1
	v_mov_b32_e32 v19, s1
	v_add_co_u32_e32 v18, vcc, s0, v0
	v_addc_co_u32_e32 v19, vcc, v1, v19, vcc
	global_load_ushort v51, v[4:5], off
	global_load_ushort v52, v[6:7], off
	;; [unrolled: 1-line block ×8, first 2 shown]
	s_cmpk_gt_i32 s48, 0x1000
	s_cselect_b64 s[8:9], -1, 0
	s_cmpk_lt_i32 s48, 0x1001
	v_mov_b32_e32 v61, 0
	v_mov_b32_e32 v62, 0
	;; [unrolled: 1-line block ×48, first 2 shown]
	s_waitcnt lgkmcnt(0)
	; wave barrier
	s_cbranch_scc1 .LBB221_12
; %bb.10:
	s_cmpk_lt_u32 s48, 0x1101
	s_cselect_b32 s0, s11, 0x440
	s_ashr_i32 s1, s0, 31
	s_lshl_b64 s[0:1], s[0:1], 1
	s_cmpk_lt_u32 s48, 0x1201
	v_add_co_u32_e32 v4, vcc, s0, v0
	s_cselect_b32 s0, s11, 0x480
	v_mov_b32_e32 v5, s1
	s_ashr_i32 s1, s0, 31
	s_lshl_b64 s[0:1], s[0:1], 1
	v_addc_co_u32_e32 v5, vcc, v1, v5, vcc
	s_cmpk_lt_u32 s48, 0x1301
	v_add_co_u32_e32 v6, vcc, s0, v0
	s_cselect_b32 s0, s11, 0x4c0
	v_mov_b32_e32 v7, s1
	s_ashr_i32 s1, s0, 31
	s_lshl_b64 s[0:1], s[0:1], 1
	v_addc_co_u32_e32 v7, vcc, v1, v7, vcc
	;; [unrolled: 7-line block ×7, first 2 shown]
	s_cmpk_lt_u32 s48, 0x1901
	global_load_ushort v60, v[0:1], off offset:2048
	global_load_ushort v59, v[4:5], off
	global_load_ushort v58, v[6:7], off
	;; [unrolled: 1-line block ×7, first 2 shown]
	v_add_co_u32_e32 v4, vcc, s0, v0
	s_cselect_b32 s0, s11, 0x640
	v_mov_b32_e32 v5, s1
	s_ashr_i32 s1, s0, 31
	s_lshl_b64 s[0:1], s[0:1], 1
	v_addc_co_u32_e32 v5, vcc, v1, v5, vcc
	s_cmpk_lt_u32 s48, 0x1a01
	v_add_co_u32_e32 v6, vcc, s0, v0
	s_cselect_b32 s0, s11, 0x680
	v_mov_b32_e32 v7, s1
	s_ashr_i32 s1, s0, 31
	s_lshl_b64 s[0:1], s[0:1], 1
	v_addc_co_u32_e32 v7, vcc, v1, v7, vcc
	s_cmpk_lt_u32 s48, 0x1b01
	;; [unrolled: 7-line block ×6, first 2 shown]
	v_add_co_u32_e32 v16, vcc, s0, v0
	s_cselect_b32 s0, s11, 0x7c0
	v_mov_b32_e32 v17, s1
	s_ashr_i32 s1, s0, 31
	v_addc_co_u32_e32 v17, vcc, v1, v17, vcc
	s_lshl_b64 s[0:1], s[0:1], 1
	v_mov_b32_e32 v19, s1
	v_add_co_u32_e32 v18, vcc, s0, v0
	v_addc_co_u32_e32 v19, vcc, v1, v19, vcc
	global_load_ushort v68, v[4:5], off
	global_load_ushort v67, v[6:7], off
	global_load_ushort v66, v[8:9], off
	global_load_ushort v65, v[10:11], off
	global_load_ushort v64, v[12:13], off
	global_load_ushort v63, v[14:15], off
	global_load_ushort v62, v[16:17], off
	global_load_ushort v61, v[18:19], off
	s_cmpk_lt_u32 s48, 0x2001
	v_mov_b32_e32 v35, 0
	v_mov_b32_e32 v33, 0
	;; [unrolled: 1-line block ×32, first 2 shown]
	s_cbranch_scc1 .LBB221_12
; %bb.11:
	s_cmpk_lt_u32 s48, 0x2101
	s_cselect_b32 s0, s11, 0x840
	s_ashr_i32 s1, s0, 31
	s_lshl_b64 s[0:1], s[0:1], 1
	s_cmpk_lt_u32 s48, 0x2201
	v_add_co_u32_e32 v4, vcc, s0, v0
	s_cselect_b32 s0, s11, 0x880
	v_mov_b32_e32 v5, s1
	s_ashr_i32 s1, s0, 31
	s_lshl_b64 s[0:1], s[0:1], 1
	v_addc_co_u32_e32 v5, vcc, v1, v5, vcc
	s_cmpk_lt_u32 s48, 0x2301
	v_add_co_u32_e32 v6, vcc, s0, v0
	s_cselect_b32 s0, s11, 0x8c0
	v_mov_b32_e32 v7, s1
	s_ashr_i32 s1, s0, 31
	s_lshl_b64 s[0:1], s[0:1], 1
	v_addc_co_u32_e32 v7, vcc, v1, v7, vcc
	;; [unrolled: 7-line block ×30, first 2 shown]
	v_mov_b32_e32 v69, s1
	s_movk_i32 s1, 0x1000
	v_add_co_u32_e32 v96, vcc, s1, v0
	v_addc_co_u32_e32 v97, vcc, 0, v1, vcc
	global_load_ushort v98, v[96:97], off
	global_load_ushort v99, v[4:5], off
	global_load_ushort v100, v[6:7], off
	global_load_ushort v101, v[8:9], off
	global_load_ushort v102, v[10:11], off
	global_load_ushort v103, v[12:13], off
	global_load_ushort v104, v[14:15], off
	global_load_ushort v105, v[16:17], off
	global_load_ushort v106, v[18:19], off
	global_load_ushort v107, v[20:21], off
	global_load_ushort v108, v[22:23], off
	global_load_ushort v109, v[28:29], off
	global_load_ushort v110, v[30:31], off
	global_load_ushort v111, v[34:35], off
	global_load_ushort v112, v[70:71], off
                                        ; kill: killed $vgpr28 killed $vgpr29
                                        ; kill: killed $vgpr8 killed $vgpr9
                                        ; kill: killed $vgpr70 killed $vgpr71
                                        ; kill: killed $vgpr14 killed $vgpr15
                                        ; kill: killed $vgpr20 killed $vgpr21
                                        ; kill: killed $vgpr4 killed $vgpr5
                                        ; kill: killed $vgpr30 killed $vgpr31
                                        ; kill: killed $vgpr10 killed $vgpr11
                                        ; kill: killed $vgpr16 killed $vgpr17
                                        ; kill: killed $vgpr22 killed $vgpr23
                                        ; kill: killed $vgpr6 killed $vgpr7
                                        ; kill: killed $vgpr96 killed $vgpr97
                                        ; kill: killed $vgpr34 killed $vgpr35
                                        ; kill: killed $vgpr12 killed $vgpr13
                                        ; kill: killed $vgpr18 killed $vgpr19
	global_load_ushort v6, v[24:25], off
	global_load_ushort v7, v[26:27], off
	;; [unrolled: 1-line block ×15, first 2 shown]
                                        ; kill: killed $vgpr88 killed $vgpr89
                                        ; kill: killed $vgpr72 killed $vgpr73
                                        ; kill: killed $vgpr94 killed $vgpr95
                                        ; kill: killed $vgpr78 killed $vgpr79
                                        ; kill: killed $vgpr84 killed $vgpr85
                                        ; kill: killed $vgpr32 killed $vgpr33
                                        ; kill: killed $vgpr90 killed $vgpr91
                                        ; kill: killed $vgpr74 killed $vgpr75
                                        ; kill: killed $vgpr80 killed $vgpr81
                                        ; kill: killed $vgpr24 killed $vgpr25
                                        ; kill: killed $vgpr36 killed $vgpr37
                                        ; kill: killed $vgpr92 killed $vgpr93
                                        ; kill: killed $vgpr76 killed $vgpr77
                                        ; kill: killed $vgpr82 killed $vgpr83
                                        ; kill: killed $vgpr26 killed $vgpr27
	global_load_ushort v36, v[86:87], off
	v_add_co_u32_e32 v4, vcc, s0, v0
	v_addc_co_u32_e32 v5, vcc, v1, v69, vcc
	global_load_ushort v5, v[4:5], off
	s_waitcnt vmcnt(31)
	v_lshlrev_b32_e32 v35, 16, v98
	s_waitcnt vmcnt(30)
	v_lshlrev_b32_e32 v33, 16, v99
	;; [unrolled: 2-line block ×32, first 2 shown]
.LBB221_12:
	s_load_dwordx2 s[0:1], s[4:5], 0x0
	s_load_dwordx2 s[2:3], s[4:5], 0x38
	ds_read_b128 v[70:73], v3
	s_waitcnt vmcnt(15)
	v_lshlrev_b32_e32 v36, 16, v44
	ds_read_b128 v[74:77], v3 offset:16
	ds_read_b128 v[78:81], v3 offset:32
	;; [unrolled: 1-line block ×3, first 2 shown]
	s_waitcnt vmcnt(10)
	v_lshlrev_b32_e32 v37, 16, v40
	s_and_b64 vcc, exec, s[8:9]
	s_waitcnt lgkmcnt(0)
	v_fma_f32 v44, v70, v36, 0
	v_lshlrev_b32_e32 v36, 16, v43
	v_fmac_f32_e32 v44, v71, v36
	v_lshlrev_b32_e32 v36, 16, v42
	v_fmac_f32_e32 v44, v72, v36
	;; [unrolled: 2-line block ×3, first 2 shown]
	v_lshlrev_b32_e32 v36, 16, v39
	v_pk_mul_f32 v[36:37], v[74:75], v[36:37]
	v_add_f32_e32 v36, v44, v36
	v_add_f32_e32 v39, v36, v37
	s_waitcnt vmcnt(8)
	v_lshlrev_b32_e32 v37, 16, v38
	v_lshlrev_b32_e32 v36, 16, v2
	v_pk_mul_f32 v[36:37], v[76:77], v[36:37]
	v_add_f32_e32 v2, v39, v36
	v_add_f32_e32 v2, v2, v37
	s_waitcnt vmcnt(6)
	v_lshlrev_b32_e32 v37, 16, v52
	;; [unrolled: 6-line block ×5, first 2 shown]
	v_lshlrev_b32_e32 v36, 16, v45
	v_pk_mul_f32 v[36:37], v[84:85], v[36:37]
	v_add_f32_e32 v2, v2, v36
	v_add_f32_e32 v119, v2, v37
	s_cbranch_vccz .LBB221_15
; %bb.13:
	ds_read_b128 v[36:39], v3 offset:64
	v_lshlrev_b32_e32 v2, 16, v60
	ds_read_b128 v[40:43], v3 offset:80
	ds_read_b128 v[44:47], v3 offset:96
	;; [unrolled: 1-line block ×3, first 2 shown]
	s_cmpk_lt_u32 s48, 0x2001
	s_waitcnt lgkmcnt(3)
	v_fmac_f32_e32 v119, v36, v2
	v_lshlrev_b32_e32 v2, 16, v59
	v_fmac_f32_e32 v119, v37, v2
	v_lshlrev_b32_e32 v2, 16, v58
	v_fmac_f32_e32 v119, v38, v2
	v_lshlrev_b32_e32 v2, 16, v57
	v_fmac_f32_e32 v119, v39, v2
	v_lshlrev_b32_e32 v2, 16, v56
	s_waitcnt lgkmcnt(2)
	v_fmac_f32_e32 v119, v40, v2
	v_lshlrev_b32_e32 v2, 16, v55
	v_fmac_f32_e32 v119, v41, v2
	v_lshlrev_b32_e32 v2, 16, v54
	v_fmac_f32_e32 v119, v42, v2
	v_lshlrev_b32_e32 v2, 16, v53
	v_fmac_f32_e32 v119, v43, v2
	v_lshlrev_b32_e32 v2, 16, v68
	;; [unrolled: 9-line block ×3, first 2 shown]
	s_waitcnt lgkmcnt(0)
	v_fmac_f32_e32 v119, v48, v2
	v_lshlrev_b32_e32 v2, 16, v63
	v_fmac_f32_e32 v119, v49, v2
	v_lshlrev_b32_e32 v2, 16, v62
	;; [unrolled: 2-line block ×3, first 2 shown]
	v_fmac_f32_e32 v119, v51, v2
	s_cbranch_scc1 .LBB221_15
; %bb.14:
	v_mov_b32_e32 v52, 0
	ds_read_b128 v[36:39], v52 offset:128
	ds_read_b128 v[40:43], v52 offset:144
	;; [unrolled: 1-line block ×4, first 2 shown]
	s_waitcnt lgkmcnt(3)
	v_fmac_f32_e32 v119, v36, v35
	v_fmac_f32_e32 v119, v37, v33
	v_fmac_f32_e32 v119, v38, v34
	v_fmac_f32_e32 v119, v39, v31
	s_waitcnt lgkmcnt(2)
	v_fmac_f32_e32 v119, v40, v32
	v_fmac_f32_e32 v119, v41, v29
	v_fmac_f32_e32 v119, v42, v30
	v_fmac_f32_e32 v119, v43, v27
	;; [unrolled: 5-line block ×3, first 2 shown]
	s_waitcnt lgkmcnt(0)
	v_fmac_f32_e32 v119, v48, v24
	ds_read_b128 v[24:27], v52 offset:192
	v_fmac_f32_e32 v119, v49, v21
	v_fmac_f32_e32 v119, v50, v22
	;; [unrolled: 1-line block ×3, first 2 shown]
	ds_read_b128 v[20:23], v52 offset:208
	s_waitcnt lgkmcnt(1)
	v_fmac_f32_e32 v119, v24, v19
	v_fmac_f32_e32 v119, v25, v17
	;; [unrolled: 1-line block ×4, first 2 shown]
	s_waitcnt lgkmcnt(0)
	v_pk_mul_f32 v[2:3], v[20:21], v[14:15]
	ds_read_b128 v[14:17], v52 offset:224
	v_add_f32_e32 v2, v119, v2
	v_add_f32_e32 v18, v2, v3
	v_pk_mul_f32 v[2:3], v[22:23], v[12:13]
	v_add_f32_e32 v2, v18, v2
	ds_read_b128 v[18:21], v52 offset:240
	v_add_f32_e32 v12, v2, v3
	s_waitcnt lgkmcnt(1)
	v_pk_mul_f32 v[2:3], v[14:15], v[10:11]
	v_add_f32_e32 v2, v12, v2
	v_add_f32_e32 v10, v2, v3
	v_pk_mul_f32 v[2:3], v[16:17], v[8:9]
	v_add_f32_e32 v2, v10, v2
	v_add_f32_e32 v8, v2, v3
	s_waitcnt lgkmcnt(0)
	v_pk_mul_f32 v[2:3], v[18:19], v[6:7]
	v_add_f32_e32 v2, v8, v2
	v_add_f32_e32 v6, v2, v3
	v_pk_mul_f32 v[2:3], v[20:21], v[4:5]
	v_add_f32_e32 v2, v6, v2
	v_add_f32_e32 v119, v2, v3
.LBB221_15:
	s_movk_i32 s4, 0x1fc0
	s_movk_i32 s5, 0x100
	s_mov_b32 s8, 64
	s_branch .LBB221_17
.LBB221_16:                             ;   in Loop: Header=BB221_17 Depth=1
	s_addk_i32 s4, 0x1000
	s_addk_i32 s5, 0x100
	s_add_i32 s8, s8, 64
	s_cmpk_eq_u32 s4, 0xafc0
	s_cbranch_scc1 .LBB221_19
.LBB221_17:                             ; =>This Inner Loop Header: Depth=1
	s_cmp_le_i32 s33, s8
	s_cbranch_scc1 .LBB221_16
; %bb.18:                               ;   in Loop: Header=BB221_17 Depth=1
	s_add_i32 s9, s4, 0xfffff040
	s_cmp_lt_i32 s9, s10
	s_cselect_b32 s12, s9, s11
	s_ashr_i32 s13, s12, 31
	s_lshl_b64 s[12:13], s[12:13], 1
	s_add_i32 s9, s4, 0xfffff080
	s_cmp_lt_i32 s9, s10
	v_add_co_u32_e32 v4, vcc, s12, v0
	s_cselect_b32 s12, s9, s11
	v_mov_b32_e32 v2, s13
	s_ashr_i32 s13, s12, 31
	s_lshl_b64 s[12:13], s[12:13], 1
	s_add_i32 s9, s4, 0xfffff0c0
	v_addc_co_u32_e32 v5, vcc, v1, v2, vcc
	s_cmp_lt_i32 s9, s10
	v_add_co_u32_e32 v2, vcc, s12, v0
	s_cselect_b32 s12, s9, s11
	v_mov_b32_e32 v3, s13
	s_ashr_i32 s13, s12, 31
	s_lshl_b64 s[12:13], s[12:13], 1
	s_add_i32 s9, s4, 0xfffff100
	v_addc_co_u32_e32 v3, vcc, v1, v3, vcc
	;; [unrolled: 8-line block ×21, first 2 shown]
	s_cmp_lt_i32 s9, s10
	global_load_ushort v120, v[4:5], off
	global_load_ushort v122, v[6:7], off
	;; [unrolled: 1-line block ×4, first 2 shown]
	v_add_co_u32_e32 v44, vcc, s12, v0
	s_cselect_b32 s12, s9, s11
	v_mov_b32_e32 v45, s13
	s_ashr_i32 s13, s12, 31
	s_lshl_b64 s[12:13], s[12:13], 1
	s_add_i32 s9, s4, 0xfffff600
	v_addc_co_u32_e32 v45, vcc, v1, v45, vcc
	s_cmp_lt_i32 s9, s10
	v_add_co_u32_e32 v46, vcc, s12, v0
	s_cselect_b32 s12, s9, s11
	v_mov_b32_e32 v47, s13
	s_ashr_i32 s13, s12, 31
	s_lshl_b64 s[12:13], s[12:13], 1
	s_add_i32 s9, s4, 0xfffff640
	v_addc_co_u32_e32 v47, vcc, v1, v47, vcc
	s_cmp_lt_i32 s9, s10
	;; [unrolled: 8-line block ×8, first 2 shown]
	global_load_ushort v121, v[2:3], off
	v_add_co_u32_e32 v60, vcc, s12, v0
	s_cselect_b32 s12, s9, s11
	v_mov_b32_e32 v61, s13
	s_ashr_i32 s13, s12, 31
	s_lshl_b64 s[12:13], s[12:13], 1
	s_add_i32 s9, s4, 0xfffff800
	v_addc_co_u32_e32 v61, vcc, v1, v61, vcc
	s_cmp_lt_i32 s9, s10
	v_add_co_u32_e32 v62, vcc, s12, v0
	s_cselect_b32 s12, s9, s11
	global_load_ushort v125, v[12:13], off
	global_load_ushort v126, v[14:15], off
	v_mov_b32_e32 v63, s13
	s_ashr_i32 s13, s12, 31
	global_load_ushort v127, v[16:17], off
	global_load_ushort v128, v[18:19], off
	;; [unrolled: 1-line block ×3, first 2 shown]
	s_lshl_b64 s[12:13], s[12:13], 1
	s_add_i32 s9, s4, 0xfffff840
	v_addc_co_u32_e32 v63, vcc, v1, v63, vcc
	s_cmp_lt_i32 s9, s10
	v_add_co_u32_e32 v64, vcc, s12, v0
	s_cselect_b32 s12, s9, s11
	v_mov_b32_e32 v65, s13
	s_ashr_i32 s13, s12, 31
	s_lshl_b64 s[12:13], s[12:13], 1
	s_add_i32 s9, s4, 0xfffff880
	v_addc_co_u32_e32 v65, vcc, v1, v65, vcc
	s_cmp_lt_i32 s9, s10
	v_add_co_u32_e32 v66, vcc, s12, v0
	s_cselect_b32 s12, s9, s11
	v_mov_b32_e32 v67, s13
	s_ashr_i32 s13, s12, 31
	global_load_ushort v130, v[22:23], off
	global_load_ushort v131, v[24:25], off
	s_lshl_b64 s[12:13], s[12:13], 1
	s_add_i32 s9, s4, 0xfffff8c0
	v_addc_co_u32_e32 v67, vcc, v1, v67, vcc
	s_cmp_lt_i32 s9, s10
	global_load_ushort v132, v[26:27], off
	global_load_ushort v133, v[28:29], off
	v_add_co_u32_e32 v68, vcc, s12, v0
	s_cselect_b32 s12, s9, s11
	v_mov_b32_e32 v69, s13
	s_ashr_i32 s13, s12, 31
	s_lshl_b64 s[12:13], s[12:13], 1
	s_add_i32 s9, s4, 0xfffff900
	v_addc_co_u32_e32 v69, vcc, v1, v69, vcc
	s_cmp_lt_i32 s9, s10
	v_add_co_u32_e32 v70, vcc, s12, v0
	s_cselect_b32 s12, s9, s11
	v_mov_b32_e32 v71, s13
	s_ashr_i32 s13, s12, 31
	global_load_ushort v134, v[30:31], off
	global_load_ushort v135, v[32:33], off
	s_lshl_b64 s[12:13], s[12:13], 1
	s_add_i32 s9, s4, 0xfffff940
	v_addc_co_u32_e32 v71, vcc, v1, v71, vcc
	s_cmp_lt_i32 s9, s10
	v_add_co_u32_e32 v72, vcc, s12, v0
	s_cselect_b32 s12, s9, s11
	v_mov_b32_e32 v73, s13
	s_ashr_i32 s13, s12, 31
	s_lshl_b64 s[12:13], s[12:13], 1
	s_add_i32 s9, s4, 0xfffff980
	global_load_ushort v30, v[34:35], off
	global_load_ushort v31, v[36:37], off
	;; [unrolled: 1-line block ×4, first 2 shown]
	v_addc_co_u32_e32 v73, vcc, v1, v73, vcc
	s_cmp_lt_i32 s9, s10
	v_add_co_u32_e32 v74, vcc, s12, v0
	s_cselect_b32 s12, s9, s11
	v_mov_b32_e32 v75, s13
	s_ashr_i32 s13, s12, 31
	s_lshl_b64 s[12:13], s[12:13], 1
	s_add_i32 s9, s4, 0xfffff9c0
	v_addc_co_u32_e32 v75, vcc, v1, v75, vcc
	s_cmp_lt_i32 s9, s10
	v_add_co_u32_e32 v76, vcc, s12, v0
	s_cselect_b32 s12, s9, s11
	v_mov_b32_e32 v77, s13
	s_ashr_i32 s13, s12, 31
	s_lshl_b64 s[12:13], s[12:13], 1
	s_add_i32 s9, s4, 0xfffffa00
	v_addc_co_u32_e32 v77, vcc, v1, v77, vcc
	s_cmp_lt_i32 s9, s10
	v_add_co_u32_e32 v78, vcc, s12, v0
	s_cselect_b32 s12, s9, s11
	global_load_ushort v34, v[42:43], off
	global_load_ushort v35, v[44:45], off
	v_mov_b32_e32 v79, s13
	s_ashr_i32 s13, s12, 31
	s_lshl_b64 s[12:13], s[12:13], 1
	s_add_i32 s9, s4, 0xfffffa40
	v_addc_co_u32_e32 v79, vcc, v1, v79, vcc
	s_cmp_lt_i32 s9, s10
	v_add_co_u32_e32 v80, vcc, s12, v0
	s_cselect_b32 s12, s9, s11
	v_mov_b32_e32 v81, s13
	s_ashr_i32 s13, s12, 31
	global_load_ushort v38, v[46:47], off
	s_lshl_b64 s[12:13], s[12:13], 1
	s_add_i32 s9, s4, 0xfffffa80
	v_mov_b32_e32 v37, s5
	v_addc_co_u32_e32 v81, vcc, v1, v81, vcc
	s_cmp_lt_i32 s9, s10
	ds_read_b128 v[14:17], v37
	ds_read_b128 v[18:21], v37 offset:16
	global_load_ushort v39, v[48:49], off
	v_add_co_u32_e32 v82, vcc, s12, v0
	s_cselect_b32 s12, s9, s11
	v_mov_b32_e32 v83, s13
	s_ashr_i32 s13, s12, 31
	s_lshl_b64 s[12:13], s[12:13], 1
	s_add_i32 s9, s4, 0xfffffac0
	v_addc_co_u32_e32 v83, vcc, v1, v83, vcc
	s_cmp_lt_i32 s9, s10
	s_waitcnt vmcnt(23)
	v_lshlrev_b32_e32 v36, 16, v120
	v_add_co_u32_e32 v84, vcc, s12, v0
	s_cselect_b32 s12, s9, s11
	ds_read_b128 v[22:25], v37 offset:32
	ds_read_b128 v[26:29], v37 offset:48
	s_waitcnt lgkmcnt(3)
	v_fmac_f32_e32 v119, v14, v36
	global_load_ushort v36, v[50:51], off
	global_load_ushort v40, v[52:53], off
	;; [unrolled: 1-line block ×6, first 2 shown]
	v_mov_b32_e32 v85, s13
	s_ashr_i32 s13, s12, 31
	s_lshl_b64 s[12:13], s[12:13], 1
	s_add_i32 s9, s4, 0xfffffb00
	v_addc_co_u32_e32 v85, vcc, v1, v85, vcc
	s_cmp_lt_i32 s9, s10
	v_add_co_u32_e32 v86, vcc, s12, v0
	s_cselect_b32 s12, s9, s11
	v_mov_b32_e32 v87, s13
	s_ashr_i32 s13, s12, 31
	s_lshl_b64 s[12:13], s[12:13], 1
	s_add_i32 s9, s4, 0xfffffb40
	v_addc_co_u32_e32 v87, vcc, v1, v87, vcc
	s_cmp_lt_i32 s9, s10
	v_add_co_u32_e32 v88, vcc, s12, v0
	s_cselect_b32 s12, s9, s11
	;; [unrolled: 8-line block ×7, first 2 shown]
	v_mov_b32_e32 v99, s13
	s_ashr_i32 s13, s12, 31
	s_lshl_b64 s[12:13], s[12:13], 1
	s_add_i32 s9, s4, 0xfffffcc0
	v_addc_co_u32_e32 v99, vcc, v1, v99, vcc
	s_cmp_lt_i32 s9, s10
	s_waitcnt vmcnt(25)
	v_lshlrev_b32_e32 v14, 16, v121
	v_add_co_u32_e32 v100, vcc, s12, v0
	s_cselect_b32 s12, s9, s11
	v_fmac_f32_e32 v119, v15, v14
	v_lshlrev_b32_e32 v14, 16, v122
	v_mov_b32_e32 v101, s13
	s_ashr_i32 s13, s12, 31
	v_fmac_f32_e32 v119, v16, v14
	v_lshlrev_b32_e32 v14, 16, v123
	s_lshl_b64 s[12:13], s[12:13], 1
	s_add_i32 s9, s4, 0xfffffd00
	v_fmac_f32_e32 v119, v17, v14
	v_lshlrev_b32_e32 v14, 16, v124
	v_addc_co_u32_e32 v101, vcc, v1, v101, vcc
	s_cmp_lt_i32 s9, s10
	s_waitcnt lgkmcnt(2)
	v_fmac_f32_e32 v119, v18, v14
	s_waitcnt vmcnt(24)
	v_lshlrev_b32_e32 v14, 16, v125
	v_add_co_u32_e32 v102, vcc, s12, v0
	s_cselect_b32 s12, s9, s11
	v_fmac_f32_e32 v119, v19, v14
	s_waitcnt vmcnt(23)
	v_lshlrev_b32_e32 v14, 16, v126
	v_mov_b32_e32 v103, s13
	s_ashr_i32 s13, s12, 31
	v_fmac_f32_e32 v119, v20, v14
	s_waitcnt vmcnt(22)
	v_lshlrev_b32_e32 v14, 16, v127
	s_lshl_b64 s[12:13], s[12:13], 1
	s_add_i32 s9, s4, 0xfffffd40
	v_fmac_f32_e32 v119, v21, v14
	s_waitcnt vmcnt(21)
	v_lshlrev_b32_e32 v14, 16, v128
	v_addc_co_u32_e32 v103, vcc, v1, v103, vcc
	s_cmp_lt_i32 s9, s10
	s_waitcnt lgkmcnt(1)
	v_fmac_f32_e32 v119, v22, v14
	global_load_ushort v22, v[62:63], off
	v_add_co_u32_e32 v104, vcc, s12, v0
	s_cselect_b32 s12, s9, s11
	v_mov_b32_e32 v105, s13
	s_ashr_i32 s13, s12, 31
	s_lshl_b64 s[12:13], s[12:13], 1
	s_add_i32 s9, s4, 0xfffffd80
	s_waitcnt vmcnt(21)
	v_lshlrev_b32_e32 v14, 16, v129
	v_addc_co_u32_e32 v105, vcc, v1, v105, vcc
	s_cmp_lt_i32 s9, s10
	v_fmac_f32_e32 v119, v23, v14
	global_load_ushort v23, v[64:65], off
	v_add_co_u32_e32 v106, vcc, s12, v0
	s_cselect_b32 s12, s9, s11
	s_waitcnt vmcnt(21)
	v_lshlrev_b32_e32 v14, 16, v130
	global_load_ushort v45, v[66:67], off
	v_mov_b32_e32 v107, s13
	s_ashr_i32 s13, s12, 31
	v_fmac_f32_e32 v119, v24, v14
	global_load_ushort v24, v[68:69], off
	s_waitcnt vmcnt(22)
	v_lshlrev_b32_e32 v14, 16, v131
	s_lshl_b64 s[12:13], s[12:13], 1
	s_add_i32 s9, s4, 0xfffffdc0
	v_fmac_f32_e32 v119, v25, v14
	global_load_ushort v25, v[70:71], off
	global_load_ushort v46, v[72:73], off
	v_addc_co_u32_e32 v107, vcc, v1, v107, vcc
	s_cmp_lt_i32 s9, s10
	s_waitcnt vmcnt(23)
	v_lshlrev_b32_e32 v14, 16, v132
	v_add_co_u32_e32 v110, vcc, s12, v0
	s_cselect_b32 s12, s9, s11
	s_waitcnt lgkmcnt(0)
	v_fmac_f32_e32 v119, v26, v14
	global_load_ushort v26, v[74:75], off
	global_load_ushort v47, v[76:77], off
	v_mov_b32_e32 v108, s13
	s_ashr_i32 s13, s12, 31
	s_waitcnt vmcnt(24)
	v_lshlrev_b32_e32 v14, 16, v133
	s_lshl_b64 s[12:13], s[12:13], 1
	s_add_i32 s9, s4, 0xfffffe00
	v_fmac_f32_e32 v119, v27, v14
	global_load_ushort v27, v[78:79], off
	v_addc_co_u32_e32 v111, vcc, v1, v108, vcc
	s_cmp_lt_i32 s9, s10
	v_add_co_u32_e32 v108, vcc, s12, v0
	s_cselect_b32 s12, s9, s11
	s_waitcnt vmcnt(24)
	v_lshlrev_b32_e32 v14, 16, v134
	v_mov_b32_e32 v109, s13
	s_ashr_i32 s13, s12, 31
	v_fmac_f32_e32 v119, v28, v14
	global_load_ushort v28, v[80:81], off
	s_waitcnt vmcnt(24)
	v_lshlrev_b32_e32 v14, 16, v135
	s_lshl_b64 s[12:13], s[12:13], 1
	s_add_i32 s9, s4, 0xfffffe40
	v_fmac_f32_e32 v119, v29, v14
	ds_read_b128 v[14:17], v37 offset:64
	ds_read_b128 v[18:21], v37 offset:80
	v_addc_co_u32_e32 v109, vcc, v1, v109, vcc
	s_cmp_lt_i32 s9, s10
	global_load_ushort v48, v[82:83], off
	global_load_ushort v29, v[84:85], off
	;; [unrolled: 1-line block ×4, first 2 shown]
	v_add_co_u32_e32 v114, vcc, s12, v0
	s_cselect_b32 s12, s9, s11
	v_mov_b32_e32 v112, s13
	s_ashr_i32 s13, s12, 31
	s_lshl_b64 s[12:13], s[12:13], 1
	s_add_i32 s9, s4, 0xfffffe80
	s_waitcnt vmcnt(27)
	v_lshlrev_b32_e32 v30, 16, v30
	v_addc_co_u32_e32 v115, vcc, v1, v112, vcc
	s_cmp_lt_i32 s9, s10
	s_waitcnt lgkmcnt(1)
	v_fmac_f32_e32 v119, v14, v30
	global_load_ushort v30, v[90:91], off
	v_add_co_u32_e32 v112, vcc, s12, v0
	s_cselect_b32 s12, s9, s11
	s_waitcnt vmcnt(27)
	v_lshlrev_b32_e32 v14, 16, v31
	global_load_ushort v31, v[92:93], off
	global_load_ushort v51, v[94:95], off
	v_mov_b32_e32 v113, s13
	s_ashr_i32 s13, s12, 31
	s_lshl_b64 s[12:13], s[12:13], 1
	s_add_i32 s9, s4, 0xfffffec0
	v_addc_co_u32_e32 v113, vcc, v1, v113, vcc
	s_cmp_lt_i32 s9, s10
	v_add_co_u32_e32 v116, vcc, s12, v0
	s_cselect_b32 s12, s9, s11
	v_mov_b32_e32 v117, s13
	s_ashr_i32 s13, s12, 31
	v_fmac_f32_e32 v119, v15, v14
	s_waitcnt vmcnt(28)
	v_lshlrev_b32_e32 v14, 16, v32
	global_load_ushort v32, v[96:97], off
	s_lshl_b64 s[12:13], s[12:13], 1
	s_add_i32 s9, s4, 0xffffff00
	v_fmac_f32_e32 v119, v16, v14
	s_waitcnt vmcnt(28)
	v_lshlrev_b32_e32 v14, 16, v33
	global_load_ushort v33, v[98:99], off
	v_addc_co_u32_e32 v117, vcc, v1, v117, vcc
	s_cmp_lt_i32 s9, s10
	v_fmac_f32_e32 v119, v17, v14
	s_waitcnt vmcnt(28)
	v_lshlrev_b32_e32 v14, 16, v34
	global_load_ushort v34, v[100:101], off
	global_load_ushort v52, v[102:103], off
	v_add_co_u32_e32 v2, vcc, s12, v0
	s_cselect_b32 s12, s9, s11
	v_mov_b32_e32 v4, s13
	s_ashr_i32 s13, s12, 31
	s_lshl_b64 s[12:13], s[12:13], 1
	s_add_i32 s9, s4, 0xffffff40
	s_waitcnt lgkmcnt(0)
	v_fmac_f32_e32 v119, v18, v14
	s_waitcnt vmcnt(29)
	v_lshlrev_b32_e32 v14, 16, v35
	global_load_ushort v35, v[104:105], off
	global_load_ushort v53, v[106:107], off
	;; [unrolled: 1-line block ×3, first 2 shown]
	v_addc_co_u32_e32 v3, vcc, v1, v4, vcc
	s_cmp_lt_i32 s9, s10
	v_add_co_u32_e32 v4, vcc, s12, v0
	s_cselect_b32 s12, s9, s11
	v_mov_b32_e32 v5, s13
	s_ashr_i32 s13, s12, 31
	v_fmac_f32_e32 v119, v19, v14
	s_waitcnt vmcnt(31)
	v_lshlrev_b32_e32 v14, 16, v38
	global_load_ushort v38, v[108:109], off
	global_load_ushort v55, v[114:115], off
	s_lshl_b64 s[12:13], s[12:13], 1
	s_add_i32 s9, s4, 0xffffff80
	v_addc_co_u32_e32 v5, vcc, v1, v5, vcc
	s_cmp_lt_i32 s9, s10
	v_fmac_f32_e32 v119, v20, v14
	s_waitcnt vmcnt(32)
	v_lshlrev_b32_e32 v14, 16, v39
	v_add_co_u32_e32 v6, vcc, s12, v0
	s_cselect_b32 s12, s9, s11
	v_fmac_f32_e32 v119, v21, v14
	ds_read_b128 v[14:17], v37 offset:96
	v_mov_b32_e32 v7, s13
	s_ashr_i32 s13, s12, 31
	s_lshl_b64 s[12:13], s[12:13], 1
	s_sub_i32 s9, s4, 64
	v_addc_co_u32_e32 v7, vcc, v1, v7, vcc
	s_cmp_lt_i32 s9, s10
	global_load_ushort v39, v[112:113], off
	global_load_ushort v56, v[116:117], off
	v_add_co_u32_e32 v10, vcc, s12, v0
	s_cselect_b32 s12, s9, s11
	s_waitcnt vmcnt(33)
	v_lshlrev_b32_e32 v36, 16, v36
	v_mov_b32_e32 v8, s13
	s_ashr_i32 s13, s12, 31
	s_waitcnt lgkmcnt(0)
	v_fmac_f32_e32 v119, v14, v36
	s_waitcnt vmcnt(32)
	v_lshlrev_b32_e32 v14, 16, v40
	s_lshl_b64 s[12:13], s[12:13], 1
	ds_read_b128 v[18:21], v37 offset:112
	v_fmac_f32_e32 v119, v15, v14
	global_load_ushort v14, v[2:3], off
	global_load_ushort v15, v[4:5], off
	v_addc_co_u32_e32 v11, vcc, v1, v8, vcc
	s_cmp_lt_i32 s4, s10
	v_add_co_u32_e32 v8, vcc, s12, v0
	s_cselect_b32 s12, s4, s11
	s_waitcnt vmcnt(33)
	v_lshlrev_b32_e32 v2, 16, v41
	v_mov_b32_e32 v9, s13
	s_ashr_i32 s13, s12, 31
	v_fmac_f32_e32 v119, v16, v2
	global_load_ushort v16, v[6:7], off
	global_load_ushort v36, v[10:11], off
	v_addc_co_u32_e32 v9, vcc, v1, v9, vcc
	s_lshl_b64 s[12:13], s[12:13], 1
	s_waitcnt vmcnt(34)
	v_lshlrev_b32_e32 v2, 16, v42
	v_mov_b32_e32 v13, s13
	v_add_co_u32_e32 v12, vcc, s12, v0
	v_fmac_f32_e32 v119, v17, v2
	s_waitcnt vmcnt(33)
	v_lshlrev_b32_e32 v2, 16, v43
	v_addc_co_u32_e32 v13, vcc, v1, v13, vcc
	s_waitcnt lgkmcnt(0)
	v_fmac_f32_e32 v119, v18, v2
	global_load_ushort v17, v[8:9], off
	global_load_ushort v18, v[12:13], off
	s_waitcnt vmcnt(34)
	v_lshlrev_b32_e32 v2, 16, v44
	v_fmac_f32_e32 v119, v19, v2
	s_waitcnt vmcnt(33)
	v_lshlrev_b32_e32 v2, 16, v22
	v_fmac_f32_e32 v119, v20, v2
	ds_read_b128 v[2:5], v37 offset:128
	s_waitcnt vmcnt(32)
	v_lshlrev_b32_e32 v6, 16, v23
	v_fmac_f32_e32 v119, v21, v6
	ds_read_b128 v[6:9], v37 offset:144
	s_waitcnt vmcnt(31)
	v_lshlrev_b32_e32 v10, 16, v45
	s_waitcnt lgkmcnt(1)
	v_fmac_f32_e32 v119, v2, v10
	s_waitcnt vmcnt(30)
	v_lshlrev_b32_e32 v2, 16, v24
	v_fmac_f32_e32 v119, v3, v2
	s_waitcnt vmcnt(29)
	v_lshlrev_b32_e32 v2, 16, v25
	;; [unrolled: 3-line block ×4, first 2 shown]
	s_waitcnt lgkmcnt(0)
	v_fmac_f32_e32 v119, v6, v2
	s_waitcnt vmcnt(26)
	v_lshlrev_b32_e32 v2, 16, v47
	v_fmac_f32_e32 v119, v7, v2
	s_waitcnt vmcnt(25)
	v_lshlrev_b32_e32 v2, 16, v27
	v_fmac_f32_e32 v119, v8, v2
	ds_read_b128 v[2:5], v37 offset:160
	s_waitcnt vmcnt(24)
	v_lshlrev_b32_e32 v6, 16, v28
	v_fmac_f32_e32 v119, v9, v6
	ds_read_b128 v[6:9], v37 offset:176
	s_waitcnt vmcnt(23)
	v_lshlrev_b32_e32 v10, 16, v48
	s_waitcnt lgkmcnt(1)
	v_fmac_f32_e32 v119, v2, v10
	s_waitcnt vmcnt(22)
	v_lshlrev_b32_e32 v2, 16, v29
	v_fmac_f32_e32 v119, v3, v2
	s_waitcnt vmcnt(21)
	v_lshlrev_b32_e32 v2, 16, v49
	;; [unrolled: 3-line block ×4, first 2 shown]
	s_waitcnt lgkmcnt(0)
	v_fmac_f32_e32 v119, v6, v2
	s_waitcnt vmcnt(18)
	v_lshlrev_b32_e32 v2, 16, v31
	v_fmac_f32_e32 v119, v7, v2
	s_waitcnt vmcnt(17)
	v_lshlrev_b32_e32 v2, 16, v51
	v_fmac_f32_e32 v119, v8, v2
	ds_read_b128 v[2:5], v37 offset:192
	s_waitcnt vmcnt(16)
	v_lshlrev_b32_e32 v6, 16, v32
	v_fmac_f32_e32 v119, v9, v6
	ds_read_b128 v[6:9], v37 offset:208
	s_waitcnt vmcnt(15)
	v_lshlrev_b32_e32 v10, 16, v33
	s_waitcnt lgkmcnt(1)
	v_fmac_f32_e32 v119, v2, v10
	s_waitcnt vmcnt(14)
	v_lshlrev_b32_e32 v2, 16, v34
	v_fmac_f32_e32 v119, v3, v2
	s_waitcnt vmcnt(13)
	v_lshlrev_b32_e32 v2, 16, v52
	;; [unrolled: 3-line block ×4, first 2 shown]
	v_lshlrev_b32_e32 v2, 16, v53
	s_waitcnt lgkmcnt(0)
	v_pk_mul_f32 v[2:3], v[6:7], v[2:3]
	v_add_f32_e32 v2, v119, v2
	v_add_f32_e32 v4, v2, v3
	s_waitcnt vmcnt(8)
	v_lshlrev_b32_e32 v3, 16, v55
	v_lshlrev_b32_e32 v2, 16, v38
	v_pk_mul_f32 v[6:7], v[8:9], v[2:3]
	v_add_f32_e32 v6, v4, v6
	ds_read_b128 v[2:5], v37 offset:224
	s_waitcnt vmcnt(6)
	v_lshlrev_b32_e32 v11, 16, v56
	v_lshlrev_b32_e32 v10, 16, v39
	v_add_f32_e32 v12, v6, v7
	ds_read_b128 v[6:9], v37 offset:240
	s_waitcnt lgkmcnt(1)
	v_pk_mul_f32 v[2:3], v[2:3], v[10:11]
	v_add_f32_e32 v2, v12, v2
	v_add_f32_e32 v10, v2, v3
	s_waitcnt vmcnt(4)
	v_lshlrev_b32_e32 v3, 16, v15
	v_lshlrev_b32_e32 v2, 16, v14
	v_pk_mul_f32 v[2:3], v[4:5], v[2:3]
	v_add_f32_e32 v2, v10, v2
	v_add_f32_e32 v4, v2, v3
	s_waitcnt vmcnt(2)
	v_lshlrev_b32_e32 v3, 16, v36
	v_lshlrev_b32_e32 v2, 16, v16
	s_waitcnt lgkmcnt(0)
	v_pk_mul_f32 v[2:3], v[6:7], v[2:3]
	v_add_f32_e32 v2, v4, v2
	v_add_f32_e32 v4, v2, v3
	s_waitcnt vmcnt(0)
	v_lshlrev_b32_e32 v3, 16, v18
	v_lshlrev_b32_e32 v2, 16, v17
	v_pk_mul_f32 v[2:3], v[8:9], v[2:3]
	v_add_f32_e32 v2, v4, v2
	v_add_f32_e32 v119, v2, v3
	s_branch .LBB221_16
.LBB221_19:
	v_mov_b32_e32 v0, 0
	ds_read_b32 v0, v0 offset:2560
	s_cmp_lg_u64 s[2:3], 0
	s_cbranch_scc0 .LBB221_28
; %bb.20:
	s_load_dword s4, s[2:3], 0x0
	s_waitcnt lgkmcnt(0)
	v_div_scale_f32 v1, s[2:3], s4, s4, 1.0
	v_rcp_f32_e32 v2, v1
	v_div_scale_f32 v3, vcc, 1.0, s4, 1.0
	v_fma_f32 v4, -v1, v2, 1.0
	v_fmac_f32_e32 v2, v4, v2
	v_mul_f32_e32 v4, v3, v2
	v_fma_f32 v5, -v1, v4, v3
	v_fmac_f32_e32 v4, v5, v2
	v_fma_f32 v1, -v1, v4, v3
	v_div_fmas_f32 v1, v1, v2, v4
	v_div_fixup_f32 v1, v1, s4, 1.0
	s_andn2_b64 vcc, exec, s[38:39]
	s_cbranch_vccnz .LBB221_22
.LBB221_21:
	s_add_u32 s2, s36, s40
	s_addc_u32 s3, s37, s41
	s_load_dword s34, s[2:3], 0x0
	s_mov_b32 s35, 0
.LBB221_22:
	s_waitcnt lgkmcnt(0)
	v_add_f32_e32 v0, 0x358637bd, v0
	v_div_scale_f32 v2, s[2:3], v0, v0, 1.0
	v_rcp_f32_e32 v3, v2
	v_div_scale_f32 v4, vcc, 1.0, v0, 1.0
	s_mov_b32 s2, 0x7f800000
	v_fma_f32 v5, -v2, v3, 1.0
	v_fmac_f32_e32 v3, v5, v3
	v_mul_f32_e32 v5, v4, v3
	v_fma_f32 v6, -v2, v5, v4
	v_fmac_f32_e32 v5, v6, v3
	v_fma_f32 v2, -v2, v5, v4
	v_div_fmas_f32 v2, v2, v3, v5
	v_div_fixup_f32 v0, v2, v0, 1.0
	v_mul_f32_e32 v0, v119, v0
	v_mul_f32_e32 v1, v0, v1
	v_and_b32_e32 v0, 0x7f800000, v1
	v_cmp_ne_u32_e32 vcc, s2, v0
                                        ; implicit-def: $vgpr0
	s_and_saveexec_b64 s[2:3], vcc
	s_xor_b64 s[2:3], exec, s[2:3]
; %bb.23:
	v_bfe_u32 v0, v1, 16, 1
	s_movk_i32 s4, 0x7fff
	v_add3_u32 v0, v1, v0, s4
                                        ; implicit-def: $vgpr1
; %bb.24:
	s_andn2_saveexec_b64 s[2:3], s[2:3]
; %bb.25:
	v_mov_b32_e32 v0, 0
	v_or_b32_e32 v2, 0x10000, v1
	v_cmp_eq_u32_sdwa vcc, v1, v0 src0_sel:WORD_0 src1_sel:DWORD
	v_cndmask_b32_e32 v0, v2, v1, vcc
; %bb.26:
	s_or_b64 exec, exec, s[2:3]
	s_mul_i32 s2, s7, s35
	s_mul_hi_u32 s3, s7, s34
	s_add_i32 s3, s3, s2
	s_mul_i32 s2, s7, s34
	s_lshl_b64 s[2:3], s[2:3], 7
	s_add_u32 s2, s0, s2
	s_mov_b32 s7, 0
	s_addc_u32 s3, s1, s3
	s_lshl_b64 s[0:1], s[6:7], 7
	s_add_u32 s0, s2, s0
	s_addc_u32 s1, s3, s1
	global_store_short_d16_hi v118, v0, s[0:1]
	s_endpgm
.LBB221_27:
	s_mov_b64 s[2:3], 0
	s_branch .LBB221_2
.LBB221_28:
	v_mov_b32_e32 v1, 1.0
	s_andn2_b64 vcc, exec, s[38:39]
	s_cbranch_vccz .LBB221_21
	s_branch .LBB221_22
	.section	.rodata,"a",@progbits
	.p2align	6, 0x0
	.amdhsa_kernel _Z35paged_attention_ll4mi_reduce_kernelI14__hip_bfloat16S0_Li64ELi64ELi256ELi10EEvPT0_PKfS4_PKT_PKiS9_iS4_
		.amdhsa_group_segment_fixed_size 2564
		.amdhsa_private_segment_fixed_size 0
		.amdhsa_kernarg_size 320
		.amdhsa_user_sgpr_count 6
		.amdhsa_user_sgpr_private_segment_buffer 1
		.amdhsa_user_sgpr_dispatch_ptr 0
		.amdhsa_user_sgpr_queue_ptr 0
		.amdhsa_user_sgpr_kernarg_segment_ptr 1
		.amdhsa_user_sgpr_dispatch_id 0
		.amdhsa_user_sgpr_flat_scratch_init 0
		.amdhsa_user_sgpr_kernarg_preload_length 0
		.amdhsa_user_sgpr_kernarg_preload_offset 0
		.amdhsa_user_sgpr_private_segment_size 0
		.amdhsa_uses_dynamic_stack 0
		.amdhsa_system_sgpr_private_segment_wavefront_offset 0
		.amdhsa_system_sgpr_workgroup_id_x 1
		.amdhsa_system_sgpr_workgroup_id_y 1
		.amdhsa_system_sgpr_workgroup_id_z 0
		.amdhsa_system_sgpr_workgroup_info 0
		.amdhsa_system_vgpr_workitem_id 0
		.amdhsa_next_free_vgpr 136
		.amdhsa_next_free_sgpr 49
		.amdhsa_accum_offset 136
		.amdhsa_reserve_vcc 1
		.amdhsa_reserve_flat_scratch 0
		.amdhsa_float_round_mode_32 0
		.amdhsa_float_round_mode_16_64 0
		.amdhsa_float_denorm_mode_32 3
		.amdhsa_float_denorm_mode_16_64 3
		.amdhsa_dx10_clamp 1
		.amdhsa_ieee_mode 1
		.amdhsa_fp16_overflow 0
		.amdhsa_tg_split 0
		.amdhsa_exception_fp_ieee_invalid_op 0
		.amdhsa_exception_fp_denorm_src 0
		.amdhsa_exception_fp_ieee_div_zero 0
		.amdhsa_exception_fp_ieee_overflow 0
		.amdhsa_exception_fp_ieee_underflow 0
		.amdhsa_exception_fp_ieee_inexact 0
		.amdhsa_exception_int_div_zero 0
	.end_amdhsa_kernel
	.section	.text._Z35paged_attention_ll4mi_reduce_kernelI14__hip_bfloat16S0_Li64ELi64ELi256ELi10EEvPT0_PKfS4_PKT_PKiS9_iS4_,"axG",@progbits,_Z35paged_attention_ll4mi_reduce_kernelI14__hip_bfloat16S0_Li64ELi64ELi256ELi10EEvPT0_PKfS4_PKT_PKiS9_iS4_,comdat
.Lfunc_end221:
	.size	_Z35paged_attention_ll4mi_reduce_kernelI14__hip_bfloat16S0_Li64ELi64ELi256ELi10EEvPT0_PKfS4_PKT_PKiS9_iS4_, .Lfunc_end221-_Z35paged_attention_ll4mi_reduce_kernelI14__hip_bfloat16S0_Li64ELi64ELi256ELi10EEvPT0_PKfS4_PKT_PKiS9_iS4_
                                        ; -- End function
	.section	.AMDGPU.csdata,"",@progbits
; Kernel info:
; codeLenInByte = 10948
; NumSgprs: 53
; NumVgprs: 136
; NumAgprs: 0
; TotalNumVgprs: 136
; ScratchSize: 0
; MemoryBound: 0
; FloatMode: 240
; IeeeMode: 1
; LDSByteSize: 2564 bytes/workgroup (compile time only)
; SGPRBlocks: 6
; VGPRBlocks: 16
; NumSGPRsForWavesPerEU: 53
; NumVGPRsForWavesPerEU: 136
; AccumOffset: 136
; Occupancy: 3
; WaveLimiterHint : 1
; COMPUTE_PGM_RSRC2:SCRATCH_EN: 0
; COMPUTE_PGM_RSRC2:USER_SGPR: 6
; COMPUTE_PGM_RSRC2:TRAP_HANDLER: 0
; COMPUTE_PGM_RSRC2:TGID_X_EN: 1
; COMPUTE_PGM_RSRC2:TGID_Y_EN: 1
; COMPUTE_PGM_RSRC2:TGID_Z_EN: 0
; COMPUTE_PGM_RSRC2:TIDIG_COMP_CNT: 0
; COMPUTE_PGM_RSRC3_GFX90A:ACCUM_OFFSET: 33
; COMPUTE_PGM_RSRC3_GFX90A:TG_SPLIT: 0
	.section	.text._Z35paged_attention_ll4mi_reduce_kernelI14__hip_bfloat16S0_Li64ELi64ELi256ELi11EEvPT0_PKfS4_PKT_PKiS9_iS4_,"axG",@progbits,_Z35paged_attention_ll4mi_reduce_kernelI14__hip_bfloat16S0_Li64ELi64ELi256ELi11EEvPT0_PKfS4_PKT_PKiS9_iS4_,comdat
	.protected	_Z35paged_attention_ll4mi_reduce_kernelI14__hip_bfloat16S0_Li64ELi64ELi256ELi11EEvPT0_PKfS4_PKT_PKiS9_iS4_ ; -- Begin function _Z35paged_attention_ll4mi_reduce_kernelI14__hip_bfloat16S0_Li64ELi64ELi256ELi11EEvPT0_PKfS4_PKT_PKiS9_iS4_
	.globl	_Z35paged_attention_ll4mi_reduce_kernelI14__hip_bfloat16S0_Li64ELi64ELi256ELi11EEvPT0_PKfS4_PKT_PKiS9_iS4_
	.p2align	8
	.type	_Z35paged_attention_ll4mi_reduce_kernelI14__hip_bfloat16S0_Li64ELi64ELi256ELi11EEvPT0_PKfS4_PKT_PKiS9_iS4_,@function
_Z35paged_attention_ll4mi_reduce_kernelI14__hip_bfloat16S0_Li64ELi64ELi256ELi11EEvPT0_PKfS4_PKT_PKiS9_iS4_: ; @_Z35paged_attention_ll4mi_reduce_kernelI14__hip_bfloat16S0_Li64ELi64ELi256ELi11EEvPT0_PKfS4_PKT_PKiS9_iS4_
; %bb.0:
	s_load_dwordx2 s[34:35], s[4:5], 0x28
	s_mov_b32 s26, s7
	s_mov_b64 s[0:1], 0
	s_waitcnt lgkmcnt(0)
	s_cmp_lg_u64 s[34:35], 0
	s_cselect_b64 s[40:41], -1, 0
	s_and_b64 vcc, exec, s[40:41]
	s_cbranch_vccz .LBB222_27
; %bb.1:
	s_add_i32 s2, s26, 1
	s_mov_b32 s3, 0
	s_lshl_b64 s[8:9], s[2:3], 2
	s_add_u32 s8, s34, s8
	s_mov_b32 s27, s3
	s_addc_u32 s9, s35, s9
	s_lshl_b64 s[2:3], s[26:27], 2
	s_add_u32 s2, s34, s2
	s_addc_u32 s3, s35, s3
	s_load_dword s7, s[8:9], 0x0
	s_load_dword s10, s[2:3], 0x0
	s_waitcnt lgkmcnt(0)
	s_sub_i32 s2, s7, s10
	s_cmp_eq_u32 s2, 1
	s_cselect_b64 s[2:3], -1, 0
	s_andn2_b64 vcc, exec, s[0:1]
	s_cbranch_vccnz .LBB222_3
.LBB222_2:
	s_mov_b32 s27, 0
	s_mov_b64 s[2:3], -1
.LBB222_3:
	s_andn2_b64 vcc, exec, s[2:3]
	s_cbranch_vccz .LBB222_5
; %bb.4:
	s_endpgm
.LBB222_5:
	s_load_dwordx4 s[28:31], s[4:5], 0x18
	s_load_dword s8, s[4:5], 0x30
	s_lshl_b64 s[42:43], s[26:27], 2
	v_cmp_lt_u32_e32 vcc, 63, v0
	s_waitcnt lgkmcnt(0)
	s_add_u32 s0, s30, s42
	s_addc_u32 s1, s31, s43
	s_load_dword s50, s[0:1], 0x0
	s_load_dword s7, s[4:5], 0x40
	s_mul_i32 s30, s6, s8
	s_mul_i32 s2, s26, s8
	s_waitcnt lgkmcnt(0)
	s_add_i32 s3, s50, 0xff
	s_ashr_i32 s0, s3, 31
	s_lshr_b32 s0, s0, 24
	s_add_i32 s3, s3, s0
	s_and_saveexec_b64 s[0:1], vcc
	s_xor_b64 s[0:1], exec, s[0:1]
	s_or_saveexec_b64 s[44:45], s[0:1]
	s_ashr_i32 s33, s3, 8
	v_mov_b32_e32 v1, s30
	s_mul_i32 s46, s2, s7
	s_xor_b64 exec, exec, s[44:45]
	s_cbranch_execz .LBB222_9
; %bb.6:
	s_add_i32 s0, s33, -1
	v_or_b32_e32 v3, 64, v0
	v_mov_b32_e32 v1, s0
	v_cmp_gt_u32_e64 s[20:21], s33, v3
	v_cndmask_b32_e64 v4, v1, v3, s[20:21]
	v_or_b32_e32 v3, 0x80, v0
	v_cmp_gt_u32_e64 s[18:19], s33, v3
	v_cndmask_b32_e64 v6, v1, v3, s[18:19]
	v_or_b32_e32 v3, 0xc0, v0
	;; [unrolled: 3-line block ×6, first 2 shown]
	s_load_dwordx4 s[36:39], s[4:5], 0x8
	v_cmp_gt_u32_e64 s[8:9], s33, v3
	v_cndmask_b32_e64 v16, v1, v3, s[8:9]
	v_or_b32_e32 v3, 0x200, v0
	v_cmp_gt_u32_e64 s[2:3], s33, v3
	s_mov_b32 s47, 0
	v_cndmask_b32_e64 v18, v1, v3, s[2:3]
	v_or_b32_e32 v3, 0x240, v0
	v_cmp_gt_u32_e64 s[0:1], s33, v3
	s_lshl_b64 s[48:49], s[46:47], 2
	s_mov_b32 s31, s47
	v_cmp_gt_u32_e64 s[22:23], s33, v0
	v_cndmask_b32_e64 v20, v1, v3, s[0:1]
	v_or_b32_e32 v3, 0x280, v0
	s_waitcnt lgkmcnt(0)
	s_add_u32 s24, s38, s48
	v_cndmask_b32_e64 v2, v1, v0, s[22:23]
	v_cmp_gt_u32_e32 vcc, s33, v3
	s_addc_u32 s25, s39, s49
	s_lshl_b64 s[38:39], s[30:31], 2
	v_cndmask_b32_e32 v22, v1, v3, vcc
	s_add_u32 s31, s24, s38
	v_ashrrev_i32_e32 v3, 31, v2
	s_addc_u32 s47, s25, s39
	v_lshlrev_b64 v[2:3], 2, v[2:3]
	v_mov_b32_e32 v1, s47
	v_add_co_u32_e64 v24, s[24:25], s31, v2
	v_ashrrev_i32_e32 v5, 31, v4
	v_addc_co_u32_e64 v25, s[24:25], v1, v3, s[24:25]
	v_lshlrev_b64 v[4:5], 2, v[4:5]
	v_add_co_u32_e64 v26, s[24:25], s31, v4
	v_ashrrev_i32_e32 v7, 31, v6
	v_addc_co_u32_e64 v27, s[24:25], v1, v5, s[24:25]
	v_lshlrev_b64 v[6:7], 2, v[6:7]
	;; [unrolled: 4-line block ×8, first 2 shown]
	global_load_dword v1, v[24:25], off
	global_load_dword v40, v[26:27], off
	;; [unrolled: 1-line block ×3, first 2 shown]
	s_nop 0
	global_load_dword v30, v[30:31], off
	s_nop 0
	global_load_dword v31, v[32:33], off
	;; [unrolled: 2-line block ×3, first 2 shown]
	global_load_dword v33, v[36:37], off
	s_nop 0
	global_load_dword v34, v[38:39], off
	v_mov_b32_e32 v21, s47
	v_add_co_u32_e64 v24, s[24:25], s31, v18
	v_addc_co_u32_e64 v25, s[24:25], v21, v19, s[24:25]
	v_ashrrev_i32_e32 v21, 31, v20
	v_lshlrev_b64 v[20:21], 2, v[20:21]
	v_mov_b32_e32 v23, s47
	v_add_co_u32_e64 v26, s[24:25], s31, v20
	v_addc_co_u32_e64 v27, s[24:25], v23, v21, s[24:25]
	v_ashrrev_i32_e32 v23, 31, v22
	v_lshlrev_b64 v[22:23], 2, v[22:23]
	v_mov_b32_e32 v29, s47
	v_add_co_u32_e64 v28, s[24:25], s31, v22
	v_addc_co_u32_e64 v29, s[24:25], v29, v23, s[24:25]
	global_load_dword v24, v[24:25], off
	s_nop 0
	global_load_dword v25, v[26:27], off
	s_nop 0
	global_load_dword v26, v[28:29], off
	v_mbcnt_lo_u32_b32 v28, -1, 0
	v_mbcnt_hi_u32_b32 v28, -1, v28
	v_and_b32_e32 v29, 64, v28
	v_add_u32_e32 v29, 64, v29
	v_xor_b32_e32 v35, 32, v28
	v_cmp_lt_i32_e64 s[24:25], v35, v29
	v_cndmask_b32_e64 v35, v28, v35, s[24:25]
	v_lshlrev_b32_e32 v35, 2, v35
	s_waitcnt vmcnt(8)
	v_max3_f32 v27, v1, v40, v41
	s_waitcnt vmcnt(6)
	v_max3_f32 v27, v27, v30, v31
	;; [unrolled: 2-line block ×5, first 2 shown]
	ds_bpermute_b32 v36, v35, v27
	s_waitcnt lgkmcnt(0)
	v_max_f32_e32 v36, v36, v36
	v_max_f32_e32 v27, v27, v36
	v_xor_b32_e32 v36, 16, v28
	v_cmp_lt_i32_e64 s[24:25], v36, v29
	v_cndmask_b32_e64 v36, v28, v36, s[24:25]
	v_lshlrev_b32_e32 v36, 2, v36
	ds_bpermute_b32 v37, v36, v27
	s_waitcnt lgkmcnt(0)
	v_max_f32_e32 v37, v37, v37
	v_max_f32_e32 v27, v27, v37
	v_xor_b32_e32 v37, 8, v28
	v_cmp_lt_i32_e64 s[24:25], v37, v29
	v_cndmask_b32_e64 v37, v28, v37, s[24:25]
	v_lshlrev_b32_e32 v37, 2, v37
	;; [unrolled: 8-line block ×4, first 2 shown]
	ds_bpermute_b32 v42, v39, v27
	s_waitcnt lgkmcnt(0)
	v_max_f32_e32 v42, v42, v42
	v_max_f32_e32 v27, v27, v42
	v_xor_b32_e32 v42, 1, v28
	v_cmp_lt_i32_e64 s[24:25], v42, v29
	v_cndmask_b32_e64 v28, v28, v42, s[24:25]
	s_add_u32 s24, s36, s48
	s_addc_u32 s25, s37, s49
	s_add_u32 s31, s24, s38
	s_addc_u32 s36, s25, s39
	v_mov_b32_e32 v42, s36
	v_add_co_u32_e64 v2, s[24:25], s31, v2
	v_addc_co_u32_e64 v3, s[24:25], v42, v3, s[24:25]
	v_add_co_u32_e64 v4, s[24:25], s31, v4
	v_addc_co_u32_e64 v5, s[24:25], v42, v5, s[24:25]
	global_load_dword v42, v[2:3], off
	global_load_dword v43, v[4:5], off
	v_mov_b32_e32 v3, s36
	v_add_co_u32_e64 v2, s[24:25], s31, v6
	v_addc_co_u32_e64 v3, s[24:25], v3, v7, s[24:25]
	v_mov_b32_e32 v5, s36
	v_add_co_u32_e64 v4, s[24:25], s31, v8
	v_addc_co_u32_e64 v5, s[24:25], v5, v9, s[24:25]
	;; [unrolled: 3-line block ×6, first 2 shown]
	global_load_dword v14, v[2:3], off
	global_load_dword v15, v[4:5], off
	global_load_dword v16, v[6:7], off
	global_load_dword v17, v[8:9], off
	global_load_dword v44, v[10:11], off
	global_load_dword v45, v[12:13], off
	v_lshlrev_b32_e32 v28, 2, v28
	ds_bpermute_b32 v29, v28, v27
	v_mov_b32_e32 v3, s36
	v_add_co_u32_e64 v2, s[24:25], s31, v18
	v_addc_co_u32_e64 v3, s[24:25], v3, v19, s[24:25]
	s_waitcnt lgkmcnt(0)
	v_max_f32_e32 v8, v29, v29
	v_mov_b32_e32 v5, s36
	v_add_co_u32_e64 v4, s[24:25], s31, v20
	v_max_f32_e32 v8, v27, v8
	v_addc_co_u32_e64 v5, s[24:25], v5, v21, s[24:25]
	v_sub_f32_e32 v1, v1, v8
	v_add_co_u32_e64 v6, s[24:25], s31, v22
	s_mov_b32 s31, 0x3fb8aa3b
	v_mul_f32_e32 v9, 0x3fb8aa3b, v1
	v_fma_f32 v10, v1, s31, -v9
	v_rndne_f32_e32 v11, v9
	v_fmac_f32_e32 v10, 0x32a5705f, v1
	v_sub_f32_e32 v9, v9, v11
	v_add_f32_e32 v9, v9, v10
	v_exp_f32_e32 v9, v9
	v_cvt_i32_f32_e32 v10, v11
	v_mov_b32_e32 v7, s36
	v_addc_co_u32_e64 v7, s[24:25], v7, v23, s[24:25]
	global_load_dword v2, v[2:3], off
	s_nop 0
	global_load_dword v3, v[4:5], off
	global_load_dword v11, v[6:7], off
	v_sub_f32_e32 v6, v40, v8
	v_mul_f32_e32 v7, 0x3fb8aa3b, v6
	v_ldexp_f32 v4, v9, v10
	v_fma_f32 v9, v6, s31, -v7
	v_rndne_f32_e32 v10, v7
	v_fmac_f32_e32 v9, 0x32a5705f, v6
	v_sub_f32_e32 v7, v7, v10
	v_add_f32_e32 v7, v7, v9
	v_exp_f32_e32 v7, v7
	v_cvt_i32_f32_e32 v9, v10
	s_mov_b32 s36, 0xc2ce8ed0
	v_cmp_ngt_f32_e64 s[24:25], s36, v1
	s_mov_b32 s37, 0x42b17218
	v_cndmask_b32_e64 v4, 0, v4, s[24:25]
	v_mov_b32_e32 v5, 0x7f800000
	v_cmp_nlt_f32_e64 s[24:25], s37, v1
	v_cndmask_b32_e64 v1, v5, v4, s[24:25]
	v_ldexp_f32 v4, v7, v9
	v_sub_f32_e32 v7, v41, v8
	v_mul_f32_e32 v9, 0x3fb8aa3b, v7
	v_fma_f32 v10, v7, s31, -v9
	v_rndne_f32_e32 v12, v9
	v_fmac_f32_e32 v10, 0x32a5705f, v7
	v_sub_f32_e32 v9, v9, v12
	v_add_f32_e32 v9, v9, v10
	v_exp_f32_e32 v9, v9
	v_cvt_i32_f32_e32 v10, v12
	v_cndmask_b32_e64 v1, 0, v1, s[22:23]
	v_cmp_ngt_f32_e64 s[22:23], s36, v6
	v_cndmask_b32_e64 v4, 0, v4, s[22:23]
	v_cmp_nlt_f32_e64 s[22:23], s37, v6
	v_ldexp_f32 v6, v9, v10
	v_sub_f32_e32 v9, v30, v8
	v_mul_f32_e32 v10, 0x3fb8aa3b, v9
	v_fma_f32 v12, v9, s31, -v10
	v_rndne_f32_e32 v13, v10
	v_fmac_f32_e32 v12, 0x32a5705f, v9
	v_sub_f32_e32 v10, v10, v13
	v_add_f32_e32 v10, v10, v12
	v_exp_f32_e32 v10, v10
	v_cvt_i32_f32_e32 v12, v13
	v_cndmask_b32_e64 v4, v5, v4, s[22:23]
	v_cndmask_b32_e64 v4, 0, v4, s[20:21]
	v_cmp_ngt_f32_e64 s[20:21], s36, v7
	v_cndmask_b32_e64 v6, 0, v6, s[20:21]
	v_cmp_nlt_f32_e64 s[20:21], s37, v7
	v_cndmask_b32_e64 v6, v5, v6, s[20:21]
	v_ldexp_f32 v7, v10, v12
	v_sub_f32_e32 v10, v31, v8
	v_cndmask_b32_e64 v6, 0, v6, s[18:19]
	v_mul_f32_e32 v12, 0x3fb8aa3b, v10
	s_waitcnt vmcnt(8)
	v_mul_f32_e32 v6, v14, v6
	v_fma_f32 v13, v10, s31, -v12
	v_rndne_f32_e32 v14, v12
	v_fmac_f32_e32 v13, 0x32a5705f, v10
	v_sub_f32_e32 v12, v12, v14
	v_add_f32_e32 v12, v12, v13
	v_exp_f32_e32 v12, v12
	v_cvt_i32_f32_e32 v13, v14
	v_cmp_ngt_f32_e64 s[18:19], s36, v9
	v_cndmask_b32_e64 v7, 0, v7, s[18:19]
	v_cmp_nlt_f32_e64 s[18:19], s37, v9
	v_cndmask_b32_e64 v7, v5, v7, s[18:19]
	v_ldexp_f32 v9, v12, v13
	v_sub_f32_e32 v12, v32, v8
	v_cndmask_b32_e64 v7, 0, v7, s[16:17]
	v_mul_f32_e32 v13, 0x3fb8aa3b, v12
	s_waitcnt vmcnt(7)
	v_mul_f32_e32 v7, v15, v7
	v_fma_f32 v14, v12, s31, -v13
	v_rndne_f32_e32 v15, v13
	v_fmac_f32_e32 v14, 0x32a5705f, v12
	v_sub_f32_e32 v13, v13, v15
	v_add_f32_e32 v13, v13, v14
	v_exp_f32_e32 v13, v13
	v_cvt_i32_f32_e32 v14, v15
	;; [unrolled: 17-line block ×4, first 2 shown]
	v_cmp_ngt_f32_e64 s[12:13], s36, v13
	v_cndmask_b32_e64 v12, 0, v12, s[12:13]
	v_cmp_nlt_f32_e64 s[12:13], s37, v13
	v_ldexp_f32 v13, v15, v16
	v_sub_f32_e32 v15, v24, v8
	v_mul_f32_e32 v16, 0x3fb8aa3b, v15
	v_fma_f32 v17, v15, s31, -v16
	v_rndne_f32_e32 v18, v16
	v_fmac_f32_e32 v17, 0x32a5705f, v15
	v_sub_f32_e32 v16, v16, v18
	v_add_f32_e32 v16, v16, v17
	v_exp_f32_e32 v16, v16
	v_cvt_i32_f32_e32 v17, v18
	v_cndmask_b32_e64 v12, v5, v12, s[12:13]
	v_cndmask_b32_e64 v12, 0, v12, s[10:11]
	v_cmp_ngt_f32_e64 s[10:11], s36, v14
	v_cndmask_b32_e64 v13, 0, v13, s[10:11]
	v_cmp_nlt_f32_e64 s[10:11], s37, v14
	v_ldexp_f32 v14, v16, v17
	v_sub_f32_e32 v16, v25, v8
	v_mul_f32_e32 v17, 0x3fb8aa3b, v16
	v_fma_f32 v18, v16, s31, -v17
	v_rndne_f32_e32 v19, v17
	v_fmac_f32_e32 v18, 0x32a5705f, v16
	v_sub_f32_e32 v17, v17, v19
	v_cndmask_b32_e64 v13, v5, v13, s[10:11]
	v_add_f32_e32 v17, v17, v18
	v_cndmask_b32_e64 v13, 0, v13, s[8:9]
	v_cmp_ngt_f32_e64 s[8:9], s36, v15
	v_exp_f32_e32 v17, v17
	v_cvt_i32_f32_e32 v18, v19
	v_cndmask_b32_e64 v14, 0, v14, s[8:9]
	v_cmp_nlt_f32_e64 s[8:9], s37, v15
	v_cndmask_b32_e64 v14, v5, v14, s[8:9]
	v_sub_f32_e32 v8, v26, v8
	v_cndmask_b32_e64 v14, 0, v14, s[2:3]
	v_mul_f32_e32 v15, 0x3fb8aa3b, v8
	s_waitcnt vmcnt(2)
	v_mul_f32_e32 v14, v2, v14
	v_ldexp_f32 v2, v17, v18
	v_fma_f32 v17, v8, s31, -v15
	v_rndne_f32_e32 v18, v15
	v_fmac_f32_e32 v17, 0x32a5705f, v8
	v_sub_f32_e32 v15, v15, v18
	v_add_f32_e32 v15, v15, v17
	v_cmp_ngt_f32_e64 s[2:3], s36, v16
	v_exp_f32_e32 v15, v15
	v_cvt_i32_f32_e32 v17, v18
	v_cndmask_b32_e64 v2, 0, v2, s[2:3]
	v_cmp_nlt_f32_e64 s[2:3], s37, v16
	v_cndmask_b32_e64 v2, v5, v2, s[2:3]
	v_cndmask_b32_e64 v2, 0, v2, s[0:1]
	s_waitcnt vmcnt(1)
	v_mul_f32_e32 v3, v3, v2
	v_ldexp_f32 v2, v15, v17
	v_cmp_ngt_f32_e64 s[0:1], s36, v8
	v_cndmask_b32_e64 v2, 0, v2, s[0:1]
	v_cmp_nlt_f32_e64 s[0:1], s37, v8
	v_cndmask_b32_e64 v2, v5, v2, s[0:1]
	v_mul_f32_e32 v1, v42, v1
	v_mul_f32_e32 v4, v43, v4
	v_cndmask_b32_e32 v2, 0, v2, vcc
	s_waitcnt vmcnt(0)
	v_mul_f32_e32 v5, v11, v2
	v_add_f32_e32 v2, v1, v4
	v_add_f32_e32 v2, v2, v6
	;; [unrolled: 1-line block ×4, first 2 shown]
	v_mul_f32_e32 v12, v44, v12
	v_add_f32_e32 v2, v2, v10
	v_mul_f32_e32 v13, v45, v13
	v_add_f32_e32 v2, v2, v12
	v_add_f32_e32 v2, v2, v13
	;; [unrolled: 1-line block ×5, first 2 shown]
	ds_bpermute_b32 v8, v35, v2
	v_lshlrev_b32_e32 v11, 2, v0
	ds_write2st64_b32 v11, v1, v4 offset1:1
	ds_write2st64_b32 v11, v6, v7 offset0:2 offset1:3
	ds_write2st64_b32 v11, v9, v10 offset0:4 offset1:5
	v_cmp_eq_u32_e32 vcc, 0, v0
	ds_write2st64_b32 v11, v12, v13 offset0:6 offset1:7
	ds_write2st64_b32 v11, v14, v3 offset0:8 offset1:9
	ds_write_b32 v11, v5 offset:2560
	s_waitcnt lgkmcnt(6)
	v_add_f32_e32 v2, v2, v8
	ds_bpermute_b32 v8, v36, v2
	s_waitcnt lgkmcnt(0)
	v_add_f32_e32 v2, v2, v8
	ds_bpermute_b32 v8, v37, v2
	;; [unrolled: 3-line block ×5, first 2 shown]
	s_and_saveexec_b64 s[0:1], vcc
	s_cbranch_execz .LBB222_8
; %bb.7:
	s_waitcnt lgkmcnt(0)
	v_add_f32_e32 v1, v1, v2
	v_mov_b32_e32 v2, 0
	ds_write_b32 v2, v1 offset:2816
.LBB222_8:
	s_or_b64 exec, exec, s[0:1]
	v_mov_b32_e32 v1, s30
.LBB222_9:
	s_or_b64 exec, exec, s[44:45]
	s_lshl_b32 s0, s46, 6
	s_mov_b32 s1, 0
	s_lshl_b64 s[0:1], s[0:1], 1
	s_add_u32 s0, s28, s0
	s_addc_u32 s1, s29, s1
	s_lshl_b32 s10, s33, 6
	s_waitcnt lgkmcnt(0)
	v_lshlrev_b32_e32 v2, 6, v1
	v_mov_b32_e32 v3, 0
	s_sub_i32 s11, s10, 64
	v_lshlrev_b64 v[4:5], 1, v[2:3]
	s_cmp_lt_i32 s50, 1
	v_mov_b32_e32 v1, s1
	v_add_co_u32_e32 v2, vcc, s0, v4
	s_cselect_b32 s0, s11, 0
	v_addc_co_u32_e32 v1, vcc, v1, v5, vcc
	v_lshlrev_b32_e32 v118, 1, v0
	s_ashr_i32 s1, s0, 31
	v_add_co_u32_e32 v0, vcc, v2, v118
	s_lshl_b64 s[0:1], s[0:1], 1
	v_addc_co_u32_e32 v1, vcc, 0, v1, vcc
	s_cmpk_lt_i32 s50, 0x101
	v_add_co_u32_e32 v4, vcc, s0, v0
	s_cselect_b32 s0, s11, 64
	v_mov_b32_e32 v2, s1
	s_ashr_i32 s1, s0, 31
	s_lshl_b64 s[0:1], s[0:1], 1
	v_addc_co_u32_e32 v5, vcc, v1, v2, vcc
	s_cmpk_lt_i32 s50, 0x201
	v_add_co_u32_e32 v6, vcc, s0, v0
	s_cselect_b32 s0, s11, 0x80
	v_mov_b32_e32 v2, s1
	s_ashr_i32 s1, s0, 31
	;; [unrolled: 7-line block ×8, first 2 shown]
	s_lshl_b64 s[0:1], s[0:1], 1
	v_addc_co_u32_e32 v19, vcc, v1, v2, vcc
	s_cmpk_lt_i32 s50, 0x901
	global_load_ushort v42, v[4:5], off
	global_load_ushort v41, v[6:7], off
	;; [unrolled: 1-line block ×8, first 2 shown]
	v_add_co_u32_e32 v4, vcc, s0, v0
	s_cselect_b32 s0, s11, 0x240
	v_mov_b32_e32 v5, s1
	s_ashr_i32 s1, s0, 31
	s_lshl_b64 s[0:1], s[0:1], 1
	v_addc_co_u32_e32 v5, vcc, v1, v5, vcc
	s_cmpk_lt_i32 s50, 0xa01
	v_add_co_u32_e32 v6, vcc, s0, v0
	s_cselect_b32 s0, s11, 0x280
	v_mov_b32_e32 v7, s1
	s_ashr_i32 s1, s0, 31
	s_lshl_b64 s[0:1], s[0:1], 1
	v_addc_co_u32_e32 v7, vcc, v1, v7, vcc
	s_cmpk_lt_i32 s50, 0xb01
	;; [unrolled: 7-line block ×6, first 2 shown]
	v_add_co_u32_e32 v16, vcc, s0, v0
	s_cselect_b32 s0, s11, 0x3c0
	v_mov_b32_e32 v17, s1
	s_ashr_i32 s1, s0, 31
	v_addc_co_u32_e32 v17, vcc, v1, v17, vcc
	s_lshl_b64 s[0:1], s[0:1], 1
	v_mov_b32_e32 v19, s1
	v_add_co_u32_e32 v18, vcc, s0, v0
	v_addc_co_u32_e32 v19, vcc, v1, v19, vcc
	global_load_ushort v49, v[4:5], off
	global_load_ushort v50, v[6:7], off
	;; [unrolled: 1-line block ×8, first 2 shown]
	s_cmpk_gt_i32 s50, 0x1000
	s_cselect_b64 s[8:9], -1, 0
	s_cmpk_lt_i32 s50, 0x1001
	v_mov_b32_e32 v59, 0
	v_mov_b32_e32 v60, 0
	;; [unrolled: 1-line block ×48, first 2 shown]
	s_waitcnt lgkmcnt(0)
	; wave barrier
	s_cbranch_scc1 .LBB222_12
; %bb.10:
	s_cmpk_lt_u32 s50, 0x1101
	s_cselect_b32 s0, s11, 0x440
	s_ashr_i32 s1, s0, 31
	s_lshl_b64 s[0:1], s[0:1], 1
	s_cmpk_lt_u32 s50, 0x1201
	v_add_co_u32_e32 v4, vcc, s0, v0
	s_cselect_b32 s0, s11, 0x480
	v_mov_b32_e32 v5, s1
	s_ashr_i32 s1, s0, 31
	s_lshl_b64 s[0:1], s[0:1], 1
	v_addc_co_u32_e32 v5, vcc, v1, v5, vcc
	s_cmpk_lt_u32 s50, 0x1301
	v_add_co_u32_e32 v6, vcc, s0, v0
	s_cselect_b32 s0, s11, 0x4c0
	v_mov_b32_e32 v7, s1
	s_ashr_i32 s1, s0, 31
	s_lshl_b64 s[0:1], s[0:1], 1
	v_addc_co_u32_e32 v7, vcc, v1, v7, vcc
	;; [unrolled: 7-line block ×7, first 2 shown]
	s_cmpk_lt_u32 s50, 0x1901
	global_load_ushort v58, v[0:1], off offset:2048
	global_load_ushort v57, v[4:5], off
	global_load_ushort v56, v[6:7], off
	;; [unrolled: 1-line block ×7, first 2 shown]
	v_add_co_u32_e32 v4, vcc, s0, v0
	s_cselect_b32 s0, s11, 0x640
	v_mov_b32_e32 v5, s1
	s_ashr_i32 s1, s0, 31
	s_lshl_b64 s[0:1], s[0:1], 1
	v_addc_co_u32_e32 v5, vcc, v1, v5, vcc
	s_cmpk_lt_u32 s50, 0x1a01
	v_add_co_u32_e32 v6, vcc, s0, v0
	s_cselect_b32 s0, s11, 0x680
	v_mov_b32_e32 v7, s1
	s_ashr_i32 s1, s0, 31
	s_lshl_b64 s[0:1], s[0:1], 1
	v_addc_co_u32_e32 v7, vcc, v1, v7, vcc
	s_cmpk_lt_u32 s50, 0x1b01
	;; [unrolled: 7-line block ×6, first 2 shown]
	v_add_co_u32_e32 v16, vcc, s0, v0
	s_cselect_b32 s0, s11, 0x7c0
	v_mov_b32_e32 v17, s1
	s_ashr_i32 s1, s0, 31
	v_addc_co_u32_e32 v17, vcc, v1, v17, vcc
	s_lshl_b64 s[0:1], s[0:1], 1
	v_mov_b32_e32 v19, s1
	v_add_co_u32_e32 v18, vcc, s0, v0
	v_addc_co_u32_e32 v19, vcc, v1, v19, vcc
	global_load_ushort v66, v[4:5], off
	global_load_ushort v65, v[6:7], off
	;; [unrolled: 1-line block ×8, first 2 shown]
	s_cmpk_lt_u32 s50, 0x2001
	v_mov_b32_e32 v35, 0
	v_mov_b32_e32 v33, 0
	;; [unrolled: 1-line block ×32, first 2 shown]
	s_cbranch_scc1 .LBB222_12
; %bb.11:
	s_cmpk_lt_u32 s50, 0x2101
	s_cselect_b32 s0, s11, 0x840
	s_ashr_i32 s1, s0, 31
	s_lshl_b64 s[0:1], s[0:1], 1
	s_cmpk_lt_u32 s50, 0x2201
	v_add_co_u32_e32 v4, vcc, s0, v0
	s_cselect_b32 s0, s11, 0x880
	v_mov_b32_e32 v5, s1
	s_ashr_i32 s1, s0, 31
	s_lshl_b64 s[0:1], s[0:1], 1
	v_addc_co_u32_e32 v5, vcc, v1, v5, vcc
	s_cmpk_lt_u32 s50, 0x2301
	v_add_co_u32_e32 v6, vcc, s0, v0
	s_cselect_b32 s0, s11, 0x8c0
	v_mov_b32_e32 v7, s1
	s_ashr_i32 s1, s0, 31
	s_lshl_b64 s[0:1], s[0:1], 1
	v_addc_co_u32_e32 v7, vcc, v1, v7, vcc
	;; [unrolled: 7-line block ×30, first 2 shown]
	v_mov_b32_e32 v67, s1
	s_movk_i32 s1, 0x1000
	v_add_co_u32_e32 v96, vcc, s1, v0
	v_addc_co_u32_e32 v97, vcc, 0, v1, vcc
	global_load_ushort v98, v[96:97], off
	global_load_ushort v99, v[4:5], off
	global_load_ushort v100, v[6:7], off
	global_load_ushort v101, v[8:9], off
	global_load_ushort v102, v[10:11], off
	global_load_ushort v103, v[12:13], off
	global_load_ushort v104, v[14:15], off
	global_load_ushort v105, v[16:17], off
	global_load_ushort v106, v[18:19], off
	global_load_ushort v107, v[20:21], off
	global_load_ushort v108, v[22:23], off
	global_load_ushort v109, v[26:27], off
	global_load_ushort v110, v[30:31], off
	global_load_ushort v111, v[34:35], off
	global_load_ushort v112, v[68:69], off
                                        ; kill: killed $vgpr16 killed $vgpr17
                                        ; kill: killed $vgpr22 killed $vgpr23
                                        ; kill: killed $vgpr6 killed $vgpr7
                                        ; kill: killed $vgpr96 killed $vgpr97
                                        ; kill: killed $vgpr34 killed $vgpr35
                                        ; kill: killed $vgpr12 killed $vgpr13
                                        ; kill: killed $vgpr18 killed $vgpr19
                                        ; kill: killed $vgpr26 killed $vgpr27
                                        ; kill: killed $vgpr8 killed $vgpr9
                                        ; kill: killed $vgpr68 killed $vgpr69
                                        ; kill: killed $vgpr14 killed $vgpr15
                                        ; kill: killed $vgpr20 killed $vgpr21
                                        ; kill: killed $vgpr4 killed $vgpr5
                                        ; kill: killed $vgpr30 killed $vgpr31
                                        ; kill: killed $vgpr10 killed $vgpr11
	global_load_ushort v6, v[24:25], off
	global_load_ushort v7, v[28:29], off
	;; [unrolled: 1-line block ×15, first 2 shown]
                                        ; kill: killed $vgpr80 killed $vgpr81
                                        ; kill: killed $vgpr24 killed $vgpr25
                                        ; kill: killed $vgpr70 killed $vgpr71
                                        ; kill: killed $vgpr92 killed $vgpr93
                                        ; kill: killed $vgpr76 killed $vgpr77
                                        ; kill: killed $vgpr82 killed $vgpr83
                                        ; kill: killed $vgpr28 killed $vgpr29
                                        ; kill: killed $vgpr88 killed $vgpr89
                                        ; kill: killed $vgpr72 killed $vgpr73
                                        ; kill: killed $vgpr94 killed $vgpr95
                                        ; kill: killed $vgpr78 killed $vgpr79
                                        ; kill: killed $vgpr84 killed $vgpr85
                                        ; kill: killed $vgpr32 killed $vgpr33
                                        ; kill: killed $vgpr90 killed $vgpr91
                                        ; kill: killed $vgpr74 killed $vgpr75
	global_load_ushort v70, v[86:87], off
	v_add_co_u32_e32 v4, vcc, s0, v0
	v_addc_co_u32_e32 v5, vcc, v1, v67, vcc
	global_load_ushort v5, v[4:5], off
	s_waitcnt vmcnt(31)
	v_lshlrev_b32_e32 v35, 16, v98
	s_waitcnt vmcnt(30)
	v_lshlrev_b32_e32 v33, 16, v99
	;; [unrolled: 2-line block ×32, first 2 shown]
.LBB222_12:
	s_load_dwordx2 s[0:1], s[4:5], 0x0
	s_load_dwordx2 s[2:3], s[4:5], 0x38
	ds_read_b128 v[68:71], v3
	s_waitcnt vmcnt(15)
	v_lshlrev_b32_e32 v42, 16, v42
	s_waitcnt vmcnt(14)
	v_lshlrev_b32_e32 v41, 16, v41
	ds_read_b128 v[72:75], v3 offset:16
	ds_read_b128 v[76:79], v3 offset:32
	;; [unrolled: 1-line block ×3, first 2 shown]
	s_waitcnt vmcnt(13)
	v_lshlrev_b32_e32 v40, 16, v40
	s_waitcnt lgkmcnt(0)
	v_fma_f32 v42, v68, v42, 0
	v_fmac_f32_e32 v42, v69, v41
	v_fmac_f32_e32 v42, v70, v40
	s_waitcnt vmcnt(12)
	v_lshlrev_b32_e32 v39, 16, v39
	v_fmac_f32_e32 v42, v71, v39
	s_waitcnt vmcnt(10)
	v_lshlrev_b32_e32 v39, 16, v38
	v_lshlrev_b32_e32 v38, 16, v37
	v_pk_mul_f32 v[38:39], v[72:73], v[38:39]
	v_add_f32_e32 v37, v42, v38
	v_add_f32_e32 v38, v37, v39
	s_waitcnt vmcnt(8)
	v_lshlrev_b32_e32 v37, 16, v36
	v_lshlrev_b32_e32 v36, 16, v2
	v_pk_mul_f32 v[36:37], v[74:75], v[36:37]
	v_add_f32_e32 v2, v38, v36
	v_add_f32_e32 v2, v2, v37
	;; [unrolled: 6-line block ×6, first 2 shown]
	s_and_b64 vcc, exec, s[8:9]
	s_cbranch_vccz .LBB222_15
; %bb.13:
	ds_read_b128 v[36:39], v3 offset:64
	v_lshlrev_b32_e32 v2, 16, v58
	ds_read_b128 v[40:43], v3 offset:80
	ds_read_b128 v[44:47], v3 offset:96
	;; [unrolled: 1-line block ×3, first 2 shown]
	s_cmpk_lt_u32 s50, 0x2001
	s_waitcnt lgkmcnt(3)
	v_fmac_f32_e32 v119, v36, v2
	v_lshlrev_b32_e32 v2, 16, v57
	v_fmac_f32_e32 v119, v37, v2
	v_lshlrev_b32_e32 v2, 16, v56
	v_fmac_f32_e32 v119, v38, v2
	v_lshlrev_b32_e32 v2, 16, v55
	v_fmac_f32_e32 v119, v39, v2
	v_lshlrev_b32_e32 v2, 16, v54
	s_waitcnt lgkmcnt(2)
	v_fmac_f32_e32 v119, v40, v2
	v_lshlrev_b32_e32 v2, 16, v53
	v_fmac_f32_e32 v119, v41, v2
	v_lshlrev_b32_e32 v2, 16, v52
	v_fmac_f32_e32 v119, v42, v2
	v_lshlrev_b32_e32 v2, 16, v51
	v_fmac_f32_e32 v119, v43, v2
	v_lshlrev_b32_e32 v2, 16, v66
	s_waitcnt lgkmcnt(1)
	v_fmac_f32_e32 v119, v44, v2
	v_lshlrev_b32_e32 v2, 16, v65
	v_fmac_f32_e32 v119, v45, v2
	v_lshlrev_b32_e32 v2, 16, v64
	v_fmac_f32_e32 v119, v46, v2
	v_lshlrev_b32_e32 v2, 16, v63
	v_fmac_f32_e32 v119, v47, v2
	v_lshlrev_b32_e32 v2, 16, v62
	s_waitcnt lgkmcnt(0)
	v_fmac_f32_e32 v119, v68, v2
	v_lshlrev_b32_e32 v2, 16, v61
	v_fmac_f32_e32 v119, v69, v2
	v_lshlrev_b32_e32 v2, 16, v60
	;; [unrolled: 2-line block ×3, first 2 shown]
	v_fmac_f32_e32 v119, v71, v2
	s_cbranch_scc1 .LBB222_15
; %bb.14:
	v_mov_b32_e32 v52, 0
	ds_read_b128 v[36:39], v52 offset:128
	ds_read_b128 v[40:43], v52 offset:144
	;; [unrolled: 1-line block ×4, first 2 shown]
	s_waitcnt lgkmcnt(3)
	v_fmac_f32_e32 v119, v36, v35
	v_fmac_f32_e32 v119, v37, v33
	v_fmac_f32_e32 v119, v38, v34
	v_fmac_f32_e32 v119, v39, v31
	s_waitcnt lgkmcnt(2)
	v_fmac_f32_e32 v119, v40, v32
	v_fmac_f32_e32 v119, v41, v29
	v_fmac_f32_e32 v119, v42, v30
	v_fmac_f32_e32 v119, v43, v27
	;; [unrolled: 5-line block ×3, first 2 shown]
	s_waitcnt lgkmcnt(0)
	v_fmac_f32_e32 v119, v48, v24
	ds_read_b128 v[24:27], v52 offset:192
	v_fmac_f32_e32 v119, v49, v21
	v_fmac_f32_e32 v119, v50, v22
	;; [unrolled: 1-line block ×3, first 2 shown]
	ds_read_b128 v[20:23], v52 offset:208
	s_waitcnt lgkmcnt(1)
	v_fmac_f32_e32 v119, v24, v19
	v_fmac_f32_e32 v119, v25, v17
	;; [unrolled: 1-line block ×4, first 2 shown]
	s_waitcnt lgkmcnt(0)
	v_pk_mul_f32 v[2:3], v[20:21], v[14:15]
	ds_read_b128 v[14:17], v52 offset:224
	v_add_f32_e32 v2, v119, v2
	v_add_f32_e32 v18, v2, v3
	v_pk_mul_f32 v[2:3], v[22:23], v[12:13]
	v_add_f32_e32 v2, v18, v2
	ds_read_b128 v[18:21], v52 offset:240
	v_add_f32_e32 v12, v2, v3
	s_waitcnt lgkmcnt(1)
	v_pk_mul_f32 v[2:3], v[14:15], v[10:11]
	v_add_f32_e32 v2, v12, v2
	v_add_f32_e32 v10, v2, v3
	v_pk_mul_f32 v[2:3], v[16:17], v[8:9]
	v_add_f32_e32 v2, v10, v2
	v_add_f32_e32 v8, v2, v3
	s_waitcnt lgkmcnt(0)
	v_pk_mul_f32 v[2:3], v[18:19], v[6:7]
	v_add_f32_e32 v2, v8, v2
	v_add_f32_e32 v6, v2, v3
	v_pk_mul_f32 v[2:3], v[20:21], v[4:5]
	v_add_f32_e32 v2, v6, v2
	v_add_f32_e32 v119, v2, v3
.LBB222_15:
	s_movk_i32 s4, 0x1fc0
	s_movk_i32 s5, 0x100
	s_mov_b32 s8, 64
	s_branch .LBB222_17
.LBB222_16:                             ;   in Loop: Header=BB222_17 Depth=1
	s_addk_i32 s4, 0x1000
	s_addk_i32 s5, 0x100
	s_add_i32 s8, s8, 64
	s_cmpk_eq_u32 s4, 0xbfc0
	s_cbranch_scc1 .LBB222_19
.LBB222_17:                             ; =>This Inner Loop Header: Depth=1
	s_cmp_le_i32 s33, s8
	s_cbranch_scc1 .LBB222_16
; %bb.18:                               ;   in Loop: Header=BB222_17 Depth=1
	s_add_i32 s9, s4, 0xfffff040
	s_cmp_lt_i32 s9, s10
	s_cselect_b32 s12, s9, s11
	s_ashr_i32 s13, s12, 31
	s_lshl_b64 s[12:13], s[12:13], 1
	s_add_i32 s9, s4, 0xfffff080
	s_cmp_lt_i32 s9, s10
	v_add_co_u32_e32 v4, vcc, s12, v0
	s_cselect_b32 s12, s9, s11
	v_mov_b32_e32 v2, s13
	s_ashr_i32 s13, s12, 31
	s_lshl_b64 s[12:13], s[12:13], 1
	s_add_i32 s9, s4, 0xfffff0c0
	v_addc_co_u32_e32 v5, vcc, v1, v2, vcc
	s_cmp_lt_i32 s9, s10
	v_add_co_u32_e32 v2, vcc, s12, v0
	s_cselect_b32 s12, s9, s11
	v_mov_b32_e32 v3, s13
	s_ashr_i32 s13, s12, 31
	s_lshl_b64 s[12:13], s[12:13], 1
	s_add_i32 s9, s4, 0xfffff100
	v_addc_co_u32_e32 v3, vcc, v1, v3, vcc
	;; [unrolled: 8-line block ×21, first 2 shown]
	s_cmp_lt_i32 s9, s10
	global_load_ushort v120, v[4:5], off
	global_load_ushort v122, v[6:7], off
	;; [unrolled: 1-line block ×4, first 2 shown]
	v_add_co_u32_e32 v44, vcc, s12, v0
	s_cselect_b32 s12, s9, s11
	v_mov_b32_e32 v45, s13
	s_ashr_i32 s13, s12, 31
	s_lshl_b64 s[12:13], s[12:13], 1
	s_add_i32 s9, s4, 0xfffff600
	v_addc_co_u32_e32 v45, vcc, v1, v45, vcc
	s_cmp_lt_i32 s9, s10
	v_add_co_u32_e32 v46, vcc, s12, v0
	s_cselect_b32 s12, s9, s11
	v_mov_b32_e32 v47, s13
	s_ashr_i32 s13, s12, 31
	s_lshl_b64 s[12:13], s[12:13], 1
	s_add_i32 s9, s4, 0xfffff640
	v_addc_co_u32_e32 v47, vcc, v1, v47, vcc
	s_cmp_lt_i32 s9, s10
	;; [unrolled: 8-line block ×8, first 2 shown]
	global_load_ushort v121, v[2:3], off
	v_add_co_u32_e32 v60, vcc, s12, v0
	s_cselect_b32 s12, s9, s11
	v_mov_b32_e32 v61, s13
	s_ashr_i32 s13, s12, 31
	s_lshl_b64 s[12:13], s[12:13], 1
	s_add_i32 s9, s4, 0xfffff800
	v_addc_co_u32_e32 v61, vcc, v1, v61, vcc
	s_cmp_lt_i32 s9, s10
	v_add_co_u32_e32 v62, vcc, s12, v0
	s_cselect_b32 s12, s9, s11
	global_load_ushort v125, v[12:13], off
	global_load_ushort v126, v[14:15], off
	v_mov_b32_e32 v63, s13
	s_ashr_i32 s13, s12, 31
	global_load_ushort v127, v[16:17], off
	global_load_ushort v128, v[18:19], off
	;; [unrolled: 1-line block ×3, first 2 shown]
	s_lshl_b64 s[12:13], s[12:13], 1
	s_add_i32 s9, s4, 0xfffff840
	v_addc_co_u32_e32 v63, vcc, v1, v63, vcc
	s_cmp_lt_i32 s9, s10
	v_add_co_u32_e32 v64, vcc, s12, v0
	s_cselect_b32 s12, s9, s11
	v_mov_b32_e32 v65, s13
	s_ashr_i32 s13, s12, 31
	s_lshl_b64 s[12:13], s[12:13], 1
	s_add_i32 s9, s4, 0xfffff880
	v_addc_co_u32_e32 v65, vcc, v1, v65, vcc
	s_cmp_lt_i32 s9, s10
	v_add_co_u32_e32 v66, vcc, s12, v0
	s_cselect_b32 s12, s9, s11
	v_mov_b32_e32 v67, s13
	s_ashr_i32 s13, s12, 31
	global_load_ushort v130, v[22:23], off
	global_load_ushort v131, v[24:25], off
	s_lshl_b64 s[12:13], s[12:13], 1
	s_add_i32 s9, s4, 0xfffff8c0
	v_addc_co_u32_e32 v67, vcc, v1, v67, vcc
	s_cmp_lt_i32 s9, s10
	global_load_ushort v132, v[26:27], off
	global_load_ushort v133, v[28:29], off
	v_add_co_u32_e32 v68, vcc, s12, v0
	s_cselect_b32 s12, s9, s11
	v_mov_b32_e32 v69, s13
	s_ashr_i32 s13, s12, 31
	s_lshl_b64 s[12:13], s[12:13], 1
	s_add_i32 s9, s4, 0xfffff900
	v_addc_co_u32_e32 v69, vcc, v1, v69, vcc
	s_cmp_lt_i32 s9, s10
	v_add_co_u32_e32 v70, vcc, s12, v0
	s_cselect_b32 s12, s9, s11
	v_mov_b32_e32 v71, s13
	s_ashr_i32 s13, s12, 31
	global_load_ushort v134, v[30:31], off
	global_load_ushort v135, v[32:33], off
	s_lshl_b64 s[12:13], s[12:13], 1
	s_add_i32 s9, s4, 0xfffff940
	v_addc_co_u32_e32 v71, vcc, v1, v71, vcc
	s_cmp_lt_i32 s9, s10
	v_add_co_u32_e32 v72, vcc, s12, v0
	s_cselect_b32 s12, s9, s11
	v_mov_b32_e32 v73, s13
	s_ashr_i32 s13, s12, 31
	s_lshl_b64 s[12:13], s[12:13], 1
	s_add_i32 s9, s4, 0xfffff980
	global_load_ushort v30, v[34:35], off
	global_load_ushort v31, v[36:37], off
	;; [unrolled: 1-line block ×4, first 2 shown]
	v_addc_co_u32_e32 v73, vcc, v1, v73, vcc
	s_cmp_lt_i32 s9, s10
	v_add_co_u32_e32 v74, vcc, s12, v0
	s_cselect_b32 s12, s9, s11
	v_mov_b32_e32 v75, s13
	s_ashr_i32 s13, s12, 31
	s_lshl_b64 s[12:13], s[12:13], 1
	s_add_i32 s9, s4, 0xfffff9c0
	v_addc_co_u32_e32 v75, vcc, v1, v75, vcc
	s_cmp_lt_i32 s9, s10
	v_add_co_u32_e32 v76, vcc, s12, v0
	s_cselect_b32 s12, s9, s11
	v_mov_b32_e32 v77, s13
	s_ashr_i32 s13, s12, 31
	s_lshl_b64 s[12:13], s[12:13], 1
	s_add_i32 s9, s4, 0xfffffa00
	v_addc_co_u32_e32 v77, vcc, v1, v77, vcc
	s_cmp_lt_i32 s9, s10
	v_add_co_u32_e32 v78, vcc, s12, v0
	s_cselect_b32 s12, s9, s11
	global_load_ushort v34, v[42:43], off
	global_load_ushort v35, v[44:45], off
	v_mov_b32_e32 v79, s13
	s_ashr_i32 s13, s12, 31
	s_lshl_b64 s[12:13], s[12:13], 1
	s_add_i32 s9, s4, 0xfffffa40
	v_addc_co_u32_e32 v79, vcc, v1, v79, vcc
	s_cmp_lt_i32 s9, s10
	v_add_co_u32_e32 v80, vcc, s12, v0
	s_cselect_b32 s12, s9, s11
	v_mov_b32_e32 v81, s13
	s_ashr_i32 s13, s12, 31
	global_load_ushort v38, v[46:47], off
	s_lshl_b64 s[12:13], s[12:13], 1
	s_add_i32 s9, s4, 0xfffffa80
	v_mov_b32_e32 v37, s5
	v_addc_co_u32_e32 v81, vcc, v1, v81, vcc
	s_cmp_lt_i32 s9, s10
	ds_read_b128 v[14:17], v37
	ds_read_b128 v[18:21], v37 offset:16
	global_load_ushort v39, v[48:49], off
	v_add_co_u32_e32 v82, vcc, s12, v0
	s_cselect_b32 s12, s9, s11
	v_mov_b32_e32 v83, s13
	s_ashr_i32 s13, s12, 31
	s_lshl_b64 s[12:13], s[12:13], 1
	s_add_i32 s9, s4, 0xfffffac0
	v_addc_co_u32_e32 v83, vcc, v1, v83, vcc
	s_cmp_lt_i32 s9, s10
	s_waitcnt vmcnt(23)
	v_lshlrev_b32_e32 v36, 16, v120
	v_add_co_u32_e32 v84, vcc, s12, v0
	s_cselect_b32 s12, s9, s11
	ds_read_b128 v[22:25], v37 offset:32
	ds_read_b128 v[26:29], v37 offset:48
	s_waitcnt lgkmcnt(3)
	v_fmac_f32_e32 v119, v14, v36
	global_load_ushort v36, v[50:51], off
	global_load_ushort v40, v[52:53], off
	;; [unrolled: 1-line block ×6, first 2 shown]
	v_mov_b32_e32 v85, s13
	s_ashr_i32 s13, s12, 31
	s_lshl_b64 s[12:13], s[12:13], 1
	s_add_i32 s9, s4, 0xfffffb00
	v_addc_co_u32_e32 v85, vcc, v1, v85, vcc
	s_cmp_lt_i32 s9, s10
	v_add_co_u32_e32 v86, vcc, s12, v0
	s_cselect_b32 s12, s9, s11
	v_mov_b32_e32 v87, s13
	s_ashr_i32 s13, s12, 31
	s_lshl_b64 s[12:13], s[12:13], 1
	s_add_i32 s9, s4, 0xfffffb40
	v_addc_co_u32_e32 v87, vcc, v1, v87, vcc
	s_cmp_lt_i32 s9, s10
	v_add_co_u32_e32 v88, vcc, s12, v0
	s_cselect_b32 s12, s9, s11
	;; [unrolled: 8-line block ×7, first 2 shown]
	v_mov_b32_e32 v99, s13
	s_ashr_i32 s13, s12, 31
	s_lshl_b64 s[12:13], s[12:13], 1
	s_add_i32 s9, s4, 0xfffffcc0
	v_addc_co_u32_e32 v99, vcc, v1, v99, vcc
	s_cmp_lt_i32 s9, s10
	s_waitcnt vmcnt(25)
	v_lshlrev_b32_e32 v14, 16, v121
	v_add_co_u32_e32 v100, vcc, s12, v0
	s_cselect_b32 s12, s9, s11
	v_fmac_f32_e32 v119, v15, v14
	v_lshlrev_b32_e32 v14, 16, v122
	v_mov_b32_e32 v101, s13
	s_ashr_i32 s13, s12, 31
	v_fmac_f32_e32 v119, v16, v14
	v_lshlrev_b32_e32 v14, 16, v123
	s_lshl_b64 s[12:13], s[12:13], 1
	s_add_i32 s9, s4, 0xfffffd00
	v_fmac_f32_e32 v119, v17, v14
	v_lshlrev_b32_e32 v14, 16, v124
	v_addc_co_u32_e32 v101, vcc, v1, v101, vcc
	s_cmp_lt_i32 s9, s10
	s_waitcnt lgkmcnt(2)
	v_fmac_f32_e32 v119, v18, v14
	s_waitcnt vmcnt(24)
	v_lshlrev_b32_e32 v14, 16, v125
	v_add_co_u32_e32 v102, vcc, s12, v0
	s_cselect_b32 s12, s9, s11
	v_fmac_f32_e32 v119, v19, v14
	s_waitcnt vmcnt(23)
	v_lshlrev_b32_e32 v14, 16, v126
	v_mov_b32_e32 v103, s13
	s_ashr_i32 s13, s12, 31
	v_fmac_f32_e32 v119, v20, v14
	s_waitcnt vmcnt(22)
	v_lshlrev_b32_e32 v14, 16, v127
	s_lshl_b64 s[12:13], s[12:13], 1
	s_add_i32 s9, s4, 0xfffffd40
	v_fmac_f32_e32 v119, v21, v14
	s_waitcnt vmcnt(21)
	v_lshlrev_b32_e32 v14, 16, v128
	v_addc_co_u32_e32 v103, vcc, v1, v103, vcc
	s_cmp_lt_i32 s9, s10
	s_waitcnt lgkmcnt(1)
	v_fmac_f32_e32 v119, v22, v14
	global_load_ushort v22, v[62:63], off
	v_add_co_u32_e32 v104, vcc, s12, v0
	s_cselect_b32 s12, s9, s11
	v_mov_b32_e32 v105, s13
	s_ashr_i32 s13, s12, 31
	s_lshl_b64 s[12:13], s[12:13], 1
	s_add_i32 s9, s4, 0xfffffd80
	s_waitcnt vmcnt(21)
	v_lshlrev_b32_e32 v14, 16, v129
	v_addc_co_u32_e32 v105, vcc, v1, v105, vcc
	s_cmp_lt_i32 s9, s10
	v_fmac_f32_e32 v119, v23, v14
	global_load_ushort v23, v[64:65], off
	v_add_co_u32_e32 v106, vcc, s12, v0
	s_cselect_b32 s12, s9, s11
	s_waitcnt vmcnt(21)
	v_lshlrev_b32_e32 v14, 16, v130
	global_load_ushort v45, v[66:67], off
	v_mov_b32_e32 v107, s13
	s_ashr_i32 s13, s12, 31
	v_fmac_f32_e32 v119, v24, v14
	global_load_ushort v24, v[68:69], off
	s_waitcnt vmcnt(22)
	v_lshlrev_b32_e32 v14, 16, v131
	s_lshl_b64 s[12:13], s[12:13], 1
	s_add_i32 s9, s4, 0xfffffdc0
	v_fmac_f32_e32 v119, v25, v14
	global_load_ushort v25, v[70:71], off
	global_load_ushort v46, v[72:73], off
	v_addc_co_u32_e32 v107, vcc, v1, v107, vcc
	s_cmp_lt_i32 s9, s10
	s_waitcnt vmcnt(23)
	v_lshlrev_b32_e32 v14, 16, v132
	v_add_co_u32_e32 v110, vcc, s12, v0
	s_cselect_b32 s12, s9, s11
	s_waitcnt lgkmcnt(0)
	v_fmac_f32_e32 v119, v26, v14
	global_load_ushort v26, v[74:75], off
	global_load_ushort v47, v[76:77], off
	v_mov_b32_e32 v108, s13
	s_ashr_i32 s13, s12, 31
	s_waitcnt vmcnt(24)
	v_lshlrev_b32_e32 v14, 16, v133
	s_lshl_b64 s[12:13], s[12:13], 1
	s_add_i32 s9, s4, 0xfffffe00
	v_fmac_f32_e32 v119, v27, v14
	global_load_ushort v27, v[78:79], off
	v_addc_co_u32_e32 v111, vcc, v1, v108, vcc
	s_cmp_lt_i32 s9, s10
	v_add_co_u32_e32 v108, vcc, s12, v0
	s_cselect_b32 s12, s9, s11
	s_waitcnt vmcnt(24)
	v_lshlrev_b32_e32 v14, 16, v134
	v_mov_b32_e32 v109, s13
	s_ashr_i32 s13, s12, 31
	v_fmac_f32_e32 v119, v28, v14
	global_load_ushort v28, v[80:81], off
	s_waitcnt vmcnt(24)
	v_lshlrev_b32_e32 v14, 16, v135
	s_lshl_b64 s[12:13], s[12:13], 1
	s_add_i32 s9, s4, 0xfffffe40
	v_fmac_f32_e32 v119, v29, v14
	ds_read_b128 v[14:17], v37 offset:64
	ds_read_b128 v[18:21], v37 offset:80
	v_addc_co_u32_e32 v109, vcc, v1, v109, vcc
	s_cmp_lt_i32 s9, s10
	global_load_ushort v48, v[82:83], off
	global_load_ushort v29, v[84:85], off
	;; [unrolled: 1-line block ×4, first 2 shown]
	v_add_co_u32_e32 v114, vcc, s12, v0
	s_cselect_b32 s12, s9, s11
	v_mov_b32_e32 v112, s13
	s_ashr_i32 s13, s12, 31
	s_lshl_b64 s[12:13], s[12:13], 1
	s_add_i32 s9, s4, 0xfffffe80
	s_waitcnt vmcnt(27)
	v_lshlrev_b32_e32 v30, 16, v30
	v_addc_co_u32_e32 v115, vcc, v1, v112, vcc
	s_cmp_lt_i32 s9, s10
	s_waitcnt lgkmcnt(1)
	v_fmac_f32_e32 v119, v14, v30
	global_load_ushort v30, v[90:91], off
	v_add_co_u32_e32 v112, vcc, s12, v0
	s_cselect_b32 s12, s9, s11
	s_waitcnt vmcnt(27)
	v_lshlrev_b32_e32 v14, 16, v31
	global_load_ushort v31, v[92:93], off
	global_load_ushort v51, v[94:95], off
	v_mov_b32_e32 v113, s13
	s_ashr_i32 s13, s12, 31
	s_lshl_b64 s[12:13], s[12:13], 1
	s_add_i32 s9, s4, 0xfffffec0
	v_addc_co_u32_e32 v113, vcc, v1, v113, vcc
	s_cmp_lt_i32 s9, s10
	v_add_co_u32_e32 v116, vcc, s12, v0
	s_cselect_b32 s12, s9, s11
	v_mov_b32_e32 v117, s13
	s_ashr_i32 s13, s12, 31
	v_fmac_f32_e32 v119, v15, v14
	s_waitcnt vmcnt(28)
	v_lshlrev_b32_e32 v14, 16, v32
	global_load_ushort v32, v[96:97], off
	s_lshl_b64 s[12:13], s[12:13], 1
	s_add_i32 s9, s4, 0xffffff00
	v_fmac_f32_e32 v119, v16, v14
	s_waitcnt vmcnt(28)
	v_lshlrev_b32_e32 v14, 16, v33
	global_load_ushort v33, v[98:99], off
	v_addc_co_u32_e32 v117, vcc, v1, v117, vcc
	s_cmp_lt_i32 s9, s10
	v_fmac_f32_e32 v119, v17, v14
	s_waitcnt vmcnt(28)
	v_lshlrev_b32_e32 v14, 16, v34
	global_load_ushort v34, v[100:101], off
	global_load_ushort v52, v[102:103], off
	v_add_co_u32_e32 v2, vcc, s12, v0
	s_cselect_b32 s12, s9, s11
	v_mov_b32_e32 v4, s13
	s_ashr_i32 s13, s12, 31
	s_lshl_b64 s[12:13], s[12:13], 1
	s_add_i32 s9, s4, 0xffffff40
	s_waitcnt lgkmcnt(0)
	v_fmac_f32_e32 v119, v18, v14
	s_waitcnt vmcnt(29)
	v_lshlrev_b32_e32 v14, 16, v35
	global_load_ushort v35, v[104:105], off
	global_load_ushort v53, v[106:107], off
	;; [unrolled: 1-line block ×3, first 2 shown]
	v_addc_co_u32_e32 v3, vcc, v1, v4, vcc
	s_cmp_lt_i32 s9, s10
	v_add_co_u32_e32 v4, vcc, s12, v0
	s_cselect_b32 s12, s9, s11
	v_mov_b32_e32 v5, s13
	s_ashr_i32 s13, s12, 31
	v_fmac_f32_e32 v119, v19, v14
	s_waitcnt vmcnt(31)
	v_lshlrev_b32_e32 v14, 16, v38
	global_load_ushort v38, v[108:109], off
	global_load_ushort v55, v[114:115], off
	s_lshl_b64 s[12:13], s[12:13], 1
	s_add_i32 s9, s4, 0xffffff80
	v_addc_co_u32_e32 v5, vcc, v1, v5, vcc
	s_cmp_lt_i32 s9, s10
	v_fmac_f32_e32 v119, v20, v14
	s_waitcnt vmcnt(32)
	v_lshlrev_b32_e32 v14, 16, v39
	v_add_co_u32_e32 v6, vcc, s12, v0
	s_cselect_b32 s12, s9, s11
	v_fmac_f32_e32 v119, v21, v14
	ds_read_b128 v[14:17], v37 offset:96
	v_mov_b32_e32 v7, s13
	s_ashr_i32 s13, s12, 31
	s_lshl_b64 s[12:13], s[12:13], 1
	s_sub_i32 s9, s4, 64
	v_addc_co_u32_e32 v7, vcc, v1, v7, vcc
	s_cmp_lt_i32 s9, s10
	global_load_ushort v39, v[112:113], off
	global_load_ushort v56, v[116:117], off
	v_add_co_u32_e32 v10, vcc, s12, v0
	s_cselect_b32 s12, s9, s11
	s_waitcnt vmcnt(33)
	v_lshlrev_b32_e32 v36, 16, v36
	v_mov_b32_e32 v8, s13
	s_ashr_i32 s13, s12, 31
	s_waitcnt lgkmcnt(0)
	v_fmac_f32_e32 v119, v14, v36
	s_waitcnt vmcnt(32)
	v_lshlrev_b32_e32 v14, 16, v40
	s_lshl_b64 s[12:13], s[12:13], 1
	ds_read_b128 v[18:21], v37 offset:112
	v_fmac_f32_e32 v119, v15, v14
	global_load_ushort v14, v[2:3], off
	global_load_ushort v15, v[4:5], off
	v_addc_co_u32_e32 v11, vcc, v1, v8, vcc
	s_cmp_lt_i32 s4, s10
	v_add_co_u32_e32 v8, vcc, s12, v0
	s_cselect_b32 s12, s4, s11
	s_waitcnt vmcnt(33)
	v_lshlrev_b32_e32 v2, 16, v41
	v_mov_b32_e32 v9, s13
	s_ashr_i32 s13, s12, 31
	v_fmac_f32_e32 v119, v16, v2
	global_load_ushort v16, v[6:7], off
	global_load_ushort v36, v[10:11], off
	v_addc_co_u32_e32 v9, vcc, v1, v9, vcc
	s_lshl_b64 s[12:13], s[12:13], 1
	s_waitcnt vmcnt(34)
	v_lshlrev_b32_e32 v2, 16, v42
	v_mov_b32_e32 v13, s13
	v_add_co_u32_e32 v12, vcc, s12, v0
	v_fmac_f32_e32 v119, v17, v2
	s_waitcnt vmcnt(33)
	v_lshlrev_b32_e32 v2, 16, v43
	v_addc_co_u32_e32 v13, vcc, v1, v13, vcc
	s_waitcnt lgkmcnt(0)
	v_fmac_f32_e32 v119, v18, v2
	global_load_ushort v17, v[8:9], off
	global_load_ushort v18, v[12:13], off
	s_waitcnt vmcnt(34)
	v_lshlrev_b32_e32 v2, 16, v44
	v_fmac_f32_e32 v119, v19, v2
	s_waitcnt vmcnt(33)
	v_lshlrev_b32_e32 v2, 16, v22
	v_fmac_f32_e32 v119, v20, v2
	ds_read_b128 v[2:5], v37 offset:128
	s_waitcnt vmcnt(32)
	v_lshlrev_b32_e32 v6, 16, v23
	v_fmac_f32_e32 v119, v21, v6
	ds_read_b128 v[6:9], v37 offset:144
	s_waitcnt vmcnt(31)
	v_lshlrev_b32_e32 v10, 16, v45
	s_waitcnt lgkmcnt(1)
	v_fmac_f32_e32 v119, v2, v10
	s_waitcnt vmcnt(30)
	v_lshlrev_b32_e32 v2, 16, v24
	v_fmac_f32_e32 v119, v3, v2
	s_waitcnt vmcnt(29)
	v_lshlrev_b32_e32 v2, 16, v25
	;; [unrolled: 3-line block ×4, first 2 shown]
	s_waitcnt lgkmcnt(0)
	v_fmac_f32_e32 v119, v6, v2
	s_waitcnt vmcnt(26)
	v_lshlrev_b32_e32 v2, 16, v47
	v_fmac_f32_e32 v119, v7, v2
	s_waitcnt vmcnt(25)
	v_lshlrev_b32_e32 v2, 16, v27
	v_fmac_f32_e32 v119, v8, v2
	ds_read_b128 v[2:5], v37 offset:160
	s_waitcnt vmcnt(24)
	v_lshlrev_b32_e32 v6, 16, v28
	v_fmac_f32_e32 v119, v9, v6
	ds_read_b128 v[6:9], v37 offset:176
	s_waitcnt vmcnt(23)
	v_lshlrev_b32_e32 v10, 16, v48
	s_waitcnt lgkmcnt(1)
	v_fmac_f32_e32 v119, v2, v10
	s_waitcnt vmcnt(22)
	v_lshlrev_b32_e32 v2, 16, v29
	v_fmac_f32_e32 v119, v3, v2
	s_waitcnt vmcnt(21)
	v_lshlrev_b32_e32 v2, 16, v49
	;; [unrolled: 3-line block ×4, first 2 shown]
	s_waitcnt lgkmcnt(0)
	v_fmac_f32_e32 v119, v6, v2
	s_waitcnt vmcnt(18)
	v_lshlrev_b32_e32 v2, 16, v31
	v_fmac_f32_e32 v119, v7, v2
	s_waitcnt vmcnt(17)
	v_lshlrev_b32_e32 v2, 16, v51
	v_fmac_f32_e32 v119, v8, v2
	ds_read_b128 v[2:5], v37 offset:192
	s_waitcnt vmcnt(16)
	v_lshlrev_b32_e32 v6, 16, v32
	v_fmac_f32_e32 v119, v9, v6
	ds_read_b128 v[6:9], v37 offset:208
	s_waitcnt vmcnt(15)
	v_lshlrev_b32_e32 v10, 16, v33
	s_waitcnt lgkmcnt(1)
	v_fmac_f32_e32 v119, v2, v10
	s_waitcnt vmcnt(14)
	v_lshlrev_b32_e32 v2, 16, v34
	v_fmac_f32_e32 v119, v3, v2
	s_waitcnt vmcnt(13)
	v_lshlrev_b32_e32 v2, 16, v52
	;; [unrolled: 3-line block ×4, first 2 shown]
	v_lshlrev_b32_e32 v2, 16, v53
	s_waitcnt lgkmcnt(0)
	v_pk_mul_f32 v[2:3], v[6:7], v[2:3]
	v_add_f32_e32 v2, v119, v2
	v_add_f32_e32 v4, v2, v3
	s_waitcnt vmcnt(8)
	v_lshlrev_b32_e32 v3, 16, v55
	v_lshlrev_b32_e32 v2, 16, v38
	v_pk_mul_f32 v[6:7], v[8:9], v[2:3]
	v_add_f32_e32 v6, v4, v6
	ds_read_b128 v[2:5], v37 offset:224
	s_waitcnt vmcnt(6)
	v_lshlrev_b32_e32 v11, 16, v56
	v_lshlrev_b32_e32 v10, 16, v39
	v_add_f32_e32 v12, v6, v7
	ds_read_b128 v[6:9], v37 offset:240
	s_waitcnt lgkmcnt(1)
	v_pk_mul_f32 v[2:3], v[2:3], v[10:11]
	v_add_f32_e32 v2, v12, v2
	v_add_f32_e32 v10, v2, v3
	s_waitcnt vmcnt(4)
	v_lshlrev_b32_e32 v3, 16, v15
	v_lshlrev_b32_e32 v2, 16, v14
	v_pk_mul_f32 v[2:3], v[4:5], v[2:3]
	v_add_f32_e32 v2, v10, v2
	v_add_f32_e32 v4, v2, v3
	s_waitcnt vmcnt(2)
	v_lshlrev_b32_e32 v3, 16, v36
	v_lshlrev_b32_e32 v2, 16, v16
	s_waitcnt lgkmcnt(0)
	v_pk_mul_f32 v[2:3], v[6:7], v[2:3]
	v_add_f32_e32 v2, v4, v2
	v_add_f32_e32 v4, v2, v3
	s_waitcnt vmcnt(0)
	v_lshlrev_b32_e32 v3, 16, v18
	v_lshlrev_b32_e32 v2, 16, v17
	v_pk_mul_f32 v[2:3], v[8:9], v[2:3]
	v_add_f32_e32 v2, v4, v2
	v_add_f32_e32 v119, v2, v3
	s_branch .LBB222_16
.LBB222_19:
	v_mov_b32_e32 v0, 0
	ds_read_b32 v0, v0 offset:2816
	s_cmp_lg_u64 s[2:3], 0
	s_cbranch_scc0 .LBB222_28
; %bb.20:
	s_load_dword s4, s[2:3], 0x0
	s_waitcnt lgkmcnt(0)
	v_div_scale_f32 v1, s[2:3], s4, s4, 1.0
	v_rcp_f32_e32 v2, v1
	v_div_scale_f32 v3, vcc, 1.0, s4, 1.0
	v_fma_f32 v4, -v1, v2, 1.0
	v_fmac_f32_e32 v2, v4, v2
	v_mul_f32_e32 v4, v3, v2
	v_fma_f32 v5, -v1, v4, v3
	v_fmac_f32_e32 v4, v5, v2
	v_fma_f32 v1, -v1, v4, v3
	v_div_fmas_f32 v1, v1, v2, v4
	v_div_fixup_f32 v1, v1, s4, 1.0
	s_andn2_b64 vcc, exec, s[40:41]
	s_cbranch_vccnz .LBB222_22
.LBB222_21:
	s_add_u32 s2, s34, s42
	s_addc_u32 s3, s35, s43
	s_load_dword s26, s[2:3], 0x0
	s_mov_b32 s27, 0
.LBB222_22:
	s_waitcnt lgkmcnt(0)
	v_add_f32_e32 v0, 0x358637bd, v0
	v_div_scale_f32 v2, s[2:3], v0, v0, 1.0
	v_rcp_f32_e32 v3, v2
	v_div_scale_f32 v4, vcc, 1.0, v0, 1.0
	s_mov_b32 s2, 0x7f800000
	v_fma_f32 v5, -v2, v3, 1.0
	v_fmac_f32_e32 v3, v5, v3
	v_mul_f32_e32 v5, v4, v3
	v_fma_f32 v6, -v2, v5, v4
	v_fmac_f32_e32 v5, v6, v3
	v_fma_f32 v2, -v2, v5, v4
	v_div_fmas_f32 v2, v2, v3, v5
	v_div_fixup_f32 v0, v2, v0, 1.0
	v_mul_f32_e32 v0, v119, v0
	v_mul_f32_e32 v1, v0, v1
	v_and_b32_e32 v0, 0x7f800000, v1
	v_cmp_ne_u32_e32 vcc, s2, v0
                                        ; implicit-def: $vgpr0
	s_and_saveexec_b64 s[2:3], vcc
	s_xor_b64 s[2:3], exec, s[2:3]
; %bb.23:
	v_bfe_u32 v0, v1, 16, 1
	s_movk_i32 s4, 0x7fff
	v_add3_u32 v0, v1, v0, s4
                                        ; implicit-def: $vgpr1
; %bb.24:
	s_andn2_saveexec_b64 s[2:3], s[2:3]
; %bb.25:
	v_mov_b32_e32 v0, 0
	v_or_b32_e32 v2, 0x10000, v1
	v_cmp_eq_u32_sdwa vcc, v1, v0 src0_sel:WORD_0 src1_sel:DWORD
	v_cndmask_b32_e32 v0, v2, v1, vcc
; %bb.26:
	s_or_b64 exec, exec, s[2:3]
	s_mul_i32 s2, s7, s27
	s_mul_hi_u32 s3, s7, s26
	s_add_i32 s3, s3, s2
	s_mul_i32 s2, s7, s26
	s_lshl_b64 s[2:3], s[2:3], 7
	s_add_u32 s2, s0, s2
	s_mov_b32 s7, 0
	s_addc_u32 s3, s1, s3
	s_lshl_b64 s[0:1], s[6:7], 7
	s_add_u32 s0, s2, s0
	s_addc_u32 s1, s3, s1
	global_store_short_d16_hi v118, v0, s[0:1]
	s_endpgm
.LBB222_27:
	s_mov_b64 s[2:3], 0
	s_branch .LBB222_2
.LBB222_28:
	v_mov_b32_e32 v1, 1.0
	s_andn2_b64 vcc, exec, s[40:41]
	s_cbranch_vccz .LBB222_21
	s_branch .LBB222_22
	.section	.rodata,"a",@progbits
	.p2align	6, 0x0
	.amdhsa_kernel _Z35paged_attention_ll4mi_reduce_kernelI14__hip_bfloat16S0_Li64ELi64ELi256ELi11EEvPT0_PKfS4_PKT_PKiS9_iS4_
		.amdhsa_group_segment_fixed_size 2820
		.amdhsa_private_segment_fixed_size 0
		.amdhsa_kernarg_size 320
		.amdhsa_user_sgpr_count 6
		.amdhsa_user_sgpr_private_segment_buffer 1
		.amdhsa_user_sgpr_dispatch_ptr 0
		.amdhsa_user_sgpr_queue_ptr 0
		.amdhsa_user_sgpr_kernarg_segment_ptr 1
		.amdhsa_user_sgpr_dispatch_id 0
		.amdhsa_user_sgpr_flat_scratch_init 0
		.amdhsa_user_sgpr_kernarg_preload_length 0
		.amdhsa_user_sgpr_kernarg_preload_offset 0
		.amdhsa_user_sgpr_private_segment_size 0
		.amdhsa_uses_dynamic_stack 0
		.amdhsa_system_sgpr_private_segment_wavefront_offset 0
		.amdhsa_system_sgpr_workgroup_id_x 1
		.amdhsa_system_sgpr_workgroup_id_y 1
		.amdhsa_system_sgpr_workgroup_id_z 0
		.amdhsa_system_sgpr_workgroup_info 0
		.amdhsa_system_vgpr_workitem_id 0
		.amdhsa_next_free_vgpr 136
		.amdhsa_next_free_sgpr 51
		.amdhsa_accum_offset 136
		.amdhsa_reserve_vcc 1
		.amdhsa_reserve_flat_scratch 0
		.amdhsa_float_round_mode_32 0
		.amdhsa_float_round_mode_16_64 0
		.amdhsa_float_denorm_mode_32 3
		.amdhsa_float_denorm_mode_16_64 3
		.amdhsa_dx10_clamp 1
		.amdhsa_ieee_mode 1
		.amdhsa_fp16_overflow 0
		.amdhsa_tg_split 0
		.amdhsa_exception_fp_ieee_invalid_op 0
		.amdhsa_exception_fp_denorm_src 0
		.amdhsa_exception_fp_ieee_div_zero 0
		.amdhsa_exception_fp_ieee_overflow 0
		.amdhsa_exception_fp_ieee_underflow 0
		.amdhsa_exception_fp_ieee_inexact 0
		.amdhsa_exception_int_div_zero 0
	.end_amdhsa_kernel
	.section	.text._Z35paged_attention_ll4mi_reduce_kernelI14__hip_bfloat16S0_Li64ELi64ELi256ELi11EEvPT0_PKfS4_PKT_PKiS9_iS4_,"axG",@progbits,_Z35paged_attention_ll4mi_reduce_kernelI14__hip_bfloat16S0_Li64ELi64ELi256ELi11EEvPT0_PKfS4_PKT_PKiS9_iS4_,comdat
.Lfunc_end222:
	.size	_Z35paged_attention_ll4mi_reduce_kernelI14__hip_bfloat16S0_Li64ELi64ELi256ELi11EEvPT0_PKfS4_PKT_PKiS9_iS4_, .Lfunc_end222-_Z35paged_attention_ll4mi_reduce_kernelI14__hip_bfloat16S0_Li64ELi64ELi256ELi11EEvPT0_PKfS4_PKT_PKiS9_iS4_
                                        ; -- End function
	.section	.AMDGPU.csdata,"",@progbits
; Kernel info:
; codeLenInByte = 11160
; NumSgprs: 55
; NumVgprs: 136
; NumAgprs: 0
; TotalNumVgprs: 136
; ScratchSize: 0
; MemoryBound: 0
; FloatMode: 240
; IeeeMode: 1
; LDSByteSize: 2820 bytes/workgroup (compile time only)
; SGPRBlocks: 6
; VGPRBlocks: 16
; NumSGPRsForWavesPerEU: 55
; NumVGPRsForWavesPerEU: 136
; AccumOffset: 136
; Occupancy: 3
; WaveLimiterHint : 1
; COMPUTE_PGM_RSRC2:SCRATCH_EN: 0
; COMPUTE_PGM_RSRC2:USER_SGPR: 6
; COMPUTE_PGM_RSRC2:TRAP_HANDLER: 0
; COMPUTE_PGM_RSRC2:TGID_X_EN: 1
; COMPUTE_PGM_RSRC2:TGID_Y_EN: 1
; COMPUTE_PGM_RSRC2:TGID_Z_EN: 0
; COMPUTE_PGM_RSRC2:TIDIG_COMP_CNT: 0
; COMPUTE_PGM_RSRC3_GFX90A:ACCUM_OFFSET: 33
; COMPUTE_PGM_RSRC3_GFX90A:TG_SPLIT: 0
	.section	.text._Z35paged_attention_ll4mi_reduce_kernelI14__hip_bfloat16S0_Li64ELi64ELi256ELi12EEvPT0_PKfS4_PKT_PKiS9_iS4_,"axG",@progbits,_Z35paged_attention_ll4mi_reduce_kernelI14__hip_bfloat16S0_Li64ELi64ELi256ELi12EEvPT0_PKfS4_PKT_PKiS9_iS4_,comdat
	.protected	_Z35paged_attention_ll4mi_reduce_kernelI14__hip_bfloat16S0_Li64ELi64ELi256ELi12EEvPT0_PKfS4_PKT_PKiS9_iS4_ ; -- Begin function _Z35paged_attention_ll4mi_reduce_kernelI14__hip_bfloat16S0_Li64ELi64ELi256ELi12EEvPT0_PKfS4_PKT_PKiS9_iS4_
	.globl	_Z35paged_attention_ll4mi_reduce_kernelI14__hip_bfloat16S0_Li64ELi64ELi256ELi12EEvPT0_PKfS4_PKT_PKiS9_iS4_
	.p2align	8
	.type	_Z35paged_attention_ll4mi_reduce_kernelI14__hip_bfloat16S0_Li64ELi64ELi256ELi12EEvPT0_PKfS4_PKT_PKiS9_iS4_,@function
_Z35paged_attention_ll4mi_reduce_kernelI14__hip_bfloat16S0_Li64ELi64ELi256ELi12EEvPT0_PKfS4_PKT_PKiS9_iS4_: ; @_Z35paged_attention_ll4mi_reduce_kernelI14__hip_bfloat16S0_Li64ELi64ELi256ELi12EEvPT0_PKfS4_PKT_PKiS9_iS4_
; %bb.0:
	s_load_dwordx2 s[40:41], s[4:5], 0x28
	s_mov_b32 s34, s7
	s_mov_b64 s[0:1], 0
	s_waitcnt lgkmcnt(0)
	s_cmp_lg_u64 s[40:41], 0
	s_cselect_b64 s[42:43], -1, 0
	s_and_b64 vcc, exec, s[42:43]
	s_cbranch_vccz .LBB223_27
; %bb.1:
	s_add_i32 s2, s34, 1
	s_mov_b32 s3, 0
	s_lshl_b64 s[8:9], s[2:3], 2
	s_add_u32 s8, s40, s8
	s_mov_b32 s35, s3
	s_addc_u32 s9, s41, s9
	s_lshl_b64 s[2:3], s[34:35], 2
	s_add_u32 s2, s40, s2
	s_addc_u32 s3, s41, s3
	s_load_dword s7, s[8:9], 0x0
	s_load_dword s10, s[2:3], 0x0
	s_waitcnt lgkmcnt(0)
	s_sub_i32 s2, s7, s10
	s_cmp_eq_u32 s2, 1
	s_cselect_b64 s[2:3], -1, 0
	s_andn2_b64 vcc, exec, s[0:1]
	s_cbranch_vccnz .LBB223_3
.LBB223_2:
	s_mov_b32 s35, 0
	s_mov_b64 s[2:3], -1
.LBB223_3:
	s_andn2_b64 vcc, exec, s[2:3]
	s_cbranch_vccz .LBB223_5
; %bb.4:
	s_endpgm
.LBB223_5:
	s_load_dwordx4 s[28:31], s[4:5], 0x18
	s_load_dword s8, s[4:5], 0x30
	s_lshl_b64 s[44:45], s[34:35], 2
	v_cmp_lt_u32_e32 vcc, 63, v0
	s_waitcnt lgkmcnt(0)
	s_add_u32 s0, s30, s44
	s_addc_u32 s1, s31, s45
	s_load_dword s52, s[0:1], 0x0
	s_load_dword s7, s[4:5], 0x40
	s_mul_i32 s30, s6, s8
	s_mul_i32 s2, s34, s8
	s_waitcnt lgkmcnt(0)
	s_add_i32 s3, s52, 0xff
	s_ashr_i32 s0, s3, 31
	s_lshr_b32 s0, s0, 24
	s_add_i32 s3, s3, s0
	s_and_saveexec_b64 s[0:1], vcc
	s_xor_b64 s[0:1], exec, s[0:1]
	s_or_saveexec_b64 s[46:47], s[0:1]
	s_ashr_i32 s33, s3, 8
	v_mov_b32_e32 v1, s30
	s_mul_i32 s48, s2, s7
	s_xor_b64 exec, exec, s[46:47]
	s_cbranch_execz .LBB223_9
; %bb.6:
	s_add_i32 s0, s33, -1
	v_or_b32_e32 v3, 64, v0
	v_mov_b32_e32 v1, s0
	v_cmp_gt_u32_e64 s[22:23], s33, v3
	v_cndmask_b32_e64 v4, v1, v3, s[22:23]
	v_or_b32_e32 v3, 0x80, v0
	v_cmp_gt_u32_e64 s[20:21], s33, v3
	v_cndmask_b32_e64 v6, v1, v3, s[20:21]
	v_or_b32_e32 v3, 0xc0, v0
	;; [unrolled: 3-line block ×7, first 2 shown]
	s_load_dwordx4 s[36:39], s[4:5], 0x8
	v_cmp_gt_u32_e64 s[8:9], s33, v3
	v_cndmask_b32_e64 v18, v1, v3, s[8:9]
	v_or_b32_e32 v3, 0x240, v0
	v_cmp_gt_u32_e64 s[2:3], s33, v3
	s_mov_b32 s49, 0
	v_cndmask_b32_e64 v20, v1, v3, s[2:3]
	v_or_b32_e32 v3, 0x280, v0
	v_cmp_gt_u32_e64 s[0:1], s33, v3
	s_lshl_b64 s[50:51], s[48:49], 2
	s_mov_b32 s31, s49
	v_cmp_gt_u32_e64 s[24:25], s33, v0
	v_cndmask_b32_e64 v22, v1, v3, s[0:1]
	v_or_b32_e32 v3, 0x2c0, v0
	s_waitcnt lgkmcnt(0)
	s_add_u32 s26, s38, s50
	v_cndmask_b32_e64 v2, v1, v0, s[24:25]
	v_cmp_gt_u32_e32 vcc, s33, v3
	s_addc_u32 s27, s39, s51
	s_lshl_b64 s[38:39], s[30:31], 2
	v_cndmask_b32_e32 v24, v1, v3, vcc
	s_add_u32 s31, s26, s38
	v_ashrrev_i32_e32 v3, 31, v2
	s_addc_u32 s49, s27, s39
	v_lshlrev_b64 v[2:3], 2, v[2:3]
	v_mov_b32_e32 v1, s49
	v_add_co_u32_e64 v26, s[26:27], s31, v2
	v_ashrrev_i32_e32 v5, 31, v4
	v_addc_co_u32_e64 v27, s[26:27], v1, v3, s[26:27]
	v_lshlrev_b64 v[4:5], 2, v[4:5]
	v_add_co_u32_e64 v28, s[26:27], s31, v4
	v_ashrrev_i32_e32 v7, 31, v6
	v_addc_co_u32_e64 v29, s[26:27], v1, v5, s[26:27]
	v_lshlrev_b64 v[6:7], 2, v[6:7]
	;; [unrolled: 4-line block ×8, first 2 shown]
	global_load_dword v1, v[26:27], off
	global_load_dword v42, v[28:29], off
	;; [unrolled: 1-line block ×4, first 2 shown]
	s_nop 0
	global_load_dword v34, v[34:35], off
	s_nop 0
	global_load_dword v35, v[36:37], off
	;; [unrolled: 2-line block ×3, first 2 shown]
	global_load_dword v37, v[40:41], off
	v_mov_b32_e32 v21, s49
	v_add_co_u32_e64 v26, s[26:27], s31, v18
	v_addc_co_u32_e64 v27, s[26:27], v21, v19, s[26:27]
	v_ashrrev_i32_e32 v21, 31, v20
	v_lshlrev_b64 v[20:21], 2, v[20:21]
	v_mov_b32_e32 v23, s49
	v_add_co_u32_e64 v28, s[26:27], s31, v20
	v_addc_co_u32_e64 v29, s[26:27], v23, v21, s[26:27]
	v_ashrrev_i32_e32 v23, 31, v22
	v_lshlrev_b64 v[22:23], 2, v[22:23]
	;; [unrolled: 5-line block ×3, first 2 shown]
	v_mov_b32_e32 v33, s49
	v_add_co_u32_e64 v32, s[26:27], s31, v24
	v_addc_co_u32_e64 v33, s[26:27], v33, v25, s[26:27]
	global_load_dword v26, v[26:27], off
	s_nop 0
	global_load_dword v27, v[28:29], off
	s_nop 0
	global_load_dword v28, v[30:31], off
	global_load_dword v29, v[32:33], off
	s_waitcnt vmcnt(11)
	v_max_f32_e32 v31, v1, v1
	s_waitcnt vmcnt(10)
	v_max_f32_e32 v30, v42, v42
	v_max_f32_e32 v30, v31, v30
	v_mbcnt_lo_u32_b32 v31, -1, 0
	v_mbcnt_hi_u32_b32 v31, -1, v31
	s_waitcnt vmcnt(8)
	v_max3_f32 v30, v30, v43, v44
	v_and_b32_e32 v32, 64, v31
	s_waitcnt vmcnt(6)
	v_max3_f32 v30, v30, v34, v35
	v_add_u32_e32 v32, 64, v32
	v_xor_b32_e32 v33, 32, v31
	s_waitcnt vmcnt(4)
	v_max3_f32 v30, v30, v36, v37
	v_cmp_lt_i32_e64 s[26:27], v33, v32
	v_cndmask_b32_e64 v33, v31, v33, s[26:27]
	v_lshlrev_b32_e32 v33, 2, v33
	s_waitcnt vmcnt(2)
	v_max3_f32 v30, v30, v26, v27
	s_waitcnt vmcnt(0)
	v_max3_f32 v30, v30, v28, v29
	ds_bpermute_b32 v38, v33, v30
	s_waitcnt lgkmcnt(0)
	v_max_f32_e32 v38, v38, v38
	v_max_f32_e32 v30, v30, v38
	v_xor_b32_e32 v38, 16, v31
	v_cmp_lt_i32_e64 s[26:27], v38, v32
	v_cndmask_b32_e64 v38, v31, v38, s[26:27]
	v_lshlrev_b32_e32 v38, 2, v38
	ds_bpermute_b32 v39, v38, v30
	s_waitcnt lgkmcnt(0)
	v_max_f32_e32 v39, v39, v39
	v_max_f32_e32 v30, v30, v39
	v_xor_b32_e32 v39, 8, v31
	v_cmp_lt_i32_e64 s[26:27], v39, v32
	v_cndmask_b32_e64 v39, v31, v39, s[26:27]
	v_lshlrev_b32_e32 v39, 2, v39
	ds_bpermute_b32 v40, v39, v30
	s_waitcnt lgkmcnt(0)
	v_max_f32_e32 v40, v40, v40
	v_max_f32_e32 v30, v30, v40
	v_xor_b32_e32 v40, 4, v31
	v_cmp_lt_i32_e64 s[26:27], v40, v32
	v_cndmask_b32_e64 v40, v31, v40, s[26:27]
	v_lshlrev_b32_e32 v40, 2, v40
	ds_bpermute_b32 v41, v40, v30
	s_waitcnt lgkmcnt(0)
	v_max_f32_e32 v41, v41, v41
	v_max_f32_e32 v30, v30, v41
	v_xor_b32_e32 v41, 2, v31
	v_cmp_lt_i32_e64 s[26:27], v41, v32
	v_cndmask_b32_e64 v41, v31, v41, s[26:27]
	v_lshlrev_b32_e32 v41, 2, v41
	ds_bpermute_b32 v45, v41, v30
	s_waitcnt lgkmcnt(0)
	v_max_f32_e32 v45, v45, v45
	v_max_f32_e32 v30, v30, v45
	v_xor_b32_e32 v45, 1, v31
	v_cmp_lt_i32_e64 s[26:27], v45, v32
	v_cndmask_b32_e64 v31, v31, v45, s[26:27]
	s_add_u32 s26, s36, s50
	s_addc_u32 s27, s37, s51
	s_add_u32 s31, s26, s38
	s_addc_u32 s36, s27, s39
	v_mov_b32_e32 v45, s36
	v_add_co_u32_e64 v2, s[26:27], s31, v2
	v_addc_co_u32_e64 v3, s[26:27], v45, v3, s[26:27]
	v_add_co_u32_e64 v4, s[26:27], s31, v4
	v_addc_co_u32_e64 v5, s[26:27], v45, v5, s[26:27]
	global_load_dword v45, v[2:3], off
	global_load_dword v46, v[4:5], off
	v_mov_b32_e32 v3, s36
	v_add_co_u32_e64 v2, s[26:27], s31, v6
	v_addc_co_u32_e64 v3, s[26:27], v3, v7, s[26:27]
	v_mov_b32_e32 v5, s36
	v_add_co_u32_e64 v4, s[26:27], s31, v8
	v_addc_co_u32_e64 v5, s[26:27], v5, v9, s[26:27]
	v_mov_b32_e32 v7, s36
	v_add_co_u32_e64 v6, s[26:27], s31, v10
	v_addc_co_u32_e64 v7, s[26:27], v7, v11, s[26:27]
	v_mov_b32_e32 v9, s36
	v_add_co_u32_e64 v8, s[26:27], s31, v12
	v_addc_co_u32_e64 v9, s[26:27], v9, v13, s[26:27]
	v_mov_b32_e32 v11, s36
	v_add_co_u32_e64 v10, s[26:27], s31, v14
	v_addc_co_u32_e64 v11, s[26:27], v11, v15, s[26:27]
	v_mov_b32_e32 v13, s36
	v_add_co_u32_e64 v12, s[26:27], s31, v16
	v_addc_co_u32_e64 v13, s[26:27], v13, v17, s[26:27]
	global_load_dword v14, v[2:3], off
	global_load_dword v15, v[4:5], off
	;; [unrolled: 1-line block ×6, first 2 shown]
	v_lshlrev_b32_e32 v31, 2, v31
	ds_bpermute_b32 v32, v31, v30
	v_mov_b32_e32 v3, s36
	v_add_co_u32_e64 v2, s[26:27], s31, v18
	v_addc_co_u32_e64 v3, s[26:27], v3, v19, s[26:27]
	v_mov_b32_e32 v5, s36
	v_add_co_u32_e64 v4, s[26:27], s31, v20
	v_addc_co_u32_e64 v5, s[26:27], v5, v21, s[26:27]
	s_waitcnt lgkmcnt(0)
	v_max_f32_e32 v10, v32, v32
	v_mov_b32_e32 v7, s36
	v_add_co_u32_e64 v6, s[26:27], s31, v22
	v_max_f32_e32 v10, v30, v10
	v_addc_co_u32_e64 v7, s[26:27], v7, v23, s[26:27]
	v_sub_f32_e32 v1, v1, v10
	v_add_co_u32_e64 v8, s[26:27], s31, v24
	s_mov_b32 s31, 0x3fb8aa3b
	v_mul_f32_e32 v11, 0x3fb8aa3b, v1
	v_fma_f32 v12, v1, s31, -v11
	v_rndne_f32_e32 v13, v11
	v_mov_b32_e32 v9, s36
	v_fmac_f32_e32 v12, 0x32a5705f, v1
	v_sub_f32_e32 v11, v11, v13
	v_addc_co_u32_e64 v9, s[26:27], v9, v25, s[26:27]
	v_add_f32_e32 v11, v11, v12
	v_cvt_i32_f32_e32 v12, v13
	global_load_dword v2, v[2:3], off
	s_nop 0
	global_load_dword v3, v[4:5], off
	global_load_dword v13, v[6:7], off
	;; [unrolled: 1-line block ×3, first 2 shown]
	v_sub_f32_e32 v6, v42, v10
	v_mul_f32_e32 v7, 0x3fb8aa3b, v6
	v_fma_f32 v8, v6, s31, -v7
	v_rndne_f32_e32 v9, v7
	v_exp_f32_e32 v11, v11
	v_fmac_f32_e32 v8, 0x32a5705f, v6
	v_sub_f32_e32 v7, v7, v9
	v_add_f32_e32 v7, v7, v8
	v_exp_f32_e32 v7, v7
	v_cvt_i32_f32_e32 v8, v9
	s_mov_b32 s36, 0xc2ce8ed0
	v_ldexp_f32 v4, v11, v12
	v_cmp_ngt_f32_e64 s[26:27], s36, v1
	s_mov_b32 s37, 0x42b17218
	v_cndmask_b32_e64 v4, 0, v4, s[26:27]
	v_mov_b32_e32 v5, 0x7f800000
	v_cmp_nlt_f32_e64 s[26:27], s37, v1
	v_cndmask_b32_e64 v1, v5, v4, s[26:27]
	v_ldexp_f32 v4, v7, v8
	v_sub_f32_e32 v7, v43, v10
	v_mul_f32_e32 v8, 0x3fb8aa3b, v7
	v_fma_f32 v9, v7, s31, -v8
	v_rndne_f32_e32 v11, v8
	v_fmac_f32_e32 v9, 0x32a5705f, v7
	v_sub_f32_e32 v8, v8, v11
	v_add_f32_e32 v8, v8, v9
	v_exp_f32_e32 v8, v8
	v_cvt_i32_f32_e32 v9, v11
	v_cndmask_b32_e64 v1, 0, v1, s[24:25]
	v_cmp_ngt_f32_e64 s[24:25], s36, v6
	v_cndmask_b32_e64 v4, 0, v4, s[24:25]
	v_cmp_nlt_f32_e64 s[24:25], s37, v6
	v_ldexp_f32 v6, v8, v9
	v_sub_f32_e32 v8, v44, v10
	v_mul_f32_e32 v9, 0x3fb8aa3b, v8
	v_fma_f32 v11, v8, s31, -v9
	v_rndne_f32_e32 v12, v9
	v_fmac_f32_e32 v11, 0x32a5705f, v8
	v_sub_f32_e32 v9, v9, v12
	v_add_f32_e32 v9, v9, v11
	v_exp_f32_e32 v9, v9
	v_cvt_i32_f32_e32 v11, v12
	v_cndmask_b32_e64 v4, v5, v4, s[24:25]
	v_cndmask_b32_e64 v4, 0, v4, s[22:23]
	v_cmp_ngt_f32_e64 s[22:23], s36, v7
	v_cndmask_b32_e64 v6, 0, v6, s[22:23]
	v_cmp_nlt_f32_e64 s[22:23], s37, v7
	v_cndmask_b32_e64 v6, v5, v6, s[22:23]
	v_ldexp_f32 v7, v9, v11
	v_sub_f32_e32 v9, v34, v10
	v_cndmask_b32_e64 v6, 0, v6, s[20:21]
	v_mul_f32_e32 v11, 0x3fb8aa3b, v9
	s_waitcnt vmcnt(9)
	v_mul_f32_e32 v6, v14, v6
	v_fma_f32 v12, v9, s31, -v11
	v_rndne_f32_e32 v14, v11
	v_fmac_f32_e32 v12, 0x32a5705f, v9
	v_sub_f32_e32 v11, v11, v14
	v_add_f32_e32 v11, v11, v12
	v_exp_f32_e32 v11, v11
	v_cvt_i32_f32_e32 v12, v14
	v_cmp_ngt_f32_e64 s[20:21], s36, v8
	v_cndmask_b32_e64 v7, 0, v7, s[20:21]
	v_cmp_nlt_f32_e64 s[20:21], s37, v8
	v_cndmask_b32_e64 v7, v5, v7, s[20:21]
	v_ldexp_f32 v8, v11, v12
	v_sub_f32_e32 v11, v35, v10
	v_cndmask_b32_e64 v7, 0, v7, s[18:19]
	v_mul_f32_e32 v12, 0x3fb8aa3b, v11
	s_waitcnt vmcnt(8)
	v_mul_f32_e32 v7, v15, v7
	v_fma_f32 v14, v11, s31, -v12
	v_rndne_f32_e32 v15, v12
	v_fmac_f32_e32 v14, 0x32a5705f, v11
	v_sub_f32_e32 v12, v12, v15
	v_add_f32_e32 v12, v12, v14
	v_exp_f32_e32 v12, v12
	v_cvt_i32_f32_e32 v14, v15
	;; [unrolled: 17-line block ×4, first 2 shown]
	v_cmp_ngt_f32_e64 s[14:15], s36, v12
	v_cndmask_b32_e64 v11, 0, v11, s[14:15]
	v_cmp_nlt_f32_e64 s[14:15], s37, v12
	v_ldexp_f32 v12, v15, v16
	v_sub_f32_e32 v15, v26, v10
	v_mul_f32_e32 v16, 0x3fb8aa3b, v15
	v_fma_f32 v17, v15, s31, -v16
	v_rndne_f32_e32 v19, v16
	v_fmac_f32_e32 v17, 0x32a5705f, v15
	v_sub_f32_e32 v16, v16, v19
	v_add_f32_e32 v16, v16, v17
	v_exp_f32_e32 v16, v16
	v_cvt_i32_f32_e32 v17, v19
	v_cndmask_b32_e64 v11, v5, v11, s[14:15]
	v_cndmask_b32_e64 v11, 0, v11, s[12:13]
	v_cmp_ngt_f32_e64 s[12:13], s36, v14
	v_cndmask_b32_e64 v12, 0, v12, s[12:13]
	v_cmp_nlt_f32_e64 s[12:13], s37, v14
	v_ldexp_f32 v14, v16, v17
	v_sub_f32_e32 v16, v27, v10
	v_mul_f32_e32 v17, 0x3fb8aa3b, v16
	v_fma_f32 v19, v16, s31, -v17
	v_rndne_f32_e32 v20, v17
	v_fmac_f32_e32 v19, 0x32a5705f, v16
	v_sub_f32_e32 v17, v17, v20
	v_cndmask_b32_e64 v12, v5, v12, s[12:13]
	v_add_f32_e32 v17, v17, v19
	v_cndmask_b32_e64 v12, 0, v12, s[10:11]
	v_cmp_ngt_f32_e64 s[10:11], s36, v15
	v_exp_f32_e32 v17, v17
	v_cvt_i32_f32_e32 v19, v20
	v_cndmask_b32_e64 v14, 0, v14, s[10:11]
	v_cmp_nlt_f32_e64 s[10:11], s37, v15
	v_cndmask_b32_e64 v14, v5, v14, s[10:11]
	v_cndmask_b32_e64 v14, 0, v14, s[8:9]
	v_sub_f32_e32 v15, v28, v10
	s_waitcnt vmcnt(3)
	v_mul_f32_e32 v14, v2, v14
	v_ldexp_f32 v2, v17, v19
	v_mul_f32_e32 v17, 0x3fb8aa3b, v15
	v_fma_f32 v19, v15, s31, -v17
	v_rndne_f32_e32 v20, v17
	v_fmac_f32_e32 v19, 0x32a5705f, v15
	v_sub_f32_e32 v17, v17, v20
	v_add_f32_e32 v17, v17, v19
	v_cmp_ngt_f32_e64 s[8:9], s36, v16
	v_exp_f32_e32 v17, v17
	v_cvt_i32_f32_e32 v19, v20
	v_cndmask_b32_e64 v2, 0, v2, s[8:9]
	v_cmp_nlt_f32_e64 s[8:9], s37, v16
	v_cndmask_b32_e64 v2, v5, v2, s[8:9]
	v_sub_f32_e32 v10, v29, v10
	v_cndmask_b32_e64 v2, 0, v2, s[2:3]
	v_mul_f32_e32 v16, 0x3fb8aa3b, v10
	s_waitcnt vmcnt(2)
	v_mul_f32_e32 v3, v3, v2
	v_ldexp_f32 v2, v17, v19
	v_fma_f32 v17, v10, s31, -v16
	v_rndne_f32_e32 v19, v16
	v_fmac_f32_e32 v17, 0x32a5705f, v10
	v_sub_f32_e32 v16, v16, v19
	v_add_f32_e32 v16, v16, v17
	v_cmp_ngt_f32_e64 s[2:3], s36, v15
	v_exp_f32_e32 v16, v16
	v_cvt_i32_f32_e32 v17, v19
	v_cndmask_b32_e64 v2, 0, v2, s[2:3]
	v_cmp_nlt_f32_e64 s[2:3], s37, v15
	v_cndmask_b32_e64 v2, v5, v2, s[2:3]
	v_cndmask_b32_e64 v2, 0, v2, s[0:1]
	s_waitcnt vmcnt(1)
	v_mul_f32_e32 v13, v13, v2
	v_ldexp_f32 v2, v16, v17
	v_cmp_ngt_f32_e64 s[0:1], s36, v10
	v_mul_f32_e32 v1, v45, v1
	v_mul_f32_e32 v4, v46, v4
	v_cndmask_b32_e64 v2, 0, v2, s[0:1]
	v_cmp_nlt_f32_e64 s[0:1], s37, v10
	v_cndmask_b32_e64 v2, v5, v2, s[0:1]
	v_add_f32_e32 v5, v1, v4
	v_add_f32_e32 v5, v5, v6
	;; [unrolled: 1-line block ×4, first 2 shown]
	v_mul_f32_e32 v11, v47, v11
	v_add_f32_e32 v5, v5, v9
	v_mul_f32_e32 v12, v48, v12
	v_add_f32_e32 v5, v5, v11
	v_add_f32_e32 v5, v5, v12
	;; [unrolled: 1-line block ×4, first 2 shown]
	v_cndmask_b32_e32 v2, 0, v2, vcc
	v_add_f32_e32 v5, v5, v13
	s_waitcnt vmcnt(0)
	v_fmac_f32_e32 v5, v18, v2
	ds_bpermute_b32 v10, v33, v5
	v_mul_f32_e32 v15, v18, v2
	v_cmp_eq_u32_e32 vcc, 0, v0
	s_waitcnt lgkmcnt(0)
	v_add_f32_e32 v5, v5, v10
	ds_bpermute_b32 v10, v38, v5
	s_waitcnt lgkmcnt(0)
	v_add_f32_e32 v5, v5, v10
	ds_bpermute_b32 v10, v39, v5
	;; [unrolled: 3-line block ×4, first 2 shown]
	v_lshlrev_b32_e32 v10, 2, v0
	ds_write2st64_b32 v10, v1, v4 offset1:1
	ds_write2st64_b32 v10, v6, v7 offset0:2 offset1:3
	ds_write2st64_b32 v10, v8, v9 offset0:4 offset1:5
	;; [unrolled: 1-line block ×5, first 2 shown]
	s_waitcnt lgkmcnt(6)
	v_add_f32_e32 v1, v2, v5
	ds_bpermute_b32 v2, v31, v1
	s_and_saveexec_b64 s[0:1], vcc
	s_cbranch_execz .LBB223_8
; %bb.7:
	s_waitcnt lgkmcnt(0)
	v_add_f32_e32 v1, v1, v2
	v_mov_b32_e32 v2, 0
	ds_write_b32 v2, v1 offset:3072
.LBB223_8:
	s_or_b64 exec, exec, s[0:1]
	v_mov_b32_e32 v1, s30
.LBB223_9:
	s_or_b64 exec, exec, s[46:47]
	s_lshl_b32 s0, s48, 6
	s_mov_b32 s1, 0
	s_lshl_b64 s[0:1], s[0:1], 1
	s_add_u32 s0, s28, s0
	s_addc_u32 s1, s29, s1
	s_lshl_b32 s10, s33, 6
	s_waitcnt lgkmcnt(0)
	v_lshlrev_b32_e32 v2, 6, v1
	v_mov_b32_e32 v3, 0
	s_sub_i32 s11, s10, 64
	v_lshlrev_b64 v[4:5], 1, v[2:3]
	s_cmp_lt_i32 s52, 1
	v_mov_b32_e32 v1, s1
	v_add_co_u32_e32 v2, vcc, s0, v4
	s_cselect_b32 s0, s11, 0
	v_addc_co_u32_e32 v1, vcc, v1, v5, vcc
	v_lshlrev_b32_e32 v118, 1, v0
	s_ashr_i32 s1, s0, 31
	v_add_co_u32_e32 v0, vcc, v2, v118
	s_lshl_b64 s[0:1], s[0:1], 1
	v_addc_co_u32_e32 v1, vcc, 0, v1, vcc
	s_cmpk_lt_i32 s52, 0x101
	v_add_co_u32_e32 v4, vcc, s0, v0
	s_cselect_b32 s0, s11, 64
	v_mov_b32_e32 v2, s1
	s_ashr_i32 s1, s0, 31
	s_lshl_b64 s[0:1], s[0:1], 1
	v_addc_co_u32_e32 v5, vcc, v1, v2, vcc
	s_cmpk_lt_i32 s52, 0x201
	v_add_co_u32_e32 v6, vcc, s0, v0
	s_cselect_b32 s0, s11, 0x80
	v_mov_b32_e32 v2, s1
	s_ashr_i32 s1, s0, 31
	;; [unrolled: 7-line block ×8, first 2 shown]
	s_lshl_b64 s[0:1], s[0:1], 1
	v_addc_co_u32_e32 v19, vcc, v1, v2, vcc
	s_cmpk_lt_i32 s52, 0x901
	global_load_ushort v44, v[4:5], off
	global_load_ushort v43, v[6:7], off
	;; [unrolled: 1-line block ×8, first 2 shown]
	v_add_co_u32_e32 v4, vcc, s0, v0
	s_cselect_b32 s0, s11, 0x240
	v_mov_b32_e32 v5, s1
	s_ashr_i32 s1, s0, 31
	s_lshl_b64 s[0:1], s[0:1], 1
	v_addc_co_u32_e32 v5, vcc, v1, v5, vcc
	s_cmpk_lt_i32 s52, 0xa01
	v_add_co_u32_e32 v6, vcc, s0, v0
	s_cselect_b32 s0, s11, 0x280
	v_mov_b32_e32 v7, s1
	s_ashr_i32 s1, s0, 31
	s_lshl_b64 s[0:1], s[0:1], 1
	v_addc_co_u32_e32 v7, vcc, v1, v7, vcc
	s_cmpk_lt_i32 s52, 0xb01
	;; [unrolled: 7-line block ×6, first 2 shown]
	v_add_co_u32_e32 v16, vcc, s0, v0
	s_cselect_b32 s0, s11, 0x3c0
	v_mov_b32_e32 v17, s1
	s_ashr_i32 s1, s0, 31
	v_addc_co_u32_e32 v17, vcc, v1, v17, vcc
	s_lshl_b64 s[0:1], s[0:1], 1
	v_mov_b32_e32 v19, s1
	v_add_co_u32_e32 v18, vcc, s0, v0
	v_addc_co_u32_e32 v19, vcc, v1, v19, vcc
	global_load_ushort v51, v[4:5], off
	global_load_ushort v52, v[6:7], off
	;; [unrolled: 1-line block ×8, first 2 shown]
	s_cmpk_gt_i32 s52, 0x1000
	s_cselect_b64 s[8:9], -1, 0
	s_cmpk_lt_i32 s52, 0x1001
	v_mov_b32_e32 v61, 0
	v_mov_b32_e32 v62, 0
	v_mov_b32_e32 v63, 0
	v_mov_b32_e32 v64, 0
	v_mov_b32_e32 v65, 0
	v_mov_b32_e32 v66, 0
	v_mov_b32_e32 v67, 0
	v_mov_b32_e32 v68, 0
	v_mov_b32_e32 v53, 0
	v_mov_b32_e32 v54, 0
	v_mov_b32_e32 v55, 0
	v_mov_b32_e32 v56, 0
	v_mov_b32_e32 v57, 0
	v_mov_b32_e32 v58, 0
	v_mov_b32_e32 v59, 0
	v_mov_b32_e32 v60, 0
	v_mov_b32_e32 v4, 0
	v_mov_b32_e32 v5, 0
	v_mov_b32_e32 v6, 0
	v_mov_b32_e32 v7, 0
	v_mov_b32_e32 v8, 0
	v_mov_b32_e32 v9, 0
	v_mov_b32_e32 v10, 0
	v_mov_b32_e32 v11, 0
	v_mov_b32_e32 v12, 0
	v_mov_b32_e32 v13, 0
	v_mov_b32_e32 v14, 0
	v_mov_b32_e32 v15, 0
	v_mov_b32_e32 v16, 0
	v_mov_b32_e32 v18, 0
	v_mov_b32_e32 v17, 0
	v_mov_b32_e32 v19, 0
	v_mov_b32_e32 v20, 0
	v_mov_b32_e32 v22, 0
	v_mov_b32_e32 v21, 0
	v_mov_b32_e32 v24, 0
	v_mov_b32_e32 v23, 0
	v_mov_b32_e32 v26, 0
	v_mov_b32_e32 v25, 0
	v_mov_b32_e32 v28, 0
	v_mov_b32_e32 v27, 0
	v_mov_b32_e32 v30, 0
	v_mov_b32_e32 v29, 0
	v_mov_b32_e32 v32, 0
	v_mov_b32_e32 v31, 0
	v_mov_b32_e32 v34, 0
	v_mov_b32_e32 v33, 0
	v_mov_b32_e32 v35, 0
	s_waitcnt lgkmcnt(0)
	; wave barrier
	s_cbranch_scc1 .LBB223_12
; %bb.10:
	s_cmpk_lt_u32 s52, 0x1101
	s_cselect_b32 s0, s11, 0x440
	s_ashr_i32 s1, s0, 31
	s_lshl_b64 s[0:1], s[0:1], 1
	s_cmpk_lt_u32 s52, 0x1201
	v_add_co_u32_e32 v4, vcc, s0, v0
	s_cselect_b32 s0, s11, 0x480
	v_mov_b32_e32 v5, s1
	s_ashr_i32 s1, s0, 31
	s_lshl_b64 s[0:1], s[0:1], 1
	v_addc_co_u32_e32 v5, vcc, v1, v5, vcc
	s_cmpk_lt_u32 s52, 0x1301
	v_add_co_u32_e32 v6, vcc, s0, v0
	s_cselect_b32 s0, s11, 0x4c0
	v_mov_b32_e32 v7, s1
	s_ashr_i32 s1, s0, 31
	s_lshl_b64 s[0:1], s[0:1], 1
	v_addc_co_u32_e32 v7, vcc, v1, v7, vcc
	;; [unrolled: 7-line block ×7, first 2 shown]
	s_cmpk_lt_u32 s52, 0x1901
	global_load_ushort v60, v[0:1], off offset:2048
	global_load_ushort v59, v[4:5], off
	global_load_ushort v58, v[6:7], off
	;; [unrolled: 1-line block ×7, first 2 shown]
	v_add_co_u32_e32 v4, vcc, s0, v0
	s_cselect_b32 s0, s11, 0x640
	v_mov_b32_e32 v5, s1
	s_ashr_i32 s1, s0, 31
	s_lshl_b64 s[0:1], s[0:1], 1
	v_addc_co_u32_e32 v5, vcc, v1, v5, vcc
	s_cmpk_lt_u32 s52, 0x1a01
	v_add_co_u32_e32 v6, vcc, s0, v0
	s_cselect_b32 s0, s11, 0x680
	v_mov_b32_e32 v7, s1
	s_ashr_i32 s1, s0, 31
	s_lshl_b64 s[0:1], s[0:1], 1
	v_addc_co_u32_e32 v7, vcc, v1, v7, vcc
	s_cmpk_lt_u32 s52, 0x1b01
	;; [unrolled: 7-line block ×6, first 2 shown]
	v_add_co_u32_e32 v16, vcc, s0, v0
	s_cselect_b32 s0, s11, 0x7c0
	v_mov_b32_e32 v17, s1
	s_ashr_i32 s1, s0, 31
	v_addc_co_u32_e32 v17, vcc, v1, v17, vcc
	s_lshl_b64 s[0:1], s[0:1], 1
	v_mov_b32_e32 v19, s1
	v_add_co_u32_e32 v18, vcc, s0, v0
	v_addc_co_u32_e32 v19, vcc, v1, v19, vcc
	global_load_ushort v68, v[4:5], off
	global_load_ushort v67, v[6:7], off
	;; [unrolled: 1-line block ×8, first 2 shown]
	s_cmpk_lt_u32 s52, 0x2001
	v_mov_b32_e32 v35, 0
	v_mov_b32_e32 v33, 0
	;; [unrolled: 1-line block ×32, first 2 shown]
	s_cbranch_scc1 .LBB223_12
; %bb.11:
	s_cmpk_lt_u32 s52, 0x2101
	s_cselect_b32 s0, s11, 0x840
	s_ashr_i32 s1, s0, 31
	s_lshl_b64 s[0:1], s[0:1], 1
	s_cmpk_lt_u32 s52, 0x2201
	v_add_co_u32_e32 v4, vcc, s0, v0
	s_cselect_b32 s0, s11, 0x880
	v_mov_b32_e32 v5, s1
	s_ashr_i32 s1, s0, 31
	s_lshl_b64 s[0:1], s[0:1], 1
	v_addc_co_u32_e32 v5, vcc, v1, v5, vcc
	s_cmpk_lt_u32 s52, 0x2301
	v_add_co_u32_e32 v6, vcc, s0, v0
	s_cselect_b32 s0, s11, 0x8c0
	v_mov_b32_e32 v7, s1
	s_ashr_i32 s1, s0, 31
	s_lshl_b64 s[0:1], s[0:1], 1
	v_addc_co_u32_e32 v7, vcc, v1, v7, vcc
	;; [unrolled: 7-line block ×30, first 2 shown]
	v_mov_b32_e32 v69, s1
	s_movk_i32 s1, 0x1000
	v_add_co_u32_e32 v96, vcc, s1, v0
	v_addc_co_u32_e32 v97, vcc, 0, v1, vcc
	global_load_ushort v98, v[96:97], off
	global_load_ushort v99, v[4:5], off
	;; [unrolled: 1-line block ×15, first 2 shown]
                                        ; kill: killed $vgpr28 killed $vgpr29
                                        ; kill: killed $vgpr8 killed $vgpr9
                                        ; kill: killed $vgpr70 killed $vgpr71
                                        ; kill: killed $vgpr14 killed $vgpr15
                                        ; kill: killed $vgpr20 killed $vgpr21
                                        ; kill: killed $vgpr4 killed $vgpr5
                                        ; kill: killed $vgpr30 killed $vgpr31
                                        ; kill: killed $vgpr10 killed $vgpr11
                                        ; kill: killed $vgpr16 killed $vgpr17
                                        ; kill: killed $vgpr22 killed $vgpr23
                                        ; kill: killed $vgpr6 killed $vgpr7
                                        ; kill: killed $vgpr96 killed $vgpr97
                                        ; kill: killed $vgpr34 killed $vgpr35
                                        ; kill: killed $vgpr12 killed $vgpr13
                                        ; kill: killed $vgpr18 killed $vgpr19
	global_load_ushort v6, v[24:25], off
	global_load_ushort v7, v[26:27], off
	;; [unrolled: 1-line block ×15, first 2 shown]
                                        ; kill: killed $vgpr88 killed $vgpr89
                                        ; kill: killed $vgpr72 killed $vgpr73
                                        ; kill: killed $vgpr94 killed $vgpr95
                                        ; kill: killed $vgpr78 killed $vgpr79
                                        ; kill: killed $vgpr84 killed $vgpr85
                                        ; kill: killed $vgpr32 killed $vgpr33
                                        ; kill: killed $vgpr90 killed $vgpr91
                                        ; kill: killed $vgpr74 killed $vgpr75
                                        ; kill: killed $vgpr80 killed $vgpr81
                                        ; kill: killed $vgpr24 killed $vgpr25
                                        ; kill: killed $vgpr36 killed $vgpr37
                                        ; kill: killed $vgpr92 killed $vgpr93
                                        ; kill: killed $vgpr76 killed $vgpr77
                                        ; kill: killed $vgpr82 killed $vgpr83
                                        ; kill: killed $vgpr26 killed $vgpr27
	global_load_ushort v36, v[86:87], off
	v_add_co_u32_e32 v4, vcc, s0, v0
	v_addc_co_u32_e32 v5, vcc, v1, v69, vcc
	global_load_ushort v5, v[4:5], off
	s_waitcnt vmcnt(31)
	v_lshlrev_b32_e32 v35, 16, v98
	s_waitcnt vmcnt(30)
	v_lshlrev_b32_e32 v33, 16, v99
	;; [unrolled: 2-line block ×32, first 2 shown]
.LBB223_12:
	s_load_dwordx2 s[0:1], s[4:5], 0x0
	s_load_dwordx2 s[2:3], s[4:5], 0x38
	ds_read_b128 v[70:73], v3
	s_waitcnt vmcnt(15)
	v_lshlrev_b32_e32 v36, 16, v44
	ds_read_b128 v[74:77], v3 offset:16
	ds_read_b128 v[78:81], v3 offset:32
	;; [unrolled: 1-line block ×3, first 2 shown]
	s_waitcnt vmcnt(10)
	v_lshlrev_b32_e32 v37, 16, v40
	s_and_b64 vcc, exec, s[8:9]
	s_waitcnt lgkmcnt(0)
	v_fma_f32 v44, v70, v36, 0
	v_lshlrev_b32_e32 v36, 16, v43
	v_fmac_f32_e32 v44, v71, v36
	v_lshlrev_b32_e32 v36, 16, v42
	v_fmac_f32_e32 v44, v72, v36
	;; [unrolled: 2-line block ×3, first 2 shown]
	v_lshlrev_b32_e32 v36, 16, v39
	v_pk_mul_f32 v[36:37], v[74:75], v[36:37]
	v_add_f32_e32 v36, v44, v36
	v_add_f32_e32 v39, v36, v37
	s_waitcnt vmcnt(8)
	v_lshlrev_b32_e32 v37, 16, v38
	v_lshlrev_b32_e32 v36, 16, v2
	v_pk_mul_f32 v[36:37], v[76:77], v[36:37]
	v_add_f32_e32 v2, v39, v36
	v_add_f32_e32 v2, v2, v37
	s_waitcnt vmcnt(6)
	v_lshlrev_b32_e32 v37, 16, v52
	;; [unrolled: 6-line block ×5, first 2 shown]
	v_lshlrev_b32_e32 v36, 16, v45
	v_pk_mul_f32 v[36:37], v[84:85], v[36:37]
	v_add_f32_e32 v2, v2, v36
	v_add_f32_e32 v119, v2, v37
	s_cbranch_vccz .LBB223_15
; %bb.13:
	ds_read_b128 v[36:39], v3 offset:64
	v_lshlrev_b32_e32 v2, 16, v60
	ds_read_b128 v[40:43], v3 offset:80
	ds_read_b128 v[44:47], v3 offset:96
	ds_read_b128 v[48:51], v3 offset:112
	s_cmpk_lt_u32 s52, 0x2001
	s_waitcnt lgkmcnt(3)
	v_fmac_f32_e32 v119, v36, v2
	v_lshlrev_b32_e32 v2, 16, v59
	v_fmac_f32_e32 v119, v37, v2
	v_lshlrev_b32_e32 v2, 16, v58
	v_fmac_f32_e32 v119, v38, v2
	v_lshlrev_b32_e32 v2, 16, v57
	v_fmac_f32_e32 v119, v39, v2
	v_lshlrev_b32_e32 v2, 16, v56
	s_waitcnt lgkmcnt(2)
	v_fmac_f32_e32 v119, v40, v2
	v_lshlrev_b32_e32 v2, 16, v55
	v_fmac_f32_e32 v119, v41, v2
	v_lshlrev_b32_e32 v2, 16, v54
	v_fmac_f32_e32 v119, v42, v2
	v_lshlrev_b32_e32 v2, 16, v53
	v_fmac_f32_e32 v119, v43, v2
	v_lshlrev_b32_e32 v2, 16, v68
	;; [unrolled: 9-line block ×3, first 2 shown]
	s_waitcnt lgkmcnt(0)
	v_fmac_f32_e32 v119, v48, v2
	v_lshlrev_b32_e32 v2, 16, v63
	v_fmac_f32_e32 v119, v49, v2
	v_lshlrev_b32_e32 v2, 16, v62
	;; [unrolled: 2-line block ×3, first 2 shown]
	v_fmac_f32_e32 v119, v51, v2
	s_cbranch_scc1 .LBB223_15
; %bb.14:
	v_mov_b32_e32 v52, 0
	ds_read_b128 v[36:39], v52 offset:128
	ds_read_b128 v[40:43], v52 offset:144
	ds_read_b128 v[44:47], v52 offset:160
	ds_read_b128 v[48:51], v52 offset:176
	s_waitcnt lgkmcnt(3)
	v_fmac_f32_e32 v119, v36, v35
	v_fmac_f32_e32 v119, v37, v33
	v_fmac_f32_e32 v119, v38, v34
	v_fmac_f32_e32 v119, v39, v31
	s_waitcnt lgkmcnt(2)
	v_fmac_f32_e32 v119, v40, v32
	v_fmac_f32_e32 v119, v41, v29
	v_fmac_f32_e32 v119, v42, v30
	v_fmac_f32_e32 v119, v43, v27
	;; [unrolled: 5-line block ×3, first 2 shown]
	s_waitcnt lgkmcnt(0)
	v_fmac_f32_e32 v119, v48, v24
	ds_read_b128 v[24:27], v52 offset:192
	v_fmac_f32_e32 v119, v49, v21
	v_fmac_f32_e32 v119, v50, v22
	;; [unrolled: 1-line block ×3, first 2 shown]
	ds_read_b128 v[20:23], v52 offset:208
	s_waitcnt lgkmcnt(1)
	v_fmac_f32_e32 v119, v24, v19
	v_fmac_f32_e32 v119, v25, v17
	;; [unrolled: 1-line block ×4, first 2 shown]
	s_waitcnt lgkmcnt(0)
	v_pk_mul_f32 v[2:3], v[20:21], v[14:15]
	ds_read_b128 v[14:17], v52 offset:224
	v_add_f32_e32 v2, v119, v2
	v_add_f32_e32 v18, v2, v3
	v_pk_mul_f32 v[2:3], v[22:23], v[12:13]
	v_add_f32_e32 v2, v18, v2
	ds_read_b128 v[18:21], v52 offset:240
	v_add_f32_e32 v12, v2, v3
	s_waitcnt lgkmcnt(1)
	v_pk_mul_f32 v[2:3], v[14:15], v[10:11]
	v_add_f32_e32 v2, v12, v2
	v_add_f32_e32 v10, v2, v3
	v_pk_mul_f32 v[2:3], v[16:17], v[8:9]
	v_add_f32_e32 v2, v10, v2
	v_add_f32_e32 v8, v2, v3
	s_waitcnt lgkmcnt(0)
	v_pk_mul_f32 v[2:3], v[18:19], v[6:7]
	v_add_f32_e32 v2, v8, v2
	v_add_f32_e32 v6, v2, v3
	v_pk_mul_f32 v[2:3], v[20:21], v[4:5]
	v_add_f32_e32 v2, v6, v2
	v_add_f32_e32 v119, v2, v3
.LBB223_15:
	s_movk_i32 s4, 0x1fc0
	s_movk_i32 s5, 0x100
	s_mov_b32 s8, 64
	s_branch .LBB223_17
.LBB223_16:                             ;   in Loop: Header=BB223_17 Depth=1
	s_addk_i32 s4, 0x1000
	s_addk_i32 s5, 0x100
	s_add_i32 s8, s8, 64
	s_cmpk_eq_u32 s4, 0xcfc0
	s_cbranch_scc1 .LBB223_19
.LBB223_17:                             ; =>This Inner Loop Header: Depth=1
	s_cmp_le_i32 s33, s8
	s_cbranch_scc1 .LBB223_16
; %bb.18:                               ;   in Loop: Header=BB223_17 Depth=1
	s_add_i32 s9, s4, 0xfffff040
	s_cmp_lt_i32 s9, s10
	s_cselect_b32 s12, s9, s11
	s_ashr_i32 s13, s12, 31
	s_lshl_b64 s[12:13], s[12:13], 1
	s_add_i32 s9, s4, 0xfffff080
	s_cmp_lt_i32 s9, s10
	v_add_co_u32_e32 v4, vcc, s12, v0
	s_cselect_b32 s12, s9, s11
	v_mov_b32_e32 v2, s13
	s_ashr_i32 s13, s12, 31
	s_lshl_b64 s[12:13], s[12:13], 1
	s_add_i32 s9, s4, 0xfffff0c0
	v_addc_co_u32_e32 v5, vcc, v1, v2, vcc
	s_cmp_lt_i32 s9, s10
	v_add_co_u32_e32 v2, vcc, s12, v0
	s_cselect_b32 s12, s9, s11
	v_mov_b32_e32 v3, s13
	s_ashr_i32 s13, s12, 31
	s_lshl_b64 s[12:13], s[12:13], 1
	s_add_i32 s9, s4, 0xfffff100
	v_addc_co_u32_e32 v3, vcc, v1, v3, vcc
	;; [unrolled: 8-line block ×21, first 2 shown]
	s_cmp_lt_i32 s9, s10
	global_load_ushort v120, v[4:5], off
	global_load_ushort v122, v[6:7], off
	;; [unrolled: 1-line block ×4, first 2 shown]
	v_add_co_u32_e32 v44, vcc, s12, v0
	s_cselect_b32 s12, s9, s11
	v_mov_b32_e32 v45, s13
	s_ashr_i32 s13, s12, 31
	s_lshl_b64 s[12:13], s[12:13], 1
	s_add_i32 s9, s4, 0xfffff600
	v_addc_co_u32_e32 v45, vcc, v1, v45, vcc
	s_cmp_lt_i32 s9, s10
	v_add_co_u32_e32 v46, vcc, s12, v0
	s_cselect_b32 s12, s9, s11
	v_mov_b32_e32 v47, s13
	s_ashr_i32 s13, s12, 31
	s_lshl_b64 s[12:13], s[12:13], 1
	s_add_i32 s9, s4, 0xfffff640
	v_addc_co_u32_e32 v47, vcc, v1, v47, vcc
	s_cmp_lt_i32 s9, s10
	;; [unrolled: 8-line block ×8, first 2 shown]
	global_load_ushort v121, v[2:3], off
	v_add_co_u32_e32 v60, vcc, s12, v0
	s_cselect_b32 s12, s9, s11
	v_mov_b32_e32 v61, s13
	s_ashr_i32 s13, s12, 31
	s_lshl_b64 s[12:13], s[12:13], 1
	s_add_i32 s9, s4, 0xfffff800
	v_addc_co_u32_e32 v61, vcc, v1, v61, vcc
	s_cmp_lt_i32 s9, s10
	v_add_co_u32_e32 v62, vcc, s12, v0
	s_cselect_b32 s12, s9, s11
	global_load_ushort v125, v[12:13], off
	global_load_ushort v126, v[14:15], off
	v_mov_b32_e32 v63, s13
	s_ashr_i32 s13, s12, 31
	global_load_ushort v127, v[16:17], off
	global_load_ushort v128, v[18:19], off
	;; [unrolled: 1-line block ×3, first 2 shown]
	s_lshl_b64 s[12:13], s[12:13], 1
	s_add_i32 s9, s4, 0xfffff840
	v_addc_co_u32_e32 v63, vcc, v1, v63, vcc
	s_cmp_lt_i32 s9, s10
	v_add_co_u32_e32 v64, vcc, s12, v0
	s_cselect_b32 s12, s9, s11
	v_mov_b32_e32 v65, s13
	s_ashr_i32 s13, s12, 31
	s_lshl_b64 s[12:13], s[12:13], 1
	s_add_i32 s9, s4, 0xfffff880
	v_addc_co_u32_e32 v65, vcc, v1, v65, vcc
	s_cmp_lt_i32 s9, s10
	v_add_co_u32_e32 v66, vcc, s12, v0
	s_cselect_b32 s12, s9, s11
	v_mov_b32_e32 v67, s13
	s_ashr_i32 s13, s12, 31
	global_load_ushort v130, v[22:23], off
	global_load_ushort v131, v[24:25], off
	s_lshl_b64 s[12:13], s[12:13], 1
	s_add_i32 s9, s4, 0xfffff8c0
	v_addc_co_u32_e32 v67, vcc, v1, v67, vcc
	s_cmp_lt_i32 s9, s10
	global_load_ushort v132, v[26:27], off
	global_load_ushort v133, v[28:29], off
	v_add_co_u32_e32 v68, vcc, s12, v0
	s_cselect_b32 s12, s9, s11
	v_mov_b32_e32 v69, s13
	s_ashr_i32 s13, s12, 31
	s_lshl_b64 s[12:13], s[12:13], 1
	s_add_i32 s9, s4, 0xfffff900
	v_addc_co_u32_e32 v69, vcc, v1, v69, vcc
	s_cmp_lt_i32 s9, s10
	v_add_co_u32_e32 v70, vcc, s12, v0
	s_cselect_b32 s12, s9, s11
	v_mov_b32_e32 v71, s13
	s_ashr_i32 s13, s12, 31
	global_load_ushort v134, v[30:31], off
	global_load_ushort v135, v[32:33], off
	s_lshl_b64 s[12:13], s[12:13], 1
	s_add_i32 s9, s4, 0xfffff940
	v_addc_co_u32_e32 v71, vcc, v1, v71, vcc
	s_cmp_lt_i32 s9, s10
	v_add_co_u32_e32 v72, vcc, s12, v0
	s_cselect_b32 s12, s9, s11
	v_mov_b32_e32 v73, s13
	s_ashr_i32 s13, s12, 31
	s_lshl_b64 s[12:13], s[12:13], 1
	s_add_i32 s9, s4, 0xfffff980
	global_load_ushort v30, v[34:35], off
	global_load_ushort v31, v[36:37], off
	;; [unrolled: 1-line block ×4, first 2 shown]
	v_addc_co_u32_e32 v73, vcc, v1, v73, vcc
	s_cmp_lt_i32 s9, s10
	v_add_co_u32_e32 v74, vcc, s12, v0
	s_cselect_b32 s12, s9, s11
	v_mov_b32_e32 v75, s13
	s_ashr_i32 s13, s12, 31
	s_lshl_b64 s[12:13], s[12:13], 1
	s_add_i32 s9, s4, 0xfffff9c0
	v_addc_co_u32_e32 v75, vcc, v1, v75, vcc
	s_cmp_lt_i32 s9, s10
	v_add_co_u32_e32 v76, vcc, s12, v0
	s_cselect_b32 s12, s9, s11
	v_mov_b32_e32 v77, s13
	s_ashr_i32 s13, s12, 31
	s_lshl_b64 s[12:13], s[12:13], 1
	s_add_i32 s9, s4, 0xfffffa00
	v_addc_co_u32_e32 v77, vcc, v1, v77, vcc
	s_cmp_lt_i32 s9, s10
	v_add_co_u32_e32 v78, vcc, s12, v0
	s_cselect_b32 s12, s9, s11
	global_load_ushort v34, v[42:43], off
	global_load_ushort v35, v[44:45], off
	v_mov_b32_e32 v79, s13
	s_ashr_i32 s13, s12, 31
	s_lshl_b64 s[12:13], s[12:13], 1
	s_add_i32 s9, s4, 0xfffffa40
	v_addc_co_u32_e32 v79, vcc, v1, v79, vcc
	s_cmp_lt_i32 s9, s10
	v_add_co_u32_e32 v80, vcc, s12, v0
	s_cselect_b32 s12, s9, s11
	v_mov_b32_e32 v81, s13
	s_ashr_i32 s13, s12, 31
	global_load_ushort v38, v[46:47], off
	s_lshl_b64 s[12:13], s[12:13], 1
	s_add_i32 s9, s4, 0xfffffa80
	v_mov_b32_e32 v37, s5
	v_addc_co_u32_e32 v81, vcc, v1, v81, vcc
	s_cmp_lt_i32 s9, s10
	ds_read_b128 v[14:17], v37
	ds_read_b128 v[18:21], v37 offset:16
	global_load_ushort v39, v[48:49], off
	v_add_co_u32_e32 v82, vcc, s12, v0
	s_cselect_b32 s12, s9, s11
	v_mov_b32_e32 v83, s13
	s_ashr_i32 s13, s12, 31
	s_lshl_b64 s[12:13], s[12:13], 1
	s_add_i32 s9, s4, 0xfffffac0
	v_addc_co_u32_e32 v83, vcc, v1, v83, vcc
	s_cmp_lt_i32 s9, s10
	s_waitcnt vmcnt(23)
	v_lshlrev_b32_e32 v36, 16, v120
	v_add_co_u32_e32 v84, vcc, s12, v0
	s_cselect_b32 s12, s9, s11
	ds_read_b128 v[22:25], v37 offset:32
	ds_read_b128 v[26:29], v37 offset:48
	s_waitcnt lgkmcnt(3)
	v_fmac_f32_e32 v119, v14, v36
	global_load_ushort v36, v[50:51], off
	global_load_ushort v40, v[52:53], off
	;; [unrolled: 1-line block ×6, first 2 shown]
	v_mov_b32_e32 v85, s13
	s_ashr_i32 s13, s12, 31
	s_lshl_b64 s[12:13], s[12:13], 1
	s_add_i32 s9, s4, 0xfffffb00
	v_addc_co_u32_e32 v85, vcc, v1, v85, vcc
	s_cmp_lt_i32 s9, s10
	v_add_co_u32_e32 v86, vcc, s12, v0
	s_cselect_b32 s12, s9, s11
	v_mov_b32_e32 v87, s13
	s_ashr_i32 s13, s12, 31
	s_lshl_b64 s[12:13], s[12:13], 1
	s_add_i32 s9, s4, 0xfffffb40
	v_addc_co_u32_e32 v87, vcc, v1, v87, vcc
	s_cmp_lt_i32 s9, s10
	v_add_co_u32_e32 v88, vcc, s12, v0
	s_cselect_b32 s12, s9, s11
	;; [unrolled: 8-line block ×7, first 2 shown]
	v_mov_b32_e32 v99, s13
	s_ashr_i32 s13, s12, 31
	s_lshl_b64 s[12:13], s[12:13], 1
	s_add_i32 s9, s4, 0xfffffcc0
	v_addc_co_u32_e32 v99, vcc, v1, v99, vcc
	s_cmp_lt_i32 s9, s10
	s_waitcnt vmcnt(25)
	v_lshlrev_b32_e32 v14, 16, v121
	v_add_co_u32_e32 v100, vcc, s12, v0
	s_cselect_b32 s12, s9, s11
	v_fmac_f32_e32 v119, v15, v14
	v_lshlrev_b32_e32 v14, 16, v122
	v_mov_b32_e32 v101, s13
	s_ashr_i32 s13, s12, 31
	v_fmac_f32_e32 v119, v16, v14
	v_lshlrev_b32_e32 v14, 16, v123
	s_lshl_b64 s[12:13], s[12:13], 1
	s_add_i32 s9, s4, 0xfffffd00
	v_fmac_f32_e32 v119, v17, v14
	v_lshlrev_b32_e32 v14, 16, v124
	v_addc_co_u32_e32 v101, vcc, v1, v101, vcc
	s_cmp_lt_i32 s9, s10
	s_waitcnt lgkmcnt(2)
	v_fmac_f32_e32 v119, v18, v14
	s_waitcnt vmcnt(24)
	v_lshlrev_b32_e32 v14, 16, v125
	v_add_co_u32_e32 v102, vcc, s12, v0
	s_cselect_b32 s12, s9, s11
	v_fmac_f32_e32 v119, v19, v14
	s_waitcnt vmcnt(23)
	v_lshlrev_b32_e32 v14, 16, v126
	v_mov_b32_e32 v103, s13
	s_ashr_i32 s13, s12, 31
	v_fmac_f32_e32 v119, v20, v14
	s_waitcnt vmcnt(22)
	v_lshlrev_b32_e32 v14, 16, v127
	s_lshl_b64 s[12:13], s[12:13], 1
	s_add_i32 s9, s4, 0xfffffd40
	v_fmac_f32_e32 v119, v21, v14
	s_waitcnt vmcnt(21)
	v_lshlrev_b32_e32 v14, 16, v128
	v_addc_co_u32_e32 v103, vcc, v1, v103, vcc
	s_cmp_lt_i32 s9, s10
	s_waitcnt lgkmcnt(1)
	v_fmac_f32_e32 v119, v22, v14
	global_load_ushort v22, v[62:63], off
	v_add_co_u32_e32 v104, vcc, s12, v0
	s_cselect_b32 s12, s9, s11
	v_mov_b32_e32 v105, s13
	s_ashr_i32 s13, s12, 31
	s_lshl_b64 s[12:13], s[12:13], 1
	s_add_i32 s9, s4, 0xfffffd80
	s_waitcnt vmcnt(21)
	v_lshlrev_b32_e32 v14, 16, v129
	v_addc_co_u32_e32 v105, vcc, v1, v105, vcc
	s_cmp_lt_i32 s9, s10
	v_fmac_f32_e32 v119, v23, v14
	global_load_ushort v23, v[64:65], off
	v_add_co_u32_e32 v106, vcc, s12, v0
	s_cselect_b32 s12, s9, s11
	s_waitcnt vmcnt(21)
	v_lshlrev_b32_e32 v14, 16, v130
	global_load_ushort v45, v[66:67], off
	v_mov_b32_e32 v107, s13
	s_ashr_i32 s13, s12, 31
	v_fmac_f32_e32 v119, v24, v14
	global_load_ushort v24, v[68:69], off
	s_waitcnt vmcnt(22)
	v_lshlrev_b32_e32 v14, 16, v131
	s_lshl_b64 s[12:13], s[12:13], 1
	s_add_i32 s9, s4, 0xfffffdc0
	v_fmac_f32_e32 v119, v25, v14
	global_load_ushort v25, v[70:71], off
	global_load_ushort v46, v[72:73], off
	v_addc_co_u32_e32 v107, vcc, v1, v107, vcc
	s_cmp_lt_i32 s9, s10
	s_waitcnt vmcnt(23)
	v_lshlrev_b32_e32 v14, 16, v132
	v_add_co_u32_e32 v110, vcc, s12, v0
	s_cselect_b32 s12, s9, s11
	s_waitcnt lgkmcnt(0)
	v_fmac_f32_e32 v119, v26, v14
	global_load_ushort v26, v[74:75], off
	global_load_ushort v47, v[76:77], off
	v_mov_b32_e32 v108, s13
	s_ashr_i32 s13, s12, 31
	s_waitcnt vmcnt(24)
	v_lshlrev_b32_e32 v14, 16, v133
	s_lshl_b64 s[12:13], s[12:13], 1
	s_add_i32 s9, s4, 0xfffffe00
	v_fmac_f32_e32 v119, v27, v14
	global_load_ushort v27, v[78:79], off
	v_addc_co_u32_e32 v111, vcc, v1, v108, vcc
	s_cmp_lt_i32 s9, s10
	v_add_co_u32_e32 v108, vcc, s12, v0
	s_cselect_b32 s12, s9, s11
	s_waitcnt vmcnt(24)
	v_lshlrev_b32_e32 v14, 16, v134
	v_mov_b32_e32 v109, s13
	s_ashr_i32 s13, s12, 31
	v_fmac_f32_e32 v119, v28, v14
	global_load_ushort v28, v[80:81], off
	s_waitcnt vmcnt(24)
	v_lshlrev_b32_e32 v14, 16, v135
	s_lshl_b64 s[12:13], s[12:13], 1
	s_add_i32 s9, s4, 0xfffffe40
	v_fmac_f32_e32 v119, v29, v14
	ds_read_b128 v[14:17], v37 offset:64
	ds_read_b128 v[18:21], v37 offset:80
	v_addc_co_u32_e32 v109, vcc, v1, v109, vcc
	s_cmp_lt_i32 s9, s10
	global_load_ushort v48, v[82:83], off
	global_load_ushort v29, v[84:85], off
	;; [unrolled: 1-line block ×4, first 2 shown]
	v_add_co_u32_e32 v114, vcc, s12, v0
	s_cselect_b32 s12, s9, s11
	v_mov_b32_e32 v112, s13
	s_ashr_i32 s13, s12, 31
	s_lshl_b64 s[12:13], s[12:13], 1
	s_add_i32 s9, s4, 0xfffffe80
	s_waitcnt vmcnt(27)
	v_lshlrev_b32_e32 v30, 16, v30
	v_addc_co_u32_e32 v115, vcc, v1, v112, vcc
	s_cmp_lt_i32 s9, s10
	s_waitcnt lgkmcnt(1)
	v_fmac_f32_e32 v119, v14, v30
	global_load_ushort v30, v[90:91], off
	v_add_co_u32_e32 v112, vcc, s12, v0
	s_cselect_b32 s12, s9, s11
	s_waitcnt vmcnt(27)
	v_lshlrev_b32_e32 v14, 16, v31
	global_load_ushort v31, v[92:93], off
	global_load_ushort v51, v[94:95], off
	v_mov_b32_e32 v113, s13
	s_ashr_i32 s13, s12, 31
	s_lshl_b64 s[12:13], s[12:13], 1
	s_add_i32 s9, s4, 0xfffffec0
	v_addc_co_u32_e32 v113, vcc, v1, v113, vcc
	s_cmp_lt_i32 s9, s10
	v_add_co_u32_e32 v116, vcc, s12, v0
	s_cselect_b32 s12, s9, s11
	v_mov_b32_e32 v117, s13
	s_ashr_i32 s13, s12, 31
	v_fmac_f32_e32 v119, v15, v14
	s_waitcnt vmcnt(28)
	v_lshlrev_b32_e32 v14, 16, v32
	global_load_ushort v32, v[96:97], off
	s_lshl_b64 s[12:13], s[12:13], 1
	s_add_i32 s9, s4, 0xffffff00
	v_fmac_f32_e32 v119, v16, v14
	s_waitcnt vmcnt(28)
	v_lshlrev_b32_e32 v14, 16, v33
	global_load_ushort v33, v[98:99], off
	v_addc_co_u32_e32 v117, vcc, v1, v117, vcc
	s_cmp_lt_i32 s9, s10
	v_fmac_f32_e32 v119, v17, v14
	s_waitcnt vmcnt(28)
	v_lshlrev_b32_e32 v14, 16, v34
	global_load_ushort v34, v[100:101], off
	global_load_ushort v52, v[102:103], off
	v_add_co_u32_e32 v2, vcc, s12, v0
	s_cselect_b32 s12, s9, s11
	v_mov_b32_e32 v4, s13
	s_ashr_i32 s13, s12, 31
	s_lshl_b64 s[12:13], s[12:13], 1
	s_add_i32 s9, s4, 0xffffff40
	s_waitcnt lgkmcnt(0)
	v_fmac_f32_e32 v119, v18, v14
	s_waitcnt vmcnt(29)
	v_lshlrev_b32_e32 v14, 16, v35
	global_load_ushort v35, v[104:105], off
	global_load_ushort v53, v[106:107], off
	;; [unrolled: 1-line block ×3, first 2 shown]
	v_addc_co_u32_e32 v3, vcc, v1, v4, vcc
	s_cmp_lt_i32 s9, s10
	v_add_co_u32_e32 v4, vcc, s12, v0
	s_cselect_b32 s12, s9, s11
	v_mov_b32_e32 v5, s13
	s_ashr_i32 s13, s12, 31
	v_fmac_f32_e32 v119, v19, v14
	s_waitcnt vmcnt(31)
	v_lshlrev_b32_e32 v14, 16, v38
	global_load_ushort v38, v[108:109], off
	global_load_ushort v55, v[114:115], off
	s_lshl_b64 s[12:13], s[12:13], 1
	s_add_i32 s9, s4, 0xffffff80
	v_addc_co_u32_e32 v5, vcc, v1, v5, vcc
	s_cmp_lt_i32 s9, s10
	v_fmac_f32_e32 v119, v20, v14
	s_waitcnt vmcnt(32)
	v_lshlrev_b32_e32 v14, 16, v39
	v_add_co_u32_e32 v6, vcc, s12, v0
	s_cselect_b32 s12, s9, s11
	v_fmac_f32_e32 v119, v21, v14
	ds_read_b128 v[14:17], v37 offset:96
	v_mov_b32_e32 v7, s13
	s_ashr_i32 s13, s12, 31
	s_lshl_b64 s[12:13], s[12:13], 1
	s_sub_i32 s9, s4, 64
	v_addc_co_u32_e32 v7, vcc, v1, v7, vcc
	s_cmp_lt_i32 s9, s10
	global_load_ushort v39, v[112:113], off
	global_load_ushort v56, v[116:117], off
	v_add_co_u32_e32 v10, vcc, s12, v0
	s_cselect_b32 s12, s9, s11
	s_waitcnt vmcnt(33)
	v_lshlrev_b32_e32 v36, 16, v36
	v_mov_b32_e32 v8, s13
	s_ashr_i32 s13, s12, 31
	s_waitcnt lgkmcnt(0)
	v_fmac_f32_e32 v119, v14, v36
	s_waitcnt vmcnt(32)
	v_lshlrev_b32_e32 v14, 16, v40
	s_lshl_b64 s[12:13], s[12:13], 1
	ds_read_b128 v[18:21], v37 offset:112
	v_fmac_f32_e32 v119, v15, v14
	global_load_ushort v14, v[2:3], off
	global_load_ushort v15, v[4:5], off
	v_addc_co_u32_e32 v11, vcc, v1, v8, vcc
	s_cmp_lt_i32 s4, s10
	v_add_co_u32_e32 v8, vcc, s12, v0
	s_cselect_b32 s12, s4, s11
	s_waitcnt vmcnt(33)
	v_lshlrev_b32_e32 v2, 16, v41
	v_mov_b32_e32 v9, s13
	s_ashr_i32 s13, s12, 31
	v_fmac_f32_e32 v119, v16, v2
	global_load_ushort v16, v[6:7], off
	global_load_ushort v36, v[10:11], off
	v_addc_co_u32_e32 v9, vcc, v1, v9, vcc
	s_lshl_b64 s[12:13], s[12:13], 1
	s_waitcnt vmcnt(34)
	v_lshlrev_b32_e32 v2, 16, v42
	v_mov_b32_e32 v13, s13
	v_add_co_u32_e32 v12, vcc, s12, v0
	v_fmac_f32_e32 v119, v17, v2
	s_waitcnt vmcnt(33)
	v_lshlrev_b32_e32 v2, 16, v43
	v_addc_co_u32_e32 v13, vcc, v1, v13, vcc
	s_waitcnt lgkmcnt(0)
	v_fmac_f32_e32 v119, v18, v2
	global_load_ushort v17, v[8:9], off
	global_load_ushort v18, v[12:13], off
	s_waitcnt vmcnt(34)
	v_lshlrev_b32_e32 v2, 16, v44
	v_fmac_f32_e32 v119, v19, v2
	s_waitcnt vmcnt(33)
	v_lshlrev_b32_e32 v2, 16, v22
	v_fmac_f32_e32 v119, v20, v2
	ds_read_b128 v[2:5], v37 offset:128
	s_waitcnt vmcnt(32)
	v_lshlrev_b32_e32 v6, 16, v23
	v_fmac_f32_e32 v119, v21, v6
	ds_read_b128 v[6:9], v37 offset:144
	s_waitcnt vmcnt(31)
	v_lshlrev_b32_e32 v10, 16, v45
	s_waitcnt lgkmcnt(1)
	v_fmac_f32_e32 v119, v2, v10
	s_waitcnt vmcnt(30)
	v_lshlrev_b32_e32 v2, 16, v24
	v_fmac_f32_e32 v119, v3, v2
	s_waitcnt vmcnt(29)
	v_lshlrev_b32_e32 v2, 16, v25
	;; [unrolled: 3-line block ×4, first 2 shown]
	s_waitcnt lgkmcnt(0)
	v_fmac_f32_e32 v119, v6, v2
	s_waitcnt vmcnt(26)
	v_lshlrev_b32_e32 v2, 16, v47
	v_fmac_f32_e32 v119, v7, v2
	s_waitcnt vmcnt(25)
	v_lshlrev_b32_e32 v2, 16, v27
	v_fmac_f32_e32 v119, v8, v2
	ds_read_b128 v[2:5], v37 offset:160
	s_waitcnt vmcnt(24)
	v_lshlrev_b32_e32 v6, 16, v28
	v_fmac_f32_e32 v119, v9, v6
	ds_read_b128 v[6:9], v37 offset:176
	s_waitcnt vmcnt(23)
	v_lshlrev_b32_e32 v10, 16, v48
	s_waitcnt lgkmcnt(1)
	v_fmac_f32_e32 v119, v2, v10
	s_waitcnt vmcnt(22)
	v_lshlrev_b32_e32 v2, 16, v29
	v_fmac_f32_e32 v119, v3, v2
	s_waitcnt vmcnt(21)
	v_lshlrev_b32_e32 v2, 16, v49
	;; [unrolled: 3-line block ×4, first 2 shown]
	s_waitcnt lgkmcnt(0)
	v_fmac_f32_e32 v119, v6, v2
	s_waitcnt vmcnt(18)
	v_lshlrev_b32_e32 v2, 16, v31
	v_fmac_f32_e32 v119, v7, v2
	s_waitcnt vmcnt(17)
	v_lshlrev_b32_e32 v2, 16, v51
	v_fmac_f32_e32 v119, v8, v2
	ds_read_b128 v[2:5], v37 offset:192
	s_waitcnt vmcnt(16)
	v_lshlrev_b32_e32 v6, 16, v32
	v_fmac_f32_e32 v119, v9, v6
	ds_read_b128 v[6:9], v37 offset:208
	s_waitcnt vmcnt(15)
	v_lshlrev_b32_e32 v10, 16, v33
	s_waitcnt lgkmcnt(1)
	v_fmac_f32_e32 v119, v2, v10
	s_waitcnt vmcnt(14)
	v_lshlrev_b32_e32 v2, 16, v34
	v_fmac_f32_e32 v119, v3, v2
	s_waitcnt vmcnt(13)
	v_lshlrev_b32_e32 v2, 16, v52
	;; [unrolled: 3-line block ×4, first 2 shown]
	v_lshlrev_b32_e32 v2, 16, v53
	s_waitcnt lgkmcnt(0)
	v_pk_mul_f32 v[2:3], v[6:7], v[2:3]
	v_add_f32_e32 v2, v119, v2
	v_add_f32_e32 v4, v2, v3
	s_waitcnt vmcnt(8)
	v_lshlrev_b32_e32 v3, 16, v55
	v_lshlrev_b32_e32 v2, 16, v38
	v_pk_mul_f32 v[6:7], v[8:9], v[2:3]
	v_add_f32_e32 v6, v4, v6
	ds_read_b128 v[2:5], v37 offset:224
	s_waitcnt vmcnt(6)
	v_lshlrev_b32_e32 v11, 16, v56
	v_lshlrev_b32_e32 v10, 16, v39
	v_add_f32_e32 v12, v6, v7
	ds_read_b128 v[6:9], v37 offset:240
	s_waitcnt lgkmcnt(1)
	v_pk_mul_f32 v[2:3], v[2:3], v[10:11]
	v_add_f32_e32 v2, v12, v2
	v_add_f32_e32 v10, v2, v3
	s_waitcnt vmcnt(4)
	v_lshlrev_b32_e32 v3, 16, v15
	v_lshlrev_b32_e32 v2, 16, v14
	v_pk_mul_f32 v[2:3], v[4:5], v[2:3]
	v_add_f32_e32 v2, v10, v2
	v_add_f32_e32 v4, v2, v3
	s_waitcnt vmcnt(2)
	v_lshlrev_b32_e32 v3, 16, v36
	v_lshlrev_b32_e32 v2, 16, v16
	s_waitcnt lgkmcnt(0)
	v_pk_mul_f32 v[2:3], v[6:7], v[2:3]
	v_add_f32_e32 v2, v4, v2
	v_add_f32_e32 v4, v2, v3
	s_waitcnt vmcnt(0)
	v_lshlrev_b32_e32 v3, 16, v18
	v_lshlrev_b32_e32 v2, 16, v17
	v_pk_mul_f32 v[2:3], v[8:9], v[2:3]
	v_add_f32_e32 v2, v4, v2
	v_add_f32_e32 v119, v2, v3
	s_branch .LBB223_16
.LBB223_19:
	v_mov_b32_e32 v0, 0
	ds_read_b32 v0, v0 offset:3072
	s_cmp_lg_u64 s[2:3], 0
	s_cbranch_scc0 .LBB223_28
; %bb.20:
	s_load_dword s4, s[2:3], 0x0
	s_waitcnt lgkmcnt(0)
	v_div_scale_f32 v1, s[2:3], s4, s4, 1.0
	v_rcp_f32_e32 v2, v1
	v_div_scale_f32 v3, vcc, 1.0, s4, 1.0
	v_fma_f32 v4, -v1, v2, 1.0
	v_fmac_f32_e32 v2, v4, v2
	v_mul_f32_e32 v4, v3, v2
	v_fma_f32 v5, -v1, v4, v3
	v_fmac_f32_e32 v4, v5, v2
	v_fma_f32 v1, -v1, v4, v3
	v_div_fmas_f32 v1, v1, v2, v4
	v_div_fixup_f32 v1, v1, s4, 1.0
	s_andn2_b64 vcc, exec, s[42:43]
	s_cbranch_vccnz .LBB223_22
.LBB223_21:
	s_add_u32 s2, s40, s44
	s_addc_u32 s3, s41, s45
	s_load_dword s34, s[2:3], 0x0
	s_mov_b32 s35, 0
.LBB223_22:
	s_waitcnt lgkmcnt(0)
	v_add_f32_e32 v0, 0x358637bd, v0
	v_div_scale_f32 v2, s[2:3], v0, v0, 1.0
	v_rcp_f32_e32 v3, v2
	v_div_scale_f32 v4, vcc, 1.0, v0, 1.0
	s_mov_b32 s2, 0x7f800000
	v_fma_f32 v5, -v2, v3, 1.0
	v_fmac_f32_e32 v3, v5, v3
	v_mul_f32_e32 v5, v4, v3
	v_fma_f32 v6, -v2, v5, v4
	v_fmac_f32_e32 v5, v6, v3
	v_fma_f32 v2, -v2, v5, v4
	v_div_fmas_f32 v2, v2, v3, v5
	v_div_fixup_f32 v0, v2, v0, 1.0
	v_mul_f32_e32 v0, v119, v0
	v_mul_f32_e32 v1, v0, v1
	v_and_b32_e32 v0, 0x7f800000, v1
	v_cmp_ne_u32_e32 vcc, s2, v0
                                        ; implicit-def: $vgpr0
	s_and_saveexec_b64 s[2:3], vcc
	s_xor_b64 s[2:3], exec, s[2:3]
; %bb.23:
	v_bfe_u32 v0, v1, 16, 1
	s_movk_i32 s4, 0x7fff
	v_add3_u32 v0, v1, v0, s4
                                        ; implicit-def: $vgpr1
; %bb.24:
	s_andn2_saveexec_b64 s[2:3], s[2:3]
; %bb.25:
	v_mov_b32_e32 v0, 0
	v_or_b32_e32 v2, 0x10000, v1
	v_cmp_eq_u32_sdwa vcc, v1, v0 src0_sel:WORD_0 src1_sel:DWORD
	v_cndmask_b32_e32 v0, v2, v1, vcc
; %bb.26:
	s_or_b64 exec, exec, s[2:3]
	s_mul_i32 s2, s7, s35
	s_mul_hi_u32 s3, s7, s34
	s_add_i32 s3, s3, s2
	s_mul_i32 s2, s7, s34
	s_lshl_b64 s[2:3], s[2:3], 7
	s_add_u32 s2, s0, s2
	s_mov_b32 s7, 0
	s_addc_u32 s3, s1, s3
	s_lshl_b64 s[0:1], s[6:7], 7
	s_add_u32 s0, s2, s0
	s_addc_u32 s1, s3, s1
	global_store_short_d16_hi v118, v0, s[0:1]
	s_endpgm
.LBB223_27:
	s_mov_b64 s[2:3], 0
	s_branch .LBB223_2
.LBB223_28:
	v_mov_b32_e32 v1, 1.0
	s_andn2_b64 vcc, exec, s[42:43]
	s_cbranch_vccz .LBB223_21
	s_branch .LBB223_22
	.section	.rodata,"a",@progbits
	.p2align	6, 0x0
	.amdhsa_kernel _Z35paged_attention_ll4mi_reduce_kernelI14__hip_bfloat16S0_Li64ELi64ELi256ELi12EEvPT0_PKfS4_PKT_PKiS9_iS4_
		.amdhsa_group_segment_fixed_size 3076
		.amdhsa_private_segment_fixed_size 0
		.amdhsa_kernarg_size 320
		.amdhsa_user_sgpr_count 6
		.amdhsa_user_sgpr_private_segment_buffer 1
		.amdhsa_user_sgpr_dispatch_ptr 0
		.amdhsa_user_sgpr_queue_ptr 0
		.amdhsa_user_sgpr_kernarg_segment_ptr 1
		.amdhsa_user_sgpr_dispatch_id 0
		.amdhsa_user_sgpr_flat_scratch_init 0
		.amdhsa_user_sgpr_kernarg_preload_length 0
		.amdhsa_user_sgpr_kernarg_preload_offset 0
		.amdhsa_user_sgpr_private_segment_size 0
		.amdhsa_uses_dynamic_stack 0
		.amdhsa_system_sgpr_private_segment_wavefront_offset 0
		.amdhsa_system_sgpr_workgroup_id_x 1
		.amdhsa_system_sgpr_workgroup_id_y 1
		.amdhsa_system_sgpr_workgroup_id_z 0
		.amdhsa_system_sgpr_workgroup_info 0
		.amdhsa_system_vgpr_workitem_id 0
		.amdhsa_next_free_vgpr 136
		.amdhsa_next_free_sgpr 53
		.amdhsa_accum_offset 136
		.amdhsa_reserve_vcc 1
		.amdhsa_reserve_flat_scratch 0
		.amdhsa_float_round_mode_32 0
		.amdhsa_float_round_mode_16_64 0
		.amdhsa_float_denorm_mode_32 3
		.amdhsa_float_denorm_mode_16_64 3
		.amdhsa_dx10_clamp 1
		.amdhsa_ieee_mode 1
		.amdhsa_fp16_overflow 0
		.amdhsa_tg_split 0
		.amdhsa_exception_fp_ieee_invalid_op 0
		.amdhsa_exception_fp_denorm_src 0
		.amdhsa_exception_fp_ieee_div_zero 0
		.amdhsa_exception_fp_ieee_overflow 0
		.amdhsa_exception_fp_ieee_underflow 0
		.amdhsa_exception_fp_ieee_inexact 0
		.amdhsa_exception_int_div_zero 0
	.end_amdhsa_kernel
	.section	.text._Z35paged_attention_ll4mi_reduce_kernelI14__hip_bfloat16S0_Li64ELi64ELi256ELi12EEvPT0_PKfS4_PKT_PKiS9_iS4_,"axG",@progbits,_Z35paged_attention_ll4mi_reduce_kernelI14__hip_bfloat16S0_Li64ELi64ELi256ELi12EEvPT0_PKfS4_PKT_PKiS9_iS4_,comdat
.Lfunc_end223:
	.size	_Z35paged_attention_ll4mi_reduce_kernelI14__hip_bfloat16S0_Li64ELi64ELi256ELi12EEvPT0_PKfS4_PKT_PKiS9_iS4_, .Lfunc_end223-_Z35paged_attention_ll4mi_reduce_kernelI14__hip_bfloat16S0_Li64ELi64ELi256ELi12EEvPT0_PKfS4_PKT_PKiS9_iS4_
                                        ; -- End function
	.section	.AMDGPU.csdata,"",@progbits
; Kernel info:
; codeLenInByte = 11364
; NumSgprs: 57
; NumVgprs: 136
; NumAgprs: 0
; TotalNumVgprs: 136
; ScratchSize: 0
; MemoryBound: 0
; FloatMode: 240
; IeeeMode: 1
; LDSByteSize: 3076 bytes/workgroup (compile time only)
; SGPRBlocks: 7
; VGPRBlocks: 16
; NumSGPRsForWavesPerEU: 57
; NumVGPRsForWavesPerEU: 136
; AccumOffset: 136
; Occupancy: 3
; WaveLimiterHint : 1
; COMPUTE_PGM_RSRC2:SCRATCH_EN: 0
; COMPUTE_PGM_RSRC2:USER_SGPR: 6
; COMPUTE_PGM_RSRC2:TRAP_HANDLER: 0
; COMPUTE_PGM_RSRC2:TGID_X_EN: 1
; COMPUTE_PGM_RSRC2:TGID_Y_EN: 1
; COMPUTE_PGM_RSRC2:TGID_Z_EN: 0
; COMPUTE_PGM_RSRC2:TIDIG_COMP_CNT: 0
; COMPUTE_PGM_RSRC3_GFX90A:ACCUM_OFFSET: 33
; COMPUTE_PGM_RSRC3_GFX90A:TG_SPLIT: 0
	.section	.text._Z35paged_attention_ll4mi_reduce_kernelI14__hip_bfloat16S0_Li64ELi64ELi256ELi13EEvPT0_PKfS4_PKT_PKiS9_iS4_,"axG",@progbits,_Z35paged_attention_ll4mi_reduce_kernelI14__hip_bfloat16S0_Li64ELi64ELi256ELi13EEvPT0_PKfS4_PKT_PKiS9_iS4_,comdat
	.protected	_Z35paged_attention_ll4mi_reduce_kernelI14__hip_bfloat16S0_Li64ELi64ELi256ELi13EEvPT0_PKfS4_PKT_PKiS9_iS4_ ; -- Begin function _Z35paged_attention_ll4mi_reduce_kernelI14__hip_bfloat16S0_Li64ELi64ELi256ELi13EEvPT0_PKfS4_PKT_PKiS9_iS4_
	.globl	_Z35paged_attention_ll4mi_reduce_kernelI14__hip_bfloat16S0_Li64ELi64ELi256ELi13EEvPT0_PKfS4_PKT_PKiS9_iS4_
	.p2align	8
	.type	_Z35paged_attention_ll4mi_reduce_kernelI14__hip_bfloat16S0_Li64ELi64ELi256ELi13EEvPT0_PKfS4_PKT_PKiS9_iS4_,@function
_Z35paged_attention_ll4mi_reduce_kernelI14__hip_bfloat16S0_Li64ELi64ELi256ELi13EEvPT0_PKfS4_PKT_PKiS9_iS4_: ; @_Z35paged_attention_ll4mi_reduce_kernelI14__hip_bfloat16S0_Li64ELi64ELi256ELi13EEvPT0_PKfS4_PKT_PKiS9_iS4_
; %bb.0:
	s_load_dwordx2 s[34:35], s[4:5], 0x28
	s_mov_b32 s30, s7
	s_mov_b64 s[0:1], 0
	s_waitcnt lgkmcnt(0)
	s_cmp_lg_u64 s[34:35], 0
	s_cselect_b64 s[44:45], -1, 0
	s_and_b64 vcc, exec, s[44:45]
	s_cbranch_vccz .LBB224_27
; %bb.1:
	s_add_i32 s2, s30, 1
	s_mov_b32 s3, 0
	s_lshl_b64 s[8:9], s[2:3], 2
	s_add_u32 s8, s34, s8
	s_mov_b32 s31, s3
	s_addc_u32 s9, s35, s9
	s_lshl_b64 s[2:3], s[30:31], 2
	s_add_u32 s2, s34, s2
	s_addc_u32 s3, s35, s3
	s_load_dword s7, s[8:9], 0x0
	s_load_dword s10, s[2:3], 0x0
	s_waitcnt lgkmcnt(0)
	s_sub_i32 s2, s7, s10
	s_cmp_eq_u32 s2, 1
	s_cselect_b64 s[2:3], -1, 0
	s_andn2_b64 vcc, exec, s[0:1]
	s_cbranch_vccnz .LBB224_3
.LBB224_2:
	s_mov_b32 s31, 0
	s_mov_b64 s[2:3], -1
.LBB224_3:
	s_andn2_b64 vcc, exec, s[2:3]
	s_cbranch_vccz .LBB224_5
; %bb.4:
	s_endpgm
.LBB224_5:
	s_load_dwordx4 s[36:39], s[4:5], 0x18
	s_load_dword s8, s[4:5], 0x30
	s_lshl_b64 s[46:47], s[30:31], 2
	v_cmp_lt_u32_e32 vcc, 63, v0
	s_waitcnt lgkmcnt(0)
	s_add_u32 s0, s38, s46
	s_addc_u32 s1, s39, s47
	s_load_dword s54, s[0:1], 0x0
	s_load_dword s7, s[4:5], 0x40
	s_mul_i32 s38, s6, s8
	s_mul_i32 s2, s30, s8
	s_waitcnt lgkmcnt(0)
	s_add_i32 s3, s54, 0xff
	s_ashr_i32 s0, s3, 31
	s_lshr_b32 s0, s0, 24
	s_add_i32 s3, s3, s0
	s_and_saveexec_b64 s[0:1], vcc
	s_xor_b64 s[0:1], exec, s[0:1]
	s_or_saveexec_b64 s[48:49], s[0:1]
	s_ashr_i32 s33, s3, 8
	v_mov_b32_e32 v1, s38
	s_mul_i32 s50, s2, s7
	s_xor_b64 exec, exec, s[48:49]
	s_cbranch_execz .LBB224_9
; %bb.6:
	s_add_i32 s0, s33, -1
	v_or_b32_e32 v3, 64, v0
	v_mov_b32_e32 v1, s0
	v_cmp_gt_u32_e64 s[24:25], s33, v3
	v_cndmask_b32_e64 v4, v1, v3, s[24:25]
	v_or_b32_e32 v3, 0x80, v0
	v_cmp_gt_u32_e64 s[22:23], s33, v3
	v_cndmask_b32_e64 v6, v1, v3, s[22:23]
	v_or_b32_e32 v3, 0xc0, v0
	;; [unrolled: 3-line block ×8, first 2 shown]
	s_load_dwordx4 s[40:43], s[4:5], 0x8
	v_cmp_gt_u32_e64 s[8:9], s33, v3
	v_cndmask_b32_e64 v20, v1, v3, s[8:9]
	v_or_b32_e32 v3, 0x280, v0
	v_cmp_gt_u32_e64 s[2:3], s33, v3
	s_mov_b32 s51, 0
	v_cndmask_b32_e64 v22, v1, v3, s[2:3]
	v_or_b32_e32 v3, 0x2c0, v0
	v_cmp_gt_u32_e64 s[0:1], s33, v3
	s_lshl_b64 s[52:53], s[50:51], 2
	s_mov_b32 s39, s51
	v_cmp_gt_u32_e64 s[26:27], s33, v0
	v_cndmask_b32_e64 v24, v1, v3, s[0:1]
	v_or_b32_e32 v3, 0x300, v0
	s_waitcnt lgkmcnt(0)
	s_add_u32 s28, s42, s52
	v_cndmask_b32_e64 v2, v1, v0, s[26:27]
	v_cmp_gt_u32_e32 vcc, s33, v3
	s_addc_u32 s29, s43, s53
	s_lshl_b64 s[42:43], s[38:39], 2
	v_cndmask_b32_e32 v26, v1, v3, vcc
	s_add_u32 s39, s28, s42
	v_ashrrev_i32_e32 v3, 31, v2
	s_addc_u32 s51, s29, s43
	v_lshlrev_b64 v[2:3], 2, v[2:3]
	v_mov_b32_e32 v1, s51
	v_add_co_u32_e64 v28, s[28:29], s39, v2
	v_ashrrev_i32_e32 v5, 31, v4
	v_addc_co_u32_e64 v29, s[28:29], v1, v3, s[28:29]
	v_lshlrev_b64 v[4:5], 2, v[4:5]
	v_add_co_u32_e64 v30, s[28:29], s39, v4
	v_ashrrev_i32_e32 v7, 31, v6
	v_addc_co_u32_e64 v31, s[28:29], v1, v5, s[28:29]
	v_lshlrev_b64 v[6:7], 2, v[6:7]
	;; [unrolled: 4-line block ×8, first 2 shown]
	global_load_dword v1, v[28:29], off
	global_load_dword v44, v[30:31], off
	global_load_dword v45, v[32:33], off
	global_load_dword v46, v[34:35], off
	global_load_dword v47, v[36:37], off
	s_nop 0
	global_load_dword v38, v[38:39], off
	s_nop 0
	global_load_dword v39, v[40:41], off
	;; [unrolled: 2-line block ×3, first 2 shown]
	v_mov_b32_e32 v21, s51
	v_add_co_u32_e64 v28, s[28:29], s39, v18
	v_addc_co_u32_e64 v29, s[28:29], v21, v19, s[28:29]
	v_ashrrev_i32_e32 v21, 31, v20
	v_lshlrev_b64 v[20:21], 2, v[20:21]
	v_mov_b32_e32 v23, s51
	v_add_co_u32_e64 v30, s[28:29], s39, v20
	v_addc_co_u32_e64 v31, s[28:29], v23, v21, s[28:29]
	v_ashrrev_i32_e32 v23, 31, v22
	v_lshlrev_b64 v[22:23], 2, v[22:23]
	;; [unrolled: 5-line block ×4, first 2 shown]
	v_mov_b32_e32 v37, s51
	v_add_co_u32_e64 v36, s[28:29], s39, v26
	v_addc_co_u32_e64 v37, s[28:29], v37, v27, s[28:29]
	global_load_dword v28, v[28:29], off
	s_nop 0
	global_load_dword v29, v[30:31], off
	s_nop 0
	global_load_dword v30, v[32:33], off
	global_load_dword v31, v[34:35], off
	s_nop 0
	global_load_dword v32, v[36:37], off
	v_mbcnt_lo_u32_b32 v34, -1, 0
	v_mbcnt_hi_u32_b32 v34, -1, v34
	v_and_b32_e32 v35, 64, v34
	v_add_u32_e32 v35, 64, v35
	v_xor_b32_e32 v36, 32, v34
	v_cmp_lt_i32_e64 s[28:29], v36, v35
	v_cndmask_b32_e64 v36, v34, v36, s[28:29]
	v_lshlrev_b32_e32 v36, 2, v36
	s_waitcnt vmcnt(10)
	v_max3_f32 v33, v1, v44, v45
	s_waitcnt vmcnt(8)
	v_max3_f32 v33, v33, v46, v47
	;; [unrolled: 2-line block ×6, first 2 shown]
	ds_bpermute_b32 v37, v36, v33
	s_waitcnt lgkmcnt(0)
	v_max_f32_e32 v37, v37, v37
	v_max_f32_e32 v33, v33, v37
	v_xor_b32_e32 v37, 16, v34
	v_cmp_lt_i32_e64 s[28:29], v37, v35
	v_cndmask_b32_e64 v37, v34, v37, s[28:29]
	v_lshlrev_b32_e32 v37, 2, v37
	ds_bpermute_b32 v41, v37, v33
	s_waitcnt lgkmcnt(0)
	v_max_f32_e32 v41, v41, v41
	v_max_f32_e32 v33, v33, v41
	v_xor_b32_e32 v41, 8, v34
	v_cmp_lt_i32_e64 s[28:29], v41, v35
	v_cndmask_b32_e64 v41, v34, v41, s[28:29]
	v_lshlrev_b32_e32 v41, 2, v41
	ds_bpermute_b32 v42, v41, v33
	s_waitcnt lgkmcnt(0)
	v_max_f32_e32 v42, v42, v42
	v_max_f32_e32 v33, v33, v42
	v_xor_b32_e32 v42, 4, v34
	v_cmp_lt_i32_e64 s[28:29], v42, v35
	v_cndmask_b32_e64 v42, v34, v42, s[28:29]
	v_lshlrev_b32_e32 v42, 2, v42
	ds_bpermute_b32 v43, v42, v33
	s_waitcnt lgkmcnt(0)
	v_max_f32_e32 v43, v43, v43
	v_max_f32_e32 v33, v33, v43
	v_xor_b32_e32 v43, 2, v34
	v_cmp_lt_i32_e64 s[28:29], v43, v35
	v_cndmask_b32_e64 v43, v34, v43, s[28:29]
	v_lshlrev_b32_e32 v43, 2, v43
	ds_bpermute_b32 v48, v43, v33
	s_waitcnt lgkmcnt(0)
	v_max_f32_e32 v48, v48, v48
	v_max_f32_e32 v33, v33, v48
	v_xor_b32_e32 v48, 1, v34
	v_cmp_lt_i32_e64 s[28:29], v48, v35
	v_cndmask_b32_e64 v34, v34, v48, s[28:29]
	s_add_u32 s28, s40, s52
	s_addc_u32 s29, s41, s53
	s_add_u32 s39, s28, s42
	s_addc_u32 s40, s29, s43
	v_mov_b32_e32 v48, s40
	v_add_co_u32_e64 v2, s[28:29], s39, v2
	v_addc_co_u32_e64 v3, s[28:29], v48, v3, s[28:29]
	global_load_dword v48, v[2:3], off
	v_mov_b32_e32 v3, s40
	v_add_co_u32_e64 v2, s[28:29], s39, v4
	v_addc_co_u32_e64 v3, s[28:29], v3, v5, s[28:29]
	v_mov_b32_e32 v5, s40
	v_add_co_u32_e64 v4, s[28:29], s39, v6
	v_addc_co_u32_e64 v5, s[28:29], v5, v7, s[28:29]
	;; [unrolled: 3-line block ×7, first 2 shown]
	global_load_dword v16, v[2:3], off
	global_load_dword v17, v[4:5], off
	;; [unrolled: 1-line block ×5, first 2 shown]
	s_nop 0
	global_load_dword v12, v[12:13], off
	s_nop 0
	global_load_dword v13, v[14:15], off
	v_lshlrev_b32_e32 v34, 2, v34
	ds_bpermute_b32 v35, v34, v33
	v_mov_b32_e32 v3, s40
	v_add_co_u32_e64 v2, s[28:29], s39, v18
	v_addc_co_u32_e64 v3, s[28:29], v3, v19, s[28:29]
	v_mov_b32_e32 v5, s40
	v_add_co_u32_e64 v4, s[28:29], s39, v20
	v_addc_co_u32_e64 v5, s[28:29], v5, v21, s[28:29]
	;; [unrolled: 3-line block ×3, first 2 shown]
	s_waitcnt lgkmcnt(0)
	v_max_f32_e32 v14, v35, v35
	v_mov_b32_e32 v9, s40
	v_add_co_u32_e64 v8, s[28:29], s39, v24
	v_max_f32_e32 v14, v33, v14
	v_addc_co_u32_e64 v9, s[28:29], v9, v25, s[28:29]
	v_sub_f32_e32 v1, v1, v14
	v_add_co_u32_e64 v10, s[28:29], s39, v26
	s_mov_b32 s39, 0x3fb8aa3b
	v_mul_f32_e32 v15, 0x3fb8aa3b, v1
	v_fma_f32 v18, v1, s39, -v15
	v_rndne_f32_e32 v19, v15
	v_mov_b32_e32 v11, s40
	v_fmac_f32_e32 v18, 0x32a5705f, v1
	v_sub_f32_e32 v15, v15, v19
	v_addc_co_u32_e64 v11, s[28:29], v11, v27, s[28:29]
	v_add_f32_e32 v15, v15, v18
	v_cvt_i32_f32_e32 v18, v19
	global_load_dword v2, v[2:3], off
	s_nop 0
	global_load_dword v3, v[4:5], off
	global_load_dword v19, v[6:7], off
	global_load_dword v20, v[8:9], off
	global_load_dword v21, v[10:11], off
	v_sub_f32_e32 v6, v44, v14
	v_mul_f32_e32 v7, 0x3fb8aa3b, v6
	v_fma_f32 v8, v6, s39, -v7
	v_rndne_f32_e32 v9, v7
	v_exp_f32_e32 v15, v15
	v_fmac_f32_e32 v8, 0x32a5705f, v6
	v_sub_f32_e32 v7, v7, v9
	v_add_f32_e32 v7, v7, v8
	v_exp_f32_e32 v7, v7
	v_cvt_i32_f32_e32 v8, v9
	s_mov_b32 s40, 0xc2ce8ed0
	v_ldexp_f32 v4, v15, v18
	v_cmp_ngt_f32_e64 s[28:29], s40, v1
	s_mov_b32 s41, 0x42b17218
	v_cndmask_b32_e64 v4, 0, v4, s[28:29]
	v_mov_b32_e32 v5, 0x7f800000
	v_cmp_nlt_f32_e64 s[28:29], s41, v1
	v_cndmask_b32_e64 v1, v5, v4, s[28:29]
	v_ldexp_f32 v4, v7, v8
	v_sub_f32_e32 v7, v45, v14
	v_mul_f32_e32 v8, 0x3fb8aa3b, v7
	v_fma_f32 v9, v7, s39, -v8
	v_rndne_f32_e32 v10, v8
	v_fmac_f32_e32 v9, 0x32a5705f, v7
	v_sub_f32_e32 v8, v8, v10
	v_add_f32_e32 v8, v8, v9
	v_exp_f32_e32 v8, v8
	v_cvt_i32_f32_e32 v9, v10
	v_cndmask_b32_e64 v1, 0, v1, s[26:27]
	v_cmp_ngt_f32_e64 s[26:27], s40, v6
	v_cndmask_b32_e64 v4, 0, v4, s[26:27]
	v_cmp_nlt_f32_e64 s[26:27], s41, v6
	v_ldexp_f32 v6, v8, v9
	v_sub_f32_e32 v8, v46, v14
	v_mul_f32_e32 v9, 0x3fb8aa3b, v8
	v_fma_f32 v10, v8, s39, -v9
	v_rndne_f32_e32 v11, v9
	v_fmac_f32_e32 v10, 0x32a5705f, v8
	v_sub_f32_e32 v9, v9, v11
	v_add_f32_e32 v9, v9, v10
	v_exp_f32_e32 v9, v9
	v_cvt_i32_f32_e32 v10, v11
	v_cndmask_b32_e64 v4, v5, v4, s[26:27]
	v_cndmask_b32_e64 v4, 0, v4, s[24:25]
	v_cmp_ngt_f32_e64 s[24:25], s40, v7
	v_cndmask_b32_e64 v6, 0, v6, s[24:25]
	v_cmp_nlt_f32_e64 s[24:25], s41, v7
	v_ldexp_f32 v7, v9, v10
	v_sub_f32_e32 v9, v47, v14
	v_mul_f32_e32 v10, 0x3fb8aa3b, v9
	v_fma_f32 v11, v9, s39, -v10
	v_rndne_f32_e32 v15, v10
	v_fmac_f32_e32 v11, 0x32a5705f, v9
	v_sub_f32_e32 v10, v10, v15
	v_add_f32_e32 v10, v10, v11
	v_exp_f32_e32 v10, v10
	v_cvt_i32_f32_e32 v11, v15
	v_cndmask_b32_e64 v6, v5, v6, s[24:25]
	v_cndmask_b32_e64 v6, 0, v6, s[22:23]
	v_cmp_ngt_f32_e64 s[22:23], s40, v8
	v_cndmask_b32_e64 v7, 0, v7, s[22:23]
	v_cmp_nlt_f32_e64 s[22:23], s41, v8
	v_ldexp_f32 v8, v10, v11
	v_sub_f32_e32 v10, v38, v14
	v_mul_f32_e32 v11, 0x3fb8aa3b, v10
	s_waitcnt vmcnt(11)
	v_mul_f32_e32 v4, v16, v4
	v_fma_f32 v15, v10, s39, -v11
	v_rndne_f32_e32 v16, v11
	v_fmac_f32_e32 v15, 0x32a5705f, v10
	v_sub_f32_e32 v11, v11, v16
	v_add_f32_e32 v11, v11, v15
	v_exp_f32_e32 v11, v11
	v_cvt_i32_f32_e32 v15, v16
	v_cndmask_b32_e64 v7, v5, v7, s[22:23]
	v_cndmask_b32_e64 v7, 0, v7, s[20:21]
	v_cmp_ngt_f32_e64 s[20:21], s40, v9
	v_cndmask_b32_e64 v8, 0, v8, s[20:21]
	v_cmp_nlt_f32_e64 s[20:21], s41, v9
	v_ldexp_f32 v9, v11, v15
	v_sub_f32_e32 v11, v39, v14
	v_mul_f32_e32 v15, 0x3fb8aa3b, v11
	s_waitcnt vmcnt(10)
	v_mul_f32_e32 v6, v17, v6
	v_fma_f32 v16, v11, s39, -v15
	v_rndne_f32_e32 v17, v15
	v_fmac_f32_e32 v16, 0x32a5705f, v11
	v_sub_f32_e32 v15, v15, v17
	v_add_f32_e32 v15, v15, v16
	v_exp_f32_e32 v15, v15
	v_cvt_i32_f32_e32 v16, v17
	v_cndmask_b32_e64 v8, v5, v8, s[20:21]
	v_cndmask_b32_e64 v8, 0, v8, s[18:19]
	v_cmp_ngt_f32_e64 s[18:19], s40, v10
	v_cndmask_b32_e64 v9, 0, v9, s[18:19]
	v_cmp_nlt_f32_e64 s[18:19], s41, v10
	v_ldexp_f32 v10, v15, v16
	v_sub_f32_e32 v15, v40, v14
	v_mul_f32_e32 v16, 0x3fb8aa3b, v15
	v_fma_f32 v17, v15, s39, -v16
	v_rndne_f32_e32 v18, v16
	v_cndmask_b32_e64 v9, v5, v9, s[18:19]
	v_fmac_f32_e32 v17, 0x32a5705f, v15
	v_sub_f32_e32 v16, v16, v18
	v_cndmask_b32_e64 v9, 0, v9, s[16:17]
	v_cmp_ngt_f32_e64 s[16:17], s40, v11
	v_add_f32_e32 v16, v16, v17
	v_cndmask_b32_e64 v10, 0, v10, s[16:17]
	v_exp_f32_e32 v16, v16
	v_cvt_i32_f32_e32 v17, v18
	v_cmp_nlt_f32_e64 s[16:17], s41, v11
	v_cndmask_b32_e64 v10, v5, v10, s[16:17]
	v_cndmask_b32_e64 v10, 0, v10, s[14:15]
	s_waitcnt vmcnt(6)
	v_mul_f32_e32 v10, v12, v10
	v_sub_f32_e32 v12, v28, v14
	v_ldexp_f32 v11, v16, v17
	v_mul_f32_e32 v16, 0x3fb8aa3b, v12
	v_fma_f32 v17, v12, s39, -v16
	v_rndne_f32_e32 v18, v16
	v_fmac_f32_e32 v17, 0x32a5705f, v12
	v_sub_f32_e32 v16, v16, v18
	v_add_f32_e32 v16, v16, v17
	v_cmp_ngt_f32_e64 s[14:15], s40, v15
	v_exp_f32_e32 v16, v16
	v_cvt_i32_f32_e32 v17, v18
	v_cndmask_b32_e64 v11, 0, v11, s[14:15]
	v_cmp_nlt_f32_e64 s[14:15], s41, v15
	v_cndmask_b32_e64 v11, v5, v11, s[14:15]
	v_cndmask_b32_e64 v11, 0, v11, s[12:13]
	v_sub_f32_e32 v15, v29, v14
	s_waitcnt vmcnt(5)
	v_mul_f32_e32 v11, v13, v11
	v_ldexp_f32 v13, v16, v17
	v_mul_f32_e32 v16, 0x3fb8aa3b, v15
	v_fma_f32 v17, v15, s39, -v16
	v_rndne_f32_e32 v18, v16
	v_fmac_f32_e32 v17, 0x32a5705f, v15
	v_sub_f32_e32 v16, v16, v18
	v_add_f32_e32 v16, v16, v17
	v_cmp_ngt_f32_e64 s[12:13], s40, v12
	v_exp_f32_e32 v16, v16
	v_cvt_i32_f32_e32 v17, v18
	v_cndmask_b32_e64 v13, 0, v13, s[12:13]
	v_cmp_nlt_f32_e64 s[12:13], s41, v12
	v_cndmask_b32_e64 v12, v5, v13, s[12:13]
	v_cndmask_b32_e64 v12, 0, v12, s[10:11]
	v_sub_f32_e32 v13, v30, v14
	s_waitcnt vmcnt(4)
	v_mul_f32_e32 v12, v2, v12
	;; [unrolled: 17-line block ×4, first 2 shown]
	v_ldexp_f32 v2, v16, v17
	v_mul_f32_e32 v16, 0x3fb8aa3b, v14
	v_fma_f32 v17, v14, s39, -v16
	v_rndne_f32_e32 v18, v16
	v_fmac_f32_e32 v17, 0x32a5705f, v14
	v_sub_f32_e32 v16, v16, v18
	v_add_f32_e32 v16, v16, v17
	v_exp_f32_e32 v16, v16
	v_cvt_i32_f32_e32 v17, v18
	v_cmp_ngt_f32_e64 s[2:3], s40, v15
	v_cndmask_b32_e64 v2, 0, v2, s[2:3]
	v_cmp_nlt_f32_e64 s[2:3], s41, v15
	v_cndmask_b32_e64 v2, v5, v2, s[2:3]
	v_mul_f32_e32 v1, v48, v1
	v_cndmask_b32_e64 v2, 0, v2, s[0:1]
	v_ldexp_f32 v15, v16, v17
	v_cmp_ngt_f32_e64 s[0:1], s40, v14
	v_cndmask_b32_e64 v15, 0, v15, s[0:1]
	v_cmp_nlt_f32_e64 s[0:1], s41, v14
	v_add_f32_e32 v14, v1, v4
	v_mul_f32_e32 v7, v49, v7
	v_add_f32_e32 v14, v14, v6
	v_mul_f32_e32 v8, v50, v8
	;; [unrolled: 2-line block ×3, first 2 shown]
	v_add_f32_e32 v14, v14, v8
	v_add_f32_e32 v14, v14, v9
	;; [unrolled: 1-line block ×6, first 2 shown]
	v_cndmask_b32_e64 v5, v5, v15, s[0:1]
	v_add_f32_e32 v14, v14, v13
	v_cndmask_b32_e32 v5, 0, v5, vcc
	s_waitcnt vmcnt(1)
	v_fmac_f32_e32 v14, v20, v2
	s_waitcnt vmcnt(0)
	v_fmac_f32_e32 v14, v21, v5
	ds_bpermute_b32 v15, v36, v14
	v_mul_f32_e32 v16, v20, v2
	v_lshlrev_b32_e32 v17, 2, v0
	ds_write2st64_b32 v17, v1, v4 offset1:1
	ds_write2st64_b32 v17, v6, v7 offset0:2 offset1:3
	ds_write2st64_b32 v17, v8, v9 offset0:4 offset1:5
	;; [unrolled: 1-line block ×3, first 2 shown]
	v_cmp_eq_u32_e32 vcc, 0, v0
	s_waitcnt lgkmcnt(4)
	v_add_f32_e32 v14, v14, v15
	ds_bpermute_b32 v15, v37, v14
	v_mul_f32_e32 v5, v21, v5
	ds_write2st64_b32 v17, v12, v3 offset0:8 offset1:9
	ds_write2st64_b32 v17, v13, v16 offset0:10 offset1:11
	ds_write_b32 v17, v5 offset:3072
	s_waitcnt lgkmcnt(3)
	v_add_f32_e32 v14, v14, v15
	ds_bpermute_b32 v15, v41, v14
	s_waitcnt lgkmcnt(0)
	v_add_f32_e32 v14, v14, v15
	ds_bpermute_b32 v15, v42, v14
	;; [unrolled: 3-line block ×4, first 2 shown]
	s_and_saveexec_b64 s[0:1], vcc
	s_cbranch_execz .LBB224_8
; %bb.7:
	s_waitcnt lgkmcnt(0)
	v_add_f32_e32 v1, v1, v2
	v_mov_b32_e32 v2, 0
	ds_write_b32 v2, v1 offset:3328
.LBB224_8:
	s_or_b64 exec, exec, s[0:1]
	v_mov_b32_e32 v1, s38
.LBB224_9:
	s_or_b64 exec, exec, s[48:49]
	s_lshl_b32 s0, s50, 6
	s_mov_b32 s1, 0
	s_lshl_b64 s[0:1], s[0:1], 1
	s_add_u32 s0, s36, s0
	s_addc_u32 s1, s37, s1
	s_lshl_b32 s10, s33, 6
	s_waitcnt lgkmcnt(0)
	v_lshlrev_b32_e32 v2, 6, v1
	v_mov_b32_e32 v3, 0
	s_sub_i32 s11, s10, 64
	v_lshlrev_b64 v[4:5], 1, v[2:3]
	s_cmp_lt_i32 s54, 1
	v_mov_b32_e32 v1, s1
	v_add_co_u32_e32 v2, vcc, s0, v4
	s_cselect_b32 s0, s11, 0
	v_addc_co_u32_e32 v1, vcc, v1, v5, vcc
	v_lshlrev_b32_e32 v118, 1, v0
	s_ashr_i32 s1, s0, 31
	v_add_co_u32_e32 v0, vcc, v2, v118
	s_lshl_b64 s[0:1], s[0:1], 1
	v_addc_co_u32_e32 v1, vcc, 0, v1, vcc
	s_cmpk_lt_i32 s54, 0x101
	v_add_co_u32_e32 v4, vcc, s0, v0
	s_cselect_b32 s0, s11, 64
	v_mov_b32_e32 v2, s1
	s_ashr_i32 s1, s0, 31
	s_lshl_b64 s[0:1], s[0:1], 1
	v_addc_co_u32_e32 v5, vcc, v1, v2, vcc
	s_cmpk_lt_i32 s54, 0x201
	v_add_co_u32_e32 v6, vcc, s0, v0
	s_cselect_b32 s0, s11, 0x80
	v_mov_b32_e32 v2, s1
	s_ashr_i32 s1, s0, 31
	;; [unrolled: 7-line block ×8, first 2 shown]
	s_lshl_b64 s[0:1], s[0:1], 1
	v_addc_co_u32_e32 v19, vcc, v1, v2, vcc
	s_cmpk_lt_i32 s54, 0x901
	global_load_ushort v44, v[4:5], off
	global_load_ushort v43, v[6:7], off
	;; [unrolled: 1-line block ×8, first 2 shown]
	v_add_co_u32_e32 v4, vcc, s0, v0
	s_cselect_b32 s0, s11, 0x240
	v_mov_b32_e32 v5, s1
	s_ashr_i32 s1, s0, 31
	s_lshl_b64 s[0:1], s[0:1], 1
	v_addc_co_u32_e32 v5, vcc, v1, v5, vcc
	s_cmpk_lt_i32 s54, 0xa01
	v_add_co_u32_e32 v6, vcc, s0, v0
	s_cselect_b32 s0, s11, 0x280
	v_mov_b32_e32 v7, s1
	s_ashr_i32 s1, s0, 31
	s_lshl_b64 s[0:1], s[0:1], 1
	v_addc_co_u32_e32 v7, vcc, v1, v7, vcc
	s_cmpk_lt_i32 s54, 0xb01
	;; [unrolled: 7-line block ×6, first 2 shown]
	v_add_co_u32_e32 v16, vcc, s0, v0
	s_cselect_b32 s0, s11, 0x3c0
	v_mov_b32_e32 v17, s1
	s_ashr_i32 s1, s0, 31
	v_addc_co_u32_e32 v17, vcc, v1, v17, vcc
	s_lshl_b64 s[0:1], s[0:1], 1
	v_mov_b32_e32 v19, s1
	v_add_co_u32_e32 v18, vcc, s0, v0
	v_addc_co_u32_e32 v19, vcc, v1, v19, vcc
	global_load_ushort v51, v[4:5], off
	global_load_ushort v52, v[6:7], off
	;; [unrolled: 1-line block ×8, first 2 shown]
	s_cmpk_gt_i32 s54, 0x1000
	s_cselect_b64 s[8:9], -1, 0
	s_cmpk_lt_i32 s54, 0x1001
	v_mov_b32_e32 v61, 0
	v_mov_b32_e32 v62, 0
	v_mov_b32_e32 v63, 0
	v_mov_b32_e32 v64, 0
	v_mov_b32_e32 v65, 0
	v_mov_b32_e32 v66, 0
	v_mov_b32_e32 v67, 0
	v_mov_b32_e32 v68, 0
	v_mov_b32_e32 v53, 0
	v_mov_b32_e32 v54, 0
	v_mov_b32_e32 v55, 0
	v_mov_b32_e32 v56, 0
	v_mov_b32_e32 v57, 0
	v_mov_b32_e32 v58, 0
	v_mov_b32_e32 v59, 0
	v_mov_b32_e32 v60, 0
	v_mov_b32_e32 v4, 0
	v_mov_b32_e32 v5, 0
	v_mov_b32_e32 v6, 0
	v_mov_b32_e32 v7, 0
	v_mov_b32_e32 v8, 0
	v_mov_b32_e32 v9, 0
	v_mov_b32_e32 v10, 0
	v_mov_b32_e32 v11, 0
	v_mov_b32_e32 v12, 0
	v_mov_b32_e32 v13, 0
	v_mov_b32_e32 v14, 0
	v_mov_b32_e32 v15, 0
	v_mov_b32_e32 v16, 0
	v_mov_b32_e32 v18, 0
	v_mov_b32_e32 v17, 0
	v_mov_b32_e32 v19, 0
	v_mov_b32_e32 v20, 0
	v_mov_b32_e32 v22, 0
	v_mov_b32_e32 v21, 0
	v_mov_b32_e32 v24, 0
	v_mov_b32_e32 v23, 0
	v_mov_b32_e32 v26, 0
	v_mov_b32_e32 v25, 0
	v_mov_b32_e32 v28, 0
	v_mov_b32_e32 v27, 0
	v_mov_b32_e32 v30, 0
	v_mov_b32_e32 v29, 0
	v_mov_b32_e32 v32, 0
	v_mov_b32_e32 v31, 0
	v_mov_b32_e32 v34, 0
	v_mov_b32_e32 v33, 0
	v_mov_b32_e32 v35, 0
	s_waitcnt lgkmcnt(0)
	; wave barrier
	s_cbranch_scc1 .LBB224_12
; %bb.10:
	s_cmpk_lt_u32 s54, 0x1101
	s_cselect_b32 s0, s11, 0x440
	s_ashr_i32 s1, s0, 31
	s_lshl_b64 s[0:1], s[0:1], 1
	s_cmpk_lt_u32 s54, 0x1201
	v_add_co_u32_e32 v4, vcc, s0, v0
	s_cselect_b32 s0, s11, 0x480
	v_mov_b32_e32 v5, s1
	s_ashr_i32 s1, s0, 31
	s_lshl_b64 s[0:1], s[0:1], 1
	v_addc_co_u32_e32 v5, vcc, v1, v5, vcc
	s_cmpk_lt_u32 s54, 0x1301
	v_add_co_u32_e32 v6, vcc, s0, v0
	s_cselect_b32 s0, s11, 0x4c0
	v_mov_b32_e32 v7, s1
	s_ashr_i32 s1, s0, 31
	s_lshl_b64 s[0:1], s[0:1], 1
	v_addc_co_u32_e32 v7, vcc, v1, v7, vcc
	;; [unrolled: 7-line block ×7, first 2 shown]
	s_cmpk_lt_u32 s54, 0x1901
	global_load_ushort v60, v[0:1], off offset:2048
	global_load_ushort v59, v[4:5], off
	global_load_ushort v58, v[6:7], off
	;; [unrolled: 1-line block ×7, first 2 shown]
	v_add_co_u32_e32 v4, vcc, s0, v0
	s_cselect_b32 s0, s11, 0x640
	v_mov_b32_e32 v5, s1
	s_ashr_i32 s1, s0, 31
	s_lshl_b64 s[0:1], s[0:1], 1
	v_addc_co_u32_e32 v5, vcc, v1, v5, vcc
	s_cmpk_lt_u32 s54, 0x1a01
	v_add_co_u32_e32 v6, vcc, s0, v0
	s_cselect_b32 s0, s11, 0x680
	v_mov_b32_e32 v7, s1
	s_ashr_i32 s1, s0, 31
	s_lshl_b64 s[0:1], s[0:1], 1
	v_addc_co_u32_e32 v7, vcc, v1, v7, vcc
	s_cmpk_lt_u32 s54, 0x1b01
	;; [unrolled: 7-line block ×6, first 2 shown]
	v_add_co_u32_e32 v16, vcc, s0, v0
	s_cselect_b32 s0, s11, 0x7c0
	v_mov_b32_e32 v17, s1
	s_ashr_i32 s1, s0, 31
	v_addc_co_u32_e32 v17, vcc, v1, v17, vcc
	s_lshl_b64 s[0:1], s[0:1], 1
	v_mov_b32_e32 v19, s1
	v_add_co_u32_e32 v18, vcc, s0, v0
	v_addc_co_u32_e32 v19, vcc, v1, v19, vcc
	global_load_ushort v68, v[4:5], off
	global_load_ushort v67, v[6:7], off
	global_load_ushort v66, v[8:9], off
	global_load_ushort v65, v[10:11], off
	global_load_ushort v64, v[12:13], off
	global_load_ushort v63, v[14:15], off
	global_load_ushort v62, v[16:17], off
	global_load_ushort v61, v[18:19], off
	s_cmpk_lt_u32 s54, 0x2001
	v_mov_b32_e32 v35, 0
	v_mov_b32_e32 v33, 0
	v_mov_b32_e32 v34, 0
	v_mov_b32_e32 v31, 0
	v_mov_b32_e32 v32, 0
	v_mov_b32_e32 v29, 0
	v_mov_b32_e32 v30, 0
	v_mov_b32_e32 v27, 0
	v_mov_b32_e32 v28, 0
	v_mov_b32_e32 v25, 0
	v_mov_b32_e32 v26, 0
	v_mov_b32_e32 v23, 0
	v_mov_b32_e32 v24, 0
	v_mov_b32_e32 v21, 0
	v_mov_b32_e32 v22, 0
	v_mov_b32_e32 v20, 0
	v_mov_b32_e32 v19, 0
	v_mov_b32_e32 v17, 0
	v_mov_b32_e32 v18, 0
	v_mov_b32_e32 v16, 0
	v_mov_b32_e32 v15, 0
	v_mov_b32_e32 v14, 0
	v_mov_b32_e32 v13, 0
	v_mov_b32_e32 v12, 0
	v_mov_b32_e32 v11, 0
	v_mov_b32_e32 v10, 0
	v_mov_b32_e32 v9, 0
	v_mov_b32_e32 v8, 0
	v_mov_b32_e32 v7, 0
	v_mov_b32_e32 v6, 0
	v_mov_b32_e32 v5, 0
	v_mov_b32_e32 v4, 0
	s_cbranch_scc1 .LBB224_12
; %bb.11:
	s_cmpk_lt_u32 s54, 0x2101
	s_cselect_b32 s0, s11, 0x840
	s_ashr_i32 s1, s0, 31
	s_lshl_b64 s[0:1], s[0:1], 1
	s_cmpk_lt_u32 s54, 0x2201
	v_add_co_u32_e32 v4, vcc, s0, v0
	s_cselect_b32 s0, s11, 0x880
	v_mov_b32_e32 v5, s1
	s_ashr_i32 s1, s0, 31
	s_lshl_b64 s[0:1], s[0:1], 1
	v_addc_co_u32_e32 v5, vcc, v1, v5, vcc
	s_cmpk_lt_u32 s54, 0x2301
	v_add_co_u32_e32 v6, vcc, s0, v0
	s_cselect_b32 s0, s11, 0x8c0
	v_mov_b32_e32 v7, s1
	s_ashr_i32 s1, s0, 31
	s_lshl_b64 s[0:1], s[0:1], 1
	v_addc_co_u32_e32 v7, vcc, v1, v7, vcc
	;; [unrolled: 7-line block ×30, first 2 shown]
	v_mov_b32_e32 v69, s1
	s_movk_i32 s1, 0x1000
	v_add_co_u32_e32 v96, vcc, s1, v0
	v_addc_co_u32_e32 v97, vcc, 0, v1, vcc
	global_load_ushort v98, v[96:97], off
	global_load_ushort v99, v[4:5], off
	;; [unrolled: 1-line block ×15, first 2 shown]
                                        ; kill: killed $vgpr28 killed $vgpr29
                                        ; kill: killed $vgpr8 killed $vgpr9
                                        ; kill: killed $vgpr70 killed $vgpr71
                                        ; kill: killed $vgpr14 killed $vgpr15
                                        ; kill: killed $vgpr20 killed $vgpr21
                                        ; kill: killed $vgpr4 killed $vgpr5
                                        ; kill: killed $vgpr30 killed $vgpr31
                                        ; kill: killed $vgpr10 killed $vgpr11
                                        ; kill: killed $vgpr16 killed $vgpr17
                                        ; kill: killed $vgpr22 killed $vgpr23
                                        ; kill: killed $vgpr6 killed $vgpr7
                                        ; kill: killed $vgpr96 killed $vgpr97
                                        ; kill: killed $vgpr34 killed $vgpr35
                                        ; kill: killed $vgpr12 killed $vgpr13
                                        ; kill: killed $vgpr18 killed $vgpr19
	global_load_ushort v6, v[24:25], off
	global_load_ushort v7, v[26:27], off
	;; [unrolled: 1-line block ×15, first 2 shown]
                                        ; kill: killed $vgpr88 killed $vgpr89
                                        ; kill: killed $vgpr72 killed $vgpr73
                                        ; kill: killed $vgpr94 killed $vgpr95
                                        ; kill: killed $vgpr78 killed $vgpr79
                                        ; kill: killed $vgpr84 killed $vgpr85
                                        ; kill: killed $vgpr32 killed $vgpr33
                                        ; kill: killed $vgpr90 killed $vgpr91
                                        ; kill: killed $vgpr74 killed $vgpr75
                                        ; kill: killed $vgpr80 killed $vgpr81
                                        ; kill: killed $vgpr24 killed $vgpr25
                                        ; kill: killed $vgpr36 killed $vgpr37
                                        ; kill: killed $vgpr92 killed $vgpr93
                                        ; kill: killed $vgpr76 killed $vgpr77
                                        ; kill: killed $vgpr82 killed $vgpr83
                                        ; kill: killed $vgpr26 killed $vgpr27
	global_load_ushort v36, v[86:87], off
	v_add_co_u32_e32 v4, vcc, s0, v0
	v_addc_co_u32_e32 v5, vcc, v1, v69, vcc
	global_load_ushort v5, v[4:5], off
	s_waitcnt vmcnt(31)
	v_lshlrev_b32_e32 v35, 16, v98
	s_waitcnt vmcnt(30)
	v_lshlrev_b32_e32 v33, 16, v99
	s_waitcnt vmcnt(29)
	v_lshlrev_b32_e32 v34, 16, v100
	s_waitcnt vmcnt(28)
	v_lshlrev_b32_e32 v31, 16, v101
	s_waitcnt vmcnt(27)
	v_lshlrev_b32_e32 v32, 16, v102
	s_waitcnt vmcnt(26)
	v_lshlrev_b32_e32 v29, 16, v103
	s_waitcnt vmcnt(25)
	v_lshlrev_b32_e32 v30, 16, v104
	s_waitcnt vmcnt(24)
	v_lshlrev_b32_e32 v27, 16, v105
	s_waitcnt vmcnt(23)
	v_lshlrev_b32_e32 v28, 16, v106
	s_waitcnt vmcnt(22)
	v_lshlrev_b32_e32 v25, 16, v107
	s_waitcnt vmcnt(21)
	v_lshlrev_b32_e32 v26, 16, v108
	s_waitcnt vmcnt(20)
	v_lshlrev_b32_e32 v23, 16, v109
	s_waitcnt vmcnt(19)
	v_lshlrev_b32_e32 v24, 16, v110
	s_waitcnt vmcnt(18)
	v_lshlrev_b32_e32 v21, 16, v111
	s_waitcnt vmcnt(17)
	v_lshlrev_b32_e32 v22, 16, v112
	s_waitcnt vmcnt(16)
	v_lshlrev_b32_e32 v20, 16, v6
	s_waitcnt vmcnt(15)
	v_lshlrev_b32_e32 v19, 16, v7
	s_waitcnt vmcnt(14)
	v_lshlrev_b32_e32 v17, 16, v8
	s_waitcnt vmcnt(13)
	v_lshlrev_b32_e32 v18, 16, v9
	s_waitcnt vmcnt(12)
	v_lshlrev_b32_e32 v16, 16, v10
	s_waitcnt vmcnt(11)
	v_lshlrev_b32_e32 v10, 16, v11
	s_waitcnt vmcnt(10)
	v_lshlrev_b32_e32 v13, 16, v13
	s_waitcnt vmcnt(9)
	v_lshlrev_b32_e32 v12, 16, v12
	s_waitcnt vmcnt(8)
	v_lshlrev_b32_e32 v15, 16, v15
	s_waitcnt vmcnt(7)
	v_lshlrev_b32_e32 v14, 16, v14
	s_waitcnt vmcnt(6)
	v_lshlrev_b32_e32 v11, 16, v70
	s_waitcnt vmcnt(5)
	v_lshlrev_b32_e32 v4, 16, v71
	s_waitcnt vmcnt(4)
	v_lshlrev_b32_e32 v7, 16, v96
	s_waitcnt vmcnt(3)
	v_lshlrev_b32_e32 v6, 16, v97
	s_waitcnt vmcnt(2)
	v_lshlrev_b32_e32 v9, 16, v113
	s_waitcnt vmcnt(1)
	v_lshlrev_b32_e32 v8, 16, v36
	s_waitcnt vmcnt(0)
	v_lshlrev_b32_e32 v5, 16, v5
.LBB224_12:
	s_load_dwordx2 s[0:1], s[4:5], 0x0
	s_load_dwordx2 s[2:3], s[4:5], 0x38
	ds_read_b128 v[70:73], v3
	s_waitcnt vmcnt(15)
	v_lshlrev_b32_e32 v36, 16, v44
	ds_read_b128 v[74:77], v3 offset:16
	ds_read_b128 v[78:81], v3 offset:32
	;; [unrolled: 1-line block ×3, first 2 shown]
	s_waitcnt vmcnt(10)
	v_lshlrev_b32_e32 v37, 16, v40
	s_and_b64 vcc, exec, s[8:9]
	s_waitcnt lgkmcnt(0)
	v_fma_f32 v44, v70, v36, 0
	v_lshlrev_b32_e32 v36, 16, v43
	v_fmac_f32_e32 v44, v71, v36
	v_lshlrev_b32_e32 v36, 16, v42
	v_fmac_f32_e32 v44, v72, v36
	;; [unrolled: 2-line block ×3, first 2 shown]
	v_lshlrev_b32_e32 v36, 16, v39
	v_pk_mul_f32 v[36:37], v[74:75], v[36:37]
	v_add_f32_e32 v36, v44, v36
	v_add_f32_e32 v39, v36, v37
	s_waitcnt vmcnt(8)
	v_lshlrev_b32_e32 v37, 16, v38
	v_lshlrev_b32_e32 v36, 16, v2
	v_pk_mul_f32 v[36:37], v[76:77], v[36:37]
	v_add_f32_e32 v2, v39, v36
	v_add_f32_e32 v2, v2, v37
	s_waitcnt vmcnt(6)
	v_lshlrev_b32_e32 v37, 16, v52
	;; [unrolled: 6-line block ×5, first 2 shown]
	v_lshlrev_b32_e32 v36, 16, v45
	v_pk_mul_f32 v[36:37], v[84:85], v[36:37]
	v_add_f32_e32 v2, v2, v36
	v_add_f32_e32 v119, v2, v37
	s_cbranch_vccz .LBB224_15
; %bb.13:
	ds_read_b128 v[36:39], v3 offset:64
	v_lshlrev_b32_e32 v2, 16, v60
	ds_read_b128 v[40:43], v3 offset:80
	ds_read_b128 v[44:47], v3 offset:96
	;; [unrolled: 1-line block ×3, first 2 shown]
	s_cmpk_lt_u32 s54, 0x2001
	s_waitcnt lgkmcnt(3)
	v_fmac_f32_e32 v119, v36, v2
	v_lshlrev_b32_e32 v2, 16, v59
	v_fmac_f32_e32 v119, v37, v2
	v_lshlrev_b32_e32 v2, 16, v58
	v_fmac_f32_e32 v119, v38, v2
	v_lshlrev_b32_e32 v2, 16, v57
	v_fmac_f32_e32 v119, v39, v2
	v_lshlrev_b32_e32 v2, 16, v56
	s_waitcnt lgkmcnt(2)
	v_fmac_f32_e32 v119, v40, v2
	v_lshlrev_b32_e32 v2, 16, v55
	v_fmac_f32_e32 v119, v41, v2
	v_lshlrev_b32_e32 v2, 16, v54
	v_fmac_f32_e32 v119, v42, v2
	v_lshlrev_b32_e32 v2, 16, v53
	v_fmac_f32_e32 v119, v43, v2
	v_lshlrev_b32_e32 v2, 16, v68
	;; [unrolled: 9-line block ×3, first 2 shown]
	s_waitcnt lgkmcnt(0)
	v_fmac_f32_e32 v119, v48, v2
	v_lshlrev_b32_e32 v2, 16, v63
	v_fmac_f32_e32 v119, v49, v2
	v_lshlrev_b32_e32 v2, 16, v62
	v_fmac_f32_e32 v119, v50, v2
	v_lshlrev_b32_e32 v2, 16, v61
	v_fmac_f32_e32 v119, v51, v2
	s_cbranch_scc1 .LBB224_15
; %bb.14:
	v_mov_b32_e32 v52, 0
	ds_read_b128 v[36:39], v52 offset:128
	ds_read_b128 v[40:43], v52 offset:144
	;; [unrolled: 1-line block ×4, first 2 shown]
	s_waitcnt lgkmcnt(3)
	v_fmac_f32_e32 v119, v36, v35
	v_fmac_f32_e32 v119, v37, v33
	v_fmac_f32_e32 v119, v38, v34
	v_fmac_f32_e32 v119, v39, v31
	s_waitcnt lgkmcnt(2)
	v_fmac_f32_e32 v119, v40, v32
	v_fmac_f32_e32 v119, v41, v29
	v_fmac_f32_e32 v119, v42, v30
	v_fmac_f32_e32 v119, v43, v27
	;; [unrolled: 5-line block ×3, first 2 shown]
	s_waitcnt lgkmcnt(0)
	v_fmac_f32_e32 v119, v48, v24
	ds_read_b128 v[24:27], v52 offset:192
	v_fmac_f32_e32 v119, v49, v21
	v_fmac_f32_e32 v119, v50, v22
	;; [unrolled: 1-line block ×3, first 2 shown]
	ds_read_b128 v[20:23], v52 offset:208
	s_waitcnt lgkmcnt(1)
	v_fmac_f32_e32 v119, v24, v19
	v_fmac_f32_e32 v119, v25, v17
	;; [unrolled: 1-line block ×4, first 2 shown]
	s_waitcnt lgkmcnt(0)
	v_pk_mul_f32 v[2:3], v[20:21], v[14:15]
	ds_read_b128 v[14:17], v52 offset:224
	v_add_f32_e32 v2, v119, v2
	v_add_f32_e32 v18, v2, v3
	v_pk_mul_f32 v[2:3], v[22:23], v[12:13]
	v_add_f32_e32 v2, v18, v2
	ds_read_b128 v[18:21], v52 offset:240
	v_add_f32_e32 v12, v2, v3
	s_waitcnt lgkmcnt(1)
	v_pk_mul_f32 v[2:3], v[14:15], v[10:11]
	v_add_f32_e32 v2, v12, v2
	v_add_f32_e32 v10, v2, v3
	v_pk_mul_f32 v[2:3], v[16:17], v[8:9]
	v_add_f32_e32 v2, v10, v2
	v_add_f32_e32 v8, v2, v3
	s_waitcnt lgkmcnt(0)
	v_pk_mul_f32 v[2:3], v[18:19], v[6:7]
	v_add_f32_e32 v2, v8, v2
	v_add_f32_e32 v6, v2, v3
	v_pk_mul_f32 v[2:3], v[20:21], v[4:5]
	v_add_f32_e32 v2, v6, v2
	v_add_f32_e32 v119, v2, v3
.LBB224_15:
	s_movk_i32 s4, 0x1fc0
	s_movk_i32 s5, 0x100
	s_mov_b32 s8, 64
	s_branch .LBB224_17
.LBB224_16:                             ;   in Loop: Header=BB224_17 Depth=1
	s_addk_i32 s4, 0x1000
	s_addk_i32 s5, 0x100
	s_add_i32 s8, s8, 64
	s_cmpk_eq_u32 s4, 0xdfc0
	s_cbranch_scc1 .LBB224_19
.LBB224_17:                             ; =>This Inner Loop Header: Depth=1
	s_cmp_le_i32 s33, s8
	s_cbranch_scc1 .LBB224_16
; %bb.18:                               ;   in Loop: Header=BB224_17 Depth=1
	s_add_i32 s9, s4, 0xfffff040
	s_cmp_lt_i32 s9, s10
	s_cselect_b32 s12, s9, s11
	s_ashr_i32 s13, s12, 31
	s_lshl_b64 s[12:13], s[12:13], 1
	s_add_i32 s9, s4, 0xfffff080
	s_cmp_lt_i32 s9, s10
	v_add_co_u32_e32 v4, vcc, s12, v0
	s_cselect_b32 s12, s9, s11
	v_mov_b32_e32 v2, s13
	s_ashr_i32 s13, s12, 31
	s_lshl_b64 s[12:13], s[12:13], 1
	s_add_i32 s9, s4, 0xfffff0c0
	v_addc_co_u32_e32 v5, vcc, v1, v2, vcc
	s_cmp_lt_i32 s9, s10
	v_add_co_u32_e32 v2, vcc, s12, v0
	s_cselect_b32 s12, s9, s11
	v_mov_b32_e32 v3, s13
	s_ashr_i32 s13, s12, 31
	s_lshl_b64 s[12:13], s[12:13], 1
	s_add_i32 s9, s4, 0xfffff100
	v_addc_co_u32_e32 v3, vcc, v1, v3, vcc
	;; [unrolled: 8-line block ×21, first 2 shown]
	s_cmp_lt_i32 s9, s10
	global_load_ushort v120, v[4:5], off
	global_load_ushort v122, v[6:7], off
	;; [unrolled: 1-line block ×4, first 2 shown]
	v_add_co_u32_e32 v44, vcc, s12, v0
	s_cselect_b32 s12, s9, s11
	v_mov_b32_e32 v45, s13
	s_ashr_i32 s13, s12, 31
	s_lshl_b64 s[12:13], s[12:13], 1
	s_add_i32 s9, s4, 0xfffff600
	v_addc_co_u32_e32 v45, vcc, v1, v45, vcc
	s_cmp_lt_i32 s9, s10
	v_add_co_u32_e32 v46, vcc, s12, v0
	s_cselect_b32 s12, s9, s11
	v_mov_b32_e32 v47, s13
	s_ashr_i32 s13, s12, 31
	s_lshl_b64 s[12:13], s[12:13], 1
	s_add_i32 s9, s4, 0xfffff640
	v_addc_co_u32_e32 v47, vcc, v1, v47, vcc
	s_cmp_lt_i32 s9, s10
	v_add_co_u32_e32 v48, vcc, s12, v0
	s_cselect_b32 s12, s9, s11
	v_mov_b32_e32 v49, s13
	s_ashr_i32 s13, s12, 31
	s_lshl_b64 s[12:13], s[12:13], 1
	s_add_i32 s9, s4, 0xfffff680
	v_addc_co_u32_e32 v49, vcc, v1, v49, vcc
	s_cmp_lt_i32 s9, s10
	v_add_co_u32_e32 v50, vcc, s12, v0
	s_cselect_b32 s12, s9, s11
	v_mov_b32_e32 v51, s13
	s_ashr_i32 s13, s12, 31
	s_lshl_b64 s[12:13], s[12:13], 1
	s_add_i32 s9, s4, 0xfffff6c0
	v_addc_co_u32_e32 v51, vcc, v1, v51, vcc
	s_cmp_lt_i32 s9, s10
	v_add_co_u32_e32 v52, vcc, s12, v0
	s_cselect_b32 s12, s9, s11
	v_mov_b32_e32 v53, s13
	s_ashr_i32 s13, s12, 31
	s_lshl_b64 s[12:13], s[12:13], 1
	s_add_i32 s9, s4, 0xfffff700
	v_addc_co_u32_e32 v53, vcc, v1, v53, vcc
	s_cmp_lt_i32 s9, s10
	v_add_co_u32_e32 v54, vcc, s12, v0
	s_cselect_b32 s12, s9, s11
	v_mov_b32_e32 v55, s13
	s_ashr_i32 s13, s12, 31
	s_lshl_b64 s[12:13], s[12:13], 1
	s_add_i32 s9, s4, 0xfffff740
	v_addc_co_u32_e32 v55, vcc, v1, v55, vcc
	s_cmp_lt_i32 s9, s10
	v_add_co_u32_e32 v56, vcc, s12, v0
	s_cselect_b32 s12, s9, s11
	v_mov_b32_e32 v57, s13
	s_ashr_i32 s13, s12, 31
	s_lshl_b64 s[12:13], s[12:13], 1
	s_add_i32 s9, s4, 0xfffff780
	v_addc_co_u32_e32 v57, vcc, v1, v57, vcc
	s_cmp_lt_i32 s9, s10
	v_add_co_u32_e32 v58, vcc, s12, v0
	s_cselect_b32 s12, s9, s11
	v_mov_b32_e32 v59, s13
	s_ashr_i32 s13, s12, 31
	s_lshl_b64 s[12:13], s[12:13], 1
	s_add_i32 s9, s4, 0xfffff7c0
	v_addc_co_u32_e32 v59, vcc, v1, v59, vcc
	s_cmp_lt_i32 s9, s10
	global_load_ushort v121, v[2:3], off
	v_add_co_u32_e32 v60, vcc, s12, v0
	s_cselect_b32 s12, s9, s11
	v_mov_b32_e32 v61, s13
	s_ashr_i32 s13, s12, 31
	s_lshl_b64 s[12:13], s[12:13], 1
	s_add_i32 s9, s4, 0xfffff800
	v_addc_co_u32_e32 v61, vcc, v1, v61, vcc
	s_cmp_lt_i32 s9, s10
	v_add_co_u32_e32 v62, vcc, s12, v0
	s_cselect_b32 s12, s9, s11
	global_load_ushort v125, v[12:13], off
	global_load_ushort v126, v[14:15], off
	v_mov_b32_e32 v63, s13
	s_ashr_i32 s13, s12, 31
	global_load_ushort v127, v[16:17], off
	global_load_ushort v128, v[18:19], off
	;; [unrolled: 1-line block ×3, first 2 shown]
	s_lshl_b64 s[12:13], s[12:13], 1
	s_add_i32 s9, s4, 0xfffff840
	v_addc_co_u32_e32 v63, vcc, v1, v63, vcc
	s_cmp_lt_i32 s9, s10
	v_add_co_u32_e32 v64, vcc, s12, v0
	s_cselect_b32 s12, s9, s11
	v_mov_b32_e32 v65, s13
	s_ashr_i32 s13, s12, 31
	s_lshl_b64 s[12:13], s[12:13], 1
	s_add_i32 s9, s4, 0xfffff880
	v_addc_co_u32_e32 v65, vcc, v1, v65, vcc
	s_cmp_lt_i32 s9, s10
	v_add_co_u32_e32 v66, vcc, s12, v0
	s_cselect_b32 s12, s9, s11
	v_mov_b32_e32 v67, s13
	s_ashr_i32 s13, s12, 31
	global_load_ushort v130, v[22:23], off
	global_load_ushort v131, v[24:25], off
	s_lshl_b64 s[12:13], s[12:13], 1
	s_add_i32 s9, s4, 0xfffff8c0
	v_addc_co_u32_e32 v67, vcc, v1, v67, vcc
	s_cmp_lt_i32 s9, s10
	global_load_ushort v132, v[26:27], off
	global_load_ushort v133, v[28:29], off
	v_add_co_u32_e32 v68, vcc, s12, v0
	s_cselect_b32 s12, s9, s11
	v_mov_b32_e32 v69, s13
	s_ashr_i32 s13, s12, 31
	s_lshl_b64 s[12:13], s[12:13], 1
	s_add_i32 s9, s4, 0xfffff900
	v_addc_co_u32_e32 v69, vcc, v1, v69, vcc
	s_cmp_lt_i32 s9, s10
	v_add_co_u32_e32 v70, vcc, s12, v0
	s_cselect_b32 s12, s9, s11
	v_mov_b32_e32 v71, s13
	s_ashr_i32 s13, s12, 31
	global_load_ushort v134, v[30:31], off
	global_load_ushort v135, v[32:33], off
	s_lshl_b64 s[12:13], s[12:13], 1
	s_add_i32 s9, s4, 0xfffff940
	v_addc_co_u32_e32 v71, vcc, v1, v71, vcc
	s_cmp_lt_i32 s9, s10
	v_add_co_u32_e32 v72, vcc, s12, v0
	s_cselect_b32 s12, s9, s11
	v_mov_b32_e32 v73, s13
	s_ashr_i32 s13, s12, 31
	s_lshl_b64 s[12:13], s[12:13], 1
	s_add_i32 s9, s4, 0xfffff980
	global_load_ushort v30, v[34:35], off
	global_load_ushort v31, v[36:37], off
	;; [unrolled: 1-line block ×4, first 2 shown]
	v_addc_co_u32_e32 v73, vcc, v1, v73, vcc
	s_cmp_lt_i32 s9, s10
	v_add_co_u32_e32 v74, vcc, s12, v0
	s_cselect_b32 s12, s9, s11
	v_mov_b32_e32 v75, s13
	s_ashr_i32 s13, s12, 31
	s_lshl_b64 s[12:13], s[12:13], 1
	s_add_i32 s9, s4, 0xfffff9c0
	v_addc_co_u32_e32 v75, vcc, v1, v75, vcc
	s_cmp_lt_i32 s9, s10
	v_add_co_u32_e32 v76, vcc, s12, v0
	s_cselect_b32 s12, s9, s11
	v_mov_b32_e32 v77, s13
	s_ashr_i32 s13, s12, 31
	s_lshl_b64 s[12:13], s[12:13], 1
	s_add_i32 s9, s4, 0xfffffa00
	v_addc_co_u32_e32 v77, vcc, v1, v77, vcc
	s_cmp_lt_i32 s9, s10
	v_add_co_u32_e32 v78, vcc, s12, v0
	s_cselect_b32 s12, s9, s11
	global_load_ushort v34, v[42:43], off
	global_load_ushort v35, v[44:45], off
	v_mov_b32_e32 v79, s13
	s_ashr_i32 s13, s12, 31
	s_lshl_b64 s[12:13], s[12:13], 1
	s_add_i32 s9, s4, 0xfffffa40
	v_addc_co_u32_e32 v79, vcc, v1, v79, vcc
	s_cmp_lt_i32 s9, s10
	v_add_co_u32_e32 v80, vcc, s12, v0
	s_cselect_b32 s12, s9, s11
	v_mov_b32_e32 v81, s13
	s_ashr_i32 s13, s12, 31
	global_load_ushort v38, v[46:47], off
	s_lshl_b64 s[12:13], s[12:13], 1
	s_add_i32 s9, s4, 0xfffffa80
	v_mov_b32_e32 v37, s5
	v_addc_co_u32_e32 v81, vcc, v1, v81, vcc
	s_cmp_lt_i32 s9, s10
	ds_read_b128 v[14:17], v37
	ds_read_b128 v[18:21], v37 offset:16
	global_load_ushort v39, v[48:49], off
	v_add_co_u32_e32 v82, vcc, s12, v0
	s_cselect_b32 s12, s9, s11
	v_mov_b32_e32 v83, s13
	s_ashr_i32 s13, s12, 31
	s_lshl_b64 s[12:13], s[12:13], 1
	s_add_i32 s9, s4, 0xfffffac0
	v_addc_co_u32_e32 v83, vcc, v1, v83, vcc
	s_cmp_lt_i32 s9, s10
	s_waitcnt vmcnt(23)
	v_lshlrev_b32_e32 v36, 16, v120
	v_add_co_u32_e32 v84, vcc, s12, v0
	s_cselect_b32 s12, s9, s11
	ds_read_b128 v[22:25], v37 offset:32
	ds_read_b128 v[26:29], v37 offset:48
	s_waitcnt lgkmcnt(3)
	v_fmac_f32_e32 v119, v14, v36
	global_load_ushort v36, v[50:51], off
	global_load_ushort v40, v[52:53], off
	;; [unrolled: 1-line block ×6, first 2 shown]
	v_mov_b32_e32 v85, s13
	s_ashr_i32 s13, s12, 31
	s_lshl_b64 s[12:13], s[12:13], 1
	s_add_i32 s9, s4, 0xfffffb00
	v_addc_co_u32_e32 v85, vcc, v1, v85, vcc
	s_cmp_lt_i32 s9, s10
	v_add_co_u32_e32 v86, vcc, s12, v0
	s_cselect_b32 s12, s9, s11
	v_mov_b32_e32 v87, s13
	s_ashr_i32 s13, s12, 31
	s_lshl_b64 s[12:13], s[12:13], 1
	s_add_i32 s9, s4, 0xfffffb40
	v_addc_co_u32_e32 v87, vcc, v1, v87, vcc
	s_cmp_lt_i32 s9, s10
	v_add_co_u32_e32 v88, vcc, s12, v0
	s_cselect_b32 s12, s9, s11
	;; [unrolled: 8-line block ×7, first 2 shown]
	v_mov_b32_e32 v99, s13
	s_ashr_i32 s13, s12, 31
	s_lshl_b64 s[12:13], s[12:13], 1
	s_add_i32 s9, s4, 0xfffffcc0
	v_addc_co_u32_e32 v99, vcc, v1, v99, vcc
	s_cmp_lt_i32 s9, s10
	s_waitcnt vmcnt(25)
	v_lshlrev_b32_e32 v14, 16, v121
	v_add_co_u32_e32 v100, vcc, s12, v0
	s_cselect_b32 s12, s9, s11
	v_fmac_f32_e32 v119, v15, v14
	v_lshlrev_b32_e32 v14, 16, v122
	v_mov_b32_e32 v101, s13
	s_ashr_i32 s13, s12, 31
	v_fmac_f32_e32 v119, v16, v14
	v_lshlrev_b32_e32 v14, 16, v123
	s_lshl_b64 s[12:13], s[12:13], 1
	s_add_i32 s9, s4, 0xfffffd00
	v_fmac_f32_e32 v119, v17, v14
	v_lshlrev_b32_e32 v14, 16, v124
	v_addc_co_u32_e32 v101, vcc, v1, v101, vcc
	s_cmp_lt_i32 s9, s10
	s_waitcnt lgkmcnt(2)
	v_fmac_f32_e32 v119, v18, v14
	s_waitcnt vmcnt(24)
	v_lshlrev_b32_e32 v14, 16, v125
	v_add_co_u32_e32 v102, vcc, s12, v0
	s_cselect_b32 s12, s9, s11
	v_fmac_f32_e32 v119, v19, v14
	s_waitcnt vmcnt(23)
	v_lshlrev_b32_e32 v14, 16, v126
	v_mov_b32_e32 v103, s13
	s_ashr_i32 s13, s12, 31
	v_fmac_f32_e32 v119, v20, v14
	s_waitcnt vmcnt(22)
	v_lshlrev_b32_e32 v14, 16, v127
	s_lshl_b64 s[12:13], s[12:13], 1
	s_add_i32 s9, s4, 0xfffffd40
	v_fmac_f32_e32 v119, v21, v14
	s_waitcnt vmcnt(21)
	v_lshlrev_b32_e32 v14, 16, v128
	v_addc_co_u32_e32 v103, vcc, v1, v103, vcc
	s_cmp_lt_i32 s9, s10
	s_waitcnt lgkmcnt(1)
	v_fmac_f32_e32 v119, v22, v14
	global_load_ushort v22, v[62:63], off
	v_add_co_u32_e32 v104, vcc, s12, v0
	s_cselect_b32 s12, s9, s11
	v_mov_b32_e32 v105, s13
	s_ashr_i32 s13, s12, 31
	s_lshl_b64 s[12:13], s[12:13], 1
	s_add_i32 s9, s4, 0xfffffd80
	s_waitcnt vmcnt(21)
	v_lshlrev_b32_e32 v14, 16, v129
	v_addc_co_u32_e32 v105, vcc, v1, v105, vcc
	s_cmp_lt_i32 s9, s10
	v_fmac_f32_e32 v119, v23, v14
	global_load_ushort v23, v[64:65], off
	v_add_co_u32_e32 v106, vcc, s12, v0
	s_cselect_b32 s12, s9, s11
	s_waitcnt vmcnt(21)
	v_lshlrev_b32_e32 v14, 16, v130
	global_load_ushort v45, v[66:67], off
	v_mov_b32_e32 v107, s13
	s_ashr_i32 s13, s12, 31
	v_fmac_f32_e32 v119, v24, v14
	global_load_ushort v24, v[68:69], off
	s_waitcnt vmcnt(22)
	v_lshlrev_b32_e32 v14, 16, v131
	s_lshl_b64 s[12:13], s[12:13], 1
	s_add_i32 s9, s4, 0xfffffdc0
	v_fmac_f32_e32 v119, v25, v14
	global_load_ushort v25, v[70:71], off
	global_load_ushort v46, v[72:73], off
	v_addc_co_u32_e32 v107, vcc, v1, v107, vcc
	s_cmp_lt_i32 s9, s10
	s_waitcnt vmcnt(23)
	v_lshlrev_b32_e32 v14, 16, v132
	v_add_co_u32_e32 v110, vcc, s12, v0
	s_cselect_b32 s12, s9, s11
	s_waitcnt lgkmcnt(0)
	v_fmac_f32_e32 v119, v26, v14
	global_load_ushort v26, v[74:75], off
	global_load_ushort v47, v[76:77], off
	v_mov_b32_e32 v108, s13
	s_ashr_i32 s13, s12, 31
	s_waitcnt vmcnt(24)
	v_lshlrev_b32_e32 v14, 16, v133
	s_lshl_b64 s[12:13], s[12:13], 1
	s_add_i32 s9, s4, 0xfffffe00
	v_fmac_f32_e32 v119, v27, v14
	global_load_ushort v27, v[78:79], off
	v_addc_co_u32_e32 v111, vcc, v1, v108, vcc
	s_cmp_lt_i32 s9, s10
	v_add_co_u32_e32 v108, vcc, s12, v0
	s_cselect_b32 s12, s9, s11
	s_waitcnt vmcnt(24)
	v_lshlrev_b32_e32 v14, 16, v134
	v_mov_b32_e32 v109, s13
	s_ashr_i32 s13, s12, 31
	v_fmac_f32_e32 v119, v28, v14
	global_load_ushort v28, v[80:81], off
	s_waitcnt vmcnt(24)
	v_lshlrev_b32_e32 v14, 16, v135
	s_lshl_b64 s[12:13], s[12:13], 1
	s_add_i32 s9, s4, 0xfffffe40
	v_fmac_f32_e32 v119, v29, v14
	ds_read_b128 v[14:17], v37 offset:64
	ds_read_b128 v[18:21], v37 offset:80
	v_addc_co_u32_e32 v109, vcc, v1, v109, vcc
	s_cmp_lt_i32 s9, s10
	global_load_ushort v48, v[82:83], off
	global_load_ushort v29, v[84:85], off
	;; [unrolled: 1-line block ×4, first 2 shown]
	v_add_co_u32_e32 v114, vcc, s12, v0
	s_cselect_b32 s12, s9, s11
	v_mov_b32_e32 v112, s13
	s_ashr_i32 s13, s12, 31
	s_lshl_b64 s[12:13], s[12:13], 1
	s_add_i32 s9, s4, 0xfffffe80
	s_waitcnt vmcnt(27)
	v_lshlrev_b32_e32 v30, 16, v30
	v_addc_co_u32_e32 v115, vcc, v1, v112, vcc
	s_cmp_lt_i32 s9, s10
	s_waitcnt lgkmcnt(1)
	v_fmac_f32_e32 v119, v14, v30
	global_load_ushort v30, v[90:91], off
	v_add_co_u32_e32 v112, vcc, s12, v0
	s_cselect_b32 s12, s9, s11
	s_waitcnt vmcnt(27)
	v_lshlrev_b32_e32 v14, 16, v31
	global_load_ushort v31, v[92:93], off
	global_load_ushort v51, v[94:95], off
	v_mov_b32_e32 v113, s13
	s_ashr_i32 s13, s12, 31
	s_lshl_b64 s[12:13], s[12:13], 1
	s_add_i32 s9, s4, 0xfffffec0
	v_addc_co_u32_e32 v113, vcc, v1, v113, vcc
	s_cmp_lt_i32 s9, s10
	v_add_co_u32_e32 v116, vcc, s12, v0
	s_cselect_b32 s12, s9, s11
	v_mov_b32_e32 v117, s13
	s_ashr_i32 s13, s12, 31
	v_fmac_f32_e32 v119, v15, v14
	s_waitcnt vmcnt(28)
	v_lshlrev_b32_e32 v14, 16, v32
	global_load_ushort v32, v[96:97], off
	s_lshl_b64 s[12:13], s[12:13], 1
	s_add_i32 s9, s4, 0xffffff00
	v_fmac_f32_e32 v119, v16, v14
	s_waitcnt vmcnt(28)
	v_lshlrev_b32_e32 v14, 16, v33
	global_load_ushort v33, v[98:99], off
	v_addc_co_u32_e32 v117, vcc, v1, v117, vcc
	s_cmp_lt_i32 s9, s10
	v_fmac_f32_e32 v119, v17, v14
	s_waitcnt vmcnt(28)
	v_lshlrev_b32_e32 v14, 16, v34
	global_load_ushort v34, v[100:101], off
	global_load_ushort v52, v[102:103], off
	v_add_co_u32_e32 v2, vcc, s12, v0
	s_cselect_b32 s12, s9, s11
	v_mov_b32_e32 v4, s13
	s_ashr_i32 s13, s12, 31
	s_lshl_b64 s[12:13], s[12:13], 1
	s_add_i32 s9, s4, 0xffffff40
	s_waitcnt lgkmcnt(0)
	v_fmac_f32_e32 v119, v18, v14
	s_waitcnt vmcnt(29)
	v_lshlrev_b32_e32 v14, 16, v35
	global_load_ushort v35, v[104:105], off
	global_load_ushort v53, v[106:107], off
	;; [unrolled: 1-line block ×3, first 2 shown]
	v_addc_co_u32_e32 v3, vcc, v1, v4, vcc
	s_cmp_lt_i32 s9, s10
	v_add_co_u32_e32 v4, vcc, s12, v0
	s_cselect_b32 s12, s9, s11
	v_mov_b32_e32 v5, s13
	s_ashr_i32 s13, s12, 31
	v_fmac_f32_e32 v119, v19, v14
	s_waitcnt vmcnt(31)
	v_lshlrev_b32_e32 v14, 16, v38
	global_load_ushort v38, v[108:109], off
	global_load_ushort v55, v[114:115], off
	s_lshl_b64 s[12:13], s[12:13], 1
	s_add_i32 s9, s4, 0xffffff80
	v_addc_co_u32_e32 v5, vcc, v1, v5, vcc
	s_cmp_lt_i32 s9, s10
	v_fmac_f32_e32 v119, v20, v14
	s_waitcnt vmcnt(32)
	v_lshlrev_b32_e32 v14, 16, v39
	v_add_co_u32_e32 v6, vcc, s12, v0
	s_cselect_b32 s12, s9, s11
	v_fmac_f32_e32 v119, v21, v14
	ds_read_b128 v[14:17], v37 offset:96
	v_mov_b32_e32 v7, s13
	s_ashr_i32 s13, s12, 31
	s_lshl_b64 s[12:13], s[12:13], 1
	s_sub_i32 s9, s4, 64
	v_addc_co_u32_e32 v7, vcc, v1, v7, vcc
	s_cmp_lt_i32 s9, s10
	global_load_ushort v39, v[112:113], off
	global_load_ushort v56, v[116:117], off
	v_add_co_u32_e32 v10, vcc, s12, v0
	s_cselect_b32 s12, s9, s11
	s_waitcnt vmcnt(33)
	v_lshlrev_b32_e32 v36, 16, v36
	v_mov_b32_e32 v8, s13
	s_ashr_i32 s13, s12, 31
	s_waitcnt lgkmcnt(0)
	v_fmac_f32_e32 v119, v14, v36
	s_waitcnt vmcnt(32)
	v_lshlrev_b32_e32 v14, 16, v40
	s_lshl_b64 s[12:13], s[12:13], 1
	ds_read_b128 v[18:21], v37 offset:112
	v_fmac_f32_e32 v119, v15, v14
	global_load_ushort v14, v[2:3], off
	global_load_ushort v15, v[4:5], off
	v_addc_co_u32_e32 v11, vcc, v1, v8, vcc
	s_cmp_lt_i32 s4, s10
	v_add_co_u32_e32 v8, vcc, s12, v0
	s_cselect_b32 s12, s4, s11
	s_waitcnt vmcnt(33)
	v_lshlrev_b32_e32 v2, 16, v41
	v_mov_b32_e32 v9, s13
	s_ashr_i32 s13, s12, 31
	v_fmac_f32_e32 v119, v16, v2
	global_load_ushort v16, v[6:7], off
	global_load_ushort v36, v[10:11], off
	v_addc_co_u32_e32 v9, vcc, v1, v9, vcc
	s_lshl_b64 s[12:13], s[12:13], 1
	s_waitcnt vmcnt(34)
	v_lshlrev_b32_e32 v2, 16, v42
	v_mov_b32_e32 v13, s13
	v_add_co_u32_e32 v12, vcc, s12, v0
	v_fmac_f32_e32 v119, v17, v2
	s_waitcnt vmcnt(33)
	v_lshlrev_b32_e32 v2, 16, v43
	v_addc_co_u32_e32 v13, vcc, v1, v13, vcc
	s_waitcnt lgkmcnt(0)
	v_fmac_f32_e32 v119, v18, v2
	global_load_ushort v17, v[8:9], off
	global_load_ushort v18, v[12:13], off
	s_waitcnt vmcnt(34)
	v_lshlrev_b32_e32 v2, 16, v44
	v_fmac_f32_e32 v119, v19, v2
	s_waitcnt vmcnt(33)
	v_lshlrev_b32_e32 v2, 16, v22
	v_fmac_f32_e32 v119, v20, v2
	ds_read_b128 v[2:5], v37 offset:128
	s_waitcnt vmcnt(32)
	v_lshlrev_b32_e32 v6, 16, v23
	v_fmac_f32_e32 v119, v21, v6
	ds_read_b128 v[6:9], v37 offset:144
	s_waitcnt vmcnt(31)
	v_lshlrev_b32_e32 v10, 16, v45
	s_waitcnt lgkmcnt(1)
	v_fmac_f32_e32 v119, v2, v10
	s_waitcnt vmcnt(30)
	v_lshlrev_b32_e32 v2, 16, v24
	v_fmac_f32_e32 v119, v3, v2
	s_waitcnt vmcnt(29)
	v_lshlrev_b32_e32 v2, 16, v25
	;; [unrolled: 3-line block ×4, first 2 shown]
	s_waitcnt lgkmcnt(0)
	v_fmac_f32_e32 v119, v6, v2
	s_waitcnt vmcnt(26)
	v_lshlrev_b32_e32 v2, 16, v47
	v_fmac_f32_e32 v119, v7, v2
	s_waitcnt vmcnt(25)
	v_lshlrev_b32_e32 v2, 16, v27
	v_fmac_f32_e32 v119, v8, v2
	ds_read_b128 v[2:5], v37 offset:160
	s_waitcnt vmcnt(24)
	v_lshlrev_b32_e32 v6, 16, v28
	v_fmac_f32_e32 v119, v9, v6
	ds_read_b128 v[6:9], v37 offset:176
	s_waitcnt vmcnt(23)
	v_lshlrev_b32_e32 v10, 16, v48
	s_waitcnt lgkmcnt(1)
	v_fmac_f32_e32 v119, v2, v10
	s_waitcnt vmcnt(22)
	v_lshlrev_b32_e32 v2, 16, v29
	v_fmac_f32_e32 v119, v3, v2
	s_waitcnt vmcnt(21)
	v_lshlrev_b32_e32 v2, 16, v49
	;; [unrolled: 3-line block ×4, first 2 shown]
	s_waitcnt lgkmcnt(0)
	v_fmac_f32_e32 v119, v6, v2
	s_waitcnt vmcnt(18)
	v_lshlrev_b32_e32 v2, 16, v31
	v_fmac_f32_e32 v119, v7, v2
	s_waitcnt vmcnt(17)
	v_lshlrev_b32_e32 v2, 16, v51
	v_fmac_f32_e32 v119, v8, v2
	ds_read_b128 v[2:5], v37 offset:192
	s_waitcnt vmcnt(16)
	v_lshlrev_b32_e32 v6, 16, v32
	v_fmac_f32_e32 v119, v9, v6
	ds_read_b128 v[6:9], v37 offset:208
	s_waitcnt vmcnt(15)
	v_lshlrev_b32_e32 v10, 16, v33
	s_waitcnt lgkmcnt(1)
	v_fmac_f32_e32 v119, v2, v10
	s_waitcnt vmcnt(14)
	v_lshlrev_b32_e32 v2, 16, v34
	v_fmac_f32_e32 v119, v3, v2
	s_waitcnt vmcnt(13)
	v_lshlrev_b32_e32 v2, 16, v52
	;; [unrolled: 3-line block ×4, first 2 shown]
	v_lshlrev_b32_e32 v2, 16, v53
	s_waitcnt lgkmcnt(0)
	v_pk_mul_f32 v[2:3], v[6:7], v[2:3]
	v_add_f32_e32 v2, v119, v2
	v_add_f32_e32 v4, v2, v3
	s_waitcnt vmcnt(8)
	v_lshlrev_b32_e32 v3, 16, v55
	v_lshlrev_b32_e32 v2, 16, v38
	v_pk_mul_f32 v[6:7], v[8:9], v[2:3]
	v_add_f32_e32 v6, v4, v6
	ds_read_b128 v[2:5], v37 offset:224
	s_waitcnt vmcnt(6)
	v_lshlrev_b32_e32 v11, 16, v56
	v_lshlrev_b32_e32 v10, 16, v39
	v_add_f32_e32 v12, v6, v7
	ds_read_b128 v[6:9], v37 offset:240
	s_waitcnt lgkmcnt(1)
	v_pk_mul_f32 v[2:3], v[2:3], v[10:11]
	v_add_f32_e32 v2, v12, v2
	v_add_f32_e32 v10, v2, v3
	s_waitcnt vmcnt(4)
	v_lshlrev_b32_e32 v3, 16, v15
	v_lshlrev_b32_e32 v2, 16, v14
	v_pk_mul_f32 v[2:3], v[4:5], v[2:3]
	v_add_f32_e32 v2, v10, v2
	v_add_f32_e32 v4, v2, v3
	s_waitcnt vmcnt(2)
	v_lshlrev_b32_e32 v3, 16, v36
	v_lshlrev_b32_e32 v2, 16, v16
	s_waitcnt lgkmcnt(0)
	v_pk_mul_f32 v[2:3], v[6:7], v[2:3]
	v_add_f32_e32 v2, v4, v2
	v_add_f32_e32 v4, v2, v3
	s_waitcnt vmcnt(0)
	v_lshlrev_b32_e32 v3, 16, v18
	v_lshlrev_b32_e32 v2, 16, v17
	v_pk_mul_f32 v[2:3], v[8:9], v[2:3]
	v_add_f32_e32 v2, v4, v2
	v_add_f32_e32 v119, v2, v3
	s_branch .LBB224_16
.LBB224_19:
	v_mov_b32_e32 v0, 0
	ds_read_b32 v0, v0 offset:3328
	s_cmp_lg_u64 s[2:3], 0
	s_cbranch_scc0 .LBB224_28
; %bb.20:
	s_load_dword s4, s[2:3], 0x0
	s_waitcnt lgkmcnt(0)
	v_div_scale_f32 v1, s[2:3], s4, s4, 1.0
	v_rcp_f32_e32 v2, v1
	v_div_scale_f32 v3, vcc, 1.0, s4, 1.0
	v_fma_f32 v4, -v1, v2, 1.0
	v_fmac_f32_e32 v2, v4, v2
	v_mul_f32_e32 v4, v3, v2
	v_fma_f32 v5, -v1, v4, v3
	v_fmac_f32_e32 v4, v5, v2
	v_fma_f32 v1, -v1, v4, v3
	v_div_fmas_f32 v1, v1, v2, v4
	v_div_fixup_f32 v1, v1, s4, 1.0
	s_andn2_b64 vcc, exec, s[44:45]
	s_cbranch_vccnz .LBB224_22
.LBB224_21:
	s_add_u32 s2, s34, s46
	s_addc_u32 s3, s35, s47
	s_load_dword s30, s[2:3], 0x0
	s_mov_b32 s31, 0
.LBB224_22:
	s_waitcnt lgkmcnt(0)
	v_add_f32_e32 v0, 0x358637bd, v0
	v_div_scale_f32 v2, s[2:3], v0, v0, 1.0
	v_rcp_f32_e32 v3, v2
	v_div_scale_f32 v4, vcc, 1.0, v0, 1.0
	s_mov_b32 s2, 0x7f800000
	v_fma_f32 v5, -v2, v3, 1.0
	v_fmac_f32_e32 v3, v5, v3
	v_mul_f32_e32 v5, v4, v3
	v_fma_f32 v6, -v2, v5, v4
	v_fmac_f32_e32 v5, v6, v3
	v_fma_f32 v2, -v2, v5, v4
	v_div_fmas_f32 v2, v2, v3, v5
	v_div_fixup_f32 v0, v2, v0, 1.0
	v_mul_f32_e32 v0, v119, v0
	v_mul_f32_e32 v1, v0, v1
	v_and_b32_e32 v0, 0x7f800000, v1
	v_cmp_ne_u32_e32 vcc, s2, v0
                                        ; implicit-def: $vgpr0
	s_and_saveexec_b64 s[2:3], vcc
	s_xor_b64 s[2:3], exec, s[2:3]
; %bb.23:
	v_bfe_u32 v0, v1, 16, 1
	s_movk_i32 s4, 0x7fff
	v_add3_u32 v0, v1, v0, s4
                                        ; implicit-def: $vgpr1
; %bb.24:
	s_andn2_saveexec_b64 s[2:3], s[2:3]
; %bb.25:
	v_mov_b32_e32 v0, 0
	v_or_b32_e32 v2, 0x10000, v1
	v_cmp_eq_u32_sdwa vcc, v1, v0 src0_sel:WORD_0 src1_sel:DWORD
	v_cndmask_b32_e32 v0, v2, v1, vcc
; %bb.26:
	s_or_b64 exec, exec, s[2:3]
	s_mul_i32 s2, s7, s31
	s_mul_hi_u32 s3, s7, s30
	s_add_i32 s3, s3, s2
	s_mul_i32 s2, s7, s30
	s_lshl_b64 s[2:3], s[2:3], 7
	s_add_u32 s2, s0, s2
	s_mov_b32 s7, 0
	s_addc_u32 s3, s1, s3
	s_lshl_b64 s[0:1], s[6:7], 7
	s_add_u32 s0, s2, s0
	s_addc_u32 s1, s3, s1
	global_store_short_d16_hi v118, v0, s[0:1]
	s_endpgm
.LBB224_27:
	s_mov_b64 s[2:3], 0
	s_branch .LBB224_2
.LBB224_28:
	v_mov_b32_e32 v1, 1.0
	s_andn2_b64 vcc, exec, s[44:45]
	s_cbranch_vccz .LBB224_21
	s_branch .LBB224_22
	.section	.rodata,"a",@progbits
	.p2align	6, 0x0
	.amdhsa_kernel _Z35paged_attention_ll4mi_reduce_kernelI14__hip_bfloat16S0_Li64ELi64ELi256ELi13EEvPT0_PKfS4_PKT_PKiS9_iS4_
		.amdhsa_group_segment_fixed_size 3332
		.amdhsa_private_segment_fixed_size 0
		.amdhsa_kernarg_size 320
		.amdhsa_user_sgpr_count 6
		.amdhsa_user_sgpr_private_segment_buffer 1
		.amdhsa_user_sgpr_dispatch_ptr 0
		.amdhsa_user_sgpr_queue_ptr 0
		.amdhsa_user_sgpr_kernarg_segment_ptr 1
		.amdhsa_user_sgpr_dispatch_id 0
		.amdhsa_user_sgpr_flat_scratch_init 0
		.amdhsa_user_sgpr_kernarg_preload_length 0
		.amdhsa_user_sgpr_kernarg_preload_offset 0
		.amdhsa_user_sgpr_private_segment_size 0
		.amdhsa_uses_dynamic_stack 0
		.amdhsa_system_sgpr_private_segment_wavefront_offset 0
		.amdhsa_system_sgpr_workgroup_id_x 1
		.amdhsa_system_sgpr_workgroup_id_y 1
		.amdhsa_system_sgpr_workgroup_id_z 0
		.amdhsa_system_sgpr_workgroup_info 0
		.amdhsa_system_vgpr_workitem_id 0
		.amdhsa_next_free_vgpr 136
		.amdhsa_next_free_sgpr 55
		.amdhsa_accum_offset 136
		.amdhsa_reserve_vcc 1
		.amdhsa_reserve_flat_scratch 0
		.amdhsa_float_round_mode_32 0
		.amdhsa_float_round_mode_16_64 0
		.amdhsa_float_denorm_mode_32 3
		.amdhsa_float_denorm_mode_16_64 3
		.amdhsa_dx10_clamp 1
		.amdhsa_ieee_mode 1
		.amdhsa_fp16_overflow 0
		.amdhsa_tg_split 0
		.amdhsa_exception_fp_ieee_invalid_op 0
		.amdhsa_exception_fp_denorm_src 0
		.amdhsa_exception_fp_ieee_div_zero 0
		.amdhsa_exception_fp_ieee_overflow 0
		.amdhsa_exception_fp_ieee_underflow 0
		.amdhsa_exception_fp_ieee_inexact 0
		.amdhsa_exception_int_div_zero 0
	.end_amdhsa_kernel
	.section	.text._Z35paged_attention_ll4mi_reduce_kernelI14__hip_bfloat16S0_Li64ELi64ELi256ELi13EEvPT0_PKfS4_PKT_PKiS9_iS4_,"axG",@progbits,_Z35paged_attention_ll4mi_reduce_kernelI14__hip_bfloat16S0_Li64ELi64ELi256ELi13EEvPT0_PKfS4_PKT_PKiS9_iS4_,comdat
.Lfunc_end224:
	.size	_Z35paged_attention_ll4mi_reduce_kernelI14__hip_bfloat16S0_Li64ELi64ELi256ELi13EEvPT0_PKfS4_PKT_PKiS9_iS4_, .Lfunc_end224-_Z35paged_attention_ll4mi_reduce_kernelI14__hip_bfloat16S0_Li64ELi64ELi256ELi13EEvPT0_PKfS4_PKT_PKiS9_iS4_
                                        ; -- End function
	.section	.AMDGPU.csdata,"",@progbits
; Kernel info:
; codeLenInByte = 11580
; NumSgprs: 59
; NumVgprs: 136
; NumAgprs: 0
; TotalNumVgprs: 136
; ScratchSize: 0
; MemoryBound: 0
; FloatMode: 240
; IeeeMode: 1
; LDSByteSize: 3332 bytes/workgroup (compile time only)
; SGPRBlocks: 7
; VGPRBlocks: 16
; NumSGPRsForWavesPerEU: 59
; NumVGPRsForWavesPerEU: 136
; AccumOffset: 136
; Occupancy: 3
; WaveLimiterHint : 1
; COMPUTE_PGM_RSRC2:SCRATCH_EN: 0
; COMPUTE_PGM_RSRC2:USER_SGPR: 6
; COMPUTE_PGM_RSRC2:TRAP_HANDLER: 0
; COMPUTE_PGM_RSRC2:TGID_X_EN: 1
; COMPUTE_PGM_RSRC2:TGID_Y_EN: 1
; COMPUTE_PGM_RSRC2:TGID_Z_EN: 0
; COMPUTE_PGM_RSRC2:TIDIG_COMP_CNT: 0
; COMPUTE_PGM_RSRC3_GFX90A:ACCUM_OFFSET: 33
; COMPUTE_PGM_RSRC3_GFX90A:TG_SPLIT: 0
	.section	.text._Z35paged_attention_ll4mi_reduce_kernelI14__hip_bfloat16S0_Li64ELi64ELi256ELi14EEvPT0_PKfS4_PKT_PKiS9_iS4_,"axG",@progbits,_Z35paged_attention_ll4mi_reduce_kernelI14__hip_bfloat16S0_Li64ELi64ELi256ELi14EEvPT0_PKfS4_PKT_PKiS9_iS4_,comdat
	.protected	_Z35paged_attention_ll4mi_reduce_kernelI14__hip_bfloat16S0_Li64ELi64ELi256ELi14EEvPT0_PKfS4_PKT_PKiS9_iS4_ ; -- Begin function _Z35paged_attention_ll4mi_reduce_kernelI14__hip_bfloat16S0_Li64ELi64ELi256ELi14EEvPT0_PKfS4_PKT_PKiS9_iS4_
	.globl	_Z35paged_attention_ll4mi_reduce_kernelI14__hip_bfloat16S0_Li64ELi64ELi256ELi14EEvPT0_PKfS4_PKT_PKiS9_iS4_
	.p2align	8
	.type	_Z35paged_attention_ll4mi_reduce_kernelI14__hip_bfloat16S0_Li64ELi64ELi256ELi14EEvPT0_PKfS4_PKT_PKiS9_iS4_,@function
_Z35paged_attention_ll4mi_reduce_kernelI14__hip_bfloat16S0_Li64ELi64ELi256ELi14EEvPT0_PKfS4_PKT_PKiS9_iS4_: ; @_Z35paged_attention_ll4mi_reduce_kernelI14__hip_bfloat16S0_Li64ELi64ELi256ELi14EEvPT0_PKfS4_PKT_PKiS9_iS4_
; %bb.0:
	s_load_dwordx2 s[44:45], s[4:5], 0x28
	s_mov_b32 s34, s7
	s_mov_b64 s[0:1], 0
	s_waitcnt lgkmcnt(0)
	s_cmp_lg_u64 s[44:45], 0
	s_cselect_b64 s[46:47], -1, 0
	s_and_b64 vcc, exec, s[46:47]
	s_cbranch_vccz .LBB225_27
; %bb.1:
	s_add_i32 s2, s34, 1
	s_mov_b32 s3, 0
	s_lshl_b64 s[8:9], s[2:3], 2
	s_add_u32 s8, s44, s8
	s_mov_b32 s35, s3
	s_addc_u32 s9, s45, s9
	s_lshl_b64 s[2:3], s[34:35], 2
	s_add_u32 s2, s44, s2
	s_addc_u32 s3, s45, s3
	s_load_dword s7, s[8:9], 0x0
	s_load_dword s10, s[2:3], 0x0
	s_waitcnt lgkmcnt(0)
	s_sub_i32 s2, s7, s10
	s_cmp_eq_u32 s2, 1
	s_cselect_b64 s[2:3], -1, 0
	s_andn2_b64 vcc, exec, s[0:1]
	s_cbranch_vccnz .LBB225_3
.LBB225_2:
	s_mov_b32 s35, 0
	s_mov_b64 s[2:3], -1
.LBB225_3:
	s_andn2_b64 vcc, exec, s[2:3]
	s_cbranch_vccz .LBB225_5
; %bb.4:
	s_endpgm
.LBB225_5:
	s_load_dwordx4 s[36:39], s[4:5], 0x18
	s_load_dword s8, s[4:5], 0x30
	s_lshl_b64 s[48:49], s[34:35], 2
	v_cmp_lt_u32_e32 vcc, 63, v0
	s_waitcnt lgkmcnt(0)
	s_add_u32 s0, s38, s48
	s_addc_u32 s1, s39, s49
	s_load_dword s56, s[0:1], 0x0
	s_load_dword s7, s[4:5], 0x40
	s_mul_i32 s38, s6, s8
	s_mul_i32 s2, s34, s8
	s_waitcnt lgkmcnt(0)
	s_add_i32 s3, s56, 0xff
	s_ashr_i32 s0, s3, 31
	s_lshr_b32 s0, s0, 24
	s_add_i32 s3, s3, s0
	s_and_saveexec_b64 s[0:1], vcc
	s_xor_b64 s[0:1], exec, s[0:1]
	s_or_saveexec_b64 s[50:51], s[0:1]
	s_ashr_i32 s33, s3, 8
	v_mov_b32_e32 v1, s38
	s_mul_i32 s52, s2, s7
	s_xor_b64 exec, exec, s[50:51]
	s_cbranch_execz .LBB225_9
; %bb.6:
	s_add_i32 s0, s33, -1
	v_or_b32_e32 v3, 64, v0
	v_mov_b32_e32 v1, s0
	v_cmp_gt_u32_e64 s[26:27], s33, v3
	v_cndmask_b32_e64 v4, v1, v3, s[26:27]
	v_or_b32_e32 v3, 0x80, v0
	v_cmp_gt_u32_e64 s[24:25], s33, v3
	v_cndmask_b32_e64 v6, v1, v3, s[24:25]
	v_or_b32_e32 v3, 0xc0, v0
	;; [unrolled: 3-line block ×9, first 2 shown]
	s_load_dwordx4 s[40:43], s[4:5], 0x8
	v_cmp_gt_u32_e64 s[8:9], s33, v3
	v_cndmask_b32_e64 v22, v1, v3, s[8:9]
	v_or_b32_e32 v3, 0x2c0, v0
	v_cmp_gt_u32_e64 s[2:3], s33, v3
	s_mov_b32 s53, 0
	v_cndmask_b32_e64 v24, v1, v3, s[2:3]
	v_or_b32_e32 v3, 0x300, v0
	v_cmp_gt_u32_e64 s[0:1], s33, v3
	s_lshl_b64 s[54:55], s[52:53], 2
	s_mov_b32 s39, s53
	v_cmp_gt_u32_e64 s[28:29], s33, v0
	v_cndmask_b32_e64 v26, v1, v3, s[0:1]
	v_or_b32_e32 v3, 0x340, v0
	s_waitcnt lgkmcnt(0)
	s_add_u32 s30, s42, s54
	v_cndmask_b32_e64 v2, v1, v0, s[28:29]
	v_cmp_gt_u32_e32 vcc, s33, v3
	s_addc_u32 s31, s43, s55
	s_lshl_b64 s[42:43], s[38:39], 2
	v_cndmask_b32_e32 v28, v1, v3, vcc
	s_add_u32 s39, s30, s42
	v_ashrrev_i32_e32 v3, 31, v2
	s_addc_u32 s53, s31, s43
	v_lshlrev_b64 v[2:3], 2, v[2:3]
	v_mov_b32_e32 v1, s53
	v_add_co_u32_e64 v30, s[30:31], s39, v2
	v_ashrrev_i32_e32 v5, 31, v4
	v_addc_co_u32_e64 v31, s[30:31], v1, v3, s[30:31]
	v_lshlrev_b64 v[4:5], 2, v[4:5]
	v_add_co_u32_e64 v32, s[30:31], s39, v4
	v_ashrrev_i32_e32 v7, 31, v6
	v_addc_co_u32_e64 v33, s[30:31], v1, v5, s[30:31]
	v_lshlrev_b64 v[6:7], 2, v[6:7]
	;; [unrolled: 4-line block ×8, first 2 shown]
	global_load_dword v1, v[30:31], off
	global_load_dword v46, v[32:33], off
	;; [unrolled: 1-line block ×6, first 2 shown]
	s_nop 0
	global_load_dword v42, v[42:43], off
	s_nop 0
	global_load_dword v43, v[44:45], off
	v_mov_b32_e32 v21, s53
	v_add_co_u32_e64 v30, s[30:31], s39, v18
	v_addc_co_u32_e64 v31, s[30:31], v21, v19, s[30:31]
	v_ashrrev_i32_e32 v21, 31, v20
	v_lshlrev_b64 v[20:21], 2, v[20:21]
	v_mov_b32_e32 v23, s53
	v_add_co_u32_e64 v32, s[30:31], s39, v20
	v_addc_co_u32_e64 v33, s[30:31], v23, v21, s[30:31]
	v_ashrrev_i32_e32 v23, 31, v22
	v_lshlrev_b64 v[22:23], 2, v[22:23]
	;; [unrolled: 5-line block ×5, first 2 shown]
	v_mov_b32_e32 v41, s53
	v_add_co_u32_e64 v40, s[30:31], s39, v28
	v_addc_co_u32_e64 v41, s[30:31], v41, v29, s[30:31]
	global_load_dword v30, v[30:31], off
	s_nop 0
	global_load_dword v31, v[32:33], off
	s_nop 0
	global_load_dword v32, v[34:35], off
	global_load_dword v33, v[36:37], off
	s_nop 0
	global_load_dword v34, v[38:39], off
	global_load_dword v35, v[40:41], off
	s_waitcnt vmcnt(13)
	v_max_f32_e32 v37, v1, v1
	s_waitcnt vmcnt(12)
	v_max_f32_e32 v36, v46, v46
	v_max_f32_e32 v36, v37, v36
	v_mbcnt_lo_u32_b32 v37, -1, 0
	s_waitcnt vmcnt(10)
	v_max3_f32 v36, v36, v47, v48
	v_mbcnt_hi_u32_b32 v37, -1, v37
	s_waitcnt vmcnt(8)
	v_max3_f32 v36, v36, v49, v50
	v_and_b32_e32 v38, 64, v37
	s_waitcnt vmcnt(6)
	v_max3_f32 v36, v36, v42, v43
	v_add_u32_e32 v38, 64, v38
	v_xor_b32_e32 v39, 32, v37
	v_cmp_lt_i32_e64 s[30:31], v39, v38
	v_cndmask_b32_e64 v39, v37, v39, s[30:31]
	v_lshlrev_b32_e32 v39, 2, v39
	s_waitcnt vmcnt(4)
	v_max3_f32 v36, v36, v30, v31
	s_waitcnt vmcnt(2)
	v_max3_f32 v36, v36, v32, v33
	;; [unrolled: 2-line block ×3, first 2 shown]
	ds_bpermute_b32 v40, v39, v36
	s_waitcnt lgkmcnt(0)
	v_max_f32_e32 v40, v40, v40
	v_max_f32_e32 v36, v36, v40
	v_xor_b32_e32 v40, 16, v37
	v_cmp_lt_i32_e64 s[30:31], v40, v38
	v_cndmask_b32_e64 v40, v37, v40, s[30:31]
	v_lshlrev_b32_e32 v40, 2, v40
	ds_bpermute_b32 v41, v40, v36
	s_waitcnt lgkmcnt(0)
	v_max_f32_e32 v41, v41, v41
	v_max_f32_e32 v36, v36, v41
	v_xor_b32_e32 v41, 8, v37
	v_cmp_lt_i32_e64 s[30:31], v41, v38
	v_cndmask_b32_e64 v41, v37, v41, s[30:31]
	v_lshlrev_b32_e32 v41, 2, v41
	;; [unrolled: 8-line block ×4, first 2 shown]
	ds_bpermute_b32 v51, v45, v36
	s_waitcnt lgkmcnt(0)
	v_max_f32_e32 v51, v51, v51
	v_max_f32_e32 v36, v36, v51
	v_xor_b32_e32 v51, 1, v37
	v_cmp_lt_i32_e64 s[30:31], v51, v38
	v_cndmask_b32_e64 v37, v37, v51, s[30:31]
	s_add_u32 s30, s40, s54
	s_addc_u32 s31, s41, s55
	s_add_u32 s39, s30, s42
	s_addc_u32 s40, s31, s43
	v_mov_b32_e32 v51, s40
	v_add_co_u32_e64 v2, s[30:31], s39, v2
	v_addc_co_u32_e64 v3, s[30:31], v51, v3, s[30:31]
	global_load_dword v51, v[2:3], off
	v_mov_b32_e32 v3, s40
	v_add_co_u32_e64 v2, s[30:31], s39, v4
	v_addc_co_u32_e64 v3, s[30:31], v3, v5, s[30:31]
	v_mov_b32_e32 v5, s40
	v_add_co_u32_e64 v4, s[30:31], s39, v6
	v_addc_co_u32_e64 v5, s[30:31], v5, v7, s[30:31]
	;; [unrolled: 3-line block ×7, first 2 shown]
	global_load_dword v16, v[2:3], off
	global_load_dword v17, v[4:5], off
	;; [unrolled: 1-line block ×6, first 2 shown]
	s_nop 0
	global_load_dword v14, v[14:15], off
	v_mov_b32_e32 v3, s40
	v_add_co_u32_e64 v2, s[30:31], s39, v18
	v_lshlrev_b32_e32 v37, 2, v37
	v_addc_co_u32_e64 v3, s[30:31], v3, v19, s[30:31]
	ds_bpermute_b32 v38, v37, v36
	v_mov_b32_e32 v5, s40
	v_add_co_u32_e64 v4, s[30:31], s39, v20
	v_addc_co_u32_e64 v5, s[30:31], v5, v21, s[30:31]
	v_mov_b32_e32 v7, s40
	v_add_co_u32_e64 v6, s[30:31], s39, v22
	v_addc_co_u32_e64 v7, s[30:31], v7, v23, s[30:31]
	;; [unrolled: 3-line block ×3, first 2 shown]
	s_waitcnt lgkmcnt(0)
	v_max_f32_e32 v15, v38, v38
	v_mov_b32_e32 v11, s40
	v_add_co_u32_e64 v10, s[30:31], s39, v26
	v_max_f32_e32 v15, v36, v15
	v_addc_co_u32_e64 v11, s[30:31], v11, v27, s[30:31]
	v_sub_f32_e32 v1, v1, v15
	v_mov_b32_e32 v13, s40
	v_add_co_u32_e64 v12, s[30:31], s39, v28
	s_mov_b32 s39, 0x3fb8aa3b
	v_mul_f32_e32 v18, 0x3fb8aa3b, v1
	v_addc_co_u32_e64 v13, s[30:31], v13, v29, s[30:31]
	v_fma_f32 v19, v1, s39, -v18
	v_rndne_f32_e32 v20, v18
	global_load_dword v2, v[2:3], off
	s_nop 0
	global_load_dword v3, v[4:5], off
	s_nop 0
	global_load_dword v4, v[6:7], off
	global_load_dword v5, v[8:9], off
	s_nop 0
	global_load_dword v6, v[10:11], off
	global_load_dword v7, v[12:13], off
	v_sub_f32_e32 v10, v46, v15
	v_fmac_f32_e32 v19, 0x32a5705f, v1
	v_sub_f32_e32 v18, v18, v20
	v_mul_f32_e32 v11, 0x3fb8aa3b, v10
	v_add_f32_e32 v18, v18, v19
	v_fma_f32 v12, v10, s39, -v11
	v_rndne_f32_e32 v13, v11
	v_exp_f32_e32 v18, v18
	v_cvt_i32_f32_e32 v19, v20
	v_fmac_f32_e32 v12, 0x32a5705f, v10
	v_sub_f32_e32 v11, v11, v13
	v_add_f32_e32 v11, v11, v12
	v_exp_f32_e32 v11, v11
	v_cvt_i32_f32_e32 v12, v13
	s_mov_b32 s40, 0xc2ce8ed0
	v_ldexp_f32 v8, v18, v19
	v_cmp_ngt_f32_e64 s[30:31], s40, v1
	s_mov_b32 s41, 0x42b17218
	v_cndmask_b32_e64 v8, 0, v8, s[30:31]
	v_mov_b32_e32 v9, 0x7f800000
	v_cmp_nlt_f32_e64 s[30:31], s41, v1
	v_cndmask_b32_e64 v1, v9, v8, s[30:31]
	v_ldexp_f32 v8, v11, v12
	v_sub_f32_e32 v11, v47, v15
	v_mul_f32_e32 v12, 0x3fb8aa3b, v11
	v_fma_f32 v13, v11, s39, -v12
	v_rndne_f32_e32 v18, v12
	v_fmac_f32_e32 v13, 0x32a5705f, v11
	v_sub_f32_e32 v12, v12, v18
	v_add_f32_e32 v12, v12, v13
	v_exp_f32_e32 v12, v12
	v_cvt_i32_f32_e32 v13, v18
	v_cndmask_b32_e64 v1, 0, v1, s[28:29]
	v_cmp_ngt_f32_e64 s[28:29], s40, v10
	v_cndmask_b32_e64 v8, 0, v8, s[28:29]
	v_cmp_nlt_f32_e64 s[28:29], s41, v10
	v_cndmask_b32_e64 v8, v9, v8, s[28:29]
	v_ldexp_f32 v10, v12, v13
	v_sub_f32_e32 v12, v48, v15
	v_cndmask_b32_e64 v8, 0, v8, s[26:27]
	v_mul_f32_e32 v13, 0x3fb8aa3b, v12
	s_waitcnt vmcnt(12)
	v_mul_f32_e32 v8, v16, v8
	v_fma_f32 v16, v12, s39, -v13
	v_rndne_f32_e32 v18, v13
	v_fmac_f32_e32 v16, 0x32a5705f, v12
	v_sub_f32_e32 v13, v13, v18
	v_add_f32_e32 v13, v13, v16
	v_exp_f32_e32 v13, v13
	v_cvt_i32_f32_e32 v16, v18
	v_cmp_ngt_f32_e64 s[26:27], s40, v11
	v_cndmask_b32_e64 v10, 0, v10, s[26:27]
	v_cmp_nlt_f32_e64 s[26:27], s41, v11
	v_cndmask_b32_e64 v10, v9, v10, s[26:27]
	v_ldexp_f32 v11, v13, v16
	v_sub_f32_e32 v13, v49, v15
	v_cndmask_b32_e64 v10, 0, v10, s[24:25]
	v_mul_f32_e32 v16, 0x3fb8aa3b, v13
	s_waitcnt vmcnt(11)
	v_mul_f32_e32 v10, v17, v10
	v_fma_f32 v17, v13, s39, -v16
	v_rndne_f32_e32 v18, v16
	v_fmac_f32_e32 v17, 0x32a5705f, v13
	v_sub_f32_e32 v16, v16, v18
	v_add_f32_e32 v16, v16, v17
	v_exp_f32_e32 v16, v16
	v_cvt_i32_f32_e32 v17, v18
	v_cmp_ngt_f32_e64 s[24:25], s40, v12
	v_cndmask_b32_e64 v11, 0, v11, s[24:25]
	v_cmp_nlt_f32_e64 s[24:25], s41, v12
	v_ldexp_f32 v12, v16, v17
	v_sub_f32_e32 v16, v50, v15
	v_mul_f32_e32 v17, 0x3fb8aa3b, v16
	v_fma_f32 v18, v16, s39, -v17
	v_rndne_f32_e32 v19, v17
	v_fmac_f32_e32 v18, 0x32a5705f, v16
	v_sub_f32_e32 v17, v17, v19
	v_add_f32_e32 v17, v17, v18
	v_exp_f32_e32 v17, v17
	v_cvt_i32_f32_e32 v18, v19
	v_cndmask_b32_e64 v11, v9, v11, s[24:25]
	v_cndmask_b32_e64 v11, 0, v11, s[22:23]
	v_cmp_ngt_f32_e64 s[22:23], s40, v13
	v_cndmask_b32_e64 v12, 0, v12, s[22:23]
	v_cmp_nlt_f32_e64 s[22:23], s41, v13
	v_ldexp_f32 v13, v17, v18
	v_sub_f32_e32 v17, v42, v15
	v_mul_f32_e32 v18, 0x3fb8aa3b, v17
	v_fma_f32 v19, v17, s39, -v18
	v_rndne_f32_e32 v20, v18
	v_fmac_f32_e32 v19, 0x32a5705f, v17
	v_sub_f32_e32 v18, v18, v20
	v_add_f32_e32 v18, v18, v19
	v_exp_f32_e32 v18, v18
	v_cvt_i32_f32_e32 v19, v20
	v_cndmask_b32_e64 v12, v9, v12, s[22:23]
	v_cndmask_b32_e64 v12, 0, v12, s[20:21]
	;; [unrolled: 15-line block ×3, first 2 shown]
	v_cmp_ngt_f32_e64 s[18:19], s40, v17
	v_cndmask_b32_e64 v16, 0, v16, s[18:19]
	v_cmp_nlt_f32_e64 s[18:19], s41, v17
	v_ldexp_f32 v17, v19, v20
	v_sub_f32_e32 v19, v30, v15
	v_mul_f32_e32 v20, 0x3fb8aa3b, v19
	v_fma_f32 v21, v19, s39, -v20
	v_rndne_f32_e32 v22, v20
	v_fmac_f32_e32 v21, 0x32a5705f, v19
	v_sub_f32_e32 v20, v20, v22
	v_cndmask_b32_e64 v16, v9, v16, s[18:19]
	v_add_f32_e32 v20, v20, v21
	v_cndmask_b32_e64 v16, 0, v16, s[16:17]
	v_cmp_ngt_f32_e64 s[16:17], s40, v18
	v_exp_f32_e32 v20, v20
	v_cvt_i32_f32_e32 v21, v22
	v_cndmask_b32_e64 v17, 0, v17, s[16:17]
	v_cmp_nlt_f32_e64 s[16:17], s41, v18
	v_cndmask_b32_e64 v17, v9, v17, s[16:17]
	v_cndmask_b32_e64 v17, 0, v17, s[14:15]
	v_sub_f32_e32 v18, v31, v15
	s_waitcnt vmcnt(6)
	v_mul_f32_e32 v14, v14, v17
	v_ldexp_f32 v17, v20, v21
	v_mul_f32_e32 v20, 0x3fb8aa3b, v18
	v_fma_f32 v21, v18, s39, -v20
	v_rndne_f32_e32 v22, v20
	v_fmac_f32_e32 v21, 0x32a5705f, v18
	v_sub_f32_e32 v20, v20, v22
	v_add_f32_e32 v20, v20, v21
	v_cmp_ngt_f32_e64 s[14:15], s40, v19
	v_exp_f32_e32 v20, v20
	v_cvt_i32_f32_e32 v21, v22
	v_cndmask_b32_e64 v17, 0, v17, s[14:15]
	v_cmp_nlt_f32_e64 s[14:15], s41, v19
	v_cndmask_b32_e64 v17, v9, v17, s[14:15]
	v_cndmask_b32_e64 v17, 0, v17, s[12:13]
	v_sub_f32_e32 v19, v32, v15
	s_waitcnt vmcnt(5)
	v_mul_f32_e32 v17, v2, v17
	v_ldexp_f32 v2, v20, v21
	v_mul_f32_e32 v20, 0x3fb8aa3b, v19
	v_fma_f32 v21, v19, s39, -v20
	v_rndne_f32_e32 v22, v20
	v_fmac_f32_e32 v21, 0x32a5705f, v19
	v_sub_f32_e32 v20, v20, v22
	v_add_f32_e32 v20, v20, v21
	;; [unrolled: 17-line block ×4, first 2 shown]
	v_exp_f32_e32 v20, v20
	v_cvt_i32_f32_e32 v21, v22
	v_cmp_ngt_f32_e64 s[8:9], s40, v18
	v_sub_f32_e32 v15, v35, v15
	v_cndmask_b32_e64 v2, 0, v2, s[8:9]
	v_cmp_nlt_f32_e64 s[8:9], s41, v18
	v_ldexp_f32 v18, v20, v21
	v_mul_f32_e32 v20, 0x3fb8aa3b, v15
	v_fma_f32 v21, v15, s39, -v20
	v_rndne_f32_e32 v22, v20
	v_fmac_f32_e32 v21, 0x32a5705f, v15
	v_sub_f32_e32 v20, v20, v22
	v_add_f32_e32 v20, v20, v21
	v_cndmask_b32_e64 v2, v9, v2, s[8:9]
	v_exp_f32_e32 v20, v20
	v_cvt_i32_f32_e32 v21, v22
	v_cndmask_b32_e64 v2, 0, v2, s[2:3]
	v_cmp_ngt_f32_e64 s[2:3], s40, v19
	v_cndmask_b32_e64 v18, 0, v18, s[2:3]
	v_cmp_nlt_f32_e64 s[2:3], s41, v19
	v_cndmask_b32_e64 v18, v9, v18, s[2:3]
	v_mul_f32_e32 v1, v51, v1
	v_cndmask_b32_e64 v18, 0, v18, s[0:1]
	v_ldexp_f32 v19, v20, v21
	v_cmp_ngt_f32_e64 s[0:1], s40, v15
	v_cndmask_b32_e64 v19, 0, v19, s[0:1]
	v_cmp_nlt_f32_e64 s[0:1], s41, v15
	v_add_f32_e32 v15, v1, v8
	v_mul_f32_e32 v11, v52, v11
	v_add_f32_e32 v15, v15, v10
	v_mul_f32_e32 v12, v53, v12
	;; [unrolled: 2-line block ×4, first 2 shown]
	v_add_f32_e32 v15, v15, v13
	v_add_f32_e32 v15, v15, v16
	;; [unrolled: 1-line block ×6, first 2 shown]
	v_cndmask_b32_e64 v9, v9, v19, s[0:1]
	s_waitcnt vmcnt(2)
	v_fmac_f32_e32 v15, v5, v2
	v_cndmask_b32_e32 v9, 0, v9, vcc
	s_waitcnt vmcnt(1)
	v_fmac_f32_e32 v15, v6, v18
	s_waitcnt vmcnt(0)
	v_fmac_f32_e32 v15, v7, v9
	ds_bpermute_b32 v19, v39, v15
	v_mul_f32_e32 v5, v5, v2
	v_mul_f32_e32 v7, v7, v9
	v_lshlrev_b32_e32 v9, 2, v0
	ds_write2st64_b32 v9, v1, v8 offset1:1
	ds_write2st64_b32 v9, v10, v11 offset0:2 offset1:3
	ds_write2st64_b32 v9, v12, v13 offset0:4 offset1:5
	;; [unrolled: 1-line block ×3, first 2 shown]
	s_waitcnt lgkmcnt(4)
	v_add_f32_e32 v15, v15, v19
	ds_bpermute_b32 v19, v40, v15
	v_cmp_eq_u32_e32 vcc, 0, v0
	v_mul_f32_e32 v6, v6, v18
	ds_write2st64_b32 v9, v17, v3 offset0:8 offset1:9
	ds_write2st64_b32 v9, v4, v5 offset0:10 offset1:11
	ds_write2st64_b32 v9, v6, v7 offset0:12 offset1:13
	s_waitcnt lgkmcnt(3)
	v_add_f32_e32 v15, v15, v19
	ds_bpermute_b32 v19, v41, v15
	s_waitcnt lgkmcnt(0)
	v_add_f32_e32 v15, v15, v19
	ds_bpermute_b32 v19, v44, v15
	;; [unrolled: 3-line block ×4, first 2 shown]
	s_and_saveexec_b64 s[0:1], vcc
	s_cbranch_execz .LBB225_8
; %bb.7:
	s_waitcnt lgkmcnt(0)
	v_add_f32_e32 v1, v1, v2
	v_mov_b32_e32 v2, 0
	ds_write_b32 v2, v1 offset:3584
.LBB225_8:
	s_or_b64 exec, exec, s[0:1]
	v_mov_b32_e32 v1, s38
.LBB225_9:
	s_or_b64 exec, exec, s[50:51]
	s_lshl_b32 s0, s52, 6
	s_mov_b32 s1, 0
	s_lshl_b64 s[0:1], s[0:1], 1
	s_add_u32 s0, s36, s0
	s_addc_u32 s1, s37, s1
	s_lshl_b32 s10, s33, 6
	s_waitcnt lgkmcnt(0)
	v_lshlrev_b32_e32 v2, 6, v1
	v_mov_b32_e32 v3, 0
	s_sub_i32 s11, s10, 64
	v_lshlrev_b64 v[4:5], 1, v[2:3]
	s_cmp_lt_i32 s56, 1
	v_mov_b32_e32 v1, s1
	v_add_co_u32_e32 v2, vcc, s0, v4
	s_cselect_b32 s0, s11, 0
	v_addc_co_u32_e32 v1, vcc, v1, v5, vcc
	v_lshlrev_b32_e32 v118, 1, v0
	s_ashr_i32 s1, s0, 31
	v_add_co_u32_e32 v0, vcc, v2, v118
	s_lshl_b64 s[0:1], s[0:1], 1
	v_addc_co_u32_e32 v1, vcc, 0, v1, vcc
	s_cmpk_lt_i32 s56, 0x101
	v_add_co_u32_e32 v4, vcc, s0, v0
	s_cselect_b32 s0, s11, 64
	v_mov_b32_e32 v2, s1
	s_ashr_i32 s1, s0, 31
	s_lshl_b64 s[0:1], s[0:1], 1
	v_addc_co_u32_e32 v5, vcc, v1, v2, vcc
	s_cmpk_lt_i32 s56, 0x201
	v_add_co_u32_e32 v6, vcc, s0, v0
	s_cselect_b32 s0, s11, 0x80
	v_mov_b32_e32 v2, s1
	s_ashr_i32 s1, s0, 31
	;; [unrolled: 7-line block ×8, first 2 shown]
	s_lshl_b64 s[0:1], s[0:1], 1
	v_addc_co_u32_e32 v19, vcc, v1, v2, vcc
	s_cmpk_lt_i32 s56, 0x901
	global_load_ushort v44, v[4:5], off
	global_load_ushort v43, v[6:7], off
	;; [unrolled: 1-line block ×8, first 2 shown]
	v_add_co_u32_e32 v4, vcc, s0, v0
	s_cselect_b32 s0, s11, 0x240
	v_mov_b32_e32 v5, s1
	s_ashr_i32 s1, s0, 31
	s_lshl_b64 s[0:1], s[0:1], 1
	v_addc_co_u32_e32 v5, vcc, v1, v5, vcc
	s_cmpk_lt_i32 s56, 0xa01
	v_add_co_u32_e32 v6, vcc, s0, v0
	s_cselect_b32 s0, s11, 0x280
	v_mov_b32_e32 v7, s1
	s_ashr_i32 s1, s0, 31
	s_lshl_b64 s[0:1], s[0:1], 1
	v_addc_co_u32_e32 v7, vcc, v1, v7, vcc
	s_cmpk_lt_i32 s56, 0xb01
	;; [unrolled: 7-line block ×6, first 2 shown]
	v_add_co_u32_e32 v16, vcc, s0, v0
	s_cselect_b32 s0, s11, 0x3c0
	v_mov_b32_e32 v17, s1
	s_ashr_i32 s1, s0, 31
	v_addc_co_u32_e32 v17, vcc, v1, v17, vcc
	s_lshl_b64 s[0:1], s[0:1], 1
	v_mov_b32_e32 v19, s1
	v_add_co_u32_e32 v18, vcc, s0, v0
	v_addc_co_u32_e32 v19, vcc, v1, v19, vcc
	global_load_ushort v51, v[4:5], off
	global_load_ushort v52, v[6:7], off
	;; [unrolled: 1-line block ×8, first 2 shown]
	s_cmpk_gt_i32 s56, 0x1000
	s_cselect_b64 s[8:9], -1, 0
	s_cmpk_lt_i32 s56, 0x1001
	v_mov_b32_e32 v61, 0
	v_mov_b32_e32 v62, 0
	;; [unrolled: 1-line block ×48, first 2 shown]
	s_waitcnt lgkmcnt(0)
	; wave barrier
	s_cbranch_scc1 .LBB225_12
; %bb.10:
	s_cmpk_lt_u32 s56, 0x1101
	s_cselect_b32 s0, s11, 0x440
	s_ashr_i32 s1, s0, 31
	s_lshl_b64 s[0:1], s[0:1], 1
	s_cmpk_lt_u32 s56, 0x1201
	v_add_co_u32_e32 v4, vcc, s0, v0
	s_cselect_b32 s0, s11, 0x480
	v_mov_b32_e32 v5, s1
	s_ashr_i32 s1, s0, 31
	s_lshl_b64 s[0:1], s[0:1], 1
	v_addc_co_u32_e32 v5, vcc, v1, v5, vcc
	s_cmpk_lt_u32 s56, 0x1301
	v_add_co_u32_e32 v6, vcc, s0, v0
	s_cselect_b32 s0, s11, 0x4c0
	v_mov_b32_e32 v7, s1
	s_ashr_i32 s1, s0, 31
	s_lshl_b64 s[0:1], s[0:1], 1
	v_addc_co_u32_e32 v7, vcc, v1, v7, vcc
	;; [unrolled: 7-line block ×7, first 2 shown]
	s_cmpk_lt_u32 s56, 0x1901
	global_load_ushort v60, v[0:1], off offset:2048
	global_load_ushort v59, v[4:5], off
	global_load_ushort v58, v[6:7], off
	;; [unrolled: 1-line block ×7, first 2 shown]
	v_add_co_u32_e32 v4, vcc, s0, v0
	s_cselect_b32 s0, s11, 0x640
	v_mov_b32_e32 v5, s1
	s_ashr_i32 s1, s0, 31
	s_lshl_b64 s[0:1], s[0:1], 1
	v_addc_co_u32_e32 v5, vcc, v1, v5, vcc
	s_cmpk_lt_u32 s56, 0x1a01
	v_add_co_u32_e32 v6, vcc, s0, v0
	s_cselect_b32 s0, s11, 0x680
	v_mov_b32_e32 v7, s1
	s_ashr_i32 s1, s0, 31
	s_lshl_b64 s[0:1], s[0:1], 1
	v_addc_co_u32_e32 v7, vcc, v1, v7, vcc
	s_cmpk_lt_u32 s56, 0x1b01
	;; [unrolled: 7-line block ×6, first 2 shown]
	v_add_co_u32_e32 v16, vcc, s0, v0
	s_cselect_b32 s0, s11, 0x7c0
	v_mov_b32_e32 v17, s1
	s_ashr_i32 s1, s0, 31
	v_addc_co_u32_e32 v17, vcc, v1, v17, vcc
	s_lshl_b64 s[0:1], s[0:1], 1
	v_mov_b32_e32 v19, s1
	v_add_co_u32_e32 v18, vcc, s0, v0
	v_addc_co_u32_e32 v19, vcc, v1, v19, vcc
	global_load_ushort v68, v[4:5], off
	global_load_ushort v67, v[6:7], off
	;; [unrolled: 1-line block ×8, first 2 shown]
	s_cmpk_lt_u32 s56, 0x2001
	v_mov_b32_e32 v35, 0
	v_mov_b32_e32 v33, 0
	;; [unrolled: 1-line block ×32, first 2 shown]
	s_cbranch_scc1 .LBB225_12
; %bb.11:
	s_cmpk_lt_u32 s56, 0x2101
	s_cselect_b32 s0, s11, 0x840
	s_ashr_i32 s1, s0, 31
	s_lshl_b64 s[0:1], s[0:1], 1
	s_cmpk_lt_u32 s56, 0x2201
	v_add_co_u32_e32 v4, vcc, s0, v0
	s_cselect_b32 s0, s11, 0x880
	v_mov_b32_e32 v5, s1
	s_ashr_i32 s1, s0, 31
	s_lshl_b64 s[0:1], s[0:1], 1
	v_addc_co_u32_e32 v5, vcc, v1, v5, vcc
	s_cmpk_lt_u32 s56, 0x2301
	v_add_co_u32_e32 v6, vcc, s0, v0
	s_cselect_b32 s0, s11, 0x8c0
	v_mov_b32_e32 v7, s1
	s_ashr_i32 s1, s0, 31
	s_lshl_b64 s[0:1], s[0:1], 1
	v_addc_co_u32_e32 v7, vcc, v1, v7, vcc
	;; [unrolled: 7-line block ×30, first 2 shown]
	v_mov_b32_e32 v69, s1
	s_movk_i32 s1, 0x1000
	v_add_co_u32_e32 v96, vcc, s1, v0
	v_addc_co_u32_e32 v97, vcc, 0, v1, vcc
	global_load_ushort v98, v[96:97], off
	global_load_ushort v99, v[4:5], off
	;; [unrolled: 1-line block ×15, first 2 shown]
                                        ; kill: killed $vgpr28 killed $vgpr29
                                        ; kill: killed $vgpr8 killed $vgpr9
                                        ; kill: killed $vgpr70 killed $vgpr71
                                        ; kill: killed $vgpr14 killed $vgpr15
                                        ; kill: killed $vgpr20 killed $vgpr21
                                        ; kill: killed $vgpr4 killed $vgpr5
                                        ; kill: killed $vgpr30 killed $vgpr31
                                        ; kill: killed $vgpr10 killed $vgpr11
                                        ; kill: killed $vgpr16 killed $vgpr17
                                        ; kill: killed $vgpr22 killed $vgpr23
                                        ; kill: killed $vgpr6 killed $vgpr7
                                        ; kill: killed $vgpr96 killed $vgpr97
                                        ; kill: killed $vgpr34 killed $vgpr35
                                        ; kill: killed $vgpr12 killed $vgpr13
                                        ; kill: killed $vgpr18 killed $vgpr19
	global_load_ushort v6, v[24:25], off
	global_load_ushort v7, v[26:27], off
	;; [unrolled: 1-line block ×15, first 2 shown]
                                        ; kill: killed $vgpr88 killed $vgpr89
                                        ; kill: killed $vgpr72 killed $vgpr73
                                        ; kill: killed $vgpr94 killed $vgpr95
                                        ; kill: killed $vgpr78 killed $vgpr79
                                        ; kill: killed $vgpr84 killed $vgpr85
                                        ; kill: killed $vgpr32 killed $vgpr33
                                        ; kill: killed $vgpr90 killed $vgpr91
                                        ; kill: killed $vgpr74 killed $vgpr75
                                        ; kill: killed $vgpr80 killed $vgpr81
                                        ; kill: killed $vgpr24 killed $vgpr25
                                        ; kill: killed $vgpr36 killed $vgpr37
                                        ; kill: killed $vgpr92 killed $vgpr93
                                        ; kill: killed $vgpr76 killed $vgpr77
                                        ; kill: killed $vgpr82 killed $vgpr83
                                        ; kill: killed $vgpr26 killed $vgpr27
	global_load_ushort v36, v[86:87], off
	v_add_co_u32_e32 v4, vcc, s0, v0
	v_addc_co_u32_e32 v5, vcc, v1, v69, vcc
	global_load_ushort v5, v[4:5], off
	s_waitcnt vmcnt(31)
	v_lshlrev_b32_e32 v35, 16, v98
	s_waitcnt vmcnt(30)
	v_lshlrev_b32_e32 v33, 16, v99
	;; [unrolled: 2-line block ×32, first 2 shown]
.LBB225_12:
	s_load_dwordx2 s[0:1], s[4:5], 0x0
	s_load_dwordx2 s[2:3], s[4:5], 0x38
	ds_read_b128 v[70:73], v3
	s_waitcnt vmcnt(15)
	v_lshlrev_b32_e32 v36, 16, v44
	ds_read_b128 v[74:77], v3 offset:16
	ds_read_b128 v[78:81], v3 offset:32
	;; [unrolled: 1-line block ×3, first 2 shown]
	s_waitcnt vmcnt(10)
	v_lshlrev_b32_e32 v37, 16, v40
	s_and_b64 vcc, exec, s[8:9]
	s_waitcnt lgkmcnt(0)
	v_fma_f32 v44, v70, v36, 0
	v_lshlrev_b32_e32 v36, 16, v43
	v_fmac_f32_e32 v44, v71, v36
	v_lshlrev_b32_e32 v36, 16, v42
	v_fmac_f32_e32 v44, v72, v36
	;; [unrolled: 2-line block ×3, first 2 shown]
	v_lshlrev_b32_e32 v36, 16, v39
	v_pk_mul_f32 v[36:37], v[74:75], v[36:37]
	v_add_f32_e32 v36, v44, v36
	v_add_f32_e32 v39, v36, v37
	s_waitcnt vmcnt(8)
	v_lshlrev_b32_e32 v37, 16, v38
	v_lshlrev_b32_e32 v36, 16, v2
	v_pk_mul_f32 v[36:37], v[76:77], v[36:37]
	v_add_f32_e32 v2, v39, v36
	v_add_f32_e32 v2, v2, v37
	s_waitcnt vmcnt(6)
	v_lshlrev_b32_e32 v37, 16, v52
	;; [unrolled: 6-line block ×5, first 2 shown]
	v_lshlrev_b32_e32 v36, 16, v45
	v_pk_mul_f32 v[36:37], v[84:85], v[36:37]
	v_add_f32_e32 v2, v2, v36
	v_add_f32_e32 v119, v2, v37
	s_cbranch_vccz .LBB225_15
; %bb.13:
	ds_read_b128 v[36:39], v3 offset:64
	v_lshlrev_b32_e32 v2, 16, v60
	ds_read_b128 v[40:43], v3 offset:80
	ds_read_b128 v[44:47], v3 offset:96
	ds_read_b128 v[48:51], v3 offset:112
	s_cmpk_lt_u32 s56, 0x2001
	s_waitcnt lgkmcnt(3)
	v_fmac_f32_e32 v119, v36, v2
	v_lshlrev_b32_e32 v2, 16, v59
	v_fmac_f32_e32 v119, v37, v2
	v_lshlrev_b32_e32 v2, 16, v58
	v_fmac_f32_e32 v119, v38, v2
	v_lshlrev_b32_e32 v2, 16, v57
	v_fmac_f32_e32 v119, v39, v2
	v_lshlrev_b32_e32 v2, 16, v56
	s_waitcnt lgkmcnt(2)
	v_fmac_f32_e32 v119, v40, v2
	v_lshlrev_b32_e32 v2, 16, v55
	v_fmac_f32_e32 v119, v41, v2
	v_lshlrev_b32_e32 v2, 16, v54
	v_fmac_f32_e32 v119, v42, v2
	v_lshlrev_b32_e32 v2, 16, v53
	v_fmac_f32_e32 v119, v43, v2
	v_lshlrev_b32_e32 v2, 16, v68
	s_waitcnt lgkmcnt(1)
	v_fmac_f32_e32 v119, v44, v2
	v_lshlrev_b32_e32 v2, 16, v67
	v_fmac_f32_e32 v119, v45, v2
	v_lshlrev_b32_e32 v2, 16, v66
	v_fmac_f32_e32 v119, v46, v2
	v_lshlrev_b32_e32 v2, 16, v65
	v_fmac_f32_e32 v119, v47, v2
	v_lshlrev_b32_e32 v2, 16, v64
	s_waitcnt lgkmcnt(0)
	v_fmac_f32_e32 v119, v48, v2
	v_lshlrev_b32_e32 v2, 16, v63
	v_fmac_f32_e32 v119, v49, v2
	v_lshlrev_b32_e32 v2, 16, v62
	;; [unrolled: 2-line block ×3, first 2 shown]
	v_fmac_f32_e32 v119, v51, v2
	s_cbranch_scc1 .LBB225_15
; %bb.14:
	v_mov_b32_e32 v52, 0
	ds_read_b128 v[36:39], v52 offset:128
	ds_read_b128 v[40:43], v52 offset:144
	;; [unrolled: 1-line block ×4, first 2 shown]
	s_waitcnt lgkmcnt(3)
	v_fmac_f32_e32 v119, v36, v35
	v_fmac_f32_e32 v119, v37, v33
	v_fmac_f32_e32 v119, v38, v34
	v_fmac_f32_e32 v119, v39, v31
	s_waitcnt lgkmcnt(2)
	v_fmac_f32_e32 v119, v40, v32
	v_fmac_f32_e32 v119, v41, v29
	v_fmac_f32_e32 v119, v42, v30
	v_fmac_f32_e32 v119, v43, v27
	;; [unrolled: 5-line block ×3, first 2 shown]
	s_waitcnt lgkmcnt(0)
	v_fmac_f32_e32 v119, v48, v24
	ds_read_b128 v[24:27], v52 offset:192
	v_fmac_f32_e32 v119, v49, v21
	v_fmac_f32_e32 v119, v50, v22
	;; [unrolled: 1-line block ×3, first 2 shown]
	ds_read_b128 v[20:23], v52 offset:208
	s_waitcnt lgkmcnt(1)
	v_fmac_f32_e32 v119, v24, v19
	v_fmac_f32_e32 v119, v25, v17
	;; [unrolled: 1-line block ×4, first 2 shown]
	s_waitcnt lgkmcnt(0)
	v_pk_mul_f32 v[2:3], v[20:21], v[14:15]
	ds_read_b128 v[14:17], v52 offset:224
	v_add_f32_e32 v2, v119, v2
	v_add_f32_e32 v18, v2, v3
	v_pk_mul_f32 v[2:3], v[22:23], v[12:13]
	v_add_f32_e32 v2, v18, v2
	ds_read_b128 v[18:21], v52 offset:240
	v_add_f32_e32 v12, v2, v3
	s_waitcnt lgkmcnt(1)
	v_pk_mul_f32 v[2:3], v[14:15], v[10:11]
	v_add_f32_e32 v2, v12, v2
	v_add_f32_e32 v10, v2, v3
	v_pk_mul_f32 v[2:3], v[16:17], v[8:9]
	v_add_f32_e32 v2, v10, v2
	v_add_f32_e32 v8, v2, v3
	s_waitcnt lgkmcnt(0)
	v_pk_mul_f32 v[2:3], v[18:19], v[6:7]
	v_add_f32_e32 v2, v8, v2
	v_add_f32_e32 v6, v2, v3
	v_pk_mul_f32 v[2:3], v[20:21], v[4:5]
	v_add_f32_e32 v2, v6, v2
	v_add_f32_e32 v119, v2, v3
.LBB225_15:
	s_movk_i32 s4, 0x1fc0
	s_movk_i32 s5, 0x100
	s_mov_b32 s8, 64
	s_branch .LBB225_17
.LBB225_16:                             ;   in Loop: Header=BB225_17 Depth=1
	s_addk_i32 s4, 0x1000
	s_addk_i32 s5, 0x100
	s_add_i32 s8, s8, 64
	s_cmpk_eq_u32 s4, 0xefc0
	s_cbranch_scc1 .LBB225_19
.LBB225_17:                             ; =>This Inner Loop Header: Depth=1
	s_cmp_le_i32 s33, s8
	s_cbranch_scc1 .LBB225_16
; %bb.18:                               ;   in Loop: Header=BB225_17 Depth=1
	s_add_i32 s9, s4, 0xfffff040
	s_cmp_lt_i32 s9, s10
	s_cselect_b32 s12, s9, s11
	s_ashr_i32 s13, s12, 31
	s_lshl_b64 s[12:13], s[12:13], 1
	s_add_i32 s9, s4, 0xfffff080
	s_cmp_lt_i32 s9, s10
	v_add_co_u32_e32 v4, vcc, s12, v0
	s_cselect_b32 s12, s9, s11
	v_mov_b32_e32 v2, s13
	s_ashr_i32 s13, s12, 31
	s_lshl_b64 s[12:13], s[12:13], 1
	s_add_i32 s9, s4, 0xfffff0c0
	v_addc_co_u32_e32 v5, vcc, v1, v2, vcc
	s_cmp_lt_i32 s9, s10
	v_add_co_u32_e32 v2, vcc, s12, v0
	s_cselect_b32 s12, s9, s11
	v_mov_b32_e32 v3, s13
	s_ashr_i32 s13, s12, 31
	s_lshl_b64 s[12:13], s[12:13], 1
	s_add_i32 s9, s4, 0xfffff100
	v_addc_co_u32_e32 v3, vcc, v1, v3, vcc
	;; [unrolled: 8-line block ×21, first 2 shown]
	s_cmp_lt_i32 s9, s10
	global_load_ushort v120, v[4:5], off
	global_load_ushort v122, v[6:7], off
	;; [unrolled: 1-line block ×4, first 2 shown]
	v_add_co_u32_e32 v44, vcc, s12, v0
	s_cselect_b32 s12, s9, s11
	v_mov_b32_e32 v45, s13
	s_ashr_i32 s13, s12, 31
	s_lshl_b64 s[12:13], s[12:13], 1
	s_add_i32 s9, s4, 0xfffff600
	v_addc_co_u32_e32 v45, vcc, v1, v45, vcc
	s_cmp_lt_i32 s9, s10
	v_add_co_u32_e32 v46, vcc, s12, v0
	s_cselect_b32 s12, s9, s11
	v_mov_b32_e32 v47, s13
	s_ashr_i32 s13, s12, 31
	s_lshl_b64 s[12:13], s[12:13], 1
	s_add_i32 s9, s4, 0xfffff640
	v_addc_co_u32_e32 v47, vcc, v1, v47, vcc
	s_cmp_lt_i32 s9, s10
	v_add_co_u32_e32 v48, vcc, s12, v0
	s_cselect_b32 s12, s9, s11
	v_mov_b32_e32 v49, s13
	s_ashr_i32 s13, s12, 31
	s_lshl_b64 s[12:13], s[12:13], 1
	s_add_i32 s9, s4, 0xfffff680
	v_addc_co_u32_e32 v49, vcc, v1, v49, vcc
	s_cmp_lt_i32 s9, s10
	v_add_co_u32_e32 v50, vcc, s12, v0
	s_cselect_b32 s12, s9, s11
	v_mov_b32_e32 v51, s13
	s_ashr_i32 s13, s12, 31
	s_lshl_b64 s[12:13], s[12:13], 1
	s_add_i32 s9, s4, 0xfffff6c0
	v_addc_co_u32_e32 v51, vcc, v1, v51, vcc
	s_cmp_lt_i32 s9, s10
	v_add_co_u32_e32 v52, vcc, s12, v0
	s_cselect_b32 s12, s9, s11
	v_mov_b32_e32 v53, s13
	s_ashr_i32 s13, s12, 31
	s_lshl_b64 s[12:13], s[12:13], 1
	s_add_i32 s9, s4, 0xfffff700
	v_addc_co_u32_e32 v53, vcc, v1, v53, vcc
	s_cmp_lt_i32 s9, s10
	v_add_co_u32_e32 v54, vcc, s12, v0
	s_cselect_b32 s12, s9, s11
	v_mov_b32_e32 v55, s13
	s_ashr_i32 s13, s12, 31
	s_lshl_b64 s[12:13], s[12:13], 1
	s_add_i32 s9, s4, 0xfffff740
	v_addc_co_u32_e32 v55, vcc, v1, v55, vcc
	s_cmp_lt_i32 s9, s10
	v_add_co_u32_e32 v56, vcc, s12, v0
	s_cselect_b32 s12, s9, s11
	v_mov_b32_e32 v57, s13
	s_ashr_i32 s13, s12, 31
	s_lshl_b64 s[12:13], s[12:13], 1
	s_add_i32 s9, s4, 0xfffff780
	v_addc_co_u32_e32 v57, vcc, v1, v57, vcc
	s_cmp_lt_i32 s9, s10
	v_add_co_u32_e32 v58, vcc, s12, v0
	s_cselect_b32 s12, s9, s11
	v_mov_b32_e32 v59, s13
	s_ashr_i32 s13, s12, 31
	s_lshl_b64 s[12:13], s[12:13], 1
	s_add_i32 s9, s4, 0xfffff7c0
	v_addc_co_u32_e32 v59, vcc, v1, v59, vcc
	s_cmp_lt_i32 s9, s10
	global_load_ushort v121, v[2:3], off
	v_add_co_u32_e32 v60, vcc, s12, v0
	s_cselect_b32 s12, s9, s11
	v_mov_b32_e32 v61, s13
	s_ashr_i32 s13, s12, 31
	s_lshl_b64 s[12:13], s[12:13], 1
	s_add_i32 s9, s4, 0xfffff800
	v_addc_co_u32_e32 v61, vcc, v1, v61, vcc
	s_cmp_lt_i32 s9, s10
	v_add_co_u32_e32 v62, vcc, s12, v0
	s_cselect_b32 s12, s9, s11
	global_load_ushort v125, v[12:13], off
	global_load_ushort v126, v[14:15], off
	v_mov_b32_e32 v63, s13
	s_ashr_i32 s13, s12, 31
	global_load_ushort v127, v[16:17], off
	global_load_ushort v128, v[18:19], off
	;; [unrolled: 1-line block ×3, first 2 shown]
	s_lshl_b64 s[12:13], s[12:13], 1
	s_add_i32 s9, s4, 0xfffff840
	v_addc_co_u32_e32 v63, vcc, v1, v63, vcc
	s_cmp_lt_i32 s9, s10
	v_add_co_u32_e32 v64, vcc, s12, v0
	s_cselect_b32 s12, s9, s11
	v_mov_b32_e32 v65, s13
	s_ashr_i32 s13, s12, 31
	s_lshl_b64 s[12:13], s[12:13], 1
	s_add_i32 s9, s4, 0xfffff880
	v_addc_co_u32_e32 v65, vcc, v1, v65, vcc
	s_cmp_lt_i32 s9, s10
	v_add_co_u32_e32 v66, vcc, s12, v0
	s_cselect_b32 s12, s9, s11
	v_mov_b32_e32 v67, s13
	s_ashr_i32 s13, s12, 31
	global_load_ushort v130, v[22:23], off
	global_load_ushort v131, v[24:25], off
	s_lshl_b64 s[12:13], s[12:13], 1
	s_add_i32 s9, s4, 0xfffff8c0
	v_addc_co_u32_e32 v67, vcc, v1, v67, vcc
	s_cmp_lt_i32 s9, s10
	global_load_ushort v132, v[26:27], off
	global_load_ushort v133, v[28:29], off
	v_add_co_u32_e32 v68, vcc, s12, v0
	s_cselect_b32 s12, s9, s11
	v_mov_b32_e32 v69, s13
	s_ashr_i32 s13, s12, 31
	s_lshl_b64 s[12:13], s[12:13], 1
	s_add_i32 s9, s4, 0xfffff900
	v_addc_co_u32_e32 v69, vcc, v1, v69, vcc
	s_cmp_lt_i32 s9, s10
	v_add_co_u32_e32 v70, vcc, s12, v0
	s_cselect_b32 s12, s9, s11
	v_mov_b32_e32 v71, s13
	s_ashr_i32 s13, s12, 31
	global_load_ushort v134, v[30:31], off
	global_load_ushort v135, v[32:33], off
	s_lshl_b64 s[12:13], s[12:13], 1
	s_add_i32 s9, s4, 0xfffff940
	v_addc_co_u32_e32 v71, vcc, v1, v71, vcc
	s_cmp_lt_i32 s9, s10
	v_add_co_u32_e32 v72, vcc, s12, v0
	s_cselect_b32 s12, s9, s11
	v_mov_b32_e32 v73, s13
	s_ashr_i32 s13, s12, 31
	s_lshl_b64 s[12:13], s[12:13], 1
	s_add_i32 s9, s4, 0xfffff980
	global_load_ushort v30, v[34:35], off
	global_load_ushort v31, v[36:37], off
	;; [unrolled: 1-line block ×4, first 2 shown]
	v_addc_co_u32_e32 v73, vcc, v1, v73, vcc
	s_cmp_lt_i32 s9, s10
	v_add_co_u32_e32 v74, vcc, s12, v0
	s_cselect_b32 s12, s9, s11
	v_mov_b32_e32 v75, s13
	s_ashr_i32 s13, s12, 31
	s_lshl_b64 s[12:13], s[12:13], 1
	s_add_i32 s9, s4, 0xfffff9c0
	v_addc_co_u32_e32 v75, vcc, v1, v75, vcc
	s_cmp_lt_i32 s9, s10
	v_add_co_u32_e32 v76, vcc, s12, v0
	s_cselect_b32 s12, s9, s11
	v_mov_b32_e32 v77, s13
	s_ashr_i32 s13, s12, 31
	s_lshl_b64 s[12:13], s[12:13], 1
	s_add_i32 s9, s4, 0xfffffa00
	v_addc_co_u32_e32 v77, vcc, v1, v77, vcc
	s_cmp_lt_i32 s9, s10
	v_add_co_u32_e32 v78, vcc, s12, v0
	s_cselect_b32 s12, s9, s11
	global_load_ushort v34, v[42:43], off
	global_load_ushort v35, v[44:45], off
	v_mov_b32_e32 v79, s13
	s_ashr_i32 s13, s12, 31
	s_lshl_b64 s[12:13], s[12:13], 1
	s_add_i32 s9, s4, 0xfffffa40
	v_addc_co_u32_e32 v79, vcc, v1, v79, vcc
	s_cmp_lt_i32 s9, s10
	v_add_co_u32_e32 v80, vcc, s12, v0
	s_cselect_b32 s12, s9, s11
	v_mov_b32_e32 v81, s13
	s_ashr_i32 s13, s12, 31
	global_load_ushort v38, v[46:47], off
	s_lshl_b64 s[12:13], s[12:13], 1
	s_add_i32 s9, s4, 0xfffffa80
	v_mov_b32_e32 v37, s5
	v_addc_co_u32_e32 v81, vcc, v1, v81, vcc
	s_cmp_lt_i32 s9, s10
	ds_read_b128 v[14:17], v37
	ds_read_b128 v[18:21], v37 offset:16
	global_load_ushort v39, v[48:49], off
	v_add_co_u32_e32 v82, vcc, s12, v0
	s_cselect_b32 s12, s9, s11
	v_mov_b32_e32 v83, s13
	s_ashr_i32 s13, s12, 31
	s_lshl_b64 s[12:13], s[12:13], 1
	s_add_i32 s9, s4, 0xfffffac0
	v_addc_co_u32_e32 v83, vcc, v1, v83, vcc
	s_cmp_lt_i32 s9, s10
	s_waitcnt vmcnt(23)
	v_lshlrev_b32_e32 v36, 16, v120
	v_add_co_u32_e32 v84, vcc, s12, v0
	s_cselect_b32 s12, s9, s11
	ds_read_b128 v[22:25], v37 offset:32
	ds_read_b128 v[26:29], v37 offset:48
	s_waitcnt lgkmcnt(3)
	v_fmac_f32_e32 v119, v14, v36
	global_load_ushort v36, v[50:51], off
	global_load_ushort v40, v[52:53], off
	;; [unrolled: 1-line block ×6, first 2 shown]
	v_mov_b32_e32 v85, s13
	s_ashr_i32 s13, s12, 31
	s_lshl_b64 s[12:13], s[12:13], 1
	s_add_i32 s9, s4, 0xfffffb00
	v_addc_co_u32_e32 v85, vcc, v1, v85, vcc
	s_cmp_lt_i32 s9, s10
	v_add_co_u32_e32 v86, vcc, s12, v0
	s_cselect_b32 s12, s9, s11
	v_mov_b32_e32 v87, s13
	s_ashr_i32 s13, s12, 31
	s_lshl_b64 s[12:13], s[12:13], 1
	s_add_i32 s9, s4, 0xfffffb40
	v_addc_co_u32_e32 v87, vcc, v1, v87, vcc
	s_cmp_lt_i32 s9, s10
	v_add_co_u32_e32 v88, vcc, s12, v0
	s_cselect_b32 s12, s9, s11
	;; [unrolled: 8-line block ×7, first 2 shown]
	v_mov_b32_e32 v99, s13
	s_ashr_i32 s13, s12, 31
	s_lshl_b64 s[12:13], s[12:13], 1
	s_add_i32 s9, s4, 0xfffffcc0
	v_addc_co_u32_e32 v99, vcc, v1, v99, vcc
	s_cmp_lt_i32 s9, s10
	s_waitcnt vmcnt(25)
	v_lshlrev_b32_e32 v14, 16, v121
	v_add_co_u32_e32 v100, vcc, s12, v0
	s_cselect_b32 s12, s9, s11
	v_fmac_f32_e32 v119, v15, v14
	v_lshlrev_b32_e32 v14, 16, v122
	v_mov_b32_e32 v101, s13
	s_ashr_i32 s13, s12, 31
	v_fmac_f32_e32 v119, v16, v14
	v_lshlrev_b32_e32 v14, 16, v123
	s_lshl_b64 s[12:13], s[12:13], 1
	s_add_i32 s9, s4, 0xfffffd00
	v_fmac_f32_e32 v119, v17, v14
	v_lshlrev_b32_e32 v14, 16, v124
	v_addc_co_u32_e32 v101, vcc, v1, v101, vcc
	s_cmp_lt_i32 s9, s10
	s_waitcnt lgkmcnt(2)
	v_fmac_f32_e32 v119, v18, v14
	s_waitcnt vmcnt(24)
	v_lshlrev_b32_e32 v14, 16, v125
	v_add_co_u32_e32 v102, vcc, s12, v0
	s_cselect_b32 s12, s9, s11
	v_fmac_f32_e32 v119, v19, v14
	s_waitcnt vmcnt(23)
	v_lshlrev_b32_e32 v14, 16, v126
	v_mov_b32_e32 v103, s13
	s_ashr_i32 s13, s12, 31
	v_fmac_f32_e32 v119, v20, v14
	s_waitcnt vmcnt(22)
	v_lshlrev_b32_e32 v14, 16, v127
	s_lshl_b64 s[12:13], s[12:13], 1
	s_add_i32 s9, s4, 0xfffffd40
	v_fmac_f32_e32 v119, v21, v14
	s_waitcnt vmcnt(21)
	v_lshlrev_b32_e32 v14, 16, v128
	v_addc_co_u32_e32 v103, vcc, v1, v103, vcc
	s_cmp_lt_i32 s9, s10
	s_waitcnt lgkmcnt(1)
	v_fmac_f32_e32 v119, v22, v14
	global_load_ushort v22, v[62:63], off
	v_add_co_u32_e32 v104, vcc, s12, v0
	s_cselect_b32 s12, s9, s11
	v_mov_b32_e32 v105, s13
	s_ashr_i32 s13, s12, 31
	s_lshl_b64 s[12:13], s[12:13], 1
	s_add_i32 s9, s4, 0xfffffd80
	s_waitcnt vmcnt(21)
	v_lshlrev_b32_e32 v14, 16, v129
	v_addc_co_u32_e32 v105, vcc, v1, v105, vcc
	s_cmp_lt_i32 s9, s10
	v_fmac_f32_e32 v119, v23, v14
	global_load_ushort v23, v[64:65], off
	v_add_co_u32_e32 v106, vcc, s12, v0
	s_cselect_b32 s12, s9, s11
	s_waitcnt vmcnt(21)
	v_lshlrev_b32_e32 v14, 16, v130
	global_load_ushort v45, v[66:67], off
	v_mov_b32_e32 v107, s13
	s_ashr_i32 s13, s12, 31
	v_fmac_f32_e32 v119, v24, v14
	global_load_ushort v24, v[68:69], off
	s_waitcnt vmcnt(22)
	v_lshlrev_b32_e32 v14, 16, v131
	s_lshl_b64 s[12:13], s[12:13], 1
	s_add_i32 s9, s4, 0xfffffdc0
	v_fmac_f32_e32 v119, v25, v14
	global_load_ushort v25, v[70:71], off
	global_load_ushort v46, v[72:73], off
	v_addc_co_u32_e32 v107, vcc, v1, v107, vcc
	s_cmp_lt_i32 s9, s10
	s_waitcnt vmcnt(23)
	v_lshlrev_b32_e32 v14, 16, v132
	v_add_co_u32_e32 v110, vcc, s12, v0
	s_cselect_b32 s12, s9, s11
	s_waitcnt lgkmcnt(0)
	v_fmac_f32_e32 v119, v26, v14
	global_load_ushort v26, v[74:75], off
	global_load_ushort v47, v[76:77], off
	v_mov_b32_e32 v108, s13
	s_ashr_i32 s13, s12, 31
	s_waitcnt vmcnt(24)
	v_lshlrev_b32_e32 v14, 16, v133
	s_lshl_b64 s[12:13], s[12:13], 1
	s_add_i32 s9, s4, 0xfffffe00
	v_fmac_f32_e32 v119, v27, v14
	global_load_ushort v27, v[78:79], off
	v_addc_co_u32_e32 v111, vcc, v1, v108, vcc
	s_cmp_lt_i32 s9, s10
	v_add_co_u32_e32 v108, vcc, s12, v0
	s_cselect_b32 s12, s9, s11
	s_waitcnt vmcnt(24)
	v_lshlrev_b32_e32 v14, 16, v134
	v_mov_b32_e32 v109, s13
	s_ashr_i32 s13, s12, 31
	v_fmac_f32_e32 v119, v28, v14
	global_load_ushort v28, v[80:81], off
	s_waitcnt vmcnt(24)
	v_lshlrev_b32_e32 v14, 16, v135
	s_lshl_b64 s[12:13], s[12:13], 1
	s_add_i32 s9, s4, 0xfffffe40
	v_fmac_f32_e32 v119, v29, v14
	ds_read_b128 v[14:17], v37 offset:64
	ds_read_b128 v[18:21], v37 offset:80
	v_addc_co_u32_e32 v109, vcc, v1, v109, vcc
	s_cmp_lt_i32 s9, s10
	global_load_ushort v48, v[82:83], off
	global_load_ushort v29, v[84:85], off
	global_load_ushort v49, v[86:87], off
	global_load_ushort v50, v[88:89], off
	v_add_co_u32_e32 v114, vcc, s12, v0
	s_cselect_b32 s12, s9, s11
	v_mov_b32_e32 v112, s13
	s_ashr_i32 s13, s12, 31
	s_lshl_b64 s[12:13], s[12:13], 1
	s_add_i32 s9, s4, 0xfffffe80
	s_waitcnt vmcnt(27)
	v_lshlrev_b32_e32 v30, 16, v30
	v_addc_co_u32_e32 v115, vcc, v1, v112, vcc
	s_cmp_lt_i32 s9, s10
	s_waitcnt lgkmcnt(1)
	v_fmac_f32_e32 v119, v14, v30
	global_load_ushort v30, v[90:91], off
	v_add_co_u32_e32 v112, vcc, s12, v0
	s_cselect_b32 s12, s9, s11
	s_waitcnt vmcnt(27)
	v_lshlrev_b32_e32 v14, 16, v31
	global_load_ushort v31, v[92:93], off
	global_load_ushort v51, v[94:95], off
	v_mov_b32_e32 v113, s13
	s_ashr_i32 s13, s12, 31
	s_lshl_b64 s[12:13], s[12:13], 1
	s_add_i32 s9, s4, 0xfffffec0
	v_addc_co_u32_e32 v113, vcc, v1, v113, vcc
	s_cmp_lt_i32 s9, s10
	v_add_co_u32_e32 v116, vcc, s12, v0
	s_cselect_b32 s12, s9, s11
	v_mov_b32_e32 v117, s13
	s_ashr_i32 s13, s12, 31
	v_fmac_f32_e32 v119, v15, v14
	s_waitcnt vmcnt(28)
	v_lshlrev_b32_e32 v14, 16, v32
	global_load_ushort v32, v[96:97], off
	s_lshl_b64 s[12:13], s[12:13], 1
	s_add_i32 s9, s4, 0xffffff00
	v_fmac_f32_e32 v119, v16, v14
	s_waitcnt vmcnt(28)
	v_lshlrev_b32_e32 v14, 16, v33
	global_load_ushort v33, v[98:99], off
	v_addc_co_u32_e32 v117, vcc, v1, v117, vcc
	s_cmp_lt_i32 s9, s10
	v_fmac_f32_e32 v119, v17, v14
	s_waitcnt vmcnt(28)
	v_lshlrev_b32_e32 v14, 16, v34
	global_load_ushort v34, v[100:101], off
	global_load_ushort v52, v[102:103], off
	v_add_co_u32_e32 v2, vcc, s12, v0
	s_cselect_b32 s12, s9, s11
	v_mov_b32_e32 v4, s13
	s_ashr_i32 s13, s12, 31
	s_lshl_b64 s[12:13], s[12:13], 1
	s_add_i32 s9, s4, 0xffffff40
	s_waitcnt lgkmcnt(0)
	v_fmac_f32_e32 v119, v18, v14
	s_waitcnt vmcnt(29)
	v_lshlrev_b32_e32 v14, 16, v35
	global_load_ushort v35, v[104:105], off
	global_load_ushort v53, v[106:107], off
	;; [unrolled: 1-line block ×3, first 2 shown]
	v_addc_co_u32_e32 v3, vcc, v1, v4, vcc
	s_cmp_lt_i32 s9, s10
	v_add_co_u32_e32 v4, vcc, s12, v0
	s_cselect_b32 s12, s9, s11
	v_mov_b32_e32 v5, s13
	s_ashr_i32 s13, s12, 31
	v_fmac_f32_e32 v119, v19, v14
	s_waitcnt vmcnt(31)
	v_lshlrev_b32_e32 v14, 16, v38
	global_load_ushort v38, v[108:109], off
	global_load_ushort v55, v[114:115], off
	s_lshl_b64 s[12:13], s[12:13], 1
	s_add_i32 s9, s4, 0xffffff80
	v_addc_co_u32_e32 v5, vcc, v1, v5, vcc
	s_cmp_lt_i32 s9, s10
	v_fmac_f32_e32 v119, v20, v14
	s_waitcnt vmcnt(32)
	v_lshlrev_b32_e32 v14, 16, v39
	v_add_co_u32_e32 v6, vcc, s12, v0
	s_cselect_b32 s12, s9, s11
	v_fmac_f32_e32 v119, v21, v14
	ds_read_b128 v[14:17], v37 offset:96
	v_mov_b32_e32 v7, s13
	s_ashr_i32 s13, s12, 31
	s_lshl_b64 s[12:13], s[12:13], 1
	s_sub_i32 s9, s4, 64
	v_addc_co_u32_e32 v7, vcc, v1, v7, vcc
	s_cmp_lt_i32 s9, s10
	global_load_ushort v39, v[112:113], off
	global_load_ushort v56, v[116:117], off
	v_add_co_u32_e32 v10, vcc, s12, v0
	s_cselect_b32 s12, s9, s11
	s_waitcnt vmcnt(33)
	v_lshlrev_b32_e32 v36, 16, v36
	v_mov_b32_e32 v8, s13
	s_ashr_i32 s13, s12, 31
	s_waitcnt lgkmcnt(0)
	v_fmac_f32_e32 v119, v14, v36
	s_waitcnt vmcnt(32)
	v_lshlrev_b32_e32 v14, 16, v40
	s_lshl_b64 s[12:13], s[12:13], 1
	ds_read_b128 v[18:21], v37 offset:112
	v_fmac_f32_e32 v119, v15, v14
	global_load_ushort v14, v[2:3], off
	global_load_ushort v15, v[4:5], off
	v_addc_co_u32_e32 v11, vcc, v1, v8, vcc
	s_cmp_lt_i32 s4, s10
	v_add_co_u32_e32 v8, vcc, s12, v0
	s_cselect_b32 s12, s4, s11
	s_waitcnt vmcnt(33)
	v_lshlrev_b32_e32 v2, 16, v41
	v_mov_b32_e32 v9, s13
	s_ashr_i32 s13, s12, 31
	v_fmac_f32_e32 v119, v16, v2
	global_load_ushort v16, v[6:7], off
	global_load_ushort v36, v[10:11], off
	v_addc_co_u32_e32 v9, vcc, v1, v9, vcc
	s_lshl_b64 s[12:13], s[12:13], 1
	s_waitcnt vmcnt(34)
	v_lshlrev_b32_e32 v2, 16, v42
	v_mov_b32_e32 v13, s13
	v_add_co_u32_e32 v12, vcc, s12, v0
	v_fmac_f32_e32 v119, v17, v2
	s_waitcnt vmcnt(33)
	v_lshlrev_b32_e32 v2, 16, v43
	v_addc_co_u32_e32 v13, vcc, v1, v13, vcc
	s_waitcnt lgkmcnt(0)
	v_fmac_f32_e32 v119, v18, v2
	global_load_ushort v17, v[8:9], off
	global_load_ushort v18, v[12:13], off
	s_waitcnt vmcnt(34)
	v_lshlrev_b32_e32 v2, 16, v44
	v_fmac_f32_e32 v119, v19, v2
	s_waitcnt vmcnt(33)
	v_lshlrev_b32_e32 v2, 16, v22
	v_fmac_f32_e32 v119, v20, v2
	ds_read_b128 v[2:5], v37 offset:128
	s_waitcnt vmcnt(32)
	v_lshlrev_b32_e32 v6, 16, v23
	v_fmac_f32_e32 v119, v21, v6
	ds_read_b128 v[6:9], v37 offset:144
	s_waitcnt vmcnt(31)
	v_lshlrev_b32_e32 v10, 16, v45
	s_waitcnt lgkmcnt(1)
	v_fmac_f32_e32 v119, v2, v10
	s_waitcnt vmcnt(30)
	v_lshlrev_b32_e32 v2, 16, v24
	v_fmac_f32_e32 v119, v3, v2
	s_waitcnt vmcnt(29)
	v_lshlrev_b32_e32 v2, 16, v25
	;; [unrolled: 3-line block ×4, first 2 shown]
	s_waitcnt lgkmcnt(0)
	v_fmac_f32_e32 v119, v6, v2
	s_waitcnt vmcnt(26)
	v_lshlrev_b32_e32 v2, 16, v47
	v_fmac_f32_e32 v119, v7, v2
	s_waitcnt vmcnt(25)
	v_lshlrev_b32_e32 v2, 16, v27
	v_fmac_f32_e32 v119, v8, v2
	ds_read_b128 v[2:5], v37 offset:160
	s_waitcnt vmcnt(24)
	v_lshlrev_b32_e32 v6, 16, v28
	v_fmac_f32_e32 v119, v9, v6
	ds_read_b128 v[6:9], v37 offset:176
	s_waitcnt vmcnt(23)
	v_lshlrev_b32_e32 v10, 16, v48
	s_waitcnt lgkmcnt(1)
	v_fmac_f32_e32 v119, v2, v10
	s_waitcnt vmcnt(22)
	v_lshlrev_b32_e32 v2, 16, v29
	v_fmac_f32_e32 v119, v3, v2
	s_waitcnt vmcnt(21)
	v_lshlrev_b32_e32 v2, 16, v49
	;; [unrolled: 3-line block ×4, first 2 shown]
	s_waitcnt lgkmcnt(0)
	v_fmac_f32_e32 v119, v6, v2
	s_waitcnt vmcnt(18)
	v_lshlrev_b32_e32 v2, 16, v31
	v_fmac_f32_e32 v119, v7, v2
	s_waitcnt vmcnt(17)
	v_lshlrev_b32_e32 v2, 16, v51
	v_fmac_f32_e32 v119, v8, v2
	ds_read_b128 v[2:5], v37 offset:192
	s_waitcnt vmcnt(16)
	v_lshlrev_b32_e32 v6, 16, v32
	v_fmac_f32_e32 v119, v9, v6
	ds_read_b128 v[6:9], v37 offset:208
	s_waitcnt vmcnt(15)
	v_lshlrev_b32_e32 v10, 16, v33
	s_waitcnt lgkmcnt(1)
	v_fmac_f32_e32 v119, v2, v10
	s_waitcnt vmcnt(14)
	v_lshlrev_b32_e32 v2, 16, v34
	v_fmac_f32_e32 v119, v3, v2
	s_waitcnt vmcnt(13)
	v_lshlrev_b32_e32 v2, 16, v52
	;; [unrolled: 3-line block ×4, first 2 shown]
	v_lshlrev_b32_e32 v2, 16, v53
	s_waitcnt lgkmcnt(0)
	v_pk_mul_f32 v[2:3], v[6:7], v[2:3]
	v_add_f32_e32 v2, v119, v2
	v_add_f32_e32 v4, v2, v3
	s_waitcnt vmcnt(8)
	v_lshlrev_b32_e32 v3, 16, v55
	v_lshlrev_b32_e32 v2, 16, v38
	v_pk_mul_f32 v[6:7], v[8:9], v[2:3]
	v_add_f32_e32 v6, v4, v6
	ds_read_b128 v[2:5], v37 offset:224
	s_waitcnt vmcnt(6)
	v_lshlrev_b32_e32 v11, 16, v56
	v_lshlrev_b32_e32 v10, 16, v39
	v_add_f32_e32 v12, v6, v7
	ds_read_b128 v[6:9], v37 offset:240
	s_waitcnt lgkmcnt(1)
	v_pk_mul_f32 v[2:3], v[2:3], v[10:11]
	v_add_f32_e32 v2, v12, v2
	v_add_f32_e32 v10, v2, v3
	s_waitcnt vmcnt(4)
	v_lshlrev_b32_e32 v3, 16, v15
	v_lshlrev_b32_e32 v2, 16, v14
	v_pk_mul_f32 v[2:3], v[4:5], v[2:3]
	v_add_f32_e32 v2, v10, v2
	v_add_f32_e32 v4, v2, v3
	s_waitcnt vmcnt(2)
	v_lshlrev_b32_e32 v3, 16, v36
	v_lshlrev_b32_e32 v2, 16, v16
	s_waitcnt lgkmcnt(0)
	v_pk_mul_f32 v[2:3], v[6:7], v[2:3]
	v_add_f32_e32 v2, v4, v2
	v_add_f32_e32 v4, v2, v3
	s_waitcnt vmcnt(0)
	v_lshlrev_b32_e32 v3, 16, v18
	v_lshlrev_b32_e32 v2, 16, v17
	v_pk_mul_f32 v[2:3], v[8:9], v[2:3]
	v_add_f32_e32 v2, v4, v2
	v_add_f32_e32 v119, v2, v3
	s_branch .LBB225_16
.LBB225_19:
	v_mov_b32_e32 v0, 0
	ds_read_b32 v0, v0 offset:3584
	s_cmp_lg_u64 s[2:3], 0
	s_cbranch_scc0 .LBB225_28
; %bb.20:
	s_load_dword s4, s[2:3], 0x0
	s_waitcnt lgkmcnt(0)
	v_div_scale_f32 v1, s[2:3], s4, s4, 1.0
	v_rcp_f32_e32 v2, v1
	v_div_scale_f32 v3, vcc, 1.0, s4, 1.0
	v_fma_f32 v4, -v1, v2, 1.0
	v_fmac_f32_e32 v2, v4, v2
	v_mul_f32_e32 v4, v3, v2
	v_fma_f32 v5, -v1, v4, v3
	v_fmac_f32_e32 v4, v5, v2
	v_fma_f32 v1, -v1, v4, v3
	v_div_fmas_f32 v1, v1, v2, v4
	v_div_fixup_f32 v1, v1, s4, 1.0
	s_andn2_b64 vcc, exec, s[46:47]
	s_cbranch_vccnz .LBB225_22
.LBB225_21:
	s_add_u32 s2, s44, s48
	s_addc_u32 s3, s45, s49
	s_load_dword s34, s[2:3], 0x0
	s_mov_b32 s35, 0
.LBB225_22:
	s_waitcnt lgkmcnt(0)
	v_add_f32_e32 v0, 0x358637bd, v0
	v_div_scale_f32 v2, s[2:3], v0, v0, 1.0
	v_rcp_f32_e32 v3, v2
	v_div_scale_f32 v4, vcc, 1.0, v0, 1.0
	s_mov_b32 s2, 0x7f800000
	v_fma_f32 v5, -v2, v3, 1.0
	v_fmac_f32_e32 v3, v5, v3
	v_mul_f32_e32 v5, v4, v3
	v_fma_f32 v6, -v2, v5, v4
	v_fmac_f32_e32 v5, v6, v3
	v_fma_f32 v2, -v2, v5, v4
	v_div_fmas_f32 v2, v2, v3, v5
	v_div_fixup_f32 v0, v2, v0, 1.0
	v_mul_f32_e32 v0, v119, v0
	v_mul_f32_e32 v1, v0, v1
	v_and_b32_e32 v0, 0x7f800000, v1
	v_cmp_ne_u32_e32 vcc, s2, v0
                                        ; implicit-def: $vgpr0
	s_and_saveexec_b64 s[2:3], vcc
	s_xor_b64 s[2:3], exec, s[2:3]
; %bb.23:
	v_bfe_u32 v0, v1, 16, 1
	s_movk_i32 s4, 0x7fff
	v_add3_u32 v0, v1, v0, s4
                                        ; implicit-def: $vgpr1
; %bb.24:
	s_andn2_saveexec_b64 s[2:3], s[2:3]
; %bb.25:
	v_mov_b32_e32 v0, 0
	v_or_b32_e32 v2, 0x10000, v1
	v_cmp_eq_u32_sdwa vcc, v1, v0 src0_sel:WORD_0 src1_sel:DWORD
	v_cndmask_b32_e32 v0, v2, v1, vcc
; %bb.26:
	s_or_b64 exec, exec, s[2:3]
	s_mul_i32 s2, s7, s35
	s_mul_hi_u32 s3, s7, s34
	s_add_i32 s3, s3, s2
	s_mul_i32 s2, s7, s34
	s_lshl_b64 s[2:3], s[2:3], 7
	s_add_u32 s2, s0, s2
	s_mov_b32 s7, 0
	s_addc_u32 s3, s1, s3
	s_lshl_b64 s[0:1], s[6:7], 7
	s_add_u32 s0, s2, s0
	s_addc_u32 s1, s3, s1
	global_store_short_d16_hi v118, v0, s[0:1]
	s_endpgm
.LBB225_27:
	s_mov_b64 s[2:3], 0
	s_branch .LBB225_2
.LBB225_28:
	v_mov_b32_e32 v1, 1.0
	s_andn2_b64 vcc, exec, s[46:47]
	s_cbranch_vccz .LBB225_21
	s_branch .LBB225_22
	.section	.rodata,"a",@progbits
	.p2align	6, 0x0
	.amdhsa_kernel _Z35paged_attention_ll4mi_reduce_kernelI14__hip_bfloat16S0_Li64ELi64ELi256ELi14EEvPT0_PKfS4_PKT_PKiS9_iS4_
		.amdhsa_group_segment_fixed_size 3588
		.amdhsa_private_segment_fixed_size 0
		.amdhsa_kernarg_size 320
		.amdhsa_user_sgpr_count 6
		.amdhsa_user_sgpr_private_segment_buffer 1
		.amdhsa_user_sgpr_dispatch_ptr 0
		.amdhsa_user_sgpr_queue_ptr 0
		.amdhsa_user_sgpr_kernarg_segment_ptr 1
		.amdhsa_user_sgpr_dispatch_id 0
		.amdhsa_user_sgpr_flat_scratch_init 0
		.amdhsa_user_sgpr_kernarg_preload_length 0
		.amdhsa_user_sgpr_kernarg_preload_offset 0
		.amdhsa_user_sgpr_private_segment_size 0
		.amdhsa_uses_dynamic_stack 0
		.amdhsa_system_sgpr_private_segment_wavefront_offset 0
		.amdhsa_system_sgpr_workgroup_id_x 1
		.amdhsa_system_sgpr_workgroup_id_y 1
		.amdhsa_system_sgpr_workgroup_id_z 0
		.amdhsa_system_sgpr_workgroup_info 0
		.amdhsa_system_vgpr_workitem_id 0
		.amdhsa_next_free_vgpr 136
		.amdhsa_next_free_sgpr 57
		.amdhsa_accum_offset 136
		.amdhsa_reserve_vcc 1
		.amdhsa_reserve_flat_scratch 0
		.amdhsa_float_round_mode_32 0
		.amdhsa_float_round_mode_16_64 0
		.amdhsa_float_denorm_mode_32 3
		.amdhsa_float_denorm_mode_16_64 3
		.amdhsa_dx10_clamp 1
		.amdhsa_ieee_mode 1
		.amdhsa_fp16_overflow 0
		.amdhsa_tg_split 0
		.amdhsa_exception_fp_ieee_invalid_op 0
		.amdhsa_exception_fp_denorm_src 0
		.amdhsa_exception_fp_ieee_div_zero 0
		.amdhsa_exception_fp_ieee_overflow 0
		.amdhsa_exception_fp_ieee_underflow 0
		.amdhsa_exception_fp_ieee_inexact 0
		.amdhsa_exception_int_div_zero 0
	.end_amdhsa_kernel
	.section	.text._Z35paged_attention_ll4mi_reduce_kernelI14__hip_bfloat16S0_Li64ELi64ELi256ELi14EEvPT0_PKfS4_PKT_PKiS9_iS4_,"axG",@progbits,_Z35paged_attention_ll4mi_reduce_kernelI14__hip_bfloat16S0_Li64ELi64ELi256ELi14EEvPT0_PKfS4_PKT_PKiS9_iS4_,comdat
.Lfunc_end225:
	.size	_Z35paged_attention_ll4mi_reduce_kernelI14__hip_bfloat16S0_Li64ELi64ELi256ELi14EEvPT0_PKfS4_PKT_PKiS9_iS4_, .Lfunc_end225-_Z35paged_attention_ll4mi_reduce_kernelI14__hip_bfloat16S0_Li64ELi64ELi256ELi14EEvPT0_PKfS4_PKT_PKiS9_iS4_
                                        ; -- End function
	.section	.AMDGPU.csdata,"",@progbits
; Kernel info:
; codeLenInByte = 11796
; NumSgprs: 61
; NumVgprs: 136
; NumAgprs: 0
; TotalNumVgprs: 136
; ScratchSize: 0
; MemoryBound: 0
; FloatMode: 240
; IeeeMode: 1
; LDSByteSize: 3588 bytes/workgroup (compile time only)
; SGPRBlocks: 7
; VGPRBlocks: 16
; NumSGPRsForWavesPerEU: 61
; NumVGPRsForWavesPerEU: 136
; AccumOffset: 136
; Occupancy: 3
; WaveLimiterHint : 1
; COMPUTE_PGM_RSRC2:SCRATCH_EN: 0
; COMPUTE_PGM_RSRC2:USER_SGPR: 6
; COMPUTE_PGM_RSRC2:TRAP_HANDLER: 0
; COMPUTE_PGM_RSRC2:TGID_X_EN: 1
; COMPUTE_PGM_RSRC2:TGID_Y_EN: 1
; COMPUTE_PGM_RSRC2:TGID_Z_EN: 0
; COMPUTE_PGM_RSRC2:TIDIG_COMP_CNT: 0
; COMPUTE_PGM_RSRC3_GFX90A:ACCUM_OFFSET: 33
; COMPUTE_PGM_RSRC3_GFX90A:TG_SPLIT: 0
	.section	.text._Z35paged_attention_ll4mi_reduce_kernelI14__hip_bfloat16S0_Li64ELi64ELi256ELi15EEvPT0_PKfS4_PKT_PKiS9_iS4_,"axG",@progbits,_Z35paged_attention_ll4mi_reduce_kernelI14__hip_bfloat16S0_Li64ELi64ELi256ELi15EEvPT0_PKfS4_PKT_PKiS9_iS4_,comdat
	.protected	_Z35paged_attention_ll4mi_reduce_kernelI14__hip_bfloat16S0_Li64ELi64ELi256ELi15EEvPT0_PKfS4_PKT_PKiS9_iS4_ ; -- Begin function _Z35paged_attention_ll4mi_reduce_kernelI14__hip_bfloat16S0_Li64ELi64ELi256ELi15EEvPT0_PKfS4_PKT_PKiS9_iS4_
	.globl	_Z35paged_attention_ll4mi_reduce_kernelI14__hip_bfloat16S0_Li64ELi64ELi256ELi15EEvPT0_PKfS4_PKT_PKiS9_iS4_
	.p2align	8
	.type	_Z35paged_attention_ll4mi_reduce_kernelI14__hip_bfloat16S0_Li64ELi64ELi256ELi15EEvPT0_PKfS4_PKT_PKiS9_iS4_,@function
_Z35paged_attention_ll4mi_reduce_kernelI14__hip_bfloat16S0_Li64ELi64ELi256ELi15EEvPT0_PKfS4_PKT_PKiS9_iS4_: ; @_Z35paged_attention_ll4mi_reduce_kernelI14__hip_bfloat16S0_Li64ELi64ELi256ELi15EEvPT0_PKfS4_PKT_PKiS9_iS4_
; %bb.0:
	s_load_dwordx2 s[46:47], s[4:5], 0x28
	s_mov_b32 s44, s7
	s_mov_b64 s[0:1], 0
	s_waitcnt lgkmcnt(0)
	s_cmp_lg_u64 s[46:47], 0
	s_cselect_b64 s[48:49], -1, 0
	s_and_b64 vcc, exec, s[48:49]
	s_cbranch_vccz .LBB226_27
; %bb.1:
	s_add_i32 s2, s44, 1
	s_mov_b32 s3, 0
	s_lshl_b64 s[8:9], s[2:3], 2
	s_add_u32 s8, s46, s8
	s_mov_b32 s45, s3
	s_addc_u32 s9, s47, s9
	s_lshl_b64 s[2:3], s[44:45], 2
	s_add_u32 s2, s46, s2
	s_addc_u32 s3, s47, s3
	s_load_dword s7, s[8:9], 0x0
	s_load_dword s10, s[2:3], 0x0
	s_waitcnt lgkmcnt(0)
	s_sub_i32 s2, s7, s10
	s_cmp_eq_u32 s2, 1
	s_cselect_b64 s[2:3], -1, 0
	s_andn2_b64 vcc, exec, s[0:1]
	s_cbranch_vccnz .LBB226_3
.LBB226_2:
	s_mov_b32 s45, 0
	s_mov_b64 s[2:3], -1
.LBB226_3:
	s_andn2_b64 vcc, exec, s[2:3]
	s_cbranch_vccz .LBB226_5
; %bb.4:
	s_endpgm
.LBB226_5:
	s_load_dwordx4 s[36:39], s[4:5], 0x18
	s_load_dword s8, s[4:5], 0x30
	s_lshl_b64 s[50:51], s[44:45], 2
	v_cmp_lt_u32_e32 vcc, 63, v0
	s_waitcnt lgkmcnt(0)
	s_add_u32 s0, s38, s50
	s_addc_u32 s1, s39, s51
	s_load_dword s58, s[0:1], 0x0
	s_load_dword s7, s[4:5], 0x40
	s_mul_i32 s38, s6, s8
	s_mul_i32 s2, s44, s8
	s_waitcnt lgkmcnt(0)
	s_add_i32 s3, s58, 0xff
	s_ashr_i32 s0, s3, 31
	s_lshr_b32 s0, s0, 24
	s_add_i32 s3, s3, s0
	s_and_saveexec_b64 s[0:1], vcc
	s_xor_b64 s[0:1], exec, s[0:1]
	s_or_saveexec_b64 s[52:53], s[0:1]
	s_ashr_i32 s33, s3, 8
	v_mov_b32_e32 v1, s38
	s_mul_i32 s54, s2, s7
	s_xor_b64 exec, exec, s[52:53]
	s_cbranch_execz .LBB226_9
; %bb.6:
	s_add_i32 s0, s33, -1
	v_or_b32_e32 v3, 64, v0
	v_mov_b32_e32 v1, s0
	v_cmp_gt_u32_e64 s[28:29], s33, v3
	v_cndmask_b32_e64 v4, v1, v3, s[28:29]
	v_or_b32_e32 v3, 0x80, v0
	v_cmp_gt_u32_e64 s[26:27], s33, v3
	v_cndmask_b32_e64 v6, v1, v3, s[26:27]
	v_or_b32_e32 v3, 0xc0, v0
	;; [unrolled: 3-line block ×10, first 2 shown]
	s_load_dwordx4 s[40:43], s[4:5], 0x8
	v_cmp_gt_u32_e64 s[8:9], s33, v3
	v_cndmask_b32_e64 v24, v1, v3, s[8:9]
	v_or_b32_e32 v3, 0x300, v0
	v_cmp_gt_u32_e64 s[2:3], s33, v3
	s_mov_b32 s55, 0
	v_cndmask_b32_e64 v26, v1, v3, s[2:3]
	v_or_b32_e32 v3, 0x340, v0
	v_cmp_gt_u32_e64 s[0:1], s33, v3
	s_lshl_b64 s[56:57], s[54:55], 2
	s_mov_b32 s39, s55
	v_cmp_gt_u32_e64 s[30:31], s33, v0
	v_cndmask_b32_e64 v28, v1, v3, s[0:1]
	v_or_b32_e32 v3, 0x380, v0
	s_waitcnt lgkmcnt(0)
	s_add_u32 s34, s42, s56
	v_cndmask_b32_e64 v2, v1, v0, s[30:31]
	v_cmp_gt_u32_e32 vcc, s33, v3
	s_addc_u32 s35, s43, s57
	s_lshl_b64 s[42:43], s[38:39], 2
	v_cndmask_b32_e32 v30, v1, v3, vcc
	s_add_u32 s39, s34, s42
	v_ashrrev_i32_e32 v3, 31, v2
	s_addc_u32 s55, s35, s43
	v_lshlrev_b64 v[2:3], 2, v[2:3]
	v_mov_b32_e32 v1, s55
	v_add_co_u32_e64 v32, s[34:35], s39, v2
	v_ashrrev_i32_e32 v5, 31, v4
	v_addc_co_u32_e64 v33, s[34:35], v1, v3, s[34:35]
	v_lshlrev_b64 v[4:5], 2, v[4:5]
	v_add_co_u32_e64 v34, s[34:35], s39, v4
	v_ashrrev_i32_e32 v7, 31, v6
	v_addc_co_u32_e64 v35, s[34:35], v1, v5, s[34:35]
	v_lshlrev_b64 v[6:7], 2, v[6:7]
	;; [unrolled: 4-line block ×8, first 2 shown]
	global_load_dword v1, v[32:33], off
	global_load_dword v48, v[34:35], off
	;; [unrolled: 1-line block ×7, first 2 shown]
	s_nop 0
	global_load_dword v46, v[46:47], off
	v_mov_b32_e32 v21, s55
	v_add_co_u32_e64 v32, s[34:35], s39, v18
	v_addc_co_u32_e64 v33, s[34:35], v21, v19, s[34:35]
	v_ashrrev_i32_e32 v21, 31, v20
	v_lshlrev_b64 v[20:21], 2, v[20:21]
	v_mov_b32_e32 v23, s55
	v_add_co_u32_e64 v34, s[34:35], s39, v20
	v_addc_co_u32_e64 v35, s[34:35], v23, v21, s[34:35]
	v_ashrrev_i32_e32 v23, 31, v22
	v_lshlrev_b64 v[22:23], 2, v[22:23]
	;; [unrolled: 5-line block ×6, first 2 shown]
	v_mov_b32_e32 v45, s55
	v_add_co_u32_e64 v44, s[34:35], s39, v30
	v_addc_co_u32_e64 v45, s[34:35], v45, v31, s[34:35]
	global_load_dword v32, v[32:33], off
	s_nop 0
	global_load_dword v33, v[34:35], off
	s_nop 0
	global_load_dword v34, v[36:37], off
	global_load_dword v35, v[38:39], off
	s_nop 0
	global_load_dword v36, v[40:41], off
	global_load_dword v37, v[42:43], off
	;; [unrolled: 1-line block ×3, first 2 shown]
	v_mbcnt_lo_u32_b32 v40, -1, 0
	v_mbcnt_hi_u32_b32 v40, -1, v40
	v_and_b32_e32 v41, 64, v40
	v_add_u32_e32 v41, 64, v41
	v_xor_b32_e32 v42, 32, v40
	v_cmp_lt_i32_e64 s[34:35], v42, v41
	v_cndmask_b32_e64 v42, v40, v42, s[34:35]
	v_lshlrev_b32_e32 v42, 2, v42
	s_waitcnt vmcnt(12)
	v_max3_f32 v39, v1, v48, v49
	s_waitcnt vmcnt(10)
	v_max3_f32 v39, v39, v50, v51
	;; [unrolled: 2-line block ×7, first 2 shown]
	ds_bpermute_b32 v43, v42, v39
	s_waitcnt lgkmcnt(0)
	v_max_f32_e32 v43, v43, v43
	v_max_f32_e32 v39, v39, v43
	v_xor_b32_e32 v43, 16, v40
	v_cmp_lt_i32_e64 s[34:35], v43, v41
	v_cndmask_b32_e64 v43, v40, v43, s[34:35]
	v_lshlrev_b32_e32 v43, 2, v43
	ds_bpermute_b32 v44, v43, v39
	s_waitcnt lgkmcnt(0)
	v_max_f32_e32 v44, v44, v44
	v_max_f32_e32 v39, v39, v44
	v_xor_b32_e32 v44, 8, v40
	v_cmp_lt_i32_e64 s[34:35], v44, v41
	v_cndmask_b32_e64 v44, v40, v44, s[34:35]
	v_lshlrev_b32_e32 v44, 2, v44
	ds_bpermute_b32 v45, v44, v39
	s_waitcnt lgkmcnt(0)
	v_max_f32_e32 v45, v45, v45
	v_max_f32_e32 v39, v39, v45
	v_xor_b32_e32 v45, 4, v40
	v_cmp_lt_i32_e64 s[34:35], v45, v41
	v_cndmask_b32_e64 v45, v40, v45, s[34:35]
	v_lshlrev_b32_e32 v45, 2, v45
	ds_bpermute_b32 v47, v45, v39
	s_waitcnt lgkmcnt(0)
	v_max_f32_e32 v47, v47, v47
	v_max_f32_e32 v39, v39, v47
	v_xor_b32_e32 v47, 2, v40
	v_cmp_lt_i32_e64 s[34:35], v47, v41
	v_cndmask_b32_e64 v47, v40, v47, s[34:35]
	v_lshlrev_b32_e32 v47, 2, v47
	ds_bpermute_b32 v54, v47, v39
	s_waitcnt lgkmcnt(0)
	v_max_f32_e32 v54, v54, v54
	v_max_f32_e32 v39, v39, v54
	v_xor_b32_e32 v54, 1, v40
	v_cmp_lt_i32_e64 s[34:35], v54, v41
	v_cndmask_b32_e64 v40, v40, v54, s[34:35]
	s_add_u32 s34, s40, s56
	s_addc_u32 s35, s41, s57
	s_add_u32 s39, s34, s42
	s_addc_u32 s40, s35, s43
	v_mov_b32_e32 v54, s40
	v_add_co_u32_e64 v2, s[34:35], s39, v2
	v_addc_co_u32_e64 v3, s[34:35], v54, v3, s[34:35]
	v_add_co_u32_e64 v4, s[34:35], s39, v4
	v_addc_co_u32_e64 v5, s[34:35], v54, v5, s[34:35]
	;; [unrolled: 2-line block ×8, first 2 shown]
	global_load_dword v54, v[2:3], off
	global_load_dword v55, v[4:5], off
	;; [unrolled: 1-line block ×7, first 2 shown]
	s_nop 0
	global_load_dword v16, v[16:17], off
	v_mov_b32_e32 v3, s40
	v_add_co_u32_e64 v2, s[34:35], s39, v18
	v_addc_co_u32_e64 v3, s[34:35], v3, v19, s[34:35]
	v_mov_b32_e32 v5, s40
	v_add_co_u32_e64 v4, s[34:35], s39, v20
	v_lshlrev_b32_e32 v40, 2, v40
	v_addc_co_u32_e64 v5, s[34:35], v5, v21, s[34:35]
	ds_bpermute_b32 v41, v40, v39
	v_mov_b32_e32 v7, s40
	v_add_co_u32_e64 v6, s[34:35], s39, v22
	v_addc_co_u32_e64 v7, s[34:35], v7, v23, s[34:35]
	v_mov_b32_e32 v9, s40
	v_add_co_u32_e64 v8, s[34:35], s39, v24
	v_addc_co_u32_e64 v9, s[34:35], v9, v25, s[34:35]
	;; [unrolled: 3-line block ×3, first 2 shown]
	s_waitcnt lgkmcnt(0)
	v_max_f32_e32 v17, v41, v41
	v_mov_b32_e32 v13, s40
	v_add_co_u32_e64 v12, s[34:35], s39, v28
	v_max_f32_e32 v17, v39, v17
	v_addc_co_u32_e64 v13, s[34:35], v13, v29, s[34:35]
	v_sub_f32_e32 v1, v1, v17
	v_mov_b32_e32 v15, s40
	v_add_co_u32_e64 v14, s[34:35], s39, v30
	s_mov_b32 s39, 0x3fb8aa3b
	v_mul_f32_e32 v18, 0x3fb8aa3b, v1
	v_addc_co_u32_e64 v15, s[34:35], v15, v31, s[34:35]
	v_fma_f32 v19, v1, s39, -v18
	v_rndne_f32_e32 v20, v18
	global_load_dword v2, v[2:3], off
	s_nop 0
	global_load_dword v3, v[4:5], off
	s_nop 0
	global_load_dword v4, v[6:7], off
	global_load_dword v5, v[8:9], off
	s_nop 0
	global_load_dword v6, v[10:11], off
	global_load_dword v7, v[12:13], off
	;; [unrolled: 1-line block ×3, first 2 shown]
	v_sub_f32_e32 v11, v48, v17
	v_fmac_f32_e32 v19, 0x32a5705f, v1
	v_sub_f32_e32 v18, v18, v20
	v_mul_f32_e32 v12, 0x3fb8aa3b, v11
	v_add_f32_e32 v18, v18, v19
	v_fma_f32 v13, v11, s39, -v12
	v_rndne_f32_e32 v14, v12
	v_exp_f32_e32 v18, v18
	v_cvt_i32_f32_e32 v19, v20
	v_fmac_f32_e32 v13, 0x32a5705f, v11
	v_sub_f32_e32 v12, v12, v14
	v_add_f32_e32 v12, v12, v13
	v_exp_f32_e32 v12, v12
	v_cvt_i32_f32_e32 v13, v14
	s_mov_b32 s40, 0xc2ce8ed0
	v_ldexp_f32 v9, v18, v19
	v_cmp_ngt_f32_e64 s[34:35], s40, v1
	s_mov_b32 s41, 0x42b17218
	v_cndmask_b32_e64 v9, 0, v9, s[34:35]
	v_mov_b32_e32 v10, 0x7f800000
	v_cmp_nlt_f32_e64 s[34:35], s41, v1
	v_cndmask_b32_e64 v1, v10, v9, s[34:35]
	v_ldexp_f32 v9, v12, v13
	v_sub_f32_e32 v12, v49, v17
	v_mul_f32_e32 v13, 0x3fb8aa3b, v12
	v_fma_f32 v14, v12, s39, -v13
	v_rndne_f32_e32 v15, v13
	v_fmac_f32_e32 v14, 0x32a5705f, v12
	v_sub_f32_e32 v13, v13, v15
	v_add_f32_e32 v13, v13, v14
	v_exp_f32_e32 v13, v13
	v_cvt_i32_f32_e32 v14, v15
	v_cndmask_b32_e64 v1, 0, v1, s[30:31]
	v_cmp_ngt_f32_e64 s[30:31], s40, v11
	v_cndmask_b32_e64 v9, 0, v9, s[30:31]
	v_cmp_nlt_f32_e64 s[30:31], s41, v11
	v_ldexp_f32 v11, v13, v14
	v_sub_f32_e32 v13, v50, v17
	v_mul_f32_e32 v14, 0x3fb8aa3b, v13
	v_fma_f32 v15, v13, s39, -v14
	v_rndne_f32_e32 v18, v14
	v_fmac_f32_e32 v15, 0x32a5705f, v13
	v_sub_f32_e32 v14, v14, v18
	v_add_f32_e32 v14, v14, v15
	v_exp_f32_e32 v14, v14
	v_cvt_i32_f32_e32 v15, v18
	v_cndmask_b32_e64 v9, v10, v9, s[30:31]
	v_cndmask_b32_e64 v9, 0, v9, s[28:29]
	v_cmp_ngt_f32_e64 s[28:29], s40, v12
	v_cndmask_b32_e64 v11, 0, v11, s[28:29]
	v_cmp_nlt_f32_e64 s[28:29], s41, v12
	v_ldexp_f32 v12, v14, v15
	v_sub_f32_e32 v14, v51, v17
	v_mul_f32_e32 v15, 0x3fb8aa3b, v14
	v_fma_f32 v18, v14, s39, -v15
	v_rndne_f32_e32 v19, v15
	v_fmac_f32_e32 v18, 0x32a5705f, v14
	v_sub_f32_e32 v15, v15, v19
	v_add_f32_e32 v15, v15, v18
	v_exp_f32_e32 v15, v15
	v_cvt_i32_f32_e32 v18, v19
	v_cndmask_b32_e64 v11, v10, v11, s[28:29]
	;; [unrolled: 15-line block ×5, first 2 shown]
	v_cndmask_b32_e64 v14, 0, v14, s[20:21]
	v_cmp_ngt_f32_e64 s[20:21], s40, v18
	v_cndmask_b32_e64 v15, 0, v15, s[20:21]
	v_cmp_nlt_f32_e64 s[20:21], s41, v18
	v_ldexp_f32 v18, v20, v21
	v_sub_f32_e32 v20, v32, v17
	v_mul_f32_e32 v21, 0x3fb8aa3b, v20
	v_fma_f32 v22, v20, s39, -v21
	v_rndne_f32_e32 v23, v21
	v_fmac_f32_e32 v22, 0x32a5705f, v20
	v_sub_f32_e32 v21, v21, v23
	v_cndmask_b32_e64 v15, v10, v15, s[20:21]
	v_add_f32_e32 v21, v21, v22
	v_cndmask_b32_e64 v15, 0, v15, s[18:19]
	v_cmp_ngt_f32_e64 s[18:19], s40, v19
	v_exp_f32_e32 v21, v21
	v_cvt_i32_f32_e32 v22, v23
	v_cndmask_b32_e64 v18, 0, v18, s[18:19]
	v_cmp_nlt_f32_e64 s[18:19], s41, v19
	v_cndmask_b32_e64 v18, v10, v18, s[18:19]
	v_cndmask_b32_e64 v18, 0, v18, s[16:17]
	v_sub_f32_e32 v19, v33, v17
	s_waitcnt vmcnt(7)
	v_mul_f32_e32 v16, v16, v18
	v_ldexp_f32 v18, v21, v22
	v_mul_f32_e32 v21, 0x3fb8aa3b, v19
	v_fma_f32 v22, v19, s39, -v21
	v_rndne_f32_e32 v23, v21
	v_fmac_f32_e32 v22, 0x32a5705f, v19
	v_sub_f32_e32 v21, v21, v23
	v_add_f32_e32 v21, v21, v22
	v_cmp_ngt_f32_e64 s[16:17], s40, v20
	v_exp_f32_e32 v21, v21
	v_cvt_i32_f32_e32 v22, v23
	v_cndmask_b32_e64 v18, 0, v18, s[16:17]
	v_cmp_nlt_f32_e64 s[16:17], s41, v20
	v_cndmask_b32_e64 v18, v10, v18, s[16:17]
	v_cndmask_b32_e64 v18, 0, v18, s[14:15]
	v_sub_f32_e32 v20, v34, v17
	s_waitcnt vmcnt(6)
	v_mul_f32_e32 v2, v2, v18
	v_ldexp_f32 v18, v21, v22
	v_mul_f32_e32 v21, 0x3fb8aa3b, v20
	v_fma_f32 v22, v20, s39, -v21
	v_rndne_f32_e32 v23, v21
	v_fmac_f32_e32 v22, 0x32a5705f, v20
	v_sub_f32_e32 v21, v21, v23
	v_add_f32_e32 v21, v21, v22
	;; [unrolled: 17-line block ×4, first 2 shown]
	v_exp_f32_e32 v21, v21
	v_cvt_i32_f32_e32 v22, v23
	v_cmp_ngt_f32_e64 s[10:11], s40, v19
	v_cndmask_b32_e64 v18, 0, v18, s[10:11]
	v_cmp_nlt_f32_e64 s[10:11], s41, v19
	v_ldexp_f32 v19, v21, v22
	v_sub_f32_e32 v21, v37, v17
	v_mul_f32_e32 v22, 0x3fb8aa3b, v21
	v_fma_f32 v23, v21, s39, -v22
	v_rndne_f32_e32 v24, v22
	v_fmac_f32_e32 v23, 0x32a5705f, v21
	v_sub_f32_e32 v22, v22, v24
	v_add_f32_e32 v22, v22, v23
	v_exp_f32_e32 v22, v22
	v_cvt_i32_f32_e32 v23, v24
	v_cndmask_b32_e64 v18, v10, v18, s[10:11]
	v_cndmask_b32_e64 v18, 0, v18, s[8:9]
	v_cmp_ngt_f32_e64 s[8:9], s40, v20
	v_sub_f32_e32 v17, v38, v17
	v_cndmask_b32_e64 v19, 0, v19, s[8:9]
	v_cmp_nlt_f32_e64 s[8:9], s41, v20
	v_ldexp_f32 v20, v22, v23
	v_mul_f32_e32 v22, 0x3fb8aa3b, v17
	v_fma_f32 v23, v17, s39, -v22
	v_rndne_f32_e32 v24, v22
	v_fmac_f32_e32 v23, 0x32a5705f, v17
	v_sub_f32_e32 v22, v22, v24
	v_add_f32_e32 v22, v22, v23
	v_cndmask_b32_e64 v19, v10, v19, s[8:9]
	v_exp_f32_e32 v22, v22
	v_cvt_i32_f32_e32 v23, v24
	v_cndmask_b32_e64 v19, 0, v19, s[2:3]
	v_cmp_ngt_f32_e64 s[2:3], s40, v21
	v_cndmask_b32_e64 v20, 0, v20, s[2:3]
	v_cmp_nlt_f32_e64 s[2:3], s41, v21
	v_cndmask_b32_e64 v20, v10, v20, s[2:3]
	v_mul_f32_e32 v1, v54, v1
	v_mul_f32_e32 v9, v55, v9
	v_cndmask_b32_e64 v20, 0, v20, s[0:1]
	v_ldexp_f32 v21, v22, v23
	v_cmp_ngt_f32_e64 s[0:1], s40, v17
	v_mul_f32_e32 v11, v56, v11
	v_cndmask_b32_e64 v21, 0, v21, s[0:1]
	v_cmp_nlt_f32_e64 s[0:1], s41, v17
	v_add_f32_e32 v17, v1, v9
	v_mul_f32_e32 v12, v57, v12
	v_add_f32_e32 v17, v17, v11
	v_mul_f32_e32 v13, v58, v13
	;; [unrolled: 2-line block ×4, first 2 shown]
	v_add_f32_e32 v17, v17, v14
	v_add_f32_e32 v17, v17, v15
	v_add_f32_e32 v17, v17, v16
	v_add_f32_e32 v17, v17, v2
	v_add_f32_e32 v17, v17, v3
	v_add_f32_e32 v17, v17, v4
	s_waitcnt vmcnt(3)
	v_fmac_f32_e32 v17, v5, v18
	v_cndmask_b32_e64 v10, v10, v21, s[0:1]
	s_waitcnt vmcnt(2)
	v_fmac_f32_e32 v17, v6, v19
	v_cndmask_b32_e32 v10, 0, v10, vcc
	s_waitcnt vmcnt(1)
	v_fmac_f32_e32 v17, v7, v20
	s_waitcnt vmcnt(0)
	v_fmac_f32_e32 v17, v8, v10
	ds_bpermute_b32 v21, v42, v17
	v_mul_f32_e32 v5, v5, v18
	v_mul_f32_e32 v8, v8, v10
	v_lshlrev_b32_e32 v10, 2, v0
	ds_write2st64_b32 v10, v1, v9 offset1:1
	s_waitcnt lgkmcnt(1)
	v_add_f32_e32 v17, v17, v21
	ds_bpermute_b32 v21, v43, v17
	ds_write2st64_b32 v10, v11, v12 offset0:2 offset1:3
	ds_write2st64_b32 v10, v13, v14 offset0:4 offset1:5
	ds_write2st64_b32 v10, v15, v16 offset0:6 offset1:7
	ds_write2st64_b32 v10, v2, v3 offset0:8 offset1:9
	v_cmp_eq_u32_e32 vcc, 0, v0
	v_mul_f32_e32 v6, v6, v19
	v_mul_f32_e32 v7, v7, v20
	s_waitcnt lgkmcnt(4)
	v_add_f32_e32 v17, v17, v21
	ds_bpermute_b32 v21, v44, v17
	ds_write2st64_b32 v10, v4, v5 offset0:10 offset1:11
	ds_write2st64_b32 v10, v6, v7 offset0:12 offset1:13
	ds_write_b32 v10, v8 offset:3584
	s_waitcnt lgkmcnt(3)
	v_add_f32_e32 v17, v17, v21
	ds_bpermute_b32 v18, v45, v17
	s_waitcnt lgkmcnt(0)
	v_add_f32_e32 v1, v17, v18
	ds_bpermute_b32 v9, v47, v1
	;; [unrolled: 3-line block ×3, first 2 shown]
	s_and_saveexec_b64 s[0:1], vcc
	s_cbranch_execz .LBB226_8
; %bb.7:
	s_waitcnt lgkmcnt(0)
	v_add_f32_e32 v1, v1, v2
	v_mov_b32_e32 v2, 0
	ds_write_b32 v2, v1 offset:3840
.LBB226_8:
	s_or_b64 exec, exec, s[0:1]
	v_mov_b32_e32 v1, s38
.LBB226_9:
	s_or_b64 exec, exec, s[52:53]
	s_lshl_b32 s0, s54, 6
	s_mov_b32 s1, 0
	s_lshl_b64 s[0:1], s[0:1], 1
	s_add_u32 s0, s36, s0
	s_addc_u32 s1, s37, s1
	s_lshl_b32 s10, s33, 6
	s_waitcnt lgkmcnt(0)
	v_lshlrev_b32_e32 v2, 6, v1
	v_mov_b32_e32 v3, 0
	s_sub_i32 s11, s10, 64
	v_lshlrev_b64 v[4:5], 1, v[2:3]
	s_cmp_lt_i32 s58, 1
	v_mov_b32_e32 v1, s1
	v_add_co_u32_e32 v2, vcc, s0, v4
	s_cselect_b32 s0, s11, 0
	v_addc_co_u32_e32 v1, vcc, v1, v5, vcc
	v_lshlrev_b32_e32 v118, 1, v0
	s_ashr_i32 s1, s0, 31
	v_add_co_u32_e32 v0, vcc, v2, v118
	s_lshl_b64 s[0:1], s[0:1], 1
	v_addc_co_u32_e32 v1, vcc, 0, v1, vcc
	s_cmpk_lt_i32 s58, 0x101
	v_add_co_u32_e32 v4, vcc, s0, v0
	s_cselect_b32 s0, s11, 64
	v_mov_b32_e32 v2, s1
	s_ashr_i32 s1, s0, 31
	s_lshl_b64 s[0:1], s[0:1], 1
	v_addc_co_u32_e32 v5, vcc, v1, v2, vcc
	s_cmpk_lt_i32 s58, 0x201
	v_add_co_u32_e32 v6, vcc, s0, v0
	s_cselect_b32 s0, s11, 0x80
	v_mov_b32_e32 v2, s1
	s_ashr_i32 s1, s0, 31
	;; [unrolled: 7-line block ×8, first 2 shown]
	s_lshl_b64 s[0:1], s[0:1], 1
	v_addc_co_u32_e32 v19, vcc, v1, v2, vcc
	s_cmpk_lt_i32 s58, 0x901
	global_load_ushort v44, v[4:5], off
	global_load_ushort v43, v[6:7], off
	;; [unrolled: 1-line block ×8, first 2 shown]
	v_add_co_u32_e32 v4, vcc, s0, v0
	s_cselect_b32 s0, s11, 0x240
	v_mov_b32_e32 v5, s1
	s_ashr_i32 s1, s0, 31
	s_lshl_b64 s[0:1], s[0:1], 1
	v_addc_co_u32_e32 v5, vcc, v1, v5, vcc
	s_cmpk_lt_i32 s58, 0xa01
	v_add_co_u32_e32 v6, vcc, s0, v0
	s_cselect_b32 s0, s11, 0x280
	v_mov_b32_e32 v7, s1
	s_ashr_i32 s1, s0, 31
	s_lshl_b64 s[0:1], s[0:1], 1
	v_addc_co_u32_e32 v7, vcc, v1, v7, vcc
	s_cmpk_lt_i32 s58, 0xb01
	;; [unrolled: 7-line block ×6, first 2 shown]
	v_add_co_u32_e32 v16, vcc, s0, v0
	s_cselect_b32 s0, s11, 0x3c0
	v_mov_b32_e32 v17, s1
	s_ashr_i32 s1, s0, 31
	v_addc_co_u32_e32 v17, vcc, v1, v17, vcc
	s_lshl_b64 s[0:1], s[0:1], 1
	v_mov_b32_e32 v19, s1
	v_add_co_u32_e32 v18, vcc, s0, v0
	v_addc_co_u32_e32 v19, vcc, v1, v19, vcc
	global_load_ushort v51, v[4:5], off
	global_load_ushort v52, v[6:7], off
	;; [unrolled: 1-line block ×8, first 2 shown]
	s_cmpk_gt_i32 s58, 0x1000
	s_cselect_b64 s[8:9], -1, 0
	s_cmpk_lt_i32 s58, 0x1001
	v_mov_b32_e32 v61, 0
	v_mov_b32_e32 v62, 0
	;; [unrolled: 1-line block ×48, first 2 shown]
	s_waitcnt lgkmcnt(0)
	; wave barrier
	s_cbranch_scc1 .LBB226_12
; %bb.10:
	s_cmpk_lt_u32 s58, 0x1101
	s_cselect_b32 s0, s11, 0x440
	s_ashr_i32 s1, s0, 31
	s_lshl_b64 s[0:1], s[0:1], 1
	s_cmpk_lt_u32 s58, 0x1201
	v_add_co_u32_e32 v4, vcc, s0, v0
	s_cselect_b32 s0, s11, 0x480
	v_mov_b32_e32 v5, s1
	s_ashr_i32 s1, s0, 31
	s_lshl_b64 s[0:1], s[0:1], 1
	v_addc_co_u32_e32 v5, vcc, v1, v5, vcc
	s_cmpk_lt_u32 s58, 0x1301
	v_add_co_u32_e32 v6, vcc, s0, v0
	s_cselect_b32 s0, s11, 0x4c0
	v_mov_b32_e32 v7, s1
	s_ashr_i32 s1, s0, 31
	s_lshl_b64 s[0:1], s[0:1], 1
	v_addc_co_u32_e32 v7, vcc, v1, v7, vcc
	;; [unrolled: 7-line block ×7, first 2 shown]
	s_cmpk_lt_u32 s58, 0x1901
	global_load_ushort v60, v[0:1], off offset:2048
	global_load_ushort v59, v[4:5], off
	global_load_ushort v58, v[6:7], off
	global_load_ushort v57, v[8:9], off
	global_load_ushort v56, v[10:11], off
	global_load_ushort v55, v[12:13], off
	global_load_ushort v54, v[14:15], off
	global_load_ushort v53, v[16:17], off
	v_add_co_u32_e32 v4, vcc, s0, v0
	s_cselect_b32 s0, s11, 0x640
	v_mov_b32_e32 v5, s1
	s_ashr_i32 s1, s0, 31
	s_lshl_b64 s[0:1], s[0:1], 1
	v_addc_co_u32_e32 v5, vcc, v1, v5, vcc
	s_cmpk_lt_u32 s58, 0x1a01
	v_add_co_u32_e32 v6, vcc, s0, v0
	s_cselect_b32 s0, s11, 0x680
	v_mov_b32_e32 v7, s1
	s_ashr_i32 s1, s0, 31
	s_lshl_b64 s[0:1], s[0:1], 1
	v_addc_co_u32_e32 v7, vcc, v1, v7, vcc
	s_cmpk_lt_u32 s58, 0x1b01
	;; [unrolled: 7-line block ×6, first 2 shown]
	v_add_co_u32_e32 v16, vcc, s0, v0
	s_cselect_b32 s0, s11, 0x7c0
	v_mov_b32_e32 v17, s1
	s_ashr_i32 s1, s0, 31
	v_addc_co_u32_e32 v17, vcc, v1, v17, vcc
	s_lshl_b64 s[0:1], s[0:1], 1
	v_mov_b32_e32 v19, s1
	v_add_co_u32_e32 v18, vcc, s0, v0
	v_addc_co_u32_e32 v19, vcc, v1, v19, vcc
	global_load_ushort v68, v[4:5], off
	global_load_ushort v67, v[6:7], off
	;; [unrolled: 1-line block ×8, first 2 shown]
	s_cmpk_lt_u32 s58, 0x2001
	v_mov_b32_e32 v35, 0
	v_mov_b32_e32 v33, 0
	;; [unrolled: 1-line block ×32, first 2 shown]
	s_cbranch_scc1 .LBB226_12
; %bb.11:
	s_cmpk_lt_u32 s58, 0x2101
	s_cselect_b32 s0, s11, 0x840
	s_ashr_i32 s1, s0, 31
	s_lshl_b64 s[0:1], s[0:1], 1
	s_cmpk_lt_u32 s58, 0x2201
	v_add_co_u32_e32 v4, vcc, s0, v0
	s_cselect_b32 s0, s11, 0x880
	v_mov_b32_e32 v5, s1
	s_ashr_i32 s1, s0, 31
	s_lshl_b64 s[0:1], s[0:1], 1
	v_addc_co_u32_e32 v5, vcc, v1, v5, vcc
	s_cmpk_lt_u32 s58, 0x2301
	v_add_co_u32_e32 v6, vcc, s0, v0
	s_cselect_b32 s0, s11, 0x8c0
	v_mov_b32_e32 v7, s1
	s_ashr_i32 s1, s0, 31
	s_lshl_b64 s[0:1], s[0:1], 1
	v_addc_co_u32_e32 v7, vcc, v1, v7, vcc
	;; [unrolled: 7-line block ×30, first 2 shown]
	v_mov_b32_e32 v69, s1
	s_movk_i32 s1, 0x1000
	v_add_co_u32_e32 v96, vcc, s1, v0
	v_addc_co_u32_e32 v97, vcc, 0, v1, vcc
	global_load_ushort v98, v[96:97], off
	global_load_ushort v99, v[4:5], off
	;; [unrolled: 1-line block ×15, first 2 shown]
                                        ; kill: killed $vgpr28 killed $vgpr29
                                        ; kill: killed $vgpr8 killed $vgpr9
                                        ; kill: killed $vgpr70 killed $vgpr71
                                        ; kill: killed $vgpr14 killed $vgpr15
                                        ; kill: killed $vgpr20 killed $vgpr21
                                        ; kill: killed $vgpr4 killed $vgpr5
                                        ; kill: killed $vgpr30 killed $vgpr31
                                        ; kill: killed $vgpr10 killed $vgpr11
                                        ; kill: killed $vgpr16 killed $vgpr17
                                        ; kill: killed $vgpr22 killed $vgpr23
                                        ; kill: killed $vgpr6 killed $vgpr7
                                        ; kill: killed $vgpr96 killed $vgpr97
                                        ; kill: killed $vgpr34 killed $vgpr35
                                        ; kill: killed $vgpr12 killed $vgpr13
                                        ; kill: killed $vgpr18 killed $vgpr19
	global_load_ushort v6, v[24:25], off
	global_load_ushort v7, v[26:27], off
	;; [unrolled: 1-line block ×15, first 2 shown]
                                        ; kill: killed $vgpr88 killed $vgpr89
                                        ; kill: killed $vgpr72 killed $vgpr73
                                        ; kill: killed $vgpr94 killed $vgpr95
                                        ; kill: killed $vgpr78 killed $vgpr79
                                        ; kill: killed $vgpr84 killed $vgpr85
                                        ; kill: killed $vgpr32 killed $vgpr33
                                        ; kill: killed $vgpr90 killed $vgpr91
                                        ; kill: killed $vgpr74 killed $vgpr75
                                        ; kill: killed $vgpr80 killed $vgpr81
                                        ; kill: killed $vgpr24 killed $vgpr25
                                        ; kill: killed $vgpr36 killed $vgpr37
                                        ; kill: killed $vgpr92 killed $vgpr93
                                        ; kill: killed $vgpr76 killed $vgpr77
                                        ; kill: killed $vgpr82 killed $vgpr83
                                        ; kill: killed $vgpr26 killed $vgpr27
	global_load_ushort v36, v[86:87], off
	v_add_co_u32_e32 v4, vcc, s0, v0
	v_addc_co_u32_e32 v5, vcc, v1, v69, vcc
	global_load_ushort v5, v[4:5], off
	s_waitcnt vmcnt(31)
	v_lshlrev_b32_e32 v35, 16, v98
	s_waitcnt vmcnt(30)
	v_lshlrev_b32_e32 v33, 16, v99
	;; [unrolled: 2-line block ×32, first 2 shown]
.LBB226_12:
	s_load_dwordx2 s[0:1], s[4:5], 0x0
	s_load_dwordx2 s[2:3], s[4:5], 0x38
	ds_read_b128 v[70:73], v3
	s_waitcnt vmcnt(15)
	v_lshlrev_b32_e32 v36, 16, v44
	ds_read_b128 v[74:77], v3 offset:16
	ds_read_b128 v[78:81], v3 offset:32
	;; [unrolled: 1-line block ×3, first 2 shown]
	s_waitcnt vmcnt(10)
	v_lshlrev_b32_e32 v37, 16, v40
	s_and_b64 vcc, exec, s[8:9]
	s_waitcnt lgkmcnt(0)
	v_fma_f32 v44, v70, v36, 0
	v_lshlrev_b32_e32 v36, 16, v43
	v_fmac_f32_e32 v44, v71, v36
	v_lshlrev_b32_e32 v36, 16, v42
	v_fmac_f32_e32 v44, v72, v36
	v_lshlrev_b32_e32 v36, 16, v41
	v_fmac_f32_e32 v44, v73, v36
	v_lshlrev_b32_e32 v36, 16, v39
	v_pk_mul_f32 v[36:37], v[74:75], v[36:37]
	v_add_f32_e32 v36, v44, v36
	v_add_f32_e32 v39, v36, v37
	s_waitcnt vmcnt(8)
	v_lshlrev_b32_e32 v37, 16, v38
	v_lshlrev_b32_e32 v36, 16, v2
	v_pk_mul_f32 v[36:37], v[76:77], v[36:37]
	v_add_f32_e32 v2, v39, v36
	v_add_f32_e32 v2, v2, v37
	s_waitcnt vmcnt(6)
	v_lshlrev_b32_e32 v37, 16, v52
	;; [unrolled: 6-line block ×5, first 2 shown]
	v_lshlrev_b32_e32 v36, 16, v45
	v_pk_mul_f32 v[36:37], v[84:85], v[36:37]
	v_add_f32_e32 v2, v2, v36
	v_add_f32_e32 v119, v2, v37
	s_cbranch_vccz .LBB226_15
; %bb.13:
	ds_read_b128 v[36:39], v3 offset:64
	v_lshlrev_b32_e32 v2, 16, v60
	ds_read_b128 v[40:43], v3 offset:80
	ds_read_b128 v[44:47], v3 offset:96
	;; [unrolled: 1-line block ×3, first 2 shown]
	s_cmpk_lt_u32 s58, 0x2001
	s_waitcnt lgkmcnt(3)
	v_fmac_f32_e32 v119, v36, v2
	v_lshlrev_b32_e32 v2, 16, v59
	v_fmac_f32_e32 v119, v37, v2
	v_lshlrev_b32_e32 v2, 16, v58
	v_fmac_f32_e32 v119, v38, v2
	v_lshlrev_b32_e32 v2, 16, v57
	v_fmac_f32_e32 v119, v39, v2
	v_lshlrev_b32_e32 v2, 16, v56
	s_waitcnt lgkmcnt(2)
	v_fmac_f32_e32 v119, v40, v2
	v_lshlrev_b32_e32 v2, 16, v55
	v_fmac_f32_e32 v119, v41, v2
	v_lshlrev_b32_e32 v2, 16, v54
	v_fmac_f32_e32 v119, v42, v2
	v_lshlrev_b32_e32 v2, 16, v53
	v_fmac_f32_e32 v119, v43, v2
	v_lshlrev_b32_e32 v2, 16, v68
	;; [unrolled: 9-line block ×3, first 2 shown]
	s_waitcnt lgkmcnt(0)
	v_fmac_f32_e32 v119, v48, v2
	v_lshlrev_b32_e32 v2, 16, v63
	v_fmac_f32_e32 v119, v49, v2
	v_lshlrev_b32_e32 v2, 16, v62
	;; [unrolled: 2-line block ×3, first 2 shown]
	v_fmac_f32_e32 v119, v51, v2
	s_cbranch_scc1 .LBB226_15
; %bb.14:
	v_mov_b32_e32 v52, 0
	ds_read_b128 v[36:39], v52 offset:128
	ds_read_b128 v[40:43], v52 offset:144
	;; [unrolled: 1-line block ×4, first 2 shown]
	s_waitcnt lgkmcnt(3)
	v_fmac_f32_e32 v119, v36, v35
	v_fmac_f32_e32 v119, v37, v33
	v_fmac_f32_e32 v119, v38, v34
	v_fmac_f32_e32 v119, v39, v31
	s_waitcnt lgkmcnt(2)
	v_fmac_f32_e32 v119, v40, v32
	v_fmac_f32_e32 v119, v41, v29
	v_fmac_f32_e32 v119, v42, v30
	v_fmac_f32_e32 v119, v43, v27
	;; [unrolled: 5-line block ×3, first 2 shown]
	s_waitcnt lgkmcnt(0)
	v_fmac_f32_e32 v119, v48, v24
	ds_read_b128 v[24:27], v52 offset:192
	v_fmac_f32_e32 v119, v49, v21
	v_fmac_f32_e32 v119, v50, v22
	;; [unrolled: 1-line block ×3, first 2 shown]
	ds_read_b128 v[20:23], v52 offset:208
	s_waitcnt lgkmcnt(1)
	v_fmac_f32_e32 v119, v24, v19
	v_fmac_f32_e32 v119, v25, v17
	;; [unrolled: 1-line block ×4, first 2 shown]
	s_waitcnt lgkmcnt(0)
	v_pk_mul_f32 v[2:3], v[20:21], v[14:15]
	ds_read_b128 v[14:17], v52 offset:224
	v_add_f32_e32 v2, v119, v2
	v_add_f32_e32 v18, v2, v3
	v_pk_mul_f32 v[2:3], v[22:23], v[12:13]
	v_add_f32_e32 v2, v18, v2
	ds_read_b128 v[18:21], v52 offset:240
	v_add_f32_e32 v12, v2, v3
	s_waitcnt lgkmcnt(1)
	v_pk_mul_f32 v[2:3], v[14:15], v[10:11]
	v_add_f32_e32 v2, v12, v2
	v_add_f32_e32 v10, v2, v3
	v_pk_mul_f32 v[2:3], v[16:17], v[8:9]
	v_add_f32_e32 v2, v10, v2
	v_add_f32_e32 v8, v2, v3
	s_waitcnt lgkmcnt(0)
	v_pk_mul_f32 v[2:3], v[18:19], v[6:7]
	v_add_f32_e32 v2, v8, v2
	v_add_f32_e32 v6, v2, v3
	v_pk_mul_f32 v[2:3], v[20:21], v[4:5]
	v_add_f32_e32 v2, v6, v2
	v_add_f32_e32 v119, v2, v3
.LBB226_15:
	s_movk_i32 s4, 0x1fc0
	s_movk_i32 s5, 0x100
	s_mov_b32 s8, 64
	s_branch .LBB226_17
.LBB226_16:                             ;   in Loop: Header=BB226_17 Depth=1
	s_addk_i32 s4, 0x1000
	s_addk_i32 s5, 0x100
	s_add_i32 s8, s8, 64
	s_cmpk_eq_u32 s4, 0xffc0
	s_cbranch_scc1 .LBB226_19
.LBB226_17:                             ; =>This Inner Loop Header: Depth=1
	s_cmp_le_i32 s33, s8
	s_cbranch_scc1 .LBB226_16
; %bb.18:                               ;   in Loop: Header=BB226_17 Depth=1
	s_add_i32 s9, s4, 0xfffff040
	s_cmp_lt_i32 s9, s10
	s_cselect_b32 s12, s9, s11
	s_ashr_i32 s13, s12, 31
	s_lshl_b64 s[12:13], s[12:13], 1
	s_add_i32 s9, s4, 0xfffff080
	s_cmp_lt_i32 s9, s10
	v_add_co_u32_e32 v4, vcc, s12, v0
	s_cselect_b32 s12, s9, s11
	v_mov_b32_e32 v2, s13
	s_ashr_i32 s13, s12, 31
	s_lshl_b64 s[12:13], s[12:13], 1
	s_add_i32 s9, s4, 0xfffff0c0
	v_addc_co_u32_e32 v5, vcc, v1, v2, vcc
	s_cmp_lt_i32 s9, s10
	v_add_co_u32_e32 v2, vcc, s12, v0
	s_cselect_b32 s12, s9, s11
	v_mov_b32_e32 v3, s13
	s_ashr_i32 s13, s12, 31
	s_lshl_b64 s[12:13], s[12:13], 1
	s_add_i32 s9, s4, 0xfffff100
	v_addc_co_u32_e32 v3, vcc, v1, v3, vcc
	;; [unrolled: 8-line block ×21, first 2 shown]
	s_cmp_lt_i32 s9, s10
	global_load_ushort v120, v[4:5], off
	global_load_ushort v122, v[6:7], off
	;; [unrolled: 1-line block ×4, first 2 shown]
	v_add_co_u32_e32 v44, vcc, s12, v0
	s_cselect_b32 s12, s9, s11
	v_mov_b32_e32 v45, s13
	s_ashr_i32 s13, s12, 31
	s_lshl_b64 s[12:13], s[12:13], 1
	s_add_i32 s9, s4, 0xfffff600
	v_addc_co_u32_e32 v45, vcc, v1, v45, vcc
	s_cmp_lt_i32 s9, s10
	v_add_co_u32_e32 v46, vcc, s12, v0
	s_cselect_b32 s12, s9, s11
	v_mov_b32_e32 v47, s13
	s_ashr_i32 s13, s12, 31
	s_lshl_b64 s[12:13], s[12:13], 1
	s_add_i32 s9, s4, 0xfffff640
	v_addc_co_u32_e32 v47, vcc, v1, v47, vcc
	s_cmp_lt_i32 s9, s10
	;; [unrolled: 8-line block ×8, first 2 shown]
	global_load_ushort v121, v[2:3], off
	v_add_co_u32_e32 v60, vcc, s12, v0
	s_cselect_b32 s12, s9, s11
	v_mov_b32_e32 v61, s13
	s_ashr_i32 s13, s12, 31
	s_lshl_b64 s[12:13], s[12:13], 1
	s_add_i32 s9, s4, 0xfffff800
	v_addc_co_u32_e32 v61, vcc, v1, v61, vcc
	s_cmp_lt_i32 s9, s10
	v_add_co_u32_e32 v62, vcc, s12, v0
	s_cselect_b32 s12, s9, s11
	global_load_ushort v125, v[12:13], off
	global_load_ushort v126, v[14:15], off
	v_mov_b32_e32 v63, s13
	s_ashr_i32 s13, s12, 31
	global_load_ushort v127, v[16:17], off
	global_load_ushort v128, v[18:19], off
	;; [unrolled: 1-line block ×3, first 2 shown]
	s_lshl_b64 s[12:13], s[12:13], 1
	s_add_i32 s9, s4, 0xfffff840
	v_addc_co_u32_e32 v63, vcc, v1, v63, vcc
	s_cmp_lt_i32 s9, s10
	v_add_co_u32_e32 v64, vcc, s12, v0
	s_cselect_b32 s12, s9, s11
	v_mov_b32_e32 v65, s13
	s_ashr_i32 s13, s12, 31
	s_lshl_b64 s[12:13], s[12:13], 1
	s_add_i32 s9, s4, 0xfffff880
	v_addc_co_u32_e32 v65, vcc, v1, v65, vcc
	s_cmp_lt_i32 s9, s10
	v_add_co_u32_e32 v66, vcc, s12, v0
	s_cselect_b32 s12, s9, s11
	v_mov_b32_e32 v67, s13
	s_ashr_i32 s13, s12, 31
	global_load_ushort v130, v[22:23], off
	global_load_ushort v131, v[24:25], off
	s_lshl_b64 s[12:13], s[12:13], 1
	s_add_i32 s9, s4, 0xfffff8c0
	v_addc_co_u32_e32 v67, vcc, v1, v67, vcc
	s_cmp_lt_i32 s9, s10
	global_load_ushort v132, v[26:27], off
	global_load_ushort v133, v[28:29], off
	v_add_co_u32_e32 v68, vcc, s12, v0
	s_cselect_b32 s12, s9, s11
	v_mov_b32_e32 v69, s13
	s_ashr_i32 s13, s12, 31
	s_lshl_b64 s[12:13], s[12:13], 1
	s_add_i32 s9, s4, 0xfffff900
	v_addc_co_u32_e32 v69, vcc, v1, v69, vcc
	s_cmp_lt_i32 s9, s10
	v_add_co_u32_e32 v70, vcc, s12, v0
	s_cselect_b32 s12, s9, s11
	v_mov_b32_e32 v71, s13
	s_ashr_i32 s13, s12, 31
	global_load_ushort v134, v[30:31], off
	global_load_ushort v135, v[32:33], off
	s_lshl_b64 s[12:13], s[12:13], 1
	s_add_i32 s9, s4, 0xfffff940
	v_addc_co_u32_e32 v71, vcc, v1, v71, vcc
	s_cmp_lt_i32 s9, s10
	v_add_co_u32_e32 v72, vcc, s12, v0
	s_cselect_b32 s12, s9, s11
	v_mov_b32_e32 v73, s13
	s_ashr_i32 s13, s12, 31
	s_lshl_b64 s[12:13], s[12:13], 1
	s_add_i32 s9, s4, 0xfffff980
	global_load_ushort v30, v[34:35], off
	global_load_ushort v31, v[36:37], off
	;; [unrolled: 1-line block ×4, first 2 shown]
	v_addc_co_u32_e32 v73, vcc, v1, v73, vcc
	s_cmp_lt_i32 s9, s10
	v_add_co_u32_e32 v74, vcc, s12, v0
	s_cselect_b32 s12, s9, s11
	v_mov_b32_e32 v75, s13
	s_ashr_i32 s13, s12, 31
	s_lshl_b64 s[12:13], s[12:13], 1
	s_add_i32 s9, s4, 0xfffff9c0
	v_addc_co_u32_e32 v75, vcc, v1, v75, vcc
	s_cmp_lt_i32 s9, s10
	v_add_co_u32_e32 v76, vcc, s12, v0
	s_cselect_b32 s12, s9, s11
	v_mov_b32_e32 v77, s13
	s_ashr_i32 s13, s12, 31
	s_lshl_b64 s[12:13], s[12:13], 1
	s_add_i32 s9, s4, 0xfffffa00
	v_addc_co_u32_e32 v77, vcc, v1, v77, vcc
	s_cmp_lt_i32 s9, s10
	v_add_co_u32_e32 v78, vcc, s12, v0
	s_cselect_b32 s12, s9, s11
	global_load_ushort v34, v[42:43], off
	global_load_ushort v35, v[44:45], off
	v_mov_b32_e32 v79, s13
	s_ashr_i32 s13, s12, 31
	s_lshl_b64 s[12:13], s[12:13], 1
	s_add_i32 s9, s4, 0xfffffa40
	v_addc_co_u32_e32 v79, vcc, v1, v79, vcc
	s_cmp_lt_i32 s9, s10
	v_add_co_u32_e32 v80, vcc, s12, v0
	s_cselect_b32 s12, s9, s11
	v_mov_b32_e32 v81, s13
	s_ashr_i32 s13, s12, 31
	global_load_ushort v38, v[46:47], off
	s_lshl_b64 s[12:13], s[12:13], 1
	s_add_i32 s9, s4, 0xfffffa80
	v_mov_b32_e32 v37, s5
	v_addc_co_u32_e32 v81, vcc, v1, v81, vcc
	s_cmp_lt_i32 s9, s10
	ds_read_b128 v[14:17], v37
	ds_read_b128 v[18:21], v37 offset:16
	global_load_ushort v39, v[48:49], off
	v_add_co_u32_e32 v82, vcc, s12, v0
	s_cselect_b32 s12, s9, s11
	v_mov_b32_e32 v83, s13
	s_ashr_i32 s13, s12, 31
	s_lshl_b64 s[12:13], s[12:13], 1
	s_add_i32 s9, s4, 0xfffffac0
	v_addc_co_u32_e32 v83, vcc, v1, v83, vcc
	s_cmp_lt_i32 s9, s10
	s_waitcnt vmcnt(23)
	v_lshlrev_b32_e32 v36, 16, v120
	v_add_co_u32_e32 v84, vcc, s12, v0
	s_cselect_b32 s12, s9, s11
	ds_read_b128 v[22:25], v37 offset:32
	ds_read_b128 v[26:29], v37 offset:48
	s_waitcnt lgkmcnt(3)
	v_fmac_f32_e32 v119, v14, v36
	global_load_ushort v36, v[50:51], off
	global_load_ushort v40, v[52:53], off
	;; [unrolled: 1-line block ×6, first 2 shown]
	v_mov_b32_e32 v85, s13
	s_ashr_i32 s13, s12, 31
	s_lshl_b64 s[12:13], s[12:13], 1
	s_add_i32 s9, s4, 0xfffffb00
	v_addc_co_u32_e32 v85, vcc, v1, v85, vcc
	s_cmp_lt_i32 s9, s10
	v_add_co_u32_e32 v86, vcc, s12, v0
	s_cselect_b32 s12, s9, s11
	v_mov_b32_e32 v87, s13
	s_ashr_i32 s13, s12, 31
	s_lshl_b64 s[12:13], s[12:13], 1
	s_add_i32 s9, s4, 0xfffffb40
	v_addc_co_u32_e32 v87, vcc, v1, v87, vcc
	s_cmp_lt_i32 s9, s10
	v_add_co_u32_e32 v88, vcc, s12, v0
	s_cselect_b32 s12, s9, s11
	;; [unrolled: 8-line block ×7, first 2 shown]
	v_mov_b32_e32 v99, s13
	s_ashr_i32 s13, s12, 31
	s_lshl_b64 s[12:13], s[12:13], 1
	s_add_i32 s9, s4, 0xfffffcc0
	v_addc_co_u32_e32 v99, vcc, v1, v99, vcc
	s_cmp_lt_i32 s9, s10
	s_waitcnt vmcnt(25)
	v_lshlrev_b32_e32 v14, 16, v121
	v_add_co_u32_e32 v100, vcc, s12, v0
	s_cselect_b32 s12, s9, s11
	v_fmac_f32_e32 v119, v15, v14
	v_lshlrev_b32_e32 v14, 16, v122
	v_mov_b32_e32 v101, s13
	s_ashr_i32 s13, s12, 31
	v_fmac_f32_e32 v119, v16, v14
	v_lshlrev_b32_e32 v14, 16, v123
	s_lshl_b64 s[12:13], s[12:13], 1
	s_add_i32 s9, s4, 0xfffffd00
	v_fmac_f32_e32 v119, v17, v14
	v_lshlrev_b32_e32 v14, 16, v124
	v_addc_co_u32_e32 v101, vcc, v1, v101, vcc
	s_cmp_lt_i32 s9, s10
	s_waitcnt lgkmcnt(2)
	v_fmac_f32_e32 v119, v18, v14
	s_waitcnt vmcnt(24)
	v_lshlrev_b32_e32 v14, 16, v125
	v_add_co_u32_e32 v102, vcc, s12, v0
	s_cselect_b32 s12, s9, s11
	v_fmac_f32_e32 v119, v19, v14
	s_waitcnt vmcnt(23)
	v_lshlrev_b32_e32 v14, 16, v126
	v_mov_b32_e32 v103, s13
	s_ashr_i32 s13, s12, 31
	v_fmac_f32_e32 v119, v20, v14
	s_waitcnt vmcnt(22)
	v_lshlrev_b32_e32 v14, 16, v127
	s_lshl_b64 s[12:13], s[12:13], 1
	s_add_i32 s9, s4, 0xfffffd40
	v_fmac_f32_e32 v119, v21, v14
	s_waitcnt vmcnt(21)
	v_lshlrev_b32_e32 v14, 16, v128
	v_addc_co_u32_e32 v103, vcc, v1, v103, vcc
	s_cmp_lt_i32 s9, s10
	s_waitcnt lgkmcnt(1)
	v_fmac_f32_e32 v119, v22, v14
	global_load_ushort v22, v[62:63], off
	v_add_co_u32_e32 v104, vcc, s12, v0
	s_cselect_b32 s12, s9, s11
	v_mov_b32_e32 v105, s13
	s_ashr_i32 s13, s12, 31
	s_lshl_b64 s[12:13], s[12:13], 1
	s_add_i32 s9, s4, 0xfffffd80
	s_waitcnt vmcnt(21)
	v_lshlrev_b32_e32 v14, 16, v129
	v_addc_co_u32_e32 v105, vcc, v1, v105, vcc
	s_cmp_lt_i32 s9, s10
	v_fmac_f32_e32 v119, v23, v14
	global_load_ushort v23, v[64:65], off
	v_add_co_u32_e32 v106, vcc, s12, v0
	s_cselect_b32 s12, s9, s11
	s_waitcnt vmcnt(21)
	v_lshlrev_b32_e32 v14, 16, v130
	global_load_ushort v45, v[66:67], off
	v_mov_b32_e32 v107, s13
	s_ashr_i32 s13, s12, 31
	v_fmac_f32_e32 v119, v24, v14
	global_load_ushort v24, v[68:69], off
	s_waitcnt vmcnt(22)
	v_lshlrev_b32_e32 v14, 16, v131
	s_lshl_b64 s[12:13], s[12:13], 1
	s_add_i32 s9, s4, 0xfffffdc0
	v_fmac_f32_e32 v119, v25, v14
	global_load_ushort v25, v[70:71], off
	global_load_ushort v46, v[72:73], off
	v_addc_co_u32_e32 v107, vcc, v1, v107, vcc
	s_cmp_lt_i32 s9, s10
	s_waitcnt vmcnt(23)
	v_lshlrev_b32_e32 v14, 16, v132
	v_add_co_u32_e32 v110, vcc, s12, v0
	s_cselect_b32 s12, s9, s11
	s_waitcnt lgkmcnt(0)
	v_fmac_f32_e32 v119, v26, v14
	global_load_ushort v26, v[74:75], off
	global_load_ushort v47, v[76:77], off
	v_mov_b32_e32 v108, s13
	s_ashr_i32 s13, s12, 31
	s_waitcnt vmcnt(24)
	v_lshlrev_b32_e32 v14, 16, v133
	s_lshl_b64 s[12:13], s[12:13], 1
	s_add_i32 s9, s4, 0xfffffe00
	v_fmac_f32_e32 v119, v27, v14
	global_load_ushort v27, v[78:79], off
	v_addc_co_u32_e32 v111, vcc, v1, v108, vcc
	s_cmp_lt_i32 s9, s10
	v_add_co_u32_e32 v108, vcc, s12, v0
	s_cselect_b32 s12, s9, s11
	s_waitcnt vmcnt(24)
	v_lshlrev_b32_e32 v14, 16, v134
	v_mov_b32_e32 v109, s13
	s_ashr_i32 s13, s12, 31
	v_fmac_f32_e32 v119, v28, v14
	global_load_ushort v28, v[80:81], off
	s_waitcnt vmcnt(24)
	v_lshlrev_b32_e32 v14, 16, v135
	s_lshl_b64 s[12:13], s[12:13], 1
	s_add_i32 s9, s4, 0xfffffe40
	v_fmac_f32_e32 v119, v29, v14
	ds_read_b128 v[14:17], v37 offset:64
	ds_read_b128 v[18:21], v37 offset:80
	v_addc_co_u32_e32 v109, vcc, v1, v109, vcc
	s_cmp_lt_i32 s9, s10
	global_load_ushort v48, v[82:83], off
	global_load_ushort v29, v[84:85], off
	;; [unrolled: 1-line block ×4, first 2 shown]
	v_add_co_u32_e32 v114, vcc, s12, v0
	s_cselect_b32 s12, s9, s11
	v_mov_b32_e32 v112, s13
	s_ashr_i32 s13, s12, 31
	s_lshl_b64 s[12:13], s[12:13], 1
	s_add_i32 s9, s4, 0xfffffe80
	s_waitcnt vmcnt(27)
	v_lshlrev_b32_e32 v30, 16, v30
	v_addc_co_u32_e32 v115, vcc, v1, v112, vcc
	s_cmp_lt_i32 s9, s10
	s_waitcnt lgkmcnt(1)
	v_fmac_f32_e32 v119, v14, v30
	global_load_ushort v30, v[90:91], off
	v_add_co_u32_e32 v112, vcc, s12, v0
	s_cselect_b32 s12, s9, s11
	s_waitcnt vmcnt(27)
	v_lshlrev_b32_e32 v14, 16, v31
	global_load_ushort v31, v[92:93], off
	global_load_ushort v51, v[94:95], off
	v_mov_b32_e32 v113, s13
	s_ashr_i32 s13, s12, 31
	s_lshl_b64 s[12:13], s[12:13], 1
	s_add_i32 s9, s4, 0xfffffec0
	v_addc_co_u32_e32 v113, vcc, v1, v113, vcc
	s_cmp_lt_i32 s9, s10
	v_add_co_u32_e32 v116, vcc, s12, v0
	s_cselect_b32 s12, s9, s11
	v_mov_b32_e32 v117, s13
	s_ashr_i32 s13, s12, 31
	v_fmac_f32_e32 v119, v15, v14
	s_waitcnt vmcnt(28)
	v_lshlrev_b32_e32 v14, 16, v32
	global_load_ushort v32, v[96:97], off
	s_lshl_b64 s[12:13], s[12:13], 1
	s_add_i32 s9, s4, 0xffffff00
	v_fmac_f32_e32 v119, v16, v14
	s_waitcnt vmcnt(28)
	v_lshlrev_b32_e32 v14, 16, v33
	global_load_ushort v33, v[98:99], off
	v_addc_co_u32_e32 v117, vcc, v1, v117, vcc
	s_cmp_lt_i32 s9, s10
	v_fmac_f32_e32 v119, v17, v14
	s_waitcnt vmcnt(28)
	v_lshlrev_b32_e32 v14, 16, v34
	global_load_ushort v34, v[100:101], off
	global_load_ushort v52, v[102:103], off
	v_add_co_u32_e32 v2, vcc, s12, v0
	s_cselect_b32 s12, s9, s11
	v_mov_b32_e32 v4, s13
	s_ashr_i32 s13, s12, 31
	s_lshl_b64 s[12:13], s[12:13], 1
	s_add_i32 s9, s4, 0xffffff40
	s_waitcnt lgkmcnt(0)
	v_fmac_f32_e32 v119, v18, v14
	s_waitcnt vmcnt(29)
	v_lshlrev_b32_e32 v14, 16, v35
	global_load_ushort v35, v[104:105], off
	global_load_ushort v53, v[106:107], off
	;; [unrolled: 1-line block ×3, first 2 shown]
	v_addc_co_u32_e32 v3, vcc, v1, v4, vcc
	s_cmp_lt_i32 s9, s10
	v_add_co_u32_e32 v4, vcc, s12, v0
	s_cselect_b32 s12, s9, s11
	v_mov_b32_e32 v5, s13
	s_ashr_i32 s13, s12, 31
	v_fmac_f32_e32 v119, v19, v14
	s_waitcnt vmcnt(31)
	v_lshlrev_b32_e32 v14, 16, v38
	global_load_ushort v38, v[108:109], off
	global_load_ushort v55, v[114:115], off
	s_lshl_b64 s[12:13], s[12:13], 1
	s_add_i32 s9, s4, 0xffffff80
	v_addc_co_u32_e32 v5, vcc, v1, v5, vcc
	s_cmp_lt_i32 s9, s10
	v_fmac_f32_e32 v119, v20, v14
	s_waitcnt vmcnt(32)
	v_lshlrev_b32_e32 v14, 16, v39
	v_add_co_u32_e32 v6, vcc, s12, v0
	s_cselect_b32 s12, s9, s11
	v_fmac_f32_e32 v119, v21, v14
	ds_read_b128 v[14:17], v37 offset:96
	v_mov_b32_e32 v7, s13
	s_ashr_i32 s13, s12, 31
	s_lshl_b64 s[12:13], s[12:13], 1
	s_sub_i32 s9, s4, 64
	v_addc_co_u32_e32 v7, vcc, v1, v7, vcc
	s_cmp_lt_i32 s9, s10
	global_load_ushort v39, v[112:113], off
	global_load_ushort v56, v[116:117], off
	v_add_co_u32_e32 v10, vcc, s12, v0
	s_cselect_b32 s12, s9, s11
	s_waitcnt vmcnt(33)
	v_lshlrev_b32_e32 v36, 16, v36
	v_mov_b32_e32 v8, s13
	s_ashr_i32 s13, s12, 31
	s_waitcnt lgkmcnt(0)
	v_fmac_f32_e32 v119, v14, v36
	s_waitcnt vmcnt(32)
	v_lshlrev_b32_e32 v14, 16, v40
	s_lshl_b64 s[12:13], s[12:13], 1
	ds_read_b128 v[18:21], v37 offset:112
	v_fmac_f32_e32 v119, v15, v14
	global_load_ushort v14, v[2:3], off
	global_load_ushort v15, v[4:5], off
	v_addc_co_u32_e32 v11, vcc, v1, v8, vcc
	s_cmp_lt_i32 s4, s10
	v_add_co_u32_e32 v8, vcc, s12, v0
	s_cselect_b32 s12, s4, s11
	s_waitcnt vmcnt(33)
	v_lshlrev_b32_e32 v2, 16, v41
	v_mov_b32_e32 v9, s13
	s_ashr_i32 s13, s12, 31
	v_fmac_f32_e32 v119, v16, v2
	global_load_ushort v16, v[6:7], off
	global_load_ushort v36, v[10:11], off
	v_addc_co_u32_e32 v9, vcc, v1, v9, vcc
	s_lshl_b64 s[12:13], s[12:13], 1
	s_waitcnt vmcnt(34)
	v_lshlrev_b32_e32 v2, 16, v42
	v_mov_b32_e32 v13, s13
	v_add_co_u32_e32 v12, vcc, s12, v0
	v_fmac_f32_e32 v119, v17, v2
	s_waitcnt vmcnt(33)
	v_lshlrev_b32_e32 v2, 16, v43
	v_addc_co_u32_e32 v13, vcc, v1, v13, vcc
	s_waitcnt lgkmcnt(0)
	v_fmac_f32_e32 v119, v18, v2
	global_load_ushort v17, v[8:9], off
	global_load_ushort v18, v[12:13], off
	s_waitcnt vmcnt(34)
	v_lshlrev_b32_e32 v2, 16, v44
	v_fmac_f32_e32 v119, v19, v2
	s_waitcnt vmcnt(33)
	v_lshlrev_b32_e32 v2, 16, v22
	v_fmac_f32_e32 v119, v20, v2
	ds_read_b128 v[2:5], v37 offset:128
	s_waitcnt vmcnt(32)
	v_lshlrev_b32_e32 v6, 16, v23
	v_fmac_f32_e32 v119, v21, v6
	ds_read_b128 v[6:9], v37 offset:144
	s_waitcnt vmcnt(31)
	v_lshlrev_b32_e32 v10, 16, v45
	s_waitcnt lgkmcnt(1)
	v_fmac_f32_e32 v119, v2, v10
	s_waitcnt vmcnt(30)
	v_lshlrev_b32_e32 v2, 16, v24
	v_fmac_f32_e32 v119, v3, v2
	s_waitcnt vmcnt(29)
	v_lshlrev_b32_e32 v2, 16, v25
	v_fmac_f32_e32 v119, v4, v2
	s_waitcnt vmcnt(28)
	v_lshlrev_b32_e32 v2, 16, v46
	v_fmac_f32_e32 v119, v5, v2
	s_waitcnt vmcnt(27)
	v_lshlrev_b32_e32 v2, 16, v26
	s_waitcnt lgkmcnt(0)
	v_fmac_f32_e32 v119, v6, v2
	s_waitcnt vmcnt(26)
	v_lshlrev_b32_e32 v2, 16, v47
	v_fmac_f32_e32 v119, v7, v2
	s_waitcnt vmcnt(25)
	v_lshlrev_b32_e32 v2, 16, v27
	v_fmac_f32_e32 v119, v8, v2
	ds_read_b128 v[2:5], v37 offset:160
	s_waitcnt vmcnt(24)
	v_lshlrev_b32_e32 v6, 16, v28
	v_fmac_f32_e32 v119, v9, v6
	ds_read_b128 v[6:9], v37 offset:176
	s_waitcnt vmcnt(23)
	v_lshlrev_b32_e32 v10, 16, v48
	s_waitcnt lgkmcnt(1)
	v_fmac_f32_e32 v119, v2, v10
	s_waitcnt vmcnt(22)
	v_lshlrev_b32_e32 v2, 16, v29
	v_fmac_f32_e32 v119, v3, v2
	s_waitcnt vmcnt(21)
	v_lshlrev_b32_e32 v2, 16, v49
	;; [unrolled: 3-line block ×4, first 2 shown]
	s_waitcnt lgkmcnt(0)
	v_fmac_f32_e32 v119, v6, v2
	s_waitcnt vmcnt(18)
	v_lshlrev_b32_e32 v2, 16, v31
	v_fmac_f32_e32 v119, v7, v2
	s_waitcnt vmcnt(17)
	v_lshlrev_b32_e32 v2, 16, v51
	v_fmac_f32_e32 v119, v8, v2
	ds_read_b128 v[2:5], v37 offset:192
	s_waitcnt vmcnt(16)
	v_lshlrev_b32_e32 v6, 16, v32
	v_fmac_f32_e32 v119, v9, v6
	ds_read_b128 v[6:9], v37 offset:208
	s_waitcnt vmcnt(15)
	v_lshlrev_b32_e32 v10, 16, v33
	s_waitcnt lgkmcnt(1)
	v_fmac_f32_e32 v119, v2, v10
	s_waitcnt vmcnt(14)
	v_lshlrev_b32_e32 v2, 16, v34
	v_fmac_f32_e32 v119, v3, v2
	s_waitcnt vmcnt(13)
	v_lshlrev_b32_e32 v2, 16, v52
	;; [unrolled: 3-line block ×4, first 2 shown]
	v_lshlrev_b32_e32 v2, 16, v53
	s_waitcnt lgkmcnt(0)
	v_pk_mul_f32 v[2:3], v[6:7], v[2:3]
	v_add_f32_e32 v2, v119, v2
	v_add_f32_e32 v4, v2, v3
	s_waitcnt vmcnt(8)
	v_lshlrev_b32_e32 v3, 16, v55
	v_lshlrev_b32_e32 v2, 16, v38
	v_pk_mul_f32 v[6:7], v[8:9], v[2:3]
	v_add_f32_e32 v6, v4, v6
	ds_read_b128 v[2:5], v37 offset:224
	s_waitcnt vmcnt(6)
	v_lshlrev_b32_e32 v11, 16, v56
	v_lshlrev_b32_e32 v10, 16, v39
	v_add_f32_e32 v12, v6, v7
	ds_read_b128 v[6:9], v37 offset:240
	s_waitcnt lgkmcnt(1)
	v_pk_mul_f32 v[2:3], v[2:3], v[10:11]
	v_add_f32_e32 v2, v12, v2
	v_add_f32_e32 v10, v2, v3
	s_waitcnt vmcnt(4)
	v_lshlrev_b32_e32 v3, 16, v15
	v_lshlrev_b32_e32 v2, 16, v14
	v_pk_mul_f32 v[2:3], v[4:5], v[2:3]
	v_add_f32_e32 v2, v10, v2
	v_add_f32_e32 v4, v2, v3
	s_waitcnt vmcnt(2)
	v_lshlrev_b32_e32 v3, 16, v36
	v_lshlrev_b32_e32 v2, 16, v16
	s_waitcnt lgkmcnt(0)
	v_pk_mul_f32 v[2:3], v[6:7], v[2:3]
	v_add_f32_e32 v2, v4, v2
	v_add_f32_e32 v4, v2, v3
	s_waitcnt vmcnt(0)
	v_lshlrev_b32_e32 v3, 16, v18
	v_lshlrev_b32_e32 v2, 16, v17
	v_pk_mul_f32 v[2:3], v[8:9], v[2:3]
	v_add_f32_e32 v2, v4, v2
	v_add_f32_e32 v119, v2, v3
	s_branch .LBB226_16
.LBB226_19:
	v_mov_b32_e32 v0, 0
	ds_read_b32 v0, v0 offset:3840
	s_cmp_lg_u64 s[2:3], 0
	s_cbranch_scc0 .LBB226_28
; %bb.20:
	s_load_dword s4, s[2:3], 0x0
	s_waitcnt lgkmcnt(0)
	v_div_scale_f32 v1, s[2:3], s4, s4, 1.0
	v_rcp_f32_e32 v2, v1
	v_div_scale_f32 v3, vcc, 1.0, s4, 1.0
	v_fma_f32 v4, -v1, v2, 1.0
	v_fmac_f32_e32 v2, v4, v2
	v_mul_f32_e32 v4, v3, v2
	v_fma_f32 v5, -v1, v4, v3
	v_fmac_f32_e32 v4, v5, v2
	v_fma_f32 v1, -v1, v4, v3
	v_div_fmas_f32 v1, v1, v2, v4
	v_div_fixup_f32 v1, v1, s4, 1.0
	s_andn2_b64 vcc, exec, s[48:49]
	s_cbranch_vccnz .LBB226_22
.LBB226_21:
	s_add_u32 s2, s46, s50
	s_addc_u32 s3, s47, s51
	s_load_dword s44, s[2:3], 0x0
	s_mov_b32 s45, 0
.LBB226_22:
	s_waitcnt lgkmcnt(0)
	v_add_f32_e32 v0, 0x358637bd, v0
	v_div_scale_f32 v2, s[2:3], v0, v0, 1.0
	v_rcp_f32_e32 v3, v2
	v_div_scale_f32 v4, vcc, 1.0, v0, 1.0
	s_mov_b32 s2, 0x7f800000
	v_fma_f32 v5, -v2, v3, 1.0
	v_fmac_f32_e32 v3, v5, v3
	v_mul_f32_e32 v5, v4, v3
	v_fma_f32 v6, -v2, v5, v4
	v_fmac_f32_e32 v5, v6, v3
	v_fma_f32 v2, -v2, v5, v4
	v_div_fmas_f32 v2, v2, v3, v5
	v_div_fixup_f32 v0, v2, v0, 1.0
	v_mul_f32_e32 v0, v119, v0
	v_mul_f32_e32 v1, v0, v1
	v_and_b32_e32 v0, 0x7f800000, v1
	v_cmp_ne_u32_e32 vcc, s2, v0
                                        ; implicit-def: $vgpr0
	s_and_saveexec_b64 s[2:3], vcc
	s_xor_b64 s[2:3], exec, s[2:3]
; %bb.23:
	v_bfe_u32 v0, v1, 16, 1
	s_movk_i32 s4, 0x7fff
	v_add3_u32 v0, v1, v0, s4
                                        ; implicit-def: $vgpr1
; %bb.24:
	s_andn2_saveexec_b64 s[2:3], s[2:3]
; %bb.25:
	v_mov_b32_e32 v0, 0
	v_or_b32_e32 v2, 0x10000, v1
	v_cmp_eq_u32_sdwa vcc, v1, v0 src0_sel:WORD_0 src1_sel:DWORD
	v_cndmask_b32_e32 v0, v2, v1, vcc
; %bb.26:
	s_or_b64 exec, exec, s[2:3]
	s_mul_i32 s2, s7, s45
	s_mul_hi_u32 s3, s7, s44
	s_add_i32 s3, s3, s2
	s_mul_i32 s2, s7, s44
	s_lshl_b64 s[2:3], s[2:3], 7
	s_add_u32 s2, s0, s2
	s_mov_b32 s7, 0
	s_addc_u32 s3, s1, s3
	s_lshl_b64 s[0:1], s[6:7], 7
	s_add_u32 s0, s2, s0
	s_addc_u32 s1, s3, s1
	global_store_short_d16_hi v118, v0, s[0:1]
	s_endpgm
.LBB226_27:
	s_mov_b64 s[2:3], 0
	s_branch .LBB226_2
.LBB226_28:
	v_mov_b32_e32 v1, 1.0
	s_andn2_b64 vcc, exec, s[48:49]
	s_cbranch_vccz .LBB226_21
	s_branch .LBB226_22
	.section	.rodata,"a",@progbits
	.p2align	6, 0x0
	.amdhsa_kernel _Z35paged_attention_ll4mi_reduce_kernelI14__hip_bfloat16S0_Li64ELi64ELi256ELi15EEvPT0_PKfS4_PKT_PKiS9_iS4_
		.amdhsa_group_segment_fixed_size 3844
		.amdhsa_private_segment_fixed_size 0
		.amdhsa_kernarg_size 320
		.amdhsa_user_sgpr_count 6
		.amdhsa_user_sgpr_private_segment_buffer 1
		.amdhsa_user_sgpr_dispatch_ptr 0
		.amdhsa_user_sgpr_queue_ptr 0
		.amdhsa_user_sgpr_kernarg_segment_ptr 1
		.amdhsa_user_sgpr_dispatch_id 0
		.amdhsa_user_sgpr_flat_scratch_init 0
		.amdhsa_user_sgpr_kernarg_preload_length 0
		.amdhsa_user_sgpr_kernarg_preload_offset 0
		.amdhsa_user_sgpr_private_segment_size 0
		.amdhsa_uses_dynamic_stack 0
		.amdhsa_system_sgpr_private_segment_wavefront_offset 0
		.amdhsa_system_sgpr_workgroup_id_x 1
		.amdhsa_system_sgpr_workgroup_id_y 1
		.amdhsa_system_sgpr_workgroup_id_z 0
		.amdhsa_system_sgpr_workgroup_info 0
		.amdhsa_system_vgpr_workitem_id 0
		.amdhsa_next_free_vgpr 136
		.amdhsa_next_free_sgpr 59
		.amdhsa_accum_offset 136
		.amdhsa_reserve_vcc 1
		.amdhsa_reserve_flat_scratch 0
		.amdhsa_float_round_mode_32 0
		.amdhsa_float_round_mode_16_64 0
		.amdhsa_float_denorm_mode_32 3
		.amdhsa_float_denorm_mode_16_64 3
		.amdhsa_dx10_clamp 1
		.amdhsa_ieee_mode 1
		.amdhsa_fp16_overflow 0
		.amdhsa_tg_split 0
		.amdhsa_exception_fp_ieee_invalid_op 0
		.amdhsa_exception_fp_denorm_src 0
		.amdhsa_exception_fp_ieee_div_zero 0
		.amdhsa_exception_fp_ieee_overflow 0
		.amdhsa_exception_fp_ieee_underflow 0
		.amdhsa_exception_fp_ieee_inexact 0
		.amdhsa_exception_int_div_zero 0
	.end_amdhsa_kernel
	.section	.text._Z35paged_attention_ll4mi_reduce_kernelI14__hip_bfloat16S0_Li64ELi64ELi256ELi15EEvPT0_PKfS4_PKT_PKiS9_iS4_,"axG",@progbits,_Z35paged_attention_ll4mi_reduce_kernelI14__hip_bfloat16S0_Li64ELi64ELi256ELi15EEvPT0_PKfS4_PKT_PKiS9_iS4_,comdat
.Lfunc_end226:
	.size	_Z35paged_attention_ll4mi_reduce_kernelI14__hip_bfloat16S0_Li64ELi64ELi256ELi15EEvPT0_PKfS4_PKT_PKiS9_iS4_, .Lfunc_end226-_Z35paged_attention_ll4mi_reduce_kernelI14__hip_bfloat16S0_Li64ELi64ELi256ELi15EEvPT0_PKfS4_PKT_PKiS9_iS4_
                                        ; -- End function
	.section	.AMDGPU.csdata,"",@progbits
; Kernel info:
; codeLenInByte = 11956
; NumSgprs: 63
; NumVgprs: 136
; NumAgprs: 0
; TotalNumVgprs: 136
; ScratchSize: 0
; MemoryBound: 0
; FloatMode: 240
; IeeeMode: 1
; LDSByteSize: 3844 bytes/workgroup (compile time only)
; SGPRBlocks: 7
; VGPRBlocks: 16
; NumSGPRsForWavesPerEU: 63
; NumVGPRsForWavesPerEU: 136
; AccumOffset: 136
; Occupancy: 3
; WaveLimiterHint : 1
; COMPUTE_PGM_RSRC2:SCRATCH_EN: 0
; COMPUTE_PGM_RSRC2:USER_SGPR: 6
; COMPUTE_PGM_RSRC2:TRAP_HANDLER: 0
; COMPUTE_PGM_RSRC2:TGID_X_EN: 1
; COMPUTE_PGM_RSRC2:TGID_Y_EN: 1
; COMPUTE_PGM_RSRC2:TGID_Z_EN: 0
; COMPUTE_PGM_RSRC2:TIDIG_COMP_CNT: 0
; COMPUTE_PGM_RSRC3_GFX90A:ACCUM_OFFSET: 33
; COMPUTE_PGM_RSRC3_GFX90A:TG_SPLIT: 0
	.section	.text._Z35paged_attention_ll4mi_reduce_kernelI14__hip_bfloat16S0_Li64ELi64ELi256ELi16EEvPT0_PKfS4_PKT_PKiS9_iS4_,"axG",@progbits,_Z35paged_attention_ll4mi_reduce_kernelI14__hip_bfloat16S0_Li64ELi64ELi256ELi16EEvPT0_PKfS4_PKT_PKiS9_iS4_,comdat
	.protected	_Z35paged_attention_ll4mi_reduce_kernelI14__hip_bfloat16S0_Li64ELi64ELi256ELi16EEvPT0_PKfS4_PKT_PKiS9_iS4_ ; -- Begin function _Z35paged_attention_ll4mi_reduce_kernelI14__hip_bfloat16S0_Li64ELi64ELi256ELi16EEvPT0_PKfS4_PKT_PKiS9_iS4_
	.globl	_Z35paged_attention_ll4mi_reduce_kernelI14__hip_bfloat16S0_Li64ELi64ELi256ELi16EEvPT0_PKfS4_PKT_PKiS9_iS4_
	.p2align	8
	.type	_Z35paged_attention_ll4mi_reduce_kernelI14__hip_bfloat16S0_Li64ELi64ELi256ELi16EEvPT0_PKfS4_PKT_PKiS9_iS4_,@function
_Z35paged_attention_ll4mi_reduce_kernelI14__hip_bfloat16S0_Li64ELi64ELi256ELi16EEvPT0_PKfS4_PKT_PKiS9_iS4_: ; @_Z35paged_attention_ll4mi_reduce_kernelI14__hip_bfloat16S0_Li64ELi64ELi256ELi16EEvPT0_PKfS4_PKT_PKiS9_iS4_
; %bb.0:
	s_load_dwordx2 s[48:49], s[4:5], 0x28
	s_mov_b32 s38, s7
	s_mov_b64 s[0:1], 0
	s_waitcnt lgkmcnt(0)
	s_cmp_lg_u64 s[48:49], 0
	s_cselect_b64 s[50:51], -1, 0
	s_and_b64 vcc, exec, s[50:51]
	s_cbranch_vccz .LBB227_27
; %bb.1:
	s_add_i32 s2, s38, 1
	s_mov_b32 s3, 0
	s_lshl_b64 s[8:9], s[2:3], 2
	s_add_u32 s8, s48, s8
	s_mov_b32 s39, s3
	s_addc_u32 s9, s49, s9
	s_lshl_b64 s[2:3], s[38:39], 2
	s_add_u32 s2, s48, s2
	s_addc_u32 s3, s49, s3
	s_load_dword s7, s[8:9], 0x0
	s_load_dword s10, s[2:3], 0x0
	s_waitcnt lgkmcnt(0)
	s_sub_i32 s2, s7, s10
	s_cmp_eq_u32 s2, 1
	s_cselect_b64 s[2:3], -1, 0
	s_andn2_b64 vcc, exec, s[0:1]
	s_cbranch_vccnz .LBB227_3
.LBB227_2:
	s_mov_b32 s39, 0
	s_mov_b64 s[2:3], -1
.LBB227_3:
	s_andn2_b64 vcc, exec, s[2:3]
	s_cbranch_vccz .LBB227_5
; %bb.4:
	s_endpgm
.LBB227_5:
	s_load_dwordx4 s[40:43], s[4:5], 0x18
	s_load_dword s8, s[4:5], 0x30
	s_lshl_b64 s[52:53], s[38:39], 2
	v_cmp_lt_u32_e32 vcc, 63, v0
	s_waitcnt lgkmcnt(0)
	s_add_u32 s0, s42, s52
	s_addc_u32 s1, s43, s53
	s_load_dword s60, s[0:1], 0x0
	s_load_dword s7, s[4:5], 0x40
	s_mul_i32 s42, s6, s8
	s_mul_i32 s2, s38, s8
	s_waitcnt lgkmcnt(0)
	s_add_i32 s3, s60, 0xff
	s_ashr_i32 s0, s3, 31
	s_lshr_b32 s0, s0, 24
	s_add_i32 s3, s3, s0
	s_and_saveexec_b64 s[0:1], vcc
	s_xor_b64 s[0:1], exec, s[0:1]
	s_or_saveexec_b64 s[54:55], s[0:1]
	s_ashr_i32 s33, s3, 8
	v_mov_b32_e32 v1, s42
	s_mul_i32 s56, s2, s7
	s_xor_b64 exec, exec, s[54:55]
	s_cbranch_execz .LBB227_9
; %bb.6:
	s_add_i32 s0, s33, -1
	v_or_b32_e32 v3, 64, v0
	v_mov_b32_e32 v1, s0
	v_cmp_gt_u32_e64 s[30:31], s33, v3
	v_cndmask_b32_e64 v4, v1, v3, s[30:31]
	v_or_b32_e32 v3, 0x80, v0
	v_cmp_gt_u32_e64 s[28:29], s33, v3
	v_cndmask_b32_e64 v6, v1, v3, s[28:29]
	v_or_b32_e32 v3, 0xc0, v0
	v_cmp_gt_u32_e64 s[26:27], s33, v3
	v_cndmask_b32_e64 v8, v1, v3, s[26:27]
	v_or_b32_e32 v3, 0x100, v0
	v_cmp_gt_u32_e64 s[24:25], s33, v3
	v_cndmask_b32_e64 v10, v1, v3, s[24:25]
	v_or_b32_e32 v3, 0x140, v0
	v_cmp_gt_u32_e64 s[22:23], s33, v3
	v_cndmask_b32_e64 v12, v1, v3, s[22:23]
	v_or_b32_e32 v3, 0x180, v0
	v_cmp_gt_u32_e64 s[20:21], s33, v3
	v_cndmask_b32_e64 v14, v1, v3, s[20:21]
	v_or_b32_e32 v3, 0x1c0, v0
	v_cmp_gt_u32_e64 s[16:17], s33, v3
	v_cndmask_b32_e64 v16, v1, v3, s[16:17]
	v_or_b32_e32 v3, 0x200, v0
	v_cmp_gt_u32_e64 s[12:13], s33, v3
	v_cndmask_b32_e64 v18, v1, v3, s[12:13]
	v_or_b32_e32 v3, 0x240, v0
	v_cmp_gt_u32_e64 s[8:9], s33, v3
	v_cndmask_b32_e64 v20, v1, v3, s[8:9]
	v_or_b32_e32 v3, 0x280, v0
	v_cmp_gt_u32_e64 s[2:3], s33, v3
	v_cndmask_b32_e64 v22, v1, v3, s[2:3]
	v_or_b32_e32 v3, 0x2c0, v0
	v_cmp_gt_u32_e64 s[18:19], s33, v3
	v_cndmask_b32_e64 v24, v1, v3, s[18:19]
	v_or_b32_e32 v3, 0x300, v0
	s_load_dwordx4 s[44:47], s[4:5], 0x8
	v_cmp_gt_u32_e64 s[14:15], s33, v3
	v_cndmask_b32_e64 v26, v1, v3, s[14:15]
	v_or_b32_e32 v3, 0x340, v0
	v_cmp_gt_u32_e64 s[10:11], s33, v3
	s_mov_b32 s57, 0
	v_cndmask_b32_e64 v28, v1, v3, s[10:11]
	v_or_b32_e32 v3, 0x380, v0
	v_cmp_gt_u32_e64 s[0:1], s33, v3
	s_lshl_b64 s[58:59], s[56:57], 2
	s_mov_b32 s43, s57
	v_cmp_gt_u32_e64 s[34:35], s33, v0
	v_cndmask_b32_e64 v30, v1, v3, s[0:1]
	v_or_b32_e32 v3, 0x3c0, v0
	s_waitcnt lgkmcnt(0)
	s_add_u32 s36, s46, s58
	v_cndmask_b32_e64 v2, v1, v0, s[34:35]
	v_cmp_gt_u32_e32 vcc, s33, v3
	s_addc_u32 s37, s47, s59
	s_lshl_b64 s[46:47], s[42:43], 2
	v_cndmask_b32_e32 v32, v1, v3, vcc
	s_add_u32 s43, s36, s46
	v_ashrrev_i32_e32 v3, 31, v2
	s_addc_u32 s57, s37, s47
	v_lshlrev_b64 v[34:35], 2, v[2:3]
	v_mov_b32_e32 v1, s57
	v_add_co_u32_e64 v2, s[36:37], s43, v34
	v_ashrrev_i32_e32 v5, 31, v4
	v_addc_co_u32_e64 v3, s[36:37], v1, v35, s[36:37]
	v_lshlrev_b64 v[36:37], 2, v[4:5]
	v_add_co_u32_e64 v4, s[36:37], s43, v36
	v_ashrrev_i32_e32 v7, 31, v6
	v_addc_co_u32_e64 v5, s[36:37], v1, v37, s[36:37]
	v_lshlrev_b64 v[6:7], 2, v[6:7]
	;; [unrolled: 4-line block ×8, first 2 shown]
	global_load_dword v50, v[2:3], off
	global_load_dword v51, v[4:5], off
	;; [unrolled: 1-line block ×8, first 2 shown]
	v_add_co_u32_e64 v2, s[36:37], s43, v18
	v_ashrrev_i32_e32 v21, 31, v20
	v_addc_co_u32_e64 v3, s[36:37], v1, v19, s[36:37]
	v_lshlrev_b64 v[20:21], 2, v[20:21]
	v_add_co_u32_e64 v4, s[36:37], s43, v20
	v_ashrrev_i32_e32 v23, 31, v22
	v_addc_co_u32_e64 v5, s[36:37], v1, v21, s[36:37]
	v_lshlrev_b64 v[22:23], 2, v[22:23]
	;; [unrolled: 4-line block ×7, first 2 shown]
	v_add_co_u32_e64 v46, s[36:37], s43, v32
	v_addc_co_u32_e64 v47, s[36:37], v1, v33, s[36:37]
	global_load_dword v58, v[2:3], off
	global_load_dword v59, v[4:5], off
	;; [unrolled: 1-line block ×6, first 2 shown]
	s_nop 0
	global_load_dword v17, v[44:45], off
	global_load_dword v10, v[46:47], off
	s_waitcnt vmcnt(15)
	v_max_f32_e32 v2, v50, v50
	s_waitcnt vmcnt(14)
	v_max_f32_e32 v1, v51, v51
	v_max_f32_e32 v1, v2, v1
	s_waitcnt vmcnt(12)
	v_max3_f32 v1, v1, v52, v53
	s_waitcnt vmcnt(10)
	v_max3_f32 v1, v1, v54, v55
	;; [unrolled: 2-line block ×7, first 2 shown]
	v_mbcnt_lo_u32_b32 v1, -1, 0
	v_mbcnt_hi_u32_b32 v11, -1, v1
	v_and_b32_e32 v1, 64, v11
	v_add_u32_e32 v16, 64, v1
	v_xor_b32_e32 v1, 32, v11
	v_cmp_lt_i32_e64 s[36:37], v1, v16
	v_cndmask_b32_e64 v1, v11, v1, s[36:37]
	v_lshlrev_b32_e32 v1, 2, v1
	ds_bpermute_b32 v3, v1, v2
	s_waitcnt lgkmcnt(0)
	v_max_f32_e32 v3, v3, v3
	v_max_f32_e32 v3, v2, v3
	v_xor_b32_e32 v2, 16, v11
	v_cmp_lt_i32_e64 s[36:37], v2, v16
	v_cndmask_b32_e64 v2, v11, v2, s[36:37]
	v_lshlrev_b32_e32 v2, 2, v2
	ds_bpermute_b32 v4, v2, v3
	s_waitcnt lgkmcnt(0)
	v_max_f32_e32 v4, v4, v4
	v_max_f32_e32 v4, v3, v4
	v_xor_b32_e32 v3, 8, v11
	v_cmp_lt_i32_e64 s[36:37], v3, v16
	v_cndmask_b32_e64 v3, v11, v3, s[36:37]
	v_lshlrev_b32_e32 v3, 2, v3
	ds_bpermute_b32 v5, v3, v4
	s_waitcnt lgkmcnt(0)
	v_max_f32_e32 v5, v5, v5
	v_max_f32_e32 v5, v4, v5
	v_xor_b32_e32 v4, 4, v11
	v_cmp_lt_i32_e64 s[36:37], v4, v16
	v_cndmask_b32_e64 v4, v11, v4, s[36:37]
	v_lshlrev_b32_e32 v4, 2, v4
	ds_bpermute_b32 v38, v4, v5
	s_waitcnt lgkmcnt(0)
	v_max_f32_e32 v38, v38, v38
	v_max_f32_e32 v38, v5, v38
	v_xor_b32_e32 v5, 2, v11
	v_cmp_lt_i32_e64 s[36:37], v5, v16
	v_cndmask_b32_e64 v5, v11, v5, s[36:37]
	v_lshlrev_b32_e32 v5, 2, v5
	ds_bpermute_b32 v39, v5, v38
	s_waitcnt lgkmcnt(0)
	v_max_f32_e32 v39, v39, v39
	v_max_f32_e32 v44, v38, v39
	v_xor_b32_e32 v38, 1, v11
	v_cmp_lt_i32_e64 s[36:37], v38, v16
	v_cndmask_b32_e64 v11, v11, v38, s[36:37]
	s_add_u32 s36, s44, s58
	s_addc_u32 s37, s45, s59
	s_add_u32 s43, s36, s46
	s_addc_u32 s44, s37, s47
	v_mov_b32_e32 v38, s44
	v_add_co_u32_e64 v34, s[36:37], s43, v34
	v_addc_co_u32_e64 v35, s[36:37], v38, v35, s[36:37]
	v_add_co_u32_e64 v36, s[36:37], s43, v36
	v_addc_co_u32_e64 v37, s[36:37], v38, v37, s[36:37]
	;; [unrolled: 2-line block ×4, first 2 shown]
	v_mov_b32_e32 v39, s44
	v_add_co_u32_e64 v38, s[36:37], s43, v42
	v_addc_co_u32_e64 v39, s[36:37], v39, v43, s[36:37]
	v_mov_b32_e32 v40, s44
	v_add_co_u32_e64 v12, s[36:37], s43, v12
	v_addc_co_u32_e64 v13, s[36:37], v40, v13, s[36:37]
	v_add_co_u32_e64 v14, s[36:37], s43, v14
	v_addc_co_u32_e64 v15, s[36:37], v40, v15, s[36:37]
	v_mov_b32_e32 v41, s44
	v_add_co_u32_e64 v40, s[36:37], s43, v48
	v_addc_co_u32_e64 v41, s[36:37], v41, v49, s[36:37]
	global_load_dword v34, v[34:35], off
	s_nop 0
	global_load_dword v35, v[36:37], off
	s_nop 0
	global_load_dword v36, v[6:7], off
	global_load_dword v37, v[8:9], off
	s_nop 0
	global_load_dword v38, v[38:39], off
	s_nop 0
	global_load_dword v39, v[12:13], off
	global_load_dword v42, v[14:15], off
	s_nop 0
	global_load_dword v40, v[40:41], off
	v_mov_b32_e32 v7, s44
	v_add_co_u32_e64 v6, s[36:37], s43, v18
	v_addc_co_u32_e64 v7, s[36:37], v7, v19, s[36:37]
	v_mov_b32_e32 v9, s44
	v_add_co_u32_e64 v8, s[36:37], s43, v20
	v_addc_co_u32_e64 v9, s[36:37], v9, v21, s[36:37]
	v_mov_b32_e32 v13, s44
	v_add_co_u32_e64 v12, s[36:37], s43, v22
	v_lshlrev_b32_e32 v16, 2, v11
	v_addc_co_u32_e64 v13, s[36:37], v13, v23, s[36:37]
	ds_bpermute_b32 v11, v16, v44
	v_mov_b32_e32 v15, s44
	v_add_co_u32_e64 v14, s[36:37], s43, v24
	v_addc_co_u32_e64 v15, s[36:37], v15, v25, s[36:37]
	v_mov_b32_e32 v19, s44
	v_add_co_u32_e64 v18, s[36:37], s43, v26
	v_addc_co_u32_e64 v19, s[36:37], v19, v27, s[36:37]
	;; [unrolled: 3-line block ×3, first 2 shown]
	s_waitcnt lgkmcnt(0)
	v_max_f32_e32 v11, v11, v11
	v_mov_b32_e32 v23, s44
	v_add_co_u32_e64 v22, s[36:37], s43, v30
	v_max_f32_e32 v26, v44, v11
	v_addc_co_u32_e64 v23, s[36:37], v23, v31, s[36:37]
	v_sub_f32_e32 v27, v50, v26
	v_add_co_u32_e64 v24, s[36:37], s43, v32
	s_mov_b32 s43, 0x3fb8aa3b
	v_mul_f32_e32 v11, 0x3fb8aa3b, v27
	v_fma_f32 v28, v27, s43, -v11
	v_rndne_f32_e32 v29, v11
	v_fmac_f32_e32 v28, 0x32a5705f, v27
	v_sub_f32_e32 v11, v11, v29
	v_mov_b32_e32 v25, s44
	v_add_f32_e32 v11, v11, v28
	v_addc_co_u32_e64 v25, s[36:37], v25, v33, s[36:37]
	v_exp_f32_e32 v28, v11
	global_load_dword v30, v[6:7], off
	s_nop 0
	global_load_dword v9, v[8:9], off
	s_nop 0
	global_load_dword v31, v[12:13], off
	global_load_dword v11, v[14:15], off
	s_nop 0
	global_load_dword v12, v[18:19], off
	global_load_dword v13, v[20:21], off
	;; [unrolled: 1-line block ×4, first 2 shown]
	v_sub_f32_e32 v7, v51, v26
	v_cvt_i32_f32_e32 v29, v29
	v_mul_f32_e32 v8, 0x3fb8aa3b, v7
	v_fma_f32 v19, v7, s43, -v8
	v_rndne_f32_e32 v20, v8
	v_fmac_f32_e32 v19, 0x32a5705f, v7
	v_sub_f32_e32 v8, v8, v20
	s_mov_b32 s44, 0xc2ce8ed0
	v_add_f32_e32 v8, v8, v19
	v_ldexp_f32 v6, v28, v29
	v_cmp_ngt_f32_e64 s[36:37], s44, v27
	s_mov_b32 s45, 0x42b17218
	v_exp_f32_e32 v8, v8
	v_cvt_i32_f32_e32 v19, v20
	v_cndmask_b32_e64 v6, 0, v6, s[36:37]
	v_mov_b32_e32 v18, 0x7f800000
	v_cmp_nlt_f32_e64 s[36:37], s45, v27
	v_cndmask_b32_e64 v6, v18, v6, s[36:37]
	v_cndmask_b32_e64 v6, 0, v6, s[34:35]
	s_waitcnt vmcnt(15)
	v_mul_f32_e32 v20, v34, v6
	v_ldexp_f32 v6, v8, v19
	v_sub_f32_e32 v8, v52, v26
	v_mul_f32_e32 v19, 0x3fb8aa3b, v8
	v_fma_f32 v21, v8, s43, -v19
	v_rndne_f32_e32 v22, v19
	v_fmac_f32_e32 v21, 0x32a5705f, v8
	v_sub_f32_e32 v19, v19, v22
	v_add_f32_e32 v19, v19, v21
	v_cmp_ngt_f32_e64 s[34:35], s44, v7
	v_exp_f32_e32 v19, v19
	v_cvt_i32_f32_e32 v21, v22
	v_cndmask_b32_e64 v6, 0, v6, s[34:35]
	v_cmp_nlt_f32_e64 s[34:35], s45, v7
	v_cndmask_b32_e64 v6, v18, v6, s[34:35]
	v_cndmask_b32_e64 v6, 0, v6, s[30:31]
	v_sub_f32_e32 v7, v53, v26
	s_waitcnt vmcnt(14)
	v_mul_f32_e32 v22, v35, v6
	v_ldexp_f32 v6, v19, v21
	v_mul_f32_e32 v19, 0x3fb8aa3b, v7
	v_fma_f32 v21, v7, s43, -v19
	v_rndne_f32_e32 v23, v19
	v_fmac_f32_e32 v21, 0x32a5705f, v7
	v_sub_f32_e32 v19, v19, v23
	v_add_f32_e32 v19, v19, v21
	v_cmp_ngt_f32_e64 s[30:31], s44, v8
	v_exp_f32_e32 v19, v19
	v_cvt_i32_f32_e32 v21, v23
	v_cndmask_b32_e64 v6, 0, v6, s[30:31]
	v_cmp_nlt_f32_e64 s[30:31], s45, v8
	v_cndmask_b32_e64 v6, v18, v6, s[30:31]
	v_cndmask_b32_e64 v6, 0, v6, s[28:29]
	v_sub_f32_e32 v8, v54, v26
	s_waitcnt vmcnt(13)
	v_mul_f32_e32 v23, v36, v6
	v_ldexp_f32 v6, v19, v21
	;; [unrolled: 17-line block ×4, first 2 shown]
	v_mul_f32_e32 v19, 0x3fb8aa3b, v8
	v_fma_f32 v21, v8, s43, -v19
	v_rndne_f32_e32 v27, v19
	v_fmac_f32_e32 v21, 0x32a5705f, v8
	v_sub_f32_e32 v19, v19, v27
	v_add_f32_e32 v19, v19, v21
	v_cmp_ngt_f32_e64 s[24:25], s44, v7
	v_exp_f32_e32 v19, v19
	v_cvt_i32_f32_e32 v21, v27
	v_cndmask_b32_e64 v6, 0, v6, s[24:25]
	v_cmp_nlt_f32_e64 s[24:25], s45, v7
	v_sub_f32_e32 v28, v61, v26
	v_cndmask_b32_e64 v6, v18, v6, s[24:25]
	v_mul_f32_e32 v29, 0x3fb8aa3b, v28
	v_cndmask_b32_e64 v6, 0, v6, s[22:23]
	v_fma_f32 v32, v28, s43, -v29
	v_rndne_f32_e32 v33, v29
	s_waitcnt vmcnt(10)
	v_mul_f32_e32 v27, v39, v6
	v_ldexp_f32 v6, v19, v21
	v_cmp_ngt_f32_e64 s[22:23], s44, v8
	v_sub_f32_e32 v7, v57, v26
	v_fmac_f32_e32 v32, 0x32a5705f, v28
	v_sub_f32_e32 v29, v29, v33
	v_cndmask_b32_e64 v6, 0, v6, s[22:23]
	v_cmp_nlt_f32_e64 s[22:23], s45, v8
	v_mul_f32_e32 v8, 0x3fb8aa3b, v7
	v_add_f32_e32 v29, v29, v32
	v_fma_f32 v19, v7, s43, -v8
	v_rndne_f32_e32 v21, v8
	v_exp_f32_e32 v29, v29
	v_cvt_i32_f32_e32 v32, v33
	v_fmac_f32_e32 v19, 0x32a5705f, v7
	v_sub_f32_e32 v8, v8, v21
	v_add_f32_e32 v8, v8, v19
	v_cndmask_b32_e64 v6, v18, v6, s[22:23]
	v_exp_f32_e32 v8, v8
	v_cvt_i32_f32_e32 v19, v21
	v_cndmask_b32_e64 v6, 0, v6, s[20:21]
	v_ldexp_f32 v21, v29, v32
	v_cmp_ngt_f32_e64 s[20:21], s44, v28
	v_cndmask_b32_e64 v21, 0, v21, s[20:21]
	v_cmp_nlt_f32_e64 s[20:21], s45, v28
	v_cndmask_b32_e64 v21, v18, v21, s[20:21]
	v_cndmask_b32_e64 v21, 0, v21, s[18:19]
	v_ldexp_f32 v8, v8, v19
	v_sub_f32_e32 v19, v58, v26
	s_waitcnt vmcnt(4)
	v_mul_f32_e32 v11, v11, v21
	v_mul_f32_e32 v21, 0x3fb8aa3b, v19
	v_fma_f32 v28, v19, s43, -v21
	v_rndne_f32_e32 v29, v21
	v_fmac_f32_e32 v28, 0x32a5705f, v19
	v_sub_f32_e32 v21, v21, v29
	v_add_f32_e32 v21, v21, v28
	v_exp_f32_e32 v21, v21
	v_cvt_i32_f32_e32 v28, v29
	v_cmp_ngt_f32_e64 s[18:19], s44, v7
	v_cndmask_b32_e64 v8, 0, v8, s[18:19]
	v_cmp_nlt_f32_e64 s[18:19], s45, v7
	v_cndmask_b32_e64 v7, v18, v8, s[18:19]
	v_ldexp_f32 v8, v21, v28
	v_sub_f32_e32 v21, v59, v26
	v_mul_f32_e32 v28, 0x3fb8aa3b, v21
	v_fma_f32 v29, v21, s43, -v28
	v_rndne_f32_e32 v32, v28
	v_fmac_f32_e32 v29, 0x32a5705f, v21
	v_sub_f32_e32 v28, v28, v32
	v_add_f32_e32 v28, v28, v29
	v_cvt_i32_f32_e32 v29, v32
	v_sub_f32_e32 v32, v62, v26
	v_mul_f32_e32 v33, 0x3fb8aa3b, v32
	v_fma_f32 v34, v32, s43, -v33
	v_rndne_f32_e32 v35, v33
	v_fmac_f32_e32 v34, 0x32a5705f, v32
	v_sub_f32_e32 v33, v33, v35
	v_exp_f32_e32 v28, v28
	v_add_f32_e32 v33, v33, v34
	v_cndmask_b32_e64 v7, 0, v7, s[16:17]
	v_exp_f32_e32 v33, v33
	v_cvt_i32_f32_e32 v34, v35
	v_cmp_ngt_f32_e64 s[16:17], s44, v19
	v_cndmask_b32_e64 v8, 0, v8, s[16:17]
	v_cmp_nlt_f32_e64 s[16:17], s45, v19
	v_cndmask_b32_e64 v8, v18, v8, s[16:17]
	v_ldexp_f32 v28, v28, v29
	v_cndmask_b32_e64 v8, 0, v8, s[12:13]
	v_cmp_ngt_f32_e64 s[12:13], s44, v21
	v_ldexp_f32 v29, v33, v34
	v_cndmask_b32_e64 v19, 0, v28, s[12:13]
	v_cmp_ngt_f32_e64 s[12:13], s44, v32
	v_cndmask_b32_e64 v29, 0, v29, s[12:13]
	v_cmp_nlt_f32_e64 s[12:13], s45, v32
	v_sub_f32_e32 v28, v60, v26
	v_cndmask_b32_e64 v29, v18, v29, s[12:13]
	v_mul_f32_e32 v32, 0x3fb8aa3b, v28
	v_cndmask_b32_e64 v29, 0, v29, s[14:15]
	s_waitcnt vmcnt(3)
	v_mul_f32_e32 v12, v12, v29
	v_fma_f32 v29, v28, s43, -v32
	v_rndne_f32_e32 v33, v32
	v_fmac_f32_e32 v29, 0x32a5705f, v28
	v_sub_f32_e32 v32, v32, v33
	v_add_f32_e32 v29, v32, v29
	v_sub_f32_e32 v32, v63, v26
	v_mul_f32_e32 v34, 0x3fb8aa3b, v32
	v_fma_f32 v35, v32, s43, -v34
	v_rndne_f32_e32 v36, v34
	v_fmac_f32_e32 v35, 0x32a5705f, v32
	v_sub_f32_e32 v34, v34, v36
	v_add_f32_e32 v34, v34, v35
	v_cmp_nlt_f32_e64 s[12:13], s45, v21
	v_mul_f32_e32 v8, v30, v8
	v_exp_f32_e32 v21, v34
	v_cvt_i32_f32_e32 v30, v36
	v_cndmask_b32_e64 v19, v18, v19, s[12:13]
	v_cndmask_b32_e64 v19, 0, v19, s[8:9]
	v_cmp_ngt_f32_e64 s[8:9], s44, v32
	v_ldexp_f32 v21, v21, v30
	v_exp_f32_e32 v29, v29
	v_cvt_i32_f32_e32 v33, v33
	v_cndmask_b32_e64 v21, 0, v21, s[8:9]
	v_cmp_nlt_f32_e64 s[8:9], s45, v32
	v_cndmask_b32_e64 v21, v18, v21, s[8:9]
	v_cndmask_b32_e64 v21, 0, v21, s[10:11]
	v_sub_f32_e32 v17, v17, v26
	s_waitcnt vmcnt(2)
	v_mul_f32_e32 v13, v13, v21
	v_mul_f32_e32 v21, 0x3fb8aa3b, v17
	;; [unrolled: 1-line block ×3, first 2 shown]
	v_ldexp_f32 v19, v29, v33
	v_fma_f32 v29, v17, s43, -v21
	v_rndne_f32_e32 v30, v21
	v_fmac_f32_e32 v29, 0x32a5705f, v17
	v_sub_f32_e32 v21, v21, v30
	v_add_f32_e32 v21, v21, v29
	v_exp_f32_e32 v21, v21
	v_cvt_i32_f32_e32 v29, v30
	v_cmp_ngt_f32_e64 s[8:9], s44, v28
	v_cndmask_b32_e64 v19, 0, v19, s[8:9]
	v_cmp_nlt_f32_e64 s[8:9], s45, v28
	v_cndmask_b32_e64 v19, v18, v19, s[8:9]
	v_cndmask_b32_e64 v19, 0, v19, s[2:3]
	v_ldexp_f32 v21, v21, v29
	v_cmp_ngt_f32_e64 s[2:3], s44, v17
	v_cndmask_b32_e64 v21, 0, v21, s[2:3]
	v_cmp_nlt_f32_e64 s[2:3], s45, v17
	v_cndmask_b32_e64 v17, v18, v21, s[2:3]
	v_sub_f32_e32 v21, v10, v26
	v_mul_f32_e32 v10, 0x3fb8aa3b, v21
	v_fma_f32 v26, v21, s43, -v10
	v_rndne_f32_e32 v28, v10
	v_fmac_f32_e32 v26, 0x32a5705f, v21
	v_sub_f32_e32 v10, v10, v28
	v_add_f32_e32 v10, v10, v26
	v_exp_f32_e32 v26, v10
	v_cvt_i32_f32_e32 v28, v28
	v_cndmask_b32_e64 v10, 0, v17, s[0:1]
	v_cmp_ngt_f32_e64 s[0:1], s44, v21
	v_mul_f32_e32 v6, v42, v6
	v_ldexp_f32 v17, v26, v28
	v_cndmask_b32_e64 v17, 0, v17, s[0:1]
	v_cmp_nlt_f32_e64 s[0:1], s45, v21
	v_cndmask_b32_e64 v17, v18, v17, s[0:1]
	v_cndmask_b32_e32 v17, 0, v17, vcc
	s_waitcnt vmcnt(0)
	v_mul_f32_e32 v15, v15, v17
	v_add_f32_e32 v17, v20, v22
	v_add_f32_e32 v17, v17, v23
	;; [unrolled: 1-line block ×5, first 2 shown]
	v_mul_f32_e32 v7, v40, v7
	v_add_f32_e32 v17, v17, v6
	v_add_f32_e32 v17, v17, v7
	;; [unrolled: 1-line block ×3, first 2 shown]
	v_mul_f32_e32 v14, v14, v10
	v_mul_f32_e32 v10, v31, v19
	v_add_f32_e32 v17, v17, v9
	v_add_f32_e32 v17, v17, v10
	v_add_f32_e32 v17, v17, v11
	v_add_f32_e32 v17, v17, v12
	v_add_f32_e32 v17, v17, v13
	v_add_f32_e32 v17, v17, v14
	v_add_f32_e32 v17, v17, v15
	ds_bpermute_b32 v1, v1, v17
	v_cmp_eq_u32_e32 vcc, 0, v0
	s_waitcnt lgkmcnt(0)
	v_add_f32_e32 v1, v17, v1
	ds_bpermute_b32 v2, v2, v1
	s_waitcnt lgkmcnt(0)
	v_add_f32_e32 v1, v1, v2
	ds_bpermute_b32 v2, v3, v1
	v_lshlrev_b32_e32 v3, 2, v0
	ds_write2st64_b32 v3, v20, v22 offset1:1
	ds_write2st64_b32 v3, v23, v24 offset0:2 offset1:3
	ds_write2st64_b32 v3, v25, v27 offset0:4 offset1:5
	ds_write2st64_b32 v3, v6, v7 offset0:6 offset1:7
	ds_write2st64_b32 v3, v8, v9 offset0:8 offset1:9
	ds_write2st64_b32 v3, v10, v11 offset0:10 offset1:11
	ds_write2st64_b32 v3, v12, v13 offset0:12 offset1:13
	ds_write2st64_b32 v3, v14, v15 offset0:14 offset1:15
	s_waitcnt lgkmcnt(8)
	v_add_f32_e32 v1, v1, v2
	ds_bpermute_b32 v2, v4, v1
	s_waitcnt lgkmcnt(0)
	v_add_f32_e32 v1, v1, v2
	ds_bpermute_b32 v2, v5, v1
	;; [unrolled: 3-line block ×3, first 2 shown]
	s_and_saveexec_b64 s[0:1], vcc
	s_cbranch_execz .LBB227_8
; %bb.7:
	s_waitcnt lgkmcnt(0)
	v_add_f32_e32 v1, v1, v2
	v_mov_b32_e32 v2, 0
	ds_write_b32 v2, v1 offset:4096
.LBB227_8:
	s_or_b64 exec, exec, s[0:1]
	v_mov_b32_e32 v1, s42
.LBB227_9:
	s_or_b64 exec, exec, s[54:55]
	s_lshl_b32 s0, s56, 6
	s_mov_b32 s1, 0
	s_lshl_b64 s[0:1], s[0:1], 1
	s_add_u32 s0, s40, s0
	s_addc_u32 s1, s41, s1
	s_lshl_b32 s10, s33, 6
	s_waitcnt lgkmcnt(0)
	v_lshlrev_b32_e32 v2, 6, v1
	v_mov_b32_e32 v3, 0
	s_sub_i32 s11, s10, 64
	v_lshlrev_b64 v[4:5], 1, v[2:3]
	s_cmp_lt_i32 s60, 1
	v_mov_b32_e32 v1, s1
	v_add_co_u32_e32 v2, vcc, s0, v4
	s_cselect_b32 s0, s11, 0
	v_addc_co_u32_e32 v1, vcc, v1, v5, vcc
	v_lshlrev_b32_e32 v118, 1, v0
	s_ashr_i32 s1, s0, 31
	v_add_co_u32_e32 v0, vcc, v2, v118
	s_lshl_b64 s[0:1], s[0:1], 1
	v_addc_co_u32_e32 v1, vcc, 0, v1, vcc
	s_cmpk_lt_i32 s60, 0x101
	v_add_co_u32_e32 v4, vcc, s0, v0
	s_cselect_b32 s0, s11, 64
	v_mov_b32_e32 v2, s1
	s_ashr_i32 s1, s0, 31
	s_lshl_b64 s[0:1], s[0:1], 1
	v_addc_co_u32_e32 v5, vcc, v1, v2, vcc
	s_cmpk_lt_i32 s60, 0x201
	v_add_co_u32_e32 v6, vcc, s0, v0
	s_cselect_b32 s0, s11, 0x80
	v_mov_b32_e32 v2, s1
	s_ashr_i32 s1, s0, 31
	;; [unrolled: 7-line block ×8, first 2 shown]
	s_lshl_b64 s[0:1], s[0:1], 1
	v_addc_co_u32_e32 v19, vcc, v1, v2, vcc
	s_cmpk_lt_i32 s60, 0x901
	global_load_ushort v42, v[4:5], off
	global_load_ushort v41, v[6:7], off
	;; [unrolled: 1-line block ×8, first 2 shown]
	v_add_co_u32_e32 v4, vcc, s0, v0
	s_cselect_b32 s0, s11, 0x240
	v_mov_b32_e32 v5, s1
	s_ashr_i32 s1, s0, 31
	s_lshl_b64 s[0:1], s[0:1], 1
	v_addc_co_u32_e32 v5, vcc, v1, v5, vcc
	s_cmpk_lt_i32 s60, 0xa01
	v_add_co_u32_e32 v6, vcc, s0, v0
	s_cselect_b32 s0, s11, 0x280
	v_mov_b32_e32 v7, s1
	s_ashr_i32 s1, s0, 31
	s_lshl_b64 s[0:1], s[0:1], 1
	v_addc_co_u32_e32 v7, vcc, v1, v7, vcc
	s_cmpk_lt_i32 s60, 0xb01
	;; [unrolled: 7-line block ×6, first 2 shown]
	v_add_co_u32_e32 v16, vcc, s0, v0
	s_cselect_b32 s0, s11, 0x3c0
	v_mov_b32_e32 v17, s1
	s_ashr_i32 s1, s0, 31
	v_addc_co_u32_e32 v17, vcc, v1, v17, vcc
	s_lshl_b64 s[0:1], s[0:1], 1
	v_mov_b32_e32 v19, s1
	v_add_co_u32_e32 v18, vcc, s0, v0
	v_addc_co_u32_e32 v19, vcc, v1, v19, vcc
	global_load_ushort v49, v[4:5], off
	global_load_ushort v50, v[6:7], off
	;; [unrolled: 1-line block ×8, first 2 shown]
	s_cmpk_gt_i32 s60, 0x1000
	s_cselect_b64 s[8:9], -1, 0
	s_cmpk_lt_i32 s60, 0x1001
	v_mov_b32_e32 v59, 0
	v_mov_b32_e32 v60, 0
	;; [unrolled: 1-line block ×48, first 2 shown]
	s_waitcnt lgkmcnt(0)
	; wave barrier
	s_cbranch_scc1 .LBB227_12
; %bb.10:
	s_cmpk_lt_u32 s60, 0x1101
	s_cselect_b32 s0, s11, 0x440
	s_ashr_i32 s1, s0, 31
	s_lshl_b64 s[0:1], s[0:1], 1
	s_cmpk_lt_u32 s60, 0x1201
	v_add_co_u32_e32 v4, vcc, s0, v0
	s_cselect_b32 s0, s11, 0x480
	v_mov_b32_e32 v5, s1
	s_ashr_i32 s1, s0, 31
	s_lshl_b64 s[0:1], s[0:1], 1
	v_addc_co_u32_e32 v5, vcc, v1, v5, vcc
	s_cmpk_lt_u32 s60, 0x1301
	v_add_co_u32_e32 v6, vcc, s0, v0
	s_cselect_b32 s0, s11, 0x4c0
	v_mov_b32_e32 v7, s1
	s_ashr_i32 s1, s0, 31
	s_lshl_b64 s[0:1], s[0:1], 1
	v_addc_co_u32_e32 v7, vcc, v1, v7, vcc
	;; [unrolled: 7-line block ×7, first 2 shown]
	s_cmpk_lt_u32 s60, 0x1901
	global_load_ushort v58, v[0:1], off offset:2048
	global_load_ushort v57, v[4:5], off
	global_load_ushort v56, v[6:7], off
	;; [unrolled: 1-line block ×7, first 2 shown]
	v_add_co_u32_e32 v4, vcc, s0, v0
	s_cselect_b32 s0, s11, 0x640
	v_mov_b32_e32 v5, s1
	s_ashr_i32 s1, s0, 31
	s_lshl_b64 s[0:1], s[0:1], 1
	v_addc_co_u32_e32 v5, vcc, v1, v5, vcc
	s_cmpk_lt_u32 s60, 0x1a01
	v_add_co_u32_e32 v6, vcc, s0, v0
	s_cselect_b32 s0, s11, 0x680
	v_mov_b32_e32 v7, s1
	s_ashr_i32 s1, s0, 31
	s_lshl_b64 s[0:1], s[0:1], 1
	v_addc_co_u32_e32 v7, vcc, v1, v7, vcc
	s_cmpk_lt_u32 s60, 0x1b01
	;; [unrolled: 7-line block ×6, first 2 shown]
	v_add_co_u32_e32 v16, vcc, s0, v0
	s_cselect_b32 s0, s11, 0x7c0
	v_mov_b32_e32 v17, s1
	s_ashr_i32 s1, s0, 31
	v_addc_co_u32_e32 v17, vcc, v1, v17, vcc
	s_lshl_b64 s[0:1], s[0:1], 1
	v_mov_b32_e32 v19, s1
	v_add_co_u32_e32 v18, vcc, s0, v0
	v_addc_co_u32_e32 v19, vcc, v1, v19, vcc
	global_load_ushort v66, v[4:5], off
	global_load_ushort v65, v[6:7], off
	;; [unrolled: 1-line block ×8, first 2 shown]
	s_cmpk_lt_u32 s60, 0x2001
	v_mov_b32_e32 v35, 0
	v_mov_b32_e32 v33, 0
	;; [unrolled: 1-line block ×32, first 2 shown]
	s_cbranch_scc1 .LBB227_12
; %bb.11:
	s_cmpk_lt_u32 s60, 0x2101
	s_cselect_b32 s0, s11, 0x840
	s_ashr_i32 s1, s0, 31
	s_lshl_b64 s[0:1], s[0:1], 1
	s_cmpk_lt_u32 s60, 0x2201
	v_add_co_u32_e32 v4, vcc, s0, v0
	s_cselect_b32 s0, s11, 0x880
	v_mov_b32_e32 v5, s1
	s_ashr_i32 s1, s0, 31
	s_lshl_b64 s[0:1], s[0:1], 1
	v_addc_co_u32_e32 v5, vcc, v1, v5, vcc
	s_cmpk_lt_u32 s60, 0x2301
	v_add_co_u32_e32 v6, vcc, s0, v0
	s_cselect_b32 s0, s11, 0x8c0
	v_mov_b32_e32 v7, s1
	s_ashr_i32 s1, s0, 31
	s_lshl_b64 s[0:1], s[0:1], 1
	v_addc_co_u32_e32 v7, vcc, v1, v7, vcc
	;; [unrolled: 7-line block ×30, first 2 shown]
	v_mov_b32_e32 v67, s1
	s_movk_i32 s1, 0x1000
	v_add_co_u32_e32 v96, vcc, s1, v0
	v_addc_co_u32_e32 v97, vcc, 0, v1, vcc
	global_load_ushort v98, v[96:97], off
	global_load_ushort v99, v[4:5], off
	;; [unrolled: 1-line block ×15, first 2 shown]
                                        ; kill: killed $vgpr96 killed $vgpr97
                                        ; kill: killed $vgpr68 killed $vgpr69
                                        ; kill: killed $vgpr12 killed $vgpr13
                                        ; kill: killed $vgpr18 killed $vgpr19
                                        ; kill: killed $vgpr26 killed $vgpr27
                                        ; kill: killed $vgpr8 killed $vgpr9
                                        ; kill: killed $vgpr70 killed $vgpr71
                                        ; kill: killed $vgpr14 killed $vgpr15
                                        ; kill: killed $vgpr20 killed $vgpr21
                                        ; kill: killed $vgpr4 killed $vgpr5
                                        ; kill: killed $vgpr30 killed $vgpr31
                                        ; kill: killed $vgpr10 killed $vgpr11
                                        ; kill: killed $vgpr16 killed $vgpr17
                                        ; kill: killed $vgpr22 killed $vgpr23
                                        ; kill: killed $vgpr6 killed $vgpr7
	global_load_ushort v6, v[24:25], off
	global_load_ushort v7, v[28:29], off
	;; [unrolled: 1-line block ×15, first 2 shown]
                                        ; kill: killed $vgpr92 killed $vgpr93
                                        ; kill: killed $vgpr76 killed $vgpr77
                                        ; kill: killed $vgpr82 killed $vgpr83
                                        ; kill: killed $vgpr28 killed $vgpr29
                                        ; kill: killed $vgpr88 killed $vgpr89
                                        ; kill: killed $vgpr72 killed $vgpr73
                                        ; kill: killed $vgpr94 killed $vgpr95
                                        ; kill: killed $vgpr78 killed $vgpr79
                                        ; kill: killed $vgpr84 killed $vgpr85
                                        ; kill: killed $vgpr32 killed $vgpr33
                                        ; kill: killed $vgpr90 killed $vgpr91
                                        ; kill: killed $vgpr74 killed $vgpr75
                                        ; kill: killed $vgpr80 killed $vgpr81
                                        ; kill: killed $vgpr24 killed $vgpr25
                                        ; kill: killed $vgpr34 killed $vgpr35
	global_load_ushort v72, v[86:87], off
	v_add_co_u32_e32 v4, vcc, s0, v0
	v_addc_co_u32_e32 v5, vcc, v1, v67, vcc
	global_load_ushort v5, v[4:5], off
	s_waitcnt vmcnt(31)
	v_lshlrev_b32_e32 v35, 16, v98
	s_waitcnt vmcnt(30)
	v_lshlrev_b32_e32 v33, 16, v99
	;; [unrolled: 2-line block ×32, first 2 shown]
.LBB227_12:
	s_load_dwordx2 s[0:1], s[4:5], 0x0
	s_load_dwordx2 s[2:3], s[4:5], 0x38
	ds_read_b128 v[68:71], v3
	s_waitcnt vmcnt(15)
	v_lshlrev_b32_e32 v42, 16, v42
	s_waitcnt vmcnt(14)
	v_lshlrev_b32_e32 v41, 16, v41
	ds_read_b128 v[72:75], v3 offset:16
	ds_read_b128 v[76:79], v3 offset:32
	;; [unrolled: 1-line block ×3, first 2 shown]
	s_waitcnt vmcnt(13)
	v_lshlrev_b32_e32 v40, 16, v40
	s_waitcnt lgkmcnt(0)
	v_fma_f32 v42, v68, v42, 0
	v_fmac_f32_e32 v42, v69, v41
	v_fmac_f32_e32 v42, v70, v40
	s_waitcnt vmcnt(12)
	v_lshlrev_b32_e32 v39, 16, v39
	v_fmac_f32_e32 v42, v71, v39
	s_waitcnt vmcnt(10)
	v_lshlrev_b32_e32 v39, 16, v38
	v_lshlrev_b32_e32 v38, 16, v37
	v_pk_mul_f32 v[38:39], v[72:73], v[38:39]
	v_add_f32_e32 v37, v42, v38
	v_add_f32_e32 v38, v37, v39
	s_waitcnt vmcnt(8)
	v_lshlrev_b32_e32 v37, 16, v36
	v_lshlrev_b32_e32 v36, 16, v2
	v_pk_mul_f32 v[36:37], v[74:75], v[36:37]
	v_add_f32_e32 v2, v38, v36
	v_add_f32_e32 v2, v2, v37
	;; [unrolled: 6-line block ×6, first 2 shown]
	s_and_b64 vcc, exec, s[8:9]
	s_cbranch_vccz .LBB227_15
; %bb.13:
	ds_read_b128 v[36:39], v3 offset:64
	v_lshlrev_b32_e32 v2, 16, v58
	ds_read_b128 v[40:43], v3 offset:80
	ds_read_b128 v[44:47], v3 offset:96
	;; [unrolled: 1-line block ×3, first 2 shown]
	s_cmpk_lt_u32 s60, 0x2001
	s_waitcnt lgkmcnt(3)
	v_fmac_f32_e32 v119, v36, v2
	v_lshlrev_b32_e32 v2, 16, v57
	v_fmac_f32_e32 v119, v37, v2
	v_lshlrev_b32_e32 v2, 16, v56
	v_fmac_f32_e32 v119, v38, v2
	v_lshlrev_b32_e32 v2, 16, v55
	v_fmac_f32_e32 v119, v39, v2
	v_lshlrev_b32_e32 v2, 16, v54
	s_waitcnt lgkmcnt(2)
	v_fmac_f32_e32 v119, v40, v2
	v_lshlrev_b32_e32 v2, 16, v53
	v_fmac_f32_e32 v119, v41, v2
	v_lshlrev_b32_e32 v2, 16, v52
	v_fmac_f32_e32 v119, v42, v2
	v_lshlrev_b32_e32 v2, 16, v51
	v_fmac_f32_e32 v119, v43, v2
	v_lshlrev_b32_e32 v2, 16, v66
	;; [unrolled: 9-line block ×3, first 2 shown]
	s_waitcnt lgkmcnt(0)
	v_fmac_f32_e32 v119, v68, v2
	v_lshlrev_b32_e32 v2, 16, v61
	v_fmac_f32_e32 v119, v69, v2
	v_lshlrev_b32_e32 v2, 16, v60
	;; [unrolled: 2-line block ×3, first 2 shown]
	v_fmac_f32_e32 v119, v71, v2
	s_cbranch_scc1 .LBB227_15
; %bb.14:
	v_mov_b32_e32 v52, 0
	ds_read_b128 v[36:39], v52 offset:128
	ds_read_b128 v[40:43], v52 offset:144
	;; [unrolled: 1-line block ×4, first 2 shown]
	s_waitcnt lgkmcnt(3)
	v_fmac_f32_e32 v119, v36, v35
	v_fmac_f32_e32 v119, v37, v33
	v_fmac_f32_e32 v119, v38, v34
	v_fmac_f32_e32 v119, v39, v31
	s_waitcnt lgkmcnt(2)
	v_fmac_f32_e32 v119, v40, v32
	v_fmac_f32_e32 v119, v41, v29
	v_fmac_f32_e32 v119, v42, v30
	v_fmac_f32_e32 v119, v43, v27
	;; [unrolled: 5-line block ×3, first 2 shown]
	s_waitcnt lgkmcnt(0)
	v_fmac_f32_e32 v119, v48, v24
	ds_read_b128 v[24:27], v52 offset:192
	v_fmac_f32_e32 v119, v49, v21
	v_fmac_f32_e32 v119, v50, v22
	;; [unrolled: 1-line block ×3, first 2 shown]
	ds_read_b128 v[20:23], v52 offset:208
	s_waitcnt lgkmcnt(1)
	v_fmac_f32_e32 v119, v24, v19
	v_fmac_f32_e32 v119, v25, v17
	;; [unrolled: 1-line block ×4, first 2 shown]
	s_waitcnt lgkmcnt(0)
	v_pk_mul_f32 v[2:3], v[20:21], v[14:15]
	ds_read_b128 v[14:17], v52 offset:224
	v_add_f32_e32 v2, v119, v2
	v_add_f32_e32 v18, v2, v3
	v_pk_mul_f32 v[2:3], v[22:23], v[12:13]
	v_add_f32_e32 v2, v18, v2
	ds_read_b128 v[18:21], v52 offset:240
	v_add_f32_e32 v12, v2, v3
	s_waitcnt lgkmcnt(1)
	v_pk_mul_f32 v[2:3], v[14:15], v[10:11]
	v_add_f32_e32 v2, v12, v2
	v_add_f32_e32 v10, v2, v3
	v_pk_mul_f32 v[2:3], v[16:17], v[8:9]
	v_add_f32_e32 v2, v10, v2
	v_add_f32_e32 v8, v2, v3
	s_waitcnt lgkmcnt(0)
	v_pk_mul_f32 v[2:3], v[18:19], v[6:7]
	v_add_f32_e32 v2, v8, v2
	v_add_f32_e32 v6, v2, v3
	v_pk_mul_f32 v[2:3], v[20:21], v[4:5]
	v_add_f32_e32 v2, v6, v2
	v_add_f32_e32 v119, v2, v3
.LBB227_15:
	s_movk_i32 s4, 0x1fc0
	s_movk_i32 s5, 0x100
	s_mov_b32 s8, 64
	s_branch .LBB227_17
.LBB227_16:                             ;   in Loop: Header=BB227_17 Depth=1
	s_addk_i32 s4, 0x1000
	s_addk_i32 s5, 0x100
	s_add_i32 s8, s8, 64
	s_cmp_eq_u32 s4, 0x10fc0
	s_cbranch_scc1 .LBB227_19
.LBB227_17:                             ; =>This Inner Loop Header: Depth=1
	s_cmp_le_i32 s33, s8
	s_cbranch_scc1 .LBB227_16
; %bb.18:                               ;   in Loop: Header=BB227_17 Depth=1
	s_add_i32 s9, s4, 0xfffff040
	s_cmp_lt_i32 s9, s10
	s_cselect_b32 s12, s9, s11
	s_ashr_i32 s13, s12, 31
	s_lshl_b64 s[12:13], s[12:13], 1
	s_add_i32 s9, s4, 0xfffff080
	s_cmp_lt_i32 s9, s10
	v_add_co_u32_e32 v2, vcc, s12, v0
	s_cselect_b32 s12, s9, s11
	v_mov_b32_e32 v3, s13
	s_ashr_i32 s13, s12, 31
	s_lshl_b64 s[12:13], s[12:13], 1
	s_add_i32 s9, s4, 0xfffff0c0
	v_addc_co_u32_e32 v3, vcc, v1, v3, vcc
	s_cmp_lt_i32 s9, s10
	v_add_co_u32_e32 v6, vcc, s12, v0
	s_cselect_b32 s12, s9, s11
	v_mov_b32_e32 v4, s13
	s_ashr_i32 s13, s12, 31
	s_lshl_b64 s[12:13], s[12:13], 1
	s_add_i32 s9, s4, 0xfffff100
	v_addc_co_u32_e32 v7, vcc, v1, v4, vcc
	;; [unrolled: 8-line block ×21, first 2 shown]
	s_cmp_lt_i32 s9, s10
	v_add_co_u32_e32 v44, vcc, s12, v0
	s_cselect_b32 s12, s9, s11
	global_load_ushort v120, v[2:3], off
	global_load_ushort v121, v[6:7], off
	v_mov_b32_e32 v45, s13
	s_ashr_i32 s13, s12, 31
	s_lshl_b64 s[12:13], s[12:13], 1
	s_add_i32 s9, s4, 0xfffff600
	global_load_ushort v122, v[4:5], off
	global_load_ushort v123, v[8:9], off
	v_addc_co_u32_e32 v45, vcc, v1, v45, vcc
	s_cmp_lt_i32 s9, s10
	global_load_ushort v124, v[10:11], off
	v_add_co_u32_e32 v46, vcc, s12, v0
	s_cselect_b32 s12, s9, s11
	v_mov_b32_e32 v47, s13
	s_ashr_i32 s13, s12, 31
	s_lshl_b64 s[12:13], s[12:13], 1
	s_add_i32 s9, s4, 0xfffff640
	v_addc_co_u32_e32 v47, vcc, v1, v47, vcc
	s_cmp_lt_i32 s9, s10
	v_add_co_u32_e32 v48, vcc, s12, v0
	s_cselect_b32 s12, s9, s11
	v_mov_b32_e32 v49, s13
	s_ashr_i32 s13, s12, 31
	s_lshl_b64 s[12:13], s[12:13], 1
	s_add_i32 s9, s4, 0xfffff680
	v_addc_co_u32_e32 v49, vcc, v1, v49, vcc
	s_cmp_lt_i32 s9, s10
	;; [unrolled: 8-line block ×8, first 2 shown]
	v_add_co_u32_e32 v62, vcc, s12, v0
	s_cselect_b32 s12, s9, s11
	global_load_ushort v125, v[12:13], off
	global_load_ushort v126, v[14:15], off
	v_mov_b32_e32 v63, s13
	s_ashr_i32 s13, s12, 31
	global_load_ushort v127, v[16:17], off
	global_load_ushort v128, v[18:19], off
	;; [unrolled: 1-line block ×3, first 2 shown]
	s_lshl_b64 s[12:13], s[12:13], 1
	s_add_i32 s9, s4, 0xfffff840
	v_addc_co_u32_e32 v63, vcc, v1, v63, vcc
	s_cmp_lt_i32 s9, s10
	v_add_co_u32_e32 v64, vcc, s12, v0
	s_cselect_b32 s12, s9, s11
	v_mov_b32_e32 v65, s13
	s_ashr_i32 s13, s12, 31
	s_lshl_b64 s[12:13], s[12:13], 1
	s_add_i32 s9, s4, 0xfffff880
	v_addc_co_u32_e32 v65, vcc, v1, v65, vcc
	s_cmp_lt_i32 s9, s10
	v_add_co_u32_e32 v66, vcc, s12, v0
	s_cselect_b32 s12, s9, s11
	v_mov_b32_e32 v67, s13
	s_ashr_i32 s13, s12, 31
	global_load_ushort v130, v[22:23], off
	global_load_ushort v131, v[24:25], off
	s_lshl_b64 s[12:13], s[12:13], 1
	s_add_i32 s9, s4, 0xfffff8c0
	v_addc_co_u32_e32 v67, vcc, v1, v67, vcc
	s_cmp_lt_i32 s9, s10
	global_load_ushort v26, v[26:27], off
	v_add_co_u32_e32 v68, vcc, s12, v0
	s_cselect_b32 s12, s9, s11
	v_mov_b32_e32 v69, s13
	s_ashr_i32 s13, s12, 31
	global_load_ushort v27, v[28:29], off
	s_lshl_b64 s[12:13], s[12:13], 1
	s_add_i32 s9, s4, 0xfffff900
	v_addc_co_u32_e32 v69, vcc, v1, v69, vcc
	s_cmp_lt_i32 s9, s10
	v_add_co_u32_e32 v70, vcc, s12, v0
	s_cselect_b32 s12, s9, s11
	v_mov_b32_e32 v71, s13
	s_ashr_i32 s13, s12, 31
	global_load_ushort v28, v[30:31], off
	global_load_ushort v29, v[32:33], off
	s_lshl_b64 s[12:13], s[12:13], 1
	s_add_i32 s9, s4, 0xfffff940
	v_addc_co_u32_e32 v71, vcc, v1, v71, vcc
	s_cmp_lt_i32 s9, s10
	v_add_co_u32_e32 v72, vcc, s12, v0
	s_cselect_b32 s12, s9, s11
	v_mov_b32_e32 v73, s13
	s_ashr_i32 s13, s12, 31
	s_lshl_b64 s[12:13], s[12:13], 1
	s_add_i32 s9, s4, 0xfffff980
	global_load_ushort v30, v[34:35], off
	global_load_ushort v31, v[36:37], off
	;; [unrolled: 1-line block ×4, first 2 shown]
	v_addc_co_u32_e32 v73, vcc, v1, v73, vcc
	s_cmp_lt_i32 s9, s10
	v_add_co_u32_e32 v74, vcc, s12, v0
	s_cselect_b32 s12, s9, s11
	v_mov_b32_e32 v75, s13
	s_ashr_i32 s13, s12, 31
	s_lshl_b64 s[12:13], s[12:13], 1
	s_add_i32 s9, s4, 0xfffff9c0
	v_addc_co_u32_e32 v75, vcc, v1, v75, vcc
	s_cmp_lt_i32 s9, s10
	v_add_co_u32_e32 v76, vcc, s12, v0
	s_cselect_b32 s12, s9, s11
	v_mov_b32_e32 v77, s13
	s_ashr_i32 s13, s12, 31
	s_lshl_b64 s[12:13], s[12:13], 1
	s_add_i32 s9, s4, 0xfffffa00
	v_addc_co_u32_e32 v77, vcc, v1, v77, vcc
	s_cmp_lt_i32 s9, s10
	v_add_co_u32_e32 v78, vcc, s12, v0
	s_cselect_b32 s12, s9, s11
	global_load_ushort v34, v[42:43], off
	global_load_ushort v35, v[44:45], off
	v_mov_b32_e32 v79, s13
	s_ashr_i32 s13, s12, 31
	s_lshl_b64 s[12:13], s[12:13], 1
	s_add_i32 s9, s4, 0xfffffa40
	v_addc_co_u32_e32 v79, vcc, v1, v79, vcc
	s_cmp_lt_i32 s9, s10
	v_add_co_u32_e32 v80, vcc, s12, v0
	s_cselect_b32 s12, s9, s11
	v_mov_b32_e32 v81, s13
	s_ashr_i32 s13, s12, 31
	global_load_ushort v37, v[46:47], off
	global_load_ushort v38, v[48:49], off
	;; [unrolled: 1-line block ×4, first 2 shown]
	s_lshl_b64 s[12:13], s[12:13], 1
	s_add_i32 s9, s4, 0xfffffa80
	v_mov_b32_e32 v36, s5
	v_addc_co_u32_e32 v81, vcc, v1, v81, vcc
	s_cmp_lt_i32 s9, s10
	ds_read_b128 v[14:17], v36
	ds_read_b128 v[18:21], v36 offset:16
	v_add_co_u32_e32 v82, vcc, s12, v0
	s_cselect_b32 s12, s9, s11
	v_mov_b32_e32 v83, s13
	s_ashr_i32 s13, s12, 31
	s_lshl_b64 s[12:13], s[12:13], 1
	s_add_i32 s9, s4, 0xfffffac0
	v_addc_co_u32_e32 v83, vcc, v1, v83, vcc
	s_cmp_lt_i32 s9, s10
	s_waitcnt vmcnt(25)
	v_lshlrev_b32_e32 v22, 16, v120
	v_add_co_u32_e32 v84, vcc, s12, v0
	s_cselect_b32 s12, s9, s11
	s_waitcnt lgkmcnt(1)
	v_fmac_f32_e32 v119, v14, v22
	s_waitcnt vmcnt(24)
	v_lshlrev_b32_e32 v14, 16, v121
	v_mov_b32_e32 v85, s13
	s_ashr_i32 s13, s12, 31
	v_fmac_f32_e32 v119, v15, v14
	s_waitcnt vmcnt(23)
	v_lshlrev_b32_e32 v14, 16, v122
	s_lshl_b64 s[12:13], s[12:13], 1
	s_add_i32 s9, s4, 0xfffffb00
	v_fmac_f32_e32 v119, v16, v14
	s_waitcnt vmcnt(22)
	v_lshlrev_b32_e32 v14, 16, v123
	v_addc_co_u32_e32 v85, vcc, v1, v85, vcc
	s_cmp_lt_i32 s9, s10
	v_fmac_f32_e32 v119, v17, v14
	s_waitcnt vmcnt(21)
	v_lshlrev_b32_e32 v41, 16, v124
	v_add_co_u32_e32 v86, vcc, s12, v0
	s_cselect_b32 s12, s9, s11
	s_waitcnt lgkmcnt(0)
	v_fmac_f32_e32 v119, v18, v41
	global_load_ushort v41, v[54:55], off
	global_load_ushort v42, v[56:57], off
	;; [unrolled: 1-line block ×4, first 2 shown]
	v_mov_b32_e32 v87, s13
	s_ashr_i32 s13, s12, 31
	s_lshl_b64 s[12:13], s[12:13], 1
	s_add_i32 s9, s4, 0xfffffb40
	v_addc_co_u32_e32 v87, vcc, v1, v87, vcc
	s_cmp_lt_i32 s9, s10
	v_add_co_u32_e32 v88, vcc, s12, v0
	s_cselect_b32 s12, s9, s11
	v_mov_b32_e32 v89, s13
	s_ashr_i32 s13, s12, 31
	s_lshl_b64 s[12:13], s[12:13], 1
	s_add_i32 s9, s4, 0xfffffb80
	v_addc_co_u32_e32 v89, vcc, v1, v89, vcc
	s_cmp_lt_i32 s9, s10
	v_add_co_u32_e32 v90, vcc, s12, v0
	s_cselect_b32 s12, s9, s11
	;; [unrolled: 8-line block ×7, first 2 shown]
	v_mov_b32_e32 v101, s13
	s_ashr_i32 s13, s12, 31
	s_lshl_b64 s[12:13], s[12:13], 1
	s_add_i32 s9, s4, 0xfffffd00
	ds_read_b128 v[22:25], v36 offset:32
	ds_read_b128 v[14:17], v36 offset:48
	v_addc_co_u32_e32 v101, vcc, v1, v101, vcc
	s_cmp_lt_i32 s9, s10
	s_waitcnt vmcnt(24)
	v_lshlrev_b32_e32 v18, 16, v125
	v_add_co_u32_e32 v102, vcc, s12, v0
	s_cselect_b32 s12, s9, s11
	v_fmac_f32_e32 v119, v19, v18
	s_waitcnt vmcnt(23)
	v_lshlrev_b32_e32 v18, 16, v126
	v_mov_b32_e32 v103, s13
	s_ashr_i32 s13, s12, 31
	v_fmac_f32_e32 v119, v20, v18
	s_waitcnt vmcnt(22)
	v_lshlrev_b32_e32 v18, 16, v127
	s_lshl_b64 s[12:13], s[12:13], 1
	s_add_i32 s9, s4, 0xfffffd40
	v_fmac_f32_e32 v119, v21, v18
	s_waitcnt vmcnt(21)
	v_lshlrev_b32_e32 v18, 16, v128
	v_addc_co_u32_e32 v103, vcc, v1, v103, vcc
	s_cmp_lt_i32 s9, s10
	s_waitcnt lgkmcnt(1)
	v_fmac_f32_e32 v119, v22, v18
	global_load_ushort v22, v[62:63], off
	v_add_co_u32_e32 v104, vcc, s12, v0
	s_cselect_b32 s12, s9, s11
	v_mov_b32_e32 v105, s13
	s_ashr_i32 s13, s12, 31
	s_lshl_b64 s[12:13], s[12:13], 1
	s_add_i32 s9, s4, 0xfffffd80
	s_waitcnt vmcnt(21)
	v_lshlrev_b32_e32 v18, 16, v129
	v_addc_co_u32_e32 v105, vcc, v1, v105, vcc
	s_cmp_lt_i32 s9, s10
	v_fmac_f32_e32 v119, v23, v18
	global_load_ushort v23, v[64:65], off
	global_load_ushort v45, v[66:67], off
	v_add_co_u32_e32 v106, vcc, s12, v0
	s_cselect_b32 s12, s9, s11
	s_waitcnt vmcnt(22)
	v_lshlrev_b32_e32 v18, 16, v130
	v_mov_b32_e32 v107, s13
	s_ashr_i32 s13, s12, 31
	v_fmac_f32_e32 v119, v24, v18
	global_load_ushort v24, v[68:69], off
	s_waitcnt vmcnt(22)
	v_lshlrev_b32_e32 v18, 16, v131
	s_lshl_b64 s[12:13], s[12:13], 1
	s_add_i32 s9, s4, 0xfffffdc0
	v_fmac_f32_e32 v119, v25, v18
	global_load_ushort v25, v[70:71], off
	v_addc_co_u32_e32 v107, vcc, v1, v107, vcc
	s_cmp_lt_i32 s9, s10
	s_waitcnt vmcnt(22)
	v_lshlrev_b32_e32 v18, 16, v26
	global_load_ushort v26, v[72:73], off
	global_load_ushort v46, v[74:75], off
	v_add_co_u32_e32 v110, vcc, s12, v0
	s_cselect_b32 s12, s9, s11
	v_mov_b32_e32 v108, s13
	s_ashr_i32 s13, s12, 31
	s_waitcnt lgkmcnt(0)
	v_fmac_f32_e32 v119, v14, v18
	s_waitcnt vmcnt(23)
	v_lshlrev_b32_e32 v14, 16, v27
	global_load_ushort v27, v[76:77], off
	s_lshl_b64 s[12:13], s[12:13], 1
	s_add_i32 s9, s4, 0xfffffe00
	global_load_ushort v47, v[78:79], off
	v_addc_co_u32_e32 v111, vcc, v1, v108, vcc
	s_cmp_lt_i32 s9, s10
	v_add_co_u32_e32 v108, vcc, s12, v0
	s_cselect_b32 s12, s9, s11
	v_fmac_f32_e32 v119, v15, v14
	s_waitcnt vmcnt(24)
	v_lshlrev_b32_e32 v14, 16, v28
	global_load_ushort v28, v[80:81], off
	v_mov_b32_e32 v109, s13
	s_ashr_i32 s13, s12, 31
	v_fmac_f32_e32 v119, v16, v14
	s_waitcnt vmcnt(24)
	v_lshlrev_b32_e32 v14, 16, v29
	global_load_ushort v29, v[82:83], off
	global_load_ushort v48, v[84:85], off
	global_load_ushort v49, v[86:87], off
	global_load_ushort v50, v[88:89], off
	s_lshl_b64 s[12:13], s[12:13], 1
	s_add_i32 s9, s4, 0xfffffe40
	v_fmac_f32_e32 v119, v17, v14
	ds_read_b128 v[14:17], v36 offset:64
	ds_read_b128 v[18:21], v36 offset:80
	v_addc_co_u32_e32 v109, vcc, v1, v109, vcc
	s_cmp_lt_i32 s9, s10
	v_add_co_u32_e32 v114, vcc, s12, v0
	s_cselect_b32 s12, s9, s11
	v_mov_b32_e32 v112, s13
	s_ashr_i32 s13, s12, 31
	s_lshl_b64 s[12:13], s[12:13], 1
	s_add_i32 s9, s4, 0xfffffe80
	s_waitcnt vmcnt(27)
	v_lshlrev_b32_e32 v30, 16, v30
	v_addc_co_u32_e32 v115, vcc, v1, v112, vcc
	s_cmp_lt_i32 s9, s10
	s_waitcnt lgkmcnt(1)
	v_fmac_f32_e32 v119, v14, v30
	global_load_ushort v30, v[90:91], off
	v_add_co_u32_e32 v112, vcc, s12, v0
	s_cselect_b32 s12, s9, s11
	s_waitcnt vmcnt(27)
	v_lshlrev_b32_e32 v14, 16, v31
	global_load_ushort v31, v[92:93], off
	v_mov_b32_e32 v113, s13
	s_ashr_i32 s13, s12, 31
	global_load_ushort v51, v[94:95], off
	s_lshl_b64 s[12:13], s[12:13], 1
	s_add_i32 s9, s4, 0xfffffec0
	v_addc_co_u32_e32 v113, vcc, v1, v113, vcc
	s_cmp_lt_i32 s9, s10
	v_add_co_u32_e32 v116, vcc, s12, v0
	s_cselect_b32 s12, s9, s11
	v_mov_b32_e32 v117, s13
	s_ashr_i32 s13, s12, 31
	v_fmac_f32_e32 v119, v15, v14
	s_waitcnt vmcnt(28)
	v_lshlrev_b32_e32 v14, 16, v32
	global_load_ushort v32, v[96:97], off
	s_lshl_b64 s[12:13], s[12:13], 1
	s_add_i32 s9, s4, 0xffffff00
	v_fmac_f32_e32 v119, v16, v14
	s_waitcnt vmcnt(28)
	v_lshlrev_b32_e32 v14, 16, v33
	global_load_ushort v33, v[98:99], off
	v_addc_co_u32_e32 v117, vcc, v1, v117, vcc
	s_cmp_lt_i32 s9, s10
	v_fmac_f32_e32 v119, v17, v14
	s_waitcnt vmcnt(28)
	v_lshlrev_b32_e32 v14, 16, v34
	global_load_ushort v34, v[100:101], off
	global_load_ushort v52, v[102:103], off
	v_add_co_u32_e32 v2, vcc, s12, v0
	s_cselect_b32 s12, s9, s11
	v_mov_b32_e32 v3, s13
	s_ashr_i32 s13, s12, 31
	s_lshl_b64 s[12:13], s[12:13], 1
	s_add_i32 s9, s4, 0xffffff40
	s_waitcnt lgkmcnt(0)
	v_fmac_f32_e32 v119, v18, v14
	s_waitcnt vmcnt(29)
	v_lshlrev_b32_e32 v14, 16, v35
	global_load_ushort v35, v[104:105], off
	global_load_ushort v53, v[106:107], off
	;; [unrolled: 1-line block ×3, first 2 shown]
	v_addc_co_u32_e32 v3, vcc, v1, v3, vcc
	s_cmp_lt_i32 s9, s10
	v_add_co_u32_e32 v4, vcc, s12, v0
	s_cselect_b32 s12, s9, s11
	v_mov_b32_e32 v5, s13
	s_ashr_i32 s13, s12, 31
	v_fmac_f32_e32 v119, v19, v14
	s_waitcnt vmcnt(31)
	v_lshlrev_b32_e32 v14, 16, v37
	global_load_ushort v37, v[108:109], off
	global_load_ushort v55, v[114:115], off
	s_lshl_b64 s[12:13], s[12:13], 1
	s_add_i32 s9, s4, 0xffffff80
	v_addc_co_u32_e32 v5, vcc, v1, v5, vcc
	s_cmp_lt_i32 s9, s10
	v_fmac_f32_e32 v119, v20, v14
	s_waitcnt vmcnt(32)
	v_lshlrev_b32_e32 v14, 16, v38
	v_add_co_u32_e32 v6, vcc, s12, v0
	s_cselect_b32 s12, s9, s11
	v_fmac_f32_e32 v119, v21, v14
	ds_read_b128 v[14:17], v36 offset:96
	v_mov_b32_e32 v7, s13
	s_ashr_i32 s13, s12, 31
	s_lshl_b64 s[12:13], s[12:13], 1
	s_sub_i32 s9, s4, 64
	v_addc_co_u32_e32 v7, vcc, v1, v7, vcc
	s_cmp_lt_i32 s9, s10
	s_waitcnt vmcnt(31)
	v_lshlrev_b32_e32 v38, 16, v39
	global_load_ushort v39, v[112:113], off
	global_load_ushort v56, v[116:117], off
	v_add_co_u32_e32 v10, vcc, s12, v0
	s_cselect_b32 s12, s9, s11
	v_mov_b32_e32 v8, s13
	s_ashr_i32 s13, s12, 31
	s_waitcnt lgkmcnt(0)
	v_fmac_f32_e32 v119, v14, v38
	s_waitcnt vmcnt(32)
	v_lshlrev_b32_e32 v14, 16, v40
	s_lshl_b64 s[12:13], s[12:13], 1
	ds_read_b128 v[18:21], v36 offset:112
	v_fmac_f32_e32 v119, v15, v14
	global_load_ushort v14, v[2:3], off
	global_load_ushort v15, v[4:5], off
	v_addc_co_u32_e32 v11, vcc, v1, v8, vcc
	s_cmp_lt_i32 s4, s10
	v_add_co_u32_e32 v8, vcc, s12, v0
	s_cselect_b32 s12, s4, s11
	s_waitcnt vmcnt(33)
	v_lshlrev_b32_e32 v2, 16, v41
	v_mov_b32_e32 v9, s13
	s_ashr_i32 s13, s12, 31
	v_fmac_f32_e32 v119, v16, v2
	global_load_ushort v16, v[6:7], off
	global_load_ushort v38, v[10:11], off
	v_addc_co_u32_e32 v9, vcc, v1, v9, vcc
	s_lshl_b64 s[12:13], s[12:13], 1
	s_waitcnt vmcnt(34)
	v_lshlrev_b32_e32 v2, 16, v42
	v_mov_b32_e32 v13, s13
	v_add_co_u32_e32 v12, vcc, s12, v0
	v_fmac_f32_e32 v119, v17, v2
	s_waitcnt vmcnt(33)
	v_lshlrev_b32_e32 v2, 16, v43
	v_addc_co_u32_e32 v13, vcc, v1, v13, vcc
	s_waitcnt lgkmcnt(0)
	v_fmac_f32_e32 v119, v18, v2
	global_load_ushort v17, v[8:9], off
	global_load_ushort v18, v[12:13], off
	s_waitcnt vmcnt(34)
	v_lshlrev_b32_e32 v2, 16, v44
	v_fmac_f32_e32 v119, v19, v2
	s_waitcnt vmcnt(33)
	v_lshlrev_b32_e32 v2, 16, v22
	v_fmac_f32_e32 v119, v20, v2
	ds_read_b128 v[2:5], v36 offset:128
	s_waitcnt vmcnt(32)
	v_lshlrev_b32_e32 v6, 16, v23
	v_fmac_f32_e32 v119, v21, v6
	ds_read_b128 v[6:9], v36 offset:144
	s_waitcnt vmcnt(31)
	v_lshlrev_b32_e32 v10, 16, v45
	s_waitcnt lgkmcnt(1)
	v_fmac_f32_e32 v119, v2, v10
	s_waitcnt vmcnt(30)
	v_lshlrev_b32_e32 v2, 16, v24
	v_fmac_f32_e32 v119, v3, v2
	s_waitcnt vmcnt(29)
	v_lshlrev_b32_e32 v2, 16, v25
	;; [unrolled: 3-line block ×4, first 2 shown]
	s_waitcnt lgkmcnt(0)
	v_fmac_f32_e32 v119, v6, v2
	s_waitcnt vmcnt(26)
	v_lshlrev_b32_e32 v2, 16, v27
	v_fmac_f32_e32 v119, v7, v2
	s_waitcnt vmcnt(25)
	v_lshlrev_b32_e32 v2, 16, v47
	v_fmac_f32_e32 v119, v8, v2
	ds_read_b128 v[2:5], v36 offset:160
	s_waitcnt vmcnt(24)
	v_lshlrev_b32_e32 v6, 16, v28
	v_fmac_f32_e32 v119, v9, v6
	ds_read_b128 v[6:9], v36 offset:176
	s_waitcnt vmcnt(23)
	v_lshlrev_b32_e32 v10, 16, v29
	s_waitcnt lgkmcnt(1)
	v_fmac_f32_e32 v119, v2, v10
	s_waitcnt vmcnt(22)
	v_lshlrev_b32_e32 v2, 16, v48
	v_fmac_f32_e32 v119, v3, v2
	s_waitcnt vmcnt(21)
	v_lshlrev_b32_e32 v2, 16, v49
	;; [unrolled: 3-line block ×4, first 2 shown]
	s_waitcnt lgkmcnt(0)
	v_fmac_f32_e32 v119, v6, v2
	s_waitcnt vmcnt(18)
	v_lshlrev_b32_e32 v2, 16, v31
	v_fmac_f32_e32 v119, v7, v2
	s_waitcnt vmcnt(17)
	v_lshlrev_b32_e32 v2, 16, v51
	v_fmac_f32_e32 v119, v8, v2
	ds_read_b128 v[2:5], v36 offset:192
	s_waitcnt vmcnt(16)
	v_lshlrev_b32_e32 v6, 16, v32
	v_fmac_f32_e32 v119, v9, v6
	ds_read_b128 v[6:9], v36 offset:208
	s_waitcnt vmcnt(15)
	v_lshlrev_b32_e32 v10, 16, v33
	s_waitcnt lgkmcnt(1)
	v_fmac_f32_e32 v119, v2, v10
	s_waitcnt vmcnt(14)
	v_lshlrev_b32_e32 v2, 16, v34
	v_fmac_f32_e32 v119, v3, v2
	s_waitcnt vmcnt(13)
	v_lshlrev_b32_e32 v2, 16, v52
	;; [unrolled: 3-line block ×4, first 2 shown]
	v_lshlrev_b32_e32 v2, 16, v53
	s_waitcnt lgkmcnt(0)
	v_pk_mul_f32 v[2:3], v[6:7], v[2:3]
	v_add_f32_e32 v2, v119, v2
	v_add_f32_e32 v4, v2, v3
	s_waitcnt vmcnt(8)
	v_lshlrev_b32_e32 v3, 16, v55
	v_lshlrev_b32_e32 v2, 16, v37
	v_pk_mul_f32 v[6:7], v[8:9], v[2:3]
	v_add_f32_e32 v6, v4, v6
	ds_read_b128 v[2:5], v36 offset:224
	s_waitcnt vmcnt(6)
	v_lshlrev_b32_e32 v11, 16, v56
	v_lshlrev_b32_e32 v10, 16, v39
	v_add_f32_e32 v12, v6, v7
	ds_read_b128 v[6:9], v36 offset:240
	s_waitcnt lgkmcnt(1)
	v_pk_mul_f32 v[2:3], v[2:3], v[10:11]
	v_add_f32_e32 v2, v12, v2
	v_add_f32_e32 v10, v2, v3
	s_waitcnt vmcnt(4)
	v_lshlrev_b32_e32 v3, 16, v15
	v_lshlrev_b32_e32 v2, 16, v14
	v_pk_mul_f32 v[2:3], v[4:5], v[2:3]
	v_add_f32_e32 v2, v10, v2
	v_add_f32_e32 v4, v2, v3
	s_waitcnt vmcnt(2)
	v_lshlrev_b32_e32 v3, 16, v38
	v_lshlrev_b32_e32 v2, 16, v16
	s_waitcnt lgkmcnt(0)
	v_pk_mul_f32 v[2:3], v[6:7], v[2:3]
	v_add_f32_e32 v2, v4, v2
	v_add_f32_e32 v4, v2, v3
	s_waitcnt vmcnt(0)
	v_lshlrev_b32_e32 v3, 16, v18
	v_lshlrev_b32_e32 v2, 16, v17
	v_pk_mul_f32 v[2:3], v[8:9], v[2:3]
	v_add_f32_e32 v2, v4, v2
	v_add_f32_e32 v119, v2, v3
	s_branch .LBB227_16
.LBB227_19:
	v_mov_b32_e32 v0, 0
	ds_read_b32 v0, v0 offset:4096
	s_cmp_lg_u64 s[2:3], 0
	s_cbranch_scc0 .LBB227_28
; %bb.20:
	s_load_dword s4, s[2:3], 0x0
	s_waitcnt lgkmcnt(0)
	v_div_scale_f32 v1, s[2:3], s4, s4, 1.0
	v_rcp_f32_e32 v2, v1
	v_div_scale_f32 v3, vcc, 1.0, s4, 1.0
	v_fma_f32 v4, -v1, v2, 1.0
	v_fmac_f32_e32 v2, v4, v2
	v_mul_f32_e32 v4, v3, v2
	v_fma_f32 v5, -v1, v4, v3
	v_fmac_f32_e32 v4, v5, v2
	v_fma_f32 v1, -v1, v4, v3
	v_div_fmas_f32 v1, v1, v2, v4
	v_div_fixup_f32 v1, v1, s4, 1.0
	s_andn2_b64 vcc, exec, s[50:51]
	s_cbranch_vccnz .LBB227_22
.LBB227_21:
	s_add_u32 s2, s48, s52
	s_addc_u32 s3, s49, s53
	s_load_dword s38, s[2:3], 0x0
	s_mov_b32 s39, 0
.LBB227_22:
	s_waitcnt lgkmcnt(0)
	v_add_f32_e32 v0, 0x358637bd, v0
	v_div_scale_f32 v2, s[2:3], v0, v0, 1.0
	v_rcp_f32_e32 v3, v2
	v_div_scale_f32 v4, vcc, 1.0, v0, 1.0
	s_mov_b32 s2, 0x7f800000
	v_fma_f32 v5, -v2, v3, 1.0
	v_fmac_f32_e32 v3, v5, v3
	v_mul_f32_e32 v5, v4, v3
	v_fma_f32 v6, -v2, v5, v4
	v_fmac_f32_e32 v5, v6, v3
	v_fma_f32 v2, -v2, v5, v4
	v_div_fmas_f32 v2, v2, v3, v5
	v_div_fixup_f32 v0, v2, v0, 1.0
	v_mul_f32_e32 v0, v119, v0
	v_mul_f32_e32 v1, v0, v1
	v_and_b32_e32 v0, 0x7f800000, v1
	v_cmp_ne_u32_e32 vcc, s2, v0
                                        ; implicit-def: $vgpr0
	s_and_saveexec_b64 s[2:3], vcc
	s_xor_b64 s[2:3], exec, s[2:3]
; %bb.23:
	v_bfe_u32 v0, v1, 16, 1
	s_movk_i32 s4, 0x7fff
	v_add3_u32 v0, v1, v0, s4
                                        ; implicit-def: $vgpr1
; %bb.24:
	s_andn2_saveexec_b64 s[2:3], s[2:3]
; %bb.25:
	v_mov_b32_e32 v0, 0
	v_or_b32_e32 v2, 0x10000, v1
	v_cmp_eq_u32_sdwa vcc, v1, v0 src0_sel:WORD_0 src1_sel:DWORD
	v_cndmask_b32_e32 v0, v2, v1, vcc
; %bb.26:
	s_or_b64 exec, exec, s[2:3]
	s_mul_i32 s2, s7, s39
	s_mul_hi_u32 s3, s7, s38
	s_add_i32 s3, s3, s2
	s_mul_i32 s2, s7, s38
	s_lshl_b64 s[2:3], s[2:3], 7
	s_add_u32 s2, s0, s2
	s_mov_b32 s7, 0
	s_addc_u32 s3, s1, s3
	s_lshl_b64 s[0:1], s[6:7], 7
	s_add_u32 s0, s2, s0
	s_addc_u32 s1, s3, s1
	global_store_short_d16_hi v118, v0, s[0:1]
	s_endpgm
.LBB227_27:
	s_mov_b64 s[2:3], 0
	s_branch .LBB227_2
.LBB227_28:
	v_mov_b32_e32 v1, 1.0
	s_andn2_b64 vcc, exec, s[50:51]
	s_cbranch_vccz .LBB227_21
	s_branch .LBB227_22
	.section	.rodata,"a",@progbits
	.p2align	6, 0x0
	.amdhsa_kernel _Z35paged_attention_ll4mi_reduce_kernelI14__hip_bfloat16S0_Li64ELi64ELi256ELi16EEvPT0_PKfS4_PKT_PKiS9_iS4_
		.amdhsa_group_segment_fixed_size 4100
		.amdhsa_private_segment_fixed_size 0
		.amdhsa_kernarg_size 320
		.amdhsa_user_sgpr_count 6
		.amdhsa_user_sgpr_private_segment_buffer 1
		.amdhsa_user_sgpr_dispatch_ptr 0
		.amdhsa_user_sgpr_queue_ptr 0
		.amdhsa_user_sgpr_kernarg_segment_ptr 1
		.amdhsa_user_sgpr_dispatch_id 0
		.amdhsa_user_sgpr_flat_scratch_init 0
		.amdhsa_user_sgpr_kernarg_preload_length 0
		.amdhsa_user_sgpr_kernarg_preload_offset 0
		.amdhsa_user_sgpr_private_segment_size 0
		.amdhsa_uses_dynamic_stack 0
		.amdhsa_system_sgpr_private_segment_wavefront_offset 0
		.amdhsa_system_sgpr_workgroup_id_x 1
		.amdhsa_system_sgpr_workgroup_id_y 1
		.amdhsa_system_sgpr_workgroup_id_z 0
		.amdhsa_system_sgpr_workgroup_info 0
		.amdhsa_system_vgpr_workitem_id 0
		.amdhsa_next_free_vgpr 132
		.amdhsa_next_free_sgpr 61
		.amdhsa_accum_offset 132
		.amdhsa_reserve_vcc 1
		.amdhsa_reserve_flat_scratch 0
		.amdhsa_float_round_mode_32 0
		.amdhsa_float_round_mode_16_64 0
		.amdhsa_float_denorm_mode_32 3
		.amdhsa_float_denorm_mode_16_64 3
		.amdhsa_dx10_clamp 1
		.amdhsa_ieee_mode 1
		.amdhsa_fp16_overflow 0
		.amdhsa_tg_split 0
		.amdhsa_exception_fp_ieee_invalid_op 0
		.amdhsa_exception_fp_denorm_src 0
		.amdhsa_exception_fp_ieee_div_zero 0
		.amdhsa_exception_fp_ieee_overflow 0
		.amdhsa_exception_fp_ieee_underflow 0
		.amdhsa_exception_fp_ieee_inexact 0
		.amdhsa_exception_int_div_zero 0
	.end_amdhsa_kernel
	.section	.text._Z35paged_attention_ll4mi_reduce_kernelI14__hip_bfloat16S0_Li64ELi64ELi256ELi16EEvPT0_PKfS4_PKT_PKiS9_iS4_,"axG",@progbits,_Z35paged_attention_ll4mi_reduce_kernelI14__hip_bfloat16S0_Li64ELi64ELi256ELi16EEvPT0_PKfS4_PKT_PKiS9_iS4_,comdat
.Lfunc_end227:
	.size	_Z35paged_attention_ll4mi_reduce_kernelI14__hip_bfloat16S0_Li64ELi64ELi256ELi16EEvPT0_PKfS4_PKT_PKiS9_iS4_, .Lfunc_end227-_Z35paged_attention_ll4mi_reduce_kernelI14__hip_bfloat16S0_Li64ELi64ELi256ELi16EEvPT0_PKfS4_PKT_PKiS9_iS4_
                                        ; -- End function
	.section	.AMDGPU.csdata,"",@progbits
; Kernel info:
; codeLenInByte = 12192
; NumSgprs: 65
; NumVgprs: 132
; NumAgprs: 0
; TotalNumVgprs: 132
; ScratchSize: 0
; MemoryBound: 0
; FloatMode: 240
; IeeeMode: 1
; LDSByteSize: 4100 bytes/workgroup (compile time only)
; SGPRBlocks: 8
; VGPRBlocks: 16
; NumSGPRsForWavesPerEU: 65
; NumVGPRsForWavesPerEU: 132
; AccumOffset: 132
; Occupancy: 3
; WaveLimiterHint : 1
; COMPUTE_PGM_RSRC2:SCRATCH_EN: 0
; COMPUTE_PGM_RSRC2:USER_SGPR: 6
; COMPUTE_PGM_RSRC2:TRAP_HANDLER: 0
; COMPUTE_PGM_RSRC2:TGID_X_EN: 1
; COMPUTE_PGM_RSRC2:TGID_Y_EN: 1
; COMPUTE_PGM_RSRC2:TGID_Z_EN: 0
; COMPUTE_PGM_RSRC2:TIDIG_COMP_CNT: 0
; COMPUTE_PGM_RSRC3_GFX90A:ACCUM_OFFSET: 32
; COMPUTE_PGM_RSRC3_GFX90A:TG_SPLIT: 0
	.section	.text._Z38paged_attention_ll4mi_QKV_mfma4_kernelI14__hip_bfloat16S0_LN4vllm18Fp8KVCacheDataTypeE0ES0_Li16ELi64ELi256ELb0ELi1EEvPKT_PKT0_S8_ifPKiSA_SA_iPKfiiiPfSD_PS3_PT2_iSC_SC_,"axG",@progbits,_Z38paged_attention_ll4mi_QKV_mfma4_kernelI14__hip_bfloat16S0_LN4vllm18Fp8KVCacheDataTypeE0ES0_Li16ELi64ELi256ELb0ELi1EEvPKT_PKT0_S8_ifPKiSA_SA_iPKfiiiPfSD_PS3_PT2_iSC_SC_,comdat
	.protected	_Z38paged_attention_ll4mi_QKV_mfma4_kernelI14__hip_bfloat16S0_LN4vllm18Fp8KVCacheDataTypeE0ES0_Li16ELi64ELi256ELb0ELi1EEvPKT_PKT0_S8_ifPKiSA_SA_iPKfiiiPfSD_PS3_PT2_iSC_SC_ ; -- Begin function _Z38paged_attention_ll4mi_QKV_mfma4_kernelI14__hip_bfloat16S0_LN4vllm18Fp8KVCacheDataTypeE0ES0_Li16ELi64ELi256ELb0ELi1EEvPKT_PKT0_S8_ifPKiSA_SA_iPKfiiiPfSD_PS3_PT2_iSC_SC_
	.globl	_Z38paged_attention_ll4mi_QKV_mfma4_kernelI14__hip_bfloat16S0_LN4vllm18Fp8KVCacheDataTypeE0ES0_Li16ELi64ELi256ELb0ELi1EEvPKT_PKT0_S8_ifPKiSA_SA_iPKfiiiPfSD_PS3_PT2_iSC_SC_
	.p2align	8
	.type	_Z38paged_attention_ll4mi_QKV_mfma4_kernelI14__hip_bfloat16S0_LN4vllm18Fp8KVCacheDataTypeE0ES0_Li16ELi64ELi256ELb0ELi1EEvPKT_PKT0_S8_ifPKiSA_SA_iPKfiiiPfSD_PS3_PT2_iSC_SC_,@function
_Z38paged_attention_ll4mi_QKV_mfma4_kernelI14__hip_bfloat16S0_LN4vllm18Fp8KVCacheDataTypeE0ES0_Li16ELi64ELi256ELb0ELi1EEvPKT_PKT0_S8_ifPKiSA_SA_iPKfiiiPfSD_PS3_PT2_iSC_SC_: ; @_Z38paged_attention_ll4mi_QKV_mfma4_kernelI14__hip_bfloat16S0_LN4vllm18Fp8KVCacheDataTypeE0ES0_Li16ELi64ELi256ELb0ELi1EEvPKT_PKT0_S8_ifPKiSA_SA_iPKfiiiPfSD_PS3_PT2_iSC_SC_
; %bb.0:
	s_load_dwordx2 s[2:3], s[4:5], 0x30
	s_mov_b32 s24, s7
	s_mov_b64 s[0:1], 0
	s_waitcnt lgkmcnt(0)
	s_cmp_lg_u64 s[2:3], 0
	s_cselect_b64 s[10:11], -1, 0
	s_and_b64 vcc, exec, s[10:11]
	s_cbranch_vccz .LBB228_10
; %bb.1:
	s_add_i32 s12, s6, 1
	s_mov_b32 s13, 0
	s_lshl_b64 s[14:15], s[12:13], 2
	s_add_u32 s14, s2, s14
	s_mov_b32 s7, s13
	s_addc_u32 s15, s3, s15
	s_lshl_b64 s[12:13], s[6:7], 2
	s_add_u32 s12, s2, s12
	s_addc_u32 s13, s3, s13
	s_load_dword s9, s[14:15], 0x0
	s_load_dword s16, s[12:13], 0x0
	s_waitcnt lgkmcnt(0)
	s_sub_i32 s9, s9, s16
	s_cmp_eq_u32 s9, 1
	s_cselect_b64 s[12:13], -1, 0
	s_andn2_b64 vcc, exec, s[0:1]
	s_cbranch_vccnz .LBB228_3
.LBB228_2:
	s_mov_b32 s7, 0
	s_mov_b64 s[12:13], -1
.LBB228_3:
	s_andn2_b64 vcc, exec, s[12:13]
	s_cbranch_vccnz .LBB228_23
; %bb.4:
	s_load_dword s9, s[4:5], 0x9c
	s_load_dwordx2 s[0:1], s[4:5], 0x28
	s_add_u32 s28, s4, 0x90
	s_addc_u32 s29, s5, 0
	s_lshl_b64 s[20:21], s[6:7], 2
	s_waitcnt lgkmcnt(0)
	s_and_b32 s12, s9, 0xffff
	s_add_u32 s0, s0, s20
	s_addc_u32 s1, s1, s21
	s_load_dword s9, s[0:1], 0x0
	s_mul_i32 s16, s24, s12
	s_waitcnt lgkmcnt(0)
	s_cmp_ge_i32 s16, s9
	s_cbranch_scc1 .LBB228_23
; %bb.5:
	v_and_b32_e32 v2, 0xc0, v0
	v_add_u32_e32 v2, s16, v2
	v_lshrrev_b32_e32 v1, 6, v0
	v_cmp_gt_i32_e64 s[0:1], s9, v2
	v_cmp_le_i32_e32 vcc, s9, v2
                                        ; implicit-def: $sgpr18
                                        ; implicit-def: $sgpr17
	s_and_saveexec_b64 s[12:13], vcc
	s_xor_b64 s[12:13], exec, s[12:13]
	s_cbranch_execz .LBB228_7
; %bb.6:
	v_mul_u32_u24_e32 v2, 20, v1
	v_or_b32_e32 v2, 0xa00, v2
	v_mov_b32_e32 v3, 0xa50
	v_mov_b32_e32 v4, 0xff7fffff
	v_mad_u32_u24 v3, v1, 20, v3
	ds_write2_b32 v2, v4, v4 offset1:1
	v_mov_b32_e32 v2, 0
	ds_write2_b32 v3, v2, v2 offset1:1
	v_mov_b32_e32 v3, 0xa08
	s_mov_b32 s17, 0xff7fffff
	s_mov_b32 s18, 0
	v_mad_u32_u24 v3, v1, 20, v3
	v_mov_b32_e32 v5, 0xa58
	v_mad_u32_u24 v5, v1, 20, v5
	ds_write2_b32 v3, v4, v4 offset1:1
	ds_write2_b32 v5, v2, v2 offset1:1
                                        ; implicit-def: $vgpr2
.LBB228_7:
	s_or_saveexec_b64 s[30:31], s[12:13]
	s_load_dwordx2 s[26:27], s[4:5], 0x68
	s_load_dwordx4 s[12:15], s[4:5], 0x58
	s_load_dword s7, s[28:29], 0x4
	v_and_b32_e32 v40, 63, v0
	v_and_b32_e32 v39, 3, v0
	v_mov_b32_e32 v37, s18
	v_mov_b32_e32 v41, s17
	;; [unrolled: 1-line block ×5, first 2 shown]
                                        ; implicit-def: $vgpr3
                                        ; implicit-def: $vgpr7
                                        ; implicit-def: $vgpr11
                                        ; implicit-def: $vgpr15
                                        ; implicit-def: $vgpr19
                                        ; implicit-def: $vgpr23
                                        ; implicit-def: $vgpr27
                                        ; implicit-def: $vgpr31
	s_xor_b64 exec, exec, s[30:31]
	s_cbranch_execz .LBB228_17
; %bb.8:
	s_add_i32 s22, s9, 15
	s_load_dwordx2 s[18:19], s[4:5], 0x20
	s_load_dword s17, s[4:5], 0x38
	s_ashr_i32 s23, s22, 31
	s_lshr_b32 s23, s23, 28
	v_add_u32_e32 v38, s16, v0
	s_add_i32 s22, s22, s23
	v_ashrrev_i32_e32 v3, 31, v38
	s_ashr_i32 s22, s22, 4
	v_lshrrev_b32_e32 v3, 28, v3
	s_add_i32 s25, s22, -1
	v_add_u32_e32 v3, v38, v3
	s_waitcnt lgkmcnt(0)
	s_mul_i32 s22, s6, s17
	s_mov_b32 s23, 0
	v_ashrrev_i32_e32 v3, 4, v3
	v_mov_b32_e32 v4, s25
	v_cmp_gt_i32_e32 vcc, s9, v38
	s_lshl_b64 s[22:23], s[22:23], 2
	v_cndmask_b32_e32 v4, v4, v3, vcc
	s_add_u32 s17, s18, s22
	v_ashrrev_i32_e32 v5, 31, v4
	s_addc_u32 s18, s19, s23
	v_lshlrev_b64 v[4:5], 2, v[4:5]
	v_mov_b32_e32 v3, s18
	v_add_co_u32_e32 v8, vcc, s17, v4
	v_addc_co_u32_e32 v9, vcc, v3, v5, vcc
	v_ashrrev_i32_e32 v3, 31, v2
	v_lshrrev_b32_e32 v3, 28, v3
	v_add_u32_e32 v2, v2, v3
	v_ashrrev_i32_e32 v4, 4, v2
	v_min_i32_e32 v2, s25, v4
	v_ashrrev_i32_e32 v3, 31, v2
	v_lshlrev_b64 v[2:3], 2, v[2:3]
	v_add_co_u32_e32 v10, vcc, s17, v2
	v_add_u32_e32 v2, 1, v4
	v_mov_b32_e32 v5, s18
	v_min_i32_e32 v2, s25, v2
	v_addc_co_u32_e32 v11, vcc, v5, v3, vcc
	v_ashrrev_i32_e32 v3, 31, v2
	v_lshlrev_b64 v[2:3], 2, v[2:3]
	v_add_co_u32_e32 v12, vcc, s17, v2
	v_add_u32_e32 v2, 2, v4
	v_min_i32_e32 v2, s25, v2
	v_addc_co_u32_e32 v13, vcc, v5, v3, vcc
	v_ashrrev_i32_e32 v3, 31, v2
	v_lshlrev_b64 v[2:3], 2, v[2:3]
	v_add_co_u32_e32 v14, vcc, s17, v2
	v_add_u32_e32 v2, 3, v4
	v_min_i32_e32 v2, s25, v2
	v_addc_co_u32_e32 v15, vcc, v5, v3, vcc
	v_ashrrev_i32_e32 v3, 31, v2
	v_lshlrev_b64 v[2:3], 2, v[2:3]
	v_mov_b32_e32 v4, s18
	v_add_co_u32_e32 v16, vcc, s17, v2
	v_addc_co_u32_e32 v17, vcc, v4, v3, vcc
	global_load_dword v2, v[8:9], off
	global_load_dword v7, v[10:11], off
	;; [unrolled: 1-line block ×5, first 2 shown]
	s_load_dwordx4 s[16:19], s[4:5], 0x8
	s_andn2_b64 vcc, exec, s[10:11]
	s_cbranch_vccnz .LBB228_11
; %bb.9:
	s_add_u32 s2, s2, s20
	s_addc_u32 s3, s3, s21
	s_load_dword s2, s[2:3], 0x0
	s_branch .LBB228_12
.LBB228_10:
	s_mov_b64 s[12:13], 0
	s_branch .LBB228_2
.LBB228_11:
	s_mov_b32 s2, s6
.LBB228_12:
	s_load_dwordx4 s[20:23], s[4:5], 0x48
	v_cmp_eq_u32_e32 vcc, 0, v39
	s_mov_b32 s3, 0
	v_mov_b32_e32 v41, 0
	v_mov_b32_e32 v3, 0
	;; [unrolled: 1-line block ×6, first 2 shown]
	s_and_saveexec_b64 s[10:11], vcc
	s_cbranch_execz .LBB228_14
; %bb.13:
	s_load_dwordx2 s[34:35], s[4:5], 0x0
	s_waitcnt lgkmcnt(0)
	s_ashr_i32 s23, s20, 31
	s_mul_hi_u32 s25, s2, s20
	s_mul_i32 s23, s2, s23
	s_add_i32 s37, s25, s23
	s_mul_i32 s36, s2, s20
	s_lshl_b64 s[36:37], s[36:37], 1
	s_add_u32 s20, s34, s36
	s_addc_u32 s23, s35, s37
	s_lshl_b32 s2, s8, 6
	s_lshl_b64 s[34:35], s[2:3], 1
	s_add_u32 s34, s20, s34
	s_addc_u32 s35, s23, s35
	v_lshlrev_b32_e32 v8, 2, v40
	global_load_dwordx4 v[34:37], v8, s[34:35]
	v_mov_b32_e32 v41, 1.0
.LBB228_14:
	s_or_b64 exec, exec, s[10:11]
	s_waitcnt vmcnt(4) lgkmcnt(0)
	v_mad_i64_i32 v[8:9], s[10:11], v2, s21, 0
	s_mul_i32 s2, s8, s22
	s_lshl_b64 s[10:11], s[2:3], 1
	s_add_u32 s2, s10, s16
	v_lshlrev_b64 v[8:9], 1, v[8:9]
	s_addc_u32 s3, s11, s17
	v_mov_b32_e32 v2, s3
	v_add_co_u32_e32 v8, vcc, s2, v8
	v_addc_co_u32_e32 v2, vcc, v2, v9, vcc
	v_and_b32_e32 v9, 15, v0
	v_lshlrev_b32_e32 v9, 4, v9
	v_add_co_u32_e32 v32, vcc, v8, v9
	v_addc_co_u32_e32 v33, vcc, 0, v2, vcc
	global_load_dwordx4 v[8:11], v[32:33], off
	global_load_dwordx4 v[12:15], v[32:33], off offset:256
	global_load_dwordx4 v[16:19], v[32:33], off offset:512
	;; [unrolled: 1-line block ×7, first 2 shown]
	s_waitcnt vmcnt(11)
	v_mul_hi_i32 v2, v7, s21
	s_waitcnt vmcnt(10)
	v_mul_hi_i32 v50, v6, s21
	v_ashrrev_i32_e32 v2, 31, v2
	s_waitcnt vmcnt(9)
	v_mul_hi_i32 v32, v5, s21
	s_waitcnt vmcnt(8)
	v_mul_hi_i32 v33, v4, s21
	v_cmp_eq_u32_e32 vcc, 1, v39
	v_ashrrev_i32_e32 v50, 31, v50
	v_lshrrev_b32_e32 v2, 29, v2
	s_load_dword s2, s[4:5], 0x1c
	v_cndmask_b32_e64 v53, 0, 1.0, vcc
	v_cmp_eq_u32_e32 vcc, 2, v39
	v_ashrrev_i32_e32 v51, 31, v32
	v_ashrrev_i32_e32 v58, 31, v33
	v_mad_i64_i32 v[32:33], s[4:5], v7, s21, v[2:3]
	v_lshrrev_b32_e32 v2, 29, v50
	s_add_u32 s3, s18, s10
	v_lshlrev_b32_e32 v52, 5, v40
	v_cndmask_b32_e64 v54, 0, 1.0, vcc
	v_cmp_eq_u32_e32 vcc, 3, v39
	v_mad_i64_i32 v[6:7], s[4:5], v6, s21, v[2:3]
	v_lshrrev_b32_e32 v2, 29, v51
	s_addc_u32 s10, s19, s11
	v_cndmask_b32_e64 v55, 0, 1.0, vcc
	v_lshlrev_b64 v[32:33], 1, v[32:33]
	v_mad_i64_i32 v[50:51], s[4:5], v5, s21, v[2:3]
	v_mov_b32_e32 v5, s10
	v_add_co_u32_e32 v52, vcc, s3, v52
	v_and_b32_e32 v32, -16, v32
	v_lshrrev_b32_e32 v2, 29, v58
	v_addc_co_u32_e32 v58, vcc, 0, v5, vcc
	v_lshlrev_b64 v[6:7], 1, v[6:7]
	v_and_b32_e32 v6, -16, v6
	v_mad_i64_i32 v[2:3], s[4:5], v4, s21, v[2:3]
	v_and_b32_e32 v56, -4, v38
	v_lshlrev_b32_e32 v57, 2, v0
	v_or_b32_e32 v38, 3, v38
	v_cmp_gt_i32_e64 s[10:11], s9, v38
	s_waitcnt vmcnt(7)
	v_mfma_f32_4x4x4bf16_1k a[0:3], v[34:35], v[8:9], 0 cbsz:4
	v_lshlrev_b64 v[8:9], 1, v[50:51]
	v_mfma_f32_4x4x4bf16_1k a[0:3], v[36:37], v[10:11], a[0:3] cbsz:4
	v_add_co_u32_e32 v10, vcc, v52, v32
	s_waitcnt vmcnt(6)
	v_mfma_f32_4x4x4bf16_1k a[0:3], v[34:35], v[12:13], a[0:3] cbsz:4 abid:1
	v_addc_co_u32_e32 v11, vcc, v58, v33, vcc
	v_mfma_f32_4x4x4bf16_1k a[0:3], v[36:37], v[14:15], a[0:3] cbsz:4 abid:1
	v_and_b32_e32 v4, -16, v8
	s_waitcnt vmcnt(5)
	v_mfma_f32_4x4x4bf16_1k a[0:3], v[34:35], v[16:17], a[0:3] cbsz:4 abid:2
	v_lshlrev_b64 v[50:51], 1, v[2:3]
	v_mfma_f32_4x4x4bf16_1k a[0:3], v[36:37], v[18:19], a[0:3] cbsz:4 abid:2
	v_add_co_u32_e32 v18, vcc, v52, v6
	s_waitcnt vmcnt(4)
	v_mfma_f32_4x4x4bf16_1k a[0:3], v[34:35], v[20:21], a[0:3] cbsz:4 abid:3
	v_addc_co_u32_e32 v19, vcc, v58, v7, vcc
	v_mfma_f32_4x4x4bf16_1k a[0:3], v[36:37], v[22:23], a[0:3] cbsz:4 abid:3
	v_add_co_u32_e32 v32, vcc, v52, v4
	s_waitcnt vmcnt(3)
	v_mfma_f32_4x4x4bf16_1k a[0:3], v[34:35], v[24:25], a[0:3] cbsz:4 abid:4
	v_addc_co_u32_e32 v33, vcc, v58, v9, vcc
	v_mfma_f32_4x4x4bf16_1k a[0:3], v[36:37], v[26:27], a[0:3] cbsz:4 abid:4
	v_and_b32_e32 v50, -16, v50
	s_waitcnt vmcnt(2)
	v_mfma_f32_4x4x4bf16_1k a[0:3], v[34:35], v[28:29], a[0:3] cbsz:4 abid:5
	global_load_dwordx4 v[2:5], v[10:11], off
	global_load_dwordx4 v[6:9], v[10:11], off offset:16
	v_mfma_f32_4x4x4bf16_1k a[0:3], v[36:37], v[30:31], a[0:3] cbsz:4 abid:5
	global_load_dwordx4 v[10:13], v[18:19], off
	global_load_dwordx4 v[14:17], v[18:19], off offset:16
	s_waitcnt vmcnt(5)
	v_mfma_f32_4x4x4bf16_1k a[0:3], v[34:35], v[42:43], a[0:3] cbsz:4 abid:6
	v_add_co_u32_e32 v42, vcc, v52, v50
	v_addc_co_u32_e32 v43, vcc, v58, v51, vcc
	global_load_dwordx4 v[18:21], v[32:33], off
	global_load_dwordx4 v[22:25], v[32:33], off offset:16
	global_load_dwordx4 v[26:29], v[42:43], off
	s_nop 0
	global_load_dwordx4 v[30:33], v[42:43], off offset:16
	v_mfma_f32_4x4x4bf16_1k a[0:3], v[36:37], v[44:45], a[0:3] cbsz:4 abid:6
	v_mov_b32_e32 v42, 0xff7fffff
	s_waitcnt vmcnt(8)
	v_mfma_f32_4x4x4bf16_1k a[0:3], v[34:35], v[46:47], a[0:3] cbsz:4 abid:7
	v_cmp_gt_i32_e32 vcc, s9, v56
	v_mfma_f32_4x4x4bf16_1k a[0:3], v[36:37], v[48:49], a[0:3] cbsz:4 abid:7
	s_nop 4
	v_accvgpr_read_b32 v35, a1
	v_accvgpr_read_b32 v34, a0
	s_waitcnt lgkmcnt(0)
	v_pk_mul_f32 v[34:35], s[2:3], v[34:35] op_sel_hi:[0,1]
	v_accvgpr_read_b32 v37, a3
	v_accvgpr_read_b32 v36, a2
	v_pk_mul_f32 v[36:37], s[2:3], v[36:37] op_sel_hi:[0,1]
	v_mfma_f32_4x4x1f32 a[0:3], v34, v41, 0
	v_and_or_b32 v34, v57, 48, v39
	v_mfma_f32_4x4x1f32 a[0:3], v35, v53, a[0:3]
	v_or_b32_e32 v35, 1, v56
	v_mfma_f32_4x4x1f32 a[0:3], v36, v54, a[0:3]
	v_cmp_gt_i32_e64 s[2:3], s9, v35
	v_mfma_f32_4x4x1f32 a[0:3], v37, v55, a[0:3]
	v_or_b32_e32 v36, 2, v56
	v_cmp_gt_i32_e64 s[4:5], s9, v36
	v_lshlrev_b32_e32 v38, 2, v34
	s_nop 1
	v_accvgpr_read_b32 v37, a0
	v_max_f32_e32 v41, v37, v37
	v_accvgpr_read_b32 v43, a1
	v_max_f32_e32 v41, 0xff7fffff, v41
	v_max_f32_e32 v46, v43, v43
	v_cndmask_b32_e32 v41, v42, v41, vcc
	v_accvgpr_read_b32 v44, a2
	v_max_f32_e32 v42, v41, v46
	v_max_f32_e32 v47, v44, v44
	v_cndmask_b32_e64 v35, v41, v42, s[2:3]
	v_accvgpr_read_b32 v45, a3
	v_max_f32_e32 v41, v35, v47
	v_cndmask_b32_e64 v35, v35, v41, s[4:5]
	v_max_f32_e32 v36, v45, v45
	v_max_f32_e32 v36, v35, v36
	v_cndmask_b32_e64 v35, v35, v36, s[10:11]
	;;#ASMSTART
	v_nop
 v_nop
 v_max_f32_dpp v34, v35, v35 row_ror:4
	;;#ASMEND
	;;#ASMSTART
	v_nop
 v_nop
 v_max_f32_dpp v34, v34, v34 row_ror:8
	;;#ASMEND
	ds_bpermute_b32 v34, v38, v34
	s_waitcnt lgkmcnt(0)
	;;#ASMSTART
	v_nop
 v_nop
 v_max_f32_dpp v34, v34, v34 row_ror:4
	;;#ASMEND
	;;#ASMSTART
	v_nop
 v_nop
 v_max_f32_dpp v41, v34, v34 row_ror:8
	;;#ASMEND
	v_sub_f32_e32 v34, v37, v41
	v_sub_f32_e32 v35, v43, v41
	v_mul_f32_e32 v34, 0x3fb8aa3b, v34
	v_exp_f32_e32 v34, v34
	v_mul_f32_e32 v35, 0x3fb8aa3b, v35
	v_sub_f32_e32 v37, v44, v41
	v_exp_f32_e32 v35, v35
	v_mul_f32_e32 v37, 0x3fb8aa3b, v37
	v_sub_f32_e32 v42, v45, v41
	v_exp_f32_e32 v37, v37
	v_mul_f32_e32 v42, 0x3fb8aa3b, v42
	v_exp_f32_e32 v42, v42
	v_cndmask_b32_e32 v34, 0, v34, vcc
	v_cndmask_b32_e64 v35, 0, v35, s[2:3]
	v_add_f32_e32 v36, 0, v34
	v_add_f32_e32 v43, v36, v35
	v_cndmask_b32_e64 v36, 0, v37, s[4:5]
	v_add_f32_e32 v43, v43, v36
	v_cndmask_b32_e64 v37, 0, v42, s[10:11]
	v_add_f32_e32 v42, v43, v37
	;;#ASMSTART
	v_nop
 v_nop
 v_add_f32_dpp v42, v42, v42 row_ror:4
	;;#ASMEND
	;;#ASMSTART
	v_nop
 v_nop
 v_add_f32_dpp v42, v42, v42 row_ror:8
	;;#ASMEND
	ds_bpermute_b32 v38, v38, v42
	s_waitcnt lgkmcnt(0)
	;;#ASMSTART
	v_nop
 v_nop
 v_add_f32_dpp v38, v38, v38 row_ror:4
	;;#ASMEND
	v_cmp_gt_u32_e32 vcc, 4, v40
	;;#ASMSTART
	v_nop
 v_nop
 v_add_f32_dpp v38, v38, v38 row_ror:8
	;;#ASMEND
	s_and_saveexec_b64 s[2:3], vcc
	s_cbranch_execz .LBB228_16
; %bb.15:
	v_mul_u32_u24_e32 v42, 20, v1
	v_lshl_add_u32 v42, v39, 2, v42
	v_add_u32_e32 v42, 0x800, v42
	ds_write2_b32 v42, v41, v38 offset0:128 offset1:148
.LBB228_16:
	s_or_b64 exec, exec, s[2:3]
.LBB228_17:
	s_or_b64 exec, exec, s[30:31]
	s_waitcnt lgkmcnt(0)
	s_barrier
	s_load_dword s2, s[28:29], 0x8
	v_lshlrev_b32_e32 v38, 2, v39
	v_add_u32_e32 v43, 0x800, v38
	ds_read2_b32 v[44:45], v43 offset0:128 offset1:133
	ds_read2_b32 v[46:47], v43 offset0:138 offset1:143
	s_mul_i32 s3, s7, s6
	s_waitcnt lgkmcnt(0)
	s_mul_i32 s2, s3, s2
	s_mov_b32 s3, 0xff7fffff
	v_max3_f32 v38, v44, s3, v45
	v_max3_f32 v42, v38, v46, v47
	v_sub_f32_e32 v38, v44, v42
	v_sub_f32_e32 v44, v45, v42
	v_mul_f32_e32 v44, 0x3fb8aa3b, v44
	ds_read2_b32 v[48:49], v43 offset0:148 offset1:153
	v_mul_f32_e32 v38, 0x3fb8aa3b, v38
	v_exp_f32_e32 v51, v44
	ds_read2_b32 v[44:45], v43 offset0:158 offset1:163
	v_sub_f32_e32 v43, v46, v42
	v_exp_f32_e32 v50, v38
	v_mul_f32_e32 v43, 0x3fb8aa3b, v43
	v_exp_f32_e32 v46, v43
	v_sub_f32_e32 v43, v47, v42
	v_mul_f32_e32 v43, 0x3fb8aa3b, v43
	v_exp_f32_e32 v47, v43
	s_waitcnt lgkmcnt(1)
	v_fma_f32 v43, v50, v48, 0
	v_fmac_f32_e32 v43, v51, v49
	s_waitcnt lgkmcnt(0)
	v_fmac_f32_e32 v43, v46, v44
	v_mov_b32_e32 v38, 0
	v_fmac_f32_e32 v43, v47, v45
	s_mov_b32 s3, 0
	v_cmp_eq_u32_e32 vcc, 0, v39
	s_and_saveexec_b64 s[4:5], vcc
	s_cbranch_execz .LBB228_19
; %bb.18:
	s_lshl_b64 s[10:11], s[2:3], 2
	s_add_u32 s6, s12, s10
	s_mov_b32 s25, s3
	s_addc_u32 s9, s13, s11
	s_lshl_b64 s[12:13], s[24:25], 2
	s_add_u32 s6, s6, s12
	s_addc_u32 s9, s9, s13
	s_add_u32 s10, s14, s10
	s_addc_u32 s11, s15, s11
	;; [unrolled: 2-line block ×3, first 2 shown]
	s_mul_i32 s10, s7, s8
	s_mov_b32 s11, s3
	s_lshl_b64 s[10:11], s[10:11], 2
	s_add_u32 s12, s6, s10
	s_addc_u32 s13, s9, s11
	s_add_u32 s10, s14, s10
	s_addc_u32 s11, s15, s11
	global_store_dword v38, v42, s[10:11]
	global_store_dword v38, v43, s[12:13]
.LBB228_19:
	s_or_b64 exec, exec, s[4:5]
	v_mov_b32_e32 v39, 0
	s_and_saveexec_b64 s[4:5], s[0:1]
	s_cbranch_execz .LBB228_21
; %bb.20:
	v_add_f32_e32 v38, 0x358637bd, v43
	v_div_scale_f32 v39, s[0:1], v38, v38, 1.0
	v_rcp_f32_e32 v43, v39
	v_div_scale_f32 v44, vcc, 1.0, v38, 1.0
	v_sub_f32_e32 v41, v41, v42
	v_fma_f32 v45, -v39, v43, 1.0
	v_fmac_f32_e32 v43, v45, v43
	v_mul_f32_e32 v45, v44, v43
	v_fma_f32 v46, -v39, v45, v44
	v_mul_f32_e32 v41, 0x3fb8aa3b, v41
	v_fmac_f32_e32 v45, v46, v43
	v_exp_f32_e32 v41, v41
	v_fma_f32 v39, -v39, v45, v44
	v_div_fmas_f32 v39, v39, v43, v45
	v_div_fixup_f32 v38, v39, v38, 1.0
	v_mul_f32_e32 v38, v41, v38
	v_pk_mul_f32 v[34:35], v[34:35], v[38:39] op_sel_hi:[1,0]
	v_pk_mul_f32 v[36:37], v[36:37], v[38:39] op_sel_hi:[1,0]
	v_bfe_u32 v38, v35, 16, 1
	v_bfe_u32 v39, v34, 16, 1
	s_movk_i32 s0, 0x7fff
	v_add3_u32 v34, v34, v39, s0
	v_add3_u32 v35, v35, v38, s0
	s_mov_b32 s1, 0x7060302
	v_perm_b32 v34, v35, v34, s1
	v_bfe_u32 v35, v37, 16, 1
	v_bfe_u32 v38, v36, 16, 1
	v_add3_u32 v36, v36, v38, s0
	v_add3_u32 v35, v37, v35, s0
	v_perm_b32 v35, v35, v36, s1
	s_waitcnt vmcnt(7)
	s_nop 0
	v_mfma_f32_4x4x4bf16_1k a[0:3], v[34:35], v[2:3], 0 cbsz:4
	v_mfma_f32_4x4x4bf16_1k a[0:3], v[34:35], v[4:5], a[0:3] cbsz:4 abid:1
	s_waitcnt vmcnt(6)
	v_mfma_f32_4x4x4bf16_1k a[0:3], v[34:35], v[6:7], a[0:3] cbsz:4 abid:2
	v_mfma_f32_4x4x4bf16_1k a[0:3], v[34:35], v[8:9], a[0:3] cbsz:4 abid:3
	s_waitcnt vmcnt(5)
	v_mfma_f32_4x4x4bf16_1k a[0:3], v[34:35], v[10:11], a[0:3] cbsz:4 abid:4
	;; [unrolled: 3-line block ×7, first 2 shown]
	v_mfma_f32_4x4x4bf16_1k a[0:3], v[34:35], v[32:33], a[0:3] cbsz:4 abid:15
	s_nop 4
	v_accvgpr_read_b32 v5, a1
	v_accvgpr_read_b32 v2, a2
	;; [unrolled: 1-line block ×4, first 2 shown]
	v_bfe_u32 v6, v5, 16, 1
	v_bfe_u32 v7, v4, 16, 1
	;; [unrolled: 1-line block ×3, first 2 shown]
	v_add3_u32 v5, v5, v6, s0
	v_bfe_u32 v6, v2, 16, 1
	v_add3_u32 v4, v4, v7, s0
	v_add3_u32 v2, v2, v6, s0
	;; [unrolled: 1-line block ×3, first 2 shown]
	v_perm_b32 v39, v3, v2, s1
	v_perm_b32 v38, v5, v4, s1
.LBB228_21:
	s_or_b64 exec, exec, s[4:5]
	v_lshlrev_b32_e32 v1, 3, v1
	v_mad_u32_u24 v1, v40, 40, v1
	v_cmp_gt_u32_e32 vcc, 64, v0
	ds_write_b64 v1, v[38:39]
	s_waitcnt lgkmcnt(0)
	s_barrier
	s_and_saveexec_b64 s[0:1], vcc
	s_cbranch_execz .LBB228_23
; %bb.22:
	s_lshl_b32 s0, s2, 6
	s_mov_b32 s1, 0
	s_lshl_b64 s[2:3], s[0:1], 1
	s_add_u32 s2, s26, s2
	s_mul_i32 s8, s8, s7
	s_addc_u32 s3, s27, s3
	s_lshl_b32 s0, s24, 6
	v_lshl_or_b32 v0, s8, 6, v0
	v_mov_b32_e32 v1, 0
	s_waitcnt vmcnt(6)
	v_mul_u32_u24_e32 v7, 40, v40
	s_lshl_b64 s[0:1], s[0:1], 1
	v_lshlrev_b64 v[4:5], 1, v[0:1]
	ds_read2_b64 v[0:3], v7 offset1:1
	s_add_u32 s0, s2, s0
	s_addc_u32 s1, s3, s1
	v_mov_b32_e32 v6, s1
	v_add_co_u32_e32 v8, vcc, s0, v4
	v_addc_co_u32_e32 v9, vcc, v6, v5, vcc
	ds_read2_b64 v[4:7], v7 offset0:2 offset1:3
	s_waitcnt lgkmcnt(1)
	v_lshlrev_b32_e32 v0, 16, v0
	v_add_f32_e32 v0, 0, v0
	v_and_b32_e32 v0, 0xffff0000, v0
	v_lshlrev_b32_e32 v1, 16, v2
	v_add_f32_e32 v0, v0, v1
	v_and_b32_e32 v0, 0xffff0000, v0
	s_waitcnt lgkmcnt(0)
	v_lshlrev_b32_e32 v1, 16, v4
	v_add_f32_e32 v0, v0, v1
	v_and_b32_e32 v0, 0xffff0000, v0
	v_lshlrev_b32_e32 v1, 16, v6
	v_add_f32_e32 v0, v0, v1
	global_store_short_d16_hi v[8:9], v0, off
.LBB228_23:
	s_endpgm
	.section	.rodata,"a",@progbits
	.p2align	6, 0x0
	.amdhsa_kernel _Z38paged_attention_ll4mi_QKV_mfma4_kernelI14__hip_bfloat16S0_LN4vllm18Fp8KVCacheDataTypeE0ES0_Li16ELi64ELi256ELb0ELi1EEvPKT_PKT0_S8_ifPKiSA_SA_iPKfiiiPfSD_PS3_PT2_iSC_SC_
		.amdhsa_group_segment_fixed_size 2720
		.amdhsa_private_segment_fixed_size 0
		.amdhsa_kernarg_size 400
		.amdhsa_user_sgpr_count 6
		.amdhsa_user_sgpr_private_segment_buffer 1
		.amdhsa_user_sgpr_dispatch_ptr 0
		.amdhsa_user_sgpr_queue_ptr 0
		.amdhsa_user_sgpr_kernarg_segment_ptr 1
		.amdhsa_user_sgpr_dispatch_id 0
		.amdhsa_user_sgpr_flat_scratch_init 0
		.amdhsa_user_sgpr_kernarg_preload_length 0
		.amdhsa_user_sgpr_kernarg_preload_offset 0
		.amdhsa_user_sgpr_private_segment_size 0
		.amdhsa_uses_dynamic_stack 0
		.amdhsa_system_sgpr_private_segment_wavefront_offset 0
		.amdhsa_system_sgpr_workgroup_id_x 1
		.amdhsa_system_sgpr_workgroup_id_y 1
		.amdhsa_system_sgpr_workgroup_id_z 1
		.amdhsa_system_sgpr_workgroup_info 0
		.amdhsa_system_vgpr_workitem_id 0
		.amdhsa_next_free_vgpr 64
		.amdhsa_next_free_sgpr 38
		.amdhsa_accum_offset 60
		.amdhsa_reserve_vcc 1
		.amdhsa_reserve_flat_scratch 0
		.amdhsa_float_round_mode_32 0
		.amdhsa_float_round_mode_16_64 0
		.amdhsa_float_denorm_mode_32 3
		.amdhsa_float_denorm_mode_16_64 3
		.amdhsa_dx10_clamp 1
		.amdhsa_ieee_mode 1
		.amdhsa_fp16_overflow 0
		.amdhsa_tg_split 0
		.amdhsa_exception_fp_ieee_invalid_op 0
		.amdhsa_exception_fp_denorm_src 0
		.amdhsa_exception_fp_ieee_div_zero 0
		.amdhsa_exception_fp_ieee_overflow 0
		.amdhsa_exception_fp_ieee_underflow 0
		.amdhsa_exception_fp_ieee_inexact 0
		.amdhsa_exception_int_div_zero 0
	.end_amdhsa_kernel
	.section	.text._Z38paged_attention_ll4mi_QKV_mfma4_kernelI14__hip_bfloat16S0_LN4vllm18Fp8KVCacheDataTypeE0ES0_Li16ELi64ELi256ELb0ELi1EEvPKT_PKT0_S8_ifPKiSA_SA_iPKfiiiPfSD_PS3_PT2_iSC_SC_,"axG",@progbits,_Z38paged_attention_ll4mi_QKV_mfma4_kernelI14__hip_bfloat16S0_LN4vllm18Fp8KVCacheDataTypeE0ES0_Li16ELi64ELi256ELb0ELi1EEvPKT_PKT0_S8_ifPKiSA_SA_iPKfiiiPfSD_PS3_PT2_iSC_SC_,comdat
.Lfunc_end228:
	.size	_Z38paged_attention_ll4mi_QKV_mfma4_kernelI14__hip_bfloat16S0_LN4vllm18Fp8KVCacheDataTypeE0ES0_Li16ELi64ELi256ELb0ELi1EEvPKT_PKT0_S8_ifPKiSA_SA_iPKfiiiPfSD_PS3_PT2_iSC_SC_, .Lfunc_end228-_Z38paged_attention_ll4mi_QKV_mfma4_kernelI14__hip_bfloat16S0_LN4vllm18Fp8KVCacheDataTypeE0ES0_Li16ELi64ELi256ELb0ELi1EEvPKT_PKT0_S8_ifPKiSA_SA_iPKfiiiPfSD_PS3_PT2_iSC_SC_
                                        ; -- End function
	.section	.AMDGPU.csdata,"",@progbits
; Kernel info:
; codeLenInByte = 3152
; NumSgprs: 42
; NumVgprs: 59
; NumAgprs: 4
; TotalNumVgprs: 64
; ScratchSize: 0
; MemoryBound: 0
; FloatMode: 240
; IeeeMode: 1
; LDSByteSize: 2720 bytes/workgroup (compile time only)
; SGPRBlocks: 5
; VGPRBlocks: 7
; NumSGPRsForWavesPerEU: 42
; NumVGPRsForWavesPerEU: 64
; AccumOffset: 60
; Occupancy: 8
; WaveLimiterHint : 1
; COMPUTE_PGM_RSRC2:SCRATCH_EN: 0
; COMPUTE_PGM_RSRC2:USER_SGPR: 6
; COMPUTE_PGM_RSRC2:TRAP_HANDLER: 0
; COMPUTE_PGM_RSRC2:TGID_X_EN: 1
; COMPUTE_PGM_RSRC2:TGID_Y_EN: 1
; COMPUTE_PGM_RSRC2:TGID_Z_EN: 1
; COMPUTE_PGM_RSRC2:TIDIG_COMP_CNT: 0
; COMPUTE_PGM_RSRC3_GFX90A:ACCUM_OFFSET: 14
; COMPUTE_PGM_RSRC3_GFX90A:TG_SPLIT: 0
	.section	.text._Z38paged_attention_ll4mi_QKV_mfma4_kernelI14__hip_bfloat16S0_LN4vllm18Fp8KVCacheDataTypeE0ES0_Li16ELi64ELi256ELb0ELi2EEvPKT_PKT0_S8_ifPKiSA_SA_iPKfiiiPfSD_PS3_PT2_iSC_SC_,"axG",@progbits,_Z38paged_attention_ll4mi_QKV_mfma4_kernelI14__hip_bfloat16S0_LN4vllm18Fp8KVCacheDataTypeE0ES0_Li16ELi64ELi256ELb0ELi2EEvPKT_PKT0_S8_ifPKiSA_SA_iPKfiiiPfSD_PS3_PT2_iSC_SC_,comdat
	.protected	_Z38paged_attention_ll4mi_QKV_mfma4_kernelI14__hip_bfloat16S0_LN4vllm18Fp8KVCacheDataTypeE0ES0_Li16ELi64ELi256ELb0ELi2EEvPKT_PKT0_S8_ifPKiSA_SA_iPKfiiiPfSD_PS3_PT2_iSC_SC_ ; -- Begin function _Z38paged_attention_ll4mi_QKV_mfma4_kernelI14__hip_bfloat16S0_LN4vllm18Fp8KVCacheDataTypeE0ES0_Li16ELi64ELi256ELb0ELi2EEvPKT_PKT0_S8_ifPKiSA_SA_iPKfiiiPfSD_PS3_PT2_iSC_SC_
	.globl	_Z38paged_attention_ll4mi_QKV_mfma4_kernelI14__hip_bfloat16S0_LN4vllm18Fp8KVCacheDataTypeE0ES0_Li16ELi64ELi256ELb0ELi2EEvPKT_PKT0_S8_ifPKiSA_SA_iPKfiiiPfSD_PS3_PT2_iSC_SC_
	.p2align	8
	.type	_Z38paged_attention_ll4mi_QKV_mfma4_kernelI14__hip_bfloat16S0_LN4vllm18Fp8KVCacheDataTypeE0ES0_Li16ELi64ELi256ELb0ELi2EEvPKT_PKT0_S8_ifPKiSA_SA_iPKfiiiPfSD_PS3_PT2_iSC_SC_,@function
_Z38paged_attention_ll4mi_QKV_mfma4_kernelI14__hip_bfloat16S0_LN4vllm18Fp8KVCacheDataTypeE0ES0_Li16ELi64ELi256ELb0ELi2EEvPKT_PKT0_S8_ifPKiSA_SA_iPKfiiiPfSD_PS3_PT2_iSC_SC_: ; @_Z38paged_attention_ll4mi_QKV_mfma4_kernelI14__hip_bfloat16S0_LN4vllm18Fp8KVCacheDataTypeE0ES0_Li16ELi64ELi256ELb0ELi2EEvPKT_PKT0_S8_ifPKiSA_SA_iPKfiiiPfSD_PS3_PT2_iSC_SC_
; %bb.0:
	s_load_dwordx2 s[2:3], s[4:5], 0x30
	s_mov_b32 s24, s7
	s_mov_b64 s[0:1], 0
	s_waitcnt lgkmcnt(0)
	s_cmp_lg_u64 s[2:3], 0
	s_cselect_b64 s[10:11], -1, 0
	s_and_b64 vcc, exec, s[10:11]
	s_cbranch_vccz .LBB229_10
; %bb.1:
	s_add_i32 s12, s6, 1
	s_mov_b32 s13, 0
	s_lshl_b64 s[14:15], s[12:13], 2
	s_add_u32 s14, s2, s14
	s_mov_b32 s7, s13
	s_addc_u32 s15, s3, s15
	s_lshl_b64 s[12:13], s[6:7], 2
	s_add_u32 s12, s2, s12
	s_addc_u32 s13, s3, s13
	s_load_dword s9, s[14:15], 0x0
	s_load_dword s16, s[12:13], 0x0
	s_waitcnt lgkmcnt(0)
	s_sub_i32 s9, s9, s16
	s_cmp_eq_u32 s9, 1
	s_cselect_b64 s[12:13], -1, 0
	s_andn2_b64 vcc, exec, s[0:1]
	s_cbranch_vccnz .LBB229_3
.LBB229_2:
	s_mov_b32 s7, 0
	s_mov_b64 s[12:13], -1
.LBB229_3:
	s_andn2_b64 vcc, exec, s[12:13]
	s_cbranch_vccnz .LBB229_23
; %bb.4:
	s_load_dword s9, s[4:5], 0x9c
	s_load_dwordx2 s[0:1], s[4:5], 0x28
	s_add_u32 s28, s4, 0x90
	s_addc_u32 s29, s5, 0
	s_lshl_b64 s[20:21], s[6:7], 2
	s_waitcnt lgkmcnt(0)
	s_and_b32 s12, s9, 0xffff
	s_add_u32 s0, s0, s20
	s_addc_u32 s1, s1, s21
	s_load_dword s9, s[0:1], 0x0
	s_mul_i32 s16, s24, s12
	s_waitcnt lgkmcnt(0)
	s_cmp_ge_i32 s16, s9
	s_cbranch_scc1 .LBB229_23
; %bb.5:
	v_and_b32_e32 v2, 0xc0, v0
	v_add_u32_e32 v2, s16, v2
	v_lshrrev_b32_e32 v1, 6, v0
	v_cmp_gt_i32_e64 s[0:1], s9, v2
	v_cmp_le_i32_e32 vcc, s9, v2
                                        ; implicit-def: $sgpr18
                                        ; implicit-def: $sgpr17
	s_and_saveexec_b64 s[12:13], vcc
	s_xor_b64 s[12:13], exec, s[12:13]
	s_cbranch_execz .LBB229_7
; %bb.6:
	v_mul_u32_u24_e32 v2, 20, v1
	v_or_b32_e32 v2, 0xa00, v2
	v_mov_b32_e32 v3, 0xa50
	v_mov_b32_e32 v4, 0xff7fffff
	v_mad_u32_u24 v3, v1, 20, v3
	ds_write2_b32 v2, v4, v4 offset1:1
	v_mov_b32_e32 v2, 0
	ds_write2_b32 v3, v2, v2 offset1:1
	v_mov_b32_e32 v3, 0xa08
	s_mov_b32 s17, 0xff7fffff
	s_mov_b32 s18, 0
	v_mad_u32_u24 v3, v1, 20, v3
	v_mov_b32_e32 v5, 0xa58
	v_mad_u32_u24 v5, v1, 20, v5
	ds_write2_b32 v3, v4, v4 offset1:1
	ds_write2_b32 v5, v2, v2 offset1:1
                                        ; implicit-def: $vgpr2
.LBB229_7:
	s_or_saveexec_b64 s[30:31], s[12:13]
	s_load_dwordx2 s[26:27], s[4:5], 0x68
	s_load_dwordx4 s[12:15], s[4:5], 0x58
	s_load_dword s7, s[28:29], 0x4
	v_and_b32_e32 v40, 63, v0
	v_and_b32_e32 v38, 3, v0
	v_mov_b32_e32 v37, s18
	v_mov_b32_e32 v41, s17
	;; [unrolled: 1-line block ×5, first 2 shown]
                                        ; implicit-def: $vgpr3
                                        ; implicit-def: $vgpr7
                                        ; implicit-def: $vgpr11
                                        ; implicit-def: $vgpr15
                                        ; implicit-def: $vgpr19
                                        ; implicit-def: $vgpr23
                                        ; implicit-def: $vgpr27
                                        ; implicit-def: $vgpr31
	s_xor_b64 exec, exec, s[30:31]
	s_cbranch_execz .LBB229_17
; %bb.8:
	s_add_i32 s22, s9, 15
	s_load_dwordx2 s[18:19], s[4:5], 0x20
	s_load_dword s17, s[4:5], 0x38
	s_ashr_i32 s23, s22, 31
	s_lshr_b32 s23, s23, 28
	v_add_u32_e32 v39, s16, v0
	s_add_i32 s22, s22, s23
	v_ashrrev_i32_e32 v3, 31, v39
	s_ashr_i32 s22, s22, 4
	v_lshrrev_b32_e32 v3, 28, v3
	s_add_i32 s25, s22, -1
	v_add_u32_e32 v3, v39, v3
	s_waitcnt lgkmcnt(0)
	s_mul_i32 s22, s6, s17
	s_mov_b32 s23, 0
	v_ashrrev_i32_e32 v3, 4, v3
	v_mov_b32_e32 v4, s25
	v_cmp_gt_i32_e32 vcc, s9, v39
	s_lshl_b64 s[22:23], s[22:23], 2
	v_cndmask_b32_e32 v4, v4, v3, vcc
	s_add_u32 s17, s18, s22
	v_ashrrev_i32_e32 v5, 31, v4
	s_addc_u32 s18, s19, s23
	v_lshlrev_b64 v[4:5], 2, v[4:5]
	v_mov_b32_e32 v3, s18
	v_add_co_u32_e32 v8, vcc, s17, v4
	v_addc_co_u32_e32 v9, vcc, v3, v5, vcc
	v_ashrrev_i32_e32 v3, 31, v2
	v_lshrrev_b32_e32 v3, 28, v3
	v_add_u32_e32 v2, v2, v3
	v_ashrrev_i32_e32 v4, 4, v2
	v_min_i32_e32 v2, s25, v4
	v_ashrrev_i32_e32 v3, 31, v2
	v_lshlrev_b64 v[2:3], 2, v[2:3]
	v_add_co_u32_e32 v10, vcc, s17, v2
	v_add_u32_e32 v2, 1, v4
	v_mov_b32_e32 v5, s18
	v_min_i32_e32 v2, s25, v2
	v_addc_co_u32_e32 v11, vcc, v5, v3, vcc
	v_ashrrev_i32_e32 v3, 31, v2
	v_lshlrev_b64 v[2:3], 2, v[2:3]
	v_add_co_u32_e32 v12, vcc, s17, v2
	v_add_u32_e32 v2, 2, v4
	v_min_i32_e32 v2, s25, v2
	v_addc_co_u32_e32 v13, vcc, v5, v3, vcc
	v_ashrrev_i32_e32 v3, 31, v2
	v_lshlrev_b64 v[2:3], 2, v[2:3]
	v_add_co_u32_e32 v14, vcc, s17, v2
	v_add_u32_e32 v2, 3, v4
	v_min_i32_e32 v2, s25, v2
	v_addc_co_u32_e32 v15, vcc, v5, v3, vcc
	v_ashrrev_i32_e32 v3, 31, v2
	v_lshlrev_b64 v[2:3], 2, v[2:3]
	v_mov_b32_e32 v4, s18
	v_add_co_u32_e32 v16, vcc, s17, v2
	v_addc_co_u32_e32 v17, vcc, v4, v3, vcc
	global_load_dword v2, v[8:9], off
	global_load_dword v7, v[10:11], off
	global_load_dword v6, v[12:13], off
	global_load_dword v5, v[14:15], off
	global_load_dword v4, v[16:17], off
	s_load_dwordx4 s[16:19], s[4:5], 0x8
	s_andn2_b64 vcc, exec, s[10:11]
	s_cbranch_vccnz .LBB229_11
; %bb.9:
	s_add_u32 s2, s2, s20
	s_addc_u32 s3, s3, s21
	s_load_dword s2, s[2:3], 0x0
	s_branch .LBB229_12
.LBB229_10:
	s_mov_b64 s[12:13], 0
	s_branch .LBB229_2
.LBB229_11:
	s_mov_b32 s2, s6
.LBB229_12:
	s_load_dwordx4 s[20:23], s[4:5], 0x48
	v_cmp_gt_u32_e32 vcc, 2, v38
	s_mov_b32 s3, 0
	v_mov_b32_e32 v3, 0
	v_mov_b32_e32 v34, 0
	v_mov_b32_e32 v35, 0
	v_mov_b32_e32 v36, 0
	v_mov_b32_e32 v37, 0
	s_and_saveexec_b64 s[10:11], vcc
	s_cbranch_execz .LBB229_14
; %bb.13:
	s_load_dwordx2 s[34:35], s[4:5], 0x0
	s_waitcnt lgkmcnt(0)
	s_ashr_i32 s23, s20, 31
	s_mul_hi_u32 s25, s2, s20
	s_mul_i32 s23, s2, s23
	s_add_i32 s37, s25, s23
	s_mul_i32 s36, s2, s20
	s_lshl_b64 s[36:37], s[36:37], 1
	s_add_u32 s20, s34, s36
	s_addc_u32 s23, s35, s37
	s_lshl_b32 s2, s8, 7
	s_lshl_b64 s[34:35], s[2:3], 1
	s_add_u32 s34, s20, s34
	v_lshlrev_b32_e32 v8, 3, v38
	v_lshrrev_b32_e32 v9, 2, v40
	s_addc_u32 s35, s23, s35
	v_add_lshl_u32 v8, v8, v9, 4
	global_load_dwordx4 v[34:37], v8, s[34:35]
.LBB229_14:
	s_or_b64 exec, exec, s[10:11]
	s_waitcnt lgkmcnt(0)
	s_mul_i32 s2, s8, s22
	s_waitcnt vmcnt(4)
	v_mad_i64_i32 v[8:9], s[10:11], v2, s21, 0
	s_lshl_b64 s[2:3], s[2:3], 1
	s_add_u32 s10, s2, s16
	v_lshlrev_b64 v[8:9], 1, v[8:9]
	s_addc_u32 s11, s3, s17
	v_mov_b32_e32 v2, s11
	v_add_co_u32_e32 v8, vcc, s10, v8
	v_addc_co_u32_e32 v2, vcc, v2, v9, vcc
	v_and_b32_e32 v9, 15, v0
	v_lshlrev_b32_e32 v9, 4, v9
	v_add_co_u32_e32 v32, vcc, v8, v9
	v_addc_co_u32_e32 v33, vcc, 0, v2, vcc
	global_load_dwordx4 v[8:11], v[32:33], off
	global_load_dwordx4 v[12:15], v[32:33], off offset:256
	global_load_dwordx4 v[16:19], v[32:33], off offset:512
	global_load_dwordx4 v[20:23], v[32:33], off offset:768
	global_load_dwordx4 v[24:27], v[32:33], off offset:1024
	global_load_dwordx4 v[28:31], v[32:33], off offset:1280
	global_load_dwordx4 v[42:45], v[32:33], off offset:1536
	global_load_dwordx4 v[46:49], v[32:33], off offset:1792
	s_waitcnt vmcnt(11)
	v_mul_hi_i32 v2, v7, s21
	s_waitcnt vmcnt(10)
	v_mul_hi_i32 v50, v6, s21
	v_ashrrev_i32_e32 v2, 31, v2
	s_waitcnt vmcnt(8)
	v_mul_hi_i32 v32, v4, s21
	v_cmp_eq_u32_e32 vcc, 0, v38
	v_ashrrev_i32_e32 v50, 31, v50
	v_lshrrev_b32_e32 v2, 29, v2
	v_mul_hi_i32 v51, v5, s21
	v_cndmask_b32_e64 v52, 0, 1.0, vcc
	v_cmp_eq_u32_e32 vcc, 1, v38
	v_ashrrev_i32_e32 v57, 31, v32
	v_mad_i64_i32 v[32:33], s[10:11], v7, s21, v[2:3]
	v_lshrrev_b32_e32 v2, 29, v50
	s_load_dword s4, s[4:5], 0x1c
	v_cndmask_b32_e64 v53, 0, 1.0, vcc
	v_cmp_eq_u32_e32 vcc, 2, v38
	v_ashrrev_i32_e32 v51, 31, v51
	s_add_u32 s5, s18, s2
	v_mad_i64_i32 v[6:7], s[10:11], v6, s21, v[2:3]
	v_lshlrev_b32_e32 v41, 5, v40
	v_cndmask_b32_e64 v54, 0, 1.0, vcc
	v_cmp_eq_u32_e32 vcc, 3, v38
	v_lshrrev_b32_e32 v2, 29, v51
	s_addc_u32 s10, s19, s3
	v_cndmask_b32_e64 v55, 0, 1.0, vcc
	v_lshlrev_b64 v[32:33], 1, v[32:33]
	v_mad_i64_i32 v[50:51], s[2:3], v5, s21, v[2:3]
	v_mov_b32_e32 v5, s10
	v_add_co_u32_e32 v41, vcc, s5, v41
	v_and_b32_e32 v32, -16, v32
	v_lshrrev_b32_e32 v2, 29, v57
	v_addc_co_u32_e32 v57, vcc, 0, v5, vcc
	v_lshlrev_b64 v[6:7], 1, v[6:7]
	v_and_b32_e32 v6, -16, v6
	v_mad_i64_i32 v[2:3], s[2:3], v4, s21, v[2:3]
	v_and_b32_e32 v56, -4, v39
	s_waitcnt vmcnt(7)
	v_mfma_f32_4x4x4bf16_1k a[0:3], v[34:35], v[8:9], 0 cbsz:4
	v_lshlrev_b64 v[8:9], 1, v[50:51]
	v_mfma_f32_4x4x4bf16_1k a[0:3], v[36:37], v[10:11], a[0:3] cbsz:4
	v_add_co_u32_e32 v10, vcc, v41, v32
	s_waitcnt vmcnt(6)
	v_mfma_f32_4x4x4bf16_1k a[0:3], v[34:35], v[12:13], a[0:3] cbsz:4 abid:1
	v_addc_co_u32_e32 v11, vcc, v57, v33, vcc
	v_mfma_f32_4x4x4bf16_1k a[0:3], v[36:37], v[14:15], a[0:3] cbsz:4 abid:1
	v_and_b32_e32 v4, -16, v8
	s_waitcnt vmcnt(5)
	v_mfma_f32_4x4x4bf16_1k a[0:3], v[34:35], v[16:17], a[0:3] cbsz:4 abid:2
	v_lshlrev_b64 v[50:51], 1, v[2:3]
	v_mfma_f32_4x4x4bf16_1k a[0:3], v[36:37], v[18:19], a[0:3] cbsz:4 abid:2
	v_add_co_u32_e32 v18, vcc, v41, v6
	s_waitcnt vmcnt(4)
	v_mfma_f32_4x4x4bf16_1k a[0:3], v[34:35], v[20:21], a[0:3] cbsz:4 abid:3
	v_addc_co_u32_e32 v19, vcc, v57, v7, vcc
	v_mfma_f32_4x4x4bf16_1k a[0:3], v[36:37], v[22:23], a[0:3] cbsz:4 abid:3
	v_add_co_u32_e32 v32, vcc, v41, v4
	s_waitcnt vmcnt(3)
	v_mfma_f32_4x4x4bf16_1k a[0:3], v[34:35], v[24:25], a[0:3] cbsz:4 abid:4
	v_addc_co_u32_e32 v33, vcc, v57, v9, vcc
	v_mfma_f32_4x4x4bf16_1k a[0:3], v[36:37], v[26:27], a[0:3] cbsz:4 abid:4
	v_and_b32_e32 v50, -16, v50
	s_waitcnt vmcnt(2)
	v_mfma_f32_4x4x4bf16_1k a[0:3], v[34:35], v[28:29], a[0:3] cbsz:4 abid:5
	global_load_dwordx4 v[2:5], v[10:11], off
	global_load_dwordx4 v[6:9], v[10:11], off offset:16
	v_mfma_f32_4x4x4bf16_1k a[0:3], v[36:37], v[30:31], a[0:3] cbsz:4 abid:5
	global_load_dwordx4 v[10:13], v[18:19], off
	global_load_dwordx4 v[14:17], v[18:19], off offset:16
	s_waitcnt vmcnt(5)
	v_mfma_f32_4x4x4bf16_1k a[0:3], v[34:35], v[42:43], a[0:3] cbsz:4 abid:6
	v_add_co_u32_e32 v42, vcc, v41, v50
	v_addc_co_u32_e32 v43, vcc, v57, v51, vcc
	global_load_dwordx4 v[18:21], v[32:33], off
	global_load_dwordx4 v[22:25], v[32:33], off offset:16
	global_load_dwordx4 v[26:29], v[42:43], off
	s_nop 0
	global_load_dwordx4 v[30:33], v[42:43], off offset:16
	v_mfma_f32_4x4x4bf16_1k a[0:3], v[36:37], v[44:45], a[0:3] cbsz:4 abid:6
	v_lshlrev_b32_e32 v41, 2, v0
	s_waitcnt vmcnt(8)
	v_mfma_f32_4x4x4bf16_1k a[0:3], v[34:35], v[46:47], a[0:3] cbsz:4 abid:7
	v_mov_b32_e32 v42, 0xff7fffff
	v_mfma_f32_4x4x4bf16_1k a[0:3], v[36:37], v[48:49], a[0:3] cbsz:4 abid:7
	v_cmp_gt_i32_e32 vcc, s9, v56
	s_nop 3
	v_accvgpr_read_b32 v35, a1
	v_accvgpr_read_b32 v34, a0
	s_waitcnt lgkmcnt(0)
	v_pk_mul_f32 v[34:35], s[4:5], v[34:35] op_sel_hi:[0,1]
	v_accvgpr_read_b32 v37, a3
	v_accvgpr_read_b32 v36, a2
	v_pk_mul_f32 v[36:37], s[4:5], v[36:37] op_sel_hi:[0,1]
	v_mfma_f32_4x4x1f32 a[0:3], v34, v52, 0
	v_and_or_b32 v34, v41, 48, v38
	v_mfma_f32_4x4x1f32 a[0:3], v35, v53, a[0:3]
	v_or_b32_e32 v35, 1, v56
	v_mfma_f32_4x4x1f32 a[0:3], v36, v54, a[0:3]
	v_cmp_gt_i32_e64 s[2:3], s9, v35
	v_mfma_f32_4x4x1f32 a[0:3], v37, v55, a[0:3]
	v_or_b32_e32 v36, 2, v56
	v_cmp_gt_i32_e64 s[4:5], s9, v36
	v_or_b32_e32 v36, 3, v39
	v_cmp_gt_i32_e64 s[10:11], s9, v36
	s_nop 0
	v_accvgpr_read_b32 v37, a0
	v_max_f32_e32 v41, v37, v37
	v_accvgpr_read_b32 v43, a1
	v_max_f32_e32 v41, 0xff7fffff, v41
	v_max_f32_e32 v45, v43, v43
	v_cndmask_b32_e32 v41, v42, v41, vcc
	v_accvgpr_read_b32 v44, a2
	v_max_f32_e32 v42, v41, v45
	v_max_f32_e32 v46, v44, v44
	v_cndmask_b32_e64 v35, v41, v42, s[2:3]
	v_max_f32_e32 v41, v35, v46
	v_accvgpr_read_b32 v39, a3
	v_cndmask_b32_e64 v35, v35, v41, s[4:5]
	v_max_f32_e32 v41, v39, v39
	v_max_f32_e32 v41, v35, v41
	v_cndmask_b32_e64 v35, v35, v41, s[10:11]
	v_lshlrev_b32_e32 v42, 2, v34
	;;#ASMSTART
	v_nop
 v_nop
 v_max_f32_dpp v34, v35, v35 row_ror:4
	;;#ASMEND
	;;#ASMSTART
	v_nop
 v_nop
 v_max_f32_dpp v34, v34, v34 row_ror:8
	;;#ASMEND
	ds_bpermute_b32 v34, v42, v34
	s_waitcnt lgkmcnt(0)
	;;#ASMSTART
	v_nop
 v_nop
 v_max_f32_dpp v34, v34, v34 row_ror:4
	;;#ASMEND
	;;#ASMSTART
	v_nop
 v_nop
 v_max_f32_dpp v41, v34, v34 row_ror:8
	;;#ASMEND
	v_sub_f32_e32 v34, v37, v41
	v_mul_f32_e32 v34, 0x3fb8aa3b, v34
	v_sub_f32_e32 v35, v43, v41
	v_exp_f32_e32 v34, v34
	v_mul_f32_e32 v35, 0x3fb8aa3b, v35
	v_sub_f32_e32 v37, v44, v41
	v_exp_f32_e32 v35, v35
	;; [unrolled: 3-line block ×3, first 2 shown]
	v_mul_f32_e32 v39, 0x3fb8aa3b, v39
	v_exp_f32_e32 v39, v39
	v_cndmask_b32_e32 v34, 0, v34, vcc
	v_add_f32_e32 v36, 0, v34
	v_cndmask_b32_e64 v35, 0, v35, s[2:3]
	v_add_f32_e32 v43, v36, v35
	v_cndmask_b32_e64 v36, 0, v37, s[4:5]
	;; [unrolled: 2-line block ×3, first 2 shown]
	v_add_f32_e32 v39, v43, v37
	;;#ASMSTART
	v_nop
 v_nop
 v_add_f32_dpp v39, v39, v39 row_ror:4
	;;#ASMEND
	;;#ASMSTART
	v_nop
 v_nop
 v_add_f32_dpp v39, v39, v39 row_ror:8
	;;#ASMEND
	ds_bpermute_b32 v39, v42, v39
	s_waitcnt lgkmcnt(0)
	;;#ASMSTART
	v_nop
 v_nop
 v_add_f32_dpp v39, v39, v39 row_ror:4
	;;#ASMEND
	v_cmp_gt_u32_e32 vcc, 4, v40
	;;#ASMSTART
	v_nop
 v_nop
 v_add_f32_dpp v39, v39, v39 row_ror:8
	;;#ASMEND
	s_and_saveexec_b64 s[2:3], vcc
	s_cbranch_execz .LBB229_16
; %bb.15:
	v_mul_u32_u24_e32 v42, 20, v1
	v_lshl_add_u32 v42, v38, 2, v42
	v_add_u32_e32 v42, 0x800, v42
	ds_write2_b32 v42, v41, v39 offset0:128 offset1:148
.LBB229_16:
	s_or_b64 exec, exec, s[2:3]
.LBB229_17:
	s_or_b64 exec, exec, s[30:31]
	s_waitcnt lgkmcnt(0)
	s_barrier
	s_load_dword s2, s[28:29], 0x8
	v_lshlrev_b32_e32 v39, 2, v38
	v_add_u32_e32 v39, 0x800, v39
	ds_read2_b32 v[44:45], v39 offset0:128 offset1:133
	ds_read2_b32 v[46:47], v39 offset0:138 offset1:143
	s_mul_i32 s3, s6, s7
	s_waitcnt lgkmcnt(0)
	s_mul_i32 s3, s3, s2
	s_lshl_b32 s2, s3, 1
	s_mov_b32 s3, 0xff7fffff
	v_max3_f32 v42, v44, s3, v45
	v_max3_f32 v42, v42, v46, v47
	v_sub_f32_e32 v43, v44, v42
	v_sub_f32_e32 v44, v45, v42
	ds_read2_b32 v[48:49], v39 offset0:148 offset1:153
	v_mul_f32_e32 v43, 0x3fb8aa3b, v43
	v_mul_f32_e32 v44, 0x3fb8aa3b, v44
	v_exp_f32_e32 v43, v43
	v_exp_f32_e32 v50, v44
	ds_read2_b32 v[44:45], v39 offset0:158 offset1:163
	v_sub_f32_e32 v39, v46, v42
	v_mul_f32_e32 v39, 0x3fb8aa3b, v39
	v_sub_f32_e32 v46, v47, v42
	v_exp_f32_e32 v39, v39
	v_mul_f32_e32 v46, 0x3fb8aa3b, v46
	v_exp_f32_e32 v46, v46
	s_waitcnt lgkmcnt(1)
	v_fma_f32 v43, v43, v48, 0
	v_fmac_f32_e32 v43, v50, v49
	s_waitcnt lgkmcnt(0)
	v_fmac_f32_e32 v43, v39, v44
	s_lshl_b32 s8, s8, 1
	v_fmac_f32_e32 v43, v46, v45
	v_cmp_gt_u32_e32 vcc, 2, v38
	s_and_saveexec_b64 s[4:5], vcc
	s_cbranch_execz .LBB229_19
; %bb.18:
	s_mov_b32 s3, 0
	s_lshl_b64 s[10:11], s[2:3], 2
	s_add_u32 s6, s12, s10
	s_mov_b32 s25, s3
	s_addc_u32 s9, s13, s11
	s_lshl_b64 s[12:13], s[24:25], 2
	s_add_u32 s3, s6, s12
	s_addc_u32 s6, s9, s13
	v_or_b32_e32 v38, s8, v38
	s_add_u32 s9, s14, s10
	v_mul_lo_u32 v38, s7, v38
	v_mov_b32_e32 v39, 0
	s_addc_u32 s10, s15, s11
	v_lshlrev_b64 v[38:39], 2, v[38:39]
	s_add_u32 s9, s9, s12
	v_mov_b32_e32 v45, s6
	v_add_co_u32_e32 v44, vcc, s3, v38
	s_addc_u32 s10, s10, s13
	v_addc_co_u32_e32 v45, vcc, v45, v39, vcc
	v_mov_b32_e32 v46, s10
	v_add_co_u32_e32 v38, vcc, s9, v38
	v_addc_co_u32_e32 v39, vcc, v46, v39, vcc
	global_store_dword v[38:39], v42, off
	global_store_dword v[44:45], v43, off
.LBB229_19:
	s_or_b64 exec, exec, s[4:5]
	v_mov_b32_e32 v38, 0
	v_mov_b32_e32 v39, 0
	s_and_saveexec_b64 s[4:5], s[0:1]
	s_cbranch_execz .LBB229_21
; %bb.20:
	v_add_f32_e32 v38, 0x358637bd, v43
	v_div_scale_f32 v39, s[0:1], v38, v38, 1.0
	v_rcp_f32_e32 v43, v39
	v_div_scale_f32 v44, vcc, 1.0, v38, 1.0
	v_sub_f32_e32 v41, v41, v42
	v_fma_f32 v45, -v39, v43, 1.0
	v_fmac_f32_e32 v43, v45, v43
	v_mul_f32_e32 v45, v44, v43
	v_fma_f32 v46, -v39, v45, v44
	v_mul_f32_e32 v41, 0x3fb8aa3b, v41
	v_fmac_f32_e32 v45, v46, v43
	v_exp_f32_e32 v41, v41
	v_fma_f32 v39, -v39, v45, v44
	v_div_fmas_f32 v39, v39, v43, v45
	v_div_fixup_f32 v38, v39, v38, 1.0
	v_mul_f32_e32 v38, v41, v38
	v_pk_mul_f32 v[34:35], v[34:35], v[38:39] op_sel_hi:[1,0]
	v_pk_mul_f32 v[36:37], v[36:37], v[38:39] op_sel_hi:[1,0]
	v_bfe_u32 v38, v35, 16, 1
	v_bfe_u32 v39, v34, 16, 1
	s_movk_i32 s0, 0x7fff
	v_add3_u32 v34, v34, v39, s0
	v_add3_u32 v35, v35, v38, s0
	s_mov_b32 s1, 0x7060302
	v_perm_b32 v34, v35, v34, s1
	v_bfe_u32 v35, v37, 16, 1
	v_bfe_u32 v38, v36, 16, 1
	v_add3_u32 v36, v36, v38, s0
	v_add3_u32 v35, v37, v35, s0
	v_perm_b32 v35, v35, v36, s1
	s_waitcnt vmcnt(7)
	s_nop 0
	v_mfma_f32_4x4x4bf16_1k a[0:3], v[34:35], v[2:3], 0 cbsz:4
	v_mfma_f32_4x4x4bf16_1k a[0:3], v[34:35], v[4:5], a[0:3] cbsz:4 abid:1
	s_waitcnt vmcnt(6)
	v_mfma_f32_4x4x4bf16_1k a[0:3], v[34:35], v[6:7], a[0:3] cbsz:4 abid:2
	v_mfma_f32_4x4x4bf16_1k a[0:3], v[34:35], v[8:9], a[0:3] cbsz:4 abid:3
	s_waitcnt vmcnt(5)
	v_mfma_f32_4x4x4bf16_1k a[0:3], v[34:35], v[10:11], a[0:3] cbsz:4 abid:4
	;; [unrolled: 3-line block ×7, first 2 shown]
	v_mfma_f32_4x4x4bf16_1k a[0:3], v[34:35], v[32:33], a[0:3] cbsz:4 abid:15
	s_nop 4
	v_accvgpr_read_b32 v5, a1
	v_accvgpr_read_b32 v2, a2
	v_accvgpr_read_b32 v3, a3
	v_accvgpr_read_b32 v4, a0
	v_bfe_u32 v6, v5, 16, 1
	v_bfe_u32 v7, v4, 16, 1
	;; [unrolled: 1-line block ×3, first 2 shown]
	v_add3_u32 v5, v5, v6, s0
	v_bfe_u32 v6, v2, 16, 1
	v_add3_u32 v4, v4, v7, s0
	v_add3_u32 v2, v2, v6, s0
	;; [unrolled: 1-line block ×3, first 2 shown]
	v_perm_b32 v39, v3, v2, s1
	v_perm_b32 v38, v5, v4, s1
.LBB229_21:
	s_or_b64 exec, exec, s[4:5]
	v_lshlrev_b32_e32 v1, 3, v1
	v_mad_u32_u24 v1, v40, 40, v1
	v_cmp_gt_u32_e32 vcc, 64, v0
	ds_write_b64 v1, v[38:39]
	s_waitcnt lgkmcnt(0)
	s_barrier
	s_and_saveexec_b64 s[0:1], vcc
	s_cbranch_execz .LBB229_23
; %bb.22:
	v_mul_u32_u24_e32 v1, 40, v40
	s_waitcnt vmcnt(7)
	ds_read2_b64 v[2:5], v1 offset1:1
	s_waitcnt vmcnt(6)
	ds_read2_b64 v[6:9], v1 offset0:2 offset1:3
	s_mov_b32 s1, 0
	s_lshl_b32 s0, s2, 6
	s_lshl_b64 s[2:3], s[0:1], 1
	s_waitcnt lgkmcnt(1)
	v_and_b32_e32 v1, 0xffff0000, v2
	v_add_f32_e32 v1, 0, v1
	v_and_b32_e32 v3, 0xffff0000, v4
	v_and_b32_e32 v1, 0xffff0000, v1
	v_add_f32_e32 v1, v1, v3
	s_waitcnt lgkmcnt(0)
	v_and_b32_e32 v5, 0xffff0000, v6
	v_and_b32_e32 v1, 0xffff0000, v1
	v_add_f32_e32 v1, v1, v5
	v_and_b32_e32 v1, 0xffff0000, v1
	v_and_b32_e32 v3, 0xffff0000, v8
	v_add_f32_e32 v7, v1, v3
	v_lshlrev_b32_e32 v1, 16, v2
	s_add_u32 s2, s26, s2
	v_add_f32_e32 v1, 0, v1
	s_addc_u32 s3, s27, s3
	s_lshl_b32 s0, s24, 6
	v_and_b32_e32 v1, 0xffff0000, v1
	v_lshlrev_b32_e32 v2, 16, v4
	s_lshl_b64 s[0:1], s[0:1], 1
	v_add_f32_e32 v1, v1, v2
	s_add_u32 s0, s2, s0
	v_and_b32_e32 v1, 0xffff0000, v1
	v_lshlrev_b32_e32 v2, 16, v6
	s_addc_u32 s1, s3, s1
	s_lshl_b32 s2, s7, 6
	v_add_f32_e32 v1, v1, v2
	v_and_b32_e32 v1, 0xffff0000, v1
	v_lshlrev_b32_e32 v2, 16, v8
	s_mul_i32 s3, s2, s8
	v_add_f32_e32 v1, v1, v2
	v_or_b32_e32 v2, s3, v0
	v_mov_b32_e32 v3, 0
	v_lshlrev_b64 v[4:5], 1, v[2:3]
	v_mov_b32_e32 v2, s1
	v_add_co_u32_e32 v4, vcc, s0, v4
	s_add_i32 s3, s3, s2
	v_addc_co_u32_e32 v5, vcc, v2, v5, vcc
	v_or_b32_e32 v2, s3, v0
	global_store_short_d16_hi v[4:5], v1, off
	v_lshlrev_b64 v[0:1], 1, v[2:3]
	v_mov_b32_e32 v2, s1
	v_add_co_u32_e32 v0, vcc, s0, v0
	v_addc_co_u32_e32 v1, vcc, v2, v1, vcc
	global_store_short_d16_hi v[0:1], v7, off
.LBB229_23:
	s_endpgm
	.section	.rodata,"a",@progbits
	.p2align	6, 0x0
	.amdhsa_kernel _Z38paged_attention_ll4mi_QKV_mfma4_kernelI14__hip_bfloat16S0_LN4vllm18Fp8KVCacheDataTypeE0ES0_Li16ELi64ELi256ELb0ELi2EEvPKT_PKT0_S8_ifPKiSA_SA_iPKfiiiPfSD_PS3_PT2_iSC_SC_
		.amdhsa_group_segment_fixed_size 2720
		.amdhsa_private_segment_fixed_size 0
		.amdhsa_kernarg_size 400
		.amdhsa_user_sgpr_count 6
		.amdhsa_user_sgpr_private_segment_buffer 1
		.amdhsa_user_sgpr_dispatch_ptr 0
		.amdhsa_user_sgpr_queue_ptr 0
		.amdhsa_user_sgpr_kernarg_segment_ptr 1
		.amdhsa_user_sgpr_dispatch_id 0
		.amdhsa_user_sgpr_flat_scratch_init 0
		.amdhsa_user_sgpr_kernarg_preload_length 0
		.amdhsa_user_sgpr_kernarg_preload_offset 0
		.amdhsa_user_sgpr_private_segment_size 0
		.amdhsa_uses_dynamic_stack 0
		.amdhsa_system_sgpr_private_segment_wavefront_offset 0
		.amdhsa_system_sgpr_workgroup_id_x 1
		.amdhsa_system_sgpr_workgroup_id_y 1
		.amdhsa_system_sgpr_workgroup_id_z 1
		.amdhsa_system_sgpr_workgroup_info 0
		.amdhsa_system_vgpr_workitem_id 0
		.amdhsa_next_free_vgpr 64
		.amdhsa_next_free_sgpr 38
		.amdhsa_accum_offset 60
		.amdhsa_reserve_vcc 1
		.amdhsa_reserve_flat_scratch 0
		.amdhsa_float_round_mode_32 0
		.amdhsa_float_round_mode_16_64 0
		.amdhsa_float_denorm_mode_32 3
		.amdhsa_float_denorm_mode_16_64 3
		.amdhsa_dx10_clamp 1
		.amdhsa_ieee_mode 1
		.amdhsa_fp16_overflow 0
		.amdhsa_tg_split 0
		.amdhsa_exception_fp_ieee_invalid_op 0
		.amdhsa_exception_fp_denorm_src 0
		.amdhsa_exception_fp_ieee_div_zero 0
		.amdhsa_exception_fp_ieee_overflow 0
		.amdhsa_exception_fp_ieee_underflow 0
		.amdhsa_exception_fp_ieee_inexact 0
		.amdhsa_exception_int_div_zero 0
	.end_amdhsa_kernel
	.section	.text._Z38paged_attention_ll4mi_QKV_mfma4_kernelI14__hip_bfloat16S0_LN4vllm18Fp8KVCacheDataTypeE0ES0_Li16ELi64ELi256ELb0ELi2EEvPKT_PKT0_S8_ifPKiSA_SA_iPKfiiiPfSD_PS3_PT2_iSC_SC_,"axG",@progbits,_Z38paged_attention_ll4mi_QKV_mfma4_kernelI14__hip_bfloat16S0_LN4vllm18Fp8KVCacheDataTypeE0ES0_Li16ELi64ELi256ELb0ELi2EEvPKT_PKT0_S8_ifPKiSA_SA_iPKfiiiPfSD_PS3_PT2_iSC_SC_,comdat
.Lfunc_end229:
	.size	_Z38paged_attention_ll4mi_QKV_mfma4_kernelI14__hip_bfloat16S0_LN4vllm18Fp8KVCacheDataTypeE0ES0_Li16ELi64ELi256ELb0ELi2EEvPKT_PKT0_S8_ifPKiSA_SA_iPKfiiiPfSD_PS3_PT2_iSC_SC_, .Lfunc_end229-_Z38paged_attention_ll4mi_QKV_mfma4_kernelI14__hip_bfloat16S0_LN4vllm18Fp8KVCacheDataTypeE0ES0_Li16ELi64ELi256ELb0ELi2EEvPKT_PKT0_S8_ifPKiSA_SA_iPKfiiiPfSD_PS3_PT2_iSC_SC_
                                        ; -- End function
	.section	.AMDGPU.csdata,"",@progbits
; Kernel info:
; codeLenInByte = 3308
; NumSgprs: 42
; NumVgprs: 58
; NumAgprs: 4
; TotalNumVgprs: 64
; ScratchSize: 0
; MemoryBound: 0
; FloatMode: 240
; IeeeMode: 1
; LDSByteSize: 2720 bytes/workgroup (compile time only)
; SGPRBlocks: 5
; VGPRBlocks: 7
; NumSGPRsForWavesPerEU: 42
; NumVGPRsForWavesPerEU: 64
; AccumOffset: 60
; Occupancy: 8
; WaveLimiterHint : 1
; COMPUTE_PGM_RSRC2:SCRATCH_EN: 0
; COMPUTE_PGM_RSRC2:USER_SGPR: 6
; COMPUTE_PGM_RSRC2:TRAP_HANDLER: 0
; COMPUTE_PGM_RSRC2:TGID_X_EN: 1
; COMPUTE_PGM_RSRC2:TGID_Y_EN: 1
; COMPUTE_PGM_RSRC2:TGID_Z_EN: 1
; COMPUTE_PGM_RSRC2:TIDIG_COMP_CNT: 0
; COMPUTE_PGM_RSRC3_GFX90A:ACCUM_OFFSET: 14
; COMPUTE_PGM_RSRC3_GFX90A:TG_SPLIT: 0
	.section	.text._Z38paged_attention_ll4mi_QKV_mfma4_kernelI14__hip_bfloat16S0_LN4vllm18Fp8KVCacheDataTypeE0ES0_Li16ELi64ELi256ELb0ELi3EEvPKT_PKT0_S8_ifPKiSA_SA_iPKfiiiPfSD_PS3_PT2_iSC_SC_,"axG",@progbits,_Z38paged_attention_ll4mi_QKV_mfma4_kernelI14__hip_bfloat16S0_LN4vllm18Fp8KVCacheDataTypeE0ES0_Li16ELi64ELi256ELb0ELi3EEvPKT_PKT0_S8_ifPKiSA_SA_iPKfiiiPfSD_PS3_PT2_iSC_SC_,comdat
	.protected	_Z38paged_attention_ll4mi_QKV_mfma4_kernelI14__hip_bfloat16S0_LN4vllm18Fp8KVCacheDataTypeE0ES0_Li16ELi64ELi256ELb0ELi3EEvPKT_PKT0_S8_ifPKiSA_SA_iPKfiiiPfSD_PS3_PT2_iSC_SC_ ; -- Begin function _Z38paged_attention_ll4mi_QKV_mfma4_kernelI14__hip_bfloat16S0_LN4vllm18Fp8KVCacheDataTypeE0ES0_Li16ELi64ELi256ELb0ELi3EEvPKT_PKT0_S8_ifPKiSA_SA_iPKfiiiPfSD_PS3_PT2_iSC_SC_
	.globl	_Z38paged_attention_ll4mi_QKV_mfma4_kernelI14__hip_bfloat16S0_LN4vllm18Fp8KVCacheDataTypeE0ES0_Li16ELi64ELi256ELb0ELi3EEvPKT_PKT0_S8_ifPKiSA_SA_iPKfiiiPfSD_PS3_PT2_iSC_SC_
	.p2align	8
	.type	_Z38paged_attention_ll4mi_QKV_mfma4_kernelI14__hip_bfloat16S0_LN4vllm18Fp8KVCacheDataTypeE0ES0_Li16ELi64ELi256ELb0ELi3EEvPKT_PKT0_S8_ifPKiSA_SA_iPKfiiiPfSD_PS3_PT2_iSC_SC_,@function
_Z38paged_attention_ll4mi_QKV_mfma4_kernelI14__hip_bfloat16S0_LN4vllm18Fp8KVCacheDataTypeE0ES0_Li16ELi64ELi256ELb0ELi3EEvPKT_PKT0_S8_ifPKiSA_SA_iPKfiiiPfSD_PS3_PT2_iSC_SC_: ; @_Z38paged_attention_ll4mi_QKV_mfma4_kernelI14__hip_bfloat16S0_LN4vllm18Fp8KVCacheDataTypeE0ES0_Li16ELi64ELi256ELb0ELi3EEvPKT_PKT0_S8_ifPKiSA_SA_iPKfiiiPfSD_PS3_PT2_iSC_SC_
; %bb.0:
	s_load_dwordx2 s[2:3], s[4:5], 0x30
	s_mov_b32 s24, s7
	s_mov_b64 s[0:1], 0
	s_waitcnt lgkmcnt(0)
	s_cmp_lg_u64 s[2:3], 0
	s_cselect_b64 s[10:11], -1, 0
	s_and_b64 vcc, exec, s[10:11]
	s_cbranch_vccz .LBB230_10
; %bb.1:
	s_add_i32 s12, s6, 1
	s_mov_b32 s13, 0
	s_lshl_b64 s[14:15], s[12:13], 2
	s_add_u32 s14, s2, s14
	s_mov_b32 s7, s13
	s_addc_u32 s15, s3, s15
	s_lshl_b64 s[12:13], s[6:7], 2
	s_add_u32 s12, s2, s12
	s_addc_u32 s13, s3, s13
	s_load_dword s9, s[14:15], 0x0
	s_load_dword s16, s[12:13], 0x0
	s_waitcnt lgkmcnt(0)
	s_sub_i32 s9, s9, s16
	s_cmp_eq_u32 s9, 1
	s_cselect_b64 s[12:13], -1, 0
	s_andn2_b64 vcc, exec, s[0:1]
	s_cbranch_vccnz .LBB230_3
.LBB230_2:
	s_mov_b32 s7, 0
	s_mov_b64 s[12:13], -1
.LBB230_3:
	s_andn2_b64 vcc, exec, s[12:13]
	s_cbranch_vccnz .LBB230_23
; %bb.4:
	s_load_dword s9, s[4:5], 0x9c
	s_load_dwordx2 s[0:1], s[4:5], 0x28
	s_add_u32 s28, s4, 0x90
	s_addc_u32 s29, s5, 0
	s_lshl_b64 s[20:21], s[6:7], 2
	s_waitcnt lgkmcnt(0)
	s_and_b32 s12, s9, 0xffff
	s_add_u32 s0, s0, s20
	s_addc_u32 s1, s1, s21
	s_load_dword s9, s[0:1], 0x0
	s_mul_i32 s16, s24, s12
	s_waitcnt lgkmcnt(0)
	s_cmp_ge_i32 s16, s9
	s_cbranch_scc1 .LBB230_23
; %bb.5:
	v_and_b32_e32 v2, 0xc0, v0
	v_add_u32_e32 v2, s16, v2
	v_lshrrev_b32_e32 v1, 6, v0
	v_cmp_gt_i32_e64 s[0:1], s9, v2
	v_cmp_le_i32_e32 vcc, s9, v2
                                        ; implicit-def: $sgpr18
                                        ; implicit-def: $sgpr17
	s_and_saveexec_b64 s[12:13], vcc
	s_xor_b64 s[12:13], exec, s[12:13]
	s_cbranch_execz .LBB230_7
; %bb.6:
	v_mul_u32_u24_e32 v2, 20, v1
	v_or_b32_e32 v2, 0xa00, v2
	v_mov_b32_e32 v3, 0xa50
	v_mov_b32_e32 v4, 0xff7fffff
	v_mad_u32_u24 v3, v1, 20, v3
	ds_write2_b32 v2, v4, v4 offset1:1
	v_mov_b32_e32 v2, 0
	ds_write2_b32 v3, v2, v2 offset1:1
	v_mov_b32_e32 v3, 0xa08
	s_mov_b32 s17, 0xff7fffff
	s_mov_b32 s18, 0
	v_mad_u32_u24 v3, v1, 20, v3
	v_mov_b32_e32 v5, 0xa58
	v_mad_u32_u24 v5, v1, 20, v5
	ds_write2_b32 v3, v4, v4 offset1:1
	ds_write2_b32 v5, v2, v2 offset1:1
                                        ; implicit-def: $vgpr2
.LBB230_7:
	s_or_saveexec_b64 s[30:31], s[12:13]
	s_load_dwordx2 s[26:27], s[4:5], 0x68
	s_load_dwordx4 s[12:15], s[4:5], 0x58
	s_load_dword s7, s[28:29], 0x4
	v_and_b32_e32 v40, 63, v0
	v_and_b32_e32 v38, 3, v0
	v_mov_b32_e32 v37, s18
	v_mov_b32_e32 v41, s17
	v_mov_b32_e32 v36, s18
	v_mov_b32_e32 v35, s18
	v_mov_b32_e32 v34, s18
                                        ; implicit-def: $vgpr3
                                        ; implicit-def: $vgpr7
                                        ; implicit-def: $vgpr11
                                        ; implicit-def: $vgpr15
                                        ; implicit-def: $vgpr19
                                        ; implicit-def: $vgpr23
                                        ; implicit-def: $vgpr27
                                        ; implicit-def: $vgpr31
	s_xor_b64 exec, exec, s[30:31]
	s_cbranch_execz .LBB230_17
; %bb.8:
	s_add_i32 s22, s9, 15
	s_load_dwordx2 s[18:19], s[4:5], 0x20
	s_load_dword s17, s[4:5], 0x38
	s_ashr_i32 s23, s22, 31
	s_lshr_b32 s23, s23, 28
	v_add_u32_e32 v39, s16, v0
	s_add_i32 s22, s22, s23
	v_ashrrev_i32_e32 v3, 31, v39
	s_ashr_i32 s22, s22, 4
	v_lshrrev_b32_e32 v3, 28, v3
	s_add_i32 s25, s22, -1
	v_add_u32_e32 v3, v39, v3
	s_waitcnt lgkmcnt(0)
	s_mul_i32 s22, s6, s17
	s_mov_b32 s23, 0
	v_ashrrev_i32_e32 v3, 4, v3
	v_mov_b32_e32 v4, s25
	v_cmp_gt_i32_e32 vcc, s9, v39
	s_lshl_b64 s[22:23], s[22:23], 2
	v_cndmask_b32_e32 v4, v4, v3, vcc
	s_add_u32 s17, s18, s22
	v_ashrrev_i32_e32 v5, 31, v4
	s_addc_u32 s18, s19, s23
	v_lshlrev_b64 v[4:5], 2, v[4:5]
	v_mov_b32_e32 v3, s18
	v_add_co_u32_e32 v8, vcc, s17, v4
	v_addc_co_u32_e32 v9, vcc, v3, v5, vcc
	v_ashrrev_i32_e32 v3, 31, v2
	v_lshrrev_b32_e32 v3, 28, v3
	v_add_u32_e32 v2, v2, v3
	v_ashrrev_i32_e32 v4, 4, v2
	v_min_i32_e32 v2, s25, v4
	v_ashrrev_i32_e32 v3, 31, v2
	v_lshlrev_b64 v[2:3], 2, v[2:3]
	v_add_co_u32_e32 v10, vcc, s17, v2
	v_add_u32_e32 v2, 1, v4
	v_mov_b32_e32 v5, s18
	v_min_i32_e32 v2, s25, v2
	v_addc_co_u32_e32 v11, vcc, v5, v3, vcc
	v_ashrrev_i32_e32 v3, 31, v2
	v_lshlrev_b64 v[2:3], 2, v[2:3]
	v_add_co_u32_e32 v12, vcc, s17, v2
	v_add_u32_e32 v2, 2, v4
	v_min_i32_e32 v2, s25, v2
	v_addc_co_u32_e32 v13, vcc, v5, v3, vcc
	v_ashrrev_i32_e32 v3, 31, v2
	v_lshlrev_b64 v[2:3], 2, v[2:3]
	v_add_co_u32_e32 v14, vcc, s17, v2
	v_add_u32_e32 v2, 3, v4
	v_min_i32_e32 v2, s25, v2
	v_addc_co_u32_e32 v15, vcc, v5, v3, vcc
	v_ashrrev_i32_e32 v3, 31, v2
	v_lshlrev_b64 v[2:3], 2, v[2:3]
	v_mov_b32_e32 v4, s18
	v_add_co_u32_e32 v16, vcc, s17, v2
	v_addc_co_u32_e32 v17, vcc, v4, v3, vcc
	global_load_dword v2, v[8:9], off
	global_load_dword v7, v[10:11], off
	;; [unrolled: 1-line block ×5, first 2 shown]
	s_load_dwordx4 s[16:19], s[4:5], 0x8
	s_andn2_b64 vcc, exec, s[10:11]
	s_cbranch_vccnz .LBB230_11
; %bb.9:
	s_add_u32 s2, s2, s20
	s_addc_u32 s3, s3, s21
	s_load_dword s2, s[2:3], 0x0
	s_branch .LBB230_12
.LBB230_10:
	s_mov_b64 s[12:13], 0
	s_branch .LBB230_2
.LBB230_11:
	s_mov_b32 s2, s6
.LBB230_12:
	s_load_dwordx4 s[20:23], s[4:5], 0x48
	v_cmp_ne_u32_e32 vcc, 3, v38
	s_mov_b32 s3, 0
	v_mov_b32_e32 v41, 1.0
	v_mov_b32_e32 v3, 0
	v_mov_b32_e32 v34, 0
	;; [unrolled: 1-line block ×5, first 2 shown]
	s_and_saveexec_b64 s[10:11], vcc
	s_cbranch_execz .LBB230_14
; %bb.13:
	s_load_dwordx2 s[34:35], s[4:5], 0x0
	s_waitcnt lgkmcnt(0)
	s_ashr_i32 s23, s20, 31
	s_mul_hi_u32 s25, s2, s20
	s_mul_i32 s23, s2, s23
	s_add_i32 s37, s25, s23
	s_mul_i32 s36, s2, s20
	s_lshl_b64 s[36:37], s[36:37], 1
	s_add_u32 s20, s34, s36
	s_mul_i32 s2, s8, 0xc0
	s_addc_u32 s23, s35, s37
	s_lshl_b64 s[34:35], s[2:3], 1
	s_add_u32 s34, s20, s34
	v_lshlrev_b32_e32 v8, 3, v38
	v_lshrrev_b32_e32 v9, 2, v40
	s_addc_u32 s35, s23, s35
	v_add_lshl_u32 v8, v8, v9, 4
	global_load_dwordx4 v[34:37], v8, s[34:35]
	v_mov_b32_e32 v41, 0
.LBB230_14:
	s_or_b64 exec, exec, s[10:11]
	s_waitcnt vmcnt(4) lgkmcnt(0)
	v_mad_i64_i32 v[8:9], s[10:11], v2, s21, 0
	s_mul_i32 s2, s8, s22
	s_lshl_b64 s[10:11], s[2:3], 1
	s_add_u32 s2, s10, s16
	v_lshlrev_b64 v[8:9], 1, v[8:9]
	s_addc_u32 s3, s11, s17
	v_mov_b32_e32 v2, s3
	v_add_co_u32_e32 v8, vcc, s2, v8
	v_addc_co_u32_e32 v2, vcc, v2, v9, vcc
	v_and_b32_e32 v9, 15, v0
	v_lshlrev_b32_e32 v9, 4, v9
	v_add_co_u32_e32 v32, vcc, v8, v9
	v_addc_co_u32_e32 v33, vcc, 0, v2, vcc
	global_load_dwordx4 v[8:11], v[32:33], off
	global_load_dwordx4 v[12:15], v[32:33], off offset:256
	global_load_dwordx4 v[16:19], v[32:33], off offset:512
	;; [unrolled: 1-line block ×7, first 2 shown]
	s_waitcnt vmcnt(11)
	v_mul_hi_i32 v2, v7, s21
	s_waitcnt vmcnt(10)
	v_mul_hi_i32 v50, v6, s21
	v_ashrrev_i32_e32 v2, 31, v2
	s_waitcnt vmcnt(9)
	v_mul_hi_i32 v32, v5, s21
	s_waitcnt vmcnt(8)
	v_mul_hi_i32 v33, v4, s21
	v_cmp_eq_u32_e32 vcc, 0, v38
	v_ashrrev_i32_e32 v50, 31, v50
	v_lshrrev_b32_e32 v2, 29, v2
	s_load_dword s2, s[4:5], 0x1c
	v_cndmask_b32_e64 v53, 0, 1.0, vcc
	v_cmp_eq_u32_e32 vcc, 1, v38
	v_ashrrev_i32_e32 v51, 31, v32
	v_ashrrev_i32_e32 v58, 31, v33
	v_mad_i64_i32 v[32:33], s[4:5], v7, s21, v[2:3]
	v_lshrrev_b32_e32 v2, 29, v50
	s_add_u32 s3, s18, s10
	v_lshlrev_b32_e32 v52, 5, v40
	v_cndmask_b32_e64 v54, 0, 1.0, vcc
	v_cmp_eq_u32_e32 vcc, 2, v38
	v_mad_i64_i32 v[6:7], s[4:5], v6, s21, v[2:3]
	v_lshrrev_b32_e32 v2, 29, v51
	s_addc_u32 s10, s19, s11
	v_cndmask_b32_e64 v55, 0, 1.0, vcc
	v_lshlrev_b64 v[32:33], 1, v[32:33]
	v_mad_i64_i32 v[50:51], s[4:5], v5, s21, v[2:3]
	v_mov_b32_e32 v5, s10
	v_add_co_u32_e32 v52, vcc, s3, v52
	v_and_b32_e32 v32, -16, v32
	v_lshrrev_b32_e32 v2, 29, v58
	v_addc_co_u32_e32 v58, vcc, 0, v5, vcc
	v_lshlrev_b64 v[6:7], 1, v[6:7]
	v_and_b32_e32 v6, -16, v6
	v_mad_i64_i32 v[2:3], s[4:5], v4, s21, v[2:3]
	v_and_b32_e32 v56, -4, v39
	v_lshlrev_b32_e32 v57, 2, v0
	v_or_b32_e32 v39, 3, v39
	v_cmp_gt_i32_e64 s[10:11], s9, v39
	s_waitcnt vmcnt(7)
	v_mfma_f32_4x4x4bf16_1k a[0:3], v[34:35], v[8:9], 0 cbsz:4
	v_lshlrev_b64 v[8:9], 1, v[50:51]
	v_mfma_f32_4x4x4bf16_1k a[0:3], v[36:37], v[10:11], a[0:3] cbsz:4
	v_add_co_u32_e32 v10, vcc, v52, v32
	s_waitcnt vmcnt(6)
	v_mfma_f32_4x4x4bf16_1k a[0:3], v[34:35], v[12:13], a[0:3] cbsz:4 abid:1
	v_addc_co_u32_e32 v11, vcc, v58, v33, vcc
	v_mfma_f32_4x4x4bf16_1k a[0:3], v[36:37], v[14:15], a[0:3] cbsz:4 abid:1
	v_and_b32_e32 v4, -16, v8
	s_waitcnt vmcnt(5)
	v_mfma_f32_4x4x4bf16_1k a[0:3], v[34:35], v[16:17], a[0:3] cbsz:4 abid:2
	v_lshlrev_b64 v[50:51], 1, v[2:3]
	v_mfma_f32_4x4x4bf16_1k a[0:3], v[36:37], v[18:19], a[0:3] cbsz:4 abid:2
	v_add_co_u32_e32 v18, vcc, v52, v6
	s_waitcnt vmcnt(4)
	v_mfma_f32_4x4x4bf16_1k a[0:3], v[34:35], v[20:21], a[0:3] cbsz:4 abid:3
	v_addc_co_u32_e32 v19, vcc, v58, v7, vcc
	v_mfma_f32_4x4x4bf16_1k a[0:3], v[36:37], v[22:23], a[0:3] cbsz:4 abid:3
	v_add_co_u32_e32 v32, vcc, v52, v4
	s_waitcnt vmcnt(3)
	v_mfma_f32_4x4x4bf16_1k a[0:3], v[34:35], v[24:25], a[0:3] cbsz:4 abid:4
	v_addc_co_u32_e32 v33, vcc, v58, v9, vcc
	v_mfma_f32_4x4x4bf16_1k a[0:3], v[36:37], v[26:27], a[0:3] cbsz:4 abid:4
	v_and_b32_e32 v50, -16, v50
	s_waitcnt vmcnt(2)
	v_mfma_f32_4x4x4bf16_1k a[0:3], v[34:35], v[28:29], a[0:3] cbsz:4 abid:5
	global_load_dwordx4 v[2:5], v[10:11], off
	global_load_dwordx4 v[6:9], v[10:11], off offset:16
	v_mfma_f32_4x4x4bf16_1k a[0:3], v[36:37], v[30:31], a[0:3] cbsz:4 abid:5
	global_load_dwordx4 v[10:13], v[18:19], off
	global_load_dwordx4 v[14:17], v[18:19], off offset:16
	s_waitcnt vmcnt(5)
	v_mfma_f32_4x4x4bf16_1k a[0:3], v[34:35], v[42:43], a[0:3] cbsz:4 abid:6
	v_add_co_u32_e32 v42, vcc, v52, v50
	v_addc_co_u32_e32 v43, vcc, v58, v51, vcc
	global_load_dwordx4 v[18:21], v[32:33], off
	global_load_dwordx4 v[22:25], v[32:33], off offset:16
	global_load_dwordx4 v[26:29], v[42:43], off
	s_nop 0
	global_load_dwordx4 v[30:33], v[42:43], off offset:16
	v_mfma_f32_4x4x4bf16_1k a[0:3], v[36:37], v[44:45], a[0:3] cbsz:4 abid:6
	v_mov_b32_e32 v42, 0xff7fffff
	s_waitcnt vmcnt(8)
	v_mfma_f32_4x4x4bf16_1k a[0:3], v[34:35], v[46:47], a[0:3] cbsz:4 abid:7
	v_cmp_gt_i32_e32 vcc, s9, v56
	v_mfma_f32_4x4x4bf16_1k a[0:3], v[36:37], v[48:49], a[0:3] cbsz:4 abid:7
	s_nop 4
	v_accvgpr_read_b32 v35, a1
	v_accvgpr_read_b32 v34, a0
	s_waitcnt lgkmcnt(0)
	v_pk_mul_f32 v[34:35], s[2:3], v[34:35] op_sel_hi:[0,1]
	v_accvgpr_read_b32 v37, a3
	v_accvgpr_read_b32 v36, a2
	v_pk_mul_f32 v[36:37], s[2:3], v[36:37] op_sel_hi:[0,1]
	v_mfma_f32_4x4x1f32 a[0:3], v34, v53, 0
	v_and_or_b32 v34, v57, 48, v38
	v_mfma_f32_4x4x1f32 a[0:3], v35, v54, a[0:3]
	v_or_b32_e32 v35, 1, v56
	v_mfma_f32_4x4x1f32 a[0:3], v36, v55, a[0:3]
	v_cmp_gt_i32_e64 s[2:3], s9, v35
	v_mfma_f32_4x4x1f32 a[0:3], v37, v41, a[0:3]
	v_or_b32_e32 v36, 2, v56
	v_cmp_gt_i32_e64 s[4:5], s9, v36
	v_lshlrev_b32_e32 v39, 2, v34
	s_nop 1
	v_accvgpr_read_b32 v37, a0
	v_max_f32_e32 v41, v37, v37
	v_accvgpr_read_b32 v43, a1
	v_max_f32_e32 v41, 0xff7fffff, v41
	v_max_f32_e32 v46, v43, v43
	v_cndmask_b32_e32 v41, v42, v41, vcc
	v_accvgpr_read_b32 v44, a2
	v_max_f32_e32 v42, v41, v46
	v_max_f32_e32 v47, v44, v44
	v_cndmask_b32_e64 v35, v41, v42, s[2:3]
	v_accvgpr_read_b32 v45, a3
	v_max_f32_e32 v41, v35, v47
	v_cndmask_b32_e64 v35, v35, v41, s[4:5]
	v_max_f32_e32 v36, v45, v45
	v_max_f32_e32 v36, v35, v36
	v_cndmask_b32_e64 v35, v35, v36, s[10:11]
	;;#ASMSTART
	v_nop
 v_nop
 v_max_f32_dpp v34, v35, v35 row_ror:4
	;;#ASMEND
	;;#ASMSTART
	v_nop
 v_nop
 v_max_f32_dpp v34, v34, v34 row_ror:8
	;;#ASMEND
	ds_bpermute_b32 v34, v39, v34
	s_waitcnt lgkmcnt(0)
	;;#ASMSTART
	v_nop
 v_nop
 v_max_f32_dpp v34, v34, v34 row_ror:4
	;;#ASMEND
	;;#ASMSTART
	v_nop
 v_nop
 v_max_f32_dpp v41, v34, v34 row_ror:8
	;;#ASMEND
	v_sub_f32_e32 v34, v37, v41
	v_sub_f32_e32 v35, v43, v41
	v_mul_f32_e32 v34, 0x3fb8aa3b, v34
	v_exp_f32_e32 v34, v34
	v_mul_f32_e32 v35, 0x3fb8aa3b, v35
	v_sub_f32_e32 v37, v44, v41
	v_exp_f32_e32 v35, v35
	v_mul_f32_e32 v37, 0x3fb8aa3b, v37
	v_sub_f32_e32 v42, v45, v41
	v_exp_f32_e32 v37, v37
	v_mul_f32_e32 v42, 0x3fb8aa3b, v42
	v_exp_f32_e32 v42, v42
	v_cndmask_b32_e32 v34, 0, v34, vcc
	v_cndmask_b32_e64 v35, 0, v35, s[2:3]
	v_add_f32_e32 v36, 0, v34
	v_add_f32_e32 v43, v36, v35
	v_cndmask_b32_e64 v36, 0, v37, s[4:5]
	v_add_f32_e32 v43, v43, v36
	v_cndmask_b32_e64 v37, 0, v42, s[10:11]
	v_add_f32_e32 v42, v43, v37
	;;#ASMSTART
	v_nop
 v_nop
 v_add_f32_dpp v42, v42, v42 row_ror:4
	;;#ASMEND
	;;#ASMSTART
	v_nop
 v_nop
 v_add_f32_dpp v42, v42, v42 row_ror:8
	;;#ASMEND
	ds_bpermute_b32 v39, v39, v42
	s_waitcnt lgkmcnt(0)
	;;#ASMSTART
	v_nop
 v_nop
 v_add_f32_dpp v39, v39, v39 row_ror:4
	;;#ASMEND
	v_cmp_gt_u32_e32 vcc, 4, v40
	;;#ASMSTART
	v_nop
 v_nop
 v_add_f32_dpp v39, v39, v39 row_ror:8
	;;#ASMEND
	s_and_saveexec_b64 s[2:3], vcc
	s_cbranch_execz .LBB230_16
; %bb.15:
	v_mul_u32_u24_e32 v42, 20, v1
	v_lshl_add_u32 v42, v38, 2, v42
	v_add_u32_e32 v42, 0x800, v42
	ds_write2_b32 v42, v41, v39 offset0:128 offset1:148
.LBB230_16:
	s_or_b64 exec, exec, s[2:3]
.LBB230_17:
	s_or_b64 exec, exec, s[30:31]
	s_waitcnt lgkmcnt(0)
	s_barrier
	s_load_dword s2, s[28:29], 0x8
	v_lshlrev_b32_e32 v39, 2, v38
	v_add_u32_e32 v39, 0x800, v39
	ds_read2_b32 v[44:45], v39 offset0:128 offset1:133
	ds_read2_b32 v[46:47], v39 offset0:138 offset1:143
	s_mul_i32 s3, s6, s7
	s_waitcnt lgkmcnt(0)
	s_mul_i32 s2, s3, s2
	s_mov_b32 s3, 0xff7fffff
	v_max3_f32 v42, v44, s3, v45
	v_max3_f32 v42, v42, v46, v47
	v_sub_f32_e32 v43, v44, v42
	v_sub_f32_e32 v44, v45, v42
	ds_read2_b32 v[48:49], v39 offset0:148 offset1:153
	v_mul_f32_e32 v43, 0x3fb8aa3b, v43
	v_mul_f32_e32 v44, 0x3fb8aa3b, v44
	v_exp_f32_e32 v43, v43
	v_exp_f32_e32 v50, v44
	ds_read2_b32 v[44:45], v39 offset0:158 offset1:163
	v_sub_f32_e32 v39, v46, v42
	v_mul_f32_e32 v39, 0x3fb8aa3b, v39
	v_sub_f32_e32 v46, v47, v42
	v_exp_f32_e32 v39, v39
	v_mul_f32_e32 v46, 0x3fb8aa3b, v46
	v_exp_f32_e32 v46, v46
	s_waitcnt lgkmcnt(1)
	v_fma_f32 v43, v43, v48, 0
	v_fmac_f32_e32 v43, v50, v49
	s_waitcnt lgkmcnt(0)
	v_fmac_f32_e32 v43, v39, v44
	s_mul_i32 s8, s8, 3
	s_mul_i32 s2, s2, 3
	v_fmac_f32_e32 v43, v46, v45
	v_cmp_ne_u32_e32 vcc, 3, v38
	s_and_saveexec_b64 s[4:5], vcc
	s_cbranch_execz .LBB230_19
; %bb.18:
	s_mov_b32 s3, 0
	s_lshl_b64 s[10:11], s[2:3], 2
	s_add_u32 s6, s12, s10
	s_mov_b32 s25, s3
	s_addc_u32 s9, s13, s11
	s_lshl_b64 s[12:13], s[24:25], 2
	s_add_u32 s3, s6, s12
	s_addc_u32 s6, s9, s13
	v_add_u32_e32 v38, s8, v38
	s_add_u32 s9, s14, s10
	v_mul_lo_u32 v38, s7, v38
	v_mov_b32_e32 v39, 0
	s_addc_u32 s10, s15, s11
	v_lshlrev_b64 v[38:39], 2, v[38:39]
	s_add_u32 s9, s9, s12
	v_mov_b32_e32 v45, s6
	v_add_co_u32_e32 v44, vcc, s3, v38
	s_addc_u32 s10, s10, s13
	v_addc_co_u32_e32 v45, vcc, v45, v39, vcc
	v_mov_b32_e32 v46, s10
	v_add_co_u32_e32 v38, vcc, s9, v38
	v_addc_co_u32_e32 v39, vcc, v46, v39, vcc
	global_store_dword v[38:39], v42, off
	global_store_dword v[44:45], v43, off
.LBB230_19:
	s_or_b64 exec, exec, s[4:5]
	v_mov_b32_e32 v38, 0
	v_mov_b32_e32 v39, 0
	s_and_saveexec_b64 s[4:5], s[0:1]
	s_cbranch_execz .LBB230_21
; %bb.20:
	v_add_f32_e32 v38, 0x358637bd, v43
	v_div_scale_f32 v39, s[0:1], v38, v38, 1.0
	v_rcp_f32_e32 v43, v39
	v_div_scale_f32 v44, vcc, 1.0, v38, 1.0
	v_sub_f32_e32 v41, v41, v42
	v_fma_f32 v45, -v39, v43, 1.0
	v_fmac_f32_e32 v43, v45, v43
	v_mul_f32_e32 v45, v44, v43
	v_fma_f32 v46, -v39, v45, v44
	v_mul_f32_e32 v41, 0x3fb8aa3b, v41
	v_fmac_f32_e32 v45, v46, v43
	v_exp_f32_e32 v41, v41
	v_fma_f32 v39, -v39, v45, v44
	v_div_fmas_f32 v39, v39, v43, v45
	v_div_fixup_f32 v38, v39, v38, 1.0
	v_mul_f32_e32 v38, v41, v38
	v_pk_mul_f32 v[34:35], v[34:35], v[38:39] op_sel_hi:[1,0]
	v_pk_mul_f32 v[36:37], v[36:37], v[38:39] op_sel_hi:[1,0]
	v_bfe_u32 v38, v35, 16, 1
	v_bfe_u32 v39, v34, 16, 1
	s_movk_i32 s0, 0x7fff
	v_add3_u32 v34, v34, v39, s0
	v_add3_u32 v35, v35, v38, s0
	s_mov_b32 s1, 0x7060302
	v_perm_b32 v34, v35, v34, s1
	v_bfe_u32 v35, v37, 16, 1
	v_bfe_u32 v38, v36, 16, 1
	v_add3_u32 v36, v36, v38, s0
	v_add3_u32 v35, v37, v35, s0
	v_perm_b32 v35, v35, v36, s1
	s_waitcnt vmcnt(7)
	s_nop 0
	v_mfma_f32_4x4x4bf16_1k a[0:3], v[34:35], v[2:3], 0 cbsz:4
	v_mfma_f32_4x4x4bf16_1k a[0:3], v[34:35], v[4:5], a[0:3] cbsz:4 abid:1
	s_waitcnt vmcnt(6)
	v_mfma_f32_4x4x4bf16_1k a[0:3], v[34:35], v[6:7], a[0:3] cbsz:4 abid:2
	v_mfma_f32_4x4x4bf16_1k a[0:3], v[34:35], v[8:9], a[0:3] cbsz:4 abid:3
	s_waitcnt vmcnt(5)
	v_mfma_f32_4x4x4bf16_1k a[0:3], v[34:35], v[10:11], a[0:3] cbsz:4 abid:4
	;; [unrolled: 3-line block ×7, first 2 shown]
	v_mfma_f32_4x4x4bf16_1k a[0:3], v[34:35], v[32:33], a[0:3] cbsz:4 abid:15
	s_nop 4
	v_accvgpr_read_b32 v5, a1
	v_accvgpr_read_b32 v2, a2
	;; [unrolled: 1-line block ×4, first 2 shown]
	v_bfe_u32 v6, v5, 16, 1
	v_bfe_u32 v7, v4, 16, 1
	;; [unrolled: 1-line block ×3, first 2 shown]
	v_add3_u32 v5, v5, v6, s0
	v_bfe_u32 v6, v2, 16, 1
	v_add3_u32 v4, v4, v7, s0
	v_add3_u32 v2, v2, v6, s0
	;; [unrolled: 1-line block ×3, first 2 shown]
	v_perm_b32 v39, v3, v2, s1
	v_perm_b32 v38, v5, v4, s1
.LBB230_21:
	s_or_b64 exec, exec, s[4:5]
	v_lshlrev_b32_e32 v1, 3, v1
	v_mad_u32_u24 v1, v40, 40, v1
	v_cmp_gt_u32_e32 vcc, 64, v0
	ds_write_b64 v1, v[38:39]
	s_waitcnt lgkmcnt(0)
	s_barrier
	s_and_saveexec_b64 s[0:1], vcc
	s_cbranch_execz .LBB230_23
; %bb.22:
	v_mul_u32_u24_e32 v1, 40, v40
	s_waitcnt vmcnt(7)
	ds_read2_b64 v[2:5], v1 offset1:1
	s_waitcnt vmcnt(6)
	ds_read2_b64 v[6:9], v1 offset0:2 offset1:3
	s_mov_b32 s1, 0
	s_lshl_b32 s0, s2, 6
	s_lshl_b64 s[2:3], s[0:1], 1
	s_waitcnt lgkmcnt(1)
	v_and_b32_e32 v1, 0xffff0000, v2
	v_lshlrev_b32_e32 v3, 16, v3
	v_add_f32_e32 v1, 0, v1
	v_add_f32_e32 v3, 0, v3
	v_and_b32_e32 v1, 0xffff0000, v1
	s_waitcnt vmcnt(5)
	v_and_b32_e32 v10, 0xffff0000, v4
	v_and_b32_e32 v3, 0xffff0000, v3
	v_add_f32_e32 v1, v1, v10
	v_lshlrev_b32_e32 v5, 16, v5
	v_and_b32_e32 v1, 0xffff0000, v1
	v_add_f32_e32 v3, v3, v5
	s_waitcnt lgkmcnt(0)
	v_and_b32_e32 v5, 0xffff0000, v6
	v_and_b32_e32 v3, 0xffff0000, v3
	v_add_f32_e32 v1, v1, v5
	v_lshlrev_b32_e32 v5, 16, v7
	v_and_b32_e32 v1, 0xffff0000, v1
	v_add_f32_e32 v3, v3, v5
	v_and_b32_e32 v5, 0xffff0000, v8
	v_lshlrev_b32_e32 v2, 16, v2
	v_and_b32_e32 v3, 0xffff0000, v3
	v_add_f32_e32 v1, v1, v5
	v_lshlrev_b32_e32 v5, 16, v9
	s_add_u32 s2, s26, s2
	v_add_f32_e32 v2, 0, v2
	v_add_f32_e32 v7, v3, v5
	s_addc_u32 s3, s27, s3
	s_lshl_b32 s0, s24, 6
	v_and_b32_e32 v2, 0xffff0000, v2
	v_lshlrev_b32_e32 v3, 16, v4
	s_lshl_b64 s[0:1], s[0:1], 1
	v_add_f32_e32 v2, v2, v3
	s_add_u32 s0, s2, s0
	v_and_b32_e32 v2, 0xffff0000, v2
	v_lshlrev_b32_e32 v3, 16, v6
	s_addc_u32 s1, s3, s1
	s_lshl_b32 s2, s7, 6
	v_add_f32_e32 v2, v2, v3
	v_and_b32_e32 v2, 0xffff0000, v2
	v_lshlrev_b32_e32 v3, 16, v8
	s_mul_i32 s3, s2, s8
	v_add_f32_e32 v6, v2, v3
	v_or_b32_e32 v2, s3, v0
	v_mov_b32_e32 v3, 0
	v_lshlrev_b64 v[4:5], 1, v[2:3]
	v_mov_b32_e32 v2, s1
	v_add_co_u32_e32 v4, vcc, s0, v4
	s_add_i32 s3, s3, s2
	v_addc_co_u32_e32 v5, vcc, v2, v5, vcc
	v_or_b32_e32 v2, s3, v0
	global_store_short_d16_hi v[4:5], v6, off
	v_lshlrev_b64 v[4:5], 1, v[2:3]
	v_mov_b32_e32 v2, s1
	v_add_co_u32_e32 v4, vcc, s0, v4
	s_add_i32 s3, s3, s2
	v_addc_co_u32_e32 v5, vcc, v2, v5, vcc
	v_or_b32_e32 v2, s3, v0
	global_store_short_d16_hi v[4:5], v1, off
	v_lshlrev_b64 v[0:1], 1, v[2:3]
	v_mov_b32_e32 v2, s1
	v_add_co_u32_e32 v0, vcc, s0, v0
	v_addc_co_u32_e32 v1, vcc, v2, v1, vcc
	global_store_short_d16_hi v[0:1], v7, off
.LBB230_23:
	s_endpgm
	.section	.rodata,"a",@progbits
	.p2align	6, 0x0
	.amdhsa_kernel _Z38paged_attention_ll4mi_QKV_mfma4_kernelI14__hip_bfloat16S0_LN4vllm18Fp8KVCacheDataTypeE0ES0_Li16ELi64ELi256ELb0ELi3EEvPKT_PKT0_S8_ifPKiSA_SA_iPKfiiiPfSD_PS3_PT2_iSC_SC_
		.amdhsa_group_segment_fixed_size 2720
		.amdhsa_private_segment_fixed_size 0
		.amdhsa_kernarg_size 400
		.amdhsa_user_sgpr_count 6
		.amdhsa_user_sgpr_private_segment_buffer 1
		.amdhsa_user_sgpr_dispatch_ptr 0
		.amdhsa_user_sgpr_queue_ptr 0
		.amdhsa_user_sgpr_kernarg_segment_ptr 1
		.amdhsa_user_sgpr_dispatch_id 0
		.amdhsa_user_sgpr_flat_scratch_init 0
		.amdhsa_user_sgpr_kernarg_preload_length 0
		.amdhsa_user_sgpr_kernarg_preload_offset 0
		.amdhsa_user_sgpr_private_segment_size 0
		.amdhsa_uses_dynamic_stack 0
		.amdhsa_system_sgpr_private_segment_wavefront_offset 0
		.amdhsa_system_sgpr_workgroup_id_x 1
		.amdhsa_system_sgpr_workgroup_id_y 1
		.amdhsa_system_sgpr_workgroup_id_z 1
		.amdhsa_system_sgpr_workgroup_info 0
		.amdhsa_system_vgpr_workitem_id 0
		.amdhsa_next_free_vgpr 64
		.amdhsa_next_free_sgpr 38
		.amdhsa_accum_offset 60
		.amdhsa_reserve_vcc 1
		.amdhsa_reserve_flat_scratch 0
		.amdhsa_float_round_mode_32 0
		.amdhsa_float_round_mode_16_64 0
		.amdhsa_float_denorm_mode_32 3
		.amdhsa_float_denorm_mode_16_64 3
		.amdhsa_dx10_clamp 1
		.amdhsa_ieee_mode 1
		.amdhsa_fp16_overflow 0
		.amdhsa_tg_split 0
		.amdhsa_exception_fp_ieee_invalid_op 0
		.amdhsa_exception_fp_denorm_src 0
		.amdhsa_exception_fp_ieee_div_zero 0
		.amdhsa_exception_fp_ieee_overflow 0
		.amdhsa_exception_fp_ieee_underflow 0
		.amdhsa_exception_fp_ieee_inexact 0
		.amdhsa_exception_int_div_zero 0
	.end_amdhsa_kernel
	.section	.text._Z38paged_attention_ll4mi_QKV_mfma4_kernelI14__hip_bfloat16S0_LN4vllm18Fp8KVCacheDataTypeE0ES0_Li16ELi64ELi256ELb0ELi3EEvPKT_PKT0_S8_ifPKiSA_SA_iPKfiiiPfSD_PS3_PT2_iSC_SC_,"axG",@progbits,_Z38paged_attention_ll4mi_QKV_mfma4_kernelI14__hip_bfloat16S0_LN4vllm18Fp8KVCacheDataTypeE0ES0_Li16ELi64ELi256ELb0ELi3EEvPKT_PKT0_S8_ifPKiSA_SA_iPKfiiiPfSD_PS3_PT2_iSC_SC_,comdat
.Lfunc_end230:
	.size	_Z38paged_attention_ll4mi_QKV_mfma4_kernelI14__hip_bfloat16S0_LN4vllm18Fp8KVCacheDataTypeE0ES0_Li16ELi64ELi256ELb0ELi3EEvPKT_PKT0_S8_ifPKiSA_SA_iPKfiiiPfSD_PS3_PT2_iSC_SC_, .Lfunc_end230-_Z38paged_attention_ll4mi_QKV_mfma4_kernelI14__hip_bfloat16S0_LN4vllm18Fp8KVCacheDataTypeE0ES0_Li16ELi64ELi256ELb0ELi3EEvPKT_PKT0_S8_ifPKiSA_SA_iPKfiiiPfSD_PS3_PT2_iSC_SC_
                                        ; -- End function
	.section	.AMDGPU.csdata,"",@progbits
; Kernel info:
; codeLenInByte = 3404
; NumSgprs: 42
; NumVgprs: 59
; NumAgprs: 4
; TotalNumVgprs: 64
; ScratchSize: 0
; MemoryBound: 0
; FloatMode: 240
; IeeeMode: 1
; LDSByteSize: 2720 bytes/workgroup (compile time only)
; SGPRBlocks: 5
; VGPRBlocks: 7
; NumSGPRsForWavesPerEU: 42
; NumVGPRsForWavesPerEU: 64
; AccumOffset: 60
; Occupancy: 8
; WaveLimiterHint : 1
; COMPUTE_PGM_RSRC2:SCRATCH_EN: 0
; COMPUTE_PGM_RSRC2:USER_SGPR: 6
; COMPUTE_PGM_RSRC2:TRAP_HANDLER: 0
; COMPUTE_PGM_RSRC2:TGID_X_EN: 1
; COMPUTE_PGM_RSRC2:TGID_Y_EN: 1
; COMPUTE_PGM_RSRC2:TGID_Z_EN: 1
; COMPUTE_PGM_RSRC2:TIDIG_COMP_CNT: 0
; COMPUTE_PGM_RSRC3_GFX90A:ACCUM_OFFSET: 14
; COMPUTE_PGM_RSRC3_GFX90A:TG_SPLIT: 0
	.section	.text._Z38paged_attention_ll4mi_QKV_mfma4_kernelI14__hip_bfloat16S0_LN4vllm18Fp8KVCacheDataTypeE0ES0_Li16ELi64ELi256ELb0ELi4EEvPKT_PKT0_S8_ifPKiSA_SA_iPKfiiiPfSD_PS3_PT2_iSC_SC_,"axG",@progbits,_Z38paged_attention_ll4mi_QKV_mfma4_kernelI14__hip_bfloat16S0_LN4vllm18Fp8KVCacheDataTypeE0ES0_Li16ELi64ELi256ELb0ELi4EEvPKT_PKT0_S8_ifPKiSA_SA_iPKfiiiPfSD_PS3_PT2_iSC_SC_,comdat
	.protected	_Z38paged_attention_ll4mi_QKV_mfma4_kernelI14__hip_bfloat16S0_LN4vllm18Fp8KVCacheDataTypeE0ES0_Li16ELi64ELi256ELb0ELi4EEvPKT_PKT0_S8_ifPKiSA_SA_iPKfiiiPfSD_PS3_PT2_iSC_SC_ ; -- Begin function _Z38paged_attention_ll4mi_QKV_mfma4_kernelI14__hip_bfloat16S0_LN4vllm18Fp8KVCacheDataTypeE0ES0_Li16ELi64ELi256ELb0ELi4EEvPKT_PKT0_S8_ifPKiSA_SA_iPKfiiiPfSD_PS3_PT2_iSC_SC_
	.globl	_Z38paged_attention_ll4mi_QKV_mfma4_kernelI14__hip_bfloat16S0_LN4vllm18Fp8KVCacheDataTypeE0ES0_Li16ELi64ELi256ELb0ELi4EEvPKT_PKT0_S8_ifPKiSA_SA_iPKfiiiPfSD_PS3_PT2_iSC_SC_
	.p2align	8
	.type	_Z38paged_attention_ll4mi_QKV_mfma4_kernelI14__hip_bfloat16S0_LN4vllm18Fp8KVCacheDataTypeE0ES0_Li16ELi64ELi256ELb0ELi4EEvPKT_PKT0_S8_ifPKiSA_SA_iPKfiiiPfSD_PS3_PT2_iSC_SC_,@function
_Z38paged_attention_ll4mi_QKV_mfma4_kernelI14__hip_bfloat16S0_LN4vllm18Fp8KVCacheDataTypeE0ES0_Li16ELi64ELi256ELb0ELi4EEvPKT_PKT0_S8_ifPKiSA_SA_iPKfiiiPfSD_PS3_PT2_iSC_SC_: ; @_Z38paged_attention_ll4mi_QKV_mfma4_kernelI14__hip_bfloat16S0_LN4vllm18Fp8KVCacheDataTypeE0ES0_Li16ELi64ELi256ELb0ELi4EEvPKT_PKT0_S8_ifPKiSA_SA_iPKfiiiPfSD_PS3_PT2_iSC_SC_
; %bb.0:
	s_load_dwordx2 s[2:3], s[4:5], 0x30
	s_mov_b32 s24, s7
	s_mov_b64 s[0:1], 0
	s_waitcnt lgkmcnt(0)
	s_cmp_lg_u64 s[2:3], 0
	s_cselect_b64 s[10:11], -1, 0
	s_and_b64 vcc, exec, s[10:11]
	s_cbranch_vccz .LBB231_18
; %bb.1:
	s_add_i32 s12, s6, 1
	s_mov_b32 s13, 0
	s_lshl_b64 s[14:15], s[12:13], 2
	s_add_u32 s14, s2, s14
	s_mov_b32 s7, s13
	s_addc_u32 s15, s3, s15
	s_lshl_b64 s[12:13], s[6:7], 2
	s_add_u32 s12, s2, s12
	s_addc_u32 s13, s3, s13
	s_load_dword s9, s[14:15], 0x0
	s_load_dword s16, s[12:13], 0x0
	s_mov_b64 s[36:37], s[6:7]
	s_waitcnt lgkmcnt(0)
	s_sub_i32 s9, s9, s16
	s_cmp_eq_u32 s9, 1
	s_cselect_b64 s[12:13], -1, 0
	s_andn2_b64 vcc, exec, s[0:1]
	s_cbranch_vccnz .LBB231_3
.LBB231_2:
	s_mov_b32 s7, 0
	s_mov_b64 s[12:13], -1
	s_mov_b64 s[36:37], s[6:7]
.LBB231_3:
	s_andn2_b64 vcc, exec, s[12:13]
	s_cbranch_vccnz .LBB231_17
; %bb.4:
	s_load_dword s7, s[4:5], 0x9c
	s_load_dwordx2 s[0:1], s[4:5], 0x28
	s_add_u32 s28, s4, 0x90
	s_addc_u32 s29, s5, 0
	s_lshl_b64 s[16:17], s[36:37], 2
	s_waitcnt lgkmcnt(0)
	s_and_b32 s7, s7, 0xffff
	s_add_u32 s0, s0, s16
	s_addc_u32 s1, s1, s17
	s_load_dword s9, s[0:1], 0x0
	s_mul_i32 s18, s24, s7
	s_waitcnt lgkmcnt(0)
	s_cmp_ge_i32 s18, s9
	s_cbranch_scc1 .LBB231_17
; %bb.5:
	v_and_b32_e32 v2, 0xc0, v0
	v_add_u32_e32 v2, s18, v2
	v_lshrrev_b32_e32 v1, 6, v0
	v_cmp_gt_i32_e64 s[0:1], s9, v2
	v_cmp_le_i32_e32 vcc, s9, v2
                                        ; implicit-def: $sgpr20
                                        ; implicit-def: $sgpr19
	s_and_saveexec_b64 s[12:13], vcc
	s_xor_b64 s[12:13], exec, s[12:13]
	s_cbranch_execz .LBB231_7
; %bb.6:
	v_mul_u32_u24_e32 v2, 20, v1
	v_or_b32_e32 v2, 0xa00, v2
	v_mov_b32_e32 v3, 0xa50
	v_mov_b32_e32 v4, 0xff7fffff
	v_mad_u32_u24 v3, v1, 20, v3
	ds_write2_b32 v2, v4, v4 offset1:1
	v_mov_b32_e32 v2, 0
	ds_write2_b32 v3, v2, v2 offset1:1
	v_mov_b32_e32 v3, 0xa08
	s_mov_b32 s19, 0xff7fffff
	s_mov_b32 s20, 0
	v_mad_u32_u24 v3, v1, 20, v3
	v_mov_b32_e32 v5, 0xa58
	v_mad_u32_u24 v5, v1, 20, v5
	ds_write2_b32 v3, v4, v4 offset1:1
	ds_write2_b32 v5, v2, v2 offset1:1
                                        ; implicit-def: $vgpr2
.LBB231_7:
	s_or_saveexec_b64 s[30:31], s[12:13]
	s_load_dwordx2 s[26:27], s[4:5], 0x68
	s_load_dwordx4 s[12:15], s[4:5], 0x58
	s_load_dword s7, s[28:29], 0x4
	v_and_b32_e32 v40, 63, v0
	v_and_b32_e32 v38, 3, v0
	v_mov_b32_e32 v37, s20
	v_mov_b32_e32 v41, s19
	;; [unrolled: 1-line block ×5, first 2 shown]
                                        ; implicit-def: $vgpr3
                                        ; implicit-def: $vgpr7
                                        ; implicit-def: $vgpr11
                                        ; implicit-def: $vgpr15
                                        ; implicit-def: $vgpr19
                                        ; implicit-def: $vgpr23
                                        ; implicit-def: $vgpr27
                                        ; implicit-def: $vgpr31
	s_xor_b64 exec, exec, s[30:31]
	s_cbranch_execz .LBB231_13
; %bb.8:
	s_add_i32 s22, s9, 15
	s_load_dwordx2 s[20:21], s[4:5], 0x20
	s_load_dword s19, s[4:5], 0x38
	s_ashr_i32 s23, s22, 31
	s_lshr_b32 s23, s23, 28
	v_add_u32_e32 v34, s18, v0
	s_add_i32 s22, s22, s23
	v_ashrrev_i32_e32 v3, 31, v34
	s_ashr_i32 s22, s22, 4
	v_lshrrev_b32_e32 v3, 28, v3
	s_add_i32 s25, s22, -1
	v_add_u32_e32 v3, v34, v3
	s_waitcnt lgkmcnt(0)
	s_mul_i32 s38, s6, s19
	s_mov_b32 s39, 0
	v_ashrrev_i32_e32 v3, 4, v3
	v_mov_b32_e32 v4, s25
	v_cmp_gt_i32_e32 vcc, s9, v34
	s_lshl_b64 s[22:23], s[38:39], 2
	v_cndmask_b32_e32 v4, v4, v3, vcc
	s_add_u32 s19, s20, s22
	v_ashrrev_i32_e32 v5, 31, v4
	s_addc_u32 s20, s21, s23
	v_lshlrev_b64 v[4:5], 2, v[4:5]
	v_mov_b32_e32 v3, s20
	v_add_co_u32_e32 v8, vcc, s19, v4
	v_addc_co_u32_e32 v9, vcc, v3, v5, vcc
	v_ashrrev_i32_e32 v3, 31, v2
	v_lshrrev_b32_e32 v3, 28, v3
	v_add_u32_e32 v2, v2, v3
	v_ashrrev_i32_e32 v4, 4, v2
	v_min_i32_e32 v2, s25, v4
	v_ashrrev_i32_e32 v3, 31, v2
	v_lshlrev_b64 v[2:3], 2, v[2:3]
	v_add_co_u32_e32 v10, vcc, s19, v2
	v_add_u32_e32 v2, 1, v4
	v_mov_b32_e32 v5, s20
	v_min_i32_e32 v2, s25, v2
	v_addc_co_u32_e32 v11, vcc, v5, v3, vcc
	v_ashrrev_i32_e32 v3, 31, v2
	v_lshlrev_b64 v[2:3], 2, v[2:3]
	v_add_co_u32_e32 v12, vcc, s19, v2
	v_add_u32_e32 v2, 2, v4
	v_min_i32_e32 v2, s25, v2
	v_addc_co_u32_e32 v13, vcc, v5, v3, vcc
	v_ashrrev_i32_e32 v3, 31, v2
	v_lshlrev_b64 v[2:3], 2, v[2:3]
	v_add_co_u32_e32 v14, vcc, s19, v2
	v_add_u32_e32 v2, 3, v4
	v_min_i32_e32 v2, s25, v2
	v_addc_co_u32_e32 v15, vcc, v5, v3, vcc
	v_ashrrev_i32_e32 v3, 31, v2
	v_lshlrev_b64 v[2:3], 2, v[2:3]
	v_mov_b32_e32 v4, s20
	v_add_co_u32_e32 v16, vcc, s19, v2
	v_addc_co_u32_e32 v17, vcc, v4, v3, vcc
	global_load_dword v6, v[8:9], off
	global_load_dword v5, v[10:11], off
	global_load_dword v4, v[12:13], off
	global_load_dword v3, v[14:15], off
	global_load_dword v2, v[16:17], off
	s_load_dwordx4 s[20:23], s[4:5], 0x0
	s_load_dwordx2 s[34:35], s[4:5], 0x10
	s_andn2_b64 vcc, exec, s[10:11]
	s_cbranch_vccnz .LBB231_10
; %bb.9:
	s_add_u32 s2, s2, s16
	s_addc_u32 s3, s3, s17
	s_load_dword s38, s[2:3], 0x0
	s_waitcnt lgkmcnt(0)
	s_mov_b64 s[36:37], s[38:39]
.LBB231_10:
	s_load_dwordx4 s[16:19], s[4:5], 0x48
	v_lshrrev_b32_e32 v7, 2, v40
	v_lshlrev_b32_e32 v8, 3, v38
	v_add_lshl_u32 v7, v8, v7, 4
	v_mov_b32_e32 v51, 0
	s_waitcnt lgkmcnt(0)
	s_ashr_i32 s3, s16, 31
	s_mul_hi_u32 s10, s36, s16
	s_mul_i32 s3, s36, s3
	s_mul_i32 s11, s37, s16
	s_add_i32 s3, s10, s3
	s_mul_i32 s2, s36, s16
	s_add_i32 s3, s3, s11
	s_lshl_b64 s[2:3], s[2:3], 1
	s_add_u32 s10, s20, s2
	s_addc_u32 s11, s21, s3
	s_lshl_b32 s38, s8, 8
	s_lshl_b64 s[2:3], s[38:39], 1
	s_add_u32 s2, s10, s2
	s_addc_u32 s3, s11, s3
	global_load_dwordx4 v[42:45], v7, s[2:3]
	s_waitcnt vmcnt(5)
	v_mad_i64_i32 v[6:7], s[2:3], v6, s17, 0
	s_mul_i32 s38, s8, s18
	s_lshl_b64 s[2:3], s[38:39], 1
	s_add_u32 s10, s2, s22
	v_lshlrev_b64 v[6:7], 1, v[6:7]
	s_addc_u32 s11, s3, s23
	v_mov_b32_e32 v8, s11
	v_add_co_u32_e32 v6, vcc, s10, v6
	v_addc_co_u32_e32 v7, vcc, v8, v7, vcc
	v_and_b32_e32 v8, 15, v0
	v_lshlrev_b32_e32 v8, 4, v8
	v_add_co_u32_e32 v36, vcc, v6, v8
	v_addc_co_u32_e32 v37, vcc, 0, v7, vcc
	global_load_dwordx4 v[6:9], v[36:37], off
	global_load_dwordx4 v[10:13], v[36:37], off offset:256
	global_load_dwordx4 v[14:17], v[36:37], off offset:512
	;; [unrolled: 1-line block ×7, first 2 shown]
	s_waitcnt vmcnt(12)
	v_mul_hi_i32 v36, v5, s17
	v_cmp_eq_u32_e32 vcc, 0, v38
	s_waitcnt vmcnt(10)
	v_mul_hi_i32 v50, v3, s17
	v_ashrrev_i32_e32 v36, 31, v36
	v_cndmask_b32_e64 v39, 0, 1.0, vcc
	v_cmp_eq_u32_e32 vcc, 1, v38
	v_mul_hi_i32 v37, v4, s17
	v_ashrrev_i32_e32 v55, 31, v50
	v_lshrrev_b32_e32 v50, 29, v36
	s_add_u32 s2, s34, s2
	v_lshlrev_b32_e32 v35, 5, v40
	v_cndmask_b32_e64 v41, 0, 1.0, vcc
	v_cmp_eq_u32_e32 vcc, 2, v38
	v_ashrrev_i32_e32 v53, 31, v37
	v_mad_i64_i32 v[36:37], s[10:11], v5, s17, v[50:51]
	s_addc_u32 s3, s35, s3
	v_cndmask_b32_e64 v54, 0, 1.0, vcc
	v_lshrrev_b32_e32 v50, 29, v53
	v_lshlrev_b64 v[36:37], 1, v[36:37]
	v_mad_i64_i32 v[4:5], s[10:11], v4, s17, v[50:51]
	v_and_b32_e32 v36, -16, v36
	s_waitcnt vmcnt(9)
	v_mul_hi_i32 v52, v2, s17
	v_lshrrev_b32_e32 v50, 29, v55
	v_lshlrev_b64 v[4:5], 1, v[4:5]
	v_ashrrev_i32_e32 v56, 31, v52
	v_mad_i64_i32 v[52:53], s[10:11], v3, s17, v[50:51]
	v_and_b32_e32 v4, -16, v4
	v_lshrrev_b32_e32 v50, 29, v56
	v_lshlrev_b64 v[52:53], 1, v[52:53]
	v_mad_i64_i32 v[2:3], s[10:11], v2, s17, v[50:51]
	v_and_b32_e32 v50, -16, v52
	v_lshlrev_b64 v[2:3], 1, v[2:3]
	v_and_b32_e32 v2, -16, v2
	s_load_dword s4, s[4:5], 0x1c
	s_waitcnt vmcnt(7)
	v_mfma_f32_4x4x4bf16_1k a[0:3], v[42:43], v[6:7], 0 cbsz:4
	v_mov_b32_e32 v6, s3
	v_mfma_f32_4x4x4bf16_1k a[0:3], v[44:45], v[8:9], a[0:3] cbsz:4
	v_add_co_u32_e32 v7, vcc, s2, v35
	s_waitcnt vmcnt(6)
	v_mfma_f32_4x4x4bf16_1k a[0:3], v[42:43], v[10:11], a[0:3] cbsz:4 abid:1
	v_addc_co_u32_e32 v6, vcc, 0, v6, vcc
	v_mfma_f32_4x4x4bf16_1k a[0:3], v[44:45], v[12:13], a[0:3] cbsz:4 abid:1
	v_add_co_u32_e32 v10, vcc, v7, v36
	s_waitcnt vmcnt(5)
	v_mfma_f32_4x4x4bf16_1k a[0:3], v[42:43], v[14:15], a[0:3] cbsz:4 abid:2
	v_addc_co_u32_e32 v11, vcc, v6, v37, vcc
	v_mfma_f32_4x4x4bf16_1k a[0:3], v[44:45], v[16:17], a[0:3] cbsz:4 abid:2
	s_waitcnt vmcnt(4)
	v_mfma_f32_4x4x4bf16_1k a[0:3], v[42:43], v[18:19], a[0:3] cbsz:4 abid:3
	v_add_co_u32_e32 v18, vcc, v7, v4
	v_mfma_f32_4x4x4bf16_1k a[0:3], v[44:45], v[20:21], a[0:3] cbsz:4 abid:3
	v_addc_co_u32_e32 v19, vcc, v6, v5, vcc
	s_waitcnt vmcnt(3)
	v_mfma_f32_4x4x4bf16_1k a[0:3], v[42:43], v[22:23], a[0:3] cbsz:4 abid:4
	v_add_co_u32_e32 v36, vcc, v7, v50
	v_mfma_f32_4x4x4bf16_1k a[0:3], v[44:45], v[24:25], a[0:3] cbsz:4 abid:4
	v_addc_co_u32_e32 v37, vcc, v6, v53, vcc
	s_waitcnt vmcnt(2)
	v_mfma_f32_4x4x4bf16_1k a[0:3], v[42:43], v[26:27], a[0:3] cbsz:4 abid:5
	v_add_co_u32_e32 v50, vcc, v7, v2
	v_mfma_f32_4x4x4bf16_1k a[0:3], v[44:45], v[28:29], a[0:3] cbsz:4 abid:5
	v_addc_co_u32_e32 v51, vcc, v6, v3, vcc
	s_waitcnt vmcnt(1)
	v_mfma_f32_4x4x4bf16_1k a[0:3], v[42:43], v[30:31], a[0:3] cbsz:4 abid:6
	global_load_dwordx4 v[2:5], v[10:11], off
	global_load_dwordx4 v[6:9], v[10:11], off offset:16
	s_nop 0
	global_load_dwordx4 v[10:13], v[18:19], off
	global_load_dwordx4 v[14:17], v[18:19], off offset:16
	s_nop 0
	global_load_dwordx4 v[18:21], v[36:37], off
	global_load_dwordx4 v[22:25], v[36:37], off offset:16
	v_mfma_f32_4x4x4bf16_1k a[0:3], v[44:45], v[32:33], a[0:3] cbsz:4 abid:6
	global_load_dwordx4 v[26:29], v[50:51], off
	global_load_dwordx4 v[30:33], v[50:51], off offset:16
	s_waitcnt vmcnt(8)
	v_mfma_f32_4x4x4bf16_1k a[0:3], v[42:43], v[46:47], a[0:3] cbsz:4 abid:7
	v_cmp_eq_u32_e32 vcc, 3, v38
	v_mfma_f32_4x4x4bf16_1k a[0:3], v[44:45], v[48:49], a[0:3] cbsz:4 abid:7
	v_cndmask_b32_e64 v35, 0, 1.0, vcc
	v_and_b32_e32 v46, -4, v34
	v_cmp_gt_i32_e32 vcc, s9, v46
	v_or_b32_e32 v34, 3, v34
	v_cmp_gt_i32_e64 s[10:11], s9, v34
	v_accvgpr_read_b32 v37, a1
	v_accvgpr_read_b32 v36, a0
	s_waitcnt lgkmcnt(0)
	v_pk_mul_f32 v[36:37], s[4:5], v[36:37] op_sel_hi:[0,1]
	v_accvgpr_read_b32 v43, a3
	v_accvgpr_read_b32 v42, a2
	v_pk_mul_f32 v[42:43], s[4:5], v[42:43] op_sel_hi:[0,1]
	v_mfma_f32_4x4x1f32 a[0:3], v36, v39, 0
	v_mov_b32_e32 v36, 0xff7fffff
	v_mfma_f32_4x4x1f32 a[0:3], v37, v41, a[0:3]
	v_or_b32_e32 v39, 1, v46
	v_mfma_f32_4x4x1f32 a[0:3], v42, v54, a[0:3]
	v_cmp_gt_i32_e64 s[2:3], s9, v39
	v_mfma_f32_4x4x1f32 a[0:3], v43, v35, a[0:3]
	v_or_b32_e32 v39, 2, v46
	v_cmp_gt_i32_e64 s[4:5], s9, v39
	v_lshlrev_b32_e32 v44, 2, v0
	v_and_or_b32 v37, v44, 48, v38
	v_lshlrev_b32_e32 v44, 2, v37
	v_accvgpr_read_b32 v35, a0
	v_max_f32_e32 v41, v35, v35
	v_max_f32_e32 v41, 0xff7fffff, v41
	v_accvgpr_read_b32 v42, a1
	v_cndmask_b32_e32 v36, v36, v41, vcc
	v_max_f32_e32 v41, v42, v42
	v_max_f32_e32 v41, v36, v41
	v_accvgpr_read_b32 v43, a2
	v_cndmask_b32_e64 v36, v36, v41, s[2:3]
	v_max_f32_e32 v41, v43, v43
	v_max_f32_e32 v41, v36, v41
	v_accvgpr_read_b32 v39, a3
	v_cndmask_b32_e64 v36, v36, v41, s[4:5]
	v_max_f32_e32 v41, v39, v39
	v_max_f32_e32 v41, v36, v41
	v_cndmask_b32_e64 v34, v36, v41, s[10:11]
	;;#ASMSTART
	v_nop
 v_nop
 v_max_f32_dpp v34, v34, v34 row_ror:4
	;;#ASMEND
	;;#ASMSTART
	v_nop
 v_nop
 v_max_f32_dpp v34, v34, v34 row_ror:8
	;;#ASMEND
	ds_bpermute_b32 v34, v44, v34
	s_waitcnt lgkmcnt(0)
	;;#ASMSTART
	v_nop
 v_nop
 v_max_f32_dpp v34, v34, v34 row_ror:4
	;;#ASMEND
	;;#ASMSTART
	v_nop
 v_nop
 v_max_f32_dpp v41, v34, v34 row_ror:8
	;;#ASMEND
	v_sub_f32_e32 v34, v35, v41
	v_mul_f32_e32 v34, 0x3fb8aa3b, v34
	v_sub_f32_e32 v35, v42, v41
	v_exp_f32_e32 v34, v34
	v_mul_f32_e32 v35, 0x3fb8aa3b, v35
	v_sub_f32_e32 v37, v43, v41
	v_exp_f32_e32 v35, v35
	;; [unrolled: 3-line block ×3, first 2 shown]
	v_mul_f32_e32 v39, 0x3fb8aa3b, v39
	v_exp_f32_e32 v39, v39
	v_cndmask_b32_e32 v34, 0, v34, vcc
	v_add_f32_e32 v36, 0, v34
	v_cndmask_b32_e64 v35, 0, v35, s[2:3]
	v_add_f32_e32 v42, v36, v35
	v_cndmask_b32_e64 v36, 0, v37, s[4:5]
	;; [unrolled: 2-line block ×3, first 2 shown]
	v_add_f32_e32 v39, v42, v37
	;;#ASMSTART
	v_nop
 v_nop
 v_add_f32_dpp v39, v39, v39 row_ror:4
	;;#ASMEND
	;;#ASMSTART
	v_nop
 v_nop
 v_add_f32_dpp v39, v39, v39 row_ror:8
	;;#ASMEND
	ds_bpermute_b32 v39, v44, v39
	s_waitcnt lgkmcnt(0)
	;;#ASMSTART
	v_nop
 v_nop
 v_add_f32_dpp v39, v39, v39 row_ror:4
	;;#ASMEND
	v_cmp_gt_u32_e32 vcc, 4, v40
	;;#ASMSTART
	v_nop
 v_nop
 v_add_f32_dpp v39, v39, v39 row_ror:8
	;;#ASMEND
	s_and_saveexec_b64 s[2:3], vcc
	s_cbranch_execz .LBB231_12
; %bb.11:
	v_mul_u32_u24_e32 v42, 20, v1
	v_lshl_add_u32 v42, v38, 2, v42
	v_add_u32_e32 v42, 0x800, v42
	ds_write2_b32 v42, v41, v39 offset0:128 offset1:148
.LBB231_12:
	s_or_b64 exec, exec, s[2:3]
.LBB231_13:
	s_or_b64 exec, exec, s[30:31]
	v_lshlrev_b32_e32 v39, 2, v38
	v_add_u32_e32 v39, 0x800, v39
	s_waitcnt lgkmcnt(0)
	s_barrier
	s_load_dword s2, s[28:29], 0x8
	ds_read2_b32 v[44:45], v39 offset0:128 offset1:133
	ds_read2_b32 v[46:47], v39 offset0:138 offset1:143
	s_mov_b32 s9, 0xff7fffff
	s_mul_i32 s3, s6, s7
	ds_read2_b32 v[48:49], v39 offset0:148 offset1:153
	s_waitcnt lgkmcnt(0)
	v_max3_f32 v42, v44, s9, v45
	v_max3_f32 v42, v42, v46, v47
	v_sub_f32_e32 v43, v44, v42
	v_sub_f32_e32 v44, v45, v42
	s_mul_i32 s3, s3, s2
	v_mul_f32_e32 v43, 0x3fb8aa3b, v43
	v_mul_f32_e32 v44, 0x3fb8aa3b, v44
	s_lshl_b32 s2, s3, 2
	s_mov_b32 s3, 0
	v_exp_f32_e32 v43, v43
	v_exp_f32_e32 v50, v44
	ds_read2_b32 v[44:45], v39 offset0:158 offset1:163
	v_sub_f32_e32 v39, v46, v42
	s_lshl_b32 s8, s8, 2
	s_lshl_b64 s[4:5], s[2:3], 2
	v_mul_f32_e32 v39, 0x3fb8aa3b, v39
	v_sub_f32_e32 v46, v47, v42
	s_mov_b32 s25, s3
	s_add_u32 s3, s12, s4
	v_exp_f32_e32 v39, v39
	v_mul_f32_e32 v46, 0x3fb8aa3b, v46
	s_addc_u32 s6, s13, s5
	v_exp_f32_e32 v46, v46
	s_add_u32 s9, s14, s4
	v_fma_f32 v43, v43, v48, 0
	s_addc_u32 s10, s15, s5
	s_lshl_b64 s[4:5], s[24:25], 2
	v_fmac_f32_e32 v43, v50, v49
	v_or_b32_e32 v38, s8, v38
	s_add_u32 s9, s9, s4
	s_waitcnt lgkmcnt(0)
	v_fmac_f32_e32 v43, v39, v44
	v_mul_lo_u32 v38, s7, v38
	v_mov_b32_e32 v39, 0
	s_addc_u32 s10, s10, s5
	v_fmac_f32_e32 v43, v46, v45
	v_lshlrev_b64 v[44:45], 2, v[38:39]
	s_add_u32 s3, s3, s4
	v_mov_b32_e32 v38, s10
	v_add_co_u32_e32 v46, vcc, s9, v44
	s_addc_u32 s4, s6, s5
	v_addc_co_u32_e32 v47, vcc, v38, v45, vcc
	v_mov_b32_e32 v38, s4
	v_add_co_u32_e32 v44, vcc, s3, v44
	v_addc_co_u32_e32 v45, vcc, v38, v45, vcc
	v_mov_b32_e32 v38, v39
	global_store_dword v[46:47], v42, off
	global_store_dword v[44:45], v43, off
	s_and_saveexec_b64 s[4:5], s[0:1]
	s_cbranch_execz .LBB231_15
; %bb.14:
	v_add_f32_e32 v38, 0x358637bd, v43
	v_div_scale_f32 v39, s[0:1], v38, v38, 1.0
	v_rcp_f32_e32 v43, v39
	v_div_scale_f32 v44, vcc, 1.0, v38, 1.0
	v_sub_f32_e32 v41, v41, v42
	v_fma_f32 v45, -v39, v43, 1.0
	v_fmac_f32_e32 v43, v45, v43
	v_mul_f32_e32 v45, v44, v43
	v_fma_f32 v46, -v39, v45, v44
	v_mul_f32_e32 v41, 0x3fb8aa3b, v41
	v_fmac_f32_e32 v45, v46, v43
	v_exp_f32_e32 v41, v41
	v_fma_f32 v39, -v39, v45, v44
	v_div_fmas_f32 v39, v39, v43, v45
	v_div_fixup_f32 v38, v39, v38, 1.0
	v_mul_f32_e32 v38, v41, v38
	v_pk_mul_f32 v[34:35], v[34:35], v[38:39] op_sel_hi:[1,0]
	v_pk_mul_f32 v[36:37], v[36:37], v[38:39] op_sel_hi:[1,0]
	v_bfe_u32 v38, v35, 16, 1
	v_bfe_u32 v39, v34, 16, 1
	s_movk_i32 s0, 0x7fff
	v_add3_u32 v34, v34, v39, s0
	v_add3_u32 v35, v35, v38, s0
	s_mov_b32 s1, 0x7060302
	v_perm_b32 v34, v35, v34, s1
	v_bfe_u32 v35, v37, 16, 1
	v_bfe_u32 v38, v36, 16, 1
	v_add3_u32 v36, v36, v38, s0
	v_add3_u32 v35, v37, v35, s0
	v_perm_b32 v35, v35, v36, s1
	s_waitcnt vmcnt(9)
	s_nop 0
	v_mfma_f32_4x4x4bf16_1k a[0:3], v[34:35], v[2:3], 0 cbsz:4
	v_mfma_f32_4x4x4bf16_1k a[0:3], v[34:35], v[4:5], a[0:3] cbsz:4 abid:1
	s_waitcnt vmcnt(8)
	v_mfma_f32_4x4x4bf16_1k a[0:3], v[34:35], v[6:7], a[0:3] cbsz:4 abid:2
	v_mfma_f32_4x4x4bf16_1k a[0:3], v[34:35], v[8:9], a[0:3] cbsz:4 abid:3
	s_waitcnt vmcnt(7)
	v_mfma_f32_4x4x4bf16_1k a[0:3], v[34:35], v[10:11], a[0:3] cbsz:4 abid:4
	;; [unrolled: 3-line block ×7, first 2 shown]
	v_mfma_f32_4x4x4bf16_1k a[0:3], v[34:35], v[32:33], a[0:3] cbsz:4 abid:15
	s_nop 4
	v_accvgpr_read_b32 v5, a1
	v_accvgpr_read_b32 v2, a2
	;; [unrolled: 1-line block ×4, first 2 shown]
	v_bfe_u32 v6, v5, 16, 1
	v_bfe_u32 v7, v4, 16, 1
	;; [unrolled: 1-line block ×3, first 2 shown]
	v_add3_u32 v5, v5, v6, s0
	v_bfe_u32 v6, v2, 16, 1
	v_add3_u32 v4, v4, v7, s0
	v_add3_u32 v2, v2, v6, s0
	;; [unrolled: 1-line block ×3, first 2 shown]
	v_perm_b32 v39, v3, v2, s1
	v_perm_b32 v38, v5, v4, s1
.LBB231_15:
	s_or_b64 exec, exec, s[4:5]
	v_lshlrev_b32_e32 v1, 3, v1
	v_mad_u32_u24 v1, v40, 40, v1
	v_cmp_gt_u32_e32 vcc, 64, v0
	ds_write_b64 v1, v[38:39]
	s_waitcnt lgkmcnt(0)
	s_barrier
	s_and_saveexec_b64 s[0:1], vcc
	s_cbranch_execz .LBB231_17
; %bb.16:
	v_mul_u32_u24_e32 v1, 40, v40
	s_waitcnt vmcnt(9)
	ds_read2_b64 v[2:5], v1 offset1:1
	s_waitcnt vmcnt(8)
	ds_read2_b64 v[6:9], v1 offset0:2 offset1:3
	s_mov_b32 s1, 0
	s_lshl_b32 s0, s2, 6
	s_lshl_b64 s[2:3], s[0:1], 1
	s_waitcnt lgkmcnt(1)
	v_lshlrev_b32_e32 v1, 16, v2
	v_and_b32_e32 v2, 0xffff0000, v2
	v_add_f32_e32 v1, 0, v1
	v_add_f32_e32 v2, 0, v2
	s_waitcnt vmcnt(7)
	v_lshlrev_b32_e32 v10, 16, v3
	v_and_b32_e32 v3, 0xffff0000, v3
	v_and_b32_e32 v1, 0xffff0000, v1
	;; [unrolled: 1-line block ×3, first 2 shown]
	v_add_f32_e32 v3, 0, v3
	v_lshlrev_b32_e32 v11, 16, v4
	v_and_b32_e32 v4, 0xffff0000, v4
	v_add_f32_e32 v10, 0, v10
	v_and_b32_e32 v3, 0xffff0000, v3
	v_add_f32_e32 v1, v1, v11
	v_add_f32_e32 v2, v2, v4
	v_lshlrev_b32_e32 v4, 16, v5
	v_and_b32_e32 v5, 0xffff0000, v5
	v_and_b32_e32 v10, 0xffff0000, v10
	;; [unrolled: 1-line block ×3, first 2 shown]
	v_add_f32_e32 v3, v3, v5
	s_waitcnt lgkmcnt(0)
	v_lshlrev_b32_e32 v5, 16, v6
	v_and_b32_e32 v2, 0xffff0000, v2
	v_add_f32_e32 v4, v10, v4
	v_add_f32_e32 v1, v1, v5
	v_and_b32_e32 v5, 0xffff0000, v6
	v_and_b32_e32 v4, 0xffff0000, v4
	v_add_f32_e32 v2, v2, v5
	v_lshlrev_b32_e32 v5, 16, v7
	s_add_u32 s2, s26, s2
	v_and_b32_e32 v3, 0xffff0000, v3
	v_add_f32_e32 v4, v4, v5
	v_and_b32_e32 v5, 0xffff0000, v7
	s_addc_u32 s3, s27, s3
	s_lshl_b32 s0, s24, 6
	v_and_b32_e32 v1, 0xffff0000, v1
	v_add_f32_e32 v3, v3, v5
	v_lshlrev_b32_e32 v5, 16, v8
	s_lshl_b64 s[0:1], s[0:1], 1
	v_and_b32_e32 v2, 0xffff0000, v2
	v_add_f32_e32 v1, v1, v5
	v_and_b32_e32 v5, 0xffff0000, v8
	s_add_u32 s0, s2, s0
	v_and_b32_e32 v4, 0xffff0000, v4
	v_add_f32_e32 v6, v2, v5
	v_lshlrev_b32_e32 v2, 16, v9
	s_addc_u32 s1, s3, s1
	s_lshl_b32 s2, s7, 6
	v_and_b32_e32 v3, 0xffff0000, v3
	v_add_f32_e32 v7, v4, v2
	v_and_b32_e32 v2, 0xffff0000, v9
	s_mul_i32 s3, s2, s8
	v_add_f32_e32 v8, v3, v2
	v_or_b32_e32 v2, s3, v0
	v_mov_b32_e32 v3, 0
	v_lshlrev_b64 v[4:5], 1, v[2:3]
	v_mov_b32_e32 v2, s1
	v_add_co_u32_e32 v4, vcc, s0, v4
	s_add_i32 s3, s3, s2
	v_addc_co_u32_e32 v5, vcc, v2, v5, vcc
	v_or_b32_e32 v2, s3, v0
	global_store_short_d16_hi v[4:5], v1, off
	v_lshlrev_b64 v[4:5], 1, v[2:3]
	v_mov_b32_e32 v1, s1
	v_add_co_u32_e32 v4, vcc, s0, v4
	s_add_i32 s3, s3, s2
	v_addc_co_u32_e32 v5, vcc, v1, v5, vcc
	v_or_b32_e32 v2, s3, v0
	global_store_short_d16_hi v[4:5], v6, off
	v_lshlrev_b64 v[4:5], 1, v[2:3]
	s_add_i32 s3, s3, s2
	v_add_co_u32_e32 v4, vcc, s0, v4
	v_or_b32_e32 v2, s3, v0
	v_addc_co_u32_e32 v5, vcc, v1, v5, vcc
	v_lshlrev_b64 v[0:1], 1, v[2:3]
	v_mov_b32_e32 v2, s1
	v_add_co_u32_e32 v0, vcc, s0, v0
	v_addc_co_u32_e32 v1, vcc, v2, v1, vcc
	global_store_short_d16_hi v[4:5], v7, off
	global_store_short_d16_hi v[0:1], v8, off
.LBB231_17:
	s_endpgm
.LBB231_18:
	s_mov_b64 s[12:13], 0
                                        ; implicit-def: $sgpr36_sgpr37
	s_branch .LBB231_2
	.section	.rodata,"a",@progbits
	.p2align	6, 0x0
	.amdhsa_kernel _Z38paged_attention_ll4mi_QKV_mfma4_kernelI14__hip_bfloat16S0_LN4vllm18Fp8KVCacheDataTypeE0ES0_Li16ELi64ELi256ELb0ELi4EEvPKT_PKT0_S8_ifPKiSA_SA_iPKfiiiPfSD_PS3_PT2_iSC_SC_
		.amdhsa_group_segment_fixed_size 2720
		.amdhsa_private_segment_fixed_size 0
		.amdhsa_kernarg_size 400
		.amdhsa_user_sgpr_count 6
		.amdhsa_user_sgpr_private_segment_buffer 1
		.amdhsa_user_sgpr_dispatch_ptr 0
		.amdhsa_user_sgpr_queue_ptr 0
		.amdhsa_user_sgpr_kernarg_segment_ptr 1
		.amdhsa_user_sgpr_dispatch_id 0
		.amdhsa_user_sgpr_flat_scratch_init 0
		.amdhsa_user_sgpr_kernarg_preload_length 0
		.amdhsa_user_sgpr_kernarg_preload_offset 0
		.amdhsa_user_sgpr_private_segment_size 0
		.amdhsa_uses_dynamic_stack 0
		.amdhsa_system_sgpr_private_segment_wavefront_offset 0
		.amdhsa_system_sgpr_workgroup_id_x 1
		.amdhsa_system_sgpr_workgroup_id_y 1
		.amdhsa_system_sgpr_workgroup_id_z 1
		.amdhsa_system_sgpr_workgroup_info 0
		.amdhsa_system_vgpr_workitem_id 0
		.amdhsa_next_free_vgpr 64
		.amdhsa_next_free_sgpr 40
		.amdhsa_accum_offset 60
		.amdhsa_reserve_vcc 1
		.amdhsa_reserve_flat_scratch 0
		.amdhsa_float_round_mode_32 0
		.amdhsa_float_round_mode_16_64 0
		.amdhsa_float_denorm_mode_32 3
		.amdhsa_float_denorm_mode_16_64 3
		.amdhsa_dx10_clamp 1
		.amdhsa_ieee_mode 1
		.amdhsa_fp16_overflow 0
		.amdhsa_tg_split 0
		.amdhsa_exception_fp_ieee_invalid_op 0
		.amdhsa_exception_fp_denorm_src 0
		.amdhsa_exception_fp_ieee_div_zero 0
		.amdhsa_exception_fp_ieee_overflow 0
		.amdhsa_exception_fp_ieee_underflow 0
		.amdhsa_exception_fp_ieee_inexact 0
		.amdhsa_exception_int_div_zero 0
	.end_amdhsa_kernel
	.section	.text._Z38paged_attention_ll4mi_QKV_mfma4_kernelI14__hip_bfloat16S0_LN4vllm18Fp8KVCacheDataTypeE0ES0_Li16ELi64ELi256ELb0ELi4EEvPKT_PKT0_S8_ifPKiSA_SA_iPKfiiiPfSD_PS3_PT2_iSC_SC_,"axG",@progbits,_Z38paged_attention_ll4mi_QKV_mfma4_kernelI14__hip_bfloat16S0_LN4vllm18Fp8KVCacheDataTypeE0ES0_Li16ELi64ELi256ELb0ELi4EEvPKT_PKT0_S8_ifPKiSA_SA_iPKfiiiPfSD_PS3_PT2_iSC_SC_,comdat
.Lfunc_end231:
	.size	_Z38paged_attention_ll4mi_QKV_mfma4_kernelI14__hip_bfloat16S0_LN4vllm18Fp8KVCacheDataTypeE0ES0_Li16ELi64ELi256ELb0ELi4EEvPKT_PKT0_S8_ifPKiSA_SA_iPKfiiiPfSD_PS3_PT2_iSC_SC_, .Lfunc_end231-_Z38paged_attention_ll4mi_QKV_mfma4_kernelI14__hip_bfloat16S0_LN4vllm18Fp8KVCacheDataTypeE0ES0_Li16ELi64ELi256ELb0ELi4EEvPKT_PKT0_S8_ifPKiSA_SA_iPKfiiiPfSD_PS3_PT2_iSC_SC_
                                        ; -- End function
	.section	.AMDGPU.csdata,"",@progbits
; Kernel info:
; codeLenInByte = 3456
; NumSgprs: 44
; NumVgprs: 57
; NumAgprs: 4
; TotalNumVgprs: 64
; ScratchSize: 0
; MemoryBound: 0
; FloatMode: 240
; IeeeMode: 1
; LDSByteSize: 2720 bytes/workgroup (compile time only)
; SGPRBlocks: 5
; VGPRBlocks: 7
; NumSGPRsForWavesPerEU: 44
; NumVGPRsForWavesPerEU: 64
; AccumOffset: 60
; Occupancy: 8
; WaveLimiterHint : 1
; COMPUTE_PGM_RSRC2:SCRATCH_EN: 0
; COMPUTE_PGM_RSRC2:USER_SGPR: 6
; COMPUTE_PGM_RSRC2:TRAP_HANDLER: 0
; COMPUTE_PGM_RSRC2:TGID_X_EN: 1
; COMPUTE_PGM_RSRC2:TGID_Y_EN: 1
; COMPUTE_PGM_RSRC2:TGID_Z_EN: 1
; COMPUTE_PGM_RSRC2:TIDIG_COMP_CNT: 0
; COMPUTE_PGM_RSRC3_GFX90A:ACCUM_OFFSET: 14
; COMPUTE_PGM_RSRC3_GFX90A:TG_SPLIT: 0
	.section	.text._Z39paged_attention_ll4mi_QKV_mfma16_kernelI14__hip_bfloat16S0_LN4vllm18Fp8KVCacheDataTypeE0ES0_Li16ELi64ELi256ELb0ELi5EL8MFMAType0EEvPKT_PKT0_S9_ifPKiSB_SB_iPKfiiiPfSE_PS4_PT2_iSD_SD_,"axG",@progbits,_Z39paged_attention_ll4mi_QKV_mfma16_kernelI14__hip_bfloat16S0_LN4vllm18Fp8KVCacheDataTypeE0ES0_Li16ELi64ELi256ELb0ELi5EL8MFMAType0EEvPKT_PKT0_S9_ifPKiSB_SB_iPKfiiiPfSE_PS4_PT2_iSD_SD_,comdat
	.protected	_Z39paged_attention_ll4mi_QKV_mfma16_kernelI14__hip_bfloat16S0_LN4vllm18Fp8KVCacheDataTypeE0ES0_Li16ELi64ELi256ELb0ELi5EL8MFMAType0EEvPKT_PKT0_S9_ifPKiSB_SB_iPKfiiiPfSE_PS4_PT2_iSD_SD_ ; -- Begin function _Z39paged_attention_ll4mi_QKV_mfma16_kernelI14__hip_bfloat16S0_LN4vllm18Fp8KVCacheDataTypeE0ES0_Li16ELi64ELi256ELb0ELi5EL8MFMAType0EEvPKT_PKT0_S9_ifPKiSB_SB_iPKfiiiPfSE_PS4_PT2_iSD_SD_
	.globl	_Z39paged_attention_ll4mi_QKV_mfma16_kernelI14__hip_bfloat16S0_LN4vllm18Fp8KVCacheDataTypeE0ES0_Li16ELi64ELi256ELb0ELi5EL8MFMAType0EEvPKT_PKT0_S9_ifPKiSB_SB_iPKfiiiPfSE_PS4_PT2_iSD_SD_
	.p2align	8
	.type	_Z39paged_attention_ll4mi_QKV_mfma16_kernelI14__hip_bfloat16S0_LN4vllm18Fp8KVCacheDataTypeE0ES0_Li16ELi64ELi256ELb0ELi5EL8MFMAType0EEvPKT_PKT0_S9_ifPKiSB_SB_iPKfiiiPfSE_PS4_PT2_iSD_SD_,@function
_Z39paged_attention_ll4mi_QKV_mfma16_kernelI14__hip_bfloat16S0_LN4vllm18Fp8KVCacheDataTypeE0ES0_Li16ELi64ELi256ELb0ELi5EL8MFMAType0EEvPKT_PKT0_S9_ifPKiSB_SB_iPKfiiiPfSE_PS4_PT2_iSD_SD_: ; @_Z39paged_attention_ll4mi_QKV_mfma16_kernelI14__hip_bfloat16S0_LN4vllm18Fp8KVCacheDataTypeE0ES0_Li16ELi64ELi256ELb0ELi5EL8MFMAType0EEvPKT_PKT0_S9_ifPKiSB_SB_iPKfiiiPfSE_PS4_PT2_iSD_SD_
; %bb.0:
	s_load_dwordx2 s[0:1], s[4:5], 0x30
	s_mov_b32 s28, s7
	s_mov_b64 s[10:11], 0
	s_waitcnt lgkmcnt(0)
	s_cmp_lg_u64 s[0:1], 0
	s_cselect_b64 s[2:3], -1, 0
	s_and_b64 vcc, exec, s[2:3]
	s_cbranch_vccz .LBB232_7
; %bb.1:
	s_add_i32 s12, s6, 1
	s_mov_b32 s13, 0
	s_lshl_b64 s[14:15], s[12:13], 2
	s_add_u32 s14, s0, s14
	s_mov_b32 s7, s13
	s_addc_u32 s15, s1, s15
	s_lshl_b64 s[12:13], s[6:7], 2
	s_add_u32 s12, s0, s12
	s_addc_u32 s13, s1, s13
	s_load_dword s9, s[14:15], 0x0
	s_load_dword s16, s[12:13], 0x0
	s_waitcnt lgkmcnt(0)
	s_sub_i32 s9, s9, s16
	s_cmp_eq_u32 s9, 1
	s_cselect_b64 s[12:13], -1, 0
	s_andn2_b64 vcc, exec, s[10:11]
	s_cbranch_vccnz .LBB232_3
.LBB232_2:
	s_mov_b32 s7, 0
	s_mov_b64 s[12:13], -1
.LBB232_3:
	s_andn2_b64 vcc, exec, s[12:13]
	s_cbranch_vccnz .LBB232_18
; %bb.4:
	s_load_dwordx2 s[12:13], s[4:5], 0x28
	s_lshl_b64 s[10:11], s[6:7], 2
	s_waitcnt lgkmcnt(0)
	s_add_u32 s12, s12, s10
	s_addc_u32 s13, s13, s11
	s_load_dword s40, s[12:13], 0x0
	s_lshl_b32 s16, s28, 8
	s_waitcnt lgkmcnt(0)
	s_cmp_ge_i32 s16, s40
	s_cbranch_scc1 .LBB232_18
; %bb.5:
	s_add_i32 s14, s40, 15
	s_load_dwordx2 s[12:13], s[4:5], 0x20
	s_load_dword s9, s[4:5], 0x38
	s_ashr_i32 s15, s14, 31
	v_and_b32_e32 v1, 0xcf, v0
	s_lshr_b32 s15, s15, 28
	v_add_u32_e32 v1, s16, v1
	s_add_i32 s14, s14, s15
	v_ashrrev_i32_e32 v2, 31, v1
	s_ashr_i32 s19, s14, 4
	v_lshrrev_b32_e32 v10, 28, v2
	s_add_i32 s19, s19, -1
	v_add_u32_e32 v2, v1, v10
	s_waitcnt lgkmcnt(0)
	s_mul_i32 s14, s6, s9
	s_mov_b32 s15, 0
	v_ashrrev_i32_e32 v2, 4, v2
	v_mov_b32_e32 v11, s19
	v_cmp_gt_i32_e32 vcc, s40, v1
	s_lshl_b64 s[14:15], s[14:15], 2
	v_cndmask_b32_e32 v2, v11, v2, vcc
	s_add_u32 s17, s12, s14
	v_ashrrev_i32_e32 v3, 31, v2
	s_addc_u32 s18, s13, s15
	v_lshlrev_b64 v[2:3], 2, v[2:3]
	v_mov_b32_e32 v5, s18
	v_add_co_u32_e32 v4, vcc, s17, v2
	v_or_b32_e32 v2, 16, v1
	v_addc_co_u32_e32 v5, vcc, v5, v3, vcc
	v_add_u32_e32 v3, v2, v10
	v_ashrrev_i32_e32 v3, 4, v3
	v_cmp_gt_i32_e32 vcc, s40, v2
	v_cndmask_b32_e32 v2, v11, v3, vcc
	v_ashrrev_i32_e32 v3, 31, v2
	v_lshlrev_b64 v[2:3], 2, v[2:3]
	v_mov_b32_e32 v7, s18
	v_add_co_u32_e32 v6, vcc, s17, v2
	v_or_b32_e32 v2, 32, v1
	v_addc_co_u32_e32 v7, vcc, v7, v3, vcc
	v_add_u32_e32 v3, v2, v10
	v_ashrrev_i32_e32 v3, 4, v3
	v_cmp_gt_i32_e32 vcc, s40, v2
	v_cndmask_b32_e32 v2, v11, v3, vcc
	v_ashrrev_i32_e32 v3, 31, v2
	;; [unrolled: 10-line block ×3, first 2 shown]
	v_lshlrev_b64 v[2:3], 2, v[2:3]
	v_mov_b32_e32 v1, s18
	v_add_co_u32_e32 v10, vcc, s17, v2
	v_addc_co_u32_e32 v11, vcc, v1, v3, vcc
	global_load_dword v3, v[4:5], off
	global_load_dword v2, v[6:7], off
	;; [unrolled: 1-line block ×4, first 2 shown]
	s_load_dwordx4 s[12:15], s[4:5], 0x8
	s_andn2_b64 vcc, exec, s[2:3]
	s_cbranch_vccnz .LBB232_8
; %bb.6:
	s_add_u32 s0, s0, s10
	s_addc_u32 s1, s1, s11
	s_load_dword s9, s[0:1], 0x0
	s_branch .LBB232_9
.LBB232_7:
	s_mov_b64 s[12:13], 0
	s_branch .LBB232_2
.LBB232_8:
	s_mov_b32 s9, s6
.LBB232_9:
	s_load_dwordx4 s[44:47], s[4:5], 0x48
	v_lshrrev_b32_e32 v53, 6, v0
	v_bfe_u32 v1, v0, 4, 2
	v_lshl_or_b32 v4, v53, 2, v1
	v_and_b32_e32 v52, 15, v0
	v_lshlrev_b32_e32 v5, 3, v52
	v_cmp_gt_u32_e32 vcc, 5, v4
	v_cmp_gt_u32_e64 s[0:1], 8, v52
	v_and_b32_e32 v54, 63, v0
	s_mul_i32 s29, s8, 5
	s_and_b64 s[10:11], s[0:1], vcc
	v_lshlrev_b32_e32 v50, 1, v5
	s_and_saveexec_b64 s[2:3], s[10:11]
	s_cbranch_execz .LBB232_11
; %bb.10:
	s_load_dwordx2 s[10:11], s[4:5], 0x0
	s_waitcnt lgkmcnt(0)
	s_ashr_i32 s20, s44, 31
	s_mul_hi_u32 s21, s9, s44
	s_mul_i32 s20, s9, s20
	s_add_i32 s21, s21, s20
	s_mul_i32 s20, s9, s44
	s_lshl_b64 s[20:21], s[20:21], 1
	v_add_lshl_u32 v6, v4, s29, 6
	s_add_u32 s9, s10, s20
	v_ashrrev_i32_e32 v7, 31, v6
	s_addc_u32 s10, s11, s21
	v_lshlrev_b64 v[6:7], 1, v[6:7]
	v_mov_b32_e32 v5, s10
	v_add_co_u32_e32 v6, vcc, s9, v6
	v_addc_co_u32_e32 v5, vcc, v5, v7, vcc
	v_add_co_u32_e32 v6, vcc, v6, v50
	v_addc_co_u32_e32 v7, vcc, 0, v5, vcc
	global_load_dwordx4 v[6:9], v[6:7], off
	v_and_b32_e32 v5, 3, v0
	v_lshlrev_b32_e32 v10, 9, v52
	v_lshlrev_b32_e32 v4, 5, v4
	;; [unrolled: 1-line block ×3, first 2 shown]
	v_and_b32_e32 v10, 0x1800, v10
	v_or3_b32 v4, v10, v5, v4
	s_waitcnt vmcnt(0)
	ds_write_b128 v4, v[6:9]
.LBB232_11:
	s_or_b64 exec, exec, s[2:3]
	s_waitcnt lgkmcnt(0)
	s_mul_i32 s8, s8, s46
	s_mov_b32 s9, 0
	s_lshl_b64 s[8:9], s[8:9], 1
	s_add_u32 s3, s12, s8
	v_lshlrev_b32_e32 v51, 4, v0
	s_addc_u32 s10, s13, s9
	v_and_b32_e32 v4, 0xf0, v51
	v_mov_b32_e32 v5, s10
	v_add_co_u32_e32 v29, vcc, s3, v4
	v_addc_co_u32_e32 v30, vcc, 0, v5, vcc
	s_waitcnt vmcnt(3)
	v_mad_i64_i32 v[4:5], s[10:11], v3, s45, 0
	v_lshlrev_b64 v[4:5], 1, v[4:5]
	v_add_co_u32_e32 v3, vcc, v29, v4
	v_addc_co_u32_e32 v5, vcc, v30, v5, vcc
	v_and_b32_e32 v31, 0x300, v51
	v_add_co_u32_e32 v4, vcc, v3, v31
	v_addc_co_u32_e32 v5, vcc, 0, v5, vcc
	s_load_dword s33, s[4:5], 0x98
	s_load_dword s2, s[4:5], 0x1c
	s_waitcnt lgkmcnt(0)
	s_barrier
	global_load_dwordx4 v[6:9], v[4:5], off
	s_waitcnt vmcnt(3)
	v_mad_i64_i32 v[2:3], s[10:11], v2, s45, 0
	v_lshlrev_b64 v[2:3], 1, v[2:3]
	v_add_co_u32_e32 v2, vcc, v29, v2
	v_addc_co_u32_e32 v3, vcc, v30, v3, vcc
	v_add_co_u32_e32 v2, vcc, v2, v31
	v_addc_co_u32_e32 v3, vcc, 0, v3, vcc
	global_load_dwordx4 v[22:25], v[2:3], off
	global_load_dwordx4 v[10:13], v[4:5], off offset:1024
	global_load_dwordx4 v[14:17], v[2:3], off offset:1024
	v_mul_lo_u16_e32 v2, 52, v52
	v_mov_b32_e32 v3, 5
	v_mul_lo_u16_sdwa v2, v2, v3 dst_sel:DWORD dst_unused:UNUSED_PAD src0_sel:BYTE_1 src1_sel:DWORD
	v_sub_u16_e32 v2, v52, v2
	v_lshlrev_b32_sdwa v2, v3, v2 dst_sel:DWORD dst_unused:UNUSED_PAD src0_sel:DWORD src1_sel:BYTE_0
	v_lshl_add_u32 v20, v1, 9, v2
	ds_read_b128 v[2:5], v20
	s_waitcnt vmcnt(5)
	v_mad_i64_i32 v[18:19], s[10:11], v18, s45, 0
	v_lshlrev_b64 v[26:27], 1, v[18:19]
	v_and_or_b32 v55, v0, 48, s16
	ds_read_b128 v[18:21], v20 offset:2048
	v_mov_b32_e32 v60, s19
	v_or_b32_e32 v48, 64, v55
	v_or_b32_e32 v49, 0x80, v55
	v_mov_b32_e32 v56, s18
	s_add_u32 s3, s14, s8
	s_addc_u32 s8, s15, s9
	s_mov_b32 s42, 0xff7fffff
	s_waitcnt vmcnt(2) lgkmcnt(1)
	v_mfma_f32_16x16x16bf16_1k v[36:39], v[22:23], v[2:3], 0
	v_mad_i64_i32 v[22:23], s[10:11], v28, s45, 0
	v_lshlrev_b64 v[44:45], 1, v[22:23]
	v_ashrrev_i32_e32 v22, 4, v55
	v_mov_b32_e32 v28, s18
	v_mfma_f32_16x16x16bf16_1k v[32:35], v[6:7], v[2:3], 0
	v_add_co_u32_e32 v6, vcc, v29, v26
	v_addc_co_u32_e32 v7, vcc, v30, v27, vcc
	v_add_co_u32_e32 v26, vcc, v6, v31
	v_addc_co_u32_e32 v27, vcc, 0, v7, vcc
	global_load_dwordx4 v[40:43], v[26:27], off
	v_mfma_f32_16x16x16bf16_1k v[6:9], v[8:9], v[4:5], v[32:35]
	v_cmp_gt_i32_e32 vcc, s40, v55
	v_cndmask_b32_e32 v46, v60, v22, vcc
	v_ashrrev_i32_e32 v47, 31, v46
	v_cmp_gt_i32_e32 vcc, s40, v48
	s_nop 2
	global_load_dwordx4 v[32:35], v[26:27], off offset:1024
	v_mfma_f32_16x16x16bf16_1k v[22:25], v[24:25], v[4:5], v[36:39]
	v_lshlrev_b64 v[26:27], 2, v[46:47]
	s_nop 5
	v_ashrrev_i32_e32 v36, 4, v48
	v_cndmask_b32_e32 v48, v60, v36, vcc
	s_waitcnt vmcnt(3) lgkmcnt(0)
	v_mfma_f32_16x16x16bf16_1k v[6:9], v[10:11], v[18:19], v[6:9]
	v_add_co_u32_e32 v10, vcc, s17, v26
	v_addc_co_u32_e32 v11, vcc, v28, v27, vcc
	v_add_co_u32_e32 v26, vcc, v29, v44
	v_addc_co_u32_e32 v27, vcc, v30, v45, vcc
	s_waitcnt vmcnt(2)
	v_mfma_f32_16x16x16bf16_1k v[22:25], v[14:15], v[18:19], v[22:25]
	v_add_co_u32_e32 v14, vcc, v26, v31
	v_addc_co_u32_e32 v15, vcc, 0, v27, vcc
	global_load_dwordx4 v[26:29], v[14:15], off
	global_load_dword v44, v[10:11], off
	v_ashrrev_i32_e32 v37, 4, v49
	v_cmp_gt_i32_e32 vcc, s40, v49
	v_ashrrev_i32_e32 v49, 31, v48
	v_cndmask_b32_e32 v10, v60, v37, vcc
	v_mfma_f32_16x16x16bf16_1k v[36:39], v[12:13], v[20:21], v[6:9]
	v_ashrrev_i32_e32 v11, 31, v10
	v_mov_b32_e32 v12, s18
	s_nop 4
	v_lshlrev_b64 v[6:7], 2, v[48:49]
	v_add_co_u32_e32 v6, vcc, s17, v6
	v_addc_co_u32_e32 v7, vcc, v56, v7, vcc
	global_load_dwordx4 v[56:59], v[14:15], off offset:1024
	global_load_dword v45, v[6:7], off
	v_lshlrev_b64 v[6:7], 2, v[10:11]
	v_mov_b32_e32 v8, s18
	v_add_co_u32_e32 v10, vcc, s17, v6
	v_addc_co_u32_e32 v11, vcc, v8, v7, vcc
	s_waitcnt vmcnt(5)
	v_mfma_f32_16x16x16bf16_1k v[6:9], v[40:41], v[2:3], 0
	global_load_dword v40, v[10:11], off
	v_or_b32_e32 v10, 0xc0, v55
	v_ashrrev_i32_e32 v11, 4, v10
	v_cmp_gt_i32_e32 vcc, s40, v10
	v_cndmask_b32_e32 v10, v60, v11, vcc
	v_ashrrev_i32_e32 v11, 31, v10
	v_lshlrev_b64 v[10:11], 2, v[10:11]
	v_mfma_f32_16x16x16bf16_1k v[6:9], v[42:43], v[4:5], v[6:9]
	v_add_co_u32_e32 v10, vcc, s17, v10
	v_addc_co_u32_e32 v11, vcc, v12, v11, vcc
	global_load_dword v60, v[10:11], off
	v_lshlrev_b32_e32 v55, 5, v52
	v_lshl_or_b32 v10, v53, 9, v55
	s_waitcnt vmcnt(6)
	v_mfma_f32_16x16x16bf16_1k v[6:9], v[32:33], v[18:19], v[6:9]
	v_mov_b32_e32 v11, s8
	v_add_co_u32_e32 v61, vcc, s3, v10
	v_addc_co_u32_e32 v62, vcc, 0, v11, vcc
	v_pk_mul_f32 v[46:47], s[2:3], v[38:39] op_sel_hi:[0,1]
	v_mfma_f32_16x16x16bf16_1k v[30:33], v[34:35], v[20:21], v[6:9]
	s_waitcnt vmcnt(1)
	v_mad_i64_i32 v[34:35], s[8:9], v40, s45, 0
	s_nop 4
	v_mad_i64_i32 v[6:7], s[8:9], v44, s45, 0
	v_lshlrev_b64 v[10:11], 1, v[6:7]
	v_mfma_f32_16x16x16bf16_1k v[6:9], v[26:27], v[2:3], 0
	v_add_co_u32_e32 v2, vcc, v61, v10
	v_addc_co_u32_e32 v3, vcc, v62, v11, vcc
	v_lshlrev_b64 v[34:35], 1, v[34:35]
	v_pk_mul_f32 v[42:43], s[2:3], v[30:31] op_sel_hi:[0,1]
	v_mfma_f32_16x16x16bf16_1k v[26:29], v[28:29], v[4:5], v[6:9]
	v_mfma_f32_16x16x16bf16_1k v[22:25], v[16:17], v[20:21], v[22:25]
	global_load_dwordx4 v[14:17], v[2:3], off
	global_load_dwordx4 v[10:13], v[2:3], off offset:16
	v_mad_i64_i32 v[2:3], s[8:9], v45, s45, 0
	v_lshlrev_b64 v[2:3], 1, v[2:3]
	v_add_co_u32_e32 v2, vcc, v61, v2
	v_addc_co_u32_e32 v3, vcc, v62, v3, vcc
	v_mfma_f32_16x16x16bf16_1k v[26:29], v[56:57], v[18:19], v[26:29]
	s_nop 3
	v_pk_mul_f32 v[38:39], s[2:3], v[22:23] op_sel_hi:[0,1]
	v_add_co_u32_e32 v56, vcc, v61, v34
	v_addc_co_u32_e32 v57, vcc, v62, v35, vcc
	v_pk_mul_f32 v[18:19], s[2:3], v[36:37] op_sel_hi:[0,1]
	v_pk_mul_f32 v[48:49], s[2:3], v[24:25] op_sel_hi:[0,1]
	v_mfma_f32_16x16x16bf16_1k v[20:23], v[58:59], v[20:21], v[26:29]
	v_pk_mul_f32 v[44:45], s[2:3], v[32:33] op_sel_hi:[0,1]
	global_load_dwordx4 v[6:9], v[2:3], off
	s_nop 0
	global_load_dwordx4 v[2:5], v[2:3], off offset:16
	s_nop 6
	v_pk_mul_f32 v[40:41], s[2:3], v[20:21] op_sel_hi:[0,1]
	v_and_b32_e32 v20, 0xc0, v0
	v_add_u32_e32 v20, s16, v20
	v_lshl_or_b32 v20, v1, 2, v20
	v_pk_mul_f32 v[34:35], s[2:3], v[22:23] op_sel_hi:[0,1]
	v_or_b32_e32 v23, 1, v20
	v_mov_b32_e32 v21, 0xff7fffff
	v_cmp_gt_i32_e64 s[30:31], s40, v20
	v_cmp_gt_i32_e64 s[34:35], s40, v23
	v_cndmask_b32_e64 v22, v21, v18, s[30:31]
	v_cndmask_b32_e64 v23, v21, v19, s[34:35]
	v_max3_f32 v22, v22, s42, v23
	v_or_b32_e32 v23, 2, v20
	v_or_b32_e32 v24, 3, v20
	v_cmp_gt_i32_e64 s[36:37], s40, v23
	v_cmp_gt_i32_e64 s[38:39], s40, v24
	v_cndmask_b32_e64 v23, v21, v46, s[36:37]
	v_cndmask_b32_e64 v24, v21, v47, s[38:39]
	v_max3_f32 v22, v22, v23, v24
	v_or_b32_e32 v23, 16, v20
	v_or_b32_e32 v24, 17, v20
	;; [unrolled: 7-line block ×7, first 2 shown]
	v_cmp_gt_i32_e32 vcc, s40, v23
	v_cmp_gt_i32_e64 s[2:3], s40, v20
	v_cndmask_b32_e32 v23, v21, v34, vcc
	v_cndmask_b32_e64 v20, v21, v35, s[2:3]
	v_max3_f32 v26, v22, v23, v20
	v_mbcnt_lo_u32_b32 v20, -1, 0
	v_mbcnt_hi_u32_b32 v27, -1, v20
	v_and_b32_e32 v20, 64, v27
	v_add_u32_e32 v28, 64, v20
	v_xor_b32_e32 v20, 32, v27
	v_cmp_lt_i32_e64 s[40:41], v20, v28
	v_cndmask_b32_e64 v20, v27, v20, s[40:41]
	v_lshlrev_b32_e32 v58, 2, v20
	ds_bpermute_b32 v29, v58, v26
	s_waitcnt vmcnt(4)
	v_mad_i64_i32 v[20:21], s[40:41], v60, s45, 0
	global_load_dwordx4 v[30:33], v[56:57], off
	global_load_dwordx4 v[22:25], v[56:57], off offset:16
	v_lshlrev_b64 v[20:21], 1, v[20:21]
	s_waitcnt lgkmcnt(0)
	v_max_f32_e32 v29, v29, v29
	v_max_f32_e32 v26, v26, v29
	v_xor_b32_e32 v29, 16, v27
	v_cmp_lt_i32_e64 s[40:41], v29, v28
	v_cndmask_b32_e64 v27, v27, v29, s[40:41]
	v_lshlrev_b32_e32 v57, 2, v27
	ds_bpermute_b32 v27, v57, v26
	v_add_co_u32_e64 v20, s[40:41], v61, v20
	v_addc_co_u32_e64 v21, s[40:41], v62, v21, s[40:41]
	s_waitcnt lgkmcnt(0)
	v_max_f32_e32 v27, v27, v27
	v_max_f32_e32 v56, v26, v27
	v_sub_f32_e32 v18, v18, v56
	v_mul_f32_e32 v18, 0x3fb8aa3b, v18
	v_exp_f32_e32 v36, v18
	v_sub_f32_e32 v18, v19, v56
	v_mul_f32_e32 v18, 0x3fb8aa3b, v18
	v_exp_f32_e32 v37, v18
	global_load_dwordx4 v[26:29], v[20:21], off
	s_nop 0
	global_load_dwordx4 v[18:21], v[20:21], off offset:16
	v_sub_f32_e32 v46, v46, v56
	v_mul_f32_e32 v46, 0x3fb8aa3b, v46
	v_sub_f32_e32 v47, v47, v56
	v_exp_f32_e32 v46, v46
	v_mul_f32_e32 v47, 0x3fb8aa3b, v47
	v_sub_f32_e32 v38, v38, v56
	v_exp_f32_e32 v47, v47
	v_mul_f32_e32 v38, 0x3fb8aa3b, v38
	v_sub_f32_e32 v39, v39, v56
	v_cndmask_b32_e64 v36, 0, v36, s[30:31]
	v_exp_f32_e32 v38, v38
	v_mul_f32_e32 v39, 0x3fb8aa3b, v39
	v_sub_f32_e32 v48, v48, v56
	v_add_f32_e32 v59, 0, v36
	v_cndmask_b32_e64 v37, 0, v37, s[34:35]
	v_exp_f32_e32 v39, v39
	v_mul_f32_e32 v48, 0x3fb8aa3b, v48
	v_sub_f32_e32 v49, v49, v56
	v_add_f32_e32 v59, v59, v37
	;; [unrolled: 5-line block ×10, first 2 shown]
	v_cndmask_b32_e64 v44, 0, v44, s[12:13]
	v_exp_f32_e32 v34, v34
	v_mul_f32_e32 v35, 0x3fb8aa3b, v35
	v_add_f32_e32 v59, v59, v44
	v_cndmask_b32_e64 v45, 0, v45, s[14:15]
	v_exp_f32_e32 v35, v35
	v_add_f32_e32 v59, v59, v45
	v_cndmask_b32_e64 v40, 0, v40, s[8:9]
	v_add_f32_e32 v59, v59, v40
	v_cndmask_b32_e64 v41, 0, v41, s[10:11]
	v_add_f32_e32 v59, v59, v41
	v_cndmask_b32_e32 v34, 0, v34, vcc
	v_add_f32_e32 v59, v59, v34
	v_cndmask_b32_e64 v35, 0, v35, s[2:3]
	v_add_f32_e32 v59, v59, v35
	ds_bpermute_b32 v58, v58, v59
	v_cmp_gt_u32_e64 s[2:3], 16, v54
	s_waitcnt lgkmcnt(0)
	s_barrier
	v_add_f32_e32 v58, v59, v58
	ds_bpermute_b32 v59, v57, v58
	v_lshlrev_b32_e32 v57, 2, v52
	s_and_saveexec_b64 s[8:9], s[2:3]
	s_cbranch_execz .LBB232_13
; %bb.12:
	s_waitcnt lgkmcnt(0)
	v_add_f32_e32 v54, v58, v59
	v_lshl_or_b32 v58, v53, 6, v57
	ds_write2st64_b32 v58, v56, v54 offset1:1
.LBB232_13:
	s_or_b64 exec, exec, s[8:9]
	s_load_dword s10, s[4:5], 0x94
	s_waitcnt lgkmcnt(0)
	s_barrier
	ds_read2_b32 v[58:59], v57 offset1:16
	ds_read2_b32 v[60:61], v57 offset0:32 offset1:48
	ds_read2_b32 v[62:63], v57 offset0:64 offset1:80
	s_movk_i32 s12, 0x7fff
	s_mov_b32 s13, 0x7060302
	s_waitcnt lgkmcnt(2)
	v_max3_f32 v54, v58, s42, v59
	s_waitcnt lgkmcnt(1)
	v_max3_f32 v54, v54, v60, v61
	v_sub_f32_e32 v56, v58, v54
	v_mul_f32_e32 v56, 0x3fb8aa3b, v56
	v_exp_f32_e32 v64, v56
	v_sub_f32_e32 v56, v59, v54
	v_mul_f32_e32 v56, 0x3fb8aa3b, v56
	v_exp_f32_e32 v65, v56
	;; [unrolled: 3-line block ×3, first 2 shown]
	ds_read2_b32 v[58:59], v57 offset0:96 offset1:112
	v_sub_f32_e32 v56, v61, v54
	v_mul_f32_e32 v56, 0x3fb8aa3b, v56
	v_exp_f32_e32 v57, v56
	s_waitcnt lgkmcnt(1)
	v_fma_f32 v56, v64, v62, 0
	v_fmac_f32_e32 v56, v65, v63
	s_waitcnt lgkmcnt(0)
	v_fmac_f32_e32 v56, v60, v58
	v_fmac_f32_e32 v56, v57, v59
	v_add_f32_e32 v58, 0x358637bd, v56
	v_div_scale_f32 v59, s[8:9], v58, v58, 1.0
	v_rcp_f32_e32 v61, v59
	s_barrier
	v_fma_f32 v62, -v59, v61, 1.0
	v_fmac_f32_e32 v61, v62, v61
	v_div_scale_f32 v62, vcc, 1.0, v58, 1.0
	v_mul_f32_e32 v63, v62, v61
	v_fma_f32 v66, -v59, v63, v62
	v_fmac_f32_e32 v63, v66, v61
	v_fma_f32 v59, -v59, v63, v62
	v_div_fmas_f32 v59, v59, v61, v63
	v_cmp_eq_u32_e32 vcc, 1, v53
	v_div_fixup_f32 v58, v59, v58, 1.0
	v_cndmask_b32_e32 v59, v64, v65, vcc
	v_cmp_eq_u32_e32 vcc, 2, v53
	v_cndmask_b32_e32 v59, v59, v60, vcc
	v_cmp_eq_u32_e32 vcc, 3, v53
	v_cndmask_b32_e32 v57, v59, v57, vcc
	v_mul_f32_e32 v58, v57, v58
	v_pk_mul_f32 v[36:37], v[58:59], v[36:37] op_sel_hi:[0,1]
	v_pk_mul_f32 v[46:47], v[58:59], v[46:47] op_sel_hi:[0,1]
	v_bfe_u32 v57, v37, 16, 1
	v_bfe_u32 v59, v36, 16, 1
	v_add3_u32 v36, v36, v59, s12
	v_add3_u32 v37, v37, v57, s12
	v_perm_b32 v60, v37, v36, s13
	v_bfe_u32 v36, v47, 16, 1
	v_bfe_u32 v37, v46, 16, 1
	v_add3_u32 v37, v46, v37, s12
	v_add3_u32 v36, v47, v36, s12
	v_perm_b32 v61, v36, v37, s13
	v_lshlrev_b32_e32 v36, 3, v1
	v_lshlrev_b32_e32 v37, 11, v53
	v_pk_mul_f32 v[38:39], v[58:59], v[38:39] op_sel_hi:[0,1]
	v_or3_b32 v36, v37, v55, v36
	v_pk_mul_f32 v[46:47], v[58:59], v[48:49] op_sel_hi:[0,1]
	v_bfe_u32 v37, v39, 16, 1
	v_bfe_u32 v48, v38, 16, 1
	v_add3_u32 v38, v38, v48, s12
	v_add3_u32 v37, v39, v37, s12
	v_perm_b32 v38, v37, v38, s13
	v_bfe_u32 v37, v47, 16, 1
	v_bfe_u32 v39, v46, 16, 1
	v_add3_u32 v39, v46, v39, s12
	v_add3_u32 v37, v47, v37, s12
	v_perm_b32 v39, v37, v39, s13
	v_pk_mul_f32 v[42:43], v[58:59], v[42:43] op_sel_hi:[0,1]
	ds_write2st64_b64 v36, v[60:61], v[38:39] offset1:1
	v_pk_mul_f32 v[38:39], v[58:59], v[44:45] op_sel_hi:[0,1]
	v_bfe_u32 v37, v43, 16, 1
	v_bfe_u32 v44, v42, 16, 1
	v_add3_u32 v42, v42, v44, s12
	v_add3_u32 v37, v43, v37, s12
	v_perm_b32 v42, v37, v42, s13
	v_bfe_u32 v37, v39, 16, 1
	v_bfe_u32 v43, v38, 16, 1
	v_add3_u32 v38, v38, v43, s12
	v_add3_u32 v37, v39, v37, s12
	v_perm_b32 v43, v37, v38, s13
	v_pk_mul_f32 v[38:39], v[58:59], v[40:41] op_sel_hi:[0,1]
	v_bfe_u32 v37, v39, 16, 1
	v_bfe_u32 v40, v38, 16, 1
	v_pk_mul_f32 v[34:35], v[58:59], v[34:35] op_sel_hi:[0,1]
	v_add3_u32 v38, v38, v40, s12
	v_add3_u32 v37, v39, v37, s12
	v_perm_b32 v38, v37, v38, s13
	v_bfe_u32 v37, v35, 16, 1
	v_bfe_u32 v39, v34, 16, 1
	v_add3_u32 v34, v34, v39, s12
	v_add3_u32 v35, v35, v37, s12
	s_mul_i32 s11, s33, 5
	v_perm_b32 v39, v35, v34, s13
	v_cmp_gt_u32_e32 vcc, 5, v0
	ds_write2st64_b64 v36, v[42:43], v[38:39] offset0:2 offset1:3
	s_and_saveexec_b64 s[8:9], vcc
	s_cbranch_execz .LBB232_15
; %bb.14:
	v_add_co_u32_e32 v38, vcc, s29, v52
	v_addc_co_u32_e64 v39, s[14:15], 0, 0, vcc
	v_mov_b32_e32 v34, s11
	v_mov_b32_e32 v35, 0
	v_mad_u64_u32 v[38:39], s[14:15], s6, v34, v[38:39]
	v_mov_b32_e32 v34, s28
	s_load_dwordx4 s[16:19], s[4:5], 0x58
	s_mul_i32 s7, s7, s11
	v_mad_u64_u32 v[34:35], s[14:15], v38, s10, v[34:35]
	v_add_u32_e32 v37, s7, v39
	v_mov_b32_e32 v38, v35
	v_mad_u64_u32 v[38:39], s[14:15], v37, s10, v[38:39]
	v_mov_b32_e32 v35, v38
	v_lshlrev_b64 v[34:35], 2, v[34:35]
	s_waitcnt lgkmcnt(0)
	v_mov_b32_e32 v37, s19
	v_add_co_u32_e32 v38, vcc, s18, v34
	v_addc_co_u32_e32 v39, vcc, v37, v35, vcc
	v_mov_b32_e32 v37, s17
	v_add_co_u32_e32 v34, vcc, s16, v34
	v_addc_co_u32_e32 v35, vcc, v37, v35, vcc
	global_store_dword v[38:39], v54, off
	global_store_dword v[34:35], v56, off
.LBB232_15:
	s_or_b64 exec, exec, s[8:9]
	v_lshl_or_b32 v34, v1, 9, v55
	s_waitcnt lgkmcnt(0)
	s_barrier
	ds_read_b128 v[38:41], v34
	ds_read_b128 v[42:45], v34 offset:16
	s_waitcnt vmcnt(7) lgkmcnt(1)
	v_mfma_f32_16x16x16bf16_1k v[46:49], v[14:15], v[38:39], 0
	v_cmp_gt_u32_e32 vcc, 64, v0
	s_mov_b32 s7, 0
	s_and_b64 s[0:1], vcc, s[0:1]
	v_mfma_f32_16x16x16bf16_1k v[14:17], v[16:17], v[40:41], v[46:49]
	s_waitcnt vmcnt(6) lgkmcnt(0)
	v_mfma_f32_16x16x16bf16_1k v[14:17], v[10:11], v[42:43], v[14:17]
	v_mfma_f32_16x16x16bf16_1k v[10:13], v[12:13], v[44:45], v[14:17]
	s_nop 7
	s_nop 1
	ds_read_b128 v[14:17], v34 offset:2048
	ds_read_b128 v[38:41], v34 offset:2064
	s_waitcnt vmcnt(5) lgkmcnt(1)
	v_mfma_f32_16x16x16bf16_1k v[10:13], v[6:7], v[14:15], v[10:13]
	v_mfma_f32_16x16x16bf16_1k v[6:9], v[8:9], v[16:17], v[10:13]
	s_waitcnt vmcnt(4) lgkmcnt(0)
	v_mfma_f32_16x16x16bf16_1k v[6:9], v[2:3], v[38:39], v[6:9]
	v_mfma_f32_16x16x16bf16_1k v[2:5], v[4:5], v[40:41], v[6:9]
	s_nop 7
	s_nop 1
	ds_read_b128 v[6:9], v34 offset:4096
	ds_read_b128 v[10:13], v34 offset:4112
	s_waitcnt vmcnt(3) lgkmcnt(1)
	v_mfma_f32_16x16x16bf16_1k v[2:5], v[30:31], v[6:7], v[2:5]
	v_mfma_f32_16x16x16bf16_1k v[2:5], v[32:33], v[8:9], v[2:5]
	s_waitcnt vmcnt(2) lgkmcnt(0)
	v_mfma_f32_16x16x16bf16_1k v[2:5], v[22:23], v[10:11], v[2:5]
	v_mfma_f32_16x16x16bf16_1k v[2:5], v[24:25], v[12:13], v[2:5]
	ds_read_b128 v[6:9], v34 offset:6144
	ds_read_b128 v[10:13], v34 offset:6160
	s_waitcnt lgkmcnt(0)
	s_barrier
	s_waitcnt vmcnt(1)
	v_mfma_f32_16x16x16bf16_1k v[2:5], v[26:27], v[6:7], v[2:5]
	v_mfma_f32_16x16x16bf16_1k v[2:5], v[28:29], v[8:9], v[2:5]
	s_waitcnt vmcnt(0)
	v_mfma_f32_16x16x16bf16_1k v[2:5], v[18:19], v[10:11], v[2:5]
	v_mfma_f32_16x16x16bf16_1k v[2:5], v[20:21], v[12:13], v[2:5]
	s_nop 7
	s_nop 2
	v_bfe_u32 v6, v3, 16, 1
	v_bfe_u32 v7, v2, 16, 1
	;; [unrolled: 1-line block ×4, first 2 shown]
	v_add3_u32 v2, v2, v7, s12
	v_add3_u32 v3, v3, v6, s12
	v_add3_u32 v4, v4, v9, s12
	v_add3_u32 v5, v5, v8, s12
	v_perm_b32 v2, v3, v2, s13
	v_perm_b32 v3, v5, v4, s13
	ds_write_b64 v36, v[2:3]
	s_waitcnt lgkmcnt(0)
	s_barrier
	s_and_saveexec_b64 s[8:9], s[0:1]
	s_cbranch_execz .LBB232_18
; %bb.16:
	s_load_dwordx2 s[4:5], s[4:5], 0x68
	s_lshl_b32 s0, s10, 6
	s_mul_i32 s1, s11, s6
	s_mul_hi_u32 s9, s1, s0
	s_mul_i32 s8, s1, s0
	s_lshl_b64 s[8:9], s[8:9], 1
	s_waitcnt lgkmcnt(0)
	s_add_u32 s1, s4, s8
	v_lshlrev_b32_e32 v0, 10, v0
	s_addc_u32 s8, s5, s9
	s_lshl_b32 s6, s28, 6
	v_and_b32_e32 v0, 0x1800, v0
	v_lshlrev_b32_e32 v2, 5, v1
	v_and_b32_e32 v3, 16, v51
	s_lshl_b64 s[4:5], s[6:7], 1
	v_or3_b32 v0, v0, v2, v3
	s_add_u32 s1, s1, s4
	s_addc_u32 s4, s8, s5
	ds_read_b128 v[4:7], v0
	v_add_u32_e32 v8, s29, v1
	v_mov_b32_e32 v3, s4
	v_add_co_u32_e32 v2, vcc, s1, v50
	v_mad_u64_u32 v[8:9], s[4:5], v8, s0, 0
	v_addc_co_u32_e32 v3, vcc, 0, v3, vcc
	v_lshlrev_b64 v[8:9], 1, v[8:9]
	v_add_co_u32_e32 v8, vcc, v2, v8
	v_addc_co_u32_e32 v9, vcc, v3, v9, vcc
	s_waitcnt lgkmcnt(0)
	global_store_dwordx4 v[8:9], v[4:7], off
	s_and_b64 exec, exec, s[2:3]
	s_cbranch_execz .LBB232_18
; %bb.17:
	ds_read_b128 v[4:7], v0 offset:128
	v_add3_u32 v0, s29, v1, 4
	v_mad_u64_u32 v[0:1], s[0:1], v0, s0, 0
	v_lshlrev_b64 v[0:1], 1, v[0:1]
	v_add_co_u32_e32 v0, vcc, v2, v0
	v_addc_co_u32_e32 v1, vcc, v3, v1, vcc
	s_waitcnt lgkmcnt(0)
	global_store_dwordx4 v[0:1], v[4:7], off
.LBB232_18:
	s_endpgm
	.section	.rodata,"a",@progbits
	.p2align	6, 0x0
	.amdhsa_kernel _Z39paged_attention_ll4mi_QKV_mfma16_kernelI14__hip_bfloat16S0_LN4vllm18Fp8KVCacheDataTypeE0ES0_Li16ELi64ELi256ELb0ELi5EL8MFMAType0EEvPKT_PKT0_S9_ifPKiSB_SB_iPKfiiiPfSE_PS4_PT2_iSD_SD_
		.amdhsa_group_segment_fixed_size 8192
		.amdhsa_private_segment_fixed_size 0
		.amdhsa_kernarg_size 400
		.amdhsa_user_sgpr_count 6
		.amdhsa_user_sgpr_private_segment_buffer 1
		.amdhsa_user_sgpr_dispatch_ptr 0
		.amdhsa_user_sgpr_queue_ptr 0
		.amdhsa_user_sgpr_kernarg_segment_ptr 1
		.amdhsa_user_sgpr_dispatch_id 0
		.amdhsa_user_sgpr_flat_scratch_init 0
		.amdhsa_user_sgpr_kernarg_preload_length 0
		.amdhsa_user_sgpr_kernarg_preload_offset 0
		.amdhsa_user_sgpr_private_segment_size 0
		.amdhsa_uses_dynamic_stack 0
		.amdhsa_system_sgpr_private_segment_wavefront_offset 0
		.amdhsa_system_sgpr_workgroup_id_x 1
		.amdhsa_system_sgpr_workgroup_id_y 1
		.amdhsa_system_sgpr_workgroup_id_z 1
		.amdhsa_system_sgpr_workgroup_info 0
		.amdhsa_system_vgpr_workitem_id 0
		.amdhsa_next_free_vgpr 67
		.amdhsa_next_free_sgpr 48
		.amdhsa_accum_offset 68
		.amdhsa_reserve_vcc 1
		.amdhsa_reserve_flat_scratch 0
		.amdhsa_float_round_mode_32 0
		.amdhsa_float_round_mode_16_64 0
		.amdhsa_float_denorm_mode_32 3
		.amdhsa_float_denorm_mode_16_64 3
		.amdhsa_dx10_clamp 1
		.amdhsa_ieee_mode 1
		.amdhsa_fp16_overflow 0
		.amdhsa_tg_split 0
		.amdhsa_exception_fp_ieee_invalid_op 0
		.amdhsa_exception_fp_denorm_src 0
		.amdhsa_exception_fp_ieee_div_zero 0
		.amdhsa_exception_fp_ieee_overflow 0
		.amdhsa_exception_fp_ieee_underflow 0
		.amdhsa_exception_fp_ieee_inexact 0
		.amdhsa_exception_int_div_zero 0
	.end_amdhsa_kernel
	.section	.text._Z39paged_attention_ll4mi_QKV_mfma16_kernelI14__hip_bfloat16S0_LN4vllm18Fp8KVCacheDataTypeE0ES0_Li16ELi64ELi256ELb0ELi5EL8MFMAType0EEvPKT_PKT0_S9_ifPKiSB_SB_iPKfiiiPfSE_PS4_PT2_iSD_SD_,"axG",@progbits,_Z39paged_attention_ll4mi_QKV_mfma16_kernelI14__hip_bfloat16S0_LN4vllm18Fp8KVCacheDataTypeE0ES0_Li16ELi64ELi256ELb0ELi5EL8MFMAType0EEvPKT_PKT0_S9_ifPKiSB_SB_iPKfiiiPfSE_PS4_PT2_iSD_SD_,comdat
.Lfunc_end232:
	.size	_Z39paged_attention_ll4mi_QKV_mfma16_kernelI14__hip_bfloat16S0_LN4vllm18Fp8KVCacheDataTypeE0ES0_Li16ELi64ELi256ELb0ELi5EL8MFMAType0EEvPKT_PKT0_S9_ifPKiSB_SB_iPKfiiiPfSE_PS4_PT2_iSD_SD_, .Lfunc_end232-_Z39paged_attention_ll4mi_QKV_mfma16_kernelI14__hip_bfloat16S0_LN4vllm18Fp8KVCacheDataTypeE0ES0_Li16ELi64ELi256ELb0ELi5EL8MFMAType0EEvPKT_PKT0_S9_ifPKiSB_SB_iPKfiiiPfSE_PS4_PT2_iSD_SD_
                                        ; -- End function
	.section	.AMDGPU.csdata,"",@progbits
; Kernel info:
; codeLenInByte = 4208
; NumSgprs: 52
; NumVgprs: 67
; NumAgprs: 0
; TotalNumVgprs: 67
; ScratchSize: 0
; MemoryBound: 0
; FloatMode: 240
; IeeeMode: 1
; LDSByteSize: 8192 bytes/workgroup (compile time only)
; SGPRBlocks: 6
; VGPRBlocks: 8
; NumSGPRsForWavesPerEU: 52
; NumVGPRsForWavesPerEU: 67
; AccumOffset: 68
; Occupancy: 7
; WaveLimiterHint : 1
; COMPUTE_PGM_RSRC2:SCRATCH_EN: 0
; COMPUTE_PGM_RSRC2:USER_SGPR: 6
; COMPUTE_PGM_RSRC2:TRAP_HANDLER: 0
; COMPUTE_PGM_RSRC2:TGID_X_EN: 1
; COMPUTE_PGM_RSRC2:TGID_Y_EN: 1
; COMPUTE_PGM_RSRC2:TGID_Z_EN: 1
; COMPUTE_PGM_RSRC2:TIDIG_COMP_CNT: 0
; COMPUTE_PGM_RSRC3_GFX90A:ACCUM_OFFSET: 16
; COMPUTE_PGM_RSRC3_GFX90A:TG_SPLIT: 0
	.section	.text._Z39paged_attention_ll4mi_QKV_mfma16_kernelI14__hip_bfloat16S0_LN4vllm18Fp8KVCacheDataTypeE0ES0_Li16ELi64ELi256ELb0ELi6EL8MFMAType0EEvPKT_PKT0_S9_ifPKiSB_SB_iPKfiiiPfSE_PS4_PT2_iSD_SD_,"axG",@progbits,_Z39paged_attention_ll4mi_QKV_mfma16_kernelI14__hip_bfloat16S0_LN4vllm18Fp8KVCacheDataTypeE0ES0_Li16ELi64ELi256ELb0ELi6EL8MFMAType0EEvPKT_PKT0_S9_ifPKiSB_SB_iPKfiiiPfSE_PS4_PT2_iSD_SD_,comdat
	.protected	_Z39paged_attention_ll4mi_QKV_mfma16_kernelI14__hip_bfloat16S0_LN4vllm18Fp8KVCacheDataTypeE0ES0_Li16ELi64ELi256ELb0ELi6EL8MFMAType0EEvPKT_PKT0_S9_ifPKiSB_SB_iPKfiiiPfSE_PS4_PT2_iSD_SD_ ; -- Begin function _Z39paged_attention_ll4mi_QKV_mfma16_kernelI14__hip_bfloat16S0_LN4vllm18Fp8KVCacheDataTypeE0ES0_Li16ELi64ELi256ELb0ELi6EL8MFMAType0EEvPKT_PKT0_S9_ifPKiSB_SB_iPKfiiiPfSE_PS4_PT2_iSD_SD_
	.globl	_Z39paged_attention_ll4mi_QKV_mfma16_kernelI14__hip_bfloat16S0_LN4vllm18Fp8KVCacheDataTypeE0ES0_Li16ELi64ELi256ELb0ELi6EL8MFMAType0EEvPKT_PKT0_S9_ifPKiSB_SB_iPKfiiiPfSE_PS4_PT2_iSD_SD_
	.p2align	8
	.type	_Z39paged_attention_ll4mi_QKV_mfma16_kernelI14__hip_bfloat16S0_LN4vllm18Fp8KVCacheDataTypeE0ES0_Li16ELi64ELi256ELb0ELi6EL8MFMAType0EEvPKT_PKT0_S9_ifPKiSB_SB_iPKfiiiPfSE_PS4_PT2_iSD_SD_,@function
_Z39paged_attention_ll4mi_QKV_mfma16_kernelI14__hip_bfloat16S0_LN4vllm18Fp8KVCacheDataTypeE0ES0_Li16ELi64ELi256ELb0ELi6EL8MFMAType0EEvPKT_PKT0_S9_ifPKiSB_SB_iPKfiiiPfSE_PS4_PT2_iSD_SD_: ; @_Z39paged_attention_ll4mi_QKV_mfma16_kernelI14__hip_bfloat16S0_LN4vllm18Fp8KVCacheDataTypeE0ES0_Li16ELi64ELi256ELb0ELi6EL8MFMAType0EEvPKT_PKT0_S9_ifPKiSB_SB_iPKfiiiPfSE_PS4_PT2_iSD_SD_
; %bb.0:
	s_load_dwordx2 s[0:1], s[4:5], 0x30
	s_mov_b32 s28, s7
	s_mov_b64 s[10:11], 0
	s_waitcnt lgkmcnt(0)
	s_cmp_lg_u64 s[0:1], 0
	s_cselect_b64 s[2:3], -1, 0
	s_and_b64 vcc, exec, s[2:3]
	s_cbranch_vccz .LBB233_7
; %bb.1:
	s_add_i32 s12, s6, 1
	s_mov_b32 s13, 0
	s_lshl_b64 s[14:15], s[12:13], 2
	s_add_u32 s14, s0, s14
	s_mov_b32 s7, s13
	s_addc_u32 s15, s1, s15
	s_lshl_b64 s[12:13], s[6:7], 2
	s_add_u32 s12, s0, s12
	s_addc_u32 s13, s1, s13
	s_load_dword s9, s[14:15], 0x0
	s_load_dword s16, s[12:13], 0x0
	s_waitcnt lgkmcnt(0)
	s_sub_i32 s9, s9, s16
	s_cmp_eq_u32 s9, 1
	s_cselect_b64 s[12:13], -1, 0
	s_andn2_b64 vcc, exec, s[10:11]
	s_cbranch_vccnz .LBB233_3
.LBB233_2:
	s_mov_b32 s7, 0
	s_mov_b64 s[12:13], -1
.LBB233_3:
	s_andn2_b64 vcc, exec, s[12:13]
	s_cbranch_vccnz .LBB233_18
; %bb.4:
	s_load_dwordx2 s[12:13], s[4:5], 0x28
	s_lshl_b64 s[10:11], s[6:7], 2
	s_waitcnt lgkmcnt(0)
	s_add_u32 s12, s12, s10
	s_addc_u32 s13, s13, s11
	s_load_dword s40, s[12:13], 0x0
	s_lshl_b32 s16, s28, 8
	s_waitcnt lgkmcnt(0)
	s_cmp_ge_i32 s16, s40
	s_cbranch_scc1 .LBB233_18
; %bb.5:
	s_add_i32 s14, s40, 15
	s_load_dwordx2 s[12:13], s[4:5], 0x20
	s_load_dword s9, s[4:5], 0x38
	s_ashr_i32 s15, s14, 31
	v_and_b32_e32 v1, 0xcf, v0
	s_lshr_b32 s15, s15, 28
	v_add_u32_e32 v1, s16, v1
	s_add_i32 s14, s14, s15
	v_ashrrev_i32_e32 v2, 31, v1
	s_ashr_i32 s19, s14, 4
	v_lshrrev_b32_e32 v10, 28, v2
	s_add_i32 s19, s19, -1
	v_add_u32_e32 v2, v1, v10
	s_waitcnt lgkmcnt(0)
	s_mul_i32 s14, s6, s9
	s_mov_b32 s15, 0
	v_ashrrev_i32_e32 v2, 4, v2
	v_mov_b32_e32 v11, s19
	v_cmp_gt_i32_e32 vcc, s40, v1
	s_lshl_b64 s[14:15], s[14:15], 2
	v_cndmask_b32_e32 v2, v11, v2, vcc
	s_add_u32 s17, s12, s14
	v_ashrrev_i32_e32 v3, 31, v2
	s_addc_u32 s18, s13, s15
	v_lshlrev_b64 v[2:3], 2, v[2:3]
	v_mov_b32_e32 v5, s18
	v_add_co_u32_e32 v4, vcc, s17, v2
	v_or_b32_e32 v2, 16, v1
	v_addc_co_u32_e32 v5, vcc, v5, v3, vcc
	v_add_u32_e32 v3, v2, v10
	v_ashrrev_i32_e32 v3, 4, v3
	v_cmp_gt_i32_e32 vcc, s40, v2
	v_cndmask_b32_e32 v2, v11, v3, vcc
	v_ashrrev_i32_e32 v3, 31, v2
	v_lshlrev_b64 v[2:3], 2, v[2:3]
	v_mov_b32_e32 v7, s18
	v_add_co_u32_e32 v6, vcc, s17, v2
	v_or_b32_e32 v2, 32, v1
	v_addc_co_u32_e32 v7, vcc, v7, v3, vcc
	v_add_u32_e32 v3, v2, v10
	v_ashrrev_i32_e32 v3, 4, v3
	v_cmp_gt_i32_e32 vcc, s40, v2
	v_cndmask_b32_e32 v2, v11, v3, vcc
	v_ashrrev_i32_e32 v3, 31, v2
	;; [unrolled: 10-line block ×3, first 2 shown]
	v_lshlrev_b64 v[2:3], 2, v[2:3]
	v_mov_b32_e32 v1, s18
	v_add_co_u32_e32 v10, vcc, s17, v2
	v_addc_co_u32_e32 v11, vcc, v1, v3, vcc
	global_load_dword v3, v[4:5], off
	global_load_dword v2, v[6:7], off
	;; [unrolled: 1-line block ×4, first 2 shown]
	s_load_dwordx4 s[12:15], s[4:5], 0x8
	s_andn2_b64 vcc, exec, s[2:3]
	s_cbranch_vccnz .LBB233_8
; %bb.6:
	s_add_u32 s0, s0, s10
	s_addc_u32 s1, s1, s11
	s_load_dword s9, s[0:1], 0x0
	s_branch .LBB233_9
.LBB233_7:
	s_mov_b64 s[12:13], 0
	s_branch .LBB233_2
.LBB233_8:
	s_mov_b32 s9, s6
.LBB233_9:
	s_load_dwordx4 s[44:47], s[4:5], 0x48
	v_lshrrev_b32_e32 v53, 6, v0
	v_bfe_u32 v1, v0, 4, 2
	v_lshl_or_b32 v4, v53, 2, v1
	v_and_b32_e32 v52, 15, v0
	v_lshlrev_b32_e32 v5, 3, v52
	v_cmp_gt_u32_e32 vcc, 6, v4
	v_cmp_gt_u32_e64 s[0:1], 8, v52
	v_and_b32_e32 v54, 63, v0
	s_mul_i32 s29, s8, 6
	s_and_b64 s[10:11], s[0:1], vcc
	v_lshlrev_b32_e32 v50, 1, v5
	s_and_saveexec_b64 s[2:3], s[10:11]
	s_cbranch_execz .LBB233_11
; %bb.10:
	s_load_dwordx2 s[10:11], s[4:5], 0x0
	s_waitcnt lgkmcnt(0)
	s_ashr_i32 s20, s44, 31
	s_mul_hi_u32 s21, s9, s44
	s_mul_i32 s20, s9, s20
	s_add_i32 s21, s21, s20
	s_mul_i32 s20, s9, s44
	s_lshl_b64 s[20:21], s[20:21], 1
	v_add_lshl_u32 v6, v4, s29, 6
	s_add_u32 s9, s10, s20
	v_ashrrev_i32_e32 v7, 31, v6
	s_addc_u32 s10, s11, s21
	v_lshlrev_b64 v[6:7], 1, v[6:7]
	v_mov_b32_e32 v5, s10
	v_add_co_u32_e32 v6, vcc, s9, v6
	v_addc_co_u32_e32 v5, vcc, v5, v7, vcc
	v_add_co_u32_e32 v6, vcc, v6, v50
	v_addc_co_u32_e32 v7, vcc, 0, v5, vcc
	global_load_dwordx4 v[6:9], v[6:7], off
	v_and_b32_e32 v5, 3, v0
	v_lshlrev_b32_e32 v10, 9, v52
	v_lshlrev_b32_e32 v4, 5, v4
	;; [unrolled: 1-line block ×3, first 2 shown]
	v_and_b32_e32 v10, 0x1800, v10
	v_or3_b32 v4, v10, v5, v4
	s_waitcnt vmcnt(0)
	ds_write_b128 v4, v[6:9]
.LBB233_11:
	s_or_b64 exec, exec, s[2:3]
	s_waitcnt lgkmcnt(0)
	s_mul_i32 s8, s8, s46
	s_mov_b32 s9, 0
	s_lshl_b64 s[8:9], s[8:9], 1
	s_add_u32 s3, s12, s8
	v_lshlrev_b32_e32 v51, 4, v0
	s_addc_u32 s10, s13, s9
	v_and_b32_e32 v4, 0xf0, v51
	v_mov_b32_e32 v5, s10
	v_add_co_u32_e32 v29, vcc, s3, v4
	v_addc_co_u32_e32 v30, vcc, 0, v5, vcc
	s_waitcnt vmcnt(3)
	v_mad_i64_i32 v[4:5], s[10:11], v3, s45, 0
	v_lshlrev_b64 v[4:5], 1, v[4:5]
	v_add_co_u32_e32 v3, vcc, v29, v4
	v_addc_co_u32_e32 v5, vcc, v30, v5, vcc
	v_and_b32_e32 v31, 0x300, v51
	v_add_co_u32_e32 v4, vcc, v3, v31
	v_addc_co_u32_e32 v5, vcc, 0, v5, vcc
	s_load_dword s33, s[4:5], 0x98
	s_load_dword s2, s[4:5], 0x1c
	s_waitcnt lgkmcnt(0)
	s_barrier
	global_load_dwordx4 v[6:9], v[4:5], off
	s_waitcnt vmcnt(3)
	v_mad_i64_i32 v[2:3], s[10:11], v2, s45, 0
	v_lshlrev_b64 v[2:3], 1, v[2:3]
	v_add_co_u32_e32 v2, vcc, v29, v2
	v_addc_co_u32_e32 v3, vcc, v30, v3, vcc
	v_add_co_u32_e32 v2, vcc, v2, v31
	v_addc_co_u32_e32 v3, vcc, 0, v3, vcc
	global_load_dwordx4 v[22:25], v[2:3], off
	global_load_dwordx4 v[10:13], v[4:5], off offset:1024
	global_load_dwordx4 v[14:17], v[2:3], off offset:1024
	v_mul_lo_u16_e32 v2, 43, v52
	v_mov_b32_e32 v3, 6
	v_mul_lo_u16_sdwa v2, v2, v3 dst_sel:DWORD dst_unused:UNUSED_PAD src0_sel:BYTE_1 src1_sel:DWORD
	v_mov_b32_e32 v4, 5
	v_sub_u16_e32 v2, v52, v2
	v_lshlrev_b32_sdwa v2, v4, v2 dst_sel:DWORD dst_unused:UNUSED_PAD src0_sel:DWORD src1_sel:BYTE_0
	v_lshl_add_u32 v20, v1, 9, v2
	ds_read_b128 v[2:5], v20
	s_waitcnt vmcnt(5)
	v_mad_i64_i32 v[18:19], s[10:11], v18, s45, 0
	v_lshlrev_b64 v[26:27], 1, v[18:19]
	v_and_or_b32 v55, v0, 48, s16
	ds_read_b128 v[18:21], v20 offset:2048
	v_mov_b32_e32 v60, s19
	v_or_b32_e32 v48, 64, v55
	v_or_b32_e32 v49, 0x80, v55
	v_mov_b32_e32 v56, s18
	s_add_u32 s3, s14, s8
	s_addc_u32 s8, s15, s9
	s_mov_b32 s42, 0xff7fffff
	s_waitcnt vmcnt(2) lgkmcnt(1)
	v_mfma_f32_16x16x16bf16_1k v[36:39], v[22:23], v[2:3], 0
	v_mad_i64_i32 v[22:23], s[10:11], v28, s45, 0
	v_lshlrev_b64 v[44:45], 1, v[22:23]
	v_ashrrev_i32_e32 v22, 4, v55
	v_mov_b32_e32 v28, s18
	v_mfma_f32_16x16x16bf16_1k v[32:35], v[6:7], v[2:3], 0
	v_add_co_u32_e32 v6, vcc, v29, v26
	v_addc_co_u32_e32 v7, vcc, v30, v27, vcc
	v_add_co_u32_e32 v26, vcc, v6, v31
	v_addc_co_u32_e32 v27, vcc, 0, v7, vcc
	global_load_dwordx4 v[40:43], v[26:27], off
	v_mfma_f32_16x16x16bf16_1k v[6:9], v[8:9], v[4:5], v[32:35]
	v_cmp_gt_i32_e32 vcc, s40, v55
	v_cndmask_b32_e32 v46, v60, v22, vcc
	v_ashrrev_i32_e32 v47, 31, v46
	v_cmp_gt_i32_e32 vcc, s40, v48
	s_nop 2
	global_load_dwordx4 v[32:35], v[26:27], off offset:1024
	v_mfma_f32_16x16x16bf16_1k v[22:25], v[24:25], v[4:5], v[36:39]
	v_lshlrev_b64 v[26:27], 2, v[46:47]
	s_nop 5
	v_ashrrev_i32_e32 v36, 4, v48
	v_cndmask_b32_e32 v48, v60, v36, vcc
	s_waitcnt vmcnt(3) lgkmcnt(0)
	v_mfma_f32_16x16x16bf16_1k v[6:9], v[10:11], v[18:19], v[6:9]
	v_add_co_u32_e32 v10, vcc, s17, v26
	v_addc_co_u32_e32 v11, vcc, v28, v27, vcc
	v_add_co_u32_e32 v26, vcc, v29, v44
	v_addc_co_u32_e32 v27, vcc, v30, v45, vcc
	s_waitcnt vmcnt(2)
	v_mfma_f32_16x16x16bf16_1k v[22:25], v[14:15], v[18:19], v[22:25]
	v_add_co_u32_e32 v14, vcc, v26, v31
	v_addc_co_u32_e32 v15, vcc, 0, v27, vcc
	global_load_dwordx4 v[26:29], v[14:15], off
	global_load_dword v44, v[10:11], off
	v_ashrrev_i32_e32 v37, 4, v49
	v_cmp_gt_i32_e32 vcc, s40, v49
	v_ashrrev_i32_e32 v49, 31, v48
	v_cndmask_b32_e32 v10, v60, v37, vcc
	v_mfma_f32_16x16x16bf16_1k v[36:39], v[12:13], v[20:21], v[6:9]
	v_ashrrev_i32_e32 v11, 31, v10
	v_mov_b32_e32 v12, s18
	s_nop 4
	v_lshlrev_b64 v[6:7], 2, v[48:49]
	v_add_co_u32_e32 v6, vcc, s17, v6
	v_addc_co_u32_e32 v7, vcc, v56, v7, vcc
	global_load_dwordx4 v[56:59], v[14:15], off offset:1024
	global_load_dword v45, v[6:7], off
	v_lshlrev_b64 v[6:7], 2, v[10:11]
	v_mov_b32_e32 v8, s18
	v_add_co_u32_e32 v10, vcc, s17, v6
	v_addc_co_u32_e32 v11, vcc, v8, v7, vcc
	s_waitcnt vmcnt(5)
	v_mfma_f32_16x16x16bf16_1k v[6:9], v[40:41], v[2:3], 0
	global_load_dword v40, v[10:11], off
	v_or_b32_e32 v10, 0xc0, v55
	v_ashrrev_i32_e32 v11, 4, v10
	v_cmp_gt_i32_e32 vcc, s40, v10
	v_cndmask_b32_e32 v10, v60, v11, vcc
	v_ashrrev_i32_e32 v11, 31, v10
	v_lshlrev_b64 v[10:11], 2, v[10:11]
	v_mfma_f32_16x16x16bf16_1k v[6:9], v[42:43], v[4:5], v[6:9]
	v_add_co_u32_e32 v10, vcc, s17, v10
	v_addc_co_u32_e32 v11, vcc, v12, v11, vcc
	global_load_dword v60, v[10:11], off
	v_lshlrev_b32_e32 v55, 5, v52
	v_lshl_or_b32 v10, v53, 9, v55
	s_waitcnt vmcnt(6)
	v_mfma_f32_16x16x16bf16_1k v[6:9], v[32:33], v[18:19], v[6:9]
	v_mov_b32_e32 v11, s8
	v_add_co_u32_e32 v61, vcc, s3, v10
	v_addc_co_u32_e32 v62, vcc, 0, v11, vcc
	v_pk_mul_f32 v[46:47], s[2:3], v[38:39] op_sel_hi:[0,1]
	v_mfma_f32_16x16x16bf16_1k v[30:33], v[34:35], v[20:21], v[6:9]
	s_waitcnt vmcnt(1)
	v_mad_i64_i32 v[34:35], s[8:9], v40, s45, 0
	s_nop 4
	v_mad_i64_i32 v[6:7], s[8:9], v44, s45, 0
	v_lshlrev_b64 v[10:11], 1, v[6:7]
	v_mfma_f32_16x16x16bf16_1k v[6:9], v[26:27], v[2:3], 0
	v_add_co_u32_e32 v2, vcc, v61, v10
	v_addc_co_u32_e32 v3, vcc, v62, v11, vcc
	v_lshlrev_b64 v[34:35], 1, v[34:35]
	v_pk_mul_f32 v[42:43], s[2:3], v[30:31] op_sel_hi:[0,1]
	v_mfma_f32_16x16x16bf16_1k v[26:29], v[28:29], v[4:5], v[6:9]
	v_mfma_f32_16x16x16bf16_1k v[22:25], v[16:17], v[20:21], v[22:25]
	global_load_dwordx4 v[14:17], v[2:3], off
	global_load_dwordx4 v[10:13], v[2:3], off offset:16
	v_mad_i64_i32 v[2:3], s[8:9], v45, s45, 0
	v_lshlrev_b64 v[2:3], 1, v[2:3]
	v_add_co_u32_e32 v2, vcc, v61, v2
	v_addc_co_u32_e32 v3, vcc, v62, v3, vcc
	v_mfma_f32_16x16x16bf16_1k v[26:29], v[56:57], v[18:19], v[26:29]
	s_nop 3
	v_pk_mul_f32 v[38:39], s[2:3], v[22:23] op_sel_hi:[0,1]
	v_add_co_u32_e32 v56, vcc, v61, v34
	v_addc_co_u32_e32 v57, vcc, v62, v35, vcc
	v_pk_mul_f32 v[18:19], s[2:3], v[36:37] op_sel_hi:[0,1]
	v_pk_mul_f32 v[48:49], s[2:3], v[24:25] op_sel_hi:[0,1]
	v_mfma_f32_16x16x16bf16_1k v[20:23], v[58:59], v[20:21], v[26:29]
	v_pk_mul_f32 v[44:45], s[2:3], v[32:33] op_sel_hi:[0,1]
	global_load_dwordx4 v[6:9], v[2:3], off
	s_nop 0
	global_load_dwordx4 v[2:5], v[2:3], off offset:16
	s_nop 6
	v_pk_mul_f32 v[40:41], s[2:3], v[20:21] op_sel_hi:[0,1]
	v_and_b32_e32 v20, 0xc0, v0
	v_add_u32_e32 v20, s16, v20
	v_lshl_or_b32 v20, v1, 2, v20
	v_pk_mul_f32 v[34:35], s[2:3], v[22:23] op_sel_hi:[0,1]
	v_or_b32_e32 v23, 1, v20
	v_mov_b32_e32 v21, 0xff7fffff
	v_cmp_gt_i32_e64 s[30:31], s40, v20
	v_cmp_gt_i32_e64 s[34:35], s40, v23
	v_cndmask_b32_e64 v22, v21, v18, s[30:31]
	v_cndmask_b32_e64 v23, v21, v19, s[34:35]
	v_max3_f32 v22, v22, s42, v23
	v_or_b32_e32 v23, 2, v20
	v_or_b32_e32 v24, 3, v20
	v_cmp_gt_i32_e64 s[36:37], s40, v23
	v_cmp_gt_i32_e64 s[38:39], s40, v24
	v_cndmask_b32_e64 v23, v21, v46, s[36:37]
	v_cndmask_b32_e64 v24, v21, v47, s[38:39]
	v_max3_f32 v22, v22, v23, v24
	v_or_b32_e32 v23, 16, v20
	v_or_b32_e32 v24, 17, v20
	;; [unrolled: 7-line block ×7, first 2 shown]
	v_cmp_gt_i32_e32 vcc, s40, v23
	v_cmp_gt_i32_e64 s[2:3], s40, v20
	v_cndmask_b32_e32 v23, v21, v34, vcc
	v_cndmask_b32_e64 v20, v21, v35, s[2:3]
	v_max3_f32 v26, v22, v23, v20
	v_mbcnt_lo_u32_b32 v20, -1, 0
	v_mbcnt_hi_u32_b32 v27, -1, v20
	v_and_b32_e32 v20, 64, v27
	v_add_u32_e32 v28, 64, v20
	v_xor_b32_e32 v20, 32, v27
	v_cmp_lt_i32_e64 s[40:41], v20, v28
	v_cndmask_b32_e64 v20, v27, v20, s[40:41]
	v_lshlrev_b32_e32 v58, 2, v20
	ds_bpermute_b32 v29, v58, v26
	s_waitcnt vmcnt(4)
	v_mad_i64_i32 v[20:21], s[40:41], v60, s45, 0
	global_load_dwordx4 v[30:33], v[56:57], off
	global_load_dwordx4 v[22:25], v[56:57], off offset:16
	v_lshlrev_b64 v[20:21], 1, v[20:21]
	s_waitcnt lgkmcnt(0)
	v_max_f32_e32 v29, v29, v29
	v_max_f32_e32 v26, v26, v29
	v_xor_b32_e32 v29, 16, v27
	v_cmp_lt_i32_e64 s[40:41], v29, v28
	v_cndmask_b32_e64 v27, v27, v29, s[40:41]
	v_lshlrev_b32_e32 v57, 2, v27
	ds_bpermute_b32 v27, v57, v26
	v_add_co_u32_e64 v20, s[40:41], v61, v20
	v_addc_co_u32_e64 v21, s[40:41], v62, v21, s[40:41]
	s_waitcnt lgkmcnt(0)
	v_max_f32_e32 v27, v27, v27
	v_max_f32_e32 v56, v26, v27
	v_sub_f32_e32 v18, v18, v56
	v_mul_f32_e32 v18, 0x3fb8aa3b, v18
	v_exp_f32_e32 v36, v18
	v_sub_f32_e32 v18, v19, v56
	v_mul_f32_e32 v18, 0x3fb8aa3b, v18
	v_exp_f32_e32 v37, v18
	global_load_dwordx4 v[26:29], v[20:21], off
	s_nop 0
	global_load_dwordx4 v[18:21], v[20:21], off offset:16
	v_sub_f32_e32 v46, v46, v56
	v_mul_f32_e32 v46, 0x3fb8aa3b, v46
	v_sub_f32_e32 v47, v47, v56
	v_exp_f32_e32 v46, v46
	v_mul_f32_e32 v47, 0x3fb8aa3b, v47
	v_sub_f32_e32 v38, v38, v56
	v_exp_f32_e32 v47, v47
	v_mul_f32_e32 v38, 0x3fb8aa3b, v38
	v_sub_f32_e32 v39, v39, v56
	v_cndmask_b32_e64 v36, 0, v36, s[30:31]
	v_exp_f32_e32 v38, v38
	v_mul_f32_e32 v39, 0x3fb8aa3b, v39
	v_sub_f32_e32 v48, v48, v56
	v_add_f32_e32 v59, 0, v36
	v_cndmask_b32_e64 v37, 0, v37, s[34:35]
	v_exp_f32_e32 v39, v39
	v_mul_f32_e32 v48, 0x3fb8aa3b, v48
	v_sub_f32_e32 v49, v49, v56
	v_add_f32_e32 v59, v59, v37
	;; [unrolled: 5-line block ×10, first 2 shown]
	v_cndmask_b32_e64 v44, 0, v44, s[12:13]
	v_exp_f32_e32 v34, v34
	v_mul_f32_e32 v35, 0x3fb8aa3b, v35
	v_add_f32_e32 v59, v59, v44
	v_cndmask_b32_e64 v45, 0, v45, s[14:15]
	v_exp_f32_e32 v35, v35
	v_add_f32_e32 v59, v59, v45
	v_cndmask_b32_e64 v40, 0, v40, s[8:9]
	v_add_f32_e32 v59, v59, v40
	v_cndmask_b32_e64 v41, 0, v41, s[10:11]
	v_add_f32_e32 v59, v59, v41
	v_cndmask_b32_e32 v34, 0, v34, vcc
	v_add_f32_e32 v59, v59, v34
	v_cndmask_b32_e64 v35, 0, v35, s[2:3]
	v_add_f32_e32 v59, v59, v35
	ds_bpermute_b32 v58, v58, v59
	v_cmp_gt_u32_e32 vcc, 16, v54
	s_waitcnt lgkmcnt(0)
	s_barrier
	v_add_f32_e32 v58, v59, v58
	ds_bpermute_b32 v59, v57, v58
	v_lshlrev_b32_e32 v57, 2, v52
	s_and_saveexec_b64 s[2:3], vcc
	s_cbranch_execz .LBB233_13
; %bb.12:
	s_waitcnt lgkmcnt(0)
	v_add_f32_e32 v54, v58, v59
	v_lshl_or_b32 v58, v53, 6, v57
	ds_write2st64_b32 v58, v56, v54 offset1:1
.LBB233_13:
	s_or_b64 exec, exec, s[2:3]
	s_load_dword s8, s[4:5], 0x94
	s_waitcnt lgkmcnt(0)
	s_barrier
	ds_read2_b32 v[58:59], v57 offset1:16
	ds_read2_b32 v[60:61], v57 offset0:32 offset1:48
	ds_read2_b32 v[62:63], v57 offset0:64 offset1:80
	s_movk_i32 s10, 0x7fff
	s_mov_b32 s11, 0x7060302
	s_waitcnt lgkmcnt(2)
	v_max3_f32 v54, v58, s42, v59
	s_waitcnt lgkmcnt(1)
	v_max3_f32 v54, v54, v60, v61
	v_sub_f32_e32 v56, v58, v54
	v_mul_f32_e32 v56, 0x3fb8aa3b, v56
	v_exp_f32_e32 v64, v56
	v_sub_f32_e32 v56, v59, v54
	v_mul_f32_e32 v56, 0x3fb8aa3b, v56
	v_exp_f32_e32 v65, v56
	;; [unrolled: 3-line block ×3, first 2 shown]
	ds_read2_b32 v[58:59], v57 offset0:96 offset1:112
	v_sub_f32_e32 v56, v61, v54
	v_mul_f32_e32 v56, 0x3fb8aa3b, v56
	v_exp_f32_e32 v57, v56
	s_waitcnt lgkmcnt(1)
	v_fma_f32 v56, v64, v62, 0
	v_fmac_f32_e32 v56, v65, v63
	s_waitcnt lgkmcnt(0)
	v_fmac_f32_e32 v56, v60, v58
	v_fmac_f32_e32 v56, v57, v59
	v_add_f32_e32 v58, 0x358637bd, v56
	v_div_scale_f32 v59, s[2:3], v58, v58, 1.0
	v_rcp_f32_e32 v61, v59
	s_barrier
	v_fma_f32 v62, -v59, v61, 1.0
	v_fmac_f32_e32 v61, v62, v61
	v_div_scale_f32 v62, vcc, 1.0, v58, 1.0
	v_mul_f32_e32 v63, v62, v61
	v_fma_f32 v66, -v59, v63, v62
	v_fmac_f32_e32 v63, v66, v61
	v_fma_f32 v59, -v59, v63, v62
	v_div_fmas_f32 v59, v59, v61, v63
	v_cmp_eq_u32_e32 vcc, 1, v53
	v_div_fixup_f32 v58, v59, v58, 1.0
	v_cndmask_b32_e32 v59, v64, v65, vcc
	v_cmp_eq_u32_e32 vcc, 2, v53
	v_cndmask_b32_e32 v59, v59, v60, vcc
	v_cmp_eq_u32_e32 vcc, 3, v53
	v_cndmask_b32_e32 v57, v59, v57, vcc
	v_mul_f32_e32 v58, v57, v58
	v_pk_mul_f32 v[36:37], v[58:59], v[36:37] op_sel_hi:[0,1]
	v_pk_mul_f32 v[46:47], v[58:59], v[46:47] op_sel_hi:[0,1]
	v_bfe_u32 v57, v37, 16, 1
	v_bfe_u32 v59, v36, 16, 1
	v_add3_u32 v36, v36, v59, s10
	v_add3_u32 v37, v37, v57, s10
	v_perm_b32 v60, v37, v36, s11
	v_bfe_u32 v36, v47, 16, 1
	v_bfe_u32 v37, v46, 16, 1
	v_add3_u32 v37, v46, v37, s10
	v_add3_u32 v36, v47, v36, s10
	v_perm_b32 v61, v36, v37, s11
	v_lshlrev_b32_e32 v36, 3, v1
	v_lshlrev_b32_e32 v37, 11, v53
	v_pk_mul_f32 v[38:39], v[58:59], v[38:39] op_sel_hi:[0,1]
	v_or3_b32 v36, v37, v55, v36
	v_pk_mul_f32 v[46:47], v[58:59], v[48:49] op_sel_hi:[0,1]
	v_bfe_u32 v37, v39, 16, 1
	v_bfe_u32 v48, v38, 16, 1
	v_add3_u32 v38, v38, v48, s10
	v_add3_u32 v37, v39, v37, s10
	v_perm_b32 v38, v37, v38, s11
	v_bfe_u32 v37, v47, 16, 1
	v_bfe_u32 v39, v46, 16, 1
	v_add3_u32 v39, v46, v39, s10
	v_add3_u32 v37, v47, v37, s10
	v_perm_b32 v39, v37, v39, s11
	v_pk_mul_f32 v[42:43], v[58:59], v[42:43] op_sel_hi:[0,1]
	ds_write2st64_b64 v36, v[60:61], v[38:39] offset1:1
	v_pk_mul_f32 v[38:39], v[58:59], v[44:45] op_sel_hi:[0,1]
	v_bfe_u32 v37, v43, 16, 1
	v_bfe_u32 v44, v42, 16, 1
	v_add3_u32 v42, v42, v44, s10
	v_add3_u32 v37, v43, v37, s10
	v_perm_b32 v42, v37, v42, s11
	v_bfe_u32 v37, v39, 16, 1
	v_bfe_u32 v43, v38, 16, 1
	v_add3_u32 v38, v38, v43, s10
	v_add3_u32 v37, v39, v37, s10
	v_perm_b32 v43, v37, v38, s11
	v_pk_mul_f32 v[38:39], v[58:59], v[40:41] op_sel_hi:[0,1]
	v_bfe_u32 v37, v39, 16, 1
	v_bfe_u32 v40, v38, 16, 1
	v_pk_mul_f32 v[34:35], v[58:59], v[34:35] op_sel_hi:[0,1]
	v_add3_u32 v38, v38, v40, s10
	v_add3_u32 v37, v39, v37, s10
	v_perm_b32 v38, v37, v38, s11
	v_bfe_u32 v37, v35, 16, 1
	v_bfe_u32 v39, v34, 16, 1
	v_add3_u32 v34, v34, v39, s10
	v_add3_u32 v35, v35, v37, s10
	s_mul_i32 s9, s33, 6
	v_perm_b32 v39, v35, v34, s11
	v_cmp_gt_u32_e32 vcc, 6, v0
	ds_write2st64_b64 v36, v[42:43], v[38:39] offset0:2 offset1:3
	s_and_saveexec_b64 s[2:3], vcc
	s_cbranch_execz .LBB233_15
; %bb.14:
	v_add_co_u32_e32 v38, vcc, s29, v52
	v_addc_co_u32_e64 v39, s[16:17], 0, 0, vcc
	v_mov_b32_e32 v34, s9
	v_mov_b32_e32 v35, 0
	v_mad_u64_u32 v[38:39], s[16:17], s6, v34, v[38:39]
	v_mov_b32_e32 v34, s28
	s_load_dwordx4 s[12:15], s[4:5], 0x58
	s_mul_i32 s7, s7, s9
	v_mad_u64_u32 v[34:35], s[16:17], v38, s8, v[34:35]
	v_add_u32_e32 v37, s7, v39
	v_mov_b32_e32 v38, v35
	v_mad_u64_u32 v[38:39], s[16:17], v37, s8, v[38:39]
	v_mov_b32_e32 v35, v38
	v_lshlrev_b64 v[34:35], 2, v[34:35]
	s_waitcnt lgkmcnt(0)
	v_mov_b32_e32 v37, s15
	v_add_co_u32_e32 v38, vcc, s14, v34
	v_addc_co_u32_e32 v39, vcc, v37, v35, vcc
	v_mov_b32_e32 v37, s13
	v_add_co_u32_e32 v34, vcc, s12, v34
	v_addc_co_u32_e32 v35, vcc, v37, v35, vcc
	global_store_dword v[38:39], v54, off
	global_store_dword v[34:35], v56, off
.LBB233_15:
	s_or_b64 exec, exec, s[2:3]
	v_lshl_or_b32 v34, v1, 9, v55
	s_waitcnt lgkmcnt(0)
	s_barrier
	ds_read_b128 v[38:41], v34
	ds_read_b128 v[42:45], v34 offset:16
	s_waitcnt vmcnt(7) lgkmcnt(1)
	v_mfma_f32_16x16x16bf16_1k v[46:49], v[14:15], v[38:39], 0
	v_cmp_gt_u32_e32 vcc, 64, v0
	s_mov_b32 s3, 0
	s_and_b64 s[0:1], vcc, s[0:1]
	v_mfma_f32_16x16x16bf16_1k v[14:17], v[16:17], v[40:41], v[46:49]
	s_waitcnt vmcnt(6) lgkmcnt(0)
	v_mfma_f32_16x16x16bf16_1k v[14:17], v[10:11], v[42:43], v[14:17]
	v_mfma_f32_16x16x16bf16_1k v[10:13], v[12:13], v[44:45], v[14:17]
	s_nop 7
	s_nop 1
	ds_read_b128 v[14:17], v34 offset:2048
	ds_read_b128 v[38:41], v34 offset:2064
	s_waitcnt vmcnt(5) lgkmcnt(1)
	v_mfma_f32_16x16x16bf16_1k v[10:13], v[6:7], v[14:15], v[10:13]
	v_mfma_f32_16x16x16bf16_1k v[6:9], v[8:9], v[16:17], v[10:13]
	s_waitcnt vmcnt(4) lgkmcnt(0)
	v_mfma_f32_16x16x16bf16_1k v[6:9], v[2:3], v[38:39], v[6:9]
	v_mfma_f32_16x16x16bf16_1k v[2:5], v[4:5], v[40:41], v[6:9]
	s_nop 7
	s_nop 1
	ds_read_b128 v[6:9], v34 offset:4096
	ds_read_b128 v[10:13], v34 offset:4112
	s_waitcnt vmcnt(3) lgkmcnt(1)
	v_mfma_f32_16x16x16bf16_1k v[2:5], v[30:31], v[6:7], v[2:5]
	v_mfma_f32_16x16x16bf16_1k v[2:5], v[32:33], v[8:9], v[2:5]
	s_waitcnt vmcnt(2) lgkmcnt(0)
	v_mfma_f32_16x16x16bf16_1k v[2:5], v[22:23], v[10:11], v[2:5]
	v_mfma_f32_16x16x16bf16_1k v[2:5], v[24:25], v[12:13], v[2:5]
	ds_read_b128 v[6:9], v34 offset:6144
	ds_read_b128 v[10:13], v34 offset:6160
	s_waitcnt lgkmcnt(0)
	s_barrier
	s_waitcnt vmcnt(1)
	v_mfma_f32_16x16x16bf16_1k v[2:5], v[26:27], v[6:7], v[2:5]
	v_mfma_f32_16x16x16bf16_1k v[2:5], v[28:29], v[8:9], v[2:5]
	s_waitcnt vmcnt(0)
	v_mfma_f32_16x16x16bf16_1k v[2:5], v[18:19], v[10:11], v[2:5]
	v_mfma_f32_16x16x16bf16_1k v[2:5], v[20:21], v[12:13], v[2:5]
	s_nop 7
	s_nop 2
	v_bfe_u32 v6, v3, 16, 1
	v_bfe_u32 v7, v2, 16, 1
	;; [unrolled: 1-line block ×4, first 2 shown]
	v_add3_u32 v2, v2, v7, s10
	v_add3_u32 v3, v3, v6, s10
	;; [unrolled: 1-line block ×4, first 2 shown]
	v_perm_b32 v2, v3, v2, s11
	v_perm_b32 v3, v5, v4, s11
	ds_write_b64 v36, v[2:3]
	s_waitcnt lgkmcnt(0)
	s_barrier
	s_and_saveexec_b64 s[10:11], s[0:1]
	s_cbranch_execz .LBB233_18
; %bb.16:
	s_load_dwordx2 s[4:5], s[4:5], 0x68
	s_lshl_b32 s0, s8, 6
	s_mul_i32 s1, s9, s6
	s_mul_hi_u32 s7, s1, s0
	s_mul_i32 s6, s1, s0
	s_lshl_b64 s[6:7], s[6:7], 1
	s_waitcnt lgkmcnt(0)
	s_add_u32 s1, s4, s6
	s_addc_u32 s4, s5, s7
	s_lshl_b32 s2, s28, 6
	v_lshlrev_b32_e32 v0, 10, v0
	s_lshl_b64 s[2:3], s[2:3], 1
	v_and_b32_e32 v2, 0x1800, v0
	v_lshlrev_b32_e32 v3, 5, v1
	v_and_b32_e32 v4, 16, v51
	s_add_u32 s1, s1, s2
	v_or_b32_e32 v0, 4, v1
	v_or3_b32 v2, v2, v3, v4
	s_addc_u32 s2, s4, s3
	v_add_u32_e32 v1, s29, v1
	v_mov_b32_e32 v4, s2
	v_add_co_u32_e32 v3, vcc, s1, v50
	ds_read_b128 v[6:9], v2
	v_mad_u64_u32 v[10:11], s[2:3], v1, s0, 0
	v_addc_co_u32_e32 v4, vcc, 0, v4, vcc
	v_lshlrev_b64 v[10:11], 1, v[10:11]
	v_add_co_u32_e32 v10, vcc, v3, v10
	v_addc_co_u32_e32 v11, vcc, v4, v11, vcc
	v_cmp_gt_u32_e32 vcc, 6, v0
	s_waitcnt lgkmcnt(0)
	global_store_dwordx4 v[10:11], v[6:9], off
	s_and_b64 exec, exec, vcc
	s_cbranch_execz .LBB233_18
; %bb.17:
	ds_read_b128 v[6:9], v2 offset:128
	v_add_u32_e32 v0, s29, v0
	v_mad_u64_u32 v[0:1], s[0:1], v0, s0, 0
	v_lshlrev_b64 v[0:1], 1, v[0:1]
	v_add_co_u32_e32 v0, vcc, v3, v0
	v_addc_co_u32_e32 v1, vcc, v4, v1, vcc
	s_waitcnt lgkmcnt(0)
	global_store_dwordx4 v[0:1], v[6:9], off
.LBB233_18:
	s_endpgm
	.section	.rodata,"a",@progbits
	.p2align	6, 0x0
	.amdhsa_kernel _Z39paged_attention_ll4mi_QKV_mfma16_kernelI14__hip_bfloat16S0_LN4vllm18Fp8KVCacheDataTypeE0ES0_Li16ELi64ELi256ELb0ELi6EL8MFMAType0EEvPKT_PKT0_S9_ifPKiSB_SB_iPKfiiiPfSE_PS4_PT2_iSD_SD_
		.amdhsa_group_segment_fixed_size 8192
		.amdhsa_private_segment_fixed_size 0
		.amdhsa_kernarg_size 400
		.amdhsa_user_sgpr_count 6
		.amdhsa_user_sgpr_private_segment_buffer 1
		.amdhsa_user_sgpr_dispatch_ptr 0
		.amdhsa_user_sgpr_queue_ptr 0
		.amdhsa_user_sgpr_kernarg_segment_ptr 1
		.amdhsa_user_sgpr_dispatch_id 0
		.amdhsa_user_sgpr_flat_scratch_init 0
		.amdhsa_user_sgpr_kernarg_preload_length 0
		.amdhsa_user_sgpr_kernarg_preload_offset 0
		.amdhsa_user_sgpr_private_segment_size 0
		.amdhsa_uses_dynamic_stack 0
		.amdhsa_system_sgpr_private_segment_wavefront_offset 0
		.amdhsa_system_sgpr_workgroup_id_x 1
		.amdhsa_system_sgpr_workgroup_id_y 1
		.amdhsa_system_sgpr_workgroup_id_z 1
		.amdhsa_system_sgpr_workgroup_info 0
		.amdhsa_system_vgpr_workitem_id 0
		.amdhsa_next_free_vgpr 67
		.amdhsa_next_free_sgpr 48
		.amdhsa_accum_offset 68
		.amdhsa_reserve_vcc 1
		.amdhsa_reserve_flat_scratch 0
		.amdhsa_float_round_mode_32 0
		.amdhsa_float_round_mode_16_64 0
		.amdhsa_float_denorm_mode_32 3
		.amdhsa_float_denorm_mode_16_64 3
		.amdhsa_dx10_clamp 1
		.amdhsa_ieee_mode 1
		.amdhsa_fp16_overflow 0
		.amdhsa_tg_split 0
		.amdhsa_exception_fp_ieee_invalid_op 0
		.amdhsa_exception_fp_denorm_src 0
		.amdhsa_exception_fp_ieee_div_zero 0
		.amdhsa_exception_fp_ieee_overflow 0
		.amdhsa_exception_fp_ieee_underflow 0
		.amdhsa_exception_fp_ieee_inexact 0
		.amdhsa_exception_int_div_zero 0
	.end_amdhsa_kernel
	.section	.text._Z39paged_attention_ll4mi_QKV_mfma16_kernelI14__hip_bfloat16S0_LN4vllm18Fp8KVCacheDataTypeE0ES0_Li16ELi64ELi256ELb0ELi6EL8MFMAType0EEvPKT_PKT0_S9_ifPKiSB_SB_iPKfiiiPfSE_PS4_PT2_iSD_SD_,"axG",@progbits,_Z39paged_attention_ll4mi_QKV_mfma16_kernelI14__hip_bfloat16S0_LN4vllm18Fp8KVCacheDataTypeE0ES0_Li16ELi64ELi256ELb0ELi6EL8MFMAType0EEvPKT_PKT0_S9_ifPKiSB_SB_iPKfiiiPfSE_PS4_PT2_iSD_SD_,comdat
.Lfunc_end233:
	.size	_Z39paged_attention_ll4mi_QKV_mfma16_kernelI14__hip_bfloat16S0_LN4vllm18Fp8KVCacheDataTypeE0ES0_Li16ELi64ELi256ELb0ELi6EL8MFMAType0EEvPKT_PKT0_S9_ifPKiSB_SB_iPKfiiiPfSE_PS4_PT2_iSD_SD_, .Lfunc_end233-_Z39paged_attention_ll4mi_QKV_mfma16_kernelI14__hip_bfloat16S0_LN4vllm18Fp8KVCacheDataTypeE0ES0_Li16ELi64ELi256ELb0ELi6EL8MFMAType0EEvPKT_PKT0_S9_ifPKiSB_SB_iPKfiiiPfSE_PS4_PT2_iSD_SD_
                                        ; -- End function
	.section	.AMDGPU.csdata,"",@progbits
; Kernel info:
; codeLenInByte = 4212
; NumSgprs: 52
; NumVgprs: 67
; NumAgprs: 0
; TotalNumVgprs: 67
; ScratchSize: 0
; MemoryBound: 0
; FloatMode: 240
; IeeeMode: 1
; LDSByteSize: 8192 bytes/workgroup (compile time only)
; SGPRBlocks: 6
; VGPRBlocks: 8
; NumSGPRsForWavesPerEU: 52
; NumVGPRsForWavesPerEU: 67
; AccumOffset: 68
; Occupancy: 7
; WaveLimiterHint : 1
; COMPUTE_PGM_RSRC2:SCRATCH_EN: 0
; COMPUTE_PGM_RSRC2:USER_SGPR: 6
; COMPUTE_PGM_RSRC2:TRAP_HANDLER: 0
; COMPUTE_PGM_RSRC2:TGID_X_EN: 1
; COMPUTE_PGM_RSRC2:TGID_Y_EN: 1
; COMPUTE_PGM_RSRC2:TGID_Z_EN: 1
; COMPUTE_PGM_RSRC2:TIDIG_COMP_CNT: 0
; COMPUTE_PGM_RSRC3_GFX90A:ACCUM_OFFSET: 16
; COMPUTE_PGM_RSRC3_GFX90A:TG_SPLIT: 0
	.section	.text._Z39paged_attention_ll4mi_QKV_mfma16_kernelI14__hip_bfloat16S0_LN4vllm18Fp8KVCacheDataTypeE0ES0_Li16ELi64ELi256ELb0ELi7EL8MFMAType0EEvPKT_PKT0_S9_ifPKiSB_SB_iPKfiiiPfSE_PS4_PT2_iSD_SD_,"axG",@progbits,_Z39paged_attention_ll4mi_QKV_mfma16_kernelI14__hip_bfloat16S0_LN4vllm18Fp8KVCacheDataTypeE0ES0_Li16ELi64ELi256ELb0ELi7EL8MFMAType0EEvPKT_PKT0_S9_ifPKiSB_SB_iPKfiiiPfSE_PS4_PT2_iSD_SD_,comdat
	.protected	_Z39paged_attention_ll4mi_QKV_mfma16_kernelI14__hip_bfloat16S0_LN4vllm18Fp8KVCacheDataTypeE0ES0_Li16ELi64ELi256ELb0ELi7EL8MFMAType0EEvPKT_PKT0_S9_ifPKiSB_SB_iPKfiiiPfSE_PS4_PT2_iSD_SD_ ; -- Begin function _Z39paged_attention_ll4mi_QKV_mfma16_kernelI14__hip_bfloat16S0_LN4vllm18Fp8KVCacheDataTypeE0ES0_Li16ELi64ELi256ELb0ELi7EL8MFMAType0EEvPKT_PKT0_S9_ifPKiSB_SB_iPKfiiiPfSE_PS4_PT2_iSD_SD_
	.globl	_Z39paged_attention_ll4mi_QKV_mfma16_kernelI14__hip_bfloat16S0_LN4vllm18Fp8KVCacheDataTypeE0ES0_Li16ELi64ELi256ELb0ELi7EL8MFMAType0EEvPKT_PKT0_S9_ifPKiSB_SB_iPKfiiiPfSE_PS4_PT2_iSD_SD_
	.p2align	8
	.type	_Z39paged_attention_ll4mi_QKV_mfma16_kernelI14__hip_bfloat16S0_LN4vllm18Fp8KVCacheDataTypeE0ES0_Li16ELi64ELi256ELb0ELi7EL8MFMAType0EEvPKT_PKT0_S9_ifPKiSB_SB_iPKfiiiPfSE_PS4_PT2_iSD_SD_,@function
_Z39paged_attention_ll4mi_QKV_mfma16_kernelI14__hip_bfloat16S0_LN4vllm18Fp8KVCacheDataTypeE0ES0_Li16ELi64ELi256ELb0ELi7EL8MFMAType0EEvPKT_PKT0_S9_ifPKiSB_SB_iPKfiiiPfSE_PS4_PT2_iSD_SD_: ; @_Z39paged_attention_ll4mi_QKV_mfma16_kernelI14__hip_bfloat16S0_LN4vllm18Fp8KVCacheDataTypeE0ES0_Li16ELi64ELi256ELb0ELi7EL8MFMAType0EEvPKT_PKT0_S9_ifPKiSB_SB_iPKfiiiPfSE_PS4_PT2_iSD_SD_
; %bb.0:
	s_load_dwordx2 s[0:1], s[4:5], 0x30
	s_mov_b32 s28, s7
	s_mov_b64 s[10:11], 0
	s_waitcnt lgkmcnt(0)
	s_cmp_lg_u64 s[0:1], 0
	s_cselect_b64 s[2:3], -1, 0
	s_and_b64 vcc, exec, s[2:3]
	s_cbranch_vccz .LBB234_7
; %bb.1:
	s_add_i32 s12, s6, 1
	s_mov_b32 s13, 0
	s_lshl_b64 s[14:15], s[12:13], 2
	s_add_u32 s14, s0, s14
	s_mov_b32 s7, s13
	s_addc_u32 s15, s1, s15
	s_lshl_b64 s[12:13], s[6:7], 2
	s_add_u32 s12, s0, s12
	s_addc_u32 s13, s1, s13
	s_load_dword s9, s[14:15], 0x0
	s_load_dword s16, s[12:13], 0x0
	s_waitcnt lgkmcnt(0)
	s_sub_i32 s9, s9, s16
	s_cmp_eq_u32 s9, 1
	s_cselect_b64 s[12:13], -1, 0
	s_andn2_b64 vcc, exec, s[10:11]
	s_cbranch_vccnz .LBB234_3
.LBB234_2:
	s_mov_b32 s7, 0
	s_mov_b64 s[12:13], -1
.LBB234_3:
	s_andn2_b64 vcc, exec, s[12:13]
	s_cbranch_vccnz .LBB234_18
; %bb.4:
	s_load_dwordx2 s[12:13], s[4:5], 0x28
	s_lshl_b64 s[10:11], s[6:7], 2
	s_waitcnt lgkmcnt(0)
	s_add_u32 s12, s12, s10
	s_addc_u32 s13, s13, s11
	s_load_dword s40, s[12:13], 0x0
	s_lshl_b32 s16, s28, 8
	s_waitcnt lgkmcnt(0)
	s_cmp_ge_i32 s16, s40
	s_cbranch_scc1 .LBB234_18
; %bb.5:
	s_add_i32 s14, s40, 15
	s_load_dwordx2 s[12:13], s[4:5], 0x20
	s_load_dword s9, s[4:5], 0x38
	s_ashr_i32 s15, s14, 31
	v_and_b32_e32 v1, 0xcf, v0
	s_lshr_b32 s15, s15, 28
	v_add_u32_e32 v1, s16, v1
	s_add_i32 s14, s14, s15
	v_ashrrev_i32_e32 v2, 31, v1
	s_ashr_i32 s19, s14, 4
	v_lshrrev_b32_e32 v10, 28, v2
	s_add_i32 s19, s19, -1
	v_add_u32_e32 v2, v1, v10
	s_waitcnt lgkmcnt(0)
	s_mul_i32 s14, s6, s9
	s_mov_b32 s15, 0
	v_ashrrev_i32_e32 v2, 4, v2
	v_mov_b32_e32 v11, s19
	v_cmp_gt_i32_e32 vcc, s40, v1
	s_lshl_b64 s[14:15], s[14:15], 2
	v_cndmask_b32_e32 v2, v11, v2, vcc
	s_add_u32 s17, s12, s14
	v_ashrrev_i32_e32 v3, 31, v2
	s_addc_u32 s18, s13, s15
	v_lshlrev_b64 v[2:3], 2, v[2:3]
	v_mov_b32_e32 v5, s18
	v_add_co_u32_e32 v4, vcc, s17, v2
	v_or_b32_e32 v2, 16, v1
	v_addc_co_u32_e32 v5, vcc, v5, v3, vcc
	v_add_u32_e32 v3, v2, v10
	v_ashrrev_i32_e32 v3, 4, v3
	v_cmp_gt_i32_e32 vcc, s40, v2
	v_cndmask_b32_e32 v2, v11, v3, vcc
	v_ashrrev_i32_e32 v3, 31, v2
	v_lshlrev_b64 v[2:3], 2, v[2:3]
	v_mov_b32_e32 v7, s18
	v_add_co_u32_e32 v6, vcc, s17, v2
	v_or_b32_e32 v2, 32, v1
	v_addc_co_u32_e32 v7, vcc, v7, v3, vcc
	v_add_u32_e32 v3, v2, v10
	v_ashrrev_i32_e32 v3, 4, v3
	v_cmp_gt_i32_e32 vcc, s40, v2
	v_cndmask_b32_e32 v2, v11, v3, vcc
	v_ashrrev_i32_e32 v3, 31, v2
	;; [unrolled: 10-line block ×3, first 2 shown]
	v_lshlrev_b64 v[2:3], 2, v[2:3]
	v_mov_b32_e32 v1, s18
	v_add_co_u32_e32 v10, vcc, s17, v2
	v_addc_co_u32_e32 v11, vcc, v1, v3, vcc
	global_load_dword v3, v[4:5], off
	global_load_dword v2, v[6:7], off
	;; [unrolled: 1-line block ×4, first 2 shown]
	s_load_dwordx4 s[12:15], s[4:5], 0x8
	s_andn2_b64 vcc, exec, s[2:3]
	s_cbranch_vccnz .LBB234_8
; %bb.6:
	s_add_u32 s0, s0, s10
	s_addc_u32 s1, s1, s11
	s_load_dword s9, s[0:1], 0x0
	s_branch .LBB234_9
.LBB234_7:
	s_mov_b64 s[12:13], 0
	s_branch .LBB234_2
.LBB234_8:
	s_mov_b32 s9, s6
.LBB234_9:
	s_load_dwordx4 s[44:47], s[4:5], 0x48
	v_lshrrev_b32_e32 v53, 6, v0
	v_bfe_u32 v1, v0, 4, 2
	v_lshl_or_b32 v4, v53, 2, v1
	v_and_b32_e32 v52, 15, v0
	v_lshlrev_b32_e32 v5, 3, v52
	v_cmp_gt_u32_e32 vcc, 7, v4
	v_cmp_gt_u32_e64 s[0:1], 8, v52
	v_and_b32_e32 v54, 63, v0
	s_mul_i32 s29, s8, 7
	s_and_b64 s[10:11], s[0:1], vcc
	v_lshlrev_b32_e32 v50, 1, v5
	s_and_saveexec_b64 s[2:3], s[10:11]
	s_cbranch_execz .LBB234_11
; %bb.10:
	s_load_dwordx2 s[10:11], s[4:5], 0x0
	s_waitcnt lgkmcnt(0)
	s_ashr_i32 s20, s44, 31
	s_mul_hi_u32 s21, s9, s44
	s_mul_i32 s20, s9, s20
	s_add_i32 s21, s21, s20
	s_mul_i32 s20, s9, s44
	s_lshl_b64 s[20:21], s[20:21], 1
	v_add_lshl_u32 v6, v4, s29, 6
	s_add_u32 s9, s10, s20
	v_ashrrev_i32_e32 v7, 31, v6
	s_addc_u32 s10, s11, s21
	v_lshlrev_b64 v[6:7], 1, v[6:7]
	v_mov_b32_e32 v5, s10
	v_add_co_u32_e32 v6, vcc, s9, v6
	v_addc_co_u32_e32 v5, vcc, v5, v7, vcc
	v_add_co_u32_e32 v6, vcc, v6, v50
	v_addc_co_u32_e32 v7, vcc, 0, v5, vcc
	global_load_dwordx4 v[6:9], v[6:7], off
	v_and_b32_e32 v5, 3, v0
	v_lshlrev_b32_e32 v10, 9, v52
	v_lshlrev_b32_e32 v4, 5, v4
	;; [unrolled: 1-line block ×3, first 2 shown]
	v_and_b32_e32 v10, 0x1800, v10
	v_or3_b32 v4, v10, v5, v4
	s_waitcnt vmcnt(0)
	ds_write_b128 v4, v[6:9]
.LBB234_11:
	s_or_b64 exec, exec, s[2:3]
	s_waitcnt lgkmcnt(0)
	s_mul_i32 s8, s8, s46
	s_mov_b32 s9, 0
	s_lshl_b64 s[8:9], s[8:9], 1
	s_add_u32 s3, s12, s8
	v_lshlrev_b32_e32 v51, 4, v0
	s_addc_u32 s10, s13, s9
	v_and_b32_e32 v4, 0xf0, v51
	v_mov_b32_e32 v5, s10
	v_add_co_u32_e32 v29, vcc, s3, v4
	v_addc_co_u32_e32 v30, vcc, 0, v5, vcc
	s_waitcnt vmcnt(3)
	v_mad_i64_i32 v[4:5], s[10:11], v3, s45, 0
	v_lshlrev_b64 v[4:5], 1, v[4:5]
	v_add_co_u32_e32 v3, vcc, v29, v4
	v_addc_co_u32_e32 v5, vcc, v30, v5, vcc
	v_and_b32_e32 v31, 0x300, v51
	v_add_co_u32_e32 v4, vcc, v3, v31
	v_addc_co_u32_e32 v5, vcc, 0, v5, vcc
	s_load_dword s33, s[4:5], 0x98
	s_load_dword s2, s[4:5], 0x1c
	s_waitcnt lgkmcnt(0)
	s_barrier
	global_load_dwordx4 v[6:9], v[4:5], off
	s_waitcnt vmcnt(3)
	v_mad_i64_i32 v[2:3], s[10:11], v2, s45, 0
	v_lshlrev_b64 v[2:3], 1, v[2:3]
	v_add_co_u32_e32 v2, vcc, v29, v2
	v_addc_co_u32_e32 v3, vcc, v30, v3, vcc
	v_add_co_u32_e32 v2, vcc, v2, v31
	v_addc_co_u32_e32 v3, vcc, 0, v3, vcc
	global_load_dwordx4 v[22:25], v[2:3], off
	global_load_dwordx4 v[10:13], v[4:5], off offset:1024
	global_load_dwordx4 v[14:17], v[2:3], off offset:1024
	v_mul_lo_u16_e32 v2, 37, v52
	v_mov_b32_e32 v3, 7
	v_mul_lo_u16_sdwa v2, v2, v3 dst_sel:DWORD dst_unused:UNUSED_PAD src0_sel:BYTE_1 src1_sel:DWORD
	v_mov_b32_e32 v4, 5
	v_sub_u16_e32 v2, v52, v2
	v_lshlrev_b32_sdwa v2, v4, v2 dst_sel:DWORD dst_unused:UNUSED_PAD src0_sel:DWORD src1_sel:BYTE_0
	v_lshl_add_u32 v20, v1, 9, v2
	ds_read_b128 v[2:5], v20
	s_waitcnt vmcnt(5)
	v_mad_i64_i32 v[18:19], s[10:11], v18, s45, 0
	v_lshlrev_b64 v[26:27], 1, v[18:19]
	v_and_or_b32 v55, v0, 48, s16
	ds_read_b128 v[18:21], v20 offset:2048
	v_mov_b32_e32 v60, s19
	v_or_b32_e32 v48, 64, v55
	v_or_b32_e32 v49, 0x80, v55
	v_mov_b32_e32 v56, s18
	s_add_u32 s3, s14, s8
	s_addc_u32 s8, s15, s9
	s_mov_b32 s42, 0xff7fffff
	s_waitcnt vmcnt(2) lgkmcnt(1)
	v_mfma_f32_16x16x16bf16_1k v[36:39], v[22:23], v[2:3], 0
	v_mad_i64_i32 v[22:23], s[10:11], v28, s45, 0
	v_lshlrev_b64 v[44:45], 1, v[22:23]
	v_ashrrev_i32_e32 v22, 4, v55
	v_mov_b32_e32 v28, s18
	v_mfma_f32_16x16x16bf16_1k v[32:35], v[6:7], v[2:3], 0
	v_add_co_u32_e32 v6, vcc, v29, v26
	v_addc_co_u32_e32 v7, vcc, v30, v27, vcc
	v_add_co_u32_e32 v26, vcc, v6, v31
	v_addc_co_u32_e32 v27, vcc, 0, v7, vcc
	global_load_dwordx4 v[40:43], v[26:27], off
	v_mfma_f32_16x16x16bf16_1k v[6:9], v[8:9], v[4:5], v[32:35]
	v_cmp_gt_i32_e32 vcc, s40, v55
	v_cndmask_b32_e32 v46, v60, v22, vcc
	v_ashrrev_i32_e32 v47, 31, v46
	v_cmp_gt_i32_e32 vcc, s40, v48
	s_nop 2
	global_load_dwordx4 v[32:35], v[26:27], off offset:1024
	v_mfma_f32_16x16x16bf16_1k v[22:25], v[24:25], v[4:5], v[36:39]
	v_lshlrev_b64 v[26:27], 2, v[46:47]
	s_nop 5
	v_ashrrev_i32_e32 v36, 4, v48
	v_cndmask_b32_e32 v48, v60, v36, vcc
	s_waitcnt vmcnt(3) lgkmcnt(0)
	v_mfma_f32_16x16x16bf16_1k v[6:9], v[10:11], v[18:19], v[6:9]
	v_add_co_u32_e32 v10, vcc, s17, v26
	v_addc_co_u32_e32 v11, vcc, v28, v27, vcc
	v_add_co_u32_e32 v26, vcc, v29, v44
	v_addc_co_u32_e32 v27, vcc, v30, v45, vcc
	s_waitcnt vmcnt(2)
	v_mfma_f32_16x16x16bf16_1k v[22:25], v[14:15], v[18:19], v[22:25]
	v_add_co_u32_e32 v14, vcc, v26, v31
	v_addc_co_u32_e32 v15, vcc, 0, v27, vcc
	global_load_dwordx4 v[26:29], v[14:15], off
	global_load_dword v44, v[10:11], off
	v_ashrrev_i32_e32 v37, 4, v49
	v_cmp_gt_i32_e32 vcc, s40, v49
	v_ashrrev_i32_e32 v49, 31, v48
	v_cndmask_b32_e32 v10, v60, v37, vcc
	v_mfma_f32_16x16x16bf16_1k v[36:39], v[12:13], v[20:21], v[6:9]
	v_ashrrev_i32_e32 v11, 31, v10
	v_mov_b32_e32 v12, s18
	s_nop 4
	v_lshlrev_b64 v[6:7], 2, v[48:49]
	v_add_co_u32_e32 v6, vcc, s17, v6
	v_addc_co_u32_e32 v7, vcc, v56, v7, vcc
	global_load_dwordx4 v[56:59], v[14:15], off offset:1024
	global_load_dword v45, v[6:7], off
	v_lshlrev_b64 v[6:7], 2, v[10:11]
	v_mov_b32_e32 v8, s18
	v_add_co_u32_e32 v10, vcc, s17, v6
	v_addc_co_u32_e32 v11, vcc, v8, v7, vcc
	s_waitcnt vmcnt(5)
	v_mfma_f32_16x16x16bf16_1k v[6:9], v[40:41], v[2:3], 0
	global_load_dword v40, v[10:11], off
	v_or_b32_e32 v10, 0xc0, v55
	v_ashrrev_i32_e32 v11, 4, v10
	v_cmp_gt_i32_e32 vcc, s40, v10
	v_cndmask_b32_e32 v10, v60, v11, vcc
	v_ashrrev_i32_e32 v11, 31, v10
	v_lshlrev_b64 v[10:11], 2, v[10:11]
	v_mfma_f32_16x16x16bf16_1k v[6:9], v[42:43], v[4:5], v[6:9]
	v_add_co_u32_e32 v10, vcc, s17, v10
	v_addc_co_u32_e32 v11, vcc, v12, v11, vcc
	global_load_dword v60, v[10:11], off
	v_lshlrev_b32_e32 v55, 5, v52
	v_lshl_or_b32 v10, v53, 9, v55
	s_waitcnt vmcnt(6)
	v_mfma_f32_16x16x16bf16_1k v[6:9], v[32:33], v[18:19], v[6:9]
	v_mov_b32_e32 v11, s8
	v_add_co_u32_e32 v61, vcc, s3, v10
	v_addc_co_u32_e32 v62, vcc, 0, v11, vcc
	v_pk_mul_f32 v[46:47], s[2:3], v[38:39] op_sel_hi:[0,1]
	v_mfma_f32_16x16x16bf16_1k v[30:33], v[34:35], v[20:21], v[6:9]
	s_waitcnt vmcnt(1)
	v_mad_i64_i32 v[34:35], s[8:9], v40, s45, 0
	s_nop 4
	v_mad_i64_i32 v[6:7], s[8:9], v44, s45, 0
	v_lshlrev_b64 v[10:11], 1, v[6:7]
	v_mfma_f32_16x16x16bf16_1k v[6:9], v[26:27], v[2:3], 0
	v_add_co_u32_e32 v2, vcc, v61, v10
	v_addc_co_u32_e32 v3, vcc, v62, v11, vcc
	v_lshlrev_b64 v[34:35], 1, v[34:35]
	v_pk_mul_f32 v[42:43], s[2:3], v[30:31] op_sel_hi:[0,1]
	v_mfma_f32_16x16x16bf16_1k v[26:29], v[28:29], v[4:5], v[6:9]
	v_mfma_f32_16x16x16bf16_1k v[22:25], v[16:17], v[20:21], v[22:25]
	global_load_dwordx4 v[14:17], v[2:3], off
	global_load_dwordx4 v[10:13], v[2:3], off offset:16
	v_mad_i64_i32 v[2:3], s[8:9], v45, s45, 0
	v_lshlrev_b64 v[2:3], 1, v[2:3]
	v_add_co_u32_e32 v2, vcc, v61, v2
	v_addc_co_u32_e32 v3, vcc, v62, v3, vcc
	v_mfma_f32_16x16x16bf16_1k v[26:29], v[56:57], v[18:19], v[26:29]
	s_nop 3
	v_pk_mul_f32 v[38:39], s[2:3], v[22:23] op_sel_hi:[0,1]
	v_add_co_u32_e32 v56, vcc, v61, v34
	v_addc_co_u32_e32 v57, vcc, v62, v35, vcc
	v_pk_mul_f32 v[18:19], s[2:3], v[36:37] op_sel_hi:[0,1]
	v_pk_mul_f32 v[48:49], s[2:3], v[24:25] op_sel_hi:[0,1]
	v_mfma_f32_16x16x16bf16_1k v[20:23], v[58:59], v[20:21], v[26:29]
	v_pk_mul_f32 v[44:45], s[2:3], v[32:33] op_sel_hi:[0,1]
	global_load_dwordx4 v[6:9], v[2:3], off
	s_nop 0
	global_load_dwordx4 v[2:5], v[2:3], off offset:16
	s_nop 6
	v_pk_mul_f32 v[40:41], s[2:3], v[20:21] op_sel_hi:[0,1]
	v_and_b32_e32 v20, 0xc0, v0
	v_add_u32_e32 v20, s16, v20
	v_lshl_or_b32 v20, v1, 2, v20
	v_pk_mul_f32 v[34:35], s[2:3], v[22:23] op_sel_hi:[0,1]
	v_or_b32_e32 v23, 1, v20
	v_mov_b32_e32 v21, 0xff7fffff
	v_cmp_gt_i32_e64 s[30:31], s40, v20
	v_cmp_gt_i32_e64 s[34:35], s40, v23
	v_cndmask_b32_e64 v22, v21, v18, s[30:31]
	v_cndmask_b32_e64 v23, v21, v19, s[34:35]
	v_max3_f32 v22, v22, s42, v23
	v_or_b32_e32 v23, 2, v20
	v_or_b32_e32 v24, 3, v20
	v_cmp_gt_i32_e64 s[36:37], s40, v23
	v_cmp_gt_i32_e64 s[38:39], s40, v24
	v_cndmask_b32_e64 v23, v21, v46, s[36:37]
	v_cndmask_b32_e64 v24, v21, v47, s[38:39]
	v_max3_f32 v22, v22, v23, v24
	v_or_b32_e32 v23, 16, v20
	v_or_b32_e32 v24, 17, v20
	;; [unrolled: 7-line block ×7, first 2 shown]
	v_cmp_gt_i32_e32 vcc, s40, v23
	v_cmp_gt_i32_e64 s[2:3], s40, v20
	v_cndmask_b32_e32 v23, v21, v34, vcc
	v_cndmask_b32_e64 v20, v21, v35, s[2:3]
	v_max3_f32 v26, v22, v23, v20
	v_mbcnt_lo_u32_b32 v20, -1, 0
	v_mbcnt_hi_u32_b32 v27, -1, v20
	v_and_b32_e32 v20, 64, v27
	v_add_u32_e32 v28, 64, v20
	v_xor_b32_e32 v20, 32, v27
	v_cmp_lt_i32_e64 s[40:41], v20, v28
	v_cndmask_b32_e64 v20, v27, v20, s[40:41]
	v_lshlrev_b32_e32 v58, 2, v20
	ds_bpermute_b32 v29, v58, v26
	s_waitcnt vmcnt(4)
	v_mad_i64_i32 v[20:21], s[40:41], v60, s45, 0
	global_load_dwordx4 v[30:33], v[56:57], off
	global_load_dwordx4 v[22:25], v[56:57], off offset:16
	v_lshlrev_b64 v[20:21], 1, v[20:21]
	s_waitcnt lgkmcnt(0)
	v_max_f32_e32 v29, v29, v29
	v_max_f32_e32 v26, v26, v29
	v_xor_b32_e32 v29, 16, v27
	v_cmp_lt_i32_e64 s[40:41], v29, v28
	v_cndmask_b32_e64 v27, v27, v29, s[40:41]
	v_lshlrev_b32_e32 v57, 2, v27
	ds_bpermute_b32 v27, v57, v26
	v_add_co_u32_e64 v20, s[40:41], v61, v20
	v_addc_co_u32_e64 v21, s[40:41], v62, v21, s[40:41]
	s_waitcnt lgkmcnt(0)
	v_max_f32_e32 v27, v27, v27
	v_max_f32_e32 v56, v26, v27
	v_sub_f32_e32 v18, v18, v56
	v_mul_f32_e32 v18, 0x3fb8aa3b, v18
	v_exp_f32_e32 v36, v18
	v_sub_f32_e32 v18, v19, v56
	v_mul_f32_e32 v18, 0x3fb8aa3b, v18
	v_exp_f32_e32 v37, v18
	global_load_dwordx4 v[26:29], v[20:21], off
	s_nop 0
	global_load_dwordx4 v[18:21], v[20:21], off offset:16
	v_sub_f32_e32 v46, v46, v56
	v_mul_f32_e32 v46, 0x3fb8aa3b, v46
	v_sub_f32_e32 v47, v47, v56
	v_exp_f32_e32 v46, v46
	v_mul_f32_e32 v47, 0x3fb8aa3b, v47
	v_sub_f32_e32 v38, v38, v56
	v_exp_f32_e32 v47, v47
	v_mul_f32_e32 v38, 0x3fb8aa3b, v38
	v_sub_f32_e32 v39, v39, v56
	v_cndmask_b32_e64 v36, 0, v36, s[30:31]
	v_exp_f32_e32 v38, v38
	v_mul_f32_e32 v39, 0x3fb8aa3b, v39
	v_sub_f32_e32 v48, v48, v56
	v_add_f32_e32 v59, 0, v36
	v_cndmask_b32_e64 v37, 0, v37, s[34:35]
	v_exp_f32_e32 v39, v39
	v_mul_f32_e32 v48, 0x3fb8aa3b, v48
	v_sub_f32_e32 v49, v49, v56
	v_add_f32_e32 v59, v59, v37
	;; [unrolled: 5-line block ×10, first 2 shown]
	v_cndmask_b32_e64 v44, 0, v44, s[12:13]
	v_exp_f32_e32 v34, v34
	v_mul_f32_e32 v35, 0x3fb8aa3b, v35
	v_add_f32_e32 v59, v59, v44
	v_cndmask_b32_e64 v45, 0, v45, s[14:15]
	v_exp_f32_e32 v35, v35
	v_add_f32_e32 v59, v59, v45
	v_cndmask_b32_e64 v40, 0, v40, s[8:9]
	v_add_f32_e32 v59, v59, v40
	v_cndmask_b32_e64 v41, 0, v41, s[10:11]
	v_add_f32_e32 v59, v59, v41
	v_cndmask_b32_e32 v34, 0, v34, vcc
	v_add_f32_e32 v59, v59, v34
	v_cndmask_b32_e64 v35, 0, v35, s[2:3]
	v_add_f32_e32 v59, v59, v35
	ds_bpermute_b32 v58, v58, v59
	v_cmp_gt_u32_e32 vcc, 16, v54
	s_waitcnt lgkmcnt(0)
	s_barrier
	v_add_f32_e32 v58, v59, v58
	ds_bpermute_b32 v59, v57, v58
	v_lshlrev_b32_e32 v57, 2, v52
	s_and_saveexec_b64 s[2:3], vcc
	s_cbranch_execz .LBB234_13
; %bb.12:
	s_waitcnt lgkmcnt(0)
	v_add_f32_e32 v54, v58, v59
	v_lshl_or_b32 v58, v53, 6, v57
	ds_write2st64_b32 v58, v56, v54 offset1:1
.LBB234_13:
	s_or_b64 exec, exec, s[2:3]
	s_load_dword s8, s[4:5], 0x94
	s_waitcnt lgkmcnt(0)
	s_barrier
	ds_read2_b32 v[58:59], v57 offset1:16
	ds_read2_b32 v[60:61], v57 offset0:32 offset1:48
	ds_read2_b32 v[62:63], v57 offset0:64 offset1:80
	s_movk_i32 s10, 0x7fff
	s_mov_b32 s11, 0x7060302
	s_waitcnt lgkmcnt(2)
	v_max3_f32 v54, v58, s42, v59
	s_waitcnt lgkmcnt(1)
	v_max3_f32 v54, v54, v60, v61
	v_sub_f32_e32 v56, v58, v54
	v_mul_f32_e32 v56, 0x3fb8aa3b, v56
	v_exp_f32_e32 v64, v56
	v_sub_f32_e32 v56, v59, v54
	v_mul_f32_e32 v56, 0x3fb8aa3b, v56
	v_exp_f32_e32 v65, v56
	;; [unrolled: 3-line block ×3, first 2 shown]
	ds_read2_b32 v[58:59], v57 offset0:96 offset1:112
	v_sub_f32_e32 v56, v61, v54
	v_mul_f32_e32 v56, 0x3fb8aa3b, v56
	v_exp_f32_e32 v57, v56
	s_waitcnt lgkmcnt(1)
	v_fma_f32 v56, v64, v62, 0
	v_fmac_f32_e32 v56, v65, v63
	s_waitcnt lgkmcnt(0)
	v_fmac_f32_e32 v56, v60, v58
	v_fmac_f32_e32 v56, v57, v59
	v_add_f32_e32 v58, 0x358637bd, v56
	v_div_scale_f32 v59, s[2:3], v58, v58, 1.0
	v_rcp_f32_e32 v61, v59
	s_barrier
	v_fma_f32 v62, -v59, v61, 1.0
	v_fmac_f32_e32 v61, v62, v61
	v_div_scale_f32 v62, vcc, 1.0, v58, 1.0
	v_mul_f32_e32 v63, v62, v61
	v_fma_f32 v66, -v59, v63, v62
	v_fmac_f32_e32 v63, v66, v61
	v_fma_f32 v59, -v59, v63, v62
	v_div_fmas_f32 v59, v59, v61, v63
	v_cmp_eq_u32_e32 vcc, 1, v53
	v_div_fixup_f32 v58, v59, v58, 1.0
	v_cndmask_b32_e32 v59, v64, v65, vcc
	v_cmp_eq_u32_e32 vcc, 2, v53
	v_cndmask_b32_e32 v59, v59, v60, vcc
	v_cmp_eq_u32_e32 vcc, 3, v53
	v_cndmask_b32_e32 v57, v59, v57, vcc
	v_mul_f32_e32 v58, v57, v58
	v_pk_mul_f32 v[36:37], v[58:59], v[36:37] op_sel_hi:[0,1]
	v_pk_mul_f32 v[46:47], v[58:59], v[46:47] op_sel_hi:[0,1]
	v_bfe_u32 v57, v37, 16, 1
	v_bfe_u32 v59, v36, 16, 1
	v_add3_u32 v36, v36, v59, s10
	v_add3_u32 v37, v37, v57, s10
	v_perm_b32 v60, v37, v36, s11
	v_bfe_u32 v36, v47, 16, 1
	v_bfe_u32 v37, v46, 16, 1
	v_add3_u32 v37, v46, v37, s10
	v_add3_u32 v36, v47, v36, s10
	v_perm_b32 v61, v36, v37, s11
	v_lshlrev_b32_e32 v36, 3, v1
	v_lshlrev_b32_e32 v37, 11, v53
	v_pk_mul_f32 v[38:39], v[58:59], v[38:39] op_sel_hi:[0,1]
	v_or3_b32 v36, v37, v55, v36
	v_pk_mul_f32 v[46:47], v[58:59], v[48:49] op_sel_hi:[0,1]
	v_bfe_u32 v37, v39, 16, 1
	v_bfe_u32 v48, v38, 16, 1
	v_add3_u32 v38, v38, v48, s10
	v_add3_u32 v37, v39, v37, s10
	v_perm_b32 v38, v37, v38, s11
	v_bfe_u32 v37, v47, 16, 1
	v_bfe_u32 v39, v46, 16, 1
	v_add3_u32 v39, v46, v39, s10
	v_add3_u32 v37, v47, v37, s10
	v_perm_b32 v39, v37, v39, s11
	v_pk_mul_f32 v[42:43], v[58:59], v[42:43] op_sel_hi:[0,1]
	ds_write2st64_b64 v36, v[60:61], v[38:39] offset1:1
	v_pk_mul_f32 v[38:39], v[58:59], v[44:45] op_sel_hi:[0,1]
	v_bfe_u32 v37, v43, 16, 1
	v_bfe_u32 v44, v42, 16, 1
	v_add3_u32 v42, v42, v44, s10
	v_add3_u32 v37, v43, v37, s10
	v_perm_b32 v42, v37, v42, s11
	v_bfe_u32 v37, v39, 16, 1
	v_bfe_u32 v43, v38, 16, 1
	v_add3_u32 v38, v38, v43, s10
	v_add3_u32 v37, v39, v37, s10
	v_perm_b32 v43, v37, v38, s11
	v_pk_mul_f32 v[38:39], v[58:59], v[40:41] op_sel_hi:[0,1]
	v_bfe_u32 v37, v39, 16, 1
	v_bfe_u32 v40, v38, 16, 1
	v_pk_mul_f32 v[34:35], v[58:59], v[34:35] op_sel_hi:[0,1]
	v_add3_u32 v38, v38, v40, s10
	v_add3_u32 v37, v39, v37, s10
	v_perm_b32 v38, v37, v38, s11
	v_bfe_u32 v37, v35, 16, 1
	v_bfe_u32 v39, v34, 16, 1
	v_add3_u32 v34, v34, v39, s10
	v_add3_u32 v35, v35, v37, s10
	s_mul_i32 s9, s33, 7
	v_perm_b32 v39, v35, v34, s11
	v_cmp_gt_u32_e32 vcc, 7, v0
	ds_write2st64_b64 v36, v[42:43], v[38:39] offset0:2 offset1:3
	s_and_saveexec_b64 s[2:3], vcc
	s_cbranch_execz .LBB234_15
; %bb.14:
	v_add_co_u32_e32 v38, vcc, s29, v52
	v_addc_co_u32_e64 v39, s[16:17], 0, 0, vcc
	v_mov_b32_e32 v34, s9
	v_mov_b32_e32 v35, 0
	v_mad_u64_u32 v[38:39], s[16:17], s6, v34, v[38:39]
	v_mov_b32_e32 v34, s28
	s_load_dwordx4 s[12:15], s[4:5], 0x58
	s_mul_i32 s7, s7, s9
	v_mad_u64_u32 v[34:35], s[16:17], v38, s8, v[34:35]
	v_add_u32_e32 v37, s7, v39
	v_mov_b32_e32 v38, v35
	v_mad_u64_u32 v[38:39], s[16:17], v37, s8, v[38:39]
	v_mov_b32_e32 v35, v38
	v_lshlrev_b64 v[34:35], 2, v[34:35]
	s_waitcnt lgkmcnt(0)
	v_mov_b32_e32 v37, s15
	v_add_co_u32_e32 v38, vcc, s14, v34
	v_addc_co_u32_e32 v39, vcc, v37, v35, vcc
	v_mov_b32_e32 v37, s13
	v_add_co_u32_e32 v34, vcc, s12, v34
	v_addc_co_u32_e32 v35, vcc, v37, v35, vcc
	global_store_dword v[38:39], v54, off
	global_store_dword v[34:35], v56, off
.LBB234_15:
	s_or_b64 exec, exec, s[2:3]
	v_lshl_or_b32 v34, v1, 9, v55
	s_waitcnt lgkmcnt(0)
	s_barrier
	ds_read_b128 v[38:41], v34
	ds_read_b128 v[42:45], v34 offset:16
	s_waitcnt vmcnt(7) lgkmcnt(1)
	v_mfma_f32_16x16x16bf16_1k v[46:49], v[14:15], v[38:39], 0
	v_cmp_gt_u32_e32 vcc, 64, v0
	s_mov_b32 s3, 0
	s_and_b64 s[0:1], vcc, s[0:1]
	v_mfma_f32_16x16x16bf16_1k v[14:17], v[16:17], v[40:41], v[46:49]
	s_waitcnt vmcnt(6) lgkmcnt(0)
	v_mfma_f32_16x16x16bf16_1k v[14:17], v[10:11], v[42:43], v[14:17]
	v_mfma_f32_16x16x16bf16_1k v[10:13], v[12:13], v[44:45], v[14:17]
	s_nop 7
	s_nop 1
	ds_read_b128 v[14:17], v34 offset:2048
	ds_read_b128 v[38:41], v34 offset:2064
	s_waitcnt vmcnt(5) lgkmcnt(1)
	v_mfma_f32_16x16x16bf16_1k v[10:13], v[6:7], v[14:15], v[10:13]
	v_mfma_f32_16x16x16bf16_1k v[6:9], v[8:9], v[16:17], v[10:13]
	s_waitcnt vmcnt(4) lgkmcnt(0)
	v_mfma_f32_16x16x16bf16_1k v[6:9], v[2:3], v[38:39], v[6:9]
	v_mfma_f32_16x16x16bf16_1k v[2:5], v[4:5], v[40:41], v[6:9]
	s_nop 7
	s_nop 1
	ds_read_b128 v[6:9], v34 offset:4096
	ds_read_b128 v[10:13], v34 offset:4112
	s_waitcnt vmcnt(3) lgkmcnt(1)
	v_mfma_f32_16x16x16bf16_1k v[2:5], v[30:31], v[6:7], v[2:5]
	v_mfma_f32_16x16x16bf16_1k v[2:5], v[32:33], v[8:9], v[2:5]
	s_waitcnt vmcnt(2) lgkmcnt(0)
	v_mfma_f32_16x16x16bf16_1k v[2:5], v[22:23], v[10:11], v[2:5]
	v_mfma_f32_16x16x16bf16_1k v[2:5], v[24:25], v[12:13], v[2:5]
	ds_read_b128 v[6:9], v34 offset:6144
	ds_read_b128 v[10:13], v34 offset:6160
	s_waitcnt lgkmcnt(0)
	s_barrier
	s_waitcnt vmcnt(1)
	v_mfma_f32_16x16x16bf16_1k v[2:5], v[26:27], v[6:7], v[2:5]
	v_mfma_f32_16x16x16bf16_1k v[2:5], v[28:29], v[8:9], v[2:5]
	s_waitcnt vmcnt(0)
	v_mfma_f32_16x16x16bf16_1k v[2:5], v[18:19], v[10:11], v[2:5]
	v_mfma_f32_16x16x16bf16_1k v[2:5], v[20:21], v[12:13], v[2:5]
	s_nop 7
	s_nop 2
	v_bfe_u32 v6, v3, 16, 1
	v_bfe_u32 v7, v2, 16, 1
	;; [unrolled: 1-line block ×4, first 2 shown]
	v_add3_u32 v2, v2, v7, s10
	v_add3_u32 v3, v3, v6, s10
	;; [unrolled: 1-line block ×4, first 2 shown]
	v_perm_b32 v2, v3, v2, s11
	v_perm_b32 v3, v5, v4, s11
	ds_write_b64 v36, v[2:3]
	s_waitcnt lgkmcnt(0)
	s_barrier
	s_and_saveexec_b64 s[10:11], s[0:1]
	s_cbranch_execz .LBB234_18
; %bb.16:
	s_load_dwordx2 s[4:5], s[4:5], 0x68
	s_lshl_b32 s0, s8, 6
	s_mul_i32 s1, s9, s6
	s_mul_hi_u32 s7, s1, s0
	s_mul_i32 s6, s1, s0
	s_lshl_b64 s[6:7], s[6:7], 1
	s_waitcnt lgkmcnt(0)
	s_add_u32 s1, s4, s6
	s_addc_u32 s4, s5, s7
	s_lshl_b32 s2, s28, 6
	v_lshlrev_b32_e32 v0, 10, v0
	s_lshl_b64 s[2:3], s[2:3], 1
	v_and_b32_e32 v0, 0x1800, v0
	v_lshlrev_b32_e32 v2, 5, v1
	v_and_b32_e32 v3, 16, v51
	s_add_u32 s1, s1, s2
	v_or3_b32 v0, v0, v2, v3
	s_addc_u32 s2, s4, s3
	v_add_u32_e32 v8, s29, v1
	v_mov_b32_e32 v3, s2
	v_add_co_u32_e32 v2, vcc, s1, v50
	ds_read_b128 v[4:7], v0
	v_mad_u64_u32 v[8:9], s[2:3], v8, s0, 0
	v_addc_co_u32_e32 v3, vcc, 0, v3, vcc
	v_lshlrev_b64 v[8:9], 1, v[8:9]
	v_add_co_u32_e32 v8, vcc, v2, v8
	v_addc_co_u32_e32 v9, vcc, v3, v9, vcc
	v_cmp_ne_u32_e32 vcc, 3, v1
	s_waitcnt lgkmcnt(0)
	global_store_dwordx4 v[8:9], v[4:7], off
	s_and_b64 exec, exec, vcc
	s_cbranch_execz .LBB234_18
; %bb.17:
	ds_read_b128 v[4:7], v0 offset:128
	v_add3_u32 v0, s29, v1, 4
	v_mad_u64_u32 v[0:1], s[0:1], v0, s0, 0
	v_lshlrev_b64 v[0:1], 1, v[0:1]
	v_add_co_u32_e32 v0, vcc, v2, v0
	v_addc_co_u32_e32 v1, vcc, v3, v1, vcc
	s_waitcnt lgkmcnt(0)
	global_store_dwordx4 v[0:1], v[4:7], off
.LBB234_18:
	s_endpgm
	.section	.rodata,"a",@progbits
	.p2align	6, 0x0
	.amdhsa_kernel _Z39paged_attention_ll4mi_QKV_mfma16_kernelI14__hip_bfloat16S0_LN4vllm18Fp8KVCacheDataTypeE0ES0_Li16ELi64ELi256ELb0ELi7EL8MFMAType0EEvPKT_PKT0_S9_ifPKiSB_SB_iPKfiiiPfSE_PS4_PT2_iSD_SD_
		.amdhsa_group_segment_fixed_size 8192
		.amdhsa_private_segment_fixed_size 0
		.amdhsa_kernarg_size 400
		.amdhsa_user_sgpr_count 6
		.amdhsa_user_sgpr_private_segment_buffer 1
		.amdhsa_user_sgpr_dispatch_ptr 0
		.amdhsa_user_sgpr_queue_ptr 0
		.amdhsa_user_sgpr_kernarg_segment_ptr 1
		.amdhsa_user_sgpr_dispatch_id 0
		.amdhsa_user_sgpr_flat_scratch_init 0
		.amdhsa_user_sgpr_kernarg_preload_length 0
		.amdhsa_user_sgpr_kernarg_preload_offset 0
		.amdhsa_user_sgpr_private_segment_size 0
		.amdhsa_uses_dynamic_stack 0
		.amdhsa_system_sgpr_private_segment_wavefront_offset 0
		.amdhsa_system_sgpr_workgroup_id_x 1
		.amdhsa_system_sgpr_workgroup_id_y 1
		.amdhsa_system_sgpr_workgroup_id_z 1
		.amdhsa_system_sgpr_workgroup_info 0
		.amdhsa_system_vgpr_workitem_id 0
		.amdhsa_next_free_vgpr 67
		.amdhsa_next_free_sgpr 48
		.amdhsa_accum_offset 68
		.amdhsa_reserve_vcc 1
		.amdhsa_reserve_flat_scratch 0
		.amdhsa_float_round_mode_32 0
		.amdhsa_float_round_mode_16_64 0
		.amdhsa_float_denorm_mode_32 3
		.amdhsa_float_denorm_mode_16_64 3
		.amdhsa_dx10_clamp 1
		.amdhsa_ieee_mode 1
		.amdhsa_fp16_overflow 0
		.amdhsa_tg_split 0
		.amdhsa_exception_fp_ieee_invalid_op 0
		.amdhsa_exception_fp_denorm_src 0
		.amdhsa_exception_fp_ieee_div_zero 0
		.amdhsa_exception_fp_ieee_overflow 0
		.amdhsa_exception_fp_ieee_underflow 0
		.amdhsa_exception_fp_ieee_inexact 0
		.amdhsa_exception_int_div_zero 0
	.end_amdhsa_kernel
	.section	.text._Z39paged_attention_ll4mi_QKV_mfma16_kernelI14__hip_bfloat16S0_LN4vllm18Fp8KVCacheDataTypeE0ES0_Li16ELi64ELi256ELb0ELi7EL8MFMAType0EEvPKT_PKT0_S9_ifPKiSB_SB_iPKfiiiPfSE_PS4_PT2_iSD_SD_,"axG",@progbits,_Z39paged_attention_ll4mi_QKV_mfma16_kernelI14__hip_bfloat16S0_LN4vllm18Fp8KVCacheDataTypeE0ES0_Li16ELi64ELi256ELb0ELi7EL8MFMAType0EEvPKT_PKT0_S9_ifPKiSB_SB_iPKfiiiPfSE_PS4_PT2_iSD_SD_,comdat
.Lfunc_end234:
	.size	_Z39paged_attention_ll4mi_QKV_mfma16_kernelI14__hip_bfloat16S0_LN4vllm18Fp8KVCacheDataTypeE0ES0_Li16ELi64ELi256ELb0ELi7EL8MFMAType0EEvPKT_PKT0_S9_ifPKiSB_SB_iPKfiiiPfSE_PS4_PT2_iSD_SD_, .Lfunc_end234-_Z39paged_attention_ll4mi_QKV_mfma16_kernelI14__hip_bfloat16S0_LN4vllm18Fp8KVCacheDataTypeE0ES0_Li16ELi64ELi256ELb0ELi7EL8MFMAType0EEvPKT_PKT0_S9_ifPKiSB_SB_iPKfiiiPfSE_PS4_PT2_iSD_SD_
                                        ; -- End function
	.section	.AMDGPU.csdata,"",@progbits
; Kernel info:
; codeLenInByte = 4212
; NumSgprs: 52
; NumVgprs: 67
; NumAgprs: 0
; TotalNumVgprs: 67
; ScratchSize: 0
; MemoryBound: 0
; FloatMode: 240
; IeeeMode: 1
; LDSByteSize: 8192 bytes/workgroup (compile time only)
; SGPRBlocks: 6
; VGPRBlocks: 8
; NumSGPRsForWavesPerEU: 52
; NumVGPRsForWavesPerEU: 67
; AccumOffset: 68
; Occupancy: 7
; WaveLimiterHint : 1
; COMPUTE_PGM_RSRC2:SCRATCH_EN: 0
; COMPUTE_PGM_RSRC2:USER_SGPR: 6
; COMPUTE_PGM_RSRC2:TRAP_HANDLER: 0
; COMPUTE_PGM_RSRC2:TGID_X_EN: 1
; COMPUTE_PGM_RSRC2:TGID_Y_EN: 1
; COMPUTE_PGM_RSRC2:TGID_Z_EN: 1
; COMPUTE_PGM_RSRC2:TIDIG_COMP_CNT: 0
; COMPUTE_PGM_RSRC3_GFX90A:ACCUM_OFFSET: 16
; COMPUTE_PGM_RSRC3_GFX90A:TG_SPLIT: 0
	.section	.text._Z39paged_attention_ll4mi_QKV_mfma16_kernelI14__hip_bfloat16S0_LN4vllm18Fp8KVCacheDataTypeE0ES0_Li16ELi64ELi256ELb0ELi8EL8MFMAType0EEvPKT_PKT0_S9_ifPKiSB_SB_iPKfiiiPfSE_PS4_PT2_iSD_SD_,"axG",@progbits,_Z39paged_attention_ll4mi_QKV_mfma16_kernelI14__hip_bfloat16S0_LN4vllm18Fp8KVCacheDataTypeE0ES0_Li16ELi64ELi256ELb0ELi8EL8MFMAType0EEvPKT_PKT0_S9_ifPKiSB_SB_iPKfiiiPfSE_PS4_PT2_iSD_SD_,comdat
	.protected	_Z39paged_attention_ll4mi_QKV_mfma16_kernelI14__hip_bfloat16S0_LN4vllm18Fp8KVCacheDataTypeE0ES0_Li16ELi64ELi256ELb0ELi8EL8MFMAType0EEvPKT_PKT0_S9_ifPKiSB_SB_iPKfiiiPfSE_PS4_PT2_iSD_SD_ ; -- Begin function _Z39paged_attention_ll4mi_QKV_mfma16_kernelI14__hip_bfloat16S0_LN4vllm18Fp8KVCacheDataTypeE0ES0_Li16ELi64ELi256ELb0ELi8EL8MFMAType0EEvPKT_PKT0_S9_ifPKiSB_SB_iPKfiiiPfSE_PS4_PT2_iSD_SD_
	.globl	_Z39paged_attention_ll4mi_QKV_mfma16_kernelI14__hip_bfloat16S0_LN4vllm18Fp8KVCacheDataTypeE0ES0_Li16ELi64ELi256ELb0ELi8EL8MFMAType0EEvPKT_PKT0_S9_ifPKiSB_SB_iPKfiiiPfSE_PS4_PT2_iSD_SD_
	.p2align	8
	.type	_Z39paged_attention_ll4mi_QKV_mfma16_kernelI14__hip_bfloat16S0_LN4vllm18Fp8KVCacheDataTypeE0ES0_Li16ELi64ELi256ELb0ELi8EL8MFMAType0EEvPKT_PKT0_S9_ifPKiSB_SB_iPKfiiiPfSE_PS4_PT2_iSD_SD_,@function
_Z39paged_attention_ll4mi_QKV_mfma16_kernelI14__hip_bfloat16S0_LN4vllm18Fp8KVCacheDataTypeE0ES0_Li16ELi64ELi256ELb0ELi8EL8MFMAType0EEvPKT_PKT0_S9_ifPKiSB_SB_iPKfiiiPfSE_PS4_PT2_iSD_SD_: ; @_Z39paged_attention_ll4mi_QKV_mfma16_kernelI14__hip_bfloat16S0_LN4vllm18Fp8KVCacheDataTypeE0ES0_Li16ELi64ELi256ELb0ELi8EL8MFMAType0EEvPKT_PKT0_S9_ifPKiSB_SB_iPKfiiiPfSE_PS4_PT2_iSD_SD_
; %bb.0:
	s_load_dwordx2 s[0:1], s[4:5], 0x30
	s_mov_b32 s28, s7
	s_mov_b64 s[10:11], 0
	s_waitcnt lgkmcnt(0)
	s_cmp_lg_u64 s[0:1], 0
	s_cselect_b64 s[2:3], -1, 0
	s_and_b64 vcc, exec, s[2:3]
	s_cbranch_vccz .LBB235_7
; %bb.1:
	s_add_i32 s12, s6, 1
	s_mov_b32 s13, 0
	s_lshl_b64 s[14:15], s[12:13], 2
	s_add_u32 s14, s0, s14
	s_mov_b32 s7, s13
	s_addc_u32 s15, s1, s15
	s_lshl_b64 s[12:13], s[6:7], 2
	s_add_u32 s12, s0, s12
	s_addc_u32 s13, s1, s13
	s_load_dword s9, s[14:15], 0x0
	s_load_dword s16, s[12:13], 0x0
	s_waitcnt lgkmcnt(0)
	s_sub_i32 s9, s9, s16
	s_cmp_eq_u32 s9, 1
	s_cselect_b64 s[12:13], -1, 0
	s_andn2_b64 vcc, exec, s[10:11]
	s_cbranch_vccnz .LBB235_3
.LBB235_2:
	s_mov_b32 s7, 0
	s_mov_b64 s[12:13], -1
.LBB235_3:
	s_andn2_b64 vcc, exec, s[12:13]
	s_cbranch_vccnz .LBB235_17
; %bb.4:
	s_load_dwordx2 s[12:13], s[4:5], 0x28
	s_lshl_b64 s[10:11], s[6:7], 2
	s_waitcnt lgkmcnt(0)
	s_add_u32 s12, s12, s10
	s_addc_u32 s13, s13, s11
	s_load_dword s40, s[12:13], 0x0
	s_lshl_b32 s16, s28, 8
	s_waitcnt lgkmcnt(0)
	s_cmp_ge_i32 s16, s40
	s_cbranch_scc1 .LBB235_17
; %bb.5:
	s_add_i32 s14, s40, 15
	s_load_dwordx2 s[12:13], s[4:5], 0x20
	s_load_dword s9, s[4:5], 0x38
	s_ashr_i32 s15, s14, 31
	v_and_b32_e32 v1, 0xcf, v0
	s_lshr_b32 s15, s15, 28
	v_add_u32_e32 v1, s16, v1
	s_add_i32 s14, s14, s15
	v_ashrrev_i32_e32 v2, 31, v1
	s_ashr_i32 s19, s14, 4
	v_lshrrev_b32_e32 v10, 28, v2
	s_add_i32 s19, s19, -1
	v_add_u32_e32 v2, v1, v10
	s_waitcnt lgkmcnt(0)
	s_mul_i32 s14, s6, s9
	s_mov_b32 s15, 0
	v_ashrrev_i32_e32 v2, 4, v2
	v_mov_b32_e32 v11, s19
	v_cmp_gt_i32_e32 vcc, s40, v1
	s_lshl_b64 s[14:15], s[14:15], 2
	v_cndmask_b32_e32 v2, v11, v2, vcc
	s_add_u32 s17, s12, s14
	v_ashrrev_i32_e32 v3, 31, v2
	s_addc_u32 s18, s13, s15
	v_lshlrev_b64 v[2:3], 2, v[2:3]
	v_mov_b32_e32 v5, s18
	v_add_co_u32_e32 v4, vcc, s17, v2
	v_or_b32_e32 v2, 16, v1
	v_addc_co_u32_e32 v5, vcc, v5, v3, vcc
	v_add_u32_e32 v3, v2, v10
	v_ashrrev_i32_e32 v3, 4, v3
	v_cmp_gt_i32_e32 vcc, s40, v2
	v_cndmask_b32_e32 v2, v11, v3, vcc
	v_ashrrev_i32_e32 v3, 31, v2
	v_lshlrev_b64 v[2:3], 2, v[2:3]
	v_mov_b32_e32 v7, s18
	v_add_co_u32_e32 v6, vcc, s17, v2
	v_or_b32_e32 v2, 32, v1
	v_addc_co_u32_e32 v7, vcc, v7, v3, vcc
	v_add_u32_e32 v3, v2, v10
	v_ashrrev_i32_e32 v3, 4, v3
	v_cmp_gt_i32_e32 vcc, s40, v2
	v_cndmask_b32_e32 v2, v11, v3, vcc
	v_ashrrev_i32_e32 v3, 31, v2
	;; [unrolled: 10-line block ×3, first 2 shown]
	v_lshlrev_b64 v[2:3], 2, v[2:3]
	v_mov_b32_e32 v1, s18
	v_add_co_u32_e32 v10, vcc, s17, v2
	v_addc_co_u32_e32 v11, vcc, v1, v3, vcc
	global_load_dword v3, v[4:5], off
	global_load_dword v2, v[6:7], off
	;; [unrolled: 1-line block ×4, first 2 shown]
	s_load_dwordx4 s[12:15], s[4:5], 0x8
	s_andn2_b64 vcc, exec, s[2:3]
	s_cbranch_vccnz .LBB235_8
; %bb.6:
	s_add_u32 s0, s0, s10
	s_addc_u32 s1, s1, s11
	s_load_dword s9, s[0:1], 0x0
	s_branch .LBB235_9
.LBB235_7:
	s_mov_b64 s[12:13], 0
	s_branch .LBB235_2
.LBB235_8:
	s_mov_b32 s9, s6
.LBB235_9:
	s_load_dwordx4 s[44:47], s[4:5], 0x48
	v_and_b32_e32 v54, 15, v0
	s_movk_i32 s0, 0x80
	v_lshlrev_b32_e32 v4, 3, v54
	v_cmp_gt_u32_e32 vcc, s0, v0
	v_cmp_gt_u32_e64 s[0:1], 8, v54
	v_lshrrev_b32_e32 v52, 6, v0
	v_and_b32_e32 v53, 63, v0
	v_bfe_u32 v1, v0, 4, 2
	s_lshl_b32 s29, s8, 3
	s_and_b64 s[10:11], vcc, s[0:1]
	v_lshlrev_b32_e32 v50, 1, v4
	s_and_saveexec_b64 s[2:3], s[10:11]
	s_cbranch_execz .LBB235_11
; %bb.10:
	s_load_dwordx2 s[10:11], s[4:5], 0x0
	s_waitcnt lgkmcnt(0)
	s_ashr_i32 s20, s44, 31
	s_mul_hi_u32 s21, s9, s44
	s_mul_i32 s20, s9, s20
	v_lshl_or_b32 v8, v52, 2, v1
	s_add_i32 s21, s21, s20
	s_mul_i32 s20, s9, s44
	s_lshl_b64 s[20:21], s[20:21], 1
	v_add_lshl_u32 v4, v8, s29, 6
	s_add_u32 s9, s10, s20
	v_ashrrev_i32_e32 v5, 31, v4
	s_addc_u32 s10, s11, s21
	v_lshlrev_b64 v[4:5], 1, v[4:5]
	v_mov_b32_e32 v6, s10
	v_add_co_u32_e32 v4, vcc, s9, v4
	v_addc_co_u32_e32 v5, vcc, v6, v5, vcc
	v_add_co_u32_e32 v4, vcc, v4, v50
	v_addc_co_u32_e32 v5, vcc, 0, v5, vcc
	global_load_dwordx4 v[4:7], v[4:5], off
	v_and_b32_e32 v9, 3, v0
	v_lshlrev_b32_e32 v10, 9, v54
	v_lshlrev_b32_e32 v8, 5, v8
	;; [unrolled: 1-line block ×3, first 2 shown]
	v_and_b32_e32 v10, 0x1800, v10
	v_or3_b32 v8, v10, v9, v8
	s_waitcnt vmcnt(0)
	ds_write_b128 v8, v[4:7]
.LBB235_11:
	s_or_b64 exec, exec, s[2:3]
	s_waitcnt lgkmcnt(0)
	s_mul_i32 s8, s8, s46
	s_mov_b32 s9, 0
	s_lshl_b64 s[8:9], s[8:9], 1
	s_add_u32 s3, s12, s8
	v_lshlrev_b32_e32 v51, 4, v0
	s_addc_u32 s10, s13, s9
	v_and_b32_e32 v4, 0xf0, v51
	v_mov_b32_e32 v5, s10
	v_add_co_u32_e32 v29, vcc, s3, v4
	v_addc_co_u32_e32 v30, vcc, 0, v5, vcc
	s_waitcnt vmcnt(3)
	v_mad_i64_i32 v[4:5], s[10:11], v3, s45, 0
	v_lshlrev_b64 v[4:5], 1, v[4:5]
	v_add_co_u32_e32 v3, vcc, v29, v4
	v_addc_co_u32_e32 v5, vcc, v30, v5, vcc
	v_and_b32_e32 v31, 0x300, v51
	v_add_co_u32_e32 v4, vcc, v3, v31
	v_addc_co_u32_e32 v5, vcc, 0, v5, vcc
	s_load_dword s33, s[4:5], 0x98
	s_load_dword s2, s[4:5], 0x1c
	s_waitcnt lgkmcnt(0)
	s_barrier
	global_load_dwordx4 v[6:9], v[4:5], off
	s_waitcnt vmcnt(3)
	v_mad_i64_i32 v[2:3], s[10:11], v2, s45, 0
	v_lshlrev_b64 v[2:3], 1, v[2:3]
	v_add_co_u32_e32 v2, vcc, v29, v2
	v_addc_co_u32_e32 v3, vcc, v30, v3, vcc
	v_add_co_u32_e32 v2, vcc, v2, v31
	v_addc_co_u32_e32 v3, vcc, 0, v3, vcc
	global_load_dwordx4 v[22:25], v[2:3], off
	global_load_dwordx4 v[10:13], v[4:5], off offset:1024
	global_load_dwordx4 v[14:17], v[2:3], off offset:1024
	v_and_b32_e32 v2, 7, v0
	v_lshlrev_b32_e32 v2, 5, v2
	v_lshl_or_b32 v20, v1, 9, v2
	ds_read_b128 v[2:5], v20
	s_waitcnt vmcnt(5)
	v_mad_i64_i32 v[18:19], s[10:11], v18, s45, 0
	v_lshlrev_b64 v[26:27], 1, v[18:19]
	ds_read_b128 v[18:21], v20 offset:2048
	v_and_or_b32 v55, v0, 48, s16
	v_mov_b32_e32 v60, s19
	v_mov_b32_e32 v49, s18
	v_or_b32_e32 v57, 0x80, v55
	v_mov_b32_e32 v56, s18
	v_mov_b32_e32 v61, s18
	s_add_u32 s3, s14, s8
	s_addc_u32 s8, s15, s9
	s_mov_b32 s42, 0xff7fffff
	s_waitcnt vmcnt(2) lgkmcnt(1)
	v_mfma_f32_16x16x16bf16_1k v[36:39], v[22:23], v[2:3], 0
	v_mad_i64_i32 v[22:23], s[10:11], v28, s45, 0
	v_lshlrev_b64 v[44:45], 1, v[22:23]
	v_ashrrev_i32_e32 v22, 4, v55
	v_or_b32_e32 v28, 64, v55
	v_mfma_f32_16x16x16bf16_1k v[32:35], v[6:7], v[2:3], 0
	v_add_co_u32_e32 v6, vcc, v29, v26
	v_addc_co_u32_e32 v7, vcc, v30, v27, vcc
	v_add_co_u32_e32 v26, vcc, v6, v31
	v_addc_co_u32_e32 v27, vcc, 0, v7, vcc
	global_load_dwordx4 v[40:43], v[26:27], off
	v_mfma_f32_16x16x16bf16_1k v[6:9], v[8:9], v[4:5], v[32:35]
	v_cmp_gt_i32_e32 vcc, s40, v55
	v_cndmask_b32_e32 v46, v60, v22, vcc
	v_cmp_gt_i32_e32 vcc, s40, v28
	v_ashrrev_i32_e32 v47, 31, v46
	s_nop 2
	global_load_dwordx4 v[32:35], v[26:27], off offset:1024
	v_mfma_f32_16x16x16bf16_1k v[22:25], v[24:25], v[4:5], v[36:39]
	s_nop 6
	v_ashrrev_i32_e32 v36, 4, v28
	v_cndmask_b32_e32 v48, v60, v36, vcc
	s_waitcnt vmcnt(3) lgkmcnt(0)
	v_mfma_f32_16x16x16bf16_1k v[6:9], v[10:11], v[18:19], v[6:9]
	v_add_co_u32_e32 v10, vcc, v29, v44
	v_addc_co_u32_e32 v11, vcc, v30, v45, vcc
	v_add_co_u32_e32 v10, vcc, v10, v31
	v_addc_co_u32_e32 v11, vcc, 0, v11, vcc
	v_lshlrev_b64 v[36:37], 2, v[46:47]
	global_load_dwordx4 v[26:29], v[10:11], off
	s_waitcnt vmcnt(3)
	v_mfma_f32_16x16x16bf16_1k v[22:25], v[14:15], v[18:19], v[22:25]
	v_add_co_u32_e32 v14, vcc, s17, v36
	v_addc_co_u32_e32 v15, vcc, v49, v37, vcc
	global_load_dword v44, v[14:15], off
	v_ashrrev_i32_e32 v38, 4, v57
	v_cmp_gt_i32_e32 vcc, s40, v57
	v_ashrrev_i32_e32 v49, 31, v48
	v_cndmask_b32_e32 v14, v60, v38, vcc
	v_mfma_f32_16x16x16bf16_1k v[36:39], v[12:13], v[20:21], v[6:9]
	v_ashrrev_i32_e32 v15, 31, v14
	v_mov_b32_e32 v12, s18
	s_nop 4
	v_lshlrev_b64 v[6:7], 2, v[48:49]
	v_add_co_u32_e32 v6, vcc, s17, v6
	v_addc_co_u32_e32 v7, vcc, v56, v7, vcc
	global_load_dwordx4 v[56:59], v[10:11], off offset:1024
	global_load_dword v45, v[6:7], off
	v_lshlrev_b64 v[6:7], 2, v[14:15]
	v_add_co_u32_e32 v10, vcc, s17, v6
	v_addc_co_u32_e32 v11, vcc, v61, v7, vcc
	s_waitcnt vmcnt(5)
	v_mfma_f32_16x16x16bf16_1k v[6:9], v[40:41], v[2:3], 0
	global_load_dword v40, v[10:11], off
	v_or_b32_e32 v10, 0xc0, v55
	v_ashrrev_i32_e32 v11, 4, v10
	v_cmp_gt_i32_e32 vcc, s40, v10
	v_cndmask_b32_e32 v10, v60, v11, vcc
	v_ashrrev_i32_e32 v11, 31, v10
	v_lshlrev_b64 v[10:11], 2, v[10:11]
	v_mfma_f32_16x16x16bf16_1k v[6:9], v[42:43], v[4:5], v[6:9]
	v_add_co_u32_e32 v10, vcc, s17, v10
	v_addc_co_u32_e32 v11, vcc, v12, v11, vcc
	global_load_dword v60, v[10:11], off
	v_lshlrev_b32_e32 v55, 5, v54
	v_lshl_or_b32 v10, v52, 9, v55
	s_waitcnt vmcnt(6)
	v_mfma_f32_16x16x16bf16_1k v[6:9], v[32:33], v[18:19], v[6:9]
	v_mov_b32_e32 v11, s8
	v_add_co_u32_e32 v61, vcc, s3, v10
	v_addc_co_u32_e32 v62, vcc, 0, v11, vcc
	v_pk_mul_f32 v[46:47], s[2:3], v[38:39] op_sel_hi:[0,1]
	v_lshlrev_b32_e32 v54, 2, v54
	v_mfma_f32_16x16x16bf16_1k v[30:33], v[34:35], v[20:21], v[6:9]
	s_waitcnt vmcnt(1)
	v_mad_i64_i32 v[34:35], s[8:9], v40, s45, 0
	s_nop 4
	v_mad_i64_i32 v[6:7], s[8:9], v44, s45, 0
	v_lshlrev_b64 v[10:11], 1, v[6:7]
	v_mfma_f32_16x16x16bf16_1k v[6:9], v[26:27], v[2:3], 0
	v_add_co_u32_e32 v2, vcc, v61, v10
	v_addc_co_u32_e32 v3, vcc, v62, v11, vcc
	v_lshlrev_b64 v[34:35], 1, v[34:35]
	v_pk_mul_f32 v[42:43], s[2:3], v[30:31] op_sel_hi:[0,1]
	v_mfma_f32_16x16x16bf16_1k v[26:29], v[28:29], v[4:5], v[6:9]
	v_mfma_f32_16x16x16bf16_1k v[22:25], v[16:17], v[20:21], v[22:25]
	global_load_dwordx4 v[14:17], v[2:3], off
	global_load_dwordx4 v[10:13], v[2:3], off offset:16
	v_mad_i64_i32 v[2:3], s[8:9], v45, s45, 0
	v_lshlrev_b64 v[2:3], 1, v[2:3]
	v_add_co_u32_e32 v2, vcc, v61, v2
	v_addc_co_u32_e32 v3, vcc, v62, v3, vcc
	v_mfma_f32_16x16x16bf16_1k v[26:29], v[56:57], v[18:19], v[26:29]
	s_nop 3
	v_pk_mul_f32 v[38:39], s[2:3], v[22:23] op_sel_hi:[0,1]
	v_add_co_u32_e32 v56, vcc, v61, v34
	v_addc_co_u32_e32 v57, vcc, v62, v35, vcc
	v_pk_mul_f32 v[18:19], s[2:3], v[36:37] op_sel_hi:[0,1]
	v_pk_mul_f32 v[48:49], s[2:3], v[24:25] op_sel_hi:[0,1]
	v_mfma_f32_16x16x16bf16_1k v[20:23], v[58:59], v[20:21], v[26:29]
	v_pk_mul_f32 v[44:45], s[2:3], v[32:33] op_sel_hi:[0,1]
	global_load_dwordx4 v[6:9], v[2:3], off
	s_nop 0
	global_load_dwordx4 v[2:5], v[2:3], off offset:16
	s_nop 6
	v_pk_mul_f32 v[40:41], s[2:3], v[20:21] op_sel_hi:[0,1]
	v_and_b32_e32 v20, 0xc0, v0
	v_add_u32_e32 v20, s16, v20
	v_lshl_or_b32 v20, v1, 2, v20
	v_pk_mul_f32 v[34:35], s[2:3], v[22:23] op_sel_hi:[0,1]
	v_or_b32_e32 v23, 1, v20
	v_mov_b32_e32 v21, 0xff7fffff
	v_cmp_gt_i32_e64 s[30:31], s40, v20
	v_cmp_gt_i32_e64 s[34:35], s40, v23
	v_cndmask_b32_e64 v22, v21, v18, s[30:31]
	v_cndmask_b32_e64 v23, v21, v19, s[34:35]
	v_max3_f32 v22, v22, s42, v23
	v_or_b32_e32 v23, 2, v20
	v_or_b32_e32 v24, 3, v20
	v_cmp_gt_i32_e64 s[36:37], s40, v23
	v_cmp_gt_i32_e64 s[38:39], s40, v24
	v_cndmask_b32_e64 v23, v21, v46, s[36:37]
	v_cndmask_b32_e64 v24, v21, v47, s[38:39]
	v_max3_f32 v22, v22, v23, v24
	v_or_b32_e32 v23, 16, v20
	v_or_b32_e32 v24, 17, v20
	;; [unrolled: 7-line block ×7, first 2 shown]
	v_cmp_gt_i32_e32 vcc, s40, v23
	v_cmp_gt_i32_e64 s[2:3], s40, v20
	v_cndmask_b32_e32 v23, v21, v34, vcc
	v_cndmask_b32_e64 v20, v21, v35, s[2:3]
	v_max3_f32 v26, v22, v23, v20
	v_mbcnt_lo_u32_b32 v20, -1, 0
	v_mbcnt_hi_u32_b32 v27, -1, v20
	v_and_b32_e32 v20, 64, v27
	v_add_u32_e32 v28, 64, v20
	v_xor_b32_e32 v20, 32, v27
	v_cmp_lt_i32_e64 s[40:41], v20, v28
	v_cndmask_b32_e64 v20, v27, v20, s[40:41]
	v_lshlrev_b32_e32 v58, 2, v20
	ds_bpermute_b32 v29, v58, v26
	s_waitcnt vmcnt(4)
	v_mad_i64_i32 v[20:21], s[40:41], v60, s45, 0
	global_load_dwordx4 v[30:33], v[56:57], off
	global_load_dwordx4 v[22:25], v[56:57], off offset:16
	v_lshlrev_b64 v[20:21], 1, v[20:21]
	s_waitcnt lgkmcnt(0)
	v_max_f32_e32 v29, v29, v29
	v_max_f32_e32 v26, v26, v29
	v_xor_b32_e32 v29, 16, v27
	v_cmp_lt_i32_e64 s[40:41], v29, v28
	v_cndmask_b32_e64 v27, v27, v29, s[40:41]
	v_lshlrev_b32_e32 v59, 2, v27
	ds_bpermute_b32 v27, v59, v26
	v_add_co_u32_e64 v20, s[40:41], v61, v20
	v_addc_co_u32_e64 v21, s[40:41], v62, v21, s[40:41]
	s_waitcnt lgkmcnt(0)
	v_max_f32_e32 v27, v27, v27
	v_max_f32_e32 v56, v26, v27
	v_sub_f32_e32 v18, v18, v56
	v_mul_f32_e32 v18, 0x3fb8aa3b, v18
	v_exp_f32_e32 v36, v18
	v_sub_f32_e32 v18, v19, v56
	v_mul_f32_e32 v18, 0x3fb8aa3b, v18
	v_exp_f32_e32 v37, v18
	global_load_dwordx4 v[26:29], v[20:21], off
	s_nop 0
	global_load_dwordx4 v[18:21], v[20:21], off offset:16
	v_sub_f32_e32 v46, v46, v56
	v_mul_f32_e32 v46, 0x3fb8aa3b, v46
	v_sub_f32_e32 v47, v47, v56
	v_exp_f32_e32 v46, v46
	v_mul_f32_e32 v47, 0x3fb8aa3b, v47
	v_sub_f32_e32 v38, v38, v56
	v_exp_f32_e32 v47, v47
	v_mul_f32_e32 v38, 0x3fb8aa3b, v38
	v_sub_f32_e32 v39, v39, v56
	v_cndmask_b32_e64 v36, 0, v36, s[30:31]
	v_exp_f32_e32 v38, v38
	v_mul_f32_e32 v39, 0x3fb8aa3b, v39
	v_sub_f32_e32 v48, v48, v56
	v_add_f32_e32 v57, 0, v36
	v_cndmask_b32_e64 v37, 0, v37, s[34:35]
	v_exp_f32_e32 v39, v39
	v_mul_f32_e32 v48, 0x3fb8aa3b, v48
	v_sub_f32_e32 v49, v49, v56
	v_add_f32_e32 v57, v57, v37
	;; [unrolled: 5-line block ×10, first 2 shown]
	v_cndmask_b32_e64 v44, 0, v44, s[12:13]
	v_exp_f32_e32 v34, v34
	v_mul_f32_e32 v35, 0x3fb8aa3b, v35
	v_add_f32_e32 v57, v57, v44
	v_cndmask_b32_e64 v45, 0, v45, s[14:15]
	v_exp_f32_e32 v35, v35
	v_add_f32_e32 v57, v57, v45
	v_cndmask_b32_e64 v40, 0, v40, s[8:9]
	v_add_f32_e32 v57, v57, v40
	v_cndmask_b32_e64 v41, 0, v41, s[10:11]
	v_add_f32_e32 v57, v57, v41
	v_cndmask_b32_e32 v34, 0, v34, vcc
	v_add_f32_e32 v57, v57, v34
	v_cndmask_b32_e64 v35, 0, v35, s[2:3]
	v_add_f32_e32 v57, v57, v35
	ds_bpermute_b32 v58, v58, v57
	v_cmp_gt_u32_e32 vcc, 16, v53
	s_waitcnt lgkmcnt(0)
	s_barrier
	v_add_f32_e32 v57, v57, v58
	ds_bpermute_b32 v58, v59, v57
	s_and_saveexec_b64 s[2:3], vcc
	s_cbranch_execz .LBB235_13
; %bb.12:
	s_waitcnt lgkmcnt(0)
	v_add_f32_e32 v53, v57, v58
	v_lshl_or_b32 v57, v52, 6, v54
	ds_write2st64_b32 v57, v56, v53 offset1:1
.LBB235_13:
	s_or_b64 exec, exec, s[2:3]
	s_load_dword s8, s[4:5], 0x94
	s_waitcnt lgkmcnt(0)
	s_barrier
	ds_read2_b32 v[56:57], v54 offset1:16
	ds_read2_b32 v[58:59], v54 offset0:32 offset1:48
	ds_read2_b32 v[60:61], v54 offset0:64 offset1:80
	s_movk_i32 s10, 0x7fff
	s_mov_b32 s11, 0x7060302
	s_waitcnt lgkmcnt(2)
	v_max3_f32 v53, v56, s42, v57
	s_waitcnt lgkmcnt(1)
	v_max3_f32 v53, v53, v58, v59
	v_sub_f32_e32 v56, v56, v53
	v_mul_f32_e32 v56, 0x3fb8aa3b, v56
	v_exp_f32_e32 v62, v56
	v_sub_f32_e32 v56, v57, v53
	v_mul_f32_e32 v56, 0x3fb8aa3b, v56
	v_exp_f32_e32 v63, v56
	;; [unrolled: 3-line block ×3, first 2 shown]
	ds_read2_b32 v[56:57], v54 offset0:96 offset1:112
	v_sub_f32_e32 v54, v59, v53
	v_mul_f32_e32 v54, 0x3fb8aa3b, v54
	v_exp_f32_e32 v59, v54
	s_waitcnt lgkmcnt(1)
	v_fma_f32 v54, v62, v60, 0
	v_fmac_f32_e32 v54, v63, v61
	s_waitcnt lgkmcnt(0)
	v_fmac_f32_e32 v54, v58, v56
	v_fmac_f32_e32 v54, v59, v57
	v_add_f32_e32 v56, 0x358637bd, v54
	v_div_scale_f32 v57, s[2:3], v56, v56, 1.0
	v_rcp_f32_e32 v60, v57
	s_barrier
	v_fma_f32 v61, -v57, v60, 1.0
	v_fmac_f32_e32 v60, v61, v60
	v_div_scale_f32 v61, vcc, 1.0, v56, 1.0
	v_mul_f32_e32 v64, v61, v60
	v_fma_f32 v65, -v57, v64, v61
	v_fmac_f32_e32 v64, v65, v60
	v_fma_f32 v57, -v57, v64, v61
	v_div_fmas_f32 v57, v57, v60, v64
	v_cmp_eq_u32_e32 vcc, 1, v52
	v_div_fixup_f32 v56, v57, v56, 1.0
	v_cndmask_b32_e32 v57, v62, v63, vcc
	v_cmp_eq_u32_e32 vcc, 2, v52
	v_cndmask_b32_e32 v57, v57, v58, vcc
	v_cmp_eq_u32_e32 vcc, 3, v52
	v_cndmask_b32_e32 v57, v57, v59, vcc
	v_mul_f32_e32 v56, v57, v56
	v_pk_mul_f32 v[36:37], v[56:57], v[36:37] op_sel_hi:[0,1]
	v_pk_mul_f32 v[46:47], v[56:57], v[46:47] op_sel_hi:[0,1]
	v_bfe_u32 v57, v37, 16, 1
	v_bfe_u32 v58, v36, 16, 1
	v_add3_u32 v36, v36, v58, s10
	v_add3_u32 v37, v37, v57, s10
	v_perm_b32 v58, v37, v36, s11
	v_bfe_u32 v36, v47, 16, 1
	v_bfe_u32 v37, v46, 16, 1
	v_add3_u32 v37, v46, v37, s10
	v_add3_u32 v36, v47, v36, s10
	v_perm_b32 v59, v36, v37, s11
	v_lshlrev_b32_e32 v36, 3, v1
	v_lshlrev_b32_e32 v37, 11, v52
	v_pk_mul_f32 v[38:39], v[56:57], v[38:39] op_sel_hi:[0,1]
	v_or3_b32 v36, v37, v55, v36
	v_pk_mul_f32 v[46:47], v[56:57], v[48:49] op_sel_hi:[0,1]
	v_bfe_u32 v37, v39, 16, 1
	v_bfe_u32 v48, v38, 16, 1
	v_add3_u32 v38, v38, v48, s10
	v_add3_u32 v37, v39, v37, s10
	v_perm_b32 v38, v37, v38, s11
	v_bfe_u32 v37, v47, 16, 1
	v_bfe_u32 v39, v46, 16, 1
	v_add3_u32 v39, v46, v39, s10
	v_add3_u32 v37, v47, v37, s10
	v_perm_b32 v39, v37, v39, s11
	v_pk_mul_f32 v[42:43], v[56:57], v[42:43] op_sel_hi:[0,1]
	ds_write2st64_b64 v36, v[58:59], v[38:39] offset1:1
	v_pk_mul_f32 v[38:39], v[56:57], v[44:45] op_sel_hi:[0,1]
	v_bfe_u32 v37, v43, 16, 1
	v_bfe_u32 v44, v42, 16, 1
	v_add3_u32 v42, v42, v44, s10
	v_add3_u32 v37, v43, v37, s10
	v_perm_b32 v42, v37, v42, s11
	v_bfe_u32 v37, v39, 16, 1
	v_bfe_u32 v43, v38, 16, 1
	v_add3_u32 v38, v38, v43, s10
	v_add3_u32 v37, v39, v37, s10
	v_perm_b32 v43, v37, v38, s11
	v_pk_mul_f32 v[38:39], v[56:57], v[40:41] op_sel_hi:[0,1]
	v_bfe_u32 v37, v39, 16, 1
	v_bfe_u32 v40, v38, 16, 1
	v_pk_mul_f32 v[34:35], v[56:57], v[34:35] op_sel_hi:[0,1]
	v_add3_u32 v38, v38, v40, s10
	v_add3_u32 v37, v39, v37, s10
	v_perm_b32 v38, v37, v38, s11
	v_bfe_u32 v37, v35, 16, 1
	v_bfe_u32 v39, v34, 16, 1
	v_add3_u32 v34, v34, v39, s10
	v_add3_u32 v35, v35, v37, s10
	s_lshl_b32 s9, s33, 3
	v_perm_b32 v39, v35, v34, s11
	v_cmp_gt_u32_e32 vcc, 8, v0
	ds_write2st64_b64 v36, v[42:43], v[38:39] offset0:2 offset1:3
	s_and_saveexec_b64 s[2:3], vcc
	s_cbranch_execz .LBB235_15
; %bb.14:
	v_or_b32_e32 v34, s29, v0
	v_mov_b32_e32 v35, 0
	v_mov_b32_e32 v37, s9
	v_mad_u64_u32 v[38:39], s[16:17], s6, v37, v[34:35]
	v_mov_b32_e32 v34, s28
	s_load_dwordx4 s[12:15], s[4:5], 0x58
	s_mul_i32 s7, s7, s9
	v_mad_u64_u32 v[34:35], s[16:17], v38, s8, v[34:35]
	v_add_u32_e32 v37, s7, v39
	v_mov_b32_e32 v38, v35
	v_mad_u64_u32 v[38:39], s[16:17], v37, s8, v[38:39]
	v_mov_b32_e32 v35, v38
	v_lshlrev_b64 v[34:35], 2, v[34:35]
	s_waitcnt lgkmcnt(0)
	v_mov_b32_e32 v37, s15
	v_add_co_u32_e32 v38, vcc, s14, v34
	v_addc_co_u32_e32 v39, vcc, v37, v35, vcc
	v_mov_b32_e32 v37, s13
	v_add_co_u32_e32 v34, vcc, s12, v34
	v_addc_co_u32_e32 v35, vcc, v37, v35, vcc
	global_store_dword v[38:39], v53, off
	global_store_dword v[34:35], v54, off
.LBB235_15:
	s_or_b64 exec, exec, s[2:3]
	v_lshl_or_b32 v34, v1, 9, v55
	s_waitcnt lgkmcnt(0)
	s_barrier
	ds_read_b128 v[38:41], v34
	ds_read_b128 v[42:45], v34 offset:16
	s_waitcnt vmcnt(7) lgkmcnt(1)
	v_mfma_f32_16x16x16bf16_1k v[46:49], v[14:15], v[38:39], 0
	v_cmp_gt_u32_e32 vcc, 64, v0
	s_mov_b32 s3, 0
	s_and_b64 s[0:1], vcc, s[0:1]
	v_mfma_f32_16x16x16bf16_1k v[14:17], v[16:17], v[40:41], v[46:49]
	s_waitcnt vmcnt(6) lgkmcnt(0)
	v_mfma_f32_16x16x16bf16_1k v[14:17], v[10:11], v[42:43], v[14:17]
	v_mfma_f32_16x16x16bf16_1k v[10:13], v[12:13], v[44:45], v[14:17]
	s_nop 7
	s_nop 1
	ds_read_b128 v[14:17], v34 offset:2048
	ds_read_b128 v[38:41], v34 offset:2064
	s_waitcnt vmcnt(5) lgkmcnt(1)
	v_mfma_f32_16x16x16bf16_1k v[10:13], v[6:7], v[14:15], v[10:13]
	v_mfma_f32_16x16x16bf16_1k v[6:9], v[8:9], v[16:17], v[10:13]
	s_waitcnt vmcnt(4) lgkmcnt(0)
	v_mfma_f32_16x16x16bf16_1k v[6:9], v[2:3], v[38:39], v[6:9]
	v_mfma_f32_16x16x16bf16_1k v[2:5], v[4:5], v[40:41], v[6:9]
	s_nop 7
	s_nop 1
	ds_read_b128 v[6:9], v34 offset:4096
	ds_read_b128 v[10:13], v34 offset:4112
	s_waitcnt vmcnt(3) lgkmcnt(1)
	v_mfma_f32_16x16x16bf16_1k v[2:5], v[30:31], v[6:7], v[2:5]
	v_mfma_f32_16x16x16bf16_1k v[2:5], v[32:33], v[8:9], v[2:5]
	s_waitcnt vmcnt(2) lgkmcnt(0)
	v_mfma_f32_16x16x16bf16_1k v[2:5], v[22:23], v[10:11], v[2:5]
	v_mfma_f32_16x16x16bf16_1k v[2:5], v[24:25], v[12:13], v[2:5]
	ds_read_b128 v[6:9], v34 offset:6144
	ds_read_b128 v[10:13], v34 offset:6160
	s_waitcnt lgkmcnt(0)
	s_barrier
	s_waitcnt vmcnt(1)
	v_mfma_f32_16x16x16bf16_1k v[2:5], v[26:27], v[6:7], v[2:5]
	v_mfma_f32_16x16x16bf16_1k v[2:5], v[28:29], v[8:9], v[2:5]
	s_waitcnt vmcnt(0)
	v_mfma_f32_16x16x16bf16_1k v[2:5], v[18:19], v[10:11], v[2:5]
	v_mfma_f32_16x16x16bf16_1k v[2:5], v[20:21], v[12:13], v[2:5]
	s_nop 7
	s_nop 2
	v_bfe_u32 v6, v3, 16, 1
	v_bfe_u32 v7, v2, 16, 1
	v_bfe_u32 v8, v5, 16, 1
	v_bfe_u32 v9, v4, 16, 1
	v_add3_u32 v2, v2, v7, s10
	v_add3_u32 v3, v3, v6, s10
	;; [unrolled: 1-line block ×4, first 2 shown]
	v_perm_b32 v2, v3, v2, s11
	v_perm_b32 v3, v5, v4, s11
	ds_write_b64 v36, v[2:3]
	s_waitcnt lgkmcnt(0)
	s_barrier
	s_and_saveexec_b64 s[10:11], s[0:1]
	s_cbranch_execz .LBB235_17
; %bb.16:
	s_load_dwordx2 s[0:1], s[4:5], 0x68
	s_lshl_b32 s7, s8, 6
	s_mul_i32 s2, s9, s6
	s_mul_hi_u32 s5, s2, s7
	s_mul_i32 s4, s2, s7
	s_lshl_b64 s[4:5], s[4:5], 1
	s_waitcnt lgkmcnt(0)
	s_add_u32 s4, s0, s4
	s_addc_u32 s5, s1, s5
	s_lshl_b32 s2, s28, 6
	v_lshlrev_b32_e32 v0, 10, v0
	s_lshl_b64 s[0:1], s[2:3], 1
	v_and_b32_e32 v0, 0x1800, v0
	v_lshlrev_b32_e32 v2, 5, v1
	v_and_b32_e32 v3, 16, v51
	s_add_u32 s0, s4, s0
	v_or3_b32 v0, v0, v2, v3
	s_addc_u32 s1, s5, s1
	ds_read_b128 v[2:5], v0
	ds_read_b128 v[6:9], v0 offset:128
	v_mov_b32_e32 v0, s1
	v_add_co_u32_e32 v10, vcc, s0, v50
	v_or_b32_e32 v12, s29, v1
	v_addc_co_u32_e32 v11, vcc, 0, v0, vcc
	v_mad_u64_u32 v[0:1], s[0:1], v12, s7, 0
	v_lshlrev_b64 v[0:1], 1, v[0:1]
	v_add_co_u32_e32 v0, vcc, v10, v0
	v_addc_co_u32_e32 v1, vcc, v11, v1, vcc
	s_waitcnt lgkmcnt(1)
	global_store_dwordx4 v[0:1], v[2:5], off
	v_or_b32_e32 v0, 4, v12
	v_mad_u64_u32 v[0:1], s[0:1], v0, s7, 0
	v_lshlrev_b64 v[0:1], 1, v[0:1]
	v_add_co_u32_e32 v0, vcc, v10, v0
	v_addc_co_u32_e32 v1, vcc, v11, v1, vcc
	s_waitcnt lgkmcnt(0)
	global_store_dwordx4 v[0:1], v[6:9], off
.LBB235_17:
	s_endpgm
	.section	.rodata,"a",@progbits
	.p2align	6, 0x0
	.amdhsa_kernel _Z39paged_attention_ll4mi_QKV_mfma16_kernelI14__hip_bfloat16S0_LN4vllm18Fp8KVCacheDataTypeE0ES0_Li16ELi64ELi256ELb0ELi8EL8MFMAType0EEvPKT_PKT0_S9_ifPKiSB_SB_iPKfiiiPfSE_PS4_PT2_iSD_SD_
		.amdhsa_group_segment_fixed_size 8192
		.amdhsa_private_segment_fixed_size 0
		.amdhsa_kernarg_size 400
		.amdhsa_user_sgpr_count 6
		.amdhsa_user_sgpr_private_segment_buffer 1
		.amdhsa_user_sgpr_dispatch_ptr 0
		.amdhsa_user_sgpr_queue_ptr 0
		.amdhsa_user_sgpr_kernarg_segment_ptr 1
		.amdhsa_user_sgpr_dispatch_id 0
		.amdhsa_user_sgpr_flat_scratch_init 0
		.amdhsa_user_sgpr_kernarg_preload_length 0
		.amdhsa_user_sgpr_kernarg_preload_offset 0
		.amdhsa_user_sgpr_private_segment_size 0
		.amdhsa_uses_dynamic_stack 0
		.amdhsa_system_sgpr_private_segment_wavefront_offset 0
		.amdhsa_system_sgpr_workgroup_id_x 1
		.amdhsa_system_sgpr_workgroup_id_y 1
		.amdhsa_system_sgpr_workgroup_id_z 1
		.amdhsa_system_sgpr_workgroup_info 0
		.amdhsa_system_vgpr_workitem_id 0
		.amdhsa_next_free_vgpr 66
		.amdhsa_next_free_sgpr 48
		.amdhsa_accum_offset 68
		.amdhsa_reserve_vcc 1
		.amdhsa_reserve_flat_scratch 0
		.amdhsa_float_round_mode_32 0
		.amdhsa_float_round_mode_16_64 0
		.amdhsa_float_denorm_mode_32 3
		.amdhsa_float_denorm_mode_16_64 3
		.amdhsa_dx10_clamp 1
		.amdhsa_ieee_mode 1
		.amdhsa_fp16_overflow 0
		.amdhsa_tg_split 0
		.amdhsa_exception_fp_ieee_invalid_op 0
		.amdhsa_exception_fp_denorm_src 0
		.amdhsa_exception_fp_ieee_div_zero 0
		.amdhsa_exception_fp_ieee_overflow 0
		.amdhsa_exception_fp_ieee_underflow 0
		.amdhsa_exception_fp_ieee_inexact 0
		.amdhsa_exception_int_div_zero 0
	.end_amdhsa_kernel
	.section	.text._Z39paged_attention_ll4mi_QKV_mfma16_kernelI14__hip_bfloat16S0_LN4vllm18Fp8KVCacheDataTypeE0ES0_Li16ELi64ELi256ELb0ELi8EL8MFMAType0EEvPKT_PKT0_S9_ifPKiSB_SB_iPKfiiiPfSE_PS4_PT2_iSD_SD_,"axG",@progbits,_Z39paged_attention_ll4mi_QKV_mfma16_kernelI14__hip_bfloat16S0_LN4vllm18Fp8KVCacheDataTypeE0ES0_Li16ELi64ELi256ELb0ELi8EL8MFMAType0EEvPKT_PKT0_S9_ifPKiSB_SB_iPKfiiiPfSE_PS4_PT2_iSD_SD_,comdat
.Lfunc_end235:
	.size	_Z39paged_attention_ll4mi_QKV_mfma16_kernelI14__hip_bfloat16S0_LN4vllm18Fp8KVCacheDataTypeE0ES0_Li16ELi64ELi256ELb0ELi8EL8MFMAType0EEvPKT_PKT0_S9_ifPKiSB_SB_iPKfiiiPfSE_PS4_PT2_iSD_SD_, .Lfunc_end235-_Z39paged_attention_ll4mi_QKV_mfma16_kernelI14__hip_bfloat16S0_LN4vllm18Fp8KVCacheDataTypeE0ES0_Li16ELi64ELi256ELb0ELi8EL8MFMAType0EEvPKT_PKT0_S9_ifPKiSB_SB_iPKfiiiPfSE_PS4_PT2_iSD_SD_
                                        ; -- End function
	.section	.AMDGPU.csdata,"",@progbits
; Kernel info:
; codeLenInByte = 4168
; NumSgprs: 52
; NumVgprs: 66
; NumAgprs: 0
; TotalNumVgprs: 66
; ScratchSize: 0
; MemoryBound: 0
; FloatMode: 240
; IeeeMode: 1
; LDSByteSize: 8192 bytes/workgroup (compile time only)
; SGPRBlocks: 6
; VGPRBlocks: 8
; NumSGPRsForWavesPerEU: 52
; NumVGPRsForWavesPerEU: 66
; AccumOffset: 68
; Occupancy: 7
; WaveLimiterHint : 1
; COMPUTE_PGM_RSRC2:SCRATCH_EN: 0
; COMPUTE_PGM_RSRC2:USER_SGPR: 6
; COMPUTE_PGM_RSRC2:TRAP_HANDLER: 0
; COMPUTE_PGM_RSRC2:TGID_X_EN: 1
; COMPUTE_PGM_RSRC2:TGID_Y_EN: 1
; COMPUTE_PGM_RSRC2:TGID_Z_EN: 1
; COMPUTE_PGM_RSRC2:TIDIG_COMP_CNT: 0
; COMPUTE_PGM_RSRC3_GFX90A:ACCUM_OFFSET: 16
; COMPUTE_PGM_RSRC3_GFX90A:TG_SPLIT: 0
	.section	.text._Z39paged_attention_ll4mi_QKV_mfma16_kernelI14__hip_bfloat16S0_LN4vllm18Fp8KVCacheDataTypeE0ES0_Li16ELi64ELi256ELb0ELi9EL8MFMAType0EEvPKT_PKT0_S9_ifPKiSB_SB_iPKfiiiPfSE_PS4_PT2_iSD_SD_,"axG",@progbits,_Z39paged_attention_ll4mi_QKV_mfma16_kernelI14__hip_bfloat16S0_LN4vllm18Fp8KVCacheDataTypeE0ES0_Li16ELi64ELi256ELb0ELi9EL8MFMAType0EEvPKT_PKT0_S9_ifPKiSB_SB_iPKfiiiPfSE_PS4_PT2_iSD_SD_,comdat
	.protected	_Z39paged_attention_ll4mi_QKV_mfma16_kernelI14__hip_bfloat16S0_LN4vllm18Fp8KVCacheDataTypeE0ES0_Li16ELi64ELi256ELb0ELi9EL8MFMAType0EEvPKT_PKT0_S9_ifPKiSB_SB_iPKfiiiPfSE_PS4_PT2_iSD_SD_ ; -- Begin function _Z39paged_attention_ll4mi_QKV_mfma16_kernelI14__hip_bfloat16S0_LN4vllm18Fp8KVCacheDataTypeE0ES0_Li16ELi64ELi256ELb0ELi9EL8MFMAType0EEvPKT_PKT0_S9_ifPKiSB_SB_iPKfiiiPfSE_PS4_PT2_iSD_SD_
	.globl	_Z39paged_attention_ll4mi_QKV_mfma16_kernelI14__hip_bfloat16S0_LN4vllm18Fp8KVCacheDataTypeE0ES0_Li16ELi64ELi256ELb0ELi9EL8MFMAType0EEvPKT_PKT0_S9_ifPKiSB_SB_iPKfiiiPfSE_PS4_PT2_iSD_SD_
	.p2align	8
	.type	_Z39paged_attention_ll4mi_QKV_mfma16_kernelI14__hip_bfloat16S0_LN4vllm18Fp8KVCacheDataTypeE0ES0_Li16ELi64ELi256ELb0ELi9EL8MFMAType0EEvPKT_PKT0_S9_ifPKiSB_SB_iPKfiiiPfSE_PS4_PT2_iSD_SD_,@function
_Z39paged_attention_ll4mi_QKV_mfma16_kernelI14__hip_bfloat16S0_LN4vllm18Fp8KVCacheDataTypeE0ES0_Li16ELi64ELi256ELb0ELi9EL8MFMAType0EEvPKT_PKT0_S9_ifPKiSB_SB_iPKfiiiPfSE_PS4_PT2_iSD_SD_: ; @_Z39paged_attention_ll4mi_QKV_mfma16_kernelI14__hip_bfloat16S0_LN4vllm18Fp8KVCacheDataTypeE0ES0_Li16ELi64ELi256ELb0ELi9EL8MFMAType0EEvPKT_PKT0_S9_ifPKiSB_SB_iPKfiiiPfSE_PS4_PT2_iSD_SD_
; %bb.0:
	s_load_dwordx2 s[0:1], s[4:5], 0x30
	s_mov_b32 s28, s7
	s_mov_b64 s[10:11], 0
	s_waitcnt lgkmcnt(0)
	s_cmp_lg_u64 s[0:1], 0
	s_cselect_b64 s[2:3], -1, 0
	s_and_b64 vcc, exec, s[2:3]
	s_cbranch_vccz .LBB236_7
; %bb.1:
	s_add_i32 s12, s6, 1
	s_mov_b32 s13, 0
	s_lshl_b64 s[14:15], s[12:13], 2
	s_add_u32 s14, s0, s14
	s_mov_b32 s7, s13
	s_addc_u32 s15, s1, s15
	s_lshl_b64 s[12:13], s[6:7], 2
	s_add_u32 s12, s0, s12
	s_addc_u32 s13, s1, s13
	s_load_dword s9, s[14:15], 0x0
	s_load_dword s16, s[12:13], 0x0
	s_waitcnt lgkmcnt(0)
	s_sub_i32 s9, s9, s16
	s_cmp_eq_u32 s9, 1
	s_cselect_b64 s[12:13], -1, 0
	s_andn2_b64 vcc, exec, s[10:11]
	s_cbranch_vccnz .LBB236_3
.LBB236_2:
	s_mov_b32 s7, 0
	s_mov_b64 s[12:13], -1
.LBB236_3:
	s_andn2_b64 vcc, exec, s[12:13]
	s_cbranch_vccnz .LBB236_18
; %bb.4:
	s_load_dwordx2 s[12:13], s[4:5], 0x28
	s_lshl_b64 s[10:11], s[6:7], 2
	s_waitcnt lgkmcnt(0)
	s_add_u32 s12, s12, s10
	s_addc_u32 s13, s13, s11
	s_load_dword s40, s[12:13], 0x0
	s_lshl_b32 s16, s28, 8
	s_waitcnt lgkmcnt(0)
	s_cmp_ge_i32 s16, s40
	s_cbranch_scc1 .LBB236_18
; %bb.5:
	s_add_i32 s14, s40, 15
	s_load_dwordx2 s[12:13], s[4:5], 0x20
	s_load_dword s9, s[4:5], 0x38
	s_ashr_i32 s15, s14, 31
	v_and_b32_e32 v1, 0xcf, v0
	s_lshr_b32 s15, s15, 28
	v_add_u32_e32 v1, s16, v1
	s_add_i32 s14, s14, s15
	v_ashrrev_i32_e32 v2, 31, v1
	s_ashr_i32 s19, s14, 4
	v_lshrrev_b32_e32 v10, 28, v2
	s_add_i32 s19, s19, -1
	v_add_u32_e32 v2, v1, v10
	s_waitcnt lgkmcnt(0)
	s_mul_i32 s14, s6, s9
	s_mov_b32 s15, 0
	v_ashrrev_i32_e32 v2, 4, v2
	v_mov_b32_e32 v11, s19
	v_cmp_gt_i32_e32 vcc, s40, v1
	s_lshl_b64 s[14:15], s[14:15], 2
	v_cndmask_b32_e32 v2, v11, v2, vcc
	s_add_u32 s17, s12, s14
	v_ashrrev_i32_e32 v3, 31, v2
	s_addc_u32 s18, s13, s15
	v_lshlrev_b64 v[2:3], 2, v[2:3]
	v_mov_b32_e32 v5, s18
	v_add_co_u32_e32 v4, vcc, s17, v2
	v_or_b32_e32 v2, 16, v1
	v_addc_co_u32_e32 v5, vcc, v5, v3, vcc
	v_add_u32_e32 v3, v2, v10
	v_ashrrev_i32_e32 v3, 4, v3
	v_cmp_gt_i32_e32 vcc, s40, v2
	v_cndmask_b32_e32 v2, v11, v3, vcc
	v_ashrrev_i32_e32 v3, 31, v2
	v_lshlrev_b64 v[2:3], 2, v[2:3]
	v_mov_b32_e32 v7, s18
	v_add_co_u32_e32 v6, vcc, s17, v2
	v_or_b32_e32 v2, 32, v1
	v_addc_co_u32_e32 v7, vcc, v7, v3, vcc
	v_add_u32_e32 v3, v2, v10
	v_ashrrev_i32_e32 v3, 4, v3
	v_cmp_gt_i32_e32 vcc, s40, v2
	v_cndmask_b32_e32 v2, v11, v3, vcc
	v_ashrrev_i32_e32 v3, 31, v2
	;; [unrolled: 10-line block ×3, first 2 shown]
	v_lshlrev_b64 v[2:3], 2, v[2:3]
	v_mov_b32_e32 v1, s18
	v_add_co_u32_e32 v10, vcc, s17, v2
	v_addc_co_u32_e32 v11, vcc, v1, v3, vcc
	global_load_dword v3, v[4:5], off
	global_load_dword v2, v[6:7], off
	global_load_dword v18, v[8:9], off
	global_load_dword v28, v[10:11], off
	s_load_dwordx4 s[12:15], s[4:5], 0x8
	s_andn2_b64 vcc, exec, s[2:3]
	s_cbranch_vccnz .LBB236_8
; %bb.6:
	s_add_u32 s0, s0, s10
	s_addc_u32 s1, s1, s11
	s_load_dword s9, s[0:1], 0x0
	s_branch .LBB236_9
.LBB236_7:
	s_mov_b64 s[12:13], 0
	s_branch .LBB236_2
.LBB236_8:
	s_mov_b32 s9, s6
.LBB236_9:
	s_load_dwordx4 s[44:47], s[4:5], 0x48
	v_lshrrev_b32_e32 v53, 6, v0
	v_bfe_u32 v1, v0, 4, 2
	v_lshl_or_b32 v4, v53, 2, v1
	v_and_b32_e32 v52, 15, v0
	v_lshlrev_b32_e32 v5, 3, v52
	v_cmp_gt_u32_e32 vcc, 9, v4
	v_cmp_gt_u32_e64 s[0:1], 8, v52
	v_and_b32_e32 v54, 63, v0
	s_mul_i32 s29, s8, 9
	s_and_b64 s[10:11], s[0:1], vcc
	v_lshlrev_b32_e32 v50, 1, v5
	s_and_saveexec_b64 s[2:3], s[10:11]
	s_cbranch_execz .LBB236_11
; %bb.10:
	s_load_dwordx2 s[10:11], s[4:5], 0x0
	s_waitcnt lgkmcnt(0)
	s_ashr_i32 s20, s44, 31
	s_mul_hi_u32 s21, s9, s44
	s_mul_i32 s20, s9, s20
	s_add_i32 s21, s21, s20
	s_mul_i32 s20, s9, s44
	s_lshl_b64 s[20:21], s[20:21], 1
	v_add_lshl_u32 v6, v4, s29, 6
	s_add_u32 s9, s10, s20
	v_ashrrev_i32_e32 v7, 31, v6
	s_addc_u32 s10, s11, s21
	v_lshlrev_b64 v[6:7], 1, v[6:7]
	v_mov_b32_e32 v5, s10
	v_add_co_u32_e32 v6, vcc, s9, v6
	v_addc_co_u32_e32 v5, vcc, v5, v7, vcc
	v_add_co_u32_e32 v6, vcc, v6, v50
	v_addc_co_u32_e32 v7, vcc, 0, v5, vcc
	global_load_dwordx4 v[6:9], v[6:7], off
	v_and_b32_e32 v5, 3, v0
	v_lshlrev_b32_e32 v10, 9, v52
	v_lshlrev_b32_e32 v4, 5, v4
	;; [unrolled: 1-line block ×3, first 2 shown]
	v_and_b32_e32 v10, 0x1800, v10
	v_or3_b32 v4, v10, v5, v4
	s_waitcnt vmcnt(0)
	ds_write_b128 v4, v[6:9]
.LBB236_11:
	s_or_b64 exec, exec, s[2:3]
	s_waitcnt lgkmcnt(0)
	s_mul_i32 s8, s8, s46
	s_mov_b32 s9, 0
	s_lshl_b64 s[8:9], s[8:9], 1
	s_add_u32 s3, s12, s8
	v_lshlrev_b32_e32 v51, 4, v0
	s_addc_u32 s10, s13, s9
	v_and_b32_e32 v4, 0xf0, v51
	v_mov_b32_e32 v5, s10
	v_add_co_u32_e32 v29, vcc, s3, v4
	v_addc_co_u32_e32 v30, vcc, 0, v5, vcc
	s_waitcnt vmcnt(3)
	v_mad_i64_i32 v[4:5], s[10:11], v3, s45, 0
	v_lshlrev_b64 v[4:5], 1, v[4:5]
	v_add_co_u32_e32 v3, vcc, v29, v4
	v_addc_co_u32_e32 v5, vcc, v30, v5, vcc
	v_and_b32_e32 v31, 0x300, v51
	v_add_co_u32_e32 v4, vcc, v3, v31
	v_addc_co_u32_e32 v5, vcc, 0, v5, vcc
	s_load_dword s33, s[4:5], 0x98
	s_load_dword s2, s[4:5], 0x1c
	s_waitcnt lgkmcnt(0)
	s_barrier
	global_load_dwordx4 v[6:9], v[4:5], off
	s_waitcnt vmcnt(3)
	v_mad_i64_i32 v[2:3], s[10:11], v2, s45, 0
	v_lshlrev_b64 v[2:3], 1, v[2:3]
	v_add_co_u32_e32 v2, vcc, v29, v2
	v_addc_co_u32_e32 v3, vcc, v30, v3, vcc
	v_add_co_u32_e32 v2, vcc, v2, v31
	v_addc_co_u32_e32 v3, vcc, 0, v3, vcc
	global_load_dwordx4 v[22:25], v[2:3], off
	global_load_dwordx4 v[10:13], v[4:5], off offset:1024
	global_load_dwordx4 v[14:17], v[2:3], off offset:1024
	v_add_u32_e32 v2, -9, v52
	v_cmp_gt_u32_e32 vcc, 9, v52
	v_cndmask_b32_e32 v2, v2, v52, vcc
	v_lshlrev_b32_e32 v2, 5, v2
	v_lshl_add_u32 v20, v1, 9, v2
	ds_read_b128 v[2:5], v20
	s_waitcnt vmcnt(5)
	v_mad_i64_i32 v[18:19], s[10:11], v18, s45, 0
	v_lshlrev_b64 v[26:27], 1, v[18:19]
	ds_read_b128 v[18:21], v20 offset:2048
	v_and_or_b32 v55, v0, 48, s16
	v_mov_b32_e32 v60, s19
	v_mov_b32_e32 v49, s18
	v_or_b32_e32 v57, 0x80, v55
	v_mov_b32_e32 v56, s18
	v_mov_b32_e32 v61, s18
	s_add_u32 s3, s14, s8
	s_addc_u32 s8, s15, s9
	s_mov_b32 s42, 0xff7fffff
	s_waitcnt vmcnt(2) lgkmcnt(1)
	v_mfma_f32_16x16x16bf16_1k v[36:39], v[22:23], v[2:3], 0
	v_mad_i64_i32 v[22:23], s[10:11], v28, s45, 0
	v_lshlrev_b64 v[44:45], 1, v[22:23]
	v_ashrrev_i32_e32 v22, 4, v55
	v_or_b32_e32 v28, 64, v55
	v_mfma_f32_16x16x16bf16_1k v[32:35], v[6:7], v[2:3], 0
	v_add_co_u32_e32 v6, vcc, v29, v26
	v_addc_co_u32_e32 v7, vcc, v30, v27, vcc
	v_add_co_u32_e32 v26, vcc, v6, v31
	v_addc_co_u32_e32 v27, vcc, 0, v7, vcc
	global_load_dwordx4 v[40:43], v[26:27], off
	v_mfma_f32_16x16x16bf16_1k v[6:9], v[8:9], v[4:5], v[32:35]
	v_cmp_gt_i32_e32 vcc, s40, v55
	v_cndmask_b32_e32 v46, v60, v22, vcc
	v_cmp_gt_i32_e32 vcc, s40, v28
	v_ashrrev_i32_e32 v47, 31, v46
	s_nop 2
	global_load_dwordx4 v[32:35], v[26:27], off offset:1024
	v_mfma_f32_16x16x16bf16_1k v[22:25], v[24:25], v[4:5], v[36:39]
	s_nop 6
	v_ashrrev_i32_e32 v36, 4, v28
	v_cndmask_b32_e32 v48, v60, v36, vcc
	s_waitcnt vmcnt(3) lgkmcnt(0)
	v_mfma_f32_16x16x16bf16_1k v[6:9], v[10:11], v[18:19], v[6:9]
	v_add_co_u32_e32 v10, vcc, v29, v44
	v_addc_co_u32_e32 v11, vcc, v30, v45, vcc
	v_add_co_u32_e32 v10, vcc, v10, v31
	v_addc_co_u32_e32 v11, vcc, 0, v11, vcc
	v_lshlrev_b64 v[36:37], 2, v[46:47]
	global_load_dwordx4 v[26:29], v[10:11], off
	s_waitcnt vmcnt(3)
	v_mfma_f32_16x16x16bf16_1k v[22:25], v[14:15], v[18:19], v[22:25]
	v_add_co_u32_e32 v14, vcc, s17, v36
	v_addc_co_u32_e32 v15, vcc, v49, v37, vcc
	global_load_dword v44, v[14:15], off
	v_ashrrev_i32_e32 v38, 4, v57
	v_cmp_gt_i32_e32 vcc, s40, v57
	v_ashrrev_i32_e32 v49, 31, v48
	v_cndmask_b32_e32 v14, v60, v38, vcc
	v_mfma_f32_16x16x16bf16_1k v[36:39], v[12:13], v[20:21], v[6:9]
	v_ashrrev_i32_e32 v15, 31, v14
	v_mov_b32_e32 v12, s18
	s_nop 4
	v_lshlrev_b64 v[6:7], 2, v[48:49]
	v_add_co_u32_e32 v6, vcc, s17, v6
	v_addc_co_u32_e32 v7, vcc, v56, v7, vcc
	global_load_dwordx4 v[56:59], v[10:11], off offset:1024
	global_load_dword v45, v[6:7], off
	v_lshlrev_b64 v[6:7], 2, v[14:15]
	v_add_co_u32_e32 v10, vcc, s17, v6
	v_addc_co_u32_e32 v11, vcc, v61, v7, vcc
	s_waitcnt vmcnt(5)
	v_mfma_f32_16x16x16bf16_1k v[6:9], v[40:41], v[2:3], 0
	global_load_dword v40, v[10:11], off
	v_or_b32_e32 v10, 0xc0, v55
	v_ashrrev_i32_e32 v11, 4, v10
	v_cmp_gt_i32_e32 vcc, s40, v10
	v_cndmask_b32_e32 v10, v60, v11, vcc
	v_ashrrev_i32_e32 v11, 31, v10
	v_lshlrev_b64 v[10:11], 2, v[10:11]
	v_mfma_f32_16x16x16bf16_1k v[6:9], v[42:43], v[4:5], v[6:9]
	v_add_co_u32_e32 v10, vcc, s17, v10
	v_addc_co_u32_e32 v11, vcc, v12, v11, vcc
	global_load_dword v60, v[10:11], off
	v_lshlrev_b32_e32 v55, 5, v52
	v_lshl_or_b32 v10, v53, 9, v55
	s_waitcnt vmcnt(6)
	v_mfma_f32_16x16x16bf16_1k v[6:9], v[32:33], v[18:19], v[6:9]
	v_mov_b32_e32 v11, s8
	v_add_co_u32_e32 v61, vcc, s3, v10
	v_addc_co_u32_e32 v62, vcc, 0, v11, vcc
	v_pk_mul_f32 v[46:47], s[2:3], v[38:39] op_sel_hi:[0,1]
	v_mfma_f32_16x16x16bf16_1k v[30:33], v[34:35], v[20:21], v[6:9]
	s_waitcnt vmcnt(1)
	v_mad_i64_i32 v[34:35], s[8:9], v40, s45, 0
	s_nop 4
	v_mad_i64_i32 v[6:7], s[8:9], v44, s45, 0
	v_lshlrev_b64 v[10:11], 1, v[6:7]
	v_mfma_f32_16x16x16bf16_1k v[6:9], v[26:27], v[2:3], 0
	v_add_co_u32_e32 v2, vcc, v61, v10
	v_addc_co_u32_e32 v3, vcc, v62, v11, vcc
	v_lshlrev_b64 v[34:35], 1, v[34:35]
	v_pk_mul_f32 v[42:43], s[2:3], v[30:31] op_sel_hi:[0,1]
	v_mfma_f32_16x16x16bf16_1k v[26:29], v[28:29], v[4:5], v[6:9]
	v_mfma_f32_16x16x16bf16_1k v[22:25], v[16:17], v[20:21], v[22:25]
	global_load_dwordx4 v[14:17], v[2:3], off
	global_load_dwordx4 v[10:13], v[2:3], off offset:16
	v_mad_i64_i32 v[2:3], s[8:9], v45, s45, 0
	v_lshlrev_b64 v[2:3], 1, v[2:3]
	v_add_co_u32_e32 v2, vcc, v61, v2
	v_addc_co_u32_e32 v3, vcc, v62, v3, vcc
	v_mfma_f32_16x16x16bf16_1k v[26:29], v[56:57], v[18:19], v[26:29]
	s_nop 3
	v_pk_mul_f32 v[38:39], s[2:3], v[22:23] op_sel_hi:[0,1]
	v_add_co_u32_e32 v56, vcc, v61, v34
	v_addc_co_u32_e32 v57, vcc, v62, v35, vcc
	v_pk_mul_f32 v[18:19], s[2:3], v[36:37] op_sel_hi:[0,1]
	v_pk_mul_f32 v[48:49], s[2:3], v[24:25] op_sel_hi:[0,1]
	v_mfma_f32_16x16x16bf16_1k v[20:23], v[58:59], v[20:21], v[26:29]
	v_pk_mul_f32 v[44:45], s[2:3], v[32:33] op_sel_hi:[0,1]
	global_load_dwordx4 v[6:9], v[2:3], off
	s_nop 0
	global_load_dwordx4 v[2:5], v[2:3], off offset:16
	s_nop 6
	v_pk_mul_f32 v[40:41], s[2:3], v[20:21] op_sel_hi:[0,1]
	v_and_b32_e32 v20, 0xc0, v0
	v_add_u32_e32 v20, s16, v20
	v_lshl_or_b32 v20, v1, 2, v20
	v_pk_mul_f32 v[34:35], s[2:3], v[22:23] op_sel_hi:[0,1]
	v_or_b32_e32 v23, 1, v20
	v_mov_b32_e32 v21, 0xff7fffff
	v_cmp_gt_i32_e64 s[30:31], s40, v20
	v_cmp_gt_i32_e64 s[34:35], s40, v23
	v_cndmask_b32_e64 v22, v21, v18, s[30:31]
	v_cndmask_b32_e64 v23, v21, v19, s[34:35]
	v_max3_f32 v22, v22, s42, v23
	v_or_b32_e32 v23, 2, v20
	v_or_b32_e32 v24, 3, v20
	v_cmp_gt_i32_e64 s[36:37], s40, v23
	v_cmp_gt_i32_e64 s[38:39], s40, v24
	v_cndmask_b32_e64 v23, v21, v46, s[36:37]
	v_cndmask_b32_e64 v24, v21, v47, s[38:39]
	v_max3_f32 v22, v22, v23, v24
	v_or_b32_e32 v23, 16, v20
	v_or_b32_e32 v24, 17, v20
	;; [unrolled: 7-line block ×7, first 2 shown]
	v_cmp_gt_i32_e32 vcc, s40, v23
	v_cmp_gt_i32_e64 s[2:3], s40, v20
	v_cndmask_b32_e32 v23, v21, v34, vcc
	v_cndmask_b32_e64 v20, v21, v35, s[2:3]
	v_max3_f32 v26, v22, v23, v20
	v_mbcnt_lo_u32_b32 v20, -1, 0
	v_mbcnt_hi_u32_b32 v27, -1, v20
	v_and_b32_e32 v20, 64, v27
	v_add_u32_e32 v28, 64, v20
	v_xor_b32_e32 v20, 32, v27
	v_cmp_lt_i32_e64 s[40:41], v20, v28
	v_cndmask_b32_e64 v20, v27, v20, s[40:41]
	v_lshlrev_b32_e32 v58, 2, v20
	ds_bpermute_b32 v29, v58, v26
	s_waitcnt vmcnt(4)
	v_mad_i64_i32 v[20:21], s[40:41], v60, s45, 0
	global_load_dwordx4 v[30:33], v[56:57], off
	global_load_dwordx4 v[22:25], v[56:57], off offset:16
	v_lshlrev_b64 v[20:21], 1, v[20:21]
	s_waitcnt lgkmcnt(0)
	v_max_f32_e32 v29, v29, v29
	v_max_f32_e32 v26, v26, v29
	v_xor_b32_e32 v29, 16, v27
	v_cmp_lt_i32_e64 s[40:41], v29, v28
	v_cndmask_b32_e64 v27, v27, v29, s[40:41]
	v_lshlrev_b32_e32 v57, 2, v27
	ds_bpermute_b32 v27, v57, v26
	v_add_co_u32_e64 v20, s[40:41], v61, v20
	v_addc_co_u32_e64 v21, s[40:41], v62, v21, s[40:41]
	s_waitcnt lgkmcnt(0)
	v_max_f32_e32 v27, v27, v27
	v_max_f32_e32 v56, v26, v27
	v_sub_f32_e32 v18, v18, v56
	v_mul_f32_e32 v18, 0x3fb8aa3b, v18
	v_exp_f32_e32 v36, v18
	v_sub_f32_e32 v18, v19, v56
	v_mul_f32_e32 v18, 0x3fb8aa3b, v18
	v_exp_f32_e32 v37, v18
	global_load_dwordx4 v[26:29], v[20:21], off
	s_nop 0
	global_load_dwordx4 v[18:21], v[20:21], off offset:16
	v_sub_f32_e32 v46, v46, v56
	v_mul_f32_e32 v46, 0x3fb8aa3b, v46
	v_sub_f32_e32 v47, v47, v56
	v_exp_f32_e32 v46, v46
	v_mul_f32_e32 v47, 0x3fb8aa3b, v47
	v_sub_f32_e32 v38, v38, v56
	v_exp_f32_e32 v47, v47
	v_mul_f32_e32 v38, 0x3fb8aa3b, v38
	v_sub_f32_e32 v39, v39, v56
	v_cndmask_b32_e64 v36, 0, v36, s[30:31]
	v_exp_f32_e32 v38, v38
	v_mul_f32_e32 v39, 0x3fb8aa3b, v39
	v_sub_f32_e32 v48, v48, v56
	v_add_f32_e32 v59, 0, v36
	v_cndmask_b32_e64 v37, 0, v37, s[34:35]
	v_exp_f32_e32 v39, v39
	v_mul_f32_e32 v48, 0x3fb8aa3b, v48
	v_sub_f32_e32 v49, v49, v56
	v_add_f32_e32 v59, v59, v37
	;; [unrolled: 5-line block ×10, first 2 shown]
	v_cndmask_b32_e64 v44, 0, v44, s[12:13]
	v_exp_f32_e32 v34, v34
	v_mul_f32_e32 v35, 0x3fb8aa3b, v35
	v_add_f32_e32 v59, v59, v44
	v_cndmask_b32_e64 v45, 0, v45, s[14:15]
	v_exp_f32_e32 v35, v35
	v_add_f32_e32 v59, v59, v45
	v_cndmask_b32_e64 v40, 0, v40, s[8:9]
	v_add_f32_e32 v59, v59, v40
	v_cndmask_b32_e64 v41, 0, v41, s[10:11]
	v_add_f32_e32 v59, v59, v41
	v_cndmask_b32_e32 v34, 0, v34, vcc
	v_add_f32_e32 v59, v59, v34
	v_cndmask_b32_e64 v35, 0, v35, s[2:3]
	v_add_f32_e32 v59, v59, v35
	ds_bpermute_b32 v58, v58, v59
	v_cmp_gt_u32_e64 s[2:3], 16, v54
	s_waitcnt lgkmcnt(0)
	s_barrier
	v_add_f32_e32 v58, v59, v58
	ds_bpermute_b32 v59, v57, v58
	v_lshlrev_b32_e32 v57, 2, v52
	s_and_saveexec_b64 s[8:9], s[2:3]
	s_cbranch_execz .LBB236_13
; %bb.12:
	s_waitcnt lgkmcnt(0)
	v_add_f32_e32 v54, v58, v59
	v_lshl_or_b32 v58, v53, 6, v57
	ds_write2st64_b32 v58, v56, v54 offset1:1
.LBB236_13:
	s_or_b64 exec, exec, s[8:9]
	s_load_dword s10, s[4:5], 0x94
	s_waitcnt lgkmcnt(0)
	s_barrier
	ds_read2_b32 v[58:59], v57 offset1:16
	ds_read2_b32 v[60:61], v57 offset0:32 offset1:48
	ds_read2_b32 v[62:63], v57 offset0:64 offset1:80
	s_movk_i32 s12, 0x7fff
	s_mov_b32 s13, 0x7060302
	s_waitcnt lgkmcnt(2)
	v_max3_f32 v54, v58, s42, v59
	s_waitcnt lgkmcnt(1)
	v_max3_f32 v54, v54, v60, v61
	v_sub_f32_e32 v56, v58, v54
	v_mul_f32_e32 v56, 0x3fb8aa3b, v56
	v_exp_f32_e32 v64, v56
	v_sub_f32_e32 v56, v59, v54
	v_mul_f32_e32 v56, 0x3fb8aa3b, v56
	v_exp_f32_e32 v65, v56
	;; [unrolled: 3-line block ×3, first 2 shown]
	ds_read2_b32 v[58:59], v57 offset0:96 offset1:112
	v_sub_f32_e32 v56, v61, v54
	v_mul_f32_e32 v56, 0x3fb8aa3b, v56
	v_exp_f32_e32 v57, v56
	s_waitcnt lgkmcnt(1)
	v_fma_f32 v56, v64, v62, 0
	v_fmac_f32_e32 v56, v65, v63
	s_waitcnt lgkmcnt(0)
	v_fmac_f32_e32 v56, v60, v58
	v_fmac_f32_e32 v56, v57, v59
	v_add_f32_e32 v58, 0x358637bd, v56
	v_div_scale_f32 v59, s[8:9], v58, v58, 1.0
	v_rcp_f32_e32 v61, v59
	s_barrier
	v_fma_f32 v62, -v59, v61, 1.0
	v_fmac_f32_e32 v61, v62, v61
	v_div_scale_f32 v62, vcc, 1.0, v58, 1.0
	v_mul_f32_e32 v63, v62, v61
	v_fma_f32 v66, -v59, v63, v62
	v_fmac_f32_e32 v63, v66, v61
	v_fma_f32 v59, -v59, v63, v62
	v_div_fmas_f32 v59, v59, v61, v63
	v_cmp_eq_u32_e32 vcc, 1, v53
	v_div_fixup_f32 v58, v59, v58, 1.0
	v_cndmask_b32_e32 v59, v64, v65, vcc
	v_cmp_eq_u32_e32 vcc, 2, v53
	v_cndmask_b32_e32 v59, v59, v60, vcc
	v_cmp_eq_u32_e32 vcc, 3, v53
	v_cndmask_b32_e32 v57, v59, v57, vcc
	v_mul_f32_e32 v58, v57, v58
	v_pk_mul_f32 v[36:37], v[58:59], v[36:37] op_sel_hi:[0,1]
	v_pk_mul_f32 v[46:47], v[58:59], v[46:47] op_sel_hi:[0,1]
	v_bfe_u32 v57, v37, 16, 1
	v_bfe_u32 v59, v36, 16, 1
	v_add3_u32 v36, v36, v59, s12
	v_add3_u32 v37, v37, v57, s12
	v_perm_b32 v60, v37, v36, s13
	v_bfe_u32 v36, v47, 16, 1
	v_bfe_u32 v37, v46, 16, 1
	v_add3_u32 v37, v46, v37, s12
	v_add3_u32 v36, v47, v36, s12
	v_perm_b32 v61, v36, v37, s13
	v_lshlrev_b32_e32 v36, 3, v1
	v_lshlrev_b32_e32 v37, 11, v53
	v_pk_mul_f32 v[38:39], v[58:59], v[38:39] op_sel_hi:[0,1]
	v_or3_b32 v36, v37, v55, v36
	v_pk_mul_f32 v[46:47], v[58:59], v[48:49] op_sel_hi:[0,1]
	v_bfe_u32 v37, v39, 16, 1
	v_bfe_u32 v48, v38, 16, 1
	v_add3_u32 v38, v38, v48, s12
	v_add3_u32 v37, v39, v37, s12
	v_perm_b32 v38, v37, v38, s13
	v_bfe_u32 v37, v47, 16, 1
	v_bfe_u32 v39, v46, 16, 1
	v_add3_u32 v39, v46, v39, s12
	v_add3_u32 v37, v47, v37, s12
	v_perm_b32 v39, v37, v39, s13
	v_pk_mul_f32 v[42:43], v[58:59], v[42:43] op_sel_hi:[0,1]
	ds_write2st64_b64 v36, v[60:61], v[38:39] offset1:1
	v_pk_mul_f32 v[38:39], v[58:59], v[44:45] op_sel_hi:[0,1]
	v_bfe_u32 v37, v43, 16, 1
	v_bfe_u32 v44, v42, 16, 1
	v_add3_u32 v42, v42, v44, s12
	v_add3_u32 v37, v43, v37, s12
	v_perm_b32 v42, v37, v42, s13
	v_bfe_u32 v37, v39, 16, 1
	v_bfe_u32 v43, v38, 16, 1
	v_add3_u32 v38, v38, v43, s12
	v_add3_u32 v37, v39, v37, s12
	v_perm_b32 v43, v37, v38, s13
	v_pk_mul_f32 v[38:39], v[58:59], v[40:41] op_sel_hi:[0,1]
	v_bfe_u32 v37, v39, 16, 1
	v_bfe_u32 v40, v38, 16, 1
	v_pk_mul_f32 v[34:35], v[58:59], v[34:35] op_sel_hi:[0,1]
	v_add3_u32 v38, v38, v40, s12
	v_add3_u32 v37, v39, v37, s12
	v_perm_b32 v38, v37, v38, s13
	v_bfe_u32 v37, v35, 16, 1
	v_bfe_u32 v39, v34, 16, 1
	v_add3_u32 v34, v34, v39, s12
	v_add3_u32 v35, v35, v37, s12
	s_mul_i32 s11, s33, 9
	v_perm_b32 v39, v35, v34, s13
	v_cmp_gt_u32_e32 vcc, 9, v0
	ds_write2st64_b64 v36, v[42:43], v[38:39] offset0:2 offset1:3
	s_and_saveexec_b64 s[8:9], vcc
	s_cbranch_execz .LBB236_15
; %bb.14:
	v_add_co_u32_e32 v38, vcc, s29, v52
	v_addc_co_u32_e64 v39, s[14:15], 0, 0, vcc
	v_mov_b32_e32 v34, s11
	v_mov_b32_e32 v35, 0
	v_mad_u64_u32 v[38:39], s[14:15], s6, v34, v[38:39]
	v_mov_b32_e32 v34, s28
	s_load_dwordx4 s[16:19], s[4:5], 0x58
	s_mul_i32 s7, s7, s11
	v_mad_u64_u32 v[34:35], s[14:15], v38, s10, v[34:35]
	v_add_u32_e32 v37, s7, v39
	v_mov_b32_e32 v38, v35
	v_mad_u64_u32 v[38:39], s[14:15], v37, s10, v[38:39]
	v_mov_b32_e32 v35, v38
	v_lshlrev_b64 v[34:35], 2, v[34:35]
	s_waitcnt lgkmcnt(0)
	v_mov_b32_e32 v37, s19
	v_add_co_u32_e32 v38, vcc, s18, v34
	v_addc_co_u32_e32 v39, vcc, v37, v35, vcc
	v_mov_b32_e32 v37, s17
	v_add_co_u32_e32 v34, vcc, s16, v34
	v_addc_co_u32_e32 v35, vcc, v37, v35, vcc
	global_store_dword v[38:39], v54, off
	global_store_dword v[34:35], v56, off
.LBB236_15:
	s_or_b64 exec, exec, s[8:9]
	v_lshl_or_b32 v34, v1, 9, v55
	s_waitcnt lgkmcnt(0)
	s_barrier
	ds_read_b128 v[38:41], v34
	ds_read_b128 v[42:45], v34 offset:16
	s_waitcnt vmcnt(7) lgkmcnt(1)
	v_mfma_f32_16x16x16bf16_1k v[46:49], v[14:15], v[38:39], 0
	v_cmp_gt_u32_e32 vcc, 64, v0
	s_mov_b32 s7, 0
	s_and_b64 s[0:1], vcc, s[0:1]
	v_mfma_f32_16x16x16bf16_1k v[14:17], v[16:17], v[40:41], v[46:49]
	s_waitcnt vmcnt(6) lgkmcnt(0)
	v_mfma_f32_16x16x16bf16_1k v[14:17], v[10:11], v[42:43], v[14:17]
	v_mfma_f32_16x16x16bf16_1k v[10:13], v[12:13], v[44:45], v[14:17]
	s_nop 7
	s_nop 1
	ds_read_b128 v[14:17], v34 offset:2048
	ds_read_b128 v[38:41], v34 offset:2064
	s_waitcnt vmcnt(5) lgkmcnt(1)
	v_mfma_f32_16x16x16bf16_1k v[10:13], v[6:7], v[14:15], v[10:13]
	v_mfma_f32_16x16x16bf16_1k v[6:9], v[8:9], v[16:17], v[10:13]
	s_waitcnt vmcnt(4) lgkmcnt(0)
	v_mfma_f32_16x16x16bf16_1k v[6:9], v[2:3], v[38:39], v[6:9]
	v_mfma_f32_16x16x16bf16_1k v[2:5], v[4:5], v[40:41], v[6:9]
	s_nop 7
	s_nop 1
	ds_read_b128 v[6:9], v34 offset:4096
	ds_read_b128 v[10:13], v34 offset:4112
	s_waitcnt vmcnt(3) lgkmcnt(1)
	v_mfma_f32_16x16x16bf16_1k v[2:5], v[30:31], v[6:7], v[2:5]
	v_mfma_f32_16x16x16bf16_1k v[2:5], v[32:33], v[8:9], v[2:5]
	s_waitcnt vmcnt(2) lgkmcnt(0)
	v_mfma_f32_16x16x16bf16_1k v[2:5], v[22:23], v[10:11], v[2:5]
	v_mfma_f32_16x16x16bf16_1k v[2:5], v[24:25], v[12:13], v[2:5]
	ds_read_b128 v[6:9], v34 offset:6144
	ds_read_b128 v[10:13], v34 offset:6160
	s_waitcnt lgkmcnt(0)
	s_barrier
	s_waitcnt vmcnt(1)
	v_mfma_f32_16x16x16bf16_1k v[2:5], v[26:27], v[6:7], v[2:5]
	v_mfma_f32_16x16x16bf16_1k v[2:5], v[28:29], v[8:9], v[2:5]
	s_waitcnt vmcnt(0)
	v_mfma_f32_16x16x16bf16_1k v[2:5], v[18:19], v[10:11], v[2:5]
	v_mfma_f32_16x16x16bf16_1k v[2:5], v[20:21], v[12:13], v[2:5]
	s_nop 7
	s_nop 2
	v_bfe_u32 v6, v3, 16, 1
	v_bfe_u32 v7, v2, 16, 1
	;; [unrolled: 1-line block ×4, first 2 shown]
	v_add3_u32 v2, v2, v7, s12
	v_add3_u32 v3, v3, v6, s12
	;; [unrolled: 1-line block ×4, first 2 shown]
	v_perm_b32 v2, v3, v2, s13
	v_perm_b32 v3, v5, v4, s13
	ds_write_b64 v36, v[2:3]
	s_waitcnt lgkmcnt(0)
	s_barrier
	s_and_saveexec_b64 s[8:9], s[0:1]
	s_cbranch_execz .LBB236_18
; %bb.16:
	s_load_dwordx2 s[4:5], s[4:5], 0x68
	s_lshl_b32 s0, s10, 6
	s_mul_i32 s1, s11, s6
	s_mul_hi_u32 s9, s1, s0
	s_mul_i32 s8, s1, s0
	s_lshl_b64 s[8:9], s[8:9], 1
	s_waitcnt lgkmcnt(0)
	s_add_u32 s1, s4, s8
	v_lshlrev_b32_e32 v0, 10, v0
	s_addc_u32 s8, s5, s9
	s_lshl_b32 s6, s28, 6
	v_and_b32_e32 v0, 0x1800, v0
	v_lshlrev_b32_e32 v2, 5, v1
	v_and_b32_e32 v3, 16, v51
	s_lshl_b64 s[4:5], s[6:7], 1
	v_or3_b32 v0, v0, v2, v3
	s_add_u32 s1, s1, s4
	s_addc_u32 s4, s8, s5
	ds_read_b128 v[4:7], v0 offset:128
	ds_read_b128 v[8:11], v0
	v_add_u32_e32 v14, s29, v1
	v_mov_b32_e32 v3, s4
	v_add_co_u32_e32 v2, vcc, s1, v50
	v_mad_u64_u32 v[12:13], s[4:5], v14, s0, 0
	v_addc_co_u32_e32 v3, vcc, 0, v3, vcc
	v_lshlrev_b64 v[12:13], 1, v[12:13]
	v_add_co_u32_e32 v12, vcc, v2, v12
	v_addc_co_u32_e32 v13, vcc, v3, v13, vcc
	s_waitcnt lgkmcnt(0)
	global_store_dwordx4 v[12:13], v[8:11], off
	s_nop 0
	v_add_u32_e32 v8, 4, v14
	v_mad_u64_u32 v[8:9], s[4:5], v8, s0, 0
	v_lshlrev_b64 v[8:9], 1, v[8:9]
	v_add_co_u32_e32 v8, vcc, v2, v8
	v_addc_co_u32_e32 v9, vcc, v3, v9, vcc
	global_store_dwordx4 v[8:9], v[4:7], off
	s_and_b64 exec, exec, s[2:3]
	s_cbranch_execz .LBB236_18
; %bb.17:
	ds_read_b128 v[4:7], v0 offset:256
	v_add3_u32 v0, s29, v1, 8
	v_mad_u64_u32 v[0:1], s[0:1], v0, s0, 0
	v_lshlrev_b64 v[0:1], 1, v[0:1]
	v_add_co_u32_e32 v0, vcc, v2, v0
	v_addc_co_u32_e32 v1, vcc, v3, v1, vcc
	s_waitcnt lgkmcnt(0)
	global_store_dwordx4 v[0:1], v[4:7], off
.LBB236_18:
	s_endpgm
	.section	.rodata,"a",@progbits
	.p2align	6, 0x0
	.amdhsa_kernel _Z39paged_attention_ll4mi_QKV_mfma16_kernelI14__hip_bfloat16S0_LN4vllm18Fp8KVCacheDataTypeE0ES0_Li16ELi64ELi256ELb0ELi9EL8MFMAType0EEvPKT_PKT0_S9_ifPKiSB_SB_iPKfiiiPfSE_PS4_PT2_iSD_SD_
		.amdhsa_group_segment_fixed_size 8192
		.amdhsa_private_segment_fixed_size 0
		.amdhsa_kernarg_size 400
		.amdhsa_user_sgpr_count 6
		.amdhsa_user_sgpr_private_segment_buffer 1
		.amdhsa_user_sgpr_dispatch_ptr 0
		.amdhsa_user_sgpr_queue_ptr 0
		.amdhsa_user_sgpr_kernarg_segment_ptr 1
		.amdhsa_user_sgpr_dispatch_id 0
		.amdhsa_user_sgpr_flat_scratch_init 0
		.amdhsa_user_sgpr_kernarg_preload_length 0
		.amdhsa_user_sgpr_kernarg_preload_offset 0
		.amdhsa_user_sgpr_private_segment_size 0
		.amdhsa_uses_dynamic_stack 0
		.amdhsa_system_sgpr_private_segment_wavefront_offset 0
		.amdhsa_system_sgpr_workgroup_id_x 1
		.amdhsa_system_sgpr_workgroup_id_y 1
		.amdhsa_system_sgpr_workgroup_id_z 1
		.amdhsa_system_sgpr_workgroup_info 0
		.amdhsa_system_vgpr_workitem_id 0
		.amdhsa_next_free_vgpr 67
		.amdhsa_next_free_sgpr 48
		.amdhsa_accum_offset 68
		.amdhsa_reserve_vcc 1
		.amdhsa_reserve_flat_scratch 0
		.amdhsa_float_round_mode_32 0
		.amdhsa_float_round_mode_16_64 0
		.amdhsa_float_denorm_mode_32 3
		.amdhsa_float_denorm_mode_16_64 3
		.amdhsa_dx10_clamp 1
		.amdhsa_ieee_mode 1
		.amdhsa_fp16_overflow 0
		.amdhsa_tg_split 0
		.amdhsa_exception_fp_ieee_invalid_op 0
		.amdhsa_exception_fp_denorm_src 0
		.amdhsa_exception_fp_ieee_div_zero 0
		.amdhsa_exception_fp_ieee_overflow 0
		.amdhsa_exception_fp_ieee_underflow 0
		.amdhsa_exception_fp_ieee_inexact 0
		.amdhsa_exception_int_div_zero 0
	.end_amdhsa_kernel
	.section	.text._Z39paged_attention_ll4mi_QKV_mfma16_kernelI14__hip_bfloat16S0_LN4vllm18Fp8KVCacheDataTypeE0ES0_Li16ELi64ELi256ELb0ELi9EL8MFMAType0EEvPKT_PKT0_S9_ifPKiSB_SB_iPKfiiiPfSE_PS4_PT2_iSD_SD_,"axG",@progbits,_Z39paged_attention_ll4mi_QKV_mfma16_kernelI14__hip_bfloat16S0_LN4vllm18Fp8KVCacheDataTypeE0ES0_Li16ELi64ELi256ELb0ELi9EL8MFMAType0EEvPKT_PKT0_S9_ifPKiSB_SB_iPKfiiiPfSE_PS4_PT2_iSD_SD_,comdat
.Lfunc_end236:
	.size	_Z39paged_attention_ll4mi_QKV_mfma16_kernelI14__hip_bfloat16S0_LN4vllm18Fp8KVCacheDataTypeE0ES0_Li16ELi64ELi256ELb0ELi9EL8MFMAType0EEvPKT_PKT0_S9_ifPKiSB_SB_iPKfiiiPfSE_PS4_PT2_iSD_SD_, .Lfunc_end236-_Z39paged_attention_ll4mi_QKV_mfma16_kernelI14__hip_bfloat16S0_LN4vllm18Fp8KVCacheDataTypeE0ES0_Li16ELi64ELi256ELb0ELi9EL8MFMAType0EEvPKT_PKT0_S9_ifPKiSB_SB_iPKfiiiPfSE_PS4_PT2_iSD_SD_
                                        ; -- End function
	.section	.AMDGPU.csdata,"",@progbits
; Kernel info:
; codeLenInByte = 4244
; NumSgprs: 52
; NumVgprs: 67
; NumAgprs: 0
; TotalNumVgprs: 67
; ScratchSize: 0
; MemoryBound: 0
; FloatMode: 240
; IeeeMode: 1
; LDSByteSize: 8192 bytes/workgroup (compile time only)
; SGPRBlocks: 6
; VGPRBlocks: 8
; NumSGPRsForWavesPerEU: 52
; NumVGPRsForWavesPerEU: 67
; AccumOffset: 68
; Occupancy: 7
; WaveLimiterHint : 1
; COMPUTE_PGM_RSRC2:SCRATCH_EN: 0
; COMPUTE_PGM_RSRC2:USER_SGPR: 6
; COMPUTE_PGM_RSRC2:TRAP_HANDLER: 0
; COMPUTE_PGM_RSRC2:TGID_X_EN: 1
; COMPUTE_PGM_RSRC2:TGID_Y_EN: 1
; COMPUTE_PGM_RSRC2:TGID_Z_EN: 1
; COMPUTE_PGM_RSRC2:TIDIG_COMP_CNT: 0
; COMPUTE_PGM_RSRC3_GFX90A:ACCUM_OFFSET: 16
; COMPUTE_PGM_RSRC3_GFX90A:TG_SPLIT: 0
	.section	.text._Z39paged_attention_ll4mi_QKV_mfma16_kernelI14__hip_bfloat16S0_LN4vllm18Fp8KVCacheDataTypeE0ES0_Li16ELi64ELi256ELb0ELi10EL8MFMAType0EEvPKT_PKT0_S9_ifPKiSB_SB_iPKfiiiPfSE_PS4_PT2_iSD_SD_,"axG",@progbits,_Z39paged_attention_ll4mi_QKV_mfma16_kernelI14__hip_bfloat16S0_LN4vllm18Fp8KVCacheDataTypeE0ES0_Li16ELi64ELi256ELb0ELi10EL8MFMAType0EEvPKT_PKT0_S9_ifPKiSB_SB_iPKfiiiPfSE_PS4_PT2_iSD_SD_,comdat
	.protected	_Z39paged_attention_ll4mi_QKV_mfma16_kernelI14__hip_bfloat16S0_LN4vllm18Fp8KVCacheDataTypeE0ES0_Li16ELi64ELi256ELb0ELi10EL8MFMAType0EEvPKT_PKT0_S9_ifPKiSB_SB_iPKfiiiPfSE_PS4_PT2_iSD_SD_ ; -- Begin function _Z39paged_attention_ll4mi_QKV_mfma16_kernelI14__hip_bfloat16S0_LN4vllm18Fp8KVCacheDataTypeE0ES0_Li16ELi64ELi256ELb0ELi10EL8MFMAType0EEvPKT_PKT0_S9_ifPKiSB_SB_iPKfiiiPfSE_PS4_PT2_iSD_SD_
	.globl	_Z39paged_attention_ll4mi_QKV_mfma16_kernelI14__hip_bfloat16S0_LN4vllm18Fp8KVCacheDataTypeE0ES0_Li16ELi64ELi256ELb0ELi10EL8MFMAType0EEvPKT_PKT0_S9_ifPKiSB_SB_iPKfiiiPfSE_PS4_PT2_iSD_SD_
	.p2align	8
	.type	_Z39paged_attention_ll4mi_QKV_mfma16_kernelI14__hip_bfloat16S0_LN4vllm18Fp8KVCacheDataTypeE0ES0_Li16ELi64ELi256ELb0ELi10EL8MFMAType0EEvPKT_PKT0_S9_ifPKiSB_SB_iPKfiiiPfSE_PS4_PT2_iSD_SD_,@function
_Z39paged_attention_ll4mi_QKV_mfma16_kernelI14__hip_bfloat16S0_LN4vllm18Fp8KVCacheDataTypeE0ES0_Li16ELi64ELi256ELb0ELi10EL8MFMAType0EEvPKT_PKT0_S9_ifPKiSB_SB_iPKfiiiPfSE_PS4_PT2_iSD_SD_: ; @_Z39paged_attention_ll4mi_QKV_mfma16_kernelI14__hip_bfloat16S0_LN4vllm18Fp8KVCacheDataTypeE0ES0_Li16ELi64ELi256ELb0ELi10EL8MFMAType0EEvPKT_PKT0_S9_ifPKiSB_SB_iPKfiiiPfSE_PS4_PT2_iSD_SD_
; %bb.0:
	s_load_dwordx2 s[0:1], s[4:5], 0x30
	s_mov_b32 s28, s7
	s_mov_b64 s[10:11], 0
	s_waitcnt lgkmcnt(0)
	s_cmp_lg_u64 s[0:1], 0
	s_cselect_b64 s[2:3], -1, 0
	s_and_b64 vcc, exec, s[2:3]
	s_cbranch_vccz .LBB237_7
; %bb.1:
	s_add_i32 s12, s6, 1
	s_mov_b32 s13, 0
	s_lshl_b64 s[14:15], s[12:13], 2
	s_add_u32 s14, s0, s14
	s_mov_b32 s7, s13
	s_addc_u32 s15, s1, s15
	s_lshl_b64 s[12:13], s[6:7], 2
	s_add_u32 s12, s0, s12
	s_addc_u32 s13, s1, s13
	s_load_dword s9, s[14:15], 0x0
	s_load_dword s16, s[12:13], 0x0
	s_waitcnt lgkmcnt(0)
	s_sub_i32 s9, s9, s16
	s_cmp_eq_u32 s9, 1
	s_cselect_b64 s[12:13], -1, 0
	s_andn2_b64 vcc, exec, s[10:11]
	s_cbranch_vccnz .LBB237_3
.LBB237_2:
	s_mov_b32 s7, 0
	s_mov_b64 s[12:13], -1
.LBB237_3:
	s_andn2_b64 vcc, exec, s[12:13]
	s_cbranch_vccnz .LBB237_18
; %bb.4:
	s_load_dwordx2 s[12:13], s[4:5], 0x28
	s_lshl_b64 s[10:11], s[6:7], 2
	s_waitcnt lgkmcnt(0)
	s_add_u32 s12, s12, s10
	s_addc_u32 s13, s13, s11
	s_load_dword s40, s[12:13], 0x0
	s_lshl_b32 s16, s28, 8
	s_waitcnt lgkmcnt(0)
	s_cmp_ge_i32 s16, s40
	s_cbranch_scc1 .LBB237_18
; %bb.5:
	s_add_i32 s14, s40, 15
	s_load_dwordx2 s[12:13], s[4:5], 0x20
	s_load_dword s9, s[4:5], 0x38
	s_ashr_i32 s15, s14, 31
	v_and_b32_e32 v1, 0xcf, v0
	s_lshr_b32 s15, s15, 28
	v_add_u32_e32 v1, s16, v1
	s_add_i32 s14, s14, s15
	v_ashrrev_i32_e32 v2, 31, v1
	s_ashr_i32 s19, s14, 4
	v_lshrrev_b32_e32 v10, 28, v2
	s_add_i32 s19, s19, -1
	v_add_u32_e32 v2, v1, v10
	s_waitcnt lgkmcnt(0)
	s_mul_i32 s14, s6, s9
	s_mov_b32 s15, 0
	v_ashrrev_i32_e32 v2, 4, v2
	v_mov_b32_e32 v11, s19
	v_cmp_gt_i32_e32 vcc, s40, v1
	s_lshl_b64 s[14:15], s[14:15], 2
	v_cndmask_b32_e32 v2, v11, v2, vcc
	s_add_u32 s17, s12, s14
	v_ashrrev_i32_e32 v3, 31, v2
	s_addc_u32 s18, s13, s15
	v_lshlrev_b64 v[2:3], 2, v[2:3]
	v_mov_b32_e32 v5, s18
	v_add_co_u32_e32 v4, vcc, s17, v2
	v_or_b32_e32 v2, 16, v1
	v_addc_co_u32_e32 v5, vcc, v5, v3, vcc
	v_add_u32_e32 v3, v2, v10
	v_ashrrev_i32_e32 v3, 4, v3
	v_cmp_gt_i32_e32 vcc, s40, v2
	v_cndmask_b32_e32 v2, v11, v3, vcc
	v_ashrrev_i32_e32 v3, 31, v2
	v_lshlrev_b64 v[2:3], 2, v[2:3]
	v_mov_b32_e32 v7, s18
	v_add_co_u32_e32 v6, vcc, s17, v2
	v_or_b32_e32 v2, 32, v1
	v_addc_co_u32_e32 v7, vcc, v7, v3, vcc
	v_add_u32_e32 v3, v2, v10
	v_ashrrev_i32_e32 v3, 4, v3
	v_cmp_gt_i32_e32 vcc, s40, v2
	v_cndmask_b32_e32 v2, v11, v3, vcc
	v_ashrrev_i32_e32 v3, 31, v2
	;; [unrolled: 10-line block ×3, first 2 shown]
	v_lshlrev_b64 v[2:3], 2, v[2:3]
	v_mov_b32_e32 v1, s18
	v_add_co_u32_e32 v10, vcc, s17, v2
	v_addc_co_u32_e32 v11, vcc, v1, v3, vcc
	global_load_dword v3, v[4:5], off
	global_load_dword v2, v[6:7], off
	;; [unrolled: 1-line block ×4, first 2 shown]
	s_load_dwordx4 s[12:15], s[4:5], 0x8
	s_andn2_b64 vcc, exec, s[2:3]
	s_cbranch_vccnz .LBB237_8
; %bb.6:
	s_add_u32 s0, s0, s10
	s_addc_u32 s1, s1, s11
	s_load_dword s9, s[0:1], 0x0
	s_branch .LBB237_9
.LBB237_7:
	s_mov_b64 s[12:13], 0
	s_branch .LBB237_2
.LBB237_8:
	s_mov_b32 s9, s6
.LBB237_9:
	s_load_dwordx4 s[44:47], s[4:5], 0x48
	v_lshrrev_b32_e32 v53, 6, v0
	v_bfe_u32 v1, v0, 4, 2
	v_lshl_or_b32 v4, v53, 2, v1
	v_and_b32_e32 v52, 15, v0
	v_lshlrev_b32_e32 v5, 3, v52
	v_cmp_gt_u32_e32 vcc, 10, v4
	v_cmp_gt_u32_e64 s[0:1], 8, v52
	v_and_b32_e32 v54, 63, v0
	s_mul_i32 s29, s8, 10
	s_and_b64 s[10:11], s[0:1], vcc
	v_lshlrev_b32_e32 v50, 1, v5
	s_and_saveexec_b64 s[2:3], s[10:11]
	s_cbranch_execz .LBB237_11
; %bb.10:
	s_load_dwordx2 s[10:11], s[4:5], 0x0
	s_waitcnt lgkmcnt(0)
	s_ashr_i32 s20, s44, 31
	s_mul_hi_u32 s21, s9, s44
	s_mul_i32 s20, s9, s20
	s_add_i32 s21, s21, s20
	s_mul_i32 s20, s9, s44
	s_lshl_b64 s[20:21], s[20:21], 1
	v_add_lshl_u32 v6, v4, s29, 6
	s_add_u32 s9, s10, s20
	v_ashrrev_i32_e32 v7, 31, v6
	s_addc_u32 s10, s11, s21
	v_lshlrev_b64 v[6:7], 1, v[6:7]
	v_mov_b32_e32 v5, s10
	v_add_co_u32_e32 v6, vcc, s9, v6
	v_addc_co_u32_e32 v5, vcc, v5, v7, vcc
	v_add_co_u32_e32 v6, vcc, v6, v50
	v_addc_co_u32_e32 v7, vcc, 0, v5, vcc
	global_load_dwordx4 v[6:9], v[6:7], off
	v_and_b32_e32 v5, 3, v0
	v_lshlrev_b32_e32 v10, 9, v52
	v_lshlrev_b32_e32 v4, 5, v4
	;; [unrolled: 1-line block ×3, first 2 shown]
	v_and_b32_e32 v10, 0x1800, v10
	v_or3_b32 v4, v10, v5, v4
	s_waitcnt vmcnt(0)
	ds_write_b128 v4, v[6:9]
.LBB237_11:
	s_or_b64 exec, exec, s[2:3]
	s_waitcnt lgkmcnt(0)
	s_mul_i32 s8, s8, s46
	s_mov_b32 s9, 0
	s_lshl_b64 s[8:9], s[8:9], 1
	s_add_u32 s3, s12, s8
	v_lshlrev_b32_e32 v51, 4, v0
	s_addc_u32 s10, s13, s9
	v_and_b32_e32 v4, 0xf0, v51
	v_mov_b32_e32 v5, s10
	v_add_co_u32_e32 v29, vcc, s3, v4
	v_addc_co_u32_e32 v30, vcc, 0, v5, vcc
	s_waitcnt vmcnt(3)
	v_mad_i64_i32 v[4:5], s[10:11], v3, s45, 0
	v_lshlrev_b64 v[4:5], 1, v[4:5]
	v_add_co_u32_e32 v3, vcc, v29, v4
	v_addc_co_u32_e32 v5, vcc, v30, v5, vcc
	v_and_b32_e32 v31, 0x300, v51
	v_add_co_u32_e32 v4, vcc, v3, v31
	v_addc_co_u32_e32 v5, vcc, 0, v5, vcc
	s_load_dword s33, s[4:5], 0x98
	s_load_dword s2, s[4:5], 0x1c
	s_waitcnt lgkmcnt(0)
	s_barrier
	global_load_dwordx4 v[6:9], v[4:5], off
	s_waitcnt vmcnt(3)
	v_mad_i64_i32 v[2:3], s[10:11], v2, s45, 0
	v_lshlrev_b64 v[2:3], 1, v[2:3]
	v_add_co_u32_e32 v2, vcc, v29, v2
	v_addc_co_u32_e32 v3, vcc, v30, v3, vcc
	v_add_co_u32_e32 v2, vcc, v2, v31
	v_addc_co_u32_e32 v3, vcc, 0, v3, vcc
	global_load_dwordx4 v[22:25], v[2:3], off
	global_load_dwordx4 v[10:13], v[4:5], off offset:1024
	global_load_dwordx4 v[14:17], v[2:3], off offset:1024
	v_add_u32_e32 v2, -10, v52
	v_cmp_gt_u32_e32 vcc, 10, v52
	v_cndmask_b32_e32 v2, v2, v52, vcc
	v_lshlrev_b32_e32 v2, 5, v2
	v_lshl_add_u32 v20, v1, 9, v2
	ds_read_b128 v[2:5], v20
	s_waitcnt vmcnt(5)
	v_mad_i64_i32 v[18:19], s[10:11], v18, s45, 0
	v_lshlrev_b64 v[26:27], 1, v[18:19]
	ds_read_b128 v[18:21], v20 offset:2048
	v_and_or_b32 v55, v0, 48, s16
	v_mov_b32_e32 v60, s19
	v_mov_b32_e32 v49, s18
	v_or_b32_e32 v57, 0x80, v55
	v_mov_b32_e32 v56, s18
	v_mov_b32_e32 v61, s18
	s_add_u32 s3, s14, s8
	s_addc_u32 s8, s15, s9
	s_mov_b32 s42, 0xff7fffff
	s_waitcnt vmcnt(2) lgkmcnt(1)
	v_mfma_f32_16x16x16bf16_1k v[36:39], v[22:23], v[2:3], 0
	v_mad_i64_i32 v[22:23], s[10:11], v28, s45, 0
	v_lshlrev_b64 v[44:45], 1, v[22:23]
	v_ashrrev_i32_e32 v22, 4, v55
	v_or_b32_e32 v28, 64, v55
	v_mfma_f32_16x16x16bf16_1k v[32:35], v[6:7], v[2:3], 0
	v_add_co_u32_e32 v6, vcc, v29, v26
	v_addc_co_u32_e32 v7, vcc, v30, v27, vcc
	v_add_co_u32_e32 v26, vcc, v6, v31
	v_addc_co_u32_e32 v27, vcc, 0, v7, vcc
	global_load_dwordx4 v[40:43], v[26:27], off
	v_mfma_f32_16x16x16bf16_1k v[6:9], v[8:9], v[4:5], v[32:35]
	v_cmp_gt_i32_e32 vcc, s40, v55
	v_cndmask_b32_e32 v46, v60, v22, vcc
	v_cmp_gt_i32_e32 vcc, s40, v28
	v_ashrrev_i32_e32 v47, 31, v46
	s_nop 2
	global_load_dwordx4 v[32:35], v[26:27], off offset:1024
	v_mfma_f32_16x16x16bf16_1k v[22:25], v[24:25], v[4:5], v[36:39]
	s_nop 6
	v_ashrrev_i32_e32 v36, 4, v28
	v_cndmask_b32_e32 v48, v60, v36, vcc
	s_waitcnt vmcnt(3) lgkmcnt(0)
	v_mfma_f32_16x16x16bf16_1k v[6:9], v[10:11], v[18:19], v[6:9]
	v_add_co_u32_e32 v10, vcc, v29, v44
	v_addc_co_u32_e32 v11, vcc, v30, v45, vcc
	v_add_co_u32_e32 v10, vcc, v10, v31
	v_addc_co_u32_e32 v11, vcc, 0, v11, vcc
	v_lshlrev_b64 v[36:37], 2, v[46:47]
	global_load_dwordx4 v[26:29], v[10:11], off
	s_waitcnt vmcnt(3)
	v_mfma_f32_16x16x16bf16_1k v[22:25], v[14:15], v[18:19], v[22:25]
	v_add_co_u32_e32 v14, vcc, s17, v36
	v_addc_co_u32_e32 v15, vcc, v49, v37, vcc
	global_load_dword v44, v[14:15], off
	v_ashrrev_i32_e32 v38, 4, v57
	v_cmp_gt_i32_e32 vcc, s40, v57
	v_ashrrev_i32_e32 v49, 31, v48
	v_cndmask_b32_e32 v14, v60, v38, vcc
	v_mfma_f32_16x16x16bf16_1k v[36:39], v[12:13], v[20:21], v[6:9]
	v_ashrrev_i32_e32 v15, 31, v14
	v_mov_b32_e32 v12, s18
	s_nop 4
	v_lshlrev_b64 v[6:7], 2, v[48:49]
	v_add_co_u32_e32 v6, vcc, s17, v6
	v_addc_co_u32_e32 v7, vcc, v56, v7, vcc
	global_load_dwordx4 v[56:59], v[10:11], off offset:1024
	global_load_dword v45, v[6:7], off
	v_lshlrev_b64 v[6:7], 2, v[14:15]
	v_add_co_u32_e32 v10, vcc, s17, v6
	v_addc_co_u32_e32 v11, vcc, v61, v7, vcc
	s_waitcnt vmcnt(5)
	v_mfma_f32_16x16x16bf16_1k v[6:9], v[40:41], v[2:3], 0
	global_load_dword v40, v[10:11], off
	v_or_b32_e32 v10, 0xc0, v55
	v_ashrrev_i32_e32 v11, 4, v10
	v_cmp_gt_i32_e32 vcc, s40, v10
	v_cndmask_b32_e32 v10, v60, v11, vcc
	v_ashrrev_i32_e32 v11, 31, v10
	v_lshlrev_b64 v[10:11], 2, v[10:11]
	v_mfma_f32_16x16x16bf16_1k v[6:9], v[42:43], v[4:5], v[6:9]
	v_add_co_u32_e32 v10, vcc, s17, v10
	v_addc_co_u32_e32 v11, vcc, v12, v11, vcc
	global_load_dword v60, v[10:11], off
	v_lshlrev_b32_e32 v55, 5, v52
	v_lshl_or_b32 v10, v53, 9, v55
	s_waitcnt vmcnt(6)
	v_mfma_f32_16x16x16bf16_1k v[6:9], v[32:33], v[18:19], v[6:9]
	v_mov_b32_e32 v11, s8
	v_add_co_u32_e32 v61, vcc, s3, v10
	v_addc_co_u32_e32 v62, vcc, 0, v11, vcc
	v_pk_mul_f32 v[46:47], s[2:3], v[38:39] op_sel_hi:[0,1]
	v_mfma_f32_16x16x16bf16_1k v[30:33], v[34:35], v[20:21], v[6:9]
	s_waitcnt vmcnt(1)
	v_mad_i64_i32 v[34:35], s[8:9], v40, s45, 0
	s_nop 4
	v_mad_i64_i32 v[6:7], s[8:9], v44, s45, 0
	v_lshlrev_b64 v[10:11], 1, v[6:7]
	v_mfma_f32_16x16x16bf16_1k v[6:9], v[26:27], v[2:3], 0
	v_add_co_u32_e32 v2, vcc, v61, v10
	v_addc_co_u32_e32 v3, vcc, v62, v11, vcc
	v_lshlrev_b64 v[34:35], 1, v[34:35]
	v_pk_mul_f32 v[42:43], s[2:3], v[30:31] op_sel_hi:[0,1]
	v_mfma_f32_16x16x16bf16_1k v[26:29], v[28:29], v[4:5], v[6:9]
	v_mfma_f32_16x16x16bf16_1k v[22:25], v[16:17], v[20:21], v[22:25]
	global_load_dwordx4 v[14:17], v[2:3], off
	global_load_dwordx4 v[10:13], v[2:3], off offset:16
	v_mad_i64_i32 v[2:3], s[8:9], v45, s45, 0
	v_lshlrev_b64 v[2:3], 1, v[2:3]
	v_add_co_u32_e32 v2, vcc, v61, v2
	v_addc_co_u32_e32 v3, vcc, v62, v3, vcc
	v_mfma_f32_16x16x16bf16_1k v[26:29], v[56:57], v[18:19], v[26:29]
	s_nop 3
	v_pk_mul_f32 v[38:39], s[2:3], v[22:23] op_sel_hi:[0,1]
	v_add_co_u32_e32 v56, vcc, v61, v34
	v_addc_co_u32_e32 v57, vcc, v62, v35, vcc
	v_pk_mul_f32 v[18:19], s[2:3], v[36:37] op_sel_hi:[0,1]
	v_pk_mul_f32 v[48:49], s[2:3], v[24:25] op_sel_hi:[0,1]
	v_mfma_f32_16x16x16bf16_1k v[20:23], v[58:59], v[20:21], v[26:29]
	v_pk_mul_f32 v[44:45], s[2:3], v[32:33] op_sel_hi:[0,1]
	global_load_dwordx4 v[6:9], v[2:3], off
	s_nop 0
	global_load_dwordx4 v[2:5], v[2:3], off offset:16
	s_nop 6
	v_pk_mul_f32 v[40:41], s[2:3], v[20:21] op_sel_hi:[0,1]
	v_and_b32_e32 v20, 0xc0, v0
	v_add_u32_e32 v20, s16, v20
	v_lshl_or_b32 v20, v1, 2, v20
	v_pk_mul_f32 v[34:35], s[2:3], v[22:23] op_sel_hi:[0,1]
	v_or_b32_e32 v23, 1, v20
	v_mov_b32_e32 v21, 0xff7fffff
	v_cmp_gt_i32_e64 s[30:31], s40, v20
	v_cmp_gt_i32_e64 s[34:35], s40, v23
	v_cndmask_b32_e64 v22, v21, v18, s[30:31]
	v_cndmask_b32_e64 v23, v21, v19, s[34:35]
	v_max3_f32 v22, v22, s42, v23
	v_or_b32_e32 v23, 2, v20
	v_or_b32_e32 v24, 3, v20
	v_cmp_gt_i32_e64 s[36:37], s40, v23
	v_cmp_gt_i32_e64 s[38:39], s40, v24
	v_cndmask_b32_e64 v23, v21, v46, s[36:37]
	v_cndmask_b32_e64 v24, v21, v47, s[38:39]
	v_max3_f32 v22, v22, v23, v24
	v_or_b32_e32 v23, 16, v20
	v_or_b32_e32 v24, 17, v20
	;; [unrolled: 7-line block ×7, first 2 shown]
	v_cmp_gt_i32_e32 vcc, s40, v23
	v_cmp_gt_i32_e64 s[2:3], s40, v20
	v_cndmask_b32_e32 v23, v21, v34, vcc
	v_cndmask_b32_e64 v20, v21, v35, s[2:3]
	v_max3_f32 v26, v22, v23, v20
	v_mbcnt_lo_u32_b32 v20, -1, 0
	v_mbcnt_hi_u32_b32 v27, -1, v20
	v_and_b32_e32 v20, 64, v27
	v_add_u32_e32 v28, 64, v20
	v_xor_b32_e32 v20, 32, v27
	v_cmp_lt_i32_e64 s[40:41], v20, v28
	v_cndmask_b32_e64 v20, v27, v20, s[40:41]
	v_lshlrev_b32_e32 v58, 2, v20
	ds_bpermute_b32 v29, v58, v26
	s_waitcnt vmcnt(4)
	v_mad_i64_i32 v[20:21], s[40:41], v60, s45, 0
	global_load_dwordx4 v[30:33], v[56:57], off
	global_load_dwordx4 v[22:25], v[56:57], off offset:16
	v_lshlrev_b64 v[20:21], 1, v[20:21]
	s_waitcnt lgkmcnt(0)
	v_max_f32_e32 v29, v29, v29
	v_max_f32_e32 v26, v26, v29
	v_xor_b32_e32 v29, 16, v27
	v_cmp_lt_i32_e64 s[40:41], v29, v28
	v_cndmask_b32_e64 v27, v27, v29, s[40:41]
	v_lshlrev_b32_e32 v57, 2, v27
	ds_bpermute_b32 v27, v57, v26
	v_add_co_u32_e64 v20, s[40:41], v61, v20
	v_addc_co_u32_e64 v21, s[40:41], v62, v21, s[40:41]
	s_waitcnt lgkmcnt(0)
	v_max_f32_e32 v27, v27, v27
	v_max_f32_e32 v56, v26, v27
	v_sub_f32_e32 v18, v18, v56
	v_mul_f32_e32 v18, 0x3fb8aa3b, v18
	v_exp_f32_e32 v36, v18
	v_sub_f32_e32 v18, v19, v56
	v_mul_f32_e32 v18, 0x3fb8aa3b, v18
	v_exp_f32_e32 v37, v18
	global_load_dwordx4 v[26:29], v[20:21], off
	s_nop 0
	global_load_dwordx4 v[18:21], v[20:21], off offset:16
	v_sub_f32_e32 v46, v46, v56
	v_mul_f32_e32 v46, 0x3fb8aa3b, v46
	v_sub_f32_e32 v47, v47, v56
	v_exp_f32_e32 v46, v46
	v_mul_f32_e32 v47, 0x3fb8aa3b, v47
	v_sub_f32_e32 v38, v38, v56
	v_exp_f32_e32 v47, v47
	v_mul_f32_e32 v38, 0x3fb8aa3b, v38
	v_sub_f32_e32 v39, v39, v56
	v_cndmask_b32_e64 v36, 0, v36, s[30:31]
	v_exp_f32_e32 v38, v38
	v_mul_f32_e32 v39, 0x3fb8aa3b, v39
	v_sub_f32_e32 v48, v48, v56
	v_add_f32_e32 v59, 0, v36
	v_cndmask_b32_e64 v37, 0, v37, s[34:35]
	v_exp_f32_e32 v39, v39
	v_mul_f32_e32 v48, 0x3fb8aa3b, v48
	v_sub_f32_e32 v49, v49, v56
	v_add_f32_e32 v59, v59, v37
	;; [unrolled: 5-line block ×10, first 2 shown]
	v_cndmask_b32_e64 v44, 0, v44, s[12:13]
	v_exp_f32_e32 v34, v34
	v_mul_f32_e32 v35, 0x3fb8aa3b, v35
	v_add_f32_e32 v59, v59, v44
	v_cndmask_b32_e64 v45, 0, v45, s[14:15]
	v_exp_f32_e32 v35, v35
	v_add_f32_e32 v59, v59, v45
	v_cndmask_b32_e64 v40, 0, v40, s[8:9]
	v_add_f32_e32 v59, v59, v40
	v_cndmask_b32_e64 v41, 0, v41, s[10:11]
	v_add_f32_e32 v59, v59, v41
	v_cndmask_b32_e32 v34, 0, v34, vcc
	v_add_f32_e32 v59, v59, v34
	v_cndmask_b32_e64 v35, 0, v35, s[2:3]
	v_add_f32_e32 v59, v59, v35
	ds_bpermute_b32 v58, v58, v59
	v_cmp_gt_u32_e32 vcc, 16, v54
	s_waitcnt lgkmcnt(0)
	s_barrier
	v_add_f32_e32 v58, v59, v58
	ds_bpermute_b32 v59, v57, v58
	v_lshlrev_b32_e32 v57, 2, v52
	s_and_saveexec_b64 s[2:3], vcc
	s_cbranch_execz .LBB237_13
; %bb.12:
	s_waitcnt lgkmcnt(0)
	v_add_f32_e32 v54, v58, v59
	v_lshl_or_b32 v58, v53, 6, v57
	ds_write2st64_b32 v58, v56, v54 offset1:1
.LBB237_13:
	s_or_b64 exec, exec, s[2:3]
	s_load_dword s8, s[4:5], 0x94
	s_waitcnt lgkmcnt(0)
	s_barrier
	ds_read2_b32 v[58:59], v57 offset1:16
	ds_read2_b32 v[60:61], v57 offset0:32 offset1:48
	ds_read2_b32 v[62:63], v57 offset0:64 offset1:80
	s_movk_i32 s10, 0x7fff
	s_mov_b32 s11, 0x7060302
	s_waitcnt lgkmcnt(2)
	v_max3_f32 v54, v58, s42, v59
	s_waitcnt lgkmcnt(1)
	v_max3_f32 v54, v54, v60, v61
	v_sub_f32_e32 v56, v58, v54
	v_mul_f32_e32 v56, 0x3fb8aa3b, v56
	v_exp_f32_e32 v64, v56
	v_sub_f32_e32 v56, v59, v54
	v_mul_f32_e32 v56, 0x3fb8aa3b, v56
	v_exp_f32_e32 v65, v56
	;; [unrolled: 3-line block ×3, first 2 shown]
	ds_read2_b32 v[58:59], v57 offset0:96 offset1:112
	v_sub_f32_e32 v56, v61, v54
	v_mul_f32_e32 v56, 0x3fb8aa3b, v56
	v_exp_f32_e32 v57, v56
	s_waitcnt lgkmcnt(1)
	v_fma_f32 v56, v64, v62, 0
	v_fmac_f32_e32 v56, v65, v63
	s_waitcnt lgkmcnt(0)
	v_fmac_f32_e32 v56, v60, v58
	v_fmac_f32_e32 v56, v57, v59
	v_add_f32_e32 v58, 0x358637bd, v56
	v_div_scale_f32 v59, s[2:3], v58, v58, 1.0
	v_rcp_f32_e32 v61, v59
	s_barrier
	v_fma_f32 v62, -v59, v61, 1.0
	v_fmac_f32_e32 v61, v62, v61
	v_div_scale_f32 v62, vcc, 1.0, v58, 1.0
	v_mul_f32_e32 v63, v62, v61
	v_fma_f32 v66, -v59, v63, v62
	v_fmac_f32_e32 v63, v66, v61
	v_fma_f32 v59, -v59, v63, v62
	v_div_fmas_f32 v59, v59, v61, v63
	v_cmp_eq_u32_e32 vcc, 1, v53
	v_div_fixup_f32 v58, v59, v58, 1.0
	v_cndmask_b32_e32 v59, v64, v65, vcc
	v_cmp_eq_u32_e32 vcc, 2, v53
	v_cndmask_b32_e32 v59, v59, v60, vcc
	v_cmp_eq_u32_e32 vcc, 3, v53
	v_cndmask_b32_e32 v57, v59, v57, vcc
	v_mul_f32_e32 v58, v57, v58
	v_pk_mul_f32 v[36:37], v[58:59], v[36:37] op_sel_hi:[0,1]
	v_pk_mul_f32 v[46:47], v[58:59], v[46:47] op_sel_hi:[0,1]
	v_bfe_u32 v57, v37, 16, 1
	v_bfe_u32 v59, v36, 16, 1
	v_add3_u32 v36, v36, v59, s10
	v_add3_u32 v37, v37, v57, s10
	v_perm_b32 v60, v37, v36, s11
	v_bfe_u32 v36, v47, 16, 1
	v_bfe_u32 v37, v46, 16, 1
	v_add3_u32 v37, v46, v37, s10
	v_add3_u32 v36, v47, v36, s10
	v_perm_b32 v61, v36, v37, s11
	v_lshlrev_b32_e32 v36, 3, v1
	v_lshlrev_b32_e32 v37, 11, v53
	v_pk_mul_f32 v[38:39], v[58:59], v[38:39] op_sel_hi:[0,1]
	v_or3_b32 v36, v37, v55, v36
	v_pk_mul_f32 v[46:47], v[58:59], v[48:49] op_sel_hi:[0,1]
	v_bfe_u32 v37, v39, 16, 1
	v_bfe_u32 v48, v38, 16, 1
	v_add3_u32 v38, v38, v48, s10
	v_add3_u32 v37, v39, v37, s10
	v_perm_b32 v38, v37, v38, s11
	v_bfe_u32 v37, v47, 16, 1
	v_bfe_u32 v39, v46, 16, 1
	v_add3_u32 v39, v46, v39, s10
	v_add3_u32 v37, v47, v37, s10
	v_perm_b32 v39, v37, v39, s11
	v_pk_mul_f32 v[42:43], v[58:59], v[42:43] op_sel_hi:[0,1]
	ds_write2st64_b64 v36, v[60:61], v[38:39] offset1:1
	v_pk_mul_f32 v[38:39], v[58:59], v[44:45] op_sel_hi:[0,1]
	v_bfe_u32 v37, v43, 16, 1
	v_bfe_u32 v44, v42, 16, 1
	v_add3_u32 v42, v42, v44, s10
	v_add3_u32 v37, v43, v37, s10
	v_perm_b32 v42, v37, v42, s11
	v_bfe_u32 v37, v39, 16, 1
	v_bfe_u32 v43, v38, 16, 1
	v_add3_u32 v38, v38, v43, s10
	v_add3_u32 v37, v39, v37, s10
	v_perm_b32 v43, v37, v38, s11
	v_pk_mul_f32 v[38:39], v[58:59], v[40:41] op_sel_hi:[0,1]
	v_bfe_u32 v37, v39, 16, 1
	v_bfe_u32 v40, v38, 16, 1
	v_pk_mul_f32 v[34:35], v[58:59], v[34:35] op_sel_hi:[0,1]
	v_add3_u32 v38, v38, v40, s10
	v_add3_u32 v37, v39, v37, s10
	v_perm_b32 v38, v37, v38, s11
	v_bfe_u32 v37, v35, 16, 1
	v_bfe_u32 v39, v34, 16, 1
	v_add3_u32 v34, v34, v39, s10
	v_add3_u32 v35, v35, v37, s10
	s_mul_i32 s9, s33, 10
	v_perm_b32 v39, v35, v34, s11
	v_cmp_gt_u32_e32 vcc, 10, v0
	ds_write2st64_b64 v36, v[42:43], v[38:39] offset0:2 offset1:3
	s_and_saveexec_b64 s[2:3], vcc
	s_cbranch_execz .LBB237_15
; %bb.14:
	v_add_co_u32_e32 v38, vcc, s29, v52
	v_addc_co_u32_e64 v39, s[16:17], 0, 0, vcc
	v_mov_b32_e32 v34, s9
	v_mov_b32_e32 v35, 0
	v_mad_u64_u32 v[38:39], s[16:17], s6, v34, v[38:39]
	v_mov_b32_e32 v34, s28
	s_load_dwordx4 s[12:15], s[4:5], 0x58
	s_mul_i32 s7, s7, s9
	v_mad_u64_u32 v[34:35], s[16:17], v38, s8, v[34:35]
	v_add_u32_e32 v37, s7, v39
	v_mov_b32_e32 v38, v35
	v_mad_u64_u32 v[38:39], s[16:17], v37, s8, v[38:39]
	v_mov_b32_e32 v35, v38
	v_lshlrev_b64 v[34:35], 2, v[34:35]
	s_waitcnt lgkmcnt(0)
	v_mov_b32_e32 v37, s15
	v_add_co_u32_e32 v38, vcc, s14, v34
	v_addc_co_u32_e32 v39, vcc, v37, v35, vcc
	v_mov_b32_e32 v37, s13
	v_add_co_u32_e32 v34, vcc, s12, v34
	v_addc_co_u32_e32 v35, vcc, v37, v35, vcc
	global_store_dword v[38:39], v54, off
	global_store_dword v[34:35], v56, off
.LBB237_15:
	s_or_b64 exec, exec, s[2:3]
	v_lshl_or_b32 v34, v1, 9, v55
	s_waitcnt lgkmcnt(0)
	s_barrier
	ds_read_b128 v[38:41], v34
	ds_read_b128 v[42:45], v34 offset:16
	s_waitcnt vmcnt(7) lgkmcnt(1)
	v_mfma_f32_16x16x16bf16_1k v[46:49], v[14:15], v[38:39], 0
	v_cmp_gt_u32_e32 vcc, 64, v0
	s_mov_b32 s3, 0
	s_and_b64 s[0:1], vcc, s[0:1]
	v_mfma_f32_16x16x16bf16_1k v[14:17], v[16:17], v[40:41], v[46:49]
	s_waitcnt vmcnt(6) lgkmcnt(0)
	v_mfma_f32_16x16x16bf16_1k v[14:17], v[10:11], v[42:43], v[14:17]
	v_mfma_f32_16x16x16bf16_1k v[10:13], v[12:13], v[44:45], v[14:17]
	s_nop 7
	s_nop 1
	ds_read_b128 v[14:17], v34 offset:2048
	ds_read_b128 v[38:41], v34 offset:2064
	s_waitcnt vmcnt(5) lgkmcnt(1)
	v_mfma_f32_16x16x16bf16_1k v[10:13], v[6:7], v[14:15], v[10:13]
	v_mfma_f32_16x16x16bf16_1k v[6:9], v[8:9], v[16:17], v[10:13]
	s_waitcnt vmcnt(4) lgkmcnt(0)
	v_mfma_f32_16x16x16bf16_1k v[6:9], v[2:3], v[38:39], v[6:9]
	v_mfma_f32_16x16x16bf16_1k v[2:5], v[4:5], v[40:41], v[6:9]
	s_nop 7
	s_nop 1
	ds_read_b128 v[6:9], v34 offset:4096
	ds_read_b128 v[10:13], v34 offset:4112
	s_waitcnt vmcnt(3) lgkmcnt(1)
	v_mfma_f32_16x16x16bf16_1k v[2:5], v[30:31], v[6:7], v[2:5]
	v_mfma_f32_16x16x16bf16_1k v[2:5], v[32:33], v[8:9], v[2:5]
	s_waitcnt vmcnt(2) lgkmcnt(0)
	v_mfma_f32_16x16x16bf16_1k v[2:5], v[22:23], v[10:11], v[2:5]
	v_mfma_f32_16x16x16bf16_1k v[2:5], v[24:25], v[12:13], v[2:5]
	ds_read_b128 v[6:9], v34 offset:6144
	ds_read_b128 v[10:13], v34 offset:6160
	s_waitcnt lgkmcnt(0)
	s_barrier
	s_waitcnt vmcnt(1)
	v_mfma_f32_16x16x16bf16_1k v[2:5], v[26:27], v[6:7], v[2:5]
	v_mfma_f32_16x16x16bf16_1k v[2:5], v[28:29], v[8:9], v[2:5]
	s_waitcnt vmcnt(0)
	v_mfma_f32_16x16x16bf16_1k v[2:5], v[18:19], v[10:11], v[2:5]
	v_mfma_f32_16x16x16bf16_1k v[2:5], v[20:21], v[12:13], v[2:5]
	s_nop 7
	s_nop 2
	v_bfe_u32 v6, v3, 16, 1
	v_bfe_u32 v7, v2, 16, 1
	;; [unrolled: 1-line block ×4, first 2 shown]
	v_add3_u32 v2, v2, v7, s10
	v_add3_u32 v3, v3, v6, s10
	;; [unrolled: 1-line block ×4, first 2 shown]
	v_perm_b32 v2, v3, v2, s11
	v_perm_b32 v3, v5, v4, s11
	ds_write_b64 v36, v[2:3]
	s_waitcnt lgkmcnt(0)
	s_barrier
	s_and_saveexec_b64 s[10:11], s[0:1]
	s_cbranch_execz .LBB237_18
; %bb.16:
	s_load_dwordx2 s[4:5], s[4:5], 0x68
	s_lshl_b32 s0, s8, 6
	s_mul_i32 s1, s9, s6
	s_mul_hi_u32 s7, s1, s0
	s_mul_i32 s6, s1, s0
	s_lshl_b64 s[6:7], s[6:7], 1
	s_waitcnt lgkmcnt(0)
	s_add_u32 s1, s4, s6
	v_lshlrev_b32_e32 v0, 10, v0
	s_addc_u32 s4, s5, s7
	s_lshl_b32 s2, s28, 6
	v_and_b32_e32 v0, 0x1800, v0
	v_lshlrev_b32_e32 v2, 5, v1
	v_and_b32_e32 v3, 16, v51
	s_lshl_b64 s[2:3], s[2:3], 1
	v_or3_b32 v0, v0, v2, v3
	s_add_u32 s1, s1, s2
	v_or_b32_e32 v2, 8, v1
	s_addc_u32 s2, s4, s3
	ds_read_b128 v[6:9], v0 offset:128
	ds_read_b128 v[10:13], v0
	v_add_u32_e32 v1, s29, v1
	v_mov_b32_e32 v4, s2
	v_add_co_u32_e32 v3, vcc, s1, v50
	v_mad_u64_u32 v[14:15], s[2:3], v1, s0, 0
	v_addc_co_u32_e32 v4, vcc, 0, v4, vcc
	v_lshlrev_b64 v[14:15], 1, v[14:15]
	v_add_co_u32_e32 v14, vcc, v3, v14
	v_addc_co_u32_e32 v15, vcc, v4, v15, vcc
	v_add_u32_e32 v1, 4, v1
	s_waitcnt lgkmcnt(0)
	global_store_dwordx4 v[14:15], v[10:13], off
	s_nop 0
	v_mad_u64_u32 v[10:11], s[2:3], v1, s0, 0
	v_lshlrev_b64 v[10:11], 1, v[10:11]
	v_add_co_u32_e32 v10, vcc, v3, v10
	v_addc_co_u32_e32 v11, vcc, v4, v11, vcc
	v_cmp_gt_u32_e32 vcc, 10, v2
	global_store_dwordx4 v[10:11], v[6:9], off
	s_and_b64 exec, exec, vcc
	s_cbranch_execz .LBB237_18
; %bb.17:
	ds_read_b128 v[6:9], v0 offset:256
	v_add_u32_e32 v0, s29, v2
	v_mad_u64_u32 v[0:1], s[0:1], v0, s0, 0
	v_lshlrev_b64 v[0:1], 1, v[0:1]
	v_add_co_u32_e32 v0, vcc, v3, v0
	v_addc_co_u32_e32 v1, vcc, v4, v1, vcc
	s_waitcnt lgkmcnt(0)
	global_store_dwordx4 v[0:1], v[6:9], off
.LBB237_18:
	s_endpgm
	.section	.rodata,"a",@progbits
	.p2align	6, 0x0
	.amdhsa_kernel _Z39paged_attention_ll4mi_QKV_mfma16_kernelI14__hip_bfloat16S0_LN4vllm18Fp8KVCacheDataTypeE0ES0_Li16ELi64ELi256ELb0ELi10EL8MFMAType0EEvPKT_PKT0_S9_ifPKiSB_SB_iPKfiiiPfSE_PS4_PT2_iSD_SD_
		.amdhsa_group_segment_fixed_size 8192
		.amdhsa_private_segment_fixed_size 0
		.amdhsa_kernarg_size 400
		.amdhsa_user_sgpr_count 6
		.amdhsa_user_sgpr_private_segment_buffer 1
		.amdhsa_user_sgpr_dispatch_ptr 0
		.amdhsa_user_sgpr_queue_ptr 0
		.amdhsa_user_sgpr_kernarg_segment_ptr 1
		.amdhsa_user_sgpr_dispatch_id 0
		.amdhsa_user_sgpr_flat_scratch_init 0
		.amdhsa_user_sgpr_kernarg_preload_length 0
		.amdhsa_user_sgpr_kernarg_preload_offset 0
		.amdhsa_user_sgpr_private_segment_size 0
		.amdhsa_uses_dynamic_stack 0
		.amdhsa_system_sgpr_private_segment_wavefront_offset 0
		.amdhsa_system_sgpr_workgroup_id_x 1
		.amdhsa_system_sgpr_workgroup_id_y 1
		.amdhsa_system_sgpr_workgroup_id_z 1
		.amdhsa_system_sgpr_workgroup_info 0
		.amdhsa_system_vgpr_workitem_id 0
		.amdhsa_next_free_vgpr 67
		.amdhsa_next_free_sgpr 48
		.amdhsa_accum_offset 68
		.amdhsa_reserve_vcc 1
		.amdhsa_reserve_flat_scratch 0
		.amdhsa_float_round_mode_32 0
		.amdhsa_float_round_mode_16_64 0
		.amdhsa_float_denorm_mode_32 3
		.amdhsa_float_denorm_mode_16_64 3
		.amdhsa_dx10_clamp 1
		.amdhsa_ieee_mode 1
		.amdhsa_fp16_overflow 0
		.amdhsa_tg_split 0
		.amdhsa_exception_fp_ieee_invalid_op 0
		.amdhsa_exception_fp_denorm_src 0
		.amdhsa_exception_fp_ieee_div_zero 0
		.amdhsa_exception_fp_ieee_overflow 0
		.amdhsa_exception_fp_ieee_underflow 0
		.amdhsa_exception_fp_ieee_inexact 0
		.amdhsa_exception_int_div_zero 0
	.end_amdhsa_kernel
	.section	.text._Z39paged_attention_ll4mi_QKV_mfma16_kernelI14__hip_bfloat16S0_LN4vllm18Fp8KVCacheDataTypeE0ES0_Li16ELi64ELi256ELb0ELi10EL8MFMAType0EEvPKT_PKT0_S9_ifPKiSB_SB_iPKfiiiPfSE_PS4_PT2_iSD_SD_,"axG",@progbits,_Z39paged_attention_ll4mi_QKV_mfma16_kernelI14__hip_bfloat16S0_LN4vllm18Fp8KVCacheDataTypeE0ES0_Li16ELi64ELi256ELb0ELi10EL8MFMAType0EEvPKT_PKT0_S9_ifPKiSB_SB_iPKfiiiPfSE_PS4_PT2_iSD_SD_,comdat
.Lfunc_end237:
	.size	_Z39paged_attention_ll4mi_QKV_mfma16_kernelI14__hip_bfloat16S0_LN4vllm18Fp8KVCacheDataTypeE0ES0_Li16ELi64ELi256ELb0ELi10EL8MFMAType0EEvPKT_PKT0_S9_ifPKiSB_SB_iPKfiiiPfSE_PS4_PT2_iSD_SD_, .Lfunc_end237-_Z39paged_attention_ll4mi_QKV_mfma16_kernelI14__hip_bfloat16S0_LN4vllm18Fp8KVCacheDataTypeE0ES0_Li16ELi64ELi256ELb0ELi10EL8MFMAType0EEvPKT_PKT0_S9_ifPKiSB_SB_iPKfiiiPfSE_PS4_PT2_iSD_SD_
                                        ; -- End function
	.section	.AMDGPU.csdata,"",@progbits
; Kernel info:
; codeLenInByte = 4244
; NumSgprs: 52
; NumVgprs: 67
; NumAgprs: 0
; TotalNumVgprs: 67
; ScratchSize: 0
; MemoryBound: 0
; FloatMode: 240
; IeeeMode: 1
; LDSByteSize: 8192 bytes/workgroup (compile time only)
; SGPRBlocks: 6
; VGPRBlocks: 8
; NumSGPRsForWavesPerEU: 52
; NumVGPRsForWavesPerEU: 67
; AccumOffset: 68
; Occupancy: 7
; WaveLimiterHint : 1
; COMPUTE_PGM_RSRC2:SCRATCH_EN: 0
; COMPUTE_PGM_RSRC2:USER_SGPR: 6
; COMPUTE_PGM_RSRC2:TRAP_HANDLER: 0
; COMPUTE_PGM_RSRC2:TGID_X_EN: 1
; COMPUTE_PGM_RSRC2:TGID_Y_EN: 1
; COMPUTE_PGM_RSRC2:TGID_Z_EN: 1
; COMPUTE_PGM_RSRC2:TIDIG_COMP_CNT: 0
; COMPUTE_PGM_RSRC3_GFX90A:ACCUM_OFFSET: 16
; COMPUTE_PGM_RSRC3_GFX90A:TG_SPLIT: 0
	.section	.text._Z39paged_attention_ll4mi_QKV_mfma16_kernelI14__hip_bfloat16S0_LN4vllm18Fp8KVCacheDataTypeE0ES0_Li16ELi64ELi256ELb0ELi11EL8MFMAType0EEvPKT_PKT0_S9_ifPKiSB_SB_iPKfiiiPfSE_PS4_PT2_iSD_SD_,"axG",@progbits,_Z39paged_attention_ll4mi_QKV_mfma16_kernelI14__hip_bfloat16S0_LN4vllm18Fp8KVCacheDataTypeE0ES0_Li16ELi64ELi256ELb0ELi11EL8MFMAType0EEvPKT_PKT0_S9_ifPKiSB_SB_iPKfiiiPfSE_PS4_PT2_iSD_SD_,comdat
	.protected	_Z39paged_attention_ll4mi_QKV_mfma16_kernelI14__hip_bfloat16S0_LN4vllm18Fp8KVCacheDataTypeE0ES0_Li16ELi64ELi256ELb0ELi11EL8MFMAType0EEvPKT_PKT0_S9_ifPKiSB_SB_iPKfiiiPfSE_PS4_PT2_iSD_SD_ ; -- Begin function _Z39paged_attention_ll4mi_QKV_mfma16_kernelI14__hip_bfloat16S0_LN4vllm18Fp8KVCacheDataTypeE0ES0_Li16ELi64ELi256ELb0ELi11EL8MFMAType0EEvPKT_PKT0_S9_ifPKiSB_SB_iPKfiiiPfSE_PS4_PT2_iSD_SD_
	.globl	_Z39paged_attention_ll4mi_QKV_mfma16_kernelI14__hip_bfloat16S0_LN4vllm18Fp8KVCacheDataTypeE0ES0_Li16ELi64ELi256ELb0ELi11EL8MFMAType0EEvPKT_PKT0_S9_ifPKiSB_SB_iPKfiiiPfSE_PS4_PT2_iSD_SD_
	.p2align	8
	.type	_Z39paged_attention_ll4mi_QKV_mfma16_kernelI14__hip_bfloat16S0_LN4vllm18Fp8KVCacheDataTypeE0ES0_Li16ELi64ELi256ELb0ELi11EL8MFMAType0EEvPKT_PKT0_S9_ifPKiSB_SB_iPKfiiiPfSE_PS4_PT2_iSD_SD_,@function
_Z39paged_attention_ll4mi_QKV_mfma16_kernelI14__hip_bfloat16S0_LN4vllm18Fp8KVCacheDataTypeE0ES0_Li16ELi64ELi256ELb0ELi11EL8MFMAType0EEvPKT_PKT0_S9_ifPKiSB_SB_iPKfiiiPfSE_PS4_PT2_iSD_SD_: ; @_Z39paged_attention_ll4mi_QKV_mfma16_kernelI14__hip_bfloat16S0_LN4vllm18Fp8KVCacheDataTypeE0ES0_Li16ELi64ELi256ELb0ELi11EL8MFMAType0EEvPKT_PKT0_S9_ifPKiSB_SB_iPKfiiiPfSE_PS4_PT2_iSD_SD_
; %bb.0:
	s_load_dwordx2 s[0:1], s[4:5], 0x30
	s_mov_b32 s28, s7
	s_mov_b64 s[10:11], 0
	s_waitcnt lgkmcnt(0)
	s_cmp_lg_u64 s[0:1], 0
	s_cselect_b64 s[2:3], -1, 0
	s_and_b64 vcc, exec, s[2:3]
	s_cbranch_vccz .LBB238_7
; %bb.1:
	s_add_i32 s12, s6, 1
	s_mov_b32 s13, 0
	s_lshl_b64 s[14:15], s[12:13], 2
	s_add_u32 s14, s0, s14
	s_mov_b32 s7, s13
	s_addc_u32 s15, s1, s15
	s_lshl_b64 s[12:13], s[6:7], 2
	s_add_u32 s12, s0, s12
	s_addc_u32 s13, s1, s13
	s_load_dword s9, s[14:15], 0x0
	s_load_dword s16, s[12:13], 0x0
	s_waitcnt lgkmcnt(0)
	s_sub_i32 s9, s9, s16
	s_cmp_eq_u32 s9, 1
	s_cselect_b64 s[12:13], -1, 0
	s_andn2_b64 vcc, exec, s[10:11]
	s_cbranch_vccnz .LBB238_3
.LBB238_2:
	s_mov_b32 s7, 0
	s_mov_b64 s[12:13], -1
.LBB238_3:
	s_andn2_b64 vcc, exec, s[12:13]
	s_cbranch_vccnz .LBB238_18
; %bb.4:
	s_load_dwordx2 s[12:13], s[4:5], 0x28
	s_lshl_b64 s[10:11], s[6:7], 2
	s_waitcnt lgkmcnt(0)
	s_add_u32 s12, s12, s10
	s_addc_u32 s13, s13, s11
	s_load_dword s40, s[12:13], 0x0
	s_lshl_b32 s16, s28, 8
	s_waitcnt lgkmcnt(0)
	s_cmp_ge_i32 s16, s40
	s_cbranch_scc1 .LBB238_18
; %bb.5:
	s_add_i32 s14, s40, 15
	s_load_dwordx2 s[12:13], s[4:5], 0x20
	s_load_dword s9, s[4:5], 0x38
	s_ashr_i32 s15, s14, 31
	v_and_b32_e32 v1, 0xcf, v0
	s_lshr_b32 s15, s15, 28
	v_add_u32_e32 v1, s16, v1
	s_add_i32 s14, s14, s15
	v_ashrrev_i32_e32 v2, 31, v1
	s_ashr_i32 s19, s14, 4
	v_lshrrev_b32_e32 v10, 28, v2
	s_add_i32 s19, s19, -1
	v_add_u32_e32 v2, v1, v10
	s_waitcnt lgkmcnt(0)
	s_mul_i32 s14, s6, s9
	s_mov_b32 s15, 0
	v_ashrrev_i32_e32 v2, 4, v2
	v_mov_b32_e32 v11, s19
	v_cmp_gt_i32_e32 vcc, s40, v1
	s_lshl_b64 s[14:15], s[14:15], 2
	v_cndmask_b32_e32 v2, v11, v2, vcc
	s_add_u32 s17, s12, s14
	v_ashrrev_i32_e32 v3, 31, v2
	s_addc_u32 s18, s13, s15
	v_lshlrev_b64 v[2:3], 2, v[2:3]
	v_mov_b32_e32 v5, s18
	v_add_co_u32_e32 v4, vcc, s17, v2
	v_or_b32_e32 v2, 16, v1
	v_addc_co_u32_e32 v5, vcc, v5, v3, vcc
	v_add_u32_e32 v3, v2, v10
	v_ashrrev_i32_e32 v3, 4, v3
	v_cmp_gt_i32_e32 vcc, s40, v2
	v_cndmask_b32_e32 v2, v11, v3, vcc
	v_ashrrev_i32_e32 v3, 31, v2
	v_lshlrev_b64 v[2:3], 2, v[2:3]
	v_mov_b32_e32 v7, s18
	v_add_co_u32_e32 v6, vcc, s17, v2
	v_or_b32_e32 v2, 32, v1
	v_addc_co_u32_e32 v7, vcc, v7, v3, vcc
	v_add_u32_e32 v3, v2, v10
	v_ashrrev_i32_e32 v3, 4, v3
	v_cmp_gt_i32_e32 vcc, s40, v2
	v_cndmask_b32_e32 v2, v11, v3, vcc
	v_ashrrev_i32_e32 v3, 31, v2
	;; [unrolled: 10-line block ×3, first 2 shown]
	v_lshlrev_b64 v[2:3], 2, v[2:3]
	v_mov_b32_e32 v1, s18
	v_add_co_u32_e32 v10, vcc, s17, v2
	v_addc_co_u32_e32 v11, vcc, v1, v3, vcc
	global_load_dword v3, v[4:5], off
	global_load_dword v2, v[6:7], off
	global_load_dword v18, v[8:9], off
	global_load_dword v28, v[10:11], off
	s_load_dwordx4 s[12:15], s[4:5], 0x8
	s_andn2_b64 vcc, exec, s[2:3]
	s_cbranch_vccnz .LBB238_8
; %bb.6:
	s_add_u32 s0, s0, s10
	s_addc_u32 s1, s1, s11
	s_load_dword s9, s[0:1], 0x0
	s_branch .LBB238_9
.LBB238_7:
	s_mov_b64 s[12:13], 0
	s_branch .LBB238_2
.LBB238_8:
	s_mov_b32 s9, s6
.LBB238_9:
	s_load_dwordx4 s[44:47], s[4:5], 0x48
	v_lshrrev_b32_e32 v53, 6, v0
	v_bfe_u32 v1, v0, 4, 2
	v_lshl_or_b32 v4, v53, 2, v1
	v_and_b32_e32 v52, 15, v0
	v_lshlrev_b32_e32 v5, 3, v52
	v_cmp_gt_u32_e32 vcc, 11, v4
	v_cmp_gt_u32_e64 s[0:1], 8, v52
	v_and_b32_e32 v54, 63, v0
	s_mul_i32 s29, s8, 11
	s_and_b64 s[10:11], s[0:1], vcc
	v_lshlrev_b32_e32 v50, 1, v5
	s_and_saveexec_b64 s[2:3], s[10:11]
	s_cbranch_execz .LBB238_11
; %bb.10:
	s_load_dwordx2 s[10:11], s[4:5], 0x0
	s_waitcnt lgkmcnt(0)
	s_ashr_i32 s20, s44, 31
	s_mul_hi_u32 s21, s9, s44
	s_mul_i32 s20, s9, s20
	s_add_i32 s21, s21, s20
	s_mul_i32 s20, s9, s44
	s_lshl_b64 s[20:21], s[20:21], 1
	v_add_lshl_u32 v6, v4, s29, 6
	s_add_u32 s9, s10, s20
	v_ashrrev_i32_e32 v7, 31, v6
	s_addc_u32 s10, s11, s21
	v_lshlrev_b64 v[6:7], 1, v[6:7]
	v_mov_b32_e32 v5, s10
	v_add_co_u32_e32 v6, vcc, s9, v6
	v_addc_co_u32_e32 v5, vcc, v5, v7, vcc
	v_add_co_u32_e32 v6, vcc, v6, v50
	v_addc_co_u32_e32 v7, vcc, 0, v5, vcc
	global_load_dwordx4 v[6:9], v[6:7], off
	v_and_b32_e32 v5, 3, v0
	v_lshlrev_b32_e32 v10, 9, v52
	v_lshlrev_b32_e32 v4, 5, v4
	;; [unrolled: 1-line block ×3, first 2 shown]
	v_and_b32_e32 v10, 0x1800, v10
	v_or3_b32 v4, v10, v5, v4
	s_waitcnt vmcnt(0)
	ds_write_b128 v4, v[6:9]
.LBB238_11:
	s_or_b64 exec, exec, s[2:3]
	s_waitcnt lgkmcnt(0)
	s_mul_i32 s8, s8, s46
	s_mov_b32 s9, 0
	s_lshl_b64 s[8:9], s[8:9], 1
	s_add_u32 s3, s12, s8
	v_lshlrev_b32_e32 v51, 4, v0
	s_addc_u32 s10, s13, s9
	v_and_b32_e32 v4, 0xf0, v51
	v_mov_b32_e32 v5, s10
	v_add_co_u32_e32 v29, vcc, s3, v4
	v_addc_co_u32_e32 v30, vcc, 0, v5, vcc
	s_waitcnt vmcnt(3)
	v_mad_i64_i32 v[4:5], s[10:11], v3, s45, 0
	v_lshlrev_b64 v[4:5], 1, v[4:5]
	v_add_co_u32_e32 v3, vcc, v29, v4
	v_addc_co_u32_e32 v5, vcc, v30, v5, vcc
	v_and_b32_e32 v31, 0x300, v51
	v_add_co_u32_e32 v4, vcc, v3, v31
	v_addc_co_u32_e32 v5, vcc, 0, v5, vcc
	s_load_dword s33, s[4:5], 0x98
	s_load_dword s2, s[4:5], 0x1c
	s_waitcnt lgkmcnt(0)
	s_barrier
	global_load_dwordx4 v[6:9], v[4:5], off
	s_waitcnt vmcnt(3)
	v_mad_i64_i32 v[2:3], s[10:11], v2, s45, 0
	v_lshlrev_b64 v[2:3], 1, v[2:3]
	v_add_co_u32_e32 v2, vcc, v29, v2
	v_addc_co_u32_e32 v3, vcc, v30, v3, vcc
	v_add_co_u32_e32 v2, vcc, v2, v31
	v_addc_co_u32_e32 v3, vcc, 0, v3, vcc
	global_load_dwordx4 v[22:25], v[2:3], off
	global_load_dwordx4 v[10:13], v[4:5], off offset:1024
	global_load_dwordx4 v[14:17], v[2:3], off offset:1024
	v_add_u32_e32 v2, -11, v52
	v_cmp_gt_u32_e32 vcc, 11, v52
	v_cndmask_b32_e32 v2, v2, v52, vcc
	v_lshlrev_b32_e32 v2, 5, v2
	v_lshl_add_u32 v20, v1, 9, v2
	ds_read_b128 v[2:5], v20
	s_waitcnt vmcnt(5)
	v_mad_i64_i32 v[18:19], s[10:11], v18, s45, 0
	v_lshlrev_b64 v[26:27], 1, v[18:19]
	ds_read_b128 v[18:21], v20 offset:2048
	v_and_or_b32 v55, v0, 48, s16
	v_mov_b32_e32 v60, s19
	v_mov_b32_e32 v49, s18
	v_or_b32_e32 v57, 0x80, v55
	v_mov_b32_e32 v56, s18
	v_mov_b32_e32 v61, s18
	s_add_u32 s3, s14, s8
	s_addc_u32 s8, s15, s9
	s_mov_b32 s42, 0xff7fffff
	s_waitcnt vmcnt(2) lgkmcnt(1)
	v_mfma_f32_16x16x16bf16_1k v[36:39], v[22:23], v[2:3], 0
	v_mad_i64_i32 v[22:23], s[10:11], v28, s45, 0
	v_lshlrev_b64 v[44:45], 1, v[22:23]
	v_ashrrev_i32_e32 v22, 4, v55
	v_or_b32_e32 v28, 64, v55
	v_mfma_f32_16x16x16bf16_1k v[32:35], v[6:7], v[2:3], 0
	v_add_co_u32_e32 v6, vcc, v29, v26
	v_addc_co_u32_e32 v7, vcc, v30, v27, vcc
	v_add_co_u32_e32 v26, vcc, v6, v31
	v_addc_co_u32_e32 v27, vcc, 0, v7, vcc
	global_load_dwordx4 v[40:43], v[26:27], off
	v_mfma_f32_16x16x16bf16_1k v[6:9], v[8:9], v[4:5], v[32:35]
	v_cmp_gt_i32_e32 vcc, s40, v55
	v_cndmask_b32_e32 v46, v60, v22, vcc
	v_cmp_gt_i32_e32 vcc, s40, v28
	v_ashrrev_i32_e32 v47, 31, v46
	s_nop 2
	global_load_dwordx4 v[32:35], v[26:27], off offset:1024
	v_mfma_f32_16x16x16bf16_1k v[22:25], v[24:25], v[4:5], v[36:39]
	s_nop 6
	v_ashrrev_i32_e32 v36, 4, v28
	v_cndmask_b32_e32 v48, v60, v36, vcc
	s_waitcnt vmcnt(3) lgkmcnt(0)
	v_mfma_f32_16x16x16bf16_1k v[6:9], v[10:11], v[18:19], v[6:9]
	v_add_co_u32_e32 v10, vcc, v29, v44
	v_addc_co_u32_e32 v11, vcc, v30, v45, vcc
	v_add_co_u32_e32 v10, vcc, v10, v31
	v_addc_co_u32_e32 v11, vcc, 0, v11, vcc
	v_lshlrev_b64 v[36:37], 2, v[46:47]
	global_load_dwordx4 v[26:29], v[10:11], off
	s_waitcnt vmcnt(3)
	v_mfma_f32_16x16x16bf16_1k v[22:25], v[14:15], v[18:19], v[22:25]
	v_add_co_u32_e32 v14, vcc, s17, v36
	v_addc_co_u32_e32 v15, vcc, v49, v37, vcc
	global_load_dword v44, v[14:15], off
	v_ashrrev_i32_e32 v38, 4, v57
	v_cmp_gt_i32_e32 vcc, s40, v57
	v_ashrrev_i32_e32 v49, 31, v48
	v_cndmask_b32_e32 v14, v60, v38, vcc
	v_mfma_f32_16x16x16bf16_1k v[36:39], v[12:13], v[20:21], v[6:9]
	v_ashrrev_i32_e32 v15, 31, v14
	v_mov_b32_e32 v12, s18
	s_nop 4
	v_lshlrev_b64 v[6:7], 2, v[48:49]
	v_add_co_u32_e32 v6, vcc, s17, v6
	v_addc_co_u32_e32 v7, vcc, v56, v7, vcc
	global_load_dwordx4 v[56:59], v[10:11], off offset:1024
	global_load_dword v45, v[6:7], off
	v_lshlrev_b64 v[6:7], 2, v[14:15]
	v_add_co_u32_e32 v10, vcc, s17, v6
	v_addc_co_u32_e32 v11, vcc, v61, v7, vcc
	s_waitcnt vmcnt(5)
	v_mfma_f32_16x16x16bf16_1k v[6:9], v[40:41], v[2:3], 0
	global_load_dword v40, v[10:11], off
	v_or_b32_e32 v10, 0xc0, v55
	v_ashrrev_i32_e32 v11, 4, v10
	v_cmp_gt_i32_e32 vcc, s40, v10
	v_cndmask_b32_e32 v10, v60, v11, vcc
	v_ashrrev_i32_e32 v11, 31, v10
	v_lshlrev_b64 v[10:11], 2, v[10:11]
	v_mfma_f32_16x16x16bf16_1k v[6:9], v[42:43], v[4:5], v[6:9]
	v_add_co_u32_e32 v10, vcc, s17, v10
	v_addc_co_u32_e32 v11, vcc, v12, v11, vcc
	global_load_dword v60, v[10:11], off
	v_lshlrev_b32_e32 v55, 5, v52
	v_lshl_or_b32 v10, v53, 9, v55
	s_waitcnt vmcnt(6)
	v_mfma_f32_16x16x16bf16_1k v[6:9], v[32:33], v[18:19], v[6:9]
	v_mov_b32_e32 v11, s8
	v_add_co_u32_e32 v61, vcc, s3, v10
	v_addc_co_u32_e32 v62, vcc, 0, v11, vcc
	v_pk_mul_f32 v[46:47], s[2:3], v[38:39] op_sel_hi:[0,1]
	v_mfma_f32_16x16x16bf16_1k v[30:33], v[34:35], v[20:21], v[6:9]
	s_waitcnt vmcnt(1)
	v_mad_i64_i32 v[34:35], s[8:9], v40, s45, 0
	s_nop 4
	v_mad_i64_i32 v[6:7], s[8:9], v44, s45, 0
	v_lshlrev_b64 v[10:11], 1, v[6:7]
	v_mfma_f32_16x16x16bf16_1k v[6:9], v[26:27], v[2:3], 0
	v_add_co_u32_e32 v2, vcc, v61, v10
	v_addc_co_u32_e32 v3, vcc, v62, v11, vcc
	v_lshlrev_b64 v[34:35], 1, v[34:35]
	v_pk_mul_f32 v[42:43], s[2:3], v[30:31] op_sel_hi:[0,1]
	v_mfma_f32_16x16x16bf16_1k v[26:29], v[28:29], v[4:5], v[6:9]
	v_mfma_f32_16x16x16bf16_1k v[22:25], v[16:17], v[20:21], v[22:25]
	global_load_dwordx4 v[14:17], v[2:3], off
	global_load_dwordx4 v[10:13], v[2:3], off offset:16
	v_mad_i64_i32 v[2:3], s[8:9], v45, s45, 0
	v_lshlrev_b64 v[2:3], 1, v[2:3]
	v_add_co_u32_e32 v2, vcc, v61, v2
	v_addc_co_u32_e32 v3, vcc, v62, v3, vcc
	v_mfma_f32_16x16x16bf16_1k v[26:29], v[56:57], v[18:19], v[26:29]
	s_nop 3
	v_pk_mul_f32 v[38:39], s[2:3], v[22:23] op_sel_hi:[0,1]
	v_add_co_u32_e32 v56, vcc, v61, v34
	v_addc_co_u32_e32 v57, vcc, v62, v35, vcc
	v_pk_mul_f32 v[18:19], s[2:3], v[36:37] op_sel_hi:[0,1]
	v_pk_mul_f32 v[48:49], s[2:3], v[24:25] op_sel_hi:[0,1]
	v_mfma_f32_16x16x16bf16_1k v[20:23], v[58:59], v[20:21], v[26:29]
	v_pk_mul_f32 v[44:45], s[2:3], v[32:33] op_sel_hi:[0,1]
	global_load_dwordx4 v[6:9], v[2:3], off
	s_nop 0
	global_load_dwordx4 v[2:5], v[2:3], off offset:16
	s_nop 6
	v_pk_mul_f32 v[40:41], s[2:3], v[20:21] op_sel_hi:[0,1]
	v_and_b32_e32 v20, 0xc0, v0
	v_add_u32_e32 v20, s16, v20
	v_lshl_or_b32 v20, v1, 2, v20
	v_pk_mul_f32 v[34:35], s[2:3], v[22:23] op_sel_hi:[0,1]
	v_or_b32_e32 v23, 1, v20
	v_mov_b32_e32 v21, 0xff7fffff
	v_cmp_gt_i32_e64 s[30:31], s40, v20
	v_cmp_gt_i32_e64 s[34:35], s40, v23
	v_cndmask_b32_e64 v22, v21, v18, s[30:31]
	v_cndmask_b32_e64 v23, v21, v19, s[34:35]
	v_max3_f32 v22, v22, s42, v23
	v_or_b32_e32 v23, 2, v20
	v_or_b32_e32 v24, 3, v20
	v_cmp_gt_i32_e64 s[36:37], s40, v23
	v_cmp_gt_i32_e64 s[38:39], s40, v24
	v_cndmask_b32_e64 v23, v21, v46, s[36:37]
	v_cndmask_b32_e64 v24, v21, v47, s[38:39]
	v_max3_f32 v22, v22, v23, v24
	v_or_b32_e32 v23, 16, v20
	v_or_b32_e32 v24, 17, v20
	v_cmp_gt_i32_e64 s[24:25], s40, v23
	v_cmp_gt_i32_e64 s[26:27], s40, v24
	v_cndmask_b32_e64 v23, v21, v38, s[24:25]
	v_cndmask_b32_e64 v24, v21, v39, s[26:27]
	v_max3_f32 v22, v22, v23, v24
	v_or_b32_e32 v23, 18, v20
	v_or_b32_e32 v24, 19, v20
	v_cmp_gt_i32_e64 s[20:21], s40, v23
	v_cmp_gt_i32_e64 s[22:23], s40, v24
	v_cndmask_b32_e64 v23, v21, v48, s[20:21]
	v_cndmask_b32_e64 v24, v21, v49, s[22:23]
	v_max3_f32 v22, v22, v23, v24
	v_or_b32_e32 v23, 32, v20
	v_or_b32_e32 v24, 33, v20
	v_cmp_gt_i32_e64 s[16:17], s40, v23
	v_cmp_gt_i32_e64 s[18:19], s40, v24
	v_cndmask_b32_e64 v23, v21, v42, s[16:17]
	v_cndmask_b32_e64 v24, v21, v43, s[18:19]
	v_max3_f32 v22, v22, v23, v24
	v_or_b32_e32 v23, 34, v20
	v_or_b32_e32 v24, 35, v20
	v_cmp_gt_i32_e64 s[12:13], s40, v23
	v_cmp_gt_i32_e64 s[14:15], s40, v24
	v_cndmask_b32_e64 v23, v21, v44, s[12:13]
	v_cndmask_b32_e64 v24, v21, v45, s[14:15]
	v_max3_f32 v22, v22, v23, v24
	v_or_b32_e32 v23, 48, v20
	v_or_b32_e32 v24, 49, v20
	v_cmp_gt_i32_e64 s[8:9], s40, v23
	v_cmp_gt_i32_e64 s[10:11], s40, v24
	v_cndmask_b32_e64 v23, v21, v40, s[8:9]
	v_cndmask_b32_e64 v24, v21, v41, s[10:11]
	v_max3_f32 v22, v22, v23, v24
	v_or_b32_e32 v23, 50, v20
	v_or_b32_e32 v20, 51, v20
	v_cmp_gt_i32_e32 vcc, s40, v23
	v_cmp_gt_i32_e64 s[2:3], s40, v20
	v_cndmask_b32_e32 v23, v21, v34, vcc
	v_cndmask_b32_e64 v20, v21, v35, s[2:3]
	v_max3_f32 v26, v22, v23, v20
	v_mbcnt_lo_u32_b32 v20, -1, 0
	v_mbcnt_hi_u32_b32 v27, -1, v20
	v_and_b32_e32 v20, 64, v27
	v_add_u32_e32 v28, 64, v20
	v_xor_b32_e32 v20, 32, v27
	v_cmp_lt_i32_e64 s[40:41], v20, v28
	v_cndmask_b32_e64 v20, v27, v20, s[40:41]
	v_lshlrev_b32_e32 v58, 2, v20
	ds_bpermute_b32 v29, v58, v26
	s_waitcnt vmcnt(4)
	v_mad_i64_i32 v[20:21], s[40:41], v60, s45, 0
	global_load_dwordx4 v[30:33], v[56:57], off
	global_load_dwordx4 v[22:25], v[56:57], off offset:16
	v_lshlrev_b64 v[20:21], 1, v[20:21]
	s_waitcnt lgkmcnt(0)
	v_max_f32_e32 v29, v29, v29
	v_max_f32_e32 v26, v26, v29
	v_xor_b32_e32 v29, 16, v27
	v_cmp_lt_i32_e64 s[40:41], v29, v28
	v_cndmask_b32_e64 v27, v27, v29, s[40:41]
	v_lshlrev_b32_e32 v57, 2, v27
	ds_bpermute_b32 v27, v57, v26
	v_add_co_u32_e64 v20, s[40:41], v61, v20
	v_addc_co_u32_e64 v21, s[40:41], v62, v21, s[40:41]
	s_waitcnt lgkmcnt(0)
	v_max_f32_e32 v27, v27, v27
	v_max_f32_e32 v56, v26, v27
	v_sub_f32_e32 v18, v18, v56
	v_mul_f32_e32 v18, 0x3fb8aa3b, v18
	v_exp_f32_e32 v36, v18
	v_sub_f32_e32 v18, v19, v56
	v_mul_f32_e32 v18, 0x3fb8aa3b, v18
	v_exp_f32_e32 v37, v18
	global_load_dwordx4 v[26:29], v[20:21], off
	s_nop 0
	global_load_dwordx4 v[18:21], v[20:21], off offset:16
	v_sub_f32_e32 v46, v46, v56
	v_mul_f32_e32 v46, 0x3fb8aa3b, v46
	v_sub_f32_e32 v47, v47, v56
	v_exp_f32_e32 v46, v46
	v_mul_f32_e32 v47, 0x3fb8aa3b, v47
	v_sub_f32_e32 v38, v38, v56
	v_exp_f32_e32 v47, v47
	v_mul_f32_e32 v38, 0x3fb8aa3b, v38
	v_sub_f32_e32 v39, v39, v56
	v_cndmask_b32_e64 v36, 0, v36, s[30:31]
	v_exp_f32_e32 v38, v38
	v_mul_f32_e32 v39, 0x3fb8aa3b, v39
	v_sub_f32_e32 v48, v48, v56
	v_add_f32_e32 v59, 0, v36
	v_cndmask_b32_e64 v37, 0, v37, s[34:35]
	v_exp_f32_e32 v39, v39
	v_mul_f32_e32 v48, 0x3fb8aa3b, v48
	v_sub_f32_e32 v49, v49, v56
	v_add_f32_e32 v59, v59, v37
	;; [unrolled: 5-line block ×10, first 2 shown]
	v_cndmask_b32_e64 v44, 0, v44, s[12:13]
	v_exp_f32_e32 v34, v34
	v_mul_f32_e32 v35, 0x3fb8aa3b, v35
	v_add_f32_e32 v59, v59, v44
	v_cndmask_b32_e64 v45, 0, v45, s[14:15]
	v_exp_f32_e32 v35, v35
	v_add_f32_e32 v59, v59, v45
	v_cndmask_b32_e64 v40, 0, v40, s[8:9]
	v_add_f32_e32 v59, v59, v40
	v_cndmask_b32_e64 v41, 0, v41, s[10:11]
	v_add_f32_e32 v59, v59, v41
	v_cndmask_b32_e32 v34, 0, v34, vcc
	v_add_f32_e32 v59, v59, v34
	v_cndmask_b32_e64 v35, 0, v35, s[2:3]
	v_add_f32_e32 v59, v59, v35
	ds_bpermute_b32 v58, v58, v59
	v_cmp_gt_u32_e32 vcc, 16, v54
	s_waitcnt lgkmcnt(0)
	s_barrier
	v_add_f32_e32 v58, v59, v58
	ds_bpermute_b32 v59, v57, v58
	v_lshlrev_b32_e32 v57, 2, v52
	s_and_saveexec_b64 s[2:3], vcc
	s_cbranch_execz .LBB238_13
; %bb.12:
	s_waitcnt lgkmcnt(0)
	v_add_f32_e32 v54, v58, v59
	v_lshl_or_b32 v58, v53, 6, v57
	ds_write2st64_b32 v58, v56, v54 offset1:1
.LBB238_13:
	s_or_b64 exec, exec, s[2:3]
	s_load_dword s8, s[4:5], 0x94
	s_waitcnt lgkmcnt(0)
	s_barrier
	ds_read2_b32 v[58:59], v57 offset1:16
	ds_read2_b32 v[60:61], v57 offset0:32 offset1:48
	ds_read2_b32 v[62:63], v57 offset0:64 offset1:80
	s_movk_i32 s10, 0x7fff
	s_mov_b32 s11, 0x7060302
	s_waitcnt lgkmcnt(2)
	v_max3_f32 v54, v58, s42, v59
	s_waitcnt lgkmcnt(1)
	v_max3_f32 v54, v54, v60, v61
	v_sub_f32_e32 v56, v58, v54
	v_mul_f32_e32 v56, 0x3fb8aa3b, v56
	v_exp_f32_e32 v64, v56
	v_sub_f32_e32 v56, v59, v54
	v_mul_f32_e32 v56, 0x3fb8aa3b, v56
	v_exp_f32_e32 v65, v56
	;; [unrolled: 3-line block ×3, first 2 shown]
	ds_read2_b32 v[58:59], v57 offset0:96 offset1:112
	v_sub_f32_e32 v56, v61, v54
	v_mul_f32_e32 v56, 0x3fb8aa3b, v56
	v_exp_f32_e32 v57, v56
	s_waitcnt lgkmcnt(1)
	v_fma_f32 v56, v64, v62, 0
	v_fmac_f32_e32 v56, v65, v63
	s_waitcnt lgkmcnt(0)
	v_fmac_f32_e32 v56, v60, v58
	v_fmac_f32_e32 v56, v57, v59
	v_add_f32_e32 v58, 0x358637bd, v56
	v_div_scale_f32 v59, s[2:3], v58, v58, 1.0
	v_rcp_f32_e32 v61, v59
	s_barrier
	v_fma_f32 v62, -v59, v61, 1.0
	v_fmac_f32_e32 v61, v62, v61
	v_div_scale_f32 v62, vcc, 1.0, v58, 1.0
	v_mul_f32_e32 v63, v62, v61
	v_fma_f32 v66, -v59, v63, v62
	v_fmac_f32_e32 v63, v66, v61
	v_fma_f32 v59, -v59, v63, v62
	v_div_fmas_f32 v59, v59, v61, v63
	v_cmp_eq_u32_e32 vcc, 1, v53
	v_div_fixup_f32 v58, v59, v58, 1.0
	v_cndmask_b32_e32 v59, v64, v65, vcc
	v_cmp_eq_u32_e32 vcc, 2, v53
	v_cndmask_b32_e32 v59, v59, v60, vcc
	v_cmp_eq_u32_e32 vcc, 3, v53
	v_cndmask_b32_e32 v57, v59, v57, vcc
	v_mul_f32_e32 v58, v57, v58
	v_pk_mul_f32 v[36:37], v[58:59], v[36:37] op_sel_hi:[0,1]
	v_pk_mul_f32 v[46:47], v[58:59], v[46:47] op_sel_hi:[0,1]
	v_bfe_u32 v57, v37, 16, 1
	v_bfe_u32 v59, v36, 16, 1
	v_add3_u32 v36, v36, v59, s10
	v_add3_u32 v37, v37, v57, s10
	v_perm_b32 v60, v37, v36, s11
	v_bfe_u32 v36, v47, 16, 1
	v_bfe_u32 v37, v46, 16, 1
	v_add3_u32 v37, v46, v37, s10
	v_add3_u32 v36, v47, v36, s10
	v_perm_b32 v61, v36, v37, s11
	v_lshlrev_b32_e32 v36, 3, v1
	v_lshlrev_b32_e32 v37, 11, v53
	v_pk_mul_f32 v[38:39], v[58:59], v[38:39] op_sel_hi:[0,1]
	v_or3_b32 v36, v37, v55, v36
	v_pk_mul_f32 v[46:47], v[58:59], v[48:49] op_sel_hi:[0,1]
	v_bfe_u32 v37, v39, 16, 1
	v_bfe_u32 v48, v38, 16, 1
	v_add3_u32 v38, v38, v48, s10
	v_add3_u32 v37, v39, v37, s10
	v_perm_b32 v38, v37, v38, s11
	v_bfe_u32 v37, v47, 16, 1
	v_bfe_u32 v39, v46, 16, 1
	v_add3_u32 v39, v46, v39, s10
	v_add3_u32 v37, v47, v37, s10
	v_perm_b32 v39, v37, v39, s11
	v_pk_mul_f32 v[42:43], v[58:59], v[42:43] op_sel_hi:[0,1]
	ds_write2st64_b64 v36, v[60:61], v[38:39] offset1:1
	v_pk_mul_f32 v[38:39], v[58:59], v[44:45] op_sel_hi:[0,1]
	v_bfe_u32 v37, v43, 16, 1
	v_bfe_u32 v44, v42, 16, 1
	v_add3_u32 v42, v42, v44, s10
	v_add3_u32 v37, v43, v37, s10
	v_perm_b32 v42, v37, v42, s11
	v_bfe_u32 v37, v39, 16, 1
	v_bfe_u32 v43, v38, 16, 1
	v_add3_u32 v38, v38, v43, s10
	v_add3_u32 v37, v39, v37, s10
	v_perm_b32 v43, v37, v38, s11
	v_pk_mul_f32 v[38:39], v[58:59], v[40:41] op_sel_hi:[0,1]
	v_bfe_u32 v37, v39, 16, 1
	v_bfe_u32 v40, v38, 16, 1
	v_pk_mul_f32 v[34:35], v[58:59], v[34:35] op_sel_hi:[0,1]
	v_add3_u32 v38, v38, v40, s10
	v_add3_u32 v37, v39, v37, s10
	v_perm_b32 v38, v37, v38, s11
	v_bfe_u32 v37, v35, 16, 1
	v_bfe_u32 v39, v34, 16, 1
	v_add3_u32 v34, v34, v39, s10
	v_add3_u32 v35, v35, v37, s10
	s_mul_i32 s9, s33, 11
	v_perm_b32 v39, v35, v34, s11
	v_cmp_gt_u32_e32 vcc, 11, v0
	ds_write2st64_b64 v36, v[42:43], v[38:39] offset0:2 offset1:3
	s_and_saveexec_b64 s[2:3], vcc
	s_cbranch_execz .LBB238_15
; %bb.14:
	v_add_co_u32_e32 v38, vcc, s29, v52
	v_addc_co_u32_e64 v39, s[16:17], 0, 0, vcc
	v_mov_b32_e32 v34, s9
	v_mov_b32_e32 v35, 0
	v_mad_u64_u32 v[38:39], s[16:17], s6, v34, v[38:39]
	v_mov_b32_e32 v34, s28
	s_load_dwordx4 s[12:15], s[4:5], 0x58
	s_mul_i32 s7, s7, s9
	v_mad_u64_u32 v[34:35], s[16:17], v38, s8, v[34:35]
	v_add_u32_e32 v37, s7, v39
	v_mov_b32_e32 v38, v35
	v_mad_u64_u32 v[38:39], s[16:17], v37, s8, v[38:39]
	v_mov_b32_e32 v35, v38
	v_lshlrev_b64 v[34:35], 2, v[34:35]
	s_waitcnt lgkmcnt(0)
	v_mov_b32_e32 v37, s15
	v_add_co_u32_e32 v38, vcc, s14, v34
	v_addc_co_u32_e32 v39, vcc, v37, v35, vcc
	v_mov_b32_e32 v37, s13
	v_add_co_u32_e32 v34, vcc, s12, v34
	v_addc_co_u32_e32 v35, vcc, v37, v35, vcc
	global_store_dword v[38:39], v54, off
	global_store_dword v[34:35], v56, off
.LBB238_15:
	s_or_b64 exec, exec, s[2:3]
	v_lshl_or_b32 v34, v1, 9, v55
	s_waitcnt lgkmcnt(0)
	s_barrier
	ds_read_b128 v[38:41], v34
	ds_read_b128 v[42:45], v34 offset:16
	s_waitcnt vmcnt(7) lgkmcnt(1)
	v_mfma_f32_16x16x16bf16_1k v[46:49], v[14:15], v[38:39], 0
	v_cmp_gt_u32_e32 vcc, 64, v0
	s_mov_b32 s3, 0
	s_and_b64 s[0:1], vcc, s[0:1]
	v_mfma_f32_16x16x16bf16_1k v[14:17], v[16:17], v[40:41], v[46:49]
	s_waitcnt vmcnt(6) lgkmcnt(0)
	v_mfma_f32_16x16x16bf16_1k v[14:17], v[10:11], v[42:43], v[14:17]
	v_mfma_f32_16x16x16bf16_1k v[10:13], v[12:13], v[44:45], v[14:17]
	s_nop 7
	s_nop 1
	ds_read_b128 v[14:17], v34 offset:2048
	ds_read_b128 v[38:41], v34 offset:2064
	s_waitcnt vmcnt(5) lgkmcnt(1)
	v_mfma_f32_16x16x16bf16_1k v[10:13], v[6:7], v[14:15], v[10:13]
	v_mfma_f32_16x16x16bf16_1k v[6:9], v[8:9], v[16:17], v[10:13]
	s_waitcnt vmcnt(4) lgkmcnt(0)
	v_mfma_f32_16x16x16bf16_1k v[6:9], v[2:3], v[38:39], v[6:9]
	v_mfma_f32_16x16x16bf16_1k v[2:5], v[4:5], v[40:41], v[6:9]
	s_nop 7
	s_nop 1
	ds_read_b128 v[6:9], v34 offset:4096
	ds_read_b128 v[10:13], v34 offset:4112
	s_waitcnt vmcnt(3) lgkmcnt(1)
	v_mfma_f32_16x16x16bf16_1k v[2:5], v[30:31], v[6:7], v[2:5]
	v_mfma_f32_16x16x16bf16_1k v[2:5], v[32:33], v[8:9], v[2:5]
	s_waitcnt vmcnt(2) lgkmcnt(0)
	v_mfma_f32_16x16x16bf16_1k v[2:5], v[22:23], v[10:11], v[2:5]
	v_mfma_f32_16x16x16bf16_1k v[2:5], v[24:25], v[12:13], v[2:5]
	ds_read_b128 v[6:9], v34 offset:6144
	ds_read_b128 v[10:13], v34 offset:6160
	s_waitcnt lgkmcnt(0)
	s_barrier
	s_waitcnt vmcnt(1)
	v_mfma_f32_16x16x16bf16_1k v[2:5], v[26:27], v[6:7], v[2:5]
	v_mfma_f32_16x16x16bf16_1k v[2:5], v[28:29], v[8:9], v[2:5]
	s_waitcnt vmcnt(0)
	v_mfma_f32_16x16x16bf16_1k v[2:5], v[18:19], v[10:11], v[2:5]
	v_mfma_f32_16x16x16bf16_1k v[2:5], v[20:21], v[12:13], v[2:5]
	s_nop 7
	s_nop 2
	v_bfe_u32 v6, v3, 16, 1
	v_bfe_u32 v7, v2, 16, 1
	;; [unrolled: 1-line block ×4, first 2 shown]
	v_add3_u32 v2, v2, v7, s10
	v_add3_u32 v3, v3, v6, s10
	v_add3_u32 v4, v4, v9, s10
	v_add3_u32 v5, v5, v8, s10
	v_perm_b32 v2, v3, v2, s11
	v_perm_b32 v3, v5, v4, s11
	ds_write_b64 v36, v[2:3]
	s_waitcnt lgkmcnt(0)
	s_barrier
	s_and_saveexec_b64 s[10:11], s[0:1]
	s_cbranch_execz .LBB238_18
; %bb.16:
	s_load_dwordx2 s[4:5], s[4:5], 0x68
	s_lshl_b32 s0, s8, 6
	s_mul_i32 s1, s9, s6
	s_mul_hi_u32 s7, s1, s0
	s_mul_i32 s6, s1, s0
	s_lshl_b64 s[6:7], s[6:7], 1
	s_waitcnt lgkmcnt(0)
	s_add_u32 s1, s4, s6
	v_lshlrev_b32_e32 v0, 10, v0
	s_addc_u32 s4, s5, s7
	s_lshl_b32 s2, s28, 6
	v_and_b32_e32 v0, 0x1800, v0
	v_lshlrev_b32_e32 v2, 5, v1
	v_and_b32_e32 v3, 16, v51
	s_lshl_b64 s[2:3], s[2:3], 1
	v_or3_b32 v0, v0, v2, v3
	s_add_u32 s1, s1, s2
	s_addc_u32 s2, s4, s3
	ds_read_b128 v[4:7], v0 offset:128
	ds_read_b128 v[8:11], v0
	v_add_u32_e32 v14, s29, v1
	v_mov_b32_e32 v3, s2
	v_add_co_u32_e32 v2, vcc, s1, v50
	v_mad_u64_u32 v[12:13], s[2:3], v14, s0, 0
	v_addc_co_u32_e32 v3, vcc, 0, v3, vcc
	v_lshlrev_b64 v[12:13], 1, v[12:13]
	v_add_co_u32_e32 v12, vcc, v2, v12
	v_addc_co_u32_e32 v13, vcc, v3, v13, vcc
	s_waitcnt lgkmcnt(0)
	global_store_dwordx4 v[12:13], v[8:11], off
	s_nop 0
	v_add_u32_e32 v8, 4, v14
	v_mad_u64_u32 v[8:9], s[2:3], v8, s0, 0
	v_lshlrev_b64 v[8:9], 1, v[8:9]
	v_add_co_u32_e32 v8, vcc, v2, v8
	v_addc_co_u32_e32 v9, vcc, v3, v9, vcc
	v_cmp_ne_u32_e32 vcc, 3, v1
	global_store_dwordx4 v[8:9], v[4:7], off
	s_and_b64 exec, exec, vcc
	s_cbranch_execz .LBB238_18
; %bb.17:
	ds_read_b128 v[4:7], v0 offset:256
	v_add3_u32 v0, s29, v1, 8
	v_mad_u64_u32 v[0:1], s[0:1], v0, s0, 0
	v_lshlrev_b64 v[0:1], 1, v[0:1]
	v_add_co_u32_e32 v0, vcc, v2, v0
	v_addc_co_u32_e32 v1, vcc, v3, v1, vcc
	s_waitcnt lgkmcnt(0)
	global_store_dwordx4 v[0:1], v[4:7], off
.LBB238_18:
	s_endpgm
	.section	.rodata,"a",@progbits
	.p2align	6, 0x0
	.amdhsa_kernel _Z39paged_attention_ll4mi_QKV_mfma16_kernelI14__hip_bfloat16S0_LN4vllm18Fp8KVCacheDataTypeE0ES0_Li16ELi64ELi256ELb0ELi11EL8MFMAType0EEvPKT_PKT0_S9_ifPKiSB_SB_iPKfiiiPfSE_PS4_PT2_iSD_SD_
		.amdhsa_group_segment_fixed_size 8192
		.amdhsa_private_segment_fixed_size 0
		.amdhsa_kernarg_size 400
		.amdhsa_user_sgpr_count 6
		.amdhsa_user_sgpr_private_segment_buffer 1
		.amdhsa_user_sgpr_dispatch_ptr 0
		.amdhsa_user_sgpr_queue_ptr 0
		.amdhsa_user_sgpr_kernarg_segment_ptr 1
		.amdhsa_user_sgpr_dispatch_id 0
		.amdhsa_user_sgpr_flat_scratch_init 0
		.amdhsa_user_sgpr_kernarg_preload_length 0
		.amdhsa_user_sgpr_kernarg_preload_offset 0
		.amdhsa_user_sgpr_private_segment_size 0
		.amdhsa_uses_dynamic_stack 0
		.amdhsa_system_sgpr_private_segment_wavefront_offset 0
		.amdhsa_system_sgpr_workgroup_id_x 1
		.amdhsa_system_sgpr_workgroup_id_y 1
		.amdhsa_system_sgpr_workgroup_id_z 1
		.amdhsa_system_sgpr_workgroup_info 0
		.amdhsa_system_vgpr_workitem_id 0
		.amdhsa_next_free_vgpr 67
		.amdhsa_next_free_sgpr 48
		.amdhsa_accum_offset 68
		.amdhsa_reserve_vcc 1
		.amdhsa_reserve_flat_scratch 0
		.amdhsa_float_round_mode_32 0
		.amdhsa_float_round_mode_16_64 0
		.amdhsa_float_denorm_mode_32 3
		.amdhsa_float_denorm_mode_16_64 3
		.amdhsa_dx10_clamp 1
		.amdhsa_ieee_mode 1
		.amdhsa_fp16_overflow 0
		.amdhsa_tg_split 0
		.amdhsa_exception_fp_ieee_invalid_op 0
		.amdhsa_exception_fp_denorm_src 0
		.amdhsa_exception_fp_ieee_div_zero 0
		.amdhsa_exception_fp_ieee_overflow 0
		.amdhsa_exception_fp_ieee_underflow 0
		.amdhsa_exception_fp_ieee_inexact 0
		.amdhsa_exception_int_div_zero 0
	.end_amdhsa_kernel
	.section	.text._Z39paged_attention_ll4mi_QKV_mfma16_kernelI14__hip_bfloat16S0_LN4vllm18Fp8KVCacheDataTypeE0ES0_Li16ELi64ELi256ELb0ELi11EL8MFMAType0EEvPKT_PKT0_S9_ifPKiSB_SB_iPKfiiiPfSE_PS4_PT2_iSD_SD_,"axG",@progbits,_Z39paged_attention_ll4mi_QKV_mfma16_kernelI14__hip_bfloat16S0_LN4vllm18Fp8KVCacheDataTypeE0ES0_Li16ELi64ELi256ELb0ELi11EL8MFMAType0EEvPKT_PKT0_S9_ifPKiSB_SB_iPKfiiiPfSE_PS4_PT2_iSD_SD_,comdat
.Lfunc_end238:
	.size	_Z39paged_attention_ll4mi_QKV_mfma16_kernelI14__hip_bfloat16S0_LN4vllm18Fp8KVCacheDataTypeE0ES0_Li16ELi64ELi256ELb0ELi11EL8MFMAType0EEvPKT_PKT0_S9_ifPKiSB_SB_iPKfiiiPfSE_PS4_PT2_iSD_SD_, .Lfunc_end238-_Z39paged_attention_ll4mi_QKV_mfma16_kernelI14__hip_bfloat16S0_LN4vllm18Fp8KVCacheDataTypeE0ES0_Li16ELi64ELi256ELb0ELi11EL8MFMAType0EEvPKT_PKT0_S9_ifPKiSB_SB_iPKfiiiPfSE_PS4_PT2_iSD_SD_
                                        ; -- End function
	.section	.AMDGPU.csdata,"",@progbits
; Kernel info:
; codeLenInByte = 4244
; NumSgprs: 52
; NumVgprs: 67
; NumAgprs: 0
; TotalNumVgprs: 67
; ScratchSize: 0
; MemoryBound: 0
; FloatMode: 240
; IeeeMode: 1
; LDSByteSize: 8192 bytes/workgroup (compile time only)
; SGPRBlocks: 6
; VGPRBlocks: 8
; NumSGPRsForWavesPerEU: 52
; NumVGPRsForWavesPerEU: 67
; AccumOffset: 68
; Occupancy: 7
; WaveLimiterHint : 1
; COMPUTE_PGM_RSRC2:SCRATCH_EN: 0
; COMPUTE_PGM_RSRC2:USER_SGPR: 6
; COMPUTE_PGM_RSRC2:TRAP_HANDLER: 0
; COMPUTE_PGM_RSRC2:TGID_X_EN: 1
; COMPUTE_PGM_RSRC2:TGID_Y_EN: 1
; COMPUTE_PGM_RSRC2:TGID_Z_EN: 1
; COMPUTE_PGM_RSRC2:TIDIG_COMP_CNT: 0
; COMPUTE_PGM_RSRC3_GFX90A:ACCUM_OFFSET: 16
; COMPUTE_PGM_RSRC3_GFX90A:TG_SPLIT: 0
	.section	.text._Z39paged_attention_ll4mi_QKV_mfma16_kernelI14__hip_bfloat16S0_LN4vllm18Fp8KVCacheDataTypeE0ES0_Li16ELi64ELi256ELb0ELi12EL8MFMAType0EEvPKT_PKT0_S9_ifPKiSB_SB_iPKfiiiPfSE_PS4_PT2_iSD_SD_,"axG",@progbits,_Z39paged_attention_ll4mi_QKV_mfma16_kernelI14__hip_bfloat16S0_LN4vllm18Fp8KVCacheDataTypeE0ES0_Li16ELi64ELi256ELb0ELi12EL8MFMAType0EEvPKT_PKT0_S9_ifPKiSB_SB_iPKfiiiPfSE_PS4_PT2_iSD_SD_,comdat
	.protected	_Z39paged_attention_ll4mi_QKV_mfma16_kernelI14__hip_bfloat16S0_LN4vllm18Fp8KVCacheDataTypeE0ES0_Li16ELi64ELi256ELb0ELi12EL8MFMAType0EEvPKT_PKT0_S9_ifPKiSB_SB_iPKfiiiPfSE_PS4_PT2_iSD_SD_ ; -- Begin function _Z39paged_attention_ll4mi_QKV_mfma16_kernelI14__hip_bfloat16S0_LN4vllm18Fp8KVCacheDataTypeE0ES0_Li16ELi64ELi256ELb0ELi12EL8MFMAType0EEvPKT_PKT0_S9_ifPKiSB_SB_iPKfiiiPfSE_PS4_PT2_iSD_SD_
	.globl	_Z39paged_attention_ll4mi_QKV_mfma16_kernelI14__hip_bfloat16S0_LN4vllm18Fp8KVCacheDataTypeE0ES0_Li16ELi64ELi256ELb0ELi12EL8MFMAType0EEvPKT_PKT0_S9_ifPKiSB_SB_iPKfiiiPfSE_PS4_PT2_iSD_SD_
	.p2align	8
	.type	_Z39paged_attention_ll4mi_QKV_mfma16_kernelI14__hip_bfloat16S0_LN4vllm18Fp8KVCacheDataTypeE0ES0_Li16ELi64ELi256ELb0ELi12EL8MFMAType0EEvPKT_PKT0_S9_ifPKiSB_SB_iPKfiiiPfSE_PS4_PT2_iSD_SD_,@function
_Z39paged_attention_ll4mi_QKV_mfma16_kernelI14__hip_bfloat16S0_LN4vllm18Fp8KVCacheDataTypeE0ES0_Li16ELi64ELi256ELb0ELi12EL8MFMAType0EEvPKT_PKT0_S9_ifPKiSB_SB_iPKfiiiPfSE_PS4_PT2_iSD_SD_: ; @_Z39paged_attention_ll4mi_QKV_mfma16_kernelI14__hip_bfloat16S0_LN4vllm18Fp8KVCacheDataTypeE0ES0_Li16ELi64ELi256ELb0ELi12EL8MFMAType0EEvPKT_PKT0_S9_ifPKiSB_SB_iPKfiiiPfSE_PS4_PT2_iSD_SD_
; %bb.0:
	s_load_dwordx2 s[0:1], s[4:5], 0x30
	s_mov_b32 s28, s7
	s_mov_b64 s[10:11], 0
	s_waitcnt lgkmcnt(0)
	s_cmp_lg_u64 s[0:1], 0
	s_cselect_b64 s[2:3], -1, 0
	s_and_b64 vcc, exec, s[2:3]
	s_cbranch_vccz .LBB239_7
; %bb.1:
	s_add_i32 s12, s6, 1
	s_mov_b32 s13, 0
	s_lshl_b64 s[14:15], s[12:13], 2
	s_add_u32 s14, s0, s14
	s_mov_b32 s7, s13
	s_addc_u32 s15, s1, s15
	s_lshl_b64 s[12:13], s[6:7], 2
	s_add_u32 s12, s0, s12
	s_addc_u32 s13, s1, s13
	s_load_dword s9, s[14:15], 0x0
	s_load_dword s16, s[12:13], 0x0
	s_waitcnt lgkmcnt(0)
	s_sub_i32 s9, s9, s16
	s_cmp_eq_u32 s9, 1
	s_cselect_b64 s[12:13], -1, 0
	s_andn2_b64 vcc, exec, s[10:11]
	s_cbranch_vccnz .LBB239_3
.LBB239_2:
	s_mov_b32 s7, 0
	s_mov_b64 s[12:13], -1
.LBB239_3:
	s_andn2_b64 vcc, exec, s[12:13]
	s_cbranch_vccnz .LBB239_17
; %bb.4:
	s_load_dwordx2 s[12:13], s[4:5], 0x28
	s_lshl_b64 s[10:11], s[6:7], 2
	s_waitcnt lgkmcnt(0)
	s_add_u32 s12, s12, s10
	s_addc_u32 s13, s13, s11
	s_load_dword s40, s[12:13], 0x0
	s_lshl_b32 s16, s28, 8
	s_waitcnt lgkmcnt(0)
	s_cmp_ge_i32 s16, s40
	s_cbranch_scc1 .LBB239_17
; %bb.5:
	s_add_i32 s14, s40, 15
	s_load_dwordx2 s[12:13], s[4:5], 0x20
	s_load_dword s9, s[4:5], 0x38
	s_ashr_i32 s15, s14, 31
	v_and_b32_e32 v1, 0xcf, v0
	s_lshr_b32 s15, s15, 28
	v_add_u32_e32 v1, s16, v1
	s_add_i32 s14, s14, s15
	v_ashrrev_i32_e32 v2, 31, v1
	s_ashr_i32 s19, s14, 4
	v_lshrrev_b32_e32 v10, 28, v2
	s_add_i32 s19, s19, -1
	v_add_u32_e32 v2, v1, v10
	s_waitcnt lgkmcnt(0)
	s_mul_i32 s14, s6, s9
	s_mov_b32 s15, 0
	v_ashrrev_i32_e32 v2, 4, v2
	v_mov_b32_e32 v11, s19
	v_cmp_gt_i32_e32 vcc, s40, v1
	s_lshl_b64 s[14:15], s[14:15], 2
	v_cndmask_b32_e32 v2, v11, v2, vcc
	s_add_u32 s17, s12, s14
	v_ashrrev_i32_e32 v3, 31, v2
	s_addc_u32 s18, s13, s15
	v_lshlrev_b64 v[2:3], 2, v[2:3]
	v_mov_b32_e32 v5, s18
	v_add_co_u32_e32 v4, vcc, s17, v2
	v_or_b32_e32 v2, 16, v1
	v_addc_co_u32_e32 v5, vcc, v5, v3, vcc
	v_add_u32_e32 v3, v2, v10
	v_ashrrev_i32_e32 v3, 4, v3
	v_cmp_gt_i32_e32 vcc, s40, v2
	v_cndmask_b32_e32 v2, v11, v3, vcc
	v_ashrrev_i32_e32 v3, 31, v2
	v_lshlrev_b64 v[2:3], 2, v[2:3]
	v_mov_b32_e32 v7, s18
	v_add_co_u32_e32 v6, vcc, s17, v2
	v_or_b32_e32 v2, 32, v1
	v_addc_co_u32_e32 v7, vcc, v7, v3, vcc
	v_add_u32_e32 v3, v2, v10
	v_ashrrev_i32_e32 v3, 4, v3
	v_cmp_gt_i32_e32 vcc, s40, v2
	v_cndmask_b32_e32 v2, v11, v3, vcc
	v_ashrrev_i32_e32 v3, 31, v2
	;; [unrolled: 10-line block ×3, first 2 shown]
	v_lshlrev_b64 v[2:3], 2, v[2:3]
	v_mov_b32_e32 v1, s18
	v_add_co_u32_e32 v10, vcc, s17, v2
	v_addc_co_u32_e32 v11, vcc, v1, v3, vcc
	global_load_dword v3, v[4:5], off
	global_load_dword v2, v[6:7], off
	;; [unrolled: 1-line block ×4, first 2 shown]
	s_load_dwordx4 s[12:15], s[4:5], 0x8
	s_andn2_b64 vcc, exec, s[2:3]
	s_cbranch_vccnz .LBB239_8
; %bb.6:
	s_add_u32 s0, s0, s10
	s_addc_u32 s1, s1, s11
	s_load_dword s9, s[0:1], 0x0
	s_branch .LBB239_9
.LBB239_7:
	s_mov_b64 s[12:13], 0
	s_branch .LBB239_2
.LBB239_8:
	s_mov_b32 s9, s6
.LBB239_9:
	s_load_dwordx4 s[44:47], s[4:5], 0x48
	v_and_b32_e32 v52, 15, v0
	s_movk_i32 s0, 0xc0
	v_lshlrev_b32_e32 v4, 3, v52
	v_cmp_gt_u32_e32 vcc, s0, v0
	v_cmp_gt_u32_e64 s[0:1], 8, v52
	v_lshrrev_b32_e32 v53, 6, v0
	v_and_b32_e32 v54, 63, v0
	v_bfe_u32 v1, v0, 4, 2
	s_mul_i32 s29, s8, 12
	s_and_b64 s[10:11], vcc, s[0:1]
	v_lshlrev_b32_e32 v50, 1, v4
	s_and_saveexec_b64 s[2:3], s[10:11]
	s_cbranch_execz .LBB239_11
; %bb.10:
	s_load_dwordx2 s[10:11], s[4:5], 0x0
	s_waitcnt lgkmcnt(0)
	s_ashr_i32 s20, s44, 31
	s_mul_hi_u32 s21, s9, s44
	s_mul_i32 s20, s9, s20
	v_lshl_or_b32 v8, v53, 2, v1
	s_add_i32 s21, s21, s20
	s_mul_i32 s20, s9, s44
	s_lshl_b64 s[20:21], s[20:21], 1
	v_add_lshl_u32 v4, v8, s29, 6
	s_add_u32 s9, s10, s20
	v_ashrrev_i32_e32 v5, 31, v4
	s_addc_u32 s10, s11, s21
	v_lshlrev_b64 v[4:5], 1, v[4:5]
	v_mov_b32_e32 v6, s10
	v_add_co_u32_e32 v4, vcc, s9, v4
	v_addc_co_u32_e32 v5, vcc, v6, v5, vcc
	v_add_co_u32_e32 v4, vcc, v4, v50
	v_addc_co_u32_e32 v5, vcc, 0, v5, vcc
	global_load_dwordx4 v[4:7], v[4:5], off
	v_and_b32_e32 v9, 3, v0
	v_lshlrev_b32_e32 v10, 9, v52
	v_lshlrev_b32_e32 v8, 5, v8
	;; [unrolled: 1-line block ×3, first 2 shown]
	v_and_b32_e32 v10, 0x1800, v10
	v_or3_b32 v8, v10, v9, v8
	s_waitcnt vmcnt(0)
	ds_write_b128 v8, v[4:7]
.LBB239_11:
	s_or_b64 exec, exec, s[2:3]
	s_waitcnt lgkmcnt(0)
	s_mul_i32 s8, s8, s46
	s_mov_b32 s9, 0
	s_lshl_b64 s[8:9], s[8:9], 1
	s_add_u32 s3, s12, s8
	v_lshlrev_b32_e32 v51, 4, v0
	s_addc_u32 s10, s13, s9
	v_and_b32_e32 v4, 0xf0, v51
	v_mov_b32_e32 v5, s10
	v_add_co_u32_e32 v29, vcc, s3, v4
	v_addc_co_u32_e32 v30, vcc, 0, v5, vcc
	s_waitcnt vmcnt(3)
	v_mad_i64_i32 v[4:5], s[10:11], v3, s45, 0
	v_lshlrev_b64 v[4:5], 1, v[4:5]
	v_add_co_u32_e32 v3, vcc, v29, v4
	v_addc_co_u32_e32 v5, vcc, v30, v5, vcc
	v_and_b32_e32 v31, 0x300, v51
	v_add_co_u32_e32 v4, vcc, v3, v31
	v_addc_co_u32_e32 v5, vcc, 0, v5, vcc
	s_load_dword s33, s[4:5], 0x98
	s_load_dword s2, s[4:5], 0x1c
	s_waitcnt lgkmcnt(0)
	s_barrier
	global_load_dwordx4 v[6:9], v[4:5], off
	s_waitcnt vmcnt(3)
	v_mad_i64_i32 v[2:3], s[10:11], v2, s45, 0
	v_lshlrev_b64 v[2:3], 1, v[2:3]
	v_add_co_u32_e32 v2, vcc, v29, v2
	v_addc_co_u32_e32 v3, vcc, v30, v3, vcc
	v_add_co_u32_e32 v2, vcc, v2, v31
	v_addc_co_u32_e32 v3, vcc, 0, v3, vcc
	global_load_dwordx4 v[22:25], v[2:3], off
	global_load_dwordx4 v[10:13], v[4:5], off offset:1024
	global_load_dwordx4 v[14:17], v[2:3], off offset:1024
	v_add_u32_e32 v2, -12, v52
	v_cmp_gt_u32_e32 vcc, 12, v52
	v_cndmask_b32_e32 v2, v2, v52, vcc
	v_lshlrev_b32_e32 v2, 5, v2
	v_lshl_add_u32 v20, v1, 9, v2
	ds_read_b128 v[2:5], v20
	s_waitcnt vmcnt(5)
	v_mad_i64_i32 v[18:19], s[10:11], v18, s45, 0
	v_lshlrev_b64 v[26:27], 1, v[18:19]
	ds_read_b128 v[18:21], v20 offset:2048
	v_and_or_b32 v55, v0, 48, s16
	v_mov_b32_e32 v60, s19
	v_mov_b32_e32 v49, s18
	v_or_b32_e32 v57, 0x80, v55
	v_mov_b32_e32 v56, s18
	v_mov_b32_e32 v61, s18
	s_add_u32 s3, s14, s8
	s_addc_u32 s8, s15, s9
	s_mov_b32 s42, 0xff7fffff
	s_waitcnt vmcnt(2) lgkmcnt(1)
	v_mfma_f32_16x16x16bf16_1k v[36:39], v[22:23], v[2:3], 0
	v_mad_i64_i32 v[22:23], s[10:11], v28, s45, 0
	v_lshlrev_b64 v[44:45], 1, v[22:23]
	v_ashrrev_i32_e32 v22, 4, v55
	v_or_b32_e32 v28, 64, v55
	v_mfma_f32_16x16x16bf16_1k v[32:35], v[6:7], v[2:3], 0
	v_add_co_u32_e32 v6, vcc, v29, v26
	v_addc_co_u32_e32 v7, vcc, v30, v27, vcc
	v_add_co_u32_e32 v26, vcc, v6, v31
	v_addc_co_u32_e32 v27, vcc, 0, v7, vcc
	global_load_dwordx4 v[40:43], v[26:27], off
	v_mfma_f32_16x16x16bf16_1k v[6:9], v[8:9], v[4:5], v[32:35]
	v_cmp_gt_i32_e32 vcc, s40, v55
	v_cndmask_b32_e32 v46, v60, v22, vcc
	v_cmp_gt_i32_e32 vcc, s40, v28
	v_ashrrev_i32_e32 v47, 31, v46
	s_nop 2
	global_load_dwordx4 v[32:35], v[26:27], off offset:1024
	v_mfma_f32_16x16x16bf16_1k v[22:25], v[24:25], v[4:5], v[36:39]
	s_nop 6
	v_ashrrev_i32_e32 v36, 4, v28
	v_cndmask_b32_e32 v48, v60, v36, vcc
	s_waitcnt vmcnt(3) lgkmcnt(0)
	v_mfma_f32_16x16x16bf16_1k v[6:9], v[10:11], v[18:19], v[6:9]
	v_add_co_u32_e32 v10, vcc, v29, v44
	v_addc_co_u32_e32 v11, vcc, v30, v45, vcc
	v_add_co_u32_e32 v10, vcc, v10, v31
	v_addc_co_u32_e32 v11, vcc, 0, v11, vcc
	v_lshlrev_b64 v[36:37], 2, v[46:47]
	global_load_dwordx4 v[26:29], v[10:11], off
	s_waitcnt vmcnt(3)
	v_mfma_f32_16x16x16bf16_1k v[22:25], v[14:15], v[18:19], v[22:25]
	v_add_co_u32_e32 v14, vcc, s17, v36
	v_addc_co_u32_e32 v15, vcc, v49, v37, vcc
	global_load_dword v44, v[14:15], off
	v_ashrrev_i32_e32 v38, 4, v57
	v_cmp_gt_i32_e32 vcc, s40, v57
	v_ashrrev_i32_e32 v49, 31, v48
	v_cndmask_b32_e32 v14, v60, v38, vcc
	v_mfma_f32_16x16x16bf16_1k v[36:39], v[12:13], v[20:21], v[6:9]
	v_ashrrev_i32_e32 v15, 31, v14
	v_mov_b32_e32 v12, s18
	s_nop 4
	v_lshlrev_b64 v[6:7], 2, v[48:49]
	v_add_co_u32_e32 v6, vcc, s17, v6
	v_addc_co_u32_e32 v7, vcc, v56, v7, vcc
	global_load_dwordx4 v[56:59], v[10:11], off offset:1024
	global_load_dword v45, v[6:7], off
	v_lshlrev_b64 v[6:7], 2, v[14:15]
	v_add_co_u32_e32 v10, vcc, s17, v6
	v_addc_co_u32_e32 v11, vcc, v61, v7, vcc
	s_waitcnt vmcnt(5)
	v_mfma_f32_16x16x16bf16_1k v[6:9], v[40:41], v[2:3], 0
	global_load_dword v40, v[10:11], off
	v_or_b32_e32 v10, 0xc0, v55
	v_ashrrev_i32_e32 v11, 4, v10
	v_cmp_gt_i32_e32 vcc, s40, v10
	v_cndmask_b32_e32 v10, v60, v11, vcc
	v_ashrrev_i32_e32 v11, 31, v10
	v_lshlrev_b64 v[10:11], 2, v[10:11]
	v_mfma_f32_16x16x16bf16_1k v[6:9], v[42:43], v[4:5], v[6:9]
	v_add_co_u32_e32 v10, vcc, s17, v10
	v_addc_co_u32_e32 v11, vcc, v12, v11, vcc
	global_load_dword v60, v[10:11], off
	v_lshlrev_b32_e32 v55, 5, v52
	v_lshl_or_b32 v10, v53, 9, v55
	s_waitcnt vmcnt(6)
	v_mfma_f32_16x16x16bf16_1k v[6:9], v[32:33], v[18:19], v[6:9]
	v_mov_b32_e32 v11, s8
	v_add_co_u32_e32 v61, vcc, s3, v10
	v_addc_co_u32_e32 v62, vcc, 0, v11, vcc
	v_pk_mul_f32 v[46:47], s[2:3], v[38:39] op_sel_hi:[0,1]
	v_mfma_f32_16x16x16bf16_1k v[30:33], v[34:35], v[20:21], v[6:9]
	s_waitcnt vmcnt(1)
	v_mad_i64_i32 v[34:35], s[8:9], v40, s45, 0
	s_nop 4
	v_mad_i64_i32 v[6:7], s[8:9], v44, s45, 0
	v_lshlrev_b64 v[10:11], 1, v[6:7]
	v_mfma_f32_16x16x16bf16_1k v[6:9], v[26:27], v[2:3], 0
	v_add_co_u32_e32 v2, vcc, v61, v10
	v_addc_co_u32_e32 v3, vcc, v62, v11, vcc
	v_lshlrev_b64 v[34:35], 1, v[34:35]
	v_pk_mul_f32 v[42:43], s[2:3], v[30:31] op_sel_hi:[0,1]
	v_mfma_f32_16x16x16bf16_1k v[26:29], v[28:29], v[4:5], v[6:9]
	v_mfma_f32_16x16x16bf16_1k v[22:25], v[16:17], v[20:21], v[22:25]
	global_load_dwordx4 v[14:17], v[2:3], off
	global_load_dwordx4 v[10:13], v[2:3], off offset:16
	v_mad_i64_i32 v[2:3], s[8:9], v45, s45, 0
	v_lshlrev_b64 v[2:3], 1, v[2:3]
	v_add_co_u32_e32 v2, vcc, v61, v2
	v_addc_co_u32_e32 v3, vcc, v62, v3, vcc
	v_mfma_f32_16x16x16bf16_1k v[26:29], v[56:57], v[18:19], v[26:29]
	s_nop 3
	v_pk_mul_f32 v[38:39], s[2:3], v[22:23] op_sel_hi:[0,1]
	v_add_co_u32_e32 v56, vcc, v61, v34
	v_addc_co_u32_e32 v57, vcc, v62, v35, vcc
	v_pk_mul_f32 v[18:19], s[2:3], v[36:37] op_sel_hi:[0,1]
	v_pk_mul_f32 v[48:49], s[2:3], v[24:25] op_sel_hi:[0,1]
	v_mfma_f32_16x16x16bf16_1k v[20:23], v[58:59], v[20:21], v[26:29]
	v_pk_mul_f32 v[44:45], s[2:3], v[32:33] op_sel_hi:[0,1]
	global_load_dwordx4 v[6:9], v[2:3], off
	s_nop 0
	global_load_dwordx4 v[2:5], v[2:3], off offset:16
	s_nop 6
	v_pk_mul_f32 v[40:41], s[2:3], v[20:21] op_sel_hi:[0,1]
	v_and_b32_e32 v20, 0xc0, v0
	v_add_u32_e32 v20, s16, v20
	v_lshl_or_b32 v20, v1, 2, v20
	v_pk_mul_f32 v[34:35], s[2:3], v[22:23] op_sel_hi:[0,1]
	v_or_b32_e32 v23, 1, v20
	v_mov_b32_e32 v21, 0xff7fffff
	v_cmp_gt_i32_e64 s[30:31], s40, v20
	v_cmp_gt_i32_e64 s[34:35], s40, v23
	v_cndmask_b32_e64 v22, v21, v18, s[30:31]
	v_cndmask_b32_e64 v23, v21, v19, s[34:35]
	v_max3_f32 v22, v22, s42, v23
	v_or_b32_e32 v23, 2, v20
	v_or_b32_e32 v24, 3, v20
	v_cmp_gt_i32_e64 s[36:37], s40, v23
	v_cmp_gt_i32_e64 s[38:39], s40, v24
	v_cndmask_b32_e64 v23, v21, v46, s[36:37]
	v_cndmask_b32_e64 v24, v21, v47, s[38:39]
	v_max3_f32 v22, v22, v23, v24
	v_or_b32_e32 v23, 16, v20
	v_or_b32_e32 v24, 17, v20
	;; [unrolled: 7-line block ×7, first 2 shown]
	v_cmp_gt_i32_e32 vcc, s40, v23
	v_cmp_gt_i32_e64 s[2:3], s40, v20
	v_cndmask_b32_e32 v23, v21, v34, vcc
	v_cndmask_b32_e64 v20, v21, v35, s[2:3]
	v_max3_f32 v26, v22, v23, v20
	v_mbcnt_lo_u32_b32 v20, -1, 0
	v_mbcnt_hi_u32_b32 v27, -1, v20
	v_and_b32_e32 v20, 64, v27
	v_add_u32_e32 v28, 64, v20
	v_xor_b32_e32 v20, 32, v27
	v_cmp_lt_i32_e64 s[40:41], v20, v28
	v_cndmask_b32_e64 v20, v27, v20, s[40:41]
	v_lshlrev_b32_e32 v58, 2, v20
	ds_bpermute_b32 v29, v58, v26
	s_waitcnt vmcnt(4)
	v_mad_i64_i32 v[20:21], s[40:41], v60, s45, 0
	global_load_dwordx4 v[30:33], v[56:57], off
	global_load_dwordx4 v[22:25], v[56:57], off offset:16
	v_lshlrev_b64 v[20:21], 1, v[20:21]
	s_waitcnt lgkmcnt(0)
	v_max_f32_e32 v29, v29, v29
	v_max_f32_e32 v26, v26, v29
	v_xor_b32_e32 v29, 16, v27
	v_cmp_lt_i32_e64 s[40:41], v29, v28
	v_cndmask_b32_e64 v27, v27, v29, s[40:41]
	v_lshlrev_b32_e32 v57, 2, v27
	ds_bpermute_b32 v27, v57, v26
	v_add_co_u32_e64 v20, s[40:41], v61, v20
	v_addc_co_u32_e64 v21, s[40:41], v62, v21, s[40:41]
	s_waitcnt lgkmcnt(0)
	v_max_f32_e32 v27, v27, v27
	v_max_f32_e32 v56, v26, v27
	v_sub_f32_e32 v18, v18, v56
	v_mul_f32_e32 v18, 0x3fb8aa3b, v18
	v_exp_f32_e32 v36, v18
	v_sub_f32_e32 v18, v19, v56
	v_mul_f32_e32 v18, 0x3fb8aa3b, v18
	v_exp_f32_e32 v37, v18
	global_load_dwordx4 v[26:29], v[20:21], off
	s_nop 0
	global_load_dwordx4 v[18:21], v[20:21], off offset:16
	v_sub_f32_e32 v46, v46, v56
	v_mul_f32_e32 v46, 0x3fb8aa3b, v46
	v_sub_f32_e32 v47, v47, v56
	v_exp_f32_e32 v46, v46
	v_mul_f32_e32 v47, 0x3fb8aa3b, v47
	v_sub_f32_e32 v38, v38, v56
	v_exp_f32_e32 v47, v47
	v_mul_f32_e32 v38, 0x3fb8aa3b, v38
	v_sub_f32_e32 v39, v39, v56
	v_cndmask_b32_e64 v36, 0, v36, s[30:31]
	v_exp_f32_e32 v38, v38
	v_mul_f32_e32 v39, 0x3fb8aa3b, v39
	v_sub_f32_e32 v48, v48, v56
	v_add_f32_e32 v59, 0, v36
	v_cndmask_b32_e64 v37, 0, v37, s[34:35]
	v_exp_f32_e32 v39, v39
	v_mul_f32_e32 v48, 0x3fb8aa3b, v48
	v_sub_f32_e32 v49, v49, v56
	v_add_f32_e32 v59, v59, v37
	;; [unrolled: 5-line block ×10, first 2 shown]
	v_cndmask_b32_e64 v44, 0, v44, s[12:13]
	v_exp_f32_e32 v34, v34
	v_mul_f32_e32 v35, 0x3fb8aa3b, v35
	v_add_f32_e32 v59, v59, v44
	v_cndmask_b32_e64 v45, 0, v45, s[14:15]
	v_exp_f32_e32 v35, v35
	v_add_f32_e32 v59, v59, v45
	v_cndmask_b32_e64 v40, 0, v40, s[8:9]
	v_add_f32_e32 v59, v59, v40
	v_cndmask_b32_e64 v41, 0, v41, s[10:11]
	v_add_f32_e32 v59, v59, v41
	v_cndmask_b32_e32 v34, 0, v34, vcc
	v_add_f32_e32 v59, v59, v34
	v_cndmask_b32_e64 v35, 0, v35, s[2:3]
	v_add_f32_e32 v59, v59, v35
	ds_bpermute_b32 v58, v58, v59
	v_cmp_gt_u32_e32 vcc, 16, v54
	s_waitcnt lgkmcnt(0)
	s_barrier
	v_add_f32_e32 v58, v59, v58
	ds_bpermute_b32 v59, v57, v58
	v_lshlrev_b32_e32 v57, 2, v52
	s_and_saveexec_b64 s[2:3], vcc
	s_cbranch_execz .LBB239_13
; %bb.12:
	s_waitcnt lgkmcnt(0)
	v_add_f32_e32 v54, v58, v59
	v_lshl_or_b32 v58, v53, 6, v57
	ds_write2st64_b32 v58, v56, v54 offset1:1
.LBB239_13:
	s_or_b64 exec, exec, s[2:3]
	s_load_dword s8, s[4:5], 0x94
	s_waitcnt lgkmcnt(0)
	s_barrier
	ds_read2_b32 v[58:59], v57 offset1:16
	ds_read2_b32 v[60:61], v57 offset0:32 offset1:48
	ds_read2_b32 v[62:63], v57 offset0:64 offset1:80
	s_movk_i32 s10, 0x7fff
	s_mov_b32 s11, 0x7060302
	s_waitcnt lgkmcnt(2)
	v_max3_f32 v54, v58, s42, v59
	s_waitcnt lgkmcnt(1)
	v_max3_f32 v54, v54, v60, v61
	v_sub_f32_e32 v56, v58, v54
	v_mul_f32_e32 v56, 0x3fb8aa3b, v56
	v_exp_f32_e32 v64, v56
	v_sub_f32_e32 v56, v59, v54
	v_mul_f32_e32 v56, 0x3fb8aa3b, v56
	v_exp_f32_e32 v65, v56
	;; [unrolled: 3-line block ×3, first 2 shown]
	ds_read2_b32 v[58:59], v57 offset0:96 offset1:112
	v_sub_f32_e32 v56, v61, v54
	v_mul_f32_e32 v56, 0x3fb8aa3b, v56
	v_exp_f32_e32 v57, v56
	s_waitcnt lgkmcnt(1)
	v_fma_f32 v56, v64, v62, 0
	v_fmac_f32_e32 v56, v65, v63
	s_waitcnt lgkmcnt(0)
	v_fmac_f32_e32 v56, v60, v58
	v_fmac_f32_e32 v56, v57, v59
	v_add_f32_e32 v58, 0x358637bd, v56
	v_div_scale_f32 v59, s[2:3], v58, v58, 1.0
	v_rcp_f32_e32 v61, v59
	s_barrier
	v_fma_f32 v62, -v59, v61, 1.0
	v_fmac_f32_e32 v61, v62, v61
	v_div_scale_f32 v62, vcc, 1.0, v58, 1.0
	v_mul_f32_e32 v63, v62, v61
	v_fma_f32 v66, -v59, v63, v62
	v_fmac_f32_e32 v63, v66, v61
	v_fma_f32 v59, -v59, v63, v62
	v_div_fmas_f32 v59, v59, v61, v63
	v_cmp_eq_u32_e32 vcc, 1, v53
	v_div_fixup_f32 v58, v59, v58, 1.0
	v_cndmask_b32_e32 v59, v64, v65, vcc
	v_cmp_eq_u32_e32 vcc, 2, v53
	v_cndmask_b32_e32 v59, v59, v60, vcc
	v_cmp_eq_u32_e32 vcc, 3, v53
	v_cndmask_b32_e32 v57, v59, v57, vcc
	v_mul_f32_e32 v58, v57, v58
	v_pk_mul_f32 v[36:37], v[58:59], v[36:37] op_sel_hi:[0,1]
	v_pk_mul_f32 v[46:47], v[58:59], v[46:47] op_sel_hi:[0,1]
	v_bfe_u32 v57, v37, 16, 1
	v_bfe_u32 v59, v36, 16, 1
	v_add3_u32 v36, v36, v59, s10
	v_add3_u32 v37, v37, v57, s10
	v_perm_b32 v60, v37, v36, s11
	v_bfe_u32 v36, v47, 16, 1
	v_bfe_u32 v37, v46, 16, 1
	v_add3_u32 v37, v46, v37, s10
	v_add3_u32 v36, v47, v36, s10
	v_perm_b32 v61, v36, v37, s11
	v_lshlrev_b32_e32 v36, 3, v1
	v_lshlrev_b32_e32 v37, 11, v53
	v_pk_mul_f32 v[38:39], v[58:59], v[38:39] op_sel_hi:[0,1]
	v_or3_b32 v36, v37, v55, v36
	v_pk_mul_f32 v[46:47], v[58:59], v[48:49] op_sel_hi:[0,1]
	v_bfe_u32 v37, v39, 16, 1
	v_bfe_u32 v48, v38, 16, 1
	v_add3_u32 v38, v38, v48, s10
	v_add3_u32 v37, v39, v37, s10
	v_perm_b32 v38, v37, v38, s11
	v_bfe_u32 v37, v47, 16, 1
	v_bfe_u32 v39, v46, 16, 1
	v_add3_u32 v39, v46, v39, s10
	v_add3_u32 v37, v47, v37, s10
	v_perm_b32 v39, v37, v39, s11
	v_pk_mul_f32 v[42:43], v[58:59], v[42:43] op_sel_hi:[0,1]
	ds_write2st64_b64 v36, v[60:61], v[38:39] offset1:1
	v_pk_mul_f32 v[38:39], v[58:59], v[44:45] op_sel_hi:[0,1]
	v_bfe_u32 v37, v43, 16, 1
	v_bfe_u32 v44, v42, 16, 1
	v_add3_u32 v42, v42, v44, s10
	v_add3_u32 v37, v43, v37, s10
	v_perm_b32 v42, v37, v42, s11
	v_bfe_u32 v37, v39, 16, 1
	v_bfe_u32 v43, v38, 16, 1
	v_add3_u32 v38, v38, v43, s10
	v_add3_u32 v37, v39, v37, s10
	v_perm_b32 v43, v37, v38, s11
	v_pk_mul_f32 v[38:39], v[58:59], v[40:41] op_sel_hi:[0,1]
	v_bfe_u32 v37, v39, 16, 1
	v_bfe_u32 v40, v38, 16, 1
	v_pk_mul_f32 v[34:35], v[58:59], v[34:35] op_sel_hi:[0,1]
	v_add3_u32 v38, v38, v40, s10
	v_add3_u32 v37, v39, v37, s10
	v_perm_b32 v38, v37, v38, s11
	v_bfe_u32 v37, v35, 16, 1
	v_bfe_u32 v39, v34, 16, 1
	v_add3_u32 v34, v34, v39, s10
	v_add3_u32 v35, v35, v37, s10
	s_mul_i32 s9, s33, 12
	v_perm_b32 v39, v35, v34, s11
	v_cmp_gt_u32_e32 vcc, 12, v0
	ds_write2st64_b64 v36, v[42:43], v[38:39] offset0:2 offset1:3
	s_and_saveexec_b64 s[2:3], vcc
	s_cbranch_execz .LBB239_15
; %bb.14:
	v_add_co_u32_e32 v38, vcc, s29, v52
	v_addc_co_u32_e64 v39, s[16:17], 0, 0, vcc
	v_mov_b32_e32 v34, s9
	v_mov_b32_e32 v35, 0
	v_mad_u64_u32 v[38:39], s[16:17], s6, v34, v[38:39]
	v_mov_b32_e32 v34, s28
	s_load_dwordx4 s[12:15], s[4:5], 0x58
	s_mul_i32 s7, s7, s9
	v_mad_u64_u32 v[34:35], s[16:17], v38, s8, v[34:35]
	v_add_u32_e32 v37, s7, v39
	v_mov_b32_e32 v38, v35
	v_mad_u64_u32 v[38:39], s[16:17], v37, s8, v[38:39]
	v_mov_b32_e32 v35, v38
	v_lshlrev_b64 v[34:35], 2, v[34:35]
	s_waitcnt lgkmcnt(0)
	v_mov_b32_e32 v37, s15
	v_add_co_u32_e32 v38, vcc, s14, v34
	v_addc_co_u32_e32 v39, vcc, v37, v35, vcc
	v_mov_b32_e32 v37, s13
	v_add_co_u32_e32 v34, vcc, s12, v34
	v_addc_co_u32_e32 v35, vcc, v37, v35, vcc
	global_store_dword v[38:39], v54, off
	global_store_dword v[34:35], v56, off
.LBB239_15:
	s_or_b64 exec, exec, s[2:3]
	v_lshl_or_b32 v34, v1, 9, v55
	s_waitcnt lgkmcnt(0)
	s_barrier
	ds_read_b128 v[38:41], v34
	ds_read_b128 v[42:45], v34 offset:16
	s_waitcnt vmcnt(7) lgkmcnt(1)
	v_mfma_f32_16x16x16bf16_1k v[46:49], v[14:15], v[38:39], 0
	v_cmp_gt_u32_e32 vcc, 64, v0
	s_mov_b32 s3, 0
	s_and_b64 s[0:1], vcc, s[0:1]
	v_mfma_f32_16x16x16bf16_1k v[14:17], v[16:17], v[40:41], v[46:49]
	s_waitcnt vmcnt(6) lgkmcnt(0)
	v_mfma_f32_16x16x16bf16_1k v[14:17], v[10:11], v[42:43], v[14:17]
	v_mfma_f32_16x16x16bf16_1k v[10:13], v[12:13], v[44:45], v[14:17]
	s_nop 7
	s_nop 1
	ds_read_b128 v[14:17], v34 offset:2048
	ds_read_b128 v[38:41], v34 offset:2064
	s_waitcnt vmcnt(5) lgkmcnt(1)
	v_mfma_f32_16x16x16bf16_1k v[10:13], v[6:7], v[14:15], v[10:13]
	v_mfma_f32_16x16x16bf16_1k v[6:9], v[8:9], v[16:17], v[10:13]
	s_waitcnt vmcnt(4) lgkmcnt(0)
	v_mfma_f32_16x16x16bf16_1k v[6:9], v[2:3], v[38:39], v[6:9]
	v_mfma_f32_16x16x16bf16_1k v[2:5], v[4:5], v[40:41], v[6:9]
	s_nop 7
	s_nop 1
	ds_read_b128 v[6:9], v34 offset:4096
	ds_read_b128 v[10:13], v34 offset:4112
	s_waitcnt vmcnt(3) lgkmcnt(1)
	v_mfma_f32_16x16x16bf16_1k v[2:5], v[30:31], v[6:7], v[2:5]
	v_mfma_f32_16x16x16bf16_1k v[2:5], v[32:33], v[8:9], v[2:5]
	s_waitcnt vmcnt(2) lgkmcnt(0)
	v_mfma_f32_16x16x16bf16_1k v[2:5], v[22:23], v[10:11], v[2:5]
	v_mfma_f32_16x16x16bf16_1k v[2:5], v[24:25], v[12:13], v[2:5]
	ds_read_b128 v[6:9], v34 offset:6144
	ds_read_b128 v[10:13], v34 offset:6160
	s_waitcnt lgkmcnt(0)
	s_barrier
	s_waitcnt vmcnt(1)
	v_mfma_f32_16x16x16bf16_1k v[2:5], v[26:27], v[6:7], v[2:5]
	v_mfma_f32_16x16x16bf16_1k v[2:5], v[28:29], v[8:9], v[2:5]
	s_waitcnt vmcnt(0)
	v_mfma_f32_16x16x16bf16_1k v[2:5], v[18:19], v[10:11], v[2:5]
	v_mfma_f32_16x16x16bf16_1k v[2:5], v[20:21], v[12:13], v[2:5]
	s_nop 7
	s_nop 2
	v_bfe_u32 v6, v3, 16, 1
	v_bfe_u32 v7, v2, 16, 1
	v_bfe_u32 v8, v5, 16, 1
	v_bfe_u32 v9, v4, 16, 1
	v_add3_u32 v2, v2, v7, s10
	v_add3_u32 v3, v3, v6, s10
	;; [unrolled: 1-line block ×4, first 2 shown]
	v_perm_b32 v2, v3, v2, s11
	v_perm_b32 v3, v5, v4, s11
	ds_write_b64 v36, v[2:3]
	s_waitcnt lgkmcnt(0)
	s_barrier
	s_and_saveexec_b64 s[10:11], s[0:1]
	s_cbranch_execz .LBB239_17
; %bb.16:
	s_load_dwordx2 s[0:1], s[4:5], 0x68
	s_lshl_b32 s7, s8, 6
	s_mul_i32 s2, s9, s6
	s_mul_hi_u32 s5, s2, s7
	s_mul_i32 s4, s2, s7
	s_lshl_b64 s[4:5], s[4:5], 1
	s_waitcnt lgkmcnt(0)
	s_add_u32 s4, s0, s4
	s_addc_u32 s5, s1, s5
	s_lshl_b32 s2, s28, 6
	v_lshlrev_b32_e32 v0, 10, v0
	s_lshl_b64 s[0:1], s[2:3], 1
	v_and_b32_e32 v0, 0x1800, v0
	v_lshlrev_b32_e32 v2, 5, v1
	v_and_b32_e32 v3, 16, v51
	s_add_u32 s0, s4, s0
	v_or3_b32 v0, v0, v2, v3
	s_addc_u32 s1, s5, s1
	ds_read_b128 v[2:5], v0
	ds_read_b128 v[6:9], v0 offset:128
	ds_read_b128 v[10:13], v0 offset:256
	v_or_b32_e32 v14, s29, v1
	v_mov_b32_e32 v0, s1
	v_add_co_u32_e32 v15, vcc, s0, v50
	v_addc_co_u32_e32 v16, vcc, 0, v0, vcc
	v_mad_u64_u32 v[0:1], s[0:1], v14, s7, 0
	v_lshlrev_b64 v[0:1], 1, v[0:1]
	v_add_co_u32_e32 v0, vcc, v15, v0
	v_addc_co_u32_e32 v1, vcc, v16, v1, vcc
	s_waitcnt lgkmcnt(2)
	global_store_dwordx4 v[0:1], v[2:5], off
	v_add_u32_e32 v0, 4, v14
	v_mad_u64_u32 v[0:1], s[0:1], v0, s7, 0
	v_lshlrev_b64 v[0:1], 1, v[0:1]
	v_add_co_u32_e32 v0, vcc, v15, v0
	v_addc_co_u32_e32 v1, vcc, v16, v1, vcc
	s_waitcnt lgkmcnt(1)
	global_store_dwordx4 v[0:1], v[6:9], off
	v_add_u32_e32 v0, 8, v14
	v_mad_u64_u32 v[0:1], s[0:1], v0, s7, 0
	v_lshlrev_b64 v[0:1], 1, v[0:1]
	v_add_co_u32_e32 v0, vcc, v15, v0
	v_addc_co_u32_e32 v1, vcc, v16, v1, vcc
	s_waitcnt lgkmcnt(0)
	global_store_dwordx4 v[0:1], v[10:13], off
.LBB239_17:
	s_endpgm
	.section	.rodata,"a",@progbits
	.p2align	6, 0x0
	.amdhsa_kernel _Z39paged_attention_ll4mi_QKV_mfma16_kernelI14__hip_bfloat16S0_LN4vllm18Fp8KVCacheDataTypeE0ES0_Li16ELi64ELi256ELb0ELi12EL8MFMAType0EEvPKT_PKT0_S9_ifPKiSB_SB_iPKfiiiPfSE_PS4_PT2_iSD_SD_
		.amdhsa_group_segment_fixed_size 8192
		.amdhsa_private_segment_fixed_size 0
		.amdhsa_kernarg_size 400
		.amdhsa_user_sgpr_count 6
		.amdhsa_user_sgpr_private_segment_buffer 1
		.amdhsa_user_sgpr_dispatch_ptr 0
		.amdhsa_user_sgpr_queue_ptr 0
		.amdhsa_user_sgpr_kernarg_segment_ptr 1
		.amdhsa_user_sgpr_dispatch_id 0
		.amdhsa_user_sgpr_flat_scratch_init 0
		.amdhsa_user_sgpr_kernarg_preload_length 0
		.amdhsa_user_sgpr_kernarg_preload_offset 0
		.amdhsa_user_sgpr_private_segment_size 0
		.amdhsa_uses_dynamic_stack 0
		.amdhsa_system_sgpr_private_segment_wavefront_offset 0
		.amdhsa_system_sgpr_workgroup_id_x 1
		.amdhsa_system_sgpr_workgroup_id_y 1
		.amdhsa_system_sgpr_workgroup_id_z 1
		.amdhsa_system_sgpr_workgroup_info 0
		.amdhsa_system_vgpr_workitem_id 0
		.amdhsa_next_free_vgpr 67
		.amdhsa_next_free_sgpr 48
		.amdhsa_accum_offset 68
		.amdhsa_reserve_vcc 1
		.amdhsa_reserve_flat_scratch 0
		.amdhsa_float_round_mode_32 0
		.amdhsa_float_round_mode_16_64 0
		.amdhsa_float_denorm_mode_32 3
		.amdhsa_float_denorm_mode_16_64 3
		.amdhsa_dx10_clamp 1
		.amdhsa_ieee_mode 1
		.amdhsa_fp16_overflow 0
		.amdhsa_tg_split 0
		.amdhsa_exception_fp_ieee_invalid_op 0
		.amdhsa_exception_fp_denorm_src 0
		.amdhsa_exception_fp_ieee_div_zero 0
		.amdhsa_exception_fp_ieee_overflow 0
		.amdhsa_exception_fp_ieee_underflow 0
		.amdhsa_exception_fp_ieee_inexact 0
		.amdhsa_exception_int_div_zero 0
	.end_amdhsa_kernel
	.section	.text._Z39paged_attention_ll4mi_QKV_mfma16_kernelI14__hip_bfloat16S0_LN4vllm18Fp8KVCacheDataTypeE0ES0_Li16ELi64ELi256ELb0ELi12EL8MFMAType0EEvPKT_PKT0_S9_ifPKiSB_SB_iPKfiiiPfSE_PS4_PT2_iSD_SD_,"axG",@progbits,_Z39paged_attention_ll4mi_QKV_mfma16_kernelI14__hip_bfloat16S0_LN4vllm18Fp8KVCacheDataTypeE0ES0_Li16ELi64ELi256ELb0ELi12EL8MFMAType0EEvPKT_PKT0_S9_ifPKiSB_SB_iPKfiiiPfSE_PS4_PT2_iSD_SD_,comdat
.Lfunc_end239:
	.size	_Z39paged_attention_ll4mi_QKV_mfma16_kernelI14__hip_bfloat16S0_LN4vllm18Fp8KVCacheDataTypeE0ES0_Li16ELi64ELi256ELb0ELi12EL8MFMAType0EEvPKT_PKT0_S9_ifPKiSB_SB_iPKfiiiPfSE_PS4_PT2_iSD_SD_, .Lfunc_end239-_Z39paged_attention_ll4mi_QKV_mfma16_kernelI14__hip_bfloat16S0_LN4vllm18Fp8KVCacheDataTypeE0ES0_Li16ELi64ELi256ELb0ELi12EL8MFMAType0EEvPKT_PKT0_S9_ifPKiSB_SB_iPKfiiiPfSE_PS4_PT2_iSD_SD_
                                        ; -- End function
	.section	.AMDGPU.csdata,"",@progbits
; Kernel info:
; codeLenInByte = 4232
; NumSgprs: 52
; NumVgprs: 67
; NumAgprs: 0
; TotalNumVgprs: 67
; ScratchSize: 0
; MemoryBound: 0
; FloatMode: 240
; IeeeMode: 1
; LDSByteSize: 8192 bytes/workgroup (compile time only)
; SGPRBlocks: 6
; VGPRBlocks: 8
; NumSGPRsForWavesPerEU: 52
; NumVGPRsForWavesPerEU: 67
; AccumOffset: 68
; Occupancy: 7
; WaveLimiterHint : 1
; COMPUTE_PGM_RSRC2:SCRATCH_EN: 0
; COMPUTE_PGM_RSRC2:USER_SGPR: 6
; COMPUTE_PGM_RSRC2:TRAP_HANDLER: 0
; COMPUTE_PGM_RSRC2:TGID_X_EN: 1
; COMPUTE_PGM_RSRC2:TGID_Y_EN: 1
; COMPUTE_PGM_RSRC2:TGID_Z_EN: 1
; COMPUTE_PGM_RSRC2:TIDIG_COMP_CNT: 0
; COMPUTE_PGM_RSRC3_GFX90A:ACCUM_OFFSET: 16
; COMPUTE_PGM_RSRC3_GFX90A:TG_SPLIT: 0
	.section	.text._Z39paged_attention_ll4mi_QKV_mfma16_kernelI14__hip_bfloat16S0_LN4vllm18Fp8KVCacheDataTypeE0ES0_Li16ELi64ELi256ELb0ELi13EL8MFMAType0EEvPKT_PKT0_S9_ifPKiSB_SB_iPKfiiiPfSE_PS4_PT2_iSD_SD_,"axG",@progbits,_Z39paged_attention_ll4mi_QKV_mfma16_kernelI14__hip_bfloat16S0_LN4vllm18Fp8KVCacheDataTypeE0ES0_Li16ELi64ELi256ELb0ELi13EL8MFMAType0EEvPKT_PKT0_S9_ifPKiSB_SB_iPKfiiiPfSE_PS4_PT2_iSD_SD_,comdat
	.protected	_Z39paged_attention_ll4mi_QKV_mfma16_kernelI14__hip_bfloat16S0_LN4vllm18Fp8KVCacheDataTypeE0ES0_Li16ELi64ELi256ELb0ELi13EL8MFMAType0EEvPKT_PKT0_S9_ifPKiSB_SB_iPKfiiiPfSE_PS4_PT2_iSD_SD_ ; -- Begin function _Z39paged_attention_ll4mi_QKV_mfma16_kernelI14__hip_bfloat16S0_LN4vllm18Fp8KVCacheDataTypeE0ES0_Li16ELi64ELi256ELb0ELi13EL8MFMAType0EEvPKT_PKT0_S9_ifPKiSB_SB_iPKfiiiPfSE_PS4_PT2_iSD_SD_
	.globl	_Z39paged_attention_ll4mi_QKV_mfma16_kernelI14__hip_bfloat16S0_LN4vllm18Fp8KVCacheDataTypeE0ES0_Li16ELi64ELi256ELb0ELi13EL8MFMAType0EEvPKT_PKT0_S9_ifPKiSB_SB_iPKfiiiPfSE_PS4_PT2_iSD_SD_
	.p2align	8
	.type	_Z39paged_attention_ll4mi_QKV_mfma16_kernelI14__hip_bfloat16S0_LN4vllm18Fp8KVCacheDataTypeE0ES0_Li16ELi64ELi256ELb0ELi13EL8MFMAType0EEvPKT_PKT0_S9_ifPKiSB_SB_iPKfiiiPfSE_PS4_PT2_iSD_SD_,@function
_Z39paged_attention_ll4mi_QKV_mfma16_kernelI14__hip_bfloat16S0_LN4vllm18Fp8KVCacheDataTypeE0ES0_Li16ELi64ELi256ELb0ELi13EL8MFMAType0EEvPKT_PKT0_S9_ifPKiSB_SB_iPKfiiiPfSE_PS4_PT2_iSD_SD_: ; @_Z39paged_attention_ll4mi_QKV_mfma16_kernelI14__hip_bfloat16S0_LN4vllm18Fp8KVCacheDataTypeE0ES0_Li16ELi64ELi256ELb0ELi13EL8MFMAType0EEvPKT_PKT0_S9_ifPKiSB_SB_iPKfiiiPfSE_PS4_PT2_iSD_SD_
; %bb.0:
	s_load_dwordx2 s[0:1], s[4:5], 0x30
	s_mov_b32 s28, s7
	s_mov_b64 s[10:11], 0
	s_waitcnt lgkmcnt(0)
	s_cmp_lg_u64 s[0:1], 0
	s_cselect_b64 s[2:3], -1, 0
	s_and_b64 vcc, exec, s[2:3]
	s_cbranch_vccz .LBB240_7
; %bb.1:
	s_add_i32 s12, s6, 1
	s_mov_b32 s13, 0
	s_lshl_b64 s[14:15], s[12:13], 2
	s_add_u32 s14, s0, s14
	s_mov_b32 s7, s13
	s_addc_u32 s15, s1, s15
	s_lshl_b64 s[12:13], s[6:7], 2
	s_add_u32 s12, s0, s12
	s_addc_u32 s13, s1, s13
	s_load_dword s9, s[14:15], 0x0
	s_load_dword s16, s[12:13], 0x0
	s_waitcnt lgkmcnt(0)
	s_sub_i32 s9, s9, s16
	s_cmp_eq_u32 s9, 1
	s_cselect_b64 s[12:13], -1, 0
	s_andn2_b64 vcc, exec, s[10:11]
	s_cbranch_vccnz .LBB240_3
.LBB240_2:
	s_mov_b32 s7, 0
	s_mov_b64 s[12:13], -1
.LBB240_3:
	s_andn2_b64 vcc, exec, s[12:13]
	s_cbranch_vccnz .LBB240_18
; %bb.4:
	s_load_dwordx2 s[12:13], s[4:5], 0x28
	s_lshl_b64 s[10:11], s[6:7], 2
	s_waitcnt lgkmcnt(0)
	s_add_u32 s12, s12, s10
	s_addc_u32 s13, s13, s11
	s_load_dword s40, s[12:13], 0x0
	s_lshl_b32 s16, s28, 8
	s_waitcnt lgkmcnt(0)
	s_cmp_ge_i32 s16, s40
	s_cbranch_scc1 .LBB240_18
; %bb.5:
	s_add_i32 s14, s40, 15
	s_load_dwordx2 s[12:13], s[4:5], 0x20
	s_load_dword s9, s[4:5], 0x38
	s_ashr_i32 s15, s14, 31
	v_and_b32_e32 v1, 0xcf, v0
	s_lshr_b32 s15, s15, 28
	v_add_u32_e32 v1, s16, v1
	s_add_i32 s14, s14, s15
	v_ashrrev_i32_e32 v2, 31, v1
	s_ashr_i32 s19, s14, 4
	v_lshrrev_b32_e32 v10, 28, v2
	s_add_i32 s19, s19, -1
	v_add_u32_e32 v2, v1, v10
	s_waitcnt lgkmcnt(0)
	s_mul_i32 s14, s6, s9
	s_mov_b32 s15, 0
	v_ashrrev_i32_e32 v2, 4, v2
	v_mov_b32_e32 v11, s19
	v_cmp_gt_i32_e32 vcc, s40, v1
	s_lshl_b64 s[14:15], s[14:15], 2
	v_cndmask_b32_e32 v2, v11, v2, vcc
	s_add_u32 s17, s12, s14
	v_ashrrev_i32_e32 v3, 31, v2
	s_addc_u32 s18, s13, s15
	v_lshlrev_b64 v[2:3], 2, v[2:3]
	v_mov_b32_e32 v5, s18
	v_add_co_u32_e32 v4, vcc, s17, v2
	v_or_b32_e32 v2, 16, v1
	v_addc_co_u32_e32 v5, vcc, v5, v3, vcc
	v_add_u32_e32 v3, v2, v10
	v_ashrrev_i32_e32 v3, 4, v3
	v_cmp_gt_i32_e32 vcc, s40, v2
	v_cndmask_b32_e32 v2, v11, v3, vcc
	v_ashrrev_i32_e32 v3, 31, v2
	v_lshlrev_b64 v[2:3], 2, v[2:3]
	v_mov_b32_e32 v7, s18
	v_add_co_u32_e32 v6, vcc, s17, v2
	v_or_b32_e32 v2, 32, v1
	v_addc_co_u32_e32 v7, vcc, v7, v3, vcc
	v_add_u32_e32 v3, v2, v10
	v_ashrrev_i32_e32 v3, 4, v3
	v_cmp_gt_i32_e32 vcc, s40, v2
	v_cndmask_b32_e32 v2, v11, v3, vcc
	v_ashrrev_i32_e32 v3, 31, v2
	;; [unrolled: 10-line block ×3, first 2 shown]
	v_lshlrev_b64 v[2:3], 2, v[2:3]
	v_mov_b32_e32 v1, s18
	v_add_co_u32_e32 v10, vcc, s17, v2
	v_addc_co_u32_e32 v11, vcc, v1, v3, vcc
	global_load_dword v3, v[4:5], off
	global_load_dword v2, v[6:7], off
	;; [unrolled: 1-line block ×4, first 2 shown]
	s_load_dwordx4 s[12:15], s[4:5], 0x8
	s_andn2_b64 vcc, exec, s[2:3]
	s_cbranch_vccnz .LBB240_8
; %bb.6:
	s_add_u32 s0, s0, s10
	s_addc_u32 s1, s1, s11
	s_load_dword s9, s[0:1], 0x0
	s_branch .LBB240_9
.LBB240_7:
	s_mov_b64 s[12:13], 0
	s_branch .LBB240_2
.LBB240_8:
	s_mov_b32 s9, s6
.LBB240_9:
	s_load_dwordx4 s[44:47], s[4:5], 0x48
	v_lshrrev_b32_e32 v53, 6, v0
	v_bfe_u32 v1, v0, 4, 2
	v_lshl_or_b32 v4, v53, 2, v1
	v_and_b32_e32 v52, 15, v0
	v_lshlrev_b32_e32 v5, 3, v52
	v_cmp_gt_u32_e32 vcc, 13, v4
	v_cmp_gt_u32_e64 s[0:1], 8, v52
	v_and_b32_e32 v54, 63, v0
	s_mul_i32 s29, s8, 13
	s_and_b64 s[10:11], s[0:1], vcc
	v_lshlrev_b32_e32 v50, 1, v5
	s_and_saveexec_b64 s[2:3], s[10:11]
	s_cbranch_execz .LBB240_11
; %bb.10:
	s_load_dwordx2 s[10:11], s[4:5], 0x0
	s_waitcnt lgkmcnt(0)
	s_ashr_i32 s20, s44, 31
	s_mul_hi_u32 s21, s9, s44
	s_mul_i32 s20, s9, s20
	s_add_i32 s21, s21, s20
	s_mul_i32 s20, s9, s44
	s_lshl_b64 s[20:21], s[20:21], 1
	v_add_lshl_u32 v6, v4, s29, 6
	s_add_u32 s9, s10, s20
	v_ashrrev_i32_e32 v7, 31, v6
	s_addc_u32 s10, s11, s21
	v_lshlrev_b64 v[6:7], 1, v[6:7]
	v_mov_b32_e32 v5, s10
	v_add_co_u32_e32 v6, vcc, s9, v6
	v_addc_co_u32_e32 v5, vcc, v5, v7, vcc
	v_add_co_u32_e32 v6, vcc, v6, v50
	v_addc_co_u32_e32 v7, vcc, 0, v5, vcc
	global_load_dwordx4 v[6:9], v[6:7], off
	v_and_b32_e32 v5, 3, v0
	v_lshlrev_b32_e32 v10, 9, v52
	v_lshlrev_b32_e32 v4, 5, v4
	;; [unrolled: 1-line block ×3, first 2 shown]
	v_and_b32_e32 v10, 0x1800, v10
	v_or3_b32 v4, v10, v5, v4
	s_waitcnt vmcnt(0)
	ds_write_b128 v4, v[6:9]
.LBB240_11:
	s_or_b64 exec, exec, s[2:3]
	s_waitcnt lgkmcnt(0)
	s_mul_i32 s8, s8, s46
	s_mov_b32 s9, 0
	s_lshl_b64 s[8:9], s[8:9], 1
	s_add_u32 s3, s12, s8
	v_lshlrev_b32_e32 v51, 4, v0
	s_addc_u32 s10, s13, s9
	v_and_b32_e32 v4, 0xf0, v51
	v_mov_b32_e32 v5, s10
	v_add_co_u32_e32 v29, vcc, s3, v4
	v_addc_co_u32_e32 v30, vcc, 0, v5, vcc
	s_waitcnt vmcnt(3)
	v_mad_i64_i32 v[4:5], s[10:11], v3, s45, 0
	v_lshlrev_b64 v[4:5], 1, v[4:5]
	v_add_co_u32_e32 v3, vcc, v29, v4
	v_addc_co_u32_e32 v5, vcc, v30, v5, vcc
	v_and_b32_e32 v31, 0x300, v51
	v_add_co_u32_e32 v4, vcc, v3, v31
	v_addc_co_u32_e32 v5, vcc, 0, v5, vcc
	s_load_dword s33, s[4:5], 0x98
	s_load_dword s2, s[4:5], 0x1c
	s_waitcnt lgkmcnt(0)
	s_barrier
	global_load_dwordx4 v[6:9], v[4:5], off
	s_waitcnt vmcnt(3)
	v_mad_i64_i32 v[2:3], s[10:11], v2, s45, 0
	v_lshlrev_b64 v[2:3], 1, v[2:3]
	v_add_co_u32_e32 v2, vcc, v29, v2
	v_addc_co_u32_e32 v3, vcc, v30, v3, vcc
	v_add_co_u32_e32 v2, vcc, v2, v31
	v_addc_co_u32_e32 v3, vcc, 0, v3, vcc
	global_load_dwordx4 v[22:25], v[2:3], off
	global_load_dwordx4 v[10:13], v[4:5], off offset:1024
	global_load_dwordx4 v[14:17], v[2:3], off offset:1024
	v_add_u32_e32 v2, -13, v52
	v_cmp_gt_u32_e32 vcc, 13, v52
	v_cndmask_b32_e32 v2, v2, v52, vcc
	v_lshlrev_b32_e32 v2, 5, v2
	v_lshl_add_u32 v20, v1, 9, v2
	ds_read_b128 v[2:5], v20
	s_waitcnt vmcnt(5)
	v_mad_i64_i32 v[18:19], s[10:11], v18, s45, 0
	v_lshlrev_b64 v[26:27], 1, v[18:19]
	ds_read_b128 v[18:21], v20 offset:2048
	v_and_or_b32 v55, v0, 48, s16
	v_mov_b32_e32 v60, s19
	v_mov_b32_e32 v49, s18
	v_or_b32_e32 v57, 0x80, v55
	v_mov_b32_e32 v56, s18
	v_mov_b32_e32 v61, s18
	s_add_u32 s3, s14, s8
	s_addc_u32 s8, s15, s9
	s_mov_b32 s42, 0xff7fffff
	s_waitcnt vmcnt(2) lgkmcnt(1)
	v_mfma_f32_16x16x16bf16_1k v[36:39], v[22:23], v[2:3], 0
	v_mad_i64_i32 v[22:23], s[10:11], v28, s45, 0
	v_lshlrev_b64 v[44:45], 1, v[22:23]
	v_ashrrev_i32_e32 v22, 4, v55
	v_or_b32_e32 v28, 64, v55
	v_mfma_f32_16x16x16bf16_1k v[32:35], v[6:7], v[2:3], 0
	v_add_co_u32_e32 v6, vcc, v29, v26
	v_addc_co_u32_e32 v7, vcc, v30, v27, vcc
	v_add_co_u32_e32 v26, vcc, v6, v31
	v_addc_co_u32_e32 v27, vcc, 0, v7, vcc
	global_load_dwordx4 v[40:43], v[26:27], off
	v_mfma_f32_16x16x16bf16_1k v[6:9], v[8:9], v[4:5], v[32:35]
	v_cmp_gt_i32_e32 vcc, s40, v55
	v_cndmask_b32_e32 v46, v60, v22, vcc
	v_cmp_gt_i32_e32 vcc, s40, v28
	v_ashrrev_i32_e32 v47, 31, v46
	s_nop 2
	global_load_dwordx4 v[32:35], v[26:27], off offset:1024
	v_mfma_f32_16x16x16bf16_1k v[22:25], v[24:25], v[4:5], v[36:39]
	s_nop 6
	v_ashrrev_i32_e32 v36, 4, v28
	v_cndmask_b32_e32 v48, v60, v36, vcc
	s_waitcnt vmcnt(3) lgkmcnt(0)
	v_mfma_f32_16x16x16bf16_1k v[6:9], v[10:11], v[18:19], v[6:9]
	v_add_co_u32_e32 v10, vcc, v29, v44
	v_addc_co_u32_e32 v11, vcc, v30, v45, vcc
	v_add_co_u32_e32 v10, vcc, v10, v31
	v_addc_co_u32_e32 v11, vcc, 0, v11, vcc
	v_lshlrev_b64 v[36:37], 2, v[46:47]
	global_load_dwordx4 v[26:29], v[10:11], off
	s_waitcnt vmcnt(3)
	v_mfma_f32_16x16x16bf16_1k v[22:25], v[14:15], v[18:19], v[22:25]
	v_add_co_u32_e32 v14, vcc, s17, v36
	v_addc_co_u32_e32 v15, vcc, v49, v37, vcc
	global_load_dword v44, v[14:15], off
	v_ashrrev_i32_e32 v38, 4, v57
	v_cmp_gt_i32_e32 vcc, s40, v57
	v_ashrrev_i32_e32 v49, 31, v48
	v_cndmask_b32_e32 v14, v60, v38, vcc
	v_mfma_f32_16x16x16bf16_1k v[36:39], v[12:13], v[20:21], v[6:9]
	v_ashrrev_i32_e32 v15, 31, v14
	v_mov_b32_e32 v12, s18
	s_nop 4
	v_lshlrev_b64 v[6:7], 2, v[48:49]
	v_add_co_u32_e32 v6, vcc, s17, v6
	v_addc_co_u32_e32 v7, vcc, v56, v7, vcc
	global_load_dwordx4 v[56:59], v[10:11], off offset:1024
	global_load_dword v45, v[6:7], off
	v_lshlrev_b64 v[6:7], 2, v[14:15]
	v_add_co_u32_e32 v10, vcc, s17, v6
	v_addc_co_u32_e32 v11, vcc, v61, v7, vcc
	s_waitcnt vmcnt(5)
	v_mfma_f32_16x16x16bf16_1k v[6:9], v[40:41], v[2:3], 0
	global_load_dword v40, v[10:11], off
	v_or_b32_e32 v10, 0xc0, v55
	v_ashrrev_i32_e32 v11, 4, v10
	v_cmp_gt_i32_e32 vcc, s40, v10
	v_cndmask_b32_e32 v10, v60, v11, vcc
	v_ashrrev_i32_e32 v11, 31, v10
	v_lshlrev_b64 v[10:11], 2, v[10:11]
	v_mfma_f32_16x16x16bf16_1k v[6:9], v[42:43], v[4:5], v[6:9]
	v_add_co_u32_e32 v10, vcc, s17, v10
	v_addc_co_u32_e32 v11, vcc, v12, v11, vcc
	global_load_dword v60, v[10:11], off
	v_lshlrev_b32_e32 v55, 5, v52
	v_lshl_or_b32 v10, v53, 9, v55
	s_waitcnt vmcnt(6)
	v_mfma_f32_16x16x16bf16_1k v[6:9], v[32:33], v[18:19], v[6:9]
	v_mov_b32_e32 v11, s8
	v_add_co_u32_e32 v61, vcc, s3, v10
	v_addc_co_u32_e32 v62, vcc, 0, v11, vcc
	v_pk_mul_f32 v[46:47], s[2:3], v[38:39] op_sel_hi:[0,1]
	v_mfma_f32_16x16x16bf16_1k v[30:33], v[34:35], v[20:21], v[6:9]
	s_waitcnt vmcnt(1)
	v_mad_i64_i32 v[34:35], s[8:9], v40, s45, 0
	s_nop 4
	v_mad_i64_i32 v[6:7], s[8:9], v44, s45, 0
	v_lshlrev_b64 v[10:11], 1, v[6:7]
	v_mfma_f32_16x16x16bf16_1k v[6:9], v[26:27], v[2:3], 0
	v_add_co_u32_e32 v2, vcc, v61, v10
	v_addc_co_u32_e32 v3, vcc, v62, v11, vcc
	v_lshlrev_b64 v[34:35], 1, v[34:35]
	v_pk_mul_f32 v[42:43], s[2:3], v[30:31] op_sel_hi:[0,1]
	v_mfma_f32_16x16x16bf16_1k v[26:29], v[28:29], v[4:5], v[6:9]
	v_mfma_f32_16x16x16bf16_1k v[22:25], v[16:17], v[20:21], v[22:25]
	global_load_dwordx4 v[14:17], v[2:3], off
	global_load_dwordx4 v[10:13], v[2:3], off offset:16
	v_mad_i64_i32 v[2:3], s[8:9], v45, s45, 0
	v_lshlrev_b64 v[2:3], 1, v[2:3]
	v_add_co_u32_e32 v2, vcc, v61, v2
	v_addc_co_u32_e32 v3, vcc, v62, v3, vcc
	v_mfma_f32_16x16x16bf16_1k v[26:29], v[56:57], v[18:19], v[26:29]
	s_nop 3
	v_pk_mul_f32 v[38:39], s[2:3], v[22:23] op_sel_hi:[0,1]
	v_add_co_u32_e32 v56, vcc, v61, v34
	v_addc_co_u32_e32 v57, vcc, v62, v35, vcc
	v_pk_mul_f32 v[18:19], s[2:3], v[36:37] op_sel_hi:[0,1]
	v_pk_mul_f32 v[48:49], s[2:3], v[24:25] op_sel_hi:[0,1]
	v_mfma_f32_16x16x16bf16_1k v[20:23], v[58:59], v[20:21], v[26:29]
	v_pk_mul_f32 v[44:45], s[2:3], v[32:33] op_sel_hi:[0,1]
	global_load_dwordx4 v[6:9], v[2:3], off
	s_nop 0
	global_load_dwordx4 v[2:5], v[2:3], off offset:16
	s_nop 6
	v_pk_mul_f32 v[40:41], s[2:3], v[20:21] op_sel_hi:[0,1]
	v_and_b32_e32 v20, 0xc0, v0
	v_add_u32_e32 v20, s16, v20
	v_lshl_or_b32 v20, v1, 2, v20
	v_pk_mul_f32 v[34:35], s[2:3], v[22:23] op_sel_hi:[0,1]
	v_or_b32_e32 v23, 1, v20
	v_mov_b32_e32 v21, 0xff7fffff
	v_cmp_gt_i32_e64 s[30:31], s40, v20
	v_cmp_gt_i32_e64 s[34:35], s40, v23
	v_cndmask_b32_e64 v22, v21, v18, s[30:31]
	v_cndmask_b32_e64 v23, v21, v19, s[34:35]
	v_max3_f32 v22, v22, s42, v23
	v_or_b32_e32 v23, 2, v20
	v_or_b32_e32 v24, 3, v20
	v_cmp_gt_i32_e64 s[36:37], s40, v23
	v_cmp_gt_i32_e64 s[38:39], s40, v24
	v_cndmask_b32_e64 v23, v21, v46, s[36:37]
	v_cndmask_b32_e64 v24, v21, v47, s[38:39]
	v_max3_f32 v22, v22, v23, v24
	v_or_b32_e32 v23, 16, v20
	v_or_b32_e32 v24, 17, v20
	;; [unrolled: 7-line block ×7, first 2 shown]
	v_cmp_gt_i32_e32 vcc, s40, v23
	v_cmp_gt_i32_e64 s[2:3], s40, v20
	v_cndmask_b32_e32 v23, v21, v34, vcc
	v_cndmask_b32_e64 v20, v21, v35, s[2:3]
	v_max3_f32 v26, v22, v23, v20
	v_mbcnt_lo_u32_b32 v20, -1, 0
	v_mbcnt_hi_u32_b32 v27, -1, v20
	v_and_b32_e32 v20, 64, v27
	v_add_u32_e32 v28, 64, v20
	v_xor_b32_e32 v20, 32, v27
	v_cmp_lt_i32_e64 s[40:41], v20, v28
	v_cndmask_b32_e64 v20, v27, v20, s[40:41]
	v_lshlrev_b32_e32 v58, 2, v20
	ds_bpermute_b32 v29, v58, v26
	s_waitcnt vmcnt(4)
	v_mad_i64_i32 v[20:21], s[40:41], v60, s45, 0
	global_load_dwordx4 v[30:33], v[56:57], off
	global_load_dwordx4 v[22:25], v[56:57], off offset:16
	v_lshlrev_b64 v[20:21], 1, v[20:21]
	s_waitcnt lgkmcnt(0)
	v_max_f32_e32 v29, v29, v29
	v_max_f32_e32 v26, v26, v29
	v_xor_b32_e32 v29, 16, v27
	v_cmp_lt_i32_e64 s[40:41], v29, v28
	v_cndmask_b32_e64 v27, v27, v29, s[40:41]
	v_lshlrev_b32_e32 v57, 2, v27
	ds_bpermute_b32 v27, v57, v26
	v_add_co_u32_e64 v20, s[40:41], v61, v20
	v_addc_co_u32_e64 v21, s[40:41], v62, v21, s[40:41]
	s_waitcnt lgkmcnt(0)
	v_max_f32_e32 v27, v27, v27
	v_max_f32_e32 v56, v26, v27
	v_sub_f32_e32 v18, v18, v56
	v_mul_f32_e32 v18, 0x3fb8aa3b, v18
	v_exp_f32_e32 v36, v18
	v_sub_f32_e32 v18, v19, v56
	v_mul_f32_e32 v18, 0x3fb8aa3b, v18
	v_exp_f32_e32 v37, v18
	global_load_dwordx4 v[26:29], v[20:21], off
	s_nop 0
	global_load_dwordx4 v[18:21], v[20:21], off offset:16
	v_sub_f32_e32 v46, v46, v56
	v_mul_f32_e32 v46, 0x3fb8aa3b, v46
	v_sub_f32_e32 v47, v47, v56
	v_exp_f32_e32 v46, v46
	v_mul_f32_e32 v47, 0x3fb8aa3b, v47
	v_sub_f32_e32 v38, v38, v56
	v_exp_f32_e32 v47, v47
	v_mul_f32_e32 v38, 0x3fb8aa3b, v38
	v_sub_f32_e32 v39, v39, v56
	v_cndmask_b32_e64 v36, 0, v36, s[30:31]
	v_exp_f32_e32 v38, v38
	v_mul_f32_e32 v39, 0x3fb8aa3b, v39
	v_sub_f32_e32 v48, v48, v56
	v_add_f32_e32 v59, 0, v36
	v_cndmask_b32_e64 v37, 0, v37, s[34:35]
	v_exp_f32_e32 v39, v39
	v_mul_f32_e32 v48, 0x3fb8aa3b, v48
	v_sub_f32_e32 v49, v49, v56
	v_add_f32_e32 v59, v59, v37
	;; [unrolled: 5-line block ×10, first 2 shown]
	v_cndmask_b32_e64 v44, 0, v44, s[12:13]
	v_exp_f32_e32 v34, v34
	v_mul_f32_e32 v35, 0x3fb8aa3b, v35
	v_add_f32_e32 v59, v59, v44
	v_cndmask_b32_e64 v45, 0, v45, s[14:15]
	v_exp_f32_e32 v35, v35
	v_add_f32_e32 v59, v59, v45
	v_cndmask_b32_e64 v40, 0, v40, s[8:9]
	v_add_f32_e32 v59, v59, v40
	v_cndmask_b32_e64 v41, 0, v41, s[10:11]
	v_add_f32_e32 v59, v59, v41
	v_cndmask_b32_e32 v34, 0, v34, vcc
	v_add_f32_e32 v59, v59, v34
	v_cndmask_b32_e64 v35, 0, v35, s[2:3]
	v_add_f32_e32 v59, v59, v35
	ds_bpermute_b32 v58, v58, v59
	v_cmp_gt_u32_e64 s[2:3], 16, v54
	s_waitcnt lgkmcnt(0)
	s_barrier
	v_add_f32_e32 v58, v59, v58
	ds_bpermute_b32 v59, v57, v58
	v_lshlrev_b32_e32 v57, 2, v52
	s_and_saveexec_b64 s[8:9], s[2:3]
	s_cbranch_execz .LBB240_13
; %bb.12:
	s_waitcnt lgkmcnt(0)
	v_add_f32_e32 v54, v58, v59
	v_lshl_or_b32 v58, v53, 6, v57
	ds_write2st64_b32 v58, v56, v54 offset1:1
.LBB240_13:
	s_or_b64 exec, exec, s[8:9]
	s_load_dword s10, s[4:5], 0x94
	s_waitcnt lgkmcnt(0)
	s_barrier
	ds_read2_b32 v[58:59], v57 offset1:16
	ds_read2_b32 v[60:61], v57 offset0:32 offset1:48
	ds_read2_b32 v[62:63], v57 offset0:64 offset1:80
	s_movk_i32 s12, 0x7fff
	s_mov_b32 s13, 0x7060302
	s_waitcnt lgkmcnt(2)
	v_max3_f32 v54, v58, s42, v59
	s_waitcnt lgkmcnt(1)
	v_max3_f32 v54, v54, v60, v61
	v_sub_f32_e32 v56, v58, v54
	v_mul_f32_e32 v56, 0x3fb8aa3b, v56
	v_exp_f32_e32 v64, v56
	v_sub_f32_e32 v56, v59, v54
	v_mul_f32_e32 v56, 0x3fb8aa3b, v56
	v_exp_f32_e32 v65, v56
	;; [unrolled: 3-line block ×3, first 2 shown]
	ds_read2_b32 v[58:59], v57 offset0:96 offset1:112
	v_sub_f32_e32 v56, v61, v54
	v_mul_f32_e32 v56, 0x3fb8aa3b, v56
	v_exp_f32_e32 v57, v56
	s_waitcnt lgkmcnt(1)
	v_fma_f32 v56, v64, v62, 0
	v_fmac_f32_e32 v56, v65, v63
	s_waitcnt lgkmcnt(0)
	v_fmac_f32_e32 v56, v60, v58
	v_fmac_f32_e32 v56, v57, v59
	v_add_f32_e32 v58, 0x358637bd, v56
	v_div_scale_f32 v59, s[8:9], v58, v58, 1.0
	v_rcp_f32_e32 v61, v59
	s_barrier
	v_fma_f32 v62, -v59, v61, 1.0
	v_fmac_f32_e32 v61, v62, v61
	v_div_scale_f32 v62, vcc, 1.0, v58, 1.0
	v_mul_f32_e32 v63, v62, v61
	v_fma_f32 v66, -v59, v63, v62
	v_fmac_f32_e32 v63, v66, v61
	v_fma_f32 v59, -v59, v63, v62
	v_div_fmas_f32 v59, v59, v61, v63
	v_cmp_eq_u32_e32 vcc, 1, v53
	v_div_fixup_f32 v58, v59, v58, 1.0
	v_cndmask_b32_e32 v59, v64, v65, vcc
	v_cmp_eq_u32_e32 vcc, 2, v53
	v_cndmask_b32_e32 v59, v59, v60, vcc
	v_cmp_eq_u32_e32 vcc, 3, v53
	v_cndmask_b32_e32 v57, v59, v57, vcc
	v_mul_f32_e32 v58, v57, v58
	v_pk_mul_f32 v[36:37], v[58:59], v[36:37] op_sel_hi:[0,1]
	v_pk_mul_f32 v[46:47], v[58:59], v[46:47] op_sel_hi:[0,1]
	v_bfe_u32 v57, v37, 16, 1
	v_bfe_u32 v59, v36, 16, 1
	v_add3_u32 v36, v36, v59, s12
	v_add3_u32 v37, v37, v57, s12
	v_perm_b32 v60, v37, v36, s13
	v_bfe_u32 v36, v47, 16, 1
	v_bfe_u32 v37, v46, 16, 1
	v_add3_u32 v37, v46, v37, s12
	v_add3_u32 v36, v47, v36, s12
	v_perm_b32 v61, v36, v37, s13
	v_lshlrev_b32_e32 v36, 3, v1
	v_lshlrev_b32_e32 v37, 11, v53
	v_pk_mul_f32 v[38:39], v[58:59], v[38:39] op_sel_hi:[0,1]
	v_or3_b32 v36, v37, v55, v36
	v_pk_mul_f32 v[46:47], v[58:59], v[48:49] op_sel_hi:[0,1]
	v_bfe_u32 v37, v39, 16, 1
	v_bfe_u32 v48, v38, 16, 1
	v_add3_u32 v38, v38, v48, s12
	v_add3_u32 v37, v39, v37, s12
	v_perm_b32 v38, v37, v38, s13
	v_bfe_u32 v37, v47, 16, 1
	v_bfe_u32 v39, v46, 16, 1
	v_add3_u32 v39, v46, v39, s12
	v_add3_u32 v37, v47, v37, s12
	v_perm_b32 v39, v37, v39, s13
	v_pk_mul_f32 v[42:43], v[58:59], v[42:43] op_sel_hi:[0,1]
	ds_write2st64_b64 v36, v[60:61], v[38:39] offset1:1
	v_pk_mul_f32 v[38:39], v[58:59], v[44:45] op_sel_hi:[0,1]
	v_bfe_u32 v37, v43, 16, 1
	v_bfe_u32 v44, v42, 16, 1
	v_add3_u32 v42, v42, v44, s12
	v_add3_u32 v37, v43, v37, s12
	v_perm_b32 v42, v37, v42, s13
	v_bfe_u32 v37, v39, 16, 1
	v_bfe_u32 v43, v38, 16, 1
	v_add3_u32 v38, v38, v43, s12
	v_add3_u32 v37, v39, v37, s12
	v_perm_b32 v43, v37, v38, s13
	v_pk_mul_f32 v[38:39], v[58:59], v[40:41] op_sel_hi:[0,1]
	v_bfe_u32 v37, v39, 16, 1
	v_bfe_u32 v40, v38, 16, 1
	v_pk_mul_f32 v[34:35], v[58:59], v[34:35] op_sel_hi:[0,1]
	v_add3_u32 v38, v38, v40, s12
	v_add3_u32 v37, v39, v37, s12
	v_perm_b32 v38, v37, v38, s13
	v_bfe_u32 v37, v35, 16, 1
	v_bfe_u32 v39, v34, 16, 1
	v_add3_u32 v34, v34, v39, s12
	v_add3_u32 v35, v35, v37, s12
	s_mul_i32 s11, s33, 13
	v_perm_b32 v39, v35, v34, s13
	v_cmp_gt_u32_e32 vcc, 13, v0
	ds_write2st64_b64 v36, v[42:43], v[38:39] offset0:2 offset1:3
	s_and_saveexec_b64 s[8:9], vcc
	s_cbranch_execz .LBB240_15
; %bb.14:
	v_add_co_u32_e32 v38, vcc, s29, v52
	v_addc_co_u32_e64 v39, s[14:15], 0, 0, vcc
	v_mov_b32_e32 v34, s11
	v_mov_b32_e32 v35, 0
	v_mad_u64_u32 v[38:39], s[14:15], s6, v34, v[38:39]
	v_mov_b32_e32 v34, s28
	s_load_dwordx4 s[16:19], s[4:5], 0x58
	s_mul_i32 s7, s7, s11
	v_mad_u64_u32 v[34:35], s[14:15], v38, s10, v[34:35]
	v_add_u32_e32 v37, s7, v39
	v_mov_b32_e32 v38, v35
	v_mad_u64_u32 v[38:39], s[14:15], v37, s10, v[38:39]
	v_mov_b32_e32 v35, v38
	v_lshlrev_b64 v[34:35], 2, v[34:35]
	s_waitcnt lgkmcnt(0)
	v_mov_b32_e32 v37, s19
	v_add_co_u32_e32 v38, vcc, s18, v34
	v_addc_co_u32_e32 v39, vcc, v37, v35, vcc
	v_mov_b32_e32 v37, s17
	v_add_co_u32_e32 v34, vcc, s16, v34
	v_addc_co_u32_e32 v35, vcc, v37, v35, vcc
	global_store_dword v[38:39], v54, off
	global_store_dword v[34:35], v56, off
.LBB240_15:
	s_or_b64 exec, exec, s[8:9]
	v_lshl_or_b32 v34, v1, 9, v55
	s_waitcnt lgkmcnt(0)
	s_barrier
	ds_read_b128 v[38:41], v34
	ds_read_b128 v[42:45], v34 offset:16
	s_waitcnt vmcnt(7) lgkmcnt(1)
	v_mfma_f32_16x16x16bf16_1k v[46:49], v[14:15], v[38:39], 0
	v_cmp_gt_u32_e32 vcc, 64, v0
	s_mov_b32 s7, 0
	s_and_b64 s[0:1], vcc, s[0:1]
	v_mfma_f32_16x16x16bf16_1k v[14:17], v[16:17], v[40:41], v[46:49]
	s_waitcnt vmcnt(6) lgkmcnt(0)
	v_mfma_f32_16x16x16bf16_1k v[14:17], v[10:11], v[42:43], v[14:17]
	v_mfma_f32_16x16x16bf16_1k v[10:13], v[12:13], v[44:45], v[14:17]
	s_nop 7
	s_nop 1
	ds_read_b128 v[14:17], v34 offset:2048
	ds_read_b128 v[38:41], v34 offset:2064
	s_waitcnt vmcnt(5) lgkmcnt(1)
	v_mfma_f32_16x16x16bf16_1k v[10:13], v[6:7], v[14:15], v[10:13]
	v_mfma_f32_16x16x16bf16_1k v[6:9], v[8:9], v[16:17], v[10:13]
	s_waitcnt vmcnt(4) lgkmcnt(0)
	v_mfma_f32_16x16x16bf16_1k v[6:9], v[2:3], v[38:39], v[6:9]
	v_mfma_f32_16x16x16bf16_1k v[2:5], v[4:5], v[40:41], v[6:9]
	s_nop 7
	s_nop 1
	ds_read_b128 v[6:9], v34 offset:4096
	ds_read_b128 v[10:13], v34 offset:4112
	s_waitcnt vmcnt(3) lgkmcnt(1)
	v_mfma_f32_16x16x16bf16_1k v[2:5], v[30:31], v[6:7], v[2:5]
	v_mfma_f32_16x16x16bf16_1k v[2:5], v[32:33], v[8:9], v[2:5]
	s_waitcnt vmcnt(2) lgkmcnt(0)
	v_mfma_f32_16x16x16bf16_1k v[2:5], v[22:23], v[10:11], v[2:5]
	v_mfma_f32_16x16x16bf16_1k v[2:5], v[24:25], v[12:13], v[2:5]
	ds_read_b128 v[6:9], v34 offset:6144
	ds_read_b128 v[10:13], v34 offset:6160
	s_waitcnt lgkmcnt(0)
	s_barrier
	s_waitcnt vmcnt(1)
	v_mfma_f32_16x16x16bf16_1k v[2:5], v[26:27], v[6:7], v[2:5]
	v_mfma_f32_16x16x16bf16_1k v[2:5], v[28:29], v[8:9], v[2:5]
	s_waitcnt vmcnt(0)
	v_mfma_f32_16x16x16bf16_1k v[2:5], v[18:19], v[10:11], v[2:5]
	v_mfma_f32_16x16x16bf16_1k v[2:5], v[20:21], v[12:13], v[2:5]
	s_nop 7
	s_nop 2
	v_bfe_u32 v6, v3, 16, 1
	v_bfe_u32 v7, v2, 16, 1
	;; [unrolled: 1-line block ×4, first 2 shown]
	v_add3_u32 v2, v2, v7, s12
	v_add3_u32 v3, v3, v6, s12
	;; [unrolled: 1-line block ×4, first 2 shown]
	v_perm_b32 v2, v3, v2, s13
	v_perm_b32 v3, v5, v4, s13
	ds_write_b64 v36, v[2:3]
	s_waitcnt lgkmcnt(0)
	s_barrier
	s_and_saveexec_b64 s[8:9], s[0:1]
	s_cbranch_execz .LBB240_18
; %bb.16:
	s_load_dwordx2 s[4:5], s[4:5], 0x68
	s_lshl_b32 s0, s10, 6
	s_mul_i32 s1, s11, s6
	s_mul_hi_u32 s9, s1, s0
	s_mul_i32 s8, s1, s0
	s_lshl_b64 s[8:9], s[8:9], 1
	s_waitcnt lgkmcnt(0)
	s_add_u32 s1, s4, s8
	v_lshlrev_b32_e32 v0, 10, v0
	s_addc_u32 s8, s5, s9
	s_lshl_b32 s6, s28, 6
	v_and_b32_e32 v0, 0x1800, v0
	v_lshlrev_b32_e32 v2, 5, v1
	v_and_b32_e32 v3, 16, v51
	s_lshl_b64 s[4:5], s[6:7], 1
	v_or3_b32 v0, v0, v2, v3
	s_add_u32 s1, s1, s4
	ds_read_b128 v[4:7], v0 offset:256
	s_addc_u32 s4, s8, s5
	ds_read_b128 v[8:11], v0 offset:128
	ds_read_b128 v[12:15], v0
	v_add_u32_e32 v18, s29, v1
	v_mov_b32_e32 v3, s4
	v_add_co_u32_e32 v2, vcc, s1, v50
	v_mad_u64_u32 v[16:17], s[4:5], v18, s0, 0
	v_addc_co_u32_e32 v3, vcc, 0, v3, vcc
	v_lshlrev_b64 v[16:17], 1, v[16:17]
	v_add_co_u32_e32 v16, vcc, v2, v16
	v_addc_co_u32_e32 v17, vcc, v3, v17, vcc
	s_waitcnt lgkmcnt(0)
	global_store_dwordx4 v[16:17], v[12:15], off
	s_nop 0
	v_add_u32_e32 v12, 4, v18
	v_mad_u64_u32 v[12:13], s[4:5], v12, s0, 0
	v_lshlrev_b64 v[12:13], 1, v[12:13]
	v_add_co_u32_e32 v12, vcc, v2, v12
	v_addc_co_u32_e32 v13, vcc, v3, v13, vcc
	global_store_dwordx4 v[12:13], v[8:11], off
	s_nop 0
	v_add_u32_e32 v8, 8, v18
	v_mad_u64_u32 v[8:9], s[4:5], v8, s0, 0
	v_lshlrev_b64 v[8:9], 1, v[8:9]
	v_add_co_u32_e32 v8, vcc, v2, v8
	v_addc_co_u32_e32 v9, vcc, v3, v9, vcc
	global_store_dwordx4 v[8:9], v[4:7], off
	s_and_b64 exec, exec, s[2:3]
	s_cbranch_execz .LBB240_18
; %bb.17:
	ds_read_b128 v[4:7], v0 offset:384
	v_add3_u32 v0, s29, v1, 12
	v_mad_u64_u32 v[0:1], s[0:1], v0, s0, 0
	v_lshlrev_b64 v[0:1], 1, v[0:1]
	v_add_co_u32_e32 v0, vcc, v2, v0
	v_addc_co_u32_e32 v1, vcc, v3, v1, vcc
	s_waitcnt lgkmcnt(0)
	global_store_dwordx4 v[0:1], v[4:7], off
.LBB240_18:
	s_endpgm
	.section	.rodata,"a",@progbits
	.p2align	6, 0x0
	.amdhsa_kernel _Z39paged_attention_ll4mi_QKV_mfma16_kernelI14__hip_bfloat16S0_LN4vllm18Fp8KVCacheDataTypeE0ES0_Li16ELi64ELi256ELb0ELi13EL8MFMAType0EEvPKT_PKT0_S9_ifPKiSB_SB_iPKfiiiPfSE_PS4_PT2_iSD_SD_
		.amdhsa_group_segment_fixed_size 8192
		.amdhsa_private_segment_fixed_size 0
		.amdhsa_kernarg_size 400
		.amdhsa_user_sgpr_count 6
		.amdhsa_user_sgpr_private_segment_buffer 1
		.amdhsa_user_sgpr_dispatch_ptr 0
		.amdhsa_user_sgpr_queue_ptr 0
		.amdhsa_user_sgpr_kernarg_segment_ptr 1
		.amdhsa_user_sgpr_dispatch_id 0
		.amdhsa_user_sgpr_flat_scratch_init 0
		.amdhsa_user_sgpr_kernarg_preload_length 0
		.amdhsa_user_sgpr_kernarg_preload_offset 0
		.amdhsa_user_sgpr_private_segment_size 0
		.amdhsa_uses_dynamic_stack 0
		.amdhsa_system_sgpr_private_segment_wavefront_offset 0
		.amdhsa_system_sgpr_workgroup_id_x 1
		.amdhsa_system_sgpr_workgroup_id_y 1
		.amdhsa_system_sgpr_workgroup_id_z 1
		.amdhsa_system_sgpr_workgroup_info 0
		.amdhsa_system_vgpr_workitem_id 0
		.amdhsa_next_free_vgpr 67
		.amdhsa_next_free_sgpr 48
		.amdhsa_accum_offset 68
		.amdhsa_reserve_vcc 1
		.amdhsa_reserve_flat_scratch 0
		.amdhsa_float_round_mode_32 0
		.amdhsa_float_round_mode_16_64 0
		.amdhsa_float_denorm_mode_32 3
		.amdhsa_float_denorm_mode_16_64 3
		.amdhsa_dx10_clamp 1
		.amdhsa_ieee_mode 1
		.amdhsa_fp16_overflow 0
		.amdhsa_tg_split 0
		.amdhsa_exception_fp_ieee_invalid_op 0
		.amdhsa_exception_fp_denorm_src 0
		.amdhsa_exception_fp_ieee_div_zero 0
		.amdhsa_exception_fp_ieee_overflow 0
		.amdhsa_exception_fp_ieee_underflow 0
		.amdhsa_exception_fp_ieee_inexact 0
		.amdhsa_exception_int_div_zero 0
	.end_amdhsa_kernel
	.section	.text._Z39paged_attention_ll4mi_QKV_mfma16_kernelI14__hip_bfloat16S0_LN4vllm18Fp8KVCacheDataTypeE0ES0_Li16ELi64ELi256ELb0ELi13EL8MFMAType0EEvPKT_PKT0_S9_ifPKiSB_SB_iPKfiiiPfSE_PS4_PT2_iSD_SD_,"axG",@progbits,_Z39paged_attention_ll4mi_QKV_mfma16_kernelI14__hip_bfloat16S0_LN4vllm18Fp8KVCacheDataTypeE0ES0_Li16ELi64ELi256ELb0ELi13EL8MFMAType0EEvPKT_PKT0_S9_ifPKiSB_SB_iPKfiiiPfSE_PS4_PT2_iSD_SD_,comdat
.Lfunc_end240:
	.size	_Z39paged_attention_ll4mi_QKV_mfma16_kernelI14__hip_bfloat16S0_LN4vllm18Fp8KVCacheDataTypeE0ES0_Li16ELi64ELi256ELb0ELi13EL8MFMAType0EEvPKT_PKT0_S9_ifPKiSB_SB_iPKfiiiPfSE_PS4_PT2_iSD_SD_, .Lfunc_end240-_Z39paged_attention_ll4mi_QKV_mfma16_kernelI14__hip_bfloat16S0_LN4vllm18Fp8KVCacheDataTypeE0ES0_Li16ELi64ELi256ELb0ELi13EL8MFMAType0EEvPKT_PKT0_S9_ifPKiSB_SB_iPKfiiiPfSE_PS4_PT2_iSD_SD_
                                        ; -- End function
	.section	.AMDGPU.csdata,"",@progbits
; Kernel info:
; codeLenInByte = 4292
; NumSgprs: 52
; NumVgprs: 67
; NumAgprs: 0
; TotalNumVgprs: 67
; ScratchSize: 0
; MemoryBound: 0
; FloatMode: 240
; IeeeMode: 1
; LDSByteSize: 8192 bytes/workgroup (compile time only)
; SGPRBlocks: 6
; VGPRBlocks: 8
; NumSGPRsForWavesPerEU: 52
; NumVGPRsForWavesPerEU: 67
; AccumOffset: 68
; Occupancy: 7
; WaveLimiterHint : 1
; COMPUTE_PGM_RSRC2:SCRATCH_EN: 0
; COMPUTE_PGM_RSRC2:USER_SGPR: 6
; COMPUTE_PGM_RSRC2:TRAP_HANDLER: 0
; COMPUTE_PGM_RSRC2:TGID_X_EN: 1
; COMPUTE_PGM_RSRC2:TGID_Y_EN: 1
; COMPUTE_PGM_RSRC2:TGID_Z_EN: 1
; COMPUTE_PGM_RSRC2:TIDIG_COMP_CNT: 0
; COMPUTE_PGM_RSRC3_GFX90A:ACCUM_OFFSET: 16
; COMPUTE_PGM_RSRC3_GFX90A:TG_SPLIT: 0
	.section	.text._Z39paged_attention_ll4mi_QKV_mfma16_kernelI14__hip_bfloat16S0_LN4vllm18Fp8KVCacheDataTypeE0ES0_Li16ELi64ELi256ELb0ELi14EL8MFMAType0EEvPKT_PKT0_S9_ifPKiSB_SB_iPKfiiiPfSE_PS4_PT2_iSD_SD_,"axG",@progbits,_Z39paged_attention_ll4mi_QKV_mfma16_kernelI14__hip_bfloat16S0_LN4vllm18Fp8KVCacheDataTypeE0ES0_Li16ELi64ELi256ELb0ELi14EL8MFMAType0EEvPKT_PKT0_S9_ifPKiSB_SB_iPKfiiiPfSE_PS4_PT2_iSD_SD_,comdat
	.protected	_Z39paged_attention_ll4mi_QKV_mfma16_kernelI14__hip_bfloat16S0_LN4vllm18Fp8KVCacheDataTypeE0ES0_Li16ELi64ELi256ELb0ELi14EL8MFMAType0EEvPKT_PKT0_S9_ifPKiSB_SB_iPKfiiiPfSE_PS4_PT2_iSD_SD_ ; -- Begin function _Z39paged_attention_ll4mi_QKV_mfma16_kernelI14__hip_bfloat16S0_LN4vllm18Fp8KVCacheDataTypeE0ES0_Li16ELi64ELi256ELb0ELi14EL8MFMAType0EEvPKT_PKT0_S9_ifPKiSB_SB_iPKfiiiPfSE_PS4_PT2_iSD_SD_
	.globl	_Z39paged_attention_ll4mi_QKV_mfma16_kernelI14__hip_bfloat16S0_LN4vllm18Fp8KVCacheDataTypeE0ES0_Li16ELi64ELi256ELb0ELi14EL8MFMAType0EEvPKT_PKT0_S9_ifPKiSB_SB_iPKfiiiPfSE_PS4_PT2_iSD_SD_
	.p2align	8
	.type	_Z39paged_attention_ll4mi_QKV_mfma16_kernelI14__hip_bfloat16S0_LN4vllm18Fp8KVCacheDataTypeE0ES0_Li16ELi64ELi256ELb0ELi14EL8MFMAType0EEvPKT_PKT0_S9_ifPKiSB_SB_iPKfiiiPfSE_PS4_PT2_iSD_SD_,@function
_Z39paged_attention_ll4mi_QKV_mfma16_kernelI14__hip_bfloat16S0_LN4vllm18Fp8KVCacheDataTypeE0ES0_Li16ELi64ELi256ELb0ELi14EL8MFMAType0EEvPKT_PKT0_S9_ifPKiSB_SB_iPKfiiiPfSE_PS4_PT2_iSD_SD_: ; @_Z39paged_attention_ll4mi_QKV_mfma16_kernelI14__hip_bfloat16S0_LN4vllm18Fp8KVCacheDataTypeE0ES0_Li16ELi64ELi256ELb0ELi14EL8MFMAType0EEvPKT_PKT0_S9_ifPKiSB_SB_iPKfiiiPfSE_PS4_PT2_iSD_SD_
; %bb.0:
	s_load_dwordx2 s[0:1], s[4:5], 0x30
	s_mov_b32 s28, s7
	s_mov_b64 s[10:11], 0
	s_waitcnt lgkmcnt(0)
	s_cmp_lg_u64 s[0:1], 0
	s_cselect_b64 s[2:3], -1, 0
	s_and_b64 vcc, exec, s[2:3]
	s_cbranch_vccz .LBB241_7
; %bb.1:
	s_add_i32 s12, s6, 1
	s_mov_b32 s13, 0
	s_lshl_b64 s[14:15], s[12:13], 2
	s_add_u32 s14, s0, s14
	s_mov_b32 s7, s13
	s_addc_u32 s15, s1, s15
	s_lshl_b64 s[12:13], s[6:7], 2
	s_add_u32 s12, s0, s12
	s_addc_u32 s13, s1, s13
	s_load_dword s9, s[14:15], 0x0
	s_load_dword s16, s[12:13], 0x0
	s_waitcnt lgkmcnt(0)
	s_sub_i32 s9, s9, s16
	s_cmp_eq_u32 s9, 1
	s_cselect_b64 s[12:13], -1, 0
	s_andn2_b64 vcc, exec, s[10:11]
	s_cbranch_vccnz .LBB241_3
.LBB241_2:
	s_mov_b32 s7, 0
	s_mov_b64 s[12:13], -1
.LBB241_3:
	s_andn2_b64 vcc, exec, s[12:13]
	s_cbranch_vccnz .LBB241_18
; %bb.4:
	s_load_dwordx2 s[12:13], s[4:5], 0x28
	s_lshl_b64 s[10:11], s[6:7], 2
	s_waitcnt lgkmcnt(0)
	s_add_u32 s12, s12, s10
	s_addc_u32 s13, s13, s11
	s_load_dword s40, s[12:13], 0x0
	s_lshl_b32 s16, s28, 8
	s_waitcnt lgkmcnt(0)
	s_cmp_ge_i32 s16, s40
	s_cbranch_scc1 .LBB241_18
; %bb.5:
	s_add_i32 s14, s40, 15
	s_load_dwordx2 s[12:13], s[4:5], 0x20
	s_load_dword s9, s[4:5], 0x38
	s_ashr_i32 s15, s14, 31
	v_and_b32_e32 v1, 0xcf, v0
	s_lshr_b32 s15, s15, 28
	v_add_u32_e32 v1, s16, v1
	s_add_i32 s14, s14, s15
	v_ashrrev_i32_e32 v2, 31, v1
	s_ashr_i32 s19, s14, 4
	v_lshrrev_b32_e32 v10, 28, v2
	s_add_i32 s19, s19, -1
	v_add_u32_e32 v2, v1, v10
	s_waitcnt lgkmcnt(0)
	s_mul_i32 s14, s6, s9
	s_mov_b32 s15, 0
	v_ashrrev_i32_e32 v2, 4, v2
	v_mov_b32_e32 v11, s19
	v_cmp_gt_i32_e32 vcc, s40, v1
	s_lshl_b64 s[14:15], s[14:15], 2
	v_cndmask_b32_e32 v2, v11, v2, vcc
	s_add_u32 s17, s12, s14
	v_ashrrev_i32_e32 v3, 31, v2
	s_addc_u32 s18, s13, s15
	v_lshlrev_b64 v[2:3], 2, v[2:3]
	v_mov_b32_e32 v5, s18
	v_add_co_u32_e32 v4, vcc, s17, v2
	v_or_b32_e32 v2, 16, v1
	v_addc_co_u32_e32 v5, vcc, v5, v3, vcc
	v_add_u32_e32 v3, v2, v10
	v_ashrrev_i32_e32 v3, 4, v3
	v_cmp_gt_i32_e32 vcc, s40, v2
	v_cndmask_b32_e32 v2, v11, v3, vcc
	v_ashrrev_i32_e32 v3, 31, v2
	v_lshlrev_b64 v[2:3], 2, v[2:3]
	v_mov_b32_e32 v7, s18
	v_add_co_u32_e32 v6, vcc, s17, v2
	v_or_b32_e32 v2, 32, v1
	v_addc_co_u32_e32 v7, vcc, v7, v3, vcc
	v_add_u32_e32 v3, v2, v10
	v_ashrrev_i32_e32 v3, 4, v3
	v_cmp_gt_i32_e32 vcc, s40, v2
	v_cndmask_b32_e32 v2, v11, v3, vcc
	v_ashrrev_i32_e32 v3, 31, v2
	;; [unrolled: 10-line block ×3, first 2 shown]
	v_lshlrev_b64 v[2:3], 2, v[2:3]
	v_mov_b32_e32 v1, s18
	v_add_co_u32_e32 v10, vcc, s17, v2
	v_addc_co_u32_e32 v11, vcc, v1, v3, vcc
	global_load_dword v3, v[4:5], off
	global_load_dword v2, v[6:7], off
	;; [unrolled: 1-line block ×4, first 2 shown]
	s_load_dwordx4 s[12:15], s[4:5], 0x8
	s_andn2_b64 vcc, exec, s[2:3]
	s_cbranch_vccnz .LBB241_8
; %bb.6:
	s_add_u32 s0, s0, s10
	s_addc_u32 s1, s1, s11
	s_load_dword s9, s[0:1], 0x0
	s_branch .LBB241_9
.LBB241_7:
	s_mov_b64 s[12:13], 0
	s_branch .LBB241_2
.LBB241_8:
	s_mov_b32 s9, s6
.LBB241_9:
	s_load_dwordx4 s[44:47], s[4:5], 0x48
	v_lshrrev_b32_e32 v53, 6, v0
	v_bfe_u32 v1, v0, 4, 2
	v_lshl_or_b32 v4, v53, 2, v1
	v_and_b32_e32 v52, 15, v0
	v_lshlrev_b32_e32 v5, 3, v52
	v_cmp_gt_u32_e32 vcc, 14, v4
	v_cmp_gt_u32_e64 s[0:1], 8, v52
	v_and_b32_e32 v54, 63, v0
	s_mul_i32 s29, s8, 14
	s_and_b64 s[10:11], s[0:1], vcc
	v_lshlrev_b32_e32 v50, 1, v5
	s_and_saveexec_b64 s[2:3], s[10:11]
	s_cbranch_execz .LBB241_11
; %bb.10:
	s_load_dwordx2 s[10:11], s[4:5], 0x0
	s_waitcnt lgkmcnt(0)
	s_ashr_i32 s20, s44, 31
	s_mul_hi_u32 s21, s9, s44
	s_mul_i32 s20, s9, s20
	s_add_i32 s21, s21, s20
	s_mul_i32 s20, s9, s44
	s_lshl_b64 s[20:21], s[20:21], 1
	v_add_lshl_u32 v6, v4, s29, 6
	s_add_u32 s9, s10, s20
	v_ashrrev_i32_e32 v7, 31, v6
	s_addc_u32 s10, s11, s21
	v_lshlrev_b64 v[6:7], 1, v[6:7]
	v_mov_b32_e32 v5, s10
	v_add_co_u32_e32 v6, vcc, s9, v6
	v_addc_co_u32_e32 v5, vcc, v5, v7, vcc
	v_add_co_u32_e32 v6, vcc, v6, v50
	v_addc_co_u32_e32 v7, vcc, 0, v5, vcc
	global_load_dwordx4 v[6:9], v[6:7], off
	v_and_b32_e32 v5, 3, v0
	v_lshlrev_b32_e32 v10, 9, v52
	v_lshlrev_b32_e32 v4, 5, v4
	;; [unrolled: 1-line block ×3, first 2 shown]
	v_and_b32_e32 v10, 0x1800, v10
	v_or3_b32 v4, v10, v5, v4
	s_waitcnt vmcnt(0)
	ds_write_b128 v4, v[6:9]
.LBB241_11:
	s_or_b64 exec, exec, s[2:3]
	s_waitcnt lgkmcnt(0)
	s_mul_i32 s8, s8, s46
	s_mov_b32 s9, 0
	s_lshl_b64 s[8:9], s[8:9], 1
	s_add_u32 s3, s12, s8
	v_lshlrev_b32_e32 v51, 4, v0
	s_addc_u32 s10, s13, s9
	v_and_b32_e32 v4, 0xf0, v51
	v_mov_b32_e32 v5, s10
	v_add_co_u32_e32 v29, vcc, s3, v4
	v_addc_co_u32_e32 v30, vcc, 0, v5, vcc
	s_waitcnt vmcnt(3)
	v_mad_i64_i32 v[4:5], s[10:11], v3, s45, 0
	v_lshlrev_b64 v[4:5], 1, v[4:5]
	v_add_co_u32_e32 v3, vcc, v29, v4
	v_addc_co_u32_e32 v5, vcc, v30, v5, vcc
	v_and_b32_e32 v31, 0x300, v51
	v_add_co_u32_e32 v4, vcc, v3, v31
	v_addc_co_u32_e32 v5, vcc, 0, v5, vcc
	s_load_dword s33, s[4:5], 0x98
	s_load_dword s2, s[4:5], 0x1c
	s_waitcnt lgkmcnt(0)
	s_barrier
	global_load_dwordx4 v[6:9], v[4:5], off
	s_waitcnt vmcnt(3)
	v_mad_i64_i32 v[2:3], s[10:11], v2, s45, 0
	v_lshlrev_b64 v[2:3], 1, v[2:3]
	v_add_co_u32_e32 v2, vcc, v29, v2
	v_addc_co_u32_e32 v3, vcc, v30, v3, vcc
	v_add_co_u32_e32 v2, vcc, v2, v31
	v_addc_co_u32_e32 v3, vcc, 0, v3, vcc
	global_load_dwordx4 v[22:25], v[2:3], off
	global_load_dwordx4 v[10:13], v[4:5], off offset:1024
	global_load_dwordx4 v[14:17], v[2:3], off offset:1024
	v_add_u32_e32 v2, -14, v52
	v_cmp_gt_u32_e32 vcc, 14, v52
	v_cndmask_b32_e32 v2, v2, v52, vcc
	v_lshlrev_b32_e32 v2, 5, v2
	v_lshl_add_u32 v20, v1, 9, v2
	ds_read_b128 v[2:5], v20
	s_waitcnt vmcnt(5)
	v_mad_i64_i32 v[18:19], s[10:11], v18, s45, 0
	v_lshlrev_b64 v[26:27], 1, v[18:19]
	ds_read_b128 v[18:21], v20 offset:2048
	v_and_or_b32 v55, v0, 48, s16
	v_mov_b32_e32 v60, s19
	v_mov_b32_e32 v49, s18
	v_or_b32_e32 v57, 0x80, v55
	v_mov_b32_e32 v56, s18
	v_mov_b32_e32 v61, s18
	s_add_u32 s3, s14, s8
	s_addc_u32 s8, s15, s9
	s_mov_b32 s42, 0xff7fffff
	s_waitcnt vmcnt(2) lgkmcnt(1)
	v_mfma_f32_16x16x16bf16_1k v[36:39], v[22:23], v[2:3], 0
	v_mad_i64_i32 v[22:23], s[10:11], v28, s45, 0
	v_lshlrev_b64 v[44:45], 1, v[22:23]
	v_ashrrev_i32_e32 v22, 4, v55
	v_or_b32_e32 v28, 64, v55
	v_mfma_f32_16x16x16bf16_1k v[32:35], v[6:7], v[2:3], 0
	v_add_co_u32_e32 v6, vcc, v29, v26
	v_addc_co_u32_e32 v7, vcc, v30, v27, vcc
	v_add_co_u32_e32 v26, vcc, v6, v31
	v_addc_co_u32_e32 v27, vcc, 0, v7, vcc
	global_load_dwordx4 v[40:43], v[26:27], off
	v_mfma_f32_16x16x16bf16_1k v[6:9], v[8:9], v[4:5], v[32:35]
	v_cmp_gt_i32_e32 vcc, s40, v55
	v_cndmask_b32_e32 v46, v60, v22, vcc
	v_cmp_gt_i32_e32 vcc, s40, v28
	v_ashrrev_i32_e32 v47, 31, v46
	s_nop 2
	global_load_dwordx4 v[32:35], v[26:27], off offset:1024
	v_mfma_f32_16x16x16bf16_1k v[22:25], v[24:25], v[4:5], v[36:39]
	s_nop 6
	v_ashrrev_i32_e32 v36, 4, v28
	v_cndmask_b32_e32 v48, v60, v36, vcc
	s_waitcnt vmcnt(3) lgkmcnt(0)
	v_mfma_f32_16x16x16bf16_1k v[6:9], v[10:11], v[18:19], v[6:9]
	v_add_co_u32_e32 v10, vcc, v29, v44
	v_addc_co_u32_e32 v11, vcc, v30, v45, vcc
	v_add_co_u32_e32 v10, vcc, v10, v31
	v_addc_co_u32_e32 v11, vcc, 0, v11, vcc
	v_lshlrev_b64 v[36:37], 2, v[46:47]
	global_load_dwordx4 v[26:29], v[10:11], off
	s_waitcnt vmcnt(3)
	v_mfma_f32_16x16x16bf16_1k v[22:25], v[14:15], v[18:19], v[22:25]
	v_add_co_u32_e32 v14, vcc, s17, v36
	v_addc_co_u32_e32 v15, vcc, v49, v37, vcc
	global_load_dword v44, v[14:15], off
	v_ashrrev_i32_e32 v38, 4, v57
	v_cmp_gt_i32_e32 vcc, s40, v57
	v_ashrrev_i32_e32 v49, 31, v48
	v_cndmask_b32_e32 v14, v60, v38, vcc
	v_mfma_f32_16x16x16bf16_1k v[36:39], v[12:13], v[20:21], v[6:9]
	v_ashrrev_i32_e32 v15, 31, v14
	v_mov_b32_e32 v12, s18
	s_nop 4
	v_lshlrev_b64 v[6:7], 2, v[48:49]
	v_add_co_u32_e32 v6, vcc, s17, v6
	v_addc_co_u32_e32 v7, vcc, v56, v7, vcc
	global_load_dwordx4 v[56:59], v[10:11], off offset:1024
	global_load_dword v45, v[6:7], off
	v_lshlrev_b64 v[6:7], 2, v[14:15]
	v_add_co_u32_e32 v10, vcc, s17, v6
	v_addc_co_u32_e32 v11, vcc, v61, v7, vcc
	s_waitcnt vmcnt(5)
	v_mfma_f32_16x16x16bf16_1k v[6:9], v[40:41], v[2:3], 0
	global_load_dword v40, v[10:11], off
	v_or_b32_e32 v10, 0xc0, v55
	v_ashrrev_i32_e32 v11, 4, v10
	v_cmp_gt_i32_e32 vcc, s40, v10
	v_cndmask_b32_e32 v10, v60, v11, vcc
	v_ashrrev_i32_e32 v11, 31, v10
	v_lshlrev_b64 v[10:11], 2, v[10:11]
	v_mfma_f32_16x16x16bf16_1k v[6:9], v[42:43], v[4:5], v[6:9]
	v_add_co_u32_e32 v10, vcc, s17, v10
	v_addc_co_u32_e32 v11, vcc, v12, v11, vcc
	global_load_dword v60, v[10:11], off
	v_lshlrev_b32_e32 v55, 5, v52
	v_lshl_or_b32 v10, v53, 9, v55
	s_waitcnt vmcnt(6)
	v_mfma_f32_16x16x16bf16_1k v[6:9], v[32:33], v[18:19], v[6:9]
	v_mov_b32_e32 v11, s8
	v_add_co_u32_e32 v61, vcc, s3, v10
	v_addc_co_u32_e32 v62, vcc, 0, v11, vcc
	v_pk_mul_f32 v[46:47], s[2:3], v[38:39] op_sel_hi:[0,1]
	v_mfma_f32_16x16x16bf16_1k v[30:33], v[34:35], v[20:21], v[6:9]
	s_waitcnt vmcnt(1)
	v_mad_i64_i32 v[34:35], s[8:9], v40, s45, 0
	s_nop 4
	v_mad_i64_i32 v[6:7], s[8:9], v44, s45, 0
	v_lshlrev_b64 v[10:11], 1, v[6:7]
	v_mfma_f32_16x16x16bf16_1k v[6:9], v[26:27], v[2:3], 0
	v_add_co_u32_e32 v2, vcc, v61, v10
	v_addc_co_u32_e32 v3, vcc, v62, v11, vcc
	v_lshlrev_b64 v[34:35], 1, v[34:35]
	v_pk_mul_f32 v[42:43], s[2:3], v[30:31] op_sel_hi:[0,1]
	v_mfma_f32_16x16x16bf16_1k v[26:29], v[28:29], v[4:5], v[6:9]
	v_mfma_f32_16x16x16bf16_1k v[22:25], v[16:17], v[20:21], v[22:25]
	global_load_dwordx4 v[14:17], v[2:3], off
	global_load_dwordx4 v[10:13], v[2:3], off offset:16
	v_mad_i64_i32 v[2:3], s[8:9], v45, s45, 0
	v_lshlrev_b64 v[2:3], 1, v[2:3]
	v_add_co_u32_e32 v2, vcc, v61, v2
	v_addc_co_u32_e32 v3, vcc, v62, v3, vcc
	v_mfma_f32_16x16x16bf16_1k v[26:29], v[56:57], v[18:19], v[26:29]
	s_nop 3
	v_pk_mul_f32 v[38:39], s[2:3], v[22:23] op_sel_hi:[0,1]
	v_add_co_u32_e32 v56, vcc, v61, v34
	v_addc_co_u32_e32 v57, vcc, v62, v35, vcc
	v_pk_mul_f32 v[18:19], s[2:3], v[36:37] op_sel_hi:[0,1]
	v_pk_mul_f32 v[48:49], s[2:3], v[24:25] op_sel_hi:[0,1]
	v_mfma_f32_16x16x16bf16_1k v[20:23], v[58:59], v[20:21], v[26:29]
	v_pk_mul_f32 v[44:45], s[2:3], v[32:33] op_sel_hi:[0,1]
	global_load_dwordx4 v[6:9], v[2:3], off
	s_nop 0
	global_load_dwordx4 v[2:5], v[2:3], off offset:16
	s_nop 6
	v_pk_mul_f32 v[40:41], s[2:3], v[20:21] op_sel_hi:[0,1]
	v_and_b32_e32 v20, 0xc0, v0
	v_add_u32_e32 v20, s16, v20
	v_lshl_or_b32 v20, v1, 2, v20
	v_pk_mul_f32 v[34:35], s[2:3], v[22:23] op_sel_hi:[0,1]
	v_or_b32_e32 v23, 1, v20
	v_mov_b32_e32 v21, 0xff7fffff
	v_cmp_gt_i32_e64 s[30:31], s40, v20
	v_cmp_gt_i32_e64 s[34:35], s40, v23
	v_cndmask_b32_e64 v22, v21, v18, s[30:31]
	v_cndmask_b32_e64 v23, v21, v19, s[34:35]
	v_max3_f32 v22, v22, s42, v23
	v_or_b32_e32 v23, 2, v20
	v_or_b32_e32 v24, 3, v20
	v_cmp_gt_i32_e64 s[36:37], s40, v23
	v_cmp_gt_i32_e64 s[38:39], s40, v24
	v_cndmask_b32_e64 v23, v21, v46, s[36:37]
	v_cndmask_b32_e64 v24, v21, v47, s[38:39]
	v_max3_f32 v22, v22, v23, v24
	v_or_b32_e32 v23, 16, v20
	v_or_b32_e32 v24, 17, v20
	;; [unrolled: 7-line block ×7, first 2 shown]
	v_cmp_gt_i32_e32 vcc, s40, v23
	v_cmp_gt_i32_e64 s[2:3], s40, v20
	v_cndmask_b32_e32 v23, v21, v34, vcc
	v_cndmask_b32_e64 v20, v21, v35, s[2:3]
	v_max3_f32 v26, v22, v23, v20
	v_mbcnt_lo_u32_b32 v20, -1, 0
	v_mbcnt_hi_u32_b32 v27, -1, v20
	v_and_b32_e32 v20, 64, v27
	v_add_u32_e32 v28, 64, v20
	v_xor_b32_e32 v20, 32, v27
	v_cmp_lt_i32_e64 s[40:41], v20, v28
	v_cndmask_b32_e64 v20, v27, v20, s[40:41]
	v_lshlrev_b32_e32 v58, 2, v20
	ds_bpermute_b32 v29, v58, v26
	s_waitcnt vmcnt(4)
	v_mad_i64_i32 v[20:21], s[40:41], v60, s45, 0
	global_load_dwordx4 v[30:33], v[56:57], off
	global_load_dwordx4 v[22:25], v[56:57], off offset:16
	v_lshlrev_b64 v[20:21], 1, v[20:21]
	s_waitcnt lgkmcnt(0)
	v_max_f32_e32 v29, v29, v29
	v_max_f32_e32 v26, v26, v29
	v_xor_b32_e32 v29, 16, v27
	v_cmp_lt_i32_e64 s[40:41], v29, v28
	v_cndmask_b32_e64 v27, v27, v29, s[40:41]
	v_lshlrev_b32_e32 v57, 2, v27
	ds_bpermute_b32 v27, v57, v26
	v_add_co_u32_e64 v20, s[40:41], v61, v20
	v_addc_co_u32_e64 v21, s[40:41], v62, v21, s[40:41]
	s_waitcnt lgkmcnt(0)
	v_max_f32_e32 v27, v27, v27
	v_max_f32_e32 v56, v26, v27
	v_sub_f32_e32 v18, v18, v56
	v_mul_f32_e32 v18, 0x3fb8aa3b, v18
	v_exp_f32_e32 v36, v18
	v_sub_f32_e32 v18, v19, v56
	v_mul_f32_e32 v18, 0x3fb8aa3b, v18
	v_exp_f32_e32 v37, v18
	global_load_dwordx4 v[26:29], v[20:21], off
	s_nop 0
	global_load_dwordx4 v[18:21], v[20:21], off offset:16
	v_sub_f32_e32 v46, v46, v56
	v_mul_f32_e32 v46, 0x3fb8aa3b, v46
	v_sub_f32_e32 v47, v47, v56
	v_exp_f32_e32 v46, v46
	v_mul_f32_e32 v47, 0x3fb8aa3b, v47
	v_sub_f32_e32 v38, v38, v56
	v_exp_f32_e32 v47, v47
	v_mul_f32_e32 v38, 0x3fb8aa3b, v38
	v_sub_f32_e32 v39, v39, v56
	v_cndmask_b32_e64 v36, 0, v36, s[30:31]
	v_exp_f32_e32 v38, v38
	v_mul_f32_e32 v39, 0x3fb8aa3b, v39
	v_sub_f32_e32 v48, v48, v56
	v_add_f32_e32 v59, 0, v36
	v_cndmask_b32_e64 v37, 0, v37, s[34:35]
	v_exp_f32_e32 v39, v39
	v_mul_f32_e32 v48, 0x3fb8aa3b, v48
	v_sub_f32_e32 v49, v49, v56
	v_add_f32_e32 v59, v59, v37
	;; [unrolled: 5-line block ×10, first 2 shown]
	v_cndmask_b32_e64 v44, 0, v44, s[12:13]
	v_exp_f32_e32 v34, v34
	v_mul_f32_e32 v35, 0x3fb8aa3b, v35
	v_add_f32_e32 v59, v59, v44
	v_cndmask_b32_e64 v45, 0, v45, s[14:15]
	v_exp_f32_e32 v35, v35
	v_add_f32_e32 v59, v59, v45
	v_cndmask_b32_e64 v40, 0, v40, s[8:9]
	v_add_f32_e32 v59, v59, v40
	v_cndmask_b32_e64 v41, 0, v41, s[10:11]
	v_add_f32_e32 v59, v59, v41
	v_cndmask_b32_e32 v34, 0, v34, vcc
	v_add_f32_e32 v59, v59, v34
	v_cndmask_b32_e64 v35, 0, v35, s[2:3]
	v_add_f32_e32 v59, v59, v35
	ds_bpermute_b32 v58, v58, v59
	v_cmp_gt_u32_e32 vcc, 16, v54
	s_waitcnt lgkmcnt(0)
	s_barrier
	v_add_f32_e32 v58, v59, v58
	ds_bpermute_b32 v59, v57, v58
	v_lshlrev_b32_e32 v57, 2, v52
	s_and_saveexec_b64 s[2:3], vcc
	s_cbranch_execz .LBB241_13
; %bb.12:
	s_waitcnt lgkmcnt(0)
	v_add_f32_e32 v54, v58, v59
	v_lshl_or_b32 v58, v53, 6, v57
	ds_write2st64_b32 v58, v56, v54 offset1:1
.LBB241_13:
	s_or_b64 exec, exec, s[2:3]
	s_load_dword s8, s[4:5], 0x94
	s_waitcnt lgkmcnt(0)
	s_barrier
	ds_read2_b32 v[58:59], v57 offset1:16
	ds_read2_b32 v[60:61], v57 offset0:32 offset1:48
	ds_read2_b32 v[62:63], v57 offset0:64 offset1:80
	s_movk_i32 s10, 0x7fff
	s_mov_b32 s11, 0x7060302
	s_waitcnt lgkmcnt(2)
	v_max3_f32 v54, v58, s42, v59
	s_waitcnt lgkmcnt(1)
	v_max3_f32 v54, v54, v60, v61
	v_sub_f32_e32 v56, v58, v54
	v_mul_f32_e32 v56, 0x3fb8aa3b, v56
	v_exp_f32_e32 v64, v56
	v_sub_f32_e32 v56, v59, v54
	v_mul_f32_e32 v56, 0x3fb8aa3b, v56
	v_exp_f32_e32 v65, v56
	;; [unrolled: 3-line block ×3, first 2 shown]
	ds_read2_b32 v[58:59], v57 offset0:96 offset1:112
	v_sub_f32_e32 v56, v61, v54
	v_mul_f32_e32 v56, 0x3fb8aa3b, v56
	v_exp_f32_e32 v57, v56
	s_waitcnt lgkmcnt(1)
	v_fma_f32 v56, v64, v62, 0
	v_fmac_f32_e32 v56, v65, v63
	s_waitcnt lgkmcnt(0)
	v_fmac_f32_e32 v56, v60, v58
	v_fmac_f32_e32 v56, v57, v59
	v_add_f32_e32 v58, 0x358637bd, v56
	v_div_scale_f32 v59, s[2:3], v58, v58, 1.0
	v_rcp_f32_e32 v61, v59
	s_barrier
	v_fma_f32 v62, -v59, v61, 1.0
	v_fmac_f32_e32 v61, v62, v61
	v_div_scale_f32 v62, vcc, 1.0, v58, 1.0
	v_mul_f32_e32 v63, v62, v61
	v_fma_f32 v66, -v59, v63, v62
	v_fmac_f32_e32 v63, v66, v61
	v_fma_f32 v59, -v59, v63, v62
	v_div_fmas_f32 v59, v59, v61, v63
	v_cmp_eq_u32_e32 vcc, 1, v53
	v_div_fixup_f32 v58, v59, v58, 1.0
	v_cndmask_b32_e32 v59, v64, v65, vcc
	v_cmp_eq_u32_e32 vcc, 2, v53
	v_cndmask_b32_e32 v59, v59, v60, vcc
	v_cmp_eq_u32_e32 vcc, 3, v53
	v_cndmask_b32_e32 v57, v59, v57, vcc
	v_mul_f32_e32 v58, v57, v58
	v_pk_mul_f32 v[36:37], v[58:59], v[36:37] op_sel_hi:[0,1]
	v_pk_mul_f32 v[46:47], v[58:59], v[46:47] op_sel_hi:[0,1]
	v_bfe_u32 v57, v37, 16, 1
	v_bfe_u32 v59, v36, 16, 1
	v_add3_u32 v36, v36, v59, s10
	v_add3_u32 v37, v37, v57, s10
	v_perm_b32 v60, v37, v36, s11
	v_bfe_u32 v36, v47, 16, 1
	v_bfe_u32 v37, v46, 16, 1
	v_add3_u32 v37, v46, v37, s10
	v_add3_u32 v36, v47, v36, s10
	v_perm_b32 v61, v36, v37, s11
	v_lshlrev_b32_e32 v36, 3, v1
	v_lshlrev_b32_e32 v37, 11, v53
	v_pk_mul_f32 v[38:39], v[58:59], v[38:39] op_sel_hi:[0,1]
	v_or3_b32 v36, v37, v55, v36
	v_pk_mul_f32 v[46:47], v[58:59], v[48:49] op_sel_hi:[0,1]
	v_bfe_u32 v37, v39, 16, 1
	v_bfe_u32 v48, v38, 16, 1
	v_add3_u32 v38, v38, v48, s10
	v_add3_u32 v37, v39, v37, s10
	v_perm_b32 v38, v37, v38, s11
	v_bfe_u32 v37, v47, 16, 1
	v_bfe_u32 v39, v46, 16, 1
	v_add3_u32 v39, v46, v39, s10
	v_add3_u32 v37, v47, v37, s10
	v_perm_b32 v39, v37, v39, s11
	v_pk_mul_f32 v[42:43], v[58:59], v[42:43] op_sel_hi:[0,1]
	ds_write2st64_b64 v36, v[60:61], v[38:39] offset1:1
	v_pk_mul_f32 v[38:39], v[58:59], v[44:45] op_sel_hi:[0,1]
	v_bfe_u32 v37, v43, 16, 1
	v_bfe_u32 v44, v42, 16, 1
	v_add3_u32 v42, v42, v44, s10
	v_add3_u32 v37, v43, v37, s10
	v_perm_b32 v42, v37, v42, s11
	v_bfe_u32 v37, v39, 16, 1
	v_bfe_u32 v43, v38, 16, 1
	v_add3_u32 v38, v38, v43, s10
	v_add3_u32 v37, v39, v37, s10
	v_perm_b32 v43, v37, v38, s11
	v_pk_mul_f32 v[38:39], v[58:59], v[40:41] op_sel_hi:[0,1]
	v_bfe_u32 v37, v39, 16, 1
	v_bfe_u32 v40, v38, 16, 1
	v_pk_mul_f32 v[34:35], v[58:59], v[34:35] op_sel_hi:[0,1]
	v_add3_u32 v38, v38, v40, s10
	v_add3_u32 v37, v39, v37, s10
	v_perm_b32 v38, v37, v38, s11
	v_bfe_u32 v37, v35, 16, 1
	v_bfe_u32 v39, v34, 16, 1
	v_add3_u32 v34, v34, v39, s10
	v_add3_u32 v35, v35, v37, s10
	s_mul_i32 s9, s33, 14
	v_perm_b32 v39, v35, v34, s11
	v_cmp_gt_u32_e32 vcc, 14, v0
	ds_write2st64_b64 v36, v[42:43], v[38:39] offset0:2 offset1:3
	s_and_saveexec_b64 s[2:3], vcc
	s_cbranch_execz .LBB241_15
; %bb.14:
	v_add_co_u32_e32 v38, vcc, s29, v52
	v_addc_co_u32_e64 v39, s[16:17], 0, 0, vcc
	v_mov_b32_e32 v34, s9
	v_mov_b32_e32 v35, 0
	v_mad_u64_u32 v[38:39], s[16:17], s6, v34, v[38:39]
	v_mov_b32_e32 v34, s28
	s_load_dwordx4 s[12:15], s[4:5], 0x58
	s_mul_i32 s7, s7, s9
	v_mad_u64_u32 v[34:35], s[16:17], v38, s8, v[34:35]
	v_add_u32_e32 v37, s7, v39
	v_mov_b32_e32 v38, v35
	v_mad_u64_u32 v[38:39], s[16:17], v37, s8, v[38:39]
	v_mov_b32_e32 v35, v38
	v_lshlrev_b64 v[34:35], 2, v[34:35]
	s_waitcnt lgkmcnt(0)
	v_mov_b32_e32 v37, s15
	v_add_co_u32_e32 v38, vcc, s14, v34
	v_addc_co_u32_e32 v39, vcc, v37, v35, vcc
	v_mov_b32_e32 v37, s13
	v_add_co_u32_e32 v34, vcc, s12, v34
	v_addc_co_u32_e32 v35, vcc, v37, v35, vcc
	global_store_dword v[38:39], v54, off
	global_store_dword v[34:35], v56, off
.LBB241_15:
	s_or_b64 exec, exec, s[2:3]
	v_lshl_or_b32 v34, v1, 9, v55
	s_waitcnt lgkmcnt(0)
	s_barrier
	ds_read_b128 v[38:41], v34
	ds_read_b128 v[42:45], v34 offset:16
	s_waitcnt vmcnt(7) lgkmcnt(1)
	v_mfma_f32_16x16x16bf16_1k v[46:49], v[14:15], v[38:39], 0
	v_cmp_gt_u32_e32 vcc, 64, v0
	s_mov_b32 s3, 0
	s_and_b64 s[0:1], vcc, s[0:1]
	v_mfma_f32_16x16x16bf16_1k v[14:17], v[16:17], v[40:41], v[46:49]
	s_waitcnt vmcnt(6) lgkmcnt(0)
	v_mfma_f32_16x16x16bf16_1k v[14:17], v[10:11], v[42:43], v[14:17]
	v_mfma_f32_16x16x16bf16_1k v[10:13], v[12:13], v[44:45], v[14:17]
	s_nop 7
	s_nop 1
	ds_read_b128 v[14:17], v34 offset:2048
	ds_read_b128 v[38:41], v34 offset:2064
	s_waitcnt vmcnt(5) lgkmcnt(1)
	v_mfma_f32_16x16x16bf16_1k v[10:13], v[6:7], v[14:15], v[10:13]
	v_mfma_f32_16x16x16bf16_1k v[6:9], v[8:9], v[16:17], v[10:13]
	s_waitcnt vmcnt(4) lgkmcnt(0)
	v_mfma_f32_16x16x16bf16_1k v[6:9], v[2:3], v[38:39], v[6:9]
	v_mfma_f32_16x16x16bf16_1k v[2:5], v[4:5], v[40:41], v[6:9]
	s_nop 7
	s_nop 1
	ds_read_b128 v[6:9], v34 offset:4096
	ds_read_b128 v[10:13], v34 offset:4112
	s_waitcnt vmcnt(3) lgkmcnt(1)
	v_mfma_f32_16x16x16bf16_1k v[2:5], v[30:31], v[6:7], v[2:5]
	v_mfma_f32_16x16x16bf16_1k v[2:5], v[32:33], v[8:9], v[2:5]
	s_waitcnt vmcnt(2) lgkmcnt(0)
	v_mfma_f32_16x16x16bf16_1k v[2:5], v[22:23], v[10:11], v[2:5]
	v_mfma_f32_16x16x16bf16_1k v[2:5], v[24:25], v[12:13], v[2:5]
	ds_read_b128 v[6:9], v34 offset:6144
	ds_read_b128 v[10:13], v34 offset:6160
	s_waitcnt lgkmcnt(0)
	s_barrier
	s_waitcnt vmcnt(1)
	v_mfma_f32_16x16x16bf16_1k v[2:5], v[26:27], v[6:7], v[2:5]
	v_mfma_f32_16x16x16bf16_1k v[2:5], v[28:29], v[8:9], v[2:5]
	s_waitcnt vmcnt(0)
	v_mfma_f32_16x16x16bf16_1k v[2:5], v[18:19], v[10:11], v[2:5]
	v_mfma_f32_16x16x16bf16_1k v[2:5], v[20:21], v[12:13], v[2:5]
	s_nop 7
	s_nop 2
	v_bfe_u32 v6, v3, 16, 1
	v_bfe_u32 v7, v2, 16, 1
	;; [unrolled: 1-line block ×4, first 2 shown]
	v_add3_u32 v2, v2, v7, s10
	v_add3_u32 v3, v3, v6, s10
	;; [unrolled: 1-line block ×4, first 2 shown]
	v_perm_b32 v2, v3, v2, s11
	v_perm_b32 v3, v5, v4, s11
	ds_write_b64 v36, v[2:3]
	s_waitcnt lgkmcnt(0)
	s_barrier
	s_and_saveexec_b64 s[10:11], s[0:1]
	s_cbranch_execz .LBB241_18
; %bb.16:
	s_load_dwordx2 s[4:5], s[4:5], 0x68
	s_lshl_b32 s0, s8, 6
	s_mul_i32 s1, s9, s6
	s_mul_hi_u32 s7, s1, s0
	s_mul_i32 s6, s1, s0
	s_lshl_b64 s[6:7], s[6:7], 1
	s_waitcnt lgkmcnt(0)
	s_add_u32 s1, s4, s6
	v_lshlrev_b32_e32 v0, 10, v0
	s_addc_u32 s4, s5, s7
	s_lshl_b32 s2, s28, 6
	v_and_b32_e32 v0, 0x1800, v0
	v_lshlrev_b32_e32 v2, 5, v1
	v_and_b32_e32 v3, 16, v51
	s_lshl_b64 s[2:3], s[2:3], 1
	v_or3_b32 v0, v0, v2, v3
	s_add_u32 s1, s1, s2
	ds_read_b128 v[6:9], v0 offset:256
	v_or_b32_e32 v2, 12, v1
	s_addc_u32 s2, s4, s3
	ds_read_b128 v[10:13], v0 offset:128
	ds_read_b128 v[14:17], v0
	v_add_u32_e32 v1, s29, v1
	v_mov_b32_e32 v4, s2
	v_add_co_u32_e32 v3, vcc, s1, v50
	v_mad_u64_u32 v[18:19], s[2:3], v1, s0, 0
	v_addc_co_u32_e32 v4, vcc, 0, v4, vcc
	v_lshlrev_b64 v[18:19], 1, v[18:19]
	v_add_co_u32_e32 v18, vcc, v3, v18
	v_addc_co_u32_e32 v19, vcc, v4, v19, vcc
	v_add_u32_e32 v5, 4, v1
	s_waitcnt lgkmcnt(0)
	global_store_dwordx4 v[18:19], v[14:17], off
	v_add_u32_e32 v1, 8, v1
	v_mad_u64_u32 v[14:15], s[2:3], v5, s0, 0
	v_lshlrev_b64 v[14:15], 1, v[14:15]
	v_add_co_u32_e32 v14, vcc, v3, v14
	v_addc_co_u32_e32 v15, vcc, v4, v15, vcc
	global_store_dwordx4 v[14:15], v[10:13], off
	s_nop 0
	v_mad_u64_u32 v[10:11], s[2:3], v1, s0, 0
	v_lshlrev_b64 v[10:11], 1, v[10:11]
	v_add_co_u32_e32 v10, vcc, v3, v10
	v_addc_co_u32_e32 v11, vcc, v4, v11, vcc
	v_cmp_gt_u32_e32 vcc, 14, v2
	global_store_dwordx4 v[10:11], v[6:9], off
	s_and_b64 exec, exec, vcc
	s_cbranch_execz .LBB241_18
; %bb.17:
	ds_read_b128 v[6:9], v0 offset:384
	v_add_u32_e32 v0, s29, v2
	v_mad_u64_u32 v[0:1], s[0:1], v0, s0, 0
	v_lshlrev_b64 v[0:1], 1, v[0:1]
	v_add_co_u32_e32 v0, vcc, v3, v0
	v_addc_co_u32_e32 v1, vcc, v4, v1, vcc
	s_waitcnt lgkmcnt(0)
	global_store_dwordx4 v[0:1], v[6:9], off
.LBB241_18:
	s_endpgm
	.section	.rodata,"a",@progbits
	.p2align	6, 0x0
	.amdhsa_kernel _Z39paged_attention_ll4mi_QKV_mfma16_kernelI14__hip_bfloat16S0_LN4vllm18Fp8KVCacheDataTypeE0ES0_Li16ELi64ELi256ELb0ELi14EL8MFMAType0EEvPKT_PKT0_S9_ifPKiSB_SB_iPKfiiiPfSE_PS4_PT2_iSD_SD_
		.amdhsa_group_segment_fixed_size 8192
		.amdhsa_private_segment_fixed_size 0
		.amdhsa_kernarg_size 400
		.amdhsa_user_sgpr_count 6
		.amdhsa_user_sgpr_private_segment_buffer 1
		.amdhsa_user_sgpr_dispatch_ptr 0
		.amdhsa_user_sgpr_queue_ptr 0
		.amdhsa_user_sgpr_kernarg_segment_ptr 1
		.amdhsa_user_sgpr_dispatch_id 0
		.amdhsa_user_sgpr_flat_scratch_init 0
		.amdhsa_user_sgpr_kernarg_preload_length 0
		.amdhsa_user_sgpr_kernarg_preload_offset 0
		.amdhsa_user_sgpr_private_segment_size 0
		.amdhsa_uses_dynamic_stack 0
		.amdhsa_system_sgpr_private_segment_wavefront_offset 0
		.amdhsa_system_sgpr_workgroup_id_x 1
		.amdhsa_system_sgpr_workgroup_id_y 1
		.amdhsa_system_sgpr_workgroup_id_z 1
		.amdhsa_system_sgpr_workgroup_info 0
		.amdhsa_system_vgpr_workitem_id 0
		.amdhsa_next_free_vgpr 67
		.amdhsa_next_free_sgpr 48
		.amdhsa_accum_offset 68
		.amdhsa_reserve_vcc 1
		.amdhsa_reserve_flat_scratch 0
		.amdhsa_float_round_mode_32 0
		.amdhsa_float_round_mode_16_64 0
		.amdhsa_float_denorm_mode_32 3
		.amdhsa_float_denorm_mode_16_64 3
		.amdhsa_dx10_clamp 1
		.amdhsa_ieee_mode 1
		.amdhsa_fp16_overflow 0
		.amdhsa_tg_split 0
		.amdhsa_exception_fp_ieee_invalid_op 0
		.amdhsa_exception_fp_denorm_src 0
		.amdhsa_exception_fp_ieee_div_zero 0
		.amdhsa_exception_fp_ieee_overflow 0
		.amdhsa_exception_fp_ieee_underflow 0
		.amdhsa_exception_fp_ieee_inexact 0
		.amdhsa_exception_int_div_zero 0
	.end_amdhsa_kernel
	.section	.text._Z39paged_attention_ll4mi_QKV_mfma16_kernelI14__hip_bfloat16S0_LN4vllm18Fp8KVCacheDataTypeE0ES0_Li16ELi64ELi256ELb0ELi14EL8MFMAType0EEvPKT_PKT0_S9_ifPKiSB_SB_iPKfiiiPfSE_PS4_PT2_iSD_SD_,"axG",@progbits,_Z39paged_attention_ll4mi_QKV_mfma16_kernelI14__hip_bfloat16S0_LN4vllm18Fp8KVCacheDataTypeE0ES0_Li16ELi64ELi256ELb0ELi14EL8MFMAType0EEvPKT_PKT0_S9_ifPKiSB_SB_iPKfiiiPfSE_PS4_PT2_iSD_SD_,comdat
.Lfunc_end241:
	.size	_Z39paged_attention_ll4mi_QKV_mfma16_kernelI14__hip_bfloat16S0_LN4vllm18Fp8KVCacheDataTypeE0ES0_Li16ELi64ELi256ELb0ELi14EL8MFMAType0EEvPKT_PKT0_S9_ifPKiSB_SB_iPKfiiiPfSE_PS4_PT2_iSD_SD_, .Lfunc_end241-_Z39paged_attention_ll4mi_QKV_mfma16_kernelI14__hip_bfloat16S0_LN4vllm18Fp8KVCacheDataTypeE0ES0_Li16ELi64ELi256ELb0ELi14EL8MFMAType0EEvPKT_PKT0_S9_ifPKiSB_SB_iPKfiiiPfSE_PS4_PT2_iSD_SD_
                                        ; -- End function
	.section	.AMDGPU.csdata,"",@progbits
; Kernel info:
; codeLenInByte = 4288
; NumSgprs: 52
; NumVgprs: 67
; NumAgprs: 0
; TotalNumVgprs: 67
; ScratchSize: 0
; MemoryBound: 0
; FloatMode: 240
; IeeeMode: 1
; LDSByteSize: 8192 bytes/workgroup (compile time only)
; SGPRBlocks: 6
; VGPRBlocks: 8
; NumSGPRsForWavesPerEU: 52
; NumVGPRsForWavesPerEU: 67
; AccumOffset: 68
; Occupancy: 7
; WaveLimiterHint : 1
; COMPUTE_PGM_RSRC2:SCRATCH_EN: 0
; COMPUTE_PGM_RSRC2:USER_SGPR: 6
; COMPUTE_PGM_RSRC2:TRAP_HANDLER: 0
; COMPUTE_PGM_RSRC2:TGID_X_EN: 1
; COMPUTE_PGM_RSRC2:TGID_Y_EN: 1
; COMPUTE_PGM_RSRC2:TGID_Z_EN: 1
; COMPUTE_PGM_RSRC2:TIDIG_COMP_CNT: 0
; COMPUTE_PGM_RSRC3_GFX90A:ACCUM_OFFSET: 16
; COMPUTE_PGM_RSRC3_GFX90A:TG_SPLIT: 0
	.section	.text._Z39paged_attention_ll4mi_QKV_mfma16_kernelI14__hip_bfloat16S0_LN4vllm18Fp8KVCacheDataTypeE0ES0_Li16ELi64ELi256ELb0ELi15EL8MFMAType0EEvPKT_PKT0_S9_ifPKiSB_SB_iPKfiiiPfSE_PS4_PT2_iSD_SD_,"axG",@progbits,_Z39paged_attention_ll4mi_QKV_mfma16_kernelI14__hip_bfloat16S0_LN4vllm18Fp8KVCacheDataTypeE0ES0_Li16ELi64ELi256ELb0ELi15EL8MFMAType0EEvPKT_PKT0_S9_ifPKiSB_SB_iPKfiiiPfSE_PS4_PT2_iSD_SD_,comdat
	.protected	_Z39paged_attention_ll4mi_QKV_mfma16_kernelI14__hip_bfloat16S0_LN4vllm18Fp8KVCacheDataTypeE0ES0_Li16ELi64ELi256ELb0ELi15EL8MFMAType0EEvPKT_PKT0_S9_ifPKiSB_SB_iPKfiiiPfSE_PS4_PT2_iSD_SD_ ; -- Begin function _Z39paged_attention_ll4mi_QKV_mfma16_kernelI14__hip_bfloat16S0_LN4vllm18Fp8KVCacheDataTypeE0ES0_Li16ELi64ELi256ELb0ELi15EL8MFMAType0EEvPKT_PKT0_S9_ifPKiSB_SB_iPKfiiiPfSE_PS4_PT2_iSD_SD_
	.globl	_Z39paged_attention_ll4mi_QKV_mfma16_kernelI14__hip_bfloat16S0_LN4vllm18Fp8KVCacheDataTypeE0ES0_Li16ELi64ELi256ELb0ELi15EL8MFMAType0EEvPKT_PKT0_S9_ifPKiSB_SB_iPKfiiiPfSE_PS4_PT2_iSD_SD_
	.p2align	8
	.type	_Z39paged_attention_ll4mi_QKV_mfma16_kernelI14__hip_bfloat16S0_LN4vllm18Fp8KVCacheDataTypeE0ES0_Li16ELi64ELi256ELb0ELi15EL8MFMAType0EEvPKT_PKT0_S9_ifPKiSB_SB_iPKfiiiPfSE_PS4_PT2_iSD_SD_,@function
_Z39paged_attention_ll4mi_QKV_mfma16_kernelI14__hip_bfloat16S0_LN4vllm18Fp8KVCacheDataTypeE0ES0_Li16ELi64ELi256ELb0ELi15EL8MFMAType0EEvPKT_PKT0_S9_ifPKiSB_SB_iPKfiiiPfSE_PS4_PT2_iSD_SD_: ; @_Z39paged_attention_ll4mi_QKV_mfma16_kernelI14__hip_bfloat16S0_LN4vllm18Fp8KVCacheDataTypeE0ES0_Li16ELi64ELi256ELb0ELi15EL8MFMAType0EEvPKT_PKT0_S9_ifPKiSB_SB_iPKfiiiPfSE_PS4_PT2_iSD_SD_
; %bb.0:
	s_load_dwordx2 s[0:1], s[4:5], 0x30
	s_mov_b32 s28, s7
	s_mov_b64 s[10:11], 0
	s_waitcnt lgkmcnt(0)
	s_cmp_lg_u64 s[0:1], 0
	s_cselect_b64 s[2:3], -1, 0
	s_and_b64 vcc, exec, s[2:3]
	s_cbranch_vccz .LBB242_7
; %bb.1:
	s_add_i32 s12, s6, 1
	s_mov_b32 s13, 0
	s_lshl_b64 s[14:15], s[12:13], 2
	s_add_u32 s14, s0, s14
	s_mov_b32 s7, s13
	s_addc_u32 s15, s1, s15
	s_lshl_b64 s[12:13], s[6:7], 2
	s_add_u32 s12, s0, s12
	s_addc_u32 s13, s1, s13
	s_load_dword s9, s[14:15], 0x0
	s_load_dword s16, s[12:13], 0x0
	s_waitcnt lgkmcnt(0)
	s_sub_i32 s9, s9, s16
	s_cmp_eq_u32 s9, 1
	s_cselect_b64 s[12:13], -1, 0
	s_andn2_b64 vcc, exec, s[10:11]
	s_cbranch_vccnz .LBB242_3
.LBB242_2:
	s_mov_b32 s7, 0
	s_mov_b64 s[12:13], -1
.LBB242_3:
	s_andn2_b64 vcc, exec, s[12:13]
	s_cbranch_vccnz .LBB242_18
; %bb.4:
	s_load_dwordx2 s[12:13], s[4:5], 0x28
	s_lshl_b64 s[10:11], s[6:7], 2
	s_waitcnt lgkmcnt(0)
	s_add_u32 s12, s12, s10
	s_addc_u32 s13, s13, s11
	s_load_dword s40, s[12:13], 0x0
	s_lshl_b32 s16, s28, 8
	s_waitcnt lgkmcnt(0)
	s_cmp_ge_i32 s16, s40
	s_cbranch_scc1 .LBB242_18
; %bb.5:
	s_add_i32 s14, s40, 15
	s_load_dwordx2 s[12:13], s[4:5], 0x20
	s_load_dword s9, s[4:5], 0x38
	s_ashr_i32 s15, s14, 31
	v_and_b32_e32 v1, 0xcf, v0
	s_lshr_b32 s15, s15, 28
	v_add_u32_e32 v1, s16, v1
	s_add_i32 s14, s14, s15
	v_ashrrev_i32_e32 v2, 31, v1
	s_ashr_i32 s19, s14, 4
	v_lshrrev_b32_e32 v10, 28, v2
	s_add_i32 s19, s19, -1
	v_add_u32_e32 v2, v1, v10
	s_waitcnt lgkmcnt(0)
	s_mul_i32 s14, s6, s9
	s_mov_b32 s15, 0
	v_ashrrev_i32_e32 v2, 4, v2
	v_mov_b32_e32 v11, s19
	v_cmp_gt_i32_e32 vcc, s40, v1
	s_lshl_b64 s[14:15], s[14:15], 2
	v_cndmask_b32_e32 v2, v11, v2, vcc
	s_add_u32 s17, s12, s14
	v_ashrrev_i32_e32 v3, 31, v2
	s_addc_u32 s18, s13, s15
	v_lshlrev_b64 v[2:3], 2, v[2:3]
	v_mov_b32_e32 v5, s18
	v_add_co_u32_e32 v4, vcc, s17, v2
	v_or_b32_e32 v2, 16, v1
	v_addc_co_u32_e32 v5, vcc, v5, v3, vcc
	v_add_u32_e32 v3, v2, v10
	v_ashrrev_i32_e32 v3, 4, v3
	v_cmp_gt_i32_e32 vcc, s40, v2
	v_cndmask_b32_e32 v2, v11, v3, vcc
	v_ashrrev_i32_e32 v3, 31, v2
	v_lshlrev_b64 v[2:3], 2, v[2:3]
	v_mov_b32_e32 v7, s18
	v_add_co_u32_e32 v6, vcc, s17, v2
	v_or_b32_e32 v2, 32, v1
	v_addc_co_u32_e32 v7, vcc, v7, v3, vcc
	v_add_u32_e32 v3, v2, v10
	v_ashrrev_i32_e32 v3, 4, v3
	v_cmp_gt_i32_e32 vcc, s40, v2
	v_cndmask_b32_e32 v2, v11, v3, vcc
	v_ashrrev_i32_e32 v3, 31, v2
	;; [unrolled: 10-line block ×3, first 2 shown]
	v_lshlrev_b64 v[2:3], 2, v[2:3]
	v_mov_b32_e32 v1, s18
	v_add_co_u32_e32 v10, vcc, s17, v2
	v_addc_co_u32_e32 v11, vcc, v1, v3, vcc
	global_load_dword v3, v[4:5], off
	global_load_dword v2, v[6:7], off
	;; [unrolled: 1-line block ×4, first 2 shown]
	s_load_dwordx4 s[12:15], s[4:5], 0x8
	s_andn2_b64 vcc, exec, s[2:3]
	s_cbranch_vccnz .LBB242_8
; %bb.6:
	s_add_u32 s0, s0, s10
	s_addc_u32 s1, s1, s11
	s_load_dword s9, s[0:1], 0x0
	s_branch .LBB242_9
.LBB242_7:
	s_mov_b64 s[12:13], 0
	s_branch .LBB242_2
.LBB242_8:
	s_mov_b32 s9, s6
.LBB242_9:
	s_load_dwordx4 s[44:47], s[4:5], 0x48
	v_lshrrev_b32_e32 v53, 6, v0
	v_bfe_u32 v1, v0, 4, 2
	v_lshl_or_b32 v4, v53, 2, v1
	v_and_b32_e32 v52, 15, v0
	v_lshlrev_b32_e32 v5, 3, v52
	v_cmp_gt_u32_e32 vcc, 15, v4
	v_cmp_gt_u32_e64 s[0:1], 8, v52
	v_and_b32_e32 v54, 63, v0
	s_mul_i32 s29, s8, 15
	s_and_b64 s[10:11], s[0:1], vcc
	v_lshlrev_b32_e32 v50, 1, v5
	s_and_saveexec_b64 s[2:3], s[10:11]
	s_cbranch_execz .LBB242_11
; %bb.10:
	s_load_dwordx2 s[10:11], s[4:5], 0x0
	s_waitcnt lgkmcnt(0)
	s_ashr_i32 s20, s44, 31
	s_mul_hi_u32 s21, s9, s44
	s_mul_i32 s20, s9, s20
	s_add_i32 s21, s21, s20
	s_mul_i32 s20, s9, s44
	s_lshl_b64 s[20:21], s[20:21], 1
	v_add_lshl_u32 v6, v4, s29, 6
	s_add_u32 s9, s10, s20
	v_ashrrev_i32_e32 v7, 31, v6
	s_addc_u32 s10, s11, s21
	v_lshlrev_b64 v[6:7], 1, v[6:7]
	v_mov_b32_e32 v5, s10
	v_add_co_u32_e32 v6, vcc, s9, v6
	v_addc_co_u32_e32 v5, vcc, v5, v7, vcc
	v_add_co_u32_e32 v6, vcc, v6, v50
	v_addc_co_u32_e32 v7, vcc, 0, v5, vcc
	global_load_dwordx4 v[6:9], v[6:7], off
	v_and_b32_e32 v5, 3, v0
	v_lshlrev_b32_e32 v10, 9, v52
	v_lshlrev_b32_e32 v4, 5, v4
	;; [unrolled: 1-line block ×3, first 2 shown]
	v_and_b32_e32 v10, 0x1800, v10
	v_or3_b32 v4, v10, v5, v4
	s_waitcnt vmcnt(0)
	ds_write_b128 v4, v[6:9]
.LBB242_11:
	s_or_b64 exec, exec, s[2:3]
	s_waitcnt lgkmcnt(0)
	s_mov_b32 s9, 0
	s_mul_i32 s8, s8, s46
	s_lshl_b64 s[8:9], s[8:9], 1
	s_add_u32 s3, s12, s8
	v_lshlrev_b32_e32 v51, 4, v0
	s_addc_u32 s10, s13, s9
	v_and_b32_e32 v4, 0xf0, v51
	v_mov_b32_e32 v5, s10
	v_add_co_u32_e32 v29, vcc, s3, v4
	v_addc_co_u32_e32 v30, vcc, 0, v5, vcc
	s_waitcnt vmcnt(3)
	v_mad_i64_i32 v[4:5], s[10:11], v3, s45, 0
	v_lshlrev_b64 v[4:5], 1, v[4:5]
	v_add_co_u32_e32 v3, vcc, v29, v4
	v_addc_co_u32_e32 v5, vcc, v30, v5, vcc
	v_and_b32_e32 v31, 0x300, v51
	v_add_co_u32_e32 v4, vcc, v3, v31
	v_addc_co_u32_e32 v5, vcc, 0, v5, vcc
	s_load_dword s33, s[4:5], 0x98
	s_load_dword s2, s[4:5], 0x1c
	s_waitcnt lgkmcnt(0)
	s_barrier
	global_load_dwordx4 v[6:9], v[4:5], off
	s_waitcnt vmcnt(3)
	v_mad_i64_i32 v[2:3], s[10:11], v2, s45, 0
	v_lshlrev_b64 v[2:3], 1, v[2:3]
	v_add_co_u32_e32 v2, vcc, v29, v2
	v_addc_co_u32_e32 v3, vcc, v30, v3, vcc
	v_add_co_u32_e32 v2, vcc, v2, v31
	v_addc_co_u32_e32 v3, vcc, 0, v3, vcc
	global_load_dwordx4 v[22:25], v[2:3], off
	global_load_dwordx4 v[10:13], v[4:5], off offset:1024
	global_load_dwordx4 v[14:17], v[2:3], off offset:1024
	v_cmp_ne_u32_e32 vcc, 15, v52
	v_cndmask_b32_e32 v2, 0, v52, vcc
	v_lshlrev_b32_e32 v2, 5, v2
	v_lshl_or_b32 v20, v1, 9, v2
	ds_read_b128 v[2:5], v20
	s_waitcnt vmcnt(5)
	v_mad_i64_i32 v[18:19], s[10:11], v18, s45, 0
	v_lshlrev_b64 v[26:27], 1, v[18:19]
	ds_read_b128 v[18:21], v20 offset:2048
	v_and_or_b32 v55, v0, 48, s16
	v_mov_b32_e32 v60, s19
	v_mov_b32_e32 v49, s18
	v_or_b32_e32 v57, 0x80, v55
	v_mov_b32_e32 v56, s18
	v_mov_b32_e32 v61, s18
	s_add_u32 s3, s14, s8
	s_addc_u32 s8, s15, s9
	s_mov_b32 s42, 0xff7fffff
	s_waitcnt vmcnt(2) lgkmcnt(1)
	v_mfma_f32_16x16x16bf16_1k v[36:39], v[22:23], v[2:3], 0
	v_mad_i64_i32 v[22:23], s[10:11], v28, s45, 0
	v_lshlrev_b64 v[44:45], 1, v[22:23]
	v_ashrrev_i32_e32 v22, 4, v55
	v_or_b32_e32 v28, 64, v55
	v_mfma_f32_16x16x16bf16_1k v[32:35], v[6:7], v[2:3], 0
	v_add_co_u32_e32 v6, vcc, v29, v26
	v_addc_co_u32_e32 v7, vcc, v30, v27, vcc
	v_add_co_u32_e32 v26, vcc, v6, v31
	v_addc_co_u32_e32 v27, vcc, 0, v7, vcc
	global_load_dwordx4 v[40:43], v[26:27], off
	v_mfma_f32_16x16x16bf16_1k v[6:9], v[8:9], v[4:5], v[32:35]
	v_cmp_gt_i32_e32 vcc, s40, v55
	v_cndmask_b32_e32 v46, v60, v22, vcc
	v_cmp_gt_i32_e32 vcc, s40, v28
	v_ashrrev_i32_e32 v47, 31, v46
	s_nop 2
	global_load_dwordx4 v[32:35], v[26:27], off offset:1024
	v_mfma_f32_16x16x16bf16_1k v[22:25], v[24:25], v[4:5], v[36:39]
	s_nop 6
	v_ashrrev_i32_e32 v36, 4, v28
	v_cndmask_b32_e32 v48, v60, v36, vcc
	s_waitcnt vmcnt(3) lgkmcnt(0)
	v_mfma_f32_16x16x16bf16_1k v[6:9], v[10:11], v[18:19], v[6:9]
	v_add_co_u32_e32 v10, vcc, v29, v44
	v_addc_co_u32_e32 v11, vcc, v30, v45, vcc
	v_add_co_u32_e32 v10, vcc, v10, v31
	v_addc_co_u32_e32 v11, vcc, 0, v11, vcc
	v_lshlrev_b64 v[36:37], 2, v[46:47]
	global_load_dwordx4 v[26:29], v[10:11], off
	s_waitcnt vmcnt(3)
	v_mfma_f32_16x16x16bf16_1k v[22:25], v[14:15], v[18:19], v[22:25]
	v_add_co_u32_e32 v14, vcc, s17, v36
	v_addc_co_u32_e32 v15, vcc, v49, v37, vcc
	global_load_dword v44, v[14:15], off
	v_ashrrev_i32_e32 v38, 4, v57
	v_cmp_gt_i32_e32 vcc, s40, v57
	v_ashrrev_i32_e32 v49, 31, v48
	v_cndmask_b32_e32 v14, v60, v38, vcc
	v_mfma_f32_16x16x16bf16_1k v[36:39], v[12:13], v[20:21], v[6:9]
	v_ashrrev_i32_e32 v15, 31, v14
	v_mov_b32_e32 v12, s18
	s_nop 4
	v_lshlrev_b64 v[6:7], 2, v[48:49]
	v_add_co_u32_e32 v6, vcc, s17, v6
	v_addc_co_u32_e32 v7, vcc, v56, v7, vcc
	global_load_dwordx4 v[56:59], v[10:11], off offset:1024
	global_load_dword v45, v[6:7], off
	v_lshlrev_b64 v[6:7], 2, v[14:15]
	v_add_co_u32_e32 v10, vcc, s17, v6
	v_addc_co_u32_e32 v11, vcc, v61, v7, vcc
	s_waitcnt vmcnt(5)
	v_mfma_f32_16x16x16bf16_1k v[6:9], v[40:41], v[2:3], 0
	global_load_dword v40, v[10:11], off
	v_or_b32_e32 v10, 0xc0, v55
	v_ashrrev_i32_e32 v11, 4, v10
	v_cmp_gt_i32_e32 vcc, s40, v10
	v_cndmask_b32_e32 v10, v60, v11, vcc
	v_ashrrev_i32_e32 v11, 31, v10
	v_lshlrev_b64 v[10:11], 2, v[10:11]
	v_mfma_f32_16x16x16bf16_1k v[6:9], v[42:43], v[4:5], v[6:9]
	v_add_co_u32_e32 v10, vcc, s17, v10
	v_addc_co_u32_e32 v11, vcc, v12, v11, vcc
	global_load_dword v60, v[10:11], off
	v_lshlrev_b32_e32 v55, 5, v52
	v_lshl_or_b32 v10, v53, 9, v55
	s_waitcnt vmcnt(6)
	v_mfma_f32_16x16x16bf16_1k v[6:9], v[32:33], v[18:19], v[6:9]
	v_mov_b32_e32 v11, s8
	v_add_co_u32_e32 v61, vcc, s3, v10
	v_addc_co_u32_e32 v62, vcc, 0, v11, vcc
	v_pk_mul_f32 v[46:47], s[2:3], v[38:39] op_sel_hi:[0,1]
	v_mfma_f32_16x16x16bf16_1k v[30:33], v[34:35], v[20:21], v[6:9]
	s_waitcnt vmcnt(1)
	v_mad_i64_i32 v[34:35], s[8:9], v40, s45, 0
	s_nop 4
	v_mad_i64_i32 v[6:7], s[8:9], v44, s45, 0
	v_lshlrev_b64 v[10:11], 1, v[6:7]
	v_mfma_f32_16x16x16bf16_1k v[6:9], v[26:27], v[2:3], 0
	v_add_co_u32_e32 v2, vcc, v61, v10
	v_addc_co_u32_e32 v3, vcc, v62, v11, vcc
	v_lshlrev_b64 v[34:35], 1, v[34:35]
	v_pk_mul_f32 v[42:43], s[2:3], v[30:31] op_sel_hi:[0,1]
	v_mfma_f32_16x16x16bf16_1k v[26:29], v[28:29], v[4:5], v[6:9]
	v_mfma_f32_16x16x16bf16_1k v[22:25], v[16:17], v[20:21], v[22:25]
	global_load_dwordx4 v[14:17], v[2:3], off
	global_load_dwordx4 v[10:13], v[2:3], off offset:16
	v_mad_i64_i32 v[2:3], s[8:9], v45, s45, 0
	v_lshlrev_b64 v[2:3], 1, v[2:3]
	v_add_co_u32_e32 v2, vcc, v61, v2
	v_addc_co_u32_e32 v3, vcc, v62, v3, vcc
	v_mfma_f32_16x16x16bf16_1k v[26:29], v[56:57], v[18:19], v[26:29]
	s_nop 3
	v_pk_mul_f32 v[38:39], s[2:3], v[22:23] op_sel_hi:[0,1]
	v_add_co_u32_e32 v56, vcc, v61, v34
	v_addc_co_u32_e32 v57, vcc, v62, v35, vcc
	v_pk_mul_f32 v[18:19], s[2:3], v[36:37] op_sel_hi:[0,1]
	v_pk_mul_f32 v[48:49], s[2:3], v[24:25] op_sel_hi:[0,1]
	v_mfma_f32_16x16x16bf16_1k v[20:23], v[58:59], v[20:21], v[26:29]
	v_pk_mul_f32 v[44:45], s[2:3], v[32:33] op_sel_hi:[0,1]
	global_load_dwordx4 v[6:9], v[2:3], off
	s_nop 0
	global_load_dwordx4 v[2:5], v[2:3], off offset:16
	s_nop 6
	v_pk_mul_f32 v[40:41], s[2:3], v[20:21] op_sel_hi:[0,1]
	v_and_b32_e32 v20, 0xc0, v0
	v_add_u32_e32 v20, s16, v20
	v_lshl_or_b32 v20, v1, 2, v20
	v_pk_mul_f32 v[34:35], s[2:3], v[22:23] op_sel_hi:[0,1]
	v_or_b32_e32 v23, 1, v20
	v_mov_b32_e32 v21, 0xff7fffff
	v_cmp_gt_i32_e64 s[30:31], s40, v20
	v_cmp_gt_i32_e64 s[34:35], s40, v23
	v_cndmask_b32_e64 v22, v21, v18, s[30:31]
	v_cndmask_b32_e64 v23, v21, v19, s[34:35]
	v_max3_f32 v22, v22, s42, v23
	v_or_b32_e32 v23, 2, v20
	v_or_b32_e32 v24, 3, v20
	v_cmp_gt_i32_e64 s[36:37], s40, v23
	v_cmp_gt_i32_e64 s[38:39], s40, v24
	v_cndmask_b32_e64 v23, v21, v46, s[36:37]
	v_cndmask_b32_e64 v24, v21, v47, s[38:39]
	v_max3_f32 v22, v22, v23, v24
	v_or_b32_e32 v23, 16, v20
	v_or_b32_e32 v24, 17, v20
	;; [unrolled: 7-line block ×7, first 2 shown]
	v_cmp_gt_i32_e32 vcc, s40, v23
	v_cmp_gt_i32_e64 s[2:3], s40, v20
	v_cndmask_b32_e32 v23, v21, v34, vcc
	v_cndmask_b32_e64 v20, v21, v35, s[2:3]
	v_max3_f32 v26, v22, v23, v20
	v_mbcnt_lo_u32_b32 v20, -1, 0
	v_mbcnt_hi_u32_b32 v27, -1, v20
	v_and_b32_e32 v20, 64, v27
	v_add_u32_e32 v28, 64, v20
	v_xor_b32_e32 v20, 32, v27
	v_cmp_lt_i32_e64 s[40:41], v20, v28
	v_cndmask_b32_e64 v20, v27, v20, s[40:41]
	v_lshlrev_b32_e32 v58, 2, v20
	ds_bpermute_b32 v29, v58, v26
	s_waitcnt vmcnt(4)
	v_mad_i64_i32 v[20:21], s[40:41], v60, s45, 0
	global_load_dwordx4 v[30:33], v[56:57], off
	global_load_dwordx4 v[22:25], v[56:57], off offset:16
	v_lshlrev_b64 v[20:21], 1, v[20:21]
	s_waitcnt lgkmcnt(0)
	v_max_f32_e32 v29, v29, v29
	v_max_f32_e32 v26, v26, v29
	v_xor_b32_e32 v29, 16, v27
	v_cmp_lt_i32_e64 s[40:41], v29, v28
	v_cndmask_b32_e64 v27, v27, v29, s[40:41]
	v_lshlrev_b32_e32 v57, 2, v27
	ds_bpermute_b32 v27, v57, v26
	v_add_co_u32_e64 v20, s[40:41], v61, v20
	v_addc_co_u32_e64 v21, s[40:41], v62, v21, s[40:41]
	s_waitcnt lgkmcnt(0)
	v_max_f32_e32 v27, v27, v27
	v_max_f32_e32 v56, v26, v27
	v_sub_f32_e32 v18, v18, v56
	v_mul_f32_e32 v18, 0x3fb8aa3b, v18
	v_exp_f32_e32 v36, v18
	v_sub_f32_e32 v18, v19, v56
	v_mul_f32_e32 v18, 0x3fb8aa3b, v18
	v_exp_f32_e32 v37, v18
	global_load_dwordx4 v[26:29], v[20:21], off
	s_nop 0
	global_load_dwordx4 v[18:21], v[20:21], off offset:16
	v_sub_f32_e32 v46, v46, v56
	v_mul_f32_e32 v46, 0x3fb8aa3b, v46
	v_sub_f32_e32 v47, v47, v56
	v_exp_f32_e32 v46, v46
	v_mul_f32_e32 v47, 0x3fb8aa3b, v47
	v_sub_f32_e32 v38, v38, v56
	v_exp_f32_e32 v47, v47
	v_mul_f32_e32 v38, 0x3fb8aa3b, v38
	v_sub_f32_e32 v39, v39, v56
	v_cndmask_b32_e64 v36, 0, v36, s[30:31]
	v_exp_f32_e32 v38, v38
	v_mul_f32_e32 v39, 0x3fb8aa3b, v39
	v_sub_f32_e32 v48, v48, v56
	v_add_f32_e32 v59, 0, v36
	v_cndmask_b32_e64 v37, 0, v37, s[34:35]
	v_exp_f32_e32 v39, v39
	v_mul_f32_e32 v48, 0x3fb8aa3b, v48
	v_sub_f32_e32 v49, v49, v56
	v_add_f32_e32 v59, v59, v37
	v_cndmask_b32_e64 v46, 0, v46, s[36:37]
	v_exp_f32_e32 v48, v48
	v_mul_f32_e32 v49, 0x3fb8aa3b, v49
	v_sub_f32_e32 v42, v42, v56
	v_add_f32_e32 v59, v59, v46
	v_cndmask_b32_e64 v47, 0, v47, s[38:39]
	v_exp_f32_e32 v49, v49
	v_mul_f32_e32 v42, 0x3fb8aa3b, v42
	v_sub_f32_e32 v43, v43, v56
	v_add_f32_e32 v59, v59, v47
	v_cndmask_b32_e64 v38, 0, v38, s[24:25]
	v_exp_f32_e32 v42, v42
	v_mul_f32_e32 v43, 0x3fb8aa3b, v43
	v_sub_f32_e32 v44, v44, v56
	v_add_f32_e32 v59, v59, v38
	v_cndmask_b32_e64 v39, 0, v39, s[26:27]
	v_exp_f32_e32 v43, v43
	v_mul_f32_e32 v44, 0x3fb8aa3b, v44
	v_sub_f32_e32 v45, v45, v56
	v_add_f32_e32 v59, v59, v39
	v_cndmask_b32_e64 v48, 0, v48, s[20:21]
	v_exp_f32_e32 v44, v44
	v_mul_f32_e32 v45, 0x3fb8aa3b, v45
	v_sub_f32_e32 v40, v40, v56
	v_add_f32_e32 v59, v59, v48
	v_cndmask_b32_e64 v49, 0, v49, s[22:23]
	v_exp_f32_e32 v45, v45
	v_mul_f32_e32 v40, 0x3fb8aa3b, v40
	v_sub_f32_e32 v41, v41, v56
	v_add_f32_e32 v59, v59, v49
	v_cndmask_b32_e64 v42, 0, v42, s[16:17]
	v_exp_f32_e32 v40, v40
	v_mul_f32_e32 v41, 0x3fb8aa3b, v41
	v_sub_f32_e32 v34, v34, v56
	v_add_f32_e32 v59, v59, v42
	v_cndmask_b32_e64 v43, 0, v43, s[18:19]
	v_exp_f32_e32 v41, v41
	v_mul_f32_e32 v34, 0x3fb8aa3b, v34
	v_sub_f32_e32 v35, v35, v56
	v_add_f32_e32 v59, v59, v43
	v_cndmask_b32_e64 v44, 0, v44, s[12:13]
	v_exp_f32_e32 v34, v34
	v_mul_f32_e32 v35, 0x3fb8aa3b, v35
	v_add_f32_e32 v59, v59, v44
	v_cndmask_b32_e64 v45, 0, v45, s[14:15]
	v_exp_f32_e32 v35, v35
	v_add_f32_e32 v59, v59, v45
	v_cndmask_b32_e64 v40, 0, v40, s[8:9]
	v_add_f32_e32 v59, v59, v40
	v_cndmask_b32_e64 v41, 0, v41, s[10:11]
	v_add_f32_e32 v59, v59, v41
	v_cndmask_b32_e32 v34, 0, v34, vcc
	v_add_f32_e32 v59, v59, v34
	v_cndmask_b32_e64 v35, 0, v35, s[2:3]
	v_add_f32_e32 v59, v59, v35
	ds_bpermute_b32 v58, v58, v59
	v_cmp_gt_u32_e32 vcc, 16, v54
	s_waitcnt lgkmcnt(0)
	s_barrier
	v_add_f32_e32 v58, v59, v58
	ds_bpermute_b32 v59, v57, v58
	v_lshlrev_b32_e32 v57, 2, v52
	s_and_saveexec_b64 s[2:3], vcc
	s_cbranch_execz .LBB242_13
; %bb.12:
	s_waitcnt lgkmcnt(0)
	v_add_f32_e32 v54, v58, v59
	v_lshl_or_b32 v58, v53, 6, v57
	ds_write2st64_b32 v58, v56, v54 offset1:1
.LBB242_13:
	s_or_b64 exec, exec, s[2:3]
	s_load_dword s8, s[4:5], 0x94
	s_waitcnt lgkmcnt(0)
	s_barrier
	ds_read2_b32 v[58:59], v57 offset1:16
	ds_read2_b32 v[60:61], v57 offset0:32 offset1:48
	ds_read2_b32 v[62:63], v57 offset0:64 offset1:80
	s_movk_i32 s10, 0x7fff
	s_mov_b32 s11, 0x7060302
	s_waitcnt lgkmcnt(2)
	v_max3_f32 v54, v58, s42, v59
	s_waitcnt lgkmcnt(1)
	v_max3_f32 v54, v54, v60, v61
	v_sub_f32_e32 v56, v58, v54
	v_mul_f32_e32 v56, 0x3fb8aa3b, v56
	v_exp_f32_e32 v64, v56
	v_sub_f32_e32 v56, v59, v54
	v_mul_f32_e32 v56, 0x3fb8aa3b, v56
	v_exp_f32_e32 v65, v56
	;; [unrolled: 3-line block ×3, first 2 shown]
	ds_read2_b32 v[58:59], v57 offset0:96 offset1:112
	v_sub_f32_e32 v56, v61, v54
	v_mul_f32_e32 v56, 0x3fb8aa3b, v56
	v_exp_f32_e32 v57, v56
	s_waitcnt lgkmcnt(1)
	v_fma_f32 v56, v64, v62, 0
	v_fmac_f32_e32 v56, v65, v63
	s_waitcnt lgkmcnt(0)
	v_fmac_f32_e32 v56, v60, v58
	v_fmac_f32_e32 v56, v57, v59
	v_add_f32_e32 v58, 0x358637bd, v56
	v_div_scale_f32 v59, s[2:3], v58, v58, 1.0
	v_rcp_f32_e32 v61, v59
	s_barrier
	v_fma_f32 v62, -v59, v61, 1.0
	v_fmac_f32_e32 v61, v62, v61
	v_div_scale_f32 v62, vcc, 1.0, v58, 1.0
	v_mul_f32_e32 v63, v62, v61
	v_fma_f32 v66, -v59, v63, v62
	v_fmac_f32_e32 v63, v66, v61
	v_fma_f32 v59, -v59, v63, v62
	v_div_fmas_f32 v59, v59, v61, v63
	v_cmp_eq_u32_e32 vcc, 1, v53
	v_div_fixup_f32 v58, v59, v58, 1.0
	v_cndmask_b32_e32 v59, v64, v65, vcc
	v_cmp_eq_u32_e32 vcc, 2, v53
	v_cndmask_b32_e32 v59, v59, v60, vcc
	v_cmp_eq_u32_e32 vcc, 3, v53
	v_cndmask_b32_e32 v57, v59, v57, vcc
	v_mul_f32_e32 v58, v57, v58
	v_pk_mul_f32 v[36:37], v[58:59], v[36:37] op_sel_hi:[0,1]
	v_pk_mul_f32 v[46:47], v[58:59], v[46:47] op_sel_hi:[0,1]
	v_bfe_u32 v57, v37, 16, 1
	v_bfe_u32 v59, v36, 16, 1
	v_add3_u32 v36, v36, v59, s10
	v_add3_u32 v37, v37, v57, s10
	v_perm_b32 v60, v37, v36, s11
	v_bfe_u32 v36, v47, 16, 1
	v_bfe_u32 v37, v46, 16, 1
	v_add3_u32 v37, v46, v37, s10
	v_add3_u32 v36, v47, v36, s10
	v_perm_b32 v61, v36, v37, s11
	v_lshlrev_b32_e32 v36, 3, v1
	v_lshlrev_b32_e32 v37, 11, v53
	v_pk_mul_f32 v[38:39], v[58:59], v[38:39] op_sel_hi:[0,1]
	v_or3_b32 v36, v37, v55, v36
	v_pk_mul_f32 v[46:47], v[58:59], v[48:49] op_sel_hi:[0,1]
	v_bfe_u32 v37, v39, 16, 1
	v_bfe_u32 v48, v38, 16, 1
	v_add3_u32 v38, v38, v48, s10
	v_add3_u32 v37, v39, v37, s10
	v_perm_b32 v38, v37, v38, s11
	v_bfe_u32 v37, v47, 16, 1
	v_bfe_u32 v39, v46, 16, 1
	v_add3_u32 v39, v46, v39, s10
	v_add3_u32 v37, v47, v37, s10
	v_perm_b32 v39, v37, v39, s11
	v_pk_mul_f32 v[42:43], v[58:59], v[42:43] op_sel_hi:[0,1]
	ds_write2st64_b64 v36, v[60:61], v[38:39] offset1:1
	v_pk_mul_f32 v[38:39], v[58:59], v[44:45] op_sel_hi:[0,1]
	v_bfe_u32 v37, v43, 16, 1
	v_bfe_u32 v44, v42, 16, 1
	v_add3_u32 v42, v42, v44, s10
	v_add3_u32 v37, v43, v37, s10
	v_perm_b32 v42, v37, v42, s11
	v_bfe_u32 v37, v39, 16, 1
	v_bfe_u32 v43, v38, 16, 1
	v_add3_u32 v38, v38, v43, s10
	v_add3_u32 v37, v39, v37, s10
	v_perm_b32 v43, v37, v38, s11
	v_pk_mul_f32 v[38:39], v[58:59], v[40:41] op_sel_hi:[0,1]
	v_bfe_u32 v37, v39, 16, 1
	v_bfe_u32 v40, v38, 16, 1
	v_pk_mul_f32 v[34:35], v[58:59], v[34:35] op_sel_hi:[0,1]
	v_add3_u32 v38, v38, v40, s10
	v_add3_u32 v37, v39, v37, s10
	v_perm_b32 v38, v37, v38, s11
	v_bfe_u32 v37, v35, 16, 1
	v_bfe_u32 v39, v34, 16, 1
	v_add3_u32 v34, v34, v39, s10
	v_add3_u32 v35, v35, v37, s10
	s_mul_i32 s9, s33, 15
	v_perm_b32 v39, v35, v34, s11
	v_cmp_gt_u32_e32 vcc, 15, v0
	ds_write2st64_b64 v36, v[42:43], v[38:39] offset0:2 offset1:3
	s_and_saveexec_b64 s[2:3], vcc
	s_cbranch_execz .LBB242_15
; %bb.14:
	v_add_co_u32_e32 v38, vcc, s29, v52
	v_addc_co_u32_e64 v39, s[16:17], 0, 0, vcc
	v_mov_b32_e32 v34, s9
	v_mov_b32_e32 v35, 0
	v_mad_u64_u32 v[38:39], s[16:17], s6, v34, v[38:39]
	v_mov_b32_e32 v34, s28
	s_load_dwordx4 s[12:15], s[4:5], 0x58
	s_mul_i32 s7, s7, s9
	v_mad_u64_u32 v[34:35], s[16:17], v38, s8, v[34:35]
	v_add_u32_e32 v37, s7, v39
	v_mov_b32_e32 v38, v35
	v_mad_u64_u32 v[38:39], s[16:17], v37, s8, v[38:39]
	v_mov_b32_e32 v35, v38
	v_lshlrev_b64 v[34:35], 2, v[34:35]
	s_waitcnt lgkmcnt(0)
	v_mov_b32_e32 v37, s15
	v_add_co_u32_e32 v38, vcc, s14, v34
	v_addc_co_u32_e32 v39, vcc, v37, v35, vcc
	v_mov_b32_e32 v37, s13
	v_add_co_u32_e32 v34, vcc, s12, v34
	v_addc_co_u32_e32 v35, vcc, v37, v35, vcc
	global_store_dword v[38:39], v54, off
	global_store_dword v[34:35], v56, off
.LBB242_15:
	s_or_b64 exec, exec, s[2:3]
	v_lshl_or_b32 v34, v1, 9, v55
	s_waitcnt lgkmcnt(0)
	s_barrier
	ds_read_b128 v[38:41], v34
	ds_read_b128 v[42:45], v34 offset:16
	s_waitcnt vmcnt(7) lgkmcnt(1)
	v_mfma_f32_16x16x16bf16_1k v[46:49], v[14:15], v[38:39], 0
	v_cmp_gt_u32_e32 vcc, 64, v0
	s_mov_b32 s3, 0
	s_and_b64 s[0:1], vcc, s[0:1]
	v_mfma_f32_16x16x16bf16_1k v[14:17], v[16:17], v[40:41], v[46:49]
	s_waitcnt vmcnt(6) lgkmcnt(0)
	v_mfma_f32_16x16x16bf16_1k v[14:17], v[10:11], v[42:43], v[14:17]
	v_mfma_f32_16x16x16bf16_1k v[10:13], v[12:13], v[44:45], v[14:17]
	s_nop 7
	s_nop 1
	ds_read_b128 v[14:17], v34 offset:2048
	ds_read_b128 v[38:41], v34 offset:2064
	s_waitcnt vmcnt(5) lgkmcnt(1)
	v_mfma_f32_16x16x16bf16_1k v[10:13], v[6:7], v[14:15], v[10:13]
	v_mfma_f32_16x16x16bf16_1k v[6:9], v[8:9], v[16:17], v[10:13]
	s_waitcnt vmcnt(4) lgkmcnt(0)
	v_mfma_f32_16x16x16bf16_1k v[6:9], v[2:3], v[38:39], v[6:9]
	v_mfma_f32_16x16x16bf16_1k v[2:5], v[4:5], v[40:41], v[6:9]
	s_nop 7
	s_nop 1
	ds_read_b128 v[6:9], v34 offset:4096
	ds_read_b128 v[10:13], v34 offset:4112
	s_waitcnt vmcnt(3) lgkmcnt(1)
	v_mfma_f32_16x16x16bf16_1k v[2:5], v[30:31], v[6:7], v[2:5]
	v_mfma_f32_16x16x16bf16_1k v[2:5], v[32:33], v[8:9], v[2:5]
	s_waitcnt vmcnt(2) lgkmcnt(0)
	v_mfma_f32_16x16x16bf16_1k v[2:5], v[22:23], v[10:11], v[2:5]
	v_mfma_f32_16x16x16bf16_1k v[2:5], v[24:25], v[12:13], v[2:5]
	ds_read_b128 v[6:9], v34 offset:6144
	ds_read_b128 v[10:13], v34 offset:6160
	s_waitcnt lgkmcnt(0)
	s_barrier
	s_waitcnt vmcnt(1)
	v_mfma_f32_16x16x16bf16_1k v[2:5], v[26:27], v[6:7], v[2:5]
	v_mfma_f32_16x16x16bf16_1k v[2:5], v[28:29], v[8:9], v[2:5]
	s_waitcnt vmcnt(0)
	v_mfma_f32_16x16x16bf16_1k v[2:5], v[18:19], v[10:11], v[2:5]
	v_mfma_f32_16x16x16bf16_1k v[2:5], v[20:21], v[12:13], v[2:5]
	s_nop 7
	s_nop 2
	v_bfe_u32 v6, v3, 16, 1
	v_bfe_u32 v7, v2, 16, 1
	;; [unrolled: 1-line block ×4, first 2 shown]
	v_add3_u32 v2, v2, v7, s10
	v_add3_u32 v3, v3, v6, s10
	;; [unrolled: 1-line block ×4, first 2 shown]
	v_perm_b32 v2, v3, v2, s11
	v_perm_b32 v3, v5, v4, s11
	ds_write_b64 v36, v[2:3]
	s_waitcnt lgkmcnt(0)
	s_barrier
	s_and_saveexec_b64 s[10:11], s[0:1]
	s_cbranch_execz .LBB242_18
; %bb.16:
	s_load_dwordx2 s[4:5], s[4:5], 0x68
	s_lshl_b32 s0, s8, 6
	s_mul_i32 s1, s9, s6
	s_mul_hi_u32 s7, s1, s0
	s_mul_i32 s6, s1, s0
	s_lshl_b64 s[6:7], s[6:7], 1
	s_waitcnt lgkmcnt(0)
	s_add_u32 s1, s4, s6
	v_lshlrev_b32_e32 v0, 10, v0
	s_addc_u32 s4, s5, s7
	s_lshl_b32 s2, s28, 6
	v_and_b32_e32 v0, 0x1800, v0
	v_lshlrev_b32_e32 v2, 5, v1
	v_and_b32_e32 v3, 16, v51
	s_lshl_b64 s[2:3], s[2:3], 1
	v_or3_b32 v0, v0, v2, v3
	s_add_u32 s1, s1, s2
	ds_read_b128 v[4:7], v0 offset:256
	s_addc_u32 s2, s4, s3
	ds_read_b128 v[8:11], v0 offset:128
	ds_read_b128 v[12:15], v0
	v_add_u32_e32 v18, s29, v1
	v_mov_b32_e32 v3, s2
	v_add_co_u32_e32 v2, vcc, s1, v50
	v_mad_u64_u32 v[16:17], s[2:3], v18, s0, 0
	v_addc_co_u32_e32 v3, vcc, 0, v3, vcc
	v_lshlrev_b64 v[16:17], 1, v[16:17]
	v_add_co_u32_e32 v16, vcc, v2, v16
	v_addc_co_u32_e32 v17, vcc, v3, v17, vcc
	s_waitcnt lgkmcnt(0)
	global_store_dwordx4 v[16:17], v[12:15], off
	s_nop 0
	v_add_u32_e32 v12, 4, v18
	v_mad_u64_u32 v[12:13], s[2:3], v12, s0, 0
	v_lshlrev_b64 v[12:13], 1, v[12:13]
	v_add_co_u32_e32 v12, vcc, v2, v12
	v_addc_co_u32_e32 v13, vcc, v3, v13, vcc
	global_store_dwordx4 v[12:13], v[8:11], off
	s_nop 0
	v_add_u32_e32 v8, 8, v18
	v_mad_u64_u32 v[8:9], s[2:3], v8, s0, 0
	v_lshlrev_b64 v[8:9], 1, v[8:9]
	v_add_co_u32_e32 v8, vcc, v2, v8
	v_addc_co_u32_e32 v9, vcc, v3, v9, vcc
	v_cmp_ne_u32_e32 vcc, 3, v1
	global_store_dwordx4 v[8:9], v[4:7], off
	s_and_b64 exec, exec, vcc
	s_cbranch_execz .LBB242_18
; %bb.17:
	ds_read_b128 v[4:7], v0 offset:384
	v_add3_u32 v0, s29, v1, 12
	v_mad_u64_u32 v[0:1], s[0:1], v0, s0, 0
	v_lshlrev_b64 v[0:1], 1, v[0:1]
	v_add_co_u32_e32 v0, vcc, v2, v0
	v_addc_co_u32_e32 v1, vcc, v3, v1, vcc
	s_waitcnt lgkmcnt(0)
	global_store_dwordx4 v[0:1], v[4:7], off
.LBB242_18:
	s_endpgm
	.section	.rodata,"a",@progbits
	.p2align	6, 0x0
	.amdhsa_kernel _Z39paged_attention_ll4mi_QKV_mfma16_kernelI14__hip_bfloat16S0_LN4vllm18Fp8KVCacheDataTypeE0ES0_Li16ELi64ELi256ELb0ELi15EL8MFMAType0EEvPKT_PKT0_S9_ifPKiSB_SB_iPKfiiiPfSE_PS4_PT2_iSD_SD_
		.amdhsa_group_segment_fixed_size 8192
		.amdhsa_private_segment_fixed_size 0
		.amdhsa_kernarg_size 400
		.amdhsa_user_sgpr_count 6
		.amdhsa_user_sgpr_private_segment_buffer 1
		.amdhsa_user_sgpr_dispatch_ptr 0
		.amdhsa_user_sgpr_queue_ptr 0
		.amdhsa_user_sgpr_kernarg_segment_ptr 1
		.amdhsa_user_sgpr_dispatch_id 0
		.amdhsa_user_sgpr_flat_scratch_init 0
		.amdhsa_user_sgpr_kernarg_preload_length 0
		.amdhsa_user_sgpr_kernarg_preload_offset 0
		.amdhsa_user_sgpr_private_segment_size 0
		.amdhsa_uses_dynamic_stack 0
		.amdhsa_system_sgpr_private_segment_wavefront_offset 0
		.amdhsa_system_sgpr_workgroup_id_x 1
		.amdhsa_system_sgpr_workgroup_id_y 1
		.amdhsa_system_sgpr_workgroup_id_z 1
		.amdhsa_system_sgpr_workgroup_info 0
		.amdhsa_system_vgpr_workitem_id 0
		.amdhsa_next_free_vgpr 67
		.amdhsa_next_free_sgpr 48
		.amdhsa_accum_offset 68
		.amdhsa_reserve_vcc 1
		.amdhsa_reserve_flat_scratch 0
		.amdhsa_float_round_mode_32 0
		.amdhsa_float_round_mode_16_64 0
		.amdhsa_float_denorm_mode_32 3
		.amdhsa_float_denorm_mode_16_64 3
		.amdhsa_dx10_clamp 1
		.amdhsa_ieee_mode 1
		.amdhsa_fp16_overflow 0
		.amdhsa_tg_split 0
		.amdhsa_exception_fp_ieee_invalid_op 0
		.amdhsa_exception_fp_denorm_src 0
		.amdhsa_exception_fp_ieee_div_zero 0
		.amdhsa_exception_fp_ieee_overflow 0
		.amdhsa_exception_fp_ieee_underflow 0
		.amdhsa_exception_fp_ieee_inexact 0
		.amdhsa_exception_int_div_zero 0
	.end_amdhsa_kernel
	.section	.text._Z39paged_attention_ll4mi_QKV_mfma16_kernelI14__hip_bfloat16S0_LN4vllm18Fp8KVCacheDataTypeE0ES0_Li16ELi64ELi256ELb0ELi15EL8MFMAType0EEvPKT_PKT0_S9_ifPKiSB_SB_iPKfiiiPfSE_PS4_PT2_iSD_SD_,"axG",@progbits,_Z39paged_attention_ll4mi_QKV_mfma16_kernelI14__hip_bfloat16S0_LN4vllm18Fp8KVCacheDataTypeE0ES0_Li16ELi64ELi256ELb0ELi15EL8MFMAType0EEvPKT_PKT0_S9_ifPKiSB_SB_iPKfiiiPfSE_PS4_PT2_iSD_SD_,comdat
.Lfunc_end242:
	.size	_Z39paged_attention_ll4mi_QKV_mfma16_kernelI14__hip_bfloat16S0_LN4vllm18Fp8KVCacheDataTypeE0ES0_Li16ELi64ELi256ELb0ELi15EL8MFMAType0EEvPKT_PKT0_S9_ifPKiSB_SB_iPKfiiiPfSE_PS4_PT2_iSD_SD_, .Lfunc_end242-_Z39paged_attention_ll4mi_QKV_mfma16_kernelI14__hip_bfloat16S0_LN4vllm18Fp8KVCacheDataTypeE0ES0_Li16ELi64ELi256ELb0ELi15EL8MFMAType0EEvPKT_PKT0_S9_ifPKiSB_SB_iPKfiiiPfSE_PS4_PT2_iSD_SD_
                                        ; -- End function
	.section	.AMDGPU.csdata,"",@progbits
; Kernel info:
; codeLenInByte = 4288
; NumSgprs: 52
; NumVgprs: 67
; NumAgprs: 0
; TotalNumVgprs: 67
; ScratchSize: 0
; MemoryBound: 0
; FloatMode: 240
; IeeeMode: 1
; LDSByteSize: 8192 bytes/workgroup (compile time only)
; SGPRBlocks: 6
; VGPRBlocks: 8
; NumSGPRsForWavesPerEU: 52
; NumVGPRsForWavesPerEU: 67
; AccumOffset: 68
; Occupancy: 7
; WaveLimiterHint : 1
; COMPUTE_PGM_RSRC2:SCRATCH_EN: 0
; COMPUTE_PGM_RSRC2:USER_SGPR: 6
; COMPUTE_PGM_RSRC2:TRAP_HANDLER: 0
; COMPUTE_PGM_RSRC2:TGID_X_EN: 1
; COMPUTE_PGM_RSRC2:TGID_Y_EN: 1
; COMPUTE_PGM_RSRC2:TGID_Z_EN: 1
; COMPUTE_PGM_RSRC2:TIDIG_COMP_CNT: 0
; COMPUTE_PGM_RSRC3_GFX90A:ACCUM_OFFSET: 16
; COMPUTE_PGM_RSRC3_GFX90A:TG_SPLIT: 0
	.section	.text._Z39paged_attention_ll4mi_QKV_mfma16_kernelI14__hip_bfloat16S0_LN4vllm18Fp8KVCacheDataTypeE0ES0_Li16ELi64ELi256ELb0ELi16EL8MFMAType0EEvPKT_PKT0_S9_ifPKiSB_SB_iPKfiiiPfSE_PS4_PT2_iSD_SD_,"axG",@progbits,_Z39paged_attention_ll4mi_QKV_mfma16_kernelI14__hip_bfloat16S0_LN4vllm18Fp8KVCacheDataTypeE0ES0_Li16ELi64ELi256ELb0ELi16EL8MFMAType0EEvPKT_PKT0_S9_ifPKiSB_SB_iPKfiiiPfSE_PS4_PT2_iSD_SD_,comdat
	.protected	_Z39paged_attention_ll4mi_QKV_mfma16_kernelI14__hip_bfloat16S0_LN4vllm18Fp8KVCacheDataTypeE0ES0_Li16ELi64ELi256ELb0ELi16EL8MFMAType0EEvPKT_PKT0_S9_ifPKiSB_SB_iPKfiiiPfSE_PS4_PT2_iSD_SD_ ; -- Begin function _Z39paged_attention_ll4mi_QKV_mfma16_kernelI14__hip_bfloat16S0_LN4vllm18Fp8KVCacheDataTypeE0ES0_Li16ELi64ELi256ELb0ELi16EL8MFMAType0EEvPKT_PKT0_S9_ifPKiSB_SB_iPKfiiiPfSE_PS4_PT2_iSD_SD_
	.globl	_Z39paged_attention_ll4mi_QKV_mfma16_kernelI14__hip_bfloat16S0_LN4vllm18Fp8KVCacheDataTypeE0ES0_Li16ELi64ELi256ELb0ELi16EL8MFMAType0EEvPKT_PKT0_S9_ifPKiSB_SB_iPKfiiiPfSE_PS4_PT2_iSD_SD_
	.p2align	8
	.type	_Z39paged_attention_ll4mi_QKV_mfma16_kernelI14__hip_bfloat16S0_LN4vllm18Fp8KVCacheDataTypeE0ES0_Li16ELi64ELi256ELb0ELi16EL8MFMAType0EEvPKT_PKT0_S9_ifPKiSB_SB_iPKfiiiPfSE_PS4_PT2_iSD_SD_,@function
_Z39paged_attention_ll4mi_QKV_mfma16_kernelI14__hip_bfloat16S0_LN4vllm18Fp8KVCacheDataTypeE0ES0_Li16ELi64ELi256ELb0ELi16EL8MFMAType0EEvPKT_PKT0_S9_ifPKiSB_SB_iPKfiiiPfSE_PS4_PT2_iSD_SD_: ; @_Z39paged_attention_ll4mi_QKV_mfma16_kernelI14__hip_bfloat16S0_LN4vllm18Fp8KVCacheDataTypeE0ES0_Li16ELi64ELi256ELb0ELi16EL8MFMAType0EEvPKT_PKT0_S9_ifPKiSB_SB_iPKfiiiPfSE_PS4_PT2_iSD_SD_
; %bb.0:
	s_load_dwordx2 s[0:1], s[4:5], 0x30
	s_mov_b32 s28, s7
	s_mov_b64 s[10:11], 0
	s_waitcnt lgkmcnt(0)
	s_cmp_lg_u64 s[0:1], 0
	s_cselect_b64 s[2:3], -1, 0
	s_and_b64 vcc, exec, s[2:3]
	s_cbranch_vccz .LBB243_7
; %bb.1:
	s_add_i32 s12, s6, 1
	s_mov_b32 s13, 0
	s_lshl_b64 s[14:15], s[12:13], 2
	s_add_u32 s14, s0, s14
	s_mov_b32 s7, s13
	s_addc_u32 s15, s1, s15
	s_lshl_b64 s[12:13], s[6:7], 2
	s_add_u32 s12, s0, s12
	s_addc_u32 s13, s1, s13
	s_load_dword s9, s[14:15], 0x0
	s_load_dword s16, s[12:13], 0x0
	s_waitcnt lgkmcnt(0)
	s_sub_i32 s9, s9, s16
	s_cmp_eq_u32 s9, 1
	s_cselect_b64 s[12:13], -1, 0
	s_andn2_b64 vcc, exec, s[10:11]
	s_cbranch_vccnz .LBB243_3
.LBB243_2:
	s_mov_b32 s7, 0
	s_mov_b64 s[12:13], -1
.LBB243_3:
	s_andn2_b64 vcc, exec, s[12:13]
	s_cbranch_vccnz .LBB243_17
; %bb.4:
	s_load_dwordx2 s[12:13], s[4:5], 0x28
	s_lshl_b64 s[10:11], s[6:7], 2
	s_waitcnt lgkmcnt(0)
	s_add_u32 s12, s12, s10
	s_addc_u32 s13, s13, s11
	s_load_dword s40, s[12:13], 0x0
	s_lshl_b32 s16, s28, 8
	s_waitcnt lgkmcnt(0)
	s_cmp_ge_i32 s16, s40
	s_cbranch_scc1 .LBB243_17
; %bb.5:
	s_add_i32 s14, s40, 15
	s_load_dwordx2 s[12:13], s[4:5], 0x20
	s_load_dword s9, s[4:5], 0x38
	s_ashr_i32 s15, s14, 31
	v_and_b32_e32 v1, 0xcf, v0
	s_lshr_b32 s15, s15, 28
	v_add_u32_e32 v1, s16, v1
	s_add_i32 s14, s14, s15
	v_ashrrev_i32_e32 v2, 31, v1
	s_ashr_i32 s19, s14, 4
	v_lshrrev_b32_e32 v10, 28, v2
	s_add_i32 s19, s19, -1
	v_add_u32_e32 v2, v1, v10
	s_waitcnt lgkmcnt(0)
	s_mul_i32 s14, s6, s9
	s_mov_b32 s15, 0
	v_ashrrev_i32_e32 v2, 4, v2
	v_mov_b32_e32 v11, s19
	v_cmp_gt_i32_e32 vcc, s40, v1
	s_lshl_b64 s[14:15], s[14:15], 2
	v_cndmask_b32_e32 v2, v11, v2, vcc
	s_add_u32 s17, s12, s14
	v_ashrrev_i32_e32 v3, 31, v2
	s_addc_u32 s18, s13, s15
	v_lshlrev_b64 v[2:3], 2, v[2:3]
	v_mov_b32_e32 v5, s18
	v_add_co_u32_e32 v4, vcc, s17, v2
	v_or_b32_e32 v2, 16, v1
	v_addc_co_u32_e32 v5, vcc, v5, v3, vcc
	v_add_u32_e32 v3, v2, v10
	v_ashrrev_i32_e32 v3, 4, v3
	v_cmp_gt_i32_e32 vcc, s40, v2
	v_cndmask_b32_e32 v2, v11, v3, vcc
	v_ashrrev_i32_e32 v3, 31, v2
	v_lshlrev_b64 v[2:3], 2, v[2:3]
	v_mov_b32_e32 v7, s18
	v_add_co_u32_e32 v6, vcc, s17, v2
	v_or_b32_e32 v2, 32, v1
	v_addc_co_u32_e32 v7, vcc, v7, v3, vcc
	v_add_u32_e32 v3, v2, v10
	v_ashrrev_i32_e32 v3, 4, v3
	v_cmp_gt_i32_e32 vcc, s40, v2
	v_cndmask_b32_e32 v2, v11, v3, vcc
	v_ashrrev_i32_e32 v3, 31, v2
	;; [unrolled: 10-line block ×3, first 2 shown]
	v_lshlrev_b64 v[2:3], 2, v[2:3]
	v_mov_b32_e32 v1, s18
	v_add_co_u32_e32 v10, vcc, s17, v2
	v_addc_co_u32_e32 v11, vcc, v1, v3, vcc
	global_load_dword v3, v[4:5], off
	global_load_dword v2, v[6:7], off
	;; [unrolled: 1-line block ×4, first 2 shown]
	s_load_dwordx4 s[12:15], s[4:5], 0x8
	s_andn2_b64 vcc, exec, s[2:3]
	s_cbranch_vccnz .LBB243_8
; %bb.6:
	s_add_u32 s0, s0, s10
	s_addc_u32 s1, s1, s11
	s_load_dword s9, s[0:1], 0x0
	s_branch .LBB243_9
.LBB243_7:
	s_mov_b64 s[12:13], 0
	s_branch .LBB243_2
.LBB243_8:
	s_mov_b32 s9, s6
.LBB243_9:
	s_load_dwordx4 s[44:47], s[4:5], 0x48
	v_and_b32_e32 v55, 15, v0
	s_movk_i32 s0, 0x100
	v_lshlrev_b32_e32 v4, 3, v55
	v_cmp_gt_u32_e32 vcc, s0, v0
	v_cmp_gt_u32_e64 s[0:1], 8, v55
	v_lshrrev_b32_e32 v53, 6, v0
	v_and_b32_e32 v54, 63, v0
	v_bfe_u32 v1, v0, 4, 2
	s_lshl_b32 s29, s8, 4
	s_and_b64 s[10:11], vcc, s[0:1]
	v_lshlrev_b32_e32 v50, 1, v4
	s_and_saveexec_b64 s[2:3], s[10:11]
	s_cbranch_execz .LBB243_11
; %bb.10:
	s_load_dwordx2 s[10:11], s[4:5], 0x0
	s_waitcnt lgkmcnt(0)
	s_ashr_i32 s20, s44, 31
	s_mul_hi_u32 s21, s9, s44
	s_mul_i32 s20, s9, s20
	v_lshl_or_b32 v8, v53, 2, v1
	s_add_i32 s21, s21, s20
	s_mul_i32 s20, s9, s44
	s_lshl_b64 s[20:21], s[20:21], 1
	v_add_lshl_u32 v4, v8, s29, 6
	s_add_u32 s9, s10, s20
	v_ashrrev_i32_e32 v5, 31, v4
	s_addc_u32 s10, s11, s21
	v_lshlrev_b64 v[4:5], 1, v[4:5]
	v_mov_b32_e32 v6, s10
	v_add_co_u32_e32 v4, vcc, s9, v4
	v_addc_co_u32_e32 v5, vcc, v6, v5, vcc
	v_add_co_u32_e32 v4, vcc, v4, v50
	v_addc_co_u32_e32 v5, vcc, 0, v5, vcc
	global_load_dwordx4 v[4:7], v[4:5], off
	v_and_b32_e32 v9, 3, v0
	v_lshlrev_b32_e32 v10, 9, v55
	v_lshlrev_b32_e32 v8, 5, v8
	;; [unrolled: 1-line block ×3, first 2 shown]
	v_and_b32_e32 v10, 0x1800, v10
	v_or3_b32 v8, v10, v9, v8
	s_waitcnt vmcnt(0)
	ds_write_b128 v8, v[4:7]
.LBB243_11:
	s_or_b64 exec, exec, s[2:3]
	s_waitcnt lgkmcnt(0)
	s_mul_i32 s8, s8, s46
	s_mov_b32 s9, 0
	s_lshl_b64 s[8:9], s[8:9], 1
	s_add_u32 s3, s12, s8
	v_lshlrev_b32_e32 v51, 4, v0
	s_addc_u32 s10, s13, s9
	v_and_b32_e32 v4, 0xf0, v51
	v_mov_b32_e32 v5, s10
	v_add_co_u32_e32 v29, vcc, s3, v4
	v_addc_co_u32_e32 v30, vcc, 0, v5, vcc
	s_waitcnt vmcnt(3)
	v_mad_i64_i32 v[4:5], s[10:11], v3, s45, 0
	v_lshlrev_b64 v[4:5], 1, v[4:5]
	v_add_co_u32_e32 v3, vcc, v29, v4
	v_addc_co_u32_e32 v5, vcc, v30, v5, vcc
	v_and_b32_e32 v31, 0x300, v51
	v_add_co_u32_e32 v4, vcc, v3, v31
	v_addc_co_u32_e32 v5, vcc, 0, v5, vcc
	s_load_dword s33, s[4:5], 0x98
	s_load_dword s2, s[4:5], 0x1c
	s_waitcnt lgkmcnt(0)
	s_barrier
	global_load_dwordx4 v[6:9], v[4:5], off
	s_waitcnt vmcnt(3)
	v_mad_i64_i32 v[2:3], s[10:11], v2, s45, 0
	v_lshlrev_b64 v[2:3], 1, v[2:3]
	v_add_co_u32_e32 v2, vcc, v29, v2
	v_addc_co_u32_e32 v3, vcc, v30, v3, vcc
	v_add_co_u32_e32 v2, vcc, v2, v31
	v_addc_co_u32_e32 v3, vcc, 0, v3, vcc
	global_load_dwordx4 v[22:25], v[2:3], off
	global_load_dwordx4 v[10:13], v[4:5], off offset:1024
	global_load_dwordx4 v[14:17], v[2:3], off offset:1024
	v_lshlrev_b32_e32 v56, 5, v55
	v_lshl_or_b32 v52, v1, 9, v56
	ds_read_b128 v[2:5], v52
	s_waitcnt vmcnt(5)
	v_mad_i64_i32 v[18:19], s[10:11], v18, s45, 0
	v_lshlrev_b64 v[26:27], 1, v[18:19]
	ds_read_b128 v[18:21], v52 offset:2048
	v_and_or_b32 v57, v0, 48, s16
	v_mov_b32_e32 v62, s19
	v_mov_b32_e32 v49, s18
	v_or_b32_e32 v59, 0x80, v57
	v_mov_b32_e32 v58, s18
	v_mov_b32_e32 v63, s18
	s_add_u32 s3, s14, s8
	s_addc_u32 s8, s15, s9
	s_mov_b32 s42, 0xff7fffff
	v_lshlrev_b32_e32 v55, 2, v55
	s_waitcnt vmcnt(2) lgkmcnt(1)
	v_mfma_f32_16x16x16bf16_1k v[36:39], v[22:23], v[2:3], 0
	v_mad_i64_i32 v[22:23], s[10:11], v28, s45, 0
	v_lshlrev_b64 v[44:45], 1, v[22:23]
	v_ashrrev_i32_e32 v22, 4, v57
	v_or_b32_e32 v28, 64, v57
	v_mfma_f32_16x16x16bf16_1k v[32:35], v[6:7], v[2:3], 0
	v_add_co_u32_e32 v6, vcc, v29, v26
	v_addc_co_u32_e32 v7, vcc, v30, v27, vcc
	v_add_co_u32_e32 v26, vcc, v6, v31
	v_addc_co_u32_e32 v27, vcc, 0, v7, vcc
	global_load_dwordx4 v[40:43], v[26:27], off
	v_mfma_f32_16x16x16bf16_1k v[6:9], v[8:9], v[4:5], v[32:35]
	v_cmp_gt_i32_e32 vcc, s40, v57
	v_cndmask_b32_e32 v46, v62, v22, vcc
	v_cmp_gt_i32_e32 vcc, s40, v28
	v_ashrrev_i32_e32 v47, 31, v46
	s_nop 2
	global_load_dwordx4 v[32:35], v[26:27], off offset:1024
	v_mfma_f32_16x16x16bf16_1k v[22:25], v[24:25], v[4:5], v[36:39]
	s_nop 6
	v_ashrrev_i32_e32 v36, 4, v28
	v_cndmask_b32_e32 v48, v62, v36, vcc
	s_waitcnt vmcnt(3) lgkmcnt(0)
	v_mfma_f32_16x16x16bf16_1k v[6:9], v[10:11], v[18:19], v[6:9]
	v_add_co_u32_e32 v10, vcc, v29, v44
	v_addc_co_u32_e32 v11, vcc, v30, v45, vcc
	v_add_co_u32_e32 v10, vcc, v10, v31
	v_addc_co_u32_e32 v11, vcc, 0, v11, vcc
	v_lshlrev_b64 v[36:37], 2, v[46:47]
	global_load_dwordx4 v[26:29], v[10:11], off
	s_waitcnt vmcnt(3)
	v_mfma_f32_16x16x16bf16_1k v[22:25], v[14:15], v[18:19], v[22:25]
	v_add_co_u32_e32 v14, vcc, s17, v36
	v_addc_co_u32_e32 v15, vcc, v49, v37, vcc
	global_load_dword v44, v[14:15], off
	v_ashrrev_i32_e32 v38, 4, v59
	v_cmp_gt_i32_e32 vcc, s40, v59
	v_ashrrev_i32_e32 v49, 31, v48
	v_cndmask_b32_e32 v14, v62, v38, vcc
	v_mfma_f32_16x16x16bf16_1k v[36:39], v[12:13], v[20:21], v[6:9]
	v_ashrrev_i32_e32 v15, 31, v14
	v_mov_b32_e32 v12, s18
	s_nop 4
	v_lshlrev_b64 v[6:7], 2, v[48:49]
	v_add_co_u32_e32 v6, vcc, s17, v6
	v_addc_co_u32_e32 v7, vcc, v58, v7, vcc
	global_load_dwordx4 v[58:61], v[10:11], off offset:1024
	global_load_dword v45, v[6:7], off
	v_lshlrev_b64 v[6:7], 2, v[14:15]
	v_add_co_u32_e32 v10, vcc, s17, v6
	v_addc_co_u32_e32 v11, vcc, v63, v7, vcc
	s_waitcnt vmcnt(5)
	v_mfma_f32_16x16x16bf16_1k v[6:9], v[40:41], v[2:3], 0
	global_load_dword v40, v[10:11], off
	v_or_b32_e32 v10, 0xc0, v57
	v_ashrrev_i32_e32 v11, 4, v10
	v_cmp_gt_i32_e32 vcc, s40, v10
	v_cndmask_b32_e32 v10, v62, v11, vcc
	v_ashrrev_i32_e32 v11, 31, v10
	v_lshlrev_b64 v[10:11], 2, v[10:11]
	v_mfma_f32_16x16x16bf16_1k v[6:9], v[42:43], v[4:5], v[6:9]
	v_add_co_u32_e32 v10, vcc, s17, v10
	v_addc_co_u32_e32 v11, vcc, v12, v11, vcc
	global_load_dword v57, v[10:11], off
	v_lshl_or_b32 v10, v53, 9, v56
	v_mov_b32_e32 v11, s8
	s_waitcnt vmcnt(6)
	v_mfma_f32_16x16x16bf16_1k v[6:9], v[32:33], v[18:19], v[6:9]
	v_add_co_u32_e32 v62, vcc, s3, v10
	v_addc_co_u32_e32 v63, vcc, 0, v11, vcc
	v_pk_mul_f32 v[46:47], s[2:3], v[38:39] op_sel_hi:[0,1]
	v_mfma_f32_16x16x16bf16_1k v[30:33], v[34:35], v[20:21], v[6:9]
	s_waitcnt vmcnt(1)
	v_mad_i64_i32 v[34:35], s[8:9], v40, s45, 0
	s_nop 4
	v_mad_i64_i32 v[6:7], s[8:9], v44, s45, 0
	v_lshlrev_b64 v[10:11], 1, v[6:7]
	v_mfma_f32_16x16x16bf16_1k v[6:9], v[26:27], v[2:3], 0
	v_add_co_u32_e32 v2, vcc, v62, v10
	v_addc_co_u32_e32 v3, vcc, v63, v11, vcc
	v_lshlrev_b64 v[34:35], 1, v[34:35]
	v_pk_mul_f32 v[42:43], s[2:3], v[30:31] op_sel_hi:[0,1]
	v_mfma_f32_16x16x16bf16_1k v[26:29], v[28:29], v[4:5], v[6:9]
	v_mfma_f32_16x16x16bf16_1k v[22:25], v[16:17], v[20:21], v[22:25]
	global_load_dwordx4 v[14:17], v[2:3], off
	global_load_dwordx4 v[10:13], v[2:3], off offset:16
	v_mad_i64_i32 v[2:3], s[8:9], v45, s45, 0
	v_lshlrev_b64 v[2:3], 1, v[2:3]
	v_add_co_u32_e32 v2, vcc, v62, v2
	v_addc_co_u32_e32 v3, vcc, v63, v3, vcc
	v_mfma_f32_16x16x16bf16_1k v[26:29], v[58:59], v[18:19], v[26:29]
	s_nop 3
	v_pk_mul_f32 v[38:39], s[2:3], v[22:23] op_sel_hi:[0,1]
	v_add_co_u32_e32 v58, vcc, v62, v34
	v_addc_co_u32_e32 v59, vcc, v63, v35, vcc
	v_pk_mul_f32 v[18:19], s[2:3], v[36:37] op_sel_hi:[0,1]
	v_pk_mul_f32 v[48:49], s[2:3], v[24:25] op_sel_hi:[0,1]
	v_mfma_f32_16x16x16bf16_1k v[20:23], v[60:61], v[20:21], v[26:29]
	v_pk_mul_f32 v[44:45], s[2:3], v[32:33] op_sel_hi:[0,1]
	global_load_dwordx4 v[6:9], v[2:3], off
	s_nop 0
	global_load_dwordx4 v[2:5], v[2:3], off offset:16
	s_nop 6
	v_pk_mul_f32 v[40:41], s[2:3], v[20:21] op_sel_hi:[0,1]
	v_and_b32_e32 v20, 0xc0, v0
	v_add_u32_e32 v20, s16, v20
	v_lshl_or_b32 v20, v1, 2, v20
	v_pk_mul_f32 v[34:35], s[2:3], v[22:23] op_sel_hi:[0,1]
	v_or_b32_e32 v23, 1, v20
	v_mov_b32_e32 v21, 0xff7fffff
	v_cmp_gt_i32_e64 s[30:31], s40, v20
	v_cmp_gt_i32_e64 s[34:35], s40, v23
	v_cndmask_b32_e64 v22, v21, v18, s[30:31]
	v_cndmask_b32_e64 v23, v21, v19, s[34:35]
	v_max3_f32 v22, v22, s42, v23
	v_or_b32_e32 v23, 2, v20
	v_or_b32_e32 v24, 3, v20
	v_cmp_gt_i32_e64 s[36:37], s40, v23
	v_cmp_gt_i32_e64 s[38:39], s40, v24
	v_cndmask_b32_e64 v23, v21, v46, s[36:37]
	v_cndmask_b32_e64 v24, v21, v47, s[38:39]
	v_max3_f32 v22, v22, v23, v24
	v_or_b32_e32 v23, 16, v20
	v_or_b32_e32 v24, 17, v20
	;; [unrolled: 7-line block ×7, first 2 shown]
	v_cmp_gt_i32_e32 vcc, s40, v23
	v_cmp_gt_i32_e64 s[2:3], s40, v20
	v_cndmask_b32_e32 v23, v21, v34, vcc
	v_cndmask_b32_e64 v20, v21, v35, s[2:3]
	v_max3_f32 v26, v22, v23, v20
	v_mbcnt_lo_u32_b32 v20, -1, 0
	v_mbcnt_hi_u32_b32 v27, -1, v20
	v_and_b32_e32 v20, 64, v27
	v_add_u32_e32 v28, 64, v20
	v_xor_b32_e32 v20, 32, v27
	v_cmp_lt_i32_e64 s[40:41], v20, v28
	v_cndmask_b32_e64 v20, v27, v20, s[40:41]
	v_lshlrev_b32_e32 v60, 2, v20
	ds_bpermute_b32 v29, v60, v26
	s_waitcnt vmcnt(4)
	v_mad_i64_i32 v[20:21], s[40:41], v57, s45, 0
	global_load_dwordx4 v[30:33], v[58:59], off
	global_load_dwordx4 v[22:25], v[58:59], off offset:16
	v_lshlrev_b64 v[20:21], 1, v[20:21]
	s_waitcnt lgkmcnt(0)
	v_max_f32_e32 v29, v29, v29
	v_max_f32_e32 v26, v26, v29
	v_xor_b32_e32 v29, 16, v27
	v_cmp_lt_i32_e64 s[40:41], v29, v28
	v_cndmask_b32_e64 v27, v27, v29, s[40:41]
	v_lshlrev_b32_e32 v59, 2, v27
	ds_bpermute_b32 v27, v59, v26
	v_add_co_u32_e64 v20, s[40:41], v62, v20
	v_addc_co_u32_e64 v21, s[40:41], v63, v21, s[40:41]
	s_waitcnt lgkmcnt(0)
	v_max_f32_e32 v27, v27, v27
	v_max_f32_e32 v57, v26, v27
	v_sub_f32_e32 v18, v18, v57
	v_mul_f32_e32 v18, 0x3fb8aa3b, v18
	v_exp_f32_e32 v36, v18
	v_sub_f32_e32 v18, v19, v57
	v_mul_f32_e32 v18, 0x3fb8aa3b, v18
	v_exp_f32_e32 v37, v18
	global_load_dwordx4 v[26:29], v[20:21], off
	s_nop 0
	global_load_dwordx4 v[18:21], v[20:21], off offset:16
	v_sub_f32_e32 v46, v46, v57
	v_mul_f32_e32 v46, 0x3fb8aa3b, v46
	v_sub_f32_e32 v47, v47, v57
	v_exp_f32_e32 v46, v46
	v_mul_f32_e32 v47, 0x3fb8aa3b, v47
	v_sub_f32_e32 v38, v38, v57
	v_exp_f32_e32 v47, v47
	v_mul_f32_e32 v38, 0x3fb8aa3b, v38
	v_sub_f32_e32 v39, v39, v57
	v_cndmask_b32_e64 v36, 0, v36, s[30:31]
	v_exp_f32_e32 v38, v38
	v_mul_f32_e32 v39, 0x3fb8aa3b, v39
	v_sub_f32_e32 v48, v48, v57
	v_add_f32_e32 v58, 0, v36
	v_cndmask_b32_e64 v37, 0, v37, s[34:35]
	v_exp_f32_e32 v39, v39
	v_mul_f32_e32 v48, 0x3fb8aa3b, v48
	v_sub_f32_e32 v49, v49, v57
	v_add_f32_e32 v58, v58, v37
	v_cndmask_b32_e64 v46, 0, v46, s[36:37]
	v_exp_f32_e32 v48, v48
	v_mul_f32_e32 v49, 0x3fb8aa3b, v49
	v_sub_f32_e32 v42, v42, v57
	v_add_f32_e32 v58, v58, v46
	v_cndmask_b32_e64 v47, 0, v47, s[38:39]
	v_exp_f32_e32 v49, v49
	v_mul_f32_e32 v42, 0x3fb8aa3b, v42
	v_sub_f32_e32 v43, v43, v57
	v_add_f32_e32 v58, v58, v47
	v_cndmask_b32_e64 v38, 0, v38, s[24:25]
	v_exp_f32_e32 v42, v42
	v_mul_f32_e32 v43, 0x3fb8aa3b, v43
	v_sub_f32_e32 v44, v44, v57
	v_add_f32_e32 v58, v58, v38
	v_cndmask_b32_e64 v39, 0, v39, s[26:27]
	v_exp_f32_e32 v43, v43
	v_mul_f32_e32 v44, 0x3fb8aa3b, v44
	v_sub_f32_e32 v45, v45, v57
	v_add_f32_e32 v58, v58, v39
	v_cndmask_b32_e64 v48, 0, v48, s[20:21]
	v_exp_f32_e32 v44, v44
	v_mul_f32_e32 v45, 0x3fb8aa3b, v45
	v_sub_f32_e32 v40, v40, v57
	v_add_f32_e32 v58, v58, v48
	v_cndmask_b32_e64 v49, 0, v49, s[22:23]
	v_exp_f32_e32 v45, v45
	v_mul_f32_e32 v40, 0x3fb8aa3b, v40
	v_sub_f32_e32 v41, v41, v57
	v_add_f32_e32 v58, v58, v49
	v_cndmask_b32_e64 v42, 0, v42, s[16:17]
	v_exp_f32_e32 v40, v40
	v_mul_f32_e32 v41, 0x3fb8aa3b, v41
	v_sub_f32_e32 v34, v34, v57
	v_add_f32_e32 v58, v58, v42
	v_cndmask_b32_e64 v43, 0, v43, s[18:19]
	v_exp_f32_e32 v41, v41
	v_mul_f32_e32 v34, 0x3fb8aa3b, v34
	v_sub_f32_e32 v35, v35, v57
	v_add_f32_e32 v58, v58, v43
	v_cndmask_b32_e64 v44, 0, v44, s[12:13]
	v_exp_f32_e32 v34, v34
	v_mul_f32_e32 v35, 0x3fb8aa3b, v35
	v_add_f32_e32 v58, v58, v44
	v_cndmask_b32_e64 v45, 0, v45, s[14:15]
	v_exp_f32_e32 v35, v35
	v_add_f32_e32 v58, v58, v45
	v_cndmask_b32_e64 v40, 0, v40, s[8:9]
	v_add_f32_e32 v58, v58, v40
	v_cndmask_b32_e64 v41, 0, v41, s[10:11]
	v_add_f32_e32 v58, v58, v41
	v_cndmask_b32_e32 v34, 0, v34, vcc
	v_add_f32_e32 v58, v58, v34
	v_cndmask_b32_e64 v35, 0, v35, s[2:3]
	v_add_f32_e32 v58, v58, v35
	ds_bpermute_b32 v60, v60, v58
	v_cmp_gt_u32_e32 vcc, 16, v54
	s_waitcnt lgkmcnt(0)
	s_barrier
	v_add_f32_e32 v58, v58, v60
	ds_bpermute_b32 v59, v59, v58
	s_and_saveexec_b64 s[2:3], vcc
	s_cbranch_execz .LBB243_13
; %bb.12:
	s_waitcnt lgkmcnt(0)
	v_add_f32_e32 v54, v58, v59
	v_lshl_or_b32 v58, v53, 6, v55
	ds_write2st64_b32 v58, v57, v54 offset1:1
.LBB243_13:
	s_or_b64 exec, exec, s[2:3]
	s_load_dword s8, s[4:5], 0x94
	s_waitcnt lgkmcnt(0)
	s_barrier
	ds_read2_b32 v[58:59], v55 offset1:16
	ds_read2_b32 v[60:61], v55 offset0:32 offset1:48
	ds_read2_b32 v[62:63], v55 offset0:64 offset1:80
	s_movk_i32 s10, 0x7fff
	s_mov_b32 s11, 0x7060302
	s_waitcnt lgkmcnt(2)
	v_max3_f32 v54, v58, s42, v59
	s_waitcnt lgkmcnt(1)
	v_max3_f32 v54, v54, v60, v61
	v_sub_f32_e32 v57, v58, v54
	v_sub_f32_e32 v58, v59, v54
	v_mul_f32_e32 v58, 0x3fb8aa3b, v58
	v_mul_f32_e32 v57, 0x3fb8aa3b, v57
	v_exp_f32_e32 v64, v58
	v_sub_f32_e32 v58, v60, v54
	v_exp_f32_e32 v57, v57
	v_mul_f32_e32 v58, 0x3fb8aa3b, v58
	v_exp_f32_e32 v60, v58
	ds_read2_b32 v[58:59], v55 offset0:96 offset1:112
	v_sub_f32_e32 v55, v61, v54
	v_mul_f32_e32 v55, 0x3fb8aa3b, v55
	v_exp_f32_e32 v61, v55
	s_waitcnt lgkmcnt(1)
	v_fma_f32 v55, v57, v62, 0
	v_fmac_f32_e32 v55, v64, v63
	s_waitcnt lgkmcnt(0)
	v_fmac_f32_e32 v55, v60, v58
	v_fmac_f32_e32 v55, v61, v59
	v_add_f32_e32 v58, 0x358637bd, v55
	v_div_scale_f32 v59, s[2:3], v58, v58, 1.0
	v_rcp_f32_e32 v62, v59
	s_barrier
	v_fma_f32 v63, -v59, v62, 1.0
	v_fmac_f32_e32 v62, v63, v62
	v_div_scale_f32 v63, vcc, 1.0, v58, 1.0
	v_mul_f32_e32 v65, v63, v62
	v_fma_f32 v66, -v59, v65, v63
	v_fmac_f32_e32 v65, v66, v62
	v_fma_f32 v59, -v59, v65, v63
	v_div_fmas_f32 v59, v59, v62, v65
	v_cmp_eq_u32_e32 vcc, 1, v53
	v_cndmask_b32_e32 v57, v57, v64, vcc
	v_cmp_eq_u32_e32 vcc, 2, v53
	v_cndmask_b32_e32 v57, v57, v60, vcc
	v_cmp_eq_u32_e32 vcc, 3, v53
	v_div_fixup_f32 v58, v59, v58, 1.0
	v_cndmask_b32_e32 v57, v57, v61, vcc
	v_mul_f32_e32 v58, v57, v58
	v_pk_mul_f32 v[36:37], v[58:59], v[36:37] op_sel_hi:[0,1]
	v_pk_mul_f32 v[46:47], v[58:59], v[46:47] op_sel_hi:[0,1]
	v_bfe_u32 v57, v37, 16, 1
	v_bfe_u32 v59, v36, 16, 1
	v_add3_u32 v36, v36, v59, s10
	v_add3_u32 v37, v37, v57, s10
	v_perm_b32 v60, v37, v36, s11
	v_bfe_u32 v36, v47, 16, 1
	v_bfe_u32 v37, v46, 16, 1
	v_add3_u32 v37, v46, v37, s10
	v_add3_u32 v36, v47, v36, s10
	v_perm_b32 v61, v36, v37, s11
	v_lshlrev_b32_e32 v36, 3, v1
	v_lshlrev_b32_e32 v37, 11, v53
	v_pk_mul_f32 v[38:39], v[58:59], v[38:39] op_sel_hi:[0,1]
	v_or3_b32 v36, v37, v56, v36
	v_pk_mul_f32 v[46:47], v[58:59], v[48:49] op_sel_hi:[0,1]
	v_bfe_u32 v37, v39, 16, 1
	v_bfe_u32 v48, v38, 16, 1
	v_add3_u32 v38, v38, v48, s10
	v_add3_u32 v37, v39, v37, s10
	v_perm_b32 v38, v37, v38, s11
	v_bfe_u32 v37, v47, 16, 1
	v_bfe_u32 v39, v46, 16, 1
	v_add3_u32 v39, v46, v39, s10
	v_add3_u32 v37, v47, v37, s10
	v_perm_b32 v39, v37, v39, s11
	v_pk_mul_f32 v[42:43], v[58:59], v[42:43] op_sel_hi:[0,1]
	ds_write2st64_b64 v36, v[60:61], v[38:39] offset1:1
	v_pk_mul_f32 v[38:39], v[58:59], v[44:45] op_sel_hi:[0,1]
	v_bfe_u32 v37, v43, 16, 1
	v_bfe_u32 v44, v42, 16, 1
	v_add3_u32 v42, v42, v44, s10
	v_add3_u32 v37, v43, v37, s10
	v_perm_b32 v42, v37, v42, s11
	v_bfe_u32 v37, v39, 16, 1
	v_bfe_u32 v43, v38, 16, 1
	v_add3_u32 v38, v38, v43, s10
	v_add3_u32 v37, v39, v37, s10
	v_perm_b32 v43, v37, v38, s11
	v_pk_mul_f32 v[38:39], v[58:59], v[40:41] op_sel_hi:[0,1]
	v_bfe_u32 v37, v39, 16, 1
	v_bfe_u32 v40, v38, 16, 1
	v_pk_mul_f32 v[34:35], v[58:59], v[34:35] op_sel_hi:[0,1]
	v_add3_u32 v38, v38, v40, s10
	v_add3_u32 v37, v39, v37, s10
	v_perm_b32 v38, v37, v38, s11
	v_bfe_u32 v37, v35, 16, 1
	v_bfe_u32 v39, v34, 16, 1
	v_add3_u32 v34, v34, v39, s10
	v_add3_u32 v35, v35, v37, s10
	s_lshl_b32 s9, s33, 4
	v_perm_b32 v39, v35, v34, s11
	v_cmp_gt_u32_e32 vcc, 16, v0
	ds_write2st64_b64 v36, v[42:43], v[38:39] offset0:2 offset1:3
	s_and_saveexec_b64 s[2:3], vcc
	s_cbranch_execz .LBB243_15
; %bb.14:
	v_or_b32_e32 v34, s29, v0
	v_mov_b32_e32 v35, 0
	v_mov_b32_e32 v37, s9
	v_mad_u64_u32 v[38:39], s[16:17], s6, v37, v[34:35]
	v_mov_b32_e32 v34, s28
	s_load_dwordx4 s[12:15], s[4:5], 0x58
	s_mul_i32 s7, s7, s9
	v_mad_u64_u32 v[34:35], s[16:17], v38, s8, v[34:35]
	v_add_u32_e32 v37, s7, v39
	v_mov_b32_e32 v38, v35
	v_mad_u64_u32 v[38:39], s[16:17], v37, s8, v[38:39]
	v_mov_b32_e32 v35, v38
	v_lshlrev_b64 v[34:35], 2, v[34:35]
	s_waitcnt lgkmcnt(0)
	v_mov_b32_e32 v37, s15
	v_add_co_u32_e32 v38, vcc, s14, v34
	v_addc_co_u32_e32 v39, vcc, v37, v35, vcc
	v_mov_b32_e32 v37, s13
	v_add_co_u32_e32 v34, vcc, s12, v34
	v_addc_co_u32_e32 v35, vcc, v37, v35, vcc
	global_store_dword v[38:39], v54, off
	global_store_dword v[34:35], v55, off
.LBB243_15:
	s_or_b64 exec, exec, s[2:3]
	s_waitcnt lgkmcnt(0)
	s_barrier
	ds_read_b128 v[38:41], v52
	ds_read_b128 v[42:45], v52 offset:16
	s_waitcnt vmcnt(7) lgkmcnt(1)
	v_mfma_f32_16x16x16bf16_1k v[46:49], v[14:15], v[38:39], 0
	v_cmp_gt_u32_e32 vcc, 64, v0
	s_mov_b32 s3, 0
	s_and_b64 s[0:1], vcc, s[0:1]
	v_mfma_f32_16x16x16bf16_1k v[14:17], v[16:17], v[40:41], v[46:49]
	s_waitcnt vmcnt(6) lgkmcnt(0)
	v_mfma_f32_16x16x16bf16_1k v[14:17], v[10:11], v[42:43], v[14:17]
	v_mfma_f32_16x16x16bf16_1k v[10:13], v[12:13], v[44:45], v[14:17]
	s_nop 7
	s_nop 1
	ds_read_b128 v[14:17], v52 offset:2048
	ds_read_b128 v[38:41], v52 offset:2064
	s_waitcnt vmcnt(5) lgkmcnt(1)
	v_mfma_f32_16x16x16bf16_1k v[10:13], v[6:7], v[14:15], v[10:13]
	v_mfma_f32_16x16x16bf16_1k v[6:9], v[8:9], v[16:17], v[10:13]
	s_waitcnt vmcnt(4) lgkmcnt(0)
	v_mfma_f32_16x16x16bf16_1k v[6:9], v[2:3], v[38:39], v[6:9]
	v_mfma_f32_16x16x16bf16_1k v[2:5], v[4:5], v[40:41], v[6:9]
	s_nop 7
	s_nop 1
	ds_read_b128 v[6:9], v52 offset:4096
	ds_read_b128 v[10:13], v52 offset:4112
	s_waitcnt vmcnt(3) lgkmcnt(1)
	v_mfma_f32_16x16x16bf16_1k v[2:5], v[30:31], v[6:7], v[2:5]
	v_mfma_f32_16x16x16bf16_1k v[2:5], v[32:33], v[8:9], v[2:5]
	s_waitcnt vmcnt(2) lgkmcnt(0)
	v_mfma_f32_16x16x16bf16_1k v[2:5], v[22:23], v[10:11], v[2:5]
	v_mfma_f32_16x16x16bf16_1k v[2:5], v[24:25], v[12:13], v[2:5]
	ds_read_b128 v[6:9], v52 offset:6144
	ds_read_b128 v[10:13], v52 offset:6160
	s_waitcnt lgkmcnt(0)
	s_barrier
	s_waitcnt vmcnt(1)
	v_mfma_f32_16x16x16bf16_1k v[2:5], v[26:27], v[6:7], v[2:5]
	v_mfma_f32_16x16x16bf16_1k v[2:5], v[28:29], v[8:9], v[2:5]
	s_waitcnt vmcnt(0)
	v_mfma_f32_16x16x16bf16_1k v[2:5], v[18:19], v[10:11], v[2:5]
	v_mfma_f32_16x16x16bf16_1k v[2:5], v[20:21], v[12:13], v[2:5]
	s_nop 7
	s_nop 2
	v_bfe_u32 v6, v3, 16, 1
	v_bfe_u32 v7, v2, 16, 1
	;; [unrolled: 1-line block ×4, first 2 shown]
	v_add3_u32 v2, v2, v7, s10
	v_add3_u32 v3, v3, v6, s10
	;; [unrolled: 1-line block ×4, first 2 shown]
	v_perm_b32 v2, v3, v2, s11
	v_perm_b32 v3, v5, v4, s11
	ds_write_b64 v36, v[2:3]
	s_waitcnt lgkmcnt(0)
	s_barrier
	s_and_saveexec_b64 s[10:11], s[0:1]
	s_cbranch_execz .LBB243_17
; %bb.16:
	s_load_dwordx2 s[0:1], s[4:5], 0x68
	s_lshl_b32 s7, s8, 6
	s_mul_i32 s2, s9, s6
	s_mul_hi_u32 s5, s2, s7
	s_mul_i32 s4, s2, s7
	s_lshl_b64 s[4:5], s[4:5], 1
	s_waitcnt lgkmcnt(0)
	s_add_u32 s4, s0, s4
	s_addc_u32 s5, s1, s5
	s_lshl_b32 s2, s28, 6
	v_lshlrev_b32_e32 v0, 10, v0
	s_lshl_b64 s[0:1], s[2:3], 1
	v_and_b32_e32 v0, 0x1800, v0
	v_lshlrev_b32_e32 v2, 5, v1
	v_and_b32_e32 v3, 16, v51
	s_add_u32 s0, s4, s0
	v_or3_b32 v0, v0, v2, v3
	s_addc_u32 s1, s5, s1
	ds_read_b128 v[2:5], v0
	ds_read_b128 v[6:9], v0 offset:128
	ds_read_b128 v[10:13], v0 offset:256
	;; [unrolled: 1-line block ×3, first 2 shown]
	v_mov_b32_e32 v0, s1
	v_add_co_u32_e32 v18, vcc, s0, v50
	v_or_b32_e32 v20, s29, v1
	v_addc_co_u32_e32 v19, vcc, 0, v0, vcc
	v_mad_u64_u32 v[0:1], s[0:1], v20, s7, 0
	v_lshlrev_b64 v[0:1], 1, v[0:1]
	v_add_co_u32_e32 v0, vcc, v18, v0
	v_addc_co_u32_e32 v1, vcc, v19, v1, vcc
	s_waitcnt lgkmcnt(3)
	global_store_dwordx4 v[0:1], v[2:5], off
	v_or_b32_e32 v0, 4, v20
	v_mad_u64_u32 v[0:1], s[0:1], v0, s7, 0
	v_lshlrev_b64 v[0:1], 1, v[0:1]
	v_add_co_u32_e32 v0, vcc, v18, v0
	v_addc_co_u32_e32 v1, vcc, v19, v1, vcc
	s_waitcnt lgkmcnt(2)
	global_store_dwordx4 v[0:1], v[6:9], off
	v_or_b32_e32 v0, 8, v20
	;; [unrolled: 7-line block ×3, first 2 shown]
	v_mad_u64_u32 v[0:1], s[0:1], v0, s7, 0
	v_lshlrev_b64 v[0:1], 1, v[0:1]
	v_add_co_u32_e32 v0, vcc, v18, v0
	v_addc_co_u32_e32 v1, vcc, v19, v1, vcc
	s_waitcnt lgkmcnt(0)
	global_store_dwordx4 v[0:1], v[14:17], off
.LBB243_17:
	s_endpgm
	.section	.rodata,"a",@progbits
	.p2align	6, 0x0
	.amdhsa_kernel _Z39paged_attention_ll4mi_QKV_mfma16_kernelI14__hip_bfloat16S0_LN4vllm18Fp8KVCacheDataTypeE0ES0_Li16ELi64ELi256ELb0ELi16EL8MFMAType0EEvPKT_PKT0_S9_ifPKiSB_SB_iPKfiiiPfSE_PS4_PT2_iSD_SD_
		.amdhsa_group_segment_fixed_size 8192
		.amdhsa_private_segment_fixed_size 0
		.amdhsa_kernarg_size 400
		.amdhsa_user_sgpr_count 6
		.amdhsa_user_sgpr_private_segment_buffer 1
		.amdhsa_user_sgpr_dispatch_ptr 0
		.amdhsa_user_sgpr_queue_ptr 0
		.amdhsa_user_sgpr_kernarg_segment_ptr 1
		.amdhsa_user_sgpr_dispatch_id 0
		.amdhsa_user_sgpr_flat_scratch_init 0
		.amdhsa_user_sgpr_kernarg_preload_length 0
		.amdhsa_user_sgpr_kernarg_preload_offset 0
		.amdhsa_user_sgpr_private_segment_size 0
		.amdhsa_uses_dynamic_stack 0
		.amdhsa_system_sgpr_private_segment_wavefront_offset 0
		.amdhsa_system_sgpr_workgroup_id_x 1
		.amdhsa_system_sgpr_workgroup_id_y 1
		.amdhsa_system_sgpr_workgroup_id_z 1
		.amdhsa_system_sgpr_workgroup_info 0
		.amdhsa_system_vgpr_workitem_id 0
		.amdhsa_next_free_vgpr 67
		.amdhsa_next_free_sgpr 48
		.amdhsa_accum_offset 68
		.amdhsa_reserve_vcc 1
		.amdhsa_reserve_flat_scratch 0
		.amdhsa_float_round_mode_32 0
		.amdhsa_float_round_mode_16_64 0
		.amdhsa_float_denorm_mode_32 3
		.amdhsa_float_denorm_mode_16_64 3
		.amdhsa_dx10_clamp 1
		.amdhsa_ieee_mode 1
		.amdhsa_fp16_overflow 0
		.amdhsa_tg_split 0
		.amdhsa_exception_fp_ieee_invalid_op 0
		.amdhsa_exception_fp_denorm_src 0
		.amdhsa_exception_fp_ieee_div_zero 0
		.amdhsa_exception_fp_ieee_overflow 0
		.amdhsa_exception_fp_ieee_underflow 0
		.amdhsa_exception_fp_ieee_inexact 0
		.amdhsa_exception_int_div_zero 0
	.end_amdhsa_kernel
	.section	.text._Z39paged_attention_ll4mi_QKV_mfma16_kernelI14__hip_bfloat16S0_LN4vllm18Fp8KVCacheDataTypeE0ES0_Li16ELi64ELi256ELb0ELi16EL8MFMAType0EEvPKT_PKT0_S9_ifPKiSB_SB_iPKfiiiPfSE_PS4_PT2_iSD_SD_,"axG",@progbits,_Z39paged_attention_ll4mi_QKV_mfma16_kernelI14__hip_bfloat16S0_LN4vllm18Fp8KVCacheDataTypeE0ES0_Li16ELi64ELi256ELb0ELi16EL8MFMAType0EEvPKT_PKT0_S9_ifPKiSB_SB_iPKfiiiPfSE_PS4_PT2_iSD_SD_,comdat
.Lfunc_end243:
	.size	_Z39paged_attention_ll4mi_QKV_mfma16_kernelI14__hip_bfloat16S0_LN4vllm18Fp8KVCacheDataTypeE0ES0_Li16ELi64ELi256ELb0ELi16EL8MFMAType0EEvPKT_PKT0_S9_ifPKiSB_SB_iPKfiiiPfSE_PS4_PT2_iSD_SD_, .Lfunc_end243-_Z39paged_attention_ll4mi_QKV_mfma16_kernelI14__hip_bfloat16S0_LN4vllm18Fp8KVCacheDataTypeE0ES0_Li16ELi64ELi256ELb0ELi16EL8MFMAType0EEvPKT_PKT0_S9_ifPKiSB_SB_iPKfiiiPfSE_PS4_PT2_iSD_SD_
                                        ; -- End function
	.section	.AMDGPU.csdata,"",@progbits
; Kernel info:
; codeLenInByte = 4248
; NumSgprs: 52
; NumVgprs: 67
; NumAgprs: 0
; TotalNumVgprs: 67
; ScratchSize: 0
; MemoryBound: 0
; FloatMode: 240
; IeeeMode: 1
; LDSByteSize: 8192 bytes/workgroup (compile time only)
; SGPRBlocks: 6
; VGPRBlocks: 8
; NumSGPRsForWavesPerEU: 52
; NumVGPRsForWavesPerEU: 67
; AccumOffset: 68
; Occupancy: 7
; WaveLimiterHint : 1
; COMPUTE_PGM_RSRC2:SCRATCH_EN: 0
; COMPUTE_PGM_RSRC2:USER_SGPR: 6
; COMPUTE_PGM_RSRC2:TRAP_HANDLER: 0
; COMPUTE_PGM_RSRC2:TGID_X_EN: 1
; COMPUTE_PGM_RSRC2:TGID_Y_EN: 1
; COMPUTE_PGM_RSRC2:TGID_Z_EN: 1
; COMPUTE_PGM_RSRC2:TIDIG_COMP_CNT: 0
; COMPUTE_PGM_RSRC3_GFX90A:ACCUM_OFFSET: 16
; COMPUTE_PGM_RSRC3_GFX90A:TG_SPLIT: 0
	.section	.text._Z39paged_attention_ll4mi_QKV_mfma16_kernelI14__hip_bfloat16S0_LN4vllm18Fp8KVCacheDataTypeE0ES0_Li16ELi64ELi256ELb0ELi1EL8MFMAType0EEvPKT_PKT0_S9_ifPKiSB_SB_iPKfiiiPfSE_PS4_PT2_iSD_SD_,"axG",@progbits,_Z39paged_attention_ll4mi_QKV_mfma16_kernelI14__hip_bfloat16S0_LN4vllm18Fp8KVCacheDataTypeE0ES0_Li16ELi64ELi256ELb0ELi1EL8MFMAType0EEvPKT_PKT0_S9_ifPKiSB_SB_iPKfiiiPfSE_PS4_PT2_iSD_SD_,comdat
	.protected	_Z39paged_attention_ll4mi_QKV_mfma16_kernelI14__hip_bfloat16S0_LN4vllm18Fp8KVCacheDataTypeE0ES0_Li16ELi64ELi256ELb0ELi1EL8MFMAType0EEvPKT_PKT0_S9_ifPKiSB_SB_iPKfiiiPfSE_PS4_PT2_iSD_SD_ ; -- Begin function _Z39paged_attention_ll4mi_QKV_mfma16_kernelI14__hip_bfloat16S0_LN4vllm18Fp8KVCacheDataTypeE0ES0_Li16ELi64ELi256ELb0ELi1EL8MFMAType0EEvPKT_PKT0_S9_ifPKiSB_SB_iPKfiiiPfSE_PS4_PT2_iSD_SD_
	.globl	_Z39paged_attention_ll4mi_QKV_mfma16_kernelI14__hip_bfloat16S0_LN4vllm18Fp8KVCacheDataTypeE0ES0_Li16ELi64ELi256ELb0ELi1EL8MFMAType0EEvPKT_PKT0_S9_ifPKiSB_SB_iPKfiiiPfSE_PS4_PT2_iSD_SD_
	.p2align	8
	.type	_Z39paged_attention_ll4mi_QKV_mfma16_kernelI14__hip_bfloat16S0_LN4vllm18Fp8KVCacheDataTypeE0ES0_Li16ELi64ELi256ELb0ELi1EL8MFMAType0EEvPKT_PKT0_S9_ifPKiSB_SB_iPKfiiiPfSE_PS4_PT2_iSD_SD_,@function
_Z39paged_attention_ll4mi_QKV_mfma16_kernelI14__hip_bfloat16S0_LN4vllm18Fp8KVCacheDataTypeE0ES0_Li16ELi64ELi256ELb0ELi1EL8MFMAType0EEvPKT_PKT0_S9_ifPKiSB_SB_iPKfiiiPfSE_PS4_PT2_iSD_SD_: ; @_Z39paged_attention_ll4mi_QKV_mfma16_kernelI14__hip_bfloat16S0_LN4vllm18Fp8KVCacheDataTypeE0ES0_Li16ELi64ELi256ELb0ELi1EL8MFMAType0EEvPKT_PKT0_S9_ifPKiSB_SB_iPKfiiiPfSE_PS4_PT2_iSD_SD_
; %bb.0:
	s_load_dwordx2 s[0:1], s[4:5], 0x30
	s_mov_b32 s9, s7
	s_mov_b64 s[10:11], 0
	s_waitcnt lgkmcnt(0)
	s_cmp_lg_u64 s[0:1], 0
	s_cselect_b64 s[2:3], -1, 0
	s_and_b64 vcc, exec, s[2:3]
	s_cbranch_vccz .LBB244_7
; %bb.1:
	s_add_i32 s12, s6, 1
	s_mov_b32 s13, 0
	s_lshl_b64 s[14:15], s[12:13], 2
	s_add_u32 s14, s0, s14
	s_mov_b32 s7, s13
	s_addc_u32 s15, s1, s15
	s_lshl_b64 s[12:13], s[6:7], 2
	s_add_u32 s12, s0, s12
	s_addc_u32 s13, s1, s13
	s_load_dword s16, s[14:15], 0x0
	s_load_dword s17, s[12:13], 0x0
	s_waitcnt lgkmcnt(0)
	s_sub_i32 s12, s16, s17
	s_cmp_eq_u32 s12, 1
	s_cselect_b64 s[12:13], -1, 0
	s_andn2_b64 vcc, exec, s[10:11]
	s_cbranch_vccnz .LBB244_3
.LBB244_2:
	s_mov_b32 s7, 0
	s_mov_b64 s[12:13], -1
.LBB244_3:
	s_andn2_b64 vcc, exec, s[12:13]
	s_cbranch_vccnz .LBB244_17
; %bb.4:
	s_load_dwordx2 s[12:13], s[4:5], 0x28
	s_lshl_b64 s[10:11], s[6:7], 2
	s_waitcnt lgkmcnt(0)
	s_add_u32 s12, s12, s10
	s_addc_u32 s13, s13, s11
	s_load_dword s33, s[12:13], 0x0
	s_lshl_b32 s16, s9, 8
	s_waitcnt lgkmcnt(0)
	s_cmp_ge_i32 s16, s33
	s_cbranch_scc1 .LBB244_17
; %bb.5:
	s_add_i32 s15, s33, 15
	s_load_dwordx2 s[12:13], s[4:5], 0x20
	s_load_dword s14, s[4:5], 0x38
	s_ashr_i32 s17, s15, 31
	v_and_b32_e32 v1, 0xcf, v0
	s_lshr_b32 s17, s17, 28
	v_add_u32_e32 v1, s16, v1
	s_add_i32 s15, s15, s17
	v_ashrrev_i32_e32 v2, 31, v1
	s_ashr_i32 s19, s15, 4
	v_lshrrev_b32_e32 v10, 28, v2
	s_add_i32 s19, s19, -1
	v_add_u32_e32 v2, v1, v10
	s_waitcnt lgkmcnt(0)
	s_mul_i32 s14, s6, s14
	s_mov_b32 s15, 0
	v_ashrrev_i32_e32 v2, 4, v2
	v_mov_b32_e32 v11, s19
	v_cmp_gt_i32_e32 vcc, s33, v1
	s_lshl_b64 s[14:15], s[14:15], 2
	v_cndmask_b32_e32 v2, v11, v2, vcc
	s_add_u32 s17, s12, s14
	v_ashrrev_i32_e32 v3, 31, v2
	s_addc_u32 s18, s13, s15
	v_lshlrev_b64 v[2:3], 2, v[2:3]
	v_mov_b32_e32 v5, s18
	v_add_co_u32_e32 v4, vcc, s17, v2
	v_or_b32_e32 v2, 16, v1
	v_addc_co_u32_e32 v5, vcc, v5, v3, vcc
	v_add_u32_e32 v3, v2, v10
	v_ashrrev_i32_e32 v3, 4, v3
	v_cmp_gt_i32_e32 vcc, s33, v2
	v_cndmask_b32_e32 v2, v11, v3, vcc
	v_ashrrev_i32_e32 v3, 31, v2
	v_lshlrev_b64 v[2:3], 2, v[2:3]
	v_mov_b32_e32 v7, s18
	v_add_co_u32_e32 v6, vcc, s17, v2
	v_or_b32_e32 v2, 32, v1
	v_addc_co_u32_e32 v7, vcc, v7, v3, vcc
	v_add_u32_e32 v3, v2, v10
	v_ashrrev_i32_e32 v3, 4, v3
	v_cmp_gt_i32_e32 vcc, s33, v2
	v_cndmask_b32_e32 v2, v11, v3, vcc
	v_ashrrev_i32_e32 v3, 31, v2
	;; [unrolled: 10-line block ×3, first 2 shown]
	v_lshlrev_b64 v[2:3], 2, v[2:3]
	v_mov_b32_e32 v1, s18
	v_add_co_u32_e32 v10, vcc, s17, v2
	v_addc_co_u32_e32 v11, vcc, v1, v3, vcc
	global_load_dword v3, v[4:5], off
	global_load_dword v2, v[6:7], off
	;; [unrolled: 1-line block ×4, first 2 shown]
	s_load_dwordx4 s[12:15], s[4:5], 0x8
	s_andn2_b64 vcc, exec, s[2:3]
	s_cbranch_vccnz .LBB244_8
; %bb.6:
	s_add_u32 s0, s0, s10
	s_addc_u32 s1, s1, s11
	s_load_dword s10, s[0:1], 0x0
	s_branch .LBB244_9
.LBB244_7:
	s_mov_b64 s[12:13], 0
	s_branch .LBB244_2
.LBB244_8:
	s_mov_b32 s10, s6
.LBB244_9:
	s_load_dwordx4 s[44:47], s[4:5], 0x48
	v_lshrrev_b32_e32 v52, 6, v0
	v_bfe_u32 v50, v0, 4, 2
	v_lshl_or_b32 v1, v52, 2, v50
	v_and_b32_e32 v54, 15, v0
	v_lshlrev_b32_e32 v4, 3, v54
	v_cmp_eq_u32_e32 vcc, 0, v1
	v_cmp_gt_u32_e64 s[0:1], 8, v54
	v_and_b32_e32 v53, 63, v0
	s_and_b64 s[20:21], s[0:1], vcc
	v_lshlrev_b32_e32 v1, 1, v4
	s_and_saveexec_b64 s[2:3], s[20:21]
	s_cbranch_execz .LBB244_11
; %bb.10:
	s_load_dwordx2 s[20:21], s[4:5], 0x0
	s_waitcnt lgkmcnt(0)
	s_ashr_i32 s11, s44, 31
	s_mul_hi_u32 s22, s10, s44
	s_mul_i32 s11, s10, s11
	s_add_i32 s11, s22, s11
	s_mul_i32 s10, s10, s44
	s_lshl_b64 s[10:11], s[10:11], 1
	s_add_u32 s20, s20, s10
	s_addc_u32 s21, s21, s11
	s_lshl_b32 s10, s8, 6
	s_ashr_i32 s11, s10, 31
	s_lshl_b64 s[10:11], s[10:11], 1
	s_add_u32 s10, s20, s10
	s_addc_u32 s11, s21, s11
	global_load_dwordx4 v[4:7], v1, s[10:11]
	v_and_b32_e32 v8, 3, v0
	v_lshlrev_b32_e32 v9, 9, v54
	v_lshlrev_b32_e32 v8, 9, v8
	s_movk_i32 s10, 0x1800
	v_and_or_b32 v8, v9, s10, v8
	s_waitcnt vmcnt(0)
	ds_write_b128 v8, v[4:7]
.LBB244_11:
	s_or_b64 exec, exec, s[2:3]
	s_waitcnt lgkmcnt(0)
	s_mul_i32 s2, s8, s46
	s_mov_b32 s3, 0
	s_lshl_b64 s[2:3], s[2:3], 1
	s_add_u32 s10, s12, s2
	v_lshlrev_b32_e32 v51, 4, v0
	s_addc_u32 s11, s13, s3
	v_and_b32_e32 v4, 0xf0, v51
	v_mov_b32_e32 v5, s11
	v_add_co_u32_e32 v27, vcc, s10, v4
	v_addc_co_u32_e32 v28, vcc, 0, v5, vcc
	s_waitcnt vmcnt(3)
	v_mad_i64_i32 v[4:5], s[10:11], v3, s45, 0
	v_lshlrev_b64 v[4:5], 1, v[4:5]
	v_add_co_u32_e32 v3, vcc, v27, v4
	v_addc_co_u32_e32 v4, vcc, v28, v5, vcc
	v_and_b32_e32 v29, 0x300, v51
	v_add_co_u32_e32 v16, vcc, v3, v29
	v_addc_co_u32_e32 v17, vcc, 0, v4, vcc
	s_barrier
	global_load_dwordx4 v[6:9], v[16:17], off
	s_waitcnt vmcnt(3)
	v_mad_i64_i32 v[2:3], s[10:11], v2, s45, 0
	v_lshlrev_b64 v[2:3], 1, v[2:3]
	v_add_co_u32_e32 v2, vcc, v27, v2
	v_addc_co_u32_e32 v3, vcc, v28, v3, vcc
	v_add_co_u32_e32 v22, vcc, v2, v29
	v_lshlrev_b32_e32 v18, 9, v50
	v_addc_co_u32_e32 v23, vcc, 0, v3, vcc
	global_load_dwordx4 v[10:13], v[22:23], off
	ds_read_b128 v[2:5], v18
	s_waitcnt vmcnt(3)
	v_mad_i64_i32 v[14:15], s[10:11], v14, s45, 0
	v_lshlrev_b64 v[24:25], 1, v[14:15]
	global_load_dwordx4 v[14:17], v[16:17], off offset:1024
	v_and_or_b32 v55, v0, 48, s16
	v_mov_b32_e32 v56, s19
	ds_read_b128 v[18:21], v18 offset:2048
	v_mov_b32_e32 v57, s18
	v_or_b32_e32 v60, 0x80, v55
	v_mov_b32_e32 v58, s18
	v_mov_b32_e32 v59, s18
	s_add_u32 s2, s14, s2
	s_addc_u32 s3, s15, s3
	s_mov_b32 s42, 0xff7fffff
	s_waitcnt vmcnt(2) lgkmcnt(1)
	v_mfma_f32_16x16x16bf16_1k v[30:33], v[6:7], v[2:3], 0
	v_add_co_u32_e32 v6, vcc, v27, v24
	v_addc_co_u32_e32 v7, vcc, v28, v25, vcc
	global_load_dwordx4 v[22:25], v[22:23], off offset:1024
	v_add_co_u32_e32 v6, vcc, v6, v29
	v_addc_co_u32_e32 v7, vcc, 0, v7, vcc
	global_load_dwordx4 v[38:41], v[6:7], off
	global_load_dwordx4 v[42:45], v[6:7], off offset:1024
	s_waitcnt vmcnt(4)
	v_mfma_f32_16x16x16bf16_1k v[34:37], v[10:11], v[2:3], 0
	v_mad_i64_i32 v[10:11], s[10:11], v26, s45, 0
	v_or_b32_e32 v26, 64, v55
	v_cmp_gt_i32_e32 vcc, s33, v55
	s_load_dword s10, s[4:5], 0x1c
	v_mfma_f32_16x16x16bf16_1k v[6:9], v[8:9], v[4:5], v[30:33]
	s_nop 6
	v_ashrrev_i32_e32 v30, 4, v26
	s_waitcnt vmcnt(3) lgkmcnt(0)
	v_mfma_f32_16x16x16bf16_1k v[6:9], v[14:15], v[18:19], v[6:9]
	v_ashrrev_i32_e32 v31, 4, v60
	s_waitcnt vmcnt(1)
	v_mfma_f32_16x16x16bf16_1k v[46:49], v[38:39], v[2:3], 0
	v_lshlrev_b64 v[38:39], 1, v[10:11]
	v_ashrrev_i32_e32 v10, 4, v55
	v_cndmask_b32_e32 v10, v56, v10, vcc
	v_cmp_gt_i32_e32 vcc, s33, v26
	v_cndmask_b32_e32 v30, v56, v30, vcc
	v_add_co_u32_e32 v26, vcc, v27, v38
	v_ashrrev_i32_e32 v11, 31, v10
	v_addc_co_u32_e32 v27, vcc, v28, v39, vcc
	v_lshlrev_b64 v[32:33], 2, v[10:11]
	v_mfma_f32_16x16x16bf16_1k v[10:13], v[12:13], v[4:5], v[34:37]
	s_nop 6
	v_add_co_u32_e32 v34, vcc, v26, v29
	v_addc_co_u32_e32 v35, vcc, 0, v27, vcc
	global_load_dwordx4 v[26:29], v[34:35], off
	v_add_co_u32_e32 v14, vcc, s17, v32
	v_addc_co_u32_e32 v15, vcc, v57, v33, vcc
	global_load_dword v38, v[14:15], off
	v_cmp_gt_i32_e32 vcc, s33, v60
	global_load_dwordx4 v[34:37], v[34:35], off offset:1024
	v_cndmask_b32_e32 v14, v56, v31, vcc
	v_ashrrev_i32_e32 v31, 31, v30
	v_mfma_f32_16x16x16bf16_1k v[10:13], v[22:23], v[18:19], v[10:13]
	v_lshlrev_b64 v[22:23], 2, v[30:31]
	v_add_co_u32_e32 v22, vcc, s17, v22
	v_ashrrev_i32_e32 v15, 31, v14
	v_addc_co_u32_e32 v23, vcc, v58, v23, vcc
	global_load_dword v39, v[22:23], off
	v_mfma_f32_16x16x16bf16_1k v[30:33], v[16:17], v[20:21], v[6:9]
	s_nop 6
	v_lshlrev_b64 v[6:7], 2, v[14:15]
	v_add_co_u32_e32 v6, vcc, s17, v6
	v_addc_co_u32_e32 v7, vcc, v59, v7, vcc
	global_load_dword v57, v[6:7], off
	v_mfma_f32_16x16x16bf16_1k v[22:25], v[24:25], v[20:21], v[10:13]
	s_nop 6
	v_or_b32_e32 v10, 0xc0, v55
	v_ashrrev_i32_e32 v11, 4, v10
	v_cmp_gt_i32_e32 vcc, s33, v10
	v_cndmask_b32_e32 v10, v56, v11, vcc
	v_ashrrev_i32_e32 v11, 31, v10
	v_lshlrev_b64 v[10:11], 2, v[10:11]
	v_mov_b32_e32 v12, s18
	v_add_co_u32_e32 v10, vcc, s17, v10
	v_addc_co_u32_e32 v11, vcc, v12, v11, vcc
	global_load_dword v58, v[10:11], off
	v_mfma_f32_16x16x16bf16_1k v[6:9], v[40:41], v[4:5], v[46:49]
	v_lshlrev_b32_e32 v55, 5, v54
	v_lshl_or_b32 v10, v52, 9, v55
	v_mov_b32_e32 v11, s3
	v_add_co_u32_e32 v59, vcc, s2, v10
	v_addc_co_u32_e32 v60, vcc, 0, v11, vcc
	s_waitcnt vmcnt(6)
	v_mfma_f32_16x16x16bf16_1k v[6:9], v[42:43], v[18:19], v[6:9]
	v_pk_mul_f32 v[48:49], s[10:11], v[24:25] op_sel_hi:[0,1]
	v_pk_mul_f32 v[46:47], s[10:11], v[32:33] op_sel_hi:[0,1]
	v_lshlrev_b32_e32 v54, 2, v54
	v_mfma_f32_16x16x16bf16_1k v[40:43], v[44:45], v[20:21], v[6:9]
	s_waitcnt vmcnt(4)
	s_nop 5
	v_mad_i64_i32 v[6:7], s[2:3], v38, s45, 0
	v_lshlrev_b64 v[10:11], 1, v[6:7]
	v_mfma_f32_16x16x16bf16_1k v[6:9], v[26:27], v[2:3], 0
	v_add_co_u32_e32 v2, vcc, v59, v10
	v_addc_co_u32_e32 v3, vcc, v60, v11, vcc
	global_load_dwordx4 v[14:17], v[2:3], off
	global_load_dwordx4 v[10:13], v[2:3], off offset:16
	v_pk_mul_f32 v[44:45], s[10:11], v[42:43] op_sel_hi:[0,1]
	v_pk_mul_f32 v[42:43], s[10:11], v[40:41] op_sel_hi:[0,1]
	v_mfma_f32_16x16x16bf16_1k v[26:29], v[28:29], v[4:5], v[6:9]
	s_waitcnt vmcnt(4)
	v_mad_i64_i32 v[2:3], s[2:3], v39, s45, 0
	v_lshlrev_b64 v[2:3], 1, v[2:3]
	v_add_co_u32_e32 v2, vcc, v59, v2
	v_addc_co_u32_e32 v3, vcc, v60, v3, vcc
	v_mfma_f32_16x16x16bf16_1k v[26:29], v[34:35], v[18:19], v[26:29]
	v_pk_mul_f32 v[18:19], s[10:11], v[30:31] op_sel_hi:[0,1]
	global_load_dwordx4 v[6:9], v[2:3], off
	s_nop 0
	global_load_dwordx4 v[2:5], v[2:3], off offset:16
	s_waitcnt vmcnt(5)
	v_mad_i64_i32 v[38:39], s[2:3], v57, s45, 0
	v_lshlrev_b64 v[38:39], 1, v[38:39]
	v_add_co_u32_e32 v56, vcc, v59, v38
	v_addc_co_u32_e32 v57, vcc, v60, v39, vcc
	v_pk_mul_f32 v[38:39], s[10:11], v[22:23] op_sel_hi:[0,1]
	v_mfma_f32_16x16x16bf16_1k v[20:23], v[36:37], v[20:21], v[26:29]
	s_nop 7
	s_nop 2
	v_pk_mul_f32 v[40:41], s[10:11], v[20:21] op_sel_hi:[0,1]
	v_and_b32_e32 v20, 0xc0, v0
	v_add_u32_e32 v20, s16, v20
	v_lshl_or_b32 v20, v50, 2, v20
	v_pk_mul_f32 v[34:35], s[10:11], v[22:23] op_sel_hi:[0,1]
	v_or_b32_e32 v23, 1, v20
	v_mov_b32_e32 v21, 0xff7fffff
	v_cmp_gt_i32_e64 s[30:31], s33, v20
	v_cmp_gt_i32_e64 s[34:35], s33, v23
	v_cndmask_b32_e64 v22, v21, v18, s[30:31]
	v_cndmask_b32_e64 v23, v21, v19, s[34:35]
	v_max3_f32 v22, v22, s42, v23
	v_or_b32_e32 v23, 2, v20
	v_or_b32_e32 v24, 3, v20
	v_cmp_gt_i32_e64 s[36:37], s33, v23
	v_cmp_gt_i32_e64 s[38:39], s33, v24
	v_cndmask_b32_e64 v23, v21, v46, s[36:37]
	v_cndmask_b32_e64 v24, v21, v47, s[38:39]
	v_max3_f32 v22, v22, v23, v24
	v_or_b32_e32 v23, 16, v20
	v_or_b32_e32 v24, 17, v20
	;; [unrolled: 7-line block ×7, first 2 shown]
	v_cmp_gt_i32_e32 vcc, s33, v23
	v_cmp_gt_i32_e64 s[2:3], s33, v20
	v_cndmask_b32_e32 v23, v21, v34, vcc
	v_cndmask_b32_e64 v20, v21, v35, s[2:3]
	v_max3_f32 v26, v22, v23, v20
	v_mbcnt_lo_u32_b32 v20, -1, 0
	v_mbcnt_hi_u32_b32 v27, -1, v20
	v_and_b32_e32 v20, 64, v27
	v_add_u32_e32 v28, 64, v20
	v_xor_b32_e32 v20, 32, v27
	v_cmp_lt_i32_e64 s[40:41], v20, v28
	v_cndmask_b32_e64 v20, v27, v20, s[40:41]
	v_lshlrev_b32_e32 v61, 2, v20
	ds_bpermute_b32 v29, v61, v26
	s_waitcnt vmcnt(4)
	v_mad_i64_i32 v[20:21], s[40:41], v58, s45, 0
	global_load_dwordx4 v[30:33], v[56:57], off
	global_load_dwordx4 v[22:25], v[56:57], off offset:16
	v_lshlrev_b64 v[20:21], 1, v[20:21]
	s_waitcnt lgkmcnt(0)
	v_max_f32_e32 v29, v29, v29
	v_max_f32_e32 v26, v26, v29
	v_xor_b32_e32 v29, 16, v27
	v_cmp_lt_i32_e64 s[40:41], v29, v28
	v_cndmask_b32_e64 v27, v27, v29, s[40:41]
	v_lshlrev_b32_e32 v58, 2, v27
	ds_bpermute_b32 v27, v58, v26
	v_add_co_u32_e64 v20, s[40:41], v59, v20
	v_addc_co_u32_e64 v21, s[40:41], v60, v21, s[40:41]
	s_waitcnt lgkmcnt(0)
	v_max_f32_e32 v27, v27, v27
	v_max_f32_e32 v56, v26, v27
	v_sub_f32_e32 v18, v18, v56
	v_mul_f32_e32 v18, 0x3fb8aa3b, v18
	v_exp_f32_e32 v36, v18
	v_sub_f32_e32 v18, v19, v56
	v_mul_f32_e32 v18, 0x3fb8aa3b, v18
	v_exp_f32_e32 v37, v18
	global_load_dwordx4 v[26:29], v[20:21], off
	s_nop 0
	global_load_dwordx4 v[18:21], v[20:21], off offset:16
	v_sub_f32_e32 v46, v46, v56
	v_mul_f32_e32 v46, 0x3fb8aa3b, v46
	v_sub_f32_e32 v47, v47, v56
	v_exp_f32_e32 v46, v46
	v_mul_f32_e32 v47, 0x3fb8aa3b, v47
	v_sub_f32_e32 v38, v38, v56
	v_exp_f32_e32 v47, v47
	v_mul_f32_e32 v38, 0x3fb8aa3b, v38
	v_sub_f32_e32 v39, v39, v56
	v_cndmask_b32_e64 v36, 0, v36, s[30:31]
	v_exp_f32_e32 v38, v38
	v_mul_f32_e32 v39, 0x3fb8aa3b, v39
	v_sub_f32_e32 v48, v48, v56
	v_add_f32_e32 v57, 0, v36
	v_cndmask_b32_e64 v37, 0, v37, s[34:35]
	v_exp_f32_e32 v39, v39
	v_mul_f32_e32 v48, 0x3fb8aa3b, v48
	v_sub_f32_e32 v49, v49, v56
	v_add_f32_e32 v57, v57, v37
	v_cndmask_b32_e64 v46, 0, v46, s[36:37]
	v_exp_f32_e32 v48, v48
	v_mul_f32_e32 v49, 0x3fb8aa3b, v49
	v_sub_f32_e32 v42, v42, v56
	v_add_f32_e32 v57, v57, v46
	v_cndmask_b32_e64 v47, 0, v47, s[38:39]
	v_exp_f32_e32 v49, v49
	v_mul_f32_e32 v42, 0x3fb8aa3b, v42
	v_sub_f32_e32 v43, v43, v56
	v_add_f32_e32 v57, v57, v47
	v_cndmask_b32_e64 v38, 0, v38, s[24:25]
	v_exp_f32_e32 v42, v42
	v_mul_f32_e32 v43, 0x3fb8aa3b, v43
	v_sub_f32_e32 v44, v44, v56
	v_add_f32_e32 v57, v57, v38
	v_cndmask_b32_e64 v39, 0, v39, s[26:27]
	v_exp_f32_e32 v43, v43
	v_mul_f32_e32 v44, 0x3fb8aa3b, v44
	v_sub_f32_e32 v45, v45, v56
	v_add_f32_e32 v57, v57, v39
	v_cndmask_b32_e64 v48, 0, v48, s[20:21]
	v_exp_f32_e32 v44, v44
	v_mul_f32_e32 v45, 0x3fb8aa3b, v45
	v_sub_f32_e32 v40, v40, v56
	v_add_f32_e32 v57, v57, v48
	v_cndmask_b32_e64 v49, 0, v49, s[22:23]
	v_exp_f32_e32 v45, v45
	v_mul_f32_e32 v40, 0x3fb8aa3b, v40
	v_sub_f32_e32 v41, v41, v56
	v_add_f32_e32 v57, v57, v49
	v_cndmask_b32_e64 v42, 0, v42, s[16:17]
	v_exp_f32_e32 v40, v40
	v_mul_f32_e32 v41, 0x3fb8aa3b, v41
	v_sub_f32_e32 v34, v34, v56
	v_add_f32_e32 v57, v57, v42
	v_cndmask_b32_e64 v43, 0, v43, s[18:19]
	v_exp_f32_e32 v41, v41
	v_mul_f32_e32 v34, 0x3fb8aa3b, v34
	v_sub_f32_e32 v35, v35, v56
	v_add_f32_e32 v57, v57, v43
	v_cndmask_b32_e64 v44, 0, v44, s[12:13]
	v_exp_f32_e32 v34, v34
	v_mul_f32_e32 v35, 0x3fb8aa3b, v35
	v_add_f32_e32 v57, v57, v44
	v_cndmask_b32_e64 v45, 0, v45, s[14:15]
	v_exp_f32_e32 v35, v35
	v_add_f32_e32 v57, v57, v45
	v_cndmask_b32_e64 v40, 0, v40, s[28:29]
	v_add_f32_e32 v57, v57, v40
	v_cndmask_b32_e64 v41, 0, v41, s[10:11]
	v_add_f32_e32 v57, v57, v41
	v_cndmask_b32_e32 v34, 0, v34, vcc
	v_add_f32_e32 v57, v57, v34
	v_cndmask_b32_e64 v35, 0, v35, s[2:3]
	v_add_f32_e32 v57, v57, v35
	ds_bpermute_b32 v59, v61, v57
	v_cmp_gt_u32_e64 s[2:3], 16, v53
	s_waitcnt lgkmcnt(0)
	s_barrier
	v_add_f32_e32 v57, v57, v59
	ds_bpermute_b32 v58, v58, v57
	s_and_saveexec_b64 s[10:11], s[2:3]
	s_cbranch_execz .LBB244_13
; %bb.12:
	s_waitcnt lgkmcnt(0)
	v_add_f32_e32 v53, v57, v58
	v_lshl_or_b32 v57, v52, 6, v54
	ds_write2st64_b32 v57, v56, v53 offset1:1
.LBB244_13:
	s_or_b64 exec, exec, s[10:11]
	s_load_dwordx2 s[10:11], s[4:5], 0x94
	s_waitcnt lgkmcnt(0)
	s_barrier
	ds_read2_b32 v[56:57], v54 offset1:16
	ds_read2_b32 v[58:59], v54 offset0:32 offset1:48
	ds_read2_b32 v[60:61], v54 offset0:64 offset1:80
	s_movk_i32 s14, 0x7fff
	s_mov_b32 s15, 0x7060302
	s_waitcnt lgkmcnt(2)
	v_max3_f32 v53, v56, s42, v57
	s_waitcnt lgkmcnt(1)
	v_max3_f32 v53, v53, v58, v59
	v_sub_f32_e32 v56, v56, v53
	v_mul_f32_e32 v56, 0x3fb8aa3b, v56
	v_exp_f32_e32 v62, v56
	v_sub_f32_e32 v56, v57, v53
	v_mul_f32_e32 v56, 0x3fb8aa3b, v56
	v_exp_f32_e32 v63, v56
	;; [unrolled: 3-line block ×3, first 2 shown]
	ds_read2_b32 v[56:57], v54 offset0:96 offset1:112
	v_sub_f32_e32 v54, v59, v53
	v_mul_f32_e32 v54, 0x3fb8aa3b, v54
	v_exp_f32_e32 v59, v54
	s_waitcnt lgkmcnt(1)
	v_fma_f32 v54, v62, v60, 0
	v_fmac_f32_e32 v54, v63, v61
	s_waitcnt lgkmcnt(0)
	v_fmac_f32_e32 v54, v58, v56
	v_fmac_f32_e32 v54, v59, v57
	v_add_f32_e32 v57, 0x358637bd, v54
	v_div_scale_f32 v60, s[12:13], v57, v57, 1.0
	v_rcp_f32_e32 v61, v60
	s_barrier
	v_fma_f32 v64, -v60, v61, 1.0
	v_fmac_f32_e32 v61, v64, v61
	v_div_scale_f32 v64, vcc, 1.0, v57, 1.0
	v_mul_f32_e32 v65, v64, v61
	v_fma_f32 v66, -v60, v65, v64
	v_fmac_f32_e32 v65, v66, v61
	v_fma_f32 v60, -v60, v65, v64
	v_div_fmas_f32 v60, v60, v61, v65
	v_cmp_eq_u32_e32 vcc, 1, v52
	v_div_fixup_f32 v57, v60, v57, 1.0
	v_cndmask_b32_e32 v60, v62, v63, vcc
	v_cmp_eq_u32_e32 vcc, 2, v52
	v_cndmask_b32_e32 v58, v60, v58, vcc
	v_cmp_eq_u32_e32 vcc, 3, v52
	v_cndmask_b32_e32 v58, v58, v59, vcc
	v_mul_f32_e32 v58, v58, v57
	v_pk_mul_f32 v[36:37], v[58:59], v[36:37] op_sel_hi:[0,1]
	v_pk_mul_f32 v[46:47], v[58:59], v[46:47] op_sel_hi:[0,1]
	v_bfe_u32 v57, v37, 16, 1
	v_bfe_u32 v59, v36, 16, 1
	v_add3_u32 v36, v36, v59, s14
	v_add3_u32 v37, v37, v57, s14
	v_perm_b32 v60, v37, v36, s15
	v_bfe_u32 v36, v47, 16, 1
	v_bfe_u32 v37, v46, 16, 1
	v_add3_u32 v37, v46, v37, s14
	v_add3_u32 v36, v47, v36, s14
	v_perm_b32 v61, v36, v37, s15
	v_lshlrev_b32_e32 v36, 3, v50
	v_lshlrev_b32_e32 v37, 11, v52
	v_pk_mul_f32 v[38:39], v[58:59], v[38:39] op_sel_hi:[0,1]
	v_or3_b32 v36, v37, v55, v36
	v_pk_mul_f32 v[46:47], v[58:59], v[48:49] op_sel_hi:[0,1]
	v_bfe_u32 v37, v39, 16, 1
	v_bfe_u32 v48, v38, 16, 1
	v_add3_u32 v38, v38, v48, s14
	v_add3_u32 v37, v39, v37, s14
	v_perm_b32 v38, v37, v38, s15
	v_bfe_u32 v37, v47, 16, 1
	v_bfe_u32 v39, v46, 16, 1
	v_add3_u32 v39, v46, v39, s14
	v_add3_u32 v37, v47, v37, s14
	v_perm_b32 v39, v37, v39, s15
	v_pk_mul_f32 v[42:43], v[58:59], v[42:43] op_sel_hi:[0,1]
	ds_write2st64_b64 v36, v[60:61], v[38:39] offset1:1
	v_pk_mul_f32 v[38:39], v[58:59], v[44:45] op_sel_hi:[0,1]
	v_bfe_u32 v37, v43, 16, 1
	v_bfe_u32 v44, v42, 16, 1
	v_add3_u32 v42, v42, v44, s14
	v_add3_u32 v37, v43, v37, s14
	v_perm_b32 v42, v37, v42, s15
	v_bfe_u32 v37, v39, 16, 1
	v_bfe_u32 v43, v38, 16, 1
	v_add3_u32 v38, v38, v43, s14
	v_add3_u32 v37, v39, v37, s14
	v_perm_b32 v43, v37, v38, s15
	v_pk_mul_f32 v[38:39], v[58:59], v[40:41] op_sel_hi:[0,1]
	v_bfe_u32 v37, v39, 16, 1
	v_bfe_u32 v40, v38, 16, 1
	v_pk_mul_f32 v[34:35], v[58:59], v[34:35] op_sel_hi:[0,1]
	v_add3_u32 v38, v38, v40, s14
	v_add3_u32 v37, v39, v37, s14
	v_perm_b32 v38, v37, v38, s15
	v_bfe_u32 v37, v35, 16, 1
	v_bfe_u32 v39, v34, 16, 1
	v_add3_u32 v34, v34, v39, s14
	v_add3_u32 v35, v35, v37, s14
	v_mov_b32_e32 v56, 0
	v_perm_b32 v39, v35, v34, s15
	v_cmp_eq_u32_e32 vcc, 0, v0
	ds_write2st64_b64 v36, v[42:43], v[38:39] offset0:2 offset1:3
	s_and_saveexec_b64 s[12:13], vcc
	s_cbranch_execz .LBB244_15
; %bb.14:
	s_mul_i32 s7, s7, s11
	s_mul_hi_u32 s20, s6, s11
	s_add_i32 s20, s20, s7
	s_mul_i32 s7, s6, s11
	s_add_u32 s7, s7, s8
	s_addc_u32 s20, s20, 0
	s_load_dwordx4 s[16:19], s[4:5], 0x58
	s_mul_i32 s20, s20, s10
	s_mul_hi_u32 s21, s7, s10
	s_add_i32 s21, s21, s20
	s_mul_i32 s7, s7, s10
	s_add_u32 s20, s7, s9
	s_addc_u32 s21, s21, 0
	s_lshl_b64 s[20:21], s[20:21], 2
	s_waitcnt lgkmcnt(0)
	s_add_u32 s18, s18, s20
	s_addc_u32 s19, s19, s21
	s_add_u32 s16, s16, s20
	s_addc_u32 s17, s17, s21
	global_store_dword v56, v53, s[18:19]
	global_store_dword v56, v54, s[16:17]
.LBB244_15:
	s_or_b64 exec, exec, s[12:13]
	v_lshl_or_b32 v34, v50, 9, v55
	s_waitcnt lgkmcnt(0)
	s_barrier
	ds_read_b128 v[38:41], v34
	ds_read_b128 v[42:45], v34 offset:16
	s_waitcnt vmcnt(7) lgkmcnt(1)
	v_mfma_f32_16x16x16bf16_1k v[46:49], v[14:15], v[38:39], 0
	v_cmp_gt_u32_e32 vcc, 64, v0
	s_and_b64 s[0:1], s[0:1], vcc
	s_mov_b32 s7, 0
	s_and_b64 s[0:1], s[0:1], s[2:3]
	v_mfma_f32_16x16x16bf16_1k v[14:17], v[16:17], v[40:41], v[46:49]
	s_waitcnt vmcnt(6) lgkmcnt(0)
	v_mfma_f32_16x16x16bf16_1k v[14:17], v[10:11], v[42:43], v[14:17]
	v_mfma_f32_16x16x16bf16_1k v[10:13], v[12:13], v[44:45], v[14:17]
	s_nop 7
	s_nop 1
	ds_read_b128 v[14:17], v34 offset:2048
	ds_read_b128 v[38:41], v34 offset:2064
	s_waitcnt vmcnt(5) lgkmcnt(1)
	v_mfma_f32_16x16x16bf16_1k v[10:13], v[6:7], v[14:15], v[10:13]
	v_mfma_f32_16x16x16bf16_1k v[6:9], v[8:9], v[16:17], v[10:13]
	s_waitcnt vmcnt(4) lgkmcnt(0)
	v_mfma_f32_16x16x16bf16_1k v[6:9], v[2:3], v[38:39], v[6:9]
	v_mfma_f32_16x16x16bf16_1k v[2:5], v[4:5], v[40:41], v[6:9]
	s_nop 7
	s_nop 1
	ds_read_b128 v[6:9], v34 offset:4096
	ds_read_b128 v[10:13], v34 offset:4112
	s_waitcnt vmcnt(3) lgkmcnt(1)
	v_mfma_f32_16x16x16bf16_1k v[2:5], v[30:31], v[6:7], v[2:5]
	v_mfma_f32_16x16x16bf16_1k v[2:5], v[32:33], v[8:9], v[2:5]
	s_waitcnt vmcnt(2) lgkmcnt(0)
	v_mfma_f32_16x16x16bf16_1k v[2:5], v[22:23], v[10:11], v[2:5]
	v_mfma_f32_16x16x16bf16_1k v[2:5], v[24:25], v[12:13], v[2:5]
	ds_read_b128 v[6:9], v34 offset:6144
	ds_read_b128 v[10:13], v34 offset:6160
	s_waitcnt lgkmcnt(0)
	s_barrier
	s_waitcnt vmcnt(1)
	v_mfma_f32_16x16x16bf16_1k v[2:5], v[26:27], v[6:7], v[2:5]
	v_mfma_f32_16x16x16bf16_1k v[2:5], v[28:29], v[8:9], v[2:5]
	s_waitcnt vmcnt(0)
	v_mfma_f32_16x16x16bf16_1k v[2:5], v[18:19], v[10:11], v[2:5]
	v_mfma_f32_16x16x16bf16_1k v[2:5], v[20:21], v[12:13], v[2:5]
	s_nop 7
	s_nop 2
	v_bfe_u32 v6, v3, 16, 1
	v_bfe_u32 v7, v2, 16, 1
	;; [unrolled: 1-line block ×4, first 2 shown]
	v_add3_u32 v2, v2, v7, s14
	v_add3_u32 v3, v3, v6, s14
	;; [unrolled: 1-line block ×4, first 2 shown]
	v_perm_b32 v2, v3, v2, s15
	v_perm_b32 v3, v5, v4, s15
	ds_write_b64 v36, v[2:3]
	s_waitcnt lgkmcnt(0)
	s_barrier
	s_and_saveexec_b64 s[2:3], s[0:1]
	s_cbranch_execz .LBB244_17
; %bb.16:
	s_load_dwordx2 s[0:1], s[4:5], 0x68
	s_mul_i32 s2, s11, s6
	s_lshl_b32 s4, s10, 6
	s_mul_hi_u32 s3, s2, s4
	s_mul_i32 s2, s2, s4
	s_lshl_b64 s[2:3], s[2:3], 1
	v_lshlrev_b32_e32 v0, 10, v0
	s_waitcnt lgkmcnt(0)
	s_add_u32 s2, s0, s2
	v_and_b32_e32 v0, 0x1800, v0
	v_lshlrev_b32_e32 v2, 5, v50
	v_and_b32_e32 v3, 16, v51
	s_addc_u32 s3, s1, s3
	s_lshl_b32 s6, s9, 6
	v_or3_b32 v0, v0, v2, v3
	s_lshl_b64 s[0:1], s[6:7], 1
	ds_read_b128 v[2:5], v0
	s_add_u32 s2, s2, s0
	s_addc_u32 s3, s3, s1
	s_mul_hi_u32 s1, s4, s8
	s_mul_i32 s0, s4, s8
	s_lshl_b64 s[0:1], s[0:1], 1
	s_add_u32 s0, s2, s0
	s_addc_u32 s1, s3, s1
	s_waitcnt lgkmcnt(0)
	global_store_dwordx4 v1, v[2:5], s[0:1]
.LBB244_17:
	s_endpgm
	.section	.rodata,"a",@progbits
	.p2align	6, 0x0
	.amdhsa_kernel _Z39paged_attention_ll4mi_QKV_mfma16_kernelI14__hip_bfloat16S0_LN4vllm18Fp8KVCacheDataTypeE0ES0_Li16ELi64ELi256ELb0ELi1EL8MFMAType0EEvPKT_PKT0_S9_ifPKiSB_SB_iPKfiiiPfSE_PS4_PT2_iSD_SD_
		.amdhsa_group_segment_fixed_size 8192
		.amdhsa_private_segment_fixed_size 0
		.amdhsa_kernarg_size 400
		.amdhsa_user_sgpr_count 6
		.amdhsa_user_sgpr_private_segment_buffer 1
		.amdhsa_user_sgpr_dispatch_ptr 0
		.amdhsa_user_sgpr_queue_ptr 0
		.amdhsa_user_sgpr_kernarg_segment_ptr 1
		.amdhsa_user_sgpr_dispatch_id 0
		.amdhsa_user_sgpr_flat_scratch_init 0
		.amdhsa_user_sgpr_kernarg_preload_length 0
		.amdhsa_user_sgpr_kernarg_preload_offset 0
		.amdhsa_user_sgpr_private_segment_size 0
		.amdhsa_uses_dynamic_stack 0
		.amdhsa_system_sgpr_private_segment_wavefront_offset 0
		.amdhsa_system_sgpr_workgroup_id_x 1
		.amdhsa_system_sgpr_workgroup_id_y 1
		.amdhsa_system_sgpr_workgroup_id_z 1
		.amdhsa_system_sgpr_workgroup_info 0
		.amdhsa_system_vgpr_workitem_id 0
		.amdhsa_next_free_vgpr 67
		.amdhsa_next_free_sgpr 48
		.amdhsa_accum_offset 68
		.amdhsa_reserve_vcc 1
		.amdhsa_reserve_flat_scratch 0
		.amdhsa_float_round_mode_32 0
		.amdhsa_float_round_mode_16_64 0
		.amdhsa_float_denorm_mode_32 3
		.amdhsa_float_denorm_mode_16_64 3
		.amdhsa_dx10_clamp 1
		.amdhsa_ieee_mode 1
		.amdhsa_fp16_overflow 0
		.amdhsa_tg_split 0
		.amdhsa_exception_fp_ieee_invalid_op 0
		.amdhsa_exception_fp_denorm_src 0
		.amdhsa_exception_fp_ieee_div_zero 0
		.amdhsa_exception_fp_ieee_overflow 0
		.amdhsa_exception_fp_ieee_underflow 0
		.amdhsa_exception_fp_ieee_inexact 0
		.amdhsa_exception_int_div_zero 0
	.end_amdhsa_kernel
	.section	.text._Z39paged_attention_ll4mi_QKV_mfma16_kernelI14__hip_bfloat16S0_LN4vllm18Fp8KVCacheDataTypeE0ES0_Li16ELi64ELi256ELb0ELi1EL8MFMAType0EEvPKT_PKT0_S9_ifPKiSB_SB_iPKfiiiPfSE_PS4_PT2_iSD_SD_,"axG",@progbits,_Z39paged_attention_ll4mi_QKV_mfma16_kernelI14__hip_bfloat16S0_LN4vllm18Fp8KVCacheDataTypeE0ES0_Li16ELi64ELi256ELb0ELi1EL8MFMAType0EEvPKT_PKT0_S9_ifPKiSB_SB_iPKfiiiPfSE_PS4_PT2_iSD_SD_,comdat
.Lfunc_end244:
	.size	_Z39paged_attention_ll4mi_QKV_mfma16_kernelI14__hip_bfloat16S0_LN4vllm18Fp8KVCacheDataTypeE0ES0_Li16ELi64ELi256ELb0ELi1EL8MFMAType0EEvPKT_PKT0_S9_ifPKiSB_SB_iPKfiiiPfSE_PS4_PT2_iSD_SD_, .Lfunc_end244-_Z39paged_attention_ll4mi_QKV_mfma16_kernelI14__hip_bfloat16S0_LN4vllm18Fp8KVCacheDataTypeE0ES0_Li16ELi64ELi256ELb0ELi1EL8MFMAType0EEvPKT_PKT0_S9_ifPKiSB_SB_iPKfiiiPfSE_PS4_PT2_iSD_SD_
                                        ; -- End function
	.section	.AMDGPU.csdata,"",@progbits
; Kernel info:
; codeLenInByte = 4040
; NumSgprs: 52
; NumVgprs: 67
; NumAgprs: 0
; TotalNumVgprs: 67
; ScratchSize: 0
; MemoryBound: 0
; FloatMode: 240
; IeeeMode: 1
; LDSByteSize: 8192 bytes/workgroup (compile time only)
; SGPRBlocks: 6
; VGPRBlocks: 8
; NumSGPRsForWavesPerEU: 52
; NumVGPRsForWavesPerEU: 67
; AccumOffset: 68
; Occupancy: 7
; WaveLimiterHint : 1
; COMPUTE_PGM_RSRC2:SCRATCH_EN: 0
; COMPUTE_PGM_RSRC2:USER_SGPR: 6
; COMPUTE_PGM_RSRC2:TRAP_HANDLER: 0
; COMPUTE_PGM_RSRC2:TGID_X_EN: 1
; COMPUTE_PGM_RSRC2:TGID_Y_EN: 1
; COMPUTE_PGM_RSRC2:TGID_Z_EN: 1
; COMPUTE_PGM_RSRC2:TIDIG_COMP_CNT: 0
; COMPUTE_PGM_RSRC3_GFX90A:ACCUM_OFFSET: 16
; COMPUTE_PGM_RSRC3_GFX90A:TG_SPLIT: 0
	.section	.text._Z39paged_attention_ll4mi_QKV_mfma16_kernelI14__hip_bfloat16S0_LN4vllm18Fp8KVCacheDataTypeE0ES0_Li16ELi64ELi256ELb0ELi2EL8MFMAType0EEvPKT_PKT0_S9_ifPKiSB_SB_iPKfiiiPfSE_PS4_PT2_iSD_SD_,"axG",@progbits,_Z39paged_attention_ll4mi_QKV_mfma16_kernelI14__hip_bfloat16S0_LN4vllm18Fp8KVCacheDataTypeE0ES0_Li16ELi64ELi256ELb0ELi2EL8MFMAType0EEvPKT_PKT0_S9_ifPKiSB_SB_iPKfiiiPfSE_PS4_PT2_iSD_SD_,comdat
	.protected	_Z39paged_attention_ll4mi_QKV_mfma16_kernelI14__hip_bfloat16S0_LN4vllm18Fp8KVCacheDataTypeE0ES0_Li16ELi64ELi256ELb0ELi2EL8MFMAType0EEvPKT_PKT0_S9_ifPKiSB_SB_iPKfiiiPfSE_PS4_PT2_iSD_SD_ ; -- Begin function _Z39paged_attention_ll4mi_QKV_mfma16_kernelI14__hip_bfloat16S0_LN4vllm18Fp8KVCacheDataTypeE0ES0_Li16ELi64ELi256ELb0ELi2EL8MFMAType0EEvPKT_PKT0_S9_ifPKiSB_SB_iPKfiiiPfSE_PS4_PT2_iSD_SD_
	.globl	_Z39paged_attention_ll4mi_QKV_mfma16_kernelI14__hip_bfloat16S0_LN4vllm18Fp8KVCacheDataTypeE0ES0_Li16ELi64ELi256ELb0ELi2EL8MFMAType0EEvPKT_PKT0_S9_ifPKiSB_SB_iPKfiiiPfSE_PS4_PT2_iSD_SD_
	.p2align	8
	.type	_Z39paged_attention_ll4mi_QKV_mfma16_kernelI14__hip_bfloat16S0_LN4vllm18Fp8KVCacheDataTypeE0ES0_Li16ELi64ELi256ELb0ELi2EL8MFMAType0EEvPKT_PKT0_S9_ifPKiSB_SB_iPKfiiiPfSE_PS4_PT2_iSD_SD_,@function
_Z39paged_attention_ll4mi_QKV_mfma16_kernelI14__hip_bfloat16S0_LN4vllm18Fp8KVCacheDataTypeE0ES0_Li16ELi64ELi256ELb0ELi2EL8MFMAType0EEvPKT_PKT0_S9_ifPKiSB_SB_iPKfiiiPfSE_PS4_PT2_iSD_SD_: ; @_Z39paged_attention_ll4mi_QKV_mfma16_kernelI14__hip_bfloat16S0_LN4vllm18Fp8KVCacheDataTypeE0ES0_Li16ELi64ELi256ELb0ELi2EL8MFMAType0EEvPKT_PKT0_S9_ifPKiSB_SB_iPKfiiiPfSE_PS4_PT2_iSD_SD_
; %bb.0:
	s_load_dwordx2 s[0:1], s[4:5], 0x30
	s_mov_b32 s28, s7
	s_mov_b64 s[10:11], 0
	s_waitcnt lgkmcnt(0)
	s_cmp_lg_u64 s[0:1], 0
	s_cselect_b64 s[2:3], -1, 0
	s_and_b64 vcc, exec, s[2:3]
	s_cbranch_vccz .LBB245_7
; %bb.1:
	s_add_i32 s12, s6, 1
	s_mov_b32 s13, 0
	s_lshl_b64 s[14:15], s[12:13], 2
	s_add_u32 s14, s0, s14
	s_mov_b32 s7, s13
	s_addc_u32 s15, s1, s15
	s_lshl_b64 s[12:13], s[6:7], 2
	s_add_u32 s12, s0, s12
	s_addc_u32 s13, s1, s13
	s_load_dword s9, s[14:15], 0x0
	s_load_dword s16, s[12:13], 0x0
	s_waitcnt lgkmcnt(0)
	s_sub_i32 s9, s9, s16
	s_cmp_eq_u32 s9, 1
	s_cselect_b64 s[12:13], -1, 0
	s_andn2_b64 vcc, exec, s[10:11]
	s_cbranch_vccnz .LBB245_3
.LBB245_2:
	s_mov_b32 s7, 0
	s_mov_b64 s[12:13], -1
.LBB245_3:
	s_andn2_b64 vcc, exec, s[12:13]
	s_cbranch_vccnz .LBB245_17
; %bb.4:
	s_load_dwordx2 s[12:13], s[4:5], 0x28
	s_lshl_b64 s[10:11], s[6:7], 2
	s_waitcnt lgkmcnt(0)
	s_add_u32 s12, s12, s10
	s_addc_u32 s13, s13, s11
	s_load_dword s40, s[12:13], 0x0
	s_lshl_b32 s16, s28, 8
	s_waitcnt lgkmcnt(0)
	s_cmp_ge_i32 s16, s40
	s_cbranch_scc1 .LBB245_17
; %bb.5:
	s_add_i32 s14, s40, 15
	s_load_dwordx2 s[12:13], s[4:5], 0x20
	s_load_dword s9, s[4:5], 0x38
	s_ashr_i32 s15, s14, 31
	v_and_b32_e32 v1, 0xcf, v0
	s_lshr_b32 s15, s15, 28
	v_add_u32_e32 v1, s16, v1
	s_add_i32 s14, s14, s15
	v_ashrrev_i32_e32 v2, 31, v1
	s_ashr_i32 s19, s14, 4
	v_lshrrev_b32_e32 v10, 28, v2
	s_add_i32 s19, s19, -1
	v_add_u32_e32 v2, v1, v10
	s_waitcnt lgkmcnt(0)
	s_mul_i32 s14, s6, s9
	s_mov_b32 s15, 0
	v_ashrrev_i32_e32 v2, 4, v2
	v_mov_b32_e32 v11, s19
	v_cmp_gt_i32_e32 vcc, s40, v1
	s_lshl_b64 s[14:15], s[14:15], 2
	v_cndmask_b32_e32 v2, v11, v2, vcc
	s_add_u32 s17, s12, s14
	v_ashrrev_i32_e32 v3, 31, v2
	s_addc_u32 s18, s13, s15
	v_lshlrev_b64 v[2:3], 2, v[2:3]
	v_mov_b32_e32 v5, s18
	v_add_co_u32_e32 v4, vcc, s17, v2
	v_or_b32_e32 v2, 16, v1
	v_addc_co_u32_e32 v5, vcc, v5, v3, vcc
	v_add_u32_e32 v3, v2, v10
	v_ashrrev_i32_e32 v3, 4, v3
	v_cmp_gt_i32_e32 vcc, s40, v2
	v_cndmask_b32_e32 v2, v11, v3, vcc
	v_ashrrev_i32_e32 v3, 31, v2
	v_lshlrev_b64 v[2:3], 2, v[2:3]
	v_mov_b32_e32 v7, s18
	v_add_co_u32_e32 v6, vcc, s17, v2
	v_or_b32_e32 v2, 32, v1
	v_addc_co_u32_e32 v7, vcc, v7, v3, vcc
	v_add_u32_e32 v3, v2, v10
	v_ashrrev_i32_e32 v3, 4, v3
	v_cmp_gt_i32_e32 vcc, s40, v2
	v_cndmask_b32_e32 v2, v11, v3, vcc
	v_ashrrev_i32_e32 v3, 31, v2
	;; [unrolled: 10-line block ×3, first 2 shown]
	v_lshlrev_b64 v[2:3], 2, v[2:3]
	v_mov_b32_e32 v1, s18
	v_add_co_u32_e32 v10, vcc, s17, v2
	v_addc_co_u32_e32 v11, vcc, v1, v3, vcc
	global_load_dword v3, v[4:5], off
	global_load_dword v2, v[6:7], off
	;; [unrolled: 1-line block ×4, first 2 shown]
	s_load_dwordx4 s[12:15], s[4:5], 0x8
	s_andn2_b64 vcc, exec, s[2:3]
	s_cbranch_vccnz .LBB245_8
; %bb.6:
	s_add_u32 s0, s0, s10
	s_addc_u32 s1, s1, s11
	s_load_dword s9, s[0:1], 0x0
	s_branch .LBB245_9
.LBB245_7:
	s_mov_b64 s[12:13], 0
	s_branch .LBB245_2
.LBB245_8:
	s_mov_b32 s9, s6
.LBB245_9:
	s_load_dwordx4 s[44:47], s[4:5], 0x48
	v_lshrrev_b32_e32 v53, 6, v0
	v_bfe_u32 v1, v0, 4, 2
	v_lshl_or_b32 v4, v53, 2, v1
	v_and_b32_e32 v54, 15, v0
	v_lshlrev_b32_e32 v5, 3, v54
	v_cmp_gt_u32_e32 vcc, 2, v4
	v_cmp_gt_u32_e64 s[0:1], 8, v54
	v_and_b32_e32 v51, 63, v0
	s_lshl_b32 s29, s8, 1
	s_and_b64 s[10:11], s[0:1], vcc
	v_lshlrev_b32_e32 v50, 1, v5
	s_and_saveexec_b64 s[2:3], s[10:11]
	s_cbranch_execz .LBB245_11
; %bb.10:
	s_load_dwordx2 s[10:11], s[4:5], 0x0
	s_waitcnt lgkmcnt(0)
	s_ashr_i32 s20, s44, 31
	s_mul_hi_u32 s21, s9, s44
	s_mul_i32 s20, s9, s20
	s_add_i32 s21, s21, s20
	s_mul_i32 s20, s9, s44
	s_lshl_b64 s[20:21], s[20:21], 1
	v_add_lshl_u32 v6, v1, s29, 6
	s_add_u32 s9, s10, s20
	v_ashrrev_i32_e32 v7, 31, v6
	s_addc_u32 s10, s11, s21
	v_lshlrev_b64 v[6:7], 1, v[6:7]
	v_mov_b32_e32 v5, s10
	v_add_co_u32_e32 v6, vcc, s9, v6
	v_addc_co_u32_e32 v5, vcc, v5, v7, vcc
	v_add_co_u32_e32 v6, vcc, v6, v50
	v_addc_co_u32_e32 v7, vcc, 0, v5, vcc
	global_load_dwordx4 v[6:9], v[6:7], off
	v_and_b32_e32 v5, 3, v0
	v_lshlrev_b32_e32 v10, 9, v54
	v_lshlrev_b32_e32 v4, 5, v4
	;; [unrolled: 1-line block ×3, first 2 shown]
	v_and_b32_e32 v10, 0x1800, v10
	v_or3_b32 v4, v10, v5, v4
	s_waitcnt vmcnt(0)
	ds_write_b128 v4, v[6:9]
.LBB245_11:
	s_or_b64 exec, exec, s[2:3]
	s_waitcnt lgkmcnt(0)
	s_mul_i32 s8, s8, s46
	s_mov_b32 s9, 0
	s_lshl_b64 s[8:9], s[8:9], 1
	s_add_u32 s3, s12, s8
	v_lshlrev_b32_e32 v52, 4, v0
	s_addc_u32 s10, s13, s9
	v_and_b32_e32 v4, 0xf0, v52
	v_mov_b32_e32 v5, s10
	v_add_co_u32_e32 v29, vcc, s3, v4
	v_addc_co_u32_e32 v30, vcc, 0, v5, vcc
	s_waitcnt vmcnt(3)
	v_mad_i64_i32 v[4:5], s[10:11], v3, s45, 0
	v_lshlrev_b64 v[4:5], 1, v[4:5]
	v_add_co_u32_e32 v3, vcc, v29, v4
	v_addc_co_u32_e32 v5, vcc, v30, v5, vcc
	v_and_b32_e32 v31, 0x300, v52
	v_add_co_u32_e32 v4, vcc, v3, v31
	v_addc_co_u32_e32 v5, vcc, 0, v5, vcc
	s_load_dword s33, s[4:5], 0x98
	s_load_dword s2, s[4:5], 0x1c
	s_waitcnt lgkmcnt(0)
	s_barrier
	global_load_dwordx4 v[6:9], v[4:5], off
	s_waitcnt vmcnt(3)
	v_mad_i64_i32 v[2:3], s[10:11], v2, s45, 0
	v_lshlrev_b64 v[2:3], 1, v[2:3]
	v_add_co_u32_e32 v2, vcc, v29, v2
	v_addc_co_u32_e32 v3, vcc, v30, v3, vcc
	v_add_co_u32_e32 v2, vcc, v2, v31
	v_addc_co_u32_e32 v3, vcc, 0, v3, vcc
	global_load_dwordx4 v[22:25], v[2:3], off
	global_load_dwordx4 v[10:13], v[4:5], off offset:1024
	global_load_dwordx4 v[14:17], v[2:3], off offset:1024
	v_and_b32_e32 v2, 1, v0
	v_lshlrev_b32_e32 v2, 5, v2
	v_lshl_or_b32 v20, v1, 9, v2
	ds_read_b128 v[2:5], v20
	s_waitcnt vmcnt(5)
	v_mad_i64_i32 v[18:19], s[10:11], v18, s45, 0
	v_lshlrev_b64 v[26:27], 1, v[18:19]
	ds_read_b128 v[18:21], v20 offset:2048
	v_and_or_b32 v55, v0, 48, s16
	v_mov_b32_e32 v60, s19
	v_mov_b32_e32 v49, s18
	v_or_b32_e32 v57, 0x80, v55
	v_mov_b32_e32 v56, s18
	v_mov_b32_e32 v61, s18
	s_add_u32 s3, s14, s8
	s_addc_u32 s8, s15, s9
	s_mov_b32 s42, 0xff7fffff
	s_waitcnt vmcnt(2) lgkmcnt(1)
	v_mfma_f32_16x16x16bf16_1k v[36:39], v[22:23], v[2:3], 0
	v_mad_i64_i32 v[22:23], s[10:11], v28, s45, 0
	v_lshlrev_b64 v[44:45], 1, v[22:23]
	v_ashrrev_i32_e32 v22, 4, v55
	v_or_b32_e32 v28, 64, v55
	v_mfma_f32_16x16x16bf16_1k v[32:35], v[6:7], v[2:3], 0
	v_add_co_u32_e32 v6, vcc, v29, v26
	v_addc_co_u32_e32 v7, vcc, v30, v27, vcc
	v_add_co_u32_e32 v26, vcc, v6, v31
	v_addc_co_u32_e32 v27, vcc, 0, v7, vcc
	global_load_dwordx4 v[40:43], v[26:27], off
	v_mfma_f32_16x16x16bf16_1k v[6:9], v[8:9], v[4:5], v[32:35]
	v_cmp_gt_i32_e32 vcc, s40, v55
	v_cndmask_b32_e32 v46, v60, v22, vcc
	v_cmp_gt_i32_e32 vcc, s40, v28
	v_ashrrev_i32_e32 v47, 31, v46
	s_nop 2
	global_load_dwordx4 v[32:35], v[26:27], off offset:1024
	v_mfma_f32_16x16x16bf16_1k v[22:25], v[24:25], v[4:5], v[36:39]
	s_nop 6
	v_ashrrev_i32_e32 v36, 4, v28
	v_cndmask_b32_e32 v48, v60, v36, vcc
	s_waitcnt vmcnt(3) lgkmcnt(0)
	v_mfma_f32_16x16x16bf16_1k v[6:9], v[10:11], v[18:19], v[6:9]
	v_add_co_u32_e32 v10, vcc, v29, v44
	v_addc_co_u32_e32 v11, vcc, v30, v45, vcc
	v_add_co_u32_e32 v10, vcc, v10, v31
	v_addc_co_u32_e32 v11, vcc, 0, v11, vcc
	v_lshlrev_b64 v[36:37], 2, v[46:47]
	global_load_dwordx4 v[26:29], v[10:11], off
	s_waitcnt vmcnt(3)
	v_mfma_f32_16x16x16bf16_1k v[22:25], v[14:15], v[18:19], v[22:25]
	v_add_co_u32_e32 v14, vcc, s17, v36
	v_addc_co_u32_e32 v15, vcc, v49, v37, vcc
	global_load_dword v44, v[14:15], off
	v_ashrrev_i32_e32 v38, 4, v57
	v_cmp_gt_i32_e32 vcc, s40, v57
	v_ashrrev_i32_e32 v49, 31, v48
	v_cndmask_b32_e32 v14, v60, v38, vcc
	v_mfma_f32_16x16x16bf16_1k v[36:39], v[12:13], v[20:21], v[6:9]
	v_ashrrev_i32_e32 v15, 31, v14
	v_mov_b32_e32 v12, s18
	s_nop 4
	v_lshlrev_b64 v[6:7], 2, v[48:49]
	v_add_co_u32_e32 v6, vcc, s17, v6
	v_addc_co_u32_e32 v7, vcc, v56, v7, vcc
	global_load_dwordx4 v[56:59], v[10:11], off offset:1024
	global_load_dword v45, v[6:7], off
	v_lshlrev_b64 v[6:7], 2, v[14:15]
	v_add_co_u32_e32 v10, vcc, s17, v6
	v_addc_co_u32_e32 v11, vcc, v61, v7, vcc
	s_waitcnt vmcnt(5)
	v_mfma_f32_16x16x16bf16_1k v[6:9], v[40:41], v[2:3], 0
	global_load_dword v40, v[10:11], off
	v_or_b32_e32 v10, 0xc0, v55
	v_ashrrev_i32_e32 v11, 4, v10
	v_cmp_gt_i32_e32 vcc, s40, v10
	v_cndmask_b32_e32 v10, v60, v11, vcc
	v_ashrrev_i32_e32 v11, 31, v10
	v_lshlrev_b64 v[10:11], 2, v[10:11]
	v_mfma_f32_16x16x16bf16_1k v[6:9], v[42:43], v[4:5], v[6:9]
	v_add_co_u32_e32 v10, vcc, s17, v10
	v_addc_co_u32_e32 v11, vcc, v12, v11, vcc
	global_load_dword v60, v[10:11], off
	v_lshlrev_b32_e32 v55, 5, v54
	v_lshl_or_b32 v10, v53, 9, v55
	s_waitcnt vmcnt(6)
	v_mfma_f32_16x16x16bf16_1k v[6:9], v[32:33], v[18:19], v[6:9]
	v_mov_b32_e32 v11, s8
	v_add_co_u32_e32 v61, vcc, s3, v10
	v_addc_co_u32_e32 v62, vcc, 0, v11, vcc
	v_pk_mul_f32 v[46:47], s[2:3], v[38:39] op_sel_hi:[0,1]
	v_mfma_f32_16x16x16bf16_1k v[30:33], v[34:35], v[20:21], v[6:9]
	s_waitcnt vmcnt(1)
	v_mad_i64_i32 v[34:35], s[8:9], v40, s45, 0
	s_nop 4
	v_mad_i64_i32 v[6:7], s[8:9], v44, s45, 0
	v_lshlrev_b64 v[10:11], 1, v[6:7]
	v_mfma_f32_16x16x16bf16_1k v[6:9], v[26:27], v[2:3], 0
	v_add_co_u32_e32 v2, vcc, v61, v10
	v_addc_co_u32_e32 v3, vcc, v62, v11, vcc
	v_lshlrev_b64 v[34:35], 1, v[34:35]
	v_pk_mul_f32 v[42:43], s[2:3], v[30:31] op_sel_hi:[0,1]
	v_mfma_f32_16x16x16bf16_1k v[26:29], v[28:29], v[4:5], v[6:9]
	v_mfma_f32_16x16x16bf16_1k v[22:25], v[16:17], v[20:21], v[22:25]
	global_load_dwordx4 v[14:17], v[2:3], off
	global_load_dwordx4 v[10:13], v[2:3], off offset:16
	v_mad_i64_i32 v[2:3], s[8:9], v45, s45, 0
	v_lshlrev_b64 v[2:3], 1, v[2:3]
	v_add_co_u32_e32 v2, vcc, v61, v2
	v_addc_co_u32_e32 v3, vcc, v62, v3, vcc
	v_mfma_f32_16x16x16bf16_1k v[26:29], v[56:57], v[18:19], v[26:29]
	s_nop 3
	v_pk_mul_f32 v[38:39], s[2:3], v[22:23] op_sel_hi:[0,1]
	v_add_co_u32_e32 v56, vcc, v61, v34
	v_addc_co_u32_e32 v57, vcc, v62, v35, vcc
	v_pk_mul_f32 v[18:19], s[2:3], v[36:37] op_sel_hi:[0,1]
	v_pk_mul_f32 v[48:49], s[2:3], v[24:25] op_sel_hi:[0,1]
	v_mfma_f32_16x16x16bf16_1k v[20:23], v[58:59], v[20:21], v[26:29]
	v_pk_mul_f32 v[44:45], s[2:3], v[32:33] op_sel_hi:[0,1]
	global_load_dwordx4 v[6:9], v[2:3], off
	s_nop 0
	global_load_dwordx4 v[2:5], v[2:3], off offset:16
	s_nop 6
	v_pk_mul_f32 v[40:41], s[2:3], v[20:21] op_sel_hi:[0,1]
	v_and_b32_e32 v20, 0xc0, v0
	v_add_u32_e32 v20, s16, v20
	v_lshl_or_b32 v20, v1, 2, v20
	v_pk_mul_f32 v[34:35], s[2:3], v[22:23] op_sel_hi:[0,1]
	v_or_b32_e32 v23, 1, v20
	v_mov_b32_e32 v21, 0xff7fffff
	v_cmp_gt_i32_e64 s[30:31], s40, v20
	v_cmp_gt_i32_e64 s[34:35], s40, v23
	v_cndmask_b32_e64 v22, v21, v18, s[30:31]
	v_cndmask_b32_e64 v23, v21, v19, s[34:35]
	v_max3_f32 v22, v22, s42, v23
	v_or_b32_e32 v23, 2, v20
	v_or_b32_e32 v24, 3, v20
	v_cmp_gt_i32_e64 s[36:37], s40, v23
	v_cmp_gt_i32_e64 s[38:39], s40, v24
	v_cndmask_b32_e64 v23, v21, v46, s[36:37]
	v_cndmask_b32_e64 v24, v21, v47, s[38:39]
	v_max3_f32 v22, v22, v23, v24
	v_or_b32_e32 v23, 16, v20
	v_or_b32_e32 v24, 17, v20
	;; [unrolled: 7-line block ×7, first 2 shown]
	v_cmp_gt_i32_e32 vcc, s40, v23
	v_cmp_gt_i32_e64 s[2:3], s40, v20
	v_cndmask_b32_e32 v23, v21, v34, vcc
	v_cndmask_b32_e64 v20, v21, v35, s[2:3]
	v_max3_f32 v26, v22, v23, v20
	v_mbcnt_lo_u32_b32 v20, -1, 0
	v_mbcnt_hi_u32_b32 v27, -1, v20
	v_and_b32_e32 v20, 64, v27
	v_add_u32_e32 v28, 64, v20
	v_xor_b32_e32 v20, 32, v27
	v_cmp_lt_i32_e64 s[40:41], v20, v28
	v_cndmask_b32_e64 v20, v27, v20, s[40:41]
	v_lshlrev_b32_e32 v58, 2, v20
	ds_bpermute_b32 v29, v58, v26
	s_waitcnt vmcnt(4)
	v_mad_i64_i32 v[20:21], s[40:41], v60, s45, 0
	global_load_dwordx4 v[30:33], v[56:57], off
	global_load_dwordx4 v[22:25], v[56:57], off offset:16
	v_lshlrev_b64 v[20:21], 1, v[20:21]
	s_waitcnt lgkmcnt(0)
	v_max_f32_e32 v29, v29, v29
	v_max_f32_e32 v26, v26, v29
	v_xor_b32_e32 v29, 16, v27
	v_cmp_lt_i32_e64 s[40:41], v29, v28
	v_cndmask_b32_e64 v27, v27, v29, s[40:41]
	v_lshlrev_b32_e32 v57, 2, v27
	ds_bpermute_b32 v27, v57, v26
	v_add_co_u32_e64 v20, s[40:41], v61, v20
	v_addc_co_u32_e64 v21, s[40:41], v62, v21, s[40:41]
	s_waitcnt lgkmcnt(0)
	v_max_f32_e32 v27, v27, v27
	v_max_f32_e32 v56, v26, v27
	v_sub_f32_e32 v18, v18, v56
	v_mul_f32_e32 v18, 0x3fb8aa3b, v18
	v_exp_f32_e32 v36, v18
	v_sub_f32_e32 v18, v19, v56
	v_mul_f32_e32 v18, 0x3fb8aa3b, v18
	v_exp_f32_e32 v37, v18
	global_load_dwordx4 v[26:29], v[20:21], off
	s_nop 0
	global_load_dwordx4 v[18:21], v[20:21], off offset:16
	v_sub_f32_e32 v46, v46, v56
	v_mul_f32_e32 v46, 0x3fb8aa3b, v46
	v_sub_f32_e32 v47, v47, v56
	v_exp_f32_e32 v46, v46
	v_mul_f32_e32 v47, 0x3fb8aa3b, v47
	v_sub_f32_e32 v38, v38, v56
	v_exp_f32_e32 v47, v47
	v_mul_f32_e32 v38, 0x3fb8aa3b, v38
	v_sub_f32_e32 v39, v39, v56
	v_cndmask_b32_e64 v36, 0, v36, s[30:31]
	v_exp_f32_e32 v38, v38
	v_mul_f32_e32 v39, 0x3fb8aa3b, v39
	v_sub_f32_e32 v48, v48, v56
	v_add_f32_e32 v59, 0, v36
	v_cndmask_b32_e64 v37, 0, v37, s[34:35]
	v_exp_f32_e32 v39, v39
	v_mul_f32_e32 v48, 0x3fb8aa3b, v48
	v_sub_f32_e32 v49, v49, v56
	v_add_f32_e32 v59, v59, v37
	;; [unrolled: 5-line block ×10, first 2 shown]
	v_cndmask_b32_e64 v44, 0, v44, s[12:13]
	v_exp_f32_e32 v34, v34
	v_mul_f32_e32 v35, 0x3fb8aa3b, v35
	v_add_f32_e32 v59, v59, v44
	v_cndmask_b32_e64 v45, 0, v45, s[14:15]
	v_exp_f32_e32 v35, v35
	v_add_f32_e32 v59, v59, v45
	v_cndmask_b32_e64 v40, 0, v40, s[8:9]
	v_add_f32_e32 v59, v59, v40
	v_cndmask_b32_e64 v41, 0, v41, s[10:11]
	v_add_f32_e32 v59, v59, v41
	v_cndmask_b32_e32 v34, 0, v34, vcc
	v_add_f32_e32 v59, v59, v34
	v_cndmask_b32_e64 v35, 0, v35, s[2:3]
	v_add_f32_e32 v59, v59, v35
	ds_bpermute_b32 v58, v58, v59
	v_cmp_gt_u32_e32 vcc, 16, v51
	s_waitcnt lgkmcnt(0)
	s_barrier
	v_add_f32_e32 v58, v59, v58
	ds_bpermute_b32 v59, v57, v58
	v_lshlrev_b32_e32 v57, 2, v54
	s_and_saveexec_b64 s[2:3], vcc
	s_cbranch_execz .LBB245_13
; %bb.12:
	s_waitcnt lgkmcnt(0)
	v_add_f32_e32 v54, v58, v59
	v_lshl_or_b32 v58, v53, 6, v57
	ds_write2st64_b32 v58, v56, v54 offset1:1
.LBB245_13:
	s_or_b64 exec, exec, s[2:3]
	s_load_dword s8, s[4:5], 0x94
	s_waitcnt lgkmcnt(0)
	s_barrier
	ds_read2_b32 v[58:59], v57 offset1:16
	ds_read2_b32 v[60:61], v57 offset0:32 offset1:48
	ds_read2_b32 v[62:63], v57 offset0:64 offset1:80
	s_movk_i32 s10, 0x7fff
	s_mov_b32 s11, 0x7060302
	s_waitcnt lgkmcnt(2)
	v_max3_f32 v54, v58, s42, v59
	s_waitcnt lgkmcnt(1)
	v_max3_f32 v54, v54, v60, v61
	v_sub_f32_e32 v56, v58, v54
	v_mul_f32_e32 v56, 0x3fb8aa3b, v56
	v_exp_f32_e32 v64, v56
	v_sub_f32_e32 v56, v59, v54
	v_mul_f32_e32 v56, 0x3fb8aa3b, v56
	v_exp_f32_e32 v65, v56
	;; [unrolled: 3-line block ×3, first 2 shown]
	ds_read2_b32 v[58:59], v57 offset0:96 offset1:112
	v_sub_f32_e32 v56, v61, v54
	v_mul_f32_e32 v56, 0x3fb8aa3b, v56
	v_exp_f32_e32 v57, v56
	s_waitcnt lgkmcnt(1)
	v_fma_f32 v56, v64, v62, 0
	v_fmac_f32_e32 v56, v65, v63
	s_waitcnt lgkmcnt(0)
	v_fmac_f32_e32 v56, v60, v58
	v_fmac_f32_e32 v56, v57, v59
	v_add_f32_e32 v58, 0x358637bd, v56
	v_div_scale_f32 v59, s[2:3], v58, v58, 1.0
	v_rcp_f32_e32 v61, v59
	s_barrier
	v_fma_f32 v62, -v59, v61, 1.0
	v_fmac_f32_e32 v61, v62, v61
	v_div_scale_f32 v62, vcc, 1.0, v58, 1.0
	v_mul_f32_e32 v63, v62, v61
	v_fma_f32 v66, -v59, v63, v62
	v_fmac_f32_e32 v63, v66, v61
	v_fma_f32 v59, -v59, v63, v62
	v_div_fmas_f32 v59, v59, v61, v63
	v_cmp_eq_u32_e32 vcc, 1, v53
	v_div_fixup_f32 v58, v59, v58, 1.0
	v_cndmask_b32_e32 v59, v64, v65, vcc
	v_cmp_eq_u32_e32 vcc, 2, v53
	v_cndmask_b32_e32 v59, v59, v60, vcc
	v_cmp_eq_u32_e32 vcc, 3, v53
	v_cndmask_b32_e32 v57, v59, v57, vcc
	v_mul_f32_e32 v58, v57, v58
	v_pk_mul_f32 v[36:37], v[58:59], v[36:37] op_sel_hi:[0,1]
	v_pk_mul_f32 v[46:47], v[58:59], v[46:47] op_sel_hi:[0,1]
	v_bfe_u32 v57, v37, 16, 1
	v_bfe_u32 v59, v36, 16, 1
	v_add3_u32 v36, v36, v59, s10
	v_add3_u32 v37, v37, v57, s10
	v_perm_b32 v60, v37, v36, s11
	v_bfe_u32 v36, v47, 16, 1
	v_bfe_u32 v37, v46, 16, 1
	v_add3_u32 v37, v46, v37, s10
	v_add3_u32 v36, v47, v36, s10
	v_perm_b32 v61, v36, v37, s11
	v_lshlrev_b32_e32 v36, 3, v1
	v_lshlrev_b32_e32 v37, 11, v53
	v_pk_mul_f32 v[38:39], v[58:59], v[38:39] op_sel_hi:[0,1]
	v_or3_b32 v36, v37, v55, v36
	v_pk_mul_f32 v[46:47], v[58:59], v[48:49] op_sel_hi:[0,1]
	v_bfe_u32 v37, v39, 16, 1
	v_bfe_u32 v48, v38, 16, 1
	v_add3_u32 v38, v38, v48, s10
	v_add3_u32 v37, v39, v37, s10
	v_perm_b32 v38, v37, v38, s11
	v_bfe_u32 v37, v47, 16, 1
	v_bfe_u32 v39, v46, 16, 1
	v_add3_u32 v39, v46, v39, s10
	v_add3_u32 v37, v47, v37, s10
	v_perm_b32 v39, v37, v39, s11
	v_pk_mul_f32 v[42:43], v[58:59], v[42:43] op_sel_hi:[0,1]
	ds_write2st64_b64 v36, v[60:61], v[38:39] offset1:1
	v_pk_mul_f32 v[38:39], v[58:59], v[44:45] op_sel_hi:[0,1]
	v_bfe_u32 v37, v43, 16, 1
	v_bfe_u32 v44, v42, 16, 1
	v_add3_u32 v42, v42, v44, s10
	v_add3_u32 v37, v43, v37, s10
	v_perm_b32 v42, v37, v42, s11
	v_bfe_u32 v37, v39, 16, 1
	v_bfe_u32 v43, v38, 16, 1
	v_add3_u32 v38, v38, v43, s10
	v_add3_u32 v37, v39, v37, s10
	v_perm_b32 v43, v37, v38, s11
	v_pk_mul_f32 v[38:39], v[58:59], v[40:41] op_sel_hi:[0,1]
	v_bfe_u32 v37, v39, 16, 1
	v_bfe_u32 v40, v38, 16, 1
	v_pk_mul_f32 v[34:35], v[58:59], v[34:35] op_sel_hi:[0,1]
	v_add3_u32 v38, v38, v40, s10
	v_add3_u32 v37, v39, v37, s10
	v_perm_b32 v38, v37, v38, s11
	v_bfe_u32 v37, v35, 16, 1
	v_bfe_u32 v39, v34, 16, 1
	v_add3_u32 v34, v34, v39, s10
	v_add3_u32 v35, v35, v37, s10
	s_lshl_b32 s9, s33, 1
	v_perm_b32 v39, v35, v34, s11
	v_cmp_gt_u32_e32 vcc, 2, v0
	ds_write2st64_b64 v36, v[42:43], v[38:39] offset0:2 offset1:3
	s_and_saveexec_b64 s[2:3], vcc
	s_cbranch_execz .LBB245_15
; %bb.14:
	v_or_b32_e32 v34, s29, v0
	v_mov_b32_e32 v35, 0
	v_mov_b32_e32 v37, s9
	v_mad_u64_u32 v[38:39], s[16:17], s6, v37, v[34:35]
	v_mov_b32_e32 v34, s28
	s_load_dwordx4 s[12:15], s[4:5], 0x58
	s_mul_i32 s7, s7, s9
	v_mad_u64_u32 v[34:35], s[16:17], v38, s8, v[34:35]
	v_add_u32_e32 v37, s7, v39
	v_mov_b32_e32 v38, v35
	v_mad_u64_u32 v[38:39], s[16:17], v37, s8, v[38:39]
	v_mov_b32_e32 v35, v38
	v_lshlrev_b64 v[34:35], 2, v[34:35]
	s_waitcnt lgkmcnt(0)
	v_mov_b32_e32 v37, s15
	v_add_co_u32_e32 v38, vcc, s14, v34
	v_addc_co_u32_e32 v39, vcc, v37, v35, vcc
	v_mov_b32_e32 v37, s13
	v_add_co_u32_e32 v34, vcc, s12, v34
	v_addc_co_u32_e32 v35, vcc, v37, v35, vcc
	global_store_dword v[38:39], v54, off
	global_store_dword v[34:35], v56, off
.LBB245_15:
	s_or_b64 exec, exec, s[2:3]
	v_lshl_or_b32 v34, v1, 9, v55
	s_waitcnt lgkmcnt(0)
	s_barrier
	ds_read_b128 v[38:41], v34
	ds_read_b128 v[42:45], v34 offset:16
	s_waitcnt vmcnt(7) lgkmcnt(1)
	v_mfma_f32_16x16x16bf16_1k v[46:49], v[14:15], v[38:39], 0
	v_cmp_gt_u32_e32 vcc, 64, v0
	v_cmp_gt_u32_e64 s[2:3], 32, v51
	s_and_b64 s[2:3], s[2:3], vcc
	s_mov_b32 s7, 0
	s_and_b64 s[0:1], s[2:3], s[0:1]
	v_mfma_f32_16x16x16bf16_1k v[14:17], v[16:17], v[40:41], v[46:49]
	s_waitcnt vmcnt(6) lgkmcnt(0)
	v_mfma_f32_16x16x16bf16_1k v[14:17], v[10:11], v[42:43], v[14:17]
	v_mfma_f32_16x16x16bf16_1k v[10:13], v[12:13], v[44:45], v[14:17]
	s_nop 7
	s_nop 1
	ds_read_b128 v[14:17], v34 offset:2048
	ds_read_b128 v[38:41], v34 offset:2064
	s_waitcnt vmcnt(5) lgkmcnt(1)
	v_mfma_f32_16x16x16bf16_1k v[10:13], v[6:7], v[14:15], v[10:13]
	v_mfma_f32_16x16x16bf16_1k v[6:9], v[8:9], v[16:17], v[10:13]
	s_waitcnt vmcnt(4) lgkmcnt(0)
	v_mfma_f32_16x16x16bf16_1k v[6:9], v[2:3], v[38:39], v[6:9]
	v_mfma_f32_16x16x16bf16_1k v[2:5], v[4:5], v[40:41], v[6:9]
	s_nop 7
	s_nop 1
	ds_read_b128 v[6:9], v34 offset:4096
	ds_read_b128 v[10:13], v34 offset:4112
	s_waitcnt vmcnt(3) lgkmcnt(1)
	v_mfma_f32_16x16x16bf16_1k v[2:5], v[30:31], v[6:7], v[2:5]
	v_mfma_f32_16x16x16bf16_1k v[2:5], v[32:33], v[8:9], v[2:5]
	s_waitcnt vmcnt(2) lgkmcnt(0)
	v_mfma_f32_16x16x16bf16_1k v[2:5], v[22:23], v[10:11], v[2:5]
	v_mfma_f32_16x16x16bf16_1k v[2:5], v[24:25], v[12:13], v[2:5]
	ds_read_b128 v[6:9], v34 offset:6144
	ds_read_b128 v[10:13], v34 offset:6160
	s_waitcnt lgkmcnt(0)
	s_barrier
	s_waitcnt vmcnt(1)
	v_mfma_f32_16x16x16bf16_1k v[2:5], v[26:27], v[6:7], v[2:5]
	v_mfma_f32_16x16x16bf16_1k v[2:5], v[28:29], v[8:9], v[2:5]
	s_waitcnt vmcnt(0)
	v_mfma_f32_16x16x16bf16_1k v[2:5], v[18:19], v[10:11], v[2:5]
	v_mfma_f32_16x16x16bf16_1k v[2:5], v[20:21], v[12:13], v[2:5]
	s_nop 7
	s_nop 2
	v_bfe_u32 v6, v3, 16, 1
	v_bfe_u32 v7, v2, 16, 1
	;; [unrolled: 1-line block ×4, first 2 shown]
	v_add3_u32 v2, v2, v7, s10
	v_add3_u32 v3, v3, v6, s10
	;; [unrolled: 1-line block ×4, first 2 shown]
	v_perm_b32 v2, v3, v2, s11
	v_perm_b32 v3, v5, v4, s11
	ds_write_b64 v36, v[2:3]
	s_waitcnt lgkmcnt(0)
	s_barrier
	s_and_saveexec_b64 s[2:3], s[0:1]
	s_cbranch_execz .LBB245_17
; %bb.16:
	s_load_dwordx2 s[0:1], s[4:5], 0x68
	s_mul_i32 s2, s9, s6
	s_lshl_b32 s4, s8, 6
	s_mul_hi_u32 s3, s2, s4
	s_mul_i32 s2, s2, s4
	s_lshl_b64 s[2:3], s[2:3], 1
	v_lshlrev_b32_e32 v0, 10, v0
	s_waitcnt lgkmcnt(0)
	s_add_u32 s2, s0, s2
	v_and_b32_e32 v0, 0x1800, v0
	v_lshlrev_b32_e32 v2, 5, v1
	v_and_b32_e32 v3, 16, v52
	s_addc_u32 s3, s1, s3
	s_lshl_b32 s6, s28, 6
	v_or3_b32 v0, v0, v2, v3
	s_lshl_b64 s[0:1], s[6:7], 1
	ds_read_b128 v[2:5], v0
	s_add_u32 s2, s2, s0
	v_or_b32_e32 v0, s29, v1
	s_addc_u32 s3, s3, s1
	v_mad_u64_u32 v[0:1], s[0:1], s4, v0, 0
	v_lshlrev_b64 v[0:1], 1, v[0:1]
	v_mov_b32_e32 v6, s3
	v_add_co_u32_e32 v0, vcc, s2, v0
	v_addc_co_u32_e32 v1, vcc, v6, v1, vcc
	v_add_co_u32_e32 v0, vcc, v0, v50
	v_addc_co_u32_e32 v1, vcc, 0, v1, vcc
	s_waitcnt lgkmcnt(0)
	global_store_dwordx4 v[0:1], v[2:5], off
.LBB245_17:
	s_endpgm
	.section	.rodata,"a",@progbits
	.p2align	6, 0x0
	.amdhsa_kernel _Z39paged_attention_ll4mi_QKV_mfma16_kernelI14__hip_bfloat16S0_LN4vllm18Fp8KVCacheDataTypeE0ES0_Li16ELi64ELi256ELb0ELi2EL8MFMAType0EEvPKT_PKT0_S9_ifPKiSB_SB_iPKfiiiPfSE_PS4_PT2_iSD_SD_
		.amdhsa_group_segment_fixed_size 8192
		.amdhsa_private_segment_fixed_size 0
		.amdhsa_kernarg_size 400
		.amdhsa_user_sgpr_count 6
		.amdhsa_user_sgpr_private_segment_buffer 1
		.amdhsa_user_sgpr_dispatch_ptr 0
		.amdhsa_user_sgpr_queue_ptr 0
		.amdhsa_user_sgpr_kernarg_segment_ptr 1
		.amdhsa_user_sgpr_dispatch_id 0
		.amdhsa_user_sgpr_flat_scratch_init 0
		.amdhsa_user_sgpr_kernarg_preload_length 0
		.amdhsa_user_sgpr_kernarg_preload_offset 0
		.amdhsa_user_sgpr_private_segment_size 0
		.amdhsa_uses_dynamic_stack 0
		.amdhsa_system_sgpr_private_segment_wavefront_offset 0
		.amdhsa_system_sgpr_workgroup_id_x 1
		.amdhsa_system_sgpr_workgroup_id_y 1
		.amdhsa_system_sgpr_workgroup_id_z 1
		.amdhsa_system_sgpr_workgroup_info 0
		.amdhsa_system_vgpr_workitem_id 0
		.amdhsa_next_free_vgpr 67
		.amdhsa_next_free_sgpr 48
		.amdhsa_accum_offset 68
		.amdhsa_reserve_vcc 1
		.amdhsa_reserve_flat_scratch 0
		.amdhsa_float_round_mode_32 0
		.amdhsa_float_round_mode_16_64 0
		.amdhsa_float_denorm_mode_32 3
		.amdhsa_float_denorm_mode_16_64 3
		.amdhsa_dx10_clamp 1
		.amdhsa_ieee_mode 1
		.amdhsa_fp16_overflow 0
		.amdhsa_tg_split 0
		.amdhsa_exception_fp_ieee_invalid_op 0
		.amdhsa_exception_fp_denorm_src 0
		.amdhsa_exception_fp_ieee_div_zero 0
		.amdhsa_exception_fp_ieee_overflow 0
		.amdhsa_exception_fp_ieee_underflow 0
		.amdhsa_exception_fp_ieee_inexact 0
		.amdhsa_exception_int_div_zero 0
	.end_amdhsa_kernel
	.section	.text._Z39paged_attention_ll4mi_QKV_mfma16_kernelI14__hip_bfloat16S0_LN4vllm18Fp8KVCacheDataTypeE0ES0_Li16ELi64ELi256ELb0ELi2EL8MFMAType0EEvPKT_PKT0_S9_ifPKiSB_SB_iPKfiiiPfSE_PS4_PT2_iSD_SD_,"axG",@progbits,_Z39paged_attention_ll4mi_QKV_mfma16_kernelI14__hip_bfloat16S0_LN4vllm18Fp8KVCacheDataTypeE0ES0_Li16ELi64ELi256ELb0ELi2EL8MFMAType0EEvPKT_PKT0_S9_ifPKiSB_SB_iPKfiiiPfSE_PS4_PT2_iSD_SD_,comdat
.Lfunc_end245:
	.size	_Z39paged_attention_ll4mi_QKV_mfma16_kernelI14__hip_bfloat16S0_LN4vllm18Fp8KVCacheDataTypeE0ES0_Li16ELi64ELi256ELb0ELi2EL8MFMAType0EEvPKT_PKT0_S9_ifPKiSB_SB_iPKfiiiPfSE_PS4_PT2_iSD_SD_, .Lfunc_end245-_Z39paged_attention_ll4mi_QKV_mfma16_kernelI14__hip_bfloat16S0_LN4vllm18Fp8KVCacheDataTypeE0ES0_Li16ELi64ELi256ELb0ELi2EL8MFMAType0EEvPKT_PKT0_S9_ifPKiSB_SB_iPKfiiiPfSE_PS4_PT2_iSD_SD_
                                        ; -- End function
	.section	.AMDGPU.csdata,"",@progbits
; Kernel info:
; codeLenInByte = 4128
; NumSgprs: 52
; NumVgprs: 67
; NumAgprs: 0
; TotalNumVgprs: 67
; ScratchSize: 0
; MemoryBound: 0
; FloatMode: 240
; IeeeMode: 1
; LDSByteSize: 8192 bytes/workgroup (compile time only)
; SGPRBlocks: 6
; VGPRBlocks: 8
; NumSGPRsForWavesPerEU: 52
; NumVGPRsForWavesPerEU: 67
; AccumOffset: 68
; Occupancy: 7
; WaveLimiterHint : 1
; COMPUTE_PGM_RSRC2:SCRATCH_EN: 0
; COMPUTE_PGM_RSRC2:USER_SGPR: 6
; COMPUTE_PGM_RSRC2:TRAP_HANDLER: 0
; COMPUTE_PGM_RSRC2:TGID_X_EN: 1
; COMPUTE_PGM_RSRC2:TGID_Y_EN: 1
; COMPUTE_PGM_RSRC2:TGID_Z_EN: 1
; COMPUTE_PGM_RSRC2:TIDIG_COMP_CNT: 0
; COMPUTE_PGM_RSRC3_GFX90A:ACCUM_OFFSET: 16
; COMPUTE_PGM_RSRC3_GFX90A:TG_SPLIT: 0
	.section	.text._Z39paged_attention_ll4mi_QKV_mfma16_kernelI14__hip_bfloat16S0_LN4vllm18Fp8KVCacheDataTypeE0ES0_Li16ELi64ELi256ELb0ELi3EL8MFMAType0EEvPKT_PKT0_S9_ifPKiSB_SB_iPKfiiiPfSE_PS4_PT2_iSD_SD_,"axG",@progbits,_Z39paged_attention_ll4mi_QKV_mfma16_kernelI14__hip_bfloat16S0_LN4vllm18Fp8KVCacheDataTypeE0ES0_Li16ELi64ELi256ELb0ELi3EL8MFMAType0EEvPKT_PKT0_S9_ifPKiSB_SB_iPKfiiiPfSE_PS4_PT2_iSD_SD_,comdat
	.protected	_Z39paged_attention_ll4mi_QKV_mfma16_kernelI14__hip_bfloat16S0_LN4vllm18Fp8KVCacheDataTypeE0ES0_Li16ELi64ELi256ELb0ELi3EL8MFMAType0EEvPKT_PKT0_S9_ifPKiSB_SB_iPKfiiiPfSE_PS4_PT2_iSD_SD_ ; -- Begin function _Z39paged_attention_ll4mi_QKV_mfma16_kernelI14__hip_bfloat16S0_LN4vllm18Fp8KVCacheDataTypeE0ES0_Li16ELi64ELi256ELb0ELi3EL8MFMAType0EEvPKT_PKT0_S9_ifPKiSB_SB_iPKfiiiPfSE_PS4_PT2_iSD_SD_
	.globl	_Z39paged_attention_ll4mi_QKV_mfma16_kernelI14__hip_bfloat16S0_LN4vllm18Fp8KVCacheDataTypeE0ES0_Li16ELi64ELi256ELb0ELi3EL8MFMAType0EEvPKT_PKT0_S9_ifPKiSB_SB_iPKfiiiPfSE_PS4_PT2_iSD_SD_
	.p2align	8
	.type	_Z39paged_attention_ll4mi_QKV_mfma16_kernelI14__hip_bfloat16S0_LN4vllm18Fp8KVCacheDataTypeE0ES0_Li16ELi64ELi256ELb0ELi3EL8MFMAType0EEvPKT_PKT0_S9_ifPKiSB_SB_iPKfiiiPfSE_PS4_PT2_iSD_SD_,@function
_Z39paged_attention_ll4mi_QKV_mfma16_kernelI14__hip_bfloat16S0_LN4vllm18Fp8KVCacheDataTypeE0ES0_Li16ELi64ELi256ELb0ELi3EL8MFMAType0EEvPKT_PKT0_S9_ifPKiSB_SB_iPKfiiiPfSE_PS4_PT2_iSD_SD_: ; @_Z39paged_attention_ll4mi_QKV_mfma16_kernelI14__hip_bfloat16S0_LN4vllm18Fp8KVCacheDataTypeE0ES0_Li16ELi64ELi256ELb0ELi3EL8MFMAType0EEvPKT_PKT0_S9_ifPKiSB_SB_iPKfiiiPfSE_PS4_PT2_iSD_SD_
; %bb.0:
	s_load_dwordx2 s[0:1], s[4:5], 0x30
	s_mov_b32 s28, s7
	s_mov_b64 s[10:11], 0
	s_waitcnt lgkmcnt(0)
	s_cmp_lg_u64 s[0:1], 0
	s_cselect_b64 s[2:3], -1, 0
	s_and_b64 vcc, exec, s[2:3]
	s_cbranch_vccz .LBB246_7
; %bb.1:
	s_add_i32 s12, s6, 1
	s_mov_b32 s13, 0
	s_lshl_b64 s[14:15], s[12:13], 2
	s_add_u32 s14, s0, s14
	s_mov_b32 s7, s13
	s_addc_u32 s15, s1, s15
	s_lshl_b64 s[12:13], s[6:7], 2
	s_add_u32 s12, s0, s12
	s_addc_u32 s13, s1, s13
	s_load_dword s9, s[14:15], 0x0
	s_load_dword s16, s[12:13], 0x0
	s_waitcnt lgkmcnt(0)
	s_sub_i32 s9, s9, s16
	s_cmp_eq_u32 s9, 1
	s_cselect_b64 s[12:13], -1, 0
	s_andn2_b64 vcc, exec, s[10:11]
	s_cbranch_vccnz .LBB246_3
.LBB246_2:
	s_mov_b32 s7, 0
	s_mov_b64 s[12:13], -1
.LBB246_3:
	s_andn2_b64 vcc, exec, s[12:13]
	s_cbranch_vccnz .LBB246_17
; %bb.4:
	s_load_dwordx2 s[12:13], s[4:5], 0x28
	s_lshl_b64 s[10:11], s[6:7], 2
	s_waitcnt lgkmcnt(0)
	s_add_u32 s12, s12, s10
	s_addc_u32 s13, s13, s11
	s_load_dword s40, s[12:13], 0x0
	s_lshl_b32 s16, s28, 8
	s_waitcnt lgkmcnt(0)
	s_cmp_ge_i32 s16, s40
	s_cbranch_scc1 .LBB246_17
; %bb.5:
	s_add_i32 s14, s40, 15
	s_load_dwordx2 s[12:13], s[4:5], 0x20
	s_load_dword s9, s[4:5], 0x38
	s_ashr_i32 s15, s14, 31
	v_and_b32_e32 v1, 0xcf, v0
	s_lshr_b32 s15, s15, 28
	v_add_u32_e32 v1, s16, v1
	s_add_i32 s14, s14, s15
	v_ashrrev_i32_e32 v2, 31, v1
	s_ashr_i32 s19, s14, 4
	v_lshrrev_b32_e32 v10, 28, v2
	s_add_i32 s19, s19, -1
	v_add_u32_e32 v2, v1, v10
	s_waitcnt lgkmcnt(0)
	s_mul_i32 s14, s6, s9
	s_mov_b32 s15, 0
	v_ashrrev_i32_e32 v2, 4, v2
	v_mov_b32_e32 v11, s19
	v_cmp_gt_i32_e32 vcc, s40, v1
	s_lshl_b64 s[14:15], s[14:15], 2
	v_cndmask_b32_e32 v2, v11, v2, vcc
	s_add_u32 s17, s12, s14
	v_ashrrev_i32_e32 v3, 31, v2
	s_addc_u32 s18, s13, s15
	v_lshlrev_b64 v[2:3], 2, v[2:3]
	v_mov_b32_e32 v5, s18
	v_add_co_u32_e32 v4, vcc, s17, v2
	v_or_b32_e32 v2, 16, v1
	v_addc_co_u32_e32 v5, vcc, v5, v3, vcc
	v_add_u32_e32 v3, v2, v10
	v_ashrrev_i32_e32 v3, 4, v3
	v_cmp_gt_i32_e32 vcc, s40, v2
	v_cndmask_b32_e32 v2, v11, v3, vcc
	v_ashrrev_i32_e32 v3, 31, v2
	v_lshlrev_b64 v[2:3], 2, v[2:3]
	v_mov_b32_e32 v7, s18
	v_add_co_u32_e32 v6, vcc, s17, v2
	v_or_b32_e32 v2, 32, v1
	v_addc_co_u32_e32 v7, vcc, v7, v3, vcc
	v_add_u32_e32 v3, v2, v10
	v_ashrrev_i32_e32 v3, 4, v3
	v_cmp_gt_i32_e32 vcc, s40, v2
	v_cndmask_b32_e32 v2, v11, v3, vcc
	v_ashrrev_i32_e32 v3, 31, v2
	v_lshlrev_b64 v[2:3], 2, v[2:3]
	v_mov_b32_e32 v9, s18
	v_add_co_u32_e32 v8, vcc, s17, v2
	v_or_b32_e32 v1, 48, v1
	v_addc_co_u32_e32 v9, vcc, v9, v3, vcc
	v_add_u32_e32 v2, v1, v10
	v_ashrrev_i32_e32 v2, 4, v2
	v_cmp_gt_i32_e32 vcc, s40, v1
	v_cndmask_b32_e32 v2, v11, v2, vcc
	v_ashrrev_i32_e32 v3, 31, v2
	v_lshlrev_b64 v[2:3], 2, v[2:3]
	v_mov_b32_e32 v1, s18
	v_add_co_u32_e32 v10, vcc, s17, v2
	v_addc_co_u32_e32 v11, vcc, v1, v3, vcc
	global_load_dword v3, v[4:5], off
	global_load_dword v2, v[6:7], off
	;; [unrolled: 1-line block ×4, first 2 shown]
	s_load_dwordx4 s[12:15], s[4:5], 0x8
	s_andn2_b64 vcc, exec, s[2:3]
	s_cbranch_vccnz .LBB246_8
; %bb.6:
	s_add_u32 s0, s0, s10
	s_addc_u32 s1, s1, s11
	s_load_dword s9, s[0:1], 0x0
	s_branch .LBB246_9
.LBB246_7:
	s_mov_b64 s[12:13], 0
	s_branch .LBB246_2
.LBB246_8:
	s_mov_b32 s9, s6
.LBB246_9:
	s_load_dwordx4 s[44:47], s[4:5], 0x48
	v_lshrrev_b32_e32 v54, 6, v0
	v_bfe_u32 v51, v0, 4, 2
	v_lshl_or_b32 v4, v54, 2, v51
	v_and_b32_e32 v53, 15, v0
	s_mul_i32 s29, s8, 3
	v_lshlrev_b32_e32 v1, 3, v53
	v_cmp_gt_u32_e32 vcc, 3, v4
	v_cmp_gt_u32_e64 s[0:1], 8, v53
	v_and_b32_e32 v55, 63, v0
	v_add_u32_e32 v50, s29, v51
	s_and_b64 s[10:11], s[0:1], vcc
	v_lshlrev_b32_e32 v1, 1, v1
	s_and_saveexec_b64 s[2:3], s[10:11]
	s_cbranch_execz .LBB246_11
; %bb.10:
	s_load_dwordx2 s[10:11], s[4:5], 0x0
	s_waitcnt lgkmcnt(0)
	s_ashr_i32 s20, s44, 31
	s_mul_hi_u32 s21, s9, s44
	s_mul_i32 s20, s9, s20
	s_add_i32 s21, s21, s20
	s_mul_i32 s20, s9, s44
	s_lshl_b64 s[20:21], s[20:21], 1
	v_lshlrev_b32_e32 v6, 6, v50
	s_add_u32 s9, s10, s20
	v_ashrrev_i32_e32 v7, 31, v6
	s_addc_u32 s10, s11, s21
	v_lshlrev_b64 v[6:7], 1, v[6:7]
	v_mov_b32_e32 v5, s10
	v_add_co_u32_e32 v6, vcc, s9, v6
	v_addc_co_u32_e32 v5, vcc, v5, v7, vcc
	v_add_co_u32_e32 v6, vcc, v6, v1
	v_addc_co_u32_e32 v7, vcc, 0, v5, vcc
	global_load_dwordx4 v[6:9], v[6:7], off
	v_and_b32_e32 v5, 3, v0
	v_lshlrev_b32_e32 v10, 9, v53
	v_lshlrev_b32_e32 v4, 5, v4
	;; [unrolled: 1-line block ×3, first 2 shown]
	v_and_b32_e32 v10, 0x1800, v10
	v_or3_b32 v4, v10, v5, v4
	s_waitcnt vmcnt(0)
	ds_write_b128 v4, v[6:9]
.LBB246_11:
	s_or_b64 exec, exec, s[2:3]
	s_waitcnt lgkmcnt(0)
	s_mul_i32 s8, s8, s46
	s_mov_b32 s9, 0
	s_lshl_b64 s[8:9], s[8:9], 1
	s_add_u32 s3, s12, s8
	v_lshlrev_b32_e32 v52, 4, v0
	s_addc_u32 s10, s13, s9
	v_and_b32_e32 v4, 0xf0, v52
	v_mov_b32_e32 v5, s10
	v_add_co_u32_e32 v29, vcc, s3, v4
	v_addc_co_u32_e32 v30, vcc, 0, v5, vcc
	s_waitcnt vmcnt(3)
	v_mad_i64_i32 v[4:5], s[10:11], v3, s45, 0
	v_lshlrev_b64 v[4:5], 1, v[4:5]
	v_add_co_u32_e32 v3, vcc, v29, v4
	v_addc_co_u32_e32 v5, vcc, v30, v5, vcc
	v_and_b32_e32 v31, 0x300, v52
	v_add_co_u32_e32 v4, vcc, v3, v31
	v_addc_co_u32_e32 v5, vcc, 0, v5, vcc
	s_load_dword s33, s[4:5], 0x98
	s_load_dword s2, s[4:5], 0x1c
	s_waitcnt lgkmcnt(0)
	s_barrier
	global_load_dwordx4 v[6:9], v[4:5], off
	s_waitcnt vmcnt(3)
	v_mad_i64_i32 v[2:3], s[10:11], v2, s45, 0
	v_lshlrev_b64 v[2:3], 1, v[2:3]
	v_add_co_u32_e32 v2, vcc, v29, v2
	v_addc_co_u32_e32 v3, vcc, v30, v3, vcc
	v_add_co_u32_e32 v2, vcc, v2, v31
	v_addc_co_u32_e32 v3, vcc, 0, v3, vcc
	global_load_dwordx4 v[22:25], v[2:3], off
	global_load_dwordx4 v[10:13], v[4:5], off offset:1024
	global_load_dwordx4 v[14:17], v[2:3], off offset:1024
	v_mul_lo_u16_e32 v2, 0x56, v53
	v_mov_b32_e32 v3, 3
	v_mul_lo_u16_sdwa v2, v2, v3 dst_sel:DWORD dst_unused:UNUSED_PAD src0_sel:BYTE_1 src1_sel:DWORD
	v_mov_b32_e32 v4, 5
	v_sub_u16_e32 v2, v53, v2
	v_lshlrev_b32_sdwa v2, v4, v2 dst_sel:DWORD dst_unused:UNUSED_PAD src0_sel:DWORD src1_sel:BYTE_0
	v_lshl_add_u32 v20, v51, 9, v2
	ds_read_b128 v[2:5], v20
	s_waitcnt vmcnt(5)
	v_mad_i64_i32 v[18:19], s[10:11], v18, s45, 0
	v_lshlrev_b64 v[26:27], 1, v[18:19]
	v_and_or_b32 v56, v0, 48, s16
	ds_read_b128 v[18:21], v20 offset:2048
	v_mov_b32_e32 v57, s19
	v_or_b32_e32 v48, 64, v56
	v_or_b32_e32 v49, 0x80, v56
	v_mov_b32_e32 v58, s18
	s_add_u32 s3, s14, s8
	s_addc_u32 s8, s15, s9
	s_mov_b32 s42, 0xff7fffff
	s_waitcnt vmcnt(2) lgkmcnt(1)
	v_mfma_f32_16x16x16bf16_1k v[36:39], v[22:23], v[2:3], 0
	v_mad_i64_i32 v[22:23], s[10:11], v28, s45, 0
	v_lshlrev_b64 v[44:45], 1, v[22:23]
	v_ashrrev_i32_e32 v22, 4, v56
	v_mov_b32_e32 v28, s18
	v_mfma_f32_16x16x16bf16_1k v[32:35], v[6:7], v[2:3], 0
	v_add_co_u32_e32 v6, vcc, v29, v26
	v_addc_co_u32_e32 v7, vcc, v30, v27, vcc
	v_add_co_u32_e32 v26, vcc, v6, v31
	v_addc_co_u32_e32 v27, vcc, 0, v7, vcc
	global_load_dwordx4 v[40:43], v[26:27], off
	v_mfma_f32_16x16x16bf16_1k v[6:9], v[8:9], v[4:5], v[32:35]
	v_cmp_gt_i32_e32 vcc, s40, v56
	v_cndmask_b32_e32 v46, v57, v22, vcc
	v_ashrrev_i32_e32 v47, 31, v46
	v_cmp_gt_i32_e32 vcc, s40, v48
	s_nop 2
	global_load_dwordx4 v[32:35], v[26:27], off offset:1024
	v_mfma_f32_16x16x16bf16_1k v[22:25], v[24:25], v[4:5], v[36:39]
	v_lshlrev_b64 v[26:27], 2, v[46:47]
	s_nop 5
	v_ashrrev_i32_e32 v36, 4, v48
	v_cndmask_b32_e32 v48, v57, v36, vcc
	s_waitcnt vmcnt(3) lgkmcnt(0)
	v_mfma_f32_16x16x16bf16_1k v[6:9], v[10:11], v[18:19], v[6:9]
	v_add_co_u32_e32 v10, vcc, s17, v26
	v_addc_co_u32_e32 v11, vcc, v28, v27, vcc
	v_add_co_u32_e32 v26, vcc, v29, v44
	v_addc_co_u32_e32 v27, vcc, v30, v45, vcc
	s_waitcnt vmcnt(2)
	v_mfma_f32_16x16x16bf16_1k v[22:25], v[14:15], v[18:19], v[22:25]
	v_add_co_u32_e32 v14, vcc, v26, v31
	v_addc_co_u32_e32 v15, vcc, 0, v27, vcc
	global_load_dwordx4 v[26:29], v[14:15], off
	global_load_dword v44, v[10:11], off
	v_ashrrev_i32_e32 v37, 4, v49
	v_cmp_gt_i32_e32 vcc, s40, v49
	v_ashrrev_i32_e32 v49, 31, v48
	v_cndmask_b32_e32 v10, v57, v37, vcc
	v_mfma_f32_16x16x16bf16_1k v[36:39], v[12:13], v[20:21], v[6:9]
	v_ashrrev_i32_e32 v11, 31, v10
	v_mov_b32_e32 v12, s18
	s_nop 4
	v_lshlrev_b64 v[6:7], 2, v[48:49]
	v_add_co_u32_e32 v6, vcc, s17, v6
	v_addc_co_u32_e32 v7, vcc, v58, v7, vcc
	global_load_dwordx4 v[58:61], v[14:15], off offset:1024
	global_load_dword v45, v[6:7], off
	v_lshlrev_b64 v[6:7], 2, v[10:11]
	v_mov_b32_e32 v8, s18
	v_add_co_u32_e32 v10, vcc, s17, v6
	v_addc_co_u32_e32 v11, vcc, v8, v7, vcc
	s_waitcnt vmcnt(5)
	v_mfma_f32_16x16x16bf16_1k v[6:9], v[40:41], v[2:3], 0
	global_load_dword v40, v[10:11], off
	v_or_b32_e32 v10, 0xc0, v56
	v_ashrrev_i32_e32 v11, 4, v10
	v_cmp_gt_i32_e32 vcc, s40, v10
	v_cndmask_b32_e32 v10, v57, v11, vcc
	v_ashrrev_i32_e32 v11, 31, v10
	v_lshlrev_b64 v[10:11], 2, v[10:11]
	v_mfma_f32_16x16x16bf16_1k v[6:9], v[42:43], v[4:5], v[6:9]
	v_add_co_u32_e32 v10, vcc, s17, v10
	v_addc_co_u32_e32 v11, vcc, v12, v11, vcc
	global_load_dword v57, v[10:11], off
	v_lshlrev_b32_e32 v56, 5, v53
	v_lshl_or_b32 v10, v54, 9, v56
	s_waitcnt vmcnt(6)
	v_mfma_f32_16x16x16bf16_1k v[6:9], v[32:33], v[18:19], v[6:9]
	v_mov_b32_e32 v11, s8
	v_add_co_u32_e32 v62, vcc, s3, v10
	v_addc_co_u32_e32 v63, vcc, 0, v11, vcc
	v_pk_mul_f32 v[46:47], s[2:3], v[38:39] op_sel_hi:[0,1]
	v_mfma_f32_16x16x16bf16_1k v[30:33], v[34:35], v[20:21], v[6:9]
	s_waitcnt vmcnt(1)
	v_mad_i64_i32 v[34:35], s[8:9], v40, s45, 0
	s_nop 4
	v_mad_i64_i32 v[6:7], s[8:9], v44, s45, 0
	v_lshlrev_b64 v[10:11], 1, v[6:7]
	v_mfma_f32_16x16x16bf16_1k v[6:9], v[26:27], v[2:3], 0
	v_add_co_u32_e32 v2, vcc, v62, v10
	v_addc_co_u32_e32 v3, vcc, v63, v11, vcc
	v_lshlrev_b64 v[34:35], 1, v[34:35]
	v_pk_mul_f32 v[42:43], s[2:3], v[30:31] op_sel_hi:[0,1]
	v_mfma_f32_16x16x16bf16_1k v[26:29], v[28:29], v[4:5], v[6:9]
	v_mfma_f32_16x16x16bf16_1k v[22:25], v[16:17], v[20:21], v[22:25]
	global_load_dwordx4 v[14:17], v[2:3], off
	global_load_dwordx4 v[10:13], v[2:3], off offset:16
	v_mad_i64_i32 v[2:3], s[8:9], v45, s45, 0
	v_lshlrev_b64 v[2:3], 1, v[2:3]
	v_add_co_u32_e32 v2, vcc, v62, v2
	v_addc_co_u32_e32 v3, vcc, v63, v3, vcc
	v_mfma_f32_16x16x16bf16_1k v[26:29], v[58:59], v[18:19], v[26:29]
	s_nop 3
	v_pk_mul_f32 v[38:39], s[2:3], v[22:23] op_sel_hi:[0,1]
	v_add_co_u32_e32 v58, vcc, v62, v34
	v_addc_co_u32_e32 v59, vcc, v63, v35, vcc
	v_pk_mul_f32 v[18:19], s[2:3], v[36:37] op_sel_hi:[0,1]
	v_pk_mul_f32 v[48:49], s[2:3], v[24:25] op_sel_hi:[0,1]
	v_mfma_f32_16x16x16bf16_1k v[20:23], v[60:61], v[20:21], v[26:29]
	v_pk_mul_f32 v[44:45], s[2:3], v[32:33] op_sel_hi:[0,1]
	global_load_dwordx4 v[6:9], v[2:3], off
	s_nop 0
	global_load_dwordx4 v[2:5], v[2:3], off offset:16
	s_nop 6
	v_pk_mul_f32 v[40:41], s[2:3], v[20:21] op_sel_hi:[0,1]
	v_and_b32_e32 v20, 0xc0, v0
	v_add_u32_e32 v20, s16, v20
	v_lshl_or_b32 v20, v51, 2, v20
	v_pk_mul_f32 v[34:35], s[2:3], v[22:23] op_sel_hi:[0,1]
	v_or_b32_e32 v23, 1, v20
	v_mov_b32_e32 v21, 0xff7fffff
	v_cmp_gt_i32_e64 s[30:31], s40, v20
	v_cmp_gt_i32_e64 s[34:35], s40, v23
	v_cndmask_b32_e64 v22, v21, v18, s[30:31]
	v_cndmask_b32_e64 v23, v21, v19, s[34:35]
	v_max3_f32 v22, v22, s42, v23
	v_or_b32_e32 v23, 2, v20
	v_or_b32_e32 v24, 3, v20
	v_cmp_gt_i32_e64 s[36:37], s40, v23
	v_cmp_gt_i32_e64 s[38:39], s40, v24
	v_cndmask_b32_e64 v23, v21, v46, s[36:37]
	v_cndmask_b32_e64 v24, v21, v47, s[38:39]
	v_max3_f32 v22, v22, v23, v24
	v_or_b32_e32 v23, 16, v20
	v_or_b32_e32 v24, 17, v20
	;; [unrolled: 7-line block ×7, first 2 shown]
	v_cmp_gt_i32_e32 vcc, s40, v23
	v_cmp_gt_i32_e64 s[2:3], s40, v20
	v_cndmask_b32_e32 v23, v21, v34, vcc
	v_cndmask_b32_e64 v20, v21, v35, s[2:3]
	v_max3_f32 v26, v22, v23, v20
	v_mbcnt_lo_u32_b32 v20, -1, 0
	v_mbcnt_hi_u32_b32 v27, -1, v20
	v_and_b32_e32 v20, 64, v27
	v_add_u32_e32 v28, 64, v20
	v_xor_b32_e32 v20, 32, v27
	v_cmp_lt_i32_e64 s[40:41], v20, v28
	v_cndmask_b32_e64 v20, v27, v20, s[40:41]
	v_lshlrev_b32_e32 v60, 2, v20
	ds_bpermute_b32 v29, v60, v26
	s_waitcnt vmcnt(4)
	v_mad_i64_i32 v[20:21], s[40:41], v57, s45, 0
	global_load_dwordx4 v[30:33], v[58:59], off
	global_load_dwordx4 v[22:25], v[58:59], off offset:16
	v_lshlrev_b64 v[20:21], 1, v[20:21]
	s_waitcnt lgkmcnt(0)
	v_max_f32_e32 v29, v29, v29
	v_max_f32_e32 v26, v26, v29
	v_xor_b32_e32 v29, 16, v27
	v_cmp_lt_i32_e64 s[40:41], v29, v28
	v_cndmask_b32_e64 v27, v27, v29, s[40:41]
	v_lshlrev_b32_e32 v58, 2, v27
	ds_bpermute_b32 v27, v58, v26
	v_add_co_u32_e64 v20, s[40:41], v62, v20
	v_addc_co_u32_e64 v21, s[40:41], v63, v21, s[40:41]
	s_waitcnt lgkmcnt(0)
	v_max_f32_e32 v27, v27, v27
	v_max_f32_e32 v57, v26, v27
	v_sub_f32_e32 v18, v18, v57
	v_mul_f32_e32 v18, 0x3fb8aa3b, v18
	v_exp_f32_e32 v36, v18
	v_sub_f32_e32 v18, v19, v57
	v_mul_f32_e32 v18, 0x3fb8aa3b, v18
	v_exp_f32_e32 v37, v18
	global_load_dwordx4 v[26:29], v[20:21], off
	s_nop 0
	global_load_dwordx4 v[18:21], v[20:21], off offset:16
	v_sub_f32_e32 v46, v46, v57
	v_mul_f32_e32 v46, 0x3fb8aa3b, v46
	v_sub_f32_e32 v47, v47, v57
	v_exp_f32_e32 v46, v46
	v_mul_f32_e32 v47, 0x3fb8aa3b, v47
	v_sub_f32_e32 v38, v38, v57
	v_exp_f32_e32 v47, v47
	v_mul_f32_e32 v38, 0x3fb8aa3b, v38
	v_sub_f32_e32 v39, v39, v57
	v_cndmask_b32_e64 v36, 0, v36, s[30:31]
	v_exp_f32_e32 v38, v38
	v_mul_f32_e32 v39, 0x3fb8aa3b, v39
	v_sub_f32_e32 v48, v48, v57
	v_add_f32_e32 v59, 0, v36
	v_cndmask_b32_e64 v37, 0, v37, s[34:35]
	v_exp_f32_e32 v39, v39
	v_mul_f32_e32 v48, 0x3fb8aa3b, v48
	v_sub_f32_e32 v49, v49, v57
	v_add_f32_e32 v59, v59, v37
	;; [unrolled: 5-line block ×10, first 2 shown]
	v_cndmask_b32_e64 v44, 0, v44, s[12:13]
	v_exp_f32_e32 v34, v34
	v_mul_f32_e32 v35, 0x3fb8aa3b, v35
	v_add_f32_e32 v59, v59, v44
	v_cndmask_b32_e64 v45, 0, v45, s[14:15]
	v_exp_f32_e32 v35, v35
	v_add_f32_e32 v59, v59, v45
	v_cndmask_b32_e64 v40, 0, v40, s[8:9]
	v_add_f32_e32 v59, v59, v40
	v_cndmask_b32_e64 v41, 0, v41, s[10:11]
	v_add_f32_e32 v59, v59, v41
	v_cndmask_b32_e32 v34, 0, v34, vcc
	v_add_f32_e32 v59, v59, v34
	v_cndmask_b32_e64 v35, 0, v35, s[2:3]
	v_add_f32_e32 v59, v59, v35
	ds_bpermute_b32 v60, v60, v59
	v_cmp_gt_u32_e32 vcc, 16, v55
	s_waitcnt lgkmcnt(0)
	s_barrier
	v_add_f32_e32 v59, v59, v60
	ds_bpermute_b32 v60, v58, v59
	v_lshlrev_b32_e32 v58, 2, v53
	s_and_saveexec_b64 s[2:3], vcc
	s_cbranch_execz .LBB246_13
; %bb.12:
	s_waitcnt lgkmcnt(0)
	v_add_f32_e32 v55, v59, v60
	v_lshl_or_b32 v59, v54, 6, v58
	ds_write2st64_b32 v59, v57, v55 offset1:1
.LBB246_13:
	s_or_b64 exec, exec, s[2:3]
	s_load_dword s8, s[4:5], 0x94
	s_waitcnt lgkmcnt(0)
	s_barrier
	ds_read2_b32 v[60:61], v58 offset1:16
	ds_read2_b32 v[62:63], v58 offset0:32 offset1:48
	ds_read2_b32 v[64:65], v58 offset0:64 offset1:80
	;; [unrolled: 1-line block ×3, first 2 shown]
	s_movk_i32 s10, 0x7fff
	s_waitcnt lgkmcnt(3)
	v_max3_f32 v55, v60, s42, v61
	s_waitcnt lgkmcnt(2)
	v_max3_f32 v55, v55, v62, v63
	v_sub_f32_e32 v57, v60, v55
	v_mul_f32_e32 v57, 0x3fb8aa3b, v57
	v_exp_f32_e32 v60, v57
	v_sub_f32_e32 v57, v61, v55
	v_mul_f32_e32 v57, 0x3fb8aa3b, v57
	v_exp_f32_e32 v61, v57
	;; [unrolled: 3-line block ×4, first 2 shown]
	s_waitcnt lgkmcnt(1)
	v_fma_f32 v57, v60, v64, 0
	v_fmac_f32_e32 v57, v61, v65
	s_waitcnt lgkmcnt(0)
	v_fmac_f32_e32 v57, v62, v58
	v_fmac_f32_e32 v57, v63, v59
	v_add_f32_e32 v58, 0x358637bd, v57
	v_div_scale_f32 v59, s[2:3], v58, v58, 1.0
	v_rcp_f32_e32 v64, v59
	s_mov_b32 s11, 0x7060302
	s_barrier
	v_fma_f32 v65, -v59, v64, 1.0
	v_fmac_f32_e32 v64, v65, v64
	v_div_scale_f32 v65, vcc, 1.0, v58, 1.0
	v_mul_f32_e32 v66, v65, v64
	v_fma_f32 v67, -v59, v66, v65
	v_fmac_f32_e32 v66, v67, v64
	v_fma_f32 v59, -v59, v66, v65
	v_div_fmas_f32 v59, v59, v64, v66
	v_cmp_eq_u32_e32 vcc, 1, v54
	v_div_fixup_f32 v58, v59, v58, 1.0
	v_cndmask_b32_e32 v59, v60, v61, vcc
	v_cmp_eq_u32_e32 vcc, 2, v54
	v_cndmask_b32_e32 v59, v59, v62, vcc
	v_cmp_eq_u32_e32 vcc, 3, v54
	v_cndmask_b32_e32 v59, v59, v63, vcc
	v_mul_f32_e32 v58, v59, v58
	v_pk_mul_f32 v[36:37], v[58:59], v[36:37] op_sel_hi:[0,1]
	v_pk_mul_f32 v[46:47], v[58:59], v[46:47] op_sel_hi:[0,1]
	v_bfe_u32 v59, v37, 16, 1
	v_bfe_u32 v60, v36, 16, 1
	v_add3_u32 v36, v36, v60, s10
	v_add3_u32 v37, v37, v59, s10
	v_perm_b32 v60, v37, v36, s11
	v_bfe_u32 v36, v47, 16, 1
	v_bfe_u32 v37, v46, 16, 1
	v_add3_u32 v37, v46, v37, s10
	v_add3_u32 v36, v47, v36, s10
	v_perm_b32 v61, v36, v37, s11
	v_lshlrev_b32_e32 v36, 3, v51
	v_lshlrev_b32_e32 v37, 11, v54
	v_pk_mul_f32 v[38:39], v[58:59], v[38:39] op_sel_hi:[0,1]
	v_or3_b32 v36, v37, v56, v36
	v_pk_mul_f32 v[46:47], v[58:59], v[48:49] op_sel_hi:[0,1]
	v_bfe_u32 v37, v39, 16, 1
	v_bfe_u32 v48, v38, 16, 1
	v_add3_u32 v38, v38, v48, s10
	v_add3_u32 v37, v39, v37, s10
	v_perm_b32 v38, v37, v38, s11
	v_bfe_u32 v37, v47, 16, 1
	v_bfe_u32 v39, v46, 16, 1
	v_add3_u32 v39, v46, v39, s10
	v_add3_u32 v37, v47, v37, s10
	v_perm_b32 v39, v37, v39, s11
	v_pk_mul_f32 v[42:43], v[58:59], v[42:43] op_sel_hi:[0,1]
	ds_write2st64_b64 v36, v[60:61], v[38:39] offset1:1
	v_pk_mul_f32 v[38:39], v[58:59], v[44:45] op_sel_hi:[0,1]
	v_bfe_u32 v37, v43, 16, 1
	v_bfe_u32 v44, v42, 16, 1
	v_add3_u32 v42, v42, v44, s10
	v_add3_u32 v37, v43, v37, s10
	v_perm_b32 v42, v37, v42, s11
	v_bfe_u32 v37, v39, 16, 1
	v_bfe_u32 v43, v38, 16, 1
	v_add3_u32 v38, v38, v43, s10
	v_add3_u32 v37, v39, v37, s10
	v_perm_b32 v43, v37, v38, s11
	v_pk_mul_f32 v[38:39], v[58:59], v[40:41] op_sel_hi:[0,1]
	v_bfe_u32 v37, v39, 16, 1
	v_bfe_u32 v40, v38, 16, 1
	v_pk_mul_f32 v[34:35], v[58:59], v[34:35] op_sel_hi:[0,1]
	v_add3_u32 v38, v38, v40, s10
	v_add3_u32 v37, v39, v37, s10
	v_perm_b32 v38, v37, v38, s11
	v_bfe_u32 v37, v35, 16, 1
	v_bfe_u32 v39, v34, 16, 1
	v_add3_u32 v34, v34, v39, s10
	v_add3_u32 v35, v35, v37, s10
	s_mul_i32 s9, s33, 3
	v_perm_b32 v39, v35, v34, s11
	v_cmp_gt_u32_e32 vcc, 3, v0
	ds_write2st64_b64 v36, v[42:43], v[38:39] offset0:2 offset1:3
	s_and_saveexec_b64 s[2:3], vcc
	s_cbranch_execz .LBB246_15
; %bb.14:
	v_add_co_u32_e32 v38, vcc, s29, v53
	v_addc_co_u32_e64 v39, s[16:17], 0, 0, vcc
	v_mov_b32_e32 v34, s9
	v_mov_b32_e32 v35, 0
	v_mad_u64_u32 v[38:39], s[16:17], s6, v34, v[38:39]
	v_mov_b32_e32 v34, s28
	s_load_dwordx4 s[12:15], s[4:5], 0x58
	s_mul_i32 s7, s7, s9
	v_mad_u64_u32 v[34:35], s[16:17], v38, s8, v[34:35]
	v_add_u32_e32 v37, s7, v39
	v_mov_b32_e32 v38, v35
	v_mad_u64_u32 v[38:39], s[16:17], v37, s8, v[38:39]
	v_mov_b32_e32 v35, v38
	v_lshlrev_b64 v[34:35], 2, v[34:35]
	s_waitcnt lgkmcnt(0)
	v_mov_b32_e32 v37, s15
	v_add_co_u32_e32 v38, vcc, s14, v34
	v_addc_co_u32_e32 v39, vcc, v37, v35, vcc
	v_mov_b32_e32 v37, s13
	v_add_co_u32_e32 v34, vcc, s12, v34
	v_addc_co_u32_e32 v35, vcc, v37, v35, vcc
	global_store_dword v[38:39], v55, off
	global_store_dword v[34:35], v57, off
.LBB246_15:
	s_or_b64 exec, exec, s[2:3]
	v_lshl_or_b32 v34, v51, 9, v56
	s_waitcnt lgkmcnt(0)
	s_barrier
	ds_read_b128 v[38:41], v34
	ds_read_b128 v[42:45], v34 offset:16
	s_waitcnt vmcnt(7) lgkmcnt(1)
	v_mfma_f32_16x16x16bf16_1k v[46:49], v[14:15], v[38:39], 0
	v_cmp_gt_u32_e32 vcc, 64, v0
	v_cmp_ne_u32_e64 s[2:3], 3, v51
	s_and_b64 s[2:3], s[2:3], vcc
	s_mov_b32 s7, 0
	s_and_b64 s[0:1], s[2:3], s[0:1]
	v_mfma_f32_16x16x16bf16_1k v[14:17], v[16:17], v[40:41], v[46:49]
	s_waitcnt vmcnt(6) lgkmcnt(0)
	v_mfma_f32_16x16x16bf16_1k v[14:17], v[10:11], v[42:43], v[14:17]
	v_mfma_f32_16x16x16bf16_1k v[10:13], v[12:13], v[44:45], v[14:17]
	s_nop 7
	s_nop 1
	ds_read_b128 v[14:17], v34 offset:2048
	ds_read_b128 v[38:41], v34 offset:2064
	s_waitcnt vmcnt(5) lgkmcnt(1)
	v_mfma_f32_16x16x16bf16_1k v[10:13], v[6:7], v[14:15], v[10:13]
	v_mfma_f32_16x16x16bf16_1k v[6:9], v[8:9], v[16:17], v[10:13]
	s_waitcnt vmcnt(4) lgkmcnt(0)
	v_mfma_f32_16x16x16bf16_1k v[6:9], v[2:3], v[38:39], v[6:9]
	v_mfma_f32_16x16x16bf16_1k v[2:5], v[4:5], v[40:41], v[6:9]
	s_nop 7
	s_nop 1
	ds_read_b128 v[6:9], v34 offset:4096
	ds_read_b128 v[10:13], v34 offset:4112
	s_waitcnt vmcnt(3) lgkmcnt(1)
	v_mfma_f32_16x16x16bf16_1k v[2:5], v[30:31], v[6:7], v[2:5]
	v_mfma_f32_16x16x16bf16_1k v[2:5], v[32:33], v[8:9], v[2:5]
	s_waitcnt vmcnt(2) lgkmcnt(0)
	v_mfma_f32_16x16x16bf16_1k v[2:5], v[22:23], v[10:11], v[2:5]
	v_mfma_f32_16x16x16bf16_1k v[2:5], v[24:25], v[12:13], v[2:5]
	ds_read_b128 v[6:9], v34 offset:6144
	ds_read_b128 v[10:13], v34 offset:6160
	s_waitcnt lgkmcnt(0)
	s_barrier
	s_waitcnt vmcnt(1)
	v_mfma_f32_16x16x16bf16_1k v[2:5], v[26:27], v[6:7], v[2:5]
	v_mfma_f32_16x16x16bf16_1k v[2:5], v[28:29], v[8:9], v[2:5]
	s_waitcnt vmcnt(0)
	v_mfma_f32_16x16x16bf16_1k v[2:5], v[18:19], v[10:11], v[2:5]
	v_mfma_f32_16x16x16bf16_1k v[2:5], v[20:21], v[12:13], v[2:5]
	s_nop 7
	s_nop 2
	v_bfe_u32 v6, v3, 16, 1
	v_bfe_u32 v7, v2, 16, 1
	;; [unrolled: 1-line block ×4, first 2 shown]
	v_add3_u32 v2, v2, v7, s10
	v_add3_u32 v3, v3, v6, s10
	;; [unrolled: 1-line block ×4, first 2 shown]
	v_perm_b32 v2, v3, v2, s11
	v_perm_b32 v3, v5, v4, s11
	ds_write_b64 v36, v[2:3]
	s_waitcnt lgkmcnt(0)
	s_barrier
	s_and_saveexec_b64 s[2:3], s[0:1]
	s_cbranch_execz .LBB246_17
; %bb.16:
	s_load_dwordx2 s[0:1], s[4:5], 0x68
	s_mul_i32 s2, s9, s6
	s_lshl_b32 s4, s8, 6
	s_mul_hi_u32 s3, s2, s4
	s_mul_i32 s2, s2, s4
	s_lshl_b64 s[2:3], s[2:3], 1
	s_waitcnt lgkmcnt(0)
	s_add_u32 s2, s0, s2
	s_addc_u32 s3, s1, s3
	s_lshl_b32 s6, s28, 6
	v_lshlrev_b32_e32 v0, 10, v0
	s_lshl_b64 s[0:1], s[6:7], 1
	v_and_b32_e32 v0, 0x1800, v0
	v_lshlrev_b32_e32 v2, 5, v51
	v_and_b32_e32 v3, 16, v52
	s_add_u32 s2, s2, s0
	v_or3_b32 v0, v0, v2, v3
	s_addc_u32 s3, s3, s1
	v_mad_u64_u32 v[6:7], s[0:1], s4, v50, 0
	ds_read_b128 v[2:5], v0
	v_lshlrev_b64 v[6:7], 1, v[6:7]
	v_mov_b32_e32 v0, s3
	v_add_co_u32_e32 v6, vcc, s2, v6
	v_addc_co_u32_e32 v7, vcc, v0, v7, vcc
	v_add_co_u32_e32 v0, vcc, v6, v1
	v_addc_co_u32_e32 v1, vcc, 0, v7, vcc
	s_waitcnt lgkmcnt(0)
	global_store_dwordx4 v[0:1], v[2:5], off
.LBB246_17:
	s_endpgm
	.section	.rodata,"a",@progbits
	.p2align	6, 0x0
	.amdhsa_kernel _Z39paged_attention_ll4mi_QKV_mfma16_kernelI14__hip_bfloat16S0_LN4vllm18Fp8KVCacheDataTypeE0ES0_Li16ELi64ELi256ELb0ELi3EL8MFMAType0EEvPKT_PKT0_S9_ifPKiSB_SB_iPKfiiiPfSE_PS4_PT2_iSD_SD_
		.amdhsa_group_segment_fixed_size 8192
		.amdhsa_private_segment_fixed_size 0
		.amdhsa_kernarg_size 400
		.amdhsa_user_sgpr_count 6
		.amdhsa_user_sgpr_private_segment_buffer 1
		.amdhsa_user_sgpr_dispatch_ptr 0
		.amdhsa_user_sgpr_queue_ptr 0
		.amdhsa_user_sgpr_kernarg_segment_ptr 1
		.amdhsa_user_sgpr_dispatch_id 0
		.amdhsa_user_sgpr_flat_scratch_init 0
		.amdhsa_user_sgpr_kernarg_preload_length 0
		.amdhsa_user_sgpr_kernarg_preload_offset 0
		.amdhsa_user_sgpr_private_segment_size 0
		.amdhsa_uses_dynamic_stack 0
		.amdhsa_system_sgpr_private_segment_wavefront_offset 0
		.amdhsa_system_sgpr_workgroup_id_x 1
		.amdhsa_system_sgpr_workgroup_id_y 1
		.amdhsa_system_sgpr_workgroup_id_z 1
		.amdhsa_system_sgpr_workgroup_info 0
		.amdhsa_system_vgpr_workitem_id 0
		.amdhsa_next_free_vgpr 68
		.amdhsa_next_free_sgpr 48
		.amdhsa_accum_offset 68
		.amdhsa_reserve_vcc 1
		.amdhsa_reserve_flat_scratch 0
		.amdhsa_float_round_mode_32 0
		.amdhsa_float_round_mode_16_64 0
		.amdhsa_float_denorm_mode_32 3
		.amdhsa_float_denorm_mode_16_64 3
		.amdhsa_dx10_clamp 1
		.amdhsa_ieee_mode 1
		.amdhsa_fp16_overflow 0
		.amdhsa_tg_split 0
		.amdhsa_exception_fp_ieee_invalid_op 0
		.amdhsa_exception_fp_denorm_src 0
		.amdhsa_exception_fp_ieee_div_zero 0
		.amdhsa_exception_fp_ieee_overflow 0
		.amdhsa_exception_fp_ieee_underflow 0
		.amdhsa_exception_fp_ieee_inexact 0
		.amdhsa_exception_int_div_zero 0
	.end_amdhsa_kernel
	.section	.text._Z39paged_attention_ll4mi_QKV_mfma16_kernelI14__hip_bfloat16S0_LN4vllm18Fp8KVCacheDataTypeE0ES0_Li16ELi64ELi256ELb0ELi3EL8MFMAType0EEvPKT_PKT0_S9_ifPKiSB_SB_iPKfiiiPfSE_PS4_PT2_iSD_SD_,"axG",@progbits,_Z39paged_attention_ll4mi_QKV_mfma16_kernelI14__hip_bfloat16S0_LN4vllm18Fp8KVCacheDataTypeE0ES0_Li16ELi64ELi256ELb0ELi3EL8MFMAType0EEvPKT_PKT0_S9_ifPKiSB_SB_iPKfiiiPfSE_PS4_PT2_iSD_SD_,comdat
.Lfunc_end246:
	.size	_Z39paged_attention_ll4mi_QKV_mfma16_kernelI14__hip_bfloat16S0_LN4vllm18Fp8KVCacheDataTypeE0ES0_Li16ELi64ELi256ELb0ELi3EL8MFMAType0EEvPKT_PKT0_S9_ifPKiSB_SB_iPKfiiiPfSE_PS4_PT2_iSD_SD_, .Lfunc_end246-_Z39paged_attention_ll4mi_QKV_mfma16_kernelI14__hip_bfloat16S0_LN4vllm18Fp8KVCacheDataTypeE0ES0_Li16ELi64ELi256ELb0ELi3EL8MFMAType0EEvPKT_PKT0_S9_ifPKiSB_SB_iPKfiiiPfSE_PS4_PT2_iSD_SD_
                                        ; -- End function
	.section	.AMDGPU.csdata,"",@progbits
; Kernel info:
; codeLenInByte = 4160
; NumSgprs: 52
; NumVgprs: 68
; NumAgprs: 0
; TotalNumVgprs: 68
; ScratchSize: 0
; MemoryBound: 0
; FloatMode: 240
; IeeeMode: 1
; LDSByteSize: 8192 bytes/workgroup (compile time only)
; SGPRBlocks: 6
; VGPRBlocks: 8
; NumSGPRsForWavesPerEU: 52
; NumVGPRsForWavesPerEU: 68
; AccumOffset: 68
; Occupancy: 7
; WaveLimiterHint : 1
; COMPUTE_PGM_RSRC2:SCRATCH_EN: 0
; COMPUTE_PGM_RSRC2:USER_SGPR: 6
; COMPUTE_PGM_RSRC2:TRAP_HANDLER: 0
; COMPUTE_PGM_RSRC2:TGID_X_EN: 1
; COMPUTE_PGM_RSRC2:TGID_Y_EN: 1
; COMPUTE_PGM_RSRC2:TGID_Z_EN: 1
; COMPUTE_PGM_RSRC2:TIDIG_COMP_CNT: 0
; COMPUTE_PGM_RSRC3_GFX90A:ACCUM_OFFSET: 16
; COMPUTE_PGM_RSRC3_GFX90A:TG_SPLIT: 0
	.section	.text._Z39paged_attention_ll4mi_QKV_mfma16_kernelI14__hip_bfloat16S0_LN4vllm18Fp8KVCacheDataTypeE0ES0_Li16ELi64ELi256ELb0ELi4EL8MFMAType0EEvPKT_PKT0_S9_ifPKiSB_SB_iPKfiiiPfSE_PS4_PT2_iSD_SD_,"axG",@progbits,_Z39paged_attention_ll4mi_QKV_mfma16_kernelI14__hip_bfloat16S0_LN4vllm18Fp8KVCacheDataTypeE0ES0_Li16ELi64ELi256ELb0ELi4EL8MFMAType0EEvPKT_PKT0_S9_ifPKiSB_SB_iPKfiiiPfSE_PS4_PT2_iSD_SD_,comdat
	.protected	_Z39paged_attention_ll4mi_QKV_mfma16_kernelI14__hip_bfloat16S0_LN4vllm18Fp8KVCacheDataTypeE0ES0_Li16ELi64ELi256ELb0ELi4EL8MFMAType0EEvPKT_PKT0_S9_ifPKiSB_SB_iPKfiiiPfSE_PS4_PT2_iSD_SD_ ; -- Begin function _Z39paged_attention_ll4mi_QKV_mfma16_kernelI14__hip_bfloat16S0_LN4vllm18Fp8KVCacheDataTypeE0ES0_Li16ELi64ELi256ELb0ELi4EL8MFMAType0EEvPKT_PKT0_S9_ifPKiSB_SB_iPKfiiiPfSE_PS4_PT2_iSD_SD_
	.globl	_Z39paged_attention_ll4mi_QKV_mfma16_kernelI14__hip_bfloat16S0_LN4vllm18Fp8KVCacheDataTypeE0ES0_Li16ELi64ELi256ELb0ELi4EL8MFMAType0EEvPKT_PKT0_S9_ifPKiSB_SB_iPKfiiiPfSE_PS4_PT2_iSD_SD_
	.p2align	8
	.type	_Z39paged_attention_ll4mi_QKV_mfma16_kernelI14__hip_bfloat16S0_LN4vllm18Fp8KVCacheDataTypeE0ES0_Li16ELi64ELi256ELb0ELi4EL8MFMAType0EEvPKT_PKT0_S9_ifPKiSB_SB_iPKfiiiPfSE_PS4_PT2_iSD_SD_,@function
_Z39paged_attention_ll4mi_QKV_mfma16_kernelI14__hip_bfloat16S0_LN4vllm18Fp8KVCacheDataTypeE0ES0_Li16ELi64ELi256ELb0ELi4EL8MFMAType0EEvPKT_PKT0_S9_ifPKiSB_SB_iPKfiiiPfSE_PS4_PT2_iSD_SD_: ; @_Z39paged_attention_ll4mi_QKV_mfma16_kernelI14__hip_bfloat16S0_LN4vllm18Fp8KVCacheDataTypeE0ES0_Li16ELi64ELi256ELb0ELi4EL8MFMAType0EEvPKT_PKT0_S9_ifPKiSB_SB_iPKfiiiPfSE_PS4_PT2_iSD_SD_
; %bb.0:
	s_load_dwordx2 s[0:1], s[4:5], 0x30
	s_mov_b32 s26, s7
	s_mov_b64 s[10:11], 0
	s_waitcnt lgkmcnt(0)
	s_cmp_lg_u64 s[0:1], 0
	s_cselect_b64 s[2:3], -1, 0
	s_and_b64 vcc, exec, s[2:3]
	s_cbranch_vccz .LBB247_7
; %bb.1:
	s_add_i32 s12, s6, 1
	s_mov_b32 s13, 0
	s_lshl_b64 s[14:15], s[12:13], 2
	s_add_u32 s14, s0, s14
	s_mov_b32 s7, s13
	s_addc_u32 s15, s1, s15
	s_lshl_b64 s[12:13], s[6:7], 2
	s_add_u32 s12, s0, s12
	s_addc_u32 s13, s1, s13
	s_load_dword s9, s[14:15], 0x0
	s_load_dword s16, s[12:13], 0x0
	s_waitcnt lgkmcnt(0)
	s_sub_i32 s9, s9, s16
	s_cmp_eq_u32 s9, 1
	s_cselect_b64 s[12:13], -1, 0
	s_andn2_b64 vcc, exec, s[10:11]
	s_cbranch_vccnz .LBB247_3
.LBB247_2:
	s_mov_b32 s7, 0
	s_mov_b64 s[12:13], -1
.LBB247_3:
	s_andn2_b64 vcc, exec, s[12:13]
	s_cbranch_vccnz .LBB247_17
; %bb.4:
	s_load_dwordx2 s[12:13], s[4:5], 0x28
	s_lshl_b64 s[10:11], s[6:7], 2
	s_waitcnt lgkmcnt(0)
	s_add_u32 s12, s12, s10
	s_addc_u32 s13, s13, s11
	s_load_dword s38, s[12:13], 0x0
	s_lshl_b32 s9, s26, 8
	s_waitcnt lgkmcnt(0)
	s_cmp_ge_i32 s9, s38
	s_cbranch_scc1 .LBB247_17
; %bb.5:
	s_add_i32 s15, s38, 15
	s_load_dwordx2 s[12:13], s[4:5], 0x20
	s_load_dword s14, s[4:5], 0x38
	s_ashr_i32 s16, s15, 31
	v_and_b32_e32 v1, 0xcf, v0
	s_lshr_b32 s16, s16, 28
	v_add_u32_e32 v1, s9, v1
	s_add_i32 s15, s15, s16
	v_ashrrev_i32_e32 v2, 31, v1
	s_ashr_i32 s18, s15, 4
	v_lshrrev_b32_e32 v4, 28, v2
	s_add_i32 s18, s18, -1
	v_add_u32_e32 v2, v1, v4
	s_waitcnt lgkmcnt(0)
	s_mul_i32 s14, s6, s14
	s_mov_b32 s15, 0
	v_ashrrev_i32_e32 v2, 4, v2
	v_mov_b32_e32 v5, s18
	v_cmp_gt_i32_e32 vcc, s38, v1
	s_lshl_b64 s[14:15], s[14:15], 2
	v_cndmask_b32_e32 v2, v5, v2, vcc
	s_add_u32 s16, s12, s14
	v_ashrrev_i32_e32 v3, 31, v2
	s_addc_u32 s17, s13, s15
	v_lshlrev_b64 v[2:3], 2, v[2:3]
	v_mov_b32_e32 v7, s17
	v_add_co_u32_e32 v6, vcc, s16, v2
	v_or_b32_e32 v2, 16, v1
	v_addc_co_u32_e32 v7, vcc, v7, v3, vcc
	v_add_u32_e32 v3, v2, v4
	v_ashrrev_i32_e32 v3, 4, v3
	v_cmp_gt_i32_e32 vcc, s38, v2
	v_cndmask_b32_e32 v2, v5, v3, vcc
	v_ashrrev_i32_e32 v3, 31, v2
	v_lshlrev_b64 v[2:3], 2, v[2:3]
	v_mov_b32_e32 v9, s17
	v_add_co_u32_e32 v8, vcc, s16, v2
	v_or_b32_e32 v2, 32, v1
	v_addc_co_u32_e32 v9, vcc, v9, v3, vcc
	v_add_u32_e32 v3, v2, v4
	v_ashrrev_i32_e32 v3, 4, v3
	v_cmp_gt_i32_e32 vcc, s38, v2
	v_cndmask_b32_e32 v2, v5, v3, vcc
	v_ashrrev_i32_e32 v3, 31, v2
	;; [unrolled: 10-line block ×3, first 2 shown]
	v_lshlrev_b64 v[2:3], 2, v[2:3]
	v_mov_b32_e32 v1, s17
	v_add_co_u32_e32 v12, vcc, s16, v2
	v_addc_co_u32_e32 v13, vcc, v1, v3, vcc
	global_load_dword v4, v[6:7], off
	global_load_dword v2, v[8:9], off
	;; [unrolled: 1-line block ×4, first 2 shown]
	s_load_dwordx4 s[12:15], s[4:5], 0x8
	s_andn2_b64 vcc, exec, s[2:3]
	s_cbranch_vccnz .LBB247_8
; %bb.6:
	s_add_u32 s0, s0, s10
	s_addc_u32 s1, s1, s11
	s_load_dword s2, s[0:1], 0x0
	s_branch .LBB247_9
.LBB247_7:
	s_mov_b64 s[12:13], 0
	s_branch .LBB247_2
.LBB247_8:
	s_mov_b32 s2, s6
.LBB247_9:
	s_load_dwordx4 s[40:43], s[4:5], 0x48
	v_and_b32_e32 v56, 15, v0
	v_bfe_u32 v53, v0, 4, 2
	s_lshl_b32 s27, s8, 2
	v_lshlrev_b32_e32 v5, 3, v56
	v_cmp_gt_u32_e32 vcc, 64, v0
	v_cmp_gt_u32_e64 s[0:1], 8, v56
	v_lshrrev_b32_e32 v54, 6, v0
	v_and_b32_e32 v55, 63, v0
	v_or_b32_e32 v1, s27, v53
	v_and_b32_e32 v3, 3, v0
	s_and_b64 s[44:45], vcc, s[0:1]
	v_lshlrev_b32_e32 v50, 1, v5
	v_lshlrev_b32_e32 v51, 5, v53
	s_and_saveexec_b64 s[0:1], s[44:45]
	s_cbranch_execz .LBB247_11
; %bb.10:
	s_load_dwordx2 s[10:11], s[4:5], 0x0
	s_waitcnt lgkmcnt(0)
	s_ashr_i32 s3, s40, 31
	s_mul_hi_u32 s19, s2, s40
	s_mul_i32 s3, s2, s3
	s_add_i32 s3, s19, s3
	s_mul_i32 s2, s2, s40
	s_lshl_b64 s[2:3], s[2:3], 1
	v_lshlrev_b32_e32 v6, 6, v1
	s_add_u32 s2, s10, s2
	v_ashrrev_i32_e32 v7, 31, v6
	s_addc_u32 s3, s11, s3
	v_lshlrev_b64 v[6:7], 1, v[6:7]
	v_mov_b32_e32 v5, s3
	v_add_co_u32_e32 v6, vcc, s2, v6
	v_addc_co_u32_e32 v5, vcc, v5, v7, vcc
	v_add_co_u32_e32 v6, vcc, v6, v50
	v_addc_co_u32_e32 v7, vcc, 0, v5, vcc
	global_load_dwordx4 v[6:9], v[6:7], off
	v_lshlrev_b32_e32 v11, 9, v56
	v_lshl_or_b32 v5, v54, 7, v51
	v_lshlrev_b32_e32 v10, 9, v3
	v_and_b32_e32 v11, 0x1800, v11
	v_or3_b32 v5, v11, v10, v5
	s_waitcnt vmcnt(0)
	ds_write_b128 v5, v[6:9]
.LBB247_11:
	s_or_b64 exec, exec, s[0:1]
	s_waitcnt lgkmcnt(0)
	s_mul_i32 s2, s8, s42
	s_mov_b32 s3, 0
	s_lshl_b64 s[2:3], s[2:3], 1
	s_add_u32 s1, s12, s2
	v_lshlrev_b32_e32 v52, 4, v0
	s_addc_u32 s8, s13, s3
	v_and_b32_e32 v5, 0xf0, v52
	v_mov_b32_e32 v6, s8
	v_add_co_u32_e32 v29, vcc, s1, v5
	s_waitcnt vmcnt(3)
	v_mad_i64_i32 v[4:5], s[10:11], v4, s41, 0
	v_addc_co_u32_e32 v30, vcc, 0, v6, vcc
	v_lshlrev_b64 v[4:5], 1, v[4:5]
	v_add_co_u32_e32 v4, vcc, v29, v4
	v_addc_co_u32_e32 v5, vcc, v30, v5, vcc
	v_and_b32_e32 v31, 0x300, v52
	v_add_co_u32_e32 v4, vcc, v4, v31
	v_addc_co_u32_e32 v5, vcc, 0, v5, vcc
	s_load_dword s33, s[4:5], 0x98
	s_load_dword s0, s[4:5], 0x1c
	s_waitcnt lgkmcnt(0)
	s_barrier
	global_load_dwordx4 v[6:9], v[4:5], off
	s_waitcnt vmcnt(3)
	v_mad_i64_i32 v[10:11], s[10:11], v2, s41, 0
	v_lshlrev_b64 v[10:11], 1, v[10:11]
	v_add_co_u32_e32 v2, vcc, v29, v10
	v_addc_co_u32_e32 v10, vcc, v30, v11, vcc
	v_add_co_u32_e32 v20, vcc, v2, v31
	v_addc_co_u32_e32 v21, vcc, 0, v10, vcc
	global_load_dwordx4 v[22:25], v[20:21], off
	global_load_dwordx4 v[10:13], v[4:5], off offset:1024
	global_load_dwordx4 v[14:17], v[20:21], off offset:1024
	v_lshlrev_b32_e32 v2, 5, v3
	v_lshl_or_b32 v20, v53, 9, v2
	ds_read_b128 v[2:5], v20
	s_waitcnt vmcnt(5)
	v_mad_i64_i32 v[18:19], s[10:11], v18, s41, 0
	v_lshlrev_b64 v[26:27], 1, v[18:19]
	ds_read_b128 v[18:21], v20 offset:2048
	v_and_or_b32 v57, v0, 48, s9
	v_mov_b32_e32 v62, s18
	v_mov_b32_e32 v49, s17
	v_or_b32_e32 v59, 0x80, v57
	v_mov_b32_e32 v58, s17
	v_mov_b32_e32 v63, s17
	s_add_u32 s1, s14, s2
	s_addc_u32 s2, s15, s3
	s_mov_b32 s40, 0xff7fffff
	s_waitcnt vmcnt(2) lgkmcnt(1)
	v_mfma_f32_16x16x16bf16_1k v[36:39], v[22:23], v[2:3], 0
	v_mad_i64_i32 v[22:23], s[10:11], v28, s41, 0
	v_lshlrev_b64 v[44:45], 1, v[22:23]
	v_ashrrev_i32_e32 v22, 4, v57
	v_or_b32_e32 v28, 64, v57
	v_mfma_f32_16x16x16bf16_1k v[32:35], v[6:7], v[2:3], 0
	v_add_co_u32_e32 v6, vcc, v29, v26
	v_addc_co_u32_e32 v7, vcc, v30, v27, vcc
	v_add_co_u32_e32 v26, vcc, v6, v31
	v_addc_co_u32_e32 v27, vcc, 0, v7, vcc
	global_load_dwordx4 v[40:43], v[26:27], off
	v_mfma_f32_16x16x16bf16_1k v[6:9], v[8:9], v[4:5], v[32:35]
	v_cmp_gt_i32_e32 vcc, s38, v57
	v_cndmask_b32_e32 v46, v62, v22, vcc
	v_cmp_gt_i32_e32 vcc, s38, v28
	v_ashrrev_i32_e32 v47, 31, v46
	s_nop 2
	global_load_dwordx4 v[32:35], v[26:27], off offset:1024
	v_mfma_f32_16x16x16bf16_1k v[22:25], v[24:25], v[4:5], v[36:39]
	s_nop 6
	v_ashrrev_i32_e32 v36, 4, v28
	v_cndmask_b32_e32 v48, v62, v36, vcc
	s_waitcnt vmcnt(3) lgkmcnt(0)
	v_mfma_f32_16x16x16bf16_1k v[6:9], v[10:11], v[18:19], v[6:9]
	v_add_co_u32_e32 v10, vcc, v29, v44
	v_addc_co_u32_e32 v11, vcc, v30, v45, vcc
	v_add_co_u32_e32 v10, vcc, v10, v31
	v_addc_co_u32_e32 v11, vcc, 0, v11, vcc
	v_lshlrev_b64 v[36:37], 2, v[46:47]
	global_load_dwordx4 v[26:29], v[10:11], off
	s_waitcnt vmcnt(3)
	v_mfma_f32_16x16x16bf16_1k v[22:25], v[14:15], v[18:19], v[22:25]
	v_add_co_u32_e32 v14, vcc, s16, v36
	v_addc_co_u32_e32 v15, vcc, v49, v37, vcc
	global_load_dword v44, v[14:15], off
	v_ashrrev_i32_e32 v38, 4, v59
	v_cmp_gt_i32_e32 vcc, s38, v59
	v_ashrrev_i32_e32 v49, 31, v48
	v_cndmask_b32_e32 v14, v62, v38, vcc
	v_mfma_f32_16x16x16bf16_1k v[36:39], v[12:13], v[20:21], v[6:9]
	v_ashrrev_i32_e32 v15, 31, v14
	v_mov_b32_e32 v12, s17
	s_nop 4
	v_lshlrev_b64 v[6:7], 2, v[48:49]
	v_add_co_u32_e32 v6, vcc, s16, v6
	v_addc_co_u32_e32 v7, vcc, v58, v7, vcc
	global_load_dwordx4 v[58:61], v[10:11], off offset:1024
	global_load_dword v45, v[6:7], off
	v_lshlrev_b64 v[6:7], 2, v[14:15]
	v_add_co_u32_e32 v10, vcc, s16, v6
	v_addc_co_u32_e32 v11, vcc, v63, v7, vcc
	s_waitcnt vmcnt(5)
	v_mfma_f32_16x16x16bf16_1k v[6:9], v[40:41], v[2:3], 0
	global_load_dword v40, v[10:11], off
	v_or_b32_e32 v10, 0xc0, v57
	v_ashrrev_i32_e32 v11, 4, v10
	v_cmp_gt_i32_e32 vcc, s38, v10
	v_cndmask_b32_e32 v10, v62, v11, vcc
	v_ashrrev_i32_e32 v11, 31, v10
	v_lshlrev_b64 v[10:11], 2, v[10:11]
	v_mfma_f32_16x16x16bf16_1k v[6:9], v[42:43], v[4:5], v[6:9]
	v_add_co_u32_e32 v10, vcc, s16, v10
	v_addc_co_u32_e32 v11, vcc, v12, v11, vcc
	global_load_dword v62, v[10:11], off
	v_lshlrev_b32_e32 v57, 5, v56
	v_lshl_or_b32 v10, v54, 9, v57
	s_waitcnt vmcnt(6)
	v_mfma_f32_16x16x16bf16_1k v[6:9], v[32:33], v[18:19], v[6:9]
	v_mov_b32_e32 v11, s2
	v_add_co_u32_e32 v63, vcc, s1, v10
	v_addc_co_u32_e32 v64, vcc, 0, v11, vcc
	v_pk_mul_f32 v[46:47], s[0:1], v[38:39] op_sel_hi:[0,1]
	v_lshlrev_b32_e32 v56, 2, v56
	v_mfma_f32_16x16x16bf16_1k v[30:33], v[34:35], v[20:21], v[6:9]
	s_waitcnt vmcnt(1)
	v_mad_i64_i32 v[34:35], s[2:3], v40, s41, 0
	s_nop 4
	v_mad_i64_i32 v[6:7], s[2:3], v44, s41, 0
	v_lshlrev_b64 v[10:11], 1, v[6:7]
	v_mfma_f32_16x16x16bf16_1k v[6:9], v[26:27], v[2:3], 0
	v_add_co_u32_e32 v2, vcc, v63, v10
	v_addc_co_u32_e32 v3, vcc, v64, v11, vcc
	v_lshlrev_b64 v[34:35], 1, v[34:35]
	v_pk_mul_f32 v[42:43], s[0:1], v[30:31] op_sel_hi:[0,1]
	v_mfma_f32_16x16x16bf16_1k v[26:29], v[28:29], v[4:5], v[6:9]
	v_mfma_f32_16x16x16bf16_1k v[22:25], v[16:17], v[20:21], v[22:25]
	global_load_dwordx4 v[14:17], v[2:3], off
	global_load_dwordx4 v[10:13], v[2:3], off offset:16
	v_mad_i64_i32 v[2:3], s[2:3], v45, s41, 0
	v_lshlrev_b64 v[2:3], 1, v[2:3]
	v_add_co_u32_e32 v2, vcc, v63, v2
	v_addc_co_u32_e32 v3, vcc, v64, v3, vcc
	v_mfma_f32_16x16x16bf16_1k v[26:29], v[58:59], v[18:19], v[26:29]
	s_nop 3
	v_pk_mul_f32 v[38:39], s[0:1], v[22:23] op_sel_hi:[0,1]
	v_add_co_u32_e32 v58, vcc, v63, v34
	v_addc_co_u32_e32 v59, vcc, v64, v35, vcc
	v_pk_mul_f32 v[18:19], s[0:1], v[36:37] op_sel_hi:[0,1]
	v_pk_mul_f32 v[48:49], s[0:1], v[24:25] op_sel_hi:[0,1]
	v_mfma_f32_16x16x16bf16_1k v[20:23], v[60:61], v[20:21], v[26:29]
	v_pk_mul_f32 v[44:45], s[0:1], v[32:33] op_sel_hi:[0,1]
	global_load_dwordx4 v[6:9], v[2:3], off
	s_nop 0
	global_load_dwordx4 v[2:5], v[2:3], off offset:16
	s_nop 6
	v_pk_mul_f32 v[40:41], s[0:1], v[20:21] op_sel_hi:[0,1]
	v_and_b32_e32 v20, 0xc0, v0
	v_add_u32_e32 v20, s9, v20
	v_lshl_or_b32 v20, v53, 2, v20
	v_pk_mul_f32 v[34:35], s[0:1], v[22:23] op_sel_hi:[0,1]
	v_or_b32_e32 v23, 1, v20
	v_mov_b32_e32 v21, 0xff7fffff
	v_cmp_gt_i32_e64 s[28:29], s38, v20
	v_cmp_gt_i32_e64 s[30:31], s38, v23
	v_cndmask_b32_e64 v22, v21, v18, s[28:29]
	v_cndmask_b32_e64 v23, v21, v19, s[30:31]
	v_max3_f32 v22, v22, s40, v23
	v_or_b32_e32 v23, 2, v20
	v_or_b32_e32 v24, 3, v20
	v_cmp_gt_i32_e64 s[34:35], s38, v23
	v_cmp_gt_i32_e64 s[36:37], s38, v24
	v_cndmask_b32_e64 v23, v21, v46, s[34:35]
	v_cndmask_b32_e64 v24, v21, v47, s[36:37]
	v_max3_f32 v22, v22, v23, v24
	v_or_b32_e32 v23, 16, v20
	v_or_b32_e32 v24, 17, v20
	;; [unrolled: 7-line block ×7, first 2 shown]
	v_cmp_gt_i32_e32 vcc, s38, v23
	v_cmp_gt_i32_e64 s[0:1], s38, v20
	v_cndmask_b32_e32 v23, v21, v34, vcc
	v_cndmask_b32_e64 v20, v21, v35, s[0:1]
	v_max3_f32 v26, v22, v23, v20
	v_mbcnt_lo_u32_b32 v20, -1, 0
	v_mbcnt_hi_u32_b32 v27, -1, v20
	v_and_b32_e32 v20, 64, v27
	v_add_u32_e32 v28, 64, v20
	v_xor_b32_e32 v20, 32, v27
	v_cmp_lt_i32_e64 s[38:39], v20, v28
	v_cndmask_b32_e64 v20, v27, v20, s[38:39]
	v_lshlrev_b32_e32 v60, 2, v20
	ds_bpermute_b32 v29, v60, v26
	s_waitcnt vmcnt(4)
	v_mad_i64_i32 v[20:21], s[38:39], v62, s41, 0
	global_load_dwordx4 v[30:33], v[58:59], off
	global_load_dwordx4 v[22:25], v[58:59], off offset:16
	v_lshlrev_b64 v[20:21], 1, v[20:21]
	s_waitcnt lgkmcnt(0)
	v_max_f32_e32 v29, v29, v29
	v_max_f32_e32 v26, v26, v29
	v_xor_b32_e32 v29, 16, v27
	v_cmp_lt_i32_e64 s[38:39], v29, v28
	v_cndmask_b32_e64 v27, v27, v29, s[38:39]
	v_lshlrev_b32_e32 v61, 2, v27
	ds_bpermute_b32 v27, v61, v26
	v_add_co_u32_e64 v20, s[38:39], v63, v20
	v_addc_co_u32_e64 v21, s[38:39], v64, v21, s[38:39]
	s_waitcnt lgkmcnt(0)
	v_max_f32_e32 v27, v27, v27
	v_max_f32_e32 v58, v26, v27
	v_sub_f32_e32 v18, v18, v58
	v_mul_f32_e32 v18, 0x3fb8aa3b, v18
	v_exp_f32_e32 v36, v18
	v_sub_f32_e32 v18, v19, v58
	v_mul_f32_e32 v18, 0x3fb8aa3b, v18
	v_exp_f32_e32 v37, v18
	global_load_dwordx4 v[26:29], v[20:21], off
	s_nop 0
	global_load_dwordx4 v[18:21], v[20:21], off offset:16
	v_sub_f32_e32 v46, v46, v58
	v_mul_f32_e32 v46, 0x3fb8aa3b, v46
	v_sub_f32_e32 v47, v47, v58
	v_exp_f32_e32 v46, v46
	v_mul_f32_e32 v47, 0x3fb8aa3b, v47
	v_sub_f32_e32 v38, v38, v58
	v_exp_f32_e32 v47, v47
	v_mul_f32_e32 v38, 0x3fb8aa3b, v38
	v_sub_f32_e32 v39, v39, v58
	v_cndmask_b32_e64 v36, 0, v36, s[28:29]
	v_exp_f32_e32 v38, v38
	v_mul_f32_e32 v39, 0x3fb8aa3b, v39
	v_sub_f32_e32 v48, v48, v58
	v_add_f32_e32 v59, 0, v36
	v_cndmask_b32_e64 v37, 0, v37, s[30:31]
	v_exp_f32_e32 v39, v39
	v_mul_f32_e32 v48, 0x3fb8aa3b, v48
	v_sub_f32_e32 v49, v49, v58
	v_add_f32_e32 v59, v59, v37
	;; [unrolled: 5-line block ×10, first 2 shown]
	v_cndmask_b32_e64 v44, 0, v44, s[10:11]
	v_exp_f32_e32 v34, v34
	v_mul_f32_e32 v35, 0x3fb8aa3b, v35
	v_add_f32_e32 v59, v59, v44
	v_cndmask_b32_e64 v45, 0, v45, s[12:13]
	v_exp_f32_e32 v35, v35
	v_add_f32_e32 v59, v59, v45
	v_cndmask_b32_e64 v40, 0, v40, s[2:3]
	v_add_f32_e32 v59, v59, v40
	v_cndmask_b32_e64 v41, 0, v41, s[8:9]
	v_add_f32_e32 v59, v59, v41
	v_cndmask_b32_e32 v34, 0, v34, vcc
	v_add_f32_e32 v59, v59, v34
	v_cndmask_b32_e64 v35, 0, v35, s[0:1]
	v_add_f32_e32 v59, v59, v35
	ds_bpermute_b32 v60, v60, v59
	v_cmp_gt_u32_e32 vcc, 16, v55
	s_waitcnt lgkmcnt(0)
	s_barrier
	v_add_f32_e32 v59, v59, v60
	ds_bpermute_b32 v60, v61, v59
	s_and_saveexec_b64 s[0:1], vcc
	s_cbranch_execz .LBB247_13
; %bb.12:
	s_waitcnt lgkmcnt(0)
	v_add_f32_e32 v55, v59, v60
	v_lshl_or_b32 v59, v54, 6, v56
	ds_write2st64_b32 v59, v58, v55 offset1:1
.LBB247_13:
	s_or_b64 exec, exec, s[0:1]
	s_load_dword s2, s[4:5], 0x94
	s_waitcnt lgkmcnt(0)
	s_barrier
	ds_read2_b32 v[58:59], v56 offset1:16
	ds_read2_b32 v[60:61], v56 offset0:32 offset1:48
	ds_read2_b32 v[62:63], v56 offset0:64 offset1:80
	s_movk_i32 s8, 0x7fff
	s_mov_b32 s9, 0x7060302
	s_waitcnt lgkmcnt(2)
	v_max3_f32 v55, v58, s40, v59
	s_waitcnt lgkmcnt(1)
	v_max3_f32 v55, v55, v60, v61
	v_sub_f32_e32 v58, v58, v55
	v_mul_f32_e32 v58, 0x3fb8aa3b, v58
	v_exp_f32_e32 v64, v58
	v_sub_f32_e32 v58, v59, v55
	v_mul_f32_e32 v58, 0x3fb8aa3b, v58
	v_exp_f32_e32 v65, v58
	;; [unrolled: 3-line block ×3, first 2 shown]
	ds_read2_b32 v[58:59], v56 offset0:96 offset1:112
	v_sub_f32_e32 v56, v61, v55
	v_mul_f32_e32 v56, 0x3fb8aa3b, v56
	v_exp_f32_e32 v61, v56
	s_waitcnt lgkmcnt(1)
	v_fma_f32 v56, v64, v62, 0
	v_fmac_f32_e32 v56, v65, v63
	s_waitcnt lgkmcnt(0)
	v_fmac_f32_e32 v56, v60, v58
	v_fmac_f32_e32 v56, v61, v59
	v_add_f32_e32 v58, 0x358637bd, v56
	v_div_scale_f32 v59, s[0:1], v58, v58, 1.0
	v_rcp_f32_e32 v62, v59
	s_barrier
	v_fma_f32 v63, -v59, v62, 1.0
	v_fmac_f32_e32 v62, v63, v62
	v_div_scale_f32 v63, vcc, 1.0, v58, 1.0
	v_mul_f32_e32 v66, v63, v62
	v_fma_f32 v67, -v59, v66, v63
	v_fmac_f32_e32 v66, v67, v62
	v_fma_f32 v59, -v59, v66, v63
	v_div_fmas_f32 v59, v59, v62, v66
	v_cmp_eq_u32_e32 vcc, 1, v54
	v_div_fixup_f32 v58, v59, v58, 1.0
	v_cndmask_b32_e32 v59, v64, v65, vcc
	v_cmp_eq_u32_e32 vcc, 2, v54
	v_cndmask_b32_e32 v59, v59, v60, vcc
	v_cmp_eq_u32_e32 vcc, 3, v54
	v_cndmask_b32_e32 v59, v59, v61, vcc
	v_mul_f32_e32 v58, v59, v58
	v_pk_mul_f32 v[36:37], v[58:59], v[36:37] op_sel_hi:[0,1]
	v_pk_mul_f32 v[46:47], v[58:59], v[46:47] op_sel_hi:[0,1]
	v_bfe_u32 v59, v37, 16, 1
	v_bfe_u32 v60, v36, 16, 1
	v_add3_u32 v36, v36, v60, s8
	v_add3_u32 v37, v37, v59, s8
	v_perm_b32 v60, v37, v36, s9
	v_bfe_u32 v36, v47, 16, 1
	v_bfe_u32 v37, v46, 16, 1
	v_add3_u32 v37, v46, v37, s8
	v_add3_u32 v36, v47, v36, s8
	v_perm_b32 v61, v36, v37, s9
	v_lshlrev_b32_e32 v36, 3, v53
	v_lshlrev_b32_e32 v37, 11, v54
	v_pk_mul_f32 v[38:39], v[58:59], v[38:39] op_sel_hi:[0,1]
	v_or3_b32 v36, v37, v57, v36
	v_pk_mul_f32 v[46:47], v[58:59], v[48:49] op_sel_hi:[0,1]
	v_bfe_u32 v37, v39, 16, 1
	v_bfe_u32 v48, v38, 16, 1
	v_add3_u32 v38, v38, v48, s8
	v_add3_u32 v37, v39, v37, s8
	v_perm_b32 v38, v37, v38, s9
	v_bfe_u32 v37, v47, 16, 1
	v_bfe_u32 v39, v46, 16, 1
	v_add3_u32 v39, v46, v39, s8
	v_add3_u32 v37, v47, v37, s8
	v_perm_b32 v39, v37, v39, s9
	v_pk_mul_f32 v[42:43], v[58:59], v[42:43] op_sel_hi:[0,1]
	ds_write2st64_b64 v36, v[60:61], v[38:39] offset1:1
	v_pk_mul_f32 v[38:39], v[58:59], v[44:45] op_sel_hi:[0,1]
	v_bfe_u32 v37, v43, 16, 1
	v_bfe_u32 v44, v42, 16, 1
	v_add3_u32 v42, v42, v44, s8
	v_add3_u32 v37, v43, v37, s8
	v_perm_b32 v42, v37, v42, s9
	v_bfe_u32 v37, v39, 16, 1
	v_bfe_u32 v43, v38, 16, 1
	v_add3_u32 v38, v38, v43, s8
	v_add3_u32 v37, v39, v37, s8
	v_perm_b32 v43, v37, v38, s9
	v_pk_mul_f32 v[38:39], v[58:59], v[40:41] op_sel_hi:[0,1]
	v_bfe_u32 v37, v39, 16, 1
	v_bfe_u32 v40, v38, 16, 1
	v_pk_mul_f32 v[34:35], v[58:59], v[34:35] op_sel_hi:[0,1]
	v_add3_u32 v38, v38, v40, s8
	v_add3_u32 v37, v39, v37, s8
	v_perm_b32 v38, v37, v38, s9
	v_bfe_u32 v37, v35, 16, 1
	v_bfe_u32 v39, v34, 16, 1
	v_add3_u32 v34, v34, v39, s8
	v_add3_u32 v35, v35, v37, s8
	s_lshl_b32 s3, s33, 2
	v_perm_b32 v39, v35, v34, s9
	v_cmp_gt_u32_e32 vcc, 4, v0
	ds_write2st64_b64 v36, v[42:43], v[38:39] offset0:2 offset1:3
	s_and_saveexec_b64 s[0:1], vcc
	s_cbranch_execz .LBB247_15
; %bb.14:
	v_or_b32_e32 v34, s27, v0
	v_mov_b32_e32 v35, 0
	v_mov_b32_e32 v37, s3
	v_mad_u64_u32 v[38:39], s[10:11], s6, v37, v[34:35]
	v_mov_b32_e32 v34, s26
	s_load_dwordx4 s[12:15], s[4:5], 0x58
	s_mul_i32 s7, s7, s3
	v_mad_u64_u32 v[34:35], s[10:11], v38, s2, v[34:35]
	v_add_u32_e32 v37, s7, v39
	v_mov_b32_e32 v38, v35
	v_mad_u64_u32 v[38:39], s[10:11], v37, s2, v[38:39]
	v_mov_b32_e32 v35, v38
	v_lshlrev_b64 v[34:35], 2, v[34:35]
	s_waitcnt lgkmcnt(0)
	v_mov_b32_e32 v37, s15
	v_add_co_u32_e32 v38, vcc, s14, v34
	v_addc_co_u32_e32 v39, vcc, v37, v35, vcc
	v_mov_b32_e32 v37, s13
	v_add_co_u32_e32 v34, vcc, s12, v34
	v_addc_co_u32_e32 v35, vcc, v37, v35, vcc
	global_store_dword v[38:39], v55, off
	global_store_dword v[34:35], v56, off
.LBB247_15:
	s_or_b64 exec, exec, s[0:1]
	v_lshl_or_b32 v34, v53, 9, v57
	s_waitcnt lgkmcnt(0)
	s_barrier
	ds_read_b128 v[38:41], v34
	ds_read_b128 v[42:45], v34 offset:16
	s_waitcnt vmcnt(7) lgkmcnt(1)
	v_mfma_f32_16x16x16bf16_1k v[46:49], v[14:15], v[38:39], 0
	s_mov_b32 s1, 0
	v_mfma_f32_16x16x16bf16_1k v[14:17], v[16:17], v[40:41], v[46:49]
	s_waitcnt vmcnt(6) lgkmcnt(0)
	v_mfma_f32_16x16x16bf16_1k v[14:17], v[10:11], v[42:43], v[14:17]
	v_mfma_f32_16x16x16bf16_1k v[10:13], v[12:13], v[44:45], v[14:17]
	s_nop 7
	s_nop 1
	ds_read_b128 v[14:17], v34 offset:2048
	ds_read_b128 v[38:41], v34 offset:2064
	s_waitcnt vmcnt(5) lgkmcnt(1)
	v_mfma_f32_16x16x16bf16_1k v[10:13], v[6:7], v[14:15], v[10:13]
	v_mfma_f32_16x16x16bf16_1k v[6:9], v[8:9], v[16:17], v[10:13]
	s_waitcnt vmcnt(4) lgkmcnt(0)
	v_mfma_f32_16x16x16bf16_1k v[6:9], v[2:3], v[38:39], v[6:9]
	v_mfma_f32_16x16x16bf16_1k v[2:5], v[4:5], v[40:41], v[6:9]
	s_nop 7
	s_nop 1
	ds_read_b128 v[6:9], v34 offset:4096
	ds_read_b128 v[10:13], v34 offset:4112
	s_waitcnt vmcnt(3) lgkmcnt(1)
	v_mfma_f32_16x16x16bf16_1k v[2:5], v[30:31], v[6:7], v[2:5]
	v_mfma_f32_16x16x16bf16_1k v[2:5], v[32:33], v[8:9], v[2:5]
	s_waitcnt vmcnt(2) lgkmcnt(0)
	v_mfma_f32_16x16x16bf16_1k v[2:5], v[22:23], v[10:11], v[2:5]
	v_mfma_f32_16x16x16bf16_1k v[2:5], v[24:25], v[12:13], v[2:5]
	ds_read_b128 v[6:9], v34 offset:6144
	ds_read_b128 v[10:13], v34 offset:6160
	s_waitcnt lgkmcnt(0)
	s_barrier
	s_waitcnt vmcnt(1)
	v_mfma_f32_16x16x16bf16_1k v[2:5], v[26:27], v[6:7], v[2:5]
	v_mfma_f32_16x16x16bf16_1k v[2:5], v[28:29], v[8:9], v[2:5]
	s_waitcnt vmcnt(0)
	v_mfma_f32_16x16x16bf16_1k v[2:5], v[18:19], v[10:11], v[2:5]
	v_mfma_f32_16x16x16bf16_1k v[2:5], v[20:21], v[12:13], v[2:5]
	s_nop 7
	s_nop 2
	v_bfe_u32 v6, v3, 16, 1
	v_bfe_u32 v7, v2, 16, 1
	;; [unrolled: 1-line block ×4, first 2 shown]
	v_add3_u32 v2, v2, v7, s8
	v_add3_u32 v3, v3, v6, s8
	;; [unrolled: 1-line block ×4, first 2 shown]
	v_perm_b32 v2, v3, v2, s9
	v_perm_b32 v3, v5, v4, s9
	ds_write_b64 v36, v[2:3]
	s_waitcnt lgkmcnt(0)
	s_barrier
	s_and_saveexec_b64 s[8:9], s[44:45]
	s_cbranch_execz .LBB247_17
; %bb.16:
	s_load_dwordx2 s[4:5], s[4:5], 0x68
	s_lshl_b32 s7, s2, 6
	s_mul_i32 s0, s3, s6
	s_mul_hi_u32 s3, s0, s7
	s_mul_i32 s2, s0, s7
	s_lshl_b64 s[2:3], s[2:3], 1
	s_waitcnt lgkmcnt(0)
	s_add_u32 s2, s4, s2
	v_lshlrev_b32_e32 v0, 10, v0
	s_addc_u32 s3, s5, s3
	s_lshl_b32 s0, s26, 6
	v_and_b32_e32 v0, 0x1800, v0
	v_and_b32_e32 v2, 16, v52
	s_lshl_b64 s[0:1], s[0:1], 1
	v_or3_b32 v0, v0, v51, v2
	s_add_u32 s2, s2, s0
	ds_read_b128 v[2:5], v0
	s_addc_u32 s3, s3, s1
	v_mad_u64_u32 v[0:1], s[0:1], s7, v1, 0
	v_lshlrev_b64 v[0:1], 1, v[0:1]
	v_mov_b32_e32 v6, s3
	v_add_co_u32_e32 v0, vcc, s2, v0
	v_addc_co_u32_e32 v1, vcc, v6, v1, vcc
	v_add_co_u32_e32 v0, vcc, v0, v50
	v_addc_co_u32_e32 v1, vcc, 0, v1, vcc
	s_waitcnt lgkmcnt(0)
	global_store_dwordx4 v[0:1], v[2:5], off
.LBB247_17:
	s_endpgm
	.section	.rodata,"a",@progbits
	.p2align	6, 0x0
	.amdhsa_kernel _Z39paged_attention_ll4mi_QKV_mfma16_kernelI14__hip_bfloat16S0_LN4vllm18Fp8KVCacheDataTypeE0ES0_Li16ELi64ELi256ELb0ELi4EL8MFMAType0EEvPKT_PKT0_S9_ifPKiSB_SB_iPKfiiiPfSE_PS4_PT2_iSD_SD_
		.amdhsa_group_segment_fixed_size 8192
		.amdhsa_private_segment_fixed_size 0
		.amdhsa_kernarg_size 400
		.amdhsa_user_sgpr_count 6
		.amdhsa_user_sgpr_private_segment_buffer 1
		.amdhsa_user_sgpr_dispatch_ptr 0
		.amdhsa_user_sgpr_queue_ptr 0
		.amdhsa_user_sgpr_kernarg_segment_ptr 1
		.amdhsa_user_sgpr_dispatch_id 0
		.amdhsa_user_sgpr_flat_scratch_init 0
		.amdhsa_user_sgpr_kernarg_preload_length 0
		.amdhsa_user_sgpr_kernarg_preload_offset 0
		.amdhsa_user_sgpr_private_segment_size 0
		.amdhsa_uses_dynamic_stack 0
		.amdhsa_system_sgpr_private_segment_wavefront_offset 0
		.amdhsa_system_sgpr_workgroup_id_x 1
		.amdhsa_system_sgpr_workgroup_id_y 1
		.amdhsa_system_sgpr_workgroup_id_z 1
		.amdhsa_system_sgpr_workgroup_info 0
		.amdhsa_system_vgpr_workitem_id 0
		.amdhsa_next_free_vgpr 68
		.amdhsa_next_free_sgpr 46
		.amdhsa_accum_offset 68
		.amdhsa_reserve_vcc 1
		.amdhsa_reserve_flat_scratch 0
		.amdhsa_float_round_mode_32 0
		.amdhsa_float_round_mode_16_64 0
		.amdhsa_float_denorm_mode_32 3
		.amdhsa_float_denorm_mode_16_64 3
		.amdhsa_dx10_clamp 1
		.amdhsa_ieee_mode 1
		.amdhsa_fp16_overflow 0
		.amdhsa_tg_split 0
		.amdhsa_exception_fp_ieee_invalid_op 0
		.amdhsa_exception_fp_denorm_src 0
		.amdhsa_exception_fp_ieee_div_zero 0
		.amdhsa_exception_fp_ieee_overflow 0
		.amdhsa_exception_fp_ieee_underflow 0
		.amdhsa_exception_fp_ieee_inexact 0
		.amdhsa_exception_int_div_zero 0
	.end_amdhsa_kernel
	.section	.text._Z39paged_attention_ll4mi_QKV_mfma16_kernelI14__hip_bfloat16S0_LN4vllm18Fp8KVCacheDataTypeE0ES0_Li16ELi64ELi256ELb0ELi4EL8MFMAType0EEvPKT_PKT0_S9_ifPKiSB_SB_iPKfiiiPfSE_PS4_PT2_iSD_SD_,"axG",@progbits,_Z39paged_attention_ll4mi_QKV_mfma16_kernelI14__hip_bfloat16S0_LN4vllm18Fp8KVCacheDataTypeE0ES0_Li16ELi64ELi256ELb0ELi4EL8MFMAType0EEvPKT_PKT0_S9_ifPKiSB_SB_iPKfiiiPfSE_PS4_PT2_iSD_SD_,comdat
.Lfunc_end247:
	.size	_Z39paged_attention_ll4mi_QKV_mfma16_kernelI14__hip_bfloat16S0_LN4vllm18Fp8KVCacheDataTypeE0ES0_Li16ELi64ELi256ELb0ELi4EL8MFMAType0EEvPKT_PKT0_S9_ifPKiSB_SB_iPKfiiiPfSE_PS4_PT2_iSD_SD_, .Lfunc_end247-_Z39paged_attention_ll4mi_QKV_mfma16_kernelI14__hip_bfloat16S0_LN4vllm18Fp8KVCacheDataTypeE0ES0_Li16ELi64ELi256ELb0ELi4EL8MFMAType0EEvPKT_PKT0_S9_ifPKiSB_SB_iPKfiiiPfSE_PS4_PT2_iSD_SD_
                                        ; -- End function
	.section	.AMDGPU.csdata,"",@progbits
; Kernel info:
; codeLenInByte = 4096
; NumSgprs: 50
; NumVgprs: 68
; NumAgprs: 0
; TotalNumVgprs: 68
; ScratchSize: 0
; MemoryBound: 0
; FloatMode: 240
; IeeeMode: 1
; LDSByteSize: 8192 bytes/workgroup (compile time only)
; SGPRBlocks: 6
; VGPRBlocks: 8
; NumSGPRsForWavesPerEU: 50
; NumVGPRsForWavesPerEU: 68
; AccumOffset: 68
; Occupancy: 7
; WaveLimiterHint : 1
; COMPUTE_PGM_RSRC2:SCRATCH_EN: 0
; COMPUTE_PGM_RSRC2:USER_SGPR: 6
; COMPUTE_PGM_RSRC2:TRAP_HANDLER: 0
; COMPUTE_PGM_RSRC2:TGID_X_EN: 1
; COMPUTE_PGM_RSRC2:TGID_Y_EN: 1
; COMPUTE_PGM_RSRC2:TGID_Z_EN: 1
; COMPUTE_PGM_RSRC2:TIDIG_COMP_CNT: 0
; COMPUTE_PGM_RSRC3_GFX90A:ACCUM_OFFSET: 16
; COMPUTE_PGM_RSRC3_GFX90A:TG_SPLIT: 0
	.section	.text._Z38paged_attention_ll4mi_QKV_mfma4_kernelI14__hip_bfloat16S0_LN4vllm18Fp8KVCacheDataTypeE0ES0_Li32ELi64ELi256ELb1ELi1EEvPKT_PKT0_S8_ifPKiSA_SA_iPKfiiiPfSD_PS3_PT2_iSC_SC_,"axG",@progbits,_Z38paged_attention_ll4mi_QKV_mfma4_kernelI14__hip_bfloat16S0_LN4vllm18Fp8KVCacheDataTypeE0ES0_Li32ELi64ELi256ELb1ELi1EEvPKT_PKT0_S8_ifPKiSA_SA_iPKfiiiPfSD_PS3_PT2_iSC_SC_,comdat
	.protected	_Z38paged_attention_ll4mi_QKV_mfma4_kernelI14__hip_bfloat16S0_LN4vllm18Fp8KVCacheDataTypeE0ES0_Li32ELi64ELi256ELb1ELi1EEvPKT_PKT0_S8_ifPKiSA_SA_iPKfiiiPfSD_PS3_PT2_iSC_SC_ ; -- Begin function _Z38paged_attention_ll4mi_QKV_mfma4_kernelI14__hip_bfloat16S0_LN4vllm18Fp8KVCacheDataTypeE0ES0_Li32ELi64ELi256ELb1ELi1EEvPKT_PKT0_S8_ifPKiSA_SA_iPKfiiiPfSD_PS3_PT2_iSC_SC_
	.globl	_Z38paged_attention_ll4mi_QKV_mfma4_kernelI14__hip_bfloat16S0_LN4vllm18Fp8KVCacheDataTypeE0ES0_Li32ELi64ELi256ELb1ELi1EEvPKT_PKT0_S8_ifPKiSA_SA_iPKfiiiPfSD_PS3_PT2_iSC_SC_
	.p2align	8
	.type	_Z38paged_attention_ll4mi_QKV_mfma4_kernelI14__hip_bfloat16S0_LN4vllm18Fp8KVCacheDataTypeE0ES0_Li32ELi64ELi256ELb1ELi1EEvPKT_PKT0_S8_ifPKiSA_SA_iPKfiiiPfSD_PS3_PT2_iSC_SC_,@function
_Z38paged_attention_ll4mi_QKV_mfma4_kernelI14__hip_bfloat16S0_LN4vllm18Fp8KVCacheDataTypeE0ES0_Li32ELi64ELi256ELb1ELi1EEvPKT_PKT0_S8_ifPKiSA_SA_iPKfiiiPfSD_PS3_PT2_iSC_SC_: ; @_Z38paged_attention_ll4mi_QKV_mfma4_kernelI14__hip_bfloat16S0_LN4vllm18Fp8KVCacheDataTypeE0ES0_Li32ELi64ELi256ELb1ELi1EEvPKT_PKT0_S8_ifPKiSA_SA_iPKfiiiPfSD_PS3_PT2_iSC_SC_
; %bb.0:
	s_load_dwordx2 s[2:3], s[4:5], 0x30
	s_mov_b32 s20, s7
	s_mov_b64 s[0:1], 0
	s_waitcnt lgkmcnt(0)
	s_cmp_lg_u64 s[2:3], 0
	s_cselect_b64 s[10:11], -1, 0
	s_and_b64 vcc, exec, s[10:11]
	s_cbranch_vccz .LBB248_10
; %bb.1:
	s_add_i32 s12, s6, 1
	s_mov_b32 s13, 0
	s_lshl_b64 s[14:15], s[12:13], 2
	s_add_u32 s14, s2, s14
	s_mov_b32 s7, s13
	s_addc_u32 s15, s3, s15
	s_lshl_b64 s[12:13], s[6:7], 2
	s_add_u32 s12, s2, s12
	s_addc_u32 s13, s3, s13
	s_load_dword s9, s[14:15], 0x0
	s_load_dword s16, s[12:13], 0x0
	s_waitcnt lgkmcnt(0)
	s_sub_i32 s9, s9, s16
	s_cmp_eq_u32 s9, 1
	s_cselect_b64 s[12:13], -1, 0
	s_andn2_b64 vcc, exec, s[0:1]
	s_cbranch_vccnz .LBB248_3
.LBB248_2:
	s_mov_b32 s7, 0
	s_mov_b64 s[12:13], -1
.LBB248_3:
	s_andn2_b64 vcc, exec, s[12:13]
	s_cbranch_vccnz .LBB248_25
; %bb.4:
	s_load_dword s9, s[4:5], 0x9c
	s_load_dwordx2 s[0:1], s[4:5], 0x28
	s_add_u32 s24, s4, 0x90
	s_addc_u32 s25, s5, 0
	s_lshl_b64 s[16:17], s[6:7], 2
	s_waitcnt lgkmcnt(0)
	s_and_b32 s9, s9, 0xffff
	s_add_u32 s0, s0, s16
	s_addc_u32 s1, s1, s17
	s_load_dword s21, s[0:1], 0x0
	s_mul_i32 s9, s20, s9
	s_waitcnt lgkmcnt(0)
	s_cmp_ge_i32 s9, s21
	s_cbranch_scc1 .LBB248_25
; %bb.5:
	v_and_b32_e32 v2, 0xc0, v0
	v_add_u32_e32 v2, s9, v2
	v_lshrrev_b32_e32 v1, 6, v0
	v_cmp_gt_i32_e64 s[0:1], s21, v2
	v_cmp_le_i32_e32 vcc, s21, v2
                                        ; implicit-def: $sgpr19
                                        ; implicit-def: $sgpr18
	s_and_saveexec_b64 s[12:13], vcc
	s_xor_b64 s[12:13], exec, s[12:13]
	s_cbranch_execz .LBB248_7
; %bb.6:
	v_mul_u32_u24_e32 v2, 20, v1
	v_or_b32_e32 v2, 0xa00, v2
	v_mov_b32_e32 v3, 0xa50
	v_mov_b32_e32 v4, 0xff7fffff
	v_mad_u32_u24 v3, v1, 20, v3
	ds_write2_b32 v2, v4, v4 offset1:1
	v_mov_b32_e32 v2, 0
	ds_write2_b32 v3, v2, v2 offset1:1
	v_mov_b32_e32 v3, 0xa08
	s_mov_b32 s18, 0xff7fffff
	s_mov_b32 s19, 0
	v_mad_u32_u24 v3, v1, 20, v3
	v_mov_b32_e32 v5, 0xa58
	v_mad_u32_u24 v5, v1, 20, v5
	ds_write2_b32 v3, v4, v4 offset1:1
	ds_write2_b32 v5, v2, v2 offset1:1
                                        ; implicit-def: $vgpr2
.LBB248_7:
	s_or_saveexec_b64 s[26:27], s[12:13]
	s_load_dwordx2 s[22:23], s[4:5], 0x68
	s_load_dwordx4 s[12:15], s[4:5], 0x58
	s_load_dword s7, s[24:25], 0x4
	v_and_b32_e32 v44, 63, v0
	v_and_b32_e32 v45, 3, v0
	v_mov_b32_e32 v37, s19
	v_mov_b32_e32 v40, s18
	;; [unrolled: 1-line block ×5, first 2 shown]
                                        ; implicit-def: $vgpr3
                                        ; implicit-def: $vgpr7
                                        ; implicit-def: $vgpr11
                                        ; implicit-def: $vgpr15
                                        ; implicit-def: $vgpr19
                                        ; implicit-def: $vgpr23
                                        ; implicit-def: $vgpr27
                                        ; implicit-def: $vgpr31
	s_xor_b64 exec, exec, s[26:27]
	s_cbranch_execz .LBB248_19
; %bb.8:
	s_add_i32 s29, s21, 31
	s_load_dwordx2 s[18:19], s[4:5], 0x20
	s_load_dword s28, s[4:5], 0x38
	s_ashr_i32 s30, s29, 31
	s_lshr_b32 s30, s30, 27
	v_add_u32_e32 v46, s9, v0
	s_add_i32 s29, s29, s30
	v_ashrrev_i32_e32 v3, 31, v46
	s_ashr_i32 s29, s29, 5
	v_lshrrev_b32_e32 v3, 27, v3
	s_add_i32 s30, s29, -1
	v_add_u32_e32 v3, v46, v3
	s_waitcnt lgkmcnt(0)
	s_mul_i32 s28, s6, s28
	s_mov_b32 s29, 0
	v_ashrrev_i32_e32 v3, 5, v3
	v_mov_b32_e32 v4, s30
	v_cmp_gt_i32_e32 vcc, s21, v46
	s_lshl_b64 s[28:29], s[28:29], 2
	v_cndmask_b32_e32 v4, v4, v3, vcc
	s_add_u32 s18, s18, s28
	v_ashrrev_i32_e32 v5, 31, v4
	s_addc_u32 s19, s19, s29
	v_lshlrev_b64 v[4:5], 2, v[4:5]
	v_mov_b32_e32 v3, s19
	v_add_co_u32_e32 v4, vcc, s18, v4
	v_addc_co_u32_e32 v5, vcc, v3, v5, vcc
	v_ashrrev_i32_e32 v3, 31, v2
	v_lshrrev_b32_e32 v3, 27, v3
	v_add_u32_e32 v2, v2, v3
	v_ashrrev_i32_e32 v8, 5, v2
	v_min_i32_e32 v2, s30, v8
	v_ashrrev_i32_e32 v3, 31, v2
	v_lshlrev_b64 v[2:3], 2, v[2:3]
	v_add_co_u32_e32 v6, vcc, s18, v2
	v_add_u32_e32 v2, 1, v8
	v_mov_b32_e32 v7, s19
	v_min_i32_e32 v2, s30, v2
	v_addc_co_u32_e32 v7, vcc, v7, v3, vcc
	v_ashrrev_i32_e32 v3, 31, v2
	v_lshlrev_b64 v[2:3], 2, v[2:3]
	v_mov_b32_e32 v9, s19
	v_add_co_u32_e32 v8, vcc, s18, v2
	v_addc_co_u32_e32 v9, vcc, v9, v3, vcc
	global_load_dword v2, v[4:5], off
	global_load_dword v14, v[6:7], off
	;; [unrolled: 1-line block ×3, first 2 shown]
	s_load_dwordx2 s[30:31], s[4:5], 0x8
	s_andn2_b64 vcc, exec, s[10:11]
	s_cbranch_vccnz .LBB248_11
; %bb.9:
	s_add_u32 s2, s2, s16
	s_addc_u32 s3, s3, s17
	s_load_dword s9, s[2:3], 0x0
	s_branch .LBB248_12
.LBB248_10:
	s_mov_b64 s[12:13], 0
	s_branch .LBB248_2
.LBB248_11:
	s_mov_b32 s9, s6
.LBB248_12:
	s_load_dwordx2 s[10:11], s[4:5], 0x10
	s_load_dwordx4 s[16:19], s[4:5], 0x48
	v_cmp_eq_u32_e32 vcc, 0, v45
	s_mov_b32 s29, 0
	v_mov_b32_e32 v47, 0
	v_mov_b32_e32 v24, 0
	;; [unrolled: 1-line block ×5, first 2 shown]
	s_and_saveexec_b64 s[2:3], vcc
	s_cbranch_execz .LBB248_14
; %bb.13:
	s_load_dwordx2 s[34:35], s[4:5], 0x0
	s_waitcnt lgkmcnt(0)
	s_ashr_i32 s19, s16, 31
	s_mul_hi_u32 s28, s9, s16
	s_mul_i32 s19, s9, s19
	s_add_i32 s37, s28, s19
	s_mul_i32 s36, s9, s16
	s_lshl_b64 s[36:37], s[36:37], 1
	s_add_u32 s9, s34, s36
	s_addc_u32 s16, s35, s37
	s_lshl_b32 s28, s8, 6
	s_lshl_b64 s[34:35], s[28:29], 1
	s_add_u32 s34, s9, s34
	s_addc_u32 s35, s16, s35
	v_lshlrev_b32_e32 v3, 2, v44
	global_load_dwordx4 v[24:27], v3, s[34:35]
.LBB248_14:
	s_or_b64 exec, exec, s[2:3]
	s_waitcnt lgkmcnt(0)
	s_mul_i32 s28, s8, s18
	s_waitcnt vmcnt(2)
	v_mad_i64_i32 v[2:3], s[2:3], v2, s17, 0
	s_lshl_b64 s[18:19], s[28:29], 1
	s_add_u32 s2, s18, s30
	v_lshlrev_b64 v[2:3], 1, v[2:3]
	s_addc_u32 s3, s19, s31
	v_mov_b32_e32 v4, s3
	v_add_co_u32_e64 v2, s[2:3], s2, v2
	v_addc_co_u32_e64 v3, s[2:3], v4, v3, s[2:3]
	v_and_b32_e32 v4, 31, v0
	v_lshlrev_b32_e32 v4, 4, v4
	v_add_co_u32_e64 v16, s[2:3], v2, v4
	v_addc_co_u32_e64 v17, s[2:3], 0, v3, s[2:3]
	global_load_dwordx4 v[10:13], v[16:17], off
	global_load_dwordx4 v[6:9], v[16:17], off offset:512
	global_load_dwordx4 v[2:5], v[16:17], off offset:1024
	;; [unrolled: 1-line block ×7, first 2 shown]
	v_mov_b32_e32 v48, 0
	s_and_saveexec_b64 s[2:3], vcc
	s_cbranch_execz .LBB248_16
; %bb.15:
	s_load_dwordx2 s[30:31], s[4:5], 0x40
	s_mov_b32 s9, s29
	s_lshl_b64 s[28:29], s[8:9], 2
	v_mov_b32_e32 v47, 1.0
	s_waitcnt lgkmcnt(0)
	s_add_u32 s28, s30, s28
	s_addc_u32 s29, s31, s29
	s_load_dword s9, s[28:29], 0x0
	s_waitcnt lgkmcnt(0)
	v_mov_b32_e32 v48, s9
.LBB248_16:
	s_or_b64 exec, exec, s[2:3]
	s_waitcnt vmcnt(7)
	v_mfma_f32_4x4x4bf16_1k a[0:3], v[24:25], v[10:11], 0 cbsz:4
	s_add_u32 s3, s10, s18
	v_mfma_f32_4x4x4bf16_1k a[0:3], v[26:27], v[12:13], a[0:3] cbsz:4
	v_lshlrev_b32_e32 v15, 6, v44
	s_waitcnt vmcnt(6)
	v_mfma_f32_4x4x4bf16_1k a[0:3], v[24:25], v[6:7], a[0:3] cbsz:4 abid:1
	v_add_co_u32_e32 v49, vcc, s3, v15
	v_mfma_f32_4x4x4bf16_1k a[0:3], v[26:27], v[8:9], a[0:3] cbsz:4 abid:1
	v_mul_hi_i32 v15, v14, s17
	s_waitcnt vmcnt(5)
	v_mfma_f32_4x4x4bf16_1k a[0:3], v[24:25], v[2:3], a[0:3] cbsz:4 abid:2
	v_ashrrev_i32_e32 v15, 31, v15
	v_mfma_f32_4x4x4bf16_1k a[0:3], v[26:27], v[4:5], a[0:3] cbsz:4 abid:2
	s_load_dword s2, s[4:5], 0x1c
	s_waitcnt vmcnt(4)
	v_mfma_f32_4x4x4bf16_1k a[0:3], v[24:25], v[40:41], a[0:3] cbsz:4 abid:3
	s_addc_u32 s4, s11, s19
	v_mfma_f32_4x4x4bf16_1k a[0:3], v[26:27], v[42:43], a[0:3] cbsz:4 abid:3
	v_lshrrev_b32_e32 v50, 29, v15
	s_waitcnt vmcnt(3)
	v_mfma_f32_4x4x4bf16_1k a[0:3], v[24:25], v[36:37], a[0:3] cbsz:4 abid:4
	v_mov_b32_e32 v51, 0
	v_mfma_f32_4x4x4bf16_1k a[0:3], v[26:27], v[38:39], a[0:3] cbsz:4 abid:4
	v_mul_hi_i32 v23, v22, s17
	s_waitcnt vmcnt(2)
	v_mfma_f32_4x4x4bf16_1k a[0:3], v[24:25], v[32:33], a[0:3] cbsz:4 abid:5
	v_mov_b32_e32 v16, s4
	v_mfma_f32_4x4x4bf16_1k a[0:3], v[26:27], v[34:35], a[0:3] cbsz:4 abid:5
	v_mad_i64_i32 v[10:11], s[4:5], v14, s17, v[50:51]
	s_waitcnt vmcnt(1)
	v_mfma_f32_4x4x4bf16_1k a[0:3], v[24:25], v[18:19], a[0:3] cbsz:4 abid:6
	v_ashrrev_i32_e32 v23, 31, v23
	v_mfma_f32_4x4x4bf16_1k a[0:3], v[26:27], v[20:21], a[0:3] cbsz:4 abid:6
	v_lshlrev_b64 v[6:7], 1, v[10:11]
	v_lshrrev_b32_e32 v50, 29, v23
	s_waitcnt vmcnt(0)
	v_mfma_f32_4x4x4bf16_1k a[0:3], v[24:25], v[28:29], a[0:3] cbsz:4 abid:7
	v_addc_co_u32_e32 v54, vcc, 0, v16, vcc
	v_and_b32_e32 v6, -16, v6
	v_mad_i64_i32 v[22:23], s[4:5], v22, s17, v[50:51]
	v_add_co_u32_e32 v52, vcc, v49, v6
	v_lshlrev_b64 v[22:23], 1, v[22:23]
	v_mfma_f32_4x4x4bf16_1k a[0:3], v[26:27], v[30:31], a[0:3] cbsz:4 abid:7
	v_addc_co_u32_e32 v53, vcc, v54, v7, vcc
	v_and_b32_e32 v18, -16, v22
	v_add_co_u32_e32 v34, vcc, v49, v18
	s_nop 1
	v_accvgpr_read_b32 v27, a1
	v_addc_co_u32_e32 v35, vcc, v54, v23, vcc
	v_accvgpr_read_b32 v26, a0
	global_load_dwordx4 v[2:5], v[52:53], off
	global_load_dwordx4 v[6:9], v[52:53], off offset:16
	global_load_dwordx4 v[10:13], v[52:53], off offset:32
	;; [unrolled: 1-line block ×3, first 2 shown]
	global_load_dwordx4 v[18:21], v[34:35], off
	global_load_dwordx4 v[22:25], v[34:35], off offset:16
	s_waitcnt lgkmcnt(0)
	v_pk_mul_f32 v[36:37], s[2:3], v[26:27] op_sel_hi:[0,1]
	global_load_dwordx4 v[26:29], v[34:35], off offset:32
	global_load_dwordx4 v[30:33], v[34:35], off offset:48
	v_accvgpr_read_b32 v35, a3
	v_accvgpr_read_b32 v34, a2
	v_pk_mul_f32 v[34:35], s[2:3], v[34:35] op_sel_hi:[0,1]
	v_mfma_f32_4x4x1f32 a[0:3], v36, v47, 0
	v_cmp_eq_u32_e32 vcc, 1, v45
	v_cndmask_b32_e64 v36, 0, 1.0, vcc
	v_cmp_eq_u32_e32 vcc, 2, v45
	v_mov_b32_e32 v41, 0xff7fffff
	v_mfma_f32_4x4x1f32 a[0:3], v37, v36, a[0:3]
	v_cndmask_b32_e64 v36, 0, 1.0, vcc
	v_cmp_eq_u32_e32 vcc, 3, v45
	s_nop 0
	v_mfma_f32_4x4x1f32 a[0:3], v34, v36, a[0:3]
	v_cndmask_b32_e64 v34, 0, 1.0, vcc
	s_nop 1
	v_mfma_f32_4x4x1f32 a[0:3], v35, v34, a[0:3]
	v_and_b32_e32 v34, -4, v46
	v_subrev_u32_e32 v35, s21, v34
	v_add_u32_e32 v36, 1, v35
	v_cvt_f32_i32_e32 v36, v36
	v_add_u32_e32 v37, 2, v35
	v_cvt_f32_i32_e32 v37, v37
	v_accvgpr_read_b32 v38, a0
	v_fma_f32 v36, v48, v36, v38
	v_accvgpr_read_b32 v38, a1
	v_fma_f32 v37, v48, v37, v38
	v_add_u32_e32 v38, 3, v35
	v_cvt_f32_i32_e32 v38, v38
	v_add_u32_e32 v35, 4, v35
	v_max_f32_e32 v40, 0xff7fffff, v36
	v_cmp_gt_i32_e32 vcc, s21, v34
	v_cvt_f32_i32_e32 v35, v35
	v_cndmask_b32_e32 v40, v41, v40, vcc
	v_or_b32_e32 v41, 1, v34
	v_accvgpr_read_b32 v39, a2
	v_max_f32_e32 v42, v40, v37
	v_cmp_gt_i32_e64 s[2:3], s21, v41
	v_fma_f32 v38, v48, v38, v39
	v_cndmask_b32_e64 v40, v40, v42, s[2:3]
	v_or_b32_e32 v34, 2, v34
	v_accvgpr_read_b32 v39, a3
	v_max_f32_e32 v41, v40, v38
	v_cmp_gt_i32_e64 s[4:5], s21, v34
	v_fmac_f32_e32 v39, v48, v35
	v_cndmask_b32_e64 v34, v40, v41, s[4:5]
	v_or_b32_e32 v40, 3, v46
	v_max_f32_e32 v41, v34, v39
	v_cmp_gt_i32_e64 s[10:11], s21, v40
	v_lshlrev_b32_e32 v35, 2, v0
	v_cndmask_b32_e64 v34, v34, v41, s[10:11]
	v_and_or_b32 v35, v35, 48, v45
	;;#ASMSTART
	v_nop
 v_nop
 v_max_f32_dpp v34, v34, v34 row_ror:4
	;;#ASMEND
	v_lshlrev_b32_e32 v41, 2, v35
	;;#ASMSTART
	v_nop
 v_nop
 v_max_f32_dpp v34, v34, v34 row_ror:8
	;;#ASMEND
	ds_bpermute_b32 v34, v41, v34
	s_waitcnt lgkmcnt(0)
	;;#ASMSTART
	v_nop
 v_nop
 v_max_f32_dpp v34, v34, v34 row_ror:4
	;;#ASMEND
	;;#ASMSTART
	v_nop
 v_nop
 v_max_f32_dpp v40, v34, v34 row_ror:8
	;;#ASMEND
	v_sub_f32_e32 v34, v36, v40
	v_mul_f32_e32 v34, 0x3fb8aa3b, v34
	v_sub_f32_e32 v35, v37, v40
	v_exp_f32_e32 v34, v34
	v_mul_f32_e32 v35, 0x3fb8aa3b, v35
	v_sub_f32_e32 v37, v38, v40
	v_exp_f32_e32 v35, v35
	;; [unrolled: 3-line block ×3, first 2 shown]
	v_mul_f32_e32 v38, 0x3fb8aa3b, v38
	v_exp_f32_e32 v38, v38
	v_cndmask_b32_e32 v34, 0, v34, vcc
	v_add_f32_e32 v36, 0, v34
	v_cndmask_b32_e64 v35, 0, v35, s[2:3]
	v_add_f32_e32 v39, v36, v35
	v_cndmask_b32_e64 v36, 0, v37, s[4:5]
	v_add_f32_e32 v39, v39, v36
	v_cndmask_b32_e64 v37, 0, v38, s[10:11]
	v_add_f32_e32 v38, v39, v37
	;;#ASMSTART
	v_nop
 v_nop
 v_add_f32_dpp v38, v38, v38 row_ror:4
	;;#ASMEND
	;;#ASMSTART
	v_nop
 v_nop
 v_add_f32_dpp v38, v38, v38 row_ror:8
	;;#ASMEND
	ds_bpermute_b32 v38, v41, v38
	s_waitcnt lgkmcnt(0)
	;;#ASMSTART
	v_nop
 v_nop
 v_add_f32_dpp v38, v38, v38 row_ror:4
	;;#ASMEND
	v_cmp_gt_u32_e32 vcc, 4, v44
	;;#ASMSTART
	v_nop
 v_nop
 v_add_f32_dpp v38, v38, v38 row_ror:8
	;;#ASMEND
	s_and_saveexec_b64 s[2:3], vcc
	s_cbranch_execz .LBB248_18
; %bb.17:
	v_mul_u32_u24_e32 v39, 20, v1
	v_lshl_add_u32 v39, v45, 2, v39
	v_add_u32_e32 v39, 0x800, v39
	ds_write2_b32 v39, v40, v38 offset0:128 offset1:148
.LBB248_18:
	s_or_b64 exec, exec, s[2:3]
.LBB248_19:
	s_or_b64 exec, exec, s[26:27]
	s_waitcnt lgkmcnt(0)
	s_barrier
	s_load_dword s2, s[24:25], 0x8
	v_lshlrev_b32_e32 v38, 2, v45
	v_add_u32_e32 v48, 0x800, v38
	ds_read2_b32 v[38:39], v48 offset0:128 offset1:133
	ds_read2_b32 v[42:43], v48 offset0:138 offset1:143
	s_mul_i32 s3, s7, s6
	s_waitcnt lgkmcnt(0)
	s_mul_i32 s2, s3, s2
	s_mov_b32 s3, 0xff7fffff
	v_max3_f32 v41, v38, s3, v39
	v_max3_f32 v41, v41, v42, v43
	v_sub_f32_e32 v38, v38, v41
	ds_read2_b32 v[46:47], v48 offset0:148 offset1:153
	v_mul_f32_e32 v38, 0x3fb8aa3b, v38
	v_sub_f32_e32 v39, v39, v41
	v_sub_f32_e32 v42, v42, v41
	v_exp_f32_e32 v50, v38
	v_mul_f32_e32 v39, 0x3fb8aa3b, v39
	v_mul_f32_e32 v42, 0x3fb8aa3b, v42
	v_exp_f32_e32 v39, v39
	ds_read2_b32 v[48:49], v48 offset0:158 offset1:163
	v_exp_f32_e32 v51, v42
	v_sub_f32_e32 v42, v43, v41
	v_mul_f32_e32 v42, 0x3fb8aa3b, v42
	v_exp_f32_e32 v43, v42
	s_waitcnt lgkmcnt(1)
	v_fma_f32 v42, v50, v46, 0
	v_fmac_f32_e32 v42, v39, v47
	s_waitcnt lgkmcnt(0)
	v_fmac_f32_e32 v42, v51, v48
	v_mov_b32_e32 v38, 0
	v_fmac_f32_e32 v42, v43, v49
	s_mov_b32 s3, 0
	v_cmp_eq_u32_e32 vcc, 0, v45
	s_and_saveexec_b64 s[4:5], vcc
	s_cbranch_execz .LBB248_21
; %bb.20:
	s_lshl_b64 s[10:11], s[2:3], 2
	s_add_u32 s6, s12, s10
	s_mov_b32 s21, s3
	s_addc_u32 s9, s13, s11
	s_lshl_b64 s[12:13], s[20:21], 2
	s_add_u32 s6, s6, s12
	s_addc_u32 s9, s9, s13
	s_add_u32 s10, s14, s10
	s_addc_u32 s11, s15, s11
	s_add_u32 s14, s10, s12
	s_addc_u32 s15, s11, s13
	s_mul_i32 s10, s7, s8
	s_mov_b32 s11, s3
	s_lshl_b64 s[10:11], s[10:11], 2
	s_add_u32 s12, s6, s10
	s_addc_u32 s13, s9, s11
	s_add_u32 s10, s14, s10
	s_addc_u32 s11, s15, s11
	global_store_dword v38, v41, s[10:11]
	global_store_dword v38, v42, s[12:13]
.LBB248_21:
	s_or_b64 exec, exec, s[4:5]
	v_mov_b32_e32 v39, 0
	s_and_saveexec_b64 s[4:5], s[0:1]
	s_cbranch_execz .LBB248_23
; %bb.22:
	v_add_f32_e32 v38, 0x358637bd, v42
	v_div_scale_f32 v39, s[0:1], v38, v38, 1.0
	v_rcp_f32_e32 v42, v39
	v_div_scale_f32 v43, vcc, 1.0, v38, 1.0
	v_sub_f32_e32 v40, v40, v41
	v_fma_f32 v45, -v39, v42, 1.0
	v_fmac_f32_e32 v42, v45, v42
	v_mul_f32_e32 v45, v43, v42
	v_fma_f32 v46, -v39, v45, v43
	v_mul_f32_e32 v40, 0x3fb8aa3b, v40
	v_fmac_f32_e32 v45, v46, v42
	v_exp_f32_e32 v40, v40
	v_fma_f32 v39, -v39, v45, v43
	v_div_fmas_f32 v39, v39, v42, v45
	v_div_fixup_f32 v38, v39, v38, 1.0
	v_mul_f32_e32 v38, v40, v38
	v_pk_mul_f32 v[34:35], v[34:35], v[38:39] op_sel_hi:[1,0]
	v_pk_mul_f32 v[36:37], v[36:37], v[38:39] op_sel_hi:[1,0]
	v_bfe_u32 v38, v35, 16, 1
	v_bfe_u32 v39, v34, 16, 1
	s_movk_i32 s0, 0x7fff
	v_add3_u32 v34, v34, v39, s0
	v_add3_u32 v35, v35, v38, s0
	s_mov_b32 s1, 0x7060302
	v_perm_b32 v34, v35, v34, s1
	v_bfe_u32 v35, v37, 16, 1
	v_bfe_u32 v38, v36, 16, 1
	v_add3_u32 v36, v36, v38, s0
	v_add3_u32 v35, v37, v35, s0
	v_perm_b32 v35, v35, v36, s1
	s_waitcnt vmcnt(7)
	s_nop 0
	v_mfma_f32_4x4x4bf16_1k a[0:3], v[34:35], v[2:3], 0 cbsz:4
	v_mfma_f32_4x4x4bf16_1k a[0:3], v[34:35], v[4:5], a[0:3] cbsz:4 abid:1
	s_waitcnt vmcnt(6)
	v_mfma_f32_4x4x4bf16_1k a[0:3], v[34:35], v[6:7], a[0:3] cbsz:4 abid:2
	v_mfma_f32_4x4x4bf16_1k a[0:3], v[34:35], v[8:9], a[0:3] cbsz:4 abid:3
	s_waitcnt vmcnt(5)
	v_mfma_f32_4x4x4bf16_1k a[0:3], v[34:35], v[10:11], a[0:3] cbsz:4 abid:4
	;; [unrolled: 3-line block ×7, first 2 shown]
	v_mfma_f32_4x4x4bf16_1k a[0:3], v[34:35], v[32:33], a[0:3] cbsz:4 abid:15
	s_nop 4
	v_accvgpr_read_b32 v5, a1
	v_accvgpr_read_b32 v2, a2
	;; [unrolled: 1-line block ×4, first 2 shown]
	v_bfe_u32 v6, v5, 16, 1
	v_bfe_u32 v7, v4, 16, 1
	;; [unrolled: 1-line block ×3, first 2 shown]
	v_add3_u32 v5, v5, v6, s0
	v_bfe_u32 v6, v2, 16, 1
	v_add3_u32 v4, v4, v7, s0
	v_add3_u32 v2, v2, v6, s0
	;; [unrolled: 1-line block ×3, first 2 shown]
	v_perm_b32 v39, v3, v2, s1
	v_perm_b32 v38, v5, v4, s1
.LBB248_23:
	s_or_b64 exec, exec, s[4:5]
	v_lshlrev_b32_e32 v1, 3, v1
	v_mad_u32_u24 v1, v44, 40, v1
	v_cmp_gt_u32_e32 vcc, 64, v0
	ds_write_b64 v1, v[38:39]
	s_waitcnt lgkmcnt(0)
	s_barrier
	s_and_saveexec_b64 s[0:1], vcc
	s_cbranch_execz .LBB248_25
; %bb.24:
	s_lshl_b32 s0, s2, 6
	s_mov_b32 s1, 0
	s_lshl_b64 s[2:3], s[0:1], 1
	s_add_u32 s2, s22, s2
	s_addc_u32 s3, s23, s3
	s_lshl_b32 s0, s20, 6
	s_lshl_b64 s[0:1], s[0:1], 1
	s_add_u32 s0, s2, s0
	s_mul_i32 s2, s8, s7
	v_lshl_or_b32 v0, s2, 6, v0
	v_mov_b32_e32 v1, 0
	s_waitcnt vmcnt(6)
	v_mul_u32_u24_e32 v7, 40, v44
	v_lshlrev_b64 v[4:5], 1, v[0:1]
	ds_read2_b64 v[0:3], v7 offset1:1
	s_addc_u32 s1, s3, s1
	v_mov_b32_e32 v6, s1
	v_add_co_u32_e32 v8, vcc, s0, v4
	v_addc_co_u32_e32 v9, vcc, v6, v5, vcc
	ds_read2_b64 v[4:7], v7 offset0:2 offset1:3
	s_waitcnt lgkmcnt(1)
	v_lshlrev_b32_e32 v0, 16, v0
	v_add_f32_e32 v0, 0, v0
	v_and_b32_e32 v0, 0xffff0000, v0
	v_lshlrev_b32_e32 v1, 16, v2
	v_add_f32_e32 v0, v0, v1
	v_and_b32_e32 v0, 0xffff0000, v0
	s_waitcnt lgkmcnt(0)
	v_lshlrev_b32_e32 v1, 16, v4
	v_add_f32_e32 v0, v0, v1
	v_and_b32_e32 v0, 0xffff0000, v0
	v_lshlrev_b32_e32 v1, 16, v6
	v_add_f32_e32 v0, v0, v1
	global_store_short_d16_hi v[8:9], v0, off
.LBB248_25:
	s_endpgm
	.section	.rodata,"a",@progbits
	.p2align	6, 0x0
	.amdhsa_kernel _Z38paged_attention_ll4mi_QKV_mfma4_kernelI14__hip_bfloat16S0_LN4vllm18Fp8KVCacheDataTypeE0ES0_Li32ELi64ELi256ELb1ELi1EEvPKT_PKT0_S8_ifPKiSA_SA_iPKfiiiPfSD_PS3_PT2_iSC_SC_
		.amdhsa_group_segment_fixed_size 2720
		.amdhsa_private_segment_fixed_size 0
		.amdhsa_kernarg_size 400
		.amdhsa_user_sgpr_count 6
		.amdhsa_user_sgpr_private_segment_buffer 1
		.amdhsa_user_sgpr_dispatch_ptr 0
		.amdhsa_user_sgpr_queue_ptr 0
		.amdhsa_user_sgpr_kernarg_segment_ptr 1
		.amdhsa_user_sgpr_dispatch_id 0
		.amdhsa_user_sgpr_flat_scratch_init 0
		.amdhsa_user_sgpr_kernarg_preload_length 0
		.amdhsa_user_sgpr_kernarg_preload_offset 0
		.amdhsa_user_sgpr_private_segment_size 0
		.amdhsa_uses_dynamic_stack 0
		.amdhsa_system_sgpr_private_segment_wavefront_offset 0
		.amdhsa_system_sgpr_workgroup_id_x 1
		.amdhsa_system_sgpr_workgroup_id_y 1
		.amdhsa_system_sgpr_workgroup_id_z 1
		.amdhsa_system_sgpr_workgroup_info 0
		.amdhsa_system_vgpr_workitem_id 0
		.amdhsa_next_free_vgpr 60
		.amdhsa_next_free_sgpr 38
		.amdhsa_accum_offset 56
		.amdhsa_reserve_vcc 1
		.amdhsa_reserve_flat_scratch 0
		.amdhsa_float_round_mode_32 0
		.amdhsa_float_round_mode_16_64 0
		.amdhsa_float_denorm_mode_32 3
		.amdhsa_float_denorm_mode_16_64 3
		.amdhsa_dx10_clamp 1
		.amdhsa_ieee_mode 1
		.amdhsa_fp16_overflow 0
		.amdhsa_tg_split 0
		.amdhsa_exception_fp_ieee_invalid_op 0
		.amdhsa_exception_fp_denorm_src 0
		.amdhsa_exception_fp_ieee_div_zero 0
		.amdhsa_exception_fp_ieee_overflow 0
		.amdhsa_exception_fp_ieee_underflow 0
		.amdhsa_exception_fp_ieee_inexact 0
		.amdhsa_exception_int_div_zero 0
	.end_amdhsa_kernel
	.section	.text._Z38paged_attention_ll4mi_QKV_mfma4_kernelI14__hip_bfloat16S0_LN4vllm18Fp8KVCacheDataTypeE0ES0_Li32ELi64ELi256ELb1ELi1EEvPKT_PKT0_S8_ifPKiSA_SA_iPKfiiiPfSD_PS3_PT2_iSC_SC_,"axG",@progbits,_Z38paged_attention_ll4mi_QKV_mfma4_kernelI14__hip_bfloat16S0_LN4vllm18Fp8KVCacheDataTypeE0ES0_Li32ELi64ELi256ELb1ELi1EEvPKT_PKT0_S8_ifPKiSA_SA_iPKfiiiPfSD_PS3_PT2_iSC_SC_,comdat
.Lfunc_end248:
	.size	_Z38paged_attention_ll4mi_QKV_mfma4_kernelI14__hip_bfloat16S0_LN4vllm18Fp8KVCacheDataTypeE0ES0_Li32ELi64ELi256ELb1ELi1EEvPKT_PKT0_S8_ifPKiSA_SA_iPKfiiiPfSD_PS3_PT2_iSC_SC_, .Lfunc_end248-_Z38paged_attention_ll4mi_QKV_mfma4_kernelI14__hip_bfloat16S0_LN4vllm18Fp8KVCacheDataTypeE0ES0_Li32ELi64ELi256ELb1ELi1EEvPKT_PKT0_S8_ifPKiSA_SA_iPKfiiiPfSD_PS3_PT2_iSC_SC_
                                        ; -- End function
	.section	.AMDGPU.csdata,"",@progbits
; Kernel info:
; codeLenInByte = 3112
; NumSgprs: 42
; NumVgprs: 55
; NumAgprs: 4
; TotalNumVgprs: 60
; ScratchSize: 0
; MemoryBound: 0
; FloatMode: 240
; IeeeMode: 1
; LDSByteSize: 2720 bytes/workgroup (compile time only)
; SGPRBlocks: 5
; VGPRBlocks: 7
; NumSGPRsForWavesPerEU: 42
; NumVGPRsForWavesPerEU: 60
; AccumOffset: 56
; Occupancy: 8
; WaveLimiterHint : 1
; COMPUTE_PGM_RSRC2:SCRATCH_EN: 0
; COMPUTE_PGM_RSRC2:USER_SGPR: 6
; COMPUTE_PGM_RSRC2:TRAP_HANDLER: 0
; COMPUTE_PGM_RSRC2:TGID_X_EN: 1
; COMPUTE_PGM_RSRC2:TGID_Y_EN: 1
; COMPUTE_PGM_RSRC2:TGID_Z_EN: 1
; COMPUTE_PGM_RSRC2:TIDIG_COMP_CNT: 0
; COMPUTE_PGM_RSRC3_GFX90A:ACCUM_OFFSET: 13
; COMPUTE_PGM_RSRC3_GFX90A:TG_SPLIT: 0
	.section	.text._Z38paged_attention_ll4mi_QKV_mfma4_kernelI14__hip_bfloat16S0_LN4vllm18Fp8KVCacheDataTypeE0ES0_Li32ELi64ELi256ELb1ELi2EEvPKT_PKT0_S8_ifPKiSA_SA_iPKfiiiPfSD_PS3_PT2_iSC_SC_,"axG",@progbits,_Z38paged_attention_ll4mi_QKV_mfma4_kernelI14__hip_bfloat16S0_LN4vllm18Fp8KVCacheDataTypeE0ES0_Li32ELi64ELi256ELb1ELi2EEvPKT_PKT0_S8_ifPKiSA_SA_iPKfiiiPfSD_PS3_PT2_iSC_SC_,comdat
	.protected	_Z38paged_attention_ll4mi_QKV_mfma4_kernelI14__hip_bfloat16S0_LN4vllm18Fp8KVCacheDataTypeE0ES0_Li32ELi64ELi256ELb1ELi2EEvPKT_PKT0_S8_ifPKiSA_SA_iPKfiiiPfSD_PS3_PT2_iSC_SC_ ; -- Begin function _Z38paged_attention_ll4mi_QKV_mfma4_kernelI14__hip_bfloat16S0_LN4vllm18Fp8KVCacheDataTypeE0ES0_Li32ELi64ELi256ELb1ELi2EEvPKT_PKT0_S8_ifPKiSA_SA_iPKfiiiPfSD_PS3_PT2_iSC_SC_
	.globl	_Z38paged_attention_ll4mi_QKV_mfma4_kernelI14__hip_bfloat16S0_LN4vllm18Fp8KVCacheDataTypeE0ES0_Li32ELi64ELi256ELb1ELi2EEvPKT_PKT0_S8_ifPKiSA_SA_iPKfiiiPfSD_PS3_PT2_iSC_SC_
	.p2align	8
	.type	_Z38paged_attention_ll4mi_QKV_mfma4_kernelI14__hip_bfloat16S0_LN4vllm18Fp8KVCacheDataTypeE0ES0_Li32ELi64ELi256ELb1ELi2EEvPKT_PKT0_S8_ifPKiSA_SA_iPKfiiiPfSD_PS3_PT2_iSC_SC_,@function
_Z38paged_attention_ll4mi_QKV_mfma4_kernelI14__hip_bfloat16S0_LN4vllm18Fp8KVCacheDataTypeE0ES0_Li32ELi64ELi256ELb1ELi2EEvPKT_PKT0_S8_ifPKiSA_SA_iPKfiiiPfSD_PS3_PT2_iSC_SC_: ; @_Z38paged_attention_ll4mi_QKV_mfma4_kernelI14__hip_bfloat16S0_LN4vllm18Fp8KVCacheDataTypeE0ES0_Li32ELi64ELi256ELb1ELi2EEvPKT_PKT0_S8_ifPKiSA_SA_iPKfiiiPfSD_PS3_PT2_iSC_SC_
; %bb.0:
	s_load_dwordx2 s[2:3], s[4:5], 0x30
	s_mov_b32 s10, s7
	s_mov_b64 s[0:1], 0
	s_waitcnt lgkmcnt(0)
	s_cmp_lg_u64 s[2:3], 0
	s_cselect_b64 s[16:17], -1, 0
	s_and_b64 vcc, exec, s[16:17]
	s_cbranch_vccz .LBB249_10
; %bb.1:
	s_add_i32 s12, s6, 1
	s_mov_b32 s13, 0
	s_lshl_b64 s[14:15], s[12:13], 2
	s_add_u32 s14, s2, s14
	s_mov_b32 s7, s13
	s_addc_u32 s15, s3, s15
	s_lshl_b64 s[12:13], s[6:7], 2
	s_add_u32 s12, s2, s12
	s_addc_u32 s13, s3, s13
	s_load_dword s9, s[14:15], 0x0
	s_load_dword s11, s[12:13], 0x0
	s_waitcnt lgkmcnt(0)
	s_sub_i32 s9, s9, s11
	s_cmp_eq_u32 s9, 1
	s_cselect_b64 s[12:13], -1, 0
	s_andn2_b64 vcc, exec, s[0:1]
	s_cbranch_vccnz .LBB249_3
.LBB249_2:
	s_mov_b32 s7, 0
	s_mov_b64 s[12:13], -1
.LBB249_3:
	s_andn2_b64 vcc, exec, s[12:13]
	s_cbranch_vccnz .LBB249_25
; %bb.4:
	s_load_dword s9, s[4:5], 0x9c
	s_load_dwordx2 s[0:1], s[4:5], 0x28
	s_add_u32 s22, s4, 0x90
	s_addc_u32 s23, s5, 0
	s_lshl_b64 s[18:19], s[6:7], 2
	s_waitcnt lgkmcnt(0)
	s_and_b32 s9, s9, 0xffff
	s_add_u32 s0, s0, s18
	s_addc_u32 s1, s1, s19
	s_load_dword s11, s[0:1], 0x0
	s_mul_i32 s9, s10, s9
	s_waitcnt lgkmcnt(0)
	s_cmp_ge_i32 s9, s11
	s_cbranch_scc1 .LBB249_25
; %bb.5:
	v_and_b32_e32 v2, 0xc0, v0
	v_add_u32_e32 v2, s9, v2
	v_lshrrev_b32_e32 v1, 6, v0
	v_cmp_gt_i32_e64 s[0:1], s11, v2
	v_cmp_le_i32_e32 vcc, s11, v2
                                        ; implicit-def: $sgpr27
                                        ; implicit-def: $sgpr26
	s_and_saveexec_b64 s[12:13], vcc
	s_xor_b64 s[12:13], exec, s[12:13]
	s_cbranch_execz .LBB249_7
; %bb.6:
	v_mul_u32_u24_e32 v2, 20, v1
	v_or_b32_e32 v2, 0xa00, v2
	v_mov_b32_e32 v3, 0xa50
	v_mov_b32_e32 v4, 0xff7fffff
	v_mad_u32_u24 v3, v1, 20, v3
	ds_write2_b32 v2, v4, v4 offset1:1
	v_mov_b32_e32 v2, 0
	ds_write2_b32 v3, v2, v2 offset1:1
	v_mov_b32_e32 v3, 0xa08
	s_mov_b32 s26, 0xff7fffff
	s_mov_b32 s27, 0
	v_mad_u32_u24 v3, v1, 20, v3
	v_mov_b32_e32 v5, 0xa58
	v_mad_u32_u24 v5, v1, 20, v5
	ds_write2_b32 v3, v4, v4 offset1:1
	ds_write2_b32 v5, v2, v2 offset1:1
                                        ; implicit-def: $vgpr2
.LBB249_7:
	s_or_saveexec_b64 s[24:25], s[12:13]
	s_load_dwordx2 s[20:21], s[4:5], 0x68
	s_load_dwordx4 s[12:15], s[4:5], 0x58
	s_load_dword s33, s[22:23], 0x4
	v_and_b32_e32 v44, 63, v0
	v_and_b32_e32 v45, 3, v0
	s_lshl_b32 s7, s8, 1
	v_mov_b32_e32 v37, s27
	v_mov_b32_e32 v40, s26
	;; [unrolled: 1-line block ×5, first 2 shown]
                                        ; implicit-def: $vgpr3
                                        ; implicit-def: $vgpr7
                                        ; implicit-def: $vgpr11
                                        ; implicit-def: $vgpr15
                                        ; implicit-def: $vgpr19
                                        ; implicit-def: $vgpr23
                                        ; implicit-def: $vgpr27
                                        ; implicit-def: $vgpr31
	s_xor_b64 exec, exec, s[24:25]
	s_cbranch_execz .LBB249_19
; %bb.8:
	s_add_i32 s29, s11, 31
	s_load_dwordx2 s[26:27], s[4:5], 0x20
	s_load_dword s28, s[4:5], 0x38
	s_ashr_i32 s30, s29, 31
	s_lshr_b32 s30, s30, 27
	v_add_u32_e32 v46, s9, v0
	s_add_i32 s29, s29, s30
	v_ashrrev_i32_e32 v3, 31, v46
	s_ashr_i32 s29, s29, 5
	v_lshrrev_b32_e32 v3, 27, v3
	s_add_i32 s30, s29, -1
	v_add_u32_e32 v3, v46, v3
	s_waitcnt lgkmcnt(0)
	s_mul_i32 s28, s6, s28
	s_mov_b32 s29, 0
	v_ashrrev_i32_e32 v3, 5, v3
	v_mov_b32_e32 v4, s30
	v_cmp_gt_i32_e32 vcc, s11, v46
	s_lshl_b64 s[28:29], s[28:29], 2
	v_cndmask_b32_e32 v4, v4, v3, vcc
	s_add_u32 s26, s26, s28
	v_ashrrev_i32_e32 v5, 31, v4
	s_addc_u32 s27, s27, s29
	v_lshlrev_b64 v[4:5], 2, v[4:5]
	v_mov_b32_e32 v3, s27
	v_add_co_u32_e32 v4, vcc, s26, v4
	v_addc_co_u32_e32 v5, vcc, v3, v5, vcc
	v_ashrrev_i32_e32 v3, 31, v2
	v_lshrrev_b32_e32 v3, 27, v3
	v_add_u32_e32 v2, v2, v3
	v_ashrrev_i32_e32 v6, 5, v2
	v_min_i32_e32 v2, s30, v6
	v_ashrrev_i32_e32 v3, 31, v2
	v_lshlrev_b64 v[2:3], 2, v[2:3]
	v_add_co_u32_e32 v8, vcc, s26, v2
	v_add_u32_e32 v2, 1, v6
	v_mov_b32_e32 v7, s27
	v_min_i32_e32 v2, s30, v2
	v_addc_co_u32_e32 v9, vcc, v7, v3, vcc
	v_ashrrev_i32_e32 v3, 31, v2
	v_lshlrev_b64 v[2:3], 2, v[2:3]
	v_mov_b32_e32 v6, s27
	v_add_co_u32_e32 v10, vcc, s26, v2
	v_addc_co_u32_e32 v11, vcc, v6, v3, vcc
	global_load_dword v2, v[4:5], off
	global_load_dword v6, v[8:9], off
	;; [unrolled: 1-line block ×3, first 2 shown]
	s_load_dwordx2 s[28:29], s[4:5], 0x8
	s_andn2_b64 vcc, exec, s[16:17]
	s_cbranch_vccnz .LBB249_11
; %bb.9:
	s_add_u32 s2, s2, s18
	s_addc_u32 s3, s3, s19
	s_load_dword s2, s[2:3], 0x0
	s_branch .LBB249_12
.LBB249_10:
	s_mov_b64 s[12:13], 0
	s_branch .LBB249_2
.LBB249_11:
	s_mov_b32 s2, s6
.LBB249_12:
	s_load_dwordx2 s[26:27], s[4:5], 0x10
	s_load_dwordx4 s[16:19], s[4:5], 0x48
	v_cmp_gt_u32_e32 vcc, 2, v45
	s_mov_b32 s3, 0
	v_mov_b32_e32 v47, 0
	v_mov_b32_e32 v32, 0
	;; [unrolled: 1-line block ×5, first 2 shown]
	s_and_saveexec_b64 s[30:31], vcc
	s_cbranch_execz .LBB249_14
; %bb.13:
	s_load_dwordx2 s[34:35], s[4:5], 0x0
	s_waitcnt lgkmcnt(0)
	s_ashr_i32 s9, s16, 31
	s_mul_hi_u32 s19, s2, s16
	s_mul_i32 s9, s2, s9
	s_add_i32 s37, s19, s9
	s_mul_i32 s36, s2, s16
	s_lshl_b64 s[36:37], s[36:37], 1
	s_add_u32 s9, s34, s36
	s_addc_u32 s16, s35, s37
	s_lshl_b32 s2, s8, 7
	s_lshl_b64 s[34:35], s[2:3], 1
	s_add_u32 s34, s9, s34
	v_lshlrev_b32_e32 v3, 3, v45
	v_lshrrev_b32_e32 v4, 2, v44
	s_addc_u32 s35, s16, s35
	v_add_lshl_u32 v3, v3, v4, 4
	global_load_dwordx4 v[32:35], v3, s[34:35]
.LBB249_14:
	s_or_b64 exec, exec, s[30:31]
	s_waitcnt lgkmcnt(0)
	s_mul_i32 s2, s8, s18
	s_lshl_b64 s[8:9], s[2:3], 1
	s_waitcnt vmcnt(2)
	v_mad_i64_i32 v[2:3], s[30:31], v2, s17, 0
	s_add_u32 s2, s8, s28
	v_lshlrev_b64 v[2:3], 1, v[2:3]
	s_addc_u32 s3, s9, s29
	v_mov_b32_e32 v4, s3
	v_add_co_u32_e64 v2, s[2:3], s2, v2
	v_addc_co_u32_e64 v3, s[2:3], v4, v3, s[2:3]
	v_and_b32_e32 v4, 31, v0
	v_lshlrev_b32_e32 v4, 4, v4
	v_add_co_u32_e64 v16, s[2:3], v2, v4
	v_addc_co_u32_e64 v17, s[2:3], 0, v3, s[2:3]
	global_load_dwordx4 v[12:15], v[16:17], off
	global_load_dwordx4 v[2:5], v[16:17], off offset:512
	global_load_dwordx4 v[8:11], v[16:17], off offset:1024
	;; [unrolled: 1-line block ×7, first 2 shown]
	s_and_saveexec_b64 s[2:3], vcc
	s_cbranch_execz .LBB249_16
; %bb.15:
	s_load_dwordx2 s[18:19], s[4:5], 0x40
	v_or_b32_e32 v16, s7, v45
	v_mov_b32_e32 v17, 0
	v_lshlrev_b64 v[16:17], 2, v[16:17]
	s_waitcnt lgkmcnt(0)
	v_mov_b32_e32 v7, s19
	v_add_co_u32_e32 v16, vcc, s18, v16
	v_addc_co_u32_e32 v17, vcc, v7, v17, vcc
	global_load_dword v47, v[16:17], off
.LBB249_16:
	s_or_b64 exec, exec, s[2:3]
	s_waitcnt vmcnt(7)
	v_mfma_f32_4x4x4bf16_1k a[0:3], v[32:33], v[12:13], 0 cbsz:4
	s_add_u32 s3, s26, s8
	v_mfma_f32_4x4x4bf16_1k a[0:3], v[34:35], v[14:15], a[0:3] cbsz:4
	v_lshlrev_b32_e32 v7, 6, v44
	s_waitcnt vmcnt(6)
	v_mfma_f32_4x4x4bf16_1k a[0:3], v[32:33], v[2:3], a[0:3] cbsz:4 abid:1
	v_add_co_u32_e32 v31, vcc, s3, v7
	v_mfma_f32_4x4x4bf16_1k a[0:3], v[34:35], v[4:5], a[0:3] cbsz:4 abid:1
	v_mul_hi_i32 v7, v6, s17
	s_waitcnt vmcnt(5)
	v_mfma_f32_4x4x4bf16_1k a[0:3], v[32:33], v[8:9], a[0:3] cbsz:4 abid:2
	v_ashrrev_i32_e32 v7, 31, v7
	v_mfma_f32_4x4x4bf16_1k a[0:3], v[34:35], v[10:11], a[0:3] cbsz:4 abid:2
	s_load_dword s2, s[4:5], 0x1c
	s_waitcnt vmcnt(4)
	v_mfma_f32_4x4x4bf16_1k a[0:3], v[32:33], v[40:41], a[0:3] cbsz:4 abid:3
	s_addc_u32 s4, s27, s9
	v_mfma_f32_4x4x4bf16_1k a[0:3], v[34:35], v[42:43], a[0:3] cbsz:4 abid:3
	v_lshrrev_b32_e32 v48, 29, v7
	s_waitcnt vmcnt(3)
	v_mfma_f32_4x4x4bf16_1k a[0:3], v[32:33], v[26:27], a[0:3] cbsz:4 abid:4
	v_mov_b32_e32 v49, 0
	v_mfma_f32_4x4x4bf16_1k a[0:3], v[34:35], v[28:29], a[0:3] cbsz:4 abid:4
	v_mul_hi_i32 v40, v30, s17
	s_waitcnt vmcnt(2)
	v_mfma_f32_4x4x4bf16_1k a[0:3], v[32:33], v[22:23], a[0:3] cbsz:4 abid:5
	v_mov_b32_e32 v16, s4
	v_mad_i64_i32 v[6:7], s[4:5], v6, s17, v[48:49]
	v_ashrrev_i32_e32 v40, 31, v40
	v_lshlrev_b64 v[6:7], 1, v[6:7]
	v_lshrrev_b32_e32 v48, 29, v40
	v_mfma_f32_4x4x4bf16_1k a[0:3], v[34:35], v[24:25], a[0:3] cbsz:4 abid:5
	v_addc_co_u32_e32 v52, vcc, 0, v16, vcc
	v_and_b32_e32 v2, -16, v6
	v_mad_i64_i32 v[26:27], s[4:5], v30, s17, v[48:49]
	v_add_co_u32_e32 v50, vcc, v31, v2
	v_lshlrev_b64 v[22:23], 1, v[26:27]
	s_waitcnt vmcnt(1)
	v_mfma_f32_4x4x4bf16_1k a[0:3], v[32:33], v[18:19], a[0:3] cbsz:4 abid:6
	v_addc_co_u32_e32 v51, vcc, v52, v7, vcc
	v_and_b32_e32 v22, -16, v22
	v_add_co_u32_e32 v40, vcc, v31, v22
	v_mfma_f32_4x4x4bf16_1k a[0:3], v[34:35], v[20:21], a[0:3] cbsz:4 abid:6
	v_addc_co_u32_e32 v41, vcc, v52, v23, vcc
	global_load_dwordx4 v[2:5], v[50:51], off
	global_load_dwordx4 v[6:9], v[50:51], off offset:16
	global_load_dwordx4 v[10:13], v[50:51], off offset:32
	;; [unrolled: 1-line block ×3, first 2 shown]
	global_load_dwordx4 v[18:21], v[40:41], off
	global_load_dwordx4 v[22:25], v[40:41], off offset:16
	s_waitcnt vmcnt(6)
	v_mfma_f32_4x4x4bf16_1k a[0:3], v[32:33], v[36:37], a[0:3] cbsz:4 abid:7
	global_load_dwordx4 v[26:29], v[40:41], off offset:32
	global_load_dwordx4 v[30:33], v[40:41], off offset:48
	v_mfma_f32_4x4x4bf16_1k a[0:3], v[34:35], v[38:39], a[0:3] cbsz:4 abid:7
	v_cmp_eq_u32_e32 vcc, 0, v45
	v_cndmask_b32_e64 v38, 0, 1.0, vcc
	v_cmp_eq_u32_e32 vcc, 1, v45
	v_mov_b32_e32 v41, 0xff7fffff
	s_nop 0
	v_accvgpr_read_b32 v37, a1
	v_accvgpr_read_b32 v36, a0
	s_waitcnt lgkmcnt(0)
	v_pk_mul_f32 v[36:37], s[2:3], v[36:37] op_sel_hi:[0,1]
	v_accvgpr_read_b32 v35, a3
	v_accvgpr_read_b32 v34, a2
	v_pk_mul_f32 v[34:35], s[2:3], v[34:35] op_sel_hi:[0,1]
	v_mfma_f32_4x4x1f32 a[0:3], v36, v38, 0
	v_cndmask_b32_e64 v36, 0, 1.0, vcc
	v_cmp_eq_u32_e32 vcc, 2, v45
	s_nop 0
	v_mfma_f32_4x4x1f32 a[0:3], v37, v36, a[0:3]
	v_cndmask_b32_e64 v36, 0, 1.0, vcc
	v_cmp_eq_u32_e32 vcc, 3, v45
	s_nop 0
	v_mfma_f32_4x4x1f32 a[0:3], v34, v36, a[0:3]
	v_cndmask_b32_e64 v34, 0, 1.0, vcc
	s_nop 1
	v_mfma_f32_4x4x1f32 a[0:3], v35, v34, a[0:3]
	v_and_b32_e32 v34, -4, v46
	v_subrev_u32_e32 v35, s11, v34
	v_add_u32_e32 v36, 1, v35
	v_cvt_f32_i32_e32 v36, v36
	v_add_u32_e32 v37, 2, v35
	v_cvt_f32_i32_e32 v37, v37
	v_accvgpr_read_b32 v38, a0
	v_fma_f32 v36, v47, v36, v38
	v_accvgpr_read_b32 v38, a1
	v_fma_f32 v37, v47, v37, v38
	v_add_u32_e32 v38, 3, v35
	v_cvt_f32_i32_e32 v38, v38
	v_add_u32_e32 v35, 4, v35
	v_max_f32_e32 v40, 0xff7fffff, v36
	v_cmp_gt_i32_e32 vcc, s11, v34
	v_cvt_f32_i32_e32 v35, v35
	v_cndmask_b32_e32 v40, v41, v40, vcc
	v_or_b32_e32 v41, 1, v34
	v_accvgpr_read_b32 v39, a2
	v_max_f32_e32 v42, v40, v37
	v_cmp_gt_i32_e64 s[2:3], s11, v41
	v_fma_f32 v38, v47, v38, v39
	v_cndmask_b32_e64 v40, v40, v42, s[2:3]
	v_or_b32_e32 v34, 2, v34
	v_accvgpr_read_b32 v39, a3
	v_max_f32_e32 v41, v40, v38
	v_cmp_gt_i32_e64 s[4:5], s11, v34
	v_fmac_f32_e32 v39, v47, v35
	v_cndmask_b32_e64 v34, v40, v41, s[4:5]
	v_or_b32_e32 v40, 3, v46
	v_max_f32_e32 v41, v34, v39
	v_cmp_gt_i32_e64 s[8:9], s11, v40
	v_lshlrev_b32_e32 v35, 2, v0
	v_cndmask_b32_e64 v34, v34, v41, s[8:9]
	v_and_or_b32 v35, v35, 48, v45
	;;#ASMSTART
	v_nop
 v_nop
 v_max_f32_dpp v34, v34, v34 row_ror:4
	;;#ASMEND
	v_lshlrev_b32_e32 v41, 2, v35
	;;#ASMSTART
	v_nop
 v_nop
 v_max_f32_dpp v34, v34, v34 row_ror:8
	;;#ASMEND
	ds_bpermute_b32 v34, v41, v34
	s_waitcnt lgkmcnt(0)
	;;#ASMSTART
	v_nop
 v_nop
 v_max_f32_dpp v34, v34, v34 row_ror:4
	;;#ASMEND
	;;#ASMSTART
	v_nop
 v_nop
 v_max_f32_dpp v40, v34, v34 row_ror:8
	;;#ASMEND
	v_sub_f32_e32 v34, v36, v40
	v_mul_f32_e32 v34, 0x3fb8aa3b, v34
	v_sub_f32_e32 v35, v37, v40
	v_exp_f32_e32 v34, v34
	v_mul_f32_e32 v35, 0x3fb8aa3b, v35
	v_sub_f32_e32 v37, v38, v40
	v_exp_f32_e32 v35, v35
	;; [unrolled: 3-line block ×3, first 2 shown]
	v_mul_f32_e32 v38, 0x3fb8aa3b, v38
	v_exp_f32_e32 v38, v38
	v_cndmask_b32_e32 v34, 0, v34, vcc
	v_add_f32_e32 v36, 0, v34
	v_cndmask_b32_e64 v35, 0, v35, s[2:3]
	v_add_f32_e32 v39, v36, v35
	v_cndmask_b32_e64 v36, 0, v37, s[4:5]
	;; [unrolled: 2-line block ×3, first 2 shown]
	v_add_f32_e32 v38, v39, v37
	;;#ASMSTART
	v_nop
 v_nop
 v_add_f32_dpp v38, v38, v38 row_ror:4
	;;#ASMEND
	;;#ASMSTART
	v_nop
 v_nop
 v_add_f32_dpp v38, v38, v38 row_ror:8
	;;#ASMEND
	ds_bpermute_b32 v38, v41, v38
	s_waitcnt lgkmcnt(0)
	;;#ASMSTART
	v_nop
 v_nop
 v_add_f32_dpp v38, v38, v38 row_ror:4
	;;#ASMEND
	v_cmp_gt_u32_e32 vcc, 4, v44
	;;#ASMSTART
	v_nop
 v_nop
 v_add_f32_dpp v38, v38, v38 row_ror:8
	;;#ASMEND
	s_and_saveexec_b64 s[2:3], vcc
	s_cbranch_execz .LBB249_18
; %bb.17:
	v_mul_u32_u24_e32 v39, 20, v1
	v_lshl_add_u32 v39, v45, 2, v39
	v_add_u32_e32 v39, 0x800, v39
	ds_write2_b32 v39, v40, v38 offset0:128 offset1:148
.LBB249_18:
	s_or_b64 exec, exec, s[2:3]
.LBB249_19:
	s_or_b64 exec, exec, s[24:25]
	s_waitcnt lgkmcnt(0)
	s_barrier
	s_load_dword s2, s[22:23], 0x8
	v_lshlrev_b32_e32 v38, 2, v45
	v_add_u32_e32 v48, 0x800, v38
	ds_read2_b32 v[38:39], v48 offset0:128 offset1:133
	ds_read2_b32 v[42:43], v48 offset0:138 offset1:143
	s_mul_i32 s3, s6, s33
	s_waitcnt lgkmcnt(0)
	s_mul_i32 s3, s3, s2
	s_lshl_b32 s2, s3, 1
	s_mov_b32 s3, 0xff7fffff
	v_max3_f32 v41, v38, s3, v39
	v_max3_f32 v41, v41, v42, v43
	v_sub_f32_e32 v38, v38, v41
	v_mul_f32_e32 v38, 0x3fb8aa3b, v38
	ds_read2_b32 v[46:47], v48 offset0:148 offset1:153
	v_exp_f32_e32 v49, v38
	v_sub_f32_e32 v38, v39, v41
	v_sub_f32_e32 v42, v42, v41
	v_mul_f32_e32 v38, 0x3fb8aa3b, v38
	v_mul_f32_e32 v42, 0x3fb8aa3b, v42
	v_exp_f32_e32 v50, v38
	ds_read2_b32 v[38:39], v48 offset0:158 offset1:163
	v_exp_f32_e32 v48, v42
	v_sub_f32_e32 v42, v43, v41
	v_mul_f32_e32 v42, 0x3fb8aa3b, v42
	v_exp_f32_e32 v43, v42
	s_waitcnt lgkmcnt(1)
	v_fma_f32 v42, v49, v46, 0
	v_fmac_f32_e32 v42, v50, v47
	s_waitcnt lgkmcnt(0)
	v_fmac_f32_e32 v42, v48, v38
	v_fmac_f32_e32 v42, v43, v39
	v_cmp_gt_u32_e32 vcc, 2, v45
	s_and_saveexec_b64 s[4:5], vcc
	s_cbranch_execz .LBB249_21
; %bb.20:
	s_mov_b32 s3, 0
	s_lshl_b64 s[8:9], s[2:3], 2
	s_add_u32 s6, s12, s8
	s_mov_b32 s11, s3
	s_addc_u32 s16, s13, s9
	s_lshl_b64 s[12:13], s[10:11], 2
	s_add_u32 s3, s6, s12
	s_addc_u32 s6, s16, s13
	v_or_b32_e32 v38, s7, v45
	s_add_u32 s8, s14, s8
	v_mul_lo_u32 v38, s33, v38
	v_mov_b32_e32 v39, 0
	s_addc_u32 s9, s15, s9
	v_lshlrev_b64 v[38:39], 2, v[38:39]
	s_add_u32 s8, s8, s12
	v_mov_b32_e32 v43, s6
	v_add_co_u32_e32 v46, vcc, s3, v38
	s_addc_u32 s9, s9, s13
	v_addc_co_u32_e32 v47, vcc, v43, v39, vcc
	v_mov_b32_e32 v43, s9
	v_add_co_u32_e32 v38, vcc, s8, v38
	v_addc_co_u32_e32 v39, vcc, v43, v39, vcc
	global_store_dword v[38:39], v41, off
	global_store_dword v[46:47], v42, off
.LBB249_21:
	s_or_b64 exec, exec, s[4:5]
	v_mov_b32_e32 v38, 0
	v_mov_b32_e32 v39, 0
	s_and_saveexec_b64 s[4:5], s[0:1]
	s_cbranch_execz .LBB249_23
; %bb.22:
	v_add_f32_e32 v38, 0x358637bd, v42
	v_div_scale_f32 v39, s[0:1], v38, v38, 1.0
	v_rcp_f32_e32 v42, v39
	v_div_scale_f32 v43, vcc, 1.0, v38, 1.0
	v_sub_f32_e32 v40, v40, v41
	v_fma_f32 v45, -v39, v42, 1.0
	v_fmac_f32_e32 v42, v45, v42
	v_mul_f32_e32 v45, v43, v42
	v_fma_f32 v46, -v39, v45, v43
	v_mul_f32_e32 v40, 0x3fb8aa3b, v40
	v_fmac_f32_e32 v45, v46, v42
	v_exp_f32_e32 v40, v40
	v_fma_f32 v39, -v39, v45, v43
	v_div_fmas_f32 v39, v39, v42, v45
	v_div_fixup_f32 v38, v39, v38, 1.0
	v_mul_f32_e32 v38, v40, v38
	v_pk_mul_f32 v[34:35], v[34:35], v[38:39] op_sel_hi:[1,0]
	v_pk_mul_f32 v[36:37], v[36:37], v[38:39] op_sel_hi:[1,0]
	v_bfe_u32 v38, v35, 16, 1
	v_bfe_u32 v39, v34, 16, 1
	s_movk_i32 s0, 0x7fff
	v_add3_u32 v34, v34, v39, s0
	v_add3_u32 v35, v35, v38, s0
	s_mov_b32 s1, 0x7060302
	v_perm_b32 v34, v35, v34, s1
	v_bfe_u32 v35, v37, 16, 1
	v_bfe_u32 v38, v36, 16, 1
	v_add3_u32 v36, v36, v38, s0
	v_add3_u32 v35, v37, v35, s0
	v_perm_b32 v35, v35, v36, s1
	s_waitcnt vmcnt(7)
	s_nop 0
	v_mfma_f32_4x4x4bf16_1k a[0:3], v[34:35], v[2:3], 0 cbsz:4
	v_mfma_f32_4x4x4bf16_1k a[0:3], v[34:35], v[4:5], a[0:3] cbsz:4 abid:1
	s_waitcnt vmcnt(6)
	v_mfma_f32_4x4x4bf16_1k a[0:3], v[34:35], v[6:7], a[0:3] cbsz:4 abid:2
	v_mfma_f32_4x4x4bf16_1k a[0:3], v[34:35], v[8:9], a[0:3] cbsz:4 abid:3
	s_waitcnt vmcnt(5)
	v_mfma_f32_4x4x4bf16_1k a[0:3], v[34:35], v[10:11], a[0:3] cbsz:4 abid:4
	;; [unrolled: 3-line block ×7, first 2 shown]
	v_mfma_f32_4x4x4bf16_1k a[0:3], v[34:35], v[32:33], a[0:3] cbsz:4 abid:15
	s_nop 4
	v_accvgpr_read_b32 v5, a1
	v_accvgpr_read_b32 v2, a2
	;; [unrolled: 1-line block ×4, first 2 shown]
	v_bfe_u32 v6, v5, 16, 1
	v_bfe_u32 v7, v4, 16, 1
	v_bfe_u32 v8, v3, 16, 1
	v_add3_u32 v5, v5, v6, s0
	v_bfe_u32 v6, v2, 16, 1
	v_add3_u32 v4, v4, v7, s0
	v_add3_u32 v2, v2, v6, s0
	v_add3_u32 v3, v3, v8, s0
	v_perm_b32 v39, v3, v2, s1
	v_perm_b32 v38, v5, v4, s1
.LBB249_23:
	s_or_b64 exec, exec, s[4:5]
	v_lshlrev_b32_e32 v1, 3, v1
	v_mad_u32_u24 v1, v44, 40, v1
	v_cmp_gt_u32_e32 vcc, 64, v0
	ds_write_b64 v1, v[38:39]
	s_waitcnt lgkmcnt(0)
	s_barrier
	s_and_saveexec_b64 s[0:1], vcc
	s_cbranch_execz .LBB249_25
; %bb.24:
	v_mul_u32_u24_e32 v1, 40, v44
	s_waitcnt vmcnt(7)
	ds_read2_b64 v[2:5], v1 offset1:1
	s_waitcnt vmcnt(6)
	ds_read2_b64 v[6:9], v1 offset0:2 offset1:3
	s_mov_b32 s1, 0
	s_lshl_b32 s0, s2, 6
	s_lshl_b64 s[2:3], s[0:1], 1
	s_waitcnt lgkmcnt(1)
	v_and_b32_e32 v1, 0xffff0000, v2
	v_add_f32_e32 v1, 0, v1
	v_and_b32_e32 v3, 0xffff0000, v4
	v_and_b32_e32 v1, 0xffff0000, v1
	v_add_f32_e32 v1, v1, v3
	s_waitcnt lgkmcnt(0)
	v_and_b32_e32 v5, 0xffff0000, v6
	v_and_b32_e32 v1, 0xffff0000, v1
	v_add_f32_e32 v1, v1, v5
	v_and_b32_e32 v1, 0xffff0000, v1
	v_and_b32_e32 v3, 0xffff0000, v8
	v_add_f32_e32 v7, v1, v3
	v_lshlrev_b32_e32 v1, 16, v2
	s_add_u32 s2, s20, s2
	v_add_f32_e32 v1, 0, v1
	s_addc_u32 s3, s21, s3
	s_lshl_b32 s0, s10, 6
	v_and_b32_e32 v1, 0xffff0000, v1
	v_lshlrev_b32_e32 v2, 16, v4
	s_lshl_b64 s[0:1], s[0:1], 1
	v_add_f32_e32 v1, v1, v2
	s_add_u32 s0, s2, s0
	v_and_b32_e32 v1, 0xffff0000, v1
	v_lshlrev_b32_e32 v2, 16, v6
	s_addc_u32 s1, s3, s1
	s_lshl_b32 s2, s33, 6
	v_add_f32_e32 v1, v1, v2
	v_and_b32_e32 v1, 0xffff0000, v1
	v_lshlrev_b32_e32 v2, 16, v8
	s_mul_i32 s3, s2, s7
	v_add_f32_e32 v1, v1, v2
	v_or_b32_e32 v2, s3, v0
	v_mov_b32_e32 v3, 0
	v_lshlrev_b64 v[4:5], 1, v[2:3]
	v_mov_b32_e32 v2, s1
	v_add_co_u32_e32 v4, vcc, s0, v4
	s_add_i32 s3, s3, s2
	v_addc_co_u32_e32 v5, vcc, v2, v5, vcc
	v_or_b32_e32 v2, s3, v0
	global_store_short_d16_hi v[4:5], v1, off
	v_lshlrev_b64 v[0:1], 1, v[2:3]
	v_mov_b32_e32 v2, s1
	v_add_co_u32_e32 v0, vcc, s0, v0
	v_addc_co_u32_e32 v1, vcc, v2, v1, vcc
	global_store_short_d16_hi v[0:1], v7, off
.LBB249_25:
	s_endpgm
	.section	.rodata,"a",@progbits
	.p2align	6, 0x0
	.amdhsa_kernel _Z38paged_attention_ll4mi_QKV_mfma4_kernelI14__hip_bfloat16S0_LN4vllm18Fp8KVCacheDataTypeE0ES0_Li32ELi64ELi256ELb1ELi2EEvPKT_PKT0_S8_ifPKiSA_SA_iPKfiiiPfSD_PS3_PT2_iSC_SC_
		.amdhsa_group_segment_fixed_size 2720
		.amdhsa_private_segment_fixed_size 0
		.amdhsa_kernarg_size 400
		.amdhsa_user_sgpr_count 6
		.amdhsa_user_sgpr_private_segment_buffer 1
		.amdhsa_user_sgpr_dispatch_ptr 0
		.amdhsa_user_sgpr_queue_ptr 0
		.amdhsa_user_sgpr_kernarg_segment_ptr 1
		.amdhsa_user_sgpr_dispatch_id 0
		.amdhsa_user_sgpr_flat_scratch_init 0
		.amdhsa_user_sgpr_kernarg_preload_length 0
		.amdhsa_user_sgpr_kernarg_preload_offset 0
		.amdhsa_user_sgpr_private_segment_size 0
		.amdhsa_uses_dynamic_stack 0
		.amdhsa_system_sgpr_private_segment_wavefront_offset 0
		.amdhsa_system_sgpr_workgroup_id_x 1
		.amdhsa_system_sgpr_workgroup_id_y 1
		.amdhsa_system_sgpr_workgroup_id_z 1
		.amdhsa_system_sgpr_workgroup_info 0
		.amdhsa_system_vgpr_workitem_id 0
		.amdhsa_next_free_vgpr 60
		.amdhsa_next_free_sgpr 38
		.amdhsa_accum_offset 56
		.amdhsa_reserve_vcc 1
		.amdhsa_reserve_flat_scratch 0
		.amdhsa_float_round_mode_32 0
		.amdhsa_float_round_mode_16_64 0
		.amdhsa_float_denorm_mode_32 3
		.amdhsa_float_denorm_mode_16_64 3
		.amdhsa_dx10_clamp 1
		.amdhsa_ieee_mode 1
		.amdhsa_fp16_overflow 0
		.amdhsa_tg_split 0
		.amdhsa_exception_fp_ieee_invalid_op 0
		.amdhsa_exception_fp_denorm_src 0
		.amdhsa_exception_fp_ieee_div_zero 0
		.amdhsa_exception_fp_ieee_overflow 0
		.amdhsa_exception_fp_ieee_underflow 0
		.amdhsa_exception_fp_ieee_inexact 0
		.amdhsa_exception_int_div_zero 0
	.end_amdhsa_kernel
	.section	.text._Z38paged_attention_ll4mi_QKV_mfma4_kernelI14__hip_bfloat16S0_LN4vllm18Fp8KVCacheDataTypeE0ES0_Li32ELi64ELi256ELb1ELi2EEvPKT_PKT0_S8_ifPKiSA_SA_iPKfiiiPfSD_PS3_PT2_iSC_SC_,"axG",@progbits,_Z38paged_attention_ll4mi_QKV_mfma4_kernelI14__hip_bfloat16S0_LN4vllm18Fp8KVCacheDataTypeE0ES0_Li32ELi64ELi256ELb1ELi2EEvPKT_PKT0_S8_ifPKiSA_SA_iPKfiiiPfSD_PS3_PT2_iSC_SC_,comdat
.Lfunc_end249:
	.size	_Z38paged_attention_ll4mi_QKV_mfma4_kernelI14__hip_bfloat16S0_LN4vllm18Fp8KVCacheDataTypeE0ES0_Li32ELi64ELi256ELb1ELi2EEvPKT_PKT0_S8_ifPKiSA_SA_iPKfiiiPfSD_PS3_PT2_iSC_SC_, .Lfunc_end249-_Z38paged_attention_ll4mi_QKV_mfma4_kernelI14__hip_bfloat16S0_LN4vllm18Fp8KVCacheDataTypeE0ES0_Li32ELi64ELi256ELb1ELi2EEvPKT_PKT0_S8_ifPKiSA_SA_iPKfiiiPfSD_PS3_PT2_iSC_SC_
                                        ; -- End function
	.section	.AMDGPU.csdata,"",@progbits
; Kernel info:
; codeLenInByte = 3276
; NumSgprs: 42
; NumVgprs: 53
; NumAgprs: 4
; TotalNumVgprs: 60
; ScratchSize: 0
; MemoryBound: 0
; FloatMode: 240
; IeeeMode: 1
; LDSByteSize: 2720 bytes/workgroup (compile time only)
; SGPRBlocks: 5
; VGPRBlocks: 7
; NumSGPRsForWavesPerEU: 42
; NumVGPRsForWavesPerEU: 60
; AccumOffset: 56
; Occupancy: 8
; WaveLimiterHint : 1
; COMPUTE_PGM_RSRC2:SCRATCH_EN: 0
; COMPUTE_PGM_RSRC2:USER_SGPR: 6
; COMPUTE_PGM_RSRC2:TRAP_HANDLER: 0
; COMPUTE_PGM_RSRC2:TGID_X_EN: 1
; COMPUTE_PGM_RSRC2:TGID_Y_EN: 1
; COMPUTE_PGM_RSRC2:TGID_Z_EN: 1
; COMPUTE_PGM_RSRC2:TIDIG_COMP_CNT: 0
; COMPUTE_PGM_RSRC3_GFX90A:ACCUM_OFFSET: 13
; COMPUTE_PGM_RSRC3_GFX90A:TG_SPLIT: 0
	.section	.text._Z38paged_attention_ll4mi_QKV_mfma4_kernelI14__hip_bfloat16S0_LN4vllm18Fp8KVCacheDataTypeE0ES0_Li32ELi64ELi256ELb1ELi3EEvPKT_PKT0_S8_ifPKiSA_SA_iPKfiiiPfSD_PS3_PT2_iSC_SC_,"axG",@progbits,_Z38paged_attention_ll4mi_QKV_mfma4_kernelI14__hip_bfloat16S0_LN4vllm18Fp8KVCacheDataTypeE0ES0_Li32ELi64ELi256ELb1ELi3EEvPKT_PKT0_S8_ifPKiSA_SA_iPKfiiiPfSD_PS3_PT2_iSC_SC_,comdat
	.protected	_Z38paged_attention_ll4mi_QKV_mfma4_kernelI14__hip_bfloat16S0_LN4vllm18Fp8KVCacheDataTypeE0ES0_Li32ELi64ELi256ELb1ELi3EEvPKT_PKT0_S8_ifPKiSA_SA_iPKfiiiPfSD_PS3_PT2_iSC_SC_ ; -- Begin function _Z38paged_attention_ll4mi_QKV_mfma4_kernelI14__hip_bfloat16S0_LN4vllm18Fp8KVCacheDataTypeE0ES0_Li32ELi64ELi256ELb1ELi3EEvPKT_PKT0_S8_ifPKiSA_SA_iPKfiiiPfSD_PS3_PT2_iSC_SC_
	.globl	_Z38paged_attention_ll4mi_QKV_mfma4_kernelI14__hip_bfloat16S0_LN4vllm18Fp8KVCacheDataTypeE0ES0_Li32ELi64ELi256ELb1ELi3EEvPKT_PKT0_S8_ifPKiSA_SA_iPKfiiiPfSD_PS3_PT2_iSC_SC_
	.p2align	8
	.type	_Z38paged_attention_ll4mi_QKV_mfma4_kernelI14__hip_bfloat16S0_LN4vllm18Fp8KVCacheDataTypeE0ES0_Li32ELi64ELi256ELb1ELi3EEvPKT_PKT0_S8_ifPKiSA_SA_iPKfiiiPfSD_PS3_PT2_iSC_SC_,@function
_Z38paged_attention_ll4mi_QKV_mfma4_kernelI14__hip_bfloat16S0_LN4vllm18Fp8KVCacheDataTypeE0ES0_Li32ELi64ELi256ELb1ELi3EEvPKT_PKT0_S8_ifPKiSA_SA_iPKfiiiPfSD_PS3_PT2_iSC_SC_: ; @_Z38paged_attention_ll4mi_QKV_mfma4_kernelI14__hip_bfloat16S0_LN4vllm18Fp8KVCacheDataTypeE0ES0_Li32ELi64ELi256ELb1ELi3EEvPKT_PKT0_S8_ifPKiSA_SA_iPKfiiiPfSD_PS3_PT2_iSC_SC_
; %bb.0:
	s_load_dwordx2 s[2:3], s[4:5], 0x30
	s_mov_b32 s10, s7
	s_mov_b64 s[0:1], 0
	s_waitcnt lgkmcnt(0)
	s_cmp_lg_u64 s[2:3], 0
	s_cselect_b64 s[16:17], -1, 0
	s_and_b64 vcc, exec, s[16:17]
	s_cbranch_vccz .LBB250_10
; %bb.1:
	s_add_i32 s12, s6, 1
	s_mov_b32 s13, 0
	s_lshl_b64 s[14:15], s[12:13], 2
	s_add_u32 s14, s2, s14
	s_mov_b32 s7, s13
	s_addc_u32 s15, s3, s15
	s_lshl_b64 s[12:13], s[6:7], 2
	s_add_u32 s12, s2, s12
	s_addc_u32 s13, s3, s13
	s_load_dword s9, s[14:15], 0x0
	s_load_dword s11, s[12:13], 0x0
	s_waitcnt lgkmcnt(0)
	s_sub_i32 s9, s9, s11
	s_cmp_eq_u32 s9, 1
	s_cselect_b64 s[12:13], -1, 0
	s_andn2_b64 vcc, exec, s[0:1]
	s_cbranch_vccnz .LBB250_3
.LBB250_2:
	s_mov_b32 s7, 0
	s_mov_b64 s[12:13], -1
.LBB250_3:
	s_andn2_b64 vcc, exec, s[12:13]
	s_cbranch_vccnz .LBB250_25
; %bb.4:
	s_load_dword s9, s[4:5], 0x9c
	s_load_dwordx2 s[0:1], s[4:5], 0x28
	s_add_u32 s22, s4, 0x90
	s_addc_u32 s23, s5, 0
	s_lshl_b64 s[18:19], s[6:7], 2
	s_waitcnt lgkmcnt(0)
	s_and_b32 s9, s9, 0xffff
	s_add_u32 s0, s0, s18
	s_addc_u32 s1, s1, s19
	s_load_dword s11, s[0:1], 0x0
	s_mul_i32 s9, s10, s9
	s_waitcnt lgkmcnt(0)
	s_cmp_ge_i32 s9, s11
	s_cbranch_scc1 .LBB250_25
; %bb.5:
	v_and_b32_e32 v2, 0xc0, v0
	v_add_u32_e32 v2, s9, v2
	v_lshrrev_b32_e32 v1, 6, v0
	v_cmp_gt_i32_e64 s[0:1], s11, v2
	v_cmp_le_i32_e32 vcc, s11, v2
                                        ; implicit-def: $sgpr27
                                        ; implicit-def: $sgpr26
	s_and_saveexec_b64 s[12:13], vcc
	s_xor_b64 s[12:13], exec, s[12:13]
	s_cbranch_execz .LBB250_7
; %bb.6:
	v_mul_u32_u24_e32 v2, 20, v1
	v_or_b32_e32 v2, 0xa00, v2
	v_mov_b32_e32 v3, 0xa50
	v_mov_b32_e32 v4, 0xff7fffff
	v_mad_u32_u24 v3, v1, 20, v3
	ds_write2_b32 v2, v4, v4 offset1:1
	v_mov_b32_e32 v2, 0
	ds_write2_b32 v3, v2, v2 offset1:1
	v_mov_b32_e32 v3, 0xa08
	s_mov_b32 s26, 0xff7fffff
	s_mov_b32 s27, 0
	v_mad_u32_u24 v3, v1, 20, v3
	v_mov_b32_e32 v5, 0xa58
	v_mad_u32_u24 v5, v1, 20, v5
	ds_write2_b32 v3, v4, v4 offset1:1
	ds_write2_b32 v5, v2, v2 offset1:1
                                        ; implicit-def: $vgpr2
.LBB250_7:
	s_or_saveexec_b64 s[24:25], s[12:13]
	s_load_dwordx2 s[20:21], s[4:5], 0x68
	s_load_dwordx4 s[12:15], s[4:5], 0x58
	s_load_dword s33, s[22:23], 0x4
	v_and_b32_e32 v46, 63, v0
	v_and_b32_e32 v47, 3, v0
	s_mul_i32 s7, s8, 3
	v_mov_b32_e32 v37, s27
	v_mov_b32_e32 v40, s26
	;; [unrolled: 1-line block ×5, first 2 shown]
                                        ; implicit-def: $vgpr3
                                        ; implicit-def: $vgpr7
                                        ; implicit-def: $vgpr11
                                        ; implicit-def: $vgpr15
                                        ; implicit-def: $vgpr19
                                        ; implicit-def: $vgpr23
                                        ; implicit-def: $vgpr27
                                        ; implicit-def: $vgpr31
	s_xor_b64 exec, exec, s[24:25]
	s_cbranch_execz .LBB250_19
; %bb.8:
	s_add_i32 s29, s11, 31
	s_load_dwordx2 s[26:27], s[4:5], 0x20
	s_load_dword s28, s[4:5], 0x38
	s_ashr_i32 s30, s29, 31
	s_lshr_b32 s30, s30, 27
	v_add_u32_e32 v48, s9, v0
	s_add_i32 s29, s29, s30
	v_ashrrev_i32_e32 v3, 31, v48
	s_ashr_i32 s29, s29, 5
	v_lshrrev_b32_e32 v3, 27, v3
	s_add_i32 s30, s29, -1
	v_add_u32_e32 v3, v48, v3
	s_waitcnt lgkmcnt(0)
	s_mul_i32 s28, s6, s28
	s_mov_b32 s29, 0
	v_ashrrev_i32_e32 v3, 5, v3
	v_mov_b32_e32 v4, s30
	v_cmp_gt_i32_e32 vcc, s11, v48
	s_lshl_b64 s[28:29], s[28:29], 2
	v_cndmask_b32_e32 v4, v4, v3, vcc
	s_add_u32 s26, s26, s28
	v_ashrrev_i32_e32 v5, 31, v4
	s_addc_u32 s27, s27, s29
	v_lshlrev_b64 v[4:5], 2, v[4:5]
	v_mov_b32_e32 v3, s27
	v_add_co_u32_e32 v4, vcc, s26, v4
	v_addc_co_u32_e32 v5, vcc, v3, v5, vcc
	v_ashrrev_i32_e32 v3, 31, v2
	v_lshrrev_b32_e32 v3, 27, v3
	v_add_u32_e32 v2, v2, v3
	v_ashrrev_i32_e32 v8, 5, v2
	v_min_i32_e32 v2, s30, v8
	v_ashrrev_i32_e32 v3, 31, v2
	v_lshlrev_b64 v[2:3], 2, v[2:3]
	v_add_co_u32_e32 v6, vcc, s26, v2
	v_add_u32_e32 v2, 1, v8
	v_mov_b32_e32 v7, s27
	v_min_i32_e32 v2, s30, v2
	v_addc_co_u32_e32 v7, vcc, v7, v3, vcc
	v_ashrrev_i32_e32 v3, 31, v2
	v_lshlrev_b64 v[2:3], 2, v[2:3]
	v_mov_b32_e32 v9, s27
	v_add_co_u32_e32 v8, vcc, s26, v2
	v_addc_co_u32_e32 v9, vcc, v9, v3, vcc
	global_load_dword v2, v[4:5], off
	global_load_dword v14, v[6:7], off
	;; [unrolled: 1-line block ×3, first 2 shown]
	s_load_dwordx2 s[28:29], s[4:5], 0x8
	s_andn2_b64 vcc, exec, s[16:17]
	s_cbranch_vccnz .LBB250_11
; %bb.9:
	s_add_u32 s2, s2, s18
	s_addc_u32 s3, s3, s19
	s_load_dword s2, s[2:3], 0x0
	s_branch .LBB250_12
.LBB250_10:
	s_mov_b64 s[12:13], 0
	s_branch .LBB250_2
.LBB250_11:
	s_mov_b32 s2, s6
.LBB250_12:
	s_load_dwordx2 s[26:27], s[4:5], 0x10
	s_load_dwordx4 s[16:19], s[4:5], 0x48
	v_cmp_ne_u32_e32 vcc, 3, v47
	s_mov_b32 s3, 0
	v_mov_b32_e32 v44, 0
	v_mov_b32_e32 v24, 0
	;; [unrolled: 1-line block ×5, first 2 shown]
	s_and_saveexec_b64 s[30:31], vcc
	s_cbranch_execz .LBB250_14
; %bb.13:
	s_load_dwordx2 s[34:35], s[4:5], 0x0
	s_waitcnt lgkmcnt(0)
	s_ashr_i32 s9, s16, 31
	s_mul_hi_u32 s19, s2, s16
	s_mul_i32 s9, s2, s9
	s_add_i32 s37, s19, s9
	s_mul_i32 s36, s2, s16
	s_lshl_b64 s[36:37], s[36:37], 1
	s_add_u32 s9, s34, s36
	s_mul_i32 s2, s8, 0xc0
	s_addc_u32 s16, s35, s37
	s_lshl_b64 s[34:35], s[2:3], 1
	s_add_u32 s34, s9, s34
	v_lshlrev_b32_e32 v3, 3, v47
	v_lshrrev_b32_e32 v4, 2, v46
	s_addc_u32 s35, s16, s35
	v_add_lshl_u32 v3, v3, v4, 4
	global_load_dwordx4 v[24:27], v3, s[34:35]
.LBB250_14:
	s_or_b64 exec, exec, s[30:31]
	s_waitcnt lgkmcnt(0)
	s_mul_i32 s2, s8, s18
	s_lshl_b64 s[8:9], s[2:3], 1
	s_waitcnt vmcnt(2)
	v_mad_i64_i32 v[2:3], s[30:31], v2, s17, 0
	s_add_u32 s2, s8, s28
	v_lshlrev_b64 v[2:3], 1, v[2:3]
	s_addc_u32 s3, s9, s29
	v_mov_b32_e32 v4, s3
	v_add_co_u32_e64 v2, s[2:3], s2, v2
	v_addc_co_u32_e64 v3, s[2:3], v4, v3, s[2:3]
	v_and_b32_e32 v4, 31, v0
	v_lshlrev_b32_e32 v4, 4, v4
	v_add_co_u32_e64 v16, s[2:3], v2, v4
	v_addc_co_u32_e64 v17, s[2:3], 0, v3, s[2:3]
	global_load_dwordx4 v[10:13], v[16:17], off
	global_load_dwordx4 v[6:9], v[16:17], off offset:512
	global_load_dwordx4 v[2:5], v[16:17], off offset:1024
	;; [unrolled: 1-line block ×7, first 2 shown]
	v_mov_b32_e32 v45, 1.0
	s_and_saveexec_b64 s[2:3], vcc
	s_cbranch_execz .LBB250_16
; %bb.15:
	s_load_dwordx2 s[18:19], s[4:5], 0x40
	v_add_u32_e32 v44, s7, v47
	v_mov_b32_e32 v45, 0
	v_lshlrev_b64 v[16:17], 2, v[44:45]
	s_waitcnt lgkmcnt(0)
	v_mov_b32_e32 v15, s19
	v_add_co_u32_e32 v16, vcc, s18, v16
	v_addc_co_u32_e32 v17, vcc, v15, v17, vcc
	global_load_dword v44, v[16:17], off
.LBB250_16:
	s_or_b64 exec, exec, s[2:3]
	s_waitcnt vmcnt(7)
	v_mfma_f32_4x4x4bf16_1k a[0:3], v[24:25], v[10:11], 0 cbsz:4
	s_add_u32 s3, s26, s8
	v_mfma_f32_4x4x4bf16_1k a[0:3], v[26:27], v[12:13], a[0:3] cbsz:4
	v_lshlrev_b32_e32 v15, 6, v46
	s_waitcnt vmcnt(6)
	v_mfma_f32_4x4x4bf16_1k a[0:3], v[24:25], v[6:7], a[0:3] cbsz:4 abid:1
	v_add_co_u32_e32 v49, vcc, s3, v15
	v_mfma_f32_4x4x4bf16_1k a[0:3], v[26:27], v[8:9], a[0:3] cbsz:4 abid:1
	v_mul_hi_i32 v15, v14, s17
	s_waitcnt vmcnt(5)
	v_mfma_f32_4x4x4bf16_1k a[0:3], v[24:25], v[2:3], a[0:3] cbsz:4 abid:2
	v_ashrrev_i32_e32 v15, 31, v15
	v_mfma_f32_4x4x4bf16_1k a[0:3], v[26:27], v[4:5], a[0:3] cbsz:4 abid:2
	s_load_dword s2, s[4:5], 0x1c
	s_waitcnt vmcnt(4)
	v_mfma_f32_4x4x4bf16_1k a[0:3], v[24:25], v[40:41], a[0:3] cbsz:4 abid:3
	s_addc_u32 s4, s27, s9
	v_mfma_f32_4x4x4bf16_1k a[0:3], v[26:27], v[42:43], a[0:3] cbsz:4 abid:3
	v_lshrrev_b32_e32 v50, 29, v15
	s_waitcnt vmcnt(3)
	v_mfma_f32_4x4x4bf16_1k a[0:3], v[24:25], v[36:37], a[0:3] cbsz:4 abid:4
	v_mov_b32_e32 v51, 0
	v_mfma_f32_4x4x4bf16_1k a[0:3], v[26:27], v[38:39], a[0:3] cbsz:4 abid:4
	v_mul_hi_i32 v23, v22, s17
	s_waitcnt vmcnt(2)
	v_mfma_f32_4x4x4bf16_1k a[0:3], v[24:25], v[32:33], a[0:3] cbsz:4 abid:5
	v_mov_b32_e32 v16, s4
	v_mfma_f32_4x4x4bf16_1k a[0:3], v[26:27], v[34:35], a[0:3] cbsz:4 abid:5
	v_mad_i64_i32 v[10:11], s[4:5], v14, s17, v[50:51]
	s_waitcnt vmcnt(1)
	v_mfma_f32_4x4x4bf16_1k a[0:3], v[24:25], v[18:19], a[0:3] cbsz:4 abid:6
	v_ashrrev_i32_e32 v23, 31, v23
	v_mfma_f32_4x4x4bf16_1k a[0:3], v[26:27], v[20:21], a[0:3] cbsz:4 abid:6
	v_lshlrev_b64 v[6:7], 1, v[10:11]
	s_waitcnt vmcnt(0)
	v_mfma_f32_4x4x4bf16_1k a[0:3], v[24:25], v[28:29], a[0:3] cbsz:4 abid:7
	v_lshrrev_b32_e32 v50, 29, v23
	v_mfma_f32_4x4x4bf16_1k a[0:3], v[26:27], v[30:31], a[0:3] cbsz:4 abid:7
	v_addc_co_u32_e32 v54, vcc, 0, v16, vcc
	v_and_b32_e32 v6, -16, v6
	v_mad_i64_i32 v[22:23], s[4:5], v22, s17, v[50:51]
	s_nop 1
	v_accvgpr_read_b32 v29, a1
	v_add_co_u32_e32 v52, vcc, v49, v6
	v_lshlrev_b64 v[22:23], 1, v[22:23]
	v_accvgpr_read_b32 v28, a0
	v_addc_co_u32_e32 v53, vcc, v54, v7, vcc
	v_and_b32_e32 v18, -16, v22
	s_waitcnt lgkmcnt(0)
	v_pk_mul_f32 v[28:29], s[2:3], v[28:29] op_sel_hi:[0,1]
	v_add_co_u32_e32 v34, vcc, v49, v18
	v_addc_co_u32_e32 v35, vcc, v54, v23, vcc
	v_accvgpr_read_b32 v27, a3
	v_accvgpr_read_b32 v26, a2
	v_cmp_eq_u32_e32 vcc, 0, v47
	v_pk_mul_f32 v[36:37], s[2:3], v[26:27] op_sel_hi:[0,1]
	v_cndmask_b32_e64 v26, 0, 1.0, vcc
	v_cmp_eq_u32_e32 vcc, 1, v47
	global_load_dwordx4 v[2:5], v[52:53], off
	global_load_dwordx4 v[6:9], v[52:53], off offset:16
	v_mfma_f32_4x4x1f32 a[0:3], v28, v26, 0
	v_cndmask_b32_e64 v26, 0, 1.0, vcc
	v_cmp_eq_u32_e32 vcc, 2, v47
	global_load_dwordx4 v[10:13], v[52:53], off offset:32
	global_load_dwordx4 v[14:17], v[52:53], off offset:48
	v_mfma_f32_4x4x1f32 a[0:3], v29, v26, a[0:3]
	v_cndmask_b32_e64 v26, 0, 1.0, vcc
	global_load_dwordx4 v[18:21], v[34:35], off
	global_load_dwordx4 v[22:25], v[34:35], off offset:16
	v_mfma_f32_4x4x1f32 a[0:3], v36, v26, a[0:3]
	global_load_dwordx4 v[26:29], v[34:35], off offset:32
	global_load_dwordx4 v[30:33], v[34:35], off offset:48
	v_and_b32_e32 v34, -4, v48
	v_subrev_u32_e32 v35, s11, v34
	v_add_u32_e32 v36, 1, v35
	v_mfma_f32_4x4x1f32 a[0:3], v37, v45, a[0:3]
	v_cvt_f32_i32_e32 v36, v36
	v_add_u32_e32 v37, 2, v35
	v_cvt_f32_i32_e32 v37, v37
	v_mov_b32_e32 v41, 0xff7fffff
	v_cmp_gt_i32_e32 vcc, s11, v34
	v_accvgpr_read_b32 v38, a0
	v_fma_f32 v36, v44, v36, v38
	v_accvgpr_read_b32 v38, a1
	v_fma_f32 v37, v44, v37, v38
	v_add_u32_e32 v38, 3, v35
	v_cvt_f32_i32_e32 v38, v38
	v_add_u32_e32 v35, 4, v35
	v_max_f32_e32 v40, 0xff7fffff, v36
	v_cvt_f32_i32_e32 v35, v35
	v_cndmask_b32_e32 v40, v41, v40, vcc
	v_or_b32_e32 v41, 1, v34
	v_accvgpr_read_b32 v39, a2
	v_max_f32_e32 v42, v40, v37
	v_cmp_gt_i32_e64 s[2:3], s11, v41
	v_fma_f32 v38, v44, v38, v39
	v_cndmask_b32_e64 v40, v40, v42, s[2:3]
	v_or_b32_e32 v34, 2, v34
	v_accvgpr_read_b32 v39, a3
	v_max_f32_e32 v41, v40, v38
	v_cmp_gt_i32_e64 s[4:5], s11, v34
	v_fmac_f32_e32 v39, v44, v35
	v_cndmask_b32_e64 v34, v40, v41, s[4:5]
	v_or_b32_e32 v40, 3, v48
	v_max_f32_e32 v41, v34, v39
	v_cmp_gt_i32_e64 s[8:9], s11, v40
	v_lshlrev_b32_e32 v35, 2, v0
	v_cndmask_b32_e64 v34, v34, v41, s[8:9]
	v_and_or_b32 v35, v35, 48, v47
	;;#ASMSTART
	v_nop
 v_nop
 v_max_f32_dpp v34, v34, v34 row_ror:4
	;;#ASMEND
	v_lshlrev_b32_e32 v41, 2, v35
	;;#ASMSTART
	v_nop
 v_nop
 v_max_f32_dpp v34, v34, v34 row_ror:8
	;;#ASMEND
	ds_bpermute_b32 v34, v41, v34
	s_waitcnt lgkmcnt(0)
	;;#ASMSTART
	v_nop
 v_nop
 v_max_f32_dpp v34, v34, v34 row_ror:4
	;;#ASMEND
	;;#ASMSTART
	v_nop
 v_nop
 v_max_f32_dpp v40, v34, v34 row_ror:8
	;;#ASMEND
	v_sub_f32_e32 v34, v36, v40
	v_mul_f32_e32 v34, 0x3fb8aa3b, v34
	v_sub_f32_e32 v35, v37, v40
	v_exp_f32_e32 v34, v34
	v_mul_f32_e32 v35, 0x3fb8aa3b, v35
	v_sub_f32_e32 v37, v38, v40
	v_exp_f32_e32 v35, v35
	;; [unrolled: 3-line block ×3, first 2 shown]
	v_mul_f32_e32 v38, 0x3fb8aa3b, v38
	v_exp_f32_e32 v38, v38
	v_cndmask_b32_e32 v34, 0, v34, vcc
	v_add_f32_e32 v36, 0, v34
	v_cndmask_b32_e64 v35, 0, v35, s[2:3]
	v_add_f32_e32 v39, v36, v35
	v_cndmask_b32_e64 v36, 0, v37, s[4:5]
	;; [unrolled: 2-line block ×3, first 2 shown]
	v_add_f32_e32 v38, v39, v37
	;;#ASMSTART
	v_nop
 v_nop
 v_add_f32_dpp v38, v38, v38 row_ror:4
	;;#ASMEND
	;;#ASMSTART
	v_nop
 v_nop
 v_add_f32_dpp v38, v38, v38 row_ror:8
	;;#ASMEND
	ds_bpermute_b32 v38, v41, v38
	s_waitcnt lgkmcnt(0)
	;;#ASMSTART
	v_nop
 v_nop
 v_add_f32_dpp v38, v38, v38 row_ror:4
	;;#ASMEND
	v_cmp_gt_u32_e32 vcc, 4, v46
	;;#ASMSTART
	v_nop
 v_nop
 v_add_f32_dpp v38, v38, v38 row_ror:8
	;;#ASMEND
	s_and_saveexec_b64 s[2:3], vcc
	s_cbranch_execz .LBB250_18
; %bb.17:
	v_mul_u32_u24_e32 v39, 20, v1
	v_lshl_add_u32 v39, v47, 2, v39
	v_add_u32_e32 v39, 0x800, v39
	ds_write2_b32 v39, v40, v38 offset0:128 offset1:148
.LBB250_18:
	s_or_b64 exec, exec, s[2:3]
.LBB250_19:
	s_or_b64 exec, exec, s[24:25]
	s_waitcnt lgkmcnt(0)
	s_barrier
	s_load_dword s2, s[22:23], 0x8
	v_lshlrev_b32_e32 v38, 2, v47
	v_add_u32_e32 v48, 0x800, v38
	ds_read2_b32 v[38:39], v48 offset0:128 offset1:133
	ds_read2_b32 v[42:43], v48 offset0:138 offset1:143
	s_mul_i32 s3, s6, s33
	s_waitcnt lgkmcnt(0)
	s_mul_i32 s2, s3, s2
	s_mov_b32 s3, 0xff7fffff
	v_max3_f32 v41, v38, s3, v39
	v_max3_f32 v41, v41, v42, v43
	v_sub_f32_e32 v38, v38, v41
	v_mul_f32_e32 v38, 0x3fb8aa3b, v38
	ds_read2_b32 v[44:45], v48 offset0:148 offset1:153
	v_exp_f32_e32 v49, v38
	v_sub_f32_e32 v38, v39, v41
	v_sub_f32_e32 v42, v42, v41
	v_mul_f32_e32 v38, 0x3fb8aa3b, v38
	v_mul_f32_e32 v42, 0x3fb8aa3b, v42
	v_exp_f32_e32 v50, v38
	ds_read2_b32 v[38:39], v48 offset0:158 offset1:163
	v_exp_f32_e32 v48, v42
	v_sub_f32_e32 v42, v43, v41
	v_mul_f32_e32 v42, 0x3fb8aa3b, v42
	v_exp_f32_e32 v43, v42
	s_waitcnt lgkmcnt(1)
	v_fma_f32 v42, v49, v44, 0
	v_fmac_f32_e32 v42, v50, v45
	s_waitcnt lgkmcnt(0)
	v_fmac_f32_e32 v42, v48, v38
	s_mul_i32 s2, s2, 3
	v_fmac_f32_e32 v42, v43, v39
	v_cmp_ne_u32_e32 vcc, 3, v47
	s_and_saveexec_b64 s[4:5], vcc
	s_cbranch_execz .LBB250_21
; %bb.20:
	s_mov_b32 s3, 0
	s_lshl_b64 s[8:9], s[2:3], 2
	s_add_u32 s6, s12, s8
	s_mov_b32 s11, s3
	s_addc_u32 s16, s13, s9
	s_lshl_b64 s[12:13], s[10:11], 2
	s_add_u32 s3, s6, s12
	s_addc_u32 s6, s16, s13
	v_add_u32_e32 v38, s7, v47
	s_add_u32 s8, s14, s8
	v_mul_lo_u32 v38, s33, v38
	v_mov_b32_e32 v39, 0
	s_addc_u32 s9, s15, s9
	v_lshlrev_b64 v[38:39], 2, v[38:39]
	s_add_u32 s8, s8, s12
	v_mov_b32_e32 v43, s6
	v_add_co_u32_e32 v44, vcc, s3, v38
	s_addc_u32 s9, s9, s13
	v_addc_co_u32_e32 v45, vcc, v43, v39, vcc
	v_mov_b32_e32 v43, s9
	v_add_co_u32_e32 v38, vcc, s8, v38
	v_addc_co_u32_e32 v39, vcc, v43, v39, vcc
	global_store_dword v[38:39], v41, off
	global_store_dword v[44:45], v42, off
.LBB250_21:
	s_or_b64 exec, exec, s[4:5]
	v_mov_b32_e32 v38, 0
	v_mov_b32_e32 v39, 0
	s_and_saveexec_b64 s[4:5], s[0:1]
	s_cbranch_execz .LBB250_23
; %bb.22:
	v_add_f32_e32 v38, 0x358637bd, v42
	v_div_scale_f32 v39, s[0:1], v38, v38, 1.0
	v_rcp_f32_e32 v42, v39
	v_div_scale_f32 v43, vcc, 1.0, v38, 1.0
	v_sub_f32_e32 v40, v40, v41
	v_fma_f32 v44, -v39, v42, 1.0
	v_fmac_f32_e32 v42, v44, v42
	v_mul_f32_e32 v44, v43, v42
	v_fma_f32 v45, -v39, v44, v43
	v_mul_f32_e32 v40, 0x3fb8aa3b, v40
	v_fmac_f32_e32 v44, v45, v42
	v_exp_f32_e32 v40, v40
	v_fma_f32 v39, -v39, v44, v43
	v_div_fmas_f32 v39, v39, v42, v44
	v_div_fixup_f32 v38, v39, v38, 1.0
	v_mul_f32_e32 v38, v40, v38
	v_pk_mul_f32 v[34:35], v[34:35], v[38:39] op_sel_hi:[1,0]
	v_pk_mul_f32 v[36:37], v[36:37], v[38:39] op_sel_hi:[1,0]
	v_bfe_u32 v38, v35, 16, 1
	v_bfe_u32 v39, v34, 16, 1
	s_movk_i32 s0, 0x7fff
	v_add3_u32 v34, v34, v39, s0
	v_add3_u32 v35, v35, v38, s0
	s_mov_b32 s1, 0x7060302
	v_perm_b32 v34, v35, v34, s1
	v_bfe_u32 v35, v37, 16, 1
	v_bfe_u32 v38, v36, 16, 1
	v_add3_u32 v36, v36, v38, s0
	v_add3_u32 v35, v37, v35, s0
	v_perm_b32 v35, v35, v36, s1
	s_waitcnt vmcnt(7)
	s_nop 0
	v_mfma_f32_4x4x4bf16_1k a[0:3], v[34:35], v[2:3], 0 cbsz:4
	v_mfma_f32_4x4x4bf16_1k a[0:3], v[34:35], v[4:5], a[0:3] cbsz:4 abid:1
	s_waitcnt vmcnt(6)
	v_mfma_f32_4x4x4bf16_1k a[0:3], v[34:35], v[6:7], a[0:3] cbsz:4 abid:2
	v_mfma_f32_4x4x4bf16_1k a[0:3], v[34:35], v[8:9], a[0:3] cbsz:4 abid:3
	s_waitcnt vmcnt(5)
	v_mfma_f32_4x4x4bf16_1k a[0:3], v[34:35], v[10:11], a[0:3] cbsz:4 abid:4
	;; [unrolled: 3-line block ×7, first 2 shown]
	v_mfma_f32_4x4x4bf16_1k a[0:3], v[34:35], v[32:33], a[0:3] cbsz:4 abid:15
	s_nop 4
	v_accvgpr_read_b32 v5, a1
	v_accvgpr_read_b32 v2, a2
	;; [unrolled: 1-line block ×4, first 2 shown]
	v_bfe_u32 v6, v5, 16, 1
	v_bfe_u32 v7, v4, 16, 1
	;; [unrolled: 1-line block ×3, first 2 shown]
	v_add3_u32 v5, v5, v6, s0
	v_bfe_u32 v6, v2, 16, 1
	v_add3_u32 v4, v4, v7, s0
	v_add3_u32 v2, v2, v6, s0
	;; [unrolled: 1-line block ×3, first 2 shown]
	v_perm_b32 v39, v3, v2, s1
	v_perm_b32 v38, v5, v4, s1
.LBB250_23:
	s_or_b64 exec, exec, s[4:5]
	v_lshlrev_b32_e32 v1, 3, v1
	v_mad_u32_u24 v1, v46, 40, v1
	v_cmp_gt_u32_e32 vcc, 64, v0
	ds_write_b64 v1, v[38:39]
	s_waitcnt lgkmcnt(0)
	s_barrier
	s_and_saveexec_b64 s[0:1], vcc
	s_cbranch_execz .LBB250_25
; %bb.24:
	v_mul_u32_u24_e32 v1, 40, v46
	s_waitcnt vmcnt(7)
	ds_read2_b64 v[2:5], v1 offset1:1
	s_waitcnt vmcnt(6)
	ds_read2_b64 v[6:9], v1 offset0:2 offset1:3
	s_mov_b32 s1, 0
	s_lshl_b32 s0, s2, 6
	s_lshl_b64 s[2:3], s[0:1], 1
	s_waitcnt lgkmcnt(1)
	v_and_b32_e32 v1, 0xffff0000, v2
	v_lshlrev_b32_e32 v3, 16, v3
	v_add_f32_e32 v1, 0, v1
	v_add_f32_e32 v3, 0, v3
	v_and_b32_e32 v1, 0xffff0000, v1
	s_waitcnt vmcnt(5)
	v_and_b32_e32 v10, 0xffff0000, v4
	v_and_b32_e32 v3, 0xffff0000, v3
	v_add_f32_e32 v1, v1, v10
	v_lshlrev_b32_e32 v5, 16, v5
	v_and_b32_e32 v1, 0xffff0000, v1
	v_add_f32_e32 v3, v3, v5
	s_waitcnt lgkmcnt(0)
	v_and_b32_e32 v5, 0xffff0000, v6
	v_and_b32_e32 v3, 0xffff0000, v3
	v_add_f32_e32 v1, v1, v5
	v_lshlrev_b32_e32 v5, 16, v7
	v_and_b32_e32 v1, 0xffff0000, v1
	v_add_f32_e32 v3, v3, v5
	v_and_b32_e32 v5, 0xffff0000, v8
	v_lshlrev_b32_e32 v2, 16, v2
	v_and_b32_e32 v3, 0xffff0000, v3
	v_add_f32_e32 v1, v1, v5
	v_lshlrev_b32_e32 v5, 16, v9
	s_add_u32 s2, s20, s2
	v_add_f32_e32 v2, 0, v2
	v_add_f32_e32 v7, v3, v5
	s_addc_u32 s3, s21, s3
	s_lshl_b32 s0, s10, 6
	v_and_b32_e32 v2, 0xffff0000, v2
	v_lshlrev_b32_e32 v3, 16, v4
	s_lshl_b64 s[0:1], s[0:1], 1
	v_add_f32_e32 v2, v2, v3
	s_add_u32 s0, s2, s0
	v_and_b32_e32 v2, 0xffff0000, v2
	v_lshlrev_b32_e32 v3, 16, v6
	s_addc_u32 s1, s3, s1
	s_lshl_b32 s2, s33, 6
	v_add_f32_e32 v2, v2, v3
	v_and_b32_e32 v2, 0xffff0000, v2
	v_lshlrev_b32_e32 v3, 16, v8
	s_mul_i32 s3, s2, s7
	v_add_f32_e32 v6, v2, v3
	v_or_b32_e32 v2, s3, v0
	v_mov_b32_e32 v3, 0
	v_lshlrev_b64 v[4:5], 1, v[2:3]
	v_mov_b32_e32 v2, s1
	v_add_co_u32_e32 v4, vcc, s0, v4
	s_add_i32 s3, s3, s2
	v_addc_co_u32_e32 v5, vcc, v2, v5, vcc
	v_or_b32_e32 v2, s3, v0
	global_store_short_d16_hi v[4:5], v6, off
	v_lshlrev_b64 v[4:5], 1, v[2:3]
	v_mov_b32_e32 v2, s1
	v_add_co_u32_e32 v4, vcc, s0, v4
	s_add_i32 s3, s3, s2
	v_addc_co_u32_e32 v5, vcc, v2, v5, vcc
	v_or_b32_e32 v2, s3, v0
	global_store_short_d16_hi v[4:5], v1, off
	v_lshlrev_b64 v[0:1], 1, v[2:3]
	v_mov_b32_e32 v2, s1
	v_add_co_u32_e32 v0, vcc, s0, v0
	v_addc_co_u32_e32 v1, vcc, v2, v1, vcc
	global_store_short_d16_hi v[0:1], v7, off
.LBB250_25:
	s_endpgm
	.section	.rodata,"a",@progbits
	.p2align	6, 0x0
	.amdhsa_kernel _Z38paged_attention_ll4mi_QKV_mfma4_kernelI14__hip_bfloat16S0_LN4vllm18Fp8KVCacheDataTypeE0ES0_Li32ELi64ELi256ELb1ELi3EEvPKT_PKT0_S8_ifPKiSA_SA_iPKfiiiPfSD_PS3_PT2_iSC_SC_
		.amdhsa_group_segment_fixed_size 2720
		.amdhsa_private_segment_fixed_size 0
		.amdhsa_kernarg_size 400
		.amdhsa_user_sgpr_count 6
		.amdhsa_user_sgpr_private_segment_buffer 1
		.amdhsa_user_sgpr_dispatch_ptr 0
		.amdhsa_user_sgpr_queue_ptr 0
		.amdhsa_user_sgpr_kernarg_segment_ptr 1
		.amdhsa_user_sgpr_dispatch_id 0
		.amdhsa_user_sgpr_flat_scratch_init 0
		.amdhsa_user_sgpr_kernarg_preload_length 0
		.amdhsa_user_sgpr_kernarg_preload_offset 0
		.amdhsa_user_sgpr_private_segment_size 0
		.amdhsa_uses_dynamic_stack 0
		.amdhsa_system_sgpr_private_segment_wavefront_offset 0
		.amdhsa_system_sgpr_workgroup_id_x 1
		.amdhsa_system_sgpr_workgroup_id_y 1
		.amdhsa_system_sgpr_workgroup_id_z 1
		.amdhsa_system_sgpr_workgroup_info 0
		.amdhsa_system_vgpr_workitem_id 0
		.amdhsa_next_free_vgpr 60
		.amdhsa_next_free_sgpr 38
		.amdhsa_accum_offset 56
		.amdhsa_reserve_vcc 1
		.amdhsa_reserve_flat_scratch 0
		.amdhsa_float_round_mode_32 0
		.amdhsa_float_round_mode_16_64 0
		.amdhsa_float_denorm_mode_32 3
		.amdhsa_float_denorm_mode_16_64 3
		.amdhsa_dx10_clamp 1
		.amdhsa_ieee_mode 1
		.amdhsa_fp16_overflow 0
		.amdhsa_tg_split 0
		.amdhsa_exception_fp_ieee_invalid_op 0
		.amdhsa_exception_fp_denorm_src 0
		.amdhsa_exception_fp_ieee_div_zero 0
		.amdhsa_exception_fp_ieee_overflow 0
		.amdhsa_exception_fp_ieee_underflow 0
		.amdhsa_exception_fp_ieee_inexact 0
		.amdhsa_exception_int_div_zero 0
	.end_amdhsa_kernel
	.section	.text._Z38paged_attention_ll4mi_QKV_mfma4_kernelI14__hip_bfloat16S0_LN4vllm18Fp8KVCacheDataTypeE0ES0_Li32ELi64ELi256ELb1ELi3EEvPKT_PKT0_S8_ifPKiSA_SA_iPKfiiiPfSD_PS3_PT2_iSC_SC_,"axG",@progbits,_Z38paged_attention_ll4mi_QKV_mfma4_kernelI14__hip_bfloat16S0_LN4vllm18Fp8KVCacheDataTypeE0ES0_Li32ELi64ELi256ELb1ELi3EEvPKT_PKT0_S8_ifPKiSA_SA_iPKfiiiPfSD_PS3_PT2_iSC_SC_,comdat
.Lfunc_end250:
	.size	_Z38paged_attention_ll4mi_QKV_mfma4_kernelI14__hip_bfloat16S0_LN4vllm18Fp8KVCacheDataTypeE0ES0_Li32ELi64ELi256ELb1ELi3EEvPKT_PKT0_S8_ifPKiSA_SA_iPKfiiiPfSD_PS3_PT2_iSC_SC_, .Lfunc_end250-_Z38paged_attention_ll4mi_QKV_mfma4_kernelI14__hip_bfloat16S0_LN4vllm18Fp8KVCacheDataTypeE0ES0_Li32ELi64ELi256ELb1ELi3EEvPKT_PKT0_S8_ifPKiSA_SA_iPKfiiiPfSD_PS3_PT2_iSC_SC_
                                        ; -- End function
	.section	.AMDGPU.csdata,"",@progbits
; Kernel info:
; codeLenInByte = 3356
; NumSgprs: 42
; NumVgprs: 55
; NumAgprs: 4
; TotalNumVgprs: 60
; ScratchSize: 0
; MemoryBound: 0
; FloatMode: 240
; IeeeMode: 1
; LDSByteSize: 2720 bytes/workgroup (compile time only)
; SGPRBlocks: 5
; VGPRBlocks: 7
; NumSGPRsForWavesPerEU: 42
; NumVGPRsForWavesPerEU: 60
; AccumOffset: 56
; Occupancy: 8
; WaveLimiterHint : 1
; COMPUTE_PGM_RSRC2:SCRATCH_EN: 0
; COMPUTE_PGM_RSRC2:USER_SGPR: 6
; COMPUTE_PGM_RSRC2:TRAP_HANDLER: 0
; COMPUTE_PGM_RSRC2:TGID_X_EN: 1
; COMPUTE_PGM_RSRC2:TGID_Y_EN: 1
; COMPUTE_PGM_RSRC2:TGID_Z_EN: 1
; COMPUTE_PGM_RSRC2:TIDIG_COMP_CNT: 0
; COMPUTE_PGM_RSRC3_GFX90A:ACCUM_OFFSET: 13
; COMPUTE_PGM_RSRC3_GFX90A:TG_SPLIT: 0
	.section	.text._Z38paged_attention_ll4mi_QKV_mfma4_kernelI14__hip_bfloat16S0_LN4vllm18Fp8KVCacheDataTypeE0ES0_Li32ELi64ELi256ELb1ELi4EEvPKT_PKT0_S8_ifPKiSA_SA_iPKfiiiPfSD_PS3_PT2_iSC_SC_,"axG",@progbits,_Z38paged_attention_ll4mi_QKV_mfma4_kernelI14__hip_bfloat16S0_LN4vllm18Fp8KVCacheDataTypeE0ES0_Li32ELi64ELi256ELb1ELi4EEvPKT_PKT0_S8_ifPKiSA_SA_iPKfiiiPfSD_PS3_PT2_iSC_SC_,comdat
	.protected	_Z38paged_attention_ll4mi_QKV_mfma4_kernelI14__hip_bfloat16S0_LN4vllm18Fp8KVCacheDataTypeE0ES0_Li32ELi64ELi256ELb1ELi4EEvPKT_PKT0_S8_ifPKiSA_SA_iPKfiiiPfSD_PS3_PT2_iSC_SC_ ; -- Begin function _Z38paged_attention_ll4mi_QKV_mfma4_kernelI14__hip_bfloat16S0_LN4vllm18Fp8KVCacheDataTypeE0ES0_Li32ELi64ELi256ELb1ELi4EEvPKT_PKT0_S8_ifPKiSA_SA_iPKfiiiPfSD_PS3_PT2_iSC_SC_
	.globl	_Z38paged_attention_ll4mi_QKV_mfma4_kernelI14__hip_bfloat16S0_LN4vllm18Fp8KVCacheDataTypeE0ES0_Li32ELi64ELi256ELb1ELi4EEvPKT_PKT0_S8_ifPKiSA_SA_iPKfiiiPfSD_PS3_PT2_iSC_SC_
	.p2align	8
	.type	_Z38paged_attention_ll4mi_QKV_mfma4_kernelI14__hip_bfloat16S0_LN4vllm18Fp8KVCacheDataTypeE0ES0_Li32ELi64ELi256ELb1ELi4EEvPKT_PKT0_S8_ifPKiSA_SA_iPKfiiiPfSD_PS3_PT2_iSC_SC_,@function
_Z38paged_attention_ll4mi_QKV_mfma4_kernelI14__hip_bfloat16S0_LN4vllm18Fp8KVCacheDataTypeE0ES0_Li32ELi64ELi256ELb1ELi4EEvPKT_PKT0_S8_ifPKiSA_SA_iPKfiiiPfSD_PS3_PT2_iSC_SC_: ; @_Z38paged_attention_ll4mi_QKV_mfma4_kernelI14__hip_bfloat16S0_LN4vllm18Fp8KVCacheDataTypeE0ES0_Li32ELi64ELi256ELb1ELi4EEvPKT_PKT0_S8_ifPKiSA_SA_iPKfiiiPfSD_PS3_PT2_iSC_SC_
; %bb.0:
	s_load_dwordx2 s[16:17], s[4:5], 0x30
	s_mov_b32 s10, s7
	s_mov_b64 s[0:1], 0
	s_waitcnt lgkmcnt(0)
	s_cmp_lg_u64 s[16:17], 0
	s_cselect_b64 s[18:19], -1, 0
	s_and_b64 vcc, exec, s[18:19]
	s_cbranch_vccz .LBB251_18
; %bb.1:
	s_add_i32 s2, s6, 1
	s_mov_b32 s3, 0
	s_lshl_b64 s[12:13], s[2:3], 2
	s_add_u32 s12, s16, s12
	s_mov_b32 s7, s3
	s_addc_u32 s13, s17, s13
	s_lshl_b64 s[2:3], s[6:7], 2
	s_add_u32 s2, s16, s2
	s_addc_u32 s3, s17, s3
	s_load_dword s9, s[12:13], 0x0
	s_load_dword s11, s[2:3], 0x0
	s_mov_b64 s[34:35], s[6:7]
	s_waitcnt lgkmcnt(0)
	s_sub_i32 s2, s9, s11
	s_cmp_eq_u32 s2, 1
	s_cselect_b64 s[2:3], -1, 0
	s_andn2_b64 vcc, exec, s[0:1]
	s_cbranch_vccnz .LBB251_3
.LBB251_2:
	s_mov_b32 s7, 0
	s_mov_b64 s[2:3], -1
	s_mov_b64 s[34:35], s[6:7]
.LBB251_3:
	s_andn2_b64 vcc, exec, s[2:3]
	s_cbranch_vccnz .LBB251_17
; %bb.4:
	s_load_dword s2, s[4:5], 0x9c
	s_load_dwordx2 s[0:1], s[4:5], 0x28
	s_add_u32 s26, s4, 0x90
	s_addc_u32 s27, s5, 0
	s_lshl_b64 s[36:37], s[34:35], 2
	s_waitcnt lgkmcnt(0)
	s_and_b32 s2, s2, 0xffff
	s_add_u32 s0, s0, s36
	s_addc_u32 s1, s1, s37
	s_load_dword s11, s[0:1], 0x0
	s_mul_i32 s9, s10, s2
	s_waitcnt lgkmcnt(0)
	s_cmp_ge_i32 s9, s11
	s_cbranch_scc1 .LBB251_17
; %bb.5:
	v_and_b32_e32 v2, 0xc0, v0
	v_and_b32_e32 v41, 3, v0
	s_lshl_b32 s7, s8, 2
	v_add_u32_e32 v2, s9, v2
	v_lshrrev_b32_e32 v1, 6, v0
	v_cmp_gt_i32_e64 s[0:1], s11, v2
	v_cmp_le_i32_e32 vcc, s11, v2
	v_or_b32_e32 v34, s7, v41
                                        ; implicit-def: $sgpr21
                                        ; implicit-def: $sgpr20
	s_and_saveexec_b64 s[2:3], vcc
	s_xor_b64 s[2:3], exec, s[2:3]
	s_cbranch_execz .LBB251_7
; %bb.6:
	v_mul_u32_u24_e32 v2, 20, v1
	v_or_b32_e32 v2, 0xa00, v2
	v_mov_b32_e32 v3, 0xa50
	v_mov_b32_e32 v4, 0xff7fffff
	v_mad_u32_u24 v3, v1, 20, v3
	ds_write2_b32 v2, v4, v4 offset1:1
	v_mov_b32_e32 v2, 0
	ds_write2_b32 v3, v2, v2 offset1:1
	v_mov_b32_e32 v3, 0xa08
	s_mov_b32 s20, 0xff7fffff
	s_mov_b32 s21, 0
	v_mad_u32_u24 v3, v1, 20, v3
	v_mov_b32_e32 v5, 0xa58
	v_or_b32_e32 v34, s7, v41
	v_mad_u32_u24 v5, v1, 20, v5
	ds_write2_b32 v3, v4, v4 offset1:1
	ds_write2_b32 v5, v2, v2 offset1:1
                                        ; implicit-def: $vgpr2
.LBB251_7:
	s_or_saveexec_b64 s[28:29], s[2:3]
	s_load_dwordx2 s[24:25], s[4:5], 0x68
	s_load_dwordx4 s[12:15], s[4:5], 0x58
	s_load_dword s33, s[26:27], 0x4
	v_and_b32_e32 v40, 63, v0
	v_mov_b32_e32 v39, s21
	v_mov_b32_e32 v42, s20
	;; [unrolled: 1-line block ×5, first 2 shown]
                                        ; implicit-def: $vgpr3
                                        ; implicit-def: $vgpr7
                                        ; implicit-def: $vgpr11
                                        ; implicit-def: $vgpr15
                                        ; implicit-def: $vgpr19
                                        ; implicit-def: $vgpr23
                                        ; implicit-def: $vgpr27
                                        ; implicit-def: $vgpr31
	s_xor_b64 exec, exec, s[28:29]
	s_cbranch_execz .LBB251_13
; %bb.8:
	s_add_i32 s21, s11, 31
	s_load_dwordx2 s[2:3], s[4:5], 0x20
	s_load_dword s20, s[4:5], 0x38
	s_ashr_i32 s22, s21, 31
	s_lshr_b32 s22, s22, 27
	v_add_u32_e32 v36, s9, v0
	s_add_i32 s21, s21, s22
	v_ashrrev_i32_e32 v3, 31, v36
	s_ashr_i32 s21, s21, 5
	v_lshrrev_b32_e32 v3, 27, v3
	s_add_i32 s22, s21, -1
	v_add_u32_e32 v3, v36, v3
	s_waitcnt lgkmcnt(0)
	s_mul_i32 s38, s6, s20
	s_mov_b32 s39, 0
	v_ashrrev_i32_e32 v3, 5, v3
	v_mov_b32_e32 v4, s22
	v_cmp_gt_i32_e32 vcc, s11, v36
	s_lshl_b64 s[20:21], s[38:39], 2
	v_cndmask_b32_e32 v4, v4, v3, vcc
	s_add_u32 s2, s2, s20
	v_ashrrev_i32_e32 v5, 31, v4
	s_addc_u32 s3, s3, s21
	v_lshlrev_b64 v[4:5], 2, v[4:5]
	v_mov_b32_e32 v3, s3
	v_add_co_u32_e32 v6, vcc, s2, v4
	v_addc_co_u32_e32 v7, vcc, v3, v5, vcc
	v_ashrrev_i32_e32 v3, 31, v2
	v_lshrrev_b32_e32 v3, 27, v3
	v_add_u32_e32 v2, v2, v3
	v_ashrrev_i32_e32 v4, 5, v2
	v_min_i32_e32 v2, s22, v4
	v_ashrrev_i32_e32 v3, 31, v2
	v_lshlrev_b64 v[2:3], 2, v[2:3]
	v_add_co_u32_e32 v8, vcc, s2, v2
	v_add_u32_e32 v2, 1, v4
	v_mov_b32_e32 v5, s3
	v_min_i32_e32 v2, s22, v2
	v_addc_co_u32_e32 v9, vcc, v5, v3, vcc
	v_ashrrev_i32_e32 v3, 31, v2
	v_lshlrev_b64 v[2:3], 2, v[2:3]
	v_mov_b32_e32 v4, s3
	v_add_co_u32_e32 v10, vcc, s2, v2
	v_addc_co_u32_e32 v11, vcc, v4, v3, vcc
	global_load_dword v4, v[6:7], off
	global_load_dword v2, v[8:9], off
	global_load_dword v3, v[10:11], off
	s_load_dwordx2 s[30:31], s[4:5], 0x40
	s_load_dwordx4 s[20:23], s[4:5], 0x0
	s_load_dwordx2 s[2:3], s[4:5], 0x10
	s_andn2_b64 vcc, exec, s[18:19]
	s_cbranch_vccnz .LBB251_10
; %bb.9:
	s_add_u32 s16, s16, s36
	s_addc_u32 s17, s17, s37
	s_load_dword s38, s[16:17], 0x0
	s_waitcnt lgkmcnt(0)
	s_mov_b64 s[34:35], s[38:39]
.LBB251_10:
	s_load_dwordx4 s[16:19], s[4:5], 0x48
	v_lshrrev_b32_e32 v5, 2, v40
	v_lshlrev_b32_e32 v6, 3, v41
	v_add_lshl_u32 v5, v6, v5, 4
	v_mov_b32_e32 v35, 0
	s_waitcnt lgkmcnt(0)
	s_ashr_i32 s9, s16, 31
	s_mul_hi_u32 s19, s34, s16
	s_mul_i32 s9, s34, s9
	s_mul_i32 s35, s35, s16
	s_add_i32 s9, s19, s9
	s_mul_i32 s36, s34, s16
	s_add_i32 s37, s9, s35
	s_lshl_b64 s[34:35], s[36:37], 1
	s_add_u32 s9, s20, s34
	s_addc_u32 s16, s21, s35
	s_lshl_b32 s38, s8, 8
	s_lshl_b64 s[20:21], s[38:39], 1
	s_add_u32 s20, s9, s20
	s_addc_u32 s21, s16, s21
	global_load_dwordx4 v[42:45], v5, s[20:21]
	s_mul_i32 s38, s8, s18
	s_lshl_b64 s[8:9], s[38:39], 1
	s_waitcnt vmcnt(3)
	v_mad_i64_i32 v[4:5], s[20:21], v4, s17, 0
	s_add_u32 s16, s8, s22
	v_lshlrev_b64 v[4:5], 1, v[4:5]
	s_addc_u32 s18, s9, s23
	v_mov_b32_e32 v6, s18
	v_add_co_u32_e32 v4, vcc, s16, v4
	v_addc_co_u32_e32 v5, vcc, v6, v5, vcc
	v_and_b32_e32 v6, 31, v0
	v_lshlrev_b32_e32 v6, 4, v6
	v_add_co_u32_e32 v32, vcc, v4, v6
	v_addc_co_u32_e32 v33, vcc, 0, v5, vcc
	global_load_dwordx4 v[4:7], v[32:33], off
	global_load_dwordx4 v[8:11], v[32:33], off offset:512
	global_load_dwordx4 v[12:15], v[32:33], off offset:1024
	;; [unrolled: 1-line block ×7, first 2 shown]
	v_cmp_eq_u32_e32 vcc, 0, v41
	v_cndmask_b32_e64 v51, 0, 1.0, vcc
	v_cmp_eq_u32_e32 vcc, 1, v41
	v_cndmask_b32_e64 v52, 0, 1.0, vcc
	;; [unrolled: 2-line block ×3, first 2 shown]
	v_cmp_eq_u32_e32 vcc, 3, v41
	v_lshlrev_b64 v[32:33], 2, v[34:35]
	v_mov_b32_e32 v37, s31
	v_cndmask_b32_e64 v54, 0, 1.0, vcc
	v_add_co_u32_e32 v32, vcc, s30, v32
	v_addc_co_u32_e32 v33, vcc, v37, v33, vcc
	global_load_dword v37, v[32:33], off
	v_and_b32_e32 v55, -4, v36
	v_subrev_u32_e32 v32, s11, v55
	v_lshlrev_b32_e32 v38, 2, v0
	v_add_u32_e32 v57, 1, v32
	v_add_u32_e32 v58, 2, v32
	;; [unrolled: 1-line block ×4, first 2 shown]
	s_waitcnt vmcnt(11)
	v_mul_hi_i32 v32, v2, s17
	v_mov_b32_e32 v39, v35
	v_mov_b32_e32 v33, v35
	v_and_or_b32 v35, v38, 48, v41
	s_waitcnt vmcnt(10)
	v_mul_hi_i32 v38, v3, s17
	v_ashrrev_i32_e32 v32, 31, v32
	v_ashrrev_i32_e32 v61, 31, v38
	v_lshrrev_b32_e32 v38, 29, v32
	s_add_u32 s2, s2, s8
	v_lshlrev_b32_e32 v50, 6, v40
	v_mad_i64_i32 v[38:39], s[18:19], v2, s17, v[38:39]
	s_addc_u32 s3, s3, s9
	v_lshrrev_b32_e32 v32, 29, v61
	v_mad_i64_i32 v[2:3], s[16:17], v3, s17, v[32:33]
	v_lshlrev_b64 v[2:3], 1, v[2:3]
	v_and_b32_e32 v2, -16, v2
	s_load_dword s4, s[4:5], 0x1c
	v_mov_b32_e32 v56, 0xff7fffff
	v_or_b32_e32 v36, 3, v36
	v_cmp_gt_i32_e64 s[8:9], s11, v36
	v_lshlrev_b32_e32 v35, 2, v35
	s_waitcnt vmcnt(8)
	v_mfma_f32_4x4x4bf16_1k a[0:3], v[42:43], v[4:5], 0 cbsz:4
	v_lshlrev_b64 v[4:5], 1, v[38:39]
	v_mfma_f32_4x4x4bf16_1k a[0:3], v[44:45], v[6:7], a[0:3] cbsz:4
	v_mov_b32_e32 v6, s3
	s_waitcnt vmcnt(7)
	v_mfma_f32_4x4x4bf16_1k a[0:3], v[42:43], v[8:9], a[0:3] cbsz:4 abid:1
	v_add_co_u32_e32 v7, vcc, s2, v50
	v_mfma_f32_4x4x4bf16_1k a[0:3], v[44:45], v[10:11], a[0:3] cbsz:4 abid:1
	v_and_b32_e32 v4, -16, v4
	s_waitcnt vmcnt(6)
	v_mfma_f32_4x4x4bf16_1k a[0:3], v[42:43], v[12:13], a[0:3] cbsz:4 abid:2
	v_addc_co_u32_e32 v6, vcc, 0, v6, vcc
	v_mfma_f32_4x4x4bf16_1k a[0:3], v[44:45], v[14:15], a[0:3] cbsz:4 abid:2
	s_waitcnt vmcnt(5)
	v_mfma_f32_4x4x4bf16_1k a[0:3], v[42:43], v[16:17], a[0:3] cbsz:4 abid:3
	v_mfma_f32_4x4x4bf16_1k a[0:3], v[44:45], v[18:19], a[0:3] cbsz:4 abid:3
	v_add_co_u32_e32 v18, vcc, v7, v4
	s_waitcnt vmcnt(4)
	v_mfma_f32_4x4x4bf16_1k a[0:3], v[42:43], v[20:21], a[0:3] cbsz:4 abid:4
	v_addc_co_u32_e32 v19, vcc, v6, v5, vcc
	v_mfma_f32_4x4x4bf16_1k a[0:3], v[44:45], v[22:23], a[0:3] cbsz:4 abid:4
	v_add_co_u32_e32 v38, vcc, v7, v2
	s_waitcnt vmcnt(3)
	v_mfma_f32_4x4x4bf16_1k a[0:3], v[42:43], v[24:25], a[0:3] cbsz:4 abid:5
	v_addc_co_u32_e32 v39, vcc, v6, v3, vcc
	v_mfma_f32_4x4x4bf16_1k a[0:3], v[44:45], v[26:27], a[0:3] cbsz:4 abid:5
	global_load_dwordx4 v[2:5], v[18:19], off
	global_load_dwordx4 v[6:9], v[18:19], off offset:16
	s_waitcnt vmcnt(4)
	v_mfma_f32_4x4x4bf16_1k a[0:3], v[42:43], v[28:29], a[0:3] cbsz:4 abid:6
	global_load_dwordx4 v[10:13], v[18:19], off offset:32
	global_load_dwordx4 v[14:17], v[18:19], off offset:48
	v_mfma_f32_4x4x4bf16_1k a[0:3], v[44:45], v[30:31], a[0:3] cbsz:4 abid:6
	global_load_dwordx4 v[18:21], v[38:39], off
	global_load_dwordx4 v[22:25], v[38:39], off offset:16
	global_load_dwordx4 v[26:29], v[38:39], off offset:32
	global_load_dwordx4 v[30:33], v[38:39], off offset:48
	s_waitcnt vmcnt(9)
	v_mfma_f32_4x4x4bf16_1k a[0:3], v[42:43], v[46:47], a[0:3] cbsz:4 abid:7
	v_cmp_gt_i32_e32 vcc, s11, v55
	v_mfma_f32_4x4x4bf16_1k a[0:3], v[44:45], v[48:49], a[0:3] cbsz:4 abid:7
	v_cvt_f32_i32_e32 v44, v57
	s_nop 3
	v_accvgpr_read_b32 v39, a1
	v_accvgpr_read_b32 v38, a0
	s_waitcnt lgkmcnt(0)
	v_pk_mul_f32 v[38:39], s[4:5], v[38:39] op_sel_hi:[0,1]
	v_accvgpr_read_b32 v43, a3
	v_accvgpr_read_b32 v42, a2
	v_pk_mul_f32 v[42:43], s[4:5], v[42:43] op_sel_hi:[0,1]
	v_mfma_f32_4x4x1f32 a[0:3], v38, v51, 0
	v_cvt_f32_i32_e32 v38, v58
	v_mfma_f32_4x4x1f32 a[0:3], v39, v52, a[0:3]
	v_cvt_f32_i32_e32 v39, v59
	;; [unrolled: 2-line block ×3, first 2 shown]
	v_mfma_f32_4x4x1f32 a[0:3], v43, v54, a[0:3]
	s_nop 4
	v_accvgpr_read_b32 v43, a0
	v_accvgpr_read_b32 v45, a1
	;; [unrolled: 1-line block ×4, first 2 shown]
	s_waitcnt vmcnt(8)
	v_fma_f32 v43, v37, v44, v43
	v_fma_f32 v38, v37, v38, v45
	;; [unrolled: 1-line block ×3, first 2 shown]
	v_fmac_f32_e32 v47, v37, v42
	v_max_f32_e32 v37, 0xff7fffff, v43
	v_cndmask_b32_e32 v37, v56, v37, vcc
	v_or_b32_e32 v42, 1, v55
	v_max_f32_e32 v44, v37, v38
	v_cmp_gt_i32_e64 s[2:3], s11, v42
	v_cndmask_b32_e64 v37, v37, v44, s[2:3]
	v_or_b32_e32 v42, 2, v55
	v_max_f32_e32 v44, v37, v39
	v_cmp_gt_i32_e64 s[4:5], s11, v42
	v_cndmask_b32_e64 v37, v37, v44, s[4:5]
	v_max_f32_e32 v42, v37, v47
	v_cndmask_b32_e64 v36, v37, v42, s[8:9]
	;;#ASMSTART
	v_nop
 v_nop
 v_max_f32_dpp v36, v36, v36 row_ror:4
	;;#ASMEND
	;;#ASMSTART
	v_nop
 v_nop
 v_max_f32_dpp v36, v36, v36 row_ror:8
	;;#ASMEND
	ds_bpermute_b32 v36, v35, v36
	s_waitcnt lgkmcnt(0)
	;;#ASMSTART
	v_nop
 v_nop
 v_max_f32_dpp v36, v36, v36 row_ror:4
	;;#ASMEND
	;;#ASMSTART
	v_nop
 v_nop
 v_max_f32_dpp v42, v36, v36 row_ror:8
	;;#ASMEND
	v_sub_f32_e32 v36, v43, v42
	v_mul_f32_e32 v36, 0x3fb8aa3b, v36
	v_sub_f32_e32 v37, v38, v42
	v_exp_f32_e32 v36, v36
	v_mul_f32_e32 v37, 0x3fb8aa3b, v37
	v_sub_f32_e32 v39, v39, v42
	v_exp_f32_e32 v37, v37
	v_mul_f32_e32 v39, 0x3fb8aa3b, v39
	v_sub_f32_e32 v43, v47, v42
	v_exp_f32_e32 v39, v39
	v_mul_f32_e32 v43, 0x3fb8aa3b, v43
	v_exp_f32_e32 v43, v43
	v_cndmask_b32_e32 v36, 0, v36, vcc
	v_add_f32_e32 v38, 0, v36
	v_cndmask_b32_e64 v37, 0, v37, s[2:3]
	v_add_f32_e32 v44, v38, v37
	v_cndmask_b32_e64 v38, 0, v39, s[4:5]
	v_add_f32_e32 v44, v44, v38
	v_cndmask_b32_e64 v39, 0, v43, s[8:9]
	v_add_f32_e32 v43, v44, v39
	;;#ASMSTART
	v_nop
 v_nop
 v_add_f32_dpp v43, v43, v43 row_ror:4
	;;#ASMEND
	;;#ASMSTART
	v_nop
 v_nop
 v_add_f32_dpp v43, v43, v43 row_ror:8
	;;#ASMEND
	ds_bpermute_b32 v35, v35, v43
	s_waitcnt lgkmcnt(0)
	;;#ASMSTART
	v_nop
 v_nop
 v_add_f32_dpp v35, v35, v35 row_ror:4
	;;#ASMEND
	v_cmp_gt_u32_e32 vcc, 4, v40
	;;#ASMSTART
	v_nop
 v_nop
 v_add_f32_dpp v35, v35, v35 row_ror:8
	;;#ASMEND
	s_and_saveexec_b64 s[2:3], vcc
	s_cbranch_execz .LBB251_12
; %bb.11:
	v_mul_u32_u24_e32 v43, 20, v1
	v_lshl_add_u32 v43, v41, 2, v43
	v_add_u32_e32 v43, 0x800, v43
	ds_write2_b32 v43, v42, v35 offset0:128 offset1:148
.LBB251_12:
	s_or_b64 exec, exec, s[2:3]
.LBB251_13:
	s_or_b64 exec, exec, s[28:29]
	v_lshlrev_b32_e32 v35, 2, v41
	v_add_u32_e32 v35, 0x800, v35
	s_waitcnt lgkmcnt(0)
	s_barrier
	s_load_dword s2, s[26:27], 0x8
	ds_read2_b32 v[44:45], v35 offset0:128 offset1:133
	ds_read2_b32 v[46:47], v35 offset0:138 offset1:143
	s_mov_b32 s8, 0xff7fffff
	s_mul_i32 s3, s6, s33
	ds_read2_b32 v[48:49], v35 offset0:148 offset1:153
	s_waitcnt lgkmcnt(0)
	v_max3_f32 v41, v44, s8, v45
	v_max3_f32 v41, v41, v46, v47
	v_sub_f32_e32 v43, v44, v41
	v_sub_f32_e32 v44, v45, v41
	s_mul_i32 s3, s3, s2
	v_mul_f32_e32 v43, 0x3fb8aa3b, v43
	v_mul_f32_e32 v44, 0x3fb8aa3b, v44
	s_lshl_b32 s2, s3, 2
	s_mov_b32 s3, 0
	v_exp_f32_e32 v43, v43
	v_exp_f32_e32 v50, v44
	ds_read2_b32 v[44:45], v35 offset0:158 offset1:163
	v_sub_f32_e32 v35, v46, v41
	s_lshl_b64 s[4:5], s[2:3], 2
	v_mul_f32_e32 v35, 0x3fb8aa3b, v35
	v_sub_f32_e32 v46, v47, v41
	s_mov_b32 s11, s3
	s_add_u32 s3, s12, s4
	v_exp_f32_e32 v35, v35
	v_mul_f32_e32 v46, 0x3fb8aa3b, v46
	s_addc_u32 s6, s13, s5
	v_exp_f32_e32 v46, v46
	s_add_u32 s8, s14, s4
	v_fma_f32 v43, v43, v48, 0
	s_addc_u32 s9, s15, s5
	s_lshl_b64 s[4:5], s[10:11], 2
	v_fmac_f32_e32 v43, v50, v49
	s_add_u32 s8, s8, s4
	s_waitcnt lgkmcnt(0)
	v_fmac_f32_e32 v43, v35, v44
	v_mul_lo_u32 v34, s33, v34
	v_mov_b32_e32 v35, 0
	s_addc_u32 s9, s9, s5
	v_fmac_f32_e32 v43, v46, v45
	v_lshlrev_b64 v[44:45], 2, v[34:35]
	s_add_u32 s3, s3, s4
	v_mov_b32_e32 v34, s9
	v_add_co_u32_e32 v46, vcc, s8, v44
	s_addc_u32 s4, s6, s5
	v_addc_co_u32_e32 v47, vcc, v34, v45, vcc
	v_mov_b32_e32 v34, s4
	v_add_co_u32_e32 v44, vcc, s3, v44
	v_addc_co_u32_e32 v45, vcc, v34, v45, vcc
	v_mov_b32_e32 v34, v35
	global_store_dword v[46:47], v41, off
	global_store_dword v[44:45], v43, off
	s_and_saveexec_b64 s[4:5], s[0:1]
	s_cbranch_execz .LBB251_15
; %bb.14:
	v_add_f32_e32 v34, 0x358637bd, v43
	v_div_scale_f32 v35, s[0:1], v34, v34, 1.0
	v_rcp_f32_e32 v43, v35
	v_div_scale_f32 v44, vcc, 1.0, v34, 1.0
	v_sub_f32_e32 v41, v42, v41
	v_fma_f32 v45, -v35, v43, 1.0
	v_fmac_f32_e32 v43, v45, v43
	v_mul_f32_e32 v45, v44, v43
	v_fma_f32 v46, -v35, v45, v44
	v_mul_f32_e32 v41, 0x3fb8aa3b, v41
	v_fmac_f32_e32 v45, v46, v43
	v_exp_f32_e32 v41, v41
	v_fma_f32 v35, -v35, v45, v44
	v_div_fmas_f32 v35, v35, v43, v45
	v_div_fixup_f32 v34, v35, v34, 1.0
	v_mul_f32_e32 v34, v41, v34
	v_pk_mul_f32 v[38:39], v[38:39], v[34:35] op_sel_hi:[1,0]
	v_pk_mul_f32 v[34:35], v[36:37], v[34:35] op_sel_hi:[1,0]
	v_bfe_u32 v36, v35, 16, 1
	v_bfe_u32 v37, v34, 16, 1
	s_movk_i32 s0, 0x7fff
	v_add3_u32 v34, v34, v37, s0
	v_add3_u32 v35, v35, v36, s0
	s_mov_b32 s1, 0x7060302
	v_perm_b32 v34, v35, v34, s1
	v_bfe_u32 v35, v39, 16, 1
	v_bfe_u32 v36, v38, 16, 1
	v_add3_u32 v36, v38, v36, s0
	v_add3_u32 v35, v39, v35, s0
	v_perm_b32 v35, v35, v36, s1
	s_waitcnt vmcnt(9)
	s_nop 0
	v_mfma_f32_4x4x4bf16_1k a[0:3], v[34:35], v[2:3], 0 cbsz:4
	v_mfma_f32_4x4x4bf16_1k a[0:3], v[34:35], v[4:5], a[0:3] cbsz:4 abid:1
	s_waitcnt vmcnt(8)
	v_mfma_f32_4x4x4bf16_1k a[0:3], v[34:35], v[6:7], a[0:3] cbsz:4 abid:2
	v_mfma_f32_4x4x4bf16_1k a[0:3], v[34:35], v[8:9], a[0:3] cbsz:4 abid:3
	s_waitcnt vmcnt(7)
	v_mfma_f32_4x4x4bf16_1k a[0:3], v[34:35], v[10:11], a[0:3] cbsz:4 abid:4
	;; [unrolled: 3-line block ×7, first 2 shown]
	v_mfma_f32_4x4x4bf16_1k a[0:3], v[34:35], v[32:33], a[0:3] cbsz:4 abid:15
	s_nop 4
	v_accvgpr_read_b32 v5, a1
	v_accvgpr_read_b32 v2, a2
	v_accvgpr_read_b32 v3, a3
	v_accvgpr_read_b32 v4, a0
	v_bfe_u32 v6, v5, 16, 1
	v_bfe_u32 v7, v4, 16, 1
	;; [unrolled: 1-line block ×3, first 2 shown]
	v_add3_u32 v5, v5, v6, s0
	v_bfe_u32 v6, v2, 16, 1
	v_add3_u32 v4, v4, v7, s0
	v_add3_u32 v2, v2, v6, s0
	;; [unrolled: 1-line block ×3, first 2 shown]
	v_perm_b32 v35, v3, v2, s1
	v_perm_b32 v34, v5, v4, s1
.LBB251_15:
	s_or_b64 exec, exec, s[4:5]
	v_lshlrev_b32_e32 v1, 3, v1
	v_mad_u32_u24 v1, v40, 40, v1
	v_cmp_gt_u32_e32 vcc, 64, v0
	ds_write_b64 v1, v[34:35]
	s_waitcnt lgkmcnt(0)
	s_barrier
	s_and_saveexec_b64 s[0:1], vcc
	s_cbranch_execz .LBB251_17
; %bb.16:
	v_mul_u32_u24_e32 v1, 40, v40
	s_waitcnt vmcnt(9)
	ds_read2_b64 v[2:5], v1 offset1:1
	s_waitcnt vmcnt(8)
	ds_read2_b64 v[6:9], v1 offset0:2 offset1:3
	s_mov_b32 s1, 0
	s_lshl_b32 s0, s2, 6
	s_lshl_b64 s[2:3], s[0:1], 1
	s_waitcnt lgkmcnt(1)
	v_lshlrev_b32_e32 v1, 16, v2
	v_and_b32_e32 v2, 0xffff0000, v2
	v_add_f32_e32 v1, 0, v1
	v_add_f32_e32 v2, 0, v2
	s_waitcnt vmcnt(7)
	v_lshlrev_b32_e32 v10, 16, v3
	v_and_b32_e32 v3, 0xffff0000, v3
	v_and_b32_e32 v1, 0xffff0000, v1
	;; [unrolled: 1-line block ×3, first 2 shown]
	v_add_f32_e32 v3, 0, v3
	v_lshlrev_b32_e32 v11, 16, v4
	v_and_b32_e32 v4, 0xffff0000, v4
	v_add_f32_e32 v10, 0, v10
	v_and_b32_e32 v3, 0xffff0000, v3
	v_add_f32_e32 v1, v1, v11
	v_add_f32_e32 v2, v2, v4
	v_lshlrev_b32_e32 v4, 16, v5
	v_and_b32_e32 v5, 0xffff0000, v5
	v_and_b32_e32 v10, 0xffff0000, v10
	v_and_b32_e32 v1, 0xffff0000, v1
	v_add_f32_e32 v3, v3, v5
	s_waitcnt lgkmcnt(0)
	v_lshlrev_b32_e32 v5, 16, v6
	v_and_b32_e32 v2, 0xffff0000, v2
	v_add_f32_e32 v4, v10, v4
	v_add_f32_e32 v1, v1, v5
	v_and_b32_e32 v5, 0xffff0000, v6
	v_and_b32_e32 v4, 0xffff0000, v4
	v_add_f32_e32 v2, v2, v5
	v_lshlrev_b32_e32 v5, 16, v7
	s_add_u32 s2, s24, s2
	v_and_b32_e32 v3, 0xffff0000, v3
	v_add_f32_e32 v4, v4, v5
	v_and_b32_e32 v5, 0xffff0000, v7
	s_addc_u32 s3, s25, s3
	s_lshl_b32 s0, s10, 6
	v_and_b32_e32 v1, 0xffff0000, v1
	v_add_f32_e32 v3, v3, v5
	v_lshlrev_b32_e32 v5, 16, v8
	s_lshl_b64 s[0:1], s[0:1], 1
	v_and_b32_e32 v2, 0xffff0000, v2
	v_add_f32_e32 v1, v1, v5
	v_and_b32_e32 v5, 0xffff0000, v8
	s_add_u32 s0, s2, s0
	v_and_b32_e32 v4, 0xffff0000, v4
	v_add_f32_e32 v6, v2, v5
	v_lshlrev_b32_e32 v2, 16, v9
	s_addc_u32 s1, s3, s1
	s_lshl_b32 s2, s33, 6
	v_and_b32_e32 v3, 0xffff0000, v3
	v_add_f32_e32 v7, v4, v2
	v_and_b32_e32 v2, 0xffff0000, v9
	s_mul_i32 s3, s2, s7
	v_add_f32_e32 v8, v3, v2
	v_or_b32_e32 v2, s3, v0
	v_mov_b32_e32 v3, 0
	v_lshlrev_b64 v[4:5], 1, v[2:3]
	v_mov_b32_e32 v2, s1
	v_add_co_u32_e32 v4, vcc, s0, v4
	s_add_i32 s3, s3, s2
	v_addc_co_u32_e32 v5, vcc, v2, v5, vcc
	v_or_b32_e32 v2, s3, v0
	global_store_short_d16_hi v[4:5], v1, off
	v_lshlrev_b64 v[4:5], 1, v[2:3]
	v_mov_b32_e32 v1, s1
	v_add_co_u32_e32 v4, vcc, s0, v4
	s_add_i32 s3, s3, s2
	v_addc_co_u32_e32 v5, vcc, v1, v5, vcc
	v_or_b32_e32 v2, s3, v0
	global_store_short_d16_hi v[4:5], v6, off
	v_lshlrev_b64 v[4:5], 1, v[2:3]
	s_add_i32 s3, s3, s2
	v_add_co_u32_e32 v4, vcc, s0, v4
	v_or_b32_e32 v2, s3, v0
	v_addc_co_u32_e32 v5, vcc, v1, v5, vcc
	v_lshlrev_b64 v[0:1], 1, v[2:3]
	v_mov_b32_e32 v2, s1
	v_add_co_u32_e32 v0, vcc, s0, v0
	v_addc_co_u32_e32 v1, vcc, v2, v1, vcc
	global_store_short_d16_hi v[4:5], v7, off
	global_store_short_d16_hi v[0:1], v8, off
.LBB251_17:
	s_endpgm
.LBB251_18:
	s_mov_b64 s[2:3], 0
                                        ; implicit-def: $sgpr34_sgpr35
	s_branch .LBB251_2
	.section	.rodata,"a",@progbits
	.p2align	6, 0x0
	.amdhsa_kernel _Z38paged_attention_ll4mi_QKV_mfma4_kernelI14__hip_bfloat16S0_LN4vllm18Fp8KVCacheDataTypeE0ES0_Li32ELi64ELi256ELb1ELi4EEvPKT_PKT0_S8_ifPKiSA_SA_iPKfiiiPfSD_PS3_PT2_iSC_SC_
		.amdhsa_group_segment_fixed_size 2720
		.amdhsa_private_segment_fixed_size 0
		.amdhsa_kernarg_size 400
		.amdhsa_user_sgpr_count 6
		.amdhsa_user_sgpr_private_segment_buffer 1
		.amdhsa_user_sgpr_dispatch_ptr 0
		.amdhsa_user_sgpr_queue_ptr 0
		.amdhsa_user_sgpr_kernarg_segment_ptr 1
		.amdhsa_user_sgpr_dispatch_id 0
		.amdhsa_user_sgpr_flat_scratch_init 0
		.amdhsa_user_sgpr_kernarg_preload_length 0
		.amdhsa_user_sgpr_kernarg_preload_offset 0
		.amdhsa_user_sgpr_private_segment_size 0
		.amdhsa_uses_dynamic_stack 0
		.amdhsa_system_sgpr_private_segment_wavefront_offset 0
		.amdhsa_system_sgpr_workgroup_id_x 1
		.amdhsa_system_sgpr_workgroup_id_y 1
		.amdhsa_system_sgpr_workgroup_id_z 1
		.amdhsa_system_sgpr_workgroup_info 0
		.amdhsa_system_vgpr_workitem_id 0
		.amdhsa_next_free_vgpr 68
		.amdhsa_next_free_sgpr 40
		.amdhsa_accum_offset 64
		.amdhsa_reserve_vcc 1
		.amdhsa_reserve_flat_scratch 0
		.amdhsa_float_round_mode_32 0
		.amdhsa_float_round_mode_16_64 0
		.amdhsa_float_denorm_mode_32 3
		.amdhsa_float_denorm_mode_16_64 3
		.amdhsa_dx10_clamp 1
		.amdhsa_ieee_mode 1
		.amdhsa_fp16_overflow 0
		.amdhsa_tg_split 0
		.amdhsa_exception_fp_ieee_invalid_op 0
		.amdhsa_exception_fp_denorm_src 0
		.amdhsa_exception_fp_ieee_div_zero 0
		.amdhsa_exception_fp_ieee_overflow 0
		.amdhsa_exception_fp_ieee_underflow 0
		.amdhsa_exception_fp_ieee_inexact 0
		.amdhsa_exception_int_div_zero 0
	.end_amdhsa_kernel
	.section	.text._Z38paged_attention_ll4mi_QKV_mfma4_kernelI14__hip_bfloat16S0_LN4vllm18Fp8KVCacheDataTypeE0ES0_Li32ELi64ELi256ELb1ELi4EEvPKT_PKT0_S8_ifPKiSA_SA_iPKfiiiPfSD_PS3_PT2_iSC_SC_,"axG",@progbits,_Z38paged_attention_ll4mi_QKV_mfma4_kernelI14__hip_bfloat16S0_LN4vllm18Fp8KVCacheDataTypeE0ES0_Li32ELi64ELi256ELb1ELi4EEvPKT_PKT0_S8_ifPKiSA_SA_iPKfiiiPfSD_PS3_PT2_iSC_SC_,comdat
.Lfunc_end251:
	.size	_Z38paged_attention_ll4mi_QKV_mfma4_kernelI14__hip_bfloat16S0_LN4vllm18Fp8KVCacheDataTypeE0ES0_Li32ELi64ELi256ELb1ELi4EEvPKT_PKT0_S8_ifPKiSA_SA_iPKfiiiPfSD_PS3_PT2_iSC_SC_, .Lfunc_end251-_Z38paged_attention_ll4mi_QKV_mfma4_kernelI14__hip_bfloat16S0_LN4vllm18Fp8KVCacheDataTypeE0ES0_Li32ELi64ELi256ELb1ELi4EEvPKT_PKT0_S8_ifPKiSA_SA_iPKfiiiPfSD_PS3_PT2_iSC_SC_
                                        ; -- End function
	.section	.AMDGPU.csdata,"",@progbits
; Kernel info:
; codeLenInByte = 3392
; NumSgprs: 44
; NumVgprs: 62
; NumAgprs: 4
; TotalNumVgprs: 68
; ScratchSize: 0
; MemoryBound: 0
; FloatMode: 240
; IeeeMode: 1
; LDSByteSize: 2720 bytes/workgroup (compile time only)
; SGPRBlocks: 5
; VGPRBlocks: 8
; NumSGPRsForWavesPerEU: 44
; NumVGPRsForWavesPerEU: 68
; AccumOffset: 64
; Occupancy: 7
; WaveLimiterHint : 1
; COMPUTE_PGM_RSRC2:SCRATCH_EN: 0
; COMPUTE_PGM_RSRC2:USER_SGPR: 6
; COMPUTE_PGM_RSRC2:TRAP_HANDLER: 0
; COMPUTE_PGM_RSRC2:TGID_X_EN: 1
; COMPUTE_PGM_RSRC2:TGID_Y_EN: 1
; COMPUTE_PGM_RSRC2:TGID_Z_EN: 1
; COMPUTE_PGM_RSRC2:TIDIG_COMP_CNT: 0
; COMPUTE_PGM_RSRC3_GFX90A:ACCUM_OFFSET: 15
; COMPUTE_PGM_RSRC3_GFX90A:TG_SPLIT: 0
	.section	.text._Z39paged_attention_ll4mi_QKV_mfma16_kernelI14__hip_bfloat16S0_LN4vllm18Fp8KVCacheDataTypeE0ES0_Li32ELi64ELi256ELb1ELi5EL8MFMAType0EEvPKT_PKT0_S9_ifPKiSB_SB_iPKfiiiPfSE_PS4_PT2_iSD_SD_,"axG",@progbits,_Z39paged_attention_ll4mi_QKV_mfma16_kernelI14__hip_bfloat16S0_LN4vllm18Fp8KVCacheDataTypeE0ES0_Li32ELi64ELi256ELb1ELi5EL8MFMAType0EEvPKT_PKT0_S9_ifPKiSB_SB_iPKfiiiPfSE_PS4_PT2_iSD_SD_,comdat
	.protected	_Z39paged_attention_ll4mi_QKV_mfma16_kernelI14__hip_bfloat16S0_LN4vllm18Fp8KVCacheDataTypeE0ES0_Li32ELi64ELi256ELb1ELi5EL8MFMAType0EEvPKT_PKT0_S9_ifPKiSB_SB_iPKfiiiPfSE_PS4_PT2_iSD_SD_ ; -- Begin function _Z39paged_attention_ll4mi_QKV_mfma16_kernelI14__hip_bfloat16S0_LN4vllm18Fp8KVCacheDataTypeE0ES0_Li32ELi64ELi256ELb1ELi5EL8MFMAType0EEvPKT_PKT0_S9_ifPKiSB_SB_iPKfiiiPfSE_PS4_PT2_iSD_SD_
	.globl	_Z39paged_attention_ll4mi_QKV_mfma16_kernelI14__hip_bfloat16S0_LN4vllm18Fp8KVCacheDataTypeE0ES0_Li32ELi64ELi256ELb1ELi5EL8MFMAType0EEvPKT_PKT0_S9_ifPKiSB_SB_iPKfiiiPfSE_PS4_PT2_iSD_SD_
	.p2align	8
	.type	_Z39paged_attention_ll4mi_QKV_mfma16_kernelI14__hip_bfloat16S0_LN4vllm18Fp8KVCacheDataTypeE0ES0_Li32ELi64ELi256ELb1ELi5EL8MFMAType0EEvPKT_PKT0_S9_ifPKiSB_SB_iPKfiiiPfSE_PS4_PT2_iSD_SD_,@function
_Z39paged_attention_ll4mi_QKV_mfma16_kernelI14__hip_bfloat16S0_LN4vllm18Fp8KVCacheDataTypeE0ES0_Li32ELi64ELi256ELb1ELi5EL8MFMAType0EEvPKT_PKT0_S9_ifPKiSB_SB_iPKfiiiPfSE_PS4_PT2_iSD_SD_: ; @_Z39paged_attention_ll4mi_QKV_mfma16_kernelI14__hip_bfloat16S0_LN4vllm18Fp8KVCacheDataTypeE0ES0_Li32ELi64ELi256ELb1ELi5EL8MFMAType0EEvPKT_PKT0_S9_ifPKiSB_SB_iPKfiiiPfSE_PS4_PT2_iSD_SD_
; %bb.0:
	s_load_dwordx2 s[0:1], s[4:5], 0x30
	s_mov_b32 s28, s7
	s_mov_b64 s[10:11], 0
	s_waitcnt lgkmcnt(0)
	s_cmp_lg_u64 s[0:1], 0
	s_cselect_b64 s[2:3], -1, 0
	s_and_b64 vcc, exec, s[2:3]
	s_cbranch_vccz .LBB252_7
; %bb.1:
	s_add_i32 s12, s6, 1
	s_mov_b32 s13, 0
	s_lshl_b64 s[14:15], s[12:13], 2
	s_add_u32 s14, s0, s14
	s_mov_b32 s7, s13
	s_addc_u32 s15, s1, s15
	s_lshl_b64 s[12:13], s[6:7], 2
	s_add_u32 s12, s0, s12
	s_addc_u32 s13, s1, s13
	s_load_dword s9, s[14:15], 0x0
	s_load_dword s16, s[12:13], 0x0
	s_waitcnt lgkmcnt(0)
	s_sub_i32 s9, s9, s16
	s_cmp_eq_u32 s9, 1
	s_cselect_b64 s[12:13], -1, 0
	s_andn2_b64 vcc, exec, s[10:11]
	s_cbranch_vccnz .LBB252_3
.LBB252_2:
	s_mov_b32 s7, 0
	s_mov_b64 s[12:13], -1
.LBB252_3:
	s_andn2_b64 vcc, exec, s[12:13]
	s_cbranch_vccnz .LBB252_22
; %bb.4:
	s_load_dwordx2 s[12:13], s[4:5], 0x28
	s_lshl_b64 s[10:11], s[6:7], 2
	s_waitcnt lgkmcnt(0)
	s_add_u32 s12, s12, s10
	s_addc_u32 s13, s13, s11
	s_load_dword s33, s[12:13], 0x0
	s_lshl_b32 s14, s28, 8
	s_waitcnt lgkmcnt(0)
	s_cmp_ge_i32 s14, s33
	s_cbranch_scc1 .LBB252_22
; %bb.5:
	s_add_i32 s15, s33, 31
	s_load_dwordx2 s[12:13], s[4:5], 0x20
	s_load_dword s9, s[4:5], 0x38
	s_ashr_i32 s16, s15, 31
	v_and_b32_e32 v1, 0xcf, v0
	s_lshr_b32 s16, s16, 27
	v_add_u32_e32 v1, s14, v1
	s_add_i32 s15, s15, s16
	v_ashrrev_i32_e32 v2, 31, v1
	s_ashr_i32 s17, s15, 5
	v_lshrrev_b32_e32 v6, 27, v2
	s_add_i32 s17, s17, -1
	v_add_u32_e32 v2, v1, v6
	s_waitcnt lgkmcnt(0)
	s_mul_i32 s18, s6, s9
	s_mov_b32 s19, 0
	v_ashrrev_i32_e32 v2, 5, v2
	v_mov_b32_e32 v7, s17
	v_cmp_gt_i32_e32 vcc, s33, v1
	s_lshl_b64 s[18:19], s[18:19], 2
	v_cndmask_b32_e32 v2, v7, v2, vcc
	s_add_u32 s15, s12, s18
	v_ashrrev_i32_e32 v3, 31, v2
	s_addc_u32 s16, s13, s19
	v_lshlrev_b64 v[2:3], 2, v[2:3]
	v_mov_b32_e32 v4, s16
	v_add_co_u32_e32 v2, vcc, s15, v2
	v_addc_co_u32_e32 v3, vcc, v4, v3, vcc
	v_or_b32_e32 v4, 16, v1
	v_add_u32_e32 v5, v4, v6
	v_ashrrev_i32_e32 v5, 5, v5
	v_cmp_gt_i32_e32 vcc, s33, v4
	v_cndmask_b32_e32 v4, v7, v5, vcc
	v_ashrrev_i32_e32 v5, 31, v4
	v_lshlrev_b64 v[4:5], 2, v[4:5]
	v_mov_b32_e32 v9, s16
	v_add_co_u32_e32 v8, vcc, s15, v4
	v_or_b32_e32 v4, 32, v1
	v_addc_co_u32_e32 v9, vcc, v9, v5, vcc
	v_add_u32_e32 v5, v4, v6
	v_ashrrev_i32_e32 v5, 5, v5
	v_cmp_gt_i32_e32 vcc, s33, v4
	v_cndmask_b32_e32 v4, v7, v5, vcc
	v_ashrrev_i32_e32 v5, 31, v4
	v_lshlrev_b64 v[4:5], 2, v[4:5]
	v_mov_b32_e32 v11, s16
	v_add_co_u32_e32 v10, vcc, s15, v4
	v_or_b32_e32 v1, 48, v1
	v_addc_co_u32_e32 v11, vcc, v11, v5, vcc
	v_add_u32_e32 v4, v1, v6
	v_ashrrev_i32_e32 v4, 5, v4
	v_cmp_gt_i32_e32 vcc, s33, v1
	v_cndmask_b32_e32 v4, v7, v4, vcc
	v_ashrrev_i32_e32 v5, 31, v4
	v_lshlrev_b64 v[4:5], 2, v[4:5]
	v_mov_b32_e32 v1, s16
	v_add_co_u32_e32 v12, vcc, s15, v4
	v_addc_co_u32_e32 v13, vcc, v1, v5, vcc
	global_load_dword v7, v[2:3], off
	global_load_dword v6, v[8:9], off
	;; [unrolled: 1-line block ×4, first 2 shown]
	s_andn2_b64 vcc, exec, s[2:3]
	s_cbranch_vccnz .LBB252_8
; %bb.6:
	s_add_u32 s0, s0, s10
	s_addc_u32 s1, s1, s11
	s_load_dword s9, s[0:1], 0x0
	s_branch .LBB252_9
.LBB252_7:
	s_mov_b64 s[12:13], 0
	s_branch .LBB252_2
.LBB252_8:
	s_mov_b32 s9, s6
.LBB252_9:
	s_load_dwordx2 s[10:11], s[4:5], 0x8
	s_load_dwordx4 s[44:47], s[4:5], 0x48
	v_lshrrev_b32_e32 v53, 6, v0
	v_bfe_u32 v1, v0, 4, 2
	v_lshl_or_b32 v8, v53, 2, v1
	v_and_b32_e32 v52, 15, v0
	v_cmp_lt_u32_e32 vcc, 4, v8
	v_cmp_lt_u32_e64 s[2:3], 7, v52
	v_lshlrev_b32_e32 v2, 3, v52
	v_cmp_gt_u32_e64 s[0:1], 8, v52
	s_or_b64 s[2:3], s[2:3], vcc
	s_and_saveexec_b64 s[12:13], s[2:3]
	s_xor_b64 s[2:3], exec, s[12:13]
; %bb.10:
	v_mov_b32_e32 v3, 0
                                        ; implicit-def: $vgpr8
; %bb.11:
	s_or_saveexec_b64 s[12:13], s[2:3]
	s_load_dwordx2 s[2:3], s[4:5], 0x10
	s_mul_i32 s29, s8, 5
	s_xor_b64 exec, exec, s[12:13]
	s_cbranch_execz .LBB252_13
; %bb.12:
	s_load_dwordx2 s[18:19], s[4:5], 0x0
	s_waitcnt lgkmcnt(0)
	s_ashr_i32 s20, s44, 31
	s_mul_hi_u32 s21, s9, s44
	s_mul_i32 s20, s9, s20
	s_add_i32 s21, s21, s20
	s_mul_i32 s20, s9, s44
	s_lshl_b64 s[20:21], s[20:21], 1
	v_add_lshl_u32 v10, v8, s29, 6
	s_add_u32 s9, s18, s20
	v_ashrrev_i32_e32 v11, 31, v10
	s_addc_u32 s18, s19, s21
	v_lshlrev_b64 v[10:11], 1, v[10:11]
	v_mov_b32_e32 v3, s18
	v_add_co_u32_e32 v9, vcc, s9, v10
	v_addc_co_u32_e32 v3, vcc, v3, v11, vcc
	v_lshlrev_b32_e32 v10, 1, v2
	v_add_co_u32_e32 v10, vcc, v9, v10
	v_addc_co_u32_e32 v11, vcc, 0, v3, vcc
	global_load_dwordx4 v[10:13], v[10:11], off
	v_and_b32_e32 v9, 3, v0
	v_lshlrev_b32_e32 v14, 9, v52
	v_lshlrev_b32_e32 v8, 5, v8
	v_lshlrev_b32_e32 v9, 9, v9
	v_and_b32_e32 v14, 0x1800, v14
	v_mov_b32_e32 v3, 0
	v_or3_b32 v8, v14, v9, v8
	s_waitcnt vmcnt(0)
	ds_write_b128 v8, v[10:13]
.LBB252_13:
	s_or_b64 exec, exec, s[12:13]
	s_waitcnt lgkmcnt(0)
	s_mul_i32 s8, s8, s46
	s_mov_b32 s9, 0
	s_lshl_b64 s[8:9], s[8:9], 1
	s_add_u32 s12, s10, s8
	s_addc_u32 s13, s11, s9
	s_waitcnt vmcnt(3)
	v_mad_i64_i32 v[8:9], s[10:11], v7, s45, 0
	v_lshlrev_b64 v[8:9], 1, v[8:9]
	v_mov_b32_e32 v7, s13
	v_add_co_u32_e32 v8, vcc, s12, v8
	v_addc_co_u32_e32 v7, vcc, v7, v9, vcc
	v_lshlrev_b64 v[42:43], 1, v[2:3]
	v_add_co_u32_e32 v2, vcc, v8, v42
	v_lshlrev_b32_e32 v24, 9, v1
	v_addc_co_u32_e32 v3, vcc, v7, v43, vcc
	v_add_co_u32_e32 v2, vcc, v2, v24
	v_addc_co_u32_e32 v3, vcc, 0, v3, vcc
	s_barrier
	global_load_dwordx4 v[38:41], v[2:3], off
	global_load_dwordx4 v[34:37], v[2:3], off offset:2048
	s_waitcnt vmcnt(4)
	v_mad_i64_i32 v[2:3], s[10:11], v6, s45, 0
	v_lshlrev_b64 v[2:3], 1, v[2:3]
	v_mov_b32_e32 v6, s13
	v_add_co_u32_e32 v2, vcc, s12, v2
	v_addc_co_u32_e32 v3, vcc, v6, v3, vcc
	v_mov_b32_e32 v6, 0x100
	v_lshl_or_b32 v18, v52, 4, v6
	v_add_co_u32_e32 v2, vcc, v2, v18
	v_addc_co_u32_e32 v3, vcc, 0, v3, vcc
	v_add_co_u32_e32 v2, vcc, v2, v24
	v_addc_co_u32_e32 v3, vcc, 0, v3, vcc
	global_load_dwordx4 v[30:33], v[2:3], off
	global_load_dwordx4 v[14:17], v[2:3], off offset:2048
	s_waitcnt vmcnt(5)
	v_mad_i64_i32 v[2:3], s[10:11], v5, s45, 0
	v_lshlrev_b64 v[2:3], 1, v[2:3]
	v_mov_b32_e32 v5, s13
	v_add_co_u32_e32 v2, vcc, s12, v2
	v_addc_co_u32_e32 v3, vcc, v5, v3, vcc
	v_add_co_u32_e32 v2, vcc, v2, v42
	v_addc_co_u32_e32 v3, vcc, v3, v43, vcc
	;; [unrolled: 2-line block ×3, first 2 shown]
	global_load_dwordx4 v[10:13], v[2:3], off
	global_load_dwordx4 v[6:9], v[2:3], off offset:2048
	s_waitcnt vmcnt(6)
	v_mad_i64_i32 v[2:3], s[10:11], v4, s45, 0
	v_lshlrev_b64 v[2:3], 1, v[2:3]
	v_mov_b32_e32 v4, s13
	v_add_co_u32_e32 v2, vcc, s12, v2
	v_addc_co_u32_e32 v3, vcc, v4, v3, vcc
	v_add_co_u32_e32 v2, vcc, v2, v18
	v_addc_co_u32_e32 v3, vcc, 0, v3, vcc
	;; [unrolled: 2-line block ×3, first 2 shown]
	global_load_dwordx4 v[2:5], v[22:23], off
	global_load_dwordx4 v[18:21], v[22:23], off offset:2048
	v_mul_lo_u16_e32 v22, 52, v52
	v_mov_b32_e32 v23, 5
	v_mul_lo_u16_sdwa v22, v22, v23 dst_sel:DWORD dst_unused:UNUSED_PAD src0_sel:BYTE_1 src1_sel:DWORD
	v_sub_u16_e32 v22, v52, v22
	v_and_b32_e32 v22, 0xff, v22
	v_lshl_add_u32 v22, v22, 5, v24
	ds_read_b128 v[26:29], v22
	ds_read_b128 v[22:25], v22 offset:2048
	v_and_b32_e32 v54, 63, v0
	v_cmp_gt_u32_e32 vcc, 5, v52
	v_mov_b32_e32 v50, 0
	s_and_saveexec_b64 s[10:11], vcc
	s_cbranch_execz .LBB252_15
; %bb.14:
	s_load_dwordx2 s[12:13], s[4:5], 0x40
	v_add_u32_e32 v44, s29, v52
	v_ashrrev_i32_e32 v45, 31, v44
	v_lshlrev_b64 v[44:45], 2, v[44:45]
	s_waitcnt lgkmcnt(0)
	v_mov_b32_e32 v46, s13
	v_add_co_u32_e32 v44, vcc, s12, v44
	v_addc_co_u32_e32 v45, vcc, v46, v45, vcc
	global_load_dword v50, v[44:45], off
.LBB252_15:
	s_or_b64 exec, exec, s[10:11]
	s_waitcnt vmcnt(7) lgkmcnt(1)
	v_mfma_f32_16x16x16bf16_1k v[44:47], v[38:39], v[26:27], 0
	s_ashr_i32 s10, s14, 31
	s_lshr_b32 s11, s10, 27
	v_mov_b32_e32 v49, s16
	s_add_u32 s2, s2, s8
	s_addc_u32 s3, s3, s9
	s_load_dword s10, s[4:5], 0x1c
	s_mov_b32 s42, 0xff7fffff
	v_mfma_f32_16x16x16bf16_1k v[38:41], v[40:41], v[28:29], v[44:47]
	s_waitcnt vmcnt(6) lgkmcnt(0)
	v_mfma_f32_16x16x16bf16_1k v[38:41], v[34:35], v[22:23], v[38:41]
	s_nop 4
	v_and_or_b32 v46, v0, 48, s14
	v_add_u32_e32 v34, s11, v46
	v_ashrrev_i32_e32 v34, 5, v34
	v_mov_b32_e32 v47, s17
	v_cmp_gt_i32_e32 vcc, s33, v46
	v_cndmask_b32_e32 v34, v47, v34, vcc
	v_ashrrev_i32_e32 v35, 31, v34
	v_lshlrev_b64 v[44:45], 2, v[34:35]
	v_mfma_f32_16x16x16bf16_1k v[34:37], v[36:37], v[24:25], v[38:41]
	s_nop 6
	v_mov_b32_e32 v39, s16
	v_add_co_u32_e32 v38, vcc, s15, v44
	v_addc_co_u32_e32 v39, vcc, v39, v45, vcc
	global_load_dword v48, v[38:39], off
	s_waitcnt vmcnt(6)
	v_mfma_f32_16x16x16bf16_1k v[38:41], v[30:31], v[26:27], 0
	v_or_b32_e32 v44, 64, v46
	v_add_u32_e32 v30, s11, v44
	v_ashrrev_i32_e32 v30, 5, v30
	v_cmp_gt_i32_e32 vcc, s33, v44
	v_cndmask_b32_e32 v30, v47, v30, vcc
	v_ashrrev_i32_e32 v31, 31, v30
	v_lshlrev_b64 v[44:45], 2, v[30:31]
	v_mfma_f32_16x16x16bf16_1k v[30:33], v[32:33], v[28:29], v[38:41]
	s_nop 6
	v_add_co_u32_e32 v38, vcc, s15, v44
	v_addc_co_u32_e32 v39, vcc, v49, v45, vcc
	global_load_dword v40, v[38:39], off
	v_or_b32_e32 v38, 0x80, v46
	v_add_u32_e32 v39, s11, v38
	v_ashrrev_i32_e32 v39, 5, v39
	v_cmp_gt_i32_e32 vcc, s33, v38
	v_cndmask_b32_e32 v38, v47, v39, vcc
	v_ashrrev_i32_e32 v39, 31, v38
	s_waitcnt vmcnt(6)
	v_mfma_f32_16x16x16bf16_1k v[30:33], v[14:15], v[22:23], v[30:33]
	v_lshlrev_b64 v[14:15], 2, v[38:39]
	v_mov_b32_e32 v38, s16
	v_add_co_u32_e32 v14, vcc, s15, v14
	v_addc_co_u32_e32 v15, vcc, v38, v15, vcc
	global_load_dword v41, v[14:15], off
	v_mfma_f32_16x16x16bf16_1k v[30:33], v[16:17], v[24:25], v[30:33]
	v_or_b32_e32 v38, 0xc0, v46
	v_cmp_gt_i32_e32 vcc, s33, v38
	v_mov_b32_e32 v44, s16
	s_waitcnt vmcnt(6)
	v_mfma_f32_16x16x16bf16_1k v[14:17], v[10:11], v[26:27], 0
	v_add_u32_e32 v10, s11, v38
	v_ashrrev_i32_e32 v10, 5, v10
	v_cndmask_b32_e32 v10, v47, v10, vcc
	v_ashrrev_i32_e32 v11, 31, v10
	v_lshlrev_b64 v[38:39], 2, v[10:11]
	s_nop 0
	v_pk_mul_f32 v[46:47], s[10:11], v[30:31] op_sel_hi:[0,1]
	v_mfma_f32_16x16x16bf16_1k v[10:13], v[12:13], v[28:29], v[14:17]
	s_nop 6
	v_add_co_u32_e32 v14, vcc, s15, v38
	s_waitcnt vmcnt(5)
	v_mfma_f32_16x16x16bf16_1k v[10:13], v[6:7], v[22:23], v[10:13]
	v_addc_co_u32_e32 v15, vcc, v44, v39, vcc
	global_load_dword v51, v[14:15], off
	v_and_b32_e32 v14, 16, v0
	v_lshlrev_b32_e32 v14, 1, v14
	v_mov_b32_e32 v6, s3
	v_add_co_u32_e32 v7, vcc, s2, v14
	v_lshlrev_b32_e32 v14, 6, v52
	v_addc_co_u32_e32 v6, vcc, 0, v6, vcc
	v_lshl_or_b32 v14, v53, 10, v14
	v_add_co_u32_e32 v55, vcc, v7, v14
	v_addc_co_u32_e32 v60, vcc, 0, v6, vcc
	v_mfma_f32_16x16x16bf16_1k v[56:59], v[8:9], v[24:25], v[10:13]
	s_waitcnt vmcnt(3)
	v_mad_i64_i32 v[6:7], s[2:3], v48, s45, 0
	v_pk_mul_f32 v[48:49], s[10:11], v[36:37] op_sel_hi:[0,1]
	v_pk_mul_f32 v[44:45], s[10:11], v[32:33] op_sel_hi:[0,1]
	s_waitcnt vmcnt(1)
	v_mad_i64_i32 v[38:39], s[2:3], v41, s45, 0
	s_nop 0
	v_lshlrev_b64 v[10:11], 1, v[6:7]
	v_mfma_f32_16x16x16bf16_1k v[6:9], v[2:3], v[26:27], 0
	v_add_co_u32_e32 v2, vcc, v55, v10
	v_addc_co_u32_e32 v3, vcc, v60, v11, vcc
	global_load_dwordx4 v[14:17], v[2:3], off
	global_load_dwordx4 v[10:13], v[2:3], off offset:16
	v_mad_i64_i32 v[2:3], s[2:3], v40, s45, 0
	v_mfma_f32_16x16x16bf16_1k v[26:29], v[4:5], v[28:29], v[6:9]
	v_lshlrev_b64 v[2:3], 1, v[2:3]
	v_add_co_u32_e32 v2, vcc, v55, v2
	v_addc_co_u32_e32 v3, vcc, v60, v3, vcc
	v_lshlrev_b64 v[38:39], 1, v[38:39]
	v_pk_mul_f32 v[40:41], s[10:11], v[56:57] op_sel_hi:[0,1]
	v_mfma_f32_16x16x16bf16_1k v[26:29], v[18:19], v[22:23], v[26:29]
	v_pk_mul_f32 v[18:19], s[10:11], v[34:35] op_sel_hi:[0,1]
	v_add_co_u32_e32 v22, vcc, v55, v38
	v_addc_co_u32_e32 v23, vcc, v60, v39, vcc
	v_pk_mul_f32 v[38:39], s[10:11], v[58:59] op_sel_hi:[0,1]
	global_load_dwordx4 v[6:9], v[2:3], off
	s_nop 0
	global_load_dwordx4 v[2:5], v[2:3], off offset:16
	v_mfma_f32_16x16x16bf16_1k v[24:27], v[20:21], v[24:25], v[26:29]
	v_and_b32_e32 v20, 0xc0, v0
	v_add_u32_e32 v20, s14, v20
	v_lshl_or_b32 v20, v1, 2, v20
	v_or_b32_e32 v21, 1, v20
	v_cmp_gt_i32_e64 s[30:31], s33, v20
	v_cmp_gt_i32_e64 s[34:35], s33, v21
	s_nop 4
	v_pk_mul_f32 v[36:37], s[10:11], v[24:25] op_sel_hi:[0,1]
	v_subrev_u32_e32 v24, s33, v21
	v_pk_mul_f32 v[34:35], s[10:11], v[26:27] op_sel_hi:[0,1]
	v_add_u32_e32 v26, 1, v24
	v_add_u32_e32 v27, 2, v24
	v_cvt_f32_i32_e32 v25, v24
	v_cvt_f32_i32_e32 v26, v26
	;; [unrolled: 1-line block ×3, first 2 shown]
	v_add_u32_e32 v28, 3, v24
	v_fma_f32 v18, v50, v25, v18
	v_fmac_f32_e32 v19, v50, v26
	v_fma_f32 v48, v50, v27, v48
	v_add_u32_e32 v25, 16, v24
	v_add_u32_e32 v26, 17, v24
	;; [unrolled: 1-line block ×3, first 2 shown]
	v_cvt_f32_i32_e32 v28, v28
	v_cvt_f32_i32_e32 v25, v25
	;; [unrolled: 1-line block ×4, first 2 shown]
	v_fmac_f32_e32 v49, v50, v28
	v_add_u32_e32 v28, 19, v24
	v_fma_f32 v46, v50, v25, v46
	v_fmac_f32_e32 v47, v50, v26
	v_fma_f32 v44, v50, v27, v44
	v_add_u32_e32 v25, 32, v24
	v_add_u32_e32 v26, 33, v24
	;; [unrolled: 1-line block ×3, first 2 shown]
	v_cvt_f32_i32_e32 v28, v28
	v_cvt_f32_i32_e32 v25, v25
	;; [unrolled: 1-line block ×4, first 2 shown]
	v_fmac_f32_e32 v45, v50, v28
	v_add_u32_e32 v28, 35, v24
	v_fma_f32 v40, v50, v25, v40
	v_fmac_f32_e32 v41, v50, v26
	v_fma_f32 v38, v50, v27, v38
	v_add_u32_e32 v25, 48, v24
	v_add_u32_e32 v26, 49, v24
	;; [unrolled: 1-line block ×4, first 2 shown]
	v_cvt_f32_i32_e32 v24, v24
	v_cvt_f32_i32_e32 v25, v25
	;; [unrolled: 1-line block ×4, first 2 shown]
	v_fmac_f32_e32 v35, v50, v24
	v_mov_b32_e32 v24, 0xff7fffff
	v_fma_f32 v36, v50, v25, v36
	v_cndmask_b32_e64 v25, v24, v18, s[30:31]
	v_cndmask_b32_e64 v21, v24, v19, s[34:35]
	v_fmac_f32_e32 v37, v50, v26
	v_max3_f32 v21, v25, s42, v21
	v_or_b32_e32 v25, 2, v20
	v_or_b32_e32 v26, 3, v20
	v_cmp_gt_i32_e64 s[36:37], s33, v25
	v_cmp_gt_i32_e64 s[38:39], s33, v26
	v_cndmask_b32_e64 v25, v24, v48, s[36:37]
	v_cndmask_b32_e64 v26, v24, v49, s[38:39]
	v_max3_f32 v21, v21, v25, v26
	v_or_b32_e32 v25, 16, v20
	v_or_b32_e32 v26, 17, v20
	v_cmp_gt_i32_e64 s[24:25], s33, v25
	v_cmp_gt_i32_e64 s[26:27], s33, v26
	v_cndmask_b32_e64 v25, v24, v46, s[24:25]
	v_cndmask_b32_e64 v26, v24, v47, s[26:27]
	;; [unrolled: 7-line block ×4, first 2 shown]
	v_max3_f32 v21, v21, v25, v26
	v_or_b32_e32 v25, 34, v20
	v_or_b32_e32 v26, 35, v20
	v_fmac_f32_e32 v39, v50, v28
	v_cmp_gt_i32_e64 s[12:13], s33, v25
	v_cmp_gt_i32_e64 s[14:15], s33, v26
	v_cndmask_b32_e64 v25, v24, v38, s[12:13]
	v_cndmask_b32_e64 v26, v24, v39, s[14:15]
	v_cvt_f32_i32_e32 v27, v27
	v_max3_f32 v21, v21, v25, v26
	v_or_b32_e32 v25, 48, v20
	v_or_b32_e32 v26, 49, v20
	v_cmp_gt_i32_e64 s[8:9], s33, v25
	v_cmp_gt_i32_e64 s[10:11], s33, v26
	v_cndmask_b32_e64 v25, v24, v36, s[8:9]
	v_cndmask_b32_e64 v26, v24, v37, s[10:11]
	v_max3_f32 v21, v21, v25, v26
	v_or_b32_e32 v25, 50, v20
	v_or_b32_e32 v20, 51, v20
	v_fma_f32 v34, v50, v27, v34
	v_cmp_gt_i32_e32 vcc, s33, v25
	v_cmp_gt_i32_e64 s[2:3], s33, v20
	v_cndmask_b32_e32 v25, v24, v34, vcc
	v_cndmask_b32_e64 v20, v24, v35, s[2:3]
	v_max3_f32 v26, v21, v25, v20
	v_mbcnt_lo_u32_b32 v20, -1, 0
	v_mbcnt_hi_u32_b32 v27, -1, v20
	v_and_b32_e32 v20, 64, v27
	v_add_u32_e32 v28, 64, v20
	v_xor_b32_e32 v20, 32, v27
	v_cmp_lt_i32_e64 s[40:41], v20, v28
	v_cndmask_b32_e64 v20, v27, v20, s[40:41]
	v_lshlrev_b32_e32 v56, 2, v20
	ds_bpermute_b32 v29, v56, v26
	s_waitcnt vmcnt(4)
	v_mad_i64_i32 v[20:21], s[40:41], v51, s45, 0
	v_lshlrev_b64 v[20:21], 1, v[20:21]
	global_load_dwordx4 v[30:33], v[22:23], off
	s_nop 0
	global_load_dwordx4 v[22:25], v[22:23], off offset:16
	s_waitcnt lgkmcnt(0)
	v_max_f32_e32 v29, v29, v29
	v_max_f32_e32 v26, v26, v29
	v_xor_b32_e32 v29, 16, v27
	v_cmp_lt_i32_e64 s[40:41], v29, v28
	v_cndmask_b32_e64 v27, v27, v29, s[40:41]
	v_lshlrev_b32_e32 v58, 2, v27
	ds_bpermute_b32 v27, v58, v26
	v_add_co_u32_e64 v20, s[40:41], v55, v20
	v_addc_co_u32_e64 v21, s[40:41], v60, v21, s[40:41]
	s_waitcnt lgkmcnt(0)
	v_max_f32_e32 v27, v27, v27
	v_max_f32_e32 v55, v26, v27
	v_sub_f32_e32 v18, v18, v55
	v_mul_f32_e32 v18, 0x3fb8aa3b, v18
	v_exp_f32_e32 v50, v18
	v_sub_f32_e32 v18, v19, v55
	v_mul_f32_e32 v18, 0x3fb8aa3b, v18
	v_exp_f32_e32 v51, v18
	global_load_dwordx4 v[26:29], v[20:21], off
	s_nop 0
	global_load_dwordx4 v[18:21], v[20:21], off offset:16
	v_sub_f32_e32 v48, v48, v55
	v_mul_f32_e32 v48, 0x3fb8aa3b, v48
	v_sub_f32_e32 v49, v49, v55
	v_exp_f32_e32 v48, v48
	v_mul_f32_e32 v49, 0x3fb8aa3b, v49
	v_sub_f32_e32 v46, v46, v55
	v_exp_f32_e32 v49, v49
	v_mul_f32_e32 v46, 0x3fb8aa3b, v46
	v_sub_f32_e32 v47, v47, v55
	v_cndmask_b32_e64 v50, 0, v50, s[30:31]
	v_exp_f32_e32 v46, v46
	v_mul_f32_e32 v47, 0x3fb8aa3b, v47
	v_sub_f32_e32 v44, v44, v55
	v_add_f32_e32 v57, 0, v50
	v_cndmask_b32_e64 v51, 0, v51, s[34:35]
	v_exp_f32_e32 v47, v47
	v_mul_f32_e32 v44, 0x3fb8aa3b, v44
	v_sub_f32_e32 v45, v45, v55
	v_add_f32_e32 v57, v57, v51
	;; [unrolled: 5-line block ×10, first 2 shown]
	v_cndmask_b32_e64 v38, 0, v38, s[12:13]
	v_exp_f32_e32 v34, v34
	v_mul_f32_e32 v35, 0x3fb8aa3b, v35
	v_add_f32_e32 v57, v57, v38
	v_cndmask_b32_e64 v39, 0, v39, s[14:15]
	v_exp_f32_e32 v35, v35
	v_add_f32_e32 v57, v57, v39
	v_cndmask_b32_e64 v36, 0, v36, s[8:9]
	v_add_f32_e32 v57, v57, v36
	v_cndmask_b32_e64 v37, 0, v37, s[10:11]
	v_add_f32_e32 v57, v57, v37
	v_cndmask_b32_e32 v34, 0, v34, vcc
	v_add_f32_e32 v57, v57, v34
	v_cndmask_b32_e64 v35, 0, v35, s[2:3]
	v_add_f32_e32 v57, v57, v35
	ds_bpermute_b32 v56, v56, v57
	s_load_dword s11, s[4:5], 0x98
	v_cmp_gt_u32_e64 s[2:3], 16, v54
	s_waitcnt lgkmcnt(0)
	s_barrier
	v_add_f32_e32 v57, v57, v56
	ds_bpermute_b32 v58, v58, v57
	v_lshlrev_b32_e32 v56, 2, v52
	s_waitcnt lgkmcnt(0)
	s_and_saveexec_b64 s[8:9], s[2:3]
	s_cbranch_execz .LBB252_17
; %bb.16:
	v_add_f32_e32 v54, v57, v58
	v_lshl_or_b32 v57, v53, 6, v56
	ds_write2st64_b32 v57, v55, v54 offset1:1
.LBB252_17:
	s_or_b64 exec, exec, s[8:9]
	s_load_dword s10, s[4:5], 0x94
	s_waitcnt lgkmcnt(0)
	s_barrier
	ds_read2_b32 v[58:59], v56 offset1:16
	ds_read2_b32 v[60:61], v56 offset0:32 offset1:48
	ds_read2_b32 v[62:63], v56 offset0:64 offset1:80
	;; [unrolled: 1-line block ×3, first 2 shown]
	s_movk_i32 s12, 0x7fff
	s_waitcnt lgkmcnt(3)
	v_max3_f32 v54, v58, s42, v59
	s_waitcnt lgkmcnt(2)
	v_max3_f32 v54, v54, v60, v61
	v_sub_f32_e32 v55, v58, v54
	v_mul_f32_e32 v55, 0x3fb8aa3b, v55
	v_exp_f32_e32 v58, v55
	v_sub_f32_e32 v55, v59, v54
	v_mul_f32_e32 v55, 0x3fb8aa3b, v55
	v_exp_f32_e32 v59, v55
	;; [unrolled: 3-line block ×4, first 2 shown]
	s_waitcnt lgkmcnt(1)
	v_fma_f32 v55, v58, v62, 0
	v_fmac_f32_e32 v55, v59, v63
	s_waitcnt lgkmcnt(0)
	v_fmac_f32_e32 v55, v60, v56
	v_fmac_f32_e32 v55, v61, v57
	v_add_f32_e32 v56, 0x358637bd, v55
	v_div_scale_f32 v57, s[8:9], v56, v56, 1.0
	v_rcp_f32_e32 v62, v57
	s_mov_b32 s13, 0x7060302
	s_mul_i32 s11, s11, 5
	v_fma_f32 v63, -v57, v62, 1.0
	v_fmac_f32_e32 v62, v63, v62
	v_div_scale_f32 v63, vcc, 1.0, v56, 1.0
	v_mul_f32_e32 v64, v63, v62
	v_fma_f32 v65, -v57, v64, v63
	v_fmac_f32_e32 v64, v65, v62
	v_fma_f32 v57, -v57, v64, v63
	v_div_fmas_f32 v57, v57, v62, v64
	v_cmp_eq_u32_e32 vcc, 1, v53
	v_div_fixup_f32 v56, v57, v56, 1.0
	v_cndmask_b32_e32 v57, v58, v59, vcc
	v_cmp_eq_u32_e32 vcc, 2, v53
	v_cndmask_b32_e32 v57, v57, v60, vcc
	v_cmp_eq_u32_e32 vcc, 3, v53
	v_cndmask_b32_e32 v57, v57, v61, vcc
	v_mul_f32_e32 v56, v57, v56
	v_pk_mul_f32 v[50:51], v[56:57], v[50:51] op_sel_hi:[0,1]
	v_pk_mul_f32 v[48:49], v[56:57], v[48:49] op_sel_hi:[0,1]
	v_bfe_u32 v57, v51, 16, 1
	v_bfe_u32 v58, v50, 16, 1
	v_add3_u32 v50, v50, v58, s12
	v_add3_u32 v51, v51, v57, s12
	v_perm_b32 v50, v51, v50, s13
	v_bfe_u32 v51, v49, 16, 1
	v_bfe_u32 v57, v48, 16, 1
	v_add3_u32 v48, v48, v57, s12
	v_add3_u32 v49, v49, v51, s12
	v_perm_b32 v51, v49, v48, s13
	v_lshlrev_b32_e32 v48, 3, v1
	v_lshlrev_b32_e32 v49, 5, v52
	;; [unrolled: 1-line block ×3, first 2 shown]
	v_pk_mul_f32 v[46:47], v[56:57], v[46:47] op_sel_hi:[0,1]
	v_or3_b32 v48, v53, v49, v48
	v_pk_mul_f32 v[44:45], v[56:57], v[44:45] op_sel_hi:[0,1]
	v_bfe_u32 v53, v47, 16, 1
	v_bfe_u32 v57, v46, 16, 1
	v_add3_u32 v46, v46, v57, s12
	v_add3_u32 v47, v47, v53, s12
	v_perm_b32 v46, v47, v46, s13
	v_bfe_u32 v47, v45, 16, 1
	v_bfe_u32 v53, v44, 16, 1
	v_add3_u32 v44, v44, v53, s12
	v_add3_u32 v45, v45, v47, s12
	v_pk_mul_f32 v[40:41], v[56:57], v[40:41] op_sel_hi:[0,1]
	v_perm_b32 v47, v45, v44, s13
	v_bfe_u32 v44, v41, 16, 1
	v_bfe_u32 v45, v40, 16, 1
	v_pk_mul_f32 v[38:39], v[56:57], v[38:39] op_sel_hi:[0,1]
	v_add3_u32 v40, v40, v45, s12
	v_add3_u32 v41, v41, v44, s12
	v_perm_b32 v40, v41, v40, s13
	v_bfe_u32 v41, v39, 16, 1
	v_bfe_u32 v44, v38, 16, 1
	v_add3_u32 v38, v38, v44, s12
	v_add3_u32 v39, v39, v41, s12
	v_pk_mul_f32 v[36:37], v[56:57], v[36:37] op_sel_hi:[0,1]
	v_perm_b32 v41, v39, v38, s13
	v_bfe_u32 v38, v37, 16, 1
	v_bfe_u32 v39, v36, 16, 1
	v_pk_mul_f32 v[34:35], v[56:57], v[34:35] op_sel_hi:[0,1]
	v_add3_u32 v36, v36, v39, s12
	v_add3_u32 v37, v37, v38, s12
	v_perm_b32 v36, v37, v36, s13
	v_bfe_u32 v37, v35, 16, 1
	v_bfe_u32 v38, v34, 16, 1
	v_add3_u32 v34, v34, v38, s12
	v_add3_u32 v35, v35, v37, s12
	v_perm_b32 v37, v35, v34, s13
	v_cmp_gt_u32_e32 vcc, 5, v0
	s_barrier
	ds_write2st64_b64 v48, v[50:51], v[46:47] offset1:1
	ds_write2st64_b64 v48, v[40:41], v[36:37] offset0:2 offset1:3
	s_and_saveexec_b64 s[8:9], vcc
	s_cbranch_execz .LBB252_19
; %bb.18:
	v_add_co_u32_e32 v36, vcc, s29, v52
	v_addc_co_u32_e64 v37, s[14:15], 0, 0, vcc
	v_mov_b32_e32 v34, s11
	v_mov_b32_e32 v35, 0
	v_mad_u64_u32 v[36:37], s[14:15], s6, v34, v[36:37]
	v_mov_b32_e32 v34, s28
	s_load_dwordx4 s[16:19], s[4:5], 0x58
	s_mul_i32 s7, s7, s11
	v_mad_u64_u32 v[34:35], s[14:15], v36, s10, v[34:35]
	v_add_u32_e32 v37, s7, v37
	v_mov_b32_e32 v36, v35
	v_mad_u64_u32 v[36:37], s[14:15], v37, s10, v[36:37]
	v_mov_b32_e32 v35, v36
	v_lshlrev_b64 v[34:35], 2, v[34:35]
	s_waitcnt lgkmcnt(0)
	v_mov_b32_e32 v37, s19
	v_add_co_u32_e32 v36, vcc, s18, v34
	v_addc_co_u32_e32 v37, vcc, v37, v35, vcc
	global_store_dword v[36:37], v54, off
	v_mov_b32_e32 v36, s17
	v_add_co_u32_e32 v34, vcc, s16, v34
	v_addc_co_u32_e32 v35, vcc, v36, v35, vcc
	global_store_dword v[34:35], v55, off
.LBB252_19:
	s_or_b64 exec, exec, s[8:9]
	v_lshl_or_b32 v49, v1, 9, v49
	s_waitcnt lgkmcnt(0)
	s_barrier
	ds_read_b128 v[34:37], v49
	ds_read_b128 v[38:41], v49 offset:16
	s_waitcnt vmcnt(7) lgkmcnt(1)
	v_mfma_f32_16x16x16bf16_1k v[44:47], v[14:15], v[34:35], 0
	v_cmp_gt_u32_e32 vcc, 64, v0
	s_mov_b32 s7, 0
	s_and_b64 s[0:1], vcc, s[0:1]
	v_mfma_f32_16x16x16bf16_1k v[14:17], v[16:17], v[36:37], v[44:47]
	s_waitcnt vmcnt(6) lgkmcnt(0)
	v_mfma_f32_16x16x16bf16_1k v[14:17], v[10:11], v[38:39], v[14:17]
	v_mfma_f32_16x16x16bf16_1k v[10:13], v[12:13], v[40:41], v[14:17]
	s_nop 7
	s_nop 1
	ds_read_b128 v[14:17], v49 offset:2048
	ds_read_b128 v[34:37], v49 offset:2064
	s_waitcnt vmcnt(5) lgkmcnt(1)
	v_mfma_f32_16x16x16bf16_1k v[10:13], v[6:7], v[14:15], v[10:13]
	v_mfma_f32_16x16x16bf16_1k v[6:9], v[8:9], v[16:17], v[10:13]
	s_waitcnt vmcnt(4) lgkmcnt(0)
	v_mfma_f32_16x16x16bf16_1k v[6:9], v[2:3], v[34:35], v[6:9]
	v_mfma_f32_16x16x16bf16_1k v[2:5], v[4:5], v[36:37], v[6:9]
	s_nop 7
	s_nop 1
	ds_read_b128 v[6:9], v49 offset:4096
	ds_read_b128 v[10:13], v49 offset:4112
	s_waitcnt vmcnt(3) lgkmcnt(1)
	v_mfma_f32_16x16x16bf16_1k v[2:5], v[30:31], v[6:7], v[2:5]
	v_mfma_f32_16x16x16bf16_1k v[2:5], v[32:33], v[8:9], v[2:5]
	s_waitcnt vmcnt(2) lgkmcnt(0)
	v_mfma_f32_16x16x16bf16_1k v[2:5], v[22:23], v[10:11], v[2:5]
	v_mfma_f32_16x16x16bf16_1k v[2:5], v[24:25], v[12:13], v[2:5]
	ds_read_b128 v[6:9], v49 offset:6144
	ds_read_b128 v[10:13], v49 offset:6160
	s_waitcnt lgkmcnt(0)
	s_barrier
	s_waitcnt vmcnt(1)
	v_mfma_f32_16x16x16bf16_1k v[2:5], v[26:27], v[6:7], v[2:5]
	v_mfma_f32_16x16x16bf16_1k v[2:5], v[28:29], v[8:9], v[2:5]
	s_waitcnt vmcnt(0)
	v_mfma_f32_16x16x16bf16_1k v[2:5], v[18:19], v[10:11], v[2:5]
	v_mfma_f32_16x16x16bf16_1k v[2:5], v[20:21], v[12:13], v[2:5]
	s_nop 7
	s_nop 2
	v_bfe_u32 v6, v3, 16, 1
	v_bfe_u32 v7, v2, 16, 1
	;; [unrolled: 1-line block ×4, first 2 shown]
	v_add3_u32 v2, v2, v7, s12
	v_add3_u32 v3, v3, v6, s12
	;; [unrolled: 1-line block ×4, first 2 shown]
	v_perm_b32 v2, v3, v2, s13
	v_perm_b32 v3, v5, v4, s13
	ds_write_b64 v48, v[2:3]
	s_waitcnt lgkmcnt(0)
	s_barrier
	s_and_saveexec_b64 s[8:9], s[0:1]
	s_cbranch_execz .LBB252_22
; %bb.20:
	s_load_dwordx2 s[4:5], s[4:5], 0x68
	s_lshl_b32 s0, s10, 6
	s_mul_i32 s1, s11, s6
	s_mul_hi_u32 s9, s1, s0
	s_mul_i32 s8, s1, s0
	s_lshl_b64 s[8:9], s[8:9], 1
	s_waitcnt lgkmcnt(0)
	s_add_u32 s1, s4, s8
	v_lshlrev_b32_e32 v2, 10, v0
	v_lshlrev_b32_e32 v0, 4, v0
	s_addc_u32 s8, s5, s9
	s_lshl_b32 s6, s28, 6
	v_and_b32_e32 v2, 0x1800, v2
	v_lshlrev_b32_e32 v3, 5, v1
	v_and_b32_e32 v0, 16, v0
	s_lshl_b64 s[4:5], s[6:7], 1
	v_or3_b32 v0, v2, v3, v0
	s_add_u32 s1, s1, s4
	s_addc_u32 s4, s8, s5
	ds_read_b128 v[4:7], v0
	v_add_u32_e32 v8, s29, v1
	v_mov_b32_e32 v3, s4
	v_add_co_u32_e32 v2, vcc, s1, v42
	v_mad_u64_u32 v[8:9], s[4:5], v8, s0, 0
	v_addc_co_u32_e32 v3, vcc, v3, v43, vcc
	v_lshlrev_b64 v[8:9], 1, v[8:9]
	v_add_co_u32_e32 v8, vcc, v2, v8
	v_addc_co_u32_e32 v9, vcc, v3, v9, vcc
	s_waitcnt lgkmcnt(0)
	global_store_dwordx4 v[8:9], v[4:7], off
	s_and_b64 exec, exec, s[2:3]
	s_cbranch_execz .LBB252_22
; %bb.21:
	ds_read_b128 v[4:7], v0 offset:128
	v_add3_u32 v0, s29, v1, 4
	v_mad_u64_u32 v[0:1], s[0:1], v0, s0, 0
	v_lshlrev_b64 v[0:1], 1, v[0:1]
	v_add_co_u32_e32 v0, vcc, v2, v0
	v_addc_co_u32_e32 v1, vcc, v3, v1, vcc
	s_waitcnt lgkmcnt(0)
	global_store_dwordx4 v[0:1], v[4:7], off
.LBB252_22:
	s_endpgm
	.section	.rodata,"a",@progbits
	.p2align	6, 0x0
	.amdhsa_kernel _Z39paged_attention_ll4mi_QKV_mfma16_kernelI14__hip_bfloat16S0_LN4vllm18Fp8KVCacheDataTypeE0ES0_Li32ELi64ELi256ELb1ELi5EL8MFMAType0EEvPKT_PKT0_S9_ifPKiSB_SB_iPKfiiiPfSE_PS4_PT2_iSD_SD_
		.amdhsa_group_segment_fixed_size 8192
		.amdhsa_private_segment_fixed_size 0
		.amdhsa_kernarg_size 400
		.amdhsa_user_sgpr_count 6
		.amdhsa_user_sgpr_private_segment_buffer 1
		.amdhsa_user_sgpr_dispatch_ptr 0
		.amdhsa_user_sgpr_queue_ptr 0
		.amdhsa_user_sgpr_kernarg_segment_ptr 1
		.amdhsa_user_sgpr_dispatch_id 0
		.amdhsa_user_sgpr_flat_scratch_init 0
		.amdhsa_user_sgpr_kernarg_preload_length 0
		.amdhsa_user_sgpr_kernarg_preload_offset 0
		.amdhsa_user_sgpr_private_segment_size 0
		.amdhsa_uses_dynamic_stack 0
		.amdhsa_system_sgpr_private_segment_wavefront_offset 0
		.amdhsa_system_sgpr_workgroup_id_x 1
		.amdhsa_system_sgpr_workgroup_id_y 1
		.amdhsa_system_sgpr_workgroup_id_z 1
		.amdhsa_system_sgpr_workgroup_info 0
		.amdhsa_system_vgpr_workitem_id 0
		.amdhsa_next_free_vgpr 66
		.amdhsa_next_free_sgpr 48
		.amdhsa_accum_offset 68
		.amdhsa_reserve_vcc 1
		.amdhsa_reserve_flat_scratch 0
		.amdhsa_float_round_mode_32 0
		.amdhsa_float_round_mode_16_64 0
		.amdhsa_float_denorm_mode_32 3
		.amdhsa_float_denorm_mode_16_64 3
		.amdhsa_dx10_clamp 1
		.amdhsa_ieee_mode 1
		.amdhsa_fp16_overflow 0
		.amdhsa_tg_split 0
		.amdhsa_exception_fp_ieee_invalid_op 0
		.amdhsa_exception_fp_denorm_src 0
		.amdhsa_exception_fp_ieee_div_zero 0
		.amdhsa_exception_fp_ieee_overflow 0
		.amdhsa_exception_fp_ieee_underflow 0
		.amdhsa_exception_fp_ieee_inexact 0
		.amdhsa_exception_int_div_zero 0
	.end_amdhsa_kernel
	.section	.text._Z39paged_attention_ll4mi_QKV_mfma16_kernelI14__hip_bfloat16S0_LN4vllm18Fp8KVCacheDataTypeE0ES0_Li32ELi64ELi256ELb1ELi5EL8MFMAType0EEvPKT_PKT0_S9_ifPKiSB_SB_iPKfiiiPfSE_PS4_PT2_iSD_SD_,"axG",@progbits,_Z39paged_attention_ll4mi_QKV_mfma16_kernelI14__hip_bfloat16S0_LN4vllm18Fp8KVCacheDataTypeE0ES0_Li32ELi64ELi256ELb1ELi5EL8MFMAType0EEvPKT_PKT0_S9_ifPKiSB_SB_iPKfiiiPfSE_PS4_PT2_iSD_SD_,comdat
.Lfunc_end252:
	.size	_Z39paged_attention_ll4mi_QKV_mfma16_kernelI14__hip_bfloat16S0_LN4vllm18Fp8KVCacheDataTypeE0ES0_Li32ELi64ELi256ELb1ELi5EL8MFMAType0EEvPKT_PKT0_S9_ifPKiSB_SB_iPKfiiiPfSE_PS4_PT2_iSD_SD_, .Lfunc_end252-_Z39paged_attention_ll4mi_QKV_mfma16_kernelI14__hip_bfloat16S0_LN4vllm18Fp8KVCacheDataTypeE0ES0_Li32ELi64ELi256ELb1ELi5EL8MFMAType0EEvPKT_PKT0_S9_ifPKiSB_SB_iPKfiiiPfSE_PS4_PT2_iSD_SD_
                                        ; -- End function
	.section	.AMDGPU.csdata,"",@progbits
; Kernel info:
; codeLenInByte = 4644
; NumSgprs: 52
; NumVgprs: 66
; NumAgprs: 0
; TotalNumVgprs: 66
; ScratchSize: 0
; MemoryBound: 0
; FloatMode: 240
; IeeeMode: 1
; LDSByteSize: 8192 bytes/workgroup (compile time only)
; SGPRBlocks: 6
; VGPRBlocks: 8
; NumSGPRsForWavesPerEU: 52
; NumVGPRsForWavesPerEU: 66
; AccumOffset: 68
; Occupancy: 7
; WaveLimiterHint : 1
; COMPUTE_PGM_RSRC2:SCRATCH_EN: 0
; COMPUTE_PGM_RSRC2:USER_SGPR: 6
; COMPUTE_PGM_RSRC2:TRAP_HANDLER: 0
; COMPUTE_PGM_RSRC2:TGID_X_EN: 1
; COMPUTE_PGM_RSRC2:TGID_Y_EN: 1
; COMPUTE_PGM_RSRC2:TGID_Z_EN: 1
; COMPUTE_PGM_RSRC2:TIDIG_COMP_CNT: 0
; COMPUTE_PGM_RSRC3_GFX90A:ACCUM_OFFSET: 16
; COMPUTE_PGM_RSRC3_GFX90A:TG_SPLIT: 0
	.section	.text._Z39paged_attention_ll4mi_QKV_mfma16_kernelI14__hip_bfloat16S0_LN4vllm18Fp8KVCacheDataTypeE0ES0_Li32ELi64ELi256ELb1ELi6EL8MFMAType0EEvPKT_PKT0_S9_ifPKiSB_SB_iPKfiiiPfSE_PS4_PT2_iSD_SD_,"axG",@progbits,_Z39paged_attention_ll4mi_QKV_mfma16_kernelI14__hip_bfloat16S0_LN4vllm18Fp8KVCacheDataTypeE0ES0_Li32ELi64ELi256ELb1ELi6EL8MFMAType0EEvPKT_PKT0_S9_ifPKiSB_SB_iPKfiiiPfSE_PS4_PT2_iSD_SD_,comdat
	.protected	_Z39paged_attention_ll4mi_QKV_mfma16_kernelI14__hip_bfloat16S0_LN4vllm18Fp8KVCacheDataTypeE0ES0_Li32ELi64ELi256ELb1ELi6EL8MFMAType0EEvPKT_PKT0_S9_ifPKiSB_SB_iPKfiiiPfSE_PS4_PT2_iSD_SD_ ; -- Begin function _Z39paged_attention_ll4mi_QKV_mfma16_kernelI14__hip_bfloat16S0_LN4vllm18Fp8KVCacheDataTypeE0ES0_Li32ELi64ELi256ELb1ELi6EL8MFMAType0EEvPKT_PKT0_S9_ifPKiSB_SB_iPKfiiiPfSE_PS4_PT2_iSD_SD_
	.globl	_Z39paged_attention_ll4mi_QKV_mfma16_kernelI14__hip_bfloat16S0_LN4vllm18Fp8KVCacheDataTypeE0ES0_Li32ELi64ELi256ELb1ELi6EL8MFMAType0EEvPKT_PKT0_S9_ifPKiSB_SB_iPKfiiiPfSE_PS4_PT2_iSD_SD_
	.p2align	8
	.type	_Z39paged_attention_ll4mi_QKV_mfma16_kernelI14__hip_bfloat16S0_LN4vllm18Fp8KVCacheDataTypeE0ES0_Li32ELi64ELi256ELb1ELi6EL8MFMAType0EEvPKT_PKT0_S9_ifPKiSB_SB_iPKfiiiPfSE_PS4_PT2_iSD_SD_,@function
_Z39paged_attention_ll4mi_QKV_mfma16_kernelI14__hip_bfloat16S0_LN4vllm18Fp8KVCacheDataTypeE0ES0_Li32ELi64ELi256ELb1ELi6EL8MFMAType0EEvPKT_PKT0_S9_ifPKiSB_SB_iPKfiiiPfSE_PS4_PT2_iSD_SD_: ; @_Z39paged_attention_ll4mi_QKV_mfma16_kernelI14__hip_bfloat16S0_LN4vllm18Fp8KVCacheDataTypeE0ES0_Li32ELi64ELi256ELb1ELi6EL8MFMAType0EEvPKT_PKT0_S9_ifPKiSB_SB_iPKfiiiPfSE_PS4_PT2_iSD_SD_
; %bb.0:
	s_load_dwordx2 s[0:1], s[4:5], 0x30
	s_mov_b32 s28, s7
	s_mov_b64 s[10:11], 0
	s_waitcnt lgkmcnt(0)
	s_cmp_lg_u64 s[0:1], 0
	s_cselect_b64 s[2:3], -1, 0
	s_and_b64 vcc, exec, s[2:3]
	s_cbranch_vccz .LBB253_7
; %bb.1:
	s_add_i32 s12, s6, 1
	s_mov_b32 s13, 0
	s_lshl_b64 s[14:15], s[12:13], 2
	s_add_u32 s14, s0, s14
	s_mov_b32 s7, s13
	s_addc_u32 s15, s1, s15
	s_lshl_b64 s[12:13], s[6:7], 2
	s_add_u32 s12, s0, s12
	s_addc_u32 s13, s1, s13
	s_load_dword s9, s[14:15], 0x0
	s_load_dword s16, s[12:13], 0x0
	s_waitcnt lgkmcnt(0)
	s_sub_i32 s9, s9, s16
	s_cmp_eq_u32 s9, 1
	s_cselect_b64 s[12:13], -1, 0
	s_andn2_b64 vcc, exec, s[10:11]
	s_cbranch_vccnz .LBB253_3
.LBB253_2:
	s_mov_b32 s7, 0
	s_mov_b64 s[12:13], -1
.LBB253_3:
	s_andn2_b64 vcc, exec, s[12:13]
	s_cbranch_vccnz .LBB253_22
; %bb.4:
	s_load_dwordx2 s[12:13], s[4:5], 0x28
	s_lshl_b64 s[10:11], s[6:7], 2
	s_waitcnt lgkmcnt(0)
	s_add_u32 s12, s12, s10
	s_addc_u32 s13, s13, s11
	s_load_dword s33, s[12:13], 0x0
	s_lshl_b32 s14, s28, 8
	s_waitcnt lgkmcnt(0)
	s_cmp_ge_i32 s14, s33
	s_cbranch_scc1 .LBB253_22
; %bb.5:
	s_add_i32 s15, s33, 31
	s_load_dwordx2 s[12:13], s[4:5], 0x20
	s_load_dword s9, s[4:5], 0x38
	s_ashr_i32 s16, s15, 31
	v_and_b32_e32 v1, 0xcf, v0
	s_lshr_b32 s16, s16, 27
	v_add_u32_e32 v1, s14, v1
	s_add_i32 s15, s15, s16
	v_ashrrev_i32_e32 v2, 31, v1
	s_ashr_i32 s17, s15, 5
	v_lshrrev_b32_e32 v6, 27, v2
	s_add_i32 s17, s17, -1
	v_add_u32_e32 v2, v1, v6
	s_waitcnt lgkmcnt(0)
	s_mul_i32 s18, s6, s9
	s_mov_b32 s19, 0
	v_ashrrev_i32_e32 v2, 5, v2
	v_mov_b32_e32 v7, s17
	v_cmp_gt_i32_e32 vcc, s33, v1
	s_lshl_b64 s[18:19], s[18:19], 2
	v_cndmask_b32_e32 v2, v7, v2, vcc
	s_add_u32 s15, s12, s18
	v_ashrrev_i32_e32 v3, 31, v2
	s_addc_u32 s16, s13, s19
	v_lshlrev_b64 v[2:3], 2, v[2:3]
	v_mov_b32_e32 v4, s16
	v_add_co_u32_e32 v2, vcc, s15, v2
	v_addc_co_u32_e32 v3, vcc, v4, v3, vcc
	v_or_b32_e32 v4, 16, v1
	v_add_u32_e32 v5, v4, v6
	v_ashrrev_i32_e32 v5, 5, v5
	v_cmp_gt_i32_e32 vcc, s33, v4
	v_cndmask_b32_e32 v4, v7, v5, vcc
	v_ashrrev_i32_e32 v5, 31, v4
	v_lshlrev_b64 v[4:5], 2, v[4:5]
	v_mov_b32_e32 v9, s16
	v_add_co_u32_e32 v8, vcc, s15, v4
	v_or_b32_e32 v4, 32, v1
	v_addc_co_u32_e32 v9, vcc, v9, v5, vcc
	v_add_u32_e32 v5, v4, v6
	v_ashrrev_i32_e32 v5, 5, v5
	v_cmp_gt_i32_e32 vcc, s33, v4
	v_cndmask_b32_e32 v4, v7, v5, vcc
	v_ashrrev_i32_e32 v5, 31, v4
	v_lshlrev_b64 v[4:5], 2, v[4:5]
	v_mov_b32_e32 v11, s16
	v_add_co_u32_e32 v10, vcc, s15, v4
	v_or_b32_e32 v1, 48, v1
	v_addc_co_u32_e32 v11, vcc, v11, v5, vcc
	v_add_u32_e32 v4, v1, v6
	v_ashrrev_i32_e32 v4, 5, v4
	v_cmp_gt_i32_e32 vcc, s33, v1
	v_cndmask_b32_e32 v4, v7, v4, vcc
	v_ashrrev_i32_e32 v5, 31, v4
	v_lshlrev_b64 v[4:5], 2, v[4:5]
	v_mov_b32_e32 v1, s16
	v_add_co_u32_e32 v12, vcc, s15, v4
	v_addc_co_u32_e32 v13, vcc, v1, v5, vcc
	global_load_dword v7, v[2:3], off
	global_load_dword v6, v[8:9], off
	;; [unrolled: 1-line block ×4, first 2 shown]
	s_andn2_b64 vcc, exec, s[2:3]
	s_cbranch_vccnz .LBB253_8
; %bb.6:
	s_add_u32 s0, s0, s10
	s_addc_u32 s1, s1, s11
	s_load_dword s9, s[0:1], 0x0
	s_branch .LBB253_9
.LBB253_7:
	s_mov_b64 s[12:13], 0
	s_branch .LBB253_2
.LBB253_8:
	s_mov_b32 s9, s6
.LBB253_9:
	s_load_dwordx2 s[10:11], s[4:5], 0x8
	s_load_dwordx4 s[44:47], s[4:5], 0x48
	v_lshrrev_b32_e32 v53, 6, v0
	v_bfe_u32 v1, v0, 4, 2
	v_lshl_or_b32 v8, v53, 2, v1
	v_and_b32_e32 v52, 15, v0
	v_cmp_lt_u32_e32 vcc, 5, v8
	v_cmp_lt_u32_e64 s[2:3], 7, v52
	v_lshlrev_b32_e32 v2, 3, v52
	v_cmp_gt_u32_e64 s[0:1], 8, v52
	s_or_b64 s[2:3], s[2:3], vcc
	s_and_saveexec_b64 s[12:13], s[2:3]
	s_xor_b64 s[2:3], exec, s[12:13]
; %bb.10:
	v_mov_b32_e32 v3, 0
                                        ; implicit-def: $vgpr8
; %bb.11:
	s_or_saveexec_b64 s[12:13], s[2:3]
	s_load_dwordx2 s[2:3], s[4:5], 0x10
	s_mul_i32 s29, s8, 6
	s_xor_b64 exec, exec, s[12:13]
	s_cbranch_execz .LBB253_13
; %bb.12:
	s_load_dwordx2 s[18:19], s[4:5], 0x0
	s_waitcnt lgkmcnt(0)
	s_ashr_i32 s20, s44, 31
	s_mul_hi_u32 s21, s9, s44
	s_mul_i32 s20, s9, s20
	s_add_i32 s21, s21, s20
	s_mul_i32 s20, s9, s44
	s_lshl_b64 s[20:21], s[20:21], 1
	v_add_lshl_u32 v10, v8, s29, 6
	s_add_u32 s9, s18, s20
	v_ashrrev_i32_e32 v11, 31, v10
	s_addc_u32 s18, s19, s21
	v_lshlrev_b64 v[10:11], 1, v[10:11]
	v_mov_b32_e32 v3, s18
	v_add_co_u32_e32 v9, vcc, s9, v10
	v_addc_co_u32_e32 v3, vcc, v3, v11, vcc
	v_lshlrev_b32_e32 v10, 1, v2
	v_add_co_u32_e32 v10, vcc, v9, v10
	v_addc_co_u32_e32 v11, vcc, 0, v3, vcc
	global_load_dwordx4 v[10:13], v[10:11], off
	v_and_b32_e32 v9, 3, v0
	v_lshlrev_b32_e32 v14, 9, v52
	v_lshlrev_b32_e32 v8, 5, v8
	;; [unrolled: 1-line block ×3, first 2 shown]
	v_and_b32_e32 v14, 0x1800, v14
	v_mov_b32_e32 v3, 0
	v_or3_b32 v8, v14, v9, v8
	s_waitcnt vmcnt(0)
	ds_write_b128 v8, v[10:13]
.LBB253_13:
	s_or_b64 exec, exec, s[12:13]
	s_waitcnt lgkmcnt(0)
	s_mul_i32 s8, s8, s46
	s_mov_b32 s9, 0
	s_lshl_b64 s[8:9], s[8:9], 1
	s_add_u32 s12, s10, s8
	s_addc_u32 s13, s11, s9
	s_waitcnt vmcnt(3)
	v_mad_i64_i32 v[8:9], s[10:11], v7, s45, 0
	v_lshlrev_b64 v[8:9], 1, v[8:9]
	v_mov_b32_e32 v7, s13
	v_add_co_u32_e32 v8, vcc, s12, v8
	v_addc_co_u32_e32 v7, vcc, v7, v9, vcc
	v_lshlrev_b64 v[42:43], 1, v[2:3]
	v_add_co_u32_e32 v2, vcc, v8, v42
	v_lshlrev_b32_e32 v24, 9, v1
	v_addc_co_u32_e32 v3, vcc, v7, v43, vcc
	v_add_co_u32_e32 v2, vcc, v2, v24
	v_addc_co_u32_e32 v3, vcc, 0, v3, vcc
	s_barrier
	global_load_dwordx4 v[38:41], v[2:3], off
	global_load_dwordx4 v[34:37], v[2:3], off offset:2048
	s_waitcnt vmcnt(4)
	v_mad_i64_i32 v[2:3], s[10:11], v6, s45, 0
	v_lshlrev_b64 v[2:3], 1, v[2:3]
	v_mov_b32_e32 v6, s13
	v_add_co_u32_e32 v2, vcc, s12, v2
	v_addc_co_u32_e32 v3, vcc, v6, v3, vcc
	v_mov_b32_e32 v6, 0x100
	v_lshl_or_b32 v18, v52, 4, v6
	v_add_co_u32_e32 v2, vcc, v2, v18
	v_addc_co_u32_e32 v3, vcc, 0, v3, vcc
	v_add_co_u32_e32 v2, vcc, v2, v24
	v_addc_co_u32_e32 v3, vcc, 0, v3, vcc
	global_load_dwordx4 v[30:33], v[2:3], off
	global_load_dwordx4 v[14:17], v[2:3], off offset:2048
	s_waitcnt vmcnt(5)
	v_mad_i64_i32 v[2:3], s[10:11], v5, s45, 0
	v_lshlrev_b64 v[2:3], 1, v[2:3]
	v_mov_b32_e32 v5, s13
	v_add_co_u32_e32 v2, vcc, s12, v2
	v_addc_co_u32_e32 v3, vcc, v5, v3, vcc
	v_add_co_u32_e32 v2, vcc, v2, v42
	v_addc_co_u32_e32 v3, vcc, v3, v43, vcc
	;; [unrolled: 2-line block ×3, first 2 shown]
	global_load_dwordx4 v[10:13], v[2:3], off
	global_load_dwordx4 v[6:9], v[2:3], off offset:2048
	s_waitcnt vmcnt(6)
	v_mad_i64_i32 v[2:3], s[10:11], v4, s45, 0
	v_lshlrev_b64 v[2:3], 1, v[2:3]
	v_mov_b32_e32 v4, s13
	v_add_co_u32_e32 v2, vcc, s12, v2
	v_addc_co_u32_e32 v3, vcc, v4, v3, vcc
	v_add_co_u32_e32 v2, vcc, v2, v18
	v_addc_co_u32_e32 v3, vcc, 0, v3, vcc
	;; [unrolled: 2-line block ×3, first 2 shown]
	global_load_dwordx4 v[2:5], v[22:23], off
	global_load_dwordx4 v[18:21], v[22:23], off offset:2048
	v_mul_lo_u16_e32 v22, 43, v52
	v_mov_b32_e32 v23, 6
	v_mul_lo_u16_sdwa v22, v22, v23 dst_sel:DWORD dst_unused:UNUSED_PAD src0_sel:BYTE_1 src1_sel:DWORD
	v_sub_u16_e32 v22, v52, v22
	v_and_b32_e32 v22, 0xff, v22
	v_lshl_add_u32 v22, v22, 5, v24
	ds_read_b128 v[26:29], v22
	ds_read_b128 v[22:25], v22 offset:2048
	v_and_b32_e32 v54, 63, v0
	v_cmp_gt_u32_e32 vcc, 6, v52
	v_mov_b32_e32 v50, 0
	s_and_saveexec_b64 s[10:11], vcc
	s_cbranch_execz .LBB253_15
; %bb.14:
	s_load_dwordx2 s[12:13], s[4:5], 0x40
	v_add_u32_e32 v44, s29, v52
	v_ashrrev_i32_e32 v45, 31, v44
	v_lshlrev_b64 v[44:45], 2, v[44:45]
	s_waitcnt lgkmcnt(0)
	v_mov_b32_e32 v46, s13
	v_add_co_u32_e32 v44, vcc, s12, v44
	v_addc_co_u32_e32 v45, vcc, v46, v45, vcc
	global_load_dword v50, v[44:45], off
.LBB253_15:
	s_or_b64 exec, exec, s[10:11]
	s_waitcnt vmcnt(7) lgkmcnt(1)
	v_mfma_f32_16x16x16bf16_1k v[44:47], v[38:39], v[26:27], 0
	s_ashr_i32 s10, s14, 31
	s_lshr_b32 s11, s10, 27
	v_mov_b32_e32 v49, s16
	s_add_u32 s2, s2, s8
	s_addc_u32 s3, s3, s9
	s_load_dword s10, s[4:5], 0x1c
	s_mov_b32 s42, 0xff7fffff
	v_mfma_f32_16x16x16bf16_1k v[38:41], v[40:41], v[28:29], v[44:47]
	s_waitcnt vmcnt(6) lgkmcnt(0)
	v_mfma_f32_16x16x16bf16_1k v[38:41], v[34:35], v[22:23], v[38:41]
	s_nop 4
	v_and_or_b32 v46, v0, 48, s14
	v_add_u32_e32 v34, s11, v46
	v_ashrrev_i32_e32 v34, 5, v34
	v_mov_b32_e32 v47, s17
	v_cmp_gt_i32_e32 vcc, s33, v46
	v_cndmask_b32_e32 v34, v47, v34, vcc
	v_ashrrev_i32_e32 v35, 31, v34
	v_lshlrev_b64 v[44:45], 2, v[34:35]
	v_mfma_f32_16x16x16bf16_1k v[34:37], v[36:37], v[24:25], v[38:41]
	s_nop 6
	v_mov_b32_e32 v39, s16
	v_add_co_u32_e32 v38, vcc, s15, v44
	v_addc_co_u32_e32 v39, vcc, v39, v45, vcc
	global_load_dword v48, v[38:39], off
	s_waitcnt vmcnt(6)
	v_mfma_f32_16x16x16bf16_1k v[38:41], v[30:31], v[26:27], 0
	v_or_b32_e32 v44, 64, v46
	v_add_u32_e32 v30, s11, v44
	v_ashrrev_i32_e32 v30, 5, v30
	v_cmp_gt_i32_e32 vcc, s33, v44
	v_cndmask_b32_e32 v30, v47, v30, vcc
	v_ashrrev_i32_e32 v31, 31, v30
	v_lshlrev_b64 v[44:45], 2, v[30:31]
	v_mfma_f32_16x16x16bf16_1k v[30:33], v[32:33], v[28:29], v[38:41]
	s_nop 6
	v_add_co_u32_e32 v38, vcc, s15, v44
	v_addc_co_u32_e32 v39, vcc, v49, v45, vcc
	global_load_dword v40, v[38:39], off
	v_or_b32_e32 v38, 0x80, v46
	v_add_u32_e32 v39, s11, v38
	v_ashrrev_i32_e32 v39, 5, v39
	v_cmp_gt_i32_e32 vcc, s33, v38
	v_cndmask_b32_e32 v38, v47, v39, vcc
	v_ashrrev_i32_e32 v39, 31, v38
	s_waitcnt vmcnt(6)
	v_mfma_f32_16x16x16bf16_1k v[30:33], v[14:15], v[22:23], v[30:33]
	v_lshlrev_b64 v[14:15], 2, v[38:39]
	v_mov_b32_e32 v38, s16
	v_add_co_u32_e32 v14, vcc, s15, v14
	v_addc_co_u32_e32 v15, vcc, v38, v15, vcc
	global_load_dword v41, v[14:15], off
	v_mfma_f32_16x16x16bf16_1k v[30:33], v[16:17], v[24:25], v[30:33]
	v_or_b32_e32 v38, 0xc0, v46
	v_cmp_gt_i32_e32 vcc, s33, v38
	v_mov_b32_e32 v44, s16
	s_waitcnt vmcnt(6)
	v_mfma_f32_16x16x16bf16_1k v[14:17], v[10:11], v[26:27], 0
	v_add_u32_e32 v10, s11, v38
	v_ashrrev_i32_e32 v10, 5, v10
	v_cndmask_b32_e32 v10, v47, v10, vcc
	v_ashrrev_i32_e32 v11, 31, v10
	v_lshlrev_b64 v[38:39], 2, v[10:11]
	s_nop 0
	v_pk_mul_f32 v[46:47], s[10:11], v[30:31] op_sel_hi:[0,1]
	v_mfma_f32_16x16x16bf16_1k v[10:13], v[12:13], v[28:29], v[14:17]
	s_nop 6
	v_add_co_u32_e32 v14, vcc, s15, v38
	s_waitcnt vmcnt(5)
	v_mfma_f32_16x16x16bf16_1k v[10:13], v[6:7], v[22:23], v[10:13]
	v_addc_co_u32_e32 v15, vcc, v44, v39, vcc
	global_load_dword v51, v[14:15], off
	v_and_b32_e32 v14, 16, v0
	v_lshlrev_b32_e32 v14, 1, v14
	v_mov_b32_e32 v6, s3
	v_add_co_u32_e32 v7, vcc, s2, v14
	v_lshlrev_b32_e32 v14, 6, v52
	v_addc_co_u32_e32 v6, vcc, 0, v6, vcc
	v_lshl_or_b32 v14, v53, 10, v14
	v_add_co_u32_e32 v55, vcc, v7, v14
	v_addc_co_u32_e32 v60, vcc, 0, v6, vcc
	v_mfma_f32_16x16x16bf16_1k v[56:59], v[8:9], v[24:25], v[10:13]
	s_waitcnt vmcnt(3)
	v_mad_i64_i32 v[6:7], s[2:3], v48, s45, 0
	v_pk_mul_f32 v[48:49], s[10:11], v[36:37] op_sel_hi:[0,1]
	v_pk_mul_f32 v[44:45], s[10:11], v[32:33] op_sel_hi:[0,1]
	s_waitcnt vmcnt(1)
	v_mad_i64_i32 v[38:39], s[2:3], v41, s45, 0
	s_nop 0
	v_lshlrev_b64 v[10:11], 1, v[6:7]
	v_mfma_f32_16x16x16bf16_1k v[6:9], v[2:3], v[26:27], 0
	v_add_co_u32_e32 v2, vcc, v55, v10
	v_addc_co_u32_e32 v3, vcc, v60, v11, vcc
	global_load_dwordx4 v[14:17], v[2:3], off
	global_load_dwordx4 v[10:13], v[2:3], off offset:16
	v_mad_i64_i32 v[2:3], s[2:3], v40, s45, 0
	v_mfma_f32_16x16x16bf16_1k v[26:29], v[4:5], v[28:29], v[6:9]
	v_lshlrev_b64 v[2:3], 1, v[2:3]
	v_add_co_u32_e32 v2, vcc, v55, v2
	v_addc_co_u32_e32 v3, vcc, v60, v3, vcc
	v_lshlrev_b64 v[38:39], 1, v[38:39]
	v_pk_mul_f32 v[40:41], s[10:11], v[56:57] op_sel_hi:[0,1]
	v_mfma_f32_16x16x16bf16_1k v[26:29], v[18:19], v[22:23], v[26:29]
	v_pk_mul_f32 v[18:19], s[10:11], v[34:35] op_sel_hi:[0,1]
	v_add_co_u32_e32 v22, vcc, v55, v38
	v_addc_co_u32_e32 v23, vcc, v60, v39, vcc
	v_pk_mul_f32 v[38:39], s[10:11], v[58:59] op_sel_hi:[0,1]
	global_load_dwordx4 v[6:9], v[2:3], off
	s_nop 0
	global_load_dwordx4 v[2:5], v[2:3], off offset:16
	v_mfma_f32_16x16x16bf16_1k v[24:27], v[20:21], v[24:25], v[26:29]
	v_and_b32_e32 v20, 0xc0, v0
	v_add_u32_e32 v20, s14, v20
	v_lshl_or_b32 v20, v1, 2, v20
	v_or_b32_e32 v21, 1, v20
	v_cmp_gt_i32_e64 s[30:31], s33, v20
	v_cmp_gt_i32_e64 s[34:35], s33, v21
	s_nop 4
	v_pk_mul_f32 v[36:37], s[10:11], v[24:25] op_sel_hi:[0,1]
	v_subrev_u32_e32 v24, s33, v21
	v_pk_mul_f32 v[34:35], s[10:11], v[26:27] op_sel_hi:[0,1]
	v_add_u32_e32 v26, 1, v24
	v_add_u32_e32 v27, 2, v24
	v_cvt_f32_i32_e32 v25, v24
	v_cvt_f32_i32_e32 v26, v26
	;; [unrolled: 1-line block ×3, first 2 shown]
	v_add_u32_e32 v28, 3, v24
	v_fma_f32 v18, v50, v25, v18
	v_fmac_f32_e32 v19, v50, v26
	v_fma_f32 v48, v50, v27, v48
	v_add_u32_e32 v25, 16, v24
	v_add_u32_e32 v26, 17, v24
	;; [unrolled: 1-line block ×3, first 2 shown]
	v_cvt_f32_i32_e32 v28, v28
	v_cvt_f32_i32_e32 v25, v25
	;; [unrolled: 1-line block ×4, first 2 shown]
	v_fmac_f32_e32 v49, v50, v28
	v_add_u32_e32 v28, 19, v24
	v_fma_f32 v46, v50, v25, v46
	v_fmac_f32_e32 v47, v50, v26
	v_fma_f32 v44, v50, v27, v44
	v_add_u32_e32 v25, 32, v24
	v_add_u32_e32 v26, 33, v24
	;; [unrolled: 1-line block ×3, first 2 shown]
	v_cvt_f32_i32_e32 v28, v28
	v_cvt_f32_i32_e32 v25, v25
	;; [unrolled: 1-line block ×4, first 2 shown]
	v_fmac_f32_e32 v45, v50, v28
	v_add_u32_e32 v28, 35, v24
	v_fma_f32 v40, v50, v25, v40
	v_fmac_f32_e32 v41, v50, v26
	v_fma_f32 v38, v50, v27, v38
	v_add_u32_e32 v25, 48, v24
	v_add_u32_e32 v26, 49, v24
	;; [unrolled: 1-line block ×4, first 2 shown]
	v_cvt_f32_i32_e32 v24, v24
	v_cvt_f32_i32_e32 v25, v25
	;; [unrolled: 1-line block ×4, first 2 shown]
	v_fmac_f32_e32 v35, v50, v24
	v_mov_b32_e32 v24, 0xff7fffff
	v_fma_f32 v36, v50, v25, v36
	v_cndmask_b32_e64 v25, v24, v18, s[30:31]
	v_cndmask_b32_e64 v21, v24, v19, s[34:35]
	v_fmac_f32_e32 v37, v50, v26
	v_max3_f32 v21, v25, s42, v21
	v_or_b32_e32 v25, 2, v20
	v_or_b32_e32 v26, 3, v20
	v_cmp_gt_i32_e64 s[36:37], s33, v25
	v_cmp_gt_i32_e64 s[38:39], s33, v26
	v_cndmask_b32_e64 v25, v24, v48, s[36:37]
	v_cndmask_b32_e64 v26, v24, v49, s[38:39]
	v_max3_f32 v21, v21, v25, v26
	v_or_b32_e32 v25, 16, v20
	v_or_b32_e32 v26, 17, v20
	v_cmp_gt_i32_e64 s[24:25], s33, v25
	v_cmp_gt_i32_e64 s[26:27], s33, v26
	v_cndmask_b32_e64 v25, v24, v46, s[24:25]
	v_cndmask_b32_e64 v26, v24, v47, s[26:27]
	;; [unrolled: 7-line block ×4, first 2 shown]
	v_max3_f32 v21, v21, v25, v26
	v_or_b32_e32 v25, 34, v20
	v_or_b32_e32 v26, 35, v20
	v_fmac_f32_e32 v39, v50, v28
	v_cmp_gt_i32_e64 s[12:13], s33, v25
	v_cmp_gt_i32_e64 s[14:15], s33, v26
	v_cndmask_b32_e64 v25, v24, v38, s[12:13]
	v_cndmask_b32_e64 v26, v24, v39, s[14:15]
	v_cvt_f32_i32_e32 v27, v27
	v_max3_f32 v21, v21, v25, v26
	v_or_b32_e32 v25, 48, v20
	v_or_b32_e32 v26, 49, v20
	v_cmp_gt_i32_e64 s[8:9], s33, v25
	v_cmp_gt_i32_e64 s[10:11], s33, v26
	v_cndmask_b32_e64 v25, v24, v36, s[8:9]
	v_cndmask_b32_e64 v26, v24, v37, s[10:11]
	v_max3_f32 v21, v21, v25, v26
	v_or_b32_e32 v25, 50, v20
	v_or_b32_e32 v20, 51, v20
	v_fma_f32 v34, v50, v27, v34
	v_cmp_gt_i32_e32 vcc, s33, v25
	v_cmp_gt_i32_e64 s[2:3], s33, v20
	v_cndmask_b32_e32 v25, v24, v34, vcc
	v_cndmask_b32_e64 v20, v24, v35, s[2:3]
	v_max3_f32 v26, v21, v25, v20
	v_mbcnt_lo_u32_b32 v20, -1, 0
	v_mbcnt_hi_u32_b32 v27, -1, v20
	v_and_b32_e32 v20, 64, v27
	v_add_u32_e32 v28, 64, v20
	v_xor_b32_e32 v20, 32, v27
	v_cmp_lt_i32_e64 s[40:41], v20, v28
	v_cndmask_b32_e64 v20, v27, v20, s[40:41]
	v_lshlrev_b32_e32 v56, 2, v20
	ds_bpermute_b32 v29, v56, v26
	s_waitcnt vmcnt(4)
	v_mad_i64_i32 v[20:21], s[40:41], v51, s45, 0
	v_lshlrev_b64 v[20:21], 1, v[20:21]
	global_load_dwordx4 v[30:33], v[22:23], off
	s_nop 0
	global_load_dwordx4 v[22:25], v[22:23], off offset:16
	s_waitcnt lgkmcnt(0)
	v_max_f32_e32 v29, v29, v29
	v_max_f32_e32 v26, v26, v29
	v_xor_b32_e32 v29, 16, v27
	v_cmp_lt_i32_e64 s[40:41], v29, v28
	v_cndmask_b32_e64 v27, v27, v29, s[40:41]
	v_lshlrev_b32_e32 v58, 2, v27
	ds_bpermute_b32 v27, v58, v26
	v_add_co_u32_e64 v20, s[40:41], v55, v20
	v_addc_co_u32_e64 v21, s[40:41], v60, v21, s[40:41]
	s_waitcnt lgkmcnt(0)
	v_max_f32_e32 v27, v27, v27
	v_max_f32_e32 v55, v26, v27
	v_sub_f32_e32 v18, v18, v55
	v_mul_f32_e32 v18, 0x3fb8aa3b, v18
	v_exp_f32_e32 v50, v18
	v_sub_f32_e32 v18, v19, v55
	v_mul_f32_e32 v18, 0x3fb8aa3b, v18
	v_exp_f32_e32 v51, v18
	global_load_dwordx4 v[26:29], v[20:21], off
	s_nop 0
	global_load_dwordx4 v[18:21], v[20:21], off offset:16
	v_sub_f32_e32 v48, v48, v55
	v_mul_f32_e32 v48, 0x3fb8aa3b, v48
	v_sub_f32_e32 v49, v49, v55
	v_exp_f32_e32 v48, v48
	v_mul_f32_e32 v49, 0x3fb8aa3b, v49
	v_sub_f32_e32 v46, v46, v55
	v_exp_f32_e32 v49, v49
	v_mul_f32_e32 v46, 0x3fb8aa3b, v46
	v_sub_f32_e32 v47, v47, v55
	v_cndmask_b32_e64 v50, 0, v50, s[30:31]
	v_exp_f32_e32 v46, v46
	v_mul_f32_e32 v47, 0x3fb8aa3b, v47
	v_sub_f32_e32 v44, v44, v55
	v_add_f32_e32 v57, 0, v50
	v_cndmask_b32_e64 v51, 0, v51, s[34:35]
	v_exp_f32_e32 v47, v47
	v_mul_f32_e32 v44, 0x3fb8aa3b, v44
	v_sub_f32_e32 v45, v45, v55
	v_add_f32_e32 v57, v57, v51
	;; [unrolled: 5-line block ×10, first 2 shown]
	v_cndmask_b32_e64 v38, 0, v38, s[12:13]
	v_exp_f32_e32 v34, v34
	v_mul_f32_e32 v35, 0x3fb8aa3b, v35
	v_add_f32_e32 v57, v57, v38
	v_cndmask_b32_e64 v39, 0, v39, s[14:15]
	v_exp_f32_e32 v35, v35
	v_add_f32_e32 v57, v57, v39
	v_cndmask_b32_e64 v36, 0, v36, s[8:9]
	v_add_f32_e32 v57, v57, v36
	v_cndmask_b32_e64 v37, 0, v37, s[10:11]
	v_add_f32_e32 v57, v57, v37
	v_cndmask_b32_e32 v34, 0, v34, vcc
	v_add_f32_e32 v57, v57, v34
	v_cndmask_b32_e64 v35, 0, v35, s[2:3]
	v_add_f32_e32 v57, v57, v35
	ds_bpermute_b32 v56, v56, v57
	s_load_dword s9, s[4:5], 0x98
	v_cmp_gt_u32_e32 vcc, 16, v54
	s_waitcnt lgkmcnt(0)
	s_barrier
	v_add_f32_e32 v57, v57, v56
	ds_bpermute_b32 v58, v58, v57
	v_lshlrev_b32_e32 v56, 2, v52
	s_waitcnt lgkmcnt(0)
	s_and_saveexec_b64 s[2:3], vcc
	s_cbranch_execz .LBB253_17
; %bb.16:
	v_add_f32_e32 v54, v57, v58
	v_lshl_or_b32 v57, v53, 6, v56
	ds_write2st64_b32 v57, v55, v54 offset1:1
.LBB253_17:
	s_or_b64 exec, exec, s[2:3]
	s_load_dword s8, s[4:5], 0x94
	s_waitcnt lgkmcnt(0)
	s_barrier
	ds_read2_b32 v[58:59], v56 offset1:16
	ds_read2_b32 v[60:61], v56 offset0:32 offset1:48
	ds_read2_b32 v[62:63], v56 offset0:64 offset1:80
	;; [unrolled: 1-line block ×3, first 2 shown]
	s_movk_i32 s10, 0x7fff
	s_waitcnt lgkmcnt(3)
	v_max3_f32 v54, v58, s42, v59
	s_waitcnt lgkmcnt(2)
	v_max3_f32 v54, v54, v60, v61
	v_sub_f32_e32 v55, v58, v54
	v_mul_f32_e32 v55, 0x3fb8aa3b, v55
	v_exp_f32_e32 v58, v55
	v_sub_f32_e32 v55, v59, v54
	v_mul_f32_e32 v55, 0x3fb8aa3b, v55
	v_exp_f32_e32 v59, v55
	;; [unrolled: 3-line block ×4, first 2 shown]
	s_waitcnt lgkmcnt(1)
	v_fma_f32 v55, v58, v62, 0
	v_fmac_f32_e32 v55, v59, v63
	s_waitcnt lgkmcnt(0)
	v_fmac_f32_e32 v55, v60, v56
	v_fmac_f32_e32 v55, v61, v57
	v_add_f32_e32 v56, 0x358637bd, v55
	v_div_scale_f32 v57, s[2:3], v56, v56, 1.0
	v_rcp_f32_e32 v62, v57
	s_mov_b32 s11, 0x7060302
	s_mul_i32 s9, s9, 6
	v_fma_f32 v63, -v57, v62, 1.0
	v_fmac_f32_e32 v62, v63, v62
	v_div_scale_f32 v63, vcc, 1.0, v56, 1.0
	v_mul_f32_e32 v64, v63, v62
	v_fma_f32 v65, -v57, v64, v63
	v_fmac_f32_e32 v64, v65, v62
	v_fma_f32 v57, -v57, v64, v63
	v_div_fmas_f32 v57, v57, v62, v64
	v_cmp_eq_u32_e32 vcc, 1, v53
	v_div_fixup_f32 v56, v57, v56, 1.0
	v_cndmask_b32_e32 v57, v58, v59, vcc
	v_cmp_eq_u32_e32 vcc, 2, v53
	v_cndmask_b32_e32 v57, v57, v60, vcc
	v_cmp_eq_u32_e32 vcc, 3, v53
	v_cndmask_b32_e32 v57, v57, v61, vcc
	v_mul_f32_e32 v56, v57, v56
	v_pk_mul_f32 v[50:51], v[56:57], v[50:51] op_sel_hi:[0,1]
	v_pk_mul_f32 v[48:49], v[56:57], v[48:49] op_sel_hi:[0,1]
	v_bfe_u32 v57, v51, 16, 1
	v_bfe_u32 v58, v50, 16, 1
	v_add3_u32 v50, v50, v58, s10
	v_add3_u32 v51, v51, v57, s10
	v_perm_b32 v50, v51, v50, s11
	v_bfe_u32 v51, v49, 16, 1
	v_bfe_u32 v57, v48, 16, 1
	v_add3_u32 v48, v48, v57, s10
	v_add3_u32 v49, v49, v51, s10
	v_perm_b32 v51, v49, v48, s11
	v_lshlrev_b32_e32 v48, 3, v1
	v_lshlrev_b32_e32 v49, 5, v52
	;; [unrolled: 1-line block ×3, first 2 shown]
	v_pk_mul_f32 v[46:47], v[56:57], v[46:47] op_sel_hi:[0,1]
	v_or3_b32 v48, v53, v49, v48
	v_pk_mul_f32 v[44:45], v[56:57], v[44:45] op_sel_hi:[0,1]
	v_bfe_u32 v53, v47, 16, 1
	v_bfe_u32 v57, v46, 16, 1
	v_add3_u32 v46, v46, v57, s10
	v_add3_u32 v47, v47, v53, s10
	v_perm_b32 v46, v47, v46, s11
	v_bfe_u32 v47, v45, 16, 1
	v_bfe_u32 v53, v44, 16, 1
	v_add3_u32 v44, v44, v53, s10
	v_add3_u32 v45, v45, v47, s10
	v_pk_mul_f32 v[40:41], v[56:57], v[40:41] op_sel_hi:[0,1]
	v_perm_b32 v47, v45, v44, s11
	v_bfe_u32 v44, v41, 16, 1
	v_bfe_u32 v45, v40, 16, 1
	v_pk_mul_f32 v[38:39], v[56:57], v[38:39] op_sel_hi:[0,1]
	v_add3_u32 v40, v40, v45, s10
	v_add3_u32 v41, v41, v44, s10
	v_perm_b32 v40, v41, v40, s11
	v_bfe_u32 v41, v39, 16, 1
	v_bfe_u32 v44, v38, 16, 1
	v_add3_u32 v38, v38, v44, s10
	v_add3_u32 v39, v39, v41, s10
	v_pk_mul_f32 v[36:37], v[56:57], v[36:37] op_sel_hi:[0,1]
	v_perm_b32 v41, v39, v38, s11
	v_bfe_u32 v38, v37, 16, 1
	v_bfe_u32 v39, v36, 16, 1
	v_pk_mul_f32 v[34:35], v[56:57], v[34:35] op_sel_hi:[0,1]
	v_add3_u32 v36, v36, v39, s10
	v_add3_u32 v37, v37, v38, s10
	v_perm_b32 v36, v37, v36, s11
	v_bfe_u32 v37, v35, 16, 1
	v_bfe_u32 v38, v34, 16, 1
	v_add3_u32 v34, v34, v38, s10
	v_add3_u32 v35, v35, v37, s10
	v_perm_b32 v37, v35, v34, s11
	v_cmp_gt_u32_e32 vcc, 6, v0
	s_barrier
	ds_write2st64_b64 v48, v[50:51], v[46:47] offset1:1
	ds_write2st64_b64 v48, v[40:41], v[36:37] offset0:2 offset1:3
	s_and_saveexec_b64 s[2:3], vcc
	s_cbranch_execz .LBB253_19
; %bb.18:
	v_add_co_u32_e32 v36, vcc, s29, v52
	v_addc_co_u32_e64 v37, s[16:17], 0, 0, vcc
	v_mov_b32_e32 v34, s9
	v_mov_b32_e32 v35, 0
	v_mad_u64_u32 v[36:37], s[16:17], s6, v34, v[36:37]
	v_mov_b32_e32 v34, s28
	s_load_dwordx4 s[12:15], s[4:5], 0x58
	s_mul_i32 s7, s7, s9
	v_mad_u64_u32 v[34:35], s[16:17], v36, s8, v[34:35]
	v_add_u32_e32 v37, s7, v37
	v_mov_b32_e32 v36, v35
	v_mad_u64_u32 v[36:37], s[16:17], v37, s8, v[36:37]
	v_mov_b32_e32 v35, v36
	v_lshlrev_b64 v[34:35], 2, v[34:35]
	s_waitcnt lgkmcnt(0)
	v_mov_b32_e32 v37, s15
	v_add_co_u32_e32 v36, vcc, s14, v34
	v_addc_co_u32_e32 v37, vcc, v37, v35, vcc
	global_store_dword v[36:37], v54, off
	v_mov_b32_e32 v36, s13
	v_add_co_u32_e32 v34, vcc, s12, v34
	v_addc_co_u32_e32 v35, vcc, v36, v35, vcc
	global_store_dword v[34:35], v55, off
.LBB253_19:
	s_or_b64 exec, exec, s[2:3]
	v_lshl_or_b32 v49, v1, 9, v49
	s_waitcnt lgkmcnt(0)
	s_barrier
	ds_read_b128 v[34:37], v49
	ds_read_b128 v[38:41], v49 offset:16
	s_waitcnt vmcnt(7) lgkmcnt(1)
	v_mfma_f32_16x16x16bf16_1k v[44:47], v[14:15], v[34:35], 0
	v_cmp_gt_u32_e32 vcc, 64, v0
	s_mov_b32 s3, 0
	s_and_b64 s[0:1], vcc, s[0:1]
	v_mfma_f32_16x16x16bf16_1k v[14:17], v[16:17], v[36:37], v[44:47]
	s_waitcnt vmcnt(6) lgkmcnt(0)
	v_mfma_f32_16x16x16bf16_1k v[14:17], v[10:11], v[38:39], v[14:17]
	v_mfma_f32_16x16x16bf16_1k v[10:13], v[12:13], v[40:41], v[14:17]
	s_nop 7
	s_nop 1
	ds_read_b128 v[14:17], v49 offset:2048
	ds_read_b128 v[34:37], v49 offset:2064
	s_waitcnt vmcnt(5) lgkmcnt(1)
	v_mfma_f32_16x16x16bf16_1k v[10:13], v[6:7], v[14:15], v[10:13]
	v_mfma_f32_16x16x16bf16_1k v[6:9], v[8:9], v[16:17], v[10:13]
	s_waitcnt vmcnt(4) lgkmcnt(0)
	v_mfma_f32_16x16x16bf16_1k v[6:9], v[2:3], v[34:35], v[6:9]
	v_mfma_f32_16x16x16bf16_1k v[2:5], v[4:5], v[36:37], v[6:9]
	s_nop 7
	s_nop 1
	ds_read_b128 v[6:9], v49 offset:4096
	ds_read_b128 v[10:13], v49 offset:4112
	s_waitcnt vmcnt(3) lgkmcnt(1)
	v_mfma_f32_16x16x16bf16_1k v[2:5], v[30:31], v[6:7], v[2:5]
	v_mfma_f32_16x16x16bf16_1k v[2:5], v[32:33], v[8:9], v[2:5]
	s_waitcnt vmcnt(2) lgkmcnt(0)
	v_mfma_f32_16x16x16bf16_1k v[2:5], v[22:23], v[10:11], v[2:5]
	v_mfma_f32_16x16x16bf16_1k v[2:5], v[24:25], v[12:13], v[2:5]
	ds_read_b128 v[6:9], v49 offset:6144
	ds_read_b128 v[10:13], v49 offset:6160
	s_waitcnt lgkmcnt(0)
	s_barrier
	s_waitcnt vmcnt(1)
	v_mfma_f32_16x16x16bf16_1k v[2:5], v[26:27], v[6:7], v[2:5]
	v_mfma_f32_16x16x16bf16_1k v[2:5], v[28:29], v[8:9], v[2:5]
	s_waitcnt vmcnt(0)
	v_mfma_f32_16x16x16bf16_1k v[2:5], v[18:19], v[10:11], v[2:5]
	v_mfma_f32_16x16x16bf16_1k v[2:5], v[20:21], v[12:13], v[2:5]
	s_nop 7
	s_nop 2
	v_bfe_u32 v6, v3, 16, 1
	v_bfe_u32 v7, v2, 16, 1
	v_bfe_u32 v8, v5, 16, 1
	v_bfe_u32 v9, v4, 16, 1
	v_add3_u32 v2, v2, v7, s10
	v_add3_u32 v3, v3, v6, s10
	;; [unrolled: 1-line block ×4, first 2 shown]
	v_perm_b32 v2, v3, v2, s11
	v_perm_b32 v3, v5, v4, s11
	ds_write_b64 v48, v[2:3]
	s_waitcnt lgkmcnt(0)
	s_barrier
	s_and_saveexec_b64 s[10:11], s[0:1]
	s_cbranch_execz .LBB253_22
; %bb.20:
	s_load_dwordx2 s[4:5], s[4:5], 0x68
	s_lshl_b32 s0, s8, 6
	s_mul_i32 s1, s9, s6
	s_mul_hi_u32 s7, s1, s0
	s_mul_i32 s6, s1, s0
	s_lshl_b64 s[6:7], s[6:7], 1
	s_waitcnt lgkmcnt(0)
	s_add_u32 s1, s4, s6
	s_addc_u32 s4, s5, s7
	s_lshl_b32 s2, s28, 6
	v_lshlrev_b32_e32 v2, 10, v0
	v_lshlrev_b32_e32 v0, 4, v0
	s_lshl_b64 s[2:3], s[2:3], 1
	v_and_b32_e32 v3, 0x1800, v2
	v_lshlrev_b32_e32 v4, 5, v1
	v_and_b32_e32 v0, 16, v0
	s_add_u32 s1, s1, s2
	v_or_b32_e32 v2, 4, v1
	v_or3_b32 v0, v3, v4, v0
	s_addc_u32 s2, s4, s3
	v_add_u32_e32 v1, s29, v1
	v_mov_b32_e32 v4, s2
	v_add_co_u32_e32 v3, vcc, s1, v42
	ds_read_b128 v[6:9], v0
	v_mad_u64_u32 v[10:11], s[2:3], v1, s0, 0
	v_addc_co_u32_e32 v4, vcc, v4, v43, vcc
	v_lshlrev_b64 v[10:11], 1, v[10:11]
	v_add_co_u32_e32 v10, vcc, v3, v10
	v_addc_co_u32_e32 v11, vcc, v4, v11, vcc
	v_cmp_gt_u32_e32 vcc, 6, v2
	s_waitcnt lgkmcnt(0)
	global_store_dwordx4 v[10:11], v[6:9], off
	s_and_b64 exec, exec, vcc
	s_cbranch_execz .LBB253_22
; %bb.21:
	ds_read_b128 v[6:9], v0 offset:128
	v_add_u32_e32 v0, s29, v2
	v_mad_u64_u32 v[0:1], s[0:1], v0, s0, 0
	v_lshlrev_b64 v[0:1], 1, v[0:1]
	v_add_co_u32_e32 v0, vcc, v3, v0
	v_addc_co_u32_e32 v1, vcc, v4, v1, vcc
	s_waitcnt lgkmcnt(0)
	global_store_dwordx4 v[0:1], v[6:9], off
.LBB253_22:
	s_endpgm
	.section	.rodata,"a",@progbits
	.p2align	6, 0x0
	.amdhsa_kernel _Z39paged_attention_ll4mi_QKV_mfma16_kernelI14__hip_bfloat16S0_LN4vllm18Fp8KVCacheDataTypeE0ES0_Li32ELi64ELi256ELb1ELi6EL8MFMAType0EEvPKT_PKT0_S9_ifPKiSB_SB_iPKfiiiPfSE_PS4_PT2_iSD_SD_
		.amdhsa_group_segment_fixed_size 8192
		.amdhsa_private_segment_fixed_size 0
		.amdhsa_kernarg_size 400
		.amdhsa_user_sgpr_count 6
		.amdhsa_user_sgpr_private_segment_buffer 1
		.amdhsa_user_sgpr_dispatch_ptr 0
		.amdhsa_user_sgpr_queue_ptr 0
		.amdhsa_user_sgpr_kernarg_segment_ptr 1
		.amdhsa_user_sgpr_dispatch_id 0
		.amdhsa_user_sgpr_flat_scratch_init 0
		.amdhsa_user_sgpr_kernarg_preload_length 0
		.amdhsa_user_sgpr_kernarg_preload_offset 0
		.amdhsa_user_sgpr_private_segment_size 0
		.amdhsa_uses_dynamic_stack 0
		.amdhsa_system_sgpr_private_segment_wavefront_offset 0
		.amdhsa_system_sgpr_workgroup_id_x 1
		.amdhsa_system_sgpr_workgroup_id_y 1
		.amdhsa_system_sgpr_workgroup_id_z 1
		.amdhsa_system_sgpr_workgroup_info 0
		.amdhsa_system_vgpr_workitem_id 0
		.amdhsa_next_free_vgpr 66
		.amdhsa_next_free_sgpr 48
		.amdhsa_accum_offset 68
		.amdhsa_reserve_vcc 1
		.amdhsa_reserve_flat_scratch 0
		.amdhsa_float_round_mode_32 0
		.amdhsa_float_round_mode_16_64 0
		.amdhsa_float_denorm_mode_32 3
		.amdhsa_float_denorm_mode_16_64 3
		.amdhsa_dx10_clamp 1
		.amdhsa_ieee_mode 1
		.amdhsa_fp16_overflow 0
		.amdhsa_tg_split 0
		.amdhsa_exception_fp_ieee_invalid_op 0
		.amdhsa_exception_fp_denorm_src 0
		.amdhsa_exception_fp_ieee_div_zero 0
		.amdhsa_exception_fp_ieee_overflow 0
		.amdhsa_exception_fp_ieee_underflow 0
		.amdhsa_exception_fp_ieee_inexact 0
		.amdhsa_exception_int_div_zero 0
	.end_amdhsa_kernel
	.section	.text._Z39paged_attention_ll4mi_QKV_mfma16_kernelI14__hip_bfloat16S0_LN4vllm18Fp8KVCacheDataTypeE0ES0_Li32ELi64ELi256ELb1ELi6EL8MFMAType0EEvPKT_PKT0_S9_ifPKiSB_SB_iPKfiiiPfSE_PS4_PT2_iSD_SD_,"axG",@progbits,_Z39paged_attention_ll4mi_QKV_mfma16_kernelI14__hip_bfloat16S0_LN4vllm18Fp8KVCacheDataTypeE0ES0_Li32ELi64ELi256ELb1ELi6EL8MFMAType0EEvPKT_PKT0_S9_ifPKiSB_SB_iPKfiiiPfSE_PS4_PT2_iSD_SD_,comdat
.Lfunc_end253:
	.size	_Z39paged_attention_ll4mi_QKV_mfma16_kernelI14__hip_bfloat16S0_LN4vllm18Fp8KVCacheDataTypeE0ES0_Li32ELi64ELi256ELb1ELi6EL8MFMAType0EEvPKT_PKT0_S9_ifPKiSB_SB_iPKfiiiPfSE_PS4_PT2_iSD_SD_, .Lfunc_end253-_Z39paged_attention_ll4mi_QKV_mfma16_kernelI14__hip_bfloat16S0_LN4vllm18Fp8KVCacheDataTypeE0ES0_Li32ELi64ELi256ELb1ELi6EL8MFMAType0EEvPKT_PKT0_S9_ifPKiSB_SB_iPKfiiiPfSE_PS4_PT2_iSD_SD_
                                        ; -- End function
	.section	.AMDGPU.csdata,"",@progbits
; Kernel info:
; codeLenInByte = 4644
; NumSgprs: 52
; NumVgprs: 66
; NumAgprs: 0
; TotalNumVgprs: 66
; ScratchSize: 0
; MemoryBound: 0
; FloatMode: 240
; IeeeMode: 1
; LDSByteSize: 8192 bytes/workgroup (compile time only)
; SGPRBlocks: 6
; VGPRBlocks: 8
; NumSGPRsForWavesPerEU: 52
; NumVGPRsForWavesPerEU: 66
; AccumOffset: 68
; Occupancy: 7
; WaveLimiterHint : 1
; COMPUTE_PGM_RSRC2:SCRATCH_EN: 0
; COMPUTE_PGM_RSRC2:USER_SGPR: 6
; COMPUTE_PGM_RSRC2:TRAP_HANDLER: 0
; COMPUTE_PGM_RSRC2:TGID_X_EN: 1
; COMPUTE_PGM_RSRC2:TGID_Y_EN: 1
; COMPUTE_PGM_RSRC2:TGID_Z_EN: 1
; COMPUTE_PGM_RSRC2:TIDIG_COMP_CNT: 0
; COMPUTE_PGM_RSRC3_GFX90A:ACCUM_OFFSET: 16
; COMPUTE_PGM_RSRC3_GFX90A:TG_SPLIT: 0
	.section	.text._Z39paged_attention_ll4mi_QKV_mfma16_kernelI14__hip_bfloat16S0_LN4vllm18Fp8KVCacheDataTypeE0ES0_Li32ELi64ELi256ELb1ELi7EL8MFMAType0EEvPKT_PKT0_S9_ifPKiSB_SB_iPKfiiiPfSE_PS4_PT2_iSD_SD_,"axG",@progbits,_Z39paged_attention_ll4mi_QKV_mfma16_kernelI14__hip_bfloat16S0_LN4vllm18Fp8KVCacheDataTypeE0ES0_Li32ELi64ELi256ELb1ELi7EL8MFMAType0EEvPKT_PKT0_S9_ifPKiSB_SB_iPKfiiiPfSE_PS4_PT2_iSD_SD_,comdat
	.protected	_Z39paged_attention_ll4mi_QKV_mfma16_kernelI14__hip_bfloat16S0_LN4vllm18Fp8KVCacheDataTypeE0ES0_Li32ELi64ELi256ELb1ELi7EL8MFMAType0EEvPKT_PKT0_S9_ifPKiSB_SB_iPKfiiiPfSE_PS4_PT2_iSD_SD_ ; -- Begin function _Z39paged_attention_ll4mi_QKV_mfma16_kernelI14__hip_bfloat16S0_LN4vllm18Fp8KVCacheDataTypeE0ES0_Li32ELi64ELi256ELb1ELi7EL8MFMAType0EEvPKT_PKT0_S9_ifPKiSB_SB_iPKfiiiPfSE_PS4_PT2_iSD_SD_
	.globl	_Z39paged_attention_ll4mi_QKV_mfma16_kernelI14__hip_bfloat16S0_LN4vllm18Fp8KVCacheDataTypeE0ES0_Li32ELi64ELi256ELb1ELi7EL8MFMAType0EEvPKT_PKT0_S9_ifPKiSB_SB_iPKfiiiPfSE_PS4_PT2_iSD_SD_
	.p2align	8
	.type	_Z39paged_attention_ll4mi_QKV_mfma16_kernelI14__hip_bfloat16S0_LN4vllm18Fp8KVCacheDataTypeE0ES0_Li32ELi64ELi256ELb1ELi7EL8MFMAType0EEvPKT_PKT0_S9_ifPKiSB_SB_iPKfiiiPfSE_PS4_PT2_iSD_SD_,@function
_Z39paged_attention_ll4mi_QKV_mfma16_kernelI14__hip_bfloat16S0_LN4vllm18Fp8KVCacheDataTypeE0ES0_Li32ELi64ELi256ELb1ELi7EL8MFMAType0EEvPKT_PKT0_S9_ifPKiSB_SB_iPKfiiiPfSE_PS4_PT2_iSD_SD_: ; @_Z39paged_attention_ll4mi_QKV_mfma16_kernelI14__hip_bfloat16S0_LN4vllm18Fp8KVCacheDataTypeE0ES0_Li32ELi64ELi256ELb1ELi7EL8MFMAType0EEvPKT_PKT0_S9_ifPKiSB_SB_iPKfiiiPfSE_PS4_PT2_iSD_SD_
; %bb.0:
	s_load_dwordx2 s[0:1], s[4:5], 0x30
	s_mov_b32 s28, s7
	s_mov_b64 s[10:11], 0
	s_waitcnt lgkmcnt(0)
	s_cmp_lg_u64 s[0:1], 0
	s_cselect_b64 s[2:3], -1, 0
	s_and_b64 vcc, exec, s[2:3]
	s_cbranch_vccz .LBB254_7
; %bb.1:
	s_add_i32 s12, s6, 1
	s_mov_b32 s13, 0
	s_lshl_b64 s[14:15], s[12:13], 2
	s_add_u32 s14, s0, s14
	s_mov_b32 s7, s13
	s_addc_u32 s15, s1, s15
	s_lshl_b64 s[12:13], s[6:7], 2
	s_add_u32 s12, s0, s12
	s_addc_u32 s13, s1, s13
	s_load_dword s9, s[14:15], 0x0
	s_load_dword s16, s[12:13], 0x0
	s_waitcnt lgkmcnt(0)
	s_sub_i32 s9, s9, s16
	s_cmp_eq_u32 s9, 1
	s_cselect_b64 s[12:13], -1, 0
	s_andn2_b64 vcc, exec, s[10:11]
	s_cbranch_vccnz .LBB254_3
.LBB254_2:
	s_mov_b32 s7, 0
	s_mov_b64 s[12:13], -1
.LBB254_3:
	s_andn2_b64 vcc, exec, s[12:13]
	s_cbranch_vccnz .LBB254_22
; %bb.4:
	s_load_dwordx2 s[12:13], s[4:5], 0x28
	s_lshl_b64 s[10:11], s[6:7], 2
	s_waitcnt lgkmcnt(0)
	s_add_u32 s12, s12, s10
	s_addc_u32 s13, s13, s11
	s_load_dword s33, s[12:13], 0x0
	s_lshl_b32 s14, s28, 8
	s_waitcnt lgkmcnt(0)
	s_cmp_ge_i32 s14, s33
	s_cbranch_scc1 .LBB254_22
; %bb.5:
	s_add_i32 s15, s33, 31
	s_load_dwordx2 s[12:13], s[4:5], 0x20
	s_load_dword s9, s[4:5], 0x38
	s_ashr_i32 s16, s15, 31
	v_and_b32_e32 v1, 0xcf, v0
	s_lshr_b32 s16, s16, 27
	v_add_u32_e32 v1, s14, v1
	s_add_i32 s15, s15, s16
	v_ashrrev_i32_e32 v2, 31, v1
	s_ashr_i32 s17, s15, 5
	v_lshrrev_b32_e32 v6, 27, v2
	s_add_i32 s17, s17, -1
	v_add_u32_e32 v2, v1, v6
	s_waitcnt lgkmcnt(0)
	s_mul_i32 s18, s6, s9
	s_mov_b32 s19, 0
	v_ashrrev_i32_e32 v2, 5, v2
	v_mov_b32_e32 v7, s17
	v_cmp_gt_i32_e32 vcc, s33, v1
	s_lshl_b64 s[18:19], s[18:19], 2
	v_cndmask_b32_e32 v2, v7, v2, vcc
	s_add_u32 s15, s12, s18
	v_ashrrev_i32_e32 v3, 31, v2
	s_addc_u32 s16, s13, s19
	v_lshlrev_b64 v[2:3], 2, v[2:3]
	v_mov_b32_e32 v4, s16
	v_add_co_u32_e32 v2, vcc, s15, v2
	v_addc_co_u32_e32 v3, vcc, v4, v3, vcc
	v_or_b32_e32 v4, 16, v1
	v_add_u32_e32 v5, v4, v6
	v_ashrrev_i32_e32 v5, 5, v5
	v_cmp_gt_i32_e32 vcc, s33, v4
	v_cndmask_b32_e32 v4, v7, v5, vcc
	v_ashrrev_i32_e32 v5, 31, v4
	v_lshlrev_b64 v[4:5], 2, v[4:5]
	v_mov_b32_e32 v9, s16
	v_add_co_u32_e32 v8, vcc, s15, v4
	v_or_b32_e32 v4, 32, v1
	v_addc_co_u32_e32 v9, vcc, v9, v5, vcc
	v_add_u32_e32 v5, v4, v6
	v_ashrrev_i32_e32 v5, 5, v5
	v_cmp_gt_i32_e32 vcc, s33, v4
	v_cndmask_b32_e32 v4, v7, v5, vcc
	v_ashrrev_i32_e32 v5, 31, v4
	v_lshlrev_b64 v[4:5], 2, v[4:5]
	v_mov_b32_e32 v11, s16
	v_add_co_u32_e32 v10, vcc, s15, v4
	v_or_b32_e32 v1, 48, v1
	v_addc_co_u32_e32 v11, vcc, v11, v5, vcc
	v_add_u32_e32 v4, v1, v6
	v_ashrrev_i32_e32 v4, 5, v4
	v_cmp_gt_i32_e32 vcc, s33, v1
	v_cndmask_b32_e32 v4, v7, v4, vcc
	v_ashrrev_i32_e32 v5, 31, v4
	v_lshlrev_b64 v[4:5], 2, v[4:5]
	v_mov_b32_e32 v1, s16
	v_add_co_u32_e32 v12, vcc, s15, v4
	v_addc_co_u32_e32 v13, vcc, v1, v5, vcc
	global_load_dword v7, v[2:3], off
	global_load_dword v6, v[8:9], off
	;; [unrolled: 1-line block ×4, first 2 shown]
	s_andn2_b64 vcc, exec, s[2:3]
	s_cbranch_vccnz .LBB254_8
; %bb.6:
	s_add_u32 s0, s0, s10
	s_addc_u32 s1, s1, s11
	s_load_dword s9, s[0:1], 0x0
	s_branch .LBB254_9
.LBB254_7:
	s_mov_b64 s[12:13], 0
	s_branch .LBB254_2
.LBB254_8:
	s_mov_b32 s9, s6
.LBB254_9:
	s_load_dwordx2 s[10:11], s[4:5], 0x8
	s_load_dwordx4 s[44:47], s[4:5], 0x48
	v_lshrrev_b32_e32 v53, 6, v0
	v_bfe_u32 v1, v0, 4, 2
	v_lshl_or_b32 v8, v53, 2, v1
	v_and_b32_e32 v52, 15, v0
	v_cmp_lt_u32_e32 vcc, 6, v8
	v_cmp_lt_u32_e64 s[2:3], 7, v52
	v_lshlrev_b32_e32 v2, 3, v52
	v_cmp_gt_u32_e64 s[0:1], 8, v52
	s_or_b64 s[2:3], s[2:3], vcc
	s_and_saveexec_b64 s[12:13], s[2:3]
	s_xor_b64 s[2:3], exec, s[12:13]
; %bb.10:
	v_mov_b32_e32 v3, 0
                                        ; implicit-def: $vgpr8
; %bb.11:
	s_or_saveexec_b64 s[12:13], s[2:3]
	s_load_dwordx2 s[2:3], s[4:5], 0x10
	s_mul_i32 s29, s8, 7
	s_xor_b64 exec, exec, s[12:13]
	s_cbranch_execz .LBB254_13
; %bb.12:
	s_load_dwordx2 s[18:19], s[4:5], 0x0
	s_waitcnt lgkmcnt(0)
	s_ashr_i32 s20, s44, 31
	s_mul_hi_u32 s21, s9, s44
	s_mul_i32 s20, s9, s20
	s_add_i32 s21, s21, s20
	s_mul_i32 s20, s9, s44
	s_lshl_b64 s[20:21], s[20:21], 1
	v_add_lshl_u32 v10, v8, s29, 6
	s_add_u32 s9, s18, s20
	v_ashrrev_i32_e32 v11, 31, v10
	s_addc_u32 s18, s19, s21
	v_lshlrev_b64 v[10:11], 1, v[10:11]
	v_mov_b32_e32 v3, s18
	v_add_co_u32_e32 v9, vcc, s9, v10
	v_addc_co_u32_e32 v3, vcc, v3, v11, vcc
	v_lshlrev_b32_e32 v10, 1, v2
	v_add_co_u32_e32 v10, vcc, v9, v10
	v_addc_co_u32_e32 v11, vcc, 0, v3, vcc
	global_load_dwordx4 v[10:13], v[10:11], off
	v_and_b32_e32 v9, 3, v0
	v_lshlrev_b32_e32 v14, 9, v52
	v_lshlrev_b32_e32 v8, 5, v8
	;; [unrolled: 1-line block ×3, first 2 shown]
	v_and_b32_e32 v14, 0x1800, v14
	v_mov_b32_e32 v3, 0
	v_or3_b32 v8, v14, v9, v8
	s_waitcnt vmcnt(0)
	ds_write_b128 v8, v[10:13]
.LBB254_13:
	s_or_b64 exec, exec, s[12:13]
	s_waitcnt lgkmcnt(0)
	s_mul_i32 s8, s8, s46
	s_mov_b32 s9, 0
	s_lshl_b64 s[8:9], s[8:9], 1
	s_add_u32 s12, s10, s8
	s_addc_u32 s13, s11, s9
	s_waitcnt vmcnt(3)
	v_mad_i64_i32 v[8:9], s[10:11], v7, s45, 0
	v_lshlrev_b64 v[8:9], 1, v[8:9]
	v_mov_b32_e32 v7, s13
	v_add_co_u32_e32 v8, vcc, s12, v8
	v_addc_co_u32_e32 v7, vcc, v7, v9, vcc
	v_lshlrev_b64 v[42:43], 1, v[2:3]
	v_add_co_u32_e32 v2, vcc, v8, v42
	v_lshlrev_b32_e32 v24, 9, v1
	v_addc_co_u32_e32 v3, vcc, v7, v43, vcc
	v_add_co_u32_e32 v2, vcc, v2, v24
	v_addc_co_u32_e32 v3, vcc, 0, v3, vcc
	s_barrier
	global_load_dwordx4 v[38:41], v[2:3], off
	global_load_dwordx4 v[34:37], v[2:3], off offset:2048
	s_waitcnt vmcnt(4)
	v_mad_i64_i32 v[2:3], s[10:11], v6, s45, 0
	v_lshlrev_b64 v[2:3], 1, v[2:3]
	v_mov_b32_e32 v6, s13
	v_add_co_u32_e32 v2, vcc, s12, v2
	v_addc_co_u32_e32 v3, vcc, v6, v3, vcc
	v_mov_b32_e32 v6, 0x100
	v_lshl_or_b32 v18, v52, 4, v6
	v_add_co_u32_e32 v2, vcc, v2, v18
	v_addc_co_u32_e32 v3, vcc, 0, v3, vcc
	v_add_co_u32_e32 v2, vcc, v2, v24
	v_addc_co_u32_e32 v3, vcc, 0, v3, vcc
	global_load_dwordx4 v[30:33], v[2:3], off
	global_load_dwordx4 v[14:17], v[2:3], off offset:2048
	s_waitcnt vmcnt(5)
	v_mad_i64_i32 v[2:3], s[10:11], v5, s45, 0
	v_lshlrev_b64 v[2:3], 1, v[2:3]
	v_mov_b32_e32 v5, s13
	v_add_co_u32_e32 v2, vcc, s12, v2
	v_addc_co_u32_e32 v3, vcc, v5, v3, vcc
	v_add_co_u32_e32 v2, vcc, v2, v42
	v_addc_co_u32_e32 v3, vcc, v3, v43, vcc
	;; [unrolled: 2-line block ×3, first 2 shown]
	global_load_dwordx4 v[10:13], v[2:3], off
	global_load_dwordx4 v[6:9], v[2:3], off offset:2048
	s_waitcnt vmcnt(6)
	v_mad_i64_i32 v[2:3], s[10:11], v4, s45, 0
	v_lshlrev_b64 v[2:3], 1, v[2:3]
	v_mov_b32_e32 v4, s13
	v_add_co_u32_e32 v2, vcc, s12, v2
	v_addc_co_u32_e32 v3, vcc, v4, v3, vcc
	v_add_co_u32_e32 v2, vcc, v2, v18
	v_addc_co_u32_e32 v3, vcc, 0, v3, vcc
	;; [unrolled: 2-line block ×3, first 2 shown]
	global_load_dwordx4 v[2:5], v[22:23], off
	global_load_dwordx4 v[18:21], v[22:23], off offset:2048
	v_mul_lo_u16_e32 v22, 37, v52
	v_mov_b32_e32 v23, 7
	v_mul_lo_u16_sdwa v22, v22, v23 dst_sel:DWORD dst_unused:UNUSED_PAD src0_sel:BYTE_1 src1_sel:DWORD
	v_sub_u16_e32 v22, v52, v22
	v_and_b32_e32 v22, 0xff, v22
	v_lshl_add_u32 v22, v22, 5, v24
	ds_read_b128 v[26:29], v22
	ds_read_b128 v[22:25], v22 offset:2048
	v_and_b32_e32 v54, 63, v0
	v_cmp_gt_u32_e32 vcc, 7, v52
	v_mov_b32_e32 v50, 0
	s_and_saveexec_b64 s[10:11], vcc
	s_cbranch_execz .LBB254_15
; %bb.14:
	s_load_dwordx2 s[12:13], s[4:5], 0x40
	v_add_u32_e32 v44, s29, v52
	v_ashrrev_i32_e32 v45, 31, v44
	v_lshlrev_b64 v[44:45], 2, v[44:45]
	s_waitcnt lgkmcnt(0)
	v_mov_b32_e32 v46, s13
	v_add_co_u32_e32 v44, vcc, s12, v44
	v_addc_co_u32_e32 v45, vcc, v46, v45, vcc
	global_load_dword v50, v[44:45], off
.LBB254_15:
	s_or_b64 exec, exec, s[10:11]
	s_waitcnt vmcnt(7) lgkmcnt(1)
	v_mfma_f32_16x16x16bf16_1k v[44:47], v[38:39], v[26:27], 0
	s_ashr_i32 s10, s14, 31
	s_lshr_b32 s11, s10, 27
	v_mov_b32_e32 v49, s16
	s_add_u32 s2, s2, s8
	s_addc_u32 s3, s3, s9
	s_load_dword s10, s[4:5], 0x1c
	s_mov_b32 s42, 0xff7fffff
	v_mfma_f32_16x16x16bf16_1k v[38:41], v[40:41], v[28:29], v[44:47]
	s_waitcnt vmcnt(6) lgkmcnt(0)
	v_mfma_f32_16x16x16bf16_1k v[38:41], v[34:35], v[22:23], v[38:41]
	s_nop 4
	v_and_or_b32 v46, v0, 48, s14
	v_add_u32_e32 v34, s11, v46
	v_ashrrev_i32_e32 v34, 5, v34
	v_mov_b32_e32 v47, s17
	v_cmp_gt_i32_e32 vcc, s33, v46
	v_cndmask_b32_e32 v34, v47, v34, vcc
	v_ashrrev_i32_e32 v35, 31, v34
	v_lshlrev_b64 v[44:45], 2, v[34:35]
	v_mfma_f32_16x16x16bf16_1k v[34:37], v[36:37], v[24:25], v[38:41]
	s_nop 6
	v_mov_b32_e32 v39, s16
	v_add_co_u32_e32 v38, vcc, s15, v44
	v_addc_co_u32_e32 v39, vcc, v39, v45, vcc
	global_load_dword v48, v[38:39], off
	s_waitcnt vmcnt(6)
	v_mfma_f32_16x16x16bf16_1k v[38:41], v[30:31], v[26:27], 0
	v_or_b32_e32 v44, 64, v46
	v_add_u32_e32 v30, s11, v44
	v_ashrrev_i32_e32 v30, 5, v30
	v_cmp_gt_i32_e32 vcc, s33, v44
	v_cndmask_b32_e32 v30, v47, v30, vcc
	v_ashrrev_i32_e32 v31, 31, v30
	v_lshlrev_b64 v[44:45], 2, v[30:31]
	v_mfma_f32_16x16x16bf16_1k v[30:33], v[32:33], v[28:29], v[38:41]
	s_nop 6
	v_add_co_u32_e32 v38, vcc, s15, v44
	v_addc_co_u32_e32 v39, vcc, v49, v45, vcc
	global_load_dword v40, v[38:39], off
	v_or_b32_e32 v38, 0x80, v46
	v_add_u32_e32 v39, s11, v38
	v_ashrrev_i32_e32 v39, 5, v39
	v_cmp_gt_i32_e32 vcc, s33, v38
	v_cndmask_b32_e32 v38, v47, v39, vcc
	v_ashrrev_i32_e32 v39, 31, v38
	s_waitcnt vmcnt(6)
	v_mfma_f32_16x16x16bf16_1k v[30:33], v[14:15], v[22:23], v[30:33]
	v_lshlrev_b64 v[14:15], 2, v[38:39]
	v_mov_b32_e32 v38, s16
	v_add_co_u32_e32 v14, vcc, s15, v14
	v_addc_co_u32_e32 v15, vcc, v38, v15, vcc
	global_load_dword v41, v[14:15], off
	v_mfma_f32_16x16x16bf16_1k v[30:33], v[16:17], v[24:25], v[30:33]
	v_or_b32_e32 v38, 0xc0, v46
	v_cmp_gt_i32_e32 vcc, s33, v38
	v_mov_b32_e32 v44, s16
	s_waitcnt vmcnt(6)
	v_mfma_f32_16x16x16bf16_1k v[14:17], v[10:11], v[26:27], 0
	v_add_u32_e32 v10, s11, v38
	v_ashrrev_i32_e32 v10, 5, v10
	v_cndmask_b32_e32 v10, v47, v10, vcc
	v_ashrrev_i32_e32 v11, 31, v10
	v_lshlrev_b64 v[38:39], 2, v[10:11]
	s_nop 0
	v_pk_mul_f32 v[46:47], s[10:11], v[30:31] op_sel_hi:[0,1]
	v_mfma_f32_16x16x16bf16_1k v[10:13], v[12:13], v[28:29], v[14:17]
	s_nop 6
	v_add_co_u32_e32 v14, vcc, s15, v38
	s_waitcnt vmcnt(5)
	v_mfma_f32_16x16x16bf16_1k v[10:13], v[6:7], v[22:23], v[10:13]
	v_addc_co_u32_e32 v15, vcc, v44, v39, vcc
	global_load_dword v51, v[14:15], off
	v_and_b32_e32 v14, 16, v0
	v_lshlrev_b32_e32 v14, 1, v14
	v_mov_b32_e32 v6, s3
	v_add_co_u32_e32 v7, vcc, s2, v14
	v_lshlrev_b32_e32 v14, 6, v52
	v_addc_co_u32_e32 v6, vcc, 0, v6, vcc
	v_lshl_or_b32 v14, v53, 10, v14
	v_add_co_u32_e32 v55, vcc, v7, v14
	v_addc_co_u32_e32 v60, vcc, 0, v6, vcc
	v_mfma_f32_16x16x16bf16_1k v[56:59], v[8:9], v[24:25], v[10:13]
	s_waitcnt vmcnt(3)
	v_mad_i64_i32 v[6:7], s[2:3], v48, s45, 0
	v_pk_mul_f32 v[48:49], s[10:11], v[36:37] op_sel_hi:[0,1]
	v_pk_mul_f32 v[44:45], s[10:11], v[32:33] op_sel_hi:[0,1]
	s_waitcnt vmcnt(1)
	v_mad_i64_i32 v[38:39], s[2:3], v41, s45, 0
	s_nop 0
	v_lshlrev_b64 v[10:11], 1, v[6:7]
	v_mfma_f32_16x16x16bf16_1k v[6:9], v[2:3], v[26:27], 0
	v_add_co_u32_e32 v2, vcc, v55, v10
	v_addc_co_u32_e32 v3, vcc, v60, v11, vcc
	global_load_dwordx4 v[14:17], v[2:3], off
	global_load_dwordx4 v[10:13], v[2:3], off offset:16
	v_mad_i64_i32 v[2:3], s[2:3], v40, s45, 0
	v_mfma_f32_16x16x16bf16_1k v[26:29], v[4:5], v[28:29], v[6:9]
	v_lshlrev_b64 v[2:3], 1, v[2:3]
	v_add_co_u32_e32 v2, vcc, v55, v2
	v_addc_co_u32_e32 v3, vcc, v60, v3, vcc
	v_lshlrev_b64 v[38:39], 1, v[38:39]
	v_pk_mul_f32 v[40:41], s[10:11], v[56:57] op_sel_hi:[0,1]
	v_mfma_f32_16x16x16bf16_1k v[26:29], v[18:19], v[22:23], v[26:29]
	v_pk_mul_f32 v[18:19], s[10:11], v[34:35] op_sel_hi:[0,1]
	v_add_co_u32_e32 v22, vcc, v55, v38
	v_addc_co_u32_e32 v23, vcc, v60, v39, vcc
	v_pk_mul_f32 v[38:39], s[10:11], v[58:59] op_sel_hi:[0,1]
	global_load_dwordx4 v[6:9], v[2:3], off
	s_nop 0
	global_load_dwordx4 v[2:5], v[2:3], off offset:16
	v_mfma_f32_16x16x16bf16_1k v[24:27], v[20:21], v[24:25], v[26:29]
	v_and_b32_e32 v20, 0xc0, v0
	v_add_u32_e32 v20, s14, v20
	v_lshl_or_b32 v20, v1, 2, v20
	v_or_b32_e32 v21, 1, v20
	v_cmp_gt_i32_e64 s[30:31], s33, v20
	v_cmp_gt_i32_e64 s[34:35], s33, v21
	s_nop 4
	v_pk_mul_f32 v[36:37], s[10:11], v[24:25] op_sel_hi:[0,1]
	v_subrev_u32_e32 v24, s33, v21
	v_pk_mul_f32 v[34:35], s[10:11], v[26:27] op_sel_hi:[0,1]
	v_add_u32_e32 v26, 1, v24
	v_add_u32_e32 v27, 2, v24
	v_cvt_f32_i32_e32 v25, v24
	v_cvt_f32_i32_e32 v26, v26
	;; [unrolled: 1-line block ×3, first 2 shown]
	v_add_u32_e32 v28, 3, v24
	v_fma_f32 v18, v50, v25, v18
	v_fmac_f32_e32 v19, v50, v26
	v_fma_f32 v48, v50, v27, v48
	v_add_u32_e32 v25, 16, v24
	v_add_u32_e32 v26, 17, v24
	;; [unrolled: 1-line block ×3, first 2 shown]
	v_cvt_f32_i32_e32 v28, v28
	v_cvt_f32_i32_e32 v25, v25
	;; [unrolled: 1-line block ×4, first 2 shown]
	v_fmac_f32_e32 v49, v50, v28
	v_add_u32_e32 v28, 19, v24
	v_fma_f32 v46, v50, v25, v46
	v_fmac_f32_e32 v47, v50, v26
	v_fma_f32 v44, v50, v27, v44
	v_add_u32_e32 v25, 32, v24
	v_add_u32_e32 v26, 33, v24
	;; [unrolled: 1-line block ×3, first 2 shown]
	v_cvt_f32_i32_e32 v28, v28
	v_cvt_f32_i32_e32 v25, v25
	;; [unrolled: 1-line block ×4, first 2 shown]
	v_fmac_f32_e32 v45, v50, v28
	v_add_u32_e32 v28, 35, v24
	v_fma_f32 v40, v50, v25, v40
	v_fmac_f32_e32 v41, v50, v26
	v_fma_f32 v38, v50, v27, v38
	v_add_u32_e32 v25, 48, v24
	v_add_u32_e32 v26, 49, v24
	;; [unrolled: 1-line block ×4, first 2 shown]
	v_cvt_f32_i32_e32 v24, v24
	v_cvt_f32_i32_e32 v25, v25
	;; [unrolled: 1-line block ×4, first 2 shown]
	v_fmac_f32_e32 v35, v50, v24
	v_mov_b32_e32 v24, 0xff7fffff
	v_fma_f32 v36, v50, v25, v36
	v_cndmask_b32_e64 v25, v24, v18, s[30:31]
	v_cndmask_b32_e64 v21, v24, v19, s[34:35]
	v_fmac_f32_e32 v37, v50, v26
	v_max3_f32 v21, v25, s42, v21
	v_or_b32_e32 v25, 2, v20
	v_or_b32_e32 v26, 3, v20
	v_cmp_gt_i32_e64 s[36:37], s33, v25
	v_cmp_gt_i32_e64 s[38:39], s33, v26
	v_cndmask_b32_e64 v25, v24, v48, s[36:37]
	v_cndmask_b32_e64 v26, v24, v49, s[38:39]
	v_max3_f32 v21, v21, v25, v26
	v_or_b32_e32 v25, 16, v20
	v_or_b32_e32 v26, 17, v20
	v_cmp_gt_i32_e64 s[24:25], s33, v25
	v_cmp_gt_i32_e64 s[26:27], s33, v26
	v_cndmask_b32_e64 v25, v24, v46, s[24:25]
	v_cndmask_b32_e64 v26, v24, v47, s[26:27]
	;; [unrolled: 7-line block ×4, first 2 shown]
	v_max3_f32 v21, v21, v25, v26
	v_or_b32_e32 v25, 34, v20
	v_or_b32_e32 v26, 35, v20
	v_fmac_f32_e32 v39, v50, v28
	v_cmp_gt_i32_e64 s[12:13], s33, v25
	v_cmp_gt_i32_e64 s[14:15], s33, v26
	v_cndmask_b32_e64 v25, v24, v38, s[12:13]
	v_cndmask_b32_e64 v26, v24, v39, s[14:15]
	v_cvt_f32_i32_e32 v27, v27
	v_max3_f32 v21, v21, v25, v26
	v_or_b32_e32 v25, 48, v20
	v_or_b32_e32 v26, 49, v20
	v_cmp_gt_i32_e64 s[8:9], s33, v25
	v_cmp_gt_i32_e64 s[10:11], s33, v26
	v_cndmask_b32_e64 v25, v24, v36, s[8:9]
	v_cndmask_b32_e64 v26, v24, v37, s[10:11]
	v_max3_f32 v21, v21, v25, v26
	v_or_b32_e32 v25, 50, v20
	v_or_b32_e32 v20, 51, v20
	v_fma_f32 v34, v50, v27, v34
	v_cmp_gt_i32_e32 vcc, s33, v25
	v_cmp_gt_i32_e64 s[2:3], s33, v20
	v_cndmask_b32_e32 v25, v24, v34, vcc
	v_cndmask_b32_e64 v20, v24, v35, s[2:3]
	v_max3_f32 v26, v21, v25, v20
	v_mbcnt_lo_u32_b32 v20, -1, 0
	v_mbcnt_hi_u32_b32 v27, -1, v20
	v_and_b32_e32 v20, 64, v27
	v_add_u32_e32 v28, 64, v20
	v_xor_b32_e32 v20, 32, v27
	v_cmp_lt_i32_e64 s[40:41], v20, v28
	v_cndmask_b32_e64 v20, v27, v20, s[40:41]
	v_lshlrev_b32_e32 v56, 2, v20
	ds_bpermute_b32 v29, v56, v26
	s_waitcnt vmcnt(4)
	v_mad_i64_i32 v[20:21], s[40:41], v51, s45, 0
	v_lshlrev_b64 v[20:21], 1, v[20:21]
	global_load_dwordx4 v[30:33], v[22:23], off
	s_nop 0
	global_load_dwordx4 v[22:25], v[22:23], off offset:16
	s_waitcnt lgkmcnt(0)
	v_max_f32_e32 v29, v29, v29
	v_max_f32_e32 v26, v26, v29
	v_xor_b32_e32 v29, 16, v27
	v_cmp_lt_i32_e64 s[40:41], v29, v28
	v_cndmask_b32_e64 v27, v27, v29, s[40:41]
	v_lshlrev_b32_e32 v58, 2, v27
	ds_bpermute_b32 v27, v58, v26
	v_add_co_u32_e64 v20, s[40:41], v55, v20
	v_addc_co_u32_e64 v21, s[40:41], v60, v21, s[40:41]
	s_waitcnt lgkmcnt(0)
	v_max_f32_e32 v27, v27, v27
	v_max_f32_e32 v55, v26, v27
	v_sub_f32_e32 v18, v18, v55
	v_mul_f32_e32 v18, 0x3fb8aa3b, v18
	v_exp_f32_e32 v50, v18
	v_sub_f32_e32 v18, v19, v55
	v_mul_f32_e32 v18, 0x3fb8aa3b, v18
	v_exp_f32_e32 v51, v18
	global_load_dwordx4 v[26:29], v[20:21], off
	s_nop 0
	global_load_dwordx4 v[18:21], v[20:21], off offset:16
	v_sub_f32_e32 v48, v48, v55
	v_mul_f32_e32 v48, 0x3fb8aa3b, v48
	v_sub_f32_e32 v49, v49, v55
	v_exp_f32_e32 v48, v48
	v_mul_f32_e32 v49, 0x3fb8aa3b, v49
	v_sub_f32_e32 v46, v46, v55
	v_exp_f32_e32 v49, v49
	v_mul_f32_e32 v46, 0x3fb8aa3b, v46
	v_sub_f32_e32 v47, v47, v55
	v_cndmask_b32_e64 v50, 0, v50, s[30:31]
	v_exp_f32_e32 v46, v46
	v_mul_f32_e32 v47, 0x3fb8aa3b, v47
	v_sub_f32_e32 v44, v44, v55
	v_add_f32_e32 v57, 0, v50
	v_cndmask_b32_e64 v51, 0, v51, s[34:35]
	v_exp_f32_e32 v47, v47
	v_mul_f32_e32 v44, 0x3fb8aa3b, v44
	v_sub_f32_e32 v45, v45, v55
	v_add_f32_e32 v57, v57, v51
	;; [unrolled: 5-line block ×10, first 2 shown]
	v_cndmask_b32_e64 v38, 0, v38, s[12:13]
	v_exp_f32_e32 v34, v34
	v_mul_f32_e32 v35, 0x3fb8aa3b, v35
	v_add_f32_e32 v57, v57, v38
	v_cndmask_b32_e64 v39, 0, v39, s[14:15]
	v_exp_f32_e32 v35, v35
	v_add_f32_e32 v57, v57, v39
	v_cndmask_b32_e64 v36, 0, v36, s[8:9]
	v_add_f32_e32 v57, v57, v36
	v_cndmask_b32_e64 v37, 0, v37, s[10:11]
	v_add_f32_e32 v57, v57, v37
	v_cndmask_b32_e32 v34, 0, v34, vcc
	v_add_f32_e32 v57, v57, v34
	v_cndmask_b32_e64 v35, 0, v35, s[2:3]
	v_add_f32_e32 v57, v57, v35
	ds_bpermute_b32 v56, v56, v57
	s_load_dword s9, s[4:5], 0x98
	v_cmp_gt_u32_e32 vcc, 16, v54
	s_waitcnt lgkmcnt(0)
	s_barrier
	v_add_f32_e32 v57, v57, v56
	ds_bpermute_b32 v58, v58, v57
	v_lshlrev_b32_e32 v56, 2, v52
	s_waitcnt lgkmcnt(0)
	s_and_saveexec_b64 s[2:3], vcc
	s_cbranch_execz .LBB254_17
; %bb.16:
	v_add_f32_e32 v54, v57, v58
	v_lshl_or_b32 v57, v53, 6, v56
	ds_write2st64_b32 v57, v55, v54 offset1:1
.LBB254_17:
	s_or_b64 exec, exec, s[2:3]
	s_load_dword s8, s[4:5], 0x94
	s_waitcnt lgkmcnt(0)
	s_barrier
	ds_read2_b32 v[58:59], v56 offset1:16
	ds_read2_b32 v[60:61], v56 offset0:32 offset1:48
	ds_read2_b32 v[62:63], v56 offset0:64 offset1:80
	;; [unrolled: 1-line block ×3, first 2 shown]
	s_movk_i32 s10, 0x7fff
	s_waitcnt lgkmcnt(3)
	v_max3_f32 v54, v58, s42, v59
	s_waitcnt lgkmcnt(2)
	v_max3_f32 v54, v54, v60, v61
	v_sub_f32_e32 v55, v58, v54
	v_mul_f32_e32 v55, 0x3fb8aa3b, v55
	v_exp_f32_e32 v58, v55
	v_sub_f32_e32 v55, v59, v54
	v_mul_f32_e32 v55, 0x3fb8aa3b, v55
	v_exp_f32_e32 v59, v55
	;; [unrolled: 3-line block ×4, first 2 shown]
	s_waitcnt lgkmcnt(1)
	v_fma_f32 v55, v58, v62, 0
	v_fmac_f32_e32 v55, v59, v63
	s_waitcnt lgkmcnt(0)
	v_fmac_f32_e32 v55, v60, v56
	v_fmac_f32_e32 v55, v61, v57
	v_add_f32_e32 v56, 0x358637bd, v55
	v_div_scale_f32 v57, s[2:3], v56, v56, 1.0
	v_rcp_f32_e32 v62, v57
	s_mov_b32 s11, 0x7060302
	s_mul_i32 s9, s9, 7
	v_fma_f32 v63, -v57, v62, 1.0
	v_fmac_f32_e32 v62, v63, v62
	v_div_scale_f32 v63, vcc, 1.0, v56, 1.0
	v_mul_f32_e32 v64, v63, v62
	v_fma_f32 v65, -v57, v64, v63
	v_fmac_f32_e32 v64, v65, v62
	v_fma_f32 v57, -v57, v64, v63
	v_div_fmas_f32 v57, v57, v62, v64
	v_cmp_eq_u32_e32 vcc, 1, v53
	v_div_fixup_f32 v56, v57, v56, 1.0
	v_cndmask_b32_e32 v57, v58, v59, vcc
	v_cmp_eq_u32_e32 vcc, 2, v53
	v_cndmask_b32_e32 v57, v57, v60, vcc
	v_cmp_eq_u32_e32 vcc, 3, v53
	v_cndmask_b32_e32 v57, v57, v61, vcc
	v_mul_f32_e32 v56, v57, v56
	v_pk_mul_f32 v[50:51], v[56:57], v[50:51] op_sel_hi:[0,1]
	v_pk_mul_f32 v[48:49], v[56:57], v[48:49] op_sel_hi:[0,1]
	v_bfe_u32 v57, v51, 16, 1
	v_bfe_u32 v58, v50, 16, 1
	v_add3_u32 v50, v50, v58, s10
	v_add3_u32 v51, v51, v57, s10
	v_perm_b32 v50, v51, v50, s11
	v_bfe_u32 v51, v49, 16, 1
	v_bfe_u32 v57, v48, 16, 1
	v_add3_u32 v48, v48, v57, s10
	v_add3_u32 v49, v49, v51, s10
	v_perm_b32 v51, v49, v48, s11
	v_lshlrev_b32_e32 v48, 3, v1
	v_lshlrev_b32_e32 v49, 5, v52
	;; [unrolled: 1-line block ×3, first 2 shown]
	v_pk_mul_f32 v[46:47], v[56:57], v[46:47] op_sel_hi:[0,1]
	v_or3_b32 v48, v53, v49, v48
	v_pk_mul_f32 v[44:45], v[56:57], v[44:45] op_sel_hi:[0,1]
	v_bfe_u32 v53, v47, 16, 1
	v_bfe_u32 v57, v46, 16, 1
	v_add3_u32 v46, v46, v57, s10
	v_add3_u32 v47, v47, v53, s10
	v_perm_b32 v46, v47, v46, s11
	v_bfe_u32 v47, v45, 16, 1
	v_bfe_u32 v53, v44, 16, 1
	v_add3_u32 v44, v44, v53, s10
	v_add3_u32 v45, v45, v47, s10
	v_pk_mul_f32 v[40:41], v[56:57], v[40:41] op_sel_hi:[0,1]
	v_perm_b32 v47, v45, v44, s11
	v_bfe_u32 v44, v41, 16, 1
	v_bfe_u32 v45, v40, 16, 1
	v_pk_mul_f32 v[38:39], v[56:57], v[38:39] op_sel_hi:[0,1]
	v_add3_u32 v40, v40, v45, s10
	v_add3_u32 v41, v41, v44, s10
	v_perm_b32 v40, v41, v40, s11
	v_bfe_u32 v41, v39, 16, 1
	v_bfe_u32 v44, v38, 16, 1
	v_add3_u32 v38, v38, v44, s10
	v_add3_u32 v39, v39, v41, s10
	v_pk_mul_f32 v[36:37], v[56:57], v[36:37] op_sel_hi:[0,1]
	v_perm_b32 v41, v39, v38, s11
	v_bfe_u32 v38, v37, 16, 1
	v_bfe_u32 v39, v36, 16, 1
	v_pk_mul_f32 v[34:35], v[56:57], v[34:35] op_sel_hi:[0,1]
	v_add3_u32 v36, v36, v39, s10
	v_add3_u32 v37, v37, v38, s10
	v_perm_b32 v36, v37, v36, s11
	v_bfe_u32 v37, v35, 16, 1
	v_bfe_u32 v38, v34, 16, 1
	v_add3_u32 v34, v34, v38, s10
	v_add3_u32 v35, v35, v37, s10
	v_perm_b32 v37, v35, v34, s11
	v_cmp_gt_u32_e32 vcc, 7, v0
	s_barrier
	ds_write2st64_b64 v48, v[50:51], v[46:47] offset1:1
	ds_write2st64_b64 v48, v[40:41], v[36:37] offset0:2 offset1:3
	s_and_saveexec_b64 s[2:3], vcc
	s_cbranch_execz .LBB254_19
; %bb.18:
	v_add_co_u32_e32 v36, vcc, s29, v52
	v_addc_co_u32_e64 v37, s[16:17], 0, 0, vcc
	v_mov_b32_e32 v34, s9
	v_mov_b32_e32 v35, 0
	v_mad_u64_u32 v[36:37], s[16:17], s6, v34, v[36:37]
	v_mov_b32_e32 v34, s28
	s_load_dwordx4 s[12:15], s[4:5], 0x58
	s_mul_i32 s7, s7, s9
	v_mad_u64_u32 v[34:35], s[16:17], v36, s8, v[34:35]
	v_add_u32_e32 v37, s7, v37
	v_mov_b32_e32 v36, v35
	v_mad_u64_u32 v[36:37], s[16:17], v37, s8, v[36:37]
	v_mov_b32_e32 v35, v36
	v_lshlrev_b64 v[34:35], 2, v[34:35]
	s_waitcnt lgkmcnt(0)
	v_mov_b32_e32 v37, s15
	v_add_co_u32_e32 v36, vcc, s14, v34
	v_addc_co_u32_e32 v37, vcc, v37, v35, vcc
	global_store_dword v[36:37], v54, off
	v_mov_b32_e32 v36, s13
	v_add_co_u32_e32 v34, vcc, s12, v34
	v_addc_co_u32_e32 v35, vcc, v36, v35, vcc
	global_store_dword v[34:35], v55, off
.LBB254_19:
	s_or_b64 exec, exec, s[2:3]
	v_lshl_or_b32 v49, v1, 9, v49
	s_waitcnt lgkmcnt(0)
	s_barrier
	ds_read_b128 v[34:37], v49
	ds_read_b128 v[38:41], v49 offset:16
	s_waitcnt vmcnt(7) lgkmcnt(1)
	v_mfma_f32_16x16x16bf16_1k v[44:47], v[14:15], v[34:35], 0
	v_cmp_gt_u32_e32 vcc, 64, v0
	s_mov_b32 s3, 0
	s_and_b64 s[0:1], vcc, s[0:1]
	v_mfma_f32_16x16x16bf16_1k v[14:17], v[16:17], v[36:37], v[44:47]
	s_waitcnt vmcnt(6) lgkmcnt(0)
	v_mfma_f32_16x16x16bf16_1k v[14:17], v[10:11], v[38:39], v[14:17]
	v_mfma_f32_16x16x16bf16_1k v[10:13], v[12:13], v[40:41], v[14:17]
	s_nop 7
	s_nop 1
	ds_read_b128 v[14:17], v49 offset:2048
	ds_read_b128 v[34:37], v49 offset:2064
	s_waitcnt vmcnt(5) lgkmcnt(1)
	v_mfma_f32_16x16x16bf16_1k v[10:13], v[6:7], v[14:15], v[10:13]
	v_mfma_f32_16x16x16bf16_1k v[6:9], v[8:9], v[16:17], v[10:13]
	s_waitcnt vmcnt(4) lgkmcnt(0)
	v_mfma_f32_16x16x16bf16_1k v[6:9], v[2:3], v[34:35], v[6:9]
	v_mfma_f32_16x16x16bf16_1k v[2:5], v[4:5], v[36:37], v[6:9]
	s_nop 7
	s_nop 1
	ds_read_b128 v[6:9], v49 offset:4096
	ds_read_b128 v[10:13], v49 offset:4112
	s_waitcnt vmcnt(3) lgkmcnt(1)
	v_mfma_f32_16x16x16bf16_1k v[2:5], v[30:31], v[6:7], v[2:5]
	v_mfma_f32_16x16x16bf16_1k v[2:5], v[32:33], v[8:9], v[2:5]
	s_waitcnt vmcnt(2) lgkmcnt(0)
	v_mfma_f32_16x16x16bf16_1k v[2:5], v[22:23], v[10:11], v[2:5]
	v_mfma_f32_16x16x16bf16_1k v[2:5], v[24:25], v[12:13], v[2:5]
	ds_read_b128 v[6:9], v49 offset:6144
	ds_read_b128 v[10:13], v49 offset:6160
	s_waitcnt lgkmcnt(0)
	s_barrier
	s_waitcnt vmcnt(1)
	v_mfma_f32_16x16x16bf16_1k v[2:5], v[26:27], v[6:7], v[2:5]
	v_mfma_f32_16x16x16bf16_1k v[2:5], v[28:29], v[8:9], v[2:5]
	s_waitcnt vmcnt(0)
	v_mfma_f32_16x16x16bf16_1k v[2:5], v[18:19], v[10:11], v[2:5]
	v_mfma_f32_16x16x16bf16_1k v[2:5], v[20:21], v[12:13], v[2:5]
	s_nop 7
	s_nop 2
	v_bfe_u32 v6, v3, 16, 1
	v_bfe_u32 v7, v2, 16, 1
	;; [unrolled: 1-line block ×4, first 2 shown]
	v_add3_u32 v2, v2, v7, s10
	v_add3_u32 v3, v3, v6, s10
	;; [unrolled: 1-line block ×4, first 2 shown]
	v_perm_b32 v2, v3, v2, s11
	v_perm_b32 v3, v5, v4, s11
	ds_write_b64 v48, v[2:3]
	s_waitcnt lgkmcnt(0)
	s_barrier
	s_and_saveexec_b64 s[10:11], s[0:1]
	s_cbranch_execz .LBB254_22
; %bb.20:
	s_load_dwordx2 s[4:5], s[4:5], 0x68
	s_lshl_b32 s0, s8, 6
	s_mul_i32 s1, s9, s6
	s_mul_hi_u32 s7, s1, s0
	s_mul_i32 s6, s1, s0
	s_lshl_b64 s[6:7], s[6:7], 1
	s_waitcnt lgkmcnt(0)
	s_add_u32 s1, s4, s6
	s_addc_u32 s4, s5, s7
	s_lshl_b32 s2, s28, 6
	v_lshlrev_b32_e32 v2, 10, v0
	v_lshlrev_b32_e32 v0, 4, v0
	s_lshl_b64 s[2:3], s[2:3], 1
	v_and_b32_e32 v2, 0x1800, v2
	v_lshlrev_b32_e32 v3, 5, v1
	v_and_b32_e32 v0, 16, v0
	s_add_u32 s1, s1, s2
	v_or3_b32 v0, v2, v3, v0
	s_addc_u32 s2, s4, s3
	v_add_u32_e32 v8, s29, v1
	v_mov_b32_e32 v3, s2
	v_add_co_u32_e32 v2, vcc, s1, v42
	ds_read_b128 v[4:7], v0
	v_mad_u64_u32 v[8:9], s[2:3], v8, s0, 0
	v_addc_co_u32_e32 v3, vcc, v3, v43, vcc
	v_lshlrev_b64 v[8:9], 1, v[8:9]
	v_add_co_u32_e32 v8, vcc, v2, v8
	v_addc_co_u32_e32 v9, vcc, v3, v9, vcc
	v_cmp_ne_u32_e32 vcc, 3, v1
	s_waitcnt lgkmcnt(0)
	global_store_dwordx4 v[8:9], v[4:7], off
	s_and_b64 exec, exec, vcc
	s_cbranch_execz .LBB254_22
; %bb.21:
	ds_read_b128 v[4:7], v0 offset:128
	v_add3_u32 v0, s29, v1, 4
	v_mad_u64_u32 v[0:1], s[0:1], v0, s0, 0
	v_lshlrev_b64 v[0:1], 1, v[0:1]
	v_add_co_u32_e32 v0, vcc, v2, v0
	v_addc_co_u32_e32 v1, vcc, v3, v1, vcc
	s_waitcnt lgkmcnt(0)
	global_store_dwordx4 v[0:1], v[4:7], off
.LBB254_22:
	s_endpgm
	.section	.rodata,"a",@progbits
	.p2align	6, 0x0
	.amdhsa_kernel _Z39paged_attention_ll4mi_QKV_mfma16_kernelI14__hip_bfloat16S0_LN4vllm18Fp8KVCacheDataTypeE0ES0_Li32ELi64ELi256ELb1ELi7EL8MFMAType0EEvPKT_PKT0_S9_ifPKiSB_SB_iPKfiiiPfSE_PS4_PT2_iSD_SD_
		.amdhsa_group_segment_fixed_size 8192
		.amdhsa_private_segment_fixed_size 0
		.amdhsa_kernarg_size 400
		.amdhsa_user_sgpr_count 6
		.amdhsa_user_sgpr_private_segment_buffer 1
		.amdhsa_user_sgpr_dispatch_ptr 0
		.amdhsa_user_sgpr_queue_ptr 0
		.amdhsa_user_sgpr_kernarg_segment_ptr 1
		.amdhsa_user_sgpr_dispatch_id 0
		.amdhsa_user_sgpr_flat_scratch_init 0
		.amdhsa_user_sgpr_kernarg_preload_length 0
		.amdhsa_user_sgpr_kernarg_preload_offset 0
		.amdhsa_user_sgpr_private_segment_size 0
		.amdhsa_uses_dynamic_stack 0
		.amdhsa_system_sgpr_private_segment_wavefront_offset 0
		.amdhsa_system_sgpr_workgroup_id_x 1
		.amdhsa_system_sgpr_workgroup_id_y 1
		.amdhsa_system_sgpr_workgroup_id_z 1
		.amdhsa_system_sgpr_workgroup_info 0
		.amdhsa_system_vgpr_workitem_id 0
		.amdhsa_next_free_vgpr 66
		.amdhsa_next_free_sgpr 48
		.amdhsa_accum_offset 68
		.amdhsa_reserve_vcc 1
		.amdhsa_reserve_flat_scratch 0
		.amdhsa_float_round_mode_32 0
		.amdhsa_float_round_mode_16_64 0
		.amdhsa_float_denorm_mode_32 3
		.amdhsa_float_denorm_mode_16_64 3
		.amdhsa_dx10_clamp 1
		.amdhsa_ieee_mode 1
		.amdhsa_fp16_overflow 0
		.amdhsa_tg_split 0
		.amdhsa_exception_fp_ieee_invalid_op 0
		.amdhsa_exception_fp_denorm_src 0
		.amdhsa_exception_fp_ieee_div_zero 0
		.amdhsa_exception_fp_ieee_overflow 0
		.amdhsa_exception_fp_ieee_underflow 0
		.amdhsa_exception_fp_ieee_inexact 0
		.amdhsa_exception_int_div_zero 0
	.end_amdhsa_kernel
	.section	.text._Z39paged_attention_ll4mi_QKV_mfma16_kernelI14__hip_bfloat16S0_LN4vllm18Fp8KVCacheDataTypeE0ES0_Li32ELi64ELi256ELb1ELi7EL8MFMAType0EEvPKT_PKT0_S9_ifPKiSB_SB_iPKfiiiPfSE_PS4_PT2_iSD_SD_,"axG",@progbits,_Z39paged_attention_ll4mi_QKV_mfma16_kernelI14__hip_bfloat16S0_LN4vllm18Fp8KVCacheDataTypeE0ES0_Li32ELi64ELi256ELb1ELi7EL8MFMAType0EEvPKT_PKT0_S9_ifPKiSB_SB_iPKfiiiPfSE_PS4_PT2_iSD_SD_,comdat
.Lfunc_end254:
	.size	_Z39paged_attention_ll4mi_QKV_mfma16_kernelI14__hip_bfloat16S0_LN4vllm18Fp8KVCacheDataTypeE0ES0_Li32ELi64ELi256ELb1ELi7EL8MFMAType0EEvPKT_PKT0_S9_ifPKiSB_SB_iPKfiiiPfSE_PS4_PT2_iSD_SD_, .Lfunc_end254-_Z39paged_attention_ll4mi_QKV_mfma16_kernelI14__hip_bfloat16S0_LN4vllm18Fp8KVCacheDataTypeE0ES0_Li32ELi64ELi256ELb1ELi7EL8MFMAType0EEvPKT_PKT0_S9_ifPKiSB_SB_iPKfiiiPfSE_PS4_PT2_iSD_SD_
                                        ; -- End function
	.section	.AMDGPU.csdata,"",@progbits
; Kernel info:
; codeLenInByte = 4644
; NumSgprs: 52
; NumVgprs: 66
; NumAgprs: 0
; TotalNumVgprs: 66
; ScratchSize: 0
; MemoryBound: 0
; FloatMode: 240
; IeeeMode: 1
; LDSByteSize: 8192 bytes/workgroup (compile time only)
; SGPRBlocks: 6
; VGPRBlocks: 8
; NumSGPRsForWavesPerEU: 52
; NumVGPRsForWavesPerEU: 66
; AccumOffset: 68
; Occupancy: 7
; WaveLimiterHint : 1
; COMPUTE_PGM_RSRC2:SCRATCH_EN: 0
; COMPUTE_PGM_RSRC2:USER_SGPR: 6
; COMPUTE_PGM_RSRC2:TRAP_HANDLER: 0
; COMPUTE_PGM_RSRC2:TGID_X_EN: 1
; COMPUTE_PGM_RSRC2:TGID_Y_EN: 1
; COMPUTE_PGM_RSRC2:TGID_Z_EN: 1
; COMPUTE_PGM_RSRC2:TIDIG_COMP_CNT: 0
; COMPUTE_PGM_RSRC3_GFX90A:ACCUM_OFFSET: 16
; COMPUTE_PGM_RSRC3_GFX90A:TG_SPLIT: 0
	.section	.text._Z39paged_attention_ll4mi_QKV_mfma16_kernelI14__hip_bfloat16S0_LN4vllm18Fp8KVCacheDataTypeE0ES0_Li32ELi64ELi256ELb1ELi8EL8MFMAType0EEvPKT_PKT0_S9_ifPKiSB_SB_iPKfiiiPfSE_PS4_PT2_iSD_SD_,"axG",@progbits,_Z39paged_attention_ll4mi_QKV_mfma16_kernelI14__hip_bfloat16S0_LN4vllm18Fp8KVCacheDataTypeE0ES0_Li32ELi64ELi256ELb1ELi8EL8MFMAType0EEvPKT_PKT0_S9_ifPKiSB_SB_iPKfiiiPfSE_PS4_PT2_iSD_SD_,comdat
	.protected	_Z39paged_attention_ll4mi_QKV_mfma16_kernelI14__hip_bfloat16S0_LN4vllm18Fp8KVCacheDataTypeE0ES0_Li32ELi64ELi256ELb1ELi8EL8MFMAType0EEvPKT_PKT0_S9_ifPKiSB_SB_iPKfiiiPfSE_PS4_PT2_iSD_SD_ ; -- Begin function _Z39paged_attention_ll4mi_QKV_mfma16_kernelI14__hip_bfloat16S0_LN4vllm18Fp8KVCacheDataTypeE0ES0_Li32ELi64ELi256ELb1ELi8EL8MFMAType0EEvPKT_PKT0_S9_ifPKiSB_SB_iPKfiiiPfSE_PS4_PT2_iSD_SD_
	.globl	_Z39paged_attention_ll4mi_QKV_mfma16_kernelI14__hip_bfloat16S0_LN4vllm18Fp8KVCacheDataTypeE0ES0_Li32ELi64ELi256ELb1ELi8EL8MFMAType0EEvPKT_PKT0_S9_ifPKiSB_SB_iPKfiiiPfSE_PS4_PT2_iSD_SD_
	.p2align	8
	.type	_Z39paged_attention_ll4mi_QKV_mfma16_kernelI14__hip_bfloat16S0_LN4vllm18Fp8KVCacheDataTypeE0ES0_Li32ELi64ELi256ELb1ELi8EL8MFMAType0EEvPKT_PKT0_S9_ifPKiSB_SB_iPKfiiiPfSE_PS4_PT2_iSD_SD_,@function
_Z39paged_attention_ll4mi_QKV_mfma16_kernelI14__hip_bfloat16S0_LN4vllm18Fp8KVCacheDataTypeE0ES0_Li32ELi64ELi256ELb1ELi8EL8MFMAType0EEvPKT_PKT0_S9_ifPKiSB_SB_iPKfiiiPfSE_PS4_PT2_iSD_SD_: ; @_Z39paged_attention_ll4mi_QKV_mfma16_kernelI14__hip_bfloat16S0_LN4vllm18Fp8KVCacheDataTypeE0ES0_Li32ELi64ELi256ELb1ELi8EL8MFMAType0EEvPKT_PKT0_S9_ifPKiSB_SB_iPKfiiiPfSE_PS4_PT2_iSD_SD_
; %bb.0:
	s_load_dwordx2 s[0:1], s[4:5], 0x30
	s_mov_b32 s28, s7
	s_mov_b64 s[10:11], 0
	s_waitcnt lgkmcnt(0)
	s_cmp_lg_u64 s[0:1], 0
	s_cselect_b64 s[2:3], -1, 0
	s_and_b64 vcc, exec, s[2:3]
	s_cbranch_vccz .LBB255_7
; %bb.1:
	s_add_i32 s12, s6, 1
	s_mov_b32 s13, 0
	s_lshl_b64 s[14:15], s[12:13], 2
	s_add_u32 s14, s0, s14
	s_mov_b32 s7, s13
	s_addc_u32 s15, s1, s15
	s_lshl_b64 s[12:13], s[6:7], 2
	s_add_u32 s12, s0, s12
	s_addc_u32 s13, s1, s13
	s_load_dword s9, s[14:15], 0x0
	s_load_dword s16, s[12:13], 0x0
	s_waitcnt lgkmcnt(0)
	s_sub_i32 s9, s9, s16
	s_cmp_eq_u32 s9, 1
	s_cselect_b64 s[12:13], -1, 0
	s_andn2_b64 vcc, exec, s[10:11]
	s_cbranch_vccnz .LBB255_3
.LBB255_2:
	s_mov_b32 s7, 0
	s_mov_b64 s[12:13], -1
.LBB255_3:
	s_andn2_b64 vcc, exec, s[12:13]
	s_cbranch_vccnz .LBB255_21
; %bb.4:
	s_load_dwordx2 s[12:13], s[4:5], 0x28
	s_lshl_b64 s[10:11], s[6:7], 2
	s_waitcnt lgkmcnt(0)
	s_add_u32 s12, s12, s10
	s_addc_u32 s13, s13, s11
	s_load_dword s33, s[12:13], 0x0
	s_lshl_b32 s14, s28, 8
	s_waitcnt lgkmcnt(0)
	s_cmp_ge_i32 s14, s33
	s_cbranch_scc1 .LBB255_21
; %bb.5:
	s_add_i32 s15, s33, 31
	s_load_dwordx2 s[12:13], s[4:5], 0x20
	s_load_dword s9, s[4:5], 0x38
	s_ashr_i32 s16, s15, 31
	v_and_b32_e32 v1, 0xcf, v0
	s_lshr_b32 s16, s16, 27
	v_add_u32_e32 v1, s14, v1
	s_add_i32 s15, s15, s16
	v_ashrrev_i32_e32 v2, 31, v1
	s_ashr_i32 s17, s15, 5
	v_lshrrev_b32_e32 v6, 27, v2
	s_add_i32 s17, s17, -1
	v_add_u32_e32 v2, v1, v6
	s_waitcnt lgkmcnt(0)
	s_mul_i32 s18, s6, s9
	s_mov_b32 s19, 0
	v_ashrrev_i32_e32 v2, 5, v2
	v_mov_b32_e32 v7, s17
	v_cmp_gt_i32_e32 vcc, s33, v1
	s_lshl_b64 s[18:19], s[18:19], 2
	v_cndmask_b32_e32 v2, v7, v2, vcc
	s_add_u32 s15, s12, s18
	v_ashrrev_i32_e32 v3, 31, v2
	s_addc_u32 s16, s13, s19
	v_lshlrev_b64 v[2:3], 2, v[2:3]
	v_mov_b32_e32 v4, s16
	v_add_co_u32_e32 v2, vcc, s15, v2
	v_addc_co_u32_e32 v3, vcc, v4, v3, vcc
	v_or_b32_e32 v4, 16, v1
	v_add_u32_e32 v5, v4, v6
	v_ashrrev_i32_e32 v5, 5, v5
	v_cmp_gt_i32_e32 vcc, s33, v4
	v_cndmask_b32_e32 v4, v7, v5, vcc
	v_ashrrev_i32_e32 v5, 31, v4
	v_lshlrev_b64 v[4:5], 2, v[4:5]
	v_mov_b32_e32 v9, s16
	v_add_co_u32_e32 v8, vcc, s15, v4
	v_or_b32_e32 v4, 32, v1
	v_addc_co_u32_e32 v9, vcc, v9, v5, vcc
	v_add_u32_e32 v5, v4, v6
	v_ashrrev_i32_e32 v5, 5, v5
	v_cmp_gt_i32_e32 vcc, s33, v4
	v_cndmask_b32_e32 v4, v7, v5, vcc
	v_ashrrev_i32_e32 v5, 31, v4
	v_lshlrev_b64 v[4:5], 2, v[4:5]
	v_mov_b32_e32 v11, s16
	v_add_co_u32_e32 v10, vcc, s15, v4
	v_or_b32_e32 v1, 48, v1
	v_addc_co_u32_e32 v11, vcc, v11, v5, vcc
	v_add_u32_e32 v4, v1, v6
	v_ashrrev_i32_e32 v4, 5, v4
	v_cmp_gt_i32_e32 vcc, s33, v1
	v_cndmask_b32_e32 v4, v7, v4, vcc
	v_ashrrev_i32_e32 v5, 31, v4
	v_lshlrev_b64 v[4:5], 2, v[4:5]
	v_mov_b32_e32 v1, s16
	v_add_co_u32_e32 v12, vcc, s15, v4
	v_addc_co_u32_e32 v13, vcc, v1, v5, vcc
	global_load_dword v7, v[2:3], off
	global_load_dword v6, v[8:9], off
	;; [unrolled: 1-line block ×4, first 2 shown]
	s_andn2_b64 vcc, exec, s[2:3]
	s_cbranch_vccnz .LBB255_8
; %bb.6:
	s_add_u32 s0, s0, s10
	s_addc_u32 s1, s1, s11
	s_load_dword s9, s[0:1], 0x0
	s_branch .LBB255_9
.LBB255_7:
	s_mov_b64 s[12:13], 0
	s_branch .LBB255_2
.LBB255_8:
	s_mov_b32 s9, s6
.LBB255_9:
	s_load_dwordx2 s[10:11], s[4:5], 0x8
	s_load_dwordx4 s[44:47], s[4:5], 0x48
	v_and_b32_e32 v52, 15, v0
	s_movk_i32 s0, 0x7f
	v_cmp_lt_u32_e32 vcc, s0, v0
	v_cmp_lt_u32_e64 s[2:3], 7, v52
	v_lshlrev_b32_e32 v2, 3, v52
	v_cmp_gt_u32_e64 s[0:1], 8, v52
	s_or_b64 s[2:3], vcc, s[2:3]
	s_and_saveexec_b64 s[12:13], s[2:3]
	s_xor_b64 s[2:3], exec, s[12:13]
; %bb.10:
	v_mov_b32_e32 v3, 0
; %bb.11:
	s_or_saveexec_b64 s[12:13], s[2:3]
	s_load_dwordx2 s[2:3], s[4:5], 0x10
	v_lshrrev_b32_e32 v53, 6, v0
	s_lshl_b32 s29, s8, 3
	v_bfe_u32 v1, v0, 4, 2
	s_xor_b64 exec, exec, s[12:13]
	s_cbranch_execz .LBB255_13
; %bb.12:
	s_load_dwordx2 s[18:19], s[4:5], 0x0
	s_waitcnt lgkmcnt(0)
	s_ashr_i32 s20, s44, 31
	s_mul_hi_u32 s21, s9, s44
	s_mul_i32 s20, s9, s20
	v_lshl_or_b32 v12, v53, 2, v1
	s_add_i32 s21, s21, s20
	s_mul_i32 s20, s9, s44
	s_lshl_b64 s[20:21], s[20:21], 1
	v_add_lshl_u32 v8, v12, s29, 6
	s_add_u32 s9, s18, s20
	v_ashrrev_i32_e32 v9, 31, v8
	s_addc_u32 s18, s19, s21
	v_lshlrev_b64 v[8:9], 1, v[8:9]
	v_mov_b32_e32 v3, s18
	v_add_co_u32_e32 v8, vcc, s9, v8
	v_addc_co_u32_e32 v3, vcc, v3, v9, vcc
	v_lshlrev_b32_e32 v9, 1, v2
	v_add_co_u32_e32 v8, vcc, v8, v9
	v_addc_co_u32_e32 v9, vcc, 0, v3, vcc
	global_load_dwordx4 v[8:11], v[8:9], off
	v_and_b32_e32 v13, 3, v0
	v_lshlrev_b32_e32 v14, 9, v52
	v_lshlrev_b32_e32 v12, 5, v12
	;; [unrolled: 1-line block ×3, first 2 shown]
	v_and_b32_e32 v14, 0x1800, v14
	v_mov_b32_e32 v3, 0
	v_or3_b32 v12, v14, v13, v12
	s_waitcnt vmcnt(0)
	ds_write_b128 v12, v[8:11]
.LBB255_13:
	s_or_b64 exec, exec, s[12:13]
	s_waitcnt lgkmcnt(0)
	s_mul_i32 s8, s8, s46
	s_mov_b32 s9, 0
	s_lshl_b64 s[8:9], s[8:9], 1
	s_add_u32 s12, s10, s8
	s_addc_u32 s13, s11, s9
	s_waitcnt vmcnt(3)
	v_mad_i64_i32 v[8:9], s[10:11], v7, s45, 0
	v_lshlrev_b64 v[8:9], 1, v[8:9]
	v_mov_b32_e32 v7, s13
	v_add_co_u32_e32 v8, vcc, s12, v8
	v_addc_co_u32_e32 v7, vcc, v7, v9, vcc
	v_lshlrev_b64 v[42:43], 1, v[2:3]
	v_add_co_u32_e32 v2, vcc, v8, v42
	v_lshlrev_b32_e32 v24, 9, v1
	v_addc_co_u32_e32 v3, vcc, v7, v43, vcc
	v_add_co_u32_e32 v2, vcc, v2, v24
	v_addc_co_u32_e32 v3, vcc, 0, v3, vcc
	s_barrier
	global_load_dwordx4 v[38:41], v[2:3], off
	global_load_dwordx4 v[34:37], v[2:3], off offset:2048
	s_waitcnt vmcnt(4)
	v_mad_i64_i32 v[2:3], s[10:11], v6, s45, 0
	v_lshlrev_b64 v[2:3], 1, v[2:3]
	v_mov_b32_e32 v6, s13
	v_add_co_u32_e32 v2, vcc, s12, v2
	v_addc_co_u32_e32 v3, vcc, v6, v3, vcc
	v_mov_b32_e32 v6, 0x100
	v_lshl_or_b32 v18, v52, 4, v6
	v_add_co_u32_e32 v2, vcc, v2, v18
	v_addc_co_u32_e32 v3, vcc, 0, v3, vcc
	v_add_co_u32_e32 v2, vcc, v2, v24
	v_addc_co_u32_e32 v3, vcc, 0, v3, vcc
	global_load_dwordx4 v[30:33], v[2:3], off
	global_load_dwordx4 v[14:17], v[2:3], off offset:2048
	s_waitcnt vmcnt(5)
	v_mad_i64_i32 v[2:3], s[10:11], v5, s45, 0
	v_lshlrev_b64 v[2:3], 1, v[2:3]
	v_mov_b32_e32 v5, s13
	v_add_co_u32_e32 v2, vcc, s12, v2
	v_addc_co_u32_e32 v3, vcc, v5, v3, vcc
	v_add_co_u32_e32 v2, vcc, v2, v42
	v_addc_co_u32_e32 v3, vcc, v3, v43, vcc
	;; [unrolled: 2-line block ×3, first 2 shown]
	global_load_dwordx4 v[10:13], v[2:3], off
	global_load_dwordx4 v[6:9], v[2:3], off offset:2048
	s_waitcnt vmcnt(6)
	v_mad_i64_i32 v[2:3], s[10:11], v4, s45, 0
	v_lshlrev_b64 v[2:3], 1, v[2:3]
	v_mov_b32_e32 v4, s13
	v_add_co_u32_e32 v2, vcc, s12, v2
	v_addc_co_u32_e32 v3, vcc, v4, v3, vcc
	v_add_co_u32_e32 v2, vcc, v2, v18
	v_addc_co_u32_e32 v3, vcc, 0, v3, vcc
	;; [unrolled: 2-line block ×3, first 2 shown]
	global_load_dwordx4 v[2:5], v[22:23], off
	global_load_dwordx4 v[18:21], v[22:23], off offset:2048
	v_and_b32_e32 v22, 7, v0
	v_lshl_or_b32 v22, v22, 5, v24
	ds_read_b128 v[26:29], v22
	ds_read_b128 v[22:25], v22 offset:2048
	v_and_b32_e32 v54, 63, v0
	v_mov_b32_e32 v50, 0
	s_and_saveexec_b64 s[10:11], s[0:1]
	s_cbranch_execz .LBB255_15
; %bb.14:
	s_load_dwordx2 s[12:13], s[4:5], 0x40
	v_or_b32_e32 v44, s29, v52
	v_ashrrev_i32_e32 v45, 31, v44
	v_lshlrev_b64 v[44:45], 2, v[44:45]
	s_waitcnt lgkmcnt(0)
	v_mov_b32_e32 v46, s13
	v_add_co_u32_e32 v44, vcc, s12, v44
	v_addc_co_u32_e32 v45, vcc, v46, v45, vcc
	global_load_dword v50, v[44:45], off
.LBB255_15:
	s_or_b64 exec, exec, s[10:11]
	s_waitcnt vmcnt(7) lgkmcnt(1)
	v_mfma_f32_16x16x16bf16_1k v[44:47], v[38:39], v[26:27], 0
	s_ashr_i32 s10, s14, 31
	s_lshr_b32 s11, s10, 27
	v_mov_b32_e32 v49, s16
	s_add_u32 s2, s2, s8
	s_addc_u32 s3, s3, s9
	s_load_dword s10, s[4:5], 0x1c
	s_mov_b32 s42, 0xff7fffff
	v_mfma_f32_16x16x16bf16_1k v[38:41], v[40:41], v[28:29], v[44:47]
	s_waitcnt vmcnt(6) lgkmcnt(0)
	v_mfma_f32_16x16x16bf16_1k v[38:41], v[34:35], v[22:23], v[38:41]
	s_nop 4
	v_and_or_b32 v46, v0, 48, s14
	v_add_u32_e32 v34, s11, v46
	v_ashrrev_i32_e32 v34, 5, v34
	v_mov_b32_e32 v47, s17
	v_cmp_gt_i32_e32 vcc, s33, v46
	v_cndmask_b32_e32 v34, v47, v34, vcc
	v_ashrrev_i32_e32 v35, 31, v34
	v_lshlrev_b64 v[44:45], 2, v[34:35]
	v_mfma_f32_16x16x16bf16_1k v[34:37], v[36:37], v[24:25], v[38:41]
	s_nop 6
	v_mov_b32_e32 v39, s16
	v_add_co_u32_e32 v38, vcc, s15, v44
	v_addc_co_u32_e32 v39, vcc, v39, v45, vcc
	global_load_dword v48, v[38:39], off
	s_waitcnt vmcnt(6)
	v_mfma_f32_16x16x16bf16_1k v[38:41], v[30:31], v[26:27], 0
	v_or_b32_e32 v44, 64, v46
	v_add_u32_e32 v30, s11, v44
	v_ashrrev_i32_e32 v30, 5, v30
	v_cmp_gt_i32_e32 vcc, s33, v44
	v_cndmask_b32_e32 v30, v47, v30, vcc
	v_ashrrev_i32_e32 v31, 31, v30
	v_lshlrev_b64 v[44:45], 2, v[30:31]
	v_mfma_f32_16x16x16bf16_1k v[30:33], v[32:33], v[28:29], v[38:41]
	s_nop 6
	v_add_co_u32_e32 v38, vcc, s15, v44
	v_addc_co_u32_e32 v39, vcc, v49, v45, vcc
	global_load_dword v40, v[38:39], off
	v_or_b32_e32 v38, 0x80, v46
	v_add_u32_e32 v39, s11, v38
	v_ashrrev_i32_e32 v39, 5, v39
	v_cmp_gt_i32_e32 vcc, s33, v38
	v_cndmask_b32_e32 v38, v47, v39, vcc
	v_ashrrev_i32_e32 v39, 31, v38
	s_waitcnt vmcnt(6)
	v_mfma_f32_16x16x16bf16_1k v[30:33], v[14:15], v[22:23], v[30:33]
	v_lshlrev_b64 v[14:15], 2, v[38:39]
	v_mov_b32_e32 v38, s16
	v_add_co_u32_e32 v14, vcc, s15, v14
	v_addc_co_u32_e32 v15, vcc, v38, v15, vcc
	global_load_dword v41, v[14:15], off
	v_mfma_f32_16x16x16bf16_1k v[30:33], v[16:17], v[24:25], v[30:33]
	v_or_b32_e32 v38, 0xc0, v46
	v_cmp_gt_i32_e32 vcc, s33, v38
	v_mov_b32_e32 v44, s16
	s_waitcnt vmcnt(6)
	v_mfma_f32_16x16x16bf16_1k v[14:17], v[10:11], v[26:27], 0
	v_add_u32_e32 v10, s11, v38
	v_ashrrev_i32_e32 v10, 5, v10
	v_cndmask_b32_e32 v10, v47, v10, vcc
	v_ashrrev_i32_e32 v11, 31, v10
	v_lshlrev_b64 v[38:39], 2, v[10:11]
	s_nop 0
	v_pk_mul_f32 v[46:47], s[10:11], v[30:31] op_sel_hi:[0,1]
	v_mfma_f32_16x16x16bf16_1k v[10:13], v[12:13], v[28:29], v[14:17]
	s_nop 6
	v_add_co_u32_e32 v14, vcc, s15, v38
	s_waitcnt vmcnt(5)
	v_mfma_f32_16x16x16bf16_1k v[10:13], v[6:7], v[22:23], v[10:13]
	v_addc_co_u32_e32 v15, vcc, v44, v39, vcc
	global_load_dword v51, v[14:15], off
	v_and_b32_e32 v14, 16, v0
	v_lshlrev_b32_e32 v14, 1, v14
	v_mov_b32_e32 v6, s3
	v_add_co_u32_e32 v7, vcc, s2, v14
	v_lshlrev_b32_e32 v14, 6, v52
	v_addc_co_u32_e32 v6, vcc, 0, v6, vcc
	v_lshl_or_b32 v14, v53, 10, v14
	v_add_co_u32_e32 v55, vcc, v7, v14
	v_addc_co_u32_e32 v60, vcc, 0, v6, vcc
	v_mfma_f32_16x16x16bf16_1k v[56:59], v[8:9], v[24:25], v[10:13]
	s_waitcnt vmcnt(3)
	v_mad_i64_i32 v[6:7], s[2:3], v48, s45, 0
	v_pk_mul_f32 v[48:49], s[10:11], v[36:37] op_sel_hi:[0,1]
	v_pk_mul_f32 v[44:45], s[10:11], v[32:33] op_sel_hi:[0,1]
	s_waitcnt vmcnt(1)
	v_mad_i64_i32 v[38:39], s[2:3], v41, s45, 0
	s_nop 0
	v_lshlrev_b64 v[10:11], 1, v[6:7]
	v_mfma_f32_16x16x16bf16_1k v[6:9], v[2:3], v[26:27], 0
	v_add_co_u32_e32 v2, vcc, v55, v10
	v_addc_co_u32_e32 v3, vcc, v60, v11, vcc
	global_load_dwordx4 v[14:17], v[2:3], off
	global_load_dwordx4 v[10:13], v[2:3], off offset:16
	v_mad_i64_i32 v[2:3], s[2:3], v40, s45, 0
	v_mfma_f32_16x16x16bf16_1k v[26:29], v[4:5], v[28:29], v[6:9]
	v_lshlrev_b64 v[2:3], 1, v[2:3]
	v_add_co_u32_e32 v2, vcc, v55, v2
	v_addc_co_u32_e32 v3, vcc, v60, v3, vcc
	v_lshlrev_b64 v[38:39], 1, v[38:39]
	v_pk_mul_f32 v[40:41], s[10:11], v[56:57] op_sel_hi:[0,1]
	v_mfma_f32_16x16x16bf16_1k v[26:29], v[18:19], v[22:23], v[26:29]
	v_pk_mul_f32 v[18:19], s[10:11], v[34:35] op_sel_hi:[0,1]
	v_add_co_u32_e32 v22, vcc, v55, v38
	v_addc_co_u32_e32 v23, vcc, v60, v39, vcc
	v_pk_mul_f32 v[38:39], s[10:11], v[58:59] op_sel_hi:[0,1]
	global_load_dwordx4 v[6:9], v[2:3], off
	s_nop 0
	global_load_dwordx4 v[2:5], v[2:3], off offset:16
	v_mfma_f32_16x16x16bf16_1k v[24:27], v[20:21], v[24:25], v[26:29]
	v_and_b32_e32 v20, 0xc0, v0
	v_add_u32_e32 v20, s14, v20
	v_lshl_or_b32 v20, v1, 2, v20
	v_or_b32_e32 v21, 1, v20
	v_cmp_gt_i32_e64 s[30:31], s33, v20
	v_cmp_gt_i32_e64 s[34:35], s33, v21
	s_nop 4
	v_pk_mul_f32 v[36:37], s[10:11], v[24:25] op_sel_hi:[0,1]
	v_subrev_u32_e32 v24, s33, v21
	v_pk_mul_f32 v[34:35], s[10:11], v[26:27] op_sel_hi:[0,1]
	v_add_u32_e32 v26, 1, v24
	v_add_u32_e32 v27, 2, v24
	v_cvt_f32_i32_e32 v25, v24
	v_cvt_f32_i32_e32 v26, v26
	;; [unrolled: 1-line block ×3, first 2 shown]
	v_add_u32_e32 v28, 3, v24
	v_fma_f32 v18, v50, v25, v18
	v_fmac_f32_e32 v19, v50, v26
	v_fma_f32 v48, v50, v27, v48
	v_add_u32_e32 v25, 16, v24
	v_add_u32_e32 v26, 17, v24
	v_add_u32_e32 v27, 18, v24
	v_cvt_f32_i32_e32 v28, v28
	v_cvt_f32_i32_e32 v25, v25
	;; [unrolled: 1-line block ×4, first 2 shown]
	v_fmac_f32_e32 v49, v50, v28
	v_add_u32_e32 v28, 19, v24
	v_fma_f32 v46, v50, v25, v46
	v_fmac_f32_e32 v47, v50, v26
	v_fma_f32 v44, v50, v27, v44
	v_add_u32_e32 v25, 32, v24
	v_add_u32_e32 v26, 33, v24
	v_add_u32_e32 v27, 34, v24
	v_cvt_f32_i32_e32 v28, v28
	v_cvt_f32_i32_e32 v25, v25
	;; [unrolled: 1-line block ×4, first 2 shown]
	v_fmac_f32_e32 v45, v50, v28
	v_add_u32_e32 v28, 35, v24
	v_fma_f32 v40, v50, v25, v40
	v_fmac_f32_e32 v41, v50, v26
	v_fma_f32 v38, v50, v27, v38
	v_add_u32_e32 v25, 48, v24
	v_add_u32_e32 v26, 49, v24
	;; [unrolled: 1-line block ×4, first 2 shown]
	v_cvt_f32_i32_e32 v24, v24
	v_cvt_f32_i32_e32 v25, v25
	;; [unrolled: 1-line block ×4, first 2 shown]
	v_fmac_f32_e32 v35, v50, v24
	v_mov_b32_e32 v24, 0xff7fffff
	v_fma_f32 v36, v50, v25, v36
	v_cndmask_b32_e64 v25, v24, v18, s[30:31]
	v_cndmask_b32_e64 v21, v24, v19, s[34:35]
	v_fmac_f32_e32 v37, v50, v26
	v_max3_f32 v21, v25, s42, v21
	v_or_b32_e32 v25, 2, v20
	v_or_b32_e32 v26, 3, v20
	v_cmp_gt_i32_e64 s[36:37], s33, v25
	v_cmp_gt_i32_e64 s[38:39], s33, v26
	v_cndmask_b32_e64 v25, v24, v48, s[36:37]
	v_cndmask_b32_e64 v26, v24, v49, s[38:39]
	v_max3_f32 v21, v21, v25, v26
	v_or_b32_e32 v25, 16, v20
	v_or_b32_e32 v26, 17, v20
	v_cmp_gt_i32_e64 s[24:25], s33, v25
	v_cmp_gt_i32_e64 s[26:27], s33, v26
	v_cndmask_b32_e64 v25, v24, v46, s[24:25]
	v_cndmask_b32_e64 v26, v24, v47, s[26:27]
	;; [unrolled: 7-line block ×4, first 2 shown]
	v_max3_f32 v21, v21, v25, v26
	v_or_b32_e32 v25, 34, v20
	v_or_b32_e32 v26, 35, v20
	v_fmac_f32_e32 v39, v50, v28
	v_cmp_gt_i32_e64 s[12:13], s33, v25
	v_cmp_gt_i32_e64 s[14:15], s33, v26
	v_cndmask_b32_e64 v25, v24, v38, s[12:13]
	v_cndmask_b32_e64 v26, v24, v39, s[14:15]
	v_cvt_f32_i32_e32 v27, v27
	v_max3_f32 v21, v21, v25, v26
	v_or_b32_e32 v25, 48, v20
	v_or_b32_e32 v26, 49, v20
	v_cmp_gt_i32_e64 s[8:9], s33, v25
	v_cmp_gt_i32_e64 s[10:11], s33, v26
	v_cndmask_b32_e64 v25, v24, v36, s[8:9]
	v_cndmask_b32_e64 v26, v24, v37, s[10:11]
	v_max3_f32 v21, v21, v25, v26
	v_or_b32_e32 v25, 50, v20
	v_or_b32_e32 v20, 51, v20
	v_fma_f32 v34, v50, v27, v34
	v_cmp_gt_i32_e32 vcc, s33, v25
	v_cmp_gt_i32_e64 s[2:3], s33, v20
	v_cndmask_b32_e32 v25, v24, v34, vcc
	v_cndmask_b32_e64 v20, v24, v35, s[2:3]
	v_max3_f32 v26, v21, v25, v20
	v_mbcnt_lo_u32_b32 v20, -1, 0
	v_mbcnt_hi_u32_b32 v27, -1, v20
	v_and_b32_e32 v20, 64, v27
	v_add_u32_e32 v28, 64, v20
	v_xor_b32_e32 v20, 32, v27
	v_cmp_lt_i32_e64 s[40:41], v20, v28
	v_cndmask_b32_e64 v20, v27, v20, s[40:41]
	v_lshlrev_b32_e32 v56, 2, v20
	ds_bpermute_b32 v29, v56, v26
	s_waitcnt vmcnt(4)
	v_mad_i64_i32 v[20:21], s[40:41], v51, s45, 0
	v_lshlrev_b64 v[20:21], 1, v[20:21]
	global_load_dwordx4 v[30:33], v[22:23], off
	s_nop 0
	global_load_dwordx4 v[22:25], v[22:23], off offset:16
	s_waitcnt lgkmcnt(0)
	v_max_f32_e32 v29, v29, v29
	v_max_f32_e32 v26, v26, v29
	v_xor_b32_e32 v29, 16, v27
	v_cmp_lt_i32_e64 s[40:41], v29, v28
	v_cndmask_b32_e64 v27, v27, v29, s[40:41]
	v_lshlrev_b32_e32 v58, 2, v27
	ds_bpermute_b32 v27, v58, v26
	v_add_co_u32_e64 v20, s[40:41], v55, v20
	v_addc_co_u32_e64 v21, s[40:41], v60, v21, s[40:41]
	s_waitcnt lgkmcnt(0)
	v_max_f32_e32 v27, v27, v27
	v_max_f32_e32 v55, v26, v27
	v_sub_f32_e32 v18, v18, v55
	v_mul_f32_e32 v18, 0x3fb8aa3b, v18
	v_exp_f32_e32 v50, v18
	v_sub_f32_e32 v18, v19, v55
	v_mul_f32_e32 v18, 0x3fb8aa3b, v18
	v_exp_f32_e32 v51, v18
	global_load_dwordx4 v[26:29], v[20:21], off
	s_nop 0
	global_load_dwordx4 v[18:21], v[20:21], off offset:16
	v_sub_f32_e32 v48, v48, v55
	v_mul_f32_e32 v48, 0x3fb8aa3b, v48
	v_sub_f32_e32 v49, v49, v55
	v_exp_f32_e32 v48, v48
	v_mul_f32_e32 v49, 0x3fb8aa3b, v49
	v_sub_f32_e32 v46, v46, v55
	v_exp_f32_e32 v49, v49
	v_mul_f32_e32 v46, 0x3fb8aa3b, v46
	v_sub_f32_e32 v47, v47, v55
	v_cndmask_b32_e64 v50, 0, v50, s[30:31]
	v_exp_f32_e32 v46, v46
	v_mul_f32_e32 v47, 0x3fb8aa3b, v47
	v_sub_f32_e32 v44, v44, v55
	v_add_f32_e32 v57, 0, v50
	v_cndmask_b32_e64 v51, 0, v51, s[34:35]
	v_exp_f32_e32 v47, v47
	v_mul_f32_e32 v44, 0x3fb8aa3b, v44
	v_sub_f32_e32 v45, v45, v55
	v_add_f32_e32 v57, v57, v51
	;; [unrolled: 5-line block ×10, first 2 shown]
	v_cndmask_b32_e64 v38, 0, v38, s[12:13]
	v_exp_f32_e32 v34, v34
	v_mul_f32_e32 v35, 0x3fb8aa3b, v35
	v_add_f32_e32 v57, v57, v38
	v_cndmask_b32_e64 v39, 0, v39, s[14:15]
	v_exp_f32_e32 v35, v35
	v_add_f32_e32 v57, v57, v39
	v_cndmask_b32_e64 v36, 0, v36, s[8:9]
	v_add_f32_e32 v57, v57, v36
	v_cndmask_b32_e64 v37, 0, v37, s[10:11]
	v_add_f32_e32 v57, v57, v37
	v_cndmask_b32_e32 v34, 0, v34, vcc
	v_add_f32_e32 v57, v57, v34
	v_cndmask_b32_e64 v35, 0, v35, s[2:3]
	v_add_f32_e32 v57, v57, v35
	ds_bpermute_b32 v56, v56, v57
	s_load_dword s9, s[4:5], 0x98
	v_cmp_gt_u32_e32 vcc, 16, v54
	s_waitcnt lgkmcnt(0)
	s_barrier
	v_add_f32_e32 v57, v57, v56
	ds_bpermute_b32 v58, v58, v57
	v_lshlrev_b32_e32 v56, 2, v52
	s_waitcnt lgkmcnt(0)
	s_and_saveexec_b64 s[2:3], vcc
	s_cbranch_execz .LBB255_17
; %bb.16:
	v_add_f32_e32 v54, v57, v58
	v_lshl_or_b32 v57, v53, 6, v56
	ds_write2st64_b32 v57, v55, v54 offset1:1
.LBB255_17:
	s_or_b64 exec, exec, s[2:3]
	s_load_dword s8, s[4:5], 0x94
	s_waitcnt lgkmcnt(0)
	s_barrier
	ds_read2_b32 v[58:59], v56 offset1:16
	ds_read2_b32 v[60:61], v56 offset0:32 offset1:48
	ds_read2_b32 v[62:63], v56 offset0:64 offset1:80
	;; [unrolled: 1-line block ×3, first 2 shown]
	s_movk_i32 s10, 0x7fff
	s_waitcnt lgkmcnt(3)
	v_max3_f32 v54, v58, s42, v59
	s_waitcnt lgkmcnt(2)
	v_max3_f32 v54, v54, v60, v61
	v_sub_f32_e32 v55, v58, v54
	v_mul_f32_e32 v55, 0x3fb8aa3b, v55
	v_exp_f32_e32 v58, v55
	v_sub_f32_e32 v55, v59, v54
	v_mul_f32_e32 v55, 0x3fb8aa3b, v55
	v_exp_f32_e32 v59, v55
	;; [unrolled: 3-line block ×4, first 2 shown]
	s_waitcnt lgkmcnt(1)
	v_fma_f32 v55, v58, v62, 0
	v_fmac_f32_e32 v55, v59, v63
	s_waitcnt lgkmcnt(0)
	v_fmac_f32_e32 v55, v60, v56
	v_fmac_f32_e32 v55, v61, v57
	v_add_f32_e32 v56, 0x358637bd, v55
	v_div_scale_f32 v57, s[2:3], v56, v56, 1.0
	v_rcp_f32_e32 v62, v57
	s_mov_b32 s11, 0x7060302
	s_lshl_b32 s9, s9, 3
	v_fma_f32 v63, -v57, v62, 1.0
	v_fmac_f32_e32 v62, v63, v62
	v_div_scale_f32 v63, vcc, 1.0, v56, 1.0
	v_mul_f32_e32 v64, v63, v62
	v_fma_f32 v65, -v57, v64, v63
	v_fmac_f32_e32 v64, v65, v62
	v_fma_f32 v57, -v57, v64, v63
	v_div_fmas_f32 v57, v57, v62, v64
	v_cmp_eq_u32_e32 vcc, 1, v53
	v_div_fixup_f32 v56, v57, v56, 1.0
	v_cndmask_b32_e32 v57, v58, v59, vcc
	v_cmp_eq_u32_e32 vcc, 2, v53
	v_cndmask_b32_e32 v57, v57, v60, vcc
	v_cmp_eq_u32_e32 vcc, 3, v53
	v_cndmask_b32_e32 v57, v57, v61, vcc
	v_mul_f32_e32 v56, v57, v56
	v_pk_mul_f32 v[50:51], v[56:57], v[50:51] op_sel_hi:[0,1]
	v_pk_mul_f32 v[48:49], v[56:57], v[48:49] op_sel_hi:[0,1]
	v_bfe_u32 v57, v51, 16, 1
	v_bfe_u32 v58, v50, 16, 1
	v_add3_u32 v50, v50, v58, s10
	v_add3_u32 v51, v51, v57, s10
	v_perm_b32 v50, v51, v50, s11
	v_bfe_u32 v51, v49, 16, 1
	v_bfe_u32 v57, v48, 16, 1
	v_add3_u32 v48, v48, v57, s10
	v_add3_u32 v49, v49, v51, s10
	v_perm_b32 v51, v49, v48, s11
	v_lshlrev_b32_e32 v48, 3, v1
	v_lshlrev_b32_e32 v49, 5, v52
	;; [unrolled: 1-line block ×3, first 2 shown]
	v_pk_mul_f32 v[46:47], v[56:57], v[46:47] op_sel_hi:[0,1]
	v_or3_b32 v48, v52, v49, v48
	v_bfe_u32 v52, v47, 16, 1
	v_bfe_u32 v53, v46, 16, 1
	v_pk_mul_f32 v[44:45], v[56:57], v[44:45] op_sel_hi:[0,1]
	v_add3_u32 v46, v46, v53, s10
	v_add3_u32 v47, v47, v52, s10
	v_perm_b32 v46, v47, v46, s11
	v_bfe_u32 v47, v45, 16, 1
	v_bfe_u32 v52, v44, 16, 1
	v_add3_u32 v44, v44, v52, s10
	v_add3_u32 v45, v45, v47, s10
	v_pk_mul_f32 v[40:41], v[56:57], v[40:41] op_sel_hi:[0,1]
	v_perm_b32 v47, v45, v44, s11
	v_bfe_u32 v44, v41, 16, 1
	v_bfe_u32 v45, v40, 16, 1
	v_pk_mul_f32 v[38:39], v[56:57], v[38:39] op_sel_hi:[0,1]
	v_add3_u32 v40, v40, v45, s10
	v_add3_u32 v41, v41, v44, s10
	v_perm_b32 v40, v41, v40, s11
	v_bfe_u32 v41, v39, 16, 1
	v_bfe_u32 v44, v38, 16, 1
	v_add3_u32 v38, v38, v44, s10
	v_add3_u32 v39, v39, v41, s10
	v_pk_mul_f32 v[36:37], v[56:57], v[36:37] op_sel_hi:[0,1]
	v_perm_b32 v41, v39, v38, s11
	v_bfe_u32 v38, v37, 16, 1
	v_bfe_u32 v39, v36, 16, 1
	v_pk_mul_f32 v[34:35], v[56:57], v[34:35] op_sel_hi:[0,1]
	v_add3_u32 v36, v36, v39, s10
	v_add3_u32 v37, v37, v38, s10
	v_perm_b32 v36, v37, v36, s11
	v_bfe_u32 v37, v35, 16, 1
	v_bfe_u32 v38, v34, 16, 1
	v_add3_u32 v34, v34, v38, s10
	v_add3_u32 v35, v35, v37, s10
	v_perm_b32 v37, v35, v34, s11
	v_cmp_gt_u32_e32 vcc, 8, v0
	s_barrier
	ds_write2st64_b64 v48, v[50:51], v[46:47] offset1:1
	ds_write2st64_b64 v48, v[40:41], v[36:37] offset0:2 offset1:3
	s_and_saveexec_b64 s[2:3], vcc
	s_cbranch_execz .LBB255_19
; %bb.18:
	v_or_b32_e32 v34, s29, v0
	v_mov_b32_e32 v35, 0
	v_mov_b32_e32 v36, s9
	v_mad_u64_u32 v[36:37], s[16:17], s6, v36, v[34:35]
	v_mov_b32_e32 v34, s28
	s_load_dwordx4 s[12:15], s[4:5], 0x58
	s_mul_i32 s7, s7, s9
	v_mad_u64_u32 v[34:35], s[16:17], v36, s8, v[34:35]
	v_add_u32_e32 v37, s7, v37
	v_mov_b32_e32 v36, v35
	v_mad_u64_u32 v[36:37], s[16:17], v37, s8, v[36:37]
	v_mov_b32_e32 v35, v36
	v_lshlrev_b64 v[34:35], 2, v[34:35]
	s_waitcnt lgkmcnt(0)
	v_mov_b32_e32 v37, s15
	v_add_co_u32_e32 v36, vcc, s14, v34
	v_addc_co_u32_e32 v37, vcc, v37, v35, vcc
	global_store_dword v[36:37], v54, off
	v_mov_b32_e32 v36, s13
	v_add_co_u32_e32 v34, vcc, s12, v34
	v_addc_co_u32_e32 v35, vcc, v36, v35, vcc
	global_store_dword v[34:35], v55, off
.LBB255_19:
	s_or_b64 exec, exec, s[2:3]
	v_lshl_or_b32 v49, v1, 9, v49
	s_waitcnt lgkmcnt(0)
	s_barrier
	ds_read_b128 v[34:37], v49
	ds_read_b128 v[38:41], v49 offset:16
	s_waitcnt vmcnt(7) lgkmcnt(1)
	v_mfma_f32_16x16x16bf16_1k v[44:47], v[14:15], v[34:35], 0
	v_cmp_gt_u32_e32 vcc, 64, v0
	s_mov_b32 s3, 0
	s_and_b64 s[0:1], vcc, s[0:1]
	v_mfma_f32_16x16x16bf16_1k v[14:17], v[16:17], v[36:37], v[44:47]
	s_waitcnt vmcnt(6) lgkmcnt(0)
	v_mfma_f32_16x16x16bf16_1k v[14:17], v[10:11], v[38:39], v[14:17]
	v_mfma_f32_16x16x16bf16_1k v[10:13], v[12:13], v[40:41], v[14:17]
	s_nop 7
	s_nop 1
	ds_read_b128 v[14:17], v49 offset:2048
	ds_read_b128 v[34:37], v49 offset:2064
	s_waitcnt vmcnt(5) lgkmcnt(1)
	v_mfma_f32_16x16x16bf16_1k v[10:13], v[6:7], v[14:15], v[10:13]
	v_mfma_f32_16x16x16bf16_1k v[6:9], v[8:9], v[16:17], v[10:13]
	s_waitcnt vmcnt(4) lgkmcnt(0)
	v_mfma_f32_16x16x16bf16_1k v[6:9], v[2:3], v[34:35], v[6:9]
	v_mfma_f32_16x16x16bf16_1k v[2:5], v[4:5], v[36:37], v[6:9]
	s_nop 7
	s_nop 1
	ds_read_b128 v[6:9], v49 offset:4096
	ds_read_b128 v[10:13], v49 offset:4112
	s_waitcnt vmcnt(3) lgkmcnt(1)
	v_mfma_f32_16x16x16bf16_1k v[2:5], v[30:31], v[6:7], v[2:5]
	v_mfma_f32_16x16x16bf16_1k v[2:5], v[32:33], v[8:9], v[2:5]
	s_waitcnt vmcnt(2) lgkmcnt(0)
	v_mfma_f32_16x16x16bf16_1k v[2:5], v[22:23], v[10:11], v[2:5]
	v_mfma_f32_16x16x16bf16_1k v[2:5], v[24:25], v[12:13], v[2:5]
	ds_read_b128 v[6:9], v49 offset:6144
	ds_read_b128 v[10:13], v49 offset:6160
	s_waitcnt lgkmcnt(0)
	s_barrier
	s_waitcnt vmcnt(1)
	v_mfma_f32_16x16x16bf16_1k v[2:5], v[26:27], v[6:7], v[2:5]
	v_mfma_f32_16x16x16bf16_1k v[2:5], v[28:29], v[8:9], v[2:5]
	s_waitcnt vmcnt(0)
	v_mfma_f32_16x16x16bf16_1k v[2:5], v[18:19], v[10:11], v[2:5]
	v_mfma_f32_16x16x16bf16_1k v[2:5], v[20:21], v[12:13], v[2:5]
	s_nop 7
	s_nop 2
	v_bfe_u32 v6, v3, 16, 1
	v_bfe_u32 v7, v2, 16, 1
	;; [unrolled: 1-line block ×4, first 2 shown]
	v_add3_u32 v2, v2, v7, s10
	v_add3_u32 v3, v3, v6, s10
	;; [unrolled: 1-line block ×4, first 2 shown]
	v_perm_b32 v2, v3, v2, s11
	v_perm_b32 v3, v5, v4, s11
	ds_write_b64 v48, v[2:3]
	s_waitcnt lgkmcnt(0)
	s_barrier
	s_and_saveexec_b64 s[10:11], s[0:1]
	s_cbranch_execz .LBB255_21
; %bb.20:
	s_load_dwordx2 s[0:1], s[4:5], 0x68
	s_lshl_b32 s7, s8, 6
	s_mul_i32 s2, s9, s6
	s_mul_hi_u32 s5, s2, s7
	s_mul_i32 s4, s2, s7
	s_lshl_b64 s[4:5], s[4:5], 1
	s_waitcnt lgkmcnt(0)
	s_add_u32 s4, s0, s4
	s_addc_u32 s5, s1, s5
	s_lshl_b32 s2, s28, 6
	v_lshlrev_b32_e32 v2, 10, v0
	v_lshlrev_b32_e32 v0, 4, v0
	s_lshl_b64 s[0:1], s[2:3], 1
	v_and_b32_e32 v2, 0x1800, v2
	v_lshlrev_b32_e32 v3, 5, v1
	v_and_b32_e32 v0, 16, v0
	s_add_u32 s0, s4, s0
	v_or3_b32 v0, v2, v3, v0
	s_addc_u32 s1, s5, s1
	ds_read_b128 v[2:5], v0
	ds_read_b128 v[6:9], v0 offset:128
	v_mov_b32_e32 v0, s1
	v_add_co_u32_e32 v10, vcc, s0, v42
	v_or_b32_e32 v12, s29, v1
	v_addc_co_u32_e32 v11, vcc, v0, v43, vcc
	v_mad_u64_u32 v[0:1], s[0:1], v12, s7, 0
	v_lshlrev_b64 v[0:1], 1, v[0:1]
	v_add_co_u32_e32 v0, vcc, v10, v0
	v_addc_co_u32_e32 v1, vcc, v11, v1, vcc
	s_waitcnt lgkmcnt(1)
	global_store_dwordx4 v[0:1], v[2:5], off
	v_or_b32_e32 v0, 4, v12
	v_mad_u64_u32 v[0:1], s[0:1], v0, s7, 0
	v_lshlrev_b64 v[0:1], 1, v[0:1]
	v_add_co_u32_e32 v0, vcc, v10, v0
	v_addc_co_u32_e32 v1, vcc, v11, v1, vcc
	s_waitcnt lgkmcnt(0)
	global_store_dwordx4 v[0:1], v[6:9], off
.LBB255_21:
	s_endpgm
	.section	.rodata,"a",@progbits
	.p2align	6, 0x0
	.amdhsa_kernel _Z39paged_attention_ll4mi_QKV_mfma16_kernelI14__hip_bfloat16S0_LN4vllm18Fp8KVCacheDataTypeE0ES0_Li32ELi64ELi256ELb1ELi8EL8MFMAType0EEvPKT_PKT0_S9_ifPKiSB_SB_iPKfiiiPfSE_PS4_PT2_iSD_SD_
		.amdhsa_group_segment_fixed_size 8192
		.amdhsa_private_segment_fixed_size 0
		.amdhsa_kernarg_size 400
		.amdhsa_user_sgpr_count 6
		.amdhsa_user_sgpr_private_segment_buffer 1
		.amdhsa_user_sgpr_dispatch_ptr 0
		.amdhsa_user_sgpr_queue_ptr 0
		.amdhsa_user_sgpr_kernarg_segment_ptr 1
		.amdhsa_user_sgpr_dispatch_id 0
		.amdhsa_user_sgpr_flat_scratch_init 0
		.amdhsa_user_sgpr_kernarg_preload_length 0
		.amdhsa_user_sgpr_kernarg_preload_offset 0
		.amdhsa_user_sgpr_private_segment_size 0
		.amdhsa_uses_dynamic_stack 0
		.amdhsa_system_sgpr_private_segment_wavefront_offset 0
		.amdhsa_system_sgpr_workgroup_id_x 1
		.amdhsa_system_sgpr_workgroup_id_y 1
		.amdhsa_system_sgpr_workgroup_id_z 1
		.amdhsa_system_sgpr_workgroup_info 0
		.amdhsa_system_vgpr_workitem_id 0
		.amdhsa_next_free_vgpr 66
		.amdhsa_next_free_sgpr 48
		.amdhsa_accum_offset 68
		.amdhsa_reserve_vcc 1
		.amdhsa_reserve_flat_scratch 0
		.amdhsa_float_round_mode_32 0
		.amdhsa_float_round_mode_16_64 0
		.amdhsa_float_denorm_mode_32 3
		.amdhsa_float_denorm_mode_16_64 3
		.amdhsa_dx10_clamp 1
		.amdhsa_ieee_mode 1
		.amdhsa_fp16_overflow 0
		.amdhsa_tg_split 0
		.amdhsa_exception_fp_ieee_invalid_op 0
		.amdhsa_exception_fp_denorm_src 0
		.amdhsa_exception_fp_ieee_div_zero 0
		.amdhsa_exception_fp_ieee_overflow 0
		.amdhsa_exception_fp_ieee_underflow 0
		.amdhsa_exception_fp_ieee_inexact 0
		.amdhsa_exception_int_div_zero 0
	.end_amdhsa_kernel
	.section	.text._Z39paged_attention_ll4mi_QKV_mfma16_kernelI14__hip_bfloat16S0_LN4vllm18Fp8KVCacheDataTypeE0ES0_Li32ELi64ELi256ELb1ELi8EL8MFMAType0EEvPKT_PKT0_S9_ifPKiSB_SB_iPKfiiiPfSE_PS4_PT2_iSD_SD_,"axG",@progbits,_Z39paged_attention_ll4mi_QKV_mfma16_kernelI14__hip_bfloat16S0_LN4vllm18Fp8KVCacheDataTypeE0ES0_Li32ELi64ELi256ELb1ELi8EL8MFMAType0EEvPKT_PKT0_S9_ifPKiSB_SB_iPKfiiiPfSE_PS4_PT2_iSD_SD_,comdat
.Lfunc_end255:
	.size	_Z39paged_attention_ll4mi_QKV_mfma16_kernelI14__hip_bfloat16S0_LN4vllm18Fp8KVCacheDataTypeE0ES0_Li32ELi64ELi256ELb1ELi8EL8MFMAType0EEvPKT_PKT0_S9_ifPKiSB_SB_iPKfiiiPfSE_PS4_PT2_iSD_SD_, .Lfunc_end255-_Z39paged_attention_ll4mi_QKV_mfma16_kernelI14__hip_bfloat16S0_LN4vllm18Fp8KVCacheDataTypeE0ES0_Li32ELi64ELi256ELb1ELi8EL8MFMAType0EEvPKT_PKT0_S9_ifPKiSB_SB_iPKfiiiPfSE_PS4_PT2_iSD_SD_
                                        ; -- End function
	.section	.AMDGPU.csdata,"",@progbits
; Kernel info:
; codeLenInByte = 4596
; NumSgprs: 52
; NumVgprs: 66
; NumAgprs: 0
; TotalNumVgprs: 66
; ScratchSize: 0
; MemoryBound: 0
; FloatMode: 240
; IeeeMode: 1
; LDSByteSize: 8192 bytes/workgroup (compile time only)
; SGPRBlocks: 6
; VGPRBlocks: 8
; NumSGPRsForWavesPerEU: 52
; NumVGPRsForWavesPerEU: 66
; AccumOffset: 68
; Occupancy: 7
; WaveLimiterHint : 1
; COMPUTE_PGM_RSRC2:SCRATCH_EN: 0
; COMPUTE_PGM_RSRC2:USER_SGPR: 6
; COMPUTE_PGM_RSRC2:TRAP_HANDLER: 0
; COMPUTE_PGM_RSRC2:TGID_X_EN: 1
; COMPUTE_PGM_RSRC2:TGID_Y_EN: 1
; COMPUTE_PGM_RSRC2:TGID_Z_EN: 1
; COMPUTE_PGM_RSRC2:TIDIG_COMP_CNT: 0
; COMPUTE_PGM_RSRC3_GFX90A:ACCUM_OFFSET: 16
; COMPUTE_PGM_RSRC3_GFX90A:TG_SPLIT: 0
	.section	.text._Z39paged_attention_ll4mi_QKV_mfma16_kernelI14__hip_bfloat16S0_LN4vllm18Fp8KVCacheDataTypeE0ES0_Li32ELi64ELi256ELb1ELi9EL8MFMAType0EEvPKT_PKT0_S9_ifPKiSB_SB_iPKfiiiPfSE_PS4_PT2_iSD_SD_,"axG",@progbits,_Z39paged_attention_ll4mi_QKV_mfma16_kernelI14__hip_bfloat16S0_LN4vllm18Fp8KVCacheDataTypeE0ES0_Li32ELi64ELi256ELb1ELi9EL8MFMAType0EEvPKT_PKT0_S9_ifPKiSB_SB_iPKfiiiPfSE_PS4_PT2_iSD_SD_,comdat
	.protected	_Z39paged_attention_ll4mi_QKV_mfma16_kernelI14__hip_bfloat16S0_LN4vllm18Fp8KVCacheDataTypeE0ES0_Li32ELi64ELi256ELb1ELi9EL8MFMAType0EEvPKT_PKT0_S9_ifPKiSB_SB_iPKfiiiPfSE_PS4_PT2_iSD_SD_ ; -- Begin function _Z39paged_attention_ll4mi_QKV_mfma16_kernelI14__hip_bfloat16S0_LN4vllm18Fp8KVCacheDataTypeE0ES0_Li32ELi64ELi256ELb1ELi9EL8MFMAType0EEvPKT_PKT0_S9_ifPKiSB_SB_iPKfiiiPfSE_PS4_PT2_iSD_SD_
	.globl	_Z39paged_attention_ll4mi_QKV_mfma16_kernelI14__hip_bfloat16S0_LN4vllm18Fp8KVCacheDataTypeE0ES0_Li32ELi64ELi256ELb1ELi9EL8MFMAType0EEvPKT_PKT0_S9_ifPKiSB_SB_iPKfiiiPfSE_PS4_PT2_iSD_SD_
	.p2align	8
	.type	_Z39paged_attention_ll4mi_QKV_mfma16_kernelI14__hip_bfloat16S0_LN4vllm18Fp8KVCacheDataTypeE0ES0_Li32ELi64ELi256ELb1ELi9EL8MFMAType0EEvPKT_PKT0_S9_ifPKiSB_SB_iPKfiiiPfSE_PS4_PT2_iSD_SD_,@function
_Z39paged_attention_ll4mi_QKV_mfma16_kernelI14__hip_bfloat16S0_LN4vllm18Fp8KVCacheDataTypeE0ES0_Li32ELi64ELi256ELb1ELi9EL8MFMAType0EEvPKT_PKT0_S9_ifPKiSB_SB_iPKfiiiPfSE_PS4_PT2_iSD_SD_: ; @_Z39paged_attention_ll4mi_QKV_mfma16_kernelI14__hip_bfloat16S0_LN4vllm18Fp8KVCacheDataTypeE0ES0_Li32ELi64ELi256ELb1ELi9EL8MFMAType0EEvPKT_PKT0_S9_ifPKiSB_SB_iPKfiiiPfSE_PS4_PT2_iSD_SD_
; %bb.0:
	s_load_dwordx2 s[0:1], s[4:5], 0x30
	s_mov_b32 s28, s7
	s_mov_b64 s[10:11], 0
	s_waitcnt lgkmcnt(0)
	s_cmp_lg_u64 s[0:1], 0
	s_cselect_b64 s[2:3], -1, 0
	s_and_b64 vcc, exec, s[2:3]
	s_cbranch_vccz .LBB256_7
; %bb.1:
	s_add_i32 s12, s6, 1
	s_mov_b32 s13, 0
	s_lshl_b64 s[14:15], s[12:13], 2
	s_add_u32 s14, s0, s14
	s_mov_b32 s7, s13
	s_addc_u32 s15, s1, s15
	s_lshl_b64 s[12:13], s[6:7], 2
	s_add_u32 s12, s0, s12
	s_addc_u32 s13, s1, s13
	s_load_dword s9, s[14:15], 0x0
	s_load_dword s16, s[12:13], 0x0
	s_waitcnt lgkmcnt(0)
	s_sub_i32 s9, s9, s16
	s_cmp_eq_u32 s9, 1
	s_cselect_b64 s[12:13], -1, 0
	s_andn2_b64 vcc, exec, s[10:11]
	s_cbranch_vccnz .LBB256_3
.LBB256_2:
	s_mov_b32 s7, 0
	s_mov_b64 s[12:13], -1
.LBB256_3:
	s_andn2_b64 vcc, exec, s[12:13]
	s_cbranch_vccnz .LBB256_22
; %bb.4:
	s_load_dwordx2 s[12:13], s[4:5], 0x28
	s_lshl_b64 s[10:11], s[6:7], 2
	s_waitcnt lgkmcnt(0)
	s_add_u32 s12, s12, s10
	s_addc_u32 s13, s13, s11
	s_load_dword s33, s[12:13], 0x0
	s_lshl_b32 s14, s28, 8
	s_waitcnt lgkmcnt(0)
	s_cmp_ge_i32 s14, s33
	s_cbranch_scc1 .LBB256_22
; %bb.5:
	s_add_i32 s15, s33, 31
	s_load_dwordx2 s[12:13], s[4:5], 0x20
	s_load_dword s9, s[4:5], 0x38
	s_ashr_i32 s16, s15, 31
	v_and_b32_e32 v1, 0xcf, v0
	s_lshr_b32 s16, s16, 27
	v_add_u32_e32 v1, s14, v1
	s_add_i32 s15, s15, s16
	v_ashrrev_i32_e32 v2, 31, v1
	s_ashr_i32 s17, s15, 5
	v_lshrrev_b32_e32 v6, 27, v2
	s_add_i32 s17, s17, -1
	v_add_u32_e32 v2, v1, v6
	s_waitcnt lgkmcnt(0)
	s_mul_i32 s18, s6, s9
	s_mov_b32 s19, 0
	v_ashrrev_i32_e32 v2, 5, v2
	v_mov_b32_e32 v7, s17
	v_cmp_gt_i32_e32 vcc, s33, v1
	s_lshl_b64 s[18:19], s[18:19], 2
	v_cndmask_b32_e32 v2, v7, v2, vcc
	s_add_u32 s15, s12, s18
	v_ashrrev_i32_e32 v3, 31, v2
	s_addc_u32 s16, s13, s19
	v_lshlrev_b64 v[2:3], 2, v[2:3]
	v_mov_b32_e32 v4, s16
	v_add_co_u32_e32 v2, vcc, s15, v2
	v_addc_co_u32_e32 v3, vcc, v4, v3, vcc
	v_or_b32_e32 v4, 16, v1
	v_add_u32_e32 v5, v4, v6
	v_ashrrev_i32_e32 v5, 5, v5
	v_cmp_gt_i32_e32 vcc, s33, v4
	v_cndmask_b32_e32 v4, v7, v5, vcc
	v_ashrrev_i32_e32 v5, 31, v4
	v_lshlrev_b64 v[4:5], 2, v[4:5]
	v_mov_b32_e32 v9, s16
	v_add_co_u32_e32 v8, vcc, s15, v4
	v_or_b32_e32 v4, 32, v1
	v_addc_co_u32_e32 v9, vcc, v9, v5, vcc
	v_add_u32_e32 v5, v4, v6
	v_ashrrev_i32_e32 v5, 5, v5
	v_cmp_gt_i32_e32 vcc, s33, v4
	v_cndmask_b32_e32 v4, v7, v5, vcc
	v_ashrrev_i32_e32 v5, 31, v4
	v_lshlrev_b64 v[4:5], 2, v[4:5]
	v_mov_b32_e32 v11, s16
	v_add_co_u32_e32 v10, vcc, s15, v4
	v_or_b32_e32 v1, 48, v1
	v_addc_co_u32_e32 v11, vcc, v11, v5, vcc
	v_add_u32_e32 v4, v1, v6
	v_ashrrev_i32_e32 v4, 5, v4
	v_cmp_gt_i32_e32 vcc, s33, v1
	v_cndmask_b32_e32 v4, v7, v4, vcc
	v_ashrrev_i32_e32 v5, 31, v4
	v_lshlrev_b64 v[4:5], 2, v[4:5]
	v_mov_b32_e32 v1, s16
	v_add_co_u32_e32 v12, vcc, s15, v4
	v_addc_co_u32_e32 v13, vcc, v1, v5, vcc
	global_load_dword v7, v[2:3], off
	global_load_dword v6, v[8:9], off
	;; [unrolled: 1-line block ×4, first 2 shown]
	s_andn2_b64 vcc, exec, s[2:3]
	s_cbranch_vccnz .LBB256_8
; %bb.6:
	s_add_u32 s0, s0, s10
	s_addc_u32 s1, s1, s11
	s_load_dword s9, s[0:1], 0x0
	s_branch .LBB256_9
.LBB256_7:
	s_mov_b64 s[12:13], 0
	s_branch .LBB256_2
.LBB256_8:
	s_mov_b32 s9, s6
.LBB256_9:
	s_load_dwordx2 s[10:11], s[4:5], 0x8
	s_load_dwordx4 s[44:47], s[4:5], 0x48
	v_lshrrev_b32_e32 v53, 6, v0
	v_bfe_u32 v1, v0, 4, 2
	v_lshl_or_b32 v8, v53, 2, v1
	v_and_b32_e32 v52, 15, v0
	v_cmp_lt_u32_e32 vcc, 8, v8
	v_cmp_lt_u32_e64 s[2:3], 7, v52
	v_lshlrev_b32_e32 v2, 3, v52
	v_cmp_gt_u32_e64 s[0:1], 8, v52
	s_or_b64 s[2:3], s[2:3], vcc
	s_and_saveexec_b64 s[12:13], s[2:3]
	s_xor_b64 s[2:3], exec, s[12:13]
; %bb.10:
	v_mov_b32_e32 v3, 0
                                        ; implicit-def: $vgpr8
; %bb.11:
	s_or_saveexec_b64 s[12:13], s[2:3]
	s_load_dwordx2 s[2:3], s[4:5], 0x10
	s_mul_i32 s29, s8, 9
	s_xor_b64 exec, exec, s[12:13]
	s_cbranch_execz .LBB256_13
; %bb.12:
	s_load_dwordx2 s[18:19], s[4:5], 0x0
	s_waitcnt lgkmcnt(0)
	s_ashr_i32 s20, s44, 31
	s_mul_hi_u32 s21, s9, s44
	s_mul_i32 s20, s9, s20
	s_add_i32 s21, s21, s20
	s_mul_i32 s20, s9, s44
	s_lshl_b64 s[20:21], s[20:21], 1
	v_add_lshl_u32 v10, v8, s29, 6
	s_add_u32 s9, s18, s20
	v_ashrrev_i32_e32 v11, 31, v10
	s_addc_u32 s18, s19, s21
	v_lshlrev_b64 v[10:11], 1, v[10:11]
	v_mov_b32_e32 v3, s18
	v_add_co_u32_e32 v9, vcc, s9, v10
	v_addc_co_u32_e32 v3, vcc, v3, v11, vcc
	v_lshlrev_b32_e32 v10, 1, v2
	v_add_co_u32_e32 v10, vcc, v9, v10
	v_addc_co_u32_e32 v11, vcc, 0, v3, vcc
	global_load_dwordx4 v[10:13], v[10:11], off
	v_and_b32_e32 v9, 3, v0
	v_lshlrev_b32_e32 v14, 9, v52
	v_lshlrev_b32_e32 v8, 5, v8
	;; [unrolled: 1-line block ×3, first 2 shown]
	v_and_b32_e32 v14, 0x1800, v14
	v_mov_b32_e32 v3, 0
	v_or3_b32 v8, v14, v9, v8
	s_waitcnt vmcnt(0)
	ds_write_b128 v8, v[10:13]
.LBB256_13:
	s_or_b64 exec, exec, s[12:13]
	s_waitcnt lgkmcnt(0)
	s_mul_i32 s8, s8, s46
	s_mov_b32 s9, 0
	s_lshl_b64 s[8:9], s[8:9], 1
	s_add_u32 s12, s10, s8
	s_addc_u32 s13, s11, s9
	s_waitcnt vmcnt(3)
	v_mad_i64_i32 v[8:9], s[10:11], v7, s45, 0
	v_lshlrev_b64 v[8:9], 1, v[8:9]
	v_mov_b32_e32 v7, s13
	v_add_co_u32_e32 v8, vcc, s12, v8
	v_addc_co_u32_e32 v7, vcc, v7, v9, vcc
	v_lshlrev_b64 v[42:43], 1, v[2:3]
	v_add_co_u32_e32 v2, vcc, v8, v42
	v_lshlrev_b32_e32 v24, 9, v1
	v_addc_co_u32_e32 v3, vcc, v7, v43, vcc
	v_add_co_u32_e32 v2, vcc, v2, v24
	v_addc_co_u32_e32 v3, vcc, 0, v3, vcc
	s_barrier
	global_load_dwordx4 v[38:41], v[2:3], off
	global_load_dwordx4 v[34:37], v[2:3], off offset:2048
	s_waitcnt vmcnt(4)
	v_mad_i64_i32 v[2:3], s[10:11], v6, s45, 0
	v_lshlrev_b64 v[2:3], 1, v[2:3]
	v_mov_b32_e32 v6, s13
	v_add_co_u32_e32 v2, vcc, s12, v2
	v_addc_co_u32_e32 v3, vcc, v6, v3, vcc
	v_mov_b32_e32 v6, 0x100
	v_lshl_or_b32 v18, v52, 4, v6
	v_add_co_u32_e32 v2, vcc, v2, v18
	v_addc_co_u32_e32 v3, vcc, 0, v3, vcc
	v_add_co_u32_e32 v2, vcc, v2, v24
	v_addc_co_u32_e32 v3, vcc, 0, v3, vcc
	global_load_dwordx4 v[30:33], v[2:3], off
	global_load_dwordx4 v[14:17], v[2:3], off offset:2048
	s_waitcnt vmcnt(5)
	v_mad_i64_i32 v[2:3], s[10:11], v5, s45, 0
	v_lshlrev_b64 v[2:3], 1, v[2:3]
	v_mov_b32_e32 v5, s13
	v_add_co_u32_e32 v2, vcc, s12, v2
	v_addc_co_u32_e32 v3, vcc, v5, v3, vcc
	v_add_co_u32_e32 v2, vcc, v2, v42
	v_addc_co_u32_e32 v3, vcc, v3, v43, vcc
	;; [unrolled: 2-line block ×3, first 2 shown]
	global_load_dwordx4 v[10:13], v[2:3], off
	global_load_dwordx4 v[6:9], v[2:3], off offset:2048
	s_waitcnt vmcnt(6)
	v_mad_i64_i32 v[2:3], s[10:11], v4, s45, 0
	v_lshlrev_b64 v[2:3], 1, v[2:3]
	v_mov_b32_e32 v4, s13
	v_add_co_u32_e32 v2, vcc, s12, v2
	v_addc_co_u32_e32 v3, vcc, v4, v3, vcc
	v_add_co_u32_e32 v2, vcc, v2, v18
	v_addc_co_u32_e32 v3, vcc, 0, v3, vcc
	;; [unrolled: 2-line block ×3, first 2 shown]
	global_load_dwordx4 v[2:5], v[22:23], off
	global_load_dwordx4 v[18:21], v[22:23], off offset:2048
	v_add_u32_e32 v22, -9, v52
	v_cmp_gt_u32_e32 vcc, 9, v52
	v_cndmask_b32_e32 v22, v22, v52, vcc
	v_lshl_add_u32 v22, v22, 5, v24
	ds_read_b128 v[26:29], v22
	ds_read_b128 v[22:25], v22 offset:2048
	v_and_b32_e32 v54, 63, v0
	v_mov_b32_e32 v50, 0
	s_and_saveexec_b64 s[10:11], vcc
	s_cbranch_execz .LBB256_15
; %bb.14:
	s_load_dwordx2 s[12:13], s[4:5], 0x40
	v_add_u32_e32 v44, s29, v52
	v_ashrrev_i32_e32 v45, 31, v44
	v_lshlrev_b64 v[44:45], 2, v[44:45]
	s_waitcnt lgkmcnt(0)
	v_mov_b32_e32 v46, s13
	v_add_co_u32_e32 v44, vcc, s12, v44
	v_addc_co_u32_e32 v45, vcc, v46, v45, vcc
	global_load_dword v50, v[44:45], off
.LBB256_15:
	s_or_b64 exec, exec, s[10:11]
	s_waitcnt vmcnt(7) lgkmcnt(1)
	v_mfma_f32_16x16x16bf16_1k v[44:47], v[38:39], v[26:27], 0
	s_ashr_i32 s10, s14, 31
	s_lshr_b32 s11, s10, 27
	v_mov_b32_e32 v49, s16
	s_add_u32 s2, s2, s8
	s_addc_u32 s3, s3, s9
	s_load_dword s10, s[4:5], 0x1c
	s_mov_b32 s42, 0xff7fffff
	v_mfma_f32_16x16x16bf16_1k v[38:41], v[40:41], v[28:29], v[44:47]
	s_waitcnt vmcnt(6) lgkmcnt(0)
	v_mfma_f32_16x16x16bf16_1k v[38:41], v[34:35], v[22:23], v[38:41]
	s_nop 4
	v_and_or_b32 v46, v0, 48, s14
	v_add_u32_e32 v34, s11, v46
	v_ashrrev_i32_e32 v34, 5, v34
	v_mov_b32_e32 v47, s17
	v_cmp_gt_i32_e32 vcc, s33, v46
	v_cndmask_b32_e32 v34, v47, v34, vcc
	v_ashrrev_i32_e32 v35, 31, v34
	v_lshlrev_b64 v[44:45], 2, v[34:35]
	v_mfma_f32_16x16x16bf16_1k v[34:37], v[36:37], v[24:25], v[38:41]
	s_nop 6
	v_mov_b32_e32 v39, s16
	v_add_co_u32_e32 v38, vcc, s15, v44
	v_addc_co_u32_e32 v39, vcc, v39, v45, vcc
	global_load_dword v48, v[38:39], off
	s_waitcnt vmcnt(6)
	v_mfma_f32_16x16x16bf16_1k v[38:41], v[30:31], v[26:27], 0
	v_or_b32_e32 v44, 64, v46
	v_add_u32_e32 v30, s11, v44
	v_ashrrev_i32_e32 v30, 5, v30
	v_cmp_gt_i32_e32 vcc, s33, v44
	v_cndmask_b32_e32 v30, v47, v30, vcc
	v_ashrrev_i32_e32 v31, 31, v30
	v_lshlrev_b64 v[44:45], 2, v[30:31]
	v_mfma_f32_16x16x16bf16_1k v[30:33], v[32:33], v[28:29], v[38:41]
	s_nop 6
	v_add_co_u32_e32 v38, vcc, s15, v44
	v_addc_co_u32_e32 v39, vcc, v49, v45, vcc
	global_load_dword v40, v[38:39], off
	v_or_b32_e32 v38, 0x80, v46
	v_add_u32_e32 v39, s11, v38
	v_ashrrev_i32_e32 v39, 5, v39
	v_cmp_gt_i32_e32 vcc, s33, v38
	v_cndmask_b32_e32 v38, v47, v39, vcc
	v_ashrrev_i32_e32 v39, 31, v38
	s_waitcnt vmcnt(6)
	v_mfma_f32_16x16x16bf16_1k v[30:33], v[14:15], v[22:23], v[30:33]
	v_lshlrev_b64 v[14:15], 2, v[38:39]
	v_mov_b32_e32 v38, s16
	v_add_co_u32_e32 v14, vcc, s15, v14
	v_addc_co_u32_e32 v15, vcc, v38, v15, vcc
	global_load_dword v41, v[14:15], off
	v_mfma_f32_16x16x16bf16_1k v[30:33], v[16:17], v[24:25], v[30:33]
	v_or_b32_e32 v38, 0xc0, v46
	v_cmp_gt_i32_e32 vcc, s33, v38
	v_mov_b32_e32 v44, s16
	s_waitcnt vmcnt(6)
	v_mfma_f32_16x16x16bf16_1k v[14:17], v[10:11], v[26:27], 0
	v_add_u32_e32 v10, s11, v38
	v_ashrrev_i32_e32 v10, 5, v10
	v_cndmask_b32_e32 v10, v47, v10, vcc
	v_ashrrev_i32_e32 v11, 31, v10
	v_lshlrev_b64 v[38:39], 2, v[10:11]
	s_nop 0
	v_pk_mul_f32 v[46:47], s[10:11], v[30:31] op_sel_hi:[0,1]
	v_mfma_f32_16x16x16bf16_1k v[10:13], v[12:13], v[28:29], v[14:17]
	s_nop 6
	v_add_co_u32_e32 v14, vcc, s15, v38
	s_waitcnt vmcnt(5)
	v_mfma_f32_16x16x16bf16_1k v[10:13], v[6:7], v[22:23], v[10:13]
	v_addc_co_u32_e32 v15, vcc, v44, v39, vcc
	global_load_dword v51, v[14:15], off
	v_and_b32_e32 v14, 16, v0
	v_lshlrev_b32_e32 v14, 1, v14
	v_mov_b32_e32 v6, s3
	v_add_co_u32_e32 v7, vcc, s2, v14
	v_lshlrev_b32_e32 v14, 6, v52
	v_addc_co_u32_e32 v6, vcc, 0, v6, vcc
	v_lshl_or_b32 v14, v53, 10, v14
	v_add_co_u32_e32 v55, vcc, v7, v14
	v_addc_co_u32_e32 v60, vcc, 0, v6, vcc
	v_mfma_f32_16x16x16bf16_1k v[56:59], v[8:9], v[24:25], v[10:13]
	s_waitcnt vmcnt(3)
	v_mad_i64_i32 v[6:7], s[2:3], v48, s45, 0
	v_pk_mul_f32 v[48:49], s[10:11], v[36:37] op_sel_hi:[0,1]
	v_pk_mul_f32 v[44:45], s[10:11], v[32:33] op_sel_hi:[0,1]
	s_waitcnt vmcnt(1)
	v_mad_i64_i32 v[38:39], s[2:3], v41, s45, 0
	s_nop 0
	v_lshlrev_b64 v[10:11], 1, v[6:7]
	v_mfma_f32_16x16x16bf16_1k v[6:9], v[2:3], v[26:27], 0
	v_add_co_u32_e32 v2, vcc, v55, v10
	v_addc_co_u32_e32 v3, vcc, v60, v11, vcc
	global_load_dwordx4 v[14:17], v[2:3], off
	global_load_dwordx4 v[10:13], v[2:3], off offset:16
	v_mad_i64_i32 v[2:3], s[2:3], v40, s45, 0
	v_mfma_f32_16x16x16bf16_1k v[26:29], v[4:5], v[28:29], v[6:9]
	v_lshlrev_b64 v[2:3], 1, v[2:3]
	v_add_co_u32_e32 v2, vcc, v55, v2
	v_addc_co_u32_e32 v3, vcc, v60, v3, vcc
	v_lshlrev_b64 v[38:39], 1, v[38:39]
	v_pk_mul_f32 v[40:41], s[10:11], v[56:57] op_sel_hi:[0,1]
	v_mfma_f32_16x16x16bf16_1k v[26:29], v[18:19], v[22:23], v[26:29]
	v_pk_mul_f32 v[18:19], s[10:11], v[34:35] op_sel_hi:[0,1]
	v_add_co_u32_e32 v22, vcc, v55, v38
	v_addc_co_u32_e32 v23, vcc, v60, v39, vcc
	v_pk_mul_f32 v[38:39], s[10:11], v[58:59] op_sel_hi:[0,1]
	global_load_dwordx4 v[6:9], v[2:3], off
	s_nop 0
	global_load_dwordx4 v[2:5], v[2:3], off offset:16
	v_mfma_f32_16x16x16bf16_1k v[24:27], v[20:21], v[24:25], v[26:29]
	v_and_b32_e32 v20, 0xc0, v0
	v_add_u32_e32 v20, s14, v20
	v_lshl_or_b32 v20, v1, 2, v20
	v_or_b32_e32 v21, 1, v20
	v_cmp_gt_i32_e64 s[30:31], s33, v20
	v_cmp_gt_i32_e64 s[34:35], s33, v21
	s_nop 4
	v_pk_mul_f32 v[36:37], s[10:11], v[24:25] op_sel_hi:[0,1]
	v_subrev_u32_e32 v24, s33, v21
	v_pk_mul_f32 v[34:35], s[10:11], v[26:27] op_sel_hi:[0,1]
	v_add_u32_e32 v26, 1, v24
	v_add_u32_e32 v27, 2, v24
	v_cvt_f32_i32_e32 v25, v24
	v_cvt_f32_i32_e32 v26, v26
	v_cvt_f32_i32_e32 v27, v27
	v_add_u32_e32 v28, 3, v24
	v_fma_f32 v18, v50, v25, v18
	v_fmac_f32_e32 v19, v50, v26
	v_fma_f32 v48, v50, v27, v48
	v_add_u32_e32 v25, 16, v24
	v_add_u32_e32 v26, 17, v24
	;; [unrolled: 1-line block ×3, first 2 shown]
	v_cvt_f32_i32_e32 v28, v28
	v_cvt_f32_i32_e32 v25, v25
	;; [unrolled: 1-line block ×4, first 2 shown]
	v_fmac_f32_e32 v49, v50, v28
	v_add_u32_e32 v28, 19, v24
	v_fma_f32 v46, v50, v25, v46
	v_fmac_f32_e32 v47, v50, v26
	v_fma_f32 v44, v50, v27, v44
	v_add_u32_e32 v25, 32, v24
	v_add_u32_e32 v26, 33, v24
	;; [unrolled: 1-line block ×3, first 2 shown]
	v_cvt_f32_i32_e32 v28, v28
	v_cvt_f32_i32_e32 v25, v25
	;; [unrolled: 1-line block ×4, first 2 shown]
	v_fmac_f32_e32 v45, v50, v28
	v_add_u32_e32 v28, 35, v24
	v_fma_f32 v40, v50, v25, v40
	v_fmac_f32_e32 v41, v50, v26
	v_fma_f32 v38, v50, v27, v38
	v_add_u32_e32 v25, 48, v24
	v_add_u32_e32 v26, 49, v24
	;; [unrolled: 1-line block ×4, first 2 shown]
	v_cvt_f32_i32_e32 v24, v24
	v_cvt_f32_i32_e32 v25, v25
	;; [unrolled: 1-line block ×4, first 2 shown]
	v_fmac_f32_e32 v35, v50, v24
	v_mov_b32_e32 v24, 0xff7fffff
	v_fma_f32 v36, v50, v25, v36
	v_cndmask_b32_e64 v25, v24, v18, s[30:31]
	v_cndmask_b32_e64 v21, v24, v19, s[34:35]
	v_fmac_f32_e32 v37, v50, v26
	v_max3_f32 v21, v25, s42, v21
	v_or_b32_e32 v25, 2, v20
	v_or_b32_e32 v26, 3, v20
	v_cmp_gt_i32_e64 s[36:37], s33, v25
	v_cmp_gt_i32_e64 s[38:39], s33, v26
	v_cndmask_b32_e64 v25, v24, v48, s[36:37]
	v_cndmask_b32_e64 v26, v24, v49, s[38:39]
	v_max3_f32 v21, v21, v25, v26
	v_or_b32_e32 v25, 16, v20
	v_or_b32_e32 v26, 17, v20
	v_cmp_gt_i32_e64 s[24:25], s33, v25
	v_cmp_gt_i32_e64 s[26:27], s33, v26
	v_cndmask_b32_e64 v25, v24, v46, s[24:25]
	v_cndmask_b32_e64 v26, v24, v47, s[26:27]
	;; [unrolled: 7-line block ×4, first 2 shown]
	v_max3_f32 v21, v21, v25, v26
	v_or_b32_e32 v25, 34, v20
	v_or_b32_e32 v26, 35, v20
	v_fmac_f32_e32 v39, v50, v28
	v_cmp_gt_i32_e64 s[12:13], s33, v25
	v_cmp_gt_i32_e64 s[14:15], s33, v26
	v_cndmask_b32_e64 v25, v24, v38, s[12:13]
	v_cndmask_b32_e64 v26, v24, v39, s[14:15]
	v_cvt_f32_i32_e32 v27, v27
	v_max3_f32 v21, v21, v25, v26
	v_or_b32_e32 v25, 48, v20
	v_or_b32_e32 v26, 49, v20
	v_cmp_gt_i32_e64 s[8:9], s33, v25
	v_cmp_gt_i32_e64 s[10:11], s33, v26
	v_cndmask_b32_e64 v25, v24, v36, s[8:9]
	v_cndmask_b32_e64 v26, v24, v37, s[10:11]
	v_max3_f32 v21, v21, v25, v26
	v_or_b32_e32 v25, 50, v20
	v_or_b32_e32 v20, 51, v20
	v_fma_f32 v34, v50, v27, v34
	v_cmp_gt_i32_e32 vcc, s33, v25
	v_cmp_gt_i32_e64 s[2:3], s33, v20
	v_cndmask_b32_e32 v25, v24, v34, vcc
	v_cndmask_b32_e64 v20, v24, v35, s[2:3]
	v_max3_f32 v26, v21, v25, v20
	v_mbcnt_lo_u32_b32 v20, -1, 0
	v_mbcnt_hi_u32_b32 v27, -1, v20
	v_and_b32_e32 v20, 64, v27
	v_add_u32_e32 v28, 64, v20
	v_xor_b32_e32 v20, 32, v27
	v_cmp_lt_i32_e64 s[40:41], v20, v28
	v_cndmask_b32_e64 v20, v27, v20, s[40:41]
	v_lshlrev_b32_e32 v56, 2, v20
	ds_bpermute_b32 v29, v56, v26
	s_waitcnt vmcnt(4)
	v_mad_i64_i32 v[20:21], s[40:41], v51, s45, 0
	v_lshlrev_b64 v[20:21], 1, v[20:21]
	global_load_dwordx4 v[30:33], v[22:23], off
	s_nop 0
	global_load_dwordx4 v[22:25], v[22:23], off offset:16
	s_waitcnt lgkmcnt(0)
	v_max_f32_e32 v29, v29, v29
	v_max_f32_e32 v26, v26, v29
	v_xor_b32_e32 v29, 16, v27
	v_cmp_lt_i32_e64 s[40:41], v29, v28
	v_cndmask_b32_e64 v27, v27, v29, s[40:41]
	v_lshlrev_b32_e32 v58, 2, v27
	ds_bpermute_b32 v27, v58, v26
	v_add_co_u32_e64 v20, s[40:41], v55, v20
	v_addc_co_u32_e64 v21, s[40:41], v60, v21, s[40:41]
	s_waitcnt lgkmcnt(0)
	v_max_f32_e32 v27, v27, v27
	v_max_f32_e32 v55, v26, v27
	v_sub_f32_e32 v18, v18, v55
	v_mul_f32_e32 v18, 0x3fb8aa3b, v18
	v_exp_f32_e32 v50, v18
	v_sub_f32_e32 v18, v19, v55
	v_mul_f32_e32 v18, 0x3fb8aa3b, v18
	v_exp_f32_e32 v51, v18
	global_load_dwordx4 v[26:29], v[20:21], off
	s_nop 0
	global_load_dwordx4 v[18:21], v[20:21], off offset:16
	v_sub_f32_e32 v48, v48, v55
	v_mul_f32_e32 v48, 0x3fb8aa3b, v48
	v_sub_f32_e32 v49, v49, v55
	v_exp_f32_e32 v48, v48
	v_mul_f32_e32 v49, 0x3fb8aa3b, v49
	v_sub_f32_e32 v46, v46, v55
	v_exp_f32_e32 v49, v49
	v_mul_f32_e32 v46, 0x3fb8aa3b, v46
	v_sub_f32_e32 v47, v47, v55
	v_cndmask_b32_e64 v50, 0, v50, s[30:31]
	v_exp_f32_e32 v46, v46
	v_mul_f32_e32 v47, 0x3fb8aa3b, v47
	v_sub_f32_e32 v44, v44, v55
	v_add_f32_e32 v57, 0, v50
	v_cndmask_b32_e64 v51, 0, v51, s[34:35]
	v_exp_f32_e32 v47, v47
	v_mul_f32_e32 v44, 0x3fb8aa3b, v44
	v_sub_f32_e32 v45, v45, v55
	v_add_f32_e32 v57, v57, v51
	;; [unrolled: 5-line block ×10, first 2 shown]
	v_cndmask_b32_e64 v38, 0, v38, s[12:13]
	v_exp_f32_e32 v34, v34
	v_mul_f32_e32 v35, 0x3fb8aa3b, v35
	v_add_f32_e32 v57, v57, v38
	v_cndmask_b32_e64 v39, 0, v39, s[14:15]
	v_exp_f32_e32 v35, v35
	v_add_f32_e32 v57, v57, v39
	v_cndmask_b32_e64 v36, 0, v36, s[8:9]
	v_add_f32_e32 v57, v57, v36
	v_cndmask_b32_e64 v37, 0, v37, s[10:11]
	v_add_f32_e32 v57, v57, v37
	v_cndmask_b32_e32 v34, 0, v34, vcc
	v_add_f32_e32 v57, v57, v34
	v_cndmask_b32_e64 v35, 0, v35, s[2:3]
	v_add_f32_e32 v57, v57, v35
	ds_bpermute_b32 v56, v56, v57
	s_load_dword s11, s[4:5], 0x98
	v_cmp_gt_u32_e64 s[2:3], 16, v54
	s_waitcnt lgkmcnt(0)
	s_barrier
	v_add_f32_e32 v57, v57, v56
	ds_bpermute_b32 v58, v58, v57
	v_lshlrev_b32_e32 v56, 2, v52
	s_waitcnt lgkmcnt(0)
	s_and_saveexec_b64 s[8:9], s[2:3]
	s_cbranch_execz .LBB256_17
; %bb.16:
	v_add_f32_e32 v54, v57, v58
	v_lshl_or_b32 v57, v53, 6, v56
	ds_write2st64_b32 v57, v55, v54 offset1:1
.LBB256_17:
	s_or_b64 exec, exec, s[8:9]
	s_load_dword s10, s[4:5], 0x94
	s_waitcnt lgkmcnt(0)
	s_barrier
	ds_read2_b32 v[58:59], v56 offset1:16
	ds_read2_b32 v[60:61], v56 offset0:32 offset1:48
	ds_read2_b32 v[62:63], v56 offset0:64 offset1:80
	;; [unrolled: 1-line block ×3, first 2 shown]
	s_movk_i32 s12, 0x7fff
	s_waitcnt lgkmcnt(3)
	v_max3_f32 v54, v58, s42, v59
	s_waitcnt lgkmcnt(2)
	v_max3_f32 v54, v54, v60, v61
	v_sub_f32_e32 v55, v58, v54
	v_mul_f32_e32 v55, 0x3fb8aa3b, v55
	v_exp_f32_e32 v58, v55
	v_sub_f32_e32 v55, v59, v54
	v_mul_f32_e32 v55, 0x3fb8aa3b, v55
	v_exp_f32_e32 v59, v55
	;; [unrolled: 3-line block ×4, first 2 shown]
	s_waitcnt lgkmcnt(1)
	v_fma_f32 v55, v58, v62, 0
	v_fmac_f32_e32 v55, v59, v63
	s_waitcnt lgkmcnt(0)
	v_fmac_f32_e32 v55, v60, v56
	v_fmac_f32_e32 v55, v61, v57
	v_add_f32_e32 v56, 0x358637bd, v55
	v_div_scale_f32 v57, s[8:9], v56, v56, 1.0
	v_rcp_f32_e32 v62, v57
	s_mov_b32 s13, 0x7060302
	s_mul_i32 s11, s11, 9
	v_fma_f32 v63, -v57, v62, 1.0
	v_fmac_f32_e32 v62, v63, v62
	v_div_scale_f32 v63, vcc, 1.0, v56, 1.0
	v_mul_f32_e32 v64, v63, v62
	v_fma_f32 v65, -v57, v64, v63
	v_fmac_f32_e32 v64, v65, v62
	v_fma_f32 v57, -v57, v64, v63
	v_div_fmas_f32 v57, v57, v62, v64
	v_cmp_eq_u32_e32 vcc, 1, v53
	v_div_fixup_f32 v56, v57, v56, 1.0
	v_cndmask_b32_e32 v57, v58, v59, vcc
	v_cmp_eq_u32_e32 vcc, 2, v53
	v_cndmask_b32_e32 v57, v57, v60, vcc
	v_cmp_eq_u32_e32 vcc, 3, v53
	v_cndmask_b32_e32 v57, v57, v61, vcc
	v_mul_f32_e32 v56, v57, v56
	v_pk_mul_f32 v[50:51], v[56:57], v[50:51] op_sel_hi:[0,1]
	v_pk_mul_f32 v[48:49], v[56:57], v[48:49] op_sel_hi:[0,1]
	v_bfe_u32 v57, v51, 16, 1
	v_bfe_u32 v58, v50, 16, 1
	v_add3_u32 v50, v50, v58, s12
	v_add3_u32 v51, v51, v57, s12
	v_perm_b32 v50, v51, v50, s13
	v_bfe_u32 v51, v49, 16, 1
	v_bfe_u32 v57, v48, 16, 1
	v_add3_u32 v48, v48, v57, s12
	v_add3_u32 v49, v49, v51, s12
	v_perm_b32 v51, v49, v48, s13
	v_lshlrev_b32_e32 v48, 3, v1
	v_lshlrev_b32_e32 v49, 5, v52
	;; [unrolled: 1-line block ×3, first 2 shown]
	v_pk_mul_f32 v[46:47], v[56:57], v[46:47] op_sel_hi:[0,1]
	v_or3_b32 v48, v53, v49, v48
	v_pk_mul_f32 v[44:45], v[56:57], v[44:45] op_sel_hi:[0,1]
	v_bfe_u32 v53, v47, 16, 1
	v_bfe_u32 v57, v46, 16, 1
	v_add3_u32 v46, v46, v57, s12
	v_add3_u32 v47, v47, v53, s12
	v_perm_b32 v46, v47, v46, s13
	v_bfe_u32 v47, v45, 16, 1
	v_bfe_u32 v53, v44, 16, 1
	v_add3_u32 v44, v44, v53, s12
	v_add3_u32 v45, v45, v47, s12
	v_pk_mul_f32 v[40:41], v[56:57], v[40:41] op_sel_hi:[0,1]
	v_perm_b32 v47, v45, v44, s13
	v_bfe_u32 v44, v41, 16, 1
	v_bfe_u32 v45, v40, 16, 1
	v_pk_mul_f32 v[38:39], v[56:57], v[38:39] op_sel_hi:[0,1]
	v_add3_u32 v40, v40, v45, s12
	v_add3_u32 v41, v41, v44, s12
	v_perm_b32 v40, v41, v40, s13
	v_bfe_u32 v41, v39, 16, 1
	v_bfe_u32 v44, v38, 16, 1
	v_add3_u32 v38, v38, v44, s12
	v_add3_u32 v39, v39, v41, s12
	v_pk_mul_f32 v[36:37], v[56:57], v[36:37] op_sel_hi:[0,1]
	v_perm_b32 v41, v39, v38, s13
	v_bfe_u32 v38, v37, 16, 1
	v_bfe_u32 v39, v36, 16, 1
	v_pk_mul_f32 v[34:35], v[56:57], v[34:35] op_sel_hi:[0,1]
	v_add3_u32 v36, v36, v39, s12
	v_add3_u32 v37, v37, v38, s12
	v_perm_b32 v36, v37, v36, s13
	v_bfe_u32 v37, v35, 16, 1
	v_bfe_u32 v38, v34, 16, 1
	v_add3_u32 v34, v34, v38, s12
	v_add3_u32 v35, v35, v37, s12
	v_perm_b32 v37, v35, v34, s13
	v_cmp_gt_u32_e32 vcc, 9, v0
	s_barrier
	ds_write2st64_b64 v48, v[50:51], v[46:47] offset1:1
	ds_write2st64_b64 v48, v[40:41], v[36:37] offset0:2 offset1:3
	s_and_saveexec_b64 s[8:9], vcc
	s_cbranch_execz .LBB256_19
; %bb.18:
	v_add_co_u32_e32 v36, vcc, s29, v52
	v_addc_co_u32_e64 v37, s[14:15], 0, 0, vcc
	v_mov_b32_e32 v34, s11
	v_mov_b32_e32 v35, 0
	v_mad_u64_u32 v[36:37], s[14:15], s6, v34, v[36:37]
	v_mov_b32_e32 v34, s28
	s_load_dwordx4 s[16:19], s[4:5], 0x58
	s_mul_i32 s7, s7, s11
	v_mad_u64_u32 v[34:35], s[14:15], v36, s10, v[34:35]
	v_add_u32_e32 v37, s7, v37
	v_mov_b32_e32 v36, v35
	v_mad_u64_u32 v[36:37], s[14:15], v37, s10, v[36:37]
	v_mov_b32_e32 v35, v36
	v_lshlrev_b64 v[34:35], 2, v[34:35]
	s_waitcnt lgkmcnt(0)
	v_mov_b32_e32 v37, s19
	v_add_co_u32_e32 v36, vcc, s18, v34
	v_addc_co_u32_e32 v37, vcc, v37, v35, vcc
	global_store_dword v[36:37], v54, off
	v_mov_b32_e32 v36, s17
	v_add_co_u32_e32 v34, vcc, s16, v34
	v_addc_co_u32_e32 v35, vcc, v36, v35, vcc
	global_store_dword v[34:35], v55, off
.LBB256_19:
	s_or_b64 exec, exec, s[8:9]
	v_lshl_or_b32 v49, v1, 9, v49
	s_waitcnt lgkmcnt(0)
	s_barrier
	ds_read_b128 v[34:37], v49
	ds_read_b128 v[38:41], v49 offset:16
	s_waitcnt vmcnt(7) lgkmcnt(1)
	v_mfma_f32_16x16x16bf16_1k v[44:47], v[14:15], v[34:35], 0
	v_cmp_gt_u32_e32 vcc, 64, v0
	s_mov_b32 s7, 0
	s_and_b64 s[0:1], vcc, s[0:1]
	v_mfma_f32_16x16x16bf16_1k v[14:17], v[16:17], v[36:37], v[44:47]
	s_waitcnt vmcnt(6) lgkmcnt(0)
	v_mfma_f32_16x16x16bf16_1k v[14:17], v[10:11], v[38:39], v[14:17]
	v_mfma_f32_16x16x16bf16_1k v[10:13], v[12:13], v[40:41], v[14:17]
	s_nop 7
	s_nop 1
	ds_read_b128 v[14:17], v49 offset:2048
	ds_read_b128 v[34:37], v49 offset:2064
	s_waitcnt vmcnt(5) lgkmcnt(1)
	v_mfma_f32_16x16x16bf16_1k v[10:13], v[6:7], v[14:15], v[10:13]
	v_mfma_f32_16x16x16bf16_1k v[6:9], v[8:9], v[16:17], v[10:13]
	s_waitcnt vmcnt(4) lgkmcnt(0)
	v_mfma_f32_16x16x16bf16_1k v[6:9], v[2:3], v[34:35], v[6:9]
	v_mfma_f32_16x16x16bf16_1k v[2:5], v[4:5], v[36:37], v[6:9]
	s_nop 7
	s_nop 1
	ds_read_b128 v[6:9], v49 offset:4096
	ds_read_b128 v[10:13], v49 offset:4112
	s_waitcnt vmcnt(3) lgkmcnt(1)
	v_mfma_f32_16x16x16bf16_1k v[2:5], v[30:31], v[6:7], v[2:5]
	v_mfma_f32_16x16x16bf16_1k v[2:5], v[32:33], v[8:9], v[2:5]
	s_waitcnt vmcnt(2) lgkmcnt(0)
	v_mfma_f32_16x16x16bf16_1k v[2:5], v[22:23], v[10:11], v[2:5]
	v_mfma_f32_16x16x16bf16_1k v[2:5], v[24:25], v[12:13], v[2:5]
	ds_read_b128 v[6:9], v49 offset:6144
	ds_read_b128 v[10:13], v49 offset:6160
	s_waitcnt lgkmcnt(0)
	s_barrier
	s_waitcnt vmcnt(1)
	v_mfma_f32_16x16x16bf16_1k v[2:5], v[26:27], v[6:7], v[2:5]
	v_mfma_f32_16x16x16bf16_1k v[2:5], v[28:29], v[8:9], v[2:5]
	s_waitcnt vmcnt(0)
	v_mfma_f32_16x16x16bf16_1k v[2:5], v[18:19], v[10:11], v[2:5]
	v_mfma_f32_16x16x16bf16_1k v[2:5], v[20:21], v[12:13], v[2:5]
	s_nop 7
	s_nop 2
	v_bfe_u32 v6, v3, 16, 1
	v_bfe_u32 v7, v2, 16, 1
	;; [unrolled: 1-line block ×4, first 2 shown]
	v_add3_u32 v2, v2, v7, s12
	v_add3_u32 v3, v3, v6, s12
	;; [unrolled: 1-line block ×4, first 2 shown]
	v_perm_b32 v2, v3, v2, s13
	v_perm_b32 v3, v5, v4, s13
	ds_write_b64 v48, v[2:3]
	s_waitcnt lgkmcnt(0)
	s_barrier
	s_and_saveexec_b64 s[8:9], s[0:1]
	s_cbranch_execz .LBB256_22
; %bb.20:
	s_load_dwordx2 s[4:5], s[4:5], 0x68
	s_lshl_b32 s0, s10, 6
	s_mul_i32 s1, s11, s6
	s_mul_hi_u32 s9, s1, s0
	s_mul_i32 s8, s1, s0
	s_lshl_b64 s[8:9], s[8:9], 1
	s_waitcnt lgkmcnt(0)
	s_add_u32 s1, s4, s8
	v_lshlrev_b32_e32 v2, 10, v0
	v_lshlrev_b32_e32 v0, 4, v0
	s_addc_u32 s8, s5, s9
	s_lshl_b32 s6, s28, 6
	v_and_b32_e32 v2, 0x1800, v2
	v_lshlrev_b32_e32 v3, 5, v1
	v_and_b32_e32 v0, 16, v0
	s_lshl_b64 s[4:5], s[6:7], 1
	v_or3_b32 v0, v2, v3, v0
	s_add_u32 s1, s1, s4
	s_addc_u32 s4, s8, s5
	ds_read_b128 v[4:7], v0 offset:128
	ds_read_b128 v[8:11], v0
	v_add_u32_e32 v14, s29, v1
	v_mov_b32_e32 v3, s4
	v_add_co_u32_e32 v2, vcc, s1, v42
	v_mad_u64_u32 v[12:13], s[4:5], v14, s0, 0
	v_addc_co_u32_e32 v3, vcc, v3, v43, vcc
	v_lshlrev_b64 v[12:13], 1, v[12:13]
	v_add_co_u32_e32 v12, vcc, v2, v12
	v_addc_co_u32_e32 v13, vcc, v3, v13, vcc
	s_waitcnt lgkmcnt(0)
	global_store_dwordx4 v[12:13], v[8:11], off
	s_nop 0
	v_add_u32_e32 v8, 4, v14
	v_mad_u64_u32 v[8:9], s[4:5], v8, s0, 0
	v_lshlrev_b64 v[8:9], 1, v[8:9]
	v_add_co_u32_e32 v8, vcc, v2, v8
	v_addc_co_u32_e32 v9, vcc, v3, v9, vcc
	global_store_dwordx4 v[8:9], v[4:7], off
	s_and_b64 exec, exec, s[2:3]
	s_cbranch_execz .LBB256_22
; %bb.21:
	ds_read_b128 v[4:7], v0 offset:256
	v_add3_u32 v0, s29, v1, 8
	v_mad_u64_u32 v[0:1], s[0:1], v0, s0, 0
	v_lshlrev_b64 v[0:1], 1, v[0:1]
	v_add_co_u32_e32 v0, vcc, v2, v0
	v_addc_co_u32_e32 v1, vcc, v3, v1, vcc
	s_waitcnt lgkmcnt(0)
	global_store_dwordx4 v[0:1], v[4:7], off
.LBB256_22:
	s_endpgm
	.section	.rodata,"a",@progbits
	.p2align	6, 0x0
	.amdhsa_kernel _Z39paged_attention_ll4mi_QKV_mfma16_kernelI14__hip_bfloat16S0_LN4vllm18Fp8KVCacheDataTypeE0ES0_Li32ELi64ELi256ELb1ELi9EL8MFMAType0EEvPKT_PKT0_S9_ifPKiSB_SB_iPKfiiiPfSE_PS4_PT2_iSD_SD_
		.amdhsa_group_segment_fixed_size 8192
		.amdhsa_private_segment_fixed_size 0
		.amdhsa_kernarg_size 400
		.amdhsa_user_sgpr_count 6
		.amdhsa_user_sgpr_private_segment_buffer 1
		.amdhsa_user_sgpr_dispatch_ptr 0
		.amdhsa_user_sgpr_queue_ptr 0
		.amdhsa_user_sgpr_kernarg_segment_ptr 1
		.amdhsa_user_sgpr_dispatch_id 0
		.amdhsa_user_sgpr_flat_scratch_init 0
		.amdhsa_user_sgpr_kernarg_preload_length 0
		.amdhsa_user_sgpr_kernarg_preload_offset 0
		.amdhsa_user_sgpr_private_segment_size 0
		.amdhsa_uses_dynamic_stack 0
		.amdhsa_system_sgpr_private_segment_wavefront_offset 0
		.amdhsa_system_sgpr_workgroup_id_x 1
		.amdhsa_system_sgpr_workgroup_id_y 1
		.amdhsa_system_sgpr_workgroup_id_z 1
		.amdhsa_system_sgpr_workgroup_info 0
		.amdhsa_system_vgpr_workitem_id 0
		.amdhsa_next_free_vgpr 66
		.amdhsa_next_free_sgpr 48
		.amdhsa_accum_offset 68
		.amdhsa_reserve_vcc 1
		.amdhsa_reserve_flat_scratch 0
		.amdhsa_float_round_mode_32 0
		.amdhsa_float_round_mode_16_64 0
		.amdhsa_float_denorm_mode_32 3
		.amdhsa_float_denorm_mode_16_64 3
		.amdhsa_dx10_clamp 1
		.amdhsa_ieee_mode 1
		.amdhsa_fp16_overflow 0
		.amdhsa_tg_split 0
		.amdhsa_exception_fp_ieee_invalid_op 0
		.amdhsa_exception_fp_denorm_src 0
		.amdhsa_exception_fp_ieee_div_zero 0
		.amdhsa_exception_fp_ieee_overflow 0
		.amdhsa_exception_fp_ieee_underflow 0
		.amdhsa_exception_fp_ieee_inexact 0
		.amdhsa_exception_int_div_zero 0
	.end_amdhsa_kernel
	.section	.text._Z39paged_attention_ll4mi_QKV_mfma16_kernelI14__hip_bfloat16S0_LN4vllm18Fp8KVCacheDataTypeE0ES0_Li32ELi64ELi256ELb1ELi9EL8MFMAType0EEvPKT_PKT0_S9_ifPKiSB_SB_iPKfiiiPfSE_PS4_PT2_iSD_SD_,"axG",@progbits,_Z39paged_attention_ll4mi_QKV_mfma16_kernelI14__hip_bfloat16S0_LN4vllm18Fp8KVCacheDataTypeE0ES0_Li32ELi64ELi256ELb1ELi9EL8MFMAType0EEvPKT_PKT0_S9_ifPKiSB_SB_iPKfiiiPfSE_PS4_PT2_iSD_SD_,comdat
.Lfunc_end256:
	.size	_Z39paged_attention_ll4mi_QKV_mfma16_kernelI14__hip_bfloat16S0_LN4vllm18Fp8KVCacheDataTypeE0ES0_Li32ELi64ELi256ELb1ELi9EL8MFMAType0EEvPKT_PKT0_S9_ifPKiSB_SB_iPKfiiiPfSE_PS4_PT2_iSD_SD_, .Lfunc_end256-_Z39paged_attention_ll4mi_QKV_mfma16_kernelI14__hip_bfloat16S0_LN4vllm18Fp8KVCacheDataTypeE0ES0_Li32ELi64ELi256ELb1ELi9EL8MFMAType0EEvPKT_PKT0_S9_ifPKiSB_SB_iPKfiiiPfSE_PS4_PT2_iSD_SD_
                                        ; -- End function
	.section	.AMDGPU.csdata,"",@progbits
; Kernel info:
; codeLenInByte = 4672
; NumSgprs: 52
; NumVgprs: 66
; NumAgprs: 0
; TotalNumVgprs: 66
; ScratchSize: 0
; MemoryBound: 0
; FloatMode: 240
; IeeeMode: 1
; LDSByteSize: 8192 bytes/workgroup (compile time only)
; SGPRBlocks: 6
; VGPRBlocks: 8
; NumSGPRsForWavesPerEU: 52
; NumVGPRsForWavesPerEU: 66
; AccumOffset: 68
; Occupancy: 7
; WaveLimiterHint : 1
; COMPUTE_PGM_RSRC2:SCRATCH_EN: 0
; COMPUTE_PGM_RSRC2:USER_SGPR: 6
; COMPUTE_PGM_RSRC2:TRAP_HANDLER: 0
; COMPUTE_PGM_RSRC2:TGID_X_EN: 1
; COMPUTE_PGM_RSRC2:TGID_Y_EN: 1
; COMPUTE_PGM_RSRC2:TGID_Z_EN: 1
; COMPUTE_PGM_RSRC2:TIDIG_COMP_CNT: 0
; COMPUTE_PGM_RSRC3_GFX90A:ACCUM_OFFSET: 16
; COMPUTE_PGM_RSRC3_GFX90A:TG_SPLIT: 0
	.section	.text._Z39paged_attention_ll4mi_QKV_mfma16_kernelI14__hip_bfloat16S0_LN4vllm18Fp8KVCacheDataTypeE0ES0_Li32ELi64ELi256ELb1ELi10EL8MFMAType0EEvPKT_PKT0_S9_ifPKiSB_SB_iPKfiiiPfSE_PS4_PT2_iSD_SD_,"axG",@progbits,_Z39paged_attention_ll4mi_QKV_mfma16_kernelI14__hip_bfloat16S0_LN4vllm18Fp8KVCacheDataTypeE0ES0_Li32ELi64ELi256ELb1ELi10EL8MFMAType0EEvPKT_PKT0_S9_ifPKiSB_SB_iPKfiiiPfSE_PS4_PT2_iSD_SD_,comdat
	.protected	_Z39paged_attention_ll4mi_QKV_mfma16_kernelI14__hip_bfloat16S0_LN4vllm18Fp8KVCacheDataTypeE0ES0_Li32ELi64ELi256ELb1ELi10EL8MFMAType0EEvPKT_PKT0_S9_ifPKiSB_SB_iPKfiiiPfSE_PS4_PT2_iSD_SD_ ; -- Begin function _Z39paged_attention_ll4mi_QKV_mfma16_kernelI14__hip_bfloat16S0_LN4vllm18Fp8KVCacheDataTypeE0ES0_Li32ELi64ELi256ELb1ELi10EL8MFMAType0EEvPKT_PKT0_S9_ifPKiSB_SB_iPKfiiiPfSE_PS4_PT2_iSD_SD_
	.globl	_Z39paged_attention_ll4mi_QKV_mfma16_kernelI14__hip_bfloat16S0_LN4vllm18Fp8KVCacheDataTypeE0ES0_Li32ELi64ELi256ELb1ELi10EL8MFMAType0EEvPKT_PKT0_S9_ifPKiSB_SB_iPKfiiiPfSE_PS4_PT2_iSD_SD_
	.p2align	8
	.type	_Z39paged_attention_ll4mi_QKV_mfma16_kernelI14__hip_bfloat16S0_LN4vllm18Fp8KVCacheDataTypeE0ES0_Li32ELi64ELi256ELb1ELi10EL8MFMAType0EEvPKT_PKT0_S9_ifPKiSB_SB_iPKfiiiPfSE_PS4_PT2_iSD_SD_,@function
_Z39paged_attention_ll4mi_QKV_mfma16_kernelI14__hip_bfloat16S0_LN4vllm18Fp8KVCacheDataTypeE0ES0_Li32ELi64ELi256ELb1ELi10EL8MFMAType0EEvPKT_PKT0_S9_ifPKiSB_SB_iPKfiiiPfSE_PS4_PT2_iSD_SD_: ; @_Z39paged_attention_ll4mi_QKV_mfma16_kernelI14__hip_bfloat16S0_LN4vllm18Fp8KVCacheDataTypeE0ES0_Li32ELi64ELi256ELb1ELi10EL8MFMAType0EEvPKT_PKT0_S9_ifPKiSB_SB_iPKfiiiPfSE_PS4_PT2_iSD_SD_
; %bb.0:
	s_load_dwordx2 s[0:1], s[4:5], 0x30
	s_mov_b32 s28, s7
	s_mov_b64 s[10:11], 0
	s_waitcnt lgkmcnt(0)
	s_cmp_lg_u64 s[0:1], 0
	s_cselect_b64 s[2:3], -1, 0
	s_and_b64 vcc, exec, s[2:3]
	s_cbranch_vccz .LBB257_7
; %bb.1:
	s_add_i32 s12, s6, 1
	s_mov_b32 s13, 0
	s_lshl_b64 s[14:15], s[12:13], 2
	s_add_u32 s14, s0, s14
	s_mov_b32 s7, s13
	s_addc_u32 s15, s1, s15
	s_lshl_b64 s[12:13], s[6:7], 2
	s_add_u32 s12, s0, s12
	s_addc_u32 s13, s1, s13
	s_load_dword s9, s[14:15], 0x0
	s_load_dword s16, s[12:13], 0x0
	s_waitcnt lgkmcnt(0)
	s_sub_i32 s9, s9, s16
	s_cmp_eq_u32 s9, 1
	s_cselect_b64 s[12:13], -1, 0
	s_andn2_b64 vcc, exec, s[10:11]
	s_cbranch_vccnz .LBB257_3
.LBB257_2:
	s_mov_b32 s7, 0
	s_mov_b64 s[12:13], -1
.LBB257_3:
	s_andn2_b64 vcc, exec, s[12:13]
	s_cbranch_vccnz .LBB257_22
; %bb.4:
	s_load_dwordx2 s[12:13], s[4:5], 0x28
	s_lshl_b64 s[10:11], s[6:7], 2
	s_waitcnt lgkmcnt(0)
	s_add_u32 s12, s12, s10
	s_addc_u32 s13, s13, s11
	s_load_dword s33, s[12:13], 0x0
	s_lshl_b32 s14, s28, 8
	s_waitcnt lgkmcnt(0)
	s_cmp_ge_i32 s14, s33
	s_cbranch_scc1 .LBB257_22
; %bb.5:
	s_add_i32 s15, s33, 31
	s_load_dwordx2 s[12:13], s[4:5], 0x20
	s_load_dword s9, s[4:5], 0x38
	s_ashr_i32 s16, s15, 31
	v_and_b32_e32 v1, 0xcf, v0
	s_lshr_b32 s16, s16, 27
	v_add_u32_e32 v1, s14, v1
	s_add_i32 s15, s15, s16
	v_ashrrev_i32_e32 v2, 31, v1
	s_ashr_i32 s17, s15, 5
	v_lshrrev_b32_e32 v6, 27, v2
	s_add_i32 s17, s17, -1
	v_add_u32_e32 v2, v1, v6
	s_waitcnt lgkmcnt(0)
	s_mul_i32 s18, s6, s9
	s_mov_b32 s19, 0
	v_ashrrev_i32_e32 v2, 5, v2
	v_mov_b32_e32 v7, s17
	v_cmp_gt_i32_e32 vcc, s33, v1
	s_lshl_b64 s[18:19], s[18:19], 2
	v_cndmask_b32_e32 v2, v7, v2, vcc
	s_add_u32 s15, s12, s18
	v_ashrrev_i32_e32 v3, 31, v2
	s_addc_u32 s16, s13, s19
	v_lshlrev_b64 v[2:3], 2, v[2:3]
	v_mov_b32_e32 v4, s16
	v_add_co_u32_e32 v2, vcc, s15, v2
	v_addc_co_u32_e32 v3, vcc, v4, v3, vcc
	v_or_b32_e32 v4, 16, v1
	v_add_u32_e32 v5, v4, v6
	v_ashrrev_i32_e32 v5, 5, v5
	v_cmp_gt_i32_e32 vcc, s33, v4
	v_cndmask_b32_e32 v4, v7, v5, vcc
	v_ashrrev_i32_e32 v5, 31, v4
	v_lshlrev_b64 v[4:5], 2, v[4:5]
	v_mov_b32_e32 v9, s16
	v_add_co_u32_e32 v8, vcc, s15, v4
	v_or_b32_e32 v4, 32, v1
	v_addc_co_u32_e32 v9, vcc, v9, v5, vcc
	v_add_u32_e32 v5, v4, v6
	v_ashrrev_i32_e32 v5, 5, v5
	v_cmp_gt_i32_e32 vcc, s33, v4
	v_cndmask_b32_e32 v4, v7, v5, vcc
	v_ashrrev_i32_e32 v5, 31, v4
	v_lshlrev_b64 v[4:5], 2, v[4:5]
	v_mov_b32_e32 v11, s16
	v_add_co_u32_e32 v10, vcc, s15, v4
	v_or_b32_e32 v1, 48, v1
	v_addc_co_u32_e32 v11, vcc, v11, v5, vcc
	v_add_u32_e32 v4, v1, v6
	v_ashrrev_i32_e32 v4, 5, v4
	v_cmp_gt_i32_e32 vcc, s33, v1
	v_cndmask_b32_e32 v4, v7, v4, vcc
	v_ashrrev_i32_e32 v5, 31, v4
	v_lshlrev_b64 v[4:5], 2, v[4:5]
	v_mov_b32_e32 v1, s16
	v_add_co_u32_e32 v12, vcc, s15, v4
	v_addc_co_u32_e32 v13, vcc, v1, v5, vcc
	global_load_dword v7, v[2:3], off
	global_load_dword v6, v[8:9], off
	;; [unrolled: 1-line block ×4, first 2 shown]
	s_andn2_b64 vcc, exec, s[2:3]
	s_cbranch_vccnz .LBB257_8
; %bb.6:
	s_add_u32 s0, s0, s10
	s_addc_u32 s1, s1, s11
	s_load_dword s9, s[0:1], 0x0
	s_branch .LBB257_9
.LBB257_7:
	s_mov_b64 s[12:13], 0
	s_branch .LBB257_2
.LBB257_8:
	s_mov_b32 s9, s6
.LBB257_9:
	s_load_dwordx2 s[10:11], s[4:5], 0x8
	s_load_dwordx4 s[44:47], s[4:5], 0x48
	v_lshrrev_b32_e32 v53, 6, v0
	v_bfe_u32 v1, v0, 4, 2
	v_lshl_or_b32 v8, v53, 2, v1
	v_and_b32_e32 v52, 15, v0
	v_cmp_lt_u32_e32 vcc, 9, v8
	v_cmp_lt_u32_e64 s[2:3], 7, v52
	v_lshlrev_b32_e32 v2, 3, v52
	v_cmp_gt_u32_e64 s[0:1], 8, v52
	s_or_b64 s[2:3], s[2:3], vcc
	s_and_saveexec_b64 s[12:13], s[2:3]
	s_xor_b64 s[2:3], exec, s[12:13]
; %bb.10:
	v_mov_b32_e32 v3, 0
                                        ; implicit-def: $vgpr8
; %bb.11:
	s_or_saveexec_b64 s[12:13], s[2:3]
	s_load_dwordx2 s[2:3], s[4:5], 0x10
	s_mul_i32 s29, s8, 10
	s_xor_b64 exec, exec, s[12:13]
	s_cbranch_execz .LBB257_13
; %bb.12:
	s_load_dwordx2 s[18:19], s[4:5], 0x0
	s_waitcnt lgkmcnt(0)
	s_ashr_i32 s20, s44, 31
	s_mul_hi_u32 s21, s9, s44
	s_mul_i32 s20, s9, s20
	s_add_i32 s21, s21, s20
	s_mul_i32 s20, s9, s44
	s_lshl_b64 s[20:21], s[20:21], 1
	v_add_lshl_u32 v10, v8, s29, 6
	s_add_u32 s9, s18, s20
	v_ashrrev_i32_e32 v11, 31, v10
	s_addc_u32 s18, s19, s21
	v_lshlrev_b64 v[10:11], 1, v[10:11]
	v_mov_b32_e32 v3, s18
	v_add_co_u32_e32 v9, vcc, s9, v10
	v_addc_co_u32_e32 v3, vcc, v3, v11, vcc
	v_lshlrev_b32_e32 v10, 1, v2
	v_add_co_u32_e32 v10, vcc, v9, v10
	v_addc_co_u32_e32 v11, vcc, 0, v3, vcc
	global_load_dwordx4 v[10:13], v[10:11], off
	v_and_b32_e32 v9, 3, v0
	v_lshlrev_b32_e32 v14, 9, v52
	v_lshlrev_b32_e32 v8, 5, v8
	v_lshlrev_b32_e32 v9, 9, v9
	v_and_b32_e32 v14, 0x1800, v14
	v_mov_b32_e32 v3, 0
	v_or3_b32 v8, v14, v9, v8
	s_waitcnt vmcnt(0)
	ds_write_b128 v8, v[10:13]
.LBB257_13:
	s_or_b64 exec, exec, s[12:13]
	s_waitcnt lgkmcnt(0)
	s_mul_i32 s8, s8, s46
	s_mov_b32 s9, 0
	s_lshl_b64 s[8:9], s[8:9], 1
	s_add_u32 s12, s10, s8
	s_addc_u32 s13, s11, s9
	s_waitcnt vmcnt(3)
	v_mad_i64_i32 v[8:9], s[10:11], v7, s45, 0
	v_lshlrev_b64 v[8:9], 1, v[8:9]
	v_mov_b32_e32 v7, s13
	v_add_co_u32_e32 v8, vcc, s12, v8
	v_addc_co_u32_e32 v7, vcc, v7, v9, vcc
	v_lshlrev_b64 v[42:43], 1, v[2:3]
	v_add_co_u32_e32 v2, vcc, v8, v42
	v_lshlrev_b32_e32 v24, 9, v1
	v_addc_co_u32_e32 v3, vcc, v7, v43, vcc
	v_add_co_u32_e32 v2, vcc, v2, v24
	v_addc_co_u32_e32 v3, vcc, 0, v3, vcc
	s_barrier
	global_load_dwordx4 v[38:41], v[2:3], off
	global_load_dwordx4 v[34:37], v[2:3], off offset:2048
	s_waitcnt vmcnt(4)
	v_mad_i64_i32 v[2:3], s[10:11], v6, s45, 0
	v_lshlrev_b64 v[2:3], 1, v[2:3]
	v_mov_b32_e32 v6, s13
	v_add_co_u32_e32 v2, vcc, s12, v2
	v_addc_co_u32_e32 v3, vcc, v6, v3, vcc
	v_mov_b32_e32 v6, 0x100
	v_lshl_or_b32 v18, v52, 4, v6
	v_add_co_u32_e32 v2, vcc, v2, v18
	v_addc_co_u32_e32 v3, vcc, 0, v3, vcc
	v_add_co_u32_e32 v2, vcc, v2, v24
	v_addc_co_u32_e32 v3, vcc, 0, v3, vcc
	global_load_dwordx4 v[30:33], v[2:3], off
	global_load_dwordx4 v[14:17], v[2:3], off offset:2048
	s_waitcnt vmcnt(5)
	v_mad_i64_i32 v[2:3], s[10:11], v5, s45, 0
	v_lshlrev_b64 v[2:3], 1, v[2:3]
	v_mov_b32_e32 v5, s13
	v_add_co_u32_e32 v2, vcc, s12, v2
	v_addc_co_u32_e32 v3, vcc, v5, v3, vcc
	v_add_co_u32_e32 v2, vcc, v2, v42
	v_addc_co_u32_e32 v3, vcc, v3, v43, vcc
	;; [unrolled: 2-line block ×3, first 2 shown]
	global_load_dwordx4 v[10:13], v[2:3], off
	global_load_dwordx4 v[6:9], v[2:3], off offset:2048
	s_waitcnt vmcnt(6)
	v_mad_i64_i32 v[2:3], s[10:11], v4, s45, 0
	v_lshlrev_b64 v[2:3], 1, v[2:3]
	v_mov_b32_e32 v4, s13
	v_add_co_u32_e32 v2, vcc, s12, v2
	v_addc_co_u32_e32 v3, vcc, v4, v3, vcc
	v_add_co_u32_e32 v2, vcc, v2, v18
	v_addc_co_u32_e32 v3, vcc, 0, v3, vcc
	;; [unrolled: 2-line block ×3, first 2 shown]
	global_load_dwordx4 v[2:5], v[22:23], off
	global_load_dwordx4 v[18:21], v[22:23], off offset:2048
	v_add_u32_e32 v22, -10, v52
	v_cmp_gt_u32_e32 vcc, 10, v52
	v_cndmask_b32_e32 v22, v22, v52, vcc
	v_lshl_add_u32 v22, v22, 5, v24
	ds_read_b128 v[26:29], v22
	ds_read_b128 v[22:25], v22 offset:2048
	v_and_b32_e32 v54, 63, v0
	v_mov_b32_e32 v50, 0
	s_and_saveexec_b64 s[10:11], vcc
	s_cbranch_execz .LBB257_15
; %bb.14:
	s_load_dwordx2 s[12:13], s[4:5], 0x40
	v_add_u32_e32 v44, s29, v52
	v_ashrrev_i32_e32 v45, 31, v44
	v_lshlrev_b64 v[44:45], 2, v[44:45]
	s_waitcnt lgkmcnt(0)
	v_mov_b32_e32 v46, s13
	v_add_co_u32_e32 v44, vcc, s12, v44
	v_addc_co_u32_e32 v45, vcc, v46, v45, vcc
	global_load_dword v50, v[44:45], off
.LBB257_15:
	s_or_b64 exec, exec, s[10:11]
	s_waitcnt vmcnt(7) lgkmcnt(1)
	v_mfma_f32_16x16x16bf16_1k v[44:47], v[38:39], v[26:27], 0
	s_ashr_i32 s10, s14, 31
	s_lshr_b32 s11, s10, 27
	v_mov_b32_e32 v49, s16
	s_add_u32 s2, s2, s8
	s_addc_u32 s3, s3, s9
	s_load_dword s10, s[4:5], 0x1c
	s_mov_b32 s42, 0xff7fffff
	v_mfma_f32_16x16x16bf16_1k v[38:41], v[40:41], v[28:29], v[44:47]
	s_waitcnt vmcnt(6) lgkmcnt(0)
	v_mfma_f32_16x16x16bf16_1k v[38:41], v[34:35], v[22:23], v[38:41]
	s_nop 4
	v_and_or_b32 v46, v0, 48, s14
	v_add_u32_e32 v34, s11, v46
	v_ashrrev_i32_e32 v34, 5, v34
	v_mov_b32_e32 v47, s17
	v_cmp_gt_i32_e32 vcc, s33, v46
	v_cndmask_b32_e32 v34, v47, v34, vcc
	v_ashrrev_i32_e32 v35, 31, v34
	v_lshlrev_b64 v[44:45], 2, v[34:35]
	v_mfma_f32_16x16x16bf16_1k v[34:37], v[36:37], v[24:25], v[38:41]
	s_nop 6
	v_mov_b32_e32 v39, s16
	v_add_co_u32_e32 v38, vcc, s15, v44
	v_addc_co_u32_e32 v39, vcc, v39, v45, vcc
	global_load_dword v48, v[38:39], off
	s_waitcnt vmcnt(6)
	v_mfma_f32_16x16x16bf16_1k v[38:41], v[30:31], v[26:27], 0
	v_or_b32_e32 v44, 64, v46
	v_add_u32_e32 v30, s11, v44
	v_ashrrev_i32_e32 v30, 5, v30
	v_cmp_gt_i32_e32 vcc, s33, v44
	v_cndmask_b32_e32 v30, v47, v30, vcc
	v_ashrrev_i32_e32 v31, 31, v30
	v_lshlrev_b64 v[44:45], 2, v[30:31]
	v_mfma_f32_16x16x16bf16_1k v[30:33], v[32:33], v[28:29], v[38:41]
	s_nop 6
	v_add_co_u32_e32 v38, vcc, s15, v44
	v_addc_co_u32_e32 v39, vcc, v49, v45, vcc
	global_load_dword v40, v[38:39], off
	v_or_b32_e32 v38, 0x80, v46
	v_add_u32_e32 v39, s11, v38
	v_ashrrev_i32_e32 v39, 5, v39
	v_cmp_gt_i32_e32 vcc, s33, v38
	v_cndmask_b32_e32 v38, v47, v39, vcc
	v_ashrrev_i32_e32 v39, 31, v38
	s_waitcnt vmcnt(6)
	v_mfma_f32_16x16x16bf16_1k v[30:33], v[14:15], v[22:23], v[30:33]
	v_lshlrev_b64 v[14:15], 2, v[38:39]
	v_mov_b32_e32 v38, s16
	v_add_co_u32_e32 v14, vcc, s15, v14
	v_addc_co_u32_e32 v15, vcc, v38, v15, vcc
	global_load_dword v41, v[14:15], off
	v_mfma_f32_16x16x16bf16_1k v[30:33], v[16:17], v[24:25], v[30:33]
	v_or_b32_e32 v38, 0xc0, v46
	v_cmp_gt_i32_e32 vcc, s33, v38
	v_mov_b32_e32 v44, s16
	s_waitcnt vmcnt(6)
	v_mfma_f32_16x16x16bf16_1k v[14:17], v[10:11], v[26:27], 0
	v_add_u32_e32 v10, s11, v38
	v_ashrrev_i32_e32 v10, 5, v10
	v_cndmask_b32_e32 v10, v47, v10, vcc
	v_ashrrev_i32_e32 v11, 31, v10
	v_lshlrev_b64 v[38:39], 2, v[10:11]
	s_nop 0
	v_pk_mul_f32 v[46:47], s[10:11], v[30:31] op_sel_hi:[0,1]
	v_mfma_f32_16x16x16bf16_1k v[10:13], v[12:13], v[28:29], v[14:17]
	s_nop 6
	v_add_co_u32_e32 v14, vcc, s15, v38
	s_waitcnt vmcnt(5)
	v_mfma_f32_16x16x16bf16_1k v[10:13], v[6:7], v[22:23], v[10:13]
	v_addc_co_u32_e32 v15, vcc, v44, v39, vcc
	global_load_dword v51, v[14:15], off
	v_and_b32_e32 v14, 16, v0
	v_lshlrev_b32_e32 v14, 1, v14
	v_mov_b32_e32 v6, s3
	v_add_co_u32_e32 v7, vcc, s2, v14
	v_lshlrev_b32_e32 v14, 6, v52
	v_addc_co_u32_e32 v6, vcc, 0, v6, vcc
	v_lshl_or_b32 v14, v53, 10, v14
	v_add_co_u32_e32 v55, vcc, v7, v14
	v_addc_co_u32_e32 v60, vcc, 0, v6, vcc
	v_mfma_f32_16x16x16bf16_1k v[56:59], v[8:9], v[24:25], v[10:13]
	s_waitcnt vmcnt(3)
	v_mad_i64_i32 v[6:7], s[2:3], v48, s45, 0
	v_pk_mul_f32 v[48:49], s[10:11], v[36:37] op_sel_hi:[0,1]
	v_pk_mul_f32 v[44:45], s[10:11], v[32:33] op_sel_hi:[0,1]
	s_waitcnt vmcnt(1)
	v_mad_i64_i32 v[38:39], s[2:3], v41, s45, 0
	s_nop 0
	v_lshlrev_b64 v[10:11], 1, v[6:7]
	v_mfma_f32_16x16x16bf16_1k v[6:9], v[2:3], v[26:27], 0
	v_add_co_u32_e32 v2, vcc, v55, v10
	v_addc_co_u32_e32 v3, vcc, v60, v11, vcc
	global_load_dwordx4 v[14:17], v[2:3], off
	global_load_dwordx4 v[10:13], v[2:3], off offset:16
	v_mad_i64_i32 v[2:3], s[2:3], v40, s45, 0
	v_mfma_f32_16x16x16bf16_1k v[26:29], v[4:5], v[28:29], v[6:9]
	v_lshlrev_b64 v[2:3], 1, v[2:3]
	v_add_co_u32_e32 v2, vcc, v55, v2
	v_addc_co_u32_e32 v3, vcc, v60, v3, vcc
	v_lshlrev_b64 v[38:39], 1, v[38:39]
	v_pk_mul_f32 v[40:41], s[10:11], v[56:57] op_sel_hi:[0,1]
	v_mfma_f32_16x16x16bf16_1k v[26:29], v[18:19], v[22:23], v[26:29]
	v_pk_mul_f32 v[18:19], s[10:11], v[34:35] op_sel_hi:[0,1]
	v_add_co_u32_e32 v22, vcc, v55, v38
	v_addc_co_u32_e32 v23, vcc, v60, v39, vcc
	v_pk_mul_f32 v[38:39], s[10:11], v[58:59] op_sel_hi:[0,1]
	global_load_dwordx4 v[6:9], v[2:3], off
	s_nop 0
	global_load_dwordx4 v[2:5], v[2:3], off offset:16
	v_mfma_f32_16x16x16bf16_1k v[24:27], v[20:21], v[24:25], v[26:29]
	v_and_b32_e32 v20, 0xc0, v0
	v_add_u32_e32 v20, s14, v20
	v_lshl_or_b32 v20, v1, 2, v20
	v_or_b32_e32 v21, 1, v20
	v_cmp_gt_i32_e64 s[30:31], s33, v20
	v_cmp_gt_i32_e64 s[34:35], s33, v21
	s_nop 4
	v_pk_mul_f32 v[36:37], s[10:11], v[24:25] op_sel_hi:[0,1]
	v_subrev_u32_e32 v24, s33, v21
	v_pk_mul_f32 v[34:35], s[10:11], v[26:27] op_sel_hi:[0,1]
	v_add_u32_e32 v26, 1, v24
	v_add_u32_e32 v27, 2, v24
	v_cvt_f32_i32_e32 v25, v24
	v_cvt_f32_i32_e32 v26, v26
	v_cvt_f32_i32_e32 v27, v27
	v_add_u32_e32 v28, 3, v24
	v_fma_f32 v18, v50, v25, v18
	v_fmac_f32_e32 v19, v50, v26
	v_fma_f32 v48, v50, v27, v48
	v_add_u32_e32 v25, 16, v24
	v_add_u32_e32 v26, 17, v24
	;; [unrolled: 1-line block ×3, first 2 shown]
	v_cvt_f32_i32_e32 v28, v28
	v_cvt_f32_i32_e32 v25, v25
	;; [unrolled: 1-line block ×4, first 2 shown]
	v_fmac_f32_e32 v49, v50, v28
	v_add_u32_e32 v28, 19, v24
	v_fma_f32 v46, v50, v25, v46
	v_fmac_f32_e32 v47, v50, v26
	v_fma_f32 v44, v50, v27, v44
	v_add_u32_e32 v25, 32, v24
	v_add_u32_e32 v26, 33, v24
	;; [unrolled: 1-line block ×3, first 2 shown]
	v_cvt_f32_i32_e32 v28, v28
	v_cvt_f32_i32_e32 v25, v25
	v_cvt_f32_i32_e32 v26, v26
	v_cvt_f32_i32_e32 v27, v27
	v_fmac_f32_e32 v45, v50, v28
	v_add_u32_e32 v28, 35, v24
	v_fma_f32 v40, v50, v25, v40
	v_fmac_f32_e32 v41, v50, v26
	v_fma_f32 v38, v50, v27, v38
	v_add_u32_e32 v25, 48, v24
	v_add_u32_e32 v26, 49, v24
	;; [unrolled: 1-line block ×4, first 2 shown]
	v_cvt_f32_i32_e32 v24, v24
	v_cvt_f32_i32_e32 v25, v25
	;; [unrolled: 1-line block ×4, first 2 shown]
	v_fmac_f32_e32 v35, v50, v24
	v_mov_b32_e32 v24, 0xff7fffff
	v_fma_f32 v36, v50, v25, v36
	v_cndmask_b32_e64 v25, v24, v18, s[30:31]
	v_cndmask_b32_e64 v21, v24, v19, s[34:35]
	v_fmac_f32_e32 v37, v50, v26
	v_max3_f32 v21, v25, s42, v21
	v_or_b32_e32 v25, 2, v20
	v_or_b32_e32 v26, 3, v20
	v_cmp_gt_i32_e64 s[36:37], s33, v25
	v_cmp_gt_i32_e64 s[38:39], s33, v26
	v_cndmask_b32_e64 v25, v24, v48, s[36:37]
	v_cndmask_b32_e64 v26, v24, v49, s[38:39]
	v_max3_f32 v21, v21, v25, v26
	v_or_b32_e32 v25, 16, v20
	v_or_b32_e32 v26, 17, v20
	v_cmp_gt_i32_e64 s[24:25], s33, v25
	v_cmp_gt_i32_e64 s[26:27], s33, v26
	v_cndmask_b32_e64 v25, v24, v46, s[24:25]
	v_cndmask_b32_e64 v26, v24, v47, s[26:27]
	;; [unrolled: 7-line block ×4, first 2 shown]
	v_max3_f32 v21, v21, v25, v26
	v_or_b32_e32 v25, 34, v20
	v_or_b32_e32 v26, 35, v20
	v_fmac_f32_e32 v39, v50, v28
	v_cmp_gt_i32_e64 s[12:13], s33, v25
	v_cmp_gt_i32_e64 s[14:15], s33, v26
	v_cndmask_b32_e64 v25, v24, v38, s[12:13]
	v_cndmask_b32_e64 v26, v24, v39, s[14:15]
	v_cvt_f32_i32_e32 v27, v27
	v_max3_f32 v21, v21, v25, v26
	v_or_b32_e32 v25, 48, v20
	v_or_b32_e32 v26, 49, v20
	v_cmp_gt_i32_e64 s[8:9], s33, v25
	v_cmp_gt_i32_e64 s[10:11], s33, v26
	v_cndmask_b32_e64 v25, v24, v36, s[8:9]
	v_cndmask_b32_e64 v26, v24, v37, s[10:11]
	v_max3_f32 v21, v21, v25, v26
	v_or_b32_e32 v25, 50, v20
	v_or_b32_e32 v20, 51, v20
	v_fma_f32 v34, v50, v27, v34
	v_cmp_gt_i32_e32 vcc, s33, v25
	v_cmp_gt_i32_e64 s[2:3], s33, v20
	v_cndmask_b32_e32 v25, v24, v34, vcc
	v_cndmask_b32_e64 v20, v24, v35, s[2:3]
	v_max3_f32 v26, v21, v25, v20
	v_mbcnt_lo_u32_b32 v20, -1, 0
	v_mbcnt_hi_u32_b32 v27, -1, v20
	v_and_b32_e32 v20, 64, v27
	v_add_u32_e32 v28, 64, v20
	v_xor_b32_e32 v20, 32, v27
	v_cmp_lt_i32_e64 s[40:41], v20, v28
	v_cndmask_b32_e64 v20, v27, v20, s[40:41]
	v_lshlrev_b32_e32 v56, 2, v20
	ds_bpermute_b32 v29, v56, v26
	s_waitcnt vmcnt(4)
	v_mad_i64_i32 v[20:21], s[40:41], v51, s45, 0
	v_lshlrev_b64 v[20:21], 1, v[20:21]
	global_load_dwordx4 v[30:33], v[22:23], off
	s_nop 0
	global_load_dwordx4 v[22:25], v[22:23], off offset:16
	s_waitcnt lgkmcnt(0)
	v_max_f32_e32 v29, v29, v29
	v_max_f32_e32 v26, v26, v29
	v_xor_b32_e32 v29, 16, v27
	v_cmp_lt_i32_e64 s[40:41], v29, v28
	v_cndmask_b32_e64 v27, v27, v29, s[40:41]
	v_lshlrev_b32_e32 v58, 2, v27
	ds_bpermute_b32 v27, v58, v26
	v_add_co_u32_e64 v20, s[40:41], v55, v20
	v_addc_co_u32_e64 v21, s[40:41], v60, v21, s[40:41]
	s_waitcnt lgkmcnt(0)
	v_max_f32_e32 v27, v27, v27
	v_max_f32_e32 v55, v26, v27
	v_sub_f32_e32 v18, v18, v55
	v_mul_f32_e32 v18, 0x3fb8aa3b, v18
	v_exp_f32_e32 v50, v18
	v_sub_f32_e32 v18, v19, v55
	v_mul_f32_e32 v18, 0x3fb8aa3b, v18
	v_exp_f32_e32 v51, v18
	global_load_dwordx4 v[26:29], v[20:21], off
	s_nop 0
	global_load_dwordx4 v[18:21], v[20:21], off offset:16
	v_sub_f32_e32 v48, v48, v55
	v_mul_f32_e32 v48, 0x3fb8aa3b, v48
	v_sub_f32_e32 v49, v49, v55
	v_exp_f32_e32 v48, v48
	v_mul_f32_e32 v49, 0x3fb8aa3b, v49
	v_sub_f32_e32 v46, v46, v55
	v_exp_f32_e32 v49, v49
	v_mul_f32_e32 v46, 0x3fb8aa3b, v46
	v_sub_f32_e32 v47, v47, v55
	v_cndmask_b32_e64 v50, 0, v50, s[30:31]
	v_exp_f32_e32 v46, v46
	v_mul_f32_e32 v47, 0x3fb8aa3b, v47
	v_sub_f32_e32 v44, v44, v55
	v_add_f32_e32 v57, 0, v50
	v_cndmask_b32_e64 v51, 0, v51, s[34:35]
	v_exp_f32_e32 v47, v47
	v_mul_f32_e32 v44, 0x3fb8aa3b, v44
	v_sub_f32_e32 v45, v45, v55
	v_add_f32_e32 v57, v57, v51
	;; [unrolled: 5-line block ×10, first 2 shown]
	v_cndmask_b32_e64 v38, 0, v38, s[12:13]
	v_exp_f32_e32 v34, v34
	v_mul_f32_e32 v35, 0x3fb8aa3b, v35
	v_add_f32_e32 v57, v57, v38
	v_cndmask_b32_e64 v39, 0, v39, s[14:15]
	v_exp_f32_e32 v35, v35
	v_add_f32_e32 v57, v57, v39
	v_cndmask_b32_e64 v36, 0, v36, s[8:9]
	v_add_f32_e32 v57, v57, v36
	v_cndmask_b32_e64 v37, 0, v37, s[10:11]
	v_add_f32_e32 v57, v57, v37
	v_cndmask_b32_e32 v34, 0, v34, vcc
	v_add_f32_e32 v57, v57, v34
	v_cndmask_b32_e64 v35, 0, v35, s[2:3]
	v_add_f32_e32 v57, v57, v35
	ds_bpermute_b32 v56, v56, v57
	s_load_dword s9, s[4:5], 0x98
	v_cmp_gt_u32_e32 vcc, 16, v54
	s_waitcnt lgkmcnt(0)
	s_barrier
	v_add_f32_e32 v57, v57, v56
	ds_bpermute_b32 v58, v58, v57
	v_lshlrev_b32_e32 v56, 2, v52
	s_waitcnt lgkmcnt(0)
	s_and_saveexec_b64 s[2:3], vcc
	s_cbranch_execz .LBB257_17
; %bb.16:
	v_add_f32_e32 v54, v57, v58
	v_lshl_or_b32 v57, v53, 6, v56
	ds_write2st64_b32 v57, v55, v54 offset1:1
.LBB257_17:
	s_or_b64 exec, exec, s[2:3]
	s_load_dword s8, s[4:5], 0x94
	s_waitcnt lgkmcnt(0)
	s_barrier
	ds_read2_b32 v[58:59], v56 offset1:16
	ds_read2_b32 v[60:61], v56 offset0:32 offset1:48
	ds_read2_b32 v[62:63], v56 offset0:64 offset1:80
	;; [unrolled: 1-line block ×3, first 2 shown]
	s_movk_i32 s10, 0x7fff
	s_waitcnt lgkmcnt(3)
	v_max3_f32 v54, v58, s42, v59
	s_waitcnt lgkmcnt(2)
	v_max3_f32 v54, v54, v60, v61
	v_sub_f32_e32 v55, v58, v54
	v_mul_f32_e32 v55, 0x3fb8aa3b, v55
	v_exp_f32_e32 v58, v55
	v_sub_f32_e32 v55, v59, v54
	v_mul_f32_e32 v55, 0x3fb8aa3b, v55
	v_exp_f32_e32 v59, v55
	;; [unrolled: 3-line block ×4, first 2 shown]
	s_waitcnt lgkmcnt(1)
	v_fma_f32 v55, v58, v62, 0
	v_fmac_f32_e32 v55, v59, v63
	s_waitcnt lgkmcnt(0)
	v_fmac_f32_e32 v55, v60, v56
	v_fmac_f32_e32 v55, v61, v57
	v_add_f32_e32 v56, 0x358637bd, v55
	v_div_scale_f32 v57, s[2:3], v56, v56, 1.0
	v_rcp_f32_e32 v62, v57
	s_mov_b32 s11, 0x7060302
	s_mul_i32 s9, s9, 10
	v_fma_f32 v63, -v57, v62, 1.0
	v_fmac_f32_e32 v62, v63, v62
	v_div_scale_f32 v63, vcc, 1.0, v56, 1.0
	v_mul_f32_e32 v64, v63, v62
	v_fma_f32 v65, -v57, v64, v63
	v_fmac_f32_e32 v64, v65, v62
	v_fma_f32 v57, -v57, v64, v63
	v_div_fmas_f32 v57, v57, v62, v64
	v_cmp_eq_u32_e32 vcc, 1, v53
	v_div_fixup_f32 v56, v57, v56, 1.0
	v_cndmask_b32_e32 v57, v58, v59, vcc
	v_cmp_eq_u32_e32 vcc, 2, v53
	v_cndmask_b32_e32 v57, v57, v60, vcc
	v_cmp_eq_u32_e32 vcc, 3, v53
	v_cndmask_b32_e32 v57, v57, v61, vcc
	v_mul_f32_e32 v56, v57, v56
	v_pk_mul_f32 v[50:51], v[56:57], v[50:51] op_sel_hi:[0,1]
	v_pk_mul_f32 v[48:49], v[56:57], v[48:49] op_sel_hi:[0,1]
	v_bfe_u32 v57, v51, 16, 1
	v_bfe_u32 v58, v50, 16, 1
	v_add3_u32 v50, v50, v58, s10
	v_add3_u32 v51, v51, v57, s10
	v_perm_b32 v50, v51, v50, s11
	v_bfe_u32 v51, v49, 16, 1
	v_bfe_u32 v57, v48, 16, 1
	v_add3_u32 v48, v48, v57, s10
	v_add3_u32 v49, v49, v51, s10
	v_perm_b32 v51, v49, v48, s11
	v_lshlrev_b32_e32 v48, 3, v1
	v_lshlrev_b32_e32 v49, 5, v52
	;; [unrolled: 1-line block ×3, first 2 shown]
	v_pk_mul_f32 v[46:47], v[56:57], v[46:47] op_sel_hi:[0,1]
	v_or3_b32 v48, v53, v49, v48
	v_pk_mul_f32 v[44:45], v[56:57], v[44:45] op_sel_hi:[0,1]
	v_bfe_u32 v53, v47, 16, 1
	v_bfe_u32 v57, v46, 16, 1
	v_add3_u32 v46, v46, v57, s10
	v_add3_u32 v47, v47, v53, s10
	v_perm_b32 v46, v47, v46, s11
	v_bfe_u32 v47, v45, 16, 1
	v_bfe_u32 v53, v44, 16, 1
	v_add3_u32 v44, v44, v53, s10
	v_add3_u32 v45, v45, v47, s10
	v_pk_mul_f32 v[40:41], v[56:57], v[40:41] op_sel_hi:[0,1]
	v_perm_b32 v47, v45, v44, s11
	v_bfe_u32 v44, v41, 16, 1
	v_bfe_u32 v45, v40, 16, 1
	v_pk_mul_f32 v[38:39], v[56:57], v[38:39] op_sel_hi:[0,1]
	v_add3_u32 v40, v40, v45, s10
	v_add3_u32 v41, v41, v44, s10
	v_perm_b32 v40, v41, v40, s11
	v_bfe_u32 v41, v39, 16, 1
	v_bfe_u32 v44, v38, 16, 1
	v_add3_u32 v38, v38, v44, s10
	v_add3_u32 v39, v39, v41, s10
	v_pk_mul_f32 v[36:37], v[56:57], v[36:37] op_sel_hi:[0,1]
	v_perm_b32 v41, v39, v38, s11
	v_bfe_u32 v38, v37, 16, 1
	v_bfe_u32 v39, v36, 16, 1
	v_pk_mul_f32 v[34:35], v[56:57], v[34:35] op_sel_hi:[0,1]
	v_add3_u32 v36, v36, v39, s10
	v_add3_u32 v37, v37, v38, s10
	v_perm_b32 v36, v37, v36, s11
	v_bfe_u32 v37, v35, 16, 1
	v_bfe_u32 v38, v34, 16, 1
	v_add3_u32 v34, v34, v38, s10
	v_add3_u32 v35, v35, v37, s10
	v_perm_b32 v37, v35, v34, s11
	v_cmp_gt_u32_e32 vcc, 10, v0
	s_barrier
	ds_write2st64_b64 v48, v[50:51], v[46:47] offset1:1
	ds_write2st64_b64 v48, v[40:41], v[36:37] offset0:2 offset1:3
	s_and_saveexec_b64 s[2:3], vcc
	s_cbranch_execz .LBB257_19
; %bb.18:
	v_add_co_u32_e32 v36, vcc, s29, v52
	v_addc_co_u32_e64 v37, s[16:17], 0, 0, vcc
	v_mov_b32_e32 v34, s9
	v_mov_b32_e32 v35, 0
	v_mad_u64_u32 v[36:37], s[16:17], s6, v34, v[36:37]
	v_mov_b32_e32 v34, s28
	s_load_dwordx4 s[12:15], s[4:5], 0x58
	s_mul_i32 s7, s7, s9
	v_mad_u64_u32 v[34:35], s[16:17], v36, s8, v[34:35]
	v_add_u32_e32 v37, s7, v37
	v_mov_b32_e32 v36, v35
	v_mad_u64_u32 v[36:37], s[16:17], v37, s8, v[36:37]
	v_mov_b32_e32 v35, v36
	v_lshlrev_b64 v[34:35], 2, v[34:35]
	s_waitcnt lgkmcnt(0)
	v_mov_b32_e32 v37, s15
	v_add_co_u32_e32 v36, vcc, s14, v34
	v_addc_co_u32_e32 v37, vcc, v37, v35, vcc
	global_store_dword v[36:37], v54, off
	v_mov_b32_e32 v36, s13
	v_add_co_u32_e32 v34, vcc, s12, v34
	v_addc_co_u32_e32 v35, vcc, v36, v35, vcc
	global_store_dword v[34:35], v55, off
.LBB257_19:
	s_or_b64 exec, exec, s[2:3]
	v_lshl_or_b32 v49, v1, 9, v49
	s_waitcnt lgkmcnt(0)
	s_barrier
	ds_read_b128 v[34:37], v49
	ds_read_b128 v[38:41], v49 offset:16
	s_waitcnt vmcnt(7) lgkmcnt(1)
	v_mfma_f32_16x16x16bf16_1k v[44:47], v[14:15], v[34:35], 0
	v_cmp_gt_u32_e32 vcc, 64, v0
	s_mov_b32 s3, 0
	s_and_b64 s[0:1], vcc, s[0:1]
	v_mfma_f32_16x16x16bf16_1k v[14:17], v[16:17], v[36:37], v[44:47]
	s_waitcnt vmcnt(6) lgkmcnt(0)
	v_mfma_f32_16x16x16bf16_1k v[14:17], v[10:11], v[38:39], v[14:17]
	v_mfma_f32_16x16x16bf16_1k v[10:13], v[12:13], v[40:41], v[14:17]
	s_nop 7
	s_nop 1
	ds_read_b128 v[14:17], v49 offset:2048
	ds_read_b128 v[34:37], v49 offset:2064
	s_waitcnt vmcnt(5) lgkmcnt(1)
	v_mfma_f32_16x16x16bf16_1k v[10:13], v[6:7], v[14:15], v[10:13]
	v_mfma_f32_16x16x16bf16_1k v[6:9], v[8:9], v[16:17], v[10:13]
	s_waitcnt vmcnt(4) lgkmcnt(0)
	v_mfma_f32_16x16x16bf16_1k v[6:9], v[2:3], v[34:35], v[6:9]
	v_mfma_f32_16x16x16bf16_1k v[2:5], v[4:5], v[36:37], v[6:9]
	s_nop 7
	s_nop 1
	ds_read_b128 v[6:9], v49 offset:4096
	ds_read_b128 v[10:13], v49 offset:4112
	s_waitcnt vmcnt(3) lgkmcnt(1)
	v_mfma_f32_16x16x16bf16_1k v[2:5], v[30:31], v[6:7], v[2:5]
	v_mfma_f32_16x16x16bf16_1k v[2:5], v[32:33], v[8:9], v[2:5]
	s_waitcnt vmcnt(2) lgkmcnt(0)
	v_mfma_f32_16x16x16bf16_1k v[2:5], v[22:23], v[10:11], v[2:5]
	v_mfma_f32_16x16x16bf16_1k v[2:5], v[24:25], v[12:13], v[2:5]
	ds_read_b128 v[6:9], v49 offset:6144
	ds_read_b128 v[10:13], v49 offset:6160
	s_waitcnt lgkmcnt(0)
	s_barrier
	s_waitcnt vmcnt(1)
	v_mfma_f32_16x16x16bf16_1k v[2:5], v[26:27], v[6:7], v[2:5]
	v_mfma_f32_16x16x16bf16_1k v[2:5], v[28:29], v[8:9], v[2:5]
	s_waitcnt vmcnt(0)
	v_mfma_f32_16x16x16bf16_1k v[2:5], v[18:19], v[10:11], v[2:5]
	v_mfma_f32_16x16x16bf16_1k v[2:5], v[20:21], v[12:13], v[2:5]
	s_nop 7
	s_nop 2
	v_bfe_u32 v6, v3, 16, 1
	v_bfe_u32 v7, v2, 16, 1
	;; [unrolled: 1-line block ×4, first 2 shown]
	v_add3_u32 v2, v2, v7, s10
	v_add3_u32 v3, v3, v6, s10
	;; [unrolled: 1-line block ×4, first 2 shown]
	v_perm_b32 v2, v3, v2, s11
	v_perm_b32 v3, v5, v4, s11
	ds_write_b64 v48, v[2:3]
	s_waitcnt lgkmcnt(0)
	s_barrier
	s_and_saveexec_b64 s[10:11], s[0:1]
	s_cbranch_execz .LBB257_22
; %bb.20:
	s_load_dwordx2 s[4:5], s[4:5], 0x68
	s_lshl_b32 s0, s8, 6
	s_mul_i32 s1, s9, s6
	s_mul_hi_u32 s7, s1, s0
	s_mul_i32 s6, s1, s0
	s_lshl_b64 s[6:7], s[6:7], 1
	s_waitcnt lgkmcnt(0)
	s_add_u32 s1, s4, s6
	v_lshlrev_b32_e32 v2, 10, v0
	v_lshlrev_b32_e32 v0, 4, v0
	s_addc_u32 s4, s5, s7
	s_lshl_b32 s2, s28, 6
	v_and_b32_e32 v2, 0x1800, v2
	v_lshlrev_b32_e32 v3, 5, v1
	v_and_b32_e32 v0, 16, v0
	s_lshl_b64 s[2:3], s[2:3], 1
	v_or3_b32 v0, v2, v3, v0
	s_add_u32 s1, s1, s2
	v_or_b32_e32 v2, 8, v1
	s_addc_u32 s2, s4, s3
	ds_read_b128 v[6:9], v0 offset:128
	ds_read_b128 v[10:13], v0
	v_add_u32_e32 v1, s29, v1
	v_mov_b32_e32 v4, s2
	v_add_co_u32_e32 v3, vcc, s1, v42
	v_mad_u64_u32 v[14:15], s[2:3], v1, s0, 0
	v_addc_co_u32_e32 v4, vcc, v4, v43, vcc
	v_lshlrev_b64 v[14:15], 1, v[14:15]
	v_add_co_u32_e32 v14, vcc, v3, v14
	v_addc_co_u32_e32 v15, vcc, v4, v15, vcc
	v_add_u32_e32 v1, 4, v1
	s_waitcnt lgkmcnt(0)
	global_store_dwordx4 v[14:15], v[10:13], off
	s_nop 0
	v_mad_u64_u32 v[10:11], s[2:3], v1, s0, 0
	v_lshlrev_b64 v[10:11], 1, v[10:11]
	v_add_co_u32_e32 v10, vcc, v3, v10
	v_addc_co_u32_e32 v11, vcc, v4, v11, vcc
	v_cmp_gt_u32_e32 vcc, 10, v2
	global_store_dwordx4 v[10:11], v[6:9], off
	s_and_b64 exec, exec, vcc
	s_cbranch_execz .LBB257_22
; %bb.21:
	ds_read_b128 v[6:9], v0 offset:256
	v_add_u32_e32 v0, s29, v2
	v_mad_u64_u32 v[0:1], s[0:1], v0, s0, 0
	v_lshlrev_b64 v[0:1], 1, v[0:1]
	v_add_co_u32_e32 v0, vcc, v3, v0
	v_addc_co_u32_e32 v1, vcc, v4, v1, vcc
	s_waitcnt lgkmcnt(0)
	global_store_dwordx4 v[0:1], v[6:9], off
.LBB257_22:
	s_endpgm
	.section	.rodata,"a",@progbits
	.p2align	6, 0x0
	.amdhsa_kernel _Z39paged_attention_ll4mi_QKV_mfma16_kernelI14__hip_bfloat16S0_LN4vllm18Fp8KVCacheDataTypeE0ES0_Li32ELi64ELi256ELb1ELi10EL8MFMAType0EEvPKT_PKT0_S9_ifPKiSB_SB_iPKfiiiPfSE_PS4_PT2_iSD_SD_
		.amdhsa_group_segment_fixed_size 8192
		.amdhsa_private_segment_fixed_size 0
		.amdhsa_kernarg_size 400
		.amdhsa_user_sgpr_count 6
		.amdhsa_user_sgpr_private_segment_buffer 1
		.amdhsa_user_sgpr_dispatch_ptr 0
		.amdhsa_user_sgpr_queue_ptr 0
		.amdhsa_user_sgpr_kernarg_segment_ptr 1
		.amdhsa_user_sgpr_dispatch_id 0
		.amdhsa_user_sgpr_flat_scratch_init 0
		.amdhsa_user_sgpr_kernarg_preload_length 0
		.amdhsa_user_sgpr_kernarg_preload_offset 0
		.amdhsa_user_sgpr_private_segment_size 0
		.amdhsa_uses_dynamic_stack 0
		.amdhsa_system_sgpr_private_segment_wavefront_offset 0
		.amdhsa_system_sgpr_workgroup_id_x 1
		.amdhsa_system_sgpr_workgroup_id_y 1
		.amdhsa_system_sgpr_workgroup_id_z 1
		.amdhsa_system_sgpr_workgroup_info 0
		.amdhsa_system_vgpr_workitem_id 0
		.amdhsa_next_free_vgpr 66
		.amdhsa_next_free_sgpr 48
		.amdhsa_accum_offset 68
		.amdhsa_reserve_vcc 1
		.amdhsa_reserve_flat_scratch 0
		.amdhsa_float_round_mode_32 0
		.amdhsa_float_round_mode_16_64 0
		.amdhsa_float_denorm_mode_32 3
		.amdhsa_float_denorm_mode_16_64 3
		.amdhsa_dx10_clamp 1
		.amdhsa_ieee_mode 1
		.amdhsa_fp16_overflow 0
		.amdhsa_tg_split 0
		.amdhsa_exception_fp_ieee_invalid_op 0
		.amdhsa_exception_fp_denorm_src 0
		.amdhsa_exception_fp_ieee_div_zero 0
		.amdhsa_exception_fp_ieee_overflow 0
		.amdhsa_exception_fp_ieee_underflow 0
		.amdhsa_exception_fp_ieee_inexact 0
		.amdhsa_exception_int_div_zero 0
	.end_amdhsa_kernel
	.section	.text._Z39paged_attention_ll4mi_QKV_mfma16_kernelI14__hip_bfloat16S0_LN4vllm18Fp8KVCacheDataTypeE0ES0_Li32ELi64ELi256ELb1ELi10EL8MFMAType0EEvPKT_PKT0_S9_ifPKiSB_SB_iPKfiiiPfSE_PS4_PT2_iSD_SD_,"axG",@progbits,_Z39paged_attention_ll4mi_QKV_mfma16_kernelI14__hip_bfloat16S0_LN4vllm18Fp8KVCacheDataTypeE0ES0_Li32ELi64ELi256ELb1ELi10EL8MFMAType0EEvPKT_PKT0_S9_ifPKiSB_SB_iPKfiiiPfSE_PS4_PT2_iSD_SD_,comdat
.Lfunc_end257:
	.size	_Z39paged_attention_ll4mi_QKV_mfma16_kernelI14__hip_bfloat16S0_LN4vllm18Fp8KVCacheDataTypeE0ES0_Li32ELi64ELi256ELb1ELi10EL8MFMAType0EEvPKT_PKT0_S9_ifPKiSB_SB_iPKfiiiPfSE_PS4_PT2_iSD_SD_, .Lfunc_end257-_Z39paged_attention_ll4mi_QKV_mfma16_kernelI14__hip_bfloat16S0_LN4vllm18Fp8KVCacheDataTypeE0ES0_Li32ELi64ELi256ELb1ELi10EL8MFMAType0EEvPKT_PKT0_S9_ifPKiSB_SB_iPKfiiiPfSE_PS4_PT2_iSD_SD_
                                        ; -- End function
	.section	.AMDGPU.csdata,"",@progbits
; Kernel info:
; codeLenInByte = 4672
; NumSgprs: 52
; NumVgprs: 66
; NumAgprs: 0
; TotalNumVgprs: 66
; ScratchSize: 0
; MemoryBound: 0
; FloatMode: 240
; IeeeMode: 1
; LDSByteSize: 8192 bytes/workgroup (compile time only)
; SGPRBlocks: 6
; VGPRBlocks: 8
; NumSGPRsForWavesPerEU: 52
; NumVGPRsForWavesPerEU: 66
; AccumOffset: 68
; Occupancy: 7
; WaveLimiterHint : 1
; COMPUTE_PGM_RSRC2:SCRATCH_EN: 0
; COMPUTE_PGM_RSRC2:USER_SGPR: 6
; COMPUTE_PGM_RSRC2:TRAP_HANDLER: 0
; COMPUTE_PGM_RSRC2:TGID_X_EN: 1
; COMPUTE_PGM_RSRC2:TGID_Y_EN: 1
; COMPUTE_PGM_RSRC2:TGID_Z_EN: 1
; COMPUTE_PGM_RSRC2:TIDIG_COMP_CNT: 0
; COMPUTE_PGM_RSRC3_GFX90A:ACCUM_OFFSET: 16
; COMPUTE_PGM_RSRC3_GFX90A:TG_SPLIT: 0
	.section	.text._Z39paged_attention_ll4mi_QKV_mfma16_kernelI14__hip_bfloat16S0_LN4vllm18Fp8KVCacheDataTypeE0ES0_Li32ELi64ELi256ELb1ELi11EL8MFMAType0EEvPKT_PKT0_S9_ifPKiSB_SB_iPKfiiiPfSE_PS4_PT2_iSD_SD_,"axG",@progbits,_Z39paged_attention_ll4mi_QKV_mfma16_kernelI14__hip_bfloat16S0_LN4vllm18Fp8KVCacheDataTypeE0ES0_Li32ELi64ELi256ELb1ELi11EL8MFMAType0EEvPKT_PKT0_S9_ifPKiSB_SB_iPKfiiiPfSE_PS4_PT2_iSD_SD_,comdat
	.protected	_Z39paged_attention_ll4mi_QKV_mfma16_kernelI14__hip_bfloat16S0_LN4vllm18Fp8KVCacheDataTypeE0ES0_Li32ELi64ELi256ELb1ELi11EL8MFMAType0EEvPKT_PKT0_S9_ifPKiSB_SB_iPKfiiiPfSE_PS4_PT2_iSD_SD_ ; -- Begin function _Z39paged_attention_ll4mi_QKV_mfma16_kernelI14__hip_bfloat16S0_LN4vllm18Fp8KVCacheDataTypeE0ES0_Li32ELi64ELi256ELb1ELi11EL8MFMAType0EEvPKT_PKT0_S9_ifPKiSB_SB_iPKfiiiPfSE_PS4_PT2_iSD_SD_
	.globl	_Z39paged_attention_ll4mi_QKV_mfma16_kernelI14__hip_bfloat16S0_LN4vllm18Fp8KVCacheDataTypeE0ES0_Li32ELi64ELi256ELb1ELi11EL8MFMAType0EEvPKT_PKT0_S9_ifPKiSB_SB_iPKfiiiPfSE_PS4_PT2_iSD_SD_
	.p2align	8
	.type	_Z39paged_attention_ll4mi_QKV_mfma16_kernelI14__hip_bfloat16S0_LN4vllm18Fp8KVCacheDataTypeE0ES0_Li32ELi64ELi256ELb1ELi11EL8MFMAType0EEvPKT_PKT0_S9_ifPKiSB_SB_iPKfiiiPfSE_PS4_PT2_iSD_SD_,@function
_Z39paged_attention_ll4mi_QKV_mfma16_kernelI14__hip_bfloat16S0_LN4vllm18Fp8KVCacheDataTypeE0ES0_Li32ELi64ELi256ELb1ELi11EL8MFMAType0EEvPKT_PKT0_S9_ifPKiSB_SB_iPKfiiiPfSE_PS4_PT2_iSD_SD_: ; @_Z39paged_attention_ll4mi_QKV_mfma16_kernelI14__hip_bfloat16S0_LN4vllm18Fp8KVCacheDataTypeE0ES0_Li32ELi64ELi256ELb1ELi11EL8MFMAType0EEvPKT_PKT0_S9_ifPKiSB_SB_iPKfiiiPfSE_PS4_PT2_iSD_SD_
; %bb.0:
	s_load_dwordx2 s[0:1], s[4:5], 0x30
	s_mov_b32 s28, s7
	s_mov_b64 s[10:11], 0
	s_waitcnt lgkmcnt(0)
	s_cmp_lg_u64 s[0:1], 0
	s_cselect_b64 s[2:3], -1, 0
	s_and_b64 vcc, exec, s[2:3]
	s_cbranch_vccz .LBB258_7
; %bb.1:
	s_add_i32 s12, s6, 1
	s_mov_b32 s13, 0
	s_lshl_b64 s[14:15], s[12:13], 2
	s_add_u32 s14, s0, s14
	s_mov_b32 s7, s13
	s_addc_u32 s15, s1, s15
	s_lshl_b64 s[12:13], s[6:7], 2
	s_add_u32 s12, s0, s12
	s_addc_u32 s13, s1, s13
	s_load_dword s9, s[14:15], 0x0
	s_load_dword s16, s[12:13], 0x0
	s_waitcnt lgkmcnt(0)
	s_sub_i32 s9, s9, s16
	s_cmp_eq_u32 s9, 1
	s_cselect_b64 s[12:13], -1, 0
	s_andn2_b64 vcc, exec, s[10:11]
	s_cbranch_vccnz .LBB258_3
.LBB258_2:
	s_mov_b32 s7, 0
	s_mov_b64 s[12:13], -1
.LBB258_3:
	s_andn2_b64 vcc, exec, s[12:13]
	s_cbranch_vccnz .LBB258_22
; %bb.4:
	s_load_dwordx2 s[12:13], s[4:5], 0x28
	s_lshl_b64 s[10:11], s[6:7], 2
	s_waitcnt lgkmcnt(0)
	s_add_u32 s12, s12, s10
	s_addc_u32 s13, s13, s11
	s_load_dword s33, s[12:13], 0x0
	s_lshl_b32 s14, s28, 8
	s_waitcnt lgkmcnt(0)
	s_cmp_ge_i32 s14, s33
	s_cbranch_scc1 .LBB258_22
; %bb.5:
	s_add_i32 s15, s33, 31
	s_load_dwordx2 s[12:13], s[4:5], 0x20
	s_load_dword s9, s[4:5], 0x38
	s_ashr_i32 s16, s15, 31
	v_and_b32_e32 v1, 0xcf, v0
	s_lshr_b32 s16, s16, 27
	v_add_u32_e32 v1, s14, v1
	s_add_i32 s15, s15, s16
	v_ashrrev_i32_e32 v2, 31, v1
	s_ashr_i32 s17, s15, 5
	v_lshrrev_b32_e32 v6, 27, v2
	s_add_i32 s17, s17, -1
	v_add_u32_e32 v2, v1, v6
	s_waitcnt lgkmcnt(0)
	s_mul_i32 s18, s6, s9
	s_mov_b32 s19, 0
	v_ashrrev_i32_e32 v2, 5, v2
	v_mov_b32_e32 v7, s17
	v_cmp_gt_i32_e32 vcc, s33, v1
	s_lshl_b64 s[18:19], s[18:19], 2
	v_cndmask_b32_e32 v2, v7, v2, vcc
	s_add_u32 s15, s12, s18
	v_ashrrev_i32_e32 v3, 31, v2
	s_addc_u32 s16, s13, s19
	v_lshlrev_b64 v[2:3], 2, v[2:3]
	v_mov_b32_e32 v4, s16
	v_add_co_u32_e32 v2, vcc, s15, v2
	v_addc_co_u32_e32 v3, vcc, v4, v3, vcc
	v_or_b32_e32 v4, 16, v1
	v_add_u32_e32 v5, v4, v6
	v_ashrrev_i32_e32 v5, 5, v5
	v_cmp_gt_i32_e32 vcc, s33, v4
	v_cndmask_b32_e32 v4, v7, v5, vcc
	v_ashrrev_i32_e32 v5, 31, v4
	v_lshlrev_b64 v[4:5], 2, v[4:5]
	v_mov_b32_e32 v9, s16
	v_add_co_u32_e32 v8, vcc, s15, v4
	v_or_b32_e32 v4, 32, v1
	v_addc_co_u32_e32 v9, vcc, v9, v5, vcc
	v_add_u32_e32 v5, v4, v6
	v_ashrrev_i32_e32 v5, 5, v5
	v_cmp_gt_i32_e32 vcc, s33, v4
	v_cndmask_b32_e32 v4, v7, v5, vcc
	v_ashrrev_i32_e32 v5, 31, v4
	v_lshlrev_b64 v[4:5], 2, v[4:5]
	v_mov_b32_e32 v11, s16
	v_add_co_u32_e32 v10, vcc, s15, v4
	v_or_b32_e32 v1, 48, v1
	v_addc_co_u32_e32 v11, vcc, v11, v5, vcc
	v_add_u32_e32 v4, v1, v6
	v_ashrrev_i32_e32 v4, 5, v4
	v_cmp_gt_i32_e32 vcc, s33, v1
	v_cndmask_b32_e32 v4, v7, v4, vcc
	v_ashrrev_i32_e32 v5, 31, v4
	v_lshlrev_b64 v[4:5], 2, v[4:5]
	v_mov_b32_e32 v1, s16
	v_add_co_u32_e32 v12, vcc, s15, v4
	v_addc_co_u32_e32 v13, vcc, v1, v5, vcc
	global_load_dword v7, v[2:3], off
	global_load_dword v6, v[8:9], off
	;; [unrolled: 1-line block ×4, first 2 shown]
	s_andn2_b64 vcc, exec, s[2:3]
	s_cbranch_vccnz .LBB258_8
; %bb.6:
	s_add_u32 s0, s0, s10
	s_addc_u32 s1, s1, s11
	s_load_dword s9, s[0:1], 0x0
	s_branch .LBB258_9
.LBB258_7:
	s_mov_b64 s[12:13], 0
	s_branch .LBB258_2
.LBB258_8:
	s_mov_b32 s9, s6
.LBB258_9:
	s_load_dwordx2 s[10:11], s[4:5], 0x8
	s_load_dwordx4 s[44:47], s[4:5], 0x48
	v_lshrrev_b32_e32 v53, 6, v0
	v_bfe_u32 v1, v0, 4, 2
	v_lshl_or_b32 v8, v53, 2, v1
	v_and_b32_e32 v52, 15, v0
	v_cmp_lt_u32_e32 vcc, 10, v8
	v_cmp_lt_u32_e64 s[2:3], 7, v52
	v_lshlrev_b32_e32 v2, 3, v52
	v_cmp_gt_u32_e64 s[0:1], 8, v52
	s_or_b64 s[2:3], s[2:3], vcc
	s_and_saveexec_b64 s[12:13], s[2:3]
	s_xor_b64 s[2:3], exec, s[12:13]
; %bb.10:
	v_mov_b32_e32 v3, 0
                                        ; implicit-def: $vgpr8
; %bb.11:
	s_or_saveexec_b64 s[12:13], s[2:3]
	s_load_dwordx2 s[2:3], s[4:5], 0x10
	s_mul_i32 s29, s8, 11
	s_xor_b64 exec, exec, s[12:13]
	s_cbranch_execz .LBB258_13
; %bb.12:
	s_load_dwordx2 s[18:19], s[4:5], 0x0
	s_waitcnt lgkmcnt(0)
	s_ashr_i32 s20, s44, 31
	s_mul_hi_u32 s21, s9, s44
	s_mul_i32 s20, s9, s20
	s_add_i32 s21, s21, s20
	s_mul_i32 s20, s9, s44
	s_lshl_b64 s[20:21], s[20:21], 1
	v_add_lshl_u32 v10, v8, s29, 6
	s_add_u32 s9, s18, s20
	v_ashrrev_i32_e32 v11, 31, v10
	s_addc_u32 s18, s19, s21
	v_lshlrev_b64 v[10:11], 1, v[10:11]
	v_mov_b32_e32 v3, s18
	v_add_co_u32_e32 v9, vcc, s9, v10
	v_addc_co_u32_e32 v3, vcc, v3, v11, vcc
	v_lshlrev_b32_e32 v10, 1, v2
	v_add_co_u32_e32 v10, vcc, v9, v10
	v_addc_co_u32_e32 v11, vcc, 0, v3, vcc
	global_load_dwordx4 v[10:13], v[10:11], off
	v_and_b32_e32 v9, 3, v0
	v_lshlrev_b32_e32 v14, 9, v52
	v_lshlrev_b32_e32 v8, 5, v8
	;; [unrolled: 1-line block ×3, first 2 shown]
	v_and_b32_e32 v14, 0x1800, v14
	v_mov_b32_e32 v3, 0
	v_or3_b32 v8, v14, v9, v8
	s_waitcnt vmcnt(0)
	ds_write_b128 v8, v[10:13]
.LBB258_13:
	s_or_b64 exec, exec, s[12:13]
	s_waitcnt lgkmcnt(0)
	s_mul_i32 s8, s8, s46
	s_mov_b32 s9, 0
	s_lshl_b64 s[8:9], s[8:9], 1
	s_add_u32 s12, s10, s8
	s_addc_u32 s13, s11, s9
	s_waitcnt vmcnt(3)
	v_mad_i64_i32 v[8:9], s[10:11], v7, s45, 0
	v_lshlrev_b64 v[8:9], 1, v[8:9]
	v_mov_b32_e32 v7, s13
	v_add_co_u32_e32 v8, vcc, s12, v8
	v_addc_co_u32_e32 v7, vcc, v7, v9, vcc
	v_lshlrev_b64 v[42:43], 1, v[2:3]
	v_add_co_u32_e32 v2, vcc, v8, v42
	v_lshlrev_b32_e32 v24, 9, v1
	v_addc_co_u32_e32 v3, vcc, v7, v43, vcc
	v_add_co_u32_e32 v2, vcc, v2, v24
	v_addc_co_u32_e32 v3, vcc, 0, v3, vcc
	s_barrier
	global_load_dwordx4 v[38:41], v[2:3], off
	global_load_dwordx4 v[34:37], v[2:3], off offset:2048
	s_waitcnt vmcnt(4)
	v_mad_i64_i32 v[2:3], s[10:11], v6, s45, 0
	v_lshlrev_b64 v[2:3], 1, v[2:3]
	v_mov_b32_e32 v6, s13
	v_add_co_u32_e32 v2, vcc, s12, v2
	v_addc_co_u32_e32 v3, vcc, v6, v3, vcc
	v_mov_b32_e32 v6, 0x100
	v_lshl_or_b32 v18, v52, 4, v6
	v_add_co_u32_e32 v2, vcc, v2, v18
	v_addc_co_u32_e32 v3, vcc, 0, v3, vcc
	v_add_co_u32_e32 v2, vcc, v2, v24
	v_addc_co_u32_e32 v3, vcc, 0, v3, vcc
	global_load_dwordx4 v[30:33], v[2:3], off
	global_load_dwordx4 v[14:17], v[2:3], off offset:2048
	s_waitcnt vmcnt(5)
	v_mad_i64_i32 v[2:3], s[10:11], v5, s45, 0
	v_lshlrev_b64 v[2:3], 1, v[2:3]
	v_mov_b32_e32 v5, s13
	v_add_co_u32_e32 v2, vcc, s12, v2
	v_addc_co_u32_e32 v3, vcc, v5, v3, vcc
	v_add_co_u32_e32 v2, vcc, v2, v42
	v_addc_co_u32_e32 v3, vcc, v3, v43, vcc
	;; [unrolled: 2-line block ×3, first 2 shown]
	global_load_dwordx4 v[10:13], v[2:3], off
	global_load_dwordx4 v[6:9], v[2:3], off offset:2048
	s_waitcnt vmcnt(6)
	v_mad_i64_i32 v[2:3], s[10:11], v4, s45, 0
	v_lshlrev_b64 v[2:3], 1, v[2:3]
	v_mov_b32_e32 v4, s13
	v_add_co_u32_e32 v2, vcc, s12, v2
	v_addc_co_u32_e32 v3, vcc, v4, v3, vcc
	v_add_co_u32_e32 v2, vcc, v2, v18
	v_addc_co_u32_e32 v3, vcc, 0, v3, vcc
	;; [unrolled: 2-line block ×3, first 2 shown]
	global_load_dwordx4 v[2:5], v[22:23], off
	global_load_dwordx4 v[18:21], v[22:23], off offset:2048
	v_add_u32_e32 v22, -11, v52
	v_cmp_gt_u32_e32 vcc, 11, v52
	v_cndmask_b32_e32 v22, v22, v52, vcc
	v_lshl_add_u32 v22, v22, 5, v24
	ds_read_b128 v[26:29], v22
	ds_read_b128 v[22:25], v22 offset:2048
	v_and_b32_e32 v54, 63, v0
	v_mov_b32_e32 v50, 0
	s_and_saveexec_b64 s[10:11], vcc
	s_cbranch_execz .LBB258_15
; %bb.14:
	s_load_dwordx2 s[12:13], s[4:5], 0x40
	v_add_u32_e32 v44, s29, v52
	v_ashrrev_i32_e32 v45, 31, v44
	v_lshlrev_b64 v[44:45], 2, v[44:45]
	s_waitcnt lgkmcnt(0)
	v_mov_b32_e32 v46, s13
	v_add_co_u32_e32 v44, vcc, s12, v44
	v_addc_co_u32_e32 v45, vcc, v46, v45, vcc
	global_load_dword v50, v[44:45], off
.LBB258_15:
	s_or_b64 exec, exec, s[10:11]
	s_waitcnt vmcnt(7) lgkmcnt(1)
	v_mfma_f32_16x16x16bf16_1k v[44:47], v[38:39], v[26:27], 0
	s_ashr_i32 s10, s14, 31
	s_lshr_b32 s11, s10, 27
	v_mov_b32_e32 v49, s16
	s_add_u32 s2, s2, s8
	s_addc_u32 s3, s3, s9
	s_load_dword s10, s[4:5], 0x1c
	s_mov_b32 s42, 0xff7fffff
	v_mfma_f32_16x16x16bf16_1k v[38:41], v[40:41], v[28:29], v[44:47]
	s_waitcnt vmcnt(6) lgkmcnt(0)
	v_mfma_f32_16x16x16bf16_1k v[38:41], v[34:35], v[22:23], v[38:41]
	s_nop 4
	v_and_or_b32 v46, v0, 48, s14
	v_add_u32_e32 v34, s11, v46
	v_ashrrev_i32_e32 v34, 5, v34
	v_mov_b32_e32 v47, s17
	v_cmp_gt_i32_e32 vcc, s33, v46
	v_cndmask_b32_e32 v34, v47, v34, vcc
	v_ashrrev_i32_e32 v35, 31, v34
	v_lshlrev_b64 v[44:45], 2, v[34:35]
	v_mfma_f32_16x16x16bf16_1k v[34:37], v[36:37], v[24:25], v[38:41]
	s_nop 6
	v_mov_b32_e32 v39, s16
	v_add_co_u32_e32 v38, vcc, s15, v44
	v_addc_co_u32_e32 v39, vcc, v39, v45, vcc
	global_load_dword v48, v[38:39], off
	s_waitcnt vmcnt(6)
	v_mfma_f32_16x16x16bf16_1k v[38:41], v[30:31], v[26:27], 0
	v_or_b32_e32 v44, 64, v46
	v_add_u32_e32 v30, s11, v44
	v_ashrrev_i32_e32 v30, 5, v30
	v_cmp_gt_i32_e32 vcc, s33, v44
	v_cndmask_b32_e32 v30, v47, v30, vcc
	v_ashrrev_i32_e32 v31, 31, v30
	v_lshlrev_b64 v[44:45], 2, v[30:31]
	v_mfma_f32_16x16x16bf16_1k v[30:33], v[32:33], v[28:29], v[38:41]
	s_nop 6
	v_add_co_u32_e32 v38, vcc, s15, v44
	v_addc_co_u32_e32 v39, vcc, v49, v45, vcc
	global_load_dword v40, v[38:39], off
	v_or_b32_e32 v38, 0x80, v46
	v_add_u32_e32 v39, s11, v38
	v_ashrrev_i32_e32 v39, 5, v39
	v_cmp_gt_i32_e32 vcc, s33, v38
	v_cndmask_b32_e32 v38, v47, v39, vcc
	v_ashrrev_i32_e32 v39, 31, v38
	s_waitcnt vmcnt(6)
	v_mfma_f32_16x16x16bf16_1k v[30:33], v[14:15], v[22:23], v[30:33]
	v_lshlrev_b64 v[14:15], 2, v[38:39]
	v_mov_b32_e32 v38, s16
	v_add_co_u32_e32 v14, vcc, s15, v14
	v_addc_co_u32_e32 v15, vcc, v38, v15, vcc
	global_load_dword v41, v[14:15], off
	v_mfma_f32_16x16x16bf16_1k v[30:33], v[16:17], v[24:25], v[30:33]
	v_or_b32_e32 v38, 0xc0, v46
	v_cmp_gt_i32_e32 vcc, s33, v38
	v_mov_b32_e32 v44, s16
	s_waitcnt vmcnt(6)
	v_mfma_f32_16x16x16bf16_1k v[14:17], v[10:11], v[26:27], 0
	v_add_u32_e32 v10, s11, v38
	v_ashrrev_i32_e32 v10, 5, v10
	v_cndmask_b32_e32 v10, v47, v10, vcc
	v_ashrrev_i32_e32 v11, 31, v10
	v_lshlrev_b64 v[38:39], 2, v[10:11]
	s_nop 0
	v_pk_mul_f32 v[46:47], s[10:11], v[30:31] op_sel_hi:[0,1]
	v_mfma_f32_16x16x16bf16_1k v[10:13], v[12:13], v[28:29], v[14:17]
	s_nop 6
	v_add_co_u32_e32 v14, vcc, s15, v38
	s_waitcnt vmcnt(5)
	v_mfma_f32_16x16x16bf16_1k v[10:13], v[6:7], v[22:23], v[10:13]
	v_addc_co_u32_e32 v15, vcc, v44, v39, vcc
	global_load_dword v51, v[14:15], off
	v_and_b32_e32 v14, 16, v0
	v_lshlrev_b32_e32 v14, 1, v14
	v_mov_b32_e32 v6, s3
	v_add_co_u32_e32 v7, vcc, s2, v14
	v_lshlrev_b32_e32 v14, 6, v52
	v_addc_co_u32_e32 v6, vcc, 0, v6, vcc
	v_lshl_or_b32 v14, v53, 10, v14
	v_add_co_u32_e32 v55, vcc, v7, v14
	v_addc_co_u32_e32 v60, vcc, 0, v6, vcc
	v_mfma_f32_16x16x16bf16_1k v[56:59], v[8:9], v[24:25], v[10:13]
	s_waitcnt vmcnt(3)
	v_mad_i64_i32 v[6:7], s[2:3], v48, s45, 0
	v_pk_mul_f32 v[48:49], s[10:11], v[36:37] op_sel_hi:[0,1]
	v_pk_mul_f32 v[44:45], s[10:11], v[32:33] op_sel_hi:[0,1]
	s_waitcnt vmcnt(1)
	v_mad_i64_i32 v[38:39], s[2:3], v41, s45, 0
	s_nop 0
	v_lshlrev_b64 v[10:11], 1, v[6:7]
	v_mfma_f32_16x16x16bf16_1k v[6:9], v[2:3], v[26:27], 0
	v_add_co_u32_e32 v2, vcc, v55, v10
	v_addc_co_u32_e32 v3, vcc, v60, v11, vcc
	global_load_dwordx4 v[14:17], v[2:3], off
	global_load_dwordx4 v[10:13], v[2:3], off offset:16
	v_mad_i64_i32 v[2:3], s[2:3], v40, s45, 0
	v_mfma_f32_16x16x16bf16_1k v[26:29], v[4:5], v[28:29], v[6:9]
	v_lshlrev_b64 v[2:3], 1, v[2:3]
	v_add_co_u32_e32 v2, vcc, v55, v2
	v_addc_co_u32_e32 v3, vcc, v60, v3, vcc
	v_lshlrev_b64 v[38:39], 1, v[38:39]
	v_pk_mul_f32 v[40:41], s[10:11], v[56:57] op_sel_hi:[0,1]
	v_mfma_f32_16x16x16bf16_1k v[26:29], v[18:19], v[22:23], v[26:29]
	v_pk_mul_f32 v[18:19], s[10:11], v[34:35] op_sel_hi:[0,1]
	v_add_co_u32_e32 v22, vcc, v55, v38
	v_addc_co_u32_e32 v23, vcc, v60, v39, vcc
	v_pk_mul_f32 v[38:39], s[10:11], v[58:59] op_sel_hi:[0,1]
	global_load_dwordx4 v[6:9], v[2:3], off
	s_nop 0
	global_load_dwordx4 v[2:5], v[2:3], off offset:16
	v_mfma_f32_16x16x16bf16_1k v[24:27], v[20:21], v[24:25], v[26:29]
	v_and_b32_e32 v20, 0xc0, v0
	v_add_u32_e32 v20, s14, v20
	v_lshl_or_b32 v20, v1, 2, v20
	v_or_b32_e32 v21, 1, v20
	v_cmp_gt_i32_e64 s[30:31], s33, v20
	v_cmp_gt_i32_e64 s[34:35], s33, v21
	s_nop 4
	v_pk_mul_f32 v[36:37], s[10:11], v[24:25] op_sel_hi:[0,1]
	v_subrev_u32_e32 v24, s33, v21
	v_pk_mul_f32 v[34:35], s[10:11], v[26:27] op_sel_hi:[0,1]
	v_add_u32_e32 v26, 1, v24
	v_add_u32_e32 v27, 2, v24
	v_cvt_f32_i32_e32 v25, v24
	v_cvt_f32_i32_e32 v26, v26
	v_cvt_f32_i32_e32 v27, v27
	v_add_u32_e32 v28, 3, v24
	v_fma_f32 v18, v50, v25, v18
	v_fmac_f32_e32 v19, v50, v26
	v_fma_f32 v48, v50, v27, v48
	v_add_u32_e32 v25, 16, v24
	v_add_u32_e32 v26, 17, v24
	;; [unrolled: 1-line block ×3, first 2 shown]
	v_cvt_f32_i32_e32 v28, v28
	v_cvt_f32_i32_e32 v25, v25
	;; [unrolled: 1-line block ×4, first 2 shown]
	v_fmac_f32_e32 v49, v50, v28
	v_add_u32_e32 v28, 19, v24
	v_fma_f32 v46, v50, v25, v46
	v_fmac_f32_e32 v47, v50, v26
	v_fma_f32 v44, v50, v27, v44
	v_add_u32_e32 v25, 32, v24
	v_add_u32_e32 v26, 33, v24
	v_add_u32_e32 v27, 34, v24
	v_cvt_f32_i32_e32 v28, v28
	v_cvt_f32_i32_e32 v25, v25
	;; [unrolled: 1-line block ×4, first 2 shown]
	v_fmac_f32_e32 v45, v50, v28
	v_add_u32_e32 v28, 35, v24
	v_fma_f32 v40, v50, v25, v40
	v_fmac_f32_e32 v41, v50, v26
	v_fma_f32 v38, v50, v27, v38
	v_add_u32_e32 v25, 48, v24
	v_add_u32_e32 v26, 49, v24
	;; [unrolled: 1-line block ×4, first 2 shown]
	v_cvt_f32_i32_e32 v24, v24
	v_cvt_f32_i32_e32 v25, v25
	;; [unrolled: 1-line block ×4, first 2 shown]
	v_fmac_f32_e32 v35, v50, v24
	v_mov_b32_e32 v24, 0xff7fffff
	v_fma_f32 v36, v50, v25, v36
	v_cndmask_b32_e64 v25, v24, v18, s[30:31]
	v_cndmask_b32_e64 v21, v24, v19, s[34:35]
	v_fmac_f32_e32 v37, v50, v26
	v_max3_f32 v21, v25, s42, v21
	v_or_b32_e32 v25, 2, v20
	v_or_b32_e32 v26, 3, v20
	v_cmp_gt_i32_e64 s[36:37], s33, v25
	v_cmp_gt_i32_e64 s[38:39], s33, v26
	v_cndmask_b32_e64 v25, v24, v48, s[36:37]
	v_cndmask_b32_e64 v26, v24, v49, s[38:39]
	v_max3_f32 v21, v21, v25, v26
	v_or_b32_e32 v25, 16, v20
	v_or_b32_e32 v26, 17, v20
	v_cmp_gt_i32_e64 s[24:25], s33, v25
	v_cmp_gt_i32_e64 s[26:27], s33, v26
	v_cndmask_b32_e64 v25, v24, v46, s[24:25]
	v_cndmask_b32_e64 v26, v24, v47, s[26:27]
	;; [unrolled: 7-line block ×4, first 2 shown]
	v_max3_f32 v21, v21, v25, v26
	v_or_b32_e32 v25, 34, v20
	v_or_b32_e32 v26, 35, v20
	v_fmac_f32_e32 v39, v50, v28
	v_cmp_gt_i32_e64 s[12:13], s33, v25
	v_cmp_gt_i32_e64 s[14:15], s33, v26
	v_cndmask_b32_e64 v25, v24, v38, s[12:13]
	v_cndmask_b32_e64 v26, v24, v39, s[14:15]
	v_cvt_f32_i32_e32 v27, v27
	v_max3_f32 v21, v21, v25, v26
	v_or_b32_e32 v25, 48, v20
	v_or_b32_e32 v26, 49, v20
	v_cmp_gt_i32_e64 s[8:9], s33, v25
	v_cmp_gt_i32_e64 s[10:11], s33, v26
	v_cndmask_b32_e64 v25, v24, v36, s[8:9]
	v_cndmask_b32_e64 v26, v24, v37, s[10:11]
	v_max3_f32 v21, v21, v25, v26
	v_or_b32_e32 v25, 50, v20
	v_or_b32_e32 v20, 51, v20
	v_fma_f32 v34, v50, v27, v34
	v_cmp_gt_i32_e32 vcc, s33, v25
	v_cmp_gt_i32_e64 s[2:3], s33, v20
	v_cndmask_b32_e32 v25, v24, v34, vcc
	v_cndmask_b32_e64 v20, v24, v35, s[2:3]
	v_max3_f32 v26, v21, v25, v20
	v_mbcnt_lo_u32_b32 v20, -1, 0
	v_mbcnt_hi_u32_b32 v27, -1, v20
	v_and_b32_e32 v20, 64, v27
	v_add_u32_e32 v28, 64, v20
	v_xor_b32_e32 v20, 32, v27
	v_cmp_lt_i32_e64 s[40:41], v20, v28
	v_cndmask_b32_e64 v20, v27, v20, s[40:41]
	v_lshlrev_b32_e32 v56, 2, v20
	ds_bpermute_b32 v29, v56, v26
	s_waitcnt vmcnt(4)
	v_mad_i64_i32 v[20:21], s[40:41], v51, s45, 0
	v_lshlrev_b64 v[20:21], 1, v[20:21]
	global_load_dwordx4 v[30:33], v[22:23], off
	s_nop 0
	global_load_dwordx4 v[22:25], v[22:23], off offset:16
	s_waitcnt lgkmcnt(0)
	v_max_f32_e32 v29, v29, v29
	v_max_f32_e32 v26, v26, v29
	v_xor_b32_e32 v29, 16, v27
	v_cmp_lt_i32_e64 s[40:41], v29, v28
	v_cndmask_b32_e64 v27, v27, v29, s[40:41]
	v_lshlrev_b32_e32 v58, 2, v27
	ds_bpermute_b32 v27, v58, v26
	v_add_co_u32_e64 v20, s[40:41], v55, v20
	v_addc_co_u32_e64 v21, s[40:41], v60, v21, s[40:41]
	s_waitcnt lgkmcnt(0)
	v_max_f32_e32 v27, v27, v27
	v_max_f32_e32 v55, v26, v27
	v_sub_f32_e32 v18, v18, v55
	v_mul_f32_e32 v18, 0x3fb8aa3b, v18
	v_exp_f32_e32 v50, v18
	v_sub_f32_e32 v18, v19, v55
	v_mul_f32_e32 v18, 0x3fb8aa3b, v18
	v_exp_f32_e32 v51, v18
	global_load_dwordx4 v[26:29], v[20:21], off
	s_nop 0
	global_load_dwordx4 v[18:21], v[20:21], off offset:16
	v_sub_f32_e32 v48, v48, v55
	v_mul_f32_e32 v48, 0x3fb8aa3b, v48
	v_sub_f32_e32 v49, v49, v55
	v_exp_f32_e32 v48, v48
	v_mul_f32_e32 v49, 0x3fb8aa3b, v49
	v_sub_f32_e32 v46, v46, v55
	v_exp_f32_e32 v49, v49
	v_mul_f32_e32 v46, 0x3fb8aa3b, v46
	v_sub_f32_e32 v47, v47, v55
	v_cndmask_b32_e64 v50, 0, v50, s[30:31]
	v_exp_f32_e32 v46, v46
	v_mul_f32_e32 v47, 0x3fb8aa3b, v47
	v_sub_f32_e32 v44, v44, v55
	v_add_f32_e32 v57, 0, v50
	v_cndmask_b32_e64 v51, 0, v51, s[34:35]
	v_exp_f32_e32 v47, v47
	v_mul_f32_e32 v44, 0x3fb8aa3b, v44
	v_sub_f32_e32 v45, v45, v55
	v_add_f32_e32 v57, v57, v51
	;; [unrolled: 5-line block ×10, first 2 shown]
	v_cndmask_b32_e64 v38, 0, v38, s[12:13]
	v_exp_f32_e32 v34, v34
	v_mul_f32_e32 v35, 0x3fb8aa3b, v35
	v_add_f32_e32 v57, v57, v38
	v_cndmask_b32_e64 v39, 0, v39, s[14:15]
	v_exp_f32_e32 v35, v35
	v_add_f32_e32 v57, v57, v39
	v_cndmask_b32_e64 v36, 0, v36, s[8:9]
	v_add_f32_e32 v57, v57, v36
	v_cndmask_b32_e64 v37, 0, v37, s[10:11]
	v_add_f32_e32 v57, v57, v37
	v_cndmask_b32_e32 v34, 0, v34, vcc
	v_add_f32_e32 v57, v57, v34
	v_cndmask_b32_e64 v35, 0, v35, s[2:3]
	v_add_f32_e32 v57, v57, v35
	ds_bpermute_b32 v56, v56, v57
	s_load_dword s9, s[4:5], 0x98
	v_cmp_gt_u32_e32 vcc, 16, v54
	s_waitcnt lgkmcnt(0)
	s_barrier
	v_add_f32_e32 v57, v57, v56
	ds_bpermute_b32 v58, v58, v57
	v_lshlrev_b32_e32 v56, 2, v52
	s_waitcnt lgkmcnt(0)
	s_and_saveexec_b64 s[2:3], vcc
	s_cbranch_execz .LBB258_17
; %bb.16:
	v_add_f32_e32 v54, v57, v58
	v_lshl_or_b32 v57, v53, 6, v56
	ds_write2st64_b32 v57, v55, v54 offset1:1
.LBB258_17:
	s_or_b64 exec, exec, s[2:3]
	s_load_dword s8, s[4:5], 0x94
	s_waitcnt lgkmcnt(0)
	s_barrier
	ds_read2_b32 v[58:59], v56 offset1:16
	ds_read2_b32 v[60:61], v56 offset0:32 offset1:48
	ds_read2_b32 v[62:63], v56 offset0:64 offset1:80
	;; [unrolled: 1-line block ×3, first 2 shown]
	s_movk_i32 s10, 0x7fff
	s_waitcnt lgkmcnt(3)
	v_max3_f32 v54, v58, s42, v59
	s_waitcnt lgkmcnt(2)
	v_max3_f32 v54, v54, v60, v61
	v_sub_f32_e32 v55, v58, v54
	v_mul_f32_e32 v55, 0x3fb8aa3b, v55
	v_exp_f32_e32 v58, v55
	v_sub_f32_e32 v55, v59, v54
	v_mul_f32_e32 v55, 0x3fb8aa3b, v55
	v_exp_f32_e32 v59, v55
	;; [unrolled: 3-line block ×4, first 2 shown]
	s_waitcnt lgkmcnt(1)
	v_fma_f32 v55, v58, v62, 0
	v_fmac_f32_e32 v55, v59, v63
	s_waitcnt lgkmcnt(0)
	v_fmac_f32_e32 v55, v60, v56
	v_fmac_f32_e32 v55, v61, v57
	v_add_f32_e32 v56, 0x358637bd, v55
	v_div_scale_f32 v57, s[2:3], v56, v56, 1.0
	v_rcp_f32_e32 v62, v57
	s_mov_b32 s11, 0x7060302
	s_mul_i32 s9, s9, 11
	v_fma_f32 v63, -v57, v62, 1.0
	v_fmac_f32_e32 v62, v63, v62
	v_div_scale_f32 v63, vcc, 1.0, v56, 1.0
	v_mul_f32_e32 v64, v63, v62
	v_fma_f32 v65, -v57, v64, v63
	v_fmac_f32_e32 v64, v65, v62
	v_fma_f32 v57, -v57, v64, v63
	v_div_fmas_f32 v57, v57, v62, v64
	v_cmp_eq_u32_e32 vcc, 1, v53
	v_div_fixup_f32 v56, v57, v56, 1.0
	v_cndmask_b32_e32 v57, v58, v59, vcc
	v_cmp_eq_u32_e32 vcc, 2, v53
	v_cndmask_b32_e32 v57, v57, v60, vcc
	v_cmp_eq_u32_e32 vcc, 3, v53
	v_cndmask_b32_e32 v57, v57, v61, vcc
	v_mul_f32_e32 v56, v57, v56
	v_pk_mul_f32 v[50:51], v[56:57], v[50:51] op_sel_hi:[0,1]
	v_pk_mul_f32 v[48:49], v[56:57], v[48:49] op_sel_hi:[0,1]
	v_bfe_u32 v57, v51, 16, 1
	v_bfe_u32 v58, v50, 16, 1
	v_add3_u32 v50, v50, v58, s10
	v_add3_u32 v51, v51, v57, s10
	v_perm_b32 v50, v51, v50, s11
	v_bfe_u32 v51, v49, 16, 1
	v_bfe_u32 v57, v48, 16, 1
	v_add3_u32 v48, v48, v57, s10
	v_add3_u32 v49, v49, v51, s10
	v_perm_b32 v51, v49, v48, s11
	v_lshlrev_b32_e32 v48, 3, v1
	v_lshlrev_b32_e32 v49, 5, v52
	v_lshlrev_b32_e32 v53, 11, v53
	v_pk_mul_f32 v[46:47], v[56:57], v[46:47] op_sel_hi:[0,1]
	v_or3_b32 v48, v53, v49, v48
	v_pk_mul_f32 v[44:45], v[56:57], v[44:45] op_sel_hi:[0,1]
	v_bfe_u32 v53, v47, 16, 1
	v_bfe_u32 v57, v46, 16, 1
	v_add3_u32 v46, v46, v57, s10
	v_add3_u32 v47, v47, v53, s10
	v_perm_b32 v46, v47, v46, s11
	v_bfe_u32 v47, v45, 16, 1
	v_bfe_u32 v53, v44, 16, 1
	v_add3_u32 v44, v44, v53, s10
	v_add3_u32 v45, v45, v47, s10
	v_pk_mul_f32 v[40:41], v[56:57], v[40:41] op_sel_hi:[0,1]
	v_perm_b32 v47, v45, v44, s11
	v_bfe_u32 v44, v41, 16, 1
	v_bfe_u32 v45, v40, 16, 1
	v_pk_mul_f32 v[38:39], v[56:57], v[38:39] op_sel_hi:[0,1]
	v_add3_u32 v40, v40, v45, s10
	v_add3_u32 v41, v41, v44, s10
	v_perm_b32 v40, v41, v40, s11
	v_bfe_u32 v41, v39, 16, 1
	v_bfe_u32 v44, v38, 16, 1
	v_add3_u32 v38, v38, v44, s10
	v_add3_u32 v39, v39, v41, s10
	v_pk_mul_f32 v[36:37], v[56:57], v[36:37] op_sel_hi:[0,1]
	v_perm_b32 v41, v39, v38, s11
	v_bfe_u32 v38, v37, 16, 1
	v_bfe_u32 v39, v36, 16, 1
	v_pk_mul_f32 v[34:35], v[56:57], v[34:35] op_sel_hi:[0,1]
	v_add3_u32 v36, v36, v39, s10
	v_add3_u32 v37, v37, v38, s10
	v_perm_b32 v36, v37, v36, s11
	v_bfe_u32 v37, v35, 16, 1
	v_bfe_u32 v38, v34, 16, 1
	v_add3_u32 v34, v34, v38, s10
	v_add3_u32 v35, v35, v37, s10
	v_perm_b32 v37, v35, v34, s11
	v_cmp_gt_u32_e32 vcc, 11, v0
	s_barrier
	ds_write2st64_b64 v48, v[50:51], v[46:47] offset1:1
	ds_write2st64_b64 v48, v[40:41], v[36:37] offset0:2 offset1:3
	s_and_saveexec_b64 s[2:3], vcc
	s_cbranch_execz .LBB258_19
; %bb.18:
	v_add_co_u32_e32 v36, vcc, s29, v52
	v_addc_co_u32_e64 v37, s[16:17], 0, 0, vcc
	v_mov_b32_e32 v34, s9
	v_mov_b32_e32 v35, 0
	v_mad_u64_u32 v[36:37], s[16:17], s6, v34, v[36:37]
	v_mov_b32_e32 v34, s28
	s_load_dwordx4 s[12:15], s[4:5], 0x58
	s_mul_i32 s7, s7, s9
	v_mad_u64_u32 v[34:35], s[16:17], v36, s8, v[34:35]
	v_add_u32_e32 v37, s7, v37
	v_mov_b32_e32 v36, v35
	v_mad_u64_u32 v[36:37], s[16:17], v37, s8, v[36:37]
	v_mov_b32_e32 v35, v36
	v_lshlrev_b64 v[34:35], 2, v[34:35]
	s_waitcnt lgkmcnt(0)
	v_mov_b32_e32 v37, s15
	v_add_co_u32_e32 v36, vcc, s14, v34
	v_addc_co_u32_e32 v37, vcc, v37, v35, vcc
	global_store_dword v[36:37], v54, off
	v_mov_b32_e32 v36, s13
	v_add_co_u32_e32 v34, vcc, s12, v34
	v_addc_co_u32_e32 v35, vcc, v36, v35, vcc
	global_store_dword v[34:35], v55, off
.LBB258_19:
	s_or_b64 exec, exec, s[2:3]
	v_lshl_or_b32 v49, v1, 9, v49
	s_waitcnt lgkmcnt(0)
	s_barrier
	ds_read_b128 v[34:37], v49
	ds_read_b128 v[38:41], v49 offset:16
	s_waitcnt vmcnt(7) lgkmcnt(1)
	v_mfma_f32_16x16x16bf16_1k v[44:47], v[14:15], v[34:35], 0
	v_cmp_gt_u32_e32 vcc, 64, v0
	s_mov_b32 s3, 0
	s_and_b64 s[0:1], vcc, s[0:1]
	v_mfma_f32_16x16x16bf16_1k v[14:17], v[16:17], v[36:37], v[44:47]
	s_waitcnt vmcnt(6) lgkmcnt(0)
	v_mfma_f32_16x16x16bf16_1k v[14:17], v[10:11], v[38:39], v[14:17]
	v_mfma_f32_16x16x16bf16_1k v[10:13], v[12:13], v[40:41], v[14:17]
	s_nop 7
	s_nop 1
	ds_read_b128 v[14:17], v49 offset:2048
	ds_read_b128 v[34:37], v49 offset:2064
	s_waitcnt vmcnt(5) lgkmcnt(1)
	v_mfma_f32_16x16x16bf16_1k v[10:13], v[6:7], v[14:15], v[10:13]
	v_mfma_f32_16x16x16bf16_1k v[6:9], v[8:9], v[16:17], v[10:13]
	s_waitcnt vmcnt(4) lgkmcnt(0)
	v_mfma_f32_16x16x16bf16_1k v[6:9], v[2:3], v[34:35], v[6:9]
	v_mfma_f32_16x16x16bf16_1k v[2:5], v[4:5], v[36:37], v[6:9]
	s_nop 7
	s_nop 1
	ds_read_b128 v[6:9], v49 offset:4096
	ds_read_b128 v[10:13], v49 offset:4112
	s_waitcnt vmcnt(3) lgkmcnt(1)
	v_mfma_f32_16x16x16bf16_1k v[2:5], v[30:31], v[6:7], v[2:5]
	v_mfma_f32_16x16x16bf16_1k v[2:5], v[32:33], v[8:9], v[2:5]
	s_waitcnt vmcnt(2) lgkmcnt(0)
	v_mfma_f32_16x16x16bf16_1k v[2:5], v[22:23], v[10:11], v[2:5]
	v_mfma_f32_16x16x16bf16_1k v[2:5], v[24:25], v[12:13], v[2:5]
	ds_read_b128 v[6:9], v49 offset:6144
	ds_read_b128 v[10:13], v49 offset:6160
	s_waitcnt lgkmcnt(0)
	s_barrier
	s_waitcnt vmcnt(1)
	v_mfma_f32_16x16x16bf16_1k v[2:5], v[26:27], v[6:7], v[2:5]
	v_mfma_f32_16x16x16bf16_1k v[2:5], v[28:29], v[8:9], v[2:5]
	s_waitcnt vmcnt(0)
	v_mfma_f32_16x16x16bf16_1k v[2:5], v[18:19], v[10:11], v[2:5]
	v_mfma_f32_16x16x16bf16_1k v[2:5], v[20:21], v[12:13], v[2:5]
	s_nop 7
	s_nop 2
	v_bfe_u32 v6, v3, 16, 1
	v_bfe_u32 v7, v2, 16, 1
	;; [unrolled: 1-line block ×4, first 2 shown]
	v_add3_u32 v2, v2, v7, s10
	v_add3_u32 v3, v3, v6, s10
	;; [unrolled: 1-line block ×4, first 2 shown]
	v_perm_b32 v2, v3, v2, s11
	v_perm_b32 v3, v5, v4, s11
	ds_write_b64 v48, v[2:3]
	s_waitcnt lgkmcnt(0)
	s_barrier
	s_and_saveexec_b64 s[10:11], s[0:1]
	s_cbranch_execz .LBB258_22
; %bb.20:
	s_load_dwordx2 s[4:5], s[4:5], 0x68
	s_lshl_b32 s0, s8, 6
	s_mul_i32 s1, s9, s6
	s_mul_hi_u32 s7, s1, s0
	s_mul_i32 s6, s1, s0
	s_lshl_b64 s[6:7], s[6:7], 1
	s_waitcnt lgkmcnt(0)
	s_add_u32 s1, s4, s6
	v_lshlrev_b32_e32 v2, 10, v0
	v_lshlrev_b32_e32 v0, 4, v0
	s_addc_u32 s4, s5, s7
	s_lshl_b32 s2, s28, 6
	v_and_b32_e32 v2, 0x1800, v2
	v_lshlrev_b32_e32 v3, 5, v1
	v_and_b32_e32 v0, 16, v0
	s_lshl_b64 s[2:3], s[2:3], 1
	v_or3_b32 v0, v2, v3, v0
	s_add_u32 s1, s1, s2
	s_addc_u32 s2, s4, s3
	ds_read_b128 v[4:7], v0 offset:128
	ds_read_b128 v[8:11], v0
	v_add_u32_e32 v14, s29, v1
	v_mov_b32_e32 v3, s2
	v_add_co_u32_e32 v2, vcc, s1, v42
	v_mad_u64_u32 v[12:13], s[2:3], v14, s0, 0
	v_addc_co_u32_e32 v3, vcc, v3, v43, vcc
	v_lshlrev_b64 v[12:13], 1, v[12:13]
	v_add_co_u32_e32 v12, vcc, v2, v12
	v_addc_co_u32_e32 v13, vcc, v3, v13, vcc
	s_waitcnt lgkmcnt(0)
	global_store_dwordx4 v[12:13], v[8:11], off
	s_nop 0
	v_add_u32_e32 v8, 4, v14
	v_mad_u64_u32 v[8:9], s[2:3], v8, s0, 0
	v_lshlrev_b64 v[8:9], 1, v[8:9]
	v_add_co_u32_e32 v8, vcc, v2, v8
	v_addc_co_u32_e32 v9, vcc, v3, v9, vcc
	v_cmp_ne_u32_e32 vcc, 3, v1
	global_store_dwordx4 v[8:9], v[4:7], off
	s_and_b64 exec, exec, vcc
	s_cbranch_execz .LBB258_22
; %bb.21:
	ds_read_b128 v[4:7], v0 offset:256
	v_add3_u32 v0, s29, v1, 8
	v_mad_u64_u32 v[0:1], s[0:1], v0, s0, 0
	v_lshlrev_b64 v[0:1], 1, v[0:1]
	v_add_co_u32_e32 v0, vcc, v2, v0
	v_addc_co_u32_e32 v1, vcc, v3, v1, vcc
	s_waitcnt lgkmcnt(0)
	global_store_dwordx4 v[0:1], v[4:7], off
.LBB258_22:
	s_endpgm
	.section	.rodata,"a",@progbits
	.p2align	6, 0x0
	.amdhsa_kernel _Z39paged_attention_ll4mi_QKV_mfma16_kernelI14__hip_bfloat16S0_LN4vllm18Fp8KVCacheDataTypeE0ES0_Li32ELi64ELi256ELb1ELi11EL8MFMAType0EEvPKT_PKT0_S9_ifPKiSB_SB_iPKfiiiPfSE_PS4_PT2_iSD_SD_
		.amdhsa_group_segment_fixed_size 8192
		.amdhsa_private_segment_fixed_size 0
		.amdhsa_kernarg_size 400
		.amdhsa_user_sgpr_count 6
		.amdhsa_user_sgpr_private_segment_buffer 1
		.amdhsa_user_sgpr_dispatch_ptr 0
		.amdhsa_user_sgpr_queue_ptr 0
		.amdhsa_user_sgpr_kernarg_segment_ptr 1
		.amdhsa_user_sgpr_dispatch_id 0
		.amdhsa_user_sgpr_flat_scratch_init 0
		.amdhsa_user_sgpr_kernarg_preload_length 0
		.amdhsa_user_sgpr_kernarg_preload_offset 0
		.amdhsa_user_sgpr_private_segment_size 0
		.amdhsa_uses_dynamic_stack 0
		.amdhsa_system_sgpr_private_segment_wavefront_offset 0
		.amdhsa_system_sgpr_workgroup_id_x 1
		.amdhsa_system_sgpr_workgroup_id_y 1
		.amdhsa_system_sgpr_workgroup_id_z 1
		.amdhsa_system_sgpr_workgroup_info 0
		.amdhsa_system_vgpr_workitem_id 0
		.amdhsa_next_free_vgpr 66
		.amdhsa_next_free_sgpr 48
		.amdhsa_accum_offset 68
		.amdhsa_reserve_vcc 1
		.amdhsa_reserve_flat_scratch 0
		.amdhsa_float_round_mode_32 0
		.amdhsa_float_round_mode_16_64 0
		.amdhsa_float_denorm_mode_32 3
		.amdhsa_float_denorm_mode_16_64 3
		.amdhsa_dx10_clamp 1
		.amdhsa_ieee_mode 1
		.amdhsa_fp16_overflow 0
		.amdhsa_tg_split 0
		.amdhsa_exception_fp_ieee_invalid_op 0
		.amdhsa_exception_fp_denorm_src 0
		.amdhsa_exception_fp_ieee_div_zero 0
		.amdhsa_exception_fp_ieee_overflow 0
		.amdhsa_exception_fp_ieee_underflow 0
		.amdhsa_exception_fp_ieee_inexact 0
		.amdhsa_exception_int_div_zero 0
	.end_amdhsa_kernel
	.section	.text._Z39paged_attention_ll4mi_QKV_mfma16_kernelI14__hip_bfloat16S0_LN4vllm18Fp8KVCacheDataTypeE0ES0_Li32ELi64ELi256ELb1ELi11EL8MFMAType0EEvPKT_PKT0_S9_ifPKiSB_SB_iPKfiiiPfSE_PS4_PT2_iSD_SD_,"axG",@progbits,_Z39paged_attention_ll4mi_QKV_mfma16_kernelI14__hip_bfloat16S0_LN4vllm18Fp8KVCacheDataTypeE0ES0_Li32ELi64ELi256ELb1ELi11EL8MFMAType0EEvPKT_PKT0_S9_ifPKiSB_SB_iPKfiiiPfSE_PS4_PT2_iSD_SD_,comdat
.Lfunc_end258:
	.size	_Z39paged_attention_ll4mi_QKV_mfma16_kernelI14__hip_bfloat16S0_LN4vllm18Fp8KVCacheDataTypeE0ES0_Li32ELi64ELi256ELb1ELi11EL8MFMAType0EEvPKT_PKT0_S9_ifPKiSB_SB_iPKfiiiPfSE_PS4_PT2_iSD_SD_, .Lfunc_end258-_Z39paged_attention_ll4mi_QKV_mfma16_kernelI14__hip_bfloat16S0_LN4vllm18Fp8KVCacheDataTypeE0ES0_Li32ELi64ELi256ELb1ELi11EL8MFMAType0EEvPKT_PKT0_S9_ifPKiSB_SB_iPKfiiiPfSE_PS4_PT2_iSD_SD_
                                        ; -- End function
	.section	.AMDGPU.csdata,"",@progbits
; Kernel info:
; codeLenInByte = 4672
; NumSgprs: 52
; NumVgprs: 66
; NumAgprs: 0
; TotalNumVgprs: 66
; ScratchSize: 0
; MemoryBound: 0
; FloatMode: 240
; IeeeMode: 1
; LDSByteSize: 8192 bytes/workgroup (compile time only)
; SGPRBlocks: 6
; VGPRBlocks: 8
; NumSGPRsForWavesPerEU: 52
; NumVGPRsForWavesPerEU: 66
; AccumOffset: 68
; Occupancy: 7
; WaveLimiterHint : 1
; COMPUTE_PGM_RSRC2:SCRATCH_EN: 0
; COMPUTE_PGM_RSRC2:USER_SGPR: 6
; COMPUTE_PGM_RSRC2:TRAP_HANDLER: 0
; COMPUTE_PGM_RSRC2:TGID_X_EN: 1
; COMPUTE_PGM_RSRC2:TGID_Y_EN: 1
; COMPUTE_PGM_RSRC2:TGID_Z_EN: 1
; COMPUTE_PGM_RSRC2:TIDIG_COMP_CNT: 0
; COMPUTE_PGM_RSRC3_GFX90A:ACCUM_OFFSET: 16
; COMPUTE_PGM_RSRC3_GFX90A:TG_SPLIT: 0
	.section	.text._Z39paged_attention_ll4mi_QKV_mfma16_kernelI14__hip_bfloat16S0_LN4vllm18Fp8KVCacheDataTypeE0ES0_Li32ELi64ELi256ELb1ELi12EL8MFMAType0EEvPKT_PKT0_S9_ifPKiSB_SB_iPKfiiiPfSE_PS4_PT2_iSD_SD_,"axG",@progbits,_Z39paged_attention_ll4mi_QKV_mfma16_kernelI14__hip_bfloat16S0_LN4vllm18Fp8KVCacheDataTypeE0ES0_Li32ELi64ELi256ELb1ELi12EL8MFMAType0EEvPKT_PKT0_S9_ifPKiSB_SB_iPKfiiiPfSE_PS4_PT2_iSD_SD_,comdat
	.protected	_Z39paged_attention_ll4mi_QKV_mfma16_kernelI14__hip_bfloat16S0_LN4vllm18Fp8KVCacheDataTypeE0ES0_Li32ELi64ELi256ELb1ELi12EL8MFMAType0EEvPKT_PKT0_S9_ifPKiSB_SB_iPKfiiiPfSE_PS4_PT2_iSD_SD_ ; -- Begin function _Z39paged_attention_ll4mi_QKV_mfma16_kernelI14__hip_bfloat16S0_LN4vllm18Fp8KVCacheDataTypeE0ES0_Li32ELi64ELi256ELb1ELi12EL8MFMAType0EEvPKT_PKT0_S9_ifPKiSB_SB_iPKfiiiPfSE_PS4_PT2_iSD_SD_
	.globl	_Z39paged_attention_ll4mi_QKV_mfma16_kernelI14__hip_bfloat16S0_LN4vllm18Fp8KVCacheDataTypeE0ES0_Li32ELi64ELi256ELb1ELi12EL8MFMAType0EEvPKT_PKT0_S9_ifPKiSB_SB_iPKfiiiPfSE_PS4_PT2_iSD_SD_
	.p2align	8
	.type	_Z39paged_attention_ll4mi_QKV_mfma16_kernelI14__hip_bfloat16S0_LN4vllm18Fp8KVCacheDataTypeE0ES0_Li32ELi64ELi256ELb1ELi12EL8MFMAType0EEvPKT_PKT0_S9_ifPKiSB_SB_iPKfiiiPfSE_PS4_PT2_iSD_SD_,@function
_Z39paged_attention_ll4mi_QKV_mfma16_kernelI14__hip_bfloat16S0_LN4vllm18Fp8KVCacheDataTypeE0ES0_Li32ELi64ELi256ELb1ELi12EL8MFMAType0EEvPKT_PKT0_S9_ifPKiSB_SB_iPKfiiiPfSE_PS4_PT2_iSD_SD_: ; @_Z39paged_attention_ll4mi_QKV_mfma16_kernelI14__hip_bfloat16S0_LN4vllm18Fp8KVCacheDataTypeE0ES0_Li32ELi64ELi256ELb1ELi12EL8MFMAType0EEvPKT_PKT0_S9_ifPKiSB_SB_iPKfiiiPfSE_PS4_PT2_iSD_SD_
; %bb.0:
	s_load_dwordx2 s[0:1], s[4:5], 0x30
	s_mov_b32 s28, s7
	s_mov_b64 s[10:11], 0
	s_waitcnt lgkmcnt(0)
	s_cmp_lg_u64 s[0:1], 0
	s_cselect_b64 s[2:3], -1, 0
	s_and_b64 vcc, exec, s[2:3]
	s_cbranch_vccz .LBB259_7
; %bb.1:
	s_add_i32 s12, s6, 1
	s_mov_b32 s13, 0
	s_lshl_b64 s[14:15], s[12:13], 2
	s_add_u32 s14, s0, s14
	s_mov_b32 s7, s13
	s_addc_u32 s15, s1, s15
	s_lshl_b64 s[12:13], s[6:7], 2
	s_add_u32 s12, s0, s12
	s_addc_u32 s13, s1, s13
	s_load_dword s9, s[14:15], 0x0
	s_load_dword s16, s[12:13], 0x0
	s_waitcnt lgkmcnt(0)
	s_sub_i32 s9, s9, s16
	s_cmp_eq_u32 s9, 1
	s_cselect_b64 s[12:13], -1, 0
	s_andn2_b64 vcc, exec, s[10:11]
	s_cbranch_vccnz .LBB259_3
.LBB259_2:
	s_mov_b32 s7, 0
	s_mov_b64 s[12:13], -1
.LBB259_3:
	s_andn2_b64 vcc, exec, s[12:13]
	s_cbranch_vccnz .LBB259_21
; %bb.4:
	s_load_dwordx2 s[12:13], s[4:5], 0x28
	s_lshl_b64 s[10:11], s[6:7], 2
	s_waitcnt lgkmcnt(0)
	s_add_u32 s12, s12, s10
	s_addc_u32 s13, s13, s11
	s_load_dword s33, s[12:13], 0x0
	s_lshl_b32 s14, s28, 8
	s_waitcnt lgkmcnt(0)
	s_cmp_ge_i32 s14, s33
	s_cbranch_scc1 .LBB259_21
; %bb.5:
	s_add_i32 s15, s33, 31
	s_load_dwordx2 s[12:13], s[4:5], 0x20
	s_load_dword s9, s[4:5], 0x38
	s_ashr_i32 s16, s15, 31
	v_and_b32_e32 v1, 0xcf, v0
	s_lshr_b32 s16, s16, 27
	v_add_u32_e32 v1, s14, v1
	s_add_i32 s15, s15, s16
	v_ashrrev_i32_e32 v2, 31, v1
	s_ashr_i32 s17, s15, 5
	v_lshrrev_b32_e32 v6, 27, v2
	s_add_i32 s17, s17, -1
	v_add_u32_e32 v2, v1, v6
	s_waitcnt lgkmcnt(0)
	s_mul_i32 s18, s6, s9
	s_mov_b32 s19, 0
	v_ashrrev_i32_e32 v2, 5, v2
	v_mov_b32_e32 v7, s17
	v_cmp_gt_i32_e32 vcc, s33, v1
	s_lshl_b64 s[18:19], s[18:19], 2
	v_cndmask_b32_e32 v2, v7, v2, vcc
	s_add_u32 s15, s12, s18
	v_ashrrev_i32_e32 v3, 31, v2
	s_addc_u32 s16, s13, s19
	v_lshlrev_b64 v[2:3], 2, v[2:3]
	v_mov_b32_e32 v4, s16
	v_add_co_u32_e32 v2, vcc, s15, v2
	v_addc_co_u32_e32 v3, vcc, v4, v3, vcc
	v_or_b32_e32 v4, 16, v1
	v_add_u32_e32 v5, v4, v6
	v_ashrrev_i32_e32 v5, 5, v5
	v_cmp_gt_i32_e32 vcc, s33, v4
	v_cndmask_b32_e32 v4, v7, v5, vcc
	v_ashrrev_i32_e32 v5, 31, v4
	v_lshlrev_b64 v[4:5], 2, v[4:5]
	v_mov_b32_e32 v9, s16
	v_add_co_u32_e32 v8, vcc, s15, v4
	v_or_b32_e32 v4, 32, v1
	v_addc_co_u32_e32 v9, vcc, v9, v5, vcc
	v_add_u32_e32 v5, v4, v6
	v_ashrrev_i32_e32 v5, 5, v5
	v_cmp_gt_i32_e32 vcc, s33, v4
	v_cndmask_b32_e32 v4, v7, v5, vcc
	v_ashrrev_i32_e32 v5, 31, v4
	v_lshlrev_b64 v[4:5], 2, v[4:5]
	v_mov_b32_e32 v11, s16
	v_add_co_u32_e32 v10, vcc, s15, v4
	v_or_b32_e32 v1, 48, v1
	v_addc_co_u32_e32 v11, vcc, v11, v5, vcc
	v_add_u32_e32 v4, v1, v6
	v_ashrrev_i32_e32 v4, 5, v4
	v_cmp_gt_i32_e32 vcc, s33, v1
	v_cndmask_b32_e32 v4, v7, v4, vcc
	v_ashrrev_i32_e32 v5, 31, v4
	v_lshlrev_b64 v[4:5], 2, v[4:5]
	v_mov_b32_e32 v1, s16
	v_add_co_u32_e32 v12, vcc, s15, v4
	v_addc_co_u32_e32 v13, vcc, v1, v5, vcc
	global_load_dword v7, v[2:3], off
	global_load_dword v6, v[8:9], off
	;; [unrolled: 1-line block ×4, first 2 shown]
	s_andn2_b64 vcc, exec, s[2:3]
	s_cbranch_vccnz .LBB259_8
; %bb.6:
	s_add_u32 s0, s0, s10
	s_addc_u32 s1, s1, s11
	s_load_dword s9, s[0:1], 0x0
	s_branch .LBB259_9
.LBB259_7:
	s_mov_b64 s[12:13], 0
	s_branch .LBB259_2
.LBB259_8:
	s_mov_b32 s9, s6
.LBB259_9:
	s_load_dwordx2 s[10:11], s[4:5], 0x8
	s_load_dwordx4 s[44:47], s[4:5], 0x48
	v_and_b32_e32 v52, 15, v0
	s_movk_i32 s0, 0xbf
	v_cmp_lt_u32_e32 vcc, s0, v0
	v_cmp_lt_u32_e64 s[2:3], 7, v52
	v_lshlrev_b32_e32 v2, 3, v52
	v_cmp_gt_u32_e64 s[0:1], 8, v52
	s_or_b64 s[2:3], vcc, s[2:3]
	s_and_saveexec_b64 s[12:13], s[2:3]
	s_xor_b64 s[2:3], exec, s[12:13]
; %bb.10:
	v_mov_b32_e32 v3, 0
; %bb.11:
	s_or_saveexec_b64 s[12:13], s[2:3]
	s_load_dwordx2 s[2:3], s[4:5], 0x10
	v_lshrrev_b32_e32 v53, 6, v0
	v_bfe_u32 v1, v0, 4, 2
	s_mul_i32 s29, s8, 12
	s_xor_b64 exec, exec, s[12:13]
	s_cbranch_execz .LBB259_13
; %bb.12:
	s_load_dwordx2 s[18:19], s[4:5], 0x0
	s_waitcnt lgkmcnt(0)
	s_ashr_i32 s20, s44, 31
	s_mul_hi_u32 s21, s9, s44
	s_mul_i32 s20, s9, s20
	v_lshl_or_b32 v12, v53, 2, v1
	s_add_i32 s21, s21, s20
	s_mul_i32 s20, s9, s44
	s_lshl_b64 s[20:21], s[20:21], 1
	v_add_lshl_u32 v8, v12, s29, 6
	s_add_u32 s9, s18, s20
	v_ashrrev_i32_e32 v9, 31, v8
	s_addc_u32 s18, s19, s21
	v_lshlrev_b64 v[8:9], 1, v[8:9]
	v_mov_b32_e32 v3, s18
	v_add_co_u32_e32 v8, vcc, s9, v8
	v_addc_co_u32_e32 v3, vcc, v3, v9, vcc
	v_lshlrev_b32_e32 v9, 1, v2
	v_add_co_u32_e32 v8, vcc, v8, v9
	v_addc_co_u32_e32 v9, vcc, 0, v3, vcc
	global_load_dwordx4 v[8:11], v[8:9], off
	v_and_b32_e32 v13, 3, v0
	v_lshlrev_b32_e32 v14, 9, v52
	v_lshlrev_b32_e32 v12, 5, v12
	;; [unrolled: 1-line block ×3, first 2 shown]
	v_and_b32_e32 v14, 0x1800, v14
	v_mov_b32_e32 v3, 0
	v_or3_b32 v12, v14, v13, v12
	s_waitcnt vmcnt(0)
	ds_write_b128 v12, v[8:11]
.LBB259_13:
	s_or_b64 exec, exec, s[12:13]
	s_waitcnt lgkmcnt(0)
	s_mul_i32 s8, s8, s46
	s_mov_b32 s9, 0
	s_lshl_b64 s[8:9], s[8:9], 1
	s_add_u32 s12, s10, s8
	s_addc_u32 s13, s11, s9
	s_waitcnt vmcnt(3)
	v_mad_i64_i32 v[8:9], s[10:11], v7, s45, 0
	v_lshlrev_b64 v[8:9], 1, v[8:9]
	v_mov_b32_e32 v7, s13
	v_add_co_u32_e32 v8, vcc, s12, v8
	v_addc_co_u32_e32 v7, vcc, v7, v9, vcc
	v_lshlrev_b64 v[42:43], 1, v[2:3]
	v_add_co_u32_e32 v2, vcc, v8, v42
	v_lshlrev_b32_e32 v24, 9, v1
	v_addc_co_u32_e32 v3, vcc, v7, v43, vcc
	v_add_co_u32_e32 v2, vcc, v2, v24
	v_addc_co_u32_e32 v3, vcc, 0, v3, vcc
	s_barrier
	global_load_dwordx4 v[38:41], v[2:3], off
	global_load_dwordx4 v[34:37], v[2:3], off offset:2048
	s_waitcnt vmcnt(4)
	v_mad_i64_i32 v[2:3], s[10:11], v6, s45, 0
	v_lshlrev_b64 v[2:3], 1, v[2:3]
	v_mov_b32_e32 v6, s13
	v_add_co_u32_e32 v2, vcc, s12, v2
	v_addc_co_u32_e32 v3, vcc, v6, v3, vcc
	v_mov_b32_e32 v6, 0x100
	v_lshl_or_b32 v18, v52, 4, v6
	v_add_co_u32_e32 v2, vcc, v2, v18
	v_addc_co_u32_e32 v3, vcc, 0, v3, vcc
	v_add_co_u32_e32 v2, vcc, v2, v24
	v_addc_co_u32_e32 v3, vcc, 0, v3, vcc
	global_load_dwordx4 v[30:33], v[2:3], off
	global_load_dwordx4 v[14:17], v[2:3], off offset:2048
	s_waitcnt vmcnt(5)
	v_mad_i64_i32 v[2:3], s[10:11], v5, s45, 0
	v_lshlrev_b64 v[2:3], 1, v[2:3]
	v_mov_b32_e32 v5, s13
	v_add_co_u32_e32 v2, vcc, s12, v2
	v_addc_co_u32_e32 v3, vcc, v5, v3, vcc
	v_add_co_u32_e32 v2, vcc, v2, v42
	v_addc_co_u32_e32 v3, vcc, v3, v43, vcc
	;; [unrolled: 2-line block ×3, first 2 shown]
	global_load_dwordx4 v[10:13], v[2:3], off
	global_load_dwordx4 v[6:9], v[2:3], off offset:2048
	s_waitcnt vmcnt(6)
	v_mad_i64_i32 v[2:3], s[10:11], v4, s45, 0
	v_lshlrev_b64 v[2:3], 1, v[2:3]
	v_mov_b32_e32 v4, s13
	v_add_co_u32_e32 v2, vcc, s12, v2
	v_addc_co_u32_e32 v3, vcc, v4, v3, vcc
	v_add_co_u32_e32 v2, vcc, v2, v18
	v_addc_co_u32_e32 v3, vcc, 0, v3, vcc
	;; [unrolled: 2-line block ×3, first 2 shown]
	global_load_dwordx4 v[2:5], v[22:23], off
	global_load_dwordx4 v[18:21], v[22:23], off offset:2048
	v_add_u32_e32 v22, -12, v52
	v_cmp_gt_u32_e32 vcc, 12, v52
	v_cndmask_b32_e32 v22, v22, v52, vcc
	v_lshl_add_u32 v22, v22, 5, v24
	ds_read_b128 v[26:29], v22
	ds_read_b128 v[22:25], v22 offset:2048
	v_and_b32_e32 v54, 63, v0
	v_mov_b32_e32 v50, 0
	s_and_saveexec_b64 s[10:11], vcc
	s_cbranch_execz .LBB259_15
; %bb.14:
	s_load_dwordx2 s[12:13], s[4:5], 0x40
	v_add_u32_e32 v44, s29, v52
	v_ashrrev_i32_e32 v45, 31, v44
	v_lshlrev_b64 v[44:45], 2, v[44:45]
	s_waitcnt lgkmcnt(0)
	v_mov_b32_e32 v46, s13
	v_add_co_u32_e32 v44, vcc, s12, v44
	v_addc_co_u32_e32 v45, vcc, v46, v45, vcc
	global_load_dword v50, v[44:45], off
.LBB259_15:
	s_or_b64 exec, exec, s[10:11]
	s_waitcnt vmcnt(7) lgkmcnt(1)
	v_mfma_f32_16x16x16bf16_1k v[44:47], v[38:39], v[26:27], 0
	s_ashr_i32 s10, s14, 31
	s_lshr_b32 s11, s10, 27
	v_mov_b32_e32 v49, s16
	s_add_u32 s2, s2, s8
	s_addc_u32 s3, s3, s9
	s_load_dword s10, s[4:5], 0x1c
	s_mov_b32 s42, 0xff7fffff
	v_mfma_f32_16x16x16bf16_1k v[38:41], v[40:41], v[28:29], v[44:47]
	s_waitcnt vmcnt(6) lgkmcnt(0)
	v_mfma_f32_16x16x16bf16_1k v[38:41], v[34:35], v[22:23], v[38:41]
	s_nop 4
	v_and_or_b32 v46, v0, 48, s14
	v_add_u32_e32 v34, s11, v46
	v_ashrrev_i32_e32 v34, 5, v34
	v_mov_b32_e32 v47, s17
	v_cmp_gt_i32_e32 vcc, s33, v46
	v_cndmask_b32_e32 v34, v47, v34, vcc
	v_ashrrev_i32_e32 v35, 31, v34
	v_lshlrev_b64 v[44:45], 2, v[34:35]
	v_mfma_f32_16x16x16bf16_1k v[34:37], v[36:37], v[24:25], v[38:41]
	s_nop 6
	v_mov_b32_e32 v39, s16
	v_add_co_u32_e32 v38, vcc, s15, v44
	v_addc_co_u32_e32 v39, vcc, v39, v45, vcc
	global_load_dword v48, v[38:39], off
	s_waitcnt vmcnt(6)
	v_mfma_f32_16x16x16bf16_1k v[38:41], v[30:31], v[26:27], 0
	v_or_b32_e32 v44, 64, v46
	v_add_u32_e32 v30, s11, v44
	v_ashrrev_i32_e32 v30, 5, v30
	v_cmp_gt_i32_e32 vcc, s33, v44
	v_cndmask_b32_e32 v30, v47, v30, vcc
	v_ashrrev_i32_e32 v31, 31, v30
	v_lshlrev_b64 v[44:45], 2, v[30:31]
	v_mfma_f32_16x16x16bf16_1k v[30:33], v[32:33], v[28:29], v[38:41]
	s_nop 6
	v_add_co_u32_e32 v38, vcc, s15, v44
	v_addc_co_u32_e32 v39, vcc, v49, v45, vcc
	global_load_dword v40, v[38:39], off
	v_or_b32_e32 v38, 0x80, v46
	v_add_u32_e32 v39, s11, v38
	v_ashrrev_i32_e32 v39, 5, v39
	v_cmp_gt_i32_e32 vcc, s33, v38
	v_cndmask_b32_e32 v38, v47, v39, vcc
	v_ashrrev_i32_e32 v39, 31, v38
	s_waitcnt vmcnt(6)
	v_mfma_f32_16x16x16bf16_1k v[30:33], v[14:15], v[22:23], v[30:33]
	v_lshlrev_b64 v[14:15], 2, v[38:39]
	v_mov_b32_e32 v38, s16
	v_add_co_u32_e32 v14, vcc, s15, v14
	v_addc_co_u32_e32 v15, vcc, v38, v15, vcc
	global_load_dword v41, v[14:15], off
	v_mfma_f32_16x16x16bf16_1k v[30:33], v[16:17], v[24:25], v[30:33]
	v_or_b32_e32 v38, 0xc0, v46
	v_cmp_gt_i32_e32 vcc, s33, v38
	v_mov_b32_e32 v44, s16
	s_waitcnt vmcnt(6)
	v_mfma_f32_16x16x16bf16_1k v[14:17], v[10:11], v[26:27], 0
	v_add_u32_e32 v10, s11, v38
	v_ashrrev_i32_e32 v10, 5, v10
	v_cndmask_b32_e32 v10, v47, v10, vcc
	v_ashrrev_i32_e32 v11, 31, v10
	v_lshlrev_b64 v[38:39], 2, v[10:11]
	s_nop 0
	v_pk_mul_f32 v[46:47], s[10:11], v[30:31] op_sel_hi:[0,1]
	v_mfma_f32_16x16x16bf16_1k v[10:13], v[12:13], v[28:29], v[14:17]
	s_nop 6
	v_add_co_u32_e32 v14, vcc, s15, v38
	s_waitcnt vmcnt(5)
	v_mfma_f32_16x16x16bf16_1k v[10:13], v[6:7], v[22:23], v[10:13]
	v_addc_co_u32_e32 v15, vcc, v44, v39, vcc
	global_load_dword v51, v[14:15], off
	v_and_b32_e32 v14, 16, v0
	v_lshlrev_b32_e32 v14, 1, v14
	v_mov_b32_e32 v6, s3
	v_add_co_u32_e32 v7, vcc, s2, v14
	v_lshlrev_b32_e32 v14, 6, v52
	v_addc_co_u32_e32 v6, vcc, 0, v6, vcc
	v_lshl_or_b32 v14, v53, 10, v14
	v_add_co_u32_e32 v55, vcc, v7, v14
	v_addc_co_u32_e32 v60, vcc, 0, v6, vcc
	v_mfma_f32_16x16x16bf16_1k v[56:59], v[8:9], v[24:25], v[10:13]
	s_waitcnt vmcnt(3)
	v_mad_i64_i32 v[6:7], s[2:3], v48, s45, 0
	v_pk_mul_f32 v[48:49], s[10:11], v[36:37] op_sel_hi:[0,1]
	v_pk_mul_f32 v[44:45], s[10:11], v[32:33] op_sel_hi:[0,1]
	s_waitcnt vmcnt(1)
	v_mad_i64_i32 v[38:39], s[2:3], v41, s45, 0
	s_nop 0
	v_lshlrev_b64 v[10:11], 1, v[6:7]
	v_mfma_f32_16x16x16bf16_1k v[6:9], v[2:3], v[26:27], 0
	v_add_co_u32_e32 v2, vcc, v55, v10
	v_addc_co_u32_e32 v3, vcc, v60, v11, vcc
	global_load_dwordx4 v[14:17], v[2:3], off
	global_load_dwordx4 v[10:13], v[2:3], off offset:16
	v_mad_i64_i32 v[2:3], s[2:3], v40, s45, 0
	v_mfma_f32_16x16x16bf16_1k v[26:29], v[4:5], v[28:29], v[6:9]
	v_lshlrev_b64 v[2:3], 1, v[2:3]
	v_add_co_u32_e32 v2, vcc, v55, v2
	v_addc_co_u32_e32 v3, vcc, v60, v3, vcc
	v_lshlrev_b64 v[38:39], 1, v[38:39]
	v_pk_mul_f32 v[40:41], s[10:11], v[56:57] op_sel_hi:[0,1]
	v_mfma_f32_16x16x16bf16_1k v[26:29], v[18:19], v[22:23], v[26:29]
	v_pk_mul_f32 v[18:19], s[10:11], v[34:35] op_sel_hi:[0,1]
	v_add_co_u32_e32 v22, vcc, v55, v38
	v_addc_co_u32_e32 v23, vcc, v60, v39, vcc
	v_pk_mul_f32 v[38:39], s[10:11], v[58:59] op_sel_hi:[0,1]
	global_load_dwordx4 v[6:9], v[2:3], off
	s_nop 0
	global_load_dwordx4 v[2:5], v[2:3], off offset:16
	v_mfma_f32_16x16x16bf16_1k v[24:27], v[20:21], v[24:25], v[26:29]
	v_and_b32_e32 v20, 0xc0, v0
	v_add_u32_e32 v20, s14, v20
	v_lshl_or_b32 v20, v1, 2, v20
	v_or_b32_e32 v21, 1, v20
	v_cmp_gt_i32_e64 s[30:31], s33, v20
	v_cmp_gt_i32_e64 s[34:35], s33, v21
	s_nop 4
	v_pk_mul_f32 v[36:37], s[10:11], v[24:25] op_sel_hi:[0,1]
	v_subrev_u32_e32 v24, s33, v21
	v_pk_mul_f32 v[34:35], s[10:11], v[26:27] op_sel_hi:[0,1]
	v_add_u32_e32 v26, 1, v24
	v_add_u32_e32 v27, 2, v24
	v_cvt_f32_i32_e32 v25, v24
	v_cvt_f32_i32_e32 v26, v26
	v_cvt_f32_i32_e32 v27, v27
	v_add_u32_e32 v28, 3, v24
	v_fma_f32 v18, v50, v25, v18
	v_fmac_f32_e32 v19, v50, v26
	v_fma_f32 v48, v50, v27, v48
	v_add_u32_e32 v25, 16, v24
	v_add_u32_e32 v26, 17, v24
	;; [unrolled: 1-line block ×3, first 2 shown]
	v_cvt_f32_i32_e32 v28, v28
	v_cvt_f32_i32_e32 v25, v25
	;; [unrolled: 1-line block ×4, first 2 shown]
	v_fmac_f32_e32 v49, v50, v28
	v_add_u32_e32 v28, 19, v24
	v_fma_f32 v46, v50, v25, v46
	v_fmac_f32_e32 v47, v50, v26
	v_fma_f32 v44, v50, v27, v44
	v_add_u32_e32 v25, 32, v24
	v_add_u32_e32 v26, 33, v24
	;; [unrolled: 1-line block ×3, first 2 shown]
	v_cvt_f32_i32_e32 v28, v28
	v_cvt_f32_i32_e32 v25, v25
	;; [unrolled: 1-line block ×4, first 2 shown]
	v_fmac_f32_e32 v45, v50, v28
	v_add_u32_e32 v28, 35, v24
	v_fma_f32 v40, v50, v25, v40
	v_fmac_f32_e32 v41, v50, v26
	v_fma_f32 v38, v50, v27, v38
	v_add_u32_e32 v25, 48, v24
	v_add_u32_e32 v26, 49, v24
	;; [unrolled: 1-line block ×4, first 2 shown]
	v_cvt_f32_i32_e32 v24, v24
	v_cvt_f32_i32_e32 v25, v25
	;; [unrolled: 1-line block ×4, first 2 shown]
	v_fmac_f32_e32 v35, v50, v24
	v_mov_b32_e32 v24, 0xff7fffff
	v_fma_f32 v36, v50, v25, v36
	v_cndmask_b32_e64 v25, v24, v18, s[30:31]
	v_cndmask_b32_e64 v21, v24, v19, s[34:35]
	v_fmac_f32_e32 v37, v50, v26
	v_max3_f32 v21, v25, s42, v21
	v_or_b32_e32 v25, 2, v20
	v_or_b32_e32 v26, 3, v20
	v_cmp_gt_i32_e64 s[36:37], s33, v25
	v_cmp_gt_i32_e64 s[38:39], s33, v26
	v_cndmask_b32_e64 v25, v24, v48, s[36:37]
	v_cndmask_b32_e64 v26, v24, v49, s[38:39]
	v_max3_f32 v21, v21, v25, v26
	v_or_b32_e32 v25, 16, v20
	v_or_b32_e32 v26, 17, v20
	v_cmp_gt_i32_e64 s[24:25], s33, v25
	v_cmp_gt_i32_e64 s[26:27], s33, v26
	v_cndmask_b32_e64 v25, v24, v46, s[24:25]
	v_cndmask_b32_e64 v26, v24, v47, s[26:27]
	;; [unrolled: 7-line block ×4, first 2 shown]
	v_max3_f32 v21, v21, v25, v26
	v_or_b32_e32 v25, 34, v20
	v_or_b32_e32 v26, 35, v20
	v_fmac_f32_e32 v39, v50, v28
	v_cmp_gt_i32_e64 s[12:13], s33, v25
	v_cmp_gt_i32_e64 s[14:15], s33, v26
	v_cndmask_b32_e64 v25, v24, v38, s[12:13]
	v_cndmask_b32_e64 v26, v24, v39, s[14:15]
	v_cvt_f32_i32_e32 v27, v27
	v_max3_f32 v21, v21, v25, v26
	v_or_b32_e32 v25, 48, v20
	v_or_b32_e32 v26, 49, v20
	v_cmp_gt_i32_e64 s[8:9], s33, v25
	v_cmp_gt_i32_e64 s[10:11], s33, v26
	v_cndmask_b32_e64 v25, v24, v36, s[8:9]
	v_cndmask_b32_e64 v26, v24, v37, s[10:11]
	v_max3_f32 v21, v21, v25, v26
	v_or_b32_e32 v25, 50, v20
	v_or_b32_e32 v20, 51, v20
	v_fma_f32 v34, v50, v27, v34
	v_cmp_gt_i32_e32 vcc, s33, v25
	v_cmp_gt_i32_e64 s[2:3], s33, v20
	v_cndmask_b32_e32 v25, v24, v34, vcc
	v_cndmask_b32_e64 v20, v24, v35, s[2:3]
	v_max3_f32 v26, v21, v25, v20
	v_mbcnt_lo_u32_b32 v20, -1, 0
	v_mbcnt_hi_u32_b32 v27, -1, v20
	v_and_b32_e32 v20, 64, v27
	v_add_u32_e32 v28, 64, v20
	v_xor_b32_e32 v20, 32, v27
	v_cmp_lt_i32_e64 s[40:41], v20, v28
	v_cndmask_b32_e64 v20, v27, v20, s[40:41]
	v_lshlrev_b32_e32 v56, 2, v20
	ds_bpermute_b32 v29, v56, v26
	s_waitcnt vmcnt(4)
	v_mad_i64_i32 v[20:21], s[40:41], v51, s45, 0
	v_lshlrev_b64 v[20:21], 1, v[20:21]
	global_load_dwordx4 v[30:33], v[22:23], off
	s_nop 0
	global_load_dwordx4 v[22:25], v[22:23], off offset:16
	s_waitcnt lgkmcnt(0)
	v_max_f32_e32 v29, v29, v29
	v_max_f32_e32 v26, v26, v29
	v_xor_b32_e32 v29, 16, v27
	v_cmp_lt_i32_e64 s[40:41], v29, v28
	v_cndmask_b32_e64 v27, v27, v29, s[40:41]
	v_lshlrev_b32_e32 v58, 2, v27
	ds_bpermute_b32 v27, v58, v26
	v_add_co_u32_e64 v20, s[40:41], v55, v20
	v_addc_co_u32_e64 v21, s[40:41], v60, v21, s[40:41]
	s_waitcnt lgkmcnt(0)
	v_max_f32_e32 v27, v27, v27
	v_max_f32_e32 v55, v26, v27
	v_sub_f32_e32 v18, v18, v55
	v_mul_f32_e32 v18, 0x3fb8aa3b, v18
	v_exp_f32_e32 v50, v18
	v_sub_f32_e32 v18, v19, v55
	v_mul_f32_e32 v18, 0x3fb8aa3b, v18
	v_exp_f32_e32 v51, v18
	global_load_dwordx4 v[26:29], v[20:21], off
	s_nop 0
	global_load_dwordx4 v[18:21], v[20:21], off offset:16
	v_sub_f32_e32 v48, v48, v55
	v_mul_f32_e32 v48, 0x3fb8aa3b, v48
	v_sub_f32_e32 v49, v49, v55
	v_exp_f32_e32 v48, v48
	v_mul_f32_e32 v49, 0x3fb8aa3b, v49
	v_sub_f32_e32 v46, v46, v55
	v_exp_f32_e32 v49, v49
	v_mul_f32_e32 v46, 0x3fb8aa3b, v46
	v_sub_f32_e32 v47, v47, v55
	v_cndmask_b32_e64 v50, 0, v50, s[30:31]
	v_exp_f32_e32 v46, v46
	v_mul_f32_e32 v47, 0x3fb8aa3b, v47
	v_sub_f32_e32 v44, v44, v55
	v_add_f32_e32 v57, 0, v50
	v_cndmask_b32_e64 v51, 0, v51, s[34:35]
	v_exp_f32_e32 v47, v47
	v_mul_f32_e32 v44, 0x3fb8aa3b, v44
	v_sub_f32_e32 v45, v45, v55
	v_add_f32_e32 v57, v57, v51
	;; [unrolled: 5-line block ×10, first 2 shown]
	v_cndmask_b32_e64 v38, 0, v38, s[12:13]
	v_exp_f32_e32 v34, v34
	v_mul_f32_e32 v35, 0x3fb8aa3b, v35
	v_add_f32_e32 v57, v57, v38
	v_cndmask_b32_e64 v39, 0, v39, s[14:15]
	v_exp_f32_e32 v35, v35
	v_add_f32_e32 v57, v57, v39
	v_cndmask_b32_e64 v36, 0, v36, s[8:9]
	v_add_f32_e32 v57, v57, v36
	v_cndmask_b32_e64 v37, 0, v37, s[10:11]
	v_add_f32_e32 v57, v57, v37
	v_cndmask_b32_e32 v34, 0, v34, vcc
	v_add_f32_e32 v57, v57, v34
	v_cndmask_b32_e64 v35, 0, v35, s[2:3]
	v_add_f32_e32 v57, v57, v35
	ds_bpermute_b32 v56, v56, v57
	s_load_dword s9, s[4:5], 0x98
	v_cmp_gt_u32_e32 vcc, 16, v54
	s_waitcnt lgkmcnt(0)
	s_barrier
	v_add_f32_e32 v57, v57, v56
	ds_bpermute_b32 v58, v58, v57
	v_lshlrev_b32_e32 v56, 2, v52
	s_waitcnt lgkmcnt(0)
	s_and_saveexec_b64 s[2:3], vcc
	s_cbranch_execz .LBB259_17
; %bb.16:
	v_add_f32_e32 v54, v57, v58
	v_lshl_or_b32 v57, v53, 6, v56
	ds_write2st64_b32 v57, v55, v54 offset1:1
.LBB259_17:
	s_or_b64 exec, exec, s[2:3]
	s_load_dword s8, s[4:5], 0x94
	s_waitcnt lgkmcnt(0)
	s_barrier
	ds_read2_b32 v[58:59], v56 offset1:16
	ds_read2_b32 v[60:61], v56 offset0:32 offset1:48
	ds_read2_b32 v[62:63], v56 offset0:64 offset1:80
	;; [unrolled: 1-line block ×3, first 2 shown]
	s_movk_i32 s10, 0x7fff
	s_waitcnt lgkmcnt(3)
	v_max3_f32 v54, v58, s42, v59
	s_waitcnt lgkmcnt(2)
	v_max3_f32 v54, v54, v60, v61
	v_sub_f32_e32 v55, v58, v54
	v_mul_f32_e32 v55, 0x3fb8aa3b, v55
	v_exp_f32_e32 v58, v55
	v_sub_f32_e32 v55, v59, v54
	v_mul_f32_e32 v55, 0x3fb8aa3b, v55
	v_exp_f32_e32 v59, v55
	;; [unrolled: 3-line block ×4, first 2 shown]
	s_waitcnt lgkmcnt(1)
	v_fma_f32 v55, v58, v62, 0
	v_fmac_f32_e32 v55, v59, v63
	s_waitcnt lgkmcnt(0)
	v_fmac_f32_e32 v55, v60, v56
	v_fmac_f32_e32 v55, v61, v57
	v_add_f32_e32 v56, 0x358637bd, v55
	v_div_scale_f32 v57, s[2:3], v56, v56, 1.0
	v_rcp_f32_e32 v62, v57
	s_mov_b32 s11, 0x7060302
	s_mul_i32 s9, s9, 12
	v_fma_f32 v63, -v57, v62, 1.0
	v_fmac_f32_e32 v62, v63, v62
	v_div_scale_f32 v63, vcc, 1.0, v56, 1.0
	v_mul_f32_e32 v64, v63, v62
	v_fma_f32 v65, -v57, v64, v63
	v_fmac_f32_e32 v64, v65, v62
	v_fma_f32 v57, -v57, v64, v63
	v_div_fmas_f32 v57, v57, v62, v64
	v_cmp_eq_u32_e32 vcc, 1, v53
	v_div_fixup_f32 v56, v57, v56, 1.0
	v_cndmask_b32_e32 v57, v58, v59, vcc
	v_cmp_eq_u32_e32 vcc, 2, v53
	v_cndmask_b32_e32 v57, v57, v60, vcc
	v_cmp_eq_u32_e32 vcc, 3, v53
	v_cndmask_b32_e32 v57, v57, v61, vcc
	v_mul_f32_e32 v56, v57, v56
	v_pk_mul_f32 v[50:51], v[56:57], v[50:51] op_sel_hi:[0,1]
	v_pk_mul_f32 v[48:49], v[56:57], v[48:49] op_sel_hi:[0,1]
	v_bfe_u32 v57, v51, 16, 1
	v_bfe_u32 v58, v50, 16, 1
	v_add3_u32 v50, v50, v58, s10
	v_add3_u32 v51, v51, v57, s10
	v_perm_b32 v50, v51, v50, s11
	v_bfe_u32 v51, v49, 16, 1
	v_bfe_u32 v57, v48, 16, 1
	v_add3_u32 v48, v48, v57, s10
	v_add3_u32 v49, v49, v51, s10
	v_perm_b32 v51, v49, v48, s11
	v_lshlrev_b32_e32 v48, 3, v1
	v_lshlrev_b32_e32 v49, 5, v52
	;; [unrolled: 1-line block ×3, first 2 shown]
	v_pk_mul_f32 v[46:47], v[56:57], v[46:47] op_sel_hi:[0,1]
	v_or3_b32 v48, v53, v49, v48
	v_pk_mul_f32 v[44:45], v[56:57], v[44:45] op_sel_hi:[0,1]
	v_bfe_u32 v53, v47, 16, 1
	v_bfe_u32 v57, v46, 16, 1
	v_add3_u32 v46, v46, v57, s10
	v_add3_u32 v47, v47, v53, s10
	v_perm_b32 v46, v47, v46, s11
	v_bfe_u32 v47, v45, 16, 1
	v_bfe_u32 v53, v44, 16, 1
	v_add3_u32 v44, v44, v53, s10
	v_add3_u32 v45, v45, v47, s10
	v_pk_mul_f32 v[40:41], v[56:57], v[40:41] op_sel_hi:[0,1]
	v_perm_b32 v47, v45, v44, s11
	v_bfe_u32 v44, v41, 16, 1
	v_bfe_u32 v45, v40, 16, 1
	v_pk_mul_f32 v[38:39], v[56:57], v[38:39] op_sel_hi:[0,1]
	v_add3_u32 v40, v40, v45, s10
	v_add3_u32 v41, v41, v44, s10
	v_perm_b32 v40, v41, v40, s11
	v_bfe_u32 v41, v39, 16, 1
	v_bfe_u32 v44, v38, 16, 1
	v_add3_u32 v38, v38, v44, s10
	v_add3_u32 v39, v39, v41, s10
	v_pk_mul_f32 v[36:37], v[56:57], v[36:37] op_sel_hi:[0,1]
	v_perm_b32 v41, v39, v38, s11
	v_bfe_u32 v38, v37, 16, 1
	v_bfe_u32 v39, v36, 16, 1
	v_pk_mul_f32 v[34:35], v[56:57], v[34:35] op_sel_hi:[0,1]
	v_add3_u32 v36, v36, v39, s10
	v_add3_u32 v37, v37, v38, s10
	v_perm_b32 v36, v37, v36, s11
	v_bfe_u32 v37, v35, 16, 1
	v_bfe_u32 v38, v34, 16, 1
	v_add3_u32 v34, v34, v38, s10
	v_add3_u32 v35, v35, v37, s10
	v_perm_b32 v37, v35, v34, s11
	v_cmp_gt_u32_e32 vcc, 12, v0
	s_barrier
	ds_write2st64_b64 v48, v[50:51], v[46:47] offset1:1
	ds_write2st64_b64 v48, v[40:41], v[36:37] offset0:2 offset1:3
	s_and_saveexec_b64 s[2:3], vcc
	s_cbranch_execz .LBB259_19
; %bb.18:
	v_add_co_u32_e32 v36, vcc, s29, v52
	v_addc_co_u32_e64 v37, s[16:17], 0, 0, vcc
	v_mov_b32_e32 v34, s9
	v_mov_b32_e32 v35, 0
	v_mad_u64_u32 v[36:37], s[16:17], s6, v34, v[36:37]
	v_mov_b32_e32 v34, s28
	s_load_dwordx4 s[12:15], s[4:5], 0x58
	s_mul_i32 s7, s7, s9
	v_mad_u64_u32 v[34:35], s[16:17], v36, s8, v[34:35]
	v_add_u32_e32 v37, s7, v37
	v_mov_b32_e32 v36, v35
	v_mad_u64_u32 v[36:37], s[16:17], v37, s8, v[36:37]
	v_mov_b32_e32 v35, v36
	v_lshlrev_b64 v[34:35], 2, v[34:35]
	s_waitcnt lgkmcnt(0)
	v_mov_b32_e32 v37, s15
	v_add_co_u32_e32 v36, vcc, s14, v34
	v_addc_co_u32_e32 v37, vcc, v37, v35, vcc
	global_store_dword v[36:37], v54, off
	v_mov_b32_e32 v36, s13
	v_add_co_u32_e32 v34, vcc, s12, v34
	v_addc_co_u32_e32 v35, vcc, v36, v35, vcc
	global_store_dword v[34:35], v55, off
.LBB259_19:
	s_or_b64 exec, exec, s[2:3]
	v_lshl_or_b32 v49, v1, 9, v49
	s_waitcnt lgkmcnt(0)
	s_barrier
	ds_read_b128 v[34:37], v49
	ds_read_b128 v[38:41], v49 offset:16
	s_waitcnt vmcnt(7) lgkmcnt(1)
	v_mfma_f32_16x16x16bf16_1k v[44:47], v[14:15], v[34:35], 0
	v_cmp_gt_u32_e32 vcc, 64, v0
	s_mov_b32 s3, 0
	s_and_b64 s[0:1], vcc, s[0:1]
	v_mfma_f32_16x16x16bf16_1k v[14:17], v[16:17], v[36:37], v[44:47]
	s_waitcnt vmcnt(6) lgkmcnt(0)
	v_mfma_f32_16x16x16bf16_1k v[14:17], v[10:11], v[38:39], v[14:17]
	v_mfma_f32_16x16x16bf16_1k v[10:13], v[12:13], v[40:41], v[14:17]
	s_nop 7
	s_nop 1
	ds_read_b128 v[14:17], v49 offset:2048
	ds_read_b128 v[34:37], v49 offset:2064
	s_waitcnt vmcnt(5) lgkmcnt(1)
	v_mfma_f32_16x16x16bf16_1k v[10:13], v[6:7], v[14:15], v[10:13]
	v_mfma_f32_16x16x16bf16_1k v[6:9], v[8:9], v[16:17], v[10:13]
	s_waitcnt vmcnt(4) lgkmcnt(0)
	v_mfma_f32_16x16x16bf16_1k v[6:9], v[2:3], v[34:35], v[6:9]
	v_mfma_f32_16x16x16bf16_1k v[2:5], v[4:5], v[36:37], v[6:9]
	s_nop 7
	s_nop 1
	ds_read_b128 v[6:9], v49 offset:4096
	ds_read_b128 v[10:13], v49 offset:4112
	s_waitcnt vmcnt(3) lgkmcnt(1)
	v_mfma_f32_16x16x16bf16_1k v[2:5], v[30:31], v[6:7], v[2:5]
	v_mfma_f32_16x16x16bf16_1k v[2:5], v[32:33], v[8:9], v[2:5]
	s_waitcnt vmcnt(2) lgkmcnt(0)
	v_mfma_f32_16x16x16bf16_1k v[2:5], v[22:23], v[10:11], v[2:5]
	v_mfma_f32_16x16x16bf16_1k v[2:5], v[24:25], v[12:13], v[2:5]
	ds_read_b128 v[6:9], v49 offset:6144
	ds_read_b128 v[10:13], v49 offset:6160
	s_waitcnt lgkmcnt(0)
	s_barrier
	s_waitcnt vmcnt(1)
	v_mfma_f32_16x16x16bf16_1k v[2:5], v[26:27], v[6:7], v[2:5]
	v_mfma_f32_16x16x16bf16_1k v[2:5], v[28:29], v[8:9], v[2:5]
	s_waitcnt vmcnt(0)
	v_mfma_f32_16x16x16bf16_1k v[2:5], v[18:19], v[10:11], v[2:5]
	v_mfma_f32_16x16x16bf16_1k v[2:5], v[20:21], v[12:13], v[2:5]
	s_nop 7
	s_nop 2
	v_bfe_u32 v6, v3, 16, 1
	v_bfe_u32 v7, v2, 16, 1
	;; [unrolled: 1-line block ×4, first 2 shown]
	v_add3_u32 v2, v2, v7, s10
	v_add3_u32 v3, v3, v6, s10
	;; [unrolled: 1-line block ×4, first 2 shown]
	v_perm_b32 v2, v3, v2, s11
	v_perm_b32 v3, v5, v4, s11
	ds_write_b64 v48, v[2:3]
	s_waitcnt lgkmcnt(0)
	s_barrier
	s_and_saveexec_b64 s[10:11], s[0:1]
	s_cbranch_execz .LBB259_21
; %bb.20:
	s_load_dwordx2 s[0:1], s[4:5], 0x68
	s_lshl_b32 s7, s8, 6
	s_mul_i32 s2, s9, s6
	s_mul_hi_u32 s5, s2, s7
	s_mul_i32 s4, s2, s7
	s_lshl_b64 s[4:5], s[4:5], 1
	s_waitcnt lgkmcnt(0)
	s_add_u32 s4, s0, s4
	s_addc_u32 s5, s1, s5
	s_lshl_b32 s2, s28, 6
	v_lshlrev_b32_e32 v2, 10, v0
	v_lshlrev_b32_e32 v0, 4, v0
	s_lshl_b64 s[0:1], s[2:3], 1
	v_and_b32_e32 v2, 0x1800, v2
	v_lshlrev_b32_e32 v3, 5, v1
	v_and_b32_e32 v0, 16, v0
	s_add_u32 s0, s4, s0
	v_or3_b32 v0, v2, v3, v0
	s_addc_u32 s1, s5, s1
	ds_read_b128 v[2:5], v0
	ds_read_b128 v[6:9], v0 offset:128
	ds_read_b128 v[10:13], v0 offset:256
	v_or_b32_e32 v14, s29, v1
	v_mov_b32_e32 v0, s1
	v_add_co_u32_e32 v15, vcc, s0, v42
	v_addc_co_u32_e32 v16, vcc, v0, v43, vcc
	v_mad_u64_u32 v[0:1], s[0:1], v14, s7, 0
	v_lshlrev_b64 v[0:1], 1, v[0:1]
	v_add_co_u32_e32 v0, vcc, v15, v0
	v_addc_co_u32_e32 v1, vcc, v16, v1, vcc
	s_waitcnt lgkmcnt(2)
	global_store_dwordx4 v[0:1], v[2:5], off
	v_add_u32_e32 v0, 4, v14
	v_mad_u64_u32 v[0:1], s[0:1], v0, s7, 0
	v_lshlrev_b64 v[0:1], 1, v[0:1]
	v_add_co_u32_e32 v0, vcc, v15, v0
	v_addc_co_u32_e32 v1, vcc, v16, v1, vcc
	s_waitcnt lgkmcnt(1)
	global_store_dwordx4 v[0:1], v[6:9], off
	v_add_u32_e32 v0, 8, v14
	v_mad_u64_u32 v[0:1], s[0:1], v0, s7, 0
	v_lshlrev_b64 v[0:1], 1, v[0:1]
	v_add_co_u32_e32 v0, vcc, v15, v0
	v_addc_co_u32_e32 v1, vcc, v16, v1, vcc
	s_waitcnt lgkmcnt(0)
	global_store_dwordx4 v[0:1], v[10:13], off
.LBB259_21:
	s_endpgm
	.section	.rodata,"a",@progbits
	.p2align	6, 0x0
	.amdhsa_kernel _Z39paged_attention_ll4mi_QKV_mfma16_kernelI14__hip_bfloat16S0_LN4vllm18Fp8KVCacheDataTypeE0ES0_Li32ELi64ELi256ELb1ELi12EL8MFMAType0EEvPKT_PKT0_S9_ifPKiSB_SB_iPKfiiiPfSE_PS4_PT2_iSD_SD_
		.amdhsa_group_segment_fixed_size 8192
		.amdhsa_private_segment_fixed_size 0
		.amdhsa_kernarg_size 400
		.amdhsa_user_sgpr_count 6
		.amdhsa_user_sgpr_private_segment_buffer 1
		.amdhsa_user_sgpr_dispatch_ptr 0
		.amdhsa_user_sgpr_queue_ptr 0
		.amdhsa_user_sgpr_kernarg_segment_ptr 1
		.amdhsa_user_sgpr_dispatch_id 0
		.amdhsa_user_sgpr_flat_scratch_init 0
		.amdhsa_user_sgpr_kernarg_preload_length 0
		.amdhsa_user_sgpr_kernarg_preload_offset 0
		.amdhsa_user_sgpr_private_segment_size 0
		.amdhsa_uses_dynamic_stack 0
		.amdhsa_system_sgpr_private_segment_wavefront_offset 0
		.amdhsa_system_sgpr_workgroup_id_x 1
		.amdhsa_system_sgpr_workgroup_id_y 1
		.amdhsa_system_sgpr_workgroup_id_z 1
		.amdhsa_system_sgpr_workgroup_info 0
		.amdhsa_system_vgpr_workitem_id 0
		.amdhsa_next_free_vgpr 66
		.amdhsa_next_free_sgpr 48
		.amdhsa_accum_offset 68
		.amdhsa_reserve_vcc 1
		.amdhsa_reserve_flat_scratch 0
		.amdhsa_float_round_mode_32 0
		.amdhsa_float_round_mode_16_64 0
		.amdhsa_float_denorm_mode_32 3
		.amdhsa_float_denorm_mode_16_64 3
		.amdhsa_dx10_clamp 1
		.amdhsa_ieee_mode 1
		.amdhsa_fp16_overflow 0
		.amdhsa_tg_split 0
		.amdhsa_exception_fp_ieee_invalid_op 0
		.amdhsa_exception_fp_denorm_src 0
		.amdhsa_exception_fp_ieee_div_zero 0
		.amdhsa_exception_fp_ieee_overflow 0
		.amdhsa_exception_fp_ieee_underflow 0
		.amdhsa_exception_fp_ieee_inexact 0
		.amdhsa_exception_int_div_zero 0
	.end_amdhsa_kernel
	.section	.text._Z39paged_attention_ll4mi_QKV_mfma16_kernelI14__hip_bfloat16S0_LN4vllm18Fp8KVCacheDataTypeE0ES0_Li32ELi64ELi256ELb1ELi12EL8MFMAType0EEvPKT_PKT0_S9_ifPKiSB_SB_iPKfiiiPfSE_PS4_PT2_iSD_SD_,"axG",@progbits,_Z39paged_attention_ll4mi_QKV_mfma16_kernelI14__hip_bfloat16S0_LN4vllm18Fp8KVCacheDataTypeE0ES0_Li32ELi64ELi256ELb1ELi12EL8MFMAType0EEvPKT_PKT0_S9_ifPKiSB_SB_iPKfiiiPfSE_PS4_PT2_iSD_SD_,comdat
.Lfunc_end259:
	.size	_Z39paged_attention_ll4mi_QKV_mfma16_kernelI14__hip_bfloat16S0_LN4vllm18Fp8KVCacheDataTypeE0ES0_Li32ELi64ELi256ELb1ELi12EL8MFMAType0EEvPKT_PKT0_S9_ifPKiSB_SB_iPKfiiiPfSE_PS4_PT2_iSD_SD_, .Lfunc_end259-_Z39paged_attention_ll4mi_QKV_mfma16_kernelI14__hip_bfloat16S0_LN4vllm18Fp8KVCacheDataTypeE0ES0_Li32ELi64ELi256ELb1ELi12EL8MFMAType0EEvPKT_PKT0_S9_ifPKiSB_SB_iPKfiiiPfSE_PS4_PT2_iSD_SD_
                                        ; -- End function
	.section	.AMDGPU.csdata,"",@progbits
; Kernel info:
; codeLenInByte = 4660
; NumSgprs: 52
; NumVgprs: 66
; NumAgprs: 0
; TotalNumVgprs: 66
; ScratchSize: 0
; MemoryBound: 0
; FloatMode: 240
; IeeeMode: 1
; LDSByteSize: 8192 bytes/workgroup (compile time only)
; SGPRBlocks: 6
; VGPRBlocks: 8
; NumSGPRsForWavesPerEU: 52
; NumVGPRsForWavesPerEU: 66
; AccumOffset: 68
; Occupancy: 7
; WaveLimiterHint : 1
; COMPUTE_PGM_RSRC2:SCRATCH_EN: 0
; COMPUTE_PGM_RSRC2:USER_SGPR: 6
; COMPUTE_PGM_RSRC2:TRAP_HANDLER: 0
; COMPUTE_PGM_RSRC2:TGID_X_EN: 1
; COMPUTE_PGM_RSRC2:TGID_Y_EN: 1
; COMPUTE_PGM_RSRC2:TGID_Z_EN: 1
; COMPUTE_PGM_RSRC2:TIDIG_COMP_CNT: 0
; COMPUTE_PGM_RSRC3_GFX90A:ACCUM_OFFSET: 16
; COMPUTE_PGM_RSRC3_GFX90A:TG_SPLIT: 0
	.section	.text._Z39paged_attention_ll4mi_QKV_mfma16_kernelI14__hip_bfloat16S0_LN4vllm18Fp8KVCacheDataTypeE0ES0_Li32ELi64ELi256ELb1ELi13EL8MFMAType0EEvPKT_PKT0_S9_ifPKiSB_SB_iPKfiiiPfSE_PS4_PT2_iSD_SD_,"axG",@progbits,_Z39paged_attention_ll4mi_QKV_mfma16_kernelI14__hip_bfloat16S0_LN4vllm18Fp8KVCacheDataTypeE0ES0_Li32ELi64ELi256ELb1ELi13EL8MFMAType0EEvPKT_PKT0_S9_ifPKiSB_SB_iPKfiiiPfSE_PS4_PT2_iSD_SD_,comdat
	.protected	_Z39paged_attention_ll4mi_QKV_mfma16_kernelI14__hip_bfloat16S0_LN4vllm18Fp8KVCacheDataTypeE0ES0_Li32ELi64ELi256ELb1ELi13EL8MFMAType0EEvPKT_PKT0_S9_ifPKiSB_SB_iPKfiiiPfSE_PS4_PT2_iSD_SD_ ; -- Begin function _Z39paged_attention_ll4mi_QKV_mfma16_kernelI14__hip_bfloat16S0_LN4vllm18Fp8KVCacheDataTypeE0ES0_Li32ELi64ELi256ELb1ELi13EL8MFMAType0EEvPKT_PKT0_S9_ifPKiSB_SB_iPKfiiiPfSE_PS4_PT2_iSD_SD_
	.globl	_Z39paged_attention_ll4mi_QKV_mfma16_kernelI14__hip_bfloat16S0_LN4vllm18Fp8KVCacheDataTypeE0ES0_Li32ELi64ELi256ELb1ELi13EL8MFMAType0EEvPKT_PKT0_S9_ifPKiSB_SB_iPKfiiiPfSE_PS4_PT2_iSD_SD_
	.p2align	8
	.type	_Z39paged_attention_ll4mi_QKV_mfma16_kernelI14__hip_bfloat16S0_LN4vllm18Fp8KVCacheDataTypeE0ES0_Li32ELi64ELi256ELb1ELi13EL8MFMAType0EEvPKT_PKT0_S9_ifPKiSB_SB_iPKfiiiPfSE_PS4_PT2_iSD_SD_,@function
_Z39paged_attention_ll4mi_QKV_mfma16_kernelI14__hip_bfloat16S0_LN4vllm18Fp8KVCacheDataTypeE0ES0_Li32ELi64ELi256ELb1ELi13EL8MFMAType0EEvPKT_PKT0_S9_ifPKiSB_SB_iPKfiiiPfSE_PS4_PT2_iSD_SD_: ; @_Z39paged_attention_ll4mi_QKV_mfma16_kernelI14__hip_bfloat16S0_LN4vllm18Fp8KVCacheDataTypeE0ES0_Li32ELi64ELi256ELb1ELi13EL8MFMAType0EEvPKT_PKT0_S9_ifPKiSB_SB_iPKfiiiPfSE_PS4_PT2_iSD_SD_
; %bb.0:
	s_load_dwordx2 s[0:1], s[4:5], 0x30
	s_mov_b32 s28, s7
	s_mov_b64 s[10:11], 0
	s_waitcnt lgkmcnt(0)
	s_cmp_lg_u64 s[0:1], 0
	s_cselect_b64 s[2:3], -1, 0
	s_and_b64 vcc, exec, s[2:3]
	s_cbranch_vccz .LBB260_7
; %bb.1:
	s_add_i32 s12, s6, 1
	s_mov_b32 s13, 0
	s_lshl_b64 s[14:15], s[12:13], 2
	s_add_u32 s14, s0, s14
	s_mov_b32 s7, s13
	s_addc_u32 s15, s1, s15
	s_lshl_b64 s[12:13], s[6:7], 2
	s_add_u32 s12, s0, s12
	s_addc_u32 s13, s1, s13
	s_load_dword s9, s[14:15], 0x0
	s_load_dword s16, s[12:13], 0x0
	s_waitcnt lgkmcnt(0)
	s_sub_i32 s9, s9, s16
	s_cmp_eq_u32 s9, 1
	s_cselect_b64 s[12:13], -1, 0
	s_andn2_b64 vcc, exec, s[10:11]
	s_cbranch_vccnz .LBB260_3
.LBB260_2:
	s_mov_b32 s7, 0
	s_mov_b64 s[12:13], -1
.LBB260_3:
	s_andn2_b64 vcc, exec, s[12:13]
	s_cbranch_vccnz .LBB260_22
; %bb.4:
	s_load_dwordx2 s[12:13], s[4:5], 0x28
	s_lshl_b64 s[10:11], s[6:7], 2
	s_waitcnt lgkmcnt(0)
	s_add_u32 s12, s12, s10
	s_addc_u32 s13, s13, s11
	s_load_dword s33, s[12:13], 0x0
	s_lshl_b32 s14, s28, 8
	s_waitcnt lgkmcnt(0)
	s_cmp_ge_i32 s14, s33
	s_cbranch_scc1 .LBB260_22
; %bb.5:
	s_add_i32 s15, s33, 31
	s_load_dwordx2 s[12:13], s[4:5], 0x20
	s_load_dword s9, s[4:5], 0x38
	s_ashr_i32 s16, s15, 31
	v_and_b32_e32 v1, 0xcf, v0
	s_lshr_b32 s16, s16, 27
	v_add_u32_e32 v1, s14, v1
	s_add_i32 s15, s15, s16
	v_ashrrev_i32_e32 v2, 31, v1
	s_ashr_i32 s17, s15, 5
	v_lshrrev_b32_e32 v6, 27, v2
	s_add_i32 s17, s17, -1
	v_add_u32_e32 v2, v1, v6
	s_waitcnt lgkmcnt(0)
	s_mul_i32 s18, s6, s9
	s_mov_b32 s19, 0
	v_ashrrev_i32_e32 v2, 5, v2
	v_mov_b32_e32 v7, s17
	v_cmp_gt_i32_e32 vcc, s33, v1
	s_lshl_b64 s[18:19], s[18:19], 2
	v_cndmask_b32_e32 v2, v7, v2, vcc
	s_add_u32 s15, s12, s18
	v_ashrrev_i32_e32 v3, 31, v2
	s_addc_u32 s16, s13, s19
	v_lshlrev_b64 v[2:3], 2, v[2:3]
	v_mov_b32_e32 v4, s16
	v_add_co_u32_e32 v2, vcc, s15, v2
	v_addc_co_u32_e32 v3, vcc, v4, v3, vcc
	v_or_b32_e32 v4, 16, v1
	v_add_u32_e32 v5, v4, v6
	v_ashrrev_i32_e32 v5, 5, v5
	v_cmp_gt_i32_e32 vcc, s33, v4
	v_cndmask_b32_e32 v4, v7, v5, vcc
	v_ashrrev_i32_e32 v5, 31, v4
	v_lshlrev_b64 v[4:5], 2, v[4:5]
	v_mov_b32_e32 v9, s16
	v_add_co_u32_e32 v8, vcc, s15, v4
	v_or_b32_e32 v4, 32, v1
	v_addc_co_u32_e32 v9, vcc, v9, v5, vcc
	v_add_u32_e32 v5, v4, v6
	v_ashrrev_i32_e32 v5, 5, v5
	v_cmp_gt_i32_e32 vcc, s33, v4
	v_cndmask_b32_e32 v4, v7, v5, vcc
	v_ashrrev_i32_e32 v5, 31, v4
	v_lshlrev_b64 v[4:5], 2, v[4:5]
	v_mov_b32_e32 v11, s16
	v_add_co_u32_e32 v10, vcc, s15, v4
	v_or_b32_e32 v1, 48, v1
	v_addc_co_u32_e32 v11, vcc, v11, v5, vcc
	v_add_u32_e32 v4, v1, v6
	v_ashrrev_i32_e32 v4, 5, v4
	v_cmp_gt_i32_e32 vcc, s33, v1
	v_cndmask_b32_e32 v4, v7, v4, vcc
	v_ashrrev_i32_e32 v5, 31, v4
	v_lshlrev_b64 v[4:5], 2, v[4:5]
	v_mov_b32_e32 v1, s16
	v_add_co_u32_e32 v12, vcc, s15, v4
	v_addc_co_u32_e32 v13, vcc, v1, v5, vcc
	global_load_dword v7, v[2:3], off
	global_load_dword v6, v[8:9], off
	;; [unrolled: 1-line block ×4, first 2 shown]
	s_andn2_b64 vcc, exec, s[2:3]
	s_cbranch_vccnz .LBB260_8
; %bb.6:
	s_add_u32 s0, s0, s10
	s_addc_u32 s1, s1, s11
	s_load_dword s9, s[0:1], 0x0
	s_branch .LBB260_9
.LBB260_7:
	s_mov_b64 s[12:13], 0
	s_branch .LBB260_2
.LBB260_8:
	s_mov_b32 s9, s6
.LBB260_9:
	s_load_dwordx2 s[10:11], s[4:5], 0x8
	s_load_dwordx4 s[44:47], s[4:5], 0x48
	v_lshrrev_b32_e32 v53, 6, v0
	v_bfe_u32 v1, v0, 4, 2
	v_lshl_or_b32 v8, v53, 2, v1
	v_and_b32_e32 v52, 15, v0
	v_cmp_lt_u32_e32 vcc, 12, v8
	v_cmp_lt_u32_e64 s[2:3], 7, v52
	v_lshlrev_b32_e32 v2, 3, v52
	v_cmp_gt_u32_e64 s[0:1], 8, v52
	s_or_b64 s[2:3], s[2:3], vcc
	s_and_saveexec_b64 s[12:13], s[2:3]
	s_xor_b64 s[2:3], exec, s[12:13]
; %bb.10:
	v_mov_b32_e32 v3, 0
                                        ; implicit-def: $vgpr8
; %bb.11:
	s_or_saveexec_b64 s[12:13], s[2:3]
	s_load_dwordx2 s[2:3], s[4:5], 0x10
	s_mul_i32 s29, s8, 13
	s_xor_b64 exec, exec, s[12:13]
	s_cbranch_execz .LBB260_13
; %bb.12:
	s_load_dwordx2 s[18:19], s[4:5], 0x0
	s_waitcnt lgkmcnt(0)
	s_ashr_i32 s20, s44, 31
	s_mul_hi_u32 s21, s9, s44
	s_mul_i32 s20, s9, s20
	s_add_i32 s21, s21, s20
	s_mul_i32 s20, s9, s44
	s_lshl_b64 s[20:21], s[20:21], 1
	v_add_lshl_u32 v10, v8, s29, 6
	s_add_u32 s9, s18, s20
	v_ashrrev_i32_e32 v11, 31, v10
	s_addc_u32 s18, s19, s21
	v_lshlrev_b64 v[10:11], 1, v[10:11]
	v_mov_b32_e32 v3, s18
	v_add_co_u32_e32 v9, vcc, s9, v10
	v_addc_co_u32_e32 v3, vcc, v3, v11, vcc
	v_lshlrev_b32_e32 v10, 1, v2
	v_add_co_u32_e32 v10, vcc, v9, v10
	v_addc_co_u32_e32 v11, vcc, 0, v3, vcc
	global_load_dwordx4 v[10:13], v[10:11], off
	v_and_b32_e32 v9, 3, v0
	v_lshlrev_b32_e32 v14, 9, v52
	v_lshlrev_b32_e32 v8, 5, v8
	;; [unrolled: 1-line block ×3, first 2 shown]
	v_and_b32_e32 v14, 0x1800, v14
	v_mov_b32_e32 v3, 0
	v_or3_b32 v8, v14, v9, v8
	s_waitcnt vmcnt(0)
	ds_write_b128 v8, v[10:13]
.LBB260_13:
	s_or_b64 exec, exec, s[12:13]
	s_waitcnt lgkmcnt(0)
	s_mul_i32 s8, s8, s46
	s_mov_b32 s9, 0
	s_lshl_b64 s[8:9], s[8:9], 1
	s_add_u32 s12, s10, s8
	s_addc_u32 s13, s11, s9
	s_waitcnt vmcnt(3)
	v_mad_i64_i32 v[8:9], s[10:11], v7, s45, 0
	v_lshlrev_b64 v[8:9], 1, v[8:9]
	v_mov_b32_e32 v7, s13
	v_add_co_u32_e32 v8, vcc, s12, v8
	v_addc_co_u32_e32 v7, vcc, v7, v9, vcc
	v_lshlrev_b64 v[42:43], 1, v[2:3]
	v_add_co_u32_e32 v2, vcc, v8, v42
	v_lshlrev_b32_e32 v24, 9, v1
	v_addc_co_u32_e32 v3, vcc, v7, v43, vcc
	v_add_co_u32_e32 v2, vcc, v2, v24
	v_addc_co_u32_e32 v3, vcc, 0, v3, vcc
	s_barrier
	global_load_dwordx4 v[38:41], v[2:3], off
	global_load_dwordx4 v[34:37], v[2:3], off offset:2048
	s_waitcnt vmcnt(4)
	v_mad_i64_i32 v[2:3], s[10:11], v6, s45, 0
	v_lshlrev_b64 v[2:3], 1, v[2:3]
	v_mov_b32_e32 v6, s13
	v_add_co_u32_e32 v2, vcc, s12, v2
	v_addc_co_u32_e32 v3, vcc, v6, v3, vcc
	v_mov_b32_e32 v6, 0x100
	v_lshl_or_b32 v18, v52, 4, v6
	v_add_co_u32_e32 v2, vcc, v2, v18
	v_addc_co_u32_e32 v3, vcc, 0, v3, vcc
	v_add_co_u32_e32 v2, vcc, v2, v24
	v_addc_co_u32_e32 v3, vcc, 0, v3, vcc
	global_load_dwordx4 v[30:33], v[2:3], off
	global_load_dwordx4 v[14:17], v[2:3], off offset:2048
	s_waitcnt vmcnt(5)
	v_mad_i64_i32 v[2:3], s[10:11], v5, s45, 0
	v_lshlrev_b64 v[2:3], 1, v[2:3]
	v_mov_b32_e32 v5, s13
	v_add_co_u32_e32 v2, vcc, s12, v2
	v_addc_co_u32_e32 v3, vcc, v5, v3, vcc
	v_add_co_u32_e32 v2, vcc, v2, v42
	v_addc_co_u32_e32 v3, vcc, v3, v43, vcc
	;; [unrolled: 2-line block ×3, first 2 shown]
	global_load_dwordx4 v[10:13], v[2:3], off
	global_load_dwordx4 v[6:9], v[2:3], off offset:2048
	s_waitcnt vmcnt(6)
	v_mad_i64_i32 v[2:3], s[10:11], v4, s45, 0
	v_lshlrev_b64 v[2:3], 1, v[2:3]
	v_mov_b32_e32 v4, s13
	v_add_co_u32_e32 v2, vcc, s12, v2
	v_addc_co_u32_e32 v3, vcc, v4, v3, vcc
	v_add_co_u32_e32 v2, vcc, v2, v18
	v_addc_co_u32_e32 v3, vcc, 0, v3, vcc
	;; [unrolled: 2-line block ×3, first 2 shown]
	global_load_dwordx4 v[2:5], v[22:23], off
	global_load_dwordx4 v[18:21], v[22:23], off offset:2048
	v_add_u32_e32 v22, -13, v52
	v_cmp_gt_u32_e32 vcc, 13, v52
	v_cndmask_b32_e32 v22, v22, v52, vcc
	v_lshl_add_u32 v22, v22, 5, v24
	ds_read_b128 v[26:29], v22
	ds_read_b128 v[22:25], v22 offset:2048
	v_and_b32_e32 v54, 63, v0
	v_mov_b32_e32 v50, 0
	s_and_saveexec_b64 s[10:11], vcc
	s_cbranch_execz .LBB260_15
; %bb.14:
	s_load_dwordx2 s[12:13], s[4:5], 0x40
	v_add_u32_e32 v44, s29, v52
	v_ashrrev_i32_e32 v45, 31, v44
	v_lshlrev_b64 v[44:45], 2, v[44:45]
	s_waitcnt lgkmcnt(0)
	v_mov_b32_e32 v46, s13
	v_add_co_u32_e32 v44, vcc, s12, v44
	v_addc_co_u32_e32 v45, vcc, v46, v45, vcc
	global_load_dword v50, v[44:45], off
.LBB260_15:
	s_or_b64 exec, exec, s[10:11]
	s_waitcnt vmcnt(7) lgkmcnt(1)
	v_mfma_f32_16x16x16bf16_1k v[44:47], v[38:39], v[26:27], 0
	s_ashr_i32 s10, s14, 31
	s_lshr_b32 s11, s10, 27
	v_mov_b32_e32 v49, s16
	s_add_u32 s2, s2, s8
	s_addc_u32 s3, s3, s9
	s_load_dword s10, s[4:5], 0x1c
	s_mov_b32 s42, 0xff7fffff
	v_mfma_f32_16x16x16bf16_1k v[38:41], v[40:41], v[28:29], v[44:47]
	s_waitcnt vmcnt(6) lgkmcnt(0)
	v_mfma_f32_16x16x16bf16_1k v[38:41], v[34:35], v[22:23], v[38:41]
	s_nop 4
	v_and_or_b32 v46, v0, 48, s14
	v_add_u32_e32 v34, s11, v46
	v_ashrrev_i32_e32 v34, 5, v34
	v_mov_b32_e32 v47, s17
	v_cmp_gt_i32_e32 vcc, s33, v46
	v_cndmask_b32_e32 v34, v47, v34, vcc
	v_ashrrev_i32_e32 v35, 31, v34
	v_lshlrev_b64 v[44:45], 2, v[34:35]
	v_mfma_f32_16x16x16bf16_1k v[34:37], v[36:37], v[24:25], v[38:41]
	s_nop 6
	v_mov_b32_e32 v39, s16
	v_add_co_u32_e32 v38, vcc, s15, v44
	v_addc_co_u32_e32 v39, vcc, v39, v45, vcc
	global_load_dword v48, v[38:39], off
	s_waitcnt vmcnt(6)
	v_mfma_f32_16x16x16bf16_1k v[38:41], v[30:31], v[26:27], 0
	v_or_b32_e32 v44, 64, v46
	v_add_u32_e32 v30, s11, v44
	v_ashrrev_i32_e32 v30, 5, v30
	v_cmp_gt_i32_e32 vcc, s33, v44
	v_cndmask_b32_e32 v30, v47, v30, vcc
	v_ashrrev_i32_e32 v31, 31, v30
	v_lshlrev_b64 v[44:45], 2, v[30:31]
	v_mfma_f32_16x16x16bf16_1k v[30:33], v[32:33], v[28:29], v[38:41]
	s_nop 6
	v_add_co_u32_e32 v38, vcc, s15, v44
	v_addc_co_u32_e32 v39, vcc, v49, v45, vcc
	global_load_dword v40, v[38:39], off
	v_or_b32_e32 v38, 0x80, v46
	v_add_u32_e32 v39, s11, v38
	v_ashrrev_i32_e32 v39, 5, v39
	v_cmp_gt_i32_e32 vcc, s33, v38
	v_cndmask_b32_e32 v38, v47, v39, vcc
	v_ashrrev_i32_e32 v39, 31, v38
	s_waitcnt vmcnt(6)
	v_mfma_f32_16x16x16bf16_1k v[30:33], v[14:15], v[22:23], v[30:33]
	v_lshlrev_b64 v[14:15], 2, v[38:39]
	v_mov_b32_e32 v38, s16
	v_add_co_u32_e32 v14, vcc, s15, v14
	v_addc_co_u32_e32 v15, vcc, v38, v15, vcc
	global_load_dword v41, v[14:15], off
	v_mfma_f32_16x16x16bf16_1k v[30:33], v[16:17], v[24:25], v[30:33]
	v_or_b32_e32 v38, 0xc0, v46
	v_cmp_gt_i32_e32 vcc, s33, v38
	v_mov_b32_e32 v44, s16
	s_waitcnt vmcnt(6)
	v_mfma_f32_16x16x16bf16_1k v[14:17], v[10:11], v[26:27], 0
	v_add_u32_e32 v10, s11, v38
	v_ashrrev_i32_e32 v10, 5, v10
	v_cndmask_b32_e32 v10, v47, v10, vcc
	v_ashrrev_i32_e32 v11, 31, v10
	v_lshlrev_b64 v[38:39], 2, v[10:11]
	s_nop 0
	v_pk_mul_f32 v[46:47], s[10:11], v[30:31] op_sel_hi:[0,1]
	v_mfma_f32_16x16x16bf16_1k v[10:13], v[12:13], v[28:29], v[14:17]
	s_nop 6
	v_add_co_u32_e32 v14, vcc, s15, v38
	s_waitcnt vmcnt(5)
	v_mfma_f32_16x16x16bf16_1k v[10:13], v[6:7], v[22:23], v[10:13]
	v_addc_co_u32_e32 v15, vcc, v44, v39, vcc
	global_load_dword v51, v[14:15], off
	v_and_b32_e32 v14, 16, v0
	v_lshlrev_b32_e32 v14, 1, v14
	v_mov_b32_e32 v6, s3
	v_add_co_u32_e32 v7, vcc, s2, v14
	v_lshlrev_b32_e32 v14, 6, v52
	v_addc_co_u32_e32 v6, vcc, 0, v6, vcc
	v_lshl_or_b32 v14, v53, 10, v14
	v_add_co_u32_e32 v55, vcc, v7, v14
	v_addc_co_u32_e32 v60, vcc, 0, v6, vcc
	v_mfma_f32_16x16x16bf16_1k v[56:59], v[8:9], v[24:25], v[10:13]
	s_waitcnt vmcnt(3)
	v_mad_i64_i32 v[6:7], s[2:3], v48, s45, 0
	v_pk_mul_f32 v[48:49], s[10:11], v[36:37] op_sel_hi:[0,1]
	v_pk_mul_f32 v[44:45], s[10:11], v[32:33] op_sel_hi:[0,1]
	s_waitcnt vmcnt(1)
	v_mad_i64_i32 v[38:39], s[2:3], v41, s45, 0
	s_nop 0
	v_lshlrev_b64 v[10:11], 1, v[6:7]
	v_mfma_f32_16x16x16bf16_1k v[6:9], v[2:3], v[26:27], 0
	v_add_co_u32_e32 v2, vcc, v55, v10
	v_addc_co_u32_e32 v3, vcc, v60, v11, vcc
	global_load_dwordx4 v[14:17], v[2:3], off
	global_load_dwordx4 v[10:13], v[2:3], off offset:16
	v_mad_i64_i32 v[2:3], s[2:3], v40, s45, 0
	v_mfma_f32_16x16x16bf16_1k v[26:29], v[4:5], v[28:29], v[6:9]
	v_lshlrev_b64 v[2:3], 1, v[2:3]
	v_add_co_u32_e32 v2, vcc, v55, v2
	v_addc_co_u32_e32 v3, vcc, v60, v3, vcc
	v_lshlrev_b64 v[38:39], 1, v[38:39]
	v_pk_mul_f32 v[40:41], s[10:11], v[56:57] op_sel_hi:[0,1]
	v_mfma_f32_16x16x16bf16_1k v[26:29], v[18:19], v[22:23], v[26:29]
	v_pk_mul_f32 v[18:19], s[10:11], v[34:35] op_sel_hi:[0,1]
	v_add_co_u32_e32 v22, vcc, v55, v38
	v_addc_co_u32_e32 v23, vcc, v60, v39, vcc
	v_pk_mul_f32 v[38:39], s[10:11], v[58:59] op_sel_hi:[0,1]
	global_load_dwordx4 v[6:9], v[2:3], off
	s_nop 0
	global_load_dwordx4 v[2:5], v[2:3], off offset:16
	v_mfma_f32_16x16x16bf16_1k v[24:27], v[20:21], v[24:25], v[26:29]
	v_and_b32_e32 v20, 0xc0, v0
	v_add_u32_e32 v20, s14, v20
	v_lshl_or_b32 v20, v1, 2, v20
	v_or_b32_e32 v21, 1, v20
	v_cmp_gt_i32_e64 s[30:31], s33, v20
	v_cmp_gt_i32_e64 s[34:35], s33, v21
	s_nop 4
	v_pk_mul_f32 v[36:37], s[10:11], v[24:25] op_sel_hi:[0,1]
	v_subrev_u32_e32 v24, s33, v21
	v_pk_mul_f32 v[34:35], s[10:11], v[26:27] op_sel_hi:[0,1]
	v_add_u32_e32 v26, 1, v24
	v_add_u32_e32 v27, 2, v24
	v_cvt_f32_i32_e32 v25, v24
	v_cvt_f32_i32_e32 v26, v26
	;; [unrolled: 1-line block ×3, first 2 shown]
	v_add_u32_e32 v28, 3, v24
	v_fma_f32 v18, v50, v25, v18
	v_fmac_f32_e32 v19, v50, v26
	v_fma_f32 v48, v50, v27, v48
	v_add_u32_e32 v25, 16, v24
	v_add_u32_e32 v26, 17, v24
	;; [unrolled: 1-line block ×3, first 2 shown]
	v_cvt_f32_i32_e32 v28, v28
	v_cvt_f32_i32_e32 v25, v25
	v_cvt_f32_i32_e32 v26, v26
	v_cvt_f32_i32_e32 v27, v27
	v_fmac_f32_e32 v49, v50, v28
	v_add_u32_e32 v28, 19, v24
	v_fma_f32 v46, v50, v25, v46
	v_fmac_f32_e32 v47, v50, v26
	v_fma_f32 v44, v50, v27, v44
	v_add_u32_e32 v25, 32, v24
	v_add_u32_e32 v26, 33, v24
	;; [unrolled: 1-line block ×3, first 2 shown]
	v_cvt_f32_i32_e32 v28, v28
	v_cvt_f32_i32_e32 v25, v25
	;; [unrolled: 1-line block ×4, first 2 shown]
	v_fmac_f32_e32 v45, v50, v28
	v_add_u32_e32 v28, 35, v24
	v_fma_f32 v40, v50, v25, v40
	v_fmac_f32_e32 v41, v50, v26
	v_fma_f32 v38, v50, v27, v38
	v_add_u32_e32 v25, 48, v24
	v_add_u32_e32 v26, 49, v24
	;; [unrolled: 1-line block ×4, first 2 shown]
	v_cvt_f32_i32_e32 v24, v24
	v_cvt_f32_i32_e32 v25, v25
	;; [unrolled: 1-line block ×4, first 2 shown]
	v_fmac_f32_e32 v35, v50, v24
	v_mov_b32_e32 v24, 0xff7fffff
	v_fma_f32 v36, v50, v25, v36
	v_cndmask_b32_e64 v25, v24, v18, s[30:31]
	v_cndmask_b32_e64 v21, v24, v19, s[34:35]
	v_fmac_f32_e32 v37, v50, v26
	v_max3_f32 v21, v25, s42, v21
	v_or_b32_e32 v25, 2, v20
	v_or_b32_e32 v26, 3, v20
	v_cmp_gt_i32_e64 s[36:37], s33, v25
	v_cmp_gt_i32_e64 s[38:39], s33, v26
	v_cndmask_b32_e64 v25, v24, v48, s[36:37]
	v_cndmask_b32_e64 v26, v24, v49, s[38:39]
	v_max3_f32 v21, v21, v25, v26
	v_or_b32_e32 v25, 16, v20
	v_or_b32_e32 v26, 17, v20
	v_cmp_gt_i32_e64 s[24:25], s33, v25
	v_cmp_gt_i32_e64 s[26:27], s33, v26
	v_cndmask_b32_e64 v25, v24, v46, s[24:25]
	v_cndmask_b32_e64 v26, v24, v47, s[26:27]
	;; [unrolled: 7-line block ×4, first 2 shown]
	v_max3_f32 v21, v21, v25, v26
	v_or_b32_e32 v25, 34, v20
	v_or_b32_e32 v26, 35, v20
	v_fmac_f32_e32 v39, v50, v28
	v_cmp_gt_i32_e64 s[12:13], s33, v25
	v_cmp_gt_i32_e64 s[14:15], s33, v26
	v_cndmask_b32_e64 v25, v24, v38, s[12:13]
	v_cndmask_b32_e64 v26, v24, v39, s[14:15]
	v_cvt_f32_i32_e32 v27, v27
	v_max3_f32 v21, v21, v25, v26
	v_or_b32_e32 v25, 48, v20
	v_or_b32_e32 v26, 49, v20
	v_cmp_gt_i32_e64 s[8:9], s33, v25
	v_cmp_gt_i32_e64 s[10:11], s33, v26
	v_cndmask_b32_e64 v25, v24, v36, s[8:9]
	v_cndmask_b32_e64 v26, v24, v37, s[10:11]
	v_max3_f32 v21, v21, v25, v26
	v_or_b32_e32 v25, 50, v20
	v_or_b32_e32 v20, 51, v20
	v_fma_f32 v34, v50, v27, v34
	v_cmp_gt_i32_e32 vcc, s33, v25
	v_cmp_gt_i32_e64 s[2:3], s33, v20
	v_cndmask_b32_e32 v25, v24, v34, vcc
	v_cndmask_b32_e64 v20, v24, v35, s[2:3]
	v_max3_f32 v26, v21, v25, v20
	v_mbcnt_lo_u32_b32 v20, -1, 0
	v_mbcnt_hi_u32_b32 v27, -1, v20
	v_and_b32_e32 v20, 64, v27
	v_add_u32_e32 v28, 64, v20
	v_xor_b32_e32 v20, 32, v27
	v_cmp_lt_i32_e64 s[40:41], v20, v28
	v_cndmask_b32_e64 v20, v27, v20, s[40:41]
	v_lshlrev_b32_e32 v56, 2, v20
	ds_bpermute_b32 v29, v56, v26
	s_waitcnt vmcnt(4)
	v_mad_i64_i32 v[20:21], s[40:41], v51, s45, 0
	v_lshlrev_b64 v[20:21], 1, v[20:21]
	global_load_dwordx4 v[30:33], v[22:23], off
	s_nop 0
	global_load_dwordx4 v[22:25], v[22:23], off offset:16
	s_waitcnt lgkmcnt(0)
	v_max_f32_e32 v29, v29, v29
	v_max_f32_e32 v26, v26, v29
	v_xor_b32_e32 v29, 16, v27
	v_cmp_lt_i32_e64 s[40:41], v29, v28
	v_cndmask_b32_e64 v27, v27, v29, s[40:41]
	v_lshlrev_b32_e32 v58, 2, v27
	ds_bpermute_b32 v27, v58, v26
	v_add_co_u32_e64 v20, s[40:41], v55, v20
	v_addc_co_u32_e64 v21, s[40:41], v60, v21, s[40:41]
	s_waitcnt lgkmcnt(0)
	v_max_f32_e32 v27, v27, v27
	v_max_f32_e32 v55, v26, v27
	v_sub_f32_e32 v18, v18, v55
	v_mul_f32_e32 v18, 0x3fb8aa3b, v18
	v_exp_f32_e32 v50, v18
	v_sub_f32_e32 v18, v19, v55
	v_mul_f32_e32 v18, 0x3fb8aa3b, v18
	v_exp_f32_e32 v51, v18
	global_load_dwordx4 v[26:29], v[20:21], off
	s_nop 0
	global_load_dwordx4 v[18:21], v[20:21], off offset:16
	v_sub_f32_e32 v48, v48, v55
	v_mul_f32_e32 v48, 0x3fb8aa3b, v48
	v_sub_f32_e32 v49, v49, v55
	v_exp_f32_e32 v48, v48
	v_mul_f32_e32 v49, 0x3fb8aa3b, v49
	v_sub_f32_e32 v46, v46, v55
	v_exp_f32_e32 v49, v49
	v_mul_f32_e32 v46, 0x3fb8aa3b, v46
	v_sub_f32_e32 v47, v47, v55
	v_cndmask_b32_e64 v50, 0, v50, s[30:31]
	v_exp_f32_e32 v46, v46
	v_mul_f32_e32 v47, 0x3fb8aa3b, v47
	v_sub_f32_e32 v44, v44, v55
	v_add_f32_e32 v57, 0, v50
	v_cndmask_b32_e64 v51, 0, v51, s[34:35]
	v_exp_f32_e32 v47, v47
	v_mul_f32_e32 v44, 0x3fb8aa3b, v44
	v_sub_f32_e32 v45, v45, v55
	v_add_f32_e32 v57, v57, v51
	;; [unrolled: 5-line block ×10, first 2 shown]
	v_cndmask_b32_e64 v38, 0, v38, s[12:13]
	v_exp_f32_e32 v34, v34
	v_mul_f32_e32 v35, 0x3fb8aa3b, v35
	v_add_f32_e32 v57, v57, v38
	v_cndmask_b32_e64 v39, 0, v39, s[14:15]
	v_exp_f32_e32 v35, v35
	v_add_f32_e32 v57, v57, v39
	v_cndmask_b32_e64 v36, 0, v36, s[8:9]
	v_add_f32_e32 v57, v57, v36
	v_cndmask_b32_e64 v37, 0, v37, s[10:11]
	v_add_f32_e32 v57, v57, v37
	v_cndmask_b32_e32 v34, 0, v34, vcc
	v_add_f32_e32 v57, v57, v34
	v_cndmask_b32_e64 v35, 0, v35, s[2:3]
	v_add_f32_e32 v57, v57, v35
	ds_bpermute_b32 v56, v56, v57
	s_load_dword s11, s[4:5], 0x98
	v_cmp_gt_u32_e64 s[2:3], 16, v54
	s_waitcnt lgkmcnt(0)
	s_barrier
	v_add_f32_e32 v57, v57, v56
	ds_bpermute_b32 v58, v58, v57
	v_lshlrev_b32_e32 v56, 2, v52
	s_waitcnt lgkmcnt(0)
	s_and_saveexec_b64 s[8:9], s[2:3]
	s_cbranch_execz .LBB260_17
; %bb.16:
	v_add_f32_e32 v54, v57, v58
	v_lshl_or_b32 v57, v53, 6, v56
	ds_write2st64_b32 v57, v55, v54 offset1:1
.LBB260_17:
	s_or_b64 exec, exec, s[8:9]
	s_load_dword s10, s[4:5], 0x94
	s_waitcnt lgkmcnt(0)
	s_barrier
	ds_read2_b32 v[58:59], v56 offset1:16
	ds_read2_b32 v[60:61], v56 offset0:32 offset1:48
	ds_read2_b32 v[62:63], v56 offset0:64 offset1:80
	;; [unrolled: 1-line block ×3, first 2 shown]
	s_movk_i32 s12, 0x7fff
	s_waitcnt lgkmcnt(3)
	v_max3_f32 v54, v58, s42, v59
	s_waitcnt lgkmcnt(2)
	v_max3_f32 v54, v54, v60, v61
	v_sub_f32_e32 v55, v58, v54
	v_mul_f32_e32 v55, 0x3fb8aa3b, v55
	v_exp_f32_e32 v58, v55
	v_sub_f32_e32 v55, v59, v54
	v_mul_f32_e32 v55, 0x3fb8aa3b, v55
	v_exp_f32_e32 v59, v55
	v_sub_f32_e32 v55, v60, v54
	v_mul_f32_e32 v55, 0x3fb8aa3b, v55
	v_exp_f32_e32 v60, v55
	v_sub_f32_e32 v55, v61, v54
	v_mul_f32_e32 v55, 0x3fb8aa3b, v55
	v_exp_f32_e32 v61, v55
	s_waitcnt lgkmcnt(1)
	v_fma_f32 v55, v58, v62, 0
	v_fmac_f32_e32 v55, v59, v63
	s_waitcnt lgkmcnt(0)
	v_fmac_f32_e32 v55, v60, v56
	v_fmac_f32_e32 v55, v61, v57
	v_add_f32_e32 v56, 0x358637bd, v55
	v_div_scale_f32 v57, s[8:9], v56, v56, 1.0
	v_rcp_f32_e32 v62, v57
	s_mov_b32 s13, 0x7060302
	s_mul_i32 s11, s11, 13
	v_fma_f32 v63, -v57, v62, 1.0
	v_fmac_f32_e32 v62, v63, v62
	v_div_scale_f32 v63, vcc, 1.0, v56, 1.0
	v_mul_f32_e32 v64, v63, v62
	v_fma_f32 v65, -v57, v64, v63
	v_fmac_f32_e32 v64, v65, v62
	v_fma_f32 v57, -v57, v64, v63
	v_div_fmas_f32 v57, v57, v62, v64
	v_cmp_eq_u32_e32 vcc, 1, v53
	v_div_fixup_f32 v56, v57, v56, 1.0
	v_cndmask_b32_e32 v57, v58, v59, vcc
	v_cmp_eq_u32_e32 vcc, 2, v53
	v_cndmask_b32_e32 v57, v57, v60, vcc
	v_cmp_eq_u32_e32 vcc, 3, v53
	v_cndmask_b32_e32 v57, v57, v61, vcc
	v_mul_f32_e32 v56, v57, v56
	v_pk_mul_f32 v[50:51], v[56:57], v[50:51] op_sel_hi:[0,1]
	v_pk_mul_f32 v[48:49], v[56:57], v[48:49] op_sel_hi:[0,1]
	v_bfe_u32 v57, v51, 16, 1
	v_bfe_u32 v58, v50, 16, 1
	v_add3_u32 v50, v50, v58, s12
	v_add3_u32 v51, v51, v57, s12
	v_perm_b32 v50, v51, v50, s13
	v_bfe_u32 v51, v49, 16, 1
	v_bfe_u32 v57, v48, 16, 1
	v_add3_u32 v48, v48, v57, s12
	v_add3_u32 v49, v49, v51, s12
	v_perm_b32 v51, v49, v48, s13
	v_lshlrev_b32_e32 v48, 3, v1
	v_lshlrev_b32_e32 v49, 5, v52
	;; [unrolled: 1-line block ×3, first 2 shown]
	v_pk_mul_f32 v[46:47], v[56:57], v[46:47] op_sel_hi:[0,1]
	v_or3_b32 v48, v53, v49, v48
	v_pk_mul_f32 v[44:45], v[56:57], v[44:45] op_sel_hi:[0,1]
	v_bfe_u32 v53, v47, 16, 1
	v_bfe_u32 v57, v46, 16, 1
	v_add3_u32 v46, v46, v57, s12
	v_add3_u32 v47, v47, v53, s12
	v_perm_b32 v46, v47, v46, s13
	v_bfe_u32 v47, v45, 16, 1
	v_bfe_u32 v53, v44, 16, 1
	v_add3_u32 v44, v44, v53, s12
	v_add3_u32 v45, v45, v47, s12
	v_pk_mul_f32 v[40:41], v[56:57], v[40:41] op_sel_hi:[0,1]
	v_perm_b32 v47, v45, v44, s13
	v_bfe_u32 v44, v41, 16, 1
	v_bfe_u32 v45, v40, 16, 1
	v_pk_mul_f32 v[38:39], v[56:57], v[38:39] op_sel_hi:[0,1]
	v_add3_u32 v40, v40, v45, s12
	v_add3_u32 v41, v41, v44, s12
	v_perm_b32 v40, v41, v40, s13
	v_bfe_u32 v41, v39, 16, 1
	v_bfe_u32 v44, v38, 16, 1
	v_add3_u32 v38, v38, v44, s12
	v_add3_u32 v39, v39, v41, s12
	v_pk_mul_f32 v[36:37], v[56:57], v[36:37] op_sel_hi:[0,1]
	v_perm_b32 v41, v39, v38, s13
	v_bfe_u32 v38, v37, 16, 1
	v_bfe_u32 v39, v36, 16, 1
	v_pk_mul_f32 v[34:35], v[56:57], v[34:35] op_sel_hi:[0,1]
	v_add3_u32 v36, v36, v39, s12
	v_add3_u32 v37, v37, v38, s12
	v_perm_b32 v36, v37, v36, s13
	v_bfe_u32 v37, v35, 16, 1
	v_bfe_u32 v38, v34, 16, 1
	v_add3_u32 v34, v34, v38, s12
	v_add3_u32 v35, v35, v37, s12
	v_perm_b32 v37, v35, v34, s13
	v_cmp_gt_u32_e32 vcc, 13, v0
	s_barrier
	ds_write2st64_b64 v48, v[50:51], v[46:47] offset1:1
	ds_write2st64_b64 v48, v[40:41], v[36:37] offset0:2 offset1:3
	s_and_saveexec_b64 s[8:9], vcc
	s_cbranch_execz .LBB260_19
; %bb.18:
	v_add_co_u32_e32 v36, vcc, s29, v52
	v_addc_co_u32_e64 v37, s[14:15], 0, 0, vcc
	v_mov_b32_e32 v34, s11
	v_mov_b32_e32 v35, 0
	v_mad_u64_u32 v[36:37], s[14:15], s6, v34, v[36:37]
	v_mov_b32_e32 v34, s28
	s_load_dwordx4 s[16:19], s[4:5], 0x58
	s_mul_i32 s7, s7, s11
	v_mad_u64_u32 v[34:35], s[14:15], v36, s10, v[34:35]
	v_add_u32_e32 v37, s7, v37
	v_mov_b32_e32 v36, v35
	v_mad_u64_u32 v[36:37], s[14:15], v37, s10, v[36:37]
	v_mov_b32_e32 v35, v36
	v_lshlrev_b64 v[34:35], 2, v[34:35]
	s_waitcnt lgkmcnt(0)
	v_mov_b32_e32 v37, s19
	v_add_co_u32_e32 v36, vcc, s18, v34
	v_addc_co_u32_e32 v37, vcc, v37, v35, vcc
	global_store_dword v[36:37], v54, off
	v_mov_b32_e32 v36, s17
	v_add_co_u32_e32 v34, vcc, s16, v34
	v_addc_co_u32_e32 v35, vcc, v36, v35, vcc
	global_store_dword v[34:35], v55, off
.LBB260_19:
	s_or_b64 exec, exec, s[8:9]
	v_lshl_or_b32 v49, v1, 9, v49
	s_waitcnt lgkmcnt(0)
	s_barrier
	ds_read_b128 v[34:37], v49
	ds_read_b128 v[38:41], v49 offset:16
	s_waitcnt vmcnt(7) lgkmcnt(1)
	v_mfma_f32_16x16x16bf16_1k v[44:47], v[14:15], v[34:35], 0
	v_cmp_gt_u32_e32 vcc, 64, v0
	s_mov_b32 s7, 0
	s_and_b64 s[0:1], vcc, s[0:1]
	v_mfma_f32_16x16x16bf16_1k v[14:17], v[16:17], v[36:37], v[44:47]
	s_waitcnt vmcnt(6) lgkmcnt(0)
	v_mfma_f32_16x16x16bf16_1k v[14:17], v[10:11], v[38:39], v[14:17]
	v_mfma_f32_16x16x16bf16_1k v[10:13], v[12:13], v[40:41], v[14:17]
	s_nop 7
	s_nop 1
	ds_read_b128 v[14:17], v49 offset:2048
	ds_read_b128 v[34:37], v49 offset:2064
	s_waitcnt vmcnt(5) lgkmcnt(1)
	v_mfma_f32_16x16x16bf16_1k v[10:13], v[6:7], v[14:15], v[10:13]
	v_mfma_f32_16x16x16bf16_1k v[6:9], v[8:9], v[16:17], v[10:13]
	s_waitcnt vmcnt(4) lgkmcnt(0)
	v_mfma_f32_16x16x16bf16_1k v[6:9], v[2:3], v[34:35], v[6:9]
	v_mfma_f32_16x16x16bf16_1k v[2:5], v[4:5], v[36:37], v[6:9]
	s_nop 7
	s_nop 1
	ds_read_b128 v[6:9], v49 offset:4096
	ds_read_b128 v[10:13], v49 offset:4112
	s_waitcnt vmcnt(3) lgkmcnt(1)
	v_mfma_f32_16x16x16bf16_1k v[2:5], v[30:31], v[6:7], v[2:5]
	v_mfma_f32_16x16x16bf16_1k v[2:5], v[32:33], v[8:9], v[2:5]
	s_waitcnt vmcnt(2) lgkmcnt(0)
	v_mfma_f32_16x16x16bf16_1k v[2:5], v[22:23], v[10:11], v[2:5]
	v_mfma_f32_16x16x16bf16_1k v[2:5], v[24:25], v[12:13], v[2:5]
	ds_read_b128 v[6:9], v49 offset:6144
	ds_read_b128 v[10:13], v49 offset:6160
	s_waitcnt lgkmcnt(0)
	s_barrier
	s_waitcnt vmcnt(1)
	v_mfma_f32_16x16x16bf16_1k v[2:5], v[26:27], v[6:7], v[2:5]
	v_mfma_f32_16x16x16bf16_1k v[2:5], v[28:29], v[8:9], v[2:5]
	s_waitcnt vmcnt(0)
	v_mfma_f32_16x16x16bf16_1k v[2:5], v[18:19], v[10:11], v[2:5]
	v_mfma_f32_16x16x16bf16_1k v[2:5], v[20:21], v[12:13], v[2:5]
	s_nop 7
	s_nop 2
	v_bfe_u32 v6, v3, 16, 1
	v_bfe_u32 v7, v2, 16, 1
	;; [unrolled: 1-line block ×4, first 2 shown]
	v_add3_u32 v2, v2, v7, s12
	v_add3_u32 v3, v3, v6, s12
	;; [unrolled: 1-line block ×4, first 2 shown]
	v_perm_b32 v2, v3, v2, s13
	v_perm_b32 v3, v5, v4, s13
	ds_write_b64 v48, v[2:3]
	s_waitcnt lgkmcnt(0)
	s_barrier
	s_and_saveexec_b64 s[8:9], s[0:1]
	s_cbranch_execz .LBB260_22
; %bb.20:
	s_load_dwordx2 s[4:5], s[4:5], 0x68
	s_lshl_b32 s0, s10, 6
	s_mul_i32 s1, s11, s6
	s_mul_hi_u32 s9, s1, s0
	s_mul_i32 s8, s1, s0
	s_lshl_b64 s[8:9], s[8:9], 1
	s_waitcnt lgkmcnt(0)
	s_add_u32 s1, s4, s8
	v_lshlrev_b32_e32 v2, 10, v0
	v_lshlrev_b32_e32 v0, 4, v0
	s_addc_u32 s8, s5, s9
	s_lshl_b32 s6, s28, 6
	v_and_b32_e32 v2, 0x1800, v2
	v_lshlrev_b32_e32 v3, 5, v1
	v_and_b32_e32 v0, 16, v0
	s_lshl_b64 s[4:5], s[6:7], 1
	v_or3_b32 v0, v2, v3, v0
	s_add_u32 s1, s1, s4
	ds_read_b128 v[4:7], v0 offset:256
	s_addc_u32 s4, s8, s5
	ds_read_b128 v[8:11], v0 offset:128
	ds_read_b128 v[12:15], v0
	v_add_u32_e32 v18, s29, v1
	v_mov_b32_e32 v3, s4
	v_add_co_u32_e32 v2, vcc, s1, v42
	v_mad_u64_u32 v[16:17], s[4:5], v18, s0, 0
	v_addc_co_u32_e32 v3, vcc, v3, v43, vcc
	v_lshlrev_b64 v[16:17], 1, v[16:17]
	v_add_co_u32_e32 v16, vcc, v2, v16
	v_addc_co_u32_e32 v17, vcc, v3, v17, vcc
	s_waitcnt lgkmcnt(0)
	global_store_dwordx4 v[16:17], v[12:15], off
	s_nop 0
	v_add_u32_e32 v12, 4, v18
	v_mad_u64_u32 v[12:13], s[4:5], v12, s0, 0
	v_lshlrev_b64 v[12:13], 1, v[12:13]
	v_add_co_u32_e32 v12, vcc, v2, v12
	v_addc_co_u32_e32 v13, vcc, v3, v13, vcc
	global_store_dwordx4 v[12:13], v[8:11], off
	s_nop 0
	v_add_u32_e32 v8, 8, v18
	v_mad_u64_u32 v[8:9], s[4:5], v8, s0, 0
	v_lshlrev_b64 v[8:9], 1, v[8:9]
	v_add_co_u32_e32 v8, vcc, v2, v8
	v_addc_co_u32_e32 v9, vcc, v3, v9, vcc
	global_store_dwordx4 v[8:9], v[4:7], off
	s_and_b64 exec, exec, s[2:3]
	s_cbranch_execz .LBB260_22
; %bb.21:
	ds_read_b128 v[4:7], v0 offset:384
	v_add3_u32 v0, s29, v1, 12
	v_mad_u64_u32 v[0:1], s[0:1], v0, s0, 0
	v_lshlrev_b64 v[0:1], 1, v[0:1]
	v_add_co_u32_e32 v0, vcc, v2, v0
	v_addc_co_u32_e32 v1, vcc, v3, v1, vcc
	s_waitcnt lgkmcnt(0)
	global_store_dwordx4 v[0:1], v[4:7], off
.LBB260_22:
	s_endpgm
	.section	.rodata,"a",@progbits
	.p2align	6, 0x0
	.amdhsa_kernel _Z39paged_attention_ll4mi_QKV_mfma16_kernelI14__hip_bfloat16S0_LN4vllm18Fp8KVCacheDataTypeE0ES0_Li32ELi64ELi256ELb1ELi13EL8MFMAType0EEvPKT_PKT0_S9_ifPKiSB_SB_iPKfiiiPfSE_PS4_PT2_iSD_SD_
		.amdhsa_group_segment_fixed_size 8192
		.amdhsa_private_segment_fixed_size 0
		.amdhsa_kernarg_size 400
		.amdhsa_user_sgpr_count 6
		.amdhsa_user_sgpr_private_segment_buffer 1
		.amdhsa_user_sgpr_dispatch_ptr 0
		.amdhsa_user_sgpr_queue_ptr 0
		.amdhsa_user_sgpr_kernarg_segment_ptr 1
		.amdhsa_user_sgpr_dispatch_id 0
		.amdhsa_user_sgpr_flat_scratch_init 0
		.amdhsa_user_sgpr_kernarg_preload_length 0
		.amdhsa_user_sgpr_kernarg_preload_offset 0
		.amdhsa_user_sgpr_private_segment_size 0
		.amdhsa_uses_dynamic_stack 0
		.amdhsa_system_sgpr_private_segment_wavefront_offset 0
		.amdhsa_system_sgpr_workgroup_id_x 1
		.amdhsa_system_sgpr_workgroup_id_y 1
		.amdhsa_system_sgpr_workgroup_id_z 1
		.amdhsa_system_sgpr_workgroup_info 0
		.amdhsa_system_vgpr_workitem_id 0
		.amdhsa_next_free_vgpr 66
		.amdhsa_next_free_sgpr 48
		.amdhsa_accum_offset 68
		.amdhsa_reserve_vcc 1
		.amdhsa_reserve_flat_scratch 0
		.amdhsa_float_round_mode_32 0
		.amdhsa_float_round_mode_16_64 0
		.amdhsa_float_denorm_mode_32 3
		.amdhsa_float_denorm_mode_16_64 3
		.amdhsa_dx10_clamp 1
		.amdhsa_ieee_mode 1
		.amdhsa_fp16_overflow 0
		.amdhsa_tg_split 0
		.amdhsa_exception_fp_ieee_invalid_op 0
		.amdhsa_exception_fp_denorm_src 0
		.amdhsa_exception_fp_ieee_div_zero 0
		.amdhsa_exception_fp_ieee_overflow 0
		.amdhsa_exception_fp_ieee_underflow 0
		.amdhsa_exception_fp_ieee_inexact 0
		.amdhsa_exception_int_div_zero 0
	.end_amdhsa_kernel
	.section	.text._Z39paged_attention_ll4mi_QKV_mfma16_kernelI14__hip_bfloat16S0_LN4vllm18Fp8KVCacheDataTypeE0ES0_Li32ELi64ELi256ELb1ELi13EL8MFMAType0EEvPKT_PKT0_S9_ifPKiSB_SB_iPKfiiiPfSE_PS4_PT2_iSD_SD_,"axG",@progbits,_Z39paged_attention_ll4mi_QKV_mfma16_kernelI14__hip_bfloat16S0_LN4vllm18Fp8KVCacheDataTypeE0ES0_Li32ELi64ELi256ELb1ELi13EL8MFMAType0EEvPKT_PKT0_S9_ifPKiSB_SB_iPKfiiiPfSE_PS4_PT2_iSD_SD_,comdat
.Lfunc_end260:
	.size	_Z39paged_attention_ll4mi_QKV_mfma16_kernelI14__hip_bfloat16S0_LN4vllm18Fp8KVCacheDataTypeE0ES0_Li32ELi64ELi256ELb1ELi13EL8MFMAType0EEvPKT_PKT0_S9_ifPKiSB_SB_iPKfiiiPfSE_PS4_PT2_iSD_SD_, .Lfunc_end260-_Z39paged_attention_ll4mi_QKV_mfma16_kernelI14__hip_bfloat16S0_LN4vllm18Fp8KVCacheDataTypeE0ES0_Li32ELi64ELi256ELb1ELi13EL8MFMAType0EEvPKT_PKT0_S9_ifPKiSB_SB_iPKfiiiPfSE_PS4_PT2_iSD_SD_
                                        ; -- End function
	.section	.AMDGPU.csdata,"",@progbits
; Kernel info:
; codeLenInByte = 4720
; NumSgprs: 52
; NumVgprs: 66
; NumAgprs: 0
; TotalNumVgprs: 66
; ScratchSize: 0
; MemoryBound: 0
; FloatMode: 240
; IeeeMode: 1
; LDSByteSize: 8192 bytes/workgroup (compile time only)
; SGPRBlocks: 6
; VGPRBlocks: 8
; NumSGPRsForWavesPerEU: 52
; NumVGPRsForWavesPerEU: 66
; AccumOffset: 68
; Occupancy: 7
; WaveLimiterHint : 1
; COMPUTE_PGM_RSRC2:SCRATCH_EN: 0
; COMPUTE_PGM_RSRC2:USER_SGPR: 6
; COMPUTE_PGM_RSRC2:TRAP_HANDLER: 0
; COMPUTE_PGM_RSRC2:TGID_X_EN: 1
; COMPUTE_PGM_RSRC2:TGID_Y_EN: 1
; COMPUTE_PGM_RSRC2:TGID_Z_EN: 1
; COMPUTE_PGM_RSRC2:TIDIG_COMP_CNT: 0
; COMPUTE_PGM_RSRC3_GFX90A:ACCUM_OFFSET: 16
; COMPUTE_PGM_RSRC3_GFX90A:TG_SPLIT: 0
	.section	.text._Z39paged_attention_ll4mi_QKV_mfma16_kernelI14__hip_bfloat16S0_LN4vllm18Fp8KVCacheDataTypeE0ES0_Li32ELi64ELi256ELb1ELi14EL8MFMAType0EEvPKT_PKT0_S9_ifPKiSB_SB_iPKfiiiPfSE_PS4_PT2_iSD_SD_,"axG",@progbits,_Z39paged_attention_ll4mi_QKV_mfma16_kernelI14__hip_bfloat16S0_LN4vllm18Fp8KVCacheDataTypeE0ES0_Li32ELi64ELi256ELb1ELi14EL8MFMAType0EEvPKT_PKT0_S9_ifPKiSB_SB_iPKfiiiPfSE_PS4_PT2_iSD_SD_,comdat
	.protected	_Z39paged_attention_ll4mi_QKV_mfma16_kernelI14__hip_bfloat16S0_LN4vllm18Fp8KVCacheDataTypeE0ES0_Li32ELi64ELi256ELb1ELi14EL8MFMAType0EEvPKT_PKT0_S9_ifPKiSB_SB_iPKfiiiPfSE_PS4_PT2_iSD_SD_ ; -- Begin function _Z39paged_attention_ll4mi_QKV_mfma16_kernelI14__hip_bfloat16S0_LN4vllm18Fp8KVCacheDataTypeE0ES0_Li32ELi64ELi256ELb1ELi14EL8MFMAType0EEvPKT_PKT0_S9_ifPKiSB_SB_iPKfiiiPfSE_PS4_PT2_iSD_SD_
	.globl	_Z39paged_attention_ll4mi_QKV_mfma16_kernelI14__hip_bfloat16S0_LN4vllm18Fp8KVCacheDataTypeE0ES0_Li32ELi64ELi256ELb1ELi14EL8MFMAType0EEvPKT_PKT0_S9_ifPKiSB_SB_iPKfiiiPfSE_PS4_PT2_iSD_SD_
	.p2align	8
	.type	_Z39paged_attention_ll4mi_QKV_mfma16_kernelI14__hip_bfloat16S0_LN4vllm18Fp8KVCacheDataTypeE0ES0_Li32ELi64ELi256ELb1ELi14EL8MFMAType0EEvPKT_PKT0_S9_ifPKiSB_SB_iPKfiiiPfSE_PS4_PT2_iSD_SD_,@function
_Z39paged_attention_ll4mi_QKV_mfma16_kernelI14__hip_bfloat16S0_LN4vllm18Fp8KVCacheDataTypeE0ES0_Li32ELi64ELi256ELb1ELi14EL8MFMAType0EEvPKT_PKT0_S9_ifPKiSB_SB_iPKfiiiPfSE_PS4_PT2_iSD_SD_: ; @_Z39paged_attention_ll4mi_QKV_mfma16_kernelI14__hip_bfloat16S0_LN4vllm18Fp8KVCacheDataTypeE0ES0_Li32ELi64ELi256ELb1ELi14EL8MFMAType0EEvPKT_PKT0_S9_ifPKiSB_SB_iPKfiiiPfSE_PS4_PT2_iSD_SD_
; %bb.0:
	s_load_dwordx2 s[0:1], s[4:5], 0x30
	s_mov_b32 s28, s7
	s_mov_b64 s[10:11], 0
	s_waitcnt lgkmcnt(0)
	s_cmp_lg_u64 s[0:1], 0
	s_cselect_b64 s[2:3], -1, 0
	s_and_b64 vcc, exec, s[2:3]
	s_cbranch_vccz .LBB261_7
; %bb.1:
	s_add_i32 s12, s6, 1
	s_mov_b32 s13, 0
	s_lshl_b64 s[14:15], s[12:13], 2
	s_add_u32 s14, s0, s14
	s_mov_b32 s7, s13
	s_addc_u32 s15, s1, s15
	s_lshl_b64 s[12:13], s[6:7], 2
	s_add_u32 s12, s0, s12
	s_addc_u32 s13, s1, s13
	s_load_dword s9, s[14:15], 0x0
	s_load_dword s16, s[12:13], 0x0
	s_waitcnt lgkmcnt(0)
	s_sub_i32 s9, s9, s16
	s_cmp_eq_u32 s9, 1
	s_cselect_b64 s[12:13], -1, 0
	s_andn2_b64 vcc, exec, s[10:11]
	s_cbranch_vccnz .LBB261_3
.LBB261_2:
	s_mov_b32 s7, 0
	s_mov_b64 s[12:13], -1
.LBB261_3:
	s_andn2_b64 vcc, exec, s[12:13]
	s_cbranch_vccnz .LBB261_22
; %bb.4:
	s_load_dwordx2 s[12:13], s[4:5], 0x28
	s_lshl_b64 s[10:11], s[6:7], 2
	s_waitcnt lgkmcnt(0)
	s_add_u32 s12, s12, s10
	s_addc_u32 s13, s13, s11
	s_load_dword s33, s[12:13], 0x0
	s_lshl_b32 s14, s28, 8
	s_waitcnt lgkmcnt(0)
	s_cmp_ge_i32 s14, s33
	s_cbranch_scc1 .LBB261_22
; %bb.5:
	s_add_i32 s15, s33, 31
	s_load_dwordx2 s[12:13], s[4:5], 0x20
	s_load_dword s9, s[4:5], 0x38
	s_ashr_i32 s16, s15, 31
	v_and_b32_e32 v1, 0xcf, v0
	s_lshr_b32 s16, s16, 27
	v_add_u32_e32 v1, s14, v1
	s_add_i32 s15, s15, s16
	v_ashrrev_i32_e32 v2, 31, v1
	s_ashr_i32 s17, s15, 5
	v_lshrrev_b32_e32 v6, 27, v2
	s_add_i32 s17, s17, -1
	v_add_u32_e32 v2, v1, v6
	s_waitcnt lgkmcnt(0)
	s_mul_i32 s18, s6, s9
	s_mov_b32 s19, 0
	v_ashrrev_i32_e32 v2, 5, v2
	v_mov_b32_e32 v7, s17
	v_cmp_gt_i32_e32 vcc, s33, v1
	s_lshl_b64 s[18:19], s[18:19], 2
	v_cndmask_b32_e32 v2, v7, v2, vcc
	s_add_u32 s15, s12, s18
	v_ashrrev_i32_e32 v3, 31, v2
	s_addc_u32 s16, s13, s19
	v_lshlrev_b64 v[2:3], 2, v[2:3]
	v_mov_b32_e32 v4, s16
	v_add_co_u32_e32 v2, vcc, s15, v2
	v_addc_co_u32_e32 v3, vcc, v4, v3, vcc
	v_or_b32_e32 v4, 16, v1
	v_add_u32_e32 v5, v4, v6
	v_ashrrev_i32_e32 v5, 5, v5
	v_cmp_gt_i32_e32 vcc, s33, v4
	v_cndmask_b32_e32 v4, v7, v5, vcc
	v_ashrrev_i32_e32 v5, 31, v4
	v_lshlrev_b64 v[4:5], 2, v[4:5]
	v_mov_b32_e32 v9, s16
	v_add_co_u32_e32 v8, vcc, s15, v4
	v_or_b32_e32 v4, 32, v1
	v_addc_co_u32_e32 v9, vcc, v9, v5, vcc
	v_add_u32_e32 v5, v4, v6
	v_ashrrev_i32_e32 v5, 5, v5
	v_cmp_gt_i32_e32 vcc, s33, v4
	v_cndmask_b32_e32 v4, v7, v5, vcc
	v_ashrrev_i32_e32 v5, 31, v4
	v_lshlrev_b64 v[4:5], 2, v[4:5]
	v_mov_b32_e32 v11, s16
	v_add_co_u32_e32 v10, vcc, s15, v4
	v_or_b32_e32 v1, 48, v1
	v_addc_co_u32_e32 v11, vcc, v11, v5, vcc
	v_add_u32_e32 v4, v1, v6
	v_ashrrev_i32_e32 v4, 5, v4
	v_cmp_gt_i32_e32 vcc, s33, v1
	v_cndmask_b32_e32 v4, v7, v4, vcc
	v_ashrrev_i32_e32 v5, 31, v4
	v_lshlrev_b64 v[4:5], 2, v[4:5]
	v_mov_b32_e32 v1, s16
	v_add_co_u32_e32 v12, vcc, s15, v4
	v_addc_co_u32_e32 v13, vcc, v1, v5, vcc
	global_load_dword v7, v[2:3], off
	global_load_dword v6, v[8:9], off
	;; [unrolled: 1-line block ×4, first 2 shown]
	s_andn2_b64 vcc, exec, s[2:3]
	s_cbranch_vccnz .LBB261_8
; %bb.6:
	s_add_u32 s0, s0, s10
	s_addc_u32 s1, s1, s11
	s_load_dword s9, s[0:1], 0x0
	s_branch .LBB261_9
.LBB261_7:
	s_mov_b64 s[12:13], 0
	s_branch .LBB261_2
.LBB261_8:
	s_mov_b32 s9, s6
.LBB261_9:
	s_load_dwordx2 s[10:11], s[4:5], 0x8
	s_load_dwordx4 s[44:47], s[4:5], 0x48
	v_lshrrev_b32_e32 v53, 6, v0
	v_bfe_u32 v1, v0, 4, 2
	v_lshl_or_b32 v8, v53, 2, v1
	v_and_b32_e32 v52, 15, v0
	v_cmp_lt_u32_e32 vcc, 13, v8
	v_cmp_lt_u32_e64 s[2:3], 7, v52
	v_lshlrev_b32_e32 v2, 3, v52
	v_cmp_gt_u32_e64 s[0:1], 8, v52
	s_or_b64 s[2:3], s[2:3], vcc
	s_and_saveexec_b64 s[12:13], s[2:3]
	s_xor_b64 s[2:3], exec, s[12:13]
; %bb.10:
	v_mov_b32_e32 v3, 0
                                        ; implicit-def: $vgpr8
; %bb.11:
	s_or_saveexec_b64 s[12:13], s[2:3]
	s_load_dwordx2 s[2:3], s[4:5], 0x10
	s_mul_i32 s29, s8, 14
	s_xor_b64 exec, exec, s[12:13]
	s_cbranch_execz .LBB261_13
; %bb.12:
	s_load_dwordx2 s[18:19], s[4:5], 0x0
	s_waitcnt lgkmcnt(0)
	s_ashr_i32 s20, s44, 31
	s_mul_hi_u32 s21, s9, s44
	s_mul_i32 s20, s9, s20
	s_add_i32 s21, s21, s20
	s_mul_i32 s20, s9, s44
	s_lshl_b64 s[20:21], s[20:21], 1
	v_add_lshl_u32 v10, v8, s29, 6
	s_add_u32 s9, s18, s20
	v_ashrrev_i32_e32 v11, 31, v10
	s_addc_u32 s18, s19, s21
	v_lshlrev_b64 v[10:11], 1, v[10:11]
	v_mov_b32_e32 v3, s18
	v_add_co_u32_e32 v9, vcc, s9, v10
	v_addc_co_u32_e32 v3, vcc, v3, v11, vcc
	v_lshlrev_b32_e32 v10, 1, v2
	v_add_co_u32_e32 v10, vcc, v9, v10
	v_addc_co_u32_e32 v11, vcc, 0, v3, vcc
	global_load_dwordx4 v[10:13], v[10:11], off
	v_and_b32_e32 v9, 3, v0
	v_lshlrev_b32_e32 v14, 9, v52
	v_lshlrev_b32_e32 v8, 5, v8
	;; [unrolled: 1-line block ×3, first 2 shown]
	v_and_b32_e32 v14, 0x1800, v14
	v_mov_b32_e32 v3, 0
	v_or3_b32 v8, v14, v9, v8
	s_waitcnt vmcnt(0)
	ds_write_b128 v8, v[10:13]
.LBB261_13:
	s_or_b64 exec, exec, s[12:13]
	s_waitcnt lgkmcnt(0)
	s_mul_i32 s8, s8, s46
	s_mov_b32 s9, 0
	s_lshl_b64 s[8:9], s[8:9], 1
	s_add_u32 s12, s10, s8
	s_addc_u32 s13, s11, s9
	s_waitcnt vmcnt(3)
	v_mad_i64_i32 v[8:9], s[10:11], v7, s45, 0
	v_lshlrev_b64 v[8:9], 1, v[8:9]
	v_mov_b32_e32 v7, s13
	v_add_co_u32_e32 v8, vcc, s12, v8
	v_addc_co_u32_e32 v7, vcc, v7, v9, vcc
	v_lshlrev_b64 v[42:43], 1, v[2:3]
	v_add_co_u32_e32 v2, vcc, v8, v42
	v_lshlrev_b32_e32 v24, 9, v1
	v_addc_co_u32_e32 v3, vcc, v7, v43, vcc
	v_add_co_u32_e32 v2, vcc, v2, v24
	v_addc_co_u32_e32 v3, vcc, 0, v3, vcc
	s_barrier
	global_load_dwordx4 v[38:41], v[2:3], off
	global_load_dwordx4 v[34:37], v[2:3], off offset:2048
	s_waitcnt vmcnt(4)
	v_mad_i64_i32 v[2:3], s[10:11], v6, s45, 0
	v_lshlrev_b64 v[2:3], 1, v[2:3]
	v_mov_b32_e32 v6, s13
	v_add_co_u32_e32 v2, vcc, s12, v2
	v_addc_co_u32_e32 v3, vcc, v6, v3, vcc
	v_mov_b32_e32 v6, 0x100
	v_lshl_or_b32 v18, v52, 4, v6
	v_add_co_u32_e32 v2, vcc, v2, v18
	v_addc_co_u32_e32 v3, vcc, 0, v3, vcc
	v_add_co_u32_e32 v2, vcc, v2, v24
	v_addc_co_u32_e32 v3, vcc, 0, v3, vcc
	global_load_dwordx4 v[30:33], v[2:3], off
	global_load_dwordx4 v[14:17], v[2:3], off offset:2048
	s_waitcnt vmcnt(5)
	v_mad_i64_i32 v[2:3], s[10:11], v5, s45, 0
	v_lshlrev_b64 v[2:3], 1, v[2:3]
	v_mov_b32_e32 v5, s13
	v_add_co_u32_e32 v2, vcc, s12, v2
	v_addc_co_u32_e32 v3, vcc, v5, v3, vcc
	v_add_co_u32_e32 v2, vcc, v2, v42
	v_addc_co_u32_e32 v3, vcc, v3, v43, vcc
	;; [unrolled: 2-line block ×3, first 2 shown]
	global_load_dwordx4 v[10:13], v[2:3], off
	global_load_dwordx4 v[6:9], v[2:3], off offset:2048
	s_waitcnt vmcnt(6)
	v_mad_i64_i32 v[2:3], s[10:11], v4, s45, 0
	v_lshlrev_b64 v[2:3], 1, v[2:3]
	v_mov_b32_e32 v4, s13
	v_add_co_u32_e32 v2, vcc, s12, v2
	v_addc_co_u32_e32 v3, vcc, v4, v3, vcc
	v_add_co_u32_e32 v2, vcc, v2, v18
	v_addc_co_u32_e32 v3, vcc, 0, v3, vcc
	;; [unrolled: 2-line block ×3, first 2 shown]
	global_load_dwordx4 v[2:5], v[22:23], off
	global_load_dwordx4 v[18:21], v[22:23], off offset:2048
	v_add_u32_e32 v22, -14, v52
	v_cmp_gt_u32_e32 vcc, 14, v52
	v_cndmask_b32_e32 v22, v22, v52, vcc
	v_lshl_add_u32 v22, v22, 5, v24
	ds_read_b128 v[26:29], v22
	ds_read_b128 v[22:25], v22 offset:2048
	v_and_b32_e32 v54, 63, v0
	v_mov_b32_e32 v50, 0
	s_and_saveexec_b64 s[10:11], vcc
	s_cbranch_execz .LBB261_15
; %bb.14:
	s_load_dwordx2 s[12:13], s[4:5], 0x40
	v_add_u32_e32 v44, s29, v52
	v_ashrrev_i32_e32 v45, 31, v44
	v_lshlrev_b64 v[44:45], 2, v[44:45]
	s_waitcnt lgkmcnt(0)
	v_mov_b32_e32 v46, s13
	v_add_co_u32_e32 v44, vcc, s12, v44
	v_addc_co_u32_e32 v45, vcc, v46, v45, vcc
	global_load_dword v50, v[44:45], off
.LBB261_15:
	s_or_b64 exec, exec, s[10:11]
	s_waitcnt vmcnt(7) lgkmcnt(1)
	v_mfma_f32_16x16x16bf16_1k v[44:47], v[38:39], v[26:27], 0
	s_ashr_i32 s10, s14, 31
	s_lshr_b32 s11, s10, 27
	v_mov_b32_e32 v49, s16
	s_add_u32 s2, s2, s8
	s_addc_u32 s3, s3, s9
	s_load_dword s10, s[4:5], 0x1c
	s_mov_b32 s42, 0xff7fffff
	v_mfma_f32_16x16x16bf16_1k v[38:41], v[40:41], v[28:29], v[44:47]
	s_waitcnt vmcnt(6) lgkmcnt(0)
	v_mfma_f32_16x16x16bf16_1k v[38:41], v[34:35], v[22:23], v[38:41]
	s_nop 4
	v_and_or_b32 v46, v0, 48, s14
	v_add_u32_e32 v34, s11, v46
	v_ashrrev_i32_e32 v34, 5, v34
	v_mov_b32_e32 v47, s17
	v_cmp_gt_i32_e32 vcc, s33, v46
	v_cndmask_b32_e32 v34, v47, v34, vcc
	v_ashrrev_i32_e32 v35, 31, v34
	v_lshlrev_b64 v[44:45], 2, v[34:35]
	v_mfma_f32_16x16x16bf16_1k v[34:37], v[36:37], v[24:25], v[38:41]
	s_nop 6
	v_mov_b32_e32 v39, s16
	v_add_co_u32_e32 v38, vcc, s15, v44
	v_addc_co_u32_e32 v39, vcc, v39, v45, vcc
	global_load_dword v48, v[38:39], off
	s_waitcnt vmcnt(6)
	v_mfma_f32_16x16x16bf16_1k v[38:41], v[30:31], v[26:27], 0
	v_or_b32_e32 v44, 64, v46
	v_add_u32_e32 v30, s11, v44
	v_ashrrev_i32_e32 v30, 5, v30
	v_cmp_gt_i32_e32 vcc, s33, v44
	v_cndmask_b32_e32 v30, v47, v30, vcc
	v_ashrrev_i32_e32 v31, 31, v30
	v_lshlrev_b64 v[44:45], 2, v[30:31]
	v_mfma_f32_16x16x16bf16_1k v[30:33], v[32:33], v[28:29], v[38:41]
	s_nop 6
	v_add_co_u32_e32 v38, vcc, s15, v44
	v_addc_co_u32_e32 v39, vcc, v49, v45, vcc
	global_load_dword v40, v[38:39], off
	v_or_b32_e32 v38, 0x80, v46
	v_add_u32_e32 v39, s11, v38
	v_ashrrev_i32_e32 v39, 5, v39
	v_cmp_gt_i32_e32 vcc, s33, v38
	v_cndmask_b32_e32 v38, v47, v39, vcc
	v_ashrrev_i32_e32 v39, 31, v38
	s_waitcnt vmcnt(6)
	v_mfma_f32_16x16x16bf16_1k v[30:33], v[14:15], v[22:23], v[30:33]
	v_lshlrev_b64 v[14:15], 2, v[38:39]
	v_mov_b32_e32 v38, s16
	v_add_co_u32_e32 v14, vcc, s15, v14
	v_addc_co_u32_e32 v15, vcc, v38, v15, vcc
	global_load_dword v41, v[14:15], off
	v_mfma_f32_16x16x16bf16_1k v[30:33], v[16:17], v[24:25], v[30:33]
	v_or_b32_e32 v38, 0xc0, v46
	v_cmp_gt_i32_e32 vcc, s33, v38
	v_mov_b32_e32 v44, s16
	s_waitcnt vmcnt(6)
	v_mfma_f32_16x16x16bf16_1k v[14:17], v[10:11], v[26:27], 0
	v_add_u32_e32 v10, s11, v38
	v_ashrrev_i32_e32 v10, 5, v10
	v_cndmask_b32_e32 v10, v47, v10, vcc
	v_ashrrev_i32_e32 v11, 31, v10
	v_lshlrev_b64 v[38:39], 2, v[10:11]
	s_nop 0
	v_pk_mul_f32 v[46:47], s[10:11], v[30:31] op_sel_hi:[0,1]
	v_mfma_f32_16x16x16bf16_1k v[10:13], v[12:13], v[28:29], v[14:17]
	s_nop 6
	v_add_co_u32_e32 v14, vcc, s15, v38
	s_waitcnt vmcnt(5)
	v_mfma_f32_16x16x16bf16_1k v[10:13], v[6:7], v[22:23], v[10:13]
	v_addc_co_u32_e32 v15, vcc, v44, v39, vcc
	global_load_dword v51, v[14:15], off
	v_and_b32_e32 v14, 16, v0
	v_lshlrev_b32_e32 v14, 1, v14
	v_mov_b32_e32 v6, s3
	v_add_co_u32_e32 v7, vcc, s2, v14
	v_lshlrev_b32_e32 v14, 6, v52
	v_addc_co_u32_e32 v6, vcc, 0, v6, vcc
	v_lshl_or_b32 v14, v53, 10, v14
	v_add_co_u32_e32 v55, vcc, v7, v14
	v_addc_co_u32_e32 v60, vcc, 0, v6, vcc
	v_mfma_f32_16x16x16bf16_1k v[56:59], v[8:9], v[24:25], v[10:13]
	s_waitcnt vmcnt(3)
	v_mad_i64_i32 v[6:7], s[2:3], v48, s45, 0
	v_pk_mul_f32 v[48:49], s[10:11], v[36:37] op_sel_hi:[0,1]
	v_pk_mul_f32 v[44:45], s[10:11], v[32:33] op_sel_hi:[0,1]
	s_waitcnt vmcnt(1)
	v_mad_i64_i32 v[38:39], s[2:3], v41, s45, 0
	s_nop 0
	v_lshlrev_b64 v[10:11], 1, v[6:7]
	v_mfma_f32_16x16x16bf16_1k v[6:9], v[2:3], v[26:27], 0
	v_add_co_u32_e32 v2, vcc, v55, v10
	v_addc_co_u32_e32 v3, vcc, v60, v11, vcc
	global_load_dwordx4 v[14:17], v[2:3], off
	global_load_dwordx4 v[10:13], v[2:3], off offset:16
	v_mad_i64_i32 v[2:3], s[2:3], v40, s45, 0
	v_mfma_f32_16x16x16bf16_1k v[26:29], v[4:5], v[28:29], v[6:9]
	v_lshlrev_b64 v[2:3], 1, v[2:3]
	v_add_co_u32_e32 v2, vcc, v55, v2
	v_addc_co_u32_e32 v3, vcc, v60, v3, vcc
	v_lshlrev_b64 v[38:39], 1, v[38:39]
	v_pk_mul_f32 v[40:41], s[10:11], v[56:57] op_sel_hi:[0,1]
	v_mfma_f32_16x16x16bf16_1k v[26:29], v[18:19], v[22:23], v[26:29]
	v_pk_mul_f32 v[18:19], s[10:11], v[34:35] op_sel_hi:[0,1]
	v_add_co_u32_e32 v22, vcc, v55, v38
	v_addc_co_u32_e32 v23, vcc, v60, v39, vcc
	v_pk_mul_f32 v[38:39], s[10:11], v[58:59] op_sel_hi:[0,1]
	global_load_dwordx4 v[6:9], v[2:3], off
	s_nop 0
	global_load_dwordx4 v[2:5], v[2:3], off offset:16
	v_mfma_f32_16x16x16bf16_1k v[24:27], v[20:21], v[24:25], v[26:29]
	v_and_b32_e32 v20, 0xc0, v0
	v_add_u32_e32 v20, s14, v20
	v_lshl_or_b32 v20, v1, 2, v20
	v_or_b32_e32 v21, 1, v20
	v_cmp_gt_i32_e64 s[30:31], s33, v20
	v_cmp_gt_i32_e64 s[34:35], s33, v21
	s_nop 4
	v_pk_mul_f32 v[36:37], s[10:11], v[24:25] op_sel_hi:[0,1]
	v_subrev_u32_e32 v24, s33, v21
	v_pk_mul_f32 v[34:35], s[10:11], v[26:27] op_sel_hi:[0,1]
	v_add_u32_e32 v26, 1, v24
	v_add_u32_e32 v27, 2, v24
	v_cvt_f32_i32_e32 v25, v24
	v_cvt_f32_i32_e32 v26, v26
	v_cvt_f32_i32_e32 v27, v27
	v_add_u32_e32 v28, 3, v24
	v_fma_f32 v18, v50, v25, v18
	v_fmac_f32_e32 v19, v50, v26
	v_fma_f32 v48, v50, v27, v48
	v_add_u32_e32 v25, 16, v24
	v_add_u32_e32 v26, 17, v24
	;; [unrolled: 1-line block ×3, first 2 shown]
	v_cvt_f32_i32_e32 v28, v28
	v_cvt_f32_i32_e32 v25, v25
	;; [unrolled: 1-line block ×4, first 2 shown]
	v_fmac_f32_e32 v49, v50, v28
	v_add_u32_e32 v28, 19, v24
	v_fma_f32 v46, v50, v25, v46
	v_fmac_f32_e32 v47, v50, v26
	v_fma_f32 v44, v50, v27, v44
	v_add_u32_e32 v25, 32, v24
	v_add_u32_e32 v26, 33, v24
	;; [unrolled: 1-line block ×3, first 2 shown]
	v_cvt_f32_i32_e32 v28, v28
	v_cvt_f32_i32_e32 v25, v25
	;; [unrolled: 1-line block ×4, first 2 shown]
	v_fmac_f32_e32 v45, v50, v28
	v_add_u32_e32 v28, 35, v24
	v_fma_f32 v40, v50, v25, v40
	v_fmac_f32_e32 v41, v50, v26
	v_fma_f32 v38, v50, v27, v38
	v_add_u32_e32 v25, 48, v24
	v_add_u32_e32 v26, 49, v24
	v_add_u32_e32 v27, 50, v24
	v_add_u32_e32 v24, 51, v24
	v_cvt_f32_i32_e32 v24, v24
	v_cvt_f32_i32_e32 v25, v25
	;; [unrolled: 1-line block ×4, first 2 shown]
	v_fmac_f32_e32 v35, v50, v24
	v_mov_b32_e32 v24, 0xff7fffff
	v_fma_f32 v36, v50, v25, v36
	v_cndmask_b32_e64 v25, v24, v18, s[30:31]
	v_cndmask_b32_e64 v21, v24, v19, s[34:35]
	v_fmac_f32_e32 v37, v50, v26
	v_max3_f32 v21, v25, s42, v21
	v_or_b32_e32 v25, 2, v20
	v_or_b32_e32 v26, 3, v20
	v_cmp_gt_i32_e64 s[36:37], s33, v25
	v_cmp_gt_i32_e64 s[38:39], s33, v26
	v_cndmask_b32_e64 v25, v24, v48, s[36:37]
	v_cndmask_b32_e64 v26, v24, v49, s[38:39]
	v_max3_f32 v21, v21, v25, v26
	v_or_b32_e32 v25, 16, v20
	v_or_b32_e32 v26, 17, v20
	v_cmp_gt_i32_e64 s[24:25], s33, v25
	v_cmp_gt_i32_e64 s[26:27], s33, v26
	v_cndmask_b32_e64 v25, v24, v46, s[24:25]
	v_cndmask_b32_e64 v26, v24, v47, s[26:27]
	;; [unrolled: 7-line block ×4, first 2 shown]
	v_max3_f32 v21, v21, v25, v26
	v_or_b32_e32 v25, 34, v20
	v_or_b32_e32 v26, 35, v20
	v_fmac_f32_e32 v39, v50, v28
	v_cmp_gt_i32_e64 s[12:13], s33, v25
	v_cmp_gt_i32_e64 s[14:15], s33, v26
	v_cndmask_b32_e64 v25, v24, v38, s[12:13]
	v_cndmask_b32_e64 v26, v24, v39, s[14:15]
	v_cvt_f32_i32_e32 v27, v27
	v_max3_f32 v21, v21, v25, v26
	v_or_b32_e32 v25, 48, v20
	v_or_b32_e32 v26, 49, v20
	v_cmp_gt_i32_e64 s[8:9], s33, v25
	v_cmp_gt_i32_e64 s[10:11], s33, v26
	v_cndmask_b32_e64 v25, v24, v36, s[8:9]
	v_cndmask_b32_e64 v26, v24, v37, s[10:11]
	v_max3_f32 v21, v21, v25, v26
	v_or_b32_e32 v25, 50, v20
	v_or_b32_e32 v20, 51, v20
	v_fma_f32 v34, v50, v27, v34
	v_cmp_gt_i32_e32 vcc, s33, v25
	v_cmp_gt_i32_e64 s[2:3], s33, v20
	v_cndmask_b32_e32 v25, v24, v34, vcc
	v_cndmask_b32_e64 v20, v24, v35, s[2:3]
	v_max3_f32 v26, v21, v25, v20
	v_mbcnt_lo_u32_b32 v20, -1, 0
	v_mbcnt_hi_u32_b32 v27, -1, v20
	v_and_b32_e32 v20, 64, v27
	v_add_u32_e32 v28, 64, v20
	v_xor_b32_e32 v20, 32, v27
	v_cmp_lt_i32_e64 s[40:41], v20, v28
	v_cndmask_b32_e64 v20, v27, v20, s[40:41]
	v_lshlrev_b32_e32 v56, 2, v20
	ds_bpermute_b32 v29, v56, v26
	s_waitcnt vmcnt(4)
	v_mad_i64_i32 v[20:21], s[40:41], v51, s45, 0
	v_lshlrev_b64 v[20:21], 1, v[20:21]
	global_load_dwordx4 v[30:33], v[22:23], off
	s_nop 0
	global_load_dwordx4 v[22:25], v[22:23], off offset:16
	s_waitcnt lgkmcnt(0)
	v_max_f32_e32 v29, v29, v29
	v_max_f32_e32 v26, v26, v29
	v_xor_b32_e32 v29, 16, v27
	v_cmp_lt_i32_e64 s[40:41], v29, v28
	v_cndmask_b32_e64 v27, v27, v29, s[40:41]
	v_lshlrev_b32_e32 v58, 2, v27
	ds_bpermute_b32 v27, v58, v26
	v_add_co_u32_e64 v20, s[40:41], v55, v20
	v_addc_co_u32_e64 v21, s[40:41], v60, v21, s[40:41]
	s_waitcnt lgkmcnt(0)
	v_max_f32_e32 v27, v27, v27
	v_max_f32_e32 v55, v26, v27
	v_sub_f32_e32 v18, v18, v55
	v_mul_f32_e32 v18, 0x3fb8aa3b, v18
	v_exp_f32_e32 v50, v18
	v_sub_f32_e32 v18, v19, v55
	v_mul_f32_e32 v18, 0x3fb8aa3b, v18
	v_exp_f32_e32 v51, v18
	global_load_dwordx4 v[26:29], v[20:21], off
	s_nop 0
	global_load_dwordx4 v[18:21], v[20:21], off offset:16
	v_sub_f32_e32 v48, v48, v55
	v_mul_f32_e32 v48, 0x3fb8aa3b, v48
	v_sub_f32_e32 v49, v49, v55
	v_exp_f32_e32 v48, v48
	v_mul_f32_e32 v49, 0x3fb8aa3b, v49
	v_sub_f32_e32 v46, v46, v55
	v_exp_f32_e32 v49, v49
	v_mul_f32_e32 v46, 0x3fb8aa3b, v46
	v_sub_f32_e32 v47, v47, v55
	v_cndmask_b32_e64 v50, 0, v50, s[30:31]
	v_exp_f32_e32 v46, v46
	v_mul_f32_e32 v47, 0x3fb8aa3b, v47
	v_sub_f32_e32 v44, v44, v55
	v_add_f32_e32 v57, 0, v50
	v_cndmask_b32_e64 v51, 0, v51, s[34:35]
	v_exp_f32_e32 v47, v47
	v_mul_f32_e32 v44, 0x3fb8aa3b, v44
	v_sub_f32_e32 v45, v45, v55
	v_add_f32_e32 v57, v57, v51
	;; [unrolled: 5-line block ×10, first 2 shown]
	v_cndmask_b32_e64 v38, 0, v38, s[12:13]
	v_exp_f32_e32 v34, v34
	v_mul_f32_e32 v35, 0x3fb8aa3b, v35
	v_add_f32_e32 v57, v57, v38
	v_cndmask_b32_e64 v39, 0, v39, s[14:15]
	v_exp_f32_e32 v35, v35
	v_add_f32_e32 v57, v57, v39
	v_cndmask_b32_e64 v36, 0, v36, s[8:9]
	v_add_f32_e32 v57, v57, v36
	v_cndmask_b32_e64 v37, 0, v37, s[10:11]
	v_add_f32_e32 v57, v57, v37
	v_cndmask_b32_e32 v34, 0, v34, vcc
	v_add_f32_e32 v57, v57, v34
	v_cndmask_b32_e64 v35, 0, v35, s[2:3]
	v_add_f32_e32 v57, v57, v35
	ds_bpermute_b32 v56, v56, v57
	s_load_dword s9, s[4:5], 0x98
	v_cmp_gt_u32_e32 vcc, 16, v54
	s_waitcnt lgkmcnt(0)
	s_barrier
	v_add_f32_e32 v57, v57, v56
	ds_bpermute_b32 v58, v58, v57
	v_lshlrev_b32_e32 v56, 2, v52
	s_waitcnt lgkmcnt(0)
	s_and_saveexec_b64 s[2:3], vcc
	s_cbranch_execz .LBB261_17
; %bb.16:
	v_add_f32_e32 v54, v57, v58
	v_lshl_or_b32 v57, v53, 6, v56
	ds_write2st64_b32 v57, v55, v54 offset1:1
.LBB261_17:
	s_or_b64 exec, exec, s[2:3]
	s_load_dword s8, s[4:5], 0x94
	s_waitcnt lgkmcnt(0)
	s_barrier
	ds_read2_b32 v[58:59], v56 offset1:16
	ds_read2_b32 v[60:61], v56 offset0:32 offset1:48
	ds_read2_b32 v[62:63], v56 offset0:64 offset1:80
	;; [unrolled: 1-line block ×3, first 2 shown]
	s_movk_i32 s10, 0x7fff
	s_waitcnt lgkmcnt(3)
	v_max3_f32 v54, v58, s42, v59
	s_waitcnt lgkmcnt(2)
	v_max3_f32 v54, v54, v60, v61
	v_sub_f32_e32 v55, v58, v54
	v_mul_f32_e32 v55, 0x3fb8aa3b, v55
	v_exp_f32_e32 v58, v55
	v_sub_f32_e32 v55, v59, v54
	v_mul_f32_e32 v55, 0x3fb8aa3b, v55
	v_exp_f32_e32 v59, v55
	;; [unrolled: 3-line block ×4, first 2 shown]
	s_waitcnt lgkmcnt(1)
	v_fma_f32 v55, v58, v62, 0
	v_fmac_f32_e32 v55, v59, v63
	s_waitcnt lgkmcnt(0)
	v_fmac_f32_e32 v55, v60, v56
	v_fmac_f32_e32 v55, v61, v57
	v_add_f32_e32 v56, 0x358637bd, v55
	v_div_scale_f32 v57, s[2:3], v56, v56, 1.0
	v_rcp_f32_e32 v62, v57
	s_mov_b32 s11, 0x7060302
	s_mul_i32 s9, s9, 14
	v_fma_f32 v63, -v57, v62, 1.0
	v_fmac_f32_e32 v62, v63, v62
	v_div_scale_f32 v63, vcc, 1.0, v56, 1.0
	v_mul_f32_e32 v64, v63, v62
	v_fma_f32 v65, -v57, v64, v63
	v_fmac_f32_e32 v64, v65, v62
	v_fma_f32 v57, -v57, v64, v63
	v_div_fmas_f32 v57, v57, v62, v64
	v_cmp_eq_u32_e32 vcc, 1, v53
	v_div_fixup_f32 v56, v57, v56, 1.0
	v_cndmask_b32_e32 v57, v58, v59, vcc
	v_cmp_eq_u32_e32 vcc, 2, v53
	v_cndmask_b32_e32 v57, v57, v60, vcc
	v_cmp_eq_u32_e32 vcc, 3, v53
	v_cndmask_b32_e32 v57, v57, v61, vcc
	v_mul_f32_e32 v56, v57, v56
	v_pk_mul_f32 v[50:51], v[56:57], v[50:51] op_sel_hi:[0,1]
	v_pk_mul_f32 v[48:49], v[56:57], v[48:49] op_sel_hi:[0,1]
	v_bfe_u32 v57, v51, 16, 1
	v_bfe_u32 v58, v50, 16, 1
	v_add3_u32 v50, v50, v58, s10
	v_add3_u32 v51, v51, v57, s10
	v_perm_b32 v50, v51, v50, s11
	v_bfe_u32 v51, v49, 16, 1
	v_bfe_u32 v57, v48, 16, 1
	v_add3_u32 v48, v48, v57, s10
	v_add3_u32 v49, v49, v51, s10
	v_perm_b32 v51, v49, v48, s11
	v_lshlrev_b32_e32 v48, 3, v1
	v_lshlrev_b32_e32 v49, 5, v52
	;; [unrolled: 1-line block ×3, first 2 shown]
	v_pk_mul_f32 v[46:47], v[56:57], v[46:47] op_sel_hi:[0,1]
	v_or3_b32 v48, v53, v49, v48
	v_pk_mul_f32 v[44:45], v[56:57], v[44:45] op_sel_hi:[0,1]
	v_bfe_u32 v53, v47, 16, 1
	v_bfe_u32 v57, v46, 16, 1
	v_add3_u32 v46, v46, v57, s10
	v_add3_u32 v47, v47, v53, s10
	v_perm_b32 v46, v47, v46, s11
	v_bfe_u32 v47, v45, 16, 1
	v_bfe_u32 v53, v44, 16, 1
	v_add3_u32 v44, v44, v53, s10
	v_add3_u32 v45, v45, v47, s10
	v_pk_mul_f32 v[40:41], v[56:57], v[40:41] op_sel_hi:[0,1]
	v_perm_b32 v47, v45, v44, s11
	v_bfe_u32 v44, v41, 16, 1
	v_bfe_u32 v45, v40, 16, 1
	v_pk_mul_f32 v[38:39], v[56:57], v[38:39] op_sel_hi:[0,1]
	v_add3_u32 v40, v40, v45, s10
	v_add3_u32 v41, v41, v44, s10
	v_perm_b32 v40, v41, v40, s11
	v_bfe_u32 v41, v39, 16, 1
	v_bfe_u32 v44, v38, 16, 1
	v_add3_u32 v38, v38, v44, s10
	v_add3_u32 v39, v39, v41, s10
	v_pk_mul_f32 v[36:37], v[56:57], v[36:37] op_sel_hi:[0,1]
	v_perm_b32 v41, v39, v38, s11
	v_bfe_u32 v38, v37, 16, 1
	v_bfe_u32 v39, v36, 16, 1
	v_pk_mul_f32 v[34:35], v[56:57], v[34:35] op_sel_hi:[0,1]
	v_add3_u32 v36, v36, v39, s10
	v_add3_u32 v37, v37, v38, s10
	v_perm_b32 v36, v37, v36, s11
	v_bfe_u32 v37, v35, 16, 1
	v_bfe_u32 v38, v34, 16, 1
	v_add3_u32 v34, v34, v38, s10
	v_add3_u32 v35, v35, v37, s10
	v_perm_b32 v37, v35, v34, s11
	v_cmp_gt_u32_e32 vcc, 14, v0
	s_barrier
	ds_write2st64_b64 v48, v[50:51], v[46:47] offset1:1
	ds_write2st64_b64 v48, v[40:41], v[36:37] offset0:2 offset1:3
	s_and_saveexec_b64 s[2:3], vcc
	s_cbranch_execz .LBB261_19
; %bb.18:
	v_add_co_u32_e32 v36, vcc, s29, v52
	v_addc_co_u32_e64 v37, s[16:17], 0, 0, vcc
	v_mov_b32_e32 v34, s9
	v_mov_b32_e32 v35, 0
	v_mad_u64_u32 v[36:37], s[16:17], s6, v34, v[36:37]
	v_mov_b32_e32 v34, s28
	s_load_dwordx4 s[12:15], s[4:5], 0x58
	s_mul_i32 s7, s7, s9
	v_mad_u64_u32 v[34:35], s[16:17], v36, s8, v[34:35]
	v_add_u32_e32 v37, s7, v37
	v_mov_b32_e32 v36, v35
	v_mad_u64_u32 v[36:37], s[16:17], v37, s8, v[36:37]
	v_mov_b32_e32 v35, v36
	v_lshlrev_b64 v[34:35], 2, v[34:35]
	s_waitcnt lgkmcnt(0)
	v_mov_b32_e32 v37, s15
	v_add_co_u32_e32 v36, vcc, s14, v34
	v_addc_co_u32_e32 v37, vcc, v37, v35, vcc
	global_store_dword v[36:37], v54, off
	v_mov_b32_e32 v36, s13
	v_add_co_u32_e32 v34, vcc, s12, v34
	v_addc_co_u32_e32 v35, vcc, v36, v35, vcc
	global_store_dword v[34:35], v55, off
.LBB261_19:
	s_or_b64 exec, exec, s[2:3]
	v_lshl_or_b32 v49, v1, 9, v49
	s_waitcnt lgkmcnt(0)
	s_barrier
	ds_read_b128 v[34:37], v49
	ds_read_b128 v[38:41], v49 offset:16
	s_waitcnt vmcnt(7) lgkmcnt(1)
	v_mfma_f32_16x16x16bf16_1k v[44:47], v[14:15], v[34:35], 0
	v_cmp_gt_u32_e32 vcc, 64, v0
	s_mov_b32 s3, 0
	s_and_b64 s[0:1], vcc, s[0:1]
	v_mfma_f32_16x16x16bf16_1k v[14:17], v[16:17], v[36:37], v[44:47]
	s_waitcnt vmcnt(6) lgkmcnt(0)
	v_mfma_f32_16x16x16bf16_1k v[14:17], v[10:11], v[38:39], v[14:17]
	v_mfma_f32_16x16x16bf16_1k v[10:13], v[12:13], v[40:41], v[14:17]
	s_nop 7
	s_nop 1
	ds_read_b128 v[14:17], v49 offset:2048
	ds_read_b128 v[34:37], v49 offset:2064
	s_waitcnt vmcnt(5) lgkmcnt(1)
	v_mfma_f32_16x16x16bf16_1k v[10:13], v[6:7], v[14:15], v[10:13]
	v_mfma_f32_16x16x16bf16_1k v[6:9], v[8:9], v[16:17], v[10:13]
	s_waitcnt vmcnt(4) lgkmcnt(0)
	v_mfma_f32_16x16x16bf16_1k v[6:9], v[2:3], v[34:35], v[6:9]
	v_mfma_f32_16x16x16bf16_1k v[2:5], v[4:5], v[36:37], v[6:9]
	s_nop 7
	s_nop 1
	ds_read_b128 v[6:9], v49 offset:4096
	ds_read_b128 v[10:13], v49 offset:4112
	s_waitcnt vmcnt(3) lgkmcnt(1)
	v_mfma_f32_16x16x16bf16_1k v[2:5], v[30:31], v[6:7], v[2:5]
	v_mfma_f32_16x16x16bf16_1k v[2:5], v[32:33], v[8:9], v[2:5]
	s_waitcnt vmcnt(2) lgkmcnt(0)
	v_mfma_f32_16x16x16bf16_1k v[2:5], v[22:23], v[10:11], v[2:5]
	v_mfma_f32_16x16x16bf16_1k v[2:5], v[24:25], v[12:13], v[2:5]
	ds_read_b128 v[6:9], v49 offset:6144
	ds_read_b128 v[10:13], v49 offset:6160
	s_waitcnt lgkmcnt(0)
	s_barrier
	s_waitcnt vmcnt(1)
	v_mfma_f32_16x16x16bf16_1k v[2:5], v[26:27], v[6:7], v[2:5]
	v_mfma_f32_16x16x16bf16_1k v[2:5], v[28:29], v[8:9], v[2:5]
	s_waitcnt vmcnt(0)
	v_mfma_f32_16x16x16bf16_1k v[2:5], v[18:19], v[10:11], v[2:5]
	v_mfma_f32_16x16x16bf16_1k v[2:5], v[20:21], v[12:13], v[2:5]
	s_nop 7
	s_nop 2
	v_bfe_u32 v6, v3, 16, 1
	v_bfe_u32 v7, v2, 16, 1
	;; [unrolled: 1-line block ×4, first 2 shown]
	v_add3_u32 v2, v2, v7, s10
	v_add3_u32 v3, v3, v6, s10
	;; [unrolled: 1-line block ×4, first 2 shown]
	v_perm_b32 v2, v3, v2, s11
	v_perm_b32 v3, v5, v4, s11
	ds_write_b64 v48, v[2:3]
	s_waitcnt lgkmcnt(0)
	s_barrier
	s_and_saveexec_b64 s[10:11], s[0:1]
	s_cbranch_execz .LBB261_22
; %bb.20:
	s_load_dwordx2 s[4:5], s[4:5], 0x68
	s_lshl_b32 s0, s8, 6
	s_mul_i32 s1, s9, s6
	s_mul_hi_u32 s7, s1, s0
	s_mul_i32 s6, s1, s0
	s_lshl_b64 s[6:7], s[6:7], 1
	s_waitcnt lgkmcnt(0)
	s_add_u32 s1, s4, s6
	v_lshlrev_b32_e32 v2, 10, v0
	v_lshlrev_b32_e32 v0, 4, v0
	s_addc_u32 s4, s5, s7
	s_lshl_b32 s2, s28, 6
	v_and_b32_e32 v2, 0x1800, v2
	v_lshlrev_b32_e32 v3, 5, v1
	v_and_b32_e32 v0, 16, v0
	s_lshl_b64 s[2:3], s[2:3], 1
	v_or3_b32 v0, v2, v3, v0
	s_add_u32 s1, s1, s2
	ds_read_b128 v[6:9], v0 offset:256
	v_or_b32_e32 v2, 12, v1
	s_addc_u32 s2, s4, s3
	ds_read_b128 v[10:13], v0 offset:128
	ds_read_b128 v[14:17], v0
	v_add_u32_e32 v1, s29, v1
	v_mov_b32_e32 v4, s2
	v_add_co_u32_e32 v3, vcc, s1, v42
	v_mad_u64_u32 v[18:19], s[2:3], v1, s0, 0
	v_addc_co_u32_e32 v4, vcc, v4, v43, vcc
	v_lshlrev_b64 v[18:19], 1, v[18:19]
	v_add_co_u32_e32 v18, vcc, v3, v18
	v_addc_co_u32_e32 v19, vcc, v4, v19, vcc
	v_add_u32_e32 v5, 4, v1
	s_waitcnt lgkmcnt(0)
	global_store_dwordx4 v[18:19], v[14:17], off
	v_add_u32_e32 v1, 8, v1
	v_mad_u64_u32 v[14:15], s[2:3], v5, s0, 0
	v_lshlrev_b64 v[14:15], 1, v[14:15]
	v_add_co_u32_e32 v14, vcc, v3, v14
	v_addc_co_u32_e32 v15, vcc, v4, v15, vcc
	global_store_dwordx4 v[14:15], v[10:13], off
	s_nop 0
	v_mad_u64_u32 v[10:11], s[2:3], v1, s0, 0
	v_lshlrev_b64 v[10:11], 1, v[10:11]
	v_add_co_u32_e32 v10, vcc, v3, v10
	v_addc_co_u32_e32 v11, vcc, v4, v11, vcc
	v_cmp_gt_u32_e32 vcc, 14, v2
	global_store_dwordx4 v[10:11], v[6:9], off
	s_and_b64 exec, exec, vcc
	s_cbranch_execz .LBB261_22
; %bb.21:
	ds_read_b128 v[6:9], v0 offset:384
	v_add_u32_e32 v0, s29, v2
	v_mad_u64_u32 v[0:1], s[0:1], v0, s0, 0
	v_lshlrev_b64 v[0:1], 1, v[0:1]
	v_add_co_u32_e32 v0, vcc, v3, v0
	v_addc_co_u32_e32 v1, vcc, v4, v1, vcc
	s_waitcnt lgkmcnt(0)
	global_store_dwordx4 v[0:1], v[6:9], off
.LBB261_22:
	s_endpgm
	.section	.rodata,"a",@progbits
	.p2align	6, 0x0
	.amdhsa_kernel _Z39paged_attention_ll4mi_QKV_mfma16_kernelI14__hip_bfloat16S0_LN4vllm18Fp8KVCacheDataTypeE0ES0_Li32ELi64ELi256ELb1ELi14EL8MFMAType0EEvPKT_PKT0_S9_ifPKiSB_SB_iPKfiiiPfSE_PS4_PT2_iSD_SD_
		.amdhsa_group_segment_fixed_size 8192
		.amdhsa_private_segment_fixed_size 0
		.amdhsa_kernarg_size 400
		.amdhsa_user_sgpr_count 6
		.amdhsa_user_sgpr_private_segment_buffer 1
		.amdhsa_user_sgpr_dispatch_ptr 0
		.amdhsa_user_sgpr_queue_ptr 0
		.amdhsa_user_sgpr_kernarg_segment_ptr 1
		.amdhsa_user_sgpr_dispatch_id 0
		.amdhsa_user_sgpr_flat_scratch_init 0
		.amdhsa_user_sgpr_kernarg_preload_length 0
		.amdhsa_user_sgpr_kernarg_preload_offset 0
		.amdhsa_user_sgpr_private_segment_size 0
		.amdhsa_uses_dynamic_stack 0
		.amdhsa_system_sgpr_private_segment_wavefront_offset 0
		.amdhsa_system_sgpr_workgroup_id_x 1
		.amdhsa_system_sgpr_workgroup_id_y 1
		.amdhsa_system_sgpr_workgroup_id_z 1
		.amdhsa_system_sgpr_workgroup_info 0
		.amdhsa_system_vgpr_workitem_id 0
		.amdhsa_next_free_vgpr 66
		.amdhsa_next_free_sgpr 48
		.amdhsa_accum_offset 68
		.amdhsa_reserve_vcc 1
		.amdhsa_reserve_flat_scratch 0
		.amdhsa_float_round_mode_32 0
		.amdhsa_float_round_mode_16_64 0
		.amdhsa_float_denorm_mode_32 3
		.amdhsa_float_denorm_mode_16_64 3
		.amdhsa_dx10_clamp 1
		.amdhsa_ieee_mode 1
		.amdhsa_fp16_overflow 0
		.amdhsa_tg_split 0
		.amdhsa_exception_fp_ieee_invalid_op 0
		.amdhsa_exception_fp_denorm_src 0
		.amdhsa_exception_fp_ieee_div_zero 0
		.amdhsa_exception_fp_ieee_overflow 0
		.amdhsa_exception_fp_ieee_underflow 0
		.amdhsa_exception_fp_ieee_inexact 0
		.amdhsa_exception_int_div_zero 0
	.end_amdhsa_kernel
	.section	.text._Z39paged_attention_ll4mi_QKV_mfma16_kernelI14__hip_bfloat16S0_LN4vllm18Fp8KVCacheDataTypeE0ES0_Li32ELi64ELi256ELb1ELi14EL8MFMAType0EEvPKT_PKT0_S9_ifPKiSB_SB_iPKfiiiPfSE_PS4_PT2_iSD_SD_,"axG",@progbits,_Z39paged_attention_ll4mi_QKV_mfma16_kernelI14__hip_bfloat16S0_LN4vllm18Fp8KVCacheDataTypeE0ES0_Li32ELi64ELi256ELb1ELi14EL8MFMAType0EEvPKT_PKT0_S9_ifPKiSB_SB_iPKfiiiPfSE_PS4_PT2_iSD_SD_,comdat
.Lfunc_end261:
	.size	_Z39paged_attention_ll4mi_QKV_mfma16_kernelI14__hip_bfloat16S0_LN4vllm18Fp8KVCacheDataTypeE0ES0_Li32ELi64ELi256ELb1ELi14EL8MFMAType0EEvPKT_PKT0_S9_ifPKiSB_SB_iPKfiiiPfSE_PS4_PT2_iSD_SD_, .Lfunc_end261-_Z39paged_attention_ll4mi_QKV_mfma16_kernelI14__hip_bfloat16S0_LN4vllm18Fp8KVCacheDataTypeE0ES0_Li32ELi64ELi256ELb1ELi14EL8MFMAType0EEvPKT_PKT0_S9_ifPKiSB_SB_iPKfiiiPfSE_PS4_PT2_iSD_SD_
                                        ; -- End function
	.section	.AMDGPU.csdata,"",@progbits
; Kernel info:
; codeLenInByte = 4716
; NumSgprs: 52
; NumVgprs: 66
; NumAgprs: 0
; TotalNumVgprs: 66
; ScratchSize: 0
; MemoryBound: 0
; FloatMode: 240
; IeeeMode: 1
; LDSByteSize: 8192 bytes/workgroup (compile time only)
; SGPRBlocks: 6
; VGPRBlocks: 8
; NumSGPRsForWavesPerEU: 52
; NumVGPRsForWavesPerEU: 66
; AccumOffset: 68
; Occupancy: 7
; WaveLimiterHint : 1
; COMPUTE_PGM_RSRC2:SCRATCH_EN: 0
; COMPUTE_PGM_RSRC2:USER_SGPR: 6
; COMPUTE_PGM_RSRC2:TRAP_HANDLER: 0
; COMPUTE_PGM_RSRC2:TGID_X_EN: 1
; COMPUTE_PGM_RSRC2:TGID_Y_EN: 1
; COMPUTE_PGM_RSRC2:TGID_Z_EN: 1
; COMPUTE_PGM_RSRC2:TIDIG_COMP_CNT: 0
; COMPUTE_PGM_RSRC3_GFX90A:ACCUM_OFFSET: 16
; COMPUTE_PGM_RSRC3_GFX90A:TG_SPLIT: 0
	.section	.text._Z39paged_attention_ll4mi_QKV_mfma16_kernelI14__hip_bfloat16S0_LN4vllm18Fp8KVCacheDataTypeE0ES0_Li32ELi64ELi256ELb1ELi15EL8MFMAType0EEvPKT_PKT0_S9_ifPKiSB_SB_iPKfiiiPfSE_PS4_PT2_iSD_SD_,"axG",@progbits,_Z39paged_attention_ll4mi_QKV_mfma16_kernelI14__hip_bfloat16S0_LN4vllm18Fp8KVCacheDataTypeE0ES0_Li32ELi64ELi256ELb1ELi15EL8MFMAType0EEvPKT_PKT0_S9_ifPKiSB_SB_iPKfiiiPfSE_PS4_PT2_iSD_SD_,comdat
	.protected	_Z39paged_attention_ll4mi_QKV_mfma16_kernelI14__hip_bfloat16S0_LN4vllm18Fp8KVCacheDataTypeE0ES0_Li32ELi64ELi256ELb1ELi15EL8MFMAType0EEvPKT_PKT0_S9_ifPKiSB_SB_iPKfiiiPfSE_PS4_PT2_iSD_SD_ ; -- Begin function _Z39paged_attention_ll4mi_QKV_mfma16_kernelI14__hip_bfloat16S0_LN4vllm18Fp8KVCacheDataTypeE0ES0_Li32ELi64ELi256ELb1ELi15EL8MFMAType0EEvPKT_PKT0_S9_ifPKiSB_SB_iPKfiiiPfSE_PS4_PT2_iSD_SD_
	.globl	_Z39paged_attention_ll4mi_QKV_mfma16_kernelI14__hip_bfloat16S0_LN4vllm18Fp8KVCacheDataTypeE0ES0_Li32ELi64ELi256ELb1ELi15EL8MFMAType0EEvPKT_PKT0_S9_ifPKiSB_SB_iPKfiiiPfSE_PS4_PT2_iSD_SD_
	.p2align	8
	.type	_Z39paged_attention_ll4mi_QKV_mfma16_kernelI14__hip_bfloat16S0_LN4vllm18Fp8KVCacheDataTypeE0ES0_Li32ELi64ELi256ELb1ELi15EL8MFMAType0EEvPKT_PKT0_S9_ifPKiSB_SB_iPKfiiiPfSE_PS4_PT2_iSD_SD_,@function
_Z39paged_attention_ll4mi_QKV_mfma16_kernelI14__hip_bfloat16S0_LN4vllm18Fp8KVCacheDataTypeE0ES0_Li32ELi64ELi256ELb1ELi15EL8MFMAType0EEvPKT_PKT0_S9_ifPKiSB_SB_iPKfiiiPfSE_PS4_PT2_iSD_SD_: ; @_Z39paged_attention_ll4mi_QKV_mfma16_kernelI14__hip_bfloat16S0_LN4vllm18Fp8KVCacheDataTypeE0ES0_Li32ELi64ELi256ELb1ELi15EL8MFMAType0EEvPKT_PKT0_S9_ifPKiSB_SB_iPKfiiiPfSE_PS4_PT2_iSD_SD_
; %bb.0:
	s_load_dwordx2 s[0:1], s[4:5], 0x30
	s_mov_b32 s28, s7
	s_mov_b64 s[10:11], 0
	s_waitcnt lgkmcnt(0)
	s_cmp_lg_u64 s[0:1], 0
	s_cselect_b64 s[2:3], -1, 0
	s_and_b64 vcc, exec, s[2:3]
	s_cbranch_vccz .LBB262_7
; %bb.1:
	s_add_i32 s12, s6, 1
	s_mov_b32 s13, 0
	s_lshl_b64 s[14:15], s[12:13], 2
	s_add_u32 s14, s0, s14
	s_mov_b32 s7, s13
	s_addc_u32 s15, s1, s15
	s_lshl_b64 s[12:13], s[6:7], 2
	s_add_u32 s12, s0, s12
	s_addc_u32 s13, s1, s13
	s_load_dword s9, s[14:15], 0x0
	s_load_dword s16, s[12:13], 0x0
	s_waitcnt lgkmcnt(0)
	s_sub_i32 s9, s9, s16
	s_cmp_eq_u32 s9, 1
	s_cselect_b64 s[12:13], -1, 0
	s_andn2_b64 vcc, exec, s[10:11]
	s_cbranch_vccnz .LBB262_3
.LBB262_2:
	s_mov_b32 s7, 0
	s_mov_b64 s[12:13], -1
.LBB262_3:
	s_andn2_b64 vcc, exec, s[12:13]
	s_cbranch_vccnz .LBB262_22
; %bb.4:
	s_load_dwordx2 s[12:13], s[4:5], 0x28
	s_lshl_b64 s[10:11], s[6:7], 2
	s_waitcnt lgkmcnt(0)
	s_add_u32 s12, s12, s10
	s_addc_u32 s13, s13, s11
	s_load_dword s33, s[12:13], 0x0
	s_lshl_b32 s14, s28, 8
	s_waitcnt lgkmcnt(0)
	s_cmp_ge_i32 s14, s33
	s_cbranch_scc1 .LBB262_22
; %bb.5:
	s_add_i32 s15, s33, 31
	s_load_dwordx2 s[12:13], s[4:5], 0x20
	s_load_dword s9, s[4:5], 0x38
	s_ashr_i32 s16, s15, 31
	v_and_b32_e32 v1, 0xcf, v0
	s_lshr_b32 s16, s16, 27
	v_add_u32_e32 v1, s14, v1
	s_add_i32 s15, s15, s16
	v_ashrrev_i32_e32 v2, 31, v1
	s_ashr_i32 s17, s15, 5
	v_lshrrev_b32_e32 v6, 27, v2
	s_add_i32 s17, s17, -1
	v_add_u32_e32 v2, v1, v6
	s_waitcnt lgkmcnt(0)
	s_mul_i32 s18, s6, s9
	s_mov_b32 s19, 0
	v_ashrrev_i32_e32 v2, 5, v2
	v_mov_b32_e32 v7, s17
	v_cmp_gt_i32_e32 vcc, s33, v1
	s_lshl_b64 s[18:19], s[18:19], 2
	v_cndmask_b32_e32 v2, v7, v2, vcc
	s_add_u32 s15, s12, s18
	v_ashrrev_i32_e32 v3, 31, v2
	s_addc_u32 s16, s13, s19
	v_lshlrev_b64 v[2:3], 2, v[2:3]
	v_mov_b32_e32 v4, s16
	v_add_co_u32_e32 v2, vcc, s15, v2
	v_addc_co_u32_e32 v3, vcc, v4, v3, vcc
	v_or_b32_e32 v4, 16, v1
	v_add_u32_e32 v5, v4, v6
	v_ashrrev_i32_e32 v5, 5, v5
	v_cmp_gt_i32_e32 vcc, s33, v4
	v_cndmask_b32_e32 v4, v7, v5, vcc
	v_ashrrev_i32_e32 v5, 31, v4
	v_lshlrev_b64 v[4:5], 2, v[4:5]
	v_mov_b32_e32 v9, s16
	v_add_co_u32_e32 v8, vcc, s15, v4
	v_or_b32_e32 v4, 32, v1
	v_addc_co_u32_e32 v9, vcc, v9, v5, vcc
	v_add_u32_e32 v5, v4, v6
	v_ashrrev_i32_e32 v5, 5, v5
	v_cmp_gt_i32_e32 vcc, s33, v4
	v_cndmask_b32_e32 v4, v7, v5, vcc
	v_ashrrev_i32_e32 v5, 31, v4
	v_lshlrev_b64 v[4:5], 2, v[4:5]
	v_mov_b32_e32 v11, s16
	v_add_co_u32_e32 v10, vcc, s15, v4
	v_or_b32_e32 v1, 48, v1
	v_addc_co_u32_e32 v11, vcc, v11, v5, vcc
	v_add_u32_e32 v4, v1, v6
	v_ashrrev_i32_e32 v4, 5, v4
	v_cmp_gt_i32_e32 vcc, s33, v1
	v_cndmask_b32_e32 v4, v7, v4, vcc
	v_ashrrev_i32_e32 v5, 31, v4
	v_lshlrev_b64 v[4:5], 2, v[4:5]
	v_mov_b32_e32 v1, s16
	v_add_co_u32_e32 v12, vcc, s15, v4
	v_addc_co_u32_e32 v13, vcc, v1, v5, vcc
	global_load_dword v7, v[2:3], off
	global_load_dword v6, v[8:9], off
	;; [unrolled: 1-line block ×4, first 2 shown]
	s_andn2_b64 vcc, exec, s[2:3]
	s_cbranch_vccnz .LBB262_8
; %bb.6:
	s_add_u32 s0, s0, s10
	s_addc_u32 s1, s1, s11
	s_load_dword s9, s[0:1], 0x0
	s_branch .LBB262_9
.LBB262_7:
	s_mov_b64 s[12:13], 0
	s_branch .LBB262_2
.LBB262_8:
	s_mov_b32 s9, s6
.LBB262_9:
	s_load_dwordx2 s[10:11], s[4:5], 0x8
	s_load_dwordx4 s[44:47], s[4:5], 0x48
	v_lshrrev_b32_e32 v53, 6, v0
	v_bfe_u32 v1, v0, 4, 2
	v_lshl_or_b32 v8, v53, 2, v1
	v_and_b32_e32 v52, 15, v0
	v_cmp_lt_u32_e32 vcc, 14, v8
	v_cmp_lt_u32_e64 s[2:3], 7, v52
	v_lshlrev_b32_e32 v2, 3, v52
	v_cmp_gt_u32_e64 s[0:1], 8, v52
	s_or_b64 s[2:3], s[2:3], vcc
	s_and_saveexec_b64 s[12:13], s[2:3]
	s_xor_b64 s[2:3], exec, s[12:13]
; %bb.10:
	v_mov_b32_e32 v3, 0
                                        ; implicit-def: $vgpr8
; %bb.11:
	s_or_saveexec_b64 s[12:13], s[2:3]
	s_load_dwordx2 s[2:3], s[4:5], 0x10
	s_mul_i32 s29, s8, 15
	s_xor_b64 exec, exec, s[12:13]
	s_cbranch_execz .LBB262_13
; %bb.12:
	s_load_dwordx2 s[18:19], s[4:5], 0x0
	s_waitcnt lgkmcnt(0)
	s_ashr_i32 s20, s44, 31
	s_mul_hi_u32 s21, s9, s44
	s_mul_i32 s20, s9, s20
	s_add_i32 s21, s21, s20
	s_mul_i32 s20, s9, s44
	s_lshl_b64 s[20:21], s[20:21], 1
	v_add_lshl_u32 v10, v8, s29, 6
	s_add_u32 s9, s18, s20
	v_ashrrev_i32_e32 v11, 31, v10
	s_addc_u32 s18, s19, s21
	v_lshlrev_b64 v[10:11], 1, v[10:11]
	v_mov_b32_e32 v3, s18
	v_add_co_u32_e32 v9, vcc, s9, v10
	v_addc_co_u32_e32 v3, vcc, v3, v11, vcc
	v_lshlrev_b32_e32 v10, 1, v2
	v_add_co_u32_e32 v10, vcc, v9, v10
	v_addc_co_u32_e32 v11, vcc, 0, v3, vcc
	global_load_dwordx4 v[10:13], v[10:11], off
	v_and_b32_e32 v9, 3, v0
	v_lshlrev_b32_e32 v14, 9, v52
	v_lshlrev_b32_e32 v8, 5, v8
	;; [unrolled: 1-line block ×3, first 2 shown]
	v_and_b32_e32 v14, 0x1800, v14
	v_mov_b32_e32 v3, 0
	v_or3_b32 v8, v14, v9, v8
	s_waitcnt vmcnt(0)
	ds_write_b128 v8, v[10:13]
.LBB262_13:
	s_or_b64 exec, exec, s[12:13]
	s_waitcnt lgkmcnt(0)
	s_mov_b32 s9, 0
	s_mul_i32 s8, s8, s46
	s_lshl_b64 s[8:9], s[8:9], 1
	s_add_u32 s12, s10, s8
	s_addc_u32 s13, s11, s9
	s_waitcnt vmcnt(3)
	v_mad_i64_i32 v[8:9], s[10:11], v7, s45, 0
	v_lshlrev_b64 v[8:9], 1, v[8:9]
	v_mov_b32_e32 v7, s13
	v_add_co_u32_e32 v8, vcc, s12, v8
	v_addc_co_u32_e32 v7, vcc, v7, v9, vcc
	v_lshlrev_b64 v[42:43], 1, v[2:3]
	v_add_co_u32_e32 v2, vcc, v8, v42
	v_lshlrev_b32_e32 v24, 9, v1
	v_addc_co_u32_e32 v3, vcc, v7, v43, vcc
	v_add_co_u32_e32 v2, vcc, v2, v24
	v_addc_co_u32_e32 v3, vcc, 0, v3, vcc
	s_barrier
	global_load_dwordx4 v[38:41], v[2:3], off
	global_load_dwordx4 v[34:37], v[2:3], off offset:2048
	s_waitcnt vmcnt(4)
	v_mad_i64_i32 v[2:3], s[10:11], v6, s45, 0
	v_lshlrev_b64 v[2:3], 1, v[2:3]
	v_mov_b32_e32 v6, s13
	v_add_co_u32_e32 v2, vcc, s12, v2
	v_addc_co_u32_e32 v3, vcc, v6, v3, vcc
	v_mov_b32_e32 v6, 0x100
	v_lshl_or_b32 v18, v52, 4, v6
	v_add_co_u32_e32 v2, vcc, v2, v18
	v_addc_co_u32_e32 v3, vcc, 0, v3, vcc
	v_add_co_u32_e32 v2, vcc, v2, v24
	v_addc_co_u32_e32 v3, vcc, 0, v3, vcc
	global_load_dwordx4 v[30:33], v[2:3], off
	global_load_dwordx4 v[14:17], v[2:3], off offset:2048
	s_waitcnt vmcnt(5)
	v_mad_i64_i32 v[2:3], s[10:11], v5, s45, 0
	v_lshlrev_b64 v[2:3], 1, v[2:3]
	v_mov_b32_e32 v5, s13
	v_add_co_u32_e32 v2, vcc, s12, v2
	v_addc_co_u32_e32 v3, vcc, v5, v3, vcc
	v_add_co_u32_e32 v2, vcc, v2, v42
	v_addc_co_u32_e32 v3, vcc, v3, v43, vcc
	;; [unrolled: 2-line block ×3, first 2 shown]
	global_load_dwordx4 v[10:13], v[2:3], off
	global_load_dwordx4 v[6:9], v[2:3], off offset:2048
	s_waitcnt vmcnt(6)
	v_mad_i64_i32 v[2:3], s[10:11], v4, s45, 0
	v_lshlrev_b64 v[2:3], 1, v[2:3]
	v_mov_b32_e32 v4, s13
	v_add_co_u32_e32 v2, vcc, s12, v2
	v_addc_co_u32_e32 v3, vcc, v4, v3, vcc
	v_add_co_u32_e32 v2, vcc, v2, v18
	v_addc_co_u32_e32 v3, vcc, 0, v3, vcc
	;; [unrolled: 2-line block ×3, first 2 shown]
	global_load_dwordx4 v[2:5], v[22:23], off
	global_load_dwordx4 v[18:21], v[22:23], off offset:2048
	v_cmp_ne_u32_e32 vcc, 15, v52
	v_cndmask_b32_e32 v22, 0, v52, vcc
	v_lshl_or_b32 v22, v22, 5, v24
	ds_read_b128 v[26:29], v22
	ds_read_b128 v[22:25], v22 offset:2048
	v_and_b32_e32 v54, 63, v0
	v_mov_b32_e32 v50, 0
	s_and_saveexec_b64 s[10:11], vcc
	s_cbranch_execz .LBB262_15
; %bb.14:
	s_load_dwordx2 s[12:13], s[4:5], 0x40
	v_add_u32_e32 v44, s29, v52
	v_ashrrev_i32_e32 v45, 31, v44
	v_lshlrev_b64 v[44:45], 2, v[44:45]
	s_waitcnt lgkmcnt(0)
	v_mov_b32_e32 v46, s13
	v_add_co_u32_e32 v44, vcc, s12, v44
	v_addc_co_u32_e32 v45, vcc, v46, v45, vcc
	global_load_dword v50, v[44:45], off
.LBB262_15:
	s_or_b64 exec, exec, s[10:11]
	s_waitcnt vmcnt(7) lgkmcnt(1)
	v_mfma_f32_16x16x16bf16_1k v[44:47], v[38:39], v[26:27], 0
	s_ashr_i32 s10, s14, 31
	s_lshr_b32 s11, s10, 27
	v_mov_b32_e32 v49, s16
	s_add_u32 s2, s2, s8
	s_addc_u32 s3, s3, s9
	s_load_dword s10, s[4:5], 0x1c
	s_mov_b32 s42, 0xff7fffff
	v_mfma_f32_16x16x16bf16_1k v[38:41], v[40:41], v[28:29], v[44:47]
	s_waitcnt vmcnt(6) lgkmcnt(0)
	v_mfma_f32_16x16x16bf16_1k v[38:41], v[34:35], v[22:23], v[38:41]
	s_nop 4
	v_and_or_b32 v46, v0, 48, s14
	v_add_u32_e32 v34, s11, v46
	v_ashrrev_i32_e32 v34, 5, v34
	v_mov_b32_e32 v47, s17
	v_cmp_gt_i32_e32 vcc, s33, v46
	v_cndmask_b32_e32 v34, v47, v34, vcc
	v_ashrrev_i32_e32 v35, 31, v34
	v_lshlrev_b64 v[44:45], 2, v[34:35]
	v_mfma_f32_16x16x16bf16_1k v[34:37], v[36:37], v[24:25], v[38:41]
	s_nop 6
	v_mov_b32_e32 v39, s16
	v_add_co_u32_e32 v38, vcc, s15, v44
	v_addc_co_u32_e32 v39, vcc, v39, v45, vcc
	global_load_dword v48, v[38:39], off
	s_waitcnt vmcnt(6)
	v_mfma_f32_16x16x16bf16_1k v[38:41], v[30:31], v[26:27], 0
	v_or_b32_e32 v44, 64, v46
	v_add_u32_e32 v30, s11, v44
	v_ashrrev_i32_e32 v30, 5, v30
	v_cmp_gt_i32_e32 vcc, s33, v44
	v_cndmask_b32_e32 v30, v47, v30, vcc
	v_ashrrev_i32_e32 v31, 31, v30
	v_lshlrev_b64 v[44:45], 2, v[30:31]
	v_mfma_f32_16x16x16bf16_1k v[30:33], v[32:33], v[28:29], v[38:41]
	s_nop 6
	v_add_co_u32_e32 v38, vcc, s15, v44
	v_addc_co_u32_e32 v39, vcc, v49, v45, vcc
	global_load_dword v40, v[38:39], off
	v_or_b32_e32 v38, 0x80, v46
	v_add_u32_e32 v39, s11, v38
	v_ashrrev_i32_e32 v39, 5, v39
	v_cmp_gt_i32_e32 vcc, s33, v38
	v_cndmask_b32_e32 v38, v47, v39, vcc
	v_ashrrev_i32_e32 v39, 31, v38
	s_waitcnt vmcnt(6)
	v_mfma_f32_16x16x16bf16_1k v[30:33], v[14:15], v[22:23], v[30:33]
	v_lshlrev_b64 v[14:15], 2, v[38:39]
	v_mov_b32_e32 v38, s16
	v_add_co_u32_e32 v14, vcc, s15, v14
	v_addc_co_u32_e32 v15, vcc, v38, v15, vcc
	global_load_dword v41, v[14:15], off
	v_mfma_f32_16x16x16bf16_1k v[30:33], v[16:17], v[24:25], v[30:33]
	v_or_b32_e32 v38, 0xc0, v46
	v_cmp_gt_i32_e32 vcc, s33, v38
	v_mov_b32_e32 v44, s16
	s_waitcnt vmcnt(6)
	v_mfma_f32_16x16x16bf16_1k v[14:17], v[10:11], v[26:27], 0
	v_add_u32_e32 v10, s11, v38
	v_ashrrev_i32_e32 v10, 5, v10
	v_cndmask_b32_e32 v10, v47, v10, vcc
	v_ashrrev_i32_e32 v11, 31, v10
	v_lshlrev_b64 v[38:39], 2, v[10:11]
	s_nop 0
	v_pk_mul_f32 v[46:47], s[10:11], v[30:31] op_sel_hi:[0,1]
	v_mfma_f32_16x16x16bf16_1k v[10:13], v[12:13], v[28:29], v[14:17]
	s_nop 6
	v_add_co_u32_e32 v14, vcc, s15, v38
	s_waitcnt vmcnt(5)
	v_mfma_f32_16x16x16bf16_1k v[10:13], v[6:7], v[22:23], v[10:13]
	v_addc_co_u32_e32 v15, vcc, v44, v39, vcc
	global_load_dword v51, v[14:15], off
	v_and_b32_e32 v14, 16, v0
	v_lshlrev_b32_e32 v14, 1, v14
	v_mov_b32_e32 v6, s3
	v_add_co_u32_e32 v7, vcc, s2, v14
	v_lshlrev_b32_e32 v14, 6, v52
	v_addc_co_u32_e32 v6, vcc, 0, v6, vcc
	v_lshl_or_b32 v14, v53, 10, v14
	v_add_co_u32_e32 v55, vcc, v7, v14
	v_addc_co_u32_e32 v60, vcc, 0, v6, vcc
	v_mfma_f32_16x16x16bf16_1k v[56:59], v[8:9], v[24:25], v[10:13]
	s_waitcnt vmcnt(3)
	v_mad_i64_i32 v[6:7], s[2:3], v48, s45, 0
	v_pk_mul_f32 v[48:49], s[10:11], v[36:37] op_sel_hi:[0,1]
	v_pk_mul_f32 v[44:45], s[10:11], v[32:33] op_sel_hi:[0,1]
	s_waitcnt vmcnt(1)
	v_mad_i64_i32 v[38:39], s[2:3], v41, s45, 0
	s_nop 0
	v_lshlrev_b64 v[10:11], 1, v[6:7]
	v_mfma_f32_16x16x16bf16_1k v[6:9], v[2:3], v[26:27], 0
	v_add_co_u32_e32 v2, vcc, v55, v10
	v_addc_co_u32_e32 v3, vcc, v60, v11, vcc
	global_load_dwordx4 v[14:17], v[2:3], off
	global_load_dwordx4 v[10:13], v[2:3], off offset:16
	v_mad_i64_i32 v[2:3], s[2:3], v40, s45, 0
	v_mfma_f32_16x16x16bf16_1k v[26:29], v[4:5], v[28:29], v[6:9]
	v_lshlrev_b64 v[2:3], 1, v[2:3]
	v_add_co_u32_e32 v2, vcc, v55, v2
	v_addc_co_u32_e32 v3, vcc, v60, v3, vcc
	v_lshlrev_b64 v[38:39], 1, v[38:39]
	v_pk_mul_f32 v[40:41], s[10:11], v[56:57] op_sel_hi:[0,1]
	v_mfma_f32_16x16x16bf16_1k v[26:29], v[18:19], v[22:23], v[26:29]
	v_pk_mul_f32 v[18:19], s[10:11], v[34:35] op_sel_hi:[0,1]
	v_add_co_u32_e32 v22, vcc, v55, v38
	v_addc_co_u32_e32 v23, vcc, v60, v39, vcc
	v_pk_mul_f32 v[38:39], s[10:11], v[58:59] op_sel_hi:[0,1]
	global_load_dwordx4 v[6:9], v[2:3], off
	s_nop 0
	global_load_dwordx4 v[2:5], v[2:3], off offset:16
	v_mfma_f32_16x16x16bf16_1k v[24:27], v[20:21], v[24:25], v[26:29]
	v_and_b32_e32 v20, 0xc0, v0
	v_add_u32_e32 v20, s14, v20
	v_lshl_or_b32 v20, v1, 2, v20
	v_or_b32_e32 v21, 1, v20
	v_cmp_gt_i32_e64 s[30:31], s33, v20
	v_cmp_gt_i32_e64 s[34:35], s33, v21
	s_nop 4
	v_pk_mul_f32 v[36:37], s[10:11], v[24:25] op_sel_hi:[0,1]
	v_subrev_u32_e32 v24, s33, v21
	v_pk_mul_f32 v[34:35], s[10:11], v[26:27] op_sel_hi:[0,1]
	v_add_u32_e32 v26, 1, v24
	v_add_u32_e32 v27, 2, v24
	v_cvt_f32_i32_e32 v25, v24
	v_cvt_f32_i32_e32 v26, v26
	v_cvt_f32_i32_e32 v27, v27
	v_add_u32_e32 v28, 3, v24
	v_fma_f32 v18, v50, v25, v18
	v_fmac_f32_e32 v19, v50, v26
	v_fma_f32 v48, v50, v27, v48
	v_add_u32_e32 v25, 16, v24
	v_add_u32_e32 v26, 17, v24
	v_add_u32_e32 v27, 18, v24
	v_cvt_f32_i32_e32 v28, v28
	v_cvt_f32_i32_e32 v25, v25
	;; [unrolled: 1-line block ×4, first 2 shown]
	v_fmac_f32_e32 v49, v50, v28
	v_add_u32_e32 v28, 19, v24
	v_fma_f32 v46, v50, v25, v46
	v_fmac_f32_e32 v47, v50, v26
	v_fma_f32 v44, v50, v27, v44
	v_add_u32_e32 v25, 32, v24
	v_add_u32_e32 v26, 33, v24
	;; [unrolled: 1-line block ×3, first 2 shown]
	v_cvt_f32_i32_e32 v28, v28
	v_cvt_f32_i32_e32 v25, v25
	;; [unrolled: 1-line block ×4, first 2 shown]
	v_fmac_f32_e32 v45, v50, v28
	v_add_u32_e32 v28, 35, v24
	v_fma_f32 v40, v50, v25, v40
	v_fmac_f32_e32 v41, v50, v26
	v_fma_f32 v38, v50, v27, v38
	v_add_u32_e32 v25, 48, v24
	v_add_u32_e32 v26, 49, v24
	;; [unrolled: 1-line block ×4, first 2 shown]
	v_cvt_f32_i32_e32 v24, v24
	v_cvt_f32_i32_e32 v25, v25
	;; [unrolled: 1-line block ×4, first 2 shown]
	v_fmac_f32_e32 v35, v50, v24
	v_mov_b32_e32 v24, 0xff7fffff
	v_fma_f32 v36, v50, v25, v36
	v_cndmask_b32_e64 v25, v24, v18, s[30:31]
	v_cndmask_b32_e64 v21, v24, v19, s[34:35]
	v_fmac_f32_e32 v37, v50, v26
	v_max3_f32 v21, v25, s42, v21
	v_or_b32_e32 v25, 2, v20
	v_or_b32_e32 v26, 3, v20
	v_cmp_gt_i32_e64 s[36:37], s33, v25
	v_cmp_gt_i32_e64 s[38:39], s33, v26
	v_cndmask_b32_e64 v25, v24, v48, s[36:37]
	v_cndmask_b32_e64 v26, v24, v49, s[38:39]
	v_max3_f32 v21, v21, v25, v26
	v_or_b32_e32 v25, 16, v20
	v_or_b32_e32 v26, 17, v20
	v_cmp_gt_i32_e64 s[24:25], s33, v25
	v_cmp_gt_i32_e64 s[26:27], s33, v26
	v_cndmask_b32_e64 v25, v24, v46, s[24:25]
	v_cndmask_b32_e64 v26, v24, v47, s[26:27]
	;; [unrolled: 7-line block ×4, first 2 shown]
	v_max3_f32 v21, v21, v25, v26
	v_or_b32_e32 v25, 34, v20
	v_or_b32_e32 v26, 35, v20
	v_fmac_f32_e32 v39, v50, v28
	v_cmp_gt_i32_e64 s[12:13], s33, v25
	v_cmp_gt_i32_e64 s[14:15], s33, v26
	v_cndmask_b32_e64 v25, v24, v38, s[12:13]
	v_cndmask_b32_e64 v26, v24, v39, s[14:15]
	v_cvt_f32_i32_e32 v27, v27
	v_max3_f32 v21, v21, v25, v26
	v_or_b32_e32 v25, 48, v20
	v_or_b32_e32 v26, 49, v20
	v_cmp_gt_i32_e64 s[8:9], s33, v25
	v_cmp_gt_i32_e64 s[10:11], s33, v26
	v_cndmask_b32_e64 v25, v24, v36, s[8:9]
	v_cndmask_b32_e64 v26, v24, v37, s[10:11]
	v_max3_f32 v21, v21, v25, v26
	v_or_b32_e32 v25, 50, v20
	v_or_b32_e32 v20, 51, v20
	v_fma_f32 v34, v50, v27, v34
	v_cmp_gt_i32_e32 vcc, s33, v25
	v_cmp_gt_i32_e64 s[2:3], s33, v20
	v_cndmask_b32_e32 v25, v24, v34, vcc
	v_cndmask_b32_e64 v20, v24, v35, s[2:3]
	v_max3_f32 v26, v21, v25, v20
	v_mbcnt_lo_u32_b32 v20, -1, 0
	v_mbcnt_hi_u32_b32 v27, -1, v20
	v_and_b32_e32 v20, 64, v27
	v_add_u32_e32 v28, 64, v20
	v_xor_b32_e32 v20, 32, v27
	v_cmp_lt_i32_e64 s[40:41], v20, v28
	v_cndmask_b32_e64 v20, v27, v20, s[40:41]
	v_lshlrev_b32_e32 v56, 2, v20
	ds_bpermute_b32 v29, v56, v26
	s_waitcnt vmcnt(4)
	v_mad_i64_i32 v[20:21], s[40:41], v51, s45, 0
	v_lshlrev_b64 v[20:21], 1, v[20:21]
	global_load_dwordx4 v[30:33], v[22:23], off
	s_nop 0
	global_load_dwordx4 v[22:25], v[22:23], off offset:16
	s_waitcnt lgkmcnt(0)
	v_max_f32_e32 v29, v29, v29
	v_max_f32_e32 v26, v26, v29
	v_xor_b32_e32 v29, 16, v27
	v_cmp_lt_i32_e64 s[40:41], v29, v28
	v_cndmask_b32_e64 v27, v27, v29, s[40:41]
	v_lshlrev_b32_e32 v58, 2, v27
	ds_bpermute_b32 v27, v58, v26
	v_add_co_u32_e64 v20, s[40:41], v55, v20
	v_addc_co_u32_e64 v21, s[40:41], v60, v21, s[40:41]
	s_waitcnt lgkmcnt(0)
	v_max_f32_e32 v27, v27, v27
	v_max_f32_e32 v55, v26, v27
	v_sub_f32_e32 v18, v18, v55
	v_mul_f32_e32 v18, 0x3fb8aa3b, v18
	v_exp_f32_e32 v50, v18
	v_sub_f32_e32 v18, v19, v55
	v_mul_f32_e32 v18, 0x3fb8aa3b, v18
	v_exp_f32_e32 v51, v18
	global_load_dwordx4 v[26:29], v[20:21], off
	s_nop 0
	global_load_dwordx4 v[18:21], v[20:21], off offset:16
	v_sub_f32_e32 v48, v48, v55
	v_mul_f32_e32 v48, 0x3fb8aa3b, v48
	v_sub_f32_e32 v49, v49, v55
	v_exp_f32_e32 v48, v48
	v_mul_f32_e32 v49, 0x3fb8aa3b, v49
	v_sub_f32_e32 v46, v46, v55
	v_exp_f32_e32 v49, v49
	v_mul_f32_e32 v46, 0x3fb8aa3b, v46
	v_sub_f32_e32 v47, v47, v55
	v_cndmask_b32_e64 v50, 0, v50, s[30:31]
	v_exp_f32_e32 v46, v46
	v_mul_f32_e32 v47, 0x3fb8aa3b, v47
	v_sub_f32_e32 v44, v44, v55
	v_add_f32_e32 v57, 0, v50
	v_cndmask_b32_e64 v51, 0, v51, s[34:35]
	v_exp_f32_e32 v47, v47
	v_mul_f32_e32 v44, 0x3fb8aa3b, v44
	v_sub_f32_e32 v45, v45, v55
	v_add_f32_e32 v57, v57, v51
	;; [unrolled: 5-line block ×10, first 2 shown]
	v_cndmask_b32_e64 v38, 0, v38, s[12:13]
	v_exp_f32_e32 v34, v34
	v_mul_f32_e32 v35, 0x3fb8aa3b, v35
	v_add_f32_e32 v57, v57, v38
	v_cndmask_b32_e64 v39, 0, v39, s[14:15]
	v_exp_f32_e32 v35, v35
	v_add_f32_e32 v57, v57, v39
	v_cndmask_b32_e64 v36, 0, v36, s[8:9]
	v_add_f32_e32 v57, v57, v36
	v_cndmask_b32_e64 v37, 0, v37, s[10:11]
	v_add_f32_e32 v57, v57, v37
	v_cndmask_b32_e32 v34, 0, v34, vcc
	v_add_f32_e32 v57, v57, v34
	v_cndmask_b32_e64 v35, 0, v35, s[2:3]
	v_add_f32_e32 v57, v57, v35
	ds_bpermute_b32 v56, v56, v57
	s_load_dword s9, s[4:5], 0x98
	v_cmp_gt_u32_e32 vcc, 16, v54
	s_waitcnt lgkmcnt(0)
	s_barrier
	v_add_f32_e32 v57, v57, v56
	ds_bpermute_b32 v58, v58, v57
	v_lshlrev_b32_e32 v56, 2, v52
	s_waitcnt lgkmcnt(0)
	s_and_saveexec_b64 s[2:3], vcc
	s_cbranch_execz .LBB262_17
; %bb.16:
	v_add_f32_e32 v54, v57, v58
	v_lshl_or_b32 v57, v53, 6, v56
	ds_write2st64_b32 v57, v55, v54 offset1:1
.LBB262_17:
	s_or_b64 exec, exec, s[2:3]
	s_load_dword s8, s[4:5], 0x94
	s_waitcnt lgkmcnt(0)
	s_barrier
	ds_read2_b32 v[58:59], v56 offset1:16
	ds_read2_b32 v[60:61], v56 offset0:32 offset1:48
	ds_read2_b32 v[62:63], v56 offset0:64 offset1:80
	ds_read2_b32 v[56:57], v56 offset0:96 offset1:112
	s_movk_i32 s10, 0x7fff
	s_waitcnt lgkmcnt(3)
	v_max3_f32 v54, v58, s42, v59
	s_waitcnt lgkmcnt(2)
	v_max3_f32 v54, v54, v60, v61
	v_sub_f32_e32 v55, v58, v54
	v_mul_f32_e32 v55, 0x3fb8aa3b, v55
	v_exp_f32_e32 v58, v55
	v_sub_f32_e32 v55, v59, v54
	v_mul_f32_e32 v55, 0x3fb8aa3b, v55
	v_exp_f32_e32 v59, v55
	;; [unrolled: 3-line block ×4, first 2 shown]
	s_waitcnt lgkmcnt(1)
	v_fma_f32 v55, v58, v62, 0
	v_fmac_f32_e32 v55, v59, v63
	s_waitcnt lgkmcnt(0)
	v_fmac_f32_e32 v55, v60, v56
	v_fmac_f32_e32 v55, v61, v57
	v_add_f32_e32 v56, 0x358637bd, v55
	v_div_scale_f32 v57, s[2:3], v56, v56, 1.0
	v_rcp_f32_e32 v62, v57
	s_mov_b32 s11, 0x7060302
	s_mul_i32 s9, s9, 15
	v_fma_f32 v63, -v57, v62, 1.0
	v_fmac_f32_e32 v62, v63, v62
	v_div_scale_f32 v63, vcc, 1.0, v56, 1.0
	v_mul_f32_e32 v64, v63, v62
	v_fma_f32 v65, -v57, v64, v63
	v_fmac_f32_e32 v64, v65, v62
	v_fma_f32 v57, -v57, v64, v63
	v_div_fmas_f32 v57, v57, v62, v64
	v_cmp_eq_u32_e32 vcc, 1, v53
	v_div_fixup_f32 v56, v57, v56, 1.0
	v_cndmask_b32_e32 v57, v58, v59, vcc
	v_cmp_eq_u32_e32 vcc, 2, v53
	v_cndmask_b32_e32 v57, v57, v60, vcc
	v_cmp_eq_u32_e32 vcc, 3, v53
	v_cndmask_b32_e32 v57, v57, v61, vcc
	v_mul_f32_e32 v56, v57, v56
	v_pk_mul_f32 v[50:51], v[56:57], v[50:51] op_sel_hi:[0,1]
	v_pk_mul_f32 v[48:49], v[56:57], v[48:49] op_sel_hi:[0,1]
	v_bfe_u32 v57, v51, 16, 1
	v_bfe_u32 v58, v50, 16, 1
	v_add3_u32 v50, v50, v58, s10
	v_add3_u32 v51, v51, v57, s10
	v_perm_b32 v50, v51, v50, s11
	v_bfe_u32 v51, v49, 16, 1
	v_bfe_u32 v57, v48, 16, 1
	v_add3_u32 v48, v48, v57, s10
	v_add3_u32 v49, v49, v51, s10
	v_perm_b32 v51, v49, v48, s11
	v_lshlrev_b32_e32 v48, 3, v1
	v_lshlrev_b32_e32 v49, 5, v52
	;; [unrolled: 1-line block ×3, first 2 shown]
	v_pk_mul_f32 v[46:47], v[56:57], v[46:47] op_sel_hi:[0,1]
	v_or3_b32 v48, v53, v49, v48
	v_pk_mul_f32 v[44:45], v[56:57], v[44:45] op_sel_hi:[0,1]
	v_bfe_u32 v53, v47, 16, 1
	v_bfe_u32 v57, v46, 16, 1
	v_add3_u32 v46, v46, v57, s10
	v_add3_u32 v47, v47, v53, s10
	v_perm_b32 v46, v47, v46, s11
	v_bfe_u32 v47, v45, 16, 1
	v_bfe_u32 v53, v44, 16, 1
	v_add3_u32 v44, v44, v53, s10
	v_add3_u32 v45, v45, v47, s10
	v_pk_mul_f32 v[40:41], v[56:57], v[40:41] op_sel_hi:[0,1]
	v_perm_b32 v47, v45, v44, s11
	v_bfe_u32 v44, v41, 16, 1
	v_bfe_u32 v45, v40, 16, 1
	v_pk_mul_f32 v[38:39], v[56:57], v[38:39] op_sel_hi:[0,1]
	v_add3_u32 v40, v40, v45, s10
	v_add3_u32 v41, v41, v44, s10
	v_perm_b32 v40, v41, v40, s11
	v_bfe_u32 v41, v39, 16, 1
	v_bfe_u32 v44, v38, 16, 1
	v_add3_u32 v38, v38, v44, s10
	v_add3_u32 v39, v39, v41, s10
	v_pk_mul_f32 v[36:37], v[56:57], v[36:37] op_sel_hi:[0,1]
	v_perm_b32 v41, v39, v38, s11
	v_bfe_u32 v38, v37, 16, 1
	v_bfe_u32 v39, v36, 16, 1
	v_pk_mul_f32 v[34:35], v[56:57], v[34:35] op_sel_hi:[0,1]
	v_add3_u32 v36, v36, v39, s10
	v_add3_u32 v37, v37, v38, s10
	v_perm_b32 v36, v37, v36, s11
	v_bfe_u32 v37, v35, 16, 1
	v_bfe_u32 v38, v34, 16, 1
	v_add3_u32 v34, v34, v38, s10
	v_add3_u32 v35, v35, v37, s10
	v_perm_b32 v37, v35, v34, s11
	v_cmp_gt_u32_e32 vcc, 15, v0
	s_barrier
	ds_write2st64_b64 v48, v[50:51], v[46:47] offset1:1
	ds_write2st64_b64 v48, v[40:41], v[36:37] offset0:2 offset1:3
	s_and_saveexec_b64 s[2:3], vcc
	s_cbranch_execz .LBB262_19
; %bb.18:
	v_add_co_u32_e32 v36, vcc, s29, v52
	v_addc_co_u32_e64 v37, s[16:17], 0, 0, vcc
	v_mov_b32_e32 v34, s9
	v_mov_b32_e32 v35, 0
	v_mad_u64_u32 v[36:37], s[16:17], s6, v34, v[36:37]
	v_mov_b32_e32 v34, s28
	s_load_dwordx4 s[12:15], s[4:5], 0x58
	s_mul_i32 s7, s7, s9
	v_mad_u64_u32 v[34:35], s[16:17], v36, s8, v[34:35]
	v_add_u32_e32 v37, s7, v37
	v_mov_b32_e32 v36, v35
	v_mad_u64_u32 v[36:37], s[16:17], v37, s8, v[36:37]
	v_mov_b32_e32 v35, v36
	v_lshlrev_b64 v[34:35], 2, v[34:35]
	s_waitcnt lgkmcnt(0)
	v_mov_b32_e32 v37, s15
	v_add_co_u32_e32 v36, vcc, s14, v34
	v_addc_co_u32_e32 v37, vcc, v37, v35, vcc
	global_store_dword v[36:37], v54, off
	v_mov_b32_e32 v36, s13
	v_add_co_u32_e32 v34, vcc, s12, v34
	v_addc_co_u32_e32 v35, vcc, v36, v35, vcc
	global_store_dword v[34:35], v55, off
.LBB262_19:
	s_or_b64 exec, exec, s[2:3]
	v_lshl_or_b32 v49, v1, 9, v49
	s_waitcnt lgkmcnt(0)
	s_barrier
	ds_read_b128 v[34:37], v49
	ds_read_b128 v[38:41], v49 offset:16
	s_waitcnt vmcnt(7) lgkmcnt(1)
	v_mfma_f32_16x16x16bf16_1k v[44:47], v[14:15], v[34:35], 0
	v_cmp_gt_u32_e32 vcc, 64, v0
	s_mov_b32 s3, 0
	s_and_b64 s[0:1], vcc, s[0:1]
	v_mfma_f32_16x16x16bf16_1k v[14:17], v[16:17], v[36:37], v[44:47]
	s_waitcnt vmcnt(6) lgkmcnt(0)
	v_mfma_f32_16x16x16bf16_1k v[14:17], v[10:11], v[38:39], v[14:17]
	v_mfma_f32_16x16x16bf16_1k v[10:13], v[12:13], v[40:41], v[14:17]
	s_nop 7
	s_nop 1
	ds_read_b128 v[14:17], v49 offset:2048
	ds_read_b128 v[34:37], v49 offset:2064
	s_waitcnt vmcnt(5) lgkmcnt(1)
	v_mfma_f32_16x16x16bf16_1k v[10:13], v[6:7], v[14:15], v[10:13]
	v_mfma_f32_16x16x16bf16_1k v[6:9], v[8:9], v[16:17], v[10:13]
	s_waitcnt vmcnt(4) lgkmcnt(0)
	v_mfma_f32_16x16x16bf16_1k v[6:9], v[2:3], v[34:35], v[6:9]
	v_mfma_f32_16x16x16bf16_1k v[2:5], v[4:5], v[36:37], v[6:9]
	s_nop 7
	s_nop 1
	ds_read_b128 v[6:9], v49 offset:4096
	ds_read_b128 v[10:13], v49 offset:4112
	s_waitcnt vmcnt(3) lgkmcnt(1)
	v_mfma_f32_16x16x16bf16_1k v[2:5], v[30:31], v[6:7], v[2:5]
	v_mfma_f32_16x16x16bf16_1k v[2:5], v[32:33], v[8:9], v[2:5]
	s_waitcnt vmcnt(2) lgkmcnt(0)
	v_mfma_f32_16x16x16bf16_1k v[2:5], v[22:23], v[10:11], v[2:5]
	v_mfma_f32_16x16x16bf16_1k v[2:5], v[24:25], v[12:13], v[2:5]
	ds_read_b128 v[6:9], v49 offset:6144
	ds_read_b128 v[10:13], v49 offset:6160
	s_waitcnt lgkmcnt(0)
	s_barrier
	s_waitcnt vmcnt(1)
	v_mfma_f32_16x16x16bf16_1k v[2:5], v[26:27], v[6:7], v[2:5]
	v_mfma_f32_16x16x16bf16_1k v[2:5], v[28:29], v[8:9], v[2:5]
	s_waitcnt vmcnt(0)
	v_mfma_f32_16x16x16bf16_1k v[2:5], v[18:19], v[10:11], v[2:5]
	v_mfma_f32_16x16x16bf16_1k v[2:5], v[20:21], v[12:13], v[2:5]
	s_nop 7
	s_nop 2
	v_bfe_u32 v6, v3, 16, 1
	v_bfe_u32 v7, v2, 16, 1
	;; [unrolled: 1-line block ×4, first 2 shown]
	v_add3_u32 v2, v2, v7, s10
	v_add3_u32 v3, v3, v6, s10
	;; [unrolled: 1-line block ×4, first 2 shown]
	v_perm_b32 v2, v3, v2, s11
	v_perm_b32 v3, v5, v4, s11
	ds_write_b64 v48, v[2:3]
	s_waitcnt lgkmcnt(0)
	s_barrier
	s_and_saveexec_b64 s[10:11], s[0:1]
	s_cbranch_execz .LBB262_22
; %bb.20:
	s_load_dwordx2 s[4:5], s[4:5], 0x68
	s_lshl_b32 s0, s8, 6
	s_mul_i32 s1, s9, s6
	s_mul_hi_u32 s7, s1, s0
	s_mul_i32 s6, s1, s0
	s_lshl_b64 s[6:7], s[6:7], 1
	s_waitcnt lgkmcnt(0)
	s_add_u32 s1, s4, s6
	v_lshlrev_b32_e32 v2, 10, v0
	v_lshlrev_b32_e32 v0, 4, v0
	s_addc_u32 s4, s5, s7
	s_lshl_b32 s2, s28, 6
	v_and_b32_e32 v2, 0x1800, v2
	v_lshlrev_b32_e32 v3, 5, v1
	v_and_b32_e32 v0, 16, v0
	s_lshl_b64 s[2:3], s[2:3], 1
	v_or3_b32 v0, v2, v3, v0
	s_add_u32 s1, s1, s2
	ds_read_b128 v[4:7], v0 offset:256
	s_addc_u32 s2, s4, s3
	ds_read_b128 v[8:11], v0 offset:128
	ds_read_b128 v[12:15], v0
	v_add_u32_e32 v18, s29, v1
	v_mov_b32_e32 v3, s2
	v_add_co_u32_e32 v2, vcc, s1, v42
	v_mad_u64_u32 v[16:17], s[2:3], v18, s0, 0
	v_addc_co_u32_e32 v3, vcc, v3, v43, vcc
	v_lshlrev_b64 v[16:17], 1, v[16:17]
	v_add_co_u32_e32 v16, vcc, v2, v16
	v_addc_co_u32_e32 v17, vcc, v3, v17, vcc
	s_waitcnt lgkmcnt(0)
	global_store_dwordx4 v[16:17], v[12:15], off
	s_nop 0
	v_add_u32_e32 v12, 4, v18
	v_mad_u64_u32 v[12:13], s[2:3], v12, s0, 0
	v_lshlrev_b64 v[12:13], 1, v[12:13]
	v_add_co_u32_e32 v12, vcc, v2, v12
	v_addc_co_u32_e32 v13, vcc, v3, v13, vcc
	global_store_dwordx4 v[12:13], v[8:11], off
	s_nop 0
	v_add_u32_e32 v8, 8, v18
	v_mad_u64_u32 v[8:9], s[2:3], v8, s0, 0
	v_lshlrev_b64 v[8:9], 1, v[8:9]
	v_add_co_u32_e32 v8, vcc, v2, v8
	v_addc_co_u32_e32 v9, vcc, v3, v9, vcc
	v_cmp_ne_u32_e32 vcc, 3, v1
	global_store_dwordx4 v[8:9], v[4:7], off
	s_and_b64 exec, exec, vcc
	s_cbranch_execz .LBB262_22
; %bb.21:
	ds_read_b128 v[4:7], v0 offset:384
	v_add3_u32 v0, s29, v1, 12
	v_mad_u64_u32 v[0:1], s[0:1], v0, s0, 0
	v_lshlrev_b64 v[0:1], 1, v[0:1]
	v_add_co_u32_e32 v0, vcc, v2, v0
	v_addc_co_u32_e32 v1, vcc, v3, v1, vcc
	s_waitcnt lgkmcnt(0)
	global_store_dwordx4 v[0:1], v[4:7], off
.LBB262_22:
	s_endpgm
	.section	.rodata,"a",@progbits
	.p2align	6, 0x0
	.amdhsa_kernel _Z39paged_attention_ll4mi_QKV_mfma16_kernelI14__hip_bfloat16S0_LN4vllm18Fp8KVCacheDataTypeE0ES0_Li32ELi64ELi256ELb1ELi15EL8MFMAType0EEvPKT_PKT0_S9_ifPKiSB_SB_iPKfiiiPfSE_PS4_PT2_iSD_SD_
		.amdhsa_group_segment_fixed_size 8192
		.amdhsa_private_segment_fixed_size 0
		.amdhsa_kernarg_size 400
		.amdhsa_user_sgpr_count 6
		.amdhsa_user_sgpr_private_segment_buffer 1
		.amdhsa_user_sgpr_dispatch_ptr 0
		.amdhsa_user_sgpr_queue_ptr 0
		.amdhsa_user_sgpr_kernarg_segment_ptr 1
		.amdhsa_user_sgpr_dispatch_id 0
		.amdhsa_user_sgpr_flat_scratch_init 0
		.amdhsa_user_sgpr_kernarg_preload_length 0
		.amdhsa_user_sgpr_kernarg_preload_offset 0
		.amdhsa_user_sgpr_private_segment_size 0
		.amdhsa_uses_dynamic_stack 0
		.amdhsa_system_sgpr_private_segment_wavefront_offset 0
		.amdhsa_system_sgpr_workgroup_id_x 1
		.amdhsa_system_sgpr_workgroup_id_y 1
		.amdhsa_system_sgpr_workgroup_id_z 1
		.amdhsa_system_sgpr_workgroup_info 0
		.amdhsa_system_vgpr_workitem_id 0
		.amdhsa_next_free_vgpr 66
		.amdhsa_next_free_sgpr 48
		.amdhsa_accum_offset 68
		.amdhsa_reserve_vcc 1
		.amdhsa_reserve_flat_scratch 0
		.amdhsa_float_round_mode_32 0
		.amdhsa_float_round_mode_16_64 0
		.amdhsa_float_denorm_mode_32 3
		.amdhsa_float_denorm_mode_16_64 3
		.amdhsa_dx10_clamp 1
		.amdhsa_ieee_mode 1
		.amdhsa_fp16_overflow 0
		.amdhsa_tg_split 0
		.amdhsa_exception_fp_ieee_invalid_op 0
		.amdhsa_exception_fp_denorm_src 0
		.amdhsa_exception_fp_ieee_div_zero 0
		.amdhsa_exception_fp_ieee_overflow 0
		.amdhsa_exception_fp_ieee_underflow 0
		.amdhsa_exception_fp_ieee_inexact 0
		.amdhsa_exception_int_div_zero 0
	.end_amdhsa_kernel
	.section	.text._Z39paged_attention_ll4mi_QKV_mfma16_kernelI14__hip_bfloat16S0_LN4vllm18Fp8KVCacheDataTypeE0ES0_Li32ELi64ELi256ELb1ELi15EL8MFMAType0EEvPKT_PKT0_S9_ifPKiSB_SB_iPKfiiiPfSE_PS4_PT2_iSD_SD_,"axG",@progbits,_Z39paged_attention_ll4mi_QKV_mfma16_kernelI14__hip_bfloat16S0_LN4vllm18Fp8KVCacheDataTypeE0ES0_Li32ELi64ELi256ELb1ELi15EL8MFMAType0EEvPKT_PKT0_S9_ifPKiSB_SB_iPKfiiiPfSE_PS4_PT2_iSD_SD_,comdat
.Lfunc_end262:
	.size	_Z39paged_attention_ll4mi_QKV_mfma16_kernelI14__hip_bfloat16S0_LN4vllm18Fp8KVCacheDataTypeE0ES0_Li32ELi64ELi256ELb1ELi15EL8MFMAType0EEvPKT_PKT0_S9_ifPKiSB_SB_iPKfiiiPfSE_PS4_PT2_iSD_SD_, .Lfunc_end262-_Z39paged_attention_ll4mi_QKV_mfma16_kernelI14__hip_bfloat16S0_LN4vllm18Fp8KVCacheDataTypeE0ES0_Li32ELi64ELi256ELb1ELi15EL8MFMAType0EEvPKT_PKT0_S9_ifPKiSB_SB_iPKfiiiPfSE_PS4_PT2_iSD_SD_
                                        ; -- End function
	.section	.AMDGPU.csdata,"",@progbits
; Kernel info:
; codeLenInByte = 4716
; NumSgprs: 52
; NumVgprs: 66
; NumAgprs: 0
; TotalNumVgprs: 66
; ScratchSize: 0
; MemoryBound: 0
; FloatMode: 240
; IeeeMode: 1
; LDSByteSize: 8192 bytes/workgroup (compile time only)
; SGPRBlocks: 6
; VGPRBlocks: 8
; NumSGPRsForWavesPerEU: 52
; NumVGPRsForWavesPerEU: 66
; AccumOffset: 68
; Occupancy: 7
; WaveLimiterHint : 1
; COMPUTE_PGM_RSRC2:SCRATCH_EN: 0
; COMPUTE_PGM_RSRC2:USER_SGPR: 6
; COMPUTE_PGM_RSRC2:TRAP_HANDLER: 0
; COMPUTE_PGM_RSRC2:TGID_X_EN: 1
; COMPUTE_PGM_RSRC2:TGID_Y_EN: 1
; COMPUTE_PGM_RSRC2:TGID_Z_EN: 1
; COMPUTE_PGM_RSRC2:TIDIG_COMP_CNT: 0
; COMPUTE_PGM_RSRC3_GFX90A:ACCUM_OFFSET: 16
; COMPUTE_PGM_RSRC3_GFX90A:TG_SPLIT: 0
	.section	.text._Z39paged_attention_ll4mi_QKV_mfma16_kernelI14__hip_bfloat16S0_LN4vllm18Fp8KVCacheDataTypeE0ES0_Li32ELi64ELi256ELb1ELi16EL8MFMAType0EEvPKT_PKT0_S9_ifPKiSB_SB_iPKfiiiPfSE_PS4_PT2_iSD_SD_,"axG",@progbits,_Z39paged_attention_ll4mi_QKV_mfma16_kernelI14__hip_bfloat16S0_LN4vllm18Fp8KVCacheDataTypeE0ES0_Li32ELi64ELi256ELb1ELi16EL8MFMAType0EEvPKT_PKT0_S9_ifPKiSB_SB_iPKfiiiPfSE_PS4_PT2_iSD_SD_,comdat
	.protected	_Z39paged_attention_ll4mi_QKV_mfma16_kernelI14__hip_bfloat16S0_LN4vllm18Fp8KVCacheDataTypeE0ES0_Li32ELi64ELi256ELb1ELi16EL8MFMAType0EEvPKT_PKT0_S9_ifPKiSB_SB_iPKfiiiPfSE_PS4_PT2_iSD_SD_ ; -- Begin function _Z39paged_attention_ll4mi_QKV_mfma16_kernelI14__hip_bfloat16S0_LN4vllm18Fp8KVCacheDataTypeE0ES0_Li32ELi64ELi256ELb1ELi16EL8MFMAType0EEvPKT_PKT0_S9_ifPKiSB_SB_iPKfiiiPfSE_PS4_PT2_iSD_SD_
	.globl	_Z39paged_attention_ll4mi_QKV_mfma16_kernelI14__hip_bfloat16S0_LN4vllm18Fp8KVCacheDataTypeE0ES0_Li32ELi64ELi256ELb1ELi16EL8MFMAType0EEvPKT_PKT0_S9_ifPKiSB_SB_iPKfiiiPfSE_PS4_PT2_iSD_SD_
	.p2align	8
	.type	_Z39paged_attention_ll4mi_QKV_mfma16_kernelI14__hip_bfloat16S0_LN4vllm18Fp8KVCacheDataTypeE0ES0_Li32ELi64ELi256ELb1ELi16EL8MFMAType0EEvPKT_PKT0_S9_ifPKiSB_SB_iPKfiiiPfSE_PS4_PT2_iSD_SD_,@function
_Z39paged_attention_ll4mi_QKV_mfma16_kernelI14__hip_bfloat16S0_LN4vllm18Fp8KVCacheDataTypeE0ES0_Li32ELi64ELi256ELb1ELi16EL8MFMAType0EEvPKT_PKT0_S9_ifPKiSB_SB_iPKfiiiPfSE_PS4_PT2_iSD_SD_: ; @_Z39paged_attention_ll4mi_QKV_mfma16_kernelI14__hip_bfloat16S0_LN4vllm18Fp8KVCacheDataTypeE0ES0_Li32ELi64ELi256ELb1ELi16EL8MFMAType0EEvPKT_PKT0_S9_ifPKiSB_SB_iPKfiiiPfSE_PS4_PT2_iSD_SD_
; %bb.0:
	s_load_dwordx2 s[0:1], s[4:5], 0x30
	s_mov_b32 s28, s7
	s_mov_b64 s[10:11], 0
	s_waitcnt lgkmcnt(0)
	s_cmp_lg_u64 s[0:1], 0
	s_cselect_b64 s[2:3], -1, 0
	s_and_b64 vcc, exec, s[2:3]
	s_cbranch_vccz .LBB263_7
; %bb.1:
	s_add_i32 s12, s6, 1
	s_mov_b32 s13, 0
	s_lshl_b64 s[14:15], s[12:13], 2
	s_add_u32 s14, s0, s14
	s_mov_b32 s7, s13
	s_addc_u32 s15, s1, s15
	s_lshl_b64 s[12:13], s[6:7], 2
	s_add_u32 s12, s0, s12
	s_addc_u32 s13, s1, s13
	s_load_dword s9, s[14:15], 0x0
	s_load_dword s16, s[12:13], 0x0
	s_waitcnt lgkmcnt(0)
	s_sub_i32 s9, s9, s16
	s_cmp_eq_u32 s9, 1
	s_cselect_b64 s[12:13], -1, 0
	s_andn2_b64 vcc, exec, s[10:11]
	s_cbranch_vccnz .LBB263_3
.LBB263_2:
	s_mov_b32 s7, 0
	s_mov_b64 s[12:13], -1
.LBB263_3:
	s_andn2_b64 vcc, exec, s[12:13]
	s_cbranch_vccnz .LBB263_19
; %bb.4:
	s_load_dwordx2 s[12:13], s[4:5], 0x28
	s_lshl_b64 s[10:11], s[6:7], 2
	s_waitcnt lgkmcnt(0)
	s_add_u32 s12, s12, s10
	s_addc_u32 s13, s13, s11
	s_load_dword s33, s[12:13], 0x0
	s_lshl_b32 s16, s28, 8
	s_waitcnt lgkmcnt(0)
	s_cmp_ge_i32 s16, s33
	s_cbranch_scc1 .LBB263_19
; %bb.5:
	s_add_i32 s14, s33, 31
	s_load_dwordx2 s[12:13], s[4:5], 0x20
	s_load_dword s9, s[4:5], 0x38
	s_ashr_i32 s15, s14, 31
	v_and_b32_e32 v1, 0xcf, v0
	s_lshr_b32 s15, s15, 27
	v_add_u32_e32 v1, s16, v1
	s_add_i32 s14, s14, s15
	v_ashrrev_i32_e32 v2, 31, v1
	s_ashr_i32 s19, s14, 5
	v_lshrrev_b32_e32 v6, 27, v2
	s_add_i32 s19, s19, -1
	v_add_u32_e32 v2, v1, v6
	s_waitcnt lgkmcnt(0)
	s_mul_i32 s14, s6, s9
	s_mov_b32 s15, 0
	v_ashrrev_i32_e32 v2, 5, v2
	v_mov_b32_e32 v7, s19
	v_cmp_gt_i32_e32 vcc, s33, v1
	s_lshl_b64 s[14:15], s[14:15], 2
	v_cndmask_b32_e32 v2, v7, v2, vcc
	s_add_u32 s17, s12, s14
	v_ashrrev_i32_e32 v3, 31, v2
	s_addc_u32 s18, s13, s15
	v_lshlrev_b64 v[2:3], 2, v[2:3]
	v_mov_b32_e32 v4, s18
	v_add_co_u32_e32 v2, vcc, s17, v2
	v_addc_co_u32_e32 v3, vcc, v4, v3, vcc
	v_or_b32_e32 v4, 16, v1
	v_add_u32_e32 v5, v4, v6
	v_ashrrev_i32_e32 v5, 5, v5
	v_cmp_gt_i32_e32 vcc, s33, v4
	v_cndmask_b32_e32 v4, v7, v5, vcc
	v_ashrrev_i32_e32 v5, 31, v4
	v_lshlrev_b64 v[4:5], 2, v[4:5]
	v_mov_b32_e32 v9, s18
	v_add_co_u32_e32 v8, vcc, s17, v4
	v_or_b32_e32 v4, 32, v1
	v_addc_co_u32_e32 v9, vcc, v9, v5, vcc
	v_add_u32_e32 v5, v4, v6
	v_ashrrev_i32_e32 v5, 5, v5
	v_cmp_gt_i32_e32 vcc, s33, v4
	v_cndmask_b32_e32 v4, v7, v5, vcc
	v_ashrrev_i32_e32 v5, 31, v4
	v_lshlrev_b64 v[4:5], 2, v[4:5]
	v_mov_b32_e32 v11, s18
	v_add_co_u32_e32 v10, vcc, s17, v4
	v_or_b32_e32 v1, 48, v1
	v_addc_co_u32_e32 v11, vcc, v11, v5, vcc
	v_add_u32_e32 v4, v1, v6
	v_ashrrev_i32_e32 v4, 5, v4
	v_cmp_gt_i32_e32 vcc, s33, v1
	v_cndmask_b32_e32 v4, v7, v4, vcc
	v_ashrrev_i32_e32 v5, 31, v4
	v_lshlrev_b64 v[4:5], 2, v[4:5]
	v_mov_b32_e32 v1, s18
	v_add_co_u32_e32 v12, vcc, s17, v4
	v_addc_co_u32_e32 v13, vcc, v1, v5, vcc
	global_load_dword v4, v[2:3], off
	global_load_dword v6, v[8:9], off
	;; [unrolled: 1-line block ×4, first 2 shown]
	s_andn2_b64 vcc, exec, s[2:3]
	s_cbranch_vccnz .LBB263_8
; %bb.6:
	s_add_u32 s0, s0, s10
	s_addc_u32 s1, s1, s11
	s_load_dword s9, s[0:1], 0x0
	s_branch .LBB263_9
.LBB263_7:
	s_mov_b64 s[12:13], 0
	s_branch .LBB263_2
.LBB263_8:
	s_mov_b32 s9, s6
.LBB263_9:
	s_load_dwordx2 s[10:11], s[4:5], 0x40
	s_load_dwordx4 s[12:15], s[4:5], 0x8
	s_load_dwordx4 s[44:47], s[4:5], 0x48
	v_and_b32_e32 v54, 15, v0
	s_movk_i32 s0, 0xff
	v_cmp_lt_u32_e32 vcc, s0, v0
	v_cmp_lt_u32_e64 s[2:3], 7, v54
	v_lshlrev_b32_e32 v2, 3, v54
	v_cmp_gt_u32_e64 s[0:1], 8, v54
	s_or_b64 s[2:3], vcc, s[2:3]
	s_and_saveexec_b64 s[20:21], s[2:3]
	s_xor_b64 s[2:3], exec, s[20:21]
; %bb.10:
	v_mov_b32_e32 v3, 0
; %bb.11:
	s_or_saveexec_b64 s[2:3], s[2:3]
	v_lshrrev_b32_e32 v55, 6, v0
	v_and_b32_e32 v57, 63, v0
	s_lshl_b32 s29, s8, 4
	v_bfe_u32 v1, v0, 4, 2
	s_xor_b64 exec, exec, s[2:3]
	s_cbranch_execz .LBB263_13
; %bb.12:
	s_load_dwordx2 s[20:21], s[4:5], 0x0
	s_waitcnt lgkmcnt(0)
	s_ashr_i32 s22, s44, 31
	s_mul_hi_u32 s23, s9, s44
	s_mul_i32 s22, s9, s22
	v_lshl_or_b32 v5, v55, 2, v1
	s_add_i32 s23, s23, s22
	s_mul_i32 s22, s9, s44
	s_lshl_b64 s[22:23], s[22:23], 1
	v_add_lshl_u32 v8, v5, s29, 6
	s_add_u32 s9, s20, s22
	v_ashrrev_i32_e32 v9, 31, v8
	s_addc_u32 s20, s21, s23
	v_lshlrev_b64 v[8:9], 1, v[8:9]
	v_mov_b32_e32 v3, s20
	v_add_co_u32_e32 v7, vcc, s9, v8
	v_addc_co_u32_e32 v3, vcc, v3, v9, vcc
	v_lshlrev_b32_e32 v8, 1, v2
	v_add_co_u32_e32 v8, vcc, v7, v8
	v_addc_co_u32_e32 v9, vcc, 0, v3, vcc
	global_load_dwordx4 v[8:11], v[8:9], off
	v_and_b32_e32 v7, 3, v0
	v_lshlrev_b32_e32 v12, 9, v54
	v_lshlrev_b32_e32 v5, 5, v5
	;; [unrolled: 1-line block ×3, first 2 shown]
	v_and_b32_e32 v12, 0x1800, v12
	v_mov_b32_e32 v3, 0
	v_or3_b32 v5, v12, v7, v5
	s_waitcnt vmcnt(0)
	ds_write_b128 v5, v[8:11]
.LBB263_13:
	s_or_b64 exec, exec, s[2:3]
	s_waitcnt lgkmcnt(0)
	s_mul_i32 s8, s8, s46
	s_mov_b32 s9, 0
	s_lshl_b64 s[8:9], s[8:9], 1
	s_add_u32 s3, s12, s8
	s_addc_u32 s20, s13, s9
	s_waitcnt vmcnt(3)
	v_mad_i64_i32 v[4:5], s[12:13], v4, s45, 0
	v_lshlrev_b64 v[4:5], 1, v[4:5]
	v_mov_b32_e32 v7, s20
	v_add_co_u32_e32 v4, vcc, s3, v4
	v_addc_co_u32_e32 v5, vcc, v7, v5, vcc
	v_lshlrev_b64 v[38:39], 1, v[2:3]
	v_add_co_u32_e32 v2, vcc, v4, v38
	v_lshlrev_b32_e32 v34, 9, v1
	v_addc_co_u32_e32 v3, vcc, v5, v39, vcc
	v_add_co_u32_e32 v8, vcc, v2, v34
	v_addc_co_u32_e32 v9, vcc, 0, v3, vcc
	s_load_dword s42, s[4:5], 0x98
	s_load_dword s2, s[4:5], 0x1c
	s_waitcnt lgkmcnt(0)
	s_barrier
	global_load_dwordx4 v[10:13], v[8:9], off
	global_load_dwordx4 v[2:5], v[8:9], off offset:2048
	s_waitcnt vmcnt(4)
	v_mad_i64_i32 v[6:7], s[12:13], v6, s45, 0
	v_lshlrev_b64 v[6:7], 1, v[6:7]
	v_mov_b32_e32 v8, s20
	v_add_co_u32_e32 v6, vcc, s3, v6
	v_addc_co_u32_e32 v7, vcc, v8, v7, vcc
	v_mov_b32_e32 v8, 0x100
	v_lshl_or_b32 v35, v54, 4, v8
	v_add_co_u32_e32 v6, vcc, v6, v35
	v_addc_co_u32_e32 v7, vcc, 0, v7, vcc
	v_add_co_u32_e32 v16, vcc, v6, v34
	v_addc_co_u32_e32 v17, vcc, 0, v7, vcc
	global_load_dwordx4 v[6:9], v[16:17], off
	s_waitcnt vmcnt(4)
	v_mad_i64_i32 v[18:19], s[12:13], v14, s45, 0
	global_load_dwordx4 v[14:17], v[16:17], off offset:2048
	v_lshlrev_b64 v[26:27], 1, v[18:19]
	v_mov_b32_e32 v28, s20
	v_add_co_u32_e32 v26, vcc, s3, v26
	v_addc_co_u32_e32 v27, vcc, v28, v27, vcc
	v_add_co_u32_e32 v26, vcc, v26, v38
	v_addc_co_u32_e32 v27, vcc, v27, v39, vcc
	v_add_co_u32_e32 v32, vcc, v26, v34
	s_waitcnt vmcnt(4)
	v_mad_i64_i32 v[20:21], s[12:13], v20, s45, 0
	v_lshl_or_b32 v56, v54, 5, v34
	v_addc_co_u32_e32 v33, vcc, 0, v27, vcc
	v_lshlrev_b64 v[30:31], 1, v[20:21]
	ds_read_b128 v[22:25], v56
	ds_read_b128 v[18:21], v56 offset:2048
	global_load_dwordx4 v[26:29], v[32:33], off
	v_mov_b32_e32 v37, s20
	s_ashr_i32 s12, s16, 31
	v_and_or_b32 v43, v0, 48, s16
	s_lshr_b32 s12, s12, 27
	v_or_b32_e32 v36, 64, v43
	v_mov_b32_e32 v42, s19
	v_mov_b32_e32 v52, s18
	;; [unrolled: 1-line block ×3, first 2 shown]
	s_mov_b32 s43, 0xff7fffff
	s_waitcnt vmcnt(4) lgkmcnt(1)
	v_mfma_f32_16x16x16bf16_1k v[44:47], v[10:11], v[22:23], 0
	v_add_co_u32_e32 v10, vcc, s3, v30
	v_addc_co_u32_e32 v11, vcc, v37, v31, vcc
	v_add_co_u32_e32 v35, vcc, v10, v35
	v_addc_co_u32_e32 v37, vcc, 0, v11, vcc
	v_mfma_f32_16x16x16bf16_1k v[10:13], v[12:13], v[24:25], v[44:47]
	v_add_u32_e32 v30, s12, v43
	v_add_u32_e32 v31, s12, v36
	v_ashrrev_i32_e32 v40, 5, v30
	v_add_co_u32_e32 v30, vcc, v35, v34
	v_ashrrev_i32_e32 v41, 5, v31
	s_nop 1
	global_load_dwordx4 v[44:47], v[32:33], off offset:2048
	s_waitcnt vmcnt(4) lgkmcnt(0)
	v_mfma_f32_16x16x16bf16_1k v[10:13], v[2:3], v[18:19], v[10:13]
	v_addc_co_u32_e32 v31, vcc, 0, v37, vcc
	v_cmp_gt_i32_e32 vcc, s33, v43
	v_cndmask_b32_e32 v2, v42, v40, vcc
	v_ashrrev_i32_e32 v3, 31, v2
	v_cmp_gt_i32_e32 vcc, s33, v36
	v_lshlrev_b64 v[2:3], 2, v[2:3]
	v_cndmask_b32_e32 v40, v42, v41, vcc
	v_add_co_u32_e32 v2, vcc, s17, v2
	v_addc_co_u32_e32 v3, vcc, v52, v3, vcc
	global_load_dwordx4 v[48:51], v[30:31], off
	s_nop 0
	global_load_dwordx4 v[30:33], v[30:31], off offset:2048
	v_mfma_f32_16x16x16bf16_1k v[34:37], v[4:5], v[20:21], v[10:13]
	v_ashrrev_i32_e32 v41, 31, v40
	s_add_u32 s3, s14, s8
	s_addc_u32 s8, s15, s9
	s_nop 3
	global_load_dword v12, v[2:3], off
	s_waitcnt vmcnt(6)
	v_mfma_f32_16x16x16bf16_1k v[2:5], v[6:7], v[22:23], 0
	v_lshlrev_b64 v[10:11], 2, v[40:41]
	v_add_co_u32_e32 v6, vcc, s17, v10
	v_addc_co_u32_e32 v7, vcc, v53, v11, vcc
	global_load_dword v52, v[6:7], off
	v_or_b32_e32 v6, 0x80, v43
	v_mfma_f32_16x16x16bf16_1k v[2:5], v[8:9], v[24:25], v[2:5]
	v_add_u32_e32 v7, s12, v6
	v_ashrrev_i32_e32 v7, 5, v7
	v_cmp_gt_i32_e32 vcc, s33, v6
	v_cndmask_b32_e32 v6, v42, v7, vcc
	v_ashrrev_i32_e32 v7, 31, v6
	v_lshlrev_b64 v[6:7], 2, v[6:7]
	v_mov_b32_e32 v8, s18
	s_waitcnt vmcnt(6)
	v_mfma_f32_16x16x16bf16_1k v[2:5], v[14:15], v[18:19], v[2:5]
	v_add_co_u32_e32 v6, vcc, s17, v6
	v_or_b32_e32 v40, s29, v54
	v_addc_co_u32_e32 v7, vcc, v8, v7, vcc
	v_ashrrev_i32_e32 v41, 31, v40
	global_load_dword v53, v[6:7], off
	v_lshlrev_b64 v[6:7], 2, v[40:41]
	v_mfma_f32_16x16x16bf16_1k v[58:61], v[16:17], v[20:21], v[2:5]
	s_nop 6
	v_mov_b32_e32 v3, s11
	v_add_co_u32_e32 v2, vcc, s10, v6
	v_addc_co_u32_e32 v3, vcc, v3, v7, vcc
	global_load_dword v41, v[2:3], off
	s_waitcnt vmcnt(7)
	v_mfma_f32_16x16x16bf16_1k v[2:5], v[26:27], v[22:23], 0
	v_or_b32_e32 v6, 0xc0, v43
	v_add_u32_e32 v7, s12, v6
	v_ashrrev_i32_e32 v7, 5, v7
	v_cmp_gt_i32_e32 vcc, s33, v6
	v_cndmask_b32_e32 v6, v42, v7, vcc
	v_ashrrev_i32_e32 v7, 31, v6
	v_lshlrev_b64 v[6:7], 2, v[6:7]
	v_mfma_f32_16x16x16bf16_1k v[2:5], v[28:29], v[24:25], v[2:5]
	v_add_co_u32_e32 v6, vcc, s17, v6
	v_addc_co_u32_e32 v7, vcc, v8, v7, vcc
	global_load_dword v66, v[6:7], off
	v_and_b32_e32 v6, 16, v0
	v_lshlrev_b32_e32 v6, 1, v6
	s_waitcnt vmcnt(7)
	v_mfma_f32_16x16x16bf16_1k v[2:5], v[44:45], v[18:19], v[2:5]
	v_mov_b32_e32 v7, s8
	v_add_co_u32_e32 v6, vcc, s3, v6
	v_lshlrev_b32_e32 v8, 6, v54
	v_addc_co_u32_e32 v7, vcc, 0, v7, vcc
	v_lshl_or_b32 v8, v55, 10, v8
	v_mfma_f32_16x16x16bf16_1k v[26:29], v[46:47], v[20:21], v[2:5]
	v_add_co_u32_e32 v67, vcc, v6, v8
	v_addc_co_u32_e32 v68, vcc, 0, v7, vcc
	v_pk_mul_f32 v[46:47], s[2:3], v[60:61] op_sel_hi:[0,1]
	s_nop 7
	v_pk_mul_f32 v[44:45], s[2:3], v[26:27] op_sel_hi:[0,1]
	s_waitcnt vmcnt(4)
	v_mad_i64_i32 v[2:3], s[8:9], v12, s45, 0
	v_lshlrev_b64 v[6:7], 1, v[2:3]
	v_mfma_f32_16x16x16bf16_1k v[2:5], v[48:49], v[22:23], 0
	v_add_co_u32_e32 v6, vcc, v67, v6
	v_addc_co_u32_e32 v7, vcc, v68, v7, vcc
	global_load_dwordx4 v[14:17], v[6:7], off
	global_load_dwordx4 v[10:13], v[6:7], off offset:16
	s_waitcnt vmcnt(5)
	v_mad_i64_i32 v[6:7], s[8:9], v52, s45, 0
	v_mfma_f32_16x16x16bf16_1k v[22:25], v[50:51], v[24:25], v[2:5]
	v_pk_mul_f32 v[50:51], s[2:3], v[36:37] op_sel_hi:[0,1]
	v_lshlrev_b64 v[6:7], 1, v[6:7]
	v_pk_mul_f32 v[48:49], s[2:3], v[58:59] op_sel_hi:[0,1]
	s_waitcnt vmcnt(4)
	v_mad_i64_i32 v[42:43], s[8:9], v53, s45, 0
	v_mfma_f32_16x16x16bf16_1k v[62:65], v[30:31], v[18:19], v[22:25]
	v_pk_mul_f32 v[18:19], s[2:3], v[34:35] op_sel_hi:[0,1]
	v_add_co_u32_e32 v2, vcc, v67, v6
	v_addc_co_u32_e32 v3, vcc, v68, v7, vcc
	v_lshlrev_b64 v[42:43], 1, v[42:43]
	s_nop 2
	v_add_co_u32_e32 v22, vcc, v67, v42
	v_mfma_f32_16x16x16bf16_1k v[24:27], v[32:33], v[20:21], v[62:65]
	v_and_b32_e32 v20, 0xc0, v0
	v_add_u32_e32 v20, s16, v20
	v_lshl_or_b32 v20, v1, 2, v20
	v_or_b32_e32 v21, 1, v20
	v_addc_co_u32_e32 v23, vcc, v68, v43, vcc
	v_pk_mul_f32 v[42:43], s[2:3], v[28:29] op_sel_hi:[0,1]
	s_nop 4
	v_pk_mul_f32 v[36:37], s[2:3], v[24:25] op_sel_hi:[0,1]
	v_subrev_u32_e32 v24, s33, v21
	v_pk_mul_f32 v[34:35], s[2:3], v[26:27] op_sel_hi:[0,1]
	v_add_u32_e32 v26, 1, v24
	v_add_u32_e32 v27, 2, v24
	v_cvt_f32_i32_e32 v25, v24
	v_cvt_f32_i32_e32 v26, v26
	;; [unrolled: 1-line block ×3, first 2 shown]
	v_add_u32_e32 v28, 3, v24
	s_waitcnt vmcnt(3)
	v_fma_f32 v18, v41, v25, v18
	v_fmac_f32_e32 v19, v41, v26
	v_fma_f32 v50, v41, v27, v50
	v_add_u32_e32 v25, 16, v24
	v_add_u32_e32 v26, 17, v24
	;; [unrolled: 1-line block ×3, first 2 shown]
	v_cvt_f32_i32_e32 v28, v28
	v_cvt_f32_i32_e32 v25, v25
	;; [unrolled: 1-line block ×4, first 2 shown]
	v_fmac_f32_e32 v51, v41, v28
	v_add_u32_e32 v28, 19, v24
	v_fma_f32 v48, v41, v25, v48
	v_fmac_f32_e32 v49, v41, v26
	v_fma_f32 v46, v41, v27, v46
	v_add_u32_e32 v25, 32, v24
	v_add_u32_e32 v26, 33, v24
	;; [unrolled: 1-line block ×3, first 2 shown]
	v_cvt_f32_i32_e32 v28, v28
	v_cvt_f32_i32_e32 v25, v25
	;; [unrolled: 1-line block ×4, first 2 shown]
	v_fmac_f32_e32 v47, v41, v28
	v_add_u32_e32 v28, 35, v24
	v_fma_f32 v44, v41, v25, v44
	v_fmac_f32_e32 v45, v41, v26
	v_fma_f32 v42, v41, v27, v42
	v_add_u32_e32 v25, 48, v24
	v_add_u32_e32 v26, 49, v24
	;; [unrolled: 1-line block ×4, first 2 shown]
	v_cvt_f32_i32_e32 v24, v24
	v_cvt_f32_i32_e32 v25, v25
	;; [unrolled: 1-line block ×3, first 2 shown]
	v_cmp_gt_i32_e64 s[30:31], s33, v20
	v_fmac_f32_e32 v35, v41, v24
	v_mov_b32_e32 v24, 0xff7fffff
	v_cmp_gt_i32_e64 s[34:35], s33, v21
	v_fma_f32 v36, v41, v25, v36
	v_cndmask_b32_e64 v25, v24, v18, s[30:31]
	v_cndmask_b32_e64 v21, v24, v19, s[34:35]
	v_fmac_f32_e32 v37, v41, v26
	v_max3_f32 v21, v25, s43, v21
	v_or_b32_e32 v25, 2, v20
	v_or_b32_e32 v26, 3, v20
	v_cmp_gt_i32_e64 s[36:37], s33, v25
	v_cmp_gt_i32_e64 s[38:39], s33, v26
	v_cndmask_b32_e64 v25, v24, v50, s[36:37]
	v_cndmask_b32_e64 v26, v24, v51, s[38:39]
	v_max3_f32 v21, v21, v25, v26
	v_or_b32_e32 v25, 16, v20
	v_or_b32_e32 v26, 17, v20
	v_cmp_gt_i32_e64 s[24:25], s33, v25
	v_cmp_gt_i32_e64 s[26:27], s33, v26
	v_cndmask_b32_e64 v25, v24, v48, s[24:25]
	v_cndmask_b32_e64 v26, v24, v49, s[26:27]
	;; [unrolled: 7-line block ×3, first 2 shown]
	v_cvt_f32_i32_e32 v28, v28
	v_max3_f32 v21, v21, v25, v26
	v_or_b32_e32 v25, 32, v20
	v_or_b32_e32 v26, 33, v20
	v_cmp_gt_i32_e64 s[16:17], s33, v25
	v_cmp_gt_i32_e64 s[18:19], s33, v26
	v_cndmask_b32_e64 v25, v24, v44, s[16:17]
	v_cndmask_b32_e64 v26, v24, v45, s[18:19]
	v_max3_f32 v21, v21, v25, v26
	v_or_b32_e32 v25, 34, v20
	v_or_b32_e32 v26, 35, v20
	v_fmac_f32_e32 v43, v41, v28
	v_cmp_gt_i32_e64 s[12:13], s33, v25
	v_cmp_gt_i32_e64 s[14:15], s33, v26
	v_cndmask_b32_e64 v25, v24, v42, s[12:13]
	v_cndmask_b32_e64 v26, v24, v43, s[14:15]
	v_cvt_f32_i32_e32 v27, v27
	v_max3_f32 v21, v21, v25, v26
	v_or_b32_e32 v25, 48, v20
	v_or_b32_e32 v26, 49, v20
	v_cmp_gt_i32_e64 s[8:9], s33, v25
	v_cmp_gt_i32_e64 s[10:11], s33, v26
	v_cndmask_b32_e64 v25, v24, v36, s[8:9]
	v_cndmask_b32_e64 v26, v24, v37, s[10:11]
	v_max3_f32 v21, v21, v25, v26
	v_or_b32_e32 v25, 50, v20
	v_or_b32_e32 v20, 51, v20
	v_fma_f32 v34, v41, v27, v34
	v_cmp_gt_i32_e32 vcc, s33, v25
	v_cmp_gt_i32_e64 s[2:3], s33, v20
	v_cndmask_b32_e32 v25, v24, v34, vcc
	v_cndmask_b32_e64 v20, v24, v35, s[2:3]
	v_max3_f32 v26, v21, v25, v20
	v_mbcnt_lo_u32_b32 v20, -1, 0
	v_mbcnt_hi_u32_b32 v27, -1, v20
	v_and_b32_e32 v20, 64, v27
	v_add_u32_e32 v28, 64, v20
	v_xor_b32_e32 v20, 32, v27
	v_cmp_lt_i32_e64 s[40:41], v20, v28
	v_cndmask_b32_e64 v20, v27, v20, s[40:41]
	v_lshlrev_b32_e32 v58, 2, v20
	ds_bpermute_b32 v29, v58, v26
	s_waitcnt vmcnt(2)
	v_mad_i64_i32 v[20:21], s[40:41], v66, s45, 0
	v_lshlrev_b64 v[20:21], 1, v[20:21]
	global_load_dwordx4 v[6:9], v[2:3], off
	s_nop 0
	global_load_dwordx4 v[2:5], v[2:3], off offset:16
	s_waitcnt lgkmcnt(0)
	v_max_f32_e32 v29, v29, v29
	v_max_f32_e32 v26, v26, v29
	v_xor_b32_e32 v29, 16, v27
	v_cmp_lt_i32_e64 s[40:41], v29, v28
	v_cndmask_b32_e64 v27, v27, v29, s[40:41]
	v_lshlrev_b32_e32 v60, 2, v27
	ds_bpermute_b32 v27, v60, v26
	v_add_co_u32_e64 v20, s[40:41], v67, v20
	v_addc_co_u32_e64 v21, s[40:41], v68, v21, s[40:41]
	s_waitcnt lgkmcnt(0)
	v_max_f32_e32 v27, v27, v27
	v_max_f32_e32 v41, v26, v27
	v_sub_f32_e32 v18, v18, v41
	v_mul_f32_e32 v18, 0x3fb8aa3b, v18
	v_exp_f32_e32 v52, v18
	v_sub_f32_e32 v18, v19, v41
	v_mul_f32_e32 v18, 0x3fb8aa3b, v18
	global_load_dwordx4 v[30:33], v[22:23], off
	s_nop 0
	global_load_dwordx4 v[22:25], v[22:23], off offset:16
	v_exp_f32_e32 v53, v18
	global_load_dwordx4 v[26:29], v[20:21], off
	s_nop 0
	global_load_dwordx4 v[18:21], v[20:21], off offset:16
	v_sub_f32_e32 v50, v50, v41
	v_mul_f32_e32 v50, 0x3fb8aa3b, v50
	v_sub_f32_e32 v51, v51, v41
	v_exp_f32_e32 v50, v50
	v_mul_f32_e32 v51, 0x3fb8aa3b, v51
	v_sub_f32_e32 v48, v48, v41
	v_exp_f32_e32 v51, v51
	v_mul_f32_e32 v48, 0x3fb8aa3b, v48
	v_sub_f32_e32 v49, v49, v41
	v_cndmask_b32_e64 v52, 0, v52, s[30:31]
	v_exp_f32_e32 v48, v48
	v_mul_f32_e32 v49, 0x3fb8aa3b, v49
	v_sub_f32_e32 v46, v46, v41
	v_add_f32_e32 v59, 0, v52
	v_cndmask_b32_e64 v53, 0, v53, s[34:35]
	v_exp_f32_e32 v49, v49
	v_mul_f32_e32 v46, 0x3fb8aa3b, v46
	v_sub_f32_e32 v47, v47, v41
	v_add_f32_e32 v59, v59, v53
	;; [unrolled: 5-line block ×10, first 2 shown]
	v_cndmask_b32_e64 v42, 0, v42, s[12:13]
	v_exp_f32_e32 v34, v34
	v_mul_f32_e32 v35, 0x3fb8aa3b, v35
	v_add_f32_e32 v59, v59, v42
	v_cndmask_b32_e64 v43, 0, v43, s[14:15]
	v_exp_f32_e32 v35, v35
	v_add_f32_e32 v59, v59, v43
	v_cndmask_b32_e64 v36, 0, v36, s[8:9]
	v_add_f32_e32 v59, v59, v36
	v_cndmask_b32_e64 v37, 0, v37, s[10:11]
	v_add_f32_e32 v59, v59, v37
	v_cndmask_b32_e32 v34, 0, v34, vcc
	v_add_f32_e32 v59, v59, v34
	v_cndmask_b32_e64 v35, 0, v35, s[2:3]
	v_add_f32_e32 v59, v59, v35
	ds_bpermute_b32 v58, v58, v59
	v_cmp_gt_u32_e32 vcc, 16, v57
	s_waitcnt lgkmcnt(0)
	s_barrier
	v_add_f32_e32 v59, v59, v58
	ds_bpermute_b32 v60, v60, v59
	v_lshlrev_b32_e32 v58, 2, v54
	s_and_saveexec_b64 s[2:3], vcc
	s_cbranch_execz .LBB263_15
; %bb.14:
	s_waitcnt lgkmcnt(0)
	v_add_f32_e32 v57, v59, v60
	v_lshl_or_b32 v59, v55, 6, v58
	ds_write2st64_b32 v59, v41, v57 offset1:1
.LBB263_15:
	s_or_b64 exec, exec, s[2:3]
	s_load_dword s8, s[4:5], 0x94
	s_waitcnt lgkmcnt(0)
	s_barrier
	ds_read2_b32 v[60:61], v58 offset1:16
	ds_read2_b32 v[62:63], v58 offset0:32 offset1:48
	ds_read2_b32 v[64:65], v58 offset0:64 offset1:80
	s_movk_i32 s10, 0x7fff
	s_mov_b32 s11, 0x7060302
	s_waitcnt lgkmcnt(2)
	v_max3_f32 v41, v60, s43, v61
	s_waitcnt lgkmcnt(1)
	v_max3_f32 v57, v41, v62, v63
	v_sub_f32_e32 v41, v60, v57
	v_mul_f32_e32 v41, 0x3fb8aa3b, v41
	v_sub_f32_e32 v59, v61, v57
	v_sub_f32_e32 v60, v62, v57
	v_exp_f32_e32 v41, v41
	v_mul_f32_e32 v59, 0x3fb8aa3b, v59
	v_mul_f32_e32 v60, 0x3fb8aa3b, v60
	v_exp_f32_e32 v59, v59
	v_exp_f32_e32 v62, v60
	ds_read2_b32 v[60:61], v58 offset0:96 offset1:112
	v_sub_f32_e32 v58, v63, v57
	v_mul_f32_e32 v58, 0x3fb8aa3b, v58
	v_exp_f32_e32 v63, v58
	s_waitcnt lgkmcnt(1)
	v_fma_f32 v58, v41, v64, 0
	v_fmac_f32_e32 v58, v59, v65
	s_waitcnt lgkmcnt(0)
	v_fmac_f32_e32 v58, v62, v60
	v_fmac_f32_e32 v58, v63, v61
	v_add_f32_e32 v60, 0x358637bd, v58
	v_div_scale_f32 v61, s[2:3], v60, v60, 1.0
	v_rcp_f32_e32 v64, v61
	s_lshl_b32 s9, s42, 4
	s_barrier
	v_fma_f32 v65, -v61, v64, 1.0
	v_fmac_f32_e32 v64, v65, v64
	v_div_scale_f32 v65, vcc, 1.0, v60, 1.0
	v_mul_f32_e32 v66, v65, v64
	v_fma_f32 v67, -v61, v66, v65
	v_fmac_f32_e32 v66, v67, v64
	v_fma_f32 v61, -v61, v66, v65
	v_div_fmas_f32 v61, v61, v64, v66
	v_cmp_eq_u32_e32 vcc, 1, v55
	v_cndmask_b32_e32 v41, v41, v59, vcc
	v_cmp_eq_u32_e32 vcc, 2, v55
	v_cndmask_b32_e32 v41, v41, v62, vcc
	v_cmp_eq_u32_e32 vcc, 3, v55
	v_div_fixup_f32 v60, v61, v60, 1.0
	v_cndmask_b32_e32 v41, v41, v63, vcc
	v_mul_f32_e32 v60, v41, v60
	v_pk_mul_f32 v[52:53], v[60:61], v[52:53] op_sel_hi:[0,1]
	v_bfe_u32 v41, v53, 16, 1
	v_bfe_u32 v59, v52, 16, 1
	v_pk_mul_f32 v[50:51], v[60:61], v[50:51] op_sel_hi:[0,1]
	v_add3_u32 v52, v52, v59, s10
	v_add3_u32 v41, v53, v41, s10
	v_perm_b32 v52, v41, v52, s11
	v_bfe_u32 v41, v51, 16, 1
	v_bfe_u32 v53, v50, 16, 1
	v_add3_u32 v50, v50, v53, s10
	v_add3_u32 v41, v51, v41, s10
	v_perm_b32 v53, v41, v50, s11
	v_lshlrev_b32_e32 v41, 3, v1
	v_lshlrev_b32_e32 v50, 5, v54
	v_lshlrev_b32_e32 v51, 11, v55
	v_pk_mul_f32 v[48:49], v[60:61], v[48:49] op_sel_hi:[0,1]
	v_or3_b32 v50, v51, v50, v41
	v_bfe_u32 v41, v49, 16, 1
	v_bfe_u32 v51, v48, 16, 1
	v_pk_mul_f32 v[46:47], v[60:61], v[46:47] op_sel_hi:[0,1]
	v_add3_u32 v48, v48, v51, s10
	v_add3_u32 v41, v49, v41, s10
	v_perm_b32 v48, v41, v48, s11
	v_bfe_u32 v41, v47, 16, 1
	v_bfe_u32 v49, v46, 16, 1
	v_add3_u32 v46, v46, v49, s10
	v_add3_u32 v41, v47, v41, s10
	v_pk_mul_f32 v[44:45], v[60:61], v[44:45] op_sel_hi:[0,1]
	v_perm_b32 v49, v41, v46, s11
	v_bfe_u32 v41, v45, 16, 1
	v_bfe_u32 v46, v44, 16, 1
	v_pk_mul_f32 v[42:43], v[60:61], v[42:43] op_sel_hi:[0,1]
	v_add3_u32 v44, v44, v46, s10
	v_add3_u32 v41, v45, v41, s10
	v_perm_b32 v44, v41, v44, s11
	v_bfe_u32 v41, v43, 16, 1
	v_bfe_u32 v45, v42, 16, 1
	v_add3_u32 v42, v42, v45, s10
	v_add3_u32 v41, v43, v41, s10
	v_pk_mul_f32 v[36:37], v[60:61], v[36:37] op_sel_hi:[0,1]
	v_perm_b32 v45, v41, v42, s11
	v_bfe_u32 v41, v37, 16, 1
	v_bfe_u32 v42, v36, 16, 1
	v_pk_mul_f32 v[34:35], v[60:61], v[34:35] op_sel_hi:[0,1]
	v_add3_u32 v36, v36, v42, s10
	v_add3_u32 v37, v37, v41, s10
	v_perm_b32 v36, v37, v36, s11
	v_bfe_u32 v37, v35, 16, 1
	v_bfe_u32 v41, v34, 16, 1
	v_add3_u32 v34, v34, v41, s10
	v_add3_u32 v35, v35, v37, s10
	v_perm_b32 v37, v35, v34, s11
	v_cmp_gt_u32_e32 vcc, 16, v0
	ds_write2st64_b64 v50, v[52:53], v[48:49] offset1:1
	ds_write2st64_b64 v50, v[44:45], v[36:37] offset0:2 offset1:3
	s_and_saveexec_b64 s[2:3], vcc
	s_cbranch_execz .LBB263_17
; %bb.16:
	v_mov_b32_e32 v41, 0
	v_mov_b32_e32 v34, s9
	s_mul_i32 s7, s7, s9
	v_mad_u64_u32 v[34:35], s[16:17], s6, v34, v[40:41]
	v_mov_b32_e32 v40, s28
	s_load_dwordx4 s[12:15], s[4:5], 0x58
	v_add_u32_e32 v37, s7, v35
	v_mad_u64_u32 v[34:35], s[16:17], v34, s8, v[40:41]
	v_mov_b32_e32 v36, v35
	v_mad_u64_u32 v[36:37], s[16:17], v37, s8, v[36:37]
	v_mov_b32_e32 v35, v36
	v_lshlrev_b64 v[34:35], 2, v[34:35]
	s_waitcnt lgkmcnt(0)
	v_mov_b32_e32 v37, s15
	v_add_co_u32_e32 v36, vcc, s14, v34
	v_addc_co_u32_e32 v37, vcc, v37, v35, vcc
	global_store_dword v[36:37], v57, off
	v_mov_b32_e32 v36, s13
	v_add_co_u32_e32 v34, vcc, s12, v34
	v_addc_co_u32_e32 v35, vcc, v36, v35, vcc
	global_store_dword v[34:35], v58, off
.LBB263_17:
	s_or_b64 exec, exec, s[2:3]
	s_waitcnt lgkmcnt(0)
	s_barrier
	ds_read_b128 v[34:37], v56
	ds_read_b128 v[40:43], v56 offset:16
	s_waitcnt vmcnt(7) lgkmcnt(1)
	v_mfma_f32_16x16x16bf16_1k v[44:47], v[14:15], v[34:35], 0
	v_cmp_gt_u32_e32 vcc, 64, v0
	s_mov_b32 s3, 0
	s_and_b64 s[0:1], vcc, s[0:1]
	v_mfma_f32_16x16x16bf16_1k v[14:17], v[16:17], v[36:37], v[44:47]
	s_waitcnt vmcnt(6) lgkmcnt(0)
	v_mfma_f32_16x16x16bf16_1k v[14:17], v[10:11], v[40:41], v[14:17]
	v_mfma_f32_16x16x16bf16_1k v[10:13], v[12:13], v[42:43], v[14:17]
	s_nop 7
	s_nop 1
	ds_read_b128 v[14:17], v56 offset:2048
	ds_read_b128 v[34:37], v56 offset:2064
	s_waitcnt vmcnt(5) lgkmcnt(1)
	v_mfma_f32_16x16x16bf16_1k v[10:13], v[6:7], v[14:15], v[10:13]
	v_mfma_f32_16x16x16bf16_1k v[6:9], v[8:9], v[16:17], v[10:13]
	s_waitcnt vmcnt(4) lgkmcnt(0)
	v_mfma_f32_16x16x16bf16_1k v[6:9], v[2:3], v[34:35], v[6:9]
	v_mfma_f32_16x16x16bf16_1k v[2:5], v[4:5], v[36:37], v[6:9]
	s_nop 7
	s_nop 1
	ds_read_b128 v[6:9], v56 offset:4096
	ds_read_b128 v[10:13], v56 offset:4112
	s_waitcnt vmcnt(3) lgkmcnt(1)
	v_mfma_f32_16x16x16bf16_1k v[2:5], v[30:31], v[6:7], v[2:5]
	v_mfma_f32_16x16x16bf16_1k v[2:5], v[32:33], v[8:9], v[2:5]
	s_waitcnt vmcnt(2) lgkmcnt(0)
	v_mfma_f32_16x16x16bf16_1k v[2:5], v[22:23], v[10:11], v[2:5]
	v_mfma_f32_16x16x16bf16_1k v[2:5], v[24:25], v[12:13], v[2:5]
	ds_read_b128 v[6:9], v56 offset:6144
	ds_read_b128 v[10:13], v56 offset:6160
	s_waitcnt lgkmcnt(0)
	s_barrier
	s_waitcnt vmcnt(1)
	v_mfma_f32_16x16x16bf16_1k v[2:5], v[26:27], v[6:7], v[2:5]
	v_mfma_f32_16x16x16bf16_1k v[2:5], v[28:29], v[8:9], v[2:5]
	s_waitcnt vmcnt(0)
	v_mfma_f32_16x16x16bf16_1k v[2:5], v[18:19], v[10:11], v[2:5]
	v_mfma_f32_16x16x16bf16_1k v[2:5], v[20:21], v[12:13], v[2:5]
	s_nop 7
	s_nop 2
	v_bfe_u32 v6, v3, 16, 1
	v_bfe_u32 v7, v2, 16, 1
	;; [unrolled: 1-line block ×4, first 2 shown]
	v_add3_u32 v2, v2, v7, s10
	v_add3_u32 v3, v3, v6, s10
	;; [unrolled: 1-line block ×4, first 2 shown]
	v_perm_b32 v2, v3, v2, s11
	v_perm_b32 v3, v5, v4, s11
	ds_write_b64 v50, v[2:3]
	s_waitcnt lgkmcnt(0)
	s_barrier
	s_and_saveexec_b64 s[10:11], s[0:1]
	s_cbranch_execz .LBB263_19
; %bb.18:
	s_load_dwordx2 s[0:1], s[4:5], 0x68
	s_lshl_b32 s7, s8, 6
	s_mul_i32 s2, s9, s6
	s_mul_hi_u32 s5, s2, s7
	s_mul_i32 s4, s2, s7
	s_lshl_b64 s[4:5], s[4:5], 1
	s_waitcnt lgkmcnt(0)
	s_add_u32 s4, s0, s4
	s_addc_u32 s5, s1, s5
	s_lshl_b32 s2, s28, 6
	v_lshlrev_b32_e32 v2, 10, v0
	v_lshlrev_b32_e32 v0, 4, v0
	s_lshl_b64 s[0:1], s[2:3], 1
	v_and_b32_e32 v2, 0x1800, v2
	v_lshlrev_b32_e32 v3, 5, v1
	v_and_b32_e32 v0, 16, v0
	s_add_u32 s0, s4, s0
	v_or3_b32 v0, v2, v3, v0
	s_addc_u32 s1, s5, s1
	ds_read_b128 v[2:5], v0
	ds_read_b128 v[6:9], v0 offset:128
	ds_read_b128 v[10:13], v0 offset:256
	;; [unrolled: 1-line block ×3, first 2 shown]
	v_mov_b32_e32 v0, s1
	v_add_co_u32_e32 v18, vcc, s0, v38
	v_or_b32_e32 v20, s29, v1
	v_addc_co_u32_e32 v19, vcc, v0, v39, vcc
	v_mad_u64_u32 v[0:1], s[0:1], v20, s7, 0
	v_lshlrev_b64 v[0:1], 1, v[0:1]
	v_add_co_u32_e32 v0, vcc, v18, v0
	v_addc_co_u32_e32 v1, vcc, v19, v1, vcc
	s_waitcnt lgkmcnt(3)
	global_store_dwordx4 v[0:1], v[2:5], off
	v_or_b32_e32 v0, 4, v20
	v_mad_u64_u32 v[0:1], s[0:1], v0, s7, 0
	v_lshlrev_b64 v[0:1], 1, v[0:1]
	v_add_co_u32_e32 v0, vcc, v18, v0
	v_addc_co_u32_e32 v1, vcc, v19, v1, vcc
	s_waitcnt lgkmcnt(2)
	global_store_dwordx4 v[0:1], v[6:9], off
	v_or_b32_e32 v0, 8, v20
	;; [unrolled: 7-line block ×3, first 2 shown]
	v_mad_u64_u32 v[0:1], s[0:1], v0, s7, 0
	v_lshlrev_b64 v[0:1], 1, v[0:1]
	v_add_co_u32_e32 v0, vcc, v18, v0
	v_addc_co_u32_e32 v1, vcc, v19, v1, vcc
	s_waitcnt lgkmcnt(0)
	global_store_dwordx4 v[0:1], v[14:17], off
.LBB263_19:
	s_endpgm
	.section	.rodata,"a",@progbits
	.p2align	6, 0x0
	.amdhsa_kernel _Z39paged_attention_ll4mi_QKV_mfma16_kernelI14__hip_bfloat16S0_LN4vllm18Fp8KVCacheDataTypeE0ES0_Li32ELi64ELi256ELb1ELi16EL8MFMAType0EEvPKT_PKT0_S9_ifPKiSB_SB_iPKfiiiPfSE_PS4_PT2_iSD_SD_
		.amdhsa_group_segment_fixed_size 8192
		.amdhsa_private_segment_fixed_size 0
		.amdhsa_kernarg_size 400
		.amdhsa_user_sgpr_count 6
		.amdhsa_user_sgpr_private_segment_buffer 1
		.amdhsa_user_sgpr_dispatch_ptr 0
		.amdhsa_user_sgpr_queue_ptr 0
		.amdhsa_user_sgpr_kernarg_segment_ptr 1
		.amdhsa_user_sgpr_dispatch_id 0
		.amdhsa_user_sgpr_flat_scratch_init 0
		.amdhsa_user_sgpr_kernarg_preload_length 0
		.amdhsa_user_sgpr_kernarg_preload_offset 0
		.amdhsa_user_sgpr_private_segment_size 0
		.amdhsa_uses_dynamic_stack 0
		.amdhsa_system_sgpr_private_segment_wavefront_offset 0
		.amdhsa_system_sgpr_workgroup_id_x 1
		.amdhsa_system_sgpr_workgroup_id_y 1
		.amdhsa_system_sgpr_workgroup_id_z 1
		.amdhsa_system_sgpr_workgroup_info 0
		.amdhsa_system_vgpr_workitem_id 0
		.amdhsa_next_free_vgpr 69
		.amdhsa_next_free_sgpr 48
		.amdhsa_accum_offset 72
		.amdhsa_reserve_vcc 1
		.amdhsa_reserve_flat_scratch 0
		.amdhsa_float_round_mode_32 0
		.amdhsa_float_round_mode_16_64 0
		.amdhsa_float_denorm_mode_32 3
		.amdhsa_float_denorm_mode_16_64 3
		.amdhsa_dx10_clamp 1
		.amdhsa_ieee_mode 1
		.amdhsa_fp16_overflow 0
		.amdhsa_tg_split 0
		.amdhsa_exception_fp_ieee_invalid_op 0
		.amdhsa_exception_fp_denorm_src 0
		.amdhsa_exception_fp_ieee_div_zero 0
		.amdhsa_exception_fp_ieee_overflow 0
		.amdhsa_exception_fp_ieee_underflow 0
		.amdhsa_exception_fp_ieee_inexact 0
		.amdhsa_exception_int_div_zero 0
	.end_amdhsa_kernel
	.section	.text._Z39paged_attention_ll4mi_QKV_mfma16_kernelI14__hip_bfloat16S0_LN4vllm18Fp8KVCacheDataTypeE0ES0_Li32ELi64ELi256ELb1ELi16EL8MFMAType0EEvPKT_PKT0_S9_ifPKiSB_SB_iPKfiiiPfSE_PS4_PT2_iSD_SD_,"axG",@progbits,_Z39paged_attention_ll4mi_QKV_mfma16_kernelI14__hip_bfloat16S0_LN4vllm18Fp8KVCacheDataTypeE0ES0_Li32ELi64ELi256ELb1ELi16EL8MFMAType0EEvPKT_PKT0_S9_ifPKiSB_SB_iPKfiiiPfSE_PS4_PT2_iSD_SD_,comdat
.Lfunc_end263:
	.size	_Z39paged_attention_ll4mi_QKV_mfma16_kernelI14__hip_bfloat16S0_LN4vllm18Fp8KVCacheDataTypeE0ES0_Li32ELi64ELi256ELb1ELi16EL8MFMAType0EEvPKT_PKT0_S9_ifPKiSB_SB_iPKfiiiPfSE_PS4_PT2_iSD_SD_, .Lfunc_end263-_Z39paged_attention_ll4mi_QKV_mfma16_kernelI14__hip_bfloat16S0_LN4vllm18Fp8KVCacheDataTypeE0ES0_Li32ELi64ELi256ELb1ELi16EL8MFMAType0EEvPKT_PKT0_S9_ifPKiSB_SB_iPKfiiiPfSE_PS4_PT2_iSD_SD_
                                        ; -- End function
	.section	.AMDGPU.csdata,"",@progbits
; Kernel info:
; codeLenInByte = 4656
; NumSgprs: 52
; NumVgprs: 69
; NumAgprs: 0
; TotalNumVgprs: 69
; ScratchSize: 0
; MemoryBound: 0
; FloatMode: 240
; IeeeMode: 1
; LDSByteSize: 8192 bytes/workgroup (compile time only)
; SGPRBlocks: 6
; VGPRBlocks: 8
; NumSGPRsForWavesPerEU: 52
; NumVGPRsForWavesPerEU: 69
; AccumOffset: 72
; Occupancy: 7
; WaveLimiterHint : 1
; COMPUTE_PGM_RSRC2:SCRATCH_EN: 0
; COMPUTE_PGM_RSRC2:USER_SGPR: 6
; COMPUTE_PGM_RSRC2:TRAP_HANDLER: 0
; COMPUTE_PGM_RSRC2:TGID_X_EN: 1
; COMPUTE_PGM_RSRC2:TGID_Y_EN: 1
; COMPUTE_PGM_RSRC2:TGID_Z_EN: 1
; COMPUTE_PGM_RSRC2:TIDIG_COMP_CNT: 0
; COMPUTE_PGM_RSRC3_GFX90A:ACCUM_OFFSET: 17
; COMPUTE_PGM_RSRC3_GFX90A:TG_SPLIT: 0
	.section	.text._Z39paged_attention_ll4mi_QKV_mfma16_kernelI14__hip_bfloat16S0_LN4vllm18Fp8KVCacheDataTypeE0ES0_Li32ELi64ELi256ELb1ELi1EL8MFMAType0EEvPKT_PKT0_S9_ifPKiSB_SB_iPKfiiiPfSE_PS4_PT2_iSD_SD_,"axG",@progbits,_Z39paged_attention_ll4mi_QKV_mfma16_kernelI14__hip_bfloat16S0_LN4vllm18Fp8KVCacheDataTypeE0ES0_Li32ELi64ELi256ELb1ELi1EL8MFMAType0EEvPKT_PKT0_S9_ifPKiSB_SB_iPKfiiiPfSE_PS4_PT2_iSD_SD_,comdat
	.protected	_Z39paged_attention_ll4mi_QKV_mfma16_kernelI14__hip_bfloat16S0_LN4vllm18Fp8KVCacheDataTypeE0ES0_Li32ELi64ELi256ELb1ELi1EL8MFMAType0EEvPKT_PKT0_S9_ifPKiSB_SB_iPKfiiiPfSE_PS4_PT2_iSD_SD_ ; -- Begin function _Z39paged_attention_ll4mi_QKV_mfma16_kernelI14__hip_bfloat16S0_LN4vllm18Fp8KVCacheDataTypeE0ES0_Li32ELi64ELi256ELb1ELi1EL8MFMAType0EEvPKT_PKT0_S9_ifPKiSB_SB_iPKfiiiPfSE_PS4_PT2_iSD_SD_
	.globl	_Z39paged_attention_ll4mi_QKV_mfma16_kernelI14__hip_bfloat16S0_LN4vllm18Fp8KVCacheDataTypeE0ES0_Li32ELi64ELi256ELb1ELi1EL8MFMAType0EEvPKT_PKT0_S9_ifPKiSB_SB_iPKfiiiPfSE_PS4_PT2_iSD_SD_
	.p2align	8
	.type	_Z39paged_attention_ll4mi_QKV_mfma16_kernelI14__hip_bfloat16S0_LN4vllm18Fp8KVCacheDataTypeE0ES0_Li32ELi64ELi256ELb1ELi1EL8MFMAType0EEvPKT_PKT0_S9_ifPKiSB_SB_iPKfiiiPfSE_PS4_PT2_iSD_SD_,@function
_Z39paged_attention_ll4mi_QKV_mfma16_kernelI14__hip_bfloat16S0_LN4vllm18Fp8KVCacheDataTypeE0ES0_Li32ELi64ELi256ELb1ELi1EL8MFMAType0EEvPKT_PKT0_S9_ifPKiSB_SB_iPKfiiiPfSE_PS4_PT2_iSD_SD_: ; @_Z39paged_attention_ll4mi_QKV_mfma16_kernelI14__hip_bfloat16S0_LN4vllm18Fp8KVCacheDataTypeE0ES0_Li32ELi64ELi256ELb1ELi1EL8MFMAType0EEvPKT_PKT0_S9_ifPKiSB_SB_iPKfiiiPfSE_PS4_PT2_iSD_SD_
; %bb.0:
	s_load_dwordx2 s[0:1], s[4:5], 0x30
	s_mov_b32 s30, s7
	s_mov_b64 s[10:11], 0
	s_waitcnt lgkmcnt(0)
	s_cmp_lg_u64 s[0:1], 0
	s_cselect_b64 s[2:3], -1, 0
	s_and_b64 vcc, exec, s[2:3]
	s_cbranch_vccz .LBB264_7
; %bb.1:
	s_add_i32 s12, s6, 1
	s_mov_b32 s13, 0
	s_lshl_b64 s[14:15], s[12:13], 2
	s_add_u32 s14, s0, s14
	s_mov_b32 s7, s13
	s_addc_u32 s15, s1, s15
	s_lshl_b64 s[12:13], s[6:7], 2
	s_add_u32 s12, s0, s12
	s_addc_u32 s13, s1, s13
	s_load_dword s9, s[14:15], 0x0
	s_load_dword s16, s[12:13], 0x0
	s_waitcnt lgkmcnt(0)
	s_sub_i32 s9, s9, s16
	s_cmp_eq_u32 s9, 1
	s_cselect_b64 s[12:13], -1, 0
	s_andn2_b64 vcc, exec, s[10:11]
	s_cbranch_vccnz .LBB264_3
.LBB264_2:
	s_mov_b32 s7, 0
	s_mov_b64 s[12:13], -1
.LBB264_3:
	s_andn2_b64 vcc, exec, s[12:13]
	s_cbranch_vccnz .LBB264_21
; %bb.4:
	s_load_dwordx2 s[12:13], s[4:5], 0x28
	s_lshl_b64 s[10:11], s[6:7], 2
	s_waitcnt lgkmcnt(0)
	s_add_u32 s12, s12, s10
	s_addc_u32 s13, s13, s11
	s_load_dword s31, s[12:13], 0x0
	s_lshl_b32 s14, s30, 8
	s_waitcnt lgkmcnt(0)
	s_cmp_ge_i32 s14, s31
	s_cbranch_scc1 .LBB264_21
; %bb.5:
	s_add_i32 s15, s31, 31
	s_load_dwordx2 s[12:13], s[4:5], 0x20
	s_load_dword s9, s[4:5], 0x38
	s_ashr_i32 s16, s15, 31
	v_and_b32_e32 v1, 0xcf, v0
	s_lshr_b32 s16, s16, 27
	v_add_u32_e32 v1, s14, v1
	s_add_i32 s15, s15, s16
	v_ashrrev_i32_e32 v2, 31, v1
	s_ashr_i32 s17, s15, 5
	v_lshrrev_b32_e32 v6, 27, v2
	s_add_i32 s17, s17, -1
	v_add_u32_e32 v2, v1, v6
	s_waitcnt lgkmcnt(0)
	s_mul_i32 s18, s6, s9
	s_mov_b32 s19, 0
	v_ashrrev_i32_e32 v2, 5, v2
	v_mov_b32_e32 v7, s17
	v_cmp_gt_i32_e32 vcc, s31, v1
	s_lshl_b64 s[18:19], s[18:19], 2
	v_cndmask_b32_e32 v2, v7, v2, vcc
	s_add_u32 s15, s12, s18
	v_ashrrev_i32_e32 v3, 31, v2
	s_addc_u32 s16, s13, s19
	v_lshlrev_b64 v[2:3], 2, v[2:3]
	v_mov_b32_e32 v4, s16
	v_add_co_u32_e32 v2, vcc, s15, v2
	v_addc_co_u32_e32 v3, vcc, v4, v3, vcc
	v_or_b32_e32 v4, 16, v1
	v_add_u32_e32 v5, v4, v6
	v_ashrrev_i32_e32 v5, 5, v5
	v_cmp_gt_i32_e32 vcc, s31, v4
	v_cndmask_b32_e32 v4, v7, v5, vcc
	v_ashrrev_i32_e32 v5, 31, v4
	v_lshlrev_b64 v[4:5], 2, v[4:5]
	v_mov_b32_e32 v9, s16
	v_add_co_u32_e32 v8, vcc, s15, v4
	v_or_b32_e32 v4, 32, v1
	v_addc_co_u32_e32 v9, vcc, v9, v5, vcc
	v_add_u32_e32 v5, v4, v6
	v_ashrrev_i32_e32 v5, 5, v5
	v_cmp_gt_i32_e32 vcc, s31, v4
	v_cndmask_b32_e32 v4, v7, v5, vcc
	v_ashrrev_i32_e32 v5, 31, v4
	v_lshlrev_b64 v[4:5], 2, v[4:5]
	v_mov_b32_e32 v11, s16
	v_add_co_u32_e32 v10, vcc, s15, v4
	v_or_b32_e32 v1, 48, v1
	v_addc_co_u32_e32 v11, vcc, v11, v5, vcc
	v_add_u32_e32 v4, v1, v6
	v_ashrrev_i32_e32 v4, 5, v4
	v_cmp_gt_i32_e32 vcc, s31, v1
	v_cndmask_b32_e32 v4, v7, v4, vcc
	v_ashrrev_i32_e32 v5, 31, v4
	v_lshlrev_b64 v[4:5], 2, v[4:5]
	v_mov_b32_e32 v1, s16
	v_add_co_u32_e32 v12, vcc, s15, v4
	v_addc_co_u32_e32 v13, vcc, v1, v5, vcc
	global_load_dword v7, v[2:3], off
	global_load_dword v6, v[8:9], off
	;; [unrolled: 1-line block ×4, first 2 shown]
	s_andn2_b64 vcc, exec, s[2:3]
	s_cbranch_vccnz .LBB264_8
; %bb.6:
	s_add_u32 s0, s0, s10
	s_addc_u32 s1, s1, s11
	s_load_dword s9, s[0:1], 0x0
	s_branch .LBB264_9
.LBB264_7:
	s_mov_b64 s[12:13], 0
	s_branch .LBB264_2
.LBB264_8:
	s_mov_b32 s9, s6
.LBB264_9:
	s_load_dwordx2 s[12:13], s[4:5], 0x8
	s_load_dwordx4 s[44:47], s[4:5], 0x48
	v_lshrrev_b32_e32 v52, 6, v0
	v_bfe_u32 v1, v0, 4, 2
	v_lshl_or_b32 v3, v52, 2, v1
	v_and_b32_e32 v53, 15, v0
	v_cmp_ne_u32_e32 vcc, 0, v3
	v_cmp_lt_u32_e64 s[2:3], 7, v53
	v_lshlrev_b32_e32 v2, 3, v53
	v_cmp_gt_u32_e64 s[0:1], 8, v53
	s_or_b64 s[2:3], s[2:3], vcc
	s_and_saveexec_b64 s[10:11], s[2:3]
	s_xor_b64 s[2:3], exec, s[10:11]
; %bb.10:
	v_mov_b32_e32 v3, 0
; %bb.11:
	s_or_saveexec_b64 s[10:11], s[2:3]
	s_load_dwordx2 s[2:3], s[4:5], 0x10
	s_xor_b64 exec, exec, s[10:11]
	s_cbranch_execz .LBB264_13
; %bb.12:
	s_load_dwordx2 s[18:19], s[4:5], 0x0
	s_waitcnt lgkmcnt(0)
	s_ashr_i32 s20, s44, 31
	s_mul_hi_u32 s21, s9, s44
	s_mul_i32 s20, s9, s20
	s_add_i32 s21, s21, s20
	s_mul_i32 s20, s9, s44
	s_lshl_b64 s[20:21], s[20:21], 1
	s_add_u32 s9, s18, s20
	s_addc_u32 s20, s19, s21
	s_lshl_b32 s18, s8, 6
	s_ashr_i32 s19, s18, 31
	s_lshl_b64 s[18:19], s[18:19], 1
	s_add_u32 s18, s9, s18
	s_addc_u32 s19, s20, s19
	v_lshlrev_b32_e32 v3, 1, v2
	global_load_dwordx4 v[8:11], v3, s[18:19]
	v_and_b32_e32 v12, 3, v0
	v_lshlrev_b32_e32 v13, 9, v53
	v_lshlrev_b32_e32 v12, 9, v12
	s_movk_i32 s9, 0x1800
	v_mov_b32_e32 v3, 0
	v_and_or_b32 v12, v13, s9, v12
	s_waitcnt vmcnt(0)
	ds_write_b128 v12, v[8:11]
.LBB264_13:
	s_or_b64 exec, exec, s[10:11]
	s_waitcnt lgkmcnt(0)
	s_mul_i32 s10, s8, s46
	s_mov_b32 s11, 0
	s_lshl_b64 s[10:11], s[10:11], 1
	s_add_u32 s9, s12, s10
	s_addc_u32 s18, s13, s11
	s_waitcnt vmcnt(3)
	v_mad_i64_i32 v[8:9], s[12:13], v7, s45, 0
	v_lshlrev_b64 v[8:9], 1, v[8:9]
	v_mov_b32_e32 v7, s18
	v_add_co_u32_e32 v8, vcc, s9, v8
	v_addc_co_u32_e32 v7, vcc, v7, v9, vcc
	v_lshlrev_b64 v[42:43], 1, v[2:3]
	v_add_co_u32_e32 v2, vcc, v8, v42
	v_lshlrev_b32_e32 v24, 9, v1
	v_addc_co_u32_e32 v3, vcc, v7, v43, vcc
	v_add_co_u32_e32 v2, vcc, v2, v24
	v_addc_co_u32_e32 v3, vcc, 0, v3, vcc
	s_barrier
	global_load_dwordx4 v[38:41], v[2:3], off
	global_load_dwordx4 v[34:37], v[2:3], off offset:2048
	s_waitcnt vmcnt(4)
	v_mad_i64_i32 v[2:3], s[12:13], v6, s45, 0
	v_lshlrev_b64 v[2:3], 1, v[2:3]
	v_mov_b32_e32 v6, s18
	v_add_co_u32_e32 v2, vcc, s9, v2
	v_addc_co_u32_e32 v3, vcc, v6, v3, vcc
	v_mov_b32_e32 v6, 0x100
	v_lshl_or_b32 v18, v53, 4, v6
	v_add_co_u32_e32 v2, vcc, v2, v18
	v_addc_co_u32_e32 v3, vcc, 0, v3, vcc
	v_add_co_u32_e32 v2, vcc, v2, v24
	v_addc_co_u32_e32 v3, vcc, 0, v3, vcc
	global_load_dwordx4 v[30:33], v[2:3], off
	global_load_dwordx4 v[14:17], v[2:3], off offset:2048
	s_waitcnt vmcnt(5)
	v_mad_i64_i32 v[2:3], s[12:13], v5, s45, 0
	v_lshlrev_b64 v[2:3], 1, v[2:3]
	v_mov_b32_e32 v5, s18
	v_add_co_u32_e32 v2, vcc, s9, v2
	v_addc_co_u32_e32 v3, vcc, v5, v3, vcc
	v_add_co_u32_e32 v2, vcc, v2, v42
	v_addc_co_u32_e32 v3, vcc, v3, v43, vcc
	v_add_co_u32_e32 v2, vcc, v2, v24
	v_addc_co_u32_e32 v3, vcc, 0, v3, vcc
	global_load_dwordx4 v[10:13], v[2:3], off
	global_load_dwordx4 v[6:9], v[2:3], off offset:2048
	s_waitcnt vmcnt(6)
	v_mad_i64_i32 v[2:3], s[12:13], v4, s45, 0
	v_lshlrev_b64 v[2:3], 1, v[2:3]
	v_mov_b32_e32 v4, s18
	v_add_co_u32_e32 v2, vcc, s9, v2
	v_addc_co_u32_e32 v3, vcc, v4, v3, vcc
	v_add_co_u32_e32 v2, vcc, v2, v18
	v_addc_co_u32_e32 v3, vcc, 0, v3, vcc
	;; [unrolled: 2-line block ×3, first 2 shown]
	global_load_dwordx4 v[2:5], v[22:23], off
	global_load_dwordx4 v[18:21], v[22:23], off offset:2048
	ds_read_b128 v[26:29], v24
	ds_read_b128 v[22:25], v24 offset:2048
	v_and_b32_e32 v54, 63, v0
	v_cmp_eq_u32_e32 vcc, 0, v53
	v_mov_b32_e32 v50, 0
	s_and_saveexec_b64 s[12:13], vcc
	s_cbranch_execz .LBB264_15
; %bb.14:
	s_load_dwordx2 s[18:19], s[4:5], 0x40
	s_ashr_i32 s9, s8, 31
	s_lshl_b64 s[20:21], s[8:9], 2
	s_waitcnt lgkmcnt(0)
	s_add_u32 s18, s18, s20
	s_addc_u32 s19, s19, s21
	s_load_dword s9, s[18:19], 0x0
	s_waitcnt lgkmcnt(0)
	v_mov_b32_e32 v50, s9
.LBB264_15:
	s_or_b64 exec, exec, s[12:13]
	s_waitcnt vmcnt(7) lgkmcnt(1)
	v_mfma_f32_16x16x16bf16_1k v[44:47], v[38:39], v[26:27], 0
	s_ashr_i32 s9, s14, 31
	s_lshr_b32 s9, s9, 27
	v_mov_b32_e32 v49, s16
	s_add_u32 s2, s2, s10
	s_addc_u32 s3, s3, s11
	s_load_dword s12, s[4:5], 0x1c
	v_mfma_f32_16x16x16bf16_1k v[38:41], v[40:41], v[28:29], v[44:47]
	s_waitcnt vmcnt(6) lgkmcnt(0)
	v_mfma_f32_16x16x16bf16_1k v[38:41], v[34:35], v[22:23], v[38:41]
	s_nop 4
	v_and_or_b32 v46, v0, 48, s14
	v_add_u32_e32 v34, s9, v46
	v_ashrrev_i32_e32 v34, 5, v34
	v_mov_b32_e32 v47, s17
	v_cmp_gt_i32_e32 vcc, s31, v46
	v_cndmask_b32_e32 v34, v47, v34, vcc
	v_ashrrev_i32_e32 v35, 31, v34
	v_lshlrev_b64 v[44:45], 2, v[34:35]
	v_mfma_f32_16x16x16bf16_1k v[34:37], v[36:37], v[24:25], v[38:41]
	s_nop 6
	v_mov_b32_e32 v39, s16
	v_add_co_u32_e32 v38, vcc, s15, v44
	v_addc_co_u32_e32 v39, vcc, v39, v45, vcc
	global_load_dword v48, v[38:39], off
	s_waitcnt vmcnt(6)
	v_mfma_f32_16x16x16bf16_1k v[38:41], v[30:31], v[26:27], 0
	v_or_b32_e32 v44, 64, v46
	v_add_u32_e32 v30, s9, v44
	v_ashrrev_i32_e32 v30, 5, v30
	v_cmp_gt_i32_e32 vcc, s31, v44
	v_cndmask_b32_e32 v30, v47, v30, vcc
	v_ashrrev_i32_e32 v31, 31, v30
	v_lshlrev_b64 v[44:45], 2, v[30:31]
	v_mfma_f32_16x16x16bf16_1k v[30:33], v[32:33], v[28:29], v[38:41]
	s_nop 6
	v_add_co_u32_e32 v38, vcc, s15, v44
	v_addc_co_u32_e32 v39, vcc, v49, v45, vcc
	global_load_dword v40, v[38:39], off
	v_or_b32_e32 v38, 0x80, v46
	v_add_u32_e32 v39, s9, v38
	v_ashrrev_i32_e32 v39, 5, v39
	v_cmp_gt_i32_e32 vcc, s31, v38
	v_cndmask_b32_e32 v38, v47, v39, vcc
	v_ashrrev_i32_e32 v39, 31, v38
	s_waitcnt vmcnt(6)
	v_mfma_f32_16x16x16bf16_1k v[30:33], v[14:15], v[22:23], v[30:33]
	v_lshlrev_b64 v[14:15], 2, v[38:39]
	v_mov_b32_e32 v38, s16
	v_add_co_u32_e32 v14, vcc, s15, v14
	v_addc_co_u32_e32 v15, vcc, v38, v15, vcc
	global_load_dword v41, v[14:15], off
	v_mfma_f32_16x16x16bf16_1k v[30:33], v[16:17], v[24:25], v[30:33]
	v_or_b32_e32 v38, 0xc0, v46
	v_cmp_gt_i32_e32 vcc, s31, v38
	v_mov_b32_e32 v44, s16
	s_waitcnt vmcnt(6)
	v_mfma_f32_16x16x16bf16_1k v[14:17], v[10:11], v[26:27], 0
	v_add_u32_e32 v10, s9, v38
	v_ashrrev_i32_e32 v10, 5, v10
	v_cndmask_b32_e32 v10, v47, v10, vcc
	v_ashrrev_i32_e32 v11, 31, v10
	v_lshlrev_b64 v[38:39], 2, v[10:11]
	s_nop 0
	v_pk_mul_f32 v[46:47], s[12:13], v[30:31] op_sel_hi:[0,1]
	s_mov_b32 s9, 0xff7fffff
	v_mfma_f32_16x16x16bf16_1k v[10:13], v[12:13], v[28:29], v[14:17]
	s_nop 6
	v_add_co_u32_e32 v14, vcc, s15, v38
	s_waitcnt vmcnt(5)
	v_mfma_f32_16x16x16bf16_1k v[10:13], v[6:7], v[22:23], v[10:13]
	v_addc_co_u32_e32 v15, vcc, v44, v39, vcc
	global_load_dword v51, v[14:15], off
	v_and_b32_e32 v14, 16, v0
	v_lshlrev_b32_e32 v14, 1, v14
	v_mov_b32_e32 v6, s3
	v_add_co_u32_e32 v7, vcc, s2, v14
	v_lshlrev_b32_e32 v14, 6, v53
	v_addc_co_u32_e32 v6, vcc, 0, v6, vcc
	v_lshl_or_b32 v14, v52, 10, v14
	v_add_co_u32_e32 v55, vcc, v7, v14
	v_addc_co_u32_e32 v60, vcc, 0, v6, vcc
	v_mfma_f32_16x16x16bf16_1k v[56:59], v[8:9], v[24:25], v[10:13]
	s_waitcnt vmcnt(3)
	v_mad_i64_i32 v[6:7], s[2:3], v48, s45, 0
	v_pk_mul_f32 v[48:49], s[12:13], v[36:37] op_sel_hi:[0,1]
	v_pk_mul_f32 v[44:45], s[12:13], v[32:33] op_sel_hi:[0,1]
	s_waitcnt vmcnt(1)
	v_mad_i64_i32 v[38:39], s[2:3], v41, s45, 0
	s_nop 0
	v_lshlrev_b64 v[10:11], 1, v[6:7]
	v_mfma_f32_16x16x16bf16_1k v[6:9], v[2:3], v[26:27], 0
	v_add_co_u32_e32 v2, vcc, v55, v10
	v_addc_co_u32_e32 v3, vcc, v60, v11, vcc
	global_load_dwordx4 v[14:17], v[2:3], off
	global_load_dwordx4 v[10:13], v[2:3], off offset:16
	v_mad_i64_i32 v[2:3], s[2:3], v40, s45, 0
	v_mfma_f32_16x16x16bf16_1k v[26:29], v[4:5], v[28:29], v[6:9]
	v_lshlrev_b64 v[2:3], 1, v[2:3]
	v_add_co_u32_e32 v2, vcc, v55, v2
	v_addc_co_u32_e32 v3, vcc, v60, v3, vcc
	v_lshlrev_b64 v[38:39], 1, v[38:39]
	v_pk_mul_f32 v[40:41], s[12:13], v[56:57] op_sel_hi:[0,1]
	v_mfma_f32_16x16x16bf16_1k v[26:29], v[18:19], v[22:23], v[26:29]
	v_pk_mul_f32 v[18:19], s[12:13], v[34:35] op_sel_hi:[0,1]
	v_add_co_u32_e32 v22, vcc, v55, v38
	v_addc_co_u32_e32 v23, vcc, v60, v39, vcc
	v_pk_mul_f32 v[38:39], s[12:13], v[58:59] op_sel_hi:[0,1]
	global_load_dwordx4 v[6:9], v[2:3], off
	s_nop 0
	global_load_dwordx4 v[2:5], v[2:3], off offset:16
	v_mfma_f32_16x16x16bf16_1k v[24:27], v[20:21], v[24:25], v[26:29]
	v_and_b32_e32 v20, 0xc0, v0
	v_add_u32_e32 v20, s14, v20
	v_lshl_or_b32 v20, v1, 2, v20
	v_or_b32_e32 v21, 1, v20
	v_cmp_gt_i32_e64 s[34:35], s31, v20
	v_cmp_gt_i32_e64 s[36:37], s31, v21
	s_nop 4
	v_pk_mul_f32 v[36:37], s[12:13], v[24:25] op_sel_hi:[0,1]
	v_subrev_u32_e32 v24, s31, v21
	v_pk_mul_f32 v[34:35], s[12:13], v[26:27] op_sel_hi:[0,1]
	v_add_u32_e32 v26, 1, v24
	v_add_u32_e32 v27, 2, v24
	v_cvt_f32_i32_e32 v25, v24
	v_cvt_f32_i32_e32 v26, v26
	;; [unrolled: 1-line block ×3, first 2 shown]
	v_add_u32_e32 v28, 3, v24
	v_fma_f32 v18, v50, v25, v18
	v_fmac_f32_e32 v19, v50, v26
	v_fma_f32 v48, v50, v27, v48
	v_add_u32_e32 v25, 16, v24
	v_add_u32_e32 v26, 17, v24
	;; [unrolled: 1-line block ×3, first 2 shown]
	v_cvt_f32_i32_e32 v28, v28
	v_cvt_f32_i32_e32 v25, v25
	;; [unrolled: 1-line block ×4, first 2 shown]
	v_fmac_f32_e32 v49, v50, v28
	v_add_u32_e32 v28, 19, v24
	v_fma_f32 v46, v50, v25, v46
	v_fmac_f32_e32 v47, v50, v26
	v_fma_f32 v44, v50, v27, v44
	v_add_u32_e32 v25, 32, v24
	v_add_u32_e32 v26, 33, v24
	;; [unrolled: 1-line block ×3, first 2 shown]
	v_cvt_f32_i32_e32 v28, v28
	v_cvt_f32_i32_e32 v25, v25
	;; [unrolled: 1-line block ×4, first 2 shown]
	v_fmac_f32_e32 v45, v50, v28
	v_add_u32_e32 v28, 35, v24
	v_fma_f32 v40, v50, v25, v40
	v_fmac_f32_e32 v41, v50, v26
	v_fma_f32 v38, v50, v27, v38
	v_add_u32_e32 v25, 48, v24
	v_add_u32_e32 v26, 49, v24
	;; [unrolled: 1-line block ×4, first 2 shown]
	v_cvt_f32_i32_e32 v24, v24
	v_cvt_f32_i32_e32 v25, v25
	;; [unrolled: 1-line block ×4, first 2 shown]
	v_fmac_f32_e32 v35, v50, v24
	v_mov_b32_e32 v24, 0xff7fffff
	v_fma_f32 v36, v50, v25, v36
	v_cndmask_b32_e64 v25, v24, v18, s[34:35]
	v_cndmask_b32_e64 v21, v24, v19, s[36:37]
	v_fmac_f32_e32 v37, v50, v26
	v_max3_f32 v21, v25, s9, v21
	v_or_b32_e32 v25, 2, v20
	v_or_b32_e32 v26, 3, v20
	v_cmp_gt_i32_e64 s[38:39], s31, v25
	v_cmp_gt_i32_e64 s[40:41], s31, v26
	v_cndmask_b32_e64 v25, v24, v48, s[38:39]
	v_cndmask_b32_e64 v26, v24, v49, s[40:41]
	v_max3_f32 v21, v21, v25, v26
	v_or_b32_e32 v25, 16, v20
	v_or_b32_e32 v26, 17, v20
	v_cmp_gt_i32_e64 s[26:27], s31, v25
	v_cmp_gt_i32_e64 s[28:29], s31, v26
	v_cndmask_b32_e64 v25, v24, v46, s[26:27]
	v_cndmask_b32_e64 v26, v24, v47, s[28:29]
	;; [unrolled: 7-line block ×4, first 2 shown]
	v_max3_f32 v21, v21, v25, v26
	v_or_b32_e32 v25, 34, v20
	v_or_b32_e32 v26, 35, v20
	v_fmac_f32_e32 v39, v50, v28
	v_cmp_gt_i32_e64 s[14:15], s31, v25
	v_cmp_gt_i32_e64 s[16:17], s31, v26
	v_cndmask_b32_e64 v25, v24, v38, s[14:15]
	v_cndmask_b32_e64 v26, v24, v39, s[16:17]
	v_cvt_f32_i32_e32 v27, v27
	v_max3_f32 v21, v21, v25, v26
	v_or_b32_e32 v25, 48, v20
	v_or_b32_e32 v26, 49, v20
	v_cmp_gt_i32_e64 s[10:11], s31, v25
	v_cmp_gt_i32_e64 s[12:13], s31, v26
	v_cndmask_b32_e64 v25, v24, v36, s[10:11]
	v_cndmask_b32_e64 v26, v24, v37, s[12:13]
	v_max3_f32 v21, v21, v25, v26
	v_or_b32_e32 v25, 50, v20
	v_or_b32_e32 v20, 51, v20
	v_fma_f32 v34, v50, v27, v34
	v_cmp_gt_i32_e32 vcc, s31, v25
	v_cmp_gt_i32_e64 s[2:3], s31, v20
	v_cndmask_b32_e32 v25, v24, v34, vcc
	v_cndmask_b32_e64 v20, v24, v35, s[2:3]
	v_max3_f32 v26, v21, v25, v20
	v_mbcnt_lo_u32_b32 v20, -1, 0
	v_mbcnt_hi_u32_b32 v27, -1, v20
	v_and_b32_e32 v20, 64, v27
	v_add_u32_e32 v28, 64, v20
	v_xor_b32_e32 v20, 32, v27
	v_cmp_lt_i32_e64 s[42:43], v20, v28
	v_cndmask_b32_e64 v20, v27, v20, s[42:43]
	v_lshlrev_b32_e32 v56, 2, v20
	ds_bpermute_b32 v29, v56, v26
	s_waitcnt vmcnt(4)
	v_mad_i64_i32 v[20:21], s[42:43], v51, s45, 0
	v_lshlrev_b64 v[20:21], 1, v[20:21]
	global_load_dwordx4 v[30:33], v[22:23], off
	s_nop 0
	global_load_dwordx4 v[22:25], v[22:23], off offset:16
	s_waitcnt lgkmcnt(0)
	v_max_f32_e32 v29, v29, v29
	v_max_f32_e32 v26, v26, v29
	v_xor_b32_e32 v29, 16, v27
	v_cmp_lt_i32_e64 s[42:43], v29, v28
	v_cndmask_b32_e64 v27, v27, v29, s[42:43]
	v_lshlrev_b32_e32 v58, 2, v27
	ds_bpermute_b32 v27, v58, v26
	v_add_co_u32_e64 v20, s[42:43], v55, v20
	v_addc_co_u32_e64 v21, s[42:43], v60, v21, s[42:43]
	s_waitcnt lgkmcnt(0)
	v_max_f32_e32 v27, v27, v27
	v_max_f32_e32 v55, v26, v27
	v_sub_f32_e32 v18, v18, v55
	v_mul_f32_e32 v18, 0x3fb8aa3b, v18
	v_exp_f32_e32 v50, v18
	v_sub_f32_e32 v18, v19, v55
	v_mul_f32_e32 v18, 0x3fb8aa3b, v18
	v_exp_f32_e32 v51, v18
	global_load_dwordx4 v[26:29], v[20:21], off
	s_nop 0
	global_load_dwordx4 v[18:21], v[20:21], off offset:16
	v_sub_f32_e32 v48, v48, v55
	v_mul_f32_e32 v48, 0x3fb8aa3b, v48
	v_sub_f32_e32 v49, v49, v55
	v_exp_f32_e32 v48, v48
	v_mul_f32_e32 v49, 0x3fb8aa3b, v49
	v_sub_f32_e32 v46, v46, v55
	v_exp_f32_e32 v49, v49
	v_mul_f32_e32 v46, 0x3fb8aa3b, v46
	v_sub_f32_e32 v47, v47, v55
	v_cndmask_b32_e64 v50, 0, v50, s[34:35]
	v_exp_f32_e32 v46, v46
	v_mul_f32_e32 v47, 0x3fb8aa3b, v47
	v_sub_f32_e32 v44, v44, v55
	v_add_f32_e32 v57, 0, v50
	v_cndmask_b32_e64 v51, 0, v51, s[36:37]
	v_exp_f32_e32 v47, v47
	v_mul_f32_e32 v44, 0x3fb8aa3b, v44
	v_sub_f32_e32 v45, v45, v55
	v_add_f32_e32 v57, v57, v51
	v_cndmask_b32_e64 v48, 0, v48, s[38:39]
	v_exp_f32_e32 v44, v44
	v_mul_f32_e32 v45, 0x3fb8aa3b, v45
	v_sub_f32_e32 v40, v40, v55
	v_add_f32_e32 v57, v57, v48
	v_cndmask_b32_e64 v49, 0, v49, s[40:41]
	v_exp_f32_e32 v45, v45
	v_mul_f32_e32 v40, 0x3fb8aa3b, v40
	v_sub_f32_e32 v41, v41, v55
	v_add_f32_e32 v57, v57, v49
	v_cndmask_b32_e64 v46, 0, v46, s[26:27]
	v_exp_f32_e32 v40, v40
	v_mul_f32_e32 v41, 0x3fb8aa3b, v41
	v_sub_f32_e32 v38, v38, v55
	v_add_f32_e32 v57, v57, v46
	v_cndmask_b32_e64 v47, 0, v47, s[28:29]
	v_exp_f32_e32 v41, v41
	v_mul_f32_e32 v38, 0x3fb8aa3b, v38
	v_sub_f32_e32 v39, v39, v55
	v_add_f32_e32 v57, v57, v47
	v_cndmask_b32_e64 v44, 0, v44, s[22:23]
	v_exp_f32_e32 v38, v38
	v_mul_f32_e32 v39, 0x3fb8aa3b, v39
	v_sub_f32_e32 v36, v36, v55
	v_add_f32_e32 v57, v57, v44
	v_cndmask_b32_e64 v45, 0, v45, s[24:25]
	v_exp_f32_e32 v39, v39
	v_mul_f32_e32 v36, 0x3fb8aa3b, v36
	v_sub_f32_e32 v37, v37, v55
	v_add_f32_e32 v57, v57, v45
	v_cndmask_b32_e64 v40, 0, v40, s[18:19]
	v_exp_f32_e32 v36, v36
	v_mul_f32_e32 v37, 0x3fb8aa3b, v37
	v_sub_f32_e32 v34, v34, v55
	v_add_f32_e32 v57, v57, v40
	v_cndmask_b32_e64 v41, 0, v41, s[20:21]
	v_exp_f32_e32 v37, v37
	v_mul_f32_e32 v34, 0x3fb8aa3b, v34
	v_sub_f32_e32 v35, v35, v55
	v_add_f32_e32 v57, v57, v41
	v_cndmask_b32_e64 v38, 0, v38, s[14:15]
	v_exp_f32_e32 v34, v34
	v_mul_f32_e32 v35, 0x3fb8aa3b, v35
	v_add_f32_e32 v57, v57, v38
	v_cndmask_b32_e64 v39, 0, v39, s[16:17]
	v_exp_f32_e32 v35, v35
	v_add_f32_e32 v57, v57, v39
	v_cndmask_b32_e64 v36, 0, v36, s[10:11]
	v_add_f32_e32 v57, v57, v36
	v_cndmask_b32_e64 v37, 0, v37, s[12:13]
	v_add_f32_e32 v57, v57, v37
	v_cndmask_b32_e32 v34, 0, v34, vcc
	v_add_f32_e32 v57, v57, v34
	v_cndmask_b32_e64 v35, 0, v35, s[2:3]
	v_add_f32_e32 v57, v57, v35
	ds_bpermute_b32 v56, v56, v57
	v_cmp_gt_u32_e64 s[2:3], 16, v54
	s_waitcnt lgkmcnt(0)
	s_barrier
	v_add_f32_e32 v57, v57, v56
	ds_bpermute_b32 v58, v58, v57
	v_lshlrev_b32_e32 v56, 2, v53
	s_and_saveexec_b64 s[10:11], s[2:3]
	s_cbranch_execz .LBB264_17
; %bb.16:
	s_waitcnt lgkmcnt(0)
	v_add_f32_e32 v54, v57, v58
	v_lshl_or_b32 v57, v52, 6, v56
	ds_write2st64_b32 v57, v55, v54 offset1:1
.LBB264_17:
	s_or_b64 exec, exec, s[10:11]
	s_load_dwordx2 s[10:11], s[4:5], 0x94
	s_waitcnt lgkmcnt(0)
	s_barrier
	ds_read2_b32 v[58:59], v56 offset1:16
	ds_read2_b32 v[60:61], v56 offset0:32 offset1:48
	ds_read2_b32 v[62:63], v56 offset0:64 offset1:80
	;; [unrolled: 1-line block ×3, first 2 shown]
	s_mov_b32 s14, 0x7060302
	s_waitcnt lgkmcnt(3)
	v_max3_f32 v54, v58, s9, v59
	s_waitcnt lgkmcnt(2)
	v_max3_f32 v54, v54, v60, v61
	v_sub_f32_e32 v55, v58, v54
	v_mul_f32_e32 v55, 0x3fb8aa3b, v55
	v_exp_f32_e32 v58, v55
	v_sub_f32_e32 v55, v59, v54
	v_mul_f32_e32 v55, 0x3fb8aa3b, v55
	v_exp_f32_e32 v59, v55
	;; [unrolled: 3-line block ×4, first 2 shown]
	s_waitcnt lgkmcnt(1)
	v_fma_f32 v55, v58, v62, 0
	v_fmac_f32_e32 v55, v59, v63
	s_waitcnt lgkmcnt(0)
	v_fmac_f32_e32 v55, v60, v56
	v_fmac_f32_e32 v55, v61, v57
	v_add_f32_e32 v57, 0x358637bd, v55
	v_div_scale_f32 v62, s[12:13], v57, v57, 1.0
	v_rcp_f32_e32 v63, v62
	s_movk_i32 s9, 0x7fff
	v_mov_b32_e32 v56, 0
	v_fma_f32 v64, -v62, v63, 1.0
	v_fmac_f32_e32 v63, v64, v63
	v_div_scale_f32 v64, vcc, 1.0, v57, 1.0
	v_mul_f32_e32 v65, v64, v63
	v_fma_f32 v66, -v62, v65, v64
	v_fmac_f32_e32 v65, v66, v63
	v_fma_f32 v62, -v62, v65, v64
	v_div_fmas_f32 v62, v62, v63, v65
	v_cmp_eq_u32_e32 vcc, 1, v52
	v_cndmask_b32_e32 v58, v58, v59, vcc
	v_cmp_eq_u32_e32 vcc, 2, v52
	v_cndmask_b32_e32 v58, v58, v60, vcc
	v_cmp_eq_u32_e32 vcc, 3, v52
	v_div_fixup_f32 v57, v62, v57, 1.0
	v_cndmask_b32_e32 v58, v58, v61, vcc
	v_mul_f32_e32 v58, v58, v57
	v_pk_mul_f32 v[50:51], v[58:59], v[50:51] op_sel_hi:[0,1]
	v_pk_mul_f32 v[48:49], v[58:59], v[48:49] op_sel_hi:[0,1]
	v_bfe_u32 v57, v51, 16, 1
	v_bfe_u32 v59, v50, 16, 1
	v_add3_u32 v50, v50, v59, s9
	v_add3_u32 v51, v51, v57, s9
	v_perm_b32 v50, v51, v50, s14
	v_bfe_u32 v51, v49, 16, 1
	v_bfe_u32 v57, v48, 16, 1
	v_add3_u32 v48, v48, v57, s9
	v_add3_u32 v49, v49, v51, s9
	v_perm_b32 v51, v49, v48, s14
	v_lshlrev_b32_e32 v48, 3, v1
	v_lshlrev_b32_e32 v49, 5, v53
	;; [unrolled: 1-line block ×3, first 2 shown]
	v_pk_mul_f32 v[46:47], v[58:59], v[46:47] op_sel_hi:[0,1]
	v_or3_b32 v48, v52, v49, v48
	v_bfe_u32 v52, v47, 16, 1
	v_bfe_u32 v53, v46, 16, 1
	v_pk_mul_f32 v[44:45], v[58:59], v[44:45] op_sel_hi:[0,1]
	v_add3_u32 v46, v46, v53, s9
	v_add3_u32 v47, v47, v52, s9
	v_perm_b32 v46, v47, v46, s14
	v_bfe_u32 v47, v45, 16, 1
	v_bfe_u32 v52, v44, 16, 1
	v_add3_u32 v44, v44, v52, s9
	v_add3_u32 v45, v45, v47, s9
	v_pk_mul_f32 v[40:41], v[58:59], v[40:41] op_sel_hi:[0,1]
	v_perm_b32 v47, v45, v44, s14
	v_bfe_u32 v44, v41, 16, 1
	v_bfe_u32 v45, v40, 16, 1
	v_pk_mul_f32 v[38:39], v[58:59], v[38:39] op_sel_hi:[0,1]
	v_add3_u32 v40, v40, v45, s9
	v_add3_u32 v41, v41, v44, s9
	v_perm_b32 v40, v41, v40, s14
	v_bfe_u32 v41, v39, 16, 1
	v_bfe_u32 v44, v38, 16, 1
	v_add3_u32 v38, v38, v44, s9
	v_add3_u32 v39, v39, v41, s9
	v_pk_mul_f32 v[36:37], v[58:59], v[36:37] op_sel_hi:[0,1]
	v_perm_b32 v41, v39, v38, s14
	v_bfe_u32 v38, v37, 16, 1
	v_bfe_u32 v39, v36, 16, 1
	v_pk_mul_f32 v[34:35], v[58:59], v[34:35] op_sel_hi:[0,1]
	v_add3_u32 v36, v36, v39, s9
	v_add3_u32 v37, v37, v38, s9
	v_perm_b32 v36, v37, v36, s14
	v_bfe_u32 v37, v35, 16, 1
	v_bfe_u32 v38, v34, 16, 1
	v_add3_u32 v34, v34, v38, s9
	v_add3_u32 v35, v35, v37, s9
	v_perm_b32 v37, v35, v34, s14
	v_cmp_eq_u32_e32 vcc, 0, v0
	s_barrier
	ds_write2st64_b64 v48, v[50:51], v[46:47] offset1:1
	ds_write2st64_b64 v48, v[40:41], v[36:37] offset0:2 offset1:3
	s_and_saveexec_b64 s[12:13], vcc
	s_cbranch_execz .LBB264_19
; %bb.18:
	s_mul_i32 s7, s7, s11
	s_mul_hi_u32 s15, s6, s11
	s_add_i32 s15, s15, s7
	s_mul_i32 s7, s6, s11
	s_add_u32 s7, s7, s8
	s_addc_u32 s15, s15, 0
	s_load_dwordx4 s[16:19], s[4:5], 0x58
	s_mul_i32 s15, s15, s10
	s_mul_hi_u32 s20, s7, s10
	s_add_i32 s15, s20, s15
	s_mul_i32 s7, s7, s10
	s_add_u32 s20, s7, s30
	s_addc_u32 s21, s15, 0
	s_lshl_b64 s[20:21], s[20:21], 2
	s_waitcnt lgkmcnt(0)
	s_add_u32 s18, s18, s20
	s_addc_u32 s19, s19, s21
	s_add_u32 s16, s16, s20
	s_addc_u32 s17, s17, s21
	global_store_dword v56, v54, s[18:19]
	global_store_dword v56, v55, s[16:17]
.LBB264_19:
	s_or_b64 exec, exec, s[12:13]
	v_lshl_or_b32 v49, v1, 9, v49
	s_waitcnt lgkmcnt(0)
	s_barrier
	ds_read_b128 v[34:37], v49
	ds_read_b128 v[38:41], v49 offset:16
	s_waitcnt vmcnt(7) lgkmcnt(1)
	v_mfma_f32_16x16x16bf16_1k v[44:47], v[14:15], v[34:35], 0
	v_cmp_gt_u32_e32 vcc, 64, v0
	s_and_b64 s[0:1], s[0:1], vcc
	s_mov_b32 s7, 0
	s_and_b64 s[0:1], s[0:1], s[2:3]
	v_mfma_f32_16x16x16bf16_1k v[14:17], v[16:17], v[36:37], v[44:47]
	s_waitcnt vmcnt(6) lgkmcnt(0)
	v_mfma_f32_16x16x16bf16_1k v[14:17], v[10:11], v[38:39], v[14:17]
	v_mfma_f32_16x16x16bf16_1k v[10:13], v[12:13], v[40:41], v[14:17]
	s_nop 7
	s_nop 1
	ds_read_b128 v[14:17], v49 offset:2048
	ds_read_b128 v[34:37], v49 offset:2064
	s_waitcnt vmcnt(5) lgkmcnt(1)
	v_mfma_f32_16x16x16bf16_1k v[10:13], v[6:7], v[14:15], v[10:13]
	v_mfma_f32_16x16x16bf16_1k v[6:9], v[8:9], v[16:17], v[10:13]
	s_waitcnt vmcnt(4) lgkmcnt(0)
	v_mfma_f32_16x16x16bf16_1k v[6:9], v[2:3], v[34:35], v[6:9]
	v_mfma_f32_16x16x16bf16_1k v[2:5], v[4:5], v[36:37], v[6:9]
	s_nop 7
	s_nop 1
	ds_read_b128 v[6:9], v49 offset:4096
	ds_read_b128 v[10:13], v49 offset:4112
	s_waitcnt vmcnt(3) lgkmcnt(1)
	v_mfma_f32_16x16x16bf16_1k v[2:5], v[30:31], v[6:7], v[2:5]
	v_mfma_f32_16x16x16bf16_1k v[2:5], v[32:33], v[8:9], v[2:5]
	s_waitcnt vmcnt(2) lgkmcnt(0)
	v_mfma_f32_16x16x16bf16_1k v[2:5], v[22:23], v[10:11], v[2:5]
	v_mfma_f32_16x16x16bf16_1k v[2:5], v[24:25], v[12:13], v[2:5]
	ds_read_b128 v[6:9], v49 offset:6144
	ds_read_b128 v[10:13], v49 offset:6160
	s_waitcnt lgkmcnt(0)
	s_barrier
	s_waitcnt vmcnt(1)
	v_mfma_f32_16x16x16bf16_1k v[2:5], v[26:27], v[6:7], v[2:5]
	v_mfma_f32_16x16x16bf16_1k v[2:5], v[28:29], v[8:9], v[2:5]
	s_waitcnt vmcnt(0)
	v_mfma_f32_16x16x16bf16_1k v[2:5], v[18:19], v[10:11], v[2:5]
	v_mfma_f32_16x16x16bf16_1k v[2:5], v[20:21], v[12:13], v[2:5]
	s_nop 7
	s_nop 2
	v_bfe_u32 v6, v3, 16, 1
	v_bfe_u32 v7, v2, 16, 1
	;; [unrolled: 1-line block ×4, first 2 shown]
	v_add3_u32 v2, v2, v7, s9
	v_add3_u32 v3, v3, v6, s9
	;; [unrolled: 1-line block ×4, first 2 shown]
	v_perm_b32 v2, v3, v2, s14
	v_perm_b32 v3, v5, v4, s14
	ds_write_b64 v48, v[2:3]
	s_waitcnt lgkmcnt(0)
	s_barrier
	s_and_saveexec_b64 s[2:3], s[0:1]
	s_cbranch_execz .LBB264_21
; %bb.20:
	s_load_dwordx2 s[0:1], s[4:5], 0x68
	s_mul_i32 s2, s11, s6
	s_lshl_b32 s4, s10, 6
	s_mul_hi_u32 s3, s2, s4
	s_mul_i32 s2, s2, s4
	s_lshl_b64 s[2:3], s[2:3], 1
	s_waitcnt lgkmcnt(0)
	s_add_u32 s2, s0, s2
	s_addc_u32 s3, s1, s3
	s_lshl_b32 s6, s30, 6
	v_lshlrev_b32_e32 v2, 10, v0
	v_lshlrev_b32_e32 v0, 4, v0
	s_lshl_b64 s[0:1], s[6:7], 1
	v_and_b32_e32 v2, 0x1800, v2
	v_lshlrev_b32_e32 v1, 5, v1
	v_and_b32_e32 v0, 16, v0
	s_add_u32 s2, s2, s0
	v_or3_b32 v0, v2, v1, v0
	s_addc_u32 s3, s3, s1
	s_mul_hi_u32 s1, s4, s8
	s_mul_i32 s0, s4, s8
	ds_read_b128 v[0:3], v0
	s_lshl_b64 s[0:1], s[0:1], 1
	s_add_u32 s0, s2, s0
	s_addc_u32 s1, s3, s1
	v_mov_b32_e32 v5, s1
	v_add_co_u32_e32 v4, vcc, s0, v42
	v_addc_co_u32_e32 v5, vcc, v5, v43, vcc
	s_waitcnt lgkmcnt(0)
	global_store_dwordx4 v[4:5], v[0:3], off
.LBB264_21:
	s_endpgm
	.section	.rodata,"a",@progbits
	.p2align	6, 0x0
	.amdhsa_kernel _Z39paged_attention_ll4mi_QKV_mfma16_kernelI14__hip_bfloat16S0_LN4vllm18Fp8KVCacheDataTypeE0ES0_Li32ELi64ELi256ELb1ELi1EL8MFMAType0EEvPKT_PKT0_S9_ifPKiSB_SB_iPKfiiiPfSE_PS4_PT2_iSD_SD_
		.amdhsa_group_segment_fixed_size 8192
		.amdhsa_private_segment_fixed_size 0
		.amdhsa_kernarg_size 400
		.amdhsa_user_sgpr_count 6
		.amdhsa_user_sgpr_private_segment_buffer 1
		.amdhsa_user_sgpr_dispatch_ptr 0
		.amdhsa_user_sgpr_queue_ptr 0
		.amdhsa_user_sgpr_kernarg_segment_ptr 1
		.amdhsa_user_sgpr_dispatch_id 0
		.amdhsa_user_sgpr_flat_scratch_init 0
		.amdhsa_user_sgpr_kernarg_preload_length 0
		.amdhsa_user_sgpr_kernarg_preload_offset 0
		.amdhsa_user_sgpr_private_segment_size 0
		.amdhsa_uses_dynamic_stack 0
		.amdhsa_system_sgpr_private_segment_wavefront_offset 0
		.amdhsa_system_sgpr_workgroup_id_x 1
		.amdhsa_system_sgpr_workgroup_id_y 1
		.amdhsa_system_sgpr_workgroup_id_z 1
		.amdhsa_system_sgpr_workgroup_info 0
		.amdhsa_system_vgpr_workitem_id 0
		.amdhsa_next_free_vgpr 67
		.amdhsa_next_free_sgpr 48
		.amdhsa_accum_offset 68
		.amdhsa_reserve_vcc 1
		.amdhsa_reserve_flat_scratch 0
		.amdhsa_float_round_mode_32 0
		.amdhsa_float_round_mode_16_64 0
		.amdhsa_float_denorm_mode_32 3
		.amdhsa_float_denorm_mode_16_64 3
		.amdhsa_dx10_clamp 1
		.amdhsa_ieee_mode 1
		.amdhsa_fp16_overflow 0
		.amdhsa_tg_split 0
		.amdhsa_exception_fp_ieee_invalid_op 0
		.amdhsa_exception_fp_denorm_src 0
		.amdhsa_exception_fp_ieee_div_zero 0
		.amdhsa_exception_fp_ieee_overflow 0
		.amdhsa_exception_fp_ieee_underflow 0
		.amdhsa_exception_fp_ieee_inexact 0
		.amdhsa_exception_int_div_zero 0
	.end_amdhsa_kernel
	.section	.text._Z39paged_attention_ll4mi_QKV_mfma16_kernelI14__hip_bfloat16S0_LN4vllm18Fp8KVCacheDataTypeE0ES0_Li32ELi64ELi256ELb1ELi1EL8MFMAType0EEvPKT_PKT0_S9_ifPKiSB_SB_iPKfiiiPfSE_PS4_PT2_iSD_SD_,"axG",@progbits,_Z39paged_attention_ll4mi_QKV_mfma16_kernelI14__hip_bfloat16S0_LN4vllm18Fp8KVCacheDataTypeE0ES0_Li32ELi64ELi256ELb1ELi1EL8MFMAType0EEvPKT_PKT0_S9_ifPKiSB_SB_iPKfiiiPfSE_PS4_PT2_iSD_SD_,comdat
.Lfunc_end264:
	.size	_Z39paged_attention_ll4mi_QKV_mfma16_kernelI14__hip_bfloat16S0_LN4vllm18Fp8KVCacheDataTypeE0ES0_Li32ELi64ELi256ELb1ELi1EL8MFMAType0EEvPKT_PKT0_S9_ifPKiSB_SB_iPKfiiiPfSE_PS4_PT2_iSD_SD_, .Lfunc_end264-_Z39paged_attention_ll4mi_QKV_mfma16_kernelI14__hip_bfloat16S0_LN4vllm18Fp8KVCacheDataTypeE0ES0_Li32ELi64ELi256ELb1ELi1EL8MFMAType0EEvPKT_PKT0_S9_ifPKiSB_SB_iPKfiiiPfSE_PS4_PT2_iSD_SD_
                                        ; -- End function
	.section	.AMDGPU.csdata,"",@progbits
; Kernel info:
; codeLenInByte = 4472
; NumSgprs: 52
; NumVgprs: 67
; NumAgprs: 0
; TotalNumVgprs: 67
; ScratchSize: 0
; MemoryBound: 0
; FloatMode: 240
; IeeeMode: 1
; LDSByteSize: 8192 bytes/workgroup (compile time only)
; SGPRBlocks: 6
; VGPRBlocks: 8
; NumSGPRsForWavesPerEU: 52
; NumVGPRsForWavesPerEU: 67
; AccumOffset: 68
; Occupancy: 7
; WaveLimiterHint : 1
; COMPUTE_PGM_RSRC2:SCRATCH_EN: 0
; COMPUTE_PGM_RSRC2:USER_SGPR: 6
; COMPUTE_PGM_RSRC2:TRAP_HANDLER: 0
; COMPUTE_PGM_RSRC2:TGID_X_EN: 1
; COMPUTE_PGM_RSRC2:TGID_Y_EN: 1
; COMPUTE_PGM_RSRC2:TGID_Z_EN: 1
; COMPUTE_PGM_RSRC2:TIDIG_COMP_CNT: 0
; COMPUTE_PGM_RSRC3_GFX90A:ACCUM_OFFSET: 16
; COMPUTE_PGM_RSRC3_GFX90A:TG_SPLIT: 0
	.section	.text._Z39paged_attention_ll4mi_QKV_mfma16_kernelI14__hip_bfloat16S0_LN4vllm18Fp8KVCacheDataTypeE0ES0_Li32ELi64ELi256ELb1ELi2EL8MFMAType0EEvPKT_PKT0_S9_ifPKiSB_SB_iPKfiiiPfSE_PS4_PT2_iSD_SD_,"axG",@progbits,_Z39paged_attention_ll4mi_QKV_mfma16_kernelI14__hip_bfloat16S0_LN4vllm18Fp8KVCacheDataTypeE0ES0_Li32ELi64ELi256ELb1ELi2EL8MFMAType0EEvPKT_PKT0_S9_ifPKiSB_SB_iPKfiiiPfSE_PS4_PT2_iSD_SD_,comdat
	.protected	_Z39paged_attention_ll4mi_QKV_mfma16_kernelI14__hip_bfloat16S0_LN4vllm18Fp8KVCacheDataTypeE0ES0_Li32ELi64ELi256ELb1ELi2EL8MFMAType0EEvPKT_PKT0_S9_ifPKiSB_SB_iPKfiiiPfSE_PS4_PT2_iSD_SD_ ; -- Begin function _Z39paged_attention_ll4mi_QKV_mfma16_kernelI14__hip_bfloat16S0_LN4vllm18Fp8KVCacheDataTypeE0ES0_Li32ELi64ELi256ELb1ELi2EL8MFMAType0EEvPKT_PKT0_S9_ifPKiSB_SB_iPKfiiiPfSE_PS4_PT2_iSD_SD_
	.globl	_Z39paged_attention_ll4mi_QKV_mfma16_kernelI14__hip_bfloat16S0_LN4vllm18Fp8KVCacheDataTypeE0ES0_Li32ELi64ELi256ELb1ELi2EL8MFMAType0EEvPKT_PKT0_S9_ifPKiSB_SB_iPKfiiiPfSE_PS4_PT2_iSD_SD_
	.p2align	8
	.type	_Z39paged_attention_ll4mi_QKV_mfma16_kernelI14__hip_bfloat16S0_LN4vllm18Fp8KVCacheDataTypeE0ES0_Li32ELi64ELi256ELb1ELi2EL8MFMAType0EEvPKT_PKT0_S9_ifPKiSB_SB_iPKfiiiPfSE_PS4_PT2_iSD_SD_,@function
_Z39paged_attention_ll4mi_QKV_mfma16_kernelI14__hip_bfloat16S0_LN4vllm18Fp8KVCacheDataTypeE0ES0_Li32ELi64ELi256ELb1ELi2EL8MFMAType0EEvPKT_PKT0_S9_ifPKiSB_SB_iPKfiiiPfSE_PS4_PT2_iSD_SD_: ; @_Z39paged_attention_ll4mi_QKV_mfma16_kernelI14__hip_bfloat16S0_LN4vllm18Fp8KVCacheDataTypeE0ES0_Li32ELi64ELi256ELb1ELi2EL8MFMAType0EEvPKT_PKT0_S9_ifPKiSB_SB_iPKfiiiPfSE_PS4_PT2_iSD_SD_
; %bb.0:
	s_load_dwordx2 s[0:1], s[4:5], 0x30
	s_mov_b32 s28, s7
	s_mov_b64 s[10:11], 0
	s_waitcnt lgkmcnt(0)
	s_cmp_lg_u64 s[0:1], 0
	s_cselect_b64 s[2:3], -1, 0
	s_and_b64 vcc, exec, s[2:3]
	s_cbranch_vccz .LBB265_7
; %bb.1:
	s_add_i32 s12, s6, 1
	s_mov_b32 s13, 0
	s_lshl_b64 s[14:15], s[12:13], 2
	s_add_u32 s14, s0, s14
	s_mov_b32 s7, s13
	s_addc_u32 s15, s1, s15
	s_lshl_b64 s[12:13], s[6:7], 2
	s_add_u32 s12, s0, s12
	s_addc_u32 s13, s1, s13
	s_load_dword s9, s[14:15], 0x0
	s_load_dword s16, s[12:13], 0x0
	s_waitcnt lgkmcnt(0)
	s_sub_i32 s9, s9, s16
	s_cmp_eq_u32 s9, 1
	s_cselect_b64 s[12:13], -1, 0
	s_andn2_b64 vcc, exec, s[10:11]
	s_cbranch_vccnz .LBB265_3
.LBB265_2:
	s_mov_b32 s7, 0
	s_mov_b64 s[12:13], -1
.LBB265_3:
	s_andn2_b64 vcc, exec, s[12:13]
	s_cbranch_vccnz .LBB265_21
; %bb.4:
	s_load_dwordx2 s[12:13], s[4:5], 0x28
	s_lshl_b64 s[10:11], s[6:7], 2
	s_waitcnt lgkmcnt(0)
	s_add_u32 s12, s12, s10
	s_addc_u32 s13, s13, s11
	s_load_dword s33, s[12:13], 0x0
	s_lshl_b32 s14, s28, 8
	s_waitcnt lgkmcnt(0)
	s_cmp_ge_i32 s14, s33
	s_cbranch_scc1 .LBB265_21
; %bb.5:
	s_add_i32 s15, s33, 31
	s_load_dwordx2 s[12:13], s[4:5], 0x20
	s_load_dword s9, s[4:5], 0x38
	s_ashr_i32 s16, s15, 31
	v_and_b32_e32 v1, 0xcf, v0
	s_lshr_b32 s16, s16, 27
	v_add_u32_e32 v1, s14, v1
	s_add_i32 s15, s15, s16
	v_ashrrev_i32_e32 v2, 31, v1
	s_ashr_i32 s17, s15, 5
	v_lshrrev_b32_e32 v6, 27, v2
	s_add_i32 s17, s17, -1
	v_add_u32_e32 v2, v1, v6
	s_waitcnt lgkmcnt(0)
	s_mul_i32 s18, s6, s9
	s_mov_b32 s19, 0
	v_ashrrev_i32_e32 v2, 5, v2
	v_mov_b32_e32 v7, s17
	v_cmp_gt_i32_e32 vcc, s33, v1
	s_lshl_b64 s[18:19], s[18:19], 2
	v_cndmask_b32_e32 v2, v7, v2, vcc
	s_add_u32 s15, s12, s18
	v_ashrrev_i32_e32 v3, 31, v2
	s_addc_u32 s16, s13, s19
	v_lshlrev_b64 v[2:3], 2, v[2:3]
	v_mov_b32_e32 v4, s16
	v_add_co_u32_e32 v2, vcc, s15, v2
	v_addc_co_u32_e32 v3, vcc, v4, v3, vcc
	v_or_b32_e32 v4, 16, v1
	v_add_u32_e32 v5, v4, v6
	v_ashrrev_i32_e32 v5, 5, v5
	v_cmp_gt_i32_e32 vcc, s33, v4
	v_cndmask_b32_e32 v4, v7, v5, vcc
	v_ashrrev_i32_e32 v5, 31, v4
	v_lshlrev_b64 v[4:5], 2, v[4:5]
	v_mov_b32_e32 v9, s16
	v_add_co_u32_e32 v8, vcc, s15, v4
	v_or_b32_e32 v4, 32, v1
	v_addc_co_u32_e32 v9, vcc, v9, v5, vcc
	v_add_u32_e32 v5, v4, v6
	v_ashrrev_i32_e32 v5, 5, v5
	v_cmp_gt_i32_e32 vcc, s33, v4
	v_cndmask_b32_e32 v4, v7, v5, vcc
	v_ashrrev_i32_e32 v5, 31, v4
	v_lshlrev_b64 v[4:5], 2, v[4:5]
	v_mov_b32_e32 v11, s16
	v_add_co_u32_e32 v10, vcc, s15, v4
	v_or_b32_e32 v1, 48, v1
	v_addc_co_u32_e32 v11, vcc, v11, v5, vcc
	v_add_u32_e32 v4, v1, v6
	v_ashrrev_i32_e32 v4, 5, v4
	v_cmp_gt_i32_e32 vcc, s33, v1
	v_cndmask_b32_e32 v4, v7, v4, vcc
	v_ashrrev_i32_e32 v5, 31, v4
	v_lshlrev_b64 v[4:5], 2, v[4:5]
	v_mov_b32_e32 v1, s16
	v_add_co_u32_e32 v12, vcc, s15, v4
	v_addc_co_u32_e32 v13, vcc, v1, v5, vcc
	global_load_dword v7, v[2:3], off
	global_load_dword v6, v[8:9], off
	;; [unrolled: 1-line block ×4, first 2 shown]
	s_andn2_b64 vcc, exec, s[2:3]
	s_cbranch_vccnz .LBB265_8
; %bb.6:
	s_add_u32 s0, s0, s10
	s_addc_u32 s1, s1, s11
	s_load_dword s9, s[0:1], 0x0
	s_branch .LBB265_9
.LBB265_7:
	s_mov_b64 s[12:13], 0
	s_branch .LBB265_2
.LBB265_8:
	s_mov_b32 s9, s6
.LBB265_9:
	s_load_dwordx2 s[10:11], s[4:5], 0x8
	s_load_dwordx4 s[44:47], s[4:5], 0x48
	v_lshrrev_b32_e32 v53, 6, v0
	v_bfe_u32 v1, v0, 4, 2
	v_lshl_or_b32 v8, v53, 2, v1
	v_and_b32_e32 v54, 15, v0
	v_cmp_lt_u32_e32 vcc, 1, v8
	v_cmp_lt_u32_e64 s[2:3], 7, v54
	v_lshlrev_b32_e32 v2, 3, v54
	v_cmp_gt_u32_e64 s[0:1], 8, v54
	s_or_b64 s[2:3], s[2:3], vcc
	s_and_saveexec_b64 s[12:13], s[2:3]
	s_xor_b64 s[2:3], exec, s[12:13]
; %bb.10:
	v_mov_b32_e32 v3, 0
                                        ; implicit-def: $vgpr8
; %bb.11:
	s_or_saveexec_b64 s[12:13], s[2:3]
	s_load_dwordx2 s[2:3], s[4:5], 0x10
	s_lshl_b32 s29, s8, 1
	s_xor_b64 exec, exec, s[12:13]
	s_cbranch_execz .LBB265_13
; %bb.12:
	s_load_dwordx2 s[18:19], s[4:5], 0x0
	s_waitcnt lgkmcnt(0)
	s_ashr_i32 s20, s44, 31
	s_mul_hi_u32 s21, s9, s44
	s_mul_i32 s20, s9, s20
	s_add_i32 s21, s21, s20
	s_mul_i32 s20, s9, s44
	s_lshl_b64 s[20:21], s[20:21], 1
	v_add_lshl_u32 v10, v1, s29, 6
	s_add_u32 s9, s18, s20
	v_ashrrev_i32_e32 v11, 31, v10
	s_addc_u32 s18, s19, s21
	v_lshlrev_b64 v[10:11], 1, v[10:11]
	v_mov_b32_e32 v3, s18
	v_add_co_u32_e32 v9, vcc, s9, v10
	v_addc_co_u32_e32 v3, vcc, v3, v11, vcc
	v_lshlrev_b32_e32 v10, 1, v2
	v_add_co_u32_e32 v10, vcc, v9, v10
	v_addc_co_u32_e32 v11, vcc, 0, v3, vcc
	global_load_dwordx4 v[10:13], v[10:11], off
	v_and_b32_e32 v9, 3, v0
	v_lshlrev_b32_e32 v14, 9, v54
	v_lshlrev_b32_e32 v8, 5, v8
	;; [unrolled: 1-line block ×3, first 2 shown]
	v_and_b32_e32 v14, 0x1800, v14
	v_mov_b32_e32 v3, 0
	v_or3_b32 v8, v14, v9, v8
	s_waitcnt vmcnt(0)
	ds_write_b128 v8, v[10:13]
.LBB265_13:
	s_or_b64 exec, exec, s[12:13]
	s_waitcnt lgkmcnt(0)
	s_mul_i32 s8, s8, s46
	s_mov_b32 s9, 0
	s_lshl_b64 s[8:9], s[8:9], 1
	s_add_u32 s12, s10, s8
	s_addc_u32 s13, s11, s9
	s_waitcnt vmcnt(3)
	v_mad_i64_i32 v[8:9], s[10:11], v7, s45, 0
	v_lshlrev_b64 v[8:9], 1, v[8:9]
	v_mov_b32_e32 v7, s13
	v_add_co_u32_e32 v8, vcc, s12, v8
	v_addc_co_u32_e32 v7, vcc, v7, v9, vcc
	v_lshlrev_b64 v[42:43], 1, v[2:3]
	v_add_co_u32_e32 v2, vcc, v8, v42
	v_lshlrev_b32_e32 v24, 9, v1
	v_addc_co_u32_e32 v3, vcc, v7, v43, vcc
	v_add_co_u32_e32 v2, vcc, v2, v24
	v_addc_co_u32_e32 v3, vcc, 0, v3, vcc
	s_barrier
	global_load_dwordx4 v[38:41], v[2:3], off
	global_load_dwordx4 v[34:37], v[2:3], off offset:2048
	s_waitcnt vmcnt(4)
	v_mad_i64_i32 v[2:3], s[10:11], v6, s45, 0
	v_lshlrev_b64 v[2:3], 1, v[2:3]
	v_mov_b32_e32 v6, s13
	v_add_co_u32_e32 v2, vcc, s12, v2
	v_addc_co_u32_e32 v3, vcc, v6, v3, vcc
	v_mov_b32_e32 v6, 0x100
	v_lshl_or_b32 v18, v54, 4, v6
	v_add_co_u32_e32 v2, vcc, v2, v18
	v_addc_co_u32_e32 v3, vcc, 0, v3, vcc
	v_add_co_u32_e32 v2, vcc, v2, v24
	v_addc_co_u32_e32 v3, vcc, 0, v3, vcc
	global_load_dwordx4 v[30:33], v[2:3], off
	global_load_dwordx4 v[14:17], v[2:3], off offset:2048
	s_waitcnt vmcnt(5)
	v_mad_i64_i32 v[2:3], s[10:11], v5, s45, 0
	v_lshlrev_b64 v[2:3], 1, v[2:3]
	v_mov_b32_e32 v5, s13
	v_add_co_u32_e32 v2, vcc, s12, v2
	v_addc_co_u32_e32 v3, vcc, v5, v3, vcc
	v_add_co_u32_e32 v2, vcc, v2, v42
	v_addc_co_u32_e32 v3, vcc, v3, v43, vcc
	;; [unrolled: 2-line block ×3, first 2 shown]
	global_load_dwordx4 v[10:13], v[2:3], off
	global_load_dwordx4 v[6:9], v[2:3], off offset:2048
	s_waitcnt vmcnt(6)
	v_mad_i64_i32 v[2:3], s[10:11], v4, s45, 0
	v_lshlrev_b64 v[2:3], 1, v[2:3]
	v_mov_b32_e32 v4, s13
	v_add_co_u32_e32 v2, vcc, s12, v2
	v_addc_co_u32_e32 v3, vcc, v4, v3, vcc
	v_add_co_u32_e32 v2, vcc, v2, v18
	v_addc_co_u32_e32 v3, vcc, 0, v3, vcc
	;; [unrolled: 2-line block ×3, first 2 shown]
	global_load_dwordx4 v[2:5], v[22:23], off
	global_load_dwordx4 v[18:21], v[22:23], off offset:2048
	v_and_b32_e32 v22, 1, v0
	v_lshl_or_b32 v22, v22, 5, v24
	ds_read_b128 v[26:29], v22
	ds_read_b128 v[22:25], v22 offset:2048
	v_and_b32_e32 v52, 63, v0
	v_cmp_gt_u32_e32 vcc, 2, v54
	v_mov_b32_e32 v50, 0
	s_and_saveexec_b64 s[10:11], vcc
	s_cbranch_execz .LBB265_15
; %bb.14:
	s_load_dwordx2 s[12:13], s[4:5], 0x40
	v_or_b32_e32 v44, s29, v54
	v_ashrrev_i32_e32 v45, 31, v44
	v_lshlrev_b64 v[44:45], 2, v[44:45]
	s_waitcnt lgkmcnt(0)
	v_mov_b32_e32 v46, s13
	v_add_co_u32_e32 v44, vcc, s12, v44
	v_addc_co_u32_e32 v45, vcc, v46, v45, vcc
	global_load_dword v50, v[44:45], off
.LBB265_15:
	s_or_b64 exec, exec, s[10:11]
	s_waitcnt vmcnt(7) lgkmcnt(1)
	v_mfma_f32_16x16x16bf16_1k v[44:47], v[38:39], v[26:27], 0
	s_ashr_i32 s10, s14, 31
	s_lshr_b32 s11, s10, 27
	v_mov_b32_e32 v49, s16
	s_add_u32 s2, s2, s8
	s_addc_u32 s3, s3, s9
	s_load_dword s10, s[4:5], 0x1c
	s_mov_b32 s42, 0xff7fffff
	v_mfma_f32_16x16x16bf16_1k v[38:41], v[40:41], v[28:29], v[44:47]
	s_waitcnt vmcnt(6) lgkmcnt(0)
	v_mfma_f32_16x16x16bf16_1k v[38:41], v[34:35], v[22:23], v[38:41]
	s_nop 4
	v_and_or_b32 v46, v0, 48, s14
	v_add_u32_e32 v34, s11, v46
	v_ashrrev_i32_e32 v34, 5, v34
	v_mov_b32_e32 v47, s17
	v_cmp_gt_i32_e32 vcc, s33, v46
	v_cndmask_b32_e32 v34, v47, v34, vcc
	v_ashrrev_i32_e32 v35, 31, v34
	v_lshlrev_b64 v[44:45], 2, v[34:35]
	v_mfma_f32_16x16x16bf16_1k v[34:37], v[36:37], v[24:25], v[38:41]
	s_nop 6
	v_mov_b32_e32 v39, s16
	v_add_co_u32_e32 v38, vcc, s15, v44
	v_addc_co_u32_e32 v39, vcc, v39, v45, vcc
	global_load_dword v48, v[38:39], off
	s_waitcnt vmcnt(6)
	v_mfma_f32_16x16x16bf16_1k v[38:41], v[30:31], v[26:27], 0
	v_or_b32_e32 v44, 64, v46
	v_add_u32_e32 v30, s11, v44
	v_ashrrev_i32_e32 v30, 5, v30
	v_cmp_gt_i32_e32 vcc, s33, v44
	v_cndmask_b32_e32 v30, v47, v30, vcc
	v_ashrrev_i32_e32 v31, 31, v30
	v_lshlrev_b64 v[44:45], 2, v[30:31]
	v_mfma_f32_16x16x16bf16_1k v[30:33], v[32:33], v[28:29], v[38:41]
	s_nop 6
	v_add_co_u32_e32 v38, vcc, s15, v44
	v_addc_co_u32_e32 v39, vcc, v49, v45, vcc
	global_load_dword v40, v[38:39], off
	v_or_b32_e32 v38, 0x80, v46
	v_add_u32_e32 v39, s11, v38
	v_ashrrev_i32_e32 v39, 5, v39
	v_cmp_gt_i32_e32 vcc, s33, v38
	v_cndmask_b32_e32 v38, v47, v39, vcc
	v_ashrrev_i32_e32 v39, 31, v38
	s_waitcnt vmcnt(6)
	v_mfma_f32_16x16x16bf16_1k v[30:33], v[14:15], v[22:23], v[30:33]
	v_lshlrev_b64 v[14:15], 2, v[38:39]
	v_mov_b32_e32 v38, s16
	v_add_co_u32_e32 v14, vcc, s15, v14
	v_addc_co_u32_e32 v15, vcc, v38, v15, vcc
	global_load_dword v41, v[14:15], off
	v_mfma_f32_16x16x16bf16_1k v[30:33], v[16:17], v[24:25], v[30:33]
	v_or_b32_e32 v38, 0xc0, v46
	v_cmp_gt_i32_e32 vcc, s33, v38
	v_mov_b32_e32 v44, s16
	s_waitcnt vmcnt(6)
	v_mfma_f32_16x16x16bf16_1k v[14:17], v[10:11], v[26:27], 0
	v_add_u32_e32 v10, s11, v38
	v_ashrrev_i32_e32 v10, 5, v10
	v_cndmask_b32_e32 v10, v47, v10, vcc
	v_ashrrev_i32_e32 v11, 31, v10
	v_lshlrev_b64 v[38:39], 2, v[10:11]
	s_nop 0
	v_pk_mul_f32 v[46:47], s[10:11], v[30:31] op_sel_hi:[0,1]
	v_mfma_f32_16x16x16bf16_1k v[10:13], v[12:13], v[28:29], v[14:17]
	s_nop 6
	v_add_co_u32_e32 v14, vcc, s15, v38
	s_waitcnt vmcnt(5)
	v_mfma_f32_16x16x16bf16_1k v[10:13], v[6:7], v[22:23], v[10:13]
	v_addc_co_u32_e32 v15, vcc, v44, v39, vcc
	global_load_dword v51, v[14:15], off
	v_and_b32_e32 v14, 16, v0
	v_lshlrev_b32_e32 v14, 1, v14
	v_mov_b32_e32 v6, s3
	v_add_co_u32_e32 v7, vcc, s2, v14
	v_lshlrev_b32_e32 v14, 6, v54
	v_addc_co_u32_e32 v6, vcc, 0, v6, vcc
	v_lshl_or_b32 v14, v53, 10, v14
	v_add_co_u32_e32 v55, vcc, v7, v14
	v_addc_co_u32_e32 v60, vcc, 0, v6, vcc
	v_mfma_f32_16x16x16bf16_1k v[56:59], v[8:9], v[24:25], v[10:13]
	s_waitcnt vmcnt(3)
	v_mad_i64_i32 v[6:7], s[2:3], v48, s45, 0
	v_pk_mul_f32 v[48:49], s[10:11], v[36:37] op_sel_hi:[0,1]
	v_pk_mul_f32 v[44:45], s[10:11], v[32:33] op_sel_hi:[0,1]
	s_waitcnt vmcnt(1)
	v_mad_i64_i32 v[38:39], s[2:3], v41, s45, 0
	s_nop 0
	v_lshlrev_b64 v[10:11], 1, v[6:7]
	v_mfma_f32_16x16x16bf16_1k v[6:9], v[2:3], v[26:27], 0
	v_add_co_u32_e32 v2, vcc, v55, v10
	v_addc_co_u32_e32 v3, vcc, v60, v11, vcc
	global_load_dwordx4 v[14:17], v[2:3], off
	global_load_dwordx4 v[10:13], v[2:3], off offset:16
	v_mad_i64_i32 v[2:3], s[2:3], v40, s45, 0
	v_mfma_f32_16x16x16bf16_1k v[26:29], v[4:5], v[28:29], v[6:9]
	v_lshlrev_b64 v[2:3], 1, v[2:3]
	v_add_co_u32_e32 v2, vcc, v55, v2
	v_addc_co_u32_e32 v3, vcc, v60, v3, vcc
	v_lshlrev_b64 v[38:39], 1, v[38:39]
	v_pk_mul_f32 v[40:41], s[10:11], v[56:57] op_sel_hi:[0,1]
	v_mfma_f32_16x16x16bf16_1k v[26:29], v[18:19], v[22:23], v[26:29]
	v_pk_mul_f32 v[18:19], s[10:11], v[34:35] op_sel_hi:[0,1]
	v_add_co_u32_e32 v22, vcc, v55, v38
	v_addc_co_u32_e32 v23, vcc, v60, v39, vcc
	v_pk_mul_f32 v[38:39], s[10:11], v[58:59] op_sel_hi:[0,1]
	global_load_dwordx4 v[6:9], v[2:3], off
	s_nop 0
	global_load_dwordx4 v[2:5], v[2:3], off offset:16
	v_mfma_f32_16x16x16bf16_1k v[24:27], v[20:21], v[24:25], v[26:29]
	v_and_b32_e32 v20, 0xc0, v0
	v_add_u32_e32 v20, s14, v20
	v_lshl_or_b32 v20, v1, 2, v20
	v_or_b32_e32 v21, 1, v20
	v_cmp_gt_i32_e64 s[30:31], s33, v20
	v_cmp_gt_i32_e64 s[34:35], s33, v21
	s_nop 4
	v_pk_mul_f32 v[36:37], s[10:11], v[24:25] op_sel_hi:[0,1]
	v_subrev_u32_e32 v24, s33, v21
	v_pk_mul_f32 v[34:35], s[10:11], v[26:27] op_sel_hi:[0,1]
	v_add_u32_e32 v26, 1, v24
	v_add_u32_e32 v27, 2, v24
	v_cvt_f32_i32_e32 v25, v24
	v_cvt_f32_i32_e32 v26, v26
	;; [unrolled: 1-line block ×3, first 2 shown]
	v_add_u32_e32 v28, 3, v24
	v_fma_f32 v18, v50, v25, v18
	v_fmac_f32_e32 v19, v50, v26
	v_fma_f32 v48, v50, v27, v48
	v_add_u32_e32 v25, 16, v24
	v_add_u32_e32 v26, 17, v24
	;; [unrolled: 1-line block ×3, first 2 shown]
	v_cvt_f32_i32_e32 v28, v28
	v_cvt_f32_i32_e32 v25, v25
	;; [unrolled: 1-line block ×4, first 2 shown]
	v_fmac_f32_e32 v49, v50, v28
	v_add_u32_e32 v28, 19, v24
	v_fma_f32 v46, v50, v25, v46
	v_fmac_f32_e32 v47, v50, v26
	v_fma_f32 v44, v50, v27, v44
	v_add_u32_e32 v25, 32, v24
	v_add_u32_e32 v26, 33, v24
	;; [unrolled: 1-line block ×3, first 2 shown]
	v_cvt_f32_i32_e32 v28, v28
	v_cvt_f32_i32_e32 v25, v25
	;; [unrolled: 1-line block ×4, first 2 shown]
	v_fmac_f32_e32 v45, v50, v28
	v_add_u32_e32 v28, 35, v24
	v_fma_f32 v40, v50, v25, v40
	v_fmac_f32_e32 v41, v50, v26
	v_fma_f32 v38, v50, v27, v38
	v_add_u32_e32 v25, 48, v24
	v_add_u32_e32 v26, 49, v24
	;; [unrolled: 1-line block ×4, first 2 shown]
	v_cvt_f32_i32_e32 v24, v24
	v_cvt_f32_i32_e32 v25, v25
	v_cvt_f32_i32_e32 v26, v26
	v_cvt_f32_i32_e32 v28, v28
	v_fmac_f32_e32 v35, v50, v24
	v_mov_b32_e32 v24, 0xff7fffff
	v_fma_f32 v36, v50, v25, v36
	v_cndmask_b32_e64 v25, v24, v18, s[30:31]
	v_cndmask_b32_e64 v21, v24, v19, s[34:35]
	v_fmac_f32_e32 v37, v50, v26
	v_max3_f32 v21, v25, s42, v21
	v_or_b32_e32 v25, 2, v20
	v_or_b32_e32 v26, 3, v20
	v_cmp_gt_i32_e64 s[36:37], s33, v25
	v_cmp_gt_i32_e64 s[38:39], s33, v26
	v_cndmask_b32_e64 v25, v24, v48, s[36:37]
	v_cndmask_b32_e64 v26, v24, v49, s[38:39]
	v_max3_f32 v21, v21, v25, v26
	v_or_b32_e32 v25, 16, v20
	v_or_b32_e32 v26, 17, v20
	v_cmp_gt_i32_e64 s[24:25], s33, v25
	v_cmp_gt_i32_e64 s[26:27], s33, v26
	v_cndmask_b32_e64 v25, v24, v46, s[24:25]
	v_cndmask_b32_e64 v26, v24, v47, s[26:27]
	;; [unrolled: 7-line block ×4, first 2 shown]
	v_max3_f32 v21, v21, v25, v26
	v_or_b32_e32 v25, 34, v20
	v_or_b32_e32 v26, 35, v20
	v_fmac_f32_e32 v39, v50, v28
	v_cmp_gt_i32_e64 s[12:13], s33, v25
	v_cmp_gt_i32_e64 s[14:15], s33, v26
	v_cndmask_b32_e64 v25, v24, v38, s[12:13]
	v_cndmask_b32_e64 v26, v24, v39, s[14:15]
	v_cvt_f32_i32_e32 v27, v27
	v_max3_f32 v21, v21, v25, v26
	v_or_b32_e32 v25, 48, v20
	v_or_b32_e32 v26, 49, v20
	v_cmp_gt_i32_e64 s[8:9], s33, v25
	v_cmp_gt_i32_e64 s[10:11], s33, v26
	v_cndmask_b32_e64 v25, v24, v36, s[8:9]
	v_cndmask_b32_e64 v26, v24, v37, s[10:11]
	v_max3_f32 v21, v21, v25, v26
	v_or_b32_e32 v25, 50, v20
	v_or_b32_e32 v20, 51, v20
	v_fma_f32 v34, v50, v27, v34
	v_cmp_gt_i32_e32 vcc, s33, v25
	v_cmp_gt_i32_e64 s[2:3], s33, v20
	v_cndmask_b32_e32 v25, v24, v34, vcc
	v_cndmask_b32_e64 v20, v24, v35, s[2:3]
	v_max3_f32 v26, v21, v25, v20
	v_mbcnt_lo_u32_b32 v20, -1, 0
	v_mbcnt_hi_u32_b32 v27, -1, v20
	v_and_b32_e32 v20, 64, v27
	v_add_u32_e32 v28, 64, v20
	v_xor_b32_e32 v20, 32, v27
	v_cmp_lt_i32_e64 s[40:41], v20, v28
	v_cndmask_b32_e64 v20, v27, v20, s[40:41]
	v_lshlrev_b32_e32 v56, 2, v20
	ds_bpermute_b32 v29, v56, v26
	s_waitcnt vmcnt(4)
	v_mad_i64_i32 v[20:21], s[40:41], v51, s45, 0
	v_lshlrev_b64 v[20:21], 1, v[20:21]
	global_load_dwordx4 v[30:33], v[22:23], off
	s_nop 0
	global_load_dwordx4 v[22:25], v[22:23], off offset:16
	s_waitcnt lgkmcnt(0)
	v_max_f32_e32 v29, v29, v29
	v_max_f32_e32 v26, v26, v29
	v_xor_b32_e32 v29, 16, v27
	v_cmp_lt_i32_e64 s[40:41], v29, v28
	v_cndmask_b32_e64 v27, v27, v29, s[40:41]
	v_lshlrev_b32_e32 v58, 2, v27
	ds_bpermute_b32 v27, v58, v26
	v_add_co_u32_e64 v20, s[40:41], v55, v20
	v_addc_co_u32_e64 v21, s[40:41], v60, v21, s[40:41]
	s_waitcnt lgkmcnt(0)
	v_max_f32_e32 v27, v27, v27
	v_max_f32_e32 v55, v26, v27
	v_sub_f32_e32 v18, v18, v55
	v_mul_f32_e32 v18, 0x3fb8aa3b, v18
	v_exp_f32_e32 v50, v18
	v_sub_f32_e32 v18, v19, v55
	v_mul_f32_e32 v18, 0x3fb8aa3b, v18
	v_exp_f32_e32 v51, v18
	global_load_dwordx4 v[26:29], v[20:21], off
	s_nop 0
	global_load_dwordx4 v[18:21], v[20:21], off offset:16
	v_sub_f32_e32 v48, v48, v55
	v_mul_f32_e32 v48, 0x3fb8aa3b, v48
	v_sub_f32_e32 v49, v49, v55
	v_exp_f32_e32 v48, v48
	v_mul_f32_e32 v49, 0x3fb8aa3b, v49
	v_sub_f32_e32 v46, v46, v55
	v_exp_f32_e32 v49, v49
	v_mul_f32_e32 v46, 0x3fb8aa3b, v46
	v_sub_f32_e32 v47, v47, v55
	v_cndmask_b32_e64 v50, 0, v50, s[30:31]
	v_exp_f32_e32 v46, v46
	v_mul_f32_e32 v47, 0x3fb8aa3b, v47
	v_sub_f32_e32 v44, v44, v55
	v_add_f32_e32 v57, 0, v50
	v_cndmask_b32_e64 v51, 0, v51, s[34:35]
	v_exp_f32_e32 v47, v47
	v_mul_f32_e32 v44, 0x3fb8aa3b, v44
	v_sub_f32_e32 v45, v45, v55
	v_add_f32_e32 v57, v57, v51
	v_cndmask_b32_e64 v48, 0, v48, s[36:37]
	v_exp_f32_e32 v44, v44
	v_mul_f32_e32 v45, 0x3fb8aa3b, v45
	v_sub_f32_e32 v40, v40, v55
	v_add_f32_e32 v57, v57, v48
	v_cndmask_b32_e64 v49, 0, v49, s[38:39]
	v_exp_f32_e32 v45, v45
	v_mul_f32_e32 v40, 0x3fb8aa3b, v40
	v_sub_f32_e32 v41, v41, v55
	v_add_f32_e32 v57, v57, v49
	v_cndmask_b32_e64 v46, 0, v46, s[24:25]
	v_exp_f32_e32 v40, v40
	v_mul_f32_e32 v41, 0x3fb8aa3b, v41
	v_sub_f32_e32 v38, v38, v55
	v_add_f32_e32 v57, v57, v46
	v_cndmask_b32_e64 v47, 0, v47, s[26:27]
	v_exp_f32_e32 v41, v41
	v_mul_f32_e32 v38, 0x3fb8aa3b, v38
	v_sub_f32_e32 v39, v39, v55
	v_add_f32_e32 v57, v57, v47
	v_cndmask_b32_e64 v44, 0, v44, s[20:21]
	v_exp_f32_e32 v38, v38
	v_mul_f32_e32 v39, 0x3fb8aa3b, v39
	v_sub_f32_e32 v36, v36, v55
	v_add_f32_e32 v57, v57, v44
	v_cndmask_b32_e64 v45, 0, v45, s[22:23]
	v_exp_f32_e32 v39, v39
	v_mul_f32_e32 v36, 0x3fb8aa3b, v36
	v_sub_f32_e32 v37, v37, v55
	v_add_f32_e32 v57, v57, v45
	v_cndmask_b32_e64 v40, 0, v40, s[16:17]
	v_exp_f32_e32 v36, v36
	v_mul_f32_e32 v37, 0x3fb8aa3b, v37
	v_sub_f32_e32 v34, v34, v55
	v_add_f32_e32 v57, v57, v40
	v_cndmask_b32_e64 v41, 0, v41, s[18:19]
	v_exp_f32_e32 v37, v37
	v_mul_f32_e32 v34, 0x3fb8aa3b, v34
	v_sub_f32_e32 v35, v35, v55
	v_add_f32_e32 v57, v57, v41
	v_cndmask_b32_e64 v38, 0, v38, s[12:13]
	v_exp_f32_e32 v34, v34
	v_mul_f32_e32 v35, 0x3fb8aa3b, v35
	v_add_f32_e32 v57, v57, v38
	v_cndmask_b32_e64 v39, 0, v39, s[14:15]
	v_exp_f32_e32 v35, v35
	v_add_f32_e32 v57, v57, v39
	v_cndmask_b32_e64 v36, 0, v36, s[8:9]
	v_add_f32_e32 v57, v57, v36
	v_cndmask_b32_e64 v37, 0, v37, s[10:11]
	v_add_f32_e32 v57, v57, v37
	v_cndmask_b32_e32 v34, 0, v34, vcc
	v_add_f32_e32 v57, v57, v34
	v_cndmask_b32_e64 v35, 0, v35, s[2:3]
	v_add_f32_e32 v57, v57, v35
	ds_bpermute_b32 v56, v56, v57
	s_load_dword s9, s[4:5], 0x98
	v_cmp_gt_u32_e32 vcc, 16, v52
	s_waitcnt lgkmcnt(0)
	s_barrier
	v_add_f32_e32 v57, v57, v56
	ds_bpermute_b32 v58, v58, v57
	v_lshlrev_b32_e32 v56, 2, v54
	s_waitcnt lgkmcnt(0)
	s_and_saveexec_b64 s[2:3], vcc
	s_cbranch_execz .LBB265_17
; %bb.16:
	v_add_f32_e32 v57, v57, v58
	v_lshl_or_b32 v58, v53, 6, v56
	ds_write2st64_b32 v58, v55, v57 offset1:1
.LBB265_17:
	s_or_b64 exec, exec, s[2:3]
	s_load_dword s8, s[4:5], 0x94
	s_waitcnt lgkmcnt(0)
	s_barrier
	ds_read2_b32 v[58:59], v56 offset1:16
	ds_read2_b32 v[60:61], v56 offset0:32 offset1:48
	ds_read2_b32 v[62:63], v56 offset0:64 offset1:80
	s_movk_i32 s10, 0x7fff
	s_mov_b32 s11, 0x7060302
	s_waitcnt lgkmcnt(2)
	v_max3_f32 v55, v58, s42, v59
	s_waitcnt lgkmcnt(1)
	v_max3_f32 v55, v55, v60, v61
	v_sub_f32_e32 v57, v58, v55
	v_sub_f32_e32 v58, v59, v55
	v_mul_f32_e32 v58, 0x3fb8aa3b, v58
	v_mul_f32_e32 v57, 0x3fb8aa3b, v57
	v_exp_f32_e32 v64, v58
	v_sub_f32_e32 v58, v60, v55
	v_exp_f32_e32 v57, v57
	v_mul_f32_e32 v58, 0x3fb8aa3b, v58
	v_exp_f32_e32 v60, v58
	ds_read2_b32 v[58:59], v56 offset0:96 offset1:112
	v_sub_f32_e32 v56, v61, v55
	v_mul_f32_e32 v56, 0x3fb8aa3b, v56
	v_exp_f32_e32 v61, v56
	s_waitcnt lgkmcnt(1)
	v_fma_f32 v56, v57, v62, 0
	v_fmac_f32_e32 v56, v64, v63
	s_waitcnt lgkmcnt(0)
	v_fmac_f32_e32 v56, v60, v58
	v_fmac_f32_e32 v56, v61, v59
	v_add_f32_e32 v58, 0x358637bd, v56
	v_div_scale_f32 v59, s[2:3], v58, v58, 1.0
	v_rcp_f32_e32 v62, v59
	s_lshl_b32 s9, s9, 1
	s_barrier
	v_fma_f32 v63, -v59, v62, 1.0
	v_fmac_f32_e32 v62, v63, v62
	v_div_scale_f32 v63, vcc, 1.0, v58, 1.0
	v_mul_f32_e32 v65, v63, v62
	v_fma_f32 v66, -v59, v65, v63
	v_fmac_f32_e32 v65, v66, v62
	v_fma_f32 v59, -v59, v65, v63
	v_div_fmas_f32 v59, v59, v62, v65
	v_cmp_eq_u32_e32 vcc, 1, v53
	v_cndmask_b32_e32 v57, v57, v64, vcc
	v_cmp_eq_u32_e32 vcc, 2, v53
	v_cndmask_b32_e32 v57, v57, v60, vcc
	v_cmp_eq_u32_e32 vcc, 3, v53
	v_div_fixup_f32 v58, v59, v58, 1.0
	v_cndmask_b32_e32 v57, v57, v61, vcc
	v_mul_f32_e32 v58, v57, v58
	v_pk_mul_f32 v[50:51], v[58:59], v[50:51] op_sel_hi:[0,1]
	v_pk_mul_f32 v[48:49], v[58:59], v[48:49] op_sel_hi:[0,1]
	v_bfe_u32 v57, v51, 16, 1
	v_bfe_u32 v59, v50, 16, 1
	v_add3_u32 v50, v50, v59, s10
	v_add3_u32 v51, v51, v57, s10
	v_perm_b32 v50, v51, v50, s11
	v_bfe_u32 v51, v49, 16, 1
	v_bfe_u32 v57, v48, 16, 1
	v_add3_u32 v48, v48, v57, s10
	v_add3_u32 v49, v49, v51, s10
	v_perm_b32 v51, v49, v48, s11
	v_lshlrev_b32_e32 v48, 3, v1
	v_lshlrev_b32_e32 v49, 5, v54
	;; [unrolled: 1-line block ×3, first 2 shown]
	v_pk_mul_f32 v[46:47], v[58:59], v[46:47] op_sel_hi:[0,1]
	v_or3_b32 v48, v53, v49, v48
	v_bfe_u32 v53, v47, 16, 1
	v_bfe_u32 v54, v46, 16, 1
	v_pk_mul_f32 v[44:45], v[58:59], v[44:45] op_sel_hi:[0,1]
	v_add3_u32 v46, v46, v54, s10
	v_add3_u32 v47, v47, v53, s10
	v_perm_b32 v46, v47, v46, s11
	v_bfe_u32 v47, v45, 16, 1
	v_bfe_u32 v53, v44, 16, 1
	v_add3_u32 v44, v44, v53, s10
	v_add3_u32 v45, v45, v47, s10
	v_pk_mul_f32 v[40:41], v[58:59], v[40:41] op_sel_hi:[0,1]
	v_perm_b32 v47, v45, v44, s11
	v_bfe_u32 v44, v41, 16, 1
	v_bfe_u32 v45, v40, 16, 1
	v_pk_mul_f32 v[38:39], v[58:59], v[38:39] op_sel_hi:[0,1]
	v_add3_u32 v40, v40, v45, s10
	v_add3_u32 v41, v41, v44, s10
	v_perm_b32 v40, v41, v40, s11
	v_bfe_u32 v41, v39, 16, 1
	v_bfe_u32 v44, v38, 16, 1
	v_add3_u32 v38, v38, v44, s10
	v_add3_u32 v39, v39, v41, s10
	v_pk_mul_f32 v[36:37], v[58:59], v[36:37] op_sel_hi:[0,1]
	v_perm_b32 v41, v39, v38, s11
	v_bfe_u32 v38, v37, 16, 1
	v_bfe_u32 v39, v36, 16, 1
	v_pk_mul_f32 v[34:35], v[58:59], v[34:35] op_sel_hi:[0,1]
	v_add3_u32 v36, v36, v39, s10
	v_add3_u32 v37, v37, v38, s10
	v_perm_b32 v36, v37, v36, s11
	v_bfe_u32 v37, v35, 16, 1
	v_bfe_u32 v38, v34, 16, 1
	v_add3_u32 v34, v34, v38, s10
	v_add3_u32 v35, v35, v37, s10
	v_perm_b32 v37, v35, v34, s11
	v_cmp_gt_u32_e32 vcc, 2, v0
	ds_write2st64_b64 v48, v[50:51], v[46:47] offset1:1
	ds_write2st64_b64 v48, v[40:41], v[36:37] offset0:2 offset1:3
	s_and_saveexec_b64 s[2:3], vcc
	s_cbranch_execz .LBB265_19
; %bb.18:
	v_or_b32_e32 v34, s29, v0
	v_mov_b32_e32 v35, 0
	v_mov_b32_e32 v36, s9
	v_mad_u64_u32 v[36:37], s[16:17], s6, v36, v[34:35]
	v_mov_b32_e32 v34, s28
	s_load_dwordx4 s[12:15], s[4:5], 0x58
	s_mul_i32 s7, s7, s9
	v_mad_u64_u32 v[34:35], s[16:17], v36, s8, v[34:35]
	v_add_u32_e32 v37, s7, v37
	v_mov_b32_e32 v36, v35
	v_mad_u64_u32 v[36:37], s[16:17], v37, s8, v[36:37]
	v_mov_b32_e32 v35, v36
	v_lshlrev_b64 v[34:35], 2, v[34:35]
	s_waitcnt lgkmcnt(0)
	v_mov_b32_e32 v37, s15
	v_add_co_u32_e32 v36, vcc, s14, v34
	v_addc_co_u32_e32 v37, vcc, v37, v35, vcc
	global_store_dword v[36:37], v55, off
	v_mov_b32_e32 v36, s13
	v_add_co_u32_e32 v34, vcc, s12, v34
	v_addc_co_u32_e32 v35, vcc, v36, v35, vcc
	global_store_dword v[34:35], v56, off
.LBB265_19:
	s_or_b64 exec, exec, s[2:3]
	v_lshl_or_b32 v49, v1, 9, v49
	s_waitcnt lgkmcnt(0)
	s_barrier
	ds_read_b128 v[34:37], v49
	ds_read_b128 v[38:41], v49 offset:16
	s_waitcnt vmcnt(7) lgkmcnt(1)
	v_mfma_f32_16x16x16bf16_1k v[44:47], v[14:15], v[34:35], 0
	v_cmp_gt_u32_e32 vcc, 64, v0
	v_cmp_gt_u32_e64 s[2:3], 32, v52
	s_and_b64 s[2:3], s[2:3], vcc
	s_mov_b32 s7, 0
	s_and_b64 s[0:1], s[2:3], s[0:1]
	v_mfma_f32_16x16x16bf16_1k v[14:17], v[16:17], v[36:37], v[44:47]
	s_waitcnt vmcnt(6) lgkmcnt(0)
	v_mfma_f32_16x16x16bf16_1k v[14:17], v[10:11], v[38:39], v[14:17]
	v_mfma_f32_16x16x16bf16_1k v[10:13], v[12:13], v[40:41], v[14:17]
	s_nop 7
	s_nop 1
	ds_read_b128 v[14:17], v49 offset:2048
	ds_read_b128 v[34:37], v49 offset:2064
	s_waitcnt vmcnt(5) lgkmcnt(1)
	v_mfma_f32_16x16x16bf16_1k v[10:13], v[6:7], v[14:15], v[10:13]
	v_mfma_f32_16x16x16bf16_1k v[6:9], v[8:9], v[16:17], v[10:13]
	s_waitcnt vmcnt(4) lgkmcnt(0)
	v_mfma_f32_16x16x16bf16_1k v[6:9], v[2:3], v[34:35], v[6:9]
	v_mfma_f32_16x16x16bf16_1k v[2:5], v[4:5], v[36:37], v[6:9]
	s_nop 7
	s_nop 1
	ds_read_b128 v[6:9], v49 offset:4096
	ds_read_b128 v[10:13], v49 offset:4112
	s_waitcnt vmcnt(3) lgkmcnt(1)
	v_mfma_f32_16x16x16bf16_1k v[2:5], v[30:31], v[6:7], v[2:5]
	v_mfma_f32_16x16x16bf16_1k v[2:5], v[32:33], v[8:9], v[2:5]
	s_waitcnt vmcnt(2) lgkmcnt(0)
	v_mfma_f32_16x16x16bf16_1k v[2:5], v[22:23], v[10:11], v[2:5]
	v_mfma_f32_16x16x16bf16_1k v[2:5], v[24:25], v[12:13], v[2:5]
	ds_read_b128 v[6:9], v49 offset:6144
	ds_read_b128 v[10:13], v49 offset:6160
	s_waitcnt lgkmcnt(0)
	s_barrier
	s_waitcnt vmcnt(1)
	v_mfma_f32_16x16x16bf16_1k v[2:5], v[26:27], v[6:7], v[2:5]
	v_mfma_f32_16x16x16bf16_1k v[2:5], v[28:29], v[8:9], v[2:5]
	s_waitcnt vmcnt(0)
	v_mfma_f32_16x16x16bf16_1k v[2:5], v[18:19], v[10:11], v[2:5]
	v_mfma_f32_16x16x16bf16_1k v[2:5], v[20:21], v[12:13], v[2:5]
	s_nop 7
	s_nop 2
	v_bfe_u32 v6, v3, 16, 1
	v_bfe_u32 v7, v2, 16, 1
	;; [unrolled: 1-line block ×4, first 2 shown]
	v_add3_u32 v2, v2, v7, s10
	v_add3_u32 v3, v3, v6, s10
	;; [unrolled: 1-line block ×4, first 2 shown]
	v_perm_b32 v2, v3, v2, s11
	v_perm_b32 v3, v5, v4, s11
	ds_write_b64 v48, v[2:3]
	s_waitcnt lgkmcnt(0)
	s_barrier
	s_and_saveexec_b64 s[2:3], s[0:1]
	s_cbranch_execz .LBB265_21
; %bb.20:
	s_load_dwordx2 s[0:1], s[4:5], 0x68
	s_mul_i32 s2, s9, s6
	s_lshl_b32 s4, s8, 6
	s_mul_hi_u32 s3, s2, s4
	s_mul_i32 s2, s2, s4
	s_lshl_b64 s[2:3], s[2:3], 1
	v_lshlrev_b32_e32 v2, 10, v0
	v_lshlrev_b32_e32 v0, 4, v0
	s_waitcnt lgkmcnt(0)
	s_add_u32 s2, s0, s2
	v_and_b32_e32 v2, 0x1800, v2
	v_lshlrev_b32_e32 v3, 5, v1
	v_and_b32_e32 v0, 16, v0
	s_addc_u32 s3, s1, s3
	s_lshl_b32 s6, s28, 6
	v_or3_b32 v0, v2, v3, v0
	s_lshl_b64 s[0:1], s[6:7], 1
	ds_read_b128 v[2:5], v0
	s_add_u32 s2, s2, s0
	v_or_b32_e32 v0, s29, v1
	s_addc_u32 s3, s3, s1
	v_mad_u64_u32 v[0:1], s[0:1], s4, v0, 0
	v_lshlrev_b64 v[0:1], 1, v[0:1]
	v_mov_b32_e32 v6, s3
	v_add_co_u32_e32 v0, vcc, s2, v0
	v_addc_co_u32_e32 v1, vcc, v6, v1, vcc
	v_add_co_u32_e32 v0, vcc, v0, v42
	v_addc_co_u32_e32 v1, vcc, v1, v43, vcc
	s_waitcnt lgkmcnt(0)
	global_store_dwordx4 v[0:1], v[2:5], off
.LBB265_21:
	s_endpgm
	.section	.rodata,"a",@progbits
	.p2align	6, 0x0
	.amdhsa_kernel _Z39paged_attention_ll4mi_QKV_mfma16_kernelI14__hip_bfloat16S0_LN4vllm18Fp8KVCacheDataTypeE0ES0_Li32ELi64ELi256ELb1ELi2EL8MFMAType0EEvPKT_PKT0_S9_ifPKiSB_SB_iPKfiiiPfSE_PS4_PT2_iSD_SD_
		.amdhsa_group_segment_fixed_size 8192
		.amdhsa_private_segment_fixed_size 0
		.amdhsa_kernarg_size 400
		.amdhsa_user_sgpr_count 6
		.amdhsa_user_sgpr_private_segment_buffer 1
		.amdhsa_user_sgpr_dispatch_ptr 0
		.amdhsa_user_sgpr_queue_ptr 0
		.amdhsa_user_sgpr_kernarg_segment_ptr 1
		.amdhsa_user_sgpr_dispatch_id 0
		.amdhsa_user_sgpr_flat_scratch_init 0
		.amdhsa_user_sgpr_kernarg_preload_length 0
		.amdhsa_user_sgpr_kernarg_preload_offset 0
		.amdhsa_user_sgpr_private_segment_size 0
		.amdhsa_uses_dynamic_stack 0
		.amdhsa_system_sgpr_private_segment_wavefront_offset 0
		.amdhsa_system_sgpr_workgroup_id_x 1
		.amdhsa_system_sgpr_workgroup_id_y 1
		.amdhsa_system_sgpr_workgroup_id_z 1
		.amdhsa_system_sgpr_workgroup_info 0
		.amdhsa_system_vgpr_workitem_id 0
		.amdhsa_next_free_vgpr 67
		.amdhsa_next_free_sgpr 48
		.amdhsa_accum_offset 68
		.amdhsa_reserve_vcc 1
		.amdhsa_reserve_flat_scratch 0
		.amdhsa_float_round_mode_32 0
		.amdhsa_float_round_mode_16_64 0
		.amdhsa_float_denorm_mode_32 3
		.amdhsa_float_denorm_mode_16_64 3
		.amdhsa_dx10_clamp 1
		.amdhsa_ieee_mode 1
		.amdhsa_fp16_overflow 0
		.amdhsa_tg_split 0
		.amdhsa_exception_fp_ieee_invalid_op 0
		.amdhsa_exception_fp_denorm_src 0
		.amdhsa_exception_fp_ieee_div_zero 0
		.amdhsa_exception_fp_ieee_overflow 0
		.amdhsa_exception_fp_ieee_underflow 0
		.amdhsa_exception_fp_ieee_inexact 0
		.amdhsa_exception_int_div_zero 0
	.end_amdhsa_kernel
	.section	.text._Z39paged_attention_ll4mi_QKV_mfma16_kernelI14__hip_bfloat16S0_LN4vllm18Fp8KVCacheDataTypeE0ES0_Li32ELi64ELi256ELb1ELi2EL8MFMAType0EEvPKT_PKT0_S9_ifPKiSB_SB_iPKfiiiPfSE_PS4_PT2_iSD_SD_,"axG",@progbits,_Z39paged_attention_ll4mi_QKV_mfma16_kernelI14__hip_bfloat16S0_LN4vllm18Fp8KVCacheDataTypeE0ES0_Li32ELi64ELi256ELb1ELi2EL8MFMAType0EEvPKT_PKT0_S9_ifPKiSB_SB_iPKfiiiPfSE_PS4_PT2_iSD_SD_,comdat
.Lfunc_end265:
	.size	_Z39paged_attention_ll4mi_QKV_mfma16_kernelI14__hip_bfloat16S0_LN4vllm18Fp8KVCacheDataTypeE0ES0_Li32ELi64ELi256ELb1ELi2EL8MFMAType0EEvPKT_PKT0_S9_ifPKiSB_SB_iPKfiiiPfSE_PS4_PT2_iSD_SD_, .Lfunc_end265-_Z39paged_attention_ll4mi_QKV_mfma16_kernelI14__hip_bfloat16S0_LN4vllm18Fp8KVCacheDataTypeE0ES0_Li32ELi64ELi256ELb1ELi2EL8MFMAType0EEvPKT_PKT0_S9_ifPKiSB_SB_iPKfiiiPfSE_PS4_PT2_iSD_SD_
                                        ; -- End function
	.section	.AMDGPU.csdata,"",@progbits
; Kernel info:
; codeLenInByte = 4560
; NumSgprs: 52
; NumVgprs: 67
; NumAgprs: 0
; TotalNumVgprs: 67
; ScratchSize: 0
; MemoryBound: 0
; FloatMode: 240
; IeeeMode: 1
; LDSByteSize: 8192 bytes/workgroup (compile time only)
; SGPRBlocks: 6
; VGPRBlocks: 8
; NumSGPRsForWavesPerEU: 52
; NumVGPRsForWavesPerEU: 67
; AccumOffset: 68
; Occupancy: 7
; WaveLimiterHint : 1
; COMPUTE_PGM_RSRC2:SCRATCH_EN: 0
; COMPUTE_PGM_RSRC2:USER_SGPR: 6
; COMPUTE_PGM_RSRC2:TRAP_HANDLER: 0
; COMPUTE_PGM_RSRC2:TGID_X_EN: 1
; COMPUTE_PGM_RSRC2:TGID_Y_EN: 1
; COMPUTE_PGM_RSRC2:TGID_Z_EN: 1
; COMPUTE_PGM_RSRC2:TIDIG_COMP_CNT: 0
; COMPUTE_PGM_RSRC3_GFX90A:ACCUM_OFFSET: 16
; COMPUTE_PGM_RSRC3_GFX90A:TG_SPLIT: 0
	.section	.text._Z39paged_attention_ll4mi_QKV_mfma16_kernelI14__hip_bfloat16S0_LN4vllm18Fp8KVCacheDataTypeE0ES0_Li32ELi64ELi256ELb1ELi3EL8MFMAType0EEvPKT_PKT0_S9_ifPKiSB_SB_iPKfiiiPfSE_PS4_PT2_iSD_SD_,"axG",@progbits,_Z39paged_attention_ll4mi_QKV_mfma16_kernelI14__hip_bfloat16S0_LN4vllm18Fp8KVCacheDataTypeE0ES0_Li32ELi64ELi256ELb1ELi3EL8MFMAType0EEvPKT_PKT0_S9_ifPKiSB_SB_iPKfiiiPfSE_PS4_PT2_iSD_SD_,comdat
	.protected	_Z39paged_attention_ll4mi_QKV_mfma16_kernelI14__hip_bfloat16S0_LN4vllm18Fp8KVCacheDataTypeE0ES0_Li32ELi64ELi256ELb1ELi3EL8MFMAType0EEvPKT_PKT0_S9_ifPKiSB_SB_iPKfiiiPfSE_PS4_PT2_iSD_SD_ ; -- Begin function _Z39paged_attention_ll4mi_QKV_mfma16_kernelI14__hip_bfloat16S0_LN4vllm18Fp8KVCacheDataTypeE0ES0_Li32ELi64ELi256ELb1ELi3EL8MFMAType0EEvPKT_PKT0_S9_ifPKiSB_SB_iPKfiiiPfSE_PS4_PT2_iSD_SD_
	.globl	_Z39paged_attention_ll4mi_QKV_mfma16_kernelI14__hip_bfloat16S0_LN4vllm18Fp8KVCacheDataTypeE0ES0_Li32ELi64ELi256ELb1ELi3EL8MFMAType0EEvPKT_PKT0_S9_ifPKiSB_SB_iPKfiiiPfSE_PS4_PT2_iSD_SD_
	.p2align	8
	.type	_Z39paged_attention_ll4mi_QKV_mfma16_kernelI14__hip_bfloat16S0_LN4vllm18Fp8KVCacheDataTypeE0ES0_Li32ELi64ELi256ELb1ELi3EL8MFMAType0EEvPKT_PKT0_S9_ifPKiSB_SB_iPKfiiiPfSE_PS4_PT2_iSD_SD_,@function
_Z39paged_attention_ll4mi_QKV_mfma16_kernelI14__hip_bfloat16S0_LN4vllm18Fp8KVCacheDataTypeE0ES0_Li32ELi64ELi256ELb1ELi3EL8MFMAType0EEvPKT_PKT0_S9_ifPKiSB_SB_iPKfiiiPfSE_PS4_PT2_iSD_SD_: ; @_Z39paged_attention_ll4mi_QKV_mfma16_kernelI14__hip_bfloat16S0_LN4vllm18Fp8KVCacheDataTypeE0ES0_Li32ELi64ELi256ELb1ELi3EL8MFMAType0EEvPKT_PKT0_S9_ifPKiSB_SB_iPKfiiiPfSE_PS4_PT2_iSD_SD_
; %bb.0:
	s_load_dwordx2 s[0:1], s[4:5], 0x30
	s_mov_b32 s28, s7
	s_mov_b64 s[10:11], 0
	s_waitcnt lgkmcnt(0)
	s_cmp_lg_u64 s[0:1], 0
	s_cselect_b64 s[2:3], -1, 0
	s_and_b64 vcc, exec, s[2:3]
	s_cbranch_vccz .LBB266_7
; %bb.1:
	s_add_i32 s12, s6, 1
	s_mov_b32 s13, 0
	s_lshl_b64 s[14:15], s[12:13], 2
	s_add_u32 s14, s0, s14
	s_mov_b32 s7, s13
	s_addc_u32 s15, s1, s15
	s_lshl_b64 s[12:13], s[6:7], 2
	s_add_u32 s12, s0, s12
	s_addc_u32 s13, s1, s13
	s_load_dword s9, s[14:15], 0x0
	s_load_dword s16, s[12:13], 0x0
	s_waitcnt lgkmcnt(0)
	s_sub_i32 s9, s9, s16
	s_cmp_eq_u32 s9, 1
	s_cselect_b64 s[12:13], -1, 0
	s_andn2_b64 vcc, exec, s[10:11]
	s_cbranch_vccnz .LBB266_3
.LBB266_2:
	s_mov_b32 s7, 0
	s_mov_b64 s[12:13], -1
.LBB266_3:
	s_andn2_b64 vcc, exec, s[12:13]
	s_cbranch_vccnz .LBB266_21
; %bb.4:
	s_load_dwordx2 s[12:13], s[4:5], 0x28
	s_lshl_b64 s[10:11], s[6:7], 2
	s_waitcnt lgkmcnt(0)
	s_add_u32 s12, s12, s10
	s_addc_u32 s13, s13, s11
	s_load_dword s33, s[12:13], 0x0
	s_lshl_b32 s14, s28, 8
	s_waitcnt lgkmcnt(0)
	s_cmp_ge_i32 s14, s33
	s_cbranch_scc1 .LBB266_21
; %bb.5:
	s_add_i32 s15, s33, 31
	s_load_dwordx2 s[12:13], s[4:5], 0x20
	s_load_dword s9, s[4:5], 0x38
	s_ashr_i32 s16, s15, 31
	v_and_b32_e32 v1, 0xcf, v0
	s_lshr_b32 s16, s16, 27
	v_add_u32_e32 v1, s14, v1
	s_add_i32 s15, s15, s16
	v_ashrrev_i32_e32 v2, 31, v1
	s_ashr_i32 s17, s15, 5
	v_lshrrev_b32_e32 v6, 27, v2
	s_add_i32 s17, s17, -1
	v_add_u32_e32 v2, v1, v6
	s_waitcnt lgkmcnt(0)
	s_mul_i32 s18, s6, s9
	s_mov_b32 s19, 0
	v_ashrrev_i32_e32 v2, 5, v2
	v_mov_b32_e32 v7, s17
	v_cmp_gt_i32_e32 vcc, s33, v1
	s_lshl_b64 s[18:19], s[18:19], 2
	v_cndmask_b32_e32 v2, v7, v2, vcc
	s_add_u32 s15, s12, s18
	v_ashrrev_i32_e32 v3, 31, v2
	s_addc_u32 s16, s13, s19
	v_lshlrev_b64 v[2:3], 2, v[2:3]
	v_mov_b32_e32 v4, s16
	v_add_co_u32_e32 v2, vcc, s15, v2
	v_addc_co_u32_e32 v3, vcc, v4, v3, vcc
	v_or_b32_e32 v4, 16, v1
	v_add_u32_e32 v5, v4, v6
	v_ashrrev_i32_e32 v5, 5, v5
	v_cmp_gt_i32_e32 vcc, s33, v4
	v_cndmask_b32_e32 v4, v7, v5, vcc
	v_ashrrev_i32_e32 v5, 31, v4
	v_lshlrev_b64 v[4:5], 2, v[4:5]
	v_mov_b32_e32 v9, s16
	v_add_co_u32_e32 v8, vcc, s15, v4
	v_or_b32_e32 v4, 32, v1
	v_addc_co_u32_e32 v9, vcc, v9, v5, vcc
	v_add_u32_e32 v5, v4, v6
	v_ashrrev_i32_e32 v5, 5, v5
	v_cmp_gt_i32_e32 vcc, s33, v4
	v_cndmask_b32_e32 v4, v7, v5, vcc
	v_ashrrev_i32_e32 v5, 31, v4
	v_lshlrev_b64 v[4:5], 2, v[4:5]
	v_mov_b32_e32 v11, s16
	v_add_co_u32_e32 v10, vcc, s15, v4
	v_or_b32_e32 v1, 48, v1
	v_addc_co_u32_e32 v11, vcc, v11, v5, vcc
	v_add_u32_e32 v4, v1, v6
	v_ashrrev_i32_e32 v4, 5, v4
	v_cmp_gt_i32_e32 vcc, s33, v1
	v_cndmask_b32_e32 v4, v7, v4, vcc
	v_ashrrev_i32_e32 v5, 31, v4
	v_lshlrev_b64 v[4:5], 2, v[4:5]
	v_mov_b32_e32 v1, s16
	v_add_co_u32_e32 v12, vcc, s15, v4
	v_addc_co_u32_e32 v13, vcc, v1, v5, vcc
	global_load_dword v7, v[2:3], off
	global_load_dword v6, v[8:9], off
	;; [unrolled: 1-line block ×4, first 2 shown]
	s_andn2_b64 vcc, exec, s[2:3]
	s_cbranch_vccnz .LBB266_8
; %bb.6:
	s_add_u32 s0, s0, s10
	s_addc_u32 s1, s1, s11
	s_load_dword s9, s[0:1], 0x0
	s_branch .LBB266_9
.LBB266_7:
	s_mov_b64 s[12:13], 0
	s_branch .LBB266_2
.LBB266_8:
	s_mov_b32 s9, s6
.LBB266_9:
	s_load_dwordx2 s[10:11], s[4:5], 0x8
	s_load_dwordx4 s[44:47], s[4:5], 0x48
	v_lshrrev_b32_e32 v54, 6, v0
	v_bfe_u32 v1, v0, 4, 2
	v_lshl_or_b32 v8, v54, 2, v1
	v_and_b32_e32 v53, 15, v0
	v_cmp_lt_u32_e32 vcc, 2, v8
	v_cmp_lt_u32_e64 s[2:3], 7, v53
	s_mul_i32 s29, s8, 3
	v_lshlrev_b32_e32 v2, 3, v53
	v_cmp_gt_u32_e64 s[0:1], 8, v53
	s_or_b64 s[2:3], s[2:3], vcc
	s_and_saveexec_b64 s[12:13], s[2:3]
	s_xor_b64 s[2:3], exec, s[12:13]
; %bb.10:
	v_mov_b32_e32 v3, 0
                                        ; implicit-def: $vgpr8
; %bb.11:
	s_or_saveexec_b64 s[12:13], s[2:3]
	s_load_dwordx2 s[2:3], s[4:5], 0x10
	v_add_u32_e32 v52, s29, v1
	s_xor_b64 exec, exec, s[12:13]
	s_cbranch_execz .LBB266_13
; %bb.12:
	s_load_dwordx2 s[18:19], s[4:5], 0x0
	s_waitcnt lgkmcnt(0)
	s_ashr_i32 s20, s44, 31
	s_mul_hi_u32 s21, s9, s44
	s_mul_i32 s20, s9, s20
	s_add_i32 s21, s21, s20
	s_mul_i32 s20, s9, s44
	s_lshl_b64 s[20:21], s[20:21], 1
	v_lshlrev_b32_e32 v10, 6, v52
	s_add_u32 s9, s18, s20
	v_ashrrev_i32_e32 v11, 31, v10
	s_addc_u32 s18, s19, s21
	v_lshlrev_b64 v[10:11], 1, v[10:11]
	v_mov_b32_e32 v3, s18
	v_add_co_u32_e32 v9, vcc, s9, v10
	v_addc_co_u32_e32 v3, vcc, v3, v11, vcc
	v_lshlrev_b32_e32 v10, 1, v2
	v_add_co_u32_e32 v10, vcc, v9, v10
	v_addc_co_u32_e32 v11, vcc, 0, v3, vcc
	global_load_dwordx4 v[10:13], v[10:11], off
	v_and_b32_e32 v9, 3, v0
	v_lshlrev_b32_e32 v14, 9, v53
	v_lshlrev_b32_e32 v8, 5, v8
	;; [unrolled: 1-line block ×3, first 2 shown]
	v_and_b32_e32 v14, 0x1800, v14
	v_mov_b32_e32 v3, 0
	v_or3_b32 v8, v14, v9, v8
	s_waitcnt vmcnt(0)
	ds_write_b128 v8, v[10:13]
.LBB266_13:
	s_or_b64 exec, exec, s[12:13]
	s_waitcnt lgkmcnt(0)
	s_mul_i32 s8, s8, s46
	s_mov_b32 s9, 0
	s_lshl_b64 s[8:9], s[8:9], 1
	s_add_u32 s12, s10, s8
	s_addc_u32 s13, s11, s9
	s_waitcnt vmcnt(3)
	v_mad_i64_i32 v[8:9], s[10:11], v7, s45, 0
	v_lshlrev_b64 v[8:9], 1, v[8:9]
	v_mov_b32_e32 v7, s13
	v_add_co_u32_e32 v8, vcc, s12, v8
	v_addc_co_u32_e32 v7, vcc, v7, v9, vcc
	v_lshlrev_b64 v[42:43], 1, v[2:3]
	v_add_co_u32_e32 v2, vcc, v8, v42
	v_lshlrev_b32_e32 v24, 9, v1
	v_addc_co_u32_e32 v3, vcc, v7, v43, vcc
	v_add_co_u32_e32 v2, vcc, v2, v24
	v_addc_co_u32_e32 v3, vcc, 0, v3, vcc
	s_barrier
	global_load_dwordx4 v[38:41], v[2:3], off
	global_load_dwordx4 v[34:37], v[2:3], off offset:2048
	s_waitcnt vmcnt(4)
	v_mad_i64_i32 v[2:3], s[10:11], v6, s45, 0
	v_lshlrev_b64 v[2:3], 1, v[2:3]
	v_mov_b32_e32 v6, s13
	v_add_co_u32_e32 v2, vcc, s12, v2
	v_addc_co_u32_e32 v3, vcc, v6, v3, vcc
	v_mov_b32_e32 v6, 0x100
	v_lshl_or_b32 v18, v53, 4, v6
	v_add_co_u32_e32 v2, vcc, v2, v18
	v_addc_co_u32_e32 v3, vcc, 0, v3, vcc
	v_add_co_u32_e32 v2, vcc, v2, v24
	v_addc_co_u32_e32 v3, vcc, 0, v3, vcc
	global_load_dwordx4 v[30:33], v[2:3], off
	global_load_dwordx4 v[14:17], v[2:3], off offset:2048
	s_waitcnt vmcnt(5)
	v_mad_i64_i32 v[2:3], s[10:11], v5, s45, 0
	v_lshlrev_b64 v[2:3], 1, v[2:3]
	v_mov_b32_e32 v5, s13
	v_add_co_u32_e32 v2, vcc, s12, v2
	v_addc_co_u32_e32 v3, vcc, v5, v3, vcc
	v_add_co_u32_e32 v2, vcc, v2, v42
	v_addc_co_u32_e32 v3, vcc, v3, v43, vcc
	;; [unrolled: 2-line block ×3, first 2 shown]
	global_load_dwordx4 v[10:13], v[2:3], off
	global_load_dwordx4 v[6:9], v[2:3], off offset:2048
	s_waitcnt vmcnt(6)
	v_mad_i64_i32 v[2:3], s[10:11], v4, s45, 0
	v_lshlrev_b64 v[2:3], 1, v[2:3]
	v_mov_b32_e32 v4, s13
	v_add_co_u32_e32 v2, vcc, s12, v2
	v_addc_co_u32_e32 v3, vcc, v4, v3, vcc
	v_add_co_u32_e32 v2, vcc, v2, v18
	v_addc_co_u32_e32 v3, vcc, 0, v3, vcc
	;; [unrolled: 2-line block ×3, first 2 shown]
	global_load_dwordx4 v[2:5], v[22:23], off
	global_load_dwordx4 v[18:21], v[22:23], off offset:2048
	v_mul_lo_u16_e32 v22, 0x56, v53
	v_mov_b32_e32 v23, 3
	v_mul_lo_u16_sdwa v22, v22, v23 dst_sel:DWORD dst_unused:UNUSED_PAD src0_sel:BYTE_1 src1_sel:DWORD
	v_sub_u16_e32 v22, v53, v22
	v_and_b32_e32 v22, 0xff, v22
	v_lshl_add_u32 v22, v22, 5, v24
	ds_read_b128 v[26:29], v22
	ds_read_b128 v[22:25], v22 offset:2048
	v_and_b32_e32 v55, 63, v0
	v_cmp_gt_u32_e32 vcc, 3, v53
	v_mov_b32_e32 v50, 0
	s_and_saveexec_b64 s[10:11], vcc
	s_cbranch_execz .LBB266_15
; %bb.14:
	s_load_dwordx2 s[12:13], s[4:5], 0x40
	v_add_u32_e32 v44, s29, v53
	v_ashrrev_i32_e32 v45, 31, v44
	v_lshlrev_b64 v[44:45], 2, v[44:45]
	s_waitcnt lgkmcnt(0)
	v_mov_b32_e32 v46, s13
	v_add_co_u32_e32 v44, vcc, s12, v44
	v_addc_co_u32_e32 v45, vcc, v46, v45, vcc
	global_load_dword v50, v[44:45], off
.LBB266_15:
	s_or_b64 exec, exec, s[10:11]
	s_waitcnt vmcnt(7) lgkmcnt(1)
	v_mfma_f32_16x16x16bf16_1k v[44:47], v[38:39], v[26:27], 0
	s_ashr_i32 s10, s14, 31
	s_lshr_b32 s11, s10, 27
	v_mov_b32_e32 v49, s16
	s_add_u32 s2, s2, s8
	s_addc_u32 s3, s3, s9
	s_load_dword s10, s[4:5], 0x1c
	s_mov_b32 s42, 0xff7fffff
	v_mfma_f32_16x16x16bf16_1k v[38:41], v[40:41], v[28:29], v[44:47]
	s_waitcnt vmcnt(6) lgkmcnt(0)
	v_mfma_f32_16x16x16bf16_1k v[38:41], v[34:35], v[22:23], v[38:41]
	s_nop 4
	v_and_or_b32 v46, v0, 48, s14
	v_add_u32_e32 v34, s11, v46
	v_ashrrev_i32_e32 v34, 5, v34
	v_mov_b32_e32 v47, s17
	v_cmp_gt_i32_e32 vcc, s33, v46
	v_cndmask_b32_e32 v34, v47, v34, vcc
	v_ashrrev_i32_e32 v35, 31, v34
	v_lshlrev_b64 v[44:45], 2, v[34:35]
	v_mfma_f32_16x16x16bf16_1k v[34:37], v[36:37], v[24:25], v[38:41]
	s_nop 6
	v_mov_b32_e32 v39, s16
	v_add_co_u32_e32 v38, vcc, s15, v44
	v_addc_co_u32_e32 v39, vcc, v39, v45, vcc
	global_load_dword v48, v[38:39], off
	s_waitcnt vmcnt(6)
	v_mfma_f32_16x16x16bf16_1k v[38:41], v[30:31], v[26:27], 0
	v_or_b32_e32 v44, 64, v46
	v_add_u32_e32 v30, s11, v44
	v_ashrrev_i32_e32 v30, 5, v30
	v_cmp_gt_i32_e32 vcc, s33, v44
	v_cndmask_b32_e32 v30, v47, v30, vcc
	v_ashrrev_i32_e32 v31, 31, v30
	v_lshlrev_b64 v[44:45], 2, v[30:31]
	v_mfma_f32_16x16x16bf16_1k v[30:33], v[32:33], v[28:29], v[38:41]
	s_nop 6
	v_add_co_u32_e32 v38, vcc, s15, v44
	v_addc_co_u32_e32 v39, vcc, v49, v45, vcc
	global_load_dword v40, v[38:39], off
	v_or_b32_e32 v38, 0x80, v46
	v_add_u32_e32 v39, s11, v38
	v_ashrrev_i32_e32 v39, 5, v39
	v_cmp_gt_i32_e32 vcc, s33, v38
	v_cndmask_b32_e32 v38, v47, v39, vcc
	v_ashrrev_i32_e32 v39, 31, v38
	s_waitcnt vmcnt(6)
	v_mfma_f32_16x16x16bf16_1k v[30:33], v[14:15], v[22:23], v[30:33]
	v_lshlrev_b64 v[14:15], 2, v[38:39]
	v_mov_b32_e32 v38, s16
	v_add_co_u32_e32 v14, vcc, s15, v14
	v_addc_co_u32_e32 v15, vcc, v38, v15, vcc
	global_load_dword v41, v[14:15], off
	v_mfma_f32_16x16x16bf16_1k v[30:33], v[16:17], v[24:25], v[30:33]
	v_or_b32_e32 v38, 0xc0, v46
	v_cmp_gt_i32_e32 vcc, s33, v38
	v_mov_b32_e32 v44, s16
	s_waitcnt vmcnt(6)
	v_mfma_f32_16x16x16bf16_1k v[14:17], v[10:11], v[26:27], 0
	v_add_u32_e32 v10, s11, v38
	v_ashrrev_i32_e32 v10, 5, v10
	v_cndmask_b32_e32 v10, v47, v10, vcc
	v_ashrrev_i32_e32 v11, 31, v10
	v_lshlrev_b64 v[38:39], 2, v[10:11]
	s_nop 0
	v_pk_mul_f32 v[46:47], s[10:11], v[30:31] op_sel_hi:[0,1]
	v_mfma_f32_16x16x16bf16_1k v[10:13], v[12:13], v[28:29], v[14:17]
	s_nop 6
	v_add_co_u32_e32 v14, vcc, s15, v38
	s_waitcnt vmcnt(5)
	v_mfma_f32_16x16x16bf16_1k v[10:13], v[6:7], v[22:23], v[10:13]
	v_addc_co_u32_e32 v15, vcc, v44, v39, vcc
	global_load_dword v51, v[14:15], off
	v_and_b32_e32 v14, 16, v0
	v_lshlrev_b32_e32 v14, 1, v14
	v_mov_b32_e32 v6, s3
	v_add_co_u32_e32 v7, vcc, s2, v14
	v_lshlrev_b32_e32 v14, 6, v53
	v_addc_co_u32_e32 v6, vcc, 0, v6, vcc
	v_lshl_or_b32 v14, v54, 10, v14
	v_add_co_u32_e32 v60, vcc, v7, v14
	v_addc_co_u32_e32 v61, vcc, 0, v6, vcc
	v_mfma_f32_16x16x16bf16_1k v[56:59], v[8:9], v[24:25], v[10:13]
	s_waitcnt vmcnt(3)
	v_mad_i64_i32 v[6:7], s[2:3], v48, s45, 0
	v_pk_mul_f32 v[48:49], s[10:11], v[36:37] op_sel_hi:[0,1]
	v_pk_mul_f32 v[44:45], s[10:11], v[32:33] op_sel_hi:[0,1]
	s_waitcnt vmcnt(1)
	v_mad_i64_i32 v[38:39], s[2:3], v41, s45, 0
	s_nop 0
	v_lshlrev_b64 v[10:11], 1, v[6:7]
	v_mfma_f32_16x16x16bf16_1k v[6:9], v[2:3], v[26:27], 0
	v_add_co_u32_e32 v2, vcc, v60, v10
	v_addc_co_u32_e32 v3, vcc, v61, v11, vcc
	global_load_dwordx4 v[14:17], v[2:3], off
	global_load_dwordx4 v[10:13], v[2:3], off offset:16
	v_mad_i64_i32 v[2:3], s[2:3], v40, s45, 0
	v_mfma_f32_16x16x16bf16_1k v[26:29], v[4:5], v[28:29], v[6:9]
	v_lshlrev_b64 v[2:3], 1, v[2:3]
	v_add_co_u32_e32 v2, vcc, v60, v2
	v_addc_co_u32_e32 v3, vcc, v61, v3, vcc
	v_lshlrev_b64 v[38:39], 1, v[38:39]
	v_pk_mul_f32 v[40:41], s[10:11], v[56:57] op_sel_hi:[0,1]
	v_mfma_f32_16x16x16bf16_1k v[26:29], v[18:19], v[22:23], v[26:29]
	v_pk_mul_f32 v[18:19], s[10:11], v[34:35] op_sel_hi:[0,1]
	v_add_co_u32_e32 v22, vcc, v60, v38
	v_addc_co_u32_e32 v23, vcc, v61, v39, vcc
	v_pk_mul_f32 v[38:39], s[10:11], v[58:59] op_sel_hi:[0,1]
	global_load_dwordx4 v[6:9], v[2:3], off
	s_nop 0
	global_load_dwordx4 v[2:5], v[2:3], off offset:16
	v_mfma_f32_16x16x16bf16_1k v[24:27], v[20:21], v[24:25], v[26:29]
	v_and_b32_e32 v20, 0xc0, v0
	v_add_u32_e32 v20, s14, v20
	v_lshl_or_b32 v20, v1, 2, v20
	v_or_b32_e32 v21, 1, v20
	v_cmp_gt_i32_e64 s[30:31], s33, v20
	v_cmp_gt_i32_e64 s[34:35], s33, v21
	s_nop 4
	v_pk_mul_f32 v[36:37], s[10:11], v[24:25] op_sel_hi:[0,1]
	v_subrev_u32_e32 v24, s33, v21
	v_pk_mul_f32 v[34:35], s[10:11], v[26:27] op_sel_hi:[0,1]
	v_add_u32_e32 v26, 1, v24
	v_add_u32_e32 v27, 2, v24
	v_cvt_f32_i32_e32 v25, v24
	v_cvt_f32_i32_e32 v26, v26
	;; [unrolled: 1-line block ×3, first 2 shown]
	v_add_u32_e32 v28, 3, v24
	v_fma_f32 v18, v50, v25, v18
	v_fmac_f32_e32 v19, v50, v26
	v_fma_f32 v48, v50, v27, v48
	v_add_u32_e32 v25, 16, v24
	v_add_u32_e32 v26, 17, v24
	;; [unrolled: 1-line block ×3, first 2 shown]
	v_cvt_f32_i32_e32 v28, v28
	v_cvt_f32_i32_e32 v25, v25
	;; [unrolled: 1-line block ×4, first 2 shown]
	v_fmac_f32_e32 v49, v50, v28
	v_add_u32_e32 v28, 19, v24
	v_fma_f32 v46, v50, v25, v46
	v_fmac_f32_e32 v47, v50, v26
	v_fma_f32 v44, v50, v27, v44
	v_add_u32_e32 v25, 32, v24
	v_add_u32_e32 v26, 33, v24
	;; [unrolled: 1-line block ×3, first 2 shown]
	v_cvt_f32_i32_e32 v28, v28
	v_cvt_f32_i32_e32 v25, v25
	;; [unrolled: 1-line block ×4, first 2 shown]
	v_fmac_f32_e32 v45, v50, v28
	v_add_u32_e32 v28, 35, v24
	v_fma_f32 v40, v50, v25, v40
	v_fmac_f32_e32 v41, v50, v26
	v_fma_f32 v38, v50, v27, v38
	v_add_u32_e32 v25, 48, v24
	v_add_u32_e32 v26, 49, v24
	;; [unrolled: 1-line block ×4, first 2 shown]
	v_cvt_f32_i32_e32 v24, v24
	v_cvt_f32_i32_e32 v25, v25
	;; [unrolled: 1-line block ×4, first 2 shown]
	v_fmac_f32_e32 v35, v50, v24
	v_mov_b32_e32 v24, 0xff7fffff
	v_fma_f32 v36, v50, v25, v36
	v_cndmask_b32_e64 v25, v24, v18, s[30:31]
	v_cndmask_b32_e64 v21, v24, v19, s[34:35]
	v_fmac_f32_e32 v37, v50, v26
	v_max3_f32 v21, v25, s42, v21
	v_or_b32_e32 v25, 2, v20
	v_or_b32_e32 v26, 3, v20
	v_cmp_gt_i32_e64 s[36:37], s33, v25
	v_cmp_gt_i32_e64 s[38:39], s33, v26
	v_cndmask_b32_e64 v25, v24, v48, s[36:37]
	v_cndmask_b32_e64 v26, v24, v49, s[38:39]
	v_max3_f32 v21, v21, v25, v26
	v_or_b32_e32 v25, 16, v20
	v_or_b32_e32 v26, 17, v20
	v_cmp_gt_i32_e64 s[24:25], s33, v25
	v_cmp_gt_i32_e64 s[26:27], s33, v26
	v_cndmask_b32_e64 v25, v24, v46, s[24:25]
	v_cndmask_b32_e64 v26, v24, v47, s[26:27]
	;; [unrolled: 7-line block ×4, first 2 shown]
	v_max3_f32 v21, v21, v25, v26
	v_or_b32_e32 v25, 34, v20
	v_or_b32_e32 v26, 35, v20
	v_fmac_f32_e32 v39, v50, v28
	v_cmp_gt_i32_e64 s[12:13], s33, v25
	v_cmp_gt_i32_e64 s[14:15], s33, v26
	v_cndmask_b32_e64 v25, v24, v38, s[12:13]
	v_cndmask_b32_e64 v26, v24, v39, s[14:15]
	v_cvt_f32_i32_e32 v27, v27
	v_max3_f32 v21, v21, v25, v26
	v_or_b32_e32 v25, 48, v20
	v_or_b32_e32 v26, 49, v20
	v_cmp_gt_i32_e64 s[8:9], s33, v25
	v_cmp_gt_i32_e64 s[10:11], s33, v26
	v_cndmask_b32_e64 v25, v24, v36, s[8:9]
	v_cndmask_b32_e64 v26, v24, v37, s[10:11]
	v_max3_f32 v21, v21, v25, v26
	v_or_b32_e32 v25, 50, v20
	v_or_b32_e32 v20, 51, v20
	v_fma_f32 v34, v50, v27, v34
	v_cmp_gt_i32_e32 vcc, s33, v25
	v_cmp_gt_i32_e64 s[2:3], s33, v20
	v_cndmask_b32_e32 v25, v24, v34, vcc
	v_cndmask_b32_e64 v20, v24, v35, s[2:3]
	v_max3_f32 v26, v21, v25, v20
	v_mbcnt_lo_u32_b32 v20, -1, 0
	v_mbcnt_hi_u32_b32 v27, -1, v20
	v_and_b32_e32 v20, 64, v27
	v_add_u32_e32 v28, 64, v20
	v_xor_b32_e32 v20, 32, v27
	v_cmp_lt_i32_e64 s[40:41], v20, v28
	v_cndmask_b32_e64 v20, v27, v20, s[40:41]
	v_lshlrev_b32_e32 v57, 2, v20
	ds_bpermute_b32 v29, v57, v26
	s_waitcnt vmcnt(4)
	v_mad_i64_i32 v[20:21], s[40:41], v51, s45, 0
	v_lshlrev_b64 v[20:21], 1, v[20:21]
	global_load_dwordx4 v[30:33], v[22:23], off
	s_nop 0
	global_load_dwordx4 v[22:25], v[22:23], off offset:16
	s_waitcnt lgkmcnt(0)
	v_max_f32_e32 v29, v29, v29
	v_max_f32_e32 v26, v26, v29
	v_xor_b32_e32 v29, 16, v27
	v_cmp_lt_i32_e64 s[40:41], v29, v28
	v_cndmask_b32_e64 v27, v27, v29, s[40:41]
	v_lshlrev_b32_e32 v59, 2, v27
	ds_bpermute_b32 v27, v59, v26
	v_add_co_u32_e64 v20, s[40:41], v60, v20
	v_addc_co_u32_e64 v21, s[40:41], v61, v21, s[40:41]
	s_waitcnt lgkmcnt(0)
	v_max_f32_e32 v27, v27, v27
	v_max_f32_e32 v56, v26, v27
	v_sub_f32_e32 v18, v18, v56
	v_mul_f32_e32 v18, 0x3fb8aa3b, v18
	v_exp_f32_e32 v50, v18
	v_sub_f32_e32 v18, v19, v56
	v_mul_f32_e32 v18, 0x3fb8aa3b, v18
	v_exp_f32_e32 v51, v18
	global_load_dwordx4 v[26:29], v[20:21], off
	s_nop 0
	global_load_dwordx4 v[18:21], v[20:21], off offset:16
	v_sub_f32_e32 v48, v48, v56
	v_mul_f32_e32 v48, 0x3fb8aa3b, v48
	v_sub_f32_e32 v49, v49, v56
	v_exp_f32_e32 v48, v48
	v_mul_f32_e32 v49, 0x3fb8aa3b, v49
	v_sub_f32_e32 v46, v46, v56
	v_exp_f32_e32 v49, v49
	v_mul_f32_e32 v46, 0x3fb8aa3b, v46
	v_sub_f32_e32 v47, v47, v56
	v_cndmask_b32_e64 v50, 0, v50, s[30:31]
	v_exp_f32_e32 v46, v46
	v_mul_f32_e32 v47, 0x3fb8aa3b, v47
	v_sub_f32_e32 v44, v44, v56
	v_add_f32_e32 v58, 0, v50
	v_cndmask_b32_e64 v51, 0, v51, s[34:35]
	v_exp_f32_e32 v47, v47
	v_mul_f32_e32 v44, 0x3fb8aa3b, v44
	v_sub_f32_e32 v45, v45, v56
	v_add_f32_e32 v58, v58, v51
	;; [unrolled: 5-line block ×10, first 2 shown]
	v_cndmask_b32_e64 v38, 0, v38, s[12:13]
	v_exp_f32_e32 v34, v34
	v_mul_f32_e32 v35, 0x3fb8aa3b, v35
	v_add_f32_e32 v58, v58, v38
	v_cndmask_b32_e64 v39, 0, v39, s[14:15]
	v_exp_f32_e32 v35, v35
	v_add_f32_e32 v58, v58, v39
	v_cndmask_b32_e64 v36, 0, v36, s[8:9]
	v_add_f32_e32 v58, v58, v36
	v_cndmask_b32_e64 v37, 0, v37, s[10:11]
	v_add_f32_e32 v58, v58, v37
	v_cndmask_b32_e32 v34, 0, v34, vcc
	v_add_f32_e32 v58, v58, v34
	v_cndmask_b32_e64 v35, 0, v35, s[2:3]
	v_add_f32_e32 v58, v58, v35
	ds_bpermute_b32 v57, v57, v58
	s_load_dword s9, s[4:5], 0x98
	v_cmp_gt_u32_e32 vcc, 16, v55
	s_waitcnt lgkmcnt(0)
	s_barrier
	v_add_f32_e32 v58, v58, v57
	ds_bpermute_b32 v59, v59, v58
	v_lshlrev_b32_e32 v57, 2, v53
	s_waitcnt lgkmcnt(0)
	s_and_saveexec_b64 s[2:3], vcc
	s_cbranch_execz .LBB266_17
; %bb.16:
	v_add_f32_e32 v55, v58, v59
	v_lshl_or_b32 v58, v54, 6, v57
	ds_write2st64_b32 v58, v56, v55 offset1:1
.LBB266_17:
	s_or_b64 exec, exec, s[2:3]
	s_load_dword s8, s[4:5], 0x94
	s_waitcnt lgkmcnt(0)
	s_barrier
	ds_read2_b32 v[58:59], v57 offset1:16
	ds_read2_b32 v[60:61], v57 offset0:32 offset1:48
	ds_read2_b32 v[62:63], v57 offset0:64 offset1:80
	s_movk_i32 s10, 0x7fff
	s_mov_b32 s11, 0x7060302
	s_waitcnt lgkmcnt(2)
	v_max3_f32 v55, v58, s42, v59
	s_waitcnt lgkmcnt(1)
	v_max3_f32 v55, v55, v60, v61
	v_sub_f32_e32 v56, v58, v55
	v_mul_f32_e32 v56, 0x3fb8aa3b, v56
	v_exp_f32_e32 v64, v56
	v_sub_f32_e32 v56, v59, v55
	v_mul_f32_e32 v56, 0x3fb8aa3b, v56
	v_exp_f32_e32 v65, v56
	;; [unrolled: 3-line block ×3, first 2 shown]
	ds_read2_b32 v[58:59], v57 offset0:96 offset1:112
	v_sub_f32_e32 v56, v61, v55
	v_mul_f32_e32 v56, 0x3fb8aa3b, v56
	v_exp_f32_e32 v57, v56
	s_waitcnt lgkmcnt(1)
	v_fma_f32 v56, v64, v62, 0
	v_fmac_f32_e32 v56, v65, v63
	s_waitcnt lgkmcnt(0)
	v_fmac_f32_e32 v56, v60, v58
	v_fmac_f32_e32 v56, v57, v59
	v_add_f32_e32 v58, 0x358637bd, v56
	v_div_scale_f32 v59, s[2:3], v58, v58, 1.0
	v_rcp_f32_e32 v61, v59
	s_mul_i32 s9, s9, 3
	s_barrier
	v_fma_f32 v62, -v59, v61, 1.0
	v_fmac_f32_e32 v61, v62, v61
	v_div_scale_f32 v62, vcc, 1.0, v58, 1.0
	v_mul_f32_e32 v63, v62, v61
	v_fma_f32 v66, -v59, v63, v62
	v_fmac_f32_e32 v63, v66, v61
	v_fma_f32 v59, -v59, v63, v62
	v_div_fmas_f32 v59, v59, v61, v63
	v_cmp_eq_u32_e32 vcc, 1, v54
	v_div_fixup_f32 v58, v59, v58, 1.0
	v_cndmask_b32_e32 v59, v64, v65, vcc
	v_cmp_eq_u32_e32 vcc, 2, v54
	v_cndmask_b32_e32 v59, v59, v60, vcc
	v_cmp_eq_u32_e32 vcc, 3, v54
	v_cndmask_b32_e32 v57, v59, v57, vcc
	v_mul_f32_e32 v58, v57, v58
	v_pk_mul_f32 v[50:51], v[58:59], v[50:51] op_sel_hi:[0,1]
	v_pk_mul_f32 v[48:49], v[58:59], v[48:49] op_sel_hi:[0,1]
	v_bfe_u32 v57, v51, 16, 1
	v_bfe_u32 v59, v50, 16, 1
	v_add3_u32 v50, v50, v59, s10
	v_add3_u32 v51, v51, v57, s10
	v_perm_b32 v50, v51, v50, s11
	v_bfe_u32 v51, v49, 16, 1
	v_bfe_u32 v57, v48, 16, 1
	v_add3_u32 v48, v48, v57, s10
	v_add3_u32 v49, v49, v51, s10
	v_perm_b32 v51, v49, v48, s11
	v_lshlrev_b32_e32 v48, 3, v1
	v_lshlrev_b32_e32 v49, 5, v53
	;; [unrolled: 1-line block ×3, first 2 shown]
	v_pk_mul_f32 v[46:47], v[58:59], v[46:47] op_sel_hi:[0,1]
	v_or3_b32 v48, v54, v49, v48
	v_bfe_u32 v54, v47, 16, 1
	v_bfe_u32 v57, v46, 16, 1
	v_pk_mul_f32 v[44:45], v[58:59], v[44:45] op_sel_hi:[0,1]
	v_add3_u32 v46, v46, v57, s10
	v_add3_u32 v47, v47, v54, s10
	v_perm_b32 v46, v47, v46, s11
	v_bfe_u32 v47, v45, 16, 1
	v_bfe_u32 v54, v44, 16, 1
	v_add3_u32 v44, v44, v54, s10
	v_add3_u32 v45, v45, v47, s10
	v_pk_mul_f32 v[40:41], v[58:59], v[40:41] op_sel_hi:[0,1]
	v_perm_b32 v47, v45, v44, s11
	v_bfe_u32 v44, v41, 16, 1
	v_bfe_u32 v45, v40, 16, 1
	v_pk_mul_f32 v[38:39], v[58:59], v[38:39] op_sel_hi:[0,1]
	v_add3_u32 v40, v40, v45, s10
	v_add3_u32 v41, v41, v44, s10
	v_perm_b32 v40, v41, v40, s11
	v_bfe_u32 v41, v39, 16, 1
	v_bfe_u32 v44, v38, 16, 1
	v_add3_u32 v38, v38, v44, s10
	v_add3_u32 v39, v39, v41, s10
	v_pk_mul_f32 v[36:37], v[58:59], v[36:37] op_sel_hi:[0,1]
	v_perm_b32 v41, v39, v38, s11
	v_bfe_u32 v38, v37, 16, 1
	v_bfe_u32 v39, v36, 16, 1
	v_pk_mul_f32 v[34:35], v[58:59], v[34:35] op_sel_hi:[0,1]
	v_add3_u32 v36, v36, v39, s10
	v_add3_u32 v37, v37, v38, s10
	v_perm_b32 v36, v37, v36, s11
	v_bfe_u32 v37, v35, 16, 1
	v_bfe_u32 v38, v34, 16, 1
	v_add3_u32 v34, v34, v38, s10
	v_add3_u32 v35, v35, v37, s10
	v_perm_b32 v37, v35, v34, s11
	v_cmp_gt_u32_e32 vcc, 3, v0
	ds_write2st64_b64 v48, v[50:51], v[46:47] offset1:1
	ds_write2st64_b64 v48, v[40:41], v[36:37] offset0:2 offset1:3
	s_and_saveexec_b64 s[2:3], vcc
	s_cbranch_execz .LBB266_19
; %bb.18:
	v_add_co_u32_e32 v36, vcc, s29, v53
	v_addc_co_u32_e64 v37, s[16:17], 0, 0, vcc
	v_mov_b32_e32 v34, s9
	v_mov_b32_e32 v35, 0
	v_mad_u64_u32 v[36:37], s[16:17], s6, v34, v[36:37]
	v_mov_b32_e32 v34, s28
	s_load_dwordx4 s[12:15], s[4:5], 0x58
	s_mul_i32 s7, s7, s9
	v_mad_u64_u32 v[34:35], s[16:17], v36, s8, v[34:35]
	v_add_u32_e32 v37, s7, v37
	v_mov_b32_e32 v36, v35
	v_mad_u64_u32 v[36:37], s[16:17], v37, s8, v[36:37]
	v_mov_b32_e32 v35, v36
	v_lshlrev_b64 v[34:35], 2, v[34:35]
	s_waitcnt lgkmcnt(0)
	v_mov_b32_e32 v37, s15
	v_add_co_u32_e32 v36, vcc, s14, v34
	v_addc_co_u32_e32 v37, vcc, v37, v35, vcc
	global_store_dword v[36:37], v55, off
	v_mov_b32_e32 v36, s13
	v_add_co_u32_e32 v34, vcc, s12, v34
	v_addc_co_u32_e32 v35, vcc, v36, v35, vcc
	global_store_dword v[34:35], v56, off
.LBB266_19:
	s_or_b64 exec, exec, s[2:3]
	v_lshl_or_b32 v49, v1, 9, v49
	s_waitcnt lgkmcnt(0)
	s_barrier
	ds_read_b128 v[34:37], v49
	ds_read_b128 v[38:41], v49 offset:16
	s_waitcnt vmcnt(7) lgkmcnt(1)
	v_mfma_f32_16x16x16bf16_1k v[44:47], v[14:15], v[34:35], 0
	v_cmp_gt_u32_e32 vcc, 64, v0
	v_cmp_ne_u32_e64 s[2:3], 3, v1
	s_and_b64 s[2:3], s[2:3], vcc
	s_mov_b32 s7, 0
	s_and_b64 s[0:1], s[2:3], s[0:1]
	v_mfma_f32_16x16x16bf16_1k v[14:17], v[16:17], v[36:37], v[44:47]
	s_waitcnt vmcnt(6) lgkmcnt(0)
	v_mfma_f32_16x16x16bf16_1k v[14:17], v[10:11], v[38:39], v[14:17]
	v_mfma_f32_16x16x16bf16_1k v[10:13], v[12:13], v[40:41], v[14:17]
	s_nop 7
	s_nop 1
	ds_read_b128 v[14:17], v49 offset:2048
	ds_read_b128 v[34:37], v49 offset:2064
	s_waitcnt vmcnt(5) lgkmcnt(1)
	v_mfma_f32_16x16x16bf16_1k v[10:13], v[6:7], v[14:15], v[10:13]
	v_mfma_f32_16x16x16bf16_1k v[6:9], v[8:9], v[16:17], v[10:13]
	s_waitcnt vmcnt(4) lgkmcnt(0)
	v_mfma_f32_16x16x16bf16_1k v[6:9], v[2:3], v[34:35], v[6:9]
	v_mfma_f32_16x16x16bf16_1k v[2:5], v[4:5], v[36:37], v[6:9]
	s_nop 7
	s_nop 1
	ds_read_b128 v[6:9], v49 offset:4096
	ds_read_b128 v[10:13], v49 offset:4112
	s_waitcnt vmcnt(3) lgkmcnt(1)
	v_mfma_f32_16x16x16bf16_1k v[2:5], v[30:31], v[6:7], v[2:5]
	v_mfma_f32_16x16x16bf16_1k v[2:5], v[32:33], v[8:9], v[2:5]
	s_waitcnt vmcnt(2) lgkmcnt(0)
	v_mfma_f32_16x16x16bf16_1k v[2:5], v[22:23], v[10:11], v[2:5]
	v_mfma_f32_16x16x16bf16_1k v[2:5], v[24:25], v[12:13], v[2:5]
	ds_read_b128 v[6:9], v49 offset:6144
	ds_read_b128 v[10:13], v49 offset:6160
	s_waitcnt lgkmcnt(0)
	s_barrier
	s_waitcnt vmcnt(1)
	v_mfma_f32_16x16x16bf16_1k v[2:5], v[26:27], v[6:7], v[2:5]
	v_mfma_f32_16x16x16bf16_1k v[2:5], v[28:29], v[8:9], v[2:5]
	s_waitcnt vmcnt(0)
	v_mfma_f32_16x16x16bf16_1k v[2:5], v[18:19], v[10:11], v[2:5]
	v_mfma_f32_16x16x16bf16_1k v[2:5], v[20:21], v[12:13], v[2:5]
	s_nop 7
	s_nop 2
	v_bfe_u32 v6, v3, 16, 1
	v_bfe_u32 v7, v2, 16, 1
	;; [unrolled: 1-line block ×4, first 2 shown]
	v_add3_u32 v2, v2, v7, s10
	v_add3_u32 v3, v3, v6, s10
	;; [unrolled: 1-line block ×4, first 2 shown]
	v_perm_b32 v2, v3, v2, s11
	v_perm_b32 v3, v5, v4, s11
	ds_write_b64 v48, v[2:3]
	s_waitcnt lgkmcnt(0)
	s_barrier
	s_and_saveexec_b64 s[2:3], s[0:1]
	s_cbranch_execz .LBB266_21
; %bb.20:
	s_load_dwordx2 s[0:1], s[4:5], 0x68
	s_mul_i32 s2, s9, s6
	s_lshl_b32 s4, s8, 6
	s_mul_hi_u32 s3, s2, s4
	s_mul_i32 s2, s2, s4
	s_lshl_b64 s[2:3], s[2:3], 1
	s_waitcnt lgkmcnt(0)
	s_add_u32 s2, s0, s2
	s_addc_u32 s3, s1, s3
	s_lshl_b32 s6, s28, 6
	v_lshlrev_b32_e32 v2, 10, v0
	v_lshlrev_b32_e32 v0, 4, v0
	s_lshl_b64 s[0:1], s[6:7], 1
	v_and_b32_e32 v2, 0x1800, v2
	v_lshlrev_b32_e32 v1, 5, v1
	v_and_b32_e32 v0, 16, v0
	s_add_u32 s2, s2, s0
	v_or3_b32 v0, v2, v1, v0
	s_addc_u32 s3, s3, s1
	v_mad_u64_u32 v[4:5], s[0:1], s4, v52, 0
	ds_read_b128 v[0:3], v0
	v_lshlrev_b64 v[4:5], 1, v[4:5]
	v_mov_b32_e32 v6, s3
	v_add_co_u32_e32 v4, vcc, s2, v4
	v_addc_co_u32_e32 v5, vcc, v6, v5, vcc
	v_add_co_u32_e32 v4, vcc, v4, v42
	v_addc_co_u32_e32 v5, vcc, v5, v43, vcc
	s_waitcnt lgkmcnt(0)
	global_store_dwordx4 v[4:5], v[0:3], off
.LBB266_21:
	s_endpgm
	.section	.rodata,"a",@progbits
	.p2align	6, 0x0
	.amdhsa_kernel _Z39paged_attention_ll4mi_QKV_mfma16_kernelI14__hip_bfloat16S0_LN4vllm18Fp8KVCacheDataTypeE0ES0_Li32ELi64ELi256ELb1ELi3EL8MFMAType0EEvPKT_PKT0_S9_ifPKiSB_SB_iPKfiiiPfSE_PS4_PT2_iSD_SD_
		.amdhsa_group_segment_fixed_size 8192
		.amdhsa_private_segment_fixed_size 0
		.amdhsa_kernarg_size 400
		.amdhsa_user_sgpr_count 6
		.amdhsa_user_sgpr_private_segment_buffer 1
		.amdhsa_user_sgpr_dispatch_ptr 0
		.amdhsa_user_sgpr_queue_ptr 0
		.amdhsa_user_sgpr_kernarg_segment_ptr 1
		.amdhsa_user_sgpr_dispatch_id 0
		.amdhsa_user_sgpr_flat_scratch_init 0
		.amdhsa_user_sgpr_kernarg_preload_length 0
		.amdhsa_user_sgpr_kernarg_preload_offset 0
		.amdhsa_user_sgpr_private_segment_size 0
		.amdhsa_uses_dynamic_stack 0
		.amdhsa_system_sgpr_private_segment_wavefront_offset 0
		.amdhsa_system_sgpr_workgroup_id_x 1
		.amdhsa_system_sgpr_workgroup_id_y 1
		.amdhsa_system_sgpr_workgroup_id_z 1
		.amdhsa_system_sgpr_workgroup_info 0
		.amdhsa_system_vgpr_workitem_id 0
		.amdhsa_next_free_vgpr 67
		.amdhsa_next_free_sgpr 48
		.amdhsa_accum_offset 68
		.amdhsa_reserve_vcc 1
		.amdhsa_reserve_flat_scratch 0
		.amdhsa_float_round_mode_32 0
		.amdhsa_float_round_mode_16_64 0
		.amdhsa_float_denorm_mode_32 3
		.amdhsa_float_denorm_mode_16_64 3
		.amdhsa_dx10_clamp 1
		.amdhsa_ieee_mode 1
		.amdhsa_fp16_overflow 0
		.amdhsa_tg_split 0
		.amdhsa_exception_fp_ieee_invalid_op 0
		.amdhsa_exception_fp_denorm_src 0
		.amdhsa_exception_fp_ieee_div_zero 0
		.amdhsa_exception_fp_ieee_overflow 0
		.amdhsa_exception_fp_ieee_underflow 0
		.amdhsa_exception_fp_ieee_inexact 0
		.amdhsa_exception_int_div_zero 0
	.end_amdhsa_kernel
	.section	.text._Z39paged_attention_ll4mi_QKV_mfma16_kernelI14__hip_bfloat16S0_LN4vllm18Fp8KVCacheDataTypeE0ES0_Li32ELi64ELi256ELb1ELi3EL8MFMAType0EEvPKT_PKT0_S9_ifPKiSB_SB_iPKfiiiPfSE_PS4_PT2_iSD_SD_,"axG",@progbits,_Z39paged_attention_ll4mi_QKV_mfma16_kernelI14__hip_bfloat16S0_LN4vllm18Fp8KVCacheDataTypeE0ES0_Li32ELi64ELi256ELb1ELi3EL8MFMAType0EEvPKT_PKT0_S9_ifPKiSB_SB_iPKfiiiPfSE_PS4_PT2_iSD_SD_,comdat
.Lfunc_end266:
	.size	_Z39paged_attention_ll4mi_QKV_mfma16_kernelI14__hip_bfloat16S0_LN4vllm18Fp8KVCacheDataTypeE0ES0_Li32ELi64ELi256ELb1ELi3EL8MFMAType0EEvPKT_PKT0_S9_ifPKiSB_SB_iPKfiiiPfSE_PS4_PT2_iSD_SD_, .Lfunc_end266-_Z39paged_attention_ll4mi_QKV_mfma16_kernelI14__hip_bfloat16S0_LN4vllm18Fp8KVCacheDataTypeE0ES0_Li32ELi64ELi256ELb1ELi3EL8MFMAType0EEvPKT_PKT0_S9_ifPKiSB_SB_iPKfiiiPfSE_PS4_PT2_iSD_SD_
                                        ; -- End function
	.section	.AMDGPU.csdata,"",@progbits
; Kernel info:
; codeLenInByte = 4592
; NumSgprs: 52
; NumVgprs: 67
; NumAgprs: 0
; TotalNumVgprs: 67
; ScratchSize: 0
; MemoryBound: 0
; FloatMode: 240
; IeeeMode: 1
; LDSByteSize: 8192 bytes/workgroup (compile time only)
; SGPRBlocks: 6
; VGPRBlocks: 8
; NumSGPRsForWavesPerEU: 52
; NumVGPRsForWavesPerEU: 67
; AccumOffset: 68
; Occupancy: 7
; WaveLimiterHint : 1
; COMPUTE_PGM_RSRC2:SCRATCH_EN: 0
; COMPUTE_PGM_RSRC2:USER_SGPR: 6
; COMPUTE_PGM_RSRC2:TRAP_HANDLER: 0
; COMPUTE_PGM_RSRC2:TGID_X_EN: 1
; COMPUTE_PGM_RSRC2:TGID_Y_EN: 1
; COMPUTE_PGM_RSRC2:TGID_Z_EN: 1
; COMPUTE_PGM_RSRC2:TIDIG_COMP_CNT: 0
; COMPUTE_PGM_RSRC3_GFX90A:ACCUM_OFFSET: 16
; COMPUTE_PGM_RSRC3_GFX90A:TG_SPLIT: 0
	.section	.text._Z39paged_attention_ll4mi_QKV_mfma16_kernelI14__hip_bfloat16S0_LN4vllm18Fp8KVCacheDataTypeE0ES0_Li32ELi64ELi256ELb1ELi4EL8MFMAType0EEvPKT_PKT0_S9_ifPKiSB_SB_iPKfiiiPfSE_PS4_PT2_iSD_SD_,"axG",@progbits,_Z39paged_attention_ll4mi_QKV_mfma16_kernelI14__hip_bfloat16S0_LN4vllm18Fp8KVCacheDataTypeE0ES0_Li32ELi64ELi256ELb1ELi4EL8MFMAType0EEvPKT_PKT0_S9_ifPKiSB_SB_iPKfiiiPfSE_PS4_PT2_iSD_SD_,comdat
	.protected	_Z39paged_attention_ll4mi_QKV_mfma16_kernelI14__hip_bfloat16S0_LN4vllm18Fp8KVCacheDataTypeE0ES0_Li32ELi64ELi256ELb1ELi4EL8MFMAType0EEvPKT_PKT0_S9_ifPKiSB_SB_iPKfiiiPfSE_PS4_PT2_iSD_SD_ ; -- Begin function _Z39paged_attention_ll4mi_QKV_mfma16_kernelI14__hip_bfloat16S0_LN4vllm18Fp8KVCacheDataTypeE0ES0_Li32ELi64ELi256ELb1ELi4EL8MFMAType0EEvPKT_PKT0_S9_ifPKiSB_SB_iPKfiiiPfSE_PS4_PT2_iSD_SD_
	.globl	_Z39paged_attention_ll4mi_QKV_mfma16_kernelI14__hip_bfloat16S0_LN4vllm18Fp8KVCacheDataTypeE0ES0_Li32ELi64ELi256ELb1ELi4EL8MFMAType0EEvPKT_PKT0_S9_ifPKiSB_SB_iPKfiiiPfSE_PS4_PT2_iSD_SD_
	.p2align	8
	.type	_Z39paged_attention_ll4mi_QKV_mfma16_kernelI14__hip_bfloat16S0_LN4vllm18Fp8KVCacheDataTypeE0ES0_Li32ELi64ELi256ELb1ELi4EL8MFMAType0EEvPKT_PKT0_S9_ifPKiSB_SB_iPKfiiiPfSE_PS4_PT2_iSD_SD_,@function
_Z39paged_attention_ll4mi_QKV_mfma16_kernelI14__hip_bfloat16S0_LN4vllm18Fp8KVCacheDataTypeE0ES0_Li32ELi64ELi256ELb1ELi4EL8MFMAType0EEvPKT_PKT0_S9_ifPKiSB_SB_iPKfiiiPfSE_PS4_PT2_iSD_SD_: ; @_Z39paged_attention_ll4mi_QKV_mfma16_kernelI14__hip_bfloat16S0_LN4vllm18Fp8KVCacheDataTypeE0ES0_Li32ELi64ELi256ELb1ELi4EL8MFMAType0EEvPKT_PKT0_S9_ifPKiSB_SB_iPKfiiiPfSE_PS4_PT2_iSD_SD_
; %bb.0:
	s_load_dwordx2 s[0:1], s[4:5], 0x30
	s_mov_b32 s26, s7
	s_mov_b64 s[10:11], 0
	s_waitcnt lgkmcnt(0)
	s_cmp_lg_u64 s[0:1], 0
	s_cselect_b64 s[2:3], -1, 0
	s_and_b64 vcc, exec, s[2:3]
	s_cbranch_vccz .LBB267_7
; %bb.1:
	s_add_i32 s12, s6, 1
	s_mov_b32 s13, 0
	s_lshl_b64 s[14:15], s[12:13], 2
	s_add_u32 s14, s0, s14
	s_mov_b32 s7, s13
	s_addc_u32 s15, s1, s15
	s_lshl_b64 s[12:13], s[6:7], 2
	s_add_u32 s12, s0, s12
	s_addc_u32 s13, s1, s13
	s_load_dword s9, s[14:15], 0x0
	s_load_dword s16, s[12:13], 0x0
	s_waitcnt lgkmcnt(0)
	s_sub_i32 s9, s9, s16
	s_cmp_eq_u32 s9, 1
	s_cselect_b64 s[12:13], -1, 0
	s_andn2_b64 vcc, exec, s[10:11]
	s_cbranch_vccnz .LBB267_3
.LBB267_2:
	s_mov_b32 s7, 0
	s_mov_b64 s[12:13], -1
.LBB267_3:
	s_andn2_b64 vcc, exec, s[12:13]
	s_cbranch_vccnz .LBB267_21
; %bb.4:
	s_load_dwordx2 s[12:13], s[4:5], 0x28
	s_lshl_b64 s[10:11], s[6:7], 2
	s_waitcnt lgkmcnt(0)
	s_add_u32 s12, s12, s10
	s_addc_u32 s13, s13, s11
	s_load_dword s33, s[12:13], 0x0
	s_lshl_b32 s12, s26, 8
	s_waitcnt lgkmcnt(0)
	s_cmp_ge_i32 s12, s33
	s_cbranch_scc1 .LBB267_21
; %bb.5:
	s_add_i32 s13, s33, 31
	s_load_dwordx2 s[16:17], s[4:5], 0x20
	s_load_dword s9, s[4:5], 0x38
	s_ashr_i32 s14, s13, 31
	v_and_b32_e32 v1, 0xcf, v0
	s_lshr_b32 s14, s14, 27
	v_add_u32_e32 v1, s12, v1
	s_add_i32 s13, s13, s14
	v_ashrrev_i32_e32 v2, 31, v1
	s_ashr_i32 s15, s13, 5
	v_lshrrev_b32_e32 v6, 27, v2
	s_add_i32 s15, s15, -1
	v_add_u32_e32 v2, v1, v6
	s_waitcnt lgkmcnt(0)
	s_mul_i32 s18, s6, s9
	s_mov_b32 s19, 0
	v_ashrrev_i32_e32 v2, 5, v2
	v_mov_b32_e32 v7, s15
	v_cmp_gt_i32_e32 vcc, s33, v1
	s_lshl_b64 s[18:19], s[18:19], 2
	v_cndmask_b32_e32 v2, v7, v2, vcc
	s_add_u32 s13, s16, s18
	v_ashrrev_i32_e32 v3, 31, v2
	s_addc_u32 s14, s17, s19
	v_lshlrev_b64 v[2:3], 2, v[2:3]
	v_mov_b32_e32 v4, s14
	v_add_co_u32_e32 v2, vcc, s13, v2
	v_addc_co_u32_e32 v3, vcc, v4, v3, vcc
	v_or_b32_e32 v4, 16, v1
	v_add_u32_e32 v5, v4, v6
	v_ashrrev_i32_e32 v5, 5, v5
	v_cmp_gt_i32_e32 vcc, s33, v4
	v_cndmask_b32_e32 v4, v7, v5, vcc
	v_ashrrev_i32_e32 v5, 31, v4
	v_lshlrev_b64 v[4:5], 2, v[4:5]
	v_mov_b32_e32 v9, s14
	v_add_co_u32_e32 v8, vcc, s13, v4
	v_or_b32_e32 v4, 32, v1
	v_addc_co_u32_e32 v9, vcc, v9, v5, vcc
	v_add_u32_e32 v5, v4, v6
	v_ashrrev_i32_e32 v5, 5, v5
	v_cmp_gt_i32_e32 vcc, s33, v4
	v_cndmask_b32_e32 v4, v7, v5, vcc
	v_ashrrev_i32_e32 v5, 31, v4
	v_lshlrev_b64 v[4:5], 2, v[4:5]
	v_mov_b32_e32 v11, s14
	v_add_co_u32_e32 v10, vcc, s13, v4
	v_or_b32_e32 v1, 48, v1
	v_addc_co_u32_e32 v11, vcc, v11, v5, vcc
	v_add_u32_e32 v4, v1, v6
	v_ashrrev_i32_e32 v4, 5, v4
	v_cmp_gt_i32_e32 vcc, s33, v1
	v_cndmask_b32_e32 v4, v7, v4, vcc
	v_ashrrev_i32_e32 v5, 31, v4
	v_lshlrev_b64 v[4:5], 2, v[4:5]
	v_mov_b32_e32 v1, s14
	v_add_co_u32_e32 v12, vcc, s13, v4
	v_addc_co_u32_e32 v13, vcc, v1, v5, vcc
	global_load_dword v7, v[2:3], off
	global_load_dword v6, v[8:9], off
	;; [unrolled: 1-line block ×4, first 2 shown]
	s_andn2_b64 vcc, exec, s[2:3]
	s_cbranch_vccnz .LBB267_8
; %bb.6:
	s_add_u32 s0, s0, s10
	s_addc_u32 s1, s1, s11
	s_load_dword s9, s[0:1], 0x0
	s_branch .LBB267_9
.LBB267_7:
	s_mov_b64 s[12:13], 0
	s_branch .LBB267_2
.LBB267_8:
	s_mov_b32 s9, s6
.LBB267_9:
	s_load_dwordx2 s[10:11], s[4:5], 0x8
	s_load_dwordx4 s[40:43], s[4:5], 0x48
	v_and_b32_e32 v54, 15, v0
	v_cmp_gt_u32_e32 vcc, 64, v0
	v_cmp_gt_u32_e64 s[0:1], 8, v54
	s_and_b64 s[44:45], vcc, s[0:1]
	v_bfe_u32 v53, v0, 4, 2
	s_lshl_b32 s27, s8, 2
	v_lshlrev_b32_e32 v2, 3, v54
	s_xor_b64 s[0:1], s[44:45], -1
	s_and_saveexec_b64 s[2:3], s[0:1]
	s_xor_b64 s[0:1], exec, s[2:3]
; %bb.10:
	v_mov_b32_e32 v3, 0
; %bb.11:
	s_or_saveexec_b64 s[2:3], s[0:1]
	s_load_dwordx2 s[0:1], s[4:5], 0x10
	v_lshrrev_b32_e32 v55, 6, v0
	v_or_b32_e32 v1, s27, v53
	v_and_b32_e32 v22, 3, v0
	v_lshlrev_b32_e32 v52, 5, v53
	s_xor_b64 exec, exec, s[2:3]
	s_cbranch_execz .LBB267_13
; %bb.12:
	s_load_dwordx2 s[16:17], s[4:5], 0x0
	s_waitcnt lgkmcnt(0)
	s_ashr_i32 s18, s40, 31
	s_mul_hi_u32 s19, s9, s40
	s_mul_i32 s18, s9, s18
	s_add_i32 s19, s19, s18
	s_mul_i32 s18, s9, s40
	s_lshl_b64 s[18:19], s[18:19], 1
	v_lshlrev_b32_e32 v8, 6, v1
	s_add_u32 s9, s16, s18
	v_ashrrev_i32_e32 v9, 31, v8
	s_addc_u32 s16, s17, s19
	v_lshlrev_b64 v[8:9], 1, v[8:9]
	v_mov_b32_e32 v3, s16
	v_add_co_u32_e32 v8, vcc, s9, v8
	v_addc_co_u32_e32 v3, vcc, v3, v9, vcc
	v_lshlrev_b32_e32 v9, 1, v2
	v_add_co_u32_e32 v8, vcc, v8, v9
	v_addc_co_u32_e32 v9, vcc, 0, v3, vcc
	global_load_dwordx4 v[8:11], v[8:9], off
	v_lshlrev_b32_e32 v14, 9, v54
	v_lshl_or_b32 v12, v55, 7, v52
	v_lshlrev_b32_e32 v13, 9, v22
	v_and_b32_e32 v14, 0x1800, v14
	v_mov_b32_e32 v3, 0
	v_or3_b32 v12, v14, v13, v12
	s_waitcnt vmcnt(0)
	ds_write_b128 v12, v[8:11]
.LBB267_13:
	s_or_b64 exec, exec, s[2:3]
	s_waitcnt lgkmcnt(0)
	s_mul_i32 s2, s8, s42
	s_mov_b32 s3, 0
	s_lshl_b64 s[2:3], s[2:3], 1
	s_add_u32 s10, s10, s2
	s_waitcnt vmcnt(3)
	v_mad_i64_i32 v[8:9], s[8:9], v7, s41, 0
	s_addc_u32 s11, s11, s3
	v_lshlrev_b64 v[8:9], 1, v[8:9]
	v_mov_b32_e32 v7, s11
	v_add_co_u32_e32 v8, vcc, s10, v8
	v_addc_co_u32_e32 v7, vcc, v7, v9, vcc
	v_lshlrev_b64 v[42:43], 1, v[2:3]
	v_add_co_u32_e32 v2, vcc, v8, v42
	v_lshlrev_b32_e32 v23, 9, v53
	v_addc_co_u32_e32 v3, vcc, v7, v43, vcc
	v_add_co_u32_e32 v2, vcc, v2, v23
	v_addc_co_u32_e32 v3, vcc, 0, v3, vcc
	s_barrier
	global_load_dwordx4 v[38:41], v[2:3], off
	global_load_dwordx4 v[34:37], v[2:3], off offset:2048
	s_waitcnt vmcnt(4)
	v_mad_i64_i32 v[2:3], s[8:9], v6, s41, 0
	v_lshlrev_b64 v[2:3], 1, v[2:3]
	v_mov_b32_e32 v6, s11
	v_add_co_u32_e32 v2, vcc, s10, v2
	v_addc_co_u32_e32 v3, vcc, v6, v3, vcc
	v_mov_b32_e32 v6, 0x100
	v_lshl_or_b32 v18, v54, 4, v6
	v_add_co_u32_e32 v2, vcc, v2, v18
	v_addc_co_u32_e32 v3, vcc, 0, v3, vcc
	v_add_co_u32_e32 v2, vcc, v2, v23
	v_addc_co_u32_e32 v3, vcc, 0, v3, vcc
	global_load_dwordx4 v[30:33], v[2:3], off
	global_load_dwordx4 v[14:17], v[2:3], off offset:2048
	s_waitcnt vmcnt(5)
	v_mad_i64_i32 v[2:3], s[8:9], v5, s41, 0
	v_lshlrev_b64 v[2:3], 1, v[2:3]
	v_mov_b32_e32 v5, s11
	v_add_co_u32_e32 v2, vcc, s10, v2
	v_addc_co_u32_e32 v3, vcc, v5, v3, vcc
	v_add_co_u32_e32 v2, vcc, v2, v42
	v_addc_co_u32_e32 v3, vcc, v3, v43, vcc
	;; [unrolled: 2-line block ×3, first 2 shown]
	global_load_dwordx4 v[10:13], v[2:3], off
	global_load_dwordx4 v[6:9], v[2:3], off offset:2048
	s_waitcnt vmcnt(6)
	v_mad_i64_i32 v[2:3], s[8:9], v4, s41, 0
	v_lshlrev_b64 v[2:3], 1, v[2:3]
	v_mov_b32_e32 v4, s11
	v_add_co_u32_e32 v2, vcc, s10, v2
	v_addc_co_u32_e32 v3, vcc, v4, v3, vcc
	v_add_co_u32_e32 v2, vcc, v2, v18
	v_addc_co_u32_e32 v3, vcc, 0, v3, vcc
	;; [unrolled: 2-line block ×3, first 2 shown]
	global_load_dwordx4 v[2:5], v[24:25], off
	global_load_dwordx4 v[18:21], v[24:25], off offset:2048
	v_lshl_or_b32 v22, v22, 5, v23
	ds_read_b128 v[26:29], v22
	ds_read_b128 v[22:25], v22 offset:2048
	v_and_b32_e32 v56, 63, v0
	v_cmp_gt_u32_e32 vcc, 4, v54
	v_mov_b32_e32 v50, 0
	s_and_saveexec_b64 s[8:9], vcc
	s_cbranch_execz .LBB267_15
; %bb.14:
	s_load_dwordx2 s[10:11], s[4:5], 0x40
	v_or_b32_e32 v44, s27, v54
	v_ashrrev_i32_e32 v45, 31, v44
	v_lshlrev_b64 v[44:45], 2, v[44:45]
	s_waitcnt lgkmcnt(0)
	v_mov_b32_e32 v46, s11
	v_add_co_u32_e32 v44, vcc, s10, v44
	v_addc_co_u32_e32 v45, vcc, v46, v45, vcc
	global_load_dword v50, v[44:45], off
.LBB267_15:
	s_or_b64 exec, exec, s[8:9]
	s_waitcnt vmcnt(7) lgkmcnt(1)
	v_mfma_f32_16x16x16bf16_1k v[44:47], v[38:39], v[26:27], 0
	s_ashr_i32 s8, s12, 31
	s_lshr_b32 s9, s8, 27
	v_mov_b32_e32 v49, s14
	s_add_u32 s0, s0, s2
	s_addc_u32 s1, s1, s3
	s_load_dword s8, s[4:5], 0x1c
	s_mov_b32 s40, 0xff7fffff
	v_mfma_f32_16x16x16bf16_1k v[38:41], v[40:41], v[28:29], v[44:47]
	s_waitcnt vmcnt(6) lgkmcnt(0)
	v_mfma_f32_16x16x16bf16_1k v[38:41], v[34:35], v[22:23], v[38:41]
	s_nop 4
	v_and_or_b32 v46, v0, 48, s12
	v_add_u32_e32 v34, s9, v46
	v_ashrrev_i32_e32 v34, 5, v34
	v_mov_b32_e32 v47, s15
	v_cmp_gt_i32_e32 vcc, s33, v46
	v_cndmask_b32_e32 v34, v47, v34, vcc
	v_ashrrev_i32_e32 v35, 31, v34
	v_lshlrev_b64 v[44:45], 2, v[34:35]
	v_mfma_f32_16x16x16bf16_1k v[34:37], v[36:37], v[24:25], v[38:41]
	s_nop 6
	v_mov_b32_e32 v39, s14
	v_add_co_u32_e32 v38, vcc, s13, v44
	v_addc_co_u32_e32 v39, vcc, v39, v45, vcc
	global_load_dword v48, v[38:39], off
	s_waitcnt vmcnt(6)
	v_mfma_f32_16x16x16bf16_1k v[38:41], v[30:31], v[26:27], 0
	v_or_b32_e32 v44, 64, v46
	v_add_u32_e32 v30, s9, v44
	v_ashrrev_i32_e32 v30, 5, v30
	v_cmp_gt_i32_e32 vcc, s33, v44
	v_cndmask_b32_e32 v30, v47, v30, vcc
	v_ashrrev_i32_e32 v31, 31, v30
	v_lshlrev_b64 v[44:45], 2, v[30:31]
	v_mfma_f32_16x16x16bf16_1k v[30:33], v[32:33], v[28:29], v[38:41]
	s_nop 6
	v_add_co_u32_e32 v38, vcc, s13, v44
	v_addc_co_u32_e32 v39, vcc, v49, v45, vcc
	global_load_dword v40, v[38:39], off
	v_or_b32_e32 v38, 0x80, v46
	v_add_u32_e32 v39, s9, v38
	v_ashrrev_i32_e32 v39, 5, v39
	v_cmp_gt_i32_e32 vcc, s33, v38
	v_cndmask_b32_e32 v38, v47, v39, vcc
	v_ashrrev_i32_e32 v39, 31, v38
	s_waitcnt vmcnt(6)
	v_mfma_f32_16x16x16bf16_1k v[30:33], v[14:15], v[22:23], v[30:33]
	v_lshlrev_b64 v[14:15], 2, v[38:39]
	v_mov_b32_e32 v38, s14
	v_add_co_u32_e32 v14, vcc, s13, v14
	v_addc_co_u32_e32 v15, vcc, v38, v15, vcc
	global_load_dword v41, v[14:15], off
	v_mfma_f32_16x16x16bf16_1k v[30:33], v[16:17], v[24:25], v[30:33]
	v_or_b32_e32 v38, 0xc0, v46
	v_cmp_gt_i32_e32 vcc, s33, v38
	v_mov_b32_e32 v44, s14
	s_waitcnt vmcnt(6)
	v_mfma_f32_16x16x16bf16_1k v[14:17], v[10:11], v[26:27], 0
	v_add_u32_e32 v10, s9, v38
	v_ashrrev_i32_e32 v10, 5, v10
	v_cndmask_b32_e32 v10, v47, v10, vcc
	v_ashrrev_i32_e32 v11, 31, v10
	v_lshlrev_b64 v[38:39], 2, v[10:11]
	s_nop 0
	v_pk_mul_f32 v[46:47], s[8:9], v[30:31] op_sel_hi:[0,1]
	v_mfma_f32_16x16x16bf16_1k v[10:13], v[12:13], v[28:29], v[14:17]
	s_nop 6
	v_add_co_u32_e32 v14, vcc, s13, v38
	s_waitcnt vmcnt(5)
	v_mfma_f32_16x16x16bf16_1k v[10:13], v[6:7], v[22:23], v[10:13]
	v_addc_co_u32_e32 v15, vcc, v44, v39, vcc
	global_load_dword v51, v[14:15], off
	v_and_b32_e32 v14, 16, v0
	v_lshlrev_b32_e32 v14, 1, v14
	v_mov_b32_e32 v6, s1
	v_add_co_u32_e32 v7, vcc, s0, v14
	v_lshlrev_b32_e32 v14, 6, v54
	v_addc_co_u32_e32 v6, vcc, 0, v6, vcc
	v_lshl_or_b32 v14, v55, 10, v14
	v_add_co_u32_e32 v57, vcc, v7, v14
	v_addc_co_u32_e32 v62, vcc, 0, v6, vcc
	v_mfma_f32_16x16x16bf16_1k v[58:61], v[8:9], v[24:25], v[10:13]
	s_waitcnt vmcnt(3)
	v_mad_i64_i32 v[6:7], s[0:1], v48, s41, 0
	v_pk_mul_f32 v[48:49], s[8:9], v[36:37] op_sel_hi:[0,1]
	v_pk_mul_f32 v[44:45], s[8:9], v[32:33] op_sel_hi:[0,1]
	s_waitcnt vmcnt(1)
	v_mad_i64_i32 v[38:39], s[0:1], v41, s41, 0
	s_nop 0
	v_lshlrev_b64 v[10:11], 1, v[6:7]
	v_mfma_f32_16x16x16bf16_1k v[6:9], v[2:3], v[26:27], 0
	v_add_co_u32_e32 v2, vcc, v57, v10
	v_addc_co_u32_e32 v3, vcc, v62, v11, vcc
	global_load_dwordx4 v[14:17], v[2:3], off
	global_load_dwordx4 v[10:13], v[2:3], off offset:16
	v_mad_i64_i32 v[2:3], s[0:1], v40, s41, 0
	v_mfma_f32_16x16x16bf16_1k v[26:29], v[4:5], v[28:29], v[6:9]
	v_lshlrev_b64 v[2:3], 1, v[2:3]
	v_add_co_u32_e32 v2, vcc, v57, v2
	v_addc_co_u32_e32 v3, vcc, v62, v3, vcc
	v_lshlrev_b64 v[38:39], 1, v[38:39]
	v_pk_mul_f32 v[40:41], s[8:9], v[58:59] op_sel_hi:[0,1]
	v_mfma_f32_16x16x16bf16_1k v[26:29], v[18:19], v[22:23], v[26:29]
	v_pk_mul_f32 v[18:19], s[8:9], v[34:35] op_sel_hi:[0,1]
	v_add_co_u32_e32 v22, vcc, v57, v38
	v_addc_co_u32_e32 v23, vcc, v62, v39, vcc
	v_pk_mul_f32 v[38:39], s[8:9], v[60:61] op_sel_hi:[0,1]
	global_load_dwordx4 v[6:9], v[2:3], off
	s_nop 0
	global_load_dwordx4 v[2:5], v[2:3], off offset:16
	v_mfma_f32_16x16x16bf16_1k v[24:27], v[20:21], v[24:25], v[26:29]
	v_and_b32_e32 v20, 0xc0, v0
	v_add_u32_e32 v20, s12, v20
	v_lshl_or_b32 v20, v53, 2, v20
	v_or_b32_e32 v21, 1, v20
	v_cmp_gt_i32_e64 s[28:29], s33, v20
	v_cmp_gt_i32_e64 s[30:31], s33, v21
	s_nop 4
	v_pk_mul_f32 v[36:37], s[8:9], v[24:25] op_sel_hi:[0,1]
	v_subrev_u32_e32 v24, s33, v21
	v_pk_mul_f32 v[34:35], s[8:9], v[26:27] op_sel_hi:[0,1]
	v_add_u32_e32 v26, 1, v24
	v_add_u32_e32 v27, 2, v24
	v_cvt_f32_i32_e32 v25, v24
	v_cvt_f32_i32_e32 v26, v26
	;; [unrolled: 1-line block ×3, first 2 shown]
	v_add_u32_e32 v28, 3, v24
	v_fma_f32 v18, v50, v25, v18
	v_fmac_f32_e32 v19, v50, v26
	v_fma_f32 v48, v50, v27, v48
	v_add_u32_e32 v25, 16, v24
	v_add_u32_e32 v26, 17, v24
	;; [unrolled: 1-line block ×3, first 2 shown]
	v_cvt_f32_i32_e32 v28, v28
	v_cvt_f32_i32_e32 v25, v25
	v_cvt_f32_i32_e32 v26, v26
	v_cvt_f32_i32_e32 v27, v27
	v_fmac_f32_e32 v49, v50, v28
	v_add_u32_e32 v28, 19, v24
	v_fma_f32 v46, v50, v25, v46
	v_fmac_f32_e32 v47, v50, v26
	v_fma_f32 v44, v50, v27, v44
	v_add_u32_e32 v25, 32, v24
	v_add_u32_e32 v26, 33, v24
	v_add_u32_e32 v27, 34, v24
	v_cvt_f32_i32_e32 v28, v28
	v_cvt_f32_i32_e32 v25, v25
	;; [unrolled: 1-line block ×4, first 2 shown]
	v_fmac_f32_e32 v45, v50, v28
	v_add_u32_e32 v28, 35, v24
	v_fma_f32 v40, v50, v25, v40
	v_fmac_f32_e32 v41, v50, v26
	v_fma_f32 v38, v50, v27, v38
	v_add_u32_e32 v25, 48, v24
	v_add_u32_e32 v26, 49, v24
	;; [unrolled: 1-line block ×4, first 2 shown]
	v_cvt_f32_i32_e32 v24, v24
	v_cvt_f32_i32_e32 v25, v25
	v_cvt_f32_i32_e32 v26, v26
	v_cvt_f32_i32_e32 v28, v28
	v_fmac_f32_e32 v35, v50, v24
	v_mov_b32_e32 v24, 0xff7fffff
	v_fma_f32 v36, v50, v25, v36
	v_cndmask_b32_e64 v25, v24, v18, s[28:29]
	v_cndmask_b32_e64 v21, v24, v19, s[30:31]
	v_fmac_f32_e32 v37, v50, v26
	v_max3_f32 v21, v25, s40, v21
	v_or_b32_e32 v25, 2, v20
	v_or_b32_e32 v26, 3, v20
	v_cmp_gt_i32_e64 s[34:35], s33, v25
	v_cmp_gt_i32_e64 s[36:37], s33, v26
	v_cndmask_b32_e64 v25, v24, v48, s[34:35]
	v_cndmask_b32_e64 v26, v24, v49, s[36:37]
	v_max3_f32 v21, v21, v25, v26
	v_or_b32_e32 v25, 16, v20
	v_or_b32_e32 v26, 17, v20
	v_cmp_gt_i32_e64 s[22:23], s33, v25
	v_cmp_gt_i32_e64 s[24:25], s33, v26
	v_cndmask_b32_e64 v25, v24, v46, s[22:23]
	v_cndmask_b32_e64 v26, v24, v47, s[24:25]
	;; [unrolled: 7-line block ×4, first 2 shown]
	v_max3_f32 v21, v21, v25, v26
	v_or_b32_e32 v25, 34, v20
	v_or_b32_e32 v26, 35, v20
	v_fmac_f32_e32 v39, v50, v28
	v_cmp_gt_i32_e64 s[10:11], s33, v25
	v_cmp_gt_i32_e64 s[12:13], s33, v26
	v_cndmask_b32_e64 v25, v24, v38, s[10:11]
	v_cndmask_b32_e64 v26, v24, v39, s[12:13]
	v_cvt_f32_i32_e32 v27, v27
	v_max3_f32 v21, v21, v25, v26
	v_or_b32_e32 v25, 48, v20
	v_or_b32_e32 v26, 49, v20
	v_cmp_gt_i32_e64 s[2:3], s33, v25
	v_cmp_gt_i32_e64 s[8:9], s33, v26
	v_cndmask_b32_e64 v25, v24, v36, s[2:3]
	v_cndmask_b32_e64 v26, v24, v37, s[8:9]
	v_max3_f32 v21, v21, v25, v26
	v_or_b32_e32 v25, 50, v20
	v_or_b32_e32 v20, 51, v20
	v_fma_f32 v34, v50, v27, v34
	v_cmp_gt_i32_e32 vcc, s33, v25
	v_cmp_gt_i32_e64 s[0:1], s33, v20
	v_cndmask_b32_e32 v25, v24, v34, vcc
	v_cndmask_b32_e64 v20, v24, v35, s[0:1]
	v_max3_f32 v26, v21, v25, v20
	v_mbcnt_lo_u32_b32 v20, -1, 0
	v_mbcnt_hi_u32_b32 v27, -1, v20
	v_and_b32_e32 v20, 64, v27
	v_add_u32_e32 v28, 64, v20
	v_xor_b32_e32 v20, 32, v27
	v_cmp_lt_i32_e64 s[38:39], v20, v28
	v_cndmask_b32_e64 v20, v27, v20, s[38:39]
	v_lshlrev_b32_e32 v58, 2, v20
	ds_bpermute_b32 v29, v58, v26
	s_waitcnt vmcnt(4)
	v_mad_i64_i32 v[20:21], s[38:39], v51, s41, 0
	v_lshlrev_b64 v[20:21], 1, v[20:21]
	global_load_dwordx4 v[30:33], v[22:23], off
	s_nop 0
	global_load_dwordx4 v[22:25], v[22:23], off offset:16
	s_waitcnt lgkmcnt(0)
	v_max_f32_e32 v29, v29, v29
	v_max_f32_e32 v26, v26, v29
	v_xor_b32_e32 v29, 16, v27
	v_cmp_lt_i32_e64 s[38:39], v29, v28
	v_cndmask_b32_e64 v27, v27, v29, s[38:39]
	v_lshlrev_b32_e32 v60, 2, v27
	ds_bpermute_b32 v27, v60, v26
	v_add_co_u32_e64 v20, s[38:39], v57, v20
	v_addc_co_u32_e64 v21, s[38:39], v62, v21, s[38:39]
	s_waitcnt lgkmcnt(0)
	v_max_f32_e32 v27, v27, v27
	v_max_f32_e32 v57, v26, v27
	v_sub_f32_e32 v18, v18, v57
	v_mul_f32_e32 v18, 0x3fb8aa3b, v18
	v_exp_f32_e32 v50, v18
	v_sub_f32_e32 v18, v19, v57
	v_mul_f32_e32 v18, 0x3fb8aa3b, v18
	v_exp_f32_e32 v51, v18
	global_load_dwordx4 v[26:29], v[20:21], off
	s_nop 0
	global_load_dwordx4 v[18:21], v[20:21], off offset:16
	v_sub_f32_e32 v48, v48, v57
	v_mul_f32_e32 v48, 0x3fb8aa3b, v48
	v_sub_f32_e32 v49, v49, v57
	v_exp_f32_e32 v48, v48
	v_mul_f32_e32 v49, 0x3fb8aa3b, v49
	v_sub_f32_e32 v46, v46, v57
	v_exp_f32_e32 v49, v49
	v_mul_f32_e32 v46, 0x3fb8aa3b, v46
	v_sub_f32_e32 v47, v47, v57
	v_cndmask_b32_e64 v50, 0, v50, s[28:29]
	v_exp_f32_e32 v46, v46
	v_mul_f32_e32 v47, 0x3fb8aa3b, v47
	v_sub_f32_e32 v44, v44, v57
	v_add_f32_e32 v59, 0, v50
	v_cndmask_b32_e64 v51, 0, v51, s[30:31]
	v_exp_f32_e32 v47, v47
	v_mul_f32_e32 v44, 0x3fb8aa3b, v44
	v_sub_f32_e32 v45, v45, v57
	v_add_f32_e32 v59, v59, v51
	;; [unrolled: 5-line block ×10, first 2 shown]
	v_cndmask_b32_e64 v38, 0, v38, s[10:11]
	v_exp_f32_e32 v34, v34
	v_mul_f32_e32 v35, 0x3fb8aa3b, v35
	v_add_f32_e32 v59, v59, v38
	v_cndmask_b32_e64 v39, 0, v39, s[12:13]
	v_exp_f32_e32 v35, v35
	v_add_f32_e32 v59, v59, v39
	v_cndmask_b32_e64 v36, 0, v36, s[2:3]
	v_add_f32_e32 v59, v59, v36
	v_cndmask_b32_e64 v37, 0, v37, s[8:9]
	v_add_f32_e32 v59, v59, v37
	v_cndmask_b32_e32 v34, 0, v34, vcc
	v_add_f32_e32 v59, v59, v34
	v_cndmask_b32_e64 v35, 0, v35, s[0:1]
	v_add_f32_e32 v59, v59, v35
	ds_bpermute_b32 v58, v58, v59
	s_load_dword s3, s[4:5], 0x98
	v_cmp_gt_u32_e32 vcc, 16, v56
	s_waitcnt lgkmcnt(0)
	s_barrier
	v_add_f32_e32 v59, v59, v58
	ds_bpermute_b32 v60, v60, v59
	v_lshlrev_b32_e32 v58, 2, v54
	s_waitcnt lgkmcnt(0)
	s_and_saveexec_b64 s[0:1], vcc
	s_cbranch_execz .LBB267_17
; %bb.16:
	v_add_f32_e32 v56, v59, v60
	v_lshl_or_b32 v59, v55, 6, v58
	ds_write2st64_b32 v59, v57, v56 offset1:1
.LBB267_17:
	s_or_b64 exec, exec, s[0:1]
	s_load_dword s2, s[4:5], 0x94
	s_waitcnt lgkmcnt(0)
	s_barrier
	ds_read2_b32 v[60:61], v58 offset1:16
	ds_read2_b32 v[62:63], v58 offset0:32 offset1:48
	ds_read2_b32 v[64:65], v58 offset0:64 offset1:80
	;; [unrolled: 1-line block ×3, first 2 shown]
	s_movk_i32 s8, 0x7fff
	s_waitcnt lgkmcnt(3)
	v_max3_f32 v56, v60, s40, v61
	s_waitcnt lgkmcnt(2)
	v_max3_f32 v56, v56, v62, v63
	v_sub_f32_e32 v57, v60, v56
	v_mul_f32_e32 v57, 0x3fb8aa3b, v57
	v_exp_f32_e32 v60, v57
	v_sub_f32_e32 v57, v61, v56
	v_mul_f32_e32 v57, 0x3fb8aa3b, v57
	v_exp_f32_e32 v61, v57
	;; [unrolled: 3-line block ×4, first 2 shown]
	s_waitcnt lgkmcnt(1)
	v_fma_f32 v57, v60, v64, 0
	v_fmac_f32_e32 v57, v61, v65
	s_waitcnt lgkmcnt(0)
	v_fmac_f32_e32 v57, v62, v58
	v_fmac_f32_e32 v57, v63, v59
	v_add_f32_e32 v58, 0x358637bd, v57
	v_div_scale_f32 v59, s[0:1], v58, v58, 1.0
	v_rcp_f32_e32 v64, v59
	s_mov_b32 s9, 0x7060302
	s_lshl_b32 s3, s3, 2
	v_fma_f32 v65, -v59, v64, 1.0
	v_fmac_f32_e32 v64, v65, v64
	v_div_scale_f32 v65, vcc, 1.0, v58, 1.0
	v_mul_f32_e32 v66, v65, v64
	v_fma_f32 v67, -v59, v66, v65
	v_fmac_f32_e32 v66, v67, v64
	v_fma_f32 v59, -v59, v66, v65
	v_div_fmas_f32 v59, v59, v64, v66
	v_cmp_eq_u32_e32 vcc, 1, v55
	v_div_fixup_f32 v58, v59, v58, 1.0
	v_cndmask_b32_e32 v59, v60, v61, vcc
	v_cmp_eq_u32_e32 vcc, 2, v55
	v_cndmask_b32_e32 v59, v59, v62, vcc
	v_cmp_eq_u32_e32 vcc, 3, v55
	v_cndmask_b32_e32 v59, v59, v63, vcc
	v_mul_f32_e32 v58, v59, v58
	v_pk_mul_f32 v[50:51], v[58:59], v[50:51] op_sel_hi:[0,1]
	v_pk_mul_f32 v[48:49], v[58:59], v[48:49] op_sel_hi:[0,1]
	v_bfe_u32 v59, v51, 16, 1
	v_bfe_u32 v60, v50, 16, 1
	v_add3_u32 v50, v50, v60, s8
	v_add3_u32 v51, v51, v59, s8
	v_perm_b32 v50, v51, v50, s9
	v_bfe_u32 v51, v49, 16, 1
	v_bfe_u32 v59, v48, 16, 1
	v_add3_u32 v48, v48, v59, s8
	v_add3_u32 v49, v49, v51, s8
	v_perm_b32 v51, v49, v48, s9
	v_lshlrev_b32_e32 v48, 3, v53
	v_lshlrev_b32_e32 v49, 5, v54
	;; [unrolled: 1-line block ×3, first 2 shown]
	v_pk_mul_f32 v[46:47], v[58:59], v[46:47] op_sel_hi:[0,1]
	v_or3_b32 v48, v54, v49, v48
	v_bfe_u32 v54, v47, 16, 1
	v_bfe_u32 v55, v46, 16, 1
	v_pk_mul_f32 v[44:45], v[58:59], v[44:45] op_sel_hi:[0,1]
	v_add3_u32 v46, v46, v55, s8
	v_add3_u32 v47, v47, v54, s8
	v_perm_b32 v46, v47, v46, s9
	v_bfe_u32 v47, v45, 16, 1
	v_bfe_u32 v54, v44, 16, 1
	v_add3_u32 v44, v44, v54, s8
	v_add3_u32 v45, v45, v47, s8
	v_pk_mul_f32 v[40:41], v[58:59], v[40:41] op_sel_hi:[0,1]
	v_perm_b32 v47, v45, v44, s9
	v_bfe_u32 v44, v41, 16, 1
	v_bfe_u32 v45, v40, 16, 1
	v_pk_mul_f32 v[38:39], v[58:59], v[38:39] op_sel_hi:[0,1]
	v_add3_u32 v40, v40, v45, s8
	v_add3_u32 v41, v41, v44, s8
	v_perm_b32 v40, v41, v40, s9
	v_bfe_u32 v41, v39, 16, 1
	v_bfe_u32 v44, v38, 16, 1
	v_add3_u32 v38, v38, v44, s8
	v_add3_u32 v39, v39, v41, s8
	v_pk_mul_f32 v[36:37], v[58:59], v[36:37] op_sel_hi:[0,1]
	v_perm_b32 v41, v39, v38, s9
	v_bfe_u32 v38, v37, 16, 1
	v_bfe_u32 v39, v36, 16, 1
	v_pk_mul_f32 v[34:35], v[58:59], v[34:35] op_sel_hi:[0,1]
	v_add3_u32 v36, v36, v39, s8
	v_add3_u32 v37, v37, v38, s8
	v_perm_b32 v36, v37, v36, s9
	v_bfe_u32 v37, v35, 16, 1
	v_bfe_u32 v38, v34, 16, 1
	v_add3_u32 v34, v34, v38, s8
	v_add3_u32 v35, v35, v37, s8
	v_perm_b32 v37, v35, v34, s9
	v_cmp_gt_u32_e32 vcc, 4, v0
	s_barrier
	ds_write2st64_b64 v48, v[50:51], v[46:47] offset1:1
	ds_write2st64_b64 v48, v[40:41], v[36:37] offset0:2 offset1:3
	s_and_saveexec_b64 s[0:1], vcc
	s_cbranch_execz .LBB267_19
; %bb.18:
	v_or_b32_e32 v34, s27, v0
	v_mov_b32_e32 v35, 0
	v_mov_b32_e32 v36, s3
	v_mad_u64_u32 v[36:37], s[10:11], s6, v36, v[34:35]
	v_mov_b32_e32 v34, s26
	s_load_dwordx4 s[12:15], s[4:5], 0x58
	s_mul_i32 s7, s7, s3
	v_mad_u64_u32 v[34:35], s[10:11], v36, s2, v[34:35]
	v_add_u32_e32 v37, s7, v37
	v_mov_b32_e32 v36, v35
	v_mad_u64_u32 v[36:37], s[10:11], v37, s2, v[36:37]
	v_mov_b32_e32 v35, v36
	v_lshlrev_b64 v[34:35], 2, v[34:35]
	s_waitcnt lgkmcnt(0)
	v_mov_b32_e32 v37, s15
	v_add_co_u32_e32 v36, vcc, s14, v34
	v_addc_co_u32_e32 v37, vcc, v37, v35, vcc
	global_store_dword v[36:37], v56, off
	v_mov_b32_e32 v36, s13
	v_add_co_u32_e32 v34, vcc, s12, v34
	v_addc_co_u32_e32 v35, vcc, v36, v35, vcc
	global_store_dword v[34:35], v57, off
.LBB267_19:
	s_or_b64 exec, exec, s[0:1]
	v_lshl_or_b32 v49, v53, 9, v49
	s_waitcnt lgkmcnt(0)
	s_barrier
	ds_read_b128 v[34:37], v49
	ds_read_b128 v[38:41], v49 offset:16
	s_waitcnt vmcnt(7) lgkmcnt(1)
	v_mfma_f32_16x16x16bf16_1k v[44:47], v[14:15], v[34:35], 0
	s_mov_b32 s1, 0
	v_mfma_f32_16x16x16bf16_1k v[14:17], v[16:17], v[36:37], v[44:47]
	s_waitcnt vmcnt(6) lgkmcnt(0)
	v_mfma_f32_16x16x16bf16_1k v[14:17], v[10:11], v[38:39], v[14:17]
	v_mfma_f32_16x16x16bf16_1k v[10:13], v[12:13], v[40:41], v[14:17]
	s_nop 7
	s_nop 1
	ds_read_b128 v[14:17], v49 offset:2048
	ds_read_b128 v[34:37], v49 offset:2064
	s_waitcnt vmcnt(5) lgkmcnt(1)
	v_mfma_f32_16x16x16bf16_1k v[10:13], v[6:7], v[14:15], v[10:13]
	v_mfma_f32_16x16x16bf16_1k v[6:9], v[8:9], v[16:17], v[10:13]
	s_waitcnt vmcnt(4) lgkmcnt(0)
	v_mfma_f32_16x16x16bf16_1k v[6:9], v[2:3], v[34:35], v[6:9]
	v_mfma_f32_16x16x16bf16_1k v[2:5], v[4:5], v[36:37], v[6:9]
	s_nop 7
	s_nop 1
	ds_read_b128 v[6:9], v49 offset:4096
	ds_read_b128 v[10:13], v49 offset:4112
	s_waitcnt vmcnt(3) lgkmcnt(1)
	v_mfma_f32_16x16x16bf16_1k v[2:5], v[30:31], v[6:7], v[2:5]
	v_mfma_f32_16x16x16bf16_1k v[2:5], v[32:33], v[8:9], v[2:5]
	s_waitcnt vmcnt(2) lgkmcnt(0)
	v_mfma_f32_16x16x16bf16_1k v[2:5], v[22:23], v[10:11], v[2:5]
	v_mfma_f32_16x16x16bf16_1k v[2:5], v[24:25], v[12:13], v[2:5]
	ds_read_b128 v[6:9], v49 offset:6144
	ds_read_b128 v[10:13], v49 offset:6160
	s_waitcnt lgkmcnt(0)
	s_barrier
	s_waitcnt vmcnt(1)
	v_mfma_f32_16x16x16bf16_1k v[2:5], v[26:27], v[6:7], v[2:5]
	v_mfma_f32_16x16x16bf16_1k v[2:5], v[28:29], v[8:9], v[2:5]
	s_waitcnt vmcnt(0)
	v_mfma_f32_16x16x16bf16_1k v[2:5], v[18:19], v[10:11], v[2:5]
	v_mfma_f32_16x16x16bf16_1k v[2:5], v[20:21], v[12:13], v[2:5]
	s_nop 7
	s_nop 2
	v_bfe_u32 v6, v3, 16, 1
	v_bfe_u32 v7, v2, 16, 1
	;; [unrolled: 1-line block ×4, first 2 shown]
	v_add3_u32 v2, v2, v7, s8
	v_add3_u32 v3, v3, v6, s8
	;; [unrolled: 1-line block ×4, first 2 shown]
	v_perm_b32 v2, v3, v2, s9
	v_perm_b32 v3, v5, v4, s9
	ds_write_b64 v48, v[2:3]
	s_waitcnt lgkmcnt(0)
	s_barrier
	s_and_saveexec_b64 s[8:9], s[44:45]
	s_cbranch_execz .LBB267_21
; %bb.20:
	s_load_dwordx2 s[4:5], s[4:5], 0x68
	s_lshl_b32 s7, s2, 6
	s_mul_i32 s0, s3, s6
	s_mul_hi_u32 s3, s0, s7
	s_mul_i32 s2, s0, s7
	s_lshl_b64 s[2:3], s[2:3], 1
	s_waitcnt lgkmcnt(0)
	s_add_u32 s2, s4, s2
	v_lshlrev_b32_e32 v2, 10, v0
	v_lshlrev_b32_e32 v0, 4, v0
	s_addc_u32 s3, s5, s3
	s_lshl_b32 s0, s26, 6
	v_and_b32_e32 v2, 0x1800, v2
	v_and_b32_e32 v0, 16, v0
	s_lshl_b64 s[0:1], s[0:1], 1
	v_or3_b32 v0, v2, v52, v0
	s_add_u32 s2, s2, s0
	ds_read_b128 v[2:5], v0
	s_addc_u32 s3, s3, s1
	v_mad_u64_u32 v[0:1], s[0:1], s7, v1, 0
	v_lshlrev_b64 v[0:1], 1, v[0:1]
	v_mov_b32_e32 v6, s3
	v_add_co_u32_e32 v0, vcc, s2, v0
	v_addc_co_u32_e32 v1, vcc, v6, v1, vcc
	v_add_co_u32_e32 v0, vcc, v0, v42
	v_addc_co_u32_e32 v1, vcc, v1, v43, vcc
	s_waitcnt lgkmcnt(0)
	global_store_dwordx4 v[0:1], v[2:5], off
.LBB267_21:
	s_endpgm
	.section	.rodata,"a",@progbits
	.p2align	6, 0x0
	.amdhsa_kernel _Z39paged_attention_ll4mi_QKV_mfma16_kernelI14__hip_bfloat16S0_LN4vllm18Fp8KVCacheDataTypeE0ES0_Li32ELi64ELi256ELb1ELi4EL8MFMAType0EEvPKT_PKT0_S9_ifPKiSB_SB_iPKfiiiPfSE_PS4_PT2_iSD_SD_
		.amdhsa_group_segment_fixed_size 8192
		.amdhsa_private_segment_fixed_size 0
		.amdhsa_kernarg_size 400
		.amdhsa_user_sgpr_count 6
		.amdhsa_user_sgpr_private_segment_buffer 1
		.amdhsa_user_sgpr_dispatch_ptr 0
		.amdhsa_user_sgpr_queue_ptr 0
		.amdhsa_user_sgpr_kernarg_segment_ptr 1
		.amdhsa_user_sgpr_dispatch_id 0
		.amdhsa_user_sgpr_flat_scratch_init 0
		.amdhsa_user_sgpr_kernarg_preload_length 0
		.amdhsa_user_sgpr_kernarg_preload_offset 0
		.amdhsa_user_sgpr_private_segment_size 0
		.amdhsa_uses_dynamic_stack 0
		.amdhsa_system_sgpr_private_segment_wavefront_offset 0
		.amdhsa_system_sgpr_workgroup_id_x 1
		.amdhsa_system_sgpr_workgroup_id_y 1
		.amdhsa_system_sgpr_workgroup_id_z 1
		.amdhsa_system_sgpr_workgroup_info 0
		.amdhsa_system_vgpr_workitem_id 0
		.amdhsa_next_free_vgpr 68
		.amdhsa_next_free_sgpr 46
		.amdhsa_accum_offset 68
		.amdhsa_reserve_vcc 1
		.amdhsa_reserve_flat_scratch 0
		.amdhsa_float_round_mode_32 0
		.amdhsa_float_round_mode_16_64 0
		.amdhsa_float_denorm_mode_32 3
		.amdhsa_float_denorm_mode_16_64 3
		.amdhsa_dx10_clamp 1
		.amdhsa_ieee_mode 1
		.amdhsa_fp16_overflow 0
		.amdhsa_tg_split 0
		.amdhsa_exception_fp_ieee_invalid_op 0
		.amdhsa_exception_fp_denorm_src 0
		.amdhsa_exception_fp_ieee_div_zero 0
		.amdhsa_exception_fp_ieee_overflow 0
		.amdhsa_exception_fp_ieee_underflow 0
		.amdhsa_exception_fp_ieee_inexact 0
		.amdhsa_exception_int_div_zero 0
	.end_amdhsa_kernel
	.section	.text._Z39paged_attention_ll4mi_QKV_mfma16_kernelI14__hip_bfloat16S0_LN4vllm18Fp8KVCacheDataTypeE0ES0_Li32ELi64ELi256ELb1ELi4EL8MFMAType0EEvPKT_PKT0_S9_ifPKiSB_SB_iPKfiiiPfSE_PS4_PT2_iSD_SD_,"axG",@progbits,_Z39paged_attention_ll4mi_QKV_mfma16_kernelI14__hip_bfloat16S0_LN4vllm18Fp8KVCacheDataTypeE0ES0_Li32ELi64ELi256ELb1ELi4EL8MFMAType0EEvPKT_PKT0_S9_ifPKiSB_SB_iPKfiiiPfSE_PS4_PT2_iSD_SD_,comdat
.Lfunc_end267:
	.size	_Z39paged_attention_ll4mi_QKV_mfma16_kernelI14__hip_bfloat16S0_LN4vllm18Fp8KVCacheDataTypeE0ES0_Li32ELi64ELi256ELb1ELi4EL8MFMAType0EEvPKT_PKT0_S9_ifPKiSB_SB_iPKfiiiPfSE_PS4_PT2_iSD_SD_, .Lfunc_end267-_Z39paged_attention_ll4mi_QKV_mfma16_kernelI14__hip_bfloat16S0_LN4vllm18Fp8KVCacheDataTypeE0ES0_Li32ELi64ELi256ELb1ELi4EL8MFMAType0EEvPKT_PKT0_S9_ifPKiSB_SB_iPKfiiiPfSE_PS4_PT2_iSD_SD_
                                        ; -- End function
	.section	.AMDGPU.csdata,"",@progbits
; Kernel info:
; codeLenInByte = 4524
; NumSgprs: 50
; NumVgprs: 68
; NumAgprs: 0
; TotalNumVgprs: 68
; ScratchSize: 0
; MemoryBound: 0
; FloatMode: 240
; IeeeMode: 1
; LDSByteSize: 8192 bytes/workgroup (compile time only)
; SGPRBlocks: 6
; VGPRBlocks: 8
; NumSGPRsForWavesPerEU: 50
; NumVGPRsForWavesPerEU: 68
; AccumOffset: 68
; Occupancy: 7
; WaveLimiterHint : 1
; COMPUTE_PGM_RSRC2:SCRATCH_EN: 0
; COMPUTE_PGM_RSRC2:USER_SGPR: 6
; COMPUTE_PGM_RSRC2:TRAP_HANDLER: 0
; COMPUTE_PGM_RSRC2:TGID_X_EN: 1
; COMPUTE_PGM_RSRC2:TGID_Y_EN: 1
; COMPUTE_PGM_RSRC2:TGID_Z_EN: 1
; COMPUTE_PGM_RSRC2:TIDIG_COMP_CNT: 0
; COMPUTE_PGM_RSRC3_GFX90A:ACCUM_OFFSET: 16
; COMPUTE_PGM_RSRC3_GFX90A:TG_SPLIT: 0
	.section	.text._Z38paged_attention_ll4mi_QKV_mfma4_kernelI14__hip_bfloat16S0_LN4vllm18Fp8KVCacheDataTypeE0ES0_Li32ELi64ELi256ELb0ELi1EEvPKT_PKT0_S8_ifPKiSA_SA_iPKfiiiPfSD_PS3_PT2_iSC_SC_,"axG",@progbits,_Z38paged_attention_ll4mi_QKV_mfma4_kernelI14__hip_bfloat16S0_LN4vllm18Fp8KVCacheDataTypeE0ES0_Li32ELi64ELi256ELb0ELi1EEvPKT_PKT0_S8_ifPKiSA_SA_iPKfiiiPfSD_PS3_PT2_iSC_SC_,comdat
	.protected	_Z38paged_attention_ll4mi_QKV_mfma4_kernelI14__hip_bfloat16S0_LN4vllm18Fp8KVCacheDataTypeE0ES0_Li32ELi64ELi256ELb0ELi1EEvPKT_PKT0_S8_ifPKiSA_SA_iPKfiiiPfSD_PS3_PT2_iSC_SC_ ; -- Begin function _Z38paged_attention_ll4mi_QKV_mfma4_kernelI14__hip_bfloat16S0_LN4vllm18Fp8KVCacheDataTypeE0ES0_Li32ELi64ELi256ELb0ELi1EEvPKT_PKT0_S8_ifPKiSA_SA_iPKfiiiPfSD_PS3_PT2_iSC_SC_
	.globl	_Z38paged_attention_ll4mi_QKV_mfma4_kernelI14__hip_bfloat16S0_LN4vllm18Fp8KVCacheDataTypeE0ES0_Li32ELi64ELi256ELb0ELi1EEvPKT_PKT0_S8_ifPKiSA_SA_iPKfiiiPfSD_PS3_PT2_iSC_SC_
	.p2align	8
	.type	_Z38paged_attention_ll4mi_QKV_mfma4_kernelI14__hip_bfloat16S0_LN4vllm18Fp8KVCacheDataTypeE0ES0_Li32ELi64ELi256ELb0ELi1EEvPKT_PKT0_S8_ifPKiSA_SA_iPKfiiiPfSD_PS3_PT2_iSC_SC_,@function
_Z38paged_attention_ll4mi_QKV_mfma4_kernelI14__hip_bfloat16S0_LN4vllm18Fp8KVCacheDataTypeE0ES0_Li32ELi64ELi256ELb0ELi1EEvPKT_PKT0_S8_ifPKiSA_SA_iPKfiiiPfSD_PS3_PT2_iSC_SC_: ; @_Z38paged_attention_ll4mi_QKV_mfma4_kernelI14__hip_bfloat16S0_LN4vllm18Fp8KVCacheDataTypeE0ES0_Li32ELi64ELi256ELb0ELi1EEvPKT_PKT0_S8_ifPKiSA_SA_iPKfiiiPfSD_PS3_PT2_iSC_SC_
; %bb.0:
	s_load_dwordx2 s[2:3], s[4:5], 0x30
	s_mov_b32 s24, s7
	s_mov_b64 s[0:1], 0
	s_waitcnt lgkmcnt(0)
	s_cmp_lg_u64 s[2:3], 0
	s_cselect_b64 s[10:11], -1, 0
	s_and_b64 vcc, exec, s[10:11]
	s_cbranch_vccz .LBB268_10
; %bb.1:
	s_add_i32 s12, s6, 1
	s_mov_b32 s13, 0
	s_lshl_b64 s[14:15], s[12:13], 2
	s_add_u32 s14, s2, s14
	s_mov_b32 s7, s13
	s_addc_u32 s15, s3, s15
	s_lshl_b64 s[12:13], s[6:7], 2
	s_add_u32 s12, s2, s12
	s_addc_u32 s13, s3, s13
	s_load_dword s9, s[14:15], 0x0
	s_load_dword s16, s[12:13], 0x0
	s_waitcnt lgkmcnt(0)
	s_sub_i32 s9, s9, s16
	s_cmp_eq_u32 s9, 1
	s_cselect_b64 s[12:13], -1, 0
	s_andn2_b64 vcc, exec, s[0:1]
	s_cbranch_vccnz .LBB268_3
.LBB268_2:
	s_mov_b32 s7, 0
	s_mov_b64 s[12:13], -1
.LBB268_3:
	s_andn2_b64 vcc, exec, s[12:13]
	s_cbranch_vccnz .LBB268_23
; %bb.4:
	s_load_dword s9, s[4:5], 0x9c
	s_load_dwordx2 s[0:1], s[4:5], 0x28
	s_add_u32 s28, s4, 0x90
	s_addc_u32 s29, s5, 0
	s_lshl_b64 s[20:21], s[6:7], 2
	s_waitcnt lgkmcnt(0)
	s_and_b32 s12, s9, 0xffff
	s_add_u32 s0, s0, s20
	s_addc_u32 s1, s1, s21
	s_load_dword s9, s[0:1], 0x0
	s_mul_i32 s16, s24, s12
	s_waitcnt lgkmcnt(0)
	s_cmp_ge_i32 s16, s9
	s_cbranch_scc1 .LBB268_23
; %bb.5:
	v_and_b32_e32 v2, 0xc0, v0
	v_add_u32_e32 v2, s16, v2
	v_lshrrev_b32_e32 v1, 6, v0
	v_cmp_gt_i32_e64 s[0:1], s9, v2
	v_cmp_le_i32_e32 vcc, s9, v2
                                        ; implicit-def: $sgpr18
                                        ; implicit-def: $sgpr17
	s_and_saveexec_b64 s[12:13], vcc
	s_xor_b64 s[12:13], exec, s[12:13]
	s_cbranch_execz .LBB268_7
; %bb.6:
	v_mul_u32_u24_e32 v2, 20, v1
	v_or_b32_e32 v2, 0xa00, v2
	v_mov_b32_e32 v3, 0xa50
	v_mov_b32_e32 v4, 0xff7fffff
	v_mad_u32_u24 v3, v1, 20, v3
	ds_write2_b32 v2, v4, v4 offset1:1
	v_mov_b32_e32 v2, 0
	ds_write2_b32 v3, v2, v2 offset1:1
	v_mov_b32_e32 v3, 0xa08
	s_mov_b32 s17, 0xff7fffff
	s_mov_b32 s18, 0
	v_mad_u32_u24 v3, v1, 20, v3
	v_mov_b32_e32 v5, 0xa58
	v_mad_u32_u24 v5, v1, 20, v5
	ds_write2_b32 v3, v4, v4 offset1:1
	ds_write2_b32 v5, v2, v2 offset1:1
                                        ; implicit-def: $vgpr2
.LBB268_7:
	s_or_saveexec_b64 s[30:31], s[12:13]
	s_load_dwordx2 s[26:27], s[4:5], 0x68
	s_load_dwordx4 s[12:15], s[4:5], 0x58
	s_load_dword s7, s[28:29], 0x4
	v_and_b32_e32 v40, 63, v0
	v_and_b32_e32 v39, 3, v0
	v_mov_b32_e32 v37, s18
	v_mov_b32_e32 v41, s17
	;; [unrolled: 1-line block ×5, first 2 shown]
                                        ; implicit-def: $vgpr3
                                        ; implicit-def: $vgpr7
                                        ; implicit-def: $vgpr11
                                        ; implicit-def: $vgpr15
                                        ; implicit-def: $vgpr19
                                        ; implicit-def: $vgpr23
                                        ; implicit-def: $vgpr27
                                        ; implicit-def: $vgpr31
	s_xor_b64 exec, exec, s[30:31]
	s_cbranch_execz .LBB268_17
; %bb.8:
	s_add_i32 s22, s9, 31
	s_load_dwordx2 s[18:19], s[4:5], 0x20
	s_load_dword s17, s[4:5], 0x38
	s_ashr_i32 s23, s22, 31
	s_lshr_b32 s23, s23, 27
	v_add_u32_e32 v38, s16, v0
	s_add_i32 s22, s22, s23
	v_ashrrev_i32_e32 v3, 31, v38
	s_ashr_i32 s22, s22, 5
	v_lshrrev_b32_e32 v3, 27, v3
	s_add_i32 s25, s22, -1
	v_add_u32_e32 v3, v38, v3
	s_waitcnt lgkmcnt(0)
	s_mul_i32 s22, s6, s17
	s_mov_b32 s23, 0
	v_ashrrev_i32_e32 v3, 5, v3
	v_mov_b32_e32 v4, s25
	v_cmp_gt_i32_e32 vcc, s9, v38
	s_lshl_b64 s[22:23], s[22:23], 2
	v_cndmask_b32_e32 v4, v4, v3, vcc
	s_add_u32 s17, s18, s22
	v_ashrrev_i32_e32 v5, 31, v4
	s_addc_u32 s18, s19, s23
	v_lshlrev_b64 v[4:5], 2, v[4:5]
	v_mov_b32_e32 v3, s18
	v_add_co_u32_e32 v6, vcc, s17, v4
	v_addc_co_u32_e32 v7, vcc, v3, v5, vcc
	v_ashrrev_i32_e32 v3, 31, v2
	v_lshrrev_b32_e32 v3, 27, v3
	v_add_u32_e32 v2, v2, v3
	v_ashrrev_i32_e32 v4, 5, v2
	v_min_i32_e32 v2, s25, v4
	v_ashrrev_i32_e32 v3, 31, v2
	v_lshlrev_b64 v[2:3], 2, v[2:3]
	v_add_co_u32_e32 v8, vcc, s17, v2
	v_add_u32_e32 v2, 1, v4
	v_mov_b32_e32 v5, s18
	v_min_i32_e32 v2, s25, v2
	v_addc_co_u32_e32 v9, vcc, v5, v3, vcc
	v_ashrrev_i32_e32 v3, 31, v2
	v_lshlrev_b64 v[2:3], 2, v[2:3]
	v_mov_b32_e32 v4, s18
	v_add_co_u32_e32 v10, vcc, s17, v2
	v_addc_co_u32_e32 v11, vcc, v4, v3, vcc
	global_load_dword v2, v[6:7], off
	global_load_dword v5, v[8:9], off
	;; [unrolled: 1-line block ×3, first 2 shown]
	s_load_dwordx4 s[16:19], s[4:5], 0x8
	s_andn2_b64 vcc, exec, s[10:11]
	s_cbranch_vccnz .LBB268_11
; %bb.9:
	s_add_u32 s2, s2, s20
	s_addc_u32 s3, s3, s21
	s_load_dword s2, s[2:3], 0x0
	s_branch .LBB268_12
.LBB268_10:
	s_mov_b64 s[12:13], 0
	s_branch .LBB268_2
.LBB268_11:
	s_mov_b32 s2, s6
.LBB268_12:
	s_load_dwordx4 s[20:23], s[4:5], 0x48
	v_cmp_eq_u32_e32 vcc, 0, v39
	s_mov_b32 s3, 0
	v_mov_b32_e32 v41, 0
	v_mov_b32_e32 v3, 0
	v_mov_b32_e32 v34, 0
	v_mov_b32_e32 v35, 0
	v_mov_b32_e32 v36, 0
	v_mov_b32_e32 v37, 0
	s_and_saveexec_b64 s[10:11], vcc
	s_cbranch_execz .LBB268_14
; %bb.13:
	s_load_dwordx2 s[34:35], s[4:5], 0x0
	s_waitcnt lgkmcnt(0)
	s_ashr_i32 s23, s20, 31
	s_mul_hi_u32 s25, s2, s20
	s_mul_i32 s23, s2, s23
	s_add_i32 s37, s25, s23
	s_mul_i32 s36, s2, s20
	s_lshl_b64 s[36:37], s[36:37], 1
	s_add_u32 s20, s34, s36
	s_addc_u32 s23, s35, s37
	s_lshl_b32 s2, s8, 6
	s_lshl_b64 s[34:35], s[2:3], 1
	s_add_u32 s34, s20, s34
	s_addc_u32 s35, s23, s35
	v_lshlrev_b32_e32 v6, 2, v40
	global_load_dwordx4 v[34:37], v6, s[34:35]
	v_mov_b32_e32 v41, 1.0
.LBB268_14:
	s_or_b64 exec, exec, s[10:11]
	s_waitcnt lgkmcnt(0)
	s_mul_i32 s2, s8, s22
	s_waitcnt vmcnt(2)
	v_mad_i64_i32 v[6:7], s[10:11], v2, s21, 0
	s_lshl_b64 s[2:3], s[2:3], 1
	s_add_u32 s10, s2, s16
	v_lshlrev_b64 v[6:7], 1, v[6:7]
	s_addc_u32 s11, s3, s17
	v_mov_b32_e32 v2, s11
	v_add_co_u32_e32 v6, vcc, s10, v6
	v_addc_co_u32_e32 v2, vcc, v2, v7, vcc
	v_and_b32_e32 v7, 31, v0
	v_lshlrev_b32_e32 v7, 4, v7
	v_add_co_u32_e32 v30, vcc, v6, v7
	v_addc_co_u32_e32 v31, vcc, 0, v2, vcc
	global_load_dwordx4 v[6:9], v[30:31], off
	global_load_dwordx4 v[10:13], v[30:31], off offset:512
	global_load_dwordx4 v[14:17], v[30:31], off offset:1024
	;; [unrolled: 1-line block ×7, first 2 shown]
	s_waitcnt vmcnt(9)
	v_mul_hi_i32 v2, v5, s21
	v_cmp_eq_u32_e32 vcc, 1, v39
	v_ashrrev_i32_e32 v2, 31, v2
	s_waitcnt vmcnt(8)
	v_mul_hi_i32 v30, v4, s21
	v_cndmask_b32_e64 v52, 0, 1.0, vcc
	v_cmp_eq_u32_e32 vcc, 2, v39
	v_lshrrev_b32_e32 v2, 29, v2
	s_add_u32 s2, s18, s2
	v_lshlrev_b32_e32 v32, 6, v40
	v_cndmask_b32_e64 v53, 0, 1.0, vcc
	v_cmp_eq_u32_e32 vcc, 3, v39
	v_ashrrev_i32_e32 v33, 31, v30
	v_mad_i64_i32 v[30:31], s[10:11], v5, s21, v[2:3]
	s_addc_u32 s3, s19, s3
	v_cndmask_b32_e64 v54, 0, 1.0, vcc
	v_lshrrev_b32_e32 v2, 29, v33
	v_lshlrev_b64 v[30:31], 1, v[30:31]
	v_mov_b32_e32 v5, s3
	v_mad_i64_i32 v[2:3], s[10:11], v4, s21, v[2:3]
	v_and_b32_e32 v4, -16, v30
	v_lshlrev_b64 v[2:3], 1, v[2:3]
	v_and_b32_e32 v2, -16, v2
	s_load_dword s4, s[4:5], 0x1c
	v_and_b32_e32 v55, -4, v38
	v_or_b32_e32 v38, 3, v38
	v_cmp_gt_i32_e64 s[10:11], s9, v38
	v_lshlrev_b32_e32 v56, 2, v0
	s_waitcnt vmcnt(7)
	v_mfma_f32_4x4x4bf16_1k a[0:3], v[34:35], v[6:7], 0 cbsz:4
	v_add_co_u32_e32 v6, vcc, s2, v32
	v_mfma_f32_4x4x4bf16_1k a[0:3], v[36:37], v[8:9], a[0:3] cbsz:4
	v_addc_co_u32_e32 v5, vcc, 0, v5, vcc
	s_waitcnt vmcnt(6)
	v_mfma_f32_4x4x4bf16_1k a[0:3], v[34:35], v[10:11], a[0:3] cbsz:4 abid:1
	v_mfma_f32_4x4x4bf16_1k a[0:3], v[36:37], v[12:13], a[0:3] cbsz:4 abid:1
	s_waitcnt vmcnt(5)
	v_mfma_f32_4x4x4bf16_1k a[0:3], v[34:35], v[14:15], a[0:3] cbsz:4 abid:2
	v_mfma_f32_4x4x4bf16_1k a[0:3], v[36:37], v[16:17], a[0:3] cbsz:4 abid:2
	s_waitcnt vmcnt(4)
	v_mfma_f32_4x4x4bf16_1k a[0:3], v[34:35], v[18:19], a[0:3] cbsz:4 abid:3
	v_add_co_u32_e32 v18, vcc, v6, v4
	v_mfma_f32_4x4x4bf16_1k a[0:3], v[36:37], v[20:21], a[0:3] cbsz:4 abid:3
	v_addc_co_u32_e32 v19, vcc, v5, v31, vcc
	s_waitcnt vmcnt(3)
	v_mfma_f32_4x4x4bf16_1k a[0:3], v[34:35], v[22:23], a[0:3] cbsz:4 abid:4
	v_add_co_u32_e32 v50, vcc, v6, v2
	v_mfma_f32_4x4x4bf16_1k a[0:3], v[36:37], v[24:25], a[0:3] cbsz:4 abid:4
	v_addc_co_u32_e32 v51, vcc, v5, v3, vcc
	s_waitcnt vmcnt(2)
	v_mfma_f32_4x4x4bf16_1k a[0:3], v[34:35], v[26:27], a[0:3] cbsz:4 abid:5
	global_load_dwordx4 v[2:5], v[18:19], off
	global_load_dwordx4 v[6:9], v[18:19], off offset:16
	global_load_dwordx4 v[10:13], v[18:19], off offset:32
	;; [unrolled: 1-line block ×3, first 2 shown]
	v_mfma_f32_4x4x4bf16_1k a[0:3], v[36:37], v[28:29], a[0:3] cbsz:4 abid:5
	global_load_dwordx4 v[18:21], v[50:51], off
	global_load_dwordx4 v[22:25], v[50:51], off offset:16
	global_load_dwordx4 v[26:29], v[50:51], off offset:32
	;; [unrolled: 1-line block ×3, first 2 shown]
	s_waitcnt vmcnt(9)
	v_mfma_f32_4x4x4bf16_1k a[0:3], v[34:35], v[42:43], a[0:3] cbsz:4 abid:6
	v_mov_b32_e32 v42, 0xff7fffff
	v_mfma_f32_4x4x4bf16_1k a[0:3], v[36:37], v[44:45], a[0:3] cbsz:4 abid:6
	v_cmp_gt_i32_e32 vcc, s9, v55
	s_waitcnt vmcnt(8)
	v_mfma_f32_4x4x4bf16_1k a[0:3], v[34:35], v[46:47], a[0:3] cbsz:4 abid:7
	v_and_or_b32 v43, v56, 48, v39
	v_mfma_f32_4x4x4bf16_1k a[0:3], v[36:37], v[48:49], a[0:3] cbsz:4 abid:7
	v_lshlrev_b32_e32 v43, 2, v43
	s_nop 3
	v_accvgpr_read_b32 v35, a1
	v_accvgpr_read_b32 v34, a0
	s_waitcnt lgkmcnt(0)
	v_pk_mul_f32 v[34:35], s[4:5], v[34:35] op_sel_hi:[0,1]
	v_accvgpr_read_b32 v37, a3
	v_accvgpr_read_b32 v36, a2
	v_pk_mul_f32 v[36:37], s[4:5], v[36:37] op_sel_hi:[0,1]
	v_mfma_f32_4x4x1f32 a[0:3], v34, v41, 0
	v_or_b32_e32 v34, 1, v55
	v_mfma_f32_4x4x1f32 a[0:3], v35, v52, a[0:3]
	v_cmp_gt_i32_e64 s[2:3], s9, v34
	v_mfma_f32_4x4x1f32 a[0:3], v36, v53, a[0:3]
	v_or_b32_e32 v35, 2, v55
	v_mfma_f32_4x4x1f32 a[0:3], v37, v54, a[0:3]
	v_cmp_gt_i32_e64 s[4:5], s9, v35
	s_nop 3
	v_accvgpr_read_b32 v36, a0
	v_max_f32_e32 v41, v36, v36
	v_accvgpr_read_b32 v37, a1
	v_max_f32_e32 v41, 0xff7fffff, v41
	v_max_f32_e32 v46, v37, v37
	v_cndmask_b32_e32 v41, v42, v41, vcc
	v_accvgpr_read_b32 v44, a2
	v_max_f32_e32 v42, v41, v46
	v_max_f32_e32 v47, v44, v44
	v_cndmask_b32_e64 v34, v41, v42, s[2:3]
	v_accvgpr_read_b32 v45, a3
	v_max_f32_e32 v41, v34, v47
	v_max_f32_e32 v48, v45, v45
	v_cndmask_b32_e64 v34, v34, v41, s[4:5]
	v_max_f32_e32 v35, v34, v48
	v_cndmask_b32_e64 v34, v34, v35, s[10:11]
	;;#ASMSTART
	v_nop
 v_nop
 v_max_f32_dpp v34, v34, v34 row_ror:4
	;;#ASMEND
	;;#ASMSTART
	v_nop
 v_nop
 v_max_f32_dpp v34, v34, v34 row_ror:8
	;;#ASMEND
	ds_bpermute_b32 v34, v43, v34
	s_waitcnt lgkmcnt(0)
	;;#ASMSTART
	v_nop
 v_nop
 v_max_f32_dpp v34, v34, v34 row_ror:4
	;;#ASMEND
	;;#ASMSTART
	v_nop
 v_nop
 v_max_f32_dpp v41, v34, v34 row_ror:8
	;;#ASMEND
	v_sub_f32_e32 v34, v36, v41
	v_sub_f32_e32 v35, v37, v41
	v_mul_f32_e32 v34, 0x3fb8aa3b, v34
	v_sub_f32_e32 v36, v44, v41
	v_mul_f32_e32 v35, 0x3fb8aa3b, v35
	v_exp_f32_e32 v34, v34
	v_sub_f32_e32 v37, v45, v41
	v_mul_f32_e32 v36, 0x3fb8aa3b, v36
	v_exp_f32_e32 v35, v35
	v_mul_f32_e32 v37, 0x3fb8aa3b, v37
	v_exp_f32_e32 v36, v36
	v_exp_f32_e32 v37, v37
	v_cndmask_b32_e32 v34, 0, v34, vcc
	v_cndmask_b32_e64 v35, 0, v35, s[2:3]
	v_add_f32_e32 v38, 0, v34
	v_cndmask_b32_e64 v36, 0, v36, s[4:5]
	v_add_f32_e32 v38, v38, v35
	;; [unrolled: 2-line block ×3, first 2 shown]
	v_add_f32_e32 v38, v38, v37
	;;#ASMSTART
	v_nop
 v_nop
 v_add_f32_dpp v38, v38, v38 row_ror:4
	;;#ASMEND
	;;#ASMSTART
	v_nop
 v_nop
 v_add_f32_dpp v38, v38, v38 row_ror:8
	;;#ASMEND
	ds_bpermute_b32 v38, v43, v38
	s_waitcnt lgkmcnt(0)
	;;#ASMSTART
	v_nop
 v_nop
 v_add_f32_dpp v38, v38, v38 row_ror:4
	;;#ASMEND
	v_cmp_gt_u32_e32 vcc, 4, v40
	;;#ASMSTART
	v_nop
 v_nop
 v_add_f32_dpp v38, v38, v38 row_ror:8
	;;#ASMEND
	s_and_saveexec_b64 s[2:3], vcc
	s_cbranch_execz .LBB268_16
; %bb.15:
	v_mul_u32_u24_e32 v42, 20, v1
	v_lshl_add_u32 v42, v39, 2, v42
	v_add_u32_e32 v42, 0x800, v42
	ds_write2_b32 v42, v41, v38 offset0:128 offset1:148
.LBB268_16:
	s_or_b64 exec, exec, s[2:3]
.LBB268_17:
	s_or_b64 exec, exec, s[30:31]
	s_waitcnt lgkmcnt(0)
	s_barrier
	s_load_dword s2, s[28:29], 0x8
	v_lshlrev_b32_e32 v38, 2, v39
	v_add_u32_e32 v43, 0x800, v38
	ds_read2_b32 v[44:45], v43 offset0:128 offset1:133
	ds_read2_b32 v[46:47], v43 offset0:138 offset1:143
	s_mul_i32 s3, s7, s6
	s_waitcnt lgkmcnt(0)
	s_mul_i32 s2, s3, s2
	s_mov_b32 s3, 0xff7fffff
	v_max3_f32 v38, v44, s3, v45
	v_max3_f32 v42, v38, v46, v47
	v_sub_f32_e32 v38, v44, v42
	v_sub_f32_e32 v44, v45, v42
	v_mul_f32_e32 v44, 0x3fb8aa3b, v44
	ds_read2_b32 v[48:49], v43 offset0:148 offset1:153
	v_mul_f32_e32 v38, 0x3fb8aa3b, v38
	v_exp_f32_e32 v51, v44
	ds_read2_b32 v[44:45], v43 offset0:158 offset1:163
	v_sub_f32_e32 v43, v46, v42
	v_exp_f32_e32 v50, v38
	v_mul_f32_e32 v43, 0x3fb8aa3b, v43
	v_exp_f32_e32 v46, v43
	v_sub_f32_e32 v43, v47, v42
	v_mul_f32_e32 v43, 0x3fb8aa3b, v43
	v_exp_f32_e32 v47, v43
	s_waitcnt lgkmcnt(1)
	v_fma_f32 v43, v50, v48, 0
	v_fmac_f32_e32 v43, v51, v49
	s_waitcnt lgkmcnt(0)
	v_fmac_f32_e32 v43, v46, v44
	v_mov_b32_e32 v38, 0
	v_fmac_f32_e32 v43, v47, v45
	s_mov_b32 s3, 0
	v_cmp_eq_u32_e32 vcc, 0, v39
	s_and_saveexec_b64 s[4:5], vcc
	s_cbranch_execz .LBB268_19
; %bb.18:
	s_lshl_b64 s[10:11], s[2:3], 2
	s_add_u32 s6, s12, s10
	s_mov_b32 s25, s3
	s_addc_u32 s9, s13, s11
	s_lshl_b64 s[12:13], s[24:25], 2
	s_add_u32 s6, s6, s12
	s_addc_u32 s9, s9, s13
	s_add_u32 s10, s14, s10
	s_addc_u32 s11, s15, s11
	;; [unrolled: 2-line block ×3, first 2 shown]
	s_mul_i32 s10, s7, s8
	s_mov_b32 s11, s3
	s_lshl_b64 s[10:11], s[10:11], 2
	s_add_u32 s12, s6, s10
	s_addc_u32 s13, s9, s11
	s_add_u32 s10, s14, s10
	s_addc_u32 s11, s15, s11
	global_store_dword v38, v42, s[10:11]
	global_store_dword v38, v43, s[12:13]
.LBB268_19:
	s_or_b64 exec, exec, s[4:5]
	v_mov_b32_e32 v39, 0
	s_and_saveexec_b64 s[4:5], s[0:1]
	s_cbranch_execz .LBB268_21
; %bb.20:
	v_add_f32_e32 v38, 0x358637bd, v43
	v_div_scale_f32 v39, s[0:1], v38, v38, 1.0
	v_rcp_f32_e32 v43, v39
	v_div_scale_f32 v44, vcc, 1.0, v38, 1.0
	v_sub_f32_e32 v41, v41, v42
	v_fma_f32 v45, -v39, v43, 1.0
	v_fmac_f32_e32 v43, v45, v43
	v_mul_f32_e32 v45, v44, v43
	v_fma_f32 v46, -v39, v45, v44
	v_mul_f32_e32 v41, 0x3fb8aa3b, v41
	v_fmac_f32_e32 v45, v46, v43
	v_exp_f32_e32 v41, v41
	v_fma_f32 v39, -v39, v45, v44
	v_div_fmas_f32 v39, v39, v43, v45
	v_div_fixup_f32 v38, v39, v38, 1.0
	v_mul_f32_e32 v38, v41, v38
	v_pk_mul_f32 v[34:35], v[34:35], v[38:39] op_sel_hi:[1,0]
	v_pk_mul_f32 v[36:37], v[36:37], v[38:39] op_sel_hi:[1,0]
	v_bfe_u32 v38, v35, 16, 1
	v_bfe_u32 v39, v34, 16, 1
	s_movk_i32 s0, 0x7fff
	v_add3_u32 v34, v34, v39, s0
	v_add3_u32 v35, v35, v38, s0
	s_mov_b32 s1, 0x7060302
	v_perm_b32 v34, v35, v34, s1
	v_bfe_u32 v35, v37, 16, 1
	v_bfe_u32 v38, v36, 16, 1
	v_add3_u32 v36, v36, v38, s0
	v_add3_u32 v35, v37, v35, s0
	v_perm_b32 v35, v35, v36, s1
	s_waitcnt vmcnt(7)
	s_nop 0
	v_mfma_f32_4x4x4bf16_1k a[0:3], v[34:35], v[2:3], 0 cbsz:4
	v_mfma_f32_4x4x4bf16_1k a[0:3], v[34:35], v[4:5], a[0:3] cbsz:4 abid:1
	s_waitcnt vmcnt(6)
	v_mfma_f32_4x4x4bf16_1k a[0:3], v[34:35], v[6:7], a[0:3] cbsz:4 abid:2
	v_mfma_f32_4x4x4bf16_1k a[0:3], v[34:35], v[8:9], a[0:3] cbsz:4 abid:3
	s_waitcnt vmcnt(5)
	v_mfma_f32_4x4x4bf16_1k a[0:3], v[34:35], v[10:11], a[0:3] cbsz:4 abid:4
	;; [unrolled: 3-line block ×7, first 2 shown]
	v_mfma_f32_4x4x4bf16_1k a[0:3], v[34:35], v[32:33], a[0:3] cbsz:4 abid:15
	s_nop 4
	v_accvgpr_read_b32 v5, a1
	v_accvgpr_read_b32 v2, a2
	;; [unrolled: 1-line block ×4, first 2 shown]
	v_bfe_u32 v6, v5, 16, 1
	v_bfe_u32 v7, v4, 16, 1
	;; [unrolled: 1-line block ×3, first 2 shown]
	v_add3_u32 v5, v5, v6, s0
	v_bfe_u32 v6, v2, 16, 1
	v_add3_u32 v4, v4, v7, s0
	v_add3_u32 v2, v2, v6, s0
	;; [unrolled: 1-line block ×3, first 2 shown]
	v_perm_b32 v39, v3, v2, s1
	v_perm_b32 v38, v5, v4, s1
.LBB268_21:
	s_or_b64 exec, exec, s[4:5]
	v_lshlrev_b32_e32 v1, 3, v1
	v_mad_u32_u24 v1, v40, 40, v1
	v_cmp_gt_u32_e32 vcc, 64, v0
	ds_write_b64 v1, v[38:39]
	s_waitcnt lgkmcnt(0)
	s_barrier
	s_and_saveexec_b64 s[0:1], vcc
	s_cbranch_execz .LBB268_23
; %bb.22:
	s_lshl_b32 s0, s2, 6
	s_mov_b32 s1, 0
	s_lshl_b64 s[2:3], s[0:1], 1
	s_add_u32 s2, s26, s2
	s_mul_i32 s8, s8, s7
	s_addc_u32 s3, s27, s3
	s_lshl_b32 s0, s24, 6
	v_lshl_or_b32 v0, s8, 6, v0
	v_mov_b32_e32 v1, 0
	s_waitcnt vmcnt(6)
	v_mul_u32_u24_e32 v7, 40, v40
	s_lshl_b64 s[0:1], s[0:1], 1
	v_lshlrev_b64 v[4:5], 1, v[0:1]
	ds_read2_b64 v[0:3], v7 offset1:1
	s_add_u32 s0, s2, s0
	s_addc_u32 s1, s3, s1
	v_mov_b32_e32 v6, s1
	v_add_co_u32_e32 v8, vcc, s0, v4
	v_addc_co_u32_e32 v9, vcc, v6, v5, vcc
	ds_read2_b64 v[4:7], v7 offset0:2 offset1:3
	s_waitcnt lgkmcnt(1)
	v_lshlrev_b32_e32 v0, 16, v0
	v_add_f32_e32 v0, 0, v0
	v_and_b32_e32 v0, 0xffff0000, v0
	v_lshlrev_b32_e32 v1, 16, v2
	v_add_f32_e32 v0, v0, v1
	v_and_b32_e32 v0, 0xffff0000, v0
	s_waitcnt lgkmcnt(0)
	v_lshlrev_b32_e32 v1, 16, v4
	v_add_f32_e32 v0, v0, v1
	v_and_b32_e32 v0, 0xffff0000, v0
	v_lshlrev_b32_e32 v1, 16, v6
	v_add_f32_e32 v0, v0, v1
	global_store_short_d16_hi v[8:9], v0, off
.LBB268_23:
	s_endpgm
	.section	.rodata,"a",@progbits
	.p2align	6, 0x0
	.amdhsa_kernel _Z38paged_attention_ll4mi_QKV_mfma4_kernelI14__hip_bfloat16S0_LN4vllm18Fp8KVCacheDataTypeE0ES0_Li32ELi64ELi256ELb0ELi1EEvPKT_PKT0_S8_ifPKiSA_SA_iPKfiiiPfSD_PS3_PT2_iSC_SC_
		.amdhsa_group_segment_fixed_size 2720
		.amdhsa_private_segment_fixed_size 0
		.amdhsa_kernarg_size 400
		.amdhsa_user_sgpr_count 6
		.amdhsa_user_sgpr_private_segment_buffer 1
		.amdhsa_user_sgpr_dispatch_ptr 0
		.amdhsa_user_sgpr_queue_ptr 0
		.amdhsa_user_sgpr_kernarg_segment_ptr 1
		.amdhsa_user_sgpr_dispatch_id 0
		.amdhsa_user_sgpr_flat_scratch_init 0
		.amdhsa_user_sgpr_kernarg_preload_length 0
		.amdhsa_user_sgpr_kernarg_preload_offset 0
		.amdhsa_user_sgpr_private_segment_size 0
		.amdhsa_uses_dynamic_stack 0
		.amdhsa_system_sgpr_private_segment_wavefront_offset 0
		.amdhsa_system_sgpr_workgroup_id_x 1
		.amdhsa_system_sgpr_workgroup_id_y 1
		.amdhsa_system_sgpr_workgroup_id_z 1
		.amdhsa_system_sgpr_workgroup_info 0
		.amdhsa_system_vgpr_workitem_id 0
		.amdhsa_next_free_vgpr 64
		.amdhsa_next_free_sgpr 38
		.amdhsa_accum_offset 60
		.amdhsa_reserve_vcc 1
		.amdhsa_reserve_flat_scratch 0
		.amdhsa_float_round_mode_32 0
		.amdhsa_float_round_mode_16_64 0
		.amdhsa_float_denorm_mode_32 3
		.amdhsa_float_denorm_mode_16_64 3
		.amdhsa_dx10_clamp 1
		.amdhsa_ieee_mode 1
		.amdhsa_fp16_overflow 0
		.amdhsa_tg_split 0
		.amdhsa_exception_fp_ieee_invalid_op 0
		.amdhsa_exception_fp_denorm_src 0
		.amdhsa_exception_fp_ieee_div_zero 0
		.amdhsa_exception_fp_ieee_overflow 0
		.amdhsa_exception_fp_ieee_underflow 0
		.amdhsa_exception_fp_ieee_inexact 0
		.amdhsa_exception_int_div_zero 0
	.end_amdhsa_kernel
	.section	.text._Z38paged_attention_ll4mi_QKV_mfma4_kernelI14__hip_bfloat16S0_LN4vllm18Fp8KVCacheDataTypeE0ES0_Li32ELi64ELi256ELb0ELi1EEvPKT_PKT0_S8_ifPKiSA_SA_iPKfiiiPfSD_PS3_PT2_iSC_SC_,"axG",@progbits,_Z38paged_attention_ll4mi_QKV_mfma4_kernelI14__hip_bfloat16S0_LN4vllm18Fp8KVCacheDataTypeE0ES0_Li32ELi64ELi256ELb0ELi1EEvPKT_PKT0_S8_ifPKiSA_SA_iPKfiiiPfSD_PS3_PT2_iSC_SC_,comdat
.Lfunc_end268:
	.size	_Z38paged_attention_ll4mi_QKV_mfma4_kernelI14__hip_bfloat16S0_LN4vllm18Fp8KVCacheDataTypeE0ES0_Li32ELi64ELi256ELb0ELi1EEvPKT_PKT0_S8_ifPKiSA_SA_iPKfiiiPfSD_PS3_PT2_iSC_SC_, .Lfunc_end268-_Z38paged_attention_ll4mi_QKV_mfma4_kernelI14__hip_bfloat16S0_LN4vllm18Fp8KVCacheDataTypeE0ES0_Li32ELi64ELi256ELb0ELi1EEvPKT_PKT0_S8_ifPKiSA_SA_iPKfiiiPfSD_PS3_PT2_iSC_SC_
                                        ; -- End function
	.section	.AMDGPU.csdata,"",@progbits
; Kernel info:
; codeLenInByte = 2984
; NumSgprs: 42
; NumVgprs: 57
; NumAgprs: 4
; TotalNumVgprs: 64
; ScratchSize: 0
; MemoryBound: 0
; FloatMode: 240
; IeeeMode: 1
; LDSByteSize: 2720 bytes/workgroup (compile time only)
; SGPRBlocks: 5
; VGPRBlocks: 7
; NumSGPRsForWavesPerEU: 42
; NumVGPRsForWavesPerEU: 64
; AccumOffset: 60
; Occupancy: 8
; WaveLimiterHint : 1
; COMPUTE_PGM_RSRC2:SCRATCH_EN: 0
; COMPUTE_PGM_RSRC2:USER_SGPR: 6
; COMPUTE_PGM_RSRC2:TRAP_HANDLER: 0
; COMPUTE_PGM_RSRC2:TGID_X_EN: 1
; COMPUTE_PGM_RSRC2:TGID_Y_EN: 1
; COMPUTE_PGM_RSRC2:TGID_Z_EN: 1
; COMPUTE_PGM_RSRC2:TIDIG_COMP_CNT: 0
; COMPUTE_PGM_RSRC3_GFX90A:ACCUM_OFFSET: 14
; COMPUTE_PGM_RSRC3_GFX90A:TG_SPLIT: 0
	.section	.text._Z38paged_attention_ll4mi_QKV_mfma4_kernelI14__hip_bfloat16S0_LN4vllm18Fp8KVCacheDataTypeE0ES0_Li32ELi64ELi256ELb0ELi2EEvPKT_PKT0_S8_ifPKiSA_SA_iPKfiiiPfSD_PS3_PT2_iSC_SC_,"axG",@progbits,_Z38paged_attention_ll4mi_QKV_mfma4_kernelI14__hip_bfloat16S0_LN4vllm18Fp8KVCacheDataTypeE0ES0_Li32ELi64ELi256ELb0ELi2EEvPKT_PKT0_S8_ifPKiSA_SA_iPKfiiiPfSD_PS3_PT2_iSC_SC_,comdat
	.protected	_Z38paged_attention_ll4mi_QKV_mfma4_kernelI14__hip_bfloat16S0_LN4vllm18Fp8KVCacheDataTypeE0ES0_Li32ELi64ELi256ELb0ELi2EEvPKT_PKT0_S8_ifPKiSA_SA_iPKfiiiPfSD_PS3_PT2_iSC_SC_ ; -- Begin function _Z38paged_attention_ll4mi_QKV_mfma4_kernelI14__hip_bfloat16S0_LN4vllm18Fp8KVCacheDataTypeE0ES0_Li32ELi64ELi256ELb0ELi2EEvPKT_PKT0_S8_ifPKiSA_SA_iPKfiiiPfSD_PS3_PT2_iSC_SC_
	.globl	_Z38paged_attention_ll4mi_QKV_mfma4_kernelI14__hip_bfloat16S0_LN4vllm18Fp8KVCacheDataTypeE0ES0_Li32ELi64ELi256ELb0ELi2EEvPKT_PKT0_S8_ifPKiSA_SA_iPKfiiiPfSD_PS3_PT2_iSC_SC_
	.p2align	8
	.type	_Z38paged_attention_ll4mi_QKV_mfma4_kernelI14__hip_bfloat16S0_LN4vllm18Fp8KVCacheDataTypeE0ES0_Li32ELi64ELi256ELb0ELi2EEvPKT_PKT0_S8_ifPKiSA_SA_iPKfiiiPfSD_PS3_PT2_iSC_SC_,@function
_Z38paged_attention_ll4mi_QKV_mfma4_kernelI14__hip_bfloat16S0_LN4vllm18Fp8KVCacheDataTypeE0ES0_Li32ELi64ELi256ELb0ELi2EEvPKT_PKT0_S8_ifPKiSA_SA_iPKfiiiPfSD_PS3_PT2_iSC_SC_: ; @_Z38paged_attention_ll4mi_QKV_mfma4_kernelI14__hip_bfloat16S0_LN4vllm18Fp8KVCacheDataTypeE0ES0_Li32ELi64ELi256ELb0ELi2EEvPKT_PKT0_S8_ifPKiSA_SA_iPKfiiiPfSD_PS3_PT2_iSC_SC_
; %bb.0:
	s_load_dwordx2 s[2:3], s[4:5], 0x30
	s_mov_b32 s24, s7
	s_mov_b64 s[0:1], 0
	s_waitcnt lgkmcnt(0)
	s_cmp_lg_u64 s[2:3], 0
	s_cselect_b64 s[10:11], -1, 0
	s_and_b64 vcc, exec, s[10:11]
	s_cbranch_vccz .LBB269_10
; %bb.1:
	s_add_i32 s12, s6, 1
	s_mov_b32 s13, 0
	s_lshl_b64 s[14:15], s[12:13], 2
	s_add_u32 s14, s2, s14
	s_mov_b32 s7, s13
	s_addc_u32 s15, s3, s15
	s_lshl_b64 s[12:13], s[6:7], 2
	s_add_u32 s12, s2, s12
	s_addc_u32 s13, s3, s13
	s_load_dword s9, s[14:15], 0x0
	s_load_dword s16, s[12:13], 0x0
	s_waitcnt lgkmcnt(0)
	s_sub_i32 s9, s9, s16
	s_cmp_eq_u32 s9, 1
	s_cselect_b64 s[12:13], -1, 0
	s_andn2_b64 vcc, exec, s[0:1]
	s_cbranch_vccnz .LBB269_3
.LBB269_2:
	s_mov_b32 s7, 0
	s_mov_b64 s[12:13], -1
.LBB269_3:
	s_andn2_b64 vcc, exec, s[12:13]
	s_cbranch_vccnz .LBB269_23
; %bb.4:
	s_load_dword s9, s[4:5], 0x9c
	s_load_dwordx2 s[0:1], s[4:5], 0x28
	s_add_u32 s28, s4, 0x90
	s_addc_u32 s29, s5, 0
	s_lshl_b64 s[20:21], s[6:7], 2
	s_waitcnt lgkmcnt(0)
	s_and_b32 s12, s9, 0xffff
	s_add_u32 s0, s0, s20
	s_addc_u32 s1, s1, s21
	s_load_dword s9, s[0:1], 0x0
	s_mul_i32 s16, s24, s12
	s_waitcnt lgkmcnt(0)
	s_cmp_ge_i32 s16, s9
	s_cbranch_scc1 .LBB269_23
; %bb.5:
	v_and_b32_e32 v2, 0xc0, v0
	v_add_u32_e32 v2, s16, v2
	v_lshrrev_b32_e32 v1, 6, v0
	v_cmp_gt_i32_e64 s[0:1], s9, v2
	v_cmp_le_i32_e32 vcc, s9, v2
                                        ; implicit-def: $sgpr18
                                        ; implicit-def: $sgpr17
	s_and_saveexec_b64 s[12:13], vcc
	s_xor_b64 s[12:13], exec, s[12:13]
	s_cbranch_execz .LBB269_7
; %bb.6:
	v_mul_u32_u24_e32 v2, 20, v1
	v_or_b32_e32 v2, 0xa00, v2
	v_mov_b32_e32 v3, 0xa50
	v_mov_b32_e32 v4, 0xff7fffff
	v_mad_u32_u24 v3, v1, 20, v3
	ds_write2_b32 v2, v4, v4 offset1:1
	v_mov_b32_e32 v2, 0
	ds_write2_b32 v3, v2, v2 offset1:1
	v_mov_b32_e32 v3, 0xa08
	s_mov_b32 s17, 0xff7fffff
	s_mov_b32 s18, 0
	v_mad_u32_u24 v3, v1, 20, v3
	v_mov_b32_e32 v5, 0xa58
	v_mad_u32_u24 v5, v1, 20, v5
	ds_write2_b32 v3, v4, v4 offset1:1
	ds_write2_b32 v5, v2, v2 offset1:1
                                        ; implicit-def: $vgpr2
.LBB269_7:
	s_or_saveexec_b64 s[30:31], s[12:13]
	s_load_dwordx2 s[26:27], s[4:5], 0x68
	s_load_dwordx4 s[12:15], s[4:5], 0x58
	s_load_dword s7, s[28:29], 0x4
	v_and_b32_e32 v40, 63, v0
	v_and_b32_e32 v38, 3, v0
	v_mov_b32_e32 v37, s18
	v_mov_b32_e32 v41, s17
	;; [unrolled: 1-line block ×5, first 2 shown]
                                        ; implicit-def: $vgpr3
                                        ; implicit-def: $vgpr7
                                        ; implicit-def: $vgpr11
                                        ; implicit-def: $vgpr15
                                        ; implicit-def: $vgpr19
                                        ; implicit-def: $vgpr23
                                        ; implicit-def: $vgpr27
                                        ; implicit-def: $vgpr31
	s_xor_b64 exec, exec, s[30:31]
	s_cbranch_execz .LBB269_17
; %bb.8:
	s_add_i32 s22, s9, 31
	s_load_dwordx2 s[18:19], s[4:5], 0x20
	s_load_dword s17, s[4:5], 0x38
	s_ashr_i32 s23, s22, 31
	s_lshr_b32 s23, s23, 27
	v_add_u32_e32 v39, s16, v0
	s_add_i32 s22, s22, s23
	v_ashrrev_i32_e32 v3, 31, v39
	s_ashr_i32 s22, s22, 5
	v_lshrrev_b32_e32 v3, 27, v3
	s_add_i32 s25, s22, -1
	v_add_u32_e32 v3, v39, v3
	s_waitcnt lgkmcnt(0)
	s_mul_i32 s22, s6, s17
	s_mov_b32 s23, 0
	v_ashrrev_i32_e32 v3, 5, v3
	v_mov_b32_e32 v4, s25
	v_cmp_gt_i32_e32 vcc, s9, v39
	s_lshl_b64 s[22:23], s[22:23], 2
	v_cndmask_b32_e32 v4, v4, v3, vcc
	s_add_u32 s17, s18, s22
	v_ashrrev_i32_e32 v5, 31, v4
	s_addc_u32 s18, s19, s23
	v_lshlrev_b64 v[4:5], 2, v[4:5]
	v_mov_b32_e32 v3, s18
	v_add_co_u32_e32 v6, vcc, s17, v4
	v_addc_co_u32_e32 v7, vcc, v3, v5, vcc
	v_ashrrev_i32_e32 v3, 31, v2
	v_lshrrev_b32_e32 v3, 27, v3
	v_add_u32_e32 v2, v2, v3
	v_ashrrev_i32_e32 v4, 5, v2
	v_min_i32_e32 v2, s25, v4
	v_ashrrev_i32_e32 v3, 31, v2
	v_lshlrev_b64 v[2:3], 2, v[2:3]
	v_add_co_u32_e32 v8, vcc, s17, v2
	v_add_u32_e32 v2, 1, v4
	v_mov_b32_e32 v5, s18
	v_min_i32_e32 v2, s25, v2
	v_addc_co_u32_e32 v9, vcc, v5, v3, vcc
	v_ashrrev_i32_e32 v3, 31, v2
	v_lshlrev_b64 v[2:3], 2, v[2:3]
	v_mov_b32_e32 v4, s18
	v_add_co_u32_e32 v10, vcc, s17, v2
	v_addc_co_u32_e32 v11, vcc, v4, v3, vcc
	global_load_dword v2, v[6:7], off
	global_load_dword v5, v[8:9], off
	;; [unrolled: 1-line block ×3, first 2 shown]
	s_load_dwordx4 s[16:19], s[4:5], 0x8
	s_andn2_b64 vcc, exec, s[10:11]
	s_cbranch_vccnz .LBB269_11
; %bb.9:
	s_add_u32 s2, s2, s20
	s_addc_u32 s3, s3, s21
	s_load_dword s2, s[2:3], 0x0
	s_branch .LBB269_12
.LBB269_10:
	s_mov_b64 s[12:13], 0
	s_branch .LBB269_2
.LBB269_11:
	s_mov_b32 s2, s6
.LBB269_12:
	s_load_dwordx4 s[20:23], s[4:5], 0x48
	v_cmp_gt_u32_e32 vcc, 2, v38
	s_mov_b32 s3, 0
	v_mov_b32_e32 v3, 0
	v_mov_b32_e32 v34, 0
	;; [unrolled: 1-line block ×5, first 2 shown]
	s_and_saveexec_b64 s[10:11], vcc
	s_cbranch_execz .LBB269_14
; %bb.13:
	s_load_dwordx2 s[34:35], s[4:5], 0x0
	s_waitcnt lgkmcnt(0)
	s_ashr_i32 s23, s20, 31
	s_mul_hi_u32 s25, s2, s20
	s_mul_i32 s23, s2, s23
	s_add_i32 s37, s25, s23
	s_mul_i32 s36, s2, s20
	s_lshl_b64 s[36:37], s[36:37], 1
	s_add_u32 s20, s34, s36
	s_addc_u32 s23, s35, s37
	s_lshl_b32 s2, s8, 7
	s_lshl_b64 s[34:35], s[2:3], 1
	s_add_u32 s34, s20, s34
	v_lshlrev_b32_e32 v6, 3, v38
	v_lshrrev_b32_e32 v7, 2, v40
	s_addc_u32 s35, s23, s35
	v_add_lshl_u32 v6, v6, v7, 4
	global_load_dwordx4 v[34:37], v6, s[34:35]
.LBB269_14:
	s_or_b64 exec, exec, s[10:11]
	s_waitcnt lgkmcnt(0)
	s_mul_i32 s2, s8, s22
	s_waitcnt vmcnt(2)
	v_mad_i64_i32 v[6:7], s[10:11], v2, s21, 0
	s_lshl_b64 s[2:3], s[2:3], 1
	s_add_u32 s10, s2, s16
	v_lshlrev_b64 v[6:7], 1, v[6:7]
	s_addc_u32 s11, s3, s17
	v_mov_b32_e32 v2, s11
	v_add_co_u32_e32 v6, vcc, s10, v6
	v_addc_co_u32_e32 v2, vcc, v2, v7, vcc
	v_and_b32_e32 v7, 31, v0
	v_lshlrev_b32_e32 v7, 4, v7
	v_add_co_u32_e32 v30, vcc, v6, v7
	v_addc_co_u32_e32 v31, vcc, 0, v2, vcc
	global_load_dwordx4 v[6:9], v[30:31], off
	global_load_dwordx4 v[10:13], v[30:31], off offset:512
	global_load_dwordx4 v[14:17], v[30:31], off offset:1024
	;; [unrolled: 1-line block ×7, first 2 shown]
	s_waitcnt vmcnt(9)
	v_mul_hi_i32 v2, v5, s21
	v_cmp_eq_u32_e32 vcc, 0, v38
	v_cndmask_b32_e64 v41, 0, 1.0, vcc
	v_cmp_eq_u32_e32 vcc, 1, v38
	v_ashrrev_i32_e32 v2, 31, v2
	s_waitcnt vmcnt(8)
	v_mul_hi_i32 v30, v4, s21
	v_cndmask_b32_e64 v52, 0, 1.0, vcc
	v_cmp_eq_u32_e32 vcc, 2, v38
	v_lshrrev_b32_e32 v2, 29, v2
	s_add_u32 s2, s18, s2
	v_lshlrev_b32_e32 v32, 6, v40
	v_cndmask_b32_e64 v53, 0, 1.0, vcc
	v_cmp_eq_u32_e32 vcc, 3, v38
	v_ashrrev_i32_e32 v33, 31, v30
	v_mad_i64_i32 v[30:31], s[10:11], v5, s21, v[2:3]
	s_addc_u32 s3, s19, s3
	v_cndmask_b32_e64 v54, 0, 1.0, vcc
	v_lshrrev_b32_e32 v2, 29, v33
	v_lshlrev_b64 v[30:31], 1, v[30:31]
	v_mov_b32_e32 v5, s3
	v_mad_i64_i32 v[2:3], s[10:11], v4, s21, v[2:3]
	v_and_b32_e32 v4, -16, v30
	v_lshlrev_b64 v[2:3], 1, v[2:3]
	v_and_b32_e32 v2, -16, v2
	s_load_dword s4, s[4:5], 0x1c
	v_and_b32_e32 v55, -4, v39
	v_or_b32_e32 v39, 3, v39
	v_cmp_gt_i32_e64 s[10:11], s9, v39
	v_lshlrev_b32_e32 v56, 2, v0
	s_waitcnt vmcnt(7)
	v_mfma_f32_4x4x4bf16_1k a[0:3], v[34:35], v[6:7], 0 cbsz:4
	v_add_co_u32_e32 v6, vcc, s2, v32
	v_mfma_f32_4x4x4bf16_1k a[0:3], v[36:37], v[8:9], a[0:3] cbsz:4
	v_addc_co_u32_e32 v5, vcc, 0, v5, vcc
	s_waitcnt vmcnt(6)
	v_mfma_f32_4x4x4bf16_1k a[0:3], v[34:35], v[10:11], a[0:3] cbsz:4 abid:1
	v_mfma_f32_4x4x4bf16_1k a[0:3], v[36:37], v[12:13], a[0:3] cbsz:4 abid:1
	s_waitcnt vmcnt(5)
	v_mfma_f32_4x4x4bf16_1k a[0:3], v[34:35], v[14:15], a[0:3] cbsz:4 abid:2
	v_mfma_f32_4x4x4bf16_1k a[0:3], v[36:37], v[16:17], a[0:3] cbsz:4 abid:2
	s_waitcnt vmcnt(4)
	v_mfma_f32_4x4x4bf16_1k a[0:3], v[34:35], v[18:19], a[0:3] cbsz:4 abid:3
	v_add_co_u32_e32 v18, vcc, v6, v4
	v_mfma_f32_4x4x4bf16_1k a[0:3], v[36:37], v[20:21], a[0:3] cbsz:4 abid:3
	v_addc_co_u32_e32 v19, vcc, v5, v31, vcc
	s_waitcnt vmcnt(3)
	v_mfma_f32_4x4x4bf16_1k a[0:3], v[34:35], v[22:23], a[0:3] cbsz:4 abid:4
	v_add_co_u32_e32 v50, vcc, v6, v2
	v_mfma_f32_4x4x4bf16_1k a[0:3], v[36:37], v[24:25], a[0:3] cbsz:4 abid:4
	v_addc_co_u32_e32 v51, vcc, v5, v3, vcc
	s_waitcnt vmcnt(2)
	v_mfma_f32_4x4x4bf16_1k a[0:3], v[34:35], v[26:27], a[0:3] cbsz:4 abid:5
	global_load_dwordx4 v[2:5], v[18:19], off
	global_load_dwordx4 v[6:9], v[18:19], off offset:16
	global_load_dwordx4 v[10:13], v[18:19], off offset:32
	global_load_dwordx4 v[14:17], v[18:19], off offset:48
	v_mfma_f32_4x4x4bf16_1k a[0:3], v[36:37], v[28:29], a[0:3] cbsz:4 abid:5
	global_load_dwordx4 v[18:21], v[50:51], off
	global_load_dwordx4 v[22:25], v[50:51], off offset:16
	global_load_dwordx4 v[26:29], v[50:51], off offset:32
	;; [unrolled: 1-line block ×3, first 2 shown]
	s_waitcnt vmcnt(9)
	v_mfma_f32_4x4x4bf16_1k a[0:3], v[34:35], v[42:43], a[0:3] cbsz:4 abid:6
	v_mov_b32_e32 v42, 0xff7fffff
	v_mfma_f32_4x4x4bf16_1k a[0:3], v[36:37], v[44:45], a[0:3] cbsz:4 abid:6
	v_cmp_gt_i32_e32 vcc, s9, v55
	s_waitcnt vmcnt(8)
	v_mfma_f32_4x4x4bf16_1k a[0:3], v[34:35], v[46:47], a[0:3] cbsz:4 abid:7
	v_and_or_b32 v43, v56, 48, v38
	v_mfma_f32_4x4x4bf16_1k a[0:3], v[36:37], v[48:49], a[0:3] cbsz:4 abid:7
	v_lshlrev_b32_e32 v43, 2, v43
	s_nop 3
	v_accvgpr_read_b32 v35, a1
	v_accvgpr_read_b32 v34, a0
	s_waitcnt lgkmcnt(0)
	v_pk_mul_f32 v[34:35], s[4:5], v[34:35] op_sel_hi:[0,1]
	v_accvgpr_read_b32 v37, a3
	v_accvgpr_read_b32 v36, a2
	v_pk_mul_f32 v[36:37], s[4:5], v[36:37] op_sel_hi:[0,1]
	v_mfma_f32_4x4x1f32 a[0:3], v34, v41, 0
	v_or_b32_e32 v34, 1, v55
	v_mfma_f32_4x4x1f32 a[0:3], v35, v52, a[0:3]
	v_cmp_gt_i32_e64 s[2:3], s9, v34
	v_mfma_f32_4x4x1f32 a[0:3], v36, v53, a[0:3]
	v_or_b32_e32 v35, 2, v55
	v_mfma_f32_4x4x1f32 a[0:3], v37, v54, a[0:3]
	v_cmp_gt_i32_e64 s[4:5], s9, v35
	s_nop 3
	v_accvgpr_read_b32 v36, a0
	v_max_f32_e32 v41, v36, v36
	v_accvgpr_read_b32 v37, a1
	v_max_f32_e32 v41, 0xff7fffff, v41
	v_max_f32_e32 v46, v37, v37
	v_cndmask_b32_e32 v41, v42, v41, vcc
	v_accvgpr_read_b32 v44, a2
	v_max_f32_e32 v42, v41, v46
	v_max_f32_e32 v47, v44, v44
	v_cndmask_b32_e64 v34, v41, v42, s[2:3]
	v_accvgpr_read_b32 v45, a3
	v_max_f32_e32 v41, v34, v47
	v_max_f32_e32 v48, v45, v45
	v_cndmask_b32_e64 v34, v34, v41, s[4:5]
	v_max_f32_e32 v35, v34, v48
	v_cndmask_b32_e64 v34, v34, v35, s[10:11]
	;;#ASMSTART
	v_nop
 v_nop
 v_max_f32_dpp v34, v34, v34 row_ror:4
	;;#ASMEND
	;;#ASMSTART
	v_nop
 v_nop
 v_max_f32_dpp v34, v34, v34 row_ror:8
	;;#ASMEND
	ds_bpermute_b32 v34, v43, v34
	s_waitcnt lgkmcnt(0)
	;;#ASMSTART
	v_nop
 v_nop
 v_max_f32_dpp v34, v34, v34 row_ror:4
	;;#ASMEND
	;;#ASMSTART
	v_nop
 v_nop
 v_max_f32_dpp v41, v34, v34 row_ror:8
	;;#ASMEND
	v_sub_f32_e32 v34, v36, v41
	v_sub_f32_e32 v35, v37, v41
	v_mul_f32_e32 v34, 0x3fb8aa3b, v34
	v_sub_f32_e32 v36, v44, v41
	v_mul_f32_e32 v35, 0x3fb8aa3b, v35
	v_exp_f32_e32 v34, v34
	v_sub_f32_e32 v37, v45, v41
	v_mul_f32_e32 v36, 0x3fb8aa3b, v36
	v_exp_f32_e32 v35, v35
	v_mul_f32_e32 v37, 0x3fb8aa3b, v37
	v_exp_f32_e32 v36, v36
	v_exp_f32_e32 v37, v37
	v_cndmask_b32_e32 v34, 0, v34, vcc
	v_cndmask_b32_e64 v35, 0, v35, s[2:3]
	v_add_f32_e32 v39, 0, v34
	v_cndmask_b32_e64 v36, 0, v36, s[4:5]
	v_add_f32_e32 v39, v39, v35
	;; [unrolled: 2-line block ×3, first 2 shown]
	v_add_f32_e32 v39, v39, v37
	;;#ASMSTART
	v_nop
 v_nop
 v_add_f32_dpp v39, v39, v39 row_ror:4
	;;#ASMEND
	;;#ASMSTART
	v_nop
 v_nop
 v_add_f32_dpp v39, v39, v39 row_ror:8
	;;#ASMEND
	ds_bpermute_b32 v39, v43, v39
	s_waitcnt lgkmcnt(0)
	;;#ASMSTART
	v_nop
 v_nop
 v_add_f32_dpp v39, v39, v39 row_ror:4
	;;#ASMEND
	v_cmp_gt_u32_e32 vcc, 4, v40
	;;#ASMSTART
	v_nop
 v_nop
 v_add_f32_dpp v39, v39, v39 row_ror:8
	;;#ASMEND
	s_and_saveexec_b64 s[2:3], vcc
	s_cbranch_execz .LBB269_16
; %bb.15:
	v_mul_u32_u24_e32 v42, 20, v1
	v_lshl_add_u32 v42, v38, 2, v42
	v_add_u32_e32 v42, 0x800, v42
	ds_write2_b32 v42, v41, v39 offset0:128 offset1:148
.LBB269_16:
	s_or_b64 exec, exec, s[2:3]
.LBB269_17:
	s_or_b64 exec, exec, s[30:31]
	s_waitcnt lgkmcnt(0)
	s_barrier
	s_load_dword s2, s[28:29], 0x8
	v_lshlrev_b32_e32 v39, 2, v38
	v_add_u32_e32 v39, 0x800, v39
	ds_read2_b32 v[44:45], v39 offset0:128 offset1:133
	ds_read2_b32 v[46:47], v39 offset0:138 offset1:143
	s_mul_i32 s3, s6, s7
	s_waitcnt lgkmcnt(0)
	s_mul_i32 s3, s3, s2
	s_lshl_b32 s2, s3, 1
	s_mov_b32 s3, 0xff7fffff
	v_max3_f32 v42, v44, s3, v45
	v_max3_f32 v42, v42, v46, v47
	v_sub_f32_e32 v43, v44, v42
	v_sub_f32_e32 v44, v45, v42
	ds_read2_b32 v[48:49], v39 offset0:148 offset1:153
	v_mul_f32_e32 v43, 0x3fb8aa3b, v43
	v_mul_f32_e32 v44, 0x3fb8aa3b, v44
	v_exp_f32_e32 v43, v43
	v_exp_f32_e32 v50, v44
	ds_read2_b32 v[44:45], v39 offset0:158 offset1:163
	v_sub_f32_e32 v39, v46, v42
	v_mul_f32_e32 v39, 0x3fb8aa3b, v39
	v_sub_f32_e32 v46, v47, v42
	v_exp_f32_e32 v39, v39
	v_mul_f32_e32 v46, 0x3fb8aa3b, v46
	v_exp_f32_e32 v46, v46
	s_waitcnt lgkmcnt(1)
	v_fma_f32 v43, v43, v48, 0
	v_fmac_f32_e32 v43, v50, v49
	s_waitcnt lgkmcnt(0)
	v_fmac_f32_e32 v43, v39, v44
	s_lshl_b32 s8, s8, 1
	v_fmac_f32_e32 v43, v46, v45
	v_cmp_gt_u32_e32 vcc, 2, v38
	s_and_saveexec_b64 s[4:5], vcc
	s_cbranch_execz .LBB269_19
; %bb.18:
	s_mov_b32 s3, 0
	s_lshl_b64 s[10:11], s[2:3], 2
	s_add_u32 s6, s12, s10
	s_mov_b32 s25, s3
	s_addc_u32 s9, s13, s11
	s_lshl_b64 s[12:13], s[24:25], 2
	s_add_u32 s3, s6, s12
	s_addc_u32 s6, s9, s13
	v_or_b32_e32 v38, s8, v38
	s_add_u32 s9, s14, s10
	v_mul_lo_u32 v38, s7, v38
	v_mov_b32_e32 v39, 0
	s_addc_u32 s10, s15, s11
	v_lshlrev_b64 v[38:39], 2, v[38:39]
	s_add_u32 s9, s9, s12
	v_mov_b32_e32 v45, s6
	v_add_co_u32_e32 v44, vcc, s3, v38
	s_addc_u32 s10, s10, s13
	v_addc_co_u32_e32 v45, vcc, v45, v39, vcc
	v_mov_b32_e32 v46, s10
	v_add_co_u32_e32 v38, vcc, s9, v38
	v_addc_co_u32_e32 v39, vcc, v46, v39, vcc
	global_store_dword v[38:39], v42, off
	global_store_dword v[44:45], v43, off
.LBB269_19:
	s_or_b64 exec, exec, s[4:5]
	v_mov_b32_e32 v38, 0
	v_mov_b32_e32 v39, 0
	s_and_saveexec_b64 s[4:5], s[0:1]
	s_cbranch_execz .LBB269_21
; %bb.20:
	v_add_f32_e32 v38, 0x358637bd, v43
	v_div_scale_f32 v39, s[0:1], v38, v38, 1.0
	v_rcp_f32_e32 v43, v39
	v_div_scale_f32 v44, vcc, 1.0, v38, 1.0
	v_sub_f32_e32 v41, v41, v42
	v_fma_f32 v45, -v39, v43, 1.0
	v_fmac_f32_e32 v43, v45, v43
	v_mul_f32_e32 v45, v44, v43
	v_fma_f32 v46, -v39, v45, v44
	v_mul_f32_e32 v41, 0x3fb8aa3b, v41
	v_fmac_f32_e32 v45, v46, v43
	v_exp_f32_e32 v41, v41
	v_fma_f32 v39, -v39, v45, v44
	v_div_fmas_f32 v39, v39, v43, v45
	v_div_fixup_f32 v38, v39, v38, 1.0
	v_mul_f32_e32 v38, v41, v38
	v_pk_mul_f32 v[34:35], v[34:35], v[38:39] op_sel_hi:[1,0]
	v_pk_mul_f32 v[36:37], v[36:37], v[38:39] op_sel_hi:[1,0]
	v_bfe_u32 v38, v35, 16, 1
	v_bfe_u32 v39, v34, 16, 1
	s_movk_i32 s0, 0x7fff
	v_add3_u32 v34, v34, v39, s0
	v_add3_u32 v35, v35, v38, s0
	s_mov_b32 s1, 0x7060302
	v_perm_b32 v34, v35, v34, s1
	v_bfe_u32 v35, v37, 16, 1
	v_bfe_u32 v38, v36, 16, 1
	v_add3_u32 v36, v36, v38, s0
	v_add3_u32 v35, v37, v35, s0
	v_perm_b32 v35, v35, v36, s1
	s_waitcnt vmcnt(7)
	s_nop 0
	v_mfma_f32_4x4x4bf16_1k a[0:3], v[34:35], v[2:3], 0 cbsz:4
	v_mfma_f32_4x4x4bf16_1k a[0:3], v[34:35], v[4:5], a[0:3] cbsz:4 abid:1
	s_waitcnt vmcnt(6)
	v_mfma_f32_4x4x4bf16_1k a[0:3], v[34:35], v[6:7], a[0:3] cbsz:4 abid:2
	v_mfma_f32_4x4x4bf16_1k a[0:3], v[34:35], v[8:9], a[0:3] cbsz:4 abid:3
	s_waitcnt vmcnt(5)
	v_mfma_f32_4x4x4bf16_1k a[0:3], v[34:35], v[10:11], a[0:3] cbsz:4 abid:4
	;; [unrolled: 3-line block ×7, first 2 shown]
	v_mfma_f32_4x4x4bf16_1k a[0:3], v[34:35], v[32:33], a[0:3] cbsz:4 abid:15
	s_nop 4
	v_accvgpr_read_b32 v5, a1
	v_accvgpr_read_b32 v2, a2
	v_accvgpr_read_b32 v3, a3
	v_accvgpr_read_b32 v4, a0
	v_bfe_u32 v6, v5, 16, 1
	v_bfe_u32 v7, v4, 16, 1
	;; [unrolled: 1-line block ×3, first 2 shown]
	v_add3_u32 v5, v5, v6, s0
	v_bfe_u32 v6, v2, 16, 1
	v_add3_u32 v4, v4, v7, s0
	v_add3_u32 v2, v2, v6, s0
	;; [unrolled: 1-line block ×3, first 2 shown]
	v_perm_b32 v39, v3, v2, s1
	v_perm_b32 v38, v5, v4, s1
.LBB269_21:
	s_or_b64 exec, exec, s[4:5]
	v_lshlrev_b32_e32 v1, 3, v1
	v_mad_u32_u24 v1, v40, 40, v1
	v_cmp_gt_u32_e32 vcc, 64, v0
	ds_write_b64 v1, v[38:39]
	s_waitcnt lgkmcnt(0)
	s_barrier
	s_and_saveexec_b64 s[0:1], vcc
	s_cbranch_execz .LBB269_23
; %bb.22:
	v_mul_u32_u24_e32 v1, 40, v40
	s_waitcnt vmcnt(7)
	ds_read2_b64 v[2:5], v1 offset1:1
	s_waitcnt vmcnt(6)
	ds_read2_b64 v[6:9], v1 offset0:2 offset1:3
	s_mov_b32 s1, 0
	s_lshl_b32 s0, s2, 6
	s_lshl_b64 s[2:3], s[0:1], 1
	s_waitcnt lgkmcnt(1)
	v_and_b32_e32 v1, 0xffff0000, v2
	v_add_f32_e32 v1, 0, v1
	v_and_b32_e32 v3, 0xffff0000, v4
	v_and_b32_e32 v1, 0xffff0000, v1
	v_add_f32_e32 v1, v1, v3
	s_waitcnt lgkmcnt(0)
	v_and_b32_e32 v5, 0xffff0000, v6
	v_and_b32_e32 v1, 0xffff0000, v1
	v_add_f32_e32 v1, v1, v5
	v_and_b32_e32 v1, 0xffff0000, v1
	v_and_b32_e32 v3, 0xffff0000, v8
	v_add_f32_e32 v7, v1, v3
	v_lshlrev_b32_e32 v1, 16, v2
	s_add_u32 s2, s26, s2
	v_add_f32_e32 v1, 0, v1
	s_addc_u32 s3, s27, s3
	s_lshl_b32 s0, s24, 6
	v_and_b32_e32 v1, 0xffff0000, v1
	v_lshlrev_b32_e32 v2, 16, v4
	s_lshl_b64 s[0:1], s[0:1], 1
	v_add_f32_e32 v1, v1, v2
	s_add_u32 s0, s2, s0
	v_and_b32_e32 v1, 0xffff0000, v1
	v_lshlrev_b32_e32 v2, 16, v6
	s_addc_u32 s1, s3, s1
	s_lshl_b32 s2, s7, 6
	v_add_f32_e32 v1, v1, v2
	v_and_b32_e32 v1, 0xffff0000, v1
	v_lshlrev_b32_e32 v2, 16, v8
	s_mul_i32 s3, s2, s8
	v_add_f32_e32 v1, v1, v2
	v_or_b32_e32 v2, s3, v0
	v_mov_b32_e32 v3, 0
	v_lshlrev_b64 v[4:5], 1, v[2:3]
	v_mov_b32_e32 v2, s1
	v_add_co_u32_e32 v4, vcc, s0, v4
	s_add_i32 s3, s3, s2
	v_addc_co_u32_e32 v5, vcc, v2, v5, vcc
	v_or_b32_e32 v2, s3, v0
	global_store_short_d16_hi v[4:5], v1, off
	v_lshlrev_b64 v[0:1], 1, v[2:3]
	v_mov_b32_e32 v2, s1
	v_add_co_u32_e32 v0, vcc, s0, v0
	v_addc_co_u32_e32 v1, vcc, v2, v1, vcc
	global_store_short_d16_hi v[0:1], v7, off
.LBB269_23:
	s_endpgm
	.section	.rodata,"a",@progbits
	.p2align	6, 0x0
	.amdhsa_kernel _Z38paged_attention_ll4mi_QKV_mfma4_kernelI14__hip_bfloat16S0_LN4vllm18Fp8KVCacheDataTypeE0ES0_Li32ELi64ELi256ELb0ELi2EEvPKT_PKT0_S8_ifPKiSA_SA_iPKfiiiPfSD_PS3_PT2_iSC_SC_
		.amdhsa_group_segment_fixed_size 2720
		.amdhsa_private_segment_fixed_size 0
		.amdhsa_kernarg_size 400
		.amdhsa_user_sgpr_count 6
		.amdhsa_user_sgpr_private_segment_buffer 1
		.amdhsa_user_sgpr_dispatch_ptr 0
		.amdhsa_user_sgpr_queue_ptr 0
		.amdhsa_user_sgpr_kernarg_segment_ptr 1
		.amdhsa_user_sgpr_dispatch_id 0
		.amdhsa_user_sgpr_flat_scratch_init 0
		.amdhsa_user_sgpr_kernarg_preload_length 0
		.amdhsa_user_sgpr_kernarg_preload_offset 0
		.amdhsa_user_sgpr_private_segment_size 0
		.amdhsa_uses_dynamic_stack 0
		.amdhsa_system_sgpr_private_segment_wavefront_offset 0
		.amdhsa_system_sgpr_workgroup_id_x 1
		.amdhsa_system_sgpr_workgroup_id_y 1
		.amdhsa_system_sgpr_workgroup_id_z 1
		.amdhsa_system_sgpr_workgroup_info 0
		.amdhsa_system_vgpr_workitem_id 0
		.amdhsa_next_free_vgpr 64
		.amdhsa_next_free_sgpr 38
		.amdhsa_accum_offset 60
		.amdhsa_reserve_vcc 1
		.amdhsa_reserve_flat_scratch 0
		.amdhsa_float_round_mode_32 0
		.amdhsa_float_round_mode_16_64 0
		.amdhsa_float_denorm_mode_32 3
		.amdhsa_float_denorm_mode_16_64 3
		.amdhsa_dx10_clamp 1
		.amdhsa_ieee_mode 1
		.amdhsa_fp16_overflow 0
		.amdhsa_tg_split 0
		.amdhsa_exception_fp_ieee_invalid_op 0
		.amdhsa_exception_fp_denorm_src 0
		.amdhsa_exception_fp_ieee_div_zero 0
		.amdhsa_exception_fp_ieee_overflow 0
		.amdhsa_exception_fp_ieee_underflow 0
		.amdhsa_exception_fp_ieee_inexact 0
		.amdhsa_exception_int_div_zero 0
	.end_amdhsa_kernel
	.section	.text._Z38paged_attention_ll4mi_QKV_mfma4_kernelI14__hip_bfloat16S0_LN4vllm18Fp8KVCacheDataTypeE0ES0_Li32ELi64ELi256ELb0ELi2EEvPKT_PKT0_S8_ifPKiSA_SA_iPKfiiiPfSD_PS3_PT2_iSC_SC_,"axG",@progbits,_Z38paged_attention_ll4mi_QKV_mfma4_kernelI14__hip_bfloat16S0_LN4vllm18Fp8KVCacheDataTypeE0ES0_Li32ELi64ELi256ELb0ELi2EEvPKT_PKT0_S8_ifPKiSA_SA_iPKfiiiPfSD_PS3_PT2_iSC_SC_,comdat
.Lfunc_end269:
	.size	_Z38paged_attention_ll4mi_QKV_mfma4_kernelI14__hip_bfloat16S0_LN4vllm18Fp8KVCacheDataTypeE0ES0_Li32ELi64ELi256ELb0ELi2EEvPKT_PKT0_S8_ifPKiSA_SA_iPKfiiiPfSD_PS3_PT2_iSC_SC_, .Lfunc_end269-_Z38paged_attention_ll4mi_QKV_mfma4_kernelI14__hip_bfloat16S0_LN4vllm18Fp8KVCacheDataTypeE0ES0_Li32ELi64ELi256ELb0ELi2EEvPKT_PKT0_S8_ifPKiSA_SA_iPKfiiiPfSD_PS3_PT2_iSC_SC_
                                        ; -- End function
	.section	.AMDGPU.csdata,"",@progbits
; Kernel info:
; codeLenInByte = 3140
; NumSgprs: 42
; NumVgprs: 57
; NumAgprs: 4
; TotalNumVgprs: 64
; ScratchSize: 0
; MemoryBound: 0
; FloatMode: 240
; IeeeMode: 1
; LDSByteSize: 2720 bytes/workgroup (compile time only)
; SGPRBlocks: 5
; VGPRBlocks: 7
; NumSGPRsForWavesPerEU: 42
; NumVGPRsForWavesPerEU: 64
; AccumOffset: 60
; Occupancy: 8
; WaveLimiterHint : 1
; COMPUTE_PGM_RSRC2:SCRATCH_EN: 0
; COMPUTE_PGM_RSRC2:USER_SGPR: 6
; COMPUTE_PGM_RSRC2:TRAP_HANDLER: 0
; COMPUTE_PGM_RSRC2:TGID_X_EN: 1
; COMPUTE_PGM_RSRC2:TGID_Y_EN: 1
; COMPUTE_PGM_RSRC2:TGID_Z_EN: 1
; COMPUTE_PGM_RSRC2:TIDIG_COMP_CNT: 0
; COMPUTE_PGM_RSRC3_GFX90A:ACCUM_OFFSET: 14
; COMPUTE_PGM_RSRC3_GFX90A:TG_SPLIT: 0
	.section	.text._Z38paged_attention_ll4mi_QKV_mfma4_kernelI14__hip_bfloat16S0_LN4vllm18Fp8KVCacheDataTypeE0ES0_Li32ELi64ELi256ELb0ELi3EEvPKT_PKT0_S8_ifPKiSA_SA_iPKfiiiPfSD_PS3_PT2_iSC_SC_,"axG",@progbits,_Z38paged_attention_ll4mi_QKV_mfma4_kernelI14__hip_bfloat16S0_LN4vllm18Fp8KVCacheDataTypeE0ES0_Li32ELi64ELi256ELb0ELi3EEvPKT_PKT0_S8_ifPKiSA_SA_iPKfiiiPfSD_PS3_PT2_iSC_SC_,comdat
	.protected	_Z38paged_attention_ll4mi_QKV_mfma4_kernelI14__hip_bfloat16S0_LN4vllm18Fp8KVCacheDataTypeE0ES0_Li32ELi64ELi256ELb0ELi3EEvPKT_PKT0_S8_ifPKiSA_SA_iPKfiiiPfSD_PS3_PT2_iSC_SC_ ; -- Begin function _Z38paged_attention_ll4mi_QKV_mfma4_kernelI14__hip_bfloat16S0_LN4vllm18Fp8KVCacheDataTypeE0ES0_Li32ELi64ELi256ELb0ELi3EEvPKT_PKT0_S8_ifPKiSA_SA_iPKfiiiPfSD_PS3_PT2_iSC_SC_
	.globl	_Z38paged_attention_ll4mi_QKV_mfma4_kernelI14__hip_bfloat16S0_LN4vllm18Fp8KVCacheDataTypeE0ES0_Li32ELi64ELi256ELb0ELi3EEvPKT_PKT0_S8_ifPKiSA_SA_iPKfiiiPfSD_PS3_PT2_iSC_SC_
	.p2align	8
	.type	_Z38paged_attention_ll4mi_QKV_mfma4_kernelI14__hip_bfloat16S0_LN4vllm18Fp8KVCacheDataTypeE0ES0_Li32ELi64ELi256ELb0ELi3EEvPKT_PKT0_S8_ifPKiSA_SA_iPKfiiiPfSD_PS3_PT2_iSC_SC_,@function
_Z38paged_attention_ll4mi_QKV_mfma4_kernelI14__hip_bfloat16S0_LN4vllm18Fp8KVCacheDataTypeE0ES0_Li32ELi64ELi256ELb0ELi3EEvPKT_PKT0_S8_ifPKiSA_SA_iPKfiiiPfSD_PS3_PT2_iSC_SC_: ; @_Z38paged_attention_ll4mi_QKV_mfma4_kernelI14__hip_bfloat16S0_LN4vllm18Fp8KVCacheDataTypeE0ES0_Li32ELi64ELi256ELb0ELi3EEvPKT_PKT0_S8_ifPKiSA_SA_iPKfiiiPfSD_PS3_PT2_iSC_SC_
; %bb.0:
	s_load_dwordx2 s[2:3], s[4:5], 0x30
	s_mov_b32 s24, s7
	s_mov_b64 s[0:1], 0
	s_waitcnt lgkmcnt(0)
	s_cmp_lg_u64 s[2:3], 0
	s_cselect_b64 s[10:11], -1, 0
	s_and_b64 vcc, exec, s[10:11]
	s_cbranch_vccz .LBB270_10
; %bb.1:
	s_add_i32 s12, s6, 1
	s_mov_b32 s13, 0
	s_lshl_b64 s[14:15], s[12:13], 2
	s_add_u32 s14, s2, s14
	s_mov_b32 s7, s13
	s_addc_u32 s15, s3, s15
	s_lshl_b64 s[12:13], s[6:7], 2
	s_add_u32 s12, s2, s12
	s_addc_u32 s13, s3, s13
	s_load_dword s9, s[14:15], 0x0
	s_load_dword s16, s[12:13], 0x0
	s_waitcnt lgkmcnt(0)
	s_sub_i32 s9, s9, s16
	s_cmp_eq_u32 s9, 1
	s_cselect_b64 s[12:13], -1, 0
	s_andn2_b64 vcc, exec, s[0:1]
	s_cbranch_vccnz .LBB270_3
.LBB270_2:
	s_mov_b32 s7, 0
	s_mov_b64 s[12:13], -1
.LBB270_3:
	s_andn2_b64 vcc, exec, s[12:13]
	s_cbranch_vccnz .LBB270_23
; %bb.4:
	s_load_dword s9, s[4:5], 0x9c
	s_load_dwordx2 s[0:1], s[4:5], 0x28
	s_add_u32 s28, s4, 0x90
	s_addc_u32 s29, s5, 0
	s_lshl_b64 s[20:21], s[6:7], 2
	s_waitcnt lgkmcnt(0)
	s_and_b32 s12, s9, 0xffff
	s_add_u32 s0, s0, s20
	s_addc_u32 s1, s1, s21
	s_load_dword s9, s[0:1], 0x0
	s_mul_i32 s16, s24, s12
	s_waitcnt lgkmcnt(0)
	s_cmp_ge_i32 s16, s9
	s_cbranch_scc1 .LBB270_23
; %bb.5:
	v_and_b32_e32 v2, 0xc0, v0
	v_add_u32_e32 v2, s16, v2
	v_lshrrev_b32_e32 v1, 6, v0
	v_cmp_gt_i32_e64 s[0:1], s9, v2
	v_cmp_le_i32_e32 vcc, s9, v2
                                        ; implicit-def: $sgpr18
                                        ; implicit-def: $sgpr17
	s_and_saveexec_b64 s[12:13], vcc
	s_xor_b64 s[12:13], exec, s[12:13]
	s_cbranch_execz .LBB270_7
; %bb.6:
	v_mul_u32_u24_e32 v2, 20, v1
	v_or_b32_e32 v2, 0xa00, v2
	v_mov_b32_e32 v3, 0xa50
	v_mov_b32_e32 v4, 0xff7fffff
	v_mad_u32_u24 v3, v1, 20, v3
	ds_write2_b32 v2, v4, v4 offset1:1
	v_mov_b32_e32 v2, 0
	ds_write2_b32 v3, v2, v2 offset1:1
	v_mov_b32_e32 v3, 0xa08
	s_mov_b32 s17, 0xff7fffff
	s_mov_b32 s18, 0
	v_mad_u32_u24 v3, v1, 20, v3
	v_mov_b32_e32 v5, 0xa58
	v_mad_u32_u24 v5, v1, 20, v5
	ds_write2_b32 v3, v4, v4 offset1:1
	ds_write2_b32 v5, v2, v2 offset1:1
                                        ; implicit-def: $vgpr2
.LBB270_7:
	s_or_saveexec_b64 s[30:31], s[12:13]
	s_load_dwordx2 s[26:27], s[4:5], 0x68
	s_load_dwordx4 s[12:15], s[4:5], 0x58
	s_load_dword s7, s[28:29], 0x4
	v_and_b32_e32 v40, 63, v0
	v_and_b32_e32 v38, 3, v0
	v_mov_b32_e32 v37, s18
	v_mov_b32_e32 v41, s17
	;; [unrolled: 1-line block ×5, first 2 shown]
                                        ; implicit-def: $vgpr3
                                        ; implicit-def: $vgpr7
                                        ; implicit-def: $vgpr11
                                        ; implicit-def: $vgpr15
                                        ; implicit-def: $vgpr19
                                        ; implicit-def: $vgpr23
                                        ; implicit-def: $vgpr27
                                        ; implicit-def: $vgpr31
	s_xor_b64 exec, exec, s[30:31]
	s_cbranch_execz .LBB270_17
; %bb.8:
	s_add_i32 s22, s9, 31
	s_load_dwordx2 s[18:19], s[4:5], 0x20
	s_load_dword s17, s[4:5], 0x38
	s_ashr_i32 s23, s22, 31
	s_lshr_b32 s23, s23, 27
	v_add_u32_e32 v39, s16, v0
	s_add_i32 s22, s22, s23
	v_ashrrev_i32_e32 v3, 31, v39
	s_ashr_i32 s22, s22, 5
	v_lshrrev_b32_e32 v3, 27, v3
	s_add_i32 s25, s22, -1
	v_add_u32_e32 v3, v39, v3
	s_waitcnt lgkmcnt(0)
	s_mul_i32 s22, s6, s17
	s_mov_b32 s23, 0
	v_ashrrev_i32_e32 v3, 5, v3
	v_mov_b32_e32 v4, s25
	v_cmp_gt_i32_e32 vcc, s9, v39
	s_lshl_b64 s[22:23], s[22:23], 2
	v_cndmask_b32_e32 v4, v4, v3, vcc
	s_add_u32 s17, s18, s22
	v_ashrrev_i32_e32 v5, 31, v4
	s_addc_u32 s18, s19, s23
	v_lshlrev_b64 v[4:5], 2, v[4:5]
	v_mov_b32_e32 v3, s18
	v_add_co_u32_e32 v6, vcc, s17, v4
	v_addc_co_u32_e32 v7, vcc, v3, v5, vcc
	v_ashrrev_i32_e32 v3, 31, v2
	v_lshrrev_b32_e32 v3, 27, v3
	v_add_u32_e32 v2, v2, v3
	v_ashrrev_i32_e32 v4, 5, v2
	v_min_i32_e32 v2, s25, v4
	v_ashrrev_i32_e32 v3, 31, v2
	v_lshlrev_b64 v[2:3], 2, v[2:3]
	v_add_co_u32_e32 v8, vcc, s17, v2
	v_add_u32_e32 v2, 1, v4
	v_mov_b32_e32 v5, s18
	v_min_i32_e32 v2, s25, v2
	v_addc_co_u32_e32 v9, vcc, v5, v3, vcc
	v_ashrrev_i32_e32 v3, 31, v2
	v_lshlrev_b64 v[2:3], 2, v[2:3]
	v_mov_b32_e32 v4, s18
	v_add_co_u32_e32 v10, vcc, s17, v2
	v_addc_co_u32_e32 v11, vcc, v4, v3, vcc
	global_load_dword v2, v[6:7], off
	global_load_dword v5, v[8:9], off
	;; [unrolled: 1-line block ×3, first 2 shown]
	s_load_dwordx4 s[16:19], s[4:5], 0x8
	s_andn2_b64 vcc, exec, s[10:11]
	s_cbranch_vccnz .LBB270_11
; %bb.9:
	s_add_u32 s2, s2, s20
	s_addc_u32 s3, s3, s21
	s_load_dword s2, s[2:3], 0x0
	s_branch .LBB270_12
.LBB270_10:
	s_mov_b64 s[12:13], 0
	s_branch .LBB270_2
.LBB270_11:
	s_mov_b32 s2, s6
.LBB270_12:
	s_load_dwordx4 s[20:23], s[4:5], 0x48
	v_cmp_ne_u32_e32 vcc, 3, v38
	s_mov_b32 s3, 0
	v_mov_b32_e32 v41, 1.0
	v_mov_b32_e32 v3, 0
	v_mov_b32_e32 v34, 0
	;; [unrolled: 1-line block ×5, first 2 shown]
	s_and_saveexec_b64 s[10:11], vcc
	s_cbranch_execz .LBB270_14
; %bb.13:
	s_load_dwordx2 s[34:35], s[4:5], 0x0
	s_waitcnt lgkmcnt(0)
	s_ashr_i32 s23, s20, 31
	s_mul_hi_u32 s25, s2, s20
	s_mul_i32 s23, s2, s23
	s_add_i32 s37, s25, s23
	s_mul_i32 s36, s2, s20
	s_lshl_b64 s[36:37], s[36:37], 1
	s_add_u32 s20, s34, s36
	s_mul_i32 s2, s8, 0xc0
	s_addc_u32 s23, s35, s37
	s_lshl_b64 s[34:35], s[2:3], 1
	s_add_u32 s34, s20, s34
	v_lshlrev_b32_e32 v6, 3, v38
	v_lshrrev_b32_e32 v7, 2, v40
	s_addc_u32 s35, s23, s35
	v_add_lshl_u32 v6, v6, v7, 4
	global_load_dwordx4 v[34:37], v6, s[34:35]
	v_mov_b32_e32 v41, 0
.LBB270_14:
	s_or_b64 exec, exec, s[10:11]
	s_waitcnt lgkmcnt(0)
	s_mul_i32 s2, s8, s22
	s_waitcnt vmcnt(2)
	v_mad_i64_i32 v[6:7], s[10:11], v2, s21, 0
	s_lshl_b64 s[2:3], s[2:3], 1
	s_add_u32 s10, s2, s16
	v_lshlrev_b64 v[6:7], 1, v[6:7]
	s_addc_u32 s11, s3, s17
	v_mov_b32_e32 v2, s11
	v_add_co_u32_e32 v6, vcc, s10, v6
	v_addc_co_u32_e32 v2, vcc, v2, v7, vcc
	v_and_b32_e32 v7, 31, v0
	v_lshlrev_b32_e32 v7, 4, v7
	v_add_co_u32_e32 v30, vcc, v6, v7
	v_addc_co_u32_e32 v31, vcc, 0, v2, vcc
	global_load_dwordx4 v[6:9], v[30:31], off
	global_load_dwordx4 v[10:13], v[30:31], off offset:512
	global_load_dwordx4 v[14:17], v[30:31], off offset:1024
	;; [unrolled: 1-line block ×7, first 2 shown]
	s_waitcnt vmcnt(9)
	v_mul_hi_i32 v2, v5, s21
	v_cmp_eq_u32_e32 vcc, 0, v38
	v_ashrrev_i32_e32 v2, 31, v2
	s_waitcnt vmcnt(8)
	v_mul_hi_i32 v30, v4, s21
	v_cndmask_b32_e64 v52, 0, 1.0, vcc
	v_cmp_eq_u32_e32 vcc, 1, v38
	v_lshrrev_b32_e32 v2, 29, v2
	s_add_u32 s2, s18, s2
	v_lshlrev_b32_e32 v32, 6, v40
	v_cndmask_b32_e64 v53, 0, 1.0, vcc
	v_cmp_eq_u32_e32 vcc, 2, v38
	v_ashrrev_i32_e32 v33, 31, v30
	v_mad_i64_i32 v[30:31], s[10:11], v5, s21, v[2:3]
	s_addc_u32 s3, s19, s3
	v_cndmask_b32_e64 v54, 0, 1.0, vcc
	v_lshrrev_b32_e32 v2, 29, v33
	v_lshlrev_b64 v[30:31], 1, v[30:31]
	v_mov_b32_e32 v5, s3
	v_mad_i64_i32 v[2:3], s[10:11], v4, s21, v[2:3]
	v_and_b32_e32 v4, -16, v30
	v_lshlrev_b64 v[2:3], 1, v[2:3]
	v_and_b32_e32 v2, -16, v2
	s_load_dword s4, s[4:5], 0x1c
	v_and_b32_e32 v55, -4, v39
	v_or_b32_e32 v39, 3, v39
	v_cmp_gt_i32_e64 s[10:11], s9, v39
	v_lshlrev_b32_e32 v56, 2, v0
	s_waitcnt vmcnt(7)
	v_mfma_f32_4x4x4bf16_1k a[0:3], v[34:35], v[6:7], 0 cbsz:4
	v_add_co_u32_e32 v6, vcc, s2, v32
	v_mfma_f32_4x4x4bf16_1k a[0:3], v[36:37], v[8:9], a[0:3] cbsz:4
	v_addc_co_u32_e32 v5, vcc, 0, v5, vcc
	s_waitcnt vmcnt(6)
	v_mfma_f32_4x4x4bf16_1k a[0:3], v[34:35], v[10:11], a[0:3] cbsz:4 abid:1
	v_mfma_f32_4x4x4bf16_1k a[0:3], v[36:37], v[12:13], a[0:3] cbsz:4 abid:1
	s_waitcnt vmcnt(5)
	v_mfma_f32_4x4x4bf16_1k a[0:3], v[34:35], v[14:15], a[0:3] cbsz:4 abid:2
	v_mfma_f32_4x4x4bf16_1k a[0:3], v[36:37], v[16:17], a[0:3] cbsz:4 abid:2
	s_waitcnt vmcnt(4)
	v_mfma_f32_4x4x4bf16_1k a[0:3], v[34:35], v[18:19], a[0:3] cbsz:4 abid:3
	v_add_co_u32_e32 v18, vcc, v6, v4
	v_mfma_f32_4x4x4bf16_1k a[0:3], v[36:37], v[20:21], a[0:3] cbsz:4 abid:3
	v_addc_co_u32_e32 v19, vcc, v5, v31, vcc
	s_waitcnt vmcnt(3)
	v_mfma_f32_4x4x4bf16_1k a[0:3], v[34:35], v[22:23], a[0:3] cbsz:4 abid:4
	v_add_co_u32_e32 v50, vcc, v6, v2
	v_mfma_f32_4x4x4bf16_1k a[0:3], v[36:37], v[24:25], a[0:3] cbsz:4 abid:4
	v_addc_co_u32_e32 v51, vcc, v5, v3, vcc
	s_waitcnt vmcnt(2)
	v_mfma_f32_4x4x4bf16_1k a[0:3], v[34:35], v[26:27], a[0:3] cbsz:4 abid:5
	global_load_dwordx4 v[2:5], v[18:19], off
	global_load_dwordx4 v[6:9], v[18:19], off offset:16
	global_load_dwordx4 v[10:13], v[18:19], off offset:32
	;; [unrolled: 1-line block ×3, first 2 shown]
	v_mfma_f32_4x4x4bf16_1k a[0:3], v[36:37], v[28:29], a[0:3] cbsz:4 abid:5
	global_load_dwordx4 v[18:21], v[50:51], off
	global_load_dwordx4 v[22:25], v[50:51], off offset:16
	global_load_dwordx4 v[26:29], v[50:51], off offset:32
	;; [unrolled: 1-line block ×3, first 2 shown]
	s_waitcnt vmcnt(9)
	v_mfma_f32_4x4x4bf16_1k a[0:3], v[34:35], v[42:43], a[0:3] cbsz:4 abid:6
	v_mov_b32_e32 v42, 0xff7fffff
	v_mfma_f32_4x4x4bf16_1k a[0:3], v[36:37], v[44:45], a[0:3] cbsz:4 abid:6
	v_cmp_gt_i32_e32 vcc, s9, v55
	s_waitcnt vmcnt(8)
	v_mfma_f32_4x4x4bf16_1k a[0:3], v[34:35], v[46:47], a[0:3] cbsz:4 abid:7
	v_and_or_b32 v43, v56, 48, v38
	v_mfma_f32_4x4x4bf16_1k a[0:3], v[36:37], v[48:49], a[0:3] cbsz:4 abid:7
	v_lshlrev_b32_e32 v43, 2, v43
	s_nop 3
	v_accvgpr_read_b32 v35, a1
	v_accvgpr_read_b32 v34, a0
	s_waitcnt lgkmcnt(0)
	v_pk_mul_f32 v[34:35], s[4:5], v[34:35] op_sel_hi:[0,1]
	v_accvgpr_read_b32 v37, a3
	v_accvgpr_read_b32 v36, a2
	v_pk_mul_f32 v[36:37], s[4:5], v[36:37] op_sel_hi:[0,1]
	v_mfma_f32_4x4x1f32 a[0:3], v34, v52, 0
	v_or_b32_e32 v34, 1, v55
	v_mfma_f32_4x4x1f32 a[0:3], v35, v53, a[0:3]
	v_cmp_gt_i32_e64 s[2:3], s9, v34
	v_mfma_f32_4x4x1f32 a[0:3], v36, v54, a[0:3]
	v_or_b32_e32 v35, 2, v55
	v_mfma_f32_4x4x1f32 a[0:3], v37, v41, a[0:3]
	v_cmp_gt_i32_e64 s[4:5], s9, v35
	s_nop 3
	v_accvgpr_read_b32 v36, a0
	v_max_f32_e32 v41, v36, v36
	v_accvgpr_read_b32 v37, a1
	v_max_f32_e32 v41, 0xff7fffff, v41
	v_max_f32_e32 v46, v37, v37
	v_cndmask_b32_e32 v41, v42, v41, vcc
	v_accvgpr_read_b32 v44, a2
	v_max_f32_e32 v42, v41, v46
	v_max_f32_e32 v47, v44, v44
	v_cndmask_b32_e64 v34, v41, v42, s[2:3]
	v_accvgpr_read_b32 v45, a3
	v_max_f32_e32 v41, v34, v47
	v_max_f32_e32 v48, v45, v45
	v_cndmask_b32_e64 v34, v34, v41, s[4:5]
	v_max_f32_e32 v35, v34, v48
	v_cndmask_b32_e64 v34, v34, v35, s[10:11]
	;;#ASMSTART
	v_nop
 v_nop
 v_max_f32_dpp v34, v34, v34 row_ror:4
	;;#ASMEND
	;;#ASMSTART
	v_nop
 v_nop
 v_max_f32_dpp v34, v34, v34 row_ror:8
	;;#ASMEND
	ds_bpermute_b32 v34, v43, v34
	s_waitcnt lgkmcnt(0)
	;;#ASMSTART
	v_nop
 v_nop
 v_max_f32_dpp v34, v34, v34 row_ror:4
	;;#ASMEND
	;;#ASMSTART
	v_nop
 v_nop
 v_max_f32_dpp v41, v34, v34 row_ror:8
	;;#ASMEND
	v_sub_f32_e32 v34, v36, v41
	v_sub_f32_e32 v35, v37, v41
	v_mul_f32_e32 v34, 0x3fb8aa3b, v34
	v_sub_f32_e32 v36, v44, v41
	v_mul_f32_e32 v35, 0x3fb8aa3b, v35
	v_exp_f32_e32 v34, v34
	v_sub_f32_e32 v37, v45, v41
	v_mul_f32_e32 v36, 0x3fb8aa3b, v36
	v_exp_f32_e32 v35, v35
	v_mul_f32_e32 v37, 0x3fb8aa3b, v37
	v_exp_f32_e32 v36, v36
	v_exp_f32_e32 v37, v37
	v_cndmask_b32_e32 v34, 0, v34, vcc
	v_cndmask_b32_e64 v35, 0, v35, s[2:3]
	v_add_f32_e32 v39, 0, v34
	v_cndmask_b32_e64 v36, 0, v36, s[4:5]
	v_add_f32_e32 v39, v39, v35
	v_cndmask_b32_e64 v37, 0, v37, s[10:11]
	v_add_f32_e32 v39, v39, v36
	v_add_f32_e32 v39, v39, v37
	;;#ASMSTART
	v_nop
 v_nop
 v_add_f32_dpp v39, v39, v39 row_ror:4
	;;#ASMEND
	;;#ASMSTART
	v_nop
 v_nop
 v_add_f32_dpp v39, v39, v39 row_ror:8
	;;#ASMEND
	ds_bpermute_b32 v39, v43, v39
	s_waitcnt lgkmcnt(0)
	;;#ASMSTART
	v_nop
 v_nop
 v_add_f32_dpp v39, v39, v39 row_ror:4
	;;#ASMEND
	v_cmp_gt_u32_e32 vcc, 4, v40
	;;#ASMSTART
	v_nop
 v_nop
 v_add_f32_dpp v39, v39, v39 row_ror:8
	;;#ASMEND
	s_and_saveexec_b64 s[2:3], vcc
	s_cbranch_execz .LBB270_16
; %bb.15:
	v_mul_u32_u24_e32 v42, 20, v1
	v_lshl_add_u32 v42, v38, 2, v42
	v_add_u32_e32 v42, 0x800, v42
	ds_write2_b32 v42, v41, v39 offset0:128 offset1:148
.LBB270_16:
	s_or_b64 exec, exec, s[2:3]
.LBB270_17:
	s_or_b64 exec, exec, s[30:31]
	s_waitcnt lgkmcnt(0)
	s_barrier
	s_load_dword s2, s[28:29], 0x8
	v_lshlrev_b32_e32 v39, 2, v38
	v_add_u32_e32 v39, 0x800, v39
	ds_read2_b32 v[44:45], v39 offset0:128 offset1:133
	ds_read2_b32 v[46:47], v39 offset0:138 offset1:143
	s_mul_i32 s3, s6, s7
	s_waitcnt lgkmcnt(0)
	s_mul_i32 s2, s3, s2
	s_mov_b32 s3, 0xff7fffff
	v_max3_f32 v42, v44, s3, v45
	v_max3_f32 v42, v42, v46, v47
	v_sub_f32_e32 v43, v44, v42
	v_sub_f32_e32 v44, v45, v42
	ds_read2_b32 v[48:49], v39 offset0:148 offset1:153
	v_mul_f32_e32 v43, 0x3fb8aa3b, v43
	v_mul_f32_e32 v44, 0x3fb8aa3b, v44
	v_exp_f32_e32 v43, v43
	v_exp_f32_e32 v50, v44
	ds_read2_b32 v[44:45], v39 offset0:158 offset1:163
	v_sub_f32_e32 v39, v46, v42
	v_mul_f32_e32 v39, 0x3fb8aa3b, v39
	v_sub_f32_e32 v46, v47, v42
	v_exp_f32_e32 v39, v39
	v_mul_f32_e32 v46, 0x3fb8aa3b, v46
	v_exp_f32_e32 v46, v46
	s_waitcnt lgkmcnt(1)
	v_fma_f32 v43, v43, v48, 0
	v_fmac_f32_e32 v43, v50, v49
	s_waitcnt lgkmcnt(0)
	v_fmac_f32_e32 v43, v39, v44
	s_mul_i32 s8, s8, 3
	s_mul_i32 s2, s2, 3
	v_fmac_f32_e32 v43, v46, v45
	v_cmp_ne_u32_e32 vcc, 3, v38
	s_and_saveexec_b64 s[4:5], vcc
	s_cbranch_execz .LBB270_19
; %bb.18:
	s_mov_b32 s3, 0
	s_lshl_b64 s[10:11], s[2:3], 2
	s_add_u32 s6, s12, s10
	s_mov_b32 s25, s3
	s_addc_u32 s9, s13, s11
	s_lshl_b64 s[12:13], s[24:25], 2
	s_add_u32 s3, s6, s12
	s_addc_u32 s6, s9, s13
	v_add_u32_e32 v38, s8, v38
	s_add_u32 s9, s14, s10
	v_mul_lo_u32 v38, s7, v38
	v_mov_b32_e32 v39, 0
	s_addc_u32 s10, s15, s11
	v_lshlrev_b64 v[38:39], 2, v[38:39]
	s_add_u32 s9, s9, s12
	v_mov_b32_e32 v45, s6
	v_add_co_u32_e32 v44, vcc, s3, v38
	s_addc_u32 s10, s10, s13
	v_addc_co_u32_e32 v45, vcc, v45, v39, vcc
	v_mov_b32_e32 v46, s10
	v_add_co_u32_e32 v38, vcc, s9, v38
	v_addc_co_u32_e32 v39, vcc, v46, v39, vcc
	global_store_dword v[38:39], v42, off
	global_store_dword v[44:45], v43, off
.LBB270_19:
	s_or_b64 exec, exec, s[4:5]
	v_mov_b32_e32 v38, 0
	v_mov_b32_e32 v39, 0
	s_and_saveexec_b64 s[4:5], s[0:1]
	s_cbranch_execz .LBB270_21
; %bb.20:
	v_add_f32_e32 v38, 0x358637bd, v43
	v_div_scale_f32 v39, s[0:1], v38, v38, 1.0
	v_rcp_f32_e32 v43, v39
	v_div_scale_f32 v44, vcc, 1.0, v38, 1.0
	v_sub_f32_e32 v41, v41, v42
	v_fma_f32 v45, -v39, v43, 1.0
	v_fmac_f32_e32 v43, v45, v43
	v_mul_f32_e32 v45, v44, v43
	v_fma_f32 v46, -v39, v45, v44
	v_mul_f32_e32 v41, 0x3fb8aa3b, v41
	v_fmac_f32_e32 v45, v46, v43
	v_exp_f32_e32 v41, v41
	v_fma_f32 v39, -v39, v45, v44
	v_div_fmas_f32 v39, v39, v43, v45
	v_div_fixup_f32 v38, v39, v38, 1.0
	v_mul_f32_e32 v38, v41, v38
	v_pk_mul_f32 v[34:35], v[34:35], v[38:39] op_sel_hi:[1,0]
	v_pk_mul_f32 v[36:37], v[36:37], v[38:39] op_sel_hi:[1,0]
	v_bfe_u32 v38, v35, 16, 1
	v_bfe_u32 v39, v34, 16, 1
	s_movk_i32 s0, 0x7fff
	v_add3_u32 v34, v34, v39, s0
	v_add3_u32 v35, v35, v38, s0
	s_mov_b32 s1, 0x7060302
	v_perm_b32 v34, v35, v34, s1
	v_bfe_u32 v35, v37, 16, 1
	v_bfe_u32 v38, v36, 16, 1
	v_add3_u32 v36, v36, v38, s0
	v_add3_u32 v35, v37, v35, s0
	v_perm_b32 v35, v35, v36, s1
	s_waitcnt vmcnt(7)
	s_nop 0
	v_mfma_f32_4x4x4bf16_1k a[0:3], v[34:35], v[2:3], 0 cbsz:4
	v_mfma_f32_4x4x4bf16_1k a[0:3], v[34:35], v[4:5], a[0:3] cbsz:4 abid:1
	s_waitcnt vmcnt(6)
	v_mfma_f32_4x4x4bf16_1k a[0:3], v[34:35], v[6:7], a[0:3] cbsz:4 abid:2
	v_mfma_f32_4x4x4bf16_1k a[0:3], v[34:35], v[8:9], a[0:3] cbsz:4 abid:3
	s_waitcnt vmcnt(5)
	v_mfma_f32_4x4x4bf16_1k a[0:3], v[34:35], v[10:11], a[0:3] cbsz:4 abid:4
	;; [unrolled: 3-line block ×7, first 2 shown]
	v_mfma_f32_4x4x4bf16_1k a[0:3], v[34:35], v[32:33], a[0:3] cbsz:4 abid:15
	s_nop 4
	v_accvgpr_read_b32 v5, a1
	v_accvgpr_read_b32 v2, a2
	;; [unrolled: 1-line block ×4, first 2 shown]
	v_bfe_u32 v6, v5, 16, 1
	v_bfe_u32 v7, v4, 16, 1
	;; [unrolled: 1-line block ×3, first 2 shown]
	v_add3_u32 v5, v5, v6, s0
	v_bfe_u32 v6, v2, 16, 1
	v_add3_u32 v4, v4, v7, s0
	v_add3_u32 v2, v2, v6, s0
	;; [unrolled: 1-line block ×3, first 2 shown]
	v_perm_b32 v39, v3, v2, s1
	v_perm_b32 v38, v5, v4, s1
.LBB270_21:
	s_or_b64 exec, exec, s[4:5]
	v_lshlrev_b32_e32 v1, 3, v1
	v_mad_u32_u24 v1, v40, 40, v1
	v_cmp_gt_u32_e32 vcc, 64, v0
	ds_write_b64 v1, v[38:39]
	s_waitcnt lgkmcnt(0)
	s_barrier
	s_and_saveexec_b64 s[0:1], vcc
	s_cbranch_execz .LBB270_23
; %bb.22:
	v_mul_u32_u24_e32 v1, 40, v40
	s_waitcnt vmcnt(7)
	ds_read2_b64 v[2:5], v1 offset1:1
	s_waitcnt vmcnt(6)
	ds_read2_b64 v[6:9], v1 offset0:2 offset1:3
	s_mov_b32 s1, 0
	s_lshl_b32 s0, s2, 6
	s_lshl_b64 s[2:3], s[0:1], 1
	s_waitcnt lgkmcnt(1)
	v_and_b32_e32 v1, 0xffff0000, v2
	v_lshlrev_b32_e32 v3, 16, v3
	v_add_f32_e32 v1, 0, v1
	v_add_f32_e32 v3, 0, v3
	v_and_b32_e32 v1, 0xffff0000, v1
	s_waitcnt vmcnt(5)
	v_and_b32_e32 v10, 0xffff0000, v4
	v_and_b32_e32 v3, 0xffff0000, v3
	v_add_f32_e32 v1, v1, v10
	v_lshlrev_b32_e32 v5, 16, v5
	v_and_b32_e32 v1, 0xffff0000, v1
	v_add_f32_e32 v3, v3, v5
	s_waitcnt lgkmcnt(0)
	v_and_b32_e32 v5, 0xffff0000, v6
	v_and_b32_e32 v3, 0xffff0000, v3
	v_add_f32_e32 v1, v1, v5
	v_lshlrev_b32_e32 v5, 16, v7
	v_and_b32_e32 v1, 0xffff0000, v1
	v_add_f32_e32 v3, v3, v5
	v_and_b32_e32 v5, 0xffff0000, v8
	v_lshlrev_b32_e32 v2, 16, v2
	v_and_b32_e32 v3, 0xffff0000, v3
	v_add_f32_e32 v1, v1, v5
	v_lshlrev_b32_e32 v5, 16, v9
	s_add_u32 s2, s26, s2
	v_add_f32_e32 v2, 0, v2
	v_add_f32_e32 v7, v3, v5
	s_addc_u32 s3, s27, s3
	s_lshl_b32 s0, s24, 6
	v_and_b32_e32 v2, 0xffff0000, v2
	v_lshlrev_b32_e32 v3, 16, v4
	s_lshl_b64 s[0:1], s[0:1], 1
	v_add_f32_e32 v2, v2, v3
	s_add_u32 s0, s2, s0
	v_and_b32_e32 v2, 0xffff0000, v2
	v_lshlrev_b32_e32 v3, 16, v6
	s_addc_u32 s1, s3, s1
	s_lshl_b32 s2, s7, 6
	v_add_f32_e32 v2, v2, v3
	v_and_b32_e32 v2, 0xffff0000, v2
	v_lshlrev_b32_e32 v3, 16, v8
	s_mul_i32 s3, s2, s8
	v_add_f32_e32 v6, v2, v3
	v_or_b32_e32 v2, s3, v0
	v_mov_b32_e32 v3, 0
	v_lshlrev_b64 v[4:5], 1, v[2:3]
	v_mov_b32_e32 v2, s1
	v_add_co_u32_e32 v4, vcc, s0, v4
	s_add_i32 s3, s3, s2
	v_addc_co_u32_e32 v5, vcc, v2, v5, vcc
	v_or_b32_e32 v2, s3, v0
	global_store_short_d16_hi v[4:5], v6, off
	v_lshlrev_b64 v[4:5], 1, v[2:3]
	v_mov_b32_e32 v2, s1
	v_add_co_u32_e32 v4, vcc, s0, v4
	s_add_i32 s3, s3, s2
	v_addc_co_u32_e32 v5, vcc, v2, v5, vcc
	v_or_b32_e32 v2, s3, v0
	global_store_short_d16_hi v[4:5], v1, off
	v_lshlrev_b64 v[0:1], 1, v[2:3]
	v_mov_b32_e32 v2, s1
	v_add_co_u32_e32 v0, vcc, s0, v0
	v_addc_co_u32_e32 v1, vcc, v2, v1, vcc
	global_store_short_d16_hi v[0:1], v7, off
.LBB270_23:
	s_endpgm
	.section	.rodata,"a",@progbits
	.p2align	6, 0x0
	.amdhsa_kernel _Z38paged_attention_ll4mi_QKV_mfma4_kernelI14__hip_bfloat16S0_LN4vllm18Fp8KVCacheDataTypeE0ES0_Li32ELi64ELi256ELb0ELi3EEvPKT_PKT0_S8_ifPKiSA_SA_iPKfiiiPfSD_PS3_PT2_iSC_SC_
		.amdhsa_group_segment_fixed_size 2720
		.amdhsa_private_segment_fixed_size 0
		.amdhsa_kernarg_size 400
		.amdhsa_user_sgpr_count 6
		.amdhsa_user_sgpr_private_segment_buffer 1
		.amdhsa_user_sgpr_dispatch_ptr 0
		.amdhsa_user_sgpr_queue_ptr 0
		.amdhsa_user_sgpr_kernarg_segment_ptr 1
		.amdhsa_user_sgpr_dispatch_id 0
		.amdhsa_user_sgpr_flat_scratch_init 0
		.amdhsa_user_sgpr_kernarg_preload_length 0
		.amdhsa_user_sgpr_kernarg_preload_offset 0
		.amdhsa_user_sgpr_private_segment_size 0
		.amdhsa_uses_dynamic_stack 0
		.amdhsa_system_sgpr_private_segment_wavefront_offset 0
		.amdhsa_system_sgpr_workgroup_id_x 1
		.amdhsa_system_sgpr_workgroup_id_y 1
		.amdhsa_system_sgpr_workgroup_id_z 1
		.amdhsa_system_sgpr_workgroup_info 0
		.amdhsa_system_vgpr_workitem_id 0
		.amdhsa_next_free_vgpr 64
		.amdhsa_next_free_sgpr 38
		.amdhsa_accum_offset 60
		.amdhsa_reserve_vcc 1
		.amdhsa_reserve_flat_scratch 0
		.amdhsa_float_round_mode_32 0
		.amdhsa_float_round_mode_16_64 0
		.amdhsa_float_denorm_mode_32 3
		.amdhsa_float_denorm_mode_16_64 3
		.amdhsa_dx10_clamp 1
		.amdhsa_ieee_mode 1
		.amdhsa_fp16_overflow 0
		.amdhsa_tg_split 0
		.amdhsa_exception_fp_ieee_invalid_op 0
		.amdhsa_exception_fp_denorm_src 0
		.amdhsa_exception_fp_ieee_div_zero 0
		.amdhsa_exception_fp_ieee_overflow 0
		.amdhsa_exception_fp_ieee_underflow 0
		.amdhsa_exception_fp_ieee_inexact 0
		.amdhsa_exception_int_div_zero 0
	.end_amdhsa_kernel
	.section	.text._Z38paged_attention_ll4mi_QKV_mfma4_kernelI14__hip_bfloat16S0_LN4vllm18Fp8KVCacheDataTypeE0ES0_Li32ELi64ELi256ELb0ELi3EEvPKT_PKT0_S8_ifPKiSA_SA_iPKfiiiPfSD_PS3_PT2_iSC_SC_,"axG",@progbits,_Z38paged_attention_ll4mi_QKV_mfma4_kernelI14__hip_bfloat16S0_LN4vllm18Fp8KVCacheDataTypeE0ES0_Li32ELi64ELi256ELb0ELi3EEvPKT_PKT0_S8_ifPKiSA_SA_iPKfiiiPfSD_PS3_PT2_iSC_SC_,comdat
.Lfunc_end270:
	.size	_Z38paged_attention_ll4mi_QKV_mfma4_kernelI14__hip_bfloat16S0_LN4vllm18Fp8KVCacheDataTypeE0ES0_Li32ELi64ELi256ELb0ELi3EEvPKT_PKT0_S8_ifPKiSA_SA_iPKfiiiPfSD_PS3_PT2_iSC_SC_, .Lfunc_end270-_Z38paged_attention_ll4mi_QKV_mfma4_kernelI14__hip_bfloat16S0_LN4vllm18Fp8KVCacheDataTypeE0ES0_Li32ELi64ELi256ELb0ELi3EEvPKT_PKT0_S8_ifPKiSA_SA_iPKfiiiPfSD_PS3_PT2_iSC_SC_
                                        ; -- End function
	.section	.AMDGPU.csdata,"",@progbits
; Kernel info:
; codeLenInByte = 3236
; NumSgprs: 42
; NumVgprs: 57
; NumAgprs: 4
; TotalNumVgprs: 64
; ScratchSize: 0
; MemoryBound: 0
; FloatMode: 240
; IeeeMode: 1
; LDSByteSize: 2720 bytes/workgroup (compile time only)
; SGPRBlocks: 5
; VGPRBlocks: 7
; NumSGPRsForWavesPerEU: 42
; NumVGPRsForWavesPerEU: 64
; AccumOffset: 60
; Occupancy: 8
; WaveLimiterHint : 1
; COMPUTE_PGM_RSRC2:SCRATCH_EN: 0
; COMPUTE_PGM_RSRC2:USER_SGPR: 6
; COMPUTE_PGM_RSRC2:TRAP_HANDLER: 0
; COMPUTE_PGM_RSRC2:TGID_X_EN: 1
; COMPUTE_PGM_RSRC2:TGID_Y_EN: 1
; COMPUTE_PGM_RSRC2:TGID_Z_EN: 1
; COMPUTE_PGM_RSRC2:TIDIG_COMP_CNT: 0
; COMPUTE_PGM_RSRC3_GFX90A:ACCUM_OFFSET: 14
; COMPUTE_PGM_RSRC3_GFX90A:TG_SPLIT: 0
	.section	.text._Z38paged_attention_ll4mi_QKV_mfma4_kernelI14__hip_bfloat16S0_LN4vllm18Fp8KVCacheDataTypeE0ES0_Li32ELi64ELi256ELb0ELi4EEvPKT_PKT0_S8_ifPKiSA_SA_iPKfiiiPfSD_PS3_PT2_iSC_SC_,"axG",@progbits,_Z38paged_attention_ll4mi_QKV_mfma4_kernelI14__hip_bfloat16S0_LN4vllm18Fp8KVCacheDataTypeE0ES0_Li32ELi64ELi256ELb0ELi4EEvPKT_PKT0_S8_ifPKiSA_SA_iPKfiiiPfSD_PS3_PT2_iSC_SC_,comdat
	.protected	_Z38paged_attention_ll4mi_QKV_mfma4_kernelI14__hip_bfloat16S0_LN4vllm18Fp8KVCacheDataTypeE0ES0_Li32ELi64ELi256ELb0ELi4EEvPKT_PKT0_S8_ifPKiSA_SA_iPKfiiiPfSD_PS3_PT2_iSC_SC_ ; -- Begin function _Z38paged_attention_ll4mi_QKV_mfma4_kernelI14__hip_bfloat16S0_LN4vllm18Fp8KVCacheDataTypeE0ES0_Li32ELi64ELi256ELb0ELi4EEvPKT_PKT0_S8_ifPKiSA_SA_iPKfiiiPfSD_PS3_PT2_iSC_SC_
	.globl	_Z38paged_attention_ll4mi_QKV_mfma4_kernelI14__hip_bfloat16S0_LN4vllm18Fp8KVCacheDataTypeE0ES0_Li32ELi64ELi256ELb0ELi4EEvPKT_PKT0_S8_ifPKiSA_SA_iPKfiiiPfSD_PS3_PT2_iSC_SC_
	.p2align	8
	.type	_Z38paged_attention_ll4mi_QKV_mfma4_kernelI14__hip_bfloat16S0_LN4vllm18Fp8KVCacheDataTypeE0ES0_Li32ELi64ELi256ELb0ELi4EEvPKT_PKT0_S8_ifPKiSA_SA_iPKfiiiPfSD_PS3_PT2_iSC_SC_,@function
_Z38paged_attention_ll4mi_QKV_mfma4_kernelI14__hip_bfloat16S0_LN4vllm18Fp8KVCacheDataTypeE0ES0_Li32ELi64ELi256ELb0ELi4EEvPKT_PKT0_S8_ifPKiSA_SA_iPKfiiiPfSD_PS3_PT2_iSC_SC_: ; @_Z38paged_attention_ll4mi_QKV_mfma4_kernelI14__hip_bfloat16S0_LN4vllm18Fp8KVCacheDataTypeE0ES0_Li32ELi64ELi256ELb0ELi4EEvPKT_PKT0_S8_ifPKiSA_SA_iPKfiiiPfSD_PS3_PT2_iSC_SC_
; %bb.0:
	s_load_dwordx2 s[2:3], s[4:5], 0x30
	s_mov_b32 s24, s7
	s_mov_b64 s[0:1], 0
	s_waitcnt lgkmcnt(0)
	s_cmp_lg_u64 s[2:3], 0
	s_cselect_b64 s[10:11], -1, 0
	s_and_b64 vcc, exec, s[10:11]
	s_cbranch_vccz .LBB271_18
; %bb.1:
	s_add_i32 s12, s6, 1
	s_mov_b32 s13, 0
	s_lshl_b64 s[14:15], s[12:13], 2
	s_add_u32 s14, s2, s14
	s_mov_b32 s7, s13
	s_addc_u32 s15, s3, s15
	s_lshl_b64 s[12:13], s[6:7], 2
	s_add_u32 s12, s2, s12
	s_addc_u32 s13, s3, s13
	s_load_dword s9, s[14:15], 0x0
	s_load_dword s16, s[12:13], 0x0
	s_mov_b64 s[36:37], s[6:7]
	s_waitcnt lgkmcnt(0)
	s_sub_i32 s9, s9, s16
	s_cmp_eq_u32 s9, 1
	s_cselect_b64 s[12:13], -1, 0
	s_andn2_b64 vcc, exec, s[0:1]
	s_cbranch_vccnz .LBB271_3
.LBB271_2:
	s_mov_b32 s7, 0
	s_mov_b64 s[12:13], -1
	s_mov_b64 s[36:37], s[6:7]
.LBB271_3:
	s_andn2_b64 vcc, exec, s[12:13]
	s_cbranch_vccnz .LBB271_17
; %bb.4:
	s_load_dword s7, s[4:5], 0x9c
	s_load_dwordx2 s[0:1], s[4:5], 0x28
	s_add_u32 s28, s4, 0x90
	s_addc_u32 s29, s5, 0
	s_lshl_b64 s[16:17], s[36:37], 2
	s_waitcnt lgkmcnt(0)
	s_and_b32 s7, s7, 0xffff
	s_add_u32 s0, s0, s16
	s_addc_u32 s1, s1, s17
	s_load_dword s9, s[0:1], 0x0
	s_mul_i32 s18, s24, s7
	s_waitcnt lgkmcnt(0)
	s_cmp_ge_i32 s18, s9
	s_cbranch_scc1 .LBB271_17
; %bb.5:
	v_and_b32_e32 v2, 0xc0, v0
	v_add_u32_e32 v2, s18, v2
	v_lshrrev_b32_e32 v1, 6, v0
	v_cmp_gt_i32_e64 s[0:1], s9, v2
	v_cmp_le_i32_e32 vcc, s9, v2
                                        ; implicit-def: $sgpr20
                                        ; implicit-def: $sgpr19
	s_and_saveexec_b64 s[12:13], vcc
	s_xor_b64 s[12:13], exec, s[12:13]
	s_cbranch_execz .LBB271_7
; %bb.6:
	v_mul_u32_u24_e32 v2, 20, v1
	v_or_b32_e32 v2, 0xa00, v2
	v_mov_b32_e32 v3, 0xa50
	v_mov_b32_e32 v4, 0xff7fffff
	v_mad_u32_u24 v3, v1, 20, v3
	ds_write2_b32 v2, v4, v4 offset1:1
	v_mov_b32_e32 v2, 0
	ds_write2_b32 v3, v2, v2 offset1:1
	v_mov_b32_e32 v3, 0xa08
	s_mov_b32 s19, 0xff7fffff
	s_mov_b32 s20, 0
	v_mad_u32_u24 v3, v1, 20, v3
	v_mov_b32_e32 v5, 0xa58
	v_mad_u32_u24 v5, v1, 20, v5
	ds_write2_b32 v3, v4, v4 offset1:1
	ds_write2_b32 v5, v2, v2 offset1:1
                                        ; implicit-def: $vgpr2
.LBB271_7:
	s_or_saveexec_b64 s[30:31], s[12:13]
	s_load_dwordx2 s[26:27], s[4:5], 0x68
	s_load_dwordx4 s[12:15], s[4:5], 0x58
	s_load_dword s7, s[28:29], 0x4
	v_and_b32_e32 v40, 63, v0
	v_and_b32_e32 v38, 3, v0
	v_mov_b32_e32 v37, s20
	v_mov_b32_e32 v41, s19
	;; [unrolled: 1-line block ×5, first 2 shown]
                                        ; implicit-def: $vgpr3
                                        ; implicit-def: $vgpr7
                                        ; implicit-def: $vgpr11
                                        ; implicit-def: $vgpr15
                                        ; implicit-def: $vgpr19
                                        ; implicit-def: $vgpr23
                                        ; implicit-def: $vgpr27
                                        ; implicit-def: $vgpr31
	s_xor_b64 exec, exec, s[30:31]
	s_cbranch_execz .LBB271_13
; %bb.8:
	s_add_i32 s22, s9, 31
	s_load_dwordx2 s[20:21], s[4:5], 0x20
	s_load_dword s19, s[4:5], 0x38
	s_ashr_i32 s23, s22, 31
	s_lshr_b32 s23, s23, 27
	v_add_u32_e32 v34, s18, v0
	s_add_i32 s22, s22, s23
	v_ashrrev_i32_e32 v3, 31, v34
	s_ashr_i32 s22, s22, 5
	v_lshrrev_b32_e32 v3, 27, v3
	s_add_i32 s25, s22, -1
	v_add_u32_e32 v3, v34, v3
	s_waitcnt lgkmcnt(0)
	s_mul_i32 s38, s6, s19
	s_mov_b32 s39, 0
	v_ashrrev_i32_e32 v3, 5, v3
	v_mov_b32_e32 v4, s25
	v_cmp_gt_i32_e32 vcc, s9, v34
	s_lshl_b64 s[22:23], s[38:39], 2
	v_cndmask_b32_e32 v4, v4, v3, vcc
	s_add_u32 s19, s20, s22
	v_ashrrev_i32_e32 v5, 31, v4
	s_addc_u32 s20, s21, s23
	v_lshlrev_b64 v[4:5], 2, v[4:5]
	v_mov_b32_e32 v3, s20
	v_add_co_u32_e32 v6, vcc, s19, v4
	v_addc_co_u32_e32 v7, vcc, v3, v5, vcc
	v_ashrrev_i32_e32 v3, 31, v2
	v_lshrrev_b32_e32 v3, 27, v3
	v_add_u32_e32 v2, v2, v3
	v_ashrrev_i32_e32 v4, 5, v2
	v_min_i32_e32 v2, s25, v4
	v_ashrrev_i32_e32 v3, 31, v2
	v_lshlrev_b64 v[2:3], 2, v[2:3]
	v_add_co_u32_e32 v8, vcc, s19, v2
	v_add_u32_e32 v2, 1, v4
	v_mov_b32_e32 v5, s20
	v_min_i32_e32 v2, s25, v2
	v_addc_co_u32_e32 v9, vcc, v5, v3, vcc
	v_ashrrev_i32_e32 v3, 31, v2
	v_lshlrev_b64 v[2:3], 2, v[2:3]
	v_mov_b32_e32 v4, s20
	v_add_co_u32_e32 v10, vcc, s19, v2
	v_addc_co_u32_e32 v11, vcc, v4, v3, vcc
	global_load_dword v4, v[6:7], off
	global_load_dword v2, v[8:9], off
	;; [unrolled: 1-line block ×3, first 2 shown]
	s_load_dwordx4 s[20:23], s[4:5], 0x0
	s_load_dwordx2 s[34:35], s[4:5], 0x10
	s_andn2_b64 vcc, exec, s[10:11]
	s_cbranch_vccnz .LBB271_10
; %bb.9:
	s_add_u32 s2, s2, s16
	s_addc_u32 s3, s3, s17
	s_load_dword s38, s[2:3], 0x0
	s_waitcnt lgkmcnt(0)
	s_mov_b64 s[36:37], s[38:39]
.LBB271_10:
	s_load_dwordx4 s[16:19], s[4:5], 0x48
	v_lshrrev_b32_e32 v5, 2, v40
	v_lshlrev_b32_e32 v6, 3, v38
	v_add_lshl_u32 v5, v6, v5, 4
	v_lshlrev_b32_e32 v32, 6, v40
	s_waitcnt lgkmcnt(0)
	s_ashr_i32 s3, s16, 31
	s_mul_hi_u32 s10, s36, s16
	s_mul_i32 s3, s36, s3
	s_mul_i32 s11, s37, s16
	s_add_i32 s3, s10, s3
	s_mul_i32 s2, s36, s16
	s_add_i32 s3, s3, s11
	s_lshl_b64 s[2:3], s[2:3], 1
	s_add_u32 s10, s20, s2
	s_addc_u32 s11, s21, s3
	s_lshl_b32 s38, s8, 8
	s_lshl_b64 s[2:3], s[38:39], 1
	s_add_u32 s2, s10, s2
	s_addc_u32 s3, s11, s3
	global_load_dwordx4 v[42:45], v5, s[2:3]
	s_waitcnt vmcnt(3)
	v_mad_i64_i32 v[4:5], s[2:3], v4, s17, 0
	s_mul_i32 s38, s8, s18
	s_lshl_b64 s[2:3], s[38:39], 1
	s_add_u32 s10, s2, s22
	v_lshlrev_b64 v[4:5], 1, v[4:5]
	s_addc_u32 s11, s3, s23
	v_mov_b32_e32 v6, s11
	v_add_co_u32_e32 v4, vcc, s10, v4
	v_addc_co_u32_e32 v5, vcc, v6, v5, vcc
	v_and_b32_e32 v6, 31, v0
	v_lshlrev_b32_e32 v6, 4, v6
	v_add_co_u32_e32 v28, vcc, v4, v6
	v_addc_co_u32_e32 v29, vcc, 0, v5, vcc
	global_load_dwordx4 v[4:7], v[28:29], off
	global_load_dwordx4 v[8:11], v[28:29], off offset:512
	global_load_dwordx4 v[12:15], v[28:29], off offset:1024
	;; [unrolled: 1-line block ×7, first 2 shown]
	v_cmp_eq_u32_e32 vcc, 0, v38
	s_waitcnt vmcnt(10)
	v_mul_hi_i32 v28, v2, s17
	v_cndmask_b32_e64 v39, 0, 1.0, vcc
	v_cmp_eq_u32_e32 vcc, 1, v38
	v_ashrrev_i32_e32 v28, 31, v28
	v_mov_b32_e32 v29, 0
	v_cndmask_b32_e64 v41, 0, 1.0, vcc
	v_cmp_eq_u32_e32 vcc, 2, v38
	s_waitcnt vmcnt(9)
	v_mul_hi_i32 v30, v3, s17
	v_lshrrev_b32_e32 v28, 29, v28
	s_add_u32 s2, s34, s2
	v_cndmask_b32_e64 v54, 0, 1.0, vcc
	v_cmp_eq_u32_e32 vcc, 3, v38
	v_ashrrev_i32_e32 v33, 31, v30
	v_mad_i64_i32 v[30:31], s[10:11], v2, s17, v[28:29]
	s_addc_u32 s3, s35, s3
	v_cndmask_b32_e64 v55, 0, 1.0, vcc
	v_lshrrev_b32_e32 v28, 29, v33
	v_lshlrev_b64 v[30:31], 1, v[30:31]
	v_mad_i64_i32 v[2:3], s[10:11], v3, s17, v[28:29]
	v_lshlrev_b64 v[2:3], 1, v[2:3]
	v_and_b32_e32 v2, -16, v2
	s_load_dword s4, s[4:5], 0x1c
	v_and_b32_e32 v56, -4, v34
	v_lshlrev_b32_e32 v57, 2, v0
	s_waitcnt vmcnt(7)
	v_mfma_f32_4x4x4bf16_1k a[0:3], v[42:43], v[4:5], 0 cbsz:4
	v_mov_b32_e32 v5, s3
	v_mfma_f32_4x4x4bf16_1k a[0:3], v[44:45], v[6:7], a[0:3] cbsz:4
	v_add_co_u32_e32 v6, vcc, s2, v32
	s_waitcnt vmcnt(6)
	v_mfma_f32_4x4x4bf16_1k a[0:3], v[42:43], v[8:9], a[0:3] cbsz:4 abid:1
	v_and_b32_e32 v4, -16, v30
	v_mfma_f32_4x4x4bf16_1k a[0:3], v[44:45], v[10:11], a[0:3] cbsz:4 abid:1
	v_addc_co_u32_e32 v5, vcc, 0, v5, vcc
	s_waitcnt vmcnt(5)
	v_mfma_f32_4x4x4bf16_1k a[0:3], v[42:43], v[12:13], a[0:3] cbsz:4 abid:2
	v_mfma_f32_4x4x4bf16_1k a[0:3], v[44:45], v[14:15], a[0:3] cbsz:4 abid:2
	s_waitcnt vmcnt(4)
	v_mfma_f32_4x4x4bf16_1k a[0:3], v[42:43], v[16:17], a[0:3] cbsz:4 abid:3
	v_mfma_f32_4x4x4bf16_1k a[0:3], v[44:45], v[18:19], a[0:3] cbsz:4 abid:3
	v_add_co_u32_e32 v18, vcc, v6, v4
	s_waitcnt vmcnt(3)
	v_mfma_f32_4x4x4bf16_1k a[0:3], v[42:43], v[20:21], a[0:3] cbsz:4 abid:4
	v_addc_co_u32_e32 v19, vcc, v5, v31, vcc
	v_mfma_f32_4x4x4bf16_1k a[0:3], v[44:45], v[22:23], a[0:3] cbsz:4 abid:4
	v_add_co_u32_e32 v36, vcc, v6, v2
	s_waitcnt vmcnt(2)
	v_mfma_f32_4x4x4bf16_1k a[0:3], v[42:43], v[24:25], a[0:3] cbsz:4 abid:5
	v_addc_co_u32_e32 v37, vcc, v5, v3, vcc
	global_load_dwordx4 v[2:5], v[18:19], off
	global_load_dwordx4 v[6:9], v[18:19], off offset:16
	global_load_dwordx4 v[10:13], v[18:19], off offset:32
	;; [unrolled: 1-line block ×3, first 2 shown]
	v_mfma_f32_4x4x4bf16_1k a[0:3], v[44:45], v[26:27], a[0:3] cbsz:4 abid:5
	global_load_dwordx4 v[18:21], v[36:37], off
	global_load_dwordx4 v[22:25], v[36:37], off offset:16
	global_load_dwordx4 v[26:29], v[36:37], off offset:32
	;; [unrolled: 1-line block ×3, first 2 shown]
	s_waitcnt vmcnt(9)
	v_mfma_f32_4x4x4bf16_1k a[0:3], v[42:43], v[46:47], a[0:3] cbsz:4 abid:6
	v_mov_b32_e32 v46, 0xff7fffff
	v_mfma_f32_4x4x4bf16_1k a[0:3], v[44:45], v[48:49], a[0:3] cbsz:4 abid:6
	v_cmp_gt_i32_e32 vcc, s9, v56
	s_waitcnt vmcnt(8)
	v_mfma_f32_4x4x4bf16_1k a[0:3], v[42:43], v[50:51], a[0:3] cbsz:4 abid:7
	v_or_b32_e32 v42, 3, v34
	v_mfma_f32_4x4x4bf16_1k a[0:3], v[44:45], v[52:53], a[0:3] cbsz:4 abid:7
	v_and_or_b32 v43, v57, 48, v38
	v_cmp_gt_i32_e64 s[10:11], s9, v42
	s_nop 2
	v_accvgpr_read_b32 v35, a1
	v_accvgpr_read_b32 v34, a0
	s_waitcnt lgkmcnt(0)
	v_pk_mul_f32 v[34:35], s[4:5], v[34:35] op_sel_hi:[0,1]
	v_accvgpr_read_b32 v37, a3
	v_accvgpr_read_b32 v36, a2
	v_pk_mul_f32 v[36:37], s[4:5], v[36:37] op_sel_hi:[0,1]
	v_mfma_f32_4x4x1f32 a[0:3], v34, v39, 0
	v_or_b32_e32 v34, 1, v56
	v_mfma_f32_4x4x1f32 a[0:3], v35, v41, a[0:3]
	v_lshlrev_b32_e32 v39, 2, v43
	v_mfma_f32_4x4x1f32 a[0:3], v36, v54, a[0:3]
	v_cmp_gt_i32_e64 s[2:3], s9, v34
	v_mfma_f32_4x4x1f32 a[0:3], v37, v55, a[0:3]
	v_or_b32_e32 v35, 2, v56
	v_cmp_gt_i32_e64 s[4:5], s9, v35
	s_nop 2
	v_accvgpr_read_b32 v36, a0
	v_max_f32_e32 v41, v36, v36
	v_accvgpr_read_b32 v37, a1
	v_max_f32_e32 v41, 0xff7fffff, v41
	v_max_f32_e32 v45, v37, v37
	v_cndmask_b32_e32 v41, v46, v41, vcc
	v_accvgpr_read_b32 v43, a2
	v_max_f32_e32 v45, v41, v45
	v_max_f32_e32 v47, v43, v43
	v_cndmask_b32_e64 v34, v41, v45, s[2:3]
	v_accvgpr_read_b32 v44, a3
	v_max_f32_e32 v41, v34, v47
	v_max_f32_e32 v48, v44, v44
	v_cndmask_b32_e64 v34, v34, v41, s[4:5]
	v_max_f32_e32 v35, v34, v48
	v_cndmask_b32_e64 v34, v34, v35, s[10:11]
	;;#ASMSTART
	v_nop
 v_nop
 v_max_f32_dpp v34, v34, v34 row_ror:4
	;;#ASMEND
	;;#ASMSTART
	v_nop
 v_nop
 v_max_f32_dpp v34, v34, v34 row_ror:8
	;;#ASMEND
	ds_bpermute_b32 v34, v39, v34
	s_waitcnt lgkmcnt(0)
	;;#ASMSTART
	v_nop
 v_nop
 v_max_f32_dpp v34, v34, v34 row_ror:4
	;;#ASMEND
	;;#ASMSTART
	v_nop
 v_nop
 v_max_f32_dpp v41, v34, v34 row_ror:8
	;;#ASMEND
	v_sub_f32_e32 v34, v36, v41
	v_sub_f32_e32 v35, v37, v41
	v_mul_f32_e32 v34, 0x3fb8aa3b, v34
	v_sub_f32_e32 v36, v43, v41
	v_mul_f32_e32 v35, 0x3fb8aa3b, v35
	v_exp_f32_e32 v34, v34
	v_sub_f32_e32 v37, v44, v41
	v_mul_f32_e32 v36, 0x3fb8aa3b, v36
	v_exp_f32_e32 v35, v35
	v_mul_f32_e32 v37, 0x3fb8aa3b, v37
	v_exp_f32_e32 v36, v36
	v_exp_f32_e32 v37, v37
	v_cndmask_b32_e32 v34, 0, v34, vcc
	v_cndmask_b32_e64 v35, 0, v35, s[2:3]
	v_add_f32_e32 v42, 0, v34
	v_cndmask_b32_e64 v36, 0, v36, s[4:5]
	v_add_f32_e32 v42, v42, v35
	;; [unrolled: 2-line block ×3, first 2 shown]
	v_add_f32_e32 v42, v42, v37
	;;#ASMSTART
	v_nop
 v_nop
 v_add_f32_dpp v42, v42, v42 row_ror:4
	;;#ASMEND
	;;#ASMSTART
	v_nop
 v_nop
 v_add_f32_dpp v42, v42, v42 row_ror:8
	;;#ASMEND
	ds_bpermute_b32 v39, v39, v42
	s_waitcnt lgkmcnt(0)
	;;#ASMSTART
	v_nop
 v_nop
 v_add_f32_dpp v39, v39, v39 row_ror:4
	;;#ASMEND
	v_cmp_gt_u32_e32 vcc, 4, v40
	;;#ASMSTART
	v_nop
 v_nop
 v_add_f32_dpp v39, v39, v39 row_ror:8
	;;#ASMEND
	s_and_saveexec_b64 s[2:3], vcc
	s_cbranch_execz .LBB271_12
; %bb.11:
	v_mul_u32_u24_e32 v42, 20, v1
	v_lshl_add_u32 v42, v38, 2, v42
	v_add_u32_e32 v42, 0x800, v42
	ds_write2_b32 v42, v41, v39 offset0:128 offset1:148
.LBB271_12:
	s_or_b64 exec, exec, s[2:3]
.LBB271_13:
	s_or_b64 exec, exec, s[30:31]
	v_lshlrev_b32_e32 v39, 2, v38
	v_add_u32_e32 v39, 0x800, v39
	s_waitcnt lgkmcnt(0)
	s_barrier
	s_load_dword s2, s[28:29], 0x8
	ds_read2_b32 v[44:45], v39 offset0:128 offset1:133
	ds_read2_b32 v[46:47], v39 offset0:138 offset1:143
	s_mov_b32 s9, 0xff7fffff
	s_mul_i32 s3, s6, s7
	ds_read2_b32 v[48:49], v39 offset0:148 offset1:153
	s_waitcnt lgkmcnt(0)
	v_max3_f32 v42, v44, s9, v45
	v_max3_f32 v42, v42, v46, v47
	v_sub_f32_e32 v43, v44, v42
	v_sub_f32_e32 v44, v45, v42
	s_mul_i32 s3, s3, s2
	v_mul_f32_e32 v43, 0x3fb8aa3b, v43
	v_mul_f32_e32 v44, 0x3fb8aa3b, v44
	s_lshl_b32 s2, s3, 2
	s_mov_b32 s3, 0
	v_exp_f32_e32 v43, v43
	v_exp_f32_e32 v50, v44
	ds_read2_b32 v[44:45], v39 offset0:158 offset1:163
	v_sub_f32_e32 v39, v46, v42
	s_lshl_b32 s8, s8, 2
	s_lshl_b64 s[4:5], s[2:3], 2
	v_mul_f32_e32 v39, 0x3fb8aa3b, v39
	v_sub_f32_e32 v46, v47, v42
	s_mov_b32 s25, s3
	s_add_u32 s3, s12, s4
	v_exp_f32_e32 v39, v39
	v_mul_f32_e32 v46, 0x3fb8aa3b, v46
	s_addc_u32 s6, s13, s5
	v_exp_f32_e32 v46, v46
	s_add_u32 s9, s14, s4
	v_fma_f32 v43, v43, v48, 0
	s_addc_u32 s10, s15, s5
	s_lshl_b64 s[4:5], s[24:25], 2
	v_fmac_f32_e32 v43, v50, v49
	v_or_b32_e32 v38, s8, v38
	s_add_u32 s9, s9, s4
	s_waitcnt lgkmcnt(0)
	v_fmac_f32_e32 v43, v39, v44
	v_mul_lo_u32 v38, s7, v38
	v_mov_b32_e32 v39, 0
	s_addc_u32 s10, s10, s5
	v_fmac_f32_e32 v43, v46, v45
	v_lshlrev_b64 v[44:45], 2, v[38:39]
	s_add_u32 s3, s3, s4
	v_mov_b32_e32 v38, s10
	v_add_co_u32_e32 v46, vcc, s9, v44
	s_addc_u32 s4, s6, s5
	v_addc_co_u32_e32 v47, vcc, v38, v45, vcc
	v_mov_b32_e32 v38, s4
	v_add_co_u32_e32 v44, vcc, s3, v44
	v_addc_co_u32_e32 v45, vcc, v38, v45, vcc
	v_mov_b32_e32 v38, v39
	global_store_dword v[46:47], v42, off
	global_store_dword v[44:45], v43, off
	s_and_saveexec_b64 s[4:5], s[0:1]
	s_cbranch_execz .LBB271_15
; %bb.14:
	v_add_f32_e32 v38, 0x358637bd, v43
	v_div_scale_f32 v39, s[0:1], v38, v38, 1.0
	v_rcp_f32_e32 v43, v39
	v_div_scale_f32 v44, vcc, 1.0, v38, 1.0
	v_sub_f32_e32 v41, v41, v42
	v_fma_f32 v45, -v39, v43, 1.0
	v_fmac_f32_e32 v43, v45, v43
	v_mul_f32_e32 v45, v44, v43
	v_fma_f32 v46, -v39, v45, v44
	v_mul_f32_e32 v41, 0x3fb8aa3b, v41
	v_fmac_f32_e32 v45, v46, v43
	v_exp_f32_e32 v41, v41
	v_fma_f32 v39, -v39, v45, v44
	v_div_fmas_f32 v39, v39, v43, v45
	v_div_fixup_f32 v38, v39, v38, 1.0
	v_mul_f32_e32 v38, v41, v38
	v_pk_mul_f32 v[34:35], v[34:35], v[38:39] op_sel_hi:[1,0]
	v_pk_mul_f32 v[36:37], v[36:37], v[38:39] op_sel_hi:[1,0]
	v_bfe_u32 v38, v35, 16, 1
	v_bfe_u32 v39, v34, 16, 1
	s_movk_i32 s0, 0x7fff
	v_add3_u32 v34, v34, v39, s0
	v_add3_u32 v35, v35, v38, s0
	s_mov_b32 s1, 0x7060302
	v_perm_b32 v34, v35, v34, s1
	v_bfe_u32 v35, v37, 16, 1
	v_bfe_u32 v38, v36, 16, 1
	v_add3_u32 v36, v36, v38, s0
	v_add3_u32 v35, v37, v35, s0
	v_perm_b32 v35, v35, v36, s1
	s_waitcnt vmcnt(9)
	s_nop 0
	v_mfma_f32_4x4x4bf16_1k a[0:3], v[34:35], v[2:3], 0 cbsz:4
	v_mfma_f32_4x4x4bf16_1k a[0:3], v[34:35], v[4:5], a[0:3] cbsz:4 abid:1
	s_waitcnt vmcnt(8)
	v_mfma_f32_4x4x4bf16_1k a[0:3], v[34:35], v[6:7], a[0:3] cbsz:4 abid:2
	v_mfma_f32_4x4x4bf16_1k a[0:3], v[34:35], v[8:9], a[0:3] cbsz:4 abid:3
	s_waitcnt vmcnt(7)
	v_mfma_f32_4x4x4bf16_1k a[0:3], v[34:35], v[10:11], a[0:3] cbsz:4 abid:4
	;; [unrolled: 3-line block ×7, first 2 shown]
	v_mfma_f32_4x4x4bf16_1k a[0:3], v[34:35], v[32:33], a[0:3] cbsz:4 abid:15
	s_nop 4
	v_accvgpr_read_b32 v5, a1
	v_accvgpr_read_b32 v2, a2
	;; [unrolled: 1-line block ×4, first 2 shown]
	v_bfe_u32 v6, v5, 16, 1
	v_bfe_u32 v7, v4, 16, 1
	;; [unrolled: 1-line block ×3, first 2 shown]
	v_add3_u32 v5, v5, v6, s0
	v_bfe_u32 v6, v2, 16, 1
	v_add3_u32 v4, v4, v7, s0
	v_add3_u32 v2, v2, v6, s0
	;; [unrolled: 1-line block ×3, first 2 shown]
	v_perm_b32 v39, v3, v2, s1
	v_perm_b32 v38, v5, v4, s1
.LBB271_15:
	s_or_b64 exec, exec, s[4:5]
	v_lshlrev_b32_e32 v1, 3, v1
	v_mad_u32_u24 v1, v40, 40, v1
	v_cmp_gt_u32_e32 vcc, 64, v0
	ds_write_b64 v1, v[38:39]
	s_waitcnt lgkmcnt(0)
	s_barrier
	s_and_saveexec_b64 s[0:1], vcc
	s_cbranch_execz .LBB271_17
; %bb.16:
	v_mul_u32_u24_e32 v1, 40, v40
	s_waitcnt vmcnt(9)
	ds_read2_b64 v[2:5], v1 offset1:1
	s_waitcnt vmcnt(8)
	ds_read2_b64 v[6:9], v1 offset0:2 offset1:3
	s_mov_b32 s1, 0
	s_lshl_b32 s0, s2, 6
	s_lshl_b64 s[2:3], s[0:1], 1
	s_waitcnt lgkmcnt(1)
	v_lshlrev_b32_e32 v1, 16, v2
	v_and_b32_e32 v2, 0xffff0000, v2
	v_add_f32_e32 v1, 0, v1
	v_add_f32_e32 v2, 0, v2
	s_waitcnt vmcnt(7)
	v_lshlrev_b32_e32 v10, 16, v3
	v_and_b32_e32 v3, 0xffff0000, v3
	v_and_b32_e32 v1, 0xffff0000, v1
	;; [unrolled: 1-line block ×3, first 2 shown]
	v_add_f32_e32 v3, 0, v3
	v_lshlrev_b32_e32 v11, 16, v4
	v_and_b32_e32 v4, 0xffff0000, v4
	v_add_f32_e32 v10, 0, v10
	v_and_b32_e32 v3, 0xffff0000, v3
	v_add_f32_e32 v1, v1, v11
	v_add_f32_e32 v2, v2, v4
	v_lshlrev_b32_e32 v4, 16, v5
	v_and_b32_e32 v5, 0xffff0000, v5
	v_and_b32_e32 v10, 0xffff0000, v10
	;; [unrolled: 1-line block ×3, first 2 shown]
	v_add_f32_e32 v3, v3, v5
	s_waitcnt lgkmcnt(0)
	v_lshlrev_b32_e32 v5, 16, v6
	v_and_b32_e32 v2, 0xffff0000, v2
	v_add_f32_e32 v4, v10, v4
	v_add_f32_e32 v1, v1, v5
	v_and_b32_e32 v5, 0xffff0000, v6
	v_and_b32_e32 v4, 0xffff0000, v4
	v_add_f32_e32 v2, v2, v5
	v_lshlrev_b32_e32 v5, 16, v7
	s_add_u32 s2, s26, s2
	v_and_b32_e32 v3, 0xffff0000, v3
	v_add_f32_e32 v4, v4, v5
	v_and_b32_e32 v5, 0xffff0000, v7
	s_addc_u32 s3, s27, s3
	s_lshl_b32 s0, s24, 6
	v_and_b32_e32 v1, 0xffff0000, v1
	v_add_f32_e32 v3, v3, v5
	v_lshlrev_b32_e32 v5, 16, v8
	s_lshl_b64 s[0:1], s[0:1], 1
	v_and_b32_e32 v2, 0xffff0000, v2
	v_add_f32_e32 v1, v1, v5
	v_and_b32_e32 v5, 0xffff0000, v8
	s_add_u32 s0, s2, s0
	v_and_b32_e32 v4, 0xffff0000, v4
	v_add_f32_e32 v6, v2, v5
	v_lshlrev_b32_e32 v2, 16, v9
	s_addc_u32 s1, s3, s1
	s_lshl_b32 s2, s7, 6
	v_and_b32_e32 v3, 0xffff0000, v3
	v_add_f32_e32 v7, v4, v2
	v_and_b32_e32 v2, 0xffff0000, v9
	s_mul_i32 s3, s2, s8
	v_add_f32_e32 v8, v3, v2
	v_or_b32_e32 v2, s3, v0
	v_mov_b32_e32 v3, 0
	v_lshlrev_b64 v[4:5], 1, v[2:3]
	v_mov_b32_e32 v2, s1
	v_add_co_u32_e32 v4, vcc, s0, v4
	s_add_i32 s3, s3, s2
	v_addc_co_u32_e32 v5, vcc, v2, v5, vcc
	v_or_b32_e32 v2, s3, v0
	global_store_short_d16_hi v[4:5], v1, off
	v_lshlrev_b64 v[4:5], 1, v[2:3]
	v_mov_b32_e32 v1, s1
	v_add_co_u32_e32 v4, vcc, s0, v4
	s_add_i32 s3, s3, s2
	v_addc_co_u32_e32 v5, vcc, v1, v5, vcc
	v_or_b32_e32 v2, s3, v0
	global_store_short_d16_hi v[4:5], v6, off
	v_lshlrev_b64 v[4:5], 1, v[2:3]
	s_add_i32 s3, s3, s2
	v_add_co_u32_e32 v4, vcc, s0, v4
	v_or_b32_e32 v2, s3, v0
	v_addc_co_u32_e32 v5, vcc, v1, v5, vcc
	v_lshlrev_b64 v[0:1], 1, v[2:3]
	v_mov_b32_e32 v2, s1
	v_add_co_u32_e32 v0, vcc, s0, v0
	v_addc_co_u32_e32 v1, vcc, v2, v1, vcc
	global_store_short_d16_hi v[4:5], v7, off
	global_store_short_d16_hi v[0:1], v8, off
.LBB271_17:
	s_endpgm
.LBB271_18:
	s_mov_b64 s[12:13], 0
                                        ; implicit-def: $sgpr36_sgpr37
	s_branch .LBB271_2
	.section	.rodata,"a",@progbits
	.p2align	6, 0x0
	.amdhsa_kernel _Z38paged_attention_ll4mi_QKV_mfma4_kernelI14__hip_bfloat16S0_LN4vllm18Fp8KVCacheDataTypeE0ES0_Li32ELi64ELi256ELb0ELi4EEvPKT_PKT0_S8_ifPKiSA_SA_iPKfiiiPfSD_PS3_PT2_iSC_SC_
		.amdhsa_group_segment_fixed_size 2720
		.amdhsa_private_segment_fixed_size 0
		.amdhsa_kernarg_size 400
		.amdhsa_user_sgpr_count 6
		.amdhsa_user_sgpr_private_segment_buffer 1
		.amdhsa_user_sgpr_dispatch_ptr 0
		.amdhsa_user_sgpr_queue_ptr 0
		.amdhsa_user_sgpr_kernarg_segment_ptr 1
		.amdhsa_user_sgpr_dispatch_id 0
		.amdhsa_user_sgpr_flat_scratch_init 0
		.amdhsa_user_sgpr_kernarg_preload_length 0
		.amdhsa_user_sgpr_kernarg_preload_offset 0
		.amdhsa_user_sgpr_private_segment_size 0
		.amdhsa_uses_dynamic_stack 0
		.amdhsa_system_sgpr_private_segment_wavefront_offset 0
		.amdhsa_system_sgpr_workgroup_id_x 1
		.amdhsa_system_sgpr_workgroup_id_y 1
		.amdhsa_system_sgpr_workgroup_id_z 1
		.amdhsa_system_sgpr_workgroup_info 0
		.amdhsa_system_vgpr_workitem_id 0
		.amdhsa_next_free_vgpr 64
		.amdhsa_next_free_sgpr 40
		.amdhsa_accum_offset 60
		.amdhsa_reserve_vcc 1
		.amdhsa_reserve_flat_scratch 0
		.amdhsa_float_round_mode_32 0
		.amdhsa_float_round_mode_16_64 0
		.amdhsa_float_denorm_mode_32 3
		.amdhsa_float_denorm_mode_16_64 3
		.amdhsa_dx10_clamp 1
		.amdhsa_ieee_mode 1
		.amdhsa_fp16_overflow 0
		.amdhsa_tg_split 0
		.amdhsa_exception_fp_ieee_invalid_op 0
		.amdhsa_exception_fp_denorm_src 0
		.amdhsa_exception_fp_ieee_div_zero 0
		.amdhsa_exception_fp_ieee_overflow 0
		.amdhsa_exception_fp_ieee_underflow 0
		.amdhsa_exception_fp_ieee_inexact 0
		.amdhsa_exception_int_div_zero 0
	.end_amdhsa_kernel
	.section	.text._Z38paged_attention_ll4mi_QKV_mfma4_kernelI14__hip_bfloat16S0_LN4vllm18Fp8KVCacheDataTypeE0ES0_Li32ELi64ELi256ELb0ELi4EEvPKT_PKT0_S8_ifPKiSA_SA_iPKfiiiPfSD_PS3_PT2_iSC_SC_,"axG",@progbits,_Z38paged_attention_ll4mi_QKV_mfma4_kernelI14__hip_bfloat16S0_LN4vllm18Fp8KVCacheDataTypeE0ES0_Li32ELi64ELi256ELb0ELi4EEvPKT_PKT0_S8_ifPKiSA_SA_iPKfiiiPfSD_PS3_PT2_iSC_SC_,comdat
.Lfunc_end271:
	.size	_Z38paged_attention_ll4mi_QKV_mfma4_kernelI14__hip_bfloat16S0_LN4vllm18Fp8KVCacheDataTypeE0ES0_Li32ELi64ELi256ELb0ELi4EEvPKT_PKT0_S8_ifPKiSA_SA_iPKfiiiPfSD_PS3_PT2_iSC_SC_, .Lfunc_end271-_Z38paged_attention_ll4mi_QKV_mfma4_kernelI14__hip_bfloat16S0_LN4vllm18Fp8KVCacheDataTypeE0ES0_Li32ELi64ELi256ELb0ELi4EEvPKT_PKT0_S8_ifPKiSA_SA_iPKfiiiPfSD_PS3_PT2_iSC_SC_
                                        ; -- End function
	.section	.AMDGPU.csdata,"",@progbits
; Kernel info:
; codeLenInByte = 3292
; NumSgprs: 44
; NumVgprs: 58
; NumAgprs: 4
; TotalNumVgprs: 64
; ScratchSize: 0
; MemoryBound: 0
; FloatMode: 240
; IeeeMode: 1
; LDSByteSize: 2720 bytes/workgroup (compile time only)
; SGPRBlocks: 5
; VGPRBlocks: 7
; NumSGPRsForWavesPerEU: 44
; NumVGPRsForWavesPerEU: 64
; AccumOffset: 60
; Occupancy: 8
; WaveLimiterHint : 1
; COMPUTE_PGM_RSRC2:SCRATCH_EN: 0
; COMPUTE_PGM_RSRC2:USER_SGPR: 6
; COMPUTE_PGM_RSRC2:TRAP_HANDLER: 0
; COMPUTE_PGM_RSRC2:TGID_X_EN: 1
; COMPUTE_PGM_RSRC2:TGID_Y_EN: 1
; COMPUTE_PGM_RSRC2:TGID_Z_EN: 1
; COMPUTE_PGM_RSRC2:TIDIG_COMP_CNT: 0
; COMPUTE_PGM_RSRC3_GFX90A:ACCUM_OFFSET: 14
; COMPUTE_PGM_RSRC3_GFX90A:TG_SPLIT: 0
	.section	.text._Z39paged_attention_ll4mi_QKV_mfma16_kernelI14__hip_bfloat16S0_LN4vllm18Fp8KVCacheDataTypeE0ES0_Li32ELi64ELi256ELb0ELi5EL8MFMAType0EEvPKT_PKT0_S9_ifPKiSB_SB_iPKfiiiPfSE_PS4_PT2_iSD_SD_,"axG",@progbits,_Z39paged_attention_ll4mi_QKV_mfma16_kernelI14__hip_bfloat16S0_LN4vllm18Fp8KVCacheDataTypeE0ES0_Li32ELi64ELi256ELb0ELi5EL8MFMAType0EEvPKT_PKT0_S9_ifPKiSB_SB_iPKfiiiPfSE_PS4_PT2_iSD_SD_,comdat
	.protected	_Z39paged_attention_ll4mi_QKV_mfma16_kernelI14__hip_bfloat16S0_LN4vllm18Fp8KVCacheDataTypeE0ES0_Li32ELi64ELi256ELb0ELi5EL8MFMAType0EEvPKT_PKT0_S9_ifPKiSB_SB_iPKfiiiPfSE_PS4_PT2_iSD_SD_ ; -- Begin function _Z39paged_attention_ll4mi_QKV_mfma16_kernelI14__hip_bfloat16S0_LN4vllm18Fp8KVCacheDataTypeE0ES0_Li32ELi64ELi256ELb0ELi5EL8MFMAType0EEvPKT_PKT0_S9_ifPKiSB_SB_iPKfiiiPfSE_PS4_PT2_iSD_SD_
	.globl	_Z39paged_attention_ll4mi_QKV_mfma16_kernelI14__hip_bfloat16S0_LN4vllm18Fp8KVCacheDataTypeE0ES0_Li32ELi64ELi256ELb0ELi5EL8MFMAType0EEvPKT_PKT0_S9_ifPKiSB_SB_iPKfiiiPfSE_PS4_PT2_iSD_SD_
	.p2align	8
	.type	_Z39paged_attention_ll4mi_QKV_mfma16_kernelI14__hip_bfloat16S0_LN4vllm18Fp8KVCacheDataTypeE0ES0_Li32ELi64ELi256ELb0ELi5EL8MFMAType0EEvPKT_PKT0_S9_ifPKiSB_SB_iPKfiiiPfSE_PS4_PT2_iSD_SD_,@function
_Z39paged_attention_ll4mi_QKV_mfma16_kernelI14__hip_bfloat16S0_LN4vllm18Fp8KVCacheDataTypeE0ES0_Li32ELi64ELi256ELb0ELi5EL8MFMAType0EEvPKT_PKT0_S9_ifPKiSB_SB_iPKfiiiPfSE_PS4_PT2_iSD_SD_: ; @_Z39paged_attention_ll4mi_QKV_mfma16_kernelI14__hip_bfloat16S0_LN4vllm18Fp8KVCacheDataTypeE0ES0_Li32ELi64ELi256ELb0ELi5EL8MFMAType0EEvPKT_PKT0_S9_ifPKiSB_SB_iPKfiiiPfSE_PS4_PT2_iSD_SD_
; %bb.0:
	s_load_dwordx2 s[0:1], s[4:5], 0x30
	s_mov_b32 s28, s7
	s_mov_b64 s[10:11], 0
	s_waitcnt lgkmcnt(0)
	s_cmp_lg_u64 s[0:1], 0
	s_cselect_b64 s[2:3], -1, 0
	s_and_b64 vcc, exec, s[2:3]
	s_cbranch_vccz .LBB272_7
; %bb.1:
	s_add_i32 s12, s6, 1
	s_mov_b32 s13, 0
	s_lshl_b64 s[14:15], s[12:13], 2
	s_add_u32 s14, s0, s14
	s_mov_b32 s7, s13
	s_addc_u32 s15, s1, s15
	s_lshl_b64 s[12:13], s[6:7], 2
	s_add_u32 s12, s0, s12
	s_addc_u32 s13, s1, s13
	s_load_dword s9, s[14:15], 0x0
	s_load_dword s16, s[12:13], 0x0
	s_waitcnt lgkmcnt(0)
	s_sub_i32 s9, s9, s16
	s_cmp_eq_u32 s9, 1
	s_cselect_b64 s[12:13], -1, 0
	s_andn2_b64 vcc, exec, s[10:11]
	s_cbranch_vccnz .LBB272_3
.LBB272_2:
	s_mov_b32 s7, 0
	s_mov_b64 s[12:13], -1
.LBB272_3:
	s_andn2_b64 vcc, exec, s[12:13]
	s_cbranch_vccnz .LBB272_20
; %bb.4:
	s_load_dwordx2 s[12:13], s[4:5], 0x28
	s_lshl_b64 s[10:11], s[6:7], 2
	s_waitcnt lgkmcnt(0)
	s_add_u32 s12, s12, s10
	s_addc_u32 s13, s13, s11
	s_load_dword s33, s[12:13], 0x0
	s_lshl_b32 s16, s28, 8
	s_waitcnt lgkmcnt(0)
	s_cmp_ge_i32 s16, s33
	s_cbranch_scc1 .LBB272_20
; %bb.5:
	s_add_i32 s14, s33, 31
	s_load_dwordx2 s[12:13], s[4:5], 0x20
	s_load_dword s9, s[4:5], 0x38
	s_ashr_i32 s15, s14, 31
	v_and_b32_e32 v1, 0xcf, v0
	s_lshr_b32 s15, s15, 27
	v_add_u32_e32 v1, s16, v1
	s_add_i32 s14, s14, s15
	v_ashrrev_i32_e32 v2, 31, v1
	s_ashr_i32 s19, s14, 5
	v_lshrrev_b32_e32 v6, 27, v2
	s_add_i32 s19, s19, -1
	v_add_u32_e32 v2, v1, v6
	s_waitcnt lgkmcnt(0)
	s_mul_i32 s14, s6, s9
	s_mov_b32 s15, 0
	v_ashrrev_i32_e32 v2, 5, v2
	v_mov_b32_e32 v7, s19
	v_cmp_gt_i32_e32 vcc, s33, v1
	s_lshl_b64 s[14:15], s[14:15], 2
	v_cndmask_b32_e32 v2, v7, v2, vcc
	s_add_u32 s17, s12, s14
	v_ashrrev_i32_e32 v3, 31, v2
	s_addc_u32 s18, s13, s15
	v_lshlrev_b64 v[2:3], 2, v[2:3]
	v_mov_b32_e32 v4, s18
	v_add_co_u32_e32 v2, vcc, s17, v2
	v_addc_co_u32_e32 v3, vcc, v4, v3, vcc
	v_or_b32_e32 v4, 16, v1
	v_add_u32_e32 v5, v4, v6
	v_ashrrev_i32_e32 v5, 5, v5
	v_cmp_gt_i32_e32 vcc, s33, v4
	v_cndmask_b32_e32 v4, v7, v5, vcc
	v_ashrrev_i32_e32 v5, 31, v4
	v_lshlrev_b64 v[4:5], 2, v[4:5]
	v_mov_b32_e32 v9, s18
	v_add_co_u32_e32 v8, vcc, s17, v4
	v_or_b32_e32 v4, 32, v1
	v_addc_co_u32_e32 v9, vcc, v9, v5, vcc
	v_add_u32_e32 v5, v4, v6
	v_ashrrev_i32_e32 v5, 5, v5
	v_cmp_gt_i32_e32 vcc, s33, v4
	v_cndmask_b32_e32 v4, v7, v5, vcc
	v_ashrrev_i32_e32 v5, 31, v4
	v_lshlrev_b64 v[4:5], 2, v[4:5]
	v_mov_b32_e32 v11, s18
	v_add_co_u32_e32 v10, vcc, s17, v4
	v_or_b32_e32 v1, 48, v1
	v_addc_co_u32_e32 v11, vcc, v11, v5, vcc
	v_add_u32_e32 v4, v1, v6
	v_ashrrev_i32_e32 v4, 5, v4
	v_cmp_gt_i32_e32 vcc, s33, v1
	v_cndmask_b32_e32 v4, v7, v4, vcc
	v_ashrrev_i32_e32 v5, 31, v4
	v_lshlrev_b64 v[4:5], 2, v[4:5]
	v_mov_b32_e32 v1, s18
	v_add_co_u32_e32 v12, vcc, s17, v4
	v_addc_co_u32_e32 v13, vcc, v1, v5, vcc
	global_load_dword v4, v[2:3], off
	global_load_dword v6, v[8:9], off
	;; [unrolled: 1-line block ×4, first 2 shown]
	s_andn2_b64 vcc, exec, s[2:3]
	s_cbranch_vccnz .LBB272_8
; %bb.6:
	s_add_u32 s0, s0, s10
	s_addc_u32 s1, s1, s11
	s_load_dword s9, s[0:1], 0x0
	s_branch .LBB272_9
.LBB272_7:
	s_mov_b64 s[12:13], 0
	s_branch .LBB272_2
.LBB272_8:
	s_mov_b32 s9, s6
.LBB272_9:
	s_load_dwordx4 s[12:15], s[4:5], 0x8
	s_load_dwordx4 s[44:47], s[4:5], 0x48
	v_lshrrev_b32_e32 v53, 6, v0
	v_bfe_u32 v1, v0, 4, 2
	v_lshl_or_b32 v5, v53, 2, v1
	v_and_b32_e32 v52, 15, v0
	v_cmp_lt_u32_e32 vcc, 4, v5
	v_cmp_lt_u32_e64 s[2:3], 7, v52
	v_lshlrev_b32_e32 v2, 3, v52
	v_cmp_gt_u32_e64 s[0:1], 8, v52
	s_or_b64 s[2:3], s[2:3], vcc
	s_and_saveexec_b64 s[10:11], s[2:3]
	s_xor_b64 s[2:3], exec, s[10:11]
; %bb.10:
	v_mov_b32_e32 v3, 0
                                        ; implicit-def: $vgpr5
; %bb.11:
	s_or_saveexec_b64 s[2:3], s[2:3]
	v_and_b32_e32 v54, 63, v0
	s_mul_i32 s29, s8, 5
	s_xor_b64 exec, exec, s[2:3]
	s_cbranch_execz .LBB272_13
; %bb.12:
	s_load_dwordx2 s[10:11], s[4:5], 0x0
	s_waitcnt lgkmcnt(0)
	s_ashr_i32 s20, s44, 31
	s_mul_hi_u32 s21, s9, s44
	s_mul_i32 s20, s9, s20
	s_add_i32 s21, s21, s20
	s_mul_i32 s20, s9, s44
	s_lshl_b64 s[20:21], s[20:21], 1
	v_add_lshl_u32 v8, v5, s29, 6
	s_add_u32 s9, s10, s20
	v_ashrrev_i32_e32 v9, 31, v8
	s_addc_u32 s10, s11, s21
	v_lshlrev_b64 v[8:9], 1, v[8:9]
	v_mov_b32_e32 v3, s10
	v_add_co_u32_e32 v7, vcc, s9, v8
	v_addc_co_u32_e32 v3, vcc, v3, v9, vcc
	v_lshlrev_b32_e32 v8, 1, v2
	v_add_co_u32_e32 v8, vcc, v7, v8
	v_addc_co_u32_e32 v9, vcc, 0, v3, vcc
	global_load_dwordx4 v[8:11], v[8:9], off
	v_and_b32_e32 v7, 3, v0
	v_lshlrev_b32_e32 v12, 9, v52
	v_lshlrev_b32_e32 v5, 5, v5
	;; [unrolled: 1-line block ×3, first 2 shown]
	v_and_b32_e32 v12, 0x1800, v12
	v_mov_b32_e32 v3, 0
	v_or3_b32 v5, v12, v7, v5
	s_waitcnt vmcnt(0)
	ds_write_b128 v5, v[8:11]
.LBB272_13:
	s_or_b64 exec, exec, s[2:3]
	s_waitcnt lgkmcnt(0)
	s_mul_i32 s8, s8, s46
	s_mov_b32 s9, 0
	s_lshl_b64 s[8:9], s[8:9], 1
	s_add_u32 s3, s12, s8
	s_waitcnt vmcnt(3)
	v_mad_i64_i32 v[4:5], s[10:11], v4, s45, 0
	s_addc_u32 s12, s13, s9
	v_lshlrev_b64 v[4:5], 1, v[4:5]
	v_mov_b32_e32 v7, s12
	v_add_co_u32_e32 v4, vcc, s3, v4
	v_addc_co_u32_e32 v5, vcc, v7, v5, vcc
	v_lshlrev_b64 v[34:35], 1, v[2:3]
	v_add_co_u32_e32 v2, vcc, v4, v34
	v_lshlrev_b32_e32 v28, 9, v1
	v_addc_co_u32_e32 v3, vcc, v5, v35, vcc
	v_add_co_u32_e32 v8, vcc, v2, v28
	s_waitcnt vmcnt(2)
	v_mad_i64_i32 v[6:7], s[10:11], v6, s45, 0
	v_addc_co_u32_e32 v9, vcc, 0, v3, vcc
	v_lshlrev_b64 v[6:7], 1, v[6:7]
	s_load_dword s42, s[4:5], 0x98
	s_load_dword s2, s[4:5], 0x1c
	s_waitcnt lgkmcnt(0)
	s_barrier
	global_load_dwordx4 v[2:5], v[8:9], off
	v_mov_b32_e32 v10, s12
	v_add_co_u32_e32 v6, vcc, s3, v6
	v_addc_co_u32_e32 v7, vcc, v10, v7, vcc
	v_mov_b32_e32 v10, 0x100
	v_lshl_or_b32 v29, v52, 4, v10
	v_add_co_u32_e32 v6, vcc, v6, v29
	v_addc_co_u32_e32 v7, vcc, 0, v7, vcc
	v_add_co_u32_e32 v6, vcc, v6, v28
	v_addc_co_u32_e32 v7, vcc, 0, v7, vcc
	global_load_dwordx4 v[10:13], v[6:7], off
	global_load_dwordx4 v[14:17], v[8:9], off offset:2048
	s_waitcnt vmcnt(4)
	v_mad_i64_i32 v[20:21], s[10:11], v19, s45, 0
	global_load_dwordx4 v[6:9], v[6:7], off offset:2048
	v_lshlrev_b64 v[32:33], 1, v[20:21]
	v_mov_b32_e32 v36, s12
	v_add_co_u32_e32 v32, vcc, s3, v32
	v_mul_lo_u16_e32 v22, 52, v52
	v_mov_b32_e32 v23, 5
	v_addc_co_u32_e32 v33, vcc, v36, v33, vcc
	s_waitcnt vmcnt(4)
	v_mad_i64_i32 v[18:19], s[10:11], v18, s45, 0
	v_mul_lo_u16_sdwa v22, v22, v23 dst_sel:DWORD dst_unused:UNUSED_PAD src0_sel:BYTE_1 src1_sel:DWORD
	v_add_co_u32_e32 v32, vcc, v32, v34
	v_lshlrev_b64 v[26:27], 1, v[18:19]
	v_sub_u16_e32 v18, v52, v22
	v_addc_co_u32_e32 v33, vcc, v33, v35, vcc
	v_and_b32_e32 v18, 0xff, v18
	v_add_co_u32_e32 v32, vcc, v32, v28
	v_lshl_add_u32 v18, v18, 5, v28
	v_addc_co_u32_e32 v33, vcc, 0, v33, vcc
	ds_read_b128 v[22:25], v18
	ds_read_b128 v[18:21], v18 offset:2048
	global_load_dwordx4 v[40:43], v[32:33], off
	v_mov_b32_e32 v44, s12
	s_ashr_i32 s10, s16, 31
	v_and_or_b32 v31, v0, 48, s16
	s_lshr_b32 s10, s10, 27
	v_mov_b32_e32 v30, s19
	v_mov_b32_e32 v50, s18
	v_or_b32_e32 v51, 64, v31
	v_add_u32_e32 v55, s10, v51
	s_mov_b32 s43, 0xff7fffff
	s_waitcnt vmcnt(4) lgkmcnt(1)
	v_mfma_f32_16x16x16bf16_1k v[36:39], v[2:3], v[22:23], 0
	v_add_co_u32_e32 v2, vcc, s3, v26
	v_addc_co_u32_e32 v3, vcc, v44, v27, vcc
	s_add_u32 s3, s14, s8
	s_addc_u32 s8, s15, s9
	s_waitcnt vmcnt(3)
	v_mfma_f32_16x16x16bf16_1k v[44:47], v[10:11], v[22:23], 0
	v_add_co_u32_e32 v11, vcc, v2, v29
	v_add_u32_e32 v10, s10, v31
	v_addc_co_u32_e32 v26, vcc, 0, v3, vcc
	v_ashrrev_i32_e32 v27, 5, v10
	v_add_co_u32_e32 v10, vcc, v11, v28
	v_addc_co_u32_e32 v11, vcc, 0, v26, vcc
	v_cmp_gt_i32_e32 vcc, s33, v31
	v_cndmask_b32_e32 v48, v30, v27, vcc
	global_load_dwordx4 v[26:29], v[32:33], off offset:2048
	v_mfma_f32_16x16x16bf16_1k v[2:5], v[4:5], v[24:25], v[36:39]
	v_ashrrev_i32_e32 v49, 31, v48
	s_nop 5
	global_load_dwordx4 v[36:39], v[10:11], off
	global_load_dwordx4 v[56:59], v[10:11], off offset:2048
	v_lshlrev_b64 v[10:11], 2, v[48:49]
	v_add_co_u32_e32 v10, vcc, s17, v10
	v_addc_co_u32_e32 v11, vcc, v50, v11, vcc
	s_waitcnt vmcnt(5) lgkmcnt(0)
	v_mfma_f32_16x16x16bf16_1k v[2:5], v[14:15], v[18:19], v[2:5]
	global_load_dword v14, v[10:11], off
	v_cmp_gt_i32_e32 vcc, s33, v51
	v_mov_b32_e32 v15, s18
	v_mfma_f32_16x16x16bf16_1k v[60:63], v[16:17], v[20:21], v[2:5]
	s_nop 6
	v_ashrrev_i32_e32 v2, 5, v55
	v_cndmask_b32_e32 v2, v30, v2, vcc
	v_ashrrev_i32_e32 v3, 31, v2
	v_lshlrev_b64 v[10:11], 2, v[2:3]
	v_mfma_f32_16x16x16bf16_1k v[2:5], v[12:13], v[24:25], v[44:47]
	v_add_co_u32_e32 v10, vcc, s17, v10
	v_addc_co_u32_e32 v11, vcc, v15, v11, vcc
	global_load_dword v32, v[10:11], off
	v_or_b32_e32 v10, 0x80, v31
	v_add_u32_e32 v11, s10, v10
	v_ashrrev_i32_e32 v11, 5, v11
	v_cmp_gt_i32_e32 vcc, s33, v10
	s_waitcnt vmcnt(6)
	v_mfma_f32_16x16x16bf16_1k v[2:5], v[6:7], v[18:19], v[2:5]
	v_cndmask_b32_e32 v10, v30, v11, vcc
	v_ashrrev_i32_e32 v11, 31, v10
	v_lshlrev_b64 v[6:7], 2, v[10:11]
	v_mov_b32_e32 v10, s18
	v_add_co_u32_e32 v6, vcc, s17, v6
	v_addc_co_u32_e32 v7, vcc, v10, v7, vcc
	global_load_dword v33, v[6:7], off
	v_mfma_f32_16x16x16bf16_1k v[44:47], v[8:9], v[20:21], v[2:5]
	v_or_b32_e32 v6, 0xc0, v31
	v_add_u32_e32 v7, s10, v6
	v_ashrrev_i32_e32 v7, 5, v7
	v_cmp_gt_i32_e32 vcc, s33, v6
	v_cndmask_b32_e32 v6, v30, v7, vcc
	v_ashrrev_i32_e32 v7, 31, v6
	v_lshlrev_b64 v[6:7], 2, v[6:7]
	s_waitcnt vmcnt(6)
	v_mfma_f32_16x16x16bf16_1k v[2:5], v[40:41], v[22:23], 0
	v_mov_b32_e32 v8, s18
	v_add_co_u32_e32 v6, vcc, s17, v6
	v_addc_co_u32_e32 v7, vcc, v8, v7, vcc
	global_load_dword v55, v[6:7], off
	v_and_b32_e32 v6, 16, v0
	v_mfma_f32_16x16x16bf16_1k v[2:5], v[42:43], v[24:25], v[2:5]
	v_lshlrev_b32_e32 v6, 1, v6
	v_mov_b32_e32 v7, s8
	v_add_co_u32_e32 v6, vcc, s3, v6
	v_lshlrev_b32_e32 v8, 6, v52
	v_addc_co_u32_e32 v7, vcc, 0, v7, vcc
	s_waitcnt vmcnt(6)
	v_mfma_f32_16x16x16bf16_1k v[2:5], v[26:27], v[18:19], v[2:5]
	v_lshl_or_b32 v8, v53, 10, v8
	v_add_co_u32_e32 v64, vcc, v6, v8
	v_addc_co_u32_e32 v65, vcc, 0, v7, vcc
	v_pk_mul_f32 v[40:41], s[2:3], v[44:45] op_sel_hi:[0,1]
	v_pk_mul_f32 v[48:49], s[2:3], v[62:63] op_sel_hi:[0,1]
	v_mfma_f32_16x16x16bf16_1k v[26:29], v[28:29], v[20:21], v[2:5]
	v_pk_mul_f32 v[50:51], s[2:3], v[46:47] op_sel_hi:[0,1]
	s_waitcnt vmcnt(1)
	v_mad_i64_i32 v[30:31], s[8:9], v33, s45, 0
	s_nop 3
	v_mad_i64_i32 v[2:3], s[8:9], v14, s45, 0
	v_lshlrev_b64 v[6:7], 1, v[2:3]
	v_mfma_f32_16x16x16bf16_1k v[2:5], v[36:37], v[22:23], 0
	s_nop 0
	v_pk_mul_f32 v[42:43], s[2:3], v[26:27] op_sel_hi:[0,1]
	v_add_co_u32_e32 v6, vcc, v64, v6
	v_addc_co_u32_e32 v7, vcc, v65, v7, vcc
	global_load_dwordx4 v[14:17], v[6:7], off
	global_load_dwordx4 v[10:13], v[6:7], off offset:16
	v_mad_i64_i32 v[6:7], s[8:9], v32, s45, 0
	v_mfma_f32_16x16x16bf16_1k v[22:25], v[38:39], v[24:25], v[2:5]
	v_pk_mul_f32 v[46:47], s[2:3], v[28:29] op_sel_hi:[0,1]
	v_lshlrev_b64 v[6:7], 1, v[6:7]
	v_lshlrev_b64 v[30:31], 1, v[30:31]
	v_mfma_f32_16x16x16bf16_1k v[22:25], v[56:57], v[18:19], v[22:25]
	v_pk_mul_f32 v[18:19], s[2:3], v[60:61] op_sel_hi:[0,1]
	s_nop 1
	v_add_co_u32_e32 v2, vcc, v64, v6
	v_addc_co_u32_e32 v3, vcc, v65, v7, vcc
	v_add_co_u32_e32 v38, vcc, v64, v30
	v_mfma_f32_16x16x16bf16_1k v[20:23], v[58:59], v[20:21], v[22:25]
	v_addc_co_u32_e32 v39, vcc, v65, v31, vcc
	global_load_dwordx4 v[6:9], v[2:3], off
	s_nop 0
	global_load_dwordx4 v[2:5], v[2:3], off offset:16
	s_nop 6
	v_pk_mul_f32 v[44:45], s[2:3], v[20:21] op_sel_hi:[0,1]
	v_and_b32_e32 v20, 0xc0, v0
	v_add_u32_e32 v20, s16, v20
	v_lshl_or_b32 v20, v1, 2, v20
	v_pk_mul_f32 v[36:37], s[2:3], v[22:23] op_sel_hi:[0,1]
	v_or_b32_e32 v23, 1, v20
	v_mov_b32_e32 v21, 0xff7fffff
	v_cmp_gt_i32_e64 s[30:31], s33, v20
	v_cmp_gt_i32_e64 s[34:35], s33, v23
	v_cndmask_b32_e64 v22, v21, v18, s[30:31]
	v_cndmask_b32_e64 v23, v21, v19, s[34:35]
	v_max3_f32 v22, v22, s43, v23
	v_or_b32_e32 v23, 2, v20
	v_or_b32_e32 v24, 3, v20
	v_cmp_gt_i32_e64 s[36:37], s33, v23
	v_cmp_gt_i32_e64 s[38:39], s33, v24
	v_cndmask_b32_e64 v23, v21, v48, s[36:37]
	v_cndmask_b32_e64 v24, v21, v49, s[38:39]
	v_max3_f32 v22, v22, v23, v24
	v_or_b32_e32 v23, 16, v20
	v_or_b32_e32 v24, 17, v20
	;; [unrolled: 7-line block ×7, first 2 shown]
	v_cmp_gt_i32_e32 vcc, s33, v23
	v_cmp_gt_i32_e64 s[2:3], s33, v20
	v_cndmask_b32_e32 v23, v21, v36, vcc
	v_cndmask_b32_e64 v20, v21, v37, s[2:3]
	v_max3_f32 v26, v22, v23, v20
	v_mbcnt_lo_u32_b32 v20, -1, 0
	v_mbcnt_hi_u32_b32 v27, -1, v20
	v_and_b32_e32 v20, 64, v27
	v_add_u32_e32 v28, 64, v20
	v_xor_b32_e32 v20, 32, v27
	v_cmp_lt_i32_e64 s[40:41], v20, v28
	v_cndmask_b32_e64 v20, v27, v20, s[40:41]
	v_lshlrev_b32_e32 v56, 2, v20
	ds_bpermute_b32 v29, v56, v26
	s_waitcnt vmcnt(4)
	v_mad_i64_i32 v[20:21], s[40:41], v55, s45, 0
	v_lshlrev_b64 v[20:21], 1, v[20:21]
	global_load_dwordx4 v[30:33], v[38:39], off
	global_load_dwordx4 v[22:25], v[38:39], off offset:16
	s_waitcnt lgkmcnt(0)
	v_max_f32_e32 v29, v29, v29
	v_max_f32_e32 v26, v26, v29
	v_xor_b32_e32 v29, 16, v27
	v_cmp_lt_i32_e64 s[40:41], v29, v28
	v_cndmask_b32_e64 v27, v27, v29, s[40:41]
	v_lshlrev_b32_e32 v58, 2, v27
	ds_bpermute_b32 v27, v58, v26
	v_add_co_u32_e64 v20, s[40:41], v64, v20
	v_addc_co_u32_e64 v21, s[40:41], v65, v21, s[40:41]
	s_waitcnt lgkmcnt(0)
	v_max_f32_e32 v27, v27, v27
	v_max_f32_e32 v55, v26, v27
	v_sub_f32_e32 v18, v18, v55
	v_mul_f32_e32 v18, 0x3fb8aa3b, v18
	v_exp_f32_e32 v38, v18
	v_sub_f32_e32 v18, v19, v55
	v_mul_f32_e32 v18, 0x3fb8aa3b, v18
	v_exp_f32_e32 v39, v18
	global_load_dwordx4 v[26:29], v[20:21], off
	s_nop 0
	global_load_dwordx4 v[18:21], v[20:21], off offset:16
	v_sub_f32_e32 v48, v48, v55
	v_mul_f32_e32 v48, 0x3fb8aa3b, v48
	v_sub_f32_e32 v49, v49, v55
	v_exp_f32_e32 v48, v48
	v_mul_f32_e32 v49, 0x3fb8aa3b, v49
	v_sub_f32_e32 v40, v40, v55
	v_exp_f32_e32 v49, v49
	v_mul_f32_e32 v40, 0x3fb8aa3b, v40
	v_sub_f32_e32 v41, v41, v55
	v_cndmask_b32_e64 v38, 0, v38, s[30:31]
	v_exp_f32_e32 v40, v40
	v_mul_f32_e32 v41, 0x3fb8aa3b, v41
	v_sub_f32_e32 v50, v50, v55
	v_add_f32_e32 v57, 0, v38
	v_cndmask_b32_e64 v39, 0, v39, s[34:35]
	v_exp_f32_e32 v41, v41
	v_mul_f32_e32 v50, 0x3fb8aa3b, v50
	v_sub_f32_e32 v51, v51, v55
	v_add_f32_e32 v57, v57, v39
	;; [unrolled: 5-line block ×10, first 2 shown]
	v_cndmask_b32_e64 v46, 0, v46, s[12:13]
	v_exp_f32_e32 v36, v36
	v_mul_f32_e32 v37, 0x3fb8aa3b, v37
	v_add_f32_e32 v57, v57, v46
	v_cndmask_b32_e64 v47, 0, v47, s[14:15]
	v_exp_f32_e32 v37, v37
	v_add_f32_e32 v57, v57, v47
	v_cndmask_b32_e64 v44, 0, v44, s[8:9]
	v_add_f32_e32 v57, v57, v44
	v_cndmask_b32_e64 v45, 0, v45, s[10:11]
	v_add_f32_e32 v57, v57, v45
	v_cndmask_b32_e32 v36, 0, v36, vcc
	v_add_f32_e32 v57, v57, v36
	v_cndmask_b32_e64 v37, 0, v37, s[2:3]
	v_add_f32_e32 v57, v57, v37
	ds_bpermute_b32 v56, v56, v57
	v_cmp_gt_u32_e64 s[2:3], 16, v54
	s_waitcnt lgkmcnt(0)
	s_barrier
	v_add_f32_e32 v57, v57, v56
	ds_bpermute_b32 v58, v58, v57
	v_lshlrev_b32_e32 v56, 2, v52
	s_and_saveexec_b64 s[8:9], s[2:3]
	s_cbranch_execz .LBB272_15
; %bb.14:
	s_waitcnt lgkmcnt(0)
	v_add_f32_e32 v54, v57, v58
	v_lshl_or_b32 v57, v53, 6, v56
	ds_write2st64_b32 v57, v55, v54 offset1:1
.LBB272_15:
	s_or_b64 exec, exec, s[8:9]
	s_load_dword s10, s[4:5], 0x94
	s_waitcnt lgkmcnt(0)
	s_barrier
	ds_read2_b32 v[58:59], v56 offset1:16
	ds_read2_b32 v[60:61], v56 offset0:32 offset1:48
	ds_read2_b32 v[62:63], v56 offset0:64 offset1:80
	;; [unrolled: 1-line block ×3, first 2 shown]
	s_movk_i32 s12, 0x7fff
	s_waitcnt lgkmcnt(3)
	v_max3_f32 v54, v58, s43, v59
	s_waitcnt lgkmcnt(2)
	v_max3_f32 v54, v54, v60, v61
	v_sub_f32_e32 v55, v58, v54
	v_mul_f32_e32 v55, 0x3fb8aa3b, v55
	v_exp_f32_e32 v58, v55
	v_sub_f32_e32 v55, v59, v54
	v_mul_f32_e32 v55, 0x3fb8aa3b, v55
	v_exp_f32_e32 v59, v55
	;; [unrolled: 3-line block ×4, first 2 shown]
	s_waitcnt lgkmcnt(1)
	v_fma_f32 v55, v58, v62, 0
	v_fmac_f32_e32 v55, v59, v63
	s_waitcnt lgkmcnt(0)
	v_fmac_f32_e32 v55, v60, v56
	v_fmac_f32_e32 v55, v61, v57
	v_add_f32_e32 v56, 0x358637bd, v55
	v_div_scale_f32 v57, s[8:9], v56, v56, 1.0
	v_rcp_f32_e32 v62, v57
	s_mov_b32 s13, 0x7060302
	s_barrier
	v_fma_f32 v63, -v57, v62, 1.0
	v_fmac_f32_e32 v62, v63, v62
	v_div_scale_f32 v63, vcc, 1.0, v56, 1.0
	v_mul_f32_e32 v64, v63, v62
	v_fma_f32 v65, -v57, v64, v63
	v_fmac_f32_e32 v64, v65, v62
	v_fma_f32 v57, -v57, v64, v63
	v_div_fmas_f32 v57, v57, v62, v64
	v_cmp_eq_u32_e32 vcc, 1, v53
	v_div_fixup_f32 v56, v57, v56, 1.0
	v_cndmask_b32_e32 v57, v58, v59, vcc
	v_cmp_eq_u32_e32 vcc, 2, v53
	v_cndmask_b32_e32 v57, v57, v60, vcc
	v_cmp_eq_u32_e32 vcc, 3, v53
	v_cndmask_b32_e32 v57, v57, v61, vcc
	v_mul_f32_e32 v56, v57, v56
	v_pk_mul_f32 v[38:39], v[56:57], v[38:39] op_sel_hi:[0,1]
	v_pk_mul_f32 v[48:49], v[56:57], v[48:49] op_sel_hi:[0,1]
	v_bfe_u32 v57, v39, 16, 1
	v_bfe_u32 v58, v38, 16, 1
	v_add3_u32 v38, v38, v58, s12
	v_add3_u32 v39, v39, v57, s12
	v_perm_b32 v58, v39, v38, s13
	v_bfe_u32 v38, v49, 16, 1
	v_bfe_u32 v39, v48, 16, 1
	v_add3_u32 v39, v48, v39, s12
	v_add3_u32 v38, v49, v38, s12
	v_perm_b32 v59, v38, v39, s13
	v_lshlrev_b32_e32 v38, 3, v1
	v_lshlrev_b32_e32 v39, 5, v52
	;; [unrolled: 1-line block ×3, first 2 shown]
	v_pk_mul_f32 v[40:41], v[56:57], v[40:41] op_sel_hi:[0,1]
	v_or3_b32 v38, v48, v39, v38
	v_pk_mul_f32 v[48:49], v[56:57], v[50:51] op_sel_hi:[0,1]
	v_bfe_u32 v50, v41, 16, 1
	v_bfe_u32 v51, v40, 16, 1
	v_add3_u32 v40, v40, v51, s12
	v_add3_u32 v41, v41, v50, s12
	v_perm_b32 v40, v41, v40, s13
	v_bfe_u32 v41, v49, 16, 1
	v_bfe_u32 v50, v48, 16, 1
	v_add3_u32 v48, v48, v50, s12
	v_add3_u32 v41, v49, v41, s12
	v_perm_b32 v41, v41, v48, s13
	v_pk_mul_f32 v[42:43], v[56:57], v[42:43] op_sel_hi:[0,1]
	ds_write2st64_b64 v38, v[58:59], v[40:41] offset1:1
	v_pk_mul_f32 v[40:41], v[56:57], v[46:47] op_sel_hi:[0,1]
	v_bfe_u32 v46, v43, 16, 1
	v_bfe_u32 v47, v42, 16, 1
	v_add3_u32 v42, v42, v47, s12
	v_add3_u32 v43, v43, v46, s12
	v_perm_b32 v42, v43, v42, s13
	v_bfe_u32 v43, v41, 16, 1
	v_bfe_u32 v46, v40, 16, 1
	v_add3_u32 v40, v40, v46, s12
	v_add3_u32 v41, v41, v43, s12
	v_perm_b32 v43, v41, v40, s13
	v_pk_mul_f32 v[40:41], v[56:57], v[44:45] op_sel_hi:[0,1]
	v_bfe_u32 v44, v41, 16, 1
	v_bfe_u32 v45, v40, 16, 1
	v_pk_mul_f32 v[36:37], v[56:57], v[36:37] op_sel_hi:[0,1]
	v_add3_u32 v40, v40, v45, s12
	v_add3_u32 v41, v41, v44, s12
	v_perm_b32 v40, v41, v40, s13
	v_bfe_u32 v41, v37, 16, 1
	v_bfe_u32 v44, v36, 16, 1
	v_add3_u32 v36, v36, v44, s12
	v_add3_u32 v37, v37, v41, s12
	s_mul_i32 s11, s42, 5
	v_perm_b32 v41, v37, v36, s13
	v_cmp_gt_u32_e32 vcc, 5, v0
	ds_write2st64_b64 v38, v[42:43], v[40:41] offset0:2 offset1:3
	s_and_saveexec_b64 s[8:9], vcc
	s_cbranch_execz .LBB272_17
; %bb.16:
	v_add_co_u32_e32 v40, vcc, s29, v52
	v_addc_co_u32_e64 v41, s[14:15], 0, 0, vcc
	v_mov_b32_e32 v36, s11
	v_mov_b32_e32 v37, 0
	v_mad_u64_u32 v[40:41], s[14:15], s6, v36, v[40:41]
	v_mov_b32_e32 v36, s28
	s_load_dwordx4 s[16:19], s[4:5], 0x58
	s_mul_i32 s7, s7, s11
	v_mad_u64_u32 v[36:37], s[14:15], v40, s10, v[36:37]
	v_add_u32_e32 v41, s7, v41
	v_mov_b32_e32 v40, v37
	v_mad_u64_u32 v[40:41], s[14:15], v41, s10, v[40:41]
	v_mov_b32_e32 v37, v40
	v_lshlrev_b64 v[36:37], 2, v[36:37]
	s_waitcnt lgkmcnt(0)
	v_mov_b32_e32 v41, s19
	v_add_co_u32_e32 v40, vcc, s18, v36
	v_addc_co_u32_e32 v41, vcc, v41, v37, vcc
	global_store_dword v[40:41], v54, off
	v_mov_b32_e32 v40, s17
	v_add_co_u32_e32 v36, vcc, s16, v36
	v_addc_co_u32_e32 v37, vcc, v40, v37, vcc
	global_store_dword v[36:37], v55, off
.LBB272_17:
	s_or_b64 exec, exec, s[8:9]
	v_lshl_or_b32 v36, v1, 9, v39
	s_waitcnt lgkmcnt(0)
	s_barrier
	ds_read_b128 v[40:43], v36
	ds_read_b128 v[44:47], v36 offset:16
	s_waitcnt vmcnt(7) lgkmcnt(1)
	v_mfma_f32_16x16x16bf16_1k v[48:51], v[14:15], v[40:41], 0
	v_cmp_gt_u32_e32 vcc, 64, v0
	s_mov_b32 s7, 0
	s_and_b64 s[0:1], vcc, s[0:1]
	v_mfma_f32_16x16x16bf16_1k v[14:17], v[16:17], v[42:43], v[48:51]
	s_waitcnt vmcnt(6) lgkmcnt(0)
	v_mfma_f32_16x16x16bf16_1k v[14:17], v[10:11], v[44:45], v[14:17]
	v_mfma_f32_16x16x16bf16_1k v[10:13], v[12:13], v[46:47], v[14:17]
	s_nop 7
	s_nop 1
	ds_read_b128 v[14:17], v36 offset:2048
	ds_read_b128 v[40:43], v36 offset:2064
	s_waitcnt vmcnt(5) lgkmcnt(1)
	v_mfma_f32_16x16x16bf16_1k v[10:13], v[6:7], v[14:15], v[10:13]
	v_mfma_f32_16x16x16bf16_1k v[6:9], v[8:9], v[16:17], v[10:13]
	s_waitcnt vmcnt(4) lgkmcnt(0)
	v_mfma_f32_16x16x16bf16_1k v[6:9], v[2:3], v[40:41], v[6:9]
	v_mfma_f32_16x16x16bf16_1k v[2:5], v[4:5], v[42:43], v[6:9]
	s_nop 7
	s_nop 1
	ds_read_b128 v[6:9], v36 offset:4096
	ds_read_b128 v[10:13], v36 offset:4112
	s_waitcnt vmcnt(3) lgkmcnt(1)
	v_mfma_f32_16x16x16bf16_1k v[2:5], v[30:31], v[6:7], v[2:5]
	v_mfma_f32_16x16x16bf16_1k v[2:5], v[32:33], v[8:9], v[2:5]
	s_waitcnt vmcnt(2) lgkmcnt(0)
	v_mfma_f32_16x16x16bf16_1k v[2:5], v[22:23], v[10:11], v[2:5]
	v_mfma_f32_16x16x16bf16_1k v[2:5], v[24:25], v[12:13], v[2:5]
	ds_read_b128 v[6:9], v36 offset:6144
	ds_read_b128 v[10:13], v36 offset:6160
	s_waitcnt lgkmcnt(0)
	s_barrier
	s_waitcnt vmcnt(1)
	v_mfma_f32_16x16x16bf16_1k v[2:5], v[26:27], v[6:7], v[2:5]
	v_mfma_f32_16x16x16bf16_1k v[2:5], v[28:29], v[8:9], v[2:5]
	s_waitcnt vmcnt(0)
	v_mfma_f32_16x16x16bf16_1k v[2:5], v[18:19], v[10:11], v[2:5]
	v_mfma_f32_16x16x16bf16_1k v[2:5], v[20:21], v[12:13], v[2:5]
	s_nop 7
	s_nop 2
	v_bfe_u32 v6, v3, 16, 1
	v_bfe_u32 v7, v2, 16, 1
	;; [unrolled: 1-line block ×4, first 2 shown]
	v_add3_u32 v2, v2, v7, s12
	v_add3_u32 v3, v3, v6, s12
	;; [unrolled: 1-line block ×4, first 2 shown]
	v_perm_b32 v2, v3, v2, s13
	v_perm_b32 v3, v5, v4, s13
	ds_write_b64 v38, v[2:3]
	s_waitcnt lgkmcnt(0)
	s_barrier
	s_and_saveexec_b64 s[8:9], s[0:1]
	s_cbranch_execz .LBB272_20
; %bb.18:
	s_load_dwordx2 s[4:5], s[4:5], 0x68
	s_lshl_b32 s0, s10, 6
	s_mul_i32 s1, s11, s6
	s_mul_hi_u32 s9, s1, s0
	s_mul_i32 s8, s1, s0
	s_lshl_b64 s[8:9], s[8:9], 1
	s_waitcnt lgkmcnt(0)
	s_add_u32 s1, s4, s8
	v_lshlrev_b32_e32 v2, 10, v0
	v_lshlrev_b32_e32 v0, 4, v0
	s_addc_u32 s8, s5, s9
	s_lshl_b32 s6, s28, 6
	v_and_b32_e32 v2, 0x1800, v2
	v_lshlrev_b32_e32 v3, 5, v1
	v_and_b32_e32 v0, 16, v0
	s_lshl_b64 s[4:5], s[6:7], 1
	v_or3_b32 v0, v2, v3, v0
	s_add_u32 s1, s1, s4
	s_addc_u32 s4, s8, s5
	ds_read_b128 v[4:7], v0
	v_add_u32_e32 v8, s29, v1
	v_mov_b32_e32 v3, s4
	v_add_co_u32_e32 v2, vcc, s1, v34
	v_mad_u64_u32 v[8:9], s[4:5], v8, s0, 0
	v_addc_co_u32_e32 v3, vcc, v3, v35, vcc
	v_lshlrev_b64 v[8:9], 1, v[8:9]
	v_add_co_u32_e32 v8, vcc, v2, v8
	v_addc_co_u32_e32 v9, vcc, v3, v9, vcc
	s_waitcnt lgkmcnt(0)
	global_store_dwordx4 v[8:9], v[4:7], off
	s_and_b64 exec, exec, s[2:3]
	s_cbranch_execz .LBB272_20
; %bb.19:
	ds_read_b128 v[4:7], v0 offset:128
	v_add3_u32 v0, s29, v1, 4
	v_mad_u64_u32 v[0:1], s[0:1], v0, s0, 0
	v_lshlrev_b64 v[0:1], 1, v[0:1]
	v_add_co_u32_e32 v0, vcc, v2, v0
	v_addc_co_u32_e32 v1, vcc, v3, v1, vcc
	s_waitcnt lgkmcnt(0)
	global_store_dwordx4 v[0:1], v[4:7], off
.LBB272_20:
	s_endpgm
	.section	.rodata,"a",@progbits
	.p2align	6, 0x0
	.amdhsa_kernel _Z39paged_attention_ll4mi_QKV_mfma16_kernelI14__hip_bfloat16S0_LN4vllm18Fp8KVCacheDataTypeE0ES0_Li32ELi64ELi256ELb0ELi5EL8MFMAType0EEvPKT_PKT0_S9_ifPKiSB_SB_iPKfiiiPfSE_PS4_PT2_iSD_SD_
		.amdhsa_group_segment_fixed_size 8192
		.amdhsa_private_segment_fixed_size 0
		.amdhsa_kernarg_size 400
		.amdhsa_user_sgpr_count 6
		.amdhsa_user_sgpr_private_segment_buffer 1
		.amdhsa_user_sgpr_dispatch_ptr 0
		.amdhsa_user_sgpr_queue_ptr 0
		.amdhsa_user_sgpr_kernarg_segment_ptr 1
		.amdhsa_user_sgpr_dispatch_id 0
		.amdhsa_user_sgpr_flat_scratch_init 0
		.amdhsa_user_sgpr_kernarg_preload_length 0
		.amdhsa_user_sgpr_kernarg_preload_offset 0
		.amdhsa_user_sgpr_private_segment_size 0
		.amdhsa_uses_dynamic_stack 0
		.amdhsa_system_sgpr_private_segment_wavefront_offset 0
		.amdhsa_system_sgpr_workgroup_id_x 1
		.amdhsa_system_sgpr_workgroup_id_y 1
		.amdhsa_system_sgpr_workgroup_id_z 1
		.amdhsa_system_sgpr_workgroup_info 0
		.amdhsa_system_vgpr_workitem_id 0
		.amdhsa_next_free_vgpr 66
		.amdhsa_next_free_sgpr 48
		.amdhsa_accum_offset 68
		.amdhsa_reserve_vcc 1
		.amdhsa_reserve_flat_scratch 0
		.amdhsa_float_round_mode_32 0
		.amdhsa_float_round_mode_16_64 0
		.amdhsa_float_denorm_mode_32 3
		.amdhsa_float_denorm_mode_16_64 3
		.amdhsa_dx10_clamp 1
		.amdhsa_ieee_mode 1
		.amdhsa_fp16_overflow 0
		.amdhsa_tg_split 0
		.amdhsa_exception_fp_ieee_invalid_op 0
		.amdhsa_exception_fp_denorm_src 0
		.amdhsa_exception_fp_ieee_div_zero 0
		.amdhsa_exception_fp_ieee_overflow 0
		.amdhsa_exception_fp_ieee_underflow 0
		.amdhsa_exception_fp_ieee_inexact 0
		.amdhsa_exception_int_div_zero 0
	.end_amdhsa_kernel
	.section	.text._Z39paged_attention_ll4mi_QKV_mfma16_kernelI14__hip_bfloat16S0_LN4vllm18Fp8KVCacheDataTypeE0ES0_Li32ELi64ELi256ELb0ELi5EL8MFMAType0EEvPKT_PKT0_S9_ifPKiSB_SB_iPKfiiiPfSE_PS4_PT2_iSD_SD_,"axG",@progbits,_Z39paged_attention_ll4mi_QKV_mfma16_kernelI14__hip_bfloat16S0_LN4vllm18Fp8KVCacheDataTypeE0ES0_Li32ELi64ELi256ELb0ELi5EL8MFMAType0EEvPKT_PKT0_S9_ifPKiSB_SB_iPKfiiiPfSE_PS4_PT2_iSD_SD_,comdat
.Lfunc_end272:
	.size	_Z39paged_attention_ll4mi_QKV_mfma16_kernelI14__hip_bfloat16S0_LN4vllm18Fp8KVCacheDataTypeE0ES0_Li32ELi64ELi256ELb0ELi5EL8MFMAType0EEvPKT_PKT0_S9_ifPKiSB_SB_iPKfiiiPfSE_PS4_PT2_iSD_SD_, .Lfunc_end272-_Z39paged_attention_ll4mi_QKV_mfma16_kernelI14__hip_bfloat16S0_LN4vllm18Fp8KVCacheDataTypeE0ES0_Li32ELi64ELi256ELb0ELi5EL8MFMAType0EEvPKT_PKT0_S9_ifPKiSB_SB_iPKfiiiPfSE_PS4_PT2_iSD_SD_
                                        ; -- End function
	.section	.AMDGPU.csdata,"",@progbits
; Kernel info:
; codeLenInByte = 4336
; NumSgprs: 52
; NumVgprs: 66
; NumAgprs: 0
; TotalNumVgprs: 66
; ScratchSize: 0
; MemoryBound: 0
; FloatMode: 240
; IeeeMode: 1
; LDSByteSize: 8192 bytes/workgroup (compile time only)
; SGPRBlocks: 6
; VGPRBlocks: 8
; NumSGPRsForWavesPerEU: 52
; NumVGPRsForWavesPerEU: 66
; AccumOffset: 68
; Occupancy: 7
; WaveLimiterHint : 1
; COMPUTE_PGM_RSRC2:SCRATCH_EN: 0
; COMPUTE_PGM_RSRC2:USER_SGPR: 6
; COMPUTE_PGM_RSRC2:TRAP_HANDLER: 0
; COMPUTE_PGM_RSRC2:TGID_X_EN: 1
; COMPUTE_PGM_RSRC2:TGID_Y_EN: 1
; COMPUTE_PGM_RSRC2:TGID_Z_EN: 1
; COMPUTE_PGM_RSRC2:TIDIG_COMP_CNT: 0
; COMPUTE_PGM_RSRC3_GFX90A:ACCUM_OFFSET: 16
; COMPUTE_PGM_RSRC3_GFX90A:TG_SPLIT: 0
	.section	.text._Z39paged_attention_ll4mi_QKV_mfma16_kernelI14__hip_bfloat16S0_LN4vllm18Fp8KVCacheDataTypeE0ES0_Li32ELi64ELi256ELb0ELi6EL8MFMAType0EEvPKT_PKT0_S9_ifPKiSB_SB_iPKfiiiPfSE_PS4_PT2_iSD_SD_,"axG",@progbits,_Z39paged_attention_ll4mi_QKV_mfma16_kernelI14__hip_bfloat16S0_LN4vllm18Fp8KVCacheDataTypeE0ES0_Li32ELi64ELi256ELb0ELi6EL8MFMAType0EEvPKT_PKT0_S9_ifPKiSB_SB_iPKfiiiPfSE_PS4_PT2_iSD_SD_,comdat
	.protected	_Z39paged_attention_ll4mi_QKV_mfma16_kernelI14__hip_bfloat16S0_LN4vllm18Fp8KVCacheDataTypeE0ES0_Li32ELi64ELi256ELb0ELi6EL8MFMAType0EEvPKT_PKT0_S9_ifPKiSB_SB_iPKfiiiPfSE_PS4_PT2_iSD_SD_ ; -- Begin function _Z39paged_attention_ll4mi_QKV_mfma16_kernelI14__hip_bfloat16S0_LN4vllm18Fp8KVCacheDataTypeE0ES0_Li32ELi64ELi256ELb0ELi6EL8MFMAType0EEvPKT_PKT0_S9_ifPKiSB_SB_iPKfiiiPfSE_PS4_PT2_iSD_SD_
	.globl	_Z39paged_attention_ll4mi_QKV_mfma16_kernelI14__hip_bfloat16S0_LN4vllm18Fp8KVCacheDataTypeE0ES0_Li32ELi64ELi256ELb0ELi6EL8MFMAType0EEvPKT_PKT0_S9_ifPKiSB_SB_iPKfiiiPfSE_PS4_PT2_iSD_SD_
	.p2align	8
	.type	_Z39paged_attention_ll4mi_QKV_mfma16_kernelI14__hip_bfloat16S0_LN4vllm18Fp8KVCacheDataTypeE0ES0_Li32ELi64ELi256ELb0ELi6EL8MFMAType0EEvPKT_PKT0_S9_ifPKiSB_SB_iPKfiiiPfSE_PS4_PT2_iSD_SD_,@function
_Z39paged_attention_ll4mi_QKV_mfma16_kernelI14__hip_bfloat16S0_LN4vllm18Fp8KVCacheDataTypeE0ES0_Li32ELi64ELi256ELb0ELi6EL8MFMAType0EEvPKT_PKT0_S9_ifPKiSB_SB_iPKfiiiPfSE_PS4_PT2_iSD_SD_: ; @_Z39paged_attention_ll4mi_QKV_mfma16_kernelI14__hip_bfloat16S0_LN4vllm18Fp8KVCacheDataTypeE0ES0_Li32ELi64ELi256ELb0ELi6EL8MFMAType0EEvPKT_PKT0_S9_ifPKiSB_SB_iPKfiiiPfSE_PS4_PT2_iSD_SD_
; %bb.0:
	s_load_dwordx2 s[0:1], s[4:5], 0x30
	s_mov_b32 s28, s7
	s_mov_b64 s[10:11], 0
	s_waitcnt lgkmcnt(0)
	s_cmp_lg_u64 s[0:1], 0
	s_cselect_b64 s[2:3], -1, 0
	s_and_b64 vcc, exec, s[2:3]
	s_cbranch_vccz .LBB273_7
; %bb.1:
	s_add_i32 s12, s6, 1
	s_mov_b32 s13, 0
	s_lshl_b64 s[14:15], s[12:13], 2
	s_add_u32 s14, s0, s14
	s_mov_b32 s7, s13
	s_addc_u32 s15, s1, s15
	s_lshl_b64 s[12:13], s[6:7], 2
	s_add_u32 s12, s0, s12
	s_addc_u32 s13, s1, s13
	s_load_dword s9, s[14:15], 0x0
	s_load_dword s16, s[12:13], 0x0
	s_waitcnt lgkmcnt(0)
	s_sub_i32 s9, s9, s16
	s_cmp_eq_u32 s9, 1
	s_cselect_b64 s[12:13], -1, 0
	s_andn2_b64 vcc, exec, s[10:11]
	s_cbranch_vccnz .LBB273_3
.LBB273_2:
	s_mov_b32 s7, 0
	s_mov_b64 s[12:13], -1
.LBB273_3:
	s_andn2_b64 vcc, exec, s[12:13]
	s_cbranch_vccnz .LBB273_20
; %bb.4:
	s_load_dwordx2 s[12:13], s[4:5], 0x28
	s_lshl_b64 s[10:11], s[6:7], 2
	s_waitcnt lgkmcnt(0)
	s_add_u32 s12, s12, s10
	s_addc_u32 s13, s13, s11
	s_load_dword s33, s[12:13], 0x0
	s_lshl_b32 s16, s28, 8
	s_waitcnt lgkmcnt(0)
	s_cmp_ge_i32 s16, s33
	s_cbranch_scc1 .LBB273_20
; %bb.5:
	s_add_i32 s14, s33, 31
	s_load_dwordx2 s[12:13], s[4:5], 0x20
	s_load_dword s9, s[4:5], 0x38
	s_ashr_i32 s15, s14, 31
	v_and_b32_e32 v1, 0xcf, v0
	s_lshr_b32 s15, s15, 27
	v_add_u32_e32 v1, s16, v1
	s_add_i32 s14, s14, s15
	v_ashrrev_i32_e32 v2, 31, v1
	s_ashr_i32 s19, s14, 5
	v_lshrrev_b32_e32 v6, 27, v2
	s_add_i32 s19, s19, -1
	v_add_u32_e32 v2, v1, v6
	s_waitcnt lgkmcnt(0)
	s_mul_i32 s14, s6, s9
	s_mov_b32 s15, 0
	v_ashrrev_i32_e32 v2, 5, v2
	v_mov_b32_e32 v7, s19
	v_cmp_gt_i32_e32 vcc, s33, v1
	s_lshl_b64 s[14:15], s[14:15], 2
	v_cndmask_b32_e32 v2, v7, v2, vcc
	s_add_u32 s17, s12, s14
	v_ashrrev_i32_e32 v3, 31, v2
	s_addc_u32 s18, s13, s15
	v_lshlrev_b64 v[2:3], 2, v[2:3]
	v_mov_b32_e32 v4, s18
	v_add_co_u32_e32 v2, vcc, s17, v2
	v_addc_co_u32_e32 v3, vcc, v4, v3, vcc
	v_or_b32_e32 v4, 16, v1
	v_add_u32_e32 v5, v4, v6
	v_ashrrev_i32_e32 v5, 5, v5
	v_cmp_gt_i32_e32 vcc, s33, v4
	v_cndmask_b32_e32 v4, v7, v5, vcc
	v_ashrrev_i32_e32 v5, 31, v4
	v_lshlrev_b64 v[4:5], 2, v[4:5]
	v_mov_b32_e32 v9, s18
	v_add_co_u32_e32 v8, vcc, s17, v4
	v_or_b32_e32 v4, 32, v1
	v_addc_co_u32_e32 v9, vcc, v9, v5, vcc
	v_add_u32_e32 v5, v4, v6
	v_ashrrev_i32_e32 v5, 5, v5
	v_cmp_gt_i32_e32 vcc, s33, v4
	v_cndmask_b32_e32 v4, v7, v5, vcc
	v_ashrrev_i32_e32 v5, 31, v4
	v_lshlrev_b64 v[4:5], 2, v[4:5]
	v_mov_b32_e32 v11, s18
	v_add_co_u32_e32 v10, vcc, s17, v4
	v_or_b32_e32 v1, 48, v1
	v_addc_co_u32_e32 v11, vcc, v11, v5, vcc
	v_add_u32_e32 v4, v1, v6
	v_ashrrev_i32_e32 v4, 5, v4
	v_cmp_gt_i32_e32 vcc, s33, v1
	v_cndmask_b32_e32 v4, v7, v4, vcc
	v_ashrrev_i32_e32 v5, 31, v4
	v_lshlrev_b64 v[4:5], 2, v[4:5]
	v_mov_b32_e32 v1, s18
	v_add_co_u32_e32 v12, vcc, s17, v4
	v_addc_co_u32_e32 v13, vcc, v1, v5, vcc
	global_load_dword v4, v[2:3], off
	global_load_dword v6, v[8:9], off
	;; [unrolled: 1-line block ×4, first 2 shown]
	s_andn2_b64 vcc, exec, s[2:3]
	s_cbranch_vccnz .LBB273_8
; %bb.6:
	s_add_u32 s0, s0, s10
	s_addc_u32 s1, s1, s11
	s_load_dword s9, s[0:1], 0x0
	s_branch .LBB273_9
.LBB273_7:
	s_mov_b64 s[12:13], 0
	s_branch .LBB273_2
.LBB273_8:
	s_mov_b32 s9, s6
.LBB273_9:
	s_load_dwordx4 s[12:15], s[4:5], 0x8
	s_load_dwordx4 s[44:47], s[4:5], 0x48
	v_lshrrev_b32_e32 v53, 6, v0
	v_bfe_u32 v1, v0, 4, 2
	v_lshl_or_b32 v5, v53, 2, v1
	v_and_b32_e32 v52, 15, v0
	v_cmp_lt_u32_e32 vcc, 5, v5
	v_cmp_lt_u32_e64 s[2:3], 7, v52
	v_lshlrev_b32_e32 v2, 3, v52
	v_cmp_gt_u32_e64 s[0:1], 8, v52
	s_or_b64 s[2:3], s[2:3], vcc
	s_and_saveexec_b64 s[10:11], s[2:3]
	s_xor_b64 s[2:3], exec, s[10:11]
; %bb.10:
	v_mov_b32_e32 v3, 0
                                        ; implicit-def: $vgpr5
; %bb.11:
	s_or_saveexec_b64 s[2:3], s[2:3]
	v_and_b32_e32 v54, 63, v0
	s_mul_i32 s29, s8, 6
	s_xor_b64 exec, exec, s[2:3]
	s_cbranch_execz .LBB273_13
; %bb.12:
	s_load_dwordx2 s[10:11], s[4:5], 0x0
	s_waitcnt lgkmcnt(0)
	s_ashr_i32 s20, s44, 31
	s_mul_hi_u32 s21, s9, s44
	s_mul_i32 s20, s9, s20
	s_add_i32 s21, s21, s20
	s_mul_i32 s20, s9, s44
	s_lshl_b64 s[20:21], s[20:21], 1
	v_add_lshl_u32 v8, v5, s29, 6
	s_add_u32 s9, s10, s20
	v_ashrrev_i32_e32 v9, 31, v8
	s_addc_u32 s10, s11, s21
	v_lshlrev_b64 v[8:9], 1, v[8:9]
	v_mov_b32_e32 v3, s10
	v_add_co_u32_e32 v7, vcc, s9, v8
	v_addc_co_u32_e32 v3, vcc, v3, v9, vcc
	v_lshlrev_b32_e32 v8, 1, v2
	v_add_co_u32_e32 v8, vcc, v7, v8
	v_addc_co_u32_e32 v9, vcc, 0, v3, vcc
	global_load_dwordx4 v[8:11], v[8:9], off
	v_and_b32_e32 v7, 3, v0
	v_lshlrev_b32_e32 v12, 9, v52
	v_lshlrev_b32_e32 v5, 5, v5
	;; [unrolled: 1-line block ×3, first 2 shown]
	v_and_b32_e32 v12, 0x1800, v12
	v_mov_b32_e32 v3, 0
	v_or3_b32 v5, v12, v7, v5
	s_waitcnt vmcnt(0)
	ds_write_b128 v5, v[8:11]
.LBB273_13:
	s_or_b64 exec, exec, s[2:3]
	s_waitcnt lgkmcnt(0)
	s_mul_i32 s8, s8, s46
	s_mov_b32 s9, 0
	s_lshl_b64 s[8:9], s[8:9], 1
	s_add_u32 s3, s12, s8
	s_waitcnt vmcnt(3)
	v_mad_i64_i32 v[4:5], s[10:11], v4, s45, 0
	s_addc_u32 s12, s13, s9
	v_lshlrev_b64 v[4:5], 1, v[4:5]
	v_mov_b32_e32 v7, s12
	v_add_co_u32_e32 v4, vcc, s3, v4
	v_addc_co_u32_e32 v5, vcc, v7, v5, vcc
	v_lshlrev_b64 v[34:35], 1, v[2:3]
	v_add_co_u32_e32 v2, vcc, v4, v34
	v_lshlrev_b32_e32 v28, 9, v1
	v_addc_co_u32_e32 v3, vcc, v5, v35, vcc
	v_add_co_u32_e32 v8, vcc, v2, v28
	s_waitcnt vmcnt(2)
	v_mad_i64_i32 v[6:7], s[10:11], v6, s45, 0
	v_addc_co_u32_e32 v9, vcc, 0, v3, vcc
	v_lshlrev_b64 v[6:7], 1, v[6:7]
	s_load_dword s42, s[4:5], 0x98
	s_load_dword s2, s[4:5], 0x1c
	s_waitcnt lgkmcnt(0)
	s_barrier
	global_load_dwordx4 v[2:5], v[8:9], off
	v_mov_b32_e32 v10, s12
	v_add_co_u32_e32 v6, vcc, s3, v6
	v_addc_co_u32_e32 v7, vcc, v10, v7, vcc
	v_mov_b32_e32 v10, 0x100
	v_lshl_or_b32 v29, v52, 4, v10
	v_add_co_u32_e32 v6, vcc, v6, v29
	v_addc_co_u32_e32 v7, vcc, 0, v7, vcc
	v_add_co_u32_e32 v6, vcc, v6, v28
	v_addc_co_u32_e32 v7, vcc, 0, v7, vcc
	global_load_dwordx4 v[10:13], v[6:7], off
	global_load_dwordx4 v[14:17], v[8:9], off offset:2048
	s_waitcnt vmcnt(4)
	v_mad_i64_i32 v[20:21], s[10:11], v19, s45, 0
	global_load_dwordx4 v[6:9], v[6:7], off offset:2048
	v_lshlrev_b64 v[32:33], 1, v[20:21]
	v_mov_b32_e32 v36, s12
	v_add_co_u32_e32 v32, vcc, s3, v32
	v_mul_lo_u16_e32 v22, 43, v52
	v_mov_b32_e32 v23, 6
	v_addc_co_u32_e32 v33, vcc, v36, v33, vcc
	s_waitcnt vmcnt(4)
	v_mad_i64_i32 v[18:19], s[10:11], v18, s45, 0
	v_mul_lo_u16_sdwa v22, v22, v23 dst_sel:DWORD dst_unused:UNUSED_PAD src0_sel:BYTE_1 src1_sel:DWORD
	v_add_co_u32_e32 v32, vcc, v32, v34
	v_lshlrev_b64 v[26:27], 1, v[18:19]
	v_sub_u16_e32 v18, v52, v22
	v_addc_co_u32_e32 v33, vcc, v33, v35, vcc
	v_and_b32_e32 v18, 0xff, v18
	v_add_co_u32_e32 v32, vcc, v32, v28
	v_lshl_add_u32 v18, v18, 5, v28
	v_addc_co_u32_e32 v33, vcc, 0, v33, vcc
	ds_read_b128 v[22:25], v18
	ds_read_b128 v[18:21], v18 offset:2048
	global_load_dwordx4 v[40:43], v[32:33], off
	v_mov_b32_e32 v44, s12
	s_ashr_i32 s10, s16, 31
	v_and_or_b32 v31, v0, 48, s16
	s_lshr_b32 s10, s10, 27
	v_mov_b32_e32 v30, s19
	v_mov_b32_e32 v50, s18
	v_or_b32_e32 v51, 64, v31
	v_add_u32_e32 v55, s10, v51
	s_mov_b32 s43, 0xff7fffff
	s_waitcnt vmcnt(4) lgkmcnt(1)
	v_mfma_f32_16x16x16bf16_1k v[36:39], v[2:3], v[22:23], 0
	v_add_co_u32_e32 v2, vcc, s3, v26
	v_addc_co_u32_e32 v3, vcc, v44, v27, vcc
	s_add_u32 s3, s14, s8
	s_addc_u32 s8, s15, s9
	s_waitcnt vmcnt(3)
	v_mfma_f32_16x16x16bf16_1k v[44:47], v[10:11], v[22:23], 0
	v_add_co_u32_e32 v11, vcc, v2, v29
	v_add_u32_e32 v10, s10, v31
	v_addc_co_u32_e32 v26, vcc, 0, v3, vcc
	v_ashrrev_i32_e32 v27, 5, v10
	v_add_co_u32_e32 v10, vcc, v11, v28
	v_addc_co_u32_e32 v11, vcc, 0, v26, vcc
	v_cmp_gt_i32_e32 vcc, s33, v31
	v_cndmask_b32_e32 v48, v30, v27, vcc
	global_load_dwordx4 v[26:29], v[32:33], off offset:2048
	v_mfma_f32_16x16x16bf16_1k v[2:5], v[4:5], v[24:25], v[36:39]
	v_ashrrev_i32_e32 v49, 31, v48
	s_nop 5
	global_load_dwordx4 v[36:39], v[10:11], off
	global_load_dwordx4 v[56:59], v[10:11], off offset:2048
	v_lshlrev_b64 v[10:11], 2, v[48:49]
	v_add_co_u32_e32 v10, vcc, s17, v10
	v_addc_co_u32_e32 v11, vcc, v50, v11, vcc
	s_waitcnt vmcnt(5) lgkmcnt(0)
	v_mfma_f32_16x16x16bf16_1k v[2:5], v[14:15], v[18:19], v[2:5]
	global_load_dword v14, v[10:11], off
	v_cmp_gt_i32_e32 vcc, s33, v51
	v_mov_b32_e32 v15, s18
	v_mfma_f32_16x16x16bf16_1k v[60:63], v[16:17], v[20:21], v[2:5]
	s_nop 6
	v_ashrrev_i32_e32 v2, 5, v55
	v_cndmask_b32_e32 v2, v30, v2, vcc
	v_ashrrev_i32_e32 v3, 31, v2
	v_lshlrev_b64 v[10:11], 2, v[2:3]
	v_mfma_f32_16x16x16bf16_1k v[2:5], v[12:13], v[24:25], v[44:47]
	v_add_co_u32_e32 v10, vcc, s17, v10
	v_addc_co_u32_e32 v11, vcc, v15, v11, vcc
	global_load_dword v32, v[10:11], off
	v_or_b32_e32 v10, 0x80, v31
	v_add_u32_e32 v11, s10, v10
	v_ashrrev_i32_e32 v11, 5, v11
	v_cmp_gt_i32_e32 vcc, s33, v10
	s_waitcnt vmcnt(6)
	v_mfma_f32_16x16x16bf16_1k v[2:5], v[6:7], v[18:19], v[2:5]
	v_cndmask_b32_e32 v10, v30, v11, vcc
	v_ashrrev_i32_e32 v11, 31, v10
	v_lshlrev_b64 v[6:7], 2, v[10:11]
	v_mov_b32_e32 v10, s18
	v_add_co_u32_e32 v6, vcc, s17, v6
	v_addc_co_u32_e32 v7, vcc, v10, v7, vcc
	global_load_dword v33, v[6:7], off
	v_mfma_f32_16x16x16bf16_1k v[44:47], v[8:9], v[20:21], v[2:5]
	v_or_b32_e32 v6, 0xc0, v31
	v_add_u32_e32 v7, s10, v6
	v_ashrrev_i32_e32 v7, 5, v7
	v_cmp_gt_i32_e32 vcc, s33, v6
	v_cndmask_b32_e32 v6, v30, v7, vcc
	v_ashrrev_i32_e32 v7, 31, v6
	v_lshlrev_b64 v[6:7], 2, v[6:7]
	s_waitcnt vmcnt(6)
	v_mfma_f32_16x16x16bf16_1k v[2:5], v[40:41], v[22:23], 0
	v_mov_b32_e32 v8, s18
	v_add_co_u32_e32 v6, vcc, s17, v6
	v_addc_co_u32_e32 v7, vcc, v8, v7, vcc
	global_load_dword v55, v[6:7], off
	v_and_b32_e32 v6, 16, v0
	v_mfma_f32_16x16x16bf16_1k v[2:5], v[42:43], v[24:25], v[2:5]
	v_lshlrev_b32_e32 v6, 1, v6
	v_mov_b32_e32 v7, s8
	v_add_co_u32_e32 v6, vcc, s3, v6
	v_lshlrev_b32_e32 v8, 6, v52
	v_addc_co_u32_e32 v7, vcc, 0, v7, vcc
	s_waitcnt vmcnt(6)
	v_mfma_f32_16x16x16bf16_1k v[2:5], v[26:27], v[18:19], v[2:5]
	v_lshl_or_b32 v8, v53, 10, v8
	v_add_co_u32_e32 v64, vcc, v6, v8
	v_addc_co_u32_e32 v65, vcc, 0, v7, vcc
	v_pk_mul_f32 v[40:41], s[2:3], v[44:45] op_sel_hi:[0,1]
	v_pk_mul_f32 v[48:49], s[2:3], v[62:63] op_sel_hi:[0,1]
	v_mfma_f32_16x16x16bf16_1k v[26:29], v[28:29], v[20:21], v[2:5]
	v_pk_mul_f32 v[50:51], s[2:3], v[46:47] op_sel_hi:[0,1]
	s_waitcnt vmcnt(1)
	v_mad_i64_i32 v[30:31], s[8:9], v33, s45, 0
	s_nop 3
	v_mad_i64_i32 v[2:3], s[8:9], v14, s45, 0
	v_lshlrev_b64 v[6:7], 1, v[2:3]
	v_mfma_f32_16x16x16bf16_1k v[2:5], v[36:37], v[22:23], 0
	s_nop 0
	v_pk_mul_f32 v[42:43], s[2:3], v[26:27] op_sel_hi:[0,1]
	v_add_co_u32_e32 v6, vcc, v64, v6
	v_addc_co_u32_e32 v7, vcc, v65, v7, vcc
	global_load_dwordx4 v[14:17], v[6:7], off
	global_load_dwordx4 v[10:13], v[6:7], off offset:16
	v_mad_i64_i32 v[6:7], s[8:9], v32, s45, 0
	v_mfma_f32_16x16x16bf16_1k v[22:25], v[38:39], v[24:25], v[2:5]
	v_pk_mul_f32 v[46:47], s[2:3], v[28:29] op_sel_hi:[0,1]
	v_lshlrev_b64 v[6:7], 1, v[6:7]
	v_lshlrev_b64 v[30:31], 1, v[30:31]
	v_mfma_f32_16x16x16bf16_1k v[22:25], v[56:57], v[18:19], v[22:25]
	v_pk_mul_f32 v[18:19], s[2:3], v[60:61] op_sel_hi:[0,1]
	s_nop 1
	v_add_co_u32_e32 v2, vcc, v64, v6
	v_addc_co_u32_e32 v3, vcc, v65, v7, vcc
	v_add_co_u32_e32 v38, vcc, v64, v30
	v_mfma_f32_16x16x16bf16_1k v[20:23], v[58:59], v[20:21], v[22:25]
	v_addc_co_u32_e32 v39, vcc, v65, v31, vcc
	global_load_dwordx4 v[6:9], v[2:3], off
	s_nop 0
	global_load_dwordx4 v[2:5], v[2:3], off offset:16
	s_nop 6
	v_pk_mul_f32 v[44:45], s[2:3], v[20:21] op_sel_hi:[0,1]
	v_and_b32_e32 v20, 0xc0, v0
	v_add_u32_e32 v20, s16, v20
	v_lshl_or_b32 v20, v1, 2, v20
	v_pk_mul_f32 v[36:37], s[2:3], v[22:23] op_sel_hi:[0,1]
	v_or_b32_e32 v23, 1, v20
	v_mov_b32_e32 v21, 0xff7fffff
	v_cmp_gt_i32_e64 s[30:31], s33, v20
	v_cmp_gt_i32_e64 s[34:35], s33, v23
	v_cndmask_b32_e64 v22, v21, v18, s[30:31]
	v_cndmask_b32_e64 v23, v21, v19, s[34:35]
	v_max3_f32 v22, v22, s43, v23
	v_or_b32_e32 v23, 2, v20
	v_or_b32_e32 v24, 3, v20
	v_cmp_gt_i32_e64 s[36:37], s33, v23
	v_cmp_gt_i32_e64 s[38:39], s33, v24
	v_cndmask_b32_e64 v23, v21, v48, s[36:37]
	v_cndmask_b32_e64 v24, v21, v49, s[38:39]
	v_max3_f32 v22, v22, v23, v24
	v_or_b32_e32 v23, 16, v20
	v_or_b32_e32 v24, 17, v20
	;; [unrolled: 7-line block ×7, first 2 shown]
	v_cmp_gt_i32_e32 vcc, s33, v23
	v_cmp_gt_i32_e64 s[2:3], s33, v20
	v_cndmask_b32_e32 v23, v21, v36, vcc
	v_cndmask_b32_e64 v20, v21, v37, s[2:3]
	v_max3_f32 v26, v22, v23, v20
	v_mbcnt_lo_u32_b32 v20, -1, 0
	v_mbcnt_hi_u32_b32 v27, -1, v20
	v_and_b32_e32 v20, 64, v27
	v_add_u32_e32 v28, 64, v20
	v_xor_b32_e32 v20, 32, v27
	v_cmp_lt_i32_e64 s[40:41], v20, v28
	v_cndmask_b32_e64 v20, v27, v20, s[40:41]
	v_lshlrev_b32_e32 v56, 2, v20
	ds_bpermute_b32 v29, v56, v26
	s_waitcnt vmcnt(4)
	v_mad_i64_i32 v[20:21], s[40:41], v55, s45, 0
	v_lshlrev_b64 v[20:21], 1, v[20:21]
	global_load_dwordx4 v[30:33], v[38:39], off
	global_load_dwordx4 v[22:25], v[38:39], off offset:16
	s_waitcnt lgkmcnt(0)
	v_max_f32_e32 v29, v29, v29
	v_max_f32_e32 v26, v26, v29
	v_xor_b32_e32 v29, 16, v27
	v_cmp_lt_i32_e64 s[40:41], v29, v28
	v_cndmask_b32_e64 v27, v27, v29, s[40:41]
	v_lshlrev_b32_e32 v58, 2, v27
	ds_bpermute_b32 v27, v58, v26
	v_add_co_u32_e64 v20, s[40:41], v64, v20
	v_addc_co_u32_e64 v21, s[40:41], v65, v21, s[40:41]
	s_waitcnt lgkmcnt(0)
	v_max_f32_e32 v27, v27, v27
	v_max_f32_e32 v55, v26, v27
	v_sub_f32_e32 v18, v18, v55
	v_mul_f32_e32 v18, 0x3fb8aa3b, v18
	v_exp_f32_e32 v38, v18
	v_sub_f32_e32 v18, v19, v55
	v_mul_f32_e32 v18, 0x3fb8aa3b, v18
	v_exp_f32_e32 v39, v18
	global_load_dwordx4 v[26:29], v[20:21], off
	s_nop 0
	global_load_dwordx4 v[18:21], v[20:21], off offset:16
	v_sub_f32_e32 v48, v48, v55
	v_mul_f32_e32 v48, 0x3fb8aa3b, v48
	v_sub_f32_e32 v49, v49, v55
	v_exp_f32_e32 v48, v48
	v_mul_f32_e32 v49, 0x3fb8aa3b, v49
	v_sub_f32_e32 v40, v40, v55
	v_exp_f32_e32 v49, v49
	v_mul_f32_e32 v40, 0x3fb8aa3b, v40
	v_sub_f32_e32 v41, v41, v55
	v_cndmask_b32_e64 v38, 0, v38, s[30:31]
	v_exp_f32_e32 v40, v40
	v_mul_f32_e32 v41, 0x3fb8aa3b, v41
	v_sub_f32_e32 v50, v50, v55
	v_add_f32_e32 v57, 0, v38
	v_cndmask_b32_e64 v39, 0, v39, s[34:35]
	v_exp_f32_e32 v41, v41
	v_mul_f32_e32 v50, 0x3fb8aa3b, v50
	v_sub_f32_e32 v51, v51, v55
	v_add_f32_e32 v57, v57, v39
	v_cndmask_b32_e64 v48, 0, v48, s[36:37]
	v_exp_f32_e32 v50, v50
	v_mul_f32_e32 v51, 0x3fb8aa3b, v51
	v_sub_f32_e32 v42, v42, v55
	v_add_f32_e32 v57, v57, v48
	v_cndmask_b32_e64 v49, 0, v49, s[38:39]
	v_exp_f32_e32 v51, v51
	v_mul_f32_e32 v42, 0x3fb8aa3b, v42
	v_sub_f32_e32 v43, v43, v55
	v_add_f32_e32 v57, v57, v49
	v_cndmask_b32_e64 v40, 0, v40, s[24:25]
	v_exp_f32_e32 v42, v42
	v_mul_f32_e32 v43, 0x3fb8aa3b, v43
	v_sub_f32_e32 v46, v46, v55
	v_add_f32_e32 v57, v57, v40
	v_cndmask_b32_e64 v41, 0, v41, s[26:27]
	v_exp_f32_e32 v43, v43
	v_mul_f32_e32 v46, 0x3fb8aa3b, v46
	v_sub_f32_e32 v47, v47, v55
	v_add_f32_e32 v57, v57, v41
	v_cndmask_b32_e64 v50, 0, v50, s[20:21]
	v_exp_f32_e32 v46, v46
	v_mul_f32_e32 v47, 0x3fb8aa3b, v47
	v_sub_f32_e32 v44, v44, v55
	v_add_f32_e32 v57, v57, v50
	v_cndmask_b32_e64 v51, 0, v51, s[22:23]
	v_exp_f32_e32 v47, v47
	v_mul_f32_e32 v44, 0x3fb8aa3b, v44
	v_sub_f32_e32 v45, v45, v55
	v_add_f32_e32 v57, v57, v51
	v_cndmask_b32_e64 v42, 0, v42, s[16:17]
	v_exp_f32_e32 v44, v44
	v_mul_f32_e32 v45, 0x3fb8aa3b, v45
	v_sub_f32_e32 v36, v36, v55
	v_add_f32_e32 v57, v57, v42
	v_cndmask_b32_e64 v43, 0, v43, s[18:19]
	v_exp_f32_e32 v45, v45
	v_mul_f32_e32 v36, 0x3fb8aa3b, v36
	v_sub_f32_e32 v37, v37, v55
	v_add_f32_e32 v57, v57, v43
	v_cndmask_b32_e64 v46, 0, v46, s[12:13]
	v_exp_f32_e32 v36, v36
	v_mul_f32_e32 v37, 0x3fb8aa3b, v37
	v_add_f32_e32 v57, v57, v46
	v_cndmask_b32_e64 v47, 0, v47, s[14:15]
	v_exp_f32_e32 v37, v37
	v_add_f32_e32 v57, v57, v47
	v_cndmask_b32_e64 v44, 0, v44, s[8:9]
	v_add_f32_e32 v57, v57, v44
	v_cndmask_b32_e64 v45, 0, v45, s[10:11]
	v_add_f32_e32 v57, v57, v45
	v_cndmask_b32_e32 v36, 0, v36, vcc
	v_add_f32_e32 v57, v57, v36
	v_cndmask_b32_e64 v37, 0, v37, s[2:3]
	v_add_f32_e32 v57, v57, v37
	ds_bpermute_b32 v56, v56, v57
	v_cmp_gt_u32_e32 vcc, 16, v54
	s_waitcnt lgkmcnt(0)
	s_barrier
	v_add_f32_e32 v57, v57, v56
	ds_bpermute_b32 v58, v58, v57
	v_lshlrev_b32_e32 v56, 2, v52
	s_and_saveexec_b64 s[2:3], vcc
	s_cbranch_execz .LBB273_15
; %bb.14:
	s_waitcnt lgkmcnt(0)
	v_add_f32_e32 v54, v57, v58
	v_lshl_or_b32 v57, v53, 6, v56
	ds_write2st64_b32 v57, v55, v54 offset1:1
.LBB273_15:
	s_or_b64 exec, exec, s[2:3]
	s_load_dword s8, s[4:5], 0x94
	s_waitcnt lgkmcnt(0)
	s_barrier
	ds_read2_b32 v[58:59], v56 offset1:16
	ds_read2_b32 v[60:61], v56 offset0:32 offset1:48
	ds_read2_b32 v[62:63], v56 offset0:64 offset1:80
	;; [unrolled: 1-line block ×3, first 2 shown]
	s_movk_i32 s10, 0x7fff
	s_waitcnt lgkmcnt(3)
	v_max3_f32 v54, v58, s43, v59
	s_waitcnt lgkmcnt(2)
	v_max3_f32 v54, v54, v60, v61
	v_sub_f32_e32 v55, v58, v54
	v_mul_f32_e32 v55, 0x3fb8aa3b, v55
	v_exp_f32_e32 v58, v55
	v_sub_f32_e32 v55, v59, v54
	v_mul_f32_e32 v55, 0x3fb8aa3b, v55
	v_exp_f32_e32 v59, v55
	;; [unrolled: 3-line block ×4, first 2 shown]
	s_waitcnt lgkmcnt(1)
	v_fma_f32 v55, v58, v62, 0
	v_fmac_f32_e32 v55, v59, v63
	s_waitcnt lgkmcnt(0)
	v_fmac_f32_e32 v55, v60, v56
	v_fmac_f32_e32 v55, v61, v57
	v_add_f32_e32 v56, 0x358637bd, v55
	v_div_scale_f32 v57, s[2:3], v56, v56, 1.0
	v_rcp_f32_e32 v62, v57
	s_mov_b32 s11, 0x7060302
	s_barrier
	v_fma_f32 v63, -v57, v62, 1.0
	v_fmac_f32_e32 v62, v63, v62
	v_div_scale_f32 v63, vcc, 1.0, v56, 1.0
	v_mul_f32_e32 v64, v63, v62
	v_fma_f32 v65, -v57, v64, v63
	v_fmac_f32_e32 v64, v65, v62
	v_fma_f32 v57, -v57, v64, v63
	v_div_fmas_f32 v57, v57, v62, v64
	v_cmp_eq_u32_e32 vcc, 1, v53
	v_div_fixup_f32 v56, v57, v56, 1.0
	v_cndmask_b32_e32 v57, v58, v59, vcc
	v_cmp_eq_u32_e32 vcc, 2, v53
	v_cndmask_b32_e32 v57, v57, v60, vcc
	v_cmp_eq_u32_e32 vcc, 3, v53
	v_cndmask_b32_e32 v57, v57, v61, vcc
	v_mul_f32_e32 v56, v57, v56
	v_pk_mul_f32 v[38:39], v[56:57], v[38:39] op_sel_hi:[0,1]
	v_pk_mul_f32 v[48:49], v[56:57], v[48:49] op_sel_hi:[0,1]
	v_bfe_u32 v57, v39, 16, 1
	v_bfe_u32 v58, v38, 16, 1
	v_add3_u32 v38, v38, v58, s10
	v_add3_u32 v39, v39, v57, s10
	v_perm_b32 v58, v39, v38, s11
	v_bfe_u32 v38, v49, 16, 1
	v_bfe_u32 v39, v48, 16, 1
	v_add3_u32 v39, v48, v39, s10
	v_add3_u32 v38, v49, v38, s10
	v_perm_b32 v59, v38, v39, s11
	v_lshlrev_b32_e32 v38, 3, v1
	v_lshlrev_b32_e32 v39, 5, v52
	;; [unrolled: 1-line block ×3, first 2 shown]
	v_pk_mul_f32 v[40:41], v[56:57], v[40:41] op_sel_hi:[0,1]
	v_or3_b32 v38, v48, v39, v38
	v_pk_mul_f32 v[48:49], v[56:57], v[50:51] op_sel_hi:[0,1]
	v_bfe_u32 v50, v41, 16, 1
	v_bfe_u32 v51, v40, 16, 1
	v_add3_u32 v40, v40, v51, s10
	v_add3_u32 v41, v41, v50, s10
	v_perm_b32 v40, v41, v40, s11
	v_bfe_u32 v41, v49, 16, 1
	v_bfe_u32 v50, v48, 16, 1
	v_add3_u32 v48, v48, v50, s10
	v_add3_u32 v41, v49, v41, s10
	v_perm_b32 v41, v41, v48, s11
	v_pk_mul_f32 v[42:43], v[56:57], v[42:43] op_sel_hi:[0,1]
	ds_write2st64_b64 v38, v[58:59], v[40:41] offset1:1
	v_pk_mul_f32 v[40:41], v[56:57], v[46:47] op_sel_hi:[0,1]
	v_bfe_u32 v46, v43, 16, 1
	v_bfe_u32 v47, v42, 16, 1
	v_add3_u32 v42, v42, v47, s10
	v_add3_u32 v43, v43, v46, s10
	v_perm_b32 v42, v43, v42, s11
	v_bfe_u32 v43, v41, 16, 1
	v_bfe_u32 v46, v40, 16, 1
	v_add3_u32 v40, v40, v46, s10
	v_add3_u32 v41, v41, v43, s10
	v_perm_b32 v43, v41, v40, s11
	v_pk_mul_f32 v[40:41], v[56:57], v[44:45] op_sel_hi:[0,1]
	v_bfe_u32 v44, v41, 16, 1
	v_bfe_u32 v45, v40, 16, 1
	v_pk_mul_f32 v[36:37], v[56:57], v[36:37] op_sel_hi:[0,1]
	v_add3_u32 v40, v40, v45, s10
	v_add3_u32 v41, v41, v44, s10
	v_perm_b32 v40, v41, v40, s11
	v_bfe_u32 v41, v37, 16, 1
	v_bfe_u32 v44, v36, 16, 1
	v_add3_u32 v36, v36, v44, s10
	v_add3_u32 v37, v37, v41, s10
	s_mul_i32 s9, s42, 6
	v_perm_b32 v41, v37, v36, s11
	v_cmp_gt_u32_e32 vcc, 6, v0
	ds_write2st64_b64 v38, v[42:43], v[40:41] offset0:2 offset1:3
	s_and_saveexec_b64 s[2:3], vcc
	s_cbranch_execz .LBB273_17
; %bb.16:
	v_add_co_u32_e32 v40, vcc, s29, v52
	v_addc_co_u32_e64 v41, s[16:17], 0, 0, vcc
	v_mov_b32_e32 v36, s9
	v_mov_b32_e32 v37, 0
	v_mad_u64_u32 v[40:41], s[16:17], s6, v36, v[40:41]
	v_mov_b32_e32 v36, s28
	s_load_dwordx4 s[12:15], s[4:5], 0x58
	s_mul_i32 s7, s7, s9
	v_mad_u64_u32 v[36:37], s[16:17], v40, s8, v[36:37]
	v_add_u32_e32 v41, s7, v41
	v_mov_b32_e32 v40, v37
	v_mad_u64_u32 v[40:41], s[16:17], v41, s8, v[40:41]
	v_mov_b32_e32 v37, v40
	v_lshlrev_b64 v[36:37], 2, v[36:37]
	s_waitcnt lgkmcnt(0)
	v_mov_b32_e32 v41, s15
	v_add_co_u32_e32 v40, vcc, s14, v36
	v_addc_co_u32_e32 v41, vcc, v41, v37, vcc
	global_store_dword v[40:41], v54, off
	v_mov_b32_e32 v40, s13
	v_add_co_u32_e32 v36, vcc, s12, v36
	v_addc_co_u32_e32 v37, vcc, v40, v37, vcc
	global_store_dword v[36:37], v55, off
.LBB273_17:
	s_or_b64 exec, exec, s[2:3]
	v_lshl_or_b32 v36, v1, 9, v39
	s_waitcnt lgkmcnt(0)
	s_barrier
	ds_read_b128 v[40:43], v36
	ds_read_b128 v[44:47], v36 offset:16
	s_waitcnt vmcnt(7) lgkmcnt(1)
	v_mfma_f32_16x16x16bf16_1k v[48:51], v[14:15], v[40:41], 0
	v_cmp_gt_u32_e32 vcc, 64, v0
	s_mov_b32 s3, 0
	s_and_b64 s[0:1], vcc, s[0:1]
	v_mfma_f32_16x16x16bf16_1k v[14:17], v[16:17], v[42:43], v[48:51]
	s_waitcnt vmcnt(6) lgkmcnt(0)
	v_mfma_f32_16x16x16bf16_1k v[14:17], v[10:11], v[44:45], v[14:17]
	v_mfma_f32_16x16x16bf16_1k v[10:13], v[12:13], v[46:47], v[14:17]
	s_nop 7
	s_nop 1
	ds_read_b128 v[14:17], v36 offset:2048
	ds_read_b128 v[40:43], v36 offset:2064
	s_waitcnt vmcnt(5) lgkmcnt(1)
	v_mfma_f32_16x16x16bf16_1k v[10:13], v[6:7], v[14:15], v[10:13]
	v_mfma_f32_16x16x16bf16_1k v[6:9], v[8:9], v[16:17], v[10:13]
	s_waitcnt vmcnt(4) lgkmcnt(0)
	v_mfma_f32_16x16x16bf16_1k v[6:9], v[2:3], v[40:41], v[6:9]
	v_mfma_f32_16x16x16bf16_1k v[2:5], v[4:5], v[42:43], v[6:9]
	s_nop 7
	s_nop 1
	ds_read_b128 v[6:9], v36 offset:4096
	ds_read_b128 v[10:13], v36 offset:4112
	s_waitcnt vmcnt(3) lgkmcnt(1)
	v_mfma_f32_16x16x16bf16_1k v[2:5], v[30:31], v[6:7], v[2:5]
	v_mfma_f32_16x16x16bf16_1k v[2:5], v[32:33], v[8:9], v[2:5]
	s_waitcnt vmcnt(2) lgkmcnt(0)
	v_mfma_f32_16x16x16bf16_1k v[2:5], v[22:23], v[10:11], v[2:5]
	v_mfma_f32_16x16x16bf16_1k v[2:5], v[24:25], v[12:13], v[2:5]
	ds_read_b128 v[6:9], v36 offset:6144
	ds_read_b128 v[10:13], v36 offset:6160
	s_waitcnt lgkmcnt(0)
	s_barrier
	s_waitcnt vmcnt(1)
	v_mfma_f32_16x16x16bf16_1k v[2:5], v[26:27], v[6:7], v[2:5]
	v_mfma_f32_16x16x16bf16_1k v[2:5], v[28:29], v[8:9], v[2:5]
	s_waitcnt vmcnt(0)
	v_mfma_f32_16x16x16bf16_1k v[2:5], v[18:19], v[10:11], v[2:5]
	v_mfma_f32_16x16x16bf16_1k v[2:5], v[20:21], v[12:13], v[2:5]
	s_nop 7
	s_nop 2
	v_bfe_u32 v6, v3, 16, 1
	v_bfe_u32 v7, v2, 16, 1
	;; [unrolled: 1-line block ×4, first 2 shown]
	v_add3_u32 v2, v2, v7, s10
	v_add3_u32 v3, v3, v6, s10
	;; [unrolled: 1-line block ×4, first 2 shown]
	v_perm_b32 v2, v3, v2, s11
	v_perm_b32 v3, v5, v4, s11
	ds_write_b64 v38, v[2:3]
	s_waitcnt lgkmcnt(0)
	s_barrier
	s_and_saveexec_b64 s[10:11], s[0:1]
	s_cbranch_execz .LBB273_20
; %bb.18:
	s_load_dwordx2 s[4:5], s[4:5], 0x68
	s_lshl_b32 s0, s8, 6
	s_mul_i32 s1, s9, s6
	s_mul_hi_u32 s7, s1, s0
	s_mul_i32 s6, s1, s0
	s_lshl_b64 s[6:7], s[6:7], 1
	s_waitcnt lgkmcnt(0)
	s_add_u32 s1, s4, s6
	s_addc_u32 s4, s5, s7
	s_lshl_b32 s2, s28, 6
	v_lshlrev_b32_e32 v2, 10, v0
	v_lshlrev_b32_e32 v0, 4, v0
	s_lshl_b64 s[2:3], s[2:3], 1
	v_and_b32_e32 v3, 0x1800, v2
	v_lshlrev_b32_e32 v4, 5, v1
	v_and_b32_e32 v0, 16, v0
	s_add_u32 s1, s1, s2
	v_or_b32_e32 v2, 4, v1
	v_or3_b32 v0, v3, v4, v0
	s_addc_u32 s2, s4, s3
	v_add_u32_e32 v1, s29, v1
	v_mov_b32_e32 v4, s2
	v_add_co_u32_e32 v3, vcc, s1, v34
	ds_read_b128 v[6:9], v0
	v_mad_u64_u32 v[10:11], s[2:3], v1, s0, 0
	v_addc_co_u32_e32 v4, vcc, v4, v35, vcc
	v_lshlrev_b64 v[10:11], 1, v[10:11]
	v_add_co_u32_e32 v10, vcc, v3, v10
	v_addc_co_u32_e32 v11, vcc, v4, v11, vcc
	v_cmp_gt_u32_e32 vcc, 6, v2
	s_waitcnt lgkmcnt(0)
	global_store_dwordx4 v[10:11], v[6:9], off
	s_and_b64 exec, exec, vcc
	s_cbranch_execz .LBB273_20
; %bb.19:
	ds_read_b128 v[6:9], v0 offset:128
	v_add_u32_e32 v0, s29, v2
	v_mad_u64_u32 v[0:1], s[0:1], v0, s0, 0
	v_lshlrev_b64 v[0:1], 1, v[0:1]
	v_add_co_u32_e32 v0, vcc, v3, v0
	v_addc_co_u32_e32 v1, vcc, v4, v1, vcc
	s_waitcnt lgkmcnt(0)
	global_store_dwordx4 v[0:1], v[6:9], off
.LBB273_20:
	s_endpgm
	.section	.rodata,"a",@progbits
	.p2align	6, 0x0
	.amdhsa_kernel _Z39paged_attention_ll4mi_QKV_mfma16_kernelI14__hip_bfloat16S0_LN4vllm18Fp8KVCacheDataTypeE0ES0_Li32ELi64ELi256ELb0ELi6EL8MFMAType0EEvPKT_PKT0_S9_ifPKiSB_SB_iPKfiiiPfSE_PS4_PT2_iSD_SD_
		.amdhsa_group_segment_fixed_size 8192
		.amdhsa_private_segment_fixed_size 0
		.amdhsa_kernarg_size 400
		.amdhsa_user_sgpr_count 6
		.amdhsa_user_sgpr_private_segment_buffer 1
		.amdhsa_user_sgpr_dispatch_ptr 0
		.amdhsa_user_sgpr_queue_ptr 0
		.amdhsa_user_sgpr_kernarg_segment_ptr 1
		.amdhsa_user_sgpr_dispatch_id 0
		.amdhsa_user_sgpr_flat_scratch_init 0
		.amdhsa_user_sgpr_kernarg_preload_length 0
		.amdhsa_user_sgpr_kernarg_preload_offset 0
		.amdhsa_user_sgpr_private_segment_size 0
		.amdhsa_uses_dynamic_stack 0
		.amdhsa_system_sgpr_private_segment_wavefront_offset 0
		.amdhsa_system_sgpr_workgroup_id_x 1
		.amdhsa_system_sgpr_workgroup_id_y 1
		.amdhsa_system_sgpr_workgroup_id_z 1
		.amdhsa_system_sgpr_workgroup_info 0
		.amdhsa_system_vgpr_workitem_id 0
		.amdhsa_next_free_vgpr 66
		.amdhsa_next_free_sgpr 48
		.amdhsa_accum_offset 68
		.amdhsa_reserve_vcc 1
		.amdhsa_reserve_flat_scratch 0
		.amdhsa_float_round_mode_32 0
		.amdhsa_float_round_mode_16_64 0
		.amdhsa_float_denorm_mode_32 3
		.amdhsa_float_denorm_mode_16_64 3
		.amdhsa_dx10_clamp 1
		.amdhsa_ieee_mode 1
		.amdhsa_fp16_overflow 0
		.amdhsa_tg_split 0
		.amdhsa_exception_fp_ieee_invalid_op 0
		.amdhsa_exception_fp_denorm_src 0
		.amdhsa_exception_fp_ieee_div_zero 0
		.amdhsa_exception_fp_ieee_overflow 0
		.amdhsa_exception_fp_ieee_underflow 0
		.amdhsa_exception_fp_ieee_inexact 0
		.amdhsa_exception_int_div_zero 0
	.end_amdhsa_kernel
	.section	.text._Z39paged_attention_ll4mi_QKV_mfma16_kernelI14__hip_bfloat16S0_LN4vllm18Fp8KVCacheDataTypeE0ES0_Li32ELi64ELi256ELb0ELi6EL8MFMAType0EEvPKT_PKT0_S9_ifPKiSB_SB_iPKfiiiPfSE_PS4_PT2_iSD_SD_,"axG",@progbits,_Z39paged_attention_ll4mi_QKV_mfma16_kernelI14__hip_bfloat16S0_LN4vllm18Fp8KVCacheDataTypeE0ES0_Li32ELi64ELi256ELb0ELi6EL8MFMAType0EEvPKT_PKT0_S9_ifPKiSB_SB_iPKfiiiPfSE_PS4_PT2_iSD_SD_,comdat
.Lfunc_end273:
	.size	_Z39paged_attention_ll4mi_QKV_mfma16_kernelI14__hip_bfloat16S0_LN4vllm18Fp8KVCacheDataTypeE0ES0_Li32ELi64ELi256ELb0ELi6EL8MFMAType0EEvPKT_PKT0_S9_ifPKiSB_SB_iPKfiiiPfSE_PS4_PT2_iSD_SD_, .Lfunc_end273-_Z39paged_attention_ll4mi_QKV_mfma16_kernelI14__hip_bfloat16S0_LN4vllm18Fp8KVCacheDataTypeE0ES0_Li32ELi64ELi256ELb0ELi6EL8MFMAType0EEvPKT_PKT0_S9_ifPKiSB_SB_iPKfiiiPfSE_PS4_PT2_iSD_SD_
                                        ; -- End function
	.section	.AMDGPU.csdata,"",@progbits
; Kernel info:
; codeLenInByte = 4336
; NumSgprs: 52
; NumVgprs: 66
; NumAgprs: 0
; TotalNumVgprs: 66
; ScratchSize: 0
; MemoryBound: 0
; FloatMode: 240
; IeeeMode: 1
; LDSByteSize: 8192 bytes/workgroup (compile time only)
; SGPRBlocks: 6
; VGPRBlocks: 8
; NumSGPRsForWavesPerEU: 52
; NumVGPRsForWavesPerEU: 66
; AccumOffset: 68
; Occupancy: 7
; WaveLimiterHint : 1
; COMPUTE_PGM_RSRC2:SCRATCH_EN: 0
; COMPUTE_PGM_RSRC2:USER_SGPR: 6
; COMPUTE_PGM_RSRC2:TRAP_HANDLER: 0
; COMPUTE_PGM_RSRC2:TGID_X_EN: 1
; COMPUTE_PGM_RSRC2:TGID_Y_EN: 1
; COMPUTE_PGM_RSRC2:TGID_Z_EN: 1
; COMPUTE_PGM_RSRC2:TIDIG_COMP_CNT: 0
; COMPUTE_PGM_RSRC3_GFX90A:ACCUM_OFFSET: 16
; COMPUTE_PGM_RSRC3_GFX90A:TG_SPLIT: 0
	.section	.text._Z39paged_attention_ll4mi_QKV_mfma16_kernelI14__hip_bfloat16S0_LN4vllm18Fp8KVCacheDataTypeE0ES0_Li32ELi64ELi256ELb0ELi7EL8MFMAType0EEvPKT_PKT0_S9_ifPKiSB_SB_iPKfiiiPfSE_PS4_PT2_iSD_SD_,"axG",@progbits,_Z39paged_attention_ll4mi_QKV_mfma16_kernelI14__hip_bfloat16S0_LN4vllm18Fp8KVCacheDataTypeE0ES0_Li32ELi64ELi256ELb0ELi7EL8MFMAType0EEvPKT_PKT0_S9_ifPKiSB_SB_iPKfiiiPfSE_PS4_PT2_iSD_SD_,comdat
	.protected	_Z39paged_attention_ll4mi_QKV_mfma16_kernelI14__hip_bfloat16S0_LN4vllm18Fp8KVCacheDataTypeE0ES0_Li32ELi64ELi256ELb0ELi7EL8MFMAType0EEvPKT_PKT0_S9_ifPKiSB_SB_iPKfiiiPfSE_PS4_PT2_iSD_SD_ ; -- Begin function _Z39paged_attention_ll4mi_QKV_mfma16_kernelI14__hip_bfloat16S0_LN4vllm18Fp8KVCacheDataTypeE0ES0_Li32ELi64ELi256ELb0ELi7EL8MFMAType0EEvPKT_PKT0_S9_ifPKiSB_SB_iPKfiiiPfSE_PS4_PT2_iSD_SD_
	.globl	_Z39paged_attention_ll4mi_QKV_mfma16_kernelI14__hip_bfloat16S0_LN4vllm18Fp8KVCacheDataTypeE0ES0_Li32ELi64ELi256ELb0ELi7EL8MFMAType0EEvPKT_PKT0_S9_ifPKiSB_SB_iPKfiiiPfSE_PS4_PT2_iSD_SD_
	.p2align	8
	.type	_Z39paged_attention_ll4mi_QKV_mfma16_kernelI14__hip_bfloat16S0_LN4vllm18Fp8KVCacheDataTypeE0ES0_Li32ELi64ELi256ELb0ELi7EL8MFMAType0EEvPKT_PKT0_S9_ifPKiSB_SB_iPKfiiiPfSE_PS4_PT2_iSD_SD_,@function
_Z39paged_attention_ll4mi_QKV_mfma16_kernelI14__hip_bfloat16S0_LN4vllm18Fp8KVCacheDataTypeE0ES0_Li32ELi64ELi256ELb0ELi7EL8MFMAType0EEvPKT_PKT0_S9_ifPKiSB_SB_iPKfiiiPfSE_PS4_PT2_iSD_SD_: ; @_Z39paged_attention_ll4mi_QKV_mfma16_kernelI14__hip_bfloat16S0_LN4vllm18Fp8KVCacheDataTypeE0ES0_Li32ELi64ELi256ELb0ELi7EL8MFMAType0EEvPKT_PKT0_S9_ifPKiSB_SB_iPKfiiiPfSE_PS4_PT2_iSD_SD_
; %bb.0:
	s_load_dwordx2 s[0:1], s[4:5], 0x30
	s_mov_b32 s28, s7
	s_mov_b64 s[10:11], 0
	s_waitcnt lgkmcnt(0)
	s_cmp_lg_u64 s[0:1], 0
	s_cselect_b64 s[2:3], -1, 0
	s_and_b64 vcc, exec, s[2:3]
	s_cbranch_vccz .LBB274_7
; %bb.1:
	s_add_i32 s12, s6, 1
	s_mov_b32 s13, 0
	s_lshl_b64 s[14:15], s[12:13], 2
	s_add_u32 s14, s0, s14
	s_mov_b32 s7, s13
	s_addc_u32 s15, s1, s15
	s_lshl_b64 s[12:13], s[6:7], 2
	s_add_u32 s12, s0, s12
	s_addc_u32 s13, s1, s13
	s_load_dword s9, s[14:15], 0x0
	s_load_dword s16, s[12:13], 0x0
	s_waitcnt lgkmcnt(0)
	s_sub_i32 s9, s9, s16
	s_cmp_eq_u32 s9, 1
	s_cselect_b64 s[12:13], -1, 0
	s_andn2_b64 vcc, exec, s[10:11]
	s_cbranch_vccnz .LBB274_3
.LBB274_2:
	s_mov_b32 s7, 0
	s_mov_b64 s[12:13], -1
.LBB274_3:
	s_andn2_b64 vcc, exec, s[12:13]
	s_cbranch_vccnz .LBB274_20
; %bb.4:
	s_load_dwordx2 s[12:13], s[4:5], 0x28
	s_lshl_b64 s[10:11], s[6:7], 2
	s_waitcnt lgkmcnt(0)
	s_add_u32 s12, s12, s10
	s_addc_u32 s13, s13, s11
	s_load_dword s33, s[12:13], 0x0
	s_lshl_b32 s16, s28, 8
	s_waitcnt lgkmcnt(0)
	s_cmp_ge_i32 s16, s33
	s_cbranch_scc1 .LBB274_20
; %bb.5:
	s_add_i32 s14, s33, 31
	s_load_dwordx2 s[12:13], s[4:5], 0x20
	s_load_dword s9, s[4:5], 0x38
	s_ashr_i32 s15, s14, 31
	v_and_b32_e32 v1, 0xcf, v0
	s_lshr_b32 s15, s15, 27
	v_add_u32_e32 v1, s16, v1
	s_add_i32 s14, s14, s15
	v_ashrrev_i32_e32 v2, 31, v1
	s_ashr_i32 s19, s14, 5
	v_lshrrev_b32_e32 v6, 27, v2
	s_add_i32 s19, s19, -1
	v_add_u32_e32 v2, v1, v6
	s_waitcnt lgkmcnt(0)
	s_mul_i32 s14, s6, s9
	s_mov_b32 s15, 0
	v_ashrrev_i32_e32 v2, 5, v2
	v_mov_b32_e32 v7, s19
	v_cmp_gt_i32_e32 vcc, s33, v1
	s_lshl_b64 s[14:15], s[14:15], 2
	v_cndmask_b32_e32 v2, v7, v2, vcc
	s_add_u32 s17, s12, s14
	v_ashrrev_i32_e32 v3, 31, v2
	s_addc_u32 s18, s13, s15
	v_lshlrev_b64 v[2:3], 2, v[2:3]
	v_mov_b32_e32 v4, s18
	v_add_co_u32_e32 v2, vcc, s17, v2
	v_addc_co_u32_e32 v3, vcc, v4, v3, vcc
	v_or_b32_e32 v4, 16, v1
	v_add_u32_e32 v5, v4, v6
	v_ashrrev_i32_e32 v5, 5, v5
	v_cmp_gt_i32_e32 vcc, s33, v4
	v_cndmask_b32_e32 v4, v7, v5, vcc
	v_ashrrev_i32_e32 v5, 31, v4
	v_lshlrev_b64 v[4:5], 2, v[4:5]
	v_mov_b32_e32 v9, s18
	v_add_co_u32_e32 v8, vcc, s17, v4
	v_or_b32_e32 v4, 32, v1
	v_addc_co_u32_e32 v9, vcc, v9, v5, vcc
	v_add_u32_e32 v5, v4, v6
	v_ashrrev_i32_e32 v5, 5, v5
	v_cmp_gt_i32_e32 vcc, s33, v4
	v_cndmask_b32_e32 v4, v7, v5, vcc
	v_ashrrev_i32_e32 v5, 31, v4
	v_lshlrev_b64 v[4:5], 2, v[4:5]
	v_mov_b32_e32 v11, s18
	v_add_co_u32_e32 v10, vcc, s17, v4
	v_or_b32_e32 v1, 48, v1
	v_addc_co_u32_e32 v11, vcc, v11, v5, vcc
	v_add_u32_e32 v4, v1, v6
	v_ashrrev_i32_e32 v4, 5, v4
	v_cmp_gt_i32_e32 vcc, s33, v1
	v_cndmask_b32_e32 v4, v7, v4, vcc
	v_ashrrev_i32_e32 v5, 31, v4
	v_lshlrev_b64 v[4:5], 2, v[4:5]
	v_mov_b32_e32 v1, s18
	v_add_co_u32_e32 v12, vcc, s17, v4
	v_addc_co_u32_e32 v13, vcc, v1, v5, vcc
	global_load_dword v4, v[2:3], off
	global_load_dword v6, v[8:9], off
	;; [unrolled: 1-line block ×4, first 2 shown]
	s_andn2_b64 vcc, exec, s[2:3]
	s_cbranch_vccnz .LBB274_8
; %bb.6:
	s_add_u32 s0, s0, s10
	s_addc_u32 s1, s1, s11
	s_load_dword s9, s[0:1], 0x0
	s_branch .LBB274_9
.LBB274_7:
	s_mov_b64 s[12:13], 0
	s_branch .LBB274_2
.LBB274_8:
	s_mov_b32 s9, s6
.LBB274_9:
	s_load_dwordx4 s[12:15], s[4:5], 0x8
	s_load_dwordx4 s[44:47], s[4:5], 0x48
	v_lshrrev_b32_e32 v53, 6, v0
	v_bfe_u32 v1, v0, 4, 2
	v_lshl_or_b32 v5, v53, 2, v1
	v_and_b32_e32 v52, 15, v0
	v_cmp_lt_u32_e32 vcc, 6, v5
	v_cmp_lt_u32_e64 s[2:3], 7, v52
	v_lshlrev_b32_e32 v2, 3, v52
	v_cmp_gt_u32_e64 s[0:1], 8, v52
	s_or_b64 s[2:3], s[2:3], vcc
	s_and_saveexec_b64 s[10:11], s[2:3]
	s_xor_b64 s[2:3], exec, s[10:11]
; %bb.10:
	v_mov_b32_e32 v3, 0
                                        ; implicit-def: $vgpr5
; %bb.11:
	s_or_saveexec_b64 s[2:3], s[2:3]
	v_and_b32_e32 v54, 63, v0
	s_mul_i32 s29, s8, 7
	s_xor_b64 exec, exec, s[2:3]
	s_cbranch_execz .LBB274_13
; %bb.12:
	s_load_dwordx2 s[10:11], s[4:5], 0x0
	s_waitcnt lgkmcnt(0)
	s_ashr_i32 s20, s44, 31
	s_mul_hi_u32 s21, s9, s44
	s_mul_i32 s20, s9, s20
	s_add_i32 s21, s21, s20
	s_mul_i32 s20, s9, s44
	s_lshl_b64 s[20:21], s[20:21], 1
	v_add_lshl_u32 v8, v5, s29, 6
	s_add_u32 s9, s10, s20
	v_ashrrev_i32_e32 v9, 31, v8
	s_addc_u32 s10, s11, s21
	v_lshlrev_b64 v[8:9], 1, v[8:9]
	v_mov_b32_e32 v3, s10
	v_add_co_u32_e32 v7, vcc, s9, v8
	v_addc_co_u32_e32 v3, vcc, v3, v9, vcc
	v_lshlrev_b32_e32 v8, 1, v2
	v_add_co_u32_e32 v8, vcc, v7, v8
	v_addc_co_u32_e32 v9, vcc, 0, v3, vcc
	global_load_dwordx4 v[8:11], v[8:9], off
	v_and_b32_e32 v7, 3, v0
	v_lshlrev_b32_e32 v12, 9, v52
	v_lshlrev_b32_e32 v5, 5, v5
	;; [unrolled: 1-line block ×3, first 2 shown]
	v_and_b32_e32 v12, 0x1800, v12
	v_mov_b32_e32 v3, 0
	v_or3_b32 v5, v12, v7, v5
	s_waitcnt vmcnt(0)
	ds_write_b128 v5, v[8:11]
.LBB274_13:
	s_or_b64 exec, exec, s[2:3]
	s_waitcnt lgkmcnt(0)
	s_mul_i32 s8, s8, s46
	s_mov_b32 s9, 0
	s_lshl_b64 s[8:9], s[8:9], 1
	s_add_u32 s3, s12, s8
	s_waitcnt vmcnt(3)
	v_mad_i64_i32 v[4:5], s[10:11], v4, s45, 0
	s_addc_u32 s12, s13, s9
	v_lshlrev_b64 v[4:5], 1, v[4:5]
	v_mov_b32_e32 v7, s12
	v_add_co_u32_e32 v4, vcc, s3, v4
	v_addc_co_u32_e32 v5, vcc, v7, v5, vcc
	v_lshlrev_b64 v[34:35], 1, v[2:3]
	v_add_co_u32_e32 v2, vcc, v4, v34
	v_lshlrev_b32_e32 v28, 9, v1
	v_addc_co_u32_e32 v3, vcc, v5, v35, vcc
	v_add_co_u32_e32 v8, vcc, v2, v28
	s_waitcnt vmcnt(2)
	v_mad_i64_i32 v[6:7], s[10:11], v6, s45, 0
	v_addc_co_u32_e32 v9, vcc, 0, v3, vcc
	v_lshlrev_b64 v[6:7], 1, v[6:7]
	s_load_dword s42, s[4:5], 0x98
	s_load_dword s2, s[4:5], 0x1c
	s_waitcnt lgkmcnt(0)
	s_barrier
	global_load_dwordx4 v[2:5], v[8:9], off
	v_mov_b32_e32 v10, s12
	v_add_co_u32_e32 v6, vcc, s3, v6
	v_addc_co_u32_e32 v7, vcc, v10, v7, vcc
	v_mov_b32_e32 v10, 0x100
	v_lshl_or_b32 v29, v52, 4, v10
	v_add_co_u32_e32 v6, vcc, v6, v29
	v_addc_co_u32_e32 v7, vcc, 0, v7, vcc
	v_add_co_u32_e32 v6, vcc, v6, v28
	v_addc_co_u32_e32 v7, vcc, 0, v7, vcc
	global_load_dwordx4 v[10:13], v[6:7], off
	global_load_dwordx4 v[14:17], v[8:9], off offset:2048
	s_waitcnt vmcnt(4)
	v_mad_i64_i32 v[20:21], s[10:11], v19, s45, 0
	global_load_dwordx4 v[6:9], v[6:7], off offset:2048
	v_lshlrev_b64 v[32:33], 1, v[20:21]
	v_mov_b32_e32 v36, s12
	v_add_co_u32_e32 v32, vcc, s3, v32
	v_mul_lo_u16_e32 v22, 37, v52
	v_mov_b32_e32 v23, 7
	v_addc_co_u32_e32 v33, vcc, v36, v33, vcc
	s_waitcnt vmcnt(4)
	v_mad_i64_i32 v[18:19], s[10:11], v18, s45, 0
	v_mul_lo_u16_sdwa v22, v22, v23 dst_sel:DWORD dst_unused:UNUSED_PAD src0_sel:BYTE_1 src1_sel:DWORD
	v_add_co_u32_e32 v32, vcc, v32, v34
	v_lshlrev_b64 v[26:27], 1, v[18:19]
	v_sub_u16_e32 v18, v52, v22
	v_addc_co_u32_e32 v33, vcc, v33, v35, vcc
	v_and_b32_e32 v18, 0xff, v18
	v_add_co_u32_e32 v32, vcc, v32, v28
	v_lshl_add_u32 v18, v18, 5, v28
	v_addc_co_u32_e32 v33, vcc, 0, v33, vcc
	ds_read_b128 v[22:25], v18
	ds_read_b128 v[18:21], v18 offset:2048
	global_load_dwordx4 v[40:43], v[32:33], off
	v_mov_b32_e32 v44, s12
	s_ashr_i32 s10, s16, 31
	v_and_or_b32 v31, v0, 48, s16
	s_lshr_b32 s10, s10, 27
	v_mov_b32_e32 v30, s19
	v_mov_b32_e32 v50, s18
	v_or_b32_e32 v51, 64, v31
	v_add_u32_e32 v55, s10, v51
	s_mov_b32 s43, 0xff7fffff
	s_waitcnt vmcnt(4) lgkmcnt(1)
	v_mfma_f32_16x16x16bf16_1k v[36:39], v[2:3], v[22:23], 0
	v_add_co_u32_e32 v2, vcc, s3, v26
	v_addc_co_u32_e32 v3, vcc, v44, v27, vcc
	s_add_u32 s3, s14, s8
	s_addc_u32 s8, s15, s9
	s_waitcnt vmcnt(3)
	v_mfma_f32_16x16x16bf16_1k v[44:47], v[10:11], v[22:23], 0
	v_add_co_u32_e32 v11, vcc, v2, v29
	v_add_u32_e32 v10, s10, v31
	v_addc_co_u32_e32 v26, vcc, 0, v3, vcc
	v_ashrrev_i32_e32 v27, 5, v10
	v_add_co_u32_e32 v10, vcc, v11, v28
	v_addc_co_u32_e32 v11, vcc, 0, v26, vcc
	v_cmp_gt_i32_e32 vcc, s33, v31
	v_cndmask_b32_e32 v48, v30, v27, vcc
	global_load_dwordx4 v[26:29], v[32:33], off offset:2048
	v_mfma_f32_16x16x16bf16_1k v[2:5], v[4:5], v[24:25], v[36:39]
	v_ashrrev_i32_e32 v49, 31, v48
	s_nop 5
	global_load_dwordx4 v[36:39], v[10:11], off
	global_load_dwordx4 v[56:59], v[10:11], off offset:2048
	v_lshlrev_b64 v[10:11], 2, v[48:49]
	v_add_co_u32_e32 v10, vcc, s17, v10
	v_addc_co_u32_e32 v11, vcc, v50, v11, vcc
	s_waitcnt vmcnt(5) lgkmcnt(0)
	v_mfma_f32_16x16x16bf16_1k v[2:5], v[14:15], v[18:19], v[2:5]
	global_load_dword v14, v[10:11], off
	v_cmp_gt_i32_e32 vcc, s33, v51
	v_mov_b32_e32 v15, s18
	v_mfma_f32_16x16x16bf16_1k v[60:63], v[16:17], v[20:21], v[2:5]
	s_nop 6
	v_ashrrev_i32_e32 v2, 5, v55
	v_cndmask_b32_e32 v2, v30, v2, vcc
	v_ashrrev_i32_e32 v3, 31, v2
	v_lshlrev_b64 v[10:11], 2, v[2:3]
	v_mfma_f32_16x16x16bf16_1k v[2:5], v[12:13], v[24:25], v[44:47]
	v_add_co_u32_e32 v10, vcc, s17, v10
	v_addc_co_u32_e32 v11, vcc, v15, v11, vcc
	global_load_dword v32, v[10:11], off
	v_or_b32_e32 v10, 0x80, v31
	v_add_u32_e32 v11, s10, v10
	v_ashrrev_i32_e32 v11, 5, v11
	v_cmp_gt_i32_e32 vcc, s33, v10
	s_waitcnt vmcnt(6)
	v_mfma_f32_16x16x16bf16_1k v[2:5], v[6:7], v[18:19], v[2:5]
	v_cndmask_b32_e32 v10, v30, v11, vcc
	v_ashrrev_i32_e32 v11, 31, v10
	v_lshlrev_b64 v[6:7], 2, v[10:11]
	v_mov_b32_e32 v10, s18
	v_add_co_u32_e32 v6, vcc, s17, v6
	v_addc_co_u32_e32 v7, vcc, v10, v7, vcc
	global_load_dword v33, v[6:7], off
	v_mfma_f32_16x16x16bf16_1k v[44:47], v[8:9], v[20:21], v[2:5]
	v_or_b32_e32 v6, 0xc0, v31
	v_add_u32_e32 v7, s10, v6
	v_ashrrev_i32_e32 v7, 5, v7
	v_cmp_gt_i32_e32 vcc, s33, v6
	v_cndmask_b32_e32 v6, v30, v7, vcc
	v_ashrrev_i32_e32 v7, 31, v6
	v_lshlrev_b64 v[6:7], 2, v[6:7]
	s_waitcnt vmcnt(6)
	v_mfma_f32_16x16x16bf16_1k v[2:5], v[40:41], v[22:23], 0
	v_mov_b32_e32 v8, s18
	v_add_co_u32_e32 v6, vcc, s17, v6
	v_addc_co_u32_e32 v7, vcc, v8, v7, vcc
	global_load_dword v55, v[6:7], off
	v_and_b32_e32 v6, 16, v0
	v_mfma_f32_16x16x16bf16_1k v[2:5], v[42:43], v[24:25], v[2:5]
	v_lshlrev_b32_e32 v6, 1, v6
	v_mov_b32_e32 v7, s8
	v_add_co_u32_e32 v6, vcc, s3, v6
	v_lshlrev_b32_e32 v8, 6, v52
	v_addc_co_u32_e32 v7, vcc, 0, v7, vcc
	s_waitcnt vmcnt(6)
	v_mfma_f32_16x16x16bf16_1k v[2:5], v[26:27], v[18:19], v[2:5]
	v_lshl_or_b32 v8, v53, 10, v8
	v_add_co_u32_e32 v64, vcc, v6, v8
	v_addc_co_u32_e32 v65, vcc, 0, v7, vcc
	v_pk_mul_f32 v[40:41], s[2:3], v[44:45] op_sel_hi:[0,1]
	v_pk_mul_f32 v[48:49], s[2:3], v[62:63] op_sel_hi:[0,1]
	v_mfma_f32_16x16x16bf16_1k v[26:29], v[28:29], v[20:21], v[2:5]
	v_pk_mul_f32 v[50:51], s[2:3], v[46:47] op_sel_hi:[0,1]
	s_waitcnt vmcnt(1)
	v_mad_i64_i32 v[30:31], s[8:9], v33, s45, 0
	s_nop 3
	v_mad_i64_i32 v[2:3], s[8:9], v14, s45, 0
	v_lshlrev_b64 v[6:7], 1, v[2:3]
	v_mfma_f32_16x16x16bf16_1k v[2:5], v[36:37], v[22:23], 0
	s_nop 0
	v_pk_mul_f32 v[42:43], s[2:3], v[26:27] op_sel_hi:[0,1]
	v_add_co_u32_e32 v6, vcc, v64, v6
	v_addc_co_u32_e32 v7, vcc, v65, v7, vcc
	global_load_dwordx4 v[14:17], v[6:7], off
	global_load_dwordx4 v[10:13], v[6:7], off offset:16
	v_mad_i64_i32 v[6:7], s[8:9], v32, s45, 0
	v_mfma_f32_16x16x16bf16_1k v[22:25], v[38:39], v[24:25], v[2:5]
	v_pk_mul_f32 v[46:47], s[2:3], v[28:29] op_sel_hi:[0,1]
	v_lshlrev_b64 v[6:7], 1, v[6:7]
	v_lshlrev_b64 v[30:31], 1, v[30:31]
	v_mfma_f32_16x16x16bf16_1k v[22:25], v[56:57], v[18:19], v[22:25]
	v_pk_mul_f32 v[18:19], s[2:3], v[60:61] op_sel_hi:[0,1]
	s_nop 1
	v_add_co_u32_e32 v2, vcc, v64, v6
	v_addc_co_u32_e32 v3, vcc, v65, v7, vcc
	v_add_co_u32_e32 v38, vcc, v64, v30
	v_mfma_f32_16x16x16bf16_1k v[20:23], v[58:59], v[20:21], v[22:25]
	v_addc_co_u32_e32 v39, vcc, v65, v31, vcc
	global_load_dwordx4 v[6:9], v[2:3], off
	s_nop 0
	global_load_dwordx4 v[2:5], v[2:3], off offset:16
	s_nop 6
	v_pk_mul_f32 v[44:45], s[2:3], v[20:21] op_sel_hi:[0,1]
	v_and_b32_e32 v20, 0xc0, v0
	v_add_u32_e32 v20, s16, v20
	v_lshl_or_b32 v20, v1, 2, v20
	v_pk_mul_f32 v[36:37], s[2:3], v[22:23] op_sel_hi:[0,1]
	v_or_b32_e32 v23, 1, v20
	v_mov_b32_e32 v21, 0xff7fffff
	v_cmp_gt_i32_e64 s[30:31], s33, v20
	v_cmp_gt_i32_e64 s[34:35], s33, v23
	v_cndmask_b32_e64 v22, v21, v18, s[30:31]
	v_cndmask_b32_e64 v23, v21, v19, s[34:35]
	v_max3_f32 v22, v22, s43, v23
	v_or_b32_e32 v23, 2, v20
	v_or_b32_e32 v24, 3, v20
	v_cmp_gt_i32_e64 s[36:37], s33, v23
	v_cmp_gt_i32_e64 s[38:39], s33, v24
	v_cndmask_b32_e64 v23, v21, v48, s[36:37]
	v_cndmask_b32_e64 v24, v21, v49, s[38:39]
	v_max3_f32 v22, v22, v23, v24
	v_or_b32_e32 v23, 16, v20
	v_or_b32_e32 v24, 17, v20
	;; [unrolled: 7-line block ×7, first 2 shown]
	v_cmp_gt_i32_e32 vcc, s33, v23
	v_cmp_gt_i32_e64 s[2:3], s33, v20
	v_cndmask_b32_e32 v23, v21, v36, vcc
	v_cndmask_b32_e64 v20, v21, v37, s[2:3]
	v_max3_f32 v26, v22, v23, v20
	v_mbcnt_lo_u32_b32 v20, -1, 0
	v_mbcnt_hi_u32_b32 v27, -1, v20
	v_and_b32_e32 v20, 64, v27
	v_add_u32_e32 v28, 64, v20
	v_xor_b32_e32 v20, 32, v27
	v_cmp_lt_i32_e64 s[40:41], v20, v28
	v_cndmask_b32_e64 v20, v27, v20, s[40:41]
	v_lshlrev_b32_e32 v56, 2, v20
	ds_bpermute_b32 v29, v56, v26
	s_waitcnt vmcnt(4)
	v_mad_i64_i32 v[20:21], s[40:41], v55, s45, 0
	v_lshlrev_b64 v[20:21], 1, v[20:21]
	global_load_dwordx4 v[30:33], v[38:39], off
	global_load_dwordx4 v[22:25], v[38:39], off offset:16
	s_waitcnt lgkmcnt(0)
	v_max_f32_e32 v29, v29, v29
	v_max_f32_e32 v26, v26, v29
	v_xor_b32_e32 v29, 16, v27
	v_cmp_lt_i32_e64 s[40:41], v29, v28
	v_cndmask_b32_e64 v27, v27, v29, s[40:41]
	v_lshlrev_b32_e32 v58, 2, v27
	ds_bpermute_b32 v27, v58, v26
	v_add_co_u32_e64 v20, s[40:41], v64, v20
	v_addc_co_u32_e64 v21, s[40:41], v65, v21, s[40:41]
	s_waitcnt lgkmcnt(0)
	v_max_f32_e32 v27, v27, v27
	v_max_f32_e32 v55, v26, v27
	v_sub_f32_e32 v18, v18, v55
	v_mul_f32_e32 v18, 0x3fb8aa3b, v18
	v_exp_f32_e32 v38, v18
	v_sub_f32_e32 v18, v19, v55
	v_mul_f32_e32 v18, 0x3fb8aa3b, v18
	v_exp_f32_e32 v39, v18
	global_load_dwordx4 v[26:29], v[20:21], off
	s_nop 0
	global_load_dwordx4 v[18:21], v[20:21], off offset:16
	v_sub_f32_e32 v48, v48, v55
	v_mul_f32_e32 v48, 0x3fb8aa3b, v48
	v_sub_f32_e32 v49, v49, v55
	v_exp_f32_e32 v48, v48
	v_mul_f32_e32 v49, 0x3fb8aa3b, v49
	v_sub_f32_e32 v40, v40, v55
	v_exp_f32_e32 v49, v49
	v_mul_f32_e32 v40, 0x3fb8aa3b, v40
	v_sub_f32_e32 v41, v41, v55
	v_cndmask_b32_e64 v38, 0, v38, s[30:31]
	v_exp_f32_e32 v40, v40
	v_mul_f32_e32 v41, 0x3fb8aa3b, v41
	v_sub_f32_e32 v50, v50, v55
	v_add_f32_e32 v57, 0, v38
	v_cndmask_b32_e64 v39, 0, v39, s[34:35]
	v_exp_f32_e32 v41, v41
	v_mul_f32_e32 v50, 0x3fb8aa3b, v50
	v_sub_f32_e32 v51, v51, v55
	v_add_f32_e32 v57, v57, v39
	;; [unrolled: 5-line block ×10, first 2 shown]
	v_cndmask_b32_e64 v46, 0, v46, s[12:13]
	v_exp_f32_e32 v36, v36
	v_mul_f32_e32 v37, 0x3fb8aa3b, v37
	v_add_f32_e32 v57, v57, v46
	v_cndmask_b32_e64 v47, 0, v47, s[14:15]
	v_exp_f32_e32 v37, v37
	v_add_f32_e32 v57, v57, v47
	v_cndmask_b32_e64 v44, 0, v44, s[8:9]
	v_add_f32_e32 v57, v57, v44
	v_cndmask_b32_e64 v45, 0, v45, s[10:11]
	v_add_f32_e32 v57, v57, v45
	v_cndmask_b32_e32 v36, 0, v36, vcc
	v_add_f32_e32 v57, v57, v36
	v_cndmask_b32_e64 v37, 0, v37, s[2:3]
	v_add_f32_e32 v57, v57, v37
	ds_bpermute_b32 v56, v56, v57
	v_cmp_gt_u32_e32 vcc, 16, v54
	s_waitcnt lgkmcnt(0)
	s_barrier
	v_add_f32_e32 v57, v57, v56
	ds_bpermute_b32 v58, v58, v57
	v_lshlrev_b32_e32 v56, 2, v52
	s_and_saveexec_b64 s[2:3], vcc
	s_cbranch_execz .LBB274_15
; %bb.14:
	s_waitcnt lgkmcnt(0)
	v_add_f32_e32 v54, v57, v58
	v_lshl_or_b32 v57, v53, 6, v56
	ds_write2st64_b32 v57, v55, v54 offset1:1
.LBB274_15:
	s_or_b64 exec, exec, s[2:3]
	s_load_dword s8, s[4:5], 0x94
	s_waitcnt lgkmcnt(0)
	s_barrier
	ds_read2_b32 v[58:59], v56 offset1:16
	ds_read2_b32 v[60:61], v56 offset0:32 offset1:48
	ds_read2_b32 v[62:63], v56 offset0:64 offset1:80
	;; [unrolled: 1-line block ×3, first 2 shown]
	s_movk_i32 s10, 0x7fff
	s_waitcnt lgkmcnt(3)
	v_max3_f32 v54, v58, s43, v59
	s_waitcnt lgkmcnt(2)
	v_max3_f32 v54, v54, v60, v61
	v_sub_f32_e32 v55, v58, v54
	v_mul_f32_e32 v55, 0x3fb8aa3b, v55
	v_exp_f32_e32 v58, v55
	v_sub_f32_e32 v55, v59, v54
	v_mul_f32_e32 v55, 0x3fb8aa3b, v55
	v_exp_f32_e32 v59, v55
	v_sub_f32_e32 v55, v60, v54
	v_mul_f32_e32 v55, 0x3fb8aa3b, v55
	v_exp_f32_e32 v60, v55
	v_sub_f32_e32 v55, v61, v54
	v_mul_f32_e32 v55, 0x3fb8aa3b, v55
	v_exp_f32_e32 v61, v55
	s_waitcnt lgkmcnt(1)
	v_fma_f32 v55, v58, v62, 0
	v_fmac_f32_e32 v55, v59, v63
	s_waitcnt lgkmcnt(0)
	v_fmac_f32_e32 v55, v60, v56
	v_fmac_f32_e32 v55, v61, v57
	v_add_f32_e32 v56, 0x358637bd, v55
	v_div_scale_f32 v57, s[2:3], v56, v56, 1.0
	v_rcp_f32_e32 v62, v57
	s_mov_b32 s11, 0x7060302
	s_barrier
	v_fma_f32 v63, -v57, v62, 1.0
	v_fmac_f32_e32 v62, v63, v62
	v_div_scale_f32 v63, vcc, 1.0, v56, 1.0
	v_mul_f32_e32 v64, v63, v62
	v_fma_f32 v65, -v57, v64, v63
	v_fmac_f32_e32 v64, v65, v62
	v_fma_f32 v57, -v57, v64, v63
	v_div_fmas_f32 v57, v57, v62, v64
	v_cmp_eq_u32_e32 vcc, 1, v53
	v_div_fixup_f32 v56, v57, v56, 1.0
	v_cndmask_b32_e32 v57, v58, v59, vcc
	v_cmp_eq_u32_e32 vcc, 2, v53
	v_cndmask_b32_e32 v57, v57, v60, vcc
	v_cmp_eq_u32_e32 vcc, 3, v53
	v_cndmask_b32_e32 v57, v57, v61, vcc
	v_mul_f32_e32 v56, v57, v56
	v_pk_mul_f32 v[38:39], v[56:57], v[38:39] op_sel_hi:[0,1]
	v_pk_mul_f32 v[48:49], v[56:57], v[48:49] op_sel_hi:[0,1]
	v_bfe_u32 v57, v39, 16, 1
	v_bfe_u32 v58, v38, 16, 1
	v_add3_u32 v38, v38, v58, s10
	v_add3_u32 v39, v39, v57, s10
	v_perm_b32 v58, v39, v38, s11
	v_bfe_u32 v38, v49, 16, 1
	v_bfe_u32 v39, v48, 16, 1
	v_add3_u32 v39, v48, v39, s10
	v_add3_u32 v38, v49, v38, s10
	v_perm_b32 v59, v38, v39, s11
	v_lshlrev_b32_e32 v38, 3, v1
	v_lshlrev_b32_e32 v39, 5, v52
	;; [unrolled: 1-line block ×3, first 2 shown]
	v_pk_mul_f32 v[40:41], v[56:57], v[40:41] op_sel_hi:[0,1]
	v_or3_b32 v38, v48, v39, v38
	v_pk_mul_f32 v[48:49], v[56:57], v[50:51] op_sel_hi:[0,1]
	v_bfe_u32 v50, v41, 16, 1
	v_bfe_u32 v51, v40, 16, 1
	v_add3_u32 v40, v40, v51, s10
	v_add3_u32 v41, v41, v50, s10
	v_perm_b32 v40, v41, v40, s11
	v_bfe_u32 v41, v49, 16, 1
	v_bfe_u32 v50, v48, 16, 1
	v_add3_u32 v48, v48, v50, s10
	v_add3_u32 v41, v49, v41, s10
	v_perm_b32 v41, v41, v48, s11
	v_pk_mul_f32 v[42:43], v[56:57], v[42:43] op_sel_hi:[0,1]
	ds_write2st64_b64 v38, v[58:59], v[40:41] offset1:1
	v_pk_mul_f32 v[40:41], v[56:57], v[46:47] op_sel_hi:[0,1]
	v_bfe_u32 v46, v43, 16, 1
	v_bfe_u32 v47, v42, 16, 1
	v_add3_u32 v42, v42, v47, s10
	v_add3_u32 v43, v43, v46, s10
	v_perm_b32 v42, v43, v42, s11
	v_bfe_u32 v43, v41, 16, 1
	v_bfe_u32 v46, v40, 16, 1
	v_add3_u32 v40, v40, v46, s10
	v_add3_u32 v41, v41, v43, s10
	v_perm_b32 v43, v41, v40, s11
	v_pk_mul_f32 v[40:41], v[56:57], v[44:45] op_sel_hi:[0,1]
	v_bfe_u32 v44, v41, 16, 1
	v_bfe_u32 v45, v40, 16, 1
	v_pk_mul_f32 v[36:37], v[56:57], v[36:37] op_sel_hi:[0,1]
	v_add3_u32 v40, v40, v45, s10
	v_add3_u32 v41, v41, v44, s10
	v_perm_b32 v40, v41, v40, s11
	v_bfe_u32 v41, v37, 16, 1
	v_bfe_u32 v44, v36, 16, 1
	v_add3_u32 v36, v36, v44, s10
	v_add3_u32 v37, v37, v41, s10
	s_mul_i32 s9, s42, 7
	v_perm_b32 v41, v37, v36, s11
	v_cmp_gt_u32_e32 vcc, 7, v0
	ds_write2st64_b64 v38, v[42:43], v[40:41] offset0:2 offset1:3
	s_and_saveexec_b64 s[2:3], vcc
	s_cbranch_execz .LBB274_17
; %bb.16:
	v_add_co_u32_e32 v40, vcc, s29, v52
	v_addc_co_u32_e64 v41, s[16:17], 0, 0, vcc
	v_mov_b32_e32 v36, s9
	v_mov_b32_e32 v37, 0
	v_mad_u64_u32 v[40:41], s[16:17], s6, v36, v[40:41]
	v_mov_b32_e32 v36, s28
	s_load_dwordx4 s[12:15], s[4:5], 0x58
	s_mul_i32 s7, s7, s9
	v_mad_u64_u32 v[36:37], s[16:17], v40, s8, v[36:37]
	v_add_u32_e32 v41, s7, v41
	v_mov_b32_e32 v40, v37
	v_mad_u64_u32 v[40:41], s[16:17], v41, s8, v[40:41]
	v_mov_b32_e32 v37, v40
	v_lshlrev_b64 v[36:37], 2, v[36:37]
	s_waitcnt lgkmcnt(0)
	v_mov_b32_e32 v41, s15
	v_add_co_u32_e32 v40, vcc, s14, v36
	v_addc_co_u32_e32 v41, vcc, v41, v37, vcc
	global_store_dword v[40:41], v54, off
	v_mov_b32_e32 v40, s13
	v_add_co_u32_e32 v36, vcc, s12, v36
	v_addc_co_u32_e32 v37, vcc, v40, v37, vcc
	global_store_dword v[36:37], v55, off
.LBB274_17:
	s_or_b64 exec, exec, s[2:3]
	v_lshl_or_b32 v36, v1, 9, v39
	s_waitcnt lgkmcnt(0)
	s_barrier
	ds_read_b128 v[40:43], v36
	ds_read_b128 v[44:47], v36 offset:16
	s_waitcnt vmcnt(7) lgkmcnt(1)
	v_mfma_f32_16x16x16bf16_1k v[48:51], v[14:15], v[40:41], 0
	v_cmp_gt_u32_e32 vcc, 64, v0
	s_mov_b32 s3, 0
	s_and_b64 s[0:1], vcc, s[0:1]
	v_mfma_f32_16x16x16bf16_1k v[14:17], v[16:17], v[42:43], v[48:51]
	s_waitcnt vmcnt(6) lgkmcnt(0)
	v_mfma_f32_16x16x16bf16_1k v[14:17], v[10:11], v[44:45], v[14:17]
	v_mfma_f32_16x16x16bf16_1k v[10:13], v[12:13], v[46:47], v[14:17]
	s_nop 7
	s_nop 1
	ds_read_b128 v[14:17], v36 offset:2048
	ds_read_b128 v[40:43], v36 offset:2064
	s_waitcnt vmcnt(5) lgkmcnt(1)
	v_mfma_f32_16x16x16bf16_1k v[10:13], v[6:7], v[14:15], v[10:13]
	v_mfma_f32_16x16x16bf16_1k v[6:9], v[8:9], v[16:17], v[10:13]
	s_waitcnt vmcnt(4) lgkmcnt(0)
	v_mfma_f32_16x16x16bf16_1k v[6:9], v[2:3], v[40:41], v[6:9]
	v_mfma_f32_16x16x16bf16_1k v[2:5], v[4:5], v[42:43], v[6:9]
	s_nop 7
	s_nop 1
	ds_read_b128 v[6:9], v36 offset:4096
	ds_read_b128 v[10:13], v36 offset:4112
	s_waitcnt vmcnt(3) lgkmcnt(1)
	v_mfma_f32_16x16x16bf16_1k v[2:5], v[30:31], v[6:7], v[2:5]
	v_mfma_f32_16x16x16bf16_1k v[2:5], v[32:33], v[8:9], v[2:5]
	s_waitcnt vmcnt(2) lgkmcnt(0)
	v_mfma_f32_16x16x16bf16_1k v[2:5], v[22:23], v[10:11], v[2:5]
	v_mfma_f32_16x16x16bf16_1k v[2:5], v[24:25], v[12:13], v[2:5]
	ds_read_b128 v[6:9], v36 offset:6144
	ds_read_b128 v[10:13], v36 offset:6160
	s_waitcnt lgkmcnt(0)
	s_barrier
	s_waitcnt vmcnt(1)
	v_mfma_f32_16x16x16bf16_1k v[2:5], v[26:27], v[6:7], v[2:5]
	v_mfma_f32_16x16x16bf16_1k v[2:5], v[28:29], v[8:9], v[2:5]
	s_waitcnt vmcnt(0)
	v_mfma_f32_16x16x16bf16_1k v[2:5], v[18:19], v[10:11], v[2:5]
	v_mfma_f32_16x16x16bf16_1k v[2:5], v[20:21], v[12:13], v[2:5]
	s_nop 7
	s_nop 2
	v_bfe_u32 v6, v3, 16, 1
	v_bfe_u32 v7, v2, 16, 1
	v_bfe_u32 v8, v5, 16, 1
	v_bfe_u32 v9, v4, 16, 1
	v_add3_u32 v2, v2, v7, s10
	v_add3_u32 v3, v3, v6, s10
	;; [unrolled: 1-line block ×4, first 2 shown]
	v_perm_b32 v2, v3, v2, s11
	v_perm_b32 v3, v5, v4, s11
	ds_write_b64 v38, v[2:3]
	s_waitcnt lgkmcnt(0)
	s_barrier
	s_and_saveexec_b64 s[10:11], s[0:1]
	s_cbranch_execz .LBB274_20
; %bb.18:
	s_load_dwordx2 s[4:5], s[4:5], 0x68
	s_lshl_b32 s0, s8, 6
	s_mul_i32 s1, s9, s6
	s_mul_hi_u32 s7, s1, s0
	s_mul_i32 s6, s1, s0
	s_lshl_b64 s[6:7], s[6:7], 1
	s_waitcnt lgkmcnt(0)
	s_add_u32 s1, s4, s6
	s_addc_u32 s4, s5, s7
	s_lshl_b32 s2, s28, 6
	v_lshlrev_b32_e32 v2, 10, v0
	v_lshlrev_b32_e32 v0, 4, v0
	s_lshl_b64 s[2:3], s[2:3], 1
	v_and_b32_e32 v2, 0x1800, v2
	v_lshlrev_b32_e32 v3, 5, v1
	v_and_b32_e32 v0, 16, v0
	s_add_u32 s1, s1, s2
	v_or3_b32 v0, v2, v3, v0
	s_addc_u32 s2, s4, s3
	v_add_u32_e32 v8, s29, v1
	v_mov_b32_e32 v3, s2
	v_add_co_u32_e32 v2, vcc, s1, v34
	ds_read_b128 v[4:7], v0
	v_mad_u64_u32 v[8:9], s[2:3], v8, s0, 0
	v_addc_co_u32_e32 v3, vcc, v3, v35, vcc
	v_lshlrev_b64 v[8:9], 1, v[8:9]
	v_add_co_u32_e32 v8, vcc, v2, v8
	v_addc_co_u32_e32 v9, vcc, v3, v9, vcc
	v_cmp_ne_u32_e32 vcc, 3, v1
	s_waitcnt lgkmcnt(0)
	global_store_dwordx4 v[8:9], v[4:7], off
	s_and_b64 exec, exec, vcc
	s_cbranch_execz .LBB274_20
; %bb.19:
	ds_read_b128 v[4:7], v0 offset:128
	v_add3_u32 v0, s29, v1, 4
	v_mad_u64_u32 v[0:1], s[0:1], v0, s0, 0
	v_lshlrev_b64 v[0:1], 1, v[0:1]
	v_add_co_u32_e32 v0, vcc, v2, v0
	v_addc_co_u32_e32 v1, vcc, v3, v1, vcc
	s_waitcnt lgkmcnt(0)
	global_store_dwordx4 v[0:1], v[4:7], off
.LBB274_20:
	s_endpgm
	.section	.rodata,"a",@progbits
	.p2align	6, 0x0
	.amdhsa_kernel _Z39paged_attention_ll4mi_QKV_mfma16_kernelI14__hip_bfloat16S0_LN4vllm18Fp8KVCacheDataTypeE0ES0_Li32ELi64ELi256ELb0ELi7EL8MFMAType0EEvPKT_PKT0_S9_ifPKiSB_SB_iPKfiiiPfSE_PS4_PT2_iSD_SD_
		.amdhsa_group_segment_fixed_size 8192
		.amdhsa_private_segment_fixed_size 0
		.amdhsa_kernarg_size 400
		.amdhsa_user_sgpr_count 6
		.amdhsa_user_sgpr_private_segment_buffer 1
		.amdhsa_user_sgpr_dispatch_ptr 0
		.amdhsa_user_sgpr_queue_ptr 0
		.amdhsa_user_sgpr_kernarg_segment_ptr 1
		.amdhsa_user_sgpr_dispatch_id 0
		.amdhsa_user_sgpr_flat_scratch_init 0
		.amdhsa_user_sgpr_kernarg_preload_length 0
		.amdhsa_user_sgpr_kernarg_preload_offset 0
		.amdhsa_user_sgpr_private_segment_size 0
		.amdhsa_uses_dynamic_stack 0
		.amdhsa_system_sgpr_private_segment_wavefront_offset 0
		.amdhsa_system_sgpr_workgroup_id_x 1
		.amdhsa_system_sgpr_workgroup_id_y 1
		.amdhsa_system_sgpr_workgroup_id_z 1
		.amdhsa_system_sgpr_workgroup_info 0
		.amdhsa_system_vgpr_workitem_id 0
		.amdhsa_next_free_vgpr 66
		.amdhsa_next_free_sgpr 48
		.amdhsa_accum_offset 68
		.amdhsa_reserve_vcc 1
		.amdhsa_reserve_flat_scratch 0
		.amdhsa_float_round_mode_32 0
		.amdhsa_float_round_mode_16_64 0
		.amdhsa_float_denorm_mode_32 3
		.amdhsa_float_denorm_mode_16_64 3
		.amdhsa_dx10_clamp 1
		.amdhsa_ieee_mode 1
		.amdhsa_fp16_overflow 0
		.amdhsa_tg_split 0
		.amdhsa_exception_fp_ieee_invalid_op 0
		.amdhsa_exception_fp_denorm_src 0
		.amdhsa_exception_fp_ieee_div_zero 0
		.amdhsa_exception_fp_ieee_overflow 0
		.amdhsa_exception_fp_ieee_underflow 0
		.amdhsa_exception_fp_ieee_inexact 0
		.amdhsa_exception_int_div_zero 0
	.end_amdhsa_kernel
	.section	.text._Z39paged_attention_ll4mi_QKV_mfma16_kernelI14__hip_bfloat16S0_LN4vllm18Fp8KVCacheDataTypeE0ES0_Li32ELi64ELi256ELb0ELi7EL8MFMAType0EEvPKT_PKT0_S9_ifPKiSB_SB_iPKfiiiPfSE_PS4_PT2_iSD_SD_,"axG",@progbits,_Z39paged_attention_ll4mi_QKV_mfma16_kernelI14__hip_bfloat16S0_LN4vllm18Fp8KVCacheDataTypeE0ES0_Li32ELi64ELi256ELb0ELi7EL8MFMAType0EEvPKT_PKT0_S9_ifPKiSB_SB_iPKfiiiPfSE_PS4_PT2_iSD_SD_,comdat
.Lfunc_end274:
	.size	_Z39paged_attention_ll4mi_QKV_mfma16_kernelI14__hip_bfloat16S0_LN4vllm18Fp8KVCacheDataTypeE0ES0_Li32ELi64ELi256ELb0ELi7EL8MFMAType0EEvPKT_PKT0_S9_ifPKiSB_SB_iPKfiiiPfSE_PS4_PT2_iSD_SD_, .Lfunc_end274-_Z39paged_attention_ll4mi_QKV_mfma16_kernelI14__hip_bfloat16S0_LN4vllm18Fp8KVCacheDataTypeE0ES0_Li32ELi64ELi256ELb0ELi7EL8MFMAType0EEvPKT_PKT0_S9_ifPKiSB_SB_iPKfiiiPfSE_PS4_PT2_iSD_SD_
                                        ; -- End function
	.section	.AMDGPU.csdata,"",@progbits
; Kernel info:
; codeLenInByte = 4336
; NumSgprs: 52
; NumVgprs: 66
; NumAgprs: 0
; TotalNumVgprs: 66
; ScratchSize: 0
; MemoryBound: 0
; FloatMode: 240
; IeeeMode: 1
; LDSByteSize: 8192 bytes/workgroup (compile time only)
; SGPRBlocks: 6
; VGPRBlocks: 8
; NumSGPRsForWavesPerEU: 52
; NumVGPRsForWavesPerEU: 66
; AccumOffset: 68
; Occupancy: 7
; WaveLimiterHint : 1
; COMPUTE_PGM_RSRC2:SCRATCH_EN: 0
; COMPUTE_PGM_RSRC2:USER_SGPR: 6
; COMPUTE_PGM_RSRC2:TRAP_HANDLER: 0
; COMPUTE_PGM_RSRC2:TGID_X_EN: 1
; COMPUTE_PGM_RSRC2:TGID_Y_EN: 1
; COMPUTE_PGM_RSRC2:TGID_Z_EN: 1
; COMPUTE_PGM_RSRC2:TIDIG_COMP_CNT: 0
; COMPUTE_PGM_RSRC3_GFX90A:ACCUM_OFFSET: 16
; COMPUTE_PGM_RSRC3_GFX90A:TG_SPLIT: 0
	.section	.text._Z39paged_attention_ll4mi_QKV_mfma16_kernelI14__hip_bfloat16S0_LN4vllm18Fp8KVCacheDataTypeE0ES0_Li32ELi64ELi256ELb0ELi8EL8MFMAType0EEvPKT_PKT0_S9_ifPKiSB_SB_iPKfiiiPfSE_PS4_PT2_iSD_SD_,"axG",@progbits,_Z39paged_attention_ll4mi_QKV_mfma16_kernelI14__hip_bfloat16S0_LN4vllm18Fp8KVCacheDataTypeE0ES0_Li32ELi64ELi256ELb0ELi8EL8MFMAType0EEvPKT_PKT0_S9_ifPKiSB_SB_iPKfiiiPfSE_PS4_PT2_iSD_SD_,comdat
	.protected	_Z39paged_attention_ll4mi_QKV_mfma16_kernelI14__hip_bfloat16S0_LN4vllm18Fp8KVCacheDataTypeE0ES0_Li32ELi64ELi256ELb0ELi8EL8MFMAType0EEvPKT_PKT0_S9_ifPKiSB_SB_iPKfiiiPfSE_PS4_PT2_iSD_SD_ ; -- Begin function _Z39paged_attention_ll4mi_QKV_mfma16_kernelI14__hip_bfloat16S0_LN4vllm18Fp8KVCacheDataTypeE0ES0_Li32ELi64ELi256ELb0ELi8EL8MFMAType0EEvPKT_PKT0_S9_ifPKiSB_SB_iPKfiiiPfSE_PS4_PT2_iSD_SD_
	.globl	_Z39paged_attention_ll4mi_QKV_mfma16_kernelI14__hip_bfloat16S0_LN4vllm18Fp8KVCacheDataTypeE0ES0_Li32ELi64ELi256ELb0ELi8EL8MFMAType0EEvPKT_PKT0_S9_ifPKiSB_SB_iPKfiiiPfSE_PS4_PT2_iSD_SD_
	.p2align	8
	.type	_Z39paged_attention_ll4mi_QKV_mfma16_kernelI14__hip_bfloat16S0_LN4vllm18Fp8KVCacheDataTypeE0ES0_Li32ELi64ELi256ELb0ELi8EL8MFMAType0EEvPKT_PKT0_S9_ifPKiSB_SB_iPKfiiiPfSE_PS4_PT2_iSD_SD_,@function
_Z39paged_attention_ll4mi_QKV_mfma16_kernelI14__hip_bfloat16S0_LN4vllm18Fp8KVCacheDataTypeE0ES0_Li32ELi64ELi256ELb0ELi8EL8MFMAType0EEvPKT_PKT0_S9_ifPKiSB_SB_iPKfiiiPfSE_PS4_PT2_iSD_SD_: ; @_Z39paged_attention_ll4mi_QKV_mfma16_kernelI14__hip_bfloat16S0_LN4vllm18Fp8KVCacheDataTypeE0ES0_Li32ELi64ELi256ELb0ELi8EL8MFMAType0EEvPKT_PKT0_S9_ifPKiSB_SB_iPKfiiiPfSE_PS4_PT2_iSD_SD_
; %bb.0:
	s_load_dwordx2 s[0:1], s[4:5], 0x30
	s_mov_b32 s28, s7
	s_mov_b64 s[10:11], 0
	s_waitcnt lgkmcnt(0)
	s_cmp_lg_u64 s[0:1], 0
	s_cselect_b64 s[2:3], -1, 0
	s_and_b64 vcc, exec, s[2:3]
	s_cbranch_vccz .LBB275_7
; %bb.1:
	s_add_i32 s12, s6, 1
	s_mov_b32 s13, 0
	s_lshl_b64 s[14:15], s[12:13], 2
	s_add_u32 s14, s0, s14
	s_mov_b32 s7, s13
	s_addc_u32 s15, s1, s15
	s_lshl_b64 s[12:13], s[6:7], 2
	s_add_u32 s12, s0, s12
	s_addc_u32 s13, s1, s13
	s_load_dword s9, s[14:15], 0x0
	s_load_dword s16, s[12:13], 0x0
	s_waitcnt lgkmcnt(0)
	s_sub_i32 s9, s9, s16
	s_cmp_eq_u32 s9, 1
	s_cselect_b64 s[12:13], -1, 0
	s_andn2_b64 vcc, exec, s[10:11]
	s_cbranch_vccnz .LBB275_3
.LBB275_2:
	s_mov_b32 s7, 0
	s_mov_b64 s[12:13], -1
.LBB275_3:
	s_andn2_b64 vcc, exec, s[12:13]
	s_cbranch_vccnz .LBB275_19
; %bb.4:
	s_load_dwordx2 s[12:13], s[4:5], 0x28
	s_lshl_b64 s[10:11], s[6:7], 2
	s_waitcnt lgkmcnt(0)
	s_add_u32 s12, s12, s10
	s_addc_u32 s13, s13, s11
	s_load_dword s33, s[12:13], 0x0
	s_lshl_b32 s16, s28, 8
	s_waitcnt lgkmcnt(0)
	s_cmp_ge_i32 s16, s33
	s_cbranch_scc1 .LBB275_19
; %bb.5:
	s_add_i32 s14, s33, 31
	s_load_dwordx2 s[12:13], s[4:5], 0x20
	s_load_dword s9, s[4:5], 0x38
	s_ashr_i32 s15, s14, 31
	v_and_b32_e32 v1, 0xcf, v0
	s_lshr_b32 s15, s15, 27
	v_add_u32_e32 v1, s16, v1
	s_add_i32 s14, s14, s15
	v_ashrrev_i32_e32 v2, 31, v1
	s_ashr_i32 s19, s14, 5
	v_lshrrev_b32_e32 v6, 27, v2
	s_add_i32 s19, s19, -1
	v_add_u32_e32 v2, v1, v6
	s_waitcnt lgkmcnt(0)
	s_mul_i32 s14, s6, s9
	s_mov_b32 s15, 0
	v_ashrrev_i32_e32 v2, 5, v2
	v_mov_b32_e32 v7, s19
	v_cmp_gt_i32_e32 vcc, s33, v1
	s_lshl_b64 s[14:15], s[14:15], 2
	v_cndmask_b32_e32 v2, v7, v2, vcc
	s_add_u32 s17, s12, s14
	v_ashrrev_i32_e32 v3, 31, v2
	s_addc_u32 s18, s13, s15
	v_lshlrev_b64 v[2:3], 2, v[2:3]
	v_mov_b32_e32 v4, s18
	v_add_co_u32_e32 v2, vcc, s17, v2
	v_addc_co_u32_e32 v3, vcc, v4, v3, vcc
	v_or_b32_e32 v4, 16, v1
	v_add_u32_e32 v5, v4, v6
	v_ashrrev_i32_e32 v5, 5, v5
	v_cmp_gt_i32_e32 vcc, s33, v4
	v_cndmask_b32_e32 v4, v7, v5, vcc
	v_ashrrev_i32_e32 v5, 31, v4
	v_lshlrev_b64 v[4:5], 2, v[4:5]
	v_mov_b32_e32 v9, s18
	v_add_co_u32_e32 v8, vcc, s17, v4
	v_or_b32_e32 v4, 32, v1
	v_addc_co_u32_e32 v9, vcc, v9, v5, vcc
	v_add_u32_e32 v5, v4, v6
	v_ashrrev_i32_e32 v5, 5, v5
	v_cmp_gt_i32_e32 vcc, s33, v4
	v_cndmask_b32_e32 v4, v7, v5, vcc
	v_ashrrev_i32_e32 v5, 31, v4
	v_lshlrev_b64 v[4:5], 2, v[4:5]
	v_mov_b32_e32 v11, s18
	v_add_co_u32_e32 v10, vcc, s17, v4
	v_or_b32_e32 v1, 48, v1
	v_addc_co_u32_e32 v11, vcc, v11, v5, vcc
	v_add_u32_e32 v4, v1, v6
	v_ashrrev_i32_e32 v4, 5, v4
	v_cmp_gt_i32_e32 vcc, s33, v1
	v_cndmask_b32_e32 v4, v7, v4, vcc
	v_ashrrev_i32_e32 v5, 31, v4
	v_lshlrev_b64 v[4:5], 2, v[4:5]
	v_mov_b32_e32 v1, s18
	v_add_co_u32_e32 v12, vcc, s17, v4
	v_addc_co_u32_e32 v13, vcc, v1, v5, vcc
	global_load_dword v4, v[2:3], off
	global_load_dword v6, v[8:9], off
	;; [unrolled: 1-line block ×4, first 2 shown]
	s_andn2_b64 vcc, exec, s[2:3]
	s_cbranch_vccnz .LBB275_8
; %bb.6:
	s_add_u32 s0, s0, s10
	s_addc_u32 s1, s1, s11
	s_load_dword s9, s[0:1], 0x0
	s_branch .LBB275_9
.LBB275_7:
	s_mov_b64 s[12:13], 0
	s_branch .LBB275_2
.LBB275_8:
	s_mov_b32 s9, s6
.LBB275_9:
	s_load_dwordx4 s[12:15], s[4:5], 0x8
	s_load_dwordx4 s[44:47], s[4:5], 0x48
	v_and_b32_e32 v52, 15, v0
	s_movk_i32 s0, 0x7f
	v_cmp_lt_u32_e32 vcc, s0, v0
	v_cmp_lt_u32_e64 s[2:3], 7, v52
	v_lshlrev_b32_e32 v2, 3, v52
	v_cmp_gt_u32_e64 s[0:1], 8, v52
	s_or_b64 s[2:3], vcc, s[2:3]
	s_and_saveexec_b64 s[10:11], s[2:3]
	s_xor_b64 s[2:3], exec, s[10:11]
; %bb.10:
	v_mov_b32_e32 v3, 0
; %bb.11:
	s_or_saveexec_b64 s[2:3], s[2:3]
	v_lshrrev_b32_e32 v53, 6, v0
	v_and_b32_e32 v54, 63, v0
	s_lshl_b32 s29, s8, 3
	v_bfe_u32 v1, v0, 4, 2
	s_xor_b64 exec, exec, s[2:3]
	s_cbranch_execz .LBB275_13
; %bb.12:
	s_load_dwordx2 s[10:11], s[4:5], 0x0
	s_waitcnt lgkmcnt(0)
	s_ashr_i32 s20, s44, 31
	s_mul_hi_u32 s21, s9, s44
	s_mul_i32 s20, s9, s20
	v_lshl_or_b32 v5, v53, 2, v1
	s_add_i32 s21, s21, s20
	s_mul_i32 s20, s9, s44
	s_lshl_b64 s[20:21], s[20:21], 1
	v_add_lshl_u32 v8, v5, s29, 6
	s_add_u32 s9, s10, s20
	v_ashrrev_i32_e32 v9, 31, v8
	s_addc_u32 s10, s11, s21
	v_lshlrev_b64 v[8:9], 1, v[8:9]
	v_mov_b32_e32 v3, s10
	v_add_co_u32_e32 v7, vcc, s9, v8
	v_addc_co_u32_e32 v3, vcc, v3, v9, vcc
	v_lshlrev_b32_e32 v8, 1, v2
	v_add_co_u32_e32 v8, vcc, v7, v8
	v_addc_co_u32_e32 v9, vcc, 0, v3, vcc
	global_load_dwordx4 v[8:11], v[8:9], off
	v_and_b32_e32 v7, 3, v0
	v_lshlrev_b32_e32 v12, 9, v52
	v_lshlrev_b32_e32 v5, 5, v5
	;; [unrolled: 1-line block ×3, first 2 shown]
	v_and_b32_e32 v12, 0x1800, v12
	v_mov_b32_e32 v3, 0
	v_or3_b32 v5, v12, v7, v5
	s_waitcnt vmcnt(0)
	ds_write_b128 v5, v[8:11]
.LBB275_13:
	s_or_b64 exec, exec, s[2:3]
	s_waitcnt lgkmcnt(0)
	s_mul_i32 s8, s8, s46
	s_mov_b32 s9, 0
	s_lshl_b64 s[8:9], s[8:9], 1
	s_add_u32 s3, s12, s8
	s_waitcnt vmcnt(3)
	v_mad_i64_i32 v[4:5], s[10:11], v4, s45, 0
	s_addc_u32 s12, s13, s9
	v_lshlrev_b64 v[4:5], 1, v[4:5]
	v_mov_b32_e32 v7, s12
	v_add_co_u32_e32 v4, vcc, s3, v4
	v_addc_co_u32_e32 v5, vcc, v7, v5, vcc
	v_lshlrev_b64 v[34:35], 1, v[2:3]
	v_add_co_u32_e32 v2, vcc, v4, v34
	v_lshlrev_b32_e32 v28, 9, v1
	v_addc_co_u32_e32 v3, vcc, v5, v35, vcc
	v_add_co_u32_e32 v20, vcc, v2, v28
	v_addc_co_u32_e32 v21, vcc, 0, v3, vcc
	s_load_dword s42, s[4:5], 0x98
	s_load_dword s2, s[4:5], 0x1c
	s_waitcnt lgkmcnt(0)
	s_barrier
	global_load_dwordx4 v[2:5], v[20:21], off
	s_waitcnt vmcnt(3)
	v_mad_i64_i32 v[6:7], s[10:11], v6, s45, 0
	v_lshlrev_b64 v[6:7], 1, v[6:7]
	v_mov_b32_e32 v8, s12
	v_add_co_u32_e32 v6, vcc, s3, v6
	v_addc_co_u32_e32 v7, vcc, v8, v7, vcc
	v_mov_b32_e32 v8, 0x100
	v_lshl_or_b32 v29, v52, 4, v8
	v_add_co_u32_e32 v6, vcc, v6, v29
	v_addc_co_u32_e32 v7, vcc, 0, v7, vcc
	v_add_co_u32_e32 v22, vcc, v6, v28
	v_addc_co_u32_e32 v23, vcc, 0, v7, vcc
	global_load_dwordx4 v[10:13], v[22:23], off
	global_load_dwordx4 v[14:17], v[20:21], off offset:2048
	global_load_dwordx4 v[6:9], v[22:23], off offset:2048
	v_and_b32_e32 v22, 7, v0
	s_waitcnt vmcnt(5)
	v_mad_i64_i32 v[20:21], s[10:11], v19, s45, 0
	s_waitcnt vmcnt(4)
	v_mad_i64_i32 v[18:19], s[10:11], v18, s45, 0
	v_lshl_or_b32 v32, v22, 5, v28
	v_lshlrev_b64 v[30:31], 1, v[20:21]
	v_lshlrev_b64 v[26:27], 1, v[18:19]
	ds_read_b128 v[22:25], v32
	ds_read_b128 v[18:21], v32 offset:2048
	v_mov_b32_e32 v32, s12
	v_add_co_u32_e32 v30, vcc, s3, v30
	v_addc_co_u32_e32 v31, vcc, v32, v31, vcc
	v_add_co_u32_e32 v36, vcc, v30, v34
	v_addc_co_u32_e32 v37, vcc, v31, v35, vcc
	;; [unrolled: 2-line block ×3, first 2 shown]
	global_load_dwordx4 v[36:39], v[44:45], off
	v_mov_b32_e32 v40, s12
	v_and_or_b32 v48, v0, 48, s16
	s_ashr_i32 s10, s16, 31
	v_or_b32_e32 v46, 64, v48
	s_lshr_b32 s10, s10, 27
	v_mov_b32_e32 v49, s19
	v_mov_b32_e32 v50, s18
	s_mov_b32 s43, 0xff7fffff
	s_waitcnt vmcnt(4) lgkmcnt(1)
	v_mfma_f32_16x16x16bf16_1k v[30:33], v[2:3], v[22:23], 0
	v_add_co_u32_e32 v2, vcc, s3, v26
	v_addc_co_u32_e32 v3, vcc, v40, v27, vcc
	v_add_u32_e32 v26, s10, v48
	v_ashrrev_i32_e32 v47, 5, v26
	s_add_u32 s3, s14, s8
	s_waitcnt vmcnt(3)
	v_mfma_f32_16x16x16bf16_1k v[40:43], v[10:11], v[22:23], 0
	v_add_co_u32_e32 v11, vcc, v2, v29
	v_addc_co_u32_e32 v27, vcc, 0, v3, vcc
	v_add_u32_e32 v10, s10, v46
	v_ashrrev_i32_e32 v51, 5, v10
	v_add_co_u32_e32 v10, vcc, v11, v28
	v_mfma_f32_16x16x16bf16_1k v[2:5], v[4:5], v[24:25], v[30:33]
	v_addc_co_u32_e32 v11, vcc, 0, v27, vcc
	global_load_dwordx4 v[26:29], v[44:45], off offset:2048
	v_cmp_gt_i32_e32 vcc, s33, v48
	v_cndmask_b32_e32 v44, v49, v47, vcc
	v_ashrrev_i32_e32 v45, 31, v44
	v_cmp_gt_i32_e32 vcc, s33, v46
	s_waitcnt vmcnt(3) lgkmcnt(0)
	v_mfma_f32_16x16x16bf16_1k v[2:5], v[14:15], v[18:19], v[2:5]
	global_load_dwordx4 v[30:33], v[10:11], off
	global_load_dwordx4 v[56:59], v[10:11], off offset:2048
	v_lshlrev_b64 v[10:11], 2, v[44:45]
	v_cndmask_b32_e32 v14, v49, v51, vcc
	v_ashrrev_i32_e32 v15, 31, v14
	s_addc_u32 s8, s15, s9
	v_mfma_f32_16x16x16bf16_1k v[44:47], v[16:17], v[20:21], v[2:5]
	s_nop 6
	v_add_co_u32_e32 v2, vcc, s17, v10
	v_addc_co_u32_e32 v3, vcc, v50, v11, vcc
	global_load_dword v16, v[2:3], off
	v_lshlrev_b64 v[10:11], 2, v[14:15]
	v_mov_b32_e32 v14, s18
	v_add_co_u32_e32 v10, vcc, s17, v10
	v_addc_co_u32_e32 v11, vcc, v14, v11, vcc
	global_load_dword v50, v[10:11], off
	v_mfma_f32_16x16x16bf16_1k v[2:5], v[12:13], v[24:25], v[40:43]
	v_or_b32_e32 v10, 0x80, v48
	v_add_u32_e32 v11, s10, v10
	v_ashrrev_i32_e32 v11, 5, v11
	v_cmp_gt_i32_e32 vcc, s33, v10
	v_cndmask_b32_e32 v10, v49, v11, vcc
	v_ashrrev_i32_e32 v11, 31, v10
	s_waitcnt vmcnt(6)
	v_mfma_f32_16x16x16bf16_1k v[2:5], v[6:7], v[18:19], v[2:5]
	v_lshlrev_b64 v[6:7], 2, v[10:11]
	v_mov_b32_e32 v10, s18
	v_add_co_u32_e32 v6, vcc, s17, v6
	v_addc_co_u32_e32 v7, vcc, v10, v7, vcc
	global_load_dword v51, v[6:7], off
	v_mfma_f32_16x16x16bf16_1k v[40:43], v[8:9], v[20:21], v[2:5]
	v_or_b32_e32 v6, 0xc0, v48
	v_add_u32_e32 v7, s10, v6
	v_ashrrev_i32_e32 v7, 5, v7
	v_cmp_gt_i32_e32 vcc, s33, v6
	v_cndmask_b32_e32 v6, v49, v7, vcc
	v_ashrrev_i32_e32 v7, 31, v6
	v_lshlrev_b64 v[6:7], 2, v[6:7]
	s_waitcnt vmcnt(6)
	v_mfma_f32_16x16x16bf16_1k v[2:5], v[36:37], v[22:23], 0
	v_mov_b32_e32 v8, s18
	v_add_co_u32_e32 v6, vcc, s17, v6
	v_addc_co_u32_e32 v7, vcc, v8, v7, vcc
	global_load_dword v55, v[6:7], off
	v_and_b32_e32 v6, 16, v0
	v_mfma_f32_16x16x16bf16_1k v[2:5], v[38:39], v[24:25], v[2:5]
	v_lshlrev_b32_e32 v6, 1, v6
	v_mov_b32_e32 v7, s8
	v_add_co_u32_e32 v6, vcc, s3, v6
	v_lshlrev_b32_e32 v8, 6, v52
	v_addc_co_u32_e32 v7, vcc, 0, v7, vcc
	s_waitcnt vmcnt(6)
	v_mfma_f32_16x16x16bf16_1k v[2:5], v[26:27], v[18:19], v[2:5]
	v_lshl_or_b32 v8, v53, 10, v8
	v_add_co_u32_e32 v60, vcc, v6, v8
	v_addc_co_u32_e32 v61, vcc, 0, v7, vcc
	v_pk_mul_f32 v[48:49], s[2:3], v[46:47] op_sel_hi:[0,1]
	v_pk_mul_f32 v[40:41], s[2:3], v[40:41] op_sel_hi:[0,1]
	v_mfma_f32_16x16x16bf16_1k v[26:29], v[28:29], v[20:21], v[2:5]
	s_waitcnt vmcnt(3)
	s_nop 5
	v_mad_i64_i32 v[2:3], s[8:9], v16, s45, 0
	v_lshlrev_b64 v[6:7], 1, v[2:3]
	v_mfma_f32_16x16x16bf16_1k v[2:5], v[30:31], v[22:23], 0
	v_add_co_u32_e32 v6, vcc, v60, v6
	v_addc_co_u32_e32 v7, vcc, v61, v7, vcc
	global_load_dwordx4 v[14:17], v[6:7], off
	global_load_dwordx4 v[10:13], v[6:7], off offset:16
	s_waitcnt vmcnt(4)
	v_mad_i64_i32 v[6:7], s[8:9], v50, s45, 0
	v_mfma_f32_16x16x16bf16_1k v[22:25], v[32:33], v[24:25], v[2:5]
	v_pk_mul_f32 v[46:47], s[2:3], v[28:29] op_sel_hi:[0,1]
	v_lshlrev_b64 v[6:7], 1, v[6:7]
	s_waitcnt vmcnt(3)
	v_mad_i64_i32 v[30:31], s[8:9], v51, s45, 0
	v_mfma_f32_16x16x16bf16_1k v[22:25], v[56:57], v[18:19], v[22:25]
	v_pk_mul_f32 v[18:19], s[2:3], v[44:45] op_sel_hi:[0,1]
	v_pk_mul_f32 v[50:51], s[2:3], v[42:43] op_sel_hi:[0,1]
	;; [unrolled: 1-line block ×3, first 2 shown]
	v_add_co_u32_e32 v2, vcc, v60, v6
	v_addc_co_u32_e32 v3, vcc, v61, v7, vcc
	v_mfma_f32_16x16x16bf16_1k v[20:23], v[58:59], v[20:21], v[22:25]
	v_lshlrev_b64 v[30:31], 1, v[30:31]
	v_add_co_u32_e32 v38, vcc, v60, v30
	v_addc_co_u32_e32 v39, vcc, v61, v31, vcc
	global_load_dwordx4 v[6:9], v[2:3], off
	s_nop 0
	global_load_dwordx4 v[2:5], v[2:3], off offset:16
	s_nop 4
	v_pk_mul_f32 v[44:45], s[2:3], v[20:21] op_sel_hi:[0,1]
	v_and_b32_e32 v20, 0xc0, v0
	v_add_u32_e32 v20, s16, v20
	v_lshl_or_b32 v20, v1, 2, v20
	v_pk_mul_f32 v[36:37], s[2:3], v[22:23] op_sel_hi:[0,1]
	v_or_b32_e32 v23, 1, v20
	v_mov_b32_e32 v21, 0xff7fffff
	v_cmp_gt_i32_e64 s[30:31], s33, v20
	v_cmp_gt_i32_e64 s[34:35], s33, v23
	v_cndmask_b32_e64 v22, v21, v18, s[30:31]
	v_cndmask_b32_e64 v23, v21, v19, s[34:35]
	v_max3_f32 v22, v22, s43, v23
	v_or_b32_e32 v23, 2, v20
	v_or_b32_e32 v24, 3, v20
	v_cmp_gt_i32_e64 s[36:37], s33, v23
	v_cmp_gt_i32_e64 s[38:39], s33, v24
	v_cndmask_b32_e64 v23, v21, v48, s[36:37]
	v_cndmask_b32_e64 v24, v21, v49, s[38:39]
	v_max3_f32 v22, v22, v23, v24
	v_or_b32_e32 v23, 16, v20
	v_or_b32_e32 v24, 17, v20
	;; [unrolled: 7-line block ×7, first 2 shown]
	v_cmp_gt_i32_e32 vcc, s33, v23
	v_cmp_gt_i32_e64 s[2:3], s33, v20
	v_cndmask_b32_e32 v23, v21, v36, vcc
	v_cndmask_b32_e64 v20, v21, v37, s[2:3]
	v_max3_f32 v26, v22, v23, v20
	v_mbcnt_lo_u32_b32 v20, -1, 0
	v_mbcnt_hi_u32_b32 v27, -1, v20
	v_and_b32_e32 v20, 64, v27
	v_add_u32_e32 v28, 64, v20
	v_xor_b32_e32 v20, 32, v27
	v_cmp_lt_i32_e64 s[40:41], v20, v28
	v_cndmask_b32_e64 v20, v27, v20, s[40:41]
	v_lshlrev_b32_e32 v56, 2, v20
	ds_bpermute_b32 v29, v56, v26
	s_waitcnt vmcnt(4)
	v_mad_i64_i32 v[20:21], s[40:41], v55, s45, 0
	v_lshlrev_b64 v[20:21], 1, v[20:21]
	global_load_dwordx4 v[30:33], v[38:39], off
	global_load_dwordx4 v[22:25], v[38:39], off offset:16
	s_waitcnt lgkmcnt(0)
	v_max_f32_e32 v29, v29, v29
	v_max_f32_e32 v26, v26, v29
	v_xor_b32_e32 v29, 16, v27
	v_cmp_lt_i32_e64 s[40:41], v29, v28
	v_cndmask_b32_e64 v27, v27, v29, s[40:41]
	v_lshlrev_b32_e32 v58, 2, v27
	ds_bpermute_b32 v27, v58, v26
	v_add_co_u32_e64 v20, s[40:41], v60, v20
	v_addc_co_u32_e64 v21, s[40:41], v61, v21, s[40:41]
	s_waitcnt lgkmcnt(0)
	v_max_f32_e32 v27, v27, v27
	v_max_f32_e32 v55, v26, v27
	v_sub_f32_e32 v18, v18, v55
	v_mul_f32_e32 v18, 0x3fb8aa3b, v18
	v_exp_f32_e32 v38, v18
	v_sub_f32_e32 v18, v19, v55
	v_mul_f32_e32 v18, 0x3fb8aa3b, v18
	v_exp_f32_e32 v39, v18
	global_load_dwordx4 v[26:29], v[20:21], off
	s_nop 0
	global_load_dwordx4 v[18:21], v[20:21], off offset:16
	v_sub_f32_e32 v48, v48, v55
	v_mul_f32_e32 v48, 0x3fb8aa3b, v48
	v_sub_f32_e32 v49, v49, v55
	v_exp_f32_e32 v48, v48
	v_mul_f32_e32 v49, 0x3fb8aa3b, v49
	v_sub_f32_e32 v40, v40, v55
	v_exp_f32_e32 v49, v49
	v_mul_f32_e32 v40, 0x3fb8aa3b, v40
	v_sub_f32_e32 v41, v41, v55
	v_cndmask_b32_e64 v38, 0, v38, s[30:31]
	v_exp_f32_e32 v40, v40
	v_mul_f32_e32 v41, 0x3fb8aa3b, v41
	v_sub_f32_e32 v50, v50, v55
	v_add_f32_e32 v57, 0, v38
	v_cndmask_b32_e64 v39, 0, v39, s[34:35]
	v_exp_f32_e32 v41, v41
	v_mul_f32_e32 v50, 0x3fb8aa3b, v50
	v_sub_f32_e32 v51, v51, v55
	v_add_f32_e32 v57, v57, v39
	v_cndmask_b32_e64 v48, 0, v48, s[36:37]
	v_exp_f32_e32 v50, v50
	v_mul_f32_e32 v51, 0x3fb8aa3b, v51
	v_sub_f32_e32 v42, v42, v55
	v_add_f32_e32 v57, v57, v48
	v_cndmask_b32_e64 v49, 0, v49, s[38:39]
	v_exp_f32_e32 v51, v51
	v_mul_f32_e32 v42, 0x3fb8aa3b, v42
	v_sub_f32_e32 v43, v43, v55
	v_add_f32_e32 v57, v57, v49
	v_cndmask_b32_e64 v40, 0, v40, s[24:25]
	v_exp_f32_e32 v42, v42
	v_mul_f32_e32 v43, 0x3fb8aa3b, v43
	v_sub_f32_e32 v46, v46, v55
	v_add_f32_e32 v57, v57, v40
	v_cndmask_b32_e64 v41, 0, v41, s[26:27]
	v_exp_f32_e32 v43, v43
	v_mul_f32_e32 v46, 0x3fb8aa3b, v46
	v_sub_f32_e32 v47, v47, v55
	v_add_f32_e32 v57, v57, v41
	v_cndmask_b32_e64 v50, 0, v50, s[20:21]
	v_exp_f32_e32 v46, v46
	v_mul_f32_e32 v47, 0x3fb8aa3b, v47
	v_sub_f32_e32 v44, v44, v55
	v_add_f32_e32 v57, v57, v50
	v_cndmask_b32_e64 v51, 0, v51, s[22:23]
	v_exp_f32_e32 v47, v47
	v_mul_f32_e32 v44, 0x3fb8aa3b, v44
	v_sub_f32_e32 v45, v45, v55
	v_add_f32_e32 v57, v57, v51
	v_cndmask_b32_e64 v42, 0, v42, s[16:17]
	v_exp_f32_e32 v44, v44
	v_mul_f32_e32 v45, 0x3fb8aa3b, v45
	v_sub_f32_e32 v36, v36, v55
	v_add_f32_e32 v57, v57, v42
	v_cndmask_b32_e64 v43, 0, v43, s[18:19]
	v_exp_f32_e32 v45, v45
	v_mul_f32_e32 v36, 0x3fb8aa3b, v36
	v_sub_f32_e32 v37, v37, v55
	v_add_f32_e32 v57, v57, v43
	v_cndmask_b32_e64 v46, 0, v46, s[12:13]
	v_exp_f32_e32 v36, v36
	v_mul_f32_e32 v37, 0x3fb8aa3b, v37
	v_add_f32_e32 v57, v57, v46
	v_cndmask_b32_e64 v47, 0, v47, s[14:15]
	v_exp_f32_e32 v37, v37
	v_add_f32_e32 v57, v57, v47
	v_cndmask_b32_e64 v44, 0, v44, s[8:9]
	v_add_f32_e32 v57, v57, v44
	v_cndmask_b32_e64 v45, 0, v45, s[10:11]
	v_add_f32_e32 v57, v57, v45
	v_cndmask_b32_e32 v36, 0, v36, vcc
	v_add_f32_e32 v57, v57, v36
	v_cndmask_b32_e64 v37, 0, v37, s[2:3]
	v_add_f32_e32 v57, v57, v37
	ds_bpermute_b32 v56, v56, v57
	v_cmp_gt_u32_e32 vcc, 16, v54
	s_waitcnt lgkmcnt(0)
	s_barrier
	v_add_f32_e32 v57, v57, v56
	ds_bpermute_b32 v58, v58, v57
	v_lshlrev_b32_e32 v56, 2, v52
	s_and_saveexec_b64 s[2:3], vcc
	s_cbranch_execz .LBB275_15
; %bb.14:
	s_waitcnt lgkmcnt(0)
	v_add_f32_e32 v54, v57, v58
	v_lshl_or_b32 v57, v53, 6, v56
	ds_write2st64_b32 v57, v55, v54 offset1:1
.LBB275_15:
	s_or_b64 exec, exec, s[2:3]
	s_load_dword s8, s[4:5], 0x94
	s_waitcnt lgkmcnt(0)
	s_barrier
	ds_read2_b32 v[58:59], v56 offset1:16
	ds_read2_b32 v[60:61], v56 offset0:32 offset1:48
	ds_read2_b32 v[62:63], v56 offset0:64 offset1:80
	ds_read2_b32 v[56:57], v56 offset0:96 offset1:112
	s_movk_i32 s10, 0x7fff
	s_waitcnt lgkmcnt(3)
	v_max3_f32 v54, v58, s43, v59
	s_waitcnt lgkmcnt(2)
	v_max3_f32 v54, v54, v60, v61
	v_sub_f32_e32 v55, v58, v54
	v_mul_f32_e32 v55, 0x3fb8aa3b, v55
	v_exp_f32_e32 v58, v55
	v_sub_f32_e32 v55, v59, v54
	v_mul_f32_e32 v55, 0x3fb8aa3b, v55
	v_exp_f32_e32 v59, v55
	;; [unrolled: 3-line block ×4, first 2 shown]
	s_waitcnt lgkmcnt(1)
	v_fma_f32 v55, v58, v62, 0
	v_fmac_f32_e32 v55, v59, v63
	s_waitcnt lgkmcnt(0)
	v_fmac_f32_e32 v55, v60, v56
	v_fmac_f32_e32 v55, v61, v57
	v_add_f32_e32 v56, 0x358637bd, v55
	v_div_scale_f32 v57, s[2:3], v56, v56, 1.0
	v_rcp_f32_e32 v62, v57
	s_mov_b32 s11, 0x7060302
	s_barrier
	v_fma_f32 v63, -v57, v62, 1.0
	v_fmac_f32_e32 v62, v63, v62
	v_div_scale_f32 v63, vcc, 1.0, v56, 1.0
	v_mul_f32_e32 v64, v63, v62
	v_fma_f32 v65, -v57, v64, v63
	v_fmac_f32_e32 v64, v65, v62
	v_fma_f32 v57, -v57, v64, v63
	v_div_fmas_f32 v57, v57, v62, v64
	v_cmp_eq_u32_e32 vcc, 1, v53
	v_div_fixup_f32 v56, v57, v56, 1.0
	v_cndmask_b32_e32 v57, v58, v59, vcc
	v_cmp_eq_u32_e32 vcc, 2, v53
	v_cndmask_b32_e32 v57, v57, v60, vcc
	v_cmp_eq_u32_e32 vcc, 3, v53
	v_cndmask_b32_e32 v57, v57, v61, vcc
	v_mul_f32_e32 v56, v57, v56
	v_pk_mul_f32 v[38:39], v[56:57], v[38:39] op_sel_hi:[0,1]
	v_pk_mul_f32 v[48:49], v[56:57], v[48:49] op_sel_hi:[0,1]
	v_bfe_u32 v57, v39, 16, 1
	v_bfe_u32 v58, v38, 16, 1
	v_add3_u32 v38, v38, v58, s10
	v_add3_u32 v39, v39, v57, s10
	v_perm_b32 v58, v39, v38, s11
	v_bfe_u32 v38, v49, 16, 1
	v_bfe_u32 v39, v48, 16, 1
	v_add3_u32 v39, v48, v39, s10
	v_add3_u32 v38, v49, v38, s10
	v_perm_b32 v59, v38, v39, s11
	v_lshlrev_b32_e32 v38, 3, v1
	v_lshlrev_b32_e32 v39, 5, v52
	;; [unrolled: 1-line block ×3, first 2 shown]
	v_pk_mul_f32 v[40:41], v[56:57], v[40:41] op_sel_hi:[0,1]
	v_or3_b32 v38, v48, v39, v38
	v_pk_mul_f32 v[48:49], v[56:57], v[50:51] op_sel_hi:[0,1]
	v_bfe_u32 v50, v41, 16, 1
	v_bfe_u32 v51, v40, 16, 1
	v_add3_u32 v40, v40, v51, s10
	v_add3_u32 v41, v41, v50, s10
	v_perm_b32 v40, v41, v40, s11
	v_bfe_u32 v41, v49, 16, 1
	v_bfe_u32 v50, v48, 16, 1
	v_add3_u32 v48, v48, v50, s10
	v_add3_u32 v41, v49, v41, s10
	v_perm_b32 v41, v41, v48, s11
	v_pk_mul_f32 v[42:43], v[56:57], v[42:43] op_sel_hi:[0,1]
	ds_write2st64_b64 v38, v[58:59], v[40:41] offset1:1
	v_pk_mul_f32 v[40:41], v[56:57], v[46:47] op_sel_hi:[0,1]
	v_bfe_u32 v46, v43, 16, 1
	v_bfe_u32 v47, v42, 16, 1
	v_add3_u32 v42, v42, v47, s10
	v_add3_u32 v43, v43, v46, s10
	v_perm_b32 v42, v43, v42, s11
	v_bfe_u32 v43, v41, 16, 1
	v_bfe_u32 v46, v40, 16, 1
	v_add3_u32 v40, v40, v46, s10
	v_add3_u32 v41, v41, v43, s10
	v_perm_b32 v43, v41, v40, s11
	v_pk_mul_f32 v[40:41], v[56:57], v[44:45] op_sel_hi:[0,1]
	v_bfe_u32 v44, v41, 16, 1
	v_bfe_u32 v45, v40, 16, 1
	v_pk_mul_f32 v[36:37], v[56:57], v[36:37] op_sel_hi:[0,1]
	v_add3_u32 v40, v40, v45, s10
	v_add3_u32 v41, v41, v44, s10
	v_perm_b32 v40, v41, v40, s11
	v_bfe_u32 v41, v37, 16, 1
	v_bfe_u32 v44, v36, 16, 1
	v_add3_u32 v36, v36, v44, s10
	v_add3_u32 v37, v37, v41, s10
	s_lshl_b32 s9, s42, 3
	v_perm_b32 v41, v37, v36, s11
	v_cmp_gt_u32_e32 vcc, 8, v0
	ds_write2st64_b64 v38, v[42:43], v[40:41] offset0:2 offset1:3
	s_and_saveexec_b64 s[2:3], vcc
	s_cbranch_execz .LBB275_17
; %bb.16:
	v_or_b32_e32 v36, s29, v0
	v_mov_b32_e32 v37, 0
	v_mov_b32_e32 v40, s9
	v_mad_u64_u32 v[40:41], s[16:17], s6, v40, v[36:37]
	v_mov_b32_e32 v36, s28
	s_load_dwordx4 s[12:15], s[4:5], 0x58
	s_mul_i32 s7, s7, s9
	v_mad_u64_u32 v[36:37], s[16:17], v40, s8, v[36:37]
	v_add_u32_e32 v41, s7, v41
	v_mov_b32_e32 v40, v37
	v_mad_u64_u32 v[40:41], s[16:17], v41, s8, v[40:41]
	v_mov_b32_e32 v37, v40
	v_lshlrev_b64 v[36:37], 2, v[36:37]
	s_waitcnt lgkmcnt(0)
	v_mov_b32_e32 v41, s15
	v_add_co_u32_e32 v40, vcc, s14, v36
	v_addc_co_u32_e32 v41, vcc, v41, v37, vcc
	global_store_dword v[40:41], v54, off
	v_mov_b32_e32 v40, s13
	v_add_co_u32_e32 v36, vcc, s12, v36
	v_addc_co_u32_e32 v37, vcc, v40, v37, vcc
	global_store_dword v[36:37], v55, off
.LBB275_17:
	s_or_b64 exec, exec, s[2:3]
	v_lshl_or_b32 v36, v1, 9, v39
	s_waitcnt lgkmcnt(0)
	s_barrier
	ds_read_b128 v[40:43], v36
	ds_read_b128 v[44:47], v36 offset:16
	s_waitcnt vmcnt(7) lgkmcnt(1)
	v_mfma_f32_16x16x16bf16_1k v[48:51], v[14:15], v[40:41], 0
	v_cmp_gt_u32_e32 vcc, 64, v0
	s_mov_b32 s3, 0
	s_and_b64 s[0:1], vcc, s[0:1]
	v_mfma_f32_16x16x16bf16_1k v[14:17], v[16:17], v[42:43], v[48:51]
	s_waitcnt vmcnt(6) lgkmcnt(0)
	v_mfma_f32_16x16x16bf16_1k v[14:17], v[10:11], v[44:45], v[14:17]
	v_mfma_f32_16x16x16bf16_1k v[10:13], v[12:13], v[46:47], v[14:17]
	s_nop 7
	s_nop 1
	ds_read_b128 v[14:17], v36 offset:2048
	ds_read_b128 v[40:43], v36 offset:2064
	s_waitcnt vmcnt(5) lgkmcnt(1)
	v_mfma_f32_16x16x16bf16_1k v[10:13], v[6:7], v[14:15], v[10:13]
	v_mfma_f32_16x16x16bf16_1k v[6:9], v[8:9], v[16:17], v[10:13]
	s_waitcnt vmcnt(4) lgkmcnt(0)
	v_mfma_f32_16x16x16bf16_1k v[6:9], v[2:3], v[40:41], v[6:9]
	v_mfma_f32_16x16x16bf16_1k v[2:5], v[4:5], v[42:43], v[6:9]
	s_nop 7
	s_nop 1
	ds_read_b128 v[6:9], v36 offset:4096
	ds_read_b128 v[10:13], v36 offset:4112
	s_waitcnt vmcnt(3) lgkmcnt(1)
	v_mfma_f32_16x16x16bf16_1k v[2:5], v[30:31], v[6:7], v[2:5]
	v_mfma_f32_16x16x16bf16_1k v[2:5], v[32:33], v[8:9], v[2:5]
	s_waitcnt vmcnt(2) lgkmcnt(0)
	v_mfma_f32_16x16x16bf16_1k v[2:5], v[22:23], v[10:11], v[2:5]
	v_mfma_f32_16x16x16bf16_1k v[2:5], v[24:25], v[12:13], v[2:5]
	ds_read_b128 v[6:9], v36 offset:6144
	ds_read_b128 v[10:13], v36 offset:6160
	s_waitcnt lgkmcnt(0)
	s_barrier
	s_waitcnt vmcnt(1)
	v_mfma_f32_16x16x16bf16_1k v[2:5], v[26:27], v[6:7], v[2:5]
	v_mfma_f32_16x16x16bf16_1k v[2:5], v[28:29], v[8:9], v[2:5]
	s_waitcnt vmcnt(0)
	v_mfma_f32_16x16x16bf16_1k v[2:5], v[18:19], v[10:11], v[2:5]
	v_mfma_f32_16x16x16bf16_1k v[2:5], v[20:21], v[12:13], v[2:5]
	s_nop 7
	s_nop 2
	v_bfe_u32 v6, v3, 16, 1
	v_bfe_u32 v7, v2, 16, 1
	;; [unrolled: 1-line block ×4, first 2 shown]
	v_add3_u32 v2, v2, v7, s10
	v_add3_u32 v3, v3, v6, s10
	;; [unrolled: 1-line block ×4, first 2 shown]
	v_perm_b32 v2, v3, v2, s11
	v_perm_b32 v3, v5, v4, s11
	ds_write_b64 v38, v[2:3]
	s_waitcnt lgkmcnt(0)
	s_barrier
	s_and_saveexec_b64 s[10:11], s[0:1]
	s_cbranch_execz .LBB275_19
; %bb.18:
	s_load_dwordx2 s[0:1], s[4:5], 0x68
	s_lshl_b32 s7, s8, 6
	s_mul_i32 s2, s9, s6
	s_mul_hi_u32 s5, s2, s7
	s_mul_i32 s4, s2, s7
	s_lshl_b64 s[4:5], s[4:5], 1
	s_waitcnt lgkmcnt(0)
	s_add_u32 s4, s0, s4
	s_addc_u32 s5, s1, s5
	s_lshl_b32 s2, s28, 6
	v_lshlrev_b32_e32 v2, 10, v0
	v_lshlrev_b32_e32 v0, 4, v0
	s_lshl_b64 s[0:1], s[2:3], 1
	v_and_b32_e32 v2, 0x1800, v2
	v_lshlrev_b32_e32 v3, 5, v1
	v_and_b32_e32 v0, 16, v0
	s_add_u32 s0, s4, s0
	v_or3_b32 v0, v2, v3, v0
	s_addc_u32 s1, s5, s1
	ds_read_b128 v[2:5], v0
	ds_read_b128 v[6:9], v0 offset:128
	v_mov_b32_e32 v0, s1
	v_add_co_u32_e32 v10, vcc, s0, v34
	v_or_b32_e32 v12, s29, v1
	v_addc_co_u32_e32 v11, vcc, v0, v35, vcc
	v_mad_u64_u32 v[0:1], s[0:1], v12, s7, 0
	v_lshlrev_b64 v[0:1], 1, v[0:1]
	v_add_co_u32_e32 v0, vcc, v10, v0
	v_addc_co_u32_e32 v1, vcc, v11, v1, vcc
	s_waitcnt lgkmcnt(1)
	global_store_dwordx4 v[0:1], v[2:5], off
	v_or_b32_e32 v0, 4, v12
	v_mad_u64_u32 v[0:1], s[0:1], v0, s7, 0
	v_lshlrev_b64 v[0:1], 1, v[0:1]
	v_add_co_u32_e32 v0, vcc, v10, v0
	v_addc_co_u32_e32 v1, vcc, v11, v1, vcc
	s_waitcnt lgkmcnt(0)
	global_store_dwordx4 v[0:1], v[6:9], off
.LBB275_19:
	s_endpgm
	.section	.rodata,"a",@progbits
	.p2align	6, 0x0
	.amdhsa_kernel _Z39paged_attention_ll4mi_QKV_mfma16_kernelI14__hip_bfloat16S0_LN4vllm18Fp8KVCacheDataTypeE0ES0_Li32ELi64ELi256ELb0ELi8EL8MFMAType0EEvPKT_PKT0_S9_ifPKiSB_SB_iPKfiiiPfSE_PS4_PT2_iSD_SD_
		.amdhsa_group_segment_fixed_size 8192
		.amdhsa_private_segment_fixed_size 0
		.amdhsa_kernarg_size 400
		.amdhsa_user_sgpr_count 6
		.amdhsa_user_sgpr_private_segment_buffer 1
		.amdhsa_user_sgpr_dispatch_ptr 0
		.amdhsa_user_sgpr_queue_ptr 0
		.amdhsa_user_sgpr_kernarg_segment_ptr 1
		.amdhsa_user_sgpr_dispatch_id 0
		.amdhsa_user_sgpr_flat_scratch_init 0
		.amdhsa_user_sgpr_kernarg_preload_length 0
		.amdhsa_user_sgpr_kernarg_preload_offset 0
		.amdhsa_user_sgpr_private_segment_size 0
		.amdhsa_uses_dynamic_stack 0
		.amdhsa_system_sgpr_private_segment_wavefront_offset 0
		.amdhsa_system_sgpr_workgroup_id_x 1
		.amdhsa_system_sgpr_workgroup_id_y 1
		.amdhsa_system_sgpr_workgroup_id_z 1
		.amdhsa_system_sgpr_workgroup_info 0
		.amdhsa_system_vgpr_workitem_id 0
		.amdhsa_next_free_vgpr 66
		.amdhsa_next_free_sgpr 48
		.amdhsa_accum_offset 68
		.amdhsa_reserve_vcc 1
		.amdhsa_reserve_flat_scratch 0
		.amdhsa_float_round_mode_32 0
		.amdhsa_float_round_mode_16_64 0
		.amdhsa_float_denorm_mode_32 3
		.amdhsa_float_denorm_mode_16_64 3
		.amdhsa_dx10_clamp 1
		.amdhsa_ieee_mode 1
		.amdhsa_fp16_overflow 0
		.amdhsa_tg_split 0
		.amdhsa_exception_fp_ieee_invalid_op 0
		.amdhsa_exception_fp_denorm_src 0
		.amdhsa_exception_fp_ieee_div_zero 0
		.amdhsa_exception_fp_ieee_overflow 0
		.amdhsa_exception_fp_ieee_underflow 0
		.amdhsa_exception_fp_ieee_inexact 0
		.amdhsa_exception_int_div_zero 0
	.end_amdhsa_kernel
	.section	.text._Z39paged_attention_ll4mi_QKV_mfma16_kernelI14__hip_bfloat16S0_LN4vllm18Fp8KVCacheDataTypeE0ES0_Li32ELi64ELi256ELb0ELi8EL8MFMAType0EEvPKT_PKT0_S9_ifPKiSB_SB_iPKfiiiPfSE_PS4_PT2_iSD_SD_,"axG",@progbits,_Z39paged_attention_ll4mi_QKV_mfma16_kernelI14__hip_bfloat16S0_LN4vllm18Fp8KVCacheDataTypeE0ES0_Li32ELi64ELi256ELb0ELi8EL8MFMAType0EEvPKT_PKT0_S9_ifPKiSB_SB_iPKfiiiPfSE_PS4_PT2_iSD_SD_,comdat
.Lfunc_end275:
	.size	_Z39paged_attention_ll4mi_QKV_mfma16_kernelI14__hip_bfloat16S0_LN4vllm18Fp8KVCacheDataTypeE0ES0_Li32ELi64ELi256ELb0ELi8EL8MFMAType0EEvPKT_PKT0_S9_ifPKiSB_SB_iPKfiiiPfSE_PS4_PT2_iSD_SD_, .Lfunc_end275-_Z39paged_attention_ll4mi_QKV_mfma16_kernelI14__hip_bfloat16S0_LN4vllm18Fp8KVCacheDataTypeE0ES0_Li32ELi64ELi256ELb0ELi8EL8MFMAType0EEvPKT_PKT0_S9_ifPKiSB_SB_iPKfiiiPfSE_PS4_PT2_iSD_SD_
                                        ; -- End function
	.section	.AMDGPU.csdata,"",@progbits
; Kernel info:
; codeLenInByte = 4288
; NumSgprs: 52
; NumVgprs: 66
; NumAgprs: 0
; TotalNumVgprs: 66
; ScratchSize: 0
; MemoryBound: 0
; FloatMode: 240
; IeeeMode: 1
; LDSByteSize: 8192 bytes/workgroup (compile time only)
; SGPRBlocks: 6
; VGPRBlocks: 8
; NumSGPRsForWavesPerEU: 52
; NumVGPRsForWavesPerEU: 66
; AccumOffset: 68
; Occupancy: 7
; WaveLimiterHint : 1
; COMPUTE_PGM_RSRC2:SCRATCH_EN: 0
; COMPUTE_PGM_RSRC2:USER_SGPR: 6
; COMPUTE_PGM_RSRC2:TRAP_HANDLER: 0
; COMPUTE_PGM_RSRC2:TGID_X_EN: 1
; COMPUTE_PGM_RSRC2:TGID_Y_EN: 1
; COMPUTE_PGM_RSRC2:TGID_Z_EN: 1
; COMPUTE_PGM_RSRC2:TIDIG_COMP_CNT: 0
; COMPUTE_PGM_RSRC3_GFX90A:ACCUM_OFFSET: 16
; COMPUTE_PGM_RSRC3_GFX90A:TG_SPLIT: 0
	.section	.text._Z39paged_attention_ll4mi_QKV_mfma16_kernelI14__hip_bfloat16S0_LN4vllm18Fp8KVCacheDataTypeE0ES0_Li32ELi64ELi256ELb0ELi9EL8MFMAType0EEvPKT_PKT0_S9_ifPKiSB_SB_iPKfiiiPfSE_PS4_PT2_iSD_SD_,"axG",@progbits,_Z39paged_attention_ll4mi_QKV_mfma16_kernelI14__hip_bfloat16S0_LN4vllm18Fp8KVCacheDataTypeE0ES0_Li32ELi64ELi256ELb0ELi9EL8MFMAType0EEvPKT_PKT0_S9_ifPKiSB_SB_iPKfiiiPfSE_PS4_PT2_iSD_SD_,comdat
	.protected	_Z39paged_attention_ll4mi_QKV_mfma16_kernelI14__hip_bfloat16S0_LN4vllm18Fp8KVCacheDataTypeE0ES0_Li32ELi64ELi256ELb0ELi9EL8MFMAType0EEvPKT_PKT0_S9_ifPKiSB_SB_iPKfiiiPfSE_PS4_PT2_iSD_SD_ ; -- Begin function _Z39paged_attention_ll4mi_QKV_mfma16_kernelI14__hip_bfloat16S0_LN4vllm18Fp8KVCacheDataTypeE0ES0_Li32ELi64ELi256ELb0ELi9EL8MFMAType0EEvPKT_PKT0_S9_ifPKiSB_SB_iPKfiiiPfSE_PS4_PT2_iSD_SD_
	.globl	_Z39paged_attention_ll4mi_QKV_mfma16_kernelI14__hip_bfloat16S0_LN4vllm18Fp8KVCacheDataTypeE0ES0_Li32ELi64ELi256ELb0ELi9EL8MFMAType0EEvPKT_PKT0_S9_ifPKiSB_SB_iPKfiiiPfSE_PS4_PT2_iSD_SD_
	.p2align	8
	.type	_Z39paged_attention_ll4mi_QKV_mfma16_kernelI14__hip_bfloat16S0_LN4vllm18Fp8KVCacheDataTypeE0ES0_Li32ELi64ELi256ELb0ELi9EL8MFMAType0EEvPKT_PKT0_S9_ifPKiSB_SB_iPKfiiiPfSE_PS4_PT2_iSD_SD_,@function
_Z39paged_attention_ll4mi_QKV_mfma16_kernelI14__hip_bfloat16S0_LN4vllm18Fp8KVCacheDataTypeE0ES0_Li32ELi64ELi256ELb0ELi9EL8MFMAType0EEvPKT_PKT0_S9_ifPKiSB_SB_iPKfiiiPfSE_PS4_PT2_iSD_SD_: ; @_Z39paged_attention_ll4mi_QKV_mfma16_kernelI14__hip_bfloat16S0_LN4vllm18Fp8KVCacheDataTypeE0ES0_Li32ELi64ELi256ELb0ELi9EL8MFMAType0EEvPKT_PKT0_S9_ifPKiSB_SB_iPKfiiiPfSE_PS4_PT2_iSD_SD_
; %bb.0:
	s_load_dwordx2 s[0:1], s[4:5], 0x30
	s_mov_b32 s28, s7
	s_mov_b64 s[10:11], 0
	s_waitcnt lgkmcnt(0)
	s_cmp_lg_u64 s[0:1], 0
	s_cselect_b64 s[2:3], -1, 0
	s_and_b64 vcc, exec, s[2:3]
	s_cbranch_vccz .LBB276_7
; %bb.1:
	s_add_i32 s12, s6, 1
	s_mov_b32 s13, 0
	s_lshl_b64 s[14:15], s[12:13], 2
	s_add_u32 s14, s0, s14
	s_mov_b32 s7, s13
	s_addc_u32 s15, s1, s15
	s_lshl_b64 s[12:13], s[6:7], 2
	s_add_u32 s12, s0, s12
	s_addc_u32 s13, s1, s13
	s_load_dword s9, s[14:15], 0x0
	s_load_dword s16, s[12:13], 0x0
	s_waitcnt lgkmcnt(0)
	s_sub_i32 s9, s9, s16
	s_cmp_eq_u32 s9, 1
	s_cselect_b64 s[12:13], -1, 0
	s_andn2_b64 vcc, exec, s[10:11]
	s_cbranch_vccnz .LBB276_3
.LBB276_2:
	s_mov_b32 s7, 0
	s_mov_b64 s[12:13], -1
.LBB276_3:
	s_andn2_b64 vcc, exec, s[12:13]
	s_cbranch_vccnz .LBB276_20
; %bb.4:
	s_load_dwordx2 s[12:13], s[4:5], 0x28
	s_lshl_b64 s[10:11], s[6:7], 2
	s_waitcnt lgkmcnt(0)
	s_add_u32 s12, s12, s10
	s_addc_u32 s13, s13, s11
	s_load_dword s33, s[12:13], 0x0
	s_lshl_b32 s16, s28, 8
	s_waitcnt lgkmcnt(0)
	s_cmp_ge_i32 s16, s33
	s_cbranch_scc1 .LBB276_20
; %bb.5:
	s_add_i32 s14, s33, 31
	s_load_dwordx2 s[12:13], s[4:5], 0x20
	s_load_dword s9, s[4:5], 0x38
	s_ashr_i32 s15, s14, 31
	v_and_b32_e32 v1, 0xcf, v0
	s_lshr_b32 s15, s15, 27
	v_add_u32_e32 v1, s16, v1
	s_add_i32 s14, s14, s15
	v_ashrrev_i32_e32 v2, 31, v1
	s_ashr_i32 s19, s14, 5
	v_lshrrev_b32_e32 v6, 27, v2
	s_add_i32 s19, s19, -1
	v_add_u32_e32 v2, v1, v6
	s_waitcnt lgkmcnt(0)
	s_mul_i32 s14, s6, s9
	s_mov_b32 s15, 0
	v_ashrrev_i32_e32 v2, 5, v2
	v_mov_b32_e32 v7, s19
	v_cmp_gt_i32_e32 vcc, s33, v1
	s_lshl_b64 s[14:15], s[14:15], 2
	v_cndmask_b32_e32 v2, v7, v2, vcc
	s_add_u32 s17, s12, s14
	v_ashrrev_i32_e32 v3, 31, v2
	s_addc_u32 s18, s13, s15
	v_lshlrev_b64 v[2:3], 2, v[2:3]
	v_mov_b32_e32 v4, s18
	v_add_co_u32_e32 v2, vcc, s17, v2
	v_addc_co_u32_e32 v3, vcc, v4, v3, vcc
	v_or_b32_e32 v4, 16, v1
	v_add_u32_e32 v5, v4, v6
	v_ashrrev_i32_e32 v5, 5, v5
	v_cmp_gt_i32_e32 vcc, s33, v4
	v_cndmask_b32_e32 v4, v7, v5, vcc
	v_ashrrev_i32_e32 v5, 31, v4
	v_lshlrev_b64 v[4:5], 2, v[4:5]
	v_mov_b32_e32 v9, s18
	v_add_co_u32_e32 v8, vcc, s17, v4
	v_or_b32_e32 v4, 32, v1
	v_addc_co_u32_e32 v9, vcc, v9, v5, vcc
	v_add_u32_e32 v5, v4, v6
	v_ashrrev_i32_e32 v5, 5, v5
	v_cmp_gt_i32_e32 vcc, s33, v4
	v_cndmask_b32_e32 v4, v7, v5, vcc
	v_ashrrev_i32_e32 v5, 31, v4
	v_lshlrev_b64 v[4:5], 2, v[4:5]
	v_mov_b32_e32 v11, s18
	v_add_co_u32_e32 v10, vcc, s17, v4
	v_or_b32_e32 v1, 48, v1
	v_addc_co_u32_e32 v11, vcc, v11, v5, vcc
	v_add_u32_e32 v4, v1, v6
	v_ashrrev_i32_e32 v4, 5, v4
	v_cmp_gt_i32_e32 vcc, s33, v1
	v_cndmask_b32_e32 v4, v7, v4, vcc
	v_ashrrev_i32_e32 v5, 31, v4
	v_lshlrev_b64 v[4:5], 2, v[4:5]
	v_mov_b32_e32 v1, s18
	v_add_co_u32_e32 v12, vcc, s17, v4
	v_addc_co_u32_e32 v13, vcc, v1, v5, vcc
	global_load_dword v4, v[2:3], off
	global_load_dword v6, v[8:9], off
	;; [unrolled: 1-line block ×4, first 2 shown]
	s_andn2_b64 vcc, exec, s[2:3]
	s_cbranch_vccnz .LBB276_8
; %bb.6:
	s_add_u32 s0, s0, s10
	s_addc_u32 s1, s1, s11
	s_load_dword s9, s[0:1], 0x0
	s_branch .LBB276_9
.LBB276_7:
	s_mov_b64 s[12:13], 0
	s_branch .LBB276_2
.LBB276_8:
	s_mov_b32 s9, s6
.LBB276_9:
	s_load_dwordx4 s[12:15], s[4:5], 0x8
	s_load_dwordx4 s[44:47], s[4:5], 0x48
	v_lshrrev_b32_e32 v53, 6, v0
	v_bfe_u32 v1, v0, 4, 2
	v_lshl_or_b32 v5, v53, 2, v1
	v_and_b32_e32 v52, 15, v0
	v_cmp_lt_u32_e32 vcc, 8, v5
	v_cmp_lt_u32_e64 s[2:3], 7, v52
	v_lshlrev_b32_e32 v2, 3, v52
	v_cmp_gt_u32_e64 s[0:1], 8, v52
	s_or_b64 s[2:3], s[2:3], vcc
	s_and_saveexec_b64 s[10:11], s[2:3]
	s_xor_b64 s[2:3], exec, s[10:11]
; %bb.10:
	v_mov_b32_e32 v3, 0
                                        ; implicit-def: $vgpr5
; %bb.11:
	s_or_saveexec_b64 s[2:3], s[2:3]
	v_and_b32_e32 v54, 63, v0
	s_mul_i32 s29, s8, 9
	s_xor_b64 exec, exec, s[2:3]
	s_cbranch_execz .LBB276_13
; %bb.12:
	s_load_dwordx2 s[10:11], s[4:5], 0x0
	s_waitcnt lgkmcnt(0)
	s_ashr_i32 s20, s44, 31
	s_mul_hi_u32 s21, s9, s44
	s_mul_i32 s20, s9, s20
	s_add_i32 s21, s21, s20
	s_mul_i32 s20, s9, s44
	s_lshl_b64 s[20:21], s[20:21], 1
	v_add_lshl_u32 v8, v5, s29, 6
	s_add_u32 s9, s10, s20
	v_ashrrev_i32_e32 v9, 31, v8
	s_addc_u32 s10, s11, s21
	v_lshlrev_b64 v[8:9], 1, v[8:9]
	v_mov_b32_e32 v3, s10
	v_add_co_u32_e32 v7, vcc, s9, v8
	v_addc_co_u32_e32 v3, vcc, v3, v9, vcc
	v_lshlrev_b32_e32 v8, 1, v2
	v_add_co_u32_e32 v8, vcc, v7, v8
	v_addc_co_u32_e32 v9, vcc, 0, v3, vcc
	global_load_dwordx4 v[8:11], v[8:9], off
	v_and_b32_e32 v7, 3, v0
	v_lshlrev_b32_e32 v12, 9, v52
	v_lshlrev_b32_e32 v5, 5, v5
	v_lshlrev_b32_e32 v7, 9, v7
	v_and_b32_e32 v12, 0x1800, v12
	v_mov_b32_e32 v3, 0
	v_or3_b32 v5, v12, v7, v5
	s_waitcnt vmcnt(0)
	ds_write_b128 v5, v[8:11]
.LBB276_13:
	s_or_b64 exec, exec, s[2:3]
	s_waitcnt lgkmcnt(0)
	s_mul_i32 s8, s8, s46
	s_mov_b32 s9, 0
	s_lshl_b64 s[8:9], s[8:9], 1
	s_add_u32 s3, s12, s8
	s_waitcnt vmcnt(3)
	v_mad_i64_i32 v[4:5], s[10:11], v4, s45, 0
	s_addc_u32 s12, s13, s9
	v_lshlrev_b64 v[4:5], 1, v[4:5]
	v_mov_b32_e32 v7, s12
	v_add_co_u32_e32 v4, vcc, s3, v4
	v_addc_co_u32_e32 v5, vcc, v7, v5, vcc
	v_lshlrev_b64 v[34:35], 1, v[2:3]
	v_add_co_u32_e32 v2, vcc, v4, v34
	v_lshlrev_b32_e32 v28, 9, v1
	v_addc_co_u32_e32 v3, vcc, v5, v35, vcc
	v_add_co_u32_e32 v20, vcc, v2, v28
	v_addc_co_u32_e32 v21, vcc, 0, v3, vcc
	s_load_dword s42, s[4:5], 0x98
	s_load_dword s2, s[4:5], 0x1c
	s_waitcnt lgkmcnt(0)
	s_barrier
	global_load_dwordx4 v[2:5], v[20:21], off
	s_waitcnt vmcnt(3)
	v_mad_i64_i32 v[6:7], s[10:11], v6, s45, 0
	v_lshlrev_b64 v[6:7], 1, v[6:7]
	v_mov_b32_e32 v8, s12
	v_add_co_u32_e32 v6, vcc, s3, v6
	v_addc_co_u32_e32 v7, vcc, v8, v7, vcc
	v_mov_b32_e32 v8, 0x100
	v_lshl_or_b32 v29, v52, 4, v8
	v_add_co_u32_e32 v6, vcc, v6, v29
	v_addc_co_u32_e32 v7, vcc, 0, v7, vcc
	v_add_co_u32_e32 v22, vcc, v6, v28
	v_addc_co_u32_e32 v23, vcc, 0, v7, vcc
	global_load_dwordx4 v[10:13], v[22:23], off
	global_load_dwordx4 v[14:17], v[20:21], off offset:2048
	global_load_dwordx4 v[6:9], v[22:23], off offset:2048
	v_add_u32_e32 v22, -9, v52
	v_cmp_gt_u32_e32 vcc, 9, v52
	s_waitcnt vmcnt(5)
	v_mad_i64_i32 v[20:21], s[10:11], v19, s45, 0
	s_waitcnt vmcnt(4)
	v_mad_i64_i32 v[18:19], s[10:11], v18, s45, 0
	v_cndmask_b32_e32 v22, v22, v52, vcc
	v_lshlrev_b64 v[26:27], 1, v[18:19]
	v_lshl_add_u32 v18, v22, 5, v28
	v_lshlrev_b64 v[32:33], 1, v[20:21]
	ds_read_b128 v[22:25], v18
	ds_read_b128 v[18:21], v18 offset:2048
	v_mov_b32_e32 v36, s12
	v_add_co_u32_e32 v32, vcc, s3, v32
	v_addc_co_u32_e32 v33, vcc, v36, v33, vcc
	v_mov_b32_e32 v50, s12
	v_and_or_b32 v31, v0, 48, s16
	s_ashr_i32 s10, s16, 31
	v_or_b32_e32 v49, 64, v31
	s_lshr_b32 s10, s10, 27
	v_mov_b32_e32 v30, s19
	v_mov_b32_e32 v48, s18
	s_mov_b32 s43, 0xff7fffff
	s_waitcnt vmcnt(3) lgkmcnt(1)
	v_mfma_f32_16x16x16bf16_1k v[36:39], v[2:3], v[22:23], 0
	v_add_co_u32_e32 v2, vcc, v32, v34
	v_addc_co_u32_e32 v3, vcc, v33, v35, vcc
	v_add_co_u32_e32 v32, vcc, v2, v28
	v_addc_co_u32_e32 v33, vcc, 0, v3, vcc
	global_load_dwordx4 v[44:47], v[32:33], off
	v_mfma_f32_16x16x16bf16_1k v[2:5], v[4:5], v[24:25], v[36:39]
	s_waitcnt vmcnt(3)
	v_mfma_f32_16x16x16bf16_1k v[40:43], v[10:11], v[22:23], 0
	v_add_co_u32_e32 v10, vcc, s3, v26
	v_addc_co_u32_e32 v11, vcc, v50, v27, vcc
	v_add_co_u32_e32 v10, vcc, v10, v29
	v_add_u32_e32 v26, s10, v31
	v_add_u32_e32 v27, s10, v49
	v_addc_co_u32_e32 v11, vcc, 0, v11, vcc
	v_ashrrev_i32_e32 v36, 5, v26
	v_ashrrev_i32_e32 v50, 5, v27
	v_add_co_u32_e32 v10, vcc, v10, v28
	global_load_dwordx4 v[26:29], v[32:33], off offset:2048
	s_waitcnt vmcnt(3) lgkmcnt(0)
	v_mfma_f32_16x16x16bf16_1k v[2:5], v[14:15], v[18:19], v[2:5]
	v_addc_co_u32_e32 v11, vcc, 0, v11, vcc
	v_cmp_gt_i32_e32 vcc, s33, v31
	v_cndmask_b32_e32 v14, v30, v36, vcc
	v_ashrrev_i32_e32 v15, 31, v14
	global_load_dwordx4 v[36:39], v[10:11], off
	global_load_dwordx4 v[56:59], v[10:11], off offset:2048
	v_lshlrev_b64 v[10:11], 2, v[14:15]
	v_mfma_f32_16x16x16bf16_1k v[60:63], v[16:17], v[20:21], v[2:5]
	v_mov_b32_e32 v15, s18
	s_add_u32 s3, s14, s8
	s_addc_u32 s8, s15, s9
	s_nop 3
	v_add_co_u32_e32 v2, vcc, s17, v10
	v_addc_co_u32_e32 v3, vcc, v48, v11, vcc
	global_load_dword v14, v[2:3], off
	v_cmp_gt_i32_e32 vcc, s33, v49
	v_cndmask_b32_e32 v2, v30, v50, vcc
	v_ashrrev_i32_e32 v3, 31, v2
	v_lshlrev_b64 v[10:11], 2, v[2:3]
	v_mfma_f32_16x16x16bf16_1k v[2:5], v[12:13], v[24:25], v[40:43]
	v_add_co_u32_e32 v10, vcc, s17, v10
	v_addc_co_u32_e32 v11, vcc, v15, v11, vcc
	global_load_dword v32, v[10:11], off
	v_or_b32_e32 v10, 0x80, v31
	v_add_u32_e32 v11, s10, v10
	v_ashrrev_i32_e32 v11, 5, v11
	v_cmp_gt_i32_e32 vcc, s33, v10
	s_waitcnt vmcnt(6)
	v_mfma_f32_16x16x16bf16_1k v[2:5], v[6:7], v[18:19], v[2:5]
	v_cndmask_b32_e32 v10, v30, v11, vcc
	v_ashrrev_i32_e32 v11, 31, v10
	v_lshlrev_b64 v[6:7], 2, v[10:11]
	v_mov_b32_e32 v10, s18
	v_add_co_u32_e32 v6, vcc, s17, v6
	v_addc_co_u32_e32 v7, vcc, v10, v7, vcc
	global_load_dword v33, v[6:7], off
	v_mfma_f32_16x16x16bf16_1k v[40:43], v[8:9], v[20:21], v[2:5]
	v_or_b32_e32 v6, 0xc0, v31
	v_add_u32_e32 v7, s10, v6
	v_ashrrev_i32_e32 v7, 5, v7
	v_cmp_gt_i32_e32 vcc, s33, v6
	v_cndmask_b32_e32 v6, v30, v7, vcc
	v_ashrrev_i32_e32 v7, 31, v6
	v_lshlrev_b64 v[6:7], 2, v[6:7]
	s_waitcnt vmcnt(6)
	v_mfma_f32_16x16x16bf16_1k v[2:5], v[44:45], v[22:23], 0
	v_mov_b32_e32 v8, s18
	v_add_co_u32_e32 v6, vcc, s17, v6
	v_addc_co_u32_e32 v7, vcc, v8, v7, vcc
	global_load_dword v55, v[6:7], off
	v_and_b32_e32 v6, 16, v0
	v_mfma_f32_16x16x16bf16_1k v[2:5], v[46:47], v[24:25], v[2:5]
	v_lshlrev_b32_e32 v6, 1, v6
	v_mov_b32_e32 v7, s8
	v_add_co_u32_e32 v6, vcc, s3, v6
	v_lshlrev_b32_e32 v8, 6, v52
	v_addc_co_u32_e32 v7, vcc, 0, v7, vcc
	s_waitcnt vmcnt(6)
	v_mfma_f32_16x16x16bf16_1k v[2:5], v[26:27], v[18:19], v[2:5]
	v_lshl_or_b32 v8, v53, 10, v8
	v_add_co_u32_e32 v64, vcc, v6, v8
	v_addc_co_u32_e32 v65, vcc, 0, v7, vcc
	v_pk_mul_f32 v[48:49], s[2:3], v[62:63] op_sel_hi:[0,1]
	v_pk_mul_f32 v[40:41], s[2:3], v[40:41] op_sel_hi:[0,1]
	v_mfma_f32_16x16x16bf16_1k v[26:29], v[28:29], v[20:21], v[2:5]
	v_pk_mul_f32 v[50:51], s[2:3], v[42:43] op_sel_hi:[0,1]
	s_waitcnt vmcnt(1)
	v_mad_i64_i32 v[30:31], s[8:9], v33, s45, 0
	s_nop 3
	v_mad_i64_i32 v[2:3], s[8:9], v14, s45, 0
	v_lshlrev_b64 v[6:7], 1, v[2:3]
	v_mfma_f32_16x16x16bf16_1k v[2:5], v[36:37], v[22:23], 0
	s_nop 0
	v_pk_mul_f32 v[42:43], s[2:3], v[26:27] op_sel_hi:[0,1]
	v_add_co_u32_e32 v6, vcc, v64, v6
	v_addc_co_u32_e32 v7, vcc, v65, v7, vcc
	global_load_dwordx4 v[14:17], v[6:7], off
	global_load_dwordx4 v[10:13], v[6:7], off offset:16
	v_mad_i64_i32 v[6:7], s[8:9], v32, s45, 0
	v_mfma_f32_16x16x16bf16_1k v[22:25], v[38:39], v[24:25], v[2:5]
	v_pk_mul_f32 v[46:47], s[2:3], v[28:29] op_sel_hi:[0,1]
	v_lshlrev_b64 v[6:7], 1, v[6:7]
	v_lshlrev_b64 v[30:31], 1, v[30:31]
	v_mfma_f32_16x16x16bf16_1k v[22:25], v[56:57], v[18:19], v[22:25]
	v_pk_mul_f32 v[18:19], s[2:3], v[60:61] op_sel_hi:[0,1]
	s_nop 1
	v_add_co_u32_e32 v2, vcc, v64, v6
	v_addc_co_u32_e32 v3, vcc, v65, v7, vcc
	v_add_co_u32_e32 v38, vcc, v64, v30
	v_mfma_f32_16x16x16bf16_1k v[20:23], v[58:59], v[20:21], v[22:25]
	v_addc_co_u32_e32 v39, vcc, v65, v31, vcc
	global_load_dwordx4 v[6:9], v[2:3], off
	s_nop 0
	global_load_dwordx4 v[2:5], v[2:3], off offset:16
	s_nop 6
	v_pk_mul_f32 v[44:45], s[2:3], v[20:21] op_sel_hi:[0,1]
	v_and_b32_e32 v20, 0xc0, v0
	v_add_u32_e32 v20, s16, v20
	v_lshl_or_b32 v20, v1, 2, v20
	v_pk_mul_f32 v[36:37], s[2:3], v[22:23] op_sel_hi:[0,1]
	v_or_b32_e32 v23, 1, v20
	v_mov_b32_e32 v21, 0xff7fffff
	v_cmp_gt_i32_e64 s[30:31], s33, v20
	v_cmp_gt_i32_e64 s[34:35], s33, v23
	v_cndmask_b32_e64 v22, v21, v18, s[30:31]
	v_cndmask_b32_e64 v23, v21, v19, s[34:35]
	v_max3_f32 v22, v22, s43, v23
	v_or_b32_e32 v23, 2, v20
	v_or_b32_e32 v24, 3, v20
	v_cmp_gt_i32_e64 s[36:37], s33, v23
	v_cmp_gt_i32_e64 s[38:39], s33, v24
	v_cndmask_b32_e64 v23, v21, v48, s[36:37]
	v_cndmask_b32_e64 v24, v21, v49, s[38:39]
	v_max3_f32 v22, v22, v23, v24
	v_or_b32_e32 v23, 16, v20
	v_or_b32_e32 v24, 17, v20
	;; [unrolled: 7-line block ×7, first 2 shown]
	v_cmp_gt_i32_e32 vcc, s33, v23
	v_cmp_gt_i32_e64 s[2:3], s33, v20
	v_cndmask_b32_e32 v23, v21, v36, vcc
	v_cndmask_b32_e64 v20, v21, v37, s[2:3]
	v_max3_f32 v26, v22, v23, v20
	v_mbcnt_lo_u32_b32 v20, -1, 0
	v_mbcnt_hi_u32_b32 v27, -1, v20
	v_and_b32_e32 v20, 64, v27
	v_add_u32_e32 v28, 64, v20
	v_xor_b32_e32 v20, 32, v27
	v_cmp_lt_i32_e64 s[40:41], v20, v28
	v_cndmask_b32_e64 v20, v27, v20, s[40:41]
	v_lshlrev_b32_e32 v56, 2, v20
	ds_bpermute_b32 v29, v56, v26
	s_waitcnt vmcnt(4)
	v_mad_i64_i32 v[20:21], s[40:41], v55, s45, 0
	v_lshlrev_b64 v[20:21], 1, v[20:21]
	global_load_dwordx4 v[30:33], v[38:39], off
	global_load_dwordx4 v[22:25], v[38:39], off offset:16
	s_waitcnt lgkmcnt(0)
	v_max_f32_e32 v29, v29, v29
	v_max_f32_e32 v26, v26, v29
	v_xor_b32_e32 v29, 16, v27
	v_cmp_lt_i32_e64 s[40:41], v29, v28
	v_cndmask_b32_e64 v27, v27, v29, s[40:41]
	v_lshlrev_b32_e32 v58, 2, v27
	ds_bpermute_b32 v27, v58, v26
	v_add_co_u32_e64 v20, s[40:41], v64, v20
	v_addc_co_u32_e64 v21, s[40:41], v65, v21, s[40:41]
	s_waitcnt lgkmcnt(0)
	v_max_f32_e32 v27, v27, v27
	v_max_f32_e32 v55, v26, v27
	v_sub_f32_e32 v18, v18, v55
	v_mul_f32_e32 v18, 0x3fb8aa3b, v18
	v_exp_f32_e32 v38, v18
	v_sub_f32_e32 v18, v19, v55
	v_mul_f32_e32 v18, 0x3fb8aa3b, v18
	v_exp_f32_e32 v39, v18
	global_load_dwordx4 v[26:29], v[20:21], off
	s_nop 0
	global_load_dwordx4 v[18:21], v[20:21], off offset:16
	v_sub_f32_e32 v48, v48, v55
	v_mul_f32_e32 v48, 0x3fb8aa3b, v48
	v_sub_f32_e32 v49, v49, v55
	v_exp_f32_e32 v48, v48
	v_mul_f32_e32 v49, 0x3fb8aa3b, v49
	v_sub_f32_e32 v40, v40, v55
	v_exp_f32_e32 v49, v49
	v_mul_f32_e32 v40, 0x3fb8aa3b, v40
	v_sub_f32_e32 v41, v41, v55
	v_cndmask_b32_e64 v38, 0, v38, s[30:31]
	v_exp_f32_e32 v40, v40
	v_mul_f32_e32 v41, 0x3fb8aa3b, v41
	v_sub_f32_e32 v50, v50, v55
	v_add_f32_e32 v57, 0, v38
	v_cndmask_b32_e64 v39, 0, v39, s[34:35]
	v_exp_f32_e32 v41, v41
	v_mul_f32_e32 v50, 0x3fb8aa3b, v50
	v_sub_f32_e32 v51, v51, v55
	v_add_f32_e32 v57, v57, v39
	;; [unrolled: 5-line block ×10, first 2 shown]
	v_cndmask_b32_e64 v46, 0, v46, s[12:13]
	v_exp_f32_e32 v36, v36
	v_mul_f32_e32 v37, 0x3fb8aa3b, v37
	v_add_f32_e32 v57, v57, v46
	v_cndmask_b32_e64 v47, 0, v47, s[14:15]
	v_exp_f32_e32 v37, v37
	v_add_f32_e32 v57, v57, v47
	v_cndmask_b32_e64 v44, 0, v44, s[8:9]
	v_add_f32_e32 v57, v57, v44
	v_cndmask_b32_e64 v45, 0, v45, s[10:11]
	v_add_f32_e32 v57, v57, v45
	v_cndmask_b32_e32 v36, 0, v36, vcc
	v_add_f32_e32 v57, v57, v36
	v_cndmask_b32_e64 v37, 0, v37, s[2:3]
	v_add_f32_e32 v57, v57, v37
	ds_bpermute_b32 v56, v56, v57
	v_cmp_gt_u32_e64 s[2:3], 16, v54
	s_waitcnt lgkmcnt(0)
	s_barrier
	v_add_f32_e32 v57, v57, v56
	ds_bpermute_b32 v58, v58, v57
	v_lshlrev_b32_e32 v56, 2, v52
	s_and_saveexec_b64 s[8:9], s[2:3]
	s_cbranch_execz .LBB276_15
; %bb.14:
	s_waitcnt lgkmcnt(0)
	v_add_f32_e32 v54, v57, v58
	v_lshl_or_b32 v57, v53, 6, v56
	ds_write2st64_b32 v57, v55, v54 offset1:1
.LBB276_15:
	s_or_b64 exec, exec, s[8:9]
	s_load_dword s10, s[4:5], 0x94
	s_waitcnt lgkmcnt(0)
	s_barrier
	ds_read2_b32 v[58:59], v56 offset1:16
	ds_read2_b32 v[60:61], v56 offset0:32 offset1:48
	ds_read2_b32 v[62:63], v56 offset0:64 offset1:80
	;; [unrolled: 1-line block ×3, first 2 shown]
	s_movk_i32 s12, 0x7fff
	s_waitcnt lgkmcnt(3)
	v_max3_f32 v54, v58, s43, v59
	s_waitcnt lgkmcnt(2)
	v_max3_f32 v54, v54, v60, v61
	v_sub_f32_e32 v55, v58, v54
	v_mul_f32_e32 v55, 0x3fb8aa3b, v55
	v_exp_f32_e32 v58, v55
	v_sub_f32_e32 v55, v59, v54
	v_mul_f32_e32 v55, 0x3fb8aa3b, v55
	v_exp_f32_e32 v59, v55
	;; [unrolled: 3-line block ×4, first 2 shown]
	s_waitcnt lgkmcnt(1)
	v_fma_f32 v55, v58, v62, 0
	v_fmac_f32_e32 v55, v59, v63
	s_waitcnt lgkmcnt(0)
	v_fmac_f32_e32 v55, v60, v56
	v_fmac_f32_e32 v55, v61, v57
	v_add_f32_e32 v56, 0x358637bd, v55
	v_div_scale_f32 v57, s[8:9], v56, v56, 1.0
	v_rcp_f32_e32 v62, v57
	s_mov_b32 s13, 0x7060302
	s_barrier
	v_fma_f32 v63, -v57, v62, 1.0
	v_fmac_f32_e32 v62, v63, v62
	v_div_scale_f32 v63, vcc, 1.0, v56, 1.0
	v_mul_f32_e32 v64, v63, v62
	v_fma_f32 v65, -v57, v64, v63
	v_fmac_f32_e32 v64, v65, v62
	v_fma_f32 v57, -v57, v64, v63
	v_div_fmas_f32 v57, v57, v62, v64
	v_cmp_eq_u32_e32 vcc, 1, v53
	v_div_fixup_f32 v56, v57, v56, 1.0
	v_cndmask_b32_e32 v57, v58, v59, vcc
	v_cmp_eq_u32_e32 vcc, 2, v53
	v_cndmask_b32_e32 v57, v57, v60, vcc
	v_cmp_eq_u32_e32 vcc, 3, v53
	v_cndmask_b32_e32 v57, v57, v61, vcc
	v_mul_f32_e32 v56, v57, v56
	v_pk_mul_f32 v[38:39], v[56:57], v[38:39] op_sel_hi:[0,1]
	v_pk_mul_f32 v[48:49], v[56:57], v[48:49] op_sel_hi:[0,1]
	v_bfe_u32 v57, v39, 16, 1
	v_bfe_u32 v58, v38, 16, 1
	v_add3_u32 v38, v38, v58, s12
	v_add3_u32 v39, v39, v57, s12
	v_perm_b32 v58, v39, v38, s13
	v_bfe_u32 v38, v49, 16, 1
	v_bfe_u32 v39, v48, 16, 1
	v_add3_u32 v39, v48, v39, s12
	v_add3_u32 v38, v49, v38, s12
	v_perm_b32 v59, v38, v39, s13
	v_lshlrev_b32_e32 v38, 3, v1
	v_lshlrev_b32_e32 v39, 5, v52
	;; [unrolled: 1-line block ×3, first 2 shown]
	v_pk_mul_f32 v[40:41], v[56:57], v[40:41] op_sel_hi:[0,1]
	v_or3_b32 v38, v48, v39, v38
	v_pk_mul_f32 v[48:49], v[56:57], v[50:51] op_sel_hi:[0,1]
	v_bfe_u32 v50, v41, 16, 1
	v_bfe_u32 v51, v40, 16, 1
	v_add3_u32 v40, v40, v51, s12
	v_add3_u32 v41, v41, v50, s12
	v_perm_b32 v40, v41, v40, s13
	v_bfe_u32 v41, v49, 16, 1
	v_bfe_u32 v50, v48, 16, 1
	v_add3_u32 v48, v48, v50, s12
	v_add3_u32 v41, v49, v41, s12
	v_perm_b32 v41, v41, v48, s13
	v_pk_mul_f32 v[42:43], v[56:57], v[42:43] op_sel_hi:[0,1]
	ds_write2st64_b64 v38, v[58:59], v[40:41] offset1:1
	v_pk_mul_f32 v[40:41], v[56:57], v[46:47] op_sel_hi:[0,1]
	v_bfe_u32 v46, v43, 16, 1
	v_bfe_u32 v47, v42, 16, 1
	v_add3_u32 v42, v42, v47, s12
	v_add3_u32 v43, v43, v46, s12
	v_perm_b32 v42, v43, v42, s13
	v_bfe_u32 v43, v41, 16, 1
	v_bfe_u32 v46, v40, 16, 1
	v_add3_u32 v40, v40, v46, s12
	v_add3_u32 v41, v41, v43, s12
	v_perm_b32 v43, v41, v40, s13
	v_pk_mul_f32 v[40:41], v[56:57], v[44:45] op_sel_hi:[0,1]
	v_bfe_u32 v44, v41, 16, 1
	v_bfe_u32 v45, v40, 16, 1
	v_pk_mul_f32 v[36:37], v[56:57], v[36:37] op_sel_hi:[0,1]
	v_add3_u32 v40, v40, v45, s12
	v_add3_u32 v41, v41, v44, s12
	v_perm_b32 v40, v41, v40, s13
	v_bfe_u32 v41, v37, 16, 1
	v_bfe_u32 v44, v36, 16, 1
	v_add3_u32 v36, v36, v44, s12
	v_add3_u32 v37, v37, v41, s12
	s_mul_i32 s11, s42, 9
	v_perm_b32 v41, v37, v36, s13
	v_cmp_gt_u32_e32 vcc, 9, v0
	ds_write2st64_b64 v38, v[42:43], v[40:41] offset0:2 offset1:3
	s_and_saveexec_b64 s[8:9], vcc
	s_cbranch_execz .LBB276_17
; %bb.16:
	v_add_co_u32_e32 v40, vcc, s29, v52
	v_addc_co_u32_e64 v41, s[14:15], 0, 0, vcc
	v_mov_b32_e32 v36, s11
	v_mov_b32_e32 v37, 0
	v_mad_u64_u32 v[40:41], s[14:15], s6, v36, v[40:41]
	v_mov_b32_e32 v36, s28
	s_load_dwordx4 s[16:19], s[4:5], 0x58
	s_mul_i32 s7, s7, s11
	v_mad_u64_u32 v[36:37], s[14:15], v40, s10, v[36:37]
	v_add_u32_e32 v41, s7, v41
	v_mov_b32_e32 v40, v37
	v_mad_u64_u32 v[40:41], s[14:15], v41, s10, v[40:41]
	v_mov_b32_e32 v37, v40
	v_lshlrev_b64 v[36:37], 2, v[36:37]
	s_waitcnt lgkmcnt(0)
	v_mov_b32_e32 v41, s19
	v_add_co_u32_e32 v40, vcc, s18, v36
	v_addc_co_u32_e32 v41, vcc, v41, v37, vcc
	global_store_dword v[40:41], v54, off
	v_mov_b32_e32 v40, s17
	v_add_co_u32_e32 v36, vcc, s16, v36
	v_addc_co_u32_e32 v37, vcc, v40, v37, vcc
	global_store_dword v[36:37], v55, off
.LBB276_17:
	s_or_b64 exec, exec, s[8:9]
	v_lshl_or_b32 v36, v1, 9, v39
	s_waitcnt lgkmcnt(0)
	s_barrier
	ds_read_b128 v[40:43], v36
	ds_read_b128 v[44:47], v36 offset:16
	s_waitcnt vmcnt(7) lgkmcnt(1)
	v_mfma_f32_16x16x16bf16_1k v[48:51], v[14:15], v[40:41], 0
	v_cmp_gt_u32_e32 vcc, 64, v0
	s_mov_b32 s7, 0
	s_and_b64 s[0:1], vcc, s[0:1]
	v_mfma_f32_16x16x16bf16_1k v[14:17], v[16:17], v[42:43], v[48:51]
	s_waitcnt vmcnt(6) lgkmcnt(0)
	v_mfma_f32_16x16x16bf16_1k v[14:17], v[10:11], v[44:45], v[14:17]
	v_mfma_f32_16x16x16bf16_1k v[10:13], v[12:13], v[46:47], v[14:17]
	s_nop 7
	s_nop 1
	ds_read_b128 v[14:17], v36 offset:2048
	ds_read_b128 v[40:43], v36 offset:2064
	s_waitcnt vmcnt(5) lgkmcnt(1)
	v_mfma_f32_16x16x16bf16_1k v[10:13], v[6:7], v[14:15], v[10:13]
	v_mfma_f32_16x16x16bf16_1k v[6:9], v[8:9], v[16:17], v[10:13]
	s_waitcnt vmcnt(4) lgkmcnt(0)
	v_mfma_f32_16x16x16bf16_1k v[6:9], v[2:3], v[40:41], v[6:9]
	v_mfma_f32_16x16x16bf16_1k v[2:5], v[4:5], v[42:43], v[6:9]
	s_nop 7
	s_nop 1
	ds_read_b128 v[6:9], v36 offset:4096
	ds_read_b128 v[10:13], v36 offset:4112
	s_waitcnt vmcnt(3) lgkmcnt(1)
	v_mfma_f32_16x16x16bf16_1k v[2:5], v[30:31], v[6:7], v[2:5]
	v_mfma_f32_16x16x16bf16_1k v[2:5], v[32:33], v[8:9], v[2:5]
	s_waitcnt vmcnt(2) lgkmcnt(0)
	v_mfma_f32_16x16x16bf16_1k v[2:5], v[22:23], v[10:11], v[2:5]
	v_mfma_f32_16x16x16bf16_1k v[2:5], v[24:25], v[12:13], v[2:5]
	ds_read_b128 v[6:9], v36 offset:6144
	ds_read_b128 v[10:13], v36 offset:6160
	s_waitcnt lgkmcnt(0)
	s_barrier
	s_waitcnt vmcnt(1)
	v_mfma_f32_16x16x16bf16_1k v[2:5], v[26:27], v[6:7], v[2:5]
	v_mfma_f32_16x16x16bf16_1k v[2:5], v[28:29], v[8:9], v[2:5]
	s_waitcnt vmcnt(0)
	v_mfma_f32_16x16x16bf16_1k v[2:5], v[18:19], v[10:11], v[2:5]
	v_mfma_f32_16x16x16bf16_1k v[2:5], v[20:21], v[12:13], v[2:5]
	s_nop 7
	s_nop 2
	v_bfe_u32 v6, v3, 16, 1
	v_bfe_u32 v7, v2, 16, 1
	;; [unrolled: 1-line block ×4, first 2 shown]
	v_add3_u32 v2, v2, v7, s12
	v_add3_u32 v3, v3, v6, s12
	;; [unrolled: 1-line block ×4, first 2 shown]
	v_perm_b32 v2, v3, v2, s13
	v_perm_b32 v3, v5, v4, s13
	ds_write_b64 v38, v[2:3]
	s_waitcnt lgkmcnt(0)
	s_barrier
	s_and_saveexec_b64 s[8:9], s[0:1]
	s_cbranch_execz .LBB276_20
; %bb.18:
	s_load_dwordx2 s[4:5], s[4:5], 0x68
	s_lshl_b32 s0, s10, 6
	s_mul_i32 s1, s11, s6
	s_mul_hi_u32 s9, s1, s0
	s_mul_i32 s8, s1, s0
	s_lshl_b64 s[8:9], s[8:9], 1
	s_waitcnt lgkmcnt(0)
	s_add_u32 s1, s4, s8
	v_lshlrev_b32_e32 v2, 10, v0
	v_lshlrev_b32_e32 v0, 4, v0
	s_addc_u32 s8, s5, s9
	s_lshl_b32 s6, s28, 6
	v_and_b32_e32 v2, 0x1800, v2
	v_lshlrev_b32_e32 v3, 5, v1
	v_and_b32_e32 v0, 16, v0
	s_lshl_b64 s[4:5], s[6:7], 1
	v_or3_b32 v0, v2, v3, v0
	s_add_u32 s1, s1, s4
	s_addc_u32 s4, s8, s5
	ds_read_b128 v[4:7], v0 offset:128
	ds_read_b128 v[8:11], v0
	v_add_u32_e32 v14, s29, v1
	v_mov_b32_e32 v3, s4
	v_add_co_u32_e32 v2, vcc, s1, v34
	v_mad_u64_u32 v[12:13], s[4:5], v14, s0, 0
	v_addc_co_u32_e32 v3, vcc, v3, v35, vcc
	v_lshlrev_b64 v[12:13], 1, v[12:13]
	v_add_co_u32_e32 v12, vcc, v2, v12
	v_addc_co_u32_e32 v13, vcc, v3, v13, vcc
	s_waitcnt lgkmcnt(0)
	global_store_dwordx4 v[12:13], v[8:11], off
	s_nop 0
	v_add_u32_e32 v8, 4, v14
	v_mad_u64_u32 v[8:9], s[4:5], v8, s0, 0
	v_lshlrev_b64 v[8:9], 1, v[8:9]
	v_add_co_u32_e32 v8, vcc, v2, v8
	v_addc_co_u32_e32 v9, vcc, v3, v9, vcc
	global_store_dwordx4 v[8:9], v[4:7], off
	s_and_b64 exec, exec, s[2:3]
	s_cbranch_execz .LBB276_20
; %bb.19:
	ds_read_b128 v[4:7], v0 offset:256
	v_add3_u32 v0, s29, v1, 8
	v_mad_u64_u32 v[0:1], s[0:1], v0, s0, 0
	v_lshlrev_b64 v[0:1], 1, v[0:1]
	v_add_co_u32_e32 v0, vcc, v2, v0
	v_addc_co_u32_e32 v1, vcc, v3, v1, vcc
	s_waitcnt lgkmcnt(0)
	global_store_dwordx4 v[0:1], v[4:7], off
.LBB276_20:
	s_endpgm
	.section	.rodata,"a",@progbits
	.p2align	6, 0x0
	.amdhsa_kernel _Z39paged_attention_ll4mi_QKV_mfma16_kernelI14__hip_bfloat16S0_LN4vllm18Fp8KVCacheDataTypeE0ES0_Li32ELi64ELi256ELb0ELi9EL8MFMAType0EEvPKT_PKT0_S9_ifPKiSB_SB_iPKfiiiPfSE_PS4_PT2_iSD_SD_
		.amdhsa_group_segment_fixed_size 8192
		.amdhsa_private_segment_fixed_size 0
		.amdhsa_kernarg_size 400
		.amdhsa_user_sgpr_count 6
		.amdhsa_user_sgpr_private_segment_buffer 1
		.amdhsa_user_sgpr_dispatch_ptr 0
		.amdhsa_user_sgpr_queue_ptr 0
		.amdhsa_user_sgpr_kernarg_segment_ptr 1
		.amdhsa_user_sgpr_dispatch_id 0
		.amdhsa_user_sgpr_flat_scratch_init 0
		.amdhsa_user_sgpr_kernarg_preload_length 0
		.amdhsa_user_sgpr_kernarg_preload_offset 0
		.amdhsa_user_sgpr_private_segment_size 0
		.amdhsa_uses_dynamic_stack 0
		.amdhsa_system_sgpr_private_segment_wavefront_offset 0
		.amdhsa_system_sgpr_workgroup_id_x 1
		.amdhsa_system_sgpr_workgroup_id_y 1
		.amdhsa_system_sgpr_workgroup_id_z 1
		.amdhsa_system_sgpr_workgroup_info 0
		.amdhsa_system_vgpr_workitem_id 0
		.amdhsa_next_free_vgpr 66
		.amdhsa_next_free_sgpr 48
		.amdhsa_accum_offset 68
		.amdhsa_reserve_vcc 1
		.amdhsa_reserve_flat_scratch 0
		.amdhsa_float_round_mode_32 0
		.amdhsa_float_round_mode_16_64 0
		.amdhsa_float_denorm_mode_32 3
		.amdhsa_float_denorm_mode_16_64 3
		.amdhsa_dx10_clamp 1
		.amdhsa_ieee_mode 1
		.amdhsa_fp16_overflow 0
		.amdhsa_tg_split 0
		.amdhsa_exception_fp_ieee_invalid_op 0
		.amdhsa_exception_fp_denorm_src 0
		.amdhsa_exception_fp_ieee_div_zero 0
		.amdhsa_exception_fp_ieee_overflow 0
		.amdhsa_exception_fp_ieee_underflow 0
		.amdhsa_exception_fp_ieee_inexact 0
		.amdhsa_exception_int_div_zero 0
	.end_amdhsa_kernel
	.section	.text._Z39paged_attention_ll4mi_QKV_mfma16_kernelI14__hip_bfloat16S0_LN4vllm18Fp8KVCacheDataTypeE0ES0_Li32ELi64ELi256ELb0ELi9EL8MFMAType0EEvPKT_PKT0_S9_ifPKiSB_SB_iPKfiiiPfSE_PS4_PT2_iSD_SD_,"axG",@progbits,_Z39paged_attention_ll4mi_QKV_mfma16_kernelI14__hip_bfloat16S0_LN4vllm18Fp8KVCacheDataTypeE0ES0_Li32ELi64ELi256ELb0ELi9EL8MFMAType0EEvPKT_PKT0_S9_ifPKiSB_SB_iPKfiiiPfSE_PS4_PT2_iSD_SD_,comdat
.Lfunc_end276:
	.size	_Z39paged_attention_ll4mi_QKV_mfma16_kernelI14__hip_bfloat16S0_LN4vllm18Fp8KVCacheDataTypeE0ES0_Li32ELi64ELi256ELb0ELi9EL8MFMAType0EEvPKT_PKT0_S9_ifPKiSB_SB_iPKfiiiPfSE_PS4_PT2_iSD_SD_, .Lfunc_end276-_Z39paged_attention_ll4mi_QKV_mfma16_kernelI14__hip_bfloat16S0_LN4vllm18Fp8KVCacheDataTypeE0ES0_Li32ELi64ELi256ELb0ELi9EL8MFMAType0EEvPKT_PKT0_S9_ifPKiSB_SB_iPKfiiiPfSE_PS4_PT2_iSD_SD_
                                        ; -- End function
	.section	.AMDGPU.csdata,"",@progbits
; Kernel info:
; codeLenInByte = 4364
; NumSgprs: 52
; NumVgprs: 66
; NumAgprs: 0
; TotalNumVgprs: 66
; ScratchSize: 0
; MemoryBound: 0
; FloatMode: 240
; IeeeMode: 1
; LDSByteSize: 8192 bytes/workgroup (compile time only)
; SGPRBlocks: 6
; VGPRBlocks: 8
; NumSGPRsForWavesPerEU: 52
; NumVGPRsForWavesPerEU: 66
; AccumOffset: 68
; Occupancy: 7
; WaveLimiterHint : 1
; COMPUTE_PGM_RSRC2:SCRATCH_EN: 0
; COMPUTE_PGM_RSRC2:USER_SGPR: 6
; COMPUTE_PGM_RSRC2:TRAP_HANDLER: 0
; COMPUTE_PGM_RSRC2:TGID_X_EN: 1
; COMPUTE_PGM_RSRC2:TGID_Y_EN: 1
; COMPUTE_PGM_RSRC2:TGID_Z_EN: 1
; COMPUTE_PGM_RSRC2:TIDIG_COMP_CNT: 0
; COMPUTE_PGM_RSRC3_GFX90A:ACCUM_OFFSET: 16
; COMPUTE_PGM_RSRC3_GFX90A:TG_SPLIT: 0
	.section	.text._Z39paged_attention_ll4mi_QKV_mfma16_kernelI14__hip_bfloat16S0_LN4vllm18Fp8KVCacheDataTypeE0ES0_Li32ELi64ELi256ELb0ELi10EL8MFMAType0EEvPKT_PKT0_S9_ifPKiSB_SB_iPKfiiiPfSE_PS4_PT2_iSD_SD_,"axG",@progbits,_Z39paged_attention_ll4mi_QKV_mfma16_kernelI14__hip_bfloat16S0_LN4vllm18Fp8KVCacheDataTypeE0ES0_Li32ELi64ELi256ELb0ELi10EL8MFMAType0EEvPKT_PKT0_S9_ifPKiSB_SB_iPKfiiiPfSE_PS4_PT2_iSD_SD_,comdat
	.protected	_Z39paged_attention_ll4mi_QKV_mfma16_kernelI14__hip_bfloat16S0_LN4vllm18Fp8KVCacheDataTypeE0ES0_Li32ELi64ELi256ELb0ELi10EL8MFMAType0EEvPKT_PKT0_S9_ifPKiSB_SB_iPKfiiiPfSE_PS4_PT2_iSD_SD_ ; -- Begin function _Z39paged_attention_ll4mi_QKV_mfma16_kernelI14__hip_bfloat16S0_LN4vllm18Fp8KVCacheDataTypeE0ES0_Li32ELi64ELi256ELb0ELi10EL8MFMAType0EEvPKT_PKT0_S9_ifPKiSB_SB_iPKfiiiPfSE_PS4_PT2_iSD_SD_
	.globl	_Z39paged_attention_ll4mi_QKV_mfma16_kernelI14__hip_bfloat16S0_LN4vllm18Fp8KVCacheDataTypeE0ES0_Li32ELi64ELi256ELb0ELi10EL8MFMAType0EEvPKT_PKT0_S9_ifPKiSB_SB_iPKfiiiPfSE_PS4_PT2_iSD_SD_
	.p2align	8
	.type	_Z39paged_attention_ll4mi_QKV_mfma16_kernelI14__hip_bfloat16S0_LN4vllm18Fp8KVCacheDataTypeE0ES0_Li32ELi64ELi256ELb0ELi10EL8MFMAType0EEvPKT_PKT0_S9_ifPKiSB_SB_iPKfiiiPfSE_PS4_PT2_iSD_SD_,@function
_Z39paged_attention_ll4mi_QKV_mfma16_kernelI14__hip_bfloat16S0_LN4vllm18Fp8KVCacheDataTypeE0ES0_Li32ELi64ELi256ELb0ELi10EL8MFMAType0EEvPKT_PKT0_S9_ifPKiSB_SB_iPKfiiiPfSE_PS4_PT2_iSD_SD_: ; @_Z39paged_attention_ll4mi_QKV_mfma16_kernelI14__hip_bfloat16S0_LN4vllm18Fp8KVCacheDataTypeE0ES0_Li32ELi64ELi256ELb0ELi10EL8MFMAType0EEvPKT_PKT0_S9_ifPKiSB_SB_iPKfiiiPfSE_PS4_PT2_iSD_SD_
; %bb.0:
	s_load_dwordx2 s[0:1], s[4:5], 0x30
	s_mov_b32 s28, s7
	s_mov_b64 s[10:11], 0
	s_waitcnt lgkmcnt(0)
	s_cmp_lg_u64 s[0:1], 0
	s_cselect_b64 s[2:3], -1, 0
	s_and_b64 vcc, exec, s[2:3]
	s_cbranch_vccz .LBB277_7
; %bb.1:
	s_add_i32 s12, s6, 1
	s_mov_b32 s13, 0
	s_lshl_b64 s[14:15], s[12:13], 2
	s_add_u32 s14, s0, s14
	s_mov_b32 s7, s13
	s_addc_u32 s15, s1, s15
	s_lshl_b64 s[12:13], s[6:7], 2
	s_add_u32 s12, s0, s12
	s_addc_u32 s13, s1, s13
	s_load_dword s9, s[14:15], 0x0
	s_load_dword s16, s[12:13], 0x0
	s_waitcnt lgkmcnt(0)
	s_sub_i32 s9, s9, s16
	s_cmp_eq_u32 s9, 1
	s_cselect_b64 s[12:13], -1, 0
	s_andn2_b64 vcc, exec, s[10:11]
	s_cbranch_vccnz .LBB277_3
.LBB277_2:
	s_mov_b32 s7, 0
	s_mov_b64 s[12:13], -1
.LBB277_3:
	s_andn2_b64 vcc, exec, s[12:13]
	s_cbranch_vccnz .LBB277_20
; %bb.4:
	s_load_dwordx2 s[12:13], s[4:5], 0x28
	s_lshl_b64 s[10:11], s[6:7], 2
	s_waitcnt lgkmcnt(0)
	s_add_u32 s12, s12, s10
	s_addc_u32 s13, s13, s11
	s_load_dword s33, s[12:13], 0x0
	s_lshl_b32 s16, s28, 8
	s_waitcnt lgkmcnt(0)
	s_cmp_ge_i32 s16, s33
	s_cbranch_scc1 .LBB277_20
; %bb.5:
	s_add_i32 s14, s33, 31
	s_load_dwordx2 s[12:13], s[4:5], 0x20
	s_load_dword s9, s[4:5], 0x38
	s_ashr_i32 s15, s14, 31
	v_and_b32_e32 v1, 0xcf, v0
	s_lshr_b32 s15, s15, 27
	v_add_u32_e32 v1, s16, v1
	s_add_i32 s14, s14, s15
	v_ashrrev_i32_e32 v2, 31, v1
	s_ashr_i32 s19, s14, 5
	v_lshrrev_b32_e32 v6, 27, v2
	s_add_i32 s19, s19, -1
	v_add_u32_e32 v2, v1, v6
	s_waitcnt lgkmcnt(0)
	s_mul_i32 s14, s6, s9
	s_mov_b32 s15, 0
	v_ashrrev_i32_e32 v2, 5, v2
	v_mov_b32_e32 v7, s19
	v_cmp_gt_i32_e32 vcc, s33, v1
	s_lshl_b64 s[14:15], s[14:15], 2
	v_cndmask_b32_e32 v2, v7, v2, vcc
	s_add_u32 s17, s12, s14
	v_ashrrev_i32_e32 v3, 31, v2
	s_addc_u32 s18, s13, s15
	v_lshlrev_b64 v[2:3], 2, v[2:3]
	v_mov_b32_e32 v4, s18
	v_add_co_u32_e32 v2, vcc, s17, v2
	v_addc_co_u32_e32 v3, vcc, v4, v3, vcc
	v_or_b32_e32 v4, 16, v1
	v_add_u32_e32 v5, v4, v6
	v_ashrrev_i32_e32 v5, 5, v5
	v_cmp_gt_i32_e32 vcc, s33, v4
	v_cndmask_b32_e32 v4, v7, v5, vcc
	v_ashrrev_i32_e32 v5, 31, v4
	v_lshlrev_b64 v[4:5], 2, v[4:5]
	v_mov_b32_e32 v9, s18
	v_add_co_u32_e32 v8, vcc, s17, v4
	v_or_b32_e32 v4, 32, v1
	v_addc_co_u32_e32 v9, vcc, v9, v5, vcc
	v_add_u32_e32 v5, v4, v6
	v_ashrrev_i32_e32 v5, 5, v5
	v_cmp_gt_i32_e32 vcc, s33, v4
	v_cndmask_b32_e32 v4, v7, v5, vcc
	v_ashrrev_i32_e32 v5, 31, v4
	v_lshlrev_b64 v[4:5], 2, v[4:5]
	v_mov_b32_e32 v11, s18
	v_add_co_u32_e32 v10, vcc, s17, v4
	v_or_b32_e32 v1, 48, v1
	v_addc_co_u32_e32 v11, vcc, v11, v5, vcc
	v_add_u32_e32 v4, v1, v6
	v_ashrrev_i32_e32 v4, 5, v4
	v_cmp_gt_i32_e32 vcc, s33, v1
	v_cndmask_b32_e32 v4, v7, v4, vcc
	v_ashrrev_i32_e32 v5, 31, v4
	v_lshlrev_b64 v[4:5], 2, v[4:5]
	v_mov_b32_e32 v1, s18
	v_add_co_u32_e32 v12, vcc, s17, v4
	v_addc_co_u32_e32 v13, vcc, v1, v5, vcc
	global_load_dword v4, v[2:3], off
	global_load_dword v6, v[8:9], off
	;; [unrolled: 1-line block ×4, first 2 shown]
	s_andn2_b64 vcc, exec, s[2:3]
	s_cbranch_vccnz .LBB277_8
; %bb.6:
	s_add_u32 s0, s0, s10
	s_addc_u32 s1, s1, s11
	s_load_dword s9, s[0:1], 0x0
	s_branch .LBB277_9
.LBB277_7:
	s_mov_b64 s[12:13], 0
	s_branch .LBB277_2
.LBB277_8:
	s_mov_b32 s9, s6
.LBB277_9:
	s_load_dwordx4 s[12:15], s[4:5], 0x8
	s_load_dwordx4 s[44:47], s[4:5], 0x48
	v_lshrrev_b32_e32 v53, 6, v0
	v_bfe_u32 v1, v0, 4, 2
	v_lshl_or_b32 v5, v53, 2, v1
	v_and_b32_e32 v52, 15, v0
	v_cmp_lt_u32_e32 vcc, 9, v5
	v_cmp_lt_u32_e64 s[2:3], 7, v52
	v_lshlrev_b32_e32 v2, 3, v52
	v_cmp_gt_u32_e64 s[0:1], 8, v52
	s_or_b64 s[2:3], s[2:3], vcc
	s_and_saveexec_b64 s[10:11], s[2:3]
	s_xor_b64 s[2:3], exec, s[10:11]
; %bb.10:
	v_mov_b32_e32 v3, 0
                                        ; implicit-def: $vgpr5
; %bb.11:
	s_or_saveexec_b64 s[2:3], s[2:3]
	v_and_b32_e32 v54, 63, v0
	s_mul_i32 s29, s8, 10
	s_xor_b64 exec, exec, s[2:3]
	s_cbranch_execz .LBB277_13
; %bb.12:
	s_load_dwordx2 s[10:11], s[4:5], 0x0
	s_waitcnt lgkmcnt(0)
	s_ashr_i32 s20, s44, 31
	s_mul_hi_u32 s21, s9, s44
	s_mul_i32 s20, s9, s20
	s_add_i32 s21, s21, s20
	s_mul_i32 s20, s9, s44
	s_lshl_b64 s[20:21], s[20:21], 1
	v_add_lshl_u32 v8, v5, s29, 6
	s_add_u32 s9, s10, s20
	v_ashrrev_i32_e32 v9, 31, v8
	s_addc_u32 s10, s11, s21
	v_lshlrev_b64 v[8:9], 1, v[8:9]
	v_mov_b32_e32 v3, s10
	v_add_co_u32_e32 v7, vcc, s9, v8
	v_addc_co_u32_e32 v3, vcc, v3, v9, vcc
	v_lshlrev_b32_e32 v8, 1, v2
	v_add_co_u32_e32 v8, vcc, v7, v8
	v_addc_co_u32_e32 v9, vcc, 0, v3, vcc
	global_load_dwordx4 v[8:11], v[8:9], off
	v_and_b32_e32 v7, 3, v0
	v_lshlrev_b32_e32 v12, 9, v52
	v_lshlrev_b32_e32 v5, 5, v5
	;; [unrolled: 1-line block ×3, first 2 shown]
	v_and_b32_e32 v12, 0x1800, v12
	v_mov_b32_e32 v3, 0
	v_or3_b32 v5, v12, v7, v5
	s_waitcnt vmcnt(0)
	ds_write_b128 v5, v[8:11]
.LBB277_13:
	s_or_b64 exec, exec, s[2:3]
	s_waitcnt lgkmcnt(0)
	s_mul_i32 s8, s8, s46
	s_mov_b32 s9, 0
	s_lshl_b64 s[8:9], s[8:9], 1
	s_add_u32 s3, s12, s8
	s_waitcnt vmcnt(3)
	v_mad_i64_i32 v[4:5], s[10:11], v4, s45, 0
	s_addc_u32 s12, s13, s9
	v_lshlrev_b64 v[4:5], 1, v[4:5]
	v_mov_b32_e32 v7, s12
	v_add_co_u32_e32 v4, vcc, s3, v4
	v_addc_co_u32_e32 v5, vcc, v7, v5, vcc
	v_lshlrev_b64 v[34:35], 1, v[2:3]
	v_add_co_u32_e32 v2, vcc, v4, v34
	v_lshlrev_b32_e32 v28, 9, v1
	v_addc_co_u32_e32 v3, vcc, v5, v35, vcc
	v_add_co_u32_e32 v20, vcc, v2, v28
	v_addc_co_u32_e32 v21, vcc, 0, v3, vcc
	s_load_dword s42, s[4:5], 0x98
	s_load_dword s2, s[4:5], 0x1c
	s_waitcnt lgkmcnt(0)
	s_barrier
	global_load_dwordx4 v[2:5], v[20:21], off
	s_waitcnt vmcnt(3)
	v_mad_i64_i32 v[6:7], s[10:11], v6, s45, 0
	v_lshlrev_b64 v[6:7], 1, v[6:7]
	v_mov_b32_e32 v8, s12
	v_add_co_u32_e32 v6, vcc, s3, v6
	v_addc_co_u32_e32 v7, vcc, v8, v7, vcc
	v_mov_b32_e32 v8, 0x100
	v_lshl_or_b32 v29, v52, 4, v8
	v_add_co_u32_e32 v6, vcc, v6, v29
	v_addc_co_u32_e32 v7, vcc, 0, v7, vcc
	v_add_co_u32_e32 v22, vcc, v6, v28
	v_addc_co_u32_e32 v23, vcc, 0, v7, vcc
	global_load_dwordx4 v[10:13], v[22:23], off
	global_load_dwordx4 v[14:17], v[20:21], off offset:2048
	global_load_dwordx4 v[6:9], v[22:23], off offset:2048
	v_add_u32_e32 v22, -10, v52
	v_cmp_gt_u32_e32 vcc, 10, v52
	s_waitcnt vmcnt(5)
	v_mad_i64_i32 v[20:21], s[10:11], v19, s45, 0
	s_waitcnt vmcnt(4)
	v_mad_i64_i32 v[18:19], s[10:11], v18, s45, 0
	v_cndmask_b32_e32 v22, v22, v52, vcc
	v_lshlrev_b64 v[26:27], 1, v[18:19]
	v_lshl_add_u32 v18, v22, 5, v28
	v_lshlrev_b64 v[32:33], 1, v[20:21]
	ds_read_b128 v[22:25], v18
	ds_read_b128 v[18:21], v18 offset:2048
	v_mov_b32_e32 v36, s12
	v_add_co_u32_e32 v32, vcc, s3, v32
	v_addc_co_u32_e32 v33, vcc, v36, v33, vcc
	v_mov_b32_e32 v50, s12
	v_and_or_b32 v31, v0, 48, s16
	s_ashr_i32 s10, s16, 31
	v_or_b32_e32 v49, 64, v31
	s_lshr_b32 s10, s10, 27
	v_mov_b32_e32 v30, s19
	v_mov_b32_e32 v48, s18
	s_mov_b32 s43, 0xff7fffff
	s_waitcnt vmcnt(3) lgkmcnt(1)
	v_mfma_f32_16x16x16bf16_1k v[36:39], v[2:3], v[22:23], 0
	v_add_co_u32_e32 v2, vcc, v32, v34
	v_addc_co_u32_e32 v3, vcc, v33, v35, vcc
	v_add_co_u32_e32 v32, vcc, v2, v28
	v_addc_co_u32_e32 v33, vcc, 0, v3, vcc
	global_load_dwordx4 v[44:47], v[32:33], off
	v_mfma_f32_16x16x16bf16_1k v[2:5], v[4:5], v[24:25], v[36:39]
	s_waitcnt vmcnt(3)
	v_mfma_f32_16x16x16bf16_1k v[40:43], v[10:11], v[22:23], 0
	v_add_co_u32_e32 v10, vcc, s3, v26
	v_addc_co_u32_e32 v11, vcc, v50, v27, vcc
	v_add_co_u32_e32 v10, vcc, v10, v29
	v_add_u32_e32 v26, s10, v31
	v_add_u32_e32 v27, s10, v49
	v_addc_co_u32_e32 v11, vcc, 0, v11, vcc
	v_ashrrev_i32_e32 v36, 5, v26
	v_ashrrev_i32_e32 v50, 5, v27
	v_add_co_u32_e32 v10, vcc, v10, v28
	global_load_dwordx4 v[26:29], v[32:33], off offset:2048
	s_waitcnt vmcnt(3) lgkmcnt(0)
	v_mfma_f32_16x16x16bf16_1k v[2:5], v[14:15], v[18:19], v[2:5]
	v_addc_co_u32_e32 v11, vcc, 0, v11, vcc
	v_cmp_gt_i32_e32 vcc, s33, v31
	v_cndmask_b32_e32 v14, v30, v36, vcc
	v_ashrrev_i32_e32 v15, 31, v14
	global_load_dwordx4 v[36:39], v[10:11], off
	global_load_dwordx4 v[56:59], v[10:11], off offset:2048
	v_lshlrev_b64 v[10:11], 2, v[14:15]
	v_mfma_f32_16x16x16bf16_1k v[60:63], v[16:17], v[20:21], v[2:5]
	v_mov_b32_e32 v15, s18
	s_add_u32 s3, s14, s8
	s_addc_u32 s8, s15, s9
	s_nop 3
	v_add_co_u32_e32 v2, vcc, s17, v10
	v_addc_co_u32_e32 v3, vcc, v48, v11, vcc
	global_load_dword v14, v[2:3], off
	v_cmp_gt_i32_e32 vcc, s33, v49
	v_cndmask_b32_e32 v2, v30, v50, vcc
	v_ashrrev_i32_e32 v3, 31, v2
	v_lshlrev_b64 v[10:11], 2, v[2:3]
	v_mfma_f32_16x16x16bf16_1k v[2:5], v[12:13], v[24:25], v[40:43]
	v_add_co_u32_e32 v10, vcc, s17, v10
	v_addc_co_u32_e32 v11, vcc, v15, v11, vcc
	global_load_dword v32, v[10:11], off
	v_or_b32_e32 v10, 0x80, v31
	v_add_u32_e32 v11, s10, v10
	v_ashrrev_i32_e32 v11, 5, v11
	v_cmp_gt_i32_e32 vcc, s33, v10
	s_waitcnt vmcnt(6)
	v_mfma_f32_16x16x16bf16_1k v[2:5], v[6:7], v[18:19], v[2:5]
	v_cndmask_b32_e32 v10, v30, v11, vcc
	v_ashrrev_i32_e32 v11, 31, v10
	v_lshlrev_b64 v[6:7], 2, v[10:11]
	v_mov_b32_e32 v10, s18
	v_add_co_u32_e32 v6, vcc, s17, v6
	v_addc_co_u32_e32 v7, vcc, v10, v7, vcc
	global_load_dword v33, v[6:7], off
	v_mfma_f32_16x16x16bf16_1k v[40:43], v[8:9], v[20:21], v[2:5]
	v_or_b32_e32 v6, 0xc0, v31
	v_add_u32_e32 v7, s10, v6
	v_ashrrev_i32_e32 v7, 5, v7
	v_cmp_gt_i32_e32 vcc, s33, v6
	v_cndmask_b32_e32 v6, v30, v7, vcc
	v_ashrrev_i32_e32 v7, 31, v6
	v_lshlrev_b64 v[6:7], 2, v[6:7]
	s_waitcnt vmcnt(6)
	v_mfma_f32_16x16x16bf16_1k v[2:5], v[44:45], v[22:23], 0
	v_mov_b32_e32 v8, s18
	v_add_co_u32_e32 v6, vcc, s17, v6
	v_addc_co_u32_e32 v7, vcc, v8, v7, vcc
	global_load_dword v55, v[6:7], off
	v_and_b32_e32 v6, 16, v0
	v_mfma_f32_16x16x16bf16_1k v[2:5], v[46:47], v[24:25], v[2:5]
	v_lshlrev_b32_e32 v6, 1, v6
	v_mov_b32_e32 v7, s8
	v_add_co_u32_e32 v6, vcc, s3, v6
	v_lshlrev_b32_e32 v8, 6, v52
	v_addc_co_u32_e32 v7, vcc, 0, v7, vcc
	s_waitcnt vmcnt(6)
	v_mfma_f32_16x16x16bf16_1k v[2:5], v[26:27], v[18:19], v[2:5]
	v_lshl_or_b32 v8, v53, 10, v8
	v_add_co_u32_e32 v64, vcc, v6, v8
	v_addc_co_u32_e32 v65, vcc, 0, v7, vcc
	v_pk_mul_f32 v[48:49], s[2:3], v[62:63] op_sel_hi:[0,1]
	v_pk_mul_f32 v[40:41], s[2:3], v[40:41] op_sel_hi:[0,1]
	v_mfma_f32_16x16x16bf16_1k v[26:29], v[28:29], v[20:21], v[2:5]
	v_pk_mul_f32 v[50:51], s[2:3], v[42:43] op_sel_hi:[0,1]
	s_waitcnt vmcnt(1)
	v_mad_i64_i32 v[30:31], s[8:9], v33, s45, 0
	s_nop 3
	v_mad_i64_i32 v[2:3], s[8:9], v14, s45, 0
	v_lshlrev_b64 v[6:7], 1, v[2:3]
	v_mfma_f32_16x16x16bf16_1k v[2:5], v[36:37], v[22:23], 0
	s_nop 0
	v_pk_mul_f32 v[42:43], s[2:3], v[26:27] op_sel_hi:[0,1]
	v_add_co_u32_e32 v6, vcc, v64, v6
	v_addc_co_u32_e32 v7, vcc, v65, v7, vcc
	global_load_dwordx4 v[14:17], v[6:7], off
	global_load_dwordx4 v[10:13], v[6:7], off offset:16
	v_mad_i64_i32 v[6:7], s[8:9], v32, s45, 0
	v_mfma_f32_16x16x16bf16_1k v[22:25], v[38:39], v[24:25], v[2:5]
	v_pk_mul_f32 v[46:47], s[2:3], v[28:29] op_sel_hi:[0,1]
	v_lshlrev_b64 v[6:7], 1, v[6:7]
	v_lshlrev_b64 v[30:31], 1, v[30:31]
	v_mfma_f32_16x16x16bf16_1k v[22:25], v[56:57], v[18:19], v[22:25]
	v_pk_mul_f32 v[18:19], s[2:3], v[60:61] op_sel_hi:[0,1]
	s_nop 1
	v_add_co_u32_e32 v2, vcc, v64, v6
	v_addc_co_u32_e32 v3, vcc, v65, v7, vcc
	v_add_co_u32_e32 v38, vcc, v64, v30
	v_mfma_f32_16x16x16bf16_1k v[20:23], v[58:59], v[20:21], v[22:25]
	v_addc_co_u32_e32 v39, vcc, v65, v31, vcc
	global_load_dwordx4 v[6:9], v[2:3], off
	s_nop 0
	global_load_dwordx4 v[2:5], v[2:3], off offset:16
	s_nop 6
	v_pk_mul_f32 v[44:45], s[2:3], v[20:21] op_sel_hi:[0,1]
	v_and_b32_e32 v20, 0xc0, v0
	v_add_u32_e32 v20, s16, v20
	v_lshl_or_b32 v20, v1, 2, v20
	v_pk_mul_f32 v[36:37], s[2:3], v[22:23] op_sel_hi:[0,1]
	v_or_b32_e32 v23, 1, v20
	v_mov_b32_e32 v21, 0xff7fffff
	v_cmp_gt_i32_e64 s[30:31], s33, v20
	v_cmp_gt_i32_e64 s[34:35], s33, v23
	v_cndmask_b32_e64 v22, v21, v18, s[30:31]
	v_cndmask_b32_e64 v23, v21, v19, s[34:35]
	v_max3_f32 v22, v22, s43, v23
	v_or_b32_e32 v23, 2, v20
	v_or_b32_e32 v24, 3, v20
	v_cmp_gt_i32_e64 s[36:37], s33, v23
	v_cmp_gt_i32_e64 s[38:39], s33, v24
	v_cndmask_b32_e64 v23, v21, v48, s[36:37]
	v_cndmask_b32_e64 v24, v21, v49, s[38:39]
	v_max3_f32 v22, v22, v23, v24
	v_or_b32_e32 v23, 16, v20
	v_or_b32_e32 v24, 17, v20
	;; [unrolled: 7-line block ×7, first 2 shown]
	v_cmp_gt_i32_e32 vcc, s33, v23
	v_cmp_gt_i32_e64 s[2:3], s33, v20
	v_cndmask_b32_e32 v23, v21, v36, vcc
	v_cndmask_b32_e64 v20, v21, v37, s[2:3]
	v_max3_f32 v26, v22, v23, v20
	v_mbcnt_lo_u32_b32 v20, -1, 0
	v_mbcnt_hi_u32_b32 v27, -1, v20
	v_and_b32_e32 v20, 64, v27
	v_add_u32_e32 v28, 64, v20
	v_xor_b32_e32 v20, 32, v27
	v_cmp_lt_i32_e64 s[40:41], v20, v28
	v_cndmask_b32_e64 v20, v27, v20, s[40:41]
	v_lshlrev_b32_e32 v56, 2, v20
	ds_bpermute_b32 v29, v56, v26
	s_waitcnt vmcnt(4)
	v_mad_i64_i32 v[20:21], s[40:41], v55, s45, 0
	v_lshlrev_b64 v[20:21], 1, v[20:21]
	global_load_dwordx4 v[30:33], v[38:39], off
	global_load_dwordx4 v[22:25], v[38:39], off offset:16
	s_waitcnt lgkmcnt(0)
	v_max_f32_e32 v29, v29, v29
	v_max_f32_e32 v26, v26, v29
	v_xor_b32_e32 v29, 16, v27
	v_cmp_lt_i32_e64 s[40:41], v29, v28
	v_cndmask_b32_e64 v27, v27, v29, s[40:41]
	v_lshlrev_b32_e32 v58, 2, v27
	ds_bpermute_b32 v27, v58, v26
	v_add_co_u32_e64 v20, s[40:41], v64, v20
	v_addc_co_u32_e64 v21, s[40:41], v65, v21, s[40:41]
	s_waitcnt lgkmcnt(0)
	v_max_f32_e32 v27, v27, v27
	v_max_f32_e32 v55, v26, v27
	v_sub_f32_e32 v18, v18, v55
	v_mul_f32_e32 v18, 0x3fb8aa3b, v18
	v_exp_f32_e32 v38, v18
	v_sub_f32_e32 v18, v19, v55
	v_mul_f32_e32 v18, 0x3fb8aa3b, v18
	v_exp_f32_e32 v39, v18
	global_load_dwordx4 v[26:29], v[20:21], off
	s_nop 0
	global_load_dwordx4 v[18:21], v[20:21], off offset:16
	v_sub_f32_e32 v48, v48, v55
	v_mul_f32_e32 v48, 0x3fb8aa3b, v48
	v_sub_f32_e32 v49, v49, v55
	v_exp_f32_e32 v48, v48
	v_mul_f32_e32 v49, 0x3fb8aa3b, v49
	v_sub_f32_e32 v40, v40, v55
	v_exp_f32_e32 v49, v49
	v_mul_f32_e32 v40, 0x3fb8aa3b, v40
	v_sub_f32_e32 v41, v41, v55
	v_cndmask_b32_e64 v38, 0, v38, s[30:31]
	v_exp_f32_e32 v40, v40
	v_mul_f32_e32 v41, 0x3fb8aa3b, v41
	v_sub_f32_e32 v50, v50, v55
	v_add_f32_e32 v57, 0, v38
	v_cndmask_b32_e64 v39, 0, v39, s[34:35]
	v_exp_f32_e32 v41, v41
	v_mul_f32_e32 v50, 0x3fb8aa3b, v50
	v_sub_f32_e32 v51, v51, v55
	v_add_f32_e32 v57, v57, v39
	;; [unrolled: 5-line block ×10, first 2 shown]
	v_cndmask_b32_e64 v46, 0, v46, s[12:13]
	v_exp_f32_e32 v36, v36
	v_mul_f32_e32 v37, 0x3fb8aa3b, v37
	v_add_f32_e32 v57, v57, v46
	v_cndmask_b32_e64 v47, 0, v47, s[14:15]
	v_exp_f32_e32 v37, v37
	v_add_f32_e32 v57, v57, v47
	v_cndmask_b32_e64 v44, 0, v44, s[8:9]
	v_add_f32_e32 v57, v57, v44
	v_cndmask_b32_e64 v45, 0, v45, s[10:11]
	v_add_f32_e32 v57, v57, v45
	v_cndmask_b32_e32 v36, 0, v36, vcc
	v_add_f32_e32 v57, v57, v36
	v_cndmask_b32_e64 v37, 0, v37, s[2:3]
	v_add_f32_e32 v57, v57, v37
	ds_bpermute_b32 v56, v56, v57
	v_cmp_gt_u32_e32 vcc, 16, v54
	s_waitcnt lgkmcnt(0)
	s_barrier
	v_add_f32_e32 v57, v57, v56
	ds_bpermute_b32 v58, v58, v57
	v_lshlrev_b32_e32 v56, 2, v52
	s_and_saveexec_b64 s[2:3], vcc
	s_cbranch_execz .LBB277_15
; %bb.14:
	s_waitcnt lgkmcnt(0)
	v_add_f32_e32 v54, v57, v58
	v_lshl_or_b32 v57, v53, 6, v56
	ds_write2st64_b32 v57, v55, v54 offset1:1
.LBB277_15:
	s_or_b64 exec, exec, s[2:3]
	s_load_dword s8, s[4:5], 0x94
	s_waitcnt lgkmcnt(0)
	s_barrier
	ds_read2_b32 v[58:59], v56 offset1:16
	ds_read2_b32 v[60:61], v56 offset0:32 offset1:48
	ds_read2_b32 v[62:63], v56 offset0:64 offset1:80
	;; [unrolled: 1-line block ×3, first 2 shown]
	s_movk_i32 s10, 0x7fff
	s_waitcnt lgkmcnt(3)
	v_max3_f32 v54, v58, s43, v59
	s_waitcnt lgkmcnt(2)
	v_max3_f32 v54, v54, v60, v61
	v_sub_f32_e32 v55, v58, v54
	v_mul_f32_e32 v55, 0x3fb8aa3b, v55
	v_exp_f32_e32 v58, v55
	v_sub_f32_e32 v55, v59, v54
	v_mul_f32_e32 v55, 0x3fb8aa3b, v55
	v_exp_f32_e32 v59, v55
	v_sub_f32_e32 v55, v60, v54
	v_mul_f32_e32 v55, 0x3fb8aa3b, v55
	v_exp_f32_e32 v60, v55
	v_sub_f32_e32 v55, v61, v54
	v_mul_f32_e32 v55, 0x3fb8aa3b, v55
	v_exp_f32_e32 v61, v55
	s_waitcnt lgkmcnt(1)
	v_fma_f32 v55, v58, v62, 0
	v_fmac_f32_e32 v55, v59, v63
	s_waitcnt lgkmcnt(0)
	v_fmac_f32_e32 v55, v60, v56
	v_fmac_f32_e32 v55, v61, v57
	v_add_f32_e32 v56, 0x358637bd, v55
	v_div_scale_f32 v57, s[2:3], v56, v56, 1.0
	v_rcp_f32_e32 v62, v57
	s_mov_b32 s11, 0x7060302
	s_barrier
	v_fma_f32 v63, -v57, v62, 1.0
	v_fmac_f32_e32 v62, v63, v62
	v_div_scale_f32 v63, vcc, 1.0, v56, 1.0
	v_mul_f32_e32 v64, v63, v62
	v_fma_f32 v65, -v57, v64, v63
	v_fmac_f32_e32 v64, v65, v62
	v_fma_f32 v57, -v57, v64, v63
	v_div_fmas_f32 v57, v57, v62, v64
	v_cmp_eq_u32_e32 vcc, 1, v53
	v_div_fixup_f32 v56, v57, v56, 1.0
	v_cndmask_b32_e32 v57, v58, v59, vcc
	v_cmp_eq_u32_e32 vcc, 2, v53
	v_cndmask_b32_e32 v57, v57, v60, vcc
	v_cmp_eq_u32_e32 vcc, 3, v53
	v_cndmask_b32_e32 v57, v57, v61, vcc
	v_mul_f32_e32 v56, v57, v56
	v_pk_mul_f32 v[38:39], v[56:57], v[38:39] op_sel_hi:[0,1]
	v_pk_mul_f32 v[48:49], v[56:57], v[48:49] op_sel_hi:[0,1]
	v_bfe_u32 v57, v39, 16, 1
	v_bfe_u32 v58, v38, 16, 1
	v_add3_u32 v38, v38, v58, s10
	v_add3_u32 v39, v39, v57, s10
	v_perm_b32 v58, v39, v38, s11
	v_bfe_u32 v38, v49, 16, 1
	v_bfe_u32 v39, v48, 16, 1
	v_add3_u32 v39, v48, v39, s10
	v_add3_u32 v38, v49, v38, s10
	v_perm_b32 v59, v38, v39, s11
	v_lshlrev_b32_e32 v38, 3, v1
	v_lshlrev_b32_e32 v39, 5, v52
	v_lshlrev_b32_e32 v48, 11, v53
	v_pk_mul_f32 v[40:41], v[56:57], v[40:41] op_sel_hi:[0,1]
	v_or3_b32 v38, v48, v39, v38
	v_pk_mul_f32 v[48:49], v[56:57], v[50:51] op_sel_hi:[0,1]
	v_bfe_u32 v50, v41, 16, 1
	v_bfe_u32 v51, v40, 16, 1
	v_add3_u32 v40, v40, v51, s10
	v_add3_u32 v41, v41, v50, s10
	v_perm_b32 v40, v41, v40, s11
	v_bfe_u32 v41, v49, 16, 1
	v_bfe_u32 v50, v48, 16, 1
	v_add3_u32 v48, v48, v50, s10
	v_add3_u32 v41, v49, v41, s10
	v_perm_b32 v41, v41, v48, s11
	v_pk_mul_f32 v[42:43], v[56:57], v[42:43] op_sel_hi:[0,1]
	ds_write2st64_b64 v38, v[58:59], v[40:41] offset1:1
	v_pk_mul_f32 v[40:41], v[56:57], v[46:47] op_sel_hi:[0,1]
	v_bfe_u32 v46, v43, 16, 1
	v_bfe_u32 v47, v42, 16, 1
	v_add3_u32 v42, v42, v47, s10
	v_add3_u32 v43, v43, v46, s10
	v_perm_b32 v42, v43, v42, s11
	v_bfe_u32 v43, v41, 16, 1
	v_bfe_u32 v46, v40, 16, 1
	v_add3_u32 v40, v40, v46, s10
	v_add3_u32 v41, v41, v43, s10
	v_perm_b32 v43, v41, v40, s11
	v_pk_mul_f32 v[40:41], v[56:57], v[44:45] op_sel_hi:[0,1]
	v_bfe_u32 v44, v41, 16, 1
	v_bfe_u32 v45, v40, 16, 1
	v_pk_mul_f32 v[36:37], v[56:57], v[36:37] op_sel_hi:[0,1]
	v_add3_u32 v40, v40, v45, s10
	v_add3_u32 v41, v41, v44, s10
	v_perm_b32 v40, v41, v40, s11
	v_bfe_u32 v41, v37, 16, 1
	v_bfe_u32 v44, v36, 16, 1
	v_add3_u32 v36, v36, v44, s10
	v_add3_u32 v37, v37, v41, s10
	s_mul_i32 s9, s42, 10
	v_perm_b32 v41, v37, v36, s11
	v_cmp_gt_u32_e32 vcc, 10, v0
	ds_write2st64_b64 v38, v[42:43], v[40:41] offset0:2 offset1:3
	s_and_saveexec_b64 s[2:3], vcc
	s_cbranch_execz .LBB277_17
; %bb.16:
	v_add_co_u32_e32 v40, vcc, s29, v52
	v_addc_co_u32_e64 v41, s[16:17], 0, 0, vcc
	v_mov_b32_e32 v36, s9
	v_mov_b32_e32 v37, 0
	v_mad_u64_u32 v[40:41], s[16:17], s6, v36, v[40:41]
	v_mov_b32_e32 v36, s28
	s_load_dwordx4 s[12:15], s[4:5], 0x58
	s_mul_i32 s7, s7, s9
	v_mad_u64_u32 v[36:37], s[16:17], v40, s8, v[36:37]
	v_add_u32_e32 v41, s7, v41
	v_mov_b32_e32 v40, v37
	v_mad_u64_u32 v[40:41], s[16:17], v41, s8, v[40:41]
	v_mov_b32_e32 v37, v40
	v_lshlrev_b64 v[36:37], 2, v[36:37]
	s_waitcnt lgkmcnt(0)
	v_mov_b32_e32 v41, s15
	v_add_co_u32_e32 v40, vcc, s14, v36
	v_addc_co_u32_e32 v41, vcc, v41, v37, vcc
	global_store_dword v[40:41], v54, off
	v_mov_b32_e32 v40, s13
	v_add_co_u32_e32 v36, vcc, s12, v36
	v_addc_co_u32_e32 v37, vcc, v40, v37, vcc
	global_store_dword v[36:37], v55, off
.LBB277_17:
	s_or_b64 exec, exec, s[2:3]
	v_lshl_or_b32 v36, v1, 9, v39
	s_waitcnt lgkmcnt(0)
	s_barrier
	ds_read_b128 v[40:43], v36
	ds_read_b128 v[44:47], v36 offset:16
	s_waitcnt vmcnt(7) lgkmcnt(1)
	v_mfma_f32_16x16x16bf16_1k v[48:51], v[14:15], v[40:41], 0
	v_cmp_gt_u32_e32 vcc, 64, v0
	s_mov_b32 s3, 0
	s_and_b64 s[0:1], vcc, s[0:1]
	v_mfma_f32_16x16x16bf16_1k v[14:17], v[16:17], v[42:43], v[48:51]
	s_waitcnt vmcnt(6) lgkmcnt(0)
	v_mfma_f32_16x16x16bf16_1k v[14:17], v[10:11], v[44:45], v[14:17]
	v_mfma_f32_16x16x16bf16_1k v[10:13], v[12:13], v[46:47], v[14:17]
	s_nop 7
	s_nop 1
	ds_read_b128 v[14:17], v36 offset:2048
	ds_read_b128 v[40:43], v36 offset:2064
	s_waitcnt vmcnt(5) lgkmcnt(1)
	v_mfma_f32_16x16x16bf16_1k v[10:13], v[6:7], v[14:15], v[10:13]
	v_mfma_f32_16x16x16bf16_1k v[6:9], v[8:9], v[16:17], v[10:13]
	s_waitcnt vmcnt(4) lgkmcnt(0)
	v_mfma_f32_16x16x16bf16_1k v[6:9], v[2:3], v[40:41], v[6:9]
	v_mfma_f32_16x16x16bf16_1k v[2:5], v[4:5], v[42:43], v[6:9]
	s_nop 7
	s_nop 1
	ds_read_b128 v[6:9], v36 offset:4096
	ds_read_b128 v[10:13], v36 offset:4112
	s_waitcnt vmcnt(3) lgkmcnt(1)
	v_mfma_f32_16x16x16bf16_1k v[2:5], v[30:31], v[6:7], v[2:5]
	v_mfma_f32_16x16x16bf16_1k v[2:5], v[32:33], v[8:9], v[2:5]
	s_waitcnt vmcnt(2) lgkmcnt(0)
	v_mfma_f32_16x16x16bf16_1k v[2:5], v[22:23], v[10:11], v[2:5]
	v_mfma_f32_16x16x16bf16_1k v[2:5], v[24:25], v[12:13], v[2:5]
	ds_read_b128 v[6:9], v36 offset:6144
	ds_read_b128 v[10:13], v36 offset:6160
	s_waitcnt lgkmcnt(0)
	s_barrier
	s_waitcnt vmcnt(1)
	v_mfma_f32_16x16x16bf16_1k v[2:5], v[26:27], v[6:7], v[2:5]
	v_mfma_f32_16x16x16bf16_1k v[2:5], v[28:29], v[8:9], v[2:5]
	s_waitcnt vmcnt(0)
	v_mfma_f32_16x16x16bf16_1k v[2:5], v[18:19], v[10:11], v[2:5]
	v_mfma_f32_16x16x16bf16_1k v[2:5], v[20:21], v[12:13], v[2:5]
	s_nop 7
	s_nop 2
	v_bfe_u32 v6, v3, 16, 1
	v_bfe_u32 v7, v2, 16, 1
	;; [unrolled: 1-line block ×4, first 2 shown]
	v_add3_u32 v2, v2, v7, s10
	v_add3_u32 v3, v3, v6, s10
	;; [unrolled: 1-line block ×4, first 2 shown]
	v_perm_b32 v2, v3, v2, s11
	v_perm_b32 v3, v5, v4, s11
	ds_write_b64 v38, v[2:3]
	s_waitcnt lgkmcnt(0)
	s_barrier
	s_and_saveexec_b64 s[10:11], s[0:1]
	s_cbranch_execz .LBB277_20
; %bb.18:
	s_load_dwordx2 s[4:5], s[4:5], 0x68
	s_lshl_b32 s0, s8, 6
	s_mul_i32 s1, s9, s6
	s_mul_hi_u32 s7, s1, s0
	s_mul_i32 s6, s1, s0
	s_lshl_b64 s[6:7], s[6:7], 1
	s_waitcnt lgkmcnt(0)
	s_add_u32 s1, s4, s6
	v_lshlrev_b32_e32 v2, 10, v0
	v_lshlrev_b32_e32 v0, 4, v0
	s_addc_u32 s4, s5, s7
	s_lshl_b32 s2, s28, 6
	v_and_b32_e32 v2, 0x1800, v2
	v_lshlrev_b32_e32 v3, 5, v1
	v_and_b32_e32 v0, 16, v0
	s_lshl_b64 s[2:3], s[2:3], 1
	v_or3_b32 v0, v2, v3, v0
	s_add_u32 s1, s1, s2
	v_or_b32_e32 v2, 8, v1
	s_addc_u32 s2, s4, s3
	ds_read_b128 v[6:9], v0 offset:128
	ds_read_b128 v[10:13], v0
	v_add_u32_e32 v1, s29, v1
	v_mov_b32_e32 v4, s2
	v_add_co_u32_e32 v3, vcc, s1, v34
	v_mad_u64_u32 v[14:15], s[2:3], v1, s0, 0
	v_addc_co_u32_e32 v4, vcc, v4, v35, vcc
	v_lshlrev_b64 v[14:15], 1, v[14:15]
	v_add_co_u32_e32 v14, vcc, v3, v14
	v_addc_co_u32_e32 v15, vcc, v4, v15, vcc
	v_add_u32_e32 v1, 4, v1
	s_waitcnt lgkmcnt(0)
	global_store_dwordx4 v[14:15], v[10:13], off
	s_nop 0
	v_mad_u64_u32 v[10:11], s[2:3], v1, s0, 0
	v_lshlrev_b64 v[10:11], 1, v[10:11]
	v_add_co_u32_e32 v10, vcc, v3, v10
	v_addc_co_u32_e32 v11, vcc, v4, v11, vcc
	v_cmp_gt_u32_e32 vcc, 10, v2
	global_store_dwordx4 v[10:11], v[6:9], off
	s_and_b64 exec, exec, vcc
	s_cbranch_execz .LBB277_20
; %bb.19:
	ds_read_b128 v[6:9], v0 offset:256
	v_add_u32_e32 v0, s29, v2
	v_mad_u64_u32 v[0:1], s[0:1], v0, s0, 0
	v_lshlrev_b64 v[0:1], 1, v[0:1]
	v_add_co_u32_e32 v0, vcc, v3, v0
	v_addc_co_u32_e32 v1, vcc, v4, v1, vcc
	s_waitcnt lgkmcnt(0)
	global_store_dwordx4 v[0:1], v[6:9], off
.LBB277_20:
	s_endpgm
	.section	.rodata,"a",@progbits
	.p2align	6, 0x0
	.amdhsa_kernel _Z39paged_attention_ll4mi_QKV_mfma16_kernelI14__hip_bfloat16S0_LN4vllm18Fp8KVCacheDataTypeE0ES0_Li32ELi64ELi256ELb0ELi10EL8MFMAType0EEvPKT_PKT0_S9_ifPKiSB_SB_iPKfiiiPfSE_PS4_PT2_iSD_SD_
		.amdhsa_group_segment_fixed_size 8192
		.amdhsa_private_segment_fixed_size 0
		.amdhsa_kernarg_size 400
		.amdhsa_user_sgpr_count 6
		.amdhsa_user_sgpr_private_segment_buffer 1
		.amdhsa_user_sgpr_dispatch_ptr 0
		.amdhsa_user_sgpr_queue_ptr 0
		.amdhsa_user_sgpr_kernarg_segment_ptr 1
		.amdhsa_user_sgpr_dispatch_id 0
		.amdhsa_user_sgpr_flat_scratch_init 0
		.amdhsa_user_sgpr_kernarg_preload_length 0
		.amdhsa_user_sgpr_kernarg_preload_offset 0
		.amdhsa_user_sgpr_private_segment_size 0
		.amdhsa_uses_dynamic_stack 0
		.amdhsa_system_sgpr_private_segment_wavefront_offset 0
		.amdhsa_system_sgpr_workgroup_id_x 1
		.amdhsa_system_sgpr_workgroup_id_y 1
		.amdhsa_system_sgpr_workgroup_id_z 1
		.amdhsa_system_sgpr_workgroup_info 0
		.amdhsa_system_vgpr_workitem_id 0
		.amdhsa_next_free_vgpr 66
		.amdhsa_next_free_sgpr 48
		.amdhsa_accum_offset 68
		.amdhsa_reserve_vcc 1
		.amdhsa_reserve_flat_scratch 0
		.amdhsa_float_round_mode_32 0
		.amdhsa_float_round_mode_16_64 0
		.amdhsa_float_denorm_mode_32 3
		.amdhsa_float_denorm_mode_16_64 3
		.amdhsa_dx10_clamp 1
		.amdhsa_ieee_mode 1
		.amdhsa_fp16_overflow 0
		.amdhsa_tg_split 0
		.amdhsa_exception_fp_ieee_invalid_op 0
		.amdhsa_exception_fp_denorm_src 0
		.amdhsa_exception_fp_ieee_div_zero 0
		.amdhsa_exception_fp_ieee_overflow 0
		.amdhsa_exception_fp_ieee_underflow 0
		.amdhsa_exception_fp_ieee_inexact 0
		.amdhsa_exception_int_div_zero 0
	.end_amdhsa_kernel
	.section	.text._Z39paged_attention_ll4mi_QKV_mfma16_kernelI14__hip_bfloat16S0_LN4vllm18Fp8KVCacheDataTypeE0ES0_Li32ELi64ELi256ELb0ELi10EL8MFMAType0EEvPKT_PKT0_S9_ifPKiSB_SB_iPKfiiiPfSE_PS4_PT2_iSD_SD_,"axG",@progbits,_Z39paged_attention_ll4mi_QKV_mfma16_kernelI14__hip_bfloat16S0_LN4vllm18Fp8KVCacheDataTypeE0ES0_Li32ELi64ELi256ELb0ELi10EL8MFMAType0EEvPKT_PKT0_S9_ifPKiSB_SB_iPKfiiiPfSE_PS4_PT2_iSD_SD_,comdat
.Lfunc_end277:
	.size	_Z39paged_attention_ll4mi_QKV_mfma16_kernelI14__hip_bfloat16S0_LN4vllm18Fp8KVCacheDataTypeE0ES0_Li32ELi64ELi256ELb0ELi10EL8MFMAType0EEvPKT_PKT0_S9_ifPKiSB_SB_iPKfiiiPfSE_PS4_PT2_iSD_SD_, .Lfunc_end277-_Z39paged_attention_ll4mi_QKV_mfma16_kernelI14__hip_bfloat16S0_LN4vllm18Fp8KVCacheDataTypeE0ES0_Li32ELi64ELi256ELb0ELi10EL8MFMAType0EEvPKT_PKT0_S9_ifPKiSB_SB_iPKfiiiPfSE_PS4_PT2_iSD_SD_
                                        ; -- End function
	.section	.AMDGPU.csdata,"",@progbits
; Kernel info:
; codeLenInByte = 4364
; NumSgprs: 52
; NumVgprs: 66
; NumAgprs: 0
; TotalNumVgprs: 66
; ScratchSize: 0
; MemoryBound: 0
; FloatMode: 240
; IeeeMode: 1
; LDSByteSize: 8192 bytes/workgroup (compile time only)
; SGPRBlocks: 6
; VGPRBlocks: 8
; NumSGPRsForWavesPerEU: 52
; NumVGPRsForWavesPerEU: 66
; AccumOffset: 68
; Occupancy: 7
; WaveLimiterHint : 1
; COMPUTE_PGM_RSRC2:SCRATCH_EN: 0
; COMPUTE_PGM_RSRC2:USER_SGPR: 6
; COMPUTE_PGM_RSRC2:TRAP_HANDLER: 0
; COMPUTE_PGM_RSRC2:TGID_X_EN: 1
; COMPUTE_PGM_RSRC2:TGID_Y_EN: 1
; COMPUTE_PGM_RSRC2:TGID_Z_EN: 1
; COMPUTE_PGM_RSRC2:TIDIG_COMP_CNT: 0
; COMPUTE_PGM_RSRC3_GFX90A:ACCUM_OFFSET: 16
; COMPUTE_PGM_RSRC3_GFX90A:TG_SPLIT: 0
	.section	.text._Z39paged_attention_ll4mi_QKV_mfma16_kernelI14__hip_bfloat16S0_LN4vllm18Fp8KVCacheDataTypeE0ES0_Li32ELi64ELi256ELb0ELi11EL8MFMAType0EEvPKT_PKT0_S9_ifPKiSB_SB_iPKfiiiPfSE_PS4_PT2_iSD_SD_,"axG",@progbits,_Z39paged_attention_ll4mi_QKV_mfma16_kernelI14__hip_bfloat16S0_LN4vllm18Fp8KVCacheDataTypeE0ES0_Li32ELi64ELi256ELb0ELi11EL8MFMAType0EEvPKT_PKT0_S9_ifPKiSB_SB_iPKfiiiPfSE_PS4_PT2_iSD_SD_,comdat
	.protected	_Z39paged_attention_ll4mi_QKV_mfma16_kernelI14__hip_bfloat16S0_LN4vllm18Fp8KVCacheDataTypeE0ES0_Li32ELi64ELi256ELb0ELi11EL8MFMAType0EEvPKT_PKT0_S9_ifPKiSB_SB_iPKfiiiPfSE_PS4_PT2_iSD_SD_ ; -- Begin function _Z39paged_attention_ll4mi_QKV_mfma16_kernelI14__hip_bfloat16S0_LN4vllm18Fp8KVCacheDataTypeE0ES0_Li32ELi64ELi256ELb0ELi11EL8MFMAType0EEvPKT_PKT0_S9_ifPKiSB_SB_iPKfiiiPfSE_PS4_PT2_iSD_SD_
	.globl	_Z39paged_attention_ll4mi_QKV_mfma16_kernelI14__hip_bfloat16S0_LN4vllm18Fp8KVCacheDataTypeE0ES0_Li32ELi64ELi256ELb0ELi11EL8MFMAType0EEvPKT_PKT0_S9_ifPKiSB_SB_iPKfiiiPfSE_PS4_PT2_iSD_SD_
	.p2align	8
	.type	_Z39paged_attention_ll4mi_QKV_mfma16_kernelI14__hip_bfloat16S0_LN4vllm18Fp8KVCacheDataTypeE0ES0_Li32ELi64ELi256ELb0ELi11EL8MFMAType0EEvPKT_PKT0_S9_ifPKiSB_SB_iPKfiiiPfSE_PS4_PT2_iSD_SD_,@function
_Z39paged_attention_ll4mi_QKV_mfma16_kernelI14__hip_bfloat16S0_LN4vllm18Fp8KVCacheDataTypeE0ES0_Li32ELi64ELi256ELb0ELi11EL8MFMAType0EEvPKT_PKT0_S9_ifPKiSB_SB_iPKfiiiPfSE_PS4_PT2_iSD_SD_: ; @_Z39paged_attention_ll4mi_QKV_mfma16_kernelI14__hip_bfloat16S0_LN4vllm18Fp8KVCacheDataTypeE0ES0_Li32ELi64ELi256ELb0ELi11EL8MFMAType0EEvPKT_PKT0_S9_ifPKiSB_SB_iPKfiiiPfSE_PS4_PT2_iSD_SD_
; %bb.0:
	s_load_dwordx2 s[0:1], s[4:5], 0x30
	s_mov_b32 s28, s7
	s_mov_b64 s[10:11], 0
	s_waitcnt lgkmcnt(0)
	s_cmp_lg_u64 s[0:1], 0
	s_cselect_b64 s[2:3], -1, 0
	s_and_b64 vcc, exec, s[2:3]
	s_cbranch_vccz .LBB278_7
; %bb.1:
	s_add_i32 s12, s6, 1
	s_mov_b32 s13, 0
	s_lshl_b64 s[14:15], s[12:13], 2
	s_add_u32 s14, s0, s14
	s_mov_b32 s7, s13
	s_addc_u32 s15, s1, s15
	s_lshl_b64 s[12:13], s[6:7], 2
	s_add_u32 s12, s0, s12
	s_addc_u32 s13, s1, s13
	s_load_dword s9, s[14:15], 0x0
	s_load_dword s16, s[12:13], 0x0
	s_waitcnt lgkmcnt(0)
	s_sub_i32 s9, s9, s16
	s_cmp_eq_u32 s9, 1
	s_cselect_b64 s[12:13], -1, 0
	s_andn2_b64 vcc, exec, s[10:11]
	s_cbranch_vccnz .LBB278_3
.LBB278_2:
	s_mov_b32 s7, 0
	s_mov_b64 s[12:13], -1
.LBB278_3:
	s_andn2_b64 vcc, exec, s[12:13]
	s_cbranch_vccnz .LBB278_20
; %bb.4:
	s_load_dwordx2 s[12:13], s[4:5], 0x28
	s_lshl_b64 s[10:11], s[6:7], 2
	s_waitcnt lgkmcnt(0)
	s_add_u32 s12, s12, s10
	s_addc_u32 s13, s13, s11
	s_load_dword s33, s[12:13], 0x0
	s_lshl_b32 s16, s28, 8
	s_waitcnt lgkmcnt(0)
	s_cmp_ge_i32 s16, s33
	s_cbranch_scc1 .LBB278_20
; %bb.5:
	s_add_i32 s14, s33, 31
	s_load_dwordx2 s[12:13], s[4:5], 0x20
	s_load_dword s9, s[4:5], 0x38
	s_ashr_i32 s15, s14, 31
	v_and_b32_e32 v1, 0xcf, v0
	s_lshr_b32 s15, s15, 27
	v_add_u32_e32 v1, s16, v1
	s_add_i32 s14, s14, s15
	v_ashrrev_i32_e32 v2, 31, v1
	s_ashr_i32 s19, s14, 5
	v_lshrrev_b32_e32 v6, 27, v2
	s_add_i32 s19, s19, -1
	v_add_u32_e32 v2, v1, v6
	s_waitcnt lgkmcnt(0)
	s_mul_i32 s14, s6, s9
	s_mov_b32 s15, 0
	v_ashrrev_i32_e32 v2, 5, v2
	v_mov_b32_e32 v7, s19
	v_cmp_gt_i32_e32 vcc, s33, v1
	s_lshl_b64 s[14:15], s[14:15], 2
	v_cndmask_b32_e32 v2, v7, v2, vcc
	s_add_u32 s17, s12, s14
	v_ashrrev_i32_e32 v3, 31, v2
	s_addc_u32 s18, s13, s15
	v_lshlrev_b64 v[2:3], 2, v[2:3]
	v_mov_b32_e32 v4, s18
	v_add_co_u32_e32 v2, vcc, s17, v2
	v_addc_co_u32_e32 v3, vcc, v4, v3, vcc
	v_or_b32_e32 v4, 16, v1
	v_add_u32_e32 v5, v4, v6
	v_ashrrev_i32_e32 v5, 5, v5
	v_cmp_gt_i32_e32 vcc, s33, v4
	v_cndmask_b32_e32 v4, v7, v5, vcc
	v_ashrrev_i32_e32 v5, 31, v4
	v_lshlrev_b64 v[4:5], 2, v[4:5]
	v_mov_b32_e32 v9, s18
	v_add_co_u32_e32 v8, vcc, s17, v4
	v_or_b32_e32 v4, 32, v1
	v_addc_co_u32_e32 v9, vcc, v9, v5, vcc
	v_add_u32_e32 v5, v4, v6
	v_ashrrev_i32_e32 v5, 5, v5
	v_cmp_gt_i32_e32 vcc, s33, v4
	v_cndmask_b32_e32 v4, v7, v5, vcc
	v_ashrrev_i32_e32 v5, 31, v4
	v_lshlrev_b64 v[4:5], 2, v[4:5]
	v_mov_b32_e32 v11, s18
	v_add_co_u32_e32 v10, vcc, s17, v4
	v_or_b32_e32 v1, 48, v1
	v_addc_co_u32_e32 v11, vcc, v11, v5, vcc
	v_add_u32_e32 v4, v1, v6
	v_ashrrev_i32_e32 v4, 5, v4
	v_cmp_gt_i32_e32 vcc, s33, v1
	v_cndmask_b32_e32 v4, v7, v4, vcc
	v_ashrrev_i32_e32 v5, 31, v4
	v_lshlrev_b64 v[4:5], 2, v[4:5]
	v_mov_b32_e32 v1, s18
	v_add_co_u32_e32 v12, vcc, s17, v4
	v_addc_co_u32_e32 v13, vcc, v1, v5, vcc
	global_load_dword v4, v[2:3], off
	global_load_dword v6, v[8:9], off
	;; [unrolled: 1-line block ×4, first 2 shown]
	s_andn2_b64 vcc, exec, s[2:3]
	s_cbranch_vccnz .LBB278_8
; %bb.6:
	s_add_u32 s0, s0, s10
	s_addc_u32 s1, s1, s11
	s_load_dword s9, s[0:1], 0x0
	s_branch .LBB278_9
.LBB278_7:
	s_mov_b64 s[12:13], 0
	s_branch .LBB278_2
.LBB278_8:
	s_mov_b32 s9, s6
.LBB278_9:
	s_load_dwordx4 s[12:15], s[4:5], 0x8
	s_load_dwordx4 s[44:47], s[4:5], 0x48
	v_lshrrev_b32_e32 v53, 6, v0
	v_bfe_u32 v1, v0, 4, 2
	v_lshl_or_b32 v5, v53, 2, v1
	v_and_b32_e32 v52, 15, v0
	v_cmp_lt_u32_e32 vcc, 10, v5
	v_cmp_lt_u32_e64 s[2:3], 7, v52
	v_lshlrev_b32_e32 v2, 3, v52
	v_cmp_gt_u32_e64 s[0:1], 8, v52
	s_or_b64 s[2:3], s[2:3], vcc
	s_and_saveexec_b64 s[10:11], s[2:3]
	s_xor_b64 s[2:3], exec, s[10:11]
; %bb.10:
	v_mov_b32_e32 v3, 0
                                        ; implicit-def: $vgpr5
; %bb.11:
	s_or_saveexec_b64 s[2:3], s[2:3]
	v_and_b32_e32 v54, 63, v0
	s_mul_i32 s29, s8, 11
	s_xor_b64 exec, exec, s[2:3]
	s_cbranch_execz .LBB278_13
; %bb.12:
	s_load_dwordx2 s[10:11], s[4:5], 0x0
	s_waitcnt lgkmcnt(0)
	s_ashr_i32 s20, s44, 31
	s_mul_hi_u32 s21, s9, s44
	s_mul_i32 s20, s9, s20
	s_add_i32 s21, s21, s20
	s_mul_i32 s20, s9, s44
	s_lshl_b64 s[20:21], s[20:21], 1
	v_add_lshl_u32 v8, v5, s29, 6
	s_add_u32 s9, s10, s20
	v_ashrrev_i32_e32 v9, 31, v8
	s_addc_u32 s10, s11, s21
	v_lshlrev_b64 v[8:9], 1, v[8:9]
	v_mov_b32_e32 v3, s10
	v_add_co_u32_e32 v7, vcc, s9, v8
	v_addc_co_u32_e32 v3, vcc, v3, v9, vcc
	v_lshlrev_b32_e32 v8, 1, v2
	v_add_co_u32_e32 v8, vcc, v7, v8
	v_addc_co_u32_e32 v9, vcc, 0, v3, vcc
	global_load_dwordx4 v[8:11], v[8:9], off
	v_and_b32_e32 v7, 3, v0
	v_lshlrev_b32_e32 v12, 9, v52
	v_lshlrev_b32_e32 v5, 5, v5
	;; [unrolled: 1-line block ×3, first 2 shown]
	v_and_b32_e32 v12, 0x1800, v12
	v_mov_b32_e32 v3, 0
	v_or3_b32 v5, v12, v7, v5
	s_waitcnt vmcnt(0)
	ds_write_b128 v5, v[8:11]
.LBB278_13:
	s_or_b64 exec, exec, s[2:3]
	s_waitcnt lgkmcnt(0)
	s_mul_i32 s8, s8, s46
	s_mov_b32 s9, 0
	s_lshl_b64 s[8:9], s[8:9], 1
	s_add_u32 s3, s12, s8
	s_waitcnt vmcnt(3)
	v_mad_i64_i32 v[4:5], s[10:11], v4, s45, 0
	s_addc_u32 s12, s13, s9
	v_lshlrev_b64 v[4:5], 1, v[4:5]
	v_mov_b32_e32 v7, s12
	v_add_co_u32_e32 v4, vcc, s3, v4
	v_addc_co_u32_e32 v5, vcc, v7, v5, vcc
	v_lshlrev_b64 v[34:35], 1, v[2:3]
	v_add_co_u32_e32 v2, vcc, v4, v34
	v_lshlrev_b32_e32 v28, 9, v1
	v_addc_co_u32_e32 v3, vcc, v5, v35, vcc
	v_add_co_u32_e32 v20, vcc, v2, v28
	v_addc_co_u32_e32 v21, vcc, 0, v3, vcc
	s_load_dword s42, s[4:5], 0x98
	s_load_dword s2, s[4:5], 0x1c
	s_waitcnt lgkmcnt(0)
	s_barrier
	global_load_dwordx4 v[2:5], v[20:21], off
	s_waitcnt vmcnt(3)
	v_mad_i64_i32 v[6:7], s[10:11], v6, s45, 0
	v_lshlrev_b64 v[6:7], 1, v[6:7]
	v_mov_b32_e32 v8, s12
	v_add_co_u32_e32 v6, vcc, s3, v6
	v_addc_co_u32_e32 v7, vcc, v8, v7, vcc
	v_mov_b32_e32 v8, 0x100
	v_lshl_or_b32 v29, v52, 4, v8
	v_add_co_u32_e32 v6, vcc, v6, v29
	v_addc_co_u32_e32 v7, vcc, 0, v7, vcc
	v_add_co_u32_e32 v22, vcc, v6, v28
	v_addc_co_u32_e32 v23, vcc, 0, v7, vcc
	global_load_dwordx4 v[10:13], v[22:23], off
	global_load_dwordx4 v[14:17], v[20:21], off offset:2048
	global_load_dwordx4 v[6:9], v[22:23], off offset:2048
	v_add_u32_e32 v22, -11, v52
	v_cmp_gt_u32_e32 vcc, 11, v52
	s_waitcnt vmcnt(5)
	v_mad_i64_i32 v[20:21], s[10:11], v19, s45, 0
	s_waitcnt vmcnt(4)
	v_mad_i64_i32 v[18:19], s[10:11], v18, s45, 0
	v_cndmask_b32_e32 v22, v22, v52, vcc
	v_lshlrev_b64 v[26:27], 1, v[18:19]
	v_lshl_add_u32 v18, v22, 5, v28
	v_lshlrev_b64 v[32:33], 1, v[20:21]
	ds_read_b128 v[22:25], v18
	ds_read_b128 v[18:21], v18 offset:2048
	v_mov_b32_e32 v36, s12
	v_add_co_u32_e32 v32, vcc, s3, v32
	v_addc_co_u32_e32 v33, vcc, v36, v33, vcc
	v_mov_b32_e32 v50, s12
	v_and_or_b32 v31, v0, 48, s16
	s_ashr_i32 s10, s16, 31
	v_or_b32_e32 v49, 64, v31
	s_lshr_b32 s10, s10, 27
	v_mov_b32_e32 v30, s19
	v_mov_b32_e32 v48, s18
	s_mov_b32 s43, 0xff7fffff
	s_waitcnt vmcnt(3) lgkmcnt(1)
	v_mfma_f32_16x16x16bf16_1k v[36:39], v[2:3], v[22:23], 0
	v_add_co_u32_e32 v2, vcc, v32, v34
	v_addc_co_u32_e32 v3, vcc, v33, v35, vcc
	v_add_co_u32_e32 v32, vcc, v2, v28
	v_addc_co_u32_e32 v33, vcc, 0, v3, vcc
	global_load_dwordx4 v[44:47], v[32:33], off
	v_mfma_f32_16x16x16bf16_1k v[2:5], v[4:5], v[24:25], v[36:39]
	s_waitcnt vmcnt(3)
	v_mfma_f32_16x16x16bf16_1k v[40:43], v[10:11], v[22:23], 0
	v_add_co_u32_e32 v10, vcc, s3, v26
	v_addc_co_u32_e32 v11, vcc, v50, v27, vcc
	v_add_co_u32_e32 v10, vcc, v10, v29
	v_add_u32_e32 v26, s10, v31
	v_add_u32_e32 v27, s10, v49
	v_addc_co_u32_e32 v11, vcc, 0, v11, vcc
	v_ashrrev_i32_e32 v36, 5, v26
	v_ashrrev_i32_e32 v50, 5, v27
	v_add_co_u32_e32 v10, vcc, v10, v28
	global_load_dwordx4 v[26:29], v[32:33], off offset:2048
	s_waitcnt vmcnt(3) lgkmcnt(0)
	v_mfma_f32_16x16x16bf16_1k v[2:5], v[14:15], v[18:19], v[2:5]
	v_addc_co_u32_e32 v11, vcc, 0, v11, vcc
	v_cmp_gt_i32_e32 vcc, s33, v31
	v_cndmask_b32_e32 v14, v30, v36, vcc
	v_ashrrev_i32_e32 v15, 31, v14
	global_load_dwordx4 v[36:39], v[10:11], off
	global_load_dwordx4 v[56:59], v[10:11], off offset:2048
	v_lshlrev_b64 v[10:11], 2, v[14:15]
	v_mfma_f32_16x16x16bf16_1k v[60:63], v[16:17], v[20:21], v[2:5]
	v_mov_b32_e32 v15, s18
	s_add_u32 s3, s14, s8
	s_addc_u32 s8, s15, s9
	s_nop 3
	v_add_co_u32_e32 v2, vcc, s17, v10
	v_addc_co_u32_e32 v3, vcc, v48, v11, vcc
	global_load_dword v14, v[2:3], off
	v_cmp_gt_i32_e32 vcc, s33, v49
	v_cndmask_b32_e32 v2, v30, v50, vcc
	v_ashrrev_i32_e32 v3, 31, v2
	v_lshlrev_b64 v[10:11], 2, v[2:3]
	v_mfma_f32_16x16x16bf16_1k v[2:5], v[12:13], v[24:25], v[40:43]
	v_add_co_u32_e32 v10, vcc, s17, v10
	v_addc_co_u32_e32 v11, vcc, v15, v11, vcc
	global_load_dword v32, v[10:11], off
	v_or_b32_e32 v10, 0x80, v31
	v_add_u32_e32 v11, s10, v10
	v_ashrrev_i32_e32 v11, 5, v11
	v_cmp_gt_i32_e32 vcc, s33, v10
	s_waitcnt vmcnt(6)
	v_mfma_f32_16x16x16bf16_1k v[2:5], v[6:7], v[18:19], v[2:5]
	v_cndmask_b32_e32 v10, v30, v11, vcc
	v_ashrrev_i32_e32 v11, 31, v10
	v_lshlrev_b64 v[6:7], 2, v[10:11]
	v_mov_b32_e32 v10, s18
	v_add_co_u32_e32 v6, vcc, s17, v6
	v_addc_co_u32_e32 v7, vcc, v10, v7, vcc
	global_load_dword v33, v[6:7], off
	v_mfma_f32_16x16x16bf16_1k v[40:43], v[8:9], v[20:21], v[2:5]
	v_or_b32_e32 v6, 0xc0, v31
	v_add_u32_e32 v7, s10, v6
	v_ashrrev_i32_e32 v7, 5, v7
	v_cmp_gt_i32_e32 vcc, s33, v6
	v_cndmask_b32_e32 v6, v30, v7, vcc
	v_ashrrev_i32_e32 v7, 31, v6
	v_lshlrev_b64 v[6:7], 2, v[6:7]
	s_waitcnt vmcnt(6)
	v_mfma_f32_16x16x16bf16_1k v[2:5], v[44:45], v[22:23], 0
	v_mov_b32_e32 v8, s18
	v_add_co_u32_e32 v6, vcc, s17, v6
	v_addc_co_u32_e32 v7, vcc, v8, v7, vcc
	global_load_dword v55, v[6:7], off
	v_and_b32_e32 v6, 16, v0
	v_mfma_f32_16x16x16bf16_1k v[2:5], v[46:47], v[24:25], v[2:5]
	v_lshlrev_b32_e32 v6, 1, v6
	v_mov_b32_e32 v7, s8
	v_add_co_u32_e32 v6, vcc, s3, v6
	v_lshlrev_b32_e32 v8, 6, v52
	v_addc_co_u32_e32 v7, vcc, 0, v7, vcc
	s_waitcnt vmcnt(6)
	v_mfma_f32_16x16x16bf16_1k v[2:5], v[26:27], v[18:19], v[2:5]
	v_lshl_or_b32 v8, v53, 10, v8
	v_add_co_u32_e32 v64, vcc, v6, v8
	v_addc_co_u32_e32 v65, vcc, 0, v7, vcc
	v_pk_mul_f32 v[48:49], s[2:3], v[62:63] op_sel_hi:[0,1]
	v_pk_mul_f32 v[40:41], s[2:3], v[40:41] op_sel_hi:[0,1]
	v_mfma_f32_16x16x16bf16_1k v[26:29], v[28:29], v[20:21], v[2:5]
	v_pk_mul_f32 v[50:51], s[2:3], v[42:43] op_sel_hi:[0,1]
	s_waitcnt vmcnt(1)
	v_mad_i64_i32 v[30:31], s[8:9], v33, s45, 0
	s_nop 3
	v_mad_i64_i32 v[2:3], s[8:9], v14, s45, 0
	v_lshlrev_b64 v[6:7], 1, v[2:3]
	v_mfma_f32_16x16x16bf16_1k v[2:5], v[36:37], v[22:23], 0
	s_nop 0
	v_pk_mul_f32 v[42:43], s[2:3], v[26:27] op_sel_hi:[0,1]
	v_add_co_u32_e32 v6, vcc, v64, v6
	v_addc_co_u32_e32 v7, vcc, v65, v7, vcc
	global_load_dwordx4 v[14:17], v[6:7], off
	global_load_dwordx4 v[10:13], v[6:7], off offset:16
	v_mad_i64_i32 v[6:7], s[8:9], v32, s45, 0
	v_mfma_f32_16x16x16bf16_1k v[22:25], v[38:39], v[24:25], v[2:5]
	v_pk_mul_f32 v[46:47], s[2:3], v[28:29] op_sel_hi:[0,1]
	v_lshlrev_b64 v[6:7], 1, v[6:7]
	v_lshlrev_b64 v[30:31], 1, v[30:31]
	v_mfma_f32_16x16x16bf16_1k v[22:25], v[56:57], v[18:19], v[22:25]
	v_pk_mul_f32 v[18:19], s[2:3], v[60:61] op_sel_hi:[0,1]
	s_nop 1
	v_add_co_u32_e32 v2, vcc, v64, v6
	v_addc_co_u32_e32 v3, vcc, v65, v7, vcc
	v_add_co_u32_e32 v38, vcc, v64, v30
	v_mfma_f32_16x16x16bf16_1k v[20:23], v[58:59], v[20:21], v[22:25]
	v_addc_co_u32_e32 v39, vcc, v65, v31, vcc
	global_load_dwordx4 v[6:9], v[2:3], off
	s_nop 0
	global_load_dwordx4 v[2:5], v[2:3], off offset:16
	s_nop 6
	v_pk_mul_f32 v[44:45], s[2:3], v[20:21] op_sel_hi:[0,1]
	v_and_b32_e32 v20, 0xc0, v0
	v_add_u32_e32 v20, s16, v20
	v_lshl_or_b32 v20, v1, 2, v20
	v_pk_mul_f32 v[36:37], s[2:3], v[22:23] op_sel_hi:[0,1]
	v_or_b32_e32 v23, 1, v20
	v_mov_b32_e32 v21, 0xff7fffff
	v_cmp_gt_i32_e64 s[30:31], s33, v20
	v_cmp_gt_i32_e64 s[34:35], s33, v23
	v_cndmask_b32_e64 v22, v21, v18, s[30:31]
	v_cndmask_b32_e64 v23, v21, v19, s[34:35]
	v_max3_f32 v22, v22, s43, v23
	v_or_b32_e32 v23, 2, v20
	v_or_b32_e32 v24, 3, v20
	v_cmp_gt_i32_e64 s[36:37], s33, v23
	v_cmp_gt_i32_e64 s[38:39], s33, v24
	v_cndmask_b32_e64 v23, v21, v48, s[36:37]
	v_cndmask_b32_e64 v24, v21, v49, s[38:39]
	v_max3_f32 v22, v22, v23, v24
	v_or_b32_e32 v23, 16, v20
	v_or_b32_e32 v24, 17, v20
	;; [unrolled: 7-line block ×7, first 2 shown]
	v_cmp_gt_i32_e32 vcc, s33, v23
	v_cmp_gt_i32_e64 s[2:3], s33, v20
	v_cndmask_b32_e32 v23, v21, v36, vcc
	v_cndmask_b32_e64 v20, v21, v37, s[2:3]
	v_max3_f32 v26, v22, v23, v20
	v_mbcnt_lo_u32_b32 v20, -1, 0
	v_mbcnt_hi_u32_b32 v27, -1, v20
	v_and_b32_e32 v20, 64, v27
	v_add_u32_e32 v28, 64, v20
	v_xor_b32_e32 v20, 32, v27
	v_cmp_lt_i32_e64 s[40:41], v20, v28
	v_cndmask_b32_e64 v20, v27, v20, s[40:41]
	v_lshlrev_b32_e32 v56, 2, v20
	ds_bpermute_b32 v29, v56, v26
	s_waitcnt vmcnt(4)
	v_mad_i64_i32 v[20:21], s[40:41], v55, s45, 0
	v_lshlrev_b64 v[20:21], 1, v[20:21]
	global_load_dwordx4 v[30:33], v[38:39], off
	global_load_dwordx4 v[22:25], v[38:39], off offset:16
	s_waitcnt lgkmcnt(0)
	v_max_f32_e32 v29, v29, v29
	v_max_f32_e32 v26, v26, v29
	v_xor_b32_e32 v29, 16, v27
	v_cmp_lt_i32_e64 s[40:41], v29, v28
	v_cndmask_b32_e64 v27, v27, v29, s[40:41]
	v_lshlrev_b32_e32 v58, 2, v27
	ds_bpermute_b32 v27, v58, v26
	v_add_co_u32_e64 v20, s[40:41], v64, v20
	v_addc_co_u32_e64 v21, s[40:41], v65, v21, s[40:41]
	s_waitcnt lgkmcnt(0)
	v_max_f32_e32 v27, v27, v27
	v_max_f32_e32 v55, v26, v27
	v_sub_f32_e32 v18, v18, v55
	v_mul_f32_e32 v18, 0x3fb8aa3b, v18
	v_exp_f32_e32 v38, v18
	v_sub_f32_e32 v18, v19, v55
	v_mul_f32_e32 v18, 0x3fb8aa3b, v18
	v_exp_f32_e32 v39, v18
	global_load_dwordx4 v[26:29], v[20:21], off
	s_nop 0
	global_load_dwordx4 v[18:21], v[20:21], off offset:16
	v_sub_f32_e32 v48, v48, v55
	v_mul_f32_e32 v48, 0x3fb8aa3b, v48
	v_sub_f32_e32 v49, v49, v55
	v_exp_f32_e32 v48, v48
	v_mul_f32_e32 v49, 0x3fb8aa3b, v49
	v_sub_f32_e32 v40, v40, v55
	v_exp_f32_e32 v49, v49
	v_mul_f32_e32 v40, 0x3fb8aa3b, v40
	v_sub_f32_e32 v41, v41, v55
	v_cndmask_b32_e64 v38, 0, v38, s[30:31]
	v_exp_f32_e32 v40, v40
	v_mul_f32_e32 v41, 0x3fb8aa3b, v41
	v_sub_f32_e32 v50, v50, v55
	v_add_f32_e32 v57, 0, v38
	v_cndmask_b32_e64 v39, 0, v39, s[34:35]
	v_exp_f32_e32 v41, v41
	v_mul_f32_e32 v50, 0x3fb8aa3b, v50
	v_sub_f32_e32 v51, v51, v55
	v_add_f32_e32 v57, v57, v39
	;; [unrolled: 5-line block ×10, first 2 shown]
	v_cndmask_b32_e64 v46, 0, v46, s[12:13]
	v_exp_f32_e32 v36, v36
	v_mul_f32_e32 v37, 0x3fb8aa3b, v37
	v_add_f32_e32 v57, v57, v46
	v_cndmask_b32_e64 v47, 0, v47, s[14:15]
	v_exp_f32_e32 v37, v37
	v_add_f32_e32 v57, v57, v47
	v_cndmask_b32_e64 v44, 0, v44, s[8:9]
	v_add_f32_e32 v57, v57, v44
	v_cndmask_b32_e64 v45, 0, v45, s[10:11]
	v_add_f32_e32 v57, v57, v45
	v_cndmask_b32_e32 v36, 0, v36, vcc
	v_add_f32_e32 v57, v57, v36
	v_cndmask_b32_e64 v37, 0, v37, s[2:3]
	v_add_f32_e32 v57, v57, v37
	ds_bpermute_b32 v56, v56, v57
	v_cmp_gt_u32_e32 vcc, 16, v54
	s_waitcnt lgkmcnt(0)
	s_barrier
	v_add_f32_e32 v57, v57, v56
	ds_bpermute_b32 v58, v58, v57
	v_lshlrev_b32_e32 v56, 2, v52
	s_and_saveexec_b64 s[2:3], vcc
	s_cbranch_execz .LBB278_15
; %bb.14:
	s_waitcnt lgkmcnt(0)
	v_add_f32_e32 v54, v57, v58
	v_lshl_or_b32 v57, v53, 6, v56
	ds_write2st64_b32 v57, v55, v54 offset1:1
.LBB278_15:
	s_or_b64 exec, exec, s[2:3]
	s_load_dword s8, s[4:5], 0x94
	s_waitcnt lgkmcnt(0)
	s_barrier
	ds_read2_b32 v[58:59], v56 offset1:16
	ds_read2_b32 v[60:61], v56 offset0:32 offset1:48
	ds_read2_b32 v[62:63], v56 offset0:64 offset1:80
	;; [unrolled: 1-line block ×3, first 2 shown]
	s_movk_i32 s10, 0x7fff
	s_waitcnt lgkmcnt(3)
	v_max3_f32 v54, v58, s43, v59
	s_waitcnt lgkmcnt(2)
	v_max3_f32 v54, v54, v60, v61
	v_sub_f32_e32 v55, v58, v54
	v_mul_f32_e32 v55, 0x3fb8aa3b, v55
	v_exp_f32_e32 v58, v55
	v_sub_f32_e32 v55, v59, v54
	v_mul_f32_e32 v55, 0x3fb8aa3b, v55
	v_exp_f32_e32 v59, v55
	v_sub_f32_e32 v55, v60, v54
	v_mul_f32_e32 v55, 0x3fb8aa3b, v55
	v_exp_f32_e32 v60, v55
	v_sub_f32_e32 v55, v61, v54
	v_mul_f32_e32 v55, 0x3fb8aa3b, v55
	v_exp_f32_e32 v61, v55
	s_waitcnt lgkmcnt(1)
	v_fma_f32 v55, v58, v62, 0
	v_fmac_f32_e32 v55, v59, v63
	s_waitcnt lgkmcnt(0)
	v_fmac_f32_e32 v55, v60, v56
	v_fmac_f32_e32 v55, v61, v57
	v_add_f32_e32 v56, 0x358637bd, v55
	v_div_scale_f32 v57, s[2:3], v56, v56, 1.0
	v_rcp_f32_e32 v62, v57
	s_mov_b32 s11, 0x7060302
	s_barrier
	v_fma_f32 v63, -v57, v62, 1.0
	v_fmac_f32_e32 v62, v63, v62
	v_div_scale_f32 v63, vcc, 1.0, v56, 1.0
	v_mul_f32_e32 v64, v63, v62
	v_fma_f32 v65, -v57, v64, v63
	v_fmac_f32_e32 v64, v65, v62
	v_fma_f32 v57, -v57, v64, v63
	v_div_fmas_f32 v57, v57, v62, v64
	v_cmp_eq_u32_e32 vcc, 1, v53
	v_div_fixup_f32 v56, v57, v56, 1.0
	v_cndmask_b32_e32 v57, v58, v59, vcc
	v_cmp_eq_u32_e32 vcc, 2, v53
	v_cndmask_b32_e32 v57, v57, v60, vcc
	v_cmp_eq_u32_e32 vcc, 3, v53
	v_cndmask_b32_e32 v57, v57, v61, vcc
	v_mul_f32_e32 v56, v57, v56
	v_pk_mul_f32 v[38:39], v[56:57], v[38:39] op_sel_hi:[0,1]
	v_pk_mul_f32 v[48:49], v[56:57], v[48:49] op_sel_hi:[0,1]
	v_bfe_u32 v57, v39, 16, 1
	v_bfe_u32 v58, v38, 16, 1
	v_add3_u32 v38, v38, v58, s10
	v_add3_u32 v39, v39, v57, s10
	v_perm_b32 v58, v39, v38, s11
	v_bfe_u32 v38, v49, 16, 1
	v_bfe_u32 v39, v48, 16, 1
	v_add3_u32 v39, v48, v39, s10
	v_add3_u32 v38, v49, v38, s10
	v_perm_b32 v59, v38, v39, s11
	v_lshlrev_b32_e32 v38, 3, v1
	v_lshlrev_b32_e32 v39, 5, v52
	;; [unrolled: 1-line block ×3, first 2 shown]
	v_pk_mul_f32 v[40:41], v[56:57], v[40:41] op_sel_hi:[0,1]
	v_or3_b32 v38, v48, v39, v38
	v_pk_mul_f32 v[48:49], v[56:57], v[50:51] op_sel_hi:[0,1]
	v_bfe_u32 v50, v41, 16, 1
	v_bfe_u32 v51, v40, 16, 1
	v_add3_u32 v40, v40, v51, s10
	v_add3_u32 v41, v41, v50, s10
	v_perm_b32 v40, v41, v40, s11
	v_bfe_u32 v41, v49, 16, 1
	v_bfe_u32 v50, v48, 16, 1
	v_add3_u32 v48, v48, v50, s10
	v_add3_u32 v41, v49, v41, s10
	v_perm_b32 v41, v41, v48, s11
	v_pk_mul_f32 v[42:43], v[56:57], v[42:43] op_sel_hi:[0,1]
	ds_write2st64_b64 v38, v[58:59], v[40:41] offset1:1
	v_pk_mul_f32 v[40:41], v[56:57], v[46:47] op_sel_hi:[0,1]
	v_bfe_u32 v46, v43, 16, 1
	v_bfe_u32 v47, v42, 16, 1
	v_add3_u32 v42, v42, v47, s10
	v_add3_u32 v43, v43, v46, s10
	v_perm_b32 v42, v43, v42, s11
	v_bfe_u32 v43, v41, 16, 1
	v_bfe_u32 v46, v40, 16, 1
	v_add3_u32 v40, v40, v46, s10
	v_add3_u32 v41, v41, v43, s10
	v_perm_b32 v43, v41, v40, s11
	v_pk_mul_f32 v[40:41], v[56:57], v[44:45] op_sel_hi:[0,1]
	v_bfe_u32 v44, v41, 16, 1
	v_bfe_u32 v45, v40, 16, 1
	v_pk_mul_f32 v[36:37], v[56:57], v[36:37] op_sel_hi:[0,1]
	v_add3_u32 v40, v40, v45, s10
	v_add3_u32 v41, v41, v44, s10
	v_perm_b32 v40, v41, v40, s11
	v_bfe_u32 v41, v37, 16, 1
	v_bfe_u32 v44, v36, 16, 1
	v_add3_u32 v36, v36, v44, s10
	v_add3_u32 v37, v37, v41, s10
	s_mul_i32 s9, s42, 11
	v_perm_b32 v41, v37, v36, s11
	v_cmp_gt_u32_e32 vcc, 11, v0
	ds_write2st64_b64 v38, v[42:43], v[40:41] offset0:2 offset1:3
	s_and_saveexec_b64 s[2:3], vcc
	s_cbranch_execz .LBB278_17
; %bb.16:
	v_add_co_u32_e32 v40, vcc, s29, v52
	v_addc_co_u32_e64 v41, s[16:17], 0, 0, vcc
	v_mov_b32_e32 v36, s9
	v_mov_b32_e32 v37, 0
	v_mad_u64_u32 v[40:41], s[16:17], s6, v36, v[40:41]
	v_mov_b32_e32 v36, s28
	s_load_dwordx4 s[12:15], s[4:5], 0x58
	s_mul_i32 s7, s7, s9
	v_mad_u64_u32 v[36:37], s[16:17], v40, s8, v[36:37]
	v_add_u32_e32 v41, s7, v41
	v_mov_b32_e32 v40, v37
	v_mad_u64_u32 v[40:41], s[16:17], v41, s8, v[40:41]
	v_mov_b32_e32 v37, v40
	v_lshlrev_b64 v[36:37], 2, v[36:37]
	s_waitcnt lgkmcnt(0)
	v_mov_b32_e32 v41, s15
	v_add_co_u32_e32 v40, vcc, s14, v36
	v_addc_co_u32_e32 v41, vcc, v41, v37, vcc
	global_store_dword v[40:41], v54, off
	v_mov_b32_e32 v40, s13
	v_add_co_u32_e32 v36, vcc, s12, v36
	v_addc_co_u32_e32 v37, vcc, v40, v37, vcc
	global_store_dword v[36:37], v55, off
.LBB278_17:
	s_or_b64 exec, exec, s[2:3]
	v_lshl_or_b32 v36, v1, 9, v39
	s_waitcnt lgkmcnt(0)
	s_barrier
	ds_read_b128 v[40:43], v36
	ds_read_b128 v[44:47], v36 offset:16
	s_waitcnt vmcnt(7) lgkmcnt(1)
	v_mfma_f32_16x16x16bf16_1k v[48:51], v[14:15], v[40:41], 0
	v_cmp_gt_u32_e32 vcc, 64, v0
	s_mov_b32 s3, 0
	s_and_b64 s[0:1], vcc, s[0:1]
	v_mfma_f32_16x16x16bf16_1k v[14:17], v[16:17], v[42:43], v[48:51]
	s_waitcnt vmcnt(6) lgkmcnt(0)
	v_mfma_f32_16x16x16bf16_1k v[14:17], v[10:11], v[44:45], v[14:17]
	v_mfma_f32_16x16x16bf16_1k v[10:13], v[12:13], v[46:47], v[14:17]
	s_nop 7
	s_nop 1
	ds_read_b128 v[14:17], v36 offset:2048
	ds_read_b128 v[40:43], v36 offset:2064
	s_waitcnt vmcnt(5) lgkmcnt(1)
	v_mfma_f32_16x16x16bf16_1k v[10:13], v[6:7], v[14:15], v[10:13]
	v_mfma_f32_16x16x16bf16_1k v[6:9], v[8:9], v[16:17], v[10:13]
	s_waitcnt vmcnt(4) lgkmcnt(0)
	v_mfma_f32_16x16x16bf16_1k v[6:9], v[2:3], v[40:41], v[6:9]
	v_mfma_f32_16x16x16bf16_1k v[2:5], v[4:5], v[42:43], v[6:9]
	s_nop 7
	s_nop 1
	ds_read_b128 v[6:9], v36 offset:4096
	ds_read_b128 v[10:13], v36 offset:4112
	s_waitcnt vmcnt(3) lgkmcnt(1)
	v_mfma_f32_16x16x16bf16_1k v[2:5], v[30:31], v[6:7], v[2:5]
	v_mfma_f32_16x16x16bf16_1k v[2:5], v[32:33], v[8:9], v[2:5]
	s_waitcnt vmcnt(2) lgkmcnt(0)
	v_mfma_f32_16x16x16bf16_1k v[2:5], v[22:23], v[10:11], v[2:5]
	v_mfma_f32_16x16x16bf16_1k v[2:5], v[24:25], v[12:13], v[2:5]
	ds_read_b128 v[6:9], v36 offset:6144
	ds_read_b128 v[10:13], v36 offset:6160
	s_waitcnt lgkmcnt(0)
	s_barrier
	s_waitcnt vmcnt(1)
	v_mfma_f32_16x16x16bf16_1k v[2:5], v[26:27], v[6:7], v[2:5]
	v_mfma_f32_16x16x16bf16_1k v[2:5], v[28:29], v[8:9], v[2:5]
	s_waitcnt vmcnt(0)
	v_mfma_f32_16x16x16bf16_1k v[2:5], v[18:19], v[10:11], v[2:5]
	v_mfma_f32_16x16x16bf16_1k v[2:5], v[20:21], v[12:13], v[2:5]
	s_nop 7
	s_nop 2
	v_bfe_u32 v6, v3, 16, 1
	v_bfe_u32 v7, v2, 16, 1
	;; [unrolled: 1-line block ×4, first 2 shown]
	v_add3_u32 v2, v2, v7, s10
	v_add3_u32 v3, v3, v6, s10
	;; [unrolled: 1-line block ×4, first 2 shown]
	v_perm_b32 v2, v3, v2, s11
	v_perm_b32 v3, v5, v4, s11
	ds_write_b64 v38, v[2:3]
	s_waitcnt lgkmcnt(0)
	s_barrier
	s_and_saveexec_b64 s[10:11], s[0:1]
	s_cbranch_execz .LBB278_20
; %bb.18:
	s_load_dwordx2 s[4:5], s[4:5], 0x68
	s_lshl_b32 s0, s8, 6
	s_mul_i32 s1, s9, s6
	s_mul_hi_u32 s7, s1, s0
	s_mul_i32 s6, s1, s0
	s_lshl_b64 s[6:7], s[6:7], 1
	s_waitcnt lgkmcnt(0)
	s_add_u32 s1, s4, s6
	v_lshlrev_b32_e32 v2, 10, v0
	v_lshlrev_b32_e32 v0, 4, v0
	s_addc_u32 s4, s5, s7
	s_lshl_b32 s2, s28, 6
	v_and_b32_e32 v2, 0x1800, v2
	v_lshlrev_b32_e32 v3, 5, v1
	v_and_b32_e32 v0, 16, v0
	s_lshl_b64 s[2:3], s[2:3], 1
	v_or3_b32 v0, v2, v3, v0
	s_add_u32 s1, s1, s2
	s_addc_u32 s2, s4, s3
	ds_read_b128 v[4:7], v0 offset:128
	ds_read_b128 v[8:11], v0
	v_add_u32_e32 v14, s29, v1
	v_mov_b32_e32 v3, s2
	v_add_co_u32_e32 v2, vcc, s1, v34
	v_mad_u64_u32 v[12:13], s[2:3], v14, s0, 0
	v_addc_co_u32_e32 v3, vcc, v3, v35, vcc
	v_lshlrev_b64 v[12:13], 1, v[12:13]
	v_add_co_u32_e32 v12, vcc, v2, v12
	v_addc_co_u32_e32 v13, vcc, v3, v13, vcc
	s_waitcnt lgkmcnt(0)
	global_store_dwordx4 v[12:13], v[8:11], off
	s_nop 0
	v_add_u32_e32 v8, 4, v14
	v_mad_u64_u32 v[8:9], s[2:3], v8, s0, 0
	v_lshlrev_b64 v[8:9], 1, v[8:9]
	v_add_co_u32_e32 v8, vcc, v2, v8
	v_addc_co_u32_e32 v9, vcc, v3, v9, vcc
	v_cmp_ne_u32_e32 vcc, 3, v1
	global_store_dwordx4 v[8:9], v[4:7], off
	s_and_b64 exec, exec, vcc
	s_cbranch_execz .LBB278_20
; %bb.19:
	ds_read_b128 v[4:7], v0 offset:256
	v_add3_u32 v0, s29, v1, 8
	v_mad_u64_u32 v[0:1], s[0:1], v0, s0, 0
	v_lshlrev_b64 v[0:1], 1, v[0:1]
	v_add_co_u32_e32 v0, vcc, v2, v0
	v_addc_co_u32_e32 v1, vcc, v3, v1, vcc
	s_waitcnt lgkmcnt(0)
	global_store_dwordx4 v[0:1], v[4:7], off
.LBB278_20:
	s_endpgm
	.section	.rodata,"a",@progbits
	.p2align	6, 0x0
	.amdhsa_kernel _Z39paged_attention_ll4mi_QKV_mfma16_kernelI14__hip_bfloat16S0_LN4vllm18Fp8KVCacheDataTypeE0ES0_Li32ELi64ELi256ELb0ELi11EL8MFMAType0EEvPKT_PKT0_S9_ifPKiSB_SB_iPKfiiiPfSE_PS4_PT2_iSD_SD_
		.amdhsa_group_segment_fixed_size 8192
		.amdhsa_private_segment_fixed_size 0
		.amdhsa_kernarg_size 400
		.amdhsa_user_sgpr_count 6
		.amdhsa_user_sgpr_private_segment_buffer 1
		.amdhsa_user_sgpr_dispatch_ptr 0
		.amdhsa_user_sgpr_queue_ptr 0
		.amdhsa_user_sgpr_kernarg_segment_ptr 1
		.amdhsa_user_sgpr_dispatch_id 0
		.amdhsa_user_sgpr_flat_scratch_init 0
		.amdhsa_user_sgpr_kernarg_preload_length 0
		.amdhsa_user_sgpr_kernarg_preload_offset 0
		.amdhsa_user_sgpr_private_segment_size 0
		.amdhsa_uses_dynamic_stack 0
		.amdhsa_system_sgpr_private_segment_wavefront_offset 0
		.amdhsa_system_sgpr_workgroup_id_x 1
		.amdhsa_system_sgpr_workgroup_id_y 1
		.amdhsa_system_sgpr_workgroup_id_z 1
		.amdhsa_system_sgpr_workgroup_info 0
		.amdhsa_system_vgpr_workitem_id 0
		.amdhsa_next_free_vgpr 66
		.amdhsa_next_free_sgpr 48
		.amdhsa_accum_offset 68
		.amdhsa_reserve_vcc 1
		.amdhsa_reserve_flat_scratch 0
		.amdhsa_float_round_mode_32 0
		.amdhsa_float_round_mode_16_64 0
		.amdhsa_float_denorm_mode_32 3
		.amdhsa_float_denorm_mode_16_64 3
		.amdhsa_dx10_clamp 1
		.amdhsa_ieee_mode 1
		.amdhsa_fp16_overflow 0
		.amdhsa_tg_split 0
		.amdhsa_exception_fp_ieee_invalid_op 0
		.amdhsa_exception_fp_denorm_src 0
		.amdhsa_exception_fp_ieee_div_zero 0
		.amdhsa_exception_fp_ieee_overflow 0
		.amdhsa_exception_fp_ieee_underflow 0
		.amdhsa_exception_fp_ieee_inexact 0
		.amdhsa_exception_int_div_zero 0
	.end_amdhsa_kernel
	.section	.text._Z39paged_attention_ll4mi_QKV_mfma16_kernelI14__hip_bfloat16S0_LN4vllm18Fp8KVCacheDataTypeE0ES0_Li32ELi64ELi256ELb0ELi11EL8MFMAType0EEvPKT_PKT0_S9_ifPKiSB_SB_iPKfiiiPfSE_PS4_PT2_iSD_SD_,"axG",@progbits,_Z39paged_attention_ll4mi_QKV_mfma16_kernelI14__hip_bfloat16S0_LN4vllm18Fp8KVCacheDataTypeE0ES0_Li32ELi64ELi256ELb0ELi11EL8MFMAType0EEvPKT_PKT0_S9_ifPKiSB_SB_iPKfiiiPfSE_PS4_PT2_iSD_SD_,comdat
.Lfunc_end278:
	.size	_Z39paged_attention_ll4mi_QKV_mfma16_kernelI14__hip_bfloat16S0_LN4vllm18Fp8KVCacheDataTypeE0ES0_Li32ELi64ELi256ELb0ELi11EL8MFMAType0EEvPKT_PKT0_S9_ifPKiSB_SB_iPKfiiiPfSE_PS4_PT2_iSD_SD_, .Lfunc_end278-_Z39paged_attention_ll4mi_QKV_mfma16_kernelI14__hip_bfloat16S0_LN4vllm18Fp8KVCacheDataTypeE0ES0_Li32ELi64ELi256ELb0ELi11EL8MFMAType0EEvPKT_PKT0_S9_ifPKiSB_SB_iPKfiiiPfSE_PS4_PT2_iSD_SD_
                                        ; -- End function
	.section	.AMDGPU.csdata,"",@progbits
; Kernel info:
; codeLenInByte = 4364
; NumSgprs: 52
; NumVgprs: 66
; NumAgprs: 0
; TotalNumVgprs: 66
; ScratchSize: 0
; MemoryBound: 0
; FloatMode: 240
; IeeeMode: 1
; LDSByteSize: 8192 bytes/workgroup (compile time only)
; SGPRBlocks: 6
; VGPRBlocks: 8
; NumSGPRsForWavesPerEU: 52
; NumVGPRsForWavesPerEU: 66
; AccumOffset: 68
; Occupancy: 7
; WaveLimiterHint : 1
; COMPUTE_PGM_RSRC2:SCRATCH_EN: 0
; COMPUTE_PGM_RSRC2:USER_SGPR: 6
; COMPUTE_PGM_RSRC2:TRAP_HANDLER: 0
; COMPUTE_PGM_RSRC2:TGID_X_EN: 1
; COMPUTE_PGM_RSRC2:TGID_Y_EN: 1
; COMPUTE_PGM_RSRC2:TGID_Z_EN: 1
; COMPUTE_PGM_RSRC2:TIDIG_COMP_CNT: 0
; COMPUTE_PGM_RSRC3_GFX90A:ACCUM_OFFSET: 16
; COMPUTE_PGM_RSRC3_GFX90A:TG_SPLIT: 0
	.section	.text._Z39paged_attention_ll4mi_QKV_mfma16_kernelI14__hip_bfloat16S0_LN4vllm18Fp8KVCacheDataTypeE0ES0_Li32ELi64ELi256ELb0ELi12EL8MFMAType0EEvPKT_PKT0_S9_ifPKiSB_SB_iPKfiiiPfSE_PS4_PT2_iSD_SD_,"axG",@progbits,_Z39paged_attention_ll4mi_QKV_mfma16_kernelI14__hip_bfloat16S0_LN4vllm18Fp8KVCacheDataTypeE0ES0_Li32ELi64ELi256ELb0ELi12EL8MFMAType0EEvPKT_PKT0_S9_ifPKiSB_SB_iPKfiiiPfSE_PS4_PT2_iSD_SD_,comdat
	.protected	_Z39paged_attention_ll4mi_QKV_mfma16_kernelI14__hip_bfloat16S0_LN4vllm18Fp8KVCacheDataTypeE0ES0_Li32ELi64ELi256ELb0ELi12EL8MFMAType0EEvPKT_PKT0_S9_ifPKiSB_SB_iPKfiiiPfSE_PS4_PT2_iSD_SD_ ; -- Begin function _Z39paged_attention_ll4mi_QKV_mfma16_kernelI14__hip_bfloat16S0_LN4vllm18Fp8KVCacheDataTypeE0ES0_Li32ELi64ELi256ELb0ELi12EL8MFMAType0EEvPKT_PKT0_S9_ifPKiSB_SB_iPKfiiiPfSE_PS4_PT2_iSD_SD_
	.globl	_Z39paged_attention_ll4mi_QKV_mfma16_kernelI14__hip_bfloat16S0_LN4vllm18Fp8KVCacheDataTypeE0ES0_Li32ELi64ELi256ELb0ELi12EL8MFMAType0EEvPKT_PKT0_S9_ifPKiSB_SB_iPKfiiiPfSE_PS4_PT2_iSD_SD_
	.p2align	8
	.type	_Z39paged_attention_ll4mi_QKV_mfma16_kernelI14__hip_bfloat16S0_LN4vllm18Fp8KVCacheDataTypeE0ES0_Li32ELi64ELi256ELb0ELi12EL8MFMAType0EEvPKT_PKT0_S9_ifPKiSB_SB_iPKfiiiPfSE_PS4_PT2_iSD_SD_,@function
_Z39paged_attention_ll4mi_QKV_mfma16_kernelI14__hip_bfloat16S0_LN4vllm18Fp8KVCacheDataTypeE0ES0_Li32ELi64ELi256ELb0ELi12EL8MFMAType0EEvPKT_PKT0_S9_ifPKiSB_SB_iPKfiiiPfSE_PS4_PT2_iSD_SD_: ; @_Z39paged_attention_ll4mi_QKV_mfma16_kernelI14__hip_bfloat16S0_LN4vllm18Fp8KVCacheDataTypeE0ES0_Li32ELi64ELi256ELb0ELi12EL8MFMAType0EEvPKT_PKT0_S9_ifPKiSB_SB_iPKfiiiPfSE_PS4_PT2_iSD_SD_
; %bb.0:
	s_load_dwordx2 s[0:1], s[4:5], 0x30
	s_mov_b32 s28, s7
	s_mov_b64 s[10:11], 0
	s_waitcnt lgkmcnt(0)
	s_cmp_lg_u64 s[0:1], 0
	s_cselect_b64 s[2:3], -1, 0
	s_and_b64 vcc, exec, s[2:3]
	s_cbranch_vccz .LBB279_7
; %bb.1:
	s_add_i32 s12, s6, 1
	s_mov_b32 s13, 0
	s_lshl_b64 s[14:15], s[12:13], 2
	s_add_u32 s14, s0, s14
	s_mov_b32 s7, s13
	s_addc_u32 s15, s1, s15
	s_lshl_b64 s[12:13], s[6:7], 2
	s_add_u32 s12, s0, s12
	s_addc_u32 s13, s1, s13
	s_load_dword s9, s[14:15], 0x0
	s_load_dword s16, s[12:13], 0x0
	s_waitcnt lgkmcnt(0)
	s_sub_i32 s9, s9, s16
	s_cmp_eq_u32 s9, 1
	s_cselect_b64 s[12:13], -1, 0
	s_andn2_b64 vcc, exec, s[10:11]
	s_cbranch_vccnz .LBB279_3
.LBB279_2:
	s_mov_b32 s7, 0
	s_mov_b64 s[12:13], -1
.LBB279_3:
	s_andn2_b64 vcc, exec, s[12:13]
	s_cbranch_vccnz .LBB279_19
; %bb.4:
	s_load_dwordx2 s[12:13], s[4:5], 0x28
	s_lshl_b64 s[10:11], s[6:7], 2
	s_waitcnt lgkmcnt(0)
	s_add_u32 s12, s12, s10
	s_addc_u32 s13, s13, s11
	s_load_dword s33, s[12:13], 0x0
	s_lshl_b32 s16, s28, 8
	s_waitcnt lgkmcnt(0)
	s_cmp_ge_i32 s16, s33
	s_cbranch_scc1 .LBB279_19
; %bb.5:
	s_add_i32 s14, s33, 31
	s_load_dwordx2 s[12:13], s[4:5], 0x20
	s_load_dword s9, s[4:5], 0x38
	s_ashr_i32 s15, s14, 31
	v_and_b32_e32 v1, 0xcf, v0
	s_lshr_b32 s15, s15, 27
	v_add_u32_e32 v1, s16, v1
	s_add_i32 s14, s14, s15
	v_ashrrev_i32_e32 v2, 31, v1
	s_ashr_i32 s19, s14, 5
	v_lshrrev_b32_e32 v6, 27, v2
	s_add_i32 s19, s19, -1
	v_add_u32_e32 v2, v1, v6
	s_waitcnt lgkmcnt(0)
	s_mul_i32 s14, s6, s9
	s_mov_b32 s15, 0
	v_ashrrev_i32_e32 v2, 5, v2
	v_mov_b32_e32 v7, s19
	v_cmp_gt_i32_e32 vcc, s33, v1
	s_lshl_b64 s[14:15], s[14:15], 2
	v_cndmask_b32_e32 v2, v7, v2, vcc
	s_add_u32 s17, s12, s14
	v_ashrrev_i32_e32 v3, 31, v2
	s_addc_u32 s18, s13, s15
	v_lshlrev_b64 v[2:3], 2, v[2:3]
	v_mov_b32_e32 v4, s18
	v_add_co_u32_e32 v2, vcc, s17, v2
	v_addc_co_u32_e32 v3, vcc, v4, v3, vcc
	v_or_b32_e32 v4, 16, v1
	v_add_u32_e32 v5, v4, v6
	v_ashrrev_i32_e32 v5, 5, v5
	v_cmp_gt_i32_e32 vcc, s33, v4
	v_cndmask_b32_e32 v4, v7, v5, vcc
	v_ashrrev_i32_e32 v5, 31, v4
	v_lshlrev_b64 v[4:5], 2, v[4:5]
	v_mov_b32_e32 v9, s18
	v_add_co_u32_e32 v8, vcc, s17, v4
	v_or_b32_e32 v4, 32, v1
	v_addc_co_u32_e32 v9, vcc, v9, v5, vcc
	v_add_u32_e32 v5, v4, v6
	v_ashrrev_i32_e32 v5, 5, v5
	v_cmp_gt_i32_e32 vcc, s33, v4
	v_cndmask_b32_e32 v4, v7, v5, vcc
	v_ashrrev_i32_e32 v5, 31, v4
	v_lshlrev_b64 v[4:5], 2, v[4:5]
	v_mov_b32_e32 v11, s18
	v_add_co_u32_e32 v10, vcc, s17, v4
	v_or_b32_e32 v1, 48, v1
	v_addc_co_u32_e32 v11, vcc, v11, v5, vcc
	v_add_u32_e32 v4, v1, v6
	v_ashrrev_i32_e32 v4, 5, v4
	v_cmp_gt_i32_e32 vcc, s33, v1
	v_cndmask_b32_e32 v4, v7, v4, vcc
	v_ashrrev_i32_e32 v5, 31, v4
	v_lshlrev_b64 v[4:5], 2, v[4:5]
	v_mov_b32_e32 v1, s18
	v_add_co_u32_e32 v12, vcc, s17, v4
	v_addc_co_u32_e32 v13, vcc, v1, v5, vcc
	global_load_dword v4, v[2:3], off
	global_load_dword v6, v[8:9], off
	global_load_dword v19, v[10:11], off
	global_load_dword v18, v[12:13], off
	s_andn2_b64 vcc, exec, s[2:3]
	s_cbranch_vccnz .LBB279_8
; %bb.6:
	s_add_u32 s0, s0, s10
	s_addc_u32 s1, s1, s11
	s_load_dword s9, s[0:1], 0x0
	s_branch .LBB279_9
.LBB279_7:
	s_mov_b64 s[12:13], 0
	s_branch .LBB279_2
.LBB279_8:
	s_mov_b32 s9, s6
.LBB279_9:
	s_load_dwordx4 s[12:15], s[4:5], 0x8
	s_load_dwordx4 s[44:47], s[4:5], 0x48
	v_and_b32_e32 v52, 15, v0
	s_movk_i32 s0, 0xbf
	v_cmp_lt_u32_e32 vcc, s0, v0
	v_cmp_lt_u32_e64 s[2:3], 7, v52
	v_lshlrev_b32_e32 v2, 3, v52
	v_cmp_gt_u32_e64 s[0:1], 8, v52
	s_or_b64 s[2:3], vcc, s[2:3]
	s_and_saveexec_b64 s[10:11], s[2:3]
	s_xor_b64 s[2:3], exec, s[10:11]
; %bb.10:
	v_mov_b32_e32 v3, 0
; %bb.11:
	s_or_saveexec_b64 s[2:3], s[2:3]
	v_lshrrev_b32_e32 v53, 6, v0
	v_and_b32_e32 v54, 63, v0
	v_bfe_u32 v1, v0, 4, 2
	s_mul_i32 s29, s8, 12
	s_xor_b64 exec, exec, s[2:3]
	s_cbranch_execz .LBB279_13
; %bb.12:
	s_load_dwordx2 s[10:11], s[4:5], 0x0
	s_waitcnt lgkmcnt(0)
	s_ashr_i32 s20, s44, 31
	s_mul_hi_u32 s21, s9, s44
	s_mul_i32 s20, s9, s20
	v_lshl_or_b32 v5, v53, 2, v1
	s_add_i32 s21, s21, s20
	s_mul_i32 s20, s9, s44
	s_lshl_b64 s[20:21], s[20:21], 1
	v_add_lshl_u32 v8, v5, s29, 6
	s_add_u32 s9, s10, s20
	v_ashrrev_i32_e32 v9, 31, v8
	s_addc_u32 s10, s11, s21
	v_lshlrev_b64 v[8:9], 1, v[8:9]
	v_mov_b32_e32 v3, s10
	v_add_co_u32_e32 v7, vcc, s9, v8
	v_addc_co_u32_e32 v3, vcc, v3, v9, vcc
	v_lshlrev_b32_e32 v8, 1, v2
	v_add_co_u32_e32 v8, vcc, v7, v8
	v_addc_co_u32_e32 v9, vcc, 0, v3, vcc
	global_load_dwordx4 v[8:11], v[8:9], off
	v_and_b32_e32 v7, 3, v0
	v_lshlrev_b32_e32 v12, 9, v52
	v_lshlrev_b32_e32 v5, 5, v5
	;; [unrolled: 1-line block ×3, first 2 shown]
	v_and_b32_e32 v12, 0x1800, v12
	v_mov_b32_e32 v3, 0
	v_or3_b32 v5, v12, v7, v5
	s_waitcnt vmcnt(0)
	ds_write_b128 v5, v[8:11]
.LBB279_13:
	s_or_b64 exec, exec, s[2:3]
	s_waitcnt lgkmcnt(0)
	s_mul_i32 s8, s8, s46
	s_mov_b32 s9, 0
	s_lshl_b64 s[8:9], s[8:9], 1
	s_add_u32 s3, s12, s8
	s_waitcnt vmcnt(3)
	v_mad_i64_i32 v[4:5], s[10:11], v4, s45, 0
	s_addc_u32 s12, s13, s9
	v_lshlrev_b64 v[4:5], 1, v[4:5]
	v_mov_b32_e32 v7, s12
	v_add_co_u32_e32 v4, vcc, s3, v4
	v_addc_co_u32_e32 v5, vcc, v7, v5, vcc
	v_lshlrev_b64 v[34:35], 1, v[2:3]
	v_add_co_u32_e32 v2, vcc, v4, v34
	v_lshlrev_b32_e32 v28, 9, v1
	v_addc_co_u32_e32 v3, vcc, v5, v35, vcc
	v_add_co_u32_e32 v20, vcc, v2, v28
	v_addc_co_u32_e32 v21, vcc, 0, v3, vcc
	s_load_dword s42, s[4:5], 0x98
	s_load_dword s2, s[4:5], 0x1c
	s_waitcnt lgkmcnt(0)
	s_barrier
	global_load_dwordx4 v[2:5], v[20:21], off
	s_waitcnt vmcnt(3)
	v_mad_i64_i32 v[6:7], s[10:11], v6, s45, 0
	v_lshlrev_b64 v[6:7], 1, v[6:7]
	v_mov_b32_e32 v8, s12
	v_add_co_u32_e32 v6, vcc, s3, v6
	v_addc_co_u32_e32 v7, vcc, v8, v7, vcc
	v_mov_b32_e32 v8, 0x100
	v_lshl_or_b32 v29, v52, 4, v8
	v_add_co_u32_e32 v6, vcc, v6, v29
	v_addc_co_u32_e32 v7, vcc, 0, v7, vcc
	v_add_co_u32_e32 v22, vcc, v6, v28
	v_addc_co_u32_e32 v23, vcc, 0, v7, vcc
	global_load_dwordx4 v[10:13], v[22:23], off
	global_load_dwordx4 v[14:17], v[20:21], off offset:2048
	global_load_dwordx4 v[6:9], v[22:23], off offset:2048
	v_add_u32_e32 v22, -12, v52
	v_cmp_gt_u32_e32 vcc, 12, v52
	s_waitcnt vmcnt(5)
	v_mad_i64_i32 v[20:21], s[10:11], v19, s45, 0
	s_waitcnt vmcnt(4)
	v_mad_i64_i32 v[18:19], s[10:11], v18, s45, 0
	v_cndmask_b32_e32 v22, v22, v52, vcc
	v_lshlrev_b64 v[26:27], 1, v[18:19]
	v_lshl_add_u32 v18, v22, 5, v28
	v_lshlrev_b64 v[32:33], 1, v[20:21]
	ds_read_b128 v[22:25], v18
	ds_read_b128 v[18:21], v18 offset:2048
	v_mov_b32_e32 v36, s12
	v_add_co_u32_e32 v32, vcc, s3, v32
	v_addc_co_u32_e32 v33, vcc, v36, v33, vcc
	v_mov_b32_e32 v50, s12
	v_and_or_b32 v31, v0, 48, s16
	s_ashr_i32 s10, s16, 31
	v_or_b32_e32 v49, 64, v31
	s_lshr_b32 s10, s10, 27
	v_mov_b32_e32 v30, s19
	v_mov_b32_e32 v48, s18
	s_mov_b32 s43, 0xff7fffff
	s_waitcnt vmcnt(3) lgkmcnt(1)
	v_mfma_f32_16x16x16bf16_1k v[36:39], v[2:3], v[22:23], 0
	v_add_co_u32_e32 v2, vcc, v32, v34
	v_addc_co_u32_e32 v3, vcc, v33, v35, vcc
	v_add_co_u32_e32 v32, vcc, v2, v28
	v_addc_co_u32_e32 v33, vcc, 0, v3, vcc
	global_load_dwordx4 v[44:47], v[32:33], off
	v_mfma_f32_16x16x16bf16_1k v[2:5], v[4:5], v[24:25], v[36:39]
	s_waitcnt vmcnt(3)
	v_mfma_f32_16x16x16bf16_1k v[40:43], v[10:11], v[22:23], 0
	v_add_co_u32_e32 v10, vcc, s3, v26
	v_addc_co_u32_e32 v11, vcc, v50, v27, vcc
	v_add_co_u32_e32 v10, vcc, v10, v29
	v_add_u32_e32 v26, s10, v31
	v_add_u32_e32 v27, s10, v49
	v_addc_co_u32_e32 v11, vcc, 0, v11, vcc
	v_ashrrev_i32_e32 v36, 5, v26
	v_ashrrev_i32_e32 v50, 5, v27
	v_add_co_u32_e32 v10, vcc, v10, v28
	global_load_dwordx4 v[26:29], v[32:33], off offset:2048
	s_waitcnt vmcnt(3) lgkmcnt(0)
	v_mfma_f32_16x16x16bf16_1k v[2:5], v[14:15], v[18:19], v[2:5]
	v_addc_co_u32_e32 v11, vcc, 0, v11, vcc
	v_cmp_gt_i32_e32 vcc, s33, v31
	v_cndmask_b32_e32 v14, v30, v36, vcc
	v_ashrrev_i32_e32 v15, 31, v14
	global_load_dwordx4 v[36:39], v[10:11], off
	global_load_dwordx4 v[56:59], v[10:11], off offset:2048
	v_lshlrev_b64 v[10:11], 2, v[14:15]
	v_mfma_f32_16x16x16bf16_1k v[60:63], v[16:17], v[20:21], v[2:5]
	v_mov_b32_e32 v15, s18
	s_add_u32 s3, s14, s8
	s_addc_u32 s8, s15, s9
	s_nop 3
	v_add_co_u32_e32 v2, vcc, s17, v10
	v_addc_co_u32_e32 v3, vcc, v48, v11, vcc
	global_load_dword v14, v[2:3], off
	v_cmp_gt_i32_e32 vcc, s33, v49
	v_cndmask_b32_e32 v2, v30, v50, vcc
	v_ashrrev_i32_e32 v3, 31, v2
	v_lshlrev_b64 v[10:11], 2, v[2:3]
	v_mfma_f32_16x16x16bf16_1k v[2:5], v[12:13], v[24:25], v[40:43]
	v_add_co_u32_e32 v10, vcc, s17, v10
	v_addc_co_u32_e32 v11, vcc, v15, v11, vcc
	global_load_dword v32, v[10:11], off
	v_or_b32_e32 v10, 0x80, v31
	v_add_u32_e32 v11, s10, v10
	v_ashrrev_i32_e32 v11, 5, v11
	v_cmp_gt_i32_e32 vcc, s33, v10
	s_waitcnt vmcnt(6)
	v_mfma_f32_16x16x16bf16_1k v[2:5], v[6:7], v[18:19], v[2:5]
	v_cndmask_b32_e32 v10, v30, v11, vcc
	v_ashrrev_i32_e32 v11, 31, v10
	v_lshlrev_b64 v[6:7], 2, v[10:11]
	v_mov_b32_e32 v10, s18
	v_add_co_u32_e32 v6, vcc, s17, v6
	v_addc_co_u32_e32 v7, vcc, v10, v7, vcc
	global_load_dword v33, v[6:7], off
	v_mfma_f32_16x16x16bf16_1k v[40:43], v[8:9], v[20:21], v[2:5]
	v_or_b32_e32 v6, 0xc0, v31
	v_add_u32_e32 v7, s10, v6
	v_ashrrev_i32_e32 v7, 5, v7
	v_cmp_gt_i32_e32 vcc, s33, v6
	v_cndmask_b32_e32 v6, v30, v7, vcc
	v_ashrrev_i32_e32 v7, 31, v6
	v_lshlrev_b64 v[6:7], 2, v[6:7]
	s_waitcnt vmcnt(6)
	v_mfma_f32_16x16x16bf16_1k v[2:5], v[44:45], v[22:23], 0
	v_mov_b32_e32 v8, s18
	v_add_co_u32_e32 v6, vcc, s17, v6
	v_addc_co_u32_e32 v7, vcc, v8, v7, vcc
	global_load_dword v55, v[6:7], off
	v_and_b32_e32 v6, 16, v0
	v_mfma_f32_16x16x16bf16_1k v[2:5], v[46:47], v[24:25], v[2:5]
	v_lshlrev_b32_e32 v6, 1, v6
	v_mov_b32_e32 v7, s8
	v_add_co_u32_e32 v6, vcc, s3, v6
	v_lshlrev_b32_e32 v8, 6, v52
	v_addc_co_u32_e32 v7, vcc, 0, v7, vcc
	s_waitcnt vmcnt(6)
	v_mfma_f32_16x16x16bf16_1k v[2:5], v[26:27], v[18:19], v[2:5]
	v_lshl_or_b32 v8, v53, 10, v8
	v_add_co_u32_e32 v64, vcc, v6, v8
	v_addc_co_u32_e32 v65, vcc, 0, v7, vcc
	v_pk_mul_f32 v[48:49], s[2:3], v[62:63] op_sel_hi:[0,1]
	v_pk_mul_f32 v[40:41], s[2:3], v[40:41] op_sel_hi:[0,1]
	v_mfma_f32_16x16x16bf16_1k v[26:29], v[28:29], v[20:21], v[2:5]
	v_pk_mul_f32 v[50:51], s[2:3], v[42:43] op_sel_hi:[0,1]
	s_waitcnt vmcnt(1)
	v_mad_i64_i32 v[30:31], s[8:9], v33, s45, 0
	s_nop 3
	v_mad_i64_i32 v[2:3], s[8:9], v14, s45, 0
	v_lshlrev_b64 v[6:7], 1, v[2:3]
	v_mfma_f32_16x16x16bf16_1k v[2:5], v[36:37], v[22:23], 0
	s_nop 0
	v_pk_mul_f32 v[42:43], s[2:3], v[26:27] op_sel_hi:[0,1]
	v_add_co_u32_e32 v6, vcc, v64, v6
	v_addc_co_u32_e32 v7, vcc, v65, v7, vcc
	global_load_dwordx4 v[14:17], v[6:7], off
	global_load_dwordx4 v[10:13], v[6:7], off offset:16
	v_mad_i64_i32 v[6:7], s[8:9], v32, s45, 0
	v_mfma_f32_16x16x16bf16_1k v[22:25], v[38:39], v[24:25], v[2:5]
	v_pk_mul_f32 v[46:47], s[2:3], v[28:29] op_sel_hi:[0,1]
	v_lshlrev_b64 v[6:7], 1, v[6:7]
	v_lshlrev_b64 v[30:31], 1, v[30:31]
	v_mfma_f32_16x16x16bf16_1k v[22:25], v[56:57], v[18:19], v[22:25]
	v_pk_mul_f32 v[18:19], s[2:3], v[60:61] op_sel_hi:[0,1]
	s_nop 1
	v_add_co_u32_e32 v2, vcc, v64, v6
	v_addc_co_u32_e32 v3, vcc, v65, v7, vcc
	v_add_co_u32_e32 v38, vcc, v64, v30
	v_mfma_f32_16x16x16bf16_1k v[20:23], v[58:59], v[20:21], v[22:25]
	v_addc_co_u32_e32 v39, vcc, v65, v31, vcc
	global_load_dwordx4 v[6:9], v[2:3], off
	s_nop 0
	global_load_dwordx4 v[2:5], v[2:3], off offset:16
	s_nop 6
	v_pk_mul_f32 v[44:45], s[2:3], v[20:21] op_sel_hi:[0,1]
	v_and_b32_e32 v20, 0xc0, v0
	v_add_u32_e32 v20, s16, v20
	v_lshl_or_b32 v20, v1, 2, v20
	v_pk_mul_f32 v[36:37], s[2:3], v[22:23] op_sel_hi:[0,1]
	v_or_b32_e32 v23, 1, v20
	v_mov_b32_e32 v21, 0xff7fffff
	v_cmp_gt_i32_e64 s[30:31], s33, v20
	v_cmp_gt_i32_e64 s[34:35], s33, v23
	v_cndmask_b32_e64 v22, v21, v18, s[30:31]
	v_cndmask_b32_e64 v23, v21, v19, s[34:35]
	v_max3_f32 v22, v22, s43, v23
	v_or_b32_e32 v23, 2, v20
	v_or_b32_e32 v24, 3, v20
	v_cmp_gt_i32_e64 s[36:37], s33, v23
	v_cmp_gt_i32_e64 s[38:39], s33, v24
	v_cndmask_b32_e64 v23, v21, v48, s[36:37]
	v_cndmask_b32_e64 v24, v21, v49, s[38:39]
	v_max3_f32 v22, v22, v23, v24
	v_or_b32_e32 v23, 16, v20
	v_or_b32_e32 v24, 17, v20
	;; [unrolled: 7-line block ×7, first 2 shown]
	v_cmp_gt_i32_e32 vcc, s33, v23
	v_cmp_gt_i32_e64 s[2:3], s33, v20
	v_cndmask_b32_e32 v23, v21, v36, vcc
	v_cndmask_b32_e64 v20, v21, v37, s[2:3]
	v_max3_f32 v26, v22, v23, v20
	v_mbcnt_lo_u32_b32 v20, -1, 0
	v_mbcnt_hi_u32_b32 v27, -1, v20
	v_and_b32_e32 v20, 64, v27
	v_add_u32_e32 v28, 64, v20
	v_xor_b32_e32 v20, 32, v27
	v_cmp_lt_i32_e64 s[40:41], v20, v28
	v_cndmask_b32_e64 v20, v27, v20, s[40:41]
	v_lshlrev_b32_e32 v56, 2, v20
	ds_bpermute_b32 v29, v56, v26
	s_waitcnt vmcnt(4)
	v_mad_i64_i32 v[20:21], s[40:41], v55, s45, 0
	v_lshlrev_b64 v[20:21], 1, v[20:21]
	global_load_dwordx4 v[30:33], v[38:39], off
	global_load_dwordx4 v[22:25], v[38:39], off offset:16
	s_waitcnt lgkmcnt(0)
	v_max_f32_e32 v29, v29, v29
	v_max_f32_e32 v26, v26, v29
	v_xor_b32_e32 v29, 16, v27
	v_cmp_lt_i32_e64 s[40:41], v29, v28
	v_cndmask_b32_e64 v27, v27, v29, s[40:41]
	v_lshlrev_b32_e32 v58, 2, v27
	ds_bpermute_b32 v27, v58, v26
	v_add_co_u32_e64 v20, s[40:41], v64, v20
	v_addc_co_u32_e64 v21, s[40:41], v65, v21, s[40:41]
	s_waitcnt lgkmcnt(0)
	v_max_f32_e32 v27, v27, v27
	v_max_f32_e32 v55, v26, v27
	v_sub_f32_e32 v18, v18, v55
	v_mul_f32_e32 v18, 0x3fb8aa3b, v18
	v_exp_f32_e32 v38, v18
	v_sub_f32_e32 v18, v19, v55
	v_mul_f32_e32 v18, 0x3fb8aa3b, v18
	v_exp_f32_e32 v39, v18
	global_load_dwordx4 v[26:29], v[20:21], off
	s_nop 0
	global_load_dwordx4 v[18:21], v[20:21], off offset:16
	v_sub_f32_e32 v48, v48, v55
	v_mul_f32_e32 v48, 0x3fb8aa3b, v48
	v_sub_f32_e32 v49, v49, v55
	v_exp_f32_e32 v48, v48
	v_mul_f32_e32 v49, 0x3fb8aa3b, v49
	v_sub_f32_e32 v40, v40, v55
	v_exp_f32_e32 v49, v49
	v_mul_f32_e32 v40, 0x3fb8aa3b, v40
	v_sub_f32_e32 v41, v41, v55
	v_cndmask_b32_e64 v38, 0, v38, s[30:31]
	v_exp_f32_e32 v40, v40
	v_mul_f32_e32 v41, 0x3fb8aa3b, v41
	v_sub_f32_e32 v50, v50, v55
	v_add_f32_e32 v57, 0, v38
	v_cndmask_b32_e64 v39, 0, v39, s[34:35]
	v_exp_f32_e32 v41, v41
	v_mul_f32_e32 v50, 0x3fb8aa3b, v50
	v_sub_f32_e32 v51, v51, v55
	v_add_f32_e32 v57, v57, v39
	;; [unrolled: 5-line block ×10, first 2 shown]
	v_cndmask_b32_e64 v46, 0, v46, s[12:13]
	v_exp_f32_e32 v36, v36
	v_mul_f32_e32 v37, 0x3fb8aa3b, v37
	v_add_f32_e32 v57, v57, v46
	v_cndmask_b32_e64 v47, 0, v47, s[14:15]
	v_exp_f32_e32 v37, v37
	v_add_f32_e32 v57, v57, v47
	v_cndmask_b32_e64 v44, 0, v44, s[8:9]
	v_add_f32_e32 v57, v57, v44
	v_cndmask_b32_e64 v45, 0, v45, s[10:11]
	v_add_f32_e32 v57, v57, v45
	v_cndmask_b32_e32 v36, 0, v36, vcc
	v_add_f32_e32 v57, v57, v36
	v_cndmask_b32_e64 v37, 0, v37, s[2:3]
	v_add_f32_e32 v57, v57, v37
	ds_bpermute_b32 v56, v56, v57
	v_cmp_gt_u32_e32 vcc, 16, v54
	s_waitcnt lgkmcnt(0)
	s_barrier
	v_add_f32_e32 v57, v57, v56
	ds_bpermute_b32 v58, v58, v57
	v_lshlrev_b32_e32 v56, 2, v52
	s_and_saveexec_b64 s[2:3], vcc
	s_cbranch_execz .LBB279_15
; %bb.14:
	s_waitcnt lgkmcnt(0)
	v_add_f32_e32 v54, v57, v58
	v_lshl_or_b32 v57, v53, 6, v56
	ds_write2st64_b32 v57, v55, v54 offset1:1
.LBB279_15:
	s_or_b64 exec, exec, s[2:3]
	s_load_dword s8, s[4:5], 0x94
	s_waitcnt lgkmcnt(0)
	s_barrier
	ds_read2_b32 v[58:59], v56 offset1:16
	ds_read2_b32 v[60:61], v56 offset0:32 offset1:48
	ds_read2_b32 v[62:63], v56 offset0:64 offset1:80
	;; [unrolled: 1-line block ×3, first 2 shown]
	s_movk_i32 s10, 0x7fff
	s_waitcnt lgkmcnt(3)
	v_max3_f32 v54, v58, s43, v59
	s_waitcnt lgkmcnt(2)
	v_max3_f32 v54, v54, v60, v61
	v_sub_f32_e32 v55, v58, v54
	v_mul_f32_e32 v55, 0x3fb8aa3b, v55
	v_exp_f32_e32 v58, v55
	v_sub_f32_e32 v55, v59, v54
	v_mul_f32_e32 v55, 0x3fb8aa3b, v55
	v_exp_f32_e32 v59, v55
	;; [unrolled: 3-line block ×4, first 2 shown]
	s_waitcnt lgkmcnt(1)
	v_fma_f32 v55, v58, v62, 0
	v_fmac_f32_e32 v55, v59, v63
	s_waitcnt lgkmcnt(0)
	v_fmac_f32_e32 v55, v60, v56
	v_fmac_f32_e32 v55, v61, v57
	v_add_f32_e32 v56, 0x358637bd, v55
	v_div_scale_f32 v57, s[2:3], v56, v56, 1.0
	v_rcp_f32_e32 v62, v57
	s_mov_b32 s11, 0x7060302
	s_barrier
	v_fma_f32 v63, -v57, v62, 1.0
	v_fmac_f32_e32 v62, v63, v62
	v_div_scale_f32 v63, vcc, 1.0, v56, 1.0
	v_mul_f32_e32 v64, v63, v62
	v_fma_f32 v65, -v57, v64, v63
	v_fmac_f32_e32 v64, v65, v62
	v_fma_f32 v57, -v57, v64, v63
	v_div_fmas_f32 v57, v57, v62, v64
	v_cmp_eq_u32_e32 vcc, 1, v53
	v_div_fixup_f32 v56, v57, v56, 1.0
	v_cndmask_b32_e32 v57, v58, v59, vcc
	v_cmp_eq_u32_e32 vcc, 2, v53
	v_cndmask_b32_e32 v57, v57, v60, vcc
	v_cmp_eq_u32_e32 vcc, 3, v53
	v_cndmask_b32_e32 v57, v57, v61, vcc
	v_mul_f32_e32 v56, v57, v56
	v_pk_mul_f32 v[38:39], v[56:57], v[38:39] op_sel_hi:[0,1]
	v_pk_mul_f32 v[48:49], v[56:57], v[48:49] op_sel_hi:[0,1]
	v_bfe_u32 v57, v39, 16, 1
	v_bfe_u32 v58, v38, 16, 1
	v_add3_u32 v38, v38, v58, s10
	v_add3_u32 v39, v39, v57, s10
	v_perm_b32 v58, v39, v38, s11
	v_bfe_u32 v38, v49, 16, 1
	v_bfe_u32 v39, v48, 16, 1
	v_add3_u32 v39, v48, v39, s10
	v_add3_u32 v38, v49, v38, s10
	v_perm_b32 v59, v38, v39, s11
	v_lshlrev_b32_e32 v38, 3, v1
	v_lshlrev_b32_e32 v39, 5, v52
	;; [unrolled: 1-line block ×3, first 2 shown]
	v_pk_mul_f32 v[40:41], v[56:57], v[40:41] op_sel_hi:[0,1]
	v_or3_b32 v38, v48, v39, v38
	v_pk_mul_f32 v[48:49], v[56:57], v[50:51] op_sel_hi:[0,1]
	v_bfe_u32 v50, v41, 16, 1
	v_bfe_u32 v51, v40, 16, 1
	v_add3_u32 v40, v40, v51, s10
	v_add3_u32 v41, v41, v50, s10
	v_perm_b32 v40, v41, v40, s11
	v_bfe_u32 v41, v49, 16, 1
	v_bfe_u32 v50, v48, 16, 1
	v_add3_u32 v48, v48, v50, s10
	v_add3_u32 v41, v49, v41, s10
	v_perm_b32 v41, v41, v48, s11
	v_pk_mul_f32 v[42:43], v[56:57], v[42:43] op_sel_hi:[0,1]
	ds_write2st64_b64 v38, v[58:59], v[40:41] offset1:1
	v_pk_mul_f32 v[40:41], v[56:57], v[46:47] op_sel_hi:[0,1]
	v_bfe_u32 v46, v43, 16, 1
	v_bfe_u32 v47, v42, 16, 1
	v_add3_u32 v42, v42, v47, s10
	v_add3_u32 v43, v43, v46, s10
	v_perm_b32 v42, v43, v42, s11
	v_bfe_u32 v43, v41, 16, 1
	v_bfe_u32 v46, v40, 16, 1
	v_add3_u32 v40, v40, v46, s10
	v_add3_u32 v41, v41, v43, s10
	v_perm_b32 v43, v41, v40, s11
	v_pk_mul_f32 v[40:41], v[56:57], v[44:45] op_sel_hi:[0,1]
	v_bfe_u32 v44, v41, 16, 1
	v_bfe_u32 v45, v40, 16, 1
	v_pk_mul_f32 v[36:37], v[56:57], v[36:37] op_sel_hi:[0,1]
	v_add3_u32 v40, v40, v45, s10
	v_add3_u32 v41, v41, v44, s10
	v_perm_b32 v40, v41, v40, s11
	v_bfe_u32 v41, v37, 16, 1
	v_bfe_u32 v44, v36, 16, 1
	v_add3_u32 v36, v36, v44, s10
	v_add3_u32 v37, v37, v41, s10
	s_mul_i32 s9, s42, 12
	v_perm_b32 v41, v37, v36, s11
	v_cmp_gt_u32_e32 vcc, 12, v0
	ds_write2st64_b64 v38, v[42:43], v[40:41] offset0:2 offset1:3
	s_and_saveexec_b64 s[2:3], vcc
	s_cbranch_execz .LBB279_17
; %bb.16:
	v_add_co_u32_e32 v40, vcc, s29, v52
	v_addc_co_u32_e64 v41, s[16:17], 0, 0, vcc
	v_mov_b32_e32 v36, s9
	v_mov_b32_e32 v37, 0
	v_mad_u64_u32 v[40:41], s[16:17], s6, v36, v[40:41]
	v_mov_b32_e32 v36, s28
	s_load_dwordx4 s[12:15], s[4:5], 0x58
	s_mul_i32 s7, s7, s9
	v_mad_u64_u32 v[36:37], s[16:17], v40, s8, v[36:37]
	v_add_u32_e32 v41, s7, v41
	v_mov_b32_e32 v40, v37
	v_mad_u64_u32 v[40:41], s[16:17], v41, s8, v[40:41]
	v_mov_b32_e32 v37, v40
	v_lshlrev_b64 v[36:37], 2, v[36:37]
	s_waitcnt lgkmcnt(0)
	v_mov_b32_e32 v41, s15
	v_add_co_u32_e32 v40, vcc, s14, v36
	v_addc_co_u32_e32 v41, vcc, v41, v37, vcc
	global_store_dword v[40:41], v54, off
	v_mov_b32_e32 v40, s13
	v_add_co_u32_e32 v36, vcc, s12, v36
	v_addc_co_u32_e32 v37, vcc, v40, v37, vcc
	global_store_dword v[36:37], v55, off
.LBB279_17:
	s_or_b64 exec, exec, s[2:3]
	v_lshl_or_b32 v36, v1, 9, v39
	s_waitcnt lgkmcnt(0)
	s_barrier
	ds_read_b128 v[40:43], v36
	ds_read_b128 v[44:47], v36 offset:16
	s_waitcnt vmcnt(7) lgkmcnt(1)
	v_mfma_f32_16x16x16bf16_1k v[48:51], v[14:15], v[40:41], 0
	v_cmp_gt_u32_e32 vcc, 64, v0
	s_mov_b32 s3, 0
	s_and_b64 s[0:1], vcc, s[0:1]
	v_mfma_f32_16x16x16bf16_1k v[14:17], v[16:17], v[42:43], v[48:51]
	s_waitcnt vmcnt(6) lgkmcnt(0)
	v_mfma_f32_16x16x16bf16_1k v[14:17], v[10:11], v[44:45], v[14:17]
	v_mfma_f32_16x16x16bf16_1k v[10:13], v[12:13], v[46:47], v[14:17]
	s_nop 7
	s_nop 1
	ds_read_b128 v[14:17], v36 offset:2048
	ds_read_b128 v[40:43], v36 offset:2064
	s_waitcnt vmcnt(5) lgkmcnt(1)
	v_mfma_f32_16x16x16bf16_1k v[10:13], v[6:7], v[14:15], v[10:13]
	v_mfma_f32_16x16x16bf16_1k v[6:9], v[8:9], v[16:17], v[10:13]
	s_waitcnt vmcnt(4) lgkmcnt(0)
	v_mfma_f32_16x16x16bf16_1k v[6:9], v[2:3], v[40:41], v[6:9]
	v_mfma_f32_16x16x16bf16_1k v[2:5], v[4:5], v[42:43], v[6:9]
	s_nop 7
	s_nop 1
	ds_read_b128 v[6:9], v36 offset:4096
	ds_read_b128 v[10:13], v36 offset:4112
	s_waitcnt vmcnt(3) lgkmcnt(1)
	v_mfma_f32_16x16x16bf16_1k v[2:5], v[30:31], v[6:7], v[2:5]
	v_mfma_f32_16x16x16bf16_1k v[2:5], v[32:33], v[8:9], v[2:5]
	s_waitcnt vmcnt(2) lgkmcnt(0)
	v_mfma_f32_16x16x16bf16_1k v[2:5], v[22:23], v[10:11], v[2:5]
	v_mfma_f32_16x16x16bf16_1k v[2:5], v[24:25], v[12:13], v[2:5]
	ds_read_b128 v[6:9], v36 offset:6144
	ds_read_b128 v[10:13], v36 offset:6160
	s_waitcnt lgkmcnt(0)
	s_barrier
	s_waitcnt vmcnt(1)
	v_mfma_f32_16x16x16bf16_1k v[2:5], v[26:27], v[6:7], v[2:5]
	v_mfma_f32_16x16x16bf16_1k v[2:5], v[28:29], v[8:9], v[2:5]
	s_waitcnt vmcnt(0)
	v_mfma_f32_16x16x16bf16_1k v[2:5], v[18:19], v[10:11], v[2:5]
	v_mfma_f32_16x16x16bf16_1k v[2:5], v[20:21], v[12:13], v[2:5]
	s_nop 7
	s_nop 2
	v_bfe_u32 v6, v3, 16, 1
	v_bfe_u32 v7, v2, 16, 1
	;; [unrolled: 1-line block ×4, first 2 shown]
	v_add3_u32 v2, v2, v7, s10
	v_add3_u32 v3, v3, v6, s10
	;; [unrolled: 1-line block ×4, first 2 shown]
	v_perm_b32 v2, v3, v2, s11
	v_perm_b32 v3, v5, v4, s11
	ds_write_b64 v38, v[2:3]
	s_waitcnt lgkmcnt(0)
	s_barrier
	s_and_saveexec_b64 s[10:11], s[0:1]
	s_cbranch_execz .LBB279_19
; %bb.18:
	s_load_dwordx2 s[0:1], s[4:5], 0x68
	s_lshl_b32 s7, s8, 6
	s_mul_i32 s2, s9, s6
	s_mul_hi_u32 s5, s2, s7
	s_mul_i32 s4, s2, s7
	s_lshl_b64 s[4:5], s[4:5], 1
	s_waitcnt lgkmcnt(0)
	s_add_u32 s4, s0, s4
	s_addc_u32 s5, s1, s5
	s_lshl_b32 s2, s28, 6
	v_lshlrev_b32_e32 v2, 10, v0
	v_lshlrev_b32_e32 v0, 4, v0
	s_lshl_b64 s[0:1], s[2:3], 1
	v_and_b32_e32 v2, 0x1800, v2
	v_lshlrev_b32_e32 v3, 5, v1
	v_and_b32_e32 v0, 16, v0
	s_add_u32 s0, s4, s0
	v_or3_b32 v0, v2, v3, v0
	s_addc_u32 s1, s5, s1
	ds_read_b128 v[2:5], v0
	ds_read_b128 v[6:9], v0 offset:128
	ds_read_b128 v[10:13], v0 offset:256
	v_or_b32_e32 v14, s29, v1
	v_mov_b32_e32 v0, s1
	v_add_co_u32_e32 v15, vcc, s0, v34
	v_addc_co_u32_e32 v16, vcc, v0, v35, vcc
	v_mad_u64_u32 v[0:1], s[0:1], v14, s7, 0
	v_lshlrev_b64 v[0:1], 1, v[0:1]
	v_add_co_u32_e32 v0, vcc, v15, v0
	v_addc_co_u32_e32 v1, vcc, v16, v1, vcc
	s_waitcnt lgkmcnt(2)
	global_store_dwordx4 v[0:1], v[2:5], off
	v_add_u32_e32 v0, 4, v14
	v_mad_u64_u32 v[0:1], s[0:1], v0, s7, 0
	v_lshlrev_b64 v[0:1], 1, v[0:1]
	v_add_co_u32_e32 v0, vcc, v15, v0
	v_addc_co_u32_e32 v1, vcc, v16, v1, vcc
	s_waitcnt lgkmcnt(1)
	global_store_dwordx4 v[0:1], v[6:9], off
	v_add_u32_e32 v0, 8, v14
	v_mad_u64_u32 v[0:1], s[0:1], v0, s7, 0
	v_lshlrev_b64 v[0:1], 1, v[0:1]
	v_add_co_u32_e32 v0, vcc, v15, v0
	v_addc_co_u32_e32 v1, vcc, v16, v1, vcc
	s_waitcnt lgkmcnt(0)
	global_store_dwordx4 v[0:1], v[10:13], off
.LBB279_19:
	s_endpgm
	.section	.rodata,"a",@progbits
	.p2align	6, 0x0
	.amdhsa_kernel _Z39paged_attention_ll4mi_QKV_mfma16_kernelI14__hip_bfloat16S0_LN4vllm18Fp8KVCacheDataTypeE0ES0_Li32ELi64ELi256ELb0ELi12EL8MFMAType0EEvPKT_PKT0_S9_ifPKiSB_SB_iPKfiiiPfSE_PS4_PT2_iSD_SD_
		.amdhsa_group_segment_fixed_size 8192
		.amdhsa_private_segment_fixed_size 0
		.amdhsa_kernarg_size 400
		.amdhsa_user_sgpr_count 6
		.amdhsa_user_sgpr_private_segment_buffer 1
		.amdhsa_user_sgpr_dispatch_ptr 0
		.amdhsa_user_sgpr_queue_ptr 0
		.amdhsa_user_sgpr_kernarg_segment_ptr 1
		.amdhsa_user_sgpr_dispatch_id 0
		.amdhsa_user_sgpr_flat_scratch_init 0
		.amdhsa_user_sgpr_kernarg_preload_length 0
		.amdhsa_user_sgpr_kernarg_preload_offset 0
		.amdhsa_user_sgpr_private_segment_size 0
		.amdhsa_uses_dynamic_stack 0
		.amdhsa_system_sgpr_private_segment_wavefront_offset 0
		.amdhsa_system_sgpr_workgroup_id_x 1
		.amdhsa_system_sgpr_workgroup_id_y 1
		.amdhsa_system_sgpr_workgroup_id_z 1
		.amdhsa_system_sgpr_workgroup_info 0
		.amdhsa_system_vgpr_workitem_id 0
		.amdhsa_next_free_vgpr 66
		.amdhsa_next_free_sgpr 48
		.amdhsa_accum_offset 68
		.amdhsa_reserve_vcc 1
		.amdhsa_reserve_flat_scratch 0
		.amdhsa_float_round_mode_32 0
		.amdhsa_float_round_mode_16_64 0
		.amdhsa_float_denorm_mode_32 3
		.amdhsa_float_denorm_mode_16_64 3
		.amdhsa_dx10_clamp 1
		.amdhsa_ieee_mode 1
		.amdhsa_fp16_overflow 0
		.amdhsa_tg_split 0
		.amdhsa_exception_fp_ieee_invalid_op 0
		.amdhsa_exception_fp_denorm_src 0
		.amdhsa_exception_fp_ieee_div_zero 0
		.amdhsa_exception_fp_ieee_overflow 0
		.amdhsa_exception_fp_ieee_underflow 0
		.amdhsa_exception_fp_ieee_inexact 0
		.amdhsa_exception_int_div_zero 0
	.end_amdhsa_kernel
	.section	.text._Z39paged_attention_ll4mi_QKV_mfma16_kernelI14__hip_bfloat16S0_LN4vllm18Fp8KVCacheDataTypeE0ES0_Li32ELi64ELi256ELb0ELi12EL8MFMAType0EEvPKT_PKT0_S9_ifPKiSB_SB_iPKfiiiPfSE_PS4_PT2_iSD_SD_,"axG",@progbits,_Z39paged_attention_ll4mi_QKV_mfma16_kernelI14__hip_bfloat16S0_LN4vllm18Fp8KVCacheDataTypeE0ES0_Li32ELi64ELi256ELb0ELi12EL8MFMAType0EEvPKT_PKT0_S9_ifPKiSB_SB_iPKfiiiPfSE_PS4_PT2_iSD_SD_,comdat
.Lfunc_end279:
	.size	_Z39paged_attention_ll4mi_QKV_mfma16_kernelI14__hip_bfloat16S0_LN4vllm18Fp8KVCacheDataTypeE0ES0_Li32ELi64ELi256ELb0ELi12EL8MFMAType0EEvPKT_PKT0_S9_ifPKiSB_SB_iPKfiiiPfSE_PS4_PT2_iSD_SD_, .Lfunc_end279-_Z39paged_attention_ll4mi_QKV_mfma16_kernelI14__hip_bfloat16S0_LN4vllm18Fp8KVCacheDataTypeE0ES0_Li32ELi64ELi256ELb0ELi12EL8MFMAType0EEvPKT_PKT0_S9_ifPKiSB_SB_iPKfiiiPfSE_PS4_PT2_iSD_SD_
                                        ; -- End function
	.section	.AMDGPU.csdata,"",@progbits
; Kernel info:
; codeLenInByte = 4352
; NumSgprs: 52
; NumVgprs: 66
; NumAgprs: 0
; TotalNumVgprs: 66
; ScratchSize: 0
; MemoryBound: 0
; FloatMode: 240
; IeeeMode: 1
; LDSByteSize: 8192 bytes/workgroup (compile time only)
; SGPRBlocks: 6
; VGPRBlocks: 8
; NumSGPRsForWavesPerEU: 52
; NumVGPRsForWavesPerEU: 66
; AccumOffset: 68
; Occupancy: 7
; WaveLimiterHint : 1
; COMPUTE_PGM_RSRC2:SCRATCH_EN: 0
; COMPUTE_PGM_RSRC2:USER_SGPR: 6
; COMPUTE_PGM_RSRC2:TRAP_HANDLER: 0
; COMPUTE_PGM_RSRC2:TGID_X_EN: 1
; COMPUTE_PGM_RSRC2:TGID_Y_EN: 1
; COMPUTE_PGM_RSRC2:TGID_Z_EN: 1
; COMPUTE_PGM_RSRC2:TIDIG_COMP_CNT: 0
; COMPUTE_PGM_RSRC3_GFX90A:ACCUM_OFFSET: 16
; COMPUTE_PGM_RSRC3_GFX90A:TG_SPLIT: 0
	.section	.text._Z39paged_attention_ll4mi_QKV_mfma16_kernelI14__hip_bfloat16S0_LN4vllm18Fp8KVCacheDataTypeE0ES0_Li32ELi64ELi256ELb0ELi13EL8MFMAType0EEvPKT_PKT0_S9_ifPKiSB_SB_iPKfiiiPfSE_PS4_PT2_iSD_SD_,"axG",@progbits,_Z39paged_attention_ll4mi_QKV_mfma16_kernelI14__hip_bfloat16S0_LN4vllm18Fp8KVCacheDataTypeE0ES0_Li32ELi64ELi256ELb0ELi13EL8MFMAType0EEvPKT_PKT0_S9_ifPKiSB_SB_iPKfiiiPfSE_PS4_PT2_iSD_SD_,comdat
	.protected	_Z39paged_attention_ll4mi_QKV_mfma16_kernelI14__hip_bfloat16S0_LN4vllm18Fp8KVCacheDataTypeE0ES0_Li32ELi64ELi256ELb0ELi13EL8MFMAType0EEvPKT_PKT0_S9_ifPKiSB_SB_iPKfiiiPfSE_PS4_PT2_iSD_SD_ ; -- Begin function _Z39paged_attention_ll4mi_QKV_mfma16_kernelI14__hip_bfloat16S0_LN4vllm18Fp8KVCacheDataTypeE0ES0_Li32ELi64ELi256ELb0ELi13EL8MFMAType0EEvPKT_PKT0_S9_ifPKiSB_SB_iPKfiiiPfSE_PS4_PT2_iSD_SD_
	.globl	_Z39paged_attention_ll4mi_QKV_mfma16_kernelI14__hip_bfloat16S0_LN4vllm18Fp8KVCacheDataTypeE0ES0_Li32ELi64ELi256ELb0ELi13EL8MFMAType0EEvPKT_PKT0_S9_ifPKiSB_SB_iPKfiiiPfSE_PS4_PT2_iSD_SD_
	.p2align	8
	.type	_Z39paged_attention_ll4mi_QKV_mfma16_kernelI14__hip_bfloat16S0_LN4vllm18Fp8KVCacheDataTypeE0ES0_Li32ELi64ELi256ELb0ELi13EL8MFMAType0EEvPKT_PKT0_S9_ifPKiSB_SB_iPKfiiiPfSE_PS4_PT2_iSD_SD_,@function
_Z39paged_attention_ll4mi_QKV_mfma16_kernelI14__hip_bfloat16S0_LN4vllm18Fp8KVCacheDataTypeE0ES0_Li32ELi64ELi256ELb0ELi13EL8MFMAType0EEvPKT_PKT0_S9_ifPKiSB_SB_iPKfiiiPfSE_PS4_PT2_iSD_SD_: ; @_Z39paged_attention_ll4mi_QKV_mfma16_kernelI14__hip_bfloat16S0_LN4vllm18Fp8KVCacheDataTypeE0ES0_Li32ELi64ELi256ELb0ELi13EL8MFMAType0EEvPKT_PKT0_S9_ifPKiSB_SB_iPKfiiiPfSE_PS4_PT2_iSD_SD_
; %bb.0:
	s_load_dwordx2 s[0:1], s[4:5], 0x30
	s_mov_b32 s28, s7
	s_mov_b64 s[10:11], 0
	s_waitcnt lgkmcnt(0)
	s_cmp_lg_u64 s[0:1], 0
	s_cselect_b64 s[2:3], -1, 0
	s_and_b64 vcc, exec, s[2:3]
	s_cbranch_vccz .LBB280_7
; %bb.1:
	s_add_i32 s12, s6, 1
	s_mov_b32 s13, 0
	s_lshl_b64 s[14:15], s[12:13], 2
	s_add_u32 s14, s0, s14
	s_mov_b32 s7, s13
	s_addc_u32 s15, s1, s15
	s_lshl_b64 s[12:13], s[6:7], 2
	s_add_u32 s12, s0, s12
	s_addc_u32 s13, s1, s13
	s_load_dword s9, s[14:15], 0x0
	s_load_dword s16, s[12:13], 0x0
	s_waitcnt lgkmcnt(0)
	s_sub_i32 s9, s9, s16
	s_cmp_eq_u32 s9, 1
	s_cselect_b64 s[12:13], -1, 0
	s_andn2_b64 vcc, exec, s[10:11]
	s_cbranch_vccnz .LBB280_3
.LBB280_2:
	s_mov_b32 s7, 0
	s_mov_b64 s[12:13], -1
.LBB280_3:
	s_andn2_b64 vcc, exec, s[12:13]
	s_cbranch_vccnz .LBB280_20
; %bb.4:
	s_load_dwordx2 s[12:13], s[4:5], 0x28
	s_lshl_b64 s[10:11], s[6:7], 2
	s_waitcnt lgkmcnt(0)
	s_add_u32 s12, s12, s10
	s_addc_u32 s13, s13, s11
	s_load_dword s33, s[12:13], 0x0
	s_lshl_b32 s16, s28, 8
	s_waitcnt lgkmcnt(0)
	s_cmp_ge_i32 s16, s33
	s_cbranch_scc1 .LBB280_20
; %bb.5:
	s_add_i32 s14, s33, 31
	s_load_dwordx2 s[12:13], s[4:5], 0x20
	s_load_dword s9, s[4:5], 0x38
	s_ashr_i32 s15, s14, 31
	v_and_b32_e32 v1, 0xcf, v0
	s_lshr_b32 s15, s15, 27
	v_add_u32_e32 v1, s16, v1
	s_add_i32 s14, s14, s15
	v_ashrrev_i32_e32 v2, 31, v1
	s_ashr_i32 s19, s14, 5
	v_lshrrev_b32_e32 v6, 27, v2
	s_add_i32 s19, s19, -1
	v_add_u32_e32 v2, v1, v6
	s_waitcnt lgkmcnt(0)
	s_mul_i32 s14, s6, s9
	s_mov_b32 s15, 0
	v_ashrrev_i32_e32 v2, 5, v2
	v_mov_b32_e32 v7, s19
	v_cmp_gt_i32_e32 vcc, s33, v1
	s_lshl_b64 s[14:15], s[14:15], 2
	v_cndmask_b32_e32 v2, v7, v2, vcc
	s_add_u32 s17, s12, s14
	v_ashrrev_i32_e32 v3, 31, v2
	s_addc_u32 s18, s13, s15
	v_lshlrev_b64 v[2:3], 2, v[2:3]
	v_mov_b32_e32 v4, s18
	v_add_co_u32_e32 v2, vcc, s17, v2
	v_addc_co_u32_e32 v3, vcc, v4, v3, vcc
	v_or_b32_e32 v4, 16, v1
	v_add_u32_e32 v5, v4, v6
	v_ashrrev_i32_e32 v5, 5, v5
	v_cmp_gt_i32_e32 vcc, s33, v4
	v_cndmask_b32_e32 v4, v7, v5, vcc
	v_ashrrev_i32_e32 v5, 31, v4
	v_lshlrev_b64 v[4:5], 2, v[4:5]
	v_mov_b32_e32 v9, s18
	v_add_co_u32_e32 v8, vcc, s17, v4
	v_or_b32_e32 v4, 32, v1
	v_addc_co_u32_e32 v9, vcc, v9, v5, vcc
	v_add_u32_e32 v5, v4, v6
	v_ashrrev_i32_e32 v5, 5, v5
	v_cmp_gt_i32_e32 vcc, s33, v4
	v_cndmask_b32_e32 v4, v7, v5, vcc
	v_ashrrev_i32_e32 v5, 31, v4
	v_lshlrev_b64 v[4:5], 2, v[4:5]
	v_mov_b32_e32 v11, s18
	v_add_co_u32_e32 v10, vcc, s17, v4
	v_or_b32_e32 v1, 48, v1
	v_addc_co_u32_e32 v11, vcc, v11, v5, vcc
	v_add_u32_e32 v4, v1, v6
	v_ashrrev_i32_e32 v4, 5, v4
	v_cmp_gt_i32_e32 vcc, s33, v1
	v_cndmask_b32_e32 v4, v7, v4, vcc
	v_ashrrev_i32_e32 v5, 31, v4
	v_lshlrev_b64 v[4:5], 2, v[4:5]
	v_mov_b32_e32 v1, s18
	v_add_co_u32_e32 v12, vcc, s17, v4
	v_addc_co_u32_e32 v13, vcc, v1, v5, vcc
	global_load_dword v4, v[2:3], off
	global_load_dword v6, v[8:9], off
	global_load_dword v19, v[10:11], off
	global_load_dword v18, v[12:13], off
	s_andn2_b64 vcc, exec, s[2:3]
	s_cbranch_vccnz .LBB280_8
; %bb.6:
	s_add_u32 s0, s0, s10
	s_addc_u32 s1, s1, s11
	s_load_dword s9, s[0:1], 0x0
	s_branch .LBB280_9
.LBB280_7:
	s_mov_b64 s[12:13], 0
	s_branch .LBB280_2
.LBB280_8:
	s_mov_b32 s9, s6
.LBB280_9:
	s_load_dwordx4 s[12:15], s[4:5], 0x8
	s_load_dwordx4 s[44:47], s[4:5], 0x48
	v_lshrrev_b32_e32 v53, 6, v0
	v_bfe_u32 v1, v0, 4, 2
	v_lshl_or_b32 v5, v53, 2, v1
	v_and_b32_e32 v52, 15, v0
	v_cmp_lt_u32_e32 vcc, 12, v5
	v_cmp_lt_u32_e64 s[2:3], 7, v52
	v_lshlrev_b32_e32 v2, 3, v52
	v_cmp_gt_u32_e64 s[0:1], 8, v52
	s_or_b64 s[2:3], s[2:3], vcc
	s_and_saveexec_b64 s[10:11], s[2:3]
	s_xor_b64 s[2:3], exec, s[10:11]
; %bb.10:
	v_mov_b32_e32 v3, 0
                                        ; implicit-def: $vgpr5
; %bb.11:
	s_or_saveexec_b64 s[2:3], s[2:3]
	v_and_b32_e32 v54, 63, v0
	s_mul_i32 s29, s8, 13
	s_xor_b64 exec, exec, s[2:3]
	s_cbranch_execz .LBB280_13
; %bb.12:
	s_load_dwordx2 s[10:11], s[4:5], 0x0
	s_waitcnt lgkmcnt(0)
	s_ashr_i32 s20, s44, 31
	s_mul_hi_u32 s21, s9, s44
	s_mul_i32 s20, s9, s20
	s_add_i32 s21, s21, s20
	s_mul_i32 s20, s9, s44
	s_lshl_b64 s[20:21], s[20:21], 1
	v_add_lshl_u32 v8, v5, s29, 6
	s_add_u32 s9, s10, s20
	v_ashrrev_i32_e32 v9, 31, v8
	s_addc_u32 s10, s11, s21
	v_lshlrev_b64 v[8:9], 1, v[8:9]
	v_mov_b32_e32 v3, s10
	v_add_co_u32_e32 v7, vcc, s9, v8
	v_addc_co_u32_e32 v3, vcc, v3, v9, vcc
	v_lshlrev_b32_e32 v8, 1, v2
	v_add_co_u32_e32 v8, vcc, v7, v8
	v_addc_co_u32_e32 v9, vcc, 0, v3, vcc
	global_load_dwordx4 v[8:11], v[8:9], off
	v_and_b32_e32 v7, 3, v0
	v_lshlrev_b32_e32 v12, 9, v52
	v_lshlrev_b32_e32 v5, 5, v5
	;; [unrolled: 1-line block ×3, first 2 shown]
	v_and_b32_e32 v12, 0x1800, v12
	v_mov_b32_e32 v3, 0
	v_or3_b32 v5, v12, v7, v5
	s_waitcnt vmcnt(0)
	ds_write_b128 v5, v[8:11]
.LBB280_13:
	s_or_b64 exec, exec, s[2:3]
	s_waitcnt lgkmcnt(0)
	s_mul_i32 s8, s8, s46
	s_mov_b32 s9, 0
	s_lshl_b64 s[8:9], s[8:9], 1
	s_add_u32 s3, s12, s8
	s_waitcnt vmcnt(3)
	v_mad_i64_i32 v[4:5], s[10:11], v4, s45, 0
	s_addc_u32 s12, s13, s9
	v_lshlrev_b64 v[4:5], 1, v[4:5]
	v_mov_b32_e32 v7, s12
	v_add_co_u32_e32 v4, vcc, s3, v4
	v_addc_co_u32_e32 v5, vcc, v7, v5, vcc
	v_lshlrev_b64 v[34:35], 1, v[2:3]
	v_add_co_u32_e32 v2, vcc, v4, v34
	v_lshlrev_b32_e32 v28, 9, v1
	v_addc_co_u32_e32 v3, vcc, v5, v35, vcc
	v_add_co_u32_e32 v20, vcc, v2, v28
	v_addc_co_u32_e32 v21, vcc, 0, v3, vcc
	s_load_dword s42, s[4:5], 0x98
	s_load_dword s2, s[4:5], 0x1c
	s_waitcnt lgkmcnt(0)
	s_barrier
	global_load_dwordx4 v[2:5], v[20:21], off
	s_waitcnt vmcnt(3)
	v_mad_i64_i32 v[6:7], s[10:11], v6, s45, 0
	v_lshlrev_b64 v[6:7], 1, v[6:7]
	v_mov_b32_e32 v8, s12
	v_add_co_u32_e32 v6, vcc, s3, v6
	v_addc_co_u32_e32 v7, vcc, v8, v7, vcc
	v_mov_b32_e32 v8, 0x100
	v_lshl_or_b32 v29, v52, 4, v8
	v_add_co_u32_e32 v6, vcc, v6, v29
	v_addc_co_u32_e32 v7, vcc, 0, v7, vcc
	v_add_co_u32_e32 v22, vcc, v6, v28
	v_addc_co_u32_e32 v23, vcc, 0, v7, vcc
	global_load_dwordx4 v[10:13], v[22:23], off
	global_load_dwordx4 v[14:17], v[20:21], off offset:2048
	global_load_dwordx4 v[6:9], v[22:23], off offset:2048
	v_add_u32_e32 v22, -13, v52
	v_cmp_gt_u32_e32 vcc, 13, v52
	s_waitcnt vmcnt(5)
	v_mad_i64_i32 v[20:21], s[10:11], v19, s45, 0
	s_waitcnt vmcnt(4)
	v_mad_i64_i32 v[18:19], s[10:11], v18, s45, 0
	v_cndmask_b32_e32 v22, v22, v52, vcc
	v_lshlrev_b64 v[26:27], 1, v[18:19]
	v_lshl_add_u32 v18, v22, 5, v28
	v_lshlrev_b64 v[32:33], 1, v[20:21]
	ds_read_b128 v[22:25], v18
	ds_read_b128 v[18:21], v18 offset:2048
	v_mov_b32_e32 v36, s12
	v_add_co_u32_e32 v32, vcc, s3, v32
	v_addc_co_u32_e32 v33, vcc, v36, v33, vcc
	v_mov_b32_e32 v50, s12
	v_and_or_b32 v31, v0, 48, s16
	s_ashr_i32 s10, s16, 31
	v_or_b32_e32 v49, 64, v31
	s_lshr_b32 s10, s10, 27
	v_mov_b32_e32 v30, s19
	v_mov_b32_e32 v48, s18
	s_mov_b32 s43, 0xff7fffff
	s_waitcnt vmcnt(3) lgkmcnt(1)
	v_mfma_f32_16x16x16bf16_1k v[36:39], v[2:3], v[22:23], 0
	v_add_co_u32_e32 v2, vcc, v32, v34
	v_addc_co_u32_e32 v3, vcc, v33, v35, vcc
	v_add_co_u32_e32 v32, vcc, v2, v28
	v_addc_co_u32_e32 v33, vcc, 0, v3, vcc
	global_load_dwordx4 v[44:47], v[32:33], off
	v_mfma_f32_16x16x16bf16_1k v[2:5], v[4:5], v[24:25], v[36:39]
	s_waitcnt vmcnt(3)
	v_mfma_f32_16x16x16bf16_1k v[40:43], v[10:11], v[22:23], 0
	v_add_co_u32_e32 v10, vcc, s3, v26
	v_addc_co_u32_e32 v11, vcc, v50, v27, vcc
	v_add_co_u32_e32 v10, vcc, v10, v29
	v_add_u32_e32 v26, s10, v31
	v_add_u32_e32 v27, s10, v49
	v_addc_co_u32_e32 v11, vcc, 0, v11, vcc
	v_ashrrev_i32_e32 v36, 5, v26
	v_ashrrev_i32_e32 v50, 5, v27
	v_add_co_u32_e32 v10, vcc, v10, v28
	global_load_dwordx4 v[26:29], v[32:33], off offset:2048
	s_waitcnt vmcnt(3) lgkmcnt(0)
	v_mfma_f32_16x16x16bf16_1k v[2:5], v[14:15], v[18:19], v[2:5]
	v_addc_co_u32_e32 v11, vcc, 0, v11, vcc
	v_cmp_gt_i32_e32 vcc, s33, v31
	v_cndmask_b32_e32 v14, v30, v36, vcc
	v_ashrrev_i32_e32 v15, 31, v14
	global_load_dwordx4 v[36:39], v[10:11], off
	global_load_dwordx4 v[56:59], v[10:11], off offset:2048
	v_lshlrev_b64 v[10:11], 2, v[14:15]
	v_mfma_f32_16x16x16bf16_1k v[60:63], v[16:17], v[20:21], v[2:5]
	v_mov_b32_e32 v15, s18
	s_add_u32 s3, s14, s8
	s_addc_u32 s8, s15, s9
	s_nop 3
	v_add_co_u32_e32 v2, vcc, s17, v10
	v_addc_co_u32_e32 v3, vcc, v48, v11, vcc
	global_load_dword v14, v[2:3], off
	v_cmp_gt_i32_e32 vcc, s33, v49
	v_cndmask_b32_e32 v2, v30, v50, vcc
	v_ashrrev_i32_e32 v3, 31, v2
	v_lshlrev_b64 v[10:11], 2, v[2:3]
	v_mfma_f32_16x16x16bf16_1k v[2:5], v[12:13], v[24:25], v[40:43]
	v_add_co_u32_e32 v10, vcc, s17, v10
	v_addc_co_u32_e32 v11, vcc, v15, v11, vcc
	global_load_dword v32, v[10:11], off
	v_or_b32_e32 v10, 0x80, v31
	v_add_u32_e32 v11, s10, v10
	v_ashrrev_i32_e32 v11, 5, v11
	v_cmp_gt_i32_e32 vcc, s33, v10
	s_waitcnt vmcnt(6)
	v_mfma_f32_16x16x16bf16_1k v[2:5], v[6:7], v[18:19], v[2:5]
	v_cndmask_b32_e32 v10, v30, v11, vcc
	v_ashrrev_i32_e32 v11, 31, v10
	v_lshlrev_b64 v[6:7], 2, v[10:11]
	v_mov_b32_e32 v10, s18
	v_add_co_u32_e32 v6, vcc, s17, v6
	v_addc_co_u32_e32 v7, vcc, v10, v7, vcc
	global_load_dword v33, v[6:7], off
	v_mfma_f32_16x16x16bf16_1k v[40:43], v[8:9], v[20:21], v[2:5]
	v_or_b32_e32 v6, 0xc0, v31
	v_add_u32_e32 v7, s10, v6
	v_ashrrev_i32_e32 v7, 5, v7
	v_cmp_gt_i32_e32 vcc, s33, v6
	v_cndmask_b32_e32 v6, v30, v7, vcc
	v_ashrrev_i32_e32 v7, 31, v6
	v_lshlrev_b64 v[6:7], 2, v[6:7]
	s_waitcnt vmcnt(6)
	v_mfma_f32_16x16x16bf16_1k v[2:5], v[44:45], v[22:23], 0
	v_mov_b32_e32 v8, s18
	v_add_co_u32_e32 v6, vcc, s17, v6
	v_addc_co_u32_e32 v7, vcc, v8, v7, vcc
	global_load_dword v55, v[6:7], off
	v_and_b32_e32 v6, 16, v0
	v_mfma_f32_16x16x16bf16_1k v[2:5], v[46:47], v[24:25], v[2:5]
	v_lshlrev_b32_e32 v6, 1, v6
	v_mov_b32_e32 v7, s8
	v_add_co_u32_e32 v6, vcc, s3, v6
	v_lshlrev_b32_e32 v8, 6, v52
	v_addc_co_u32_e32 v7, vcc, 0, v7, vcc
	s_waitcnt vmcnt(6)
	v_mfma_f32_16x16x16bf16_1k v[2:5], v[26:27], v[18:19], v[2:5]
	v_lshl_or_b32 v8, v53, 10, v8
	v_add_co_u32_e32 v64, vcc, v6, v8
	v_addc_co_u32_e32 v65, vcc, 0, v7, vcc
	v_pk_mul_f32 v[48:49], s[2:3], v[62:63] op_sel_hi:[0,1]
	v_pk_mul_f32 v[40:41], s[2:3], v[40:41] op_sel_hi:[0,1]
	v_mfma_f32_16x16x16bf16_1k v[26:29], v[28:29], v[20:21], v[2:5]
	v_pk_mul_f32 v[50:51], s[2:3], v[42:43] op_sel_hi:[0,1]
	s_waitcnt vmcnt(1)
	v_mad_i64_i32 v[30:31], s[8:9], v33, s45, 0
	s_nop 3
	v_mad_i64_i32 v[2:3], s[8:9], v14, s45, 0
	v_lshlrev_b64 v[6:7], 1, v[2:3]
	v_mfma_f32_16x16x16bf16_1k v[2:5], v[36:37], v[22:23], 0
	s_nop 0
	v_pk_mul_f32 v[42:43], s[2:3], v[26:27] op_sel_hi:[0,1]
	v_add_co_u32_e32 v6, vcc, v64, v6
	v_addc_co_u32_e32 v7, vcc, v65, v7, vcc
	global_load_dwordx4 v[14:17], v[6:7], off
	global_load_dwordx4 v[10:13], v[6:7], off offset:16
	v_mad_i64_i32 v[6:7], s[8:9], v32, s45, 0
	v_mfma_f32_16x16x16bf16_1k v[22:25], v[38:39], v[24:25], v[2:5]
	v_pk_mul_f32 v[46:47], s[2:3], v[28:29] op_sel_hi:[0,1]
	v_lshlrev_b64 v[6:7], 1, v[6:7]
	v_lshlrev_b64 v[30:31], 1, v[30:31]
	v_mfma_f32_16x16x16bf16_1k v[22:25], v[56:57], v[18:19], v[22:25]
	v_pk_mul_f32 v[18:19], s[2:3], v[60:61] op_sel_hi:[0,1]
	s_nop 1
	v_add_co_u32_e32 v2, vcc, v64, v6
	v_addc_co_u32_e32 v3, vcc, v65, v7, vcc
	v_add_co_u32_e32 v38, vcc, v64, v30
	v_mfma_f32_16x16x16bf16_1k v[20:23], v[58:59], v[20:21], v[22:25]
	v_addc_co_u32_e32 v39, vcc, v65, v31, vcc
	global_load_dwordx4 v[6:9], v[2:3], off
	s_nop 0
	global_load_dwordx4 v[2:5], v[2:3], off offset:16
	s_nop 6
	v_pk_mul_f32 v[44:45], s[2:3], v[20:21] op_sel_hi:[0,1]
	v_and_b32_e32 v20, 0xc0, v0
	v_add_u32_e32 v20, s16, v20
	v_lshl_or_b32 v20, v1, 2, v20
	v_pk_mul_f32 v[36:37], s[2:3], v[22:23] op_sel_hi:[0,1]
	v_or_b32_e32 v23, 1, v20
	v_mov_b32_e32 v21, 0xff7fffff
	v_cmp_gt_i32_e64 s[30:31], s33, v20
	v_cmp_gt_i32_e64 s[34:35], s33, v23
	v_cndmask_b32_e64 v22, v21, v18, s[30:31]
	v_cndmask_b32_e64 v23, v21, v19, s[34:35]
	v_max3_f32 v22, v22, s43, v23
	v_or_b32_e32 v23, 2, v20
	v_or_b32_e32 v24, 3, v20
	v_cmp_gt_i32_e64 s[36:37], s33, v23
	v_cmp_gt_i32_e64 s[38:39], s33, v24
	v_cndmask_b32_e64 v23, v21, v48, s[36:37]
	v_cndmask_b32_e64 v24, v21, v49, s[38:39]
	v_max3_f32 v22, v22, v23, v24
	v_or_b32_e32 v23, 16, v20
	v_or_b32_e32 v24, 17, v20
	;; [unrolled: 7-line block ×7, first 2 shown]
	v_cmp_gt_i32_e32 vcc, s33, v23
	v_cmp_gt_i32_e64 s[2:3], s33, v20
	v_cndmask_b32_e32 v23, v21, v36, vcc
	v_cndmask_b32_e64 v20, v21, v37, s[2:3]
	v_max3_f32 v26, v22, v23, v20
	v_mbcnt_lo_u32_b32 v20, -1, 0
	v_mbcnt_hi_u32_b32 v27, -1, v20
	v_and_b32_e32 v20, 64, v27
	v_add_u32_e32 v28, 64, v20
	v_xor_b32_e32 v20, 32, v27
	v_cmp_lt_i32_e64 s[40:41], v20, v28
	v_cndmask_b32_e64 v20, v27, v20, s[40:41]
	v_lshlrev_b32_e32 v56, 2, v20
	ds_bpermute_b32 v29, v56, v26
	s_waitcnt vmcnt(4)
	v_mad_i64_i32 v[20:21], s[40:41], v55, s45, 0
	v_lshlrev_b64 v[20:21], 1, v[20:21]
	global_load_dwordx4 v[30:33], v[38:39], off
	global_load_dwordx4 v[22:25], v[38:39], off offset:16
	s_waitcnt lgkmcnt(0)
	v_max_f32_e32 v29, v29, v29
	v_max_f32_e32 v26, v26, v29
	v_xor_b32_e32 v29, 16, v27
	v_cmp_lt_i32_e64 s[40:41], v29, v28
	v_cndmask_b32_e64 v27, v27, v29, s[40:41]
	v_lshlrev_b32_e32 v58, 2, v27
	ds_bpermute_b32 v27, v58, v26
	v_add_co_u32_e64 v20, s[40:41], v64, v20
	v_addc_co_u32_e64 v21, s[40:41], v65, v21, s[40:41]
	s_waitcnt lgkmcnt(0)
	v_max_f32_e32 v27, v27, v27
	v_max_f32_e32 v55, v26, v27
	v_sub_f32_e32 v18, v18, v55
	v_mul_f32_e32 v18, 0x3fb8aa3b, v18
	v_exp_f32_e32 v38, v18
	v_sub_f32_e32 v18, v19, v55
	v_mul_f32_e32 v18, 0x3fb8aa3b, v18
	v_exp_f32_e32 v39, v18
	global_load_dwordx4 v[26:29], v[20:21], off
	s_nop 0
	global_load_dwordx4 v[18:21], v[20:21], off offset:16
	v_sub_f32_e32 v48, v48, v55
	v_mul_f32_e32 v48, 0x3fb8aa3b, v48
	v_sub_f32_e32 v49, v49, v55
	v_exp_f32_e32 v48, v48
	v_mul_f32_e32 v49, 0x3fb8aa3b, v49
	v_sub_f32_e32 v40, v40, v55
	v_exp_f32_e32 v49, v49
	v_mul_f32_e32 v40, 0x3fb8aa3b, v40
	v_sub_f32_e32 v41, v41, v55
	v_cndmask_b32_e64 v38, 0, v38, s[30:31]
	v_exp_f32_e32 v40, v40
	v_mul_f32_e32 v41, 0x3fb8aa3b, v41
	v_sub_f32_e32 v50, v50, v55
	v_add_f32_e32 v57, 0, v38
	v_cndmask_b32_e64 v39, 0, v39, s[34:35]
	v_exp_f32_e32 v41, v41
	v_mul_f32_e32 v50, 0x3fb8aa3b, v50
	v_sub_f32_e32 v51, v51, v55
	v_add_f32_e32 v57, v57, v39
	;; [unrolled: 5-line block ×10, first 2 shown]
	v_cndmask_b32_e64 v46, 0, v46, s[12:13]
	v_exp_f32_e32 v36, v36
	v_mul_f32_e32 v37, 0x3fb8aa3b, v37
	v_add_f32_e32 v57, v57, v46
	v_cndmask_b32_e64 v47, 0, v47, s[14:15]
	v_exp_f32_e32 v37, v37
	v_add_f32_e32 v57, v57, v47
	v_cndmask_b32_e64 v44, 0, v44, s[8:9]
	v_add_f32_e32 v57, v57, v44
	v_cndmask_b32_e64 v45, 0, v45, s[10:11]
	v_add_f32_e32 v57, v57, v45
	v_cndmask_b32_e32 v36, 0, v36, vcc
	v_add_f32_e32 v57, v57, v36
	v_cndmask_b32_e64 v37, 0, v37, s[2:3]
	v_add_f32_e32 v57, v57, v37
	ds_bpermute_b32 v56, v56, v57
	v_cmp_gt_u32_e64 s[2:3], 16, v54
	s_waitcnt lgkmcnt(0)
	s_barrier
	v_add_f32_e32 v57, v57, v56
	ds_bpermute_b32 v58, v58, v57
	v_lshlrev_b32_e32 v56, 2, v52
	s_and_saveexec_b64 s[8:9], s[2:3]
	s_cbranch_execz .LBB280_15
; %bb.14:
	s_waitcnt lgkmcnt(0)
	v_add_f32_e32 v54, v57, v58
	v_lshl_or_b32 v57, v53, 6, v56
	ds_write2st64_b32 v57, v55, v54 offset1:1
.LBB280_15:
	s_or_b64 exec, exec, s[8:9]
	s_load_dword s10, s[4:5], 0x94
	s_waitcnt lgkmcnt(0)
	s_barrier
	ds_read2_b32 v[58:59], v56 offset1:16
	ds_read2_b32 v[60:61], v56 offset0:32 offset1:48
	ds_read2_b32 v[62:63], v56 offset0:64 offset1:80
	;; [unrolled: 1-line block ×3, first 2 shown]
	s_movk_i32 s12, 0x7fff
	s_waitcnt lgkmcnt(3)
	v_max3_f32 v54, v58, s43, v59
	s_waitcnt lgkmcnt(2)
	v_max3_f32 v54, v54, v60, v61
	v_sub_f32_e32 v55, v58, v54
	v_mul_f32_e32 v55, 0x3fb8aa3b, v55
	v_exp_f32_e32 v58, v55
	v_sub_f32_e32 v55, v59, v54
	v_mul_f32_e32 v55, 0x3fb8aa3b, v55
	v_exp_f32_e32 v59, v55
	;; [unrolled: 3-line block ×4, first 2 shown]
	s_waitcnt lgkmcnt(1)
	v_fma_f32 v55, v58, v62, 0
	v_fmac_f32_e32 v55, v59, v63
	s_waitcnt lgkmcnt(0)
	v_fmac_f32_e32 v55, v60, v56
	v_fmac_f32_e32 v55, v61, v57
	v_add_f32_e32 v56, 0x358637bd, v55
	v_div_scale_f32 v57, s[8:9], v56, v56, 1.0
	v_rcp_f32_e32 v62, v57
	s_mov_b32 s13, 0x7060302
	s_barrier
	v_fma_f32 v63, -v57, v62, 1.0
	v_fmac_f32_e32 v62, v63, v62
	v_div_scale_f32 v63, vcc, 1.0, v56, 1.0
	v_mul_f32_e32 v64, v63, v62
	v_fma_f32 v65, -v57, v64, v63
	v_fmac_f32_e32 v64, v65, v62
	v_fma_f32 v57, -v57, v64, v63
	v_div_fmas_f32 v57, v57, v62, v64
	v_cmp_eq_u32_e32 vcc, 1, v53
	v_div_fixup_f32 v56, v57, v56, 1.0
	v_cndmask_b32_e32 v57, v58, v59, vcc
	v_cmp_eq_u32_e32 vcc, 2, v53
	v_cndmask_b32_e32 v57, v57, v60, vcc
	v_cmp_eq_u32_e32 vcc, 3, v53
	v_cndmask_b32_e32 v57, v57, v61, vcc
	v_mul_f32_e32 v56, v57, v56
	v_pk_mul_f32 v[38:39], v[56:57], v[38:39] op_sel_hi:[0,1]
	v_pk_mul_f32 v[48:49], v[56:57], v[48:49] op_sel_hi:[0,1]
	v_bfe_u32 v57, v39, 16, 1
	v_bfe_u32 v58, v38, 16, 1
	v_add3_u32 v38, v38, v58, s12
	v_add3_u32 v39, v39, v57, s12
	v_perm_b32 v58, v39, v38, s13
	v_bfe_u32 v38, v49, 16, 1
	v_bfe_u32 v39, v48, 16, 1
	v_add3_u32 v39, v48, v39, s12
	v_add3_u32 v38, v49, v38, s12
	v_perm_b32 v59, v38, v39, s13
	v_lshlrev_b32_e32 v38, 3, v1
	v_lshlrev_b32_e32 v39, 5, v52
	;; [unrolled: 1-line block ×3, first 2 shown]
	v_pk_mul_f32 v[40:41], v[56:57], v[40:41] op_sel_hi:[0,1]
	v_or3_b32 v38, v48, v39, v38
	v_pk_mul_f32 v[48:49], v[56:57], v[50:51] op_sel_hi:[0,1]
	v_bfe_u32 v50, v41, 16, 1
	v_bfe_u32 v51, v40, 16, 1
	v_add3_u32 v40, v40, v51, s12
	v_add3_u32 v41, v41, v50, s12
	v_perm_b32 v40, v41, v40, s13
	v_bfe_u32 v41, v49, 16, 1
	v_bfe_u32 v50, v48, 16, 1
	v_add3_u32 v48, v48, v50, s12
	v_add3_u32 v41, v49, v41, s12
	v_perm_b32 v41, v41, v48, s13
	v_pk_mul_f32 v[42:43], v[56:57], v[42:43] op_sel_hi:[0,1]
	ds_write2st64_b64 v38, v[58:59], v[40:41] offset1:1
	v_pk_mul_f32 v[40:41], v[56:57], v[46:47] op_sel_hi:[0,1]
	v_bfe_u32 v46, v43, 16, 1
	v_bfe_u32 v47, v42, 16, 1
	v_add3_u32 v42, v42, v47, s12
	v_add3_u32 v43, v43, v46, s12
	v_perm_b32 v42, v43, v42, s13
	v_bfe_u32 v43, v41, 16, 1
	v_bfe_u32 v46, v40, 16, 1
	v_add3_u32 v40, v40, v46, s12
	v_add3_u32 v41, v41, v43, s12
	v_perm_b32 v43, v41, v40, s13
	v_pk_mul_f32 v[40:41], v[56:57], v[44:45] op_sel_hi:[0,1]
	v_bfe_u32 v44, v41, 16, 1
	v_bfe_u32 v45, v40, 16, 1
	v_pk_mul_f32 v[36:37], v[56:57], v[36:37] op_sel_hi:[0,1]
	v_add3_u32 v40, v40, v45, s12
	v_add3_u32 v41, v41, v44, s12
	v_perm_b32 v40, v41, v40, s13
	v_bfe_u32 v41, v37, 16, 1
	v_bfe_u32 v44, v36, 16, 1
	v_add3_u32 v36, v36, v44, s12
	v_add3_u32 v37, v37, v41, s12
	s_mul_i32 s11, s42, 13
	v_perm_b32 v41, v37, v36, s13
	v_cmp_gt_u32_e32 vcc, 13, v0
	ds_write2st64_b64 v38, v[42:43], v[40:41] offset0:2 offset1:3
	s_and_saveexec_b64 s[8:9], vcc
	s_cbranch_execz .LBB280_17
; %bb.16:
	v_add_co_u32_e32 v40, vcc, s29, v52
	v_addc_co_u32_e64 v41, s[14:15], 0, 0, vcc
	v_mov_b32_e32 v36, s11
	v_mov_b32_e32 v37, 0
	v_mad_u64_u32 v[40:41], s[14:15], s6, v36, v[40:41]
	v_mov_b32_e32 v36, s28
	s_load_dwordx4 s[16:19], s[4:5], 0x58
	s_mul_i32 s7, s7, s11
	v_mad_u64_u32 v[36:37], s[14:15], v40, s10, v[36:37]
	v_add_u32_e32 v41, s7, v41
	v_mov_b32_e32 v40, v37
	v_mad_u64_u32 v[40:41], s[14:15], v41, s10, v[40:41]
	v_mov_b32_e32 v37, v40
	v_lshlrev_b64 v[36:37], 2, v[36:37]
	s_waitcnt lgkmcnt(0)
	v_mov_b32_e32 v41, s19
	v_add_co_u32_e32 v40, vcc, s18, v36
	v_addc_co_u32_e32 v41, vcc, v41, v37, vcc
	global_store_dword v[40:41], v54, off
	v_mov_b32_e32 v40, s17
	v_add_co_u32_e32 v36, vcc, s16, v36
	v_addc_co_u32_e32 v37, vcc, v40, v37, vcc
	global_store_dword v[36:37], v55, off
.LBB280_17:
	s_or_b64 exec, exec, s[8:9]
	v_lshl_or_b32 v36, v1, 9, v39
	s_waitcnt lgkmcnt(0)
	s_barrier
	ds_read_b128 v[40:43], v36
	ds_read_b128 v[44:47], v36 offset:16
	s_waitcnt vmcnt(7) lgkmcnt(1)
	v_mfma_f32_16x16x16bf16_1k v[48:51], v[14:15], v[40:41], 0
	v_cmp_gt_u32_e32 vcc, 64, v0
	s_mov_b32 s7, 0
	s_and_b64 s[0:1], vcc, s[0:1]
	v_mfma_f32_16x16x16bf16_1k v[14:17], v[16:17], v[42:43], v[48:51]
	s_waitcnt vmcnt(6) lgkmcnt(0)
	v_mfma_f32_16x16x16bf16_1k v[14:17], v[10:11], v[44:45], v[14:17]
	v_mfma_f32_16x16x16bf16_1k v[10:13], v[12:13], v[46:47], v[14:17]
	s_nop 7
	s_nop 1
	ds_read_b128 v[14:17], v36 offset:2048
	ds_read_b128 v[40:43], v36 offset:2064
	s_waitcnt vmcnt(5) lgkmcnt(1)
	v_mfma_f32_16x16x16bf16_1k v[10:13], v[6:7], v[14:15], v[10:13]
	v_mfma_f32_16x16x16bf16_1k v[6:9], v[8:9], v[16:17], v[10:13]
	s_waitcnt vmcnt(4) lgkmcnt(0)
	v_mfma_f32_16x16x16bf16_1k v[6:9], v[2:3], v[40:41], v[6:9]
	v_mfma_f32_16x16x16bf16_1k v[2:5], v[4:5], v[42:43], v[6:9]
	s_nop 7
	s_nop 1
	ds_read_b128 v[6:9], v36 offset:4096
	ds_read_b128 v[10:13], v36 offset:4112
	s_waitcnt vmcnt(3) lgkmcnt(1)
	v_mfma_f32_16x16x16bf16_1k v[2:5], v[30:31], v[6:7], v[2:5]
	v_mfma_f32_16x16x16bf16_1k v[2:5], v[32:33], v[8:9], v[2:5]
	s_waitcnt vmcnt(2) lgkmcnt(0)
	v_mfma_f32_16x16x16bf16_1k v[2:5], v[22:23], v[10:11], v[2:5]
	v_mfma_f32_16x16x16bf16_1k v[2:5], v[24:25], v[12:13], v[2:5]
	ds_read_b128 v[6:9], v36 offset:6144
	ds_read_b128 v[10:13], v36 offset:6160
	s_waitcnt lgkmcnt(0)
	s_barrier
	s_waitcnt vmcnt(1)
	v_mfma_f32_16x16x16bf16_1k v[2:5], v[26:27], v[6:7], v[2:5]
	v_mfma_f32_16x16x16bf16_1k v[2:5], v[28:29], v[8:9], v[2:5]
	s_waitcnt vmcnt(0)
	v_mfma_f32_16x16x16bf16_1k v[2:5], v[18:19], v[10:11], v[2:5]
	v_mfma_f32_16x16x16bf16_1k v[2:5], v[20:21], v[12:13], v[2:5]
	s_nop 7
	s_nop 2
	v_bfe_u32 v6, v3, 16, 1
	v_bfe_u32 v7, v2, 16, 1
	;; [unrolled: 1-line block ×4, first 2 shown]
	v_add3_u32 v2, v2, v7, s12
	v_add3_u32 v3, v3, v6, s12
	;; [unrolled: 1-line block ×4, first 2 shown]
	v_perm_b32 v2, v3, v2, s13
	v_perm_b32 v3, v5, v4, s13
	ds_write_b64 v38, v[2:3]
	s_waitcnt lgkmcnt(0)
	s_barrier
	s_and_saveexec_b64 s[8:9], s[0:1]
	s_cbranch_execz .LBB280_20
; %bb.18:
	s_load_dwordx2 s[4:5], s[4:5], 0x68
	s_lshl_b32 s0, s10, 6
	s_mul_i32 s1, s11, s6
	s_mul_hi_u32 s9, s1, s0
	s_mul_i32 s8, s1, s0
	s_lshl_b64 s[8:9], s[8:9], 1
	s_waitcnt lgkmcnt(0)
	s_add_u32 s1, s4, s8
	v_lshlrev_b32_e32 v2, 10, v0
	v_lshlrev_b32_e32 v0, 4, v0
	s_addc_u32 s8, s5, s9
	s_lshl_b32 s6, s28, 6
	v_and_b32_e32 v2, 0x1800, v2
	v_lshlrev_b32_e32 v3, 5, v1
	v_and_b32_e32 v0, 16, v0
	s_lshl_b64 s[4:5], s[6:7], 1
	v_or3_b32 v0, v2, v3, v0
	s_add_u32 s1, s1, s4
	ds_read_b128 v[4:7], v0 offset:256
	s_addc_u32 s4, s8, s5
	ds_read_b128 v[8:11], v0 offset:128
	ds_read_b128 v[12:15], v0
	v_add_u32_e32 v18, s29, v1
	v_mov_b32_e32 v3, s4
	v_add_co_u32_e32 v2, vcc, s1, v34
	v_mad_u64_u32 v[16:17], s[4:5], v18, s0, 0
	v_addc_co_u32_e32 v3, vcc, v3, v35, vcc
	v_lshlrev_b64 v[16:17], 1, v[16:17]
	v_add_co_u32_e32 v16, vcc, v2, v16
	v_addc_co_u32_e32 v17, vcc, v3, v17, vcc
	s_waitcnt lgkmcnt(0)
	global_store_dwordx4 v[16:17], v[12:15], off
	s_nop 0
	v_add_u32_e32 v12, 4, v18
	v_mad_u64_u32 v[12:13], s[4:5], v12, s0, 0
	v_lshlrev_b64 v[12:13], 1, v[12:13]
	v_add_co_u32_e32 v12, vcc, v2, v12
	v_addc_co_u32_e32 v13, vcc, v3, v13, vcc
	global_store_dwordx4 v[12:13], v[8:11], off
	s_nop 0
	v_add_u32_e32 v8, 8, v18
	v_mad_u64_u32 v[8:9], s[4:5], v8, s0, 0
	v_lshlrev_b64 v[8:9], 1, v[8:9]
	v_add_co_u32_e32 v8, vcc, v2, v8
	v_addc_co_u32_e32 v9, vcc, v3, v9, vcc
	global_store_dwordx4 v[8:9], v[4:7], off
	s_and_b64 exec, exec, s[2:3]
	s_cbranch_execz .LBB280_20
; %bb.19:
	ds_read_b128 v[4:7], v0 offset:384
	v_add3_u32 v0, s29, v1, 12
	v_mad_u64_u32 v[0:1], s[0:1], v0, s0, 0
	v_lshlrev_b64 v[0:1], 1, v[0:1]
	v_add_co_u32_e32 v0, vcc, v2, v0
	v_addc_co_u32_e32 v1, vcc, v3, v1, vcc
	s_waitcnt lgkmcnt(0)
	global_store_dwordx4 v[0:1], v[4:7], off
.LBB280_20:
	s_endpgm
	.section	.rodata,"a",@progbits
	.p2align	6, 0x0
	.amdhsa_kernel _Z39paged_attention_ll4mi_QKV_mfma16_kernelI14__hip_bfloat16S0_LN4vllm18Fp8KVCacheDataTypeE0ES0_Li32ELi64ELi256ELb0ELi13EL8MFMAType0EEvPKT_PKT0_S9_ifPKiSB_SB_iPKfiiiPfSE_PS4_PT2_iSD_SD_
		.amdhsa_group_segment_fixed_size 8192
		.amdhsa_private_segment_fixed_size 0
		.amdhsa_kernarg_size 400
		.amdhsa_user_sgpr_count 6
		.amdhsa_user_sgpr_private_segment_buffer 1
		.amdhsa_user_sgpr_dispatch_ptr 0
		.amdhsa_user_sgpr_queue_ptr 0
		.amdhsa_user_sgpr_kernarg_segment_ptr 1
		.amdhsa_user_sgpr_dispatch_id 0
		.amdhsa_user_sgpr_flat_scratch_init 0
		.amdhsa_user_sgpr_kernarg_preload_length 0
		.amdhsa_user_sgpr_kernarg_preload_offset 0
		.amdhsa_user_sgpr_private_segment_size 0
		.amdhsa_uses_dynamic_stack 0
		.amdhsa_system_sgpr_private_segment_wavefront_offset 0
		.amdhsa_system_sgpr_workgroup_id_x 1
		.amdhsa_system_sgpr_workgroup_id_y 1
		.amdhsa_system_sgpr_workgroup_id_z 1
		.amdhsa_system_sgpr_workgroup_info 0
		.amdhsa_system_vgpr_workitem_id 0
		.amdhsa_next_free_vgpr 66
		.amdhsa_next_free_sgpr 48
		.amdhsa_accum_offset 68
		.amdhsa_reserve_vcc 1
		.amdhsa_reserve_flat_scratch 0
		.amdhsa_float_round_mode_32 0
		.amdhsa_float_round_mode_16_64 0
		.amdhsa_float_denorm_mode_32 3
		.amdhsa_float_denorm_mode_16_64 3
		.amdhsa_dx10_clamp 1
		.amdhsa_ieee_mode 1
		.amdhsa_fp16_overflow 0
		.amdhsa_tg_split 0
		.amdhsa_exception_fp_ieee_invalid_op 0
		.amdhsa_exception_fp_denorm_src 0
		.amdhsa_exception_fp_ieee_div_zero 0
		.amdhsa_exception_fp_ieee_overflow 0
		.amdhsa_exception_fp_ieee_underflow 0
		.amdhsa_exception_fp_ieee_inexact 0
		.amdhsa_exception_int_div_zero 0
	.end_amdhsa_kernel
	.section	.text._Z39paged_attention_ll4mi_QKV_mfma16_kernelI14__hip_bfloat16S0_LN4vllm18Fp8KVCacheDataTypeE0ES0_Li32ELi64ELi256ELb0ELi13EL8MFMAType0EEvPKT_PKT0_S9_ifPKiSB_SB_iPKfiiiPfSE_PS4_PT2_iSD_SD_,"axG",@progbits,_Z39paged_attention_ll4mi_QKV_mfma16_kernelI14__hip_bfloat16S0_LN4vllm18Fp8KVCacheDataTypeE0ES0_Li32ELi64ELi256ELb0ELi13EL8MFMAType0EEvPKT_PKT0_S9_ifPKiSB_SB_iPKfiiiPfSE_PS4_PT2_iSD_SD_,comdat
.Lfunc_end280:
	.size	_Z39paged_attention_ll4mi_QKV_mfma16_kernelI14__hip_bfloat16S0_LN4vllm18Fp8KVCacheDataTypeE0ES0_Li32ELi64ELi256ELb0ELi13EL8MFMAType0EEvPKT_PKT0_S9_ifPKiSB_SB_iPKfiiiPfSE_PS4_PT2_iSD_SD_, .Lfunc_end280-_Z39paged_attention_ll4mi_QKV_mfma16_kernelI14__hip_bfloat16S0_LN4vllm18Fp8KVCacheDataTypeE0ES0_Li32ELi64ELi256ELb0ELi13EL8MFMAType0EEvPKT_PKT0_S9_ifPKiSB_SB_iPKfiiiPfSE_PS4_PT2_iSD_SD_
                                        ; -- End function
	.section	.AMDGPU.csdata,"",@progbits
; Kernel info:
; codeLenInByte = 4412
; NumSgprs: 52
; NumVgprs: 66
; NumAgprs: 0
; TotalNumVgprs: 66
; ScratchSize: 0
; MemoryBound: 0
; FloatMode: 240
; IeeeMode: 1
; LDSByteSize: 8192 bytes/workgroup (compile time only)
; SGPRBlocks: 6
; VGPRBlocks: 8
; NumSGPRsForWavesPerEU: 52
; NumVGPRsForWavesPerEU: 66
; AccumOffset: 68
; Occupancy: 7
; WaveLimiterHint : 1
; COMPUTE_PGM_RSRC2:SCRATCH_EN: 0
; COMPUTE_PGM_RSRC2:USER_SGPR: 6
; COMPUTE_PGM_RSRC2:TRAP_HANDLER: 0
; COMPUTE_PGM_RSRC2:TGID_X_EN: 1
; COMPUTE_PGM_RSRC2:TGID_Y_EN: 1
; COMPUTE_PGM_RSRC2:TGID_Z_EN: 1
; COMPUTE_PGM_RSRC2:TIDIG_COMP_CNT: 0
; COMPUTE_PGM_RSRC3_GFX90A:ACCUM_OFFSET: 16
; COMPUTE_PGM_RSRC3_GFX90A:TG_SPLIT: 0
	.section	.text._Z39paged_attention_ll4mi_QKV_mfma16_kernelI14__hip_bfloat16S0_LN4vllm18Fp8KVCacheDataTypeE0ES0_Li32ELi64ELi256ELb0ELi14EL8MFMAType0EEvPKT_PKT0_S9_ifPKiSB_SB_iPKfiiiPfSE_PS4_PT2_iSD_SD_,"axG",@progbits,_Z39paged_attention_ll4mi_QKV_mfma16_kernelI14__hip_bfloat16S0_LN4vllm18Fp8KVCacheDataTypeE0ES0_Li32ELi64ELi256ELb0ELi14EL8MFMAType0EEvPKT_PKT0_S9_ifPKiSB_SB_iPKfiiiPfSE_PS4_PT2_iSD_SD_,comdat
	.protected	_Z39paged_attention_ll4mi_QKV_mfma16_kernelI14__hip_bfloat16S0_LN4vllm18Fp8KVCacheDataTypeE0ES0_Li32ELi64ELi256ELb0ELi14EL8MFMAType0EEvPKT_PKT0_S9_ifPKiSB_SB_iPKfiiiPfSE_PS4_PT2_iSD_SD_ ; -- Begin function _Z39paged_attention_ll4mi_QKV_mfma16_kernelI14__hip_bfloat16S0_LN4vllm18Fp8KVCacheDataTypeE0ES0_Li32ELi64ELi256ELb0ELi14EL8MFMAType0EEvPKT_PKT0_S9_ifPKiSB_SB_iPKfiiiPfSE_PS4_PT2_iSD_SD_
	.globl	_Z39paged_attention_ll4mi_QKV_mfma16_kernelI14__hip_bfloat16S0_LN4vllm18Fp8KVCacheDataTypeE0ES0_Li32ELi64ELi256ELb0ELi14EL8MFMAType0EEvPKT_PKT0_S9_ifPKiSB_SB_iPKfiiiPfSE_PS4_PT2_iSD_SD_
	.p2align	8
	.type	_Z39paged_attention_ll4mi_QKV_mfma16_kernelI14__hip_bfloat16S0_LN4vllm18Fp8KVCacheDataTypeE0ES0_Li32ELi64ELi256ELb0ELi14EL8MFMAType0EEvPKT_PKT0_S9_ifPKiSB_SB_iPKfiiiPfSE_PS4_PT2_iSD_SD_,@function
_Z39paged_attention_ll4mi_QKV_mfma16_kernelI14__hip_bfloat16S0_LN4vllm18Fp8KVCacheDataTypeE0ES0_Li32ELi64ELi256ELb0ELi14EL8MFMAType0EEvPKT_PKT0_S9_ifPKiSB_SB_iPKfiiiPfSE_PS4_PT2_iSD_SD_: ; @_Z39paged_attention_ll4mi_QKV_mfma16_kernelI14__hip_bfloat16S0_LN4vllm18Fp8KVCacheDataTypeE0ES0_Li32ELi64ELi256ELb0ELi14EL8MFMAType0EEvPKT_PKT0_S9_ifPKiSB_SB_iPKfiiiPfSE_PS4_PT2_iSD_SD_
; %bb.0:
	s_load_dwordx2 s[0:1], s[4:5], 0x30
	s_mov_b32 s28, s7
	s_mov_b64 s[10:11], 0
	s_waitcnt lgkmcnt(0)
	s_cmp_lg_u64 s[0:1], 0
	s_cselect_b64 s[2:3], -1, 0
	s_and_b64 vcc, exec, s[2:3]
	s_cbranch_vccz .LBB281_7
; %bb.1:
	s_add_i32 s12, s6, 1
	s_mov_b32 s13, 0
	s_lshl_b64 s[14:15], s[12:13], 2
	s_add_u32 s14, s0, s14
	s_mov_b32 s7, s13
	s_addc_u32 s15, s1, s15
	s_lshl_b64 s[12:13], s[6:7], 2
	s_add_u32 s12, s0, s12
	s_addc_u32 s13, s1, s13
	s_load_dword s9, s[14:15], 0x0
	s_load_dword s16, s[12:13], 0x0
	s_waitcnt lgkmcnt(0)
	s_sub_i32 s9, s9, s16
	s_cmp_eq_u32 s9, 1
	s_cselect_b64 s[12:13], -1, 0
	s_andn2_b64 vcc, exec, s[10:11]
	s_cbranch_vccnz .LBB281_3
.LBB281_2:
	s_mov_b32 s7, 0
	s_mov_b64 s[12:13], -1
.LBB281_3:
	s_andn2_b64 vcc, exec, s[12:13]
	s_cbranch_vccnz .LBB281_20
; %bb.4:
	s_load_dwordx2 s[12:13], s[4:5], 0x28
	s_lshl_b64 s[10:11], s[6:7], 2
	s_waitcnt lgkmcnt(0)
	s_add_u32 s12, s12, s10
	s_addc_u32 s13, s13, s11
	s_load_dword s33, s[12:13], 0x0
	s_lshl_b32 s16, s28, 8
	s_waitcnt lgkmcnt(0)
	s_cmp_ge_i32 s16, s33
	s_cbranch_scc1 .LBB281_20
; %bb.5:
	s_add_i32 s14, s33, 31
	s_load_dwordx2 s[12:13], s[4:5], 0x20
	s_load_dword s9, s[4:5], 0x38
	s_ashr_i32 s15, s14, 31
	v_and_b32_e32 v1, 0xcf, v0
	s_lshr_b32 s15, s15, 27
	v_add_u32_e32 v1, s16, v1
	s_add_i32 s14, s14, s15
	v_ashrrev_i32_e32 v2, 31, v1
	s_ashr_i32 s19, s14, 5
	v_lshrrev_b32_e32 v6, 27, v2
	s_add_i32 s19, s19, -1
	v_add_u32_e32 v2, v1, v6
	s_waitcnt lgkmcnt(0)
	s_mul_i32 s14, s6, s9
	s_mov_b32 s15, 0
	v_ashrrev_i32_e32 v2, 5, v2
	v_mov_b32_e32 v7, s19
	v_cmp_gt_i32_e32 vcc, s33, v1
	s_lshl_b64 s[14:15], s[14:15], 2
	v_cndmask_b32_e32 v2, v7, v2, vcc
	s_add_u32 s17, s12, s14
	v_ashrrev_i32_e32 v3, 31, v2
	s_addc_u32 s18, s13, s15
	v_lshlrev_b64 v[2:3], 2, v[2:3]
	v_mov_b32_e32 v4, s18
	v_add_co_u32_e32 v2, vcc, s17, v2
	v_addc_co_u32_e32 v3, vcc, v4, v3, vcc
	v_or_b32_e32 v4, 16, v1
	v_add_u32_e32 v5, v4, v6
	v_ashrrev_i32_e32 v5, 5, v5
	v_cmp_gt_i32_e32 vcc, s33, v4
	v_cndmask_b32_e32 v4, v7, v5, vcc
	v_ashrrev_i32_e32 v5, 31, v4
	v_lshlrev_b64 v[4:5], 2, v[4:5]
	v_mov_b32_e32 v9, s18
	v_add_co_u32_e32 v8, vcc, s17, v4
	v_or_b32_e32 v4, 32, v1
	v_addc_co_u32_e32 v9, vcc, v9, v5, vcc
	v_add_u32_e32 v5, v4, v6
	v_ashrrev_i32_e32 v5, 5, v5
	v_cmp_gt_i32_e32 vcc, s33, v4
	v_cndmask_b32_e32 v4, v7, v5, vcc
	v_ashrrev_i32_e32 v5, 31, v4
	v_lshlrev_b64 v[4:5], 2, v[4:5]
	v_mov_b32_e32 v11, s18
	v_add_co_u32_e32 v10, vcc, s17, v4
	v_or_b32_e32 v1, 48, v1
	v_addc_co_u32_e32 v11, vcc, v11, v5, vcc
	v_add_u32_e32 v4, v1, v6
	v_ashrrev_i32_e32 v4, 5, v4
	v_cmp_gt_i32_e32 vcc, s33, v1
	v_cndmask_b32_e32 v4, v7, v4, vcc
	v_ashrrev_i32_e32 v5, 31, v4
	v_lshlrev_b64 v[4:5], 2, v[4:5]
	v_mov_b32_e32 v1, s18
	v_add_co_u32_e32 v12, vcc, s17, v4
	v_addc_co_u32_e32 v13, vcc, v1, v5, vcc
	global_load_dword v4, v[2:3], off
	global_load_dword v6, v[8:9], off
	global_load_dword v19, v[10:11], off
	global_load_dword v18, v[12:13], off
	s_andn2_b64 vcc, exec, s[2:3]
	s_cbranch_vccnz .LBB281_8
; %bb.6:
	s_add_u32 s0, s0, s10
	s_addc_u32 s1, s1, s11
	s_load_dword s9, s[0:1], 0x0
	s_branch .LBB281_9
.LBB281_7:
	s_mov_b64 s[12:13], 0
	s_branch .LBB281_2
.LBB281_8:
	s_mov_b32 s9, s6
.LBB281_9:
	s_load_dwordx4 s[12:15], s[4:5], 0x8
	s_load_dwordx4 s[44:47], s[4:5], 0x48
	v_lshrrev_b32_e32 v53, 6, v0
	v_bfe_u32 v1, v0, 4, 2
	v_lshl_or_b32 v5, v53, 2, v1
	v_and_b32_e32 v52, 15, v0
	v_cmp_lt_u32_e32 vcc, 13, v5
	v_cmp_lt_u32_e64 s[2:3], 7, v52
	v_lshlrev_b32_e32 v2, 3, v52
	v_cmp_gt_u32_e64 s[0:1], 8, v52
	s_or_b64 s[2:3], s[2:3], vcc
	s_and_saveexec_b64 s[10:11], s[2:3]
	s_xor_b64 s[2:3], exec, s[10:11]
; %bb.10:
	v_mov_b32_e32 v3, 0
                                        ; implicit-def: $vgpr5
; %bb.11:
	s_or_saveexec_b64 s[2:3], s[2:3]
	v_and_b32_e32 v54, 63, v0
	s_mul_i32 s29, s8, 14
	s_xor_b64 exec, exec, s[2:3]
	s_cbranch_execz .LBB281_13
; %bb.12:
	s_load_dwordx2 s[10:11], s[4:5], 0x0
	s_waitcnt lgkmcnt(0)
	s_ashr_i32 s20, s44, 31
	s_mul_hi_u32 s21, s9, s44
	s_mul_i32 s20, s9, s20
	s_add_i32 s21, s21, s20
	s_mul_i32 s20, s9, s44
	s_lshl_b64 s[20:21], s[20:21], 1
	v_add_lshl_u32 v8, v5, s29, 6
	s_add_u32 s9, s10, s20
	v_ashrrev_i32_e32 v9, 31, v8
	s_addc_u32 s10, s11, s21
	v_lshlrev_b64 v[8:9], 1, v[8:9]
	v_mov_b32_e32 v3, s10
	v_add_co_u32_e32 v7, vcc, s9, v8
	v_addc_co_u32_e32 v3, vcc, v3, v9, vcc
	v_lshlrev_b32_e32 v8, 1, v2
	v_add_co_u32_e32 v8, vcc, v7, v8
	v_addc_co_u32_e32 v9, vcc, 0, v3, vcc
	global_load_dwordx4 v[8:11], v[8:9], off
	v_and_b32_e32 v7, 3, v0
	v_lshlrev_b32_e32 v12, 9, v52
	v_lshlrev_b32_e32 v5, 5, v5
	;; [unrolled: 1-line block ×3, first 2 shown]
	v_and_b32_e32 v12, 0x1800, v12
	v_mov_b32_e32 v3, 0
	v_or3_b32 v5, v12, v7, v5
	s_waitcnt vmcnt(0)
	ds_write_b128 v5, v[8:11]
.LBB281_13:
	s_or_b64 exec, exec, s[2:3]
	s_waitcnt lgkmcnt(0)
	s_mul_i32 s8, s8, s46
	s_mov_b32 s9, 0
	s_lshl_b64 s[8:9], s[8:9], 1
	s_add_u32 s3, s12, s8
	s_waitcnt vmcnt(3)
	v_mad_i64_i32 v[4:5], s[10:11], v4, s45, 0
	s_addc_u32 s12, s13, s9
	v_lshlrev_b64 v[4:5], 1, v[4:5]
	v_mov_b32_e32 v7, s12
	v_add_co_u32_e32 v4, vcc, s3, v4
	v_addc_co_u32_e32 v5, vcc, v7, v5, vcc
	v_lshlrev_b64 v[34:35], 1, v[2:3]
	v_add_co_u32_e32 v2, vcc, v4, v34
	v_lshlrev_b32_e32 v28, 9, v1
	v_addc_co_u32_e32 v3, vcc, v5, v35, vcc
	v_add_co_u32_e32 v20, vcc, v2, v28
	v_addc_co_u32_e32 v21, vcc, 0, v3, vcc
	s_load_dword s42, s[4:5], 0x98
	s_load_dword s2, s[4:5], 0x1c
	s_waitcnt lgkmcnt(0)
	s_barrier
	global_load_dwordx4 v[2:5], v[20:21], off
	s_waitcnt vmcnt(3)
	v_mad_i64_i32 v[6:7], s[10:11], v6, s45, 0
	v_lshlrev_b64 v[6:7], 1, v[6:7]
	v_mov_b32_e32 v8, s12
	v_add_co_u32_e32 v6, vcc, s3, v6
	v_addc_co_u32_e32 v7, vcc, v8, v7, vcc
	v_mov_b32_e32 v8, 0x100
	v_lshl_or_b32 v29, v52, 4, v8
	v_add_co_u32_e32 v6, vcc, v6, v29
	v_addc_co_u32_e32 v7, vcc, 0, v7, vcc
	v_add_co_u32_e32 v22, vcc, v6, v28
	v_addc_co_u32_e32 v23, vcc, 0, v7, vcc
	global_load_dwordx4 v[10:13], v[22:23], off
	global_load_dwordx4 v[14:17], v[20:21], off offset:2048
	global_load_dwordx4 v[6:9], v[22:23], off offset:2048
	v_add_u32_e32 v22, -14, v52
	v_cmp_gt_u32_e32 vcc, 14, v52
	s_waitcnt vmcnt(5)
	v_mad_i64_i32 v[20:21], s[10:11], v19, s45, 0
	s_waitcnt vmcnt(4)
	v_mad_i64_i32 v[18:19], s[10:11], v18, s45, 0
	v_cndmask_b32_e32 v22, v22, v52, vcc
	v_lshlrev_b64 v[26:27], 1, v[18:19]
	v_lshl_add_u32 v18, v22, 5, v28
	v_lshlrev_b64 v[32:33], 1, v[20:21]
	ds_read_b128 v[22:25], v18
	ds_read_b128 v[18:21], v18 offset:2048
	v_mov_b32_e32 v36, s12
	v_add_co_u32_e32 v32, vcc, s3, v32
	v_addc_co_u32_e32 v33, vcc, v36, v33, vcc
	v_mov_b32_e32 v50, s12
	v_and_or_b32 v31, v0, 48, s16
	s_ashr_i32 s10, s16, 31
	v_or_b32_e32 v49, 64, v31
	s_lshr_b32 s10, s10, 27
	v_mov_b32_e32 v30, s19
	v_mov_b32_e32 v48, s18
	s_mov_b32 s43, 0xff7fffff
	s_waitcnt vmcnt(3) lgkmcnt(1)
	v_mfma_f32_16x16x16bf16_1k v[36:39], v[2:3], v[22:23], 0
	v_add_co_u32_e32 v2, vcc, v32, v34
	v_addc_co_u32_e32 v3, vcc, v33, v35, vcc
	v_add_co_u32_e32 v32, vcc, v2, v28
	v_addc_co_u32_e32 v33, vcc, 0, v3, vcc
	global_load_dwordx4 v[44:47], v[32:33], off
	v_mfma_f32_16x16x16bf16_1k v[2:5], v[4:5], v[24:25], v[36:39]
	s_waitcnt vmcnt(3)
	v_mfma_f32_16x16x16bf16_1k v[40:43], v[10:11], v[22:23], 0
	v_add_co_u32_e32 v10, vcc, s3, v26
	v_addc_co_u32_e32 v11, vcc, v50, v27, vcc
	v_add_co_u32_e32 v10, vcc, v10, v29
	v_add_u32_e32 v26, s10, v31
	v_add_u32_e32 v27, s10, v49
	v_addc_co_u32_e32 v11, vcc, 0, v11, vcc
	v_ashrrev_i32_e32 v36, 5, v26
	v_ashrrev_i32_e32 v50, 5, v27
	v_add_co_u32_e32 v10, vcc, v10, v28
	global_load_dwordx4 v[26:29], v[32:33], off offset:2048
	s_waitcnt vmcnt(3) lgkmcnt(0)
	v_mfma_f32_16x16x16bf16_1k v[2:5], v[14:15], v[18:19], v[2:5]
	v_addc_co_u32_e32 v11, vcc, 0, v11, vcc
	v_cmp_gt_i32_e32 vcc, s33, v31
	v_cndmask_b32_e32 v14, v30, v36, vcc
	v_ashrrev_i32_e32 v15, 31, v14
	global_load_dwordx4 v[36:39], v[10:11], off
	global_load_dwordx4 v[56:59], v[10:11], off offset:2048
	v_lshlrev_b64 v[10:11], 2, v[14:15]
	v_mfma_f32_16x16x16bf16_1k v[60:63], v[16:17], v[20:21], v[2:5]
	v_mov_b32_e32 v15, s18
	s_add_u32 s3, s14, s8
	s_addc_u32 s8, s15, s9
	s_nop 3
	v_add_co_u32_e32 v2, vcc, s17, v10
	v_addc_co_u32_e32 v3, vcc, v48, v11, vcc
	global_load_dword v14, v[2:3], off
	v_cmp_gt_i32_e32 vcc, s33, v49
	v_cndmask_b32_e32 v2, v30, v50, vcc
	v_ashrrev_i32_e32 v3, 31, v2
	v_lshlrev_b64 v[10:11], 2, v[2:3]
	v_mfma_f32_16x16x16bf16_1k v[2:5], v[12:13], v[24:25], v[40:43]
	v_add_co_u32_e32 v10, vcc, s17, v10
	v_addc_co_u32_e32 v11, vcc, v15, v11, vcc
	global_load_dword v32, v[10:11], off
	v_or_b32_e32 v10, 0x80, v31
	v_add_u32_e32 v11, s10, v10
	v_ashrrev_i32_e32 v11, 5, v11
	v_cmp_gt_i32_e32 vcc, s33, v10
	s_waitcnt vmcnt(6)
	v_mfma_f32_16x16x16bf16_1k v[2:5], v[6:7], v[18:19], v[2:5]
	v_cndmask_b32_e32 v10, v30, v11, vcc
	v_ashrrev_i32_e32 v11, 31, v10
	v_lshlrev_b64 v[6:7], 2, v[10:11]
	v_mov_b32_e32 v10, s18
	v_add_co_u32_e32 v6, vcc, s17, v6
	v_addc_co_u32_e32 v7, vcc, v10, v7, vcc
	global_load_dword v33, v[6:7], off
	v_mfma_f32_16x16x16bf16_1k v[40:43], v[8:9], v[20:21], v[2:5]
	v_or_b32_e32 v6, 0xc0, v31
	v_add_u32_e32 v7, s10, v6
	v_ashrrev_i32_e32 v7, 5, v7
	v_cmp_gt_i32_e32 vcc, s33, v6
	v_cndmask_b32_e32 v6, v30, v7, vcc
	v_ashrrev_i32_e32 v7, 31, v6
	v_lshlrev_b64 v[6:7], 2, v[6:7]
	s_waitcnt vmcnt(6)
	v_mfma_f32_16x16x16bf16_1k v[2:5], v[44:45], v[22:23], 0
	v_mov_b32_e32 v8, s18
	v_add_co_u32_e32 v6, vcc, s17, v6
	v_addc_co_u32_e32 v7, vcc, v8, v7, vcc
	global_load_dword v55, v[6:7], off
	v_and_b32_e32 v6, 16, v0
	v_mfma_f32_16x16x16bf16_1k v[2:5], v[46:47], v[24:25], v[2:5]
	v_lshlrev_b32_e32 v6, 1, v6
	v_mov_b32_e32 v7, s8
	v_add_co_u32_e32 v6, vcc, s3, v6
	v_lshlrev_b32_e32 v8, 6, v52
	v_addc_co_u32_e32 v7, vcc, 0, v7, vcc
	s_waitcnt vmcnt(6)
	v_mfma_f32_16x16x16bf16_1k v[2:5], v[26:27], v[18:19], v[2:5]
	v_lshl_or_b32 v8, v53, 10, v8
	v_add_co_u32_e32 v64, vcc, v6, v8
	v_addc_co_u32_e32 v65, vcc, 0, v7, vcc
	v_pk_mul_f32 v[48:49], s[2:3], v[62:63] op_sel_hi:[0,1]
	v_pk_mul_f32 v[40:41], s[2:3], v[40:41] op_sel_hi:[0,1]
	v_mfma_f32_16x16x16bf16_1k v[26:29], v[28:29], v[20:21], v[2:5]
	v_pk_mul_f32 v[50:51], s[2:3], v[42:43] op_sel_hi:[0,1]
	s_waitcnt vmcnt(1)
	v_mad_i64_i32 v[30:31], s[8:9], v33, s45, 0
	s_nop 3
	v_mad_i64_i32 v[2:3], s[8:9], v14, s45, 0
	v_lshlrev_b64 v[6:7], 1, v[2:3]
	v_mfma_f32_16x16x16bf16_1k v[2:5], v[36:37], v[22:23], 0
	s_nop 0
	v_pk_mul_f32 v[42:43], s[2:3], v[26:27] op_sel_hi:[0,1]
	v_add_co_u32_e32 v6, vcc, v64, v6
	v_addc_co_u32_e32 v7, vcc, v65, v7, vcc
	global_load_dwordx4 v[14:17], v[6:7], off
	global_load_dwordx4 v[10:13], v[6:7], off offset:16
	v_mad_i64_i32 v[6:7], s[8:9], v32, s45, 0
	v_mfma_f32_16x16x16bf16_1k v[22:25], v[38:39], v[24:25], v[2:5]
	v_pk_mul_f32 v[46:47], s[2:3], v[28:29] op_sel_hi:[0,1]
	v_lshlrev_b64 v[6:7], 1, v[6:7]
	v_lshlrev_b64 v[30:31], 1, v[30:31]
	v_mfma_f32_16x16x16bf16_1k v[22:25], v[56:57], v[18:19], v[22:25]
	v_pk_mul_f32 v[18:19], s[2:3], v[60:61] op_sel_hi:[0,1]
	s_nop 1
	v_add_co_u32_e32 v2, vcc, v64, v6
	v_addc_co_u32_e32 v3, vcc, v65, v7, vcc
	v_add_co_u32_e32 v38, vcc, v64, v30
	v_mfma_f32_16x16x16bf16_1k v[20:23], v[58:59], v[20:21], v[22:25]
	v_addc_co_u32_e32 v39, vcc, v65, v31, vcc
	global_load_dwordx4 v[6:9], v[2:3], off
	s_nop 0
	global_load_dwordx4 v[2:5], v[2:3], off offset:16
	s_nop 6
	v_pk_mul_f32 v[44:45], s[2:3], v[20:21] op_sel_hi:[0,1]
	v_and_b32_e32 v20, 0xc0, v0
	v_add_u32_e32 v20, s16, v20
	v_lshl_or_b32 v20, v1, 2, v20
	v_pk_mul_f32 v[36:37], s[2:3], v[22:23] op_sel_hi:[0,1]
	v_or_b32_e32 v23, 1, v20
	v_mov_b32_e32 v21, 0xff7fffff
	v_cmp_gt_i32_e64 s[30:31], s33, v20
	v_cmp_gt_i32_e64 s[34:35], s33, v23
	v_cndmask_b32_e64 v22, v21, v18, s[30:31]
	v_cndmask_b32_e64 v23, v21, v19, s[34:35]
	v_max3_f32 v22, v22, s43, v23
	v_or_b32_e32 v23, 2, v20
	v_or_b32_e32 v24, 3, v20
	v_cmp_gt_i32_e64 s[36:37], s33, v23
	v_cmp_gt_i32_e64 s[38:39], s33, v24
	v_cndmask_b32_e64 v23, v21, v48, s[36:37]
	v_cndmask_b32_e64 v24, v21, v49, s[38:39]
	v_max3_f32 v22, v22, v23, v24
	v_or_b32_e32 v23, 16, v20
	v_or_b32_e32 v24, 17, v20
	;; [unrolled: 7-line block ×7, first 2 shown]
	v_cmp_gt_i32_e32 vcc, s33, v23
	v_cmp_gt_i32_e64 s[2:3], s33, v20
	v_cndmask_b32_e32 v23, v21, v36, vcc
	v_cndmask_b32_e64 v20, v21, v37, s[2:3]
	v_max3_f32 v26, v22, v23, v20
	v_mbcnt_lo_u32_b32 v20, -1, 0
	v_mbcnt_hi_u32_b32 v27, -1, v20
	v_and_b32_e32 v20, 64, v27
	v_add_u32_e32 v28, 64, v20
	v_xor_b32_e32 v20, 32, v27
	v_cmp_lt_i32_e64 s[40:41], v20, v28
	v_cndmask_b32_e64 v20, v27, v20, s[40:41]
	v_lshlrev_b32_e32 v56, 2, v20
	ds_bpermute_b32 v29, v56, v26
	s_waitcnt vmcnt(4)
	v_mad_i64_i32 v[20:21], s[40:41], v55, s45, 0
	v_lshlrev_b64 v[20:21], 1, v[20:21]
	global_load_dwordx4 v[30:33], v[38:39], off
	global_load_dwordx4 v[22:25], v[38:39], off offset:16
	s_waitcnt lgkmcnt(0)
	v_max_f32_e32 v29, v29, v29
	v_max_f32_e32 v26, v26, v29
	v_xor_b32_e32 v29, 16, v27
	v_cmp_lt_i32_e64 s[40:41], v29, v28
	v_cndmask_b32_e64 v27, v27, v29, s[40:41]
	v_lshlrev_b32_e32 v58, 2, v27
	ds_bpermute_b32 v27, v58, v26
	v_add_co_u32_e64 v20, s[40:41], v64, v20
	v_addc_co_u32_e64 v21, s[40:41], v65, v21, s[40:41]
	s_waitcnt lgkmcnt(0)
	v_max_f32_e32 v27, v27, v27
	v_max_f32_e32 v55, v26, v27
	v_sub_f32_e32 v18, v18, v55
	v_mul_f32_e32 v18, 0x3fb8aa3b, v18
	v_exp_f32_e32 v38, v18
	v_sub_f32_e32 v18, v19, v55
	v_mul_f32_e32 v18, 0x3fb8aa3b, v18
	v_exp_f32_e32 v39, v18
	global_load_dwordx4 v[26:29], v[20:21], off
	s_nop 0
	global_load_dwordx4 v[18:21], v[20:21], off offset:16
	v_sub_f32_e32 v48, v48, v55
	v_mul_f32_e32 v48, 0x3fb8aa3b, v48
	v_sub_f32_e32 v49, v49, v55
	v_exp_f32_e32 v48, v48
	v_mul_f32_e32 v49, 0x3fb8aa3b, v49
	v_sub_f32_e32 v40, v40, v55
	v_exp_f32_e32 v49, v49
	v_mul_f32_e32 v40, 0x3fb8aa3b, v40
	v_sub_f32_e32 v41, v41, v55
	v_cndmask_b32_e64 v38, 0, v38, s[30:31]
	v_exp_f32_e32 v40, v40
	v_mul_f32_e32 v41, 0x3fb8aa3b, v41
	v_sub_f32_e32 v50, v50, v55
	v_add_f32_e32 v57, 0, v38
	v_cndmask_b32_e64 v39, 0, v39, s[34:35]
	v_exp_f32_e32 v41, v41
	v_mul_f32_e32 v50, 0x3fb8aa3b, v50
	v_sub_f32_e32 v51, v51, v55
	v_add_f32_e32 v57, v57, v39
	;; [unrolled: 5-line block ×10, first 2 shown]
	v_cndmask_b32_e64 v46, 0, v46, s[12:13]
	v_exp_f32_e32 v36, v36
	v_mul_f32_e32 v37, 0x3fb8aa3b, v37
	v_add_f32_e32 v57, v57, v46
	v_cndmask_b32_e64 v47, 0, v47, s[14:15]
	v_exp_f32_e32 v37, v37
	v_add_f32_e32 v57, v57, v47
	v_cndmask_b32_e64 v44, 0, v44, s[8:9]
	v_add_f32_e32 v57, v57, v44
	v_cndmask_b32_e64 v45, 0, v45, s[10:11]
	v_add_f32_e32 v57, v57, v45
	v_cndmask_b32_e32 v36, 0, v36, vcc
	v_add_f32_e32 v57, v57, v36
	v_cndmask_b32_e64 v37, 0, v37, s[2:3]
	v_add_f32_e32 v57, v57, v37
	ds_bpermute_b32 v56, v56, v57
	v_cmp_gt_u32_e32 vcc, 16, v54
	s_waitcnt lgkmcnt(0)
	s_barrier
	v_add_f32_e32 v57, v57, v56
	ds_bpermute_b32 v58, v58, v57
	v_lshlrev_b32_e32 v56, 2, v52
	s_and_saveexec_b64 s[2:3], vcc
	s_cbranch_execz .LBB281_15
; %bb.14:
	s_waitcnt lgkmcnt(0)
	v_add_f32_e32 v54, v57, v58
	v_lshl_or_b32 v57, v53, 6, v56
	ds_write2st64_b32 v57, v55, v54 offset1:1
.LBB281_15:
	s_or_b64 exec, exec, s[2:3]
	s_load_dword s8, s[4:5], 0x94
	s_waitcnt lgkmcnt(0)
	s_barrier
	ds_read2_b32 v[58:59], v56 offset1:16
	ds_read2_b32 v[60:61], v56 offset0:32 offset1:48
	ds_read2_b32 v[62:63], v56 offset0:64 offset1:80
	;; [unrolled: 1-line block ×3, first 2 shown]
	s_movk_i32 s10, 0x7fff
	s_waitcnt lgkmcnt(3)
	v_max3_f32 v54, v58, s43, v59
	s_waitcnt lgkmcnt(2)
	v_max3_f32 v54, v54, v60, v61
	v_sub_f32_e32 v55, v58, v54
	v_mul_f32_e32 v55, 0x3fb8aa3b, v55
	v_exp_f32_e32 v58, v55
	v_sub_f32_e32 v55, v59, v54
	v_mul_f32_e32 v55, 0x3fb8aa3b, v55
	v_exp_f32_e32 v59, v55
	;; [unrolled: 3-line block ×4, first 2 shown]
	s_waitcnt lgkmcnt(1)
	v_fma_f32 v55, v58, v62, 0
	v_fmac_f32_e32 v55, v59, v63
	s_waitcnt lgkmcnt(0)
	v_fmac_f32_e32 v55, v60, v56
	v_fmac_f32_e32 v55, v61, v57
	v_add_f32_e32 v56, 0x358637bd, v55
	v_div_scale_f32 v57, s[2:3], v56, v56, 1.0
	v_rcp_f32_e32 v62, v57
	s_mov_b32 s11, 0x7060302
	s_barrier
	v_fma_f32 v63, -v57, v62, 1.0
	v_fmac_f32_e32 v62, v63, v62
	v_div_scale_f32 v63, vcc, 1.0, v56, 1.0
	v_mul_f32_e32 v64, v63, v62
	v_fma_f32 v65, -v57, v64, v63
	v_fmac_f32_e32 v64, v65, v62
	v_fma_f32 v57, -v57, v64, v63
	v_div_fmas_f32 v57, v57, v62, v64
	v_cmp_eq_u32_e32 vcc, 1, v53
	v_div_fixup_f32 v56, v57, v56, 1.0
	v_cndmask_b32_e32 v57, v58, v59, vcc
	v_cmp_eq_u32_e32 vcc, 2, v53
	v_cndmask_b32_e32 v57, v57, v60, vcc
	v_cmp_eq_u32_e32 vcc, 3, v53
	v_cndmask_b32_e32 v57, v57, v61, vcc
	v_mul_f32_e32 v56, v57, v56
	v_pk_mul_f32 v[38:39], v[56:57], v[38:39] op_sel_hi:[0,1]
	v_pk_mul_f32 v[48:49], v[56:57], v[48:49] op_sel_hi:[0,1]
	v_bfe_u32 v57, v39, 16, 1
	v_bfe_u32 v58, v38, 16, 1
	v_add3_u32 v38, v38, v58, s10
	v_add3_u32 v39, v39, v57, s10
	v_perm_b32 v58, v39, v38, s11
	v_bfe_u32 v38, v49, 16, 1
	v_bfe_u32 v39, v48, 16, 1
	v_add3_u32 v39, v48, v39, s10
	v_add3_u32 v38, v49, v38, s10
	v_perm_b32 v59, v38, v39, s11
	v_lshlrev_b32_e32 v38, 3, v1
	v_lshlrev_b32_e32 v39, 5, v52
	;; [unrolled: 1-line block ×3, first 2 shown]
	v_pk_mul_f32 v[40:41], v[56:57], v[40:41] op_sel_hi:[0,1]
	v_or3_b32 v38, v48, v39, v38
	v_pk_mul_f32 v[48:49], v[56:57], v[50:51] op_sel_hi:[0,1]
	v_bfe_u32 v50, v41, 16, 1
	v_bfe_u32 v51, v40, 16, 1
	v_add3_u32 v40, v40, v51, s10
	v_add3_u32 v41, v41, v50, s10
	v_perm_b32 v40, v41, v40, s11
	v_bfe_u32 v41, v49, 16, 1
	v_bfe_u32 v50, v48, 16, 1
	v_add3_u32 v48, v48, v50, s10
	v_add3_u32 v41, v49, v41, s10
	v_perm_b32 v41, v41, v48, s11
	v_pk_mul_f32 v[42:43], v[56:57], v[42:43] op_sel_hi:[0,1]
	ds_write2st64_b64 v38, v[58:59], v[40:41] offset1:1
	v_pk_mul_f32 v[40:41], v[56:57], v[46:47] op_sel_hi:[0,1]
	v_bfe_u32 v46, v43, 16, 1
	v_bfe_u32 v47, v42, 16, 1
	v_add3_u32 v42, v42, v47, s10
	v_add3_u32 v43, v43, v46, s10
	v_perm_b32 v42, v43, v42, s11
	v_bfe_u32 v43, v41, 16, 1
	v_bfe_u32 v46, v40, 16, 1
	v_add3_u32 v40, v40, v46, s10
	v_add3_u32 v41, v41, v43, s10
	v_perm_b32 v43, v41, v40, s11
	v_pk_mul_f32 v[40:41], v[56:57], v[44:45] op_sel_hi:[0,1]
	v_bfe_u32 v44, v41, 16, 1
	v_bfe_u32 v45, v40, 16, 1
	v_pk_mul_f32 v[36:37], v[56:57], v[36:37] op_sel_hi:[0,1]
	v_add3_u32 v40, v40, v45, s10
	v_add3_u32 v41, v41, v44, s10
	v_perm_b32 v40, v41, v40, s11
	v_bfe_u32 v41, v37, 16, 1
	v_bfe_u32 v44, v36, 16, 1
	v_add3_u32 v36, v36, v44, s10
	v_add3_u32 v37, v37, v41, s10
	s_mul_i32 s9, s42, 14
	v_perm_b32 v41, v37, v36, s11
	v_cmp_gt_u32_e32 vcc, 14, v0
	ds_write2st64_b64 v38, v[42:43], v[40:41] offset0:2 offset1:3
	s_and_saveexec_b64 s[2:3], vcc
	s_cbranch_execz .LBB281_17
; %bb.16:
	v_add_co_u32_e32 v40, vcc, s29, v52
	v_addc_co_u32_e64 v41, s[16:17], 0, 0, vcc
	v_mov_b32_e32 v36, s9
	v_mov_b32_e32 v37, 0
	v_mad_u64_u32 v[40:41], s[16:17], s6, v36, v[40:41]
	v_mov_b32_e32 v36, s28
	s_load_dwordx4 s[12:15], s[4:5], 0x58
	s_mul_i32 s7, s7, s9
	v_mad_u64_u32 v[36:37], s[16:17], v40, s8, v[36:37]
	v_add_u32_e32 v41, s7, v41
	v_mov_b32_e32 v40, v37
	v_mad_u64_u32 v[40:41], s[16:17], v41, s8, v[40:41]
	v_mov_b32_e32 v37, v40
	v_lshlrev_b64 v[36:37], 2, v[36:37]
	s_waitcnt lgkmcnt(0)
	v_mov_b32_e32 v41, s15
	v_add_co_u32_e32 v40, vcc, s14, v36
	v_addc_co_u32_e32 v41, vcc, v41, v37, vcc
	global_store_dword v[40:41], v54, off
	v_mov_b32_e32 v40, s13
	v_add_co_u32_e32 v36, vcc, s12, v36
	v_addc_co_u32_e32 v37, vcc, v40, v37, vcc
	global_store_dword v[36:37], v55, off
.LBB281_17:
	s_or_b64 exec, exec, s[2:3]
	v_lshl_or_b32 v36, v1, 9, v39
	s_waitcnt lgkmcnt(0)
	s_barrier
	ds_read_b128 v[40:43], v36
	ds_read_b128 v[44:47], v36 offset:16
	s_waitcnt vmcnt(7) lgkmcnt(1)
	v_mfma_f32_16x16x16bf16_1k v[48:51], v[14:15], v[40:41], 0
	v_cmp_gt_u32_e32 vcc, 64, v0
	s_mov_b32 s3, 0
	s_and_b64 s[0:1], vcc, s[0:1]
	v_mfma_f32_16x16x16bf16_1k v[14:17], v[16:17], v[42:43], v[48:51]
	s_waitcnt vmcnt(6) lgkmcnt(0)
	v_mfma_f32_16x16x16bf16_1k v[14:17], v[10:11], v[44:45], v[14:17]
	v_mfma_f32_16x16x16bf16_1k v[10:13], v[12:13], v[46:47], v[14:17]
	s_nop 7
	s_nop 1
	ds_read_b128 v[14:17], v36 offset:2048
	ds_read_b128 v[40:43], v36 offset:2064
	s_waitcnt vmcnt(5) lgkmcnt(1)
	v_mfma_f32_16x16x16bf16_1k v[10:13], v[6:7], v[14:15], v[10:13]
	v_mfma_f32_16x16x16bf16_1k v[6:9], v[8:9], v[16:17], v[10:13]
	s_waitcnt vmcnt(4) lgkmcnt(0)
	v_mfma_f32_16x16x16bf16_1k v[6:9], v[2:3], v[40:41], v[6:9]
	v_mfma_f32_16x16x16bf16_1k v[2:5], v[4:5], v[42:43], v[6:9]
	s_nop 7
	s_nop 1
	ds_read_b128 v[6:9], v36 offset:4096
	ds_read_b128 v[10:13], v36 offset:4112
	s_waitcnt vmcnt(3) lgkmcnt(1)
	v_mfma_f32_16x16x16bf16_1k v[2:5], v[30:31], v[6:7], v[2:5]
	v_mfma_f32_16x16x16bf16_1k v[2:5], v[32:33], v[8:9], v[2:5]
	s_waitcnt vmcnt(2) lgkmcnt(0)
	v_mfma_f32_16x16x16bf16_1k v[2:5], v[22:23], v[10:11], v[2:5]
	v_mfma_f32_16x16x16bf16_1k v[2:5], v[24:25], v[12:13], v[2:5]
	ds_read_b128 v[6:9], v36 offset:6144
	ds_read_b128 v[10:13], v36 offset:6160
	s_waitcnt lgkmcnt(0)
	s_barrier
	s_waitcnt vmcnt(1)
	v_mfma_f32_16x16x16bf16_1k v[2:5], v[26:27], v[6:7], v[2:5]
	v_mfma_f32_16x16x16bf16_1k v[2:5], v[28:29], v[8:9], v[2:5]
	s_waitcnt vmcnt(0)
	v_mfma_f32_16x16x16bf16_1k v[2:5], v[18:19], v[10:11], v[2:5]
	v_mfma_f32_16x16x16bf16_1k v[2:5], v[20:21], v[12:13], v[2:5]
	s_nop 7
	s_nop 2
	v_bfe_u32 v6, v3, 16, 1
	v_bfe_u32 v7, v2, 16, 1
	;; [unrolled: 1-line block ×4, first 2 shown]
	v_add3_u32 v2, v2, v7, s10
	v_add3_u32 v3, v3, v6, s10
	;; [unrolled: 1-line block ×4, first 2 shown]
	v_perm_b32 v2, v3, v2, s11
	v_perm_b32 v3, v5, v4, s11
	ds_write_b64 v38, v[2:3]
	s_waitcnt lgkmcnt(0)
	s_barrier
	s_and_saveexec_b64 s[10:11], s[0:1]
	s_cbranch_execz .LBB281_20
; %bb.18:
	s_load_dwordx2 s[4:5], s[4:5], 0x68
	s_lshl_b32 s0, s8, 6
	s_mul_i32 s1, s9, s6
	s_mul_hi_u32 s7, s1, s0
	s_mul_i32 s6, s1, s0
	s_lshl_b64 s[6:7], s[6:7], 1
	s_waitcnt lgkmcnt(0)
	s_add_u32 s1, s4, s6
	v_lshlrev_b32_e32 v2, 10, v0
	v_lshlrev_b32_e32 v0, 4, v0
	s_addc_u32 s4, s5, s7
	s_lshl_b32 s2, s28, 6
	v_and_b32_e32 v2, 0x1800, v2
	v_lshlrev_b32_e32 v3, 5, v1
	v_and_b32_e32 v0, 16, v0
	s_lshl_b64 s[2:3], s[2:3], 1
	v_or3_b32 v0, v2, v3, v0
	s_add_u32 s1, s1, s2
	ds_read_b128 v[6:9], v0 offset:256
	v_or_b32_e32 v2, 12, v1
	s_addc_u32 s2, s4, s3
	ds_read_b128 v[10:13], v0 offset:128
	ds_read_b128 v[14:17], v0
	v_add_u32_e32 v1, s29, v1
	v_mov_b32_e32 v4, s2
	v_add_co_u32_e32 v3, vcc, s1, v34
	v_mad_u64_u32 v[18:19], s[2:3], v1, s0, 0
	v_addc_co_u32_e32 v4, vcc, v4, v35, vcc
	v_lshlrev_b64 v[18:19], 1, v[18:19]
	v_add_co_u32_e32 v18, vcc, v3, v18
	v_addc_co_u32_e32 v19, vcc, v4, v19, vcc
	v_add_u32_e32 v5, 4, v1
	s_waitcnt lgkmcnt(0)
	global_store_dwordx4 v[18:19], v[14:17], off
	v_add_u32_e32 v1, 8, v1
	v_mad_u64_u32 v[14:15], s[2:3], v5, s0, 0
	v_lshlrev_b64 v[14:15], 1, v[14:15]
	v_add_co_u32_e32 v14, vcc, v3, v14
	v_addc_co_u32_e32 v15, vcc, v4, v15, vcc
	global_store_dwordx4 v[14:15], v[10:13], off
	s_nop 0
	v_mad_u64_u32 v[10:11], s[2:3], v1, s0, 0
	v_lshlrev_b64 v[10:11], 1, v[10:11]
	v_add_co_u32_e32 v10, vcc, v3, v10
	v_addc_co_u32_e32 v11, vcc, v4, v11, vcc
	v_cmp_gt_u32_e32 vcc, 14, v2
	global_store_dwordx4 v[10:11], v[6:9], off
	s_and_b64 exec, exec, vcc
	s_cbranch_execz .LBB281_20
; %bb.19:
	ds_read_b128 v[6:9], v0 offset:384
	v_add_u32_e32 v0, s29, v2
	v_mad_u64_u32 v[0:1], s[0:1], v0, s0, 0
	v_lshlrev_b64 v[0:1], 1, v[0:1]
	v_add_co_u32_e32 v0, vcc, v3, v0
	v_addc_co_u32_e32 v1, vcc, v4, v1, vcc
	s_waitcnt lgkmcnt(0)
	global_store_dwordx4 v[0:1], v[6:9], off
.LBB281_20:
	s_endpgm
	.section	.rodata,"a",@progbits
	.p2align	6, 0x0
	.amdhsa_kernel _Z39paged_attention_ll4mi_QKV_mfma16_kernelI14__hip_bfloat16S0_LN4vllm18Fp8KVCacheDataTypeE0ES0_Li32ELi64ELi256ELb0ELi14EL8MFMAType0EEvPKT_PKT0_S9_ifPKiSB_SB_iPKfiiiPfSE_PS4_PT2_iSD_SD_
		.amdhsa_group_segment_fixed_size 8192
		.amdhsa_private_segment_fixed_size 0
		.amdhsa_kernarg_size 400
		.amdhsa_user_sgpr_count 6
		.amdhsa_user_sgpr_private_segment_buffer 1
		.amdhsa_user_sgpr_dispatch_ptr 0
		.amdhsa_user_sgpr_queue_ptr 0
		.amdhsa_user_sgpr_kernarg_segment_ptr 1
		.amdhsa_user_sgpr_dispatch_id 0
		.amdhsa_user_sgpr_flat_scratch_init 0
		.amdhsa_user_sgpr_kernarg_preload_length 0
		.amdhsa_user_sgpr_kernarg_preload_offset 0
		.amdhsa_user_sgpr_private_segment_size 0
		.amdhsa_uses_dynamic_stack 0
		.amdhsa_system_sgpr_private_segment_wavefront_offset 0
		.amdhsa_system_sgpr_workgroup_id_x 1
		.amdhsa_system_sgpr_workgroup_id_y 1
		.amdhsa_system_sgpr_workgroup_id_z 1
		.amdhsa_system_sgpr_workgroup_info 0
		.amdhsa_system_vgpr_workitem_id 0
		.amdhsa_next_free_vgpr 66
		.amdhsa_next_free_sgpr 48
		.amdhsa_accum_offset 68
		.amdhsa_reserve_vcc 1
		.amdhsa_reserve_flat_scratch 0
		.amdhsa_float_round_mode_32 0
		.amdhsa_float_round_mode_16_64 0
		.amdhsa_float_denorm_mode_32 3
		.amdhsa_float_denorm_mode_16_64 3
		.amdhsa_dx10_clamp 1
		.amdhsa_ieee_mode 1
		.amdhsa_fp16_overflow 0
		.amdhsa_tg_split 0
		.amdhsa_exception_fp_ieee_invalid_op 0
		.amdhsa_exception_fp_denorm_src 0
		.amdhsa_exception_fp_ieee_div_zero 0
		.amdhsa_exception_fp_ieee_overflow 0
		.amdhsa_exception_fp_ieee_underflow 0
		.amdhsa_exception_fp_ieee_inexact 0
		.amdhsa_exception_int_div_zero 0
	.end_amdhsa_kernel
	.section	.text._Z39paged_attention_ll4mi_QKV_mfma16_kernelI14__hip_bfloat16S0_LN4vllm18Fp8KVCacheDataTypeE0ES0_Li32ELi64ELi256ELb0ELi14EL8MFMAType0EEvPKT_PKT0_S9_ifPKiSB_SB_iPKfiiiPfSE_PS4_PT2_iSD_SD_,"axG",@progbits,_Z39paged_attention_ll4mi_QKV_mfma16_kernelI14__hip_bfloat16S0_LN4vllm18Fp8KVCacheDataTypeE0ES0_Li32ELi64ELi256ELb0ELi14EL8MFMAType0EEvPKT_PKT0_S9_ifPKiSB_SB_iPKfiiiPfSE_PS4_PT2_iSD_SD_,comdat
.Lfunc_end281:
	.size	_Z39paged_attention_ll4mi_QKV_mfma16_kernelI14__hip_bfloat16S0_LN4vllm18Fp8KVCacheDataTypeE0ES0_Li32ELi64ELi256ELb0ELi14EL8MFMAType0EEvPKT_PKT0_S9_ifPKiSB_SB_iPKfiiiPfSE_PS4_PT2_iSD_SD_, .Lfunc_end281-_Z39paged_attention_ll4mi_QKV_mfma16_kernelI14__hip_bfloat16S0_LN4vllm18Fp8KVCacheDataTypeE0ES0_Li32ELi64ELi256ELb0ELi14EL8MFMAType0EEvPKT_PKT0_S9_ifPKiSB_SB_iPKfiiiPfSE_PS4_PT2_iSD_SD_
                                        ; -- End function
	.section	.AMDGPU.csdata,"",@progbits
; Kernel info:
; codeLenInByte = 4408
; NumSgprs: 52
; NumVgprs: 66
; NumAgprs: 0
; TotalNumVgprs: 66
; ScratchSize: 0
; MemoryBound: 0
; FloatMode: 240
; IeeeMode: 1
; LDSByteSize: 8192 bytes/workgroup (compile time only)
; SGPRBlocks: 6
; VGPRBlocks: 8
; NumSGPRsForWavesPerEU: 52
; NumVGPRsForWavesPerEU: 66
; AccumOffset: 68
; Occupancy: 7
; WaveLimiterHint : 1
; COMPUTE_PGM_RSRC2:SCRATCH_EN: 0
; COMPUTE_PGM_RSRC2:USER_SGPR: 6
; COMPUTE_PGM_RSRC2:TRAP_HANDLER: 0
; COMPUTE_PGM_RSRC2:TGID_X_EN: 1
; COMPUTE_PGM_RSRC2:TGID_Y_EN: 1
; COMPUTE_PGM_RSRC2:TGID_Z_EN: 1
; COMPUTE_PGM_RSRC2:TIDIG_COMP_CNT: 0
; COMPUTE_PGM_RSRC3_GFX90A:ACCUM_OFFSET: 16
; COMPUTE_PGM_RSRC3_GFX90A:TG_SPLIT: 0
	.section	.text._Z39paged_attention_ll4mi_QKV_mfma16_kernelI14__hip_bfloat16S0_LN4vllm18Fp8KVCacheDataTypeE0ES0_Li32ELi64ELi256ELb0ELi15EL8MFMAType0EEvPKT_PKT0_S9_ifPKiSB_SB_iPKfiiiPfSE_PS4_PT2_iSD_SD_,"axG",@progbits,_Z39paged_attention_ll4mi_QKV_mfma16_kernelI14__hip_bfloat16S0_LN4vllm18Fp8KVCacheDataTypeE0ES0_Li32ELi64ELi256ELb0ELi15EL8MFMAType0EEvPKT_PKT0_S9_ifPKiSB_SB_iPKfiiiPfSE_PS4_PT2_iSD_SD_,comdat
	.protected	_Z39paged_attention_ll4mi_QKV_mfma16_kernelI14__hip_bfloat16S0_LN4vllm18Fp8KVCacheDataTypeE0ES0_Li32ELi64ELi256ELb0ELi15EL8MFMAType0EEvPKT_PKT0_S9_ifPKiSB_SB_iPKfiiiPfSE_PS4_PT2_iSD_SD_ ; -- Begin function _Z39paged_attention_ll4mi_QKV_mfma16_kernelI14__hip_bfloat16S0_LN4vllm18Fp8KVCacheDataTypeE0ES0_Li32ELi64ELi256ELb0ELi15EL8MFMAType0EEvPKT_PKT0_S9_ifPKiSB_SB_iPKfiiiPfSE_PS4_PT2_iSD_SD_
	.globl	_Z39paged_attention_ll4mi_QKV_mfma16_kernelI14__hip_bfloat16S0_LN4vllm18Fp8KVCacheDataTypeE0ES0_Li32ELi64ELi256ELb0ELi15EL8MFMAType0EEvPKT_PKT0_S9_ifPKiSB_SB_iPKfiiiPfSE_PS4_PT2_iSD_SD_
	.p2align	8
	.type	_Z39paged_attention_ll4mi_QKV_mfma16_kernelI14__hip_bfloat16S0_LN4vllm18Fp8KVCacheDataTypeE0ES0_Li32ELi64ELi256ELb0ELi15EL8MFMAType0EEvPKT_PKT0_S9_ifPKiSB_SB_iPKfiiiPfSE_PS4_PT2_iSD_SD_,@function
_Z39paged_attention_ll4mi_QKV_mfma16_kernelI14__hip_bfloat16S0_LN4vllm18Fp8KVCacheDataTypeE0ES0_Li32ELi64ELi256ELb0ELi15EL8MFMAType0EEvPKT_PKT0_S9_ifPKiSB_SB_iPKfiiiPfSE_PS4_PT2_iSD_SD_: ; @_Z39paged_attention_ll4mi_QKV_mfma16_kernelI14__hip_bfloat16S0_LN4vllm18Fp8KVCacheDataTypeE0ES0_Li32ELi64ELi256ELb0ELi15EL8MFMAType0EEvPKT_PKT0_S9_ifPKiSB_SB_iPKfiiiPfSE_PS4_PT2_iSD_SD_
; %bb.0:
	s_load_dwordx2 s[0:1], s[4:5], 0x30
	s_mov_b32 s28, s7
	s_mov_b64 s[10:11], 0
	s_waitcnt lgkmcnt(0)
	s_cmp_lg_u64 s[0:1], 0
	s_cselect_b64 s[2:3], -1, 0
	s_and_b64 vcc, exec, s[2:3]
	s_cbranch_vccz .LBB282_7
; %bb.1:
	s_add_i32 s12, s6, 1
	s_mov_b32 s13, 0
	s_lshl_b64 s[14:15], s[12:13], 2
	s_add_u32 s14, s0, s14
	s_mov_b32 s7, s13
	s_addc_u32 s15, s1, s15
	s_lshl_b64 s[12:13], s[6:7], 2
	s_add_u32 s12, s0, s12
	s_addc_u32 s13, s1, s13
	s_load_dword s9, s[14:15], 0x0
	s_load_dword s16, s[12:13], 0x0
	s_waitcnt lgkmcnt(0)
	s_sub_i32 s9, s9, s16
	s_cmp_eq_u32 s9, 1
	s_cselect_b64 s[12:13], -1, 0
	s_andn2_b64 vcc, exec, s[10:11]
	s_cbranch_vccnz .LBB282_3
.LBB282_2:
	s_mov_b32 s7, 0
	s_mov_b64 s[12:13], -1
.LBB282_3:
	s_andn2_b64 vcc, exec, s[12:13]
	s_cbranch_vccnz .LBB282_20
; %bb.4:
	s_load_dwordx2 s[12:13], s[4:5], 0x28
	s_lshl_b64 s[10:11], s[6:7], 2
	s_waitcnt lgkmcnt(0)
	s_add_u32 s12, s12, s10
	s_addc_u32 s13, s13, s11
	s_load_dword s33, s[12:13], 0x0
	s_lshl_b32 s16, s28, 8
	s_waitcnt lgkmcnt(0)
	s_cmp_ge_i32 s16, s33
	s_cbranch_scc1 .LBB282_20
; %bb.5:
	s_add_i32 s14, s33, 31
	s_load_dwordx2 s[12:13], s[4:5], 0x20
	s_load_dword s9, s[4:5], 0x38
	s_ashr_i32 s15, s14, 31
	v_and_b32_e32 v1, 0xcf, v0
	s_lshr_b32 s15, s15, 27
	v_add_u32_e32 v1, s16, v1
	s_add_i32 s14, s14, s15
	v_ashrrev_i32_e32 v2, 31, v1
	s_ashr_i32 s19, s14, 5
	v_lshrrev_b32_e32 v6, 27, v2
	s_add_i32 s19, s19, -1
	v_add_u32_e32 v2, v1, v6
	s_waitcnt lgkmcnt(0)
	s_mul_i32 s14, s6, s9
	s_mov_b32 s15, 0
	v_ashrrev_i32_e32 v2, 5, v2
	v_mov_b32_e32 v7, s19
	v_cmp_gt_i32_e32 vcc, s33, v1
	s_lshl_b64 s[14:15], s[14:15], 2
	v_cndmask_b32_e32 v2, v7, v2, vcc
	s_add_u32 s17, s12, s14
	v_ashrrev_i32_e32 v3, 31, v2
	s_addc_u32 s18, s13, s15
	v_lshlrev_b64 v[2:3], 2, v[2:3]
	v_mov_b32_e32 v4, s18
	v_add_co_u32_e32 v2, vcc, s17, v2
	v_addc_co_u32_e32 v3, vcc, v4, v3, vcc
	v_or_b32_e32 v4, 16, v1
	v_add_u32_e32 v5, v4, v6
	v_ashrrev_i32_e32 v5, 5, v5
	v_cmp_gt_i32_e32 vcc, s33, v4
	v_cndmask_b32_e32 v4, v7, v5, vcc
	v_ashrrev_i32_e32 v5, 31, v4
	v_lshlrev_b64 v[4:5], 2, v[4:5]
	v_mov_b32_e32 v9, s18
	v_add_co_u32_e32 v8, vcc, s17, v4
	v_or_b32_e32 v4, 32, v1
	v_addc_co_u32_e32 v9, vcc, v9, v5, vcc
	v_add_u32_e32 v5, v4, v6
	v_ashrrev_i32_e32 v5, 5, v5
	v_cmp_gt_i32_e32 vcc, s33, v4
	v_cndmask_b32_e32 v4, v7, v5, vcc
	v_ashrrev_i32_e32 v5, 31, v4
	v_lshlrev_b64 v[4:5], 2, v[4:5]
	v_mov_b32_e32 v11, s18
	v_add_co_u32_e32 v10, vcc, s17, v4
	v_or_b32_e32 v1, 48, v1
	v_addc_co_u32_e32 v11, vcc, v11, v5, vcc
	v_add_u32_e32 v4, v1, v6
	v_ashrrev_i32_e32 v4, 5, v4
	v_cmp_gt_i32_e32 vcc, s33, v1
	v_cndmask_b32_e32 v4, v7, v4, vcc
	v_ashrrev_i32_e32 v5, 31, v4
	v_lshlrev_b64 v[4:5], 2, v[4:5]
	v_mov_b32_e32 v1, s18
	v_add_co_u32_e32 v12, vcc, s17, v4
	v_addc_co_u32_e32 v13, vcc, v1, v5, vcc
	global_load_dword v4, v[2:3], off
	global_load_dword v6, v[8:9], off
	;; [unrolled: 1-line block ×4, first 2 shown]
	s_andn2_b64 vcc, exec, s[2:3]
	s_cbranch_vccnz .LBB282_8
; %bb.6:
	s_add_u32 s0, s0, s10
	s_addc_u32 s1, s1, s11
	s_load_dword s9, s[0:1], 0x0
	s_branch .LBB282_9
.LBB282_7:
	s_mov_b64 s[12:13], 0
	s_branch .LBB282_2
.LBB282_8:
	s_mov_b32 s9, s6
.LBB282_9:
	s_load_dwordx4 s[12:15], s[4:5], 0x8
	s_load_dwordx4 s[44:47], s[4:5], 0x48
	v_lshrrev_b32_e32 v53, 6, v0
	v_bfe_u32 v1, v0, 4, 2
	v_lshl_or_b32 v5, v53, 2, v1
	v_and_b32_e32 v52, 15, v0
	v_cmp_lt_u32_e32 vcc, 14, v5
	v_cmp_lt_u32_e64 s[2:3], 7, v52
	v_lshlrev_b32_e32 v2, 3, v52
	v_cmp_gt_u32_e64 s[0:1], 8, v52
	s_or_b64 s[2:3], s[2:3], vcc
	s_and_saveexec_b64 s[10:11], s[2:3]
	s_xor_b64 s[2:3], exec, s[10:11]
; %bb.10:
	v_mov_b32_e32 v3, 0
                                        ; implicit-def: $vgpr5
; %bb.11:
	s_or_saveexec_b64 s[2:3], s[2:3]
	v_and_b32_e32 v54, 63, v0
	s_mul_i32 s29, s8, 15
	s_xor_b64 exec, exec, s[2:3]
	s_cbranch_execz .LBB282_13
; %bb.12:
	s_load_dwordx2 s[10:11], s[4:5], 0x0
	s_waitcnt lgkmcnt(0)
	s_ashr_i32 s20, s44, 31
	s_mul_hi_u32 s21, s9, s44
	s_mul_i32 s20, s9, s20
	s_add_i32 s21, s21, s20
	s_mul_i32 s20, s9, s44
	s_lshl_b64 s[20:21], s[20:21], 1
	v_add_lshl_u32 v8, v5, s29, 6
	s_add_u32 s9, s10, s20
	v_ashrrev_i32_e32 v9, 31, v8
	s_addc_u32 s10, s11, s21
	v_lshlrev_b64 v[8:9], 1, v[8:9]
	v_mov_b32_e32 v3, s10
	v_add_co_u32_e32 v7, vcc, s9, v8
	v_addc_co_u32_e32 v3, vcc, v3, v9, vcc
	v_lshlrev_b32_e32 v8, 1, v2
	v_add_co_u32_e32 v8, vcc, v7, v8
	v_addc_co_u32_e32 v9, vcc, 0, v3, vcc
	global_load_dwordx4 v[8:11], v[8:9], off
	v_and_b32_e32 v7, 3, v0
	v_lshlrev_b32_e32 v12, 9, v52
	v_lshlrev_b32_e32 v5, 5, v5
	v_lshlrev_b32_e32 v7, 9, v7
	v_and_b32_e32 v12, 0x1800, v12
	v_mov_b32_e32 v3, 0
	v_or3_b32 v5, v12, v7, v5
	s_waitcnt vmcnt(0)
	ds_write_b128 v5, v[8:11]
.LBB282_13:
	s_or_b64 exec, exec, s[2:3]
	s_waitcnt lgkmcnt(0)
	s_mov_b32 s9, 0
	s_mul_i32 s8, s8, s46
	s_lshl_b64 s[8:9], s[8:9], 1
	s_add_u32 s3, s12, s8
	s_waitcnt vmcnt(3)
	v_mad_i64_i32 v[4:5], s[10:11], v4, s45, 0
	s_addc_u32 s12, s13, s9
	v_lshlrev_b64 v[4:5], 1, v[4:5]
	v_mov_b32_e32 v7, s12
	v_add_co_u32_e32 v4, vcc, s3, v4
	v_addc_co_u32_e32 v5, vcc, v7, v5, vcc
	v_lshlrev_b64 v[34:35], 1, v[2:3]
	v_add_co_u32_e32 v2, vcc, v4, v34
	v_lshlrev_b32_e32 v28, 9, v1
	v_addc_co_u32_e32 v3, vcc, v5, v35, vcc
	v_add_co_u32_e32 v20, vcc, v2, v28
	v_addc_co_u32_e32 v21, vcc, 0, v3, vcc
	s_load_dword s42, s[4:5], 0x98
	s_load_dword s2, s[4:5], 0x1c
	s_waitcnt lgkmcnt(0)
	s_barrier
	global_load_dwordx4 v[2:5], v[20:21], off
	s_waitcnt vmcnt(3)
	v_mad_i64_i32 v[6:7], s[10:11], v6, s45, 0
	v_lshlrev_b64 v[6:7], 1, v[6:7]
	v_mov_b32_e32 v8, s12
	v_add_co_u32_e32 v6, vcc, s3, v6
	v_addc_co_u32_e32 v7, vcc, v8, v7, vcc
	v_mov_b32_e32 v8, 0x100
	v_lshl_or_b32 v29, v52, 4, v8
	v_add_co_u32_e32 v6, vcc, v6, v29
	v_addc_co_u32_e32 v7, vcc, 0, v7, vcc
	v_add_co_u32_e32 v22, vcc, v6, v28
	v_addc_co_u32_e32 v23, vcc, 0, v7, vcc
	global_load_dwordx4 v[10:13], v[22:23], off
	global_load_dwordx4 v[14:17], v[20:21], off offset:2048
	global_load_dwordx4 v[6:9], v[22:23], off offset:2048
	v_cmp_ne_u32_e32 vcc, 15, v52
	v_cndmask_b32_e32 v22, 0, v52, vcc
	s_waitcnt vmcnt(5)
	v_mad_i64_i32 v[20:21], s[10:11], v19, s45, 0
	s_waitcnt vmcnt(4)
	v_mad_i64_i32 v[18:19], s[10:11], v18, s45, 0
	v_lshl_or_b32 v32, v22, 5, v28
	v_lshlrev_b64 v[30:31], 1, v[20:21]
	v_lshlrev_b64 v[26:27], 1, v[18:19]
	ds_read_b128 v[22:25], v32
	ds_read_b128 v[18:21], v32 offset:2048
	v_mov_b32_e32 v32, s12
	v_add_co_u32_e32 v36, vcc, s3, v30
	v_addc_co_u32_e32 v37, vcc, v32, v31, vcc
	v_mov_b32_e32 v47, s12
	s_ashr_i32 s10, s16, 31
	v_and_or_b32 v50, v0, 48, s16
	s_lshr_b32 s10, s10, 27
	v_or_b32_e32 v46, 64, v50
	v_mov_b32_e32 v51, s19
	v_mov_b32_e32 v49, s18
	s_mov_b32 s43, 0xff7fffff
	s_waitcnt vmcnt(3) lgkmcnt(1)
	v_mfma_f32_16x16x16bf16_1k v[30:33], v[2:3], v[22:23], 0
	v_add_co_u32_e32 v2, vcc, v36, v34
	v_addc_co_u32_e32 v3, vcc, v37, v35, vcc
	v_add_co_u32_e32 v44, vcc, v2, v28
	v_addc_co_u32_e32 v45, vcc, 0, v3, vcc
	global_load_dwordx4 v[36:39], v[44:45], off
	v_add_co_u32_e32 v2, vcc, s3, v26
	v_addc_co_u32_e32 v3, vcc, v47, v27, vcc
	v_add_co_u32_e32 v26, vcc, v2, v29
	v_addc_co_u32_e32 v27, vcc, 0, v3, vcc
	v_mfma_f32_16x16x16bf16_1k v[2:5], v[4:5], v[24:25], v[30:33]
	s_add_u32 s3, s14, s8
	s_addc_u32 s8, s15, s9
	s_waitcnt vmcnt(3)
	v_mfma_f32_16x16x16bf16_1k v[40:43], v[10:11], v[22:23], 0
	v_add_u32_e32 v10, s10, v50
	v_add_u32_e32 v11, s10, v46
	s_nop 0
	v_ashrrev_i32_e32 v30, 5, v10
	v_add_co_u32_e32 v10, vcc, v26, v28
	v_ashrrev_i32_e32 v31, 5, v11
	v_addc_co_u32_e32 v11, vcc, 0, v27, vcc
	global_load_dwordx4 v[26:29], v[44:45], off offset:2048
	s_waitcnt vmcnt(3) lgkmcnt(0)
	v_mfma_f32_16x16x16bf16_1k v[2:5], v[14:15], v[18:19], v[2:5]
	v_cmp_gt_i32_e32 vcc, s33, v50
	v_cndmask_b32_e32 v14, v51, v30, vcc
	v_cmp_gt_i32_e32 vcc, s33, v46
	v_ashrrev_i32_e32 v15, 31, v14
	v_cndmask_b32_e32 v48, v51, v31, vcc
	global_load_dwordx4 v[30:33], v[10:11], off
	global_load_dwordx4 v[56:59], v[10:11], off offset:2048
	v_lshlrev_b64 v[10:11], 2, v[14:15]
	v_mfma_f32_16x16x16bf16_1k v[44:47], v[16:17], v[20:21], v[2:5]
	v_mov_b32_e32 v15, s18
	s_nop 5
	v_add_co_u32_e32 v2, vcc, s17, v10
	v_addc_co_u32_e32 v3, vcc, v49, v11, vcc
	global_load_dword v14, v[2:3], off
	v_ashrrev_i32_e32 v49, 31, v48
	v_lshlrev_b64 v[10:11], 2, v[48:49]
	v_add_co_u32_e32 v10, vcc, s17, v10
	v_addc_co_u32_e32 v11, vcc, v15, v11, vcc
	global_load_dword v48, v[10:11], off
	v_mfma_f32_16x16x16bf16_1k v[2:5], v[12:13], v[24:25], v[40:43]
	v_or_b32_e32 v10, 0x80, v50
	v_add_u32_e32 v11, s10, v10
	v_ashrrev_i32_e32 v11, 5, v11
	v_cmp_gt_i32_e32 vcc, s33, v10
	v_cndmask_b32_e32 v10, v51, v11, vcc
	v_ashrrev_i32_e32 v11, 31, v10
	s_waitcnt vmcnt(6)
	v_mfma_f32_16x16x16bf16_1k v[2:5], v[6:7], v[18:19], v[2:5]
	v_lshlrev_b64 v[6:7], 2, v[10:11]
	v_mov_b32_e32 v10, s18
	v_add_co_u32_e32 v6, vcc, s17, v6
	v_addc_co_u32_e32 v7, vcc, v10, v7, vcc
	global_load_dword v49, v[6:7], off
	v_mfma_f32_16x16x16bf16_1k v[40:43], v[8:9], v[20:21], v[2:5]
	v_or_b32_e32 v6, 0xc0, v50
	v_add_u32_e32 v7, s10, v6
	v_ashrrev_i32_e32 v7, 5, v7
	v_cmp_gt_i32_e32 vcc, s33, v6
	v_cndmask_b32_e32 v6, v51, v7, vcc
	v_ashrrev_i32_e32 v7, 31, v6
	v_lshlrev_b64 v[6:7], 2, v[6:7]
	s_waitcnt vmcnt(6)
	v_mfma_f32_16x16x16bf16_1k v[2:5], v[36:37], v[22:23], 0
	v_mov_b32_e32 v8, s18
	v_add_co_u32_e32 v6, vcc, s17, v6
	v_addc_co_u32_e32 v7, vcc, v8, v7, vcc
	global_load_dword v55, v[6:7], off
	v_and_b32_e32 v6, 16, v0
	v_mfma_f32_16x16x16bf16_1k v[2:5], v[38:39], v[24:25], v[2:5]
	v_lshlrev_b32_e32 v6, 1, v6
	v_mov_b32_e32 v7, s8
	v_add_co_u32_e32 v6, vcc, s3, v6
	v_lshlrev_b32_e32 v8, 6, v52
	v_addc_co_u32_e32 v7, vcc, 0, v7, vcc
	s_waitcnt vmcnt(6)
	v_mfma_f32_16x16x16bf16_1k v[2:5], v[26:27], v[18:19], v[2:5]
	v_lshl_or_b32 v8, v53, 10, v8
	v_add_co_u32_e32 v60, vcc, v6, v8
	v_addc_co_u32_e32 v61, vcc, 0, v7, vcc
	v_pk_mul_f32 v[40:41], s[2:3], v[40:41] op_sel_hi:[0,1]
	v_pk_mul_f32 v[50:51], s[2:3], v[42:43] op_sel_hi:[0,1]
	v_mfma_f32_16x16x16bf16_1k v[26:29], v[28:29], v[20:21], v[2:5]
	s_waitcnt vmcnt(3)
	s_nop 5
	v_mad_i64_i32 v[2:3], s[8:9], v14, s45, 0
	v_lshlrev_b64 v[6:7], 1, v[2:3]
	v_mfma_f32_16x16x16bf16_1k v[2:5], v[30:31], v[22:23], 0
	v_add_co_u32_e32 v6, vcc, v60, v6
	v_addc_co_u32_e32 v7, vcc, v61, v7, vcc
	global_load_dwordx4 v[14:17], v[6:7], off
	global_load_dwordx4 v[10:13], v[6:7], off offset:16
	s_waitcnt vmcnt(4)
	v_mad_i64_i32 v[6:7], s[8:9], v48, s45, 0
	v_mfma_f32_16x16x16bf16_1k v[22:25], v[32:33], v[24:25], v[2:5]
	v_pk_mul_f32 v[42:43], s[2:3], v[26:27] op_sel_hi:[0,1]
	v_lshlrev_b64 v[6:7], 1, v[6:7]
	s_waitcnt vmcnt(3)
	v_mad_i64_i32 v[30:31], s[8:9], v49, s45, 0
	v_mfma_f32_16x16x16bf16_1k v[22:25], v[56:57], v[18:19], v[22:25]
	v_pk_mul_f32 v[18:19], s[2:3], v[44:45] op_sel_hi:[0,1]
	v_pk_mul_f32 v[48:49], s[2:3], v[46:47] op_sel_hi:[0,1]
	;; [unrolled: 1-line block ×3, first 2 shown]
	v_add_co_u32_e32 v2, vcc, v60, v6
	v_addc_co_u32_e32 v3, vcc, v61, v7, vcc
	v_mfma_f32_16x16x16bf16_1k v[20:23], v[58:59], v[20:21], v[22:25]
	v_lshlrev_b64 v[30:31], 1, v[30:31]
	v_add_co_u32_e32 v38, vcc, v60, v30
	v_addc_co_u32_e32 v39, vcc, v61, v31, vcc
	global_load_dwordx4 v[6:9], v[2:3], off
	s_nop 0
	global_load_dwordx4 v[2:5], v[2:3], off offset:16
	s_nop 4
	v_pk_mul_f32 v[44:45], s[2:3], v[20:21] op_sel_hi:[0,1]
	v_and_b32_e32 v20, 0xc0, v0
	v_add_u32_e32 v20, s16, v20
	v_lshl_or_b32 v20, v1, 2, v20
	v_pk_mul_f32 v[36:37], s[2:3], v[22:23] op_sel_hi:[0,1]
	v_or_b32_e32 v23, 1, v20
	v_mov_b32_e32 v21, 0xff7fffff
	v_cmp_gt_i32_e64 s[30:31], s33, v20
	v_cmp_gt_i32_e64 s[34:35], s33, v23
	v_cndmask_b32_e64 v22, v21, v18, s[30:31]
	v_cndmask_b32_e64 v23, v21, v19, s[34:35]
	v_max3_f32 v22, v22, s43, v23
	v_or_b32_e32 v23, 2, v20
	v_or_b32_e32 v24, 3, v20
	v_cmp_gt_i32_e64 s[36:37], s33, v23
	v_cmp_gt_i32_e64 s[38:39], s33, v24
	v_cndmask_b32_e64 v23, v21, v48, s[36:37]
	v_cndmask_b32_e64 v24, v21, v49, s[38:39]
	v_max3_f32 v22, v22, v23, v24
	v_or_b32_e32 v23, 16, v20
	v_or_b32_e32 v24, 17, v20
	;; [unrolled: 7-line block ×7, first 2 shown]
	v_cmp_gt_i32_e32 vcc, s33, v23
	v_cmp_gt_i32_e64 s[2:3], s33, v20
	v_cndmask_b32_e32 v23, v21, v36, vcc
	v_cndmask_b32_e64 v20, v21, v37, s[2:3]
	v_max3_f32 v26, v22, v23, v20
	v_mbcnt_lo_u32_b32 v20, -1, 0
	v_mbcnt_hi_u32_b32 v27, -1, v20
	v_and_b32_e32 v20, 64, v27
	v_add_u32_e32 v28, 64, v20
	v_xor_b32_e32 v20, 32, v27
	v_cmp_lt_i32_e64 s[40:41], v20, v28
	v_cndmask_b32_e64 v20, v27, v20, s[40:41]
	v_lshlrev_b32_e32 v56, 2, v20
	ds_bpermute_b32 v29, v56, v26
	s_waitcnt vmcnt(4)
	v_mad_i64_i32 v[20:21], s[40:41], v55, s45, 0
	v_lshlrev_b64 v[20:21], 1, v[20:21]
	global_load_dwordx4 v[30:33], v[38:39], off
	global_load_dwordx4 v[22:25], v[38:39], off offset:16
	s_waitcnt lgkmcnt(0)
	v_max_f32_e32 v29, v29, v29
	v_max_f32_e32 v26, v26, v29
	v_xor_b32_e32 v29, 16, v27
	v_cmp_lt_i32_e64 s[40:41], v29, v28
	v_cndmask_b32_e64 v27, v27, v29, s[40:41]
	v_lshlrev_b32_e32 v58, 2, v27
	ds_bpermute_b32 v27, v58, v26
	v_add_co_u32_e64 v20, s[40:41], v60, v20
	v_addc_co_u32_e64 v21, s[40:41], v61, v21, s[40:41]
	s_waitcnt lgkmcnt(0)
	v_max_f32_e32 v27, v27, v27
	v_max_f32_e32 v55, v26, v27
	v_sub_f32_e32 v18, v18, v55
	v_mul_f32_e32 v18, 0x3fb8aa3b, v18
	v_exp_f32_e32 v38, v18
	v_sub_f32_e32 v18, v19, v55
	v_mul_f32_e32 v18, 0x3fb8aa3b, v18
	v_exp_f32_e32 v39, v18
	global_load_dwordx4 v[26:29], v[20:21], off
	s_nop 0
	global_load_dwordx4 v[18:21], v[20:21], off offset:16
	v_sub_f32_e32 v48, v48, v55
	v_mul_f32_e32 v48, 0x3fb8aa3b, v48
	v_sub_f32_e32 v49, v49, v55
	v_exp_f32_e32 v48, v48
	v_mul_f32_e32 v49, 0x3fb8aa3b, v49
	v_sub_f32_e32 v40, v40, v55
	v_exp_f32_e32 v49, v49
	v_mul_f32_e32 v40, 0x3fb8aa3b, v40
	v_sub_f32_e32 v41, v41, v55
	v_cndmask_b32_e64 v38, 0, v38, s[30:31]
	v_exp_f32_e32 v40, v40
	v_mul_f32_e32 v41, 0x3fb8aa3b, v41
	v_sub_f32_e32 v50, v50, v55
	v_add_f32_e32 v57, 0, v38
	v_cndmask_b32_e64 v39, 0, v39, s[34:35]
	v_exp_f32_e32 v41, v41
	v_mul_f32_e32 v50, 0x3fb8aa3b, v50
	v_sub_f32_e32 v51, v51, v55
	v_add_f32_e32 v57, v57, v39
	;; [unrolled: 5-line block ×10, first 2 shown]
	v_cndmask_b32_e64 v46, 0, v46, s[12:13]
	v_exp_f32_e32 v36, v36
	v_mul_f32_e32 v37, 0x3fb8aa3b, v37
	v_add_f32_e32 v57, v57, v46
	v_cndmask_b32_e64 v47, 0, v47, s[14:15]
	v_exp_f32_e32 v37, v37
	v_add_f32_e32 v57, v57, v47
	v_cndmask_b32_e64 v44, 0, v44, s[8:9]
	v_add_f32_e32 v57, v57, v44
	v_cndmask_b32_e64 v45, 0, v45, s[10:11]
	v_add_f32_e32 v57, v57, v45
	v_cndmask_b32_e32 v36, 0, v36, vcc
	v_add_f32_e32 v57, v57, v36
	v_cndmask_b32_e64 v37, 0, v37, s[2:3]
	v_add_f32_e32 v57, v57, v37
	ds_bpermute_b32 v56, v56, v57
	v_cmp_gt_u32_e32 vcc, 16, v54
	s_waitcnt lgkmcnt(0)
	s_barrier
	v_add_f32_e32 v57, v57, v56
	ds_bpermute_b32 v58, v58, v57
	v_lshlrev_b32_e32 v56, 2, v52
	s_and_saveexec_b64 s[2:3], vcc
	s_cbranch_execz .LBB282_15
; %bb.14:
	s_waitcnt lgkmcnt(0)
	v_add_f32_e32 v54, v57, v58
	v_lshl_or_b32 v57, v53, 6, v56
	ds_write2st64_b32 v57, v55, v54 offset1:1
.LBB282_15:
	s_or_b64 exec, exec, s[2:3]
	s_load_dword s8, s[4:5], 0x94
	s_waitcnt lgkmcnt(0)
	s_barrier
	ds_read2_b32 v[58:59], v56 offset1:16
	ds_read2_b32 v[60:61], v56 offset0:32 offset1:48
	ds_read2_b32 v[62:63], v56 offset0:64 offset1:80
	;; [unrolled: 1-line block ×3, first 2 shown]
	s_movk_i32 s10, 0x7fff
	s_waitcnt lgkmcnt(3)
	v_max3_f32 v54, v58, s43, v59
	s_waitcnt lgkmcnt(2)
	v_max3_f32 v54, v54, v60, v61
	v_sub_f32_e32 v55, v58, v54
	v_mul_f32_e32 v55, 0x3fb8aa3b, v55
	v_exp_f32_e32 v58, v55
	v_sub_f32_e32 v55, v59, v54
	v_mul_f32_e32 v55, 0x3fb8aa3b, v55
	v_exp_f32_e32 v59, v55
	;; [unrolled: 3-line block ×4, first 2 shown]
	s_waitcnt lgkmcnt(1)
	v_fma_f32 v55, v58, v62, 0
	v_fmac_f32_e32 v55, v59, v63
	s_waitcnt lgkmcnt(0)
	v_fmac_f32_e32 v55, v60, v56
	v_fmac_f32_e32 v55, v61, v57
	v_add_f32_e32 v56, 0x358637bd, v55
	v_div_scale_f32 v57, s[2:3], v56, v56, 1.0
	v_rcp_f32_e32 v62, v57
	s_mov_b32 s11, 0x7060302
	s_barrier
	v_fma_f32 v63, -v57, v62, 1.0
	v_fmac_f32_e32 v62, v63, v62
	v_div_scale_f32 v63, vcc, 1.0, v56, 1.0
	v_mul_f32_e32 v64, v63, v62
	v_fma_f32 v65, -v57, v64, v63
	v_fmac_f32_e32 v64, v65, v62
	v_fma_f32 v57, -v57, v64, v63
	v_div_fmas_f32 v57, v57, v62, v64
	v_cmp_eq_u32_e32 vcc, 1, v53
	v_div_fixup_f32 v56, v57, v56, 1.0
	v_cndmask_b32_e32 v57, v58, v59, vcc
	v_cmp_eq_u32_e32 vcc, 2, v53
	v_cndmask_b32_e32 v57, v57, v60, vcc
	v_cmp_eq_u32_e32 vcc, 3, v53
	v_cndmask_b32_e32 v57, v57, v61, vcc
	v_mul_f32_e32 v56, v57, v56
	v_pk_mul_f32 v[38:39], v[56:57], v[38:39] op_sel_hi:[0,1]
	v_pk_mul_f32 v[48:49], v[56:57], v[48:49] op_sel_hi:[0,1]
	v_bfe_u32 v57, v39, 16, 1
	v_bfe_u32 v58, v38, 16, 1
	v_add3_u32 v38, v38, v58, s10
	v_add3_u32 v39, v39, v57, s10
	v_perm_b32 v58, v39, v38, s11
	v_bfe_u32 v38, v49, 16, 1
	v_bfe_u32 v39, v48, 16, 1
	v_add3_u32 v39, v48, v39, s10
	v_add3_u32 v38, v49, v38, s10
	v_perm_b32 v59, v38, v39, s11
	v_lshlrev_b32_e32 v38, 3, v1
	v_lshlrev_b32_e32 v39, 5, v52
	;; [unrolled: 1-line block ×3, first 2 shown]
	v_pk_mul_f32 v[40:41], v[56:57], v[40:41] op_sel_hi:[0,1]
	v_or3_b32 v38, v48, v39, v38
	v_pk_mul_f32 v[48:49], v[56:57], v[50:51] op_sel_hi:[0,1]
	v_bfe_u32 v50, v41, 16, 1
	v_bfe_u32 v51, v40, 16, 1
	v_add3_u32 v40, v40, v51, s10
	v_add3_u32 v41, v41, v50, s10
	v_perm_b32 v40, v41, v40, s11
	v_bfe_u32 v41, v49, 16, 1
	v_bfe_u32 v50, v48, 16, 1
	v_add3_u32 v48, v48, v50, s10
	v_add3_u32 v41, v49, v41, s10
	v_perm_b32 v41, v41, v48, s11
	v_pk_mul_f32 v[42:43], v[56:57], v[42:43] op_sel_hi:[0,1]
	ds_write2st64_b64 v38, v[58:59], v[40:41] offset1:1
	v_pk_mul_f32 v[40:41], v[56:57], v[46:47] op_sel_hi:[0,1]
	v_bfe_u32 v46, v43, 16, 1
	v_bfe_u32 v47, v42, 16, 1
	v_add3_u32 v42, v42, v47, s10
	v_add3_u32 v43, v43, v46, s10
	v_perm_b32 v42, v43, v42, s11
	v_bfe_u32 v43, v41, 16, 1
	v_bfe_u32 v46, v40, 16, 1
	v_add3_u32 v40, v40, v46, s10
	v_add3_u32 v41, v41, v43, s10
	v_perm_b32 v43, v41, v40, s11
	v_pk_mul_f32 v[40:41], v[56:57], v[44:45] op_sel_hi:[0,1]
	v_bfe_u32 v44, v41, 16, 1
	v_bfe_u32 v45, v40, 16, 1
	v_pk_mul_f32 v[36:37], v[56:57], v[36:37] op_sel_hi:[0,1]
	v_add3_u32 v40, v40, v45, s10
	v_add3_u32 v41, v41, v44, s10
	v_perm_b32 v40, v41, v40, s11
	v_bfe_u32 v41, v37, 16, 1
	v_bfe_u32 v44, v36, 16, 1
	v_add3_u32 v36, v36, v44, s10
	v_add3_u32 v37, v37, v41, s10
	s_mul_i32 s9, s42, 15
	v_perm_b32 v41, v37, v36, s11
	v_cmp_gt_u32_e32 vcc, 15, v0
	ds_write2st64_b64 v38, v[42:43], v[40:41] offset0:2 offset1:3
	s_and_saveexec_b64 s[2:3], vcc
	s_cbranch_execz .LBB282_17
; %bb.16:
	v_add_co_u32_e32 v40, vcc, s29, v52
	v_addc_co_u32_e64 v41, s[16:17], 0, 0, vcc
	v_mov_b32_e32 v36, s9
	v_mov_b32_e32 v37, 0
	v_mad_u64_u32 v[40:41], s[16:17], s6, v36, v[40:41]
	v_mov_b32_e32 v36, s28
	s_load_dwordx4 s[12:15], s[4:5], 0x58
	s_mul_i32 s7, s7, s9
	v_mad_u64_u32 v[36:37], s[16:17], v40, s8, v[36:37]
	v_add_u32_e32 v41, s7, v41
	v_mov_b32_e32 v40, v37
	v_mad_u64_u32 v[40:41], s[16:17], v41, s8, v[40:41]
	v_mov_b32_e32 v37, v40
	v_lshlrev_b64 v[36:37], 2, v[36:37]
	s_waitcnt lgkmcnt(0)
	v_mov_b32_e32 v41, s15
	v_add_co_u32_e32 v40, vcc, s14, v36
	v_addc_co_u32_e32 v41, vcc, v41, v37, vcc
	global_store_dword v[40:41], v54, off
	v_mov_b32_e32 v40, s13
	v_add_co_u32_e32 v36, vcc, s12, v36
	v_addc_co_u32_e32 v37, vcc, v40, v37, vcc
	global_store_dword v[36:37], v55, off
.LBB282_17:
	s_or_b64 exec, exec, s[2:3]
	v_lshl_or_b32 v36, v1, 9, v39
	s_waitcnt lgkmcnt(0)
	s_barrier
	ds_read_b128 v[40:43], v36
	ds_read_b128 v[44:47], v36 offset:16
	s_waitcnt vmcnt(7) lgkmcnt(1)
	v_mfma_f32_16x16x16bf16_1k v[48:51], v[14:15], v[40:41], 0
	v_cmp_gt_u32_e32 vcc, 64, v0
	s_mov_b32 s3, 0
	s_and_b64 s[0:1], vcc, s[0:1]
	v_mfma_f32_16x16x16bf16_1k v[14:17], v[16:17], v[42:43], v[48:51]
	s_waitcnt vmcnt(6) lgkmcnt(0)
	v_mfma_f32_16x16x16bf16_1k v[14:17], v[10:11], v[44:45], v[14:17]
	v_mfma_f32_16x16x16bf16_1k v[10:13], v[12:13], v[46:47], v[14:17]
	s_nop 7
	s_nop 1
	ds_read_b128 v[14:17], v36 offset:2048
	ds_read_b128 v[40:43], v36 offset:2064
	s_waitcnt vmcnt(5) lgkmcnt(1)
	v_mfma_f32_16x16x16bf16_1k v[10:13], v[6:7], v[14:15], v[10:13]
	v_mfma_f32_16x16x16bf16_1k v[6:9], v[8:9], v[16:17], v[10:13]
	s_waitcnt vmcnt(4) lgkmcnt(0)
	v_mfma_f32_16x16x16bf16_1k v[6:9], v[2:3], v[40:41], v[6:9]
	v_mfma_f32_16x16x16bf16_1k v[2:5], v[4:5], v[42:43], v[6:9]
	s_nop 7
	s_nop 1
	ds_read_b128 v[6:9], v36 offset:4096
	ds_read_b128 v[10:13], v36 offset:4112
	s_waitcnt vmcnt(3) lgkmcnt(1)
	v_mfma_f32_16x16x16bf16_1k v[2:5], v[30:31], v[6:7], v[2:5]
	v_mfma_f32_16x16x16bf16_1k v[2:5], v[32:33], v[8:9], v[2:5]
	s_waitcnt vmcnt(2) lgkmcnt(0)
	v_mfma_f32_16x16x16bf16_1k v[2:5], v[22:23], v[10:11], v[2:5]
	v_mfma_f32_16x16x16bf16_1k v[2:5], v[24:25], v[12:13], v[2:5]
	ds_read_b128 v[6:9], v36 offset:6144
	ds_read_b128 v[10:13], v36 offset:6160
	s_waitcnt lgkmcnt(0)
	s_barrier
	s_waitcnt vmcnt(1)
	v_mfma_f32_16x16x16bf16_1k v[2:5], v[26:27], v[6:7], v[2:5]
	v_mfma_f32_16x16x16bf16_1k v[2:5], v[28:29], v[8:9], v[2:5]
	s_waitcnt vmcnt(0)
	v_mfma_f32_16x16x16bf16_1k v[2:5], v[18:19], v[10:11], v[2:5]
	v_mfma_f32_16x16x16bf16_1k v[2:5], v[20:21], v[12:13], v[2:5]
	s_nop 7
	s_nop 2
	v_bfe_u32 v6, v3, 16, 1
	v_bfe_u32 v7, v2, 16, 1
	;; [unrolled: 1-line block ×4, first 2 shown]
	v_add3_u32 v2, v2, v7, s10
	v_add3_u32 v3, v3, v6, s10
	;; [unrolled: 1-line block ×4, first 2 shown]
	v_perm_b32 v2, v3, v2, s11
	v_perm_b32 v3, v5, v4, s11
	ds_write_b64 v38, v[2:3]
	s_waitcnt lgkmcnt(0)
	s_barrier
	s_and_saveexec_b64 s[10:11], s[0:1]
	s_cbranch_execz .LBB282_20
; %bb.18:
	s_load_dwordx2 s[4:5], s[4:5], 0x68
	s_lshl_b32 s0, s8, 6
	s_mul_i32 s1, s9, s6
	s_mul_hi_u32 s7, s1, s0
	s_mul_i32 s6, s1, s0
	s_lshl_b64 s[6:7], s[6:7], 1
	s_waitcnt lgkmcnt(0)
	s_add_u32 s1, s4, s6
	v_lshlrev_b32_e32 v2, 10, v0
	v_lshlrev_b32_e32 v0, 4, v0
	s_addc_u32 s4, s5, s7
	s_lshl_b32 s2, s28, 6
	v_and_b32_e32 v2, 0x1800, v2
	v_lshlrev_b32_e32 v3, 5, v1
	v_and_b32_e32 v0, 16, v0
	s_lshl_b64 s[2:3], s[2:3], 1
	v_or3_b32 v0, v2, v3, v0
	s_add_u32 s1, s1, s2
	ds_read_b128 v[4:7], v0 offset:256
	s_addc_u32 s2, s4, s3
	ds_read_b128 v[8:11], v0 offset:128
	ds_read_b128 v[12:15], v0
	v_add_u32_e32 v18, s29, v1
	v_mov_b32_e32 v3, s2
	v_add_co_u32_e32 v2, vcc, s1, v34
	v_mad_u64_u32 v[16:17], s[2:3], v18, s0, 0
	v_addc_co_u32_e32 v3, vcc, v3, v35, vcc
	v_lshlrev_b64 v[16:17], 1, v[16:17]
	v_add_co_u32_e32 v16, vcc, v2, v16
	v_addc_co_u32_e32 v17, vcc, v3, v17, vcc
	s_waitcnt lgkmcnt(0)
	global_store_dwordx4 v[16:17], v[12:15], off
	s_nop 0
	v_add_u32_e32 v12, 4, v18
	v_mad_u64_u32 v[12:13], s[2:3], v12, s0, 0
	v_lshlrev_b64 v[12:13], 1, v[12:13]
	v_add_co_u32_e32 v12, vcc, v2, v12
	v_addc_co_u32_e32 v13, vcc, v3, v13, vcc
	global_store_dwordx4 v[12:13], v[8:11], off
	s_nop 0
	v_add_u32_e32 v8, 8, v18
	v_mad_u64_u32 v[8:9], s[2:3], v8, s0, 0
	v_lshlrev_b64 v[8:9], 1, v[8:9]
	v_add_co_u32_e32 v8, vcc, v2, v8
	v_addc_co_u32_e32 v9, vcc, v3, v9, vcc
	v_cmp_ne_u32_e32 vcc, 3, v1
	global_store_dwordx4 v[8:9], v[4:7], off
	s_and_b64 exec, exec, vcc
	s_cbranch_execz .LBB282_20
; %bb.19:
	ds_read_b128 v[4:7], v0 offset:384
	v_add3_u32 v0, s29, v1, 12
	v_mad_u64_u32 v[0:1], s[0:1], v0, s0, 0
	v_lshlrev_b64 v[0:1], 1, v[0:1]
	v_add_co_u32_e32 v0, vcc, v2, v0
	v_addc_co_u32_e32 v1, vcc, v3, v1, vcc
	s_waitcnt lgkmcnt(0)
	global_store_dwordx4 v[0:1], v[4:7], off
.LBB282_20:
	s_endpgm
	.section	.rodata,"a",@progbits
	.p2align	6, 0x0
	.amdhsa_kernel _Z39paged_attention_ll4mi_QKV_mfma16_kernelI14__hip_bfloat16S0_LN4vllm18Fp8KVCacheDataTypeE0ES0_Li32ELi64ELi256ELb0ELi15EL8MFMAType0EEvPKT_PKT0_S9_ifPKiSB_SB_iPKfiiiPfSE_PS4_PT2_iSD_SD_
		.amdhsa_group_segment_fixed_size 8192
		.amdhsa_private_segment_fixed_size 0
		.amdhsa_kernarg_size 400
		.amdhsa_user_sgpr_count 6
		.amdhsa_user_sgpr_private_segment_buffer 1
		.amdhsa_user_sgpr_dispatch_ptr 0
		.amdhsa_user_sgpr_queue_ptr 0
		.amdhsa_user_sgpr_kernarg_segment_ptr 1
		.amdhsa_user_sgpr_dispatch_id 0
		.amdhsa_user_sgpr_flat_scratch_init 0
		.amdhsa_user_sgpr_kernarg_preload_length 0
		.amdhsa_user_sgpr_kernarg_preload_offset 0
		.amdhsa_user_sgpr_private_segment_size 0
		.amdhsa_uses_dynamic_stack 0
		.amdhsa_system_sgpr_private_segment_wavefront_offset 0
		.amdhsa_system_sgpr_workgroup_id_x 1
		.amdhsa_system_sgpr_workgroup_id_y 1
		.amdhsa_system_sgpr_workgroup_id_z 1
		.amdhsa_system_sgpr_workgroup_info 0
		.amdhsa_system_vgpr_workitem_id 0
		.amdhsa_next_free_vgpr 66
		.amdhsa_next_free_sgpr 48
		.amdhsa_accum_offset 68
		.amdhsa_reserve_vcc 1
		.amdhsa_reserve_flat_scratch 0
		.amdhsa_float_round_mode_32 0
		.amdhsa_float_round_mode_16_64 0
		.amdhsa_float_denorm_mode_32 3
		.amdhsa_float_denorm_mode_16_64 3
		.amdhsa_dx10_clamp 1
		.amdhsa_ieee_mode 1
		.amdhsa_fp16_overflow 0
		.amdhsa_tg_split 0
		.amdhsa_exception_fp_ieee_invalid_op 0
		.amdhsa_exception_fp_denorm_src 0
		.amdhsa_exception_fp_ieee_div_zero 0
		.amdhsa_exception_fp_ieee_overflow 0
		.amdhsa_exception_fp_ieee_underflow 0
		.amdhsa_exception_fp_ieee_inexact 0
		.amdhsa_exception_int_div_zero 0
	.end_amdhsa_kernel
	.section	.text._Z39paged_attention_ll4mi_QKV_mfma16_kernelI14__hip_bfloat16S0_LN4vllm18Fp8KVCacheDataTypeE0ES0_Li32ELi64ELi256ELb0ELi15EL8MFMAType0EEvPKT_PKT0_S9_ifPKiSB_SB_iPKfiiiPfSE_PS4_PT2_iSD_SD_,"axG",@progbits,_Z39paged_attention_ll4mi_QKV_mfma16_kernelI14__hip_bfloat16S0_LN4vllm18Fp8KVCacheDataTypeE0ES0_Li32ELi64ELi256ELb0ELi15EL8MFMAType0EEvPKT_PKT0_S9_ifPKiSB_SB_iPKfiiiPfSE_PS4_PT2_iSD_SD_,comdat
.Lfunc_end282:
	.size	_Z39paged_attention_ll4mi_QKV_mfma16_kernelI14__hip_bfloat16S0_LN4vllm18Fp8KVCacheDataTypeE0ES0_Li32ELi64ELi256ELb0ELi15EL8MFMAType0EEvPKT_PKT0_S9_ifPKiSB_SB_iPKfiiiPfSE_PS4_PT2_iSD_SD_, .Lfunc_end282-_Z39paged_attention_ll4mi_QKV_mfma16_kernelI14__hip_bfloat16S0_LN4vllm18Fp8KVCacheDataTypeE0ES0_Li32ELi64ELi256ELb0ELi15EL8MFMAType0EEvPKT_PKT0_S9_ifPKiSB_SB_iPKfiiiPfSE_PS4_PT2_iSD_SD_
                                        ; -- End function
	.section	.AMDGPU.csdata,"",@progbits
; Kernel info:
; codeLenInByte = 4412
; NumSgprs: 52
; NumVgprs: 66
; NumAgprs: 0
; TotalNumVgprs: 66
; ScratchSize: 0
; MemoryBound: 0
; FloatMode: 240
; IeeeMode: 1
; LDSByteSize: 8192 bytes/workgroup (compile time only)
; SGPRBlocks: 6
; VGPRBlocks: 8
; NumSGPRsForWavesPerEU: 52
; NumVGPRsForWavesPerEU: 66
; AccumOffset: 68
; Occupancy: 7
; WaveLimiterHint : 1
; COMPUTE_PGM_RSRC2:SCRATCH_EN: 0
; COMPUTE_PGM_RSRC2:USER_SGPR: 6
; COMPUTE_PGM_RSRC2:TRAP_HANDLER: 0
; COMPUTE_PGM_RSRC2:TGID_X_EN: 1
; COMPUTE_PGM_RSRC2:TGID_Y_EN: 1
; COMPUTE_PGM_RSRC2:TGID_Z_EN: 1
; COMPUTE_PGM_RSRC2:TIDIG_COMP_CNT: 0
; COMPUTE_PGM_RSRC3_GFX90A:ACCUM_OFFSET: 16
; COMPUTE_PGM_RSRC3_GFX90A:TG_SPLIT: 0
	.section	.text._Z39paged_attention_ll4mi_QKV_mfma16_kernelI14__hip_bfloat16S0_LN4vllm18Fp8KVCacheDataTypeE0ES0_Li32ELi64ELi256ELb0ELi16EL8MFMAType0EEvPKT_PKT0_S9_ifPKiSB_SB_iPKfiiiPfSE_PS4_PT2_iSD_SD_,"axG",@progbits,_Z39paged_attention_ll4mi_QKV_mfma16_kernelI14__hip_bfloat16S0_LN4vllm18Fp8KVCacheDataTypeE0ES0_Li32ELi64ELi256ELb0ELi16EL8MFMAType0EEvPKT_PKT0_S9_ifPKiSB_SB_iPKfiiiPfSE_PS4_PT2_iSD_SD_,comdat
	.protected	_Z39paged_attention_ll4mi_QKV_mfma16_kernelI14__hip_bfloat16S0_LN4vllm18Fp8KVCacheDataTypeE0ES0_Li32ELi64ELi256ELb0ELi16EL8MFMAType0EEvPKT_PKT0_S9_ifPKiSB_SB_iPKfiiiPfSE_PS4_PT2_iSD_SD_ ; -- Begin function _Z39paged_attention_ll4mi_QKV_mfma16_kernelI14__hip_bfloat16S0_LN4vllm18Fp8KVCacheDataTypeE0ES0_Li32ELi64ELi256ELb0ELi16EL8MFMAType0EEvPKT_PKT0_S9_ifPKiSB_SB_iPKfiiiPfSE_PS4_PT2_iSD_SD_
	.globl	_Z39paged_attention_ll4mi_QKV_mfma16_kernelI14__hip_bfloat16S0_LN4vllm18Fp8KVCacheDataTypeE0ES0_Li32ELi64ELi256ELb0ELi16EL8MFMAType0EEvPKT_PKT0_S9_ifPKiSB_SB_iPKfiiiPfSE_PS4_PT2_iSD_SD_
	.p2align	8
	.type	_Z39paged_attention_ll4mi_QKV_mfma16_kernelI14__hip_bfloat16S0_LN4vllm18Fp8KVCacheDataTypeE0ES0_Li32ELi64ELi256ELb0ELi16EL8MFMAType0EEvPKT_PKT0_S9_ifPKiSB_SB_iPKfiiiPfSE_PS4_PT2_iSD_SD_,@function
_Z39paged_attention_ll4mi_QKV_mfma16_kernelI14__hip_bfloat16S0_LN4vllm18Fp8KVCacheDataTypeE0ES0_Li32ELi64ELi256ELb0ELi16EL8MFMAType0EEvPKT_PKT0_S9_ifPKiSB_SB_iPKfiiiPfSE_PS4_PT2_iSD_SD_: ; @_Z39paged_attention_ll4mi_QKV_mfma16_kernelI14__hip_bfloat16S0_LN4vllm18Fp8KVCacheDataTypeE0ES0_Li32ELi64ELi256ELb0ELi16EL8MFMAType0EEvPKT_PKT0_S9_ifPKiSB_SB_iPKfiiiPfSE_PS4_PT2_iSD_SD_
; %bb.0:
	s_load_dwordx2 s[0:1], s[4:5], 0x30
	s_mov_b32 s28, s7
	s_mov_b64 s[10:11], 0
	s_waitcnt lgkmcnt(0)
	s_cmp_lg_u64 s[0:1], 0
	s_cselect_b64 s[2:3], -1, 0
	s_and_b64 vcc, exec, s[2:3]
	s_cbranch_vccz .LBB283_7
; %bb.1:
	s_add_i32 s12, s6, 1
	s_mov_b32 s13, 0
	s_lshl_b64 s[14:15], s[12:13], 2
	s_add_u32 s14, s0, s14
	s_mov_b32 s7, s13
	s_addc_u32 s15, s1, s15
	s_lshl_b64 s[12:13], s[6:7], 2
	s_add_u32 s12, s0, s12
	s_addc_u32 s13, s1, s13
	s_load_dword s9, s[14:15], 0x0
	s_load_dword s16, s[12:13], 0x0
	s_waitcnt lgkmcnt(0)
	s_sub_i32 s9, s9, s16
	s_cmp_eq_u32 s9, 1
	s_cselect_b64 s[12:13], -1, 0
	s_andn2_b64 vcc, exec, s[10:11]
	s_cbranch_vccnz .LBB283_3
.LBB283_2:
	s_mov_b32 s7, 0
	s_mov_b64 s[12:13], -1
.LBB283_3:
	s_andn2_b64 vcc, exec, s[12:13]
	s_cbranch_vccnz .LBB283_19
; %bb.4:
	s_load_dwordx2 s[12:13], s[4:5], 0x28
	s_lshl_b64 s[10:11], s[6:7], 2
	s_waitcnt lgkmcnt(0)
	s_add_u32 s12, s12, s10
	s_addc_u32 s13, s13, s11
	s_load_dword s33, s[12:13], 0x0
	s_lshl_b32 s16, s28, 8
	s_waitcnt lgkmcnt(0)
	s_cmp_ge_i32 s16, s33
	s_cbranch_scc1 .LBB283_19
; %bb.5:
	s_add_i32 s14, s33, 31
	s_load_dwordx2 s[12:13], s[4:5], 0x20
	s_load_dword s9, s[4:5], 0x38
	s_ashr_i32 s15, s14, 31
	v_and_b32_e32 v1, 0xcf, v0
	s_lshr_b32 s15, s15, 27
	v_add_u32_e32 v1, s16, v1
	s_add_i32 s14, s14, s15
	v_ashrrev_i32_e32 v2, 31, v1
	s_ashr_i32 s19, s14, 5
	v_lshrrev_b32_e32 v6, 27, v2
	s_add_i32 s19, s19, -1
	v_add_u32_e32 v2, v1, v6
	s_waitcnt lgkmcnt(0)
	s_mul_i32 s14, s6, s9
	s_mov_b32 s15, 0
	v_ashrrev_i32_e32 v2, 5, v2
	v_mov_b32_e32 v7, s19
	v_cmp_gt_i32_e32 vcc, s33, v1
	s_lshl_b64 s[14:15], s[14:15], 2
	v_cndmask_b32_e32 v2, v7, v2, vcc
	s_add_u32 s17, s12, s14
	v_ashrrev_i32_e32 v3, 31, v2
	s_addc_u32 s18, s13, s15
	v_lshlrev_b64 v[2:3], 2, v[2:3]
	v_mov_b32_e32 v4, s18
	v_add_co_u32_e32 v2, vcc, s17, v2
	v_addc_co_u32_e32 v3, vcc, v4, v3, vcc
	v_or_b32_e32 v4, 16, v1
	v_add_u32_e32 v5, v4, v6
	v_ashrrev_i32_e32 v5, 5, v5
	v_cmp_gt_i32_e32 vcc, s33, v4
	v_cndmask_b32_e32 v4, v7, v5, vcc
	v_ashrrev_i32_e32 v5, 31, v4
	v_lshlrev_b64 v[4:5], 2, v[4:5]
	v_mov_b32_e32 v9, s18
	v_add_co_u32_e32 v8, vcc, s17, v4
	v_or_b32_e32 v4, 32, v1
	v_addc_co_u32_e32 v9, vcc, v9, v5, vcc
	v_add_u32_e32 v5, v4, v6
	v_ashrrev_i32_e32 v5, 5, v5
	v_cmp_gt_i32_e32 vcc, s33, v4
	v_cndmask_b32_e32 v4, v7, v5, vcc
	v_ashrrev_i32_e32 v5, 31, v4
	v_lshlrev_b64 v[4:5], 2, v[4:5]
	v_mov_b32_e32 v11, s18
	v_add_co_u32_e32 v10, vcc, s17, v4
	v_or_b32_e32 v1, 48, v1
	v_addc_co_u32_e32 v11, vcc, v11, v5, vcc
	v_add_u32_e32 v4, v1, v6
	v_ashrrev_i32_e32 v4, 5, v4
	v_cmp_gt_i32_e32 vcc, s33, v1
	v_cndmask_b32_e32 v4, v7, v4, vcc
	v_ashrrev_i32_e32 v5, 31, v4
	v_lshlrev_b64 v[4:5], 2, v[4:5]
	v_mov_b32_e32 v1, s18
	v_add_co_u32_e32 v12, vcc, s17, v4
	v_addc_co_u32_e32 v13, vcc, v1, v5, vcc
	global_load_dword v4, v[2:3], off
	global_load_dword v6, v[8:9], off
	;; [unrolled: 1-line block ×4, first 2 shown]
	s_andn2_b64 vcc, exec, s[2:3]
	s_cbranch_vccnz .LBB283_8
; %bb.6:
	s_add_u32 s0, s0, s10
	s_addc_u32 s1, s1, s11
	s_load_dword s9, s[0:1], 0x0
	s_branch .LBB283_9
.LBB283_7:
	s_mov_b64 s[12:13], 0
	s_branch .LBB283_2
.LBB283_8:
	s_mov_b32 s9, s6
.LBB283_9:
	s_load_dwordx4 s[12:15], s[4:5], 0x8
	s_load_dwordx4 s[44:47], s[4:5], 0x48
	v_and_b32_e32 v52, 15, v0
	s_movk_i32 s0, 0xff
	v_cmp_lt_u32_e32 vcc, s0, v0
	v_cmp_lt_u32_e64 s[2:3], 7, v52
	v_lshlrev_b32_e32 v2, 3, v52
	v_cmp_gt_u32_e64 s[0:1], 8, v52
	s_or_b64 s[2:3], vcc, s[2:3]
	s_and_saveexec_b64 s[10:11], s[2:3]
	s_xor_b64 s[2:3], exec, s[10:11]
; %bb.10:
	v_mov_b32_e32 v3, 0
; %bb.11:
	s_or_saveexec_b64 s[2:3], s[2:3]
	v_lshrrev_b32_e32 v54, 6, v0
	v_and_b32_e32 v55, 63, v0
	s_lshl_b32 s29, s8, 4
	v_bfe_u32 v1, v0, 4, 2
	s_xor_b64 exec, exec, s[2:3]
	s_cbranch_execz .LBB283_13
; %bb.12:
	s_load_dwordx2 s[10:11], s[4:5], 0x0
	s_waitcnt lgkmcnt(0)
	s_ashr_i32 s20, s44, 31
	s_mul_hi_u32 s21, s9, s44
	s_mul_i32 s20, s9, s20
	v_lshl_or_b32 v5, v54, 2, v1
	s_add_i32 s21, s21, s20
	s_mul_i32 s20, s9, s44
	s_lshl_b64 s[20:21], s[20:21], 1
	v_add_lshl_u32 v8, v5, s29, 6
	s_add_u32 s9, s10, s20
	v_ashrrev_i32_e32 v9, 31, v8
	s_addc_u32 s10, s11, s21
	v_lshlrev_b64 v[8:9], 1, v[8:9]
	v_mov_b32_e32 v3, s10
	v_add_co_u32_e32 v7, vcc, s9, v8
	v_addc_co_u32_e32 v3, vcc, v3, v9, vcc
	v_lshlrev_b32_e32 v8, 1, v2
	v_add_co_u32_e32 v8, vcc, v7, v8
	v_addc_co_u32_e32 v9, vcc, 0, v3, vcc
	global_load_dwordx4 v[8:11], v[8:9], off
	v_and_b32_e32 v7, 3, v0
	v_lshlrev_b32_e32 v12, 9, v52
	v_lshlrev_b32_e32 v5, 5, v5
	;; [unrolled: 1-line block ×3, first 2 shown]
	v_and_b32_e32 v12, 0x1800, v12
	v_mov_b32_e32 v3, 0
	v_or3_b32 v5, v12, v7, v5
	s_waitcnt vmcnt(0)
	ds_write_b128 v5, v[8:11]
.LBB283_13:
	s_or_b64 exec, exec, s[2:3]
	s_waitcnt lgkmcnt(0)
	s_mul_i32 s8, s8, s46
	s_mov_b32 s9, 0
	s_lshl_b64 s[8:9], s[8:9], 1
	s_add_u32 s3, s12, s8
	s_waitcnt vmcnt(3)
	v_mad_i64_i32 v[4:5], s[10:11], v4, s45, 0
	s_addc_u32 s12, s13, s9
	v_lshlrev_b64 v[4:5], 1, v[4:5]
	v_mov_b32_e32 v7, s12
	v_add_co_u32_e32 v4, vcc, s3, v4
	v_addc_co_u32_e32 v5, vcc, v7, v5, vcc
	v_lshlrev_b64 v[34:35], 1, v[2:3]
	v_add_co_u32_e32 v2, vcc, v4, v34
	v_lshlrev_b32_e32 v28, 9, v1
	v_addc_co_u32_e32 v3, vcc, v5, v35, vcc
	v_add_co_u32_e32 v20, vcc, v2, v28
	v_addc_co_u32_e32 v21, vcc, 0, v3, vcc
	s_load_dword s42, s[4:5], 0x98
	s_load_dword s2, s[4:5], 0x1c
	s_waitcnt lgkmcnt(0)
	s_barrier
	global_load_dwordx4 v[2:5], v[20:21], off
	s_waitcnt vmcnt(3)
	v_mad_i64_i32 v[6:7], s[10:11], v6, s45, 0
	v_lshlrev_b64 v[6:7], 1, v[6:7]
	v_mov_b32_e32 v8, s12
	v_add_co_u32_e32 v6, vcc, s3, v6
	v_addc_co_u32_e32 v7, vcc, v8, v7, vcc
	v_mov_b32_e32 v8, 0x100
	v_lshl_or_b32 v29, v52, 4, v8
	v_add_co_u32_e32 v6, vcc, v6, v29
	v_addc_co_u32_e32 v7, vcc, 0, v7, vcc
	v_add_co_u32_e32 v22, vcc, v6, v28
	v_addc_co_u32_e32 v23, vcc, 0, v7, vcc
	global_load_dwordx4 v[10:13], v[22:23], off
	global_load_dwordx4 v[14:17], v[20:21], off offset:2048
	global_load_dwordx4 v[6:9], v[22:23], off offset:2048
	s_waitcnt vmcnt(5)
	v_mad_i64_i32 v[20:21], s[10:11], v19, s45, 0
	v_lshlrev_b64 v[30:31], 1, v[20:21]
	v_mov_b32_e32 v32, s12
	v_add_co_u32_e32 v30, vcc, s3, v30
	v_addc_co_u32_e32 v31, vcc, v32, v31, vcc
	v_add_co_u32_e32 v36, vcc, v30, v34
	s_waitcnt vmcnt(4)
	v_mad_i64_i32 v[18:19], s[10:11], v18, s45, 0
	v_lshl_or_b32 v53, v52, 5, v28
	v_addc_co_u32_e32 v37, vcc, v31, v35, vcc
	v_lshlrev_b64 v[26:27], 1, v[18:19]
	ds_read_b128 v[22:25], v53
	ds_read_b128 v[18:21], v53 offset:2048
	v_add_co_u32_e32 v44, vcc, v36, v28
	v_addc_co_u32_e32 v45, vcc, 0, v37, vcc
	global_load_dwordx4 v[36:39], v[44:45], off
	v_mov_b32_e32 v40, s12
	v_and_or_b32 v48, v0, 48, s16
	s_ashr_i32 s10, s16, 31
	v_or_b32_e32 v46, 64, v48
	s_lshr_b32 s10, s10, 27
	v_mov_b32_e32 v49, s19
	v_mov_b32_e32 v50, s18
	s_mov_b32 s43, 0xff7fffff
	s_waitcnt vmcnt(4) lgkmcnt(1)
	v_mfma_f32_16x16x16bf16_1k v[30:33], v[2:3], v[22:23], 0
	v_add_co_u32_e32 v2, vcc, s3, v26
	v_addc_co_u32_e32 v3, vcc, v40, v27, vcc
	v_add_u32_e32 v26, s10, v48
	v_ashrrev_i32_e32 v47, 5, v26
	s_add_u32 s3, s14, s8
	s_waitcnt vmcnt(3)
	v_mfma_f32_16x16x16bf16_1k v[40:43], v[10:11], v[22:23], 0
	v_add_co_u32_e32 v11, vcc, v2, v29
	v_addc_co_u32_e32 v27, vcc, 0, v3, vcc
	v_add_u32_e32 v10, s10, v46
	v_ashrrev_i32_e32 v51, 5, v10
	v_add_co_u32_e32 v10, vcc, v11, v28
	v_mfma_f32_16x16x16bf16_1k v[2:5], v[4:5], v[24:25], v[30:33]
	v_addc_co_u32_e32 v11, vcc, 0, v27, vcc
	global_load_dwordx4 v[26:29], v[44:45], off offset:2048
	v_cmp_gt_i32_e32 vcc, s33, v48
	v_cndmask_b32_e32 v44, v49, v47, vcc
	v_ashrrev_i32_e32 v45, 31, v44
	v_cmp_gt_i32_e32 vcc, s33, v46
	s_waitcnt vmcnt(3) lgkmcnt(0)
	v_mfma_f32_16x16x16bf16_1k v[2:5], v[14:15], v[18:19], v[2:5]
	global_load_dwordx4 v[30:33], v[10:11], off
	global_load_dwordx4 v[56:59], v[10:11], off offset:2048
	v_lshlrev_b64 v[10:11], 2, v[44:45]
	v_cndmask_b32_e32 v14, v49, v51, vcc
	v_ashrrev_i32_e32 v15, 31, v14
	v_lshlrev_b64 v[14:15], 2, v[14:15]
	s_addc_u32 s8, s15, s9
	v_mfma_f32_16x16x16bf16_1k v[44:47], v[16:17], v[20:21], v[2:5]
	s_nop 6
	v_add_co_u32_e32 v2, vcc, s17, v10
	v_addc_co_u32_e32 v3, vcc, v50, v11, vcc
	global_load_dword v16, v[2:3], off
	v_mov_b32_e32 v11, s18
	v_add_co_u32_e32 v10, vcc, s17, v14
	v_addc_co_u32_e32 v11, vcc, v11, v15, vcc
	global_load_dword v50, v[10:11], off
	v_mfma_f32_16x16x16bf16_1k v[2:5], v[12:13], v[24:25], v[40:43]
	v_or_b32_e32 v10, 0x80, v48
	v_add_u32_e32 v11, s10, v10
	v_ashrrev_i32_e32 v11, 5, v11
	v_cmp_gt_i32_e32 vcc, s33, v10
	v_cndmask_b32_e32 v10, v49, v11, vcc
	v_ashrrev_i32_e32 v11, 31, v10
	s_waitcnt vmcnt(6)
	v_mfma_f32_16x16x16bf16_1k v[2:5], v[6:7], v[18:19], v[2:5]
	v_lshlrev_b64 v[6:7], 2, v[10:11]
	v_mov_b32_e32 v10, s18
	v_add_co_u32_e32 v6, vcc, s17, v6
	v_addc_co_u32_e32 v7, vcc, v10, v7, vcc
	global_load_dword v51, v[6:7], off
	v_mfma_f32_16x16x16bf16_1k v[40:43], v[8:9], v[20:21], v[2:5]
	v_or_b32_e32 v6, 0xc0, v48
	v_add_u32_e32 v7, s10, v6
	v_ashrrev_i32_e32 v7, 5, v7
	v_cmp_gt_i32_e32 vcc, s33, v6
	v_cndmask_b32_e32 v6, v49, v7, vcc
	v_ashrrev_i32_e32 v7, 31, v6
	v_lshlrev_b64 v[6:7], 2, v[6:7]
	s_waitcnt vmcnt(6)
	v_mfma_f32_16x16x16bf16_1k v[2:5], v[36:37], v[22:23], 0
	v_mov_b32_e32 v8, s18
	v_add_co_u32_e32 v6, vcc, s17, v6
	v_addc_co_u32_e32 v7, vcc, v8, v7, vcc
	global_load_dword v60, v[6:7], off
	v_and_b32_e32 v6, 16, v0
	v_mfma_f32_16x16x16bf16_1k v[2:5], v[38:39], v[24:25], v[2:5]
	v_lshlrev_b32_e32 v6, 1, v6
	v_mov_b32_e32 v7, s8
	v_add_co_u32_e32 v6, vcc, s3, v6
	v_lshlrev_b32_e32 v8, 6, v52
	v_addc_co_u32_e32 v7, vcc, 0, v7, vcc
	s_waitcnt vmcnt(6)
	v_mfma_f32_16x16x16bf16_1k v[2:5], v[26:27], v[18:19], v[2:5]
	v_lshl_or_b32 v8, v54, 10, v8
	v_add_co_u32_e32 v61, vcc, v6, v8
	v_addc_co_u32_e32 v62, vcc, 0, v7, vcc
	v_pk_mul_f32 v[48:49], s[2:3], v[46:47] op_sel_hi:[0,1]
	v_pk_mul_f32 v[40:41], s[2:3], v[40:41] op_sel_hi:[0,1]
	v_mfma_f32_16x16x16bf16_1k v[26:29], v[28:29], v[20:21], v[2:5]
	s_waitcnt vmcnt(3)
	s_nop 5
	v_mad_i64_i32 v[2:3], s[8:9], v16, s45, 0
	v_lshlrev_b64 v[6:7], 1, v[2:3]
	v_mfma_f32_16x16x16bf16_1k v[2:5], v[30:31], v[22:23], 0
	v_add_co_u32_e32 v6, vcc, v61, v6
	v_addc_co_u32_e32 v7, vcc, v62, v7, vcc
	global_load_dwordx4 v[14:17], v[6:7], off
	global_load_dwordx4 v[10:13], v[6:7], off offset:16
	s_waitcnt vmcnt(4)
	v_mad_i64_i32 v[6:7], s[8:9], v50, s45, 0
	v_mfma_f32_16x16x16bf16_1k v[22:25], v[32:33], v[24:25], v[2:5]
	v_pk_mul_f32 v[46:47], s[2:3], v[28:29] op_sel_hi:[0,1]
	v_lshlrev_b64 v[6:7], 1, v[6:7]
	s_waitcnt vmcnt(3)
	v_mad_i64_i32 v[30:31], s[8:9], v51, s45, 0
	v_mfma_f32_16x16x16bf16_1k v[22:25], v[56:57], v[18:19], v[22:25]
	v_pk_mul_f32 v[18:19], s[2:3], v[44:45] op_sel_hi:[0,1]
	v_pk_mul_f32 v[50:51], s[2:3], v[42:43] op_sel_hi:[0,1]
	;; [unrolled: 1-line block ×3, first 2 shown]
	v_add_co_u32_e32 v2, vcc, v61, v6
	v_addc_co_u32_e32 v3, vcc, v62, v7, vcc
	v_mfma_f32_16x16x16bf16_1k v[20:23], v[58:59], v[20:21], v[22:25]
	v_lshlrev_b64 v[30:31], 1, v[30:31]
	v_add_co_u32_e32 v38, vcc, v61, v30
	v_addc_co_u32_e32 v39, vcc, v62, v31, vcc
	global_load_dwordx4 v[6:9], v[2:3], off
	s_nop 0
	global_load_dwordx4 v[2:5], v[2:3], off offset:16
	s_nop 4
	v_pk_mul_f32 v[44:45], s[2:3], v[20:21] op_sel_hi:[0,1]
	v_and_b32_e32 v20, 0xc0, v0
	v_add_u32_e32 v20, s16, v20
	v_lshl_or_b32 v20, v1, 2, v20
	v_pk_mul_f32 v[36:37], s[2:3], v[22:23] op_sel_hi:[0,1]
	v_or_b32_e32 v23, 1, v20
	v_mov_b32_e32 v21, 0xff7fffff
	v_cmp_gt_i32_e64 s[30:31], s33, v20
	v_cmp_gt_i32_e64 s[34:35], s33, v23
	v_cndmask_b32_e64 v22, v21, v18, s[30:31]
	v_cndmask_b32_e64 v23, v21, v19, s[34:35]
	v_max3_f32 v22, v22, s43, v23
	v_or_b32_e32 v23, 2, v20
	v_or_b32_e32 v24, 3, v20
	v_cmp_gt_i32_e64 s[36:37], s33, v23
	v_cmp_gt_i32_e64 s[38:39], s33, v24
	v_cndmask_b32_e64 v23, v21, v48, s[36:37]
	v_cndmask_b32_e64 v24, v21, v49, s[38:39]
	v_max3_f32 v22, v22, v23, v24
	v_or_b32_e32 v23, 16, v20
	v_or_b32_e32 v24, 17, v20
	;; [unrolled: 7-line block ×7, first 2 shown]
	v_cmp_gt_i32_e32 vcc, s33, v23
	v_cmp_gt_i32_e64 s[2:3], s33, v20
	v_cndmask_b32_e32 v23, v21, v36, vcc
	v_cndmask_b32_e64 v20, v21, v37, s[2:3]
	v_max3_f32 v26, v22, v23, v20
	v_mbcnt_lo_u32_b32 v20, -1, 0
	v_mbcnt_hi_u32_b32 v27, -1, v20
	v_and_b32_e32 v20, 64, v27
	v_add_u32_e32 v28, 64, v20
	v_xor_b32_e32 v20, 32, v27
	v_cmp_lt_i32_e64 s[40:41], v20, v28
	v_cndmask_b32_e64 v20, v27, v20, s[40:41]
	v_lshlrev_b32_e32 v57, 2, v20
	ds_bpermute_b32 v29, v57, v26
	s_waitcnt vmcnt(4)
	v_mad_i64_i32 v[20:21], s[40:41], v60, s45, 0
	v_lshlrev_b64 v[20:21], 1, v[20:21]
	global_load_dwordx4 v[30:33], v[38:39], off
	global_load_dwordx4 v[22:25], v[38:39], off offset:16
	s_waitcnt lgkmcnt(0)
	v_max_f32_e32 v29, v29, v29
	v_max_f32_e32 v26, v26, v29
	v_xor_b32_e32 v29, 16, v27
	v_cmp_lt_i32_e64 s[40:41], v29, v28
	v_cndmask_b32_e64 v27, v27, v29, s[40:41]
	v_lshlrev_b32_e32 v59, 2, v27
	ds_bpermute_b32 v27, v59, v26
	v_add_co_u32_e64 v20, s[40:41], v61, v20
	v_addc_co_u32_e64 v21, s[40:41], v62, v21, s[40:41]
	s_waitcnt lgkmcnt(0)
	v_max_f32_e32 v27, v27, v27
	v_max_f32_e32 v56, v26, v27
	v_sub_f32_e32 v18, v18, v56
	v_mul_f32_e32 v18, 0x3fb8aa3b, v18
	v_exp_f32_e32 v38, v18
	v_sub_f32_e32 v18, v19, v56
	v_mul_f32_e32 v18, 0x3fb8aa3b, v18
	v_exp_f32_e32 v39, v18
	global_load_dwordx4 v[26:29], v[20:21], off
	s_nop 0
	global_load_dwordx4 v[18:21], v[20:21], off offset:16
	v_sub_f32_e32 v48, v48, v56
	v_mul_f32_e32 v48, 0x3fb8aa3b, v48
	v_sub_f32_e32 v49, v49, v56
	v_exp_f32_e32 v48, v48
	v_mul_f32_e32 v49, 0x3fb8aa3b, v49
	v_sub_f32_e32 v40, v40, v56
	v_exp_f32_e32 v49, v49
	v_mul_f32_e32 v40, 0x3fb8aa3b, v40
	v_sub_f32_e32 v41, v41, v56
	v_cndmask_b32_e64 v38, 0, v38, s[30:31]
	v_exp_f32_e32 v40, v40
	v_mul_f32_e32 v41, 0x3fb8aa3b, v41
	v_sub_f32_e32 v50, v50, v56
	v_add_f32_e32 v58, 0, v38
	v_cndmask_b32_e64 v39, 0, v39, s[34:35]
	v_exp_f32_e32 v41, v41
	v_mul_f32_e32 v50, 0x3fb8aa3b, v50
	v_sub_f32_e32 v51, v51, v56
	v_add_f32_e32 v58, v58, v39
	;; [unrolled: 5-line block ×10, first 2 shown]
	v_cndmask_b32_e64 v46, 0, v46, s[12:13]
	v_exp_f32_e32 v36, v36
	v_mul_f32_e32 v37, 0x3fb8aa3b, v37
	v_add_f32_e32 v58, v58, v46
	v_cndmask_b32_e64 v47, 0, v47, s[14:15]
	v_exp_f32_e32 v37, v37
	v_add_f32_e32 v58, v58, v47
	v_cndmask_b32_e64 v44, 0, v44, s[8:9]
	v_add_f32_e32 v58, v58, v44
	v_cndmask_b32_e64 v45, 0, v45, s[10:11]
	v_add_f32_e32 v58, v58, v45
	v_cndmask_b32_e32 v36, 0, v36, vcc
	v_add_f32_e32 v58, v58, v36
	v_cndmask_b32_e64 v37, 0, v37, s[2:3]
	v_add_f32_e32 v58, v58, v37
	ds_bpermute_b32 v57, v57, v58
	v_cmp_gt_u32_e32 vcc, 16, v55
	s_waitcnt lgkmcnt(0)
	s_barrier
	v_add_f32_e32 v58, v58, v57
	ds_bpermute_b32 v59, v59, v58
	v_lshlrev_b32_e32 v57, 2, v52
	s_and_saveexec_b64 s[2:3], vcc
	s_cbranch_execz .LBB283_15
; %bb.14:
	s_waitcnt lgkmcnt(0)
	v_add_f32_e32 v55, v58, v59
	v_lshl_or_b32 v58, v54, 6, v57
	ds_write2st64_b32 v58, v56, v55 offset1:1
.LBB283_15:
	s_or_b64 exec, exec, s[2:3]
	s_load_dword s8, s[4:5], 0x94
	s_waitcnt lgkmcnt(0)
	s_barrier
	ds_read2_b32 v[58:59], v57 offset1:16
	ds_read2_b32 v[60:61], v57 offset0:32 offset1:48
	ds_read2_b32 v[62:63], v57 offset0:64 offset1:80
	s_movk_i32 s10, 0x7fff
	s_mov_b32 s11, 0x7060302
	s_waitcnt lgkmcnt(2)
	v_max3_f32 v55, v58, s43, v59
	s_waitcnt lgkmcnt(1)
	v_max3_f32 v55, v55, v60, v61
	v_sub_f32_e32 v56, v58, v55
	v_mul_f32_e32 v56, 0x3fb8aa3b, v56
	v_exp_f32_e32 v64, v56
	v_sub_f32_e32 v56, v59, v55
	v_mul_f32_e32 v56, 0x3fb8aa3b, v56
	v_exp_f32_e32 v65, v56
	v_sub_f32_e32 v56, v60, v55
	v_mul_f32_e32 v56, 0x3fb8aa3b, v56
	v_exp_f32_e32 v60, v56
	ds_read2_b32 v[58:59], v57 offset0:96 offset1:112
	v_sub_f32_e32 v56, v61, v55
	v_mul_f32_e32 v56, 0x3fb8aa3b, v56
	v_exp_f32_e32 v57, v56
	s_waitcnt lgkmcnt(1)
	v_fma_f32 v56, v64, v62, 0
	v_fmac_f32_e32 v56, v65, v63
	s_waitcnt lgkmcnt(0)
	v_fmac_f32_e32 v56, v60, v58
	v_fmac_f32_e32 v56, v57, v59
	v_add_f32_e32 v58, 0x358637bd, v56
	v_div_scale_f32 v59, s[2:3], v58, v58, 1.0
	v_rcp_f32_e32 v61, v59
	s_barrier
	v_fma_f32 v62, -v59, v61, 1.0
	v_fmac_f32_e32 v61, v62, v61
	v_div_scale_f32 v62, vcc, 1.0, v58, 1.0
	v_mul_f32_e32 v63, v62, v61
	v_fma_f32 v66, -v59, v63, v62
	v_fmac_f32_e32 v63, v66, v61
	v_fma_f32 v59, -v59, v63, v62
	v_div_fmas_f32 v59, v59, v61, v63
	v_cmp_eq_u32_e32 vcc, 1, v54
	v_div_fixup_f32 v58, v59, v58, 1.0
	v_cndmask_b32_e32 v59, v64, v65, vcc
	v_cmp_eq_u32_e32 vcc, 2, v54
	v_cndmask_b32_e32 v59, v59, v60, vcc
	v_cmp_eq_u32_e32 vcc, 3, v54
	v_cndmask_b32_e32 v57, v59, v57, vcc
	v_mul_f32_e32 v58, v57, v58
	v_pk_mul_f32 v[38:39], v[58:59], v[38:39] op_sel_hi:[0,1]
	v_pk_mul_f32 v[48:49], v[58:59], v[48:49] op_sel_hi:[0,1]
	v_bfe_u32 v57, v39, 16, 1
	v_bfe_u32 v59, v38, 16, 1
	v_add3_u32 v38, v38, v59, s10
	v_add3_u32 v39, v39, v57, s10
	v_perm_b32 v60, v39, v38, s11
	v_bfe_u32 v38, v49, 16, 1
	v_bfe_u32 v39, v48, 16, 1
	v_add3_u32 v39, v48, v39, s10
	v_add3_u32 v38, v49, v38, s10
	v_perm_b32 v61, v38, v39, s11
	v_lshlrev_b32_e32 v38, 3, v1
	v_lshlrev_b32_e32 v39, 5, v52
	;; [unrolled: 1-line block ×3, first 2 shown]
	v_pk_mul_f32 v[40:41], v[58:59], v[40:41] op_sel_hi:[0,1]
	v_or3_b32 v38, v48, v39, v38
	v_pk_mul_f32 v[48:49], v[58:59], v[50:51] op_sel_hi:[0,1]
	v_bfe_u32 v39, v41, 16, 1
	v_bfe_u32 v50, v40, 16, 1
	v_add3_u32 v40, v40, v50, s10
	v_add3_u32 v39, v41, v39, s10
	v_perm_b32 v40, v39, v40, s11
	v_bfe_u32 v39, v49, 16, 1
	v_bfe_u32 v41, v48, 16, 1
	v_add3_u32 v41, v48, v41, s10
	v_add3_u32 v39, v49, v39, s10
	v_perm_b32 v41, v39, v41, s11
	v_pk_mul_f32 v[42:43], v[58:59], v[42:43] op_sel_hi:[0,1]
	ds_write2st64_b64 v38, v[60:61], v[40:41] offset1:1
	v_pk_mul_f32 v[40:41], v[58:59], v[46:47] op_sel_hi:[0,1]
	v_bfe_u32 v39, v43, 16, 1
	v_bfe_u32 v46, v42, 16, 1
	v_add3_u32 v42, v42, v46, s10
	v_add3_u32 v39, v43, v39, s10
	v_perm_b32 v42, v39, v42, s11
	v_bfe_u32 v39, v41, 16, 1
	v_bfe_u32 v43, v40, 16, 1
	v_add3_u32 v40, v40, v43, s10
	v_add3_u32 v39, v41, v39, s10
	v_perm_b32 v43, v39, v40, s11
	v_pk_mul_f32 v[40:41], v[58:59], v[44:45] op_sel_hi:[0,1]
	v_bfe_u32 v39, v41, 16, 1
	v_bfe_u32 v44, v40, 16, 1
	v_pk_mul_f32 v[36:37], v[58:59], v[36:37] op_sel_hi:[0,1]
	v_add3_u32 v40, v40, v44, s10
	v_add3_u32 v39, v41, v39, s10
	v_perm_b32 v40, v39, v40, s11
	v_bfe_u32 v39, v37, 16, 1
	v_bfe_u32 v41, v36, 16, 1
	v_add3_u32 v36, v36, v41, s10
	v_add3_u32 v37, v37, v39, s10
	s_lshl_b32 s9, s42, 4
	v_perm_b32 v41, v37, v36, s11
	v_cmp_gt_u32_e32 vcc, 16, v0
	ds_write2st64_b64 v38, v[42:43], v[40:41] offset0:2 offset1:3
	s_and_saveexec_b64 s[2:3], vcc
	s_cbranch_execz .LBB283_17
; %bb.16:
	v_or_b32_e32 v36, s29, v0
	v_mov_b32_e32 v37, 0
	v_mov_b32_e32 v39, s9
	v_mad_u64_u32 v[40:41], s[16:17], s6, v39, v[36:37]
	v_mov_b32_e32 v36, s28
	s_load_dwordx4 s[12:15], s[4:5], 0x58
	s_mul_i32 s7, s7, s9
	v_mad_u64_u32 v[36:37], s[16:17], v40, s8, v[36:37]
	v_add_u32_e32 v39, s7, v41
	v_mov_b32_e32 v40, v37
	v_mad_u64_u32 v[40:41], s[16:17], v39, s8, v[40:41]
	v_mov_b32_e32 v37, v40
	v_lshlrev_b64 v[36:37], 2, v[36:37]
	s_waitcnt lgkmcnt(0)
	v_mov_b32_e32 v39, s15
	v_add_co_u32_e32 v40, vcc, s14, v36
	v_addc_co_u32_e32 v41, vcc, v39, v37, vcc
	v_mov_b32_e32 v39, s13
	v_add_co_u32_e32 v36, vcc, s12, v36
	v_addc_co_u32_e32 v37, vcc, v39, v37, vcc
	global_store_dword v[40:41], v55, off
	global_store_dword v[36:37], v56, off
.LBB283_17:
	s_or_b64 exec, exec, s[2:3]
	s_waitcnt lgkmcnt(0)
	s_barrier
	ds_read_b128 v[40:43], v53
	ds_read_b128 v[44:47], v53 offset:16
	s_waitcnt vmcnt(7) lgkmcnt(1)
	v_mfma_f32_16x16x16bf16_1k v[48:51], v[14:15], v[40:41], 0
	v_cmp_gt_u32_e32 vcc, 64, v0
	s_mov_b32 s3, 0
	s_and_b64 s[0:1], vcc, s[0:1]
	v_mfma_f32_16x16x16bf16_1k v[14:17], v[16:17], v[42:43], v[48:51]
	s_waitcnt vmcnt(6) lgkmcnt(0)
	v_mfma_f32_16x16x16bf16_1k v[14:17], v[10:11], v[44:45], v[14:17]
	v_mfma_f32_16x16x16bf16_1k v[10:13], v[12:13], v[46:47], v[14:17]
	s_nop 7
	s_nop 1
	ds_read_b128 v[14:17], v53 offset:2048
	ds_read_b128 v[40:43], v53 offset:2064
	s_waitcnt vmcnt(5) lgkmcnt(1)
	v_mfma_f32_16x16x16bf16_1k v[10:13], v[6:7], v[14:15], v[10:13]
	v_mfma_f32_16x16x16bf16_1k v[6:9], v[8:9], v[16:17], v[10:13]
	s_waitcnt vmcnt(4) lgkmcnt(0)
	v_mfma_f32_16x16x16bf16_1k v[6:9], v[2:3], v[40:41], v[6:9]
	v_mfma_f32_16x16x16bf16_1k v[2:5], v[4:5], v[42:43], v[6:9]
	s_nop 7
	s_nop 1
	ds_read_b128 v[6:9], v53 offset:4096
	ds_read_b128 v[10:13], v53 offset:4112
	s_waitcnt vmcnt(3) lgkmcnt(1)
	v_mfma_f32_16x16x16bf16_1k v[2:5], v[30:31], v[6:7], v[2:5]
	v_mfma_f32_16x16x16bf16_1k v[2:5], v[32:33], v[8:9], v[2:5]
	s_waitcnt vmcnt(2) lgkmcnt(0)
	v_mfma_f32_16x16x16bf16_1k v[2:5], v[22:23], v[10:11], v[2:5]
	v_mfma_f32_16x16x16bf16_1k v[2:5], v[24:25], v[12:13], v[2:5]
	ds_read_b128 v[6:9], v53 offset:6144
	ds_read_b128 v[10:13], v53 offset:6160
	s_waitcnt lgkmcnt(0)
	s_barrier
	s_waitcnt vmcnt(1)
	v_mfma_f32_16x16x16bf16_1k v[2:5], v[26:27], v[6:7], v[2:5]
	v_mfma_f32_16x16x16bf16_1k v[2:5], v[28:29], v[8:9], v[2:5]
	s_waitcnt vmcnt(0)
	v_mfma_f32_16x16x16bf16_1k v[2:5], v[18:19], v[10:11], v[2:5]
	v_mfma_f32_16x16x16bf16_1k v[2:5], v[20:21], v[12:13], v[2:5]
	s_nop 7
	s_nop 2
	v_bfe_u32 v6, v3, 16, 1
	v_bfe_u32 v7, v2, 16, 1
	;; [unrolled: 1-line block ×4, first 2 shown]
	v_add3_u32 v2, v2, v7, s10
	v_add3_u32 v3, v3, v6, s10
	;; [unrolled: 1-line block ×4, first 2 shown]
	v_perm_b32 v2, v3, v2, s11
	v_perm_b32 v3, v5, v4, s11
	ds_write_b64 v38, v[2:3]
	s_waitcnt lgkmcnt(0)
	s_barrier
	s_and_saveexec_b64 s[10:11], s[0:1]
	s_cbranch_execz .LBB283_19
; %bb.18:
	s_load_dwordx2 s[0:1], s[4:5], 0x68
	s_lshl_b32 s7, s8, 6
	s_mul_i32 s2, s9, s6
	s_mul_hi_u32 s5, s2, s7
	s_mul_i32 s4, s2, s7
	s_lshl_b64 s[4:5], s[4:5], 1
	s_waitcnt lgkmcnt(0)
	s_add_u32 s4, s0, s4
	s_addc_u32 s5, s1, s5
	s_lshl_b32 s2, s28, 6
	v_lshlrev_b32_e32 v2, 10, v0
	v_lshlrev_b32_e32 v0, 4, v0
	s_lshl_b64 s[0:1], s[2:3], 1
	v_and_b32_e32 v2, 0x1800, v2
	v_lshlrev_b32_e32 v3, 5, v1
	v_and_b32_e32 v0, 16, v0
	s_add_u32 s0, s4, s0
	v_or3_b32 v0, v2, v3, v0
	s_addc_u32 s1, s5, s1
	ds_read_b128 v[2:5], v0
	ds_read_b128 v[6:9], v0 offset:128
	ds_read_b128 v[10:13], v0 offset:256
	;; [unrolled: 1-line block ×3, first 2 shown]
	v_mov_b32_e32 v0, s1
	v_add_co_u32_e32 v18, vcc, s0, v34
	v_or_b32_e32 v20, s29, v1
	v_addc_co_u32_e32 v19, vcc, v0, v35, vcc
	v_mad_u64_u32 v[0:1], s[0:1], v20, s7, 0
	v_lshlrev_b64 v[0:1], 1, v[0:1]
	v_add_co_u32_e32 v0, vcc, v18, v0
	v_addc_co_u32_e32 v1, vcc, v19, v1, vcc
	s_waitcnt lgkmcnt(3)
	global_store_dwordx4 v[0:1], v[2:5], off
	v_or_b32_e32 v0, 4, v20
	v_mad_u64_u32 v[0:1], s[0:1], v0, s7, 0
	v_lshlrev_b64 v[0:1], 1, v[0:1]
	v_add_co_u32_e32 v0, vcc, v18, v0
	v_addc_co_u32_e32 v1, vcc, v19, v1, vcc
	s_waitcnt lgkmcnt(2)
	global_store_dwordx4 v[0:1], v[6:9], off
	v_or_b32_e32 v0, 8, v20
	;; [unrolled: 7-line block ×3, first 2 shown]
	v_mad_u64_u32 v[0:1], s[0:1], v0, s7, 0
	v_lshlrev_b64 v[0:1], 1, v[0:1]
	v_add_co_u32_e32 v0, vcc, v18, v0
	v_addc_co_u32_e32 v1, vcc, v19, v1, vcc
	s_waitcnt lgkmcnt(0)
	global_store_dwordx4 v[0:1], v[14:17], off
.LBB283_19:
	s_endpgm
	.section	.rodata,"a",@progbits
	.p2align	6, 0x0
	.amdhsa_kernel _Z39paged_attention_ll4mi_QKV_mfma16_kernelI14__hip_bfloat16S0_LN4vllm18Fp8KVCacheDataTypeE0ES0_Li32ELi64ELi256ELb0ELi16EL8MFMAType0EEvPKT_PKT0_S9_ifPKiSB_SB_iPKfiiiPfSE_PS4_PT2_iSD_SD_
		.amdhsa_group_segment_fixed_size 8192
		.amdhsa_private_segment_fixed_size 0
		.amdhsa_kernarg_size 400
		.amdhsa_user_sgpr_count 6
		.amdhsa_user_sgpr_private_segment_buffer 1
		.amdhsa_user_sgpr_dispatch_ptr 0
		.amdhsa_user_sgpr_queue_ptr 0
		.amdhsa_user_sgpr_kernarg_segment_ptr 1
		.amdhsa_user_sgpr_dispatch_id 0
		.amdhsa_user_sgpr_flat_scratch_init 0
		.amdhsa_user_sgpr_kernarg_preload_length 0
		.amdhsa_user_sgpr_kernarg_preload_offset 0
		.amdhsa_user_sgpr_private_segment_size 0
		.amdhsa_uses_dynamic_stack 0
		.amdhsa_system_sgpr_private_segment_wavefront_offset 0
		.amdhsa_system_sgpr_workgroup_id_x 1
		.amdhsa_system_sgpr_workgroup_id_y 1
		.amdhsa_system_sgpr_workgroup_id_z 1
		.amdhsa_system_sgpr_workgroup_info 0
		.amdhsa_system_vgpr_workitem_id 0
		.amdhsa_next_free_vgpr 67
		.amdhsa_next_free_sgpr 48
		.amdhsa_accum_offset 68
		.amdhsa_reserve_vcc 1
		.amdhsa_reserve_flat_scratch 0
		.amdhsa_float_round_mode_32 0
		.amdhsa_float_round_mode_16_64 0
		.amdhsa_float_denorm_mode_32 3
		.amdhsa_float_denorm_mode_16_64 3
		.amdhsa_dx10_clamp 1
		.amdhsa_ieee_mode 1
		.amdhsa_fp16_overflow 0
		.amdhsa_tg_split 0
		.amdhsa_exception_fp_ieee_invalid_op 0
		.amdhsa_exception_fp_denorm_src 0
		.amdhsa_exception_fp_ieee_div_zero 0
		.amdhsa_exception_fp_ieee_overflow 0
		.amdhsa_exception_fp_ieee_underflow 0
		.amdhsa_exception_fp_ieee_inexact 0
		.amdhsa_exception_int_div_zero 0
	.end_amdhsa_kernel
	.section	.text._Z39paged_attention_ll4mi_QKV_mfma16_kernelI14__hip_bfloat16S0_LN4vllm18Fp8KVCacheDataTypeE0ES0_Li32ELi64ELi256ELb0ELi16EL8MFMAType0EEvPKT_PKT0_S9_ifPKiSB_SB_iPKfiiiPfSE_PS4_PT2_iSD_SD_,"axG",@progbits,_Z39paged_attention_ll4mi_QKV_mfma16_kernelI14__hip_bfloat16S0_LN4vllm18Fp8KVCacheDataTypeE0ES0_Li32ELi64ELi256ELb0ELi16EL8MFMAType0EEvPKT_PKT0_S9_ifPKiSB_SB_iPKfiiiPfSE_PS4_PT2_iSD_SD_,comdat
.Lfunc_end283:
	.size	_Z39paged_attention_ll4mi_QKV_mfma16_kernelI14__hip_bfloat16S0_LN4vllm18Fp8KVCacheDataTypeE0ES0_Li32ELi64ELi256ELb0ELi16EL8MFMAType0EEvPKT_PKT0_S9_ifPKiSB_SB_iPKfiiiPfSE_PS4_PT2_iSD_SD_, .Lfunc_end283-_Z39paged_attention_ll4mi_QKV_mfma16_kernelI14__hip_bfloat16S0_LN4vllm18Fp8KVCacheDataTypeE0ES0_Li32ELi64ELi256ELb0ELi16EL8MFMAType0EEvPKT_PKT0_S9_ifPKiSB_SB_iPKfiiiPfSE_PS4_PT2_iSD_SD_
                                        ; -- End function
	.section	.AMDGPU.csdata,"",@progbits
; Kernel info:
; codeLenInByte = 4372
; NumSgprs: 52
; NumVgprs: 67
; NumAgprs: 0
; TotalNumVgprs: 67
; ScratchSize: 0
; MemoryBound: 0
; FloatMode: 240
; IeeeMode: 1
; LDSByteSize: 8192 bytes/workgroup (compile time only)
; SGPRBlocks: 6
; VGPRBlocks: 8
; NumSGPRsForWavesPerEU: 52
; NumVGPRsForWavesPerEU: 67
; AccumOffset: 68
; Occupancy: 7
; WaveLimiterHint : 1
; COMPUTE_PGM_RSRC2:SCRATCH_EN: 0
; COMPUTE_PGM_RSRC2:USER_SGPR: 6
; COMPUTE_PGM_RSRC2:TRAP_HANDLER: 0
; COMPUTE_PGM_RSRC2:TGID_X_EN: 1
; COMPUTE_PGM_RSRC2:TGID_Y_EN: 1
; COMPUTE_PGM_RSRC2:TGID_Z_EN: 1
; COMPUTE_PGM_RSRC2:TIDIG_COMP_CNT: 0
; COMPUTE_PGM_RSRC3_GFX90A:ACCUM_OFFSET: 16
; COMPUTE_PGM_RSRC3_GFX90A:TG_SPLIT: 0
	.section	.text._Z39paged_attention_ll4mi_QKV_mfma16_kernelI14__hip_bfloat16S0_LN4vllm18Fp8KVCacheDataTypeE0ES0_Li32ELi64ELi256ELb0ELi1EL8MFMAType0EEvPKT_PKT0_S9_ifPKiSB_SB_iPKfiiiPfSE_PS4_PT2_iSD_SD_,"axG",@progbits,_Z39paged_attention_ll4mi_QKV_mfma16_kernelI14__hip_bfloat16S0_LN4vllm18Fp8KVCacheDataTypeE0ES0_Li32ELi64ELi256ELb0ELi1EL8MFMAType0EEvPKT_PKT0_S9_ifPKiSB_SB_iPKfiiiPfSE_PS4_PT2_iSD_SD_,comdat
	.protected	_Z39paged_attention_ll4mi_QKV_mfma16_kernelI14__hip_bfloat16S0_LN4vllm18Fp8KVCacheDataTypeE0ES0_Li32ELi64ELi256ELb0ELi1EL8MFMAType0EEvPKT_PKT0_S9_ifPKiSB_SB_iPKfiiiPfSE_PS4_PT2_iSD_SD_ ; -- Begin function _Z39paged_attention_ll4mi_QKV_mfma16_kernelI14__hip_bfloat16S0_LN4vllm18Fp8KVCacheDataTypeE0ES0_Li32ELi64ELi256ELb0ELi1EL8MFMAType0EEvPKT_PKT0_S9_ifPKiSB_SB_iPKfiiiPfSE_PS4_PT2_iSD_SD_
	.globl	_Z39paged_attention_ll4mi_QKV_mfma16_kernelI14__hip_bfloat16S0_LN4vllm18Fp8KVCacheDataTypeE0ES0_Li32ELi64ELi256ELb0ELi1EL8MFMAType0EEvPKT_PKT0_S9_ifPKiSB_SB_iPKfiiiPfSE_PS4_PT2_iSD_SD_
	.p2align	8
	.type	_Z39paged_attention_ll4mi_QKV_mfma16_kernelI14__hip_bfloat16S0_LN4vllm18Fp8KVCacheDataTypeE0ES0_Li32ELi64ELi256ELb0ELi1EL8MFMAType0EEvPKT_PKT0_S9_ifPKiSB_SB_iPKfiiiPfSE_PS4_PT2_iSD_SD_,@function
_Z39paged_attention_ll4mi_QKV_mfma16_kernelI14__hip_bfloat16S0_LN4vllm18Fp8KVCacheDataTypeE0ES0_Li32ELi64ELi256ELb0ELi1EL8MFMAType0EEvPKT_PKT0_S9_ifPKiSB_SB_iPKfiiiPfSE_PS4_PT2_iSD_SD_: ; @_Z39paged_attention_ll4mi_QKV_mfma16_kernelI14__hip_bfloat16S0_LN4vllm18Fp8KVCacheDataTypeE0ES0_Li32ELi64ELi256ELb0ELi1EL8MFMAType0EEvPKT_PKT0_S9_ifPKiSB_SB_iPKfiiiPfSE_PS4_PT2_iSD_SD_
; %bb.0:
	s_load_dwordx2 s[0:1], s[4:5], 0x30
	s_mov_b32 s9, s7
	s_mov_b64 s[10:11], 0
	s_waitcnt lgkmcnt(0)
	s_cmp_lg_u64 s[0:1], 0
	s_cselect_b64 s[2:3], -1, 0
	s_and_b64 vcc, exec, s[2:3]
	s_cbranch_vccz .LBB284_7
; %bb.1:
	s_add_i32 s12, s6, 1
	s_mov_b32 s13, 0
	s_lshl_b64 s[14:15], s[12:13], 2
	s_add_u32 s14, s0, s14
	s_mov_b32 s7, s13
	s_addc_u32 s15, s1, s15
	s_lshl_b64 s[12:13], s[6:7], 2
	s_add_u32 s12, s0, s12
	s_addc_u32 s13, s1, s13
	s_load_dword s16, s[14:15], 0x0
	s_load_dword s17, s[12:13], 0x0
	s_waitcnt lgkmcnt(0)
	s_sub_i32 s12, s16, s17
	s_cmp_eq_u32 s12, 1
	s_cselect_b64 s[12:13], -1, 0
	s_andn2_b64 vcc, exec, s[10:11]
	s_cbranch_vccnz .LBB284_3
.LBB284_2:
	s_mov_b32 s7, 0
	s_mov_b64 s[12:13], -1
.LBB284_3:
	s_andn2_b64 vcc, exec, s[12:13]
	s_cbranch_vccnz .LBB284_19
; %bb.4:
	s_load_dwordx2 s[12:13], s[4:5], 0x28
	s_lshl_b64 s[10:11], s[6:7], 2
	s_waitcnt lgkmcnt(0)
	s_add_u32 s12, s12, s10
	s_addc_u32 s13, s13, s11
	s_load_dword s33, s[12:13], 0x0
	s_lshl_b32 s16, s9, 8
	s_waitcnt lgkmcnt(0)
	s_cmp_ge_i32 s16, s33
	s_cbranch_scc1 .LBB284_19
; %bb.5:
	s_add_i32 s15, s33, 31
	s_load_dwordx2 s[12:13], s[4:5], 0x20
	s_load_dword s14, s[4:5], 0x38
	s_ashr_i32 s17, s15, 31
	v_and_b32_e32 v1, 0xcf, v0
	s_lshr_b32 s17, s17, 27
	v_add_u32_e32 v1, s16, v1
	s_add_i32 s15, s15, s17
	v_ashrrev_i32_e32 v2, 31, v1
	s_ashr_i32 s19, s15, 5
	v_lshrrev_b32_e32 v6, 27, v2
	s_add_i32 s19, s19, -1
	v_add_u32_e32 v2, v1, v6
	s_waitcnt lgkmcnt(0)
	s_mul_i32 s14, s6, s14
	s_mov_b32 s15, 0
	v_ashrrev_i32_e32 v2, 5, v2
	v_mov_b32_e32 v7, s19
	v_cmp_gt_i32_e32 vcc, s33, v1
	s_lshl_b64 s[14:15], s[14:15], 2
	v_cndmask_b32_e32 v2, v7, v2, vcc
	s_add_u32 s17, s12, s14
	v_ashrrev_i32_e32 v3, 31, v2
	s_addc_u32 s18, s13, s15
	v_lshlrev_b64 v[2:3], 2, v[2:3]
	v_mov_b32_e32 v4, s18
	v_add_co_u32_e32 v2, vcc, s17, v2
	v_addc_co_u32_e32 v3, vcc, v4, v3, vcc
	v_or_b32_e32 v4, 16, v1
	v_add_u32_e32 v5, v4, v6
	v_ashrrev_i32_e32 v5, 5, v5
	v_cmp_gt_i32_e32 vcc, s33, v4
	v_cndmask_b32_e32 v4, v7, v5, vcc
	v_ashrrev_i32_e32 v5, 31, v4
	v_lshlrev_b64 v[4:5], 2, v[4:5]
	v_mov_b32_e32 v9, s18
	v_add_co_u32_e32 v8, vcc, s17, v4
	v_or_b32_e32 v4, 32, v1
	v_addc_co_u32_e32 v9, vcc, v9, v5, vcc
	v_add_u32_e32 v5, v4, v6
	v_ashrrev_i32_e32 v5, 5, v5
	v_cmp_gt_i32_e32 vcc, s33, v4
	v_cndmask_b32_e32 v4, v7, v5, vcc
	v_ashrrev_i32_e32 v5, 31, v4
	v_lshlrev_b64 v[4:5], 2, v[4:5]
	v_mov_b32_e32 v11, s18
	v_add_co_u32_e32 v10, vcc, s17, v4
	v_or_b32_e32 v1, 48, v1
	v_addc_co_u32_e32 v11, vcc, v11, v5, vcc
	v_add_u32_e32 v4, v1, v6
	v_ashrrev_i32_e32 v4, 5, v4
	v_cmp_gt_i32_e32 vcc, s33, v1
	v_cndmask_b32_e32 v4, v7, v4, vcc
	v_ashrrev_i32_e32 v5, 31, v4
	v_lshlrev_b64 v[4:5], 2, v[4:5]
	v_mov_b32_e32 v1, s18
	v_add_co_u32_e32 v12, vcc, s17, v4
	v_addc_co_u32_e32 v13, vcc, v1, v5, vcc
	global_load_dword v4, v[2:3], off
	global_load_dword v6, v[8:9], off
	;; [unrolled: 1-line block ×4, first 2 shown]
	s_andn2_b64 vcc, exec, s[2:3]
	s_cbranch_vccnz .LBB284_8
; %bb.6:
	s_add_u32 s0, s0, s10
	s_addc_u32 s1, s1, s11
	s_load_dword s10, s[0:1], 0x0
	s_branch .LBB284_9
.LBB284_7:
	s_mov_b64 s[12:13], 0
	s_branch .LBB284_2
.LBB284_8:
	s_mov_b32 s10, s6
.LBB284_9:
	s_load_dwordx4 s[12:15], s[4:5], 0x8
	s_load_dwordx4 s[44:47], s[4:5], 0x48
	v_lshrrev_b32_e32 v52, 6, v0
	v_bfe_u32 v1, v0, 4, 2
	v_lshl_or_b32 v3, v52, 2, v1
	v_and_b32_e32 v53, 15, v0
	v_cmp_ne_u32_e32 vcc, 0, v3
	v_cmp_lt_u32_e64 s[2:3], 7, v53
	v_lshlrev_b32_e32 v2, 3, v53
	v_cmp_gt_u32_e64 s[0:1], 8, v53
	s_or_b64 s[2:3], s[2:3], vcc
	s_and_saveexec_b64 s[20:21], s[2:3]
	s_xor_b64 s[2:3], exec, s[20:21]
; %bb.10:
	v_mov_b32_e32 v3, 0
; %bb.11:
	s_or_saveexec_b64 s[2:3], s[2:3]
	v_and_b32_e32 v54, 63, v0
	s_xor_b64 exec, exec, s[2:3]
	s_cbranch_execz .LBB284_13
; %bb.12:
	s_load_dwordx2 s[20:21], s[4:5], 0x0
	s_waitcnt lgkmcnt(0)
	s_ashr_i32 s11, s44, 31
	s_mul_hi_u32 s22, s10, s44
	s_mul_i32 s11, s10, s11
	s_add_i32 s11, s22, s11
	s_mul_i32 s10, s10, s44
	s_lshl_b64 s[10:11], s[10:11], 1
	s_add_u32 s20, s20, s10
	s_addc_u32 s21, s21, s11
	s_lshl_b32 s10, s8, 6
	s_ashr_i32 s11, s10, 31
	s_lshl_b64 s[10:11], s[10:11], 1
	s_add_u32 s10, s20, s10
	s_addc_u32 s11, s21, s11
	v_lshlrev_b32_e32 v3, 1, v2
	global_load_dwordx4 v[8:11], v3, s[10:11]
	v_and_b32_e32 v5, 3, v0
	v_lshlrev_b32_e32 v7, 9, v53
	v_lshlrev_b32_e32 v5, 9, v5
	s_movk_i32 s10, 0x1800
	v_mov_b32_e32 v3, 0
	v_and_or_b32 v5, v7, s10, v5
	s_waitcnt vmcnt(0)
	ds_write_b128 v5, v[8:11]
.LBB284_13:
	s_or_b64 exec, exec, s[2:3]
	s_waitcnt lgkmcnt(0)
	s_mul_i32 s2, s8, s46
	s_mov_b32 s3, 0
	s_lshl_b64 s[2:3], s[2:3], 1
	s_add_u32 s10, s12, s2
	s_addc_u32 s11, s13, s3
	s_waitcnt vmcnt(3)
	v_mad_i64_i32 v[4:5], s[12:13], v4, s45, 0
	v_lshlrev_b64 v[4:5], 1, v[4:5]
	v_mov_b32_e32 v7, s11
	v_add_co_u32_e32 v4, vcc, s10, v4
	v_addc_co_u32_e32 v5, vcc, v7, v5, vcc
	v_lshlrev_b64 v[34:35], 1, v[2:3]
	v_add_co_u32_e32 v2, vcc, v4, v34
	v_lshlrev_b32_e32 v28, 9, v1
	v_addc_co_u32_e32 v3, vcc, v5, v35, vcc
	v_add_co_u32_e32 v20, vcc, v2, v28
	v_addc_co_u32_e32 v21, vcc, 0, v3, vcc
	s_barrier
	global_load_dwordx4 v[2:5], v[20:21], off
	s_waitcnt vmcnt(3)
	v_mad_i64_i32 v[6:7], s[12:13], v6, s45, 0
	v_lshlrev_b64 v[6:7], 1, v[6:7]
	v_mov_b32_e32 v8, s11
	v_add_co_u32_e32 v6, vcc, s10, v6
	v_addc_co_u32_e32 v7, vcc, v8, v7, vcc
	v_mov_b32_e32 v8, 0x100
	v_lshl_or_b32 v29, v53, 4, v8
	v_add_co_u32_e32 v6, vcc, v6, v29
	v_addc_co_u32_e32 v7, vcc, 0, v7, vcc
	v_add_co_u32_e32 v22, vcc, v6, v28
	v_addc_co_u32_e32 v23, vcc, 0, v7, vcc
	global_load_dwordx4 v[14:17], v[22:23], off
	global_load_dwordx4 v[10:13], v[20:21], off offset:2048
	global_load_dwordx4 v[6:9], v[22:23], off offset:2048
	s_waitcnt vmcnt(5)
	v_mad_i64_i32 v[26:27], s[12:13], v19, s45, 0
	s_waitcnt vmcnt(4)
	v_mad_i64_i32 v[30:31], s[12:13], v18, s45, 0
	ds_read_b128 v[22:25], v28
	ds_read_b128 v[18:21], v28 offset:2048
	v_lshlrev_b64 v[32:33], 1, v[26:27]
	v_lshlrev_b64 v[26:27], 1, v[30:31]
	v_mov_b32_e32 v30, s11
	v_add_co_u32_e32 v36, vcc, s10, v32
	v_addc_co_u32_e32 v37, vcc, v30, v33, vcc
	v_mov_b32_e32 v46, s11
	s_ashr_i32 s12, s16, 31
	v_and_or_b32 v50, v0, 48, s16
	s_lshr_b32 s11, s12, 27
	v_or_b32_e32 v48, 64, v50
	v_mov_b32_e32 v51, s19
	v_mov_b32_e32 v55, s18
	;; [unrolled: 1-line block ×3, first 2 shown]
	s_add_u32 s2, s14, s2
	s_addc_u32 s3, s15, s3
	s_mov_b32 s42, 0xff7fffff
	s_waitcnt vmcnt(3) lgkmcnt(1)
	v_mfma_f32_16x16x16bf16_1k v[30:33], v[2:3], v[22:23], 0
	v_add_co_u32_e32 v2, vcc, v36, v34
	v_addc_co_u32_e32 v3, vcc, v37, v35, vcc
	v_add_co_u32_e32 v44, vcc, v2, v28
	v_addc_co_u32_e32 v45, vcc, 0, v3, vcc
	global_load_dwordx4 v[36:39], v[44:45], off
	v_add_co_u32_e32 v2, vcc, s10, v26
	v_addc_co_u32_e32 v3, vcc, v46, v27, vcc
	v_add_co_u32_e32 v26, vcc, v2, v29
	v_addc_co_u32_e32 v27, vcc, 0, v3, vcc
	s_waitcnt vmcnt(3)
	v_mfma_f32_16x16x16bf16_1k v[40:43], v[14:15], v[22:23], 0
	v_add_co_u32_e32 v46, vcc, v26, v28
	v_addc_co_u32_e32 v47, vcc, 0, v27, vcc
	global_load_dwordx4 v[26:29], v[44:45], off offset:2048
	v_add_u32_e32 v14, s11, v50
	v_add_u32_e32 v15, s11, v48
	v_mfma_f32_16x16x16bf16_1k v[2:5], v[4:5], v[24:25], v[30:33]
	v_cmp_gt_i32_e32 vcc, s33, v50
	s_load_dword s10, s[4:5], 0x1c
	s_nop 4
	v_ashrrev_i32_e32 v30, 5, v14
	v_ashrrev_i32_e32 v31, 5, v15
	v_mfma_f32_16x16x16bf16_1k v[14:17], v[16:17], v[24:25], v[40:43]
	s_nop 6
	v_cndmask_b32_e32 v40, v51, v30, vcc
	v_ashrrev_i32_e32 v41, 31, v40
	v_cmp_gt_i32_e32 vcc, s33, v48
	s_waitcnt vmcnt(3) lgkmcnt(0)
	v_mfma_f32_16x16x16bf16_1k v[2:5], v[10:11], v[18:19], v[2:5]
	v_lshlrev_b64 v[10:11], 2, v[40:41]
	v_cndmask_b32_e32 v48, v51, v31, vcc
	v_add_co_u32_e32 v10, vcc, s17, v10
	v_addc_co_u32_e32 v11, vcc, v55, v11, vcc
	global_load_dwordx4 v[30:33], v[46:47], off
	global_load_dwordx4 v[42:45], v[46:47], off offset:2048
	global_load_dword v55, v[10:11], off
	v_ashrrev_i32_e32 v49, 31, v48
	v_lshlrev_b64 v[40:41], 2, v[48:49]
	v_mfma_f32_16x16x16bf16_1k v[46:49], v[12:13], v[20:21], v[2:5]
	s_nop 6
	v_add_co_u32_e32 v2, vcc, s17, v40
	v_addc_co_u32_e32 v3, vcc, v56, v41, vcc
	global_load_dword v40, v[2:3], off
	v_or_b32_e32 v2, 0x80, v50
	v_add_u32_e32 v3, s11, v2
	v_ashrrev_i32_e32 v3, 5, v3
	v_cmp_gt_i32_e32 vcc, s33, v2
	v_cndmask_b32_e32 v10, v51, v3, vcc
	v_ashrrev_i32_e32 v11, 31, v10
	s_waitcnt vmcnt(6)
	v_mfma_f32_16x16x16bf16_1k v[2:5], v[6:7], v[18:19], v[14:17]
	v_lshlrev_b64 v[6:7], 2, v[10:11]
	v_mov_b32_e32 v10, s18
	v_add_co_u32_e32 v6, vcc, s17, v6
	v_addc_co_u32_e32 v7, vcc, v10, v7, vcc
	global_load_dword v41, v[6:7], off
	v_mfma_f32_16x16x16bf16_1k v[56:59], v[8:9], v[20:21], v[2:5]
	v_or_b32_e32 v6, 0xc0, v50
	v_add_u32_e32 v7, s11, v6
	v_ashrrev_i32_e32 v7, 5, v7
	v_cmp_gt_i32_e32 vcc, s33, v6
	v_cndmask_b32_e32 v6, v51, v7, vcc
	v_ashrrev_i32_e32 v7, 31, v6
	v_lshlrev_b64 v[6:7], 2, v[6:7]
	s_waitcnt vmcnt(6)
	v_mfma_f32_16x16x16bf16_1k v[2:5], v[36:37], v[22:23], 0
	v_mov_b32_e32 v8, s18
	v_add_co_u32_e32 v6, vcc, s17, v6
	v_addc_co_u32_e32 v7, vcc, v8, v7, vcc
	global_load_dword v60, v[6:7], off
	v_and_b32_e32 v6, 16, v0
	v_mfma_f32_16x16x16bf16_1k v[2:5], v[38:39], v[24:25], v[2:5]
	v_lshlrev_b32_e32 v6, 1, v6
	v_mov_b32_e32 v7, s3
	v_add_co_u32_e32 v6, vcc, s2, v6
	v_lshlrev_b32_e32 v8, 6, v53
	v_addc_co_u32_e32 v7, vcc, 0, v7, vcc
	s_waitcnt vmcnt(6)
	v_mfma_f32_16x16x16bf16_1k v[2:5], v[26:27], v[18:19], v[2:5]
	v_lshl_or_b32 v8, v52, 10, v8
	v_add_co_u32_e32 v61, vcc, v6, v8
	v_addc_co_u32_e32 v62, vcc, 0, v7, vcc
	v_pk_mul_f32 v[48:49], s[10:11], v[48:49] op_sel_hi:[0,1]
	v_pk_mul_f32 v[50:51], s[10:11], v[58:59] op_sel_hi:[0,1]
	v_mfma_f32_16x16x16bf16_1k v[26:29], v[28:29], v[20:21], v[2:5]
	s_waitcnt vmcnt(3)
	s_nop 5
	v_mad_i64_i32 v[2:3], s[2:3], v55, s45, 0
	v_lshlrev_b64 v[6:7], 1, v[2:3]
	v_mfma_f32_16x16x16bf16_1k v[2:5], v[30:31], v[22:23], 0
	v_add_co_u32_e32 v6, vcc, v61, v6
	v_addc_co_u32_e32 v7, vcc, v62, v7, vcc
	global_load_dwordx4 v[14:17], v[6:7], off
	global_load_dwordx4 v[10:13], v[6:7], off offset:16
	s_waitcnt vmcnt(4)
	v_mad_i64_i32 v[6:7], s[2:3], v40, s45, 0
	v_mfma_f32_16x16x16bf16_1k v[22:25], v[32:33], v[24:25], v[2:5]
	v_lshlrev_b64 v[6:7], 1, v[6:7]
	s_waitcnt vmcnt(3)
	v_mad_i64_i32 v[30:31], s[2:3], v41, s45, 0
	v_mfma_f32_16x16x16bf16_1k v[22:25], v[42:43], v[18:19], v[22:25]
	v_pk_mul_f32 v[18:19], s[10:11], v[46:47] op_sel_hi:[0,1]
	v_pk_mul_f32 v[40:41], s[10:11], v[56:57] op_sel_hi:[0,1]
	v_pk_mul_f32 v[42:43], s[10:11], v[26:27] op_sel_hi:[0,1]
	v_pk_mul_f32 v[46:47], s[10:11], v[28:29] op_sel_hi:[0,1]
	v_add_co_u32_e32 v2, vcc, v61, v6
	v_addc_co_u32_e32 v3, vcc, v62, v7, vcc
	v_mfma_f32_16x16x16bf16_1k v[20:23], v[44:45], v[20:21], v[22:25]
	v_lshlrev_b64 v[30:31], 1, v[30:31]
	v_add_co_u32_e32 v38, vcc, v61, v30
	v_addc_co_u32_e32 v39, vcc, v62, v31, vcc
	global_load_dwordx4 v[6:9], v[2:3], off
	s_nop 0
	global_load_dwordx4 v[2:5], v[2:3], off offset:16
	s_nop 4
	v_pk_mul_f32 v[44:45], s[10:11], v[20:21] op_sel_hi:[0,1]
	v_and_b32_e32 v20, 0xc0, v0
	v_add_u32_e32 v20, s16, v20
	v_lshl_or_b32 v20, v1, 2, v20
	v_pk_mul_f32 v[36:37], s[10:11], v[22:23] op_sel_hi:[0,1]
	v_or_b32_e32 v23, 1, v20
	v_mov_b32_e32 v21, 0xff7fffff
	v_cmp_gt_i32_e64 s[30:31], s33, v20
	v_cmp_gt_i32_e64 s[34:35], s33, v23
	v_cndmask_b32_e64 v22, v21, v18, s[30:31]
	v_cndmask_b32_e64 v23, v21, v19, s[34:35]
	v_max3_f32 v22, v22, s42, v23
	v_or_b32_e32 v23, 2, v20
	v_or_b32_e32 v24, 3, v20
	v_cmp_gt_i32_e64 s[36:37], s33, v23
	v_cmp_gt_i32_e64 s[38:39], s33, v24
	v_cndmask_b32_e64 v23, v21, v48, s[36:37]
	v_cndmask_b32_e64 v24, v21, v49, s[38:39]
	v_max3_f32 v22, v22, v23, v24
	v_or_b32_e32 v23, 16, v20
	v_or_b32_e32 v24, 17, v20
	v_cmp_gt_i32_e64 s[24:25], s33, v23
	v_cmp_gt_i32_e64 s[26:27], s33, v24
	v_cndmask_b32_e64 v23, v21, v40, s[24:25]
	v_cndmask_b32_e64 v24, v21, v41, s[26:27]
	v_max3_f32 v22, v22, v23, v24
	v_or_b32_e32 v23, 18, v20
	v_or_b32_e32 v24, 19, v20
	v_cmp_gt_i32_e64 s[20:21], s33, v23
	v_cmp_gt_i32_e64 s[22:23], s33, v24
	v_cndmask_b32_e64 v23, v21, v50, s[20:21]
	v_cndmask_b32_e64 v24, v21, v51, s[22:23]
	v_max3_f32 v22, v22, v23, v24
	v_or_b32_e32 v23, 32, v20
	v_or_b32_e32 v24, 33, v20
	v_cmp_gt_i32_e64 s[16:17], s33, v23
	v_cmp_gt_i32_e64 s[18:19], s33, v24
	v_cndmask_b32_e64 v23, v21, v42, s[16:17]
	v_cndmask_b32_e64 v24, v21, v43, s[18:19]
	v_max3_f32 v22, v22, v23, v24
	v_or_b32_e32 v23, 34, v20
	v_or_b32_e32 v24, 35, v20
	v_cmp_gt_i32_e64 s[12:13], s33, v23
	v_cmp_gt_i32_e64 s[14:15], s33, v24
	v_cndmask_b32_e64 v23, v21, v46, s[12:13]
	v_cndmask_b32_e64 v24, v21, v47, s[14:15]
	v_max3_f32 v22, v22, v23, v24
	v_or_b32_e32 v23, 48, v20
	v_or_b32_e32 v24, 49, v20
	v_cmp_gt_i32_e64 s[28:29], s33, v23
	v_cmp_gt_i32_e64 s[10:11], s33, v24
	v_cndmask_b32_e64 v23, v21, v44, s[28:29]
	v_cndmask_b32_e64 v24, v21, v45, s[10:11]
	v_max3_f32 v22, v22, v23, v24
	v_or_b32_e32 v23, 50, v20
	v_or_b32_e32 v20, 51, v20
	v_cmp_gt_i32_e32 vcc, s33, v23
	v_cmp_gt_i32_e64 s[2:3], s33, v20
	v_cndmask_b32_e32 v23, v21, v36, vcc
	v_cndmask_b32_e64 v20, v21, v37, s[2:3]
	v_max3_f32 v26, v22, v23, v20
	v_mbcnt_lo_u32_b32 v20, -1, 0
	v_mbcnt_hi_u32_b32 v27, -1, v20
	v_and_b32_e32 v20, 64, v27
	v_add_u32_e32 v28, 64, v20
	v_xor_b32_e32 v20, 32, v27
	v_cmp_lt_i32_e64 s[40:41], v20, v28
	v_cndmask_b32_e64 v20, v27, v20, s[40:41]
	v_lshlrev_b32_e32 v56, 2, v20
	ds_bpermute_b32 v29, v56, v26
	s_waitcnt vmcnt(4)
	v_mad_i64_i32 v[20:21], s[40:41], v60, s45, 0
	v_lshlrev_b64 v[20:21], 1, v[20:21]
	global_load_dwordx4 v[30:33], v[38:39], off
	global_load_dwordx4 v[22:25], v[38:39], off offset:16
	s_waitcnt lgkmcnt(0)
	v_max_f32_e32 v29, v29, v29
	v_max_f32_e32 v26, v26, v29
	v_xor_b32_e32 v29, 16, v27
	v_cmp_lt_i32_e64 s[40:41], v29, v28
	v_cndmask_b32_e64 v27, v27, v29, s[40:41]
	v_lshlrev_b32_e32 v58, 2, v27
	ds_bpermute_b32 v27, v58, v26
	v_add_co_u32_e64 v20, s[40:41], v61, v20
	v_addc_co_u32_e64 v21, s[40:41], v62, v21, s[40:41]
	s_waitcnt lgkmcnt(0)
	v_max_f32_e32 v27, v27, v27
	v_max_f32_e32 v55, v26, v27
	v_sub_f32_e32 v18, v18, v55
	v_mul_f32_e32 v18, 0x3fb8aa3b, v18
	v_exp_f32_e32 v38, v18
	v_sub_f32_e32 v18, v19, v55
	v_mul_f32_e32 v18, 0x3fb8aa3b, v18
	v_exp_f32_e32 v39, v18
	global_load_dwordx4 v[26:29], v[20:21], off
	s_nop 0
	global_load_dwordx4 v[18:21], v[20:21], off offset:16
	v_sub_f32_e32 v48, v48, v55
	v_mul_f32_e32 v48, 0x3fb8aa3b, v48
	v_sub_f32_e32 v49, v49, v55
	v_exp_f32_e32 v48, v48
	v_mul_f32_e32 v49, 0x3fb8aa3b, v49
	v_sub_f32_e32 v40, v40, v55
	v_exp_f32_e32 v49, v49
	v_mul_f32_e32 v40, 0x3fb8aa3b, v40
	v_sub_f32_e32 v41, v41, v55
	v_cndmask_b32_e64 v38, 0, v38, s[30:31]
	v_exp_f32_e32 v40, v40
	v_mul_f32_e32 v41, 0x3fb8aa3b, v41
	v_sub_f32_e32 v50, v50, v55
	v_add_f32_e32 v57, 0, v38
	v_cndmask_b32_e64 v39, 0, v39, s[34:35]
	v_exp_f32_e32 v41, v41
	v_mul_f32_e32 v50, 0x3fb8aa3b, v50
	v_sub_f32_e32 v51, v51, v55
	v_add_f32_e32 v57, v57, v39
	;; [unrolled: 5-line block ×10, first 2 shown]
	v_cndmask_b32_e64 v46, 0, v46, s[12:13]
	v_exp_f32_e32 v36, v36
	v_mul_f32_e32 v37, 0x3fb8aa3b, v37
	v_add_f32_e32 v57, v57, v46
	v_cndmask_b32_e64 v47, 0, v47, s[14:15]
	v_exp_f32_e32 v37, v37
	v_add_f32_e32 v57, v57, v47
	v_cndmask_b32_e64 v44, 0, v44, s[28:29]
	v_add_f32_e32 v57, v57, v44
	v_cndmask_b32_e64 v45, 0, v45, s[10:11]
	v_add_f32_e32 v57, v57, v45
	v_cndmask_b32_e32 v36, 0, v36, vcc
	v_add_f32_e32 v57, v57, v36
	v_cndmask_b32_e64 v37, 0, v37, s[2:3]
	v_add_f32_e32 v57, v57, v37
	ds_bpermute_b32 v56, v56, v57
	v_cmp_gt_u32_e64 s[2:3], 16, v54
	s_waitcnt lgkmcnt(0)
	s_barrier
	v_add_f32_e32 v57, v57, v56
	ds_bpermute_b32 v58, v58, v57
	v_lshlrev_b32_e32 v56, 2, v53
	s_and_saveexec_b64 s[10:11], s[2:3]
	s_cbranch_execz .LBB284_15
; %bb.14:
	s_waitcnt lgkmcnt(0)
	v_add_f32_e32 v54, v57, v58
	v_lshl_or_b32 v57, v52, 6, v56
	ds_write2st64_b32 v57, v55, v54 offset1:1
.LBB284_15:
	s_or_b64 exec, exec, s[10:11]
	s_load_dwordx2 s[10:11], s[4:5], 0x94
	s_waitcnt lgkmcnt(0)
	s_barrier
	ds_read2_b32 v[58:59], v56 offset1:16
	ds_read2_b32 v[60:61], v56 offset0:32 offset1:48
	ds_read2_b32 v[62:63], v56 offset0:64 offset1:80
	;; [unrolled: 1-line block ×3, first 2 shown]
	s_movk_i32 s14, 0x7fff
	s_waitcnt lgkmcnt(3)
	v_max3_f32 v54, v58, s42, v59
	s_waitcnt lgkmcnt(2)
	v_max3_f32 v54, v54, v60, v61
	v_sub_f32_e32 v55, v58, v54
	v_mul_f32_e32 v55, 0x3fb8aa3b, v55
	v_exp_f32_e32 v58, v55
	v_sub_f32_e32 v55, v59, v54
	v_mul_f32_e32 v55, 0x3fb8aa3b, v55
	v_exp_f32_e32 v59, v55
	;; [unrolled: 3-line block ×4, first 2 shown]
	s_waitcnt lgkmcnt(1)
	v_fma_f32 v55, v58, v62, 0
	v_fmac_f32_e32 v55, v59, v63
	s_waitcnt lgkmcnt(0)
	v_fmac_f32_e32 v55, v60, v56
	v_fmac_f32_e32 v55, v61, v57
	v_add_f32_e32 v57, 0x358637bd, v55
	v_div_scale_f32 v62, s[12:13], v57, v57, 1.0
	v_rcp_f32_e32 v63, v62
	s_mov_b32 s15, 0x7060302
	s_barrier
	v_fma_f32 v64, -v62, v63, 1.0
	v_fmac_f32_e32 v63, v64, v63
	v_div_scale_f32 v64, vcc, 1.0, v57, 1.0
	v_mul_f32_e32 v65, v64, v63
	v_fma_f32 v66, -v62, v65, v64
	v_fmac_f32_e32 v65, v66, v63
	v_fma_f32 v62, -v62, v65, v64
	v_div_fmas_f32 v62, v62, v63, v65
	v_cmp_eq_u32_e32 vcc, 1, v52
	v_cndmask_b32_e32 v58, v58, v59, vcc
	v_cmp_eq_u32_e32 vcc, 2, v52
	v_cndmask_b32_e32 v58, v58, v60, vcc
	v_cmp_eq_u32_e32 vcc, 3, v52
	v_div_fixup_f32 v57, v62, v57, 1.0
	v_cndmask_b32_e32 v58, v58, v61, vcc
	v_mul_f32_e32 v58, v58, v57
	v_pk_mul_f32 v[38:39], v[58:59], v[38:39] op_sel_hi:[0,1]
	v_pk_mul_f32 v[48:49], v[58:59], v[48:49] op_sel_hi:[0,1]
	v_bfe_u32 v57, v39, 16, 1
	v_bfe_u32 v59, v38, 16, 1
	v_add3_u32 v38, v38, v59, s14
	v_add3_u32 v39, v39, v57, s14
	v_perm_b32 v60, v39, v38, s15
	v_bfe_u32 v38, v49, 16, 1
	v_bfe_u32 v39, v48, 16, 1
	v_add3_u32 v39, v48, v39, s14
	v_add3_u32 v38, v49, v38, s14
	v_perm_b32 v61, v38, v39, s15
	v_lshlrev_b32_e32 v38, 3, v1
	v_lshlrev_b32_e32 v39, 5, v53
	;; [unrolled: 1-line block ×3, first 2 shown]
	v_pk_mul_f32 v[40:41], v[58:59], v[40:41] op_sel_hi:[0,1]
	v_or3_b32 v38, v48, v39, v38
	v_pk_mul_f32 v[48:49], v[58:59], v[50:51] op_sel_hi:[0,1]
	v_bfe_u32 v50, v41, 16, 1
	v_bfe_u32 v51, v40, 16, 1
	v_add3_u32 v40, v40, v51, s14
	v_add3_u32 v41, v41, v50, s14
	v_perm_b32 v40, v41, v40, s15
	v_bfe_u32 v41, v49, 16, 1
	v_bfe_u32 v50, v48, 16, 1
	v_add3_u32 v48, v48, v50, s14
	v_add3_u32 v41, v49, v41, s14
	v_perm_b32 v41, v41, v48, s15
	v_pk_mul_f32 v[42:43], v[58:59], v[42:43] op_sel_hi:[0,1]
	ds_write2st64_b64 v38, v[60:61], v[40:41] offset1:1
	v_pk_mul_f32 v[40:41], v[58:59], v[46:47] op_sel_hi:[0,1]
	v_bfe_u32 v46, v43, 16, 1
	v_bfe_u32 v47, v42, 16, 1
	v_add3_u32 v42, v42, v47, s14
	v_add3_u32 v43, v43, v46, s14
	v_perm_b32 v42, v43, v42, s15
	v_bfe_u32 v43, v41, 16, 1
	v_bfe_u32 v46, v40, 16, 1
	v_add3_u32 v40, v40, v46, s14
	v_add3_u32 v41, v41, v43, s14
	v_perm_b32 v43, v41, v40, s15
	v_pk_mul_f32 v[40:41], v[58:59], v[44:45] op_sel_hi:[0,1]
	v_bfe_u32 v44, v41, 16, 1
	v_bfe_u32 v45, v40, 16, 1
	v_pk_mul_f32 v[36:37], v[58:59], v[36:37] op_sel_hi:[0,1]
	v_add3_u32 v40, v40, v45, s14
	v_add3_u32 v41, v41, v44, s14
	v_perm_b32 v40, v41, v40, s15
	v_bfe_u32 v41, v37, 16, 1
	v_bfe_u32 v44, v36, 16, 1
	v_add3_u32 v36, v36, v44, s14
	v_add3_u32 v37, v37, v41, s14
	v_mov_b32_e32 v56, 0
	v_perm_b32 v41, v37, v36, s15
	v_cmp_eq_u32_e32 vcc, 0, v0
	ds_write2st64_b64 v38, v[42:43], v[40:41] offset0:2 offset1:3
	s_and_saveexec_b64 s[12:13], vcc
	s_cbranch_execz .LBB284_17
; %bb.16:
	s_mul_i32 s7, s7, s11
	s_mul_hi_u32 s20, s6, s11
	s_add_i32 s20, s20, s7
	s_mul_i32 s7, s6, s11
	s_add_u32 s7, s7, s8
	s_addc_u32 s20, s20, 0
	s_load_dwordx4 s[16:19], s[4:5], 0x58
	s_mul_i32 s20, s20, s10
	s_mul_hi_u32 s21, s7, s10
	s_add_i32 s21, s21, s20
	s_mul_i32 s7, s7, s10
	s_add_u32 s20, s7, s9
	s_addc_u32 s21, s21, 0
	s_lshl_b64 s[20:21], s[20:21], 2
	s_waitcnt lgkmcnt(0)
	s_add_u32 s18, s18, s20
	s_addc_u32 s19, s19, s21
	s_add_u32 s16, s16, s20
	s_addc_u32 s17, s17, s21
	global_store_dword v56, v54, s[18:19]
	global_store_dword v56, v55, s[16:17]
.LBB284_17:
	s_or_b64 exec, exec, s[12:13]
	v_lshl_or_b32 v36, v1, 9, v39
	s_waitcnt lgkmcnt(0)
	s_barrier
	ds_read_b128 v[40:43], v36
	ds_read_b128 v[44:47], v36 offset:16
	s_waitcnt vmcnt(7) lgkmcnt(1)
	v_mfma_f32_16x16x16bf16_1k v[48:51], v[14:15], v[40:41], 0
	v_cmp_gt_u32_e32 vcc, 64, v0
	s_and_b64 s[0:1], s[0:1], vcc
	s_mov_b32 s7, 0
	s_and_b64 s[0:1], s[0:1], s[2:3]
	v_mfma_f32_16x16x16bf16_1k v[14:17], v[16:17], v[42:43], v[48:51]
	s_waitcnt vmcnt(6) lgkmcnt(0)
	v_mfma_f32_16x16x16bf16_1k v[14:17], v[10:11], v[44:45], v[14:17]
	v_mfma_f32_16x16x16bf16_1k v[10:13], v[12:13], v[46:47], v[14:17]
	s_nop 7
	s_nop 1
	ds_read_b128 v[14:17], v36 offset:2048
	ds_read_b128 v[40:43], v36 offset:2064
	s_waitcnt vmcnt(5) lgkmcnt(1)
	v_mfma_f32_16x16x16bf16_1k v[10:13], v[6:7], v[14:15], v[10:13]
	v_mfma_f32_16x16x16bf16_1k v[6:9], v[8:9], v[16:17], v[10:13]
	s_waitcnt vmcnt(4) lgkmcnt(0)
	v_mfma_f32_16x16x16bf16_1k v[6:9], v[2:3], v[40:41], v[6:9]
	v_mfma_f32_16x16x16bf16_1k v[2:5], v[4:5], v[42:43], v[6:9]
	s_nop 7
	s_nop 1
	ds_read_b128 v[6:9], v36 offset:4096
	ds_read_b128 v[10:13], v36 offset:4112
	s_waitcnt vmcnt(3) lgkmcnt(1)
	v_mfma_f32_16x16x16bf16_1k v[2:5], v[30:31], v[6:7], v[2:5]
	v_mfma_f32_16x16x16bf16_1k v[2:5], v[32:33], v[8:9], v[2:5]
	s_waitcnt vmcnt(2) lgkmcnt(0)
	v_mfma_f32_16x16x16bf16_1k v[2:5], v[22:23], v[10:11], v[2:5]
	v_mfma_f32_16x16x16bf16_1k v[2:5], v[24:25], v[12:13], v[2:5]
	ds_read_b128 v[6:9], v36 offset:6144
	ds_read_b128 v[10:13], v36 offset:6160
	s_waitcnt lgkmcnt(0)
	s_barrier
	s_waitcnt vmcnt(1)
	v_mfma_f32_16x16x16bf16_1k v[2:5], v[26:27], v[6:7], v[2:5]
	v_mfma_f32_16x16x16bf16_1k v[2:5], v[28:29], v[8:9], v[2:5]
	s_waitcnt vmcnt(0)
	v_mfma_f32_16x16x16bf16_1k v[2:5], v[18:19], v[10:11], v[2:5]
	v_mfma_f32_16x16x16bf16_1k v[2:5], v[20:21], v[12:13], v[2:5]
	s_nop 7
	s_nop 2
	v_bfe_u32 v6, v3, 16, 1
	v_bfe_u32 v7, v2, 16, 1
	;; [unrolled: 1-line block ×4, first 2 shown]
	v_add3_u32 v2, v2, v7, s14
	v_add3_u32 v3, v3, v6, s14
	;; [unrolled: 1-line block ×4, first 2 shown]
	v_perm_b32 v2, v3, v2, s15
	v_perm_b32 v3, v5, v4, s15
	ds_write_b64 v38, v[2:3]
	s_waitcnt lgkmcnt(0)
	s_barrier
	s_and_saveexec_b64 s[2:3], s[0:1]
	s_cbranch_execz .LBB284_19
; %bb.18:
	s_load_dwordx2 s[0:1], s[4:5], 0x68
	s_mul_i32 s2, s11, s6
	s_lshl_b32 s4, s10, 6
	s_mul_hi_u32 s3, s2, s4
	s_mul_i32 s2, s2, s4
	s_lshl_b64 s[2:3], s[2:3], 1
	s_waitcnt lgkmcnt(0)
	s_add_u32 s2, s0, s2
	s_addc_u32 s3, s1, s3
	s_lshl_b32 s6, s9, 6
	v_lshlrev_b32_e32 v2, 10, v0
	v_lshlrev_b32_e32 v0, 4, v0
	s_lshl_b64 s[0:1], s[6:7], 1
	v_and_b32_e32 v2, 0x1800, v2
	v_lshlrev_b32_e32 v1, 5, v1
	v_and_b32_e32 v0, 16, v0
	s_add_u32 s2, s2, s0
	v_or3_b32 v0, v2, v1, v0
	s_addc_u32 s3, s3, s1
	s_mul_hi_u32 s1, s4, s8
	s_mul_i32 s0, s4, s8
	ds_read_b128 v[0:3], v0
	s_lshl_b64 s[0:1], s[0:1], 1
	s_add_u32 s0, s2, s0
	s_addc_u32 s1, s3, s1
	v_mov_b32_e32 v5, s1
	v_add_co_u32_e32 v4, vcc, s0, v34
	v_addc_co_u32_e32 v5, vcc, v5, v35, vcc
	s_waitcnt lgkmcnt(0)
	global_store_dwordx4 v[4:5], v[0:3], off
.LBB284_19:
	s_endpgm
	.section	.rodata,"a",@progbits
	.p2align	6, 0x0
	.amdhsa_kernel _Z39paged_attention_ll4mi_QKV_mfma16_kernelI14__hip_bfloat16S0_LN4vllm18Fp8KVCacheDataTypeE0ES0_Li32ELi64ELi256ELb0ELi1EL8MFMAType0EEvPKT_PKT0_S9_ifPKiSB_SB_iPKfiiiPfSE_PS4_PT2_iSD_SD_
		.amdhsa_group_segment_fixed_size 8192
		.amdhsa_private_segment_fixed_size 0
		.amdhsa_kernarg_size 400
		.amdhsa_user_sgpr_count 6
		.amdhsa_user_sgpr_private_segment_buffer 1
		.amdhsa_user_sgpr_dispatch_ptr 0
		.amdhsa_user_sgpr_queue_ptr 0
		.amdhsa_user_sgpr_kernarg_segment_ptr 1
		.amdhsa_user_sgpr_dispatch_id 0
		.amdhsa_user_sgpr_flat_scratch_init 0
		.amdhsa_user_sgpr_kernarg_preload_length 0
		.amdhsa_user_sgpr_kernarg_preload_offset 0
		.amdhsa_user_sgpr_private_segment_size 0
		.amdhsa_uses_dynamic_stack 0
		.amdhsa_system_sgpr_private_segment_wavefront_offset 0
		.amdhsa_system_sgpr_workgroup_id_x 1
		.amdhsa_system_sgpr_workgroup_id_y 1
		.amdhsa_system_sgpr_workgroup_id_z 1
		.amdhsa_system_sgpr_workgroup_info 0
		.amdhsa_system_vgpr_workitem_id 0
		.amdhsa_next_free_vgpr 67
		.amdhsa_next_free_sgpr 48
		.amdhsa_accum_offset 68
		.amdhsa_reserve_vcc 1
		.amdhsa_reserve_flat_scratch 0
		.amdhsa_float_round_mode_32 0
		.amdhsa_float_round_mode_16_64 0
		.amdhsa_float_denorm_mode_32 3
		.amdhsa_float_denorm_mode_16_64 3
		.amdhsa_dx10_clamp 1
		.amdhsa_ieee_mode 1
		.amdhsa_fp16_overflow 0
		.amdhsa_tg_split 0
		.amdhsa_exception_fp_ieee_invalid_op 0
		.amdhsa_exception_fp_denorm_src 0
		.amdhsa_exception_fp_ieee_div_zero 0
		.amdhsa_exception_fp_ieee_overflow 0
		.amdhsa_exception_fp_ieee_underflow 0
		.amdhsa_exception_fp_ieee_inexact 0
		.amdhsa_exception_int_div_zero 0
	.end_amdhsa_kernel
	.section	.text._Z39paged_attention_ll4mi_QKV_mfma16_kernelI14__hip_bfloat16S0_LN4vllm18Fp8KVCacheDataTypeE0ES0_Li32ELi64ELi256ELb0ELi1EL8MFMAType0EEvPKT_PKT0_S9_ifPKiSB_SB_iPKfiiiPfSE_PS4_PT2_iSD_SD_,"axG",@progbits,_Z39paged_attention_ll4mi_QKV_mfma16_kernelI14__hip_bfloat16S0_LN4vllm18Fp8KVCacheDataTypeE0ES0_Li32ELi64ELi256ELb0ELi1EL8MFMAType0EEvPKT_PKT0_S9_ifPKiSB_SB_iPKfiiiPfSE_PS4_PT2_iSD_SD_,comdat
.Lfunc_end284:
	.size	_Z39paged_attention_ll4mi_QKV_mfma16_kernelI14__hip_bfloat16S0_LN4vllm18Fp8KVCacheDataTypeE0ES0_Li32ELi64ELi256ELb0ELi1EL8MFMAType0EEvPKT_PKT0_S9_ifPKiSB_SB_iPKfiiiPfSE_PS4_PT2_iSD_SD_, .Lfunc_end284-_Z39paged_attention_ll4mi_QKV_mfma16_kernelI14__hip_bfloat16S0_LN4vllm18Fp8KVCacheDataTypeE0ES0_Li32ELi64ELi256ELb0ELi1EL8MFMAType0EEvPKT_PKT0_S9_ifPKiSB_SB_iPKfiiiPfSE_PS4_PT2_iSD_SD_
                                        ; -- End function
	.section	.AMDGPU.csdata,"",@progbits
; Kernel info:
; codeLenInByte = 4168
; NumSgprs: 52
; NumVgprs: 67
; NumAgprs: 0
; TotalNumVgprs: 67
; ScratchSize: 0
; MemoryBound: 0
; FloatMode: 240
; IeeeMode: 1
; LDSByteSize: 8192 bytes/workgroup (compile time only)
; SGPRBlocks: 6
; VGPRBlocks: 8
; NumSGPRsForWavesPerEU: 52
; NumVGPRsForWavesPerEU: 67
; AccumOffset: 68
; Occupancy: 7
; WaveLimiterHint : 1
; COMPUTE_PGM_RSRC2:SCRATCH_EN: 0
; COMPUTE_PGM_RSRC2:USER_SGPR: 6
; COMPUTE_PGM_RSRC2:TRAP_HANDLER: 0
; COMPUTE_PGM_RSRC2:TGID_X_EN: 1
; COMPUTE_PGM_RSRC2:TGID_Y_EN: 1
; COMPUTE_PGM_RSRC2:TGID_Z_EN: 1
; COMPUTE_PGM_RSRC2:TIDIG_COMP_CNT: 0
; COMPUTE_PGM_RSRC3_GFX90A:ACCUM_OFFSET: 16
; COMPUTE_PGM_RSRC3_GFX90A:TG_SPLIT: 0
	.section	.text._Z39paged_attention_ll4mi_QKV_mfma16_kernelI14__hip_bfloat16S0_LN4vllm18Fp8KVCacheDataTypeE0ES0_Li32ELi64ELi256ELb0ELi2EL8MFMAType0EEvPKT_PKT0_S9_ifPKiSB_SB_iPKfiiiPfSE_PS4_PT2_iSD_SD_,"axG",@progbits,_Z39paged_attention_ll4mi_QKV_mfma16_kernelI14__hip_bfloat16S0_LN4vllm18Fp8KVCacheDataTypeE0ES0_Li32ELi64ELi256ELb0ELi2EL8MFMAType0EEvPKT_PKT0_S9_ifPKiSB_SB_iPKfiiiPfSE_PS4_PT2_iSD_SD_,comdat
	.protected	_Z39paged_attention_ll4mi_QKV_mfma16_kernelI14__hip_bfloat16S0_LN4vllm18Fp8KVCacheDataTypeE0ES0_Li32ELi64ELi256ELb0ELi2EL8MFMAType0EEvPKT_PKT0_S9_ifPKiSB_SB_iPKfiiiPfSE_PS4_PT2_iSD_SD_ ; -- Begin function _Z39paged_attention_ll4mi_QKV_mfma16_kernelI14__hip_bfloat16S0_LN4vllm18Fp8KVCacheDataTypeE0ES0_Li32ELi64ELi256ELb0ELi2EL8MFMAType0EEvPKT_PKT0_S9_ifPKiSB_SB_iPKfiiiPfSE_PS4_PT2_iSD_SD_
	.globl	_Z39paged_attention_ll4mi_QKV_mfma16_kernelI14__hip_bfloat16S0_LN4vllm18Fp8KVCacheDataTypeE0ES0_Li32ELi64ELi256ELb0ELi2EL8MFMAType0EEvPKT_PKT0_S9_ifPKiSB_SB_iPKfiiiPfSE_PS4_PT2_iSD_SD_
	.p2align	8
	.type	_Z39paged_attention_ll4mi_QKV_mfma16_kernelI14__hip_bfloat16S0_LN4vllm18Fp8KVCacheDataTypeE0ES0_Li32ELi64ELi256ELb0ELi2EL8MFMAType0EEvPKT_PKT0_S9_ifPKiSB_SB_iPKfiiiPfSE_PS4_PT2_iSD_SD_,@function
_Z39paged_attention_ll4mi_QKV_mfma16_kernelI14__hip_bfloat16S0_LN4vllm18Fp8KVCacheDataTypeE0ES0_Li32ELi64ELi256ELb0ELi2EL8MFMAType0EEvPKT_PKT0_S9_ifPKiSB_SB_iPKfiiiPfSE_PS4_PT2_iSD_SD_: ; @_Z39paged_attention_ll4mi_QKV_mfma16_kernelI14__hip_bfloat16S0_LN4vllm18Fp8KVCacheDataTypeE0ES0_Li32ELi64ELi256ELb0ELi2EL8MFMAType0EEvPKT_PKT0_S9_ifPKiSB_SB_iPKfiiiPfSE_PS4_PT2_iSD_SD_
; %bb.0:
	s_load_dwordx2 s[0:1], s[4:5], 0x30
	s_mov_b32 s28, s7
	s_mov_b64 s[10:11], 0
	s_waitcnt lgkmcnt(0)
	s_cmp_lg_u64 s[0:1], 0
	s_cselect_b64 s[2:3], -1, 0
	s_and_b64 vcc, exec, s[2:3]
	s_cbranch_vccz .LBB285_7
; %bb.1:
	s_add_i32 s12, s6, 1
	s_mov_b32 s13, 0
	s_lshl_b64 s[14:15], s[12:13], 2
	s_add_u32 s14, s0, s14
	s_mov_b32 s7, s13
	s_addc_u32 s15, s1, s15
	s_lshl_b64 s[12:13], s[6:7], 2
	s_add_u32 s12, s0, s12
	s_addc_u32 s13, s1, s13
	s_load_dword s9, s[14:15], 0x0
	s_load_dword s16, s[12:13], 0x0
	s_waitcnt lgkmcnt(0)
	s_sub_i32 s9, s9, s16
	s_cmp_eq_u32 s9, 1
	s_cselect_b64 s[12:13], -1, 0
	s_andn2_b64 vcc, exec, s[10:11]
	s_cbranch_vccnz .LBB285_3
.LBB285_2:
	s_mov_b32 s7, 0
	s_mov_b64 s[12:13], -1
.LBB285_3:
	s_andn2_b64 vcc, exec, s[12:13]
	s_cbranch_vccnz .LBB285_19
; %bb.4:
	s_load_dwordx2 s[12:13], s[4:5], 0x28
	s_lshl_b64 s[10:11], s[6:7], 2
	s_waitcnt lgkmcnt(0)
	s_add_u32 s12, s12, s10
	s_addc_u32 s13, s13, s11
	s_load_dword s33, s[12:13], 0x0
	s_lshl_b32 s16, s28, 8
	s_waitcnt lgkmcnt(0)
	s_cmp_ge_i32 s16, s33
	s_cbranch_scc1 .LBB285_19
; %bb.5:
	s_add_i32 s14, s33, 31
	s_load_dwordx2 s[12:13], s[4:5], 0x20
	s_load_dword s9, s[4:5], 0x38
	s_ashr_i32 s15, s14, 31
	v_and_b32_e32 v1, 0xcf, v0
	s_lshr_b32 s15, s15, 27
	v_add_u32_e32 v1, s16, v1
	s_add_i32 s14, s14, s15
	v_ashrrev_i32_e32 v2, 31, v1
	s_ashr_i32 s19, s14, 5
	v_lshrrev_b32_e32 v6, 27, v2
	s_add_i32 s19, s19, -1
	v_add_u32_e32 v2, v1, v6
	s_waitcnt lgkmcnt(0)
	s_mul_i32 s14, s6, s9
	s_mov_b32 s15, 0
	v_ashrrev_i32_e32 v2, 5, v2
	v_mov_b32_e32 v7, s19
	v_cmp_gt_i32_e32 vcc, s33, v1
	s_lshl_b64 s[14:15], s[14:15], 2
	v_cndmask_b32_e32 v2, v7, v2, vcc
	s_add_u32 s17, s12, s14
	v_ashrrev_i32_e32 v3, 31, v2
	s_addc_u32 s18, s13, s15
	v_lshlrev_b64 v[2:3], 2, v[2:3]
	v_mov_b32_e32 v4, s18
	v_add_co_u32_e32 v2, vcc, s17, v2
	v_addc_co_u32_e32 v3, vcc, v4, v3, vcc
	v_or_b32_e32 v4, 16, v1
	v_add_u32_e32 v5, v4, v6
	v_ashrrev_i32_e32 v5, 5, v5
	v_cmp_gt_i32_e32 vcc, s33, v4
	v_cndmask_b32_e32 v4, v7, v5, vcc
	v_ashrrev_i32_e32 v5, 31, v4
	v_lshlrev_b64 v[4:5], 2, v[4:5]
	v_mov_b32_e32 v9, s18
	v_add_co_u32_e32 v8, vcc, s17, v4
	v_or_b32_e32 v4, 32, v1
	v_addc_co_u32_e32 v9, vcc, v9, v5, vcc
	v_add_u32_e32 v5, v4, v6
	v_ashrrev_i32_e32 v5, 5, v5
	v_cmp_gt_i32_e32 vcc, s33, v4
	v_cndmask_b32_e32 v4, v7, v5, vcc
	v_ashrrev_i32_e32 v5, 31, v4
	v_lshlrev_b64 v[4:5], 2, v[4:5]
	v_mov_b32_e32 v11, s18
	v_add_co_u32_e32 v10, vcc, s17, v4
	v_or_b32_e32 v1, 48, v1
	v_addc_co_u32_e32 v11, vcc, v11, v5, vcc
	v_add_u32_e32 v4, v1, v6
	v_ashrrev_i32_e32 v4, 5, v4
	v_cmp_gt_i32_e32 vcc, s33, v1
	v_cndmask_b32_e32 v4, v7, v4, vcc
	v_ashrrev_i32_e32 v5, 31, v4
	v_lshlrev_b64 v[4:5], 2, v[4:5]
	v_mov_b32_e32 v1, s18
	v_add_co_u32_e32 v12, vcc, s17, v4
	v_addc_co_u32_e32 v13, vcc, v1, v5, vcc
	global_load_dword v4, v[2:3], off
	global_load_dword v6, v[8:9], off
	;; [unrolled: 1-line block ×4, first 2 shown]
	s_andn2_b64 vcc, exec, s[2:3]
	s_cbranch_vccnz .LBB285_8
; %bb.6:
	s_add_u32 s0, s0, s10
	s_addc_u32 s1, s1, s11
	s_load_dword s9, s[0:1], 0x0
	s_branch .LBB285_9
.LBB285_7:
	s_mov_b64 s[12:13], 0
	s_branch .LBB285_2
.LBB285_8:
	s_mov_b32 s9, s6
.LBB285_9:
	s_load_dwordx4 s[12:15], s[4:5], 0x8
	s_load_dwordx4 s[44:47], s[4:5], 0x48
	v_lshrrev_b32_e32 v53, 6, v0
	v_bfe_u32 v1, v0, 4, 2
	v_lshl_or_b32 v5, v53, 2, v1
	v_and_b32_e32 v54, 15, v0
	v_cmp_lt_u32_e32 vcc, 1, v5
	v_cmp_lt_u32_e64 s[2:3], 7, v54
	v_lshlrev_b32_e32 v2, 3, v54
	v_cmp_gt_u32_e64 s[0:1], 8, v54
	s_or_b64 s[2:3], s[2:3], vcc
	s_and_saveexec_b64 s[10:11], s[2:3]
	s_xor_b64 s[2:3], exec, s[10:11]
; %bb.10:
	v_mov_b32_e32 v3, 0
                                        ; implicit-def: $vgpr5
; %bb.11:
	s_or_saveexec_b64 s[2:3], s[2:3]
	s_lshl_b32 s29, s8, 1
	v_and_b32_e32 v52, 63, v0
	s_xor_b64 exec, exec, s[2:3]
	s_cbranch_execz .LBB285_13
; %bb.12:
	s_load_dwordx2 s[10:11], s[4:5], 0x0
	s_waitcnt lgkmcnt(0)
	s_ashr_i32 s20, s44, 31
	s_mul_hi_u32 s21, s9, s44
	s_mul_i32 s20, s9, s20
	s_add_i32 s21, s21, s20
	s_mul_i32 s20, s9, s44
	s_lshl_b64 s[20:21], s[20:21], 1
	v_add_lshl_u32 v8, v1, s29, 6
	s_add_u32 s9, s10, s20
	v_ashrrev_i32_e32 v9, 31, v8
	s_addc_u32 s10, s11, s21
	v_lshlrev_b64 v[8:9], 1, v[8:9]
	v_mov_b32_e32 v3, s10
	v_add_co_u32_e32 v7, vcc, s9, v8
	v_addc_co_u32_e32 v3, vcc, v3, v9, vcc
	v_lshlrev_b32_e32 v8, 1, v2
	v_add_co_u32_e32 v8, vcc, v7, v8
	v_addc_co_u32_e32 v9, vcc, 0, v3, vcc
	global_load_dwordx4 v[8:11], v[8:9], off
	v_and_b32_e32 v7, 3, v0
	v_lshlrev_b32_e32 v12, 9, v54
	v_lshlrev_b32_e32 v5, 5, v5
	;; [unrolled: 1-line block ×3, first 2 shown]
	v_and_b32_e32 v12, 0x1800, v12
	v_mov_b32_e32 v3, 0
	v_or3_b32 v5, v12, v7, v5
	s_waitcnt vmcnt(0)
	ds_write_b128 v5, v[8:11]
.LBB285_13:
	s_or_b64 exec, exec, s[2:3]
	s_waitcnt lgkmcnt(0)
	s_mul_i32 s8, s8, s46
	s_mov_b32 s9, 0
	s_lshl_b64 s[8:9], s[8:9], 1
	s_add_u32 s3, s12, s8
	s_waitcnt vmcnt(3)
	v_mad_i64_i32 v[4:5], s[10:11], v4, s45, 0
	s_addc_u32 s12, s13, s9
	v_lshlrev_b64 v[4:5], 1, v[4:5]
	v_mov_b32_e32 v7, s12
	v_add_co_u32_e32 v4, vcc, s3, v4
	v_addc_co_u32_e32 v5, vcc, v7, v5, vcc
	v_lshlrev_b64 v[34:35], 1, v[2:3]
	v_add_co_u32_e32 v2, vcc, v4, v34
	v_lshlrev_b32_e32 v28, 9, v1
	v_addc_co_u32_e32 v3, vcc, v5, v35, vcc
	v_add_co_u32_e32 v20, vcc, v2, v28
	v_addc_co_u32_e32 v21, vcc, 0, v3, vcc
	s_load_dword s42, s[4:5], 0x98
	s_load_dword s2, s[4:5], 0x1c
	s_waitcnt lgkmcnt(0)
	s_barrier
	global_load_dwordx4 v[2:5], v[20:21], off
	s_waitcnt vmcnt(3)
	v_mad_i64_i32 v[6:7], s[10:11], v6, s45, 0
	v_lshlrev_b64 v[6:7], 1, v[6:7]
	v_mov_b32_e32 v8, s12
	v_add_co_u32_e32 v6, vcc, s3, v6
	v_addc_co_u32_e32 v7, vcc, v8, v7, vcc
	v_mov_b32_e32 v8, 0x100
	v_lshl_or_b32 v29, v54, 4, v8
	v_add_co_u32_e32 v6, vcc, v6, v29
	v_addc_co_u32_e32 v7, vcc, 0, v7, vcc
	v_add_co_u32_e32 v22, vcc, v6, v28
	v_addc_co_u32_e32 v23, vcc, 0, v7, vcc
	global_load_dwordx4 v[10:13], v[22:23], off
	global_load_dwordx4 v[14:17], v[20:21], off offset:2048
	global_load_dwordx4 v[6:9], v[22:23], off offset:2048
	v_and_b32_e32 v22, 1, v0
	s_waitcnt vmcnt(5)
	v_mad_i64_i32 v[20:21], s[10:11], v19, s45, 0
	s_waitcnt vmcnt(4)
	v_mad_i64_i32 v[18:19], s[10:11], v18, s45, 0
	v_lshl_or_b32 v32, v22, 5, v28
	v_lshlrev_b64 v[30:31], 1, v[20:21]
	v_lshlrev_b64 v[26:27], 1, v[18:19]
	ds_read_b128 v[22:25], v32
	ds_read_b128 v[18:21], v32 offset:2048
	v_mov_b32_e32 v32, s12
	v_add_co_u32_e32 v30, vcc, s3, v30
	v_addc_co_u32_e32 v31, vcc, v32, v31, vcc
	v_add_co_u32_e32 v36, vcc, v30, v34
	v_addc_co_u32_e32 v37, vcc, v31, v35, vcc
	v_add_co_u32_e32 v44, vcc, v36, v28
	v_addc_co_u32_e32 v45, vcc, 0, v37, vcc
	global_load_dwordx4 v[36:39], v[44:45], off
	v_mov_b32_e32 v40, s12
	v_and_or_b32 v48, v0, 48, s16
	s_ashr_i32 s10, s16, 31
	v_or_b32_e32 v46, 64, v48
	s_lshr_b32 s10, s10, 27
	v_mov_b32_e32 v49, s19
	v_mov_b32_e32 v50, s18
	s_mov_b32 s43, 0xff7fffff
	s_waitcnt vmcnt(4) lgkmcnt(1)
	v_mfma_f32_16x16x16bf16_1k v[30:33], v[2:3], v[22:23], 0
	v_add_co_u32_e32 v2, vcc, s3, v26
	v_addc_co_u32_e32 v3, vcc, v40, v27, vcc
	v_add_u32_e32 v26, s10, v48
	v_ashrrev_i32_e32 v47, 5, v26
	s_add_u32 s3, s14, s8
	s_waitcnt vmcnt(3)
	v_mfma_f32_16x16x16bf16_1k v[40:43], v[10:11], v[22:23], 0
	v_add_co_u32_e32 v11, vcc, v2, v29
	v_addc_co_u32_e32 v27, vcc, 0, v3, vcc
	v_add_u32_e32 v10, s10, v46
	v_ashrrev_i32_e32 v51, 5, v10
	v_add_co_u32_e32 v10, vcc, v11, v28
	v_mfma_f32_16x16x16bf16_1k v[2:5], v[4:5], v[24:25], v[30:33]
	v_addc_co_u32_e32 v11, vcc, 0, v27, vcc
	global_load_dwordx4 v[26:29], v[44:45], off offset:2048
	v_cmp_gt_i32_e32 vcc, s33, v48
	v_cndmask_b32_e32 v44, v49, v47, vcc
	v_ashrrev_i32_e32 v45, 31, v44
	v_cmp_gt_i32_e32 vcc, s33, v46
	s_waitcnt vmcnt(3) lgkmcnt(0)
	v_mfma_f32_16x16x16bf16_1k v[2:5], v[14:15], v[18:19], v[2:5]
	global_load_dwordx4 v[30:33], v[10:11], off
	global_load_dwordx4 v[56:59], v[10:11], off offset:2048
	v_lshlrev_b64 v[10:11], 2, v[44:45]
	v_cndmask_b32_e32 v14, v49, v51, vcc
	v_ashrrev_i32_e32 v15, 31, v14
	s_addc_u32 s8, s15, s9
	v_mfma_f32_16x16x16bf16_1k v[44:47], v[16:17], v[20:21], v[2:5]
	s_nop 6
	v_add_co_u32_e32 v2, vcc, s17, v10
	v_addc_co_u32_e32 v3, vcc, v50, v11, vcc
	global_load_dword v16, v[2:3], off
	v_lshlrev_b64 v[10:11], 2, v[14:15]
	v_mov_b32_e32 v14, s18
	v_add_co_u32_e32 v10, vcc, s17, v10
	v_addc_co_u32_e32 v11, vcc, v14, v11, vcc
	global_load_dword v50, v[10:11], off
	v_mfma_f32_16x16x16bf16_1k v[2:5], v[12:13], v[24:25], v[40:43]
	v_or_b32_e32 v10, 0x80, v48
	v_add_u32_e32 v11, s10, v10
	v_ashrrev_i32_e32 v11, 5, v11
	v_cmp_gt_i32_e32 vcc, s33, v10
	v_cndmask_b32_e32 v10, v49, v11, vcc
	v_ashrrev_i32_e32 v11, 31, v10
	s_waitcnt vmcnt(6)
	v_mfma_f32_16x16x16bf16_1k v[2:5], v[6:7], v[18:19], v[2:5]
	v_lshlrev_b64 v[6:7], 2, v[10:11]
	v_mov_b32_e32 v10, s18
	v_add_co_u32_e32 v6, vcc, s17, v6
	v_addc_co_u32_e32 v7, vcc, v10, v7, vcc
	global_load_dword v51, v[6:7], off
	v_mfma_f32_16x16x16bf16_1k v[40:43], v[8:9], v[20:21], v[2:5]
	v_or_b32_e32 v6, 0xc0, v48
	v_add_u32_e32 v7, s10, v6
	v_ashrrev_i32_e32 v7, 5, v7
	v_cmp_gt_i32_e32 vcc, s33, v6
	v_cndmask_b32_e32 v6, v49, v7, vcc
	v_ashrrev_i32_e32 v7, 31, v6
	v_lshlrev_b64 v[6:7], 2, v[6:7]
	s_waitcnt vmcnt(6)
	v_mfma_f32_16x16x16bf16_1k v[2:5], v[36:37], v[22:23], 0
	v_mov_b32_e32 v8, s18
	v_add_co_u32_e32 v6, vcc, s17, v6
	v_addc_co_u32_e32 v7, vcc, v8, v7, vcc
	global_load_dword v55, v[6:7], off
	v_and_b32_e32 v6, 16, v0
	v_mfma_f32_16x16x16bf16_1k v[2:5], v[38:39], v[24:25], v[2:5]
	v_lshlrev_b32_e32 v6, 1, v6
	v_mov_b32_e32 v7, s8
	v_add_co_u32_e32 v6, vcc, s3, v6
	v_lshlrev_b32_e32 v8, 6, v54
	v_addc_co_u32_e32 v7, vcc, 0, v7, vcc
	s_waitcnt vmcnt(6)
	v_mfma_f32_16x16x16bf16_1k v[2:5], v[26:27], v[18:19], v[2:5]
	v_lshl_or_b32 v8, v53, 10, v8
	v_add_co_u32_e32 v60, vcc, v6, v8
	v_addc_co_u32_e32 v61, vcc, 0, v7, vcc
	v_pk_mul_f32 v[48:49], s[2:3], v[46:47] op_sel_hi:[0,1]
	v_pk_mul_f32 v[40:41], s[2:3], v[40:41] op_sel_hi:[0,1]
	v_mfma_f32_16x16x16bf16_1k v[26:29], v[28:29], v[20:21], v[2:5]
	s_waitcnt vmcnt(3)
	s_nop 5
	v_mad_i64_i32 v[2:3], s[8:9], v16, s45, 0
	v_lshlrev_b64 v[6:7], 1, v[2:3]
	v_mfma_f32_16x16x16bf16_1k v[2:5], v[30:31], v[22:23], 0
	v_add_co_u32_e32 v6, vcc, v60, v6
	v_addc_co_u32_e32 v7, vcc, v61, v7, vcc
	global_load_dwordx4 v[14:17], v[6:7], off
	global_load_dwordx4 v[10:13], v[6:7], off offset:16
	s_waitcnt vmcnt(4)
	v_mad_i64_i32 v[6:7], s[8:9], v50, s45, 0
	v_mfma_f32_16x16x16bf16_1k v[22:25], v[32:33], v[24:25], v[2:5]
	v_pk_mul_f32 v[46:47], s[2:3], v[28:29] op_sel_hi:[0,1]
	v_lshlrev_b64 v[6:7], 1, v[6:7]
	s_waitcnt vmcnt(3)
	v_mad_i64_i32 v[30:31], s[8:9], v51, s45, 0
	v_mfma_f32_16x16x16bf16_1k v[22:25], v[56:57], v[18:19], v[22:25]
	v_pk_mul_f32 v[18:19], s[2:3], v[44:45] op_sel_hi:[0,1]
	v_pk_mul_f32 v[50:51], s[2:3], v[42:43] op_sel_hi:[0,1]
	v_pk_mul_f32 v[42:43], s[2:3], v[26:27] op_sel_hi:[0,1]
	v_add_co_u32_e32 v2, vcc, v60, v6
	v_addc_co_u32_e32 v3, vcc, v61, v7, vcc
	v_mfma_f32_16x16x16bf16_1k v[20:23], v[58:59], v[20:21], v[22:25]
	v_lshlrev_b64 v[30:31], 1, v[30:31]
	v_add_co_u32_e32 v38, vcc, v60, v30
	v_addc_co_u32_e32 v39, vcc, v61, v31, vcc
	global_load_dwordx4 v[6:9], v[2:3], off
	s_nop 0
	global_load_dwordx4 v[2:5], v[2:3], off offset:16
	s_nop 4
	v_pk_mul_f32 v[44:45], s[2:3], v[20:21] op_sel_hi:[0,1]
	v_and_b32_e32 v20, 0xc0, v0
	v_add_u32_e32 v20, s16, v20
	v_lshl_or_b32 v20, v1, 2, v20
	v_pk_mul_f32 v[36:37], s[2:3], v[22:23] op_sel_hi:[0,1]
	v_or_b32_e32 v23, 1, v20
	v_mov_b32_e32 v21, 0xff7fffff
	v_cmp_gt_i32_e64 s[30:31], s33, v20
	v_cmp_gt_i32_e64 s[34:35], s33, v23
	v_cndmask_b32_e64 v22, v21, v18, s[30:31]
	v_cndmask_b32_e64 v23, v21, v19, s[34:35]
	v_max3_f32 v22, v22, s43, v23
	v_or_b32_e32 v23, 2, v20
	v_or_b32_e32 v24, 3, v20
	v_cmp_gt_i32_e64 s[36:37], s33, v23
	v_cmp_gt_i32_e64 s[38:39], s33, v24
	v_cndmask_b32_e64 v23, v21, v48, s[36:37]
	v_cndmask_b32_e64 v24, v21, v49, s[38:39]
	v_max3_f32 v22, v22, v23, v24
	v_or_b32_e32 v23, 16, v20
	v_or_b32_e32 v24, 17, v20
	;; [unrolled: 7-line block ×7, first 2 shown]
	v_cmp_gt_i32_e32 vcc, s33, v23
	v_cmp_gt_i32_e64 s[2:3], s33, v20
	v_cndmask_b32_e32 v23, v21, v36, vcc
	v_cndmask_b32_e64 v20, v21, v37, s[2:3]
	v_max3_f32 v26, v22, v23, v20
	v_mbcnt_lo_u32_b32 v20, -1, 0
	v_mbcnt_hi_u32_b32 v27, -1, v20
	v_and_b32_e32 v20, 64, v27
	v_add_u32_e32 v28, 64, v20
	v_xor_b32_e32 v20, 32, v27
	v_cmp_lt_i32_e64 s[40:41], v20, v28
	v_cndmask_b32_e64 v20, v27, v20, s[40:41]
	v_lshlrev_b32_e32 v56, 2, v20
	ds_bpermute_b32 v29, v56, v26
	s_waitcnt vmcnt(4)
	v_mad_i64_i32 v[20:21], s[40:41], v55, s45, 0
	v_lshlrev_b64 v[20:21], 1, v[20:21]
	global_load_dwordx4 v[30:33], v[38:39], off
	global_load_dwordx4 v[22:25], v[38:39], off offset:16
	s_waitcnt lgkmcnt(0)
	v_max_f32_e32 v29, v29, v29
	v_max_f32_e32 v26, v26, v29
	v_xor_b32_e32 v29, 16, v27
	v_cmp_lt_i32_e64 s[40:41], v29, v28
	v_cndmask_b32_e64 v27, v27, v29, s[40:41]
	v_lshlrev_b32_e32 v58, 2, v27
	ds_bpermute_b32 v27, v58, v26
	v_add_co_u32_e64 v20, s[40:41], v60, v20
	v_addc_co_u32_e64 v21, s[40:41], v61, v21, s[40:41]
	s_waitcnt lgkmcnt(0)
	v_max_f32_e32 v27, v27, v27
	v_max_f32_e32 v55, v26, v27
	v_sub_f32_e32 v18, v18, v55
	v_mul_f32_e32 v18, 0x3fb8aa3b, v18
	v_exp_f32_e32 v38, v18
	v_sub_f32_e32 v18, v19, v55
	v_mul_f32_e32 v18, 0x3fb8aa3b, v18
	v_exp_f32_e32 v39, v18
	global_load_dwordx4 v[26:29], v[20:21], off
	s_nop 0
	global_load_dwordx4 v[18:21], v[20:21], off offset:16
	v_sub_f32_e32 v48, v48, v55
	v_mul_f32_e32 v48, 0x3fb8aa3b, v48
	v_sub_f32_e32 v49, v49, v55
	v_exp_f32_e32 v48, v48
	v_mul_f32_e32 v49, 0x3fb8aa3b, v49
	v_sub_f32_e32 v40, v40, v55
	v_exp_f32_e32 v49, v49
	v_mul_f32_e32 v40, 0x3fb8aa3b, v40
	v_sub_f32_e32 v41, v41, v55
	v_cndmask_b32_e64 v38, 0, v38, s[30:31]
	v_exp_f32_e32 v40, v40
	v_mul_f32_e32 v41, 0x3fb8aa3b, v41
	v_sub_f32_e32 v50, v50, v55
	v_add_f32_e32 v57, 0, v38
	v_cndmask_b32_e64 v39, 0, v39, s[34:35]
	v_exp_f32_e32 v41, v41
	v_mul_f32_e32 v50, 0x3fb8aa3b, v50
	v_sub_f32_e32 v51, v51, v55
	v_add_f32_e32 v57, v57, v39
	;; [unrolled: 5-line block ×10, first 2 shown]
	v_cndmask_b32_e64 v46, 0, v46, s[12:13]
	v_exp_f32_e32 v36, v36
	v_mul_f32_e32 v37, 0x3fb8aa3b, v37
	v_add_f32_e32 v57, v57, v46
	v_cndmask_b32_e64 v47, 0, v47, s[14:15]
	v_exp_f32_e32 v37, v37
	v_add_f32_e32 v57, v57, v47
	v_cndmask_b32_e64 v44, 0, v44, s[8:9]
	v_add_f32_e32 v57, v57, v44
	v_cndmask_b32_e64 v45, 0, v45, s[10:11]
	v_add_f32_e32 v57, v57, v45
	v_cndmask_b32_e32 v36, 0, v36, vcc
	v_add_f32_e32 v57, v57, v36
	v_cndmask_b32_e64 v37, 0, v37, s[2:3]
	v_add_f32_e32 v57, v57, v37
	ds_bpermute_b32 v56, v56, v57
	v_cmp_gt_u32_e32 vcc, 16, v52
	s_waitcnt lgkmcnt(0)
	s_barrier
	v_add_f32_e32 v57, v57, v56
	ds_bpermute_b32 v58, v58, v57
	v_lshlrev_b32_e32 v56, 2, v54
	s_and_saveexec_b64 s[2:3], vcc
	s_cbranch_execz .LBB285_15
; %bb.14:
	s_waitcnt lgkmcnt(0)
	v_add_f32_e32 v57, v57, v58
	v_lshl_or_b32 v58, v53, 6, v56
	ds_write2st64_b32 v58, v55, v57 offset1:1
.LBB285_15:
	s_or_b64 exec, exec, s[2:3]
	s_load_dword s8, s[4:5], 0x94
	s_waitcnt lgkmcnt(0)
	s_barrier
	ds_read2_b32 v[58:59], v56 offset1:16
	ds_read2_b32 v[60:61], v56 offset0:32 offset1:48
	ds_read2_b32 v[62:63], v56 offset0:64 offset1:80
	s_movk_i32 s10, 0x7fff
	s_mov_b32 s11, 0x7060302
	s_waitcnt lgkmcnt(2)
	v_max3_f32 v55, v58, s43, v59
	s_waitcnt lgkmcnt(1)
	v_max3_f32 v55, v55, v60, v61
	v_sub_f32_e32 v57, v58, v55
	v_sub_f32_e32 v58, v59, v55
	v_mul_f32_e32 v58, 0x3fb8aa3b, v58
	v_mul_f32_e32 v57, 0x3fb8aa3b, v57
	v_exp_f32_e32 v64, v58
	v_sub_f32_e32 v58, v60, v55
	v_exp_f32_e32 v57, v57
	v_mul_f32_e32 v58, 0x3fb8aa3b, v58
	v_exp_f32_e32 v60, v58
	ds_read2_b32 v[58:59], v56 offset0:96 offset1:112
	v_sub_f32_e32 v56, v61, v55
	v_mul_f32_e32 v56, 0x3fb8aa3b, v56
	v_exp_f32_e32 v61, v56
	s_waitcnt lgkmcnt(1)
	v_fma_f32 v56, v57, v62, 0
	v_fmac_f32_e32 v56, v64, v63
	s_waitcnt lgkmcnt(0)
	v_fmac_f32_e32 v56, v60, v58
	v_fmac_f32_e32 v56, v61, v59
	v_add_f32_e32 v58, 0x358637bd, v56
	v_div_scale_f32 v59, s[2:3], v58, v58, 1.0
	v_rcp_f32_e32 v62, v59
	s_barrier
	v_fma_f32 v63, -v59, v62, 1.0
	v_fmac_f32_e32 v62, v63, v62
	v_div_scale_f32 v63, vcc, 1.0, v58, 1.0
	v_mul_f32_e32 v65, v63, v62
	v_fma_f32 v66, -v59, v65, v63
	v_fmac_f32_e32 v65, v66, v62
	v_fma_f32 v59, -v59, v65, v63
	v_div_fmas_f32 v59, v59, v62, v65
	v_cmp_eq_u32_e32 vcc, 1, v53
	v_cndmask_b32_e32 v57, v57, v64, vcc
	v_cmp_eq_u32_e32 vcc, 2, v53
	v_cndmask_b32_e32 v57, v57, v60, vcc
	v_cmp_eq_u32_e32 vcc, 3, v53
	v_div_fixup_f32 v58, v59, v58, 1.0
	v_cndmask_b32_e32 v57, v57, v61, vcc
	v_mul_f32_e32 v58, v57, v58
	v_pk_mul_f32 v[38:39], v[58:59], v[38:39] op_sel_hi:[0,1]
	v_pk_mul_f32 v[48:49], v[58:59], v[48:49] op_sel_hi:[0,1]
	v_bfe_u32 v57, v39, 16, 1
	v_bfe_u32 v59, v38, 16, 1
	v_add3_u32 v38, v38, v59, s10
	v_add3_u32 v39, v39, v57, s10
	v_perm_b32 v60, v39, v38, s11
	v_bfe_u32 v38, v49, 16, 1
	v_bfe_u32 v39, v48, 16, 1
	v_add3_u32 v39, v48, v39, s10
	v_add3_u32 v38, v49, v38, s10
	v_perm_b32 v61, v38, v39, s11
	v_lshlrev_b32_e32 v38, 3, v1
	v_lshlrev_b32_e32 v39, 5, v54
	;; [unrolled: 1-line block ×3, first 2 shown]
	v_pk_mul_f32 v[40:41], v[58:59], v[40:41] op_sel_hi:[0,1]
	v_or3_b32 v38, v48, v39, v38
	v_pk_mul_f32 v[48:49], v[58:59], v[50:51] op_sel_hi:[0,1]
	v_bfe_u32 v50, v41, 16, 1
	v_bfe_u32 v51, v40, 16, 1
	v_add3_u32 v40, v40, v51, s10
	v_add3_u32 v41, v41, v50, s10
	v_perm_b32 v40, v41, v40, s11
	v_bfe_u32 v41, v49, 16, 1
	v_bfe_u32 v50, v48, 16, 1
	v_add3_u32 v48, v48, v50, s10
	v_add3_u32 v41, v49, v41, s10
	v_perm_b32 v41, v41, v48, s11
	v_pk_mul_f32 v[42:43], v[58:59], v[42:43] op_sel_hi:[0,1]
	ds_write2st64_b64 v38, v[60:61], v[40:41] offset1:1
	v_pk_mul_f32 v[40:41], v[58:59], v[46:47] op_sel_hi:[0,1]
	v_bfe_u32 v46, v43, 16, 1
	v_bfe_u32 v47, v42, 16, 1
	v_add3_u32 v42, v42, v47, s10
	v_add3_u32 v43, v43, v46, s10
	v_perm_b32 v42, v43, v42, s11
	v_bfe_u32 v43, v41, 16, 1
	v_bfe_u32 v46, v40, 16, 1
	v_add3_u32 v40, v40, v46, s10
	v_add3_u32 v41, v41, v43, s10
	v_perm_b32 v43, v41, v40, s11
	v_pk_mul_f32 v[40:41], v[58:59], v[44:45] op_sel_hi:[0,1]
	v_bfe_u32 v44, v41, 16, 1
	v_bfe_u32 v45, v40, 16, 1
	v_pk_mul_f32 v[36:37], v[58:59], v[36:37] op_sel_hi:[0,1]
	v_add3_u32 v40, v40, v45, s10
	v_add3_u32 v41, v41, v44, s10
	v_perm_b32 v40, v41, v40, s11
	v_bfe_u32 v41, v37, 16, 1
	v_bfe_u32 v44, v36, 16, 1
	v_add3_u32 v36, v36, v44, s10
	v_add3_u32 v37, v37, v41, s10
	s_lshl_b32 s9, s42, 1
	v_perm_b32 v41, v37, v36, s11
	v_cmp_gt_u32_e32 vcc, 2, v0
	ds_write2st64_b64 v38, v[42:43], v[40:41] offset0:2 offset1:3
	s_and_saveexec_b64 s[2:3], vcc
	s_cbranch_execz .LBB285_17
; %bb.16:
	v_or_b32_e32 v36, s29, v0
	v_mov_b32_e32 v37, 0
	v_mov_b32_e32 v40, s9
	v_mad_u64_u32 v[40:41], s[16:17], s6, v40, v[36:37]
	v_mov_b32_e32 v36, s28
	s_load_dwordx4 s[12:15], s[4:5], 0x58
	s_mul_i32 s7, s7, s9
	v_mad_u64_u32 v[36:37], s[16:17], v40, s8, v[36:37]
	v_add_u32_e32 v41, s7, v41
	v_mov_b32_e32 v40, v37
	v_mad_u64_u32 v[40:41], s[16:17], v41, s8, v[40:41]
	v_mov_b32_e32 v37, v40
	v_lshlrev_b64 v[36:37], 2, v[36:37]
	s_waitcnt lgkmcnt(0)
	v_mov_b32_e32 v41, s15
	v_add_co_u32_e32 v40, vcc, s14, v36
	v_addc_co_u32_e32 v41, vcc, v41, v37, vcc
	global_store_dword v[40:41], v55, off
	v_mov_b32_e32 v40, s13
	v_add_co_u32_e32 v36, vcc, s12, v36
	v_addc_co_u32_e32 v37, vcc, v40, v37, vcc
	global_store_dword v[36:37], v56, off
.LBB285_17:
	s_or_b64 exec, exec, s[2:3]
	v_lshl_or_b32 v36, v1, 9, v39
	s_waitcnt lgkmcnt(0)
	s_barrier
	ds_read_b128 v[40:43], v36
	ds_read_b128 v[44:47], v36 offset:16
	s_waitcnt vmcnt(7) lgkmcnt(1)
	v_mfma_f32_16x16x16bf16_1k v[48:51], v[14:15], v[40:41], 0
	v_cmp_gt_u32_e32 vcc, 64, v0
	v_cmp_gt_u32_e64 s[2:3], 32, v52
	s_and_b64 s[2:3], s[2:3], vcc
	s_mov_b32 s7, 0
	s_and_b64 s[0:1], s[2:3], s[0:1]
	v_mfma_f32_16x16x16bf16_1k v[14:17], v[16:17], v[42:43], v[48:51]
	s_waitcnt vmcnt(6) lgkmcnt(0)
	v_mfma_f32_16x16x16bf16_1k v[14:17], v[10:11], v[44:45], v[14:17]
	v_mfma_f32_16x16x16bf16_1k v[10:13], v[12:13], v[46:47], v[14:17]
	s_nop 7
	s_nop 1
	ds_read_b128 v[14:17], v36 offset:2048
	ds_read_b128 v[40:43], v36 offset:2064
	s_waitcnt vmcnt(5) lgkmcnt(1)
	v_mfma_f32_16x16x16bf16_1k v[10:13], v[6:7], v[14:15], v[10:13]
	v_mfma_f32_16x16x16bf16_1k v[6:9], v[8:9], v[16:17], v[10:13]
	s_waitcnt vmcnt(4) lgkmcnt(0)
	v_mfma_f32_16x16x16bf16_1k v[6:9], v[2:3], v[40:41], v[6:9]
	v_mfma_f32_16x16x16bf16_1k v[2:5], v[4:5], v[42:43], v[6:9]
	s_nop 7
	s_nop 1
	ds_read_b128 v[6:9], v36 offset:4096
	ds_read_b128 v[10:13], v36 offset:4112
	s_waitcnt vmcnt(3) lgkmcnt(1)
	v_mfma_f32_16x16x16bf16_1k v[2:5], v[30:31], v[6:7], v[2:5]
	v_mfma_f32_16x16x16bf16_1k v[2:5], v[32:33], v[8:9], v[2:5]
	s_waitcnt vmcnt(2) lgkmcnt(0)
	v_mfma_f32_16x16x16bf16_1k v[2:5], v[22:23], v[10:11], v[2:5]
	v_mfma_f32_16x16x16bf16_1k v[2:5], v[24:25], v[12:13], v[2:5]
	ds_read_b128 v[6:9], v36 offset:6144
	ds_read_b128 v[10:13], v36 offset:6160
	s_waitcnt lgkmcnt(0)
	s_barrier
	s_waitcnt vmcnt(1)
	v_mfma_f32_16x16x16bf16_1k v[2:5], v[26:27], v[6:7], v[2:5]
	v_mfma_f32_16x16x16bf16_1k v[2:5], v[28:29], v[8:9], v[2:5]
	s_waitcnt vmcnt(0)
	v_mfma_f32_16x16x16bf16_1k v[2:5], v[18:19], v[10:11], v[2:5]
	v_mfma_f32_16x16x16bf16_1k v[2:5], v[20:21], v[12:13], v[2:5]
	s_nop 7
	s_nop 2
	v_bfe_u32 v6, v3, 16, 1
	v_bfe_u32 v7, v2, 16, 1
	;; [unrolled: 1-line block ×4, first 2 shown]
	v_add3_u32 v2, v2, v7, s10
	v_add3_u32 v3, v3, v6, s10
	;; [unrolled: 1-line block ×4, first 2 shown]
	v_perm_b32 v2, v3, v2, s11
	v_perm_b32 v3, v5, v4, s11
	ds_write_b64 v38, v[2:3]
	s_waitcnt lgkmcnt(0)
	s_barrier
	s_and_saveexec_b64 s[2:3], s[0:1]
	s_cbranch_execz .LBB285_19
; %bb.18:
	s_load_dwordx2 s[0:1], s[4:5], 0x68
	s_mul_i32 s2, s9, s6
	s_lshl_b32 s4, s8, 6
	s_mul_hi_u32 s3, s2, s4
	s_mul_i32 s2, s2, s4
	s_lshl_b64 s[2:3], s[2:3], 1
	v_lshlrev_b32_e32 v2, 10, v0
	v_lshlrev_b32_e32 v0, 4, v0
	s_waitcnt lgkmcnt(0)
	s_add_u32 s2, s0, s2
	v_and_b32_e32 v2, 0x1800, v2
	v_lshlrev_b32_e32 v3, 5, v1
	v_and_b32_e32 v0, 16, v0
	s_addc_u32 s3, s1, s3
	s_lshl_b32 s6, s28, 6
	v_or3_b32 v0, v2, v3, v0
	s_lshl_b64 s[0:1], s[6:7], 1
	ds_read_b128 v[2:5], v0
	s_add_u32 s2, s2, s0
	v_or_b32_e32 v0, s29, v1
	s_addc_u32 s3, s3, s1
	v_mad_u64_u32 v[0:1], s[0:1], s4, v0, 0
	v_lshlrev_b64 v[0:1], 1, v[0:1]
	v_mov_b32_e32 v6, s3
	v_add_co_u32_e32 v0, vcc, s2, v0
	v_addc_co_u32_e32 v1, vcc, v6, v1, vcc
	v_add_co_u32_e32 v0, vcc, v0, v34
	v_addc_co_u32_e32 v1, vcc, v1, v35, vcc
	s_waitcnt lgkmcnt(0)
	global_store_dwordx4 v[0:1], v[2:5], off
.LBB285_19:
	s_endpgm
	.section	.rodata,"a",@progbits
	.p2align	6, 0x0
	.amdhsa_kernel _Z39paged_attention_ll4mi_QKV_mfma16_kernelI14__hip_bfloat16S0_LN4vllm18Fp8KVCacheDataTypeE0ES0_Li32ELi64ELi256ELb0ELi2EL8MFMAType0EEvPKT_PKT0_S9_ifPKiSB_SB_iPKfiiiPfSE_PS4_PT2_iSD_SD_
		.amdhsa_group_segment_fixed_size 8192
		.amdhsa_private_segment_fixed_size 0
		.amdhsa_kernarg_size 400
		.amdhsa_user_sgpr_count 6
		.amdhsa_user_sgpr_private_segment_buffer 1
		.amdhsa_user_sgpr_dispatch_ptr 0
		.amdhsa_user_sgpr_queue_ptr 0
		.amdhsa_user_sgpr_kernarg_segment_ptr 1
		.amdhsa_user_sgpr_dispatch_id 0
		.amdhsa_user_sgpr_flat_scratch_init 0
		.amdhsa_user_sgpr_kernarg_preload_length 0
		.amdhsa_user_sgpr_kernarg_preload_offset 0
		.amdhsa_user_sgpr_private_segment_size 0
		.amdhsa_uses_dynamic_stack 0
		.amdhsa_system_sgpr_private_segment_wavefront_offset 0
		.amdhsa_system_sgpr_workgroup_id_x 1
		.amdhsa_system_sgpr_workgroup_id_y 1
		.amdhsa_system_sgpr_workgroup_id_z 1
		.amdhsa_system_sgpr_workgroup_info 0
		.amdhsa_system_vgpr_workitem_id 0
		.amdhsa_next_free_vgpr 67
		.amdhsa_next_free_sgpr 48
		.amdhsa_accum_offset 68
		.amdhsa_reserve_vcc 1
		.amdhsa_reserve_flat_scratch 0
		.amdhsa_float_round_mode_32 0
		.amdhsa_float_round_mode_16_64 0
		.amdhsa_float_denorm_mode_32 3
		.amdhsa_float_denorm_mode_16_64 3
		.amdhsa_dx10_clamp 1
		.amdhsa_ieee_mode 1
		.amdhsa_fp16_overflow 0
		.amdhsa_tg_split 0
		.amdhsa_exception_fp_ieee_invalid_op 0
		.amdhsa_exception_fp_denorm_src 0
		.amdhsa_exception_fp_ieee_div_zero 0
		.amdhsa_exception_fp_ieee_overflow 0
		.amdhsa_exception_fp_ieee_underflow 0
		.amdhsa_exception_fp_ieee_inexact 0
		.amdhsa_exception_int_div_zero 0
	.end_amdhsa_kernel
	.section	.text._Z39paged_attention_ll4mi_QKV_mfma16_kernelI14__hip_bfloat16S0_LN4vllm18Fp8KVCacheDataTypeE0ES0_Li32ELi64ELi256ELb0ELi2EL8MFMAType0EEvPKT_PKT0_S9_ifPKiSB_SB_iPKfiiiPfSE_PS4_PT2_iSD_SD_,"axG",@progbits,_Z39paged_attention_ll4mi_QKV_mfma16_kernelI14__hip_bfloat16S0_LN4vllm18Fp8KVCacheDataTypeE0ES0_Li32ELi64ELi256ELb0ELi2EL8MFMAType0EEvPKT_PKT0_S9_ifPKiSB_SB_iPKfiiiPfSE_PS4_PT2_iSD_SD_,comdat
.Lfunc_end285:
	.size	_Z39paged_attention_ll4mi_QKV_mfma16_kernelI14__hip_bfloat16S0_LN4vllm18Fp8KVCacheDataTypeE0ES0_Li32ELi64ELi256ELb0ELi2EL8MFMAType0EEvPKT_PKT0_S9_ifPKiSB_SB_iPKfiiiPfSE_PS4_PT2_iSD_SD_, .Lfunc_end285-_Z39paged_attention_ll4mi_QKV_mfma16_kernelI14__hip_bfloat16S0_LN4vllm18Fp8KVCacheDataTypeE0ES0_Li32ELi64ELi256ELb0ELi2EL8MFMAType0EEvPKT_PKT0_S9_ifPKiSB_SB_iPKfiiiPfSE_PS4_PT2_iSD_SD_
                                        ; -- End function
	.section	.AMDGPU.csdata,"",@progbits
; Kernel info:
; codeLenInByte = 4248
; NumSgprs: 52
; NumVgprs: 67
; NumAgprs: 0
; TotalNumVgprs: 67
; ScratchSize: 0
; MemoryBound: 0
; FloatMode: 240
; IeeeMode: 1
; LDSByteSize: 8192 bytes/workgroup (compile time only)
; SGPRBlocks: 6
; VGPRBlocks: 8
; NumSGPRsForWavesPerEU: 52
; NumVGPRsForWavesPerEU: 67
; AccumOffset: 68
; Occupancy: 7
; WaveLimiterHint : 1
; COMPUTE_PGM_RSRC2:SCRATCH_EN: 0
; COMPUTE_PGM_RSRC2:USER_SGPR: 6
; COMPUTE_PGM_RSRC2:TRAP_HANDLER: 0
; COMPUTE_PGM_RSRC2:TGID_X_EN: 1
; COMPUTE_PGM_RSRC2:TGID_Y_EN: 1
; COMPUTE_PGM_RSRC2:TGID_Z_EN: 1
; COMPUTE_PGM_RSRC2:TIDIG_COMP_CNT: 0
; COMPUTE_PGM_RSRC3_GFX90A:ACCUM_OFFSET: 16
; COMPUTE_PGM_RSRC3_GFX90A:TG_SPLIT: 0
	.section	.text._Z39paged_attention_ll4mi_QKV_mfma16_kernelI14__hip_bfloat16S0_LN4vllm18Fp8KVCacheDataTypeE0ES0_Li32ELi64ELi256ELb0ELi3EL8MFMAType0EEvPKT_PKT0_S9_ifPKiSB_SB_iPKfiiiPfSE_PS4_PT2_iSD_SD_,"axG",@progbits,_Z39paged_attention_ll4mi_QKV_mfma16_kernelI14__hip_bfloat16S0_LN4vllm18Fp8KVCacheDataTypeE0ES0_Li32ELi64ELi256ELb0ELi3EL8MFMAType0EEvPKT_PKT0_S9_ifPKiSB_SB_iPKfiiiPfSE_PS4_PT2_iSD_SD_,comdat
	.protected	_Z39paged_attention_ll4mi_QKV_mfma16_kernelI14__hip_bfloat16S0_LN4vllm18Fp8KVCacheDataTypeE0ES0_Li32ELi64ELi256ELb0ELi3EL8MFMAType0EEvPKT_PKT0_S9_ifPKiSB_SB_iPKfiiiPfSE_PS4_PT2_iSD_SD_ ; -- Begin function _Z39paged_attention_ll4mi_QKV_mfma16_kernelI14__hip_bfloat16S0_LN4vllm18Fp8KVCacheDataTypeE0ES0_Li32ELi64ELi256ELb0ELi3EL8MFMAType0EEvPKT_PKT0_S9_ifPKiSB_SB_iPKfiiiPfSE_PS4_PT2_iSD_SD_
	.globl	_Z39paged_attention_ll4mi_QKV_mfma16_kernelI14__hip_bfloat16S0_LN4vllm18Fp8KVCacheDataTypeE0ES0_Li32ELi64ELi256ELb0ELi3EL8MFMAType0EEvPKT_PKT0_S9_ifPKiSB_SB_iPKfiiiPfSE_PS4_PT2_iSD_SD_
	.p2align	8
	.type	_Z39paged_attention_ll4mi_QKV_mfma16_kernelI14__hip_bfloat16S0_LN4vllm18Fp8KVCacheDataTypeE0ES0_Li32ELi64ELi256ELb0ELi3EL8MFMAType0EEvPKT_PKT0_S9_ifPKiSB_SB_iPKfiiiPfSE_PS4_PT2_iSD_SD_,@function
_Z39paged_attention_ll4mi_QKV_mfma16_kernelI14__hip_bfloat16S0_LN4vllm18Fp8KVCacheDataTypeE0ES0_Li32ELi64ELi256ELb0ELi3EL8MFMAType0EEvPKT_PKT0_S9_ifPKiSB_SB_iPKfiiiPfSE_PS4_PT2_iSD_SD_: ; @_Z39paged_attention_ll4mi_QKV_mfma16_kernelI14__hip_bfloat16S0_LN4vllm18Fp8KVCacheDataTypeE0ES0_Li32ELi64ELi256ELb0ELi3EL8MFMAType0EEvPKT_PKT0_S9_ifPKiSB_SB_iPKfiiiPfSE_PS4_PT2_iSD_SD_
; %bb.0:
	s_load_dwordx2 s[0:1], s[4:5], 0x30
	s_mov_b32 s28, s7
	s_mov_b64 s[10:11], 0
	s_waitcnt lgkmcnt(0)
	s_cmp_lg_u64 s[0:1], 0
	s_cselect_b64 s[2:3], -1, 0
	s_and_b64 vcc, exec, s[2:3]
	s_cbranch_vccz .LBB286_7
; %bb.1:
	s_add_i32 s12, s6, 1
	s_mov_b32 s13, 0
	s_lshl_b64 s[14:15], s[12:13], 2
	s_add_u32 s14, s0, s14
	s_mov_b32 s7, s13
	s_addc_u32 s15, s1, s15
	s_lshl_b64 s[12:13], s[6:7], 2
	s_add_u32 s12, s0, s12
	s_addc_u32 s13, s1, s13
	s_load_dword s9, s[14:15], 0x0
	s_load_dword s16, s[12:13], 0x0
	s_waitcnt lgkmcnt(0)
	s_sub_i32 s9, s9, s16
	s_cmp_eq_u32 s9, 1
	s_cselect_b64 s[12:13], -1, 0
	s_andn2_b64 vcc, exec, s[10:11]
	s_cbranch_vccnz .LBB286_3
.LBB286_2:
	s_mov_b32 s7, 0
	s_mov_b64 s[12:13], -1
.LBB286_3:
	s_andn2_b64 vcc, exec, s[12:13]
	s_cbranch_vccnz .LBB286_19
; %bb.4:
	s_load_dwordx2 s[12:13], s[4:5], 0x28
	s_lshl_b64 s[10:11], s[6:7], 2
	s_waitcnt lgkmcnt(0)
	s_add_u32 s12, s12, s10
	s_addc_u32 s13, s13, s11
	s_load_dword s33, s[12:13], 0x0
	s_lshl_b32 s16, s28, 8
	s_waitcnt lgkmcnt(0)
	s_cmp_ge_i32 s16, s33
	s_cbranch_scc1 .LBB286_19
; %bb.5:
	s_add_i32 s14, s33, 31
	s_load_dwordx2 s[12:13], s[4:5], 0x20
	s_load_dword s9, s[4:5], 0x38
	s_ashr_i32 s15, s14, 31
	v_and_b32_e32 v1, 0xcf, v0
	s_lshr_b32 s15, s15, 27
	v_add_u32_e32 v1, s16, v1
	s_add_i32 s14, s14, s15
	v_ashrrev_i32_e32 v2, 31, v1
	s_ashr_i32 s19, s14, 5
	v_lshrrev_b32_e32 v6, 27, v2
	s_add_i32 s19, s19, -1
	v_add_u32_e32 v2, v1, v6
	s_waitcnt lgkmcnt(0)
	s_mul_i32 s14, s6, s9
	s_mov_b32 s15, 0
	v_ashrrev_i32_e32 v2, 5, v2
	v_mov_b32_e32 v7, s19
	v_cmp_gt_i32_e32 vcc, s33, v1
	s_lshl_b64 s[14:15], s[14:15], 2
	v_cndmask_b32_e32 v2, v7, v2, vcc
	s_add_u32 s17, s12, s14
	v_ashrrev_i32_e32 v3, 31, v2
	s_addc_u32 s18, s13, s15
	v_lshlrev_b64 v[2:3], 2, v[2:3]
	v_mov_b32_e32 v4, s18
	v_add_co_u32_e32 v2, vcc, s17, v2
	v_addc_co_u32_e32 v3, vcc, v4, v3, vcc
	v_or_b32_e32 v4, 16, v1
	v_add_u32_e32 v5, v4, v6
	v_ashrrev_i32_e32 v5, 5, v5
	v_cmp_gt_i32_e32 vcc, s33, v4
	v_cndmask_b32_e32 v4, v7, v5, vcc
	v_ashrrev_i32_e32 v5, 31, v4
	v_lshlrev_b64 v[4:5], 2, v[4:5]
	v_mov_b32_e32 v9, s18
	v_add_co_u32_e32 v8, vcc, s17, v4
	v_or_b32_e32 v4, 32, v1
	v_addc_co_u32_e32 v9, vcc, v9, v5, vcc
	v_add_u32_e32 v5, v4, v6
	v_ashrrev_i32_e32 v5, 5, v5
	v_cmp_gt_i32_e32 vcc, s33, v4
	v_cndmask_b32_e32 v4, v7, v5, vcc
	v_ashrrev_i32_e32 v5, 31, v4
	v_lshlrev_b64 v[4:5], 2, v[4:5]
	v_mov_b32_e32 v11, s18
	v_add_co_u32_e32 v10, vcc, s17, v4
	v_or_b32_e32 v1, 48, v1
	v_addc_co_u32_e32 v11, vcc, v11, v5, vcc
	v_add_u32_e32 v4, v1, v6
	v_ashrrev_i32_e32 v4, 5, v4
	v_cmp_gt_i32_e32 vcc, s33, v1
	v_cndmask_b32_e32 v4, v7, v4, vcc
	v_ashrrev_i32_e32 v5, 31, v4
	v_lshlrev_b64 v[4:5], 2, v[4:5]
	v_mov_b32_e32 v1, s18
	v_add_co_u32_e32 v12, vcc, s17, v4
	v_addc_co_u32_e32 v13, vcc, v1, v5, vcc
	global_load_dword v4, v[2:3], off
	global_load_dword v6, v[8:9], off
	;; [unrolled: 1-line block ×4, first 2 shown]
	s_andn2_b64 vcc, exec, s[2:3]
	s_cbranch_vccnz .LBB286_8
; %bb.6:
	s_add_u32 s0, s0, s10
	s_addc_u32 s1, s1, s11
	s_load_dword s9, s[0:1], 0x0
	s_branch .LBB286_9
.LBB286_7:
	s_mov_b64 s[12:13], 0
	s_branch .LBB286_2
.LBB286_8:
	s_mov_b32 s9, s6
.LBB286_9:
	s_load_dwordx4 s[12:15], s[4:5], 0x8
	s_load_dwordx4 s[44:47], s[4:5], 0x48
	v_lshrrev_b32_e32 v54, 6, v0
	v_bfe_u32 v1, v0, 4, 2
	v_lshl_or_b32 v5, v54, 2, v1
	v_and_b32_e32 v53, 15, v0
	v_cmp_lt_u32_e32 vcc, 2, v5
	v_cmp_lt_u32_e64 s[2:3], 7, v53
	s_mul_i32 s29, s8, 3
	v_lshlrev_b32_e32 v2, 3, v53
	v_cmp_gt_u32_e64 s[0:1], 8, v53
	s_or_b64 s[2:3], s[2:3], vcc
	s_and_saveexec_b64 s[10:11], s[2:3]
	s_xor_b64 s[2:3], exec, s[10:11]
; %bb.10:
	v_mov_b32_e32 v3, 0
                                        ; implicit-def: $vgpr5
; %bb.11:
	s_or_saveexec_b64 s[2:3], s[2:3]
	v_and_b32_e32 v55, 63, v0
	v_add_u32_e32 v52, s29, v1
	s_xor_b64 exec, exec, s[2:3]
	s_cbranch_execz .LBB286_13
; %bb.12:
	s_load_dwordx2 s[10:11], s[4:5], 0x0
	s_waitcnt lgkmcnt(0)
	s_ashr_i32 s20, s44, 31
	s_mul_hi_u32 s21, s9, s44
	s_mul_i32 s20, s9, s20
	s_add_i32 s21, s21, s20
	s_mul_i32 s20, s9, s44
	s_lshl_b64 s[20:21], s[20:21], 1
	v_lshlrev_b32_e32 v8, 6, v52
	s_add_u32 s9, s10, s20
	v_ashrrev_i32_e32 v9, 31, v8
	s_addc_u32 s10, s11, s21
	v_lshlrev_b64 v[8:9], 1, v[8:9]
	v_mov_b32_e32 v3, s10
	v_add_co_u32_e32 v7, vcc, s9, v8
	v_addc_co_u32_e32 v3, vcc, v3, v9, vcc
	v_lshlrev_b32_e32 v8, 1, v2
	v_add_co_u32_e32 v8, vcc, v7, v8
	v_addc_co_u32_e32 v9, vcc, 0, v3, vcc
	global_load_dwordx4 v[8:11], v[8:9], off
	v_and_b32_e32 v7, 3, v0
	v_lshlrev_b32_e32 v12, 9, v53
	v_lshlrev_b32_e32 v5, 5, v5
	;; [unrolled: 1-line block ×3, first 2 shown]
	v_and_b32_e32 v12, 0x1800, v12
	v_mov_b32_e32 v3, 0
	v_or3_b32 v5, v12, v7, v5
	s_waitcnt vmcnt(0)
	ds_write_b128 v5, v[8:11]
.LBB286_13:
	s_or_b64 exec, exec, s[2:3]
	s_waitcnt lgkmcnt(0)
	s_mul_i32 s8, s8, s46
	s_mov_b32 s9, 0
	s_lshl_b64 s[8:9], s[8:9], 1
	s_add_u32 s3, s12, s8
	s_waitcnt vmcnt(3)
	v_mad_i64_i32 v[4:5], s[10:11], v4, s45, 0
	s_addc_u32 s12, s13, s9
	v_lshlrev_b64 v[4:5], 1, v[4:5]
	v_mov_b32_e32 v7, s12
	v_add_co_u32_e32 v4, vcc, s3, v4
	v_addc_co_u32_e32 v5, vcc, v7, v5, vcc
	v_lshlrev_b64 v[34:35], 1, v[2:3]
	v_add_co_u32_e32 v2, vcc, v4, v34
	v_lshlrev_b32_e32 v28, 9, v1
	v_addc_co_u32_e32 v3, vcc, v5, v35, vcc
	v_add_co_u32_e32 v8, vcc, v2, v28
	s_waitcnt vmcnt(2)
	v_mad_i64_i32 v[6:7], s[10:11], v6, s45, 0
	v_addc_co_u32_e32 v9, vcc, 0, v3, vcc
	v_lshlrev_b64 v[6:7], 1, v[6:7]
	s_load_dword s42, s[4:5], 0x98
	s_load_dword s2, s[4:5], 0x1c
	s_waitcnt lgkmcnt(0)
	s_barrier
	global_load_dwordx4 v[2:5], v[8:9], off
	v_mov_b32_e32 v10, s12
	v_add_co_u32_e32 v6, vcc, s3, v6
	v_addc_co_u32_e32 v7, vcc, v10, v7, vcc
	v_mov_b32_e32 v10, 0x100
	v_lshl_or_b32 v29, v53, 4, v10
	v_add_co_u32_e32 v6, vcc, v6, v29
	v_addc_co_u32_e32 v7, vcc, 0, v7, vcc
	v_add_co_u32_e32 v6, vcc, v6, v28
	v_addc_co_u32_e32 v7, vcc, 0, v7, vcc
	global_load_dwordx4 v[10:13], v[6:7], off
	global_load_dwordx4 v[14:17], v[8:9], off offset:2048
	s_waitcnt vmcnt(4)
	v_mad_i64_i32 v[20:21], s[10:11], v19, s45, 0
	global_load_dwordx4 v[6:9], v[6:7], off offset:2048
	v_lshlrev_b64 v[32:33], 1, v[20:21]
	v_mov_b32_e32 v36, s12
	v_add_co_u32_e32 v32, vcc, s3, v32
	v_mul_lo_u16_e32 v22, 0x56, v53
	v_mov_b32_e32 v23, 3
	v_addc_co_u32_e32 v33, vcc, v36, v33, vcc
	s_waitcnt vmcnt(4)
	v_mad_i64_i32 v[18:19], s[10:11], v18, s45, 0
	v_mul_lo_u16_sdwa v22, v22, v23 dst_sel:DWORD dst_unused:UNUSED_PAD src0_sel:BYTE_1 src1_sel:DWORD
	v_add_co_u32_e32 v32, vcc, v32, v34
	v_lshlrev_b64 v[26:27], 1, v[18:19]
	v_sub_u16_e32 v18, v53, v22
	v_addc_co_u32_e32 v33, vcc, v33, v35, vcc
	v_and_b32_e32 v18, 0xff, v18
	v_add_co_u32_e32 v32, vcc, v32, v28
	v_lshl_add_u32 v18, v18, 5, v28
	v_addc_co_u32_e32 v33, vcc, 0, v33, vcc
	ds_read_b128 v[22:25], v18
	ds_read_b128 v[18:21], v18 offset:2048
	global_load_dwordx4 v[40:43], v[32:33], off
	v_mov_b32_e32 v44, s12
	s_ashr_i32 s10, s16, 31
	v_and_or_b32 v31, v0, 48, s16
	s_lshr_b32 s10, s10, 27
	v_mov_b32_e32 v30, s19
	v_mov_b32_e32 v50, s18
	v_or_b32_e32 v51, 64, v31
	v_add_u32_e32 v64, s10, v51
	s_mov_b32 s43, 0xff7fffff
	s_waitcnt vmcnt(4) lgkmcnt(1)
	v_mfma_f32_16x16x16bf16_1k v[36:39], v[2:3], v[22:23], 0
	v_add_co_u32_e32 v2, vcc, s3, v26
	v_addc_co_u32_e32 v3, vcc, v44, v27, vcc
	s_add_u32 s3, s14, s8
	s_addc_u32 s8, s15, s9
	s_waitcnt vmcnt(3)
	v_mfma_f32_16x16x16bf16_1k v[44:47], v[10:11], v[22:23], 0
	v_add_co_u32_e32 v11, vcc, v2, v29
	v_add_u32_e32 v10, s10, v31
	v_addc_co_u32_e32 v26, vcc, 0, v3, vcc
	v_ashrrev_i32_e32 v27, 5, v10
	v_add_co_u32_e32 v10, vcc, v11, v28
	v_addc_co_u32_e32 v11, vcc, 0, v26, vcc
	v_cmp_gt_i32_e32 vcc, s33, v31
	v_cndmask_b32_e32 v48, v30, v27, vcc
	global_load_dwordx4 v[26:29], v[32:33], off offset:2048
	v_mfma_f32_16x16x16bf16_1k v[2:5], v[4:5], v[24:25], v[36:39]
	v_ashrrev_i32_e32 v49, 31, v48
	s_nop 5
	global_load_dwordx4 v[36:39], v[10:11], off
	global_load_dwordx4 v[56:59], v[10:11], off offset:2048
	v_lshlrev_b64 v[10:11], 2, v[48:49]
	v_add_co_u32_e32 v10, vcc, s17, v10
	v_addc_co_u32_e32 v11, vcc, v50, v11, vcc
	s_waitcnt vmcnt(5) lgkmcnt(0)
	v_mfma_f32_16x16x16bf16_1k v[2:5], v[14:15], v[18:19], v[2:5]
	global_load_dword v14, v[10:11], off
	v_cmp_gt_i32_e32 vcc, s33, v51
	v_mov_b32_e32 v15, s18
	v_mfma_f32_16x16x16bf16_1k v[60:63], v[16:17], v[20:21], v[2:5]
	s_nop 6
	v_ashrrev_i32_e32 v2, 5, v64
	v_cndmask_b32_e32 v2, v30, v2, vcc
	v_ashrrev_i32_e32 v3, 31, v2
	v_lshlrev_b64 v[10:11], 2, v[2:3]
	v_mfma_f32_16x16x16bf16_1k v[2:5], v[12:13], v[24:25], v[44:47]
	v_add_co_u32_e32 v10, vcc, s17, v10
	v_addc_co_u32_e32 v11, vcc, v15, v11, vcc
	global_load_dword v32, v[10:11], off
	v_or_b32_e32 v10, 0x80, v31
	v_add_u32_e32 v11, s10, v10
	v_ashrrev_i32_e32 v11, 5, v11
	v_cmp_gt_i32_e32 vcc, s33, v10
	s_waitcnt vmcnt(6)
	v_mfma_f32_16x16x16bf16_1k v[2:5], v[6:7], v[18:19], v[2:5]
	v_cndmask_b32_e32 v10, v30, v11, vcc
	v_ashrrev_i32_e32 v11, 31, v10
	v_lshlrev_b64 v[6:7], 2, v[10:11]
	v_mov_b32_e32 v10, s18
	v_add_co_u32_e32 v6, vcc, s17, v6
	v_addc_co_u32_e32 v7, vcc, v10, v7, vcc
	global_load_dword v33, v[6:7], off
	v_mfma_f32_16x16x16bf16_1k v[44:47], v[8:9], v[20:21], v[2:5]
	v_or_b32_e32 v6, 0xc0, v31
	v_add_u32_e32 v7, s10, v6
	v_ashrrev_i32_e32 v7, 5, v7
	v_cmp_gt_i32_e32 vcc, s33, v6
	v_cndmask_b32_e32 v6, v30, v7, vcc
	v_ashrrev_i32_e32 v7, 31, v6
	v_lshlrev_b64 v[6:7], 2, v[6:7]
	s_waitcnt vmcnt(6)
	v_mfma_f32_16x16x16bf16_1k v[2:5], v[40:41], v[22:23], 0
	v_mov_b32_e32 v8, s18
	v_add_co_u32_e32 v6, vcc, s17, v6
	v_addc_co_u32_e32 v7, vcc, v8, v7, vcc
	global_load_dword v64, v[6:7], off
	v_and_b32_e32 v6, 16, v0
	v_mfma_f32_16x16x16bf16_1k v[2:5], v[42:43], v[24:25], v[2:5]
	v_lshlrev_b32_e32 v6, 1, v6
	v_mov_b32_e32 v7, s8
	v_add_co_u32_e32 v6, vcc, s3, v6
	v_lshlrev_b32_e32 v8, 6, v53
	v_addc_co_u32_e32 v7, vcc, 0, v7, vcc
	s_waitcnt vmcnt(6)
	v_mfma_f32_16x16x16bf16_1k v[2:5], v[26:27], v[18:19], v[2:5]
	v_lshl_or_b32 v8, v54, 10, v8
	v_add_co_u32_e32 v65, vcc, v6, v8
	v_addc_co_u32_e32 v66, vcc, 0, v7, vcc
	v_pk_mul_f32 v[40:41], s[2:3], v[44:45] op_sel_hi:[0,1]
	v_pk_mul_f32 v[48:49], s[2:3], v[62:63] op_sel_hi:[0,1]
	v_mfma_f32_16x16x16bf16_1k v[26:29], v[28:29], v[20:21], v[2:5]
	v_pk_mul_f32 v[50:51], s[2:3], v[46:47] op_sel_hi:[0,1]
	s_waitcnt vmcnt(1)
	v_mad_i64_i32 v[30:31], s[8:9], v33, s45, 0
	s_nop 3
	v_mad_i64_i32 v[2:3], s[8:9], v14, s45, 0
	v_lshlrev_b64 v[6:7], 1, v[2:3]
	v_mfma_f32_16x16x16bf16_1k v[2:5], v[36:37], v[22:23], 0
	s_nop 0
	v_pk_mul_f32 v[42:43], s[2:3], v[26:27] op_sel_hi:[0,1]
	v_add_co_u32_e32 v6, vcc, v65, v6
	v_addc_co_u32_e32 v7, vcc, v66, v7, vcc
	global_load_dwordx4 v[14:17], v[6:7], off
	global_load_dwordx4 v[10:13], v[6:7], off offset:16
	v_mad_i64_i32 v[6:7], s[8:9], v32, s45, 0
	v_mfma_f32_16x16x16bf16_1k v[22:25], v[38:39], v[24:25], v[2:5]
	v_pk_mul_f32 v[46:47], s[2:3], v[28:29] op_sel_hi:[0,1]
	v_lshlrev_b64 v[6:7], 1, v[6:7]
	v_lshlrev_b64 v[30:31], 1, v[30:31]
	v_mfma_f32_16x16x16bf16_1k v[22:25], v[56:57], v[18:19], v[22:25]
	v_pk_mul_f32 v[18:19], s[2:3], v[60:61] op_sel_hi:[0,1]
	s_nop 1
	v_add_co_u32_e32 v2, vcc, v65, v6
	v_addc_co_u32_e32 v3, vcc, v66, v7, vcc
	v_add_co_u32_e32 v38, vcc, v65, v30
	v_mfma_f32_16x16x16bf16_1k v[20:23], v[58:59], v[20:21], v[22:25]
	v_addc_co_u32_e32 v39, vcc, v66, v31, vcc
	global_load_dwordx4 v[6:9], v[2:3], off
	s_nop 0
	global_load_dwordx4 v[2:5], v[2:3], off offset:16
	s_nop 6
	v_pk_mul_f32 v[44:45], s[2:3], v[20:21] op_sel_hi:[0,1]
	v_and_b32_e32 v20, 0xc0, v0
	v_add_u32_e32 v20, s16, v20
	v_lshl_or_b32 v20, v1, 2, v20
	v_pk_mul_f32 v[36:37], s[2:3], v[22:23] op_sel_hi:[0,1]
	v_or_b32_e32 v23, 1, v20
	v_mov_b32_e32 v21, 0xff7fffff
	v_cmp_gt_i32_e64 s[30:31], s33, v20
	v_cmp_gt_i32_e64 s[34:35], s33, v23
	v_cndmask_b32_e64 v22, v21, v18, s[30:31]
	v_cndmask_b32_e64 v23, v21, v19, s[34:35]
	v_max3_f32 v22, v22, s43, v23
	v_or_b32_e32 v23, 2, v20
	v_or_b32_e32 v24, 3, v20
	v_cmp_gt_i32_e64 s[36:37], s33, v23
	v_cmp_gt_i32_e64 s[38:39], s33, v24
	v_cndmask_b32_e64 v23, v21, v48, s[36:37]
	v_cndmask_b32_e64 v24, v21, v49, s[38:39]
	v_max3_f32 v22, v22, v23, v24
	v_or_b32_e32 v23, 16, v20
	v_or_b32_e32 v24, 17, v20
	;; [unrolled: 7-line block ×7, first 2 shown]
	v_cmp_gt_i32_e32 vcc, s33, v23
	v_cmp_gt_i32_e64 s[2:3], s33, v20
	v_cndmask_b32_e32 v23, v21, v36, vcc
	v_cndmask_b32_e64 v20, v21, v37, s[2:3]
	v_max3_f32 v26, v22, v23, v20
	v_mbcnt_lo_u32_b32 v20, -1, 0
	v_mbcnt_hi_u32_b32 v27, -1, v20
	v_and_b32_e32 v20, 64, v27
	v_add_u32_e32 v28, 64, v20
	v_xor_b32_e32 v20, 32, v27
	v_cmp_lt_i32_e64 s[40:41], v20, v28
	v_cndmask_b32_e64 v20, v27, v20, s[40:41]
	v_lshlrev_b32_e32 v57, 2, v20
	ds_bpermute_b32 v29, v57, v26
	s_waitcnt vmcnt(4)
	v_mad_i64_i32 v[20:21], s[40:41], v64, s45, 0
	v_lshlrev_b64 v[20:21], 1, v[20:21]
	global_load_dwordx4 v[30:33], v[38:39], off
	global_load_dwordx4 v[22:25], v[38:39], off offset:16
	s_waitcnt lgkmcnt(0)
	v_max_f32_e32 v29, v29, v29
	v_max_f32_e32 v26, v26, v29
	v_xor_b32_e32 v29, 16, v27
	v_cmp_lt_i32_e64 s[40:41], v29, v28
	v_cndmask_b32_e64 v27, v27, v29, s[40:41]
	v_lshlrev_b32_e32 v59, 2, v27
	ds_bpermute_b32 v27, v59, v26
	v_add_co_u32_e64 v20, s[40:41], v65, v20
	v_addc_co_u32_e64 v21, s[40:41], v66, v21, s[40:41]
	s_waitcnt lgkmcnt(0)
	v_max_f32_e32 v27, v27, v27
	v_max_f32_e32 v56, v26, v27
	v_sub_f32_e32 v18, v18, v56
	v_mul_f32_e32 v18, 0x3fb8aa3b, v18
	v_exp_f32_e32 v38, v18
	v_sub_f32_e32 v18, v19, v56
	v_mul_f32_e32 v18, 0x3fb8aa3b, v18
	v_exp_f32_e32 v39, v18
	global_load_dwordx4 v[26:29], v[20:21], off
	s_nop 0
	global_load_dwordx4 v[18:21], v[20:21], off offset:16
	v_sub_f32_e32 v48, v48, v56
	v_mul_f32_e32 v48, 0x3fb8aa3b, v48
	v_sub_f32_e32 v49, v49, v56
	v_exp_f32_e32 v48, v48
	v_mul_f32_e32 v49, 0x3fb8aa3b, v49
	v_sub_f32_e32 v40, v40, v56
	v_exp_f32_e32 v49, v49
	v_mul_f32_e32 v40, 0x3fb8aa3b, v40
	v_sub_f32_e32 v41, v41, v56
	v_cndmask_b32_e64 v38, 0, v38, s[30:31]
	v_exp_f32_e32 v40, v40
	v_mul_f32_e32 v41, 0x3fb8aa3b, v41
	v_sub_f32_e32 v50, v50, v56
	v_add_f32_e32 v58, 0, v38
	v_cndmask_b32_e64 v39, 0, v39, s[34:35]
	v_exp_f32_e32 v41, v41
	v_mul_f32_e32 v50, 0x3fb8aa3b, v50
	v_sub_f32_e32 v51, v51, v56
	v_add_f32_e32 v58, v58, v39
	;; [unrolled: 5-line block ×10, first 2 shown]
	v_cndmask_b32_e64 v46, 0, v46, s[12:13]
	v_exp_f32_e32 v36, v36
	v_mul_f32_e32 v37, 0x3fb8aa3b, v37
	v_add_f32_e32 v58, v58, v46
	v_cndmask_b32_e64 v47, 0, v47, s[14:15]
	v_exp_f32_e32 v37, v37
	v_add_f32_e32 v58, v58, v47
	v_cndmask_b32_e64 v44, 0, v44, s[8:9]
	v_add_f32_e32 v58, v58, v44
	v_cndmask_b32_e64 v45, 0, v45, s[10:11]
	v_add_f32_e32 v58, v58, v45
	v_cndmask_b32_e32 v36, 0, v36, vcc
	v_add_f32_e32 v58, v58, v36
	v_cndmask_b32_e64 v37, 0, v37, s[2:3]
	v_add_f32_e32 v58, v58, v37
	ds_bpermute_b32 v57, v57, v58
	v_cmp_gt_u32_e32 vcc, 16, v55
	s_waitcnt lgkmcnt(0)
	s_barrier
	v_add_f32_e32 v58, v58, v57
	ds_bpermute_b32 v59, v59, v58
	v_lshlrev_b32_e32 v57, 2, v53
	s_and_saveexec_b64 s[2:3], vcc
	s_cbranch_execz .LBB286_15
; %bb.14:
	s_waitcnt lgkmcnt(0)
	v_add_f32_e32 v55, v58, v59
	v_lshl_or_b32 v58, v54, 6, v57
	ds_write2st64_b32 v58, v56, v55 offset1:1
.LBB286_15:
	s_or_b64 exec, exec, s[2:3]
	s_load_dword s8, s[4:5], 0x94
	s_waitcnt lgkmcnt(0)
	s_barrier
	ds_read2_b32 v[58:59], v57 offset1:16
	ds_read2_b32 v[60:61], v57 offset0:32 offset1:48
	ds_read2_b32 v[62:63], v57 offset0:64 offset1:80
	s_movk_i32 s10, 0x7fff
	s_mov_b32 s11, 0x7060302
	s_waitcnt lgkmcnt(2)
	v_max3_f32 v55, v58, s43, v59
	s_waitcnt lgkmcnt(1)
	v_max3_f32 v55, v55, v60, v61
	v_sub_f32_e32 v56, v58, v55
	v_mul_f32_e32 v56, 0x3fb8aa3b, v56
	v_exp_f32_e32 v64, v56
	v_sub_f32_e32 v56, v59, v55
	v_mul_f32_e32 v56, 0x3fb8aa3b, v56
	v_exp_f32_e32 v65, v56
	;; [unrolled: 3-line block ×3, first 2 shown]
	ds_read2_b32 v[58:59], v57 offset0:96 offset1:112
	v_sub_f32_e32 v56, v61, v55
	v_mul_f32_e32 v56, 0x3fb8aa3b, v56
	v_exp_f32_e32 v57, v56
	s_waitcnt lgkmcnt(1)
	v_fma_f32 v56, v64, v62, 0
	v_fmac_f32_e32 v56, v65, v63
	s_waitcnt lgkmcnt(0)
	v_fmac_f32_e32 v56, v60, v58
	v_fmac_f32_e32 v56, v57, v59
	v_add_f32_e32 v58, 0x358637bd, v56
	v_div_scale_f32 v59, s[2:3], v58, v58, 1.0
	v_rcp_f32_e32 v61, v59
	s_barrier
	v_fma_f32 v62, -v59, v61, 1.0
	v_fmac_f32_e32 v61, v62, v61
	v_div_scale_f32 v62, vcc, 1.0, v58, 1.0
	v_mul_f32_e32 v63, v62, v61
	v_fma_f32 v66, -v59, v63, v62
	v_fmac_f32_e32 v63, v66, v61
	v_fma_f32 v59, -v59, v63, v62
	v_div_fmas_f32 v59, v59, v61, v63
	v_cmp_eq_u32_e32 vcc, 1, v54
	v_div_fixup_f32 v58, v59, v58, 1.0
	v_cndmask_b32_e32 v59, v64, v65, vcc
	v_cmp_eq_u32_e32 vcc, 2, v54
	v_cndmask_b32_e32 v59, v59, v60, vcc
	v_cmp_eq_u32_e32 vcc, 3, v54
	v_cndmask_b32_e32 v57, v59, v57, vcc
	v_mul_f32_e32 v58, v57, v58
	v_pk_mul_f32 v[38:39], v[58:59], v[38:39] op_sel_hi:[0,1]
	v_pk_mul_f32 v[48:49], v[58:59], v[48:49] op_sel_hi:[0,1]
	v_bfe_u32 v57, v39, 16, 1
	v_bfe_u32 v59, v38, 16, 1
	v_add3_u32 v38, v38, v59, s10
	v_add3_u32 v39, v39, v57, s10
	v_perm_b32 v60, v39, v38, s11
	v_bfe_u32 v38, v49, 16, 1
	v_bfe_u32 v39, v48, 16, 1
	v_add3_u32 v39, v48, v39, s10
	v_add3_u32 v38, v49, v38, s10
	v_perm_b32 v61, v38, v39, s11
	v_lshlrev_b32_e32 v38, 3, v1
	v_lshlrev_b32_e32 v39, 5, v53
	v_lshlrev_b32_e32 v48, 11, v54
	v_pk_mul_f32 v[40:41], v[58:59], v[40:41] op_sel_hi:[0,1]
	v_or3_b32 v38, v48, v39, v38
	v_pk_mul_f32 v[48:49], v[58:59], v[50:51] op_sel_hi:[0,1]
	v_bfe_u32 v50, v41, 16, 1
	v_bfe_u32 v51, v40, 16, 1
	v_add3_u32 v40, v40, v51, s10
	v_add3_u32 v41, v41, v50, s10
	v_perm_b32 v40, v41, v40, s11
	v_bfe_u32 v41, v49, 16, 1
	v_bfe_u32 v50, v48, 16, 1
	v_add3_u32 v48, v48, v50, s10
	v_add3_u32 v41, v49, v41, s10
	v_perm_b32 v41, v41, v48, s11
	v_pk_mul_f32 v[42:43], v[58:59], v[42:43] op_sel_hi:[0,1]
	ds_write2st64_b64 v38, v[60:61], v[40:41] offset1:1
	v_pk_mul_f32 v[40:41], v[58:59], v[46:47] op_sel_hi:[0,1]
	v_bfe_u32 v46, v43, 16, 1
	v_bfe_u32 v47, v42, 16, 1
	v_add3_u32 v42, v42, v47, s10
	v_add3_u32 v43, v43, v46, s10
	v_perm_b32 v42, v43, v42, s11
	v_bfe_u32 v43, v41, 16, 1
	v_bfe_u32 v46, v40, 16, 1
	v_add3_u32 v40, v40, v46, s10
	v_add3_u32 v41, v41, v43, s10
	v_perm_b32 v43, v41, v40, s11
	v_pk_mul_f32 v[40:41], v[58:59], v[44:45] op_sel_hi:[0,1]
	v_bfe_u32 v44, v41, 16, 1
	v_bfe_u32 v45, v40, 16, 1
	v_pk_mul_f32 v[36:37], v[58:59], v[36:37] op_sel_hi:[0,1]
	v_add3_u32 v40, v40, v45, s10
	v_add3_u32 v41, v41, v44, s10
	v_perm_b32 v40, v41, v40, s11
	v_bfe_u32 v41, v37, 16, 1
	v_bfe_u32 v44, v36, 16, 1
	v_add3_u32 v36, v36, v44, s10
	v_add3_u32 v37, v37, v41, s10
	s_mul_i32 s9, s42, 3
	v_perm_b32 v41, v37, v36, s11
	v_cmp_gt_u32_e32 vcc, 3, v0
	ds_write2st64_b64 v38, v[42:43], v[40:41] offset0:2 offset1:3
	s_and_saveexec_b64 s[2:3], vcc
	s_cbranch_execz .LBB286_17
; %bb.16:
	v_add_co_u32_e32 v40, vcc, s29, v53
	v_addc_co_u32_e64 v41, s[16:17], 0, 0, vcc
	v_mov_b32_e32 v36, s9
	v_mov_b32_e32 v37, 0
	v_mad_u64_u32 v[40:41], s[16:17], s6, v36, v[40:41]
	v_mov_b32_e32 v36, s28
	s_load_dwordx4 s[12:15], s[4:5], 0x58
	s_mul_i32 s7, s7, s9
	v_mad_u64_u32 v[36:37], s[16:17], v40, s8, v[36:37]
	v_add_u32_e32 v41, s7, v41
	v_mov_b32_e32 v40, v37
	v_mad_u64_u32 v[40:41], s[16:17], v41, s8, v[40:41]
	v_mov_b32_e32 v37, v40
	v_lshlrev_b64 v[36:37], 2, v[36:37]
	s_waitcnt lgkmcnt(0)
	v_mov_b32_e32 v41, s15
	v_add_co_u32_e32 v40, vcc, s14, v36
	v_addc_co_u32_e32 v41, vcc, v41, v37, vcc
	global_store_dword v[40:41], v55, off
	v_mov_b32_e32 v40, s13
	v_add_co_u32_e32 v36, vcc, s12, v36
	v_addc_co_u32_e32 v37, vcc, v40, v37, vcc
	global_store_dword v[36:37], v56, off
.LBB286_17:
	s_or_b64 exec, exec, s[2:3]
	v_lshl_or_b32 v36, v1, 9, v39
	s_waitcnt lgkmcnt(0)
	s_barrier
	ds_read_b128 v[40:43], v36
	ds_read_b128 v[44:47], v36 offset:16
	s_waitcnt vmcnt(7) lgkmcnt(1)
	v_mfma_f32_16x16x16bf16_1k v[48:51], v[14:15], v[40:41], 0
	v_cmp_gt_u32_e32 vcc, 64, v0
	v_cmp_ne_u32_e64 s[2:3], 3, v1
	s_and_b64 s[2:3], s[2:3], vcc
	s_mov_b32 s7, 0
	s_and_b64 s[0:1], s[2:3], s[0:1]
	v_mfma_f32_16x16x16bf16_1k v[14:17], v[16:17], v[42:43], v[48:51]
	s_waitcnt vmcnt(6) lgkmcnt(0)
	v_mfma_f32_16x16x16bf16_1k v[14:17], v[10:11], v[44:45], v[14:17]
	v_mfma_f32_16x16x16bf16_1k v[10:13], v[12:13], v[46:47], v[14:17]
	s_nop 7
	s_nop 1
	ds_read_b128 v[14:17], v36 offset:2048
	ds_read_b128 v[40:43], v36 offset:2064
	s_waitcnt vmcnt(5) lgkmcnt(1)
	v_mfma_f32_16x16x16bf16_1k v[10:13], v[6:7], v[14:15], v[10:13]
	v_mfma_f32_16x16x16bf16_1k v[6:9], v[8:9], v[16:17], v[10:13]
	s_waitcnt vmcnt(4) lgkmcnt(0)
	v_mfma_f32_16x16x16bf16_1k v[6:9], v[2:3], v[40:41], v[6:9]
	v_mfma_f32_16x16x16bf16_1k v[2:5], v[4:5], v[42:43], v[6:9]
	s_nop 7
	s_nop 1
	ds_read_b128 v[6:9], v36 offset:4096
	ds_read_b128 v[10:13], v36 offset:4112
	s_waitcnt vmcnt(3) lgkmcnt(1)
	v_mfma_f32_16x16x16bf16_1k v[2:5], v[30:31], v[6:7], v[2:5]
	v_mfma_f32_16x16x16bf16_1k v[2:5], v[32:33], v[8:9], v[2:5]
	s_waitcnt vmcnt(2) lgkmcnt(0)
	v_mfma_f32_16x16x16bf16_1k v[2:5], v[22:23], v[10:11], v[2:5]
	v_mfma_f32_16x16x16bf16_1k v[2:5], v[24:25], v[12:13], v[2:5]
	ds_read_b128 v[6:9], v36 offset:6144
	ds_read_b128 v[10:13], v36 offset:6160
	s_waitcnt lgkmcnt(0)
	s_barrier
	s_waitcnt vmcnt(1)
	v_mfma_f32_16x16x16bf16_1k v[2:5], v[26:27], v[6:7], v[2:5]
	v_mfma_f32_16x16x16bf16_1k v[2:5], v[28:29], v[8:9], v[2:5]
	s_waitcnt vmcnt(0)
	v_mfma_f32_16x16x16bf16_1k v[2:5], v[18:19], v[10:11], v[2:5]
	v_mfma_f32_16x16x16bf16_1k v[2:5], v[20:21], v[12:13], v[2:5]
	s_nop 7
	s_nop 2
	v_bfe_u32 v6, v3, 16, 1
	v_bfe_u32 v7, v2, 16, 1
	;; [unrolled: 1-line block ×4, first 2 shown]
	v_add3_u32 v2, v2, v7, s10
	v_add3_u32 v3, v3, v6, s10
	;; [unrolled: 1-line block ×4, first 2 shown]
	v_perm_b32 v2, v3, v2, s11
	v_perm_b32 v3, v5, v4, s11
	ds_write_b64 v38, v[2:3]
	s_waitcnt lgkmcnt(0)
	s_barrier
	s_and_saveexec_b64 s[2:3], s[0:1]
	s_cbranch_execz .LBB286_19
; %bb.18:
	s_load_dwordx2 s[0:1], s[4:5], 0x68
	s_mul_i32 s2, s9, s6
	s_lshl_b32 s4, s8, 6
	s_mul_hi_u32 s3, s2, s4
	s_mul_i32 s2, s2, s4
	s_lshl_b64 s[2:3], s[2:3], 1
	s_waitcnt lgkmcnt(0)
	s_add_u32 s2, s0, s2
	s_addc_u32 s3, s1, s3
	s_lshl_b32 s6, s28, 6
	v_lshlrev_b32_e32 v2, 10, v0
	v_lshlrev_b32_e32 v0, 4, v0
	s_lshl_b64 s[0:1], s[6:7], 1
	v_and_b32_e32 v2, 0x1800, v2
	v_lshlrev_b32_e32 v1, 5, v1
	v_and_b32_e32 v0, 16, v0
	s_add_u32 s2, s2, s0
	v_or3_b32 v0, v2, v1, v0
	s_addc_u32 s3, s3, s1
	v_mad_u64_u32 v[4:5], s[0:1], s4, v52, 0
	ds_read_b128 v[0:3], v0
	v_lshlrev_b64 v[4:5], 1, v[4:5]
	v_mov_b32_e32 v6, s3
	v_add_co_u32_e32 v4, vcc, s2, v4
	v_addc_co_u32_e32 v5, vcc, v6, v5, vcc
	v_add_co_u32_e32 v4, vcc, v4, v34
	v_addc_co_u32_e32 v5, vcc, v5, v35, vcc
	s_waitcnt lgkmcnt(0)
	global_store_dwordx4 v[4:5], v[0:3], off
.LBB286_19:
	s_endpgm
	.section	.rodata,"a",@progbits
	.p2align	6, 0x0
	.amdhsa_kernel _Z39paged_attention_ll4mi_QKV_mfma16_kernelI14__hip_bfloat16S0_LN4vllm18Fp8KVCacheDataTypeE0ES0_Li32ELi64ELi256ELb0ELi3EL8MFMAType0EEvPKT_PKT0_S9_ifPKiSB_SB_iPKfiiiPfSE_PS4_PT2_iSD_SD_
		.amdhsa_group_segment_fixed_size 8192
		.amdhsa_private_segment_fixed_size 0
		.amdhsa_kernarg_size 400
		.amdhsa_user_sgpr_count 6
		.amdhsa_user_sgpr_private_segment_buffer 1
		.amdhsa_user_sgpr_dispatch_ptr 0
		.amdhsa_user_sgpr_queue_ptr 0
		.amdhsa_user_sgpr_kernarg_segment_ptr 1
		.amdhsa_user_sgpr_dispatch_id 0
		.amdhsa_user_sgpr_flat_scratch_init 0
		.amdhsa_user_sgpr_kernarg_preload_length 0
		.amdhsa_user_sgpr_kernarg_preload_offset 0
		.amdhsa_user_sgpr_private_segment_size 0
		.amdhsa_uses_dynamic_stack 0
		.amdhsa_system_sgpr_private_segment_wavefront_offset 0
		.amdhsa_system_sgpr_workgroup_id_x 1
		.amdhsa_system_sgpr_workgroup_id_y 1
		.amdhsa_system_sgpr_workgroup_id_z 1
		.amdhsa_system_sgpr_workgroup_info 0
		.amdhsa_system_vgpr_workitem_id 0
		.amdhsa_next_free_vgpr 67
		.amdhsa_next_free_sgpr 48
		.amdhsa_accum_offset 68
		.amdhsa_reserve_vcc 1
		.amdhsa_reserve_flat_scratch 0
		.amdhsa_float_round_mode_32 0
		.amdhsa_float_round_mode_16_64 0
		.amdhsa_float_denorm_mode_32 3
		.amdhsa_float_denorm_mode_16_64 3
		.amdhsa_dx10_clamp 1
		.amdhsa_ieee_mode 1
		.amdhsa_fp16_overflow 0
		.amdhsa_tg_split 0
		.amdhsa_exception_fp_ieee_invalid_op 0
		.amdhsa_exception_fp_denorm_src 0
		.amdhsa_exception_fp_ieee_div_zero 0
		.amdhsa_exception_fp_ieee_overflow 0
		.amdhsa_exception_fp_ieee_underflow 0
		.amdhsa_exception_fp_ieee_inexact 0
		.amdhsa_exception_int_div_zero 0
	.end_amdhsa_kernel
	.section	.text._Z39paged_attention_ll4mi_QKV_mfma16_kernelI14__hip_bfloat16S0_LN4vllm18Fp8KVCacheDataTypeE0ES0_Li32ELi64ELi256ELb0ELi3EL8MFMAType0EEvPKT_PKT0_S9_ifPKiSB_SB_iPKfiiiPfSE_PS4_PT2_iSD_SD_,"axG",@progbits,_Z39paged_attention_ll4mi_QKV_mfma16_kernelI14__hip_bfloat16S0_LN4vllm18Fp8KVCacheDataTypeE0ES0_Li32ELi64ELi256ELb0ELi3EL8MFMAType0EEvPKT_PKT0_S9_ifPKiSB_SB_iPKfiiiPfSE_PS4_PT2_iSD_SD_,comdat
.Lfunc_end286:
	.size	_Z39paged_attention_ll4mi_QKV_mfma16_kernelI14__hip_bfloat16S0_LN4vllm18Fp8KVCacheDataTypeE0ES0_Li32ELi64ELi256ELb0ELi3EL8MFMAType0EEvPKT_PKT0_S9_ifPKiSB_SB_iPKfiiiPfSE_PS4_PT2_iSD_SD_, .Lfunc_end286-_Z39paged_attention_ll4mi_QKV_mfma16_kernelI14__hip_bfloat16S0_LN4vllm18Fp8KVCacheDataTypeE0ES0_Li32ELi64ELi256ELb0ELi3EL8MFMAType0EEvPKT_PKT0_S9_ifPKiSB_SB_iPKfiiiPfSE_PS4_PT2_iSD_SD_
                                        ; -- End function
	.section	.AMDGPU.csdata,"",@progbits
; Kernel info:
; codeLenInByte = 4284
; NumSgprs: 52
; NumVgprs: 67
; NumAgprs: 0
; TotalNumVgprs: 67
; ScratchSize: 0
; MemoryBound: 0
; FloatMode: 240
; IeeeMode: 1
; LDSByteSize: 8192 bytes/workgroup (compile time only)
; SGPRBlocks: 6
; VGPRBlocks: 8
; NumSGPRsForWavesPerEU: 52
; NumVGPRsForWavesPerEU: 67
; AccumOffset: 68
; Occupancy: 7
; WaveLimiterHint : 1
; COMPUTE_PGM_RSRC2:SCRATCH_EN: 0
; COMPUTE_PGM_RSRC2:USER_SGPR: 6
; COMPUTE_PGM_RSRC2:TRAP_HANDLER: 0
; COMPUTE_PGM_RSRC2:TGID_X_EN: 1
; COMPUTE_PGM_RSRC2:TGID_Y_EN: 1
; COMPUTE_PGM_RSRC2:TGID_Z_EN: 1
; COMPUTE_PGM_RSRC2:TIDIG_COMP_CNT: 0
; COMPUTE_PGM_RSRC3_GFX90A:ACCUM_OFFSET: 16
; COMPUTE_PGM_RSRC3_GFX90A:TG_SPLIT: 0
	.section	.text._Z39paged_attention_ll4mi_QKV_mfma16_kernelI14__hip_bfloat16S0_LN4vllm18Fp8KVCacheDataTypeE0ES0_Li32ELi64ELi256ELb0ELi4EL8MFMAType0EEvPKT_PKT0_S9_ifPKiSB_SB_iPKfiiiPfSE_PS4_PT2_iSD_SD_,"axG",@progbits,_Z39paged_attention_ll4mi_QKV_mfma16_kernelI14__hip_bfloat16S0_LN4vllm18Fp8KVCacheDataTypeE0ES0_Li32ELi64ELi256ELb0ELi4EL8MFMAType0EEvPKT_PKT0_S9_ifPKiSB_SB_iPKfiiiPfSE_PS4_PT2_iSD_SD_,comdat
	.protected	_Z39paged_attention_ll4mi_QKV_mfma16_kernelI14__hip_bfloat16S0_LN4vllm18Fp8KVCacheDataTypeE0ES0_Li32ELi64ELi256ELb0ELi4EL8MFMAType0EEvPKT_PKT0_S9_ifPKiSB_SB_iPKfiiiPfSE_PS4_PT2_iSD_SD_ ; -- Begin function _Z39paged_attention_ll4mi_QKV_mfma16_kernelI14__hip_bfloat16S0_LN4vllm18Fp8KVCacheDataTypeE0ES0_Li32ELi64ELi256ELb0ELi4EL8MFMAType0EEvPKT_PKT0_S9_ifPKiSB_SB_iPKfiiiPfSE_PS4_PT2_iSD_SD_
	.globl	_Z39paged_attention_ll4mi_QKV_mfma16_kernelI14__hip_bfloat16S0_LN4vllm18Fp8KVCacheDataTypeE0ES0_Li32ELi64ELi256ELb0ELi4EL8MFMAType0EEvPKT_PKT0_S9_ifPKiSB_SB_iPKfiiiPfSE_PS4_PT2_iSD_SD_
	.p2align	8
	.type	_Z39paged_attention_ll4mi_QKV_mfma16_kernelI14__hip_bfloat16S0_LN4vllm18Fp8KVCacheDataTypeE0ES0_Li32ELi64ELi256ELb0ELi4EL8MFMAType0EEvPKT_PKT0_S9_ifPKiSB_SB_iPKfiiiPfSE_PS4_PT2_iSD_SD_,@function
_Z39paged_attention_ll4mi_QKV_mfma16_kernelI14__hip_bfloat16S0_LN4vllm18Fp8KVCacheDataTypeE0ES0_Li32ELi64ELi256ELb0ELi4EL8MFMAType0EEvPKT_PKT0_S9_ifPKiSB_SB_iPKfiiiPfSE_PS4_PT2_iSD_SD_: ; @_Z39paged_attention_ll4mi_QKV_mfma16_kernelI14__hip_bfloat16S0_LN4vllm18Fp8KVCacheDataTypeE0ES0_Li32ELi64ELi256ELb0ELi4EL8MFMAType0EEvPKT_PKT0_S9_ifPKiSB_SB_iPKfiiiPfSE_PS4_PT2_iSD_SD_
; %bb.0:
	s_load_dwordx2 s[0:1], s[4:5], 0x30
	s_mov_b32 s26, s7
	s_mov_b64 s[10:11], 0
	s_waitcnt lgkmcnt(0)
	s_cmp_lg_u64 s[0:1], 0
	s_cselect_b64 s[2:3], -1, 0
	s_and_b64 vcc, exec, s[2:3]
	s_cbranch_vccz .LBB287_7
; %bb.1:
	s_add_i32 s12, s6, 1
	s_mov_b32 s13, 0
	s_lshl_b64 s[14:15], s[12:13], 2
	s_add_u32 s14, s0, s14
	s_mov_b32 s7, s13
	s_addc_u32 s15, s1, s15
	s_lshl_b64 s[12:13], s[6:7], 2
	s_add_u32 s12, s0, s12
	s_addc_u32 s13, s1, s13
	s_load_dword s9, s[14:15], 0x0
	s_load_dword s16, s[12:13], 0x0
	s_waitcnt lgkmcnt(0)
	s_sub_i32 s9, s9, s16
	s_cmp_eq_u32 s9, 1
	s_cselect_b64 s[12:13], -1, 0
	s_andn2_b64 vcc, exec, s[10:11]
	s_cbranch_vccnz .LBB287_3
.LBB287_2:
	s_mov_b32 s7, 0
	s_mov_b64 s[12:13], -1
.LBB287_3:
	s_andn2_b64 vcc, exec, s[12:13]
	s_cbranch_vccnz .LBB287_19
; %bb.4:
	s_load_dwordx2 s[12:13], s[4:5], 0x28
	s_lshl_b64 s[10:11], s[6:7], 2
	s_waitcnt lgkmcnt(0)
	s_add_u32 s12, s12, s10
	s_addc_u32 s13, s13, s11
	s_load_dword s33, s[12:13], 0x0
	s_lshl_b32 s9, s26, 8
	s_waitcnt lgkmcnt(0)
	s_cmp_ge_i32 s9, s33
	s_cbranch_scc1 .LBB287_19
; %bb.5:
	s_add_i32 s15, s33, 31
	s_load_dwordx2 s[12:13], s[4:5], 0x20
	s_load_dword s14, s[4:5], 0x38
	s_ashr_i32 s16, s15, 31
	v_and_b32_e32 v1, 0xcf, v0
	s_lshr_b32 s16, s16, 27
	v_add_u32_e32 v1, s9, v1
	s_add_i32 s15, s15, s16
	v_ashrrev_i32_e32 v2, 31, v1
	s_ashr_i32 s18, s15, 5
	v_lshrrev_b32_e32 v6, 27, v2
	s_add_i32 s18, s18, -1
	v_add_u32_e32 v2, v1, v6
	s_waitcnt lgkmcnt(0)
	s_mul_i32 s14, s6, s14
	s_mov_b32 s15, 0
	v_ashrrev_i32_e32 v2, 5, v2
	v_mov_b32_e32 v7, s18
	v_cmp_gt_i32_e32 vcc, s33, v1
	s_lshl_b64 s[14:15], s[14:15], 2
	v_cndmask_b32_e32 v2, v7, v2, vcc
	s_add_u32 s16, s12, s14
	v_ashrrev_i32_e32 v3, 31, v2
	s_addc_u32 s17, s13, s15
	v_lshlrev_b64 v[2:3], 2, v[2:3]
	v_mov_b32_e32 v4, s17
	v_add_co_u32_e32 v2, vcc, s16, v2
	v_addc_co_u32_e32 v3, vcc, v4, v3, vcc
	v_or_b32_e32 v4, 16, v1
	v_add_u32_e32 v5, v4, v6
	v_ashrrev_i32_e32 v5, 5, v5
	v_cmp_gt_i32_e32 vcc, s33, v4
	v_cndmask_b32_e32 v4, v7, v5, vcc
	v_ashrrev_i32_e32 v5, 31, v4
	v_lshlrev_b64 v[4:5], 2, v[4:5]
	v_mov_b32_e32 v9, s17
	v_add_co_u32_e32 v8, vcc, s16, v4
	v_or_b32_e32 v4, 32, v1
	v_addc_co_u32_e32 v9, vcc, v9, v5, vcc
	v_add_u32_e32 v5, v4, v6
	v_ashrrev_i32_e32 v5, 5, v5
	v_cmp_gt_i32_e32 vcc, s33, v4
	v_cndmask_b32_e32 v4, v7, v5, vcc
	v_ashrrev_i32_e32 v5, 31, v4
	v_lshlrev_b64 v[4:5], 2, v[4:5]
	v_mov_b32_e32 v11, s17
	v_add_co_u32_e32 v10, vcc, s16, v4
	v_or_b32_e32 v1, 48, v1
	v_addc_co_u32_e32 v11, vcc, v11, v5, vcc
	v_add_u32_e32 v4, v1, v6
	v_ashrrev_i32_e32 v4, 5, v4
	v_cmp_gt_i32_e32 vcc, s33, v1
	v_cndmask_b32_e32 v4, v7, v4, vcc
	v_ashrrev_i32_e32 v5, 31, v4
	v_lshlrev_b64 v[4:5], 2, v[4:5]
	v_mov_b32_e32 v1, s17
	v_add_co_u32_e32 v12, vcc, s16, v4
	v_addc_co_u32_e32 v13, vcc, v1, v5, vcc
	global_load_dword v4, v[2:3], off
	global_load_dword v6, v[8:9], off
	;; [unrolled: 1-line block ×4, first 2 shown]
	s_andn2_b64 vcc, exec, s[2:3]
	s_cbranch_vccnz .LBB287_8
; %bb.6:
	s_add_u32 s0, s0, s10
	s_addc_u32 s1, s1, s11
	s_load_dword s2, s[0:1], 0x0
	s_branch .LBB287_9
.LBB287_7:
	s_mov_b64 s[12:13], 0
	s_branch .LBB287_2
.LBB287_8:
	s_mov_b32 s2, s6
.LBB287_9:
	s_load_dwordx4 s[12:15], s[4:5], 0x8
	s_load_dwordx4 s[40:43], s[4:5], 0x48
	v_and_b32_e32 v54, 15, v0
	v_cmp_gt_u32_e32 vcc, 64, v0
	v_cmp_gt_u32_e64 s[0:1], 8, v54
	s_and_b64 s[44:45], vcc, s[0:1]
	v_bfe_u32 v53, v0, 4, 2
	s_lshl_b32 s27, s8, 2
	v_lshlrev_b32_e32 v2, 3, v54
	s_xor_b64 s[0:1], s[44:45], -1
	s_and_saveexec_b64 s[10:11], s[0:1]
	s_xor_b64 s[0:1], exec, s[10:11]
; %bb.10:
	v_mov_b32_e32 v3, 0
; %bb.11:
	s_or_saveexec_b64 s[0:1], s[0:1]
	v_lshrrev_b32_e32 v55, 6, v0
	v_and_b32_e32 v56, 63, v0
	v_or_b32_e32 v1, s27, v53
	v_and_b32_e32 v19, 3, v0
	v_lshlrev_b32_e32 v52, 5, v53
	s_xor_b64 exec, exec, s[0:1]
	s_cbranch_execz .LBB287_13
; %bb.12:
	s_load_dwordx2 s[10:11], s[4:5], 0x0
	s_waitcnt lgkmcnt(0)
	s_ashr_i32 s3, s40, 31
	s_mul_hi_u32 s19, s2, s40
	s_mul_i32 s3, s2, s3
	s_add_i32 s3, s19, s3
	s_mul_i32 s2, s2, s40
	s_lshl_b64 s[2:3], s[2:3], 1
	v_lshlrev_b32_e32 v8, 6, v1
	s_add_u32 s2, s10, s2
	v_ashrrev_i32_e32 v9, 31, v8
	s_addc_u32 s3, s11, s3
	v_lshlrev_b64 v[8:9], 1, v[8:9]
	v_mov_b32_e32 v3, s3
	v_add_co_u32_e32 v5, vcc, s2, v8
	v_addc_co_u32_e32 v3, vcc, v3, v9, vcc
	v_lshlrev_b32_e32 v7, 1, v2
	v_add_co_u32_e32 v8, vcc, v5, v7
	v_addc_co_u32_e32 v9, vcc, 0, v3, vcc
	global_load_dwordx4 v[8:11], v[8:9], off
	v_lshlrev_b32_e32 v12, 9, v54
	v_lshl_or_b32 v5, v55, 7, v52
	v_lshlrev_b32_e32 v7, 9, v19
	v_and_b32_e32 v12, 0x1800, v12
	v_mov_b32_e32 v3, 0
	v_or3_b32 v5, v12, v7, v5
	s_waitcnt vmcnt(0)
	ds_write_b128 v5, v[8:11]
.LBB287_13:
	s_or_b64 exec, exec, s[0:1]
	s_waitcnt lgkmcnt(0)
	s_mul_i32 s2, s8, s42
	s_mov_b32 s3, 0
	s_lshl_b64 s[2:3], s[2:3], 1
	s_add_u32 s1, s12, s2
	s_waitcnt vmcnt(3)
	v_mad_i64_i32 v[4:5], s[10:11], v4, s41, 0
	s_addc_u32 s8, s13, s3
	v_lshlrev_b64 v[4:5], 1, v[4:5]
	v_mov_b32_e32 v7, s8
	v_add_co_u32_e32 v4, vcc, s1, v4
	v_addc_co_u32_e32 v5, vcc, v7, v5, vcc
	v_lshlrev_b64 v[34:35], 1, v[2:3]
	v_add_co_u32_e32 v2, vcc, v4, v34
	v_lshlrev_b32_e32 v28, 9, v53
	v_addc_co_u32_e32 v3, vcc, v5, v35, vcc
	v_add_co_u32_e32 v22, vcc, v2, v28
	v_addc_co_u32_e32 v23, vcc, 0, v3, vcc
	s_load_dword s40, s[4:5], 0x98
	s_load_dword s0, s[4:5], 0x1c
	s_waitcnt lgkmcnt(0)
	s_barrier
	global_load_dwordx4 v[2:5], v[22:23], off
	s_waitcnt vmcnt(3)
	v_mad_i64_i32 v[6:7], s[10:11], v6, s41, 0
	v_lshlrev_b64 v[6:7], 1, v[6:7]
	v_mov_b32_e32 v8, s8
	v_add_co_u32_e32 v6, vcc, s1, v6
	v_addc_co_u32_e32 v7, vcc, v8, v7, vcc
	v_mov_b32_e32 v8, 0x100
	v_lshl_or_b32 v29, v54, 4, v8
	v_add_co_u32_e32 v6, vcc, v6, v29
	v_addc_co_u32_e32 v7, vcc, 0, v7, vcc
	v_add_co_u32_e32 v24, vcc, v6, v28
	v_addc_co_u32_e32 v25, vcc, 0, v7, vcc
	global_load_dwordx4 v[10:13], v[24:25], off
	global_load_dwordx4 v[14:17], v[22:23], off offset:2048
	global_load_dwordx4 v[6:9], v[24:25], off offset:2048
	s_waitcnt vmcnt(5)
	v_mad_i64_i32 v[20:21], s[10:11], v20, s41, 0
	v_lshlrev_b64 v[30:31], 1, v[20:21]
	v_mov_b32_e32 v32, s8
	v_add_co_u32_e32 v30, vcc, s1, v30
	v_addc_co_u32_e32 v31, vcc, v32, v31, vcc
	v_add_co_u32_e32 v36, vcc, v30, v34
	s_waitcnt vmcnt(4)
	v_mad_i64_i32 v[22:23], s[10:11], v18, s41, 0
	v_lshl_or_b32 v18, v19, 5, v28
	v_addc_co_u32_e32 v37, vcc, v31, v35, vcc
	v_lshlrev_b64 v[26:27], 1, v[22:23]
	ds_read_b128 v[22:25], v18
	ds_read_b128 v[18:21], v18 offset:2048
	v_add_co_u32_e32 v44, vcc, v36, v28
	v_addc_co_u32_e32 v45, vcc, 0, v37, vcc
	global_load_dwordx4 v[36:39], v[44:45], off
	v_mov_b32_e32 v40, s8
	v_and_or_b32 v48, v0, 48, s9
	s_ashr_i32 s10, s9, 31
	v_or_b32_e32 v46, 64, v48
	s_lshr_b32 s8, s10, 27
	v_mov_b32_e32 v49, s18
	v_mov_b32_e32 v50, s17
	s_mov_b32 s42, 0xff7fffff
	s_waitcnt vmcnt(4) lgkmcnt(1)
	v_mfma_f32_16x16x16bf16_1k v[30:33], v[2:3], v[22:23], 0
	v_add_co_u32_e32 v2, vcc, s1, v26
	v_addc_co_u32_e32 v3, vcc, v40, v27, vcc
	v_add_u32_e32 v26, s8, v48
	v_ashrrev_i32_e32 v47, 5, v26
	s_add_u32 s1, s14, s2
	s_waitcnt vmcnt(3)
	v_mfma_f32_16x16x16bf16_1k v[40:43], v[10:11], v[22:23], 0
	v_add_co_u32_e32 v11, vcc, v2, v29
	v_addc_co_u32_e32 v27, vcc, 0, v3, vcc
	v_add_u32_e32 v10, s8, v46
	v_ashrrev_i32_e32 v51, 5, v10
	v_add_co_u32_e32 v10, vcc, v11, v28
	v_mfma_f32_16x16x16bf16_1k v[2:5], v[4:5], v[24:25], v[30:33]
	v_addc_co_u32_e32 v11, vcc, 0, v27, vcc
	global_load_dwordx4 v[26:29], v[44:45], off offset:2048
	v_cmp_gt_i32_e32 vcc, s33, v48
	v_cndmask_b32_e32 v44, v49, v47, vcc
	v_ashrrev_i32_e32 v45, 31, v44
	v_cmp_gt_i32_e32 vcc, s33, v46
	s_waitcnt vmcnt(3) lgkmcnt(0)
	v_mfma_f32_16x16x16bf16_1k v[2:5], v[14:15], v[18:19], v[2:5]
	global_load_dwordx4 v[30:33], v[10:11], off
	global_load_dwordx4 v[58:61], v[10:11], off offset:2048
	v_lshlrev_b64 v[10:11], 2, v[44:45]
	v_cndmask_b32_e32 v14, v49, v51, vcc
	v_ashrrev_i32_e32 v15, 31, v14
	v_lshlrev_b64 v[14:15], 2, v[14:15]
	s_addc_u32 s2, s15, s3
	v_mfma_f32_16x16x16bf16_1k v[44:47], v[16:17], v[20:21], v[2:5]
	s_nop 6
	v_add_co_u32_e32 v2, vcc, s16, v10
	v_addc_co_u32_e32 v3, vcc, v50, v11, vcc
	global_load_dword v16, v[2:3], off
	v_mov_b32_e32 v11, s17
	v_add_co_u32_e32 v10, vcc, s16, v14
	v_addc_co_u32_e32 v11, vcc, v11, v15, vcc
	global_load_dword v50, v[10:11], off
	v_mfma_f32_16x16x16bf16_1k v[2:5], v[12:13], v[24:25], v[40:43]
	v_or_b32_e32 v10, 0x80, v48
	v_add_u32_e32 v11, s8, v10
	v_ashrrev_i32_e32 v11, 5, v11
	v_cmp_gt_i32_e32 vcc, s33, v10
	v_cndmask_b32_e32 v10, v49, v11, vcc
	v_ashrrev_i32_e32 v11, 31, v10
	s_waitcnt vmcnt(6)
	v_mfma_f32_16x16x16bf16_1k v[2:5], v[6:7], v[18:19], v[2:5]
	v_lshlrev_b64 v[6:7], 2, v[10:11]
	v_mov_b32_e32 v10, s17
	v_add_co_u32_e32 v6, vcc, s16, v6
	v_addc_co_u32_e32 v7, vcc, v10, v7, vcc
	global_load_dword v51, v[6:7], off
	v_mfma_f32_16x16x16bf16_1k v[40:43], v[8:9], v[20:21], v[2:5]
	v_or_b32_e32 v6, 0xc0, v48
	v_add_u32_e32 v7, s8, v6
	v_ashrrev_i32_e32 v7, 5, v7
	v_cmp_gt_i32_e32 vcc, s33, v6
	v_cndmask_b32_e32 v6, v49, v7, vcc
	v_ashrrev_i32_e32 v7, 31, v6
	v_lshlrev_b64 v[6:7], 2, v[6:7]
	s_waitcnt vmcnt(6)
	v_mfma_f32_16x16x16bf16_1k v[2:5], v[36:37], v[22:23], 0
	v_mov_b32_e32 v8, s17
	v_add_co_u32_e32 v6, vcc, s16, v6
	v_addc_co_u32_e32 v7, vcc, v8, v7, vcc
	global_load_dword v57, v[6:7], off
	v_and_b32_e32 v6, 16, v0
	v_mfma_f32_16x16x16bf16_1k v[2:5], v[38:39], v[24:25], v[2:5]
	v_lshlrev_b32_e32 v6, 1, v6
	v_mov_b32_e32 v7, s2
	v_add_co_u32_e32 v6, vcc, s1, v6
	v_lshlrev_b32_e32 v8, 6, v54
	v_addc_co_u32_e32 v7, vcc, 0, v7, vcc
	s_waitcnt vmcnt(6)
	v_mfma_f32_16x16x16bf16_1k v[2:5], v[26:27], v[18:19], v[2:5]
	v_lshl_or_b32 v8, v55, 10, v8
	v_add_co_u32_e32 v62, vcc, v6, v8
	v_addc_co_u32_e32 v63, vcc, 0, v7, vcc
	v_pk_mul_f32 v[48:49], s[0:1], v[46:47] op_sel_hi:[0,1]
	v_pk_mul_f32 v[40:41], s[0:1], v[40:41] op_sel_hi:[0,1]
	v_mfma_f32_16x16x16bf16_1k v[26:29], v[28:29], v[20:21], v[2:5]
	s_waitcnt vmcnt(3)
	s_nop 5
	v_mad_i64_i32 v[2:3], s[2:3], v16, s41, 0
	v_lshlrev_b64 v[6:7], 1, v[2:3]
	v_mfma_f32_16x16x16bf16_1k v[2:5], v[30:31], v[22:23], 0
	v_add_co_u32_e32 v6, vcc, v62, v6
	v_addc_co_u32_e32 v7, vcc, v63, v7, vcc
	global_load_dwordx4 v[14:17], v[6:7], off
	global_load_dwordx4 v[10:13], v[6:7], off offset:16
	s_waitcnt vmcnt(4)
	v_mad_i64_i32 v[6:7], s[2:3], v50, s41, 0
	v_mfma_f32_16x16x16bf16_1k v[22:25], v[32:33], v[24:25], v[2:5]
	v_pk_mul_f32 v[46:47], s[0:1], v[28:29] op_sel_hi:[0,1]
	v_lshlrev_b64 v[6:7], 1, v[6:7]
	s_waitcnt vmcnt(3)
	v_mad_i64_i32 v[30:31], s[2:3], v51, s41, 0
	v_mfma_f32_16x16x16bf16_1k v[22:25], v[58:59], v[18:19], v[22:25]
	v_pk_mul_f32 v[18:19], s[0:1], v[44:45] op_sel_hi:[0,1]
	v_pk_mul_f32 v[50:51], s[0:1], v[42:43] op_sel_hi:[0,1]
	;; [unrolled: 1-line block ×3, first 2 shown]
	v_add_co_u32_e32 v2, vcc, v62, v6
	v_addc_co_u32_e32 v3, vcc, v63, v7, vcc
	v_mfma_f32_16x16x16bf16_1k v[20:23], v[60:61], v[20:21], v[22:25]
	v_lshlrev_b64 v[30:31], 1, v[30:31]
	v_add_co_u32_e32 v38, vcc, v62, v30
	v_addc_co_u32_e32 v39, vcc, v63, v31, vcc
	global_load_dwordx4 v[6:9], v[2:3], off
	s_nop 0
	global_load_dwordx4 v[2:5], v[2:3], off offset:16
	s_nop 4
	v_pk_mul_f32 v[44:45], s[0:1], v[20:21] op_sel_hi:[0,1]
	v_and_b32_e32 v20, 0xc0, v0
	v_add_u32_e32 v20, s9, v20
	v_lshl_or_b32 v20, v53, 2, v20
	v_pk_mul_f32 v[36:37], s[0:1], v[22:23] op_sel_hi:[0,1]
	v_or_b32_e32 v23, 1, v20
	v_mov_b32_e32 v21, 0xff7fffff
	v_cmp_gt_i32_e64 s[28:29], s33, v20
	v_cmp_gt_i32_e64 s[30:31], s33, v23
	v_cndmask_b32_e64 v22, v21, v18, s[28:29]
	v_cndmask_b32_e64 v23, v21, v19, s[30:31]
	v_max3_f32 v22, v22, s42, v23
	v_or_b32_e32 v23, 2, v20
	v_or_b32_e32 v24, 3, v20
	v_cmp_gt_i32_e64 s[34:35], s33, v23
	v_cmp_gt_i32_e64 s[36:37], s33, v24
	v_cndmask_b32_e64 v23, v21, v48, s[34:35]
	v_cndmask_b32_e64 v24, v21, v49, s[36:37]
	v_max3_f32 v22, v22, v23, v24
	v_or_b32_e32 v23, 16, v20
	v_or_b32_e32 v24, 17, v20
	;; [unrolled: 7-line block ×7, first 2 shown]
	v_cmp_gt_i32_e32 vcc, s33, v23
	v_cmp_gt_i32_e64 s[0:1], s33, v20
	v_cndmask_b32_e32 v23, v21, v36, vcc
	v_cndmask_b32_e64 v20, v21, v37, s[0:1]
	v_max3_f32 v26, v22, v23, v20
	v_mbcnt_lo_u32_b32 v20, -1, 0
	v_mbcnt_hi_u32_b32 v27, -1, v20
	v_and_b32_e32 v20, 64, v27
	v_add_u32_e32 v28, 64, v20
	v_xor_b32_e32 v20, 32, v27
	v_cmp_lt_i32_e64 s[38:39], v20, v28
	v_cndmask_b32_e64 v20, v27, v20, s[38:39]
	v_lshlrev_b32_e32 v58, 2, v20
	ds_bpermute_b32 v29, v58, v26
	s_waitcnt vmcnt(4)
	v_mad_i64_i32 v[20:21], s[38:39], v57, s41, 0
	v_lshlrev_b64 v[20:21], 1, v[20:21]
	global_load_dwordx4 v[30:33], v[38:39], off
	global_load_dwordx4 v[22:25], v[38:39], off offset:16
	s_waitcnt lgkmcnt(0)
	v_max_f32_e32 v29, v29, v29
	v_max_f32_e32 v26, v26, v29
	v_xor_b32_e32 v29, 16, v27
	v_cmp_lt_i32_e64 s[38:39], v29, v28
	v_cndmask_b32_e64 v27, v27, v29, s[38:39]
	v_lshlrev_b32_e32 v60, 2, v27
	ds_bpermute_b32 v27, v60, v26
	v_add_co_u32_e64 v20, s[38:39], v62, v20
	v_addc_co_u32_e64 v21, s[38:39], v63, v21, s[38:39]
	s_waitcnt lgkmcnt(0)
	v_max_f32_e32 v27, v27, v27
	v_max_f32_e32 v57, v26, v27
	v_sub_f32_e32 v18, v18, v57
	v_mul_f32_e32 v18, 0x3fb8aa3b, v18
	v_exp_f32_e32 v38, v18
	v_sub_f32_e32 v18, v19, v57
	v_mul_f32_e32 v18, 0x3fb8aa3b, v18
	v_exp_f32_e32 v39, v18
	global_load_dwordx4 v[26:29], v[20:21], off
	s_nop 0
	global_load_dwordx4 v[18:21], v[20:21], off offset:16
	v_sub_f32_e32 v48, v48, v57
	v_mul_f32_e32 v48, 0x3fb8aa3b, v48
	v_sub_f32_e32 v49, v49, v57
	v_exp_f32_e32 v48, v48
	v_mul_f32_e32 v49, 0x3fb8aa3b, v49
	v_sub_f32_e32 v40, v40, v57
	v_exp_f32_e32 v49, v49
	v_mul_f32_e32 v40, 0x3fb8aa3b, v40
	v_sub_f32_e32 v41, v41, v57
	v_cndmask_b32_e64 v38, 0, v38, s[28:29]
	v_exp_f32_e32 v40, v40
	v_mul_f32_e32 v41, 0x3fb8aa3b, v41
	v_sub_f32_e32 v50, v50, v57
	v_add_f32_e32 v59, 0, v38
	v_cndmask_b32_e64 v39, 0, v39, s[30:31]
	v_exp_f32_e32 v41, v41
	v_mul_f32_e32 v50, 0x3fb8aa3b, v50
	v_sub_f32_e32 v51, v51, v57
	v_add_f32_e32 v59, v59, v39
	;; [unrolled: 5-line block ×10, first 2 shown]
	v_cndmask_b32_e64 v46, 0, v46, s[10:11]
	v_exp_f32_e32 v36, v36
	v_mul_f32_e32 v37, 0x3fb8aa3b, v37
	v_add_f32_e32 v59, v59, v46
	v_cndmask_b32_e64 v47, 0, v47, s[12:13]
	v_exp_f32_e32 v37, v37
	v_add_f32_e32 v59, v59, v47
	v_cndmask_b32_e64 v44, 0, v44, s[2:3]
	v_add_f32_e32 v59, v59, v44
	v_cndmask_b32_e64 v45, 0, v45, s[8:9]
	v_add_f32_e32 v59, v59, v45
	v_cndmask_b32_e32 v36, 0, v36, vcc
	v_add_f32_e32 v59, v59, v36
	v_cndmask_b32_e64 v37, 0, v37, s[0:1]
	v_add_f32_e32 v59, v59, v37
	ds_bpermute_b32 v58, v58, v59
	v_cmp_gt_u32_e32 vcc, 16, v56
	s_waitcnt lgkmcnt(0)
	s_barrier
	v_add_f32_e32 v59, v59, v58
	ds_bpermute_b32 v60, v60, v59
	v_lshlrev_b32_e32 v58, 2, v54
	s_and_saveexec_b64 s[0:1], vcc
	s_cbranch_execz .LBB287_15
; %bb.14:
	s_waitcnt lgkmcnt(0)
	v_add_f32_e32 v56, v59, v60
	v_lshl_or_b32 v59, v55, 6, v58
	ds_write2st64_b32 v59, v57, v56 offset1:1
.LBB287_15:
	s_or_b64 exec, exec, s[0:1]
	s_load_dword s2, s[4:5], 0x94
	s_waitcnt lgkmcnt(0)
	s_barrier
	ds_read2_b32 v[60:61], v58 offset1:16
	ds_read2_b32 v[62:63], v58 offset0:32 offset1:48
	ds_read2_b32 v[64:65], v58 offset0:64 offset1:80
	ds_read2_b32 v[58:59], v58 offset0:96 offset1:112
	s_movk_i32 s8, 0x7fff
	s_waitcnt lgkmcnt(3)
	v_max3_f32 v56, v60, s42, v61
	s_waitcnt lgkmcnt(2)
	v_max3_f32 v56, v56, v62, v63
	v_sub_f32_e32 v57, v60, v56
	v_mul_f32_e32 v57, 0x3fb8aa3b, v57
	v_exp_f32_e32 v60, v57
	v_sub_f32_e32 v57, v61, v56
	v_mul_f32_e32 v57, 0x3fb8aa3b, v57
	v_exp_f32_e32 v61, v57
	v_sub_f32_e32 v57, v62, v56
	v_mul_f32_e32 v57, 0x3fb8aa3b, v57
	v_exp_f32_e32 v62, v57
	v_sub_f32_e32 v57, v63, v56
	v_mul_f32_e32 v57, 0x3fb8aa3b, v57
	v_exp_f32_e32 v63, v57
	s_waitcnt lgkmcnt(1)
	v_fma_f32 v57, v60, v64, 0
	v_fmac_f32_e32 v57, v61, v65
	s_waitcnt lgkmcnt(0)
	v_fmac_f32_e32 v57, v62, v58
	v_fmac_f32_e32 v57, v63, v59
	v_add_f32_e32 v58, 0x358637bd, v57
	v_div_scale_f32 v59, s[0:1], v58, v58, 1.0
	v_rcp_f32_e32 v64, v59
	s_mov_b32 s9, 0x7060302
	s_barrier
	v_fma_f32 v65, -v59, v64, 1.0
	v_fmac_f32_e32 v64, v65, v64
	v_div_scale_f32 v65, vcc, 1.0, v58, 1.0
	v_mul_f32_e32 v66, v65, v64
	v_fma_f32 v67, -v59, v66, v65
	v_fmac_f32_e32 v66, v67, v64
	v_fma_f32 v59, -v59, v66, v65
	v_div_fmas_f32 v59, v59, v64, v66
	v_cmp_eq_u32_e32 vcc, 1, v55
	v_div_fixup_f32 v58, v59, v58, 1.0
	v_cndmask_b32_e32 v59, v60, v61, vcc
	v_cmp_eq_u32_e32 vcc, 2, v55
	v_cndmask_b32_e32 v59, v59, v62, vcc
	v_cmp_eq_u32_e32 vcc, 3, v55
	v_cndmask_b32_e32 v59, v59, v63, vcc
	v_mul_f32_e32 v58, v59, v58
	v_pk_mul_f32 v[38:39], v[58:59], v[38:39] op_sel_hi:[0,1]
	v_pk_mul_f32 v[48:49], v[58:59], v[48:49] op_sel_hi:[0,1]
	v_bfe_u32 v59, v39, 16, 1
	v_bfe_u32 v60, v38, 16, 1
	v_add3_u32 v38, v38, v60, s8
	v_add3_u32 v39, v39, v59, s8
	v_perm_b32 v60, v39, v38, s9
	v_bfe_u32 v38, v49, 16, 1
	v_bfe_u32 v39, v48, 16, 1
	v_add3_u32 v39, v48, v39, s8
	v_add3_u32 v38, v49, v38, s8
	v_perm_b32 v61, v38, v39, s9
	v_lshlrev_b32_e32 v38, 3, v53
	v_lshlrev_b32_e32 v39, 5, v54
	;; [unrolled: 1-line block ×3, first 2 shown]
	v_pk_mul_f32 v[40:41], v[58:59], v[40:41] op_sel_hi:[0,1]
	v_or3_b32 v38, v48, v39, v38
	v_pk_mul_f32 v[48:49], v[58:59], v[50:51] op_sel_hi:[0,1]
	v_bfe_u32 v50, v41, 16, 1
	v_bfe_u32 v51, v40, 16, 1
	v_add3_u32 v40, v40, v51, s8
	v_add3_u32 v41, v41, v50, s8
	v_perm_b32 v40, v41, v40, s9
	v_bfe_u32 v41, v49, 16, 1
	v_bfe_u32 v50, v48, 16, 1
	v_add3_u32 v48, v48, v50, s8
	v_add3_u32 v41, v49, v41, s8
	v_perm_b32 v41, v41, v48, s9
	v_pk_mul_f32 v[42:43], v[58:59], v[42:43] op_sel_hi:[0,1]
	ds_write2st64_b64 v38, v[60:61], v[40:41] offset1:1
	v_pk_mul_f32 v[40:41], v[58:59], v[46:47] op_sel_hi:[0,1]
	v_bfe_u32 v46, v43, 16, 1
	v_bfe_u32 v47, v42, 16, 1
	v_add3_u32 v42, v42, v47, s8
	v_add3_u32 v43, v43, v46, s8
	v_perm_b32 v42, v43, v42, s9
	v_bfe_u32 v43, v41, 16, 1
	v_bfe_u32 v46, v40, 16, 1
	v_add3_u32 v40, v40, v46, s8
	v_add3_u32 v41, v41, v43, s8
	v_perm_b32 v43, v41, v40, s9
	v_pk_mul_f32 v[40:41], v[58:59], v[44:45] op_sel_hi:[0,1]
	v_bfe_u32 v44, v41, 16, 1
	v_bfe_u32 v45, v40, 16, 1
	v_pk_mul_f32 v[36:37], v[58:59], v[36:37] op_sel_hi:[0,1]
	v_add3_u32 v40, v40, v45, s8
	v_add3_u32 v41, v41, v44, s8
	v_perm_b32 v40, v41, v40, s9
	v_bfe_u32 v41, v37, 16, 1
	v_bfe_u32 v44, v36, 16, 1
	v_add3_u32 v36, v36, v44, s8
	v_add3_u32 v37, v37, v41, s8
	s_lshl_b32 s3, s40, 2
	v_perm_b32 v41, v37, v36, s9
	v_cmp_gt_u32_e32 vcc, 4, v0
	ds_write2st64_b64 v38, v[42:43], v[40:41] offset0:2 offset1:3
	s_and_saveexec_b64 s[0:1], vcc
	s_cbranch_execz .LBB287_17
; %bb.16:
	v_or_b32_e32 v36, s27, v0
	v_mov_b32_e32 v37, 0
	v_mov_b32_e32 v40, s3
	v_mad_u64_u32 v[40:41], s[10:11], s6, v40, v[36:37]
	v_mov_b32_e32 v36, s26
	s_load_dwordx4 s[12:15], s[4:5], 0x58
	s_mul_i32 s7, s7, s3
	v_mad_u64_u32 v[36:37], s[10:11], v40, s2, v[36:37]
	v_add_u32_e32 v41, s7, v41
	v_mov_b32_e32 v40, v37
	v_mad_u64_u32 v[40:41], s[10:11], v41, s2, v[40:41]
	v_mov_b32_e32 v37, v40
	v_lshlrev_b64 v[36:37], 2, v[36:37]
	s_waitcnt lgkmcnt(0)
	v_mov_b32_e32 v41, s15
	v_add_co_u32_e32 v40, vcc, s14, v36
	v_addc_co_u32_e32 v41, vcc, v41, v37, vcc
	global_store_dword v[40:41], v56, off
	v_mov_b32_e32 v40, s13
	v_add_co_u32_e32 v36, vcc, s12, v36
	v_addc_co_u32_e32 v37, vcc, v40, v37, vcc
	global_store_dword v[36:37], v57, off
.LBB287_17:
	s_or_b64 exec, exec, s[0:1]
	v_lshl_or_b32 v36, v53, 9, v39
	s_waitcnt lgkmcnt(0)
	s_barrier
	ds_read_b128 v[40:43], v36
	ds_read_b128 v[44:47], v36 offset:16
	s_waitcnt vmcnt(7) lgkmcnt(1)
	v_mfma_f32_16x16x16bf16_1k v[48:51], v[14:15], v[40:41], 0
	s_mov_b32 s1, 0
	v_mfma_f32_16x16x16bf16_1k v[14:17], v[16:17], v[42:43], v[48:51]
	s_waitcnt vmcnt(6) lgkmcnt(0)
	v_mfma_f32_16x16x16bf16_1k v[14:17], v[10:11], v[44:45], v[14:17]
	v_mfma_f32_16x16x16bf16_1k v[10:13], v[12:13], v[46:47], v[14:17]
	s_nop 7
	s_nop 1
	ds_read_b128 v[14:17], v36 offset:2048
	ds_read_b128 v[40:43], v36 offset:2064
	s_waitcnt vmcnt(5) lgkmcnt(1)
	v_mfma_f32_16x16x16bf16_1k v[10:13], v[6:7], v[14:15], v[10:13]
	v_mfma_f32_16x16x16bf16_1k v[6:9], v[8:9], v[16:17], v[10:13]
	s_waitcnt vmcnt(4) lgkmcnt(0)
	v_mfma_f32_16x16x16bf16_1k v[6:9], v[2:3], v[40:41], v[6:9]
	v_mfma_f32_16x16x16bf16_1k v[2:5], v[4:5], v[42:43], v[6:9]
	s_nop 7
	s_nop 1
	ds_read_b128 v[6:9], v36 offset:4096
	ds_read_b128 v[10:13], v36 offset:4112
	s_waitcnt vmcnt(3) lgkmcnt(1)
	v_mfma_f32_16x16x16bf16_1k v[2:5], v[30:31], v[6:7], v[2:5]
	v_mfma_f32_16x16x16bf16_1k v[2:5], v[32:33], v[8:9], v[2:5]
	s_waitcnt vmcnt(2) lgkmcnt(0)
	v_mfma_f32_16x16x16bf16_1k v[2:5], v[22:23], v[10:11], v[2:5]
	v_mfma_f32_16x16x16bf16_1k v[2:5], v[24:25], v[12:13], v[2:5]
	ds_read_b128 v[6:9], v36 offset:6144
	ds_read_b128 v[10:13], v36 offset:6160
	s_waitcnt lgkmcnt(0)
	s_barrier
	s_waitcnt vmcnt(1)
	v_mfma_f32_16x16x16bf16_1k v[2:5], v[26:27], v[6:7], v[2:5]
	v_mfma_f32_16x16x16bf16_1k v[2:5], v[28:29], v[8:9], v[2:5]
	s_waitcnt vmcnt(0)
	v_mfma_f32_16x16x16bf16_1k v[2:5], v[18:19], v[10:11], v[2:5]
	v_mfma_f32_16x16x16bf16_1k v[2:5], v[20:21], v[12:13], v[2:5]
	s_nop 7
	s_nop 2
	v_bfe_u32 v6, v3, 16, 1
	v_bfe_u32 v7, v2, 16, 1
	;; [unrolled: 1-line block ×4, first 2 shown]
	v_add3_u32 v2, v2, v7, s8
	v_add3_u32 v3, v3, v6, s8
	;; [unrolled: 1-line block ×4, first 2 shown]
	v_perm_b32 v2, v3, v2, s9
	v_perm_b32 v3, v5, v4, s9
	ds_write_b64 v38, v[2:3]
	s_waitcnt lgkmcnt(0)
	s_barrier
	s_and_saveexec_b64 s[8:9], s[44:45]
	s_cbranch_execz .LBB287_19
; %bb.18:
	s_load_dwordx2 s[4:5], s[4:5], 0x68
	s_lshl_b32 s7, s2, 6
	s_mul_i32 s0, s3, s6
	s_mul_hi_u32 s3, s0, s7
	s_mul_i32 s2, s0, s7
	s_lshl_b64 s[2:3], s[2:3], 1
	s_waitcnt lgkmcnt(0)
	s_add_u32 s2, s4, s2
	v_lshlrev_b32_e32 v2, 10, v0
	v_lshlrev_b32_e32 v0, 4, v0
	s_addc_u32 s3, s5, s3
	s_lshl_b32 s0, s26, 6
	v_and_b32_e32 v2, 0x1800, v2
	v_and_b32_e32 v0, 16, v0
	s_lshl_b64 s[0:1], s[0:1], 1
	v_or3_b32 v0, v2, v52, v0
	s_add_u32 s2, s2, s0
	ds_read_b128 v[2:5], v0
	s_addc_u32 s3, s3, s1
	v_mad_u64_u32 v[0:1], s[0:1], s7, v1, 0
	v_lshlrev_b64 v[0:1], 1, v[0:1]
	v_mov_b32_e32 v6, s3
	v_add_co_u32_e32 v0, vcc, s2, v0
	v_addc_co_u32_e32 v1, vcc, v6, v1, vcc
	v_add_co_u32_e32 v0, vcc, v0, v34
	v_addc_co_u32_e32 v1, vcc, v1, v35, vcc
	s_waitcnt lgkmcnt(0)
	global_store_dwordx4 v[0:1], v[2:5], off
.LBB287_19:
	s_endpgm
	.section	.rodata,"a",@progbits
	.p2align	6, 0x0
	.amdhsa_kernel _Z39paged_attention_ll4mi_QKV_mfma16_kernelI14__hip_bfloat16S0_LN4vllm18Fp8KVCacheDataTypeE0ES0_Li32ELi64ELi256ELb0ELi4EL8MFMAType0EEvPKT_PKT0_S9_ifPKiSB_SB_iPKfiiiPfSE_PS4_PT2_iSD_SD_
		.amdhsa_group_segment_fixed_size 8192
		.amdhsa_private_segment_fixed_size 0
		.amdhsa_kernarg_size 400
		.amdhsa_user_sgpr_count 6
		.amdhsa_user_sgpr_private_segment_buffer 1
		.amdhsa_user_sgpr_dispatch_ptr 0
		.amdhsa_user_sgpr_queue_ptr 0
		.amdhsa_user_sgpr_kernarg_segment_ptr 1
		.amdhsa_user_sgpr_dispatch_id 0
		.amdhsa_user_sgpr_flat_scratch_init 0
		.amdhsa_user_sgpr_kernarg_preload_length 0
		.amdhsa_user_sgpr_kernarg_preload_offset 0
		.amdhsa_user_sgpr_private_segment_size 0
		.amdhsa_uses_dynamic_stack 0
		.amdhsa_system_sgpr_private_segment_wavefront_offset 0
		.amdhsa_system_sgpr_workgroup_id_x 1
		.amdhsa_system_sgpr_workgroup_id_y 1
		.amdhsa_system_sgpr_workgroup_id_z 1
		.amdhsa_system_sgpr_workgroup_info 0
		.amdhsa_system_vgpr_workitem_id 0
		.amdhsa_next_free_vgpr 68
		.amdhsa_next_free_sgpr 46
		.amdhsa_accum_offset 68
		.amdhsa_reserve_vcc 1
		.amdhsa_reserve_flat_scratch 0
		.amdhsa_float_round_mode_32 0
		.amdhsa_float_round_mode_16_64 0
		.amdhsa_float_denorm_mode_32 3
		.amdhsa_float_denorm_mode_16_64 3
		.amdhsa_dx10_clamp 1
		.amdhsa_ieee_mode 1
		.amdhsa_fp16_overflow 0
		.amdhsa_tg_split 0
		.amdhsa_exception_fp_ieee_invalid_op 0
		.amdhsa_exception_fp_denorm_src 0
		.amdhsa_exception_fp_ieee_div_zero 0
		.amdhsa_exception_fp_ieee_overflow 0
		.amdhsa_exception_fp_ieee_underflow 0
		.amdhsa_exception_fp_ieee_inexact 0
		.amdhsa_exception_int_div_zero 0
	.end_amdhsa_kernel
	.section	.text._Z39paged_attention_ll4mi_QKV_mfma16_kernelI14__hip_bfloat16S0_LN4vllm18Fp8KVCacheDataTypeE0ES0_Li32ELi64ELi256ELb0ELi4EL8MFMAType0EEvPKT_PKT0_S9_ifPKiSB_SB_iPKfiiiPfSE_PS4_PT2_iSD_SD_,"axG",@progbits,_Z39paged_attention_ll4mi_QKV_mfma16_kernelI14__hip_bfloat16S0_LN4vllm18Fp8KVCacheDataTypeE0ES0_Li32ELi64ELi256ELb0ELi4EL8MFMAType0EEvPKT_PKT0_S9_ifPKiSB_SB_iPKfiiiPfSE_PS4_PT2_iSD_SD_,comdat
.Lfunc_end287:
	.size	_Z39paged_attention_ll4mi_QKV_mfma16_kernelI14__hip_bfloat16S0_LN4vllm18Fp8KVCacheDataTypeE0ES0_Li32ELi64ELi256ELb0ELi4EL8MFMAType0EEvPKT_PKT0_S9_ifPKiSB_SB_iPKfiiiPfSE_PS4_PT2_iSD_SD_, .Lfunc_end287-_Z39paged_attention_ll4mi_QKV_mfma16_kernelI14__hip_bfloat16S0_LN4vllm18Fp8KVCacheDataTypeE0ES0_Li32ELi64ELi256ELb0ELi4EL8MFMAType0EEvPKT_PKT0_S9_ifPKiSB_SB_iPKfiiiPfSE_PS4_PT2_iSD_SD_
                                        ; -- End function
	.section	.AMDGPU.csdata,"",@progbits
; Kernel info:
; codeLenInByte = 4212
; NumSgprs: 50
; NumVgprs: 68
; NumAgprs: 0
; TotalNumVgprs: 68
; ScratchSize: 0
; MemoryBound: 0
; FloatMode: 240
; IeeeMode: 1
; LDSByteSize: 8192 bytes/workgroup (compile time only)
; SGPRBlocks: 6
; VGPRBlocks: 8
; NumSGPRsForWavesPerEU: 50
; NumVGPRsForWavesPerEU: 68
; AccumOffset: 68
; Occupancy: 7
; WaveLimiterHint : 1
; COMPUTE_PGM_RSRC2:SCRATCH_EN: 0
; COMPUTE_PGM_RSRC2:USER_SGPR: 6
; COMPUTE_PGM_RSRC2:TRAP_HANDLER: 0
; COMPUTE_PGM_RSRC2:TGID_X_EN: 1
; COMPUTE_PGM_RSRC2:TGID_Y_EN: 1
; COMPUTE_PGM_RSRC2:TGID_Z_EN: 1
; COMPUTE_PGM_RSRC2:TIDIG_COMP_CNT: 0
; COMPUTE_PGM_RSRC3_GFX90A:ACCUM_OFFSET: 16
; COMPUTE_PGM_RSRC3_GFX90A:TG_SPLIT: 0
	.section	.text._Z38paged_attention_ll4mi_QKV_mfma4_kernelI14__hip_bfloat16S0_LN4vllm18Fp8KVCacheDataTypeE0ES0_Li16ELi128ELi256ELb1ELi1EEvPKT_PKT0_S8_ifPKiSA_SA_iPKfiiiPfSD_PS3_PT2_iSC_SC_,"axG",@progbits,_Z38paged_attention_ll4mi_QKV_mfma4_kernelI14__hip_bfloat16S0_LN4vllm18Fp8KVCacheDataTypeE0ES0_Li16ELi128ELi256ELb1ELi1EEvPKT_PKT0_S8_ifPKiSA_SA_iPKfiiiPfSD_PS3_PT2_iSC_SC_,comdat
	.protected	_Z38paged_attention_ll4mi_QKV_mfma4_kernelI14__hip_bfloat16S0_LN4vllm18Fp8KVCacheDataTypeE0ES0_Li16ELi128ELi256ELb1ELi1EEvPKT_PKT0_S8_ifPKiSA_SA_iPKfiiiPfSD_PS3_PT2_iSC_SC_ ; -- Begin function _Z38paged_attention_ll4mi_QKV_mfma4_kernelI14__hip_bfloat16S0_LN4vllm18Fp8KVCacheDataTypeE0ES0_Li16ELi128ELi256ELb1ELi1EEvPKT_PKT0_S8_ifPKiSA_SA_iPKfiiiPfSD_PS3_PT2_iSC_SC_
	.globl	_Z38paged_attention_ll4mi_QKV_mfma4_kernelI14__hip_bfloat16S0_LN4vllm18Fp8KVCacheDataTypeE0ES0_Li16ELi128ELi256ELb1ELi1EEvPKT_PKT0_S8_ifPKiSA_SA_iPKfiiiPfSD_PS3_PT2_iSC_SC_
	.p2align	8
	.type	_Z38paged_attention_ll4mi_QKV_mfma4_kernelI14__hip_bfloat16S0_LN4vllm18Fp8KVCacheDataTypeE0ES0_Li16ELi128ELi256ELb1ELi1EEvPKT_PKT0_S8_ifPKiSA_SA_iPKfiiiPfSD_PS3_PT2_iSC_SC_,@function
_Z38paged_attention_ll4mi_QKV_mfma4_kernelI14__hip_bfloat16S0_LN4vllm18Fp8KVCacheDataTypeE0ES0_Li16ELi128ELi256ELb1ELi1EEvPKT_PKT0_S8_ifPKiSA_SA_iPKfiiiPfSD_PS3_PT2_iSC_SC_: ; @_Z38paged_attention_ll4mi_QKV_mfma4_kernelI14__hip_bfloat16S0_LN4vllm18Fp8KVCacheDataTypeE0ES0_Li16ELi128ELi256ELb1ELi1EEvPKT_PKT0_S8_ifPKiSA_SA_iPKfiiiPfSD_PS3_PT2_iSC_SC_
; %bb.0:
	s_load_dwordx2 s[2:3], s[4:5], 0x30
	s_mov_b32 s20, s7
	s_mov_b64 s[0:1], 0
	s_waitcnt lgkmcnt(0)
	s_cmp_lg_u64 s[2:3], 0
	s_cselect_b64 s[10:11], -1, 0
	s_and_b64 vcc, exec, s[10:11]
	s_cbranch_vccz .LBB288_10
; %bb.1:
	s_add_i32 s12, s6, 1
	s_mov_b32 s13, 0
	s_lshl_b64 s[14:15], s[12:13], 2
	s_add_u32 s14, s2, s14
	s_mov_b32 s7, s13
	s_addc_u32 s15, s3, s15
	s_lshl_b64 s[12:13], s[6:7], 2
	s_add_u32 s12, s2, s12
	s_addc_u32 s13, s3, s13
	s_load_dword s9, s[14:15], 0x0
	s_load_dword s16, s[12:13], 0x0
	s_waitcnt lgkmcnt(0)
	s_sub_i32 s9, s9, s16
	s_cmp_eq_u32 s9, 1
	s_cselect_b64 s[12:13], -1, 0
	s_andn2_b64 vcc, exec, s[0:1]
	s_cbranch_vccnz .LBB288_3
.LBB288_2:
	s_mov_b32 s7, 0
	s_mov_b64 s[12:13], -1
.LBB288_3:
	s_andn2_b64 vcc, exec, s[12:13]
	s_cbranch_vccnz .LBB288_27
; %bb.4:
	s_load_dword s9, s[4:5], 0x9c
	s_load_dwordx2 s[0:1], s[4:5], 0x28
	s_add_u32 s24, s4, 0x90
	s_addc_u32 s25, s5, 0
	s_lshl_b64 s[16:17], s[6:7], 2
	s_waitcnt lgkmcnt(0)
	s_and_b32 s9, s9, 0xffff
	s_add_u32 s0, s0, s16
	s_addc_u32 s1, s1, s17
	s_load_dword s21, s[0:1], 0x0
	s_mul_i32 s9, s20, s9
	s_waitcnt lgkmcnt(0)
	s_cmp_ge_i32 s9, s21
	s_cbranch_scc1 .LBB288_27
; %bb.5:
	v_and_b32_e32 v1, 0xc0, v0
	v_add_u32_e32 v2, s9, v1
	v_lshrrev_b32_e32 v88, 6, v0
	v_cmp_le_i32_e64 s[0:1], s21, v2
                                        ; implicit-def: $sgpr19
                                        ; implicit-def: $sgpr18
	s_and_saveexec_b64 s[12:13], s[0:1]
	s_xor_b64 s[12:13], exec, s[12:13]
	s_cbranch_execz .LBB288_7
; %bb.6:
	v_mul_u32_u24_e32 v1, 20, v88
	v_or_b32_e32 v1, 0x1400, v1
	v_mov_b32_e32 v2, 0x1450
	v_mov_b32_e32 v3, 0xff7fffff
	v_mad_u32_u24 v2, v88, 20, v2
	ds_write2_b32 v1, v3, v3 offset1:1
	v_mov_b32_e32 v1, 0
	ds_write2_b32 v2, v1, v1 offset1:1
	v_mov_b32_e32 v2, 0x1408
	s_mov_b32 s18, 0xff7fffff
	s_mov_b32 s19, 0
	v_mad_u32_u24 v2, v88, 20, v2
	v_mov_b32_e32 v4, 0x1458
	v_mad_u32_u24 v4, v88, 20, v4
	ds_write2_b32 v2, v3, v3 offset1:1
	ds_write2_b32 v4, v1, v1 offset1:1
                                        ; implicit-def: $vgpr2
.LBB288_7:
	s_or_saveexec_b64 s[26:27], s[12:13]
	s_load_dwordx2 s[22:23], s[4:5], 0x68
	s_load_dwordx4 s[12:15], s[4:5], 0x58
	s_load_dword s7, s[24:25], 0x4
	v_and_b32_e32 v1, 63, v0
	v_and_b32_e32 v89, 3, v0
	v_mov_b32_e32 v69, s19
	v_mov_b32_e32 v72, s18
	;; [unrolled: 1-line block ×5, first 2 shown]
                                        ; implicit-def: $vgpr3
                                        ; implicit-def: $vgpr11
                                        ; implicit-def: $vgpr23
                                        ; implicit-def: $vgpr31
                                        ; implicit-def: $vgpr47
                                        ; implicit-def: $vgpr35
                                        ; implicit-def: $vgpr51
                                        ; implicit-def: $vgpr55
                                        ; implicit-def: $vgpr15
                                        ; implicit-def: $vgpr7
                                        ; implicit-def: $vgpr19
                                        ; implicit-def: $vgpr27
                                        ; implicit-def: $vgpr39
                                        ; implicit-def: $vgpr43
                                        ; implicit-def: $vgpr59
                                        ; implicit-def: $vgpr63
	s_xor_b64 exec, exec, s[26:27]
	s_cbranch_execz .LBB288_19
; %bb.8:
	s_add_i32 s29, s21, 15
	s_load_dwordx2 s[18:19], s[4:5], 0x20
	s_load_dword s28, s[4:5], 0x38
	s_ashr_i32 s30, s29, 31
	s_lshr_b32 s30, s30, 28
	v_add_u32_e32 v90, s9, v0
	s_add_i32 s29, s29, s30
	v_ashrrev_i32_e32 v3, 31, v90
	s_ashr_i32 s29, s29, 4
	v_lshrrev_b32_e32 v3, 28, v3
	s_add_i32 s30, s29, -1
	v_add_u32_e32 v3, v90, v3
	s_waitcnt lgkmcnt(0)
	s_mul_i32 s28, s6, s28
	s_mov_b32 s29, 0
	v_ashrrev_i32_e32 v3, 4, v3
	v_mov_b32_e32 v4, s30
	v_cmp_gt_i32_e32 vcc, s21, v90
	s_lshl_b64 s[28:29], s[28:29], 2
	v_cndmask_b32_e32 v4, v4, v3, vcc
	s_add_u32 s18, s18, s28
	v_ashrrev_i32_e32 v5, 31, v4
	s_addc_u32 s19, s19, s29
	v_lshlrev_b64 v[4:5], 2, v[4:5]
	v_mov_b32_e32 v3, s19
	v_add_co_u32_e32 v4, vcc, s18, v4
	v_addc_co_u32_e32 v5, vcc, v3, v5, vcc
	v_ashrrev_i32_e32 v3, 31, v2
	v_lshrrev_b32_e32 v3, 28, v3
	v_add_u32_e32 v2, v2, v3
	v_ashrrev_i32_e32 v12, 4, v2
	v_min_i32_e32 v2, s30, v12
	v_ashrrev_i32_e32 v3, 31, v2
	v_lshlrev_b64 v[2:3], 2, v[2:3]
	v_add_co_u32_e32 v6, vcc, s18, v2
	v_add_u32_e32 v2, 1, v12
	v_mov_b32_e32 v7, s19
	v_min_i32_e32 v2, s30, v2
	v_addc_co_u32_e32 v7, vcc, v7, v3, vcc
	v_ashrrev_i32_e32 v3, 31, v2
	v_lshlrev_b64 v[2:3], 2, v[2:3]
	v_add_co_u32_e32 v8, vcc, s18, v2
	v_add_u32_e32 v2, 2, v12
	v_mov_b32_e32 v9, s19
	v_min_i32_e32 v2, s30, v2
	v_addc_co_u32_e32 v9, vcc, v9, v3, vcc
	;; [unrolled: 7-line block ×3, first 2 shown]
	v_ashrrev_i32_e32 v3, 31, v2
	v_lshlrev_b64 v[2:3], 2, v[2:3]
	v_mov_b32_e32 v13, s19
	v_add_co_u32_e32 v12, vcc, s18, v2
	v_addc_co_u32_e32 v13, vcc, v13, v3, vcc
	global_load_dword v3, v[4:5], off
	global_load_dword v2, v[6:7], off
	;; [unrolled: 1-line block ×5, first 2 shown]
	s_load_dwordx2 s[30:31], s[4:5], 0x8
	s_andn2_b64 vcc, exec, s[10:11]
	s_cbranch_vccnz .LBB288_11
; %bb.9:
	s_add_u32 s2, s2, s16
	s_addc_u32 s3, s3, s17
	s_load_dword s9, s[2:3], 0x0
	s_branch .LBB288_12
.LBB288_10:
	s_mov_b64 s[12:13], 0
	s_branch .LBB288_2
.LBB288_11:
	s_mov_b32 s9, s6
.LBB288_12:
	s_load_dwordx2 s[10:11], s[4:5], 0x10
	s_load_dwordx4 s[16:19], s[4:5], 0x48
	v_cmp_eq_u32_e32 vcc, 0, v89
	s_mov_b32 s29, 0
	v_mov_b32_e32 v91, 0
	v_mov_b32_e32 v56, 0
	;; [unrolled: 1-line block ×5, first 2 shown]
	s_and_saveexec_b64 s[2:3], vcc
	s_cbranch_execz .LBB288_14
; %bb.13:
	s_load_dwordx2 s[34:35], s[4:5], 0x0
	s_waitcnt lgkmcnt(0)
	s_ashr_i32 s19, s16, 31
	s_mul_hi_u32 s28, s9, s16
	s_mul_i32 s19, s9, s19
	s_add_i32 s37, s28, s19
	s_mul_i32 s36, s9, s16
	s_lshl_b64 s[36:37], s[36:37], 1
	s_add_u32 s9, s34, s36
	s_addc_u32 s16, s35, s37
	s_lshl_b32 s28, s8, 7
	s_lshl_b64 s[34:35], s[28:29], 1
	s_add_u32 s34, s9, s34
	s_addc_u32 s35, s16, s35
	v_lshlrev_b32_e32 v4, 2, v1
	global_load_dwordx4 v[56:59], v4, s[34:35]
.LBB288_14:
	s_or_b64 exec, exec, s[2:3]
	s_waitcnt lgkmcnt(0)
	s_mul_i32 s28, s8, s18
	s_waitcnt vmcnt(4)
	v_mad_i64_i32 v[4:5], s[2:3], v3, s17, 0
	s_lshl_b64 s[18:19], s[28:29], 1
	s_add_u32 s2, s18, s30
	v_lshlrev_b64 v[4:5], 1, v[4:5]
	s_addc_u32 s3, s19, s31
	v_mov_b32_e32 v3, s3
	v_add_co_u32_e64 v4, s[2:3], s2, v4
	v_addc_co_u32_e64 v3, s[2:3], v3, v5, s[2:3]
	v_and_b32_e32 v5, 15, v0
	v_lshlrev_b32_e32 v5, 4, v5
	v_add_co_u32_e64 v4, s[2:3], v4, v5
	v_addc_co_u32_e64 v5, s[2:3], 0, v3, s[2:3]
	global_load_dwordx4 v[84:87], v[4:5], off
	global_load_dwordx4 v[30:33], v[4:5], off offset:256
	global_load_dwordx4 v[26:29], v[4:5], off offset:512
	;; [unrolled: 1-line block ×15, first 2 shown]
	v_mov_b32_e32 v93, 0
	s_and_saveexec_b64 s[2:3], vcc
	s_cbranch_execz .LBB288_16
; %bb.15:
	s_load_dwordx2 s[30:31], s[4:5], 0x40
	s_mov_b32 s9, s29
	s_lshl_b64 s[28:29], s[8:9], 2
	v_mov_b32_e32 v91, 1.0
	s_waitcnt lgkmcnt(0)
	s_add_u32 s28, s30, s28
	s_addc_u32 s29, s31, s29
	s_load_dword s9, s[28:29], 0x0
	s_waitcnt lgkmcnt(0)
	v_mov_b32_e32 v93, s9
.LBB288_16:
	s_or_b64 exec, exec, s[2:3]
	s_waitcnt vmcnt(15)
	v_mfma_f32_4x4x4bf16_1k a[0:3], v[56:57], v[84:85], 0 cbsz:4
	v_mul_hi_i32 v3, v2, s17
	v_mfma_f32_4x4x4bf16_1k a[0:3], v[58:59], v[86:87], a[0:3] cbsz:4
	v_ashrrev_i32_e32 v3, 31, v3
	s_waitcnt vmcnt(14)
	v_mfma_f32_4x4x4bf16_1k a[0:3], v[56:57], v[30:31], a[0:3] cbsz:4 abid:1
	v_lshrrev_b32_e32 v94, 29, v3
	v_mfma_f32_4x4x4bf16_1k a[0:3], v[58:59], v[32:33], a[0:3] cbsz:4 abid:1
	v_mov_b32_e32 v95, 0
	s_waitcnt vmcnt(13)
	v_mfma_f32_4x4x4bf16_1k a[0:3], v[56:57], v[26:27], a[0:3] cbsz:4 abid:2
	s_load_dword s2, s[4:5], 0x1c
	v_mfma_f32_4x4x4bf16_1k a[0:3], v[58:59], v[28:29], a[0:3] cbsz:4 abid:2
	v_mad_i64_i32 v[2:3], s[4:5], v2, s17, v[94:95]
	s_waitcnt vmcnt(12)
	v_mfma_f32_4x4x4bf16_1k a[0:3], v[56:57], v[22:23], a[0:3] cbsz:4 abid:3
	s_add_u32 s3, s10, s18
	v_mfma_f32_4x4x4bf16_1k a[0:3], v[58:59], v[24:25], a[0:3] cbsz:4 abid:3
	v_lshlrev_b64 v[2:3], 1, v[2:3]
	s_waitcnt vmcnt(11)
	v_mfma_f32_4x4x4bf16_1k a[0:3], v[56:57], v[18:19], a[0:3] cbsz:4 abid:4
	v_mul_hi_i32 v94, v92, s17
	v_mfma_f32_4x4x4bf16_1k a[0:3], v[58:59], v[20:21], a[0:3] cbsz:4 abid:4
	s_addc_u32 s9, s11, s19
	s_waitcnt vmcnt(10)
	v_mfma_f32_4x4x4bf16_1k a[0:3], v[56:57], v[80:81], a[0:3] cbsz:4 abid:5
	v_and_b32_e32 v2, -16, v2
	v_mfma_f32_4x4x4bf16_1k a[0:3], v[58:59], v[82:83], a[0:3] cbsz:4 abid:5
	v_ashrrev_i32_e32 v84, 31, v94
	s_waitcnt vmcnt(9)
	v_mfma_f32_4x4x4bf16_1k a[0:3], v[56:57], v[46:47], a[0:3] cbsz:4 abid:6
	v_mov_b32_e32 v4, s9
	v_mfma_f32_4x4x4bf16_1k a[0:3], v[58:59], v[48:49], a[0:3] cbsz:4 abid:6
	v_add_co_u32_e32 v2, vcc, s3, v2
	s_waitcnt vmcnt(8)
	v_mfma_f32_4x4x4bf16_1k a[0:3], v[56:57], v[42:43], a[0:3] cbsz:4 abid:7
	v_lshrrev_b32_e32 v94, 29, v84
	v_mfma_f32_4x4x4bf16_1k a[0:3], v[58:59], v[44:45], a[0:3] cbsz:4 abid:7
	v_addc_co_u32_e32 v3, vcc, v4, v3, vcc
	s_waitcnt vmcnt(7)
	v_mfma_f32_4x4x4bf16_1k a[0:3], v[56:57], v[38:39], a[0:3] cbsz:4 abid:8
	v_lshlrev_b32_e32 v98, 5, v1
	v_mfma_f32_4x4x4bf16_1k a[0:3], v[58:59], v[40:41], a[0:3] cbsz:4 abid:8
	v_mad_i64_i32 v[30:31], s[4:5], v92, s17, v[94:95]
	s_waitcnt vmcnt(6)
	v_mfma_f32_4x4x4bf16_1k a[0:3], v[56:57], v[34:35], a[0:3] cbsz:4 abid:9
	v_add_co_u32_e32 v96, vcc, v2, v98
	v_mfma_f32_4x4x4bf16_1k a[0:3], v[58:59], v[36:37], a[0:3] cbsz:4 abid:9
	v_lshlrev_b64 v[30:31], 1, v[30:31]
	s_waitcnt vmcnt(5)
	v_mfma_f32_4x4x4bf16_1k a[0:3], v[56:57], v[76:77], a[0:3] cbsz:4 abid:10
	v_mul_hi_i32 v80, v55, s17
	v_mfma_f32_4x4x4bf16_1k a[0:3], v[58:59], v[78:79], a[0:3] cbsz:4 abid:10
	v_addc_co_u32_e32 v97, vcc, 0, v3, vcc
	s_waitcnt vmcnt(4)
	v_mfma_f32_4x4x4bf16_1k a[0:3], v[56:57], v[72:73], a[0:3] cbsz:4 abid:11
	v_and_b32_e32 v26, -16, v30
	v_mfma_f32_4x4x4bf16_1k a[0:3], v[58:59], v[74:75], a[0:3] cbsz:4 abid:11
	v_ashrrev_i32_e32 v80, 31, v80
	s_waitcnt vmcnt(3)
	v_mfma_f32_4x4x4bf16_1k a[0:3], v[56:57], v[68:69], a[0:3] cbsz:4 abid:12
	v_mov_b32_e32 v27, s9
	v_mfma_f32_4x4x4bf16_1k a[0:3], v[58:59], v[70:71], a[0:3] cbsz:4 abid:12
	v_add_co_u32_e32 v22, vcc, s3, v26
	s_waitcnt vmcnt(2)
	v_mfma_f32_4x4x4bf16_1k a[0:3], v[56:57], v[64:65], a[0:3] cbsz:4 abid:13
	v_lshrrev_b32_e32 v94, 29, v80
	v_mfma_f32_4x4x4bf16_1k a[0:3], v[58:59], v[66:67], a[0:3] cbsz:4 abid:13
	v_addc_co_u32_e32 v23, vcc, v27, v31, vcc
	v_mad_i64_i32 v[46:47], s[4:5], v55, s17, v[94:95]
	v_add_co_u32_e32 v84, vcc, v22, v98
	v_lshlrev_b64 v[42:43], 1, v[46:47]
	v_mul_hi_i32 v55, v54, s17
	s_waitcnt vmcnt(1)
	v_mfma_f32_4x4x4bf16_1k a[0:3], v[56:57], v[50:51], a[0:3] cbsz:4 abid:14
	v_addc_co_u32_e32 v85, vcc, 0, v23, vcc
	v_and_b32_e32 v42, -16, v42
	v_ashrrev_i32_e32 v55, 31, v55
	v_mov_b32_e32 v38, s9
	v_add_co_u32_e32 v39, vcc, s3, v42
	v_lshrrev_b32_e32 v94, 29, v55
	v_mfma_f32_4x4x4bf16_1k a[0:3], v[58:59], v[52:53], a[0:3] cbsz:4 abid:14
	v_addc_co_u32_e32 v38, vcc, v38, v43, vcc
	v_mad_i64_i32 v[54:55], s[4:5], v54, s17, v[94:95]
	v_add_co_u32_e32 v80, vcc, v39, v98
	v_lshlrev_b64 v[54:55], 1, v[54:55]
	s_waitcnt vmcnt(0)
	v_mfma_f32_4x4x4bf16_1k a[0:3], v[56:57], v[60:61], a[0:3] cbsz:4 abid:15
	v_addc_co_u32_e32 v81, vcc, 0, v38, vcc
	v_and_b32_e32 v54, -16, v54
	v_mov_b32_e32 v64, s9
	v_add_co_u32_e32 v50, vcc, s3, v54
	v_mfma_f32_4x4x4bf16_1k a[0:3], v[58:59], v[62:63], a[0:3] cbsz:4 abid:15
	v_addc_co_u32_e32 v51, vcc, v64, v55, vcc
	global_load_dwordx4 v[2:5], v[96:97], off
	global_load_dwordx4 v[10:13], v[96:97], off offset:16
	global_load_dwordx4 v[14:17], v[96:97], off offset:2048
	;; [unrolled: 1-line block ×3, first 2 shown]
	v_add_co_u32_e32 v66, vcc, v50, v98
	v_accvgpr_read_b32 v59, a1
	v_addc_co_u32_e32 v67, vcc, 0, v51, vcc
	v_accvgpr_read_b32 v58, a0
	global_load_dwordx4 v[22:25], v[84:85], off
	global_load_dwordx4 v[30:33], v[84:85], off offset:16
	global_load_dwordx4 v[18:21], v[84:85], off offset:2048
	;; [unrolled: 1-line block ×3, first 2 shown]
	global_load_dwordx4 v[46:49], v[80:81], off
	global_load_dwordx4 v[34:37], v[80:81], off offset:16
	global_load_dwordx4 v[38:41], v[80:81], off offset:2048
	;; [unrolled: 1-line block ×3, first 2 shown]
	global_load_dwordx4 v[50:53], v[66:67], off
	global_load_dwordx4 v[54:57], v[66:67], off offset:16
	s_waitcnt lgkmcnt(0)
	v_pk_mul_f32 v[68:69], s[2:3], v[58:59] op_sel_hi:[0,1]
	global_load_dwordx4 v[58:61], v[66:67], off offset:2048
	global_load_dwordx4 v[62:65], v[66:67], off offset:2064
	v_accvgpr_read_b32 v67, a3
	v_accvgpr_read_b32 v66, a2
	v_pk_mul_f32 v[66:67], s[2:3], v[66:67] op_sel_hi:[0,1]
	v_mfma_f32_4x4x1f32 a[0:3], v68, v91, 0
	v_cmp_eq_u32_e32 vcc, 1, v89
	v_cndmask_b32_e64 v68, 0, 1.0, vcc
	v_cmp_eq_u32_e32 vcc, 2, v89
	v_mov_b32_e32 v73, 0xff7fffff
	v_mfma_f32_4x4x1f32 a[0:3], v69, v68, a[0:3]
	v_cndmask_b32_e64 v68, 0, 1.0, vcc
	v_cmp_eq_u32_e32 vcc, 3, v89
	s_nop 0
	v_mfma_f32_4x4x1f32 a[0:3], v66, v68, a[0:3]
	v_cndmask_b32_e64 v66, 0, 1.0, vcc
	s_nop 1
	v_mfma_f32_4x4x1f32 a[0:3], v67, v66, a[0:3]
	v_and_b32_e32 v66, -4, v90
	v_subrev_u32_e32 v67, s21, v66
	v_add_u32_e32 v68, 1, v67
	v_cvt_f32_i32_e32 v68, v68
	v_add_u32_e32 v69, 2, v67
	v_cvt_f32_i32_e32 v69, v69
	v_accvgpr_read_b32 v70, a0
	v_fma_f32 v68, v93, v68, v70
	v_accvgpr_read_b32 v70, a1
	v_fma_f32 v69, v93, v69, v70
	v_add_u32_e32 v70, 3, v67
	v_cvt_f32_i32_e32 v70, v70
	v_add_u32_e32 v67, 4, v67
	v_max_f32_e32 v72, 0xff7fffff, v68
	v_cmp_gt_i32_e32 vcc, s21, v66
	v_cvt_f32_i32_e32 v67, v67
	v_cndmask_b32_e32 v72, v73, v72, vcc
	v_or_b32_e32 v73, 1, v66
	v_accvgpr_read_b32 v71, a2
	v_max_f32_e32 v74, v72, v69
	v_cmp_gt_i32_e64 s[2:3], s21, v73
	v_fma_f32 v70, v93, v70, v71
	v_cndmask_b32_e64 v72, v72, v74, s[2:3]
	v_or_b32_e32 v66, 2, v66
	v_accvgpr_read_b32 v71, a3
	v_max_f32_e32 v73, v72, v70
	v_cmp_gt_i32_e64 s[4:5], s21, v66
	v_fmac_f32_e32 v71, v93, v67
	v_cndmask_b32_e64 v66, v72, v73, s[4:5]
	v_or_b32_e32 v72, 3, v90
	v_max_f32_e32 v73, v66, v71
	v_cmp_gt_i32_e64 s[10:11], s21, v72
	v_lshlrev_b32_e32 v67, 2, v0
	v_cndmask_b32_e64 v66, v66, v73, s[10:11]
	v_and_or_b32 v67, v67, 48, v89
	;;#ASMSTART
	v_nop
 v_nop
 v_max_f32_dpp v66, v66, v66 row_ror:4
	;;#ASMEND
	v_lshlrev_b32_e32 v73, 2, v67
	;;#ASMSTART
	v_nop
 v_nop
 v_max_f32_dpp v66, v66, v66 row_ror:8
	;;#ASMEND
	ds_bpermute_b32 v66, v73, v66
	s_waitcnt lgkmcnt(0)
	;;#ASMSTART
	v_nop
 v_nop
 v_max_f32_dpp v66, v66, v66 row_ror:4
	;;#ASMEND
	;;#ASMSTART
	v_nop
 v_nop
 v_max_f32_dpp v72, v66, v66 row_ror:8
	;;#ASMEND
	v_sub_f32_e32 v66, v68, v72
	v_mul_f32_e32 v66, 0x3fb8aa3b, v66
	v_sub_f32_e32 v67, v69, v72
	v_exp_f32_e32 v66, v66
	v_mul_f32_e32 v67, 0x3fb8aa3b, v67
	v_sub_f32_e32 v69, v70, v72
	v_exp_f32_e32 v67, v67
	;; [unrolled: 3-line block ×3, first 2 shown]
	v_mul_f32_e32 v70, 0x3fb8aa3b, v70
	v_exp_f32_e32 v70, v70
	v_cndmask_b32_e32 v66, 0, v66, vcc
	v_add_f32_e32 v68, 0, v66
	v_cndmask_b32_e64 v67, 0, v67, s[2:3]
	v_add_f32_e32 v71, v68, v67
	v_cndmask_b32_e64 v68, 0, v69, s[4:5]
	v_add_f32_e32 v71, v71, v68
	v_cndmask_b32_e64 v69, 0, v70, s[10:11]
	v_add_f32_e32 v70, v71, v69
	;;#ASMSTART
	v_nop
 v_nop
 v_add_f32_dpp v70, v70, v70 row_ror:4
	;;#ASMEND
	;;#ASMSTART
	v_nop
 v_nop
 v_add_f32_dpp v70, v70, v70 row_ror:8
	;;#ASMEND
	ds_bpermute_b32 v70, v73, v70
	s_waitcnt lgkmcnt(0)
	;;#ASMSTART
	v_nop
 v_nop
 v_add_f32_dpp v70, v70, v70 row_ror:4
	;;#ASMEND
	v_cmp_gt_u32_e32 vcc, 4, v1
	;;#ASMSTART
	v_nop
 v_nop
 v_add_f32_dpp v70, v70, v70 row_ror:8
	;;#ASMEND
	s_and_saveexec_b64 s[2:3], vcc
	s_cbranch_execz .LBB288_18
; %bb.17:
	v_mul_u32_u24_e32 v71, 20, v88
	v_lshl_add_u32 v71, v89, 2, v71
	v_add_u32_e32 v71, 0x1400, v71
	ds_write2_b32 v71, v72, v70 offset1:20
.LBB288_18:
	s_or_b64 exec, exec, s[2:3]
.LBB288_19:
	s_or_b64 exec, exec, s[26:27]
	s_waitcnt lgkmcnt(0)
	s_barrier
	s_load_dword s2, s[24:25], 0x8
	v_lshlrev_b32_e32 v70, 2, v89
	v_add_u32_e32 v73, 0x1400, v70
	ds_read2_b32 v[70:71], v73 offset1:5
	ds_read2_b32 v[76:77], v73 offset0:10 offset1:15
	s_mul_i32 s3, s7, s6
	s_waitcnt lgkmcnt(0)
	s_mul_i32 s2, s3, s2
	s_mov_b32 s3, 0xff7fffff
	v_max3_f32 v74, v70, s3, v71
	v_max3_f32 v74, v74, v76, v77
	v_sub_f32_e32 v70, v70, v74
	ds_read2_b32 v[78:79], v73 offset0:20 offset1:25
	v_mul_f32_e32 v70, 0x3fb8aa3b, v70
	v_sub_f32_e32 v71, v71, v74
	v_exp_f32_e32 v75, v70
	v_mul_f32_e32 v71, 0x3fb8aa3b, v71
	ds_read2_b32 v[80:81], v73 offset0:30 offset1:35
	v_sub_f32_e32 v73, v76, v74
	v_exp_f32_e32 v71, v71
	v_mul_f32_e32 v73, 0x3fb8aa3b, v73
	v_sub_f32_e32 v76, v77, v74
	v_exp_f32_e32 v73, v73
	v_mul_f32_e32 v76, 0x3fb8aa3b, v76
	v_exp_f32_e32 v76, v76
	s_waitcnt lgkmcnt(1)
	v_fma_f32 v75, v75, v78, 0
	v_fmac_f32_e32 v75, v71, v79
	s_waitcnt lgkmcnt(0)
	v_fmac_f32_e32 v75, v73, v80
	v_mov_b32_e32 v70, 0
	v_fmac_f32_e32 v75, v76, v81
	s_mov_b32 s3, 0
	v_cmp_eq_u32_e32 vcc, 0, v89
	s_and_saveexec_b64 s[4:5], vcc
	s_cbranch_execz .LBB288_21
; %bb.20:
	s_lshl_b64 s[10:11], s[2:3], 2
	s_add_u32 s6, s12, s10
	s_mov_b32 s21, s3
	s_addc_u32 s9, s13, s11
	s_lshl_b64 s[12:13], s[20:21], 2
	s_add_u32 s6, s6, s12
	s_addc_u32 s9, s9, s13
	s_add_u32 s10, s14, s10
	s_addc_u32 s11, s15, s11
	;; [unrolled: 2-line block ×3, first 2 shown]
	s_mul_i32 s10, s7, s8
	s_mov_b32 s11, s3
	s_lshl_b64 s[10:11], s[10:11], 2
	s_add_u32 s12, s6, s10
	s_addc_u32 s13, s9, s11
	s_add_u32 s10, s14, s10
	s_addc_u32 s11, s15, s11
	global_store_dword v70, v74, s[10:11]
	global_store_dword v70, v75, s[12:13]
.LBB288_21:
	s_or_b64 exec, exec, s[4:5]
	v_lshlrev_b32_e32 v73, 3, v88
                                        ; implicit-def: $sgpr3
	s_and_saveexec_b64 s[4:5], s[0:1]
	s_xor_b64 s[0:1], exec, s[4:5]
	s_cbranch_execz .LBB288_23
; %bb.22:
	s_waitcnt vmcnt(15)
	v_mov_b32_e32 v2, 0
	v_mad_u32_u24 v4, v1, 40, v73
	s_mov_b32 s3, 0
	v_mov_b32_e32 v3, v2
	ds_write_b64 v4, v[2:3]
                                        ; implicit-def: $vgpr69
                                        ; implicit-def: $vgpr67
                                        ; implicit-def: $vgpr3
                                        ; implicit-def: $vgpr11
                                        ; implicit-def: $vgpr23
                                        ; implicit-def: $vgpr31
                                        ; implicit-def: $vgpr47
                                        ; implicit-def: $vgpr35
                                        ; implicit-def: $vgpr51
                                        ; implicit-def: $vgpr55
                                        ; implicit-def: $vgpr15
                                        ; implicit-def: $vgpr7
                                        ; implicit-def: $vgpr19
                                        ; implicit-def: $vgpr27
                                        ; implicit-def: $vgpr39
                                        ; implicit-def: $vgpr43
                                        ; implicit-def: $vgpr59
                                        ; implicit-def: $vgpr63
                                        ; implicit-def: $vgpr72
                                        ; implicit-def: $vgpr74
                                        ; implicit-def: $vgpr75
.LBB288_23:
	s_or_saveexec_b64 s[0:1], s[0:1]
	v_mov_b32_e32 v70, s3
	v_mov_b32_e32 v71, s3
	s_xor_b64 exec, exec, s[0:1]
	s_cbranch_execz .LBB288_25
; %bb.24:
	v_add_f32_e32 v70, 0x358637bd, v75
	v_div_scale_f32 v71, s[4:5], v70, v70, 1.0
	v_rcp_f32_e32 v75, v71
	v_sub_f32_e32 v72, v72, v74
	v_mul_f32_e32 v72, 0x3fb8aa3b, v72
	v_exp_f32_e32 v72, v72
	v_fma_f32 v74, -v71, v75, 1.0
	v_fmac_f32_e32 v75, v74, v75
	v_div_scale_f32 v74, vcc, 1.0, v70, 1.0
	v_mul_f32_e32 v76, v74, v75
	v_fma_f32 v77, -v71, v76, v74
	v_fmac_f32_e32 v76, v77, v75
	v_fma_f32 v71, -v71, v76, v74
	v_div_fmas_f32 v71, v71, v75, v76
	v_div_fixup_f32 v70, v71, v70, 1.0
	v_mul_f32_e32 v70, v72, v70
	v_pk_mul_f32 v[66:67], v[66:67], v[70:71] op_sel_hi:[1,0]
	v_pk_mul_f32 v[68:69], v[68:69], v[70:71] op_sel_hi:[1,0]
	v_bfe_u32 v70, v67, 16, 1
	v_bfe_u32 v71, v66, 16, 1
	s_movk_i32 s3, 0x7fff
	v_add3_u32 v66, v66, v71, s3
	v_add3_u32 v67, v67, v70, s3
	s_mov_b32 s4, 0x7060302
	v_perm_b32 v66, v67, v66, s4
	v_bfe_u32 v67, v69, 16, 1
	v_bfe_u32 v70, v68, 16, 1
	v_add3_u32 v68, v68, v70, s3
	v_add3_u32 v67, v69, v67, s3
	v_perm_b32 v67, v67, v68, s4
	s_waitcnt vmcnt(15)
	s_nop 0
	v_mfma_f32_4x4x4bf16_1k a[0:3], v[66:67], v[2:3], 0 cbsz:4
	v_mfma_f32_4x4x4bf16_1k a[0:3], v[66:67], v[4:5], a[0:3] cbsz:4 abid:1
	s_waitcnt vmcnt(14)
	v_mfma_f32_4x4x4bf16_1k a[0:3], v[66:67], v[10:11], a[0:3] cbsz:4 abid:2
	v_mfma_f32_4x4x4bf16_1k a[0:3], v[66:67], v[12:13], a[0:3] cbsz:4 abid:3
	s_waitcnt vmcnt(11)
	v_mfma_f32_4x4x4bf16_1k a[0:3], v[66:67], v[22:23], a[0:3] cbsz:4 abid:4
	;; [unrolled: 3-line block ×6, first 2 shown]
	v_mfma_f32_4x4x4bf16_1k a[4:7], v[66:67], v[14:15], 0 cbsz:4
	v_mfma_f32_4x4x4bf16_1k a[0:3], v[66:67], v[52:53], a[0:3] cbsz:4 abid:13
	v_mfma_f32_4x4x4bf16_1k a[4:7], v[66:67], v[16:17], a[4:7] cbsz:4 abid:1
	s_waitcnt vmcnt(2)
	v_mfma_f32_4x4x4bf16_1k a[0:3], v[66:67], v[54:55], a[0:3] cbsz:4 abid:14
	v_mfma_f32_4x4x4bf16_1k a[4:7], v[66:67], v[6:7], a[4:7] cbsz:4 abid:2
	v_mfma_f32_4x4x4bf16_1k a[0:3], v[66:67], v[56:57], a[0:3] cbsz:4 abid:15
	s_nop 4
	v_accvgpr_read_b32 v3, a2
	v_accvgpr_read_b32 v4, a3
	;; [unrolled: 1-line block ×4, first 2 shown]
	v_mfma_f32_4x4x4bf16_1k a[0:3], v[66:67], v[8:9], a[4:7] cbsz:4 abid:3
	v_bfe_u32 v6, v5, 16, 1
	v_mfma_f32_4x4x4bf16_1k a[0:3], v[66:67], v[18:19], a[0:3] cbsz:4 abid:4
	v_bfe_u32 v7, v2, 16, 1
	v_mfma_f32_4x4x4bf16_1k a[0:3], v[66:67], v[20:21], a[0:3] cbsz:4 abid:5
	v_add3_u32 v2, v2, v7, s3
	v_mfma_f32_4x4x4bf16_1k a[0:3], v[66:67], v[26:27], a[0:3] cbsz:4 abid:6
	v_add3_u32 v5, v5, v6, s3
	v_mfma_f32_4x4x4bf16_1k a[0:3], v[66:67], v[28:29], a[0:3] cbsz:4 abid:7
	v_perm_b32 v2, v5, v2, s4
	v_mfma_f32_4x4x4bf16_1k a[0:3], v[66:67], v[38:39], a[0:3] cbsz:4 abid:8
	v_bfe_u32 v5, v4, 16, 1
	v_mfma_f32_4x4x4bf16_1k a[0:3], v[66:67], v[40:41], a[0:3] cbsz:4 abid:9
	v_bfe_u32 v6, v3, 16, 1
	v_mfma_f32_4x4x4bf16_1k a[0:3], v[66:67], v[42:43], a[0:3] cbsz:4 abid:10
	v_add3_u32 v3, v3, v6, s3
	v_mfma_f32_4x4x4bf16_1k a[0:3], v[66:67], v[44:45], a[0:3] cbsz:4 abid:11
	v_add3_u32 v4, v4, v5, s3
	s_waitcnt vmcnt(1)
	v_mfma_f32_4x4x4bf16_1k a[0:3], v[66:67], v[58:59], a[0:3] cbsz:4 abid:12
	v_perm_b32 v3, v4, v3, s4
	v_mfma_f32_4x4x4bf16_1k a[0:3], v[66:67], v[60:61], a[0:3] cbsz:4 abid:13
	v_mad_u32_u24 v4, v1, 40, v73
	s_waitcnt vmcnt(0)
	v_mfma_f32_4x4x4bf16_1k a[0:3], v[66:67], v[62:63], a[0:3] cbsz:4 abid:14
	ds_write_b64 v4, v[2:3]
	v_mfma_f32_4x4x4bf16_1k a[0:3], v[66:67], v[64:65], a[0:3] cbsz:4 abid:15
	s_nop 4
	v_accvgpr_read_b32 v4, a0
	v_accvgpr_read_b32 v5, a1
	;; [unrolled: 1-line block ×4, first 2 shown]
	v_bfe_u32 v6, v5, 16, 1
	v_bfe_u32 v7, v4, 16, 1
	v_add3_u32 v4, v4, v7, s3
	v_add3_u32 v5, v5, v6, s3
	v_bfe_u32 v6, v3, 16, 1
	v_bfe_u32 v7, v2, 16, 1
	v_add3_u32 v2, v2, v7, s3
	v_add3_u32 v3, v3, v6, s3
	v_perm_b32 v71, v3, v2, s4
	v_perm_b32 v70, v5, v4, s4
.LBB288_25:
	s_or_b64 exec, exec, s[0:1]
	s_waitcnt vmcnt(15)
	v_mad_u32_u24 v2, v1, 40, v73
	v_cmp_gt_u32_e32 vcc, 64, v0
	ds_write_b64 v2, v[70:71] offset:2560
	s_waitcnt lgkmcnt(0)
	s_barrier
	s_and_saveexec_b64 s[0:1], vcc
	s_cbranch_execz .LBB288_27
; %bb.26:
	v_mov_b32_e32 v2, 0xa00
	v_mad_u32_u24 v2, v1, 40, v2
	ds_read2_b64 v[2:5], v2 offset1:1
	s_waitcnt lgkmcnt(0)
	v_mov_b32_e32 v3, 0xa10
	s_waitcnt vmcnt(14)
	v_mul_u32_u24_e32 v10, 40, v1
	v_mad_u32_u24 v1, v1, 40, v3
	s_waitcnt vmcnt(12)
	ds_read2_b64 v[6:9], v1 offset1:1
	v_lshlrev_b32_e32 v1, 16, v2
	s_mov_b32 s1, 0
	v_add_f32_e32 v1, 0, v1
	s_lshl_b32 s0, s2, 7
	v_and_b32_e32 v1, 0xffff0000, v1
	v_lshlrev_b32_e32 v2, 16, v4
	s_lshl_b64 s[2:3], s[0:1], 1
	v_add_f32_e32 v1, v1, v2
	s_add_u32 s2, s22, s2
	v_and_b32_e32 v1, 0xffff0000, v1
	s_waitcnt lgkmcnt(0)
	v_lshlrev_b32_e32 v2, 16, v6
	s_addc_u32 s3, s23, s3
	s_lshl_b32 s0, s20, 7
	v_add_f32_e32 v1, v1, v2
	s_lshl_b64 s[0:1], s[0:1], 1
	v_and_b32_e32 v1, 0xffff0000, v1
	v_lshlrev_b32_e32 v2, 16, v8
	s_add_u32 s0, s2, s0
	s_mul_i32 s2, s8, s7
	v_add_f32_e32 v11, v1, v2
	v_lshl_or_b32 v0, s2, 7, v0
	v_mov_b32_e32 v1, 0
	v_lshlrev_b64 v[4:5], 1, v[0:1]
	ds_read2_b64 v[0:3], v10 offset1:1
	s_addc_u32 s1, s3, s1
	v_mov_b32_e32 v6, s1
	v_add_co_u32_e32 v8, vcc, s0, v4
	v_addc_co_u32_e32 v9, vcc, v6, v5, vcc
	ds_read2_b64 v[4:7], v10 offset0:2 offset1:3
	s_waitcnt lgkmcnt(1)
	v_lshlrev_b32_e32 v0, 16, v0
	v_add_f32_e32 v0, 0, v0
	v_and_b32_e32 v0, 0xffff0000, v0
	v_lshlrev_b32_e32 v1, 16, v2
	v_add_f32_e32 v0, v0, v1
	v_and_b32_e32 v0, 0xffff0000, v0
	s_waitcnt lgkmcnt(0)
	v_lshlrev_b32_e32 v1, 16, v4
	v_add_f32_e32 v0, v0, v1
	v_and_b32_e32 v0, 0xffff0000, v0
	v_lshlrev_b32_e32 v1, 16, v6
	v_add_f32_e32 v0, v0, v1
	global_store_short_d16_hi v[8:9], v0, off
	global_store_short_d16_hi v[8:9], v11, off offset:128
.LBB288_27:
	s_endpgm
	.section	.rodata,"a",@progbits
	.p2align	6, 0x0
	.amdhsa_kernel _Z38paged_attention_ll4mi_QKV_mfma4_kernelI14__hip_bfloat16S0_LN4vllm18Fp8KVCacheDataTypeE0ES0_Li16ELi128ELi256ELb1ELi1EEvPKT_PKT0_S8_ifPKiSA_SA_iPKfiiiPfSD_PS3_PT2_iSC_SC_
		.amdhsa_group_segment_fixed_size 5280
		.amdhsa_private_segment_fixed_size 0
		.amdhsa_kernarg_size 400
		.amdhsa_user_sgpr_count 6
		.amdhsa_user_sgpr_private_segment_buffer 1
		.amdhsa_user_sgpr_dispatch_ptr 0
		.amdhsa_user_sgpr_queue_ptr 0
		.amdhsa_user_sgpr_kernarg_segment_ptr 1
		.amdhsa_user_sgpr_dispatch_id 0
		.amdhsa_user_sgpr_flat_scratch_init 0
		.amdhsa_user_sgpr_kernarg_preload_length 0
		.amdhsa_user_sgpr_kernarg_preload_offset 0
		.amdhsa_user_sgpr_private_segment_size 0
		.amdhsa_uses_dynamic_stack 0
		.amdhsa_system_sgpr_private_segment_wavefront_offset 0
		.amdhsa_system_sgpr_workgroup_id_x 1
		.amdhsa_system_sgpr_workgroup_id_y 1
		.amdhsa_system_sgpr_workgroup_id_z 1
		.amdhsa_system_sgpr_workgroup_info 0
		.amdhsa_system_vgpr_workitem_id 0
		.amdhsa_next_free_vgpr 108
		.amdhsa_next_free_sgpr 38
		.amdhsa_accum_offset 100
		.amdhsa_reserve_vcc 1
		.amdhsa_reserve_flat_scratch 0
		.amdhsa_float_round_mode_32 0
		.amdhsa_float_round_mode_16_64 0
		.amdhsa_float_denorm_mode_32 3
		.amdhsa_float_denorm_mode_16_64 3
		.amdhsa_dx10_clamp 1
		.amdhsa_ieee_mode 1
		.amdhsa_fp16_overflow 0
		.amdhsa_tg_split 0
		.amdhsa_exception_fp_ieee_invalid_op 0
		.amdhsa_exception_fp_denorm_src 0
		.amdhsa_exception_fp_ieee_div_zero 0
		.amdhsa_exception_fp_ieee_overflow 0
		.amdhsa_exception_fp_ieee_underflow 0
		.amdhsa_exception_fp_ieee_inexact 0
		.amdhsa_exception_int_div_zero 0
	.end_amdhsa_kernel
	.section	.text._Z38paged_attention_ll4mi_QKV_mfma4_kernelI14__hip_bfloat16S0_LN4vllm18Fp8KVCacheDataTypeE0ES0_Li16ELi128ELi256ELb1ELi1EEvPKT_PKT0_S8_ifPKiSA_SA_iPKfiiiPfSD_PS3_PT2_iSC_SC_,"axG",@progbits,_Z38paged_attention_ll4mi_QKV_mfma4_kernelI14__hip_bfloat16S0_LN4vllm18Fp8KVCacheDataTypeE0ES0_Li16ELi128ELi256ELb1ELi1EEvPKT_PKT0_S8_ifPKiSA_SA_iPKfiiiPfSD_PS3_PT2_iSC_SC_,comdat
.Lfunc_end288:
	.size	_Z38paged_attention_ll4mi_QKV_mfma4_kernelI14__hip_bfloat16S0_LN4vllm18Fp8KVCacheDataTypeE0ES0_Li16ELi128ELi256ELb1ELi1EEvPKT_PKT0_S8_ifPKiSA_SA_iPKfiiiPfSD_PS3_PT2_iSC_SC_, .Lfunc_end288-_Z38paged_attention_ll4mi_QKV_mfma4_kernelI14__hip_bfloat16S0_LN4vllm18Fp8KVCacheDataTypeE0ES0_Li16ELi128ELi256ELb1ELi1EEvPKT_PKT0_S8_ifPKiSA_SA_iPKfiiiPfSD_PS3_PT2_iSC_SC_
                                        ; -- End function
	.section	.AMDGPU.csdata,"",@progbits
; Kernel info:
; codeLenInByte = 4044
; NumSgprs: 42
; NumVgprs: 99
; NumAgprs: 8
; TotalNumVgprs: 108
; ScratchSize: 0
; MemoryBound: 0
; FloatMode: 240
; IeeeMode: 1
; LDSByteSize: 5280 bytes/workgroup (compile time only)
; SGPRBlocks: 5
; VGPRBlocks: 13
; NumSGPRsForWavesPerEU: 42
; NumVGPRsForWavesPerEU: 108
; AccumOffset: 100
; Occupancy: 4
; WaveLimiterHint : 1
; COMPUTE_PGM_RSRC2:SCRATCH_EN: 0
; COMPUTE_PGM_RSRC2:USER_SGPR: 6
; COMPUTE_PGM_RSRC2:TRAP_HANDLER: 0
; COMPUTE_PGM_RSRC2:TGID_X_EN: 1
; COMPUTE_PGM_RSRC2:TGID_Y_EN: 1
; COMPUTE_PGM_RSRC2:TGID_Z_EN: 1
; COMPUTE_PGM_RSRC2:TIDIG_COMP_CNT: 0
; COMPUTE_PGM_RSRC3_GFX90A:ACCUM_OFFSET: 24
; COMPUTE_PGM_RSRC3_GFX90A:TG_SPLIT: 0
	.section	.text._Z38paged_attention_ll4mi_QKV_mfma4_kernelI14__hip_bfloat16S0_LN4vllm18Fp8KVCacheDataTypeE0ES0_Li16ELi128ELi256ELb1ELi2EEvPKT_PKT0_S8_ifPKiSA_SA_iPKfiiiPfSD_PS3_PT2_iSC_SC_,"axG",@progbits,_Z38paged_attention_ll4mi_QKV_mfma4_kernelI14__hip_bfloat16S0_LN4vllm18Fp8KVCacheDataTypeE0ES0_Li16ELi128ELi256ELb1ELi2EEvPKT_PKT0_S8_ifPKiSA_SA_iPKfiiiPfSD_PS3_PT2_iSC_SC_,comdat
	.protected	_Z38paged_attention_ll4mi_QKV_mfma4_kernelI14__hip_bfloat16S0_LN4vllm18Fp8KVCacheDataTypeE0ES0_Li16ELi128ELi256ELb1ELi2EEvPKT_PKT0_S8_ifPKiSA_SA_iPKfiiiPfSD_PS3_PT2_iSC_SC_ ; -- Begin function _Z38paged_attention_ll4mi_QKV_mfma4_kernelI14__hip_bfloat16S0_LN4vllm18Fp8KVCacheDataTypeE0ES0_Li16ELi128ELi256ELb1ELi2EEvPKT_PKT0_S8_ifPKiSA_SA_iPKfiiiPfSD_PS3_PT2_iSC_SC_
	.globl	_Z38paged_attention_ll4mi_QKV_mfma4_kernelI14__hip_bfloat16S0_LN4vllm18Fp8KVCacheDataTypeE0ES0_Li16ELi128ELi256ELb1ELi2EEvPKT_PKT0_S8_ifPKiSA_SA_iPKfiiiPfSD_PS3_PT2_iSC_SC_
	.p2align	8
	.type	_Z38paged_attention_ll4mi_QKV_mfma4_kernelI14__hip_bfloat16S0_LN4vllm18Fp8KVCacheDataTypeE0ES0_Li16ELi128ELi256ELb1ELi2EEvPKT_PKT0_S8_ifPKiSA_SA_iPKfiiiPfSD_PS3_PT2_iSC_SC_,@function
_Z38paged_attention_ll4mi_QKV_mfma4_kernelI14__hip_bfloat16S0_LN4vllm18Fp8KVCacheDataTypeE0ES0_Li16ELi128ELi256ELb1ELi2EEvPKT_PKT0_S8_ifPKiSA_SA_iPKfiiiPfSD_PS3_PT2_iSC_SC_: ; @_Z38paged_attention_ll4mi_QKV_mfma4_kernelI14__hip_bfloat16S0_LN4vllm18Fp8KVCacheDataTypeE0ES0_Li16ELi128ELi256ELb1ELi2EEvPKT_PKT0_S8_ifPKiSA_SA_iPKfiiiPfSD_PS3_PT2_iSC_SC_
; %bb.0:
	s_load_dwordx2 s[2:3], s[4:5], 0x30
	s_mov_b32 s10, s7
	s_mov_b64 s[0:1], 0
	s_waitcnt lgkmcnt(0)
	s_cmp_lg_u64 s[2:3], 0
	s_cselect_b64 s[16:17], -1, 0
	s_and_b64 vcc, exec, s[16:17]
	s_cbranch_vccz .LBB289_10
; %bb.1:
	s_add_i32 s12, s6, 1
	s_mov_b32 s13, 0
	s_lshl_b64 s[14:15], s[12:13], 2
	s_add_u32 s14, s2, s14
	s_mov_b32 s7, s13
	s_addc_u32 s15, s3, s15
	s_lshl_b64 s[12:13], s[6:7], 2
	s_add_u32 s12, s2, s12
	s_addc_u32 s13, s3, s13
	s_load_dword s9, s[14:15], 0x0
	s_load_dword s11, s[12:13], 0x0
	s_waitcnt lgkmcnt(0)
	s_sub_i32 s9, s9, s11
	s_cmp_eq_u32 s9, 1
	s_cselect_b64 s[12:13], -1, 0
	s_andn2_b64 vcc, exec, s[0:1]
	s_cbranch_vccnz .LBB289_3
.LBB289_2:
	s_mov_b32 s7, 0
	s_mov_b64 s[12:13], -1
.LBB289_3:
	s_andn2_b64 vcc, exec, s[12:13]
	s_cbranch_vccnz .LBB289_27
; %bb.4:
	s_load_dword s9, s[4:5], 0x9c
	s_load_dwordx2 s[0:1], s[4:5], 0x28
	s_add_u32 s22, s4, 0x90
	s_addc_u32 s23, s5, 0
	s_lshl_b64 s[18:19], s[6:7], 2
	s_waitcnt lgkmcnt(0)
	s_and_b32 s9, s9, 0xffff
	s_add_u32 s0, s0, s18
	s_addc_u32 s1, s1, s19
	s_load_dword s11, s[0:1], 0x0
	s_mul_i32 s9, s10, s9
	s_waitcnt lgkmcnt(0)
	s_cmp_ge_i32 s9, s11
	s_cbranch_scc1 .LBB289_27
; %bb.5:
	v_and_b32_e32 v1, 0xc0, v0
	v_add_u32_e32 v2, s9, v1
	v_lshrrev_b32_e32 v92, 6, v0
	v_cmp_le_i32_e64 s[0:1], s11, v2
                                        ; implicit-def: $sgpr27
                                        ; implicit-def: $sgpr26
	s_and_saveexec_b64 s[12:13], s[0:1]
	s_xor_b64 s[12:13], exec, s[12:13]
	s_cbranch_execz .LBB289_7
; %bb.6:
	v_mul_u32_u24_e32 v1, 20, v92
	v_or_b32_e32 v1, 0x1400, v1
	v_mov_b32_e32 v2, 0x1450
	v_mov_b32_e32 v3, 0xff7fffff
	v_mad_u32_u24 v2, v92, 20, v2
	ds_write2_b32 v1, v3, v3 offset1:1
	v_mov_b32_e32 v1, 0
	ds_write2_b32 v2, v1, v1 offset1:1
	v_mov_b32_e32 v2, 0x1408
	s_mov_b32 s26, 0xff7fffff
	s_mov_b32 s27, 0
	v_mad_u32_u24 v2, v92, 20, v2
	v_mov_b32_e32 v4, 0x1458
	v_mad_u32_u24 v4, v92, 20, v4
	ds_write2_b32 v2, v3, v3 offset1:1
	ds_write2_b32 v4, v1, v1 offset1:1
                                        ; implicit-def: $vgpr2
.LBB289_7:
	s_or_saveexec_b64 s[24:25], s[12:13]
	s_load_dwordx2 s[20:21], s[4:5], 0x68
	s_load_dwordx4 s[12:15], s[4:5], 0x58
	s_load_dword s33, s[22:23], 0x4
	v_and_b32_e32 v1, 63, v0
	v_and_b32_e32 v93, 3, v0
	s_lshl_b32 s7, s8, 1
	v_mov_b32_e32 v69, s27
	v_mov_b32_e32 v72, s26
	;; [unrolled: 1-line block ×5, first 2 shown]
                                        ; implicit-def: $vgpr3
                                        ; implicit-def: $vgpr11
                                        ; implicit-def: $vgpr23
                                        ; implicit-def: $vgpr31
                                        ; implicit-def: $vgpr47
                                        ; implicit-def: $vgpr35
                                        ; implicit-def: $vgpr51
                                        ; implicit-def: $vgpr55
                                        ; implicit-def: $vgpr15
                                        ; implicit-def: $vgpr7
                                        ; implicit-def: $vgpr19
                                        ; implicit-def: $vgpr27
                                        ; implicit-def: $vgpr39
                                        ; implicit-def: $vgpr43
                                        ; implicit-def: $vgpr59
                                        ; implicit-def: $vgpr63
	s_xor_b64 exec, exec, s[24:25]
	s_cbranch_execz .LBB289_19
; %bb.8:
	s_add_i32 s29, s11, 15
	s_load_dwordx2 s[26:27], s[4:5], 0x20
	s_load_dword s28, s[4:5], 0x38
	s_ashr_i32 s30, s29, 31
	s_lshr_b32 s30, s30, 28
	v_add_u32_e32 v94, s9, v0
	s_add_i32 s29, s29, s30
	v_ashrrev_i32_e32 v3, 31, v94
	s_ashr_i32 s29, s29, 4
	v_lshrrev_b32_e32 v3, 28, v3
	s_add_i32 s30, s29, -1
	v_add_u32_e32 v3, v94, v3
	s_waitcnt lgkmcnt(0)
	s_mul_i32 s28, s6, s28
	s_mov_b32 s29, 0
	v_ashrrev_i32_e32 v3, 4, v3
	v_mov_b32_e32 v4, s30
	v_cmp_gt_i32_e32 vcc, s11, v94
	s_lshl_b64 s[28:29], s[28:29], 2
	v_cndmask_b32_e32 v4, v4, v3, vcc
	s_add_u32 s26, s26, s28
	v_ashrrev_i32_e32 v5, 31, v4
	s_addc_u32 s27, s27, s29
	v_lshlrev_b64 v[4:5], 2, v[4:5]
	v_mov_b32_e32 v3, s27
	v_add_co_u32_e32 v4, vcc, s26, v4
	v_addc_co_u32_e32 v5, vcc, v3, v5, vcc
	v_ashrrev_i32_e32 v3, 31, v2
	v_lshrrev_b32_e32 v3, 28, v3
	v_add_u32_e32 v2, v2, v3
	v_ashrrev_i32_e32 v12, 4, v2
	v_min_i32_e32 v2, s30, v12
	v_ashrrev_i32_e32 v3, 31, v2
	v_lshlrev_b64 v[2:3], 2, v[2:3]
	v_add_co_u32_e32 v6, vcc, s26, v2
	v_add_u32_e32 v2, 1, v12
	v_mov_b32_e32 v7, s27
	v_min_i32_e32 v2, s30, v2
	v_addc_co_u32_e32 v7, vcc, v7, v3, vcc
	v_ashrrev_i32_e32 v3, 31, v2
	v_lshlrev_b64 v[2:3], 2, v[2:3]
	v_add_co_u32_e32 v8, vcc, s26, v2
	v_add_u32_e32 v2, 2, v12
	v_mov_b32_e32 v9, s27
	v_min_i32_e32 v2, s30, v2
	v_addc_co_u32_e32 v9, vcc, v9, v3, vcc
	;; [unrolled: 7-line block ×3, first 2 shown]
	v_ashrrev_i32_e32 v3, 31, v2
	v_lshlrev_b64 v[2:3], 2, v[2:3]
	v_mov_b32_e32 v13, s27
	v_add_co_u32_e32 v12, vcc, s26, v2
	v_addc_co_u32_e32 v13, vcc, v13, v3, vcc
	global_load_dword v3, v[4:5], off
	global_load_dword v2, v[6:7], off
	;; [unrolled: 1-line block ×5, first 2 shown]
	s_load_dwordx2 s[28:29], s[4:5], 0x8
	s_andn2_b64 vcc, exec, s[16:17]
	s_cbranch_vccnz .LBB289_11
; %bb.9:
	s_add_u32 s2, s2, s18
	s_addc_u32 s3, s3, s19
	s_load_dword s2, s[2:3], 0x0
	s_branch .LBB289_12
.LBB289_10:
	s_mov_b64 s[12:13], 0
	s_branch .LBB289_2
.LBB289_11:
	s_mov_b32 s2, s6
.LBB289_12:
	s_load_dwordx2 s[26:27], s[4:5], 0x10
	s_load_dwordx4 s[16:19], s[4:5], 0x48
	v_cmp_gt_u32_e32 vcc, 2, v93
	s_mov_b32 s3, 0
	v_mov_b32_e32 v95, 0
	v_mov_b32_e32 v64, 0
	;; [unrolled: 1-line block ×5, first 2 shown]
	s_and_saveexec_b64 s[30:31], vcc
	s_cbranch_execz .LBB289_14
; %bb.13:
	s_load_dwordx2 s[34:35], s[4:5], 0x0
	s_waitcnt lgkmcnt(0)
	s_ashr_i32 s9, s16, 31
	s_mul_hi_u32 s19, s2, s16
	s_mul_i32 s9, s2, s9
	s_add_i32 s37, s19, s9
	s_mul_i32 s36, s2, s16
	s_lshl_b64 s[36:37], s[36:37], 1
	s_add_u32 s9, s34, s36
	s_addc_u32 s16, s35, s37
	s_lshl_b32 s2, s8, 8
	s_lshl_b64 s[34:35], s[2:3], 1
	v_lshlrev_b32_e32 v4, 2, v1
	s_add_u32 s34, s9, s34
	v_and_b32_e32 v4, 0xf0, v4
	s_addc_u32 s35, s16, s35
	v_lshl_or_b32 v4, v93, 8, v4
	global_load_dwordx4 v[64:67], v4, s[34:35]
.LBB289_14:
	s_or_b64 exec, exec, s[30:31]
	s_waitcnt lgkmcnt(0)
	s_mul_i32 s2, s8, s18
	s_lshl_b64 s[8:9], s[2:3], 1
	s_waitcnt vmcnt(4)
	v_mad_i64_i32 v[4:5], s[30:31], v3, s17, 0
	s_add_u32 s2, s8, s28
	v_lshlrev_b64 v[4:5], 1, v[4:5]
	s_addc_u32 s3, s9, s29
	v_mov_b32_e32 v3, s3
	v_add_co_u32_e64 v4, s[2:3], s2, v4
	v_addc_co_u32_e64 v3, s[2:3], v3, v5, s[2:3]
	v_and_b32_e32 v5, 15, v0
	v_lshlrev_b32_e32 v5, 4, v5
	v_add_co_u32_e64 v4, s[2:3], v4, v5
	v_addc_co_u32_e64 v5, s[2:3], 0, v3, s[2:3]
	global_load_dwordx4 v[30:33], v[4:5], off
	global_load_dwordx4 v[26:29], v[4:5], off offset:256
	global_load_dwordx4 v[22:25], v[4:5], off offset:512
	;; [unrolled: 1-line block ×15, first 2 shown]
	s_and_saveexec_b64 s[2:3], vcc
	s_cbranch_execz .LBB289_16
; %bb.15:
	s_load_dwordx2 s[18:19], s[4:5], 0x40
	v_or_b32_e32 v4, s7, v93
	v_mov_b32_e32 v5, 0
	v_lshlrev_b64 v[4:5], 2, v[4:5]
	s_waitcnt lgkmcnt(0)
	v_mov_b32_e32 v3, s19
	v_add_co_u32_e32 v4, vcc, s18, v4
	v_addc_co_u32_e32 v5, vcc, v3, v5, vcc
	global_load_dword v95, v[4:5], off
.LBB289_16:
	s_or_b64 exec, exec, s[2:3]
	s_waitcnt vmcnt(15)
	v_mfma_f32_4x4x4bf16_1k a[0:3], v[64:65], v[30:31], 0 cbsz:4
	v_mul_hi_i32 v3, v2, s17
	v_mfma_f32_4x4x4bf16_1k a[0:3], v[66:67], v[32:33], a[0:3] cbsz:4
	v_ashrrev_i32_e32 v3, 31, v3
	s_waitcnt vmcnt(14)
	v_mfma_f32_4x4x4bf16_1k a[0:3], v[64:65], v[26:27], a[0:3] cbsz:4 abid:1
	v_lshrrev_b32_e32 v96, 29, v3
	v_mfma_f32_4x4x4bf16_1k a[0:3], v[66:67], v[28:29], a[0:3] cbsz:4 abid:1
	v_mov_b32_e32 v97, 0
	s_waitcnt vmcnt(13)
	v_mfma_f32_4x4x4bf16_1k a[0:3], v[64:65], v[22:23], a[0:3] cbsz:4 abid:2
	s_load_dword s2, s[4:5], 0x1c
	v_mfma_f32_4x4x4bf16_1k a[0:3], v[66:67], v[24:25], a[0:3] cbsz:4 abid:2
	v_mad_i64_i32 v[2:3], s[4:5], v2, s17, v[96:97]
	s_waitcnt vmcnt(12)
	v_mfma_f32_4x4x4bf16_1k a[0:3], v[64:65], v[18:19], a[0:3] cbsz:4 abid:3
	s_add_u32 s3, s26, s8
	v_mfma_f32_4x4x4bf16_1k a[0:3], v[66:67], v[20:21], a[0:3] cbsz:4 abid:3
	v_lshlrev_b64 v[2:3], 1, v[2:3]
	s_waitcnt vmcnt(11)
	v_mfma_f32_4x4x4bf16_1k a[0:3], v[64:65], v[88:89], a[0:3] cbsz:4 abid:4
	s_addc_u32 s8, s27, s9
	v_mfma_f32_4x4x4bf16_1k a[0:3], v[66:67], v[90:91], a[0:3] cbsz:4 abid:4
	v_and_b32_e32 v2, -16, v2
	s_waitcnt vmcnt(10)
	v_mfma_f32_4x4x4bf16_1k a[0:3], v[64:65], v[84:85], a[0:3] cbsz:4 abid:5
	v_mov_b32_e32 v4, s8
	v_mfma_f32_4x4x4bf16_1k a[0:3], v[66:67], v[86:87], a[0:3] cbsz:4 abid:5
	v_add_co_u32_e32 v2, vcc, s3, v2
	s_waitcnt vmcnt(9)
	v_mfma_f32_4x4x4bf16_1k a[0:3], v[64:65], v[80:81], a[0:3] cbsz:4 abid:6
	v_addc_co_u32_e32 v3, vcc, v4, v3, vcc
	v_mfma_f32_4x4x4bf16_1k a[0:3], v[66:67], v[82:83], a[0:3] cbsz:4 abid:6
	v_lshlrev_b32_e32 v98, 5, v1
	s_waitcnt vmcnt(8)
	v_mfma_f32_4x4x4bf16_1k a[0:3], v[64:65], v[44:45], a[0:3] cbsz:4 abid:7
	v_add_co_u32_e32 v48, vcc, v2, v98
	v_mfma_f32_4x4x4bf16_1k a[0:3], v[66:67], v[46:47], a[0:3] cbsz:4 abid:7
	v_addc_co_u32_e32 v49, vcc, 0, v3, vcc
	s_waitcnt vmcnt(7)
	v_mfma_f32_4x4x4bf16_1k a[0:3], v[64:65], v[40:41], a[0:3] cbsz:4 abid:8
	global_load_dwordx4 v[2:5], v[48:49], off
	global_load_dwordx4 v[10:13], v[48:49], off offset:16
	global_load_dwordx4 v[14:17], v[48:49], off offset:2048
	;; [unrolled: 1-line block ×3, first 2 shown]
	v_mfma_f32_4x4x4bf16_1k a[0:3], v[66:67], v[42:43], a[0:3] cbsz:4 abid:8
	v_mul_hi_i32 v48, v35, s17
	s_waitcnt vmcnt(10)
	v_mfma_f32_4x4x4bf16_1k a[0:3], v[64:65], v[36:37], a[0:3] cbsz:4 abid:9
	v_ashrrev_i32_e32 v48, 31, v48
	v_mfma_f32_4x4x4bf16_1k a[0:3], v[66:67], v[38:39], a[0:3] cbsz:4 abid:9
	v_lshrrev_b32_e32 v96, 29, v48
	s_waitcnt vmcnt(9)
	v_mfma_f32_4x4x4bf16_1k a[0:3], v[64:65], v[76:77], a[0:3] cbsz:4 abid:10
	v_mad_i64_i32 v[30:31], s[4:5], v35, s17, v[96:97]
	v_mfma_f32_4x4x4bf16_1k a[0:3], v[66:67], v[78:79], a[0:3] cbsz:4 abid:10
	v_lshlrev_b64 v[26:27], 1, v[30:31]
	s_waitcnt vmcnt(8)
	v_mfma_f32_4x4x4bf16_1k a[0:3], v[64:65], v[72:73], a[0:3] cbsz:4 abid:11
	v_mul_hi_i32 v35, v34, s17
	v_mfma_f32_4x4x4bf16_1k a[0:3], v[66:67], v[74:75], a[0:3] cbsz:4 abid:11
	v_and_b32_e32 v26, -16, v26
	v_ashrrev_i32_e32 v35, 31, v35
	v_mov_b32_e32 v22, s8
	v_add_co_u32_e32 v23, vcc, s3, v26
	v_lshrrev_b32_e32 v96, 29, v35
	s_waitcnt vmcnt(7)
	v_mfma_f32_4x4x4bf16_1k a[0:3], v[64:65], v[58:59], a[0:3] cbsz:4 abid:12
	v_addc_co_u32_e32 v22, vcc, v22, v27, vcc
	v_mad_i64_i32 v[34:35], s[4:5], v34, s17, v[96:97]
	v_add_co_u32_e32 v48, vcc, v23, v98
	v_lshlrev_b64 v[34:35], 1, v[34:35]
	v_mul_hi_i32 v63, v62, s17
	v_mfma_f32_4x4x4bf16_1k a[0:3], v[66:67], v[60:61], a[0:3] cbsz:4 abid:12
	v_addc_co_u32_e32 v49, vcc, 0, v22, vcc
	v_and_b32_e32 v34, -16, v34
	v_ashrrev_i32_e32 v63, 31, v63
	v_mov_b32_e32 v44, s8
	v_add_co_u32_e32 v34, vcc, s3, v34
	v_lshrrev_b32_e32 v96, 29, v63
	s_waitcnt vmcnt(6)
	v_mfma_f32_4x4x4bf16_1k a[0:3], v[64:65], v[54:55], a[0:3] cbsz:4 abid:13
	v_addc_co_u32_e32 v35, vcc, v44, v35, vcc
	v_mad_i64_i32 v[62:63], s[4:5], v62, s17, v[96:97]
	v_add_co_u32_e32 v80, vcc, v34, v98
	v_lshlrev_b64 v[58:59], 1, v[62:63]
	v_mfma_f32_4x4x4bf16_1k a[0:3], v[66:67], v[56:57], a[0:3] cbsz:4 abid:13
	v_addc_co_u32_e32 v81, vcc, 0, v35, vcc
	v_and_b32_e32 v58, -16, v58
	v_mov_b32_e32 v54, s8
	v_add_co_u32_e32 v55, vcc, s3, v58
	s_waitcnt vmcnt(5)
	v_mfma_f32_4x4x4bf16_1k a[0:3], v[64:65], v[50:51], a[0:3] cbsz:4 abid:14
	v_addc_co_u32_e32 v54, vcc, v54, v59, vcc
	v_add_co_u32_e32 v72, vcc, v55, v98
	v_mfma_f32_4x4x4bf16_1k a[0:3], v[66:67], v[52:53], a[0:3] cbsz:4 abid:14
	v_addc_co_u32_e32 v73, vcc, 0, v54, vcc
	global_load_dwordx4 v[22:25], v[48:49], off
	global_load_dwordx4 v[30:33], v[48:49], off offset:16
	global_load_dwordx4 v[18:21], v[48:49], off offset:2048
	;; [unrolled: 1-line block ×3, first 2 shown]
	s_nop 0
	global_load_dwordx4 v[46:49], v[80:81], off
	global_load_dwordx4 v[34:37], v[80:81], off offset:16
	global_load_dwordx4 v[38:41], v[80:81], off offset:2048
	;; [unrolled: 1-line block ×3, first 2 shown]
	global_load_dwordx4 v[50:53], v[72:73], off
	global_load_dwordx4 v[54:57], v[72:73], off offset:16
	s_waitcnt vmcnt(14)
	v_mfma_f32_4x4x4bf16_1k a[0:3], v[64:65], v[68:69], a[0:3] cbsz:4 abid:15
	global_load_dwordx4 v[58:61], v[72:73], off offset:2048
	global_load_dwordx4 v[62:65], v[72:73], off offset:2064
	v_mfma_f32_4x4x4bf16_1k a[0:3], v[66:67], v[70:71], a[0:3] cbsz:4 abid:15
	v_cmp_eq_u32_e32 vcc, 0, v93
	v_cndmask_b32_e64 v70, 0, 1.0, vcc
	v_cmp_eq_u32_e32 vcc, 1, v93
	v_mov_b32_e32 v73, 0xff7fffff
	s_nop 0
	v_accvgpr_read_b32 v69, a1
	v_accvgpr_read_b32 v68, a0
	s_waitcnt lgkmcnt(0)
	v_pk_mul_f32 v[68:69], s[2:3], v[68:69] op_sel_hi:[0,1]
	v_accvgpr_read_b32 v67, a3
	v_accvgpr_read_b32 v66, a2
	v_pk_mul_f32 v[66:67], s[2:3], v[66:67] op_sel_hi:[0,1]
	v_mfma_f32_4x4x1f32 a[0:3], v68, v70, 0
	v_cndmask_b32_e64 v68, 0, 1.0, vcc
	v_cmp_eq_u32_e32 vcc, 2, v93
	s_nop 0
	v_mfma_f32_4x4x1f32 a[0:3], v69, v68, a[0:3]
	v_cndmask_b32_e64 v68, 0, 1.0, vcc
	v_cmp_eq_u32_e32 vcc, 3, v93
	s_nop 0
	v_mfma_f32_4x4x1f32 a[0:3], v66, v68, a[0:3]
	v_cndmask_b32_e64 v66, 0, 1.0, vcc
	s_nop 1
	v_mfma_f32_4x4x1f32 a[0:3], v67, v66, a[0:3]
	v_and_b32_e32 v66, -4, v94
	v_subrev_u32_e32 v67, s11, v66
	v_add_u32_e32 v68, 1, v67
	v_cvt_f32_i32_e32 v68, v68
	v_add_u32_e32 v69, 2, v67
	v_cvt_f32_i32_e32 v69, v69
	v_accvgpr_read_b32 v70, a0
	v_fma_f32 v68, v95, v68, v70
	v_accvgpr_read_b32 v70, a1
	v_fma_f32 v69, v95, v69, v70
	v_add_u32_e32 v70, 3, v67
	v_cvt_f32_i32_e32 v70, v70
	v_add_u32_e32 v67, 4, v67
	v_max_f32_e32 v72, 0xff7fffff, v68
	v_cmp_gt_i32_e32 vcc, s11, v66
	v_cvt_f32_i32_e32 v67, v67
	v_cndmask_b32_e32 v72, v73, v72, vcc
	v_or_b32_e32 v73, 1, v66
	v_accvgpr_read_b32 v71, a2
	v_max_f32_e32 v74, v72, v69
	v_cmp_gt_i32_e64 s[2:3], s11, v73
	v_fma_f32 v70, v95, v70, v71
	v_cndmask_b32_e64 v72, v72, v74, s[2:3]
	v_or_b32_e32 v66, 2, v66
	v_accvgpr_read_b32 v71, a3
	v_max_f32_e32 v73, v72, v70
	v_cmp_gt_i32_e64 s[4:5], s11, v66
	v_fmac_f32_e32 v71, v95, v67
	v_cndmask_b32_e64 v66, v72, v73, s[4:5]
	v_or_b32_e32 v72, 3, v94
	v_max_f32_e32 v73, v66, v71
	v_cmp_gt_i32_e64 s[8:9], s11, v72
	v_lshlrev_b32_e32 v67, 2, v0
	v_cndmask_b32_e64 v66, v66, v73, s[8:9]
	v_and_or_b32 v67, v67, 48, v93
	;;#ASMSTART
	v_nop
 v_nop
 v_max_f32_dpp v66, v66, v66 row_ror:4
	;;#ASMEND
	v_lshlrev_b32_e32 v73, 2, v67
	;;#ASMSTART
	v_nop
 v_nop
 v_max_f32_dpp v66, v66, v66 row_ror:8
	;;#ASMEND
	ds_bpermute_b32 v66, v73, v66
	s_waitcnt lgkmcnt(0)
	;;#ASMSTART
	v_nop
 v_nop
 v_max_f32_dpp v66, v66, v66 row_ror:4
	;;#ASMEND
	;;#ASMSTART
	v_nop
 v_nop
 v_max_f32_dpp v72, v66, v66 row_ror:8
	;;#ASMEND
	v_sub_f32_e32 v66, v68, v72
	v_mul_f32_e32 v66, 0x3fb8aa3b, v66
	v_sub_f32_e32 v67, v69, v72
	v_exp_f32_e32 v66, v66
	v_mul_f32_e32 v67, 0x3fb8aa3b, v67
	v_sub_f32_e32 v69, v70, v72
	v_exp_f32_e32 v67, v67
	;; [unrolled: 3-line block ×3, first 2 shown]
	v_mul_f32_e32 v70, 0x3fb8aa3b, v70
	v_exp_f32_e32 v70, v70
	v_cndmask_b32_e32 v66, 0, v66, vcc
	v_add_f32_e32 v68, 0, v66
	v_cndmask_b32_e64 v67, 0, v67, s[2:3]
	v_add_f32_e32 v71, v68, v67
	v_cndmask_b32_e64 v68, 0, v69, s[4:5]
	;; [unrolled: 2-line block ×3, first 2 shown]
	v_add_f32_e32 v70, v71, v69
	;;#ASMSTART
	v_nop
 v_nop
 v_add_f32_dpp v70, v70, v70 row_ror:4
	;;#ASMEND
	;;#ASMSTART
	v_nop
 v_nop
 v_add_f32_dpp v70, v70, v70 row_ror:8
	;;#ASMEND
	ds_bpermute_b32 v70, v73, v70
	s_waitcnt lgkmcnt(0)
	;;#ASMSTART
	v_nop
 v_nop
 v_add_f32_dpp v70, v70, v70 row_ror:4
	;;#ASMEND
	v_cmp_gt_u32_e32 vcc, 4, v1
	;;#ASMSTART
	v_nop
 v_nop
 v_add_f32_dpp v70, v70, v70 row_ror:8
	;;#ASMEND
	s_and_saveexec_b64 s[2:3], vcc
	s_cbranch_execz .LBB289_18
; %bb.17:
	v_mul_u32_u24_e32 v71, 20, v92
	v_lshl_add_u32 v71, v93, 2, v71
	v_add_u32_e32 v71, 0x1400, v71
	ds_write2_b32 v71, v72, v70 offset1:20
.LBB289_18:
	s_or_b64 exec, exec, s[2:3]
.LBB289_19:
	s_or_b64 exec, exec, s[24:25]
	s_waitcnt lgkmcnt(0)
	s_barrier
	s_load_dword s2, s[22:23], 0x8
	v_lshlrev_b32_e32 v70, 2, v93
	v_add_u32_e32 v73, 0x1400, v70
	ds_read2_b32 v[70:71], v73 offset1:5
	ds_read2_b32 v[76:77], v73 offset0:10 offset1:15
	s_mul_i32 s3, s6, s33
	s_waitcnt lgkmcnt(0)
	s_mul_i32 s3, s3, s2
	s_lshl_b32 s2, s3, 1
	s_mov_b32 s3, 0xff7fffff
	v_max3_f32 v74, v70, s3, v71
	v_max3_f32 v74, v74, v76, v77
	v_sub_f32_e32 v70, v70, v74
	v_mul_f32_e32 v70, 0x3fb8aa3b, v70
	v_exp_f32_e32 v75, v70
	v_sub_f32_e32 v70, v71, v74
	ds_read2_b32 v[78:79], v73 offset0:20 offset1:25
	v_mul_f32_e32 v70, 0x3fb8aa3b, v70
	v_exp_f32_e32 v80, v70
	ds_read2_b32 v[70:71], v73 offset0:30 offset1:35
	v_sub_f32_e32 v73, v76, v74
	v_mul_f32_e32 v73, 0x3fb8aa3b, v73
	v_sub_f32_e32 v76, v77, v74
	v_exp_f32_e32 v73, v73
	v_mul_f32_e32 v76, 0x3fb8aa3b, v76
	v_exp_f32_e32 v76, v76
	s_waitcnt lgkmcnt(1)
	v_fma_f32 v75, v75, v78, 0
	v_fmac_f32_e32 v75, v80, v79
	s_waitcnt lgkmcnt(0)
	v_fmac_f32_e32 v75, v73, v70
	v_fmac_f32_e32 v75, v76, v71
	v_cmp_gt_u32_e32 vcc, 2, v93
	s_and_saveexec_b64 s[4:5], vcc
	s_cbranch_execz .LBB289_21
; %bb.20:
	s_mov_b32 s3, 0
	s_lshl_b64 s[8:9], s[2:3], 2
	s_add_u32 s6, s12, s8
	s_mov_b32 s11, s3
	s_addc_u32 s16, s13, s9
	s_lshl_b64 s[12:13], s[10:11], 2
	s_add_u32 s3, s6, s12
	s_addc_u32 s6, s16, s13
	v_or_b32_e32 v70, s7, v93
	s_add_u32 s8, s14, s8
	v_mul_lo_u32 v70, s33, v70
	v_mov_b32_e32 v71, 0
	s_addc_u32 s9, s15, s9
	v_lshlrev_b64 v[70:71], 2, v[70:71]
	s_add_u32 s8, s8, s12
	v_mov_b32_e32 v73, s6
	v_add_co_u32_e32 v76, vcc, s3, v70
	s_addc_u32 s9, s9, s13
	v_addc_co_u32_e32 v77, vcc, v73, v71, vcc
	v_mov_b32_e32 v73, s9
	v_add_co_u32_e32 v70, vcc, s8, v70
	v_addc_co_u32_e32 v71, vcc, v73, v71, vcc
	global_store_dword v[70:71], v74, off
	global_store_dword v[76:77], v75, off
.LBB289_21:
	s_or_b64 exec, exec, s[4:5]
	v_lshlrev_b32_e32 v73, 3, v92
                                        ; implicit-def: $sgpr3
	s_and_saveexec_b64 s[4:5], s[0:1]
	s_xor_b64 s[0:1], exec, s[4:5]
	s_cbranch_execz .LBB289_23
; %bb.22:
	s_waitcnt vmcnt(15)
	v_mov_b32_e32 v2, 0
	v_mad_u32_u24 v4, v1, 40, v73
	s_mov_b32 s3, 0
	v_mov_b32_e32 v3, v2
	ds_write_b64 v4, v[2:3]
                                        ; implicit-def: $vgpr69
                                        ; implicit-def: $vgpr67
                                        ; implicit-def: $vgpr3
                                        ; implicit-def: $vgpr11
                                        ; implicit-def: $vgpr23
                                        ; implicit-def: $vgpr31
                                        ; implicit-def: $vgpr47
                                        ; implicit-def: $vgpr35
                                        ; implicit-def: $vgpr51
                                        ; implicit-def: $vgpr55
                                        ; implicit-def: $vgpr15
                                        ; implicit-def: $vgpr7
                                        ; implicit-def: $vgpr19
                                        ; implicit-def: $vgpr27
                                        ; implicit-def: $vgpr39
                                        ; implicit-def: $vgpr43
                                        ; implicit-def: $vgpr59
                                        ; implicit-def: $vgpr63
                                        ; implicit-def: $vgpr72
                                        ; implicit-def: $vgpr74
                                        ; implicit-def: $vgpr75
.LBB289_23:
	s_or_saveexec_b64 s[0:1], s[0:1]
	v_mov_b32_e32 v70, s3
	v_mov_b32_e32 v71, s3
	s_xor_b64 exec, exec, s[0:1]
	s_cbranch_execz .LBB289_25
; %bb.24:
	v_add_f32_e32 v70, 0x358637bd, v75
	v_div_scale_f32 v71, s[4:5], v70, v70, 1.0
	v_rcp_f32_e32 v75, v71
	v_sub_f32_e32 v72, v72, v74
	v_mul_f32_e32 v72, 0x3fb8aa3b, v72
	v_exp_f32_e32 v72, v72
	v_fma_f32 v74, -v71, v75, 1.0
	v_fmac_f32_e32 v75, v74, v75
	v_div_scale_f32 v74, vcc, 1.0, v70, 1.0
	v_mul_f32_e32 v76, v74, v75
	v_fma_f32 v77, -v71, v76, v74
	v_fmac_f32_e32 v76, v77, v75
	v_fma_f32 v71, -v71, v76, v74
	v_div_fmas_f32 v71, v71, v75, v76
	v_div_fixup_f32 v70, v71, v70, 1.0
	v_mul_f32_e32 v70, v72, v70
	v_pk_mul_f32 v[66:67], v[66:67], v[70:71] op_sel_hi:[1,0]
	v_pk_mul_f32 v[68:69], v[68:69], v[70:71] op_sel_hi:[1,0]
	v_bfe_u32 v70, v67, 16, 1
	v_bfe_u32 v71, v66, 16, 1
	s_movk_i32 s3, 0x7fff
	v_add3_u32 v66, v66, v71, s3
	v_add3_u32 v67, v67, v70, s3
	s_mov_b32 s4, 0x7060302
	v_perm_b32 v66, v67, v66, s4
	v_bfe_u32 v67, v69, 16, 1
	v_bfe_u32 v70, v68, 16, 1
	v_add3_u32 v68, v68, v70, s3
	v_add3_u32 v67, v69, v67, s3
	v_perm_b32 v67, v67, v68, s4
	s_waitcnt vmcnt(15)
	s_nop 0
	v_mfma_f32_4x4x4bf16_1k a[0:3], v[66:67], v[2:3], 0 cbsz:4
	v_mfma_f32_4x4x4bf16_1k a[0:3], v[66:67], v[4:5], a[0:3] cbsz:4 abid:1
	s_waitcnt vmcnt(14)
	v_mfma_f32_4x4x4bf16_1k a[0:3], v[66:67], v[10:11], a[0:3] cbsz:4 abid:2
	v_mfma_f32_4x4x4bf16_1k a[0:3], v[66:67], v[12:13], a[0:3] cbsz:4 abid:3
	s_waitcnt vmcnt(11)
	v_mfma_f32_4x4x4bf16_1k a[0:3], v[66:67], v[22:23], a[0:3] cbsz:4 abid:4
	v_mfma_f32_4x4x4bf16_1k a[0:3], v[66:67], v[24:25], a[0:3] cbsz:4 abid:5
	s_waitcnt vmcnt(10)
	v_mfma_f32_4x4x4bf16_1k a[0:3], v[66:67], v[30:31], a[0:3] cbsz:4 abid:6
	v_mfma_f32_4x4x4bf16_1k a[0:3], v[66:67], v[32:33], a[0:3] cbsz:4 abid:7
	s_waitcnt vmcnt(7)
	v_mfma_f32_4x4x4bf16_1k a[0:3], v[66:67], v[46:47], a[0:3] cbsz:4 abid:8
	v_mfma_f32_4x4x4bf16_1k a[0:3], v[66:67], v[48:49], a[0:3] cbsz:4 abid:9
	s_waitcnt vmcnt(6)
	v_mfma_f32_4x4x4bf16_1k a[0:3], v[66:67], v[34:35], a[0:3] cbsz:4 abid:10
	v_mfma_f32_4x4x4bf16_1k a[0:3], v[66:67], v[36:37], a[0:3] cbsz:4 abid:11
	s_waitcnt vmcnt(3)
	v_mfma_f32_4x4x4bf16_1k a[0:3], v[66:67], v[50:51], a[0:3] cbsz:4 abid:12
	v_mfma_f32_4x4x4bf16_1k a[4:7], v[66:67], v[14:15], 0 cbsz:4
	v_mfma_f32_4x4x4bf16_1k a[0:3], v[66:67], v[52:53], a[0:3] cbsz:4 abid:13
	v_mfma_f32_4x4x4bf16_1k a[4:7], v[66:67], v[16:17], a[4:7] cbsz:4 abid:1
	s_waitcnt vmcnt(2)
	v_mfma_f32_4x4x4bf16_1k a[0:3], v[66:67], v[54:55], a[0:3] cbsz:4 abid:14
	v_mfma_f32_4x4x4bf16_1k a[4:7], v[66:67], v[6:7], a[4:7] cbsz:4 abid:2
	;; [unrolled: 1-line block ×3, first 2 shown]
	s_nop 4
	v_accvgpr_read_b32 v3, a2
	v_accvgpr_read_b32 v4, a3
	;; [unrolled: 1-line block ×4, first 2 shown]
	v_mfma_f32_4x4x4bf16_1k a[0:3], v[66:67], v[8:9], a[4:7] cbsz:4 abid:3
	v_bfe_u32 v6, v5, 16, 1
	v_mfma_f32_4x4x4bf16_1k a[0:3], v[66:67], v[18:19], a[0:3] cbsz:4 abid:4
	v_bfe_u32 v7, v2, 16, 1
	v_mfma_f32_4x4x4bf16_1k a[0:3], v[66:67], v[20:21], a[0:3] cbsz:4 abid:5
	v_add3_u32 v2, v2, v7, s3
	v_mfma_f32_4x4x4bf16_1k a[0:3], v[66:67], v[26:27], a[0:3] cbsz:4 abid:6
	v_add3_u32 v5, v5, v6, s3
	v_mfma_f32_4x4x4bf16_1k a[0:3], v[66:67], v[28:29], a[0:3] cbsz:4 abid:7
	v_perm_b32 v2, v5, v2, s4
	v_mfma_f32_4x4x4bf16_1k a[0:3], v[66:67], v[38:39], a[0:3] cbsz:4 abid:8
	v_bfe_u32 v5, v4, 16, 1
	v_mfma_f32_4x4x4bf16_1k a[0:3], v[66:67], v[40:41], a[0:3] cbsz:4 abid:9
	v_bfe_u32 v6, v3, 16, 1
	v_mfma_f32_4x4x4bf16_1k a[0:3], v[66:67], v[42:43], a[0:3] cbsz:4 abid:10
	v_add3_u32 v3, v3, v6, s3
	v_mfma_f32_4x4x4bf16_1k a[0:3], v[66:67], v[44:45], a[0:3] cbsz:4 abid:11
	v_add3_u32 v4, v4, v5, s3
	s_waitcnt vmcnt(1)
	v_mfma_f32_4x4x4bf16_1k a[0:3], v[66:67], v[58:59], a[0:3] cbsz:4 abid:12
	v_perm_b32 v3, v4, v3, s4
	v_mfma_f32_4x4x4bf16_1k a[0:3], v[66:67], v[60:61], a[0:3] cbsz:4 abid:13
	v_mad_u32_u24 v4, v1, 40, v73
	s_waitcnt vmcnt(0)
	v_mfma_f32_4x4x4bf16_1k a[0:3], v[66:67], v[62:63], a[0:3] cbsz:4 abid:14
	ds_write_b64 v4, v[2:3]
	v_mfma_f32_4x4x4bf16_1k a[0:3], v[66:67], v[64:65], a[0:3] cbsz:4 abid:15
	s_nop 4
	v_accvgpr_read_b32 v4, a0
	v_accvgpr_read_b32 v5, a1
	;; [unrolled: 1-line block ×4, first 2 shown]
	v_bfe_u32 v6, v5, 16, 1
	v_bfe_u32 v7, v4, 16, 1
	v_add3_u32 v4, v4, v7, s3
	v_add3_u32 v5, v5, v6, s3
	v_bfe_u32 v6, v3, 16, 1
	v_bfe_u32 v7, v2, 16, 1
	v_add3_u32 v2, v2, v7, s3
	v_add3_u32 v3, v3, v6, s3
	v_perm_b32 v71, v3, v2, s4
	v_perm_b32 v70, v5, v4, s4
.LBB289_25:
	s_or_b64 exec, exec, s[0:1]
	s_waitcnt vmcnt(15)
	v_mad_u32_u24 v2, v1, 40, v73
	v_cmp_gt_u32_e32 vcc, 64, v0
	ds_write_b64 v2, v[70:71] offset:2560
	s_waitcnt lgkmcnt(0)
	s_barrier
	s_and_saveexec_b64 s[0:1], vcc
	s_cbranch_execz .LBB289_27
; %bb.26:
	s_waitcnt vmcnt(12)
	v_mul_u32_u24_e32 v6, 40, v1
	ds_read2_b64 v[2:5], v6 offset1:1
	ds_read2_b64 v[6:9], v6 offset0:2 offset1:3
	s_mov_b32 s1, 0
	s_lshl_b32 s0, s2, 7
	s_lshl_b64 s[2:3], s[0:1], 1
	s_waitcnt lgkmcnt(1)
	v_and_b32_e32 v3, 0xffff0000, v2
	v_add_f32_e32 v3, 0, v3
	v_and_b32_e32 v5, 0xffff0000, v4
	v_and_b32_e32 v3, 0xffff0000, v3
	v_add_f32_e32 v3, v3, v5
	s_waitcnt lgkmcnt(0)
	v_and_b32_e32 v7, 0xffff0000, v6
	v_and_b32_e32 v3, 0xffff0000, v3
	v_add_f32_e32 v3, v3, v7
	v_mov_b32_e32 v7, 0xa00
	v_mad_u32_u24 v7, v1, 40, v7
	ds_read2_b64 v[10:13], v7 offset1:1
	v_and_b32_e32 v3, 0xffff0000, v3
	v_and_b32_e32 v5, 0xffff0000, v8
	v_add_f32_e32 v7, v3, v5
	v_mov_b32_e32 v3, 0xa10
	v_mad_u32_u24 v1, v1, 40, v3
	ds_read2_b64 v[14:17], v1 offset1:1
	s_waitcnt lgkmcnt(1)
	v_lshlrev_b32_e32 v1, 16, v10
	v_add_f32_e32 v1, 0, v1
	v_and_b32_e32 v3, 0xffff0000, v10
	v_and_b32_e32 v1, 0xffff0000, v1
	v_add_f32_e32 v3, 0, v3
	v_lshlrev_b32_e32 v5, 16, v12
	v_and_b32_e32 v3, 0xffff0000, v3
	v_add_f32_e32 v1, v1, v5
	v_and_b32_e32 v5, 0xffff0000, v12
	v_and_b32_e32 v1, 0xffff0000, v1
	v_add_f32_e32 v3, v3, v5
	s_waitcnt lgkmcnt(0)
	v_lshlrev_b32_e32 v5, 16, v14
	v_and_b32_e32 v3, 0xffff0000, v3
	v_add_f32_e32 v1, v1, v5
	v_and_b32_e32 v5, 0xffff0000, v14
	v_and_b32_e32 v1, 0xffff0000, v1
	v_add_f32_e32 v3, v3, v5
	v_lshlrev_b32_e32 v5, 16, v16
	v_and_b32_e32 v3, 0xffff0000, v3
	v_add_f32_e32 v9, v1, v5
	v_and_b32_e32 v1, 0xffff0000, v16
	v_add_f32_e32 v10, v3, v1
	v_lshlrev_b32_e32 v1, 16, v2
	s_add_u32 s2, s20, s2
	v_add_f32_e32 v1, 0, v1
	s_addc_u32 s3, s21, s3
	s_lshl_b32 s0, s10, 7
	v_and_b32_e32 v1, 0xffff0000, v1
	v_lshlrev_b32_e32 v2, 16, v4
	s_lshl_b64 s[0:1], s[0:1], 1
	v_add_f32_e32 v1, v1, v2
	s_add_u32 s0, s2, s0
	v_and_b32_e32 v1, 0xffff0000, v1
	v_lshlrev_b32_e32 v2, 16, v6
	s_addc_u32 s1, s3, s1
	s_lshl_b32 s2, s33, 7
	v_add_f32_e32 v1, v1, v2
	v_and_b32_e32 v1, 0xffff0000, v1
	v_lshlrev_b32_e32 v2, 16, v8
	s_mul_i32 s3, s2, s7
	v_add_f32_e32 v1, v1, v2
	v_or_b32_e32 v2, s3, v0
	v_mov_b32_e32 v3, 0
	v_lshlrev_b64 v[4:5], 1, v[2:3]
	v_mov_b32_e32 v2, s1
	v_add_co_u32_e32 v4, vcc, s0, v4
	s_add_i32 s3, s3, s2
	v_addc_co_u32_e32 v5, vcc, v2, v5, vcc
	v_or_b32_e32 v2, s3, v0
	global_store_short_d16_hi v[4:5], v1, off
	v_lshlrev_b64 v[0:1], 1, v[2:3]
	v_mov_b32_e32 v2, s1
	v_add_co_u32_e32 v0, vcc, s0, v0
	v_addc_co_u32_e32 v1, vcc, v2, v1, vcc
	global_store_short_d16_hi v[0:1], v7, off
	global_store_short_d16_hi v[4:5], v9, off offset:128
	global_store_short_d16_hi v[0:1], v10, off offset:128
.LBB289_27:
	s_endpgm
	.section	.rodata,"a",@progbits
	.p2align	6, 0x0
	.amdhsa_kernel _Z38paged_attention_ll4mi_QKV_mfma4_kernelI14__hip_bfloat16S0_LN4vllm18Fp8KVCacheDataTypeE0ES0_Li16ELi128ELi256ELb1ELi2EEvPKT_PKT0_S8_ifPKiSA_SA_iPKfiiiPfSD_PS3_PT2_iSC_SC_
		.amdhsa_group_segment_fixed_size 5280
		.amdhsa_private_segment_fixed_size 0
		.amdhsa_kernarg_size 400
		.amdhsa_user_sgpr_count 6
		.amdhsa_user_sgpr_private_segment_buffer 1
		.amdhsa_user_sgpr_dispatch_ptr 0
		.amdhsa_user_sgpr_queue_ptr 0
		.amdhsa_user_sgpr_kernarg_segment_ptr 1
		.amdhsa_user_sgpr_dispatch_id 0
		.amdhsa_user_sgpr_flat_scratch_init 0
		.amdhsa_user_sgpr_kernarg_preload_length 0
		.amdhsa_user_sgpr_kernarg_preload_offset 0
		.amdhsa_user_sgpr_private_segment_size 0
		.amdhsa_uses_dynamic_stack 0
		.amdhsa_system_sgpr_private_segment_wavefront_offset 0
		.amdhsa_system_sgpr_workgroup_id_x 1
		.amdhsa_system_sgpr_workgroup_id_y 1
		.amdhsa_system_sgpr_workgroup_id_z 1
		.amdhsa_system_sgpr_workgroup_info 0
		.amdhsa_system_vgpr_workitem_id 0
		.amdhsa_next_free_vgpr 108
		.amdhsa_next_free_sgpr 38
		.amdhsa_accum_offset 100
		.amdhsa_reserve_vcc 1
		.amdhsa_reserve_flat_scratch 0
		.amdhsa_float_round_mode_32 0
		.amdhsa_float_round_mode_16_64 0
		.amdhsa_float_denorm_mode_32 3
		.amdhsa_float_denorm_mode_16_64 3
		.amdhsa_dx10_clamp 1
		.amdhsa_ieee_mode 1
		.amdhsa_fp16_overflow 0
		.amdhsa_tg_split 0
		.amdhsa_exception_fp_ieee_invalid_op 0
		.amdhsa_exception_fp_denorm_src 0
		.amdhsa_exception_fp_ieee_div_zero 0
		.amdhsa_exception_fp_ieee_overflow 0
		.amdhsa_exception_fp_ieee_underflow 0
		.amdhsa_exception_fp_ieee_inexact 0
		.amdhsa_exception_int_div_zero 0
	.end_amdhsa_kernel
	.section	.text._Z38paged_attention_ll4mi_QKV_mfma4_kernelI14__hip_bfloat16S0_LN4vllm18Fp8KVCacheDataTypeE0ES0_Li16ELi128ELi256ELb1ELi2EEvPKT_PKT0_S8_ifPKiSA_SA_iPKfiiiPfSD_PS3_PT2_iSC_SC_,"axG",@progbits,_Z38paged_attention_ll4mi_QKV_mfma4_kernelI14__hip_bfloat16S0_LN4vllm18Fp8KVCacheDataTypeE0ES0_Li16ELi128ELi256ELb1ELi2EEvPKT_PKT0_S8_ifPKiSA_SA_iPKfiiiPfSD_PS3_PT2_iSC_SC_,comdat
.Lfunc_end289:
	.size	_Z38paged_attention_ll4mi_QKV_mfma4_kernelI14__hip_bfloat16S0_LN4vllm18Fp8KVCacheDataTypeE0ES0_Li16ELi128ELi256ELb1ELi2EEvPKT_PKT0_S8_ifPKiSA_SA_iPKfiiiPfSD_PS3_PT2_iSC_SC_, .Lfunc_end289-_Z38paged_attention_ll4mi_QKV_mfma4_kernelI14__hip_bfloat16S0_LN4vllm18Fp8KVCacheDataTypeE0ES0_Li16ELi128ELi256ELb1ELi2EEvPKT_PKT0_S8_ifPKiSA_SA_iPKfiiiPfSD_PS3_PT2_iSC_SC_
                                        ; -- End function
	.section	.AMDGPU.csdata,"",@progbits
; Kernel info:
; codeLenInByte = 4288
; NumSgprs: 42
; NumVgprs: 99
; NumAgprs: 8
; TotalNumVgprs: 108
; ScratchSize: 0
; MemoryBound: 0
; FloatMode: 240
; IeeeMode: 1
; LDSByteSize: 5280 bytes/workgroup (compile time only)
; SGPRBlocks: 5
; VGPRBlocks: 13
; NumSGPRsForWavesPerEU: 42
; NumVGPRsForWavesPerEU: 108
; AccumOffset: 100
; Occupancy: 4
; WaveLimiterHint : 1
; COMPUTE_PGM_RSRC2:SCRATCH_EN: 0
; COMPUTE_PGM_RSRC2:USER_SGPR: 6
; COMPUTE_PGM_RSRC2:TRAP_HANDLER: 0
; COMPUTE_PGM_RSRC2:TGID_X_EN: 1
; COMPUTE_PGM_RSRC2:TGID_Y_EN: 1
; COMPUTE_PGM_RSRC2:TGID_Z_EN: 1
; COMPUTE_PGM_RSRC2:TIDIG_COMP_CNT: 0
; COMPUTE_PGM_RSRC3_GFX90A:ACCUM_OFFSET: 24
; COMPUTE_PGM_RSRC3_GFX90A:TG_SPLIT: 0
	.section	.text._Z38paged_attention_ll4mi_QKV_mfma4_kernelI14__hip_bfloat16S0_LN4vllm18Fp8KVCacheDataTypeE0ES0_Li16ELi128ELi256ELb1ELi3EEvPKT_PKT0_S8_ifPKiSA_SA_iPKfiiiPfSD_PS3_PT2_iSC_SC_,"axG",@progbits,_Z38paged_attention_ll4mi_QKV_mfma4_kernelI14__hip_bfloat16S0_LN4vllm18Fp8KVCacheDataTypeE0ES0_Li16ELi128ELi256ELb1ELi3EEvPKT_PKT0_S8_ifPKiSA_SA_iPKfiiiPfSD_PS3_PT2_iSC_SC_,comdat
	.protected	_Z38paged_attention_ll4mi_QKV_mfma4_kernelI14__hip_bfloat16S0_LN4vllm18Fp8KVCacheDataTypeE0ES0_Li16ELi128ELi256ELb1ELi3EEvPKT_PKT0_S8_ifPKiSA_SA_iPKfiiiPfSD_PS3_PT2_iSC_SC_ ; -- Begin function _Z38paged_attention_ll4mi_QKV_mfma4_kernelI14__hip_bfloat16S0_LN4vllm18Fp8KVCacheDataTypeE0ES0_Li16ELi128ELi256ELb1ELi3EEvPKT_PKT0_S8_ifPKiSA_SA_iPKfiiiPfSD_PS3_PT2_iSC_SC_
	.globl	_Z38paged_attention_ll4mi_QKV_mfma4_kernelI14__hip_bfloat16S0_LN4vllm18Fp8KVCacheDataTypeE0ES0_Li16ELi128ELi256ELb1ELi3EEvPKT_PKT0_S8_ifPKiSA_SA_iPKfiiiPfSD_PS3_PT2_iSC_SC_
	.p2align	8
	.type	_Z38paged_attention_ll4mi_QKV_mfma4_kernelI14__hip_bfloat16S0_LN4vllm18Fp8KVCacheDataTypeE0ES0_Li16ELi128ELi256ELb1ELi3EEvPKT_PKT0_S8_ifPKiSA_SA_iPKfiiiPfSD_PS3_PT2_iSC_SC_,@function
_Z38paged_attention_ll4mi_QKV_mfma4_kernelI14__hip_bfloat16S0_LN4vllm18Fp8KVCacheDataTypeE0ES0_Li16ELi128ELi256ELb1ELi3EEvPKT_PKT0_S8_ifPKiSA_SA_iPKfiiiPfSD_PS3_PT2_iSC_SC_: ; @_Z38paged_attention_ll4mi_QKV_mfma4_kernelI14__hip_bfloat16S0_LN4vllm18Fp8KVCacheDataTypeE0ES0_Li16ELi128ELi256ELb1ELi3EEvPKT_PKT0_S8_ifPKiSA_SA_iPKfiiiPfSD_PS3_PT2_iSC_SC_
; %bb.0:
	s_load_dwordx2 s[2:3], s[4:5], 0x30
	s_mov_b32 s10, s7
	s_mov_b64 s[0:1], 0
	s_waitcnt lgkmcnt(0)
	s_cmp_lg_u64 s[2:3], 0
	s_cselect_b64 s[16:17], -1, 0
	s_and_b64 vcc, exec, s[16:17]
	s_cbranch_vccz .LBB290_10
; %bb.1:
	s_add_i32 s12, s6, 1
	s_mov_b32 s13, 0
	s_lshl_b64 s[14:15], s[12:13], 2
	s_add_u32 s14, s2, s14
	s_mov_b32 s7, s13
	s_addc_u32 s15, s3, s15
	s_lshl_b64 s[12:13], s[6:7], 2
	s_add_u32 s12, s2, s12
	s_addc_u32 s13, s3, s13
	s_load_dword s9, s[14:15], 0x0
	s_load_dword s11, s[12:13], 0x0
	s_waitcnt lgkmcnt(0)
	s_sub_i32 s9, s9, s11
	s_cmp_eq_u32 s9, 1
	s_cselect_b64 s[12:13], -1, 0
	s_andn2_b64 vcc, exec, s[0:1]
	s_cbranch_vccnz .LBB290_3
.LBB290_2:
	s_mov_b32 s7, 0
	s_mov_b64 s[12:13], -1
.LBB290_3:
	s_andn2_b64 vcc, exec, s[12:13]
	s_cbranch_vccnz .LBB290_27
; %bb.4:
	s_load_dword s9, s[4:5], 0x9c
	s_load_dwordx2 s[0:1], s[4:5], 0x28
	s_add_u32 s22, s4, 0x90
	s_addc_u32 s23, s5, 0
	s_lshl_b64 s[18:19], s[6:7], 2
	s_waitcnt lgkmcnt(0)
	s_and_b32 s9, s9, 0xffff
	s_add_u32 s0, s0, s18
	s_addc_u32 s1, s1, s19
	s_load_dword s11, s[0:1], 0x0
	s_mul_i32 s9, s10, s9
	s_waitcnt lgkmcnt(0)
	s_cmp_ge_i32 s9, s11
	s_cbranch_scc1 .LBB290_27
; %bb.5:
	v_and_b32_e32 v1, 0xc0, v0
	v_add_u32_e32 v2, s9, v1
	v_lshrrev_b32_e32 v90, 6, v0
	v_cmp_le_i32_e64 s[0:1], s11, v2
                                        ; implicit-def: $sgpr27
                                        ; implicit-def: $sgpr26
	s_and_saveexec_b64 s[12:13], s[0:1]
	s_xor_b64 s[12:13], exec, s[12:13]
	s_cbranch_execz .LBB290_7
; %bb.6:
	v_mul_u32_u24_e32 v1, 20, v90
	v_or_b32_e32 v1, 0x1400, v1
	v_mov_b32_e32 v2, 0x1450
	v_mov_b32_e32 v3, 0xff7fffff
	v_mad_u32_u24 v2, v90, 20, v2
	ds_write2_b32 v1, v3, v3 offset1:1
	v_mov_b32_e32 v1, 0
	ds_write2_b32 v2, v1, v1 offset1:1
	v_mov_b32_e32 v2, 0x1408
	s_mov_b32 s26, 0xff7fffff
	s_mov_b32 s27, 0
	v_mad_u32_u24 v2, v90, 20, v2
	v_mov_b32_e32 v4, 0x1458
	v_mad_u32_u24 v4, v90, 20, v4
	ds_write2_b32 v2, v3, v3 offset1:1
	ds_write2_b32 v4, v1, v1 offset1:1
                                        ; implicit-def: $vgpr2
.LBB290_7:
	s_or_saveexec_b64 s[24:25], s[12:13]
	s_load_dwordx2 s[20:21], s[4:5], 0x68
	s_load_dwordx4 s[12:15], s[4:5], 0x58
	s_load_dword s33, s[22:23], 0x4
	v_and_b32_e32 v1, 63, v0
	v_and_b32_e32 v91, 3, v0
	s_mul_i32 s7, s8, 3
	v_mov_b32_e32 v69, s27
	v_mov_b32_e32 v72, s26
	;; [unrolled: 1-line block ×5, first 2 shown]
                                        ; implicit-def: $vgpr3
                                        ; implicit-def: $vgpr11
                                        ; implicit-def: $vgpr23
                                        ; implicit-def: $vgpr31
                                        ; implicit-def: $vgpr47
                                        ; implicit-def: $vgpr35
                                        ; implicit-def: $vgpr51
                                        ; implicit-def: $vgpr55
                                        ; implicit-def: $vgpr15
                                        ; implicit-def: $vgpr7
                                        ; implicit-def: $vgpr19
                                        ; implicit-def: $vgpr27
                                        ; implicit-def: $vgpr39
                                        ; implicit-def: $vgpr43
                                        ; implicit-def: $vgpr59
                                        ; implicit-def: $vgpr63
	s_xor_b64 exec, exec, s[24:25]
	s_cbranch_execz .LBB290_19
; %bb.8:
	s_add_i32 s29, s11, 15
	s_load_dwordx2 s[26:27], s[4:5], 0x20
	s_load_dword s28, s[4:5], 0x38
	s_ashr_i32 s30, s29, 31
	s_lshr_b32 s30, s30, 28
	v_add_u32_e32 v92, s9, v0
	s_add_i32 s29, s29, s30
	v_ashrrev_i32_e32 v3, 31, v92
	s_ashr_i32 s29, s29, 4
	v_lshrrev_b32_e32 v3, 28, v3
	s_add_i32 s30, s29, -1
	v_add_u32_e32 v3, v92, v3
	s_waitcnt lgkmcnt(0)
	s_mul_i32 s28, s6, s28
	s_mov_b32 s29, 0
	v_ashrrev_i32_e32 v3, 4, v3
	v_mov_b32_e32 v4, s30
	v_cmp_gt_i32_e32 vcc, s11, v92
	s_lshl_b64 s[28:29], s[28:29], 2
	v_cndmask_b32_e32 v4, v4, v3, vcc
	s_add_u32 s26, s26, s28
	v_ashrrev_i32_e32 v5, 31, v4
	s_addc_u32 s27, s27, s29
	v_lshlrev_b64 v[4:5], 2, v[4:5]
	v_mov_b32_e32 v3, s27
	v_add_co_u32_e32 v4, vcc, s26, v4
	v_addc_co_u32_e32 v5, vcc, v3, v5, vcc
	v_ashrrev_i32_e32 v3, 31, v2
	v_lshrrev_b32_e32 v3, 28, v3
	v_add_u32_e32 v2, v2, v3
	v_ashrrev_i32_e32 v12, 4, v2
	v_min_i32_e32 v2, s30, v12
	v_ashrrev_i32_e32 v3, 31, v2
	v_lshlrev_b64 v[2:3], 2, v[2:3]
	v_add_co_u32_e32 v6, vcc, s26, v2
	v_add_u32_e32 v2, 1, v12
	v_mov_b32_e32 v7, s27
	v_min_i32_e32 v2, s30, v2
	v_addc_co_u32_e32 v7, vcc, v7, v3, vcc
	v_ashrrev_i32_e32 v3, 31, v2
	v_lshlrev_b64 v[2:3], 2, v[2:3]
	v_add_co_u32_e32 v8, vcc, s26, v2
	v_add_u32_e32 v2, 2, v12
	v_mov_b32_e32 v9, s27
	v_min_i32_e32 v2, s30, v2
	v_addc_co_u32_e32 v9, vcc, v9, v3, vcc
	;; [unrolled: 7-line block ×3, first 2 shown]
	v_ashrrev_i32_e32 v3, 31, v2
	v_lshlrev_b64 v[2:3], 2, v[2:3]
	v_mov_b32_e32 v13, s27
	v_add_co_u32_e32 v12, vcc, s26, v2
	v_addc_co_u32_e32 v13, vcc, v13, v3, vcc
	global_load_dword v3, v[4:5], off
	global_load_dword v2, v[6:7], off
	;; [unrolled: 1-line block ×5, first 2 shown]
	s_load_dwordx2 s[28:29], s[4:5], 0x8
	s_andn2_b64 vcc, exec, s[16:17]
	s_cbranch_vccnz .LBB290_11
; %bb.9:
	s_add_u32 s2, s2, s18
	s_addc_u32 s3, s3, s19
	s_load_dword s2, s[2:3], 0x0
	s_branch .LBB290_12
.LBB290_10:
	s_mov_b64 s[12:13], 0
	s_branch .LBB290_2
.LBB290_11:
	s_mov_b32 s2, s6
.LBB290_12:
	s_load_dwordx2 s[26:27], s[4:5], 0x10
	s_load_dwordx4 s[16:19], s[4:5], 0x48
	v_cmp_ne_u32_e32 vcc, 3, v91
	s_mov_b32 s3, 0
	v_mov_b32_e32 v88, 0
	v_mov_b32_e32 v56, 0
	;; [unrolled: 1-line block ×5, first 2 shown]
	s_and_saveexec_b64 s[30:31], vcc
	s_cbranch_execz .LBB290_14
; %bb.13:
	s_load_dwordx2 s[34:35], s[4:5], 0x0
	s_waitcnt lgkmcnt(0)
	s_ashr_i32 s9, s16, 31
	s_mul_hi_u32 s19, s2, s16
	s_mul_i32 s9, s2, s9
	s_add_i32 s37, s19, s9
	s_mul_i32 s36, s2, s16
	s_lshl_b64 s[36:37], s[36:37], 1
	s_add_u32 s9, s34, s36
	s_mul_i32 s2, s8, 0x180
	s_addc_u32 s16, s35, s37
	s_lshl_b64 s[34:35], s[2:3], 1
	v_lshlrev_b32_e32 v4, 2, v1
	s_add_u32 s34, s9, s34
	v_and_b32_e32 v4, 0xf0, v4
	s_addc_u32 s35, s16, s35
	v_lshl_or_b32 v4, v91, 8, v4
	global_load_dwordx4 v[56:59], v4, s[34:35]
.LBB290_14:
	s_or_b64 exec, exec, s[30:31]
	s_waitcnt lgkmcnt(0)
	s_mul_i32 s2, s8, s18
	s_lshl_b64 s[8:9], s[2:3], 1
	s_waitcnt vmcnt(4)
	v_mad_i64_i32 v[4:5], s[30:31], v3, s17, 0
	s_add_u32 s2, s8, s28
	v_lshlrev_b64 v[4:5], 1, v[4:5]
	s_addc_u32 s3, s9, s29
	v_mov_b32_e32 v3, s3
	v_add_co_u32_e64 v4, s[2:3], s2, v4
	v_addc_co_u32_e64 v3, s[2:3], v3, v5, s[2:3]
	v_and_b32_e32 v5, 15, v0
	v_lshlrev_b32_e32 v5, 4, v5
	v_add_co_u32_e64 v4, s[2:3], v4, v5
	v_addc_co_u32_e64 v5, s[2:3], 0, v3, s[2:3]
	global_load_dwordx4 v[84:87], v[4:5], off
	global_load_dwordx4 v[30:33], v[4:5], off offset:256
	global_load_dwordx4 v[26:29], v[4:5], off offset:512
	global_load_dwordx4 v[22:25], v[4:5], off offset:768
	global_load_dwordx4 v[18:21], v[4:5], off offset:1024
	global_load_dwordx4 v[80:83], v[4:5], off offset:1280
	global_load_dwordx4 v[46:49], v[4:5], off offset:1536
	global_load_dwordx4 v[42:45], v[4:5], off offset:1792
	global_load_dwordx4 v[38:41], v[4:5], off offset:2048
	global_load_dwordx4 v[34:37], v[4:5], off offset:2304
	global_load_dwordx4 v[76:79], v[4:5], off offset:2560
	global_load_dwordx4 v[72:75], v[4:5], off offset:2816
	global_load_dwordx4 v[68:71], v[4:5], off offset:3072
	global_load_dwordx4 v[64:67], v[4:5], off offset:3328
	global_load_dwordx4 v[50:53], v[4:5], off offset:3584
	global_load_dwordx4 v[60:63], v[4:5], off offset:3840
	v_mov_b32_e32 v89, 1.0
	s_and_saveexec_b64 s[2:3], vcc
	s_cbranch_execz .LBB290_16
; %bb.15:
	s_load_dwordx2 s[18:19], s[4:5], 0x40
	v_add_u32_e32 v88, s7, v91
	v_mov_b32_e32 v89, 0
	v_lshlrev_b64 v[4:5], 2, v[88:89]
	s_waitcnt lgkmcnt(0)
	v_mov_b32_e32 v3, s19
	v_add_co_u32_e32 v4, vcc, s18, v4
	v_addc_co_u32_e32 v5, vcc, v3, v5, vcc
	global_load_dword v88, v[4:5], off
.LBB290_16:
	s_or_b64 exec, exec, s[2:3]
	s_waitcnt vmcnt(15)
	v_mfma_f32_4x4x4bf16_1k a[0:3], v[56:57], v[84:85], 0 cbsz:4
	v_mul_hi_i32 v3, v2, s17
	v_mfma_f32_4x4x4bf16_1k a[0:3], v[58:59], v[86:87], a[0:3] cbsz:4
	v_ashrrev_i32_e32 v3, 31, v3
	s_waitcnt vmcnt(14)
	v_mfma_f32_4x4x4bf16_1k a[0:3], v[56:57], v[30:31], a[0:3] cbsz:4 abid:1
	v_lshrrev_b32_e32 v94, 29, v3
	v_mfma_f32_4x4x4bf16_1k a[0:3], v[58:59], v[32:33], a[0:3] cbsz:4 abid:1
	v_mov_b32_e32 v95, 0
	s_waitcnt vmcnt(13)
	v_mfma_f32_4x4x4bf16_1k a[0:3], v[56:57], v[26:27], a[0:3] cbsz:4 abid:2
	s_load_dword s2, s[4:5], 0x1c
	v_mfma_f32_4x4x4bf16_1k a[0:3], v[58:59], v[28:29], a[0:3] cbsz:4 abid:2
	v_mad_i64_i32 v[2:3], s[4:5], v2, s17, v[94:95]
	s_waitcnt vmcnt(12)
	v_mfma_f32_4x4x4bf16_1k a[0:3], v[56:57], v[22:23], a[0:3] cbsz:4 abid:3
	s_add_u32 s3, s26, s8
	v_mfma_f32_4x4x4bf16_1k a[0:3], v[58:59], v[24:25], a[0:3] cbsz:4 abid:3
	v_lshlrev_b64 v[2:3], 1, v[2:3]
	s_waitcnt vmcnt(11)
	v_mfma_f32_4x4x4bf16_1k a[0:3], v[56:57], v[18:19], a[0:3] cbsz:4 abid:4
	v_mul_hi_i32 v94, v93, s17
	v_mfma_f32_4x4x4bf16_1k a[0:3], v[58:59], v[20:21], a[0:3] cbsz:4 abid:4
	s_addc_u32 s8, s27, s9
	s_waitcnt vmcnt(10)
	v_mfma_f32_4x4x4bf16_1k a[0:3], v[56:57], v[80:81], a[0:3] cbsz:4 abid:5
	v_and_b32_e32 v2, -16, v2
	v_mfma_f32_4x4x4bf16_1k a[0:3], v[58:59], v[82:83], a[0:3] cbsz:4 abid:5
	v_ashrrev_i32_e32 v84, 31, v94
	s_waitcnt vmcnt(9)
	v_mfma_f32_4x4x4bf16_1k a[0:3], v[56:57], v[46:47], a[0:3] cbsz:4 abid:6
	v_mov_b32_e32 v4, s8
	v_mfma_f32_4x4x4bf16_1k a[0:3], v[58:59], v[48:49], a[0:3] cbsz:4 abid:6
	v_add_co_u32_e32 v2, vcc, s3, v2
	s_waitcnt vmcnt(8)
	v_mfma_f32_4x4x4bf16_1k a[0:3], v[56:57], v[42:43], a[0:3] cbsz:4 abid:7
	v_lshrrev_b32_e32 v94, 29, v84
	v_mfma_f32_4x4x4bf16_1k a[0:3], v[58:59], v[44:45], a[0:3] cbsz:4 abid:7
	v_addc_co_u32_e32 v3, vcc, v4, v3, vcc
	s_waitcnt vmcnt(7)
	v_mfma_f32_4x4x4bf16_1k a[0:3], v[56:57], v[38:39], a[0:3] cbsz:4 abid:8
	v_lshlrev_b32_e32 v98, 5, v1
	v_mfma_f32_4x4x4bf16_1k a[0:3], v[58:59], v[40:41], a[0:3] cbsz:4 abid:8
	v_mad_i64_i32 v[30:31], s[4:5], v93, s17, v[94:95]
	s_waitcnt vmcnt(6)
	v_mfma_f32_4x4x4bf16_1k a[0:3], v[56:57], v[34:35], a[0:3] cbsz:4 abid:9
	v_add_co_u32_e32 v96, vcc, v2, v98
	v_mfma_f32_4x4x4bf16_1k a[0:3], v[58:59], v[36:37], a[0:3] cbsz:4 abid:9
	v_lshlrev_b64 v[30:31], 1, v[30:31]
	s_waitcnt vmcnt(5)
	v_mfma_f32_4x4x4bf16_1k a[0:3], v[56:57], v[76:77], a[0:3] cbsz:4 abid:10
	v_mul_hi_i32 v80, v55, s17
	v_mfma_f32_4x4x4bf16_1k a[0:3], v[58:59], v[78:79], a[0:3] cbsz:4 abid:10
	v_addc_co_u32_e32 v97, vcc, 0, v3, vcc
	s_waitcnt vmcnt(4)
	v_mfma_f32_4x4x4bf16_1k a[0:3], v[56:57], v[72:73], a[0:3] cbsz:4 abid:11
	v_and_b32_e32 v26, -16, v30
	v_mfma_f32_4x4x4bf16_1k a[0:3], v[58:59], v[74:75], a[0:3] cbsz:4 abid:11
	v_ashrrev_i32_e32 v80, 31, v80
	s_waitcnt vmcnt(3)
	v_mfma_f32_4x4x4bf16_1k a[0:3], v[56:57], v[68:69], a[0:3] cbsz:4 abid:12
	v_mov_b32_e32 v27, s8
	v_mfma_f32_4x4x4bf16_1k a[0:3], v[58:59], v[70:71], a[0:3] cbsz:4 abid:12
	v_add_co_u32_e32 v22, vcc, s3, v26
	s_waitcnt vmcnt(2)
	v_mfma_f32_4x4x4bf16_1k a[0:3], v[56:57], v[64:65], a[0:3] cbsz:4 abid:13
	v_lshrrev_b32_e32 v94, 29, v80
	v_mfma_f32_4x4x4bf16_1k a[0:3], v[58:59], v[66:67], a[0:3] cbsz:4 abid:13
	v_addc_co_u32_e32 v23, vcc, v27, v31, vcc
	s_waitcnt vmcnt(1)
	v_mfma_f32_4x4x4bf16_1k a[0:3], v[56:57], v[50:51], a[0:3] cbsz:4 abid:14
	v_mad_i64_i32 v[46:47], s[4:5], v55, s17, v[94:95]
	v_mfma_f32_4x4x4bf16_1k a[0:3], v[58:59], v[52:53], a[0:3] cbsz:4 abid:14
	v_add_co_u32_e32 v84, vcc, v22, v98
	v_lshlrev_b64 v[42:43], 1, v[46:47]
	v_mul_hi_i32 v55, v54, s17
	v_addc_co_u32_e32 v85, vcc, 0, v23, vcc
	v_and_b32_e32 v42, -16, v42
	v_ashrrev_i32_e32 v55, 31, v55
	s_waitcnt vmcnt(0)
	v_mfma_f32_4x4x4bf16_1k a[0:3], v[56:57], v[60:61], a[0:3] cbsz:4 abid:15
	v_mov_b32_e32 v38, s8
	v_add_co_u32_e32 v39, vcc, s3, v42
	v_lshrrev_b32_e32 v94, 29, v55
	v_addc_co_u32_e32 v38, vcc, v38, v43, vcc
	v_mad_i64_i32 v[54:55], s[4:5], v54, s17, v[94:95]
	v_mfma_f32_4x4x4bf16_1k a[0:3], v[58:59], v[62:63], a[0:3] cbsz:4 abid:15
	v_add_co_u32_e32 v80, vcc, v39, v98
	v_lshlrev_b64 v[54:55], 1, v[54:55]
	v_addc_co_u32_e32 v81, vcc, 0, v38, vcc
	v_and_b32_e32 v54, -16, v54
	s_nop 0
	v_accvgpr_read_b32 v61, a1
	v_mov_b32_e32 v64, s8
	v_add_co_u32_e32 v50, vcc, s3, v54
	v_accvgpr_read_b32 v60, a0
	v_addc_co_u32_e32 v51, vcc, v64, v55, vcc
	s_waitcnt lgkmcnt(0)
	v_pk_mul_f32 v[60:61], s[2:3], v[60:61] op_sel_hi:[0,1]
	v_add_co_u32_e32 v66, vcc, v50, v98
	v_addc_co_u32_e32 v67, vcc, 0, v51, vcc
	v_accvgpr_read_b32 v59, a3
	v_accvgpr_read_b32 v58, a2
	v_cmp_eq_u32_e32 vcc, 0, v91
	v_pk_mul_f32 v[68:69], s[2:3], v[58:59] op_sel_hi:[0,1]
	v_cndmask_b32_e64 v58, 0, 1.0, vcc
	v_cmp_eq_u32_e32 vcc, 1, v91
	global_load_dwordx4 v[2:5], v[96:97], off
	global_load_dwordx4 v[10:13], v[96:97], off offset:16
	global_load_dwordx4 v[14:17], v[96:97], off offset:2048
	global_load_dwordx4 v[6:9], v[96:97], off offset:2064
	v_mfma_f32_4x4x1f32 a[0:3], v60, v58, 0
	v_cndmask_b32_e64 v58, 0, 1.0, vcc
	v_cmp_eq_u32_e32 vcc, 2, v91
	global_load_dwordx4 v[22:25], v[84:85], off
	global_load_dwordx4 v[30:33], v[84:85], off offset:16
	v_mfma_f32_4x4x1f32 a[0:3], v61, v58, a[0:3]
	v_cndmask_b32_e64 v58, 0, 1.0, vcc
	global_load_dwordx4 v[18:21], v[84:85], off offset:2048
	global_load_dwordx4 v[26:29], v[84:85], off offset:2064
	global_load_dwordx4 v[46:49], v[80:81], off
	global_load_dwordx4 v[34:37], v[80:81], off offset:16
	global_load_dwordx4 v[38:41], v[80:81], off offset:2048
	;; [unrolled: 1-line block ×3, first 2 shown]
	global_load_dwordx4 v[50:53], v[66:67], off
	global_load_dwordx4 v[54:57], v[66:67], off offset:16
	v_mfma_f32_4x4x1f32 a[0:3], v68, v58, a[0:3]
	global_load_dwordx4 v[58:61], v[66:67], off offset:2048
	global_load_dwordx4 v[62:65], v[66:67], off offset:2064
	v_and_b32_e32 v66, -4, v92
	v_subrev_u32_e32 v67, s11, v66
	v_add_u32_e32 v68, 1, v67
	v_mfma_f32_4x4x1f32 a[0:3], v69, v89, a[0:3]
	v_cvt_f32_i32_e32 v68, v68
	v_add_u32_e32 v69, 2, v67
	v_cvt_f32_i32_e32 v69, v69
	v_mov_b32_e32 v73, 0xff7fffff
	v_cmp_gt_i32_e32 vcc, s11, v66
	v_accvgpr_read_b32 v70, a0
	v_fma_f32 v68, v88, v68, v70
	v_accvgpr_read_b32 v70, a1
	v_fma_f32 v69, v88, v69, v70
	v_add_u32_e32 v70, 3, v67
	v_cvt_f32_i32_e32 v70, v70
	v_add_u32_e32 v67, 4, v67
	v_max_f32_e32 v72, 0xff7fffff, v68
	v_cvt_f32_i32_e32 v67, v67
	v_cndmask_b32_e32 v72, v73, v72, vcc
	v_or_b32_e32 v73, 1, v66
	v_accvgpr_read_b32 v71, a2
	v_max_f32_e32 v74, v72, v69
	v_cmp_gt_i32_e64 s[2:3], s11, v73
	v_fma_f32 v70, v88, v70, v71
	v_cndmask_b32_e64 v72, v72, v74, s[2:3]
	v_or_b32_e32 v66, 2, v66
	v_accvgpr_read_b32 v71, a3
	v_max_f32_e32 v73, v72, v70
	v_cmp_gt_i32_e64 s[4:5], s11, v66
	v_fmac_f32_e32 v71, v88, v67
	v_cndmask_b32_e64 v66, v72, v73, s[4:5]
	v_or_b32_e32 v72, 3, v92
	v_max_f32_e32 v73, v66, v71
	v_cmp_gt_i32_e64 s[8:9], s11, v72
	v_lshlrev_b32_e32 v67, 2, v0
	v_cndmask_b32_e64 v66, v66, v73, s[8:9]
	v_and_or_b32 v67, v67, 48, v91
	;;#ASMSTART
	v_nop
 v_nop
 v_max_f32_dpp v66, v66, v66 row_ror:4
	;;#ASMEND
	v_lshlrev_b32_e32 v73, 2, v67
	;;#ASMSTART
	v_nop
 v_nop
 v_max_f32_dpp v66, v66, v66 row_ror:8
	;;#ASMEND
	ds_bpermute_b32 v66, v73, v66
	s_waitcnt lgkmcnt(0)
	;;#ASMSTART
	v_nop
 v_nop
 v_max_f32_dpp v66, v66, v66 row_ror:4
	;;#ASMEND
	;;#ASMSTART
	v_nop
 v_nop
 v_max_f32_dpp v72, v66, v66 row_ror:8
	;;#ASMEND
	v_sub_f32_e32 v66, v68, v72
	v_mul_f32_e32 v66, 0x3fb8aa3b, v66
	v_sub_f32_e32 v67, v69, v72
	v_exp_f32_e32 v66, v66
	v_mul_f32_e32 v67, 0x3fb8aa3b, v67
	v_sub_f32_e32 v69, v70, v72
	v_exp_f32_e32 v67, v67
	v_mul_f32_e32 v69, 0x3fb8aa3b, v69
	v_sub_f32_e32 v70, v71, v72
	v_exp_f32_e32 v69, v69
	v_mul_f32_e32 v70, 0x3fb8aa3b, v70
	v_exp_f32_e32 v70, v70
	v_cndmask_b32_e32 v66, 0, v66, vcc
	v_add_f32_e32 v68, 0, v66
	v_cndmask_b32_e64 v67, 0, v67, s[2:3]
	v_add_f32_e32 v71, v68, v67
	v_cndmask_b32_e64 v68, 0, v69, s[4:5]
	;; [unrolled: 2-line block ×3, first 2 shown]
	v_add_f32_e32 v70, v71, v69
	;;#ASMSTART
	v_nop
 v_nop
 v_add_f32_dpp v70, v70, v70 row_ror:4
	;;#ASMEND
	;;#ASMSTART
	v_nop
 v_nop
 v_add_f32_dpp v70, v70, v70 row_ror:8
	;;#ASMEND
	ds_bpermute_b32 v70, v73, v70
	s_waitcnt lgkmcnt(0)
	;;#ASMSTART
	v_nop
 v_nop
 v_add_f32_dpp v70, v70, v70 row_ror:4
	;;#ASMEND
	v_cmp_gt_u32_e32 vcc, 4, v1
	;;#ASMSTART
	v_nop
 v_nop
 v_add_f32_dpp v70, v70, v70 row_ror:8
	;;#ASMEND
	s_and_saveexec_b64 s[2:3], vcc
	s_cbranch_execz .LBB290_18
; %bb.17:
	v_mul_u32_u24_e32 v71, 20, v90
	v_lshl_add_u32 v71, v91, 2, v71
	v_add_u32_e32 v71, 0x1400, v71
	ds_write2_b32 v71, v72, v70 offset1:20
.LBB290_18:
	s_or_b64 exec, exec, s[2:3]
.LBB290_19:
	s_or_b64 exec, exec, s[24:25]
	s_waitcnt lgkmcnt(0)
	s_barrier
	s_load_dword s2, s[22:23], 0x8
	v_lshlrev_b32_e32 v70, 2, v91
	v_add_u32_e32 v73, 0x1400, v70
	ds_read2_b32 v[70:71], v73 offset1:5
	ds_read2_b32 v[76:77], v73 offset0:10 offset1:15
	s_mul_i32 s3, s6, s33
	s_waitcnt lgkmcnt(0)
	s_mul_i32 s2, s3, s2
	s_mov_b32 s3, 0xff7fffff
	v_max3_f32 v74, v70, s3, v71
	v_max3_f32 v74, v74, v76, v77
	v_sub_f32_e32 v70, v70, v74
	v_mul_f32_e32 v70, 0x3fb8aa3b, v70
	v_exp_f32_e32 v75, v70
	v_sub_f32_e32 v70, v71, v74
	ds_read2_b32 v[78:79], v73 offset0:20 offset1:25
	v_mul_f32_e32 v70, 0x3fb8aa3b, v70
	v_exp_f32_e32 v80, v70
	ds_read2_b32 v[70:71], v73 offset0:30 offset1:35
	v_sub_f32_e32 v73, v76, v74
	v_mul_f32_e32 v73, 0x3fb8aa3b, v73
	v_sub_f32_e32 v76, v77, v74
	v_exp_f32_e32 v73, v73
	v_mul_f32_e32 v76, 0x3fb8aa3b, v76
	v_exp_f32_e32 v76, v76
	s_waitcnt lgkmcnt(1)
	v_fma_f32 v75, v75, v78, 0
	v_fmac_f32_e32 v75, v80, v79
	s_waitcnt lgkmcnt(0)
	v_fmac_f32_e32 v75, v73, v70
	s_mul_i32 s2, s2, 3
	v_fmac_f32_e32 v75, v76, v71
	v_cmp_ne_u32_e32 vcc, 3, v91
	s_and_saveexec_b64 s[4:5], vcc
	s_cbranch_execz .LBB290_21
; %bb.20:
	s_mov_b32 s3, 0
	s_lshl_b64 s[8:9], s[2:3], 2
	s_add_u32 s6, s12, s8
	s_mov_b32 s11, s3
	s_addc_u32 s16, s13, s9
	s_lshl_b64 s[12:13], s[10:11], 2
	s_add_u32 s3, s6, s12
	s_addc_u32 s6, s16, s13
	v_add_u32_e32 v70, s7, v91
	s_add_u32 s8, s14, s8
	v_mul_lo_u32 v70, s33, v70
	v_mov_b32_e32 v71, 0
	s_addc_u32 s9, s15, s9
	v_lshlrev_b64 v[70:71], 2, v[70:71]
	s_add_u32 s8, s8, s12
	v_mov_b32_e32 v73, s6
	v_add_co_u32_e32 v76, vcc, s3, v70
	s_addc_u32 s9, s9, s13
	v_addc_co_u32_e32 v77, vcc, v73, v71, vcc
	v_mov_b32_e32 v73, s9
	v_add_co_u32_e32 v70, vcc, s8, v70
	v_addc_co_u32_e32 v71, vcc, v73, v71, vcc
	global_store_dword v[70:71], v74, off
	global_store_dword v[76:77], v75, off
.LBB290_21:
	s_or_b64 exec, exec, s[4:5]
	v_lshlrev_b32_e32 v73, 3, v90
                                        ; implicit-def: $sgpr3
	s_and_saveexec_b64 s[4:5], s[0:1]
	s_xor_b64 s[0:1], exec, s[4:5]
	s_cbranch_execz .LBB290_23
; %bb.22:
	s_waitcnt vmcnt(15)
	v_mov_b32_e32 v2, 0
	v_mad_u32_u24 v4, v1, 40, v73
	s_mov_b32 s3, 0
	v_mov_b32_e32 v3, v2
	ds_write_b64 v4, v[2:3]
                                        ; implicit-def: $vgpr69
                                        ; implicit-def: $vgpr67
                                        ; implicit-def: $vgpr3
                                        ; implicit-def: $vgpr11
                                        ; implicit-def: $vgpr23
                                        ; implicit-def: $vgpr31
                                        ; implicit-def: $vgpr47
                                        ; implicit-def: $vgpr35
                                        ; implicit-def: $vgpr51
                                        ; implicit-def: $vgpr55
                                        ; implicit-def: $vgpr15
                                        ; implicit-def: $vgpr7
                                        ; implicit-def: $vgpr19
                                        ; implicit-def: $vgpr27
                                        ; implicit-def: $vgpr39
                                        ; implicit-def: $vgpr43
                                        ; implicit-def: $vgpr59
                                        ; implicit-def: $vgpr63
                                        ; implicit-def: $vgpr72
                                        ; implicit-def: $vgpr74
                                        ; implicit-def: $vgpr75
.LBB290_23:
	s_or_saveexec_b64 s[0:1], s[0:1]
	v_mov_b32_e32 v70, s3
	v_mov_b32_e32 v71, s3
	s_xor_b64 exec, exec, s[0:1]
	s_cbranch_execz .LBB290_25
; %bb.24:
	v_add_f32_e32 v70, 0x358637bd, v75
	v_div_scale_f32 v71, s[4:5], v70, v70, 1.0
	v_rcp_f32_e32 v75, v71
	v_sub_f32_e32 v72, v72, v74
	v_mul_f32_e32 v72, 0x3fb8aa3b, v72
	v_exp_f32_e32 v72, v72
	v_fma_f32 v74, -v71, v75, 1.0
	v_fmac_f32_e32 v75, v74, v75
	v_div_scale_f32 v74, vcc, 1.0, v70, 1.0
	v_mul_f32_e32 v76, v74, v75
	v_fma_f32 v77, -v71, v76, v74
	v_fmac_f32_e32 v76, v77, v75
	v_fma_f32 v71, -v71, v76, v74
	v_div_fmas_f32 v71, v71, v75, v76
	v_div_fixup_f32 v70, v71, v70, 1.0
	v_mul_f32_e32 v70, v72, v70
	v_pk_mul_f32 v[66:67], v[66:67], v[70:71] op_sel_hi:[1,0]
	v_pk_mul_f32 v[68:69], v[68:69], v[70:71] op_sel_hi:[1,0]
	v_bfe_u32 v70, v67, 16, 1
	v_bfe_u32 v71, v66, 16, 1
	s_movk_i32 s3, 0x7fff
	v_add3_u32 v66, v66, v71, s3
	v_add3_u32 v67, v67, v70, s3
	s_mov_b32 s4, 0x7060302
	v_perm_b32 v66, v67, v66, s4
	v_bfe_u32 v67, v69, 16, 1
	v_bfe_u32 v70, v68, 16, 1
	v_add3_u32 v68, v68, v70, s3
	v_add3_u32 v67, v69, v67, s3
	v_perm_b32 v67, v67, v68, s4
	s_waitcnt vmcnt(15)
	s_nop 0
	v_mfma_f32_4x4x4bf16_1k a[0:3], v[66:67], v[2:3], 0 cbsz:4
	v_mfma_f32_4x4x4bf16_1k a[0:3], v[66:67], v[4:5], a[0:3] cbsz:4 abid:1
	s_waitcnt vmcnt(14)
	v_mfma_f32_4x4x4bf16_1k a[0:3], v[66:67], v[10:11], a[0:3] cbsz:4 abid:2
	v_mfma_f32_4x4x4bf16_1k a[0:3], v[66:67], v[12:13], a[0:3] cbsz:4 abid:3
	s_waitcnt vmcnt(11)
	v_mfma_f32_4x4x4bf16_1k a[0:3], v[66:67], v[22:23], a[0:3] cbsz:4 abid:4
	;; [unrolled: 3-line block ×6, first 2 shown]
	v_mfma_f32_4x4x4bf16_1k a[4:7], v[66:67], v[14:15], 0 cbsz:4
	v_mfma_f32_4x4x4bf16_1k a[0:3], v[66:67], v[52:53], a[0:3] cbsz:4 abid:13
	v_mfma_f32_4x4x4bf16_1k a[4:7], v[66:67], v[16:17], a[4:7] cbsz:4 abid:1
	s_waitcnt vmcnt(2)
	v_mfma_f32_4x4x4bf16_1k a[0:3], v[66:67], v[54:55], a[0:3] cbsz:4 abid:14
	v_mfma_f32_4x4x4bf16_1k a[4:7], v[66:67], v[6:7], a[4:7] cbsz:4 abid:2
	;; [unrolled: 1-line block ×3, first 2 shown]
	s_nop 4
	v_accvgpr_read_b32 v3, a2
	v_accvgpr_read_b32 v4, a3
	;; [unrolled: 1-line block ×4, first 2 shown]
	v_mfma_f32_4x4x4bf16_1k a[0:3], v[66:67], v[8:9], a[4:7] cbsz:4 abid:3
	v_bfe_u32 v6, v5, 16, 1
	v_mfma_f32_4x4x4bf16_1k a[0:3], v[66:67], v[18:19], a[0:3] cbsz:4 abid:4
	v_bfe_u32 v7, v2, 16, 1
	v_mfma_f32_4x4x4bf16_1k a[0:3], v[66:67], v[20:21], a[0:3] cbsz:4 abid:5
	v_add3_u32 v2, v2, v7, s3
	v_mfma_f32_4x4x4bf16_1k a[0:3], v[66:67], v[26:27], a[0:3] cbsz:4 abid:6
	v_add3_u32 v5, v5, v6, s3
	v_mfma_f32_4x4x4bf16_1k a[0:3], v[66:67], v[28:29], a[0:3] cbsz:4 abid:7
	v_perm_b32 v2, v5, v2, s4
	v_mfma_f32_4x4x4bf16_1k a[0:3], v[66:67], v[38:39], a[0:3] cbsz:4 abid:8
	v_bfe_u32 v5, v4, 16, 1
	v_mfma_f32_4x4x4bf16_1k a[0:3], v[66:67], v[40:41], a[0:3] cbsz:4 abid:9
	v_bfe_u32 v6, v3, 16, 1
	v_mfma_f32_4x4x4bf16_1k a[0:3], v[66:67], v[42:43], a[0:3] cbsz:4 abid:10
	v_add3_u32 v3, v3, v6, s3
	v_mfma_f32_4x4x4bf16_1k a[0:3], v[66:67], v[44:45], a[0:3] cbsz:4 abid:11
	v_add3_u32 v4, v4, v5, s3
	s_waitcnt vmcnt(1)
	v_mfma_f32_4x4x4bf16_1k a[0:3], v[66:67], v[58:59], a[0:3] cbsz:4 abid:12
	v_perm_b32 v3, v4, v3, s4
	v_mfma_f32_4x4x4bf16_1k a[0:3], v[66:67], v[60:61], a[0:3] cbsz:4 abid:13
	v_mad_u32_u24 v4, v1, 40, v73
	s_waitcnt vmcnt(0)
	v_mfma_f32_4x4x4bf16_1k a[0:3], v[66:67], v[62:63], a[0:3] cbsz:4 abid:14
	ds_write_b64 v4, v[2:3]
	v_mfma_f32_4x4x4bf16_1k a[0:3], v[66:67], v[64:65], a[0:3] cbsz:4 abid:15
	s_nop 4
	v_accvgpr_read_b32 v4, a0
	v_accvgpr_read_b32 v5, a1
	;; [unrolled: 1-line block ×4, first 2 shown]
	v_bfe_u32 v6, v5, 16, 1
	v_bfe_u32 v7, v4, 16, 1
	v_add3_u32 v4, v4, v7, s3
	v_add3_u32 v5, v5, v6, s3
	v_bfe_u32 v6, v3, 16, 1
	v_bfe_u32 v7, v2, 16, 1
	v_add3_u32 v2, v2, v7, s3
	v_add3_u32 v3, v3, v6, s3
	v_perm_b32 v71, v3, v2, s4
	v_perm_b32 v70, v5, v4, s4
.LBB290_25:
	s_or_b64 exec, exec, s[0:1]
	s_waitcnt vmcnt(15)
	v_mad_u32_u24 v2, v1, 40, v73
	v_cmp_gt_u32_e32 vcc, 64, v0
	ds_write_b64 v2, v[70:71] offset:2560
	s_waitcnt lgkmcnt(0)
	s_barrier
	s_and_saveexec_b64 s[0:1], vcc
	s_cbranch_execz .LBB290_27
; %bb.26:
	s_waitcnt vmcnt(12)
	v_mul_u32_u24_e32 v6, 40, v1
	ds_read2_b64 v[2:5], v6 offset1:1
	ds_read2_b64 v[6:9], v6 offset0:2 offset1:3
	s_mov_b32 s1, 0
	s_lshl_b32 s0, s2, 7
	s_lshl_b64 s[2:3], s[0:1], 1
	s_waitcnt lgkmcnt(1)
	v_and_b32_e32 v10, 0xffff0000, v2
	v_lshlrev_b32_e32 v3, 16, v3
	v_add_f32_e32 v10, 0, v10
	v_add_f32_e32 v3, 0, v3
	v_and_b32_e32 v10, 0xffff0000, v10
	v_and_b32_e32 v11, 0xffff0000, v4
	;; [unrolled: 1-line block ×3, first 2 shown]
	v_add_f32_e32 v10, v10, v11
	v_lshlrev_b32_e32 v5, 16, v5
	v_and_b32_e32 v10, 0xffff0000, v10
	v_add_f32_e32 v3, v3, v5
	s_waitcnt lgkmcnt(0)
	v_and_b32_e32 v5, 0xffff0000, v6
	v_and_b32_e32 v3, 0xffff0000, v3
	v_add_f32_e32 v5, v10, v5
	v_lshlrev_b32_e32 v7, 16, v7
	v_and_b32_e32 v5, 0xffff0000, v5
	v_add_f32_e32 v3, v3, v7
	v_and_b32_e32 v7, 0xffff0000, v8
	s_waitcnt vmcnt(9)
	v_add_f32_e32 v18, v5, v7
	v_mov_b32_e32 v7, 0xa00
	v_mad_u32_u24 v7, v1, 40, v7
	ds_read2_b64 v[10:13], v7 offset1:1
	v_and_b32_e32 v3, 0xffff0000, v3
	v_lshlrev_b32_e32 v5, 16, v9
	v_add_f32_e32 v9, v3, v5
	v_mov_b32_e32 v3, 0xa10
	v_mad_u32_u24 v1, v1, 40, v3
	ds_read2_b64 v[14:17], v1 offset1:1
	s_waitcnt lgkmcnt(1)
	v_lshlrev_b32_e32 v1, 16, v10
	v_add_f32_e32 v1, 0, v1
	v_and_b32_e32 v3, 0xffff0000, v10
	v_and_b32_e32 v1, 0xffff0000, v1
	v_add_f32_e32 v3, 0, v3
	v_lshlrev_b32_e32 v5, 16, v11
	v_lshlrev_b32_e32 v7, 16, v12
	v_and_b32_e32 v3, 0xffff0000, v3
	v_add_f32_e32 v5, 0, v5
	v_add_f32_e32 v1, v1, v7
	v_and_b32_e32 v7, 0xffff0000, v12
	v_and_b32_e32 v5, 0xffff0000, v5
	v_add_f32_e32 v3, v3, v7
	v_lshlrev_b32_e32 v7, 16, v13
	v_and_b32_e32 v1, 0xffff0000, v1
	v_add_f32_e32 v5, v5, v7
	s_waitcnt lgkmcnt(0)
	v_lshlrev_b32_e32 v7, 16, v14
	v_and_b32_e32 v3, 0xffff0000, v3
	v_add_f32_e32 v1, v1, v7
	v_and_b32_e32 v7, 0xffff0000, v14
	v_and_b32_e32 v5, 0xffff0000, v5
	v_add_f32_e32 v3, v3, v7
	v_lshlrev_b32_e32 v7, 16, v15
	v_and_b32_e32 v1, 0xffff0000, v1
	v_add_f32_e32 v5, v5, v7
	v_lshlrev_b32_e32 v7, 16, v16
	v_and_b32_e32 v3, 0xffff0000, v3
	v_add_f32_e32 v10, v1, v7
	v_and_b32_e32 v1, 0xffff0000, v16
	v_and_b32_e32 v5, 0xffff0000, v5
	v_add_f32_e32 v11, v3, v1
	v_lshlrev_b32_e32 v1, 16, v17
	v_add_f32_e32 v12, v5, v1
	v_lshlrev_b32_e32 v1, 16, v2
	s_add_u32 s2, s20, s2
	v_add_f32_e32 v1, 0, v1
	s_addc_u32 s3, s21, s3
	s_lshl_b32 s0, s10, 7
	v_and_b32_e32 v1, 0xffff0000, v1
	v_lshlrev_b32_e32 v2, 16, v4
	s_lshl_b64 s[0:1], s[0:1], 1
	v_add_f32_e32 v1, v1, v2
	s_add_u32 s0, s2, s0
	v_and_b32_e32 v1, 0xffff0000, v1
	v_lshlrev_b32_e32 v2, 16, v6
	s_addc_u32 s1, s3, s1
	s_lshl_b32 s2, s33, 7
	v_add_f32_e32 v1, v1, v2
	v_and_b32_e32 v1, 0xffff0000, v1
	v_lshlrev_b32_e32 v2, 16, v8
	s_mul_i32 s3, s2, s7
	v_add_f32_e32 v1, v1, v2
	v_or_b32_e32 v2, s3, v0
	v_mov_b32_e32 v3, 0
	v_lshlrev_b64 v[4:5], 1, v[2:3]
	v_mov_b32_e32 v2, s1
	v_add_co_u32_e32 v4, vcc, s0, v4
	s_add_i32 s3, s3, s2
	v_addc_co_u32_e32 v5, vcc, v2, v5, vcc
	v_or_b32_e32 v2, s3, v0
	v_lshlrev_b64 v[6:7], 1, v[2:3]
	s_add_i32 s3, s3, s2
	global_store_short_d16_hi v[4:5], v1, off
	v_mov_b32_e32 v1, s1
	v_add_co_u32_e32 v6, vcc, s0, v6
	v_or_b32_e32 v2, s3, v0
	v_addc_co_u32_e32 v7, vcc, v1, v7, vcc
	v_lshlrev_b64 v[0:1], 1, v[2:3]
	v_mov_b32_e32 v2, s1
	v_add_co_u32_e32 v0, vcc, s0, v0
	v_addc_co_u32_e32 v1, vcc, v2, v1, vcc
	global_store_short_d16_hi v[6:7], v18, off
	global_store_short_d16_hi v[0:1], v9, off
	global_store_short_d16_hi v[4:5], v10, off offset:128
	global_store_short_d16_hi v[6:7], v11, off offset:128
	;; [unrolled: 1-line block ×3, first 2 shown]
.LBB290_27:
	s_endpgm
	.section	.rodata,"a",@progbits
	.p2align	6, 0x0
	.amdhsa_kernel _Z38paged_attention_ll4mi_QKV_mfma4_kernelI14__hip_bfloat16S0_LN4vllm18Fp8KVCacheDataTypeE0ES0_Li16ELi128ELi256ELb1ELi3EEvPKT_PKT0_S8_ifPKiSA_SA_iPKfiiiPfSD_PS3_PT2_iSC_SC_
		.amdhsa_group_segment_fixed_size 5280
		.amdhsa_private_segment_fixed_size 0
		.amdhsa_kernarg_size 400
		.amdhsa_user_sgpr_count 6
		.amdhsa_user_sgpr_private_segment_buffer 1
		.amdhsa_user_sgpr_dispatch_ptr 0
		.amdhsa_user_sgpr_queue_ptr 0
		.amdhsa_user_sgpr_kernarg_segment_ptr 1
		.amdhsa_user_sgpr_dispatch_id 0
		.amdhsa_user_sgpr_flat_scratch_init 0
		.amdhsa_user_sgpr_kernarg_preload_length 0
		.amdhsa_user_sgpr_kernarg_preload_offset 0
		.amdhsa_user_sgpr_private_segment_size 0
		.amdhsa_uses_dynamic_stack 0
		.amdhsa_system_sgpr_private_segment_wavefront_offset 0
		.amdhsa_system_sgpr_workgroup_id_x 1
		.amdhsa_system_sgpr_workgroup_id_y 1
		.amdhsa_system_sgpr_workgroup_id_z 1
		.amdhsa_system_sgpr_workgroup_info 0
		.amdhsa_system_vgpr_workitem_id 0
		.amdhsa_next_free_vgpr 108
		.amdhsa_next_free_sgpr 38
		.amdhsa_accum_offset 100
		.amdhsa_reserve_vcc 1
		.amdhsa_reserve_flat_scratch 0
		.amdhsa_float_round_mode_32 0
		.amdhsa_float_round_mode_16_64 0
		.amdhsa_float_denorm_mode_32 3
		.amdhsa_float_denorm_mode_16_64 3
		.amdhsa_dx10_clamp 1
		.amdhsa_ieee_mode 1
		.amdhsa_fp16_overflow 0
		.amdhsa_tg_split 0
		.amdhsa_exception_fp_ieee_invalid_op 0
		.amdhsa_exception_fp_denorm_src 0
		.amdhsa_exception_fp_ieee_div_zero 0
		.amdhsa_exception_fp_ieee_overflow 0
		.amdhsa_exception_fp_ieee_underflow 0
		.amdhsa_exception_fp_ieee_inexact 0
		.amdhsa_exception_int_div_zero 0
	.end_amdhsa_kernel
	.section	.text._Z38paged_attention_ll4mi_QKV_mfma4_kernelI14__hip_bfloat16S0_LN4vllm18Fp8KVCacheDataTypeE0ES0_Li16ELi128ELi256ELb1ELi3EEvPKT_PKT0_S8_ifPKiSA_SA_iPKfiiiPfSD_PS3_PT2_iSC_SC_,"axG",@progbits,_Z38paged_attention_ll4mi_QKV_mfma4_kernelI14__hip_bfloat16S0_LN4vllm18Fp8KVCacheDataTypeE0ES0_Li16ELi128ELi256ELb1ELi3EEvPKT_PKT0_S8_ifPKiSA_SA_iPKfiiiPfSD_PS3_PT2_iSC_SC_,comdat
.Lfunc_end290:
	.size	_Z38paged_attention_ll4mi_QKV_mfma4_kernelI14__hip_bfloat16S0_LN4vllm18Fp8KVCacheDataTypeE0ES0_Li16ELi128ELi256ELb1ELi3EEvPKT_PKT0_S8_ifPKiSA_SA_iPKfiiiPfSD_PS3_PT2_iSC_SC_, .Lfunc_end290-_Z38paged_attention_ll4mi_QKV_mfma4_kernelI14__hip_bfloat16S0_LN4vllm18Fp8KVCacheDataTypeE0ES0_Li16ELi128ELi256ELb1ELi3EEvPKT_PKT0_S8_ifPKiSA_SA_iPKfiiiPfSD_PS3_PT2_iSC_SC_
                                        ; -- End function
	.section	.AMDGPU.csdata,"",@progbits
; Kernel info:
; codeLenInByte = 4428
; NumSgprs: 42
; NumVgprs: 99
; NumAgprs: 8
; TotalNumVgprs: 108
; ScratchSize: 0
; MemoryBound: 0
; FloatMode: 240
; IeeeMode: 1
; LDSByteSize: 5280 bytes/workgroup (compile time only)
; SGPRBlocks: 5
; VGPRBlocks: 13
; NumSGPRsForWavesPerEU: 42
; NumVGPRsForWavesPerEU: 108
; AccumOffset: 100
; Occupancy: 4
; WaveLimiterHint : 1
; COMPUTE_PGM_RSRC2:SCRATCH_EN: 0
; COMPUTE_PGM_RSRC2:USER_SGPR: 6
; COMPUTE_PGM_RSRC2:TRAP_HANDLER: 0
; COMPUTE_PGM_RSRC2:TGID_X_EN: 1
; COMPUTE_PGM_RSRC2:TGID_Y_EN: 1
; COMPUTE_PGM_RSRC2:TGID_Z_EN: 1
; COMPUTE_PGM_RSRC2:TIDIG_COMP_CNT: 0
; COMPUTE_PGM_RSRC3_GFX90A:ACCUM_OFFSET: 24
; COMPUTE_PGM_RSRC3_GFX90A:TG_SPLIT: 0
	.section	.text._Z38paged_attention_ll4mi_QKV_mfma4_kernelI14__hip_bfloat16S0_LN4vllm18Fp8KVCacheDataTypeE0ES0_Li16ELi128ELi256ELb1ELi4EEvPKT_PKT0_S8_ifPKiSA_SA_iPKfiiiPfSD_PS3_PT2_iSC_SC_,"axG",@progbits,_Z38paged_attention_ll4mi_QKV_mfma4_kernelI14__hip_bfloat16S0_LN4vllm18Fp8KVCacheDataTypeE0ES0_Li16ELi128ELi256ELb1ELi4EEvPKT_PKT0_S8_ifPKiSA_SA_iPKfiiiPfSD_PS3_PT2_iSC_SC_,comdat
	.protected	_Z38paged_attention_ll4mi_QKV_mfma4_kernelI14__hip_bfloat16S0_LN4vllm18Fp8KVCacheDataTypeE0ES0_Li16ELi128ELi256ELb1ELi4EEvPKT_PKT0_S8_ifPKiSA_SA_iPKfiiiPfSD_PS3_PT2_iSC_SC_ ; -- Begin function _Z38paged_attention_ll4mi_QKV_mfma4_kernelI14__hip_bfloat16S0_LN4vllm18Fp8KVCacheDataTypeE0ES0_Li16ELi128ELi256ELb1ELi4EEvPKT_PKT0_S8_ifPKiSA_SA_iPKfiiiPfSD_PS3_PT2_iSC_SC_
	.globl	_Z38paged_attention_ll4mi_QKV_mfma4_kernelI14__hip_bfloat16S0_LN4vllm18Fp8KVCacheDataTypeE0ES0_Li16ELi128ELi256ELb1ELi4EEvPKT_PKT0_S8_ifPKiSA_SA_iPKfiiiPfSD_PS3_PT2_iSC_SC_
	.p2align	8
	.type	_Z38paged_attention_ll4mi_QKV_mfma4_kernelI14__hip_bfloat16S0_LN4vllm18Fp8KVCacheDataTypeE0ES0_Li16ELi128ELi256ELb1ELi4EEvPKT_PKT0_S8_ifPKiSA_SA_iPKfiiiPfSD_PS3_PT2_iSC_SC_,@function
_Z38paged_attention_ll4mi_QKV_mfma4_kernelI14__hip_bfloat16S0_LN4vllm18Fp8KVCacheDataTypeE0ES0_Li16ELi128ELi256ELb1ELi4EEvPKT_PKT0_S8_ifPKiSA_SA_iPKfiiiPfSD_PS3_PT2_iSC_SC_: ; @_Z38paged_attention_ll4mi_QKV_mfma4_kernelI14__hip_bfloat16S0_LN4vllm18Fp8KVCacheDataTypeE0ES0_Li16ELi128ELi256ELb1ELi4EEvPKT_PKT0_S8_ifPKiSA_SA_iPKfiiiPfSD_PS3_PT2_iSC_SC_
; %bb.0:
	s_load_dwordx2 s[2:3], s[4:5], 0x30
	s_mov_b32 s10, s7
	s_mov_b64 s[0:1], 0
	s_waitcnt lgkmcnt(0)
	s_cmp_lg_u64 s[2:3], 0
	s_cselect_b64 s[16:17], -1, 0
	s_and_b64 vcc, exec, s[16:17]
	s_cbranch_vccz .LBB291_20
; %bb.1:
	s_add_i32 s12, s6, 1
	s_mov_b32 s13, 0
	s_lshl_b64 s[14:15], s[12:13], 2
	s_add_u32 s14, s2, s14
	s_mov_b32 s7, s13
	s_addc_u32 s15, s3, s15
	s_lshl_b64 s[12:13], s[6:7], 2
	s_add_u32 s12, s2, s12
	s_addc_u32 s13, s3, s13
	s_load_dword s9, s[14:15], 0x0
	s_load_dword s11, s[12:13], 0x0
	s_mov_b64 s[30:31], s[6:7]
	s_waitcnt lgkmcnt(0)
	s_sub_i32 s9, s9, s11
	s_cmp_eq_u32 s9, 1
	s_cselect_b64 s[12:13], -1, 0
	s_andn2_b64 vcc, exec, s[0:1]
	s_cbranch_vccnz .LBB291_3
.LBB291_2:
	s_mov_b32 s7, 0
	s_mov_b64 s[12:13], -1
	s_mov_b64 s[30:31], s[6:7]
.LBB291_3:
	s_andn2_b64 vcc, exec, s[12:13]
	s_cbranch_vccnz .LBB291_19
; %bb.4:
	s_load_dword s7, s[4:5], 0x9c
	s_load_dwordx2 s[0:1], s[4:5], 0x28
	s_add_u32 s26, s4, 0x90
	s_addc_u32 s27, s5, 0
	s_lshl_b64 s[18:19], s[30:31], 2
	s_waitcnt lgkmcnt(0)
	s_and_b32 s7, s7, 0xffff
	s_add_u32 s0, s0, s18
	s_addc_u32 s1, s1, s19
	s_load_dword s11, s[0:1], 0x0
	s_mul_i32 s9, s10, s7
	s_waitcnt lgkmcnt(0)
	s_cmp_ge_i32 s9, s11
	s_cbranch_scc1 .LBB291_19
; %bb.5:
	v_and_b32_e32 v1, 0xc0, v0
	v_and_b32_e32 v73, 3, v0
	s_lshl_b32 s7, s8, 2
	v_add_u32_e32 v2, s9, v1
	v_lshrrev_b32_e32 v72, 6, v0
	v_cmp_le_i32_e64 s[0:1], s11, v2
	v_or_b32_e32 v66, s7, v73
                                        ; implicit-def: $sgpr21
                                        ; implicit-def: $sgpr20
	s_and_saveexec_b64 s[12:13], s[0:1]
	s_xor_b64 s[12:13], exec, s[12:13]
	s_cbranch_execz .LBB291_7
; %bb.6:
	v_mul_u32_u24_e32 v1, 20, v72
	v_or_b32_e32 v1, 0x1400, v1
	v_mov_b32_e32 v2, 0x1450
	v_mov_b32_e32 v3, 0xff7fffff
	v_mad_u32_u24 v2, v72, 20, v2
	ds_write2_b32 v1, v3, v3 offset1:1
	v_mov_b32_e32 v1, 0
	ds_write2_b32 v2, v1, v1 offset1:1
	v_mov_b32_e32 v2, 0x1408
	s_mov_b32 s20, 0xff7fffff
	s_mov_b32 s21, 0
	v_mad_u32_u24 v2, v72, 20, v2
	v_mov_b32_e32 v4, 0x1458
	v_or_b32_e32 v66, s7, v73
	v_mad_u32_u24 v4, v72, 20, v4
	ds_write2_b32 v2, v3, v3 offset1:1
	ds_write2_b32 v4, v1, v1 offset1:1
                                        ; implicit-def: $vgpr2
.LBB291_7:
	s_or_saveexec_b64 s[28:29], s[12:13]
	s_load_dwordx2 s[24:25], s[4:5], 0x68
	s_load_dwordx4 s[12:15], s[4:5], 0x58
	s_load_dword s33, s[26:27], 0x4
	v_and_b32_e32 v1, 63, v0
	v_mov_b32_e32 v71, s21
	v_mov_b32_e32 v74, s20
	;; [unrolled: 1-line block ×5, first 2 shown]
                                        ; implicit-def: $vgpr3
                                        ; implicit-def: $vgpr7
                                        ; implicit-def: $vgpr23
                                        ; implicit-def: $vgpr31
                                        ; implicit-def: $vgpr47
                                        ; implicit-def: $vgpr35
                                        ; implicit-def: $vgpr51
                                        ; implicit-def: $vgpr55
                                        ; implicit-def: $vgpr15
                                        ; implicit-def: $vgpr11
                                        ; implicit-def: $vgpr19
                                        ; implicit-def: $vgpr27
                                        ; implicit-def: $vgpr39
                                        ; implicit-def: $vgpr43
                                        ; implicit-def: $vgpr59
                                        ; implicit-def: $vgpr63
	s_xor_b64 exec, exec, s[28:29]
	s_cbranch_execz .LBB291_13
; %bb.8:
	s_add_i32 s23, s11, 15
	s_load_dwordx2 s[20:21], s[4:5], 0x20
	s_load_dword s22, s[4:5], 0x38
	s_ashr_i32 s34, s23, 31
	s_lshr_b32 s34, s34, 28
	v_add_u32_e32 v68, s9, v0
	s_add_i32 s23, s23, s34
	v_ashrrev_i32_e32 v3, 31, v68
	s_ashr_i32 s23, s23, 4
	v_lshrrev_b32_e32 v3, 28, v3
	s_add_i32 s34, s23, -1
	v_add_u32_e32 v3, v68, v3
	s_waitcnt lgkmcnt(0)
	s_mul_i32 s38, s6, s22
	s_mov_b32 s39, 0
	v_ashrrev_i32_e32 v3, 4, v3
	v_mov_b32_e32 v4, s34
	v_cmp_gt_i32_e32 vcc, s11, v68
	s_lshl_b64 s[22:23], s[38:39], 2
	v_cndmask_b32_e32 v4, v4, v3, vcc
	s_add_u32 s20, s20, s22
	v_ashrrev_i32_e32 v5, 31, v4
	s_addc_u32 s21, s21, s23
	v_lshlrev_b64 v[4:5], 2, v[4:5]
	v_mov_b32_e32 v3, s21
	v_add_co_u32_e32 v6, vcc, s20, v4
	v_addc_co_u32_e32 v7, vcc, v3, v5, vcc
	v_ashrrev_i32_e32 v3, 31, v2
	v_lshrrev_b32_e32 v3, 28, v3
	v_add_u32_e32 v2, v2, v3
	v_ashrrev_i32_e32 v4, 4, v2
	v_min_i32_e32 v2, s34, v4
	v_ashrrev_i32_e32 v3, 31, v2
	v_lshlrev_b64 v[2:3], 2, v[2:3]
	v_add_co_u32_e32 v8, vcc, s20, v2
	v_add_u32_e32 v2, 1, v4
	v_mov_b32_e32 v5, s21
	v_min_i32_e32 v2, s34, v2
	v_addc_co_u32_e32 v9, vcc, v5, v3, vcc
	v_ashrrev_i32_e32 v3, 31, v2
	v_lshlrev_b64 v[2:3], 2, v[2:3]
	v_add_co_u32_e32 v10, vcc, s20, v2
	v_add_u32_e32 v2, 2, v4
	v_min_i32_e32 v2, s34, v2
	v_addc_co_u32_e32 v11, vcc, v5, v3, vcc
	v_ashrrev_i32_e32 v3, 31, v2
	v_lshlrev_b64 v[2:3], 2, v[2:3]
	v_add_co_u32_e32 v12, vcc, s20, v2
	v_add_u32_e32 v2, 3, v4
	v_min_i32_e32 v2, s34, v2
	v_addc_co_u32_e32 v13, vcc, v5, v3, vcc
	v_ashrrev_i32_e32 v3, 31, v2
	v_lshlrev_b64 v[2:3], 2, v[2:3]
	v_mov_b32_e32 v4, s21
	v_add_co_u32_e32 v14, vcc, s20, v2
	v_addc_co_u32_e32 v15, vcc, v4, v3, vcc
	global_load_dword v2, v[6:7], off
	global_load_dword v5, v[8:9], off
	;; [unrolled: 1-line block ×5, first 2 shown]
	s_load_dwordx2 s[36:37], s[4:5], 0x40
	s_load_dwordx4 s[20:23], s[4:5], 0x0
	s_load_dwordx2 s[34:35], s[4:5], 0x10
	s_andn2_b64 vcc, exec, s[16:17]
	s_cbranch_vccnz .LBB291_10
; %bb.9:
	s_add_u32 s2, s2, s18
	s_addc_u32 s3, s3, s19
	s_load_dword s38, s[2:3], 0x0
	s_waitcnt lgkmcnt(0)
	s_mov_b64 s[30:31], s[38:39]
.LBB291_10:
	s_load_dwordx4 s[16:19], s[4:5], 0x48
	v_lshlrev_b32_e32 v3, 2, v1
	v_and_b32_e32 v3, 0xf0, v3
	v_lshl_or_b32 v3, v73, 8, v3
	v_mov_b32_e32 v67, 0
	s_waitcnt lgkmcnt(0)
	s_ashr_i32 s3, s16, 31
	s_mul_hi_u32 s9, s30, s16
	s_mul_i32 s3, s30, s3
	s_mul_i32 s19, s31, s16
	s_add_i32 s3, s9, s3
	s_mul_i32 s2, s30, s16
	s_add_i32 s3, s3, s19
	s_lshl_b64 s[2:3], s[2:3], 1
	s_add_u32 s9, s20, s2
	s_addc_u32 s16, s21, s3
	s_lshl_b32 s38, s8, 9
	s_lshl_b64 s[2:3], s[38:39], 1
	s_add_u32 s2, s9, s2
	s_addc_u32 s3, s16, s3
	global_load_dwordx4 v[74:77], v3, s[2:3]
	s_mul_i32 s38, s8, s18
	s_waitcnt vmcnt(5)
	v_mad_i64_i32 v[2:3], s[2:3], v2, s17, 0
	s_lshl_b64 s[8:9], s[38:39], 1
	s_add_u32 s2, s8, s22
	v_lshlrev_b64 v[2:3], 1, v[2:3]
	s_addc_u32 s3, s9, s23
	v_mov_b32_e32 v6, s3
	v_add_co_u32_e32 v2, vcc, s2, v2
	v_addc_co_u32_e32 v3, vcc, v6, v3, vcc
	v_and_b32_e32 v6, 15, v0
	v_lshlrev_b32_e32 v6, 4, v6
	v_add_co_u32_e32 v2, vcc, v2, v6
	v_addc_co_u32_e32 v3, vcc, 0, v3, vcc
	global_load_dwordx4 v[6:9], v[2:3], off
	global_load_dwordx4 v[10:13], v[2:3], off offset:256
	global_load_dwordx4 v[14:17], v[2:3], off offset:512
	;; [unrolled: 1-line block ×13, first 2 shown]
	v_lshlrev_b64 v[26:27], 2, v[66:67]
	v_mov_b32_e32 v28, s37
	v_add_co_u32_e32 v26, vcc, s36, v26
	v_addc_co_u32_e32 v27, vcc, v28, v27, vcc
	global_load_dword v98, v[26:27], off
	global_load_dwordx4 v[90:93], v[2:3], off offset:3584
	global_load_dwordx4 v[94:97], v[2:3], off offset:3840
	s_waitcnt vmcnt(21)
	v_mul_hi_i32 v26, v5, s17
	s_waitcnt vmcnt(20)
	v_mul_hi_i32 v27, v4, s17
	;; [unrolled: 2-line block ×3, first 2 shown]
	v_ashrrev_i32_e32 v26, 31, v26
	v_mov_b32_e32 v29, v67
	v_ashrrev_i32_e32 v27, 31, v27
	v_ashrrev_i32_e32 v32, 31, v28
	v_lshrrev_b32_e32 v28, 29, v26
	s_load_dword s2, s[4:5], 0x1c
	v_lshrrev_b32_e32 v30, 29, v27
	v_mad_i64_i32 v[26:27], s[4:5], v5, s17, v[28:29]
	v_mov_b32_e32 v31, v67
	v_lshlrev_b64 v[26:27], 1, v[26:27]
	s_add_u32 s3, s34, s8
	v_mad_i64_i32 v[4:5], s[4:5], v4, s17, v[30:31]
	v_and_b32_e32 v26, -16, v26
	s_addc_u32 s8, s35, s9
	v_lshlrev_b64 v[4:5], 1, v[4:5]
	v_add_co_u32_e32 v2, vcc, s3, v26
	v_and_b32_e32 v4, -16, v4
	v_lshlrev_b32_e32 v69, 5, v1
	v_mov_b32_e32 v49, v67
	v_lshrrev_b32_e32 v48, 29, v32
	v_mad_i64_i32 v[34:35], s[4:5], v34, s17, v[48:49]
	v_lshlrev_b64 v[34:35], 1, v[34:35]
	v_and_b32_e32 v34, -16, v34
	s_waitcnt vmcnt(18)
	v_mul_hi_i32 v51, v50, s17
	v_ashrrev_i32_e32 v51, 31, v51
	s_waitcnt vmcnt(16)
	v_mfma_f32_4x4x4bf16_1k a[0:3], v[74:75], v[6:7], 0 cbsz:4
	v_mov_b32_e32 v6, s8
	v_mfma_f32_4x4x4bf16_1k a[0:3], v[76:77], v[8:9], a[0:3] cbsz:4
	v_addc_co_u32_e32 v3, vcc, v6, v27, vcc
	s_waitcnt vmcnt(15)
	v_mfma_f32_4x4x4bf16_1k a[0:3], v[74:75], v[10:11], a[0:3] cbsz:4 abid:1
	v_mov_b32_e32 v7, s8
	v_mfma_f32_4x4x4bf16_1k a[0:3], v[76:77], v[12:13], a[0:3] cbsz:4 abid:1
	v_add_co_u32_e32 v4, vcc, s3, v4
	s_waitcnt vmcnt(14)
	v_mfma_f32_4x4x4bf16_1k a[0:3], v[74:75], v[14:15], a[0:3] cbsz:4 abid:2
	v_addc_co_u32_e32 v5, vcc, v7, v5, vcc
	v_mfma_f32_4x4x4bf16_1k a[0:3], v[76:77], v[16:17], a[0:3] cbsz:4 abid:2
	v_add_co_u32_e32 v26, vcc, v2, v69
	s_waitcnt vmcnt(13)
	v_mfma_f32_4x4x4bf16_1k a[0:3], v[74:75], v[18:19], a[0:3] cbsz:4 abid:3
	v_addc_co_u32_e32 v27, vcc, 0, v3, vcc
	;; [unrolled: 5-line block ×3, first 2 shown]
	v_mfma_f32_4x4x4bf16_1k a[0:3], v[76:77], v[24:25], a[0:3] cbsz:4 abid:4
	v_add_co_u32_e32 v34, vcc, s3, v34
	s_waitcnt vmcnt(11)
	v_mfma_f32_4x4x4bf16_1k a[0:3], v[74:75], v[36:37], a[0:3] cbsz:4 abid:5
	v_mov_b32_e32 v36, s8
	v_mfma_f32_4x4x4bf16_1k a[0:3], v[76:77], v[38:39], a[0:3] cbsz:4 abid:5
	v_addc_co_u32_e32 v35, vcc, v36, v35, vcc
	s_waitcnt vmcnt(10)
	v_mfma_f32_4x4x4bf16_1k a[0:3], v[74:75], v[40:41], a[0:3] cbsz:4 abid:6
	global_load_dwordx4 v[2:5], v[26:27], off
	global_load_dwordx4 v[6:9], v[26:27], off offset:16
	v_mfma_f32_4x4x4bf16_1k a[0:3], v[76:77], v[42:43], a[0:3] cbsz:4 abid:6
	global_load_dwordx4 v[14:17], v[26:27], off offset:2048
	global_load_dwordx4 v[10:13], v[26:27], off offset:2064
	s_waitcnt vmcnt(13)
	v_mfma_f32_4x4x4bf16_1k a[0:3], v[74:75], v[44:45], a[0:3] cbsz:4 abid:7
	global_load_dwordx4 v[22:25], v[64:65], off
	global_load_dwordx4 v[30:33], v[64:65], off offset:16
	v_mfma_f32_4x4x4bf16_1k a[0:3], v[76:77], v[46:47], a[0:3] cbsz:4 abid:7
	global_load_dwordx4 v[18:21], v[64:65], off offset:2048
	global_load_dwordx4 v[26:29], v[64:65], off offset:2064
	s_waitcnt vmcnt(16)
	v_mfma_f32_4x4x4bf16_1k a[0:3], v[74:75], v[52:53], a[0:3] cbsz:4 abid:8
	v_add_co_u32_e32 v52, vcc, v34, v69
	v_addc_co_u32_e32 v53, vcc, 0, v35, vcc
	v_mfma_f32_4x4x4bf16_1k a[0:3], v[76:77], v[54:55], a[0:3] cbsz:4 abid:8
	global_load_dwordx4 v[46:49], v[52:53], off
	global_load_dwordx4 v[34:37], v[52:53], off offset:16
	global_load_dwordx4 v[38:41], v[52:53], off offset:2048
	;; [unrolled: 1-line block ×3, first 2 shown]
	v_lshrrev_b32_e32 v52, 29, v51
	v_mov_b32_e32 v53, v67
	v_mad_i64_i32 v[50:51], s[4:5], v50, s17, v[52:53]
	s_waitcnt vmcnt(19)
	v_mfma_f32_4x4x4bf16_1k a[0:3], v[74:75], v[56:57], a[0:3] cbsz:4 abid:9
	v_lshlrev_b64 v[50:51], 1, v[50:51]
	v_and_b32_e32 v50, -16, v50
	v_mfma_f32_4x4x4bf16_1k a[0:3], v[76:77], v[58:59], a[0:3] cbsz:4 abid:9
	v_mov_b32_e32 v52, s8
	v_add_co_u32_e32 v50, vcc, s3, v50
	v_addc_co_u32_e32 v51, vcc, v52, v51, vcc
	s_waitcnt vmcnt(18)
	v_mfma_f32_4x4x4bf16_1k a[0:3], v[74:75], v[60:61], a[0:3] cbsz:4 abid:10
	v_add_co_u32_e32 v70, vcc, v50, v69
	v_addc_co_u32_e32 v71, vcc, 0, v51, vcc
	v_mfma_f32_4x4x4bf16_1k a[0:3], v[76:77], v[62:63], a[0:3] cbsz:4 abid:10
	global_load_dwordx4 v[50:53], v[70:71], off
	global_load_dwordx4 v[54:57], v[70:71], off offset:16
	global_load_dwordx4 v[58:61], v[70:71], off offset:2048
	;; [unrolled: 1-line block ×3, first 2 shown]
	s_waitcnt vmcnt(21)
	v_mfma_f32_4x4x4bf16_1k a[0:3], v[74:75], v[78:79], a[0:3] cbsz:4 abid:11
	v_cmp_eq_u32_e32 vcc, 0, v73
	v_mfma_f32_4x4x4bf16_1k a[0:3], v[76:77], v[80:81], a[0:3] cbsz:4 abid:11
	v_cndmask_b32_e64 v67, 0, 1.0, vcc
	s_waitcnt vmcnt(20)
	v_mfma_f32_4x4x4bf16_1k a[0:3], v[74:75], v[82:83], a[0:3] cbsz:4 abid:12
	v_cmp_eq_u32_e32 vcc, 1, v73
	v_mfma_f32_4x4x4bf16_1k a[0:3], v[76:77], v[84:85], a[0:3] cbsz:4 abid:12
	s_waitcnt vmcnt(19)
	v_mfma_f32_4x4x4bf16_1k a[0:3], v[74:75], v[86:87], a[0:3] cbsz:4 abid:13
	v_mfma_f32_4x4x4bf16_1k a[0:3], v[76:77], v[88:89], a[0:3] cbsz:4 abid:13
	s_waitcnt vmcnt(17)
	v_mfma_f32_4x4x4bf16_1k a[0:3], v[74:75], v[90:91], a[0:3] cbsz:4 abid:14
	;; [unrolled: 3-line block ×3, first 2 shown]
	v_mfma_f32_4x4x4bf16_1k a[0:3], v[76:77], v[96:97], a[0:3] cbsz:4 abid:15
	v_mov_b32_e32 v77, 0xff7fffff
	s_nop 3
	v_accvgpr_read_b32 v75, a1
	v_accvgpr_read_b32 v74, a0
	s_waitcnt lgkmcnt(0)
	v_pk_mul_f32 v[74:75], s[2:3], v[74:75] op_sel_hi:[0,1]
	v_accvgpr_read_b32 v71, a3
	v_accvgpr_read_b32 v70, a2
	v_pk_mul_f32 v[70:71], s[2:3], v[70:71] op_sel_hi:[0,1]
	v_mfma_f32_4x4x1f32 a[0:3], v74, v67, 0
	v_cndmask_b32_e64 v67, 0, 1.0, vcc
	v_cmp_eq_u32_e32 vcc, 2, v73
	s_nop 0
	v_mfma_f32_4x4x1f32 a[0:3], v75, v67, a[0:3]
	v_cndmask_b32_e64 v67, 0, 1.0, vcc
	v_cmp_eq_u32_e32 vcc, 3, v73
	s_nop 0
	v_mfma_f32_4x4x1f32 a[0:3], v70, v67, a[0:3]
	v_cndmask_b32_e64 v67, 0, 1.0, vcc
	s_nop 1
	v_mfma_f32_4x4x1f32 a[0:3], v71, v67, a[0:3]
	v_and_b32_e32 v67, -4, v68
	v_subrev_u32_e32 v69, s11, v67
	v_add_u32_e32 v70, 1, v69
	v_cvt_f32_i32_e32 v70, v70
	v_add_u32_e32 v71, 2, v69
	v_cvt_f32_i32_e32 v71, v71
	v_accvgpr_read_b32 v74, a0
	v_fma_f32 v70, v98, v70, v74
	v_accvgpr_read_b32 v74, a1
	v_fma_f32 v71, v98, v71, v74
	v_add_u32_e32 v74, 3, v69
	v_cvt_f32_i32_e32 v74, v74
	v_accvgpr_read_b32 v75, a2
	v_add_u32_e32 v69, 4, v69
	v_cmp_gt_i32_e32 vcc, s11, v67
	v_fma_f32 v75, v98, v74, v75
	v_max_f32_e32 v74, 0xff7fffff, v70
	v_cvt_f32_i32_e32 v69, v69
	v_cndmask_b32_e32 v74, v77, v74, vcc
	v_or_b32_e32 v77, 1, v67
	v_max_f32_e32 v78, v74, v71
	v_cmp_gt_i32_e64 s[2:3], s11, v77
	v_cndmask_b32_e64 v74, v74, v78, s[2:3]
	v_or_b32_e32 v67, 2, v67
	v_accvgpr_read_b32 v76, a3
	v_max_f32_e32 v77, v74, v75
	v_cmp_gt_i32_e64 s[4:5], s11, v67
	v_fmac_f32_e32 v76, v98, v69
	v_cndmask_b32_e64 v67, v74, v77, s[4:5]
	v_or_b32_e32 v68, 3, v68
	v_max_f32_e32 v74, v67, v76
	v_cmp_gt_i32_e64 s[8:9], s11, v68
	v_lshlrev_b32_e32 v69, 2, v0
	v_cndmask_b32_e64 v67, v67, v74, s[8:9]
	v_and_or_b32 v69, v69, 48, v73
	;;#ASMSTART
	v_nop
 v_nop
 v_max_f32_dpp v67, v67, v67 row_ror:4
	;;#ASMEND
	v_lshlrev_b32_e32 v77, 2, v69
	;;#ASMSTART
	v_nop
 v_nop
 v_max_f32_dpp v67, v67, v67 row_ror:8
	;;#ASMEND
	ds_bpermute_b32 v67, v77, v67
	s_waitcnt lgkmcnt(0)
	;;#ASMSTART
	v_nop
 v_nop
 v_max_f32_dpp v67, v67, v67 row_ror:4
	;;#ASMEND
	;;#ASMSTART
	v_nop
 v_nop
 v_max_f32_dpp v74, v67, v67 row_ror:8
	;;#ASMEND
	v_sub_f32_e32 v67, v70, v74
	v_mul_f32_e32 v67, 0x3fb8aa3b, v67
	v_sub_f32_e32 v68, v71, v74
	v_exp_f32_e32 v67, v67
	v_mul_f32_e32 v68, 0x3fb8aa3b, v68
	v_sub_f32_e32 v70, v75, v74
	v_exp_f32_e32 v69, v68
	;; [unrolled: 3-line block ×3, first 2 shown]
	v_mul_f32_e32 v71, 0x3fb8aa3b, v71
	v_exp_f32_e32 v71, v71
	v_cndmask_b32_e32 v68, 0, v67, vcc
	v_add_f32_e32 v67, 0, v68
	v_cndmask_b32_e64 v69, 0, v69, s[2:3]
	v_add_f32_e32 v67, v67, v69
	v_cndmask_b32_e64 v70, 0, v70, s[4:5]
	;; [unrolled: 2-line block ×3, first 2 shown]
	v_add_f32_e32 v67, v67, v71
	;;#ASMSTART
	v_nop
 v_nop
 v_add_f32_dpp v67, v67, v67 row_ror:4
	;;#ASMEND
	;;#ASMSTART
	v_nop
 v_nop
 v_add_f32_dpp v67, v67, v67 row_ror:8
	;;#ASMEND
	ds_bpermute_b32 v67, v77, v67
	s_waitcnt lgkmcnt(0)
	;;#ASMSTART
	v_nop
 v_nop
 v_add_f32_dpp v67, v67, v67 row_ror:4
	;;#ASMEND
	v_cmp_gt_u32_e32 vcc, 4, v1
	;;#ASMSTART
	v_nop
 v_nop
 v_add_f32_dpp v67, v67, v67 row_ror:8
	;;#ASMEND
	s_and_saveexec_b64 s[2:3], vcc
	s_cbranch_execz .LBB291_12
; %bb.11:
	v_mul_u32_u24_e32 v75, 20, v72
	v_lshl_add_u32 v75, v73, 2, v75
	v_add_u32_e32 v75, 0x1400, v75
	ds_write2_b32 v75, v74, v67 offset1:20
.LBB291_12:
	s_or_b64 exec, exec, s[2:3]
.LBB291_13:
	s_or_b64 exec, exec, s[28:29]
	v_lshlrev_b32_e32 v67, 2, v73
	v_add_u32_e32 v67, 0x1400, v67
	s_waitcnt lgkmcnt(0)
	s_barrier
	s_load_dword s2, s[26:27], 0x8
	ds_read2_b32 v[76:77], v67 offset1:5
	ds_read2_b32 v[78:79], v67 offset0:10 offset1:15
	s_mov_b32 s9, 0xff7fffff
	s_mul_i32 s3, s6, s33
	ds_read2_b32 v[80:81], v67 offset0:20 offset1:25
	s_waitcnt lgkmcnt(0)
	v_max3_f32 v73, v76, s9, v77
	v_max3_f32 v73, v73, v78, v79
	v_sub_f32_e32 v75, v76, v73
	v_sub_f32_e32 v76, v77, v73
	s_mul_i32 s3, s3, s2
	v_mul_f32_e32 v75, 0x3fb8aa3b, v75
	v_mul_f32_e32 v76, 0x3fb8aa3b, v76
	s_lshl_b32 s2, s3, 2
	s_mov_b32 s3, 0
	v_exp_f32_e32 v75, v75
	v_exp_f32_e32 v82, v76
	ds_read2_b32 v[76:77], v67 offset0:30 offset1:35
	v_sub_f32_e32 v67, v78, v73
	s_lshl_b64 s[4:5], s[2:3], 2
	v_mul_f32_e32 v67, 0x3fb8aa3b, v67
	v_sub_f32_e32 v78, v79, v73
	s_add_u32 s6, s12, s4
	v_exp_f32_e32 v67, v67
	v_mul_f32_e32 v78, 0x3fb8aa3b, v78
	s_addc_u32 s8, s13, s5
	v_exp_f32_e32 v78, v78
	s_mov_b32 s11, s3
	s_add_u32 s9, s14, s4
	v_fma_f32 v75, v75, v80, 0
	s_addc_u32 s12, s15, s5
	s_lshl_b64 s[4:5], s[10:11], 2
	v_fmac_f32_e32 v75, v82, v81
	s_add_u32 s9, s9, s4
	s_waitcnt lgkmcnt(0)
	v_fmac_f32_e32 v75, v67, v76
	v_mul_lo_u32 v66, s33, v66
	v_mov_b32_e32 v67, 0
	s_addc_u32 s11, s12, s5
	v_fmac_f32_e32 v75, v78, v77
	v_lshlrev_b64 v[76:77], 2, v[66:67]
	s_add_u32 s4, s6, s4
	v_mov_b32_e32 v66, s11
	v_add_co_u32_e32 v78, vcc, s9, v76
	s_addc_u32 s5, s8, s5
	v_addc_co_u32_e32 v79, vcc, v66, v77, vcc
	v_mov_b32_e32 v66, s5
	v_add_co_u32_e32 v76, vcc, s4, v76
	v_addc_co_u32_e32 v77, vcc, v66, v77, vcc
	v_lshlrev_b32_e32 v72, 3, v72
	global_store_dword v[78:79], v73, off
	global_store_dword v[76:77], v75, off
	s_and_saveexec_b64 s[4:5], s[0:1]
	s_xor_b64 s[0:1], exec, s[4:5]
	s_cbranch_execz .LBB291_15
; %bb.14:
	s_waitcnt vmcnt(17)
	v_mad_u32_u24 v2, v1, 40, v72
	v_mov_b32_e32 v66, v67
	ds_write_b64 v2, v[66:67]
                                        ; implicit-def: $vgpr71
                                        ; implicit-def: $vgpr69
                                        ; implicit-def: $vgpr3
                                        ; implicit-def: $vgpr7
                                        ; implicit-def: $vgpr23
                                        ; implicit-def: $vgpr31
                                        ; implicit-def: $vgpr47
                                        ; implicit-def: $vgpr35
                                        ; implicit-def: $vgpr51
                                        ; implicit-def: $vgpr55
                                        ; implicit-def: $vgpr15
                                        ; implicit-def: $vgpr11
                                        ; implicit-def: $vgpr19
                                        ; implicit-def: $vgpr27
                                        ; implicit-def: $vgpr39
                                        ; implicit-def: $vgpr43
                                        ; implicit-def: $vgpr59
                                        ; implicit-def: $vgpr63
                                        ; implicit-def: $vgpr74
                                        ; implicit-def: $vgpr73
                                        ; implicit-def: $vgpr75
.LBB291_15:
	s_or_saveexec_b64 s[0:1], s[0:1]
	v_mov_b32_e32 v66, s3
	v_mov_b32_e32 v67, s3
	s_xor_b64 exec, exec, s[0:1]
	s_cbranch_execz .LBB291_17
; %bb.16:
	v_add_f32_e32 v66, 0x358637bd, v75
	v_div_scale_f32 v67, s[4:5], v66, v66, 1.0
	v_rcp_f32_e32 v75, v67
	v_sub_f32_e32 v73, v74, v73
	v_mul_f32_e32 v73, 0x3fb8aa3b, v73
	v_exp_f32_e32 v73, v73
	v_fma_f32 v74, -v67, v75, 1.0
	v_fmac_f32_e32 v75, v74, v75
	v_div_scale_f32 v74, vcc, 1.0, v66, 1.0
	v_mul_f32_e32 v76, v74, v75
	v_fma_f32 v77, -v67, v76, v74
	v_fmac_f32_e32 v76, v77, v75
	v_fma_f32 v67, -v67, v76, v74
	v_div_fmas_f32 v67, v67, v75, v76
	v_div_fixup_f32 v66, v67, v66, 1.0
	v_mul_f32_e32 v66, v73, v66
	v_pk_mul_f32 v[70:71], v[70:71], v[66:67] op_sel_hi:[1,0]
	v_pk_mul_f32 v[66:67], v[68:69], v[66:67] op_sel_hi:[1,0]
	v_bfe_u32 v68, v67, 16, 1
	v_bfe_u32 v69, v66, 16, 1
	s_movk_i32 s3, 0x7fff
	v_add3_u32 v66, v66, v69, s3
	v_add3_u32 v67, v67, v68, s3
	s_mov_b32 s4, 0x7060302
	v_perm_b32 v66, v67, v66, s4
	v_bfe_u32 v67, v71, 16, 1
	v_bfe_u32 v68, v70, 16, 1
	v_add3_u32 v68, v70, v68, s3
	v_add3_u32 v67, v71, v67, s3
	v_perm_b32 v67, v67, v68, s4
	s_waitcnt vmcnt(17)
	s_nop 0
	v_mfma_f32_4x4x4bf16_1k a[0:3], v[66:67], v[2:3], 0 cbsz:4
	v_mfma_f32_4x4x4bf16_1k a[0:3], v[66:67], v[4:5], a[0:3] cbsz:4 abid:1
	s_waitcnt vmcnt(16)
	v_mfma_f32_4x4x4bf16_1k a[0:3], v[66:67], v[6:7], a[0:3] cbsz:4 abid:2
	v_mfma_f32_4x4x4bf16_1k a[0:3], v[66:67], v[8:9], a[0:3] cbsz:4 abid:3
	s_waitcnt vmcnt(13)
	v_mfma_f32_4x4x4bf16_1k a[0:3], v[66:67], v[22:23], a[0:3] cbsz:4 abid:4
	;; [unrolled: 3-line block ×6, first 2 shown]
	v_mfma_f32_4x4x4bf16_1k a[4:7], v[66:67], v[14:15], 0 cbsz:4
	v_mfma_f32_4x4x4bf16_1k a[0:3], v[66:67], v[52:53], a[0:3] cbsz:4 abid:13
	v_mfma_f32_4x4x4bf16_1k a[4:7], v[66:67], v[16:17], a[4:7] cbsz:4 abid:1
	s_waitcnt vmcnt(4)
	v_mfma_f32_4x4x4bf16_1k a[0:3], v[66:67], v[54:55], a[0:3] cbsz:4 abid:14
	v_mfma_f32_4x4x4bf16_1k a[4:7], v[66:67], v[10:11], a[4:7] cbsz:4 abid:2
	;; [unrolled: 1-line block ×3, first 2 shown]
	s_nop 4
	v_accvgpr_read_b32 v3, a2
	v_accvgpr_read_b32 v4, a3
	;; [unrolled: 1-line block ×4, first 2 shown]
	v_mfma_f32_4x4x4bf16_1k a[0:3], v[66:67], v[12:13], a[4:7] cbsz:4 abid:3
	v_bfe_u32 v6, v5, 16, 1
	v_mfma_f32_4x4x4bf16_1k a[0:3], v[66:67], v[18:19], a[0:3] cbsz:4 abid:4
	v_bfe_u32 v7, v2, 16, 1
	v_mfma_f32_4x4x4bf16_1k a[0:3], v[66:67], v[20:21], a[0:3] cbsz:4 abid:5
	v_add3_u32 v2, v2, v7, s3
	v_mfma_f32_4x4x4bf16_1k a[0:3], v[66:67], v[26:27], a[0:3] cbsz:4 abid:6
	v_add3_u32 v5, v5, v6, s3
	v_mfma_f32_4x4x4bf16_1k a[0:3], v[66:67], v[28:29], a[0:3] cbsz:4 abid:7
	v_perm_b32 v2, v5, v2, s4
	v_mfma_f32_4x4x4bf16_1k a[0:3], v[66:67], v[38:39], a[0:3] cbsz:4 abid:8
	v_bfe_u32 v5, v4, 16, 1
	v_mfma_f32_4x4x4bf16_1k a[0:3], v[66:67], v[40:41], a[0:3] cbsz:4 abid:9
	v_bfe_u32 v6, v3, 16, 1
	v_mfma_f32_4x4x4bf16_1k a[0:3], v[66:67], v[42:43], a[0:3] cbsz:4 abid:10
	v_add3_u32 v3, v3, v6, s3
	v_mfma_f32_4x4x4bf16_1k a[0:3], v[66:67], v[44:45], a[0:3] cbsz:4 abid:11
	v_add3_u32 v4, v4, v5, s3
	s_waitcnt vmcnt(3)
	v_mfma_f32_4x4x4bf16_1k a[0:3], v[66:67], v[58:59], a[0:3] cbsz:4 abid:12
	v_perm_b32 v3, v4, v3, s4
	v_mfma_f32_4x4x4bf16_1k a[0:3], v[66:67], v[60:61], a[0:3] cbsz:4 abid:13
	v_mad_u32_u24 v4, v1, 40, v72
	s_waitcnt vmcnt(2)
	v_mfma_f32_4x4x4bf16_1k a[0:3], v[66:67], v[62:63], a[0:3] cbsz:4 abid:14
	ds_write_b64 v4, v[2:3]
	v_mfma_f32_4x4x4bf16_1k a[0:3], v[66:67], v[64:65], a[0:3] cbsz:4 abid:15
	s_nop 4
	v_accvgpr_read_b32 v4, a0
	v_accvgpr_read_b32 v5, a1
	;; [unrolled: 1-line block ×4, first 2 shown]
	v_bfe_u32 v6, v5, 16, 1
	v_bfe_u32 v7, v4, 16, 1
	v_add3_u32 v4, v4, v7, s3
	v_add3_u32 v5, v5, v6, s3
	v_bfe_u32 v6, v3, 16, 1
	v_bfe_u32 v7, v2, 16, 1
	v_add3_u32 v2, v2, v7, s3
	v_add3_u32 v3, v3, v6, s3
	v_perm_b32 v67, v3, v2, s4
	v_perm_b32 v66, v5, v4, s4
.LBB291_17:
	s_or_b64 exec, exec, s[0:1]
	s_waitcnt vmcnt(17)
	v_mad_u32_u24 v2, v1, 40, v72
	v_cmp_gt_u32_e32 vcc, 64, v0
	ds_write_b64 v2, v[66:67] offset:2560
	s_waitcnt lgkmcnt(0)
	s_barrier
	s_and_saveexec_b64 s[0:1], vcc
	s_cbranch_execz .LBB291_19
; %bb.18:
	s_waitcnt vmcnt(16)
	v_mul_u32_u24_e32 v6, 40, v1
	ds_read2_b64 v[2:5], v6 offset1:1
	ds_read2_b64 v[6:9], v6 offset0:2 offset1:3
	s_mov_b32 s1, 0
	s_lshl_b32 s0, s2, 7
	s_lshl_b64 s[2:3], s[0:1], 1
	s_waitcnt vmcnt(14) lgkmcnt(1)
	v_lshlrev_b32_e32 v10, 16, v2
	v_and_b32_e32 v2, 0xffff0000, v2
	v_add_f32_e32 v2, 0, v2
	v_lshlrev_b32_e32 v11, 16, v3
	v_and_b32_e32 v3, 0xffff0000, v3
	v_and_b32_e32 v2, 0xffff0000, v2
	v_add_f32_e32 v11, 0, v11
	v_add_f32_e32 v3, 0, v3
	v_lshlrev_b32_e32 v12, 16, v4
	v_and_b32_e32 v4, 0xffff0000, v4
	v_add_f32_e32 v10, 0, v10
	v_and_b32_e32 v11, 0xffff0000, v11
	v_and_b32_e32 v3, 0xffff0000, v3
	v_add_f32_e32 v2, v2, v4
	v_lshlrev_b32_e32 v4, 16, v5
	v_and_b32_e32 v5, 0xffff0000, v5
	v_and_b32_e32 v10, 0xffff0000, v10
	;; [unrolled: 1-line block ×3, first 2 shown]
	v_add_f32_e32 v4, v11, v4
	v_add_f32_e32 v3, v3, v5
	s_waitcnt lgkmcnt(0)
	v_lshlrev_b32_e32 v5, 16, v6
	v_and_b32_e32 v6, 0xffff0000, v6
	v_add_f32_e32 v10, v10, v12
	v_and_b32_e32 v4, 0xffff0000, v4
	v_add_f32_e32 v2, v2, v6
	v_lshlrev_b32_e32 v6, 16, v7
	v_and_b32_e32 v10, 0xffff0000, v10
	v_and_b32_e32 v3, 0xffff0000, v3
	v_add_f32_e32 v4, v4, v6
	v_and_b32_e32 v6, 0xffff0000, v7
	v_add_f32_e32 v5, v10, v5
	v_add_f32_e32 v3, v3, v6
	v_and_b32_e32 v5, 0xffff0000, v5
	v_and_b32_e32 v6, 0xffff0000, v3
	v_lshlrev_b32_e32 v3, 16, v8
	v_and_b32_e32 v2, 0xffff0000, v2
	v_add_f32_e32 v10, v5, v3
	v_and_b32_e32 v3, 0xffff0000, v8
	v_and_b32_e32 v4, 0xffff0000, v4
	v_add_f32_e32 v11, v2, v3
	v_lshlrev_b32_e32 v2, 16, v9
	v_add_f32_e32 v12, v4, v2
	v_mov_b32_e32 v2, 0xa00
	v_mad_u32_u24 v2, v1, 40, v2
	ds_read2_b64 v[2:5], v2 offset1:1
	v_and_b32_e32 v7, 0xffff0000, v9
	v_add_f32_e32 v13, v6, v7
	v_mov_b32_e32 v6, 0xa10
	v_mad_u32_u24 v1, v1, 40, v6
	ds_read2_b64 v[6:9], v1 offset1:1
	s_waitcnt lgkmcnt(1)
	v_lshlrev_b32_e32 v1, 16, v2
	v_and_b32_e32 v2, 0xffff0000, v2
	v_add_f32_e32 v1, 0, v1
	v_add_f32_e32 v2, 0, v2
	v_lshlrev_b32_e32 v14, 16, v3
	v_and_b32_e32 v3, 0xffff0000, v3
	v_and_b32_e32 v1, 0xffff0000, v1
	;; [unrolled: 1-line block ×3, first 2 shown]
	v_add_f32_e32 v3, 0, v3
	v_lshlrev_b32_e32 v15, 16, v4
	v_and_b32_e32 v4, 0xffff0000, v4
	v_add_f32_e32 v14, 0, v14
	v_and_b32_e32 v3, 0xffff0000, v3
	v_add_f32_e32 v1, v1, v15
	v_add_f32_e32 v2, v2, v4
	v_lshlrev_b32_e32 v4, 16, v5
	v_and_b32_e32 v5, 0xffff0000, v5
	v_and_b32_e32 v14, 0xffff0000, v14
	;; [unrolled: 1-line block ×3, first 2 shown]
	v_add_f32_e32 v3, v3, v5
	s_waitcnt lgkmcnt(0)
	v_lshlrev_b32_e32 v5, 16, v6
	v_and_b32_e32 v2, 0xffff0000, v2
	v_add_f32_e32 v4, v14, v4
	v_add_f32_e32 v1, v1, v5
	v_and_b32_e32 v5, 0xffff0000, v6
	v_and_b32_e32 v4, 0xffff0000, v4
	v_add_f32_e32 v2, v2, v5
	v_lshlrev_b32_e32 v5, 16, v7
	s_add_u32 s2, s24, s2
	v_and_b32_e32 v3, 0xffff0000, v3
	v_add_f32_e32 v4, v4, v5
	v_and_b32_e32 v5, 0xffff0000, v7
	s_addc_u32 s3, s25, s3
	s_lshl_b32 s0, s10, 7
	v_and_b32_e32 v1, 0xffff0000, v1
	v_add_f32_e32 v3, v3, v5
	v_lshlrev_b32_e32 v5, 16, v8
	s_lshl_b64 s[0:1], s[0:1], 1
	v_and_b32_e32 v2, 0xffff0000, v2
	v_add_f32_e32 v14, v1, v5
	v_and_b32_e32 v1, 0xffff0000, v8
	s_add_u32 s0, s2, s0
	v_and_b32_e32 v4, 0xffff0000, v4
	v_add_f32_e32 v15, v2, v1
	v_lshlrev_b32_e32 v1, 16, v9
	s_addc_u32 s1, s3, s1
	s_lshl_b32 s2, s33, 7
	v_and_b32_e32 v3, 0xffff0000, v3
	v_add_f32_e32 v16, v4, v1
	v_and_b32_e32 v1, 0xffff0000, v9
	s_mul_i32 s3, s2, s7
	v_add_f32_e32 v17, v3, v1
	v_or_b32_e32 v2, s3, v0
	v_mov_b32_e32 v3, 0
	v_lshlrev_b64 v[4:5], 1, v[2:3]
	s_add_i32 s3, s3, s2
	v_mov_b32_e32 v1, s1
	v_add_co_u32_e32 v4, vcc, s0, v4
	v_or_b32_e32 v2, s3, v0
	v_addc_co_u32_e32 v5, vcc, v1, v5, vcc
	v_lshlrev_b64 v[6:7], 1, v[2:3]
	s_add_i32 s3, s3, s2
	v_add_co_u32_e32 v6, vcc, s0, v6
	v_or_b32_e32 v2, s3, v0
	v_addc_co_u32_e32 v7, vcc, v1, v7, vcc
	v_lshlrev_b64 v[8:9], 1, v[2:3]
	s_add_i32 s3, s3, s2
	v_add_co_u32_e32 v8, vcc, s0, v8
	v_or_b32_e32 v2, s3, v0
	v_addc_co_u32_e32 v9, vcc, v1, v9, vcc
	v_lshlrev_b64 v[0:1], 1, v[2:3]
	v_mov_b32_e32 v2, s1
	v_add_co_u32_e32 v0, vcc, s0, v0
	v_addc_co_u32_e32 v1, vcc, v2, v1, vcc
	global_store_short_d16_hi v[4:5], v10, off
	global_store_short_d16_hi v[6:7], v11, off
	;; [unrolled: 1-line block ×4, first 2 shown]
	global_store_short_d16_hi v[4:5], v14, off offset:128
	global_store_short_d16_hi v[6:7], v15, off offset:128
	;; [unrolled: 1-line block ×4, first 2 shown]
.LBB291_19:
	s_endpgm
.LBB291_20:
	s_mov_b64 s[12:13], 0
                                        ; implicit-def: $sgpr30_sgpr31
	s_branch .LBB291_2
	.section	.rodata,"a",@progbits
	.p2align	6, 0x0
	.amdhsa_kernel _Z38paged_attention_ll4mi_QKV_mfma4_kernelI14__hip_bfloat16S0_LN4vllm18Fp8KVCacheDataTypeE0ES0_Li16ELi128ELi256ELb1ELi4EEvPKT_PKT0_S8_ifPKiSA_SA_iPKfiiiPfSD_PS3_PT2_iSC_SC_
		.amdhsa_group_segment_fixed_size 5280
		.amdhsa_private_segment_fixed_size 0
		.amdhsa_kernarg_size 400
		.amdhsa_user_sgpr_count 6
		.amdhsa_user_sgpr_private_segment_buffer 1
		.amdhsa_user_sgpr_dispatch_ptr 0
		.amdhsa_user_sgpr_queue_ptr 0
		.amdhsa_user_sgpr_kernarg_segment_ptr 1
		.amdhsa_user_sgpr_dispatch_id 0
		.amdhsa_user_sgpr_flat_scratch_init 0
		.amdhsa_user_sgpr_kernarg_preload_length 0
		.amdhsa_user_sgpr_kernarg_preload_offset 0
		.amdhsa_user_sgpr_private_segment_size 0
		.amdhsa_uses_dynamic_stack 0
		.amdhsa_system_sgpr_private_segment_wavefront_offset 0
		.amdhsa_system_sgpr_workgroup_id_x 1
		.amdhsa_system_sgpr_workgroup_id_y 1
		.amdhsa_system_sgpr_workgroup_id_z 1
		.amdhsa_system_sgpr_workgroup_info 0
		.amdhsa_system_vgpr_workitem_id 0
		.amdhsa_next_free_vgpr 108
		.amdhsa_next_free_sgpr 40
		.amdhsa_accum_offset 100
		.amdhsa_reserve_vcc 1
		.amdhsa_reserve_flat_scratch 0
		.amdhsa_float_round_mode_32 0
		.amdhsa_float_round_mode_16_64 0
		.amdhsa_float_denorm_mode_32 3
		.amdhsa_float_denorm_mode_16_64 3
		.amdhsa_dx10_clamp 1
		.amdhsa_ieee_mode 1
		.amdhsa_fp16_overflow 0
		.amdhsa_tg_split 0
		.amdhsa_exception_fp_ieee_invalid_op 0
		.amdhsa_exception_fp_denorm_src 0
		.amdhsa_exception_fp_ieee_div_zero 0
		.amdhsa_exception_fp_ieee_overflow 0
		.amdhsa_exception_fp_ieee_underflow 0
		.amdhsa_exception_fp_ieee_inexact 0
		.amdhsa_exception_int_div_zero 0
	.end_amdhsa_kernel
	.section	.text._Z38paged_attention_ll4mi_QKV_mfma4_kernelI14__hip_bfloat16S0_LN4vllm18Fp8KVCacheDataTypeE0ES0_Li16ELi128ELi256ELb1ELi4EEvPKT_PKT0_S8_ifPKiSA_SA_iPKfiiiPfSD_PS3_PT2_iSC_SC_,"axG",@progbits,_Z38paged_attention_ll4mi_QKV_mfma4_kernelI14__hip_bfloat16S0_LN4vllm18Fp8KVCacheDataTypeE0ES0_Li16ELi128ELi256ELb1ELi4EEvPKT_PKT0_S8_ifPKiSA_SA_iPKfiiiPfSD_PS3_PT2_iSC_SC_,comdat
.Lfunc_end291:
	.size	_Z38paged_attention_ll4mi_QKV_mfma4_kernelI14__hip_bfloat16S0_LN4vllm18Fp8KVCacheDataTypeE0ES0_Li16ELi128ELi256ELb1ELi4EEvPKT_PKT0_S8_ifPKiSA_SA_iPKfiiiPfSD_PS3_PT2_iSC_SC_, .Lfunc_end291-_Z38paged_attention_ll4mi_QKV_mfma4_kernelI14__hip_bfloat16S0_LN4vllm18Fp8KVCacheDataTypeE0ES0_Li16ELi128ELi256ELb1ELi4EEvPKT_PKT0_S8_ifPKiSA_SA_iPKfiiiPfSD_PS3_PT2_iSC_SC_
                                        ; -- End function
	.section	.AMDGPU.csdata,"",@progbits
; Kernel info:
; codeLenInByte = 4544
; NumSgprs: 44
; NumVgprs: 99
; NumAgprs: 8
; TotalNumVgprs: 108
; ScratchSize: 0
; MemoryBound: 0
; FloatMode: 240
; IeeeMode: 1
; LDSByteSize: 5280 bytes/workgroup (compile time only)
; SGPRBlocks: 5
; VGPRBlocks: 13
; NumSGPRsForWavesPerEU: 44
; NumVGPRsForWavesPerEU: 108
; AccumOffset: 100
; Occupancy: 4
; WaveLimiterHint : 1
; COMPUTE_PGM_RSRC2:SCRATCH_EN: 0
; COMPUTE_PGM_RSRC2:USER_SGPR: 6
; COMPUTE_PGM_RSRC2:TRAP_HANDLER: 0
; COMPUTE_PGM_RSRC2:TGID_X_EN: 1
; COMPUTE_PGM_RSRC2:TGID_Y_EN: 1
; COMPUTE_PGM_RSRC2:TGID_Z_EN: 1
; COMPUTE_PGM_RSRC2:TIDIG_COMP_CNT: 0
; COMPUTE_PGM_RSRC3_GFX90A:ACCUM_OFFSET: 24
; COMPUTE_PGM_RSRC3_GFX90A:TG_SPLIT: 0
	.section	.text._Z39paged_attention_ll4mi_QKV_mfma16_kernelI14__hip_bfloat16S0_LN4vllm18Fp8KVCacheDataTypeE0ES0_Li16ELi128ELi256ELb1ELi5EL8MFMAType0EEvPKT_PKT0_S9_ifPKiSB_SB_iPKfiiiPfSE_PS4_PT2_iSD_SD_,"axG",@progbits,_Z39paged_attention_ll4mi_QKV_mfma16_kernelI14__hip_bfloat16S0_LN4vllm18Fp8KVCacheDataTypeE0ES0_Li16ELi128ELi256ELb1ELi5EL8MFMAType0EEvPKT_PKT0_S9_ifPKiSB_SB_iPKfiiiPfSE_PS4_PT2_iSD_SD_,comdat
	.protected	_Z39paged_attention_ll4mi_QKV_mfma16_kernelI14__hip_bfloat16S0_LN4vllm18Fp8KVCacheDataTypeE0ES0_Li16ELi128ELi256ELb1ELi5EL8MFMAType0EEvPKT_PKT0_S9_ifPKiSB_SB_iPKfiiiPfSE_PS4_PT2_iSD_SD_ ; -- Begin function _Z39paged_attention_ll4mi_QKV_mfma16_kernelI14__hip_bfloat16S0_LN4vllm18Fp8KVCacheDataTypeE0ES0_Li16ELi128ELi256ELb1ELi5EL8MFMAType0EEvPKT_PKT0_S9_ifPKiSB_SB_iPKfiiiPfSE_PS4_PT2_iSD_SD_
	.globl	_Z39paged_attention_ll4mi_QKV_mfma16_kernelI14__hip_bfloat16S0_LN4vllm18Fp8KVCacheDataTypeE0ES0_Li16ELi128ELi256ELb1ELi5EL8MFMAType0EEvPKT_PKT0_S9_ifPKiSB_SB_iPKfiiiPfSE_PS4_PT2_iSD_SD_
	.p2align	8
	.type	_Z39paged_attention_ll4mi_QKV_mfma16_kernelI14__hip_bfloat16S0_LN4vllm18Fp8KVCacheDataTypeE0ES0_Li16ELi128ELi256ELb1ELi5EL8MFMAType0EEvPKT_PKT0_S9_ifPKiSB_SB_iPKfiiiPfSE_PS4_PT2_iSD_SD_,@function
_Z39paged_attention_ll4mi_QKV_mfma16_kernelI14__hip_bfloat16S0_LN4vllm18Fp8KVCacheDataTypeE0ES0_Li16ELi128ELi256ELb1ELi5EL8MFMAType0EEvPKT_PKT0_S9_ifPKiSB_SB_iPKfiiiPfSE_PS4_PT2_iSD_SD_: ; @_Z39paged_attention_ll4mi_QKV_mfma16_kernelI14__hip_bfloat16S0_LN4vllm18Fp8KVCacheDataTypeE0ES0_Li16ELi128ELi256ELb1ELi5EL8MFMAType0EEvPKT_PKT0_S9_ifPKiSB_SB_iPKfiiiPfSE_PS4_PT2_iSD_SD_
; %bb.0:
	s_mov_b64 s[46:47], s[2:3]
	s_mov_b64 s[44:45], s[0:1]
	s_load_dwordx2 s[0:1], s[4:5], 0x30
	s_add_u32 s44, s44, s9
	s_addc_u32 s45, s45, 0
	s_mov_b32 s26, s7
	s_mov_b64 s[10:11], 0
	s_waitcnt lgkmcnt(0)
	s_cmp_lg_u64 s[0:1], 0
	s_cselect_b64 s[2:3], -1, 0
	s_and_b64 vcc, exec, s[2:3]
	s_cbranch_vccz .LBB292_7
; %bb.1:
	s_add_i32 s12, s6, 1
	s_mov_b32 s13, 0
	s_lshl_b64 s[14:15], s[12:13], 2
	s_add_u32 s14, s0, s14
	s_mov_b32 s7, s13
	s_addc_u32 s15, s1, s15
	s_lshl_b64 s[12:13], s[6:7], 2
	s_add_u32 s12, s0, s12
	s_addc_u32 s13, s1, s13
	s_load_dword s9, s[14:15], 0x0
	s_load_dword s16, s[12:13], 0x0
	s_waitcnt lgkmcnt(0)
	s_sub_i32 s9, s9, s16
	s_cmp_eq_u32 s9, 1
	s_cselect_b64 s[12:13], -1, 0
	s_andn2_b64 vcc, exec, s[10:11]
	s_cbranch_vccnz .LBB292_3
.LBB292_2:
	s_mov_b32 s7, 0
	s_mov_b64 s[12:13], -1
.LBB292_3:
	s_andn2_b64 vcc, exec, s[12:13]
	s_cbranch_vccnz .LBB292_20
; %bb.4:
	s_load_dwordx2 s[12:13], s[4:5], 0x28
	s_lshl_b64 s[10:11], s[6:7], 2
	s_waitcnt lgkmcnt(0)
	s_add_u32 s12, s12, s10
	s_addc_u32 s13, s13, s11
	s_load_dword s33, s[12:13], 0x0
	s_lshl_b32 s16, s26, 8
	s_waitcnt lgkmcnt(0)
	s_cmp_ge_i32 s16, s33
	s_cbranch_scc1 .LBB292_20
; %bb.5:
	s_add_i32 s14, s33, 15
	s_load_dwordx2 s[12:13], s[4:5], 0x20
	s_load_dword s9, s[4:5], 0x38
	s_ashr_i32 s15, s14, 31
	v_and_b32_e32 v1, 0xcf, v0
	s_lshr_b32 s15, s15, 28
	v_add_u32_e32 v1, s16, v1
	s_add_i32 s14, s14, s15
	v_ashrrev_i32_e32 v2, 31, v1
	s_ashr_i32 s19, s14, 4
	v_lshrrev_b32_e32 v4, 28, v2
	s_add_i32 s19, s19, -1
	v_add_u32_e32 v2, v1, v4
	s_waitcnt lgkmcnt(0)
	s_mul_i32 s14, s6, s9
	s_mov_b32 s15, 0
	v_ashrrev_i32_e32 v2, 4, v2
	v_mov_b32_e32 v5, s19
	v_cmp_gt_i32_e32 vcc, s33, v1
	s_lshl_b64 s[14:15], s[14:15], 2
	v_cndmask_b32_e32 v2, v5, v2, vcc
	s_add_u32 s17, s12, s14
	v_ashrrev_i32_e32 v3, 31, v2
	s_addc_u32 s18, s13, s15
	v_lshlrev_b64 v[2:3], 2, v[2:3]
	v_mov_b32_e32 v7, s18
	v_add_co_u32_e32 v6, vcc, s17, v2
	v_or_b32_e32 v2, 16, v1
	v_addc_co_u32_e32 v7, vcc, v7, v3, vcc
	v_add_u32_e32 v3, v2, v4
	v_ashrrev_i32_e32 v3, 4, v3
	v_cmp_gt_i32_e32 vcc, s33, v2
	v_cndmask_b32_e32 v2, v5, v3, vcc
	v_ashrrev_i32_e32 v3, 31, v2
	v_lshlrev_b64 v[2:3], 2, v[2:3]
	v_mov_b32_e32 v9, s18
	v_add_co_u32_e32 v8, vcc, s17, v2
	v_or_b32_e32 v2, 32, v1
	v_addc_co_u32_e32 v9, vcc, v9, v3, vcc
	v_add_u32_e32 v3, v2, v4
	v_ashrrev_i32_e32 v3, 4, v3
	v_cmp_gt_i32_e32 vcc, s33, v2
	v_cndmask_b32_e32 v2, v5, v3, vcc
	v_ashrrev_i32_e32 v3, 31, v2
	;; [unrolled: 10-line block ×3, first 2 shown]
	v_lshlrev_b64 v[2:3], 2, v[2:3]
	v_mov_b32_e32 v1, s18
	v_add_co_u32_e32 v12, vcc, s17, v2
	v_addc_co_u32_e32 v13, vcc, v1, v3, vcc
	global_load_dword v5, v[6:7], off
	global_load_dword v4, v[8:9], off
	;; [unrolled: 1-line block ×4, first 2 shown]
	s_load_dwordx2 s[12:13], s[4:5], 0x8
	s_andn2_b64 vcc, exec, s[2:3]
	s_cbranch_vccnz .LBB292_8
; %bb.6:
	s_add_u32 s0, s0, s10
	s_addc_u32 s1, s1, s11
	s_load_dword s9, s[0:1], 0x0
	s_branch .LBB292_9
.LBB292_7:
	s_mov_b64 s[12:13], 0
	s_branch .LBB292_2
.LBB292_8:
	s_mov_b32 s9, s6
.LBB292_9:
	s_load_dwordx2 s[10:11], s[4:5], 0x10
	s_load_dwordx4 s[0:3], s[4:5], 0x48
	v_lshrrev_b32_e32 v87, 6, v0
	v_bfe_u32 v1, v0, 4, 2
	v_and_b32_e32 v85, 15, v0
	v_lshl_or_b32 v6, v87, 2, v1
	v_lshlrev_b32_e32 v7, 3, v85
	s_mul_i32 s27, s8, 5
	v_cmp_gt_u32_e32 vcc, 5, v6
	v_lshlrev_b32_e32 v7, 1, v7
	buffer_store_dword v7, off, s[44:47], 0 ; 4-byte Folded Spill
	s_and_saveexec_b64 s[14:15], vcc
	s_cbranch_execz .LBB292_11
; %bb.10:
	s_load_dwordx2 s[20:21], s[4:5], 0x0
	s_waitcnt lgkmcnt(0)
	s_ashr_i32 s3, s0, 31
	s_mul_hi_u32 s22, s9, s0
	s_mul_i32 s3, s9, s3
	s_add_i32 s23, s22, s3
	s_mul_i32 s22, s9, s0
	s_lshl_b64 s[22:23], s[22:23], 1
	v_add_lshl_u32 v8, v6, s27, 7
	s_add_u32 s0, s20, s22
	v_ashrrev_i32_e32 v9, 31, v8
	s_addc_u32 s3, s21, s23
	v_lshlrev_b64 v[8:9], 1, v[8:9]
	v_mov_b32_e32 v7, s3
	v_add_co_u32_e32 v8, vcc, s0, v8
	v_addc_co_u32_e32 v7, vcc, v7, v9, vcc
	buffer_load_dword v9, off, s[44:47], 0  ; 4-byte Folded Reload
	v_lshlrev_b32_e32 v12, 9, v85
	v_lshlrev_b32_e32 v6, 5, v6
	v_and_b32_e32 v12, 0x1800, v12
	s_waitcnt vmcnt(0)
	v_add_co_u32_e32 v8, vcc, v8, v9
	v_addc_co_u32_e32 v9, vcc, 0, v7, vcc
	global_load_dwordx4 v[8:11], v[8:9], off
	v_and_b32_e32 v7, 3, v0
	v_lshlrev_b32_e32 v7, 9, v7
	v_or3_b32 v6, v12, v7, v6
	s_waitcnt vmcnt(0)
	ds_write_b128 v6, v[8:11]
.LBB292_11:
	s_or_b64 exec, exec, s[14:15]
	s_waitcnt lgkmcnt(0)
	s_mul_i32 s2, s8, s2
	s_mov_b32 s3, 0
	s_lshl_b64 s[2:3], s[2:3], 1
	s_add_u32 s0, s12, s2
	v_lshlrev_b32_e32 v10, 4, v0
	s_addc_u32 s8, s13, s3
	v_and_b32_e32 v6, 0xf0, v10
	v_mov_b32_e32 v7, s8
	v_add_co_u32_e32 v8, vcc, s0, v6
	v_addc_co_u32_e32 v9, vcc, 0, v7, vcc
	s_waitcnt vmcnt(4)
	v_mad_i64_i32 v[6:7], s[8:9], v5, s1, 0
	v_lshlrev_b64 v[6:7], 1, v[6:7]
	v_add_co_u32_e32 v5, vcc, v8, v6
	v_addc_co_u32_e32 v7, vcc, v9, v7, vcc
	v_and_b32_e32 v10, 0x300, v10
	v_add_co_u32_e32 v6, vcc, v5, v10
	s_waitcnt vmcnt(3)
	v_mad_i64_i32 v[4:5], s[8:9], v4, s1, 0
	v_addc_co_u32_e32 v7, vcc, 0, v7, vcc
	v_lshlrev_b64 v[4:5], 1, v[4:5]
	v_add_co_u32_e32 v4, vcc, v8, v4
	v_addc_co_u32_e32 v5, vcc, v9, v5, vcc
	v_add_co_u32_e32 v4, vcc, v4, v10
	v_addc_co_u32_e32 v5, vcc, 0, v5, vcc
	s_barrier
	global_load_dwordx4 v[74:77], v[6:7], off
	global_load_dwordx4 v[66:69], v[6:7], off offset:1024
	global_load_dwordx4 v[58:61], v[6:7], off offset:2048
	;; [unrolled: 1-line block ×3, first 2 shown]
	global_load_dwordx4 v[78:81], v[4:5], off
	global_load_dwordx4 v[70:73], v[4:5], off offset:1024
	global_load_dwordx4 v[62:65], v[4:5], off offset:2048
	;; [unrolled: 1-line block ×3, first 2 shown]
	s_waitcnt vmcnt(10)
	v_mad_i64_i32 v[4:5], s[8:9], v3, s1, 0
	v_lshlrev_b64 v[4:5], 1, v[4:5]
	v_add_co_u32_e32 v3, vcc, v8, v4
	v_addc_co_u32_e32 v5, vcc, v9, v5, vcc
	v_add_co_u32_e32 v4, vcc, v3, v10
	s_waitcnt vmcnt(9)
	v_mad_i64_i32 v[2:3], s[8:9], v2, s1, 0
	v_addc_co_u32_e32 v5, vcc, 0, v5, vcc
	v_lshlrev_b64 v[2:3], 1, v[2:3]
	v_add_co_u32_e32 v2, vcc, v8, v2
	v_addc_co_u32_e32 v3, vcc, v9, v3, vcc
	v_add_co_u32_e32 v6, vcc, v2, v10
	v_addc_co_u32_e32 v7, vcc, 0, v3, vcc
	global_load_dwordx4 v[38:41], v[4:5], off
	global_load_dwordx4 v[34:37], v[4:5], off offset:1024
	global_load_dwordx4 v[30:33], v[4:5], off offset:2048
	;; [unrolled: 1-line block ×3, first 2 shown]
	global_load_dwordx4 v[18:21], v[6:7], off
	global_load_dwordx4 v[10:13], v[6:7], off offset:1024
	s_nop 0
	global_load_dwordx4 v[2:5], v[6:7], off offset:2048
	global_load_dwordx4 v[50:53], v[6:7], off offset:3072
	v_mul_lo_u16_e32 v6, 52, v85
	v_mov_b32_e32 v7, 5
	v_mul_lo_u16_sdwa v6, v6, v7 dst_sel:DWORD dst_unused:UNUSED_PAD src0_sel:BYTE_1 src1_sel:DWORD
	v_sub_u16_e32 v6, v85, v6
	v_lshlrev_b32_sdwa v6, v7, v6 dst_sel:DWORD dst_unused:UNUSED_PAD src0_sel:DWORD src1_sel:BYTE_0
	v_lshl_add_u32 v54, v1, 9, v6
	ds_read_b128 v[26:29], v54
	ds_read_b128 v[14:17], v54 offset:2048
	ds_read_b128 v[6:9], v54 offset:4096
	;; [unrolled: 1-line block ×3, first 2 shown]
	v_and_b32_e32 v88, 63, v0
	v_cmp_gt_u32_e32 vcc, 5, v85
	v_mov_b32_e32 v89, 0
	s_and_saveexec_b64 s[8:9], vcc
	s_cbranch_execz .LBB292_13
; %bb.12:
	s_load_dwordx2 s[12:13], s[4:5], 0x40
	v_add_u32_e32 v82, s27, v85
	v_ashrrev_i32_e32 v83, 31, v82
	v_lshlrev_b64 v[82:83], 2, v[82:83]
	s_waitcnt lgkmcnt(0)
	v_mov_b32_e32 v89, s13
	v_add_co_u32_e32 v82, vcc, s12, v82
	v_addc_co_u32_e32 v83, vcc, v89, v83, vcc
	global_load_dword v89, v[82:83], off
.LBB292_13:
	s_or_b64 exec, exec, s[8:9]
	s_waitcnt vmcnt(15) lgkmcnt(3)
	v_mfma_f32_16x16x16bf16_1k v[90:93], v[74:75], v[26:27], 0
	s_add_u32 s8, s10, s2
	s_addc_u32 s9, s11, s3
	s_load_dword s0, s[4:5], 0x1c
	s_mov_b32 s40, 0xff7fffff
	v_mfma_f32_16x16x16bf16_1k v[74:77], v[76:77], v[28:29], v[90:93]
	s_waitcnt vmcnt(14) lgkmcnt(0)
	v_mfma_f32_16x16x16bf16_1k v[74:77], v[66:67], v[14:15], v[74:77]
	s_nop 4
	v_lshl_or_b32 v90, v87, 4, v85
	v_mfma_f32_16x16x16bf16_1k v[66:69], v[68:69], v[16:17], v[74:77]
	s_waitcnt vmcnt(13)
	v_mfma_f32_16x16x16bf16_1k v[66:69], v[58:59], v[6:7], v[66:69]
	s_nop 4
	v_lshlrev_b32_e32 v76, 5, v90
	v_mfma_f32_16x16x16bf16_1k v[58:61], v[60:61], v[8:9], v[66:69]
	s_waitcnt vmcnt(12)
	v_mfma_f32_16x16x16bf16_1k v[58:61], v[42:43], v[54:55], v[58:61]
	s_nop 4
	v_mov_b32_e32 v66, s18
	v_mfma_f32_16x16x16bf16_1k v[58:61], v[44:45], v[56:57], v[58:61]
	s_waitcnt vmcnt(11)
	v_mfma_f32_16x16x16bf16_1k v[42:45], v[78:79], v[26:27], 0
	s_nop 7
	s_nop 0
	v_pk_mul_f32 v[58:59], s[0:1], v[58:59] op_sel_hi:[0,1]
	v_mfma_f32_16x16x16bf16_1k v[42:45], v[80:81], v[28:29], v[42:45]
	s_waitcnt vmcnt(10)
	v_mfma_f32_16x16x16bf16_1k v[42:45], v[70:71], v[14:15], v[42:45]
	v_mfma_f32_16x16x16bf16_1k v[42:45], v[72:73], v[16:17], v[42:45]
	s_waitcnt vmcnt(9)
	v_mfma_f32_16x16x16bf16_1k v[42:45], v[62:63], v[6:7], v[42:45]
	;; [unrolled: 3-line block ×3, first 2 shown]
	v_mfma_f32_16x16x16bf16_1k v[62:65], v[48:49], v[56:57], v[42:45]
	v_and_or_b32 v48, v0, 48, s16
	v_mov_b32_e32 v49, s19
	v_cmp_gt_i32_e32 vcc, s33, v48
	s_waitcnt vmcnt(7)
	v_mfma_f32_16x16x16bf16_1k v[42:45], v[38:39], v[26:27], 0
	v_ashrrev_i32_e32 v38, 4, v48
	v_cndmask_b32_e32 v38, v49, v38, vcc
	v_ashrrev_i32_e32 v39, 31, v38
	v_lshlrev_b64 v[46:47], 2, v[38:39]
	v_mfma_f32_16x16x16bf16_1k v[38:41], v[40:41], v[28:29], v[42:45]
	s_nop 6
	v_add_co_u32_e32 v42, vcc, s17, v46
	v_addc_co_u32_e32 v43, vcc, v66, v47, vcc
	global_load_dword v44, v[42:43], off
	v_or_b32_e32 v42, 64, v48
	v_ashrrev_i32_e32 v43, 4, v42
	v_cmp_gt_i32_e32 vcc, s33, v42
	v_cndmask_b32_e32 v42, v49, v43, vcc
	s_waitcnt vmcnt(7)
	v_mfma_f32_16x16x16bf16_1k v[38:41], v[34:35], v[14:15], v[38:41]
	v_ashrrev_i32_e32 v43, 31, v42
	v_lshlrev_b64 v[34:35], 2, v[42:43]
	v_mov_b32_e32 v42, s18
	v_add_co_u32_e32 v34, vcc, s17, v34
	v_addc_co_u32_e32 v35, vcc, v42, v35, vcc
	global_load_dword v72, v[34:35], off
	v_mfma_f32_16x16x16bf16_1k v[34:37], v[36:37], v[16:17], v[38:41]
	s_nop 6
	v_or_b32_e32 v38, 0x80, v48
	v_ashrrev_i32_e32 v39, 4, v38
	v_cmp_gt_i32_e32 vcc, s33, v38
	v_cndmask_b32_e32 v38, v49, v39, vcc
	v_ashrrev_i32_e32 v39, 31, v38
	v_lshlrev_b64 v[38:39], 2, v[38:39]
	v_mov_b32_e32 v40, s18
	s_waitcnt vmcnt(7)
	v_mfma_f32_16x16x16bf16_1k v[34:37], v[30:31], v[6:7], v[34:37]
	v_add_co_u32_e32 v30, vcc, s17, v38
	v_addc_co_u32_e32 v31, vcc, v40, v39, vcc
	global_load_dword v74, v[30:31], off
	v_or_b32_e32 v30, 0xc0, v48
	v_ashrrev_i32_e32 v31, 4, v30
	v_cmp_gt_i32_e32 vcc, s33, v30
	v_cndmask_b32_e32 v38, v49, v31, vcc
	v_ashrrev_i32_e32 v39, 31, v38
	v_mfma_f32_16x16x16bf16_1k v[30:33], v[32:33], v[8:9], v[34:37]
	s_nop 6
	v_lshlrev_b64 v[34:35], 2, v[38:39]
	v_mov_b32_e32 v36, s18
	v_add_co_u32_e32 v34, vcc, s17, v34
	v_addc_co_u32_e32 v35, vcc, v36, v35, vcc
	global_load_dword v75, v[34:35], off
	s_waitcnt vmcnt(8)
	v_mfma_f32_16x16x16bf16_1k v[30:33], v[22:23], v[54:55], v[30:33]
	v_mov_b32_e32 v22, s9
	v_add_co_u32_e32 v77, vcc, s8, v76
	v_addc_co_u32_e32 v78, vcc, 0, v22, vcc
	s_waitcnt vmcnt(3)
	v_mad_i64_i32 v[22:23], s[2:3], v44, s1, 0
	v_mfma_f32_16x16x16bf16_1k v[66:69], v[24:25], v[56:57], v[30:33]
	v_lshlrev_b64 v[70:71], 1, v[22:23]
	v_mfma_f32_16x16x16bf16_1k v[22:25], v[18:19], v[26:27], 0
	v_add_co_u32_e32 v18, vcc, v77, v70
	v_addc_co_u32_e32 v19, vcc, v78, v71, vcc
	global_load_dwordx4 v[46:49], v[18:19], off
	global_load_dwordx4 v[42:45], v[18:19], off offset:16
	s_waitcnt vmcnt(4)
	v_mad_i64_i32 v[18:19], s[2:3], v72, s1, 0
	v_lshlrev_b64 v[72:73], 1, v[18:19]
	v_mfma_f32_16x16x16bf16_1k v[18:21], v[20:21], v[28:29], v[22:25]
	v_mfma_f32_16x16x16bf16_1k v[18:21], v[10:11], v[14:15], v[18:21]
	s_nop 5
	v_add_co_u32_e32 v22, vcc, v77, v72
	v_addc_co_u32_e32 v23, vcc, v78, v73, vcc
	global_load_dwordx4 v[38:41], v[22:23], off
	global_load_dwordx4 v[34:37], v[22:23], off offset:16
	s_waitcnt vmcnt(5)
	v_mad_i64_i32 v[22:23], s[2:3], v74, s1, 0
	v_lshlrev_b64 v[82:83], 1, v[22:23]
	v_add_co_u32_e32 v10, vcc, v77, v82
	v_addc_co_u32_e32 v11, vcc, v78, v83, vcc
	global_load_dwordx4 v[30:33], v[10:11], off
	global_load_dwordx4 v[26:29], v[10:11], off offset:16
	v_mfma_f32_16x16x16bf16_1k v[10:13], v[12:13], v[16:17], v[18:21]
	s_waitcnt vmcnt(6)
	v_mad_i64_i32 v[14:15], s[2:3], v75, s1, 0
	v_mfma_f32_16x16x16bf16_1k v[10:13], v[2:3], v[6:7], v[10:13]
	v_lshlrev_b64 v[80:81], 1, v[14:15]
	v_add_co_u32_e32 v14, vcc, v77, v80
	v_addc_co_u32_e32 v15, vcc, v78, v81, vcc
	v_or_b32_e32 v2, 0x800, v76
	v_mov_b32_e32 v3, s9
	v_mfma_f32_16x16x16bf16_1k v[10:13], v[4:5], v[8:9], v[10:13]
	v_add_co_u32_e32 v91, vcc, s8, v2
	v_addc_co_u32_e32 v84, vcc, 0, v3, vcc
	v_add_co_u32_e32 v2, vcc, v91, v70
	v_addc_co_u32_e32 v3, vcc, v84, v71, vcc
	v_mfma_f32_16x16x16bf16_1k v[92:95], v[50:51], v[54:55], v[10:13]
	v_add_co_u32_e32 v70, vcc, v91, v72
	v_addc_co_u32_e32 v71, vcc, v84, v73, vcc
	global_load_dwordx4 v[22:25], v[14:15], off
	global_load_dwordx4 v[18:21], v[14:15], off offset:16
	global_load_dwordx4 v[6:9], v[2:3], off
	s_nop 0
	global_load_dwordx4 v[2:5], v[2:3], off offset:16
	s_nop 0
	global_load_dwordx4 v[14:17], v[70:71], off
	global_load_dwordx4 v[10:13], v[70:71], off offset:16
	v_mfma_f32_16x16x16bf16_1k v[50:53], v[52:53], v[56:57], v[92:95]
	v_pk_mul_f32 v[70:71], s[0:1], v[68:69] op_sel_hi:[0,1]
	v_pk_mul_f32 v[72:73], s[0:1], v[66:67] op_sel_hi:[0,1]
	;; [unrolled: 1-line block ×5, first 2 shown]
	s_nop 5
	v_pk_mul_f32 v[68:69], s[0:1], v[50:51] op_sel_hi:[0,1]
	v_and_b32_e32 v50, 0xc0, v0
	v_add_u32_e32 v50, s16, v50
	v_lshl_or_b32 v50, v1, 2, v50
	v_or_b32_e32 v51, 1, v50
	v_pk_mul_f32 v[66:67], s[0:1], v[52:53] op_sel_hi:[0,1]
	v_subrev_u32_e32 v52, s33, v51
	v_add_u32_e32 v54, 1, v52
	v_add_u32_e32 v55, 2, v52
	v_cvt_f32_i32_e32 v53, v52
	v_cvt_f32_i32_e32 v54, v54
	v_cvt_f32_i32_e32 v55, v55
	v_add_u32_e32 v56, 3, v52
	v_fma_f32 v58, v89, v53, v58
	v_fmac_f32_e32 v59, v89, v54
	v_fma_f32 v78, v89, v55, v78
	v_add_u32_e32 v53, 16, v52
	v_add_u32_e32 v54, 17, v52
	;; [unrolled: 1-line block ×3, first 2 shown]
	v_cvt_f32_i32_e32 v56, v56
	v_cvt_f32_i32_e32 v53, v53
	v_cvt_f32_i32_e32 v54, v54
	v_cvt_f32_i32_e32 v55, v55
	v_fmac_f32_e32 v79, v89, v56
	v_add_u32_e32 v56, 19, v52
	v_fma_f32 v76, v89, v53, v76
	v_fmac_f32_e32 v77, v89, v54
	v_fma_f32 v74, v89, v55, v74
	v_add_u32_e32 v53, 32, v52
	v_add_u32_e32 v54, 33, v52
	;; [unrolled: 1-line block ×3, first 2 shown]
	v_cvt_f32_i32_e32 v56, v56
	v_cvt_f32_i32_e32 v53, v53
	;; [unrolled: 1-line block ×4, first 2 shown]
	v_fmac_f32_e32 v75, v89, v56
	v_add_u32_e32 v56, 35, v52
	v_fma_f32 v72, v89, v53, v72
	v_fmac_f32_e32 v73, v89, v54
	v_fma_f32 v70, v89, v55, v70
	v_add_u32_e32 v53, 48, v52
	v_add_u32_e32 v54, 49, v52
	;; [unrolled: 1-line block ×4, first 2 shown]
	v_cvt_f32_i32_e32 v52, v52
	v_cvt_f32_i32_e32 v53, v53
	;; [unrolled: 1-line block ×3, first 2 shown]
	v_cmp_gt_i32_e64 s[28:29], s33, v50
	v_fmac_f32_e32 v67, v89, v52
	v_mov_b32_e32 v52, 0xff7fffff
	v_cmp_gt_i32_e64 s[30:31], s33, v51
	v_fma_f32 v68, v89, v53, v68
	v_cndmask_b32_e64 v53, v52, v58, s[28:29]
	v_cndmask_b32_e64 v51, v52, v59, s[30:31]
	v_fmac_f32_e32 v69, v89, v54
	v_max3_f32 v51, v53, s40, v51
	v_or_b32_e32 v53, 2, v50
	v_or_b32_e32 v54, 3, v50
	v_cmp_gt_i32_e64 s[34:35], s33, v53
	v_cmp_gt_i32_e64 s[36:37], s33, v54
	v_cndmask_b32_e64 v53, v52, v78, s[34:35]
	v_cndmask_b32_e64 v54, v52, v79, s[36:37]
	v_max3_f32 v51, v51, v53, v54
	v_or_b32_e32 v53, 16, v50
	v_or_b32_e32 v54, 17, v50
	v_cmp_gt_i32_e64 s[22:23], s33, v53
	v_cmp_gt_i32_e64 s[24:25], s33, v54
	v_cndmask_b32_e64 v53, v52, v76, s[22:23]
	v_cndmask_b32_e64 v54, v52, v77, s[24:25]
	;; [unrolled: 7-line block ×3, first 2 shown]
	v_cvt_f32_i32_e32 v56, v56
	v_max3_f32 v51, v51, v53, v54
	v_or_b32_e32 v53, 32, v50
	v_or_b32_e32 v54, 33, v50
	v_cmp_gt_i32_e64 s[14:15], s33, v53
	v_cmp_gt_i32_e64 s[16:17], s33, v54
	v_cndmask_b32_e64 v53, v52, v72, s[14:15]
	v_cndmask_b32_e64 v54, v52, v73, s[16:17]
	v_max3_f32 v51, v51, v53, v54
	v_or_b32_e32 v53, 34, v50
	v_or_b32_e32 v54, 35, v50
	v_fmac_f32_e32 v71, v89, v56
	v_cmp_gt_i32_e64 s[10:11], s33, v53
	v_cmp_gt_i32_e64 s[12:13], s33, v54
	v_cndmask_b32_e64 v53, v52, v70, s[10:11]
	v_cndmask_b32_e64 v54, v52, v71, s[12:13]
	v_cvt_f32_i32_e32 v55, v55
	v_max3_f32 v51, v51, v53, v54
	v_or_b32_e32 v53, 48, v50
	v_or_b32_e32 v54, 49, v50
	v_cmp_gt_i32_e64 s[2:3], s33, v53
	v_cmp_gt_i32_e64 s[8:9], s33, v54
	v_cndmask_b32_e64 v53, v52, v68, s[2:3]
	v_cndmask_b32_e64 v54, v52, v69, s[8:9]
	v_max3_f32 v51, v51, v53, v54
	v_or_b32_e32 v53, 50, v50
	v_or_b32_e32 v50, 51, v50
	v_fma_f32 v66, v89, v55, v66
	v_cmp_gt_i32_e32 vcc, s33, v53
	v_cmp_gt_i32_e64 s[0:1], s33, v50
	v_cndmask_b32_e32 v53, v52, v66, vcc
	v_cndmask_b32_e64 v50, v52, v67, s[0:1]
	v_max3_f32 v60, v51, v53, v50
	v_mbcnt_lo_u32_b32 v50, -1, 0
	v_mbcnt_hi_u32_b32 v61, -1, v50
	v_and_b32_e32 v50, 64, v61
	v_add_u32_e32 v62, 64, v50
	v_xor_b32_e32 v50, 32, v61
	v_cmp_lt_i32_e64 s[38:39], v50, v62
	v_cndmask_b32_e64 v50, v61, v50, s[38:39]
	v_lshlrev_b32_e32 v89, 2, v50
	ds_bpermute_b32 v63, v89, v60
	v_add_co_u32_e64 v50, s[38:39], v91, v82
	v_addc_co_u32_e64 v51, s[38:39], v84, v83, s[38:39]
	s_waitcnt lgkmcnt(0)
	v_max_f32_e32 v63, v63, v63
	v_max_f32_e32 v63, v60, v63
	v_xor_b32_e32 v60, 16, v61
	v_cmp_lt_i32_e64 s[38:39], v60, v62
	v_cndmask_b32_e64 v60, v61, v60, s[38:39]
	v_lshlrev_b32_e32 v92, 2, v60
	ds_bpermute_b32 v62, v92, v63
	v_add_co_u32_e64 v60, s[38:39], v91, v80
	v_addc_co_u32_e64 v61, s[38:39], v84, v81, s[38:39]
	s_waitcnt lgkmcnt(0)
	v_max_f32_e32 v62, v62, v62
	v_max_f32_e32 v82, v63, v62
	v_sub_f32_e32 v58, v58, v82
	v_mul_f32_e32 v58, 0x3fb8aa3b, v58
	v_exp_f32_e32 v80, v58
	v_sub_f32_e32 v58, v59, v82
	v_mul_f32_e32 v58, 0x3fb8aa3b, v58
	global_load_dwordx4 v[54:57], v[50:51], off
	s_nop 0
	global_load_dwordx4 v[50:53], v[50:51], off offset:16
	v_exp_f32_e32 v81, v58
	global_load_dwordx4 v[62:65], v[60:61], off
	s_nop 0
	global_load_dwordx4 v[58:61], v[60:61], off offset:16
	v_sub_f32_e32 v78, v78, v82
	v_mul_f32_e32 v78, 0x3fb8aa3b, v78
	v_sub_f32_e32 v79, v79, v82
	v_exp_f32_e32 v78, v78
	v_mul_f32_e32 v79, 0x3fb8aa3b, v79
	v_sub_f32_e32 v76, v76, v82
	v_exp_f32_e32 v79, v79
	v_mul_f32_e32 v76, 0x3fb8aa3b, v76
	v_sub_f32_e32 v77, v77, v82
	v_cndmask_b32_e64 v80, 0, v80, s[28:29]
	v_exp_f32_e32 v76, v76
	v_mul_f32_e32 v77, 0x3fb8aa3b, v77
	v_sub_f32_e32 v74, v74, v82
	v_add_f32_e32 v83, 0, v80
	v_cndmask_b32_e64 v81, 0, v81, s[30:31]
	v_exp_f32_e32 v77, v77
	v_mul_f32_e32 v74, 0x3fb8aa3b, v74
	v_sub_f32_e32 v75, v75, v82
	v_add_f32_e32 v83, v83, v81
	;; [unrolled: 5-line block ×10, first 2 shown]
	v_cndmask_b32_e64 v70, 0, v70, s[10:11]
	v_exp_f32_e32 v66, v66
	v_mul_f32_e32 v67, 0x3fb8aa3b, v67
	v_add_f32_e32 v83, v83, v70
	v_cndmask_b32_e64 v71, 0, v71, s[12:13]
	v_exp_f32_e32 v67, v67
	v_add_f32_e32 v83, v83, v71
	v_cndmask_b32_e64 v68, 0, v68, s[2:3]
	v_add_f32_e32 v83, v83, v68
	v_cndmask_b32_e64 v69, 0, v69, s[8:9]
	v_add_f32_e32 v83, v83, v69
	v_cndmask_b32_e32 v66, 0, v66, vcc
	v_add_f32_e32 v83, v83, v66
	v_cndmask_b32_e64 v67, 0, v67, s[0:1]
	v_add_f32_e32 v83, v83, v67
	ds_bpermute_b32 v84, v89, v83
	s_load_dword s9, s[4:5], 0x98
	v_cmp_gt_u32_e64 s[0:1], 16, v88
	s_waitcnt lgkmcnt(0)
	s_barrier
	v_add_f32_e32 v83, v83, v84
	ds_bpermute_b32 v89, v92, v83
	s_waitcnt lgkmcnt(0)
	s_and_saveexec_b64 s[2:3], s[0:1]
	s_cbranch_execz .LBB292_15
; %bb.14:
	v_add_f32_e32 v83, v83, v89
	v_lshlrev_b32_e32 v84, 2, v90
	ds_write2st64_b32 v84, v82, v83 offset1:1
.LBB292_15:
	s_or_b64 exec, exec, s[2:3]
	v_lshlrev_b32_e32 v83, 2, v85
	s_load_dword s8, s[4:5], 0x94
	s_waitcnt lgkmcnt(0)
	s_barrier
	ds_read2_b32 v[88:89], v83 offset1:16
	ds_read2_b32 v[90:91], v83 offset0:32 offset1:48
	ds_read2_b32 v[92:93], v83 offset0:64 offset1:80
	s_movk_i32 s10, 0x7fff
	s_mov_b32 s11, 0x7060302
	s_waitcnt lgkmcnt(2)
	v_max3_f32 v82, v88, s40, v89
	s_waitcnt lgkmcnt(1)
	v_max3_f32 v82, v82, v90, v91
	v_sub_f32_e32 v84, v88, v82
	v_sub_f32_e32 v88, v89, v82
	v_mul_f32_e32 v88, 0x3fb8aa3b, v88
	v_mul_f32_e32 v84, 0x3fb8aa3b, v84
	v_exp_f32_e32 v94, v88
	v_sub_f32_e32 v88, v90, v82
	v_exp_f32_e32 v84, v84
	v_mul_f32_e32 v88, 0x3fb8aa3b, v88
	v_exp_f32_e32 v90, v88
	ds_read2_b32 v[88:89], v83 offset0:96 offset1:112
	v_sub_f32_e32 v83, v91, v82
	v_mul_f32_e32 v83, 0x3fb8aa3b, v83
	v_exp_f32_e32 v91, v83
	s_waitcnt lgkmcnt(1)
	v_fma_f32 v83, v84, v92, 0
	v_fmac_f32_e32 v83, v94, v93
	s_waitcnt lgkmcnt(0)
	v_fmac_f32_e32 v83, v90, v88
	v_fmac_f32_e32 v83, v91, v89
	v_add_f32_e32 v88, 0x358637bd, v83
	v_div_scale_f32 v89, s[2:3], v88, v88, 1.0
	v_rcp_f32_e32 v92, v89
	s_mul_i32 s9, s9, 5
	s_barrier
	v_fma_f32 v93, -v89, v92, 1.0
	v_fmac_f32_e32 v92, v93, v92
	v_div_scale_f32 v93, vcc, 1.0, v88, 1.0
	v_mul_f32_e32 v95, v93, v92
	v_fma_f32 v86, -v89, v95, v93
	v_fmac_f32_e32 v95, v86, v92
	v_fma_f32 v86, -v89, v95, v93
	v_div_fmas_f32 v86, v86, v92, v95
	v_cmp_eq_u32_e32 vcc, 1, v87
	v_cndmask_b32_e32 v84, v84, v94, vcc
	v_cmp_eq_u32_e32 vcc, 2, v87
	v_cndmask_b32_e32 v84, v84, v90, vcc
	v_cmp_eq_u32_e32 vcc, 3, v87
	v_div_fixup_f32 v86, v86, v88, 1.0
	v_cndmask_b32_e32 v84, v84, v91, vcc
	v_mul_f32_e32 v88, v84, v86
	v_pk_mul_f32 v[80:81], v[88:89], v[80:81] op_sel_hi:[0,1]
	v_bfe_u32 v84, v81, 16, 1
	v_bfe_u32 v86, v80, 16, 1
	v_pk_mul_f32 v[78:79], v[88:89], v[78:79] op_sel_hi:[0,1]
	v_add3_u32 v80, v80, v86, s10
	v_add3_u32 v81, v81, v84, s10
	v_perm_b32 v80, v81, v80, s11
	v_bfe_u32 v81, v79, 16, 1
	v_bfe_u32 v84, v78, 16, 1
	v_add3_u32 v78, v78, v84, s10
	v_add3_u32 v79, v79, v81, s10
	v_perm_b32 v81, v79, v78, s11
	v_lshlrev_b32_e32 v78, 3, v1
	v_lshlrev_b32_e32 v79, 5, v85
	;; [unrolled: 1-line block ×3, first 2 shown]
	v_pk_mul_f32 v[76:77], v[88:89], v[76:77] op_sel_hi:[0,1]
	v_or3_b32 v78, v84, v79, v78
	v_bfe_u32 v84, v77, 16, 1
	v_bfe_u32 v86, v76, 16, 1
	v_pk_mul_f32 v[74:75], v[88:89], v[74:75] op_sel_hi:[0,1]
	v_add3_u32 v76, v76, v86, s10
	v_add3_u32 v77, v77, v84, s10
	v_perm_b32 v76, v77, v76, s11
	v_bfe_u32 v77, v75, 16, 1
	v_bfe_u32 v84, v74, 16, 1
	v_add3_u32 v74, v74, v84, s10
	v_add3_u32 v75, v75, v77, s10
	v_pk_mul_f32 v[72:73], v[88:89], v[72:73] op_sel_hi:[0,1]
	v_perm_b32 v77, v75, v74, s11
	v_bfe_u32 v74, v73, 16, 1
	v_bfe_u32 v75, v72, 16, 1
	v_pk_mul_f32 v[70:71], v[88:89], v[70:71] op_sel_hi:[0,1]
	v_add3_u32 v72, v72, v75, s10
	v_add3_u32 v73, v73, v74, s10
	v_perm_b32 v72, v73, v72, s11
	v_bfe_u32 v73, v71, 16, 1
	v_bfe_u32 v74, v70, 16, 1
	v_add3_u32 v70, v70, v74, s10
	v_add3_u32 v71, v71, v73, s10
	v_pk_mul_f32 v[68:69], v[88:89], v[68:69] op_sel_hi:[0,1]
	v_perm_b32 v73, v71, v70, s11
	v_bfe_u32 v70, v69, 16, 1
	v_bfe_u32 v71, v68, 16, 1
	v_pk_mul_f32 v[66:67], v[88:89], v[66:67] op_sel_hi:[0,1]
	v_add3_u32 v68, v68, v71, s10
	v_add3_u32 v69, v69, v70, s10
	v_perm_b32 v68, v69, v68, s11
	v_bfe_u32 v69, v67, 16, 1
	v_bfe_u32 v70, v66, 16, 1
	v_add3_u32 v66, v66, v70, s10
	v_add3_u32 v67, v67, v69, s10
	v_perm_b32 v69, v67, v66, s11
	v_cmp_gt_u32_e32 vcc, 5, v0
	ds_write2st64_b64 v78, v[80:81], v[76:77] offset1:1
	ds_write2st64_b64 v78, v[72:73], v[68:69] offset0:2 offset1:3
	s_and_saveexec_b64 s[2:3], vcc
	s_cbranch_execz .LBB292_17
; %bb.16:
	v_add_co_u32_e32 v68, vcc, s27, v85
	v_addc_co_u32_e64 v69, s[16:17], 0, 0, vcc
	v_mov_b32_e32 v66, s9
	v_mov_b32_e32 v67, 0
	v_mad_u64_u32 v[68:69], s[16:17], s6, v66, v[68:69]
	v_mov_b32_e32 v66, s26
	s_load_dwordx4 s[12:15], s[4:5], 0x58
	s_mul_i32 s7, s7, s9
	v_mad_u64_u32 v[66:67], s[16:17], v68, s8, v[66:67]
	v_add_u32_e32 v69, s7, v69
	v_mov_b32_e32 v68, v67
	v_mad_u64_u32 v[68:69], s[16:17], v69, s8, v[68:69]
	v_mov_b32_e32 v67, v68
	v_lshlrev_b64 v[66:67], 2, v[66:67]
	s_waitcnt lgkmcnt(0)
	v_mov_b32_e32 v69, s15
	v_add_co_u32_e32 v68, vcc, s14, v66
	v_addc_co_u32_e32 v69, vcc, v69, v67, vcc
	global_store_dword v[68:69], v82, off
	v_mov_b32_e32 v68, s13
	v_add_co_u32_e32 v66, vcc, s12, v66
	v_addc_co_u32_e32 v67, vcc, v68, v67, vcc
	global_store_dword v[66:67], v83, off
.LBB292_17:
	s_or_b64 exec, exec, s[2:3]
	v_lshl_or_b32 v79, v1, 9, v79
	s_waitcnt lgkmcnt(0)
	s_barrier
	ds_read_b128 v[70:73], v79
	ds_read_b128 v[66:69], v79 offset:16
	s_waitcnt vmcnt(15) lgkmcnt(1)
	v_mfma_f32_16x16x16bf16_1k v[74:77], v[46:47], v[70:71], 0
	s_mov_b32 s3, 0
	v_cmp_gt_u32_e32 vcc, 64, v0
	v_mfma_f32_16x16x16bf16_1k v[46:49], v[48:49], v[72:73], v[74:77]
	s_waitcnt vmcnt(14) lgkmcnt(0)
	v_mfma_f32_16x16x16bf16_1k v[46:49], v[42:43], v[66:67], v[46:49]
	v_mfma_f32_16x16x16bf16_1k v[42:45], v[44:45], v[68:69], v[46:49]
	s_nop 7
	s_nop 1
	ds_read_b128 v[46:49], v79 offset:2048
	ds_read_b128 v[74:77], v79 offset:2064
	s_waitcnt vmcnt(13) lgkmcnt(1)
	v_mfma_f32_16x16x16bf16_1k v[42:45], v[38:39], v[46:47], v[42:45]
	v_mfma_f32_16x16x16bf16_1k v[38:41], v[40:41], v[48:49], v[42:45]
	s_waitcnt vmcnt(12) lgkmcnt(0)
	v_mfma_f32_16x16x16bf16_1k v[38:41], v[34:35], v[74:75], v[38:41]
	v_mfma_f32_16x16x16bf16_1k v[34:37], v[36:37], v[76:77], v[38:41]
	s_nop 7
	s_nop 1
	ds_read_b128 v[38:41], v79 offset:4096
	ds_read_b128 v[42:45], v79 offset:4112
	s_waitcnt vmcnt(11) lgkmcnt(1)
	v_mfma_f32_16x16x16bf16_1k v[34:37], v[30:31], v[38:39], v[34:37]
	v_mfma_f32_16x16x16bf16_1k v[30:33], v[32:33], v[40:41], v[34:37]
	s_waitcnt vmcnt(10) lgkmcnt(0)
	v_mfma_f32_16x16x16bf16_1k v[30:33], v[26:27], v[42:43], v[30:33]
	v_mfma_f32_16x16x16bf16_1k v[26:29], v[28:29], v[44:45], v[30:33]
	s_nop 7
	s_nop 1
	ds_read_b128 v[30:33], v79 offset:6144
	ds_read_b128 v[34:37], v79 offset:6160
	s_waitcnt lgkmcnt(0)
	s_barrier
	s_waitcnt vmcnt(9)
	v_mfma_f32_16x16x16bf16_1k v[26:29], v[22:23], v[30:31], v[26:29]
	v_mfma_f32_16x16x16bf16_1k v[22:25], v[24:25], v[32:33], v[26:29]
	s_waitcnt vmcnt(8)
	v_mfma_f32_16x16x16bf16_1k v[22:25], v[18:19], v[34:35], v[22:25]
	v_mfma_f32_16x16x16bf16_1k v[18:21], v[20:21], v[36:37], v[22:25]
	s_waitcnt vmcnt(7)
	v_mfma_f32_16x16x16bf16_1k v[22:25], v[6:7], v[70:71], 0
	v_mfma_f32_16x16x16bf16_1k v[6:9], v[8:9], v[72:73], v[22:25]
	s_waitcnt vmcnt(6)
	v_mfma_f32_16x16x16bf16_1k v[6:9], v[2:3], v[66:67], v[6:9]
	v_mfma_f32_16x16x16bf16_1k v[2:5], v[4:5], v[68:69], v[6:9]
	s_waitcnt vmcnt(5)
	v_mfma_f32_16x16x16bf16_1k v[2:5], v[14:15], v[46:47], v[2:5]
	s_nop 7
	v_bfe_u32 v6, v19, 16, 1
	v_bfe_u32 v7, v18, 16, 1
	v_add3_u32 v7, v18, v7, s10
	v_add3_u32 v6, v19, v6, s10
	v_perm_b32 v6, v6, v7, s11
	v_bfe_u32 v7, v21, 16, 1
	v_bfe_u32 v8, v20, 16, 1
	v_mfma_f32_16x16x16bf16_1k v[2:5], v[16:17], v[48:49], v[2:5]
	v_add3_u32 v8, v20, v8, s10
	v_add3_u32 v7, v21, v7, s10
	v_perm_b32 v7, v7, v8, s11
	s_waitcnt vmcnt(4)
	v_mfma_f32_16x16x16bf16_1k v[2:5], v[10:11], v[74:75], v[2:5]
	v_mfma_f32_16x16x16bf16_1k v[2:5], v[12:13], v[76:77], v[2:5]
	s_waitcnt vmcnt(3)
	v_mfma_f32_16x16x16bf16_1k v[2:5], v[54:55], v[38:39], v[2:5]
	v_mfma_f32_16x16x16bf16_1k v[2:5], v[56:57], v[40:41], v[2:5]
	;; [unrolled: 3-line block ×5, first 2 shown]
	s_nop 7
	s_nop 2
	v_bfe_u32 v8, v3, 16, 1
	v_bfe_u32 v9, v2, 16, 1
	v_add3_u32 v2, v2, v9, s10
	v_add3_u32 v3, v3, v8, s10
	v_perm_b32 v2, v3, v2, s11
	v_bfe_u32 v3, v5, 16, 1
	v_bfe_u32 v8, v4, 16, 1
	v_add3_u32 v4, v4, v8, s10
	v_add3_u32 v3, v5, v3, s10
	v_perm_b32 v3, v3, v4, s11
	ds_write2st64_b64 v78, v[6:7], v[2:3] offset1:1
	s_waitcnt lgkmcnt(0)
	s_barrier
	s_and_saveexec_b64 s[10:11], vcc
	s_cbranch_execz .LBB292_20
; %bb.18:
	v_lshlrev_b32_e32 v4, 6, v85
	v_lshlrev_b32_e32 v3, 4, v0
	v_lshl_or_b32 v0, v0, 10, v4
	v_lshlrev_b32_e32 v2, 5, v1
	v_and_b32_e32 v3, 16, v3
	v_and_b32_e32 v0, 0x1a00, v0
	v_or3_b32 v0, v0, v2, v3
	buffer_load_dword v2, off, s[44:47], 0  ; 4-byte Folded Reload
	s_load_dwordx2 s[10:11], s[4:5], 0x68
	s_lshl_b32 s4, s8, 7
	s_mul_i32 s2, s9, s6
	s_mul_hi_u32 s7, s2, s4
	s_mul_i32 s6, s2, s4
	s_lshl_b64 s[6:7], s[6:7], 1
	s_waitcnt lgkmcnt(0)
	s_add_u32 s5, s10, s6
	s_addc_u32 s6, s11, s7
	s_lshl_b32 s2, s26, 7
	s_lshl_b64 s[2:3], s[2:3], 1
	s_add_u32 s2, s5, s2
	s_addc_u32 s3, s6, s3
	ds_read_b128 v[4:7], v0
	v_add_u32_e32 v8, s27, v1
	v_mov_b32_e32 v3, s3
	s_waitcnt vmcnt(0)
	v_add_co_u32_e32 v2, vcc, s2, v2
	v_mad_u64_u32 v[8:9], s[2:3], v8, s4, 0
	v_addc_co_u32_e32 v3, vcc, 0, v3, vcc
	v_lshlrev_b64 v[8:9], 1, v[8:9]
	v_add_co_u32_e32 v8, vcc, v2, v8
	v_addc_co_u32_e32 v9, vcc, v3, v9, vcc
	s_waitcnt lgkmcnt(0)
	global_store_dwordx4 v[8:9], v[4:7], off
	s_and_b64 exec, exec, s[0:1]
	s_cbranch_execz .LBB292_20
; %bb.19:
	ds_read_b128 v[4:7], v0 offset:128
	v_add3_u32 v0, s27, v1, 4
	v_mad_u64_u32 v[0:1], s[0:1], v0, s4, 0
	v_lshlrev_b64 v[0:1], 1, v[0:1]
	v_add_co_u32_e32 v0, vcc, v2, v0
	v_addc_co_u32_e32 v1, vcc, v3, v1, vcc
	s_waitcnt lgkmcnt(0)
	global_store_dwordx4 v[0:1], v[4:7], off
.LBB292_20:
	s_endpgm
	.section	.rodata,"a",@progbits
	.p2align	6, 0x0
	.amdhsa_kernel _Z39paged_attention_ll4mi_QKV_mfma16_kernelI14__hip_bfloat16S0_LN4vllm18Fp8KVCacheDataTypeE0ES0_Li16ELi128ELi256ELb1ELi5EL8MFMAType0EEvPKT_PKT0_S9_ifPKiSB_SB_iPKfiiiPfSE_PS4_PT2_iSD_SD_
		.amdhsa_group_segment_fixed_size 8192
		.amdhsa_private_segment_fixed_size 8
		.amdhsa_kernarg_size 400
		.amdhsa_user_sgpr_count 6
		.amdhsa_user_sgpr_private_segment_buffer 1
		.amdhsa_user_sgpr_dispatch_ptr 0
		.amdhsa_user_sgpr_queue_ptr 0
		.amdhsa_user_sgpr_kernarg_segment_ptr 1
		.amdhsa_user_sgpr_dispatch_id 0
		.amdhsa_user_sgpr_flat_scratch_init 0
		.amdhsa_user_sgpr_kernarg_preload_length 0
		.amdhsa_user_sgpr_kernarg_preload_offset 0
		.amdhsa_user_sgpr_private_segment_size 0
		.amdhsa_uses_dynamic_stack 0
		.amdhsa_system_sgpr_private_segment_wavefront_offset 1
		.amdhsa_system_sgpr_workgroup_id_x 1
		.amdhsa_system_sgpr_workgroup_id_y 1
		.amdhsa_system_sgpr_workgroup_id_z 1
		.amdhsa_system_sgpr_workgroup_info 0
		.amdhsa_system_vgpr_workitem_id 0
		.amdhsa_next_free_vgpr 96
		.amdhsa_next_free_sgpr 48
		.amdhsa_accum_offset 96
		.amdhsa_reserve_vcc 1
		.amdhsa_reserve_flat_scratch 0
		.amdhsa_float_round_mode_32 0
		.amdhsa_float_round_mode_16_64 0
		.amdhsa_float_denorm_mode_32 3
		.amdhsa_float_denorm_mode_16_64 3
		.amdhsa_dx10_clamp 1
		.amdhsa_ieee_mode 1
		.amdhsa_fp16_overflow 0
		.amdhsa_tg_split 0
		.amdhsa_exception_fp_ieee_invalid_op 0
		.amdhsa_exception_fp_denorm_src 0
		.amdhsa_exception_fp_ieee_div_zero 0
		.amdhsa_exception_fp_ieee_overflow 0
		.amdhsa_exception_fp_ieee_underflow 0
		.amdhsa_exception_fp_ieee_inexact 0
		.amdhsa_exception_int_div_zero 0
	.end_amdhsa_kernel
	.section	.text._Z39paged_attention_ll4mi_QKV_mfma16_kernelI14__hip_bfloat16S0_LN4vllm18Fp8KVCacheDataTypeE0ES0_Li16ELi128ELi256ELb1ELi5EL8MFMAType0EEvPKT_PKT0_S9_ifPKiSB_SB_iPKfiiiPfSE_PS4_PT2_iSD_SD_,"axG",@progbits,_Z39paged_attention_ll4mi_QKV_mfma16_kernelI14__hip_bfloat16S0_LN4vllm18Fp8KVCacheDataTypeE0ES0_Li16ELi128ELi256ELb1ELi5EL8MFMAType0EEvPKT_PKT0_S9_ifPKiSB_SB_iPKfiiiPfSE_PS4_PT2_iSD_SD_,comdat
.Lfunc_end292:
	.size	_Z39paged_attention_ll4mi_QKV_mfma16_kernelI14__hip_bfloat16S0_LN4vllm18Fp8KVCacheDataTypeE0ES0_Li16ELi128ELi256ELb1ELi5EL8MFMAType0EEvPKT_PKT0_S9_ifPKiSB_SB_iPKfiiiPfSE_PS4_PT2_iSD_SD_, .Lfunc_end292-_Z39paged_attention_ll4mi_QKV_mfma16_kernelI14__hip_bfloat16S0_LN4vllm18Fp8KVCacheDataTypeE0ES0_Li16ELi128ELi256ELb1ELi5EL8MFMAType0EEvPKT_PKT0_S9_ifPKiSB_SB_iPKfiiiPfSE_PS4_PT2_iSD_SD_
                                        ; -- End function
	.section	.AMDGPU.csdata,"",@progbits
; Kernel info:
; codeLenInByte = 5200
; NumSgprs: 52
; NumVgprs: 96
; NumAgprs: 0
; TotalNumVgprs: 96
; ScratchSize: 8
; MemoryBound: 0
; FloatMode: 240
; IeeeMode: 1
; LDSByteSize: 8192 bytes/workgroup (compile time only)
; SGPRBlocks: 6
; VGPRBlocks: 11
; NumSGPRsForWavesPerEU: 52
; NumVGPRsForWavesPerEU: 96
; AccumOffset: 96
; Occupancy: 5
; WaveLimiterHint : 1
; COMPUTE_PGM_RSRC2:SCRATCH_EN: 1
; COMPUTE_PGM_RSRC2:USER_SGPR: 6
; COMPUTE_PGM_RSRC2:TRAP_HANDLER: 0
; COMPUTE_PGM_RSRC2:TGID_X_EN: 1
; COMPUTE_PGM_RSRC2:TGID_Y_EN: 1
; COMPUTE_PGM_RSRC2:TGID_Z_EN: 1
; COMPUTE_PGM_RSRC2:TIDIG_COMP_CNT: 0
; COMPUTE_PGM_RSRC3_GFX90A:ACCUM_OFFSET: 23
; COMPUTE_PGM_RSRC3_GFX90A:TG_SPLIT: 0
	.section	.text._Z39paged_attention_ll4mi_QKV_mfma16_kernelI14__hip_bfloat16S0_LN4vllm18Fp8KVCacheDataTypeE0ES0_Li16ELi128ELi256ELb1ELi6EL8MFMAType0EEvPKT_PKT0_S9_ifPKiSB_SB_iPKfiiiPfSE_PS4_PT2_iSD_SD_,"axG",@progbits,_Z39paged_attention_ll4mi_QKV_mfma16_kernelI14__hip_bfloat16S0_LN4vllm18Fp8KVCacheDataTypeE0ES0_Li16ELi128ELi256ELb1ELi6EL8MFMAType0EEvPKT_PKT0_S9_ifPKiSB_SB_iPKfiiiPfSE_PS4_PT2_iSD_SD_,comdat
	.protected	_Z39paged_attention_ll4mi_QKV_mfma16_kernelI14__hip_bfloat16S0_LN4vllm18Fp8KVCacheDataTypeE0ES0_Li16ELi128ELi256ELb1ELi6EL8MFMAType0EEvPKT_PKT0_S9_ifPKiSB_SB_iPKfiiiPfSE_PS4_PT2_iSD_SD_ ; -- Begin function _Z39paged_attention_ll4mi_QKV_mfma16_kernelI14__hip_bfloat16S0_LN4vllm18Fp8KVCacheDataTypeE0ES0_Li16ELi128ELi256ELb1ELi6EL8MFMAType0EEvPKT_PKT0_S9_ifPKiSB_SB_iPKfiiiPfSE_PS4_PT2_iSD_SD_
	.globl	_Z39paged_attention_ll4mi_QKV_mfma16_kernelI14__hip_bfloat16S0_LN4vllm18Fp8KVCacheDataTypeE0ES0_Li16ELi128ELi256ELb1ELi6EL8MFMAType0EEvPKT_PKT0_S9_ifPKiSB_SB_iPKfiiiPfSE_PS4_PT2_iSD_SD_
	.p2align	8
	.type	_Z39paged_attention_ll4mi_QKV_mfma16_kernelI14__hip_bfloat16S0_LN4vllm18Fp8KVCacheDataTypeE0ES0_Li16ELi128ELi256ELb1ELi6EL8MFMAType0EEvPKT_PKT0_S9_ifPKiSB_SB_iPKfiiiPfSE_PS4_PT2_iSD_SD_,@function
_Z39paged_attention_ll4mi_QKV_mfma16_kernelI14__hip_bfloat16S0_LN4vllm18Fp8KVCacheDataTypeE0ES0_Li16ELi128ELi256ELb1ELi6EL8MFMAType0EEvPKT_PKT0_S9_ifPKiSB_SB_iPKfiiiPfSE_PS4_PT2_iSD_SD_: ; @_Z39paged_attention_ll4mi_QKV_mfma16_kernelI14__hip_bfloat16S0_LN4vllm18Fp8KVCacheDataTypeE0ES0_Li16ELi128ELi256ELb1ELi6EL8MFMAType0EEvPKT_PKT0_S9_ifPKiSB_SB_iPKfiiiPfSE_PS4_PT2_iSD_SD_
; %bb.0:
	s_mov_b64 s[46:47], s[2:3]
	s_mov_b64 s[44:45], s[0:1]
	s_load_dwordx2 s[0:1], s[4:5], 0x30
	s_add_u32 s44, s44, s9
	s_addc_u32 s45, s45, 0
	s_mov_b32 s26, s7
	s_mov_b64 s[10:11], 0
	s_waitcnt lgkmcnt(0)
	s_cmp_lg_u64 s[0:1], 0
	s_cselect_b64 s[2:3], -1, 0
	s_and_b64 vcc, exec, s[2:3]
	s_cbranch_vccz .LBB293_7
; %bb.1:
	s_add_i32 s12, s6, 1
	s_mov_b32 s13, 0
	s_lshl_b64 s[14:15], s[12:13], 2
	s_add_u32 s14, s0, s14
	s_mov_b32 s7, s13
	s_addc_u32 s15, s1, s15
	s_lshl_b64 s[12:13], s[6:7], 2
	s_add_u32 s12, s0, s12
	s_addc_u32 s13, s1, s13
	s_load_dword s9, s[14:15], 0x0
	s_load_dword s16, s[12:13], 0x0
	s_waitcnt lgkmcnt(0)
	s_sub_i32 s9, s9, s16
	s_cmp_eq_u32 s9, 1
	s_cselect_b64 s[12:13], -1, 0
	s_andn2_b64 vcc, exec, s[10:11]
	s_cbranch_vccnz .LBB293_3
.LBB293_2:
	s_mov_b32 s7, 0
	s_mov_b64 s[12:13], -1
.LBB293_3:
	s_andn2_b64 vcc, exec, s[12:13]
	s_cbranch_vccnz .LBB293_20
; %bb.4:
	s_load_dwordx2 s[12:13], s[4:5], 0x28
	s_lshl_b64 s[10:11], s[6:7], 2
	s_waitcnt lgkmcnt(0)
	s_add_u32 s12, s12, s10
	s_addc_u32 s13, s13, s11
	s_load_dword s33, s[12:13], 0x0
	s_lshl_b32 s16, s26, 8
	s_waitcnt lgkmcnt(0)
	s_cmp_ge_i32 s16, s33
	s_cbranch_scc1 .LBB293_20
; %bb.5:
	s_add_i32 s14, s33, 15
	s_load_dwordx2 s[12:13], s[4:5], 0x20
	s_load_dword s9, s[4:5], 0x38
	s_ashr_i32 s15, s14, 31
	v_and_b32_e32 v1, 0xcf, v0
	s_lshr_b32 s15, s15, 28
	v_add_u32_e32 v1, s16, v1
	s_add_i32 s14, s14, s15
	v_ashrrev_i32_e32 v2, 31, v1
	s_ashr_i32 s19, s14, 4
	v_lshrrev_b32_e32 v4, 28, v2
	s_add_i32 s19, s19, -1
	v_add_u32_e32 v2, v1, v4
	s_waitcnt lgkmcnt(0)
	s_mul_i32 s14, s6, s9
	s_mov_b32 s15, 0
	v_ashrrev_i32_e32 v2, 4, v2
	v_mov_b32_e32 v5, s19
	v_cmp_gt_i32_e32 vcc, s33, v1
	s_lshl_b64 s[14:15], s[14:15], 2
	v_cndmask_b32_e32 v2, v5, v2, vcc
	s_add_u32 s17, s12, s14
	v_ashrrev_i32_e32 v3, 31, v2
	s_addc_u32 s18, s13, s15
	v_lshlrev_b64 v[2:3], 2, v[2:3]
	v_mov_b32_e32 v7, s18
	v_add_co_u32_e32 v6, vcc, s17, v2
	v_or_b32_e32 v2, 16, v1
	v_addc_co_u32_e32 v7, vcc, v7, v3, vcc
	v_add_u32_e32 v3, v2, v4
	v_ashrrev_i32_e32 v3, 4, v3
	v_cmp_gt_i32_e32 vcc, s33, v2
	v_cndmask_b32_e32 v2, v5, v3, vcc
	v_ashrrev_i32_e32 v3, 31, v2
	v_lshlrev_b64 v[2:3], 2, v[2:3]
	v_mov_b32_e32 v9, s18
	v_add_co_u32_e32 v8, vcc, s17, v2
	v_or_b32_e32 v2, 32, v1
	v_addc_co_u32_e32 v9, vcc, v9, v3, vcc
	v_add_u32_e32 v3, v2, v4
	v_ashrrev_i32_e32 v3, 4, v3
	v_cmp_gt_i32_e32 vcc, s33, v2
	v_cndmask_b32_e32 v2, v5, v3, vcc
	v_ashrrev_i32_e32 v3, 31, v2
	;; [unrolled: 10-line block ×3, first 2 shown]
	v_lshlrev_b64 v[2:3], 2, v[2:3]
	v_mov_b32_e32 v1, s18
	v_add_co_u32_e32 v12, vcc, s17, v2
	v_addc_co_u32_e32 v13, vcc, v1, v3, vcc
	global_load_dword v5, v[6:7], off
	global_load_dword v4, v[8:9], off
	;; [unrolled: 1-line block ×4, first 2 shown]
	s_load_dwordx2 s[12:13], s[4:5], 0x8
	s_andn2_b64 vcc, exec, s[2:3]
	s_cbranch_vccnz .LBB293_8
; %bb.6:
	s_add_u32 s0, s0, s10
	s_addc_u32 s1, s1, s11
	s_load_dword s9, s[0:1], 0x0
	s_branch .LBB293_9
.LBB293_7:
	s_mov_b64 s[12:13], 0
	s_branch .LBB293_2
.LBB293_8:
	s_mov_b32 s9, s6
.LBB293_9:
	s_load_dwordx2 s[10:11], s[4:5], 0x10
	s_load_dwordx4 s[0:3], s[4:5], 0x48
	v_lshrrev_b32_e32 v87, 6, v0
	v_bfe_u32 v1, v0, 4, 2
	v_and_b32_e32 v85, 15, v0
	v_lshl_or_b32 v6, v87, 2, v1
	v_lshlrev_b32_e32 v7, 3, v85
	s_mul_i32 s27, s8, 6
	v_cmp_gt_u32_e32 vcc, 6, v6
	v_lshlrev_b32_e32 v7, 1, v7
	buffer_store_dword v7, off, s[44:47], 0 ; 4-byte Folded Spill
	s_and_saveexec_b64 s[14:15], vcc
	s_cbranch_execz .LBB293_11
; %bb.10:
	s_load_dwordx2 s[20:21], s[4:5], 0x0
	s_waitcnt lgkmcnt(0)
	s_ashr_i32 s3, s0, 31
	s_mul_hi_u32 s22, s9, s0
	s_mul_i32 s3, s9, s3
	s_add_i32 s23, s22, s3
	s_mul_i32 s22, s9, s0
	s_lshl_b64 s[22:23], s[22:23], 1
	v_add_lshl_u32 v8, v6, s27, 7
	s_add_u32 s0, s20, s22
	v_ashrrev_i32_e32 v9, 31, v8
	s_addc_u32 s3, s21, s23
	v_lshlrev_b64 v[8:9], 1, v[8:9]
	v_mov_b32_e32 v7, s3
	v_add_co_u32_e32 v8, vcc, s0, v8
	v_addc_co_u32_e32 v7, vcc, v7, v9, vcc
	buffer_load_dword v9, off, s[44:47], 0  ; 4-byte Folded Reload
	v_lshlrev_b32_e32 v12, 9, v85
	v_lshlrev_b32_e32 v6, 5, v6
	v_and_b32_e32 v12, 0x1800, v12
	s_waitcnt vmcnt(0)
	v_add_co_u32_e32 v8, vcc, v8, v9
	v_addc_co_u32_e32 v9, vcc, 0, v7, vcc
	global_load_dwordx4 v[8:11], v[8:9], off
	v_and_b32_e32 v7, 3, v0
	v_lshlrev_b32_e32 v7, 9, v7
	v_or3_b32 v6, v12, v7, v6
	s_waitcnt vmcnt(0)
	ds_write_b128 v6, v[8:11]
.LBB293_11:
	s_or_b64 exec, exec, s[14:15]
	s_waitcnt lgkmcnt(0)
	s_mul_i32 s2, s8, s2
	s_mov_b32 s3, 0
	s_lshl_b64 s[2:3], s[2:3], 1
	s_add_u32 s0, s12, s2
	v_lshlrev_b32_e32 v10, 4, v0
	s_addc_u32 s8, s13, s3
	v_and_b32_e32 v6, 0xf0, v10
	v_mov_b32_e32 v7, s8
	v_add_co_u32_e32 v8, vcc, s0, v6
	v_addc_co_u32_e32 v9, vcc, 0, v7, vcc
	s_waitcnt vmcnt(4)
	v_mad_i64_i32 v[6:7], s[8:9], v5, s1, 0
	v_lshlrev_b64 v[6:7], 1, v[6:7]
	v_add_co_u32_e32 v5, vcc, v8, v6
	v_addc_co_u32_e32 v7, vcc, v9, v7, vcc
	v_and_b32_e32 v10, 0x300, v10
	v_add_co_u32_e32 v6, vcc, v5, v10
	s_waitcnt vmcnt(3)
	v_mad_i64_i32 v[4:5], s[8:9], v4, s1, 0
	v_addc_co_u32_e32 v7, vcc, 0, v7, vcc
	v_lshlrev_b64 v[4:5], 1, v[4:5]
	v_add_co_u32_e32 v4, vcc, v8, v4
	v_addc_co_u32_e32 v5, vcc, v9, v5, vcc
	v_add_co_u32_e32 v4, vcc, v4, v10
	v_addc_co_u32_e32 v5, vcc, 0, v5, vcc
	s_barrier
	global_load_dwordx4 v[74:77], v[6:7], off
	global_load_dwordx4 v[66:69], v[6:7], off offset:1024
	global_load_dwordx4 v[58:61], v[6:7], off offset:2048
	;; [unrolled: 1-line block ×3, first 2 shown]
	global_load_dwordx4 v[78:81], v[4:5], off
	global_load_dwordx4 v[70:73], v[4:5], off offset:1024
	global_load_dwordx4 v[62:65], v[4:5], off offset:2048
	global_load_dwordx4 v[46:49], v[4:5], off offset:3072
	s_waitcnt vmcnt(10)
	v_mad_i64_i32 v[4:5], s[8:9], v3, s1, 0
	v_lshlrev_b64 v[4:5], 1, v[4:5]
	v_add_co_u32_e32 v3, vcc, v8, v4
	v_addc_co_u32_e32 v5, vcc, v9, v5, vcc
	v_add_co_u32_e32 v4, vcc, v3, v10
	s_waitcnt vmcnt(9)
	v_mad_i64_i32 v[2:3], s[8:9], v2, s1, 0
	v_addc_co_u32_e32 v5, vcc, 0, v5, vcc
	v_lshlrev_b64 v[2:3], 1, v[2:3]
	v_add_co_u32_e32 v2, vcc, v8, v2
	v_addc_co_u32_e32 v3, vcc, v9, v3, vcc
	v_add_co_u32_e32 v6, vcc, v2, v10
	v_addc_co_u32_e32 v7, vcc, 0, v3, vcc
	global_load_dwordx4 v[38:41], v[4:5], off
	global_load_dwordx4 v[34:37], v[4:5], off offset:1024
	global_load_dwordx4 v[30:33], v[4:5], off offset:2048
	;; [unrolled: 1-line block ×3, first 2 shown]
	global_load_dwordx4 v[18:21], v[6:7], off
	global_load_dwordx4 v[10:13], v[6:7], off offset:1024
	s_nop 0
	global_load_dwordx4 v[2:5], v[6:7], off offset:2048
	global_load_dwordx4 v[50:53], v[6:7], off offset:3072
	v_mul_lo_u16_e32 v6, 43, v85
	v_mov_b32_e32 v7, 6
	v_mul_lo_u16_sdwa v6, v6, v7 dst_sel:DWORD dst_unused:UNUSED_PAD src0_sel:BYTE_1 src1_sel:DWORD
	v_sub_u16_e32 v6, v85, v6
	v_mov_b32_e32 v7, 5
	v_lshlrev_b32_sdwa v6, v7, v6 dst_sel:DWORD dst_unused:UNUSED_PAD src0_sel:DWORD src1_sel:BYTE_0
	v_lshl_add_u32 v54, v1, 9, v6
	ds_read_b128 v[26:29], v54
	ds_read_b128 v[14:17], v54 offset:2048
	ds_read_b128 v[6:9], v54 offset:4096
	;; [unrolled: 1-line block ×3, first 2 shown]
	v_and_b32_e32 v88, 63, v0
	v_cmp_gt_u32_e32 vcc, 6, v85
	v_mov_b32_e32 v89, 0
	s_and_saveexec_b64 s[8:9], vcc
	s_cbranch_execz .LBB293_13
; %bb.12:
	s_load_dwordx2 s[12:13], s[4:5], 0x40
	v_add_u32_e32 v82, s27, v85
	v_ashrrev_i32_e32 v83, 31, v82
	v_lshlrev_b64 v[82:83], 2, v[82:83]
	s_waitcnt lgkmcnt(0)
	v_mov_b32_e32 v89, s13
	v_add_co_u32_e32 v82, vcc, s12, v82
	v_addc_co_u32_e32 v83, vcc, v89, v83, vcc
	global_load_dword v89, v[82:83], off
.LBB293_13:
	s_or_b64 exec, exec, s[8:9]
	s_waitcnt vmcnt(15) lgkmcnt(3)
	v_mfma_f32_16x16x16bf16_1k v[90:93], v[74:75], v[26:27], 0
	s_add_u32 s8, s10, s2
	s_addc_u32 s9, s11, s3
	s_load_dword s0, s[4:5], 0x1c
	s_mov_b32 s40, 0xff7fffff
	v_mfma_f32_16x16x16bf16_1k v[74:77], v[76:77], v[28:29], v[90:93]
	s_waitcnt vmcnt(14) lgkmcnt(0)
	v_mfma_f32_16x16x16bf16_1k v[74:77], v[66:67], v[14:15], v[74:77]
	s_nop 4
	v_lshl_or_b32 v90, v87, 4, v85
	v_mfma_f32_16x16x16bf16_1k v[66:69], v[68:69], v[16:17], v[74:77]
	s_waitcnt vmcnt(13)
	v_mfma_f32_16x16x16bf16_1k v[66:69], v[58:59], v[6:7], v[66:69]
	s_nop 4
	v_lshlrev_b32_e32 v76, 5, v90
	v_mfma_f32_16x16x16bf16_1k v[58:61], v[60:61], v[8:9], v[66:69]
	s_waitcnt vmcnt(12)
	v_mfma_f32_16x16x16bf16_1k v[58:61], v[42:43], v[54:55], v[58:61]
	s_nop 4
	v_mov_b32_e32 v66, s18
	v_mfma_f32_16x16x16bf16_1k v[58:61], v[44:45], v[56:57], v[58:61]
	s_waitcnt vmcnt(11)
	v_mfma_f32_16x16x16bf16_1k v[42:45], v[78:79], v[26:27], 0
	s_nop 7
	s_nop 0
	v_pk_mul_f32 v[58:59], s[0:1], v[58:59] op_sel_hi:[0,1]
	v_mfma_f32_16x16x16bf16_1k v[42:45], v[80:81], v[28:29], v[42:45]
	s_waitcnt vmcnt(10)
	v_mfma_f32_16x16x16bf16_1k v[42:45], v[70:71], v[14:15], v[42:45]
	v_mfma_f32_16x16x16bf16_1k v[42:45], v[72:73], v[16:17], v[42:45]
	s_waitcnt vmcnt(9)
	v_mfma_f32_16x16x16bf16_1k v[42:45], v[62:63], v[6:7], v[42:45]
	;; [unrolled: 3-line block ×3, first 2 shown]
	v_mfma_f32_16x16x16bf16_1k v[62:65], v[48:49], v[56:57], v[42:45]
	v_and_or_b32 v48, v0, 48, s16
	v_mov_b32_e32 v49, s19
	v_cmp_gt_i32_e32 vcc, s33, v48
	s_waitcnt vmcnt(7)
	v_mfma_f32_16x16x16bf16_1k v[42:45], v[38:39], v[26:27], 0
	v_ashrrev_i32_e32 v38, 4, v48
	v_cndmask_b32_e32 v38, v49, v38, vcc
	v_ashrrev_i32_e32 v39, 31, v38
	v_lshlrev_b64 v[46:47], 2, v[38:39]
	v_mfma_f32_16x16x16bf16_1k v[38:41], v[40:41], v[28:29], v[42:45]
	s_nop 6
	v_add_co_u32_e32 v42, vcc, s17, v46
	v_addc_co_u32_e32 v43, vcc, v66, v47, vcc
	global_load_dword v44, v[42:43], off
	v_or_b32_e32 v42, 64, v48
	v_ashrrev_i32_e32 v43, 4, v42
	v_cmp_gt_i32_e32 vcc, s33, v42
	v_cndmask_b32_e32 v42, v49, v43, vcc
	s_waitcnt vmcnt(7)
	v_mfma_f32_16x16x16bf16_1k v[38:41], v[34:35], v[14:15], v[38:41]
	v_ashrrev_i32_e32 v43, 31, v42
	v_lshlrev_b64 v[34:35], 2, v[42:43]
	v_mov_b32_e32 v42, s18
	v_add_co_u32_e32 v34, vcc, s17, v34
	v_addc_co_u32_e32 v35, vcc, v42, v35, vcc
	global_load_dword v72, v[34:35], off
	v_mfma_f32_16x16x16bf16_1k v[34:37], v[36:37], v[16:17], v[38:41]
	s_nop 6
	v_or_b32_e32 v38, 0x80, v48
	v_ashrrev_i32_e32 v39, 4, v38
	v_cmp_gt_i32_e32 vcc, s33, v38
	v_cndmask_b32_e32 v38, v49, v39, vcc
	v_ashrrev_i32_e32 v39, 31, v38
	v_lshlrev_b64 v[38:39], 2, v[38:39]
	v_mov_b32_e32 v40, s18
	s_waitcnt vmcnt(7)
	v_mfma_f32_16x16x16bf16_1k v[34:37], v[30:31], v[6:7], v[34:37]
	v_add_co_u32_e32 v30, vcc, s17, v38
	v_addc_co_u32_e32 v31, vcc, v40, v39, vcc
	global_load_dword v74, v[30:31], off
	v_or_b32_e32 v30, 0xc0, v48
	v_ashrrev_i32_e32 v31, 4, v30
	v_cmp_gt_i32_e32 vcc, s33, v30
	v_cndmask_b32_e32 v38, v49, v31, vcc
	v_ashrrev_i32_e32 v39, 31, v38
	v_mfma_f32_16x16x16bf16_1k v[30:33], v[32:33], v[8:9], v[34:37]
	s_nop 6
	v_lshlrev_b64 v[34:35], 2, v[38:39]
	v_mov_b32_e32 v36, s18
	v_add_co_u32_e32 v34, vcc, s17, v34
	v_addc_co_u32_e32 v35, vcc, v36, v35, vcc
	global_load_dword v75, v[34:35], off
	s_waitcnt vmcnt(8)
	v_mfma_f32_16x16x16bf16_1k v[30:33], v[22:23], v[54:55], v[30:33]
	v_mov_b32_e32 v22, s9
	v_add_co_u32_e32 v77, vcc, s8, v76
	v_addc_co_u32_e32 v78, vcc, 0, v22, vcc
	s_waitcnt vmcnt(3)
	v_mad_i64_i32 v[22:23], s[2:3], v44, s1, 0
	v_mfma_f32_16x16x16bf16_1k v[66:69], v[24:25], v[56:57], v[30:33]
	v_lshlrev_b64 v[70:71], 1, v[22:23]
	v_mfma_f32_16x16x16bf16_1k v[22:25], v[18:19], v[26:27], 0
	v_add_co_u32_e32 v18, vcc, v77, v70
	v_addc_co_u32_e32 v19, vcc, v78, v71, vcc
	global_load_dwordx4 v[46:49], v[18:19], off
	global_load_dwordx4 v[42:45], v[18:19], off offset:16
	s_waitcnt vmcnt(4)
	v_mad_i64_i32 v[18:19], s[2:3], v72, s1, 0
	v_lshlrev_b64 v[72:73], 1, v[18:19]
	v_mfma_f32_16x16x16bf16_1k v[18:21], v[20:21], v[28:29], v[22:25]
	v_mfma_f32_16x16x16bf16_1k v[18:21], v[10:11], v[14:15], v[18:21]
	s_nop 5
	v_add_co_u32_e32 v22, vcc, v77, v72
	v_addc_co_u32_e32 v23, vcc, v78, v73, vcc
	global_load_dwordx4 v[38:41], v[22:23], off
	global_load_dwordx4 v[34:37], v[22:23], off offset:16
	s_waitcnt vmcnt(5)
	v_mad_i64_i32 v[22:23], s[2:3], v74, s1, 0
	v_lshlrev_b64 v[82:83], 1, v[22:23]
	v_add_co_u32_e32 v10, vcc, v77, v82
	v_addc_co_u32_e32 v11, vcc, v78, v83, vcc
	global_load_dwordx4 v[30:33], v[10:11], off
	global_load_dwordx4 v[26:29], v[10:11], off offset:16
	v_mfma_f32_16x16x16bf16_1k v[10:13], v[12:13], v[16:17], v[18:21]
	s_waitcnt vmcnt(6)
	v_mad_i64_i32 v[14:15], s[2:3], v75, s1, 0
	v_mfma_f32_16x16x16bf16_1k v[10:13], v[2:3], v[6:7], v[10:13]
	v_lshlrev_b64 v[80:81], 1, v[14:15]
	v_add_co_u32_e32 v14, vcc, v77, v80
	v_addc_co_u32_e32 v15, vcc, v78, v81, vcc
	v_or_b32_e32 v2, 0x800, v76
	v_mov_b32_e32 v3, s9
	v_mfma_f32_16x16x16bf16_1k v[10:13], v[4:5], v[8:9], v[10:13]
	v_add_co_u32_e32 v91, vcc, s8, v2
	v_addc_co_u32_e32 v84, vcc, 0, v3, vcc
	v_add_co_u32_e32 v2, vcc, v91, v70
	v_addc_co_u32_e32 v3, vcc, v84, v71, vcc
	v_mfma_f32_16x16x16bf16_1k v[92:95], v[50:51], v[54:55], v[10:13]
	v_add_co_u32_e32 v70, vcc, v91, v72
	v_addc_co_u32_e32 v71, vcc, v84, v73, vcc
	global_load_dwordx4 v[22:25], v[14:15], off
	global_load_dwordx4 v[18:21], v[14:15], off offset:16
	global_load_dwordx4 v[6:9], v[2:3], off
	s_nop 0
	global_load_dwordx4 v[2:5], v[2:3], off offset:16
	s_nop 0
	global_load_dwordx4 v[14:17], v[70:71], off
	global_load_dwordx4 v[10:13], v[70:71], off offset:16
	v_mfma_f32_16x16x16bf16_1k v[50:53], v[52:53], v[56:57], v[92:95]
	v_pk_mul_f32 v[70:71], s[0:1], v[68:69] op_sel_hi:[0,1]
	v_pk_mul_f32 v[72:73], s[0:1], v[66:67] op_sel_hi:[0,1]
	;; [unrolled: 1-line block ×5, first 2 shown]
	s_nop 5
	v_pk_mul_f32 v[68:69], s[0:1], v[50:51] op_sel_hi:[0,1]
	v_and_b32_e32 v50, 0xc0, v0
	v_add_u32_e32 v50, s16, v50
	v_lshl_or_b32 v50, v1, 2, v50
	v_or_b32_e32 v51, 1, v50
	v_pk_mul_f32 v[66:67], s[0:1], v[52:53] op_sel_hi:[0,1]
	v_subrev_u32_e32 v52, s33, v51
	v_add_u32_e32 v54, 1, v52
	v_add_u32_e32 v55, 2, v52
	v_cvt_f32_i32_e32 v53, v52
	v_cvt_f32_i32_e32 v54, v54
	;; [unrolled: 1-line block ×3, first 2 shown]
	v_add_u32_e32 v56, 3, v52
	v_fma_f32 v58, v89, v53, v58
	v_fmac_f32_e32 v59, v89, v54
	v_fma_f32 v78, v89, v55, v78
	v_add_u32_e32 v53, 16, v52
	v_add_u32_e32 v54, 17, v52
	;; [unrolled: 1-line block ×3, first 2 shown]
	v_cvt_f32_i32_e32 v56, v56
	v_cvt_f32_i32_e32 v53, v53
	;; [unrolled: 1-line block ×4, first 2 shown]
	v_fmac_f32_e32 v79, v89, v56
	v_add_u32_e32 v56, 19, v52
	v_fma_f32 v76, v89, v53, v76
	v_fmac_f32_e32 v77, v89, v54
	v_fma_f32 v74, v89, v55, v74
	v_add_u32_e32 v53, 32, v52
	v_add_u32_e32 v54, 33, v52
	;; [unrolled: 1-line block ×3, first 2 shown]
	v_cvt_f32_i32_e32 v56, v56
	v_cvt_f32_i32_e32 v53, v53
	v_cvt_f32_i32_e32 v54, v54
	v_cvt_f32_i32_e32 v55, v55
	v_fmac_f32_e32 v75, v89, v56
	v_add_u32_e32 v56, 35, v52
	v_fma_f32 v72, v89, v53, v72
	v_fmac_f32_e32 v73, v89, v54
	v_fma_f32 v70, v89, v55, v70
	v_add_u32_e32 v53, 48, v52
	v_add_u32_e32 v54, 49, v52
	;; [unrolled: 1-line block ×4, first 2 shown]
	v_cvt_f32_i32_e32 v52, v52
	v_cvt_f32_i32_e32 v53, v53
	;; [unrolled: 1-line block ×3, first 2 shown]
	v_cmp_gt_i32_e64 s[28:29], s33, v50
	v_fmac_f32_e32 v67, v89, v52
	v_mov_b32_e32 v52, 0xff7fffff
	v_cmp_gt_i32_e64 s[30:31], s33, v51
	v_fma_f32 v68, v89, v53, v68
	v_cndmask_b32_e64 v53, v52, v58, s[28:29]
	v_cndmask_b32_e64 v51, v52, v59, s[30:31]
	v_fmac_f32_e32 v69, v89, v54
	v_max3_f32 v51, v53, s40, v51
	v_or_b32_e32 v53, 2, v50
	v_or_b32_e32 v54, 3, v50
	v_cmp_gt_i32_e64 s[34:35], s33, v53
	v_cmp_gt_i32_e64 s[36:37], s33, v54
	v_cndmask_b32_e64 v53, v52, v78, s[34:35]
	v_cndmask_b32_e64 v54, v52, v79, s[36:37]
	v_max3_f32 v51, v51, v53, v54
	v_or_b32_e32 v53, 16, v50
	v_or_b32_e32 v54, 17, v50
	v_cmp_gt_i32_e64 s[22:23], s33, v53
	v_cmp_gt_i32_e64 s[24:25], s33, v54
	v_cndmask_b32_e64 v53, v52, v76, s[22:23]
	v_cndmask_b32_e64 v54, v52, v77, s[24:25]
	v_max3_f32 v51, v51, v53, v54
	v_or_b32_e32 v53, 18, v50
	v_or_b32_e32 v54, 19, v50
	v_cmp_gt_i32_e64 s[18:19], s33, v53
	v_cmp_gt_i32_e64 s[20:21], s33, v54
	v_cndmask_b32_e64 v53, v52, v74, s[18:19]
	v_cndmask_b32_e64 v54, v52, v75, s[20:21]
	v_cvt_f32_i32_e32 v56, v56
	v_max3_f32 v51, v51, v53, v54
	v_or_b32_e32 v53, 32, v50
	v_or_b32_e32 v54, 33, v50
	v_cmp_gt_i32_e64 s[14:15], s33, v53
	v_cmp_gt_i32_e64 s[16:17], s33, v54
	v_cndmask_b32_e64 v53, v52, v72, s[14:15]
	v_cndmask_b32_e64 v54, v52, v73, s[16:17]
	v_max3_f32 v51, v51, v53, v54
	v_or_b32_e32 v53, 34, v50
	v_or_b32_e32 v54, 35, v50
	v_fmac_f32_e32 v71, v89, v56
	v_cmp_gt_i32_e64 s[10:11], s33, v53
	v_cmp_gt_i32_e64 s[12:13], s33, v54
	v_cndmask_b32_e64 v53, v52, v70, s[10:11]
	v_cndmask_b32_e64 v54, v52, v71, s[12:13]
	v_cvt_f32_i32_e32 v55, v55
	v_max3_f32 v51, v51, v53, v54
	v_or_b32_e32 v53, 48, v50
	v_or_b32_e32 v54, 49, v50
	v_cmp_gt_i32_e64 s[2:3], s33, v53
	v_cmp_gt_i32_e64 s[8:9], s33, v54
	v_cndmask_b32_e64 v53, v52, v68, s[2:3]
	v_cndmask_b32_e64 v54, v52, v69, s[8:9]
	v_max3_f32 v51, v51, v53, v54
	v_or_b32_e32 v53, 50, v50
	v_or_b32_e32 v50, 51, v50
	v_fma_f32 v66, v89, v55, v66
	v_cmp_gt_i32_e32 vcc, s33, v53
	v_cmp_gt_i32_e64 s[0:1], s33, v50
	v_cndmask_b32_e32 v53, v52, v66, vcc
	v_cndmask_b32_e64 v50, v52, v67, s[0:1]
	v_max3_f32 v60, v51, v53, v50
	v_mbcnt_lo_u32_b32 v50, -1, 0
	v_mbcnt_hi_u32_b32 v61, -1, v50
	v_and_b32_e32 v50, 64, v61
	v_add_u32_e32 v62, 64, v50
	v_xor_b32_e32 v50, 32, v61
	v_cmp_lt_i32_e64 s[38:39], v50, v62
	v_cndmask_b32_e64 v50, v61, v50, s[38:39]
	v_lshlrev_b32_e32 v89, 2, v50
	ds_bpermute_b32 v63, v89, v60
	v_add_co_u32_e64 v50, s[38:39], v91, v82
	v_addc_co_u32_e64 v51, s[38:39], v84, v83, s[38:39]
	s_waitcnt lgkmcnt(0)
	v_max_f32_e32 v63, v63, v63
	v_max_f32_e32 v63, v60, v63
	v_xor_b32_e32 v60, 16, v61
	v_cmp_lt_i32_e64 s[38:39], v60, v62
	v_cndmask_b32_e64 v60, v61, v60, s[38:39]
	v_lshlrev_b32_e32 v92, 2, v60
	ds_bpermute_b32 v62, v92, v63
	v_add_co_u32_e64 v60, s[38:39], v91, v80
	v_addc_co_u32_e64 v61, s[38:39], v84, v81, s[38:39]
	s_waitcnt lgkmcnt(0)
	v_max_f32_e32 v62, v62, v62
	v_max_f32_e32 v82, v63, v62
	v_sub_f32_e32 v58, v58, v82
	v_mul_f32_e32 v58, 0x3fb8aa3b, v58
	v_exp_f32_e32 v80, v58
	v_sub_f32_e32 v58, v59, v82
	v_mul_f32_e32 v58, 0x3fb8aa3b, v58
	global_load_dwordx4 v[54:57], v[50:51], off
	s_nop 0
	global_load_dwordx4 v[50:53], v[50:51], off offset:16
	v_exp_f32_e32 v81, v58
	global_load_dwordx4 v[62:65], v[60:61], off
	s_nop 0
	global_load_dwordx4 v[58:61], v[60:61], off offset:16
	v_sub_f32_e32 v78, v78, v82
	v_mul_f32_e32 v78, 0x3fb8aa3b, v78
	v_sub_f32_e32 v79, v79, v82
	v_exp_f32_e32 v78, v78
	v_mul_f32_e32 v79, 0x3fb8aa3b, v79
	v_sub_f32_e32 v76, v76, v82
	v_exp_f32_e32 v79, v79
	v_mul_f32_e32 v76, 0x3fb8aa3b, v76
	v_sub_f32_e32 v77, v77, v82
	v_cndmask_b32_e64 v80, 0, v80, s[28:29]
	v_exp_f32_e32 v76, v76
	v_mul_f32_e32 v77, 0x3fb8aa3b, v77
	v_sub_f32_e32 v74, v74, v82
	v_add_f32_e32 v83, 0, v80
	v_cndmask_b32_e64 v81, 0, v81, s[30:31]
	v_exp_f32_e32 v77, v77
	v_mul_f32_e32 v74, 0x3fb8aa3b, v74
	v_sub_f32_e32 v75, v75, v82
	v_add_f32_e32 v83, v83, v81
	;; [unrolled: 5-line block ×10, first 2 shown]
	v_cndmask_b32_e64 v70, 0, v70, s[10:11]
	v_exp_f32_e32 v66, v66
	v_mul_f32_e32 v67, 0x3fb8aa3b, v67
	v_add_f32_e32 v83, v83, v70
	v_cndmask_b32_e64 v71, 0, v71, s[12:13]
	v_exp_f32_e32 v67, v67
	v_add_f32_e32 v83, v83, v71
	v_cndmask_b32_e64 v68, 0, v68, s[2:3]
	v_add_f32_e32 v83, v83, v68
	v_cndmask_b32_e64 v69, 0, v69, s[8:9]
	v_add_f32_e32 v83, v83, v69
	v_cndmask_b32_e32 v66, 0, v66, vcc
	v_add_f32_e32 v83, v83, v66
	v_cndmask_b32_e64 v67, 0, v67, s[0:1]
	v_add_f32_e32 v83, v83, v67
	ds_bpermute_b32 v84, v89, v83
	s_load_dword s3, s[4:5], 0x98
	v_cmp_gt_u32_e32 vcc, 16, v88
	s_waitcnt lgkmcnt(0)
	s_barrier
	v_add_f32_e32 v83, v83, v84
	ds_bpermute_b32 v89, v92, v83
	s_waitcnt lgkmcnt(0)
	s_and_saveexec_b64 s[0:1], vcc
	s_cbranch_execz .LBB293_15
; %bb.14:
	v_add_f32_e32 v83, v83, v89
	v_lshlrev_b32_e32 v84, 2, v90
	ds_write2st64_b32 v84, v82, v83 offset1:1
.LBB293_15:
	s_or_b64 exec, exec, s[0:1]
	v_lshlrev_b32_e32 v83, 2, v85
	s_load_dword s2, s[4:5], 0x94
	s_waitcnt lgkmcnt(0)
	s_barrier
	ds_read2_b32 v[88:89], v83 offset1:16
	ds_read2_b32 v[90:91], v83 offset0:32 offset1:48
	ds_read2_b32 v[92:93], v83 offset0:64 offset1:80
	s_movk_i32 s8, 0x7fff
	s_mov_b32 s9, 0x7060302
	s_waitcnt lgkmcnt(2)
	v_max3_f32 v82, v88, s40, v89
	s_waitcnt lgkmcnt(1)
	v_max3_f32 v82, v82, v90, v91
	v_sub_f32_e32 v84, v88, v82
	v_sub_f32_e32 v88, v89, v82
	v_mul_f32_e32 v88, 0x3fb8aa3b, v88
	v_mul_f32_e32 v84, 0x3fb8aa3b, v84
	v_exp_f32_e32 v94, v88
	v_sub_f32_e32 v88, v90, v82
	v_exp_f32_e32 v84, v84
	v_mul_f32_e32 v88, 0x3fb8aa3b, v88
	v_exp_f32_e32 v90, v88
	ds_read2_b32 v[88:89], v83 offset0:96 offset1:112
	v_sub_f32_e32 v83, v91, v82
	v_mul_f32_e32 v83, 0x3fb8aa3b, v83
	v_exp_f32_e32 v91, v83
	s_waitcnt lgkmcnt(1)
	v_fma_f32 v83, v84, v92, 0
	v_fmac_f32_e32 v83, v94, v93
	s_waitcnt lgkmcnt(0)
	v_fmac_f32_e32 v83, v90, v88
	v_fmac_f32_e32 v83, v91, v89
	v_add_f32_e32 v88, 0x358637bd, v83
	v_div_scale_f32 v89, s[0:1], v88, v88, 1.0
	v_rcp_f32_e32 v92, v89
	s_mul_i32 s3, s3, 6
	s_barrier
	v_fma_f32 v93, -v89, v92, 1.0
	v_fmac_f32_e32 v92, v93, v92
	v_div_scale_f32 v93, vcc, 1.0, v88, 1.0
	v_mul_f32_e32 v95, v93, v92
	v_fma_f32 v86, -v89, v95, v93
	v_fmac_f32_e32 v95, v86, v92
	v_fma_f32 v86, -v89, v95, v93
	v_div_fmas_f32 v86, v86, v92, v95
	v_cmp_eq_u32_e32 vcc, 1, v87
	v_cndmask_b32_e32 v84, v84, v94, vcc
	v_cmp_eq_u32_e32 vcc, 2, v87
	v_cndmask_b32_e32 v84, v84, v90, vcc
	v_cmp_eq_u32_e32 vcc, 3, v87
	v_div_fixup_f32 v86, v86, v88, 1.0
	v_cndmask_b32_e32 v84, v84, v91, vcc
	v_mul_f32_e32 v88, v84, v86
	v_pk_mul_f32 v[80:81], v[88:89], v[80:81] op_sel_hi:[0,1]
	v_bfe_u32 v84, v81, 16, 1
	v_bfe_u32 v86, v80, 16, 1
	v_pk_mul_f32 v[78:79], v[88:89], v[78:79] op_sel_hi:[0,1]
	v_add3_u32 v80, v80, v86, s8
	v_add3_u32 v81, v81, v84, s8
	v_perm_b32 v80, v81, v80, s9
	v_bfe_u32 v81, v79, 16, 1
	v_bfe_u32 v84, v78, 16, 1
	v_add3_u32 v78, v78, v84, s8
	v_add3_u32 v79, v79, v81, s8
	v_perm_b32 v81, v79, v78, s9
	v_lshlrev_b32_e32 v78, 3, v1
	v_lshlrev_b32_e32 v79, 5, v85
	;; [unrolled: 1-line block ×3, first 2 shown]
	v_pk_mul_f32 v[76:77], v[88:89], v[76:77] op_sel_hi:[0,1]
	v_or3_b32 v78, v84, v79, v78
	v_bfe_u32 v84, v77, 16, 1
	v_bfe_u32 v86, v76, 16, 1
	v_pk_mul_f32 v[74:75], v[88:89], v[74:75] op_sel_hi:[0,1]
	v_add3_u32 v76, v76, v86, s8
	v_add3_u32 v77, v77, v84, s8
	v_perm_b32 v76, v77, v76, s9
	v_bfe_u32 v77, v75, 16, 1
	v_bfe_u32 v84, v74, 16, 1
	v_add3_u32 v74, v74, v84, s8
	v_add3_u32 v75, v75, v77, s8
	v_pk_mul_f32 v[72:73], v[88:89], v[72:73] op_sel_hi:[0,1]
	v_perm_b32 v77, v75, v74, s9
	v_bfe_u32 v74, v73, 16, 1
	v_bfe_u32 v75, v72, 16, 1
	v_pk_mul_f32 v[70:71], v[88:89], v[70:71] op_sel_hi:[0,1]
	v_add3_u32 v72, v72, v75, s8
	v_add3_u32 v73, v73, v74, s8
	v_perm_b32 v72, v73, v72, s9
	v_bfe_u32 v73, v71, 16, 1
	v_bfe_u32 v74, v70, 16, 1
	v_add3_u32 v70, v70, v74, s8
	v_add3_u32 v71, v71, v73, s8
	v_pk_mul_f32 v[68:69], v[88:89], v[68:69] op_sel_hi:[0,1]
	v_perm_b32 v73, v71, v70, s9
	v_bfe_u32 v70, v69, 16, 1
	v_bfe_u32 v71, v68, 16, 1
	v_pk_mul_f32 v[66:67], v[88:89], v[66:67] op_sel_hi:[0,1]
	v_add3_u32 v68, v68, v71, s8
	v_add3_u32 v69, v69, v70, s8
	v_perm_b32 v68, v69, v68, s9
	v_bfe_u32 v69, v67, 16, 1
	v_bfe_u32 v70, v66, 16, 1
	v_add3_u32 v66, v66, v70, s8
	v_add3_u32 v67, v67, v69, s8
	v_perm_b32 v69, v67, v66, s9
	v_cmp_gt_u32_e32 vcc, 6, v0
	ds_write2st64_b64 v78, v[80:81], v[76:77] offset1:1
	ds_write2st64_b64 v78, v[72:73], v[68:69] offset0:2 offset1:3
	s_and_saveexec_b64 s[0:1], vcc
	s_cbranch_execz .LBB293_17
; %bb.16:
	v_add_co_u32_e32 v68, vcc, s27, v85
	v_addc_co_u32_e64 v69, s[10:11], 0, 0, vcc
	v_mov_b32_e32 v66, s3
	v_mov_b32_e32 v67, 0
	v_mad_u64_u32 v[68:69], s[10:11], s6, v66, v[68:69]
	v_mov_b32_e32 v66, s26
	s_load_dwordx4 s[12:15], s[4:5], 0x58
	s_mul_i32 s7, s7, s3
	v_mad_u64_u32 v[66:67], s[10:11], v68, s2, v[66:67]
	v_add_u32_e32 v69, s7, v69
	v_mov_b32_e32 v68, v67
	v_mad_u64_u32 v[68:69], s[10:11], v69, s2, v[68:69]
	v_mov_b32_e32 v67, v68
	v_lshlrev_b64 v[66:67], 2, v[66:67]
	s_waitcnt lgkmcnt(0)
	v_mov_b32_e32 v69, s15
	v_add_co_u32_e32 v68, vcc, s14, v66
	v_addc_co_u32_e32 v69, vcc, v69, v67, vcc
	global_store_dword v[68:69], v82, off
	v_mov_b32_e32 v68, s13
	v_add_co_u32_e32 v66, vcc, s12, v66
	v_addc_co_u32_e32 v67, vcc, v68, v67, vcc
	global_store_dword v[66:67], v83, off
.LBB293_17:
	s_or_b64 exec, exec, s[0:1]
	v_lshl_or_b32 v79, v1, 9, v79
	s_waitcnt lgkmcnt(0)
	s_barrier
	ds_read_b128 v[70:73], v79
	ds_read_b128 v[66:69], v79 offset:16
	s_waitcnt vmcnt(15) lgkmcnt(1)
	v_mfma_f32_16x16x16bf16_1k v[74:77], v[46:47], v[70:71], 0
	s_mov_b32 s1, 0
	v_cmp_gt_u32_e32 vcc, 64, v0
	v_mfma_f32_16x16x16bf16_1k v[46:49], v[48:49], v[72:73], v[74:77]
	s_waitcnt vmcnt(14) lgkmcnt(0)
	v_mfma_f32_16x16x16bf16_1k v[46:49], v[42:43], v[66:67], v[46:49]
	v_mfma_f32_16x16x16bf16_1k v[42:45], v[44:45], v[68:69], v[46:49]
	s_nop 7
	s_nop 1
	ds_read_b128 v[46:49], v79 offset:2048
	ds_read_b128 v[74:77], v79 offset:2064
	s_waitcnt vmcnt(13) lgkmcnt(1)
	v_mfma_f32_16x16x16bf16_1k v[42:45], v[38:39], v[46:47], v[42:45]
	v_mfma_f32_16x16x16bf16_1k v[38:41], v[40:41], v[48:49], v[42:45]
	s_waitcnt vmcnt(12) lgkmcnt(0)
	v_mfma_f32_16x16x16bf16_1k v[38:41], v[34:35], v[74:75], v[38:41]
	v_mfma_f32_16x16x16bf16_1k v[34:37], v[36:37], v[76:77], v[38:41]
	s_nop 7
	s_nop 1
	ds_read_b128 v[38:41], v79 offset:4096
	ds_read_b128 v[42:45], v79 offset:4112
	s_waitcnt vmcnt(11) lgkmcnt(1)
	v_mfma_f32_16x16x16bf16_1k v[34:37], v[30:31], v[38:39], v[34:37]
	v_mfma_f32_16x16x16bf16_1k v[30:33], v[32:33], v[40:41], v[34:37]
	s_waitcnt vmcnt(10) lgkmcnt(0)
	v_mfma_f32_16x16x16bf16_1k v[30:33], v[26:27], v[42:43], v[30:33]
	v_mfma_f32_16x16x16bf16_1k v[26:29], v[28:29], v[44:45], v[30:33]
	s_nop 7
	s_nop 1
	ds_read_b128 v[30:33], v79 offset:6144
	ds_read_b128 v[34:37], v79 offset:6160
	s_waitcnt lgkmcnt(0)
	s_barrier
	s_waitcnt vmcnt(9)
	v_mfma_f32_16x16x16bf16_1k v[26:29], v[22:23], v[30:31], v[26:29]
	v_mfma_f32_16x16x16bf16_1k v[22:25], v[24:25], v[32:33], v[26:29]
	s_waitcnt vmcnt(8)
	v_mfma_f32_16x16x16bf16_1k v[22:25], v[18:19], v[34:35], v[22:25]
	v_mfma_f32_16x16x16bf16_1k v[18:21], v[20:21], v[36:37], v[22:25]
	;; [unrolled: 3-line block ×4, first 2 shown]
	s_waitcnt vmcnt(5)
	v_mfma_f32_16x16x16bf16_1k v[2:5], v[14:15], v[46:47], v[2:5]
	s_nop 7
	v_bfe_u32 v6, v19, 16, 1
	v_bfe_u32 v7, v18, 16, 1
	v_add3_u32 v7, v18, v7, s8
	v_add3_u32 v6, v19, v6, s8
	v_perm_b32 v6, v6, v7, s9
	v_bfe_u32 v7, v21, 16, 1
	v_bfe_u32 v8, v20, 16, 1
	v_mfma_f32_16x16x16bf16_1k v[2:5], v[16:17], v[48:49], v[2:5]
	v_add3_u32 v8, v20, v8, s8
	v_add3_u32 v7, v21, v7, s8
	v_perm_b32 v7, v7, v8, s9
	s_waitcnt vmcnt(4)
	v_mfma_f32_16x16x16bf16_1k v[2:5], v[10:11], v[74:75], v[2:5]
	v_mfma_f32_16x16x16bf16_1k v[2:5], v[12:13], v[76:77], v[2:5]
	s_waitcnt vmcnt(3)
	v_mfma_f32_16x16x16bf16_1k v[2:5], v[54:55], v[38:39], v[2:5]
	v_mfma_f32_16x16x16bf16_1k v[2:5], v[56:57], v[40:41], v[2:5]
	;; [unrolled: 3-line block ×5, first 2 shown]
	s_nop 7
	s_nop 2
	v_bfe_u32 v8, v3, 16, 1
	v_bfe_u32 v9, v2, 16, 1
	v_add3_u32 v2, v2, v9, s8
	v_add3_u32 v3, v3, v8, s8
	v_perm_b32 v2, v3, v2, s9
	v_bfe_u32 v3, v5, 16, 1
	v_bfe_u32 v8, v4, 16, 1
	v_add3_u32 v4, v4, v8, s8
	v_add3_u32 v3, v5, v3, s8
	v_perm_b32 v3, v3, v4, s9
	ds_write2st64_b64 v78, v[6:7], v[2:3] offset1:1
	s_waitcnt lgkmcnt(0)
	s_barrier
	s_and_saveexec_b64 s[8:9], vcc
	s_cbranch_execz .LBB293_20
; %bb.18:
	v_lshlrev_b32_e32 v5, 6, v85
	v_lshlrev_b32_e32 v4, 4, v0
	v_lshl_or_b32 v0, v0, 10, v5
	v_lshlrev_b32_e32 v3, 5, v1
	v_and_b32_e32 v4, 16, v4
	v_and_b32_e32 v0, 0x1a00, v0
	v_or3_b32 v0, v0, v3, v4
	buffer_load_dword v3, off, s[44:47], 0  ; 4-byte Folded Reload
	s_load_dwordx2 s[4:5], s[4:5], 0x68
	s_lshl_b32 s2, s2, 7
	s_mul_i32 s0, s3, s6
	s_mul_hi_u32 s7, s0, s2
	s_mul_i32 s6, s0, s2
	s_lshl_b64 s[6:7], s[6:7], 1
	s_waitcnt lgkmcnt(0)
	s_add_u32 s3, s4, s6
	s_addc_u32 s4, s5, s7
	s_lshl_b32 s0, s26, 7
	s_lshl_b64 s[0:1], s[0:1], 1
	s_add_u32 s0, s3, s0
	v_or_b32_e32 v2, 4, v1
	s_addc_u32 s1, s4, s1
	v_add_u32_e32 v1, s27, v1
	v_mov_b32_e32 v4, s1
	ds_read_b128 v[6:9], v0
	s_waitcnt vmcnt(0)
	v_add_co_u32_e32 v3, vcc, s0, v3
	v_mad_u64_u32 v[10:11], s[0:1], v1, s2, 0
	v_addc_co_u32_e32 v4, vcc, 0, v4, vcc
	v_lshlrev_b64 v[10:11], 1, v[10:11]
	v_add_co_u32_e32 v10, vcc, v3, v10
	v_addc_co_u32_e32 v11, vcc, v4, v11, vcc
	v_cmp_gt_u32_e32 vcc, 6, v2
	s_waitcnt lgkmcnt(0)
	global_store_dwordx4 v[10:11], v[6:9], off
	s_and_b64 exec, exec, vcc
	s_cbranch_execz .LBB293_20
; %bb.19:
	ds_read_b128 v[6:9], v0 offset:128
	v_add_u32_e32 v0, s27, v2
	v_mad_u64_u32 v[0:1], s[0:1], v0, s2, 0
	v_lshlrev_b64 v[0:1], 1, v[0:1]
	v_add_co_u32_e32 v0, vcc, v3, v0
	v_addc_co_u32_e32 v1, vcc, v4, v1, vcc
	s_waitcnt lgkmcnt(0)
	global_store_dwordx4 v[0:1], v[6:9], off
.LBB293_20:
	s_endpgm
	.section	.rodata,"a",@progbits
	.p2align	6, 0x0
	.amdhsa_kernel _Z39paged_attention_ll4mi_QKV_mfma16_kernelI14__hip_bfloat16S0_LN4vllm18Fp8KVCacheDataTypeE0ES0_Li16ELi128ELi256ELb1ELi6EL8MFMAType0EEvPKT_PKT0_S9_ifPKiSB_SB_iPKfiiiPfSE_PS4_PT2_iSD_SD_
		.amdhsa_group_segment_fixed_size 8192
		.amdhsa_private_segment_fixed_size 8
		.amdhsa_kernarg_size 400
		.amdhsa_user_sgpr_count 6
		.amdhsa_user_sgpr_private_segment_buffer 1
		.amdhsa_user_sgpr_dispatch_ptr 0
		.amdhsa_user_sgpr_queue_ptr 0
		.amdhsa_user_sgpr_kernarg_segment_ptr 1
		.amdhsa_user_sgpr_dispatch_id 0
		.amdhsa_user_sgpr_flat_scratch_init 0
		.amdhsa_user_sgpr_kernarg_preload_length 0
		.amdhsa_user_sgpr_kernarg_preload_offset 0
		.amdhsa_user_sgpr_private_segment_size 0
		.amdhsa_uses_dynamic_stack 0
		.amdhsa_system_sgpr_private_segment_wavefront_offset 1
		.amdhsa_system_sgpr_workgroup_id_x 1
		.amdhsa_system_sgpr_workgroup_id_y 1
		.amdhsa_system_sgpr_workgroup_id_z 1
		.amdhsa_system_sgpr_workgroup_info 0
		.amdhsa_system_vgpr_workitem_id 0
		.amdhsa_next_free_vgpr 96
		.amdhsa_next_free_sgpr 48
		.amdhsa_accum_offset 96
		.amdhsa_reserve_vcc 1
		.amdhsa_reserve_flat_scratch 0
		.amdhsa_float_round_mode_32 0
		.amdhsa_float_round_mode_16_64 0
		.amdhsa_float_denorm_mode_32 3
		.amdhsa_float_denorm_mode_16_64 3
		.amdhsa_dx10_clamp 1
		.amdhsa_ieee_mode 1
		.amdhsa_fp16_overflow 0
		.amdhsa_tg_split 0
		.amdhsa_exception_fp_ieee_invalid_op 0
		.amdhsa_exception_fp_denorm_src 0
		.amdhsa_exception_fp_ieee_div_zero 0
		.amdhsa_exception_fp_ieee_overflow 0
		.amdhsa_exception_fp_ieee_underflow 0
		.amdhsa_exception_fp_ieee_inexact 0
		.amdhsa_exception_int_div_zero 0
	.end_amdhsa_kernel
	.section	.text._Z39paged_attention_ll4mi_QKV_mfma16_kernelI14__hip_bfloat16S0_LN4vllm18Fp8KVCacheDataTypeE0ES0_Li16ELi128ELi256ELb1ELi6EL8MFMAType0EEvPKT_PKT0_S9_ifPKiSB_SB_iPKfiiiPfSE_PS4_PT2_iSD_SD_,"axG",@progbits,_Z39paged_attention_ll4mi_QKV_mfma16_kernelI14__hip_bfloat16S0_LN4vllm18Fp8KVCacheDataTypeE0ES0_Li16ELi128ELi256ELb1ELi6EL8MFMAType0EEvPKT_PKT0_S9_ifPKiSB_SB_iPKfiiiPfSE_PS4_PT2_iSD_SD_,comdat
.Lfunc_end293:
	.size	_Z39paged_attention_ll4mi_QKV_mfma16_kernelI14__hip_bfloat16S0_LN4vllm18Fp8KVCacheDataTypeE0ES0_Li16ELi128ELi256ELb1ELi6EL8MFMAType0EEvPKT_PKT0_S9_ifPKiSB_SB_iPKfiiiPfSE_PS4_PT2_iSD_SD_, .Lfunc_end293-_Z39paged_attention_ll4mi_QKV_mfma16_kernelI14__hip_bfloat16S0_LN4vllm18Fp8KVCacheDataTypeE0ES0_Li16ELi128ELi256ELb1ELi6EL8MFMAType0EEvPKT_PKT0_S9_ifPKiSB_SB_iPKfiiiPfSE_PS4_PT2_iSD_SD_
                                        ; -- End function
	.section	.AMDGPU.csdata,"",@progbits
; Kernel info:
; codeLenInByte = 5204
; NumSgprs: 52
; NumVgprs: 96
; NumAgprs: 0
; TotalNumVgprs: 96
; ScratchSize: 8
; MemoryBound: 0
; FloatMode: 240
; IeeeMode: 1
; LDSByteSize: 8192 bytes/workgroup (compile time only)
; SGPRBlocks: 6
; VGPRBlocks: 11
; NumSGPRsForWavesPerEU: 52
; NumVGPRsForWavesPerEU: 96
; AccumOffset: 96
; Occupancy: 5
; WaveLimiterHint : 1
; COMPUTE_PGM_RSRC2:SCRATCH_EN: 1
; COMPUTE_PGM_RSRC2:USER_SGPR: 6
; COMPUTE_PGM_RSRC2:TRAP_HANDLER: 0
; COMPUTE_PGM_RSRC2:TGID_X_EN: 1
; COMPUTE_PGM_RSRC2:TGID_Y_EN: 1
; COMPUTE_PGM_RSRC2:TGID_Z_EN: 1
; COMPUTE_PGM_RSRC2:TIDIG_COMP_CNT: 0
; COMPUTE_PGM_RSRC3_GFX90A:ACCUM_OFFSET: 23
; COMPUTE_PGM_RSRC3_GFX90A:TG_SPLIT: 0
	.section	.text._Z39paged_attention_ll4mi_QKV_mfma16_kernelI14__hip_bfloat16S0_LN4vllm18Fp8KVCacheDataTypeE0ES0_Li16ELi128ELi256ELb1ELi7EL8MFMAType0EEvPKT_PKT0_S9_ifPKiSB_SB_iPKfiiiPfSE_PS4_PT2_iSD_SD_,"axG",@progbits,_Z39paged_attention_ll4mi_QKV_mfma16_kernelI14__hip_bfloat16S0_LN4vllm18Fp8KVCacheDataTypeE0ES0_Li16ELi128ELi256ELb1ELi7EL8MFMAType0EEvPKT_PKT0_S9_ifPKiSB_SB_iPKfiiiPfSE_PS4_PT2_iSD_SD_,comdat
	.protected	_Z39paged_attention_ll4mi_QKV_mfma16_kernelI14__hip_bfloat16S0_LN4vllm18Fp8KVCacheDataTypeE0ES0_Li16ELi128ELi256ELb1ELi7EL8MFMAType0EEvPKT_PKT0_S9_ifPKiSB_SB_iPKfiiiPfSE_PS4_PT2_iSD_SD_ ; -- Begin function _Z39paged_attention_ll4mi_QKV_mfma16_kernelI14__hip_bfloat16S0_LN4vllm18Fp8KVCacheDataTypeE0ES0_Li16ELi128ELi256ELb1ELi7EL8MFMAType0EEvPKT_PKT0_S9_ifPKiSB_SB_iPKfiiiPfSE_PS4_PT2_iSD_SD_
	.globl	_Z39paged_attention_ll4mi_QKV_mfma16_kernelI14__hip_bfloat16S0_LN4vllm18Fp8KVCacheDataTypeE0ES0_Li16ELi128ELi256ELb1ELi7EL8MFMAType0EEvPKT_PKT0_S9_ifPKiSB_SB_iPKfiiiPfSE_PS4_PT2_iSD_SD_
	.p2align	8
	.type	_Z39paged_attention_ll4mi_QKV_mfma16_kernelI14__hip_bfloat16S0_LN4vllm18Fp8KVCacheDataTypeE0ES0_Li16ELi128ELi256ELb1ELi7EL8MFMAType0EEvPKT_PKT0_S9_ifPKiSB_SB_iPKfiiiPfSE_PS4_PT2_iSD_SD_,@function
_Z39paged_attention_ll4mi_QKV_mfma16_kernelI14__hip_bfloat16S0_LN4vllm18Fp8KVCacheDataTypeE0ES0_Li16ELi128ELi256ELb1ELi7EL8MFMAType0EEvPKT_PKT0_S9_ifPKiSB_SB_iPKfiiiPfSE_PS4_PT2_iSD_SD_: ; @_Z39paged_attention_ll4mi_QKV_mfma16_kernelI14__hip_bfloat16S0_LN4vllm18Fp8KVCacheDataTypeE0ES0_Li16ELi128ELi256ELb1ELi7EL8MFMAType0EEvPKT_PKT0_S9_ifPKiSB_SB_iPKfiiiPfSE_PS4_PT2_iSD_SD_
; %bb.0:
	s_mov_b64 s[46:47], s[2:3]
	s_mov_b64 s[44:45], s[0:1]
	s_load_dwordx2 s[0:1], s[4:5], 0x30
	s_add_u32 s44, s44, s9
	s_addc_u32 s45, s45, 0
	s_mov_b32 s26, s7
	s_mov_b64 s[10:11], 0
	s_waitcnt lgkmcnt(0)
	s_cmp_lg_u64 s[0:1], 0
	s_cselect_b64 s[2:3], -1, 0
	s_and_b64 vcc, exec, s[2:3]
	s_cbranch_vccz .LBB294_7
; %bb.1:
	s_add_i32 s12, s6, 1
	s_mov_b32 s13, 0
	s_lshl_b64 s[14:15], s[12:13], 2
	s_add_u32 s14, s0, s14
	s_mov_b32 s7, s13
	s_addc_u32 s15, s1, s15
	s_lshl_b64 s[12:13], s[6:7], 2
	s_add_u32 s12, s0, s12
	s_addc_u32 s13, s1, s13
	s_load_dword s9, s[14:15], 0x0
	s_load_dword s16, s[12:13], 0x0
	s_waitcnt lgkmcnt(0)
	s_sub_i32 s9, s9, s16
	s_cmp_eq_u32 s9, 1
	s_cselect_b64 s[12:13], -1, 0
	s_andn2_b64 vcc, exec, s[10:11]
	s_cbranch_vccnz .LBB294_3
.LBB294_2:
	s_mov_b32 s7, 0
	s_mov_b64 s[12:13], -1
.LBB294_3:
	s_andn2_b64 vcc, exec, s[12:13]
	s_cbranch_vccnz .LBB294_20
; %bb.4:
	s_load_dwordx2 s[12:13], s[4:5], 0x28
	s_lshl_b64 s[10:11], s[6:7], 2
	s_waitcnt lgkmcnt(0)
	s_add_u32 s12, s12, s10
	s_addc_u32 s13, s13, s11
	s_load_dword s33, s[12:13], 0x0
	s_lshl_b32 s16, s26, 8
	s_waitcnt lgkmcnt(0)
	s_cmp_ge_i32 s16, s33
	s_cbranch_scc1 .LBB294_20
; %bb.5:
	s_add_i32 s14, s33, 15
	s_load_dwordx2 s[12:13], s[4:5], 0x20
	s_load_dword s9, s[4:5], 0x38
	s_ashr_i32 s15, s14, 31
	v_and_b32_e32 v1, 0xcf, v0
	s_lshr_b32 s15, s15, 28
	v_add_u32_e32 v1, s16, v1
	s_add_i32 s14, s14, s15
	v_ashrrev_i32_e32 v2, 31, v1
	s_ashr_i32 s19, s14, 4
	v_lshrrev_b32_e32 v4, 28, v2
	s_add_i32 s19, s19, -1
	v_add_u32_e32 v2, v1, v4
	s_waitcnt lgkmcnt(0)
	s_mul_i32 s14, s6, s9
	s_mov_b32 s15, 0
	v_ashrrev_i32_e32 v2, 4, v2
	v_mov_b32_e32 v5, s19
	v_cmp_gt_i32_e32 vcc, s33, v1
	s_lshl_b64 s[14:15], s[14:15], 2
	v_cndmask_b32_e32 v2, v5, v2, vcc
	s_add_u32 s17, s12, s14
	v_ashrrev_i32_e32 v3, 31, v2
	s_addc_u32 s18, s13, s15
	v_lshlrev_b64 v[2:3], 2, v[2:3]
	v_mov_b32_e32 v7, s18
	v_add_co_u32_e32 v6, vcc, s17, v2
	v_or_b32_e32 v2, 16, v1
	v_addc_co_u32_e32 v7, vcc, v7, v3, vcc
	v_add_u32_e32 v3, v2, v4
	v_ashrrev_i32_e32 v3, 4, v3
	v_cmp_gt_i32_e32 vcc, s33, v2
	v_cndmask_b32_e32 v2, v5, v3, vcc
	v_ashrrev_i32_e32 v3, 31, v2
	v_lshlrev_b64 v[2:3], 2, v[2:3]
	v_mov_b32_e32 v9, s18
	v_add_co_u32_e32 v8, vcc, s17, v2
	v_or_b32_e32 v2, 32, v1
	v_addc_co_u32_e32 v9, vcc, v9, v3, vcc
	v_add_u32_e32 v3, v2, v4
	v_ashrrev_i32_e32 v3, 4, v3
	v_cmp_gt_i32_e32 vcc, s33, v2
	v_cndmask_b32_e32 v2, v5, v3, vcc
	v_ashrrev_i32_e32 v3, 31, v2
	v_lshlrev_b64 v[2:3], 2, v[2:3]
	v_mov_b32_e32 v11, s18
	v_add_co_u32_e32 v10, vcc, s17, v2
	v_or_b32_e32 v1, 48, v1
	v_addc_co_u32_e32 v11, vcc, v11, v3, vcc
	v_add_u32_e32 v2, v1, v4
	v_ashrrev_i32_e32 v2, 4, v2
	v_cmp_gt_i32_e32 vcc, s33, v1
	v_cndmask_b32_e32 v2, v5, v2, vcc
	v_ashrrev_i32_e32 v3, 31, v2
	v_lshlrev_b64 v[2:3], 2, v[2:3]
	v_mov_b32_e32 v1, s18
	v_add_co_u32_e32 v12, vcc, s17, v2
	v_addc_co_u32_e32 v13, vcc, v1, v3, vcc
	global_load_dword v5, v[6:7], off
	global_load_dword v4, v[8:9], off
	;; [unrolled: 1-line block ×4, first 2 shown]
	s_load_dwordx2 s[12:13], s[4:5], 0x8
	s_andn2_b64 vcc, exec, s[2:3]
	s_cbranch_vccnz .LBB294_8
; %bb.6:
	s_add_u32 s0, s0, s10
	s_addc_u32 s1, s1, s11
	s_load_dword s9, s[0:1], 0x0
	s_branch .LBB294_9
.LBB294_7:
	s_mov_b64 s[12:13], 0
	s_branch .LBB294_2
.LBB294_8:
	s_mov_b32 s9, s6
.LBB294_9:
	s_load_dwordx2 s[10:11], s[4:5], 0x10
	s_load_dwordx4 s[0:3], s[4:5], 0x48
	v_lshrrev_b32_e32 v87, 6, v0
	v_bfe_u32 v1, v0, 4, 2
	v_and_b32_e32 v85, 15, v0
	v_lshl_or_b32 v6, v87, 2, v1
	v_lshlrev_b32_e32 v7, 3, v85
	s_mul_i32 s27, s8, 7
	v_cmp_gt_u32_e32 vcc, 7, v6
	v_lshlrev_b32_e32 v7, 1, v7
	buffer_store_dword v7, off, s[44:47], 0 ; 4-byte Folded Spill
	s_and_saveexec_b64 s[14:15], vcc
	s_cbranch_execz .LBB294_11
; %bb.10:
	s_load_dwordx2 s[20:21], s[4:5], 0x0
	s_waitcnt lgkmcnt(0)
	s_ashr_i32 s3, s0, 31
	s_mul_hi_u32 s22, s9, s0
	s_mul_i32 s3, s9, s3
	s_add_i32 s23, s22, s3
	s_mul_i32 s22, s9, s0
	s_lshl_b64 s[22:23], s[22:23], 1
	v_add_lshl_u32 v8, v6, s27, 7
	s_add_u32 s0, s20, s22
	v_ashrrev_i32_e32 v9, 31, v8
	s_addc_u32 s3, s21, s23
	v_lshlrev_b64 v[8:9], 1, v[8:9]
	v_mov_b32_e32 v7, s3
	v_add_co_u32_e32 v8, vcc, s0, v8
	v_addc_co_u32_e32 v7, vcc, v7, v9, vcc
	buffer_load_dword v9, off, s[44:47], 0  ; 4-byte Folded Reload
	v_lshlrev_b32_e32 v12, 9, v85
	v_lshlrev_b32_e32 v6, 5, v6
	v_and_b32_e32 v12, 0x1800, v12
	s_waitcnt vmcnt(0)
	v_add_co_u32_e32 v8, vcc, v8, v9
	v_addc_co_u32_e32 v9, vcc, 0, v7, vcc
	global_load_dwordx4 v[8:11], v[8:9], off
	v_and_b32_e32 v7, 3, v0
	v_lshlrev_b32_e32 v7, 9, v7
	v_or3_b32 v6, v12, v7, v6
	s_waitcnt vmcnt(0)
	ds_write_b128 v6, v[8:11]
.LBB294_11:
	s_or_b64 exec, exec, s[14:15]
	s_waitcnt lgkmcnt(0)
	s_mul_i32 s2, s8, s2
	s_mov_b32 s3, 0
	s_lshl_b64 s[2:3], s[2:3], 1
	s_add_u32 s0, s12, s2
	v_lshlrev_b32_e32 v10, 4, v0
	s_addc_u32 s8, s13, s3
	v_and_b32_e32 v6, 0xf0, v10
	v_mov_b32_e32 v7, s8
	v_add_co_u32_e32 v8, vcc, s0, v6
	v_addc_co_u32_e32 v9, vcc, 0, v7, vcc
	s_waitcnt vmcnt(4)
	v_mad_i64_i32 v[6:7], s[8:9], v5, s1, 0
	v_lshlrev_b64 v[6:7], 1, v[6:7]
	v_add_co_u32_e32 v5, vcc, v8, v6
	v_addc_co_u32_e32 v7, vcc, v9, v7, vcc
	v_and_b32_e32 v10, 0x300, v10
	v_add_co_u32_e32 v6, vcc, v5, v10
	s_waitcnt vmcnt(3)
	v_mad_i64_i32 v[4:5], s[8:9], v4, s1, 0
	v_addc_co_u32_e32 v7, vcc, 0, v7, vcc
	v_lshlrev_b64 v[4:5], 1, v[4:5]
	v_add_co_u32_e32 v4, vcc, v8, v4
	v_addc_co_u32_e32 v5, vcc, v9, v5, vcc
	v_add_co_u32_e32 v4, vcc, v4, v10
	v_addc_co_u32_e32 v5, vcc, 0, v5, vcc
	s_barrier
	global_load_dwordx4 v[74:77], v[6:7], off
	global_load_dwordx4 v[66:69], v[6:7], off offset:1024
	global_load_dwordx4 v[58:61], v[6:7], off offset:2048
	;; [unrolled: 1-line block ×3, first 2 shown]
	global_load_dwordx4 v[78:81], v[4:5], off
	global_load_dwordx4 v[70:73], v[4:5], off offset:1024
	global_load_dwordx4 v[62:65], v[4:5], off offset:2048
	;; [unrolled: 1-line block ×3, first 2 shown]
	s_waitcnt vmcnt(10)
	v_mad_i64_i32 v[4:5], s[8:9], v3, s1, 0
	v_lshlrev_b64 v[4:5], 1, v[4:5]
	v_add_co_u32_e32 v3, vcc, v8, v4
	v_addc_co_u32_e32 v5, vcc, v9, v5, vcc
	v_add_co_u32_e32 v4, vcc, v3, v10
	s_waitcnt vmcnt(9)
	v_mad_i64_i32 v[2:3], s[8:9], v2, s1, 0
	v_addc_co_u32_e32 v5, vcc, 0, v5, vcc
	v_lshlrev_b64 v[2:3], 1, v[2:3]
	v_add_co_u32_e32 v2, vcc, v8, v2
	v_addc_co_u32_e32 v3, vcc, v9, v3, vcc
	v_add_co_u32_e32 v6, vcc, v2, v10
	v_addc_co_u32_e32 v7, vcc, 0, v3, vcc
	global_load_dwordx4 v[38:41], v[4:5], off
	global_load_dwordx4 v[34:37], v[4:5], off offset:1024
	global_load_dwordx4 v[30:33], v[4:5], off offset:2048
	;; [unrolled: 1-line block ×3, first 2 shown]
	global_load_dwordx4 v[18:21], v[6:7], off
	global_load_dwordx4 v[10:13], v[6:7], off offset:1024
	s_nop 0
	global_load_dwordx4 v[2:5], v[6:7], off offset:2048
	global_load_dwordx4 v[50:53], v[6:7], off offset:3072
	v_mul_lo_u16_e32 v6, 37, v85
	v_mov_b32_e32 v7, 7
	v_mul_lo_u16_sdwa v6, v6, v7 dst_sel:DWORD dst_unused:UNUSED_PAD src0_sel:BYTE_1 src1_sel:DWORD
	v_sub_u16_e32 v6, v85, v6
	v_mov_b32_e32 v7, 5
	v_lshlrev_b32_sdwa v6, v7, v6 dst_sel:DWORD dst_unused:UNUSED_PAD src0_sel:DWORD src1_sel:BYTE_0
	v_lshl_add_u32 v54, v1, 9, v6
	ds_read_b128 v[26:29], v54
	ds_read_b128 v[14:17], v54 offset:2048
	ds_read_b128 v[6:9], v54 offset:4096
	;; [unrolled: 1-line block ×3, first 2 shown]
	v_and_b32_e32 v88, 63, v0
	v_cmp_gt_u32_e32 vcc, 7, v85
	v_mov_b32_e32 v89, 0
	s_and_saveexec_b64 s[8:9], vcc
	s_cbranch_execz .LBB294_13
; %bb.12:
	s_load_dwordx2 s[12:13], s[4:5], 0x40
	v_add_u32_e32 v82, s27, v85
	v_ashrrev_i32_e32 v83, 31, v82
	v_lshlrev_b64 v[82:83], 2, v[82:83]
	s_waitcnt lgkmcnt(0)
	v_mov_b32_e32 v89, s13
	v_add_co_u32_e32 v82, vcc, s12, v82
	v_addc_co_u32_e32 v83, vcc, v89, v83, vcc
	global_load_dword v89, v[82:83], off
.LBB294_13:
	s_or_b64 exec, exec, s[8:9]
	s_waitcnt vmcnt(15) lgkmcnt(3)
	v_mfma_f32_16x16x16bf16_1k v[90:93], v[74:75], v[26:27], 0
	s_add_u32 s8, s10, s2
	s_addc_u32 s9, s11, s3
	s_load_dword s0, s[4:5], 0x1c
	s_mov_b32 s40, 0xff7fffff
	v_mfma_f32_16x16x16bf16_1k v[74:77], v[76:77], v[28:29], v[90:93]
	s_waitcnt vmcnt(14) lgkmcnt(0)
	v_mfma_f32_16x16x16bf16_1k v[74:77], v[66:67], v[14:15], v[74:77]
	s_nop 4
	v_lshl_or_b32 v90, v87, 4, v85
	v_mfma_f32_16x16x16bf16_1k v[66:69], v[68:69], v[16:17], v[74:77]
	s_waitcnt vmcnt(13)
	v_mfma_f32_16x16x16bf16_1k v[66:69], v[58:59], v[6:7], v[66:69]
	s_nop 4
	v_lshlrev_b32_e32 v76, 5, v90
	v_mfma_f32_16x16x16bf16_1k v[58:61], v[60:61], v[8:9], v[66:69]
	s_waitcnt vmcnt(12)
	v_mfma_f32_16x16x16bf16_1k v[58:61], v[42:43], v[54:55], v[58:61]
	s_nop 4
	v_mov_b32_e32 v66, s18
	v_mfma_f32_16x16x16bf16_1k v[58:61], v[44:45], v[56:57], v[58:61]
	s_waitcnt vmcnt(11)
	v_mfma_f32_16x16x16bf16_1k v[42:45], v[78:79], v[26:27], 0
	s_nop 7
	s_nop 0
	v_pk_mul_f32 v[58:59], s[0:1], v[58:59] op_sel_hi:[0,1]
	v_mfma_f32_16x16x16bf16_1k v[42:45], v[80:81], v[28:29], v[42:45]
	s_waitcnt vmcnt(10)
	v_mfma_f32_16x16x16bf16_1k v[42:45], v[70:71], v[14:15], v[42:45]
	v_mfma_f32_16x16x16bf16_1k v[42:45], v[72:73], v[16:17], v[42:45]
	s_waitcnt vmcnt(9)
	v_mfma_f32_16x16x16bf16_1k v[42:45], v[62:63], v[6:7], v[42:45]
	;; [unrolled: 3-line block ×3, first 2 shown]
	v_mfma_f32_16x16x16bf16_1k v[62:65], v[48:49], v[56:57], v[42:45]
	v_and_or_b32 v48, v0, 48, s16
	v_mov_b32_e32 v49, s19
	v_cmp_gt_i32_e32 vcc, s33, v48
	s_waitcnt vmcnt(7)
	v_mfma_f32_16x16x16bf16_1k v[42:45], v[38:39], v[26:27], 0
	v_ashrrev_i32_e32 v38, 4, v48
	v_cndmask_b32_e32 v38, v49, v38, vcc
	v_ashrrev_i32_e32 v39, 31, v38
	v_lshlrev_b64 v[46:47], 2, v[38:39]
	v_mfma_f32_16x16x16bf16_1k v[38:41], v[40:41], v[28:29], v[42:45]
	s_nop 6
	v_add_co_u32_e32 v42, vcc, s17, v46
	v_addc_co_u32_e32 v43, vcc, v66, v47, vcc
	global_load_dword v44, v[42:43], off
	v_or_b32_e32 v42, 64, v48
	v_ashrrev_i32_e32 v43, 4, v42
	v_cmp_gt_i32_e32 vcc, s33, v42
	v_cndmask_b32_e32 v42, v49, v43, vcc
	s_waitcnt vmcnt(7)
	v_mfma_f32_16x16x16bf16_1k v[38:41], v[34:35], v[14:15], v[38:41]
	v_ashrrev_i32_e32 v43, 31, v42
	v_lshlrev_b64 v[34:35], 2, v[42:43]
	v_mov_b32_e32 v42, s18
	v_add_co_u32_e32 v34, vcc, s17, v34
	v_addc_co_u32_e32 v35, vcc, v42, v35, vcc
	global_load_dword v72, v[34:35], off
	v_mfma_f32_16x16x16bf16_1k v[34:37], v[36:37], v[16:17], v[38:41]
	s_nop 6
	v_or_b32_e32 v38, 0x80, v48
	v_ashrrev_i32_e32 v39, 4, v38
	v_cmp_gt_i32_e32 vcc, s33, v38
	v_cndmask_b32_e32 v38, v49, v39, vcc
	v_ashrrev_i32_e32 v39, 31, v38
	v_lshlrev_b64 v[38:39], 2, v[38:39]
	v_mov_b32_e32 v40, s18
	s_waitcnt vmcnt(7)
	v_mfma_f32_16x16x16bf16_1k v[34:37], v[30:31], v[6:7], v[34:37]
	v_add_co_u32_e32 v30, vcc, s17, v38
	v_addc_co_u32_e32 v31, vcc, v40, v39, vcc
	global_load_dword v74, v[30:31], off
	v_or_b32_e32 v30, 0xc0, v48
	v_ashrrev_i32_e32 v31, 4, v30
	v_cmp_gt_i32_e32 vcc, s33, v30
	v_cndmask_b32_e32 v38, v49, v31, vcc
	v_ashrrev_i32_e32 v39, 31, v38
	v_mfma_f32_16x16x16bf16_1k v[30:33], v[32:33], v[8:9], v[34:37]
	s_nop 6
	v_lshlrev_b64 v[34:35], 2, v[38:39]
	v_mov_b32_e32 v36, s18
	v_add_co_u32_e32 v34, vcc, s17, v34
	v_addc_co_u32_e32 v35, vcc, v36, v35, vcc
	global_load_dword v75, v[34:35], off
	s_waitcnt vmcnt(8)
	v_mfma_f32_16x16x16bf16_1k v[30:33], v[22:23], v[54:55], v[30:33]
	v_mov_b32_e32 v22, s9
	v_add_co_u32_e32 v77, vcc, s8, v76
	v_addc_co_u32_e32 v78, vcc, 0, v22, vcc
	s_waitcnt vmcnt(3)
	v_mad_i64_i32 v[22:23], s[2:3], v44, s1, 0
	v_mfma_f32_16x16x16bf16_1k v[66:69], v[24:25], v[56:57], v[30:33]
	v_lshlrev_b64 v[70:71], 1, v[22:23]
	v_mfma_f32_16x16x16bf16_1k v[22:25], v[18:19], v[26:27], 0
	v_add_co_u32_e32 v18, vcc, v77, v70
	v_addc_co_u32_e32 v19, vcc, v78, v71, vcc
	global_load_dwordx4 v[46:49], v[18:19], off
	global_load_dwordx4 v[42:45], v[18:19], off offset:16
	s_waitcnt vmcnt(4)
	v_mad_i64_i32 v[18:19], s[2:3], v72, s1, 0
	v_lshlrev_b64 v[72:73], 1, v[18:19]
	v_mfma_f32_16x16x16bf16_1k v[18:21], v[20:21], v[28:29], v[22:25]
	v_mfma_f32_16x16x16bf16_1k v[18:21], v[10:11], v[14:15], v[18:21]
	s_nop 5
	v_add_co_u32_e32 v22, vcc, v77, v72
	v_addc_co_u32_e32 v23, vcc, v78, v73, vcc
	global_load_dwordx4 v[38:41], v[22:23], off
	global_load_dwordx4 v[34:37], v[22:23], off offset:16
	s_waitcnt vmcnt(5)
	v_mad_i64_i32 v[22:23], s[2:3], v74, s1, 0
	v_lshlrev_b64 v[82:83], 1, v[22:23]
	v_add_co_u32_e32 v10, vcc, v77, v82
	v_addc_co_u32_e32 v11, vcc, v78, v83, vcc
	global_load_dwordx4 v[30:33], v[10:11], off
	global_load_dwordx4 v[26:29], v[10:11], off offset:16
	v_mfma_f32_16x16x16bf16_1k v[10:13], v[12:13], v[16:17], v[18:21]
	s_waitcnt vmcnt(6)
	v_mad_i64_i32 v[14:15], s[2:3], v75, s1, 0
	v_mfma_f32_16x16x16bf16_1k v[10:13], v[2:3], v[6:7], v[10:13]
	v_lshlrev_b64 v[80:81], 1, v[14:15]
	v_add_co_u32_e32 v14, vcc, v77, v80
	v_addc_co_u32_e32 v15, vcc, v78, v81, vcc
	v_or_b32_e32 v2, 0x800, v76
	v_mov_b32_e32 v3, s9
	v_mfma_f32_16x16x16bf16_1k v[10:13], v[4:5], v[8:9], v[10:13]
	v_add_co_u32_e32 v91, vcc, s8, v2
	v_addc_co_u32_e32 v84, vcc, 0, v3, vcc
	v_add_co_u32_e32 v2, vcc, v91, v70
	v_addc_co_u32_e32 v3, vcc, v84, v71, vcc
	v_mfma_f32_16x16x16bf16_1k v[92:95], v[50:51], v[54:55], v[10:13]
	v_add_co_u32_e32 v70, vcc, v91, v72
	v_addc_co_u32_e32 v71, vcc, v84, v73, vcc
	global_load_dwordx4 v[22:25], v[14:15], off
	global_load_dwordx4 v[18:21], v[14:15], off offset:16
	global_load_dwordx4 v[6:9], v[2:3], off
	s_nop 0
	global_load_dwordx4 v[2:5], v[2:3], off offset:16
	s_nop 0
	global_load_dwordx4 v[14:17], v[70:71], off
	global_load_dwordx4 v[10:13], v[70:71], off offset:16
	v_mfma_f32_16x16x16bf16_1k v[50:53], v[52:53], v[56:57], v[92:95]
	v_pk_mul_f32 v[70:71], s[0:1], v[68:69] op_sel_hi:[0,1]
	v_pk_mul_f32 v[72:73], s[0:1], v[66:67] op_sel_hi:[0,1]
	;; [unrolled: 1-line block ×5, first 2 shown]
	s_nop 5
	v_pk_mul_f32 v[68:69], s[0:1], v[50:51] op_sel_hi:[0,1]
	v_and_b32_e32 v50, 0xc0, v0
	v_add_u32_e32 v50, s16, v50
	v_lshl_or_b32 v50, v1, 2, v50
	v_or_b32_e32 v51, 1, v50
	v_pk_mul_f32 v[66:67], s[0:1], v[52:53] op_sel_hi:[0,1]
	v_subrev_u32_e32 v52, s33, v51
	v_add_u32_e32 v54, 1, v52
	v_add_u32_e32 v55, 2, v52
	v_cvt_f32_i32_e32 v53, v52
	v_cvt_f32_i32_e32 v54, v54
	;; [unrolled: 1-line block ×3, first 2 shown]
	v_add_u32_e32 v56, 3, v52
	v_fma_f32 v58, v89, v53, v58
	v_fmac_f32_e32 v59, v89, v54
	v_fma_f32 v78, v89, v55, v78
	v_add_u32_e32 v53, 16, v52
	v_add_u32_e32 v54, 17, v52
	;; [unrolled: 1-line block ×3, first 2 shown]
	v_cvt_f32_i32_e32 v56, v56
	v_cvt_f32_i32_e32 v53, v53
	;; [unrolled: 1-line block ×4, first 2 shown]
	v_fmac_f32_e32 v79, v89, v56
	v_add_u32_e32 v56, 19, v52
	v_fma_f32 v76, v89, v53, v76
	v_fmac_f32_e32 v77, v89, v54
	v_fma_f32 v74, v89, v55, v74
	v_add_u32_e32 v53, 32, v52
	v_add_u32_e32 v54, 33, v52
	;; [unrolled: 1-line block ×3, first 2 shown]
	v_cvt_f32_i32_e32 v56, v56
	v_cvt_f32_i32_e32 v53, v53
	;; [unrolled: 1-line block ×4, first 2 shown]
	v_fmac_f32_e32 v75, v89, v56
	v_add_u32_e32 v56, 35, v52
	v_fma_f32 v72, v89, v53, v72
	v_fmac_f32_e32 v73, v89, v54
	v_fma_f32 v70, v89, v55, v70
	v_add_u32_e32 v53, 48, v52
	v_add_u32_e32 v54, 49, v52
	;; [unrolled: 1-line block ×4, first 2 shown]
	v_cvt_f32_i32_e32 v52, v52
	v_cvt_f32_i32_e32 v53, v53
	v_cvt_f32_i32_e32 v54, v54
	v_cmp_gt_i32_e64 s[28:29], s33, v50
	v_fmac_f32_e32 v67, v89, v52
	v_mov_b32_e32 v52, 0xff7fffff
	v_cmp_gt_i32_e64 s[30:31], s33, v51
	v_fma_f32 v68, v89, v53, v68
	v_cndmask_b32_e64 v53, v52, v58, s[28:29]
	v_cndmask_b32_e64 v51, v52, v59, s[30:31]
	v_fmac_f32_e32 v69, v89, v54
	v_max3_f32 v51, v53, s40, v51
	v_or_b32_e32 v53, 2, v50
	v_or_b32_e32 v54, 3, v50
	v_cmp_gt_i32_e64 s[34:35], s33, v53
	v_cmp_gt_i32_e64 s[36:37], s33, v54
	v_cndmask_b32_e64 v53, v52, v78, s[34:35]
	v_cndmask_b32_e64 v54, v52, v79, s[36:37]
	v_max3_f32 v51, v51, v53, v54
	v_or_b32_e32 v53, 16, v50
	v_or_b32_e32 v54, 17, v50
	v_cmp_gt_i32_e64 s[22:23], s33, v53
	v_cmp_gt_i32_e64 s[24:25], s33, v54
	v_cndmask_b32_e64 v53, v52, v76, s[22:23]
	v_cndmask_b32_e64 v54, v52, v77, s[24:25]
	;; [unrolled: 7-line block ×3, first 2 shown]
	v_cvt_f32_i32_e32 v56, v56
	v_max3_f32 v51, v51, v53, v54
	v_or_b32_e32 v53, 32, v50
	v_or_b32_e32 v54, 33, v50
	v_cmp_gt_i32_e64 s[14:15], s33, v53
	v_cmp_gt_i32_e64 s[16:17], s33, v54
	v_cndmask_b32_e64 v53, v52, v72, s[14:15]
	v_cndmask_b32_e64 v54, v52, v73, s[16:17]
	v_max3_f32 v51, v51, v53, v54
	v_or_b32_e32 v53, 34, v50
	v_or_b32_e32 v54, 35, v50
	v_fmac_f32_e32 v71, v89, v56
	v_cmp_gt_i32_e64 s[10:11], s33, v53
	v_cmp_gt_i32_e64 s[12:13], s33, v54
	v_cndmask_b32_e64 v53, v52, v70, s[10:11]
	v_cndmask_b32_e64 v54, v52, v71, s[12:13]
	v_cvt_f32_i32_e32 v55, v55
	v_max3_f32 v51, v51, v53, v54
	v_or_b32_e32 v53, 48, v50
	v_or_b32_e32 v54, 49, v50
	v_cmp_gt_i32_e64 s[2:3], s33, v53
	v_cmp_gt_i32_e64 s[8:9], s33, v54
	v_cndmask_b32_e64 v53, v52, v68, s[2:3]
	v_cndmask_b32_e64 v54, v52, v69, s[8:9]
	v_max3_f32 v51, v51, v53, v54
	v_or_b32_e32 v53, 50, v50
	v_or_b32_e32 v50, 51, v50
	v_fma_f32 v66, v89, v55, v66
	v_cmp_gt_i32_e32 vcc, s33, v53
	v_cmp_gt_i32_e64 s[0:1], s33, v50
	v_cndmask_b32_e32 v53, v52, v66, vcc
	v_cndmask_b32_e64 v50, v52, v67, s[0:1]
	v_max3_f32 v60, v51, v53, v50
	v_mbcnt_lo_u32_b32 v50, -1, 0
	v_mbcnt_hi_u32_b32 v61, -1, v50
	v_and_b32_e32 v50, 64, v61
	v_add_u32_e32 v62, 64, v50
	v_xor_b32_e32 v50, 32, v61
	v_cmp_lt_i32_e64 s[38:39], v50, v62
	v_cndmask_b32_e64 v50, v61, v50, s[38:39]
	v_lshlrev_b32_e32 v89, 2, v50
	ds_bpermute_b32 v63, v89, v60
	v_add_co_u32_e64 v50, s[38:39], v91, v82
	v_addc_co_u32_e64 v51, s[38:39], v84, v83, s[38:39]
	s_waitcnt lgkmcnt(0)
	v_max_f32_e32 v63, v63, v63
	v_max_f32_e32 v63, v60, v63
	v_xor_b32_e32 v60, 16, v61
	v_cmp_lt_i32_e64 s[38:39], v60, v62
	v_cndmask_b32_e64 v60, v61, v60, s[38:39]
	v_lshlrev_b32_e32 v92, 2, v60
	ds_bpermute_b32 v62, v92, v63
	v_add_co_u32_e64 v60, s[38:39], v91, v80
	v_addc_co_u32_e64 v61, s[38:39], v84, v81, s[38:39]
	s_waitcnt lgkmcnt(0)
	v_max_f32_e32 v62, v62, v62
	v_max_f32_e32 v82, v63, v62
	v_sub_f32_e32 v58, v58, v82
	v_mul_f32_e32 v58, 0x3fb8aa3b, v58
	v_exp_f32_e32 v80, v58
	v_sub_f32_e32 v58, v59, v82
	v_mul_f32_e32 v58, 0x3fb8aa3b, v58
	global_load_dwordx4 v[54:57], v[50:51], off
	s_nop 0
	global_load_dwordx4 v[50:53], v[50:51], off offset:16
	v_exp_f32_e32 v81, v58
	global_load_dwordx4 v[62:65], v[60:61], off
	s_nop 0
	global_load_dwordx4 v[58:61], v[60:61], off offset:16
	v_sub_f32_e32 v78, v78, v82
	v_mul_f32_e32 v78, 0x3fb8aa3b, v78
	v_sub_f32_e32 v79, v79, v82
	v_exp_f32_e32 v78, v78
	v_mul_f32_e32 v79, 0x3fb8aa3b, v79
	v_sub_f32_e32 v76, v76, v82
	v_exp_f32_e32 v79, v79
	v_mul_f32_e32 v76, 0x3fb8aa3b, v76
	v_sub_f32_e32 v77, v77, v82
	v_cndmask_b32_e64 v80, 0, v80, s[28:29]
	v_exp_f32_e32 v76, v76
	v_mul_f32_e32 v77, 0x3fb8aa3b, v77
	v_sub_f32_e32 v74, v74, v82
	v_add_f32_e32 v83, 0, v80
	v_cndmask_b32_e64 v81, 0, v81, s[30:31]
	v_exp_f32_e32 v77, v77
	v_mul_f32_e32 v74, 0x3fb8aa3b, v74
	v_sub_f32_e32 v75, v75, v82
	v_add_f32_e32 v83, v83, v81
	;; [unrolled: 5-line block ×10, first 2 shown]
	v_cndmask_b32_e64 v70, 0, v70, s[10:11]
	v_exp_f32_e32 v66, v66
	v_mul_f32_e32 v67, 0x3fb8aa3b, v67
	v_add_f32_e32 v83, v83, v70
	v_cndmask_b32_e64 v71, 0, v71, s[12:13]
	v_exp_f32_e32 v67, v67
	v_add_f32_e32 v83, v83, v71
	v_cndmask_b32_e64 v68, 0, v68, s[2:3]
	v_add_f32_e32 v83, v83, v68
	v_cndmask_b32_e64 v69, 0, v69, s[8:9]
	v_add_f32_e32 v83, v83, v69
	v_cndmask_b32_e32 v66, 0, v66, vcc
	v_add_f32_e32 v83, v83, v66
	v_cndmask_b32_e64 v67, 0, v67, s[0:1]
	v_add_f32_e32 v83, v83, v67
	ds_bpermute_b32 v84, v89, v83
	s_load_dword s3, s[4:5], 0x98
	v_cmp_gt_u32_e32 vcc, 16, v88
	s_waitcnt lgkmcnt(0)
	s_barrier
	v_add_f32_e32 v83, v83, v84
	ds_bpermute_b32 v89, v92, v83
	s_waitcnt lgkmcnt(0)
	s_and_saveexec_b64 s[0:1], vcc
	s_cbranch_execz .LBB294_15
; %bb.14:
	v_add_f32_e32 v83, v83, v89
	v_lshlrev_b32_e32 v84, 2, v90
	ds_write2st64_b32 v84, v82, v83 offset1:1
.LBB294_15:
	s_or_b64 exec, exec, s[0:1]
	v_lshlrev_b32_e32 v83, 2, v85
	s_load_dword s2, s[4:5], 0x94
	s_waitcnt lgkmcnt(0)
	s_barrier
	ds_read2_b32 v[88:89], v83 offset1:16
	ds_read2_b32 v[90:91], v83 offset0:32 offset1:48
	ds_read2_b32 v[92:93], v83 offset0:64 offset1:80
	s_movk_i32 s8, 0x7fff
	s_mov_b32 s9, 0x7060302
	s_waitcnt lgkmcnt(2)
	v_max3_f32 v82, v88, s40, v89
	s_waitcnt lgkmcnt(1)
	v_max3_f32 v82, v82, v90, v91
	v_sub_f32_e32 v84, v88, v82
	v_sub_f32_e32 v88, v89, v82
	v_mul_f32_e32 v88, 0x3fb8aa3b, v88
	v_mul_f32_e32 v84, 0x3fb8aa3b, v84
	v_exp_f32_e32 v94, v88
	v_sub_f32_e32 v88, v90, v82
	v_exp_f32_e32 v84, v84
	v_mul_f32_e32 v88, 0x3fb8aa3b, v88
	v_exp_f32_e32 v90, v88
	ds_read2_b32 v[88:89], v83 offset0:96 offset1:112
	v_sub_f32_e32 v83, v91, v82
	v_mul_f32_e32 v83, 0x3fb8aa3b, v83
	v_exp_f32_e32 v91, v83
	s_waitcnt lgkmcnt(1)
	v_fma_f32 v83, v84, v92, 0
	v_fmac_f32_e32 v83, v94, v93
	s_waitcnt lgkmcnt(0)
	v_fmac_f32_e32 v83, v90, v88
	v_fmac_f32_e32 v83, v91, v89
	v_add_f32_e32 v88, 0x358637bd, v83
	v_div_scale_f32 v89, s[0:1], v88, v88, 1.0
	v_rcp_f32_e32 v92, v89
	s_mul_i32 s3, s3, 7
	s_barrier
	v_fma_f32 v93, -v89, v92, 1.0
	v_fmac_f32_e32 v92, v93, v92
	v_div_scale_f32 v93, vcc, 1.0, v88, 1.0
	v_mul_f32_e32 v95, v93, v92
	v_fma_f32 v86, -v89, v95, v93
	v_fmac_f32_e32 v95, v86, v92
	v_fma_f32 v86, -v89, v95, v93
	v_div_fmas_f32 v86, v86, v92, v95
	v_cmp_eq_u32_e32 vcc, 1, v87
	v_cndmask_b32_e32 v84, v84, v94, vcc
	v_cmp_eq_u32_e32 vcc, 2, v87
	v_cndmask_b32_e32 v84, v84, v90, vcc
	v_cmp_eq_u32_e32 vcc, 3, v87
	v_div_fixup_f32 v86, v86, v88, 1.0
	v_cndmask_b32_e32 v84, v84, v91, vcc
	v_mul_f32_e32 v88, v84, v86
	v_pk_mul_f32 v[80:81], v[88:89], v[80:81] op_sel_hi:[0,1]
	v_bfe_u32 v84, v81, 16, 1
	v_bfe_u32 v86, v80, 16, 1
	v_pk_mul_f32 v[78:79], v[88:89], v[78:79] op_sel_hi:[0,1]
	v_add3_u32 v80, v80, v86, s8
	v_add3_u32 v81, v81, v84, s8
	v_perm_b32 v80, v81, v80, s9
	v_bfe_u32 v81, v79, 16, 1
	v_bfe_u32 v84, v78, 16, 1
	v_add3_u32 v78, v78, v84, s8
	v_add3_u32 v79, v79, v81, s8
	v_perm_b32 v81, v79, v78, s9
	v_lshlrev_b32_e32 v78, 3, v1
	v_lshlrev_b32_e32 v79, 5, v85
	;; [unrolled: 1-line block ×3, first 2 shown]
	v_pk_mul_f32 v[76:77], v[88:89], v[76:77] op_sel_hi:[0,1]
	v_or3_b32 v78, v84, v79, v78
	v_bfe_u32 v84, v77, 16, 1
	v_bfe_u32 v86, v76, 16, 1
	v_pk_mul_f32 v[74:75], v[88:89], v[74:75] op_sel_hi:[0,1]
	v_add3_u32 v76, v76, v86, s8
	v_add3_u32 v77, v77, v84, s8
	v_perm_b32 v76, v77, v76, s9
	v_bfe_u32 v77, v75, 16, 1
	v_bfe_u32 v84, v74, 16, 1
	v_add3_u32 v74, v74, v84, s8
	v_add3_u32 v75, v75, v77, s8
	v_pk_mul_f32 v[72:73], v[88:89], v[72:73] op_sel_hi:[0,1]
	v_perm_b32 v77, v75, v74, s9
	v_bfe_u32 v74, v73, 16, 1
	v_bfe_u32 v75, v72, 16, 1
	v_pk_mul_f32 v[70:71], v[88:89], v[70:71] op_sel_hi:[0,1]
	v_add3_u32 v72, v72, v75, s8
	v_add3_u32 v73, v73, v74, s8
	v_perm_b32 v72, v73, v72, s9
	v_bfe_u32 v73, v71, 16, 1
	v_bfe_u32 v74, v70, 16, 1
	v_add3_u32 v70, v70, v74, s8
	v_add3_u32 v71, v71, v73, s8
	v_pk_mul_f32 v[68:69], v[88:89], v[68:69] op_sel_hi:[0,1]
	v_perm_b32 v73, v71, v70, s9
	v_bfe_u32 v70, v69, 16, 1
	v_bfe_u32 v71, v68, 16, 1
	v_pk_mul_f32 v[66:67], v[88:89], v[66:67] op_sel_hi:[0,1]
	v_add3_u32 v68, v68, v71, s8
	v_add3_u32 v69, v69, v70, s8
	v_perm_b32 v68, v69, v68, s9
	v_bfe_u32 v69, v67, 16, 1
	v_bfe_u32 v70, v66, 16, 1
	v_add3_u32 v66, v66, v70, s8
	v_add3_u32 v67, v67, v69, s8
	v_perm_b32 v69, v67, v66, s9
	v_cmp_gt_u32_e32 vcc, 7, v0
	ds_write2st64_b64 v78, v[80:81], v[76:77] offset1:1
	ds_write2st64_b64 v78, v[72:73], v[68:69] offset0:2 offset1:3
	s_and_saveexec_b64 s[0:1], vcc
	s_cbranch_execz .LBB294_17
; %bb.16:
	v_add_co_u32_e32 v68, vcc, s27, v85
	v_addc_co_u32_e64 v69, s[10:11], 0, 0, vcc
	v_mov_b32_e32 v66, s3
	v_mov_b32_e32 v67, 0
	v_mad_u64_u32 v[68:69], s[10:11], s6, v66, v[68:69]
	v_mov_b32_e32 v66, s26
	s_load_dwordx4 s[12:15], s[4:5], 0x58
	s_mul_i32 s7, s7, s3
	v_mad_u64_u32 v[66:67], s[10:11], v68, s2, v[66:67]
	v_add_u32_e32 v69, s7, v69
	v_mov_b32_e32 v68, v67
	v_mad_u64_u32 v[68:69], s[10:11], v69, s2, v[68:69]
	v_mov_b32_e32 v67, v68
	v_lshlrev_b64 v[66:67], 2, v[66:67]
	s_waitcnt lgkmcnt(0)
	v_mov_b32_e32 v69, s15
	v_add_co_u32_e32 v68, vcc, s14, v66
	v_addc_co_u32_e32 v69, vcc, v69, v67, vcc
	global_store_dword v[68:69], v82, off
	v_mov_b32_e32 v68, s13
	v_add_co_u32_e32 v66, vcc, s12, v66
	v_addc_co_u32_e32 v67, vcc, v68, v67, vcc
	global_store_dword v[66:67], v83, off
.LBB294_17:
	s_or_b64 exec, exec, s[0:1]
	v_lshl_or_b32 v79, v1, 9, v79
	s_waitcnt lgkmcnt(0)
	s_barrier
	ds_read_b128 v[70:73], v79
	ds_read_b128 v[66:69], v79 offset:16
	s_waitcnt vmcnt(15) lgkmcnt(1)
	v_mfma_f32_16x16x16bf16_1k v[74:77], v[46:47], v[70:71], 0
	s_mov_b32 s1, 0
	v_cmp_gt_u32_e32 vcc, 64, v0
	v_mfma_f32_16x16x16bf16_1k v[46:49], v[48:49], v[72:73], v[74:77]
	s_waitcnt vmcnt(14) lgkmcnt(0)
	v_mfma_f32_16x16x16bf16_1k v[46:49], v[42:43], v[66:67], v[46:49]
	v_mfma_f32_16x16x16bf16_1k v[42:45], v[44:45], v[68:69], v[46:49]
	s_nop 7
	s_nop 1
	ds_read_b128 v[46:49], v79 offset:2048
	ds_read_b128 v[74:77], v79 offset:2064
	s_waitcnt vmcnt(13) lgkmcnt(1)
	v_mfma_f32_16x16x16bf16_1k v[42:45], v[38:39], v[46:47], v[42:45]
	v_mfma_f32_16x16x16bf16_1k v[38:41], v[40:41], v[48:49], v[42:45]
	s_waitcnt vmcnt(12) lgkmcnt(0)
	v_mfma_f32_16x16x16bf16_1k v[38:41], v[34:35], v[74:75], v[38:41]
	v_mfma_f32_16x16x16bf16_1k v[34:37], v[36:37], v[76:77], v[38:41]
	s_nop 7
	s_nop 1
	ds_read_b128 v[38:41], v79 offset:4096
	ds_read_b128 v[42:45], v79 offset:4112
	s_waitcnt vmcnt(11) lgkmcnt(1)
	v_mfma_f32_16x16x16bf16_1k v[34:37], v[30:31], v[38:39], v[34:37]
	v_mfma_f32_16x16x16bf16_1k v[30:33], v[32:33], v[40:41], v[34:37]
	s_waitcnt vmcnt(10) lgkmcnt(0)
	v_mfma_f32_16x16x16bf16_1k v[30:33], v[26:27], v[42:43], v[30:33]
	v_mfma_f32_16x16x16bf16_1k v[26:29], v[28:29], v[44:45], v[30:33]
	s_nop 7
	s_nop 1
	ds_read_b128 v[30:33], v79 offset:6144
	ds_read_b128 v[34:37], v79 offset:6160
	s_waitcnt lgkmcnt(0)
	s_barrier
	s_waitcnt vmcnt(9)
	v_mfma_f32_16x16x16bf16_1k v[26:29], v[22:23], v[30:31], v[26:29]
	v_mfma_f32_16x16x16bf16_1k v[22:25], v[24:25], v[32:33], v[26:29]
	s_waitcnt vmcnt(8)
	v_mfma_f32_16x16x16bf16_1k v[22:25], v[18:19], v[34:35], v[22:25]
	v_mfma_f32_16x16x16bf16_1k v[18:21], v[20:21], v[36:37], v[22:25]
	;; [unrolled: 3-line block ×4, first 2 shown]
	s_waitcnt vmcnt(5)
	v_mfma_f32_16x16x16bf16_1k v[2:5], v[14:15], v[46:47], v[2:5]
	s_nop 7
	v_bfe_u32 v6, v19, 16, 1
	v_bfe_u32 v7, v18, 16, 1
	v_add3_u32 v7, v18, v7, s8
	v_add3_u32 v6, v19, v6, s8
	v_perm_b32 v6, v6, v7, s9
	v_bfe_u32 v7, v21, 16, 1
	v_bfe_u32 v8, v20, 16, 1
	v_mfma_f32_16x16x16bf16_1k v[2:5], v[16:17], v[48:49], v[2:5]
	v_add3_u32 v8, v20, v8, s8
	v_add3_u32 v7, v21, v7, s8
	v_perm_b32 v7, v7, v8, s9
	s_waitcnt vmcnt(4)
	v_mfma_f32_16x16x16bf16_1k v[2:5], v[10:11], v[74:75], v[2:5]
	v_mfma_f32_16x16x16bf16_1k v[2:5], v[12:13], v[76:77], v[2:5]
	s_waitcnt vmcnt(3)
	v_mfma_f32_16x16x16bf16_1k v[2:5], v[54:55], v[38:39], v[2:5]
	v_mfma_f32_16x16x16bf16_1k v[2:5], v[56:57], v[40:41], v[2:5]
	s_waitcnt vmcnt(2)
	v_mfma_f32_16x16x16bf16_1k v[2:5], v[50:51], v[42:43], v[2:5]
	v_mfma_f32_16x16x16bf16_1k v[2:5], v[52:53], v[44:45], v[2:5]
	s_waitcnt vmcnt(1)
	v_mfma_f32_16x16x16bf16_1k v[2:5], v[62:63], v[30:31], v[2:5]
	v_mfma_f32_16x16x16bf16_1k v[2:5], v[64:65], v[32:33], v[2:5]
	s_waitcnt vmcnt(0)
	v_mfma_f32_16x16x16bf16_1k v[2:5], v[58:59], v[34:35], v[2:5]
	v_mfma_f32_16x16x16bf16_1k v[2:5], v[60:61], v[36:37], v[2:5]
	s_nop 7
	s_nop 2
	v_bfe_u32 v8, v3, 16, 1
	v_bfe_u32 v9, v2, 16, 1
	v_add3_u32 v2, v2, v9, s8
	v_add3_u32 v3, v3, v8, s8
	v_perm_b32 v2, v3, v2, s9
	v_bfe_u32 v3, v5, 16, 1
	v_bfe_u32 v8, v4, 16, 1
	v_add3_u32 v4, v4, v8, s8
	v_add3_u32 v3, v5, v3, s8
	v_perm_b32 v3, v3, v4, s9
	ds_write2st64_b64 v78, v[6:7], v[2:3] offset1:1
	s_waitcnt lgkmcnt(0)
	s_barrier
	s_and_saveexec_b64 s[8:9], vcc
	s_cbranch_execz .LBB294_20
; %bb.18:
	v_lshlrev_b32_e32 v4, 6, v85
	v_lshlrev_b32_e32 v3, 4, v0
	v_lshl_or_b32 v0, v0, 10, v4
	v_lshlrev_b32_e32 v2, 5, v1
	v_and_b32_e32 v3, 16, v3
	v_and_b32_e32 v0, 0x1a00, v0
	v_or3_b32 v0, v0, v2, v3
	buffer_load_dword v2, off, s[44:47], 0  ; 4-byte Folded Reload
	s_load_dwordx2 s[4:5], s[4:5], 0x68
	s_lshl_b32 s2, s2, 7
	s_mul_i32 s0, s3, s6
	s_mul_hi_u32 s7, s0, s2
	s_mul_i32 s6, s0, s2
	s_lshl_b64 s[6:7], s[6:7], 1
	s_waitcnt lgkmcnt(0)
	s_add_u32 s3, s4, s6
	s_addc_u32 s4, s5, s7
	s_lshl_b32 s0, s26, 7
	s_lshl_b64 s[0:1], s[0:1], 1
	s_add_u32 s0, s3, s0
	s_addc_u32 s1, s4, s1
	v_add_u32_e32 v8, s27, v1
	v_mov_b32_e32 v3, s1
	ds_read_b128 v[4:7], v0
	s_waitcnt vmcnt(0)
	v_add_co_u32_e32 v2, vcc, s0, v2
	v_mad_u64_u32 v[8:9], s[0:1], v8, s2, 0
	v_addc_co_u32_e32 v3, vcc, 0, v3, vcc
	v_lshlrev_b64 v[8:9], 1, v[8:9]
	v_add_co_u32_e32 v8, vcc, v2, v8
	v_addc_co_u32_e32 v9, vcc, v3, v9, vcc
	v_cmp_ne_u32_e32 vcc, 3, v1
	s_waitcnt lgkmcnt(0)
	global_store_dwordx4 v[8:9], v[4:7], off
	s_and_b64 exec, exec, vcc
	s_cbranch_execz .LBB294_20
; %bb.19:
	ds_read_b128 v[4:7], v0 offset:128
	v_add3_u32 v0, s27, v1, 4
	v_mad_u64_u32 v[0:1], s[0:1], v0, s2, 0
	v_lshlrev_b64 v[0:1], 1, v[0:1]
	v_add_co_u32_e32 v0, vcc, v2, v0
	v_addc_co_u32_e32 v1, vcc, v3, v1, vcc
	s_waitcnt lgkmcnt(0)
	global_store_dwordx4 v[0:1], v[4:7], off
.LBB294_20:
	s_endpgm
	.section	.rodata,"a",@progbits
	.p2align	6, 0x0
	.amdhsa_kernel _Z39paged_attention_ll4mi_QKV_mfma16_kernelI14__hip_bfloat16S0_LN4vllm18Fp8KVCacheDataTypeE0ES0_Li16ELi128ELi256ELb1ELi7EL8MFMAType0EEvPKT_PKT0_S9_ifPKiSB_SB_iPKfiiiPfSE_PS4_PT2_iSD_SD_
		.amdhsa_group_segment_fixed_size 8192
		.amdhsa_private_segment_fixed_size 8
		.amdhsa_kernarg_size 400
		.amdhsa_user_sgpr_count 6
		.amdhsa_user_sgpr_private_segment_buffer 1
		.amdhsa_user_sgpr_dispatch_ptr 0
		.amdhsa_user_sgpr_queue_ptr 0
		.amdhsa_user_sgpr_kernarg_segment_ptr 1
		.amdhsa_user_sgpr_dispatch_id 0
		.amdhsa_user_sgpr_flat_scratch_init 0
		.amdhsa_user_sgpr_kernarg_preload_length 0
		.amdhsa_user_sgpr_kernarg_preload_offset 0
		.amdhsa_user_sgpr_private_segment_size 0
		.amdhsa_uses_dynamic_stack 0
		.amdhsa_system_sgpr_private_segment_wavefront_offset 1
		.amdhsa_system_sgpr_workgroup_id_x 1
		.amdhsa_system_sgpr_workgroup_id_y 1
		.amdhsa_system_sgpr_workgroup_id_z 1
		.amdhsa_system_sgpr_workgroup_info 0
		.amdhsa_system_vgpr_workitem_id 0
		.amdhsa_next_free_vgpr 96
		.amdhsa_next_free_sgpr 48
		.amdhsa_accum_offset 96
		.amdhsa_reserve_vcc 1
		.amdhsa_reserve_flat_scratch 0
		.amdhsa_float_round_mode_32 0
		.amdhsa_float_round_mode_16_64 0
		.amdhsa_float_denorm_mode_32 3
		.amdhsa_float_denorm_mode_16_64 3
		.amdhsa_dx10_clamp 1
		.amdhsa_ieee_mode 1
		.amdhsa_fp16_overflow 0
		.amdhsa_tg_split 0
		.amdhsa_exception_fp_ieee_invalid_op 0
		.amdhsa_exception_fp_denorm_src 0
		.amdhsa_exception_fp_ieee_div_zero 0
		.amdhsa_exception_fp_ieee_overflow 0
		.amdhsa_exception_fp_ieee_underflow 0
		.amdhsa_exception_fp_ieee_inexact 0
		.amdhsa_exception_int_div_zero 0
	.end_amdhsa_kernel
	.section	.text._Z39paged_attention_ll4mi_QKV_mfma16_kernelI14__hip_bfloat16S0_LN4vllm18Fp8KVCacheDataTypeE0ES0_Li16ELi128ELi256ELb1ELi7EL8MFMAType0EEvPKT_PKT0_S9_ifPKiSB_SB_iPKfiiiPfSE_PS4_PT2_iSD_SD_,"axG",@progbits,_Z39paged_attention_ll4mi_QKV_mfma16_kernelI14__hip_bfloat16S0_LN4vllm18Fp8KVCacheDataTypeE0ES0_Li16ELi128ELi256ELb1ELi7EL8MFMAType0EEvPKT_PKT0_S9_ifPKiSB_SB_iPKfiiiPfSE_PS4_PT2_iSD_SD_,comdat
.Lfunc_end294:
	.size	_Z39paged_attention_ll4mi_QKV_mfma16_kernelI14__hip_bfloat16S0_LN4vllm18Fp8KVCacheDataTypeE0ES0_Li16ELi128ELi256ELb1ELi7EL8MFMAType0EEvPKT_PKT0_S9_ifPKiSB_SB_iPKfiiiPfSE_PS4_PT2_iSD_SD_, .Lfunc_end294-_Z39paged_attention_ll4mi_QKV_mfma16_kernelI14__hip_bfloat16S0_LN4vllm18Fp8KVCacheDataTypeE0ES0_Li16ELi128ELi256ELb1ELi7EL8MFMAType0EEvPKT_PKT0_S9_ifPKiSB_SB_iPKfiiiPfSE_PS4_PT2_iSD_SD_
                                        ; -- End function
	.section	.AMDGPU.csdata,"",@progbits
; Kernel info:
; codeLenInByte = 5204
; NumSgprs: 52
; NumVgprs: 96
; NumAgprs: 0
; TotalNumVgprs: 96
; ScratchSize: 8
; MemoryBound: 0
; FloatMode: 240
; IeeeMode: 1
; LDSByteSize: 8192 bytes/workgroup (compile time only)
; SGPRBlocks: 6
; VGPRBlocks: 11
; NumSGPRsForWavesPerEU: 52
; NumVGPRsForWavesPerEU: 96
; AccumOffset: 96
; Occupancy: 5
; WaveLimiterHint : 1
; COMPUTE_PGM_RSRC2:SCRATCH_EN: 1
; COMPUTE_PGM_RSRC2:USER_SGPR: 6
; COMPUTE_PGM_RSRC2:TRAP_HANDLER: 0
; COMPUTE_PGM_RSRC2:TGID_X_EN: 1
; COMPUTE_PGM_RSRC2:TGID_Y_EN: 1
; COMPUTE_PGM_RSRC2:TGID_Z_EN: 1
; COMPUTE_PGM_RSRC2:TIDIG_COMP_CNT: 0
; COMPUTE_PGM_RSRC3_GFX90A:ACCUM_OFFSET: 23
; COMPUTE_PGM_RSRC3_GFX90A:TG_SPLIT: 0
	.section	.text._Z39paged_attention_ll4mi_QKV_mfma16_kernelI14__hip_bfloat16S0_LN4vllm18Fp8KVCacheDataTypeE0ES0_Li16ELi128ELi256ELb1ELi8EL8MFMAType0EEvPKT_PKT0_S9_ifPKiSB_SB_iPKfiiiPfSE_PS4_PT2_iSD_SD_,"axG",@progbits,_Z39paged_attention_ll4mi_QKV_mfma16_kernelI14__hip_bfloat16S0_LN4vllm18Fp8KVCacheDataTypeE0ES0_Li16ELi128ELi256ELb1ELi8EL8MFMAType0EEvPKT_PKT0_S9_ifPKiSB_SB_iPKfiiiPfSE_PS4_PT2_iSD_SD_,comdat
	.protected	_Z39paged_attention_ll4mi_QKV_mfma16_kernelI14__hip_bfloat16S0_LN4vllm18Fp8KVCacheDataTypeE0ES0_Li16ELi128ELi256ELb1ELi8EL8MFMAType0EEvPKT_PKT0_S9_ifPKiSB_SB_iPKfiiiPfSE_PS4_PT2_iSD_SD_ ; -- Begin function _Z39paged_attention_ll4mi_QKV_mfma16_kernelI14__hip_bfloat16S0_LN4vllm18Fp8KVCacheDataTypeE0ES0_Li16ELi128ELi256ELb1ELi8EL8MFMAType0EEvPKT_PKT0_S9_ifPKiSB_SB_iPKfiiiPfSE_PS4_PT2_iSD_SD_
	.globl	_Z39paged_attention_ll4mi_QKV_mfma16_kernelI14__hip_bfloat16S0_LN4vllm18Fp8KVCacheDataTypeE0ES0_Li16ELi128ELi256ELb1ELi8EL8MFMAType0EEvPKT_PKT0_S9_ifPKiSB_SB_iPKfiiiPfSE_PS4_PT2_iSD_SD_
	.p2align	8
	.type	_Z39paged_attention_ll4mi_QKV_mfma16_kernelI14__hip_bfloat16S0_LN4vllm18Fp8KVCacheDataTypeE0ES0_Li16ELi128ELi256ELb1ELi8EL8MFMAType0EEvPKT_PKT0_S9_ifPKiSB_SB_iPKfiiiPfSE_PS4_PT2_iSD_SD_,@function
_Z39paged_attention_ll4mi_QKV_mfma16_kernelI14__hip_bfloat16S0_LN4vllm18Fp8KVCacheDataTypeE0ES0_Li16ELi128ELi256ELb1ELi8EL8MFMAType0EEvPKT_PKT0_S9_ifPKiSB_SB_iPKfiiiPfSE_PS4_PT2_iSD_SD_: ; @_Z39paged_attention_ll4mi_QKV_mfma16_kernelI14__hip_bfloat16S0_LN4vllm18Fp8KVCacheDataTypeE0ES0_Li16ELi128ELi256ELb1ELi8EL8MFMAType0EEvPKT_PKT0_S9_ifPKiSB_SB_iPKfiiiPfSE_PS4_PT2_iSD_SD_
; %bb.0:
	s_mov_b64 s[46:47], s[2:3]
	s_mov_b64 s[44:45], s[0:1]
	s_load_dwordx2 s[0:1], s[4:5], 0x30
	s_add_u32 s44, s44, s9
	s_addc_u32 s45, s45, 0
	s_mov_b32 s26, s7
	s_mov_b64 s[10:11], 0
	s_waitcnt lgkmcnt(0)
	s_cmp_lg_u64 s[0:1], 0
	s_cselect_b64 s[2:3], -1, 0
	s_and_b64 vcc, exec, s[2:3]
	s_cbranch_vccz .LBB295_7
; %bb.1:
	s_add_i32 s12, s6, 1
	s_mov_b32 s13, 0
	s_lshl_b64 s[14:15], s[12:13], 2
	s_add_u32 s14, s0, s14
	s_mov_b32 s7, s13
	s_addc_u32 s15, s1, s15
	s_lshl_b64 s[12:13], s[6:7], 2
	s_add_u32 s12, s0, s12
	s_addc_u32 s13, s1, s13
	s_load_dword s9, s[14:15], 0x0
	s_load_dword s16, s[12:13], 0x0
	s_waitcnt lgkmcnt(0)
	s_sub_i32 s9, s9, s16
	s_cmp_eq_u32 s9, 1
	s_cselect_b64 s[12:13], -1, 0
	s_andn2_b64 vcc, exec, s[10:11]
	s_cbranch_vccnz .LBB295_3
.LBB295_2:
	s_mov_b32 s7, 0
	s_mov_b64 s[12:13], -1
.LBB295_3:
	s_andn2_b64 vcc, exec, s[12:13]
	s_cbranch_vccnz .LBB295_19
; %bb.4:
	s_load_dwordx2 s[12:13], s[4:5], 0x28
	s_lshl_b64 s[10:11], s[6:7], 2
	s_waitcnt lgkmcnt(0)
	s_add_u32 s12, s12, s10
	s_addc_u32 s13, s13, s11
	s_load_dword s33, s[12:13], 0x0
	s_lshl_b32 s16, s26, 8
	s_waitcnt lgkmcnt(0)
	s_cmp_ge_i32 s16, s33
	s_cbranch_scc1 .LBB295_19
; %bb.5:
	s_add_i32 s14, s33, 15
	s_load_dwordx2 s[12:13], s[4:5], 0x20
	s_load_dword s9, s[4:5], 0x38
	s_ashr_i32 s15, s14, 31
	v_and_b32_e32 v1, 0xcf, v0
	s_lshr_b32 s15, s15, 28
	v_add_u32_e32 v1, s16, v1
	s_add_i32 s14, s14, s15
	v_ashrrev_i32_e32 v2, 31, v1
	s_ashr_i32 s19, s14, 4
	v_lshrrev_b32_e32 v4, 28, v2
	s_add_i32 s19, s19, -1
	v_add_u32_e32 v2, v1, v4
	s_waitcnt lgkmcnt(0)
	s_mul_i32 s14, s6, s9
	s_mov_b32 s15, 0
	v_ashrrev_i32_e32 v2, 4, v2
	v_mov_b32_e32 v5, s19
	v_cmp_gt_i32_e32 vcc, s33, v1
	s_lshl_b64 s[14:15], s[14:15], 2
	v_cndmask_b32_e32 v2, v5, v2, vcc
	s_add_u32 s17, s12, s14
	v_ashrrev_i32_e32 v3, 31, v2
	s_addc_u32 s18, s13, s15
	v_lshlrev_b64 v[2:3], 2, v[2:3]
	v_mov_b32_e32 v7, s18
	v_add_co_u32_e32 v6, vcc, s17, v2
	v_or_b32_e32 v2, 16, v1
	v_addc_co_u32_e32 v7, vcc, v7, v3, vcc
	v_add_u32_e32 v3, v2, v4
	v_ashrrev_i32_e32 v3, 4, v3
	v_cmp_gt_i32_e32 vcc, s33, v2
	v_cndmask_b32_e32 v2, v5, v3, vcc
	v_ashrrev_i32_e32 v3, 31, v2
	v_lshlrev_b64 v[2:3], 2, v[2:3]
	v_mov_b32_e32 v9, s18
	v_add_co_u32_e32 v8, vcc, s17, v2
	v_or_b32_e32 v2, 32, v1
	v_addc_co_u32_e32 v9, vcc, v9, v3, vcc
	v_add_u32_e32 v3, v2, v4
	v_ashrrev_i32_e32 v3, 4, v3
	v_cmp_gt_i32_e32 vcc, s33, v2
	v_cndmask_b32_e32 v2, v5, v3, vcc
	v_ashrrev_i32_e32 v3, 31, v2
	;; [unrolled: 10-line block ×3, first 2 shown]
	v_lshlrev_b64 v[2:3], 2, v[2:3]
	v_mov_b32_e32 v1, s18
	v_add_co_u32_e32 v12, vcc, s17, v2
	v_addc_co_u32_e32 v13, vcc, v1, v3, vcc
	global_load_dword v5, v[6:7], off
	global_load_dword v4, v[8:9], off
	;; [unrolled: 1-line block ×4, first 2 shown]
	s_load_dwordx2 s[12:13], s[4:5], 0x8
	s_andn2_b64 vcc, exec, s[2:3]
	s_cbranch_vccnz .LBB295_8
; %bb.6:
	s_add_u32 s0, s0, s10
	s_addc_u32 s1, s1, s11
	s_load_dword s9, s[0:1], 0x0
	s_branch .LBB295_9
.LBB295_7:
	s_mov_b64 s[12:13], 0
	s_branch .LBB295_2
.LBB295_8:
	s_mov_b32 s9, s6
.LBB295_9:
	s_load_dwordx2 s[10:11], s[4:5], 0x10
	s_load_dwordx4 s[0:3], s[4:5], 0x48
	v_and_b32_e32 v85, 15, v0
	v_lshlrev_b32_e32 v6, 3, v85
	s_waitcnt lgkmcnt(0)
	s_movk_i32 s3, 0x80
	v_lshrrev_b32_e32 v87, 6, v0
	v_bfe_u32 v1, v0, 4, 2
	s_lshl_b32 s27, s8, 3
	v_cmp_gt_u32_e32 vcc, s3, v0
	v_lshlrev_b32_e32 v6, 1, v6
	buffer_store_dword v6, off, s[44:47], 0 ; 4-byte Folded Spill
	s_and_saveexec_b64 s[14:15], vcc
	s_cbranch_execz .LBB295_11
; %bb.10:
	s_load_dwordx2 s[20:21], s[4:5], 0x0
	s_ashr_i32 s3, s0, 31
	s_mul_hi_u32 s22, s9, s0
	s_mul_i32 s3, s9, s3
	v_lshl_or_b32 v10, v87, 2, v1
	s_add_i32 s23, s22, s3
	s_mul_i32 s22, s9, s0
	s_lshl_b64 s[22:23], s[22:23], 1
	v_add_lshl_u32 v6, v10, s27, 7
	s_waitcnt lgkmcnt(0)
	s_add_u32 s0, s20, s22
	v_ashrrev_i32_e32 v7, 31, v6
	s_addc_u32 s3, s21, s23
	v_lshlrev_b64 v[6:7], 1, v[6:7]
	v_mov_b32_e32 v8, s3
	v_add_co_u32_e32 v6, vcc, s0, v6
	v_addc_co_u32_e32 v7, vcc, v8, v7, vcc
	buffer_load_dword v8, off, s[44:47], 0  ; 4-byte Folded Reload
	v_and_b32_e32 v11, 3, v0
	v_lshlrev_b32_e32 v12, 9, v85
	v_lshlrev_b32_e32 v10, 5, v10
	;; [unrolled: 1-line block ×3, first 2 shown]
	v_and_b32_e32 v12, 0x1800, v12
	v_or3_b32 v10, v12, v11, v10
	s_waitcnt vmcnt(0)
	v_add_co_u32_e32 v6, vcc, v6, v8
	v_addc_co_u32_e32 v7, vcc, 0, v7, vcc
	global_load_dwordx4 v[6:9], v[6:7], off
	s_waitcnt vmcnt(0)
	ds_write_b128 v10, v[6:9]
.LBB295_11:
	s_or_b64 exec, exec, s[14:15]
	s_mul_i32 s2, s8, s2
	s_mov_b32 s3, 0
	s_lshl_b64 s[2:3], s[2:3], 1
	s_add_u32 s0, s12, s2
	v_lshlrev_b32_e32 v10, 4, v0
	s_addc_u32 s8, s13, s3
	v_and_b32_e32 v6, 0xf0, v10
	v_mov_b32_e32 v7, s8
	v_add_co_u32_e32 v8, vcc, s0, v6
	v_addc_co_u32_e32 v9, vcc, 0, v7, vcc
	s_waitcnt vmcnt(4)
	v_mad_i64_i32 v[6:7], s[8:9], v5, s1, 0
	v_lshlrev_b64 v[6:7], 1, v[6:7]
	v_add_co_u32_e32 v5, vcc, v8, v6
	v_addc_co_u32_e32 v7, vcc, v9, v7, vcc
	v_and_b32_e32 v10, 0x300, v10
	v_add_co_u32_e32 v6, vcc, v5, v10
	s_waitcnt vmcnt(3)
	v_mad_i64_i32 v[4:5], s[8:9], v4, s1, 0
	v_addc_co_u32_e32 v7, vcc, 0, v7, vcc
	v_lshlrev_b64 v[4:5], 1, v[4:5]
	v_add_co_u32_e32 v4, vcc, v8, v4
	v_addc_co_u32_e32 v5, vcc, v9, v5, vcc
	v_add_co_u32_e32 v4, vcc, v4, v10
	v_addc_co_u32_e32 v5, vcc, 0, v5, vcc
	s_waitcnt lgkmcnt(0)
	s_barrier
	global_load_dwordx4 v[74:77], v[6:7], off
	global_load_dwordx4 v[66:69], v[6:7], off offset:1024
	global_load_dwordx4 v[58:61], v[6:7], off offset:2048
	;; [unrolled: 1-line block ×3, first 2 shown]
	global_load_dwordx4 v[78:81], v[4:5], off
	global_load_dwordx4 v[70:73], v[4:5], off offset:1024
	global_load_dwordx4 v[62:65], v[4:5], off offset:2048
	;; [unrolled: 1-line block ×3, first 2 shown]
	s_waitcnt vmcnt(10)
	v_mad_i64_i32 v[4:5], s[8:9], v3, s1, 0
	v_lshlrev_b64 v[4:5], 1, v[4:5]
	v_add_co_u32_e32 v3, vcc, v8, v4
	v_addc_co_u32_e32 v5, vcc, v9, v5, vcc
	v_add_co_u32_e32 v4, vcc, v3, v10
	s_waitcnt vmcnt(9)
	v_mad_i64_i32 v[2:3], s[8:9], v2, s1, 0
	v_addc_co_u32_e32 v5, vcc, 0, v5, vcc
	v_lshlrev_b64 v[2:3], 1, v[2:3]
	v_add_co_u32_e32 v2, vcc, v8, v2
	v_addc_co_u32_e32 v3, vcc, v9, v3, vcc
	v_add_co_u32_e32 v6, vcc, v2, v10
	v_addc_co_u32_e32 v7, vcc, 0, v3, vcc
	global_load_dwordx4 v[38:41], v[4:5], off
	global_load_dwordx4 v[34:37], v[4:5], off offset:1024
	global_load_dwordx4 v[30:33], v[4:5], off offset:2048
	;; [unrolled: 1-line block ×3, first 2 shown]
	global_load_dwordx4 v[18:21], v[6:7], off
	global_load_dwordx4 v[10:13], v[6:7], off offset:1024
	s_nop 0
	global_load_dwordx4 v[2:5], v[6:7], off offset:2048
	global_load_dwordx4 v[50:53], v[6:7], off offset:3072
	v_and_b32_e32 v6, 7, v0
	v_lshlrev_b32_e32 v6, 5, v6
	v_lshl_or_b32 v54, v1, 9, v6
	ds_read_b128 v[22:25], v54
	ds_read_b128 v[14:17], v54 offset:2048
	ds_read_b128 v[6:9], v54 offset:4096
	;; [unrolled: 1-line block ×3, first 2 shown]
	v_and_b32_e32 v88, 63, v0
	v_cmp_gt_u32_e32 vcc, 8, v85
	v_mov_b32_e32 v89, 0
	s_and_saveexec_b64 s[8:9], vcc
	s_cbranch_execz .LBB295_13
; %bb.12:
	s_load_dwordx2 s[12:13], s[4:5], 0x40
	v_or_b32_e32 v82, s27, v85
	v_ashrrev_i32_e32 v83, 31, v82
	v_lshlrev_b64 v[82:83], 2, v[82:83]
	s_waitcnt lgkmcnt(0)
	v_mov_b32_e32 v89, s13
	v_add_co_u32_e32 v82, vcc, s12, v82
	v_addc_co_u32_e32 v83, vcc, v89, v83, vcc
	global_load_dword v89, v[82:83], off
.LBB295_13:
	s_or_b64 exec, exec, s[8:9]
	s_waitcnt vmcnt(15) lgkmcnt(3)
	v_mfma_f32_16x16x16bf16_1k v[90:93], v[74:75], v[22:23], 0
	s_add_u32 s8, s10, s2
	s_addc_u32 s9, s11, s3
	s_load_dword s0, s[4:5], 0x1c
	s_mov_b32 s40, 0xff7fffff
	v_mfma_f32_16x16x16bf16_1k v[74:77], v[76:77], v[24:25], v[90:93]
	s_waitcnt vmcnt(14) lgkmcnt(0)
	v_mfma_f32_16x16x16bf16_1k v[74:77], v[66:67], v[14:15], v[74:77]
	s_nop 4
	v_lshl_or_b32 v90, v87, 4, v85
	v_mfma_f32_16x16x16bf16_1k v[66:69], v[68:69], v[16:17], v[74:77]
	s_waitcnt vmcnt(13)
	v_mfma_f32_16x16x16bf16_1k v[66:69], v[58:59], v[6:7], v[66:69]
	s_nop 4
	v_lshlrev_b32_e32 v76, 5, v90
	v_mfma_f32_16x16x16bf16_1k v[58:61], v[60:61], v[8:9], v[66:69]
	s_waitcnt vmcnt(12)
	v_mfma_f32_16x16x16bf16_1k v[58:61], v[42:43], v[54:55], v[58:61]
	s_nop 4
	v_mov_b32_e32 v66, s18
	v_mfma_f32_16x16x16bf16_1k v[58:61], v[44:45], v[56:57], v[58:61]
	s_waitcnt vmcnt(11)
	v_mfma_f32_16x16x16bf16_1k v[42:45], v[78:79], v[22:23], 0
	s_nop 7
	s_nop 0
	v_pk_mul_f32 v[58:59], s[0:1], v[58:59] op_sel_hi:[0,1]
	v_mfma_f32_16x16x16bf16_1k v[42:45], v[80:81], v[24:25], v[42:45]
	s_waitcnt vmcnt(10)
	v_mfma_f32_16x16x16bf16_1k v[42:45], v[70:71], v[14:15], v[42:45]
	v_mfma_f32_16x16x16bf16_1k v[42:45], v[72:73], v[16:17], v[42:45]
	s_waitcnt vmcnt(9)
	v_mfma_f32_16x16x16bf16_1k v[42:45], v[62:63], v[6:7], v[42:45]
	v_mfma_f32_16x16x16bf16_1k v[42:45], v[64:65], v[8:9], v[42:45]
	s_waitcnt vmcnt(8)
	v_mfma_f32_16x16x16bf16_1k v[42:45], v[46:47], v[54:55], v[42:45]
	v_mfma_f32_16x16x16bf16_1k v[62:65], v[48:49], v[56:57], v[42:45]
	v_and_or_b32 v48, v0, 48, s16
	v_mov_b32_e32 v49, s19
	v_cmp_gt_i32_e32 vcc, s33, v48
	s_waitcnt vmcnt(7)
	v_mfma_f32_16x16x16bf16_1k v[42:45], v[38:39], v[22:23], 0
	v_ashrrev_i32_e32 v38, 4, v48
	v_cndmask_b32_e32 v38, v49, v38, vcc
	v_ashrrev_i32_e32 v39, 31, v38
	v_lshlrev_b64 v[46:47], 2, v[38:39]
	v_mfma_f32_16x16x16bf16_1k v[38:41], v[40:41], v[24:25], v[42:45]
	s_nop 6
	v_add_co_u32_e32 v42, vcc, s17, v46
	v_addc_co_u32_e32 v43, vcc, v66, v47, vcc
	global_load_dword v44, v[42:43], off
	v_or_b32_e32 v42, 64, v48
	v_ashrrev_i32_e32 v43, 4, v42
	v_cmp_gt_i32_e32 vcc, s33, v42
	v_cndmask_b32_e32 v42, v49, v43, vcc
	s_waitcnt vmcnt(7)
	v_mfma_f32_16x16x16bf16_1k v[38:41], v[34:35], v[14:15], v[38:41]
	v_ashrrev_i32_e32 v43, 31, v42
	v_lshlrev_b64 v[34:35], 2, v[42:43]
	v_mov_b32_e32 v42, s18
	v_add_co_u32_e32 v34, vcc, s17, v34
	v_addc_co_u32_e32 v35, vcc, v42, v35, vcc
	global_load_dword v72, v[34:35], off
	v_mfma_f32_16x16x16bf16_1k v[34:37], v[36:37], v[16:17], v[38:41]
	s_nop 6
	v_or_b32_e32 v38, 0x80, v48
	v_ashrrev_i32_e32 v39, 4, v38
	v_cmp_gt_i32_e32 vcc, s33, v38
	v_cndmask_b32_e32 v38, v49, v39, vcc
	v_ashrrev_i32_e32 v39, 31, v38
	v_lshlrev_b64 v[38:39], 2, v[38:39]
	v_mov_b32_e32 v40, s18
	s_waitcnt vmcnt(7)
	v_mfma_f32_16x16x16bf16_1k v[34:37], v[30:31], v[6:7], v[34:37]
	v_add_co_u32_e32 v30, vcc, s17, v38
	v_addc_co_u32_e32 v31, vcc, v40, v39, vcc
	global_load_dword v74, v[30:31], off
	v_or_b32_e32 v30, 0xc0, v48
	v_ashrrev_i32_e32 v31, 4, v30
	v_cmp_gt_i32_e32 vcc, s33, v30
	v_cndmask_b32_e32 v38, v49, v31, vcc
	v_ashrrev_i32_e32 v39, 31, v38
	v_mfma_f32_16x16x16bf16_1k v[30:33], v[32:33], v[8:9], v[34:37]
	s_nop 6
	v_lshlrev_b64 v[34:35], 2, v[38:39]
	v_mov_b32_e32 v36, s18
	v_add_co_u32_e32 v34, vcc, s17, v34
	v_addc_co_u32_e32 v35, vcc, v36, v35, vcc
	global_load_dword v75, v[34:35], off
	s_waitcnt vmcnt(8)
	v_mfma_f32_16x16x16bf16_1k v[30:33], v[26:27], v[54:55], v[30:33]
	v_mov_b32_e32 v26, s9
	v_add_co_u32_e32 v77, vcc, s8, v76
	v_addc_co_u32_e32 v78, vcc, 0, v26, vcc
	s_waitcnt vmcnt(3)
	v_mad_i64_i32 v[26:27], s[2:3], v44, s1, 0
	v_mfma_f32_16x16x16bf16_1k v[66:69], v[28:29], v[56:57], v[30:33]
	v_lshlrev_b64 v[70:71], 1, v[26:27]
	v_mfma_f32_16x16x16bf16_1k v[26:29], v[18:19], v[22:23], 0
	v_add_co_u32_e32 v18, vcc, v77, v70
	v_addc_co_u32_e32 v19, vcc, v78, v71, vcc
	global_load_dwordx4 v[46:49], v[18:19], off
	global_load_dwordx4 v[42:45], v[18:19], off offset:16
	s_waitcnt vmcnt(4)
	v_mad_i64_i32 v[18:19], s[2:3], v72, s1, 0
	v_lshlrev_b64 v[72:73], 1, v[18:19]
	v_mfma_f32_16x16x16bf16_1k v[18:21], v[20:21], v[24:25], v[26:29]
	v_add_co_u32_e32 v22, vcc, v77, v72
	v_addc_co_u32_e32 v23, vcc, v78, v73, vcc
	global_load_dwordx4 v[38:41], v[22:23], off
	global_load_dwordx4 v[34:37], v[22:23], off offset:16
	s_waitcnt vmcnt(5)
	v_mad_i64_i32 v[22:23], s[2:3], v74, s1, 0
	v_mfma_f32_16x16x16bf16_1k v[18:21], v[10:11], v[14:15], v[18:21]
	v_lshlrev_b64 v[82:83], 1, v[22:23]
	v_add_co_u32_e32 v10, vcc, v77, v82
	v_addc_co_u32_e32 v11, vcc, v78, v83, vcc
	global_load_dwordx4 v[30:33], v[10:11], off
	global_load_dwordx4 v[26:29], v[10:11], off offset:16
	s_waitcnt vmcnt(6)
	v_mad_i64_i32 v[14:15], s[2:3], v75, s1, 0
	v_mfma_f32_16x16x16bf16_1k v[10:13], v[12:13], v[16:17], v[18:21]
	v_lshlrev_b64 v[80:81], 1, v[14:15]
	v_add_co_u32_e32 v14, vcc, v77, v80
	v_addc_co_u32_e32 v15, vcc, v78, v81, vcc
	global_load_dwordx4 v[22:25], v[14:15], off
	s_nop 2
	global_load_dwordx4 v[18:21], v[14:15], off offset:16
	v_pk_mul_f32 v[78:79], s[0:1], v[60:61] op_sel_hi:[0,1]
	v_mfma_f32_16x16x16bf16_1k v[10:13], v[2:3], v[6:7], v[10:13]
	v_or_b32_e32 v2, 0x800, v76
	v_mov_b32_e32 v3, s9
	v_add_co_u32_e32 v91, vcc, s8, v2
	v_addc_co_u32_e32 v84, vcc, 0, v3, vcc
	v_add_co_u32_e32 v2, vcc, v91, v70
	v_mfma_f32_16x16x16bf16_1k v[10:13], v[4:5], v[8:9], v[10:13]
	v_addc_co_u32_e32 v3, vcc, v84, v71, vcc
	v_add_co_u32_e32 v70, vcc, v91, v72
	v_addc_co_u32_e32 v71, vcc, v84, v73, vcc
	global_load_dwordx4 v[6:9], v[2:3], off
	s_nop 0
	global_load_dwordx4 v[2:5], v[2:3], off offset:16
	v_mfma_f32_16x16x16bf16_1k v[92:95], v[50:51], v[54:55], v[10:13]
	global_load_dwordx4 v[14:17], v[70:71], off
	s_nop 5
	global_load_dwordx4 v[10:13], v[70:71], off offset:16
	v_pk_mul_f32 v[70:71], s[0:1], v[68:69] op_sel_hi:[0,1]
	v_pk_mul_f32 v[72:73], s[0:1], v[66:67] op_sel_hi:[0,1]
	;; [unrolled: 1-line block ×4, first 2 shown]
	v_mfma_f32_16x16x16bf16_1k v[50:53], v[52:53], v[56:57], v[92:95]
	s_nop 7
	s_nop 2
	v_pk_mul_f32 v[68:69], s[0:1], v[50:51] op_sel_hi:[0,1]
	v_and_b32_e32 v50, 0xc0, v0
	v_add_u32_e32 v50, s16, v50
	v_lshl_or_b32 v50, v1, 2, v50
	v_or_b32_e32 v51, 1, v50
	v_pk_mul_f32 v[66:67], s[0:1], v[52:53] op_sel_hi:[0,1]
	v_subrev_u32_e32 v52, s33, v51
	v_add_u32_e32 v54, 1, v52
	v_add_u32_e32 v55, 2, v52
	v_cvt_f32_i32_e32 v53, v52
	v_cvt_f32_i32_e32 v54, v54
	v_cvt_f32_i32_e32 v55, v55
	v_add_u32_e32 v56, 3, v52
	v_fma_f32 v58, v89, v53, v58
	v_fmac_f32_e32 v59, v89, v54
	v_fma_f32 v78, v89, v55, v78
	v_add_u32_e32 v53, 16, v52
	v_add_u32_e32 v54, 17, v52
	;; [unrolled: 1-line block ×3, first 2 shown]
	v_cvt_f32_i32_e32 v56, v56
	v_cvt_f32_i32_e32 v53, v53
	;; [unrolled: 1-line block ×4, first 2 shown]
	v_fmac_f32_e32 v79, v89, v56
	v_add_u32_e32 v56, 19, v52
	v_fma_f32 v76, v89, v53, v76
	v_fmac_f32_e32 v77, v89, v54
	v_fma_f32 v74, v89, v55, v74
	v_add_u32_e32 v53, 32, v52
	v_add_u32_e32 v54, 33, v52
	;; [unrolled: 1-line block ×3, first 2 shown]
	v_cvt_f32_i32_e32 v56, v56
	v_cvt_f32_i32_e32 v53, v53
	;; [unrolled: 1-line block ×4, first 2 shown]
	v_fmac_f32_e32 v75, v89, v56
	v_add_u32_e32 v56, 35, v52
	v_fma_f32 v72, v89, v53, v72
	v_fmac_f32_e32 v73, v89, v54
	v_fma_f32 v70, v89, v55, v70
	v_add_u32_e32 v53, 48, v52
	v_add_u32_e32 v54, 49, v52
	;; [unrolled: 1-line block ×4, first 2 shown]
	v_cvt_f32_i32_e32 v52, v52
	v_cvt_f32_i32_e32 v53, v53
	;; [unrolled: 1-line block ×3, first 2 shown]
	v_cmp_gt_i32_e64 s[28:29], s33, v50
	v_fmac_f32_e32 v67, v89, v52
	v_mov_b32_e32 v52, 0xff7fffff
	v_cmp_gt_i32_e64 s[30:31], s33, v51
	v_fma_f32 v68, v89, v53, v68
	v_cndmask_b32_e64 v53, v52, v58, s[28:29]
	v_cndmask_b32_e64 v51, v52, v59, s[30:31]
	v_fmac_f32_e32 v69, v89, v54
	v_max3_f32 v51, v53, s40, v51
	v_or_b32_e32 v53, 2, v50
	v_or_b32_e32 v54, 3, v50
	v_cmp_gt_i32_e64 s[34:35], s33, v53
	v_cmp_gt_i32_e64 s[36:37], s33, v54
	v_cndmask_b32_e64 v53, v52, v78, s[34:35]
	v_cndmask_b32_e64 v54, v52, v79, s[36:37]
	v_max3_f32 v51, v51, v53, v54
	v_or_b32_e32 v53, 16, v50
	v_or_b32_e32 v54, 17, v50
	v_cmp_gt_i32_e64 s[22:23], s33, v53
	v_cmp_gt_i32_e64 s[24:25], s33, v54
	v_cndmask_b32_e64 v53, v52, v76, s[22:23]
	v_cndmask_b32_e64 v54, v52, v77, s[24:25]
	v_max3_f32 v51, v51, v53, v54
	v_or_b32_e32 v53, 18, v50
	v_or_b32_e32 v54, 19, v50
	v_cmp_gt_i32_e64 s[18:19], s33, v53
	v_cmp_gt_i32_e64 s[20:21], s33, v54
	v_cndmask_b32_e64 v53, v52, v74, s[18:19]
	v_cndmask_b32_e64 v54, v52, v75, s[20:21]
	v_cvt_f32_i32_e32 v56, v56
	v_max3_f32 v51, v51, v53, v54
	v_or_b32_e32 v53, 32, v50
	v_or_b32_e32 v54, 33, v50
	v_cmp_gt_i32_e64 s[14:15], s33, v53
	v_cmp_gt_i32_e64 s[16:17], s33, v54
	v_cndmask_b32_e64 v53, v52, v72, s[14:15]
	v_cndmask_b32_e64 v54, v52, v73, s[16:17]
	v_max3_f32 v51, v51, v53, v54
	v_or_b32_e32 v53, 34, v50
	v_or_b32_e32 v54, 35, v50
	v_fmac_f32_e32 v71, v89, v56
	v_cmp_gt_i32_e64 s[10:11], s33, v53
	v_cmp_gt_i32_e64 s[12:13], s33, v54
	v_cndmask_b32_e64 v53, v52, v70, s[10:11]
	v_cndmask_b32_e64 v54, v52, v71, s[12:13]
	v_cvt_f32_i32_e32 v55, v55
	v_max3_f32 v51, v51, v53, v54
	v_or_b32_e32 v53, 48, v50
	v_or_b32_e32 v54, 49, v50
	v_cmp_gt_i32_e64 s[2:3], s33, v53
	v_cmp_gt_i32_e64 s[8:9], s33, v54
	v_cndmask_b32_e64 v53, v52, v68, s[2:3]
	v_cndmask_b32_e64 v54, v52, v69, s[8:9]
	v_max3_f32 v51, v51, v53, v54
	v_or_b32_e32 v53, 50, v50
	v_or_b32_e32 v50, 51, v50
	v_fma_f32 v66, v89, v55, v66
	v_cmp_gt_i32_e32 vcc, s33, v53
	v_cmp_gt_i32_e64 s[0:1], s33, v50
	v_cndmask_b32_e32 v53, v52, v66, vcc
	v_cndmask_b32_e64 v50, v52, v67, s[0:1]
	v_max3_f32 v60, v51, v53, v50
	v_mbcnt_lo_u32_b32 v50, -1, 0
	v_mbcnt_hi_u32_b32 v61, -1, v50
	v_and_b32_e32 v50, 64, v61
	v_add_u32_e32 v62, 64, v50
	v_xor_b32_e32 v50, 32, v61
	v_cmp_lt_i32_e64 s[38:39], v50, v62
	v_cndmask_b32_e64 v50, v61, v50, s[38:39]
	v_lshlrev_b32_e32 v89, 2, v50
	ds_bpermute_b32 v63, v89, v60
	v_add_co_u32_e64 v50, s[38:39], v91, v82
	v_addc_co_u32_e64 v51, s[38:39], v84, v83, s[38:39]
	s_waitcnt lgkmcnt(0)
	v_max_f32_e32 v63, v63, v63
	v_max_f32_e32 v63, v60, v63
	v_xor_b32_e32 v60, 16, v61
	v_cmp_lt_i32_e64 s[38:39], v60, v62
	v_cndmask_b32_e64 v60, v61, v60, s[38:39]
	v_lshlrev_b32_e32 v92, 2, v60
	ds_bpermute_b32 v62, v92, v63
	v_add_co_u32_e64 v60, s[38:39], v91, v80
	v_addc_co_u32_e64 v61, s[38:39], v84, v81, s[38:39]
	s_waitcnt lgkmcnt(0)
	v_max_f32_e32 v62, v62, v62
	v_max_f32_e32 v82, v63, v62
	v_sub_f32_e32 v58, v58, v82
	v_mul_f32_e32 v58, 0x3fb8aa3b, v58
	v_exp_f32_e32 v80, v58
	v_sub_f32_e32 v58, v59, v82
	v_mul_f32_e32 v58, 0x3fb8aa3b, v58
	global_load_dwordx4 v[54:57], v[50:51], off
	s_nop 0
	global_load_dwordx4 v[50:53], v[50:51], off offset:16
	v_exp_f32_e32 v81, v58
	global_load_dwordx4 v[62:65], v[60:61], off
	s_nop 0
	global_load_dwordx4 v[58:61], v[60:61], off offset:16
	v_sub_f32_e32 v78, v78, v82
	v_mul_f32_e32 v78, 0x3fb8aa3b, v78
	v_sub_f32_e32 v79, v79, v82
	v_exp_f32_e32 v78, v78
	v_mul_f32_e32 v79, 0x3fb8aa3b, v79
	v_sub_f32_e32 v76, v76, v82
	v_exp_f32_e32 v79, v79
	v_mul_f32_e32 v76, 0x3fb8aa3b, v76
	v_sub_f32_e32 v77, v77, v82
	v_cndmask_b32_e64 v80, 0, v80, s[28:29]
	v_exp_f32_e32 v76, v76
	v_mul_f32_e32 v77, 0x3fb8aa3b, v77
	v_sub_f32_e32 v74, v74, v82
	v_add_f32_e32 v83, 0, v80
	v_cndmask_b32_e64 v81, 0, v81, s[30:31]
	v_exp_f32_e32 v77, v77
	v_mul_f32_e32 v74, 0x3fb8aa3b, v74
	v_sub_f32_e32 v75, v75, v82
	v_add_f32_e32 v83, v83, v81
	;; [unrolled: 5-line block ×10, first 2 shown]
	v_cndmask_b32_e64 v70, 0, v70, s[10:11]
	v_exp_f32_e32 v66, v66
	v_mul_f32_e32 v67, 0x3fb8aa3b, v67
	v_add_f32_e32 v83, v83, v70
	v_cndmask_b32_e64 v71, 0, v71, s[12:13]
	v_exp_f32_e32 v67, v67
	v_add_f32_e32 v83, v83, v71
	v_cndmask_b32_e64 v68, 0, v68, s[2:3]
	v_add_f32_e32 v83, v83, v68
	v_cndmask_b32_e64 v69, 0, v69, s[8:9]
	v_add_f32_e32 v83, v83, v69
	v_cndmask_b32_e32 v66, 0, v66, vcc
	v_add_f32_e32 v83, v83, v66
	v_cndmask_b32_e64 v67, 0, v67, s[0:1]
	v_add_f32_e32 v83, v83, v67
	ds_bpermute_b32 v84, v89, v83
	s_load_dword s3, s[4:5], 0x98
	v_cmp_gt_u32_e32 vcc, 16, v88
	s_waitcnt lgkmcnt(0)
	s_barrier
	v_add_f32_e32 v83, v83, v84
	ds_bpermute_b32 v89, v92, v83
	s_waitcnt lgkmcnt(0)
	s_and_saveexec_b64 s[0:1], vcc
	s_cbranch_execz .LBB295_15
; %bb.14:
	v_add_f32_e32 v83, v83, v89
	v_lshlrev_b32_e32 v84, 2, v90
	ds_write2st64_b32 v84, v82, v83 offset1:1
.LBB295_15:
	s_or_b64 exec, exec, s[0:1]
	v_lshlrev_b32_e32 v83, 2, v85
	s_load_dword s2, s[4:5], 0x94
	s_waitcnt lgkmcnt(0)
	s_barrier
	ds_read2_b32 v[88:89], v83 offset1:16
	ds_read2_b32 v[90:91], v83 offset0:32 offset1:48
	ds_read2_b32 v[92:93], v83 offset0:64 offset1:80
	s_movk_i32 s8, 0x7fff
	s_mov_b32 s9, 0x7060302
	s_waitcnt lgkmcnt(2)
	v_max3_f32 v82, v88, s40, v89
	s_waitcnt lgkmcnt(1)
	v_max3_f32 v82, v82, v90, v91
	v_sub_f32_e32 v84, v88, v82
	v_sub_f32_e32 v88, v89, v82
	v_mul_f32_e32 v88, 0x3fb8aa3b, v88
	v_mul_f32_e32 v84, 0x3fb8aa3b, v84
	v_exp_f32_e32 v94, v88
	v_sub_f32_e32 v88, v90, v82
	v_exp_f32_e32 v84, v84
	v_mul_f32_e32 v88, 0x3fb8aa3b, v88
	v_exp_f32_e32 v90, v88
	ds_read2_b32 v[88:89], v83 offset0:96 offset1:112
	v_sub_f32_e32 v83, v91, v82
	v_mul_f32_e32 v83, 0x3fb8aa3b, v83
	v_exp_f32_e32 v91, v83
	s_waitcnt lgkmcnt(1)
	v_fma_f32 v83, v84, v92, 0
	v_fmac_f32_e32 v83, v94, v93
	s_waitcnt lgkmcnt(0)
	v_fmac_f32_e32 v83, v90, v88
	v_fmac_f32_e32 v83, v91, v89
	v_add_f32_e32 v88, 0x358637bd, v83
	v_div_scale_f32 v89, s[0:1], v88, v88, 1.0
	v_rcp_f32_e32 v92, v89
	s_lshl_b32 s3, s3, 3
	s_barrier
	v_fma_f32 v93, -v89, v92, 1.0
	v_fmac_f32_e32 v92, v93, v92
	v_div_scale_f32 v93, vcc, 1.0, v88, 1.0
	v_mul_f32_e32 v95, v93, v92
	v_fma_f32 v86, -v89, v95, v93
	v_fmac_f32_e32 v95, v86, v92
	v_fma_f32 v86, -v89, v95, v93
	v_div_fmas_f32 v86, v86, v92, v95
	v_cmp_eq_u32_e32 vcc, 1, v87
	v_cndmask_b32_e32 v84, v84, v94, vcc
	v_cmp_eq_u32_e32 vcc, 2, v87
	v_cndmask_b32_e32 v84, v84, v90, vcc
	v_cmp_eq_u32_e32 vcc, 3, v87
	v_div_fixup_f32 v86, v86, v88, 1.0
	v_cndmask_b32_e32 v84, v84, v91, vcc
	v_mul_f32_e32 v88, v84, v86
	v_pk_mul_f32 v[80:81], v[88:89], v[80:81] op_sel_hi:[0,1]
	v_bfe_u32 v84, v81, 16, 1
	v_bfe_u32 v86, v80, 16, 1
	v_pk_mul_f32 v[78:79], v[88:89], v[78:79] op_sel_hi:[0,1]
	v_add3_u32 v80, v80, v86, s8
	v_add3_u32 v81, v81, v84, s8
	v_perm_b32 v80, v81, v80, s9
	v_bfe_u32 v81, v79, 16, 1
	v_bfe_u32 v84, v78, 16, 1
	v_add3_u32 v78, v78, v84, s8
	v_add3_u32 v79, v79, v81, s8
	v_perm_b32 v81, v79, v78, s9
	v_lshlrev_b32_e32 v78, 3, v1
	v_lshlrev_b32_e32 v79, 5, v85
	;; [unrolled: 1-line block ×3, first 2 shown]
	v_pk_mul_f32 v[76:77], v[88:89], v[76:77] op_sel_hi:[0,1]
	v_or3_b32 v78, v84, v79, v78
	v_bfe_u32 v84, v77, 16, 1
	v_bfe_u32 v86, v76, 16, 1
	v_pk_mul_f32 v[74:75], v[88:89], v[74:75] op_sel_hi:[0,1]
	v_add3_u32 v76, v76, v86, s8
	v_add3_u32 v77, v77, v84, s8
	v_perm_b32 v76, v77, v76, s9
	v_bfe_u32 v77, v75, 16, 1
	v_bfe_u32 v84, v74, 16, 1
	v_add3_u32 v74, v74, v84, s8
	v_add3_u32 v75, v75, v77, s8
	v_pk_mul_f32 v[72:73], v[88:89], v[72:73] op_sel_hi:[0,1]
	v_perm_b32 v77, v75, v74, s9
	v_bfe_u32 v74, v73, 16, 1
	v_bfe_u32 v75, v72, 16, 1
	v_pk_mul_f32 v[70:71], v[88:89], v[70:71] op_sel_hi:[0,1]
	v_add3_u32 v72, v72, v75, s8
	v_add3_u32 v73, v73, v74, s8
	v_perm_b32 v72, v73, v72, s9
	v_bfe_u32 v73, v71, 16, 1
	v_bfe_u32 v74, v70, 16, 1
	v_add3_u32 v70, v70, v74, s8
	v_add3_u32 v71, v71, v73, s8
	v_pk_mul_f32 v[68:69], v[88:89], v[68:69] op_sel_hi:[0,1]
	v_perm_b32 v73, v71, v70, s9
	v_bfe_u32 v70, v69, 16, 1
	v_bfe_u32 v71, v68, 16, 1
	v_pk_mul_f32 v[66:67], v[88:89], v[66:67] op_sel_hi:[0,1]
	v_add3_u32 v68, v68, v71, s8
	v_add3_u32 v69, v69, v70, s8
	v_perm_b32 v68, v69, v68, s9
	v_bfe_u32 v69, v67, 16, 1
	v_bfe_u32 v70, v66, 16, 1
	v_add3_u32 v66, v66, v70, s8
	v_add3_u32 v67, v67, v69, s8
	v_perm_b32 v69, v67, v66, s9
	v_cmp_gt_u32_e32 vcc, 8, v0
	ds_write2st64_b64 v78, v[80:81], v[76:77] offset1:1
	ds_write2st64_b64 v78, v[72:73], v[68:69] offset0:2 offset1:3
	s_and_saveexec_b64 s[0:1], vcc
	s_cbranch_execz .LBB295_17
; %bb.16:
	v_or_b32_e32 v66, s27, v0
	v_mov_b32_e32 v67, 0
	v_mov_b32_e32 v68, s3
	v_mad_u64_u32 v[68:69], s[10:11], s6, v68, v[66:67]
	v_mov_b32_e32 v66, s26
	s_load_dwordx4 s[12:15], s[4:5], 0x58
	s_mul_i32 s7, s7, s3
	v_mad_u64_u32 v[66:67], s[10:11], v68, s2, v[66:67]
	v_add_u32_e32 v69, s7, v69
	v_mov_b32_e32 v68, v67
	v_mad_u64_u32 v[68:69], s[10:11], v69, s2, v[68:69]
	v_mov_b32_e32 v67, v68
	v_lshlrev_b64 v[66:67], 2, v[66:67]
	s_waitcnt lgkmcnt(0)
	v_mov_b32_e32 v69, s15
	v_add_co_u32_e32 v68, vcc, s14, v66
	v_addc_co_u32_e32 v69, vcc, v69, v67, vcc
	global_store_dword v[68:69], v82, off
	v_mov_b32_e32 v68, s13
	v_add_co_u32_e32 v66, vcc, s12, v66
	v_addc_co_u32_e32 v67, vcc, v68, v67, vcc
	global_store_dword v[66:67], v83, off
.LBB295_17:
	s_or_b64 exec, exec, s[0:1]
	v_lshl_or_b32 v79, v1, 9, v79
	s_waitcnt lgkmcnt(0)
	s_barrier
	ds_read_b128 v[70:73], v79
	ds_read_b128 v[66:69], v79 offset:16
	s_waitcnt vmcnt(15) lgkmcnt(1)
	v_mfma_f32_16x16x16bf16_1k v[74:77], v[46:47], v[70:71], 0
	s_mov_b32 s1, 0
	v_cmp_gt_u32_e32 vcc, 64, v0
	v_mfma_f32_16x16x16bf16_1k v[46:49], v[48:49], v[72:73], v[74:77]
	s_waitcnt vmcnt(14) lgkmcnt(0)
	v_mfma_f32_16x16x16bf16_1k v[46:49], v[42:43], v[66:67], v[46:49]
	v_mfma_f32_16x16x16bf16_1k v[42:45], v[44:45], v[68:69], v[46:49]
	s_nop 7
	s_nop 1
	ds_read_b128 v[46:49], v79 offset:2048
	ds_read_b128 v[74:77], v79 offset:2064
	s_waitcnt vmcnt(13) lgkmcnt(1)
	v_mfma_f32_16x16x16bf16_1k v[42:45], v[38:39], v[46:47], v[42:45]
	v_mfma_f32_16x16x16bf16_1k v[38:41], v[40:41], v[48:49], v[42:45]
	s_waitcnt vmcnt(12) lgkmcnt(0)
	v_mfma_f32_16x16x16bf16_1k v[38:41], v[34:35], v[74:75], v[38:41]
	v_mfma_f32_16x16x16bf16_1k v[34:37], v[36:37], v[76:77], v[38:41]
	s_nop 7
	s_nop 1
	ds_read_b128 v[38:41], v79 offset:4096
	ds_read_b128 v[42:45], v79 offset:4112
	s_waitcnt vmcnt(11) lgkmcnt(1)
	v_mfma_f32_16x16x16bf16_1k v[34:37], v[30:31], v[38:39], v[34:37]
	v_mfma_f32_16x16x16bf16_1k v[30:33], v[32:33], v[40:41], v[34:37]
	s_waitcnt vmcnt(10) lgkmcnt(0)
	v_mfma_f32_16x16x16bf16_1k v[30:33], v[26:27], v[42:43], v[30:33]
	v_mfma_f32_16x16x16bf16_1k v[26:29], v[28:29], v[44:45], v[30:33]
	s_nop 7
	s_nop 1
	ds_read_b128 v[30:33], v79 offset:6144
	ds_read_b128 v[34:37], v79 offset:6160
	s_waitcnt lgkmcnt(0)
	s_barrier
	s_waitcnt vmcnt(9)
	v_mfma_f32_16x16x16bf16_1k v[26:29], v[22:23], v[30:31], v[26:29]
	v_mfma_f32_16x16x16bf16_1k v[22:25], v[24:25], v[32:33], v[26:29]
	s_waitcnt vmcnt(8)
	v_mfma_f32_16x16x16bf16_1k v[22:25], v[18:19], v[34:35], v[22:25]
	v_mfma_f32_16x16x16bf16_1k v[18:21], v[20:21], v[36:37], v[22:25]
	;; [unrolled: 3-line block ×4, first 2 shown]
	s_waitcnt vmcnt(5)
	v_mfma_f32_16x16x16bf16_1k v[2:5], v[14:15], v[46:47], v[2:5]
	s_nop 7
	v_bfe_u32 v6, v19, 16, 1
	v_bfe_u32 v7, v18, 16, 1
	v_add3_u32 v7, v18, v7, s8
	v_add3_u32 v6, v19, v6, s8
	v_perm_b32 v6, v6, v7, s9
	v_bfe_u32 v7, v21, 16, 1
	v_bfe_u32 v8, v20, 16, 1
	v_mfma_f32_16x16x16bf16_1k v[2:5], v[16:17], v[48:49], v[2:5]
	v_add3_u32 v8, v20, v8, s8
	v_add3_u32 v7, v21, v7, s8
	v_perm_b32 v7, v7, v8, s9
	s_waitcnt vmcnt(4)
	v_mfma_f32_16x16x16bf16_1k v[2:5], v[10:11], v[74:75], v[2:5]
	v_mfma_f32_16x16x16bf16_1k v[2:5], v[12:13], v[76:77], v[2:5]
	s_waitcnt vmcnt(3)
	v_mfma_f32_16x16x16bf16_1k v[2:5], v[54:55], v[38:39], v[2:5]
	v_mfma_f32_16x16x16bf16_1k v[2:5], v[56:57], v[40:41], v[2:5]
	;; [unrolled: 3-line block ×5, first 2 shown]
	s_nop 7
	s_nop 2
	v_bfe_u32 v8, v3, 16, 1
	v_bfe_u32 v9, v2, 16, 1
	v_add3_u32 v2, v2, v9, s8
	v_add3_u32 v3, v3, v8, s8
	v_perm_b32 v2, v3, v2, s9
	v_bfe_u32 v3, v5, 16, 1
	v_bfe_u32 v8, v4, 16, 1
	v_add3_u32 v4, v4, v8, s8
	v_add3_u32 v3, v5, v3, s8
	v_perm_b32 v3, v3, v4, s9
	ds_write2st64_b64 v78, v[6:7], v[2:3] offset1:1
	s_waitcnt lgkmcnt(0)
	s_barrier
	s_and_saveexec_b64 s[8:9], vcc
	s_cbranch_execz .LBB295_19
; %bb.18:
	v_lshlrev_b32_e32 v4, 6, v85
	v_lshlrev_b32_e32 v3, 4, v0
	v_lshl_or_b32 v0, v0, 10, v4
	v_lshlrev_b32_e32 v2, 5, v1
	v_and_b32_e32 v3, 16, v3
	v_and_b32_e32 v0, 0x1a00, v0
	v_or3_b32 v0, v0, v2, v3
	ds_read_b128 v[2:5], v0
	ds_read_b128 v[6:9], v0 offset:128
	buffer_load_dword v10, off, s[44:47], 0 ; 4-byte Folded Reload
	s_load_dwordx2 s[4:5], s[4:5], 0x68
	s_lshl_b32 s7, s2, 7
	s_mul_i32 s0, s3, s6
	s_mul_hi_u32 s3, s0, s7
	s_mul_i32 s2, s0, s7
	s_lshl_b64 s[2:3], s[2:3], 1
	s_waitcnt lgkmcnt(0)
	s_add_u32 s2, s4, s2
	s_addc_u32 s3, s5, s3
	s_lshl_b32 s0, s26, 7
	s_lshl_b64 s[0:1], s[0:1], 1
	s_add_u32 s0, s2, s0
	s_addc_u32 s1, s3, s1
	v_mov_b32_e32 v0, s1
	v_or_b32_e32 v12, s27, v1
	s_waitcnt vmcnt(0)
	v_add_co_u32_e32 v10, vcc, s0, v10
	v_addc_co_u32_e32 v11, vcc, 0, v0, vcc
	v_mad_u64_u32 v[0:1], s[0:1], v12, s7, 0
	v_lshlrev_b64 v[0:1], 1, v[0:1]
	v_add_co_u32_e32 v0, vcc, v10, v0
	v_addc_co_u32_e32 v1, vcc, v11, v1, vcc
	global_store_dwordx4 v[0:1], v[2:5], off
	v_or_b32_e32 v0, 4, v12
	v_mad_u64_u32 v[0:1], s[0:1], v0, s7, 0
	v_lshlrev_b64 v[0:1], 1, v[0:1]
	v_add_co_u32_e32 v0, vcc, v10, v0
	v_addc_co_u32_e32 v1, vcc, v11, v1, vcc
	global_store_dwordx4 v[0:1], v[6:9], off
.LBB295_19:
	s_endpgm
	.section	.rodata,"a",@progbits
	.p2align	6, 0x0
	.amdhsa_kernel _Z39paged_attention_ll4mi_QKV_mfma16_kernelI14__hip_bfloat16S0_LN4vllm18Fp8KVCacheDataTypeE0ES0_Li16ELi128ELi256ELb1ELi8EL8MFMAType0EEvPKT_PKT0_S9_ifPKiSB_SB_iPKfiiiPfSE_PS4_PT2_iSD_SD_
		.amdhsa_group_segment_fixed_size 8192
		.amdhsa_private_segment_fixed_size 8
		.amdhsa_kernarg_size 400
		.amdhsa_user_sgpr_count 6
		.amdhsa_user_sgpr_private_segment_buffer 1
		.amdhsa_user_sgpr_dispatch_ptr 0
		.amdhsa_user_sgpr_queue_ptr 0
		.amdhsa_user_sgpr_kernarg_segment_ptr 1
		.amdhsa_user_sgpr_dispatch_id 0
		.amdhsa_user_sgpr_flat_scratch_init 0
		.amdhsa_user_sgpr_kernarg_preload_length 0
		.amdhsa_user_sgpr_kernarg_preload_offset 0
		.amdhsa_user_sgpr_private_segment_size 0
		.amdhsa_uses_dynamic_stack 0
		.amdhsa_system_sgpr_private_segment_wavefront_offset 1
		.amdhsa_system_sgpr_workgroup_id_x 1
		.amdhsa_system_sgpr_workgroup_id_y 1
		.amdhsa_system_sgpr_workgroup_id_z 1
		.amdhsa_system_sgpr_workgroup_info 0
		.amdhsa_system_vgpr_workitem_id 0
		.amdhsa_next_free_vgpr 96
		.amdhsa_next_free_sgpr 48
		.amdhsa_accum_offset 96
		.amdhsa_reserve_vcc 1
		.amdhsa_reserve_flat_scratch 0
		.amdhsa_float_round_mode_32 0
		.amdhsa_float_round_mode_16_64 0
		.amdhsa_float_denorm_mode_32 3
		.amdhsa_float_denorm_mode_16_64 3
		.amdhsa_dx10_clamp 1
		.amdhsa_ieee_mode 1
		.amdhsa_fp16_overflow 0
		.amdhsa_tg_split 0
		.amdhsa_exception_fp_ieee_invalid_op 0
		.amdhsa_exception_fp_denorm_src 0
		.amdhsa_exception_fp_ieee_div_zero 0
		.amdhsa_exception_fp_ieee_overflow 0
		.amdhsa_exception_fp_ieee_underflow 0
		.amdhsa_exception_fp_ieee_inexact 0
		.amdhsa_exception_int_div_zero 0
	.end_amdhsa_kernel
	.section	.text._Z39paged_attention_ll4mi_QKV_mfma16_kernelI14__hip_bfloat16S0_LN4vllm18Fp8KVCacheDataTypeE0ES0_Li16ELi128ELi256ELb1ELi8EL8MFMAType0EEvPKT_PKT0_S9_ifPKiSB_SB_iPKfiiiPfSE_PS4_PT2_iSD_SD_,"axG",@progbits,_Z39paged_attention_ll4mi_QKV_mfma16_kernelI14__hip_bfloat16S0_LN4vllm18Fp8KVCacheDataTypeE0ES0_Li16ELi128ELi256ELb1ELi8EL8MFMAType0EEvPKT_PKT0_S9_ifPKiSB_SB_iPKfiiiPfSE_PS4_PT2_iSD_SD_,comdat
.Lfunc_end295:
	.size	_Z39paged_attention_ll4mi_QKV_mfma16_kernelI14__hip_bfloat16S0_LN4vllm18Fp8KVCacheDataTypeE0ES0_Li16ELi128ELi256ELb1ELi8EL8MFMAType0EEvPKT_PKT0_S9_ifPKiSB_SB_iPKfiiiPfSE_PS4_PT2_iSD_SD_, .Lfunc_end295-_Z39paged_attention_ll4mi_QKV_mfma16_kernelI14__hip_bfloat16S0_LN4vllm18Fp8KVCacheDataTypeE0ES0_Li16ELi128ELi256ELb1ELi8EL8MFMAType0EEvPKT_PKT0_S9_ifPKiSB_SB_iPKfiiiPfSE_PS4_PT2_iSD_SD_
                                        ; -- End function
	.section	.AMDGPU.csdata,"",@progbits
; Kernel info:
; codeLenInByte = 5160
; NumSgprs: 52
; NumVgprs: 96
; NumAgprs: 0
; TotalNumVgprs: 96
; ScratchSize: 8
; MemoryBound: 0
; FloatMode: 240
; IeeeMode: 1
; LDSByteSize: 8192 bytes/workgroup (compile time only)
; SGPRBlocks: 6
; VGPRBlocks: 11
; NumSGPRsForWavesPerEU: 52
; NumVGPRsForWavesPerEU: 96
; AccumOffset: 96
; Occupancy: 5
; WaveLimiterHint : 1
; COMPUTE_PGM_RSRC2:SCRATCH_EN: 1
; COMPUTE_PGM_RSRC2:USER_SGPR: 6
; COMPUTE_PGM_RSRC2:TRAP_HANDLER: 0
; COMPUTE_PGM_RSRC2:TGID_X_EN: 1
; COMPUTE_PGM_RSRC2:TGID_Y_EN: 1
; COMPUTE_PGM_RSRC2:TGID_Z_EN: 1
; COMPUTE_PGM_RSRC2:TIDIG_COMP_CNT: 0
; COMPUTE_PGM_RSRC3_GFX90A:ACCUM_OFFSET: 23
; COMPUTE_PGM_RSRC3_GFX90A:TG_SPLIT: 0
	.section	.text._Z39paged_attention_ll4mi_QKV_mfma16_kernelI14__hip_bfloat16S0_LN4vllm18Fp8KVCacheDataTypeE0ES0_Li16ELi128ELi256ELb1ELi9EL8MFMAType0EEvPKT_PKT0_S9_ifPKiSB_SB_iPKfiiiPfSE_PS4_PT2_iSD_SD_,"axG",@progbits,_Z39paged_attention_ll4mi_QKV_mfma16_kernelI14__hip_bfloat16S0_LN4vllm18Fp8KVCacheDataTypeE0ES0_Li16ELi128ELi256ELb1ELi9EL8MFMAType0EEvPKT_PKT0_S9_ifPKiSB_SB_iPKfiiiPfSE_PS4_PT2_iSD_SD_,comdat
	.protected	_Z39paged_attention_ll4mi_QKV_mfma16_kernelI14__hip_bfloat16S0_LN4vllm18Fp8KVCacheDataTypeE0ES0_Li16ELi128ELi256ELb1ELi9EL8MFMAType0EEvPKT_PKT0_S9_ifPKiSB_SB_iPKfiiiPfSE_PS4_PT2_iSD_SD_ ; -- Begin function _Z39paged_attention_ll4mi_QKV_mfma16_kernelI14__hip_bfloat16S0_LN4vllm18Fp8KVCacheDataTypeE0ES0_Li16ELi128ELi256ELb1ELi9EL8MFMAType0EEvPKT_PKT0_S9_ifPKiSB_SB_iPKfiiiPfSE_PS4_PT2_iSD_SD_
	.globl	_Z39paged_attention_ll4mi_QKV_mfma16_kernelI14__hip_bfloat16S0_LN4vllm18Fp8KVCacheDataTypeE0ES0_Li16ELi128ELi256ELb1ELi9EL8MFMAType0EEvPKT_PKT0_S9_ifPKiSB_SB_iPKfiiiPfSE_PS4_PT2_iSD_SD_
	.p2align	8
	.type	_Z39paged_attention_ll4mi_QKV_mfma16_kernelI14__hip_bfloat16S0_LN4vllm18Fp8KVCacheDataTypeE0ES0_Li16ELi128ELi256ELb1ELi9EL8MFMAType0EEvPKT_PKT0_S9_ifPKiSB_SB_iPKfiiiPfSE_PS4_PT2_iSD_SD_,@function
_Z39paged_attention_ll4mi_QKV_mfma16_kernelI14__hip_bfloat16S0_LN4vllm18Fp8KVCacheDataTypeE0ES0_Li16ELi128ELi256ELb1ELi9EL8MFMAType0EEvPKT_PKT0_S9_ifPKiSB_SB_iPKfiiiPfSE_PS4_PT2_iSD_SD_: ; @_Z39paged_attention_ll4mi_QKV_mfma16_kernelI14__hip_bfloat16S0_LN4vllm18Fp8KVCacheDataTypeE0ES0_Li16ELi128ELi256ELb1ELi9EL8MFMAType0EEvPKT_PKT0_S9_ifPKiSB_SB_iPKfiiiPfSE_PS4_PT2_iSD_SD_
; %bb.0:
	s_mov_b64 s[46:47], s[2:3]
	s_mov_b64 s[44:45], s[0:1]
	s_load_dwordx2 s[0:1], s[4:5], 0x30
	s_add_u32 s44, s44, s9
	s_addc_u32 s45, s45, 0
	s_mov_b32 s26, s7
	s_mov_b64 s[10:11], 0
	s_waitcnt lgkmcnt(0)
	s_cmp_lg_u64 s[0:1], 0
	s_cselect_b64 s[2:3], -1, 0
	s_and_b64 vcc, exec, s[2:3]
	s_cbranch_vccz .LBB296_7
; %bb.1:
	s_add_i32 s12, s6, 1
	s_mov_b32 s13, 0
	s_lshl_b64 s[14:15], s[12:13], 2
	s_add_u32 s14, s0, s14
	s_mov_b32 s7, s13
	s_addc_u32 s15, s1, s15
	s_lshl_b64 s[12:13], s[6:7], 2
	s_add_u32 s12, s0, s12
	s_addc_u32 s13, s1, s13
	s_load_dword s9, s[14:15], 0x0
	s_load_dword s16, s[12:13], 0x0
	s_waitcnt lgkmcnt(0)
	s_sub_i32 s9, s9, s16
	s_cmp_eq_u32 s9, 1
	s_cselect_b64 s[12:13], -1, 0
	s_andn2_b64 vcc, exec, s[10:11]
	s_cbranch_vccnz .LBB296_3
.LBB296_2:
	s_mov_b32 s7, 0
	s_mov_b64 s[12:13], -1
.LBB296_3:
	s_andn2_b64 vcc, exec, s[12:13]
	s_cbranch_vccnz .LBB296_20
; %bb.4:
	s_load_dwordx2 s[12:13], s[4:5], 0x28
	s_lshl_b64 s[10:11], s[6:7], 2
	s_waitcnt lgkmcnt(0)
	s_add_u32 s12, s12, s10
	s_addc_u32 s13, s13, s11
	s_load_dword s33, s[12:13], 0x0
	s_lshl_b32 s16, s26, 8
	s_waitcnt lgkmcnt(0)
	s_cmp_ge_i32 s16, s33
	s_cbranch_scc1 .LBB296_20
; %bb.5:
	s_add_i32 s14, s33, 15
	s_load_dwordx2 s[12:13], s[4:5], 0x20
	s_load_dword s9, s[4:5], 0x38
	s_ashr_i32 s15, s14, 31
	v_and_b32_e32 v1, 0xcf, v0
	s_lshr_b32 s15, s15, 28
	v_add_u32_e32 v1, s16, v1
	s_add_i32 s14, s14, s15
	v_ashrrev_i32_e32 v2, 31, v1
	s_ashr_i32 s19, s14, 4
	v_lshrrev_b32_e32 v4, 28, v2
	s_add_i32 s19, s19, -1
	v_add_u32_e32 v2, v1, v4
	s_waitcnt lgkmcnt(0)
	s_mul_i32 s14, s6, s9
	s_mov_b32 s15, 0
	v_ashrrev_i32_e32 v2, 4, v2
	v_mov_b32_e32 v5, s19
	v_cmp_gt_i32_e32 vcc, s33, v1
	s_lshl_b64 s[14:15], s[14:15], 2
	v_cndmask_b32_e32 v2, v5, v2, vcc
	s_add_u32 s17, s12, s14
	v_ashrrev_i32_e32 v3, 31, v2
	s_addc_u32 s18, s13, s15
	v_lshlrev_b64 v[2:3], 2, v[2:3]
	v_mov_b32_e32 v7, s18
	v_add_co_u32_e32 v6, vcc, s17, v2
	v_or_b32_e32 v2, 16, v1
	v_addc_co_u32_e32 v7, vcc, v7, v3, vcc
	v_add_u32_e32 v3, v2, v4
	v_ashrrev_i32_e32 v3, 4, v3
	v_cmp_gt_i32_e32 vcc, s33, v2
	v_cndmask_b32_e32 v2, v5, v3, vcc
	v_ashrrev_i32_e32 v3, 31, v2
	v_lshlrev_b64 v[2:3], 2, v[2:3]
	v_mov_b32_e32 v9, s18
	v_add_co_u32_e32 v8, vcc, s17, v2
	v_or_b32_e32 v2, 32, v1
	v_addc_co_u32_e32 v9, vcc, v9, v3, vcc
	v_add_u32_e32 v3, v2, v4
	v_ashrrev_i32_e32 v3, 4, v3
	v_cmp_gt_i32_e32 vcc, s33, v2
	v_cndmask_b32_e32 v2, v5, v3, vcc
	v_ashrrev_i32_e32 v3, 31, v2
	;; [unrolled: 10-line block ×3, first 2 shown]
	v_lshlrev_b64 v[2:3], 2, v[2:3]
	v_mov_b32_e32 v1, s18
	v_add_co_u32_e32 v12, vcc, s17, v2
	v_addc_co_u32_e32 v13, vcc, v1, v3, vcc
	global_load_dword v5, v[6:7], off
	global_load_dword v4, v[8:9], off
	;; [unrolled: 1-line block ×4, first 2 shown]
	s_load_dwordx2 s[12:13], s[4:5], 0x8
	s_andn2_b64 vcc, exec, s[2:3]
	s_cbranch_vccnz .LBB296_8
; %bb.6:
	s_add_u32 s0, s0, s10
	s_addc_u32 s1, s1, s11
	s_load_dword s9, s[0:1], 0x0
	s_branch .LBB296_9
.LBB296_7:
	s_mov_b64 s[12:13], 0
	s_branch .LBB296_2
.LBB296_8:
	s_mov_b32 s9, s6
.LBB296_9:
	s_load_dwordx2 s[10:11], s[4:5], 0x10
	s_load_dwordx4 s[0:3], s[4:5], 0x48
	v_lshrrev_b32_e32 v87, 6, v0
	v_bfe_u32 v1, v0, 4, 2
	v_and_b32_e32 v85, 15, v0
	v_lshl_or_b32 v6, v87, 2, v1
	v_lshlrev_b32_e32 v7, 3, v85
	s_mul_i32 s27, s8, 9
	v_cmp_gt_u32_e32 vcc, 9, v6
	v_lshlrev_b32_e32 v7, 1, v7
	buffer_store_dword v7, off, s[44:47], 0 ; 4-byte Folded Spill
	s_and_saveexec_b64 s[14:15], vcc
	s_cbranch_execz .LBB296_11
; %bb.10:
	s_load_dwordx2 s[20:21], s[4:5], 0x0
	s_waitcnt lgkmcnt(0)
	s_ashr_i32 s3, s0, 31
	s_mul_hi_u32 s22, s9, s0
	s_mul_i32 s3, s9, s3
	s_add_i32 s23, s22, s3
	s_mul_i32 s22, s9, s0
	s_lshl_b64 s[22:23], s[22:23], 1
	v_add_lshl_u32 v8, v6, s27, 7
	s_add_u32 s0, s20, s22
	v_ashrrev_i32_e32 v9, 31, v8
	s_addc_u32 s3, s21, s23
	v_lshlrev_b64 v[8:9], 1, v[8:9]
	v_mov_b32_e32 v7, s3
	v_add_co_u32_e32 v8, vcc, s0, v8
	v_addc_co_u32_e32 v7, vcc, v7, v9, vcc
	buffer_load_dword v9, off, s[44:47], 0  ; 4-byte Folded Reload
	v_lshlrev_b32_e32 v12, 9, v85
	v_lshlrev_b32_e32 v6, 5, v6
	v_and_b32_e32 v12, 0x1800, v12
	s_waitcnt vmcnt(0)
	v_add_co_u32_e32 v8, vcc, v8, v9
	v_addc_co_u32_e32 v9, vcc, 0, v7, vcc
	global_load_dwordx4 v[8:11], v[8:9], off
	v_and_b32_e32 v7, 3, v0
	v_lshlrev_b32_e32 v7, 9, v7
	v_or3_b32 v6, v12, v7, v6
	s_waitcnt vmcnt(0)
	ds_write_b128 v6, v[8:11]
.LBB296_11:
	s_or_b64 exec, exec, s[14:15]
	s_waitcnt lgkmcnt(0)
	s_mul_i32 s2, s8, s2
	s_mov_b32 s3, 0
	s_lshl_b64 s[2:3], s[2:3], 1
	s_add_u32 s0, s12, s2
	v_lshlrev_b32_e32 v10, 4, v0
	s_addc_u32 s8, s13, s3
	v_and_b32_e32 v6, 0xf0, v10
	v_mov_b32_e32 v7, s8
	v_add_co_u32_e32 v8, vcc, s0, v6
	v_addc_co_u32_e32 v9, vcc, 0, v7, vcc
	s_waitcnt vmcnt(4)
	v_mad_i64_i32 v[6:7], s[8:9], v5, s1, 0
	v_lshlrev_b64 v[6:7], 1, v[6:7]
	v_add_co_u32_e32 v5, vcc, v8, v6
	v_addc_co_u32_e32 v7, vcc, v9, v7, vcc
	v_and_b32_e32 v10, 0x300, v10
	v_add_co_u32_e32 v6, vcc, v5, v10
	s_waitcnt vmcnt(3)
	v_mad_i64_i32 v[4:5], s[8:9], v4, s1, 0
	v_addc_co_u32_e32 v7, vcc, 0, v7, vcc
	v_lshlrev_b64 v[4:5], 1, v[4:5]
	v_add_co_u32_e32 v4, vcc, v8, v4
	v_addc_co_u32_e32 v5, vcc, v9, v5, vcc
	v_add_co_u32_e32 v4, vcc, v4, v10
	v_addc_co_u32_e32 v5, vcc, 0, v5, vcc
	s_barrier
	global_load_dwordx4 v[74:77], v[6:7], off
	global_load_dwordx4 v[66:69], v[6:7], off offset:1024
	global_load_dwordx4 v[58:61], v[6:7], off offset:2048
	;; [unrolled: 1-line block ×3, first 2 shown]
	global_load_dwordx4 v[78:81], v[4:5], off
	global_load_dwordx4 v[70:73], v[4:5], off offset:1024
	global_load_dwordx4 v[62:65], v[4:5], off offset:2048
	global_load_dwordx4 v[46:49], v[4:5], off offset:3072
	s_waitcnt vmcnt(10)
	v_mad_i64_i32 v[4:5], s[8:9], v3, s1, 0
	v_lshlrev_b64 v[4:5], 1, v[4:5]
	v_add_co_u32_e32 v3, vcc, v8, v4
	v_addc_co_u32_e32 v5, vcc, v9, v5, vcc
	v_add_co_u32_e32 v4, vcc, v3, v10
	s_waitcnt vmcnt(9)
	v_mad_i64_i32 v[2:3], s[8:9], v2, s1, 0
	v_addc_co_u32_e32 v5, vcc, 0, v5, vcc
	v_lshlrev_b64 v[2:3], 1, v[2:3]
	v_add_co_u32_e32 v2, vcc, v8, v2
	v_addc_co_u32_e32 v3, vcc, v9, v3, vcc
	v_add_co_u32_e32 v6, vcc, v2, v10
	v_addc_co_u32_e32 v7, vcc, 0, v3, vcc
	global_load_dwordx4 v[38:41], v[4:5], off
	global_load_dwordx4 v[34:37], v[4:5], off offset:1024
	global_load_dwordx4 v[30:33], v[4:5], off offset:2048
	;; [unrolled: 1-line block ×3, first 2 shown]
	global_load_dwordx4 v[18:21], v[6:7], off
	global_load_dwordx4 v[10:13], v[6:7], off offset:1024
	s_nop 0
	global_load_dwordx4 v[2:5], v[6:7], off offset:2048
	global_load_dwordx4 v[50:53], v[6:7], off offset:3072
	v_add_u32_e32 v6, -9, v85
	v_cmp_gt_u32_e32 vcc, 9, v85
	v_cndmask_b32_e32 v6, v6, v85, vcc
	v_lshlrev_b32_e32 v6, 5, v6
	v_lshl_add_u32 v54, v1, 9, v6
	ds_read_b128 v[26:29], v54
	ds_read_b128 v[14:17], v54 offset:2048
	ds_read_b128 v[6:9], v54 offset:4096
	;; [unrolled: 1-line block ×3, first 2 shown]
	v_and_b32_e32 v88, 63, v0
	v_mov_b32_e32 v89, 0
	s_and_saveexec_b64 s[8:9], vcc
	s_cbranch_execz .LBB296_13
; %bb.12:
	s_load_dwordx2 s[12:13], s[4:5], 0x40
	v_add_u32_e32 v82, s27, v85
	v_ashrrev_i32_e32 v83, 31, v82
	v_lshlrev_b64 v[82:83], 2, v[82:83]
	s_waitcnt lgkmcnt(0)
	v_mov_b32_e32 v89, s13
	v_add_co_u32_e32 v82, vcc, s12, v82
	v_addc_co_u32_e32 v83, vcc, v89, v83, vcc
	global_load_dword v89, v[82:83], off
.LBB296_13:
	s_or_b64 exec, exec, s[8:9]
	s_waitcnt vmcnt(15) lgkmcnt(3)
	v_mfma_f32_16x16x16bf16_1k v[90:93], v[74:75], v[26:27], 0
	s_add_u32 s8, s10, s2
	s_addc_u32 s9, s11, s3
	s_load_dword s0, s[4:5], 0x1c
	s_mov_b32 s40, 0xff7fffff
	v_mfma_f32_16x16x16bf16_1k v[74:77], v[76:77], v[28:29], v[90:93]
	s_waitcnt vmcnt(14) lgkmcnt(0)
	v_mfma_f32_16x16x16bf16_1k v[74:77], v[66:67], v[14:15], v[74:77]
	s_nop 4
	v_lshl_or_b32 v90, v87, 4, v85
	v_mfma_f32_16x16x16bf16_1k v[66:69], v[68:69], v[16:17], v[74:77]
	s_waitcnt vmcnt(13)
	v_mfma_f32_16x16x16bf16_1k v[66:69], v[58:59], v[6:7], v[66:69]
	s_nop 4
	v_lshlrev_b32_e32 v76, 5, v90
	v_mfma_f32_16x16x16bf16_1k v[58:61], v[60:61], v[8:9], v[66:69]
	s_waitcnt vmcnt(12)
	v_mfma_f32_16x16x16bf16_1k v[58:61], v[42:43], v[54:55], v[58:61]
	s_nop 4
	v_mov_b32_e32 v66, s18
	v_mfma_f32_16x16x16bf16_1k v[58:61], v[44:45], v[56:57], v[58:61]
	s_waitcnt vmcnt(11)
	v_mfma_f32_16x16x16bf16_1k v[42:45], v[78:79], v[26:27], 0
	s_nop 7
	s_nop 0
	v_pk_mul_f32 v[58:59], s[0:1], v[58:59] op_sel_hi:[0,1]
	v_mfma_f32_16x16x16bf16_1k v[42:45], v[80:81], v[28:29], v[42:45]
	s_waitcnt vmcnt(10)
	v_mfma_f32_16x16x16bf16_1k v[42:45], v[70:71], v[14:15], v[42:45]
	v_mfma_f32_16x16x16bf16_1k v[42:45], v[72:73], v[16:17], v[42:45]
	s_waitcnt vmcnt(9)
	v_mfma_f32_16x16x16bf16_1k v[42:45], v[62:63], v[6:7], v[42:45]
	;; [unrolled: 3-line block ×3, first 2 shown]
	v_mfma_f32_16x16x16bf16_1k v[62:65], v[48:49], v[56:57], v[42:45]
	v_and_or_b32 v48, v0, 48, s16
	v_mov_b32_e32 v49, s19
	v_cmp_gt_i32_e32 vcc, s33, v48
	s_waitcnt vmcnt(7)
	v_mfma_f32_16x16x16bf16_1k v[42:45], v[38:39], v[26:27], 0
	v_ashrrev_i32_e32 v38, 4, v48
	v_cndmask_b32_e32 v38, v49, v38, vcc
	v_ashrrev_i32_e32 v39, 31, v38
	v_lshlrev_b64 v[46:47], 2, v[38:39]
	v_mfma_f32_16x16x16bf16_1k v[38:41], v[40:41], v[28:29], v[42:45]
	s_nop 6
	v_add_co_u32_e32 v42, vcc, s17, v46
	v_addc_co_u32_e32 v43, vcc, v66, v47, vcc
	global_load_dword v44, v[42:43], off
	v_or_b32_e32 v42, 64, v48
	v_ashrrev_i32_e32 v43, 4, v42
	v_cmp_gt_i32_e32 vcc, s33, v42
	v_cndmask_b32_e32 v42, v49, v43, vcc
	s_waitcnt vmcnt(7)
	v_mfma_f32_16x16x16bf16_1k v[38:41], v[34:35], v[14:15], v[38:41]
	v_ashrrev_i32_e32 v43, 31, v42
	v_lshlrev_b64 v[34:35], 2, v[42:43]
	v_mov_b32_e32 v42, s18
	v_add_co_u32_e32 v34, vcc, s17, v34
	v_addc_co_u32_e32 v35, vcc, v42, v35, vcc
	global_load_dword v72, v[34:35], off
	v_mfma_f32_16x16x16bf16_1k v[34:37], v[36:37], v[16:17], v[38:41]
	s_nop 6
	v_or_b32_e32 v38, 0x80, v48
	v_ashrrev_i32_e32 v39, 4, v38
	v_cmp_gt_i32_e32 vcc, s33, v38
	v_cndmask_b32_e32 v38, v49, v39, vcc
	v_ashrrev_i32_e32 v39, 31, v38
	v_lshlrev_b64 v[38:39], 2, v[38:39]
	v_mov_b32_e32 v40, s18
	s_waitcnt vmcnt(7)
	v_mfma_f32_16x16x16bf16_1k v[34:37], v[30:31], v[6:7], v[34:37]
	v_add_co_u32_e32 v30, vcc, s17, v38
	v_addc_co_u32_e32 v31, vcc, v40, v39, vcc
	global_load_dword v74, v[30:31], off
	v_or_b32_e32 v30, 0xc0, v48
	v_ashrrev_i32_e32 v31, 4, v30
	v_cmp_gt_i32_e32 vcc, s33, v30
	v_cndmask_b32_e32 v38, v49, v31, vcc
	v_ashrrev_i32_e32 v39, 31, v38
	v_mfma_f32_16x16x16bf16_1k v[30:33], v[32:33], v[8:9], v[34:37]
	s_nop 6
	v_lshlrev_b64 v[34:35], 2, v[38:39]
	v_mov_b32_e32 v36, s18
	v_add_co_u32_e32 v34, vcc, s17, v34
	v_addc_co_u32_e32 v35, vcc, v36, v35, vcc
	global_load_dword v75, v[34:35], off
	s_waitcnt vmcnt(8)
	v_mfma_f32_16x16x16bf16_1k v[30:33], v[22:23], v[54:55], v[30:33]
	v_mov_b32_e32 v22, s9
	v_add_co_u32_e32 v77, vcc, s8, v76
	v_addc_co_u32_e32 v78, vcc, 0, v22, vcc
	s_waitcnt vmcnt(3)
	v_mad_i64_i32 v[22:23], s[2:3], v44, s1, 0
	v_mfma_f32_16x16x16bf16_1k v[66:69], v[24:25], v[56:57], v[30:33]
	v_lshlrev_b64 v[70:71], 1, v[22:23]
	v_mfma_f32_16x16x16bf16_1k v[22:25], v[18:19], v[26:27], 0
	v_add_co_u32_e32 v18, vcc, v77, v70
	v_addc_co_u32_e32 v19, vcc, v78, v71, vcc
	global_load_dwordx4 v[46:49], v[18:19], off
	global_load_dwordx4 v[42:45], v[18:19], off offset:16
	s_waitcnt vmcnt(4)
	v_mad_i64_i32 v[18:19], s[2:3], v72, s1, 0
	v_lshlrev_b64 v[72:73], 1, v[18:19]
	v_mfma_f32_16x16x16bf16_1k v[18:21], v[20:21], v[28:29], v[22:25]
	v_mfma_f32_16x16x16bf16_1k v[18:21], v[10:11], v[14:15], v[18:21]
	s_nop 5
	v_add_co_u32_e32 v22, vcc, v77, v72
	v_addc_co_u32_e32 v23, vcc, v78, v73, vcc
	global_load_dwordx4 v[38:41], v[22:23], off
	global_load_dwordx4 v[34:37], v[22:23], off offset:16
	s_waitcnt vmcnt(5)
	v_mad_i64_i32 v[22:23], s[2:3], v74, s1, 0
	v_lshlrev_b64 v[82:83], 1, v[22:23]
	v_add_co_u32_e32 v10, vcc, v77, v82
	v_addc_co_u32_e32 v11, vcc, v78, v83, vcc
	global_load_dwordx4 v[30:33], v[10:11], off
	global_load_dwordx4 v[26:29], v[10:11], off offset:16
	v_mfma_f32_16x16x16bf16_1k v[10:13], v[12:13], v[16:17], v[18:21]
	s_waitcnt vmcnt(6)
	v_mad_i64_i32 v[14:15], s[2:3], v75, s1, 0
	v_mfma_f32_16x16x16bf16_1k v[10:13], v[2:3], v[6:7], v[10:13]
	v_lshlrev_b64 v[80:81], 1, v[14:15]
	v_add_co_u32_e32 v14, vcc, v77, v80
	v_addc_co_u32_e32 v15, vcc, v78, v81, vcc
	v_or_b32_e32 v2, 0x800, v76
	v_mov_b32_e32 v3, s9
	v_mfma_f32_16x16x16bf16_1k v[10:13], v[4:5], v[8:9], v[10:13]
	v_add_co_u32_e32 v91, vcc, s8, v2
	v_addc_co_u32_e32 v84, vcc, 0, v3, vcc
	v_add_co_u32_e32 v2, vcc, v91, v70
	v_addc_co_u32_e32 v3, vcc, v84, v71, vcc
	v_mfma_f32_16x16x16bf16_1k v[92:95], v[50:51], v[54:55], v[10:13]
	v_add_co_u32_e32 v70, vcc, v91, v72
	v_addc_co_u32_e32 v71, vcc, v84, v73, vcc
	global_load_dwordx4 v[22:25], v[14:15], off
	global_load_dwordx4 v[18:21], v[14:15], off offset:16
	global_load_dwordx4 v[6:9], v[2:3], off
	s_nop 0
	global_load_dwordx4 v[2:5], v[2:3], off offset:16
	s_nop 0
	global_load_dwordx4 v[14:17], v[70:71], off
	global_load_dwordx4 v[10:13], v[70:71], off offset:16
	v_mfma_f32_16x16x16bf16_1k v[50:53], v[52:53], v[56:57], v[92:95]
	v_pk_mul_f32 v[70:71], s[0:1], v[68:69] op_sel_hi:[0,1]
	v_pk_mul_f32 v[72:73], s[0:1], v[66:67] op_sel_hi:[0,1]
	;; [unrolled: 1-line block ×5, first 2 shown]
	s_nop 5
	v_pk_mul_f32 v[68:69], s[0:1], v[50:51] op_sel_hi:[0,1]
	v_and_b32_e32 v50, 0xc0, v0
	v_add_u32_e32 v50, s16, v50
	v_lshl_or_b32 v50, v1, 2, v50
	v_or_b32_e32 v51, 1, v50
	v_pk_mul_f32 v[66:67], s[0:1], v[52:53] op_sel_hi:[0,1]
	v_subrev_u32_e32 v52, s33, v51
	v_add_u32_e32 v54, 1, v52
	v_add_u32_e32 v55, 2, v52
	v_cvt_f32_i32_e32 v53, v52
	v_cvt_f32_i32_e32 v54, v54
	;; [unrolled: 1-line block ×3, first 2 shown]
	v_add_u32_e32 v56, 3, v52
	v_fma_f32 v58, v89, v53, v58
	v_fmac_f32_e32 v59, v89, v54
	v_fma_f32 v78, v89, v55, v78
	v_add_u32_e32 v53, 16, v52
	v_add_u32_e32 v54, 17, v52
	;; [unrolled: 1-line block ×3, first 2 shown]
	v_cvt_f32_i32_e32 v56, v56
	v_cvt_f32_i32_e32 v53, v53
	;; [unrolled: 1-line block ×4, first 2 shown]
	v_fmac_f32_e32 v79, v89, v56
	v_add_u32_e32 v56, 19, v52
	v_fma_f32 v76, v89, v53, v76
	v_fmac_f32_e32 v77, v89, v54
	v_fma_f32 v74, v89, v55, v74
	v_add_u32_e32 v53, 32, v52
	v_add_u32_e32 v54, 33, v52
	;; [unrolled: 1-line block ×3, first 2 shown]
	v_cvt_f32_i32_e32 v56, v56
	v_cvt_f32_i32_e32 v53, v53
	;; [unrolled: 1-line block ×4, first 2 shown]
	v_fmac_f32_e32 v75, v89, v56
	v_add_u32_e32 v56, 35, v52
	v_fma_f32 v72, v89, v53, v72
	v_fmac_f32_e32 v73, v89, v54
	v_fma_f32 v70, v89, v55, v70
	v_add_u32_e32 v53, 48, v52
	v_add_u32_e32 v54, 49, v52
	v_add_u32_e32 v55, 50, v52
	v_add_u32_e32 v52, 51, v52
	v_cvt_f32_i32_e32 v52, v52
	v_cvt_f32_i32_e32 v53, v53
	;; [unrolled: 1-line block ×3, first 2 shown]
	v_cmp_gt_i32_e64 s[28:29], s33, v50
	v_fmac_f32_e32 v67, v89, v52
	v_mov_b32_e32 v52, 0xff7fffff
	v_cmp_gt_i32_e64 s[30:31], s33, v51
	v_fma_f32 v68, v89, v53, v68
	v_cndmask_b32_e64 v53, v52, v58, s[28:29]
	v_cndmask_b32_e64 v51, v52, v59, s[30:31]
	v_fmac_f32_e32 v69, v89, v54
	v_max3_f32 v51, v53, s40, v51
	v_or_b32_e32 v53, 2, v50
	v_or_b32_e32 v54, 3, v50
	v_cmp_gt_i32_e64 s[34:35], s33, v53
	v_cmp_gt_i32_e64 s[36:37], s33, v54
	v_cndmask_b32_e64 v53, v52, v78, s[34:35]
	v_cndmask_b32_e64 v54, v52, v79, s[36:37]
	v_max3_f32 v51, v51, v53, v54
	v_or_b32_e32 v53, 16, v50
	v_or_b32_e32 v54, 17, v50
	v_cmp_gt_i32_e64 s[22:23], s33, v53
	v_cmp_gt_i32_e64 s[24:25], s33, v54
	v_cndmask_b32_e64 v53, v52, v76, s[22:23]
	v_cndmask_b32_e64 v54, v52, v77, s[24:25]
	;; [unrolled: 7-line block ×3, first 2 shown]
	v_cvt_f32_i32_e32 v56, v56
	v_max3_f32 v51, v51, v53, v54
	v_or_b32_e32 v53, 32, v50
	v_or_b32_e32 v54, 33, v50
	v_cmp_gt_i32_e64 s[14:15], s33, v53
	v_cmp_gt_i32_e64 s[16:17], s33, v54
	v_cndmask_b32_e64 v53, v52, v72, s[14:15]
	v_cndmask_b32_e64 v54, v52, v73, s[16:17]
	v_max3_f32 v51, v51, v53, v54
	v_or_b32_e32 v53, 34, v50
	v_or_b32_e32 v54, 35, v50
	v_fmac_f32_e32 v71, v89, v56
	v_cmp_gt_i32_e64 s[10:11], s33, v53
	v_cmp_gt_i32_e64 s[12:13], s33, v54
	v_cndmask_b32_e64 v53, v52, v70, s[10:11]
	v_cndmask_b32_e64 v54, v52, v71, s[12:13]
	v_cvt_f32_i32_e32 v55, v55
	v_max3_f32 v51, v51, v53, v54
	v_or_b32_e32 v53, 48, v50
	v_or_b32_e32 v54, 49, v50
	v_cmp_gt_i32_e64 s[2:3], s33, v53
	v_cmp_gt_i32_e64 s[8:9], s33, v54
	v_cndmask_b32_e64 v53, v52, v68, s[2:3]
	v_cndmask_b32_e64 v54, v52, v69, s[8:9]
	v_max3_f32 v51, v51, v53, v54
	v_or_b32_e32 v53, 50, v50
	v_or_b32_e32 v50, 51, v50
	v_fma_f32 v66, v89, v55, v66
	v_cmp_gt_i32_e32 vcc, s33, v53
	v_cmp_gt_i32_e64 s[0:1], s33, v50
	v_cndmask_b32_e32 v53, v52, v66, vcc
	v_cndmask_b32_e64 v50, v52, v67, s[0:1]
	v_max3_f32 v60, v51, v53, v50
	v_mbcnt_lo_u32_b32 v50, -1, 0
	v_mbcnt_hi_u32_b32 v61, -1, v50
	v_and_b32_e32 v50, 64, v61
	v_add_u32_e32 v62, 64, v50
	v_xor_b32_e32 v50, 32, v61
	v_cmp_lt_i32_e64 s[38:39], v50, v62
	v_cndmask_b32_e64 v50, v61, v50, s[38:39]
	v_lshlrev_b32_e32 v89, 2, v50
	ds_bpermute_b32 v63, v89, v60
	v_add_co_u32_e64 v50, s[38:39], v91, v82
	v_addc_co_u32_e64 v51, s[38:39], v84, v83, s[38:39]
	s_waitcnt lgkmcnt(0)
	v_max_f32_e32 v63, v63, v63
	v_max_f32_e32 v63, v60, v63
	v_xor_b32_e32 v60, 16, v61
	v_cmp_lt_i32_e64 s[38:39], v60, v62
	v_cndmask_b32_e64 v60, v61, v60, s[38:39]
	v_lshlrev_b32_e32 v92, 2, v60
	ds_bpermute_b32 v62, v92, v63
	v_add_co_u32_e64 v60, s[38:39], v91, v80
	v_addc_co_u32_e64 v61, s[38:39], v84, v81, s[38:39]
	s_waitcnt lgkmcnt(0)
	v_max_f32_e32 v62, v62, v62
	v_max_f32_e32 v82, v63, v62
	v_sub_f32_e32 v58, v58, v82
	v_mul_f32_e32 v58, 0x3fb8aa3b, v58
	v_exp_f32_e32 v80, v58
	v_sub_f32_e32 v58, v59, v82
	v_mul_f32_e32 v58, 0x3fb8aa3b, v58
	global_load_dwordx4 v[54:57], v[50:51], off
	s_nop 0
	global_load_dwordx4 v[50:53], v[50:51], off offset:16
	v_exp_f32_e32 v81, v58
	global_load_dwordx4 v[62:65], v[60:61], off
	s_nop 0
	global_load_dwordx4 v[58:61], v[60:61], off offset:16
	v_sub_f32_e32 v78, v78, v82
	v_mul_f32_e32 v78, 0x3fb8aa3b, v78
	v_sub_f32_e32 v79, v79, v82
	v_exp_f32_e32 v78, v78
	v_mul_f32_e32 v79, 0x3fb8aa3b, v79
	v_sub_f32_e32 v76, v76, v82
	v_exp_f32_e32 v79, v79
	v_mul_f32_e32 v76, 0x3fb8aa3b, v76
	v_sub_f32_e32 v77, v77, v82
	v_cndmask_b32_e64 v80, 0, v80, s[28:29]
	v_exp_f32_e32 v76, v76
	v_mul_f32_e32 v77, 0x3fb8aa3b, v77
	v_sub_f32_e32 v74, v74, v82
	v_add_f32_e32 v83, 0, v80
	v_cndmask_b32_e64 v81, 0, v81, s[30:31]
	v_exp_f32_e32 v77, v77
	v_mul_f32_e32 v74, 0x3fb8aa3b, v74
	v_sub_f32_e32 v75, v75, v82
	v_add_f32_e32 v83, v83, v81
	;; [unrolled: 5-line block ×10, first 2 shown]
	v_cndmask_b32_e64 v70, 0, v70, s[10:11]
	v_exp_f32_e32 v66, v66
	v_mul_f32_e32 v67, 0x3fb8aa3b, v67
	v_add_f32_e32 v83, v83, v70
	v_cndmask_b32_e64 v71, 0, v71, s[12:13]
	v_exp_f32_e32 v67, v67
	v_add_f32_e32 v83, v83, v71
	v_cndmask_b32_e64 v68, 0, v68, s[2:3]
	v_add_f32_e32 v83, v83, v68
	v_cndmask_b32_e64 v69, 0, v69, s[8:9]
	v_add_f32_e32 v83, v83, v69
	v_cndmask_b32_e32 v66, 0, v66, vcc
	v_add_f32_e32 v83, v83, v66
	v_cndmask_b32_e64 v67, 0, v67, s[0:1]
	v_add_f32_e32 v83, v83, v67
	ds_bpermute_b32 v84, v89, v83
	s_load_dword s9, s[4:5], 0x98
	v_cmp_gt_u32_e64 s[0:1], 16, v88
	s_waitcnt lgkmcnt(0)
	s_barrier
	v_add_f32_e32 v83, v83, v84
	ds_bpermute_b32 v89, v92, v83
	s_waitcnt lgkmcnt(0)
	s_and_saveexec_b64 s[2:3], s[0:1]
	s_cbranch_execz .LBB296_15
; %bb.14:
	v_add_f32_e32 v83, v83, v89
	v_lshlrev_b32_e32 v84, 2, v90
	ds_write2st64_b32 v84, v82, v83 offset1:1
.LBB296_15:
	s_or_b64 exec, exec, s[2:3]
	v_lshlrev_b32_e32 v83, 2, v85
	s_load_dword s8, s[4:5], 0x94
	s_waitcnt lgkmcnt(0)
	s_barrier
	ds_read2_b32 v[88:89], v83 offset1:16
	ds_read2_b32 v[90:91], v83 offset0:32 offset1:48
	ds_read2_b32 v[92:93], v83 offset0:64 offset1:80
	s_movk_i32 s10, 0x7fff
	s_mov_b32 s11, 0x7060302
	s_waitcnt lgkmcnt(2)
	v_max3_f32 v82, v88, s40, v89
	s_waitcnt lgkmcnt(1)
	v_max3_f32 v82, v82, v90, v91
	v_sub_f32_e32 v84, v88, v82
	v_sub_f32_e32 v88, v89, v82
	v_mul_f32_e32 v88, 0x3fb8aa3b, v88
	v_mul_f32_e32 v84, 0x3fb8aa3b, v84
	v_exp_f32_e32 v94, v88
	v_sub_f32_e32 v88, v90, v82
	v_exp_f32_e32 v84, v84
	v_mul_f32_e32 v88, 0x3fb8aa3b, v88
	v_exp_f32_e32 v90, v88
	ds_read2_b32 v[88:89], v83 offset0:96 offset1:112
	v_sub_f32_e32 v83, v91, v82
	v_mul_f32_e32 v83, 0x3fb8aa3b, v83
	v_exp_f32_e32 v91, v83
	s_waitcnt lgkmcnt(1)
	v_fma_f32 v83, v84, v92, 0
	v_fmac_f32_e32 v83, v94, v93
	s_waitcnt lgkmcnt(0)
	v_fmac_f32_e32 v83, v90, v88
	v_fmac_f32_e32 v83, v91, v89
	v_add_f32_e32 v88, 0x358637bd, v83
	v_div_scale_f32 v89, s[2:3], v88, v88, 1.0
	v_rcp_f32_e32 v92, v89
	s_mul_i32 s9, s9, 9
	s_barrier
	v_fma_f32 v93, -v89, v92, 1.0
	v_fmac_f32_e32 v92, v93, v92
	v_div_scale_f32 v93, vcc, 1.0, v88, 1.0
	v_mul_f32_e32 v95, v93, v92
	v_fma_f32 v86, -v89, v95, v93
	v_fmac_f32_e32 v95, v86, v92
	v_fma_f32 v86, -v89, v95, v93
	v_div_fmas_f32 v86, v86, v92, v95
	v_cmp_eq_u32_e32 vcc, 1, v87
	v_cndmask_b32_e32 v84, v84, v94, vcc
	v_cmp_eq_u32_e32 vcc, 2, v87
	v_cndmask_b32_e32 v84, v84, v90, vcc
	v_cmp_eq_u32_e32 vcc, 3, v87
	v_div_fixup_f32 v86, v86, v88, 1.0
	v_cndmask_b32_e32 v84, v84, v91, vcc
	v_mul_f32_e32 v88, v84, v86
	v_pk_mul_f32 v[80:81], v[88:89], v[80:81] op_sel_hi:[0,1]
	v_bfe_u32 v84, v81, 16, 1
	v_bfe_u32 v86, v80, 16, 1
	v_pk_mul_f32 v[78:79], v[88:89], v[78:79] op_sel_hi:[0,1]
	v_add3_u32 v80, v80, v86, s10
	v_add3_u32 v81, v81, v84, s10
	v_perm_b32 v80, v81, v80, s11
	v_bfe_u32 v81, v79, 16, 1
	v_bfe_u32 v84, v78, 16, 1
	v_add3_u32 v78, v78, v84, s10
	v_add3_u32 v79, v79, v81, s10
	v_perm_b32 v81, v79, v78, s11
	v_lshlrev_b32_e32 v78, 3, v1
	v_lshlrev_b32_e32 v79, 5, v85
	v_lshlrev_b32_e32 v84, 11, v87
	v_pk_mul_f32 v[76:77], v[88:89], v[76:77] op_sel_hi:[0,1]
	v_or3_b32 v78, v84, v79, v78
	v_bfe_u32 v84, v77, 16, 1
	v_bfe_u32 v86, v76, 16, 1
	v_pk_mul_f32 v[74:75], v[88:89], v[74:75] op_sel_hi:[0,1]
	v_add3_u32 v76, v76, v86, s10
	v_add3_u32 v77, v77, v84, s10
	v_perm_b32 v76, v77, v76, s11
	v_bfe_u32 v77, v75, 16, 1
	v_bfe_u32 v84, v74, 16, 1
	v_add3_u32 v74, v74, v84, s10
	v_add3_u32 v75, v75, v77, s10
	v_pk_mul_f32 v[72:73], v[88:89], v[72:73] op_sel_hi:[0,1]
	v_perm_b32 v77, v75, v74, s11
	v_bfe_u32 v74, v73, 16, 1
	v_bfe_u32 v75, v72, 16, 1
	v_pk_mul_f32 v[70:71], v[88:89], v[70:71] op_sel_hi:[0,1]
	v_add3_u32 v72, v72, v75, s10
	v_add3_u32 v73, v73, v74, s10
	v_perm_b32 v72, v73, v72, s11
	v_bfe_u32 v73, v71, 16, 1
	v_bfe_u32 v74, v70, 16, 1
	v_add3_u32 v70, v70, v74, s10
	v_add3_u32 v71, v71, v73, s10
	v_pk_mul_f32 v[68:69], v[88:89], v[68:69] op_sel_hi:[0,1]
	v_perm_b32 v73, v71, v70, s11
	v_bfe_u32 v70, v69, 16, 1
	v_bfe_u32 v71, v68, 16, 1
	v_pk_mul_f32 v[66:67], v[88:89], v[66:67] op_sel_hi:[0,1]
	v_add3_u32 v68, v68, v71, s10
	v_add3_u32 v69, v69, v70, s10
	v_perm_b32 v68, v69, v68, s11
	v_bfe_u32 v69, v67, 16, 1
	v_bfe_u32 v70, v66, 16, 1
	v_add3_u32 v66, v66, v70, s10
	v_add3_u32 v67, v67, v69, s10
	v_perm_b32 v69, v67, v66, s11
	v_cmp_gt_u32_e32 vcc, 9, v0
	ds_write2st64_b64 v78, v[80:81], v[76:77] offset1:1
	ds_write2st64_b64 v78, v[72:73], v[68:69] offset0:2 offset1:3
	s_and_saveexec_b64 s[2:3], vcc
	s_cbranch_execz .LBB296_17
; %bb.16:
	v_add_co_u32_e32 v68, vcc, s27, v85
	v_addc_co_u32_e64 v69, s[16:17], 0, 0, vcc
	v_mov_b32_e32 v66, s9
	v_mov_b32_e32 v67, 0
	v_mad_u64_u32 v[68:69], s[16:17], s6, v66, v[68:69]
	v_mov_b32_e32 v66, s26
	s_load_dwordx4 s[12:15], s[4:5], 0x58
	s_mul_i32 s7, s7, s9
	v_mad_u64_u32 v[66:67], s[16:17], v68, s8, v[66:67]
	v_add_u32_e32 v69, s7, v69
	v_mov_b32_e32 v68, v67
	v_mad_u64_u32 v[68:69], s[16:17], v69, s8, v[68:69]
	v_mov_b32_e32 v67, v68
	v_lshlrev_b64 v[66:67], 2, v[66:67]
	s_waitcnt lgkmcnt(0)
	v_mov_b32_e32 v69, s15
	v_add_co_u32_e32 v68, vcc, s14, v66
	v_addc_co_u32_e32 v69, vcc, v69, v67, vcc
	global_store_dword v[68:69], v82, off
	v_mov_b32_e32 v68, s13
	v_add_co_u32_e32 v66, vcc, s12, v66
	v_addc_co_u32_e32 v67, vcc, v68, v67, vcc
	global_store_dword v[66:67], v83, off
.LBB296_17:
	s_or_b64 exec, exec, s[2:3]
	v_lshl_or_b32 v79, v1, 9, v79
	s_waitcnt lgkmcnt(0)
	s_barrier
	ds_read_b128 v[70:73], v79
	ds_read_b128 v[66:69], v79 offset:16
	s_waitcnt vmcnt(15) lgkmcnt(1)
	v_mfma_f32_16x16x16bf16_1k v[74:77], v[46:47], v[70:71], 0
	s_mov_b32 s3, 0
	v_cmp_gt_u32_e32 vcc, 64, v0
	v_mfma_f32_16x16x16bf16_1k v[46:49], v[48:49], v[72:73], v[74:77]
	s_waitcnt vmcnt(14) lgkmcnt(0)
	v_mfma_f32_16x16x16bf16_1k v[46:49], v[42:43], v[66:67], v[46:49]
	v_mfma_f32_16x16x16bf16_1k v[42:45], v[44:45], v[68:69], v[46:49]
	s_nop 7
	s_nop 1
	ds_read_b128 v[46:49], v79 offset:2048
	ds_read_b128 v[74:77], v79 offset:2064
	s_waitcnt vmcnt(13) lgkmcnt(1)
	v_mfma_f32_16x16x16bf16_1k v[42:45], v[38:39], v[46:47], v[42:45]
	v_mfma_f32_16x16x16bf16_1k v[38:41], v[40:41], v[48:49], v[42:45]
	s_waitcnt vmcnt(12) lgkmcnt(0)
	v_mfma_f32_16x16x16bf16_1k v[38:41], v[34:35], v[74:75], v[38:41]
	v_mfma_f32_16x16x16bf16_1k v[34:37], v[36:37], v[76:77], v[38:41]
	s_nop 7
	s_nop 1
	ds_read_b128 v[38:41], v79 offset:4096
	ds_read_b128 v[42:45], v79 offset:4112
	s_waitcnt vmcnt(11) lgkmcnt(1)
	v_mfma_f32_16x16x16bf16_1k v[34:37], v[30:31], v[38:39], v[34:37]
	v_mfma_f32_16x16x16bf16_1k v[30:33], v[32:33], v[40:41], v[34:37]
	s_waitcnt vmcnt(10) lgkmcnt(0)
	v_mfma_f32_16x16x16bf16_1k v[30:33], v[26:27], v[42:43], v[30:33]
	v_mfma_f32_16x16x16bf16_1k v[26:29], v[28:29], v[44:45], v[30:33]
	s_nop 7
	s_nop 1
	ds_read_b128 v[30:33], v79 offset:6144
	ds_read_b128 v[34:37], v79 offset:6160
	s_waitcnt lgkmcnt(0)
	s_barrier
	s_waitcnt vmcnt(9)
	v_mfma_f32_16x16x16bf16_1k v[26:29], v[22:23], v[30:31], v[26:29]
	v_mfma_f32_16x16x16bf16_1k v[22:25], v[24:25], v[32:33], v[26:29]
	s_waitcnt vmcnt(8)
	v_mfma_f32_16x16x16bf16_1k v[22:25], v[18:19], v[34:35], v[22:25]
	v_mfma_f32_16x16x16bf16_1k v[18:21], v[20:21], v[36:37], v[22:25]
	s_waitcnt vmcnt(7)
	v_mfma_f32_16x16x16bf16_1k v[22:25], v[6:7], v[70:71], 0
	v_mfma_f32_16x16x16bf16_1k v[6:9], v[8:9], v[72:73], v[22:25]
	s_waitcnt vmcnt(6)
	v_mfma_f32_16x16x16bf16_1k v[6:9], v[2:3], v[66:67], v[6:9]
	v_mfma_f32_16x16x16bf16_1k v[2:5], v[4:5], v[68:69], v[6:9]
	s_waitcnt vmcnt(5)
	v_mfma_f32_16x16x16bf16_1k v[2:5], v[14:15], v[46:47], v[2:5]
	s_nop 7
	v_bfe_u32 v6, v19, 16, 1
	v_bfe_u32 v7, v18, 16, 1
	v_add3_u32 v7, v18, v7, s10
	v_add3_u32 v6, v19, v6, s10
	v_perm_b32 v6, v6, v7, s11
	v_bfe_u32 v7, v21, 16, 1
	v_bfe_u32 v8, v20, 16, 1
	v_mfma_f32_16x16x16bf16_1k v[2:5], v[16:17], v[48:49], v[2:5]
	v_add3_u32 v8, v20, v8, s10
	v_add3_u32 v7, v21, v7, s10
	v_perm_b32 v7, v7, v8, s11
	s_waitcnt vmcnt(4)
	v_mfma_f32_16x16x16bf16_1k v[2:5], v[10:11], v[74:75], v[2:5]
	v_mfma_f32_16x16x16bf16_1k v[2:5], v[12:13], v[76:77], v[2:5]
	s_waitcnt vmcnt(3)
	v_mfma_f32_16x16x16bf16_1k v[2:5], v[54:55], v[38:39], v[2:5]
	v_mfma_f32_16x16x16bf16_1k v[2:5], v[56:57], v[40:41], v[2:5]
	;; [unrolled: 3-line block ×5, first 2 shown]
	s_nop 7
	s_nop 2
	v_bfe_u32 v8, v3, 16, 1
	v_bfe_u32 v9, v2, 16, 1
	v_add3_u32 v2, v2, v9, s10
	v_add3_u32 v3, v3, v8, s10
	v_perm_b32 v2, v3, v2, s11
	v_bfe_u32 v3, v5, 16, 1
	v_bfe_u32 v8, v4, 16, 1
	v_add3_u32 v4, v4, v8, s10
	v_add3_u32 v3, v5, v3, s10
	v_perm_b32 v3, v3, v4, s11
	ds_write2st64_b64 v78, v[6:7], v[2:3] offset1:1
	s_waitcnt lgkmcnt(0)
	s_barrier
	s_and_saveexec_b64 s[10:11], vcc
	s_cbranch_execz .LBB296_20
; %bb.18:
	v_lshlrev_b32_e32 v4, 6, v85
	v_lshlrev_b32_e32 v3, 4, v0
	v_lshl_or_b32 v0, v0, 10, v4
	v_lshlrev_b32_e32 v2, 5, v1
	v_and_b32_e32 v3, 16, v3
	v_and_b32_e32 v0, 0x1a00, v0
	v_or3_b32 v0, v0, v2, v3
	buffer_load_dword v2, off, s[44:47], 0  ; 4-byte Folded Reload
	s_load_dwordx2 s[10:11], s[4:5], 0x68
	s_lshl_b32 s4, s8, 7
	s_mul_i32 s2, s9, s6
	s_mul_hi_u32 s7, s2, s4
	s_mul_i32 s6, s2, s4
	s_lshl_b64 s[6:7], s[6:7], 1
	s_waitcnt lgkmcnt(0)
	s_add_u32 s5, s10, s6
	s_addc_u32 s6, s11, s7
	s_lshl_b32 s2, s26, 7
	s_lshl_b64 s[2:3], s[2:3], 1
	s_add_u32 s2, s5, s2
	s_addc_u32 s3, s6, s3
	ds_read_b128 v[4:7], v0 offset:128
	ds_read_b128 v[8:11], v0
	v_add_u32_e32 v14, s27, v1
	v_mov_b32_e32 v3, s3
	s_waitcnt vmcnt(0)
	v_add_co_u32_e32 v2, vcc, s2, v2
	v_mad_u64_u32 v[12:13], s[2:3], v14, s4, 0
	v_addc_co_u32_e32 v3, vcc, 0, v3, vcc
	v_lshlrev_b64 v[12:13], 1, v[12:13]
	v_add_co_u32_e32 v12, vcc, v2, v12
	v_addc_co_u32_e32 v13, vcc, v3, v13, vcc
	s_waitcnt lgkmcnt(0)
	global_store_dwordx4 v[12:13], v[8:11], off
	s_nop 0
	v_add_u32_e32 v8, 4, v14
	v_mad_u64_u32 v[8:9], s[2:3], v8, s4, 0
	v_lshlrev_b64 v[8:9], 1, v[8:9]
	v_add_co_u32_e32 v8, vcc, v2, v8
	v_addc_co_u32_e32 v9, vcc, v3, v9, vcc
	global_store_dwordx4 v[8:9], v[4:7], off
	s_and_b64 exec, exec, s[0:1]
	s_cbranch_execz .LBB296_20
; %bb.19:
	ds_read_b128 v[4:7], v0 offset:256
	v_add3_u32 v0, s27, v1, 8
	v_mad_u64_u32 v[0:1], s[0:1], v0, s4, 0
	v_lshlrev_b64 v[0:1], 1, v[0:1]
	v_add_co_u32_e32 v0, vcc, v2, v0
	v_addc_co_u32_e32 v1, vcc, v3, v1, vcc
	s_waitcnt lgkmcnt(0)
	global_store_dwordx4 v[0:1], v[4:7], off
.LBB296_20:
	s_endpgm
	.section	.rodata,"a",@progbits
	.p2align	6, 0x0
	.amdhsa_kernel _Z39paged_attention_ll4mi_QKV_mfma16_kernelI14__hip_bfloat16S0_LN4vllm18Fp8KVCacheDataTypeE0ES0_Li16ELi128ELi256ELb1ELi9EL8MFMAType0EEvPKT_PKT0_S9_ifPKiSB_SB_iPKfiiiPfSE_PS4_PT2_iSD_SD_
		.amdhsa_group_segment_fixed_size 8192
		.amdhsa_private_segment_fixed_size 8
		.amdhsa_kernarg_size 400
		.amdhsa_user_sgpr_count 6
		.amdhsa_user_sgpr_private_segment_buffer 1
		.amdhsa_user_sgpr_dispatch_ptr 0
		.amdhsa_user_sgpr_queue_ptr 0
		.amdhsa_user_sgpr_kernarg_segment_ptr 1
		.amdhsa_user_sgpr_dispatch_id 0
		.amdhsa_user_sgpr_flat_scratch_init 0
		.amdhsa_user_sgpr_kernarg_preload_length 0
		.amdhsa_user_sgpr_kernarg_preload_offset 0
		.amdhsa_user_sgpr_private_segment_size 0
		.amdhsa_uses_dynamic_stack 0
		.amdhsa_system_sgpr_private_segment_wavefront_offset 1
		.amdhsa_system_sgpr_workgroup_id_x 1
		.amdhsa_system_sgpr_workgroup_id_y 1
		.amdhsa_system_sgpr_workgroup_id_z 1
		.amdhsa_system_sgpr_workgroup_info 0
		.amdhsa_system_vgpr_workitem_id 0
		.amdhsa_next_free_vgpr 96
		.amdhsa_next_free_sgpr 48
		.amdhsa_accum_offset 96
		.amdhsa_reserve_vcc 1
		.amdhsa_reserve_flat_scratch 0
		.amdhsa_float_round_mode_32 0
		.amdhsa_float_round_mode_16_64 0
		.amdhsa_float_denorm_mode_32 3
		.amdhsa_float_denorm_mode_16_64 3
		.amdhsa_dx10_clamp 1
		.amdhsa_ieee_mode 1
		.amdhsa_fp16_overflow 0
		.amdhsa_tg_split 0
		.amdhsa_exception_fp_ieee_invalid_op 0
		.amdhsa_exception_fp_denorm_src 0
		.amdhsa_exception_fp_ieee_div_zero 0
		.amdhsa_exception_fp_ieee_overflow 0
		.amdhsa_exception_fp_ieee_underflow 0
		.amdhsa_exception_fp_ieee_inexact 0
		.amdhsa_exception_int_div_zero 0
	.end_amdhsa_kernel
	.section	.text._Z39paged_attention_ll4mi_QKV_mfma16_kernelI14__hip_bfloat16S0_LN4vllm18Fp8KVCacheDataTypeE0ES0_Li16ELi128ELi256ELb1ELi9EL8MFMAType0EEvPKT_PKT0_S9_ifPKiSB_SB_iPKfiiiPfSE_PS4_PT2_iSD_SD_,"axG",@progbits,_Z39paged_attention_ll4mi_QKV_mfma16_kernelI14__hip_bfloat16S0_LN4vllm18Fp8KVCacheDataTypeE0ES0_Li16ELi128ELi256ELb1ELi9EL8MFMAType0EEvPKT_PKT0_S9_ifPKiSB_SB_iPKfiiiPfSE_PS4_PT2_iSD_SD_,comdat
.Lfunc_end296:
	.size	_Z39paged_attention_ll4mi_QKV_mfma16_kernelI14__hip_bfloat16S0_LN4vllm18Fp8KVCacheDataTypeE0ES0_Li16ELi128ELi256ELb1ELi9EL8MFMAType0EEvPKT_PKT0_S9_ifPKiSB_SB_iPKfiiiPfSE_PS4_PT2_iSD_SD_, .Lfunc_end296-_Z39paged_attention_ll4mi_QKV_mfma16_kernelI14__hip_bfloat16S0_LN4vllm18Fp8KVCacheDataTypeE0ES0_Li16ELi128ELi256ELb1ELi9EL8MFMAType0EEvPKT_PKT0_S9_ifPKiSB_SB_iPKfiiiPfSE_PS4_PT2_iSD_SD_
                                        ; -- End function
	.section	.AMDGPU.csdata,"",@progbits
; Kernel info:
; codeLenInByte = 5232
; NumSgprs: 52
; NumVgprs: 96
; NumAgprs: 0
; TotalNumVgprs: 96
; ScratchSize: 8
; MemoryBound: 0
; FloatMode: 240
; IeeeMode: 1
; LDSByteSize: 8192 bytes/workgroup (compile time only)
; SGPRBlocks: 6
; VGPRBlocks: 11
; NumSGPRsForWavesPerEU: 52
; NumVGPRsForWavesPerEU: 96
; AccumOffset: 96
; Occupancy: 5
; WaveLimiterHint : 1
; COMPUTE_PGM_RSRC2:SCRATCH_EN: 1
; COMPUTE_PGM_RSRC2:USER_SGPR: 6
; COMPUTE_PGM_RSRC2:TRAP_HANDLER: 0
; COMPUTE_PGM_RSRC2:TGID_X_EN: 1
; COMPUTE_PGM_RSRC2:TGID_Y_EN: 1
; COMPUTE_PGM_RSRC2:TGID_Z_EN: 1
; COMPUTE_PGM_RSRC2:TIDIG_COMP_CNT: 0
; COMPUTE_PGM_RSRC3_GFX90A:ACCUM_OFFSET: 23
; COMPUTE_PGM_RSRC3_GFX90A:TG_SPLIT: 0
	.section	.text._Z39paged_attention_ll4mi_QKV_mfma16_kernelI14__hip_bfloat16S0_LN4vllm18Fp8KVCacheDataTypeE0ES0_Li16ELi128ELi256ELb1ELi10EL8MFMAType0EEvPKT_PKT0_S9_ifPKiSB_SB_iPKfiiiPfSE_PS4_PT2_iSD_SD_,"axG",@progbits,_Z39paged_attention_ll4mi_QKV_mfma16_kernelI14__hip_bfloat16S0_LN4vllm18Fp8KVCacheDataTypeE0ES0_Li16ELi128ELi256ELb1ELi10EL8MFMAType0EEvPKT_PKT0_S9_ifPKiSB_SB_iPKfiiiPfSE_PS4_PT2_iSD_SD_,comdat
	.protected	_Z39paged_attention_ll4mi_QKV_mfma16_kernelI14__hip_bfloat16S0_LN4vllm18Fp8KVCacheDataTypeE0ES0_Li16ELi128ELi256ELb1ELi10EL8MFMAType0EEvPKT_PKT0_S9_ifPKiSB_SB_iPKfiiiPfSE_PS4_PT2_iSD_SD_ ; -- Begin function _Z39paged_attention_ll4mi_QKV_mfma16_kernelI14__hip_bfloat16S0_LN4vllm18Fp8KVCacheDataTypeE0ES0_Li16ELi128ELi256ELb1ELi10EL8MFMAType0EEvPKT_PKT0_S9_ifPKiSB_SB_iPKfiiiPfSE_PS4_PT2_iSD_SD_
	.globl	_Z39paged_attention_ll4mi_QKV_mfma16_kernelI14__hip_bfloat16S0_LN4vllm18Fp8KVCacheDataTypeE0ES0_Li16ELi128ELi256ELb1ELi10EL8MFMAType0EEvPKT_PKT0_S9_ifPKiSB_SB_iPKfiiiPfSE_PS4_PT2_iSD_SD_
	.p2align	8
	.type	_Z39paged_attention_ll4mi_QKV_mfma16_kernelI14__hip_bfloat16S0_LN4vllm18Fp8KVCacheDataTypeE0ES0_Li16ELi128ELi256ELb1ELi10EL8MFMAType0EEvPKT_PKT0_S9_ifPKiSB_SB_iPKfiiiPfSE_PS4_PT2_iSD_SD_,@function
_Z39paged_attention_ll4mi_QKV_mfma16_kernelI14__hip_bfloat16S0_LN4vllm18Fp8KVCacheDataTypeE0ES0_Li16ELi128ELi256ELb1ELi10EL8MFMAType0EEvPKT_PKT0_S9_ifPKiSB_SB_iPKfiiiPfSE_PS4_PT2_iSD_SD_: ; @_Z39paged_attention_ll4mi_QKV_mfma16_kernelI14__hip_bfloat16S0_LN4vllm18Fp8KVCacheDataTypeE0ES0_Li16ELi128ELi256ELb1ELi10EL8MFMAType0EEvPKT_PKT0_S9_ifPKiSB_SB_iPKfiiiPfSE_PS4_PT2_iSD_SD_
; %bb.0:
	s_mov_b64 s[46:47], s[2:3]
	s_mov_b64 s[44:45], s[0:1]
	s_load_dwordx2 s[0:1], s[4:5], 0x30
	s_add_u32 s44, s44, s9
	s_addc_u32 s45, s45, 0
	s_mov_b32 s26, s7
	s_mov_b64 s[10:11], 0
	s_waitcnt lgkmcnt(0)
	s_cmp_lg_u64 s[0:1], 0
	s_cselect_b64 s[2:3], -1, 0
	s_and_b64 vcc, exec, s[2:3]
	s_cbranch_vccz .LBB297_7
; %bb.1:
	s_add_i32 s12, s6, 1
	s_mov_b32 s13, 0
	s_lshl_b64 s[14:15], s[12:13], 2
	s_add_u32 s14, s0, s14
	s_mov_b32 s7, s13
	s_addc_u32 s15, s1, s15
	s_lshl_b64 s[12:13], s[6:7], 2
	s_add_u32 s12, s0, s12
	s_addc_u32 s13, s1, s13
	s_load_dword s9, s[14:15], 0x0
	s_load_dword s16, s[12:13], 0x0
	s_waitcnt lgkmcnt(0)
	s_sub_i32 s9, s9, s16
	s_cmp_eq_u32 s9, 1
	s_cselect_b64 s[12:13], -1, 0
	s_andn2_b64 vcc, exec, s[10:11]
	s_cbranch_vccnz .LBB297_3
.LBB297_2:
	s_mov_b32 s7, 0
	s_mov_b64 s[12:13], -1
.LBB297_3:
	s_andn2_b64 vcc, exec, s[12:13]
	s_cbranch_vccnz .LBB297_20
; %bb.4:
	s_load_dwordx2 s[12:13], s[4:5], 0x28
	s_lshl_b64 s[10:11], s[6:7], 2
	s_waitcnt lgkmcnt(0)
	s_add_u32 s12, s12, s10
	s_addc_u32 s13, s13, s11
	s_load_dword s33, s[12:13], 0x0
	s_lshl_b32 s16, s26, 8
	s_waitcnt lgkmcnt(0)
	s_cmp_ge_i32 s16, s33
	s_cbranch_scc1 .LBB297_20
; %bb.5:
	s_add_i32 s14, s33, 15
	s_load_dwordx2 s[12:13], s[4:5], 0x20
	s_load_dword s9, s[4:5], 0x38
	s_ashr_i32 s15, s14, 31
	v_and_b32_e32 v1, 0xcf, v0
	s_lshr_b32 s15, s15, 28
	v_add_u32_e32 v1, s16, v1
	s_add_i32 s14, s14, s15
	v_ashrrev_i32_e32 v2, 31, v1
	s_ashr_i32 s19, s14, 4
	v_lshrrev_b32_e32 v4, 28, v2
	s_add_i32 s19, s19, -1
	v_add_u32_e32 v2, v1, v4
	s_waitcnt lgkmcnt(0)
	s_mul_i32 s14, s6, s9
	s_mov_b32 s15, 0
	v_ashrrev_i32_e32 v2, 4, v2
	v_mov_b32_e32 v5, s19
	v_cmp_gt_i32_e32 vcc, s33, v1
	s_lshl_b64 s[14:15], s[14:15], 2
	v_cndmask_b32_e32 v2, v5, v2, vcc
	s_add_u32 s17, s12, s14
	v_ashrrev_i32_e32 v3, 31, v2
	s_addc_u32 s18, s13, s15
	v_lshlrev_b64 v[2:3], 2, v[2:3]
	v_mov_b32_e32 v7, s18
	v_add_co_u32_e32 v6, vcc, s17, v2
	v_or_b32_e32 v2, 16, v1
	v_addc_co_u32_e32 v7, vcc, v7, v3, vcc
	v_add_u32_e32 v3, v2, v4
	v_ashrrev_i32_e32 v3, 4, v3
	v_cmp_gt_i32_e32 vcc, s33, v2
	v_cndmask_b32_e32 v2, v5, v3, vcc
	v_ashrrev_i32_e32 v3, 31, v2
	v_lshlrev_b64 v[2:3], 2, v[2:3]
	v_mov_b32_e32 v9, s18
	v_add_co_u32_e32 v8, vcc, s17, v2
	v_or_b32_e32 v2, 32, v1
	v_addc_co_u32_e32 v9, vcc, v9, v3, vcc
	v_add_u32_e32 v3, v2, v4
	v_ashrrev_i32_e32 v3, 4, v3
	v_cmp_gt_i32_e32 vcc, s33, v2
	v_cndmask_b32_e32 v2, v5, v3, vcc
	v_ashrrev_i32_e32 v3, 31, v2
	;; [unrolled: 10-line block ×3, first 2 shown]
	v_lshlrev_b64 v[2:3], 2, v[2:3]
	v_mov_b32_e32 v1, s18
	v_add_co_u32_e32 v12, vcc, s17, v2
	v_addc_co_u32_e32 v13, vcc, v1, v3, vcc
	global_load_dword v5, v[6:7], off
	global_load_dword v4, v[8:9], off
	;; [unrolled: 1-line block ×4, first 2 shown]
	s_load_dwordx2 s[12:13], s[4:5], 0x8
	s_andn2_b64 vcc, exec, s[2:3]
	s_cbranch_vccnz .LBB297_8
; %bb.6:
	s_add_u32 s0, s0, s10
	s_addc_u32 s1, s1, s11
	s_load_dword s9, s[0:1], 0x0
	s_branch .LBB297_9
.LBB297_7:
	s_mov_b64 s[12:13], 0
	s_branch .LBB297_2
.LBB297_8:
	s_mov_b32 s9, s6
.LBB297_9:
	s_load_dwordx2 s[10:11], s[4:5], 0x10
	s_load_dwordx4 s[0:3], s[4:5], 0x48
	v_lshrrev_b32_e32 v87, 6, v0
	v_bfe_u32 v1, v0, 4, 2
	v_and_b32_e32 v85, 15, v0
	v_lshl_or_b32 v6, v87, 2, v1
	v_lshlrev_b32_e32 v7, 3, v85
	s_mul_i32 s27, s8, 10
	v_cmp_gt_u32_e32 vcc, 10, v6
	v_lshlrev_b32_e32 v7, 1, v7
	buffer_store_dword v7, off, s[44:47], 0 ; 4-byte Folded Spill
	s_and_saveexec_b64 s[14:15], vcc
	s_cbranch_execz .LBB297_11
; %bb.10:
	s_load_dwordx2 s[20:21], s[4:5], 0x0
	s_waitcnt lgkmcnt(0)
	s_ashr_i32 s3, s0, 31
	s_mul_hi_u32 s22, s9, s0
	s_mul_i32 s3, s9, s3
	s_add_i32 s23, s22, s3
	s_mul_i32 s22, s9, s0
	s_lshl_b64 s[22:23], s[22:23], 1
	v_add_lshl_u32 v8, v6, s27, 7
	s_add_u32 s0, s20, s22
	v_ashrrev_i32_e32 v9, 31, v8
	s_addc_u32 s3, s21, s23
	v_lshlrev_b64 v[8:9], 1, v[8:9]
	v_mov_b32_e32 v7, s3
	v_add_co_u32_e32 v8, vcc, s0, v8
	v_addc_co_u32_e32 v7, vcc, v7, v9, vcc
	buffer_load_dword v9, off, s[44:47], 0  ; 4-byte Folded Reload
	v_lshlrev_b32_e32 v12, 9, v85
	v_lshlrev_b32_e32 v6, 5, v6
	v_and_b32_e32 v12, 0x1800, v12
	s_waitcnt vmcnt(0)
	v_add_co_u32_e32 v8, vcc, v8, v9
	v_addc_co_u32_e32 v9, vcc, 0, v7, vcc
	global_load_dwordx4 v[8:11], v[8:9], off
	v_and_b32_e32 v7, 3, v0
	v_lshlrev_b32_e32 v7, 9, v7
	v_or3_b32 v6, v12, v7, v6
	s_waitcnt vmcnt(0)
	ds_write_b128 v6, v[8:11]
.LBB297_11:
	s_or_b64 exec, exec, s[14:15]
	s_waitcnt lgkmcnt(0)
	s_mul_i32 s2, s8, s2
	s_mov_b32 s3, 0
	s_lshl_b64 s[2:3], s[2:3], 1
	s_add_u32 s0, s12, s2
	v_lshlrev_b32_e32 v10, 4, v0
	s_addc_u32 s8, s13, s3
	v_and_b32_e32 v6, 0xf0, v10
	v_mov_b32_e32 v7, s8
	v_add_co_u32_e32 v8, vcc, s0, v6
	v_addc_co_u32_e32 v9, vcc, 0, v7, vcc
	s_waitcnt vmcnt(4)
	v_mad_i64_i32 v[6:7], s[8:9], v5, s1, 0
	v_lshlrev_b64 v[6:7], 1, v[6:7]
	v_add_co_u32_e32 v5, vcc, v8, v6
	v_addc_co_u32_e32 v7, vcc, v9, v7, vcc
	v_and_b32_e32 v10, 0x300, v10
	v_add_co_u32_e32 v6, vcc, v5, v10
	s_waitcnt vmcnt(3)
	v_mad_i64_i32 v[4:5], s[8:9], v4, s1, 0
	v_addc_co_u32_e32 v7, vcc, 0, v7, vcc
	v_lshlrev_b64 v[4:5], 1, v[4:5]
	v_add_co_u32_e32 v4, vcc, v8, v4
	v_addc_co_u32_e32 v5, vcc, v9, v5, vcc
	v_add_co_u32_e32 v4, vcc, v4, v10
	v_addc_co_u32_e32 v5, vcc, 0, v5, vcc
	s_barrier
	global_load_dwordx4 v[74:77], v[6:7], off
	global_load_dwordx4 v[66:69], v[6:7], off offset:1024
	global_load_dwordx4 v[58:61], v[6:7], off offset:2048
	;; [unrolled: 1-line block ×3, first 2 shown]
	global_load_dwordx4 v[78:81], v[4:5], off
	global_load_dwordx4 v[70:73], v[4:5], off offset:1024
	global_load_dwordx4 v[62:65], v[4:5], off offset:2048
	;; [unrolled: 1-line block ×3, first 2 shown]
	s_waitcnt vmcnt(10)
	v_mad_i64_i32 v[4:5], s[8:9], v3, s1, 0
	v_lshlrev_b64 v[4:5], 1, v[4:5]
	v_add_co_u32_e32 v3, vcc, v8, v4
	v_addc_co_u32_e32 v5, vcc, v9, v5, vcc
	v_add_co_u32_e32 v4, vcc, v3, v10
	s_waitcnt vmcnt(9)
	v_mad_i64_i32 v[2:3], s[8:9], v2, s1, 0
	v_addc_co_u32_e32 v5, vcc, 0, v5, vcc
	v_lshlrev_b64 v[2:3], 1, v[2:3]
	v_add_co_u32_e32 v2, vcc, v8, v2
	v_addc_co_u32_e32 v3, vcc, v9, v3, vcc
	v_add_co_u32_e32 v6, vcc, v2, v10
	v_addc_co_u32_e32 v7, vcc, 0, v3, vcc
	global_load_dwordx4 v[38:41], v[4:5], off
	global_load_dwordx4 v[34:37], v[4:5], off offset:1024
	global_load_dwordx4 v[30:33], v[4:5], off offset:2048
	;; [unrolled: 1-line block ×3, first 2 shown]
	global_load_dwordx4 v[18:21], v[6:7], off
	global_load_dwordx4 v[10:13], v[6:7], off offset:1024
	s_nop 0
	global_load_dwordx4 v[2:5], v[6:7], off offset:2048
	global_load_dwordx4 v[50:53], v[6:7], off offset:3072
	v_add_u32_e32 v6, -10, v85
	v_cmp_gt_u32_e32 vcc, 10, v85
	v_cndmask_b32_e32 v6, v6, v85, vcc
	v_lshlrev_b32_e32 v6, 5, v6
	v_lshl_add_u32 v54, v1, 9, v6
	ds_read_b128 v[26:29], v54
	ds_read_b128 v[14:17], v54 offset:2048
	ds_read_b128 v[6:9], v54 offset:4096
	;; [unrolled: 1-line block ×3, first 2 shown]
	v_and_b32_e32 v88, 63, v0
	v_mov_b32_e32 v89, 0
	s_and_saveexec_b64 s[8:9], vcc
	s_cbranch_execz .LBB297_13
; %bb.12:
	s_load_dwordx2 s[12:13], s[4:5], 0x40
	v_add_u32_e32 v82, s27, v85
	v_ashrrev_i32_e32 v83, 31, v82
	v_lshlrev_b64 v[82:83], 2, v[82:83]
	s_waitcnt lgkmcnt(0)
	v_mov_b32_e32 v89, s13
	v_add_co_u32_e32 v82, vcc, s12, v82
	v_addc_co_u32_e32 v83, vcc, v89, v83, vcc
	global_load_dword v89, v[82:83], off
.LBB297_13:
	s_or_b64 exec, exec, s[8:9]
	s_waitcnt vmcnt(15) lgkmcnt(3)
	v_mfma_f32_16x16x16bf16_1k v[90:93], v[74:75], v[26:27], 0
	s_add_u32 s8, s10, s2
	s_addc_u32 s9, s11, s3
	s_load_dword s0, s[4:5], 0x1c
	s_mov_b32 s40, 0xff7fffff
	v_mfma_f32_16x16x16bf16_1k v[74:77], v[76:77], v[28:29], v[90:93]
	s_waitcnt vmcnt(14) lgkmcnt(0)
	v_mfma_f32_16x16x16bf16_1k v[74:77], v[66:67], v[14:15], v[74:77]
	s_nop 4
	v_lshl_or_b32 v90, v87, 4, v85
	v_mfma_f32_16x16x16bf16_1k v[66:69], v[68:69], v[16:17], v[74:77]
	s_waitcnt vmcnt(13)
	v_mfma_f32_16x16x16bf16_1k v[66:69], v[58:59], v[6:7], v[66:69]
	s_nop 4
	v_lshlrev_b32_e32 v76, 5, v90
	v_mfma_f32_16x16x16bf16_1k v[58:61], v[60:61], v[8:9], v[66:69]
	s_waitcnt vmcnt(12)
	v_mfma_f32_16x16x16bf16_1k v[58:61], v[42:43], v[54:55], v[58:61]
	s_nop 4
	v_mov_b32_e32 v66, s18
	v_mfma_f32_16x16x16bf16_1k v[58:61], v[44:45], v[56:57], v[58:61]
	s_waitcnt vmcnt(11)
	v_mfma_f32_16x16x16bf16_1k v[42:45], v[78:79], v[26:27], 0
	s_nop 7
	s_nop 0
	v_pk_mul_f32 v[58:59], s[0:1], v[58:59] op_sel_hi:[0,1]
	v_mfma_f32_16x16x16bf16_1k v[42:45], v[80:81], v[28:29], v[42:45]
	s_waitcnt vmcnt(10)
	v_mfma_f32_16x16x16bf16_1k v[42:45], v[70:71], v[14:15], v[42:45]
	v_mfma_f32_16x16x16bf16_1k v[42:45], v[72:73], v[16:17], v[42:45]
	s_waitcnt vmcnt(9)
	v_mfma_f32_16x16x16bf16_1k v[42:45], v[62:63], v[6:7], v[42:45]
	;; [unrolled: 3-line block ×3, first 2 shown]
	v_mfma_f32_16x16x16bf16_1k v[62:65], v[48:49], v[56:57], v[42:45]
	v_and_or_b32 v48, v0, 48, s16
	v_mov_b32_e32 v49, s19
	v_cmp_gt_i32_e32 vcc, s33, v48
	s_waitcnt vmcnt(7)
	v_mfma_f32_16x16x16bf16_1k v[42:45], v[38:39], v[26:27], 0
	v_ashrrev_i32_e32 v38, 4, v48
	v_cndmask_b32_e32 v38, v49, v38, vcc
	v_ashrrev_i32_e32 v39, 31, v38
	v_lshlrev_b64 v[46:47], 2, v[38:39]
	v_mfma_f32_16x16x16bf16_1k v[38:41], v[40:41], v[28:29], v[42:45]
	s_nop 6
	v_add_co_u32_e32 v42, vcc, s17, v46
	v_addc_co_u32_e32 v43, vcc, v66, v47, vcc
	global_load_dword v44, v[42:43], off
	v_or_b32_e32 v42, 64, v48
	v_ashrrev_i32_e32 v43, 4, v42
	v_cmp_gt_i32_e32 vcc, s33, v42
	v_cndmask_b32_e32 v42, v49, v43, vcc
	s_waitcnt vmcnt(7)
	v_mfma_f32_16x16x16bf16_1k v[38:41], v[34:35], v[14:15], v[38:41]
	v_ashrrev_i32_e32 v43, 31, v42
	v_lshlrev_b64 v[34:35], 2, v[42:43]
	v_mov_b32_e32 v42, s18
	v_add_co_u32_e32 v34, vcc, s17, v34
	v_addc_co_u32_e32 v35, vcc, v42, v35, vcc
	global_load_dword v72, v[34:35], off
	v_mfma_f32_16x16x16bf16_1k v[34:37], v[36:37], v[16:17], v[38:41]
	s_nop 6
	v_or_b32_e32 v38, 0x80, v48
	v_ashrrev_i32_e32 v39, 4, v38
	v_cmp_gt_i32_e32 vcc, s33, v38
	v_cndmask_b32_e32 v38, v49, v39, vcc
	v_ashrrev_i32_e32 v39, 31, v38
	v_lshlrev_b64 v[38:39], 2, v[38:39]
	v_mov_b32_e32 v40, s18
	s_waitcnt vmcnt(7)
	v_mfma_f32_16x16x16bf16_1k v[34:37], v[30:31], v[6:7], v[34:37]
	v_add_co_u32_e32 v30, vcc, s17, v38
	v_addc_co_u32_e32 v31, vcc, v40, v39, vcc
	global_load_dword v74, v[30:31], off
	v_or_b32_e32 v30, 0xc0, v48
	v_ashrrev_i32_e32 v31, 4, v30
	v_cmp_gt_i32_e32 vcc, s33, v30
	v_cndmask_b32_e32 v38, v49, v31, vcc
	v_ashrrev_i32_e32 v39, 31, v38
	v_mfma_f32_16x16x16bf16_1k v[30:33], v[32:33], v[8:9], v[34:37]
	s_nop 6
	v_lshlrev_b64 v[34:35], 2, v[38:39]
	v_mov_b32_e32 v36, s18
	v_add_co_u32_e32 v34, vcc, s17, v34
	v_addc_co_u32_e32 v35, vcc, v36, v35, vcc
	global_load_dword v75, v[34:35], off
	s_waitcnt vmcnt(8)
	v_mfma_f32_16x16x16bf16_1k v[30:33], v[22:23], v[54:55], v[30:33]
	v_mov_b32_e32 v22, s9
	v_add_co_u32_e32 v77, vcc, s8, v76
	v_addc_co_u32_e32 v78, vcc, 0, v22, vcc
	s_waitcnt vmcnt(3)
	v_mad_i64_i32 v[22:23], s[2:3], v44, s1, 0
	v_mfma_f32_16x16x16bf16_1k v[66:69], v[24:25], v[56:57], v[30:33]
	v_lshlrev_b64 v[70:71], 1, v[22:23]
	v_mfma_f32_16x16x16bf16_1k v[22:25], v[18:19], v[26:27], 0
	v_add_co_u32_e32 v18, vcc, v77, v70
	v_addc_co_u32_e32 v19, vcc, v78, v71, vcc
	global_load_dwordx4 v[46:49], v[18:19], off
	global_load_dwordx4 v[42:45], v[18:19], off offset:16
	s_waitcnt vmcnt(4)
	v_mad_i64_i32 v[18:19], s[2:3], v72, s1, 0
	v_lshlrev_b64 v[72:73], 1, v[18:19]
	v_mfma_f32_16x16x16bf16_1k v[18:21], v[20:21], v[28:29], v[22:25]
	v_mfma_f32_16x16x16bf16_1k v[18:21], v[10:11], v[14:15], v[18:21]
	s_nop 5
	v_add_co_u32_e32 v22, vcc, v77, v72
	v_addc_co_u32_e32 v23, vcc, v78, v73, vcc
	global_load_dwordx4 v[38:41], v[22:23], off
	global_load_dwordx4 v[34:37], v[22:23], off offset:16
	s_waitcnt vmcnt(5)
	v_mad_i64_i32 v[22:23], s[2:3], v74, s1, 0
	v_lshlrev_b64 v[82:83], 1, v[22:23]
	v_add_co_u32_e32 v10, vcc, v77, v82
	v_addc_co_u32_e32 v11, vcc, v78, v83, vcc
	global_load_dwordx4 v[30:33], v[10:11], off
	global_load_dwordx4 v[26:29], v[10:11], off offset:16
	v_mfma_f32_16x16x16bf16_1k v[10:13], v[12:13], v[16:17], v[18:21]
	s_waitcnt vmcnt(6)
	v_mad_i64_i32 v[14:15], s[2:3], v75, s1, 0
	v_mfma_f32_16x16x16bf16_1k v[10:13], v[2:3], v[6:7], v[10:13]
	v_lshlrev_b64 v[80:81], 1, v[14:15]
	v_add_co_u32_e32 v14, vcc, v77, v80
	v_addc_co_u32_e32 v15, vcc, v78, v81, vcc
	v_or_b32_e32 v2, 0x800, v76
	v_mov_b32_e32 v3, s9
	v_mfma_f32_16x16x16bf16_1k v[10:13], v[4:5], v[8:9], v[10:13]
	v_add_co_u32_e32 v91, vcc, s8, v2
	v_addc_co_u32_e32 v84, vcc, 0, v3, vcc
	v_add_co_u32_e32 v2, vcc, v91, v70
	v_addc_co_u32_e32 v3, vcc, v84, v71, vcc
	v_mfma_f32_16x16x16bf16_1k v[92:95], v[50:51], v[54:55], v[10:13]
	v_add_co_u32_e32 v70, vcc, v91, v72
	v_addc_co_u32_e32 v71, vcc, v84, v73, vcc
	global_load_dwordx4 v[22:25], v[14:15], off
	global_load_dwordx4 v[18:21], v[14:15], off offset:16
	global_load_dwordx4 v[6:9], v[2:3], off
	s_nop 0
	global_load_dwordx4 v[2:5], v[2:3], off offset:16
	s_nop 0
	global_load_dwordx4 v[14:17], v[70:71], off
	global_load_dwordx4 v[10:13], v[70:71], off offset:16
	v_mfma_f32_16x16x16bf16_1k v[50:53], v[52:53], v[56:57], v[92:95]
	v_pk_mul_f32 v[70:71], s[0:1], v[68:69] op_sel_hi:[0,1]
	v_pk_mul_f32 v[72:73], s[0:1], v[66:67] op_sel_hi:[0,1]
	;; [unrolled: 1-line block ×5, first 2 shown]
	s_nop 5
	v_pk_mul_f32 v[68:69], s[0:1], v[50:51] op_sel_hi:[0,1]
	v_and_b32_e32 v50, 0xc0, v0
	v_add_u32_e32 v50, s16, v50
	v_lshl_or_b32 v50, v1, 2, v50
	v_or_b32_e32 v51, 1, v50
	v_pk_mul_f32 v[66:67], s[0:1], v[52:53] op_sel_hi:[0,1]
	v_subrev_u32_e32 v52, s33, v51
	v_add_u32_e32 v54, 1, v52
	v_add_u32_e32 v55, 2, v52
	v_cvt_f32_i32_e32 v53, v52
	v_cvt_f32_i32_e32 v54, v54
	;; [unrolled: 1-line block ×3, first 2 shown]
	v_add_u32_e32 v56, 3, v52
	v_fma_f32 v58, v89, v53, v58
	v_fmac_f32_e32 v59, v89, v54
	v_fma_f32 v78, v89, v55, v78
	v_add_u32_e32 v53, 16, v52
	v_add_u32_e32 v54, 17, v52
	;; [unrolled: 1-line block ×3, first 2 shown]
	v_cvt_f32_i32_e32 v56, v56
	v_cvt_f32_i32_e32 v53, v53
	;; [unrolled: 1-line block ×4, first 2 shown]
	v_fmac_f32_e32 v79, v89, v56
	v_add_u32_e32 v56, 19, v52
	v_fma_f32 v76, v89, v53, v76
	v_fmac_f32_e32 v77, v89, v54
	v_fma_f32 v74, v89, v55, v74
	v_add_u32_e32 v53, 32, v52
	v_add_u32_e32 v54, 33, v52
	v_add_u32_e32 v55, 34, v52
	v_cvt_f32_i32_e32 v56, v56
	v_cvt_f32_i32_e32 v53, v53
	;; [unrolled: 1-line block ×4, first 2 shown]
	v_fmac_f32_e32 v75, v89, v56
	v_add_u32_e32 v56, 35, v52
	v_fma_f32 v72, v89, v53, v72
	v_fmac_f32_e32 v73, v89, v54
	v_fma_f32 v70, v89, v55, v70
	v_add_u32_e32 v53, 48, v52
	v_add_u32_e32 v54, 49, v52
	;; [unrolled: 1-line block ×4, first 2 shown]
	v_cvt_f32_i32_e32 v52, v52
	v_cvt_f32_i32_e32 v53, v53
	;; [unrolled: 1-line block ×3, first 2 shown]
	v_cmp_gt_i32_e64 s[28:29], s33, v50
	v_fmac_f32_e32 v67, v89, v52
	v_mov_b32_e32 v52, 0xff7fffff
	v_cmp_gt_i32_e64 s[30:31], s33, v51
	v_fma_f32 v68, v89, v53, v68
	v_cndmask_b32_e64 v53, v52, v58, s[28:29]
	v_cndmask_b32_e64 v51, v52, v59, s[30:31]
	v_fmac_f32_e32 v69, v89, v54
	v_max3_f32 v51, v53, s40, v51
	v_or_b32_e32 v53, 2, v50
	v_or_b32_e32 v54, 3, v50
	v_cmp_gt_i32_e64 s[34:35], s33, v53
	v_cmp_gt_i32_e64 s[36:37], s33, v54
	v_cndmask_b32_e64 v53, v52, v78, s[34:35]
	v_cndmask_b32_e64 v54, v52, v79, s[36:37]
	v_max3_f32 v51, v51, v53, v54
	v_or_b32_e32 v53, 16, v50
	v_or_b32_e32 v54, 17, v50
	v_cmp_gt_i32_e64 s[22:23], s33, v53
	v_cmp_gt_i32_e64 s[24:25], s33, v54
	v_cndmask_b32_e64 v53, v52, v76, s[22:23]
	v_cndmask_b32_e64 v54, v52, v77, s[24:25]
	;; [unrolled: 7-line block ×3, first 2 shown]
	v_cvt_f32_i32_e32 v56, v56
	v_max3_f32 v51, v51, v53, v54
	v_or_b32_e32 v53, 32, v50
	v_or_b32_e32 v54, 33, v50
	v_cmp_gt_i32_e64 s[14:15], s33, v53
	v_cmp_gt_i32_e64 s[16:17], s33, v54
	v_cndmask_b32_e64 v53, v52, v72, s[14:15]
	v_cndmask_b32_e64 v54, v52, v73, s[16:17]
	v_max3_f32 v51, v51, v53, v54
	v_or_b32_e32 v53, 34, v50
	v_or_b32_e32 v54, 35, v50
	v_fmac_f32_e32 v71, v89, v56
	v_cmp_gt_i32_e64 s[10:11], s33, v53
	v_cmp_gt_i32_e64 s[12:13], s33, v54
	v_cndmask_b32_e64 v53, v52, v70, s[10:11]
	v_cndmask_b32_e64 v54, v52, v71, s[12:13]
	v_cvt_f32_i32_e32 v55, v55
	v_max3_f32 v51, v51, v53, v54
	v_or_b32_e32 v53, 48, v50
	v_or_b32_e32 v54, 49, v50
	v_cmp_gt_i32_e64 s[2:3], s33, v53
	v_cmp_gt_i32_e64 s[8:9], s33, v54
	v_cndmask_b32_e64 v53, v52, v68, s[2:3]
	v_cndmask_b32_e64 v54, v52, v69, s[8:9]
	v_max3_f32 v51, v51, v53, v54
	v_or_b32_e32 v53, 50, v50
	v_or_b32_e32 v50, 51, v50
	v_fma_f32 v66, v89, v55, v66
	v_cmp_gt_i32_e32 vcc, s33, v53
	v_cmp_gt_i32_e64 s[0:1], s33, v50
	v_cndmask_b32_e32 v53, v52, v66, vcc
	v_cndmask_b32_e64 v50, v52, v67, s[0:1]
	v_max3_f32 v60, v51, v53, v50
	v_mbcnt_lo_u32_b32 v50, -1, 0
	v_mbcnt_hi_u32_b32 v61, -1, v50
	v_and_b32_e32 v50, 64, v61
	v_add_u32_e32 v62, 64, v50
	v_xor_b32_e32 v50, 32, v61
	v_cmp_lt_i32_e64 s[38:39], v50, v62
	v_cndmask_b32_e64 v50, v61, v50, s[38:39]
	v_lshlrev_b32_e32 v89, 2, v50
	ds_bpermute_b32 v63, v89, v60
	v_add_co_u32_e64 v50, s[38:39], v91, v82
	v_addc_co_u32_e64 v51, s[38:39], v84, v83, s[38:39]
	s_waitcnt lgkmcnt(0)
	v_max_f32_e32 v63, v63, v63
	v_max_f32_e32 v63, v60, v63
	v_xor_b32_e32 v60, 16, v61
	v_cmp_lt_i32_e64 s[38:39], v60, v62
	v_cndmask_b32_e64 v60, v61, v60, s[38:39]
	v_lshlrev_b32_e32 v92, 2, v60
	ds_bpermute_b32 v62, v92, v63
	v_add_co_u32_e64 v60, s[38:39], v91, v80
	v_addc_co_u32_e64 v61, s[38:39], v84, v81, s[38:39]
	s_waitcnt lgkmcnt(0)
	v_max_f32_e32 v62, v62, v62
	v_max_f32_e32 v82, v63, v62
	v_sub_f32_e32 v58, v58, v82
	v_mul_f32_e32 v58, 0x3fb8aa3b, v58
	v_exp_f32_e32 v80, v58
	v_sub_f32_e32 v58, v59, v82
	v_mul_f32_e32 v58, 0x3fb8aa3b, v58
	global_load_dwordx4 v[54:57], v[50:51], off
	s_nop 0
	global_load_dwordx4 v[50:53], v[50:51], off offset:16
	v_exp_f32_e32 v81, v58
	global_load_dwordx4 v[62:65], v[60:61], off
	s_nop 0
	global_load_dwordx4 v[58:61], v[60:61], off offset:16
	v_sub_f32_e32 v78, v78, v82
	v_mul_f32_e32 v78, 0x3fb8aa3b, v78
	v_sub_f32_e32 v79, v79, v82
	v_exp_f32_e32 v78, v78
	v_mul_f32_e32 v79, 0x3fb8aa3b, v79
	v_sub_f32_e32 v76, v76, v82
	v_exp_f32_e32 v79, v79
	v_mul_f32_e32 v76, 0x3fb8aa3b, v76
	v_sub_f32_e32 v77, v77, v82
	v_cndmask_b32_e64 v80, 0, v80, s[28:29]
	v_exp_f32_e32 v76, v76
	v_mul_f32_e32 v77, 0x3fb8aa3b, v77
	v_sub_f32_e32 v74, v74, v82
	v_add_f32_e32 v83, 0, v80
	v_cndmask_b32_e64 v81, 0, v81, s[30:31]
	v_exp_f32_e32 v77, v77
	v_mul_f32_e32 v74, 0x3fb8aa3b, v74
	v_sub_f32_e32 v75, v75, v82
	v_add_f32_e32 v83, v83, v81
	;; [unrolled: 5-line block ×10, first 2 shown]
	v_cndmask_b32_e64 v70, 0, v70, s[10:11]
	v_exp_f32_e32 v66, v66
	v_mul_f32_e32 v67, 0x3fb8aa3b, v67
	v_add_f32_e32 v83, v83, v70
	v_cndmask_b32_e64 v71, 0, v71, s[12:13]
	v_exp_f32_e32 v67, v67
	v_add_f32_e32 v83, v83, v71
	v_cndmask_b32_e64 v68, 0, v68, s[2:3]
	v_add_f32_e32 v83, v83, v68
	v_cndmask_b32_e64 v69, 0, v69, s[8:9]
	v_add_f32_e32 v83, v83, v69
	v_cndmask_b32_e32 v66, 0, v66, vcc
	v_add_f32_e32 v83, v83, v66
	v_cndmask_b32_e64 v67, 0, v67, s[0:1]
	v_add_f32_e32 v83, v83, v67
	ds_bpermute_b32 v84, v89, v83
	s_load_dword s3, s[4:5], 0x98
	v_cmp_gt_u32_e32 vcc, 16, v88
	s_waitcnt lgkmcnt(0)
	s_barrier
	v_add_f32_e32 v83, v83, v84
	ds_bpermute_b32 v89, v92, v83
	s_waitcnt lgkmcnt(0)
	s_and_saveexec_b64 s[0:1], vcc
	s_cbranch_execz .LBB297_15
; %bb.14:
	v_add_f32_e32 v83, v83, v89
	v_lshlrev_b32_e32 v84, 2, v90
	ds_write2st64_b32 v84, v82, v83 offset1:1
.LBB297_15:
	s_or_b64 exec, exec, s[0:1]
	v_lshlrev_b32_e32 v83, 2, v85
	s_load_dword s2, s[4:5], 0x94
	s_waitcnt lgkmcnt(0)
	s_barrier
	ds_read2_b32 v[88:89], v83 offset1:16
	ds_read2_b32 v[90:91], v83 offset0:32 offset1:48
	ds_read2_b32 v[92:93], v83 offset0:64 offset1:80
	s_movk_i32 s8, 0x7fff
	s_mov_b32 s9, 0x7060302
	s_waitcnt lgkmcnt(2)
	v_max3_f32 v82, v88, s40, v89
	s_waitcnt lgkmcnt(1)
	v_max3_f32 v82, v82, v90, v91
	v_sub_f32_e32 v84, v88, v82
	v_sub_f32_e32 v88, v89, v82
	v_mul_f32_e32 v88, 0x3fb8aa3b, v88
	v_mul_f32_e32 v84, 0x3fb8aa3b, v84
	v_exp_f32_e32 v94, v88
	v_sub_f32_e32 v88, v90, v82
	v_exp_f32_e32 v84, v84
	v_mul_f32_e32 v88, 0x3fb8aa3b, v88
	v_exp_f32_e32 v90, v88
	ds_read2_b32 v[88:89], v83 offset0:96 offset1:112
	v_sub_f32_e32 v83, v91, v82
	v_mul_f32_e32 v83, 0x3fb8aa3b, v83
	v_exp_f32_e32 v91, v83
	s_waitcnt lgkmcnt(1)
	v_fma_f32 v83, v84, v92, 0
	v_fmac_f32_e32 v83, v94, v93
	s_waitcnt lgkmcnt(0)
	v_fmac_f32_e32 v83, v90, v88
	v_fmac_f32_e32 v83, v91, v89
	v_add_f32_e32 v88, 0x358637bd, v83
	v_div_scale_f32 v89, s[0:1], v88, v88, 1.0
	v_rcp_f32_e32 v92, v89
	s_mul_i32 s3, s3, 10
	s_barrier
	v_fma_f32 v93, -v89, v92, 1.0
	v_fmac_f32_e32 v92, v93, v92
	v_div_scale_f32 v93, vcc, 1.0, v88, 1.0
	v_mul_f32_e32 v95, v93, v92
	v_fma_f32 v86, -v89, v95, v93
	v_fmac_f32_e32 v95, v86, v92
	v_fma_f32 v86, -v89, v95, v93
	v_div_fmas_f32 v86, v86, v92, v95
	v_cmp_eq_u32_e32 vcc, 1, v87
	v_cndmask_b32_e32 v84, v84, v94, vcc
	v_cmp_eq_u32_e32 vcc, 2, v87
	v_cndmask_b32_e32 v84, v84, v90, vcc
	v_cmp_eq_u32_e32 vcc, 3, v87
	v_div_fixup_f32 v86, v86, v88, 1.0
	v_cndmask_b32_e32 v84, v84, v91, vcc
	v_mul_f32_e32 v88, v84, v86
	v_pk_mul_f32 v[80:81], v[88:89], v[80:81] op_sel_hi:[0,1]
	v_bfe_u32 v84, v81, 16, 1
	v_bfe_u32 v86, v80, 16, 1
	v_pk_mul_f32 v[78:79], v[88:89], v[78:79] op_sel_hi:[0,1]
	v_add3_u32 v80, v80, v86, s8
	v_add3_u32 v81, v81, v84, s8
	v_perm_b32 v80, v81, v80, s9
	v_bfe_u32 v81, v79, 16, 1
	v_bfe_u32 v84, v78, 16, 1
	v_add3_u32 v78, v78, v84, s8
	v_add3_u32 v79, v79, v81, s8
	v_perm_b32 v81, v79, v78, s9
	v_lshlrev_b32_e32 v78, 3, v1
	v_lshlrev_b32_e32 v79, 5, v85
	v_lshlrev_b32_e32 v84, 11, v87
	v_pk_mul_f32 v[76:77], v[88:89], v[76:77] op_sel_hi:[0,1]
	v_or3_b32 v78, v84, v79, v78
	v_bfe_u32 v84, v77, 16, 1
	v_bfe_u32 v86, v76, 16, 1
	v_pk_mul_f32 v[74:75], v[88:89], v[74:75] op_sel_hi:[0,1]
	v_add3_u32 v76, v76, v86, s8
	v_add3_u32 v77, v77, v84, s8
	v_perm_b32 v76, v77, v76, s9
	v_bfe_u32 v77, v75, 16, 1
	v_bfe_u32 v84, v74, 16, 1
	v_add3_u32 v74, v74, v84, s8
	v_add3_u32 v75, v75, v77, s8
	v_pk_mul_f32 v[72:73], v[88:89], v[72:73] op_sel_hi:[0,1]
	v_perm_b32 v77, v75, v74, s9
	v_bfe_u32 v74, v73, 16, 1
	v_bfe_u32 v75, v72, 16, 1
	v_pk_mul_f32 v[70:71], v[88:89], v[70:71] op_sel_hi:[0,1]
	v_add3_u32 v72, v72, v75, s8
	v_add3_u32 v73, v73, v74, s8
	v_perm_b32 v72, v73, v72, s9
	v_bfe_u32 v73, v71, 16, 1
	v_bfe_u32 v74, v70, 16, 1
	v_add3_u32 v70, v70, v74, s8
	v_add3_u32 v71, v71, v73, s8
	v_pk_mul_f32 v[68:69], v[88:89], v[68:69] op_sel_hi:[0,1]
	v_perm_b32 v73, v71, v70, s9
	v_bfe_u32 v70, v69, 16, 1
	v_bfe_u32 v71, v68, 16, 1
	v_pk_mul_f32 v[66:67], v[88:89], v[66:67] op_sel_hi:[0,1]
	v_add3_u32 v68, v68, v71, s8
	v_add3_u32 v69, v69, v70, s8
	v_perm_b32 v68, v69, v68, s9
	v_bfe_u32 v69, v67, 16, 1
	v_bfe_u32 v70, v66, 16, 1
	v_add3_u32 v66, v66, v70, s8
	v_add3_u32 v67, v67, v69, s8
	v_perm_b32 v69, v67, v66, s9
	v_cmp_gt_u32_e32 vcc, 10, v0
	ds_write2st64_b64 v78, v[80:81], v[76:77] offset1:1
	ds_write2st64_b64 v78, v[72:73], v[68:69] offset0:2 offset1:3
	s_and_saveexec_b64 s[0:1], vcc
	s_cbranch_execz .LBB297_17
; %bb.16:
	v_add_co_u32_e32 v68, vcc, s27, v85
	v_addc_co_u32_e64 v69, s[10:11], 0, 0, vcc
	v_mov_b32_e32 v66, s3
	v_mov_b32_e32 v67, 0
	v_mad_u64_u32 v[68:69], s[10:11], s6, v66, v[68:69]
	v_mov_b32_e32 v66, s26
	s_load_dwordx4 s[12:15], s[4:5], 0x58
	s_mul_i32 s7, s7, s3
	v_mad_u64_u32 v[66:67], s[10:11], v68, s2, v[66:67]
	v_add_u32_e32 v69, s7, v69
	v_mov_b32_e32 v68, v67
	v_mad_u64_u32 v[68:69], s[10:11], v69, s2, v[68:69]
	v_mov_b32_e32 v67, v68
	v_lshlrev_b64 v[66:67], 2, v[66:67]
	s_waitcnt lgkmcnt(0)
	v_mov_b32_e32 v69, s15
	v_add_co_u32_e32 v68, vcc, s14, v66
	v_addc_co_u32_e32 v69, vcc, v69, v67, vcc
	global_store_dword v[68:69], v82, off
	v_mov_b32_e32 v68, s13
	v_add_co_u32_e32 v66, vcc, s12, v66
	v_addc_co_u32_e32 v67, vcc, v68, v67, vcc
	global_store_dword v[66:67], v83, off
.LBB297_17:
	s_or_b64 exec, exec, s[0:1]
	v_lshl_or_b32 v79, v1, 9, v79
	s_waitcnt lgkmcnt(0)
	s_barrier
	ds_read_b128 v[70:73], v79
	ds_read_b128 v[66:69], v79 offset:16
	s_waitcnt vmcnt(15) lgkmcnt(1)
	v_mfma_f32_16x16x16bf16_1k v[74:77], v[46:47], v[70:71], 0
	s_mov_b32 s1, 0
	v_cmp_gt_u32_e32 vcc, 64, v0
	v_mfma_f32_16x16x16bf16_1k v[46:49], v[48:49], v[72:73], v[74:77]
	s_waitcnt vmcnt(14) lgkmcnt(0)
	v_mfma_f32_16x16x16bf16_1k v[46:49], v[42:43], v[66:67], v[46:49]
	v_mfma_f32_16x16x16bf16_1k v[42:45], v[44:45], v[68:69], v[46:49]
	s_nop 7
	s_nop 1
	ds_read_b128 v[46:49], v79 offset:2048
	ds_read_b128 v[74:77], v79 offset:2064
	s_waitcnt vmcnt(13) lgkmcnt(1)
	v_mfma_f32_16x16x16bf16_1k v[42:45], v[38:39], v[46:47], v[42:45]
	v_mfma_f32_16x16x16bf16_1k v[38:41], v[40:41], v[48:49], v[42:45]
	s_waitcnt vmcnt(12) lgkmcnt(0)
	v_mfma_f32_16x16x16bf16_1k v[38:41], v[34:35], v[74:75], v[38:41]
	v_mfma_f32_16x16x16bf16_1k v[34:37], v[36:37], v[76:77], v[38:41]
	s_nop 7
	s_nop 1
	ds_read_b128 v[38:41], v79 offset:4096
	ds_read_b128 v[42:45], v79 offset:4112
	s_waitcnt vmcnt(11) lgkmcnt(1)
	v_mfma_f32_16x16x16bf16_1k v[34:37], v[30:31], v[38:39], v[34:37]
	v_mfma_f32_16x16x16bf16_1k v[30:33], v[32:33], v[40:41], v[34:37]
	s_waitcnt vmcnt(10) lgkmcnt(0)
	v_mfma_f32_16x16x16bf16_1k v[30:33], v[26:27], v[42:43], v[30:33]
	v_mfma_f32_16x16x16bf16_1k v[26:29], v[28:29], v[44:45], v[30:33]
	s_nop 7
	s_nop 1
	ds_read_b128 v[30:33], v79 offset:6144
	ds_read_b128 v[34:37], v79 offset:6160
	s_waitcnt lgkmcnt(0)
	s_barrier
	s_waitcnt vmcnt(9)
	v_mfma_f32_16x16x16bf16_1k v[26:29], v[22:23], v[30:31], v[26:29]
	v_mfma_f32_16x16x16bf16_1k v[22:25], v[24:25], v[32:33], v[26:29]
	s_waitcnt vmcnt(8)
	v_mfma_f32_16x16x16bf16_1k v[22:25], v[18:19], v[34:35], v[22:25]
	v_mfma_f32_16x16x16bf16_1k v[18:21], v[20:21], v[36:37], v[22:25]
	;; [unrolled: 3-line block ×4, first 2 shown]
	s_waitcnt vmcnt(5)
	v_mfma_f32_16x16x16bf16_1k v[2:5], v[14:15], v[46:47], v[2:5]
	s_nop 7
	v_bfe_u32 v6, v19, 16, 1
	v_bfe_u32 v7, v18, 16, 1
	v_add3_u32 v7, v18, v7, s8
	v_add3_u32 v6, v19, v6, s8
	v_perm_b32 v6, v6, v7, s9
	v_bfe_u32 v7, v21, 16, 1
	v_bfe_u32 v8, v20, 16, 1
	v_mfma_f32_16x16x16bf16_1k v[2:5], v[16:17], v[48:49], v[2:5]
	v_add3_u32 v8, v20, v8, s8
	v_add3_u32 v7, v21, v7, s8
	v_perm_b32 v7, v7, v8, s9
	s_waitcnt vmcnt(4)
	v_mfma_f32_16x16x16bf16_1k v[2:5], v[10:11], v[74:75], v[2:5]
	v_mfma_f32_16x16x16bf16_1k v[2:5], v[12:13], v[76:77], v[2:5]
	s_waitcnt vmcnt(3)
	v_mfma_f32_16x16x16bf16_1k v[2:5], v[54:55], v[38:39], v[2:5]
	v_mfma_f32_16x16x16bf16_1k v[2:5], v[56:57], v[40:41], v[2:5]
	;; [unrolled: 3-line block ×5, first 2 shown]
	s_nop 7
	s_nop 2
	v_bfe_u32 v8, v3, 16, 1
	v_bfe_u32 v9, v2, 16, 1
	v_add3_u32 v2, v2, v9, s8
	v_add3_u32 v3, v3, v8, s8
	v_perm_b32 v2, v3, v2, s9
	v_bfe_u32 v3, v5, 16, 1
	v_bfe_u32 v8, v4, 16, 1
	v_add3_u32 v4, v4, v8, s8
	v_add3_u32 v3, v5, v3, s8
	v_perm_b32 v3, v3, v4, s9
	ds_write2st64_b64 v78, v[6:7], v[2:3] offset1:1
	s_waitcnt lgkmcnt(0)
	s_barrier
	s_and_saveexec_b64 s[8:9], vcc
	s_cbranch_execz .LBB297_20
; %bb.18:
	v_lshlrev_b32_e32 v4, 6, v85
	v_lshlrev_b32_e32 v3, 4, v0
	v_lshl_or_b32 v0, v0, 10, v4
	v_lshlrev_b32_e32 v2, 5, v1
	v_and_b32_e32 v3, 16, v3
	v_and_b32_e32 v0, 0x1a00, v0
	v_or3_b32 v0, v0, v2, v3
	buffer_load_dword v3, off, s[44:47], 0  ; 4-byte Folded Reload
	s_load_dwordx2 s[4:5], s[4:5], 0x68
	s_lshl_b32 s2, s2, 7
	s_mul_i32 s0, s3, s6
	s_mul_hi_u32 s7, s0, s2
	s_mul_i32 s6, s0, s2
	s_lshl_b64 s[6:7], s[6:7], 1
	s_waitcnt lgkmcnt(0)
	s_add_u32 s3, s4, s6
	s_addc_u32 s4, s5, s7
	s_lshl_b32 s0, s26, 7
	s_lshl_b64 s[0:1], s[0:1], 1
	s_add_u32 s0, s3, s0
	v_or_b32_e32 v2, 8, v1
	s_addc_u32 s1, s4, s1
	ds_read_b128 v[6:9], v0 offset:128
	ds_read_b128 v[10:13], v0
	v_add_u32_e32 v1, s27, v1
	v_mov_b32_e32 v4, s1
	s_waitcnt vmcnt(0)
	v_add_co_u32_e32 v3, vcc, s0, v3
	v_mad_u64_u32 v[14:15], s[0:1], v1, s2, 0
	v_addc_co_u32_e32 v4, vcc, 0, v4, vcc
	v_lshlrev_b64 v[14:15], 1, v[14:15]
	v_add_co_u32_e32 v14, vcc, v3, v14
	v_addc_co_u32_e32 v15, vcc, v4, v15, vcc
	v_add_u32_e32 v1, 4, v1
	s_waitcnt lgkmcnt(0)
	global_store_dwordx4 v[14:15], v[10:13], off
	s_nop 0
	v_mad_u64_u32 v[10:11], s[0:1], v1, s2, 0
	v_lshlrev_b64 v[10:11], 1, v[10:11]
	v_add_co_u32_e32 v10, vcc, v3, v10
	v_addc_co_u32_e32 v11, vcc, v4, v11, vcc
	v_cmp_gt_u32_e32 vcc, 10, v2
	global_store_dwordx4 v[10:11], v[6:9], off
	s_and_b64 exec, exec, vcc
	s_cbranch_execz .LBB297_20
; %bb.19:
	ds_read_b128 v[6:9], v0 offset:256
	v_add_u32_e32 v0, s27, v2
	v_mad_u64_u32 v[0:1], s[0:1], v0, s2, 0
	v_lshlrev_b64 v[0:1], 1, v[0:1]
	v_add_co_u32_e32 v0, vcc, v3, v0
	v_addc_co_u32_e32 v1, vcc, v4, v1, vcc
	s_waitcnt lgkmcnt(0)
	global_store_dwordx4 v[0:1], v[6:9], off
.LBB297_20:
	s_endpgm
	.section	.rodata,"a",@progbits
	.p2align	6, 0x0
	.amdhsa_kernel _Z39paged_attention_ll4mi_QKV_mfma16_kernelI14__hip_bfloat16S0_LN4vllm18Fp8KVCacheDataTypeE0ES0_Li16ELi128ELi256ELb1ELi10EL8MFMAType0EEvPKT_PKT0_S9_ifPKiSB_SB_iPKfiiiPfSE_PS4_PT2_iSD_SD_
		.amdhsa_group_segment_fixed_size 8192
		.amdhsa_private_segment_fixed_size 8
		.amdhsa_kernarg_size 400
		.amdhsa_user_sgpr_count 6
		.amdhsa_user_sgpr_private_segment_buffer 1
		.amdhsa_user_sgpr_dispatch_ptr 0
		.amdhsa_user_sgpr_queue_ptr 0
		.amdhsa_user_sgpr_kernarg_segment_ptr 1
		.amdhsa_user_sgpr_dispatch_id 0
		.amdhsa_user_sgpr_flat_scratch_init 0
		.amdhsa_user_sgpr_kernarg_preload_length 0
		.amdhsa_user_sgpr_kernarg_preload_offset 0
		.amdhsa_user_sgpr_private_segment_size 0
		.amdhsa_uses_dynamic_stack 0
		.amdhsa_system_sgpr_private_segment_wavefront_offset 1
		.amdhsa_system_sgpr_workgroup_id_x 1
		.amdhsa_system_sgpr_workgroup_id_y 1
		.amdhsa_system_sgpr_workgroup_id_z 1
		.amdhsa_system_sgpr_workgroup_info 0
		.amdhsa_system_vgpr_workitem_id 0
		.amdhsa_next_free_vgpr 96
		.amdhsa_next_free_sgpr 48
		.amdhsa_accum_offset 96
		.amdhsa_reserve_vcc 1
		.amdhsa_reserve_flat_scratch 0
		.amdhsa_float_round_mode_32 0
		.amdhsa_float_round_mode_16_64 0
		.amdhsa_float_denorm_mode_32 3
		.amdhsa_float_denorm_mode_16_64 3
		.amdhsa_dx10_clamp 1
		.amdhsa_ieee_mode 1
		.amdhsa_fp16_overflow 0
		.amdhsa_tg_split 0
		.amdhsa_exception_fp_ieee_invalid_op 0
		.amdhsa_exception_fp_denorm_src 0
		.amdhsa_exception_fp_ieee_div_zero 0
		.amdhsa_exception_fp_ieee_overflow 0
		.amdhsa_exception_fp_ieee_underflow 0
		.amdhsa_exception_fp_ieee_inexact 0
		.amdhsa_exception_int_div_zero 0
	.end_amdhsa_kernel
	.section	.text._Z39paged_attention_ll4mi_QKV_mfma16_kernelI14__hip_bfloat16S0_LN4vllm18Fp8KVCacheDataTypeE0ES0_Li16ELi128ELi256ELb1ELi10EL8MFMAType0EEvPKT_PKT0_S9_ifPKiSB_SB_iPKfiiiPfSE_PS4_PT2_iSD_SD_,"axG",@progbits,_Z39paged_attention_ll4mi_QKV_mfma16_kernelI14__hip_bfloat16S0_LN4vllm18Fp8KVCacheDataTypeE0ES0_Li16ELi128ELi256ELb1ELi10EL8MFMAType0EEvPKT_PKT0_S9_ifPKiSB_SB_iPKfiiiPfSE_PS4_PT2_iSD_SD_,comdat
.Lfunc_end297:
	.size	_Z39paged_attention_ll4mi_QKV_mfma16_kernelI14__hip_bfloat16S0_LN4vllm18Fp8KVCacheDataTypeE0ES0_Li16ELi128ELi256ELb1ELi10EL8MFMAType0EEvPKT_PKT0_S9_ifPKiSB_SB_iPKfiiiPfSE_PS4_PT2_iSD_SD_, .Lfunc_end297-_Z39paged_attention_ll4mi_QKV_mfma16_kernelI14__hip_bfloat16S0_LN4vllm18Fp8KVCacheDataTypeE0ES0_Li16ELi128ELi256ELb1ELi10EL8MFMAType0EEvPKT_PKT0_S9_ifPKiSB_SB_iPKfiiiPfSE_PS4_PT2_iSD_SD_
                                        ; -- End function
	.section	.AMDGPU.csdata,"",@progbits
; Kernel info:
; codeLenInByte = 5232
; NumSgprs: 52
; NumVgprs: 96
; NumAgprs: 0
; TotalNumVgprs: 96
; ScratchSize: 8
; MemoryBound: 0
; FloatMode: 240
; IeeeMode: 1
; LDSByteSize: 8192 bytes/workgroup (compile time only)
; SGPRBlocks: 6
; VGPRBlocks: 11
; NumSGPRsForWavesPerEU: 52
; NumVGPRsForWavesPerEU: 96
; AccumOffset: 96
; Occupancy: 5
; WaveLimiterHint : 1
; COMPUTE_PGM_RSRC2:SCRATCH_EN: 1
; COMPUTE_PGM_RSRC2:USER_SGPR: 6
; COMPUTE_PGM_RSRC2:TRAP_HANDLER: 0
; COMPUTE_PGM_RSRC2:TGID_X_EN: 1
; COMPUTE_PGM_RSRC2:TGID_Y_EN: 1
; COMPUTE_PGM_RSRC2:TGID_Z_EN: 1
; COMPUTE_PGM_RSRC2:TIDIG_COMP_CNT: 0
; COMPUTE_PGM_RSRC3_GFX90A:ACCUM_OFFSET: 23
; COMPUTE_PGM_RSRC3_GFX90A:TG_SPLIT: 0
	.section	.text._Z39paged_attention_ll4mi_QKV_mfma16_kernelI14__hip_bfloat16S0_LN4vllm18Fp8KVCacheDataTypeE0ES0_Li16ELi128ELi256ELb1ELi11EL8MFMAType0EEvPKT_PKT0_S9_ifPKiSB_SB_iPKfiiiPfSE_PS4_PT2_iSD_SD_,"axG",@progbits,_Z39paged_attention_ll4mi_QKV_mfma16_kernelI14__hip_bfloat16S0_LN4vllm18Fp8KVCacheDataTypeE0ES0_Li16ELi128ELi256ELb1ELi11EL8MFMAType0EEvPKT_PKT0_S9_ifPKiSB_SB_iPKfiiiPfSE_PS4_PT2_iSD_SD_,comdat
	.protected	_Z39paged_attention_ll4mi_QKV_mfma16_kernelI14__hip_bfloat16S0_LN4vllm18Fp8KVCacheDataTypeE0ES0_Li16ELi128ELi256ELb1ELi11EL8MFMAType0EEvPKT_PKT0_S9_ifPKiSB_SB_iPKfiiiPfSE_PS4_PT2_iSD_SD_ ; -- Begin function _Z39paged_attention_ll4mi_QKV_mfma16_kernelI14__hip_bfloat16S0_LN4vllm18Fp8KVCacheDataTypeE0ES0_Li16ELi128ELi256ELb1ELi11EL8MFMAType0EEvPKT_PKT0_S9_ifPKiSB_SB_iPKfiiiPfSE_PS4_PT2_iSD_SD_
	.globl	_Z39paged_attention_ll4mi_QKV_mfma16_kernelI14__hip_bfloat16S0_LN4vllm18Fp8KVCacheDataTypeE0ES0_Li16ELi128ELi256ELb1ELi11EL8MFMAType0EEvPKT_PKT0_S9_ifPKiSB_SB_iPKfiiiPfSE_PS4_PT2_iSD_SD_
	.p2align	8
	.type	_Z39paged_attention_ll4mi_QKV_mfma16_kernelI14__hip_bfloat16S0_LN4vllm18Fp8KVCacheDataTypeE0ES0_Li16ELi128ELi256ELb1ELi11EL8MFMAType0EEvPKT_PKT0_S9_ifPKiSB_SB_iPKfiiiPfSE_PS4_PT2_iSD_SD_,@function
_Z39paged_attention_ll4mi_QKV_mfma16_kernelI14__hip_bfloat16S0_LN4vllm18Fp8KVCacheDataTypeE0ES0_Li16ELi128ELi256ELb1ELi11EL8MFMAType0EEvPKT_PKT0_S9_ifPKiSB_SB_iPKfiiiPfSE_PS4_PT2_iSD_SD_: ; @_Z39paged_attention_ll4mi_QKV_mfma16_kernelI14__hip_bfloat16S0_LN4vllm18Fp8KVCacheDataTypeE0ES0_Li16ELi128ELi256ELb1ELi11EL8MFMAType0EEvPKT_PKT0_S9_ifPKiSB_SB_iPKfiiiPfSE_PS4_PT2_iSD_SD_
; %bb.0:
	s_mov_b64 s[46:47], s[2:3]
	s_mov_b64 s[44:45], s[0:1]
	s_load_dwordx2 s[0:1], s[4:5], 0x30
	s_add_u32 s44, s44, s9
	s_addc_u32 s45, s45, 0
	s_mov_b32 s26, s7
	s_mov_b64 s[10:11], 0
	s_waitcnt lgkmcnt(0)
	s_cmp_lg_u64 s[0:1], 0
	s_cselect_b64 s[2:3], -1, 0
	s_and_b64 vcc, exec, s[2:3]
	s_cbranch_vccz .LBB298_7
; %bb.1:
	s_add_i32 s12, s6, 1
	s_mov_b32 s13, 0
	s_lshl_b64 s[14:15], s[12:13], 2
	s_add_u32 s14, s0, s14
	s_mov_b32 s7, s13
	s_addc_u32 s15, s1, s15
	s_lshl_b64 s[12:13], s[6:7], 2
	s_add_u32 s12, s0, s12
	s_addc_u32 s13, s1, s13
	s_load_dword s9, s[14:15], 0x0
	s_load_dword s16, s[12:13], 0x0
	s_waitcnt lgkmcnt(0)
	s_sub_i32 s9, s9, s16
	s_cmp_eq_u32 s9, 1
	s_cselect_b64 s[12:13], -1, 0
	s_andn2_b64 vcc, exec, s[10:11]
	s_cbranch_vccnz .LBB298_3
.LBB298_2:
	s_mov_b32 s7, 0
	s_mov_b64 s[12:13], -1
.LBB298_3:
	s_andn2_b64 vcc, exec, s[12:13]
	s_cbranch_vccnz .LBB298_20
; %bb.4:
	s_load_dwordx2 s[12:13], s[4:5], 0x28
	s_lshl_b64 s[10:11], s[6:7], 2
	s_waitcnt lgkmcnt(0)
	s_add_u32 s12, s12, s10
	s_addc_u32 s13, s13, s11
	s_load_dword s33, s[12:13], 0x0
	s_lshl_b32 s16, s26, 8
	s_waitcnt lgkmcnt(0)
	s_cmp_ge_i32 s16, s33
	s_cbranch_scc1 .LBB298_20
; %bb.5:
	s_add_i32 s14, s33, 15
	s_load_dwordx2 s[12:13], s[4:5], 0x20
	s_load_dword s9, s[4:5], 0x38
	s_ashr_i32 s15, s14, 31
	v_and_b32_e32 v1, 0xcf, v0
	s_lshr_b32 s15, s15, 28
	v_add_u32_e32 v1, s16, v1
	s_add_i32 s14, s14, s15
	v_ashrrev_i32_e32 v2, 31, v1
	s_ashr_i32 s19, s14, 4
	v_lshrrev_b32_e32 v4, 28, v2
	s_add_i32 s19, s19, -1
	v_add_u32_e32 v2, v1, v4
	s_waitcnt lgkmcnt(0)
	s_mul_i32 s14, s6, s9
	s_mov_b32 s15, 0
	v_ashrrev_i32_e32 v2, 4, v2
	v_mov_b32_e32 v5, s19
	v_cmp_gt_i32_e32 vcc, s33, v1
	s_lshl_b64 s[14:15], s[14:15], 2
	v_cndmask_b32_e32 v2, v5, v2, vcc
	s_add_u32 s17, s12, s14
	v_ashrrev_i32_e32 v3, 31, v2
	s_addc_u32 s18, s13, s15
	v_lshlrev_b64 v[2:3], 2, v[2:3]
	v_mov_b32_e32 v7, s18
	v_add_co_u32_e32 v6, vcc, s17, v2
	v_or_b32_e32 v2, 16, v1
	v_addc_co_u32_e32 v7, vcc, v7, v3, vcc
	v_add_u32_e32 v3, v2, v4
	v_ashrrev_i32_e32 v3, 4, v3
	v_cmp_gt_i32_e32 vcc, s33, v2
	v_cndmask_b32_e32 v2, v5, v3, vcc
	v_ashrrev_i32_e32 v3, 31, v2
	v_lshlrev_b64 v[2:3], 2, v[2:3]
	v_mov_b32_e32 v9, s18
	v_add_co_u32_e32 v8, vcc, s17, v2
	v_or_b32_e32 v2, 32, v1
	v_addc_co_u32_e32 v9, vcc, v9, v3, vcc
	v_add_u32_e32 v3, v2, v4
	v_ashrrev_i32_e32 v3, 4, v3
	v_cmp_gt_i32_e32 vcc, s33, v2
	v_cndmask_b32_e32 v2, v5, v3, vcc
	v_ashrrev_i32_e32 v3, 31, v2
	;; [unrolled: 10-line block ×3, first 2 shown]
	v_lshlrev_b64 v[2:3], 2, v[2:3]
	v_mov_b32_e32 v1, s18
	v_add_co_u32_e32 v12, vcc, s17, v2
	v_addc_co_u32_e32 v13, vcc, v1, v3, vcc
	global_load_dword v5, v[6:7], off
	global_load_dword v4, v[8:9], off
	;; [unrolled: 1-line block ×4, first 2 shown]
	s_load_dwordx2 s[12:13], s[4:5], 0x8
	s_andn2_b64 vcc, exec, s[2:3]
	s_cbranch_vccnz .LBB298_8
; %bb.6:
	s_add_u32 s0, s0, s10
	s_addc_u32 s1, s1, s11
	s_load_dword s9, s[0:1], 0x0
	s_branch .LBB298_9
.LBB298_7:
	s_mov_b64 s[12:13], 0
	s_branch .LBB298_2
.LBB298_8:
	s_mov_b32 s9, s6
.LBB298_9:
	s_load_dwordx2 s[10:11], s[4:5], 0x10
	s_load_dwordx4 s[0:3], s[4:5], 0x48
	v_lshrrev_b32_e32 v87, 6, v0
	v_bfe_u32 v1, v0, 4, 2
	v_and_b32_e32 v85, 15, v0
	v_lshl_or_b32 v6, v87, 2, v1
	v_lshlrev_b32_e32 v7, 3, v85
	s_mul_i32 s27, s8, 11
	v_cmp_gt_u32_e32 vcc, 11, v6
	v_lshlrev_b32_e32 v7, 1, v7
	buffer_store_dword v7, off, s[44:47], 0 ; 4-byte Folded Spill
	s_and_saveexec_b64 s[14:15], vcc
	s_cbranch_execz .LBB298_11
; %bb.10:
	s_load_dwordx2 s[20:21], s[4:5], 0x0
	s_waitcnt lgkmcnt(0)
	s_ashr_i32 s3, s0, 31
	s_mul_hi_u32 s22, s9, s0
	s_mul_i32 s3, s9, s3
	s_add_i32 s23, s22, s3
	s_mul_i32 s22, s9, s0
	s_lshl_b64 s[22:23], s[22:23], 1
	v_add_lshl_u32 v8, v6, s27, 7
	s_add_u32 s0, s20, s22
	v_ashrrev_i32_e32 v9, 31, v8
	s_addc_u32 s3, s21, s23
	v_lshlrev_b64 v[8:9], 1, v[8:9]
	v_mov_b32_e32 v7, s3
	v_add_co_u32_e32 v8, vcc, s0, v8
	v_addc_co_u32_e32 v7, vcc, v7, v9, vcc
	buffer_load_dword v9, off, s[44:47], 0  ; 4-byte Folded Reload
	v_lshlrev_b32_e32 v12, 9, v85
	v_lshlrev_b32_e32 v6, 5, v6
	v_and_b32_e32 v12, 0x1800, v12
	s_waitcnt vmcnt(0)
	v_add_co_u32_e32 v8, vcc, v8, v9
	v_addc_co_u32_e32 v9, vcc, 0, v7, vcc
	global_load_dwordx4 v[8:11], v[8:9], off
	v_and_b32_e32 v7, 3, v0
	v_lshlrev_b32_e32 v7, 9, v7
	v_or3_b32 v6, v12, v7, v6
	s_waitcnt vmcnt(0)
	ds_write_b128 v6, v[8:11]
.LBB298_11:
	s_or_b64 exec, exec, s[14:15]
	s_waitcnt lgkmcnt(0)
	s_mul_i32 s2, s8, s2
	s_mov_b32 s3, 0
	s_lshl_b64 s[2:3], s[2:3], 1
	s_add_u32 s0, s12, s2
	v_lshlrev_b32_e32 v10, 4, v0
	s_addc_u32 s8, s13, s3
	v_and_b32_e32 v6, 0xf0, v10
	v_mov_b32_e32 v7, s8
	v_add_co_u32_e32 v8, vcc, s0, v6
	v_addc_co_u32_e32 v9, vcc, 0, v7, vcc
	s_waitcnt vmcnt(4)
	v_mad_i64_i32 v[6:7], s[8:9], v5, s1, 0
	v_lshlrev_b64 v[6:7], 1, v[6:7]
	v_add_co_u32_e32 v5, vcc, v8, v6
	v_addc_co_u32_e32 v7, vcc, v9, v7, vcc
	v_and_b32_e32 v10, 0x300, v10
	v_add_co_u32_e32 v6, vcc, v5, v10
	s_waitcnt vmcnt(3)
	v_mad_i64_i32 v[4:5], s[8:9], v4, s1, 0
	v_addc_co_u32_e32 v7, vcc, 0, v7, vcc
	v_lshlrev_b64 v[4:5], 1, v[4:5]
	v_add_co_u32_e32 v4, vcc, v8, v4
	v_addc_co_u32_e32 v5, vcc, v9, v5, vcc
	v_add_co_u32_e32 v4, vcc, v4, v10
	v_addc_co_u32_e32 v5, vcc, 0, v5, vcc
	s_barrier
	global_load_dwordx4 v[74:77], v[6:7], off
	global_load_dwordx4 v[66:69], v[6:7], off offset:1024
	global_load_dwordx4 v[58:61], v[6:7], off offset:2048
	;; [unrolled: 1-line block ×3, first 2 shown]
	global_load_dwordx4 v[78:81], v[4:5], off
	global_load_dwordx4 v[70:73], v[4:5], off offset:1024
	global_load_dwordx4 v[62:65], v[4:5], off offset:2048
	;; [unrolled: 1-line block ×3, first 2 shown]
	s_waitcnt vmcnt(10)
	v_mad_i64_i32 v[4:5], s[8:9], v3, s1, 0
	v_lshlrev_b64 v[4:5], 1, v[4:5]
	v_add_co_u32_e32 v3, vcc, v8, v4
	v_addc_co_u32_e32 v5, vcc, v9, v5, vcc
	v_add_co_u32_e32 v4, vcc, v3, v10
	s_waitcnt vmcnt(9)
	v_mad_i64_i32 v[2:3], s[8:9], v2, s1, 0
	v_addc_co_u32_e32 v5, vcc, 0, v5, vcc
	v_lshlrev_b64 v[2:3], 1, v[2:3]
	v_add_co_u32_e32 v2, vcc, v8, v2
	v_addc_co_u32_e32 v3, vcc, v9, v3, vcc
	v_add_co_u32_e32 v6, vcc, v2, v10
	v_addc_co_u32_e32 v7, vcc, 0, v3, vcc
	global_load_dwordx4 v[38:41], v[4:5], off
	global_load_dwordx4 v[34:37], v[4:5], off offset:1024
	global_load_dwordx4 v[30:33], v[4:5], off offset:2048
	;; [unrolled: 1-line block ×3, first 2 shown]
	global_load_dwordx4 v[18:21], v[6:7], off
	global_load_dwordx4 v[10:13], v[6:7], off offset:1024
	s_nop 0
	global_load_dwordx4 v[2:5], v[6:7], off offset:2048
	global_load_dwordx4 v[50:53], v[6:7], off offset:3072
	v_add_u32_e32 v6, -11, v85
	v_cmp_gt_u32_e32 vcc, 11, v85
	v_cndmask_b32_e32 v6, v6, v85, vcc
	v_lshlrev_b32_e32 v6, 5, v6
	v_lshl_add_u32 v54, v1, 9, v6
	ds_read_b128 v[26:29], v54
	ds_read_b128 v[14:17], v54 offset:2048
	ds_read_b128 v[6:9], v54 offset:4096
	;; [unrolled: 1-line block ×3, first 2 shown]
	v_and_b32_e32 v88, 63, v0
	v_mov_b32_e32 v89, 0
	s_and_saveexec_b64 s[8:9], vcc
	s_cbranch_execz .LBB298_13
; %bb.12:
	s_load_dwordx2 s[12:13], s[4:5], 0x40
	v_add_u32_e32 v82, s27, v85
	v_ashrrev_i32_e32 v83, 31, v82
	v_lshlrev_b64 v[82:83], 2, v[82:83]
	s_waitcnt lgkmcnt(0)
	v_mov_b32_e32 v89, s13
	v_add_co_u32_e32 v82, vcc, s12, v82
	v_addc_co_u32_e32 v83, vcc, v89, v83, vcc
	global_load_dword v89, v[82:83], off
.LBB298_13:
	s_or_b64 exec, exec, s[8:9]
	s_waitcnt vmcnt(15) lgkmcnt(3)
	v_mfma_f32_16x16x16bf16_1k v[90:93], v[74:75], v[26:27], 0
	s_add_u32 s8, s10, s2
	s_addc_u32 s9, s11, s3
	s_load_dword s0, s[4:5], 0x1c
	s_mov_b32 s40, 0xff7fffff
	v_mfma_f32_16x16x16bf16_1k v[74:77], v[76:77], v[28:29], v[90:93]
	s_waitcnt vmcnt(14) lgkmcnt(0)
	v_mfma_f32_16x16x16bf16_1k v[74:77], v[66:67], v[14:15], v[74:77]
	s_nop 4
	v_lshl_or_b32 v90, v87, 4, v85
	v_mfma_f32_16x16x16bf16_1k v[66:69], v[68:69], v[16:17], v[74:77]
	s_waitcnt vmcnt(13)
	v_mfma_f32_16x16x16bf16_1k v[66:69], v[58:59], v[6:7], v[66:69]
	s_nop 4
	v_lshlrev_b32_e32 v76, 5, v90
	v_mfma_f32_16x16x16bf16_1k v[58:61], v[60:61], v[8:9], v[66:69]
	s_waitcnt vmcnt(12)
	v_mfma_f32_16x16x16bf16_1k v[58:61], v[42:43], v[54:55], v[58:61]
	s_nop 4
	v_mov_b32_e32 v66, s18
	v_mfma_f32_16x16x16bf16_1k v[58:61], v[44:45], v[56:57], v[58:61]
	s_waitcnt vmcnt(11)
	v_mfma_f32_16x16x16bf16_1k v[42:45], v[78:79], v[26:27], 0
	s_nop 7
	s_nop 0
	v_pk_mul_f32 v[58:59], s[0:1], v[58:59] op_sel_hi:[0,1]
	v_mfma_f32_16x16x16bf16_1k v[42:45], v[80:81], v[28:29], v[42:45]
	s_waitcnt vmcnt(10)
	v_mfma_f32_16x16x16bf16_1k v[42:45], v[70:71], v[14:15], v[42:45]
	v_mfma_f32_16x16x16bf16_1k v[42:45], v[72:73], v[16:17], v[42:45]
	s_waitcnt vmcnt(9)
	v_mfma_f32_16x16x16bf16_1k v[42:45], v[62:63], v[6:7], v[42:45]
	;; [unrolled: 3-line block ×3, first 2 shown]
	v_mfma_f32_16x16x16bf16_1k v[62:65], v[48:49], v[56:57], v[42:45]
	v_and_or_b32 v48, v0, 48, s16
	v_mov_b32_e32 v49, s19
	v_cmp_gt_i32_e32 vcc, s33, v48
	s_waitcnt vmcnt(7)
	v_mfma_f32_16x16x16bf16_1k v[42:45], v[38:39], v[26:27], 0
	v_ashrrev_i32_e32 v38, 4, v48
	v_cndmask_b32_e32 v38, v49, v38, vcc
	v_ashrrev_i32_e32 v39, 31, v38
	v_lshlrev_b64 v[46:47], 2, v[38:39]
	v_mfma_f32_16x16x16bf16_1k v[38:41], v[40:41], v[28:29], v[42:45]
	s_nop 6
	v_add_co_u32_e32 v42, vcc, s17, v46
	v_addc_co_u32_e32 v43, vcc, v66, v47, vcc
	global_load_dword v44, v[42:43], off
	v_or_b32_e32 v42, 64, v48
	v_ashrrev_i32_e32 v43, 4, v42
	v_cmp_gt_i32_e32 vcc, s33, v42
	v_cndmask_b32_e32 v42, v49, v43, vcc
	s_waitcnt vmcnt(7)
	v_mfma_f32_16x16x16bf16_1k v[38:41], v[34:35], v[14:15], v[38:41]
	v_ashrrev_i32_e32 v43, 31, v42
	v_lshlrev_b64 v[34:35], 2, v[42:43]
	v_mov_b32_e32 v42, s18
	v_add_co_u32_e32 v34, vcc, s17, v34
	v_addc_co_u32_e32 v35, vcc, v42, v35, vcc
	global_load_dword v72, v[34:35], off
	v_mfma_f32_16x16x16bf16_1k v[34:37], v[36:37], v[16:17], v[38:41]
	s_nop 6
	v_or_b32_e32 v38, 0x80, v48
	v_ashrrev_i32_e32 v39, 4, v38
	v_cmp_gt_i32_e32 vcc, s33, v38
	v_cndmask_b32_e32 v38, v49, v39, vcc
	v_ashrrev_i32_e32 v39, 31, v38
	v_lshlrev_b64 v[38:39], 2, v[38:39]
	v_mov_b32_e32 v40, s18
	s_waitcnt vmcnt(7)
	v_mfma_f32_16x16x16bf16_1k v[34:37], v[30:31], v[6:7], v[34:37]
	v_add_co_u32_e32 v30, vcc, s17, v38
	v_addc_co_u32_e32 v31, vcc, v40, v39, vcc
	global_load_dword v74, v[30:31], off
	v_or_b32_e32 v30, 0xc0, v48
	v_ashrrev_i32_e32 v31, 4, v30
	v_cmp_gt_i32_e32 vcc, s33, v30
	v_cndmask_b32_e32 v38, v49, v31, vcc
	v_ashrrev_i32_e32 v39, 31, v38
	v_mfma_f32_16x16x16bf16_1k v[30:33], v[32:33], v[8:9], v[34:37]
	s_nop 6
	v_lshlrev_b64 v[34:35], 2, v[38:39]
	v_mov_b32_e32 v36, s18
	v_add_co_u32_e32 v34, vcc, s17, v34
	v_addc_co_u32_e32 v35, vcc, v36, v35, vcc
	global_load_dword v75, v[34:35], off
	s_waitcnt vmcnt(8)
	v_mfma_f32_16x16x16bf16_1k v[30:33], v[22:23], v[54:55], v[30:33]
	v_mov_b32_e32 v22, s9
	v_add_co_u32_e32 v77, vcc, s8, v76
	v_addc_co_u32_e32 v78, vcc, 0, v22, vcc
	s_waitcnt vmcnt(3)
	v_mad_i64_i32 v[22:23], s[2:3], v44, s1, 0
	v_mfma_f32_16x16x16bf16_1k v[66:69], v[24:25], v[56:57], v[30:33]
	v_lshlrev_b64 v[70:71], 1, v[22:23]
	v_mfma_f32_16x16x16bf16_1k v[22:25], v[18:19], v[26:27], 0
	v_add_co_u32_e32 v18, vcc, v77, v70
	v_addc_co_u32_e32 v19, vcc, v78, v71, vcc
	global_load_dwordx4 v[46:49], v[18:19], off
	global_load_dwordx4 v[42:45], v[18:19], off offset:16
	s_waitcnt vmcnt(4)
	v_mad_i64_i32 v[18:19], s[2:3], v72, s1, 0
	v_lshlrev_b64 v[72:73], 1, v[18:19]
	v_mfma_f32_16x16x16bf16_1k v[18:21], v[20:21], v[28:29], v[22:25]
	v_mfma_f32_16x16x16bf16_1k v[18:21], v[10:11], v[14:15], v[18:21]
	s_nop 5
	v_add_co_u32_e32 v22, vcc, v77, v72
	v_addc_co_u32_e32 v23, vcc, v78, v73, vcc
	global_load_dwordx4 v[38:41], v[22:23], off
	global_load_dwordx4 v[34:37], v[22:23], off offset:16
	s_waitcnt vmcnt(5)
	v_mad_i64_i32 v[22:23], s[2:3], v74, s1, 0
	v_lshlrev_b64 v[82:83], 1, v[22:23]
	v_add_co_u32_e32 v10, vcc, v77, v82
	v_addc_co_u32_e32 v11, vcc, v78, v83, vcc
	global_load_dwordx4 v[30:33], v[10:11], off
	global_load_dwordx4 v[26:29], v[10:11], off offset:16
	v_mfma_f32_16x16x16bf16_1k v[10:13], v[12:13], v[16:17], v[18:21]
	s_waitcnt vmcnt(6)
	v_mad_i64_i32 v[14:15], s[2:3], v75, s1, 0
	v_mfma_f32_16x16x16bf16_1k v[10:13], v[2:3], v[6:7], v[10:13]
	v_lshlrev_b64 v[80:81], 1, v[14:15]
	v_add_co_u32_e32 v14, vcc, v77, v80
	v_addc_co_u32_e32 v15, vcc, v78, v81, vcc
	v_or_b32_e32 v2, 0x800, v76
	v_mov_b32_e32 v3, s9
	v_mfma_f32_16x16x16bf16_1k v[10:13], v[4:5], v[8:9], v[10:13]
	v_add_co_u32_e32 v91, vcc, s8, v2
	v_addc_co_u32_e32 v84, vcc, 0, v3, vcc
	v_add_co_u32_e32 v2, vcc, v91, v70
	v_addc_co_u32_e32 v3, vcc, v84, v71, vcc
	v_mfma_f32_16x16x16bf16_1k v[92:95], v[50:51], v[54:55], v[10:13]
	v_add_co_u32_e32 v70, vcc, v91, v72
	v_addc_co_u32_e32 v71, vcc, v84, v73, vcc
	global_load_dwordx4 v[22:25], v[14:15], off
	global_load_dwordx4 v[18:21], v[14:15], off offset:16
	global_load_dwordx4 v[6:9], v[2:3], off
	s_nop 0
	global_load_dwordx4 v[2:5], v[2:3], off offset:16
	s_nop 0
	global_load_dwordx4 v[14:17], v[70:71], off
	global_load_dwordx4 v[10:13], v[70:71], off offset:16
	v_mfma_f32_16x16x16bf16_1k v[50:53], v[52:53], v[56:57], v[92:95]
	v_pk_mul_f32 v[70:71], s[0:1], v[68:69] op_sel_hi:[0,1]
	v_pk_mul_f32 v[72:73], s[0:1], v[66:67] op_sel_hi:[0,1]
	;; [unrolled: 1-line block ×5, first 2 shown]
	s_nop 5
	v_pk_mul_f32 v[68:69], s[0:1], v[50:51] op_sel_hi:[0,1]
	v_and_b32_e32 v50, 0xc0, v0
	v_add_u32_e32 v50, s16, v50
	v_lshl_or_b32 v50, v1, 2, v50
	v_or_b32_e32 v51, 1, v50
	v_pk_mul_f32 v[66:67], s[0:1], v[52:53] op_sel_hi:[0,1]
	v_subrev_u32_e32 v52, s33, v51
	v_add_u32_e32 v54, 1, v52
	v_add_u32_e32 v55, 2, v52
	v_cvt_f32_i32_e32 v53, v52
	v_cvt_f32_i32_e32 v54, v54
	;; [unrolled: 1-line block ×3, first 2 shown]
	v_add_u32_e32 v56, 3, v52
	v_fma_f32 v58, v89, v53, v58
	v_fmac_f32_e32 v59, v89, v54
	v_fma_f32 v78, v89, v55, v78
	v_add_u32_e32 v53, 16, v52
	v_add_u32_e32 v54, 17, v52
	v_add_u32_e32 v55, 18, v52
	v_cvt_f32_i32_e32 v56, v56
	v_cvt_f32_i32_e32 v53, v53
	;; [unrolled: 1-line block ×4, first 2 shown]
	v_fmac_f32_e32 v79, v89, v56
	v_add_u32_e32 v56, 19, v52
	v_fma_f32 v76, v89, v53, v76
	v_fmac_f32_e32 v77, v89, v54
	v_fma_f32 v74, v89, v55, v74
	v_add_u32_e32 v53, 32, v52
	v_add_u32_e32 v54, 33, v52
	;; [unrolled: 1-line block ×3, first 2 shown]
	v_cvt_f32_i32_e32 v56, v56
	v_cvt_f32_i32_e32 v53, v53
	;; [unrolled: 1-line block ×4, first 2 shown]
	v_fmac_f32_e32 v75, v89, v56
	v_add_u32_e32 v56, 35, v52
	v_fma_f32 v72, v89, v53, v72
	v_fmac_f32_e32 v73, v89, v54
	v_fma_f32 v70, v89, v55, v70
	v_add_u32_e32 v53, 48, v52
	v_add_u32_e32 v54, 49, v52
	;; [unrolled: 1-line block ×4, first 2 shown]
	v_cvt_f32_i32_e32 v52, v52
	v_cvt_f32_i32_e32 v53, v53
	;; [unrolled: 1-line block ×3, first 2 shown]
	v_cmp_gt_i32_e64 s[28:29], s33, v50
	v_fmac_f32_e32 v67, v89, v52
	v_mov_b32_e32 v52, 0xff7fffff
	v_cmp_gt_i32_e64 s[30:31], s33, v51
	v_fma_f32 v68, v89, v53, v68
	v_cndmask_b32_e64 v53, v52, v58, s[28:29]
	v_cndmask_b32_e64 v51, v52, v59, s[30:31]
	v_fmac_f32_e32 v69, v89, v54
	v_max3_f32 v51, v53, s40, v51
	v_or_b32_e32 v53, 2, v50
	v_or_b32_e32 v54, 3, v50
	v_cmp_gt_i32_e64 s[34:35], s33, v53
	v_cmp_gt_i32_e64 s[36:37], s33, v54
	v_cndmask_b32_e64 v53, v52, v78, s[34:35]
	v_cndmask_b32_e64 v54, v52, v79, s[36:37]
	v_max3_f32 v51, v51, v53, v54
	v_or_b32_e32 v53, 16, v50
	v_or_b32_e32 v54, 17, v50
	v_cmp_gt_i32_e64 s[22:23], s33, v53
	v_cmp_gt_i32_e64 s[24:25], s33, v54
	v_cndmask_b32_e64 v53, v52, v76, s[22:23]
	v_cndmask_b32_e64 v54, v52, v77, s[24:25]
	;; [unrolled: 7-line block ×3, first 2 shown]
	v_cvt_f32_i32_e32 v56, v56
	v_max3_f32 v51, v51, v53, v54
	v_or_b32_e32 v53, 32, v50
	v_or_b32_e32 v54, 33, v50
	v_cmp_gt_i32_e64 s[14:15], s33, v53
	v_cmp_gt_i32_e64 s[16:17], s33, v54
	v_cndmask_b32_e64 v53, v52, v72, s[14:15]
	v_cndmask_b32_e64 v54, v52, v73, s[16:17]
	v_max3_f32 v51, v51, v53, v54
	v_or_b32_e32 v53, 34, v50
	v_or_b32_e32 v54, 35, v50
	v_fmac_f32_e32 v71, v89, v56
	v_cmp_gt_i32_e64 s[10:11], s33, v53
	v_cmp_gt_i32_e64 s[12:13], s33, v54
	v_cndmask_b32_e64 v53, v52, v70, s[10:11]
	v_cndmask_b32_e64 v54, v52, v71, s[12:13]
	v_cvt_f32_i32_e32 v55, v55
	v_max3_f32 v51, v51, v53, v54
	v_or_b32_e32 v53, 48, v50
	v_or_b32_e32 v54, 49, v50
	v_cmp_gt_i32_e64 s[2:3], s33, v53
	v_cmp_gt_i32_e64 s[8:9], s33, v54
	v_cndmask_b32_e64 v53, v52, v68, s[2:3]
	v_cndmask_b32_e64 v54, v52, v69, s[8:9]
	v_max3_f32 v51, v51, v53, v54
	v_or_b32_e32 v53, 50, v50
	v_or_b32_e32 v50, 51, v50
	v_fma_f32 v66, v89, v55, v66
	v_cmp_gt_i32_e32 vcc, s33, v53
	v_cmp_gt_i32_e64 s[0:1], s33, v50
	v_cndmask_b32_e32 v53, v52, v66, vcc
	v_cndmask_b32_e64 v50, v52, v67, s[0:1]
	v_max3_f32 v60, v51, v53, v50
	v_mbcnt_lo_u32_b32 v50, -1, 0
	v_mbcnt_hi_u32_b32 v61, -1, v50
	v_and_b32_e32 v50, 64, v61
	v_add_u32_e32 v62, 64, v50
	v_xor_b32_e32 v50, 32, v61
	v_cmp_lt_i32_e64 s[38:39], v50, v62
	v_cndmask_b32_e64 v50, v61, v50, s[38:39]
	v_lshlrev_b32_e32 v89, 2, v50
	ds_bpermute_b32 v63, v89, v60
	v_add_co_u32_e64 v50, s[38:39], v91, v82
	v_addc_co_u32_e64 v51, s[38:39], v84, v83, s[38:39]
	s_waitcnt lgkmcnt(0)
	v_max_f32_e32 v63, v63, v63
	v_max_f32_e32 v63, v60, v63
	v_xor_b32_e32 v60, 16, v61
	v_cmp_lt_i32_e64 s[38:39], v60, v62
	v_cndmask_b32_e64 v60, v61, v60, s[38:39]
	v_lshlrev_b32_e32 v92, 2, v60
	ds_bpermute_b32 v62, v92, v63
	v_add_co_u32_e64 v60, s[38:39], v91, v80
	v_addc_co_u32_e64 v61, s[38:39], v84, v81, s[38:39]
	s_waitcnt lgkmcnt(0)
	v_max_f32_e32 v62, v62, v62
	v_max_f32_e32 v82, v63, v62
	v_sub_f32_e32 v58, v58, v82
	v_mul_f32_e32 v58, 0x3fb8aa3b, v58
	v_exp_f32_e32 v80, v58
	v_sub_f32_e32 v58, v59, v82
	v_mul_f32_e32 v58, 0x3fb8aa3b, v58
	global_load_dwordx4 v[54:57], v[50:51], off
	s_nop 0
	global_load_dwordx4 v[50:53], v[50:51], off offset:16
	v_exp_f32_e32 v81, v58
	global_load_dwordx4 v[62:65], v[60:61], off
	s_nop 0
	global_load_dwordx4 v[58:61], v[60:61], off offset:16
	v_sub_f32_e32 v78, v78, v82
	v_mul_f32_e32 v78, 0x3fb8aa3b, v78
	v_sub_f32_e32 v79, v79, v82
	v_exp_f32_e32 v78, v78
	v_mul_f32_e32 v79, 0x3fb8aa3b, v79
	v_sub_f32_e32 v76, v76, v82
	v_exp_f32_e32 v79, v79
	v_mul_f32_e32 v76, 0x3fb8aa3b, v76
	v_sub_f32_e32 v77, v77, v82
	v_cndmask_b32_e64 v80, 0, v80, s[28:29]
	v_exp_f32_e32 v76, v76
	v_mul_f32_e32 v77, 0x3fb8aa3b, v77
	v_sub_f32_e32 v74, v74, v82
	v_add_f32_e32 v83, 0, v80
	v_cndmask_b32_e64 v81, 0, v81, s[30:31]
	v_exp_f32_e32 v77, v77
	v_mul_f32_e32 v74, 0x3fb8aa3b, v74
	v_sub_f32_e32 v75, v75, v82
	v_add_f32_e32 v83, v83, v81
	;; [unrolled: 5-line block ×10, first 2 shown]
	v_cndmask_b32_e64 v70, 0, v70, s[10:11]
	v_exp_f32_e32 v66, v66
	v_mul_f32_e32 v67, 0x3fb8aa3b, v67
	v_add_f32_e32 v83, v83, v70
	v_cndmask_b32_e64 v71, 0, v71, s[12:13]
	v_exp_f32_e32 v67, v67
	v_add_f32_e32 v83, v83, v71
	v_cndmask_b32_e64 v68, 0, v68, s[2:3]
	v_add_f32_e32 v83, v83, v68
	v_cndmask_b32_e64 v69, 0, v69, s[8:9]
	v_add_f32_e32 v83, v83, v69
	v_cndmask_b32_e32 v66, 0, v66, vcc
	v_add_f32_e32 v83, v83, v66
	v_cndmask_b32_e64 v67, 0, v67, s[0:1]
	v_add_f32_e32 v83, v83, v67
	ds_bpermute_b32 v84, v89, v83
	s_load_dword s3, s[4:5], 0x98
	v_cmp_gt_u32_e32 vcc, 16, v88
	s_waitcnt lgkmcnt(0)
	s_barrier
	v_add_f32_e32 v83, v83, v84
	ds_bpermute_b32 v89, v92, v83
	s_waitcnt lgkmcnt(0)
	s_and_saveexec_b64 s[0:1], vcc
	s_cbranch_execz .LBB298_15
; %bb.14:
	v_add_f32_e32 v83, v83, v89
	v_lshlrev_b32_e32 v84, 2, v90
	ds_write2st64_b32 v84, v82, v83 offset1:1
.LBB298_15:
	s_or_b64 exec, exec, s[0:1]
	v_lshlrev_b32_e32 v83, 2, v85
	s_load_dword s2, s[4:5], 0x94
	s_waitcnt lgkmcnt(0)
	s_barrier
	ds_read2_b32 v[88:89], v83 offset1:16
	ds_read2_b32 v[90:91], v83 offset0:32 offset1:48
	ds_read2_b32 v[92:93], v83 offset0:64 offset1:80
	s_movk_i32 s8, 0x7fff
	s_mov_b32 s9, 0x7060302
	s_waitcnt lgkmcnt(2)
	v_max3_f32 v82, v88, s40, v89
	s_waitcnt lgkmcnt(1)
	v_max3_f32 v82, v82, v90, v91
	v_sub_f32_e32 v84, v88, v82
	v_sub_f32_e32 v88, v89, v82
	v_mul_f32_e32 v88, 0x3fb8aa3b, v88
	v_mul_f32_e32 v84, 0x3fb8aa3b, v84
	v_exp_f32_e32 v94, v88
	v_sub_f32_e32 v88, v90, v82
	v_exp_f32_e32 v84, v84
	v_mul_f32_e32 v88, 0x3fb8aa3b, v88
	v_exp_f32_e32 v90, v88
	ds_read2_b32 v[88:89], v83 offset0:96 offset1:112
	v_sub_f32_e32 v83, v91, v82
	v_mul_f32_e32 v83, 0x3fb8aa3b, v83
	v_exp_f32_e32 v91, v83
	s_waitcnt lgkmcnt(1)
	v_fma_f32 v83, v84, v92, 0
	v_fmac_f32_e32 v83, v94, v93
	s_waitcnt lgkmcnt(0)
	v_fmac_f32_e32 v83, v90, v88
	v_fmac_f32_e32 v83, v91, v89
	v_add_f32_e32 v88, 0x358637bd, v83
	v_div_scale_f32 v89, s[0:1], v88, v88, 1.0
	v_rcp_f32_e32 v92, v89
	s_mul_i32 s3, s3, 11
	s_barrier
	v_fma_f32 v93, -v89, v92, 1.0
	v_fmac_f32_e32 v92, v93, v92
	v_div_scale_f32 v93, vcc, 1.0, v88, 1.0
	v_mul_f32_e32 v95, v93, v92
	v_fma_f32 v86, -v89, v95, v93
	v_fmac_f32_e32 v95, v86, v92
	v_fma_f32 v86, -v89, v95, v93
	v_div_fmas_f32 v86, v86, v92, v95
	v_cmp_eq_u32_e32 vcc, 1, v87
	v_cndmask_b32_e32 v84, v84, v94, vcc
	v_cmp_eq_u32_e32 vcc, 2, v87
	v_cndmask_b32_e32 v84, v84, v90, vcc
	v_cmp_eq_u32_e32 vcc, 3, v87
	v_div_fixup_f32 v86, v86, v88, 1.0
	v_cndmask_b32_e32 v84, v84, v91, vcc
	v_mul_f32_e32 v88, v84, v86
	v_pk_mul_f32 v[80:81], v[88:89], v[80:81] op_sel_hi:[0,1]
	v_bfe_u32 v84, v81, 16, 1
	v_bfe_u32 v86, v80, 16, 1
	v_pk_mul_f32 v[78:79], v[88:89], v[78:79] op_sel_hi:[0,1]
	v_add3_u32 v80, v80, v86, s8
	v_add3_u32 v81, v81, v84, s8
	v_perm_b32 v80, v81, v80, s9
	v_bfe_u32 v81, v79, 16, 1
	v_bfe_u32 v84, v78, 16, 1
	v_add3_u32 v78, v78, v84, s8
	v_add3_u32 v79, v79, v81, s8
	v_perm_b32 v81, v79, v78, s9
	v_lshlrev_b32_e32 v78, 3, v1
	v_lshlrev_b32_e32 v79, 5, v85
	;; [unrolled: 1-line block ×3, first 2 shown]
	v_pk_mul_f32 v[76:77], v[88:89], v[76:77] op_sel_hi:[0,1]
	v_or3_b32 v78, v84, v79, v78
	v_bfe_u32 v84, v77, 16, 1
	v_bfe_u32 v86, v76, 16, 1
	v_pk_mul_f32 v[74:75], v[88:89], v[74:75] op_sel_hi:[0,1]
	v_add3_u32 v76, v76, v86, s8
	v_add3_u32 v77, v77, v84, s8
	v_perm_b32 v76, v77, v76, s9
	v_bfe_u32 v77, v75, 16, 1
	v_bfe_u32 v84, v74, 16, 1
	v_add3_u32 v74, v74, v84, s8
	v_add3_u32 v75, v75, v77, s8
	v_pk_mul_f32 v[72:73], v[88:89], v[72:73] op_sel_hi:[0,1]
	v_perm_b32 v77, v75, v74, s9
	v_bfe_u32 v74, v73, 16, 1
	v_bfe_u32 v75, v72, 16, 1
	v_pk_mul_f32 v[70:71], v[88:89], v[70:71] op_sel_hi:[0,1]
	v_add3_u32 v72, v72, v75, s8
	v_add3_u32 v73, v73, v74, s8
	v_perm_b32 v72, v73, v72, s9
	v_bfe_u32 v73, v71, 16, 1
	v_bfe_u32 v74, v70, 16, 1
	v_add3_u32 v70, v70, v74, s8
	v_add3_u32 v71, v71, v73, s8
	v_pk_mul_f32 v[68:69], v[88:89], v[68:69] op_sel_hi:[0,1]
	v_perm_b32 v73, v71, v70, s9
	v_bfe_u32 v70, v69, 16, 1
	v_bfe_u32 v71, v68, 16, 1
	v_pk_mul_f32 v[66:67], v[88:89], v[66:67] op_sel_hi:[0,1]
	v_add3_u32 v68, v68, v71, s8
	v_add3_u32 v69, v69, v70, s8
	v_perm_b32 v68, v69, v68, s9
	v_bfe_u32 v69, v67, 16, 1
	v_bfe_u32 v70, v66, 16, 1
	v_add3_u32 v66, v66, v70, s8
	v_add3_u32 v67, v67, v69, s8
	v_perm_b32 v69, v67, v66, s9
	v_cmp_gt_u32_e32 vcc, 11, v0
	ds_write2st64_b64 v78, v[80:81], v[76:77] offset1:1
	ds_write2st64_b64 v78, v[72:73], v[68:69] offset0:2 offset1:3
	s_and_saveexec_b64 s[0:1], vcc
	s_cbranch_execz .LBB298_17
; %bb.16:
	v_add_co_u32_e32 v68, vcc, s27, v85
	v_addc_co_u32_e64 v69, s[10:11], 0, 0, vcc
	v_mov_b32_e32 v66, s3
	v_mov_b32_e32 v67, 0
	v_mad_u64_u32 v[68:69], s[10:11], s6, v66, v[68:69]
	v_mov_b32_e32 v66, s26
	s_load_dwordx4 s[12:15], s[4:5], 0x58
	s_mul_i32 s7, s7, s3
	v_mad_u64_u32 v[66:67], s[10:11], v68, s2, v[66:67]
	v_add_u32_e32 v69, s7, v69
	v_mov_b32_e32 v68, v67
	v_mad_u64_u32 v[68:69], s[10:11], v69, s2, v[68:69]
	v_mov_b32_e32 v67, v68
	v_lshlrev_b64 v[66:67], 2, v[66:67]
	s_waitcnt lgkmcnt(0)
	v_mov_b32_e32 v69, s15
	v_add_co_u32_e32 v68, vcc, s14, v66
	v_addc_co_u32_e32 v69, vcc, v69, v67, vcc
	global_store_dword v[68:69], v82, off
	v_mov_b32_e32 v68, s13
	v_add_co_u32_e32 v66, vcc, s12, v66
	v_addc_co_u32_e32 v67, vcc, v68, v67, vcc
	global_store_dword v[66:67], v83, off
.LBB298_17:
	s_or_b64 exec, exec, s[0:1]
	v_lshl_or_b32 v79, v1, 9, v79
	s_waitcnt lgkmcnt(0)
	s_barrier
	ds_read_b128 v[70:73], v79
	ds_read_b128 v[66:69], v79 offset:16
	s_waitcnt vmcnt(15) lgkmcnt(1)
	v_mfma_f32_16x16x16bf16_1k v[74:77], v[46:47], v[70:71], 0
	s_mov_b32 s1, 0
	v_cmp_gt_u32_e32 vcc, 64, v0
	v_mfma_f32_16x16x16bf16_1k v[46:49], v[48:49], v[72:73], v[74:77]
	s_waitcnt vmcnt(14) lgkmcnt(0)
	v_mfma_f32_16x16x16bf16_1k v[46:49], v[42:43], v[66:67], v[46:49]
	v_mfma_f32_16x16x16bf16_1k v[42:45], v[44:45], v[68:69], v[46:49]
	s_nop 7
	s_nop 1
	ds_read_b128 v[46:49], v79 offset:2048
	ds_read_b128 v[74:77], v79 offset:2064
	s_waitcnt vmcnt(13) lgkmcnt(1)
	v_mfma_f32_16x16x16bf16_1k v[42:45], v[38:39], v[46:47], v[42:45]
	v_mfma_f32_16x16x16bf16_1k v[38:41], v[40:41], v[48:49], v[42:45]
	s_waitcnt vmcnt(12) lgkmcnt(0)
	v_mfma_f32_16x16x16bf16_1k v[38:41], v[34:35], v[74:75], v[38:41]
	v_mfma_f32_16x16x16bf16_1k v[34:37], v[36:37], v[76:77], v[38:41]
	s_nop 7
	s_nop 1
	ds_read_b128 v[38:41], v79 offset:4096
	ds_read_b128 v[42:45], v79 offset:4112
	s_waitcnt vmcnt(11) lgkmcnt(1)
	v_mfma_f32_16x16x16bf16_1k v[34:37], v[30:31], v[38:39], v[34:37]
	v_mfma_f32_16x16x16bf16_1k v[30:33], v[32:33], v[40:41], v[34:37]
	s_waitcnt vmcnt(10) lgkmcnt(0)
	v_mfma_f32_16x16x16bf16_1k v[30:33], v[26:27], v[42:43], v[30:33]
	v_mfma_f32_16x16x16bf16_1k v[26:29], v[28:29], v[44:45], v[30:33]
	s_nop 7
	s_nop 1
	ds_read_b128 v[30:33], v79 offset:6144
	ds_read_b128 v[34:37], v79 offset:6160
	s_waitcnt lgkmcnt(0)
	s_barrier
	s_waitcnt vmcnt(9)
	v_mfma_f32_16x16x16bf16_1k v[26:29], v[22:23], v[30:31], v[26:29]
	v_mfma_f32_16x16x16bf16_1k v[22:25], v[24:25], v[32:33], v[26:29]
	s_waitcnt vmcnt(8)
	v_mfma_f32_16x16x16bf16_1k v[22:25], v[18:19], v[34:35], v[22:25]
	v_mfma_f32_16x16x16bf16_1k v[18:21], v[20:21], v[36:37], v[22:25]
	;; [unrolled: 3-line block ×4, first 2 shown]
	s_waitcnt vmcnt(5)
	v_mfma_f32_16x16x16bf16_1k v[2:5], v[14:15], v[46:47], v[2:5]
	s_nop 7
	v_bfe_u32 v6, v19, 16, 1
	v_bfe_u32 v7, v18, 16, 1
	v_add3_u32 v7, v18, v7, s8
	v_add3_u32 v6, v19, v6, s8
	v_perm_b32 v6, v6, v7, s9
	v_bfe_u32 v7, v21, 16, 1
	v_bfe_u32 v8, v20, 16, 1
	v_mfma_f32_16x16x16bf16_1k v[2:5], v[16:17], v[48:49], v[2:5]
	v_add3_u32 v8, v20, v8, s8
	v_add3_u32 v7, v21, v7, s8
	v_perm_b32 v7, v7, v8, s9
	s_waitcnt vmcnt(4)
	v_mfma_f32_16x16x16bf16_1k v[2:5], v[10:11], v[74:75], v[2:5]
	v_mfma_f32_16x16x16bf16_1k v[2:5], v[12:13], v[76:77], v[2:5]
	s_waitcnt vmcnt(3)
	v_mfma_f32_16x16x16bf16_1k v[2:5], v[54:55], v[38:39], v[2:5]
	v_mfma_f32_16x16x16bf16_1k v[2:5], v[56:57], v[40:41], v[2:5]
	;; [unrolled: 3-line block ×5, first 2 shown]
	s_nop 7
	s_nop 2
	v_bfe_u32 v8, v3, 16, 1
	v_bfe_u32 v9, v2, 16, 1
	v_add3_u32 v2, v2, v9, s8
	v_add3_u32 v3, v3, v8, s8
	v_perm_b32 v2, v3, v2, s9
	v_bfe_u32 v3, v5, 16, 1
	v_bfe_u32 v8, v4, 16, 1
	v_add3_u32 v4, v4, v8, s8
	v_add3_u32 v3, v5, v3, s8
	v_perm_b32 v3, v3, v4, s9
	ds_write2st64_b64 v78, v[6:7], v[2:3] offset1:1
	s_waitcnt lgkmcnt(0)
	s_barrier
	s_and_saveexec_b64 s[8:9], vcc
	s_cbranch_execz .LBB298_20
; %bb.18:
	v_lshlrev_b32_e32 v4, 6, v85
	v_lshlrev_b32_e32 v3, 4, v0
	v_lshl_or_b32 v0, v0, 10, v4
	v_lshlrev_b32_e32 v2, 5, v1
	v_and_b32_e32 v3, 16, v3
	v_and_b32_e32 v0, 0x1a00, v0
	v_or3_b32 v0, v0, v2, v3
	buffer_load_dword v2, off, s[44:47], 0  ; 4-byte Folded Reload
	s_load_dwordx2 s[4:5], s[4:5], 0x68
	s_lshl_b32 s2, s2, 7
	s_mul_i32 s0, s3, s6
	s_mul_hi_u32 s7, s0, s2
	s_mul_i32 s6, s0, s2
	s_lshl_b64 s[6:7], s[6:7], 1
	s_waitcnt lgkmcnt(0)
	s_add_u32 s3, s4, s6
	s_addc_u32 s4, s5, s7
	s_lshl_b32 s0, s26, 7
	s_lshl_b64 s[0:1], s[0:1], 1
	s_add_u32 s0, s3, s0
	s_addc_u32 s1, s4, s1
	ds_read_b128 v[4:7], v0 offset:128
	ds_read_b128 v[8:11], v0
	v_add_u32_e32 v14, s27, v1
	v_mov_b32_e32 v3, s1
	s_waitcnt vmcnt(0)
	v_add_co_u32_e32 v2, vcc, s0, v2
	v_mad_u64_u32 v[12:13], s[0:1], v14, s2, 0
	v_addc_co_u32_e32 v3, vcc, 0, v3, vcc
	v_lshlrev_b64 v[12:13], 1, v[12:13]
	v_add_co_u32_e32 v12, vcc, v2, v12
	v_addc_co_u32_e32 v13, vcc, v3, v13, vcc
	s_waitcnt lgkmcnt(0)
	global_store_dwordx4 v[12:13], v[8:11], off
	s_nop 0
	v_add_u32_e32 v8, 4, v14
	v_mad_u64_u32 v[8:9], s[0:1], v8, s2, 0
	v_lshlrev_b64 v[8:9], 1, v[8:9]
	v_add_co_u32_e32 v8, vcc, v2, v8
	v_addc_co_u32_e32 v9, vcc, v3, v9, vcc
	v_cmp_ne_u32_e32 vcc, 3, v1
	global_store_dwordx4 v[8:9], v[4:7], off
	s_and_b64 exec, exec, vcc
	s_cbranch_execz .LBB298_20
; %bb.19:
	ds_read_b128 v[4:7], v0 offset:256
	v_add3_u32 v0, s27, v1, 8
	v_mad_u64_u32 v[0:1], s[0:1], v0, s2, 0
	v_lshlrev_b64 v[0:1], 1, v[0:1]
	v_add_co_u32_e32 v0, vcc, v2, v0
	v_addc_co_u32_e32 v1, vcc, v3, v1, vcc
	s_waitcnt lgkmcnt(0)
	global_store_dwordx4 v[0:1], v[4:7], off
.LBB298_20:
	s_endpgm
	.section	.rodata,"a",@progbits
	.p2align	6, 0x0
	.amdhsa_kernel _Z39paged_attention_ll4mi_QKV_mfma16_kernelI14__hip_bfloat16S0_LN4vllm18Fp8KVCacheDataTypeE0ES0_Li16ELi128ELi256ELb1ELi11EL8MFMAType0EEvPKT_PKT0_S9_ifPKiSB_SB_iPKfiiiPfSE_PS4_PT2_iSD_SD_
		.amdhsa_group_segment_fixed_size 8192
		.amdhsa_private_segment_fixed_size 8
		.amdhsa_kernarg_size 400
		.amdhsa_user_sgpr_count 6
		.amdhsa_user_sgpr_private_segment_buffer 1
		.amdhsa_user_sgpr_dispatch_ptr 0
		.amdhsa_user_sgpr_queue_ptr 0
		.amdhsa_user_sgpr_kernarg_segment_ptr 1
		.amdhsa_user_sgpr_dispatch_id 0
		.amdhsa_user_sgpr_flat_scratch_init 0
		.amdhsa_user_sgpr_kernarg_preload_length 0
		.amdhsa_user_sgpr_kernarg_preload_offset 0
		.amdhsa_user_sgpr_private_segment_size 0
		.amdhsa_uses_dynamic_stack 0
		.amdhsa_system_sgpr_private_segment_wavefront_offset 1
		.amdhsa_system_sgpr_workgroup_id_x 1
		.amdhsa_system_sgpr_workgroup_id_y 1
		.amdhsa_system_sgpr_workgroup_id_z 1
		.amdhsa_system_sgpr_workgroup_info 0
		.amdhsa_system_vgpr_workitem_id 0
		.amdhsa_next_free_vgpr 96
		.amdhsa_next_free_sgpr 48
		.amdhsa_accum_offset 96
		.amdhsa_reserve_vcc 1
		.amdhsa_reserve_flat_scratch 0
		.amdhsa_float_round_mode_32 0
		.amdhsa_float_round_mode_16_64 0
		.amdhsa_float_denorm_mode_32 3
		.amdhsa_float_denorm_mode_16_64 3
		.amdhsa_dx10_clamp 1
		.amdhsa_ieee_mode 1
		.amdhsa_fp16_overflow 0
		.amdhsa_tg_split 0
		.amdhsa_exception_fp_ieee_invalid_op 0
		.amdhsa_exception_fp_denorm_src 0
		.amdhsa_exception_fp_ieee_div_zero 0
		.amdhsa_exception_fp_ieee_overflow 0
		.amdhsa_exception_fp_ieee_underflow 0
		.amdhsa_exception_fp_ieee_inexact 0
		.amdhsa_exception_int_div_zero 0
	.end_amdhsa_kernel
	.section	.text._Z39paged_attention_ll4mi_QKV_mfma16_kernelI14__hip_bfloat16S0_LN4vllm18Fp8KVCacheDataTypeE0ES0_Li16ELi128ELi256ELb1ELi11EL8MFMAType0EEvPKT_PKT0_S9_ifPKiSB_SB_iPKfiiiPfSE_PS4_PT2_iSD_SD_,"axG",@progbits,_Z39paged_attention_ll4mi_QKV_mfma16_kernelI14__hip_bfloat16S0_LN4vllm18Fp8KVCacheDataTypeE0ES0_Li16ELi128ELi256ELb1ELi11EL8MFMAType0EEvPKT_PKT0_S9_ifPKiSB_SB_iPKfiiiPfSE_PS4_PT2_iSD_SD_,comdat
.Lfunc_end298:
	.size	_Z39paged_attention_ll4mi_QKV_mfma16_kernelI14__hip_bfloat16S0_LN4vllm18Fp8KVCacheDataTypeE0ES0_Li16ELi128ELi256ELb1ELi11EL8MFMAType0EEvPKT_PKT0_S9_ifPKiSB_SB_iPKfiiiPfSE_PS4_PT2_iSD_SD_, .Lfunc_end298-_Z39paged_attention_ll4mi_QKV_mfma16_kernelI14__hip_bfloat16S0_LN4vllm18Fp8KVCacheDataTypeE0ES0_Li16ELi128ELi256ELb1ELi11EL8MFMAType0EEvPKT_PKT0_S9_ifPKiSB_SB_iPKfiiiPfSE_PS4_PT2_iSD_SD_
                                        ; -- End function
	.section	.AMDGPU.csdata,"",@progbits
; Kernel info:
; codeLenInByte = 5232
; NumSgprs: 52
; NumVgprs: 96
; NumAgprs: 0
; TotalNumVgprs: 96
; ScratchSize: 8
; MemoryBound: 0
; FloatMode: 240
; IeeeMode: 1
; LDSByteSize: 8192 bytes/workgroup (compile time only)
; SGPRBlocks: 6
; VGPRBlocks: 11
; NumSGPRsForWavesPerEU: 52
; NumVGPRsForWavesPerEU: 96
; AccumOffset: 96
; Occupancy: 5
; WaveLimiterHint : 1
; COMPUTE_PGM_RSRC2:SCRATCH_EN: 1
; COMPUTE_PGM_RSRC2:USER_SGPR: 6
; COMPUTE_PGM_RSRC2:TRAP_HANDLER: 0
; COMPUTE_PGM_RSRC2:TGID_X_EN: 1
; COMPUTE_PGM_RSRC2:TGID_Y_EN: 1
; COMPUTE_PGM_RSRC2:TGID_Z_EN: 1
; COMPUTE_PGM_RSRC2:TIDIG_COMP_CNT: 0
; COMPUTE_PGM_RSRC3_GFX90A:ACCUM_OFFSET: 23
; COMPUTE_PGM_RSRC3_GFX90A:TG_SPLIT: 0
	.section	.text._Z39paged_attention_ll4mi_QKV_mfma16_kernelI14__hip_bfloat16S0_LN4vllm18Fp8KVCacheDataTypeE0ES0_Li16ELi128ELi256ELb1ELi12EL8MFMAType0EEvPKT_PKT0_S9_ifPKiSB_SB_iPKfiiiPfSE_PS4_PT2_iSD_SD_,"axG",@progbits,_Z39paged_attention_ll4mi_QKV_mfma16_kernelI14__hip_bfloat16S0_LN4vllm18Fp8KVCacheDataTypeE0ES0_Li16ELi128ELi256ELb1ELi12EL8MFMAType0EEvPKT_PKT0_S9_ifPKiSB_SB_iPKfiiiPfSE_PS4_PT2_iSD_SD_,comdat
	.protected	_Z39paged_attention_ll4mi_QKV_mfma16_kernelI14__hip_bfloat16S0_LN4vllm18Fp8KVCacheDataTypeE0ES0_Li16ELi128ELi256ELb1ELi12EL8MFMAType0EEvPKT_PKT0_S9_ifPKiSB_SB_iPKfiiiPfSE_PS4_PT2_iSD_SD_ ; -- Begin function _Z39paged_attention_ll4mi_QKV_mfma16_kernelI14__hip_bfloat16S0_LN4vllm18Fp8KVCacheDataTypeE0ES0_Li16ELi128ELi256ELb1ELi12EL8MFMAType0EEvPKT_PKT0_S9_ifPKiSB_SB_iPKfiiiPfSE_PS4_PT2_iSD_SD_
	.globl	_Z39paged_attention_ll4mi_QKV_mfma16_kernelI14__hip_bfloat16S0_LN4vllm18Fp8KVCacheDataTypeE0ES0_Li16ELi128ELi256ELb1ELi12EL8MFMAType0EEvPKT_PKT0_S9_ifPKiSB_SB_iPKfiiiPfSE_PS4_PT2_iSD_SD_
	.p2align	8
	.type	_Z39paged_attention_ll4mi_QKV_mfma16_kernelI14__hip_bfloat16S0_LN4vllm18Fp8KVCacheDataTypeE0ES0_Li16ELi128ELi256ELb1ELi12EL8MFMAType0EEvPKT_PKT0_S9_ifPKiSB_SB_iPKfiiiPfSE_PS4_PT2_iSD_SD_,@function
_Z39paged_attention_ll4mi_QKV_mfma16_kernelI14__hip_bfloat16S0_LN4vllm18Fp8KVCacheDataTypeE0ES0_Li16ELi128ELi256ELb1ELi12EL8MFMAType0EEvPKT_PKT0_S9_ifPKiSB_SB_iPKfiiiPfSE_PS4_PT2_iSD_SD_: ; @_Z39paged_attention_ll4mi_QKV_mfma16_kernelI14__hip_bfloat16S0_LN4vllm18Fp8KVCacheDataTypeE0ES0_Li16ELi128ELi256ELb1ELi12EL8MFMAType0EEvPKT_PKT0_S9_ifPKiSB_SB_iPKfiiiPfSE_PS4_PT2_iSD_SD_
; %bb.0:
	s_mov_b64 s[46:47], s[2:3]
	s_mov_b64 s[44:45], s[0:1]
	s_load_dwordx2 s[0:1], s[4:5], 0x30
	s_add_u32 s44, s44, s9
	s_addc_u32 s45, s45, 0
	s_mov_b32 s26, s7
	s_mov_b64 s[10:11], 0
	s_waitcnt lgkmcnt(0)
	s_cmp_lg_u64 s[0:1], 0
	s_cselect_b64 s[2:3], -1, 0
	s_and_b64 vcc, exec, s[2:3]
	s_cbranch_vccz .LBB299_7
; %bb.1:
	s_add_i32 s12, s6, 1
	s_mov_b32 s13, 0
	s_lshl_b64 s[14:15], s[12:13], 2
	s_add_u32 s14, s0, s14
	s_mov_b32 s7, s13
	s_addc_u32 s15, s1, s15
	s_lshl_b64 s[12:13], s[6:7], 2
	s_add_u32 s12, s0, s12
	s_addc_u32 s13, s1, s13
	s_load_dword s9, s[14:15], 0x0
	s_load_dword s16, s[12:13], 0x0
	s_waitcnt lgkmcnt(0)
	s_sub_i32 s9, s9, s16
	s_cmp_eq_u32 s9, 1
	s_cselect_b64 s[12:13], -1, 0
	s_andn2_b64 vcc, exec, s[10:11]
	s_cbranch_vccnz .LBB299_3
.LBB299_2:
	s_mov_b32 s7, 0
	s_mov_b64 s[12:13], -1
.LBB299_3:
	s_andn2_b64 vcc, exec, s[12:13]
	s_cbranch_vccnz .LBB299_19
; %bb.4:
	s_load_dwordx2 s[12:13], s[4:5], 0x28
	s_lshl_b64 s[10:11], s[6:7], 2
	s_waitcnt lgkmcnt(0)
	s_add_u32 s12, s12, s10
	s_addc_u32 s13, s13, s11
	s_load_dword s33, s[12:13], 0x0
	s_lshl_b32 s16, s26, 8
	s_waitcnt lgkmcnt(0)
	s_cmp_ge_i32 s16, s33
	s_cbranch_scc1 .LBB299_19
; %bb.5:
	s_add_i32 s14, s33, 15
	s_load_dwordx2 s[12:13], s[4:5], 0x20
	s_load_dword s9, s[4:5], 0x38
	s_ashr_i32 s15, s14, 31
	v_and_b32_e32 v1, 0xcf, v0
	s_lshr_b32 s15, s15, 28
	v_add_u32_e32 v1, s16, v1
	s_add_i32 s14, s14, s15
	v_ashrrev_i32_e32 v2, 31, v1
	s_ashr_i32 s19, s14, 4
	v_lshrrev_b32_e32 v4, 28, v2
	s_add_i32 s19, s19, -1
	v_add_u32_e32 v2, v1, v4
	s_waitcnt lgkmcnt(0)
	s_mul_i32 s14, s6, s9
	s_mov_b32 s15, 0
	v_ashrrev_i32_e32 v2, 4, v2
	v_mov_b32_e32 v5, s19
	v_cmp_gt_i32_e32 vcc, s33, v1
	s_lshl_b64 s[14:15], s[14:15], 2
	v_cndmask_b32_e32 v2, v5, v2, vcc
	s_add_u32 s17, s12, s14
	v_ashrrev_i32_e32 v3, 31, v2
	s_addc_u32 s18, s13, s15
	v_lshlrev_b64 v[2:3], 2, v[2:3]
	v_mov_b32_e32 v7, s18
	v_add_co_u32_e32 v6, vcc, s17, v2
	v_or_b32_e32 v2, 16, v1
	v_addc_co_u32_e32 v7, vcc, v7, v3, vcc
	v_add_u32_e32 v3, v2, v4
	v_ashrrev_i32_e32 v3, 4, v3
	v_cmp_gt_i32_e32 vcc, s33, v2
	v_cndmask_b32_e32 v2, v5, v3, vcc
	v_ashrrev_i32_e32 v3, 31, v2
	v_lshlrev_b64 v[2:3], 2, v[2:3]
	v_mov_b32_e32 v9, s18
	v_add_co_u32_e32 v8, vcc, s17, v2
	v_or_b32_e32 v2, 32, v1
	v_addc_co_u32_e32 v9, vcc, v9, v3, vcc
	v_add_u32_e32 v3, v2, v4
	v_ashrrev_i32_e32 v3, 4, v3
	v_cmp_gt_i32_e32 vcc, s33, v2
	v_cndmask_b32_e32 v2, v5, v3, vcc
	v_ashrrev_i32_e32 v3, 31, v2
	;; [unrolled: 10-line block ×3, first 2 shown]
	v_lshlrev_b64 v[2:3], 2, v[2:3]
	v_mov_b32_e32 v1, s18
	v_add_co_u32_e32 v12, vcc, s17, v2
	v_addc_co_u32_e32 v13, vcc, v1, v3, vcc
	global_load_dword v5, v[6:7], off
	global_load_dword v4, v[8:9], off
	;; [unrolled: 1-line block ×4, first 2 shown]
	s_load_dwordx2 s[12:13], s[4:5], 0x8
	s_andn2_b64 vcc, exec, s[2:3]
	s_cbranch_vccnz .LBB299_8
; %bb.6:
	s_add_u32 s0, s0, s10
	s_addc_u32 s1, s1, s11
	s_load_dword s9, s[0:1], 0x0
	s_branch .LBB299_9
.LBB299_7:
	s_mov_b64 s[12:13], 0
	s_branch .LBB299_2
.LBB299_8:
	s_mov_b32 s9, s6
.LBB299_9:
	s_load_dwordx2 s[10:11], s[4:5], 0x10
	s_load_dwordx4 s[0:3], s[4:5], 0x48
	v_and_b32_e32 v85, 15, v0
	v_lshlrev_b32_e32 v6, 3, v85
	s_waitcnt lgkmcnt(0)
	s_movk_i32 s3, 0xc0
	v_lshrrev_b32_e32 v87, 6, v0
	v_bfe_u32 v1, v0, 4, 2
	s_mul_i32 s27, s8, 12
	v_cmp_gt_u32_e32 vcc, s3, v0
	v_lshlrev_b32_e32 v6, 1, v6
	buffer_store_dword v6, off, s[44:47], 0 ; 4-byte Folded Spill
	s_and_saveexec_b64 s[14:15], vcc
	s_cbranch_execz .LBB299_11
; %bb.10:
	s_load_dwordx2 s[20:21], s[4:5], 0x0
	s_ashr_i32 s3, s0, 31
	s_mul_hi_u32 s22, s9, s0
	s_mul_i32 s3, s9, s3
	v_lshl_or_b32 v10, v87, 2, v1
	s_add_i32 s23, s22, s3
	s_mul_i32 s22, s9, s0
	s_lshl_b64 s[22:23], s[22:23], 1
	v_add_lshl_u32 v6, v10, s27, 7
	s_waitcnt lgkmcnt(0)
	s_add_u32 s0, s20, s22
	v_ashrrev_i32_e32 v7, 31, v6
	s_addc_u32 s3, s21, s23
	v_lshlrev_b64 v[6:7], 1, v[6:7]
	v_mov_b32_e32 v8, s3
	v_add_co_u32_e32 v6, vcc, s0, v6
	v_addc_co_u32_e32 v7, vcc, v8, v7, vcc
	buffer_load_dword v8, off, s[44:47], 0  ; 4-byte Folded Reload
	v_and_b32_e32 v11, 3, v0
	v_lshlrev_b32_e32 v12, 9, v85
	v_lshlrev_b32_e32 v10, 5, v10
	v_lshlrev_b32_e32 v11, 9, v11
	v_and_b32_e32 v12, 0x1800, v12
	v_or3_b32 v10, v12, v11, v10
	s_waitcnt vmcnt(0)
	v_add_co_u32_e32 v6, vcc, v6, v8
	v_addc_co_u32_e32 v7, vcc, 0, v7, vcc
	global_load_dwordx4 v[6:9], v[6:7], off
	s_waitcnt vmcnt(0)
	ds_write_b128 v10, v[6:9]
.LBB299_11:
	s_or_b64 exec, exec, s[14:15]
	s_mul_i32 s2, s8, s2
	s_mov_b32 s3, 0
	s_lshl_b64 s[2:3], s[2:3], 1
	s_add_u32 s0, s12, s2
	v_lshlrev_b32_e32 v10, 4, v0
	s_addc_u32 s8, s13, s3
	v_and_b32_e32 v6, 0xf0, v10
	v_mov_b32_e32 v7, s8
	v_add_co_u32_e32 v8, vcc, s0, v6
	v_addc_co_u32_e32 v9, vcc, 0, v7, vcc
	s_waitcnt vmcnt(4)
	v_mad_i64_i32 v[6:7], s[8:9], v5, s1, 0
	v_lshlrev_b64 v[6:7], 1, v[6:7]
	v_add_co_u32_e32 v5, vcc, v8, v6
	v_addc_co_u32_e32 v7, vcc, v9, v7, vcc
	v_and_b32_e32 v10, 0x300, v10
	v_add_co_u32_e32 v6, vcc, v5, v10
	s_waitcnt vmcnt(3)
	v_mad_i64_i32 v[4:5], s[8:9], v4, s1, 0
	v_addc_co_u32_e32 v7, vcc, 0, v7, vcc
	v_lshlrev_b64 v[4:5], 1, v[4:5]
	v_add_co_u32_e32 v4, vcc, v8, v4
	v_addc_co_u32_e32 v5, vcc, v9, v5, vcc
	v_add_co_u32_e32 v4, vcc, v4, v10
	v_addc_co_u32_e32 v5, vcc, 0, v5, vcc
	s_waitcnt lgkmcnt(0)
	s_barrier
	global_load_dwordx4 v[74:77], v[6:7], off
	global_load_dwordx4 v[66:69], v[6:7], off offset:1024
	global_load_dwordx4 v[58:61], v[6:7], off offset:2048
	;; [unrolled: 1-line block ×3, first 2 shown]
	global_load_dwordx4 v[78:81], v[4:5], off
	global_load_dwordx4 v[70:73], v[4:5], off offset:1024
	global_load_dwordx4 v[62:65], v[4:5], off offset:2048
	;; [unrolled: 1-line block ×3, first 2 shown]
	s_waitcnt vmcnt(10)
	v_mad_i64_i32 v[4:5], s[8:9], v3, s1, 0
	v_lshlrev_b64 v[4:5], 1, v[4:5]
	v_add_co_u32_e32 v3, vcc, v8, v4
	v_addc_co_u32_e32 v5, vcc, v9, v5, vcc
	v_add_co_u32_e32 v4, vcc, v3, v10
	s_waitcnt vmcnt(9)
	v_mad_i64_i32 v[2:3], s[8:9], v2, s1, 0
	v_addc_co_u32_e32 v5, vcc, 0, v5, vcc
	v_lshlrev_b64 v[2:3], 1, v[2:3]
	v_add_co_u32_e32 v2, vcc, v8, v2
	v_addc_co_u32_e32 v3, vcc, v9, v3, vcc
	v_add_co_u32_e32 v6, vcc, v2, v10
	v_addc_co_u32_e32 v7, vcc, 0, v3, vcc
	global_load_dwordx4 v[38:41], v[4:5], off
	global_load_dwordx4 v[34:37], v[4:5], off offset:1024
	global_load_dwordx4 v[30:33], v[4:5], off offset:2048
	;; [unrolled: 1-line block ×3, first 2 shown]
	global_load_dwordx4 v[18:21], v[6:7], off
	global_load_dwordx4 v[10:13], v[6:7], off offset:1024
	s_nop 0
	global_load_dwordx4 v[2:5], v[6:7], off offset:2048
	global_load_dwordx4 v[50:53], v[6:7], off offset:3072
	v_add_u32_e32 v6, -12, v85
	v_cmp_gt_u32_e32 vcc, 12, v85
	v_cndmask_b32_e32 v6, v6, v85, vcc
	v_lshlrev_b32_e32 v6, 5, v6
	v_lshl_add_u32 v54, v1, 9, v6
	ds_read_b128 v[26:29], v54
	ds_read_b128 v[14:17], v54 offset:2048
	ds_read_b128 v[6:9], v54 offset:4096
	;; [unrolled: 1-line block ×3, first 2 shown]
	v_and_b32_e32 v88, 63, v0
	v_mov_b32_e32 v89, 0
	s_and_saveexec_b64 s[8:9], vcc
	s_cbranch_execz .LBB299_13
; %bb.12:
	s_load_dwordx2 s[12:13], s[4:5], 0x40
	v_add_u32_e32 v82, s27, v85
	v_ashrrev_i32_e32 v83, 31, v82
	v_lshlrev_b64 v[82:83], 2, v[82:83]
	s_waitcnt lgkmcnt(0)
	v_mov_b32_e32 v89, s13
	v_add_co_u32_e32 v82, vcc, s12, v82
	v_addc_co_u32_e32 v83, vcc, v89, v83, vcc
	global_load_dword v89, v[82:83], off
.LBB299_13:
	s_or_b64 exec, exec, s[8:9]
	s_waitcnt vmcnt(15) lgkmcnt(3)
	v_mfma_f32_16x16x16bf16_1k v[90:93], v[74:75], v[26:27], 0
	s_add_u32 s8, s10, s2
	s_addc_u32 s9, s11, s3
	s_load_dword s0, s[4:5], 0x1c
	s_mov_b32 s40, 0xff7fffff
	v_mfma_f32_16x16x16bf16_1k v[74:77], v[76:77], v[28:29], v[90:93]
	s_waitcnt vmcnt(14) lgkmcnt(0)
	v_mfma_f32_16x16x16bf16_1k v[74:77], v[66:67], v[14:15], v[74:77]
	s_nop 4
	v_lshl_or_b32 v90, v87, 4, v85
	v_mfma_f32_16x16x16bf16_1k v[66:69], v[68:69], v[16:17], v[74:77]
	s_waitcnt vmcnt(13)
	v_mfma_f32_16x16x16bf16_1k v[66:69], v[58:59], v[6:7], v[66:69]
	s_nop 4
	v_lshlrev_b32_e32 v76, 5, v90
	v_mfma_f32_16x16x16bf16_1k v[58:61], v[60:61], v[8:9], v[66:69]
	s_waitcnt vmcnt(12)
	v_mfma_f32_16x16x16bf16_1k v[58:61], v[42:43], v[54:55], v[58:61]
	s_nop 4
	v_mov_b32_e32 v66, s18
	v_mfma_f32_16x16x16bf16_1k v[58:61], v[44:45], v[56:57], v[58:61]
	s_waitcnt vmcnt(11)
	v_mfma_f32_16x16x16bf16_1k v[42:45], v[78:79], v[26:27], 0
	s_nop 7
	s_nop 0
	v_pk_mul_f32 v[58:59], s[0:1], v[58:59] op_sel_hi:[0,1]
	v_mfma_f32_16x16x16bf16_1k v[42:45], v[80:81], v[28:29], v[42:45]
	s_waitcnt vmcnt(10)
	v_mfma_f32_16x16x16bf16_1k v[42:45], v[70:71], v[14:15], v[42:45]
	v_mfma_f32_16x16x16bf16_1k v[42:45], v[72:73], v[16:17], v[42:45]
	s_waitcnt vmcnt(9)
	v_mfma_f32_16x16x16bf16_1k v[42:45], v[62:63], v[6:7], v[42:45]
	v_mfma_f32_16x16x16bf16_1k v[42:45], v[64:65], v[8:9], v[42:45]
	s_waitcnt vmcnt(8)
	v_mfma_f32_16x16x16bf16_1k v[42:45], v[46:47], v[54:55], v[42:45]
	v_mfma_f32_16x16x16bf16_1k v[62:65], v[48:49], v[56:57], v[42:45]
	v_and_or_b32 v48, v0, 48, s16
	v_mov_b32_e32 v49, s19
	v_cmp_gt_i32_e32 vcc, s33, v48
	s_waitcnt vmcnt(7)
	v_mfma_f32_16x16x16bf16_1k v[42:45], v[38:39], v[26:27], 0
	v_ashrrev_i32_e32 v38, 4, v48
	v_cndmask_b32_e32 v38, v49, v38, vcc
	v_ashrrev_i32_e32 v39, 31, v38
	v_lshlrev_b64 v[46:47], 2, v[38:39]
	v_mfma_f32_16x16x16bf16_1k v[38:41], v[40:41], v[28:29], v[42:45]
	s_nop 6
	v_add_co_u32_e32 v42, vcc, s17, v46
	v_addc_co_u32_e32 v43, vcc, v66, v47, vcc
	global_load_dword v44, v[42:43], off
	v_or_b32_e32 v42, 64, v48
	v_ashrrev_i32_e32 v43, 4, v42
	v_cmp_gt_i32_e32 vcc, s33, v42
	v_cndmask_b32_e32 v42, v49, v43, vcc
	s_waitcnt vmcnt(7)
	v_mfma_f32_16x16x16bf16_1k v[38:41], v[34:35], v[14:15], v[38:41]
	v_ashrrev_i32_e32 v43, 31, v42
	v_lshlrev_b64 v[34:35], 2, v[42:43]
	v_mov_b32_e32 v42, s18
	v_add_co_u32_e32 v34, vcc, s17, v34
	v_addc_co_u32_e32 v35, vcc, v42, v35, vcc
	global_load_dword v72, v[34:35], off
	v_mfma_f32_16x16x16bf16_1k v[34:37], v[36:37], v[16:17], v[38:41]
	s_nop 6
	v_or_b32_e32 v38, 0x80, v48
	v_ashrrev_i32_e32 v39, 4, v38
	v_cmp_gt_i32_e32 vcc, s33, v38
	v_cndmask_b32_e32 v38, v49, v39, vcc
	v_ashrrev_i32_e32 v39, 31, v38
	v_lshlrev_b64 v[38:39], 2, v[38:39]
	v_mov_b32_e32 v40, s18
	s_waitcnt vmcnt(7)
	v_mfma_f32_16x16x16bf16_1k v[34:37], v[30:31], v[6:7], v[34:37]
	v_add_co_u32_e32 v30, vcc, s17, v38
	v_addc_co_u32_e32 v31, vcc, v40, v39, vcc
	global_load_dword v74, v[30:31], off
	v_or_b32_e32 v30, 0xc0, v48
	v_ashrrev_i32_e32 v31, 4, v30
	v_cmp_gt_i32_e32 vcc, s33, v30
	v_cndmask_b32_e32 v38, v49, v31, vcc
	v_ashrrev_i32_e32 v39, 31, v38
	v_mfma_f32_16x16x16bf16_1k v[30:33], v[32:33], v[8:9], v[34:37]
	s_nop 6
	v_lshlrev_b64 v[34:35], 2, v[38:39]
	v_mov_b32_e32 v36, s18
	v_add_co_u32_e32 v34, vcc, s17, v34
	v_addc_co_u32_e32 v35, vcc, v36, v35, vcc
	global_load_dword v75, v[34:35], off
	s_waitcnt vmcnt(8)
	v_mfma_f32_16x16x16bf16_1k v[30:33], v[22:23], v[54:55], v[30:33]
	v_mov_b32_e32 v22, s9
	v_add_co_u32_e32 v77, vcc, s8, v76
	v_addc_co_u32_e32 v78, vcc, 0, v22, vcc
	s_waitcnt vmcnt(3)
	v_mad_i64_i32 v[22:23], s[2:3], v44, s1, 0
	v_mfma_f32_16x16x16bf16_1k v[66:69], v[24:25], v[56:57], v[30:33]
	v_lshlrev_b64 v[70:71], 1, v[22:23]
	v_mfma_f32_16x16x16bf16_1k v[22:25], v[18:19], v[26:27], 0
	v_add_co_u32_e32 v18, vcc, v77, v70
	v_addc_co_u32_e32 v19, vcc, v78, v71, vcc
	global_load_dwordx4 v[46:49], v[18:19], off
	global_load_dwordx4 v[42:45], v[18:19], off offset:16
	s_waitcnt vmcnt(4)
	v_mad_i64_i32 v[18:19], s[2:3], v72, s1, 0
	v_lshlrev_b64 v[72:73], 1, v[18:19]
	v_mfma_f32_16x16x16bf16_1k v[18:21], v[20:21], v[28:29], v[22:25]
	v_mfma_f32_16x16x16bf16_1k v[18:21], v[10:11], v[14:15], v[18:21]
	s_nop 5
	v_add_co_u32_e32 v22, vcc, v77, v72
	v_addc_co_u32_e32 v23, vcc, v78, v73, vcc
	global_load_dwordx4 v[38:41], v[22:23], off
	global_load_dwordx4 v[34:37], v[22:23], off offset:16
	s_waitcnt vmcnt(5)
	v_mad_i64_i32 v[22:23], s[2:3], v74, s1, 0
	v_lshlrev_b64 v[82:83], 1, v[22:23]
	v_add_co_u32_e32 v10, vcc, v77, v82
	v_addc_co_u32_e32 v11, vcc, v78, v83, vcc
	global_load_dwordx4 v[30:33], v[10:11], off
	global_load_dwordx4 v[26:29], v[10:11], off offset:16
	v_mfma_f32_16x16x16bf16_1k v[10:13], v[12:13], v[16:17], v[18:21]
	s_waitcnt vmcnt(6)
	v_mad_i64_i32 v[14:15], s[2:3], v75, s1, 0
	v_mfma_f32_16x16x16bf16_1k v[10:13], v[2:3], v[6:7], v[10:13]
	v_lshlrev_b64 v[80:81], 1, v[14:15]
	v_add_co_u32_e32 v14, vcc, v77, v80
	v_addc_co_u32_e32 v15, vcc, v78, v81, vcc
	v_or_b32_e32 v2, 0x800, v76
	v_mov_b32_e32 v3, s9
	v_mfma_f32_16x16x16bf16_1k v[10:13], v[4:5], v[8:9], v[10:13]
	v_add_co_u32_e32 v91, vcc, s8, v2
	v_addc_co_u32_e32 v84, vcc, 0, v3, vcc
	v_add_co_u32_e32 v2, vcc, v91, v70
	v_addc_co_u32_e32 v3, vcc, v84, v71, vcc
	v_mfma_f32_16x16x16bf16_1k v[92:95], v[50:51], v[54:55], v[10:13]
	v_add_co_u32_e32 v70, vcc, v91, v72
	v_addc_co_u32_e32 v71, vcc, v84, v73, vcc
	global_load_dwordx4 v[22:25], v[14:15], off
	global_load_dwordx4 v[18:21], v[14:15], off offset:16
	global_load_dwordx4 v[6:9], v[2:3], off
	s_nop 0
	global_load_dwordx4 v[2:5], v[2:3], off offset:16
	s_nop 0
	global_load_dwordx4 v[14:17], v[70:71], off
	global_load_dwordx4 v[10:13], v[70:71], off offset:16
	v_mfma_f32_16x16x16bf16_1k v[50:53], v[52:53], v[56:57], v[92:95]
	v_pk_mul_f32 v[70:71], s[0:1], v[68:69] op_sel_hi:[0,1]
	v_pk_mul_f32 v[72:73], s[0:1], v[66:67] op_sel_hi:[0,1]
	;; [unrolled: 1-line block ×5, first 2 shown]
	s_nop 5
	v_pk_mul_f32 v[68:69], s[0:1], v[50:51] op_sel_hi:[0,1]
	v_and_b32_e32 v50, 0xc0, v0
	v_add_u32_e32 v50, s16, v50
	v_lshl_or_b32 v50, v1, 2, v50
	v_or_b32_e32 v51, 1, v50
	v_pk_mul_f32 v[66:67], s[0:1], v[52:53] op_sel_hi:[0,1]
	v_subrev_u32_e32 v52, s33, v51
	v_add_u32_e32 v54, 1, v52
	v_add_u32_e32 v55, 2, v52
	v_cvt_f32_i32_e32 v53, v52
	v_cvt_f32_i32_e32 v54, v54
	;; [unrolled: 1-line block ×3, first 2 shown]
	v_add_u32_e32 v56, 3, v52
	v_fma_f32 v58, v89, v53, v58
	v_fmac_f32_e32 v59, v89, v54
	v_fma_f32 v78, v89, v55, v78
	v_add_u32_e32 v53, 16, v52
	v_add_u32_e32 v54, 17, v52
	;; [unrolled: 1-line block ×3, first 2 shown]
	v_cvt_f32_i32_e32 v56, v56
	v_cvt_f32_i32_e32 v53, v53
	;; [unrolled: 1-line block ×4, first 2 shown]
	v_fmac_f32_e32 v79, v89, v56
	v_add_u32_e32 v56, 19, v52
	v_fma_f32 v76, v89, v53, v76
	v_fmac_f32_e32 v77, v89, v54
	v_fma_f32 v74, v89, v55, v74
	v_add_u32_e32 v53, 32, v52
	v_add_u32_e32 v54, 33, v52
	;; [unrolled: 1-line block ×3, first 2 shown]
	v_cvt_f32_i32_e32 v56, v56
	v_cvt_f32_i32_e32 v53, v53
	;; [unrolled: 1-line block ×4, first 2 shown]
	v_fmac_f32_e32 v75, v89, v56
	v_add_u32_e32 v56, 35, v52
	v_fma_f32 v72, v89, v53, v72
	v_fmac_f32_e32 v73, v89, v54
	v_fma_f32 v70, v89, v55, v70
	v_add_u32_e32 v53, 48, v52
	v_add_u32_e32 v54, 49, v52
	;; [unrolled: 1-line block ×4, first 2 shown]
	v_cvt_f32_i32_e32 v52, v52
	v_cvt_f32_i32_e32 v53, v53
	v_cvt_f32_i32_e32 v54, v54
	v_cmp_gt_i32_e64 s[28:29], s33, v50
	v_fmac_f32_e32 v67, v89, v52
	v_mov_b32_e32 v52, 0xff7fffff
	v_cmp_gt_i32_e64 s[30:31], s33, v51
	v_fma_f32 v68, v89, v53, v68
	v_cndmask_b32_e64 v53, v52, v58, s[28:29]
	v_cndmask_b32_e64 v51, v52, v59, s[30:31]
	v_fmac_f32_e32 v69, v89, v54
	v_max3_f32 v51, v53, s40, v51
	v_or_b32_e32 v53, 2, v50
	v_or_b32_e32 v54, 3, v50
	v_cmp_gt_i32_e64 s[34:35], s33, v53
	v_cmp_gt_i32_e64 s[36:37], s33, v54
	v_cndmask_b32_e64 v53, v52, v78, s[34:35]
	v_cndmask_b32_e64 v54, v52, v79, s[36:37]
	v_max3_f32 v51, v51, v53, v54
	v_or_b32_e32 v53, 16, v50
	v_or_b32_e32 v54, 17, v50
	v_cmp_gt_i32_e64 s[22:23], s33, v53
	v_cmp_gt_i32_e64 s[24:25], s33, v54
	v_cndmask_b32_e64 v53, v52, v76, s[22:23]
	v_cndmask_b32_e64 v54, v52, v77, s[24:25]
	;; [unrolled: 7-line block ×3, first 2 shown]
	v_cvt_f32_i32_e32 v56, v56
	v_max3_f32 v51, v51, v53, v54
	v_or_b32_e32 v53, 32, v50
	v_or_b32_e32 v54, 33, v50
	v_cmp_gt_i32_e64 s[14:15], s33, v53
	v_cmp_gt_i32_e64 s[16:17], s33, v54
	v_cndmask_b32_e64 v53, v52, v72, s[14:15]
	v_cndmask_b32_e64 v54, v52, v73, s[16:17]
	v_max3_f32 v51, v51, v53, v54
	v_or_b32_e32 v53, 34, v50
	v_or_b32_e32 v54, 35, v50
	v_fmac_f32_e32 v71, v89, v56
	v_cmp_gt_i32_e64 s[10:11], s33, v53
	v_cmp_gt_i32_e64 s[12:13], s33, v54
	v_cndmask_b32_e64 v53, v52, v70, s[10:11]
	v_cndmask_b32_e64 v54, v52, v71, s[12:13]
	v_cvt_f32_i32_e32 v55, v55
	v_max3_f32 v51, v51, v53, v54
	v_or_b32_e32 v53, 48, v50
	v_or_b32_e32 v54, 49, v50
	v_cmp_gt_i32_e64 s[2:3], s33, v53
	v_cmp_gt_i32_e64 s[8:9], s33, v54
	v_cndmask_b32_e64 v53, v52, v68, s[2:3]
	v_cndmask_b32_e64 v54, v52, v69, s[8:9]
	v_max3_f32 v51, v51, v53, v54
	v_or_b32_e32 v53, 50, v50
	v_or_b32_e32 v50, 51, v50
	v_fma_f32 v66, v89, v55, v66
	v_cmp_gt_i32_e32 vcc, s33, v53
	v_cmp_gt_i32_e64 s[0:1], s33, v50
	v_cndmask_b32_e32 v53, v52, v66, vcc
	v_cndmask_b32_e64 v50, v52, v67, s[0:1]
	v_max3_f32 v60, v51, v53, v50
	v_mbcnt_lo_u32_b32 v50, -1, 0
	v_mbcnt_hi_u32_b32 v61, -1, v50
	v_and_b32_e32 v50, 64, v61
	v_add_u32_e32 v62, 64, v50
	v_xor_b32_e32 v50, 32, v61
	v_cmp_lt_i32_e64 s[38:39], v50, v62
	v_cndmask_b32_e64 v50, v61, v50, s[38:39]
	v_lshlrev_b32_e32 v89, 2, v50
	ds_bpermute_b32 v63, v89, v60
	v_add_co_u32_e64 v50, s[38:39], v91, v82
	v_addc_co_u32_e64 v51, s[38:39], v84, v83, s[38:39]
	s_waitcnt lgkmcnt(0)
	v_max_f32_e32 v63, v63, v63
	v_max_f32_e32 v63, v60, v63
	v_xor_b32_e32 v60, 16, v61
	v_cmp_lt_i32_e64 s[38:39], v60, v62
	v_cndmask_b32_e64 v60, v61, v60, s[38:39]
	v_lshlrev_b32_e32 v92, 2, v60
	ds_bpermute_b32 v62, v92, v63
	v_add_co_u32_e64 v60, s[38:39], v91, v80
	v_addc_co_u32_e64 v61, s[38:39], v84, v81, s[38:39]
	s_waitcnt lgkmcnt(0)
	v_max_f32_e32 v62, v62, v62
	v_max_f32_e32 v82, v63, v62
	v_sub_f32_e32 v58, v58, v82
	v_mul_f32_e32 v58, 0x3fb8aa3b, v58
	v_exp_f32_e32 v80, v58
	v_sub_f32_e32 v58, v59, v82
	v_mul_f32_e32 v58, 0x3fb8aa3b, v58
	global_load_dwordx4 v[54:57], v[50:51], off
	s_nop 0
	global_load_dwordx4 v[50:53], v[50:51], off offset:16
	v_exp_f32_e32 v81, v58
	global_load_dwordx4 v[62:65], v[60:61], off
	s_nop 0
	global_load_dwordx4 v[58:61], v[60:61], off offset:16
	v_sub_f32_e32 v78, v78, v82
	v_mul_f32_e32 v78, 0x3fb8aa3b, v78
	v_sub_f32_e32 v79, v79, v82
	v_exp_f32_e32 v78, v78
	v_mul_f32_e32 v79, 0x3fb8aa3b, v79
	v_sub_f32_e32 v76, v76, v82
	v_exp_f32_e32 v79, v79
	v_mul_f32_e32 v76, 0x3fb8aa3b, v76
	v_sub_f32_e32 v77, v77, v82
	v_cndmask_b32_e64 v80, 0, v80, s[28:29]
	v_exp_f32_e32 v76, v76
	v_mul_f32_e32 v77, 0x3fb8aa3b, v77
	v_sub_f32_e32 v74, v74, v82
	v_add_f32_e32 v83, 0, v80
	v_cndmask_b32_e64 v81, 0, v81, s[30:31]
	v_exp_f32_e32 v77, v77
	v_mul_f32_e32 v74, 0x3fb8aa3b, v74
	v_sub_f32_e32 v75, v75, v82
	v_add_f32_e32 v83, v83, v81
	v_cndmask_b32_e64 v78, 0, v78, s[34:35]
	v_exp_f32_e32 v74, v74
	v_mul_f32_e32 v75, 0x3fb8aa3b, v75
	v_sub_f32_e32 v72, v72, v82
	v_add_f32_e32 v83, v83, v78
	v_cndmask_b32_e64 v79, 0, v79, s[36:37]
	v_exp_f32_e32 v75, v75
	v_mul_f32_e32 v72, 0x3fb8aa3b, v72
	v_sub_f32_e32 v73, v73, v82
	v_add_f32_e32 v83, v83, v79
	v_cndmask_b32_e64 v76, 0, v76, s[22:23]
	v_exp_f32_e32 v72, v72
	v_mul_f32_e32 v73, 0x3fb8aa3b, v73
	v_sub_f32_e32 v70, v70, v82
	v_add_f32_e32 v83, v83, v76
	v_cndmask_b32_e64 v77, 0, v77, s[24:25]
	v_exp_f32_e32 v73, v73
	v_mul_f32_e32 v70, 0x3fb8aa3b, v70
	v_sub_f32_e32 v71, v71, v82
	v_add_f32_e32 v83, v83, v77
	v_cndmask_b32_e64 v74, 0, v74, s[18:19]
	v_exp_f32_e32 v70, v70
	v_mul_f32_e32 v71, 0x3fb8aa3b, v71
	v_sub_f32_e32 v68, v68, v82
	v_add_f32_e32 v83, v83, v74
	v_cndmask_b32_e64 v75, 0, v75, s[20:21]
	v_exp_f32_e32 v71, v71
	v_mul_f32_e32 v68, 0x3fb8aa3b, v68
	v_sub_f32_e32 v69, v69, v82
	v_add_f32_e32 v83, v83, v75
	v_cndmask_b32_e64 v72, 0, v72, s[14:15]
	v_exp_f32_e32 v68, v68
	v_mul_f32_e32 v69, 0x3fb8aa3b, v69
	v_sub_f32_e32 v66, v66, v82
	v_add_f32_e32 v83, v83, v72
	v_cndmask_b32_e64 v73, 0, v73, s[16:17]
	v_exp_f32_e32 v69, v69
	v_mul_f32_e32 v66, 0x3fb8aa3b, v66
	v_sub_f32_e32 v67, v67, v82
	v_add_f32_e32 v83, v83, v73
	v_cndmask_b32_e64 v70, 0, v70, s[10:11]
	v_exp_f32_e32 v66, v66
	v_mul_f32_e32 v67, 0x3fb8aa3b, v67
	v_add_f32_e32 v83, v83, v70
	v_cndmask_b32_e64 v71, 0, v71, s[12:13]
	v_exp_f32_e32 v67, v67
	v_add_f32_e32 v83, v83, v71
	v_cndmask_b32_e64 v68, 0, v68, s[2:3]
	v_add_f32_e32 v83, v83, v68
	v_cndmask_b32_e64 v69, 0, v69, s[8:9]
	v_add_f32_e32 v83, v83, v69
	v_cndmask_b32_e32 v66, 0, v66, vcc
	v_add_f32_e32 v83, v83, v66
	v_cndmask_b32_e64 v67, 0, v67, s[0:1]
	v_add_f32_e32 v83, v83, v67
	ds_bpermute_b32 v84, v89, v83
	s_load_dword s3, s[4:5], 0x98
	v_cmp_gt_u32_e32 vcc, 16, v88
	s_waitcnt lgkmcnt(0)
	s_barrier
	v_add_f32_e32 v83, v83, v84
	ds_bpermute_b32 v89, v92, v83
	s_waitcnt lgkmcnt(0)
	s_and_saveexec_b64 s[0:1], vcc
	s_cbranch_execz .LBB299_15
; %bb.14:
	v_add_f32_e32 v83, v83, v89
	v_lshlrev_b32_e32 v84, 2, v90
	ds_write2st64_b32 v84, v82, v83 offset1:1
.LBB299_15:
	s_or_b64 exec, exec, s[0:1]
	v_lshlrev_b32_e32 v83, 2, v85
	s_load_dword s2, s[4:5], 0x94
	s_waitcnt lgkmcnt(0)
	s_barrier
	ds_read2_b32 v[88:89], v83 offset1:16
	ds_read2_b32 v[90:91], v83 offset0:32 offset1:48
	ds_read2_b32 v[92:93], v83 offset0:64 offset1:80
	s_movk_i32 s8, 0x7fff
	s_mov_b32 s9, 0x7060302
	s_waitcnt lgkmcnt(2)
	v_max3_f32 v82, v88, s40, v89
	s_waitcnt lgkmcnt(1)
	v_max3_f32 v82, v82, v90, v91
	v_sub_f32_e32 v84, v88, v82
	v_sub_f32_e32 v88, v89, v82
	v_mul_f32_e32 v88, 0x3fb8aa3b, v88
	v_mul_f32_e32 v84, 0x3fb8aa3b, v84
	v_exp_f32_e32 v94, v88
	v_sub_f32_e32 v88, v90, v82
	v_exp_f32_e32 v84, v84
	v_mul_f32_e32 v88, 0x3fb8aa3b, v88
	v_exp_f32_e32 v90, v88
	ds_read2_b32 v[88:89], v83 offset0:96 offset1:112
	v_sub_f32_e32 v83, v91, v82
	v_mul_f32_e32 v83, 0x3fb8aa3b, v83
	v_exp_f32_e32 v91, v83
	s_waitcnt lgkmcnt(1)
	v_fma_f32 v83, v84, v92, 0
	v_fmac_f32_e32 v83, v94, v93
	s_waitcnt lgkmcnt(0)
	v_fmac_f32_e32 v83, v90, v88
	v_fmac_f32_e32 v83, v91, v89
	v_add_f32_e32 v88, 0x358637bd, v83
	v_div_scale_f32 v89, s[0:1], v88, v88, 1.0
	v_rcp_f32_e32 v92, v89
	s_mul_i32 s3, s3, 12
	s_barrier
	v_fma_f32 v93, -v89, v92, 1.0
	v_fmac_f32_e32 v92, v93, v92
	v_div_scale_f32 v93, vcc, 1.0, v88, 1.0
	v_mul_f32_e32 v95, v93, v92
	v_fma_f32 v86, -v89, v95, v93
	v_fmac_f32_e32 v95, v86, v92
	v_fma_f32 v86, -v89, v95, v93
	v_div_fmas_f32 v86, v86, v92, v95
	v_cmp_eq_u32_e32 vcc, 1, v87
	v_cndmask_b32_e32 v84, v84, v94, vcc
	v_cmp_eq_u32_e32 vcc, 2, v87
	v_cndmask_b32_e32 v84, v84, v90, vcc
	v_cmp_eq_u32_e32 vcc, 3, v87
	v_div_fixup_f32 v86, v86, v88, 1.0
	v_cndmask_b32_e32 v84, v84, v91, vcc
	v_mul_f32_e32 v88, v84, v86
	v_pk_mul_f32 v[80:81], v[88:89], v[80:81] op_sel_hi:[0,1]
	v_bfe_u32 v84, v81, 16, 1
	v_bfe_u32 v86, v80, 16, 1
	v_pk_mul_f32 v[78:79], v[88:89], v[78:79] op_sel_hi:[0,1]
	v_add3_u32 v80, v80, v86, s8
	v_add3_u32 v81, v81, v84, s8
	v_perm_b32 v80, v81, v80, s9
	v_bfe_u32 v81, v79, 16, 1
	v_bfe_u32 v84, v78, 16, 1
	v_add3_u32 v78, v78, v84, s8
	v_add3_u32 v79, v79, v81, s8
	v_perm_b32 v81, v79, v78, s9
	v_lshlrev_b32_e32 v78, 3, v1
	v_lshlrev_b32_e32 v79, 5, v85
	;; [unrolled: 1-line block ×3, first 2 shown]
	v_pk_mul_f32 v[76:77], v[88:89], v[76:77] op_sel_hi:[0,1]
	v_or3_b32 v78, v84, v79, v78
	v_bfe_u32 v84, v77, 16, 1
	v_bfe_u32 v86, v76, 16, 1
	v_pk_mul_f32 v[74:75], v[88:89], v[74:75] op_sel_hi:[0,1]
	v_add3_u32 v76, v76, v86, s8
	v_add3_u32 v77, v77, v84, s8
	v_perm_b32 v76, v77, v76, s9
	v_bfe_u32 v77, v75, 16, 1
	v_bfe_u32 v84, v74, 16, 1
	v_add3_u32 v74, v74, v84, s8
	v_add3_u32 v75, v75, v77, s8
	v_pk_mul_f32 v[72:73], v[88:89], v[72:73] op_sel_hi:[0,1]
	v_perm_b32 v77, v75, v74, s9
	v_bfe_u32 v74, v73, 16, 1
	v_bfe_u32 v75, v72, 16, 1
	v_pk_mul_f32 v[70:71], v[88:89], v[70:71] op_sel_hi:[0,1]
	v_add3_u32 v72, v72, v75, s8
	v_add3_u32 v73, v73, v74, s8
	v_perm_b32 v72, v73, v72, s9
	v_bfe_u32 v73, v71, 16, 1
	v_bfe_u32 v74, v70, 16, 1
	v_add3_u32 v70, v70, v74, s8
	v_add3_u32 v71, v71, v73, s8
	v_pk_mul_f32 v[68:69], v[88:89], v[68:69] op_sel_hi:[0,1]
	v_perm_b32 v73, v71, v70, s9
	v_bfe_u32 v70, v69, 16, 1
	v_bfe_u32 v71, v68, 16, 1
	v_pk_mul_f32 v[66:67], v[88:89], v[66:67] op_sel_hi:[0,1]
	v_add3_u32 v68, v68, v71, s8
	v_add3_u32 v69, v69, v70, s8
	v_perm_b32 v68, v69, v68, s9
	v_bfe_u32 v69, v67, 16, 1
	v_bfe_u32 v70, v66, 16, 1
	v_add3_u32 v66, v66, v70, s8
	v_add3_u32 v67, v67, v69, s8
	v_perm_b32 v69, v67, v66, s9
	v_cmp_gt_u32_e32 vcc, 12, v0
	ds_write2st64_b64 v78, v[80:81], v[76:77] offset1:1
	ds_write2st64_b64 v78, v[72:73], v[68:69] offset0:2 offset1:3
	s_and_saveexec_b64 s[0:1], vcc
	s_cbranch_execz .LBB299_17
; %bb.16:
	v_add_co_u32_e32 v68, vcc, s27, v85
	v_addc_co_u32_e64 v69, s[10:11], 0, 0, vcc
	v_mov_b32_e32 v66, s3
	v_mov_b32_e32 v67, 0
	v_mad_u64_u32 v[68:69], s[10:11], s6, v66, v[68:69]
	v_mov_b32_e32 v66, s26
	s_load_dwordx4 s[12:15], s[4:5], 0x58
	s_mul_i32 s7, s7, s3
	v_mad_u64_u32 v[66:67], s[10:11], v68, s2, v[66:67]
	v_add_u32_e32 v69, s7, v69
	v_mov_b32_e32 v68, v67
	v_mad_u64_u32 v[68:69], s[10:11], v69, s2, v[68:69]
	v_mov_b32_e32 v67, v68
	v_lshlrev_b64 v[66:67], 2, v[66:67]
	s_waitcnt lgkmcnt(0)
	v_mov_b32_e32 v69, s15
	v_add_co_u32_e32 v68, vcc, s14, v66
	v_addc_co_u32_e32 v69, vcc, v69, v67, vcc
	global_store_dword v[68:69], v82, off
	v_mov_b32_e32 v68, s13
	v_add_co_u32_e32 v66, vcc, s12, v66
	v_addc_co_u32_e32 v67, vcc, v68, v67, vcc
	global_store_dword v[66:67], v83, off
.LBB299_17:
	s_or_b64 exec, exec, s[0:1]
	v_lshl_or_b32 v79, v1, 9, v79
	s_waitcnt lgkmcnt(0)
	s_barrier
	ds_read_b128 v[70:73], v79
	ds_read_b128 v[66:69], v79 offset:16
	s_waitcnt vmcnt(15) lgkmcnt(1)
	v_mfma_f32_16x16x16bf16_1k v[74:77], v[46:47], v[70:71], 0
	s_mov_b32 s1, 0
	v_cmp_gt_u32_e32 vcc, 64, v0
	v_mfma_f32_16x16x16bf16_1k v[46:49], v[48:49], v[72:73], v[74:77]
	s_waitcnt vmcnt(14) lgkmcnt(0)
	v_mfma_f32_16x16x16bf16_1k v[46:49], v[42:43], v[66:67], v[46:49]
	v_mfma_f32_16x16x16bf16_1k v[42:45], v[44:45], v[68:69], v[46:49]
	s_nop 7
	s_nop 1
	ds_read_b128 v[46:49], v79 offset:2048
	ds_read_b128 v[74:77], v79 offset:2064
	s_waitcnt vmcnt(13) lgkmcnt(1)
	v_mfma_f32_16x16x16bf16_1k v[42:45], v[38:39], v[46:47], v[42:45]
	v_mfma_f32_16x16x16bf16_1k v[38:41], v[40:41], v[48:49], v[42:45]
	s_waitcnt vmcnt(12) lgkmcnt(0)
	v_mfma_f32_16x16x16bf16_1k v[38:41], v[34:35], v[74:75], v[38:41]
	v_mfma_f32_16x16x16bf16_1k v[34:37], v[36:37], v[76:77], v[38:41]
	s_nop 7
	s_nop 1
	ds_read_b128 v[38:41], v79 offset:4096
	ds_read_b128 v[42:45], v79 offset:4112
	s_waitcnt vmcnt(11) lgkmcnt(1)
	v_mfma_f32_16x16x16bf16_1k v[34:37], v[30:31], v[38:39], v[34:37]
	v_mfma_f32_16x16x16bf16_1k v[30:33], v[32:33], v[40:41], v[34:37]
	s_waitcnt vmcnt(10) lgkmcnt(0)
	v_mfma_f32_16x16x16bf16_1k v[30:33], v[26:27], v[42:43], v[30:33]
	v_mfma_f32_16x16x16bf16_1k v[26:29], v[28:29], v[44:45], v[30:33]
	s_nop 7
	s_nop 1
	ds_read_b128 v[30:33], v79 offset:6144
	ds_read_b128 v[34:37], v79 offset:6160
	s_waitcnt lgkmcnt(0)
	s_barrier
	s_waitcnt vmcnt(9)
	v_mfma_f32_16x16x16bf16_1k v[26:29], v[22:23], v[30:31], v[26:29]
	v_mfma_f32_16x16x16bf16_1k v[22:25], v[24:25], v[32:33], v[26:29]
	s_waitcnt vmcnt(8)
	v_mfma_f32_16x16x16bf16_1k v[22:25], v[18:19], v[34:35], v[22:25]
	v_mfma_f32_16x16x16bf16_1k v[18:21], v[20:21], v[36:37], v[22:25]
	;; [unrolled: 3-line block ×4, first 2 shown]
	s_waitcnt vmcnt(5)
	v_mfma_f32_16x16x16bf16_1k v[2:5], v[14:15], v[46:47], v[2:5]
	s_nop 7
	v_bfe_u32 v6, v19, 16, 1
	v_bfe_u32 v7, v18, 16, 1
	v_add3_u32 v7, v18, v7, s8
	v_add3_u32 v6, v19, v6, s8
	v_perm_b32 v6, v6, v7, s9
	v_bfe_u32 v7, v21, 16, 1
	v_bfe_u32 v8, v20, 16, 1
	v_mfma_f32_16x16x16bf16_1k v[2:5], v[16:17], v[48:49], v[2:5]
	v_add3_u32 v8, v20, v8, s8
	v_add3_u32 v7, v21, v7, s8
	v_perm_b32 v7, v7, v8, s9
	s_waitcnt vmcnt(4)
	v_mfma_f32_16x16x16bf16_1k v[2:5], v[10:11], v[74:75], v[2:5]
	v_mfma_f32_16x16x16bf16_1k v[2:5], v[12:13], v[76:77], v[2:5]
	s_waitcnt vmcnt(3)
	v_mfma_f32_16x16x16bf16_1k v[2:5], v[54:55], v[38:39], v[2:5]
	v_mfma_f32_16x16x16bf16_1k v[2:5], v[56:57], v[40:41], v[2:5]
	;; [unrolled: 3-line block ×5, first 2 shown]
	s_nop 7
	s_nop 2
	v_bfe_u32 v8, v3, 16, 1
	v_bfe_u32 v9, v2, 16, 1
	v_add3_u32 v2, v2, v9, s8
	v_add3_u32 v3, v3, v8, s8
	v_perm_b32 v2, v3, v2, s9
	v_bfe_u32 v3, v5, 16, 1
	v_bfe_u32 v8, v4, 16, 1
	v_add3_u32 v4, v4, v8, s8
	v_add3_u32 v3, v5, v3, s8
	v_perm_b32 v3, v3, v4, s9
	ds_write2st64_b64 v78, v[6:7], v[2:3] offset1:1
	s_waitcnt lgkmcnt(0)
	s_barrier
	s_and_saveexec_b64 s[8:9], vcc
	s_cbranch_execz .LBB299_19
; %bb.18:
	v_lshlrev_b32_e32 v4, 6, v85
	v_lshlrev_b32_e32 v3, 4, v0
	v_lshl_or_b32 v0, v0, 10, v4
	v_lshlrev_b32_e32 v2, 5, v1
	v_and_b32_e32 v3, 16, v3
	v_and_b32_e32 v0, 0x1a00, v0
	v_or3_b32 v0, v0, v2, v3
	ds_read_b128 v[2:5], v0
	ds_read_b128 v[6:9], v0 offset:128
	ds_read_b128 v[10:13], v0 offset:256
	v_or_b32_e32 v14, s27, v1
	buffer_load_dword v1, off, s[44:47], 0  ; 4-byte Folded Reload
	s_load_dwordx2 s[4:5], s[4:5], 0x68
	s_lshl_b32 s7, s2, 7
	s_mul_i32 s0, s3, s6
	s_mul_hi_u32 s3, s0, s7
	s_mul_i32 s2, s0, s7
	s_lshl_b64 s[2:3], s[2:3], 1
	s_waitcnt lgkmcnt(0)
	s_add_u32 s2, s4, s2
	s_addc_u32 s3, s5, s3
	s_lshl_b32 s0, s26, 7
	s_lshl_b64 s[0:1], s[0:1], 1
	s_add_u32 s0, s2, s0
	s_addc_u32 s1, s3, s1
	v_mov_b32_e32 v0, s1
	s_waitcnt vmcnt(0)
	v_add_co_u32_e32 v15, vcc, s0, v1
	v_addc_co_u32_e32 v16, vcc, 0, v0, vcc
	v_mad_u64_u32 v[0:1], s[0:1], v14, s7, 0
	v_lshlrev_b64 v[0:1], 1, v[0:1]
	v_add_co_u32_e32 v0, vcc, v15, v0
	v_addc_co_u32_e32 v1, vcc, v16, v1, vcc
	global_store_dwordx4 v[0:1], v[2:5], off
	v_add_u32_e32 v0, 4, v14
	v_mad_u64_u32 v[0:1], s[0:1], v0, s7, 0
	v_lshlrev_b64 v[0:1], 1, v[0:1]
	v_add_co_u32_e32 v0, vcc, v15, v0
	v_addc_co_u32_e32 v1, vcc, v16, v1, vcc
	global_store_dwordx4 v[0:1], v[6:9], off
	v_add_u32_e32 v0, 8, v14
	v_mad_u64_u32 v[0:1], s[0:1], v0, s7, 0
	v_lshlrev_b64 v[0:1], 1, v[0:1]
	v_add_co_u32_e32 v0, vcc, v15, v0
	v_addc_co_u32_e32 v1, vcc, v16, v1, vcc
	global_store_dwordx4 v[0:1], v[10:13], off
.LBB299_19:
	s_endpgm
	.section	.rodata,"a",@progbits
	.p2align	6, 0x0
	.amdhsa_kernel _Z39paged_attention_ll4mi_QKV_mfma16_kernelI14__hip_bfloat16S0_LN4vllm18Fp8KVCacheDataTypeE0ES0_Li16ELi128ELi256ELb1ELi12EL8MFMAType0EEvPKT_PKT0_S9_ifPKiSB_SB_iPKfiiiPfSE_PS4_PT2_iSD_SD_
		.amdhsa_group_segment_fixed_size 8192
		.amdhsa_private_segment_fixed_size 8
		.amdhsa_kernarg_size 400
		.amdhsa_user_sgpr_count 6
		.amdhsa_user_sgpr_private_segment_buffer 1
		.amdhsa_user_sgpr_dispatch_ptr 0
		.amdhsa_user_sgpr_queue_ptr 0
		.amdhsa_user_sgpr_kernarg_segment_ptr 1
		.amdhsa_user_sgpr_dispatch_id 0
		.amdhsa_user_sgpr_flat_scratch_init 0
		.amdhsa_user_sgpr_kernarg_preload_length 0
		.amdhsa_user_sgpr_kernarg_preload_offset 0
		.amdhsa_user_sgpr_private_segment_size 0
		.amdhsa_uses_dynamic_stack 0
		.amdhsa_system_sgpr_private_segment_wavefront_offset 1
		.amdhsa_system_sgpr_workgroup_id_x 1
		.amdhsa_system_sgpr_workgroup_id_y 1
		.amdhsa_system_sgpr_workgroup_id_z 1
		.amdhsa_system_sgpr_workgroup_info 0
		.amdhsa_system_vgpr_workitem_id 0
		.amdhsa_next_free_vgpr 96
		.amdhsa_next_free_sgpr 48
		.amdhsa_accum_offset 96
		.amdhsa_reserve_vcc 1
		.amdhsa_reserve_flat_scratch 0
		.amdhsa_float_round_mode_32 0
		.amdhsa_float_round_mode_16_64 0
		.amdhsa_float_denorm_mode_32 3
		.amdhsa_float_denorm_mode_16_64 3
		.amdhsa_dx10_clamp 1
		.amdhsa_ieee_mode 1
		.amdhsa_fp16_overflow 0
		.amdhsa_tg_split 0
		.amdhsa_exception_fp_ieee_invalid_op 0
		.amdhsa_exception_fp_denorm_src 0
		.amdhsa_exception_fp_ieee_div_zero 0
		.amdhsa_exception_fp_ieee_overflow 0
		.amdhsa_exception_fp_ieee_underflow 0
		.amdhsa_exception_fp_ieee_inexact 0
		.amdhsa_exception_int_div_zero 0
	.end_amdhsa_kernel
	.section	.text._Z39paged_attention_ll4mi_QKV_mfma16_kernelI14__hip_bfloat16S0_LN4vllm18Fp8KVCacheDataTypeE0ES0_Li16ELi128ELi256ELb1ELi12EL8MFMAType0EEvPKT_PKT0_S9_ifPKiSB_SB_iPKfiiiPfSE_PS4_PT2_iSD_SD_,"axG",@progbits,_Z39paged_attention_ll4mi_QKV_mfma16_kernelI14__hip_bfloat16S0_LN4vllm18Fp8KVCacheDataTypeE0ES0_Li16ELi128ELi256ELb1ELi12EL8MFMAType0EEvPKT_PKT0_S9_ifPKiSB_SB_iPKfiiiPfSE_PS4_PT2_iSD_SD_,comdat
.Lfunc_end299:
	.size	_Z39paged_attention_ll4mi_QKV_mfma16_kernelI14__hip_bfloat16S0_LN4vllm18Fp8KVCacheDataTypeE0ES0_Li16ELi128ELi256ELb1ELi12EL8MFMAType0EEvPKT_PKT0_S9_ifPKiSB_SB_iPKfiiiPfSE_PS4_PT2_iSD_SD_, .Lfunc_end299-_Z39paged_attention_ll4mi_QKV_mfma16_kernelI14__hip_bfloat16S0_LN4vllm18Fp8KVCacheDataTypeE0ES0_Li16ELi128ELi256ELb1ELi12EL8MFMAType0EEvPKT_PKT0_S9_ifPKiSB_SB_iPKfiiiPfSE_PS4_PT2_iSD_SD_
                                        ; -- End function
	.section	.AMDGPU.csdata,"",@progbits
; Kernel info:
; codeLenInByte = 5212
; NumSgprs: 52
; NumVgprs: 96
; NumAgprs: 0
; TotalNumVgprs: 96
; ScratchSize: 8
; MemoryBound: 0
; FloatMode: 240
; IeeeMode: 1
; LDSByteSize: 8192 bytes/workgroup (compile time only)
; SGPRBlocks: 6
; VGPRBlocks: 11
; NumSGPRsForWavesPerEU: 52
; NumVGPRsForWavesPerEU: 96
; AccumOffset: 96
; Occupancy: 5
; WaveLimiterHint : 1
; COMPUTE_PGM_RSRC2:SCRATCH_EN: 1
; COMPUTE_PGM_RSRC2:USER_SGPR: 6
; COMPUTE_PGM_RSRC2:TRAP_HANDLER: 0
; COMPUTE_PGM_RSRC2:TGID_X_EN: 1
; COMPUTE_PGM_RSRC2:TGID_Y_EN: 1
; COMPUTE_PGM_RSRC2:TGID_Z_EN: 1
; COMPUTE_PGM_RSRC2:TIDIG_COMP_CNT: 0
; COMPUTE_PGM_RSRC3_GFX90A:ACCUM_OFFSET: 23
; COMPUTE_PGM_RSRC3_GFX90A:TG_SPLIT: 0
	.section	.text._Z39paged_attention_ll4mi_QKV_mfma16_kernelI14__hip_bfloat16S0_LN4vllm18Fp8KVCacheDataTypeE0ES0_Li16ELi128ELi256ELb1ELi13EL8MFMAType0EEvPKT_PKT0_S9_ifPKiSB_SB_iPKfiiiPfSE_PS4_PT2_iSD_SD_,"axG",@progbits,_Z39paged_attention_ll4mi_QKV_mfma16_kernelI14__hip_bfloat16S0_LN4vllm18Fp8KVCacheDataTypeE0ES0_Li16ELi128ELi256ELb1ELi13EL8MFMAType0EEvPKT_PKT0_S9_ifPKiSB_SB_iPKfiiiPfSE_PS4_PT2_iSD_SD_,comdat
	.protected	_Z39paged_attention_ll4mi_QKV_mfma16_kernelI14__hip_bfloat16S0_LN4vllm18Fp8KVCacheDataTypeE0ES0_Li16ELi128ELi256ELb1ELi13EL8MFMAType0EEvPKT_PKT0_S9_ifPKiSB_SB_iPKfiiiPfSE_PS4_PT2_iSD_SD_ ; -- Begin function _Z39paged_attention_ll4mi_QKV_mfma16_kernelI14__hip_bfloat16S0_LN4vllm18Fp8KVCacheDataTypeE0ES0_Li16ELi128ELi256ELb1ELi13EL8MFMAType0EEvPKT_PKT0_S9_ifPKiSB_SB_iPKfiiiPfSE_PS4_PT2_iSD_SD_
	.globl	_Z39paged_attention_ll4mi_QKV_mfma16_kernelI14__hip_bfloat16S0_LN4vllm18Fp8KVCacheDataTypeE0ES0_Li16ELi128ELi256ELb1ELi13EL8MFMAType0EEvPKT_PKT0_S9_ifPKiSB_SB_iPKfiiiPfSE_PS4_PT2_iSD_SD_
	.p2align	8
	.type	_Z39paged_attention_ll4mi_QKV_mfma16_kernelI14__hip_bfloat16S0_LN4vllm18Fp8KVCacheDataTypeE0ES0_Li16ELi128ELi256ELb1ELi13EL8MFMAType0EEvPKT_PKT0_S9_ifPKiSB_SB_iPKfiiiPfSE_PS4_PT2_iSD_SD_,@function
_Z39paged_attention_ll4mi_QKV_mfma16_kernelI14__hip_bfloat16S0_LN4vllm18Fp8KVCacheDataTypeE0ES0_Li16ELi128ELi256ELb1ELi13EL8MFMAType0EEvPKT_PKT0_S9_ifPKiSB_SB_iPKfiiiPfSE_PS4_PT2_iSD_SD_: ; @_Z39paged_attention_ll4mi_QKV_mfma16_kernelI14__hip_bfloat16S0_LN4vllm18Fp8KVCacheDataTypeE0ES0_Li16ELi128ELi256ELb1ELi13EL8MFMAType0EEvPKT_PKT0_S9_ifPKiSB_SB_iPKfiiiPfSE_PS4_PT2_iSD_SD_
; %bb.0:
	s_mov_b64 s[46:47], s[2:3]
	s_mov_b64 s[44:45], s[0:1]
	s_load_dwordx2 s[0:1], s[4:5], 0x30
	s_add_u32 s44, s44, s9
	s_addc_u32 s45, s45, 0
	s_mov_b32 s26, s7
	s_mov_b64 s[10:11], 0
	s_waitcnt lgkmcnt(0)
	s_cmp_lg_u64 s[0:1], 0
	s_cselect_b64 s[2:3], -1, 0
	s_and_b64 vcc, exec, s[2:3]
	s_cbranch_vccz .LBB300_7
; %bb.1:
	s_add_i32 s12, s6, 1
	s_mov_b32 s13, 0
	s_lshl_b64 s[14:15], s[12:13], 2
	s_add_u32 s14, s0, s14
	s_mov_b32 s7, s13
	s_addc_u32 s15, s1, s15
	s_lshl_b64 s[12:13], s[6:7], 2
	s_add_u32 s12, s0, s12
	s_addc_u32 s13, s1, s13
	s_load_dword s9, s[14:15], 0x0
	s_load_dword s16, s[12:13], 0x0
	s_waitcnt lgkmcnt(0)
	s_sub_i32 s9, s9, s16
	s_cmp_eq_u32 s9, 1
	s_cselect_b64 s[12:13], -1, 0
	s_andn2_b64 vcc, exec, s[10:11]
	s_cbranch_vccnz .LBB300_3
.LBB300_2:
	s_mov_b32 s7, 0
	s_mov_b64 s[12:13], -1
.LBB300_3:
	s_andn2_b64 vcc, exec, s[12:13]
	s_cbranch_vccnz .LBB300_20
; %bb.4:
	s_load_dwordx2 s[12:13], s[4:5], 0x28
	s_lshl_b64 s[10:11], s[6:7], 2
	s_waitcnt lgkmcnt(0)
	s_add_u32 s12, s12, s10
	s_addc_u32 s13, s13, s11
	s_load_dword s33, s[12:13], 0x0
	s_lshl_b32 s16, s26, 8
	s_waitcnt lgkmcnt(0)
	s_cmp_ge_i32 s16, s33
	s_cbranch_scc1 .LBB300_20
; %bb.5:
	s_add_i32 s14, s33, 15
	s_load_dwordx2 s[12:13], s[4:5], 0x20
	s_load_dword s9, s[4:5], 0x38
	s_ashr_i32 s15, s14, 31
	v_and_b32_e32 v1, 0xcf, v0
	s_lshr_b32 s15, s15, 28
	v_add_u32_e32 v1, s16, v1
	s_add_i32 s14, s14, s15
	v_ashrrev_i32_e32 v2, 31, v1
	s_ashr_i32 s19, s14, 4
	v_lshrrev_b32_e32 v4, 28, v2
	s_add_i32 s19, s19, -1
	v_add_u32_e32 v2, v1, v4
	s_waitcnt lgkmcnt(0)
	s_mul_i32 s14, s6, s9
	s_mov_b32 s15, 0
	v_ashrrev_i32_e32 v2, 4, v2
	v_mov_b32_e32 v5, s19
	v_cmp_gt_i32_e32 vcc, s33, v1
	s_lshl_b64 s[14:15], s[14:15], 2
	v_cndmask_b32_e32 v2, v5, v2, vcc
	s_add_u32 s17, s12, s14
	v_ashrrev_i32_e32 v3, 31, v2
	s_addc_u32 s18, s13, s15
	v_lshlrev_b64 v[2:3], 2, v[2:3]
	v_mov_b32_e32 v7, s18
	v_add_co_u32_e32 v6, vcc, s17, v2
	v_or_b32_e32 v2, 16, v1
	v_addc_co_u32_e32 v7, vcc, v7, v3, vcc
	v_add_u32_e32 v3, v2, v4
	v_ashrrev_i32_e32 v3, 4, v3
	v_cmp_gt_i32_e32 vcc, s33, v2
	v_cndmask_b32_e32 v2, v5, v3, vcc
	v_ashrrev_i32_e32 v3, 31, v2
	v_lshlrev_b64 v[2:3], 2, v[2:3]
	v_mov_b32_e32 v9, s18
	v_add_co_u32_e32 v8, vcc, s17, v2
	v_or_b32_e32 v2, 32, v1
	v_addc_co_u32_e32 v9, vcc, v9, v3, vcc
	v_add_u32_e32 v3, v2, v4
	v_ashrrev_i32_e32 v3, 4, v3
	v_cmp_gt_i32_e32 vcc, s33, v2
	v_cndmask_b32_e32 v2, v5, v3, vcc
	v_ashrrev_i32_e32 v3, 31, v2
	;; [unrolled: 10-line block ×3, first 2 shown]
	v_lshlrev_b64 v[2:3], 2, v[2:3]
	v_mov_b32_e32 v1, s18
	v_add_co_u32_e32 v12, vcc, s17, v2
	v_addc_co_u32_e32 v13, vcc, v1, v3, vcc
	global_load_dword v5, v[6:7], off
	global_load_dword v4, v[8:9], off
	;; [unrolled: 1-line block ×4, first 2 shown]
	s_load_dwordx2 s[12:13], s[4:5], 0x8
	s_andn2_b64 vcc, exec, s[2:3]
	s_cbranch_vccnz .LBB300_8
; %bb.6:
	s_add_u32 s0, s0, s10
	s_addc_u32 s1, s1, s11
	s_load_dword s9, s[0:1], 0x0
	s_branch .LBB300_9
.LBB300_7:
	s_mov_b64 s[12:13], 0
	s_branch .LBB300_2
.LBB300_8:
	s_mov_b32 s9, s6
.LBB300_9:
	s_load_dwordx2 s[10:11], s[4:5], 0x10
	s_load_dwordx4 s[0:3], s[4:5], 0x48
	v_lshrrev_b32_e32 v87, 6, v0
	v_bfe_u32 v1, v0, 4, 2
	v_and_b32_e32 v85, 15, v0
	v_lshl_or_b32 v6, v87, 2, v1
	v_lshlrev_b32_e32 v7, 3, v85
	s_mul_i32 s27, s8, 13
	v_cmp_gt_u32_e32 vcc, 13, v6
	v_lshlrev_b32_e32 v7, 1, v7
	buffer_store_dword v7, off, s[44:47], 0 ; 4-byte Folded Spill
	s_and_saveexec_b64 s[14:15], vcc
	s_cbranch_execz .LBB300_11
; %bb.10:
	s_load_dwordx2 s[20:21], s[4:5], 0x0
	s_waitcnt lgkmcnt(0)
	s_ashr_i32 s3, s0, 31
	s_mul_hi_u32 s22, s9, s0
	s_mul_i32 s3, s9, s3
	s_add_i32 s23, s22, s3
	s_mul_i32 s22, s9, s0
	s_lshl_b64 s[22:23], s[22:23], 1
	v_add_lshl_u32 v8, v6, s27, 7
	s_add_u32 s0, s20, s22
	v_ashrrev_i32_e32 v9, 31, v8
	s_addc_u32 s3, s21, s23
	v_lshlrev_b64 v[8:9], 1, v[8:9]
	v_mov_b32_e32 v7, s3
	v_add_co_u32_e32 v8, vcc, s0, v8
	v_addc_co_u32_e32 v7, vcc, v7, v9, vcc
	buffer_load_dword v9, off, s[44:47], 0  ; 4-byte Folded Reload
	v_lshlrev_b32_e32 v12, 9, v85
	v_lshlrev_b32_e32 v6, 5, v6
	v_and_b32_e32 v12, 0x1800, v12
	s_waitcnt vmcnt(0)
	v_add_co_u32_e32 v8, vcc, v8, v9
	v_addc_co_u32_e32 v9, vcc, 0, v7, vcc
	global_load_dwordx4 v[8:11], v[8:9], off
	v_and_b32_e32 v7, 3, v0
	v_lshlrev_b32_e32 v7, 9, v7
	v_or3_b32 v6, v12, v7, v6
	s_waitcnt vmcnt(0)
	ds_write_b128 v6, v[8:11]
.LBB300_11:
	s_or_b64 exec, exec, s[14:15]
	s_waitcnt lgkmcnt(0)
	s_mul_i32 s2, s8, s2
	s_mov_b32 s3, 0
	s_lshl_b64 s[2:3], s[2:3], 1
	s_add_u32 s0, s12, s2
	v_lshlrev_b32_e32 v10, 4, v0
	s_addc_u32 s8, s13, s3
	v_and_b32_e32 v6, 0xf0, v10
	v_mov_b32_e32 v7, s8
	v_add_co_u32_e32 v8, vcc, s0, v6
	v_addc_co_u32_e32 v9, vcc, 0, v7, vcc
	s_waitcnt vmcnt(4)
	v_mad_i64_i32 v[6:7], s[8:9], v5, s1, 0
	v_lshlrev_b64 v[6:7], 1, v[6:7]
	v_add_co_u32_e32 v5, vcc, v8, v6
	v_addc_co_u32_e32 v7, vcc, v9, v7, vcc
	v_and_b32_e32 v10, 0x300, v10
	v_add_co_u32_e32 v6, vcc, v5, v10
	s_waitcnt vmcnt(3)
	v_mad_i64_i32 v[4:5], s[8:9], v4, s1, 0
	v_addc_co_u32_e32 v7, vcc, 0, v7, vcc
	v_lshlrev_b64 v[4:5], 1, v[4:5]
	v_add_co_u32_e32 v4, vcc, v8, v4
	v_addc_co_u32_e32 v5, vcc, v9, v5, vcc
	v_add_co_u32_e32 v4, vcc, v4, v10
	v_addc_co_u32_e32 v5, vcc, 0, v5, vcc
	s_barrier
	global_load_dwordx4 v[74:77], v[6:7], off
	global_load_dwordx4 v[66:69], v[6:7], off offset:1024
	global_load_dwordx4 v[58:61], v[6:7], off offset:2048
	;; [unrolled: 1-line block ×3, first 2 shown]
	global_load_dwordx4 v[78:81], v[4:5], off
	global_load_dwordx4 v[70:73], v[4:5], off offset:1024
	global_load_dwordx4 v[62:65], v[4:5], off offset:2048
	;; [unrolled: 1-line block ×3, first 2 shown]
	s_waitcnt vmcnt(10)
	v_mad_i64_i32 v[4:5], s[8:9], v3, s1, 0
	v_lshlrev_b64 v[4:5], 1, v[4:5]
	v_add_co_u32_e32 v3, vcc, v8, v4
	v_addc_co_u32_e32 v5, vcc, v9, v5, vcc
	v_add_co_u32_e32 v4, vcc, v3, v10
	s_waitcnt vmcnt(9)
	v_mad_i64_i32 v[2:3], s[8:9], v2, s1, 0
	v_addc_co_u32_e32 v5, vcc, 0, v5, vcc
	v_lshlrev_b64 v[2:3], 1, v[2:3]
	v_add_co_u32_e32 v2, vcc, v8, v2
	v_addc_co_u32_e32 v3, vcc, v9, v3, vcc
	v_add_co_u32_e32 v6, vcc, v2, v10
	v_addc_co_u32_e32 v7, vcc, 0, v3, vcc
	global_load_dwordx4 v[38:41], v[4:5], off
	global_load_dwordx4 v[34:37], v[4:5], off offset:1024
	global_load_dwordx4 v[30:33], v[4:5], off offset:2048
	;; [unrolled: 1-line block ×3, first 2 shown]
	global_load_dwordx4 v[18:21], v[6:7], off
	global_load_dwordx4 v[10:13], v[6:7], off offset:1024
	s_nop 0
	global_load_dwordx4 v[2:5], v[6:7], off offset:2048
	global_load_dwordx4 v[50:53], v[6:7], off offset:3072
	v_add_u32_e32 v6, -13, v85
	v_cmp_gt_u32_e32 vcc, 13, v85
	v_cndmask_b32_e32 v6, v6, v85, vcc
	v_lshlrev_b32_e32 v6, 5, v6
	v_lshl_add_u32 v54, v1, 9, v6
	ds_read_b128 v[26:29], v54
	ds_read_b128 v[14:17], v54 offset:2048
	ds_read_b128 v[6:9], v54 offset:4096
	;; [unrolled: 1-line block ×3, first 2 shown]
	v_and_b32_e32 v88, 63, v0
	v_mov_b32_e32 v89, 0
	s_and_saveexec_b64 s[8:9], vcc
	s_cbranch_execz .LBB300_13
; %bb.12:
	s_load_dwordx2 s[12:13], s[4:5], 0x40
	v_add_u32_e32 v82, s27, v85
	v_ashrrev_i32_e32 v83, 31, v82
	v_lshlrev_b64 v[82:83], 2, v[82:83]
	s_waitcnt lgkmcnt(0)
	v_mov_b32_e32 v89, s13
	v_add_co_u32_e32 v82, vcc, s12, v82
	v_addc_co_u32_e32 v83, vcc, v89, v83, vcc
	global_load_dword v89, v[82:83], off
.LBB300_13:
	s_or_b64 exec, exec, s[8:9]
	s_waitcnt vmcnt(15) lgkmcnt(3)
	v_mfma_f32_16x16x16bf16_1k v[90:93], v[74:75], v[26:27], 0
	s_add_u32 s8, s10, s2
	s_addc_u32 s9, s11, s3
	s_load_dword s0, s[4:5], 0x1c
	s_mov_b32 s40, 0xff7fffff
	v_mfma_f32_16x16x16bf16_1k v[74:77], v[76:77], v[28:29], v[90:93]
	s_waitcnt vmcnt(14) lgkmcnt(0)
	v_mfma_f32_16x16x16bf16_1k v[74:77], v[66:67], v[14:15], v[74:77]
	s_nop 4
	v_lshl_or_b32 v90, v87, 4, v85
	v_mfma_f32_16x16x16bf16_1k v[66:69], v[68:69], v[16:17], v[74:77]
	s_waitcnt vmcnt(13)
	v_mfma_f32_16x16x16bf16_1k v[66:69], v[58:59], v[6:7], v[66:69]
	s_nop 4
	v_lshlrev_b32_e32 v76, 5, v90
	v_mfma_f32_16x16x16bf16_1k v[58:61], v[60:61], v[8:9], v[66:69]
	s_waitcnt vmcnt(12)
	v_mfma_f32_16x16x16bf16_1k v[58:61], v[42:43], v[54:55], v[58:61]
	s_nop 4
	v_mov_b32_e32 v66, s18
	v_mfma_f32_16x16x16bf16_1k v[58:61], v[44:45], v[56:57], v[58:61]
	s_waitcnt vmcnt(11)
	v_mfma_f32_16x16x16bf16_1k v[42:45], v[78:79], v[26:27], 0
	s_nop 7
	s_nop 0
	v_pk_mul_f32 v[58:59], s[0:1], v[58:59] op_sel_hi:[0,1]
	v_mfma_f32_16x16x16bf16_1k v[42:45], v[80:81], v[28:29], v[42:45]
	s_waitcnt vmcnt(10)
	v_mfma_f32_16x16x16bf16_1k v[42:45], v[70:71], v[14:15], v[42:45]
	v_mfma_f32_16x16x16bf16_1k v[42:45], v[72:73], v[16:17], v[42:45]
	s_waitcnt vmcnt(9)
	v_mfma_f32_16x16x16bf16_1k v[42:45], v[62:63], v[6:7], v[42:45]
	v_mfma_f32_16x16x16bf16_1k v[42:45], v[64:65], v[8:9], v[42:45]
	s_waitcnt vmcnt(8)
	v_mfma_f32_16x16x16bf16_1k v[42:45], v[46:47], v[54:55], v[42:45]
	v_mfma_f32_16x16x16bf16_1k v[62:65], v[48:49], v[56:57], v[42:45]
	v_and_or_b32 v48, v0, 48, s16
	v_mov_b32_e32 v49, s19
	v_cmp_gt_i32_e32 vcc, s33, v48
	s_waitcnt vmcnt(7)
	v_mfma_f32_16x16x16bf16_1k v[42:45], v[38:39], v[26:27], 0
	v_ashrrev_i32_e32 v38, 4, v48
	v_cndmask_b32_e32 v38, v49, v38, vcc
	v_ashrrev_i32_e32 v39, 31, v38
	v_lshlrev_b64 v[46:47], 2, v[38:39]
	v_mfma_f32_16x16x16bf16_1k v[38:41], v[40:41], v[28:29], v[42:45]
	s_nop 6
	v_add_co_u32_e32 v42, vcc, s17, v46
	v_addc_co_u32_e32 v43, vcc, v66, v47, vcc
	global_load_dword v44, v[42:43], off
	v_or_b32_e32 v42, 64, v48
	v_ashrrev_i32_e32 v43, 4, v42
	v_cmp_gt_i32_e32 vcc, s33, v42
	v_cndmask_b32_e32 v42, v49, v43, vcc
	s_waitcnt vmcnt(7)
	v_mfma_f32_16x16x16bf16_1k v[38:41], v[34:35], v[14:15], v[38:41]
	v_ashrrev_i32_e32 v43, 31, v42
	v_lshlrev_b64 v[34:35], 2, v[42:43]
	v_mov_b32_e32 v42, s18
	v_add_co_u32_e32 v34, vcc, s17, v34
	v_addc_co_u32_e32 v35, vcc, v42, v35, vcc
	global_load_dword v72, v[34:35], off
	v_mfma_f32_16x16x16bf16_1k v[34:37], v[36:37], v[16:17], v[38:41]
	s_nop 6
	v_or_b32_e32 v38, 0x80, v48
	v_ashrrev_i32_e32 v39, 4, v38
	v_cmp_gt_i32_e32 vcc, s33, v38
	v_cndmask_b32_e32 v38, v49, v39, vcc
	v_ashrrev_i32_e32 v39, 31, v38
	v_lshlrev_b64 v[38:39], 2, v[38:39]
	v_mov_b32_e32 v40, s18
	s_waitcnt vmcnt(7)
	v_mfma_f32_16x16x16bf16_1k v[34:37], v[30:31], v[6:7], v[34:37]
	v_add_co_u32_e32 v30, vcc, s17, v38
	v_addc_co_u32_e32 v31, vcc, v40, v39, vcc
	global_load_dword v74, v[30:31], off
	v_or_b32_e32 v30, 0xc0, v48
	v_ashrrev_i32_e32 v31, 4, v30
	v_cmp_gt_i32_e32 vcc, s33, v30
	v_cndmask_b32_e32 v38, v49, v31, vcc
	v_ashrrev_i32_e32 v39, 31, v38
	v_mfma_f32_16x16x16bf16_1k v[30:33], v[32:33], v[8:9], v[34:37]
	s_nop 6
	v_lshlrev_b64 v[34:35], 2, v[38:39]
	v_mov_b32_e32 v36, s18
	v_add_co_u32_e32 v34, vcc, s17, v34
	v_addc_co_u32_e32 v35, vcc, v36, v35, vcc
	global_load_dword v75, v[34:35], off
	s_waitcnt vmcnt(8)
	v_mfma_f32_16x16x16bf16_1k v[30:33], v[22:23], v[54:55], v[30:33]
	v_mov_b32_e32 v22, s9
	v_add_co_u32_e32 v77, vcc, s8, v76
	v_addc_co_u32_e32 v78, vcc, 0, v22, vcc
	s_waitcnt vmcnt(3)
	v_mad_i64_i32 v[22:23], s[2:3], v44, s1, 0
	v_mfma_f32_16x16x16bf16_1k v[66:69], v[24:25], v[56:57], v[30:33]
	v_lshlrev_b64 v[70:71], 1, v[22:23]
	v_mfma_f32_16x16x16bf16_1k v[22:25], v[18:19], v[26:27], 0
	v_add_co_u32_e32 v18, vcc, v77, v70
	v_addc_co_u32_e32 v19, vcc, v78, v71, vcc
	global_load_dwordx4 v[46:49], v[18:19], off
	global_load_dwordx4 v[42:45], v[18:19], off offset:16
	s_waitcnt vmcnt(4)
	v_mad_i64_i32 v[18:19], s[2:3], v72, s1, 0
	v_lshlrev_b64 v[72:73], 1, v[18:19]
	v_mfma_f32_16x16x16bf16_1k v[18:21], v[20:21], v[28:29], v[22:25]
	v_mfma_f32_16x16x16bf16_1k v[18:21], v[10:11], v[14:15], v[18:21]
	s_nop 5
	v_add_co_u32_e32 v22, vcc, v77, v72
	v_addc_co_u32_e32 v23, vcc, v78, v73, vcc
	global_load_dwordx4 v[38:41], v[22:23], off
	global_load_dwordx4 v[34:37], v[22:23], off offset:16
	s_waitcnt vmcnt(5)
	v_mad_i64_i32 v[22:23], s[2:3], v74, s1, 0
	v_lshlrev_b64 v[82:83], 1, v[22:23]
	v_add_co_u32_e32 v10, vcc, v77, v82
	v_addc_co_u32_e32 v11, vcc, v78, v83, vcc
	global_load_dwordx4 v[30:33], v[10:11], off
	global_load_dwordx4 v[26:29], v[10:11], off offset:16
	v_mfma_f32_16x16x16bf16_1k v[10:13], v[12:13], v[16:17], v[18:21]
	s_waitcnt vmcnt(6)
	v_mad_i64_i32 v[14:15], s[2:3], v75, s1, 0
	v_mfma_f32_16x16x16bf16_1k v[10:13], v[2:3], v[6:7], v[10:13]
	v_lshlrev_b64 v[80:81], 1, v[14:15]
	v_add_co_u32_e32 v14, vcc, v77, v80
	v_addc_co_u32_e32 v15, vcc, v78, v81, vcc
	v_or_b32_e32 v2, 0x800, v76
	v_mov_b32_e32 v3, s9
	v_mfma_f32_16x16x16bf16_1k v[10:13], v[4:5], v[8:9], v[10:13]
	v_add_co_u32_e32 v91, vcc, s8, v2
	v_addc_co_u32_e32 v84, vcc, 0, v3, vcc
	v_add_co_u32_e32 v2, vcc, v91, v70
	v_addc_co_u32_e32 v3, vcc, v84, v71, vcc
	v_mfma_f32_16x16x16bf16_1k v[92:95], v[50:51], v[54:55], v[10:13]
	v_add_co_u32_e32 v70, vcc, v91, v72
	v_addc_co_u32_e32 v71, vcc, v84, v73, vcc
	global_load_dwordx4 v[22:25], v[14:15], off
	global_load_dwordx4 v[18:21], v[14:15], off offset:16
	global_load_dwordx4 v[6:9], v[2:3], off
	s_nop 0
	global_load_dwordx4 v[2:5], v[2:3], off offset:16
	s_nop 0
	global_load_dwordx4 v[14:17], v[70:71], off
	global_load_dwordx4 v[10:13], v[70:71], off offset:16
	v_mfma_f32_16x16x16bf16_1k v[50:53], v[52:53], v[56:57], v[92:95]
	v_pk_mul_f32 v[70:71], s[0:1], v[68:69] op_sel_hi:[0,1]
	v_pk_mul_f32 v[72:73], s[0:1], v[66:67] op_sel_hi:[0,1]
	;; [unrolled: 1-line block ×5, first 2 shown]
	s_nop 5
	v_pk_mul_f32 v[68:69], s[0:1], v[50:51] op_sel_hi:[0,1]
	v_and_b32_e32 v50, 0xc0, v0
	v_add_u32_e32 v50, s16, v50
	v_lshl_or_b32 v50, v1, 2, v50
	v_or_b32_e32 v51, 1, v50
	v_pk_mul_f32 v[66:67], s[0:1], v[52:53] op_sel_hi:[0,1]
	v_subrev_u32_e32 v52, s33, v51
	v_add_u32_e32 v54, 1, v52
	v_add_u32_e32 v55, 2, v52
	v_cvt_f32_i32_e32 v53, v52
	v_cvt_f32_i32_e32 v54, v54
	v_cvt_f32_i32_e32 v55, v55
	v_add_u32_e32 v56, 3, v52
	v_fma_f32 v58, v89, v53, v58
	v_fmac_f32_e32 v59, v89, v54
	v_fma_f32 v78, v89, v55, v78
	v_add_u32_e32 v53, 16, v52
	v_add_u32_e32 v54, 17, v52
	;; [unrolled: 1-line block ×3, first 2 shown]
	v_cvt_f32_i32_e32 v56, v56
	v_cvt_f32_i32_e32 v53, v53
	;; [unrolled: 1-line block ×4, first 2 shown]
	v_fmac_f32_e32 v79, v89, v56
	v_add_u32_e32 v56, 19, v52
	v_fma_f32 v76, v89, v53, v76
	v_fmac_f32_e32 v77, v89, v54
	v_fma_f32 v74, v89, v55, v74
	v_add_u32_e32 v53, 32, v52
	v_add_u32_e32 v54, 33, v52
	;; [unrolled: 1-line block ×3, first 2 shown]
	v_cvt_f32_i32_e32 v56, v56
	v_cvt_f32_i32_e32 v53, v53
	;; [unrolled: 1-line block ×4, first 2 shown]
	v_fmac_f32_e32 v75, v89, v56
	v_add_u32_e32 v56, 35, v52
	v_fma_f32 v72, v89, v53, v72
	v_fmac_f32_e32 v73, v89, v54
	v_fma_f32 v70, v89, v55, v70
	v_add_u32_e32 v53, 48, v52
	v_add_u32_e32 v54, 49, v52
	;; [unrolled: 1-line block ×4, first 2 shown]
	v_cvt_f32_i32_e32 v52, v52
	v_cvt_f32_i32_e32 v53, v53
	;; [unrolled: 1-line block ×3, first 2 shown]
	v_cmp_gt_i32_e64 s[28:29], s33, v50
	v_fmac_f32_e32 v67, v89, v52
	v_mov_b32_e32 v52, 0xff7fffff
	v_cmp_gt_i32_e64 s[30:31], s33, v51
	v_fma_f32 v68, v89, v53, v68
	v_cndmask_b32_e64 v53, v52, v58, s[28:29]
	v_cndmask_b32_e64 v51, v52, v59, s[30:31]
	v_fmac_f32_e32 v69, v89, v54
	v_max3_f32 v51, v53, s40, v51
	v_or_b32_e32 v53, 2, v50
	v_or_b32_e32 v54, 3, v50
	v_cmp_gt_i32_e64 s[34:35], s33, v53
	v_cmp_gt_i32_e64 s[36:37], s33, v54
	v_cndmask_b32_e64 v53, v52, v78, s[34:35]
	v_cndmask_b32_e64 v54, v52, v79, s[36:37]
	v_max3_f32 v51, v51, v53, v54
	v_or_b32_e32 v53, 16, v50
	v_or_b32_e32 v54, 17, v50
	v_cmp_gt_i32_e64 s[22:23], s33, v53
	v_cmp_gt_i32_e64 s[24:25], s33, v54
	v_cndmask_b32_e64 v53, v52, v76, s[22:23]
	v_cndmask_b32_e64 v54, v52, v77, s[24:25]
	;; [unrolled: 7-line block ×3, first 2 shown]
	v_cvt_f32_i32_e32 v56, v56
	v_max3_f32 v51, v51, v53, v54
	v_or_b32_e32 v53, 32, v50
	v_or_b32_e32 v54, 33, v50
	v_cmp_gt_i32_e64 s[14:15], s33, v53
	v_cmp_gt_i32_e64 s[16:17], s33, v54
	v_cndmask_b32_e64 v53, v52, v72, s[14:15]
	v_cndmask_b32_e64 v54, v52, v73, s[16:17]
	v_max3_f32 v51, v51, v53, v54
	v_or_b32_e32 v53, 34, v50
	v_or_b32_e32 v54, 35, v50
	v_fmac_f32_e32 v71, v89, v56
	v_cmp_gt_i32_e64 s[10:11], s33, v53
	v_cmp_gt_i32_e64 s[12:13], s33, v54
	v_cndmask_b32_e64 v53, v52, v70, s[10:11]
	v_cndmask_b32_e64 v54, v52, v71, s[12:13]
	v_cvt_f32_i32_e32 v55, v55
	v_max3_f32 v51, v51, v53, v54
	v_or_b32_e32 v53, 48, v50
	v_or_b32_e32 v54, 49, v50
	v_cmp_gt_i32_e64 s[2:3], s33, v53
	v_cmp_gt_i32_e64 s[8:9], s33, v54
	v_cndmask_b32_e64 v53, v52, v68, s[2:3]
	v_cndmask_b32_e64 v54, v52, v69, s[8:9]
	v_max3_f32 v51, v51, v53, v54
	v_or_b32_e32 v53, 50, v50
	v_or_b32_e32 v50, 51, v50
	v_fma_f32 v66, v89, v55, v66
	v_cmp_gt_i32_e32 vcc, s33, v53
	v_cmp_gt_i32_e64 s[0:1], s33, v50
	v_cndmask_b32_e32 v53, v52, v66, vcc
	v_cndmask_b32_e64 v50, v52, v67, s[0:1]
	v_max3_f32 v60, v51, v53, v50
	v_mbcnt_lo_u32_b32 v50, -1, 0
	v_mbcnt_hi_u32_b32 v61, -1, v50
	v_and_b32_e32 v50, 64, v61
	v_add_u32_e32 v62, 64, v50
	v_xor_b32_e32 v50, 32, v61
	v_cmp_lt_i32_e64 s[38:39], v50, v62
	v_cndmask_b32_e64 v50, v61, v50, s[38:39]
	v_lshlrev_b32_e32 v89, 2, v50
	ds_bpermute_b32 v63, v89, v60
	v_add_co_u32_e64 v50, s[38:39], v91, v82
	v_addc_co_u32_e64 v51, s[38:39], v84, v83, s[38:39]
	s_waitcnt lgkmcnt(0)
	v_max_f32_e32 v63, v63, v63
	v_max_f32_e32 v63, v60, v63
	v_xor_b32_e32 v60, 16, v61
	v_cmp_lt_i32_e64 s[38:39], v60, v62
	v_cndmask_b32_e64 v60, v61, v60, s[38:39]
	v_lshlrev_b32_e32 v92, 2, v60
	ds_bpermute_b32 v62, v92, v63
	v_add_co_u32_e64 v60, s[38:39], v91, v80
	v_addc_co_u32_e64 v61, s[38:39], v84, v81, s[38:39]
	s_waitcnt lgkmcnt(0)
	v_max_f32_e32 v62, v62, v62
	v_max_f32_e32 v82, v63, v62
	v_sub_f32_e32 v58, v58, v82
	v_mul_f32_e32 v58, 0x3fb8aa3b, v58
	v_exp_f32_e32 v80, v58
	v_sub_f32_e32 v58, v59, v82
	v_mul_f32_e32 v58, 0x3fb8aa3b, v58
	global_load_dwordx4 v[54:57], v[50:51], off
	s_nop 0
	global_load_dwordx4 v[50:53], v[50:51], off offset:16
	v_exp_f32_e32 v81, v58
	global_load_dwordx4 v[62:65], v[60:61], off
	s_nop 0
	global_load_dwordx4 v[58:61], v[60:61], off offset:16
	v_sub_f32_e32 v78, v78, v82
	v_mul_f32_e32 v78, 0x3fb8aa3b, v78
	v_sub_f32_e32 v79, v79, v82
	v_exp_f32_e32 v78, v78
	v_mul_f32_e32 v79, 0x3fb8aa3b, v79
	v_sub_f32_e32 v76, v76, v82
	v_exp_f32_e32 v79, v79
	v_mul_f32_e32 v76, 0x3fb8aa3b, v76
	v_sub_f32_e32 v77, v77, v82
	v_cndmask_b32_e64 v80, 0, v80, s[28:29]
	v_exp_f32_e32 v76, v76
	v_mul_f32_e32 v77, 0x3fb8aa3b, v77
	v_sub_f32_e32 v74, v74, v82
	v_add_f32_e32 v83, 0, v80
	v_cndmask_b32_e64 v81, 0, v81, s[30:31]
	v_exp_f32_e32 v77, v77
	v_mul_f32_e32 v74, 0x3fb8aa3b, v74
	v_sub_f32_e32 v75, v75, v82
	v_add_f32_e32 v83, v83, v81
	;; [unrolled: 5-line block ×10, first 2 shown]
	v_cndmask_b32_e64 v70, 0, v70, s[10:11]
	v_exp_f32_e32 v66, v66
	v_mul_f32_e32 v67, 0x3fb8aa3b, v67
	v_add_f32_e32 v83, v83, v70
	v_cndmask_b32_e64 v71, 0, v71, s[12:13]
	v_exp_f32_e32 v67, v67
	v_add_f32_e32 v83, v83, v71
	v_cndmask_b32_e64 v68, 0, v68, s[2:3]
	v_add_f32_e32 v83, v83, v68
	v_cndmask_b32_e64 v69, 0, v69, s[8:9]
	v_add_f32_e32 v83, v83, v69
	v_cndmask_b32_e32 v66, 0, v66, vcc
	v_add_f32_e32 v83, v83, v66
	v_cndmask_b32_e64 v67, 0, v67, s[0:1]
	v_add_f32_e32 v83, v83, v67
	ds_bpermute_b32 v84, v89, v83
	s_load_dword s9, s[4:5], 0x98
	v_cmp_gt_u32_e64 s[0:1], 16, v88
	s_waitcnt lgkmcnt(0)
	s_barrier
	v_add_f32_e32 v83, v83, v84
	ds_bpermute_b32 v89, v92, v83
	s_waitcnt lgkmcnt(0)
	s_and_saveexec_b64 s[2:3], s[0:1]
	s_cbranch_execz .LBB300_15
; %bb.14:
	v_add_f32_e32 v83, v83, v89
	v_lshlrev_b32_e32 v84, 2, v90
	ds_write2st64_b32 v84, v82, v83 offset1:1
.LBB300_15:
	s_or_b64 exec, exec, s[2:3]
	v_lshlrev_b32_e32 v83, 2, v85
	s_load_dword s8, s[4:5], 0x94
	s_waitcnt lgkmcnt(0)
	s_barrier
	ds_read2_b32 v[88:89], v83 offset1:16
	ds_read2_b32 v[90:91], v83 offset0:32 offset1:48
	ds_read2_b32 v[92:93], v83 offset0:64 offset1:80
	s_movk_i32 s10, 0x7fff
	s_mov_b32 s11, 0x7060302
	s_waitcnt lgkmcnt(2)
	v_max3_f32 v82, v88, s40, v89
	s_waitcnt lgkmcnt(1)
	v_max3_f32 v82, v82, v90, v91
	v_sub_f32_e32 v84, v88, v82
	v_sub_f32_e32 v88, v89, v82
	v_mul_f32_e32 v88, 0x3fb8aa3b, v88
	v_mul_f32_e32 v84, 0x3fb8aa3b, v84
	v_exp_f32_e32 v94, v88
	v_sub_f32_e32 v88, v90, v82
	v_exp_f32_e32 v84, v84
	v_mul_f32_e32 v88, 0x3fb8aa3b, v88
	v_exp_f32_e32 v90, v88
	ds_read2_b32 v[88:89], v83 offset0:96 offset1:112
	v_sub_f32_e32 v83, v91, v82
	v_mul_f32_e32 v83, 0x3fb8aa3b, v83
	v_exp_f32_e32 v91, v83
	s_waitcnt lgkmcnt(1)
	v_fma_f32 v83, v84, v92, 0
	v_fmac_f32_e32 v83, v94, v93
	s_waitcnt lgkmcnt(0)
	v_fmac_f32_e32 v83, v90, v88
	v_fmac_f32_e32 v83, v91, v89
	v_add_f32_e32 v88, 0x358637bd, v83
	v_div_scale_f32 v89, s[2:3], v88, v88, 1.0
	v_rcp_f32_e32 v92, v89
	s_mul_i32 s9, s9, 13
	s_barrier
	v_fma_f32 v93, -v89, v92, 1.0
	v_fmac_f32_e32 v92, v93, v92
	v_div_scale_f32 v93, vcc, 1.0, v88, 1.0
	v_mul_f32_e32 v95, v93, v92
	v_fma_f32 v86, -v89, v95, v93
	v_fmac_f32_e32 v95, v86, v92
	v_fma_f32 v86, -v89, v95, v93
	v_div_fmas_f32 v86, v86, v92, v95
	v_cmp_eq_u32_e32 vcc, 1, v87
	v_cndmask_b32_e32 v84, v84, v94, vcc
	v_cmp_eq_u32_e32 vcc, 2, v87
	v_cndmask_b32_e32 v84, v84, v90, vcc
	v_cmp_eq_u32_e32 vcc, 3, v87
	v_div_fixup_f32 v86, v86, v88, 1.0
	v_cndmask_b32_e32 v84, v84, v91, vcc
	v_mul_f32_e32 v88, v84, v86
	v_pk_mul_f32 v[80:81], v[88:89], v[80:81] op_sel_hi:[0,1]
	v_bfe_u32 v84, v81, 16, 1
	v_bfe_u32 v86, v80, 16, 1
	v_pk_mul_f32 v[78:79], v[88:89], v[78:79] op_sel_hi:[0,1]
	v_add3_u32 v80, v80, v86, s10
	v_add3_u32 v81, v81, v84, s10
	v_perm_b32 v80, v81, v80, s11
	v_bfe_u32 v81, v79, 16, 1
	v_bfe_u32 v84, v78, 16, 1
	v_add3_u32 v78, v78, v84, s10
	v_add3_u32 v79, v79, v81, s10
	v_perm_b32 v81, v79, v78, s11
	v_lshlrev_b32_e32 v78, 3, v1
	v_lshlrev_b32_e32 v79, 5, v85
	v_lshlrev_b32_e32 v84, 11, v87
	v_pk_mul_f32 v[76:77], v[88:89], v[76:77] op_sel_hi:[0,1]
	v_or3_b32 v78, v84, v79, v78
	v_bfe_u32 v84, v77, 16, 1
	v_bfe_u32 v86, v76, 16, 1
	v_pk_mul_f32 v[74:75], v[88:89], v[74:75] op_sel_hi:[0,1]
	v_add3_u32 v76, v76, v86, s10
	v_add3_u32 v77, v77, v84, s10
	v_perm_b32 v76, v77, v76, s11
	v_bfe_u32 v77, v75, 16, 1
	v_bfe_u32 v84, v74, 16, 1
	v_add3_u32 v74, v74, v84, s10
	v_add3_u32 v75, v75, v77, s10
	v_pk_mul_f32 v[72:73], v[88:89], v[72:73] op_sel_hi:[0,1]
	v_perm_b32 v77, v75, v74, s11
	v_bfe_u32 v74, v73, 16, 1
	v_bfe_u32 v75, v72, 16, 1
	v_pk_mul_f32 v[70:71], v[88:89], v[70:71] op_sel_hi:[0,1]
	v_add3_u32 v72, v72, v75, s10
	v_add3_u32 v73, v73, v74, s10
	v_perm_b32 v72, v73, v72, s11
	v_bfe_u32 v73, v71, 16, 1
	v_bfe_u32 v74, v70, 16, 1
	v_add3_u32 v70, v70, v74, s10
	v_add3_u32 v71, v71, v73, s10
	v_pk_mul_f32 v[68:69], v[88:89], v[68:69] op_sel_hi:[0,1]
	v_perm_b32 v73, v71, v70, s11
	v_bfe_u32 v70, v69, 16, 1
	v_bfe_u32 v71, v68, 16, 1
	v_pk_mul_f32 v[66:67], v[88:89], v[66:67] op_sel_hi:[0,1]
	v_add3_u32 v68, v68, v71, s10
	v_add3_u32 v69, v69, v70, s10
	v_perm_b32 v68, v69, v68, s11
	v_bfe_u32 v69, v67, 16, 1
	v_bfe_u32 v70, v66, 16, 1
	v_add3_u32 v66, v66, v70, s10
	v_add3_u32 v67, v67, v69, s10
	v_perm_b32 v69, v67, v66, s11
	v_cmp_gt_u32_e32 vcc, 13, v0
	ds_write2st64_b64 v78, v[80:81], v[76:77] offset1:1
	ds_write2st64_b64 v78, v[72:73], v[68:69] offset0:2 offset1:3
	s_and_saveexec_b64 s[2:3], vcc
	s_cbranch_execz .LBB300_17
; %bb.16:
	v_add_co_u32_e32 v68, vcc, s27, v85
	v_addc_co_u32_e64 v69, s[16:17], 0, 0, vcc
	v_mov_b32_e32 v66, s9
	v_mov_b32_e32 v67, 0
	v_mad_u64_u32 v[68:69], s[16:17], s6, v66, v[68:69]
	v_mov_b32_e32 v66, s26
	s_load_dwordx4 s[12:15], s[4:5], 0x58
	s_mul_i32 s7, s7, s9
	v_mad_u64_u32 v[66:67], s[16:17], v68, s8, v[66:67]
	v_add_u32_e32 v69, s7, v69
	v_mov_b32_e32 v68, v67
	v_mad_u64_u32 v[68:69], s[16:17], v69, s8, v[68:69]
	v_mov_b32_e32 v67, v68
	v_lshlrev_b64 v[66:67], 2, v[66:67]
	s_waitcnt lgkmcnt(0)
	v_mov_b32_e32 v69, s15
	v_add_co_u32_e32 v68, vcc, s14, v66
	v_addc_co_u32_e32 v69, vcc, v69, v67, vcc
	global_store_dword v[68:69], v82, off
	v_mov_b32_e32 v68, s13
	v_add_co_u32_e32 v66, vcc, s12, v66
	v_addc_co_u32_e32 v67, vcc, v68, v67, vcc
	global_store_dword v[66:67], v83, off
.LBB300_17:
	s_or_b64 exec, exec, s[2:3]
	v_lshl_or_b32 v79, v1, 9, v79
	s_waitcnt lgkmcnt(0)
	s_barrier
	ds_read_b128 v[70:73], v79
	ds_read_b128 v[66:69], v79 offset:16
	s_waitcnt vmcnt(15) lgkmcnt(1)
	v_mfma_f32_16x16x16bf16_1k v[74:77], v[46:47], v[70:71], 0
	s_mov_b32 s3, 0
	v_cmp_gt_u32_e32 vcc, 64, v0
	v_mfma_f32_16x16x16bf16_1k v[46:49], v[48:49], v[72:73], v[74:77]
	s_waitcnt vmcnt(14) lgkmcnt(0)
	v_mfma_f32_16x16x16bf16_1k v[46:49], v[42:43], v[66:67], v[46:49]
	v_mfma_f32_16x16x16bf16_1k v[42:45], v[44:45], v[68:69], v[46:49]
	s_nop 7
	s_nop 1
	ds_read_b128 v[46:49], v79 offset:2048
	ds_read_b128 v[74:77], v79 offset:2064
	s_waitcnt vmcnt(13) lgkmcnt(1)
	v_mfma_f32_16x16x16bf16_1k v[42:45], v[38:39], v[46:47], v[42:45]
	v_mfma_f32_16x16x16bf16_1k v[38:41], v[40:41], v[48:49], v[42:45]
	s_waitcnt vmcnt(12) lgkmcnt(0)
	v_mfma_f32_16x16x16bf16_1k v[38:41], v[34:35], v[74:75], v[38:41]
	v_mfma_f32_16x16x16bf16_1k v[34:37], v[36:37], v[76:77], v[38:41]
	s_nop 7
	s_nop 1
	ds_read_b128 v[38:41], v79 offset:4096
	ds_read_b128 v[42:45], v79 offset:4112
	s_waitcnt vmcnt(11) lgkmcnt(1)
	v_mfma_f32_16x16x16bf16_1k v[34:37], v[30:31], v[38:39], v[34:37]
	v_mfma_f32_16x16x16bf16_1k v[30:33], v[32:33], v[40:41], v[34:37]
	s_waitcnt vmcnt(10) lgkmcnt(0)
	v_mfma_f32_16x16x16bf16_1k v[30:33], v[26:27], v[42:43], v[30:33]
	v_mfma_f32_16x16x16bf16_1k v[26:29], v[28:29], v[44:45], v[30:33]
	s_nop 7
	s_nop 1
	ds_read_b128 v[30:33], v79 offset:6144
	ds_read_b128 v[34:37], v79 offset:6160
	s_waitcnt lgkmcnt(0)
	s_barrier
	s_waitcnt vmcnt(9)
	v_mfma_f32_16x16x16bf16_1k v[26:29], v[22:23], v[30:31], v[26:29]
	v_mfma_f32_16x16x16bf16_1k v[22:25], v[24:25], v[32:33], v[26:29]
	s_waitcnt vmcnt(8)
	v_mfma_f32_16x16x16bf16_1k v[22:25], v[18:19], v[34:35], v[22:25]
	v_mfma_f32_16x16x16bf16_1k v[18:21], v[20:21], v[36:37], v[22:25]
	;; [unrolled: 3-line block ×4, first 2 shown]
	s_waitcnt vmcnt(5)
	v_mfma_f32_16x16x16bf16_1k v[2:5], v[14:15], v[46:47], v[2:5]
	s_nop 7
	v_bfe_u32 v6, v19, 16, 1
	v_bfe_u32 v7, v18, 16, 1
	v_add3_u32 v7, v18, v7, s10
	v_add3_u32 v6, v19, v6, s10
	v_perm_b32 v6, v6, v7, s11
	v_bfe_u32 v7, v21, 16, 1
	v_bfe_u32 v8, v20, 16, 1
	v_mfma_f32_16x16x16bf16_1k v[2:5], v[16:17], v[48:49], v[2:5]
	v_add3_u32 v8, v20, v8, s10
	v_add3_u32 v7, v21, v7, s10
	v_perm_b32 v7, v7, v8, s11
	s_waitcnt vmcnt(4)
	v_mfma_f32_16x16x16bf16_1k v[2:5], v[10:11], v[74:75], v[2:5]
	v_mfma_f32_16x16x16bf16_1k v[2:5], v[12:13], v[76:77], v[2:5]
	s_waitcnt vmcnt(3)
	v_mfma_f32_16x16x16bf16_1k v[2:5], v[54:55], v[38:39], v[2:5]
	v_mfma_f32_16x16x16bf16_1k v[2:5], v[56:57], v[40:41], v[2:5]
	;; [unrolled: 3-line block ×5, first 2 shown]
	s_nop 7
	s_nop 2
	v_bfe_u32 v8, v3, 16, 1
	v_bfe_u32 v9, v2, 16, 1
	v_add3_u32 v2, v2, v9, s10
	v_add3_u32 v3, v3, v8, s10
	v_perm_b32 v2, v3, v2, s11
	v_bfe_u32 v3, v5, 16, 1
	v_bfe_u32 v8, v4, 16, 1
	v_add3_u32 v4, v4, v8, s10
	v_add3_u32 v3, v5, v3, s10
	v_perm_b32 v3, v3, v4, s11
	ds_write2st64_b64 v78, v[6:7], v[2:3] offset1:1
	s_waitcnt lgkmcnt(0)
	s_barrier
	s_and_saveexec_b64 s[10:11], vcc
	s_cbranch_execz .LBB300_20
; %bb.18:
	v_lshlrev_b32_e32 v4, 6, v85
	v_lshlrev_b32_e32 v3, 4, v0
	v_lshl_or_b32 v0, v0, 10, v4
	v_lshlrev_b32_e32 v2, 5, v1
	v_and_b32_e32 v3, 16, v3
	v_and_b32_e32 v0, 0x1a00, v0
	v_or3_b32 v0, v0, v2, v3
	buffer_load_dword v2, off, s[44:47], 0  ; 4-byte Folded Reload
	s_load_dwordx2 s[10:11], s[4:5], 0x68
	s_lshl_b32 s4, s8, 7
	s_mul_i32 s2, s9, s6
	s_mul_hi_u32 s7, s2, s4
	s_mul_i32 s6, s2, s4
	s_lshl_b64 s[6:7], s[6:7], 1
	s_waitcnt lgkmcnt(0)
	s_add_u32 s5, s10, s6
	s_addc_u32 s6, s11, s7
	s_lshl_b32 s2, s26, 7
	s_lshl_b64 s[2:3], s[2:3], 1
	s_add_u32 s2, s5, s2
	ds_read_b128 v[4:7], v0 offset:256
	s_addc_u32 s3, s6, s3
	ds_read_b128 v[8:11], v0 offset:128
	ds_read_b128 v[12:15], v0
	v_add_u32_e32 v18, s27, v1
	v_mov_b32_e32 v3, s3
	s_waitcnt vmcnt(0)
	v_add_co_u32_e32 v2, vcc, s2, v2
	v_mad_u64_u32 v[16:17], s[2:3], v18, s4, 0
	v_addc_co_u32_e32 v3, vcc, 0, v3, vcc
	v_lshlrev_b64 v[16:17], 1, v[16:17]
	v_add_co_u32_e32 v16, vcc, v2, v16
	v_addc_co_u32_e32 v17, vcc, v3, v17, vcc
	s_waitcnt lgkmcnt(0)
	global_store_dwordx4 v[16:17], v[12:15], off
	s_nop 0
	v_add_u32_e32 v12, 4, v18
	v_mad_u64_u32 v[12:13], s[2:3], v12, s4, 0
	v_lshlrev_b64 v[12:13], 1, v[12:13]
	v_add_co_u32_e32 v12, vcc, v2, v12
	v_addc_co_u32_e32 v13, vcc, v3, v13, vcc
	global_store_dwordx4 v[12:13], v[8:11], off
	s_nop 0
	v_add_u32_e32 v8, 8, v18
	v_mad_u64_u32 v[8:9], s[2:3], v8, s4, 0
	v_lshlrev_b64 v[8:9], 1, v[8:9]
	v_add_co_u32_e32 v8, vcc, v2, v8
	v_addc_co_u32_e32 v9, vcc, v3, v9, vcc
	global_store_dwordx4 v[8:9], v[4:7], off
	s_and_b64 exec, exec, s[0:1]
	s_cbranch_execz .LBB300_20
; %bb.19:
	ds_read_b128 v[4:7], v0 offset:384
	v_add3_u32 v0, s27, v1, 12
	v_mad_u64_u32 v[0:1], s[0:1], v0, s4, 0
	v_lshlrev_b64 v[0:1], 1, v[0:1]
	v_add_co_u32_e32 v0, vcc, v2, v0
	v_addc_co_u32_e32 v1, vcc, v3, v1, vcc
	s_waitcnt lgkmcnt(0)
	global_store_dwordx4 v[0:1], v[4:7], off
.LBB300_20:
	s_endpgm
	.section	.rodata,"a",@progbits
	.p2align	6, 0x0
	.amdhsa_kernel _Z39paged_attention_ll4mi_QKV_mfma16_kernelI14__hip_bfloat16S0_LN4vllm18Fp8KVCacheDataTypeE0ES0_Li16ELi128ELi256ELb1ELi13EL8MFMAType0EEvPKT_PKT0_S9_ifPKiSB_SB_iPKfiiiPfSE_PS4_PT2_iSD_SD_
		.amdhsa_group_segment_fixed_size 8192
		.amdhsa_private_segment_fixed_size 8
		.amdhsa_kernarg_size 400
		.amdhsa_user_sgpr_count 6
		.amdhsa_user_sgpr_private_segment_buffer 1
		.amdhsa_user_sgpr_dispatch_ptr 0
		.amdhsa_user_sgpr_queue_ptr 0
		.amdhsa_user_sgpr_kernarg_segment_ptr 1
		.amdhsa_user_sgpr_dispatch_id 0
		.amdhsa_user_sgpr_flat_scratch_init 0
		.amdhsa_user_sgpr_kernarg_preload_length 0
		.amdhsa_user_sgpr_kernarg_preload_offset 0
		.amdhsa_user_sgpr_private_segment_size 0
		.amdhsa_uses_dynamic_stack 0
		.amdhsa_system_sgpr_private_segment_wavefront_offset 1
		.amdhsa_system_sgpr_workgroup_id_x 1
		.amdhsa_system_sgpr_workgroup_id_y 1
		.amdhsa_system_sgpr_workgroup_id_z 1
		.amdhsa_system_sgpr_workgroup_info 0
		.amdhsa_system_vgpr_workitem_id 0
		.amdhsa_next_free_vgpr 96
		.amdhsa_next_free_sgpr 48
		.amdhsa_accum_offset 96
		.amdhsa_reserve_vcc 1
		.amdhsa_reserve_flat_scratch 0
		.amdhsa_float_round_mode_32 0
		.amdhsa_float_round_mode_16_64 0
		.amdhsa_float_denorm_mode_32 3
		.amdhsa_float_denorm_mode_16_64 3
		.amdhsa_dx10_clamp 1
		.amdhsa_ieee_mode 1
		.amdhsa_fp16_overflow 0
		.amdhsa_tg_split 0
		.amdhsa_exception_fp_ieee_invalid_op 0
		.amdhsa_exception_fp_denorm_src 0
		.amdhsa_exception_fp_ieee_div_zero 0
		.amdhsa_exception_fp_ieee_overflow 0
		.amdhsa_exception_fp_ieee_underflow 0
		.amdhsa_exception_fp_ieee_inexact 0
		.amdhsa_exception_int_div_zero 0
	.end_amdhsa_kernel
	.section	.text._Z39paged_attention_ll4mi_QKV_mfma16_kernelI14__hip_bfloat16S0_LN4vllm18Fp8KVCacheDataTypeE0ES0_Li16ELi128ELi256ELb1ELi13EL8MFMAType0EEvPKT_PKT0_S9_ifPKiSB_SB_iPKfiiiPfSE_PS4_PT2_iSD_SD_,"axG",@progbits,_Z39paged_attention_ll4mi_QKV_mfma16_kernelI14__hip_bfloat16S0_LN4vllm18Fp8KVCacheDataTypeE0ES0_Li16ELi128ELi256ELb1ELi13EL8MFMAType0EEvPKT_PKT0_S9_ifPKiSB_SB_iPKfiiiPfSE_PS4_PT2_iSD_SD_,comdat
.Lfunc_end300:
	.size	_Z39paged_attention_ll4mi_QKV_mfma16_kernelI14__hip_bfloat16S0_LN4vllm18Fp8KVCacheDataTypeE0ES0_Li16ELi128ELi256ELb1ELi13EL8MFMAType0EEvPKT_PKT0_S9_ifPKiSB_SB_iPKfiiiPfSE_PS4_PT2_iSD_SD_, .Lfunc_end300-_Z39paged_attention_ll4mi_QKV_mfma16_kernelI14__hip_bfloat16S0_LN4vllm18Fp8KVCacheDataTypeE0ES0_Li16ELi128ELi256ELb1ELi13EL8MFMAType0EEvPKT_PKT0_S9_ifPKiSB_SB_iPKfiiiPfSE_PS4_PT2_iSD_SD_
                                        ; -- End function
	.section	.AMDGPU.csdata,"",@progbits
; Kernel info:
; codeLenInByte = 5280
; NumSgprs: 52
; NumVgprs: 96
; NumAgprs: 0
; TotalNumVgprs: 96
; ScratchSize: 8
; MemoryBound: 0
; FloatMode: 240
; IeeeMode: 1
; LDSByteSize: 8192 bytes/workgroup (compile time only)
; SGPRBlocks: 6
; VGPRBlocks: 11
; NumSGPRsForWavesPerEU: 52
; NumVGPRsForWavesPerEU: 96
; AccumOffset: 96
; Occupancy: 5
; WaveLimiterHint : 1
; COMPUTE_PGM_RSRC2:SCRATCH_EN: 1
; COMPUTE_PGM_RSRC2:USER_SGPR: 6
; COMPUTE_PGM_RSRC2:TRAP_HANDLER: 0
; COMPUTE_PGM_RSRC2:TGID_X_EN: 1
; COMPUTE_PGM_RSRC2:TGID_Y_EN: 1
; COMPUTE_PGM_RSRC2:TGID_Z_EN: 1
; COMPUTE_PGM_RSRC2:TIDIG_COMP_CNT: 0
; COMPUTE_PGM_RSRC3_GFX90A:ACCUM_OFFSET: 23
; COMPUTE_PGM_RSRC3_GFX90A:TG_SPLIT: 0
	.section	.text._Z39paged_attention_ll4mi_QKV_mfma16_kernelI14__hip_bfloat16S0_LN4vllm18Fp8KVCacheDataTypeE0ES0_Li16ELi128ELi256ELb1ELi14EL8MFMAType0EEvPKT_PKT0_S9_ifPKiSB_SB_iPKfiiiPfSE_PS4_PT2_iSD_SD_,"axG",@progbits,_Z39paged_attention_ll4mi_QKV_mfma16_kernelI14__hip_bfloat16S0_LN4vllm18Fp8KVCacheDataTypeE0ES0_Li16ELi128ELi256ELb1ELi14EL8MFMAType0EEvPKT_PKT0_S9_ifPKiSB_SB_iPKfiiiPfSE_PS4_PT2_iSD_SD_,comdat
	.protected	_Z39paged_attention_ll4mi_QKV_mfma16_kernelI14__hip_bfloat16S0_LN4vllm18Fp8KVCacheDataTypeE0ES0_Li16ELi128ELi256ELb1ELi14EL8MFMAType0EEvPKT_PKT0_S9_ifPKiSB_SB_iPKfiiiPfSE_PS4_PT2_iSD_SD_ ; -- Begin function _Z39paged_attention_ll4mi_QKV_mfma16_kernelI14__hip_bfloat16S0_LN4vllm18Fp8KVCacheDataTypeE0ES0_Li16ELi128ELi256ELb1ELi14EL8MFMAType0EEvPKT_PKT0_S9_ifPKiSB_SB_iPKfiiiPfSE_PS4_PT2_iSD_SD_
	.globl	_Z39paged_attention_ll4mi_QKV_mfma16_kernelI14__hip_bfloat16S0_LN4vllm18Fp8KVCacheDataTypeE0ES0_Li16ELi128ELi256ELb1ELi14EL8MFMAType0EEvPKT_PKT0_S9_ifPKiSB_SB_iPKfiiiPfSE_PS4_PT2_iSD_SD_
	.p2align	8
	.type	_Z39paged_attention_ll4mi_QKV_mfma16_kernelI14__hip_bfloat16S0_LN4vllm18Fp8KVCacheDataTypeE0ES0_Li16ELi128ELi256ELb1ELi14EL8MFMAType0EEvPKT_PKT0_S9_ifPKiSB_SB_iPKfiiiPfSE_PS4_PT2_iSD_SD_,@function
_Z39paged_attention_ll4mi_QKV_mfma16_kernelI14__hip_bfloat16S0_LN4vllm18Fp8KVCacheDataTypeE0ES0_Li16ELi128ELi256ELb1ELi14EL8MFMAType0EEvPKT_PKT0_S9_ifPKiSB_SB_iPKfiiiPfSE_PS4_PT2_iSD_SD_: ; @_Z39paged_attention_ll4mi_QKV_mfma16_kernelI14__hip_bfloat16S0_LN4vllm18Fp8KVCacheDataTypeE0ES0_Li16ELi128ELi256ELb1ELi14EL8MFMAType0EEvPKT_PKT0_S9_ifPKiSB_SB_iPKfiiiPfSE_PS4_PT2_iSD_SD_
; %bb.0:
	s_mov_b64 s[46:47], s[2:3]
	s_mov_b64 s[44:45], s[0:1]
	s_load_dwordx2 s[0:1], s[4:5], 0x30
	s_add_u32 s44, s44, s9
	s_addc_u32 s45, s45, 0
	s_mov_b32 s26, s7
	s_mov_b64 s[10:11], 0
	s_waitcnt lgkmcnt(0)
	s_cmp_lg_u64 s[0:1], 0
	s_cselect_b64 s[2:3], -1, 0
	s_and_b64 vcc, exec, s[2:3]
	s_cbranch_vccz .LBB301_7
; %bb.1:
	s_add_i32 s12, s6, 1
	s_mov_b32 s13, 0
	s_lshl_b64 s[14:15], s[12:13], 2
	s_add_u32 s14, s0, s14
	s_mov_b32 s7, s13
	s_addc_u32 s15, s1, s15
	s_lshl_b64 s[12:13], s[6:7], 2
	s_add_u32 s12, s0, s12
	s_addc_u32 s13, s1, s13
	s_load_dword s9, s[14:15], 0x0
	s_load_dword s16, s[12:13], 0x0
	s_waitcnt lgkmcnt(0)
	s_sub_i32 s9, s9, s16
	s_cmp_eq_u32 s9, 1
	s_cselect_b64 s[12:13], -1, 0
	s_andn2_b64 vcc, exec, s[10:11]
	s_cbranch_vccnz .LBB301_3
.LBB301_2:
	s_mov_b32 s7, 0
	s_mov_b64 s[12:13], -1
.LBB301_3:
	s_andn2_b64 vcc, exec, s[12:13]
	s_cbranch_vccnz .LBB301_20
; %bb.4:
	s_load_dwordx2 s[12:13], s[4:5], 0x28
	s_lshl_b64 s[10:11], s[6:7], 2
	s_waitcnt lgkmcnt(0)
	s_add_u32 s12, s12, s10
	s_addc_u32 s13, s13, s11
	s_load_dword s33, s[12:13], 0x0
	s_lshl_b32 s16, s26, 8
	s_waitcnt lgkmcnt(0)
	s_cmp_ge_i32 s16, s33
	s_cbranch_scc1 .LBB301_20
; %bb.5:
	s_add_i32 s14, s33, 15
	s_load_dwordx2 s[12:13], s[4:5], 0x20
	s_load_dword s9, s[4:5], 0x38
	s_ashr_i32 s15, s14, 31
	v_and_b32_e32 v1, 0xcf, v0
	s_lshr_b32 s15, s15, 28
	v_add_u32_e32 v1, s16, v1
	s_add_i32 s14, s14, s15
	v_ashrrev_i32_e32 v2, 31, v1
	s_ashr_i32 s19, s14, 4
	v_lshrrev_b32_e32 v4, 28, v2
	s_add_i32 s19, s19, -1
	v_add_u32_e32 v2, v1, v4
	s_waitcnt lgkmcnt(0)
	s_mul_i32 s14, s6, s9
	s_mov_b32 s15, 0
	v_ashrrev_i32_e32 v2, 4, v2
	v_mov_b32_e32 v5, s19
	v_cmp_gt_i32_e32 vcc, s33, v1
	s_lshl_b64 s[14:15], s[14:15], 2
	v_cndmask_b32_e32 v2, v5, v2, vcc
	s_add_u32 s17, s12, s14
	v_ashrrev_i32_e32 v3, 31, v2
	s_addc_u32 s18, s13, s15
	v_lshlrev_b64 v[2:3], 2, v[2:3]
	v_mov_b32_e32 v7, s18
	v_add_co_u32_e32 v6, vcc, s17, v2
	v_or_b32_e32 v2, 16, v1
	v_addc_co_u32_e32 v7, vcc, v7, v3, vcc
	v_add_u32_e32 v3, v2, v4
	v_ashrrev_i32_e32 v3, 4, v3
	v_cmp_gt_i32_e32 vcc, s33, v2
	v_cndmask_b32_e32 v2, v5, v3, vcc
	v_ashrrev_i32_e32 v3, 31, v2
	v_lshlrev_b64 v[2:3], 2, v[2:3]
	v_mov_b32_e32 v9, s18
	v_add_co_u32_e32 v8, vcc, s17, v2
	v_or_b32_e32 v2, 32, v1
	v_addc_co_u32_e32 v9, vcc, v9, v3, vcc
	v_add_u32_e32 v3, v2, v4
	v_ashrrev_i32_e32 v3, 4, v3
	v_cmp_gt_i32_e32 vcc, s33, v2
	v_cndmask_b32_e32 v2, v5, v3, vcc
	v_ashrrev_i32_e32 v3, 31, v2
	;; [unrolled: 10-line block ×3, first 2 shown]
	v_lshlrev_b64 v[2:3], 2, v[2:3]
	v_mov_b32_e32 v1, s18
	v_add_co_u32_e32 v12, vcc, s17, v2
	v_addc_co_u32_e32 v13, vcc, v1, v3, vcc
	global_load_dword v5, v[6:7], off
	global_load_dword v4, v[8:9], off
	;; [unrolled: 1-line block ×4, first 2 shown]
	s_load_dwordx2 s[12:13], s[4:5], 0x8
	s_andn2_b64 vcc, exec, s[2:3]
	s_cbranch_vccnz .LBB301_8
; %bb.6:
	s_add_u32 s0, s0, s10
	s_addc_u32 s1, s1, s11
	s_load_dword s9, s[0:1], 0x0
	s_branch .LBB301_9
.LBB301_7:
	s_mov_b64 s[12:13], 0
	s_branch .LBB301_2
.LBB301_8:
	s_mov_b32 s9, s6
.LBB301_9:
	s_load_dwordx2 s[10:11], s[4:5], 0x10
	s_load_dwordx4 s[0:3], s[4:5], 0x48
	v_lshrrev_b32_e32 v87, 6, v0
	v_bfe_u32 v1, v0, 4, 2
	v_and_b32_e32 v85, 15, v0
	v_lshl_or_b32 v6, v87, 2, v1
	v_lshlrev_b32_e32 v7, 3, v85
	s_mul_i32 s27, s8, 14
	v_cmp_gt_u32_e32 vcc, 14, v6
	v_lshlrev_b32_e32 v7, 1, v7
	buffer_store_dword v7, off, s[44:47], 0 ; 4-byte Folded Spill
	s_and_saveexec_b64 s[14:15], vcc
	s_cbranch_execz .LBB301_11
; %bb.10:
	s_load_dwordx2 s[20:21], s[4:5], 0x0
	s_waitcnt lgkmcnt(0)
	s_ashr_i32 s3, s0, 31
	s_mul_hi_u32 s22, s9, s0
	s_mul_i32 s3, s9, s3
	s_add_i32 s23, s22, s3
	s_mul_i32 s22, s9, s0
	s_lshl_b64 s[22:23], s[22:23], 1
	v_add_lshl_u32 v8, v6, s27, 7
	s_add_u32 s0, s20, s22
	v_ashrrev_i32_e32 v9, 31, v8
	s_addc_u32 s3, s21, s23
	v_lshlrev_b64 v[8:9], 1, v[8:9]
	v_mov_b32_e32 v7, s3
	v_add_co_u32_e32 v8, vcc, s0, v8
	v_addc_co_u32_e32 v7, vcc, v7, v9, vcc
	buffer_load_dword v9, off, s[44:47], 0  ; 4-byte Folded Reload
	v_lshlrev_b32_e32 v12, 9, v85
	v_lshlrev_b32_e32 v6, 5, v6
	v_and_b32_e32 v12, 0x1800, v12
	s_waitcnt vmcnt(0)
	v_add_co_u32_e32 v8, vcc, v8, v9
	v_addc_co_u32_e32 v9, vcc, 0, v7, vcc
	global_load_dwordx4 v[8:11], v[8:9], off
	v_and_b32_e32 v7, 3, v0
	v_lshlrev_b32_e32 v7, 9, v7
	v_or3_b32 v6, v12, v7, v6
	s_waitcnt vmcnt(0)
	ds_write_b128 v6, v[8:11]
.LBB301_11:
	s_or_b64 exec, exec, s[14:15]
	s_waitcnt lgkmcnt(0)
	s_mul_i32 s2, s8, s2
	s_mov_b32 s3, 0
	s_lshl_b64 s[2:3], s[2:3], 1
	s_add_u32 s0, s12, s2
	v_lshlrev_b32_e32 v10, 4, v0
	s_addc_u32 s8, s13, s3
	v_and_b32_e32 v6, 0xf0, v10
	v_mov_b32_e32 v7, s8
	v_add_co_u32_e32 v8, vcc, s0, v6
	v_addc_co_u32_e32 v9, vcc, 0, v7, vcc
	s_waitcnt vmcnt(4)
	v_mad_i64_i32 v[6:7], s[8:9], v5, s1, 0
	v_lshlrev_b64 v[6:7], 1, v[6:7]
	v_add_co_u32_e32 v5, vcc, v8, v6
	v_addc_co_u32_e32 v7, vcc, v9, v7, vcc
	v_and_b32_e32 v10, 0x300, v10
	v_add_co_u32_e32 v6, vcc, v5, v10
	s_waitcnt vmcnt(3)
	v_mad_i64_i32 v[4:5], s[8:9], v4, s1, 0
	v_addc_co_u32_e32 v7, vcc, 0, v7, vcc
	v_lshlrev_b64 v[4:5], 1, v[4:5]
	v_add_co_u32_e32 v4, vcc, v8, v4
	v_addc_co_u32_e32 v5, vcc, v9, v5, vcc
	v_add_co_u32_e32 v4, vcc, v4, v10
	v_addc_co_u32_e32 v5, vcc, 0, v5, vcc
	s_barrier
	global_load_dwordx4 v[74:77], v[6:7], off
	global_load_dwordx4 v[66:69], v[6:7], off offset:1024
	global_load_dwordx4 v[58:61], v[6:7], off offset:2048
	;; [unrolled: 1-line block ×3, first 2 shown]
	global_load_dwordx4 v[78:81], v[4:5], off
	global_load_dwordx4 v[70:73], v[4:5], off offset:1024
	global_load_dwordx4 v[62:65], v[4:5], off offset:2048
	;; [unrolled: 1-line block ×3, first 2 shown]
	s_waitcnt vmcnt(10)
	v_mad_i64_i32 v[4:5], s[8:9], v3, s1, 0
	v_lshlrev_b64 v[4:5], 1, v[4:5]
	v_add_co_u32_e32 v3, vcc, v8, v4
	v_addc_co_u32_e32 v5, vcc, v9, v5, vcc
	v_add_co_u32_e32 v4, vcc, v3, v10
	s_waitcnt vmcnt(9)
	v_mad_i64_i32 v[2:3], s[8:9], v2, s1, 0
	v_addc_co_u32_e32 v5, vcc, 0, v5, vcc
	v_lshlrev_b64 v[2:3], 1, v[2:3]
	v_add_co_u32_e32 v2, vcc, v8, v2
	v_addc_co_u32_e32 v3, vcc, v9, v3, vcc
	v_add_co_u32_e32 v6, vcc, v2, v10
	v_addc_co_u32_e32 v7, vcc, 0, v3, vcc
	global_load_dwordx4 v[38:41], v[4:5], off
	global_load_dwordx4 v[34:37], v[4:5], off offset:1024
	global_load_dwordx4 v[30:33], v[4:5], off offset:2048
	;; [unrolled: 1-line block ×3, first 2 shown]
	global_load_dwordx4 v[18:21], v[6:7], off
	global_load_dwordx4 v[10:13], v[6:7], off offset:1024
	s_nop 0
	global_load_dwordx4 v[2:5], v[6:7], off offset:2048
	global_load_dwordx4 v[50:53], v[6:7], off offset:3072
	v_add_u32_e32 v6, -14, v85
	v_cmp_gt_u32_e32 vcc, 14, v85
	v_cndmask_b32_e32 v6, v6, v85, vcc
	v_lshlrev_b32_e32 v6, 5, v6
	v_lshl_add_u32 v54, v1, 9, v6
	ds_read_b128 v[26:29], v54
	ds_read_b128 v[14:17], v54 offset:2048
	ds_read_b128 v[6:9], v54 offset:4096
	;; [unrolled: 1-line block ×3, first 2 shown]
	v_and_b32_e32 v88, 63, v0
	v_mov_b32_e32 v89, 0
	s_and_saveexec_b64 s[8:9], vcc
	s_cbranch_execz .LBB301_13
; %bb.12:
	s_load_dwordx2 s[12:13], s[4:5], 0x40
	v_add_u32_e32 v82, s27, v85
	v_ashrrev_i32_e32 v83, 31, v82
	v_lshlrev_b64 v[82:83], 2, v[82:83]
	s_waitcnt lgkmcnt(0)
	v_mov_b32_e32 v89, s13
	v_add_co_u32_e32 v82, vcc, s12, v82
	v_addc_co_u32_e32 v83, vcc, v89, v83, vcc
	global_load_dword v89, v[82:83], off
.LBB301_13:
	s_or_b64 exec, exec, s[8:9]
	s_waitcnt vmcnt(15) lgkmcnt(3)
	v_mfma_f32_16x16x16bf16_1k v[90:93], v[74:75], v[26:27], 0
	s_add_u32 s8, s10, s2
	s_addc_u32 s9, s11, s3
	s_load_dword s0, s[4:5], 0x1c
	s_mov_b32 s40, 0xff7fffff
	v_mfma_f32_16x16x16bf16_1k v[74:77], v[76:77], v[28:29], v[90:93]
	s_waitcnt vmcnt(14) lgkmcnt(0)
	v_mfma_f32_16x16x16bf16_1k v[74:77], v[66:67], v[14:15], v[74:77]
	s_nop 4
	v_lshl_or_b32 v90, v87, 4, v85
	v_mfma_f32_16x16x16bf16_1k v[66:69], v[68:69], v[16:17], v[74:77]
	s_waitcnt vmcnt(13)
	v_mfma_f32_16x16x16bf16_1k v[66:69], v[58:59], v[6:7], v[66:69]
	s_nop 4
	v_lshlrev_b32_e32 v76, 5, v90
	v_mfma_f32_16x16x16bf16_1k v[58:61], v[60:61], v[8:9], v[66:69]
	s_waitcnt vmcnt(12)
	v_mfma_f32_16x16x16bf16_1k v[58:61], v[42:43], v[54:55], v[58:61]
	s_nop 4
	v_mov_b32_e32 v66, s18
	v_mfma_f32_16x16x16bf16_1k v[58:61], v[44:45], v[56:57], v[58:61]
	s_waitcnt vmcnt(11)
	v_mfma_f32_16x16x16bf16_1k v[42:45], v[78:79], v[26:27], 0
	s_nop 7
	s_nop 0
	v_pk_mul_f32 v[58:59], s[0:1], v[58:59] op_sel_hi:[0,1]
	v_mfma_f32_16x16x16bf16_1k v[42:45], v[80:81], v[28:29], v[42:45]
	s_waitcnt vmcnt(10)
	v_mfma_f32_16x16x16bf16_1k v[42:45], v[70:71], v[14:15], v[42:45]
	v_mfma_f32_16x16x16bf16_1k v[42:45], v[72:73], v[16:17], v[42:45]
	s_waitcnt vmcnt(9)
	v_mfma_f32_16x16x16bf16_1k v[42:45], v[62:63], v[6:7], v[42:45]
	;; [unrolled: 3-line block ×3, first 2 shown]
	v_mfma_f32_16x16x16bf16_1k v[62:65], v[48:49], v[56:57], v[42:45]
	v_and_or_b32 v48, v0, 48, s16
	v_mov_b32_e32 v49, s19
	v_cmp_gt_i32_e32 vcc, s33, v48
	s_waitcnt vmcnt(7)
	v_mfma_f32_16x16x16bf16_1k v[42:45], v[38:39], v[26:27], 0
	v_ashrrev_i32_e32 v38, 4, v48
	v_cndmask_b32_e32 v38, v49, v38, vcc
	v_ashrrev_i32_e32 v39, 31, v38
	v_lshlrev_b64 v[46:47], 2, v[38:39]
	v_mfma_f32_16x16x16bf16_1k v[38:41], v[40:41], v[28:29], v[42:45]
	s_nop 6
	v_add_co_u32_e32 v42, vcc, s17, v46
	v_addc_co_u32_e32 v43, vcc, v66, v47, vcc
	global_load_dword v44, v[42:43], off
	v_or_b32_e32 v42, 64, v48
	v_ashrrev_i32_e32 v43, 4, v42
	v_cmp_gt_i32_e32 vcc, s33, v42
	v_cndmask_b32_e32 v42, v49, v43, vcc
	s_waitcnt vmcnt(7)
	v_mfma_f32_16x16x16bf16_1k v[38:41], v[34:35], v[14:15], v[38:41]
	v_ashrrev_i32_e32 v43, 31, v42
	v_lshlrev_b64 v[34:35], 2, v[42:43]
	v_mov_b32_e32 v42, s18
	v_add_co_u32_e32 v34, vcc, s17, v34
	v_addc_co_u32_e32 v35, vcc, v42, v35, vcc
	global_load_dword v72, v[34:35], off
	v_mfma_f32_16x16x16bf16_1k v[34:37], v[36:37], v[16:17], v[38:41]
	s_nop 6
	v_or_b32_e32 v38, 0x80, v48
	v_ashrrev_i32_e32 v39, 4, v38
	v_cmp_gt_i32_e32 vcc, s33, v38
	v_cndmask_b32_e32 v38, v49, v39, vcc
	v_ashrrev_i32_e32 v39, 31, v38
	v_lshlrev_b64 v[38:39], 2, v[38:39]
	v_mov_b32_e32 v40, s18
	s_waitcnt vmcnt(7)
	v_mfma_f32_16x16x16bf16_1k v[34:37], v[30:31], v[6:7], v[34:37]
	v_add_co_u32_e32 v30, vcc, s17, v38
	v_addc_co_u32_e32 v31, vcc, v40, v39, vcc
	global_load_dword v74, v[30:31], off
	v_or_b32_e32 v30, 0xc0, v48
	v_ashrrev_i32_e32 v31, 4, v30
	v_cmp_gt_i32_e32 vcc, s33, v30
	v_cndmask_b32_e32 v38, v49, v31, vcc
	v_ashrrev_i32_e32 v39, 31, v38
	v_mfma_f32_16x16x16bf16_1k v[30:33], v[32:33], v[8:9], v[34:37]
	s_nop 6
	v_lshlrev_b64 v[34:35], 2, v[38:39]
	v_mov_b32_e32 v36, s18
	v_add_co_u32_e32 v34, vcc, s17, v34
	v_addc_co_u32_e32 v35, vcc, v36, v35, vcc
	global_load_dword v75, v[34:35], off
	s_waitcnt vmcnt(8)
	v_mfma_f32_16x16x16bf16_1k v[30:33], v[22:23], v[54:55], v[30:33]
	v_mov_b32_e32 v22, s9
	v_add_co_u32_e32 v77, vcc, s8, v76
	v_addc_co_u32_e32 v78, vcc, 0, v22, vcc
	s_waitcnt vmcnt(3)
	v_mad_i64_i32 v[22:23], s[2:3], v44, s1, 0
	v_mfma_f32_16x16x16bf16_1k v[66:69], v[24:25], v[56:57], v[30:33]
	v_lshlrev_b64 v[70:71], 1, v[22:23]
	v_mfma_f32_16x16x16bf16_1k v[22:25], v[18:19], v[26:27], 0
	v_add_co_u32_e32 v18, vcc, v77, v70
	v_addc_co_u32_e32 v19, vcc, v78, v71, vcc
	global_load_dwordx4 v[46:49], v[18:19], off
	global_load_dwordx4 v[42:45], v[18:19], off offset:16
	s_waitcnt vmcnt(4)
	v_mad_i64_i32 v[18:19], s[2:3], v72, s1, 0
	v_lshlrev_b64 v[72:73], 1, v[18:19]
	v_mfma_f32_16x16x16bf16_1k v[18:21], v[20:21], v[28:29], v[22:25]
	v_mfma_f32_16x16x16bf16_1k v[18:21], v[10:11], v[14:15], v[18:21]
	s_nop 5
	v_add_co_u32_e32 v22, vcc, v77, v72
	v_addc_co_u32_e32 v23, vcc, v78, v73, vcc
	global_load_dwordx4 v[38:41], v[22:23], off
	global_load_dwordx4 v[34:37], v[22:23], off offset:16
	s_waitcnt vmcnt(5)
	v_mad_i64_i32 v[22:23], s[2:3], v74, s1, 0
	v_lshlrev_b64 v[82:83], 1, v[22:23]
	v_add_co_u32_e32 v10, vcc, v77, v82
	v_addc_co_u32_e32 v11, vcc, v78, v83, vcc
	global_load_dwordx4 v[30:33], v[10:11], off
	global_load_dwordx4 v[26:29], v[10:11], off offset:16
	v_mfma_f32_16x16x16bf16_1k v[10:13], v[12:13], v[16:17], v[18:21]
	s_waitcnt vmcnt(6)
	v_mad_i64_i32 v[14:15], s[2:3], v75, s1, 0
	v_mfma_f32_16x16x16bf16_1k v[10:13], v[2:3], v[6:7], v[10:13]
	v_lshlrev_b64 v[80:81], 1, v[14:15]
	v_add_co_u32_e32 v14, vcc, v77, v80
	v_addc_co_u32_e32 v15, vcc, v78, v81, vcc
	v_or_b32_e32 v2, 0x800, v76
	v_mov_b32_e32 v3, s9
	v_mfma_f32_16x16x16bf16_1k v[10:13], v[4:5], v[8:9], v[10:13]
	v_add_co_u32_e32 v91, vcc, s8, v2
	v_addc_co_u32_e32 v84, vcc, 0, v3, vcc
	v_add_co_u32_e32 v2, vcc, v91, v70
	v_addc_co_u32_e32 v3, vcc, v84, v71, vcc
	v_mfma_f32_16x16x16bf16_1k v[92:95], v[50:51], v[54:55], v[10:13]
	v_add_co_u32_e32 v70, vcc, v91, v72
	v_addc_co_u32_e32 v71, vcc, v84, v73, vcc
	global_load_dwordx4 v[22:25], v[14:15], off
	global_load_dwordx4 v[18:21], v[14:15], off offset:16
	global_load_dwordx4 v[6:9], v[2:3], off
	s_nop 0
	global_load_dwordx4 v[2:5], v[2:3], off offset:16
	s_nop 0
	global_load_dwordx4 v[14:17], v[70:71], off
	global_load_dwordx4 v[10:13], v[70:71], off offset:16
	v_mfma_f32_16x16x16bf16_1k v[50:53], v[52:53], v[56:57], v[92:95]
	v_pk_mul_f32 v[70:71], s[0:1], v[68:69] op_sel_hi:[0,1]
	v_pk_mul_f32 v[72:73], s[0:1], v[66:67] op_sel_hi:[0,1]
	;; [unrolled: 1-line block ×5, first 2 shown]
	s_nop 5
	v_pk_mul_f32 v[68:69], s[0:1], v[50:51] op_sel_hi:[0,1]
	v_and_b32_e32 v50, 0xc0, v0
	v_add_u32_e32 v50, s16, v50
	v_lshl_or_b32 v50, v1, 2, v50
	v_or_b32_e32 v51, 1, v50
	v_pk_mul_f32 v[66:67], s[0:1], v[52:53] op_sel_hi:[0,1]
	v_subrev_u32_e32 v52, s33, v51
	v_add_u32_e32 v54, 1, v52
	v_add_u32_e32 v55, 2, v52
	v_cvt_f32_i32_e32 v53, v52
	v_cvt_f32_i32_e32 v54, v54
	;; [unrolled: 1-line block ×3, first 2 shown]
	v_add_u32_e32 v56, 3, v52
	v_fma_f32 v58, v89, v53, v58
	v_fmac_f32_e32 v59, v89, v54
	v_fma_f32 v78, v89, v55, v78
	v_add_u32_e32 v53, 16, v52
	v_add_u32_e32 v54, 17, v52
	;; [unrolled: 1-line block ×3, first 2 shown]
	v_cvt_f32_i32_e32 v56, v56
	v_cvt_f32_i32_e32 v53, v53
	;; [unrolled: 1-line block ×4, first 2 shown]
	v_fmac_f32_e32 v79, v89, v56
	v_add_u32_e32 v56, 19, v52
	v_fma_f32 v76, v89, v53, v76
	v_fmac_f32_e32 v77, v89, v54
	v_fma_f32 v74, v89, v55, v74
	v_add_u32_e32 v53, 32, v52
	v_add_u32_e32 v54, 33, v52
	;; [unrolled: 1-line block ×3, first 2 shown]
	v_cvt_f32_i32_e32 v56, v56
	v_cvt_f32_i32_e32 v53, v53
	;; [unrolled: 1-line block ×4, first 2 shown]
	v_fmac_f32_e32 v75, v89, v56
	v_add_u32_e32 v56, 35, v52
	v_fma_f32 v72, v89, v53, v72
	v_fmac_f32_e32 v73, v89, v54
	v_fma_f32 v70, v89, v55, v70
	v_add_u32_e32 v53, 48, v52
	v_add_u32_e32 v54, 49, v52
	;; [unrolled: 1-line block ×4, first 2 shown]
	v_cvt_f32_i32_e32 v52, v52
	v_cvt_f32_i32_e32 v53, v53
	;; [unrolled: 1-line block ×3, first 2 shown]
	v_cmp_gt_i32_e64 s[28:29], s33, v50
	v_fmac_f32_e32 v67, v89, v52
	v_mov_b32_e32 v52, 0xff7fffff
	v_cmp_gt_i32_e64 s[30:31], s33, v51
	v_fma_f32 v68, v89, v53, v68
	v_cndmask_b32_e64 v53, v52, v58, s[28:29]
	v_cndmask_b32_e64 v51, v52, v59, s[30:31]
	v_fmac_f32_e32 v69, v89, v54
	v_max3_f32 v51, v53, s40, v51
	v_or_b32_e32 v53, 2, v50
	v_or_b32_e32 v54, 3, v50
	v_cmp_gt_i32_e64 s[34:35], s33, v53
	v_cmp_gt_i32_e64 s[36:37], s33, v54
	v_cndmask_b32_e64 v53, v52, v78, s[34:35]
	v_cndmask_b32_e64 v54, v52, v79, s[36:37]
	v_max3_f32 v51, v51, v53, v54
	v_or_b32_e32 v53, 16, v50
	v_or_b32_e32 v54, 17, v50
	v_cmp_gt_i32_e64 s[22:23], s33, v53
	v_cmp_gt_i32_e64 s[24:25], s33, v54
	v_cndmask_b32_e64 v53, v52, v76, s[22:23]
	v_cndmask_b32_e64 v54, v52, v77, s[24:25]
	;; [unrolled: 7-line block ×3, first 2 shown]
	v_cvt_f32_i32_e32 v56, v56
	v_max3_f32 v51, v51, v53, v54
	v_or_b32_e32 v53, 32, v50
	v_or_b32_e32 v54, 33, v50
	v_cmp_gt_i32_e64 s[14:15], s33, v53
	v_cmp_gt_i32_e64 s[16:17], s33, v54
	v_cndmask_b32_e64 v53, v52, v72, s[14:15]
	v_cndmask_b32_e64 v54, v52, v73, s[16:17]
	v_max3_f32 v51, v51, v53, v54
	v_or_b32_e32 v53, 34, v50
	v_or_b32_e32 v54, 35, v50
	v_fmac_f32_e32 v71, v89, v56
	v_cmp_gt_i32_e64 s[10:11], s33, v53
	v_cmp_gt_i32_e64 s[12:13], s33, v54
	v_cndmask_b32_e64 v53, v52, v70, s[10:11]
	v_cndmask_b32_e64 v54, v52, v71, s[12:13]
	v_cvt_f32_i32_e32 v55, v55
	v_max3_f32 v51, v51, v53, v54
	v_or_b32_e32 v53, 48, v50
	v_or_b32_e32 v54, 49, v50
	v_cmp_gt_i32_e64 s[2:3], s33, v53
	v_cmp_gt_i32_e64 s[8:9], s33, v54
	v_cndmask_b32_e64 v53, v52, v68, s[2:3]
	v_cndmask_b32_e64 v54, v52, v69, s[8:9]
	v_max3_f32 v51, v51, v53, v54
	v_or_b32_e32 v53, 50, v50
	v_or_b32_e32 v50, 51, v50
	v_fma_f32 v66, v89, v55, v66
	v_cmp_gt_i32_e32 vcc, s33, v53
	v_cmp_gt_i32_e64 s[0:1], s33, v50
	v_cndmask_b32_e32 v53, v52, v66, vcc
	v_cndmask_b32_e64 v50, v52, v67, s[0:1]
	v_max3_f32 v60, v51, v53, v50
	v_mbcnt_lo_u32_b32 v50, -1, 0
	v_mbcnt_hi_u32_b32 v61, -1, v50
	v_and_b32_e32 v50, 64, v61
	v_add_u32_e32 v62, 64, v50
	v_xor_b32_e32 v50, 32, v61
	v_cmp_lt_i32_e64 s[38:39], v50, v62
	v_cndmask_b32_e64 v50, v61, v50, s[38:39]
	v_lshlrev_b32_e32 v89, 2, v50
	ds_bpermute_b32 v63, v89, v60
	v_add_co_u32_e64 v50, s[38:39], v91, v82
	v_addc_co_u32_e64 v51, s[38:39], v84, v83, s[38:39]
	s_waitcnt lgkmcnt(0)
	v_max_f32_e32 v63, v63, v63
	v_max_f32_e32 v63, v60, v63
	v_xor_b32_e32 v60, 16, v61
	v_cmp_lt_i32_e64 s[38:39], v60, v62
	v_cndmask_b32_e64 v60, v61, v60, s[38:39]
	v_lshlrev_b32_e32 v92, 2, v60
	ds_bpermute_b32 v62, v92, v63
	v_add_co_u32_e64 v60, s[38:39], v91, v80
	v_addc_co_u32_e64 v61, s[38:39], v84, v81, s[38:39]
	s_waitcnt lgkmcnt(0)
	v_max_f32_e32 v62, v62, v62
	v_max_f32_e32 v82, v63, v62
	v_sub_f32_e32 v58, v58, v82
	v_mul_f32_e32 v58, 0x3fb8aa3b, v58
	v_exp_f32_e32 v80, v58
	v_sub_f32_e32 v58, v59, v82
	v_mul_f32_e32 v58, 0x3fb8aa3b, v58
	global_load_dwordx4 v[54:57], v[50:51], off
	s_nop 0
	global_load_dwordx4 v[50:53], v[50:51], off offset:16
	v_exp_f32_e32 v81, v58
	global_load_dwordx4 v[62:65], v[60:61], off
	s_nop 0
	global_load_dwordx4 v[58:61], v[60:61], off offset:16
	v_sub_f32_e32 v78, v78, v82
	v_mul_f32_e32 v78, 0x3fb8aa3b, v78
	v_sub_f32_e32 v79, v79, v82
	v_exp_f32_e32 v78, v78
	v_mul_f32_e32 v79, 0x3fb8aa3b, v79
	v_sub_f32_e32 v76, v76, v82
	v_exp_f32_e32 v79, v79
	v_mul_f32_e32 v76, 0x3fb8aa3b, v76
	v_sub_f32_e32 v77, v77, v82
	v_cndmask_b32_e64 v80, 0, v80, s[28:29]
	v_exp_f32_e32 v76, v76
	v_mul_f32_e32 v77, 0x3fb8aa3b, v77
	v_sub_f32_e32 v74, v74, v82
	v_add_f32_e32 v83, 0, v80
	v_cndmask_b32_e64 v81, 0, v81, s[30:31]
	v_exp_f32_e32 v77, v77
	v_mul_f32_e32 v74, 0x3fb8aa3b, v74
	v_sub_f32_e32 v75, v75, v82
	v_add_f32_e32 v83, v83, v81
	;; [unrolled: 5-line block ×10, first 2 shown]
	v_cndmask_b32_e64 v70, 0, v70, s[10:11]
	v_exp_f32_e32 v66, v66
	v_mul_f32_e32 v67, 0x3fb8aa3b, v67
	v_add_f32_e32 v83, v83, v70
	v_cndmask_b32_e64 v71, 0, v71, s[12:13]
	v_exp_f32_e32 v67, v67
	v_add_f32_e32 v83, v83, v71
	v_cndmask_b32_e64 v68, 0, v68, s[2:3]
	v_add_f32_e32 v83, v83, v68
	v_cndmask_b32_e64 v69, 0, v69, s[8:9]
	v_add_f32_e32 v83, v83, v69
	v_cndmask_b32_e32 v66, 0, v66, vcc
	v_add_f32_e32 v83, v83, v66
	v_cndmask_b32_e64 v67, 0, v67, s[0:1]
	v_add_f32_e32 v83, v83, v67
	ds_bpermute_b32 v84, v89, v83
	s_load_dword s3, s[4:5], 0x98
	v_cmp_gt_u32_e32 vcc, 16, v88
	s_waitcnt lgkmcnt(0)
	s_barrier
	v_add_f32_e32 v83, v83, v84
	ds_bpermute_b32 v89, v92, v83
	s_waitcnt lgkmcnt(0)
	s_and_saveexec_b64 s[0:1], vcc
	s_cbranch_execz .LBB301_15
; %bb.14:
	v_add_f32_e32 v83, v83, v89
	v_lshlrev_b32_e32 v84, 2, v90
	ds_write2st64_b32 v84, v82, v83 offset1:1
.LBB301_15:
	s_or_b64 exec, exec, s[0:1]
	v_lshlrev_b32_e32 v83, 2, v85
	s_load_dword s2, s[4:5], 0x94
	s_waitcnt lgkmcnt(0)
	s_barrier
	ds_read2_b32 v[88:89], v83 offset1:16
	ds_read2_b32 v[90:91], v83 offset0:32 offset1:48
	ds_read2_b32 v[92:93], v83 offset0:64 offset1:80
	s_movk_i32 s8, 0x7fff
	s_mov_b32 s9, 0x7060302
	s_waitcnt lgkmcnt(2)
	v_max3_f32 v82, v88, s40, v89
	s_waitcnt lgkmcnt(1)
	v_max3_f32 v82, v82, v90, v91
	v_sub_f32_e32 v84, v88, v82
	v_sub_f32_e32 v88, v89, v82
	v_mul_f32_e32 v88, 0x3fb8aa3b, v88
	v_mul_f32_e32 v84, 0x3fb8aa3b, v84
	v_exp_f32_e32 v94, v88
	v_sub_f32_e32 v88, v90, v82
	v_exp_f32_e32 v84, v84
	v_mul_f32_e32 v88, 0x3fb8aa3b, v88
	v_exp_f32_e32 v90, v88
	ds_read2_b32 v[88:89], v83 offset0:96 offset1:112
	v_sub_f32_e32 v83, v91, v82
	v_mul_f32_e32 v83, 0x3fb8aa3b, v83
	v_exp_f32_e32 v91, v83
	s_waitcnt lgkmcnt(1)
	v_fma_f32 v83, v84, v92, 0
	v_fmac_f32_e32 v83, v94, v93
	s_waitcnt lgkmcnt(0)
	v_fmac_f32_e32 v83, v90, v88
	v_fmac_f32_e32 v83, v91, v89
	v_add_f32_e32 v88, 0x358637bd, v83
	v_div_scale_f32 v89, s[0:1], v88, v88, 1.0
	v_rcp_f32_e32 v92, v89
	s_mul_i32 s3, s3, 14
	s_barrier
	v_fma_f32 v93, -v89, v92, 1.0
	v_fmac_f32_e32 v92, v93, v92
	v_div_scale_f32 v93, vcc, 1.0, v88, 1.0
	v_mul_f32_e32 v95, v93, v92
	v_fma_f32 v86, -v89, v95, v93
	v_fmac_f32_e32 v95, v86, v92
	v_fma_f32 v86, -v89, v95, v93
	v_div_fmas_f32 v86, v86, v92, v95
	v_cmp_eq_u32_e32 vcc, 1, v87
	v_cndmask_b32_e32 v84, v84, v94, vcc
	v_cmp_eq_u32_e32 vcc, 2, v87
	v_cndmask_b32_e32 v84, v84, v90, vcc
	v_cmp_eq_u32_e32 vcc, 3, v87
	v_div_fixup_f32 v86, v86, v88, 1.0
	v_cndmask_b32_e32 v84, v84, v91, vcc
	v_mul_f32_e32 v88, v84, v86
	v_pk_mul_f32 v[80:81], v[88:89], v[80:81] op_sel_hi:[0,1]
	v_bfe_u32 v84, v81, 16, 1
	v_bfe_u32 v86, v80, 16, 1
	v_pk_mul_f32 v[78:79], v[88:89], v[78:79] op_sel_hi:[0,1]
	v_add3_u32 v80, v80, v86, s8
	v_add3_u32 v81, v81, v84, s8
	v_perm_b32 v80, v81, v80, s9
	v_bfe_u32 v81, v79, 16, 1
	v_bfe_u32 v84, v78, 16, 1
	v_add3_u32 v78, v78, v84, s8
	v_add3_u32 v79, v79, v81, s8
	v_perm_b32 v81, v79, v78, s9
	v_lshlrev_b32_e32 v78, 3, v1
	v_lshlrev_b32_e32 v79, 5, v85
	;; [unrolled: 1-line block ×3, first 2 shown]
	v_pk_mul_f32 v[76:77], v[88:89], v[76:77] op_sel_hi:[0,1]
	v_or3_b32 v78, v84, v79, v78
	v_bfe_u32 v84, v77, 16, 1
	v_bfe_u32 v86, v76, 16, 1
	v_pk_mul_f32 v[74:75], v[88:89], v[74:75] op_sel_hi:[0,1]
	v_add3_u32 v76, v76, v86, s8
	v_add3_u32 v77, v77, v84, s8
	v_perm_b32 v76, v77, v76, s9
	v_bfe_u32 v77, v75, 16, 1
	v_bfe_u32 v84, v74, 16, 1
	v_add3_u32 v74, v74, v84, s8
	v_add3_u32 v75, v75, v77, s8
	v_pk_mul_f32 v[72:73], v[88:89], v[72:73] op_sel_hi:[0,1]
	v_perm_b32 v77, v75, v74, s9
	v_bfe_u32 v74, v73, 16, 1
	v_bfe_u32 v75, v72, 16, 1
	v_pk_mul_f32 v[70:71], v[88:89], v[70:71] op_sel_hi:[0,1]
	v_add3_u32 v72, v72, v75, s8
	v_add3_u32 v73, v73, v74, s8
	v_perm_b32 v72, v73, v72, s9
	v_bfe_u32 v73, v71, 16, 1
	v_bfe_u32 v74, v70, 16, 1
	v_add3_u32 v70, v70, v74, s8
	v_add3_u32 v71, v71, v73, s8
	v_pk_mul_f32 v[68:69], v[88:89], v[68:69] op_sel_hi:[0,1]
	v_perm_b32 v73, v71, v70, s9
	v_bfe_u32 v70, v69, 16, 1
	v_bfe_u32 v71, v68, 16, 1
	v_pk_mul_f32 v[66:67], v[88:89], v[66:67] op_sel_hi:[0,1]
	v_add3_u32 v68, v68, v71, s8
	v_add3_u32 v69, v69, v70, s8
	v_perm_b32 v68, v69, v68, s9
	v_bfe_u32 v69, v67, 16, 1
	v_bfe_u32 v70, v66, 16, 1
	v_add3_u32 v66, v66, v70, s8
	v_add3_u32 v67, v67, v69, s8
	v_perm_b32 v69, v67, v66, s9
	v_cmp_gt_u32_e32 vcc, 14, v0
	ds_write2st64_b64 v78, v[80:81], v[76:77] offset1:1
	ds_write2st64_b64 v78, v[72:73], v[68:69] offset0:2 offset1:3
	s_and_saveexec_b64 s[0:1], vcc
	s_cbranch_execz .LBB301_17
; %bb.16:
	v_add_co_u32_e32 v68, vcc, s27, v85
	v_addc_co_u32_e64 v69, s[10:11], 0, 0, vcc
	v_mov_b32_e32 v66, s3
	v_mov_b32_e32 v67, 0
	v_mad_u64_u32 v[68:69], s[10:11], s6, v66, v[68:69]
	v_mov_b32_e32 v66, s26
	s_load_dwordx4 s[12:15], s[4:5], 0x58
	s_mul_i32 s7, s7, s3
	v_mad_u64_u32 v[66:67], s[10:11], v68, s2, v[66:67]
	v_add_u32_e32 v69, s7, v69
	v_mov_b32_e32 v68, v67
	v_mad_u64_u32 v[68:69], s[10:11], v69, s2, v[68:69]
	v_mov_b32_e32 v67, v68
	v_lshlrev_b64 v[66:67], 2, v[66:67]
	s_waitcnt lgkmcnt(0)
	v_mov_b32_e32 v69, s15
	v_add_co_u32_e32 v68, vcc, s14, v66
	v_addc_co_u32_e32 v69, vcc, v69, v67, vcc
	global_store_dword v[68:69], v82, off
	v_mov_b32_e32 v68, s13
	v_add_co_u32_e32 v66, vcc, s12, v66
	v_addc_co_u32_e32 v67, vcc, v68, v67, vcc
	global_store_dword v[66:67], v83, off
.LBB301_17:
	s_or_b64 exec, exec, s[0:1]
	v_lshl_or_b32 v79, v1, 9, v79
	s_waitcnt lgkmcnt(0)
	s_barrier
	ds_read_b128 v[70:73], v79
	ds_read_b128 v[66:69], v79 offset:16
	s_waitcnt vmcnt(15) lgkmcnt(1)
	v_mfma_f32_16x16x16bf16_1k v[74:77], v[46:47], v[70:71], 0
	s_mov_b32 s1, 0
	v_cmp_gt_u32_e32 vcc, 64, v0
	v_mfma_f32_16x16x16bf16_1k v[46:49], v[48:49], v[72:73], v[74:77]
	s_waitcnt vmcnt(14) lgkmcnt(0)
	v_mfma_f32_16x16x16bf16_1k v[46:49], v[42:43], v[66:67], v[46:49]
	v_mfma_f32_16x16x16bf16_1k v[42:45], v[44:45], v[68:69], v[46:49]
	s_nop 7
	s_nop 1
	ds_read_b128 v[46:49], v79 offset:2048
	ds_read_b128 v[74:77], v79 offset:2064
	s_waitcnt vmcnt(13) lgkmcnt(1)
	v_mfma_f32_16x16x16bf16_1k v[42:45], v[38:39], v[46:47], v[42:45]
	v_mfma_f32_16x16x16bf16_1k v[38:41], v[40:41], v[48:49], v[42:45]
	s_waitcnt vmcnt(12) lgkmcnt(0)
	v_mfma_f32_16x16x16bf16_1k v[38:41], v[34:35], v[74:75], v[38:41]
	v_mfma_f32_16x16x16bf16_1k v[34:37], v[36:37], v[76:77], v[38:41]
	s_nop 7
	s_nop 1
	ds_read_b128 v[38:41], v79 offset:4096
	ds_read_b128 v[42:45], v79 offset:4112
	s_waitcnt vmcnt(11) lgkmcnt(1)
	v_mfma_f32_16x16x16bf16_1k v[34:37], v[30:31], v[38:39], v[34:37]
	v_mfma_f32_16x16x16bf16_1k v[30:33], v[32:33], v[40:41], v[34:37]
	s_waitcnt vmcnt(10) lgkmcnt(0)
	v_mfma_f32_16x16x16bf16_1k v[30:33], v[26:27], v[42:43], v[30:33]
	v_mfma_f32_16x16x16bf16_1k v[26:29], v[28:29], v[44:45], v[30:33]
	s_nop 7
	s_nop 1
	ds_read_b128 v[30:33], v79 offset:6144
	ds_read_b128 v[34:37], v79 offset:6160
	s_waitcnt lgkmcnt(0)
	s_barrier
	s_waitcnt vmcnt(9)
	v_mfma_f32_16x16x16bf16_1k v[26:29], v[22:23], v[30:31], v[26:29]
	v_mfma_f32_16x16x16bf16_1k v[22:25], v[24:25], v[32:33], v[26:29]
	s_waitcnt vmcnt(8)
	v_mfma_f32_16x16x16bf16_1k v[22:25], v[18:19], v[34:35], v[22:25]
	v_mfma_f32_16x16x16bf16_1k v[18:21], v[20:21], v[36:37], v[22:25]
	s_waitcnt vmcnt(7)
	v_mfma_f32_16x16x16bf16_1k v[22:25], v[6:7], v[70:71], 0
	v_mfma_f32_16x16x16bf16_1k v[6:9], v[8:9], v[72:73], v[22:25]
	s_waitcnt vmcnt(6)
	v_mfma_f32_16x16x16bf16_1k v[6:9], v[2:3], v[66:67], v[6:9]
	v_mfma_f32_16x16x16bf16_1k v[2:5], v[4:5], v[68:69], v[6:9]
	s_waitcnt vmcnt(5)
	v_mfma_f32_16x16x16bf16_1k v[2:5], v[14:15], v[46:47], v[2:5]
	s_nop 7
	v_bfe_u32 v6, v19, 16, 1
	v_bfe_u32 v7, v18, 16, 1
	v_add3_u32 v7, v18, v7, s8
	v_add3_u32 v6, v19, v6, s8
	v_perm_b32 v6, v6, v7, s9
	v_bfe_u32 v7, v21, 16, 1
	v_bfe_u32 v8, v20, 16, 1
	v_mfma_f32_16x16x16bf16_1k v[2:5], v[16:17], v[48:49], v[2:5]
	v_add3_u32 v8, v20, v8, s8
	v_add3_u32 v7, v21, v7, s8
	v_perm_b32 v7, v7, v8, s9
	s_waitcnt vmcnt(4)
	v_mfma_f32_16x16x16bf16_1k v[2:5], v[10:11], v[74:75], v[2:5]
	v_mfma_f32_16x16x16bf16_1k v[2:5], v[12:13], v[76:77], v[2:5]
	s_waitcnt vmcnt(3)
	v_mfma_f32_16x16x16bf16_1k v[2:5], v[54:55], v[38:39], v[2:5]
	v_mfma_f32_16x16x16bf16_1k v[2:5], v[56:57], v[40:41], v[2:5]
	;; [unrolled: 3-line block ×5, first 2 shown]
	s_nop 7
	s_nop 2
	v_bfe_u32 v8, v3, 16, 1
	v_bfe_u32 v9, v2, 16, 1
	v_add3_u32 v2, v2, v9, s8
	v_add3_u32 v3, v3, v8, s8
	v_perm_b32 v2, v3, v2, s9
	v_bfe_u32 v3, v5, 16, 1
	v_bfe_u32 v8, v4, 16, 1
	v_add3_u32 v4, v4, v8, s8
	v_add3_u32 v3, v5, v3, s8
	v_perm_b32 v3, v3, v4, s9
	ds_write2st64_b64 v78, v[6:7], v[2:3] offset1:1
	s_waitcnt lgkmcnt(0)
	s_barrier
	s_and_saveexec_b64 s[8:9], vcc
	s_cbranch_execz .LBB301_20
; %bb.18:
	v_lshlrev_b32_e32 v4, 6, v85
	v_lshlrev_b32_e32 v3, 4, v0
	v_lshl_or_b32 v0, v0, 10, v4
	v_lshlrev_b32_e32 v2, 5, v1
	v_and_b32_e32 v3, 16, v3
	v_and_b32_e32 v0, 0x1a00, v0
	v_or3_b32 v0, v0, v2, v3
	buffer_load_dword v3, off, s[44:47], 0  ; 4-byte Folded Reload
	s_load_dwordx2 s[4:5], s[4:5], 0x68
	s_lshl_b32 s2, s2, 7
	s_mul_i32 s0, s3, s6
	s_mul_hi_u32 s7, s0, s2
	s_mul_i32 s6, s0, s2
	s_lshl_b64 s[6:7], s[6:7], 1
	s_waitcnt lgkmcnt(0)
	s_add_u32 s3, s4, s6
	s_addc_u32 s4, s5, s7
	s_lshl_b32 s0, s26, 7
	s_lshl_b64 s[0:1], s[0:1], 1
	s_add_u32 s0, s3, s0
	ds_read_b128 v[6:9], v0 offset:256
	v_or_b32_e32 v2, 12, v1
	s_addc_u32 s1, s4, s1
	ds_read_b128 v[10:13], v0 offset:128
	ds_read_b128 v[14:17], v0
	v_add_u32_e32 v1, s27, v1
	v_mov_b32_e32 v4, s1
	v_add_u32_e32 v5, 4, v1
	s_waitcnt vmcnt(0)
	v_add_co_u32_e32 v3, vcc, s0, v3
	v_mad_u64_u32 v[18:19], s[0:1], v1, s2, 0
	v_addc_co_u32_e32 v4, vcc, 0, v4, vcc
	v_lshlrev_b64 v[18:19], 1, v[18:19]
	v_add_co_u32_e32 v18, vcc, v3, v18
	v_addc_co_u32_e32 v19, vcc, v4, v19, vcc
	s_waitcnt lgkmcnt(0)
	global_store_dwordx4 v[18:19], v[14:17], off
	v_add_u32_e32 v1, 8, v1
	v_mad_u64_u32 v[14:15], s[0:1], v5, s2, 0
	v_lshlrev_b64 v[14:15], 1, v[14:15]
	v_add_co_u32_e32 v14, vcc, v3, v14
	v_addc_co_u32_e32 v15, vcc, v4, v15, vcc
	global_store_dwordx4 v[14:15], v[10:13], off
	s_nop 0
	v_mad_u64_u32 v[10:11], s[0:1], v1, s2, 0
	v_lshlrev_b64 v[10:11], 1, v[10:11]
	v_add_co_u32_e32 v10, vcc, v3, v10
	v_addc_co_u32_e32 v11, vcc, v4, v11, vcc
	v_cmp_gt_u32_e32 vcc, 14, v2
	global_store_dwordx4 v[10:11], v[6:9], off
	s_and_b64 exec, exec, vcc
	s_cbranch_execz .LBB301_20
; %bb.19:
	ds_read_b128 v[6:9], v0 offset:384
	v_add_u32_e32 v0, s27, v2
	v_mad_u64_u32 v[0:1], s[0:1], v0, s2, 0
	v_lshlrev_b64 v[0:1], 1, v[0:1]
	v_add_co_u32_e32 v0, vcc, v3, v0
	v_addc_co_u32_e32 v1, vcc, v4, v1, vcc
	s_waitcnt lgkmcnt(0)
	global_store_dwordx4 v[0:1], v[6:9], off
.LBB301_20:
	s_endpgm
	.section	.rodata,"a",@progbits
	.p2align	6, 0x0
	.amdhsa_kernel _Z39paged_attention_ll4mi_QKV_mfma16_kernelI14__hip_bfloat16S0_LN4vllm18Fp8KVCacheDataTypeE0ES0_Li16ELi128ELi256ELb1ELi14EL8MFMAType0EEvPKT_PKT0_S9_ifPKiSB_SB_iPKfiiiPfSE_PS4_PT2_iSD_SD_
		.amdhsa_group_segment_fixed_size 8192
		.amdhsa_private_segment_fixed_size 8
		.amdhsa_kernarg_size 400
		.amdhsa_user_sgpr_count 6
		.amdhsa_user_sgpr_private_segment_buffer 1
		.amdhsa_user_sgpr_dispatch_ptr 0
		.amdhsa_user_sgpr_queue_ptr 0
		.amdhsa_user_sgpr_kernarg_segment_ptr 1
		.amdhsa_user_sgpr_dispatch_id 0
		.amdhsa_user_sgpr_flat_scratch_init 0
		.amdhsa_user_sgpr_kernarg_preload_length 0
		.amdhsa_user_sgpr_kernarg_preload_offset 0
		.amdhsa_user_sgpr_private_segment_size 0
		.amdhsa_uses_dynamic_stack 0
		.amdhsa_system_sgpr_private_segment_wavefront_offset 1
		.amdhsa_system_sgpr_workgroup_id_x 1
		.amdhsa_system_sgpr_workgroup_id_y 1
		.amdhsa_system_sgpr_workgroup_id_z 1
		.amdhsa_system_sgpr_workgroup_info 0
		.amdhsa_system_vgpr_workitem_id 0
		.amdhsa_next_free_vgpr 96
		.amdhsa_next_free_sgpr 48
		.amdhsa_accum_offset 96
		.amdhsa_reserve_vcc 1
		.amdhsa_reserve_flat_scratch 0
		.amdhsa_float_round_mode_32 0
		.amdhsa_float_round_mode_16_64 0
		.amdhsa_float_denorm_mode_32 3
		.amdhsa_float_denorm_mode_16_64 3
		.amdhsa_dx10_clamp 1
		.amdhsa_ieee_mode 1
		.amdhsa_fp16_overflow 0
		.amdhsa_tg_split 0
		.amdhsa_exception_fp_ieee_invalid_op 0
		.amdhsa_exception_fp_denorm_src 0
		.amdhsa_exception_fp_ieee_div_zero 0
		.amdhsa_exception_fp_ieee_overflow 0
		.amdhsa_exception_fp_ieee_underflow 0
		.amdhsa_exception_fp_ieee_inexact 0
		.amdhsa_exception_int_div_zero 0
	.end_amdhsa_kernel
	.section	.text._Z39paged_attention_ll4mi_QKV_mfma16_kernelI14__hip_bfloat16S0_LN4vllm18Fp8KVCacheDataTypeE0ES0_Li16ELi128ELi256ELb1ELi14EL8MFMAType0EEvPKT_PKT0_S9_ifPKiSB_SB_iPKfiiiPfSE_PS4_PT2_iSD_SD_,"axG",@progbits,_Z39paged_attention_ll4mi_QKV_mfma16_kernelI14__hip_bfloat16S0_LN4vllm18Fp8KVCacheDataTypeE0ES0_Li16ELi128ELi256ELb1ELi14EL8MFMAType0EEvPKT_PKT0_S9_ifPKiSB_SB_iPKfiiiPfSE_PS4_PT2_iSD_SD_,comdat
.Lfunc_end301:
	.size	_Z39paged_attention_ll4mi_QKV_mfma16_kernelI14__hip_bfloat16S0_LN4vllm18Fp8KVCacheDataTypeE0ES0_Li16ELi128ELi256ELb1ELi14EL8MFMAType0EEvPKT_PKT0_S9_ifPKiSB_SB_iPKfiiiPfSE_PS4_PT2_iSD_SD_, .Lfunc_end301-_Z39paged_attention_ll4mi_QKV_mfma16_kernelI14__hip_bfloat16S0_LN4vllm18Fp8KVCacheDataTypeE0ES0_Li16ELi128ELi256ELb1ELi14EL8MFMAType0EEvPKT_PKT0_S9_ifPKiSB_SB_iPKfiiiPfSE_PS4_PT2_iSD_SD_
                                        ; -- End function
	.section	.AMDGPU.csdata,"",@progbits
; Kernel info:
; codeLenInByte = 5276
; NumSgprs: 52
; NumVgprs: 96
; NumAgprs: 0
; TotalNumVgprs: 96
; ScratchSize: 8
; MemoryBound: 0
; FloatMode: 240
; IeeeMode: 1
; LDSByteSize: 8192 bytes/workgroup (compile time only)
; SGPRBlocks: 6
; VGPRBlocks: 11
; NumSGPRsForWavesPerEU: 52
; NumVGPRsForWavesPerEU: 96
; AccumOffset: 96
; Occupancy: 5
; WaveLimiterHint : 1
; COMPUTE_PGM_RSRC2:SCRATCH_EN: 1
; COMPUTE_PGM_RSRC2:USER_SGPR: 6
; COMPUTE_PGM_RSRC2:TRAP_HANDLER: 0
; COMPUTE_PGM_RSRC2:TGID_X_EN: 1
; COMPUTE_PGM_RSRC2:TGID_Y_EN: 1
; COMPUTE_PGM_RSRC2:TGID_Z_EN: 1
; COMPUTE_PGM_RSRC2:TIDIG_COMP_CNT: 0
; COMPUTE_PGM_RSRC3_GFX90A:ACCUM_OFFSET: 23
; COMPUTE_PGM_RSRC3_GFX90A:TG_SPLIT: 0
	.section	.text._Z39paged_attention_ll4mi_QKV_mfma16_kernelI14__hip_bfloat16S0_LN4vllm18Fp8KVCacheDataTypeE0ES0_Li16ELi128ELi256ELb1ELi15EL8MFMAType0EEvPKT_PKT0_S9_ifPKiSB_SB_iPKfiiiPfSE_PS4_PT2_iSD_SD_,"axG",@progbits,_Z39paged_attention_ll4mi_QKV_mfma16_kernelI14__hip_bfloat16S0_LN4vllm18Fp8KVCacheDataTypeE0ES0_Li16ELi128ELi256ELb1ELi15EL8MFMAType0EEvPKT_PKT0_S9_ifPKiSB_SB_iPKfiiiPfSE_PS4_PT2_iSD_SD_,comdat
	.protected	_Z39paged_attention_ll4mi_QKV_mfma16_kernelI14__hip_bfloat16S0_LN4vllm18Fp8KVCacheDataTypeE0ES0_Li16ELi128ELi256ELb1ELi15EL8MFMAType0EEvPKT_PKT0_S9_ifPKiSB_SB_iPKfiiiPfSE_PS4_PT2_iSD_SD_ ; -- Begin function _Z39paged_attention_ll4mi_QKV_mfma16_kernelI14__hip_bfloat16S0_LN4vllm18Fp8KVCacheDataTypeE0ES0_Li16ELi128ELi256ELb1ELi15EL8MFMAType0EEvPKT_PKT0_S9_ifPKiSB_SB_iPKfiiiPfSE_PS4_PT2_iSD_SD_
	.globl	_Z39paged_attention_ll4mi_QKV_mfma16_kernelI14__hip_bfloat16S0_LN4vllm18Fp8KVCacheDataTypeE0ES0_Li16ELi128ELi256ELb1ELi15EL8MFMAType0EEvPKT_PKT0_S9_ifPKiSB_SB_iPKfiiiPfSE_PS4_PT2_iSD_SD_
	.p2align	8
	.type	_Z39paged_attention_ll4mi_QKV_mfma16_kernelI14__hip_bfloat16S0_LN4vllm18Fp8KVCacheDataTypeE0ES0_Li16ELi128ELi256ELb1ELi15EL8MFMAType0EEvPKT_PKT0_S9_ifPKiSB_SB_iPKfiiiPfSE_PS4_PT2_iSD_SD_,@function
_Z39paged_attention_ll4mi_QKV_mfma16_kernelI14__hip_bfloat16S0_LN4vllm18Fp8KVCacheDataTypeE0ES0_Li16ELi128ELi256ELb1ELi15EL8MFMAType0EEvPKT_PKT0_S9_ifPKiSB_SB_iPKfiiiPfSE_PS4_PT2_iSD_SD_: ; @_Z39paged_attention_ll4mi_QKV_mfma16_kernelI14__hip_bfloat16S0_LN4vllm18Fp8KVCacheDataTypeE0ES0_Li16ELi128ELi256ELb1ELi15EL8MFMAType0EEvPKT_PKT0_S9_ifPKiSB_SB_iPKfiiiPfSE_PS4_PT2_iSD_SD_
; %bb.0:
	s_mov_b64 s[46:47], s[2:3]
	s_mov_b64 s[44:45], s[0:1]
	s_load_dwordx2 s[0:1], s[4:5], 0x30
	s_add_u32 s44, s44, s9
	s_addc_u32 s45, s45, 0
	s_mov_b32 s26, s7
	s_mov_b64 s[10:11], 0
	s_waitcnt lgkmcnt(0)
	s_cmp_lg_u64 s[0:1], 0
	s_cselect_b64 s[2:3], -1, 0
	s_and_b64 vcc, exec, s[2:3]
	s_cbranch_vccz .LBB302_7
; %bb.1:
	s_add_i32 s12, s6, 1
	s_mov_b32 s13, 0
	s_lshl_b64 s[14:15], s[12:13], 2
	s_add_u32 s14, s0, s14
	s_mov_b32 s7, s13
	s_addc_u32 s15, s1, s15
	s_lshl_b64 s[12:13], s[6:7], 2
	s_add_u32 s12, s0, s12
	s_addc_u32 s13, s1, s13
	s_load_dword s9, s[14:15], 0x0
	s_load_dword s16, s[12:13], 0x0
	s_waitcnt lgkmcnt(0)
	s_sub_i32 s9, s9, s16
	s_cmp_eq_u32 s9, 1
	s_cselect_b64 s[12:13], -1, 0
	s_andn2_b64 vcc, exec, s[10:11]
	s_cbranch_vccnz .LBB302_3
.LBB302_2:
	s_mov_b32 s7, 0
	s_mov_b64 s[12:13], -1
.LBB302_3:
	s_andn2_b64 vcc, exec, s[12:13]
	s_cbranch_vccnz .LBB302_20
; %bb.4:
	s_load_dwordx2 s[12:13], s[4:5], 0x28
	s_lshl_b64 s[10:11], s[6:7], 2
	s_waitcnt lgkmcnt(0)
	s_add_u32 s12, s12, s10
	s_addc_u32 s13, s13, s11
	s_load_dword s33, s[12:13], 0x0
	s_lshl_b32 s16, s26, 8
	s_waitcnt lgkmcnt(0)
	s_cmp_ge_i32 s16, s33
	s_cbranch_scc1 .LBB302_20
; %bb.5:
	s_add_i32 s14, s33, 15
	s_load_dwordx2 s[12:13], s[4:5], 0x20
	s_load_dword s9, s[4:5], 0x38
	s_ashr_i32 s15, s14, 31
	v_and_b32_e32 v1, 0xcf, v0
	s_lshr_b32 s15, s15, 28
	v_add_u32_e32 v1, s16, v1
	s_add_i32 s14, s14, s15
	v_ashrrev_i32_e32 v2, 31, v1
	s_ashr_i32 s19, s14, 4
	v_lshrrev_b32_e32 v4, 28, v2
	s_add_i32 s19, s19, -1
	v_add_u32_e32 v2, v1, v4
	s_waitcnt lgkmcnt(0)
	s_mul_i32 s14, s6, s9
	s_mov_b32 s15, 0
	v_ashrrev_i32_e32 v2, 4, v2
	v_mov_b32_e32 v5, s19
	v_cmp_gt_i32_e32 vcc, s33, v1
	s_lshl_b64 s[14:15], s[14:15], 2
	v_cndmask_b32_e32 v2, v5, v2, vcc
	s_add_u32 s17, s12, s14
	v_ashrrev_i32_e32 v3, 31, v2
	s_addc_u32 s18, s13, s15
	v_lshlrev_b64 v[2:3], 2, v[2:3]
	v_mov_b32_e32 v7, s18
	v_add_co_u32_e32 v6, vcc, s17, v2
	v_or_b32_e32 v2, 16, v1
	v_addc_co_u32_e32 v7, vcc, v7, v3, vcc
	v_add_u32_e32 v3, v2, v4
	v_ashrrev_i32_e32 v3, 4, v3
	v_cmp_gt_i32_e32 vcc, s33, v2
	v_cndmask_b32_e32 v2, v5, v3, vcc
	v_ashrrev_i32_e32 v3, 31, v2
	v_lshlrev_b64 v[2:3], 2, v[2:3]
	v_mov_b32_e32 v9, s18
	v_add_co_u32_e32 v8, vcc, s17, v2
	v_or_b32_e32 v2, 32, v1
	v_addc_co_u32_e32 v9, vcc, v9, v3, vcc
	v_add_u32_e32 v3, v2, v4
	v_ashrrev_i32_e32 v3, 4, v3
	v_cmp_gt_i32_e32 vcc, s33, v2
	v_cndmask_b32_e32 v2, v5, v3, vcc
	v_ashrrev_i32_e32 v3, 31, v2
	;; [unrolled: 10-line block ×3, first 2 shown]
	v_lshlrev_b64 v[2:3], 2, v[2:3]
	v_mov_b32_e32 v1, s18
	v_add_co_u32_e32 v12, vcc, s17, v2
	v_addc_co_u32_e32 v13, vcc, v1, v3, vcc
	global_load_dword v5, v[6:7], off
	global_load_dword v4, v[8:9], off
	global_load_dword v3, v[10:11], off
	global_load_dword v2, v[12:13], off
	s_load_dwordx2 s[12:13], s[4:5], 0x8
	s_andn2_b64 vcc, exec, s[2:3]
	s_cbranch_vccnz .LBB302_8
; %bb.6:
	s_add_u32 s0, s0, s10
	s_addc_u32 s1, s1, s11
	s_load_dword s9, s[0:1], 0x0
	s_branch .LBB302_9
.LBB302_7:
	s_mov_b64 s[12:13], 0
	s_branch .LBB302_2
.LBB302_8:
	s_mov_b32 s9, s6
.LBB302_9:
	s_load_dwordx2 s[10:11], s[4:5], 0x10
	s_load_dwordx4 s[0:3], s[4:5], 0x48
	v_lshrrev_b32_e32 v87, 6, v0
	v_bfe_u32 v1, v0, 4, 2
	v_and_b32_e32 v85, 15, v0
	v_lshl_or_b32 v6, v87, 2, v1
	v_lshlrev_b32_e32 v7, 3, v85
	s_mul_i32 s27, s8, 15
	v_cmp_gt_u32_e32 vcc, 15, v6
	v_lshlrev_b32_e32 v7, 1, v7
	buffer_store_dword v7, off, s[44:47], 0 ; 4-byte Folded Spill
	s_and_saveexec_b64 s[14:15], vcc
	s_cbranch_execz .LBB302_11
; %bb.10:
	s_load_dwordx2 s[20:21], s[4:5], 0x0
	s_waitcnt lgkmcnt(0)
	s_ashr_i32 s3, s0, 31
	s_mul_hi_u32 s22, s9, s0
	s_mul_i32 s3, s9, s3
	s_add_i32 s23, s22, s3
	s_mul_i32 s22, s9, s0
	s_lshl_b64 s[22:23], s[22:23], 1
	v_add_lshl_u32 v8, v6, s27, 7
	s_add_u32 s0, s20, s22
	v_ashrrev_i32_e32 v9, 31, v8
	s_addc_u32 s3, s21, s23
	v_lshlrev_b64 v[8:9], 1, v[8:9]
	v_mov_b32_e32 v7, s3
	v_add_co_u32_e32 v8, vcc, s0, v8
	v_addc_co_u32_e32 v7, vcc, v7, v9, vcc
	buffer_load_dword v9, off, s[44:47], 0  ; 4-byte Folded Reload
	v_lshlrev_b32_e32 v12, 9, v85
	v_lshlrev_b32_e32 v6, 5, v6
	v_and_b32_e32 v12, 0x1800, v12
	s_waitcnt vmcnt(0)
	v_add_co_u32_e32 v8, vcc, v8, v9
	v_addc_co_u32_e32 v9, vcc, 0, v7, vcc
	global_load_dwordx4 v[8:11], v[8:9], off
	v_and_b32_e32 v7, 3, v0
	v_lshlrev_b32_e32 v7, 9, v7
	v_or3_b32 v6, v12, v7, v6
	s_waitcnt vmcnt(0)
	ds_write_b128 v6, v[8:11]
.LBB302_11:
	s_or_b64 exec, exec, s[14:15]
	s_waitcnt lgkmcnt(0)
	s_mov_b32 s3, 0
	s_mul_i32 s2, s8, s2
	s_lshl_b64 s[2:3], s[2:3], 1
	s_add_u32 s0, s12, s2
	v_lshlrev_b32_e32 v10, 4, v0
	s_addc_u32 s8, s13, s3
	v_and_b32_e32 v6, 0xf0, v10
	v_mov_b32_e32 v7, s8
	v_add_co_u32_e32 v8, vcc, s0, v6
	v_addc_co_u32_e32 v9, vcc, 0, v7, vcc
	s_waitcnt vmcnt(4)
	v_mad_i64_i32 v[6:7], s[8:9], v5, s1, 0
	v_lshlrev_b64 v[6:7], 1, v[6:7]
	v_add_co_u32_e32 v5, vcc, v8, v6
	v_addc_co_u32_e32 v7, vcc, v9, v7, vcc
	v_and_b32_e32 v10, 0x300, v10
	v_add_co_u32_e32 v6, vcc, v5, v10
	s_waitcnt vmcnt(3)
	v_mad_i64_i32 v[4:5], s[8:9], v4, s1, 0
	v_addc_co_u32_e32 v7, vcc, 0, v7, vcc
	v_lshlrev_b64 v[4:5], 1, v[4:5]
	v_add_co_u32_e32 v4, vcc, v8, v4
	v_addc_co_u32_e32 v5, vcc, v9, v5, vcc
	v_add_co_u32_e32 v4, vcc, v4, v10
	v_addc_co_u32_e32 v5, vcc, 0, v5, vcc
	s_barrier
	global_load_dwordx4 v[74:77], v[6:7], off
	global_load_dwordx4 v[66:69], v[6:7], off offset:1024
	global_load_dwordx4 v[58:61], v[6:7], off offset:2048
	;; [unrolled: 1-line block ×3, first 2 shown]
	global_load_dwordx4 v[78:81], v[4:5], off
	global_load_dwordx4 v[70:73], v[4:5], off offset:1024
	global_load_dwordx4 v[62:65], v[4:5], off offset:2048
	;; [unrolled: 1-line block ×3, first 2 shown]
	s_waitcnt vmcnt(10)
	v_mad_i64_i32 v[4:5], s[8:9], v3, s1, 0
	v_lshlrev_b64 v[4:5], 1, v[4:5]
	v_add_co_u32_e32 v3, vcc, v8, v4
	v_addc_co_u32_e32 v5, vcc, v9, v5, vcc
	v_add_co_u32_e32 v4, vcc, v3, v10
	s_waitcnt vmcnt(9)
	v_mad_i64_i32 v[2:3], s[8:9], v2, s1, 0
	v_addc_co_u32_e32 v5, vcc, 0, v5, vcc
	v_lshlrev_b64 v[2:3], 1, v[2:3]
	v_add_co_u32_e32 v2, vcc, v8, v2
	v_addc_co_u32_e32 v3, vcc, v9, v3, vcc
	v_add_co_u32_e32 v6, vcc, v2, v10
	v_addc_co_u32_e32 v7, vcc, 0, v3, vcc
	global_load_dwordx4 v[38:41], v[4:5], off
	global_load_dwordx4 v[34:37], v[4:5], off offset:1024
	global_load_dwordx4 v[30:33], v[4:5], off offset:2048
	;; [unrolled: 1-line block ×3, first 2 shown]
	global_load_dwordx4 v[18:21], v[6:7], off
	global_load_dwordx4 v[10:13], v[6:7], off offset:1024
	s_nop 0
	global_load_dwordx4 v[2:5], v[6:7], off offset:2048
	global_load_dwordx4 v[50:53], v[6:7], off offset:3072
	v_cmp_ne_u32_e32 vcc, 15, v85
	v_cndmask_b32_e32 v6, 0, v85, vcc
	v_lshlrev_b32_e32 v6, 5, v6
	v_lshl_or_b32 v54, v1, 9, v6
	ds_read_b128 v[26:29], v54
	ds_read_b128 v[14:17], v54 offset:2048
	ds_read_b128 v[6:9], v54 offset:4096
	ds_read_b128 v[54:57], v54 offset:6144
	v_and_b32_e32 v88, 63, v0
	v_mov_b32_e32 v89, 0
	s_and_saveexec_b64 s[8:9], vcc
	s_cbranch_execz .LBB302_13
; %bb.12:
	s_load_dwordx2 s[12:13], s[4:5], 0x40
	v_add_u32_e32 v82, s27, v85
	v_ashrrev_i32_e32 v83, 31, v82
	v_lshlrev_b64 v[82:83], 2, v[82:83]
	s_waitcnt lgkmcnt(0)
	v_mov_b32_e32 v89, s13
	v_add_co_u32_e32 v82, vcc, s12, v82
	v_addc_co_u32_e32 v83, vcc, v89, v83, vcc
	global_load_dword v89, v[82:83], off
.LBB302_13:
	s_or_b64 exec, exec, s[8:9]
	s_waitcnt vmcnt(15) lgkmcnt(3)
	v_mfma_f32_16x16x16bf16_1k v[90:93], v[74:75], v[26:27], 0
	s_add_u32 s8, s10, s2
	s_addc_u32 s9, s11, s3
	s_load_dword s0, s[4:5], 0x1c
	s_mov_b32 s40, 0xff7fffff
	v_mfma_f32_16x16x16bf16_1k v[74:77], v[76:77], v[28:29], v[90:93]
	s_waitcnt vmcnt(14) lgkmcnt(0)
	v_mfma_f32_16x16x16bf16_1k v[74:77], v[66:67], v[14:15], v[74:77]
	s_nop 4
	v_lshl_or_b32 v90, v87, 4, v85
	v_mfma_f32_16x16x16bf16_1k v[66:69], v[68:69], v[16:17], v[74:77]
	s_waitcnt vmcnt(13)
	v_mfma_f32_16x16x16bf16_1k v[66:69], v[58:59], v[6:7], v[66:69]
	s_nop 4
	v_lshlrev_b32_e32 v76, 5, v90
	v_mfma_f32_16x16x16bf16_1k v[58:61], v[60:61], v[8:9], v[66:69]
	s_waitcnt vmcnt(12)
	v_mfma_f32_16x16x16bf16_1k v[58:61], v[42:43], v[54:55], v[58:61]
	s_nop 4
	v_mov_b32_e32 v66, s18
	v_mfma_f32_16x16x16bf16_1k v[58:61], v[44:45], v[56:57], v[58:61]
	s_waitcnt vmcnt(11)
	v_mfma_f32_16x16x16bf16_1k v[42:45], v[78:79], v[26:27], 0
	s_nop 7
	s_nop 0
	v_pk_mul_f32 v[58:59], s[0:1], v[58:59] op_sel_hi:[0,1]
	v_mfma_f32_16x16x16bf16_1k v[42:45], v[80:81], v[28:29], v[42:45]
	s_waitcnt vmcnt(10)
	v_mfma_f32_16x16x16bf16_1k v[42:45], v[70:71], v[14:15], v[42:45]
	v_mfma_f32_16x16x16bf16_1k v[42:45], v[72:73], v[16:17], v[42:45]
	s_waitcnt vmcnt(9)
	v_mfma_f32_16x16x16bf16_1k v[42:45], v[62:63], v[6:7], v[42:45]
	;; [unrolled: 3-line block ×3, first 2 shown]
	v_mfma_f32_16x16x16bf16_1k v[62:65], v[48:49], v[56:57], v[42:45]
	v_and_or_b32 v48, v0, 48, s16
	v_mov_b32_e32 v49, s19
	v_cmp_gt_i32_e32 vcc, s33, v48
	s_waitcnt vmcnt(7)
	v_mfma_f32_16x16x16bf16_1k v[42:45], v[38:39], v[26:27], 0
	v_ashrrev_i32_e32 v38, 4, v48
	v_cndmask_b32_e32 v38, v49, v38, vcc
	v_ashrrev_i32_e32 v39, 31, v38
	v_lshlrev_b64 v[46:47], 2, v[38:39]
	v_mfma_f32_16x16x16bf16_1k v[38:41], v[40:41], v[28:29], v[42:45]
	s_nop 6
	v_add_co_u32_e32 v42, vcc, s17, v46
	v_addc_co_u32_e32 v43, vcc, v66, v47, vcc
	global_load_dword v44, v[42:43], off
	v_or_b32_e32 v42, 64, v48
	v_ashrrev_i32_e32 v43, 4, v42
	v_cmp_gt_i32_e32 vcc, s33, v42
	v_cndmask_b32_e32 v42, v49, v43, vcc
	s_waitcnt vmcnt(7)
	v_mfma_f32_16x16x16bf16_1k v[38:41], v[34:35], v[14:15], v[38:41]
	v_ashrrev_i32_e32 v43, 31, v42
	v_lshlrev_b64 v[34:35], 2, v[42:43]
	v_mov_b32_e32 v42, s18
	v_add_co_u32_e32 v34, vcc, s17, v34
	v_addc_co_u32_e32 v35, vcc, v42, v35, vcc
	global_load_dword v72, v[34:35], off
	v_mfma_f32_16x16x16bf16_1k v[34:37], v[36:37], v[16:17], v[38:41]
	s_nop 6
	v_or_b32_e32 v38, 0x80, v48
	v_ashrrev_i32_e32 v39, 4, v38
	v_cmp_gt_i32_e32 vcc, s33, v38
	v_cndmask_b32_e32 v38, v49, v39, vcc
	v_ashrrev_i32_e32 v39, 31, v38
	v_lshlrev_b64 v[38:39], 2, v[38:39]
	v_mov_b32_e32 v40, s18
	s_waitcnt vmcnt(7)
	v_mfma_f32_16x16x16bf16_1k v[34:37], v[30:31], v[6:7], v[34:37]
	v_add_co_u32_e32 v30, vcc, s17, v38
	v_addc_co_u32_e32 v31, vcc, v40, v39, vcc
	global_load_dword v74, v[30:31], off
	v_or_b32_e32 v30, 0xc0, v48
	v_ashrrev_i32_e32 v31, 4, v30
	v_cmp_gt_i32_e32 vcc, s33, v30
	v_cndmask_b32_e32 v38, v49, v31, vcc
	v_ashrrev_i32_e32 v39, 31, v38
	v_mfma_f32_16x16x16bf16_1k v[30:33], v[32:33], v[8:9], v[34:37]
	s_nop 6
	v_lshlrev_b64 v[34:35], 2, v[38:39]
	v_mov_b32_e32 v36, s18
	v_add_co_u32_e32 v34, vcc, s17, v34
	v_addc_co_u32_e32 v35, vcc, v36, v35, vcc
	global_load_dword v75, v[34:35], off
	s_waitcnt vmcnt(8)
	v_mfma_f32_16x16x16bf16_1k v[30:33], v[22:23], v[54:55], v[30:33]
	v_mov_b32_e32 v22, s9
	v_add_co_u32_e32 v77, vcc, s8, v76
	v_addc_co_u32_e32 v78, vcc, 0, v22, vcc
	s_waitcnt vmcnt(3)
	v_mad_i64_i32 v[22:23], s[2:3], v44, s1, 0
	v_mfma_f32_16x16x16bf16_1k v[66:69], v[24:25], v[56:57], v[30:33]
	v_lshlrev_b64 v[70:71], 1, v[22:23]
	v_mfma_f32_16x16x16bf16_1k v[22:25], v[18:19], v[26:27], 0
	v_add_co_u32_e32 v18, vcc, v77, v70
	v_addc_co_u32_e32 v19, vcc, v78, v71, vcc
	global_load_dwordx4 v[46:49], v[18:19], off
	global_load_dwordx4 v[42:45], v[18:19], off offset:16
	s_waitcnt vmcnt(4)
	v_mad_i64_i32 v[18:19], s[2:3], v72, s1, 0
	v_lshlrev_b64 v[72:73], 1, v[18:19]
	v_mfma_f32_16x16x16bf16_1k v[18:21], v[20:21], v[28:29], v[22:25]
	v_mfma_f32_16x16x16bf16_1k v[18:21], v[10:11], v[14:15], v[18:21]
	s_nop 5
	v_add_co_u32_e32 v22, vcc, v77, v72
	v_addc_co_u32_e32 v23, vcc, v78, v73, vcc
	global_load_dwordx4 v[38:41], v[22:23], off
	global_load_dwordx4 v[34:37], v[22:23], off offset:16
	s_waitcnt vmcnt(5)
	v_mad_i64_i32 v[22:23], s[2:3], v74, s1, 0
	v_lshlrev_b64 v[82:83], 1, v[22:23]
	v_add_co_u32_e32 v10, vcc, v77, v82
	v_addc_co_u32_e32 v11, vcc, v78, v83, vcc
	global_load_dwordx4 v[30:33], v[10:11], off
	global_load_dwordx4 v[26:29], v[10:11], off offset:16
	v_mfma_f32_16x16x16bf16_1k v[10:13], v[12:13], v[16:17], v[18:21]
	s_waitcnt vmcnt(6)
	v_mad_i64_i32 v[14:15], s[2:3], v75, s1, 0
	v_mfma_f32_16x16x16bf16_1k v[10:13], v[2:3], v[6:7], v[10:13]
	v_lshlrev_b64 v[80:81], 1, v[14:15]
	v_add_co_u32_e32 v14, vcc, v77, v80
	v_addc_co_u32_e32 v15, vcc, v78, v81, vcc
	v_or_b32_e32 v2, 0x800, v76
	v_mov_b32_e32 v3, s9
	v_mfma_f32_16x16x16bf16_1k v[10:13], v[4:5], v[8:9], v[10:13]
	v_add_co_u32_e32 v91, vcc, s8, v2
	v_addc_co_u32_e32 v84, vcc, 0, v3, vcc
	v_add_co_u32_e32 v2, vcc, v91, v70
	v_addc_co_u32_e32 v3, vcc, v84, v71, vcc
	v_mfma_f32_16x16x16bf16_1k v[92:95], v[50:51], v[54:55], v[10:13]
	v_add_co_u32_e32 v70, vcc, v91, v72
	v_addc_co_u32_e32 v71, vcc, v84, v73, vcc
	global_load_dwordx4 v[22:25], v[14:15], off
	global_load_dwordx4 v[18:21], v[14:15], off offset:16
	global_load_dwordx4 v[6:9], v[2:3], off
	s_nop 0
	global_load_dwordx4 v[2:5], v[2:3], off offset:16
	s_nop 0
	global_load_dwordx4 v[14:17], v[70:71], off
	global_load_dwordx4 v[10:13], v[70:71], off offset:16
	v_mfma_f32_16x16x16bf16_1k v[50:53], v[52:53], v[56:57], v[92:95]
	v_pk_mul_f32 v[70:71], s[0:1], v[68:69] op_sel_hi:[0,1]
	v_pk_mul_f32 v[72:73], s[0:1], v[66:67] op_sel_hi:[0,1]
	;; [unrolled: 1-line block ×5, first 2 shown]
	s_nop 5
	v_pk_mul_f32 v[68:69], s[0:1], v[50:51] op_sel_hi:[0,1]
	v_and_b32_e32 v50, 0xc0, v0
	v_add_u32_e32 v50, s16, v50
	v_lshl_or_b32 v50, v1, 2, v50
	v_or_b32_e32 v51, 1, v50
	v_pk_mul_f32 v[66:67], s[0:1], v[52:53] op_sel_hi:[0,1]
	v_subrev_u32_e32 v52, s33, v51
	v_add_u32_e32 v54, 1, v52
	v_add_u32_e32 v55, 2, v52
	v_cvt_f32_i32_e32 v53, v52
	v_cvt_f32_i32_e32 v54, v54
	;; [unrolled: 1-line block ×3, first 2 shown]
	v_add_u32_e32 v56, 3, v52
	v_fma_f32 v58, v89, v53, v58
	v_fmac_f32_e32 v59, v89, v54
	v_fma_f32 v78, v89, v55, v78
	v_add_u32_e32 v53, 16, v52
	v_add_u32_e32 v54, 17, v52
	;; [unrolled: 1-line block ×3, first 2 shown]
	v_cvt_f32_i32_e32 v56, v56
	v_cvt_f32_i32_e32 v53, v53
	;; [unrolled: 1-line block ×4, first 2 shown]
	v_fmac_f32_e32 v79, v89, v56
	v_add_u32_e32 v56, 19, v52
	v_fma_f32 v76, v89, v53, v76
	v_fmac_f32_e32 v77, v89, v54
	v_fma_f32 v74, v89, v55, v74
	v_add_u32_e32 v53, 32, v52
	v_add_u32_e32 v54, 33, v52
	v_add_u32_e32 v55, 34, v52
	v_cvt_f32_i32_e32 v56, v56
	v_cvt_f32_i32_e32 v53, v53
	;; [unrolled: 1-line block ×4, first 2 shown]
	v_fmac_f32_e32 v75, v89, v56
	v_add_u32_e32 v56, 35, v52
	v_fma_f32 v72, v89, v53, v72
	v_fmac_f32_e32 v73, v89, v54
	v_fma_f32 v70, v89, v55, v70
	v_add_u32_e32 v53, 48, v52
	v_add_u32_e32 v54, 49, v52
	;; [unrolled: 1-line block ×4, first 2 shown]
	v_cvt_f32_i32_e32 v52, v52
	v_cvt_f32_i32_e32 v53, v53
	;; [unrolled: 1-line block ×3, first 2 shown]
	v_cmp_gt_i32_e64 s[28:29], s33, v50
	v_fmac_f32_e32 v67, v89, v52
	v_mov_b32_e32 v52, 0xff7fffff
	v_cmp_gt_i32_e64 s[30:31], s33, v51
	v_fma_f32 v68, v89, v53, v68
	v_cndmask_b32_e64 v53, v52, v58, s[28:29]
	v_cndmask_b32_e64 v51, v52, v59, s[30:31]
	v_fmac_f32_e32 v69, v89, v54
	v_max3_f32 v51, v53, s40, v51
	v_or_b32_e32 v53, 2, v50
	v_or_b32_e32 v54, 3, v50
	v_cmp_gt_i32_e64 s[34:35], s33, v53
	v_cmp_gt_i32_e64 s[36:37], s33, v54
	v_cndmask_b32_e64 v53, v52, v78, s[34:35]
	v_cndmask_b32_e64 v54, v52, v79, s[36:37]
	v_max3_f32 v51, v51, v53, v54
	v_or_b32_e32 v53, 16, v50
	v_or_b32_e32 v54, 17, v50
	v_cmp_gt_i32_e64 s[22:23], s33, v53
	v_cmp_gt_i32_e64 s[24:25], s33, v54
	v_cndmask_b32_e64 v53, v52, v76, s[22:23]
	v_cndmask_b32_e64 v54, v52, v77, s[24:25]
	;; [unrolled: 7-line block ×3, first 2 shown]
	v_cvt_f32_i32_e32 v56, v56
	v_max3_f32 v51, v51, v53, v54
	v_or_b32_e32 v53, 32, v50
	v_or_b32_e32 v54, 33, v50
	v_cmp_gt_i32_e64 s[14:15], s33, v53
	v_cmp_gt_i32_e64 s[16:17], s33, v54
	v_cndmask_b32_e64 v53, v52, v72, s[14:15]
	v_cndmask_b32_e64 v54, v52, v73, s[16:17]
	v_max3_f32 v51, v51, v53, v54
	v_or_b32_e32 v53, 34, v50
	v_or_b32_e32 v54, 35, v50
	v_fmac_f32_e32 v71, v89, v56
	v_cmp_gt_i32_e64 s[10:11], s33, v53
	v_cmp_gt_i32_e64 s[12:13], s33, v54
	v_cndmask_b32_e64 v53, v52, v70, s[10:11]
	v_cndmask_b32_e64 v54, v52, v71, s[12:13]
	v_cvt_f32_i32_e32 v55, v55
	v_max3_f32 v51, v51, v53, v54
	v_or_b32_e32 v53, 48, v50
	v_or_b32_e32 v54, 49, v50
	v_cmp_gt_i32_e64 s[2:3], s33, v53
	v_cmp_gt_i32_e64 s[8:9], s33, v54
	v_cndmask_b32_e64 v53, v52, v68, s[2:3]
	v_cndmask_b32_e64 v54, v52, v69, s[8:9]
	v_max3_f32 v51, v51, v53, v54
	v_or_b32_e32 v53, 50, v50
	v_or_b32_e32 v50, 51, v50
	v_fma_f32 v66, v89, v55, v66
	v_cmp_gt_i32_e32 vcc, s33, v53
	v_cmp_gt_i32_e64 s[0:1], s33, v50
	v_cndmask_b32_e32 v53, v52, v66, vcc
	v_cndmask_b32_e64 v50, v52, v67, s[0:1]
	v_max3_f32 v60, v51, v53, v50
	v_mbcnt_lo_u32_b32 v50, -1, 0
	v_mbcnt_hi_u32_b32 v61, -1, v50
	v_and_b32_e32 v50, 64, v61
	v_add_u32_e32 v62, 64, v50
	v_xor_b32_e32 v50, 32, v61
	v_cmp_lt_i32_e64 s[38:39], v50, v62
	v_cndmask_b32_e64 v50, v61, v50, s[38:39]
	v_lshlrev_b32_e32 v89, 2, v50
	ds_bpermute_b32 v63, v89, v60
	v_add_co_u32_e64 v50, s[38:39], v91, v82
	v_addc_co_u32_e64 v51, s[38:39], v84, v83, s[38:39]
	s_waitcnt lgkmcnt(0)
	v_max_f32_e32 v63, v63, v63
	v_max_f32_e32 v63, v60, v63
	v_xor_b32_e32 v60, 16, v61
	v_cmp_lt_i32_e64 s[38:39], v60, v62
	v_cndmask_b32_e64 v60, v61, v60, s[38:39]
	v_lshlrev_b32_e32 v92, 2, v60
	ds_bpermute_b32 v62, v92, v63
	v_add_co_u32_e64 v60, s[38:39], v91, v80
	v_addc_co_u32_e64 v61, s[38:39], v84, v81, s[38:39]
	s_waitcnt lgkmcnt(0)
	v_max_f32_e32 v62, v62, v62
	v_max_f32_e32 v82, v63, v62
	v_sub_f32_e32 v58, v58, v82
	v_mul_f32_e32 v58, 0x3fb8aa3b, v58
	v_exp_f32_e32 v80, v58
	v_sub_f32_e32 v58, v59, v82
	v_mul_f32_e32 v58, 0x3fb8aa3b, v58
	global_load_dwordx4 v[54:57], v[50:51], off
	s_nop 0
	global_load_dwordx4 v[50:53], v[50:51], off offset:16
	v_exp_f32_e32 v81, v58
	global_load_dwordx4 v[62:65], v[60:61], off
	s_nop 0
	global_load_dwordx4 v[58:61], v[60:61], off offset:16
	v_sub_f32_e32 v78, v78, v82
	v_mul_f32_e32 v78, 0x3fb8aa3b, v78
	v_sub_f32_e32 v79, v79, v82
	v_exp_f32_e32 v78, v78
	v_mul_f32_e32 v79, 0x3fb8aa3b, v79
	v_sub_f32_e32 v76, v76, v82
	v_exp_f32_e32 v79, v79
	v_mul_f32_e32 v76, 0x3fb8aa3b, v76
	v_sub_f32_e32 v77, v77, v82
	v_cndmask_b32_e64 v80, 0, v80, s[28:29]
	v_exp_f32_e32 v76, v76
	v_mul_f32_e32 v77, 0x3fb8aa3b, v77
	v_sub_f32_e32 v74, v74, v82
	v_add_f32_e32 v83, 0, v80
	v_cndmask_b32_e64 v81, 0, v81, s[30:31]
	v_exp_f32_e32 v77, v77
	v_mul_f32_e32 v74, 0x3fb8aa3b, v74
	v_sub_f32_e32 v75, v75, v82
	v_add_f32_e32 v83, v83, v81
	;; [unrolled: 5-line block ×10, first 2 shown]
	v_cndmask_b32_e64 v70, 0, v70, s[10:11]
	v_exp_f32_e32 v66, v66
	v_mul_f32_e32 v67, 0x3fb8aa3b, v67
	v_add_f32_e32 v83, v83, v70
	v_cndmask_b32_e64 v71, 0, v71, s[12:13]
	v_exp_f32_e32 v67, v67
	v_add_f32_e32 v83, v83, v71
	v_cndmask_b32_e64 v68, 0, v68, s[2:3]
	v_add_f32_e32 v83, v83, v68
	v_cndmask_b32_e64 v69, 0, v69, s[8:9]
	v_add_f32_e32 v83, v83, v69
	v_cndmask_b32_e32 v66, 0, v66, vcc
	v_add_f32_e32 v83, v83, v66
	v_cndmask_b32_e64 v67, 0, v67, s[0:1]
	v_add_f32_e32 v83, v83, v67
	ds_bpermute_b32 v84, v89, v83
	s_load_dword s3, s[4:5], 0x98
	v_cmp_gt_u32_e32 vcc, 16, v88
	s_waitcnt lgkmcnt(0)
	s_barrier
	v_add_f32_e32 v83, v83, v84
	ds_bpermute_b32 v89, v92, v83
	s_waitcnt lgkmcnt(0)
	s_and_saveexec_b64 s[0:1], vcc
	s_cbranch_execz .LBB302_15
; %bb.14:
	v_add_f32_e32 v83, v83, v89
	v_lshlrev_b32_e32 v84, 2, v90
	ds_write2st64_b32 v84, v82, v83 offset1:1
.LBB302_15:
	s_or_b64 exec, exec, s[0:1]
	v_lshlrev_b32_e32 v83, 2, v85
	s_load_dword s2, s[4:5], 0x94
	s_waitcnt lgkmcnt(0)
	s_barrier
	ds_read2_b32 v[88:89], v83 offset1:16
	ds_read2_b32 v[90:91], v83 offset0:32 offset1:48
	ds_read2_b32 v[92:93], v83 offset0:64 offset1:80
	s_movk_i32 s8, 0x7fff
	s_mov_b32 s9, 0x7060302
	s_waitcnt lgkmcnt(2)
	v_max3_f32 v82, v88, s40, v89
	s_waitcnt lgkmcnt(1)
	v_max3_f32 v82, v82, v90, v91
	v_sub_f32_e32 v84, v88, v82
	v_sub_f32_e32 v88, v89, v82
	v_mul_f32_e32 v88, 0x3fb8aa3b, v88
	v_mul_f32_e32 v84, 0x3fb8aa3b, v84
	v_exp_f32_e32 v94, v88
	v_sub_f32_e32 v88, v90, v82
	v_exp_f32_e32 v84, v84
	v_mul_f32_e32 v88, 0x3fb8aa3b, v88
	v_exp_f32_e32 v90, v88
	ds_read2_b32 v[88:89], v83 offset0:96 offset1:112
	v_sub_f32_e32 v83, v91, v82
	v_mul_f32_e32 v83, 0x3fb8aa3b, v83
	v_exp_f32_e32 v91, v83
	s_waitcnt lgkmcnt(1)
	v_fma_f32 v83, v84, v92, 0
	v_fmac_f32_e32 v83, v94, v93
	s_waitcnt lgkmcnt(0)
	v_fmac_f32_e32 v83, v90, v88
	v_fmac_f32_e32 v83, v91, v89
	v_add_f32_e32 v88, 0x358637bd, v83
	v_div_scale_f32 v89, s[0:1], v88, v88, 1.0
	v_rcp_f32_e32 v92, v89
	s_mul_i32 s3, s3, 15
	s_barrier
	v_fma_f32 v93, -v89, v92, 1.0
	v_fmac_f32_e32 v92, v93, v92
	v_div_scale_f32 v93, vcc, 1.0, v88, 1.0
	v_mul_f32_e32 v95, v93, v92
	v_fma_f32 v86, -v89, v95, v93
	v_fmac_f32_e32 v95, v86, v92
	v_fma_f32 v86, -v89, v95, v93
	v_div_fmas_f32 v86, v86, v92, v95
	v_cmp_eq_u32_e32 vcc, 1, v87
	v_cndmask_b32_e32 v84, v84, v94, vcc
	v_cmp_eq_u32_e32 vcc, 2, v87
	v_cndmask_b32_e32 v84, v84, v90, vcc
	v_cmp_eq_u32_e32 vcc, 3, v87
	v_div_fixup_f32 v86, v86, v88, 1.0
	v_cndmask_b32_e32 v84, v84, v91, vcc
	v_mul_f32_e32 v88, v84, v86
	v_pk_mul_f32 v[80:81], v[88:89], v[80:81] op_sel_hi:[0,1]
	v_bfe_u32 v84, v81, 16, 1
	v_bfe_u32 v86, v80, 16, 1
	v_pk_mul_f32 v[78:79], v[88:89], v[78:79] op_sel_hi:[0,1]
	v_add3_u32 v80, v80, v86, s8
	v_add3_u32 v81, v81, v84, s8
	v_perm_b32 v80, v81, v80, s9
	v_bfe_u32 v81, v79, 16, 1
	v_bfe_u32 v84, v78, 16, 1
	v_add3_u32 v78, v78, v84, s8
	v_add3_u32 v79, v79, v81, s8
	v_perm_b32 v81, v79, v78, s9
	v_lshlrev_b32_e32 v78, 3, v1
	v_lshlrev_b32_e32 v79, 5, v85
	;; [unrolled: 1-line block ×3, first 2 shown]
	v_pk_mul_f32 v[76:77], v[88:89], v[76:77] op_sel_hi:[0,1]
	v_or3_b32 v78, v84, v79, v78
	v_bfe_u32 v84, v77, 16, 1
	v_bfe_u32 v86, v76, 16, 1
	v_pk_mul_f32 v[74:75], v[88:89], v[74:75] op_sel_hi:[0,1]
	v_add3_u32 v76, v76, v86, s8
	v_add3_u32 v77, v77, v84, s8
	v_perm_b32 v76, v77, v76, s9
	v_bfe_u32 v77, v75, 16, 1
	v_bfe_u32 v84, v74, 16, 1
	v_add3_u32 v74, v74, v84, s8
	v_add3_u32 v75, v75, v77, s8
	v_pk_mul_f32 v[72:73], v[88:89], v[72:73] op_sel_hi:[0,1]
	v_perm_b32 v77, v75, v74, s9
	v_bfe_u32 v74, v73, 16, 1
	v_bfe_u32 v75, v72, 16, 1
	v_pk_mul_f32 v[70:71], v[88:89], v[70:71] op_sel_hi:[0,1]
	v_add3_u32 v72, v72, v75, s8
	v_add3_u32 v73, v73, v74, s8
	v_perm_b32 v72, v73, v72, s9
	v_bfe_u32 v73, v71, 16, 1
	v_bfe_u32 v74, v70, 16, 1
	v_add3_u32 v70, v70, v74, s8
	v_add3_u32 v71, v71, v73, s8
	v_pk_mul_f32 v[68:69], v[88:89], v[68:69] op_sel_hi:[0,1]
	v_perm_b32 v73, v71, v70, s9
	v_bfe_u32 v70, v69, 16, 1
	v_bfe_u32 v71, v68, 16, 1
	v_pk_mul_f32 v[66:67], v[88:89], v[66:67] op_sel_hi:[0,1]
	v_add3_u32 v68, v68, v71, s8
	v_add3_u32 v69, v69, v70, s8
	v_perm_b32 v68, v69, v68, s9
	v_bfe_u32 v69, v67, 16, 1
	v_bfe_u32 v70, v66, 16, 1
	v_add3_u32 v66, v66, v70, s8
	v_add3_u32 v67, v67, v69, s8
	v_perm_b32 v69, v67, v66, s9
	v_cmp_gt_u32_e32 vcc, 15, v0
	ds_write2st64_b64 v78, v[80:81], v[76:77] offset1:1
	ds_write2st64_b64 v78, v[72:73], v[68:69] offset0:2 offset1:3
	s_and_saveexec_b64 s[0:1], vcc
	s_cbranch_execz .LBB302_17
; %bb.16:
	v_add_co_u32_e32 v68, vcc, s27, v85
	v_addc_co_u32_e64 v69, s[10:11], 0, 0, vcc
	v_mov_b32_e32 v66, s3
	v_mov_b32_e32 v67, 0
	v_mad_u64_u32 v[68:69], s[10:11], s6, v66, v[68:69]
	v_mov_b32_e32 v66, s26
	s_load_dwordx4 s[12:15], s[4:5], 0x58
	s_mul_i32 s7, s7, s3
	v_mad_u64_u32 v[66:67], s[10:11], v68, s2, v[66:67]
	v_add_u32_e32 v69, s7, v69
	v_mov_b32_e32 v68, v67
	v_mad_u64_u32 v[68:69], s[10:11], v69, s2, v[68:69]
	v_mov_b32_e32 v67, v68
	v_lshlrev_b64 v[66:67], 2, v[66:67]
	s_waitcnt lgkmcnt(0)
	v_mov_b32_e32 v69, s15
	v_add_co_u32_e32 v68, vcc, s14, v66
	v_addc_co_u32_e32 v69, vcc, v69, v67, vcc
	global_store_dword v[68:69], v82, off
	v_mov_b32_e32 v68, s13
	v_add_co_u32_e32 v66, vcc, s12, v66
	v_addc_co_u32_e32 v67, vcc, v68, v67, vcc
	global_store_dword v[66:67], v83, off
.LBB302_17:
	s_or_b64 exec, exec, s[0:1]
	v_lshl_or_b32 v79, v1, 9, v79
	s_waitcnt lgkmcnt(0)
	s_barrier
	ds_read_b128 v[70:73], v79
	ds_read_b128 v[66:69], v79 offset:16
	s_waitcnt vmcnt(15) lgkmcnt(1)
	v_mfma_f32_16x16x16bf16_1k v[74:77], v[46:47], v[70:71], 0
	s_mov_b32 s1, 0
	v_cmp_gt_u32_e32 vcc, 64, v0
	v_mfma_f32_16x16x16bf16_1k v[46:49], v[48:49], v[72:73], v[74:77]
	s_waitcnt vmcnt(14) lgkmcnt(0)
	v_mfma_f32_16x16x16bf16_1k v[46:49], v[42:43], v[66:67], v[46:49]
	v_mfma_f32_16x16x16bf16_1k v[42:45], v[44:45], v[68:69], v[46:49]
	s_nop 7
	s_nop 1
	ds_read_b128 v[46:49], v79 offset:2048
	ds_read_b128 v[74:77], v79 offset:2064
	s_waitcnt vmcnt(13) lgkmcnt(1)
	v_mfma_f32_16x16x16bf16_1k v[42:45], v[38:39], v[46:47], v[42:45]
	v_mfma_f32_16x16x16bf16_1k v[38:41], v[40:41], v[48:49], v[42:45]
	s_waitcnt vmcnt(12) lgkmcnt(0)
	v_mfma_f32_16x16x16bf16_1k v[38:41], v[34:35], v[74:75], v[38:41]
	v_mfma_f32_16x16x16bf16_1k v[34:37], v[36:37], v[76:77], v[38:41]
	s_nop 7
	s_nop 1
	ds_read_b128 v[38:41], v79 offset:4096
	ds_read_b128 v[42:45], v79 offset:4112
	s_waitcnt vmcnt(11) lgkmcnt(1)
	v_mfma_f32_16x16x16bf16_1k v[34:37], v[30:31], v[38:39], v[34:37]
	v_mfma_f32_16x16x16bf16_1k v[30:33], v[32:33], v[40:41], v[34:37]
	s_waitcnt vmcnt(10) lgkmcnt(0)
	v_mfma_f32_16x16x16bf16_1k v[30:33], v[26:27], v[42:43], v[30:33]
	v_mfma_f32_16x16x16bf16_1k v[26:29], v[28:29], v[44:45], v[30:33]
	s_nop 7
	s_nop 1
	ds_read_b128 v[30:33], v79 offset:6144
	ds_read_b128 v[34:37], v79 offset:6160
	s_waitcnt lgkmcnt(0)
	s_barrier
	s_waitcnt vmcnt(9)
	v_mfma_f32_16x16x16bf16_1k v[26:29], v[22:23], v[30:31], v[26:29]
	v_mfma_f32_16x16x16bf16_1k v[22:25], v[24:25], v[32:33], v[26:29]
	s_waitcnt vmcnt(8)
	v_mfma_f32_16x16x16bf16_1k v[22:25], v[18:19], v[34:35], v[22:25]
	v_mfma_f32_16x16x16bf16_1k v[18:21], v[20:21], v[36:37], v[22:25]
	;; [unrolled: 3-line block ×4, first 2 shown]
	s_waitcnt vmcnt(5)
	v_mfma_f32_16x16x16bf16_1k v[2:5], v[14:15], v[46:47], v[2:5]
	s_nop 7
	v_bfe_u32 v6, v19, 16, 1
	v_bfe_u32 v7, v18, 16, 1
	v_add3_u32 v7, v18, v7, s8
	v_add3_u32 v6, v19, v6, s8
	v_perm_b32 v6, v6, v7, s9
	v_bfe_u32 v7, v21, 16, 1
	v_bfe_u32 v8, v20, 16, 1
	v_mfma_f32_16x16x16bf16_1k v[2:5], v[16:17], v[48:49], v[2:5]
	v_add3_u32 v8, v20, v8, s8
	v_add3_u32 v7, v21, v7, s8
	v_perm_b32 v7, v7, v8, s9
	s_waitcnt vmcnt(4)
	v_mfma_f32_16x16x16bf16_1k v[2:5], v[10:11], v[74:75], v[2:5]
	v_mfma_f32_16x16x16bf16_1k v[2:5], v[12:13], v[76:77], v[2:5]
	s_waitcnt vmcnt(3)
	v_mfma_f32_16x16x16bf16_1k v[2:5], v[54:55], v[38:39], v[2:5]
	v_mfma_f32_16x16x16bf16_1k v[2:5], v[56:57], v[40:41], v[2:5]
	;; [unrolled: 3-line block ×5, first 2 shown]
	s_nop 7
	s_nop 2
	v_bfe_u32 v8, v3, 16, 1
	v_bfe_u32 v9, v2, 16, 1
	v_add3_u32 v2, v2, v9, s8
	v_add3_u32 v3, v3, v8, s8
	v_perm_b32 v2, v3, v2, s9
	v_bfe_u32 v3, v5, 16, 1
	v_bfe_u32 v8, v4, 16, 1
	v_add3_u32 v4, v4, v8, s8
	v_add3_u32 v3, v5, v3, s8
	v_perm_b32 v3, v3, v4, s9
	ds_write2st64_b64 v78, v[6:7], v[2:3] offset1:1
	s_waitcnt lgkmcnt(0)
	s_barrier
	s_and_saveexec_b64 s[8:9], vcc
	s_cbranch_execz .LBB302_20
; %bb.18:
	v_lshlrev_b32_e32 v4, 6, v85
	v_lshlrev_b32_e32 v3, 4, v0
	v_lshl_or_b32 v0, v0, 10, v4
	v_lshlrev_b32_e32 v2, 5, v1
	v_and_b32_e32 v3, 16, v3
	v_and_b32_e32 v0, 0x1a00, v0
	v_or3_b32 v0, v0, v2, v3
	buffer_load_dword v2, off, s[44:47], 0  ; 4-byte Folded Reload
	s_load_dwordx2 s[4:5], s[4:5], 0x68
	s_lshl_b32 s2, s2, 7
	s_mul_i32 s0, s3, s6
	s_mul_hi_u32 s7, s0, s2
	s_mul_i32 s6, s0, s2
	s_lshl_b64 s[6:7], s[6:7], 1
	s_waitcnt lgkmcnt(0)
	s_add_u32 s3, s4, s6
	s_addc_u32 s4, s5, s7
	s_lshl_b32 s0, s26, 7
	s_lshl_b64 s[0:1], s[0:1], 1
	s_add_u32 s0, s3, s0
	ds_read_b128 v[4:7], v0 offset:256
	s_addc_u32 s1, s4, s1
	ds_read_b128 v[8:11], v0 offset:128
	ds_read_b128 v[12:15], v0
	v_add_u32_e32 v18, s27, v1
	v_mov_b32_e32 v3, s1
	s_waitcnt vmcnt(0)
	v_add_co_u32_e32 v2, vcc, s0, v2
	v_mad_u64_u32 v[16:17], s[0:1], v18, s2, 0
	v_addc_co_u32_e32 v3, vcc, 0, v3, vcc
	v_lshlrev_b64 v[16:17], 1, v[16:17]
	v_add_co_u32_e32 v16, vcc, v2, v16
	v_addc_co_u32_e32 v17, vcc, v3, v17, vcc
	s_waitcnt lgkmcnt(0)
	global_store_dwordx4 v[16:17], v[12:15], off
	s_nop 0
	v_add_u32_e32 v12, 4, v18
	v_mad_u64_u32 v[12:13], s[0:1], v12, s2, 0
	v_lshlrev_b64 v[12:13], 1, v[12:13]
	v_add_co_u32_e32 v12, vcc, v2, v12
	v_addc_co_u32_e32 v13, vcc, v3, v13, vcc
	global_store_dwordx4 v[12:13], v[8:11], off
	s_nop 0
	v_add_u32_e32 v8, 8, v18
	v_mad_u64_u32 v[8:9], s[0:1], v8, s2, 0
	v_lshlrev_b64 v[8:9], 1, v[8:9]
	v_add_co_u32_e32 v8, vcc, v2, v8
	v_addc_co_u32_e32 v9, vcc, v3, v9, vcc
	v_cmp_ne_u32_e32 vcc, 3, v1
	global_store_dwordx4 v[8:9], v[4:7], off
	s_and_b64 exec, exec, vcc
	s_cbranch_execz .LBB302_20
; %bb.19:
	ds_read_b128 v[4:7], v0 offset:384
	v_add3_u32 v0, s27, v1, 12
	v_mad_u64_u32 v[0:1], s[0:1], v0, s2, 0
	v_lshlrev_b64 v[0:1], 1, v[0:1]
	v_add_co_u32_e32 v0, vcc, v2, v0
	v_addc_co_u32_e32 v1, vcc, v3, v1, vcc
	s_waitcnt lgkmcnt(0)
	global_store_dwordx4 v[0:1], v[4:7], off
.LBB302_20:
	s_endpgm
	.section	.rodata,"a",@progbits
	.p2align	6, 0x0
	.amdhsa_kernel _Z39paged_attention_ll4mi_QKV_mfma16_kernelI14__hip_bfloat16S0_LN4vllm18Fp8KVCacheDataTypeE0ES0_Li16ELi128ELi256ELb1ELi15EL8MFMAType0EEvPKT_PKT0_S9_ifPKiSB_SB_iPKfiiiPfSE_PS4_PT2_iSD_SD_
		.amdhsa_group_segment_fixed_size 8192
		.amdhsa_private_segment_fixed_size 8
		.amdhsa_kernarg_size 400
		.amdhsa_user_sgpr_count 6
		.amdhsa_user_sgpr_private_segment_buffer 1
		.amdhsa_user_sgpr_dispatch_ptr 0
		.amdhsa_user_sgpr_queue_ptr 0
		.amdhsa_user_sgpr_kernarg_segment_ptr 1
		.amdhsa_user_sgpr_dispatch_id 0
		.amdhsa_user_sgpr_flat_scratch_init 0
		.amdhsa_user_sgpr_kernarg_preload_length 0
		.amdhsa_user_sgpr_kernarg_preload_offset 0
		.amdhsa_user_sgpr_private_segment_size 0
		.amdhsa_uses_dynamic_stack 0
		.amdhsa_system_sgpr_private_segment_wavefront_offset 1
		.amdhsa_system_sgpr_workgroup_id_x 1
		.amdhsa_system_sgpr_workgroup_id_y 1
		.amdhsa_system_sgpr_workgroup_id_z 1
		.amdhsa_system_sgpr_workgroup_info 0
		.amdhsa_system_vgpr_workitem_id 0
		.amdhsa_next_free_vgpr 96
		.amdhsa_next_free_sgpr 48
		.amdhsa_accum_offset 96
		.amdhsa_reserve_vcc 1
		.amdhsa_reserve_flat_scratch 0
		.amdhsa_float_round_mode_32 0
		.amdhsa_float_round_mode_16_64 0
		.amdhsa_float_denorm_mode_32 3
		.amdhsa_float_denorm_mode_16_64 3
		.amdhsa_dx10_clamp 1
		.amdhsa_ieee_mode 1
		.amdhsa_fp16_overflow 0
		.amdhsa_tg_split 0
		.amdhsa_exception_fp_ieee_invalid_op 0
		.amdhsa_exception_fp_denorm_src 0
		.amdhsa_exception_fp_ieee_div_zero 0
		.amdhsa_exception_fp_ieee_overflow 0
		.amdhsa_exception_fp_ieee_underflow 0
		.amdhsa_exception_fp_ieee_inexact 0
		.amdhsa_exception_int_div_zero 0
	.end_amdhsa_kernel
	.section	.text._Z39paged_attention_ll4mi_QKV_mfma16_kernelI14__hip_bfloat16S0_LN4vllm18Fp8KVCacheDataTypeE0ES0_Li16ELi128ELi256ELb1ELi15EL8MFMAType0EEvPKT_PKT0_S9_ifPKiSB_SB_iPKfiiiPfSE_PS4_PT2_iSD_SD_,"axG",@progbits,_Z39paged_attention_ll4mi_QKV_mfma16_kernelI14__hip_bfloat16S0_LN4vllm18Fp8KVCacheDataTypeE0ES0_Li16ELi128ELi256ELb1ELi15EL8MFMAType0EEvPKT_PKT0_S9_ifPKiSB_SB_iPKfiiiPfSE_PS4_PT2_iSD_SD_,comdat
.Lfunc_end302:
	.size	_Z39paged_attention_ll4mi_QKV_mfma16_kernelI14__hip_bfloat16S0_LN4vllm18Fp8KVCacheDataTypeE0ES0_Li16ELi128ELi256ELb1ELi15EL8MFMAType0EEvPKT_PKT0_S9_ifPKiSB_SB_iPKfiiiPfSE_PS4_PT2_iSD_SD_, .Lfunc_end302-_Z39paged_attention_ll4mi_QKV_mfma16_kernelI14__hip_bfloat16S0_LN4vllm18Fp8KVCacheDataTypeE0ES0_Li16ELi128ELi256ELb1ELi15EL8MFMAType0EEvPKT_PKT0_S9_ifPKiSB_SB_iPKfiiiPfSE_PS4_PT2_iSD_SD_
                                        ; -- End function
	.section	.AMDGPU.csdata,"",@progbits
; Kernel info:
; codeLenInByte = 5276
; NumSgprs: 52
; NumVgprs: 96
; NumAgprs: 0
; TotalNumVgprs: 96
; ScratchSize: 8
; MemoryBound: 0
; FloatMode: 240
; IeeeMode: 1
; LDSByteSize: 8192 bytes/workgroup (compile time only)
; SGPRBlocks: 6
; VGPRBlocks: 11
; NumSGPRsForWavesPerEU: 52
; NumVGPRsForWavesPerEU: 96
; AccumOffset: 96
; Occupancy: 5
; WaveLimiterHint : 1
; COMPUTE_PGM_RSRC2:SCRATCH_EN: 1
; COMPUTE_PGM_RSRC2:USER_SGPR: 6
; COMPUTE_PGM_RSRC2:TRAP_HANDLER: 0
; COMPUTE_PGM_RSRC2:TGID_X_EN: 1
; COMPUTE_PGM_RSRC2:TGID_Y_EN: 1
; COMPUTE_PGM_RSRC2:TGID_Z_EN: 1
; COMPUTE_PGM_RSRC2:TIDIG_COMP_CNT: 0
; COMPUTE_PGM_RSRC3_GFX90A:ACCUM_OFFSET: 23
; COMPUTE_PGM_RSRC3_GFX90A:TG_SPLIT: 0
	.section	.text._Z39paged_attention_ll4mi_QKV_mfma16_kernelI14__hip_bfloat16S0_LN4vllm18Fp8KVCacheDataTypeE0ES0_Li16ELi128ELi256ELb1ELi16EL8MFMAType0EEvPKT_PKT0_S9_ifPKiSB_SB_iPKfiiiPfSE_PS4_PT2_iSD_SD_,"axG",@progbits,_Z39paged_attention_ll4mi_QKV_mfma16_kernelI14__hip_bfloat16S0_LN4vllm18Fp8KVCacheDataTypeE0ES0_Li16ELi128ELi256ELb1ELi16EL8MFMAType0EEvPKT_PKT0_S9_ifPKiSB_SB_iPKfiiiPfSE_PS4_PT2_iSD_SD_,comdat
	.protected	_Z39paged_attention_ll4mi_QKV_mfma16_kernelI14__hip_bfloat16S0_LN4vllm18Fp8KVCacheDataTypeE0ES0_Li16ELi128ELi256ELb1ELi16EL8MFMAType0EEvPKT_PKT0_S9_ifPKiSB_SB_iPKfiiiPfSE_PS4_PT2_iSD_SD_ ; -- Begin function _Z39paged_attention_ll4mi_QKV_mfma16_kernelI14__hip_bfloat16S0_LN4vllm18Fp8KVCacheDataTypeE0ES0_Li16ELi128ELi256ELb1ELi16EL8MFMAType0EEvPKT_PKT0_S9_ifPKiSB_SB_iPKfiiiPfSE_PS4_PT2_iSD_SD_
	.globl	_Z39paged_attention_ll4mi_QKV_mfma16_kernelI14__hip_bfloat16S0_LN4vllm18Fp8KVCacheDataTypeE0ES0_Li16ELi128ELi256ELb1ELi16EL8MFMAType0EEvPKT_PKT0_S9_ifPKiSB_SB_iPKfiiiPfSE_PS4_PT2_iSD_SD_
	.p2align	8
	.type	_Z39paged_attention_ll4mi_QKV_mfma16_kernelI14__hip_bfloat16S0_LN4vllm18Fp8KVCacheDataTypeE0ES0_Li16ELi128ELi256ELb1ELi16EL8MFMAType0EEvPKT_PKT0_S9_ifPKiSB_SB_iPKfiiiPfSE_PS4_PT2_iSD_SD_,@function
_Z39paged_attention_ll4mi_QKV_mfma16_kernelI14__hip_bfloat16S0_LN4vllm18Fp8KVCacheDataTypeE0ES0_Li16ELi128ELi256ELb1ELi16EL8MFMAType0EEvPKT_PKT0_S9_ifPKiSB_SB_iPKfiiiPfSE_PS4_PT2_iSD_SD_: ; @_Z39paged_attention_ll4mi_QKV_mfma16_kernelI14__hip_bfloat16S0_LN4vllm18Fp8KVCacheDataTypeE0ES0_Li16ELi128ELi256ELb1ELi16EL8MFMAType0EEvPKT_PKT0_S9_ifPKiSB_SB_iPKfiiiPfSE_PS4_PT2_iSD_SD_
; %bb.0:
	s_mov_b64 s[46:47], s[2:3]
	s_mov_b64 s[44:45], s[0:1]
	s_load_dwordx2 s[0:1], s[4:5], 0x30
	s_add_u32 s44, s44, s9
	s_addc_u32 s45, s45, 0
	s_mov_b32 s26, s7
	s_mov_b64 s[10:11], 0
	s_waitcnt lgkmcnt(0)
	s_cmp_lg_u64 s[0:1], 0
	s_cselect_b64 s[2:3], -1, 0
	s_and_b64 vcc, exec, s[2:3]
	s_cbranch_vccz .LBB303_7
; %bb.1:
	s_add_i32 s12, s6, 1
	s_mov_b32 s13, 0
	s_lshl_b64 s[14:15], s[12:13], 2
	s_add_u32 s14, s0, s14
	s_mov_b32 s7, s13
	s_addc_u32 s15, s1, s15
	s_lshl_b64 s[12:13], s[6:7], 2
	s_add_u32 s12, s0, s12
	s_addc_u32 s13, s1, s13
	s_load_dword s9, s[14:15], 0x0
	s_load_dword s16, s[12:13], 0x0
	s_waitcnt lgkmcnt(0)
	s_sub_i32 s9, s9, s16
	s_cmp_eq_u32 s9, 1
	s_cselect_b64 s[12:13], -1, 0
	s_andn2_b64 vcc, exec, s[10:11]
	s_cbranch_vccnz .LBB303_3
.LBB303_2:
	s_mov_b32 s7, 0
	s_mov_b64 s[12:13], -1
.LBB303_3:
	s_andn2_b64 vcc, exec, s[12:13]
	s_cbranch_vccnz .LBB303_17
; %bb.4:
	s_load_dwordx2 s[10:11], s[4:5], 0x28
	s_lshl_b64 s[16:17], s[6:7], 2
	s_waitcnt lgkmcnt(0)
	s_add_u32 s10, s10, s16
	s_addc_u32 s11, s11, s17
	s_load_dword s38, s[10:11], 0x0
	s_lshl_b32 s9, s26, 8
	s_waitcnt lgkmcnt(0)
	s_cmp_ge_i32 s9, s38
	s_cbranch_scc1 .LBB303_17
; %bb.5:
	s_add_i32 s13, s38, 15
	s_load_dwordx2 s[10:11], s[4:5], 0x20
	s_load_dword s12, s[4:5], 0x38
	s_ashr_i32 s14, s13, 31
	v_and_b32_e32 v1, 0xcf, v0
	s_lshr_b32 s14, s14, 28
	v_add_u32_e32 v1, s9, v1
	s_add_i32 s13, s13, s14
	v_ashrrev_i32_e32 v2, 31, v1
	s_ashr_i32 s20, s13, 4
	v_lshrrev_b32_e32 v6, 28, v2
	s_add_i32 s20, s20, -1
	v_add_u32_e32 v2, v1, v6
	s_waitcnt lgkmcnt(0)
	s_mul_i32 s12, s6, s12
	s_mov_b32 s13, 0
	v_ashrrev_i32_e32 v2, 4, v2
	v_mov_b32_e32 v7, s20
	v_cmp_gt_i32_e32 vcc, s38, v1
	s_lshl_b64 s[12:13], s[12:13], 2
	v_cndmask_b32_e32 v2, v7, v2, vcc
	s_add_u32 s18, s10, s12
	v_ashrrev_i32_e32 v3, 31, v2
	s_addc_u32 s19, s11, s13
	v_lshlrev_b64 v[2:3], 2, v[2:3]
	v_mov_b32_e32 v5, s19
	v_add_co_u32_e32 v4, vcc, s18, v2
	v_or_b32_e32 v2, 16, v1
	v_addc_co_u32_e32 v5, vcc, v5, v3, vcc
	v_add_u32_e32 v3, v2, v6
	v_ashrrev_i32_e32 v3, 4, v3
	v_cmp_gt_i32_e32 vcc, s38, v2
	v_cndmask_b32_e32 v2, v7, v3, vcc
	v_ashrrev_i32_e32 v3, 31, v2
	v_lshlrev_b64 v[2:3], 2, v[2:3]
	v_mov_b32_e32 v9, s19
	v_add_co_u32_e32 v8, vcc, s18, v2
	v_or_b32_e32 v2, 32, v1
	v_addc_co_u32_e32 v9, vcc, v9, v3, vcc
	v_add_u32_e32 v3, v2, v6
	v_ashrrev_i32_e32 v3, 4, v3
	v_cmp_gt_i32_e32 vcc, s38, v2
	v_cndmask_b32_e32 v2, v7, v3, vcc
	v_ashrrev_i32_e32 v3, 31, v2
	;; [unrolled: 10-line block ×3, first 2 shown]
	v_lshlrev_b64 v[2:3], 2, v[2:3]
	v_mov_b32_e32 v1, s19
	v_add_co_u32_e32 v12, vcc, s18, v2
	v_addc_co_u32_e32 v13, vcc, v1, v3, vcc
	global_load_dword v3, v[4:5], off
	global_load_dword v2, v[8:9], off
	;; [unrolled: 1-line block ×4, first 2 shown]
	s_load_dwordx2 s[10:11], s[4:5], 0x40
	s_load_dwordx4 s[12:15], s[4:5], 0x8
	s_andn2_b64 vcc, exec, s[2:3]
	s_cbranch_vccnz .LBB303_8
; %bb.6:
	s_add_u32 s0, s0, s16
	s_addc_u32 s1, s1, s17
	s_load_dword s21, s[0:1], 0x0
	s_branch .LBB303_9
.LBB303_7:
	s_mov_b64 s[12:13], 0
	s_branch .LBB303_2
.LBB303_8:
	s_mov_b32 s21, s6
.LBB303_9:
	s_load_dwordx4 s[0:3], s[4:5], 0x48
	v_and_b32_e32 v86, 15, v0
	v_lshlrev_b32_e32 v4, 3, v86
	s_waitcnt lgkmcnt(0)
	s_movk_i32 s3, 0x100
	v_lshrrev_b32_e32 v88, 6, v0
	v_bfe_u32 v1, v0, 4, 2
	s_lshl_b32 s27, s8, 4
	v_cmp_gt_u32_e32 vcc, s3, v0
	v_lshlrev_b32_e32 v4, 1, v4
	buffer_store_dword v4, off, s[44:47], 0 ; 4-byte Folded Spill
	s_and_saveexec_b64 s[16:17], vcc
	s_cbranch_execz .LBB303_11
; %bb.10:
	s_load_dwordx2 s[22:23], s[4:5], 0x0
	s_ashr_i32 s3, s0, 31
	s_mul_hi_u32 s24, s21, s0
	s_mul_i32 s3, s21, s3
	v_lshl_or_b32 v7, v88, 2, v1
	s_add_i32 s25, s24, s3
	s_mul_i32 s24, s21, s0
	s_lshl_b64 s[24:25], s[24:25], 1
	v_add_lshl_u32 v4, v7, s27, 7
	s_waitcnt lgkmcnt(0)
	s_add_u32 s0, s22, s24
	v_ashrrev_i32_e32 v5, 31, v4
	s_addc_u32 s3, s23, s25
	v_lshlrev_b64 v[4:5], 1, v[4:5]
	v_mov_b32_e32 v8, s3
	v_add_co_u32_e32 v4, vcc, s0, v4
	v_addc_co_u32_e32 v5, vcc, v8, v5, vcc
	buffer_load_dword v8, off, s[44:47], 0  ; 4-byte Folded Reload
	s_waitcnt vmcnt(0)
	v_add_co_u32_e32 v4, vcc, v4, v8
	v_addc_co_u32_e32 v5, vcc, 0, v5, vcc
	global_load_dwordx4 v[8:11], v[4:5], off
	v_and_b32_e32 v4, 3, v0
	v_lshlrev_b32_e32 v5, 5, v7
	v_lshlrev_b32_e32 v7, 9, v86
	;; [unrolled: 1-line block ×3, first 2 shown]
	v_and_b32_e32 v7, 0x1800, v7
	v_or3_b32 v4, v7, v4, v5
	s_waitcnt vmcnt(0)
	ds_write_b128 v4, v[8:11]
.LBB303_11:
	s_or_b64 exec, exec, s[16:17]
	s_mul_i32 s2, s8, s2
	s_mov_b32 s3, 0
	s_lshl_b64 s[2:3], s[2:3], 1
	s_add_u32 s8, s12, s2
	v_lshlrev_b32_e32 v7, 4, v0
	s_addc_u32 s12, s13, s3
	v_and_b32_e32 v4, 0xf0, v7
	v_mov_b32_e32 v5, s12
	v_add_co_u32_e32 v29, vcc, s8, v4
	v_addc_co_u32_e32 v30, vcc, 0, v5, vcc
	s_waitcnt vmcnt(4)
	v_mad_i64_i32 v[4:5], s[12:13], v3, s1, 0
	v_lshlrev_b64 v[4:5], 1, v[4:5]
	v_add_co_u32_e32 v3, vcc, v29, v4
	v_addc_co_u32_e32 v4, vcc, v30, v5, vcc
	v_and_b32_e32 v31, 0x300, v7
	v_add_co_u32_e32 v22, vcc, v3, v31
	v_addc_co_u32_e32 v23, vcc, 0, v4, vcc
	s_load_dword s33, s[4:5], 0x98
	s_load_dword s0, s[4:5], 0x1c
	s_waitcnt lgkmcnt(0)
	s_barrier
	global_load_dwordx4 v[10:13], v[22:23], off
	global_load_dwordx4 v[18:21], v[22:23], off offset:1024
	s_waitcnt vmcnt(5)
	v_mad_i64_i32 v[2:3], s[12:13], v2, s1, 0
	v_lshlrev_b64 v[2:3], 1, v[2:3]
	v_add_co_u32_e32 v2, vcc, v29, v2
	v_addc_co_u32_e32 v3, vcc, v30, v3, vcc
	v_add_co_u32_e32 v24, vcc, v2, v31
	v_lshlrev_b32_e32 v2, 5, v86
	v_addc_co_u32_e32 v25, vcc, 0, v3, vcc
	v_lshl_or_b32 v87, v1, 9, v2
	global_load_dwordx4 v[14:17], v[24:25], off
	global_load_dwordx4 v[36:39], v[24:25], off offset:1024
	s_waitcnt vmcnt(6)
	v_mad_i64_i32 v[6:7], s[12:13], v6, s1, 0
	buffer_store_dword v2, off, s[44:47], 0 offset:4 ; 4-byte Folded Spill
	ds_read_b128 v[2:5], v87
	v_lshlrev_b64 v[26:27], 1, v[6:7]
	ds_read_b128 v[6:9], v87 offset:2048
	v_mov_b32_e32 v66, s19
	v_mov_b32_e32 v67, s19
	s_add_u32 s8, s14, s2
	s_mov_b32 s40, 0xff7fffff
	s_waitcnt vmcnt(4) lgkmcnt(1)
	v_mfma_f32_16x16x16bf16_1k v[32:35], v[10:11], v[2:3], 0
	v_add_co_u32_e32 v10, vcc, v29, v26
	v_addc_co_u32_e32 v11, vcc, v30, v27, vcc
	v_add_co_u32_e32 v26, vcc, v10, v31
	v_addc_co_u32_e32 v27, vcc, 0, v11, vcc
	global_load_dwordx4 v[44:47], v[26:27], off
	global_load_dwordx4 v[58:61], v[26:27], off offset:1024
	s_waitcnt vmcnt(4)
	v_mfma_f32_16x16x16bf16_1k v[40:43], v[14:15], v[2:3], 0
	v_mfma_f32_16x16x16bf16_1k v[14:17], v[16:17], v[4:5], v[40:43]
	s_nop 7
	s_nop 1
	global_load_dwordx4 v[40:43], v[22:23], off offset:2048
	v_mfma_f32_16x16x16bf16_1k v[10:13], v[12:13], v[4:5], v[32:35]
	s_waitcnt vmcnt(4) lgkmcnt(0)
	v_mfma_f32_16x16x16bf16_1k v[14:17], v[36:37], v[6:7], v[14:17]
	v_mfma_f32_16x16x16bf16_1k v[10:13], v[18:19], v[6:7], v[10:13]
	;; [unrolled: 1-line block ×3, first 2 shown]
	global_load_dwordx4 v[36:39], v[22:23], off offset:3072
	v_mfma_f32_16x16x16bf16_1k v[18:21], v[20:21], v[8:9], v[10:13]
	s_waitcnt vmcnt(3)
	v_mfma_f32_16x16x16bf16_1k v[48:51], v[44:45], v[2:3], 0
	v_mfma_f32_16x16x16bf16_1k v[32:35], v[46:47], v[4:5], v[48:51]
	global_load_dwordx4 v[44:47], v[24:25], off offset:2048
	s_nop 3
	ds_read_b128 v[10:13], v87 offset:4096
	s_nop 3
	ds_read_b128 v[50:53], v87 offset:6144
	global_load_dwordx4 v[22:25], v[24:25], off offset:3072
	v_and_or_b32 v48, v0, 48, s9
	global_load_dwordx4 v[62:65], v[26:27], off offset:2048
	v_mov_b32_e32 v49, s20
	v_cmp_gt_i32_e32 vcc, s38, v48
	s_waitcnt vmcnt(4) lgkmcnt(1)
	v_mfma_f32_16x16x16bf16_1k v[18:21], v[40:41], v[10:11], v[18:21]
	v_mad_i64_i32 v[40:41], s[12:13], v28, s1, 0
	v_or_b32_e32 v54, 64, v48
	v_ashrrev_i32_e32 v55, 4, v54
	v_mov_b32_e32 v28, s19
	v_or_b32_e32 v68, 0x80, v48
	v_ashrrev_i32_e32 v69, 4, v68
	v_mfma_f32_16x16x16bf16_1k v[18:21], v[42:43], v[12:13], v[18:21]
	s_waitcnt vmcnt(3) lgkmcnt(0)
	v_mfma_f32_16x16x16bf16_1k v[18:21], v[36:37], v[50:51], v[18:21]
	s_waitcnt vmcnt(2)
	v_mfma_f32_16x16x16bf16_1k v[14:17], v[44:45], v[10:11], v[14:17]
	v_lshlrev_b64 v[44:45], 1, v[40:41]
	v_ashrrev_i32_e32 v40, 4, v48
	v_mfma_f32_16x16x16bf16_1k v[14:17], v[46:47], v[12:13], v[14:17]
	v_cndmask_b32_e32 v46, v49, v40, vcc
	global_load_dwordx4 v[40:43], v[26:27], off offset:3072
	v_ashrrev_i32_e32 v47, 31, v46
	v_cmp_gt_i32_e32 vcc, s38, v54
	v_lshlrev_b64 v[36:37], 2, v[46:47]
	v_cndmask_b32_e32 v26, v49, v55, vcc
	v_add_co_u32_e32 v36, vcc, s18, v36
	v_addc_co_u32_e32 v37, vcc, v28, v37, vcc
	s_waitcnt vmcnt(2)
	v_mfma_f32_16x16x16bf16_1k v[14:17], v[22:23], v[50:51], v[14:17]
	v_add_co_u32_e32 v22, vcc, v29, v44
	v_addc_co_u32_e32 v23, vcc, v30, v45, vcc
	v_add_co_u32_e32 v28, vcc, v22, v31
	v_addc_co_u32_e32 v29, vcc, 0, v23, vcc
	v_mfma_f32_16x16x16bf16_1k v[54:57], v[38:39], v[52:53], v[18:21]
	s_nop 6
	global_load_dwordx4 v[18:21], v[28:29], off
	global_load_dword v30, v[36:37], off
	v_ashrrev_i32_e32 v27, 31, v26
	v_cmp_gt_i32_e32 vcc, s38, v68
	v_lshlrev_b64 v[26:27], 2, v[26:27]
	v_cndmask_b32_e32 v22, v49, v69, vcc
	v_ashrrev_i32_e32 v23, 31, v22
	global_load_dwordx4 v[72:75], v[28:29], off offset:2048
	v_mfma_f32_16x16x16bf16_1k v[68:71], v[24:25], v[52:53], v[14:17]
	s_nop 6
	v_add_co_u32_e32 v14, vcc, s18, v26
	v_addc_co_u32_e32 v15, vcc, v66, v27, vcc
	global_load_dword v31, v[14:15], off
	v_lshlrev_b64 v[26:27], 2, v[22:23]
	v_add_co_u32_e32 v26, vcc, s18, v26
	v_addc_co_u32_e32 v27, vcc, v67, v27, vcc
	v_mfma_f32_16x16x16bf16_1k v[22:25], v[58:59], v[6:7], v[32:35]
	v_or_b32_e32 v66, s27, v86
	v_ashrrev_i32_e32 v67, 31, v66
	s_nop 4
	global_load_dword v32, v[26:27], off
	global_load_dwordx4 v[14:17], v[28:29], off offset:1024
	v_mfma_f32_16x16x16bf16_1k v[22:25], v[60:61], v[8:9], v[22:25]
	v_or_b32_e32 v26, 0xc0, v48
	v_ashrrev_i32_e32 v27, 4, v26
	v_cmp_gt_i32_e32 vcc, s38, v26
	v_cndmask_b32_e32 v26, v49, v27, vcc
	v_ashrrev_i32_e32 v27, 31, v26
	v_lshlrev_b64 v[26:27], 2, v[26:27]
	v_mov_b32_e32 v33, s19
	s_waitcnt vmcnt(7)
	v_mfma_f32_16x16x16bf16_1k v[22:25], v[62:63], v[10:11], v[22:25]
	v_add_co_u32_e32 v26, vcc, s18, v26
	v_addc_co_u32_e32 v27, vcc, v33, v27, vcc
	global_load_dword v58, v[26:27], off
	v_lshlrev_b64 v[26:27], 2, v[66:67]
	v_add_co_u32_e32 v26, vcc, s10, v26
	v_mfma_f32_16x16x16bf16_1k v[22:25], v[64:65], v[12:13], v[22:25]
	global_load_dwordx4 v[62:65], v[28:29], off offset:3072
	v_mov_b32_e32 v28, s11
	v_addc_co_u32_e32 v27, vcc, v28, v27, vcc
	global_load_dword v91, v[26:27], off
	s_addc_u32 s10, s15, s3
	v_lshl_or_b32 v67, v88, 4, v86
	s_waitcnt vmcnt(9)
	v_mfma_f32_16x16x16bf16_1k v[22:25], v[40:41], v[50:51], v[22:25]
	v_lshlrev_b32_e32 v80, 5, v67
	v_mov_b32_e32 v26, s10
	v_add_co_u32_e32 v81, vcc, s8, v80
	v_addc_co_u32_e32 v82, vcc, 0, v26, vcc
	v_mfma_f32_16x16x16bf16_1k v[92:95], v[42:43], v[52:53], v[22:25]
	s_waitcnt vmcnt(7)
	s_nop 5
	v_mad_i64_i32 v[22:23], s[2:3], v30, s1, 0
	v_lshlrev_b64 v[76:77], 1, v[22:23]
	v_mfma_f32_16x16x16bf16_1k v[22:25], v[18:19], v[2:3], 0
	v_add_co_u32_e32 v2, vcc, v81, v76
	v_addc_co_u32_e32 v3, vcc, v82, v77, vcc
	global_load_dwordx4 v[46:49], v[2:3], off
	global_load_dwordx4 v[42:45], v[2:3], off offset:16
	s_waitcnt vmcnt(7)
	v_mad_i64_i32 v[2:3], s[2:3], v31, s1, 0
	v_lshlrev_b64 v[78:79], 1, v[2:3]
	v_mfma_f32_16x16x16bf16_1k v[2:5], v[20:21], v[4:5], v[22:25]
	v_add_co_u32_e32 v18, vcc, v81, v78
	v_addc_co_u32_e32 v19, vcc, v82, v79, vcc
	global_load_dwordx4 v[38:41], v[18:19], off
	global_load_dwordx4 v[34:37], v[18:19], off offset:16
	s_waitcnt vmcnt(8)
	v_mad_i64_i32 v[18:19], s[2:3], v32, s1, 0
	s_waitcnt vmcnt(7)
	v_mfma_f32_16x16x16bf16_1k v[2:5], v[14:15], v[6:7], v[2:5]
	v_lshlrev_b64 v[60:61], 1, v[18:19]
	v_add_co_u32_e32 v6, vcc, v81, v60
	v_addc_co_u32_e32 v7, vcc, v82, v61, vcc
	global_load_dwordx4 v[30:33], v[6:7], off
	global_load_dwordx4 v[26:29], v[6:7], off offset:16
	s_waitcnt vmcnt(8)
	v_mad_i64_i32 v[6:7], s[2:3], v58, s1, 0
	v_mfma_f32_16x16x16bf16_1k v[2:5], v[16:17], v[8:9], v[2:5]
	v_lshlrev_b64 v[58:59], 1, v[6:7]
	v_add_co_u32_e32 v6, vcc, v81, v58
	v_addc_co_u32_e32 v7, vcc, v82, v59, vcc
	global_load_dwordx4 v[22:25], v[6:7], off
	global_load_dwordx4 v[18:21], v[6:7], off offset:16
	v_or_b32_e32 v6, 0x800, v80
	v_mfma_f32_16x16x16bf16_1k v[2:5], v[72:73], v[10:11], v[2:5]
	v_mov_b32_e32 v7, s10
	v_add_co_u32_e32 v89, vcc, s8, v6
	v_addc_co_u32_e32 v90, vcc, 0, v7, vcc
	v_pk_mul_f32 v[80:81], s[0:1], v[56:57] op_sel_hi:[0,1]
	v_mfma_f32_16x16x16bf16_1k v[10:13], v[74:75], v[12:13], v[2:5]
	v_pk_mul_f32 v[74:75], s[0:1], v[92:93] op_sel_hi:[0,1]
	s_waitcnt vmcnt(9)
	v_mfma_f32_16x16x16bf16_1k v[82:85], v[62:63], v[50:51], v[10:13]
	s_nop 3
	v_add_co_u32_e32 v2, vcc, v89, v76
	v_addc_co_u32_e32 v3, vcc, v90, v77, vcc
	v_pk_mul_f32 v[76:77], s[0:1], v[70:71] op_sel_hi:[0,1]
	v_add_co_u32_e32 v72, vcc, v89, v78
	v_mfma_f32_16x16x16bf16_1k v[50:53], v[64:65], v[52:53], v[82:85]
	v_addc_co_u32_e32 v73, vcc, v90, v79, vcc
	v_pk_mul_f32 v[78:79], s[0:1], v[68:69] op_sel_hi:[0,1]
	v_pk_mul_f32 v[62:63], s[0:1], v[54:55] op_sel_hi:[0,1]
	global_load_dwordx4 v[6:9], v[2:3], off
	s_nop 0
	global_load_dwordx4 v[2:5], v[2:3], off offset:16
	s_nop 0
	global_load_dwordx4 v[14:17], v[72:73], off
	global_load_dwordx4 v[10:13], v[72:73], off offset:16
	v_pk_mul_f32 v[72:73], s[0:1], v[94:95] op_sel_hi:[0,1]
	s_nop 0
	v_pk_mul_f32 v[70:71], s[0:1], v[50:51] op_sel_hi:[0,1]
	v_and_b32_e32 v50, 0xc0, v0
	v_add_u32_e32 v50, s9, v50
	v_lshl_or_b32 v50, v1, 2, v50
	v_or_b32_e32 v51, 1, v50
	v_pk_mul_f32 v[68:69], s[0:1], v[52:53] op_sel_hi:[0,1]
	v_subrev_u32_e32 v52, s38, v51
	v_add_u32_e32 v54, 1, v52
	v_add_u32_e32 v55, 2, v52
	v_cvt_f32_i32_e32 v53, v52
	v_cvt_f32_i32_e32 v54, v54
	;; [unrolled: 1-line block ×3, first 2 shown]
	v_add_u32_e32 v56, 3, v52
	s_waitcnt vmcnt(12)
	v_fma_f32 v62, v91, v53, v62
	v_fmac_f32_e32 v63, v91, v54
	v_fma_f32 v80, v91, v55, v80
	v_add_u32_e32 v53, 16, v52
	v_add_u32_e32 v54, 17, v52
	;; [unrolled: 1-line block ×3, first 2 shown]
	v_cvt_f32_i32_e32 v56, v56
	v_cvt_f32_i32_e32 v53, v53
	;; [unrolled: 1-line block ×4, first 2 shown]
	v_fmac_f32_e32 v81, v91, v56
	v_add_u32_e32 v56, 19, v52
	v_fma_f32 v78, v91, v53, v78
	v_fmac_f32_e32 v79, v91, v54
	v_fma_f32 v76, v91, v55, v76
	v_add_u32_e32 v53, 32, v52
	v_add_u32_e32 v54, 33, v52
	v_add_u32_e32 v55, 34, v52
	v_cvt_f32_i32_e32 v56, v56
	v_cvt_f32_i32_e32 v53, v53
	;; [unrolled: 1-line block ×4, first 2 shown]
	v_fmac_f32_e32 v77, v91, v56
	v_add_u32_e32 v56, 35, v52
	v_fma_f32 v74, v91, v53, v74
	v_fmac_f32_e32 v75, v91, v54
	v_fma_f32 v72, v91, v55, v72
	v_add_u32_e32 v53, 48, v52
	v_add_u32_e32 v54, 49, v52
	v_add_u32_e32 v55, 50, v52
	v_add_u32_e32 v52, 51, v52
	v_cvt_f32_i32_e32 v52, v52
	v_cvt_f32_i32_e32 v53, v53
	v_cvt_f32_i32_e32 v54, v54
	v_cmp_gt_i32_e64 s[28:29], s38, v50
	v_fmac_f32_e32 v69, v91, v52
	v_mov_b32_e32 v52, 0xff7fffff
	v_cmp_gt_i32_e64 s[30:31], s38, v51
	v_fma_f32 v70, v91, v53, v70
	v_cndmask_b32_e64 v53, v52, v62, s[28:29]
	v_cndmask_b32_e64 v51, v52, v63, s[30:31]
	v_fmac_f32_e32 v71, v91, v54
	v_max3_f32 v51, v53, s40, v51
	v_or_b32_e32 v53, 2, v50
	v_or_b32_e32 v54, 3, v50
	v_cmp_gt_i32_e64 s[34:35], s38, v53
	v_cmp_gt_i32_e64 s[36:37], s38, v54
	v_cndmask_b32_e64 v53, v52, v80, s[34:35]
	v_cndmask_b32_e64 v54, v52, v81, s[36:37]
	v_max3_f32 v51, v51, v53, v54
	v_or_b32_e32 v53, 16, v50
	v_or_b32_e32 v54, 17, v50
	v_cmp_gt_i32_e64 s[22:23], s38, v53
	v_cmp_gt_i32_e64 s[24:25], s38, v54
	v_cndmask_b32_e64 v53, v52, v78, s[22:23]
	v_cndmask_b32_e64 v54, v52, v79, s[24:25]
	;; [unrolled: 7-line block ×3, first 2 shown]
	v_cvt_f32_i32_e32 v56, v56
	v_max3_f32 v51, v51, v53, v54
	v_or_b32_e32 v53, 32, v50
	v_or_b32_e32 v54, 33, v50
	v_cmp_gt_i32_e64 s[14:15], s38, v53
	v_cmp_gt_i32_e64 s[16:17], s38, v54
	v_cndmask_b32_e64 v53, v52, v74, s[14:15]
	v_cndmask_b32_e64 v54, v52, v75, s[16:17]
	v_max3_f32 v51, v51, v53, v54
	v_or_b32_e32 v53, 34, v50
	v_or_b32_e32 v54, 35, v50
	v_fmac_f32_e32 v73, v91, v56
	v_cmp_gt_i32_e64 s[10:11], s38, v53
	v_cmp_gt_i32_e64 s[12:13], s38, v54
	v_cndmask_b32_e64 v53, v52, v72, s[10:11]
	v_cndmask_b32_e64 v54, v52, v73, s[12:13]
	v_cvt_f32_i32_e32 v55, v55
	v_max3_f32 v51, v51, v53, v54
	v_or_b32_e32 v53, 48, v50
	v_or_b32_e32 v54, 49, v50
	v_cmp_gt_i32_e64 s[2:3], s38, v53
	v_cmp_gt_i32_e64 s[8:9], s38, v54
	v_cndmask_b32_e64 v53, v52, v70, s[2:3]
	v_cndmask_b32_e64 v54, v52, v71, s[8:9]
	v_max3_f32 v51, v51, v53, v54
	v_or_b32_e32 v53, 50, v50
	v_or_b32_e32 v50, 51, v50
	v_fma_f32 v68, v91, v55, v68
	v_cmp_gt_i32_e32 vcc, s38, v53
	v_cmp_gt_i32_e64 s[0:1], s38, v50
	v_cndmask_b32_e32 v53, v52, v68, vcc
	v_cndmask_b32_e64 v50, v52, v69, s[0:1]
	v_max3_f32 v64, v51, v53, v50
	v_mbcnt_lo_u32_b32 v50, -1, 0
	v_mbcnt_hi_u32_b32 v65, -1, v50
	v_and_b32_e32 v50, 64, v65
	v_add_u32_e32 v82, 64, v50
	v_xor_b32_e32 v50, 32, v65
	v_cmp_lt_i32_e64 s[38:39], v50, v82
	v_cndmask_b32_e64 v50, v65, v50, s[38:39]
	v_lshlrev_b32_e32 v84, 2, v50
	ds_bpermute_b32 v83, v84, v64
	v_add_co_u32_e64 v50, s[38:39], v89, v60
	v_addc_co_u32_e64 v51, s[38:39], v90, v61, s[38:39]
	v_xor_b32_e32 v61, 16, v65
	v_cmp_lt_i32_e64 s[38:39], v61, v82
	s_waitcnt lgkmcnt(0)
	v_max_f32_e32 v60, v83, v83
	v_cndmask_b32_e64 v61, v65, v61, s[38:39]
	v_max_f32_e32 v60, v64, v60
	v_lshlrev_b32_e32 v85, 2, v61
	ds_bpermute_b32 v61, v85, v60
	v_add_co_u32_e64 v58, s[38:39], v89, v58
	v_addc_co_u32_e64 v59, s[38:39], v90, v59, s[38:39]
	s_waitcnt lgkmcnt(0)
	v_max_f32_e32 v61, v61, v61
	v_max_f32_e32 v91, v60, v61
	v_sub_f32_e32 v60, v62, v91
	v_mul_f32_e32 v60, 0x3fb8aa3b, v60
	v_exp_f32_e32 v82, v60
	v_sub_f32_e32 v60, v63, v91
	v_mul_f32_e32 v60, 0x3fb8aa3b, v60
	global_load_dwordx4 v[54:57], v[50:51], off
	s_nop 0
	global_load_dwordx4 v[50:53], v[50:51], off offset:16
	v_exp_f32_e32 v83, v60
	global_load_dwordx4 v[62:65], v[58:59], off
	s_nop 0
	global_load_dwordx4 v[58:61], v[58:59], off offset:16
	v_sub_f32_e32 v80, v80, v91
	v_mul_f32_e32 v80, 0x3fb8aa3b, v80
	v_sub_f32_e32 v81, v81, v91
	v_exp_f32_e32 v80, v80
	v_mul_f32_e32 v81, 0x3fb8aa3b, v81
	v_sub_f32_e32 v78, v78, v91
	v_exp_f32_e32 v81, v81
	v_mul_f32_e32 v78, 0x3fb8aa3b, v78
	v_sub_f32_e32 v79, v79, v91
	v_cndmask_b32_e64 v82, 0, v82, s[28:29]
	v_exp_f32_e32 v78, v78
	v_mul_f32_e32 v79, 0x3fb8aa3b, v79
	v_sub_f32_e32 v76, v76, v91
	v_add_f32_e32 v89, 0, v82
	v_cndmask_b32_e64 v83, 0, v83, s[30:31]
	v_exp_f32_e32 v79, v79
	v_mul_f32_e32 v76, 0x3fb8aa3b, v76
	v_sub_f32_e32 v77, v77, v91
	v_add_f32_e32 v89, v89, v83
	;; [unrolled: 5-line block ×10, first 2 shown]
	v_cndmask_b32_e64 v72, 0, v72, s[10:11]
	v_exp_f32_e32 v68, v68
	v_mul_f32_e32 v69, 0x3fb8aa3b, v69
	v_add_f32_e32 v89, v89, v72
	v_cndmask_b32_e64 v73, 0, v73, s[12:13]
	v_exp_f32_e32 v69, v69
	v_add_f32_e32 v89, v89, v73
	v_cndmask_b32_e64 v70, 0, v70, s[2:3]
	v_add_f32_e32 v89, v89, v70
	v_cndmask_b32_e64 v71, 0, v71, s[8:9]
	v_add_f32_e32 v89, v89, v71
	v_cndmask_b32_e32 v68, 0, v68, vcc
	v_add_f32_e32 v89, v89, v68
	v_cndmask_b32_e64 v69, 0, v69, s[0:1]
	v_add_f32_e32 v89, v89, v69
	ds_bpermute_b32 v84, v84, v89
	v_and_b32_e32 v1, 63, v0
	v_cmp_gt_u32_e32 vcc, 16, v1
	s_waitcnt lgkmcnt(0)
	s_barrier
	v_add_f32_e32 v92, v89, v84
	ds_bpermute_b32 v93, v85, v92
	s_waitcnt lgkmcnt(0)
	s_and_saveexec_b64 s[0:1], vcc
	s_cbranch_execz .LBB303_13
; %bb.12:
	v_add_f32_e32 v84, v92, v93
	v_lshlrev_b32_e32 v67, 2, v67
	ds_write2st64_b32 v67, v91, v84 offset1:1
.LBB303_13:
	s_or_b64 exec, exec, s[0:1]
	v_lshlrev_b32_e32 v67, 2, v86
	s_load_dword s2, s[4:5], 0x94
	s_waitcnt lgkmcnt(0)
	s_barrier
	ds_read2_b32 v[84:85], v67 offset1:16
	ds_read2_b32 v[92:93], v67 offset0:32 offset1:48
	ds_read2_b32 v[94:95], v67 offset0:64 offset1:80
	s_movk_i32 s8, 0x7fff
	s_mov_b32 s9, 0x7060302
	s_waitcnt lgkmcnt(2)
	v_max3_f32 v89, v84, s40, v85
	s_waitcnt lgkmcnt(1)
	v_max3_f32 v89, v89, v92, v93
	v_sub_f32_e32 v84, v84, v89
	v_mul_f32_e32 v84, 0x3fb8aa3b, v84
	v_exp_f32_e32 v90, v84
	v_sub_f32_e32 v84, v85, v89
	v_mul_f32_e32 v84, 0x3fb8aa3b, v84
	v_exp_f32_e32 v1, v84
	;; [unrolled: 3-line block ×3, first 2 shown]
	ds_read2_b32 v[84:85], v67 offset0:96 offset1:112
	v_sub_f32_e32 v67, v93, v89
	v_mul_f32_e32 v67, 0x3fb8aa3b, v67
	v_exp_f32_e32 v67, v67
	s_waitcnt lgkmcnt(1)
	v_fma_f32 v91, v90, v94, 0
	v_fmac_f32_e32 v91, v1, v95
	s_waitcnt lgkmcnt(0)
	v_fmac_f32_e32 v91, v92, v84
	v_fmac_f32_e32 v91, v67, v85
	v_add_f32_e32 v84, 0x358637bd, v91
	v_div_scale_f32 v85, s[0:1], v84, v84, 1.0
	v_rcp_f32_e32 v93, v85
	s_barrier
	v_fma_f32 v94, -v85, v93, 1.0
	v_fmac_f32_e32 v93, v94, v93
	v_div_scale_f32 v94, vcc, 1.0, v84, 1.0
	v_mul_f32_e32 v95, v94, v93
	v_fma_f32 v86, -v85, v95, v94
	v_fmac_f32_e32 v95, v86, v93
	v_fma_f32 v85, -v85, v95, v94
	v_div_fmas_f32 v85, v85, v93, v95
	v_cmp_eq_u32_e32 vcc, 1, v88
	v_cndmask_b32_e32 v1, v90, v1, vcc
	v_cmp_eq_u32_e32 vcc, 2, v88
	v_cndmask_b32_e32 v1, v1, v92, vcc
	v_cmp_eq_u32_e32 vcc, 3, v88
	v_div_fixup_f32 v84, v85, v84, 1.0
	v_cndmask_b32_e32 v1, v1, v67, vcc
	v_mul_f32_e32 v84, v1, v84
	v_pk_mul_f32 v[82:83], v[84:85], v[82:83] op_sel_hi:[0,1]
	v_bfe_u32 v1, v83, 16, 1
	v_bfe_u32 v67, v82, 16, 1
	v_pk_mul_f32 v[80:81], v[84:85], v[80:81] op_sel_hi:[0,1]
	v_add3_u32 v67, v82, v67, s8
	v_add3_u32 v1, v83, v1, s8
	v_perm_b32 v82, v1, v67, s9
	v_bfe_u32 v67, v80, 16, 1
	v_add3_u32 v67, v80, v67, s8
	buffer_load_dword v80, off, s[44:47], 0 offset:4 ; 4-byte Folded Reload
	v_bfe_u32 v1, v81, 16, 1
	v_add3_u32 v1, v81, v1, s8
	v_bfe_u32 v81, v0, 4, 2
	v_perm_b32 v83, v1, v67, s9
	v_lshlrev_b32_e32 v1, 3, v81
	v_lshlrev_b32_e32 v67, 11, v88
	v_pk_mul_f32 v[78:79], v[84:85], v[78:79] op_sel_hi:[0,1]
	v_pk_mul_f32 v[76:77], v[84:85], v[76:77] op_sel_hi:[0,1]
	;; [unrolled: 1-line block ×6, first 2 shown]
	s_lshl_b32 s3, s33, 4
	v_cmp_gt_u32_e32 vcc, 16, v0
	s_waitcnt vmcnt(0)
	v_or3_b32 v80, v67, v80, v1
	v_bfe_u32 v1, v79, 16, 1
	v_bfe_u32 v67, v78, 16, 1
	v_add3_u32 v67, v78, v67, s8
	v_add3_u32 v1, v79, v1, s8
	v_perm_b32 v78, v1, v67, s9
	v_bfe_u32 v1, v77, 16, 1
	v_bfe_u32 v67, v76, 16, 1
	v_add3_u32 v67, v76, v67, s8
	v_add3_u32 v1, v77, v1, s8
	v_perm_b32 v79, v1, v67, s9
	;; [unrolled: 5-line block ×6, first 2 shown]
	ds_write2st64_b64 v80, v[82:83], v[78:79] offset1:1
	ds_write2st64_b64 v80, v[74:75], v[70:71] offset0:2 offset1:3
	s_and_saveexec_b64 s[0:1], vcc
	s_cbranch_execz .LBB303_15
; %bb.14:
	v_mov_b32_e32 v67, 0
	v_mov_b32_e32 v1, s3
	v_mad_u64_u32 v[68:69], s[10:11], s6, v1, v[66:67]
	v_mov_b32_e32 v66, s26
	s_load_dwordx4 s[12:15], s[4:5], 0x58
	s_mul_i32 s7, s7, s3
	v_mad_u64_u32 v[66:67], s[10:11], v68, s2, v[66:67]
	v_add_u32_e32 v1, s7, v69
	v_mov_b32_e32 v68, v67
	v_mad_u64_u32 v[68:69], s[10:11], v1, s2, v[68:69]
	v_mov_b32_e32 v67, v68
	v_lshlrev_b64 v[66:67], 2, v[66:67]
	s_waitcnt lgkmcnt(0)
	v_mov_b32_e32 v1, s15
	v_add_co_u32_e32 v68, vcc, s14, v66
	v_addc_co_u32_e32 v69, vcc, v1, v67, vcc
	v_mov_b32_e32 v1, s13
	v_add_co_u32_e32 v66, vcc, s12, v66
	v_addc_co_u32_e32 v67, vcc, v1, v67, vcc
	global_store_dword v[68:69], v89, off
	global_store_dword v[66:67], v91, off
.LBB303_15:
	s_or_b64 exec, exec, s[0:1]
	s_waitcnt lgkmcnt(0)
	s_barrier
	ds_read_b128 v[70:73], v87
	ds_read_b128 v[66:69], v87 offset:16
	s_waitcnt lgkmcnt(1)
	v_mfma_f32_16x16x16bf16_1k v[74:77], v[46:47], v[70:71], 0
	s_mov_b32 s1, 0
	v_cmp_gt_u32_e32 vcc, 64, v0
	v_mfma_f32_16x16x16bf16_1k v[46:49], v[48:49], v[72:73], v[74:77]
	s_waitcnt lgkmcnt(0)
	v_mfma_f32_16x16x16bf16_1k v[46:49], v[42:43], v[66:67], v[46:49]
	v_mfma_f32_16x16x16bf16_1k v[42:45], v[44:45], v[68:69], v[46:49]
	s_nop 7
	s_nop 1
	ds_read_b128 v[46:49], v87 offset:2048
	ds_read_b128 v[74:77], v87 offset:2064
	s_waitcnt lgkmcnt(1)
	v_mfma_f32_16x16x16bf16_1k v[42:45], v[38:39], v[46:47], v[42:45]
	v_mfma_f32_16x16x16bf16_1k v[38:41], v[40:41], v[48:49], v[42:45]
	s_waitcnt lgkmcnt(0)
	v_mfma_f32_16x16x16bf16_1k v[38:41], v[34:35], v[74:75], v[38:41]
	v_mfma_f32_16x16x16bf16_1k v[34:37], v[36:37], v[76:77], v[38:41]
	s_nop 7
	s_nop 1
	ds_read_b128 v[38:41], v87 offset:4096
	ds_read_b128 v[42:45], v87 offset:4112
	s_waitcnt lgkmcnt(1)
	v_mfma_f32_16x16x16bf16_1k v[34:37], v[30:31], v[38:39], v[34:37]
	v_mfma_f32_16x16x16bf16_1k v[30:33], v[32:33], v[40:41], v[34:37]
	s_waitcnt lgkmcnt(0)
	v_mfma_f32_16x16x16bf16_1k v[30:33], v[26:27], v[42:43], v[30:33]
	v_mfma_f32_16x16x16bf16_1k v[26:29], v[28:29], v[44:45], v[30:33]
	s_nop 7
	s_nop 1
	ds_read_b128 v[30:33], v87 offset:6144
	ds_read_b128 v[34:37], v87 offset:6160
	s_waitcnt lgkmcnt(0)
	s_barrier
	v_mfma_f32_16x16x16bf16_1k v[26:29], v[22:23], v[30:31], v[26:29]
	v_mfma_f32_16x16x16bf16_1k v[22:25], v[24:25], v[32:33], v[26:29]
	;; [unrolled: 1-line block ×5, first 2 shown]
	s_nop 7
	s_nop 1
	v_bfe_u32 v1, v19, 16, 1
	v_add3_u32 v1, v19, v1, s8
	v_mfma_f32_16x16x16bf16_1k v[6:9], v[8:9], v[72:73], v[22:25]
	v_mfma_f32_16x16x16bf16_1k v[6:9], v[2:3], v[66:67], v[6:9]
	v_mfma_f32_16x16x16bf16_1k v[2:5], v[4:5], v[68:69], v[6:9]
	v_mfma_f32_16x16x16bf16_1k v[2:5], v[14:15], v[46:47], v[2:5]
	s_nop 7
	s_nop 0
	v_bfe_u32 v6, v18, 16, 1
	v_add3_u32 v6, v18, v6, s8
	v_perm_b32 v6, v1, v6, s9
	v_bfe_u32 v1, v21, 16, 1
	v_bfe_u32 v7, v20, 16, 1
	v_add3_u32 v7, v20, v7, s8
	v_add3_u32 v1, v21, v1, s8
	v_mfma_f32_16x16x16bf16_1k v[2:5], v[16:17], v[48:49], v[2:5]
	v_perm_b32 v7, v1, v7, s9
	v_mfma_f32_16x16x16bf16_1k v[2:5], v[10:11], v[74:75], v[2:5]
	v_mfma_f32_16x16x16bf16_1k v[2:5], v[12:13], v[76:77], v[2:5]
	;; [unrolled: 1-line block ×10, first 2 shown]
	s_nop 7
	s_nop 2
	v_bfe_u32 v1, v3, 16, 1
	v_bfe_u32 v8, v2, 16, 1
	v_add3_u32 v2, v2, v8, s8
	v_add3_u32 v1, v3, v1, s8
	v_perm_b32 v2, v1, v2, s9
	v_bfe_u32 v1, v5, 16, 1
	v_bfe_u32 v3, v4, 16, 1
	v_add3_u32 v3, v4, v3, s8
	v_add3_u32 v1, v5, v1, s8
	v_perm_b32 v3, v1, v3, s9
	ds_write2st64_b64 v80, v[6:7], v[2:3] offset1:1
	s_waitcnt lgkmcnt(0)
	s_barrier
	s_and_saveexec_b64 s[8:9], vcc
	s_cbranch_execz .LBB303_17
; %bb.16:
	v_and_b32_e32 v3, 15, v0
	v_lshlrev_b32_e32 v3, 6, v3
	v_lshlrev_b32_e32 v2, 4, v0
	v_lshl_or_b32 v0, v0, 10, v3
	v_lshlrev_b32_e32 v1, 5, v81
	v_and_b32_e32 v2, 16, v2
	v_and_b32_e32 v0, 0x1a00, v0
	v_or3_b32 v0, v0, v1, v2
	ds_read_b128 v[2:5], v0
	ds_read_b128 v[6:9], v0 offset:128
	ds_read_b128 v[10:13], v0 offset:256
	;; [unrolled: 1-line block ×3, first 2 shown]
	buffer_load_dword v1, off, s[44:47], 0  ; 4-byte Folded Reload
	s_load_dwordx2 s[4:5], s[4:5], 0x68
	s_lshl_b32 s7, s2, 7
	s_mul_i32 s0, s3, s6
	s_mul_hi_u32 s3, s0, s7
	s_mul_i32 s2, s0, s7
	s_lshl_b64 s[2:3], s[2:3], 1
	s_waitcnt lgkmcnt(0)
	s_add_u32 s2, s4, s2
	s_addc_u32 s3, s5, s3
	s_lshl_b32 s0, s26, 7
	s_lshl_b64 s[0:1], s[0:1], 1
	s_add_u32 s0, s2, s0
	s_addc_u32 s1, s3, s1
	v_mov_b32_e32 v0, s1
	v_or_b32_e32 v20, s27, v81
	s_waitcnt vmcnt(0)
	v_add_co_u32_e32 v18, vcc, s0, v1
	v_addc_co_u32_e32 v19, vcc, 0, v0, vcc
	v_mad_u64_u32 v[0:1], s[0:1], v20, s7, 0
	v_lshlrev_b64 v[0:1], 1, v[0:1]
	v_add_co_u32_e32 v0, vcc, v18, v0
	v_addc_co_u32_e32 v1, vcc, v19, v1, vcc
	global_store_dwordx4 v[0:1], v[2:5], off
	v_or_b32_e32 v0, 4, v20
	v_mad_u64_u32 v[0:1], s[0:1], v0, s7, 0
	v_lshlrev_b64 v[0:1], 1, v[0:1]
	v_add_co_u32_e32 v0, vcc, v18, v0
	v_addc_co_u32_e32 v1, vcc, v19, v1, vcc
	global_store_dwordx4 v[0:1], v[6:9], off
	v_or_b32_e32 v0, 8, v20
	;; [unrolled: 6-line block ×3, first 2 shown]
	v_mad_u64_u32 v[0:1], s[0:1], v0, s7, 0
	v_lshlrev_b64 v[0:1], 1, v[0:1]
	v_add_co_u32_e32 v0, vcc, v18, v0
	v_addc_co_u32_e32 v1, vcc, v19, v1, vcc
	global_store_dwordx4 v[0:1], v[14:17], off
.LBB303_17:
	s_endpgm
	.section	.rodata,"a",@progbits
	.p2align	6, 0x0
	.amdhsa_kernel _Z39paged_attention_ll4mi_QKV_mfma16_kernelI14__hip_bfloat16S0_LN4vllm18Fp8KVCacheDataTypeE0ES0_Li16ELi128ELi256ELb1ELi16EL8MFMAType0EEvPKT_PKT0_S9_ifPKiSB_SB_iPKfiiiPfSE_PS4_PT2_iSD_SD_
		.amdhsa_group_segment_fixed_size 8192
		.amdhsa_private_segment_fixed_size 12
		.amdhsa_kernarg_size 400
		.amdhsa_user_sgpr_count 6
		.amdhsa_user_sgpr_private_segment_buffer 1
		.amdhsa_user_sgpr_dispatch_ptr 0
		.amdhsa_user_sgpr_queue_ptr 0
		.amdhsa_user_sgpr_kernarg_segment_ptr 1
		.amdhsa_user_sgpr_dispatch_id 0
		.amdhsa_user_sgpr_flat_scratch_init 0
		.amdhsa_user_sgpr_kernarg_preload_length 0
		.amdhsa_user_sgpr_kernarg_preload_offset 0
		.amdhsa_user_sgpr_private_segment_size 0
		.amdhsa_uses_dynamic_stack 0
		.amdhsa_system_sgpr_private_segment_wavefront_offset 1
		.amdhsa_system_sgpr_workgroup_id_x 1
		.amdhsa_system_sgpr_workgroup_id_y 1
		.amdhsa_system_sgpr_workgroup_id_z 1
		.amdhsa_system_sgpr_workgroup_info 0
		.amdhsa_system_vgpr_workitem_id 0
		.amdhsa_next_free_vgpr 96
		.amdhsa_next_free_sgpr 48
		.amdhsa_accum_offset 96
		.amdhsa_reserve_vcc 1
		.amdhsa_reserve_flat_scratch 0
		.amdhsa_float_round_mode_32 0
		.amdhsa_float_round_mode_16_64 0
		.amdhsa_float_denorm_mode_32 3
		.amdhsa_float_denorm_mode_16_64 3
		.amdhsa_dx10_clamp 1
		.amdhsa_ieee_mode 1
		.amdhsa_fp16_overflow 0
		.amdhsa_tg_split 0
		.amdhsa_exception_fp_ieee_invalid_op 0
		.amdhsa_exception_fp_denorm_src 0
		.amdhsa_exception_fp_ieee_div_zero 0
		.amdhsa_exception_fp_ieee_overflow 0
		.amdhsa_exception_fp_ieee_underflow 0
		.amdhsa_exception_fp_ieee_inexact 0
		.amdhsa_exception_int_div_zero 0
	.end_amdhsa_kernel
	.section	.text._Z39paged_attention_ll4mi_QKV_mfma16_kernelI14__hip_bfloat16S0_LN4vllm18Fp8KVCacheDataTypeE0ES0_Li16ELi128ELi256ELb1ELi16EL8MFMAType0EEvPKT_PKT0_S9_ifPKiSB_SB_iPKfiiiPfSE_PS4_PT2_iSD_SD_,"axG",@progbits,_Z39paged_attention_ll4mi_QKV_mfma16_kernelI14__hip_bfloat16S0_LN4vllm18Fp8KVCacheDataTypeE0ES0_Li16ELi128ELi256ELb1ELi16EL8MFMAType0EEvPKT_PKT0_S9_ifPKiSB_SB_iPKfiiiPfSE_PS4_PT2_iSD_SD_,comdat
.Lfunc_end303:
	.size	_Z39paged_attention_ll4mi_QKV_mfma16_kernelI14__hip_bfloat16S0_LN4vllm18Fp8KVCacheDataTypeE0ES0_Li16ELi128ELi256ELb1ELi16EL8MFMAType0EEvPKT_PKT0_S9_ifPKiSB_SB_iPKfiiiPfSE_PS4_PT2_iSD_SD_, .Lfunc_end303-_Z39paged_attention_ll4mi_QKV_mfma16_kernelI14__hip_bfloat16S0_LN4vllm18Fp8KVCacheDataTypeE0ES0_Li16ELi128ELi256ELb1ELi16EL8MFMAType0EEvPKT_PKT0_S9_ifPKiSB_SB_iPKfiiiPfSE_PS4_PT2_iSD_SD_
                                        ; -- End function
	.section	.AMDGPU.csdata,"",@progbits
; Kernel info:
; codeLenInByte = 5192
; NumSgprs: 52
; NumVgprs: 96
; NumAgprs: 0
; TotalNumVgprs: 96
; ScratchSize: 12
; MemoryBound: 0
; FloatMode: 240
; IeeeMode: 1
; LDSByteSize: 8192 bytes/workgroup (compile time only)
; SGPRBlocks: 6
; VGPRBlocks: 11
; NumSGPRsForWavesPerEU: 52
; NumVGPRsForWavesPerEU: 96
; AccumOffset: 96
; Occupancy: 5
; WaveLimiterHint : 1
; COMPUTE_PGM_RSRC2:SCRATCH_EN: 1
; COMPUTE_PGM_RSRC2:USER_SGPR: 6
; COMPUTE_PGM_RSRC2:TRAP_HANDLER: 0
; COMPUTE_PGM_RSRC2:TGID_X_EN: 1
; COMPUTE_PGM_RSRC2:TGID_Y_EN: 1
; COMPUTE_PGM_RSRC2:TGID_Z_EN: 1
; COMPUTE_PGM_RSRC2:TIDIG_COMP_CNT: 0
; COMPUTE_PGM_RSRC3_GFX90A:ACCUM_OFFSET: 23
; COMPUTE_PGM_RSRC3_GFX90A:TG_SPLIT: 0
	.section	.text._Z35paged_attention_ll4mi_reduce_kernelI14__hip_bfloat16S0_Li128ELi128ELi256ELi1EEvPT0_PKfS4_PKT_PKiS9_iS4_,"axG",@progbits,_Z35paged_attention_ll4mi_reduce_kernelI14__hip_bfloat16S0_Li128ELi128ELi256ELi1EEvPT0_PKfS4_PKT_PKiS9_iS4_,comdat
	.protected	_Z35paged_attention_ll4mi_reduce_kernelI14__hip_bfloat16S0_Li128ELi128ELi256ELi1EEvPT0_PKfS4_PKT_PKiS9_iS4_ ; -- Begin function _Z35paged_attention_ll4mi_reduce_kernelI14__hip_bfloat16S0_Li128ELi128ELi256ELi1EEvPT0_PKfS4_PKT_PKiS9_iS4_
	.globl	_Z35paged_attention_ll4mi_reduce_kernelI14__hip_bfloat16S0_Li128ELi128ELi256ELi1EEvPT0_PKfS4_PKT_PKiS9_iS4_
	.p2align	8
	.type	_Z35paged_attention_ll4mi_reduce_kernelI14__hip_bfloat16S0_Li128ELi128ELi256ELi1EEvPT0_PKfS4_PKT_PKiS9_iS4_,@function
_Z35paged_attention_ll4mi_reduce_kernelI14__hip_bfloat16S0_Li128ELi128ELi256ELi1EEvPT0_PKfS4_PKT_PKiS9_iS4_: ; @_Z35paged_attention_ll4mi_reduce_kernelI14__hip_bfloat16S0_Li128ELi128ELi256ELi1EEvPT0_PKfS4_PKT_PKiS9_iS4_
; %bb.0:
	s_load_dwordx2 s[16:17], s[4:5], 0x28
	s_mov_b32 s2, s7
	s_mov_b64 s[0:1], 0
	s_waitcnt lgkmcnt(0)
	s_cmp_lg_u64 s[16:17], 0
	s_cselect_b64 s[18:19], -1, 0
	s_and_b64 vcc, exec, s[18:19]
	s_cbranch_vccz .LBB304_23
; %bb.1:
	s_add_i32 s8, s2, 1
	s_mov_b32 s9, 0
	s_lshl_b64 s[10:11], s[8:9], 2
	s_add_u32 s10, s16, s10
	s_mov_b32 s3, s9
	s_addc_u32 s11, s17, s11
	s_lshl_b64 s[8:9], s[2:3], 2
	s_add_u32 s8, s16, s8
	s_addc_u32 s9, s17, s9
	s_load_dword s7, s[10:11], 0x0
	s_load_dword s12, s[8:9], 0x0
	s_waitcnt lgkmcnt(0)
	s_sub_i32 s7, s7, s12
	s_cmp_eq_u32 s7, 1
	s_cselect_b64 s[8:9], -1, 0
	s_andn2_b64 vcc, exec, s[0:1]
	s_cbranch_vccnz .LBB304_3
.LBB304_2:
	s_mov_b32 s3, 0
	s_mov_b64 s[8:9], -1
.LBB304_3:
	s_andn2_b64 vcc, exec, s[8:9]
	s_cbranch_vccz .LBB304_5
; %bb.4:
	s_endpgm
.LBB304_5:
	s_load_dwordx4 s[8:11], s[4:5], 0x18
	s_load_dword s13, s[4:5], 0x30
	s_lshl_b64 s[20:21], s[2:3], 2
	v_cmp_lt_u32_e32 vcc, 63, v0
	s_waitcnt lgkmcnt(0)
	s_add_u32 s0, s10, s20
	s_addc_u32 s1, s11, s21
	s_load_dword s26, s[0:1], 0x0
	s_load_dword s7, s[4:5], 0x40
	s_mul_i32 s10, s6, s13
	s_mul_i32 s11, s2, s13
	s_waitcnt lgkmcnt(0)
	s_add_i32 s12, s26, 0xff
	s_ashr_i32 s0, s12, 31
	s_lshr_b32 s0, s0, 24
	s_add_i32 s12, s12, s0
	s_and_saveexec_b64 s[0:1], vcc
	s_xor_b64 s[0:1], exec, s[0:1]
	s_or_saveexec_b64 s[22:23], s[0:1]
	s_ashr_i32 s27, s12, 8
	v_mov_b32_e32 v1, s10
	s_mul_i32 s24, s11, s7
	s_xor_b64 exec, exec, s[22:23]
	s_cbranch_execz .LBB304_9
; %bb.6:
	s_load_dwordx4 s[12:15], s[4:5], 0x8
	s_mov_b32 s25, 0
	s_lshl_b64 s[28:29], s[24:25], 2
	s_mov_b32 s11, s25
	v_cmp_gt_u32_e32 vcc, s27, v0
	s_waitcnt lgkmcnt(0)
	s_add_u32 s0, s14, s28
	s_addc_u32 s1, s15, s29
	s_lshl_b64 s[14:15], s[10:11], 2
	s_add_u32 s0, s0, s14
	s_addc_u32 s1, s1, s15
	s_add_i32 s11, s27, -1
	v_mov_b32_e32 v1, s11
	v_cndmask_b32_e32 v2, v1, v0, vcc
	v_ashrrev_i32_e32 v3, 31, v2
	v_lshlrev_b64 v[2:3], 2, v[2:3]
	v_mov_b32_e32 v1, s1
	v_add_co_u32_e64 v4, s[0:1], s0, v2
	v_addc_co_u32_e64 v5, s[0:1], v1, v3, s[0:1]
	global_load_dword v1, v[4:5], off
	s_add_u32 s0, s12, s28
	s_addc_u32 s1, s13, s29
	s_add_u32 s0, s0, s14
	s_addc_u32 s1, s1, s15
	v_mov_b32_e32 v4, s1
	v_add_co_u32_e64 v2, s[0:1], s0, v2
	v_addc_co_u32_e64 v3, s[0:1], v4, v3, s[0:1]
	global_load_dword v2, v[2:3], off
	v_mbcnt_lo_u32_b32 v3, -1, 0
	v_mbcnt_hi_u32_b32 v3, -1, v3
	v_and_b32_e32 v4, 64, v3
	v_xor_b32_e32 v5, 32, v3
	v_add_u32_e32 v4, 64, v4
	v_cmp_lt_i32_e64 s[0:1], v5, v4
	v_cndmask_b32_e64 v5, v3, v5, s[0:1]
	v_lshlrev_b32_e32 v5, 2, v5
	v_xor_b32_e32 v6, 16, v3
	v_cmp_lt_i32_e64 s[0:1], v6, v4
	v_cndmask_b32_e64 v6, v3, v6, s[0:1]
	v_lshlrev_b32_e32 v6, 2, v6
	v_xor_b32_e32 v9, 8, v3
	;; [unrolled: 4-line block ×5, first 2 shown]
	v_cmp_lt_i32_e64 s[0:1], v12, v4
	v_cndmask_b32_e64 v3, v3, v12, s[0:1]
	v_lshlrev_b32_e32 v3, 2, v3
	s_mov_b32 s0, 0x3fb8aa3b
	s_mov_b32 s11, 0x42b17218
	s_waitcnt vmcnt(1)
	ds_bpermute_b32 v7, v5, v1
	v_max_f32_e32 v8, v1, v1
	s_waitcnt lgkmcnt(0)
	v_max_f32_e32 v7, v7, v7
	v_max_f32_e32 v7, v8, v7
	ds_bpermute_b32 v8, v6, v7
	s_waitcnt lgkmcnt(0)
	v_max_f32_e32 v8, v8, v8
	v_max_f32_e32 v7, v7, v8
	ds_bpermute_b32 v8, v9, v7
	s_waitcnt lgkmcnt(0)
	v_max_f32_e32 v8, v8, v8
	v_max_f32_e32 v7, v7, v8
	ds_bpermute_b32 v8, v10, v7
	s_waitcnt lgkmcnt(0)
	v_max_f32_e32 v8, v8, v8
	v_max_f32_e32 v7, v7, v8
	ds_bpermute_b32 v8, v11, v7
	s_waitcnt lgkmcnt(0)
	v_max_f32_e32 v4, v8, v8
	v_max_f32_e32 v4, v7, v4
	ds_bpermute_b32 v7, v3, v4
	s_waitcnt lgkmcnt(0)
	v_max_f32_e32 v7, v7, v7
	v_max_f32_e32 v4, v4, v7
	v_sub_f32_e32 v1, v1, v4
	v_mul_f32_e32 v4, 0x3fb8aa3b, v1
	v_fma_f32 v7, v1, s0, -v4
	v_rndne_f32_e32 v8, v4
	v_fmac_f32_e32 v7, 0x32a5705f, v1
	v_sub_f32_e32 v4, v4, v8
	v_add_f32_e32 v4, v4, v7
	v_cvt_i32_f32_e32 v8, v8
	v_exp_f32_e32 v4, v4
	s_mov_b32 s0, 0xc2ce8ed0
	v_cmp_ngt_f32_e64 s[0:1], s0, v1
	v_mov_b32_e32 v7, 0x7f800000
	v_ldexp_f32 v4, v4, v8
	v_cndmask_b32_e64 v4, 0, v4, s[0:1]
	v_cmp_nlt_f32_e64 s[0:1], s11, v1
	v_cndmask_b32_e64 v1, v7, v4, s[0:1]
	v_cndmask_b32_e32 v1, 0, v1, vcc
	s_waitcnt vmcnt(0)
	v_mul_f32_e32 v4, v1, v2
	ds_bpermute_b32 v1, v5, v4
	v_cmp_eq_u32_e32 vcc, 0, v0
	s_waitcnt lgkmcnt(0)
	v_add_f32_e32 v1, v4, v1
	ds_bpermute_b32 v2, v6, v1
	s_waitcnt lgkmcnt(0)
	v_add_f32_e32 v1, v1, v2
	ds_bpermute_b32 v2, v9, v1
	;; [unrolled: 3-line block ×5, first 2 shown]
	v_lshlrev_b32_e32 v3, 2, v0
	ds_write_b32 v3, v4
	s_and_saveexec_b64 s[0:1], vcc
	s_cbranch_execz .LBB304_8
; %bb.7:
	s_waitcnt lgkmcnt(1)
	v_add_f32_e32 v1, v1, v2
	v_mov_b32_e32 v2, 0
	ds_write_b32 v2, v1 offset:256
.LBB304_8:
	s_or_b64 exec, exec, s[0:1]
	v_mov_b32_e32 v1, s10
.LBB304_9:
	s_or_b64 exec, exec, s[22:23]
	s_lshl_b32 s0, s24, 7
	s_mov_b32 s1, 0
	s_lshl_b64 s[0:1], s[0:1], 1
	s_add_u32 s0, s8, s0
	s_addc_u32 s1, s9, s1
	s_lshl_b32 s8, s27, 7
	s_waitcnt lgkmcnt(1)
	v_lshlrev_b32_e32 v2, 7, v1
	v_mov_b32_e32 v3, 0
	s_addk_i32 s8, 0xff80
	v_lshlrev_b64 v[4:5], 1, v[2:3]
	s_cmp_lt_i32 s26, 1
	v_mov_b32_e32 v1, s1
	v_add_co_u32_e32 v4, vcc, s0, v4
	s_cselect_b32 s0, s8, 0
	v_addc_co_u32_e32 v1, vcc, v1, v5, vcc
	v_lshlrev_b32_e32 v2, 1, v0
	s_ashr_i32 s1, s0, 31
	v_add_co_u32_e32 v50, vcc, v4, v2
	s_lshl_b64 s[0:1], s[0:1], 1
	v_addc_co_u32_e32 v51, vcc, 0, v1, vcc
	s_cmpk_lt_i32 s26, 0x101
	v_add_co_u32_e32 v0, vcc, s0, v50
	s_cselect_b32 s0, s8, 0x80
	v_mov_b32_e32 v1, s1
	s_ashr_i32 s1, s0, 31
	s_lshl_b64 s[0:1], s[0:1], 1
	v_addc_co_u32_e32 v1, vcc, v51, v1, vcc
	s_cmpk_lt_i32 s26, 0x201
	v_add_co_u32_e32 v4, vcc, s0, v50
	s_cselect_b32 s0, s8, 0x100
	v_mov_b32_e32 v5, s1
	s_ashr_i32 s1, s0, 31
	;; [unrolled: 7-line block ×8, first 2 shown]
	s_lshl_b64 s[0:1], s[0:1], 1
	v_addc_co_u32_e32 v17, vcc, v51, v17, vcc
	s_cmpk_lt_i32 s26, 0x901
	global_load_ushort v41, v[0:1], off
	global_load_ushort v40, v[4:5], off
	global_load_ushort v39, v[6:7], off
	global_load_ushort v38, v[8:9], off
	global_load_ushort v36, v[10:11], off
	global_load_ushort v37, v[12:13], off
	global_load_ushort v34, v[14:15], off
	global_load_ushort v35, v[16:17], off
	v_add_co_u32_e32 v0, vcc, s0, v50
	s_cselect_b32 s0, s8, 0x480
	v_mov_b32_e32 v1, s1
	s_ashr_i32 s1, s0, 31
	s_lshl_b64 s[0:1], s[0:1], 1
	v_addc_co_u32_e32 v1, vcc, v51, v1, vcc
	s_cmpk_lt_i32 s26, 0xa01
	v_add_co_u32_e32 v4, vcc, s0, v50
	s_cselect_b32 s0, s8, 0x500
	v_mov_b32_e32 v5, s1
	s_ashr_i32 s1, s0, 31
	s_lshl_b64 s[0:1], s[0:1], 1
	v_addc_co_u32_e32 v5, vcc, v51, v5, vcc
	s_cmpk_lt_i32 s26, 0xb01
	;; [unrolled: 7-line block ×6, first 2 shown]
	v_add_co_u32_e32 v14, vcc, s0, v50
	s_cselect_b32 s0, s8, 0x780
	v_mov_b32_e32 v15, s1
	s_ashr_i32 s1, s0, 31
	v_addc_co_u32_e32 v15, vcc, v51, v15, vcc
	s_lshl_b64 s[0:1], s[0:1], 1
	v_mov_b32_e32 v17, s1
	v_add_co_u32_e32 v16, vcc, s0, v50
	v_addc_co_u32_e32 v17, vcc, v51, v17, vcc
	global_load_ushort v48, v[0:1], off
	global_load_ushort v49, v[4:5], off
	;; [unrolled: 1-line block ×8, first 2 shown]
	s_cmpk_gt_i32 s26, 0x1000
	s_cselect_b64 s[0:1], -1, 0
	s_cmpk_lt_i32 s26, 0x1001
	v_mov_b32_e32 v60, 0
	v_mov_b32_e32 v61, 0
	;; [unrolled: 1-line block ×48, first 2 shown]
	s_waitcnt lgkmcnt(0)
	s_barrier
	s_cbranch_scc1 .LBB304_12
; %bb.10:
	s_cmpk_lt_u32 s26, 0x1101
	s_cselect_b32 s10, s8, 0x880
	s_ashr_i32 s11, s10, 31
	v_add_co_u32_e32 v0, vcc, 0x1000, v50
	s_lshl_b64 s[10:11], s[10:11], 1
	v_addc_co_u32_e32 v1, vcc, 0, v51, vcc
	s_cmpk_lt_u32 s26, 0x1201
	v_add_co_u32_e32 v4, vcc, s10, v50
	s_cselect_b32 s10, s8, 0x900
	v_mov_b32_e32 v5, s11
	s_ashr_i32 s11, s10, 31
	s_lshl_b64 s[10:11], s[10:11], 1
	v_addc_co_u32_e32 v5, vcc, v51, v5, vcc
	s_cmpk_lt_u32 s26, 0x1301
	v_add_co_u32_e32 v6, vcc, s10, v50
	s_cselect_b32 s10, s8, 0x980
	v_mov_b32_e32 v7, s11
	s_ashr_i32 s11, s10, 31
	;; [unrolled: 7-line block ×7, first 2 shown]
	s_lshl_b64 s[10:11], s[10:11], 1
	v_addc_co_u32_e32 v17, vcc, v51, v17, vcc
	s_cmpk_lt_u32 s26, 0x1901
	global_load_ushort v59, v[0:1], off
	global_load_ushort v58, v[4:5], off
	;; [unrolled: 1-line block ×8, first 2 shown]
	v_add_co_u32_e32 v0, vcc, s10, v50
	s_cselect_b32 s10, s8, 0xc80
	v_mov_b32_e32 v1, s11
	s_ashr_i32 s11, s10, 31
	s_lshl_b64 s[10:11], s[10:11], 1
	v_addc_co_u32_e32 v1, vcc, v51, v1, vcc
	s_cmpk_lt_u32 s26, 0x1a01
	v_add_co_u32_e32 v4, vcc, s10, v50
	s_cselect_b32 s10, s8, 0xd00
	v_mov_b32_e32 v5, s11
	s_ashr_i32 s11, s10, 31
	s_lshl_b64 s[10:11], s[10:11], 1
	v_addc_co_u32_e32 v5, vcc, v51, v5, vcc
	s_cmpk_lt_u32 s26, 0x1b01
	;; [unrolled: 7-line block ×6, first 2 shown]
	v_add_co_u32_e32 v14, vcc, s10, v50
	s_cselect_b32 s10, s8, 0xf80
	v_mov_b32_e32 v15, s11
	s_ashr_i32 s11, s10, 31
	v_addc_co_u32_e32 v15, vcc, v51, v15, vcc
	s_lshl_b64 s[10:11], s[10:11], 1
	v_mov_b32_e32 v17, s11
	v_add_co_u32_e32 v16, vcc, s10, v50
	v_addc_co_u32_e32 v17, vcc, v51, v17, vcc
	global_load_ushort v67, v[0:1], off
	global_load_ushort v66, v[4:5], off
	;; [unrolled: 1-line block ×8, first 2 shown]
	s_cmpk_lt_u32 s26, 0x2001
	v_mov_b32_e32 v33, 0
	v_mov_b32_e32 v31, 0
	;; [unrolled: 1-line block ×32, first 2 shown]
	s_cbranch_scc1 .LBB304_12
; %bb.11:
	s_cmpk_lt_u32 s26, 0x2101
	s_cselect_b32 s10, s8, 0x1080
	s_ashr_i32 s11, s10, 31
	s_lshl_b64 s[10:11], s[10:11], 1
	s_cmpk_lt_u32 s26, 0x2201
	v_add_co_u32_e32 v0, vcc, s10, v50
	s_cselect_b32 s10, s8, 0x1100
	v_mov_b32_e32 v1, s11
	s_ashr_i32 s11, s10, 31
	s_lshl_b64 s[10:11], s[10:11], 1
	v_addc_co_u32_e32 v1, vcc, v51, v1, vcc
	s_cmpk_lt_u32 s26, 0x2301
	v_add_co_u32_e32 v4, vcc, s10, v50
	s_cselect_b32 s10, s8, 0x1180
	v_mov_b32_e32 v5, s11
	s_ashr_i32 s11, s10, 31
	s_lshl_b64 s[10:11], s[10:11], 1
	v_addc_co_u32_e32 v5, vcc, v51, v5, vcc
	;; [unrolled: 7-line block ×28, first 2 shown]
	s_cmpk_lt_u32 s26, 0x3e01
	v_add_co_u32_e32 v92, vcc, s10, v50
	s_cselect_b32 s10, s8, 0x1f00
	v_mov_b32_e32 v93, s11
	s_ashr_i32 s11, s10, 31
	s_lshl_b64 s[10:11], s[10:11], 1
	s_cmpk_lt_u32 s26, 0x3f01
	s_cselect_b32 s8, s8, 0x1f80
	v_addc_co_u32_e32 v93, vcc, v51, v93, vcc
	s_ashr_i32 s9, s8, 31
	v_mov_b32_e32 v95, s11
	v_add_co_u32_e32 v94, vcc, s10, v50
	s_lshl_b64 s[8:9], s[8:9], 1
	v_addc_co_u32_e32 v95, vcc, v51, v95, vcc
	v_mov_b32_e32 v98, s9
	s_movk_i32 s9, 0x2000
	v_add_co_u32_e32 v96, vcc, s9, v50
	v_addc_co_u32_e32 v97, vcc, 0, v51, vcc
	global_load_ushort v99, v[96:97], off
	global_load_ushort v100, v[0:1], off
	;; [unrolled: 1-line block ×15, first 2 shown]
                                        ; kill: killed $vgpr30 killed $vgpr31
                                        ; kill: killed $vgpr8 killed $vgpr9
                                        ; kill: killed $vgpr14 killed $vgpr15
                                        ; kill: killed $vgpr20 killed $vgpr21
                                        ; kill: killed $vgpr4 killed $vgpr5
                                        ; kill: killed $vgpr32 killed $vgpr33
                                        ; kill: killed $vgpr96 killed $vgpr97
                                        ; kill: killed $vgpr10 killed $vgpr11
                                        ; kill: killed $vgpr16 killed $vgpr17
                                        ; kill: killed $vgpr24 killed $vgpr25
                                        ; kill: killed $vgpr6 killed $vgpr7
                                        ; kill: killed $vgpr68 killed $vgpr69
                                        ; kill: killed $vgpr12 killed $vgpr13
                                        ; kill: killed $vgpr18 killed $vgpr19
                                        ; kill: killed $vgpr0 killed $vgpr1
	global_load_ushort v4, v[22:23], off
	global_load_ushort v5, v[26:27], off
	;; [unrolled: 1-line block ×15, first 2 shown]
                                        ; kill: killed $vgpr90 killed $vgpr91
                                        ; kill: killed $vgpr74 killed $vgpr75
                                        ; kill: killed $vgpr80 killed $vgpr81
                                        ; kill: killed $vgpr22 killed $vgpr23
                                        ; kill: killed $vgpr70 killed $vgpr71
                                        ; kill: killed $vgpr92 killed $vgpr93
                                        ; kill: killed $vgpr76 killed $vgpr77
                                        ; kill: killed $vgpr82 killed $vgpr83
                                        ; kill: killed $vgpr26 killed $vgpr27
                                        ; kill: killed $vgpr88 killed $vgpr89
                                        ; kill: killed $vgpr72 killed $vgpr73
                                        ; kill: killed $vgpr94 killed $vgpr95
                                        ; kill: killed $vgpr78 killed $vgpr79
                                        ; kill: killed $vgpr84 killed $vgpr85
                                        ; kill: killed $vgpr28 killed $vgpr29
	global_load_ushort v70, v[86:87], off
	v_add_co_u32_e32 v0, vcc, s8, v50
	v_addc_co_u32_e32 v1, vcc, v51, v98, vcc
	global_load_ushort v1, v[0:1], off
	s_waitcnt vmcnt(31)
	v_lshlrev_b32_e32 v33, 16, v99
	s_waitcnt vmcnt(30)
	v_lshlrev_b32_e32 v31, 16, v100
	;; [unrolled: 2-line block ×32, first 2 shown]
.LBB304_12:
	ds_read_b128 v[68:71], v3
	s_waitcnt vmcnt(15)
	v_lshlrev_b32_e32 v41, 16, v41
	ds_read_b128 v[72:75], v3 offset:16
	ds_read_b128 v[76:79], v3 offset:32
	;; [unrolled: 1-line block ×3, first 2 shown]
	s_waitcnt vmcnt(14)
	v_lshlrev_b32_e32 v40, 16, v40
	s_waitcnt vmcnt(13)
	v_lshlrev_b32_e32 v39, 16, v39
	s_waitcnt lgkmcnt(3)
	v_fma_f32 v41, v68, v41, 0
	v_fmac_f32_e32 v41, v69, v40
	v_fmac_f32_e32 v41, v70, v39
	s_waitcnt vmcnt(12)
	v_lshlrev_b32_e32 v38, 16, v38
	s_waitcnt vmcnt(10)
	v_lshlrev_b32_e32 v37, 16, v37
	v_lshlrev_b32_e32 v36, 16, v36
	v_fmac_f32_e32 v41, v71, v38
	s_waitcnt lgkmcnt(2)
	v_pk_mul_f32 v[36:37], v[72:73], v[36:37]
	v_add_f32_e32 v36, v41, v36
	s_waitcnt vmcnt(8)
	v_lshlrev_b32_e32 v35, 16, v35
	v_lshlrev_b32_e32 v34, 16, v34
	v_add_f32_e32 v36, v36, v37
	v_pk_mul_f32 v[34:35], v[74:75], v[34:35]
	v_add_f32_e32 v34, v36, v34
	v_add_f32_e32 v36, v34, v35
	s_waitcnt vmcnt(6)
	v_lshlrev_b32_e32 v35, 16, v49
	v_lshlrev_b32_e32 v34, 16, v48
	s_waitcnt lgkmcnt(1)
	v_pk_mul_f32 v[34:35], v[76:77], v[34:35]
	v_add_f32_e32 v34, v36, v34
	v_add_f32_e32 v36, v34, v35
	s_waitcnt vmcnt(4)
	v_lshlrev_b32_e32 v35, 16, v47
	v_lshlrev_b32_e32 v34, 16, v46
	v_pk_mul_f32 v[34:35], v[78:79], v[34:35]
	v_add_f32_e32 v34, v36, v34
	v_add_f32_e32 v36, v34, v35
	s_waitcnt vmcnt(2)
	v_lshlrev_b32_e32 v35, 16, v45
	v_lshlrev_b32_e32 v34, 16, v44
	s_waitcnt lgkmcnt(0)
	v_pk_mul_f32 v[34:35], v[80:81], v[34:35]
	s_load_dwordx2 s[8:9], s[4:5], 0x38
	v_add_f32_e32 v34, v36, v34
	v_add_f32_e32 v36, v34, v35
	s_waitcnt vmcnt(0)
	v_lshlrev_b32_e32 v35, 16, v43
	v_lshlrev_b32_e32 v34, 16, v42
	v_pk_mul_f32 v[34:35], v[82:83], v[34:35]
	v_add_f32_e32 v34, v36, v34
	s_andn2_b64 vcc, exec, s[0:1]
	v_add_f32_e32 v34, v34, v35
	s_cbranch_vccnz .LBB304_15
; %bb.13:
	ds_read_b128 v[36:39], v3 offset:64
	v_lshlrev_b32_e32 v35, 16, v59
	ds_read_b128 v[40:43], v3 offset:80
	ds_read_b128 v[44:47], v3 offset:96
	;; [unrolled: 1-line block ×3, first 2 shown]
	s_cmpk_lt_u32 s26, 0x2001
	s_waitcnt lgkmcnt(0)
	v_fmac_f32_e32 v34, v36, v35
	v_lshlrev_b32_e32 v35, 16, v58
	v_fmac_f32_e32 v34, v37, v35
	v_lshlrev_b32_e32 v35, 16, v57
	;; [unrolled: 2-line block ×15, first 2 shown]
	v_fmac_f32_e32 v34, v51, v35
	s_cbranch_scc1 .LBB304_15
; %bb.14:
	v_mov_b32_e32 v35, 0
	ds_read_b128 v[36:39], v35 offset:128
	ds_read_b128 v[40:43], v35 offset:144
	;; [unrolled: 1-line block ×4, first 2 shown]
	s_waitcnt lgkmcnt(3)
	v_fmac_f32_e32 v34, v36, v33
	v_fmac_f32_e32 v34, v37, v31
	v_fmac_f32_e32 v34, v38, v32
	v_fmac_f32_e32 v34, v39, v29
	s_waitcnt lgkmcnt(2)
	v_fmac_f32_e32 v34, v40, v30
	v_fmac_f32_e32 v34, v41, v27
	v_fmac_f32_e32 v34, v42, v28
	v_fmac_f32_e32 v34, v43, v25
	;; [unrolled: 5-line block ×3, first 2 shown]
	s_waitcnt lgkmcnt(0)
	v_fmac_f32_e32 v34, v48, v22
	ds_read_b128 v[22:25], v35 offset:192
	v_fmac_f32_e32 v34, v49, v19
	v_fmac_f32_e32 v34, v50, v20
	v_fmac_f32_e32 v34, v51, v18
	ds_read_b128 v[18:21], v35 offset:208
	s_waitcnt lgkmcnt(1)
	v_fmac_f32_e32 v34, v22, v17
	v_fmac_f32_e32 v34, v23, v15
	;; [unrolled: 1-line block ×4, first 2 shown]
	s_waitcnt lgkmcnt(0)
	v_pk_mul_f32 v[12:13], v[18:19], v[12:13]
	v_add_f32_e32 v12, v34, v12
	v_add_f32_e32 v16, v12, v13
	ds_read_b128 v[12:15], v35 offset:224
	v_pk_mul_f32 v[10:11], v[20:21], v[10:11]
	v_add_f32_e32 v10, v16, v10
	ds_read_b128 v[16:19], v35 offset:240
	v_add_f32_e32 v10, v10, v11
	s_waitcnt lgkmcnt(1)
	v_pk_mul_f32 v[8:9], v[12:13], v[8:9]
	v_add_f32_e32 v8, v10, v8
	v_add_f32_e32 v8, v8, v9
	v_pk_mul_f32 v[6:7], v[14:15], v[6:7]
	v_add_f32_e32 v6, v8, v6
	v_add_f32_e32 v6, v6, v7
	s_waitcnt lgkmcnt(0)
	v_pk_mul_f32 v[4:5], v[16:17], v[4:5]
	v_add_f32_e32 v4, v6, v4
	v_add_f32_e32 v4, v4, v5
	v_pk_mul_f32 v[0:1], v[18:19], v[0:1]
	v_add_f32_e32 v0, v4, v0
	v_add_f32_e32 v34, v0, v1
.LBB304_15:
	ds_read_b32 v0, v3 offset:256
	s_waitcnt lgkmcnt(0)
	s_cmp_eq_u64 s[8:9], 0
	s_cbranch_scc1 .LBB304_24
; %bb.16:
	s_load_dword s8, s[8:9], 0x0
	s_waitcnt lgkmcnt(0)
	v_div_scale_f32 v1, s[0:1], s8, s8, 1.0
	v_rcp_f32_e32 v3, v1
	v_div_scale_f32 v4, vcc, 1.0, s8, 1.0
	v_fma_f32 v5, -v1, v3, 1.0
	v_fmac_f32_e32 v3, v5, v3
	v_mul_f32_e32 v5, v4, v3
	v_fma_f32 v6, -v1, v5, v4
	v_fmac_f32_e32 v5, v6, v3
	v_fma_f32 v1, -v1, v5, v4
	v_div_fmas_f32 v1, v1, v3, v5
	v_div_fixup_f32 v1, v1, s8, 1.0
	s_andn2_b64 vcc, exec, s[18:19]
	s_cbranch_vccnz .LBB304_18
.LBB304_17:
	s_add_u32 s0, s16, s20
	s_addc_u32 s1, s17, s21
	s_load_dword s2, s[0:1], 0x0
	s_mov_b32 s3, 0
.LBB304_18:
	v_add_f32_e32 v0, 0x358637bd, v0
	v_div_scale_f32 v3, s[0:1], v0, v0, 1.0
	v_rcp_f32_e32 v4, v3
	s_load_dwordx2 s[0:1], s[4:5], 0x0
	s_mov_b32 s4, 0x7f800000
	v_fma_f32 v5, -v3, v4, 1.0
	v_fmac_f32_e32 v4, v5, v4
	v_div_scale_f32 v5, vcc, 1.0, v0, 1.0
	v_mul_f32_e32 v6, v5, v4
	v_fma_f32 v7, -v3, v6, v5
	v_fmac_f32_e32 v6, v7, v4
	v_fma_f32 v3, -v3, v6, v5
	v_div_fmas_f32 v3, v3, v4, v6
	v_div_fixup_f32 v0, v3, v0, 1.0
	v_mul_f32_e32 v0, v34, v0
	v_mul_f32_e32 v1, v0, v1
	v_and_b32_e32 v0, 0x7f800000, v1
	v_cmp_ne_u32_e32 vcc, s4, v0
                                        ; implicit-def: $vgpr0
	s_and_saveexec_b64 s[4:5], vcc
	s_xor_b64 s[4:5], exec, s[4:5]
; %bb.19:
	v_bfe_u32 v0, v1, 16, 1
	s_movk_i32 s8, 0x7fff
	v_add3_u32 v0, v1, v0, s8
                                        ; implicit-def: $vgpr1
; %bb.20:
	s_andn2_saveexec_b64 s[4:5], s[4:5]
; %bb.21:
	v_mov_b32_e32 v0, 0
	v_or_b32_e32 v3, 0x10000, v1
	v_cmp_eq_u32_sdwa vcc, v1, v0 src0_sel:WORD_0 src1_sel:DWORD
	v_cndmask_b32_e32 v0, v3, v1, vcc
; %bb.22:
	s_or_b64 exec, exec, s[4:5]
	s_mul_i32 s3, s7, s3
	s_waitcnt lgkmcnt(0)
	s_mul_hi_u32 s4, s7, s2
	s_add_i32 s3, s4, s3
	s_mul_i32 s2, s7, s2
	s_lshl_b64 s[2:3], s[2:3], 8
	s_add_u32 s2, s0, s2
	s_mov_b32 s7, 0
	s_addc_u32 s3, s1, s3
	s_lshl_b64 s[0:1], s[6:7], 8
	s_add_u32 s0, s2, s0
	s_addc_u32 s1, s3, s1
	global_store_short_d16_hi v2, v0, s[0:1]
	s_endpgm
.LBB304_23:
	s_mov_b64 s[8:9], 0
	s_branch .LBB304_2
.LBB304_24:
	v_mov_b32_e32 v1, 1.0
	s_andn2_b64 vcc, exec, s[18:19]
	s_cbranch_vccz .LBB304_17
	s_branch .LBB304_18
	.section	.rodata,"a",@progbits
	.p2align	6, 0x0
	.amdhsa_kernel _Z35paged_attention_ll4mi_reduce_kernelI14__hip_bfloat16S0_Li128ELi128ELi256ELi1EEvPT0_PKfS4_PKT_PKiS9_iS4_
		.amdhsa_group_segment_fixed_size 260
		.amdhsa_private_segment_fixed_size 0
		.amdhsa_kernarg_size 320
		.amdhsa_user_sgpr_count 6
		.amdhsa_user_sgpr_private_segment_buffer 1
		.amdhsa_user_sgpr_dispatch_ptr 0
		.amdhsa_user_sgpr_queue_ptr 0
		.amdhsa_user_sgpr_kernarg_segment_ptr 1
		.amdhsa_user_sgpr_dispatch_id 0
		.amdhsa_user_sgpr_flat_scratch_init 0
		.amdhsa_user_sgpr_kernarg_preload_length 0
		.amdhsa_user_sgpr_kernarg_preload_offset 0
		.amdhsa_user_sgpr_private_segment_size 0
		.amdhsa_uses_dynamic_stack 0
		.amdhsa_system_sgpr_private_segment_wavefront_offset 0
		.amdhsa_system_sgpr_workgroup_id_x 1
		.amdhsa_system_sgpr_workgroup_id_y 1
		.amdhsa_system_sgpr_workgroup_id_z 0
		.amdhsa_system_sgpr_workgroup_info 0
		.amdhsa_system_vgpr_workitem_id 0
		.amdhsa_next_free_vgpr 115
		.amdhsa_next_free_sgpr 30
		.amdhsa_accum_offset 116
		.amdhsa_reserve_vcc 1
		.amdhsa_reserve_flat_scratch 0
		.amdhsa_float_round_mode_32 0
		.amdhsa_float_round_mode_16_64 0
		.amdhsa_float_denorm_mode_32 3
		.amdhsa_float_denorm_mode_16_64 3
		.amdhsa_dx10_clamp 1
		.amdhsa_ieee_mode 1
		.amdhsa_fp16_overflow 0
		.amdhsa_tg_split 0
		.amdhsa_exception_fp_ieee_invalid_op 0
		.amdhsa_exception_fp_denorm_src 0
		.amdhsa_exception_fp_ieee_div_zero 0
		.amdhsa_exception_fp_ieee_overflow 0
		.amdhsa_exception_fp_ieee_underflow 0
		.amdhsa_exception_fp_ieee_inexact 0
		.amdhsa_exception_int_div_zero 0
	.end_amdhsa_kernel
	.section	.text._Z35paged_attention_ll4mi_reduce_kernelI14__hip_bfloat16S0_Li128ELi128ELi256ELi1EEvPT0_PKfS4_PKT_PKiS9_iS4_,"axG",@progbits,_Z35paged_attention_ll4mi_reduce_kernelI14__hip_bfloat16S0_Li128ELi128ELi256ELi1EEvPT0_PKfS4_PKT_PKiS9_iS4_,comdat
.Lfunc_end304:
	.size	_Z35paged_attention_ll4mi_reduce_kernelI14__hip_bfloat16S0_Li128ELi128ELi256ELi1EEvPT0_PKfS4_PKT_PKiS9_iS4_, .Lfunc_end304-_Z35paged_attention_ll4mi_reduce_kernelI14__hip_bfloat16S0_Li128ELi128ELi256ELi1EEvPT0_PKfS4_PKT_PKiS9_iS4_
                                        ; -- End function
	.section	.AMDGPU.csdata,"",@progbits
; Kernel info:
; codeLenInByte = 5284
; NumSgprs: 34
; NumVgprs: 115
; NumAgprs: 0
; TotalNumVgprs: 115
; ScratchSize: 0
; MemoryBound: 0
; FloatMode: 240
; IeeeMode: 1
; LDSByteSize: 260 bytes/workgroup (compile time only)
; SGPRBlocks: 4
; VGPRBlocks: 14
; NumSGPRsForWavesPerEU: 34
; NumVGPRsForWavesPerEU: 115
; AccumOffset: 116
; Occupancy: 4
; WaveLimiterHint : 1
; COMPUTE_PGM_RSRC2:SCRATCH_EN: 0
; COMPUTE_PGM_RSRC2:USER_SGPR: 6
; COMPUTE_PGM_RSRC2:TRAP_HANDLER: 0
; COMPUTE_PGM_RSRC2:TGID_X_EN: 1
; COMPUTE_PGM_RSRC2:TGID_Y_EN: 1
; COMPUTE_PGM_RSRC2:TGID_Z_EN: 0
; COMPUTE_PGM_RSRC2:TIDIG_COMP_CNT: 0
; COMPUTE_PGM_RSRC3_GFX90A:ACCUM_OFFSET: 28
; COMPUTE_PGM_RSRC3_GFX90A:TG_SPLIT: 0
	.section	.text._Z35paged_attention_ll4mi_reduce_kernelI14__hip_bfloat16S0_Li128ELi128ELi256ELi2EEvPT0_PKfS4_PKT_PKiS9_iS4_,"axG",@progbits,_Z35paged_attention_ll4mi_reduce_kernelI14__hip_bfloat16S0_Li128ELi128ELi256ELi2EEvPT0_PKfS4_PKT_PKiS9_iS4_,comdat
	.protected	_Z35paged_attention_ll4mi_reduce_kernelI14__hip_bfloat16S0_Li128ELi128ELi256ELi2EEvPT0_PKfS4_PKT_PKiS9_iS4_ ; -- Begin function _Z35paged_attention_ll4mi_reduce_kernelI14__hip_bfloat16S0_Li128ELi128ELi256ELi2EEvPT0_PKfS4_PKT_PKiS9_iS4_
	.globl	_Z35paged_attention_ll4mi_reduce_kernelI14__hip_bfloat16S0_Li128ELi128ELi256ELi2EEvPT0_PKfS4_PKT_PKiS9_iS4_
	.p2align	8
	.type	_Z35paged_attention_ll4mi_reduce_kernelI14__hip_bfloat16S0_Li128ELi128ELi256ELi2EEvPT0_PKfS4_PKT_PKiS9_iS4_,@function
_Z35paged_attention_ll4mi_reduce_kernelI14__hip_bfloat16S0_Li128ELi128ELi256ELi2EEvPT0_PKfS4_PKT_PKiS9_iS4_: ; @_Z35paged_attention_ll4mi_reduce_kernelI14__hip_bfloat16S0_Li128ELi128ELi256ELi2EEvPT0_PKfS4_PKT_PKiS9_iS4_
; %bb.0:
	s_load_dwordx2 s[18:19], s[4:5], 0x28
	s_mov_b32 s16, s7
	s_mov_b64 s[0:1], 0
	s_waitcnt lgkmcnt(0)
	s_cmp_lg_u64 s[18:19], 0
	s_cselect_b64 s[20:21], -1, 0
	s_and_b64 vcc, exec, s[20:21]
	s_cbranch_vccz .LBB305_25
; %bb.1:
	s_add_i32 s2, s16, 1
	s_mov_b32 s3, 0
	s_lshl_b64 s[8:9], s[2:3], 2
	s_add_u32 s8, s18, s8
	s_mov_b32 s17, s3
	s_addc_u32 s9, s19, s9
	s_lshl_b64 s[2:3], s[16:17], 2
	s_add_u32 s2, s18, s2
	s_addc_u32 s3, s19, s3
	s_load_dword s7, s[8:9], 0x0
	s_load_dword s10, s[2:3], 0x0
	s_waitcnt lgkmcnt(0)
	s_sub_i32 s2, s7, s10
	s_cmp_eq_u32 s2, 1
	s_cselect_b64 s[2:3], -1, 0
	s_andn2_b64 vcc, exec, s[0:1]
	s_cbranch_vccnz .LBB305_3
.LBB305_2:
	s_mov_b32 s17, 0
	s_mov_b64 s[2:3], -1
.LBB305_3:
	s_andn2_b64 vcc, exec, s[2:3]
	s_cbranch_vccz .LBB305_5
; %bb.4:
	s_endpgm
.LBB305_5:
	s_load_dwordx4 s[8:11], s[4:5], 0x18
	s_load_dword s12, s[4:5], 0x30
	s_lshl_b64 s[22:23], s[16:17], 2
	v_cmp_lt_u32_e32 vcc, 63, v0
	s_waitcnt lgkmcnt(0)
	s_add_u32 s0, s10, s22
	s_addc_u32 s1, s11, s23
	s_load_dword s28, s[0:1], 0x0
	s_load_dword s7, s[4:5], 0x40
	s_mul_i32 s10, s6, s12
	s_mul_i32 s2, s16, s12
	s_waitcnt lgkmcnt(0)
	s_add_i32 s3, s28, 0xff
	s_ashr_i32 s0, s3, 31
	s_lshr_b32 s0, s0, 24
	s_add_i32 s3, s3, s0
	s_and_saveexec_b64 s[0:1], vcc
	s_xor_b64 s[0:1], exec, s[0:1]
	s_or_saveexec_b64 s[24:25], s[0:1]
	s_ashr_i32 s29, s3, 8
	v_mov_b32_e32 v1, s10
	s_mul_i32 s26, s2, s7
	s_xor_b64 exec, exec, s[24:25]
	s_cbranch_execz .LBB305_9
; %bb.6:
	s_load_dwordx4 s[12:15], s[4:5], 0x8
	s_mov_b32 s27, 0
	s_add_i32 s0, s29, -1
	s_lshl_b64 s[30:31], s[26:27], 2
	s_mov_b32 s11, s27
	v_mov_b32_e32 v1, s0
	v_cmp_gt_u32_e32 vcc, s29, v0
	v_or_b32_e32 v3, 64, v0
	s_waitcnt lgkmcnt(0)
	s_add_u32 s2, s14, s30
	v_cndmask_b32_e32 v2, v1, v0, vcc
	v_cmp_gt_u32_e64 s[0:1], s29, v3
	s_addc_u32 s3, s15, s31
	s_lshl_b64 s[14:15], s[10:11], 2
	v_cndmask_b32_e64 v4, v1, v3, s[0:1]
	s_add_u32 s11, s2, s14
	v_ashrrev_i32_e32 v3, 31, v2
	s_addc_u32 s27, s3, s15
	v_lshlrev_b64 v[2:3], 2, v[2:3]
	v_mov_b32_e32 v1, s27
	v_add_co_u32_e64 v6, s[2:3], s11, v2
	v_ashrrev_i32_e32 v5, 31, v4
	v_addc_co_u32_e64 v7, s[2:3], v1, v3, s[2:3]
	v_lshlrev_b64 v[4:5], 2, v[4:5]
	v_add_co_u32_e64 v8, s[2:3], s11, v4
	v_addc_co_u32_e64 v9, s[2:3], v1, v5, s[2:3]
	global_load_dword v1, v[8:9], off
	global_load_dword v10, v[6:7], off
	v_mbcnt_lo_u32_b32 v6, -1, 0
	v_mbcnt_hi_u32_b32 v6, -1, v6
	v_and_b32_e32 v7, 64, v6
	v_xor_b32_e32 v8, 32, v6
	v_add_u32_e32 v7, 64, v7
	v_cmp_lt_i32_e64 s[2:3], v8, v7
	v_cndmask_b32_e64 v8, v6, v8, s[2:3]
	s_add_u32 s2, s12, s30
	s_addc_u32 s3, s13, s31
	s_add_u32 s11, s2, s14
	s_addc_u32 s2, s3, s15
	v_mov_b32_e32 v9, s2
	v_mov_b32_e32 v11, s2
	v_add_co_u32_e64 v2, s[2:3], s11, v2
	v_addc_co_u32_e64 v3, s[2:3], v9, v3, s[2:3]
	v_add_co_u32_e64 v4, s[2:3], s11, v4
	v_addc_co_u32_e64 v5, s[2:3], v11, v5, s[2:3]
	global_load_dword v9, v[2:3], off
	global_load_dword v11, v[4:5], off
	v_lshlrev_b32_e32 v2, 2, v8
	v_xor_b32_e32 v5, 16, v6
	v_cmp_lt_i32_e64 s[2:3], v5, v7
	v_cndmask_b32_e64 v5, v6, v5, s[2:3]
	v_lshlrev_b32_e32 v5, 2, v5
	v_xor_b32_e32 v8, 8, v6
	v_cmp_lt_i32_e64 s[2:3], v8, v7
	v_cndmask_b32_e64 v8, v6, v8, s[2:3]
	;; [unrolled: 4-line block ×5, first 2 shown]
	v_lshlrev_b32_e32 v6, 2, v6
	s_mov_b32 s2, 0x3fb8aa3b
	s_mov_b32 s11, 0xc2ce8ed0
	;; [unrolled: 1-line block ×3, first 2 shown]
	s_waitcnt vmcnt(3)
	v_max_f32_e32 v3, v1, v1
	s_waitcnt vmcnt(2)
	v_max_f32_e32 v4, v10, v10
	v_max_f32_e32 v3, v4, v3
	ds_bpermute_b32 v4, v2, v3
	s_waitcnt lgkmcnt(0)
	v_max_f32_e32 v4, v4, v4
	v_max_f32_e32 v3, v3, v4
	ds_bpermute_b32 v4, v5, v3
	s_waitcnt lgkmcnt(0)
	;; [unrolled: 4-line block ×6, first 2 shown]
	v_max_f32_e32 v4, v4, v4
	v_max_f32_e32 v3, v3, v4
	v_sub_f32_e32 v4, v10, v3
	v_sub_f32_e32 v1, v1, v3
	v_mul_f32_e32 v3, 0x3fb8aa3b, v4
	v_mul_f32_e32 v7, 0x3fb8aa3b, v1
	v_fma_f32 v10, v4, s2, -v3
	v_rndne_f32_e32 v14, v3
	v_fma_f32 v15, v1, s2, -v7
	v_rndne_f32_e32 v16, v7
	v_fmac_f32_e32 v10, 0x32a5705f, v4
	v_sub_f32_e32 v3, v3, v14
	v_fmac_f32_e32 v15, 0x32a5705f, v1
	v_sub_f32_e32 v7, v7, v16
	v_add_f32_e32 v3, v3, v10
	v_cvt_i32_f32_e32 v14, v14
	v_add_f32_e32 v7, v7, v15
	v_exp_f32_e32 v3, v3
	v_cvt_i32_f32_e32 v16, v16
	v_exp_f32_e32 v7, v7
	v_cmp_ngt_f32_e64 s[2:3], s11, v4
	v_ldexp_f32 v3, v3, v14
	v_cndmask_b32_e64 v3, 0, v3, s[2:3]
	v_ldexp_f32 v7, v7, v16
	v_cmp_ngt_f32_e64 s[2:3], s11, v1
	v_mov_b32_e32 v10, 0x7f800000
	v_cndmask_b32_e64 v7, 0, v7, s[2:3]
	v_cmp_nlt_f32_e64 s[2:3], s12, v4
	v_cndmask_b32_e64 v3, v10, v3, s[2:3]
	v_cmp_nlt_f32_e64 s[2:3], s12, v1
	v_cndmask_b32_e64 v1, v10, v7, s[2:3]
	v_cndmask_b32_e32 v3, 0, v3, vcc
	v_cndmask_b32_e64 v1, 0, v1, s[0:1]
	v_lshlrev_b32_e32 v15, 2, v0
	s_waitcnt vmcnt(1)
	v_mul_f32_e32 v3, v9, v3
	s_waitcnt vmcnt(0)
	v_mul_f32_e32 v4, v11, v1
	ds_write2st64_b32 v15, v3, v4 offset1:1
	v_fmac_f32_e32 v3, v11, v1
	ds_bpermute_b32 v1, v2, v3
	v_cmp_eq_u32_e32 vcc, 0, v0
	s_waitcnt lgkmcnt(0)
	v_add_f32_e32 v1, v3, v1
	ds_bpermute_b32 v2, v5, v1
	s_waitcnt lgkmcnt(0)
	v_add_f32_e32 v1, v1, v2
	ds_bpermute_b32 v2, v8, v1
	;; [unrolled: 3-line block ×5, first 2 shown]
	s_and_saveexec_b64 s[0:1], vcc
	s_cbranch_execz .LBB305_8
; %bb.7:
	s_waitcnt lgkmcnt(0)
	v_add_f32_e32 v1, v1, v2
	v_mov_b32_e32 v2, 0
	ds_write_b32 v2, v1 offset:512
.LBB305_8:
	s_or_b64 exec, exec, s[0:1]
	v_mov_b32_e32 v1, s10
.LBB305_9:
	s_or_b64 exec, exec, s[24:25]
	s_lshl_b32 s0, s26, 7
	s_mov_b32 s1, 0
	s_lshl_b64 s[0:1], s[0:1], 1
	s_add_u32 s0, s8, s0
	s_addc_u32 s1, s9, s1
	s_lshl_b32 s8, s29, 7
	s_waitcnt lgkmcnt(0)
	v_lshlrev_b32_e32 v2, 7, v1
	v_mov_b32_e32 v3, 0
	s_addk_i32 s8, 0xff80
	v_lshlrev_b64 v[4:5], 1, v[2:3]
	s_cmp_lt_i32 s28, 1
	v_mov_b32_e32 v1, s1
	v_add_co_u32_e32 v2, vcc, s0, v4
	s_cselect_b32 s0, s8, 0
	v_addc_co_u32_e32 v1, vcc, v1, v5, vcc
	v_lshlrev_b32_e32 v116, 1, v0
	s_ashr_i32 s1, s0, 31
	v_add_co_u32_e32 v117, vcc, v2, v116
	s_lshl_b64 s[0:1], s[0:1], 1
	v_addc_co_u32_e32 v118, vcc, 0, v1, vcc
	s_cmpk_lt_i32 s28, 0x101
	v_add_co_u32_e32 v0, vcc, s0, v117
	s_cselect_b32 s0, s8, 0x80
	v_mov_b32_e32 v1, s1
	s_ashr_i32 s1, s0, 31
	s_lshl_b64 s[0:1], s[0:1], 1
	v_addc_co_u32_e32 v1, vcc, v118, v1, vcc
	s_cmpk_lt_i32 s28, 0x201
	v_add_co_u32_e32 v4, vcc, s0, v117
	s_cselect_b32 s0, s8, 0x100
	v_mov_b32_e32 v2, s1
	s_ashr_i32 s1, s0, 31
	s_lshl_b64 s[0:1], s[0:1], 1
	v_addc_co_u32_e32 v5, vcc, v118, v2, vcc
	s_cmpk_lt_i32 s28, 0x301
	v_add_co_u32_e32 v6, vcc, s0, v117
	s_cselect_b32 s0, s8, 0x180
	v_mov_b32_e32 v2, s1
	s_ashr_i32 s1, s0, 31
	s_lshl_b64 s[0:1], s[0:1], 1
	v_addc_co_u32_e32 v7, vcc, v118, v2, vcc
	s_cmpk_lt_i32 s28, 0x401
	v_add_co_u32_e32 v8, vcc, s0, v117
	s_cselect_b32 s0, s8, 0x200
	v_mov_b32_e32 v2, s1
	s_ashr_i32 s1, s0, 31
	s_lshl_b64 s[0:1], s[0:1], 1
	v_addc_co_u32_e32 v9, vcc, v118, v2, vcc
	s_cmpk_lt_i32 s28, 0x501
	v_add_co_u32_e32 v10, vcc, s0, v117
	s_cselect_b32 s0, s8, 0x280
	v_mov_b32_e32 v2, s1
	s_ashr_i32 s1, s0, 31
	s_lshl_b64 s[0:1], s[0:1], 1
	v_addc_co_u32_e32 v11, vcc, v118, v2, vcc
	s_cmpk_lt_i32 s28, 0x601
	v_add_co_u32_e32 v12, vcc, s0, v117
	s_cselect_b32 s0, s8, 0x300
	v_mov_b32_e32 v2, s1
	s_ashr_i32 s1, s0, 31
	s_lshl_b64 s[0:1], s[0:1], 1
	v_addc_co_u32_e32 v13, vcc, v118, v2, vcc
	s_cmpk_lt_i32 s28, 0x701
	v_add_co_u32_e32 v14, vcc, s0, v117
	s_cselect_b32 s0, s8, 0x380
	v_mov_b32_e32 v2, s1
	s_ashr_i32 s1, s0, 31
	s_lshl_b64 s[0:1], s[0:1], 1
	v_addc_co_u32_e32 v15, vcc, v118, v2, vcc
	s_cmpk_lt_i32 s28, 0x801
	v_add_co_u32_e32 v16, vcc, s0, v117
	s_cselect_b32 s0, s8, 0x400
	v_mov_b32_e32 v2, s1
	s_ashr_i32 s1, s0, 31
	s_lshl_b64 s[0:1], s[0:1], 1
	v_addc_co_u32_e32 v17, vcc, v118, v2, vcc
	s_cmpk_lt_i32 s28, 0x901
	global_load_ushort v42, v[0:1], off
	global_load_ushort v41, v[4:5], off
	global_load_ushort v40, v[6:7], off
	global_load_ushort v39, v[8:9], off
	global_load_ushort v37, v[10:11], off
	global_load_ushort v38, v[12:13], off
	global_load_ushort v2, v[14:15], off
	global_load_ushort v36, v[16:17], off
	v_add_co_u32_e32 v0, vcc, s0, v117
	s_cselect_b32 s0, s8, 0x480
	v_mov_b32_e32 v1, s1
	s_ashr_i32 s1, s0, 31
	s_lshl_b64 s[0:1], s[0:1], 1
	v_addc_co_u32_e32 v1, vcc, v118, v1, vcc
	s_cmpk_lt_i32 s28, 0xa01
	v_add_co_u32_e32 v4, vcc, s0, v117
	s_cselect_b32 s0, s8, 0x500
	v_mov_b32_e32 v5, s1
	s_ashr_i32 s1, s0, 31
	s_lshl_b64 s[0:1], s[0:1], 1
	v_addc_co_u32_e32 v5, vcc, v118, v5, vcc
	s_cmpk_lt_i32 s28, 0xb01
	;; [unrolled: 7-line block ×6, first 2 shown]
	v_add_co_u32_e32 v14, vcc, s0, v117
	s_cselect_b32 s0, s8, 0x780
	v_mov_b32_e32 v15, s1
	s_ashr_i32 s1, s0, 31
	v_addc_co_u32_e32 v15, vcc, v118, v15, vcc
	s_lshl_b64 s[0:1], s[0:1], 1
	v_mov_b32_e32 v17, s1
	v_add_co_u32_e32 v16, vcc, s0, v117
	v_addc_co_u32_e32 v17, vcc, v118, v17, vcc
	global_load_ushort v49, v[0:1], off
	global_load_ushort v50, v[4:5], off
	;; [unrolled: 1-line block ×8, first 2 shown]
	s_cmpk_gt_i32 s28, 0x1000
	s_cselect_b64 s[0:1], -1, 0
	s_cmpk_lt_i32 s28, 0x1001
	v_mov_b32_e32 v59, 0
	v_mov_b32_e32 v60, 0
	;; [unrolled: 1-line block ×48, first 2 shown]
	s_barrier
	s_cbranch_scc1 .LBB305_12
; %bb.10:
	s_cmpk_lt_u32 s28, 0x1101
	s_cselect_b32 s2, s8, 0x880
	s_ashr_i32 s3, s2, 31
	v_add_co_u32_e32 v0, vcc, 0x1000, v117
	s_lshl_b64 s[2:3], s[2:3], 1
	v_addc_co_u32_e32 v1, vcc, 0, v118, vcc
	s_cmpk_lt_u32 s28, 0x1201
	v_add_co_u32_e32 v4, vcc, s2, v117
	s_cselect_b32 s2, s8, 0x900
	v_mov_b32_e32 v5, s3
	s_ashr_i32 s3, s2, 31
	s_lshl_b64 s[2:3], s[2:3], 1
	v_addc_co_u32_e32 v5, vcc, v118, v5, vcc
	s_cmpk_lt_u32 s28, 0x1301
	v_add_co_u32_e32 v6, vcc, s2, v117
	s_cselect_b32 s2, s8, 0x980
	v_mov_b32_e32 v7, s3
	s_ashr_i32 s3, s2, 31
	;; [unrolled: 7-line block ×7, first 2 shown]
	s_lshl_b64 s[2:3], s[2:3], 1
	v_addc_co_u32_e32 v17, vcc, v118, v17, vcc
	s_cmpk_lt_u32 s28, 0x1901
	global_load_ushort v58, v[0:1], off
	global_load_ushort v57, v[4:5], off
	;; [unrolled: 1-line block ×8, first 2 shown]
	v_add_co_u32_e32 v0, vcc, s2, v117
	s_cselect_b32 s2, s8, 0xc80
	v_mov_b32_e32 v1, s3
	s_ashr_i32 s3, s2, 31
	s_lshl_b64 s[2:3], s[2:3], 1
	v_addc_co_u32_e32 v1, vcc, v118, v1, vcc
	s_cmpk_lt_u32 s28, 0x1a01
	v_add_co_u32_e32 v4, vcc, s2, v117
	s_cselect_b32 s2, s8, 0xd00
	v_mov_b32_e32 v5, s3
	s_ashr_i32 s3, s2, 31
	s_lshl_b64 s[2:3], s[2:3], 1
	v_addc_co_u32_e32 v5, vcc, v118, v5, vcc
	s_cmpk_lt_u32 s28, 0x1b01
	;; [unrolled: 7-line block ×6, first 2 shown]
	v_add_co_u32_e32 v14, vcc, s2, v117
	s_cselect_b32 s2, s8, 0xf80
	v_mov_b32_e32 v15, s3
	s_ashr_i32 s3, s2, 31
	v_addc_co_u32_e32 v15, vcc, v118, v15, vcc
	s_lshl_b64 s[2:3], s[2:3], 1
	v_mov_b32_e32 v17, s3
	v_add_co_u32_e32 v16, vcc, s2, v117
	v_addc_co_u32_e32 v17, vcc, v118, v17, vcc
	global_load_ushort v66, v[0:1], off
	global_load_ushort v65, v[4:5], off
	;; [unrolled: 1-line block ×8, first 2 shown]
	s_cmpk_lt_u32 s28, 0x2001
	v_mov_b32_e32 v33, 0
	v_mov_b32_e32 v31, 0
	;; [unrolled: 1-line block ×32, first 2 shown]
	s_cbranch_scc1 .LBB305_12
; %bb.11:
	s_cmpk_lt_u32 s28, 0x2101
	s_cselect_b32 s2, s8, 0x1080
	s_ashr_i32 s3, s2, 31
	s_lshl_b64 s[2:3], s[2:3], 1
	s_cmpk_lt_u32 s28, 0x2201
	v_add_co_u32_e32 v0, vcc, s2, v117
	s_cselect_b32 s2, s8, 0x1100
	v_mov_b32_e32 v1, s3
	s_ashr_i32 s3, s2, 31
	s_lshl_b64 s[2:3], s[2:3], 1
	v_addc_co_u32_e32 v1, vcc, v118, v1, vcc
	s_cmpk_lt_u32 s28, 0x2301
	v_add_co_u32_e32 v4, vcc, s2, v117
	s_cselect_b32 s2, s8, 0x1180
	v_mov_b32_e32 v5, s3
	s_ashr_i32 s3, s2, 31
	s_lshl_b64 s[2:3], s[2:3], 1
	v_addc_co_u32_e32 v5, vcc, v118, v5, vcc
	s_cmpk_lt_u32 s28, 0x2401
	v_add_co_u32_e32 v6, vcc, s2, v117
	s_cselect_b32 s2, s8, 0x1200
	v_mov_b32_e32 v7, s3
	s_ashr_i32 s3, s2, 31
	s_lshl_b64 s[2:3], s[2:3], 1
	v_addc_co_u32_e32 v7, vcc, v118, v7, vcc
	s_cmpk_lt_u32 s28, 0x2501
	v_add_co_u32_e32 v8, vcc, s2, v117
	s_cselect_b32 s2, s8, 0x1280
	v_mov_b32_e32 v9, s3
	s_ashr_i32 s3, s2, 31
	s_lshl_b64 s[2:3], s[2:3], 1
	v_addc_co_u32_e32 v9, vcc, v118, v9, vcc
	s_cmpk_lt_u32 s28, 0x2601
	v_add_co_u32_e32 v10, vcc, s2, v117
	s_cselect_b32 s2, s8, 0x1300
	v_mov_b32_e32 v11, s3
	s_ashr_i32 s3, s2, 31
	s_lshl_b64 s[2:3], s[2:3], 1
	v_addc_co_u32_e32 v11, vcc, v118, v11, vcc
	s_cmpk_lt_u32 s28, 0x2701
	v_add_co_u32_e32 v12, vcc, s2, v117
	s_cselect_b32 s2, s8, 0x1380
	v_mov_b32_e32 v13, s3
	s_ashr_i32 s3, s2, 31
	s_lshl_b64 s[2:3], s[2:3], 1
	v_addc_co_u32_e32 v13, vcc, v118, v13, vcc
	s_cmpk_lt_u32 s28, 0x2801
	v_add_co_u32_e32 v14, vcc, s2, v117
	s_cselect_b32 s2, s8, 0x1400
	v_mov_b32_e32 v15, s3
	s_ashr_i32 s3, s2, 31
	s_lshl_b64 s[2:3], s[2:3], 1
	v_addc_co_u32_e32 v15, vcc, v118, v15, vcc
	s_cmpk_lt_u32 s28, 0x2901
	v_add_co_u32_e32 v16, vcc, s2, v117
	s_cselect_b32 s2, s8, 0x1480
	v_mov_b32_e32 v17, s3
	s_ashr_i32 s3, s2, 31
	s_lshl_b64 s[2:3], s[2:3], 1
	v_addc_co_u32_e32 v17, vcc, v118, v17, vcc
	s_cmpk_lt_u32 s28, 0x2a01
	v_add_co_u32_e32 v18, vcc, s2, v117
	s_cselect_b32 s2, s8, 0x1500
	v_mov_b32_e32 v19, s3
	s_ashr_i32 s3, s2, 31
	s_lshl_b64 s[2:3], s[2:3], 1
	v_addc_co_u32_e32 v19, vcc, v118, v19, vcc
	s_cmpk_lt_u32 s28, 0x2b01
	v_add_co_u32_e32 v20, vcc, s2, v117
	s_cselect_b32 s2, s8, 0x1580
	v_mov_b32_e32 v21, s3
	s_ashr_i32 s3, s2, 31
	s_lshl_b64 s[2:3], s[2:3], 1
	v_addc_co_u32_e32 v21, vcc, v118, v21, vcc
	s_cmpk_lt_u32 s28, 0x2c01
	v_add_co_u32_e32 v24, vcc, s2, v117
	s_cselect_b32 s2, s8, 0x1600
	v_mov_b32_e32 v22, s3
	s_ashr_i32 s3, s2, 31
	s_lshl_b64 s[2:3], s[2:3], 1
	v_addc_co_u32_e32 v25, vcc, v118, v22, vcc
	s_cmpk_lt_u32 s28, 0x2d01
	v_add_co_u32_e32 v28, vcc, s2, v117
	s_cselect_b32 s2, s8, 0x1680
	v_mov_b32_e32 v22, s3
	s_ashr_i32 s3, s2, 31
	s_lshl_b64 s[2:3], s[2:3], 1
	v_addc_co_u32_e32 v29, vcc, v118, v22, vcc
	s_cmpk_lt_u32 s28, 0x2e01
	v_add_co_u32_e32 v32, vcc, s2, v117
	s_cselect_b32 s2, s8, 0x1700
	v_mov_b32_e32 v22, s3
	s_ashr_i32 s3, s2, 31
	s_lshl_b64 s[2:3], s[2:3], 1
	v_addc_co_u32_e32 v33, vcc, v118, v22, vcc
	s_cmpk_lt_u32 s28, 0x2f01
	v_add_co_u32_e32 v68, vcc, s2, v117
	s_cselect_b32 s2, s8, 0x1780
	v_mov_b32_e32 v22, s3
	s_ashr_i32 s3, s2, 31
	s_lshl_b64 s[2:3], s[2:3], 1
	v_addc_co_u32_e32 v69, vcc, v118, v22, vcc
	s_cmpk_lt_u32 s28, 0x3001
	v_add_co_u32_e32 v22, vcc, s2, v117
	s_cselect_b32 s2, s8, 0x1800
	v_mov_b32_e32 v23, s3
	s_ashr_i32 s3, s2, 31
	s_lshl_b64 s[2:3], s[2:3], 1
	v_addc_co_u32_e32 v23, vcc, v118, v23, vcc
	s_cmpk_lt_u32 s28, 0x3101
	v_add_co_u32_e32 v26, vcc, s2, v117
	s_cselect_b32 s2, s8, 0x1880
	v_mov_b32_e32 v27, s3
	s_ashr_i32 s3, s2, 31
	s_lshl_b64 s[2:3], s[2:3], 1
	v_addc_co_u32_e32 v27, vcc, v118, v27, vcc
	s_cmpk_lt_u32 s28, 0x3201
	v_add_co_u32_e32 v30, vcc, s2, v117
	s_cselect_b32 s2, s8, 0x1900
	v_mov_b32_e32 v31, s3
	s_ashr_i32 s3, s2, 31
	s_lshl_b64 s[2:3], s[2:3], 1
	v_addc_co_u32_e32 v31, vcc, v118, v31, vcc
	s_cmpk_lt_u32 s28, 0x3301
	v_add_co_u32_e32 v34, vcc, s2, v117
	s_cselect_b32 s2, s8, 0x1980
	v_mov_b32_e32 v35, s3
	s_ashr_i32 s3, s2, 31
	s_lshl_b64 s[2:3], s[2:3], 1
	v_addc_co_u32_e32 v35, vcc, v118, v35, vcc
	s_cmpk_lt_u32 s28, 0x3401
	v_add_co_u32_e32 v70, vcc, s2, v117
	s_cselect_b32 s2, s8, 0x1a00
	v_mov_b32_e32 v67, s3
	s_ashr_i32 s3, s2, 31
	s_lshl_b64 s[2:3], s[2:3], 1
	v_addc_co_u32_e32 v71, vcc, v118, v67, vcc
	s_cmpk_lt_u32 s28, 0x3501
	v_add_co_u32_e32 v72, vcc, s2, v117
	s_cselect_b32 s2, s8, 0x1a80
	v_mov_b32_e32 v67, s3
	s_ashr_i32 s3, s2, 31
	s_lshl_b64 s[2:3], s[2:3], 1
	v_addc_co_u32_e32 v73, vcc, v118, v67, vcc
	s_cmpk_lt_u32 s28, 0x3601
	v_add_co_u32_e32 v74, vcc, s2, v117
	s_cselect_b32 s2, s8, 0x1b00
	v_mov_b32_e32 v67, s3
	s_ashr_i32 s3, s2, 31
	s_lshl_b64 s[2:3], s[2:3], 1
	v_addc_co_u32_e32 v75, vcc, v118, v67, vcc
	s_cmpk_lt_u32 s28, 0x3701
	v_add_co_u32_e32 v76, vcc, s2, v117
	s_cselect_b32 s2, s8, 0x1b80
	v_mov_b32_e32 v67, s3
	s_ashr_i32 s3, s2, 31
	s_lshl_b64 s[2:3], s[2:3], 1
	v_addc_co_u32_e32 v77, vcc, v118, v67, vcc
	s_cmpk_lt_u32 s28, 0x3801
	v_add_co_u32_e32 v78, vcc, s2, v117
	s_cselect_b32 s2, s8, 0x1c00
	v_mov_b32_e32 v67, s3
	s_ashr_i32 s3, s2, 31
	s_lshl_b64 s[2:3], s[2:3], 1
	v_addc_co_u32_e32 v79, vcc, v118, v67, vcc
	s_cmpk_lt_u32 s28, 0x3901
	v_add_co_u32_e32 v80, vcc, s2, v117
	s_cselect_b32 s2, s8, 0x1c80
	v_mov_b32_e32 v67, s3
	s_ashr_i32 s3, s2, 31
	s_lshl_b64 s[2:3], s[2:3], 1
	v_addc_co_u32_e32 v81, vcc, v118, v67, vcc
	s_cmpk_lt_u32 s28, 0x3a01
	v_add_co_u32_e32 v82, vcc, s2, v117
	s_cselect_b32 s2, s8, 0x1d00
	v_mov_b32_e32 v67, s3
	s_ashr_i32 s3, s2, 31
	s_lshl_b64 s[2:3], s[2:3], 1
	v_addc_co_u32_e32 v83, vcc, v118, v67, vcc
	s_cmpk_lt_u32 s28, 0x3b01
	v_add_co_u32_e32 v84, vcc, s2, v117
	s_cselect_b32 s2, s8, 0x1d80
	v_mov_b32_e32 v67, s3
	s_ashr_i32 s3, s2, 31
	s_lshl_b64 s[2:3], s[2:3], 1
	v_addc_co_u32_e32 v85, vcc, v118, v67, vcc
	s_cmpk_lt_u32 s28, 0x3c01
	v_add_co_u32_e32 v86, vcc, s2, v117
	s_cselect_b32 s2, s8, 0x1e00
	v_mov_b32_e32 v67, s3
	s_ashr_i32 s3, s2, 31
	s_lshl_b64 s[2:3], s[2:3], 1
	v_addc_co_u32_e32 v87, vcc, v118, v67, vcc
	s_cmpk_lt_u32 s28, 0x3d01
	v_add_co_u32_e32 v88, vcc, s2, v117
	s_cselect_b32 s2, s8, 0x1e80
	v_mov_b32_e32 v67, s3
	s_ashr_i32 s3, s2, 31
	s_lshl_b64 s[2:3], s[2:3], 1
	v_addc_co_u32_e32 v89, vcc, v118, v67, vcc
	s_cmpk_lt_u32 s28, 0x3e01
	v_add_co_u32_e32 v90, vcc, s2, v117
	s_cselect_b32 s2, s8, 0x1f00
	v_mov_b32_e32 v67, s3
	s_ashr_i32 s3, s2, 31
	s_lshl_b64 s[2:3], s[2:3], 1
	v_addc_co_u32_e32 v91, vcc, v118, v67, vcc
	s_cmpk_lt_u32 s28, 0x3f01
	v_add_co_u32_e32 v92, vcc, s2, v117
	s_cselect_b32 s2, s8, 0x1f80
	v_mov_b32_e32 v67, s3
	s_ashr_i32 s3, s2, 31
	s_lshl_b64 s[2:3], s[2:3], 1
	v_addc_co_u32_e32 v93, vcc, v118, v67, vcc
	v_mov_b32_e32 v67, s3
	s_movk_i32 s3, 0x2000
	v_add_co_u32_e32 v94, vcc, s3, v117
	v_addc_co_u32_e32 v95, vcc, 0, v118, vcc
	global_load_ushort v96, v[94:95], off
	global_load_ushort v97, v[0:1], off
	;; [unrolled: 1-line block ×15, first 2 shown]
                                        ; kill: killed $vgpr68 killed $vgpr69
                                        ; kill: killed $vgpr12 killed $vgpr13
                                        ; kill: killed $vgpr18 killed $vgpr19
                                        ; kill: killed $vgpr0 killed $vgpr1
                                        ; kill: killed $vgpr28 killed $vgpr29
                                        ; kill: killed $vgpr8 killed $vgpr9
                                        ; kill: killed $vgpr14 killed $vgpr15
                                        ; kill: killed $vgpr20 killed $vgpr21
                                        ; kill: killed $vgpr4 killed $vgpr5
                                        ; kill: killed $vgpr94 killed $vgpr95
                                        ; kill: killed $vgpr32 killed $vgpr33
                                        ; kill: killed $vgpr10 killed $vgpr11
                                        ; kill: killed $vgpr16 killed $vgpr17
                                        ; kill: killed $vgpr24 killed $vgpr25
                                        ; kill: killed $vgpr6 killed $vgpr7
	global_load_ushort v4, v[22:23], off
	global_load_ushort v5, v[26:27], off
	;; [unrolled: 1-line block ×15, first 2 shown]
                                        ; kill: killed $vgpr92 killed $vgpr93
                                        ; kill: killed $vgpr76 killed $vgpr77
                                        ; kill: killed $vgpr82 killed $vgpr83
                                        ; kill: killed $vgpr30 killed $vgpr31
                                        ; kill: killed $vgpr88 killed $vgpr89
                                        ; kill: killed $vgpr72 killed $vgpr73
                                        ; kill: killed $vgpr78 killed $vgpr79
                                        ; kill: killed $vgpr22 killed $vgpr23
                                        ; kill: killed $vgpr34 killed $vgpr35
                                        ; kill: killed $vgpr90 killed $vgpr91
                                        ; kill: killed $vgpr74 killed $vgpr75
                                        ; kill: killed $vgpr80 killed $vgpr81
                                        ; kill: killed $vgpr26 killed $vgpr27
                                        ; kill: killed $vgpr86 killed $vgpr87
                                        ; kill: killed $vgpr70 killed $vgpr71
	global_load_ushort v34, v[84:85], off
	v_add_co_u32_e32 v0, vcc, s2, v117
	v_addc_co_u32_e32 v1, vcc, v118, v67, vcc
	global_load_ushort v1, v[0:1], off
	s_waitcnt vmcnt(31)
	v_lshlrev_b32_e32 v33, 16, v96
	s_waitcnt vmcnt(30)
	v_lshlrev_b32_e32 v31, 16, v97
	;; [unrolled: 2-line block ×32, first 2 shown]
.LBB305_12:
	ds_read_b128 v[68:71], v3
	s_waitcnt vmcnt(15)
	v_lshlrev_b32_e32 v34, 16, v42
	ds_read_b128 v[72:75], v3 offset:16
	ds_read_b128 v[76:79], v3 offset:32
	;; [unrolled: 1-line block ×3, first 2 shown]
	s_waitcnt vmcnt(10)
	v_lshlrev_b32_e32 v35, 16, v38
	s_andn2_b64 vcc, exec, s[0:1]
	s_waitcnt lgkmcnt(3)
	v_fma_f32 v42, v68, v34, 0
	v_lshlrev_b32_e32 v34, 16, v41
	v_fmac_f32_e32 v42, v69, v34
	v_lshlrev_b32_e32 v34, 16, v40
	v_fmac_f32_e32 v42, v70, v34
	v_lshlrev_b32_e32 v34, 16, v39
	v_fmac_f32_e32 v42, v71, v34
	v_lshlrev_b32_e32 v34, 16, v37
	s_waitcnt lgkmcnt(2)
	v_pk_mul_f32 v[34:35], v[72:73], v[34:35]
	v_add_f32_e32 v34, v42, v34
	v_add_f32_e32 v37, v34, v35
	s_waitcnt vmcnt(8)
	v_lshlrev_b32_e32 v35, 16, v36
	v_lshlrev_b32_e32 v34, 16, v2
	v_pk_mul_f32 v[34:35], v[74:75], v[34:35]
	v_add_f32_e32 v2, v37, v34
	v_add_f32_e32 v2, v2, v35
	s_waitcnt vmcnt(6)
	v_lshlrev_b32_e32 v35, 16, v50
	v_lshlrev_b32_e32 v34, 16, v49
	s_waitcnt lgkmcnt(1)
	v_pk_mul_f32 v[34:35], v[76:77], v[34:35]
	v_add_f32_e32 v2, v2, v34
	v_add_f32_e32 v2, v2, v35
	s_waitcnt vmcnt(4)
	v_lshlrev_b32_e32 v35, 16, v48
	v_lshlrev_b32_e32 v34, 16, v47
	v_pk_mul_f32 v[34:35], v[78:79], v[34:35]
	v_add_f32_e32 v2, v2, v34
	v_add_f32_e32 v2, v2, v35
	s_waitcnt vmcnt(2)
	v_lshlrev_b32_e32 v35, 16, v46
	v_lshlrev_b32_e32 v34, 16, v45
	s_waitcnt lgkmcnt(0)
	v_pk_mul_f32 v[34:35], v[80:81], v[34:35]
	v_add_f32_e32 v2, v2, v34
	v_add_f32_e32 v2, v2, v35
	s_waitcnt vmcnt(0)
	v_lshlrev_b32_e32 v35, 16, v44
	v_lshlrev_b32_e32 v34, 16, v43
	v_pk_mul_f32 v[34:35], v[82:83], v[34:35]
	v_add_f32_e32 v2, v2, v34
	v_add_f32_e32 v119, v2, v35
	s_cbranch_vccnz .LBB305_15
; %bb.13:
	ds_read_b128 v[34:37], v3 offset:64
	v_lshlrev_b32_e32 v2, 16, v58
	ds_read_b128 v[38:41], v3 offset:80
	ds_read_b128 v[42:45], v3 offset:96
	ds_read_b128 v[46:49], v3 offset:112
	s_cmpk_lt_u32 s28, 0x2001
	s_waitcnt lgkmcnt(3)
	v_fmac_f32_e32 v119, v34, v2
	v_lshlrev_b32_e32 v2, 16, v57
	v_fmac_f32_e32 v119, v35, v2
	v_lshlrev_b32_e32 v2, 16, v56
	v_fmac_f32_e32 v119, v36, v2
	v_lshlrev_b32_e32 v2, 16, v55
	v_fmac_f32_e32 v119, v37, v2
	v_lshlrev_b32_e32 v2, 16, v54
	s_waitcnt lgkmcnt(2)
	v_fmac_f32_e32 v119, v38, v2
	v_lshlrev_b32_e32 v2, 16, v53
	v_fmac_f32_e32 v119, v39, v2
	v_lshlrev_b32_e32 v2, 16, v52
	v_fmac_f32_e32 v119, v40, v2
	v_lshlrev_b32_e32 v2, 16, v51
	v_fmac_f32_e32 v119, v41, v2
	v_lshlrev_b32_e32 v2, 16, v66
	;; [unrolled: 9-line block ×3, first 2 shown]
	s_waitcnt lgkmcnt(0)
	v_fmac_f32_e32 v119, v46, v2
	v_lshlrev_b32_e32 v2, 16, v61
	v_fmac_f32_e32 v119, v47, v2
	v_lshlrev_b32_e32 v2, 16, v60
	v_fmac_f32_e32 v119, v48, v2
	v_lshlrev_b32_e32 v2, 16, v59
	v_fmac_f32_e32 v119, v49, v2
	s_cbranch_scc1 .LBB305_15
; %bb.14:
	v_mov_b32_e32 v50, 0
	ds_read_b128 v[34:37], v50 offset:128
	ds_read_b128 v[38:41], v50 offset:144
	;; [unrolled: 1-line block ×4, first 2 shown]
	s_waitcnt lgkmcnt(3)
	v_fmac_f32_e32 v119, v34, v33
	v_fmac_f32_e32 v119, v35, v31
	v_fmac_f32_e32 v119, v36, v32
	v_fmac_f32_e32 v119, v37, v29
	s_waitcnt lgkmcnt(2)
	v_fmac_f32_e32 v119, v38, v30
	v_fmac_f32_e32 v119, v39, v27
	v_fmac_f32_e32 v119, v40, v28
	v_fmac_f32_e32 v119, v41, v25
	s_waitcnt lgkmcnt(1)
	v_fmac_f32_e32 v119, v42, v26
	v_fmac_f32_e32 v119, v43, v23
	v_fmac_f32_e32 v119, v44, v24
	v_fmac_f32_e32 v119, v45, v21
	s_waitcnt lgkmcnt(0)
	v_fmac_f32_e32 v119, v46, v22
	ds_read_b128 v[22:25], v50 offset:192
	v_fmac_f32_e32 v119, v47, v19
	v_fmac_f32_e32 v119, v48, v20
	;; [unrolled: 1-line block ×3, first 2 shown]
	ds_read_b128 v[18:21], v50 offset:208
	s_waitcnt lgkmcnt(1)
	v_fmac_f32_e32 v119, v22, v17
	v_fmac_f32_e32 v119, v23, v15
	;; [unrolled: 1-line block ×4, first 2 shown]
	s_waitcnt lgkmcnt(0)
	v_pk_mul_f32 v[2:3], v[18:19], v[12:13]
	ds_read_b128 v[12:15], v50 offset:224
	v_add_f32_e32 v2, v119, v2
	v_add_f32_e32 v16, v2, v3
	v_pk_mul_f32 v[2:3], v[20:21], v[10:11]
	v_add_f32_e32 v2, v16, v2
	ds_read_b128 v[16:19], v50 offset:240
	v_add_f32_e32 v10, v2, v3
	s_waitcnt lgkmcnt(1)
	v_pk_mul_f32 v[2:3], v[12:13], v[8:9]
	v_add_f32_e32 v2, v10, v2
	v_add_f32_e32 v8, v2, v3
	v_pk_mul_f32 v[2:3], v[14:15], v[6:7]
	v_add_f32_e32 v2, v8, v2
	v_add_f32_e32 v6, v2, v3
	s_waitcnt lgkmcnt(0)
	v_pk_mul_f32 v[2:3], v[16:17], v[4:5]
	v_add_f32_e32 v2, v6, v2
	v_add_f32_e32 v2, v2, v3
	v_pk_mul_f32 v[0:1], v[18:19], v[0:1]
	v_add_f32_e32 v0, v2, v0
	v_add_f32_e32 v119, v0, v1
.LBB305_15:
	s_load_dwordx2 s[0:1], s[4:5], 0x38
	s_cmpk_lt_i32 s28, 0x4001
	s_cbranch_scc1 .LBB305_17
; %bb.16:
	s_cmpk_lt_u32 s28, 0x4101
	s_cselect_b32 s2, s8, 0x2080
	s_ashr_i32 s3, s2, 31
	s_lshl_b64 s[2:3], s[2:3], 1
	s_cmpk_lt_u32 s28, 0x4201
	v_add_co_u32_e32 v28, vcc, s2, v117
	s_cselect_b32 s2, s8, 0x2100
	v_mov_b32_e32 v0, s3
	s_ashr_i32 s3, s2, 31
	s_lshl_b64 s[2:3], s[2:3], 1
	v_addc_co_u32_e32 v29, vcc, v118, v0, vcc
	s_cmpk_lt_u32 s28, 0x4301
	v_add_co_u32_e32 v30, vcc, s2, v117
	s_cselect_b32 s2, s8, 0x2180
	v_mov_b32_e32 v0, s3
	s_ashr_i32 s3, s2, 31
	s_lshl_b64 s[2:3], s[2:3], 1
	v_addc_co_u32_e32 v31, vcc, v118, v0, vcc
	;; [unrolled: 7-line block ×55, first 2 shown]
	s_cmpk_lt_u32 s28, 0x7901
	v_add_co_u32_e32 v110, vcc, s2, v117
	s_cselect_b32 s2, s8, 0x3c80
	v_mov_b32_e32 v111, s3
	s_ashr_i32 s3, s2, 31
	v_addc_co_u32_e32 v111, vcc, v118, v111, vcc
	s_lshl_b64 s[2:3], s[2:3], 1
	v_mov_b32_e32 v113, s3
	v_add_co_u32_e32 v112, vcc, s2, v117
	v_addc_co_u32_e32 v113, vcc, v118, v113, vcc
	s_movk_i32 s2, 0x4000
	v_add_co_u32_e32 v114, vcc, s2, v117
	v_addc_co_u32_e32 v115, vcc, 0, v118, vcc
	global_load_ushort v120, v[114:115], off
	global_load_ushort v125, v[40:41], off
	global_load_ushort v121, v[28:29], off
	global_load_ushort v122, v[30:31], off
	global_load_ushort v123, v[34:35], off
	global_load_ushort v124, v[38:39], off
	global_load_ushort v126, v[42:43], off
	global_load_ushort v127, v[48:49], off
	s_cmpk_lt_u32 s28, 0x7a01
	global_load_ushort v42, v[50:51], off
	global_load_ushort v43, v[54:55], off
	global_load_ushort v48, v[56:57], off
	global_load_ushort v49, v[60:61], off
	s_cselect_b32 s2, s8, 0x3d00
	global_load_ushort v50, v[62:63], off
	global_load_ushort v51, v[64:65], off
	;; [unrolled: 1-line block ×5, first 2 shown]
	s_ashr_i32 s3, s2, 31
	s_lshl_b64 s[2:3], s[2:3], 1
	s_cmpk_lt_u32 s28, 0x7b01
	v_add_co_u32_e32 v114, vcc, s2, v117
	s_cselect_b32 s2, s8, 0x3d80
	v_mov_b32_e32 v115, s3
	s_ashr_i32 s3, s2, 31
	s_lshl_b64 s[2:3], s[2:3], 1
	v_addc_co_u32_e32 v115, vcc, v118, v115, vcc
	s_cmpk_lt_u32 s28, 0x7c01
	v_add_co_u32_e32 v28, vcc, s2, v117
	s_cselect_b32 s2, s8, 0x3e00
	v_mov_b32_e32 v29, s3
	s_ashr_i32 s3, s2, 31
	s_lshl_b64 s[2:3], s[2:3], 1
	v_addc_co_u32_e32 v29, vcc, v118, v29, vcc
	;; [unrolled: 7-line block ×4, first 2 shown]
	s_cmpk_lt_u32 s28, 0x7f01
	v_add_co_u32_e32 v38, vcc, s2, v117
	s_cselect_b32 s2, s8, 0x3f80
	v_mov_b32_e32 v39, s3
	s_ashr_i32 s3, s2, 31
	v_addc_co_u32_e32 v39, vcc, v118, v39, vcc
	s_lshl_b64 s[2:3], s[2:3], 1
	v_mov_b32_e32 v41, s3
	v_add_co_u32_e32 v40, vcc, s2, v117
	v_addc_co_u32_e32 v41, vcc, v118, v41, vcc
	global_load_ushort v57, v[0:1], off
	global_load_ushort v60, v[2:3], off
	;; [unrolled: 1-line block ×10, first 2 shown]
	v_mov_b32_e32 v35, 0
	global_load_ushort v38, v[6:7], off
	ds_read_b128 v[0:3], v35 offset:256
	ds_read_b128 v[4:7], v35 offset:272
	global_load_ushort v39, v[8:9], off
	global_load_ushort v40, v[10:11], off
	ds_read_b128 v[8:11], v35 offset:288
	ds_read_b128 v[28:31], v35 offset:304
	global_load_ushort v12, v[12:13], off
	s_waitcnt vmcnt(30)
	v_lshlrev_b32_e32 v34, 16, v120
	s_waitcnt lgkmcnt(0)
	v_fmac_f32_e32 v119, v0, v34
	s_waitcnt vmcnt(28)
	v_lshlrev_b32_e32 v0, 16, v121
	v_fmac_f32_e32 v119, v1, v0
	s_waitcnt vmcnt(27)
	v_lshlrev_b32_e32 v0, 16, v122
	;; [unrolled: 3-line block ×4, first 2 shown]
	v_fmac_f32_e32 v119, v4, v0
	v_lshlrev_b32_e32 v0, 16, v125
	v_fmac_f32_e32 v119, v5, v0
	s_waitcnt vmcnt(24)
	v_lshlrev_b32_e32 v0, 16, v126
	v_fmac_f32_e32 v119, v6, v0
	s_waitcnt vmcnt(23)
	;; [unrolled: 3-line block ×3, first 2 shown]
	v_lshlrev_b32_e32 v0, 16, v42
	v_fmac_f32_e32 v119, v8, v0
	global_load_ushort v8, v[52:53], off
	s_waitcnt vmcnt(22)
	v_lshlrev_b32_e32 v0, 16, v43
	v_fmac_f32_e32 v119, v9, v0
	s_waitcnt vmcnt(21)
	v_lshlrev_b32_e32 v0, 16, v48
	v_fmac_f32_e32 v119, v10, v0
	;; [unrolled: 3-line block ×4, first 2 shown]
	global_load_ushort v28, v[84:85], off
	global_load_ushort v34, v[94:95], off
	;; [unrolled: 1-line block ×4, first 2 shown]
	s_waitcnt vmcnt(22)
	v_lshlrev_b32_e32 v0, 16, v51
	v_fmac_f32_e32 v119, v29, v0
	global_load_ushort v29, v[86:87], off
	global_load_ushort v14, v[16:17], off
	;; [unrolled: 1-line block ×4, first 2 shown]
	s_waitcnt vmcnt(25)
	v_lshlrev_b32_e32 v0, 16, v54
	v_fmac_f32_e32 v119, v30, v0
	global_load_ushort v30, v[88:89], off
	global_load_ushort v16, v[20:21], off
	;; [unrolled: 1-line block ×6, first 2 shown]
	s_waitcnt vmcnt(30)
	v_lshlrev_b32_e32 v0, 16, v55
	v_fmac_f32_e32 v119, v31, v0
	global_load_ushort v31, v[92:93], off
	global_load_ushort v20, v[32:33], off
	global_load_ushort v21, v[36:37], off
	global_load_ushort v22, v[44:45], off
	global_load_ushort v23, v[46:47], off
	global_load_ushort v24, v[58:59], off
	global_load_ushort v25, v[68:69], off
	global_load_ushort v26, v[80:81], off
	global_load_ushort v27, v[82:83], off
	global_load_ushort v32, v[90:91], off
	ds_read_b128 v[0:3], v35 offset:320
	ds_read_b128 v[4:7], v35 offset:336
	s_waitcnt vmcnt(39)
	v_lshlrev_b32_e32 v33, 16, v56
	global_load_ushort v36, v[98:99], off
	s_waitcnt lgkmcnt(1)
	v_fmac_f32_e32 v119, v0, v33
	global_load_ushort v33, v[96:97], off
	global_load_ushort v37, v[100:101], off
	global_load_ushort v41, v[102:103], off
	global_load_ushort v42, v[104:105], off
	global_load_ushort v43, v[106:107], off
	global_load_ushort v44, v[108:109], off
	s_waitcnt vmcnt(45)
	v_lshlrev_b32_e32 v0, 16, v57
	v_fmac_f32_e32 v119, v1, v0
	s_waitcnt vmcnt(44)
	v_lshlrev_b32_e32 v0, 16, v60
	v_fmac_f32_e32 v119, v2, v0
	;; [unrolled: 3-line block ×3, first 2 shown]
	s_waitcnt vmcnt(35)
	v_lshlrev_b32_e32 v0, 16, v38
	global_load_ushort v38, v[110:111], off
	s_waitcnt lgkmcnt(0)
	v_fmac_f32_e32 v119, v4, v0
	s_waitcnt vmcnt(35)
	v_lshlrev_b32_e32 v0, 16, v39
	v_fmac_f32_e32 v119, v5, v0
	s_waitcnt vmcnt(34)
	v_lshlrev_b32_e32 v0, 16, v40
	v_fmac_f32_e32 v119, v6, v0
	ds_read_b128 v[0:3], v35 offset:352
	s_waitcnt vmcnt(33)
	v_lshlrev_b32_e32 v4, 16, v12
	v_fmac_f32_e32 v119, v7, v4
	ds_read_b128 v[4:7], v35 offset:368
	s_waitcnt vmcnt(29)
	v_lshlrev_b32_e32 v12, 16, v13
	s_waitcnt lgkmcnt(1)
	v_fmac_f32_e32 v119, v0, v12
	s_waitcnt vmcnt(26)
	v_lshlrev_b32_e32 v0, 16, v14
	v_fmac_f32_e32 v119, v1, v0
	s_waitcnt vmcnt(25)
	v_lshlrev_b32_e32 v0, 16, v15
	v_fmac_f32_e32 v119, v2, v0
	s_waitcnt vmcnt(22)
	v_lshlrev_b32_e32 v0, 16, v16
	v_fmac_f32_e32 v119, v3, v0
	s_waitcnt vmcnt(21)
	v_lshlrev_b32_e32 v0, 16, v17
	s_waitcnt lgkmcnt(0)
	v_fmac_f32_e32 v119, v4, v0
	s_waitcnt vmcnt(20)
	v_lshlrev_b32_e32 v0, 16, v18
	v_fmac_f32_e32 v119, v5, v0
	s_waitcnt vmcnt(19)
	v_lshlrev_b32_e32 v0, 16, v19
	v_fmac_f32_e32 v119, v6, v0
	ds_read_b128 v[0:3], v35 offset:384
	s_waitcnt vmcnt(16)
	v_lshlrev_b32_e32 v4, 16, v20
	v_fmac_f32_e32 v119, v7, v4
	ds_read_b128 v[4:7], v35 offset:400
	s_waitcnt vmcnt(15)
	v_lshlrev_b32_e32 v12, 16, v21
	s_waitcnt lgkmcnt(1)
	v_fmac_f32_e32 v119, v0, v12
	s_waitcnt vmcnt(14)
	v_lshlrev_b32_e32 v0, 16, v22
	v_fmac_f32_e32 v119, v1, v0
	s_waitcnt vmcnt(13)
	v_lshlrev_b32_e32 v0, 16, v23
	v_fmac_f32_e32 v119, v2, v0
	v_lshlrev_b32_e32 v0, 16, v8
	v_fmac_f32_e32 v119, v3, v0
	s_waitcnt vmcnt(12)
	v_lshlrev_b32_e32 v0, 16, v24
	s_waitcnt lgkmcnt(0)
	v_fmac_f32_e32 v119, v4, v0
	v_lshlrev_b32_e32 v0, 16, v9
	v_fmac_f32_e32 v119, v5, v0
	s_waitcnt vmcnt(11)
	v_lshlrev_b32_e32 v0, 16, v25
	v_fmac_f32_e32 v119, v6, v0
	ds_read_b128 v[0:3], v35 offset:416
	v_lshlrev_b32_e32 v4, 16, v10
	v_fmac_f32_e32 v119, v7, v4
	ds_read_b128 v[4:7], v35 offset:432
	v_lshlrev_b32_e32 v8, 16, v11
	s_waitcnt lgkmcnt(1)
	v_fmac_f32_e32 v119, v0, v8
	s_waitcnt vmcnt(10)
	v_lshlrev_b32_e32 v0, 16, v26
	v_fmac_f32_e32 v119, v1, v0
	s_waitcnt vmcnt(9)
	v_lshlrev_b32_e32 v0, 16, v27
	v_fmac_f32_e32 v119, v2, v0
	v_lshlrev_b32_e32 v0, 16, v28
	v_fmac_f32_e32 v119, v3, v0
	v_lshlrev_b32_e32 v0, 16, v29
	s_waitcnt lgkmcnt(0)
	v_fmac_f32_e32 v119, v4, v0
	v_lshlrev_b32_e32 v0, 16, v30
	v_fmac_f32_e32 v119, v5, v0
	s_waitcnt vmcnt(8)
	v_lshlrev_b32_e32 v0, 16, v32
	v_fmac_f32_e32 v119, v6, v0
	ds_read_b128 v[0:3], v35 offset:448
	v_lshlrev_b32_e32 v4, 16, v31
	v_fmac_f32_e32 v119, v7, v4
	ds_read_b128 v[4:7], v35 offset:464
	v_lshlrev_b32_e32 v8, 16, v34
	s_waitcnt lgkmcnt(1)
	v_fmac_f32_e32 v119, v0, v8
	s_waitcnt vmcnt(6)
	v_lshlrev_b32_e32 v0, 16, v33
	v_fmac_f32_e32 v119, v1, v0
	v_lshlrev_b32_e32 v0, 16, v36
	v_fmac_f32_e32 v119, v2, v0
	s_waitcnt vmcnt(5)
	v_lshlrev_b32_e32 v0, 16, v37
	v_fmac_f32_e32 v119, v3, v0
	s_waitcnt vmcnt(3)
	v_lshlrev_b32_e32 v1, 16, v42
	v_lshlrev_b32_e32 v0, 16, v41
	s_waitcnt lgkmcnt(0)
	v_pk_mul_f32 v[0:1], v[4:5], v[0:1]
	v_add_f32_e32 v0, v119, v0
	v_add_f32_e32 v2, v0, v1
	s_waitcnt vmcnt(1)
	v_lshlrev_b32_e32 v1, 16, v44
	v_lshlrev_b32_e32 v0, 16, v43
	v_pk_mul_f32 v[4:5], v[6:7], v[0:1]
	v_add_f32_e32 v4, v2, v4
	ds_read_b128 v[0:3], v35 offset:480
	v_lshlrev_b32_e32 v9, 16, v61
	s_waitcnt vmcnt(0)
	v_lshlrev_b32_e32 v8, 16, v38
	v_add_f32_e32 v10, v4, v5
	ds_read_b128 v[4:7], v35 offset:496
	s_waitcnt lgkmcnt(1)
	v_pk_mul_f32 v[0:1], v[0:1], v[8:9]
	v_add_f32_e32 v0, v10, v0
	v_add_f32_e32 v8, v0, v1
	v_lshlrev_b32_e32 v1, 16, v63
	v_lshlrev_b32_e32 v0, 16, v62
	v_pk_mul_f32 v[0:1], v[2:3], v[0:1]
	v_add_f32_e32 v0, v8, v0
	v_add_f32_e32 v2, v0, v1
	v_lshlrev_b32_e32 v1, 16, v65
	v_lshlrev_b32_e32 v0, 16, v64
	s_waitcnt lgkmcnt(0)
	v_pk_mul_f32 v[0:1], v[4:5], v[0:1]
	v_add_f32_e32 v0, v2, v0
	v_add_f32_e32 v2, v0, v1
	v_lshlrev_b32_e32 v1, 16, v71
	v_lshlrev_b32_e32 v0, 16, v70
	v_pk_mul_f32 v[0:1], v[6:7], v[0:1]
	v_add_f32_e32 v0, v2, v0
	v_add_f32_e32 v119, v0, v1
.LBB305_17:
	v_mov_b32_e32 v0, 0
	ds_read_b32 v0, v0 offset:512
	s_waitcnt lgkmcnt(0)
	s_cmp_eq_u64 s[0:1], 0
	s_cbranch_scc1 .LBB305_26
; %bb.18:
	s_load_dword s2, s[0:1], 0x0
	s_waitcnt lgkmcnt(0)
	v_div_scale_f32 v1, s[0:1], s2, s2, 1.0
	v_rcp_f32_e32 v2, v1
	v_div_scale_f32 v3, vcc, 1.0, s2, 1.0
	v_fma_f32 v4, -v1, v2, 1.0
	v_fmac_f32_e32 v2, v4, v2
	v_mul_f32_e32 v4, v3, v2
	v_fma_f32 v5, -v1, v4, v3
	v_fmac_f32_e32 v4, v5, v2
	v_fma_f32 v1, -v1, v4, v3
	v_div_fmas_f32 v1, v1, v2, v4
	v_div_fixup_f32 v1, v1, s2, 1.0
	s_andn2_b64 vcc, exec, s[20:21]
	s_cbranch_vccnz .LBB305_20
.LBB305_19:
	s_add_u32 s0, s18, s22
	s_addc_u32 s1, s19, s23
	s_load_dword s16, s[0:1], 0x0
	s_mov_b32 s17, 0
.LBB305_20:
	v_add_f32_e32 v0, 0x358637bd, v0
	v_div_scale_f32 v2, s[0:1], v0, v0, 1.0
	v_rcp_f32_e32 v3, v2
	s_load_dwordx2 s[0:1], s[4:5], 0x0
	s_mov_b32 s2, 0x7f800000
	v_fma_f32 v4, -v2, v3, 1.0
	v_fmac_f32_e32 v3, v4, v3
	v_div_scale_f32 v4, vcc, 1.0, v0, 1.0
	v_mul_f32_e32 v5, v4, v3
	v_fma_f32 v6, -v2, v5, v4
	v_fmac_f32_e32 v5, v6, v3
	v_fma_f32 v2, -v2, v5, v4
	v_div_fmas_f32 v2, v2, v3, v5
	v_div_fixup_f32 v0, v2, v0, 1.0
	v_mul_f32_e32 v0, v119, v0
	v_mul_f32_e32 v1, v0, v1
	v_and_b32_e32 v0, 0x7f800000, v1
	v_cmp_ne_u32_e32 vcc, s2, v0
                                        ; implicit-def: $vgpr0
	s_and_saveexec_b64 s[2:3], vcc
	s_xor_b64 s[2:3], exec, s[2:3]
; %bb.21:
	v_bfe_u32 v0, v1, 16, 1
	s_movk_i32 s4, 0x7fff
	v_add3_u32 v0, v1, v0, s4
                                        ; implicit-def: $vgpr1
; %bb.22:
	s_andn2_saveexec_b64 s[2:3], s[2:3]
; %bb.23:
	v_mov_b32_e32 v0, 0
	v_or_b32_e32 v2, 0x10000, v1
	v_cmp_eq_u32_sdwa vcc, v1, v0 src0_sel:WORD_0 src1_sel:DWORD
	v_cndmask_b32_e32 v0, v2, v1, vcc
; %bb.24:
	s_or_b64 exec, exec, s[2:3]
	s_mul_i32 s2, s7, s17
	s_waitcnt lgkmcnt(0)
	s_mul_hi_u32 s3, s7, s16
	s_add_i32 s3, s3, s2
	s_mul_i32 s2, s7, s16
	s_lshl_b64 s[2:3], s[2:3], 8
	s_add_u32 s2, s0, s2
	s_mov_b32 s7, 0
	s_addc_u32 s3, s1, s3
	s_lshl_b64 s[0:1], s[6:7], 8
	s_add_u32 s0, s2, s0
	s_addc_u32 s1, s3, s1
	global_store_short_d16_hi v116, v0, s[0:1]
	s_endpgm
.LBB305_25:
	s_mov_b64 s[2:3], 0
	s_branch .LBB305_2
.LBB305_26:
	v_mov_b32_e32 v1, 1.0
	s_andn2_b64 vcc, exec, s[20:21]
	s_cbranch_vccz .LBB305_19
	s_branch .LBB305_20
	.section	.rodata,"a",@progbits
	.p2align	6, 0x0
	.amdhsa_kernel _Z35paged_attention_ll4mi_reduce_kernelI14__hip_bfloat16S0_Li128ELi128ELi256ELi2EEvPT0_PKfS4_PKT_PKiS9_iS4_
		.amdhsa_group_segment_fixed_size 516
		.amdhsa_private_segment_fixed_size 0
		.amdhsa_kernarg_size 320
		.amdhsa_user_sgpr_count 6
		.amdhsa_user_sgpr_private_segment_buffer 1
		.amdhsa_user_sgpr_dispatch_ptr 0
		.amdhsa_user_sgpr_queue_ptr 0
		.amdhsa_user_sgpr_kernarg_segment_ptr 1
		.amdhsa_user_sgpr_dispatch_id 0
		.amdhsa_user_sgpr_flat_scratch_init 0
		.amdhsa_user_sgpr_kernarg_preload_length 0
		.amdhsa_user_sgpr_kernarg_preload_offset 0
		.amdhsa_user_sgpr_private_segment_size 0
		.amdhsa_uses_dynamic_stack 0
		.amdhsa_system_sgpr_private_segment_wavefront_offset 0
		.amdhsa_system_sgpr_workgroup_id_x 1
		.amdhsa_system_sgpr_workgroup_id_y 1
		.amdhsa_system_sgpr_workgroup_id_z 0
		.amdhsa_system_sgpr_workgroup_info 0
		.amdhsa_system_vgpr_workitem_id 0
		.amdhsa_next_free_vgpr 128
		.amdhsa_next_free_sgpr 32
		.amdhsa_accum_offset 128
		.amdhsa_reserve_vcc 1
		.amdhsa_reserve_flat_scratch 0
		.amdhsa_float_round_mode_32 0
		.amdhsa_float_round_mode_16_64 0
		.amdhsa_float_denorm_mode_32 3
		.amdhsa_float_denorm_mode_16_64 3
		.amdhsa_dx10_clamp 1
		.amdhsa_ieee_mode 1
		.amdhsa_fp16_overflow 0
		.amdhsa_tg_split 0
		.amdhsa_exception_fp_ieee_invalid_op 0
		.amdhsa_exception_fp_denorm_src 0
		.amdhsa_exception_fp_ieee_div_zero 0
		.amdhsa_exception_fp_ieee_overflow 0
		.amdhsa_exception_fp_ieee_underflow 0
		.amdhsa_exception_fp_ieee_inexact 0
		.amdhsa_exception_int_div_zero 0
	.end_amdhsa_kernel
	.section	.text._Z35paged_attention_ll4mi_reduce_kernelI14__hip_bfloat16S0_Li128ELi128ELi256ELi2EEvPT0_PKfS4_PKT_PKiS9_iS4_,"axG",@progbits,_Z35paged_attention_ll4mi_reduce_kernelI14__hip_bfloat16S0_Li128ELi128ELi256ELi2EEvPT0_PKfS4_PKT_PKiS9_iS4_,comdat
.Lfunc_end305:
	.size	_Z35paged_attention_ll4mi_reduce_kernelI14__hip_bfloat16S0_Li128ELi128ELi256ELi2EEvPT0_PKfS4_PKT_PKiS9_iS4_, .Lfunc_end305-_Z35paged_attention_ll4mi_reduce_kernelI14__hip_bfloat16S0_Li128ELi128ELi256ELi2EEvPT0_PKfS4_PKT_PKiS9_iS4_
                                        ; -- End function
	.section	.AMDGPU.csdata,"",@progbits
; Kernel info:
; codeLenInByte = 8956
; NumSgprs: 36
; NumVgprs: 128
; NumAgprs: 0
; TotalNumVgprs: 128
; ScratchSize: 0
; MemoryBound: 0
; FloatMode: 240
; IeeeMode: 1
; LDSByteSize: 516 bytes/workgroup (compile time only)
; SGPRBlocks: 4
; VGPRBlocks: 15
; NumSGPRsForWavesPerEU: 36
; NumVGPRsForWavesPerEU: 128
; AccumOffset: 128
; Occupancy: 4
; WaveLimiterHint : 1
; COMPUTE_PGM_RSRC2:SCRATCH_EN: 0
; COMPUTE_PGM_RSRC2:USER_SGPR: 6
; COMPUTE_PGM_RSRC2:TRAP_HANDLER: 0
; COMPUTE_PGM_RSRC2:TGID_X_EN: 1
; COMPUTE_PGM_RSRC2:TGID_Y_EN: 1
; COMPUTE_PGM_RSRC2:TGID_Z_EN: 0
; COMPUTE_PGM_RSRC2:TIDIG_COMP_CNT: 0
; COMPUTE_PGM_RSRC3_GFX90A:ACCUM_OFFSET: 31
; COMPUTE_PGM_RSRC3_GFX90A:TG_SPLIT: 0
	.section	.text._Z35paged_attention_ll4mi_reduce_kernelI14__hip_bfloat16S0_Li128ELi128ELi256ELi3EEvPT0_PKfS4_PKT_PKiS9_iS4_,"axG",@progbits,_Z35paged_attention_ll4mi_reduce_kernelI14__hip_bfloat16S0_Li128ELi128ELi256ELi3EEvPT0_PKfS4_PKT_PKiS9_iS4_,comdat
	.protected	_Z35paged_attention_ll4mi_reduce_kernelI14__hip_bfloat16S0_Li128ELi128ELi256ELi3EEvPT0_PKfS4_PKT_PKiS9_iS4_ ; -- Begin function _Z35paged_attention_ll4mi_reduce_kernelI14__hip_bfloat16S0_Li128ELi128ELi256ELi3EEvPT0_PKfS4_PKT_PKiS9_iS4_
	.globl	_Z35paged_attention_ll4mi_reduce_kernelI14__hip_bfloat16S0_Li128ELi128ELi256ELi3EEvPT0_PKfS4_PKT_PKiS9_iS4_
	.p2align	8
	.type	_Z35paged_attention_ll4mi_reduce_kernelI14__hip_bfloat16S0_Li128ELi128ELi256ELi3EEvPT0_PKfS4_PKT_PKiS9_iS4_,@function
_Z35paged_attention_ll4mi_reduce_kernelI14__hip_bfloat16S0_Li128ELi128ELi256ELi3EEvPT0_PKfS4_PKT_PKiS9_iS4_: ; @_Z35paged_attention_ll4mi_reduce_kernelI14__hip_bfloat16S0_Li128ELi128ELi256ELi3EEvPT0_PKfS4_PKT_PKiS9_iS4_
; %bb.0:
	s_load_dwordx2 s[20:21], s[4:5], 0x28
	s_mov_b32 s10, s7
	s_mov_b64 s[0:1], 0
	s_waitcnt lgkmcnt(0)
	s_cmp_lg_u64 s[20:21], 0
	s_cselect_b64 s[22:23], -1, 0
	s_and_b64 vcc, exec, s[22:23]
	s_cbranch_vccz .LBB306_25
; %bb.1:
	s_add_i32 s2, s10, 1
	s_mov_b32 s3, 0
	s_lshl_b64 s[8:9], s[2:3], 2
	s_add_u32 s8, s20, s8
	s_mov_b32 s11, s3
	s_addc_u32 s9, s21, s9
	s_lshl_b64 s[2:3], s[10:11], 2
	s_add_u32 s2, s20, s2
	s_addc_u32 s3, s21, s3
	s_load_dword s7, s[8:9], 0x0
	s_load_dword s12, s[2:3], 0x0
	s_waitcnt lgkmcnt(0)
	s_sub_i32 s2, s7, s12
	s_cmp_eq_u32 s2, 1
	s_cselect_b64 s[2:3], -1, 0
	s_andn2_b64 vcc, exec, s[0:1]
	s_cbranch_vccnz .LBB306_3
.LBB306_2:
	s_mov_b32 s11, 0
	s_mov_b64 s[2:3], -1
.LBB306_3:
	s_andn2_b64 vcc, exec, s[2:3]
	s_cbranch_vccz .LBB306_5
; %bb.4:
	s_endpgm
.LBB306_5:
	s_load_dwordx4 s[12:15], s[4:5], 0x18
	s_load_dword s8, s[4:5], 0x30
	s_lshl_b64 s[24:25], s[10:11], 2
	v_cmp_lt_u32_e32 vcc, 63, v0
	s_waitcnt lgkmcnt(0)
	s_add_u32 s0, s14, s24
	s_addc_u32 s1, s15, s25
	s_load_dword s33, s[0:1], 0x0
	s_load_dword s7, s[4:5], 0x40
	s_mul_i32 s14, s6, s8
	s_mul_i32 s2, s10, s8
	s_waitcnt lgkmcnt(0)
	s_add_i32 s3, s33, 0xff
	s_ashr_i32 s0, s3, 31
	s_lshr_b32 s0, s0, 24
	s_add_i32 s3, s3, s0
	s_and_saveexec_b64 s[0:1], vcc
	s_xor_b64 s[0:1], exec, s[0:1]
	s_or_saveexec_b64 s[26:27], s[0:1]
	s_ashr_i32 s34, s3, 8
	v_mov_b32_e32 v1, s14
	s_mul_i32 s28, s2, s7
	s_xor_b64 exec, exec, s[26:27]
	s_cbranch_execz .LBB306_9
; %bb.6:
	s_load_dwordx4 s[16:19], s[4:5], 0x8
	s_mov_b32 s29, 0
	s_add_i32 s0, s34, -1
	v_or_b32_e32 v3, 64, v0
	v_mov_b32_e32 v1, s0
	v_cmp_gt_u32_e64 s[0:1], s34, v3
	s_lshl_b64 s[30:31], s[28:29], 2
	s_mov_b32 s15, s29
	v_cmp_gt_u32_e64 s[2:3], s34, v0
	v_cndmask_b32_e64 v4, v1, v3, s[0:1]
	v_or_b32_e32 v3, 0x80, v0
	s_waitcnt lgkmcnt(0)
	s_add_u32 s8, s18, s30
	v_cndmask_b32_e64 v2, v1, v0, s[2:3]
	v_cmp_gt_u32_e32 vcc, s34, v3
	s_addc_u32 s9, s19, s31
	s_lshl_b64 s[18:19], s[14:15], 2
	v_cndmask_b32_e32 v6, v1, v3, vcc
	s_add_u32 s15, s8, s18
	v_ashrrev_i32_e32 v3, 31, v2
	s_addc_u32 s29, s9, s19
	v_lshlrev_b64 v[2:3], 2, v[2:3]
	v_mov_b32_e32 v1, s29
	v_add_co_u32_e64 v8, s[8:9], s15, v2
	v_ashrrev_i32_e32 v5, 31, v4
	v_addc_co_u32_e64 v9, s[8:9], v1, v3, s[8:9]
	v_lshlrev_b64 v[4:5], 2, v[4:5]
	v_add_co_u32_e64 v10, s[8:9], s15, v4
	v_ashrrev_i32_e32 v7, 31, v6
	v_addc_co_u32_e64 v11, s[8:9], v1, v5, s[8:9]
	v_lshlrev_b64 v[6:7], 2, v[6:7]
	v_add_co_u32_e64 v12, s[8:9], s15, v6
	v_addc_co_u32_e64 v13, s[8:9], v1, v7, s[8:9]
	global_load_dword v1, v[8:9], off
	global_load_dword v14, v[10:11], off
	;; [unrolled: 1-line block ×3, first 2 shown]
	v_mbcnt_lo_u32_b32 v8, -1, 0
	v_mbcnt_hi_u32_b32 v8, -1, v8
	v_and_b32_e32 v9, 64, v8
	v_xor_b32_e32 v10, 32, v8
	v_add_u32_e32 v9, 64, v9
	v_xor_b32_e32 v11, 16, v8
	v_cmp_lt_i32_e64 s[8:9], v10, v9
	v_xor_b32_e32 v12, 8, v8
	v_cndmask_b32_e64 v10, v8, v10, s[8:9]
	v_cmp_lt_i32_e64 s[8:9], v11, v9
	v_cndmask_b32_e64 v11, v8, v11, s[8:9]
	v_cmp_lt_i32_e64 s[8:9], v12, v9
	v_cndmask_b32_e64 v12, v8, v12, s[8:9]
	s_add_u32 s8, s16, s30
	s_addc_u32 s9, s17, s31
	s_add_u32 s15, s8, s18
	s_addc_u32 s16, s9, s19
	v_mov_b32_e32 v13, s16
	v_add_co_u32_e64 v2, s[8:9], s15, v2
	v_addc_co_u32_e64 v3, s[8:9], v13, v3, s[8:9]
	global_load_dword v13, v[2:3], off
	v_lshlrev_b32_e32 v10, 2, v10
	v_mov_b32_e32 v3, s16
	v_add_co_u32_e64 v2, s[8:9], s15, v4
	v_addc_co_u32_e64 v3, s[8:9], v3, v5, s[8:9]
	global_load_dword v4, v[2:3], off
	v_mov_b32_e32 v3, s16
	v_lshlrev_b32_e32 v11, 2, v11
	v_lshlrev_b32_e32 v12, 2, v12
	s_mov_b32 s16, 0x42b17218
	s_waitcnt vmcnt(2)
	v_max3_f32 v16, v1, v14, v15
	ds_bpermute_b32 v17, v10, v16
	s_waitcnt lgkmcnt(0)
	v_max_f32_e32 v2, v17, v17
	v_max_f32_e32 v5, v16, v2
	v_add_co_u32_e64 v2, s[8:9], s15, v6
	v_addc_co_u32_e64 v3, s[8:9], v3, v7, s[8:9]
	global_load_dword v3, v[2:3], off
	ds_bpermute_b32 v16, v11, v5
	v_xor_b32_e32 v6, 4, v8
	v_cmp_lt_i32_e64 s[8:9], v6, v9
	v_cndmask_b32_e64 v6, v8, v6, s[8:9]
	v_lshlrev_b32_e32 v6, 2, v6
	s_waitcnt lgkmcnt(0)
	v_max_f32_e32 v2, v16, v16
	v_max_f32_e32 v2, v5, v2
	ds_bpermute_b32 v5, v12, v2
	v_xor_b32_e32 v7, 2, v8
	v_cmp_lt_i32_e64 s[8:9], v7, v9
	v_cndmask_b32_e64 v7, v8, v7, s[8:9]
	v_lshlrev_b32_e32 v7, 2, v7
	s_waitcnt lgkmcnt(0)
	v_max_f32_e32 v5, v5, v5
	v_max_f32_e32 v2, v2, v5
	ds_bpermute_b32 v5, v6, v2
	v_xor_b32_e32 v16, 1, v8
	v_cmp_lt_i32_e64 s[8:9], v16, v9
	v_cndmask_b32_e64 v8, v8, v16, s[8:9]
	v_lshlrev_b32_e32 v8, 2, v8
	s_waitcnt lgkmcnt(0)
	v_max_f32_e32 v5, v5, v5
	v_max_f32_e32 v2, v2, v5
	ds_bpermute_b32 v5, v7, v2
	s_mov_b32 s8, 0x3fb8aa3b
	s_mov_b32 s15, 0xc2ce8ed0
	v_mov_b32_e32 v9, 0x7f800000
	s_waitcnt lgkmcnt(0)
	v_max_f32_e32 v5, v5, v5
	v_max_f32_e32 v2, v2, v5
	ds_bpermute_b32 v5, v8, v2
	s_waitcnt lgkmcnt(0)
	v_max_f32_e32 v5, v5, v5
	v_max_f32_e32 v2, v2, v5
	v_sub_f32_e32 v1, v1, v2
	v_sub_f32_e32 v5, v14, v2
	v_mul_f32_e32 v14, 0x3fb8aa3b, v1
	v_sub_f32_e32 v2, v15, v2
	v_mul_f32_e32 v15, 0x3fb8aa3b, v5
	v_fma_f32 v17, v1, s8, -v14
	v_rndne_f32_e32 v18, v14
	v_fma_f32 v19, v5, s8, -v15
	v_rndne_f32_e32 v20, v15
	v_fmac_f32_e32 v17, 0x32a5705f, v1
	v_sub_f32_e32 v14, v14, v18
	v_fmac_f32_e32 v19, 0x32a5705f, v5
	v_sub_f32_e32 v15, v15, v20
	v_add_f32_e32 v14, v14, v17
	v_cvt_i32_f32_e32 v18, v18
	v_add_f32_e32 v15, v15, v19
	v_exp_f32_e32 v14, v14
	v_cvt_i32_f32_e32 v20, v20
	v_exp_f32_e32 v15, v15
	v_mul_f32_e32 v16, 0x3fb8aa3b, v2
	v_fma_f32 v17, v2, s8, -v16
	v_ldexp_f32 v14, v14, v18
	v_cmp_ngt_f32_e64 s[8:9], s15, v1
	v_ldexp_f32 v15, v15, v20
	v_cndmask_b32_e64 v14, 0, v14, s[8:9]
	v_cmp_ngt_f32_e64 s[8:9], s15, v5
	v_cndmask_b32_e64 v15, 0, v15, s[8:9]
	v_cmp_nlt_f32_e64 s[8:9], s16, v1
	v_cndmask_b32_e64 v1, v9, v14, s[8:9]
	v_cndmask_b32_e64 v1, 0, v1, s[2:3]
	s_waitcnt vmcnt(2)
	v_mul_f32_e32 v1, v13, v1
	v_rndne_f32_e32 v13, v16
	v_fmac_f32_e32 v17, 0x32a5705f, v2
	v_sub_f32_e32 v14, v16, v13
	v_add_f32_e32 v14, v14, v17
	v_exp_f32_e32 v14, v14
	v_cvt_i32_f32_e32 v13, v13
	v_cmp_nlt_f32_e64 s[2:3], s16, v5
	v_cndmask_b32_e64 v5, v9, v15, s[2:3]
	v_cndmask_b32_e64 v5, 0, v5, s[0:1]
	v_ldexp_f32 v13, v14, v13
	v_cmp_ngt_f32_e64 s[0:1], s15, v2
	v_cndmask_b32_e64 v13, 0, v13, s[0:1]
	v_cmp_nlt_f32_e64 s[0:1], s16, v2
	s_waitcnt vmcnt(1)
	v_mul_f32_e32 v15, v4, v5
	v_cndmask_b32_e64 v2, v9, v13, s[0:1]
	v_lshlrev_b32_e32 v13, 2, v0
	v_cndmask_b32_e32 v9, 0, v2, vcc
	ds_write2st64_b32 v13, v1, v15 offset1:1
	v_fmac_f32_e32 v1, v4, v5
	s_waitcnt vmcnt(0)
	v_fmac_f32_e32 v1, v3, v9
	ds_bpermute_b32 v2, v10, v1
	v_mul_f32_e32 v3, v3, v9
	v_cmp_eq_u32_e32 vcc, 0, v0
	ds_write_b32 v13, v3 offset:512
	s_waitcnt lgkmcnt(1)
	v_add_f32_e32 v1, v1, v2
	ds_bpermute_b32 v2, v11, v1
	s_waitcnt lgkmcnt(0)
	v_add_f32_e32 v1, v1, v2
	ds_bpermute_b32 v2, v12, v1
	;; [unrolled: 3-line block ×5, first 2 shown]
	s_and_saveexec_b64 s[0:1], vcc
	s_cbranch_execz .LBB306_8
; %bb.7:
	s_waitcnt lgkmcnt(0)
	v_add_f32_e32 v1, v1, v2
	v_mov_b32_e32 v2, 0
	ds_write_b32 v2, v1 offset:768
.LBB306_8:
	s_or_b64 exec, exec, s[0:1]
	v_mov_b32_e32 v1, s14
.LBB306_9:
	s_or_b64 exec, exec, s[26:27]
	s_lshl_b32 s0, s28, 7
	s_mov_b32 s1, 0
	s_lshl_b64 s[0:1], s[0:1], 1
	s_add_u32 s0, s12, s0
	s_addc_u32 s1, s13, s1
	s_lshl_b32 s8, s34, 7
	s_waitcnt lgkmcnt(0)
	v_lshlrev_b32_e32 v2, 7, v1
	v_mov_b32_e32 v3, 0
	s_addk_i32 s8, 0xff80
	v_lshlrev_b64 v[4:5], 1, v[2:3]
	s_cmp_lt_i32 s33, 1
	v_mov_b32_e32 v1, s1
	v_add_co_u32_e32 v2, vcc, s0, v4
	s_cselect_b32 s0, s8, 0
	v_addc_co_u32_e32 v1, vcc, v1, v5, vcc
	v_lshlrev_b32_e32 v116, 1, v0
	s_ashr_i32 s1, s0, 31
	v_add_co_u32_e32 v117, vcc, v2, v116
	s_lshl_b64 s[0:1], s[0:1], 1
	v_addc_co_u32_e32 v118, vcc, 0, v1, vcc
	s_cmpk_lt_i32 s33, 0x101
	v_add_co_u32_e32 v0, vcc, s0, v117
	s_cselect_b32 s0, s8, 0x80
	v_mov_b32_e32 v1, s1
	s_ashr_i32 s1, s0, 31
	s_lshl_b64 s[0:1], s[0:1], 1
	v_addc_co_u32_e32 v1, vcc, v118, v1, vcc
	s_cmpk_lt_i32 s33, 0x201
	v_add_co_u32_e32 v4, vcc, s0, v117
	s_cselect_b32 s0, s8, 0x100
	v_mov_b32_e32 v2, s1
	s_ashr_i32 s1, s0, 31
	;; [unrolled: 7-line block ×8, first 2 shown]
	s_lshl_b64 s[0:1], s[0:1], 1
	v_addc_co_u32_e32 v17, vcc, v118, v2, vcc
	s_cmpk_lt_i32 s33, 0x901
	global_load_ushort v42, v[0:1], off
	global_load_ushort v41, v[4:5], off
	;; [unrolled: 1-line block ×8, first 2 shown]
	v_add_co_u32_e32 v0, vcc, s0, v117
	s_cselect_b32 s0, s8, 0x480
	v_mov_b32_e32 v1, s1
	s_ashr_i32 s1, s0, 31
	s_lshl_b64 s[0:1], s[0:1], 1
	v_addc_co_u32_e32 v1, vcc, v118, v1, vcc
	s_cmpk_lt_i32 s33, 0xa01
	v_add_co_u32_e32 v4, vcc, s0, v117
	s_cselect_b32 s0, s8, 0x500
	v_mov_b32_e32 v5, s1
	s_ashr_i32 s1, s0, 31
	s_lshl_b64 s[0:1], s[0:1], 1
	v_addc_co_u32_e32 v5, vcc, v118, v5, vcc
	s_cmpk_lt_i32 s33, 0xb01
	;; [unrolled: 7-line block ×6, first 2 shown]
	v_add_co_u32_e32 v14, vcc, s0, v117
	s_cselect_b32 s0, s8, 0x780
	v_mov_b32_e32 v15, s1
	s_ashr_i32 s1, s0, 31
	v_addc_co_u32_e32 v15, vcc, v118, v15, vcc
	s_lshl_b64 s[0:1], s[0:1], 1
	v_mov_b32_e32 v17, s1
	v_add_co_u32_e32 v16, vcc, s0, v117
	v_addc_co_u32_e32 v17, vcc, v118, v17, vcc
	global_load_ushort v49, v[0:1], off
	global_load_ushort v50, v[4:5], off
	;; [unrolled: 1-line block ×8, first 2 shown]
	s_cmpk_gt_i32 s33, 0x1000
	s_cselect_b64 s[0:1], -1, 0
	s_cmpk_lt_i32 s33, 0x1001
	v_mov_b32_e32 v59, 0
	v_mov_b32_e32 v60, 0
	;; [unrolled: 1-line block ×48, first 2 shown]
	s_barrier
	s_cbranch_scc1 .LBB306_12
; %bb.10:
	s_cmpk_lt_u32 s33, 0x1101
	s_cselect_b32 s2, s8, 0x880
	s_ashr_i32 s3, s2, 31
	v_add_co_u32_e32 v0, vcc, 0x1000, v117
	s_lshl_b64 s[2:3], s[2:3], 1
	v_addc_co_u32_e32 v1, vcc, 0, v118, vcc
	s_cmpk_lt_u32 s33, 0x1201
	v_add_co_u32_e32 v4, vcc, s2, v117
	s_cselect_b32 s2, s8, 0x900
	v_mov_b32_e32 v5, s3
	s_ashr_i32 s3, s2, 31
	s_lshl_b64 s[2:3], s[2:3], 1
	v_addc_co_u32_e32 v5, vcc, v118, v5, vcc
	s_cmpk_lt_u32 s33, 0x1301
	v_add_co_u32_e32 v6, vcc, s2, v117
	s_cselect_b32 s2, s8, 0x980
	v_mov_b32_e32 v7, s3
	s_ashr_i32 s3, s2, 31
	;; [unrolled: 7-line block ×7, first 2 shown]
	s_lshl_b64 s[2:3], s[2:3], 1
	v_addc_co_u32_e32 v17, vcc, v118, v17, vcc
	s_cmpk_lt_u32 s33, 0x1901
	global_load_ushort v58, v[0:1], off
	global_load_ushort v57, v[4:5], off
	;; [unrolled: 1-line block ×8, first 2 shown]
	v_add_co_u32_e32 v0, vcc, s2, v117
	s_cselect_b32 s2, s8, 0xc80
	v_mov_b32_e32 v1, s3
	s_ashr_i32 s3, s2, 31
	s_lshl_b64 s[2:3], s[2:3], 1
	v_addc_co_u32_e32 v1, vcc, v118, v1, vcc
	s_cmpk_lt_u32 s33, 0x1a01
	v_add_co_u32_e32 v4, vcc, s2, v117
	s_cselect_b32 s2, s8, 0xd00
	v_mov_b32_e32 v5, s3
	s_ashr_i32 s3, s2, 31
	s_lshl_b64 s[2:3], s[2:3], 1
	v_addc_co_u32_e32 v5, vcc, v118, v5, vcc
	s_cmpk_lt_u32 s33, 0x1b01
	;; [unrolled: 7-line block ×6, first 2 shown]
	v_add_co_u32_e32 v14, vcc, s2, v117
	s_cselect_b32 s2, s8, 0xf80
	v_mov_b32_e32 v15, s3
	s_ashr_i32 s3, s2, 31
	v_addc_co_u32_e32 v15, vcc, v118, v15, vcc
	s_lshl_b64 s[2:3], s[2:3], 1
	v_mov_b32_e32 v17, s3
	v_add_co_u32_e32 v16, vcc, s2, v117
	v_addc_co_u32_e32 v17, vcc, v118, v17, vcc
	global_load_ushort v66, v[0:1], off
	global_load_ushort v65, v[4:5], off
	;; [unrolled: 1-line block ×8, first 2 shown]
	s_cmpk_lt_u32 s33, 0x2001
	v_mov_b32_e32 v33, 0
	v_mov_b32_e32 v31, 0
	;; [unrolled: 1-line block ×32, first 2 shown]
	s_cbranch_scc1 .LBB306_12
; %bb.11:
	s_cmpk_lt_u32 s33, 0x2101
	s_cselect_b32 s2, s8, 0x1080
	s_ashr_i32 s3, s2, 31
	s_lshl_b64 s[2:3], s[2:3], 1
	s_cmpk_lt_u32 s33, 0x2201
	v_add_co_u32_e32 v0, vcc, s2, v117
	s_cselect_b32 s2, s8, 0x1100
	v_mov_b32_e32 v1, s3
	s_ashr_i32 s3, s2, 31
	s_lshl_b64 s[2:3], s[2:3], 1
	v_addc_co_u32_e32 v1, vcc, v118, v1, vcc
	s_cmpk_lt_u32 s33, 0x2301
	v_add_co_u32_e32 v4, vcc, s2, v117
	s_cselect_b32 s2, s8, 0x1180
	v_mov_b32_e32 v5, s3
	s_ashr_i32 s3, s2, 31
	s_lshl_b64 s[2:3], s[2:3], 1
	v_addc_co_u32_e32 v5, vcc, v118, v5, vcc
	;; [unrolled: 7-line block ×30, first 2 shown]
	v_mov_b32_e32 v67, s3
	s_movk_i32 s3, 0x2000
	v_add_co_u32_e32 v94, vcc, s3, v117
	v_addc_co_u32_e32 v95, vcc, 0, v118, vcc
	global_load_ushort v96, v[94:95], off
	global_load_ushort v97, v[0:1], off
	;; [unrolled: 1-line block ×15, first 2 shown]
                                        ; kill: killed $vgpr16 killed $vgpr17
                                        ; kill: killed $vgpr24 killed $vgpr25
                                        ; kill: killed $vgpr6 killed $vgpr7
                                        ; kill: killed $vgpr68 killed $vgpr69
                                        ; kill: killed $vgpr12 killed $vgpr13
                                        ; kill: killed $vgpr18 killed $vgpr19
                                        ; kill: killed $vgpr0 killed $vgpr1
                                        ; kill: killed $vgpr28 killed $vgpr29
                                        ; kill: killed $vgpr8 killed $vgpr9
                                        ; kill: killed $vgpr14 killed $vgpr15
                                        ; kill: killed $vgpr20 killed $vgpr21
                                        ; kill: killed $vgpr4 killed $vgpr5
                                        ; kill: killed $vgpr94 killed $vgpr95
                                        ; kill: killed $vgpr32 killed $vgpr33
                                        ; kill: killed $vgpr10 killed $vgpr11
	global_load_ushort v4, v[22:23], off
	global_load_ushort v5, v[26:27], off
	;; [unrolled: 1-line block ×15, first 2 shown]
                                        ; kill: killed $vgpr80 killed $vgpr81
                                        ; kill: killed $vgpr26 killed $vgpr27
                                        ; kill: killed $vgpr86 killed $vgpr87
                                        ; kill: killed $vgpr70 killed $vgpr71
                                        ; kill: killed $vgpr92 killed $vgpr93
                                        ; kill: killed $vgpr76 killed $vgpr77
                                        ; kill: killed $vgpr82 killed $vgpr83
                                        ; kill: killed $vgpr30 killed $vgpr31
                                        ; kill: killed $vgpr88 killed $vgpr89
                                        ; kill: killed $vgpr72 killed $vgpr73
                                        ; kill: killed $vgpr78 killed $vgpr79
                                        ; kill: killed $vgpr22 killed $vgpr23
                                        ; kill: killed $vgpr34 killed $vgpr35
                                        ; kill: killed $vgpr90 killed $vgpr91
                                        ; kill: killed $vgpr74 killed $vgpr75
	global_load_ushort v34, v[84:85], off
	v_add_co_u32_e32 v0, vcc, s2, v117
	v_addc_co_u32_e32 v1, vcc, v118, v67, vcc
	global_load_ushort v1, v[0:1], off
	s_waitcnt vmcnt(31)
	v_lshlrev_b32_e32 v33, 16, v96
	s_waitcnt vmcnt(30)
	v_lshlrev_b32_e32 v31, 16, v97
	;; [unrolled: 2-line block ×32, first 2 shown]
.LBB306_12:
	ds_read_b128 v[68:71], v3
	s_waitcnt vmcnt(15)
	v_lshlrev_b32_e32 v34, 16, v42
	ds_read_b128 v[72:75], v3 offset:16
	ds_read_b128 v[76:79], v3 offset:32
	;; [unrolled: 1-line block ×3, first 2 shown]
	s_waitcnt vmcnt(10)
	v_lshlrev_b32_e32 v35, 16, v38
	s_andn2_b64 vcc, exec, s[0:1]
	s_waitcnt lgkmcnt(3)
	v_fma_f32 v42, v68, v34, 0
	v_lshlrev_b32_e32 v34, 16, v41
	v_fmac_f32_e32 v42, v69, v34
	v_lshlrev_b32_e32 v34, 16, v40
	v_fmac_f32_e32 v42, v70, v34
	;; [unrolled: 2-line block ×3, first 2 shown]
	v_lshlrev_b32_e32 v34, 16, v37
	s_waitcnt lgkmcnt(2)
	v_pk_mul_f32 v[34:35], v[72:73], v[34:35]
	v_add_f32_e32 v34, v42, v34
	v_add_f32_e32 v37, v34, v35
	s_waitcnt vmcnt(8)
	v_lshlrev_b32_e32 v35, 16, v36
	v_lshlrev_b32_e32 v34, 16, v2
	v_pk_mul_f32 v[34:35], v[74:75], v[34:35]
	v_add_f32_e32 v2, v37, v34
	v_add_f32_e32 v2, v2, v35
	s_waitcnt vmcnt(6)
	v_lshlrev_b32_e32 v35, 16, v50
	v_lshlrev_b32_e32 v34, 16, v49
	s_waitcnt lgkmcnt(1)
	v_pk_mul_f32 v[34:35], v[76:77], v[34:35]
	v_add_f32_e32 v2, v2, v34
	v_add_f32_e32 v2, v2, v35
	s_waitcnt vmcnt(4)
	v_lshlrev_b32_e32 v35, 16, v48
	v_lshlrev_b32_e32 v34, 16, v47
	v_pk_mul_f32 v[34:35], v[78:79], v[34:35]
	v_add_f32_e32 v2, v2, v34
	v_add_f32_e32 v2, v2, v35
	s_waitcnt vmcnt(2)
	v_lshlrev_b32_e32 v35, 16, v46
	v_lshlrev_b32_e32 v34, 16, v45
	s_waitcnt lgkmcnt(0)
	v_pk_mul_f32 v[34:35], v[80:81], v[34:35]
	v_add_f32_e32 v2, v2, v34
	v_add_f32_e32 v2, v2, v35
	s_waitcnt vmcnt(0)
	v_lshlrev_b32_e32 v35, 16, v44
	v_lshlrev_b32_e32 v34, 16, v43
	v_pk_mul_f32 v[34:35], v[82:83], v[34:35]
	v_add_f32_e32 v2, v2, v34
	v_add_f32_e32 v119, v2, v35
	s_cbranch_vccnz .LBB306_15
; %bb.13:
	ds_read_b128 v[34:37], v3 offset:64
	v_lshlrev_b32_e32 v2, 16, v58
	ds_read_b128 v[38:41], v3 offset:80
	ds_read_b128 v[42:45], v3 offset:96
	;; [unrolled: 1-line block ×3, first 2 shown]
	s_cmpk_lt_u32 s33, 0x2001
	s_waitcnt lgkmcnt(3)
	v_fmac_f32_e32 v119, v34, v2
	v_lshlrev_b32_e32 v2, 16, v57
	v_fmac_f32_e32 v119, v35, v2
	v_lshlrev_b32_e32 v2, 16, v56
	v_fmac_f32_e32 v119, v36, v2
	v_lshlrev_b32_e32 v2, 16, v55
	v_fmac_f32_e32 v119, v37, v2
	v_lshlrev_b32_e32 v2, 16, v54
	s_waitcnt lgkmcnt(2)
	v_fmac_f32_e32 v119, v38, v2
	v_lshlrev_b32_e32 v2, 16, v53
	v_fmac_f32_e32 v119, v39, v2
	v_lshlrev_b32_e32 v2, 16, v52
	v_fmac_f32_e32 v119, v40, v2
	v_lshlrev_b32_e32 v2, 16, v51
	v_fmac_f32_e32 v119, v41, v2
	v_lshlrev_b32_e32 v2, 16, v66
	;; [unrolled: 9-line block ×3, first 2 shown]
	s_waitcnt lgkmcnt(0)
	v_fmac_f32_e32 v119, v46, v2
	v_lshlrev_b32_e32 v2, 16, v61
	v_fmac_f32_e32 v119, v47, v2
	v_lshlrev_b32_e32 v2, 16, v60
	;; [unrolled: 2-line block ×3, first 2 shown]
	v_fmac_f32_e32 v119, v49, v2
	s_cbranch_scc1 .LBB306_15
; %bb.14:
	v_mov_b32_e32 v50, 0
	ds_read_b128 v[34:37], v50 offset:128
	ds_read_b128 v[38:41], v50 offset:144
	;; [unrolled: 1-line block ×4, first 2 shown]
	s_waitcnt lgkmcnt(3)
	v_fmac_f32_e32 v119, v34, v33
	v_fmac_f32_e32 v119, v35, v31
	v_fmac_f32_e32 v119, v36, v32
	v_fmac_f32_e32 v119, v37, v29
	s_waitcnt lgkmcnt(2)
	v_fmac_f32_e32 v119, v38, v30
	v_fmac_f32_e32 v119, v39, v27
	v_fmac_f32_e32 v119, v40, v28
	v_fmac_f32_e32 v119, v41, v25
	s_waitcnt lgkmcnt(1)
	v_fmac_f32_e32 v119, v42, v26
	v_fmac_f32_e32 v119, v43, v23
	v_fmac_f32_e32 v119, v44, v24
	v_fmac_f32_e32 v119, v45, v21
	s_waitcnt lgkmcnt(0)
	v_fmac_f32_e32 v119, v46, v22
	ds_read_b128 v[22:25], v50 offset:192
	v_fmac_f32_e32 v119, v47, v19
	v_fmac_f32_e32 v119, v48, v20
	;; [unrolled: 1-line block ×3, first 2 shown]
	ds_read_b128 v[18:21], v50 offset:208
	s_waitcnt lgkmcnt(1)
	v_fmac_f32_e32 v119, v22, v17
	v_fmac_f32_e32 v119, v23, v15
	;; [unrolled: 1-line block ×4, first 2 shown]
	s_waitcnt lgkmcnt(0)
	v_pk_mul_f32 v[2:3], v[18:19], v[12:13]
	ds_read_b128 v[12:15], v50 offset:224
	v_add_f32_e32 v2, v119, v2
	v_add_f32_e32 v16, v2, v3
	v_pk_mul_f32 v[2:3], v[20:21], v[10:11]
	v_add_f32_e32 v2, v16, v2
	ds_read_b128 v[16:19], v50 offset:240
	v_add_f32_e32 v10, v2, v3
	s_waitcnt lgkmcnt(1)
	v_pk_mul_f32 v[2:3], v[12:13], v[8:9]
	v_add_f32_e32 v2, v10, v2
	v_add_f32_e32 v8, v2, v3
	v_pk_mul_f32 v[2:3], v[14:15], v[6:7]
	v_add_f32_e32 v2, v8, v2
	v_add_f32_e32 v6, v2, v3
	s_waitcnt lgkmcnt(0)
	v_pk_mul_f32 v[2:3], v[16:17], v[4:5]
	v_add_f32_e32 v2, v6, v2
	v_add_f32_e32 v2, v2, v3
	v_pk_mul_f32 v[0:1], v[18:19], v[0:1]
	v_add_f32_e32 v0, v2, v0
	v_add_f32_e32 v119, v0, v1
.LBB306_15:
	s_cmpk_lt_i32 s33, 0x4001
	s_cbranch_scc0 .LBB306_26
; %bb.16:
	s_load_dwordx2 s[0:1], s[4:5], 0x38
	s_cmp_lt_i32 s33, 0x8001
	s_cbranch_scc0 .LBB306_27
.LBB306_17:
	v_mov_b32_e32 v0, 0
	ds_read_b32 v0, v0 offset:768
	s_waitcnt lgkmcnt(0)
	s_cmp_eq_u64 s[0:1], 0
	s_cbranch_scc1 .LBB306_28
.LBB306_18:
	s_load_dword s2, s[0:1], 0x0
	s_waitcnt lgkmcnt(0)
	v_div_scale_f32 v1, s[0:1], s2, s2, 1.0
	v_rcp_f32_e32 v2, v1
	v_div_scale_f32 v3, vcc, 1.0, s2, 1.0
	v_fma_f32 v4, -v1, v2, 1.0
	v_fmac_f32_e32 v2, v4, v2
	v_mul_f32_e32 v4, v3, v2
	v_fma_f32 v5, -v1, v4, v3
	v_fmac_f32_e32 v4, v5, v2
	v_fma_f32 v1, -v1, v4, v3
	v_div_fmas_f32 v1, v1, v2, v4
	v_div_fixup_f32 v1, v1, s2, 1.0
	s_andn2_b64 vcc, exec, s[22:23]
	s_cbranch_vccnz .LBB306_20
.LBB306_19:
	s_add_u32 s0, s20, s24
	s_addc_u32 s1, s21, s25
	s_load_dword s10, s[0:1], 0x0
	s_mov_b32 s11, 0
.LBB306_20:
	s_waitcnt lgkmcnt(0)
	v_add_f32_e32 v0, 0x358637bd, v0
	v_div_scale_f32 v2, s[0:1], v0, v0, 1.0
	v_rcp_f32_e32 v3, v2
	s_load_dwordx2 s[0:1], s[4:5], 0x0
	s_mov_b32 s2, 0x7f800000
	v_fma_f32 v4, -v2, v3, 1.0
	v_fmac_f32_e32 v3, v4, v3
	v_div_scale_f32 v4, vcc, 1.0, v0, 1.0
	v_mul_f32_e32 v5, v4, v3
	v_fma_f32 v6, -v2, v5, v4
	v_fmac_f32_e32 v5, v6, v3
	v_fma_f32 v2, -v2, v5, v4
	v_div_fmas_f32 v2, v2, v3, v5
	v_div_fixup_f32 v0, v2, v0, 1.0
	v_mul_f32_e32 v0, v119, v0
	v_mul_f32_e32 v1, v0, v1
	v_and_b32_e32 v0, 0x7f800000, v1
	v_cmp_ne_u32_e32 vcc, s2, v0
                                        ; implicit-def: $vgpr0
	s_and_saveexec_b64 s[2:3], vcc
	s_xor_b64 s[2:3], exec, s[2:3]
; %bb.21:
	v_bfe_u32 v0, v1, 16, 1
	s_movk_i32 s4, 0x7fff
	v_add3_u32 v0, v1, v0, s4
                                        ; implicit-def: $vgpr1
; %bb.22:
	s_andn2_saveexec_b64 s[2:3], s[2:3]
; %bb.23:
	v_mov_b32_e32 v0, 0
	v_or_b32_e32 v2, 0x10000, v1
	v_cmp_eq_u32_sdwa vcc, v1, v0 src0_sel:WORD_0 src1_sel:DWORD
	v_cndmask_b32_e32 v0, v2, v1, vcc
; %bb.24:
	s_or_b64 exec, exec, s[2:3]
	s_mul_i32 s2, s7, s11
	s_mul_hi_u32 s3, s7, s10
	s_add_i32 s3, s3, s2
	s_mul_i32 s2, s7, s10
	s_lshl_b64 s[2:3], s[2:3], 8
	s_waitcnt lgkmcnt(0)
	s_add_u32 s2, s0, s2
	s_mov_b32 s7, 0
	s_addc_u32 s3, s1, s3
	s_lshl_b64 s[0:1], s[6:7], 8
	s_add_u32 s0, s2, s0
	s_addc_u32 s1, s3, s1
	global_store_short_d16_hi v116, v0, s[0:1]
	s_endpgm
.LBB306_25:
	s_mov_b64 s[2:3], 0
	s_branch .LBB306_2
.LBB306_26:
	s_cmpk_lt_i32 s33, 0x4101
	s_cselect_b32 s0, s8, 0x2080
	s_ashr_i32 s1, s0, 31
	s_lshl_b64 s[0:1], s[0:1], 1
	s_cmpk_lt_i32 s33, 0x4201
	v_add_co_u32_e32 v28, vcc, s0, v117
	s_cselect_b32 s0, s8, 0x2100
	v_mov_b32_e32 v0, s1
	s_ashr_i32 s1, s0, 31
	s_lshl_b64 s[0:1], s[0:1], 1
	v_addc_co_u32_e32 v29, vcc, v118, v0, vcc
	s_cmpk_lt_i32 s33, 0x4301
	v_add_co_u32_e32 v30, vcc, s0, v117
	s_cselect_b32 s0, s8, 0x2180
	v_mov_b32_e32 v0, s1
	s_ashr_i32 s1, s0, 31
	s_lshl_b64 s[0:1], s[0:1], 1
	v_addc_co_u32_e32 v31, vcc, v118, v0, vcc
	;; [unrolled: 7-line block ×55, first 2 shown]
	s_cmpk_lt_i32 s33, 0x7901
	v_add_co_u32_e32 v110, vcc, s0, v117
	s_cselect_b32 s0, s8, 0x3c80
	v_mov_b32_e32 v111, s1
	s_ashr_i32 s1, s0, 31
	v_addc_co_u32_e32 v111, vcc, v118, v111, vcc
	s_lshl_b64 s[0:1], s[0:1], 1
	v_mov_b32_e32 v113, s1
	v_add_co_u32_e32 v112, vcc, s0, v117
	v_addc_co_u32_e32 v113, vcc, v118, v113, vcc
	s_movk_i32 s0, 0x4000
	v_add_co_u32_e32 v114, vcc, s0, v117
	v_addc_co_u32_e32 v115, vcc, 0, v118, vcc
	global_load_ushort v120, v[114:115], off
	global_load_ushort v125, v[40:41], off
	global_load_ushort v121, v[28:29], off
	global_load_ushort v122, v[30:31], off
	global_load_ushort v123, v[34:35], off
	global_load_ushort v124, v[38:39], off
	global_load_ushort v126, v[42:43], off
	global_load_ushort v127, v[48:49], off
	s_cmpk_lt_i32 s33, 0x7a01
	global_load_ushort v42, v[50:51], off
	global_load_ushort v43, v[54:55], off
	;; [unrolled: 1-line block ×4, first 2 shown]
	s_cselect_b32 s0, s8, 0x3d00
	global_load_ushort v50, v[62:63], off
	global_load_ushort v51, v[64:65], off
	;; [unrolled: 1-line block ×5, first 2 shown]
	s_ashr_i32 s1, s0, 31
	s_lshl_b64 s[0:1], s[0:1], 1
	s_cmpk_lt_i32 s33, 0x7b01
	v_add_co_u32_e32 v114, vcc, s0, v117
	s_cselect_b32 s0, s8, 0x3d80
	v_mov_b32_e32 v115, s1
	s_ashr_i32 s1, s0, 31
	s_lshl_b64 s[0:1], s[0:1], 1
	v_addc_co_u32_e32 v115, vcc, v118, v115, vcc
	s_cmpk_lt_i32 s33, 0x7c01
	v_add_co_u32_e32 v28, vcc, s0, v117
	s_cselect_b32 s0, s8, 0x3e00
	v_mov_b32_e32 v29, s1
	s_ashr_i32 s1, s0, 31
	s_lshl_b64 s[0:1], s[0:1], 1
	v_addc_co_u32_e32 v29, vcc, v118, v29, vcc
	;; [unrolled: 7-line block ×4, first 2 shown]
	s_cmpk_lt_i32 s33, 0x7f01
	v_add_co_u32_e32 v38, vcc, s0, v117
	s_cselect_b32 s0, s8, 0x3f80
	v_mov_b32_e32 v39, s1
	s_ashr_i32 s1, s0, 31
	v_addc_co_u32_e32 v39, vcc, v118, v39, vcc
	s_lshl_b64 s[0:1], s[0:1], 1
	v_mov_b32_e32 v41, s1
	v_add_co_u32_e32 v40, vcc, s0, v117
	v_addc_co_u32_e32 v41, vcc, v118, v41, vcc
	global_load_ushort v57, v[0:1], off
	global_load_ushort v60, v[2:3], off
	;; [unrolled: 1-line block ×10, first 2 shown]
	v_mov_b32_e32 v35, 0
	global_load_ushort v38, v[6:7], off
	ds_read_b128 v[0:3], v35 offset:256
	ds_read_b128 v[4:7], v35 offset:272
	global_load_ushort v39, v[8:9], off
	global_load_ushort v40, v[10:11], off
	ds_read_b128 v[8:11], v35 offset:288
	ds_read_b128 v[28:31], v35 offset:304
	global_load_ushort v12, v[12:13], off
	s_waitcnt vmcnt(30)
	v_lshlrev_b32_e32 v34, 16, v120
	s_waitcnt lgkmcnt(3)
	v_fmac_f32_e32 v119, v0, v34
	s_waitcnt vmcnt(28)
	v_lshlrev_b32_e32 v0, 16, v121
	v_fmac_f32_e32 v119, v1, v0
	s_waitcnt vmcnt(27)
	v_lshlrev_b32_e32 v0, 16, v122
	;; [unrolled: 3-line block ×4, first 2 shown]
	s_waitcnt lgkmcnt(2)
	v_fmac_f32_e32 v119, v4, v0
	v_lshlrev_b32_e32 v0, 16, v125
	v_fmac_f32_e32 v119, v5, v0
	s_waitcnt vmcnt(24)
	v_lshlrev_b32_e32 v0, 16, v126
	v_fmac_f32_e32 v119, v6, v0
	s_waitcnt vmcnt(23)
	;; [unrolled: 3-line block ×3, first 2 shown]
	v_lshlrev_b32_e32 v0, 16, v42
	s_waitcnt lgkmcnt(1)
	v_fmac_f32_e32 v119, v8, v0
	global_load_ushort v8, v[52:53], off
	s_waitcnt vmcnt(22)
	v_lshlrev_b32_e32 v0, 16, v43
	v_fmac_f32_e32 v119, v9, v0
	s_waitcnt vmcnt(21)
	v_lshlrev_b32_e32 v0, 16, v48
	v_fmac_f32_e32 v119, v10, v0
	;; [unrolled: 3-line block ×3, first 2 shown]
	s_waitcnt vmcnt(19)
	v_lshlrev_b32_e32 v0, 16, v50
	s_waitcnt lgkmcnt(0)
	v_fmac_f32_e32 v119, v28, v0
	global_load_ushort v28, v[84:85], off
	global_load_ushort v34, v[94:95], off
	;; [unrolled: 1-line block ×4, first 2 shown]
	s_waitcnt vmcnt(22)
	v_lshlrev_b32_e32 v0, 16, v51
	v_fmac_f32_e32 v119, v29, v0
	global_load_ushort v29, v[86:87], off
	global_load_ushort v14, v[16:17], off
	;; [unrolled: 1-line block ×4, first 2 shown]
	s_waitcnt vmcnt(25)
	v_lshlrev_b32_e32 v0, 16, v54
	v_fmac_f32_e32 v119, v30, v0
	global_load_ushort v30, v[88:89], off
	global_load_ushort v16, v[20:21], off
	;; [unrolled: 1-line block ×6, first 2 shown]
	s_waitcnt vmcnt(30)
	v_lshlrev_b32_e32 v0, 16, v55
	v_fmac_f32_e32 v119, v31, v0
	global_load_ushort v31, v[92:93], off
	global_load_ushort v20, v[32:33], off
	;; [unrolled: 1-line block ×10, first 2 shown]
	ds_read_b128 v[0:3], v35 offset:320
	ds_read_b128 v[4:7], v35 offset:336
	s_waitcnt vmcnt(39)
	v_lshlrev_b32_e32 v33, 16, v56
	global_load_ushort v36, v[98:99], off
	s_waitcnt lgkmcnt(1)
	v_fmac_f32_e32 v119, v0, v33
	global_load_ushort v33, v[96:97], off
	global_load_ushort v37, v[100:101], off
	;; [unrolled: 1-line block ×6, first 2 shown]
	s_waitcnt vmcnt(45)
	v_lshlrev_b32_e32 v0, 16, v57
	v_fmac_f32_e32 v119, v1, v0
	s_waitcnt vmcnt(44)
	v_lshlrev_b32_e32 v0, 16, v60
	v_fmac_f32_e32 v119, v2, v0
	;; [unrolled: 3-line block ×3, first 2 shown]
	s_waitcnt vmcnt(35)
	v_lshlrev_b32_e32 v0, 16, v38
	global_load_ushort v38, v[110:111], off
	s_waitcnt lgkmcnt(0)
	v_fmac_f32_e32 v119, v4, v0
	s_waitcnt vmcnt(35)
	v_lshlrev_b32_e32 v0, 16, v39
	v_fmac_f32_e32 v119, v5, v0
	s_waitcnt vmcnt(34)
	v_lshlrev_b32_e32 v0, 16, v40
	v_fmac_f32_e32 v119, v6, v0
	ds_read_b128 v[0:3], v35 offset:352
	s_waitcnt vmcnt(33)
	v_lshlrev_b32_e32 v4, 16, v12
	v_fmac_f32_e32 v119, v7, v4
	ds_read_b128 v[4:7], v35 offset:368
	s_waitcnt vmcnt(29)
	v_lshlrev_b32_e32 v12, 16, v13
	s_waitcnt lgkmcnt(1)
	v_fmac_f32_e32 v119, v0, v12
	s_waitcnt vmcnt(26)
	v_lshlrev_b32_e32 v0, 16, v14
	v_fmac_f32_e32 v119, v1, v0
	s_waitcnt vmcnt(25)
	v_lshlrev_b32_e32 v0, 16, v15
	;; [unrolled: 3-line block ×4, first 2 shown]
	s_waitcnt lgkmcnt(0)
	v_fmac_f32_e32 v119, v4, v0
	s_waitcnt vmcnt(20)
	v_lshlrev_b32_e32 v0, 16, v18
	v_fmac_f32_e32 v119, v5, v0
	s_waitcnt vmcnt(19)
	v_lshlrev_b32_e32 v0, 16, v19
	v_fmac_f32_e32 v119, v6, v0
	ds_read_b128 v[0:3], v35 offset:384
	s_waitcnt vmcnt(16)
	v_lshlrev_b32_e32 v4, 16, v20
	v_fmac_f32_e32 v119, v7, v4
	ds_read_b128 v[4:7], v35 offset:400
	s_waitcnt vmcnt(15)
	v_lshlrev_b32_e32 v12, 16, v21
	s_waitcnt lgkmcnt(1)
	v_fmac_f32_e32 v119, v0, v12
	s_waitcnt vmcnt(14)
	v_lshlrev_b32_e32 v0, 16, v22
	v_fmac_f32_e32 v119, v1, v0
	s_waitcnt vmcnt(13)
	v_lshlrev_b32_e32 v0, 16, v23
	v_fmac_f32_e32 v119, v2, v0
	v_lshlrev_b32_e32 v0, 16, v8
	v_fmac_f32_e32 v119, v3, v0
	s_waitcnt vmcnt(12)
	v_lshlrev_b32_e32 v0, 16, v24
	s_waitcnt lgkmcnt(0)
	v_fmac_f32_e32 v119, v4, v0
	v_lshlrev_b32_e32 v0, 16, v9
	v_fmac_f32_e32 v119, v5, v0
	s_waitcnt vmcnt(11)
	v_lshlrev_b32_e32 v0, 16, v25
	v_fmac_f32_e32 v119, v6, v0
	ds_read_b128 v[0:3], v35 offset:416
	v_lshlrev_b32_e32 v4, 16, v10
	v_fmac_f32_e32 v119, v7, v4
	ds_read_b128 v[4:7], v35 offset:432
	v_lshlrev_b32_e32 v8, 16, v11
	s_waitcnt lgkmcnt(1)
	v_fmac_f32_e32 v119, v0, v8
	s_waitcnt vmcnt(10)
	v_lshlrev_b32_e32 v0, 16, v26
	v_fmac_f32_e32 v119, v1, v0
	s_waitcnt vmcnt(9)
	v_lshlrev_b32_e32 v0, 16, v27
	v_fmac_f32_e32 v119, v2, v0
	v_lshlrev_b32_e32 v0, 16, v28
	v_fmac_f32_e32 v119, v3, v0
	v_lshlrev_b32_e32 v0, 16, v29
	s_waitcnt lgkmcnt(0)
	v_fmac_f32_e32 v119, v4, v0
	v_lshlrev_b32_e32 v0, 16, v30
	v_fmac_f32_e32 v119, v5, v0
	s_waitcnt vmcnt(8)
	v_lshlrev_b32_e32 v0, 16, v32
	v_fmac_f32_e32 v119, v6, v0
	ds_read_b128 v[0:3], v35 offset:448
	v_lshlrev_b32_e32 v4, 16, v31
	v_fmac_f32_e32 v119, v7, v4
	ds_read_b128 v[4:7], v35 offset:464
	v_lshlrev_b32_e32 v8, 16, v34
	s_waitcnt lgkmcnt(1)
	v_fmac_f32_e32 v119, v0, v8
	s_waitcnt vmcnt(6)
	v_lshlrev_b32_e32 v0, 16, v33
	v_fmac_f32_e32 v119, v1, v0
	v_lshlrev_b32_e32 v0, 16, v36
	v_fmac_f32_e32 v119, v2, v0
	s_waitcnt vmcnt(5)
	v_lshlrev_b32_e32 v0, 16, v37
	v_fmac_f32_e32 v119, v3, v0
	s_waitcnt vmcnt(3)
	v_lshlrev_b32_e32 v1, 16, v42
	v_lshlrev_b32_e32 v0, 16, v41
	s_waitcnt lgkmcnt(0)
	v_pk_mul_f32 v[0:1], v[4:5], v[0:1]
	v_add_f32_e32 v0, v119, v0
	v_add_f32_e32 v2, v0, v1
	s_waitcnt vmcnt(1)
	v_lshlrev_b32_e32 v1, 16, v44
	v_lshlrev_b32_e32 v0, 16, v43
	v_pk_mul_f32 v[4:5], v[6:7], v[0:1]
	v_add_f32_e32 v4, v2, v4
	ds_read_b128 v[0:3], v35 offset:480
	v_lshlrev_b32_e32 v9, 16, v61
	s_waitcnt vmcnt(0)
	v_lshlrev_b32_e32 v8, 16, v38
	v_add_f32_e32 v10, v4, v5
	ds_read_b128 v[4:7], v35 offset:496
	s_waitcnt lgkmcnt(1)
	v_pk_mul_f32 v[0:1], v[0:1], v[8:9]
	v_add_f32_e32 v0, v10, v0
	v_add_f32_e32 v8, v0, v1
	v_lshlrev_b32_e32 v1, 16, v63
	v_lshlrev_b32_e32 v0, 16, v62
	v_pk_mul_f32 v[0:1], v[2:3], v[0:1]
	v_add_f32_e32 v0, v8, v0
	v_add_f32_e32 v2, v0, v1
	v_lshlrev_b32_e32 v1, 16, v65
	v_lshlrev_b32_e32 v0, 16, v64
	s_waitcnt lgkmcnt(0)
	v_pk_mul_f32 v[0:1], v[4:5], v[0:1]
	v_add_f32_e32 v0, v2, v0
	v_add_f32_e32 v2, v0, v1
	v_lshlrev_b32_e32 v1, 16, v71
	v_lshlrev_b32_e32 v0, 16, v70
	v_pk_mul_f32 v[0:1], v[6:7], v[0:1]
	v_add_f32_e32 v0, v2, v0
	v_add_f32_e32 v119, v0, v1
	s_load_dwordx2 s[0:1], s[4:5], 0x38
	s_cmp_lt_i32 s33, 0x8001
	s_cbranch_scc1 .LBB306_17
.LBB306_27:
	s_cmp_lt_i32 s33, 0x8101
	s_cselect_b32 s2, s8, 0x4080
	s_ashr_i32 s3, s2, 31
	s_lshl_b64 s[2:3], s[2:3], 1
	s_cmp_lt_i32 s33, 0x8201
	v_add_co_u32_e32 v28, vcc, s2, v117
	s_cselect_b32 s2, s8, 0x4100
	v_mov_b32_e32 v0, s3
	s_ashr_i32 s3, s2, 31
	s_lshl_b64 s[2:3], s[2:3], 1
	v_addc_co_u32_e32 v29, vcc, v118, v0, vcc
	s_cmp_lt_i32 s33, 0x8301
	v_add_co_u32_e32 v30, vcc, s2, v117
	s_cselect_b32 s2, s8, 0x4180
	v_mov_b32_e32 v0, s3
	s_ashr_i32 s3, s2, 31
	s_lshl_b64 s[2:3], s[2:3], 1
	v_addc_co_u32_e32 v31, vcc, v118, v0, vcc
	;; [unrolled: 7-line block ×55, first 2 shown]
	s_cmp_lt_i32 s33, 0xb901
	v_add_co_u32_e32 v110, vcc, s2, v117
	s_cselect_b32 s2, s8, 0x5c80
	v_mov_b32_e32 v111, s3
	s_ashr_i32 s3, s2, 31
	v_addc_co_u32_e32 v111, vcc, v118, v111, vcc
	s_lshl_b64 s[2:3], s[2:3], 1
	v_mov_b32_e32 v113, s3
	v_add_co_u32_e32 v112, vcc, s2, v117
	v_addc_co_u32_e32 v113, vcc, v118, v113, vcc
	s_mov_b32 s2, 0x8000
	v_add_co_u32_e32 v114, vcc, s2, v117
	v_addc_co_u32_e32 v115, vcc, 0, v118, vcc
	global_load_ushort v120, v[114:115], off
	global_load_ushort v125, v[40:41], off
	;; [unrolled: 1-line block ×8, first 2 shown]
	s_cmp_lt_i32 s33, 0xba01
	global_load_ushort v42, v[50:51], off
	global_load_ushort v43, v[54:55], off
	;; [unrolled: 1-line block ×4, first 2 shown]
	s_cselect_b32 s2, s8, 0x5d00
	global_load_ushort v50, v[62:63], off
	global_load_ushort v51, v[64:65], off
	;; [unrolled: 1-line block ×5, first 2 shown]
	s_ashr_i32 s3, s2, 31
	s_lshl_b64 s[2:3], s[2:3], 1
	s_cmp_lt_i32 s33, 0xbb01
	v_add_co_u32_e32 v114, vcc, s2, v117
	s_cselect_b32 s2, s8, 0x5d80
	v_mov_b32_e32 v115, s3
	s_ashr_i32 s3, s2, 31
	s_lshl_b64 s[2:3], s[2:3], 1
	v_addc_co_u32_e32 v115, vcc, v118, v115, vcc
	s_cmp_lt_i32 s33, 0xbc01
	v_add_co_u32_e32 v28, vcc, s2, v117
	s_cselect_b32 s2, s8, 0x5e00
	v_mov_b32_e32 v29, s3
	s_ashr_i32 s3, s2, 31
	s_lshl_b64 s[2:3], s[2:3], 1
	v_addc_co_u32_e32 v29, vcc, v118, v29, vcc
	s_cmp_lt_i32 s33, 0xbd01
	v_add_co_u32_e32 v30, vcc, s2, v117
	s_cselect_b32 s2, s8, 0x5e80
	v_mov_b32_e32 v31, s3
	s_ashr_i32 s3, s2, 31
	s_lshl_b64 s[2:3], s[2:3], 1
	v_addc_co_u32_e32 v31, vcc, v118, v31, vcc
	s_cmp_lt_i32 s33, 0xbe01
	v_add_co_u32_e32 v34, vcc, s2, v117
	s_cselect_b32 s2, s8, 0x5f00
	v_mov_b32_e32 v35, s3
	s_ashr_i32 s3, s2, 31
	s_lshl_b64 s[2:3], s[2:3], 1
	v_addc_co_u32_e32 v35, vcc, v118, v35, vcc
	s_cmp_lt_i32 s33, 0xbf01
	v_add_co_u32_e32 v38, vcc, s2, v117
	s_cselect_b32 s2, s8, 0x5f80
	v_mov_b32_e32 v39, s3
	s_ashr_i32 s3, s2, 31
	v_addc_co_u32_e32 v39, vcc, v118, v39, vcc
	s_lshl_b64 s[2:3], s[2:3], 1
	v_mov_b32_e32 v41, s3
	v_add_co_u32_e32 v40, vcc, s2, v117
	v_addc_co_u32_e32 v41, vcc, v118, v41, vcc
	global_load_ushort v57, v[0:1], off
	global_load_ushort v60, v[2:3], off
	;; [unrolled: 1-line block ×10, first 2 shown]
	v_mov_b32_e32 v35, 0
	global_load_ushort v38, v[6:7], off
	ds_read_b128 v[0:3], v35 offset:512
	ds_read_b128 v[4:7], v35 offset:528
	global_load_ushort v39, v[8:9], off
	global_load_ushort v40, v[10:11], off
	ds_read_b128 v[8:11], v35 offset:544
	ds_read_b128 v[28:31], v35 offset:560
	global_load_ushort v12, v[12:13], off
	s_waitcnt vmcnt(30)
	v_lshlrev_b32_e32 v34, 16, v120
	s_waitcnt lgkmcnt(0)
	v_fmac_f32_e32 v119, v0, v34
	s_waitcnt vmcnt(28)
	v_lshlrev_b32_e32 v0, 16, v121
	v_fmac_f32_e32 v119, v1, v0
	s_waitcnt vmcnt(27)
	v_lshlrev_b32_e32 v0, 16, v122
	v_fmac_f32_e32 v119, v2, v0
	s_waitcnt vmcnt(26)
	v_lshlrev_b32_e32 v0, 16, v123
	v_fmac_f32_e32 v119, v3, v0
	s_waitcnt vmcnt(25)
	v_lshlrev_b32_e32 v0, 16, v124
	v_fmac_f32_e32 v119, v4, v0
	v_lshlrev_b32_e32 v0, 16, v125
	v_fmac_f32_e32 v119, v5, v0
	s_waitcnt vmcnt(24)
	v_lshlrev_b32_e32 v0, 16, v126
	v_fmac_f32_e32 v119, v6, v0
	s_waitcnt vmcnt(23)
	;; [unrolled: 3-line block ×3, first 2 shown]
	v_lshlrev_b32_e32 v0, 16, v42
	v_fmac_f32_e32 v119, v8, v0
	global_load_ushort v8, v[52:53], off
	s_waitcnt vmcnt(22)
	v_lshlrev_b32_e32 v0, 16, v43
	v_fmac_f32_e32 v119, v9, v0
	s_waitcnt vmcnt(21)
	v_lshlrev_b32_e32 v0, 16, v48
	v_fmac_f32_e32 v119, v10, v0
	;; [unrolled: 3-line block ×4, first 2 shown]
	global_load_ushort v28, v[84:85], off
	global_load_ushort v34, v[94:95], off
	;; [unrolled: 1-line block ×4, first 2 shown]
	s_waitcnt vmcnt(22)
	v_lshlrev_b32_e32 v0, 16, v51
	v_fmac_f32_e32 v119, v29, v0
	global_load_ushort v29, v[86:87], off
	global_load_ushort v14, v[16:17], off
	;; [unrolled: 1-line block ×4, first 2 shown]
	s_waitcnt vmcnt(25)
	v_lshlrev_b32_e32 v0, 16, v54
	v_fmac_f32_e32 v119, v30, v0
	global_load_ushort v30, v[88:89], off
	global_load_ushort v16, v[20:21], off
	;; [unrolled: 1-line block ×6, first 2 shown]
	s_waitcnt vmcnt(30)
	v_lshlrev_b32_e32 v0, 16, v55
	v_fmac_f32_e32 v119, v31, v0
	global_load_ushort v31, v[92:93], off
	global_load_ushort v20, v[32:33], off
	;; [unrolled: 1-line block ×10, first 2 shown]
	ds_read_b128 v[0:3], v35 offset:576
	ds_read_b128 v[4:7], v35 offset:592
	s_waitcnt vmcnt(39)
	v_lshlrev_b32_e32 v33, 16, v56
	global_load_ushort v36, v[98:99], off
	s_waitcnt lgkmcnt(1)
	v_fmac_f32_e32 v119, v0, v33
	global_load_ushort v33, v[96:97], off
	global_load_ushort v37, v[100:101], off
	;; [unrolled: 1-line block ×6, first 2 shown]
	s_waitcnt vmcnt(45)
	v_lshlrev_b32_e32 v0, 16, v57
	v_fmac_f32_e32 v119, v1, v0
	s_waitcnt vmcnt(44)
	v_lshlrev_b32_e32 v0, 16, v60
	v_fmac_f32_e32 v119, v2, v0
	;; [unrolled: 3-line block ×3, first 2 shown]
	s_waitcnt vmcnt(35)
	v_lshlrev_b32_e32 v0, 16, v38
	global_load_ushort v38, v[110:111], off
	s_waitcnt lgkmcnt(0)
	v_fmac_f32_e32 v119, v4, v0
	s_waitcnt vmcnt(35)
	v_lshlrev_b32_e32 v0, 16, v39
	v_fmac_f32_e32 v119, v5, v0
	s_waitcnt vmcnt(34)
	v_lshlrev_b32_e32 v0, 16, v40
	v_fmac_f32_e32 v119, v6, v0
	ds_read_b128 v[0:3], v35 offset:608
	s_waitcnt vmcnt(33)
	v_lshlrev_b32_e32 v4, 16, v12
	v_fmac_f32_e32 v119, v7, v4
	ds_read_b128 v[4:7], v35 offset:624
	s_waitcnt vmcnt(29)
	v_lshlrev_b32_e32 v12, 16, v13
	s_waitcnt lgkmcnt(1)
	v_fmac_f32_e32 v119, v0, v12
	s_waitcnt vmcnt(26)
	v_lshlrev_b32_e32 v0, 16, v14
	v_fmac_f32_e32 v119, v1, v0
	s_waitcnt vmcnt(25)
	v_lshlrev_b32_e32 v0, 16, v15
	v_fmac_f32_e32 v119, v2, v0
	s_waitcnt vmcnt(22)
	v_lshlrev_b32_e32 v0, 16, v16
	v_fmac_f32_e32 v119, v3, v0
	s_waitcnt vmcnt(21)
	v_lshlrev_b32_e32 v0, 16, v17
	s_waitcnt lgkmcnt(0)
	v_fmac_f32_e32 v119, v4, v0
	s_waitcnt vmcnt(20)
	v_lshlrev_b32_e32 v0, 16, v18
	v_fmac_f32_e32 v119, v5, v0
	s_waitcnt vmcnt(19)
	v_lshlrev_b32_e32 v0, 16, v19
	v_fmac_f32_e32 v119, v6, v0
	ds_read_b128 v[0:3], v35 offset:640
	s_waitcnt vmcnt(16)
	v_lshlrev_b32_e32 v4, 16, v20
	v_fmac_f32_e32 v119, v7, v4
	ds_read_b128 v[4:7], v35 offset:656
	s_waitcnt vmcnt(15)
	v_lshlrev_b32_e32 v12, 16, v21
	s_waitcnt lgkmcnt(1)
	v_fmac_f32_e32 v119, v0, v12
	s_waitcnt vmcnt(14)
	v_lshlrev_b32_e32 v0, 16, v22
	v_fmac_f32_e32 v119, v1, v0
	s_waitcnt vmcnt(13)
	v_lshlrev_b32_e32 v0, 16, v23
	v_fmac_f32_e32 v119, v2, v0
	v_lshlrev_b32_e32 v0, 16, v8
	v_fmac_f32_e32 v119, v3, v0
	s_waitcnt vmcnt(12)
	v_lshlrev_b32_e32 v0, 16, v24
	s_waitcnt lgkmcnt(0)
	v_fmac_f32_e32 v119, v4, v0
	v_lshlrev_b32_e32 v0, 16, v9
	v_fmac_f32_e32 v119, v5, v0
	s_waitcnt vmcnt(11)
	v_lshlrev_b32_e32 v0, 16, v25
	v_fmac_f32_e32 v119, v6, v0
	ds_read_b128 v[0:3], v35 offset:672
	v_lshlrev_b32_e32 v4, 16, v10
	v_fmac_f32_e32 v119, v7, v4
	ds_read_b128 v[4:7], v35 offset:688
	v_lshlrev_b32_e32 v8, 16, v11
	s_waitcnt lgkmcnt(1)
	v_fmac_f32_e32 v119, v0, v8
	s_waitcnt vmcnt(10)
	v_lshlrev_b32_e32 v0, 16, v26
	v_fmac_f32_e32 v119, v1, v0
	s_waitcnt vmcnt(9)
	v_lshlrev_b32_e32 v0, 16, v27
	v_fmac_f32_e32 v119, v2, v0
	v_lshlrev_b32_e32 v0, 16, v28
	v_fmac_f32_e32 v119, v3, v0
	v_lshlrev_b32_e32 v0, 16, v29
	s_waitcnt lgkmcnt(0)
	v_fmac_f32_e32 v119, v4, v0
	v_lshlrev_b32_e32 v0, 16, v30
	v_fmac_f32_e32 v119, v5, v0
	s_waitcnt vmcnt(8)
	v_lshlrev_b32_e32 v0, 16, v32
	v_fmac_f32_e32 v119, v6, v0
	ds_read_b128 v[0:3], v35 offset:704
	v_lshlrev_b32_e32 v4, 16, v31
	v_fmac_f32_e32 v119, v7, v4
	ds_read_b128 v[4:7], v35 offset:720
	v_lshlrev_b32_e32 v8, 16, v34
	s_waitcnt lgkmcnt(1)
	v_fmac_f32_e32 v119, v0, v8
	s_waitcnt vmcnt(6)
	v_lshlrev_b32_e32 v0, 16, v33
	v_fmac_f32_e32 v119, v1, v0
	v_lshlrev_b32_e32 v0, 16, v36
	v_fmac_f32_e32 v119, v2, v0
	s_waitcnt vmcnt(5)
	v_lshlrev_b32_e32 v0, 16, v37
	v_fmac_f32_e32 v119, v3, v0
	s_waitcnt vmcnt(3)
	v_lshlrev_b32_e32 v1, 16, v42
	v_lshlrev_b32_e32 v0, 16, v41
	s_waitcnt lgkmcnt(0)
	v_pk_mul_f32 v[0:1], v[4:5], v[0:1]
	v_add_f32_e32 v0, v119, v0
	v_add_f32_e32 v2, v0, v1
	s_waitcnt vmcnt(1)
	v_lshlrev_b32_e32 v1, 16, v44
	v_lshlrev_b32_e32 v0, 16, v43
	v_pk_mul_f32 v[4:5], v[6:7], v[0:1]
	v_add_f32_e32 v4, v2, v4
	ds_read_b128 v[0:3], v35 offset:736
	v_lshlrev_b32_e32 v9, 16, v61
	s_waitcnt vmcnt(0)
	v_lshlrev_b32_e32 v8, 16, v38
	v_add_f32_e32 v10, v4, v5
	ds_read_b128 v[4:7], v35 offset:752
	s_waitcnt lgkmcnt(1)
	v_pk_mul_f32 v[0:1], v[0:1], v[8:9]
	v_add_f32_e32 v0, v10, v0
	v_add_f32_e32 v8, v0, v1
	v_lshlrev_b32_e32 v1, 16, v63
	v_lshlrev_b32_e32 v0, 16, v62
	v_pk_mul_f32 v[0:1], v[2:3], v[0:1]
	v_add_f32_e32 v0, v8, v0
	v_add_f32_e32 v2, v0, v1
	v_lshlrev_b32_e32 v1, 16, v65
	v_lshlrev_b32_e32 v0, 16, v64
	s_waitcnt lgkmcnt(0)
	v_pk_mul_f32 v[0:1], v[4:5], v[0:1]
	v_add_f32_e32 v0, v2, v0
	v_add_f32_e32 v2, v0, v1
	v_lshlrev_b32_e32 v1, 16, v71
	v_lshlrev_b32_e32 v0, 16, v70
	v_pk_mul_f32 v[0:1], v[6:7], v[0:1]
	v_add_f32_e32 v0, v2, v0
	v_add_f32_e32 v119, v0, v1
	v_mov_b32_e32 v0, 0
	ds_read_b32 v0, v0 offset:768
	s_cmp_eq_u64 s[0:1], 0
	s_cbranch_scc0 .LBB306_18
.LBB306_28:
	v_mov_b32_e32 v1, 1.0
	s_andn2_b64 vcc, exec, s[22:23]
	s_cbranch_vccz .LBB306_19
	s_branch .LBB306_20
	.section	.rodata,"a",@progbits
	.p2align	6, 0x0
	.amdhsa_kernel _Z35paged_attention_ll4mi_reduce_kernelI14__hip_bfloat16S0_Li128ELi128ELi256ELi3EEvPT0_PKfS4_PKT_PKiS9_iS4_
		.amdhsa_group_segment_fixed_size 772
		.amdhsa_private_segment_fixed_size 0
		.amdhsa_kernarg_size 320
		.amdhsa_user_sgpr_count 6
		.amdhsa_user_sgpr_private_segment_buffer 1
		.amdhsa_user_sgpr_dispatch_ptr 0
		.amdhsa_user_sgpr_queue_ptr 0
		.amdhsa_user_sgpr_kernarg_segment_ptr 1
		.amdhsa_user_sgpr_dispatch_id 0
		.amdhsa_user_sgpr_flat_scratch_init 0
		.amdhsa_user_sgpr_kernarg_preload_length 0
		.amdhsa_user_sgpr_kernarg_preload_offset 0
		.amdhsa_user_sgpr_private_segment_size 0
		.amdhsa_uses_dynamic_stack 0
		.amdhsa_system_sgpr_private_segment_wavefront_offset 0
		.amdhsa_system_sgpr_workgroup_id_x 1
		.amdhsa_system_sgpr_workgroup_id_y 1
		.amdhsa_system_sgpr_workgroup_id_z 0
		.amdhsa_system_sgpr_workgroup_info 0
		.amdhsa_system_vgpr_workitem_id 0
		.amdhsa_next_free_vgpr 128
		.amdhsa_next_free_sgpr 35
		.amdhsa_accum_offset 128
		.amdhsa_reserve_vcc 1
		.amdhsa_reserve_flat_scratch 0
		.amdhsa_float_round_mode_32 0
		.amdhsa_float_round_mode_16_64 0
		.amdhsa_float_denorm_mode_32 3
		.amdhsa_float_denorm_mode_16_64 3
		.amdhsa_dx10_clamp 1
		.amdhsa_ieee_mode 1
		.amdhsa_fp16_overflow 0
		.amdhsa_tg_split 0
		.amdhsa_exception_fp_ieee_invalid_op 0
		.amdhsa_exception_fp_denorm_src 0
		.amdhsa_exception_fp_ieee_div_zero 0
		.amdhsa_exception_fp_ieee_overflow 0
		.amdhsa_exception_fp_ieee_underflow 0
		.amdhsa_exception_fp_ieee_inexact 0
		.amdhsa_exception_int_div_zero 0
	.end_amdhsa_kernel
	.section	.text._Z35paged_attention_ll4mi_reduce_kernelI14__hip_bfloat16S0_Li128ELi128ELi256ELi3EEvPT0_PKfS4_PKT_PKiS9_iS4_,"axG",@progbits,_Z35paged_attention_ll4mi_reduce_kernelI14__hip_bfloat16S0_Li128ELi128ELi256ELi3EEvPT0_PKfS4_PKT_PKiS9_iS4_,comdat
.Lfunc_end306:
	.size	_Z35paged_attention_ll4mi_reduce_kernelI14__hip_bfloat16S0_Li128ELi128ELi256ELi3EEvPT0_PKfS4_PKT_PKiS9_iS4_, .Lfunc_end306-_Z35paged_attention_ll4mi_reduce_kernelI14__hip_bfloat16S0_Li128ELi128ELi256ELi3EEvPT0_PKfS4_PKT_PKiS9_iS4_
                                        ; -- End function
	.section	.AMDGPU.csdata,"",@progbits
; Kernel info:
; codeLenInByte = 12936
; NumSgprs: 39
; NumVgprs: 128
; NumAgprs: 0
; TotalNumVgprs: 128
; ScratchSize: 0
; MemoryBound: 0
; FloatMode: 240
; IeeeMode: 1
; LDSByteSize: 772 bytes/workgroup (compile time only)
; SGPRBlocks: 4
; VGPRBlocks: 15
; NumSGPRsForWavesPerEU: 39
; NumVGPRsForWavesPerEU: 128
; AccumOffset: 128
; Occupancy: 4
; WaveLimiterHint : 1
; COMPUTE_PGM_RSRC2:SCRATCH_EN: 0
; COMPUTE_PGM_RSRC2:USER_SGPR: 6
; COMPUTE_PGM_RSRC2:TRAP_HANDLER: 0
; COMPUTE_PGM_RSRC2:TGID_X_EN: 1
; COMPUTE_PGM_RSRC2:TGID_Y_EN: 1
; COMPUTE_PGM_RSRC2:TGID_Z_EN: 0
; COMPUTE_PGM_RSRC2:TIDIG_COMP_CNT: 0
; COMPUTE_PGM_RSRC3_GFX90A:ACCUM_OFFSET: 31
; COMPUTE_PGM_RSRC3_GFX90A:TG_SPLIT: 0
	.section	.text._Z35paged_attention_ll4mi_reduce_kernelI14__hip_bfloat16S0_Li128ELi128ELi256ELi4EEvPT0_PKfS4_PKT_PKiS9_iS4_,"axG",@progbits,_Z35paged_attention_ll4mi_reduce_kernelI14__hip_bfloat16S0_Li128ELi128ELi256ELi4EEvPT0_PKfS4_PKT_PKiS9_iS4_,comdat
	.protected	_Z35paged_attention_ll4mi_reduce_kernelI14__hip_bfloat16S0_Li128ELi128ELi256ELi4EEvPT0_PKfS4_PKT_PKiS9_iS4_ ; -- Begin function _Z35paged_attention_ll4mi_reduce_kernelI14__hip_bfloat16S0_Li128ELi128ELi256ELi4EEvPT0_PKfS4_PKT_PKiS9_iS4_
	.globl	_Z35paged_attention_ll4mi_reduce_kernelI14__hip_bfloat16S0_Li128ELi128ELi256ELi4EEvPT0_PKfS4_PKT_PKiS9_iS4_
	.p2align	8
	.type	_Z35paged_attention_ll4mi_reduce_kernelI14__hip_bfloat16S0_Li128ELi128ELi256ELi4EEvPT0_PKfS4_PKT_PKiS9_iS4_,@function
_Z35paged_attention_ll4mi_reduce_kernelI14__hip_bfloat16S0_Li128ELi128ELi256ELi4EEvPT0_PKfS4_PKT_PKiS9_iS4_: ; @_Z35paged_attention_ll4mi_reduce_kernelI14__hip_bfloat16S0_Li128ELi128ELi256ELi4EEvPT0_PKfS4_PKT_PKiS9_iS4_
; %bb.0:
	s_load_dwordx2 s[22:23], s[4:5], 0x28
	s_mov_b32 s20, s7
	s_mov_b64 s[0:1], 0
	s_waitcnt lgkmcnt(0)
	s_cmp_lg_u64 s[22:23], 0
	s_cselect_b64 s[24:25], -1, 0
	s_and_b64 vcc, exec, s[24:25]
	s_cbranch_vccz .LBB307_27
; %bb.1:
	s_add_i32 s2, s20, 1
	s_mov_b32 s3, 0
	s_lshl_b64 s[8:9], s[2:3], 2
	s_add_u32 s8, s22, s8
	s_mov_b32 s21, s3
	s_addc_u32 s9, s23, s9
	s_lshl_b64 s[2:3], s[20:21], 2
	s_add_u32 s2, s22, s2
	s_addc_u32 s3, s23, s3
	s_load_dword s7, s[8:9], 0x0
	s_load_dword s10, s[2:3], 0x0
	s_waitcnt lgkmcnt(0)
	s_sub_i32 s2, s7, s10
	s_cmp_eq_u32 s2, 1
	s_cselect_b64 s[2:3], -1, 0
	s_andn2_b64 vcc, exec, s[0:1]
	s_cbranch_vccnz .LBB307_3
.LBB307_2:
	s_mov_b32 s21, 0
	s_mov_b64 s[2:3], -1
.LBB307_3:
	s_andn2_b64 vcc, exec, s[2:3]
	s_cbranch_vccz .LBB307_5
; %bb.4:
	s_endpgm
.LBB307_5:
	s_load_dwordx4 s[12:15], s[4:5], 0x18
	s_load_dword s8, s[4:5], 0x30
	s_lshl_b64 s[26:27], s[20:21], 2
	v_cmp_lt_u32_e32 vcc, 63, v0
	s_waitcnt lgkmcnt(0)
	s_add_u32 s0, s14, s26
	s_addc_u32 s1, s15, s27
	s_load_dword s36, s[0:1], 0x0
	s_load_dword s7, s[4:5], 0x40
	s_mul_i32 s14, s6, s8
	s_mul_i32 s2, s20, s8
	s_waitcnt lgkmcnt(0)
	s_add_i32 s3, s36, 0xff
	s_ashr_i32 s0, s3, 31
	s_lshr_b32 s0, s0, 24
	s_add_i32 s3, s3, s0
	s_and_saveexec_b64 s[0:1], vcc
	s_xor_b64 s[0:1], exec, s[0:1]
	s_or_saveexec_b64 s[28:29], s[0:1]
	s_ashr_i32 s33, s3, 8
	v_mov_b32_e32 v1, s14
	s_mul_i32 s30, s2, s7
	s_xor_b64 exec, exec, s[28:29]
	s_cbranch_execz .LBB307_9
; %bb.6:
	s_load_dwordx4 s[16:19], s[4:5], 0x8
	s_add_i32 s0, s33, -1
	v_or_b32_e32 v3, 64, v0
	v_mov_b32_e32 v1, s0
	v_cmp_gt_u32_e64 s[2:3], s33, v3
	s_mov_b32 s31, 0
	v_cndmask_b32_e64 v4, v1, v3, s[2:3]
	v_or_b32_e32 v3, 0x80, v0
	v_cmp_gt_u32_e64 s[0:1], s33, v3
	s_lshl_b64 s[34:35], s[30:31], 2
	s_mov_b32 s15, s31
	v_cmp_gt_u32_e64 s[8:9], s33, v0
	v_cndmask_b32_e64 v6, v1, v3, s[0:1]
	v_or_b32_e32 v3, 0xc0, v0
	s_waitcnt lgkmcnt(0)
	s_add_u32 s10, s18, s34
	v_cndmask_b32_e64 v2, v1, v0, s[8:9]
	v_cmp_gt_u32_e32 vcc, s33, v3
	s_addc_u32 s11, s19, s35
	s_lshl_b64 s[18:19], s[14:15], 2
	v_cndmask_b32_e32 v8, v1, v3, vcc
	s_add_u32 s15, s10, s18
	v_ashrrev_i32_e32 v3, 31, v2
	s_addc_u32 s31, s11, s19
	v_lshlrev_b64 v[2:3], 2, v[2:3]
	v_mov_b32_e32 v1, s31
	v_add_co_u32_e64 v10, s[10:11], s15, v2
	v_ashrrev_i32_e32 v5, 31, v4
	v_addc_co_u32_e64 v11, s[10:11], v1, v3, s[10:11]
	v_lshlrev_b64 v[4:5], 2, v[4:5]
	v_add_co_u32_e64 v12, s[10:11], s15, v4
	v_ashrrev_i32_e32 v7, 31, v6
	v_addc_co_u32_e64 v13, s[10:11], v1, v5, s[10:11]
	v_lshlrev_b64 v[6:7], 2, v[6:7]
	global_load_dword v1, v[10:11], off
	global_load_dword v14, v[12:13], off
	v_mov_b32_e32 v9, s31
	v_add_co_u32_e64 v10, s[10:11], s15, v6
	v_addc_co_u32_e64 v11, s[10:11], v9, v7, s[10:11]
	v_ashrrev_i32_e32 v9, 31, v8
	v_lshlrev_b64 v[8:9], 2, v[8:9]
	v_mov_b32_e32 v13, s31
	v_add_co_u32_e64 v12, s[10:11], s15, v8
	v_addc_co_u32_e64 v13, s[10:11], v13, v9, s[10:11]
	global_load_dword v15, v[10:11], off
	global_load_dword v16, v[12:13], off
	v_mbcnt_lo_u32_b32 v10, -1, 0
	v_mbcnt_hi_u32_b32 v10, -1, v10
	v_and_b32_e32 v11, 64, v10
	v_xor_b32_e32 v12, 32, v10
	v_add_u32_e32 v11, 64, v11
	v_xor_b32_e32 v13, 16, v10
	v_cmp_lt_i32_e64 s[10:11], v12, v11
	v_xor_b32_e32 v17, 8, v10
	v_cndmask_b32_e64 v12, v10, v12, s[10:11]
	v_cmp_lt_i32_e64 s[10:11], v13, v11
	v_xor_b32_e32 v18, 4, v10
	v_cndmask_b32_e64 v13, v10, v13, s[10:11]
	;; [unrolled: 3-line block ×3, first 2 shown]
	v_cmp_lt_i32_e64 s[10:11], v18, v11
	v_cndmask_b32_e64 v18, v10, v18, s[10:11]
	v_cmp_lt_i32_e64 s[10:11], v19, v11
	v_cndmask_b32_e64 v19, v10, v19, s[10:11]
	s_add_u32 s10, s16, s34
	s_addc_u32 s11, s17, s35
	s_add_u32 s15, s10, s18
	s_addc_u32 s16, s11, s19
	v_mov_b32_e32 v21, s16
	v_add_co_u32_e64 v2, s[10:11], s15, v2
	v_addc_co_u32_e64 v3, s[10:11], v21, v3, s[10:11]
	global_load_dword v21, v[2:3], off
	v_lshlrev_b32_e32 v12, 2, v12
	v_mov_b32_e32 v3, s16
	v_lshlrev_b32_e32 v13, 2, v13
	v_xor_b32_e32 v20, 1, v10
	s_mov_b32 s17, 0x42b17218
	s_waitcnt vmcnt(4)
	v_max_f32_e32 v22, v1, v1
	s_waitcnt vmcnt(3)
	v_max_f32_e32 v2, v14, v14
	v_max_f32_e32 v2, v22, v2
	s_waitcnt vmcnt(1)
	v_max3_f32 v22, v2, v15, v16
	ds_bpermute_b32 v23, v12, v22
	v_add_co_u32_e64 v2, s[10:11], s15, v4
	v_addc_co_u32_e64 v3, s[10:11], v3, v5, s[10:11]
	global_load_dword v24, v[2:3], off
	s_waitcnt lgkmcnt(0)
	v_max_f32_e32 v2, v23, v23
	v_max_f32_e32 v2, v22, v2
	ds_bpermute_b32 v3, v13, v2
	v_cmp_lt_i32_e64 s[10:11], v20, v11
	v_cndmask_b32_e64 v4, v10, v20, s[10:11]
	v_lshlrev_b32_e32 v10, 2, v17
	v_lshlrev_b32_e32 v11, 2, v18
	s_waitcnt lgkmcnt(0)
	v_max_f32_e32 v3, v3, v3
	v_max_f32_e32 v2, v2, v3
	ds_bpermute_b32 v3, v10, v2
	v_lshlrev_b32_e32 v17, 2, v19
	v_lshlrev_b32_e32 v18, 2, v4
	v_mov_b32_e32 v4, s16
	v_mov_b32_e32 v5, s16
	s_waitcnt lgkmcnt(0)
	v_max_f32_e32 v3, v3, v3
	v_max_f32_e32 v19, v2, v3
	ds_bpermute_b32 v20, v11, v19
	v_add_co_u32_e64 v2, s[10:11], s15, v6
	v_addc_co_u32_e64 v3, s[10:11], v4, v7, s[10:11]
	s_waitcnt lgkmcnt(0)
	v_max_f32_e32 v4, v20, v20
	v_max_f32_e32 v6, v19, v4
	v_add_co_u32_e64 v4, s[10:11], s15, v8
	v_addc_co_u32_e64 v5, s[10:11], v5, v9, s[10:11]
	global_load_dword v8, v[2:3], off
	global_load_dword v9, v[4:5], off
	ds_bpermute_b32 v7, v17, v6
	s_mov_b32 s15, 0x3fb8aa3b
	s_mov_b32 s16, 0xc2ce8ed0
	s_waitcnt lgkmcnt(0)
	v_max_f32_e32 v2, v7, v7
	v_max_f32_e32 v2, v6, v2
	ds_bpermute_b32 v3, v18, v2
	s_waitcnt lgkmcnt(0)
	v_max_f32_e32 v3, v3, v3
	v_max_f32_e32 v2, v2, v3
	v_sub_f32_e32 v1, v1, v2
	v_mul_f32_e32 v3, 0x3fb8aa3b, v1
	v_fma_f32 v4, v1, s15, -v3
	v_rndne_f32_e32 v5, v3
	v_fmac_f32_e32 v4, 0x32a5705f, v1
	v_sub_f32_e32 v3, v3, v5
	v_add_f32_e32 v3, v3, v4
	v_cvt_i32_f32_e32 v5, v5
	v_exp_f32_e32 v3, v3
	v_cmp_ngt_f32_e64 s[10:11], s16, v1
	v_mov_b32_e32 v4, 0x7f800000
	v_ldexp_f32 v3, v3, v5
	v_sub_f32_e32 v5, v14, v2
	v_mul_f32_e32 v6, 0x3fb8aa3b, v5
	v_fma_f32 v7, v5, s15, -v6
	v_rndne_f32_e32 v14, v6
	v_fmac_f32_e32 v7, 0x32a5705f, v5
	v_sub_f32_e32 v6, v6, v14
	v_add_f32_e32 v6, v6, v7
	v_exp_f32_e32 v6, v6
	v_cvt_i32_f32_e32 v7, v14
	v_cndmask_b32_e64 v3, 0, v3, s[10:11]
	v_cmp_nlt_f32_e64 s[10:11], s17, v1
	v_cndmask_b32_e64 v1, v4, v3, s[10:11]
	v_ldexp_f32 v3, v6, v7
	v_sub_f32_e32 v6, v15, v2
	v_mul_f32_e32 v7, 0x3fb8aa3b, v6
	v_fma_f32 v14, v6, s15, -v7
	v_rndne_f32_e32 v15, v7
	v_fmac_f32_e32 v14, 0x32a5705f, v6
	v_sub_f32_e32 v7, v7, v15
	v_add_f32_e32 v7, v7, v14
	v_exp_f32_e32 v7, v7
	v_cvt_i32_f32_e32 v14, v15
	v_sub_f32_e32 v2, v16, v2
	v_cndmask_b32_e64 v1, 0, v1, s[8:9]
	v_cmp_ngt_f32_e64 s[8:9], s16, v5
	v_ldexp_f32 v7, v7, v14
	v_mul_f32_e32 v14, 0x3fb8aa3b, v2
	v_fma_f32 v15, v2, s15, -v14
	v_rndne_f32_e32 v16, v14
	v_fmac_f32_e32 v15, 0x32a5705f, v2
	v_sub_f32_e32 v14, v14, v16
	v_cndmask_b32_e64 v3, 0, v3, s[8:9]
	v_cmp_nlt_f32_e64 s[8:9], s17, v5
	v_add_f32_e32 v14, v14, v15
	v_cndmask_b32_e64 v3, v4, v3, s[8:9]
	v_exp_f32_e32 v14, v14
	v_cvt_i32_f32_e32 v15, v16
	v_cndmask_b32_e64 v3, 0, v3, s[2:3]
	v_cmp_ngt_f32_e64 s[2:3], s16, v6
	v_cndmask_b32_e64 v7, 0, v7, s[2:3]
	v_cmp_nlt_f32_e64 s[2:3], s17, v6
	v_cndmask_b32_e64 v6, v4, v7, s[2:3]
	v_cndmask_b32_e64 v6, 0, v6, s[0:1]
	v_ldexp_f32 v7, v14, v15
	v_cmp_ngt_f32_e64 s[0:1], s16, v2
	v_cndmask_b32_e64 v7, 0, v7, s[0:1]
	v_cmp_nlt_f32_e64 s[0:1], s17, v2
	s_waitcnt vmcnt(3)
	v_mul_f32_e32 v1, v21, v1
	s_waitcnt vmcnt(2)
	v_mul_f32_e32 v5, v24, v3
	v_cndmask_b32_e64 v2, v4, v7, s[0:1]
	v_lshlrev_b32_e32 v7, 2, v0
	ds_write2st64_b32 v7, v1, v5 offset1:1
	v_fmac_f32_e32 v1, v24, v3
	v_cndmask_b32_e32 v4, 0, v2, vcc
	s_waitcnt vmcnt(1)
	v_fmac_f32_e32 v1, v8, v6
	s_waitcnt vmcnt(0)
	v_fmac_f32_e32 v1, v9, v4
	ds_bpermute_b32 v2, v12, v1
	v_mul_f32_e32 v3, v8, v6
	v_mul_f32_e32 v4, v9, v4
	v_cmp_eq_u32_e32 vcc, 0, v0
	ds_write2st64_b32 v7, v3, v4 offset0:2 offset1:3
	s_waitcnt lgkmcnt(1)
	v_add_f32_e32 v1, v1, v2
	ds_bpermute_b32 v2, v13, v1
	s_waitcnt lgkmcnt(0)
	v_add_f32_e32 v1, v1, v2
	ds_bpermute_b32 v2, v10, v1
	;; [unrolled: 3-line block ×5, first 2 shown]
	s_and_saveexec_b64 s[0:1], vcc
	s_cbranch_execz .LBB307_8
; %bb.7:
	s_waitcnt lgkmcnt(0)
	v_add_f32_e32 v1, v1, v2
	v_mov_b32_e32 v2, 0
	ds_write_b32 v2, v1 offset:1024
.LBB307_8:
	s_or_b64 exec, exec, s[0:1]
	v_mov_b32_e32 v1, s14
.LBB307_9:
	s_or_b64 exec, exec, s[28:29]
	s_lshl_b32 s0, s30, 7
	s_mov_b32 s1, 0
	s_lshl_b64 s[0:1], s[0:1], 1
	s_add_u32 s0, s12, s0
	s_addc_u32 s1, s13, s1
	s_lshl_b32 s10, s33, 7
	s_waitcnt lgkmcnt(0)
	v_lshlrev_b32_e32 v2, 7, v1
	v_mov_b32_e32 v3, 0
	s_add_i32 s11, s10, 0xffffff80
	v_lshlrev_b64 v[4:5], 1, v[2:3]
	s_cmp_lt_i32 s36, 1
	v_mov_b32_e32 v1, s1
	v_add_co_u32_e32 v2, vcc, s0, v4
	s_cselect_b32 s0, s11, 0
	v_addc_co_u32_e32 v1, vcc, v1, v5, vcc
	v_lshlrev_b32_e32 v116, 1, v0
	s_ashr_i32 s1, s0, 31
	v_add_co_u32_e32 v117, vcc, v2, v116
	s_lshl_b64 s[0:1], s[0:1], 1
	v_addc_co_u32_e32 v118, vcc, 0, v1, vcc
	s_cmpk_lt_i32 s36, 0x101
	v_add_co_u32_e32 v0, vcc, s0, v117
	s_cselect_b32 s0, s11, 0x80
	v_mov_b32_e32 v1, s1
	s_ashr_i32 s1, s0, 31
	s_lshl_b64 s[0:1], s[0:1], 1
	v_addc_co_u32_e32 v1, vcc, v118, v1, vcc
	s_cmpk_lt_i32 s36, 0x201
	v_add_co_u32_e32 v4, vcc, s0, v117
	s_cselect_b32 s0, s11, 0x100
	v_mov_b32_e32 v2, s1
	s_ashr_i32 s1, s0, 31
	;; [unrolled: 7-line block ×8, first 2 shown]
	s_lshl_b64 s[0:1], s[0:1], 1
	v_addc_co_u32_e32 v17, vcc, v118, v2, vcc
	s_cmpk_lt_i32 s36, 0x901
	global_load_ushort v40, v[0:1], off
	global_load_ushort v39, v[4:5], off
	;; [unrolled: 1-line block ×8, first 2 shown]
	v_add_co_u32_e32 v0, vcc, s0, v117
	s_cselect_b32 s0, s11, 0x480
	v_mov_b32_e32 v1, s1
	s_ashr_i32 s1, s0, 31
	s_lshl_b64 s[0:1], s[0:1], 1
	v_addc_co_u32_e32 v1, vcc, v118, v1, vcc
	s_cmpk_lt_i32 s36, 0xa01
	v_add_co_u32_e32 v4, vcc, s0, v117
	s_cselect_b32 s0, s11, 0x500
	v_mov_b32_e32 v5, s1
	s_ashr_i32 s1, s0, 31
	s_lshl_b64 s[0:1], s[0:1], 1
	v_addc_co_u32_e32 v5, vcc, v118, v5, vcc
	s_cmpk_lt_i32 s36, 0xb01
	;; [unrolled: 7-line block ×6, first 2 shown]
	v_add_co_u32_e32 v14, vcc, s0, v117
	s_cselect_b32 s0, s11, 0x780
	v_mov_b32_e32 v15, s1
	s_ashr_i32 s1, s0, 31
	v_addc_co_u32_e32 v15, vcc, v118, v15, vcc
	s_lshl_b64 s[0:1], s[0:1], 1
	v_mov_b32_e32 v17, s1
	v_add_co_u32_e32 v16, vcc, s0, v117
	v_addc_co_u32_e32 v17, vcc, v118, v17, vcc
	global_load_ushort v47, v[0:1], off
	global_load_ushort v48, v[4:5], off
	;; [unrolled: 1-line block ×8, first 2 shown]
	s_cmpk_gt_i32 s36, 0x1000
	s_cselect_b64 s[8:9], -1, 0
	s_cmpk_lt_i32 s36, 0x1001
	v_mov_b32_e32 v57, 0
	v_mov_b32_e32 v58, 0
	;; [unrolled: 1-line block ×48, first 2 shown]
	s_barrier
	s_cbranch_scc1 .LBB307_12
; %bb.10:
	s_cmpk_lt_u32 s36, 0x1101
	s_cselect_b32 s0, s11, 0x880
	s_ashr_i32 s1, s0, 31
	v_add_co_u32_e32 v0, vcc, 0x1000, v117
	s_lshl_b64 s[0:1], s[0:1], 1
	v_addc_co_u32_e32 v1, vcc, 0, v118, vcc
	s_cmpk_lt_u32 s36, 0x1201
	v_add_co_u32_e32 v4, vcc, s0, v117
	s_cselect_b32 s0, s11, 0x900
	v_mov_b32_e32 v5, s1
	s_ashr_i32 s1, s0, 31
	s_lshl_b64 s[0:1], s[0:1], 1
	v_addc_co_u32_e32 v5, vcc, v118, v5, vcc
	s_cmpk_lt_u32 s36, 0x1301
	v_add_co_u32_e32 v6, vcc, s0, v117
	s_cselect_b32 s0, s11, 0x980
	v_mov_b32_e32 v7, s1
	s_ashr_i32 s1, s0, 31
	;; [unrolled: 7-line block ×7, first 2 shown]
	s_lshl_b64 s[0:1], s[0:1], 1
	v_addc_co_u32_e32 v17, vcc, v118, v17, vcc
	s_cmpk_lt_u32 s36, 0x1901
	global_load_ushort v56, v[0:1], off
	global_load_ushort v55, v[4:5], off
	;; [unrolled: 1-line block ×8, first 2 shown]
	v_add_co_u32_e32 v0, vcc, s0, v117
	s_cselect_b32 s0, s11, 0xc80
	v_mov_b32_e32 v1, s1
	s_ashr_i32 s1, s0, 31
	s_lshl_b64 s[0:1], s[0:1], 1
	v_addc_co_u32_e32 v1, vcc, v118, v1, vcc
	s_cmpk_lt_u32 s36, 0x1a01
	v_add_co_u32_e32 v4, vcc, s0, v117
	s_cselect_b32 s0, s11, 0xd00
	v_mov_b32_e32 v5, s1
	s_ashr_i32 s1, s0, 31
	s_lshl_b64 s[0:1], s[0:1], 1
	v_addc_co_u32_e32 v5, vcc, v118, v5, vcc
	s_cmpk_lt_u32 s36, 0x1b01
	;; [unrolled: 7-line block ×6, first 2 shown]
	v_add_co_u32_e32 v14, vcc, s0, v117
	s_cselect_b32 s0, s11, 0xf80
	v_mov_b32_e32 v15, s1
	s_ashr_i32 s1, s0, 31
	v_addc_co_u32_e32 v15, vcc, v118, v15, vcc
	s_lshl_b64 s[0:1], s[0:1], 1
	v_mov_b32_e32 v17, s1
	v_add_co_u32_e32 v16, vcc, s0, v117
	v_addc_co_u32_e32 v17, vcc, v118, v17, vcc
	global_load_ushort v64, v[0:1], off
	global_load_ushort v63, v[4:5], off
	;; [unrolled: 1-line block ×8, first 2 shown]
	s_cmpk_lt_u32 s36, 0x2001
	v_mov_b32_e32 v33, 0
	v_mov_b32_e32 v31, 0
	;; [unrolled: 1-line block ×32, first 2 shown]
	s_cbranch_scc1 .LBB307_12
; %bb.11:
	s_cmpk_lt_u32 s36, 0x2101
	s_cselect_b32 s0, s11, 0x1080
	s_ashr_i32 s1, s0, 31
	s_lshl_b64 s[0:1], s[0:1], 1
	s_cmpk_lt_u32 s36, 0x2201
	v_add_co_u32_e32 v0, vcc, s0, v117
	s_cselect_b32 s0, s11, 0x1100
	v_mov_b32_e32 v1, s1
	s_ashr_i32 s1, s0, 31
	s_lshl_b64 s[0:1], s[0:1], 1
	v_addc_co_u32_e32 v1, vcc, v118, v1, vcc
	s_cmpk_lt_u32 s36, 0x2301
	v_add_co_u32_e32 v4, vcc, s0, v117
	s_cselect_b32 s0, s11, 0x1180
	v_mov_b32_e32 v5, s1
	s_ashr_i32 s1, s0, 31
	s_lshl_b64 s[0:1], s[0:1], 1
	v_addc_co_u32_e32 v5, vcc, v118, v5, vcc
	;; [unrolled: 7-line block ×30, first 2 shown]
	v_mov_b32_e32 v65, s1
	s_movk_i32 s1, 0x2000
	v_add_co_u32_e32 v94, vcc, s1, v117
	v_addc_co_u32_e32 v95, vcc, 0, v118, vcc
	global_load_ushort v96, v[94:95], off
	global_load_ushort v97, v[0:1], off
	;; [unrolled: 1-line block ×15, first 2 shown]
                                        ; kill: killed $vgpr0 killed $vgpr1
                                        ; kill: killed $vgpr28 killed $vgpr29
                                        ; kill: killed $vgpr8 killed $vgpr9
                                        ; kill: killed $vgpr14 killed $vgpr15
                                        ; kill: killed $vgpr20 killed $vgpr21
                                        ; kill: killed $vgpr4 killed $vgpr5
                                        ; kill: killed $vgpr94 killed $vgpr95
                                        ; kill: killed $vgpr32 killed $vgpr33
                                        ; kill: killed $vgpr10 killed $vgpr11
                                        ; kill: killed $vgpr16 killed $vgpr17
                                        ; kill: killed $vgpr24 killed $vgpr25
                                        ; kill: killed $vgpr6 killed $vgpr7
                                        ; kill: killed $vgpr66 killed $vgpr67
                                        ; kill: killed $vgpr12 killed $vgpr13
                                        ; kill: killed $vgpr18 killed $vgpr19
	global_load_ushort v4, v[22:23], off
	global_load_ushort v5, v[26:27], off
	;; [unrolled: 1-line block ×15, first 2 shown]
                                        ; kill: killed $vgpr30 killed $vgpr31
                                        ; kill: killed $vgpr88 killed $vgpr89
                                        ; kill: killed $vgpr72 killed $vgpr73
                                        ; kill: killed $vgpr78 killed $vgpr79
                                        ; kill: killed $vgpr22 killed $vgpr23
                                        ; kill: killed $vgpr68 killed $vgpr69
                                        ; kill: killed $vgpr90 killed $vgpr91
                                        ; kill: killed $vgpr74 killed $vgpr75
                                        ; kill: killed $vgpr80 killed $vgpr81
                                        ; kill: killed $vgpr26 killed $vgpr27
                                        ; kill: killed $vgpr86 killed $vgpr87
                                        ; kill: killed $vgpr70 killed $vgpr71
                                        ; kill: killed $vgpr92 killed $vgpr93
                                        ; kill: killed $vgpr76 killed $vgpr77
                                        ; kill: killed $vgpr82 killed $vgpr83
	global_load_ushort v68, v[84:85], off
	v_add_co_u32_e32 v0, vcc, s0, v117
	v_addc_co_u32_e32 v1, vcc, v118, v65, vcc
	global_load_ushort v1, v[0:1], off
	s_waitcnt vmcnt(31)
	v_lshlrev_b32_e32 v33, 16, v96
	s_waitcnt vmcnt(30)
	v_lshlrev_b32_e32 v31, 16, v97
	;; [unrolled: 2-line block ×32, first 2 shown]
.LBB307_12:
	s_load_dwordx2 s[0:1], s[4:5], 0x0
	s_load_dwordx2 s[2:3], s[4:5], 0x38
	ds_read_b128 v[66:69], v3
	s_waitcnt vmcnt(15)
	v_lshlrev_b32_e32 v40, 16, v40
	s_waitcnt vmcnt(14)
	v_lshlrev_b32_e32 v39, 16, v39
	ds_read_b128 v[70:73], v3 offset:16
	ds_read_b128 v[74:77], v3 offset:32
	;; [unrolled: 1-line block ×3, first 2 shown]
	s_waitcnt vmcnt(13)
	v_lshlrev_b32_e32 v38, 16, v38
	s_waitcnt lgkmcnt(0)
	v_fma_f32 v40, v66, v40, 0
	v_fmac_f32_e32 v40, v67, v39
	v_fmac_f32_e32 v40, v68, v38
	s_waitcnt vmcnt(12)
	v_lshlrev_b32_e32 v37, 16, v37
	v_fmac_f32_e32 v40, v69, v37
	s_waitcnt vmcnt(10)
	v_lshlrev_b32_e32 v37, 16, v36
	v_lshlrev_b32_e32 v36, 16, v35
	v_pk_mul_f32 v[36:37], v[70:71], v[36:37]
	v_add_f32_e32 v35, v40, v36
	v_add_f32_e32 v36, v35, v37
	s_waitcnt vmcnt(8)
	v_lshlrev_b32_e32 v35, 16, v34
	v_lshlrev_b32_e32 v34, 16, v2
	v_pk_mul_f32 v[34:35], v[72:73], v[34:35]
	v_add_f32_e32 v2, v36, v34
	v_add_f32_e32 v2, v2, v35
	;; [unrolled: 6-line block ×6, first 2 shown]
	s_and_b64 vcc, exec, s[8:9]
	s_cbranch_vccz .LBB307_15
; %bb.13:
	ds_read_b128 v[34:37], v3 offset:64
	v_lshlrev_b32_e32 v2, 16, v56
	ds_read_b128 v[38:41], v3 offset:80
	ds_read_b128 v[42:45], v3 offset:96
	;; [unrolled: 1-line block ×3, first 2 shown]
	s_cmpk_lt_u32 s36, 0x2001
	s_waitcnt lgkmcnt(3)
	v_fmac_f32_e32 v119, v34, v2
	v_lshlrev_b32_e32 v2, 16, v55
	v_fmac_f32_e32 v119, v35, v2
	v_lshlrev_b32_e32 v2, 16, v54
	v_fmac_f32_e32 v119, v36, v2
	v_lshlrev_b32_e32 v2, 16, v53
	v_fmac_f32_e32 v119, v37, v2
	v_lshlrev_b32_e32 v2, 16, v52
	s_waitcnt lgkmcnt(2)
	v_fmac_f32_e32 v119, v38, v2
	v_lshlrev_b32_e32 v2, 16, v51
	v_fmac_f32_e32 v119, v39, v2
	v_lshlrev_b32_e32 v2, 16, v50
	v_fmac_f32_e32 v119, v40, v2
	v_lshlrev_b32_e32 v2, 16, v49
	v_fmac_f32_e32 v119, v41, v2
	v_lshlrev_b32_e32 v2, 16, v64
	;; [unrolled: 9-line block ×3, first 2 shown]
	s_waitcnt lgkmcnt(0)
	v_fmac_f32_e32 v119, v66, v2
	v_lshlrev_b32_e32 v2, 16, v59
	v_fmac_f32_e32 v119, v67, v2
	v_lshlrev_b32_e32 v2, 16, v58
	;; [unrolled: 2-line block ×3, first 2 shown]
	v_fmac_f32_e32 v119, v69, v2
	s_cbranch_scc1 .LBB307_15
; %bb.14:
	v_mov_b32_e32 v50, 0
	ds_read_b128 v[34:37], v50 offset:128
	ds_read_b128 v[38:41], v50 offset:144
	;; [unrolled: 1-line block ×4, first 2 shown]
	s_waitcnt lgkmcnt(3)
	v_fmac_f32_e32 v119, v34, v33
	v_fmac_f32_e32 v119, v35, v31
	v_fmac_f32_e32 v119, v36, v32
	v_fmac_f32_e32 v119, v37, v29
	s_waitcnt lgkmcnt(2)
	v_fmac_f32_e32 v119, v38, v30
	v_fmac_f32_e32 v119, v39, v27
	v_fmac_f32_e32 v119, v40, v28
	v_fmac_f32_e32 v119, v41, v25
	;; [unrolled: 5-line block ×3, first 2 shown]
	s_waitcnt lgkmcnt(0)
	v_fmac_f32_e32 v119, v46, v22
	ds_read_b128 v[22:25], v50 offset:192
	v_fmac_f32_e32 v119, v47, v19
	v_fmac_f32_e32 v119, v48, v20
	;; [unrolled: 1-line block ×3, first 2 shown]
	ds_read_b128 v[18:21], v50 offset:208
	s_waitcnt lgkmcnt(1)
	v_fmac_f32_e32 v119, v22, v17
	v_fmac_f32_e32 v119, v23, v15
	;; [unrolled: 1-line block ×4, first 2 shown]
	s_waitcnt lgkmcnt(0)
	v_pk_mul_f32 v[2:3], v[18:19], v[12:13]
	ds_read_b128 v[12:15], v50 offset:224
	v_add_f32_e32 v2, v119, v2
	v_add_f32_e32 v16, v2, v3
	v_pk_mul_f32 v[2:3], v[20:21], v[10:11]
	v_add_f32_e32 v2, v16, v2
	ds_read_b128 v[16:19], v50 offset:240
	v_add_f32_e32 v10, v2, v3
	s_waitcnt lgkmcnt(1)
	v_pk_mul_f32 v[2:3], v[12:13], v[8:9]
	v_add_f32_e32 v2, v10, v2
	v_add_f32_e32 v8, v2, v3
	v_pk_mul_f32 v[2:3], v[14:15], v[6:7]
	v_add_f32_e32 v2, v8, v2
	v_add_f32_e32 v6, v2, v3
	s_waitcnt lgkmcnt(0)
	v_pk_mul_f32 v[2:3], v[16:17], v[4:5]
	v_add_f32_e32 v2, v6, v2
	v_add_f32_e32 v2, v2, v3
	v_pk_mul_f32 v[0:1], v[18:19], v[0:1]
	v_add_f32_e32 v0, v2, v0
	v_add_f32_e32 v119, v0, v1
.LBB307_15:
	s_movk_i32 s4, 0x3f80
	s_movk_i32 s5, 0x100
	s_mov_b32 s8, 64
	s_branch .LBB307_17
.LBB307_16:                             ;   in Loop: Header=BB307_17 Depth=1
	s_addk_i32 s4, 0x2000
	s_addk_i32 s5, 0x100
	s_add_i32 s8, s8, 64
	s_cmpk_eq_u32 s4, 0x9f80
	s_cbranch_scc1 .LBB307_19
.LBB307_17:                             ; =>This Inner Loop Header: Depth=1
	s_cmp_le_i32 s33, s8
	s_cbranch_scc1 .LBB307_16
; %bb.18:                               ;   in Loop: Header=BB307_17 Depth=1
	s_add_i32 s9, s4, 0xffffe080
	s_cmp_lt_i32 s9, s10
	s_cselect_b32 s12, s9, s11
	s_ashr_i32 s13, s12, 31
	s_lshl_b64 s[12:13], s[12:13], 1
	s_add_i32 s9, s4, 0xffffe100
	s_cmp_lt_i32 s9, s10
	v_add_co_u32_e32 v2, vcc, s12, v117
	s_cselect_b32 s12, s9, s11
	v_mov_b32_e32 v0, s13
	s_ashr_i32 s13, s12, 31
	s_lshl_b64 s[12:13], s[12:13], 1
	s_add_i32 s9, s4, 0xffffe180
	v_addc_co_u32_e32 v3, vcc, v118, v0, vcc
	s_cmp_lt_i32 s9, s10
	v_add_co_u32_e32 v0, vcc, s12, v117
	s_cselect_b32 s12, s9, s11
	v_mov_b32_e32 v1, s13
	s_ashr_i32 s13, s12, 31
	s_lshl_b64 s[12:13], s[12:13], 1
	s_add_i32 s9, s4, 0xffffe200
	v_addc_co_u32_e32 v1, vcc, v118, v1, vcc
	;; [unrolled: 8-line block ×21, first 2 shown]
	s_cmp_lt_i32 s9, s10
	global_load_ushort v120, v[2:3], off
	global_load_ushort v122, v[4:5], off
	;; [unrolled: 1-line block ×4, first 2 shown]
	v_add_co_u32_e32 v42, vcc, s12, v117
	s_cselect_b32 s12, s9, s11
	v_mov_b32_e32 v43, s13
	s_ashr_i32 s13, s12, 31
	s_lshl_b64 s[12:13], s[12:13], 1
	s_add_i32 s9, s4, 0xffffec00
	v_addc_co_u32_e32 v43, vcc, v118, v43, vcc
	s_cmp_lt_i32 s9, s10
	v_add_co_u32_e32 v44, vcc, s12, v117
	s_cselect_b32 s12, s9, s11
	v_mov_b32_e32 v45, s13
	s_ashr_i32 s13, s12, 31
	s_lshl_b64 s[12:13], s[12:13], 1
	s_add_i32 s9, s4, 0xffffec80
	v_addc_co_u32_e32 v45, vcc, v118, v45, vcc
	s_cmp_lt_i32 s9, s10
	;; [unrolled: 8-line block ×8, first 2 shown]
	global_load_ushort v121, v[0:1], off
	v_add_co_u32_e32 v58, vcc, s12, v117
	s_cselect_b32 s12, s9, s11
	v_mov_b32_e32 v59, s13
	s_ashr_i32 s13, s12, 31
	s_lshl_b64 s[12:13], s[12:13], 1
	s_add_i32 s9, s4, 0xfffff000
	v_addc_co_u32_e32 v59, vcc, v118, v59, vcc
	s_cmp_lt_i32 s9, s10
	v_add_co_u32_e32 v60, vcc, s12, v117
	s_cselect_b32 s12, s9, s11
	global_load_ushort v125, v[10:11], off
	global_load_ushort v126, v[12:13], off
	v_mov_b32_e32 v61, s13
	s_ashr_i32 s13, s12, 31
	global_load_ushort v127, v[14:15], off
	global_load_ushort v128, v[16:17], off
	;; [unrolled: 1-line block ×3, first 2 shown]
	s_lshl_b64 s[12:13], s[12:13], 1
	s_add_i32 s9, s4, 0xfffff080
	v_addc_co_u32_e32 v61, vcc, v118, v61, vcc
	s_cmp_lt_i32 s9, s10
	v_add_co_u32_e32 v62, vcc, s12, v117
	s_cselect_b32 s12, s9, s11
	v_mov_b32_e32 v63, s13
	s_ashr_i32 s13, s12, 31
	s_lshl_b64 s[12:13], s[12:13], 1
	s_add_i32 s9, s4, 0xfffff100
	v_addc_co_u32_e32 v63, vcc, v118, v63, vcc
	s_cmp_lt_i32 s9, s10
	v_add_co_u32_e32 v64, vcc, s12, v117
	s_cselect_b32 s12, s9, s11
	v_mov_b32_e32 v65, s13
	s_ashr_i32 s13, s12, 31
	global_load_ushort v130, v[20:21], off
	global_load_ushort v131, v[22:23], off
	s_lshl_b64 s[12:13], s[12:13], 1
	s_add_i32 s9, s4, 0xfffff180
	v_addc_co_u32_e32 v65, vcc, v118, v65, vcc
	s_cmp_lt_i32 s9, s10
	global_load_ushort v132, v[24:25], off
	global_load_ushort v133, v[26:27], off
	v_add_co_u32_e32 v66, vcc, s12, v117
	s_cselect_b32 s12, s9, s11
	v_mov_b32_e32 v67, s13
	s_ashr_i32 s13, s12, 31
	s_lshl_b64 s[12:13], s[12:13], 1
	s_add_i32 s9, s4, 0xfffff200
	v_addc_co_u32_e32 v67, vcc, v118, v67, vcc
	s_cmp_lt_i32 s9, s10
	v_add_co_u32_e32 v68, vcc, s12, v117
	s_cselect_b32 s12, s9, s11
	v_mov_b32_e32 v69, s13
	s_ashr_i32 s13, s12, 31
	global_load_ushort v134, v[28:29], off
	global_load_ushort v135, v[30:31], off
	s_lshl_b64 s[12:13], s[12:13], 1
	s_add_i32 s9, s4, 0xfffff280
	v_addc_co_u32_e32 v69, vcc, v118, v69, vcc
	s_cmp_lt_i32 s9, s10
	v_add_co_u32_e32 v70, vcc, s12, v117
	s_cselect_b32 s12, s9, s11
	v_mov_b32_e32 v71, s13
	s_ashr_i32 s13, s12, 31
	s_lshl_b64 s[12:13], s[12:13], 1
	s_add_i32 s9, s4, 0xfffff300
	global_load_ushort v28, v[32:33], off
	global_load_ushort v29, v[34:35], off
	;; [unrolled: 1-line block ×4, first 2 shown]
	v_addc_co_u32_e32 v71, vcc, v118, v71, vcc
	s_cmp_lt_i32 s9, s10
	v_add_co_u32_e32 v72, vcc, s12, v117
	s_cselect_b32 s12, s9, s11
	v_mov_b32_e32 v73, s13
	s_ashr_i32 s13, s12, 31
	s_lshl_b64 s[12:13], s[12:13], 1
	s_add_i32 s9, s4, 0xfffff380
	v_addc_co_u32_e32 v73, vcc, v118, v73, vcc
	s_cmp_lt_i32 s9, s10
	v_add_co_u32_e32 v74, vcc, s12, v117
	s_cselect_b32 s12, s9, s11
	v_mov_b32_e32 v75, s13
	s_ashr_i32 s13, s12, 31
	s_lshl_b64 s[12:13], s[12:13], 1
	s_add_i32 s9, s4, 0xfffff400
	v_addc_co_u32_e32 v75, vcc, v118, v75, vcc
	s_cmp_lt_i32 s9, s10
	v_add_co_u32_e32 v76, vcc, s12, v117
	s_cselect_b32 s12, s9, s11
	global_load_ushort v32, v[40:41], off
	global_load_ushort v33, v[42:43], off
	v_mov_b32_e32 v77, s13
	s_ashr_i32 s13, s12, 31
	s_lshl_b64 s[12:13], s[12:13], 1
	s_add_i32 s9, s4, 0xfffff480
	v_addc_co_u32_e32 v77, vcc, v118, v77, vcc
	s_cmp_lt_i32 s9, s10
	v_add_co_u32_e32 v78, vcc, s12, v117
	s_cselect_b32 s12, s9, s11
	v_mov_b32_e32 v79, s13
	s_ashr_i32 s13, s12, 31
	global_load_ushort v36, v[44:45], off
	s_lshl_b64 s[12:13], s[12:13], 1
	s_add_i32 s9, s4, 0xfffff500
	v_mov_b32_e32 v35, s5
	v_addc_co_u32_e32 v79, vcc, v118, v79, vcc
	s_cmp_lt_i32 s9, s10
	ds_read_b128 v[12:15], v35
	ds_read_b128 v[16:19], v35 offset:16
	global_load_ushort v37, v[46:47], off
	v_add_co_u32_e32 v80, vcc, s12, v117
	s_cselect_b32 s12, s9, s11
	v_mov_b32_e32 v81, s13
	s_ashr_i32 s13, s12, 31
	s_lshl_b64 s[12:13], s[12:13], 1
	s_add_i32 s9, s4, 0xfffff580
	v_addc_co_u32_e32 v81, vcc, v118, v81, vcc
	s_cmp_lt_i32 s9, s10
	s_waitcnt vmcnt(23)
	v_lshlrev_b32_e32 v34, 16, v120
	v_add_co_u32_e32 v82, vcc, s12, v117
	s_cselect_b32 s12, s9, s11
	ds_read_b128 v[20:23], v35 offset:32
	ds_read_b128 v[24:27], v35 offset:48
	s_waitcnt lgkmcnt(3)
	v_fmac_f32_e32 v119, v12, v34
	global_load_ushort v34, v[48:49], off
	global_load_ushort v38, v[50:51], off
	;; [unrolled: 1-line block ×6, first 2 shown]
	v_mov_b32_e32 v83, s13
	s_ashr_i32 s13, s12, 31
	s_lshl_b64 s[12:13], s[12:13], 1
	s_add_i32 s9, s4, 0xfffff600
	v_addc_co_u32_e32 v83, vcc, v118, v83, vcc
	s_cmp_lt_i32 s9, s10
	v_add_co_u32_e32 v84, vcc, s12, v117
	s_cselect_b32 s12, s9, s11
	v_mov_b32_e32 v85, s13
	s_ashr_i32 s13, s12, 31
	s_lshl_b64 s[12:13], s[12:13], 1
	s_add_i32 s9, s4, 0xfffff680
	v_addc_co_u32_e32 v85, vcc, v118, v85, vcc
	s_cmp_lt_i32 s9, s10
	v_add_co_u32_e32 v86, vcc, s12, v117
	s_cselect_b32 s12, s9, s11
	;; [unrolled: 8-line block ×7, first 2 shown]
	v_mov_b32_e32 v97, s13
	s_ashr_i32 s13, s12, 31
	s_lshl_b64 s[12:13], s[12:13], 1
	s_add_i32 s9, s4, 0xfffff980
	v_addc_co_u32_e32 v97, vcc, v118, v97, vcc
	s_cmp_lt_i32 s9, s10
	s_waitcnt vmcnt(25)
	v_lshlrev_b32_e32 v12, 16, v121
	v_add_co_u32_e32 v98, vcc, s12, v117
	s_cselect_b32 s12, s9, s11
	v_fmac_f32_e32 v119, v13, v12
	v_lshlrev_b32_e32 v12, 16, v122
	v_mov_b32_e32 v99, s13
	s_ashr_i32 s13, s12, 31
	v_fmac_f32_e32 v119, v14, v12
	v_lshlrev_b32_e32 v12, 16, v123
	s_lshl_b64 s[12:13], s[12:13], 1
	s_add_i32 s9, s4, 0xfffffa00
	v_fmac_f32_e32 v119, v15, v12
	v_lshlrev_b32_e32 v12, 16, v124
	v_addc_co_u32_e32 v99, vcc, v118, v99, vcc
	s_cmp_lt_i32 s9, s10
	s_waitcnt lgkmcnt(2)
	v_fmac_f32_e32 v119, v16, v12
	s_waitcnt vmcnt(24)
	v_lshlrev_b32_e32 v12, 16, v125
	v_add_co_u32_e32 v100, vcc, s12, v117
	s_cselect_b32 s12, s9, s11
	v_fmac_f32_e32 v119, v17, v12
	s_waitcnt vmcnt(23)
	v_lshlrev_b32_e32 v12, 16, v126
	v_mov_b32_e32 v101, s13
	s_ashr_i32 s13, s12, 31
	v_fmac_f32_e32 v119, v18, v12
	s_waitcnt vmcnt(22)
	v_lshlrev_b32_e32 v12, 16, v127
	s_lshl_b64 s[12:13], s[12:13], 1
	s_add_i32 s9, s4, 0xfffffa80
	v_fmac_f32_e32 v119, v19, v12
	s_waitcnt vmcnt(21)
	v_lshlrev_b32_e32 v12, 16, v128
	v_addc_co_u32_e32 v101, vcc, v118, v101, vcc
	s_cmp_lt_i32 s9, s10
	s_waitcnt lgkmcnt(1)
	v_fmac_f32_e32 v119, v20, v12
	global_load_ushort v20, v[60:61], off
	v_add_co_u32_e32 v102, vcc, s12, v117
	s_cselect_b32 s12, s9, s11
	v_mov_b32_e32 v103, s13
	s_ashr_i32 s13, s12, 31
	s_lshl_b64 s[12:13], s[12:13], 1
	s_add_i32 s9, s4, 0xfffffb00
	s_waitcnt vmcnt(21)
	v_lshlrev_b32_e32 v12, 16, v129
	v_addc_co_u32_e32 v103, vcc, v118, v103, vcc
	s_cmp_lt_i32 s9, s10
	v_fmac_f32_e32 v119, v21, v12
	global_load_ushort v21, v[62:63], off
	v_add_co_u32_e32 v104, vcc, s12, v117
	s_cselect_b32 s12, s9, s11
	s_waitcnt vmcnt(21)
	v_lshlrev_b32_e32 v12, 16, v130
	global_load_ushort v43, v[64:65], off
	v_mov_b32_e32 v105, s13
	s_ashr_i32 s13, s12, 31
	v_fmac_f32_e32 v119, v22, v12
	global_load_ushort v22, v[66:67], off
	s_waitcnt vmcnt(22)
	v_lshlrev_b32_e32 v12, 16, v131
	s_lshl_b64 s[12:13], s[12:13], 1
	s_add_i32 s9, s4, 0xfffffb80
	v_fmac_f32_e32 v119, v23, v12
	global_load_ushort v23, v[68:69], off
	global_load_ushort v44, v[70:71], off
	v_addc_co_u32_e32 v105, vcc, v118, v105, vcc
	s_cmp_lt_i32 s9, s10
	s_waitcnt vmcnt(23)
	v_lshlrev_b32_e32 v12, 16, v132
	v_add_co_u32_e32 v108, vcc, s12, v117
	s_cselect_b32 s12, s9, s11
	s_waitcnt lgkmcnt(0)
	v_fmac_f32_e32 v119, v24, v12
	global_load_ushort v24, v[72:73], off
	global_load_ushort v45, v[74:75], off
	v_mov_b32_e32 v106, s13
	s_ashr_i32 s13, s12, 31
	s_waitcnt vmcnt(24)
	v_lshlrev_b32_e32 v12, 16, v133
	s_lshl_b64 s[12:13], s[12:13], 1
	s_add_i32 s9, s4, 0xfffffc00
	v_fmac_f32_e32 v119, v25, v12
	global_load_ushort v25, v[76:77], off
	v_addc_co_u32_e32 v109, vcc, v118, v106, vcc
	s_cmp_lt_i32 s9, s10
	v_add_co_u32_e32 v106, vcc, s12, v117
	s_cselect_b32 s12, s9, s11
	s_waitcnt vmcnt(24)
	v_lshlrev_b32_e32 v12, 16, v134
	v_mov_b32_e32 v107, s13
	s_ashr_i32 s13, s12, 31
	v_fmac_f32_e32 v119, v26, v12
	global_load_ushort v26, v[78:79], off
	s_waitcnt vmcnt(24)
	v_lshlrev_b32_e32 v12, 16, v135
	s_lshl_b64 s[12:13], s[12:13], 1
	s_add_i32 s9, s4, 0xfffffc80
	v_fmac_f32_e32 v119, v27, v12
	ds_read_b128 v[12:15], v35 offset:64
	ds_read_b128 v[16:19], v35 offset:80
	v_addc_co_u32_e32 v107, vcc, v118, v107, vcc
	s_cmp_lt_i32 s9, s10
	global_load_ushort v46, v[80:81], off
	global_load_ushort v27, v[82:83], off
	;; [unrolled: 1-line block ×4, first 2 shown]
	v_add_co_u32_e32 v112, vcc, s12, v117
	s_cselect_b32 s12, s9, s11
	v_mov_b32_e32 v110, s13
	s_ashr_i32 s13, s12, 31
	s_lshl_b64 s[12:13], s[12:13], 1
	s_add_i32 s9, s4, 0xfffffd00
	s_waitcnt vmcnt(27)
	v_lshlrev_b32_e32 v28, 16, v28
	v_addc_co_u32_e32 v113, vcc, v118, v110, vcc
	s_cmp_lt_i32 s9, s10
	s_waitcnt lgkmcnt(1)
	v_fmac_f32_e32 v119, v12, v28
	global_load_ushort v28, v[88:89], off
	v_add_co_u32_e32 v110, vcc, s12, v117
	s_cselect_b32 s12, s9, s11
	s_waitcnt vmcnt(27)
	v_lshlrev_b32_e32 v12, 16, v29
	global_load_ushort v29, v[90:91], off
	global_load_ushort v49, v[92:93], off
	v_mov_b32_e32 v111, s13
	s_ashr_i32 s13, s12, 31
	s_lshl_b64 s[12:13], s[12:13], 1
	s_add_i32 s9, s4, 0xfffffd80
	v_addc_co_u32_e32 v111, vcc, v118, v111, vcc
	s_cmp_lt_i32 s9, s10
	v_add_co_u32_e32 v114, vcc, s12, v117
	s_cselect_b32 s12, s9, s11
	v_mov_b32_e32 v115, s13
	s_ashr_i32 s13, s12, 31
	v_fmac_f32_e32 v119, v13, v12
	s_waitcnt vmcnt(28)
	v_lshlrev_b32_e32 v12, 16, v30
	global_load_ushort v30, v[94:95], off
	s_lshl_b64 s[12:13], s[12:13], 1
	s_add_i32 s9, s4, 0xfffffe00
	v_fmac_f32_e32 v119, v14, v12
	s_waitcnt vmcnt(28)
	v_lshlrev_b32_e32 v12, 16, v31
	global_load_ushort v31, v[96:97], off
	v_addc_co_u32_e32 v115, vcc, v118, v115, vcc
	s_cmp_lt_i32 s9, s10
	v_fmac_f32_e32 v119, v15, v12
	s_waitcnt vmcnt(28)
	v_lshlrev_b32_e32 v12, 16, v32
	global_load_ushort v32, v[98:99], off
	global_load_ushort v50, v[100:101], off
	v_add_co_u32_e32 v0, vcc, s12, v117
	s_cselect_b32 s12, s9, s11
	v_mov_b32_e32 v2, s13
	s_ashr_i32 s13, s12, 31
	s_lshl_b64 s[12:13], s[12:13], 1
	s_add_i32 s9, s4, 0xfffffe80
	s_waitcnt lgkmcnt(0)
	v_fmac_f32_e32 v119, v16, v12
	s_waitcnt vmcnt(29)
	v_lshlrev_b32_e32 v12, 16, v33
	global_load_ushort v33, v[102:103], off
	global_load_ushort v51, v[104:105], off
	global_load_ushort v52, v[108:109], off
	v_addc_co_u32_e32 v1, vcc, v118, v2, vcc
	s_cmp_lt_i32 s9, s10
	v_add_co_u32_e32 v2, vcc, s12, v117
	s_cselect_b32 s12, s9, s11
	v_mov_b32_e32 v3, s13
	s_ashr_i32 s13, s12, 31
	v_fmac_f32_e32 v119, v17, v12
	s_waitcnt vmcnt(31)
	v_lshlrev_b32_e32 v12, 16, v36
	global_load_ushort v36, v[106:107], off
	global_load_ushort v53, v[112:113], off
	s_lshl_b64 s[12:13], s[12:13], 1
	s_add_i32 s9, s4, 0xffffff00
	v_addc_co_u32_e32 v3, vcc, v118, v3, vcc
	s_cmp_lt_i32 s9, s10
	v_fmac_f32_e32 v119, v18, v12
	s_waitcnt vmcnt(32)
	v_lshlrev_b32_e32 v12, 16, v37
	v_add_co_u32_e32 v4, vcc, s12, v117
	s_cselect_b32 s12, s9, s11
	v_fmac_f32_e32 v119, v19, v12
	ds_read_b128 v[12:15], v35 offset:96
	v_mov_b32_e32 v5, s13
	s_ashr_i32 s13, s12, 31
	s_lshl_b64 s[12:13], s[12:13], 1
	s_add_i32 s9, s4, 0xffffff80
	v_addc_co_u32_e32 v5, vcc, v118, v5, vcc
	s_cmp_lt_i32 s9, s10
	global_load_ushort v37, v[110:111], off
	global_load_ushort v54, v[114:115], off
	v_add_co_u32_e32 v8, vcc, s12, v117
	s_cselect_b32 s12, s9, s11
	s_waitcnt vmcnt(33)
	v_lshlrev_b32_e32 v34, 16, v34
	v_mov_b32_e32 v6, s13
	s_ashr_i32 s13, s12, 31
	s_waitcnt lgkmcnt(0)
	v_fmac_f32_e32 v119, v12, v34
	s_waitcnt vmcnt(32)
	v_lshlrev_b32_e32 v12, 16, v38
	s_lshl_b64 s[12:13], s[12:13], 1
	ds_read_b128 v[16:19], v35 offset:112
	v_fmac_f32_e32 v119, v13, v12
	global_load_ushort v12, v[0:1], off
	global_load_ushort v13, v[2:3], off
	v_addc_co_u32_e32 v9, vcc, v118, v6, vcc
	s_cmp_lt_i32 s4, s10
	v_add_co_u32_e32 v6, vcc, s12, v117
	s_cselect_b32 s12, s4, s11
	s_waitcnt vmcnt(33)
	v_lshlrev_b32_e32 v0, 16, v39
	v_mov_b32_e32 v7, s13
	s_ashr_i32 s13, s12, 31
	v_fmac_f32_e32 v119, v14, v0
	global_load_ushort v14, v[4:5], off
	global_load_ushort v34, v[8:9], off
	v_addc_co_u32_e32 v7, vcc, v118, v7, vcc
	s_lshl_b64 s[12:13], s[12:13], 1
	s_waitcnt vmcnt(34)
	v_lshlrev_b32_e32 v0, 16, v40
	v_mov_b32_e32 v11, s13
	v_add_co_u32_e32 v10, vcc, s12, v117
	v_fmac_f32_e32 v119, v15, v0
	s_waitcnt vmcnt(33)
	v_lshlrev_b32_e32 v0, 16, v41
	v_addc_co_u32_e32 v11, vcc, v118, v11, vcc
	s_waitcnt lgkmcnt(0)
	v_fmac_f32_e32 v119, v16, v0
	global_load_ushort v15, v[6:7], off
	global_load_ushort v16, v[10:11], off
	s_waitcnt vmcnt(34)
	v_lshlrev_b32_e32 v0, 16, v42
	v_fmac_f32_e32 v119, v17, v0
	s_waitcnt vmcnt(33)
	v_lshlrev_b32_e32 v0, 16, v20
	v_fmac_f32_e32 v119, v18, v0
	ds_read_b128 v[0:3], v35 offset:128
	s_waitcnt vmcnt(32)
	v_lshlrev_b32_e32 v4, 16, v21
	v_fmac_f32_e32 v119, v19, v4
	ds_read_b128 v[4:7], v35 offset:144
	s_waitcnt vmcnt(31)
	v_lshlrev_b32_e32 v8, 16, v43
	s_waitcnt lgkmcnt(1)
	v_fmac_f32_e32 v119, v0, v8
	s_waitcnt vmcnt(30)
	v_lshlrev_b32_e32 v0, 16, v22
	v_fmac_f32_e32 v119, v1, v0
	s_waitcnt vmcnt(29)
	v_lshlrev_b32_e32 v0, 16, v23
	;; [unrolled: 3-line block ×4, first 2 shown]
	s_waitcnt lgkmcnt(0)
	v_fmac_f32_e32 v119, v4, v0
	s_waitcnt vmcnt(26)
	v_lshlrev_b32_e32 v0, 16, v45
	v_fmac_f32_e32 v119, v5, v0
	s_waitcnt vmcnt(25)
	v_lshlrev_b32_e32 v0, 16, v25
	v_fmac_f32_e32 v119, v6, v0
	ds_read_b128 v[0:3], v35 offset:160
	s_waitcnt vmcnt(24)
	v_lshlrev_b32_e32 v4, 16, v26
	v_fmac_f32_e32 v119, v7, v4
	ds_read_b128 v[4:7], v35 offset:176
	s_waitcnt vmcnt(23)
	v_lshlrev_b32_e32 v8, 16, v46
	s_waitcnt lgkmcnt(1)
	v_fmac_f32_e32 v119, v0, v8
	s_waitcnt vmcnt(22)
	v_lshlrev_b32_e32 v0, 16, v27
	v_fmac_f32_e32 v119, v1, v0
	s_waitcnt vmcnt(21)
	v_lshlrev_b32_e32 v0, 16, v47
	;; [unrolled: 3-line block ×4, first 2 shown]
	s_waitcnt lgkmcnt(0)
	v_fmac_f32_e32 v119, v4, v0
	s_waitcnt vmcnt(18)
	v_lshlrev_b32_e32 v0, 16, v29
	v_fmac_f32_e32 v119, v5, v0
	s_waitcnt vmcnt(17)
	v_lshlrev_b32_e32 v0, 16, v49
	v_fmac_f32_e32 v119, v6, v0
	ds_read_b128 v[0:3], v35 offset:192
	s_waitcnt vmcnt(16)
	v_lshlrev_b32_e32 v4, 16, v30
	v_fmac_f32_e32 v119, v7, v4
	ds_read_b128 v[4:7], v35 offset:208
	s_waitcnt vmcnt(15)
	v_lshlrev_b32_e32 v8, 16, v31
	s_waitcnt lgkmcnt(1)
	v_fmac_f32_e32 v119, v0, v8
	s_waitcnt vmcnt(14)
	v_lshlrev_b32_e32 v0, 16, v32
	v_fmac_f32_e32 v119, v1, v0
	s_waitcnt vmcnt(13)
	v_lshlrev_b32_e32 v0, 16, v50
	;; [unrolled: 3-line block ×4, first 2 shown]
	v_lshlrev_b32_e32 v0, 16, v51
	s_waitcnt lgkmcnt(0)
	v_pk_mul_f32 v[0:1], v[4:5], v[0:1]
	v_add_f32_e32 v0, v119, v0
	v_add_f32_e32 v2, v0, v1
	s_waitcnt vmcnt(8)
	v_lshlrev_b32_e32 v1, 16, v53
	v_lshlrev_b32_e32 v0, 16, v36
	v_pk_mul_f32 v[4:5], v[6:7], v[0:1]
	v_add_f32_e32 v4, v2, v4
	ds_read_b128 v[0:3], v35 offset:224
	s_waitcnt vmcnt(6)
	v_lshlrev_b32_e32 v9, 16, v54
	v_lshlrev_b32_e32 v8, 16, v37
	v_add_f32_e32 v10, v4, v5
	ds_read_b128 v[4:7], v35 offset:240
	s_waitcnt lgkmcnt(1)
	v_pk_mul_f32 v[0:1], v[0:1], v[8:9]
	v_add_f32_e32 v0, v10, v0
	v_add_f32_e32 v8, v0, v1
	s_waitcnt vmcnt(4)
	v_lshlrev_b32_e32 v1, 16, v13
	v_lshlrev_b32_e32 v0, 16, v12
	v_pk_mul_f32 v[0:1], v[2:3], v[0:1]
	v_add_f32_e32 v0, v8, v0
	v_add_f32_e32 v2, v0, v1
	s_waitcnt vmcnt(2)
	v_lshlrev_b32_e32 v1, 16, v34
	v_lshlrev_b32_e32 v0, 16, v14
	s_waitcnt lgkmcnt(0)
	v_pk_mul_f32 v[0:1], v[4:5], v[0:1]
	v_add_f32_e32 v0, v2, v0
	v_add_f32_e32 v2, v0, v1
	s_waitcnt vmcnt(1)
	v_lshlrev_b32_e32 v0, 16, v15
	s_waitcnt vmcnt(0)
	v_lshlrev_b32_e32 v1, 16, v16
	v_pk_mul_f32 v[0:1], v[6:7], v[0:1]
	v_add_f32_e32 v0, v2, v0
	v_add_f32_e32 v119, v0, v1
	s_branch .LBB307_16
.LBB307_19:
	v_mov_b32_e32 v0, 0
	ds_read_b32 v0, v0 offset:1024
	s_cmp_lg_u64 s[2:3], 0
	s_cbranch_scc0 .LBB307_28
; %bb.20:
	s_load_dword s4, s[2:3], 0x0
	s_waitcnt lgkmcnt(0)
	v_div_scale_f32 v1, s[2:3], s4, s4, 1.0
	v_rcp_f32_e32 v2, v1
	v_div_scale_f32 v3, vcc, 1.0, s4, 1.0
	v_fma_f32 v4, -v1, v2, 1.0
	v_fmac_f32_e32 v2, v4, v2
	v_mul_f32_e32 v4, v3, v2
	v_fma_f32 v5, -v1, v4, v3
	v_fmac_f32_e32 v4, v5, v2
	v_fma_f32 v1, -v1, v4, v3
	v_div_fmas_f32 v1, v1, v2, v4
	v_div_fixup_f32 v1, v1, s4, 1.0
	s_andn2_b64 vcc, exec, s[24:25]
	s_cbranch_vccnz .LBB307_22
.LBB307_21:
	s_add_u32 s2, s22, s26
	s_addc_u32 s3, s23, s27
	s_load_dword s20, s[2:3], 0x0
	s_mov_b32 s21, 0
.LBB307_22:
	s_waitcnt lgkmcnt(0)
	v_add_f32_e32 v0, 0x358637bd, v0
	v_div_scale_f32 v2, s[2:3], v0, v0, 1.0
	v_rcp_f32_e32 v3, v2
	v_div_scale_f32 v4, vcc, 1.0, v0, 1.0
	s_mov_b32 s2, 0x7f800000
	v_fma_f32 v5, -v2, v3, 1.0
	v_fmac_f32_e32 v3, v5, v3
	v_mul_f32_e32 v5, v4, v3
	v_fma_f32 v6, -v2, v5, v4
	v_fmac_f32_e32 v5, v6, v3
	v_fma_f32 v2, -v2, v5, v4
	v_div_fmas_f32 v2, v2, v3, v5
	v_div_fixup_f32 v0, v2, v0, 1.0
	v_mul_f32_e32 v0, v119, v0
	v_mul_f32_e32 v1, v0, v1
	v_and_b32_e32 v0, 0x7f800000, v1
	v_cmp_ne_u32_e32 vcc, s2, v0
                                        ; implicit-def: $vgpr0
	s_and_saveexec_b64 s[2:3], vcc
	s_xor_b64 s[2:3], exec, s[2:3]
; %bb.23:
	v_bfe_u32 v0, v1, 16, 1
	s_movk_i32 s4, 0x7fff
	v_add3_u32 v0, v1, v0, s4
                                        ; implicit-def: $vgpr1
; %bb.24:
	s_andn2_saveexec_b64 s[2:3], s[2:3]
; %bb.25:
	v_mov_b32_e32 v0, 0
	v_or_b32_e32 v2, 0x10000, v1
	v_cmp_eq_u32_sdwa vcc, v1, v0 src0_sel:WORD_0 src1_sel:DWORD
	v_cndmask_b32_e32 v0, v2, v1, vcc
; %bb.26:
	s_or_b64 exec, exec, s[2:3]
	s_mul_i32 s2, s7, s21
	s_mul_hi_u32 s3, s7, s20
	s_add_i32 s3, s3, s2
	s_mul_i32 s2, s7, s20
	s_lshl_b64 s[2:3], s[2:3], 8
	s_add_u32 s2, s0, s2
	s_mov_b32 s7, 0
	s_addc_u32 s3, s1, s3
	s_lshl_b64 s[0:1], s[6:7], 8
	s_add_u32 s0, s2, s0
	s_addc_u32 s1, s3, s1
	global_store_short_d16_hi v116, v0, s[0:1]
	s_endpgm
.LBB307_27:
	s_mov_b64 s[2:3], 0
	s_branch .LBB307_2
.LBB307_28:
	v_mov_b32_e32 v1, 1.0
	s_andn2_b64 vcc, exec, s[24:25]
	s_cbranch_vccz .LBB307_21
	s_branch .LBB307_22
	.section	.rodata,"a",@progbits
	.p2align	6, 0x0
	.amdhsa_kernel _Z35paged_attention_ll4mi_reduce_kernelI14__hip_bfloat16S0_Li128ELi128ELi256ELi4EEvPT0_PKfS4_PKT_PKiS9_iS4_
		.amdhsa_group_segment_fixed_size 1028
		.amdhsa_private_segment_fixed_size 0
		.amdhsa_kernarg_size 320
		.amdhsa_user_sgpr_count 6
		.amdhsa_user_sgpr_private_segment_buffer 1
		.amdhsa_user_sgpr_dispatch_ptr 0
		.amdhsa_user_sgpr_queue_ptr 0
		.amdhsa_user_sgpr_kernarg_segment_ptr 1
		.amdhsa_user_sgpr_dispatch_id 0
		.amdhsa_user_sgpr_flat_scratch_init 0
		.amdhsa_user_sgpr_kernarg_preload_length 0
		.amdhsa_user_sgpr_kernarg_preload_offset 0
		.amdhsa_user_sgpr_private_segment_size 0
		.amdhsa_uses_dynamic_stack 0
		.amdhsa_system_sgpr_private_segment_wavefront_offset 0
		.amdhsa_system_sgpr_workgroup_id_x 1
		.amdhsa_system_sgpr_workgroup_id_y 1
		.amdhsa_system_sgpr_workgroup_id_z 0
		.amdhsa_system_sgpr_workgroup_info 0
		.amdhsa_system_vgpr_workitem_id 0
		.amdhsa_next_free_vgpr 136
		.amdhsa_next_free_sgpr 37
		.amdhsa_accum_offset 136
		.amdhsa_reserve_vcc 1
		.amdhsa_reserve_flat_scratch 0
		.amdhsa_float_round_mode_32 0
		.amdhsa_float_round_mode_16_64 0
		.amdhsa_float_denorm_mode_32 3
		.amdhsa_float_denorm_mode_16_64 3
		.amdhsa_dx10_clamp 1
		.amdhsa_ieee_mode 1
		.amdhsa_fp16_overflow 0
		.amdhsa_tg_split 0
		.amdhsa_exception_fp_ieee_invalid_op 0
		.amdhsa_exception_fp_denorm_src 0
		.amdhsa_exception_fp_ieee_div_zero 0
		.amdhsa_exception_fp_ieee_overflow 0
		.amdhsa_exception_fp_ieee_underflow 0
		.amdhsa_exception_fp_ieee_inexact 0
		.amdhsa_exception_int_div_zero 0
	.end_amdhsa_kernel
	.section	.text._Z35paged_attention_ll4mi_reduce_kernelI14__hip_bfloat16S0_Li128ELi128ELi256ELi4EEvPT0_PKfS4_PKT_PKiS9_iS4_,"axG",@progbits,_Z35paged_attention_ll4mi_reduce_kernelI14__hip_bfloat16S0_Li128ELi128ELi256ELi4EEvPT0_PKfS4_PKT_PKiS9_iS4_,comdat
.Lfunc_end307:
	.size	_Z35paged_attention_ll4mi_reduce_kernelI14__hip_bfloat16S0_Li128ELi128ELi256ELi4EEvPT0_PKfS4_PKT_PKiS9_iS4_, .Lfunc_end307-_Z35paged_attention_ll4mi_reduce_kernelI14__hip_bfloat16S0_Li128ELi128ELi256ELi4EEvPT0_PKfS4_PKT_PKiS9_iS4_
                                        ; -- End function
	.section	.AMDGPU.csdata,"",@progbits
; Kernel info:
; codeLenInByte = 9744
; NumSgprs: 41
; NumVgprs: 136
; NumAgprs: 0
; TotalNumVgprs: 136
; ScratchSize: 0
; MemoryBound: 0
; FloatMode: 240
; IeeeMode: 1
; LDSByteSize: 1028 bytes/workgroup (compile time only)
; SGPRBlocks: 5
; VGPRBlocks: 16
; NumSGPRsForWavesPerEU: 41
; NumVGPRsForWavesPerEU: 136
; AccumOffset: 136
; Occupancy: 3
; WaveLimiterHint : 1
; COMPUTE_PGM_RSRC2:SCRATCH_EN: 0
; COMPUTE_PGM_RSRC2:USER_SGPR: 6
; COMPUTE_PGM_RSRC2:TRAP_HANDLER: 0
; COMPUTE_PGM_RSRC2:TGID_X_EN: 1
; COMPUTE_PGM_RSRC2:TGID_Y_EN: 1
; COMPUTE_PGM_RSRC2:TGID_Z_EN: 0
; COMPUTE_PGM_RSRC2:TIDIG_COMP_CNT: 0
; COMPUTE_PGM_RSRC3_GFX90A:ACCUM_OFFSET: 33
; COMPUTE_PGM_RSRC3_GFX90A:TG_SPLIT: 0
	.section	.text._Z35paged_attention_ll4mi_reduce_kernelI14__hip_bfloat16S0_Li128ELi128ELi256ELi5EEvPT0_PKfS4_PKT_PKiS9_iS4_,"axG",@progbits,_Z35paged_attention_ll4mi_reduce_kernelI14__hip_bfloat16S0_Li128ELi128ELi256ELi5EEvPT0_PKfS4_PKT_PKiS9_iS4_,comdat
	.protected	_Z35paged_attention_ll4mi_reduce_kernelI14__hip_bfloat16S0_Li128ELi128ELi256ELi5EEvPT0_PKfS4_PKT_PKiS9_iS4_ ; -- Begin function _Z35paged_attention_ll4mi_reduce_kernelI14__hip_bfloat16S0_Li128ELi128ELi256ELi5EEvPT0_PKfS4_PKT_PKiS9_iS4_
	.globl	_Z35paged_attention_ll4mi_reduce_kernelI14__hip_bfloat16S0_Li128ELi128ELi256ELi5EEvPT0_PKfS4_PKT_PKiS9_iS4_
	.p2align	8
	.type	_Z35paged_attention_ll4mi_reduce_kernelI14__hip_bfloat16S0_Li128ELi128ELi256ELi5EEvPT0_PKfS4_PKT_PKiS9_iS4_,@function
_Z35paged_attention_ll4mi_reduce_kernelI14__hip_bfloat16S0_Li128ELi128ELi256ELi5EEvPT0_PKfS4_PKT_PKiS9_iS4_: ; @_Z35paged_attention_ll4mi_reduce_kernelI14__hip_bfloat16S0_Li128ELi128ELi256ELi5EEvPT0_PKfS4_PKT_PKiS9_iS4_
; %bb.0:
	s_load_dwordx2 s[24:25], s[4:5], 0x28
	s_mov_b32 s14, s7
	s_mov_b64 s[0:1], 0
	s_waitcnt lgkmcnt(0)
	s_cmp_lg_u64 s[24:25], 0
	s_cselect_b64 s[26:27], -1, 0
	s_and_b64 vcc, exec, s[26:27]
	s_cbranch_vccz .LBB308_27
; %bb.1:
	s_add_i32 s2, s14, 1
	s_mov_b32 s3, 0
	s_lshl_b64 s[8:9], s[2:3], 2
	s_add_u32 s8, s24, s8
	s_mov_b32 s15, s3
	s_addc_u32 s9, s25, s9
	s_lshl_b64 s[2:3], s[14:15], 2
	s_add_u32 s2, s24, s2
	s_addc_u32 s3, s25, s3
	s_load_dword s7, s[8:9], 0x0
	s_load_dword s10, s[2:3], 0x0
	s_waitcnt lgkmcnt(0)
	s_sub_i32 s2, s7, s10
	s_cmp_eq_u32 s2, 1
	s_cselect_b64 s[2:3], -1, 0
	s_andn2_b64 vcc, exec, s[0:1]
	s_cbranch_vccnz .LBB308_3
.LBB308_2:
	s_mov_b32 s15, 0
	s_mov_b64 s[2:3], -1
.LBB308_3:
	s_andn2_b64 vcc, exec, s[2:3]
	s_cbranch_vccz .LBB308_5
; %bb.4:
	s_endpgm
.LBB308_5:
	s_load_dwordx4 s[16:19], s[4:5], 0x18
	s_load_dword s8, s[4:5], 0x30
	s_lshl_b64 s[28:29], s[14:15], 2
	v_cmp_lt_u32_e32 vcc, 63, v0
	s_waitcnt lgkmcnt(0)
	s_add_u32 s0, s18, s28
	s_addc_u32 s1, s19, s29
	s_load_dword s38, s[0:1], 0x0
	s_load_dword s7, s[4:5], 0x40
	s_mul_i32 s18, s6, s8
	s_mul_i32 s2, s14, s8
	s_waitcnt lgkmcnt(0)
	s_add_i32 s3, s38, 0xff
	s_ashr_i32 s0, s3, 31
	s_lshr_b32 s0, s0, 24
	s_add_i32 s3, s3, s0
	s_and_saveexec_b64 s[0:1], vcc
	s_xor_b64 s[0:1], exec, s[0:1]
	s_or_saveexec_b64 s[30:31], s[0:1]
	s_ashr_i32 s33, s3, 8
	v_mov_b32_e32 v1, s18
	s_mul_i32 s34, s2, s7
	s_xor_b64 exec, exec, s[30:31]
	s_cbranch_execz .LBB308_9
; %bb.6:
	s_add_i32 s0, s33, -1
	v_or_b32_e32 v3, 64, v0
	s_load_dwordx4 s[20:23], s[4:5], 0x8
	v_mov_b32_e32 v1, s0
	v_cmp_gt_u32_e64 s[8:9], s33, v3
	v_cndmask_b32_e64 v4, v1, v3, s[8:9]
	v_or_b32_e32 v3, 0x80, v0
	v_cmp_gt_u32_e64 s[2:3], s33, v3
	s_mov_b32 s35, 0
	v_cndmask_b32_e64 v6, v1, v3, s[2:3]
	v_or_b32_e32 v3, 0xc0, v0
	v_cmp_gt_u32_e64 s[0:1], s33, v3
	s_lshl_b64 s[36:37], s[34:35], 2
	s_mov_b32 s19, s35
	v_cmp_gt_u32_e64 s[10:11], s33, v0
	v_cndmask_b32_e64 v8, v1, v3, s[0:1]
	v_or_b32_e32 v3, 0x100, v0
	s_waitcnt lgkmcnt(0)
	s_add_u32 s12, s22, s36
	v_cndmask_b32_e64 v2, v1, v0, s[10:11]
	v_cmp_gt_u32_e32 vcc, s33, v3
	s_addc_u32 s13, s23, s37
	s_lshl_b64 s[22:23], s[18:19], 2
	v_cndmask_b32_e32 v10, v1, v3, vcc
	s_add_u32 s19, s12, s22
	v_ashrrev_i32_e32 v3, 31, v2
	s_addc_u32 s35, s13, s23
	v_lshlrev_b64 v[2:3], 2, v[2:3]
	v_mov_b32_e32 v1, s35
	v_add_co_u32_e64 v12, s[12:13], s19, v2
	v_ashrrev_i32_e32 v5, 31, v4
	v_addc_co_u32_e64 v13, s[12:13], v1, v3, s[12:13]
	v_lshlrev_b64 v[4:5], 2, v[4:5]
	v_add_co_u32_e64 v14, s[12:13], s19, v4
	v_ashrrev_i32_e32 v7, 31, v6
	v_addc_co_u32_e64 v15, s[12:13], v1, v5, s[12:13]
	v_lshlrev_b64 v[6:7], 2, v[6:7]
	;; [unrolled: 4-line block ×4, first 2 shown]
	v_add_co_u32_e64 v20, s[12:13], s19, v10
	v_addc_co_u32_e64 v21, s[12:13], v1, v11, s[12:13]
	global_load_dword v1, v[12:13], off
	global_load_dword v22, v[14:15], off
	;; [unrolled: 1-line block ×5, first 2 shown]
	v_mbcnt_lo_u32_b32 v12, -1, 0
	v_mbcnt_hi_u32_b32 v12, -1, v12
	v_and_b32_e32 v13, 64, v12
	v_xor_b32_e32 v14, 32, v12
	v_add_u32_e32 v13, 64, v13
	v_xor_b32_e32 v15, 16, v12
	v_cmp_lt_i32_e64 s[12:13], v14, v13
	v_xor_b32_e32 v16, 8, v12
	v_cndmask_b32_e64 v14, v12, v14, s[12:13]
	v_cmp_lt_i32_e64 s[12:13], v15, v13
	v_cndmask_b32_e64 v15, v12, v15, s[12:13]
	v_cmp_lt_i32_e64 s[12:13], v16, v13
	v_cndmask_b32_e64 v16, v12, v16, s[12:13]
	v_lshlrev_b32_e32 v14, 2, v14
	s_add_u32 s12, s20, s36
	s_addc_u32 s13, s21, s37
	s_add_u32 s19, s12, s22
	s_addc_u32 s20, s13, s23
	v_mov_b32_e32 v20, s20
	v_add_co_u32_e64 v2, s[12:13], s19, v2
	v_addc_co_u32_e64 v3, s[12:13], v20, v3, s[12:13]
	global_load_dword v20, v[2:3], off
	v_lshlrev_b32_e32 v15, 2, v15
	v_lshlrev_b32_e32 v16, 2, v16
	v_xor_b32_e32 v17, 4, v12
	v_cmp_lt_i32_e64 s[12:13], v17, v13
	v_cndmask_b32_e64 v17, v12, v17, s[12:13]
	v_lshlrev_b32_e32 v17, 2, v17
	v_xor_b32_e32 v18, 2, v12
	v_xor_b32_e32 v19, 1, v12
	s_mov_b32 s21, 0x42b17218
	s_waitcnt vmcnt(3)
	v_max3_f32 v21, v1, v22, v23
	s_waitcnt vmcnt(1)
	v_max3_f32 v21, v21, v24, v25
	ds_bpermute_b32 v26, v14, v21
	s_waitcnt lgkmcnt(0)
	v_max_f32_e32 v2, v26, v26
	v_max_f32_e32 v2, v21, v2
	ds_bpermute_b32 v3, v15, v2
	v_mov_b32_e32 v21, s20
	s_waitcnt lgkmcnt(0)
	v_max_f32_e32 v3, v3, v3
	v_max_f32_e32 v26, v2, v3
	ds_bpermute_b32 v27, v16, v26
	v_add_co_u32_e64 v2, s[12:13], s19, v4
	v_addc_co_u32_e64 v3, s[12:13], v21, v5, s[12:13]
	s_waitcnt lgkmcnt(0)
	v_max_f32_e32 v4, v27, v27
	v_max_f32_e32 v4, v26, v4
	ds_bpermute_b32 v5, v17, v4
	v_cmp_lt_i32_e64 s[12:13], v18, v13
	global_load_dword v21, v[2:3], off
	v_cndmask_b32_e64 v2, v12, v18, s[12:13]
	v_lshlrev_b32_e32 v18, 2, v2
	s_waitcnt lgkmcnt(0)
	v_max_f32_e32 v2, v5, v5
	v_max_f32_e32 v2, v4, v2
	ds_bpermute_b32 v3, v18, v2
	v_cmp_lt_i32_e64 s[12:13], v19, v13
	v_cndmask_b32_e64 v4, v12, v19, s[12:13]
	v_lshlrev_b32_e32 v12, 2, v4
	v_mov_b32_e32 v4, s20
	s_waitcnt lgkmcnt(0)
	v_max_f32_e32 v3, v3, v3
	v_max_f32_e32 v13, v2, v3
	v_add_co_u32_e64 v2, s[12:13], s19, v6
	v_addc_co_u32_e64 v3, s[12:13], v4, v7, s[12:13]
	v_mov_b32_e32 v5, s20
	v_add_co_u32_e64 v4, s[12:13], s19, v8
	v_addc_co_u32_e64 v5, s[12:13], v5, v9, s[12:13]
	v_mov_b32_e32 v7, s20
	v_add_co_u32_e64 v6, s[12:13], s19, v10
	v_addc_co_u32_e64 v7, s[12:13], v7, v11, s[12:13]
	global_load_dword v8, v[2:3], off
	global_load_dword v9, v[4:5], off
	;; [unrolled: 1-line block ×3, first 2 shown]
	ds_bpermute_b32 v19, v12, v13
	s_mov_b32 s19, 0x3fb8aa3b
	s_mov_b32 s20, 0xc2ce8ed0
	s_waitcnt lgkmcnt(0)
	v_max_f32_e32 v2, v19, v19
	v_max_f32_e32 v2, v13, v2
	v_sub_f32_e32 v1, v1, v2
	v_mul_f32_e32 v3, 0x3fb8aa3b, v1
	v_fma_f32 v4, v1, s19, -v3
	v_rndne_f32_e32 v5, v3
	v_fmac_f32_e32 v4, 0x32a5705f, v1
	v_sub_f32_e32 v3, v3, v5
	v_add_f32_e32 v3, v3, v4
	v_cvt_i32_f32_e32 v4, v5
	v_sub_f32_e32 v5, v22, v2
	v_mul_f32_e32 v6, 0x3fb8aa3b, v5
	v_fma_f32 v7, v5, s19, -v6
	v_rndne_f32_e32 v11, v6
	v_exp_f32_e32 v3, v3
	v_fmac_f32_e32 v7, 0x32a5705f, v5
	v_sub_f32_e32 v6, v6, v11
	v_add_f32_e32 v6, v6, v7
	v_exp_f32_e32 v6, v6
	v_cvt_i32_f32_e32 v7, v11
	v_ldexp_f32 v3, v3, v4
	v_cmp_ngt_f32_e64 s[12:13], s20, v1
	v_cndmask_b32_e64 v3, 0, v3, s[12:13]
	v_mov_b32_e32 v4, 0x7f800000
	v_cmp_nlt_f32_e64 s[12:13], s21, v1
	v_cndmask_b32_e64 v1, v4, v3, s[12:13]
	v_ldexp_f32 v3, v6, v7
	v_sub_f32_e32 v6, v23, v2
	v_mul_f32_e32 v7, 0x3fb8aa3b, v6
	v_fma_f32 v11, v6, s19, -v7
	v_rndne_f32_e32 v13, v7
	v_fmac_f32_e32 v11, 0x32a5705f, v6
	v_sub_f32_e32 v7, v7, v13
	v_add_f32_e32 v7, v7, v11
	v_exp_f32_e32 v7, v7
	v_cvt_i32_f32_e32 v11, v13
	v_cndmask_b32_e64 v1, 0, v1, s[10:11]
	s_waitcnt vmcnt(4)
	v_mul_f32_e32 v1, v20, v1
	v_cmp_ngt_f32_e64 s[10:11], s20, v5
	v_ldexp_f32 v7, v7, v11
	v_sub_f32_e32 v11, v24, v2
	v_mul_f32_e32 v13, 0x3fb8aa3b, v11
	v_fma_f32 v19, v11, s19, -v13
	v_rndne_f32_e32 v20, v13
	v_fmac_f32_e32 v19, 0x32a5705f, v11
	v_sub_f32_e32 v13, v13, v20
	v_add_f32_e32 v13, v13, v19
	v_cndmask_b32_e64 v3, 0, v3, s[10:11]
	v_cmp_nlt_f32_e64 s[10:11], s21, v5
	v_exp_f32_e32 v13, v13
	v_cvt_i32_f32_e32 v19, v20
	v_cndmask_b32_e64 v3, v4, v3, s[10:11]
	v_cndmask_b32_e64 v3, 0, v3, s[8:9]
	v_cmp_ngt_f32_e64 s[8:9], s20, v6
	v_cndmask_b32_e64 v7, 0, v7, s[8:9]
	v_cmp_nlt_f32_e64 s[8:9], s21, v6
	v_sub_f32_e32 v2, v25, v2
	v_cndmask_b32_e64 v6, v4, v7, s[8:9]
	v_ldexp_f32 v7, v13, v19
	v_mul_f32_e32 v13, 0x3fb8aa3b, v2
	v_fma_f32 v19, v2, s19, -v13
	v_rndne_f32_e32 v20, v13
	v_fmac_f32_e32 v19, 0x32a5705f, v2
	v_sub_f32_e32 v13, v13, v20
	v_add_f32_e32 v13, v13, v19
	v_exp_f32_e32 v13, v13
	v_cvt_i32_f32_e32 v19, v20
	v_cndmask_b32_e64 v6, 0, v6, s[2:3]
	v_cmp_ngt_f32_e64 s[2:3], s20, v11
	v_cndmask_b32_e64 v7, 0, v7, s[2:3]
	v_cmp_nlt_f32_e64 s[2:3], s21, v11
	v_cndmask_b32_e64 v7, v4, v7, s[2:3]
	v_cndmask_b32_e64 v7, 0, v7, s[0:1]
	v_ldexp_f32 v11, v13, v19
	v_cmp_ngt_f32_e64 s[0:1], s20, v2
	v_cndmask_b32_e64 v11, 0, v11, s[0:1]
	v_cmp_nlt_f32_e64 s[0:1], s21, v2
	s_waitcnt vmcnt(3)
	v_mul_f32_e32 v5, v21, v3
	v_cndmask_b32_e64 v2, v4, v11, s[0:1]
	v_lshlrev_b32_e32 v11, 2, v0
	ds_write2st64_b32 v11, v1, v5 offset1:1
	v_fmac_f32_e32 v1, v21, v3
	s_waitcnt vmcnt(2)
	v_fmac_f32_e32 v1, v8, v6
	v_cndmask_b32_e32 v4, 0, v2, vcc
	s_waitcnt vmcnt(1)
	v_fmac_f32_e32 v1, v9, v7
	s_waitcnt vmcnt(0)
	v_fmac_f32_e32 v1, v10, v4
	ds_bpermute_b32 v2, v14, v1
	v_mul_f32_e32 v3, v8, v6
	v_mul_f32_e32 v5, v9, v7
	v_cmp_eq_u32_e32 vcc, 0, v0
	v_mul_f32_e32 v4, v10, v4
	s_waitcnt lgkmcnt(0)
	v_add_f32_e32 v1, v1, v2
	ds_bpermute_b32 v2, v15, v1
	ds_write2st64_b32 v11, v3, v5 offset0:2 offset1:3
	ds_write_b32 v11, v4 offset:1024
	s_waitcnt lgkmcnt(2)
	v_add_f32_e32 v1, v1, v2
	ds_bpermute_b32 v2, v16, v1
	s_waitcnt lgkmcnt(0)
	v_add_f32_e32 v1, v1, v2
	ds_bpermute_b32 v2, v17, v1
	;; [unrolled: 3-line block ×4, first 2 shown]
	s_and_saveexec_b64 s[0:1], vcc
	s_cbranch_execz .LBB308_8
; %bb.7:
	s_waitcnt lgkmcnt(0)
	v_add_f32_e32 v1, v1, v2
	v_mov_b32_e32 v2, 0
	ds_write_b32 v2, v1 offset:1280
.LBB308_8:
	s_or_b64 exec, exec, s[0:1]
	v_mov_b32_e32 v1, s18
.LBB308_9:
	s_or_b64 exec, exec, s[30:31]
	s_lshl_b32 s0, s34, 7
	s_mov_b32 s1, 0
	s_lshl_b64 s[0:1], s[0:1], 1
	s_add_u32 s0, s16, s0
	s_addc_u32 s1, s17, s1
	s_lshl_b32 s10, s33, 7
	s_waitcnt lgkmcnt(0)
	v_lshlrev_b32_e32 v2, 7, v1
	v_mov_b32_e32 v3, 0
	s_add_i32 s11, s10, 0xffffff80
	v_lshlrev_b64 v[4:5], 1, v[2:3]
	s_cmp_lt_i32 s38, 1
	v_mov_b32_e32 v1, s1
	v_add_co_u32_e32 v2, vcc, s0, v4
	s_cselect_b32 s0, s11, 0
	v_addc_co_u32_e32 v1, vcc, v1, v5, vcc
	v_lshlrev_b32_e32 v116, 1, v0
	s_ashr_i32 s1, s0, 31
	v_add_co_u32_e32 v117, vcc, v2, v116
	s_lshl_b64 s[0:1], s[0:1], 1
	v_addc_co_u32_e32 v118, vcc, 0, v1, vcc
	s_cmpk_lt_i32 s38, 0x101
	v_add_co_u32_e32 v0, vcc, s0, v117
	s_cselect_b32 s0, s11, 0x80
	v_mov_b32_e32 v1, s1
	s_ashr_i32 s1, s0, 31
	s_lshl_b64 s[0:1], s[0:1], 1
	v_addc_co_u32_e32 v1, vcc, v118, v1, vcc
	s_cmpk_lt_i32 s38, 0x201
	v_add_co_u32_e32 v4, vcc, s0, v117
	s_cselect_b32 s0, s11, 0x100
	v_mov_b32_e32 v2, s1
	s_ashr_i32 s1, s0, 31
	;; [unrolled: 7-line block ×8, first 2 shown]
	s_lshl_b64 s[0:1], s[0:1], 1
	v_addc_co_u32_e32 v17, vcc, v118, v2, vcc
	s_cmpk_lt_i32 s38, 0x901
	global_load_ushort v40, v[0:1], off
	global_load_ushort v39, v[4:5], off
	global_load_ushort v38, v[6:7], off
	global_load_ushort v37, v[8:9], off
	global_load_ushort v35, v[10:11], off
	global_load_ushort v36, v[12:13], off
	global_load_ushort v2, v[14:15], off
	global_load_ushort v34, v[16:17], off
	v_add_co_u32_e32 v0, vcc, s0, v117
	s_cselect_b32 s0, s11, 0x480
	v_mov_b32_e32 v1, s1
	s_ashr_i32 s1, s0, 31
	s_lshl_b64 s[0:1], s[0:1], 1
	v_addc_co_u32_e32 v1, vcc, v118, v1, vcc
	s_cmpk_lt_i32 s38, 0xa01
	v_add_co_u32_e32 v4, vcc, s0, v117
	s_cselect_b32 s0, s11, 0x500
	v_mov_b32_e32 v5, s1
	s_ashr_i32 s1, s0, 31
	s_lshl_b64 s[0:1], s[0:1], 1
	v_addc_co_u32_e32 v5, vcc, v118, v5, vcc
	s_cmpk_lt_i32 s38, 0xb01
	;; [unrolled: 7-line block ×6, first 2 shown]
	v_add_co_u32_e32 v14, vcc, s0, v117
	s_cselect_b32 s0, s11, 0x780
	v_mov_b32_e32 v15, s1
	s_ashr_i32 s1, s0, 31
	v_addc_co_u32_e32 v15, vcc, v118, v15, vcc
	s_lshl_b64 s[0:1], s[0:1], 1
	v_mov_b32_e32 v17, s1
	v_add_co_u32_e32 v16, vcc, s0, v117
	v_addc_co_u32_e32 v17, vcc, v118, v17, vcc
	global_load_ushort v47, v[0:1], off
	global_load_ushort v48, v[4:5], off
	;; [unrolled: 1-line block ×8, first 2 shown]
	s_cmpk_gt_i32 s38, 0x1000
	s_cselect_b64 s[8:9], -1, 0
	s_cmpk_lt_i32 s38, 0x1001
	v_mov_b32_e32 v57, 0
	v_mov_b32_e32 v58, 0
	;; [unrolled: 1-line block ×48, first 2 shown]
	s_barrier
	s_cbranch_scc1 .LBB308_12
; %bb.10:
	s_cmpk_lt_u32 s38, 0x1101
	s_cselect_b32 s0, s11, 0x880
	s_ashr_i32 s1, s0, 31
	v_add_co_u32_e32 v0, vcc, 0x1000, v117
	s_lshl_b64 s[0:1], s[0:1], 1
	v_addc_co_u32_e32 v1, vcc, 0, v118, vcc
	s_cmpk_lt_u32 s38, 0x1201
	v_add_co_u32_e32 v4, vcc, s0, v117
	s_cselect_b32 s0, s11, 0x900
	v_mov_b32_e32 v5, s1
	s_ashr_i32 s1, s0, 31
	s_lshl_b64 s[0:1], s[0:1], 1
	v_addc_co_u32_e32 v5, vcc, v118, v5, vcc
	s_cmpk_lt_u32 s38, 0x1301
	v_add_co_u32_e32 v6, vcc, s0, v117
	s_cselect_b32 s0, s11, 0x980
	v_mov_b32_e32 v7, s1
	s_ashr_i32 s1, s0, 31
	;; [unrolled: 7-line block ×7, first 2 shown]
	s_lshl_b64 s[0:1], s[0:1], 1
	v_addc_co_u32_e32 v17, vcc, v118, v17, vcc
	s_cmpk_lt_u32 s38, 0x1901
	global_load_ushort v56, v[0:1], off
	global_load_ushort v55, v[4:5], off
	;; [unrolled: 1-line block ×8, first 2 shown]
	v_add_co_u32_e32 v0, vcc, s0, v117
	s_cselect_b32 s0, s11, 0xc80
	v_mov_b32_e32 v1, s1
	s_ashr_i32 s1, s0, 31
	s_lshl_b64 s[0:1], s[0:1], 1
	v_addc_co_u32_e32 v1, vcc, v118, v1, vcc
	s_cmpk_lt_u32 s38, 0x1a01
	v_add_co_u32_e32 v4, vcc, s0, v117
	s_cselect_b32 s0, s11, 0xd00
	v_mov_b32_e32 v5, s1
	s_ashr_i32 s1, s0, 31
	s_lshl_b64 s[0:1], s[0:1], 1
	v_addc_co_u32_e32 v5, vcc, v118, v5, vcc
	s_cmpk_lt_u32 s38, 0x1b01
	;; [unrolled: 7-line block ×6, first 2 shown]
	v_add_co_u32_e32 v14, vcc, s0, v117
	s_cselect_b32 s0, s11, 0xf80
	v_mov_b32_e32 v15, s1
	s_ashr_i32 s1, s0, 31
	v_addc_co_u32_e32 v15, vcc, v118, v15, vcc
	s_lshl_b64 s[0:1], s[0:1], 1
	v_mov_b32_e32 v17, s1
	v_add_co_u32_e32 v16, vcc, s0, v117
	v_addc_co_u32_e32 v17, vcc, v118, v17, vcc
	global_load_ushort v64, v[0:1], off
	global_load_ushort v63, v[4:5], off
	;; [unrolled: 1-line block ×8, first 2 shown]
	s_cmpk_lt_u32 s38, 0x2001
	v_mov_b32_e32 v33, 0
	v_mov_b32_e32 v31, 0
	;; [unrolled: 1-line block ×32, first 2 shown]
	s_cbranch_scc1 .LBB308_12
; %bb.11:
	s_cmpk_lt_u32 s38, 0x2101
	s_cselect_b32 s0, s11, 0x1080
	s_ashr_i32 s1, s0, 31
	s_lshl_b64 s[0:1], s[0:1], 1
	s_cmpk_lt_u32 s38, 0x2201
	v_add_co_u32_e32 v0, vcc, s0, v117
	s_cselect_b32 s0, s11, 0x1100
	v_mov_b32_e32 v1, s1
	s_ashr_i32 s1, s0, 31
	s_lshl_b64 s[0:1], s[0:1], 1
	v_addc_co_u32_e32 v1, vcc, v118, v1, vcc
	s_cmpk_lt_u32 s38, 0x2301
	v_add_co_u32_e32 v4, vcc, s0, v117
	s_cselect_b32 s0, s11, 0x1180
	v_mov_b32_e32 v5, s1
	s_ashr_i32 s1, s0, 31
	s_lshl_b64 s[0:1], s[0:1], 1
	v_addc_co_u32_e32 v5, vcc, v118, v5, vcc
	;; [unrolled: 7-line block ×30, first 2 shown]
	v_mov_b32_e32 v65, s1
	s_movk_i32 s1, 0x2000
	v_add_co_u32_e32 v94, vcc, s1, v117
	v_addc_co_u32_e32 v95, vcc, 0, v118, vcc
	global_load_ushort v96, v[94:95], off
	global_load_ushort v97, v[0:1], off
	;; [unrolled: 1-line block ×15, first 2 shown]
                                        ; kill: killed $vgpr30 killed $vgpr31
                                        ; kill: killed $vgpr8 killed $vgpr9
                                        ; kill: killed $vgpr14 killed $vgpr15
                                        ; kill: killed $vgpr20 killed $vgpr21
                                        ; kill: killed $vgpr4 killed $vgpr5
                                        ; kill: killed $vgpr32 killed $vgpr33
                                        ; kill: killed $vgpr94 killed $vgpr95
                                        ; kill: killed $vgpr10 killed $vgpr11
                                        ; kill: killed $vgpr16 killed $vgpr17
                                        ; kill: killed $vgpr24 killed $vgpr25
                                        ; kill: killed $vgpr6 killed $vgpr7
                                        ; kill: killed $vgpr66 killed $vgpr67
                                        ; kill: killed $vgpr12 killed $vgpr13
                                        ; kill: killed $vgpr18 killed $vgpr19
                                        ; kill: killed $vgpr0 killed $vgpr1
	global_load_ushort v4, v[22:23], off
	global_load_ushort v5, v[26:27], off
	;; [unrolled: 1-line block ×15, first 2 shown]
                                        ; kill: killed $vgpr88 killed $vgpr89
                                        ; kill: killed $vgpr72 killed $vgpr73
                                        ; kill: killed $vgpr78 killed $vgpr79
                                        ; kill: killed $vgpr22 killed $vgpr23
                                        ; kill: killed $vgpr68 killed $vgpr69
                                        ; kill: killed $vgpr90 killed $vgpr91
                                        ; kill: killed $vgpr74 killed $vgpr75
                                        ; kill: killed $vgpr80 killed $vgpr81
                                        ; kill: killed $vgpr26 killed $vgpr27
                                        ; kill: killed $vgpr86 killed $vgpr87
                                        ; kill: killed $vgpr70 killed $vgpr71
                                        ; kill: killed $vgpr92 killed $vgpr93
                                        ; kill: killed $vgpr76 killed $vgpr77
                                        ; kill: killed $vgpr82 killed $vgpr83
                                        ; kill: killed $vgpr28 killed $vgpr29
	global_load_ushort v68, v[84:85], off
	v_add_co_u32_e32 v0, vcc, s0, v117
	v_addc_co_u32_e32 v1, vcc, v118, v65, vcc
	global_load_ushort v1, v[0:1], off
	s_waitcnt vmcnt(31)
	v_lshlrev_b32_e32 v33, 16, v96
	s_waitcnt vmcnt(30)
	v_lshlrev_b32_e32 v31, 16, v97
	;; [unrolled: 2-line block ×32, first 2 shown]
.LBB308_12:
	s_load_dwordx2 s[0:1], s[4:5], 0x0
	s_load_dwordx2 s[2:3], s[4:5], 0x38
	ds_read_b128 v[66:69], v3
	s_waitcnt vmcnt(15)
	v_lshlrev_b32_e32 v40, 16, v40
	s_waitcnt vmcnt(14)
	v_lshlrev_b32_e32 v39, 16, v39
	ds_read_b128 v[70:73], v3 offset:16
	ds_read_b128 v[74:77], v3 offset:32
	;; [unrolled: 1-line block ×3, first 2 shown]
	s_waitcnt vmcnt(13)
	v_lshlrev_b32_e32 v38, 16, v38
	s_waitcnt lgkmcnt(0)
	v_fma_f32 v40, v66, v40, 0
	v_fmac_f32_e32 v40, v67, v39
	v_fmac_f32_e32 v40, v68, v38
	s_waitcnt vmcnt(12)
	v_lshlrev_b32_e32 v37, 16, v37
	v_fmac_f32_e32 v40, v69, v37
	s_waitcnt vmcnt(10)
	v_lshlrev_b32_e32 v37, 16, v36
	v_lshlrev_b32_e32 v36, 16, v35
	v_pk_mul_f32 v[36:37], v[70:71], v[36:37]
	v_add_f32_e32 v35, v40, v36
	v_add_f32_e32 v36, v35, v37
	s_waitcnt vmcnt(8)
	v_lshlrev_b32_e32 v35, 16, v34
	v_lshlrev_b32_e32 v34, 16, v2
	v_pk_mul_f32 v[34:35], v[72:73], v[34:35]
	v_add_f32_e32 v2, v36, v34
	v_add_f32_e32 v2, v2, v35
	;; [unrolled: 6-line block ×6, first 2 shown]
	s_and_b64 vcc, exec, s[8:9]
	s_cbranch_vccz .LBB308_15
; %bb.13:
	ds_read_b128 v[34:37], v3 offset:64
	v_lshlrev_b32_e32 v2, 16, v56
	ds_read_b128 v[38:41], v3 offset:80
	ds_read_b128 v[42:45], v3 offset:96
	;; [unrolled: 1-line block ×3, first 2 shown]
	s_cmpk_lt_u32 s38, 0x2001
	s_waitcnt lgkmcnt(3)
	v_fmac_f32_e32 v119, v34, v2
	v_lshlrev_b32_e32 v2, 16, v55
	v_fmac_f32_e32 v119, v35, v2
	v_lshlrev_b32_e32 v2, 16, v54
	v_fmac_f32_e32 v119, v36, v2
	v_lshlrev_b32_e32 v2, 16, v53
	v_fmac_f32_e32 v119, v37, v2
	v_lshlrev_b32_e32 v2, 16, v52
	s_waitcnt lgkmcnt(2)
	v_fmac_f32_e32 v119, v38, v2
	v_lshlrev_b32_e32 v2, 16, v51
	v_fmac_f32_e32 v119, v39, v2
	v_lshlrev_b32_e32 v2, 16, v50
	v_fmac_f32_e32 v119, v40, v2
	v_lshlrev_b32_e32 v2, 16, v49
	v_fmac_f32_e32 v119, v41, v2
	v_lshlrev_b32_e32 v2, 16, v64
	;; [unrolled: 9-line block ×3, first 2 shown]
	s_waitcnt lgkmcnt(0)
	v_fmac_f32_e32 v119, v66, v2
	v_lshlrev_b32_e32 v2, 16, v59
	v_fmac_f32_e32 v119, v67, v2
	v_lshlrev_b32_e32 v2, 16, v58
	;; [unrolled: 2-line block ×3, first 2 shown]
	v_fmac_f32_e32 v119, v69, v2
	s_cbranch_scc1 .LBB308_15
; %bb.14:
	v_mov_b32_e32 v50, 0
	ds_read_b128 v[34:37], v50 offset:128
	ds_read_b128 v[38:41], v50 offset:144
	ds_read_b128 v[42:45], v50 offset:160
	ds_read_b128 v[46:49], v50 offset:176
	s_waitcnt lgkmcnt(3)
	v_fmac_f32_e32 v119, v34, v33
	v_fmac_f32_e32 v119, v35, v31
	v_fmac_f32_e32 v119, v36, v32
	v_fmac_f32_e32 v119, v37, v29
	s_waitcnt lgkmcnt(2)
	v_fmac_f32_e32 v119, v38, v30
	v_fmac_f32_e32 v119, v39, v27
	v_fmac_f32_e32 v119, v40, v28
	v_fmac_f32_e32 v119, v41, v25
	;; [unrolled: 5-line block ×3, first 2 shown]
	s_waitcnt lgkmcnt(0)
	v_fmac_f32_e32 v119, v46, v22
	ds_read_b128 v[22:25], v50 offset:192
	v_fmac_f32_e32 v119, v47, v19
	v_fmac_f32_e32 v119, v48, v20
	v_fmac_f32_e32 v119, v49, v18
	ds_read_b128 v[18:21], v50 offset:208
	s_waitcnt lgkmcnt(1)
	v_fmac_f32_e32 v119, v22, v17
	v_fmac_f32_e32 v119, v23, v15
	;; [unrolled: 1-line block ×4, first 2 shown]
	s_waitcnt lgkmcnt(0)
	v_pk_mul_f32 v[2:3], v[18:19], v[12:13]
	ds_read_b128 v[12:15], v50 offset:224
	v_add_f32_e32 v2, v119, v2
	v_add_f32_e32 v16, v2, v3
	v_pk_mul_f32 v[2:3], v[20:21], v[10:11]
	v_add_f32_e32 v2, v16, v2
	ds_read_b128 v[16:19], v50 offset:240
	v_add_f32_e32 v10, v2, v3
	s_waitcnt lgkmcnt(1)
	v_pk_mul_f32 v[2:3], v[12:13], v[8:9]
	v_add_f32_e32 v2, v10, v2
	v_add_f32_e32 v8, v2, v3
	v_pk_mul_f32 v[2:3], v[14:15], v[6:7]
	v_add_f32_e32 v2, v8, v2
	v_add_f32_e32 v6, v2, v3
	s_waitcnt lgkmcnt(0)
	v_pk_mul_f32 v[2:3], v[16:17], v[4:5]
	v_add_f32_e32 v2, v6, v2
	v_add_f32_e32 v2, v2, v3
	v_pk_mul_f32 v[0:1], v[18:19], v[0:1]
	v_add_f32_e32 v0, v2, v0
	v_add_f32_e32 v119, v0, v1
.LBB308_15:
	s_movk_i32 s4, 0x3f80
	s_movk_i32 s5, 0x100
	s_mov_b32 s8, 64
	s_branch .LBB308_17
.LBB308_16:                             ;   in Loop: Header=BB308_17 Depth=1
	s_addk_i32 s4, 0x2000
	s_addk_i32 s5, 0x100
	s_add_i32 s8, s8, 64
	s_cmpk_eq_u32 s4, 0xbf80
	s_cbranch_scc1 .LBB308_19
.LBB308_17:                             ; =>This Inner Loop Header: Depth=1
	s_cmp_le_i32 s33, s8
	s_cbranch_scc1 .LBB308_16
; %bb.18:                               ;   in Loop: Header=BB308_17 Depth=1
	s_add_i32 s9, s4, 0xffffe080
	s_cmp_lt_i32 s9, s10
	s_cselect_b32 s12, s9, s11
	s_ashr_i32 s13, s12, 31
	s_lshl_b64 s[12:13], s[12:13], 1
	s_add_i32 s9, s4, 0xffffe100
	s_cmp_lt_i32 s9, s10
	v_add_co_u32_e32 v2, vcc, s12, v117
	s_cselect_b32 s12, s9, s11
	v_mov_b32_e32 v0, s13
	s_ashr_i32 s13, s12, 31
	s_lshl_b64 s[12:13], s[12:13], 1
	s_add_i32 s9, s4, 0xffffe180
	v_addc_co_u32_e32 v3, vcc, v118, v0, vcc
	s_cmp_lt_i32 s9, s10
	v_add_co_u32_e32 v0, vcc, s12, v117
	s_cselect_b32 s12, s9, s11
	v_mov_b32_e32 v1, s13
	s_ashr_i32 s13, s12, 31
	s_lshl_b64 s[12:13], s[12:13], 1
	s_add_i32 s9, s4, 0xffffe200
	v_addc_co_u32_e32 v1, vcc, v118, v1, vcc
	;; [unrolled: 8-line block ×21, first 2 shown]
	s_cmp_lt_i32 s9, s10
	global_load_ushort v120, v[2:3], off
	global_load_ushort v122, v[4:5], off
	;; [unrolled: 1-line block ×4, first 2 shown]
	v_add_co_u32_e32 v42, vcc, s12, v117
	s_cselect_b32 s12, s9, s11
	v_mov_b32_e32 v43, s13
	s_ashr_i32 s13, s12, 31
	s_lshl_b64 s[12:13], s[12:13], 1
	s_add_i32 s9, s4, 0xffffec00
	v_addc_co_u32_e32 v43, vcc, v118, v43, vcc
	s_cmp_lt_i32 s9, s10
	v_add_co_u32_e32 v44, vcc, s12, v117
	s_cselect_b32 s12, s9, s11
	v_mov_b32_e32 v45, s13
	s_ashr_i32 s13, s12, 31
	s_lshl_b64 s[12:13], s[12:13], 1
	s_add_i32 s9, s4, 0xffffec80
	v_addc_co_u32_e32 v45, vcc, v118, v45, vcc
	s_cmp_lt_i32 s9, s10
	;; [unrolled: 8-line block ×8, first 2 shown]
	global_load_ushort v121, v[0:1], off
	v_add_co_u32_e32 v58, vcc, s12, v117
	s_cselect_b32 s12, s9, s11
	v_mov_b32_e32 v59, s13
	s_ashr_i32 s13, s12, 31
	s_lshl_b64 s[12:13], s[12:13], 1
	s_add_i32 s9, s4, 0xfffff000
	v_addc_co_u32_e32 v59, vcc, v118, v59, vcc
	s_cmp_lt_i32 s9, s10
	v_add_co_u32_e32 v60, vcc, s12, v117
	s_cselect_b32 s12, s9, s11
	global_load_ushort v125, v[10:11], off
	global_load_ushort v126, v[12:13], off
	v_mov_b32_e32 v61, s13
	s_ashr_i32 s13, s12, 31
	global_load_ushort v127, v[14:15], off
	global_load_ushort v128, v[16:17], off
	;; [unrolled: 1-line block ×3, first 2 shown]
	s_lshl_b64 s[12:13], s[12:13], 1
	s_add_i32 s9, s4, 0xfffff080
	v_addc_co_u32_e32 v61, vcc, v118, v61, vcc
	s_cmp_lt_i32 s9, s10
	v_add_co_u32_e32 v62, vcc, s12, v117
	s_cselect_b32 s12, s9, s11
	v_mov_b32_e32 v63, s13
	s_ashr_i32 s13, s12, 31
	s_lshl_b64 s[12:13], s[12:13], 1
	s_add_i32 s9, s4, 0xfffff100
	v_addc_co_u32_e32 v63, vcc, v118, v63, vcc
	s_cmp_lt_i32 s9, s10
	v_add_co_u32_e32 v64, vcc, s12, v117
	s_cselect_b32 s12, s9, s11
	v_mov_b32_e32 v65, s13
	s_ashr_i32 s13, s12, 31
	global_load_ushort v130, v[20:21], off
	global_load_ushort v131, v[22:23], off
	s_lshl_b64 s[12:13], s[12:13], 1
	s_add_i32 s9, s4, 0xfffff180
	v_addc_co_u32_e32 v65, vcc, v118, v65, vcc
	s_cmp_lt_i32 s9, s10
	global_load_ushort v132, v[24:25], off
	global_load_ushort v133, v[26:27], off
	v_add_co_u32_e32 v66, vcc, s12, v117
	s_cselect_b32 s12, s9, s11
	v_mov_b32_e32 v67, s13
	s_ashr_i32 s13, s12, 31
	s_lshl_b64 s[12:13], s[12:13], 1
	s_add_i32 s9, s4, 0xfffff200
	v_addc_co_u32_e32 v67, vcc, v118, v67, vcc
	s_cmp_lt_i32 s9, s10
	v_add_co_u32_e32 v68, vcc, s12, v117
	s_cselect_b32 s12, s9, s11
	v_mov_b32_e32 v69, s13
	s_ashr_i32 s13, s12, 31
	global_load_ushort v134, v[28:29], off
	global_load_ushort v135, v[30:31], off
	s_lshl_b64 s[12:13], s[12:13], 1
	s_add_i32 s9, s4, 0xfffff280
	v_addc_co_u32_e32 v69, vcc, v118, v69, vcc
	s_cmp_lt_i32 s9, s10
	v_add_co_u32_e32 v70, vcc, s12, v117
	s_cselect_b32 s12, s9, s11
	v_mov_b32_e32 v71, s13
	s_ashr_i32 s13, s12, 31
	s_lshl_b64 s[12:13], s[12:13], 1
	s_add_i32 s9, s4, 0xfffff300
	global_load_ushort v28, v[32:33], off
	global_load_ushort v29, v[34:35], off
	;; [unrolled: 1-line block ×4, first 2 shown]
	v_addc_co_u32_e32 v71, vcc, v118, v71, vcc
	s_cmp_lt_i32 s9, s10
	v_add_co_u32_e32 v72, vcc, s12, v117
	s_cselect_b32 s12, s9, s11
	v_mov_b32_e32 v73, s13
	s_ashr_i32 s13, s12, 31
	s_lshl_b64 s[12:13], s[12:13], 1
	s_add_i32 s9, s4, 0xfffff380
	v_addc_co_u32_e32 v73, vcc, v118, v73, vcc
	s_cmp_lt_i32 s9, s10
	v_add_co_u32_e32 v74, vcc, s12, v117
	s_cselect_b32 s12, s9, s11
	v_mov_b32_e32 v75, s13
	s_ashr_i32 s13, s12, 31
	s_lshl_b64 s[12:13], s[12:13], 1
	s_add_i32 s9, s4, 0xfffff400
	v_addc_co_u32_e32 v75, vcc, v118, v75, vcc
	s_cmp_lt_i32 s9, s10
	v_add_co_u32_e32 v76, vcc, s12, v117
	s_cselect_b32 s12, s9, s11
	global_load_ushort v32, v[40:41], off
	global_load_ushort v33, v[42:43], off
	v_mov_b32_e32 v77, s13
	s_ashr_i32 s13, s12, 31
	s_lshl_b64 s[12:13], s[12:13], 1
	s_add_i32 s9, s4, 0xfffff480
	v_addc_co_u32_e32 v77, vcc, v118, v77, vcc
	s_cmp_lt_i32 s9, s10
	v_add_co_u32_e32 v78, vcc, s12, v117
	s_cselect_b32 s12, s9, s11
	v_mov_b32_e32 v79, s13
	s_ashr_i32 s13, s12, 31
	global_load_ushort v36, v[44:45], off
	s_lshl_b64 s[12:13], s[12:13], 1
	s_add_i32 s9, s4, 0xfffff500
	v_mov_b32_e32 v35, s5
	v_addc_co_u32_e32 v79, vcc, v118, v79, vcc
	s_cmp_lt_i32 s9, s10
	ds_read_b128 v[12:15], v35
	ds_read_b128 v[16:19], v35 offset:16
	global_load_ushort v37, v[46:47], off
	v_add_co_u32_e32 v80, vcc, s12, v117
	s_cselect_b32 s12, s9, s11
	v_mov_b32_e32 v81, s13
	s_ashr_i32 s13, s12, 31
	s_lshl_b64 s[12:13], s[12:13], 1
	s_add_i32 s9, s4, 0xfffff580
	v_addc_co_u32_e32 v81, vcc, v118, v81, vcc
	s_cmp_lt_i32 s9, s10
	s_waitcnt vmcnt(23)
	v_lshlrev_b32_e32 v34, 16, v120
	v_add_co_u32_e32 v82, vcc, s12, v117
	s_cselect_b32 s12, s9, s11
	ds_read_b128 v[20:23], v35 offset:32
	ds_read_b128 v[24:27], v35 offset:48
	s_waitcnt lgkmcnt(3)
	v_fmac_f32_e32 v119, v12, v34
	global_load_ushort v34, v[48:49], off
	global_load_ushort v38, v[50:51], off
	;; [unrolled: 1-line block ×6, first 2 shown]
	v_mov_b32_e32 v83, s13
	s_ashr_i32 s13, s12, 31
	s_lshl_b64 s[12:13], s[12:13], 1
	s_add_i32 s9, s4, 0xfffff600
	v_addc_co_u32_e32 v83, vcc, v118, v83, vcc
	s_cmp_lt_i32 s9, s10
	v_add_co_u32_e32 v84, vcc, s12, v117
	s_cselect_b32 s12, s9, s11
	v_mov_b32_e32 v85, s13
	s_ashr_i32 s13, s12, 31
	s_lshl_b64 s[12:13], s[12:13], 1
	s_add_i32 s9, s4, 0xfffff680
	v_addc_co_u32_e32 v85, vcc, v118, v85, vcc
	s_cmp_lt_i32 s9, s10
	v_add_co_u32_e32 v86, vcc, s12, v117
	s_cselect_b32 s12, s9, s11
	;; [unrolled: 8-line block ×7, first 2 shown]
	v_mov_b32_e32 v97, s13
	s_ashr_i32 s13, s12, 31
	s_lshl_b64 s[12:13], s[12:13], 1
	s_add_i32 s9, s4, 0xfffff980
	v_addc_co_u32_e32 v97, vcc, v118, v97, vcc
	s_cmp_lt_i32 s9, s10
	s_waitcnt vmcnt(25)
	v_lshlrev_b32_e32 v12, 16, v121
	v_add_co_u32_e32 v98, vcc, s12, v117
	s_cselect_b32 s12, s9, s11
	v_fmac_f32_e32 v119, v13, v12
	v_lshlrev_b32_e32 v12, 16, v122
	v_mov_b32_e32 v99, s13
	s_ashr_i32 s13, s12, 31
	v_fmac_f32_e32 v119, v14, v12
	v_lshlrev_b32_e32 v12, 16, v123
	s_lshl_b64 s[12:13], s[12:13], 1
	s_add_i32 s9, s4, 0xfffffa00
	v_fmac_f32_e32 v119, v15, v12
	v_lshlrev_b32_e32 v12, 16, v124
	v_addc_co_u32_e32 v99, vcc, v118, v99, vcc
	s_cmp_lt_i32 s9, s10
	s_waitcnt lgkmcnt(2)
	v_fmac_f32_e32 v119, v16, v12
	s_waitcnt vmcnt(24)
	v_lshlrev_b32_e32 v12, 16, v125
	v_add_co_u32_e32 v100, vcc, s12, v117
	s_cselect_b32 s12, s9, s11
	v_fmac_f32_e32 v119, v17, v12
	s_waitcnt vmcnt(23)
	v_lshlrev_b32_e32 v12, 16, v126
	v_mov_b32_e32 v101, s13
	s_ashr_i32 s13, s12, 31
	v_fmac_f32_e32 v119, v18, v12
	s_waitcnt vmcnt(22)
	v_lshlrev_b32_e32 v12, 16, v127
	s_lshl_b64 s[12:13], s[12:13], 1
	s_add_i32 s9, s4, 0xfffffa80
	v_fmac_f32_e32 v119, v19, v12
	s_waitcnt vmcnt(21)
	v_lshlrev_b32_e32 v12, 16, v128
	v_addc_co_u32_e32 v101, vcc, v118, v101, vcc
	s_cmp_lt_i32 s9, s10
	s_waitcnt lgkmcnt(1)
	v_fmac_f32_e32 v119, v20, v12
	global_load_ushort v20, v[60:61], off
	v_add_co_u32_e32 v102, vcc, s12, v117
	s_cselect_b32 s12, s9, s11
	v_mov_b32_e32 v103, s13
	s_ashr_i32 s13, s12, 31
	s_lshl_b64 s[12:13], s[12:13], 1
	s_add_i32 s9, s4, 0xfffffb00
	s_waitcnt vmcnt(21)
	v_lshlrev_b32_e32 v12, 16, v129
	v_addc_co_u32_e32 v103, vcc, v118, v103, vcc
	s_cmp_lt_i32 s9, s10
	v_fmac_f32_e32 v119, v21, v12
	global_load_ushort v21, v[62:63], off
	v_add_co_u32_e32 v104, vcc, s12, v117
	s_cselect_b32 s12, s9, s11
	s_waitcnt vmcnt(21)
	v_lshlrev_b32_e32 v12, 16, v130
	global_load_ushort v43, v[64:65], off
	v_mov_b32_e32 v105, s13
	s_ashr_i32 s13, s12, 31
	v_fmac_f32_e32 v119, v22, v12
	global_load_ushort v22, v[66:67], off
	s_waitcnt vmcnt(22)
	v_lshlrev_b32_e32 v12, 16, v131
	s_lshl_b64 s[12:13], s[12:13], 1
	s_add_i32 s9, s4, 0xfffffb80
	v_fmac_f32_e32 v119, v23, v12
	global_load_ushort v23, v[68:69], off
	global_load_ushort v44, v[70:71], off
	v_addc_co_u32_e32 v105, vcc, v118, v105, vcc
	s_cmp_lt_i32 s9, s10
	s_waitcnt vmcnt(23)
	v_lshlrev_b32_e32 v12, 16, v132
	v_add_co_u32_e32 v108, vcc, s12, v117
	s_cselect_b32 s12, s9, s11
	s_waitcnt lgkmcnt(0)
	v_fmac_f32_e32 v119, v24, v12
	global_load_ushort v24, v[72:73], off
	global_load_ushort v45, v[74:75], off
	v_mov_b32_e32 v106, s13
	s_ashr_i32 s13, s12, 31
	s_waitcnt vmcnt(24)
	v_lshlrev_b32_e32 v12, 16, v133
	s_lshl_b64 s[12:13], s[12:13], 1
	s_add_i32 s9, s4, 0xfffffc00
	v_fmac_f32_e32 v119, v25, v12
	global_load_ushort v25, v[76:77], off
	v_addc_co_u32_e32 v109, vcc, v118, v106, vcc
	s_cmp_lt_i32 s9, s10
	v_add_co_u32_e32 v106, vcc, s12, v117
	s_cselect_b32 s12, s9, s11
	s_waitcnt vmcnt(24)
	v_lshlrev_b32_e32 v12, 16, v134
	v_mov_b32_e32 v107, s13
	s_ashr_i32 s13, s12, 31
	v_fmac_f32_e32 v119, v26, v12
	global_load_ushort v26, v[78:79], off
	s_waitcnt vmcnt(24)
	v_lshlrev_b32_e32 v12, 16, v135
	s_lshl_b64 s[12:13], s[12:13], 1
	s_add_i32 s9, s4, 0xfffffc80
	v_fmac_f32_e32 v119, v27, v12
	ds_read_b128 v[12:15], v35 offset:64
	ds_read_b128 v[16:19], v35 offset:80
	v_addc_co_u32_e32 v107, vcc, v118, v107, vcc
	s_cmp_lt_i32 s9, s10
	global_load_ushort v46, v[80:81], off
	global_load_ushort v27, v[82:83], off
	;; [unrolled: 1-line block ×4, first 2 shown]
	v_add_co_u32_e32 v112, vcc, s12, v117
	s_cselect_b32 s12, s9, s11
	v_mov_b32_e32 v110, s13
	s_ashr_i32 s13, s12, 31
	s_lshl_b64 s[12:13], s[12:13], 1
	s_add_i32 s9, s4, 0xfffffd00
	s_waitcnt vmcnt(27)
	v_lshlrev_b32_e32 v28, 16, v28
	v_addc_co_u32_e32 v113, vcc, v118, v110, vcc
	s_cmp_lt_i32 s9, s10
	s_waitcnt lgkmcnt(1)
	v_fmac_f32_e32 v119, v12, v28
	global_load_ushort v28, v[88:89], off
	v_add_co_u32_e32 v110, vcc, s12, v117
	s_cselect_b32 s12, s9, s11
	s_waitcnt vmcnt(27)
	v_lshlrev_b32_e32 v12, 16, v29
	global_load_ushort v29, v[90:91], off
	global_load_ushort v49, v[92:93], off
	v_mov_b32_e32 v111, s13
	s_ashr_i32 s13, s12, 31
	s_lshl_b64 s[12:13], s[12:13], 1
	s_add_i32 s9, s4, 0xfffffd80
	v_addc_co_u32_e32 v111, vcc, v118, v111, vcc
	s_cmp_lt_i32 s9, s10
	v_add_co_u32_e32 v114, vcc, s12, v117
	s_cselect_b32 s12, s9, s11
	v_mov_b32_e32 v115, s13
	s_ashr_i32 s13, s12, 31
	v_fmac_f32_e32 v119, v13, v12
	s_waitcnt vmcnt(28)
	v_lshlrev_b32_e32 v12, 16, v30
	global_load_ushort v30, v[94:95], off
	s_lshl_b64 s[12:13], s[12:13], 1
	s_add_i32 s9, s4, 0xfffffe00
	v_fmac_f32_e32 v119, v14, v12
	s_waitcnt vmcnt(28)
	v_lshlrev_b32_e32 v12, 16, v31
	global_load_ushort v31, v[96:97], off
	v_addc_co_u32_e32 v115, vcc, v118, v115, vcc
	s_cmp_lt_i32 s9, s10
	v_fmac_f32_e32 v119, v15, v12
	s_waitcnt vmcnt(28)
	v_lshlrev_b32_e32 v12, 16, v32
	global_load_ushort v32, v[98:99], off
	global_load_ushort v50, v[100:101], off
	v_add_co_u32_e32 v0, vcc, s12, v117
	s_cselect_b32 s12, s9, s11
	v_mov_b32_e32 v2, s13
	s_ashr_i32 s13, s12, 31
	s_lshl_b64 s[12:13], s[12:13], 1
	s_add_i32 s9, s4, 0xfffffe80
	s_waitcnt lgkmcnt(0)
	v_fmac_f32_e32 v119, v16, v12
	s_waitcnt vmcnt(29)
	v_lshlrev_b32_e32 v12, 16, v33
	global_load_ushort v33, v[102:103], off
	global_load_ushort v51, v[104:105], off
	;; [unrolled: 1-line block ×3, first 2 shown]
	v_addc_co_u32_e32 v1, vcc, v118, v2, vcc
	s_cmp_lt_i32 s9, s10
	v_add_co_u32_e32 v2, vcc, s12, v117
	s_cselect_b32 s12, s9, s11
	v_mov_b32_e32 v3, s13
	s_ashr_i32 s13, s12, 31
	v_fmac_f32_e32 v119, v17, v12
	s_waitcnt vmcnt(31)
	v_lshlrev_b32_e32 v12, 16, v36
	global_load_ushort v36, v[106:107], off
	global_load_ushort v53, v[112:113], off
	s_lshl_b64 s[12:13], s[12:13], 1
	s_add_i32 s9, s4, 0xffffff00
	v_addc_co_u32_e32 v3, vcc, v118, v3, vcc
	s_cmp_lt_i32 s9, s10
	v_fmac_f32_e32 v119, v18, v12
	s_waitcnt vmcnt(32)
	v_lshlrev_b32_e32 v12, 16, v37
	v_add_co_u32_e32 v4, vcc, s12, v117
	s_cselect_b32 s12, s9, s11
	v_fmac_f32_e32 v119, v19, v12
	ds_read_b128 v[12:15], v35 offset:96
	v_mov_b32_e32 v5, s13
	s_ashr_i32 s13, s12, 31
	s_lshl_b64 s[12:13], s[12:13], 1
	s_add_i32 s9, s4, 0xffffff80
	v_addc_co_u32_e32 v5, vcc, v118, v5, vcc
	s_cmp_lt_i32 s9, s10
	global_load_ushort v37, v[110:111], off
	global_load_ushort v54, v[114:115], off
	v_add_co_u32_e32 v8, vcc, s12, v117
	s_cselect_b32 s12, s9, s11
	s_waitcnt vmcnt(33)
	v_lshlrev_b32_e32 v34, 16, v34
	v_mov_b32_e32 v6, s13
	s_ashr_i32 s13, s12, 31
	s_waitcnt lgkmcnt(0)
	v_fmac_f32_e32 v119, v12, v34
	s_waitcnt vmcnt(32)
	v_lshlrev_b32_e32 v12, 16, v38
	s_lshl_b64 s[12:13], s[12:13], 1
	ds_read_b128 v[16:19], v35 offset:112
	v_fmac_f32_e32 v119, v13, v12
	global_load_ushort v12, v[0:1], off
	global_load_ushort v13, v[2:3], off
	v_addc_co_u32_e32 v9, vcc, v118, v6, vcc
	s_cmp_lt_i32 s4, s10
	v_add_co_u32_e32 v6, vcc, s12, v117
	s_cselect_b32 s12, s4, s11
	s_waitcnt vmcnt(33)
	v_lshlrev_b32_e32 v0, 16, v39
	v_mov_b32_e32 v7, s13
	s_ashr_i32 s13, s12, 31
	v_fmac_f32_e32 v119, v14, v0
	global_load_ushort v14, v[4:5], off
	global_load_ushort v34, v[8:9], off
	v_addc_co_u32_e32 v7, vcc, v118, v7, vcc
	s_lshl_b64 s[12:13], s[12:13], 1
	s_waitcnt vmcnt(34)
	v_lshlrev_b32_e32 v0, 16, v40
	v_mov_b32_e32 v11, s13
	v_add_co_u32_e32 v10, vcc, s12, v117
	v_fmac_f32_e32 v119, v15, v0
	s_waitcnt vmcnt(33)
	v_lshlrev_b32_e32 v0, 16, v41
	v_addc_co_u32_e32 v11, vcc, v118, v11, vcc
	s_waitcnt lgkmcnt(0)
	v_fmac_f32_e32 v119, v16, v0
	global_load_ushort v15, v[6:7], off
	global_load_ushort v16, v[10:11], off
	s_waitcnt vmcnt(34)
	v_lshlrev_b32_e32 v0, 16, v42
	v_fmac_f32_e32 v119, v17, v0
	s_waitcnt vmcnt(33)
	v_lshlrev_b32_e32 v0, 16, v20
	v_fmac_f32_e32 v119, v18, v0
	ds_read_b128 v[0:3], v35 offset:128
	s_waitcnt vmcnt(32)
	v_lshlrev_b32_e32 v4, 16, v21
	v_fmac_f32_e32 v119, v19, v4
	ds_read_b128 v[4:7], v35 offset:144
	s_waitcnt vmcnt(31)
	v_lshlrev_b32_e32 v8, 16, v43
	s_waitcnt lgkmcnt(1)
	v_fmac_f32_e32 v119, v0, v8
	s_waitcnt vmcnt(30)
	v_lshlrev_b32_e32 v0, 16, v22
	v_fmac_f32_e32 v119, v1, v0
	s_waitcnt vmcnt(29)
	v_lshlrev_b32_e32 v0, 16, v23
	v_fmac_f32_e32 v119, v2, v0
	s_waitcnt vmcnt(28)
	v_lshlrev_b32_e32 v0, 16, v44
	v_fmac_f32_e32 v119, v3, v0
	s_waitcnt vmcnt(27)
	v_lshlrev_b32_e32 v0, 16, v24
	s_waitcnt lgkmcnt(0)
	v_fmac_f32_e32 v119, v4, v0
	s_waitcnt vmcnt(26)
	v_lshlrev_b32_e32 v0, 16, v45
	v_fmac_f32_e32 v119, v5, v0
	s_waitcnt vmcnt(25)
	v_lshlrev_b32_e32 v0, 16, v25
	v_fmac_f32_e32 v119, v6, v0
	ds_read_b128 v[0:3], v35 offset:160
	s_waitcnt vmcnt(24)
	v_lshlrev_b32_e32 v4, 16, v26
	v_fmac_f32_e32 v119, v7, v4
	ds_read_b128 v[4:7], v35 offset:176
	s_waitcnt vmcnt(23)
	v_lshlrev_b32_e32 v8, 16, v46
	s_waitcnt lgkmcnt(1)
	v_fmac_f32_e32 v119, v0, v8
	s_waitcnt vmcnt(22)
	v_lshlrev_b32_e32 v0, 16, v27
	v_fmac_f32_e32 v119, v1, v0
	s_waitcnt vmcnt(21)
	v_lshlrev_b32_e32 v0, 16, v47
	;; [unrolled: 3-line block ×4, first 2 shown]
	s_waitcnt lgkmcnt(0)
	v_fmac_f32_e32 v119, v4, v0
	s_waitcnt vmcnt(18)
	v_lshlrev_b32_e32 v0, 16, v29
	v_fmac_f32_e32 v119, v5, v0
	s_waitcnt vmcnt(17)
	v_lshlrev_b32_e32 v0, 16, v49
	v_fmac_f32_e32 v119, v6, v0
	ds_read_b128 v[0:3], v35 offset:192
	s_waitcnt vmcnt(16)
	v_lshlrev_b32_e32 v4, 16, v30
	v_fmac_f32_e32 v119, v7, v4
	ds_read_b128 v[4:7], v35 offset:208
	s_waitcnt vmcnt(15)
	v_lshlrev_b32_e32 v8, 16, v31
	s_waitcnt lgkmcnt(1)
	v_fmac_f32_e32 v119, v0, v8
	s_waitcnt vmcnt(14)
	v_lshlrev_b32_e32 v0, 16, v32
	v_fmac_f32_e32 v119, v1, v0
	s_waitcnt vmcnt(13)
	v_lshlrev_b32_e32 v0, 16, v50
	;; [unrolled: 3-line block ×4, first 2 shown]
	v_lshlrev_b32_e32 v0, 16, v51
	s_waitcnt lgkmcnt(0)
	v_pk_mul_f32 v[0:1], v[4:5], v[0:1]
	v_add_f32_e32 v0, v119, v0
	v_add_f32_e32 v2, v0, v1
	s_waitcnt vmcnt(8)
	v_lshlrev_b32_e32 v1, 16, v53
	v_lshlrev_b32_e32 v0, 16, v36
	v_pk_mul_f32 v[4:5], v[6:7], v[0:1]
	v_add_f32_e32 v4, v2, v4
	ds_read_b128 v[0:3], v35 offset:224
	s_waitcnt vmcnt(6)
	v_lshlrev_b32_e32 v9, 16, v54
	v_lshlrev_b32_e32 v8, 16, v37
	v_add_f32_e32 v10, v4, v5
	ds_read_b128 v[4:7], v35 offset:240
	s_waitcnt lgkmcnt(1)
	v_pk_mul_f32 v[0:1], v[0:1], v[8:9]
	v_add_f32_e32 v0, v10, v0
	v_add_f32_e32 v8, v0, v1
	s_waitcnt vmcnt(4)
	v_lshlrev_b32_e32 v1, 16, v13
	v_lshlrev_b32_e32 v0, 16, v12
	v_pk_mul_f32 v[0:1], v[2:3], v[0:1]
	v_add_f32_e32 v0, v8, v0
	v_add_f32_e32 v2, v0, v1
	s_waitcnt vmcnt(2)
	v_lshlrev_b32_e32 v1, 16, v34
	v_lshlrev_b32_e32 v0, 16, v14
	s_waitcnt lgkmcnt(0)
	v_pk_mul_f32 v[0:1], v[4:5], v[0:1]
	v_add_f32_e32 v0, v2, v0
	v_add_f32_e32 v2, v0, v1
	s_waitcnt vmcnt(1)
	v_lshlrev_b32_e32 v0, 16, v15
	s_waitcnt vmcnt(0)
	v_lshlrev_b32_e32 v1, 16, v16
	v_pk_mul_f32 v[0:1], v[6:7], v[0:1]
	v_add_f32_e32 v0, v2, v0
	v_add_f32_e32 v119, v0, v1
	s_branch .LBB308_16
.LBB308_19:
	v_mov_b32_e32 v0, 0
	ds_read_b32 v0, v0 offset:1280
	s_cmp_lg_u64 s[2:3], 0
	s_cbranch_scc0 .LBB308_28
; %bb.20:
	s_load_dword s4, s[2:3], 0x0
	s_waitcnt lgkmcnt(0)
	v_div_scale_f32 v1, s[2:3], s4, s4, 1.0
	v_rcp_f32_e32 v2, v1
	v_div_scale_f32 v3, vcc, 1.0, s4, 1.0
	v_fma_f32 v4, -v1, v2, 1.0
	v_fmac_f32_e32 v2, v4, v2
	v_mul_f32_e32 v4, v3, v2
	v_fma_f32 v5, -v1, v4, v3
	v_fmac_f32_e32 v4, v5, v2
	v_fma_f32 v1, -v1, v4, v3
	v_div_fmas_f32 v1, v1, v2, v4
	v_div_fixup_f32 v1, v1, s4, 1.0
	s_andn2_b64 vcc, exec, s[26:27]
	s_cbranch_vccnz .LBB308_22
.LBB308_21:
	s_add_u32 s2, s24, s28
	s_addc_u32 s3, s25, s29
	s_load_dword s14, s[2:3], 0x0
	s_mov_b32 s15, 0
.LBB308_22:
	s_waitcnt lgkmcnt(0)
	v_add_f32_e32 v0, 0x358637bd, v0
	v_div_scale_f32 v2, s[2:3], v0, v0, 1.0
	v_rcp_f32_e32 v3, v2
	v_div_scale_f32 v4, vcc, 1.0, v0, 1.0
	s_mov_b32 s2, 0x7f800000
	v_fma_f32 v5, -v2, v3, 1.0
	v_fmac_f32_e32 v3, v5, v3
	v_mul_f32_e32 v5, v4, v3
	v_fma_f32 v6, -v2, v5, v4
	v_fmac_f32_e32 v5, v6, v3
	v_fma_f32 v2, -v2, v5, v4
	v_div_fmas_f32 v2, v2, v3, v5
	v_div_fixup_f32 v0, v2, v0, 1.0
	v_mul_f32_e32 v0, v119, v0
	v_mul_f32_e32 v1, v0, v1
	v_and_b32_e32 v0, 0x7f800000, v1
	v_cmp_ne_u32_e32 vcc, s2, v0
                                        ; implicit-def: $vgpr0
	s_and_saveexec_b64 s[2:3], vcc
	s_xor_b64 s[2:3], exec, s[2:3]
; %bb.23:
	v_bfe_u32 v0, v1, 16, 1
	s_movk_i32 s4, 0x7fff
	v_add3_u32 v0, v1, v0, s4
                                        ; implicit-def: $vgpr1
; %bb.24:
	s_andn2_saveexec_b64 s[2:3], s[2:3]
; %bb.25:
	v_mov_b32_e32 v0, 0
	v_or_b32_e32 v2, 0x10000, v1
	v_cmp_eq_u32_sdwa vcc, v1, v0 src0_sel:WORD_0 src1_sel:DWORD
	v_cndmask_b32_e32 v0, v2, v1, vcc
; %bb.26:
	s_or_b64 exec, exec, s[2:3]
	s_mul_i32 s2, s7, s15
	s_mul_hi_u32 s3, s7, s14
	s_add_i32 s3, s3, s2
	s_mul_i32 s2, s7, s14
	s_lshl_b64 s[2:3], s[2:3], 8
	s_add_u32 s2, s0, s2
	s_mov_b32 s7, 0
	s_addc_u32 s3, s1, s3
	s_lshl_b64 s[0:1], s[6:7], 8
	s_add_u32 s0, s2, s0
	s_addc_u32 s1, s3, s1
	global_store_short_d16_hi v116, v0, s[0:1]
	s_endpgm
.LBB308_27:
	s_mov_b64 s[2:3], 0
	s_branch .LBB308_2
.LBB308_28:
	v_mov_b32_e32 v1, 1.0
	s_andn2_b64 vcc, exec, s[26:27]
	s_cbranch_vccz .LBB308_21
	s_branch .LBB308_22
	.section	.rodata,"a",@progbits
	.p2align	6, 0x0
	.amdhsa_kernel _Z35paged_attention_ll4mi_reduce_kernelI14__hip_bfloat16S0_Li128ELi128ELi256ELi5EEvPT0_PKfS4_PKT_PKiS9_iS4_
		.amdhsa_group_segment_fixed_size 1284
		.amdhsa_private_segment_fixed_size 0
		.amdhsa_kernarg_size 320
		.amdhsa_user_sgpr_count 6
		.amdhsa_user_sgpr_private_segment_buffer 1
		.amdhsa_user_sgpr_dispatch_ptr 0
		.amdhsa_user_sgpr_queue_ptr 0
		.amdhsa_user_sgpr_kernarg_segment_ptr 1
		.amdhsa_user_sgpr_dispatch_id 0
		.amdhsa_user_sgpr_flat_scratch_init 0
		.amdhsa_user_sgpr_kernarg_preload_length 0
		.amdhsa_user_sgpr_kernarg_preload_offset 0
		.amdhsa_user_sgpr_private_segment_size 0
		.amdhsa_uses_dynamic_stack 0
		.amdhsa_system_sgpr_private_segment_wavefront_offset 0
		.amdhsa_system_sgpr_workgroup_id_x 1
		.amdhsa_system_sgpr_workgroup_id_y 1
		.amdhsa_system_sgpr_workgroup_id_z 0
		.amdhsa_system_sgpr_workgroup_info 0
		.amdhsa_system_vgpr_workitem_id 0
		.amdhsa_next_free_vgpr 136
		.amdhsa_next_free_sgpr 39
		.amdhsa_accum_offset 136
		.amdhsa_reserve_vcc 1
		.amdhsa_reserve_flat_scratch 0
		.amdhsa_float_round_mode_32 0
		.amdhsa_float_round_mode_16_64 0
		.amdhsa_float_denorm_mode_32 3
		.amdhsa_float_denorm_mode_16_64 3
		.amdhsa_dx10_clamp 1
		.amdhsa_ieee_mode 1
		.amdhsa_fp16_overflow 0
		.amdhsa_tg_split 0
		.amdhsa_exception_fp_ieee_invalid_op 0
		.amdhsa_exception_fp_denorm_src 0
		.amdhsa_exception_fp_ieee_div_zero 0
		.amdhsa_exception_fp_ieee_overflow 0
		.amdhsa_exception_fp_ieee_underflow 0
		.amdhsa_exception_fp_ieee_inexact 0
		.amdhsa_exception_int_div_zero 0
	.end_amdhsa_kernel
	.section	.text._Z35paged_attention_ll4mi_reduce_kernelI14__hip_bfloat16S0_Li128ELi128ELi256ELi5EEvPT0_PKfS4_PKT_PKiS9_iS4_,"axG",@progbits,_Z35paged_attention_ll4mi_reduce_kernelI14__hip_bfloat16S0_Li128ELi128ELi256ELi5EEvPT0_PKfS4_PKT_PKiS9_iS4_,comdat
.Lfunc_end308:
	.size	_Z35paged_attention_ll4mi_reduce_kernelI14__hip_bfloat16S0_Li128ELi128ELi256ELi5EEvPT0_PKfS4_PKT_PKiS9_iS4_, .Lfunc_end308-_Z35paged_attention_ll4mi_reduce_kernelI14__hip_bfloat16S0_Li128ELi128ELi256ELi5EEvPT0_PKfS4_PKT_PKiS9_iS4_
                                        ; -- End function
	.section	.AMDGPU.csdata,"",@progbits
; Kernel info:
; codeLenInByte = 9932
; NumSgprs: 43
; NumVgprs: 136
; NumAgprs: 0
; TotalNumVgprs: 136
; ScratchSize: 0
; MemoryBound: 0
; FloatMode: 240
; IeeeMode: 1
; LDSByteSize: 1284 bytes/workgroup (compile time only)
; SGPRBlocks: 5
; VGPRBlocks: 16
; NumSGPRsForWavesPerEU: 43
; NumVGPRsForWavesPerEU: 136
; AccumOffset: 136
; Occupancy: 3
; WaveLimiterHint : 1
; COMPUTE_PGM_RSRC2:SCRATCH_EN: 0
; COMPUTE_PGM_RSRC2:USER_SGPR: 6
; COMPUTE_PGM_RSRC2:TRAP_HANDLER: 0
; COMPUTE_PGM_RSRC2:TGID_X_EN: 1
; COMPUTE_PGM_RSRC2:TGID_Y_EN: 1
; COMPUTE_PGM_RSRC2:TGID_Z_EN: 0
; COMPUTE_PGM_RSRC2:TIDIG_COMP_CNT: 0
; COMPUTE_PGM_RSRC3_GFX90A:ACCUM_OFFSET: 33
; COMPUTE_PGM_RSRC3_GFX90A:TG_SPLIT: 0
	.section	.text._Z35paged_attention_ll4mi_reduce_kernelI14__hip_bfloat16S0_Li128ELi128ELi256ELi6EEvPT0_PKfS4_PKT_PKiS9_iS4_,"axG",@progbits,_Z35paged_attention_ll4mi_reduce_kernelI14__hip_bfloat16S0_Li128ELi128ELi256ELi6EEvPT0_PKfS4_PKT_PKiS9_iS4_,comdat
	.protected	_Z35paged_attention_ll4mi_reduce_kernelI14__hip_bfloat16S0_Li128ELi128ELi256ELi6EEvPT0_PKfS4_PKT_PKiS9_iS4_ ; -- Begin function _Z35paged_attention_ll4mi_reduce_kernelI14__hip_bfloat16S0_Li128ELi128ELi256ELi6EEvPT0_PKfS4_PKT_PKiS9_iS4_
	.globl	_Z35paged_attention_ll4mi_reduce_kernelI14__hip_bfloat16S0_Li128ELi128ELi256ELi6EEvPT0_PKfS4_PKT_PKiS9_iS4_
	.p2align	8
	.type	_Z35paged_attention_ll4mi_reduce_kernelI14__hip_bfloat16S0_Li128ELi128ELi256ELi6EEvPT0_PKfS4_PKT_PKiS9_iS4_,@function
_Z35paged_attention_ll4mi_reduce_kernelI14__hip_bfloat16S0_Li128ELi128ELi256ELi6EEvPT0_PKfS4_PKT_PKiS9_iS4_: ; @_Z35paged_attention_ll4mi_reduce_kernelI14__hip_bfloat16S0_Li128ELi128ELi256ELi6EEvPT0_PKfS4_PKT_PKiS9_iS4_
; %bb.0:
	s_load_dwordx2 s[26:27], s[4:5], 0x28
	s_mov_b32 s24, s7
	s_mov_b64 s[0:1], 0
	s_waitcnt lgkmcnt(0)
	s_cmp_lg_u64 s[26:27], 0
	s_cselect_b64 s[28:29], -1, 0
	s_and_b64 vcc, exec, s[28:29]
	s_cbranch_vccz .LBB309_27
; %bb.1:
	s_add_i32 s2, s24, 1
	s_mov_b32 s3, 0
	s_lshl_b64 s[8:9], s[2:3], 2
	s_add_u32 s8, s26, s8
	s_mov_b32 s25, s3
	s_addc_u32 s9, s27, s9
	s_lshl_b64 s[2:3], s[24:25], 2
	s_add_u32 s2, s26, s2
	s_addc_u32 s3, s27, s3
	s_load_dword s7, s[8:9], 0x0
	s_load_dword s10, s[2:3], 0x0
	s_waitcnt lgkmcnt(0)
	s_sub_i32 s2, s7, s10
	s_cmp_eq_u32 s2, 1
	s_cselect_b64 s[2:3], -1, 0
	s_andn2_b64 vcc, exec, s[0:1]
	s_cbranch_vccnz .LBB309_3
.LBB309_2:
	s_mov_b32 s25, 0
	s_mov_b64 s[2:3], -1
.LBB309_3:
	s_andn2_b64 vcc, exec, s[2:3]
	s_cbranch_vccz .LBB309_5
; %bb.4:
	s_endpgm
.LBB309_5:
	s_load_dwordx4 s[16:19], s[4:5], 0x18
	s_load_dword s8, s[4:5], 0x30
	s_lshl_b64 s[30:31], s[24:25], 2
	v_cmp_lt_u32_e32 vcc, 63, v0
	s_waitcnt lgkmcnt(0)
	s_add_u32 s0, s18, s30
	s_addc_u32 s1, s19, s31
	s_load_dword s40, s[0:1], 0x0
	s_load_dword s7, s[4:5], 0x40
	s_mul_i32 s18, s6, s8
	s_mul_i32 s2, s24, s8
	s_waitcnt lgkmcnt(0)
	s_add_i32 s3, s40, 0xff
	s_ashr_i32 s0, s3, 31
	s_lshr_b32 s0, s0, 24
	s_add_i32 s3, s3, s0
	s_and_saveexec_b64 s[0:1], vcc
	s_xor_b64 s[0:1], exec, s[0:1]
	s_or_saveexec_b64 s[34:35], s[0:1]
	s_ashr_i32 s33, s3, 8
	v_mov_b32_e32 v1, s18
	s_mul_i32 s36, s2, s7
	s_xor_b64 exec, exec, s[34:35]
	s_cbranch_execz .LBB309_9
; %bb.6:
	s_add_i32 s0, s33, -1
	v_or_b32_e32 v3, 64, v0
	v_mov_b32_e32 v1, s0
	v_cmp_gt_u32_e64 s[10:11], s33, v3
	v_cndmask_b32_e64 v4, v1, v3, s[10:11]
	v_or_b32_e32 v3, 0x80, v0
	s_load_dwordx4 s[20:23], s[4:5], 0x8
	v_cmp_gt_u32_e64 s[8:9], s33, v3
	v_cndmask_b32_e64 v6, v1, v3, s[8:9]
	v_or_b32_e32 v3, 0xc0, v0
	v_cmp_gt_u32_e64 s[2:3], s33, v3
	s_mov_b32 s37, 0
	v_cndmask_b32_e64 v8, v1, v3, s[2:3]
	v_or_b32_e32 v3, 0x100, v0
	v_cmp_gt_u32_e64 s[0:1], s33, v3
	s_lshl_b64 s[38:39], s[36:37], 2
	s_mov_b32 s19, s37
	v_cmp_gt_u32_e64 s[12:13], s33, v0
	v_cndmask_b32_e64 v10, v1, v3, s[0:1]
	v_or_b32_e32 v3, 0x140, v0
	s_waitcnt lgkmcnt(0)
	s_add_u32 s14, s22, s38
	v_cndmask_b32_e64 v2, v1, v0, s[12:13]
	v_cmp_gt_u32_e32 vcc, s33, v3
	s_addc_u32 s15, s23, s39
	s_lshl_b64 s[22:23], s[18:19], 2
	v_cndmask_b32_e32 v12, v1, v3, vcc
	s_add_u32 s19, s14, s22
	v_ashrrev_i32_e32 v3, 31, v2
	s_addc_u32 s37, s15, s23
	v_lshlrev_b64 v[2:3], 2, v[2:3]
	v_mov_b32_e32 v1, s37
	v_add_co_u32_e64 v14, s[14:15], s19, v2
	v_ashrrev_i32_e32 v5, 31, v4
	v_addc_co_u32_e64 v15, s[14:15], v1, v3, s[14:15]
	v_lshlrev_b64 v[4:5], 2, v[4:5]
	v_add_co_u32_e64 v16, s[14:15], s19, v4
	v_ashrrev_i32_e32 v7, 31, v6
	v_addc_co_u32_e64 v17, s[14:15], v1, v5, s[14:15]
	v_lshlrev_b64 v[6:7], 2, v[6:7]
	v_add_co_u32_e64 v18, s[14:15], s19, v6
	v_ashrrev_i32_e32 v9, 31, v8
	v_addc_co_u32_e64 v19, s[14:15], v1, v7, s[14:15]
	v_lshlrev_b64 v[8:9], 2, v[8:9]
	v_add_co_u32_e64 v20, s[14:15], s19, v8
	v_ashrrev_i32_e32 v11, 31, v10
	v_addc_co_u32_e64 v21, s[14:15], v1, v9, s[14:15]
	v_lshlrev_b64 v[10:11], 2, v[10:11]
	v_add_co_u32_e64 v22, s[14:15], s19, v10
	v_ashrrev_i32_e32 v13, 31, v12
	v_addc_co_u32_e64 v23, s[14:15], v1, v11, s[14:15]
	v_lshlrev_b64 v[12:13], 2, v[12:13]
	v_add_co_u32_e64 v24, s[14:15], s19, v12
	v_addc_co_u32_e64 v25, s[14:15], v1, v13, s[14:15]
	global_load_dword v1, v[14:15], off
	global_load_dword v26, v[16:17], off
	;; [unrolled: 1-line block ×6, first 2 shown]
	v_mbcnt_lo_u32_b32 v14, -1, 0
	v_mbcnt_hi_u32_b32 v14, -1, v14
	v_and_b32_e32 v15, 64, v14
	v_xor_b32_e32 v16, 32, v14
	v_add_u32_e32 v15, 64, v15
	v_cmp_lt_i32_e64 s[14:15], v16, v15
	v_cndmask_b32_e64 v16, v14, v16, s[14:15]
	v_lshlrev_b32_e32 v16, 2, v16
	v_xor_b32_e32 v17, 16, v14
	v_cmp_lt_i32_e64 s[14:15], v17, v15
	v_cndmask_b32_e64 v17, v14, v17, s[14:15]
	v_lshlrev_b32_e32 v17, 2, v17
	v_xor_b32_e32 v18, 8, v14
	;; [unrolled: 4-line block ×3, first 2 shown]
	v_cmp_lt_i32_e64 s[14:15], v19, v15
	v_cndmask_b32_e64 v19, v14, v19, s[14:15]
	s_add_u32 s14, s20, s38
	v_lshlrev_b32_e32 v19, 2, v19
	s_addc_u32 s15, s21, s39
	s_add_u32 s19, s14, s22
	s_addc_u32 s20, s15, s23
	v_mov_b32_e32 v22, s20
	v_add_co_u32_e64 v2, s[14:15], s19, v2
	v_addc_co_u32_e64 v3, s[14:15], v22, v3, s[14:15]
	global_load_dword v22, v[2:3], off
	v_mov_b32_e32 v3, s20
	s_mov_b32 s21, 0x42b17218
	s_waitcnt vmcnt(6)
	v_max_f32_e32 v21, v1, v1
	s_waitcnt vmcnt(5)
	v_max_f32_e32 v20, v26, v26
	v_max_f32_e32 v20, v21, v20
	s_waitcnt vmcnt(3)
	v_max3_f32 v20, v20, v27, v28
	s_waitcnt vmcnt(1)
	v_max3_f32 v20, v20, v29, v30
	ds_bpermute_b32 v21, v16, v20
	s_waitcnt lgkmcnt(0)
	v_max_f32_e32 v21, v21, v21
	v_max_f32_e32 v20, v20, v21
	ds_bpermute_b32 v21, v17, v20
	s_waitcnt lgkmcnt(0)
	v_max_f32_e32 v21, v21, v21
	v_max_f32_e32 v20, v20, v21
	;; [unrolled: 4-line block ×4, first 2 shown]
	v_xor_b32_e32 v2, 2, v14
	v_cmp_lt_i32_e64 s[14:15], v2, v15
	v_cndmask_b32_e64 v2, v14, v2, s[14:15]
	v_lshlrev_b32_e32 v21, 2, v2
	ds_bpermute_b32 v23, v21, v20
	v_add_co_u32_e64 v2, s[14:15], s19, v4
	v_addc_co_u32_e64 v3, s[14:15], v3, v5, s[14:15]
	global_load_dword v24, v[2:3], off
	s_waitcnt lgkmcnt(0)
	v_max_f32_e32 v2, v23, v23
	v_max_f32_e32 v4, v20, v2
	v_xor_b32_e32 v2, 1, v14
	v_cmp_lt_i32_e64 s[14:15], v2, v15
	v_cndmask_b32_e64 v2, v14, v2, s[14:15]
	v_lshlrev_b32_e32 v14, 2, v2
	v_mov_b32_e32 v3, s20
	v_add_co_u32_e64 v2, s[14:15], s19, v6
	v_addc_co_u32_e64 v3, s[14:15], v3, v7, s[14:15]
	global_load_dword v6, v[2:3], off
	ds_bpermute_b32 v5, v14, v4
	v_mov_b32_e32 v3, s20
	v_add_co_u32_e64 v2, s[14:15], s19, v8
	v_addc_co_u32_e64 v3, s[14:15], v3, v9, s[14:15]
	global_load_dword v7, v[2:3], off
	s_waitcnt lgkmcnt(0)
	v_max_f32_e32 v5, v5, v5
	v_max_f32_e32 v9, v4, v5
	v_sub_f32_e32 v1, v1, v9
	v_mov_b32_e32 v3, s20
	v_mov_b32_e32 v8, s20
	s_mov_b32 s20, 0x3fb8aa3b
	v_mul_f32_e32 v4, 0x3fb8aa3b, v1
	v_add_co_u32_e64 v2, s[14:15], s19, v10
	v_fma_f32 v5, v1, s20, -v4
	v_rndne_f32_e32 v10, v4
	v_fmac_f32_e32 v5, 0x32a5705f, v1
	v_sub_f32_e32 v4, v4, v10
	v_addc_co_u32_e64 v3, s[14:15], v3, v11, s[14:15]
	v_add_f32_e32 v4, v4, v5
	v_exp_f32_e32 v11, v4
	v_add_co_u32_e64 v4, s[14:15], s19, v12
	v_addc_co_u32_e64 v5, s[14:15], v8, v13, s[14:15]
	global_load_dword v8, v[2:3], off
	global_load_dword v12, v[4:5], off
	v_cvt_i32_f32_e32 v10, v10
	v_sub_f32_e32 v4, v26, v9
	v_mul_f32_e32 v5, 0x3fb8aa3b, v4
	s_mov_b32 s19, 0xc2ce8ed0
	v_ldexp_f32 v2, v11, v10
	v_fma_f32 v10, v4, s20, -v5
	v_rndne_f32_e32 v11, v5
	v_fmac_f32_e32 v10, 0x32a5705f, v4
	v_sub_f32_e32 v5, v5, v11
	v_add_f32_e32 v5, v5, v10
	v_cmp_ngt_f32_e64 s[14:15], s19, v1
	v_exp_f32_e32 v5, v5
	v_cvt_i32_f32_e32 v10, v11
	v_cndmask_b32_e64 v2, 0, v2, s[14:15]
	v_mov_b32_e32 v3, 0x7f800000
	v_cmp_nlt_f32_e64 s[14:15], s21, v1
	v_cndmask_b32_e64 v1, v3, v2, s[14:15]
	v_cndmask_b32_e64 v1, 0, v1, s[12:13]
	v_sub_f32_e32 v2, v27, v9
	s_waitcnt vmcnt(5)
	v_mul_f32_e32 v11, v22, v1
	v_ldexp_f32 v1, v5, v10
	v_mul_f32_e32 v5, 0x3fb8aa3b, v2
	v_fma_f32 v10, v2, s20, -v5
	v_rndne_f32_e32 v13, v5
	v_fmac_f32_e32 v10, 0x32a5705f, v2
	v_sub_f32_e32 v5, v5, v13
	v_add_f32_e32 v5, v5, v10
	v_cmp_ngt_f32_e64 s[12:13], s19, v4
	v_exp_f32_e32 v5, v5
	v_cvt_i32_f32_e32 v10, v13
	v_cndmask_b32_e64 v1, 0, v1, s[12:13]
	v_cmp_nlt_f32_e64 s[12:13], s21, v4
	v_cndmask_b32_e64 v1, v3, v1, s[12:13]
	v_cndmask_b32_e64 v1, 0, v1, s[10:11]
	v_cmp_ngt_f32_e64 s[10:11], s19, v2
	s_waitcnt vmcnt(4)
	v_mul_f32_e32 v4, v24, v1
	v_ldexp_f32 v1, v5, v10
	v_sub_f32_e32 v5, v28, v9
	v_mul_f32_e32 v10, 0x3fb8aa3b, v5
	v_fma_f32 v13, v5, s20, -v10
	v_rndne_f32_e32 v15, v10
	v_fmac_f32_e32 v13, 0x32a5705f, v5
	v_sub_f32_e32 v10, v10, v15
	v_add_f32_e32 v10, v10, v13
	v_exp_f32_e32 v10, v10
	v_cvt_i32_f32_e32 v13, v15
	v_cndmask_b32_e64 v1, 0, v1, s[10:11]
	v_cmp_nlt_f32_e64 s[10:11], s21, v2
	v_cndmask_b32_e64 v1, v3, v1, s[10:11]
	v_cndmask_b32_e64 v1, 0, v1, s[8:9]
	v_sub_f32_e32 v2, v29, v9
	s_waitcnt vmcnt(3)
	v_mul_f32_e32 v6, v6, v1
	v_ldexp_f32 v1, v10, v13
	v_mul_f32_e32 v10, 0x3fb8aa3b, v2
	v_fma_f32 v13, v2, s20, -v10
	v_rndne_f32_e32 v15, v10
	v_cmp_ngt_f32_e64 s[8:9], s19, v5
	v_fmac_f32_e32 v13, 0x32a5705f, v2
	v_sub_f32_e32 v10, v10, v15
	v_cndmask_b32_e64 v1, 0, v1, s[8:9]
	v_add_f32_e32 v10, v10, v13
	v_cmp_nlt_f32_e64 s[8:9], s21, v5
	v_exp_f32_e32 v10, v10
	v_cvt_i32_f32_e32 v13, v15
	v_cndmask_b32_e64 v1, v3, v1, s[8:9]
	v_cndmask_b32_e64 v1, 0, v1, s[2:3]
	s_waitcnt vmcnt(2)
	v_mul_f32_e32 v5, v7, v1
	v_sub_f32_e32 v7, v30, v9
	v_mul_f32_e32 v9, 0x3fb8aa3b, v7
	v_ldexp_f32 v1, v10, v13
	v_fma_f32 v10, v7, s20, -v9
	v_rndne_f32_e32 v13, v9
	v_fmac_f32_e32 v10, 0x32a5705f, v7
	v_sub_f32_e32 v9, v9, v13
	v_add_f32_e32 v9, v9, v10
	v_cmp_ngt_f32_e64 s[2:3], s19, v2
	v_exp_f32_e32 v9, v9
	v_cvt_i32_f32_e32 v10, v13
	v_cndmask_b32_e64 v1, 0, v1, s[2:3]
	v_cmp_nlt_f32_e64 s[2:3], s21, v2
	v_cndmask_b32_e64 v1, v3, v1, s[2:3]
	v_cndmask_b32_e64 v1, 0, v1, s[0:1]
	s_waitcnt vmcnt(1)
	v_mul_f32_e32 v8, v8, v1
	v_ldexp_f32 v1, v9, v10
	v_cmp_ngt_f32_e64 s[0:1], s19, v7
	v_cndmask_b32_e64 v1, 0, v1, s[0:1]
	v_cmp_nlt_f32_e64 s[0:1], s21, v7
	v_cndmask_b32_e64 v1, v3, v1, s[0:1]
	v_cndmask_b32_e32 v1, 0, v1, vcc
	s_waitcnt vmcnt(0)
	v_mul_f32_e32 v3, v12, v1
	v_add_f32_e32 v1, v11, v4
	v_add_f32_e32 v1, v1, v6
	v_add_f32_e32 v1, v1, v5
	v_add_f32_e32 v1, v1, v8
	v_add_f32_e32 v1, v1, v3
	ds_bpermute_b32 v2, v16, v1
	v_lshlrev_b32_e32 v7, 2, v0
	v_cmp_eq_u32_e32 vcc, 0, v0
	ds_write2st64_b32 v7, v11, v4 offset1:1
	ds_write2st64_b32 v7, v6, v5 offset0:2 offset1:3
	ds_write2st64_b32 v7, v8, v3 offset0:4 offset1:5
	s_waitcnt lgkmcnt(3)
	v_add_f32_e32 v1, v1, v2
	ds_bpermute_b32 v2, v17, v1
	s_waitcnt lgkmcnt(0)
	v_add_f32_e32 v1, v1, v2
	ds_bpermute_b32 v2, v18, v1
	;; [unrolled: 3-line block ×5, first 2 shown]
	s_and_saveexec_b64 s[0:1], vcc
	s_cbranch_execz .LBB309_8
; %bb.7:
	s_waitcnt lgkmcnt(0)
	v_add_f32_e32 v1, v1, v2
	v_mov_b32_e32 v2, 0
	ds_write_b32 v2, v1 offset:1536
.LBB309_8:
	s_or_b64 exec, exec, s[0:1]
	v_mov_b32_e32 v1, s18
.LBB309_9:
	s_or_b64 exec, exec, s[34:35]
	s_lshl_b32 s0, s36, 7
	s_mov_b32 s1, 0
	s_lshl_b64 s[0:1], s[0:1], 1
	s_add_u32 s0, s16, s0
	s_addc_u32 s1, s17, s1
	s_lshl_b32 s10, s33, 7
	s_waitcnt lgkmcnt(0)
	v_lshlrev_b32_e32 v2, 7, v1
	v_mov_b32_e32 v3, 0
	s_add_i32 s11, s10, 0xffffff80
	v_lshlrev_b64 v[4:5], 1, v[2:3]
	s_cmp_lt_i32 s40, 1
	v_mov_b32_e32 v1, s1
	v_add_co_u32_e32 v2, vcc, s0, v4
	s_cselect_b32 s0, s11, 0
	v_addc_co_u32_e32 v1, vcc, v1, v5, vcc
	v_lshlrev_b32_e32 v116, 1, v0
	s_ashr_i32 s1, s0, 31
	v_add_co_u32_e32 v117, vcc, v2, v116
	s_lshl_b64 s[0:1], s[0:1], 1
	v_addc_co_u32_e32 v118, vcc, 0, v1, vcc
	s_cmpk_lt_i32 s40, 0x101
	v_add_co_u32_e32 v0, vcc, s0, v117
	s_cselect_b32 s0, s11, 0x80
	v_mov_b32_e32 v1, s1
	s_ashr_i32 s1, s0, 31
	s_lshl_b64 s[0:1], s[0:1], 1
	v_addc_co_u32_e32 v1, vcc, v118, v1, vcc
	s_cmpk_lt_i32 s40, 0x201
	v_add_co_u32_e32 v4, vcc, s0, v117
	s_cselect_b32 s0, s11, 0x100
	v_mov_b32_e32 v2, s1
	s_ashr_i32 s1, s0, 31
	;; [unrolled: 7-line block ×8, first 2 shown]
	s_lshl_b64 s[0:1], s[0:1], 1
	v_addc_co_u32_e32 v17, vcc, v118, v2, vcc
	s_cmpk_lt_i32 s40, 0x901
	global_load_ushort v40, v[0:1], off
	global_load_ushort v39, v[4:5], off
	;; [unrolled: 1-line block ×8, first 2 shown]
	v_add_co_u32_e32 v0, vcc, s0, v117
	s_cselect_b32 s0, s11, 0x480
	v_mov_b32_e32 v1, s1
	s_ashr_i32 s1, s0, 31
	s_lshl_b64 s[0:1], s[0:1], 1
	v_addc_co_u32_e32 v1, vcc, v118, v1, vcc
	s_cmpk_lt_i32 s40, 0xa01
	v_add_co_u32_e32 v4, vcc, s0, v117
	s_cselect_b32 s0, s11, 0x500
	v_mov_b32_e32 v5, s1
	s_ashr_i32 s1, s0, 31
	s_lshl_b64 s[0:1], s[0:1], 1
	v_addc_co_u32_e32 v5, vcc, v118, v5, vcc
	s_cmpk_lt_i32 s40, 0xb01
	;; [unrolled: 7-line block ×6, first 2 shown]
	v_add_co_u32_e32 v14, vcc, s0, v117
	s_cselect_b32 s0, s11, 0x780
	v_mov_b32_e32 v15, s1
	s_ashr_i32 s1, s0, 31
	v_addc_co_u32_e32 v15, vcc, v118, v15, vcc
	s_lshl_b64 s[0:1], s[0:1], 1
	v_mov_b32_e32 v17, s1
	v_add_co_u32_e32 v16, vcc, s0, v117
	v_addc_co_u32_e32 v17, vcc, v118, v17, vcc
	global_load_ushort v47, v[0:1], off
	global_load_ushort v48, v[4:5], off
	;; [unrolled: 1-line block ×8, first 2 shown]
	s_cmpk_gt_i32 s40, 0x1000
	s_cselect_b64 s[8:9], -1, 0
	s_cmpk_lt_i32 s40, 0x1001
	v_mov_b32_e32 v57, 0
	v_mov_b32_e32 v58, 0
	;; [unrolled: 1-line block ×48, first 2 shown]
	s_barrier
	s_cbranch_scc1 .LBB309_12
; %bb.10:
	s_cmpk_lt_u32 s40, 0x1101
	s_cselect_b32 s0, s11, 0x880
	s_ashr_i32 s1, s0, 31
	v_add_co_u32_e32 v0, vcc, 0x1000, v117
	s_lshl_b64 s[0:1], s[0:1], 1
	v_addc_co_u32_e32 v1, vcc, 0, v118, vcc
	s_cmpk_lt_u32 s40, 0x1201
	v_add_co_u32_e32 v4, vcc, s0, v117
	s_cselect_b32 s0, s11, 0x900
	v_mov_b32_e32 v5, s1
	s_ashr_i32 s1, s0, 31
	s_lshl_b64 s[0:1], s[0:1], 1
	v_addc_co_u32_e32 v5, vcc, v118, v5, vcc
	s_cmpk_lt_u32 s40, 0x1301
	v_add_co_u32_e32 v6, vcc, s0, v117
	s_cselect_b32 s0, s11, 0x980
	v_mov_b32_e32 v7, s1
	s_ashr_i32 s1, s0, 31
	s_lshl_b64 s[0:1], s[0:1], 1
	v_addc_co_u32_e32 v7, vcc, v118, v7, vcc
	s_cmpk_lt_u32 s40, 0x1401
	v_add_co_u32_e32 v8, vcc, s0, v117
	s_cselect_b32 s0, s11, 0xa00
	v_mov_b32_e32 v9, s1
	s_ashr_i32 s1, s0, 31
	s_lshl_b64 s[0:1], s[0:1], 1
	v_addc_co_u32_e32 v9, vcc, v118, v9, vcc
	s_cmpk_lt_u32 s40, 0x1501
	v_add_co_u32_e32 v10, vcc, s0, v117
	s_cselect_b32 s0, s11, 0xa80
	v_mov_b32_e32 v11, s1
	s_ashr_i32 s1, s0, 31
	s_lshl_b64 s[0:1], s[0:1], 1
	v_addc_co_u32_e32 v11, vcc, v118, v11, vcc
	s_cmpk_lt_u32 s40, 0x1601
	v_add_co_u32_e32 v12, vcc, s0, v117
	s_cselect_b32 s0, s11, 0xb00
	v_mov_b32_e32 v13, s1
	s_ashr_i32 s1, s0, 31
	s_lshl_b64 s[0:1], s[0:1], 1
	v_addc_co_u32_e32 v13, vcc, v118, v13, vcc
	s_cmpk_lt_u32 s40, 0x1701
	v_add_co_u32_e32 v14, vcc, s0, v117
	s_cselect_b32 s0, s11, 0xb80
	v_mov_b32_e32 v15, s1
	s_ashr_i32 s1, s0, 31
	s_lshl_b64 s[0:1], s[0:1], 1
	v_addc_co_u32_e32 v15, vcc, v118, v15, vcc
	s_cmpk_lt_u32 s40, 0x1801
	v_add_co_u32_e32 v16, vcc, s0, v117
	s_cselect_b32 s0, s11, 0xc00
	v_mov_b32_e32 v17, s1
	s_ashr_i32 s1, s0, 31
	s_lshl_b64 s[0:1], s[0:1], 1
	v_addc_co_u32_e32 v17, vcc, v118, v17, vcc
	s_cmpk_lt_u32 s40, 0x1901
	global_load_ushort v56, v[0:1], off
	global_load_ushort v55, v[4:5], off
	global_load_ushort v54, v[6:7], off
	global_load_ushort v53, v[8:9], off
	global_load_ushort v52, v[10:11], off
	global_load_ushort v51, v[12:13], off
	global_load_ushort v50, v[14:15], off
	global_load_ushort v49, v[16:17], off
	v_add_co_u32_e32 v0, vcc, s0, v117
	s_cselect_b32 s0, s11, 0xc80
	v_mov_b32_e32 v1, s1
	s_ashr_i32 s1, s0, 31
	s_lshl_b64 s[0:1], s[0:1], 1
	v_addc_co_u32_e32 v1, vcc, v118, v1, vcc
	s_cmpk_lt_u32 s40, 0x1a01
	v_add_co_u32_e32 v4, vcc, s0, v117
	s_cselect_b32 s0, s11, 0xd00
	v_mov_b32_e32 v5, s1
	s_ashr_i32 s1, s0, 31
	s_lshl_b64 s[0:1], s[0:1], 1
	v_addc_co_u32_e32 v5, vcc, v118, v5, vcc
	s_cmpk_lt_u32 s40, 0x1b01
	;; [unrolled: 7-line block ×6, first 2 shown]
	v_add_co_u32_e32 v14, vcc, s0, v117
	s_cselect_b32 s0, s11, 0xf80
	v_mov_b32_e32 v15, s1
	s_ashr_i32 s1, s0, 31
	v_addc_co_u32_e32 v15, vcc, v118, v15, vcc
	s_lshl_b64 s[0:1], s[0:1], 1
	v_mov_b32_e32 v17, s1
	v_add_co_u32_e32 v16, vcc, s0, v117
	v_addc_co_u32_e32 v17, vcc, v118, v17, vcc
	global_load_ushort v64, v[0:1], off
	global_load_ushort v63, v[4:5], off
	;; [unrolled: 1-line block ×8, first 2 shown]
	s_cmpk_lt_u32 s40, 0x2001
	v_mov_b32_e32 v33, 0
	v_mov_b32_e32 v31, 0
	;; [unrolled: 1-line block ×32, first 2 shown]
	s_cbranch_scc1 .LBB309_12
; %bb.11:
	s_cmpk_lt_u32 s40, 0x2101
	s_cselect_b32 s0, s11, 0x1080
	s_ashr_i32 s1, s0, 31
	s_lshl_b64 s[0:1], s[0:1], 1
	s_cmpk_lt_u32 s40, 0x2201
	v_add_co_u32_e32 v0, vcc, s0, v117
	s_cselect_b32 s0, s11, 0x1100
	v_mov_b32_e32 v1, s1
	s_ashr_i32 s1, s0, 31
	s_lshl_b64 s[0:1], s[0:1], 1
	v_addc_co_u32_e32 v1, vcc, v118, v1, vcc
	s_cmpk_lt_u32 s40, 0x2301
	v_add_co_u32_e32 v4, vcc, s0, v117
	s_cselect_b32 s0, s11, 0x1180
	v_mov_b32_e32 v5, s1
	s_ashr_i32 s1, s0, 31
	s_lshl_b64 s[0:1], s[0:1], 1
	v_addc_co_u32_e32 v5, vcc, v118, v5, vcc
	;; [unrolled: 7-line block ×30, first 2 shown]
	v_mov_b32_e32 v65, s1
	s_movk_i32 s1, 0x2000
	v_add_co_u32_e32 v94, vcc, s1, v117
	v_addc_co_u32_e32 v95, vcc, 0, v118, vcc
	global_load_ushort v96, v[94:95], off
	global_load_ushort v97, v[0:1], off
	;; [unrolled: 1-line block ×15, first 2 shown]
                                        ; kill: killed $vgpr18 killed $vgpr19
                                        ; kill: killed $vgpr0 killed $vgpr1
                                        ; kill: killed $vgpr28 killed $vgpr29
                                        ; kill: killed $vgpr8 killed $vgpr9
                                        ; kill: killed $vgpr14 killed $vgpr15
                                        ; kill: killed $vgpr20 killed $vgpr21
                                        ; kill: killed $vgpr4 killed $vgpr5
                                        ; kill: killed $vgpr94 killed $vgpr95
                                        ; kill: killed $vgpr32 killed $vgpr33
                                        ; kill: killed $vgpr10 killed $vgpr11
                                        ; kill: killed $vgpr16 killed $vgpr17
                                        ; kill: killed $vgpr24 killed $vgpr25
                                        ; kill: killed $vgpr6 killed $vgpr7
                                        ; kill: killed $vgpr66 killed $vgpr67
                                        ; kill: killed $vgpr12 killed $vgpr13
	global_load_ushort v4, v[22:23], off
	global_load_ushort v5, v[26:27], off
	;; [unrolled: 1-line block ×15, first 2 shown]
                                        ; kill: killed $vgpr82 killed $vgpr83
                                        ; kill: killed $vgpr30 killed $vgpr31
                                        ; kill: killed $vgpr88 killed $vgpr89
                                        ; kill: killed $vgpr72 killed $vgpr73
                                        ; kill: killed $vgpr78 killed $vgpr79
                                        ; kill: killed $vgpr22 killed $vgpr23
                                        ; kill: killed $vgpr68 killed $vgpr69
                                        ; kill: killed $vgpr90 killed $vgpr91
                                        ; kill: killed $vgpr74 killed $vgpr75
                                        ; kill: killed $vgpr80 killed $vgpr81
                                        ; kill: killed $vgpr26 killed $vgpr27
                                        ; kill: killed $vgpr86 killed $vgpr87
                                        ; kill: killed $vgpr70 killed $vgpr71
                                        ; kill: killed $vgpr92 killed $vgpr93
                                        ; kill: killed $vgpr76 killed $vgpr77
	global_load_ushort v68, v[84:85], off
	v_add_co_u32_e32 v0, vcc, s0, v117
	v_addc_co_u32_e32 v1, vcc, v118, v65, vcc
	global_load_ushort v1, v[0:1], off
	s_waitcnt vmcnt(31)
	v_lshlrev_b32_e32 v33, 16, v96
	s_waitcnt vmcnt(30)
	v_lshlrev_b32_e32 v31, 16, v97
	;; [unrolled: 2-line block ×32, first 2 shown]
.LBB309_12:
	s_load_dwordx2 s[0:1], s[4:5], 0x0
	s_load_dwordx2 s[2:3], s[4:5], 0x38
	ds_read_b128 v[66:69], v3
	s_waitcnt vmcnt(15)
	v_lshlrev_b32_e32 v40, 16, v40
	s_waitcnt vmcnt(14)
	v_lshlrev_b32_e32 v39, 16, v39
	ds_read_b128 v[70:73], v3 offset:16
	ds_read_b128 v[74:77], v3 offset:32
	;; [unrolled: 1-line block ×3, first 2 shown]
	s_waitcnt vmcnt(13)
	v_lshlrev_b32_e32 v38, 16, v38
	s_waitcnt lgkmcnt(0)
	v_fma_f32 v40, v66, v40, 0
	v_fmac_f32_e32 v40, v67, v39
	v_fmac_f32_e32 v40, v68, v38
	s_waitcnt vmcnt(12)
	v_lshlrev_b32_e32 v37, 16, v37
	v_fmac_f32_e32 v40, v69, v37
	s_waitcnt vmcnt(10)
	v_lshlrev_b32_e32 v37, 16, v36
	v_lshlrev_b32_e32 v36, 16, v35
	v_pk_mul_f32 v[36:37], v[70:71], v[36:37]
	v_add_f32_e32 v35, v40, v36
	v_add_f32_e32 v36, v35, v37
	s_waitcnt vmcnt(8)
	v_lshlrev_b32_e32 v35, 16, v34
	v_lshlrev_b32_e32 v34, 16, v2
	v_pk_mul_f32 v[34:35], v[72:73], v[34:35]
	v_add_f32_e32 v2, v36, v34
	v_add_f32_e32 v2, v2, v35
	;; [unrolled: 6-line block ×6, first 2 shown]
	s_and_b64 vcc, exec, s[8:9]
	s_cbranch_vccz .LBB309_15
; %bb.13:
	ds_read_b128 v[34:37], v3 offset:64
	v_lshlrev_b32_e32 v2, 16, v56
	ds_read_b128 v[38:41], v3 offset:80
	ds_read_b128 v[42:45], v3 offset:96
	;; [unrolled: 1-line block ×3, first 2 shown]
	s_cmpk_lt_u32 s40, 0x2001
	s_waitcnt lgkmcnt(3)
	v_fmac_f32_e32 v119, v34, v2
	v_lshlrev_b32_e32 v2, 16, v55
	v_fmac_f32_e32 v119, v35, v2
	v_lshlrev_b32_e32 v2, 16, v54
	v_fmac_f32_e32 v119, v36, v2
	v_lshlrev_b32_e32 v2, 16, v53
	v_fmac_f32_e32 v119, v37, v2
	v_lshlrev_b32_e32 v2, 16, v52
	s_waitcnt lgkmcnt(2)
	v_fmac_f32_e32 v119, v38, v2
	v_lshlrev_b32_e32 v2, 16, v51
	v_fmac_f32_e32 v119, v39, v2
	v_lshlrev_b32_e32 v2, 16, v50
	v_fmac_f32_e32 v119, v40, v2
	v_lshlrev_b32_e32 v2, 16, v49
	v_fmac_f32_e32 v119, v41, v2
	v_lshlrev_b32_e32 v2, 16, v64
	;; [unrolled: 9-line block ×3, first 2 shown]
	s_waitcnt lgkmcnt(0)
	v_fmac_f32_e32 v119, v66, v2
	v_lshlrev_b32_e32 v2, 16, v59
	v_fmac_f32_e32 v119, v67, v2
	v_lshlrev_b32_e32 v2, 16, v58
	;; [unrolled: 2-line block ×3, first 2 shown]
	v_fmac_f32_e32 v119, v69, v2
	s_cbranch_scc1 .LBB309_15
; %bb.14:
	v_mov_b32_e32 v50, 0
	ds_read_b128 v[34:37], v50 offset:128
	ds_read_b128 v[38:41], v50 offset:144
	;; [unrolled: 1-line block ×4, first 2 shown]
	s_waitcnt lgkmcnt(3)
	v_fmac_f32_e32 v119, v34, v33
	v_fmac_f32_e32 v119, v35, v31
	v_fmac_f32_e32 v119, v36, v32
	v_fmac_f32_e32 v119, v37, v29
	s_waitcnt lgkmcnt(2)
	v_fmac_f32_e32 v119, v38, v30
	v_fmac_f32_e32 v119, v39, v27
	v_fmac_f32_e32 v119, v40, v28
	v_fmac_f32_e32 v119, v41, v25
	;; [unrolled: 5-line block ×3, first 2 shown]
	s_waitcnt lgkmcnt(0)
	v_fmac_f32_e32 v119, v46, v22
	ds_read_b128 v[22:25], v50 offset:192
	v_fmac_f32_e32 v119, v47, v19
	v_fmac_f32_e32 v119, v48, v20
	;; [unrolled: 1-line block ×3, first 2 shown]
	ds_read_b128 v[18:21], v50 offset:208
	s_waitcnt lgkmcnt(1)
	v_fmac_f32_e32 v119, v22, v17
	v_fmac_f32_e32 v119, v23, v15
	;; [unrolled: 1-line block ×4, first 2 shown]
	s_waitcnt lgkmcnt(0)
	v_pk_mul_f32 v[2:3], v[18:19], v[12:13]
	ds_read_b128 v[12:15], v50 offset:224
	v_add_f32_e32 v2, v119, v2
	v_add_f32_e32 v16, v2, v3
	v_pk_mul_f32 v[2:3], v[20:21], v[10:11]
	v_add_f32_e32 v2, v16, v2
	ds_read_b128 v[16:19], v50 offset:240
	v_add_f32_e32 v10, v2, v3
	s_waitcnt lgkmcnt(1)
	v_pk_mul_f32 v[2:3], v[12:13], v[8:9]
	v_add_f32_e32 v2, v10, v2
	v_add_f32_e32 v8, v2, v3
	v_pk_mul_f32 v[2:3], v[14:15], v[6:7]
	v_add_f32_e32 v2, v8, v2
	v_add_f32_e32 v6, v2, v3
	s_waitcnt lgkmcnt(0)
	v_pk_mul_f32 v[2:3], v[16:17], v[4:5]
	v_add_f32_e32 v2, v6, v2
	v_add_f32_e32 v2, v2, v3
	v_pk_mul_f32 v[0:1], v[18:19], v[0:1]
	v_add_f32_e32 v0, v2, v0
	v_add_f32_e32 v119, v0, v1
.LBB309_15:
	s_movk_i32 s4, 0x3f80
	s_movk_i32 s5, 0x100
	s_mov_b32 s8, 64
	s_branch .LBB309_17
.LBB309_16:                             ;   in Loop: Header=BB309_17 Depth=1
	s_addk_i32 s4, 0x2000
	s_addk_i32 s5, 0x100
	s_add_i32 s8, s8, 64
	s_cmpk_eq_u32 s4, 0xdf80
	s_cbranch_scc1 .LBB309_19
.LBB309_17:                             ; =>This Inner Loop Header: Depth=1
	s_cmp_le_i32 s33, s8
	s_cbranch_scc1 .LBB309_16
; %bb.18:                               ;   in Loop: Header=BB309_17 Depth=1
	s_add_i32 s9, s4, 0xffffe080
	s_cmp_lt_i32 s9, s10
	s_cselect_b32 s12, s9, s11
	s_ashr_i32 s13, s12, 31
	s_lshl_b64 s[12:13], s[12:13], 1
	s_add_i32 s9, s4, 0xffffe100
	s_cmp_lt_i32 s9, s10
	v_add_co_u32_e32 v2, vcc, s12, v117
	s_cselect_b32 s12, s9, s11
	v_mov_b32_e32 v0, s13
	s_ashr_i32 s13, s12, 31
	s_lshl_b64 s[12:13], s[12:13], 1
	s_add_i32 s9, s4, 0xffffe180
	v_addc_co_u32_e32 v3, vcc, v118, v0, vcc
	s_cmp_lt_i32 s9, s10
	v_add_co_u32_e32 v0, vcc, s12, v117
	s_cselect_b32 s12, s9, s11
	v_mov_b32_e32 v1, s13
	s_ashr_i32 s13, s12, 31
	s_lshl_b64 s[12:13], s[12:13], 1
	s_add_i32 s9, s4, 0xffffe200
	v_addc_co_u32_e32 v1, vcc, v118, v1, vcc
	;; [unrolled: 8-line block ×21, first 2 shown]
	s_cmp_lt_i32 s9, s10
	global_load_ushort v120, v[2:3], off
	global_load_ushort v122, v[4:5], off
	;; [unrolled: 1-line block ×4, first 2 shown]
	v_add_co_u32_e32 v42, vcc, s12, v117
	s_cselect_b32 s12, s9, s11
	v_mov_b32_e32 v43, s13
	s_ashr_i32 s13, s12, 31
	s_lshl_b64 s[12:13], s[12:13], 1
	s_add_i32 s9, s4, 0xffffec00
	v_addc_co_u32_e32 v43, vcc, v118, v43, vcc
	s_cmp_lt_i32 s9, s10
	v_add_co_u32_e32 v44, vcc, s12, v117
	s_cselect_b32 s12, s9, s11
	v_mov_b32_e32 v45, s13
	s_ashr_i32 s13, s12, 31
	s_lshl_b64 s[12:13], s[12:13], 1
	s_add_i32 s9, s4, 0xffffec80
	v_addc_co_u32_e32 v45, vcc, v118, v45, vcc
	s_cmp_lt_i32 s9, s10
	;; [unrolled: 8-line block ×8, first 2 shown]
	global_load_ushort v121, v[0:1], off
	v_add_co_u32_e32 v58, vcc, s12, v117
	s_cselect_b32 s12, s9, s11
	v_mov_b32_e32 v59, s13
	s_ashr_i32 s13, s12, 31
	s_lshl_b64 s[12:13], s[12:13], 1
	s_add_i32 s9, s4, 0xfffff000
	v_addc_co_u32_e32 v59, vcc, v118, v59, vcc
	s_cmp_lt_i32 s9, s10
	v_add_co_u32_e32 v60, vcc, s12, v117
	s_cselect_b32 s12, s9, s11
	global_load_ushort v125, v[10:11], off
	global_load_ushort v126, v[12:13], off
	v_mov_b32_e32 v61, s13
	s_ashr_i32 s13, s12, 31
	global_load_ushort v127, v[14:15], off
	global_load_ushort v128, v[16:17], off
	global_load_ushort v129, v[18:19], off
	s_lshl_b64 s[12:13], s[12:13], 1
	s_add_i32 s9, s4, 0xfffff080
	v_addc_co_u32_e32 v61, vcc, v118, v61, vcc
	s_cmp_lt_i32 s9, s10
	v_add_co_u32_e32 v62, vcc, s12, v117
	s_cselect_b32 s12, s9, s11
	v_mov_b32_e32 v63, s13
	s_ashr_i32 s13, s12, 31
	s_lshl_b64 s[12:13], s[12:13], 1
	s_add_i32 s9, s4, 0xfffff100
	v_addc_co_u32_e32 v63, vcc, v118, v63, vcc
	s_cmp_lt_i32 s9, s10
	v_add_co_u32_e32 v64, vcc, s12, v117
	s_cselect_b32 s12, s9, s11
	v_mov_b32_e32 v65, s13
	s_ashr_i32 s13, s12, 31
	global_load_ushort v130, v[20:21], off
	global_load_ushort v131, v[22:23], off
	s_lshl_b64 s[12:13], s[12:13], 1
	s_add_i32 s9, s4, 0xfffff180
	v_addc_co_u32_e32 v65, vcc, v118, v65, vcc
	s_cmp_lt_i32 s9, s10
	global_load_ushort v132, v[24:25], off
	global_load_ushort v133, v[26:27], off
	v_add_co_u32_e32 v66, vcc, s12, v117
	s_cselect_b32 s12, s9, s11
	v_mov_b32_e32 v67, s13
	s_ashr_i32 s13, s12, 31
	s_lshl_b64 s[12:13], s[12:13], 1
	s_add_i32 s9, s4, 0xfffff200
	v_addc_co_u32_e32 v67, vcc, v118, v67, vcc
	s_cmp_lt_i32 s9, s10
	v_add_co_u32_e32 v68, vcc, s12, v117
	s_cselect_b32 s12, s9, s11
	v_mov_b32_e32 v69, s13
	s_ashr_i32 s13, s12, 31
	global_load_ushort v134, v[28:29], off
	global_load_ushort v135, v[30:31], off
	s_lshl_b64 s[12:13], s[12:13], 1
	s_add_i32 s9, s4, 0xfffff280
	v_addc_co_u32_e32 v69, vcc, v118, v69, vcc
	s_cmp_lt_i32 s9, s10
	v_add_co_u32_e32 v70, vcc, s12, v117
	s_cselect_b32 s12, s9, s11
	v_mov_b32_e32 v71, s13
	s_ashr_i32 s13, s12, 31
	s_lshl_b64 s[12:13], s[12:13], 1
	s_add_i32 s9, s4, 0xfffff300
	global_load_ushort v28, v[32:33], off
	global_load_ushort v29, v[34:35], off
	;; [unrolled: 1-line block ×4, first 2 shown]
	v_addc_co_u32_e32 v71, vcc, v118, v71, vcc
	s_cmp_lt_i32 s9, s10
	v_add_co_u32_e32 v72, vcc, s12, v117
	s_cselect_b32 s12, s9, s11
	v_mov_b32_e32 v73, s13
	s_ashr_i32 s13, s12, 31
	s_lshl_b64 s[12:13], s[12:13], 1
	s_add_i32 s9, s4, 0xfffff380
	v_addc_co_u32_e32 v73, vcc, v118, v73, vcc
	s_cmp_lt_i32 s9, s10
	v_add_co_u32_e32 v74, vcc, s12, v117
	s_cselect_b32 s12, s9, s11
	v_mov_b32_e32 v75, s13
	s_ashr_i32 s13, s12, 31
	s_lshl_b64 s[12:13], s[12:13], 1
	s_add_i32 s9, s4, 0xfffff400
	v_addc_co_u32_e32 v75, vcc, v118, v75, vcc
	s_cmp_lt_i32 s9, s10
	v_add_co_u32_e32 v76, vcc, s12, v117
	s_cselect_b32 s12, s9, s11
	global_load_ushort v32, v[40:41], off
	global_load_ushort v33, v[42:43], off
	v_mov_b32_e32 v77, s13
	s_ashr_i32 s13, s12, 31
	s_lshl_b64 s[12:13], s[12:13], 1
	s_add_i32 s9, s4, 0xfffff480
	v_addc_co_u32_e32 v77, vcc, v118, v77, vcc
	s_cmp_lt_i32 s9, s10
	v_add_co_u32_e32 v78, vcc, s12, v117
	s_cselect_b32 s12, s9, s11
	v_mov_b32_e32 v79, s13
	s_ashr_i32 s13, s12, 31
	global_load_ushort v36, v[44:45], off
	s_lshl_b64 s[12:13], s[12:13], 1
	s_add_i32 s9, s4, 0xfffff500
	v_mov_b32_e32 v35, s5
	v_addc_co_u32_e32 v79, vcc, v118, v79, vcc
	s_cmp_lt_i32 s9, s10
	ds_read_b128 v[12:15], v35
	ds_read_b128 v[16:19], v35 offset:16
	global_load_ushort v37, v[46:47], off
	v_add_co_u32_e32 v80, vcc, s12, v117
	s_cselect_b32 s12, s9, s11
	v_mov_b32_e32 v81, s13
	s_ashr_i32 s13, s12, 31
	s_lshl_b64 s[12:13], s[12:13], 1
	s_add_i32 s9, s4, 0xfffff580
	v_addc_co_u32_e32 v81, vcc, v118, v81, vcc
	s_cmp_lt_i32 s9, s10
	s_waitcnt vmcnt(23)
	v_lshlrev_b32_e32 v34, 16, v120
	v_add_co_u32_e32 v82, vcc, s12, v117
	s_cselect_b32 s12, s9, s11
	ds_read_b128 v[20:23], v35 offset:32
	ds_read_b128 v[24:27], v35 offset:48
	s_waitcnt lgkmcnt(3)
	v_fmac_f32_e32 v119, v12, v34
	global_load_ushort v34, v[48:49], off
	global_load_ushort v38, v[50:51], off
	;; [unrolled: 1-line block ×6, first 2 shown]
	v_mov_b32_e32 v83, s13
	s_ashr_i32 s13, s12, 31
	s_lshl_b64 s[12:13], s[12:13], 1
	s_add_i32 s9, s4, 0xfffff600
	v_addc_co_u32_e32 v83, vcc, v118, v83, vcc
	s_cmp_lt_i32 s9, s10
	v_add_co_u32_e32 v84, vcc, s12, v117
	s_cselect_b32 s12, s9, s11
	v_mov_b32_e32 v85, s13
	s_ashr_i32 s13, s12, 31
	s_lshl_b64 s[12:13], s[12:13], 1
	s_add_i32 s9, s4, 0xfffff680
	v_addc_co_u32_e32 v85, vcc, v118, v85, vcc
	s_cmp_lt_i32 s9, s10
	v_add_co_u32_e32 v86, vcc, s12, v117
	s_cselect_b32 s12, s9, s11
	;; [unrolled: 8-line block ×7, first 2 shown]
	v_mov_b32_e32 v97, s13
	s_ashr_i32 s13, s12, 31
	s_lshl_b64 s[12:13], s[12:13], 1
	s_add_i32 s9, s4, 0xfffff980
	v_addc_co_u32_e32 v97, vcc, v118, v97, vcc
	s_cmp_lt_i32 s9, s10
	s_waitcnt vmcnt(25)
	v_lshlrev_b32_e32 v12, 16, v121
	v_add_co_u32_e32 v98, vcc, s12, v117
	s_cselect_b32 s12, s9, s11
	v_fmac_f32_e32 v119, v13, v12
	v_lshlrev_b32_e32 v12, 16, v122
	v_mov_b32_e32 v99, s13
	s_ashr_i32 s13, s12, 31
	v_fmac_f32_e32 v119, v14, v12
	v_lshlrev_b32_e32 v12, 16, v123
	s_lshl_b64 s[12:13], s[12:13], 1
	s_add_i32 s9, s4, 0xfffffa00
	v_fmac_f32_e32 v119, v15, v12
	v_lshlrev_b32_e32 v12, 16, v124
	v_addc_co_u32_e32 v99, vcc, v118, v99, vcc
	s_cmp_lt_i32 s9, s10
	s_waitcnt lgkmcnt(2)
	v_fmac_f32_e32 v119, v16, v12
	s_waitcnt vmcnt(24)
	v_lshlrev_b32_e32 v12, 16, v125
	v_add_co_u32_e32 v100, vcc, s12, v117
	s_cselect_b32 s12, s9, s11
	v_fmac_f32_e32 v119, v17, v12
	s_waitcnt vmcnt(23)
	v_lshlrev_b32_e32 v12, 16, v126
	v_mov_b32_e32 v101, s13
	s_ashr_i32 s13, s12, 31
	v_fmac_f32_e32 v119, v18, v12
	s_waitcnt vmcnt(22)
	v_lshlrev_b32_e32 v12, 16, v127
	s_lshl_b64 s[12:13], s[12:13], 1
	s_add_i32 s9, s4, 0xfffffa80
	v_fmac_f32_e32 v119, v19, v12
	s_waitcnt vmcnt(21)
	v_lshlrev_b32_e32 v12, 16, v128
	v_addc_co_u32_e32 v101, vcc, v118, v101, vcc
	s_cmp_lt_i32 s9, s10
	s_waitcnt lgkmcnt(1)
	v_fmac_f32_e32 v119, v20, v12
	global_load_ushort v20, v[60:61], off
	v_add_co_u32_e32 v102, vcc, s12, v117
	s_cselect_b32 s12, s9, s11
	v_mov_b32_e32 v103, s13
	s_ashr_i32 s13, s12, 31
	s_lshl_b64 s[12:13], s[12:13], 1
	s_add_i32 s9, s4, 0xfffffb00
	s_waitcnt vmcnt(21)
	v_lshlrev_b32_e32 v12, 16, v129
	v_addc_co_u32_e32 v103, vcc, v118, v103, vcc
	s_cmp_lt_i32 s9, s10
	v_fmac_f32_e32 v119, v21, v12
	global_load_ushort v21, v[62:63], off
	v_add_co_u32_e32 v104, vcc, s12, v117
	s_cselect_b32 s12, s9, s11
	s_waitcnt vmcnt(21)
	v_lshlrev_b32_e32 v12, 16, v130
	global_load_ushort v43, v[64:65], off
	v_mov_b32_e32 v105, s13
	s_ashr_i32 s13, s12, 31
	v_fmac_f32_e32 v119, v22, v12
	global_load_ushort v22, v[66:67], off
	s_waitcnt vmcnt(22)
	v_lshlrev_b32_e32 v12, 16, v131
	s_lshl_b64 s[12:13], s[12:13], 1
	s_add_i32 s9, s4, 0xfffffb80
	v_fmac_f32_e32 v119, v23, v12
	global_load_ushort v23, v[68:69], off
	global_load_ushort v44, v[70:71], off
	v_addc_co_u32_e32 v105, vcc, v118, v105, vcc
	s_cmp_lt_i32 s9, s10
	s_waitcnt vmcnt(23)
	v_lshlrev_b32_e32 v12, 16, v132
	v_add_co_u32_e32 v108, vcc, s12, v117
	s_cselect_b32 s12, s9, s11
	s_waitcnt lgkmcnt(0)
	v_fmac_f32_e32 v119, v24, v12
	global_load_ushort v24, v[72:73], off
	global_load_ushort v45, v[74:75], off
	v_mov_b32_e32 v106, s13
	s_ashr_i32 s13, s12, 31
	s_waitcnt vmcnt(24)
	v_lshlrev_b32_e32 v12, 16, v133
	s_lshl_b64 s[12:13], s[12:13], 1
	s_add_i32 s9, s4, 0xfffffc00
	v_fmac_f32_e32 v119, v25, v12
	global_load_ushort v25, v[76:77], off
	v_addc_co_u32_e32 v109, vcc, v118, v106, vcc
	s_cmp_lt_i32 s9, s10
	v_add_co_u32_e32 v106, vcc, s12, v117
	s_cselect_b32 s12, s9, s11
	s_waitcnt vmcnt(24)
	v_lshlrev_b32_e32 v12, 16, v134
	v_mov_b32_e32 v107, s13
	s_ashr_i32 s13, s12, 31
	v_fmac_f32_e32 v119, v26, v12
	global_load_ushort v26, v[78:79], off
	s_waitcnt vmcnt(24)
	v_lshlrev_b32_e32 v12, 16, v135
	s_lshl_b64 s[12:13], s[12:13], 1
	s_add_i32 s9, s4, 0xfffffc80
	v_fmac_f32_e32 v119, v27, v12
	ds_read_b128 v[12:15], v35 offset:64
	ds_read_b128 v[16:19], v35 offset:80
	v_addc_co_u32_e32 v107, vcc, v118, v107, vcc
	s_cmp_lt_i32 s9, s10
	global_load_ushort v46, v[80:81], off
	global_load_ushort v27, v[82:83], off
	;; [unrolled: 1-line block ×4, first 2 shown]
	v_add_co_u32_e32 v112, vcc, s12, v117
	s_cselect_b32 s12, s9, s11
	v_mov_b32_e32 v110, s13
	s_ashr_i32 s13, s12, 31
	s_lshl_b64 s[12:13], s[12:13], 1
	s_add_i32 s9, s4, 0xfffffd00
	s_waitcnt vmcnt(27)
	v_lshlrev_b32_e32 v28, 16, v28
	v_addc_co_u32_e32 v113, vcc, v118, v110, vcc
	s_cmp_lt_i32 s9, s10
	s_waitcnt lgkmcnt(1)
	v_fmac_f32_e32 v119, v12, v28
	global_load_ushort v28, v[88:89], off
	v_add_co_u32_e32 v110, vcc, s12, v117
	s_cselect_b32 s12, s9, s11
	s_waitcnt vmcnt(27)
	v_lshlrev_b32_e32 v12, 16, v29
	global_load_ushort v29, v[90:91], off
	global_load_ushort v49, v[92:93], off
	v_mov_b32_e32 v111, s13
	s_ashr_i32 s13, s12, 31
	s_lshl_b64 s[12:13], s[12:13], 1
	s_add_i32 s9, s4, 0xfffffd80
	v_addc_co_u32_e32 v111, vcc, v118, v111, vcc
	s_cmp_lt_i32 s9, s10
	v_add_co_u32_e32 v114, vcc, s12, v117
	s_cselect_b32 s12, s9, s11
	v_mov_b32_e32 v115, s13
	s_ashr_i32 s13, s12, 31
	v_fmac_f32_e32 v119, v13, v12
	s_waitcnt vmcnt(28)
	v_lshlrev_b32_e32 v12, 16, v30
	global_load_ushort v30, v[94:95], off
	s_lshl_b64 s[12:13], s[12:13], 1
	s_add_i32 s9, s4, 0xfffffe00
	v_fmac_f32_e32 v119, v14, v12
	s_waitcnt vmcnt(28)
	v_lshlrev_b32_e32 v12, 16, v31
	global_load_ushort v31, v[96:97], off
	v_addc_co_u32_e32 v115, vcc, v118, v115, vcc
	s_cmp_lt_i32 s9, s10
	v_fmac_f32_e32 v119, v15, v12
	s_waitcnt vmcnt(28)
	v_lshlrev_b32_e32 v12, 16, v32
	global_load_ushort v32, v[98:99], off
	global_load_ushort v50, v[100:101], off
	v_add_co_u32_e32 v0, vcc, s12, v117
	s_cselect_b32 s12, s9, s11
	v_mov_b32_e32 v2, s13
	s_ashr_i32 s13, s12, 31
	s_lshl_b64 s[12:13], s[12:13], 1
	s_add_i32 s9, s4, 0xfffffe80
	s_waitcnt lgkmcnt(0)
	v_fmac_f32_e32 v119, v16, v12
	s_waitcnt vmcnt(29)
	v_lshlrev_b32_e32 v12, 16, v33
	global_load_ushort v33, v[102:103], off
	global_load_ushort v51, v[104:105], off
	;; [unrolled: 1-line block ×3, first 2 shown]
	v_addc_co_u32_e32 v1, vcc, v118, v2, vcc
	s_cmp_lt_i32 s9, s10
	v_add_co_u32_e32 v2, vcc, s12, v117
	s_cselect_b32 s12, s9, s11
	v_mov_b32_e32 v3, s13
	s_ashr_i32 s13, s12, 31
	v_fmac_f32_e32 v119, v17, v12
	s_waitcnt vmcnt(31)
	v_lshlrev_b32_e32 v12, 16, v36
	global_load_ushort v36, v[106:107], off
	global_load_ushort v53, v[112:113], off
	s_lshl_b64 s[12:13], s[12:13], 1
	s_add_i32 s9, s4, 0xffffff00
	v_addc_co_u32_e32 v3, vcc, v118, v3, vcc
	s_cmp_lt_i32 s9, s10
	v_fmac_f32_e32 v119, v18, v12
	s_waitcnt vmcnt(32)
	v_lshlrev_b32_e32 v12, 16, v37
	v_add_co_u32_e32 v4, vcc, s12, v117
	s_cselect_b32 s12, s9, s11
	v_fmac_f32_e32 v119, v19, v12
	ds_read_b128 v[12:15], v35 offset:96
	v_mov_b32_e32 v5, s13
	s_ashr_i32 s13, s12, 31
	s_lshl_b64 s[12:13], s[12:13], 1
	s_add_i32 s9, s4, 0xffffff80
	v_addc_co_u32_e32 v5, vcc, v118, v5, vcc
	s_cmp_lt_i32 s9, s10
	global_load_ushort v37, v[110:111], off
	global_load_ushort v54, v[114:115], off
	v_add_co_u32_e32 v8, vcc, s12, v117
	s_cselect_b32 s12, s9, s11
	s_waitcnt vmcnt(33)
	v_lshlrev_b32_e32 v34, 16, v34
	v_mov_b32_e32 v6, s13
	s_ashr_i32 s13, s12, 31
	s_waitcnt lgkmcnt(0)
	v_fmac_f32_e32 v119, v12, v34
	s_waitcnt vmcnt(32)
	v_lshlrev_b32_e32 v12, 16, v38
	s_lshl_b64 s[12:13], s[12:13], 1
	ds_read_b128 v[16:19], v35 offset:112
	v_fmac_f32_e32 v119, v13, v12
	global_load_ushort v12, v[0:1], off
	global_load_ushort v13, v[2:3], off
	v_addc_co_u32_e32 v9, vcc, v118, v6, vcc
	s_cmp_lt_i32 s4, s10
	v_add_co_u32_e32 v6, vcc, s12, v117
	s_cselect_b32 s12, s4, s11
	s_waitcnt vmcnt(33)
	v_lshlrev_b32_e32 v0, 16, v39
	v_mov_b32_e32 v7, s13
	s_ashr_i32 s13, s12, 31
	v_fmac_f32_e32 v119, v14, v0
	global_load_ushort v14, v[4:5], off
	global_load_ushort v34, v[8:9], off
	v_addc_co_u32_e32 v7, vcc, v118, v7, vcc
	s_lshl_b64 s[12:13], s[12:13], 1
	s_waitcnt vmcnt(34)
	v_lshlrev_b32_e32 v0, 16, v40
	v_mov_b32_e32 v11, s13
	v_add_co_u32_e32 v10, vcc, s12, v117
	v_fmac_f32_e32 v119, v15, v0
	s_waitcnt vmcnt(33)
	v_lshlrev_b32_e32 v0, 16, v41
	v_addc_co_u32_e32 v11, vcc, v118, v11, vcc
	s_waitcnt lgkmcnt(0)
	v_fmac_f32_e32 v119, v16, v0
	global_load_ushort v15, v[6:7], off
	global_load_ushort v16, v[10:11], off
	s_waitcnt vmcnt(34)
	v_lshlrev_b32_e32 v0, 16, v42
	v_fmac_f32_e32 v119, v17, v0
	s_waitcnt vmcnt(33)
	v_lshlrev_b32_e32 v0, 16, v20
	v_fmac_f32_e32 v119, v18, v0
	ds_read_b128 v[0:3], v35 offset:128
	s_waitcnt vmcnt(32)
	v_lshlrev_b32_e32 v4, 16, v21
	v_fmac_f32_e32 v119, v19, v4
	ds_read_b128 v[4:7], v35 offset:144
	s_waitcnt vmcnt(31)
	v_lshlrev_b32_e32 v8, 16, v43
	s_waitcnt lgkmcnt(1)
	v_fmac_f32_e32 v119, v0, v8
	s_waitcnt vmcnt(30)
	v_lshlrev_b32_e32 v0, 16, v22
	v_fmac_f32_e32 v119, v1, v0
	s_waitcnt vmcnt(29)
	v_lshlrev_b32_e32 v0, 16, v23
	;; [unrolled: 3-line block ×4, first 2 shown]
	s_waitcnt lgkmcnt(0)
	v_fmac_f32_e32 v119, v4, v0
	s_waitcnt vmcnt(26)
	v_lshlrev_b32_e32 v0, 16, v45
	v_fmac_f32_e32 v119, v5, v0
	s_waitcnt vmcnt(25)
	v_lshlrev_b32_e32 v0, 16, v25
	v_fmac_f32_e32 v119, v6, v0
	ds_read_b128 v[0:3], v35 offset:160
	s_waitcnt vmcnt(24)
	v_lshlrev_b32_e32 v4, 16, v26
	v_fmac_f32_e32 v119, v7, v4
	ds_read_b128 v[4:7], v35 offset:176
	s_waitcnt vmcnt(23)
	v_lshlrev_b32_e32 v8, 16, v46
	s_waitcnt lgkmcnt(1)
	v_fmac_f32_e32 v119, v0, v8
	s_waitcnt vmcnt(22)
	v_lshlrev_b32_e32 v0, 16, v27
	v_fmac_f32_e32 v119, v1, v0
	s_waitcnt vmcnt(21)
	v_lshlrev_b32_e32 v0, 16, v47
	;; [unrolled: 3-line block ×4, first 2 shown]
	s_waitcnt lgkmcnt(0)
	v_fmac_f32_e32 v119, v4, v0
	s_waitcnt vmcnt(18)
	v_lshlrev_b32_e32 v0, 16, v29
	v_fmac_f32_e32 v119, v5, v0
	s_waitcnt vmcnt(17)
	v_lshlrev_b32_e32 v0, 16, v49
	v_fmac_f32_e32 v119, v6, v0
	ds_read_b128 v[0:3], v35 offset:192
	s_waitcnt vmcnt(16)
	v_lshlrev_b32_e32 v4, 16, v30
	v_fmac_f32_e32 v119, v7, v4
	ds_read_b128 v[4:7], v35 offset:208
	s_waitcnt vmcnt(15)
	v_lshlrev_b32_e32 v8, 16, v31
	s_waitcnt lgkmcnt(1)
	v_fmac_f32_e32 v119, v0, v8
	s_waitcnt vmcnt(14)
	v_lshlrev_b32_e32 v0, 16, v32
	v_fmac_f32_e32 v119, v1, v0
	s_waitcnt vmcnt(13)
	v_lshlrev_b32_e32 v0, 16, v50
	;; [unrolled: 3-line block ×4, first 2 shown]
	v_lshlrev_b32_e32 v0, 16, v51
	s_waitcnt lgkmcnt(0)
	v_pk_mul_f32 v[0:1], v[4:5], v[0:1]
	v_add_f32_e32 v0, v119, v0
	v_add_f32_e32 v2, v0, v1
	s_waitcnt vmcnt(8)
	v_lshlrev_b32_e32 v1, 16, v53
	v_lshlrev_b32_e32 v0, 16, v36
	v_pk_mul_f32 v[4:5], v[6:7], v[0:1]
	v_add_f32_e32 v4, v2, v4
	ds_read_b128 v[0:3], v35 offset:224
	s_waitcnt vmcnt(6)
	v_lshlrev_b32_e32 v9, 16, v54
	v_lshlrev_b32_e32 v8, 16, v37
	v_add_f32_e32 v10, v4, v5
	ds_read_b128 v[4:7], v35 offset:240
	s_waitcnt lgkmcnt(1)
	v_pk_mul_f32 v[0:1], v[0:1], v[8:9]
	v_add_f32_e32 v0, v10, v0
	v_add_f32_e32 v8, v0, v1
	s_waitcnt vmcnt(4)
	v_lshlrev_b32_e32 v1, 16, v13
	v_lshlrev_b32_e32 v0, 16, v12
	v_pk_mul_f32 v[0:1], v[2:3], v[0:1]
	v_add_f32_e32 v0, v8, v0
	v_add_f32_e32 v2, v0, v1
	s_waitcnt vmcnt(2)
	v_lshlrev_b32_e32 v1, 16, v34
	v_lshlrev_b32_e32 v0, 16, v14
	s_waitcnt lgkmcnt(0)
	v_pk_mul_f32 v[0:1], v[4:5], v[0:1]
	v_add_f32_e32 v0, v2, v0
	v_add_f32_e32 v2, v0, v1
	s_waitcnt vmcnt(1)
	v_lshlrev_b32_e32 v0, 16, v15
	s_waitcnt vmcnt(0)
	v_lshlrev_b32_e32 v1, 16, v16
	v_pk_mul_f32 v[0:1], v[6:7], v[0:1]
	v_add_f32_e32 v0, v2, v0
	v_add_f32_e32 v119, v0, v1
	s_branch .LBB309_16
.LBB309_19:
	v_mov_b32_e32 v0, 0
	ds_read_b32 v0, v0 offset:1536
	s_cmp_lg_u64 s[2:3], 0
	s_cbranch_scc0 .LBB309_28
; %bb.20:
	s_load_dword s4, s[2:3], 0x0
	s_waitcnt lgkmcnt(0)
	v_div_scale_f32 v1, s[2:3], s4, s4, 1.0
	v_rcp_f32_e32 v2, v1
	v_div_scale_f32 v3, vcc, 1.0, s4, 1.0
	v_fma_f32 v4, -v1, v2, 1.0
	v_fmac_f32_e32 v2, v4, v2
	v_mul_f32_e32 v4, v3, v2
	v_fma_f32 v5, -v1, v4, v3
	v_fmac_f32_e32 v4, v5, v2
	v_fma_f32 v1, -v1, v4, v3
	v_div_fmas_f32 v1, v1, v2, v4
	v_div_fixup_f32 v1, v1, s4, 1.0
	s_andn2_b64 vcc, exec, s[28:29]
	s_cbranch_vccnz .LBB309_22
.LBB309_21:
	s_add_u32 s2, s26, s30
	s_addc_u32 s3, s27, s31
	s_load_dword s24, s[2:3], 0x0
	s_mov_b32 s25, 0
.LBB309_22:
	s_waitcnt lgkmcnt(0)
	v_add_f32_e32 v0, 0x358637bd, v0
	v_div_scale_f32 v2, s[2:3], v0, v0, 1.0
	v_rcp_f32_e32 v3, v2
	v_div_scale_f32 v4, vcc, 1.0, v0, 1.0
	s_mov_b32 s2, 0x7f800000
	v_fma_f32 v5, -v2, v3, 1.0
	v_fmac_f32_e32 v3, v5, v3
	v_mul_f32_e32 v5, v4, v3
	v_fma_f32 v6, -v2, v5, v4
	v_fmac_f32_e32 v5, v6, v3
	v_fma_f32 v2, -v2, v5, v4
	v_div_fmas_f32 v2, v2, v3, v5
	v_div_fixup_f32 v0, v2, v0, 1.0
	v_mul_f32_e32 v0, v119, v0
	v_mul_f32_e32 v1, v0, v1
	v_and_b32_e32 v0, 0x7f800000, v1
	v_cmp_ne_u32_e32 vcc, s2, v0
                                        ; implicit-def: $vgpr0
	s_and_saveexec_b64 s[2:3], vcc
	s_xor_b64 s[2:3], exec, s[2:3]
; %bb.23:
	v_bfe_u32 v0, v1, 16, 1
	s_movk_i32 s4, 0x7fff
	v_add3_u32 v0, v1, v0, s4
                                        ; implicit-def: $vgpr1
; %bb.24:
	s_andn2_saveexec_b64 s[2:3], s[2:3]
; %bb.25:
	v_mov_b32_e32 v0, 0
	v_or_b32_e32 v2, 0x10000, v1
	v_cmp_eq_u32_sdwa vcc, v1, v0 src0_sel:WORD_0 src1_sel:DWORD
	v_cndmask_b32_e32 v0, v2, v1, vcc
; %bb.26:
	s_or_b64 exec, exec, s[2:3]
	s_mul_i32 s2, s7, s25
	s_mul_hi_u32 s3, s7, s24
	s_add_i32 s3, s3, s2
	s_mul_i32 s2, s7, s24
	s_lshl_b64 s[2:3], s[2:3], 8
	s_add_u32 s2, s0, s2
	s_mov_b32 s7, 0
	s_addc_u32 s3, s1, s3
	s_lshl_b64 s[0:1], s[6:7], 8
	s_add_u32 s0, s2, s0
	s_addc_u32 s1, s3, s1
	global_store_short_d16_hi v116, v0, s[0:1]
	s_endpgm
.LBB309_27:
	s_mov_b64 s[2:3], 0
	s_branch .LBB309_2
.LBB309_28:
	v_mov_b32_e32 v1, 1.0
	s_andn2_b64 vcc, exec, s[28:29]
	s_cbranch_vccz .LBB309_21
	s_branch .LBB309_22
	.section	.rodata,"a",@progbits
	.p2align	6, 0x0
	.amdhsa_kernel _Z35paged_attention_ll4mi_reduce_kernelI14__hip_bfloat16S0_Li128ELi128ELi256ELi6EEvPT0_PKfS4_PKT_PKiS9_iS4_
		.amdhsa_group_segment_fixed_size 1540
		.amdhsa_private_segment_fixed_size 0
		.amdhsa_kernarg_size 320
		.amdhsa_user_sgpr_count 6
		.amdhsa_user_sgpr_private_segment_buffer 1
		.amdhsa_user_sgpr_dispatch_ptr 0
		.amdhsa_user_sgpr_queue_ptr 0
		.amdhsa_user_sgpr_kernarg_segment_ptr 1
		.amdhsa_user_sgpr_dispatch_id 0
		.amdhsa_user_sgpr_flat_scratch_init 0
		.amdhsa_user_sgpr_kernarg_preload_length 0
		.amdhsa_user_sgpr_kernarg_preload_offset 0
		.amdhsa_user_sgpr_private_segment_size 0
		.amdhsa_uses_dynamic_stack 0
		.amdhsa_system_sgpr_private_segment_wavefront_offset 0
		.amdhsa_system_sgpr_workgroup_id_x 1
		.amdhsa_system_sgpr_workgroup_id_y 1
		.amdhsa_system_sgpr_workgroup_id_z 0
		.amdhsa_system_sgpr_workgroup_info 0
		.amdhsa_system_vgpr_workitem_id 0
		.amdhsa_next_free_vgpr 136
		.amdhsa_next_free_sgpr 41
		.amdhsa_accum_offset 136
		.amdhsa_reserve_vcc 1
		.amdhsa_reserve_flat_scratch 0
		.amdhsa_float_round_mode_32 0
		.amdhsa_float_round_mode_16_64 0
		.amdhsa_float_denorm_mode_32 3
		.amdhsa_float_denorm_mode_16_64 3
		.amdhsa_dx10_clamp 1
		.amdhsa_ieee_mode 1
		.amdhsa_fp16_overflow 0
		.amdhsa_tg_split 0
		.amdhsa_exception_fp_ieee_invalid_op 0
		.amdhsa_exception_fp_denorm_src 0
		.amdhsa_exception_fp_ieee_div_zero 0
		.amdhsa_exception_fp_ieee_overflow 0
		.amdhsa_exception_fp_ieee_underflow 0
		.amdhsa_exception_fp_ieee_inexact 0
		.amdhsa_exception_int_div_zero 0
	.end_amdhsa_kernel
	.section	.text._Z35paged_attention_ll4mi_reduce_kernelI14__hip_bfloat16S0_Li128ELi128ELi256ELi6EEvPT0_PKfS4_PKT_PKiS9_iS4_,"axG",@progbits,_Z35paged_attention_ll4mi_reduce_kernelI14__hip_bfloat16S0_Li128ELi128ELi256ELi6EEvPT0_PKfS4_PKT_PKiS9_iS4_,comdat
.Lfunc_end309:
	.size	_Z35paged_attention_ll4mi_reduce_kernelI14__hip_bfloat16S0_Li128ELi128ELi256ELi6EEvPT0_PKfS4_PKT_PKiS9_iS4_, .Lfunc_end309-_Z35paged_attention_ll4mi_reduce_kernelI14__hip_bfloat16S0_Li128ELi128ELi256ELi6EEvPT0_PKfS4_PKT_PKiS9_iS4_
                                        ; -- End function
	.section	.AMDGPU.csdata,"",@progbits
; Kernel info:
; codeLenInByte = 10148
; NumSgprs: 45
; NumVgprs: 136
; NumAgprs: 0
; TotalNumVgprs: 136
; ScratchSize: 0
; MemoryBound: 0
; FloatMode: 240
; IeeeMode: 1
; LDSByteSize: 1540 bytes/workgroup (compile time only)
; SGPRBlocks: 5
; VGPRBlocks: 16
; NumSGPRsForWavesPerEU: 45
; NumVGPRsForWavesPerEU: 136
; AccumOffset: 136
; Occupancy: 3
; WaveLimiterHint : 1
; COMPUTE_PGM_RSRC2:SCRATCH_EN: 0
; COMPUTE_PGM_RSRC2:USER_SGPR: 6
; COMPUTE_PGM_RSRC2:TRAP_HANDLER: 0
; COMPUTE_PGM_RSRC2:TGID_X_EN: 1
; COMPUTE_PGM_RSRC2:TGID_Y_EN: 1
; COMPUTE_PGM_RSRC2:TGID_Z_EN: 0
; COMPUTE_PGM_RSRC2:TIDIG_COMP_CNT: 0
; COMPUTE_PGM_RSRC3_GFX90A:ACCUM_OFFSET: 33
; COMPUTE_PGM_RSRC3_GFX90A:TG_SPLIT: 0
	.section	.text._Z35paged_attention_ll4mi_reduce_kernelI14__hip_bfloat16S0_Li128ELi128ELi256ELi7EEvPT0_PKfS4_PKT_PKiS9_iS4_,"axG",@progbits,_Z35paged_attention_ll4mi_reduce_kernelI14__hip_bfloat16S0_Li128ELi128ELi256ELi7EEvPT0_PKfS4_PKT_PKiS9_iS4_,comdat
	.protected	_Z35paged_attention_ll4mi_reduce_kernelI14__hip_bfloat16S0_Li128ELi128ELi256ELi7EEvPT0_PKfS4_PKT_PKiS9_iS4_ ; -- Begin function _Z35paged_attention_ll4mi_reduce_kernelI14__hip_bfloat16S0_Li128ELi128ELi256ELi7EEvPT0_PKfS4_PKT_PKiS9_iS4_
	.globl	_Z35paged_attention_ll4mi_reduce_kernelI14__hip_bfloat16S0_Li128ELi128ELi256ELi7EEvPT0_PKfS4_PKT_PKiS9_iS4_
	.p2align	8
	.type	_Z35paged_attention_ll4mi_reduce_kernelI14__hip_bfloat16S0_Li128ELi128ELi256ELi7EEvPT0_PKfS4_PKT_PKiS9_iS4_,@function
_Z35paged_attention_ll4mi_reduce_kernelI14__hip_bfloat16S0_Li128ELi128ELi256ELi7EEvPT0_PKfS4_PKT_PKiS9_iS4_: ; @_Z35paged_attention_ll4mi_reduce_kernelI14__hip_bfloat16S0_Li128ELi128ELi256ELi7EEvPT0_PKfS4_PKT_PKiS9_iS4_
; %bb.0:
	s_load_dwordx2 s[28:29], s[4:5], 0x28
	s_mov_b32 s18, s7
	s_mov_b64 s[0:1], 0
	s_waitcnt lgkmcnt(0)
	s_cmp_lg_u64 s[28:29], 0
	s_cselect_b64 s[30:31], -1, 0
	s_and_b64 vcc, exec, s[30:31]
	s_cbranch_vccz .LBB310_27
; %bb.1:
	s_add_i32 s2, s18, 1
	s_mov_b32 s3, 0
	s_lshl_b64 s[8:9], s[2:3], 2
	s_add_u32 s8, s28, s8
	s_mov_b32 s19, s3
	s_addc_u32 s9, s29, s9
	s_lshl_b64 s[2:3], s[18:19], 2
	s_add_u32 s2, s28, s2
	s_addc_u32 s3, s29, s3
	s_load_dword s7, s[8:9], 0x0
	s_load_dword s10, s[2:3], 0x0
	s_waitcnt lgkmcnt(0)
	s_sub_i32 s2, s7, s10
	s_cmp_eq_u32 s2, 1
	s_cselect_b64 s[2:3], -1, 0
	s_andn2_b64 vcc, exec, s[0:1]
	s_cbranch_vccnz .LBB310_3
.LBB310_2:
	s_mov_b32 s19, 0
	s_mov_b64 s[2:3], -1
.LBB310_3:
	s_andn2_b64 vcc, exec, s[2:3]
	s_cbranch_vccz .LBB310_5
; %bb.4:
	s_endpgm
.LBB310_5:
	s_load_dwordx4 s[20:23], s[4:5], 0x18
	s_load_dword s8, s[4:5], 0x30
	s_lshl_b64 s[34:35], s[18:19], 2
	v_cmp_lt_u32_e32 vcc, 63, v0
	s_waitcnt lgkmcnt(0)
	s_add_u32 s0, s22, s34
	s_addc_u32 s1, s23, s35
	s_load_dword s42, s[0:1], 0x0
	s_load_dword s7, s[4:5], 0x40
	s_mul_i32 s22, s6, s8
	s_mul_i32 s2, s18, s8
	s_waitcnt lgkmcnt(0)
	s_add_i32 s3, s42, 0xff
	s_ashr_i32 s0, s3, 31
	s_lshr_b32 s0, s0, 24
	s_add_i32 s3, s3, s0
	s_and_saveexec_b64 s[0:1], vcc
	s_xor_b64 s[0:1], exec, s[0:1]
	s_or_saveexec_b64 s[36:37], s[0:1]
	s_ashr_i32 s33, s3, 8
	v_mov_b32_e32 v1, s22
	s_mul_i32 s38, s2, s7
	s_xor_b64 exec, exec, s[36:37]
	s_cbranch_execz .LBB310_9
; %bb.6:
	s_add_i32 s0, s33, -1
	v_or_b32_e32 v3, 64, v0
	v_mov_b32_e32 v1, s0
	v_cmp_gt_u32_e64 s[12:13], s33, v3
	v_cndmask_b32_e64 v4, v1, v3, s[12:13]
	v_or_b32_e32 v3, 0x80, v0
	v_cmp_gt_u32_e64 s[10:11], s33, v3
	v_cndmask_b32_e64 v6, v1, v3, s[10:11]
	v_or_b32_e32 v3, 0xc0, v0
	s_load_dwordx4 s[24:27], s[4:5], 0x8
	v_cmp_gt_u32_e64 s[8:9], s33, v3
	v_cndmask_b32_e64 v8, v1, v3, s[8:9]
	v_or_b32_e32 v3, 0x100, v0
	v_cmp_gt_u32_e64 s[2:3], s33, v3
	s_mov_b32 s39, 0
	v_cndmask_b32_e64 v10, v1, v3, s[2:3]
	v_or_b32_e32 v3, 0x140, v0
	v_cmp_gt_u32_e64 s[0:1], s33, v3
	s_lshl_b64 s[40:41], s[38:39], 2
	s_mov_b32 s23, s39
	v_cmp_gt_u32_e64 s[14:15], s33, v0
	v_cndmask_b32_e64 v12, v1, v3, s[0:1]
	v_or_b32_e32 v3, 0x180, v0
	s_waitcnt lgkmcnt(0)
	s_add_u32 s16, s26, s40
	v_cndmask_b32_e64 v2, v1, v0, s[14:15]
	v_cmp_gt_u32_e32 vcc, s33, v3
	s_addc_u32 s17, s27, s41
	s_lshl_b64 s[26:27], s[22:23], 2
	v_cndmask_b32_e32 v14, v1, v3, vcc
	s_add_u32 s23, s16, s26
	v_ashrrev_i32_e32 v3, 31, v2
	s_addc_u32 s39, s17, s27
	v_lshlrev_b64 v[2:3], 2, v[2:3]
	v_mov_b32_e32 v1, s39
	v_add_co_u32_e64 v16, s[16:17], s23, v2
	v_ashrrev_i32_e32 v5, 31, v4
	v_addc_co_u32_e64 v17, s[16:17], v1, v3, s[16:17]
	v_lshlrev_b64 v[4:5], 2, v[4:5]
	v_add_co_u32_e64 v18, s[16:17], s23, v4
	v_ashrrev_i32_e32 v7, 31, v6
	v_addc_co_u32_e64 v19, s[16:17], v1, v5, s[16:17]
	v_lshlrev_b64 v[6:7], 2, v[6:7]
	;; [unrolled: 4-line block ×6, first 2 shown]
	v_add_co_u32_e64 v28, s[16:17], s23, v14
	v_addc_co_u32_e64 v29, s[16:17], v1, v15, s[16:17]
	global_load_dword v1, v[16:17], off
	global_load_dword v30, v[18:19], off
	;; [unrolled: 1-line block ×7, first 2 shown]
	v_mbcnt_lo_u32_b32 v16, -1, 0
	v_mbcnt_hi_u32_b32 v16, -1, v16
	v_and_b32_e32 v17, 64, v16
	v_add_u32_e32 v17, 64, v17
	v_xor_b32_e32 v19, 32, v16
	v_cmp_lt_i32_e64 s[16:17], v19, v17
	v_cndmask_b32_e64 v19, v16, v19, s[16:17]
	v_lshlrev_b32_e32 v19, 2, v19
	v_xor_b32_e32 v25, 1, v16
	s_waitcnt vmcnt(4)
	v_max3_f32 v18, v1, v30, v31
	s_waitcnt vmcnt(2)
	v_max3_f32 v18, v18, v32, v33
	;; [unrolled: 2-line block ×3, first 2 shown]
	ds_bpermute_b32 v20, v19, v18
	s_waitcnt lgkmcnt(0)
	v_max_f32_e32 v20, v20, v20
	v_max_f32_e32 v18, v18, v20
	v_xor_b32_e32 v20, 16, v16
	v_cmp_lt_i32_e64 s[16:17], v20, v17
	v_cndmask_b32_e64 v20, v16, v20, s[16:17]
	v_lshlrev_b32_e32 v20, 2, v20
	ds_bpermute_b32 v21, v20, v18
	s_waitcnt lgkmcnt(0)
	v_max_f32_e32 v21, v21, v21
	v_max_f32_e32 v18, v18, v21
	v_xor_b32_e32 v21, 8, v16
	v_cmp_lt_i32_e64 s[16:17], v21, v17
	v_cndmask_b32_e64 v21, v16, v21, s[16:17]
	v_lshlrev_b32_e32 v21, 2, v21
	;; [unrolled: 8-line block ×3, first 2 shown]
	ds_bpermute_b32 v23, v22, v18
	s_waitcnt lgkmcnt(0)
	v_max_f32_e32 v23, v23, v23
	v_max_f32_e32 v18, v18, v23
	v_xor_b32_e32 v23, 2, v16
	v_cmp_lt_i32_e64 s[16:17], v23, v17
	v_cndmask_b32_e64 v23, v16, v23, s[16:17]
	s_add_u32 s16, s24, s40
	s_addc_u32 s17, s25, s41
	s_add_u32 s23, s16, s26
	s_addc_u32 s24, s17, s27
	v_mov_b32_e32 v24, s24
	v_add_co_u32_e64 v2, s[16:17], s23, v2
	v_addc_co_u32_e64 v3, s[16:17], v24, v3, s[16:17]
	v_lshlrev_b32_e32 v23, 2, v23
	global_load_dword v24, v[2:3], off
	ds_bpermute_b32 v2, v23, v18
	v_mov_b32_e32 v3, s24
	s_mov_b32 s25, 0x42b17218
	s_waitcnt lgkmcnt(0)
	v_max_f32_e32 v2, v2, v2
	v_max_f32_e32 v18, v18, v2
	v_add_co_u32_e64 v2, s[16:17], s23, v4
	v_addc_co_u32_e64 v3, s[16:17], v3, v5, s[16:17]
	v_cmp_lt_i32_e64 s[16:17], v25, v17
	global_load_dword v26, v[2:3], off
	v_cndmask_b32_e64 v2, v16, v25, s[16:17]
	v_lshlrev_b32_e32 v16, 2, v2
	v_mov_b32_e32 v3, s24
	v_add_co_u32_e64 v2, s[16:17], s23, v6
	v_addc_co_u32_e64 v3, s[16:17], v3, v7, s[16:17]
	global_load_dword v25, v[2:3], off
	v_mov_b32_e32 v3, s24
	v_add_co_u32_e64 v2, s[16:17], s23, v8
	ds_bpermute_b32 v17, v16, v18
	v_addc_co_u32_e64 v3, s[16:17], v3, v9, s[16:17]
	global_load_dword v2, v[2:3], off
	v_mov_b32_e32 v5, s24
	v_add_co_u32_e64 v4, s[16:17], s23, v10
	v_addc_co_u32_e64 v5, s[16:17], v5, v11, s[16:17]
	s_waitcnt lgkmcnt(0)
	v_max_f32_e32 v10, v17, v17
	v_mov_b32_e32 v7, s24
	v_add_co_u32_e64 v6, s[16:17], s23, v12
	v_max_f32_e32 v10, v18, v10
	v_addc_co_u32_e64 v7, s[16:17], v7, v13, s[16:17]
	v_sub_f32_e32 v1, v1, v10
	v_add_co_u32_e64 v8, s[16:17], s23, v14
	s_mov_b32 s23, 0x3fb8aa3b
	v_mul_f32_e32 v3, 0x3fb8aa3b, v1
	v_fma_f32 v11, v1, s23, -v3
	v_rndne_f32_e32 v12, v3
	v_mov_b32_e32 v9, s24
	v_fmac_f32_e32 v11, 0x32a5705f, v1
	v_sub_f32_e32 v3, v3, v12
	v_addc_co_u32_e64 v9, s[16:17], v9, v15, s[16:17]
	v_add_f32_e32 v3, v3, v11
	v_cvt_i32_f32_e32 v11, v12
	global_load_dword v12, v[4:5], off
	global_load_dword v13, v[6:7], off
	;; [unrolled: 1-line block ×3, first 2 shown]
	v_sub_f32_e32 v5, v30, v10
	v_mul_f32_e32 v6, 0x3fb8aa3b, v5
	v_fma_f32 v7, v5, s23, -v6
	v_rndne_f32_e32 v8, v6
	v_exp_f32_e32 v3, v3
	v_fmac_f32_e32 v7, 0x32a5705f, v5
	v_sub_f32_e32 v6, v6, v8
	v_add_f32_e32 v6, v6, v7
	v_exp_f32_e32 v6, v6
	v_cvt_i32_f32_e32 v7, v8
	s_mov_b32 s24, 0xc2ce8ed0
	v_ldexp_f32 v3, v3, v11
	v_cmp_ngt_f32_e64 s[16:17], s24, v1
	v_cndmask_b32_e64 v3, 0, v3, s[16:17]
	v_mov_b32_e32 v4, 0x7f800000
	v_cmp_nlt_f32_e64 s[16:17], s25, v1
	v_cndmask_b32_e64 v1, v4, v3, s[16:17]
	v_ldexp_f32 v3, v6, v7
	v_sub_f32_e32 v6, v31, v10
	v_mul_f32_e32 v7, 0x3fb8aa3b, v6
	v_fma_f32 v8, v6, s23, -v7
	v_rndne_f32_e32 v9, v7
	v_fmac_f32_e32 v8, 0x32a5705f, v6
	v_sub_f32_e32 v7, v7, v9
	v_add_f32_e32 v7, v7, v8
	v_exp_f32_e32 v7, v7
	v_cvt_i32_f32_e32 v8, v9
	v_cndmask_b32_e64 v1, 0, v1, s[14:15]
	v_cmp_ngt_f32_e64 s[14:15], s24, v5
	v_cndmask_b32_e64 v3, 0, v3, s[14:15]
	v_cmp_nlt_f32_e64 s[14:15], s25, v5
	v_ldexp_f32 v5, v7, v8
	v_sub_f32_e32 v7, v32, v10
	v_mul_f32_e32 v8, 0x3fb8aa3b, v7
	v_fma_f32 v9, v7, s23, -v8
	v_rndne_f32_e32 v11, v8
	v_fmac_f32_e32 v9, 0x32a5705f, v7
	v_sub_f32_e32 v8, v8, v11
	v_add_f32_e32 v8, v8, v9
	v_exp_f32_e32 v8, v8
	v_cvt_i32_f32_e32 v9, v11
	v_cndmask_b32_e64 v3, v4, v3, s[14:15]
	v_cndmask_b32_e64 v3, 0, v3, s[12:13]
	v_cmp_ngt_f32_e64 s[12:13], s24, v6
	v_cndmask_b32_e64 v5, 0, v5, s[12:13]
	v_cmp_nlt_f32_e64 s[12:13], s25, v6
	v_ldexp_f32 v6, v8, v9
	v_sub_f32_e32 v8, v33, v10
	v_mul_f32_e32 v9, 0x3fb8aa3b, v8
	v_fma_f32 v11, v8, s23, -v9
	v_rndne_f32_e32 v15, v9
	v_fmac_f32_e32 v11, 0x32a5705f, v8
	v_sub_f32_e32 v9, v9, v15
	v_cndmask_b32_e64 v5, v4, v5, s[12:13]
	v_add_f32_e32 v9, v9, v11
	v_cndmask_b32_e64 v5, 0, v5, s[10:11]
	v_cmp_ngt_f32_e64 s[10:11], s24, v7
	v_exp_f32_e32 v9, v9
	v_cvt_i32_f32_e32 v11, v15
	v_cndmask_b32_e64 v6, 0, v6, s[10:11]
	v_cmp_nlt_f32_e64 s[10:11], s25, v7
	v_cndmask_b32_e64 v6, v4, v6, s[10:11]
	v_cndmask_b32_e64 v6, 0, v6, s[8:9]
	v_sub_f32_e32 v7, v34, v10
	s_waitcnt vmcnt(3)
	v_mul_f32_e32 v6, v2, v6
	v_ldexp_f32 v2, v9, v11
	v_mul_f32_e32 v9, 0x3fb8aa3b, v7
	v_fma_f32 v11, v7, s23, -v9
	v_rndne_f32_e32 v15, v9
	v_fmac_f32_e32 v11, 0x32a5705f, v7
	v_sub_f32_e32 v9, v9, v15
	v_add_f32_e32 v9, v9, v11
	v_cmp_ngt_f32_e64 s[8:9], s24, v8
	v_exp_f32_e32 v9, v9
	v_cvt_i32_f32_e32 v11, v15
	v_cndmask_b32_e64 v2, 0, v2, s[8:9]
	v_cmp_nlt_f32_e64 s[8:9], s25, v8
	v_cndmask_b32_e64 v2, v4, v2, s[8:9]
	v_cndmask_b32_e64 v2, 0, v2, s[2:3]
	s_waitcnt vmcnt(2)
	v_mul_f32_e32 v8, v12, v2
	v_ldexp_f32 v2, v9, v11
	v_sub_f32_e32 v9, v35, v10
	v_mul_f32_e32 v10, 0x3fb8aa3b, v9
	v_fma_f32 v11, v9, s23, -v10
	v_rndne_f32_e32 v12, v10
	v_fmac_f32_e32 v11, 0x32a5705f, v9
	v_sub_f32_e32 v10, v10, v12
	v_add_f32_e32 v10, v10, v11
	v_cmp_ngt_f32_e64 s[2:3], s24, v7
	v_exp_f32_e32 v10, v10
	v_cvt_i32_f32_e32 v11, v12
	v_cndmask_b32_e64 v2, 0, v2, s[2:3]
	v_cmp_nlt_f32_e64 s[2:3], s25, v7
	v_cndmask_b32_e64 v2, v4, v2, s[2:3]
	v_cndmask_b32_e64 v2, 0, v2, s[0:1]
	s_waitcnt vmcnt(1)
	v_mul_f32_e32 v7, v13, v2
	v_ldexp_f32 v2, v10, v11
	v_cmp_ngt_f32_e64 s[0:1], s24, v9
	v_mul_f32_e32 v1, v24, v1
	v_mul_f32_e32 v3, v26, v3
	v_cndmask_b32_e64 v2, 0, v2, s[0:1]
	v_cmp_nlt_f32_e64 s[0:1], s25, v9
	v_mul_f32_e32 v5, v25, v5
	v_cndmask_b32_e64 v2, v4, v2, s[0:1]
	v_add_f32_e32 v4, v1, v3
	v_add_f32_e32 v4, v4, v5
	;; [unrolled: 1-line block ×4, first 2 shown]
	v_cndmask_b32_e32 v2, 0, v2, vcc
	v_add_f32_e32 v4, v4, v7
	s_waitcnt vmcnt(0)
	v_fmac_f32_e32 v4, v14, v2
	ds_bpermute_b32 v9, v19, v4
	v_lshlrev_b32_e32 v11, 2, v0
	ds_write2st64_b32 v11, v1, v3 offset1:1
	v_mul_f32_e32 v10, v14, v2
	v_cmp_eq_u32_e32 vcc, 0, v0
	s_waitcnt lgkmcnt(1)
	v_add_f32_e32 v4, v4, v9
	ds_bpermute_b32 v9, v20, v4
	ds_write2st64_b32 v11, v5, v6 offset0:2 offset1:3
	ds_write2st64_b32 v11, v8, v7 offset0:4 offset1:5
	ds_write_b32 v11, v10 offset:1536
	s_waitcnt lgkmcnt(3)
	v_add_f32_e32 v4, v4, v9
	ds_bpermute_b32 v9, v21, v4
	s_waitcnt lgkmcnt(0)
	v_add_f32_e32 v4, v4, v9
	ds_bpermute_b32 v9, v22, v4
	;; [unrolled: 3-line block ×4, first 2 shown]
	s_and_saveexec_b64 s[0:1], vcc
	s_cbranch_execz .LBB310_8
; %bb.7:
	s_waitcnt lgkmcnt(0)
	v_add_f32_e32 v1, v1, v2
	v_mov_b32_e32 v2, 0
	ds_write_b32 v2, v1 offset:1792
.LBB310_8:
	s_or_b64 exec, exec, s[0:1]
	v_mov_b32_e32 v1, s22
.LBB310_9:
	s_or_b64 exec, exec, s[36:37]
	s_lshl_b32 s0, s38, 7
	s_mov_b32 s1, 0
	s_lshl_b64 s[0:1], s[0:1], 1
	s_add_u32 s0, s20, s0
	s_addc_u32 s1, s21, s1
	s_lshl_b32 s10, s33, 7
	s_waitcnt lgkmcnt(0)
	v_lshlrev_b32_e32 v2, 7, v1
	v_mov_b32_e32 v3, 0
	s_add_i32 s11, s10, 0xffffff80
	v_lshlrev_b64 v[4:5], 1, v[2:3]
	s_cmp_lt_i32 s42, 1
	v_mov_b32_e32 v1, s1
	v_add_co_u32_e32 v2, vcc, s0, v4
	s_cselect_b32 s0, s11, 0
	v_addc_co_u32_e32 v1, vcc, v1, v5, vcc
	v_lshlrev_b32_e32 v116, 1, v0
	s_ashr_i32 s1, s0, 31
	v_add_co_u32_e32 v117, vcc, v2, v116
	s_lshl_b64 s[0:1], s[0:1], 1
	v_addc_co_u32_e32 v118, vcc, 0, v1, vcc
	s_cmpk_lt_i32 s42, 0x101
	v_add_co_u32_e32 v0, vcc, s0, v117
	s_cselect_b32 s0, s11, 0x80
	v_mov_b32_e32 v1, s1
	s_ashr_i32 s1, s0, 31
	s_lshl_b64 s[0:1], s[0:1], 1
	v_addc_co_u32_e32 v1, vcc, v118, v1, vcc
	s_cmpk_lt_i32 s42, 0x201
	v_add_co_u32_e32 v4, vcc, s0, v117
	s_cselect_b32 s0, s11, 0x100
	v_mov_b32_e32 v2, s1
	s_ashr_i32 s1, s0, 31
	;; [unrolled: 7-line block ×8, first 2 shown]
	s_lshl_b64 s[0:1], s[0:1], 1
	v_addc_co_u32_e32 v17, vcc, v118, v2, vcc
	s_cmpk_lt_i32 s42, 0x901
	global_load_ushort v40, v[0:1], off
	global_load_ushort v39, v[4:5], off
	;; [unrolled: 1-line block ×8, first 2 shown]
	v_add_co_u32_e32 v0, vcc, s0, v117
	s_cselect_b32 s0, s11, 0x480
	v_mov_b32_e32 v1, s1
	s_ashr_i32 s1, s0, 31
	s_lshl_b64 s[0:1], s[0:1], 1
	v_addc_co_u32_e32 v1, vcc, v118, v1, vcc
	s_cmpk_lt_i32 s42, 0xa01
	v_add_co_u32_e32 v4, vcc, s0, v117
	s_cselect_b32 s0, s11, 0x500
	v_mov_b32_e32 v5, s1
	s_ashr_i32 s1, s0, 31
	s_lshl_b64 s[0:1], s[0:1], 1
	v_addc_co_u32_e32 v5, vcc, v118, v5, vcc
	s_cmpk_lt_i32 s42, 0xb01
	;; [unrolled: 7-line block ×6, first 2 shown]
	v_add_co_u32_e32 v14, vcc, s0, v117
	s_cselect_b32 s0, s11, 0x780
	v_mov_b32_e32 v15, s1
	s_ashr_i32 s1, s0, 31
	v_addc_co_u32_e32 v15, vcc, v118, v15, vcc
	s_lshl_b64 s[0:1], s[0:1], 1
	v_mov_b32_e32 v17, s1
	v_add_co_u32_e32 v16, vcc, s0, v117
	v_addc_co_u32_e32 v17, vcc, v118, v17, vcc
	global_load_ushort v47, v[0:1], off
	global_load_ushort v48, v[4:5], off
	;; [unrolled: 1-line block ×8, first 2 shown]
	s_cmpk_gt_i32 s42, 0x1000
	s_cselect_b64 s[8:9], -1, 0
	s_cmpk_lt_i32 s42, 0x1001
	v_mov_b32_e32 v57, 0
	v_mov_b32_e32 v58, 0
	;; [unrolled: 1-line block ×48, first 2 shown]
	s_barrier
	s_cbranch_scc1 .LBB310_12
; %bb.10:
	s_cmpk_lt_u32 s42, 0x1101
	s_cselect_b32 s0, s11, 0x880
	s_ashr_i32 s1, s0, 31
	v_add_co_u32_e32 v0, vcc, 0x1000, v117
	s_lshl_b64 s[0:1], s[0:1], 1
	v_addc_co_u32_e32 v1, vcc, 0, v118, vcc
	s_cmpk_lt_u32 s42, 0x1201
	v_add_co_u32_e32 v4, vcc, s0, v117
	s_cselect_b32 s0, s11, 0x900
	v_mov_b32_e32 v5, s1
	s_ashr_i32 s1, s0, 31
	s_lshl_b64 s[0:1], s[0:1], 1
	v_addc_co_u32_e32 v5, vcc, v118, v5, vcc
	s_cmpk_lt_u32 s42, 0x1301
	v_add_co_u32_e32 v6, vcc, s0, v117
	s_cselect_b32 s0, s11, 0x980
	v_mov_b32_e32 v7, s1
	s_ashr_i32 s1, s0, 31
	;; [unrolled: 7-line block ×7, first 2 shown]
	s_lshl_b64 s[0:1], s[0:1], 1
	v_addc_co_u32_e32 v17, vcc, v118, v17, vcc
	s_cmpk_lt_u32 s42, 0x1901
	global_load_ushort v56, v[0:1], off
	global_load_ushort v55, v[4:5], off
	;; [unrolled: 1-line block ×8, first 2 shown]
	v_add_co_u32_e32 v0, vcc, s0, v117
	s_cselect_b32 s0, s11, 0xc80
	v_mov_b32_e32 v1, s1
	s_ashr_i32 s1, s0, 31
	s_lshl_b64 s[0:1], s[0:1], 1
	v_addc_co_u32_e32 v1, vcc, v118, v1, vcc
	s_cmpk_lt_u32 s42, 0x1a01
	v_add_co_u32_e32 v4, vcc, s0, v117
	s_cselect_b32 s0, s11, 0xd00
	v_mov_b32_e32 v5, s1
	s_ashr_i32 s1, s0, 31
	s_lshl_b64 s[0:1], s[0:1], 1
	v_addc_co_u32_e32 v5, vcc, v118, v5, vcc
	s_cmpk_lt_u32 s42, 0x1b01
	;; [unrolled: 7-line block ×6, first 2 shown]
	v_add_co_u32_e32 v14, vcc, s0, v117
	s_cselect_b32 s0, s11, 0xf80
	v_mov_b32_e32 v15, s1
	s_ashr_i32 s1, s0, 31
	v_addc_co_u32_e32 v15, vcc, v118, v15, vcc
	s_lshl_b64 s[0:1], s[0:1], 1
	v_mov_b32_e32 v17, s1
	v_add_co_u32_e32 v16, vcc, s0, v117
	v_addc_co_u32_e32 v17, vcc, v118, v17, vcc
	global_load_ushort v64, v[0:1], off
	global_load_ushort v63, v[4:5], off
	;; [unrolled: 1-line block ×8, first 2 shown]
	s_cmpk_lt_u32 s42, 0x2001
	v_mov_b32_e32 v33, 0
	v_mov_b32_e32 v31, 0
	;; [unrolled: 1-line block ×32, first 2 shown]
	s_cbranch_scc1 .LBB310_12
; %bb.11:
	s_cmpk_lt_u32 s42, 0x2101
	s_cselect_b32 s0, s11, 0x1080
	s_ashr_i32 s1, s0, 31
	s_lshl_b64 s[0:1], s[0:1], 1
	s_cmpk_lt_u32 s42, 0x2201
	v_add_co_u32_e32 v0, vcc, s0, v117
	s_cselect_b32 s0, s11, 0x1100
	v_mov_b32_e32 v1, s1
	s_ashr_i32 s1, s0, 31
	s_lshl_b64 s[0:1], s[0:1], 1
	v_addc_co_u32_e32 v1, vcc, v118, v1, vcc
	s_cmpk_lt_u32 s42, 0x2301
	v_add_co_u32_e32 v4, vcc, s0, v117
	s_cselect_b32 s0, s11, 0x1180
	v_mov_b32_e32 v5, s1
	s_ashr_i32 s1, s0, 31
	s_lshl_b64 s[0:1], s[0:1], 1
	v_addc_co_u32_e32 v5, vcc, v118, v5, vcc
	;; [unrolled: 7-line block ×30, first 2 shown]
	v_mov_b32_e32 v65, s1
	s_movk_i32 s1, 0x2000
	v_add_co_u32_e32 v94, vcc, s1, v117
	v_addc_co_u32_e32 v95, vcc, 0, v118, vcc
	global_load_ushort v96, v[94:95], off
	global_load_ushort v97, v[0:1], off
	;; [unrolled: 1-line block ×15, first 2 shown]
                                        ; kill: killed $vgpr30 killed $vgpr31
                                        ; kill: killed $vgpr8 killed $vgpr9
                                        ; kill: killed $vgpr14 killed $vgpr15
                                        ; kill: killed $vgpr20 killed $vgpr21
                                        ; kill: killed $vgpr4 killed $vgpr5
                                        ; kill: killed $vgpr94 killed $vgpr95
                                        ; kill: killed $vgpr32 killed $vgpr33
                                        ; kill: killed $vgpr10 killed $vgpr11
                                        ; kill: killed $vgpr16 killed $vgpr17
                                        ; kill: killed $vgpr24 killed $vgpr25
                                        ; kill: killed $vgpr6 killed $vgpr7
                                        ; kill: killed $vgpr66 killed $vgpr67
                                        ; kill: killed $vgpr12 killed $vgpr13
                                        ; kill: killed $vgpr18 killed $vgpr19
                                        ; kill: killed $vgpr0 killed $vgpr1
	global_load_ushort v4, v[22:23], off
	global_load_ushort v5, v[26:27], off
	;; [unrolled: 1-line block ×15, first 2 shown]
                                        ; kill: killed $vgpr88 killed $vgpr89
                                        ; kill: killed $vgpr72 killed $vgpr73
                                        ; kill: killed $vgpr78 killed $vgpr79
                                        ; kill: killed $vgpr22 killed $vgpr23
                                        ; kill: killed $vgpr68 killed $vgpr69
                                        ; kill: killed $vgpr90 killed $vgpr91
                                        ; kill: killed $vgpr74 killed $vgpr75
                                        ; kill: killed $vgpr80 killed $vgpr81
                                        ; kill: killed $vgpr26 killed $vgpr27
                                        ; kill: killed $vgpr86 killed $vgpr87
                                        ; kill: killed $vgpr70 killed $vgpr71
                                        ; kill: killed $vgpr92 killed $vgpr93
                                        ; kill: killed $vgpr76 killed $vgpr77
                                        ; kill: killed $vgpr82 killed $vgpr83
                                        ; kill: killed $vgpr28 killed $vgpr29
	global_load_ushort v68, v[84:85], off
	v_add_co_u32_e32 v0, vcc, s0, v117
	v_addc_co_u32_e32 v1, vcc, v118, v65, vcc
	global_load_ushort v1, v[0:1], off
	s_waitcnt vmcnt(31)
	v_lshlrev_b32_e32 v33, 16, v96
	s_waitcnt vmcnt(30)
	v_lshlrev_b32_e32 v31, 16, v97
	;; [unrolled: 2-line block ×32, first 2 shown]
.LBB310_12:
	s_load_dwordx2 s[0:1], s[4:5], 0x0
	s_load_dwordx2 s[2:3], s[4:5], 0x38
	ds_read_b128 v[66:69], v3
	s_waitcnt vmcnt(15)
	v_lshlrev_b32_e32 v40, 16, v40
	s_waitcnt vmcnt(14)
	v_lshlrev_b32_e32 v39, 16, v39
	ds_read_b128 v[70:73], v3 offset:16
	ds_read_b128 v[74:77], v3 offset:32
	;; [unrolled: 1-line block ×3, first 2 shown]
	s_waitcnt vmcnt(13)
	v_lshlrev_b32_e32 v38, 16, v38
	s_waitcnt lgkmcnt(0)
	v_fma_f32 v40, v66, v40, 0
	v_fmac_f32_e32 v40, v67, v39
	v_fmac_f32_e32 v40, v68, v38
	s_waitcnt vmcnt(12)
	v_lshlrev_b32_e32 v37, 16, v37
	v_fmac_f32_e32 v40, v69, v37
	s_waitcnt vmcnt(10)
	v_lshlrev_b32_e32 v37, 16, v36
	v_lshlrev_b32_e32 v36, 16, v35
	v_pk_mul_f32 v[36:37], v[70:71], v[36:37]
	v_add_f32_e32 v35, v40, v36
	v_add_f32_e32 v36, v35, v37
	s_waitcnt vmcnt(8)
	v_lshlrev_b32_e32 v35, 16, v34
	v_lshlrev_b32_e32 v34, 16, v2
	v_pk_mul_f32 v[34:35], v[72:73], v[34:35]
	v_add_f32_e32 v2, v36, v34
	v_add_f32_e32 v2, v2, v35
	;; [unrolled: 6-line block ×6, first 2 shown]
	s_and_b64 vcc, exec, s[8:9]
	s_cbranch_vccz .LBB310_15
; %bb.13:
	ds_read_b128 v[34:37], v3 offset:64
	v_lshlrev_b32_e32 v2, 16, v56
	ds_read_b128 v[38:41], v3 offset:80
	ds_read_b128 v[42:45], v3 offset:96
	;; [unrolled: 1-line block ×3, first 2 shown]
	s_cmpk_lt_u32 s42, 0x2001
	s_waitcnt lgkmcnt(3)
	v_fmac_f32_e32 v119, v34, v2
	v_lshlrev_b32_e32 v2, 16, v55
	v_fmac_f32_e32 v119, v35, v2
	v_lshlrev_b32_e32 v2, 16, v54
	v_fmac_f32_e32 v119, v36, v2
	v_lshlrev_b32_e32 v2, 16, v53
	v_fmac_f32_e32 v119, v37, v2
	v_lshlrev_b32_e32 v2, 16, v52
	s_waitcnt lgkmcnt(2)
	v_fmac_f32_e32 v119, v38, v2
	v_lshlrev_b32_e32 v2, 16, v51
	v_fmac_f32_e32 v119, v39, v2
	v_lshlrev_b32_e32 v2, 16, v50
	v_fmac_f32_e32 v119, v40, v2
	v_lshlrev_b32_e32 v2, 16, v49
	v_fmac_f32_e32 v119, v41, v2
	v_lshlrev_b32_e32 v2, 16, v64
	;; [unrolled: 9-line block ×3, first 2 shown]
	s_waitcnt lgkmcnt(0)
	v_fmac_f32_e32 v119, v66, v2
	v_lshlrev_b32_e32 v2, 16, v59
	v_fmac_f32_e32 v119, v67, v2
	v_lshlrev_b32_e32 v2, 16, v58
	;; [unrolled: 2-line block ×3, first 2 shown]
	v_fmac_f32_e32 v119, v69, v2
	s_cbranch_scc1 .LBB310_15
; %bb.14:
	v_mov_b32_e32 v50, 0
	ds_read_b128 v[34:37], v50 offset:128
	ds_read_b128 v[38:41], v50 offset:144
	;; [unrolled: 1-line block ×4, first 2 shown]
	s_waitcnt lgkmcnt(3)
	v_fmac_f32_e32 v119, v34, v33
	v_fmac_f32_e32 v119, v35, v31
	v_fmac_f32_e32 v119, v36, v32
	v_fmac_f32_e32 v119, v37, v29
	s_waitcnt lgkmcnt(2)
	v_fmac_f32_e32 v119, v38, v30
	v_fmac_f32_e32 v119, v39, v27
	v_fmac_f32_e32 v119, v40, v28
	v_fmac_f32_e32 v119, v41, v25
	s_waitcnt lgkmcnt(1)
	v_fmac_f32_e32 v119, v42, v26
	v_fmac_f32_e32 v119, v43, v23
	v_fmac_f32_e32 v119, v44, v24
	v_fmac_f32_e32 v119, v45, v21
	s_waitcnt lgkmcnt(0)
	v_fmac_f32_e32 v119, v46, v22
	ds_read_b128 v[22:25], v50 offset:192
	v_fmac_f32_e32 v119, v47, v19
	v_fmac_f32_e32 v119, v48, v20
	;; [unrolled: 1-line block ×3, first 2 shown]
	ds_read_b128 v[18:21], v50 offset:208
	s_waitcnt lgkmcnt(1)
	v_fmac_f32_e32 v119, v22, v17
	v_fmac_f32_e32 v119, v23, v15
	;; [unrolled: 1-line block ×4, first 2 shown]
	s_waitcnt lgkmcnt(0)
	v_pk_mul_f32 v[2:3], v[18:19], v[12:13]
	ds_read_b128 v[12:15], v50 offset:224
	v_add_f32_e32 v2, v119, v2
	v_add_f32_e32 v16, v2, v3
	v_pk_mul_f32 v[2:3], v[20:21], v[10:11]
	v_add_f32_e32 v2, v16, v2
	ds_read_b128 v[16:19], v50 offset:240
	v_add_f32_e32 v10, v2, v3
	s_waitcnt lgkmcnt(1)
	v_pk_mul_f32 v[2:3], v[12:13], v[8:9]
	v_add_f32_e32 v2, v10, v2
	v_add_f32_e32 v8, v2, v3
	v_pk_mul_f32 v[2:3], v[14:15], v[6:7]
	v_add_f32_e32 v2, v8, v2
	v_add_f32_e32 v6, v2, v3
	s_waitcnt lgkmcnt(0)
	v_pk_mul_f32 v[2:3], v[16:17], v[4:5]
	v_add_f32_e32 v2, v6, v2
	v_add_f32_e32 v2, v2, v3
	v_pk_mul_f32 v[0:1], v[18:19], v[0:1]
	v_add_f32_e32 v0, v2, v0
	v_add_f32_e32 v119, v0, v1
.LBB310_15:
	s_movk_i32 s4, 0x3f80
	s_movk_i32 s5, 0x100
	s_mov_b32 s8, 64
	s_branch .LBB310_17
.LBB310_16:                             ;   in Loop: Header=BB310_17 Depth=1
	s_addk_i32 s4, 0x2000
	s_addk_i32 s5, 0x100
	s_add_i32 s8, s8, 64
	s_cmpk_eq_u32 s4, 0xff80
	s_cbranch_scc1 .LBB310_19
.LBB310_17:                             ; =>This Inner Loop Header: Depth=1
	s_cmp_le_i32 s33, s8
	s_cbranch_scc1 .LBB310_16
; %bb.18:                               ;   in Loop: Header=BB310_17 Depth=1
	s_add_i32 s9, s4, 0xffffe080
	s_cmp_lt_i32 s9, s10
	s_cselect_b32 s12, s9, s11
	s_ashr_i32 s13, s12, 31
	s_lshl_b64 s[12:13], s[12:13], 1
	s_add_i32 s9, s4, 0xffffe100
	s_cmp_lt_i32 s9, s10
	v_add_co_u32_e32 v2, vcc, s12, v117
	s_cselect_b32 s12, s9, s11
	v_mov_b32_e32 v0, s13
	s_ashr_i32 s13, s12, 31
	s_lshl_b64 s[12:13], s[12:13], 1
	s_add_i32 s9, s4, 0xffffe180
	v_addc_co_u32_e32 v3, vcc, v118, v0, vcc
	s_cmp_lt_i32 s9, s10
	v_add_co_u32_e32 v0, vcc, s12, v117
	s_cselect_b32 s12, s9, s11
	v_mov_b32_e32 v1, s13
	s_ashr_i32 s13, s12, 31
	s_lshl_b64 s[12:13], s[12:13], 1
	s_add_i32 s9, s4, 0xffffe200
	v_addc_co_u32_e32 v1, vcc, v118, v1, vcc
	s_cmp_lt_i32 s9, s10
	v_add_co_u32_e32 v4, vcc, s12, v117
	s_cselect_b32 s12, s9, s11
	v_mov_b32_e32 v5, s13
	s_ashr_i32 s13, s12, 31
	s_lshl_b64 s[12:13], s[12:13], 1
	s_add_i32 s9, s4, 0xffffe280
	v_addc_co_u32_e32 v5, vcc, v118, v5, vcc
	s_cmp_lt_i32 s9, s10
	v_add_co_u32_e32 v6, vcc, s12, v117
	s_cselect_b32 s12, s9, s11
	v_mov_b32_e32 v7, s13
	s_ashr_i32 s13, s12, 31
	s_lshl_b64 s[12:13], s[12:13], 1
	s_add_i32 s9, s4, 0xffffe300
	v_addc_co_u32_e32 v7, vcc, v118, v7, vcc
	s_cmp_lt_i32 s9, s10
	v_add_co_u32_e32 v8, vcc, s12, v117
	s_cselect_b32 s12, s9, s11
	v_mov_b32_e32 v9, s13
	s_ashr_i32 s13, s12, 31
	s_lshl_b64 s[12:13], s[12:13], 1
	s_add_i32 s9, s4, 0xffffe380
	v_addc_co_u32_e32 v9, vcc, v118, v9, vcc
	s_cmp_lt_i32 s9, s10
	v_add_co_u32_e32 v10, vcc, s12, v117
	s_cselect_b32 s12, s9, s11
	v_mov_b32_e32 v11, s13
	s_ashr_i32 s13, s12, 31
	s_lshl_b64 s[12:13], s[12:13], 1
	s_add_i32 s9, s4, 0xffffe400
	v_addc_co_u32_e32 v11, vcc, v118, v11, vcc
	s_cmp_lt_i32 s9, s10
	v_add_co_u32_e32 v12, vcc, s12, v117
	s_cselect_b32 s12, s9, s11
	v_mov_b32_e32 v13, s13
	s_ashr_i32 s13, s12, 31
	s_lshl_b64 s[12:13], s[12:13], 1
	s_add_i32 s9, s4, 0xffffe480
	v_addc_co_u32_e32 v13, vcc, v118, v13, vcc
	s_cmp_lt_i32 s9, s10
	v_add_co_u32_e32 v14, vcc, s12, v117
	s_cselect_b32 s12, s9, s11
	v_mov_b32_e32 v15, s13
	s_ashr_i32 s13, s12, 31
	s_lshl_b64 s[12:13], s[12:13], 1
	s_add_i32 s9, s4, 0xffffe500
	v_addc_co_u32_e32 v15, vcc, v118, v15, vcc
	s_cmp_lt_i32 s9, s10
	v_add_co_u32_e32 v16, vcc, s12, v117
	s_cselect_b32 s12, s9, s11
	v_mov_b32_e32 v17, s13
	s_ashr_i32 s13, s12, 31
	s_lshl_b64 s[12:13], s[12:13], 1
	s_add_i32 s9, s4, 0xffffe580
	v_addc_co_u32_e32 v17, vcc, v118, v17, vcc
	s_cmp_lt_i32 s9, s10
	v_add_co_u32_e32 v18, vcc, s12, v117
	s_cselect_b32 s12, s9, s11
	v_mov_b32_e32 v19, s13
	s_ashr_i32 s13, s12, 31
	s_lshl_b64 s[12:13], s[12:13], 1
	s_add_i32 s9, s4, 0xffffe600
	v_addc_co_u32_e32 v19, vcc, v118, v19, vcc
	s_cmp_lt_i32 s9, s10
	v_add_co_u32_e32 v20, vcc, s12, v117
	s_cselect_b32 s12, s9, s11
	v_mov_b32_e32 v21, s13
	s_ashr_i32 s13, s12, 31
	s_lshl_b64 s[12:13], s[12:13], 1
	s_add_i32 s9, s4, 0xffffe680
	v_addc_co_u32_e32 v21, vcc, v118, v21, vcc
	s_cmp_lt_i32 s9, s10
	v_add_co_u32_e32 v22, vcc, s12, v117
	s_cselect_b32 s12, s9, s11
	v_mov_b32_e32 v23, s13
	s_ashr_i32 s13, s12, 31
	s_lshl_b64 s[12:13], s[12:13], 1
	s_add_i32 s9, s4, 0xffffe700
	v_addc_co_u32_e32 v23, vcc, v118, v23, vcc
	s_cmp_lt_i32 s9, s10
	v_add_co_u32_e32 v24, vcc, s12, v117
	s_cselect_b32 s12, s9, s11
	v_mov_b32_e32 v25, s13
	s_ashr_i32 s13, s12, 31
	s_lshl_b64 s[12:13], s[12:13], 1
	s_add_i32 s9, s4, 0xffffe780
	v_addc_co_u32_e32 v25, vcc, v118, v25, vcc
	s_cmp_lt_i32 s9, s10
	v_add_co_u32_e32 v26, vcc, s12, v117
	s_cselect_b32 s12, s9, s11
	v_mov_b32_e32 v27, s13
	s_ashr_i32 s13, s12, 31
	s_lshl_b64 s[12:13], s[12:13], 1
	s_add_i32 s9, s4, 0xffffe800
	v_addc_co_u32_e32 v27, vcc, v118, v27, vcc
	s_cmp_lt_i32 s9, s10
	v_add_co_u32_e32 v28, vcc, s12, v117
	s_cselect_b32 s12, s9, s11
	v_mov_b32_e32 v29, s13
	s_ashr_i32 s13, s12, 31
	s_lshl_b64 s[12:13], s[12:13], 1
	s_add_i32 s9, s4, 0xffffe880
	v_addc_co_u32_e32 v29, vcc, v118, v29, vcc
	s_cmp_lt_i32 s9, s10
	v_add_co_u32_e32 v30, vcc, s12, v117
	s_cselect_b32 s12, s9, s11
	v_mov_b32_e32 v31, s13
	s_ashr_i32 s13, s12, 31
	s_lshl_b64 s[12:13], s[12:13], 1
	s_add_i32 s9, s4, 0xffffe900
	v_addc_co_u32_e32 v31, vcc, v118, v31, vcc
	s_cmp_lt_i32 s9, s10
	v_add_co_u32_e32 v32, vcc, s12, v117
	s_cselect_b32 s12, s9, s11
	v_mov_b32_e32 v33, s13
	s_ashr_i32 s13, s12, 31
	s_lshl_b64 s[12:13], s[12:13], 1
	s_add_i32 s9, s4, 0xffffe980
	v_addc_co_u32_e32 v33, vcc, v118, v33, vcc
	s_cmp_lt_i32 s9, s10
	v_add_co_u32_e32 v34, vcc, s12, v117
	s_cselect_b32 s12, s9, s11
	v_mov_b32_e32 v35, s13
	s_ashr_i32 s13, s12, 31
	s_lshl_b64 s[12:13], s[12:13], 1
	s_add_i32 s9, s4, 0xffffea00
	v_addc_co_u32_e32 v35, vcc, v118, v35, vcc
	s_cmp_lt_i32 s9, s10
	v_add_co_u32_e32 v36, vcc, s12, v117
	s_cselect_b32 s12, s9, s11
	v_mov_b32_e32 v37, s13
	s_ashr_i32 s13, s12, 31
	s_lshl_b64 s[12:13], s[12:13], 1
	s_add_i32 s9, s4, 0xffffea80
	v_addc_co_u32_e32 v37, vcc, v118, v37, vcc
	s_cmp_lt_i32 s9, s10
	v_add_co_u32_e32 v38, vcc, s12, v117
	s_cselect_b32 s12, s9, s11
	v_mov_b32_e32 v39, s13
	s_ashr_i32 s13, s12, 31
	s_lshl_b64 s[12:13], s[12:13], 1
	s_add_i32 s9, s4, 0xffffeb00
	v_addc_co_u32_e32 v39, vcc, v118, v39, vcc
	s_cmp_lt_i32 s9, s10
	v_add_co_u32_e32 v40, vcc, s12, v117
	s_cselect_b32 s12, s9, s11
	v_mov_b32_e32 v41, s13
	s_ashr_i32 s13, s12, 31
	s_lshl_b64 s[12:13], s[12:13], 1
	s_add_i32 s9, s4, 0xffffeb80
	v_addc_co_u32_e32 v41, vcc, v118, v41, vcc
	s_cmp_lt_i32 s9, s10
	global_load_ushort v120, v[2:3], off
	global_load_ushort v122, v[4:5], off
	global_load_ushort v123, v[6:7], off
	global_load_ushort v124, v[8:9], off
	v_add_co_u32_e32 v42, vcc, s12, v117
	s_cselect_b32 s12, s9, s11
	v_mov_b32_e32 v43, s13
	s_ashr_i32 s13, s12, 31
	s_lshl_b64 s[12:13], s[12:13], 1
	s_add_i32 s9, s4, 0xffffec00
	v_addc_co_u32_e32 v43, vcc, v118, v43, vcc
	s_cmp_lt_i32 s9, s10
	v_add_co_u32_e32 v44, vcc, s12, v117
	s_cselect_b32 s12, s9, s11
	v_mov_b32_e32 v45, s13
	s_ashr_i32 s13, s12, 31
	s_lshl_b64 s[12:13], s[12:13], 1
	s_add_i32 s9, s4, 0xffffec80
	v_addc_co_u32_e32 v45, vcc, v118, v45, vcc
	s_cmp_lt_i32 s9, s10
	;; [unrolled: 8-line block ×8, first 2 shown]
	global_load_ushort v121, v[0:1], off
	v_add_co_u32_e32 v58, vcc, s12, v117
	s_cselect_b32 s12, s9, s11
	v_mov_b32_e32 v59, s13
	s_ashr_i32 s13, s12, 31
	s_lshl_b64 s[12:13], s[12:13], 1
	s_add_i32 s9, s4, 0xfffff000
	v_addc_co_u32_e32 v59, vcc, v118, v59, vcc
	s_cmp_lt_i32 s9, s10
	v_add_co_u32_e32 v60, vcc, s12, v117
	s_cselect_b32 s12, s9, s11
	global_load_ushort v125, v[10:11], off
	global_load_ushort v126, v[12:13], off
	v_mov_b32_e32 v61, s13
	s_ashr_i32 s13, s12, 31
	global_load_ushort v127, v[14:15], off
	global_load_ushort v128, v[16:17], off
	;; [unrolled: 1-line block ×3, first 2 shown]
	s_lshl_b64 s[12:13], s[12:13], 1
	s_add_i32 s9, s4, 0xfffff080
	v_addc_co_u32_e32 v61, vcc, v118, v61, vcc
	s_cmp_lt_i32 s9, s10
	v_add_co_u32_e32 v62, vcc, s12, v117
	s_cselect_b32 s12, s9, s11
	v_mov_b32_e32 v63, s13
	s_ashr_i32 s13, s12, 31
	s_lshl_b64 s[12:13], s[12:13], 1
	s_add_i32 s9, s4, 0xfffff100
	v_addc_co_u32_e32 v63, vcc, v118, v63, vcc
	s_cmp_lt_i32 s9, s10
	v_add_co_u32_e32 v64, vcc, s12, v117
	s_cselect_b32 s12, s9, s11
	v_mov_b32_e32 v65, s13
	s_ashr_i32 s13, s12, 31
	global_load_ushort v130, v[20:21], off
	global_load_ushort v131, v[22:23], off
	s_lshl_b64 s[12:13], s[12:13], 1
	s_add_i32 s9, s4, 0xfffff180
	v_addc_co_u32_e32 v65, vcc, v118, v65, vcc
	s_cmp_lt_i32 s9, s10
	global_load_ushort v132, v[24:25], off
	global_load_ushort v133, v[26:27], off
	v_add_co_u32_e32 v66, vcc, s12, v117
	s_cselect_b32 s12, s9, s11
	v_mov_b32_e32 v67, s13
	s_ashr_i32 s13, s12, 31
	s_lshl_b64 s[12:13], s[12:13], 1
	s_add_i32 s9, s4, 0xfffff200
	v_addc_co_u32_e32 v67, vcc, v118, v67, vcc
	s_cmp_lt_i32 s9, s10
	v_add_co_u32_e32 v68, vcc, s12, v117
	s_cselect_b32 s12, s9, s11
	v_mov_b32_e32 v69, s13
	s_ashr_i32 s13, s12, 31
	global_load_ushort v134, v[28:29], off
	global_load_ushort v135, v[30:31], off
	s_lshl_b64 s[12:13], s[12:13], 1
	s_add_i32 s9, s4, 0xfffff280
	v_addc_co_u32_e32 v69, vcc, v118, v69, vcc
	s_cmp_lt_i32 s9, s10
	v_add_co_u32_e32 v70, vcc, s12, v117
	s_cselect_b32 s12, s9, s11
	v_mov_b32_e32 v71, s13
	s_ashr_i32 s13, s12, 31
	s_lshl_b64 s[12:13], s[12:13], 1
	s_add_i32 s9, s4, 0xfffff300
	global_load_ushort v28, v[32:33], off
	global_load_ushort v29, v[34:35], off
	;; [unrolled: 1-line block ×4, first 2 shown]
	v_addc_co_u32_e32 v71, vcc, v118, v71, vcc
	s_cmp_lt_i32 s9, s10
	v_add_co_u32_e32 v72, vcc, s12, v117
	s_cselect_b32 s12, s9, s11
	v_mov_b32_e32 v73, s13
	s_ashr_i32 s13, s12, 31
	s_lshl_b64 s[12:13], s[12:13], 1
	s_add_i32 s9, s4, 0xfffff380
	v_addc_co_u32_e32 v73, vcc, v118, v73, vcc
	s_cmp_lt_i32 s9, s10
	v_add_co_u32_e32 v74, vcc, s12, v117
	s_cselect_b32 s12, s9, s11
	v_mov_b32_e32 v75, s13
	s_ashr_i32 s13, s12, 31
	s_lshl_b64 s[12:13], s[12:13], 1
	s_add_i32 s9, s4, 0xfffff400
	v_addc_co_u32_e32 v75, vcc, v118, v75, vcc
	s_cmp_lt_i32 s9, s10
	v_add_co_u32_e32 v76, vcc, s12, v117
	s_cselect_b32 s12, s9, s11
	global_load_ushort v32, v[40:41], off
	global_load_ushort v33, v[42:43], off
	v_mov_b32_e32 v77, s13
	s_ashr_i32 s13, s12, 31
	s_lshl_b64 s[12:13], s[12:13], 1
	s_add_i32 s9, s4, 0xfffff480
	v_addc_co_u32_e32 v77, vcc, v118, v77, vcc
	s_cmp_lt_i32 s9, s10
	v_add_co_u32_e32 v78, vcc, s12, v117
	s_cselect_b32 s12, s9, s11
	v_mov_b32_e32 v79, s13
	s_ashr_i32 s13, s12, 31
	global_load_ushort v36, v[44:45], off
	s_lshl_b64 s[12:13], s[12:13], 1
	s_add_i32 s9, s4, 0xfffff500
	v_mov_b32_e32 v35, s5
	v_addc_co_u32_e32 v79, vcc, v118, v79, vcc
	s_cmp_lt_i32 s9, s10
	ds_read_b128 v[12:15], v35
	ds_read_b128 v[16:19], v35 offset:16
	global_load_ushort v37, v[46:47], off
	v_add_co_u32_e32 v80, vcc, s12, v117
	s_cselect_b32 s12, s9, s11
	v_mov_b32_e32 v81, s13
	s_ashr_i32 s13, s12, 31
	s_lshl_b64 s[12:13], s[12:13], 1
	s_add_i32 s9, s4, 0xfffff580
	v_addc_co_u32_e32 v81, vcc, v118, v81, vcc
	s_cmp_lt_i32 s9, s10
	s_waitcnt vmcnt(23)
	v_lshlrev_b32_e32 v34, 16, v120
	v_add_co_u32_e32 v82, vcc, s12, v117
	s_cselect_b32 s12, s9, s11
	ds_read_b128 v[20:23], v35 offset:32
	ds_read_b128 v[24:27], v35 offset:48
	s_waitcnt lgkmcnt(3)
	v_fmac_f32_e32 v119, v12, v34
	global_load_ushort v34, v[48:49], off
	global_load_ushort v38, v[50:51], off
	;; [unrolled: 1-line block ×6, first 2 shown]
	v_mov_b32_e32 v83, s13
	s_ashr_i32 s13, s12, 31
	s_lshl_b64 s[12:13], s[12:13], 1
	s_add_i32 s9, s4, 0xfffff600
	v_addc_co_u32_e32 v83, vcc, v118, v83, vcc
	s_cmp_lt_i32 s9, s10
	v_add_co_u32_e32 v84, vcc, s12, v117
	s_cselect_b32 s12, s9, s11
	v_mov_b32_e32 v85, s13
	s_ashr_i32 s13, s12, 31
	s_lshl_b64 s[12:13], s[12:13], 1
	s_add_i32 s9, s4, 0xfffff680
	v_addc_co_u32_e32 v85, vcc, v118, v85, vcc
	s_cmp_lt_i32 s9, s10
	v_add_co_u32_e32 v86, vcc, s12, v117
	s_cselect_b32 s12, s9, s11
	;; [unrolled: 8-line block ×7, first 2 shown]
	v_mov_b32_e32 v97, s13
	s_ashr_i32 s13, s12, 31
	s_lshl_b64 s[12:13], s[12:13], 1
	s_add_i32 s9, s4, 0xfffff980
	v_addc_co_u32_e32 v97, vcc, v118, v97, vcc
	s_cmp_lt_i32 s9, s10
	s_waitcnt vmcnt(25)
	v_lshlrev_b32_e32 v12, 16, v121
	v_add_co_u32_e32 v98, vcc, s12, v117
	s_cselect_b32 s12, s9, s11
	v_fmac_f32_e32 v119, v13, v12
	v_lshlrev_b32_e32 v12, 16, v122
	v_mov_b32_e32 v99, s13
	s_ashr_i32 s13, s12, 31
	v_fmac_f32_e32 v119, v14, v12
	v_lshlrev_b32_e32 v12, 16, v123
	s_lshl_b64 s[12:13], s[12:13], 1
	s_add_i32 s9, s4, 0xfffffa00
	v_fmac_f32_e32 v119, v15, v12
	v_lshlrev_b32_e32 v12, 16, v124
	v_addc_co_u32_e32 v99, vcc, v118, v99, vcc
	s_cmp_lt_i32 s9, s10
	s_waitcnt lgkmcnt(2)
	v_fmac_f32_e32 v119, v16, v12
	s_waitcnt vmcnt(24)
	v_lshlrev_b32_e32 v12, 16, v125
	v_add_co_u32_e32 v100, vcc, s12, v117
	s_cselect_b32 s12, s9, s11
	v_fmac_f32_e32 v119, v17, v12
	s_waitcnt vmcnt(23)
	v_lshlrev_b32_e32 v12, 16, v126
	v_mov_b32_e32 v101, s13
	s_ashr_i32 s13, s12, 31
	v_fmac_f32_e32 v119, v18, v12
	s_waitcnt vmcnt(22)
	v_lshlrev_b32_e32 v12, 16, v127
	s_lshl_b64 s[12:13], s[12:13], 1
	s_add_i32 s9, s4, 0xfffffa80
	v_fmac_f32_e32 v119, v19, v12
	s_waitcnt vmcnt(21)
	v_lshlrev_b32_e32 v12, 16, v128
	v_addc_co_u32_e32 v101, vcc, v118, v101, vcc
	s_cmp_lt_i32 s9, s10
	s_waitcnt lgkmcnt(1)
	v_fmac_f32_e32 v119, v20, v12
	global_load_ushort v20, v[60:61], off
	v_add_co_u32_e32 v102, vcc, s12, v117
	s_cselect_b32 s12, s9, s11
	v_mov_b32_e32 v103, s13
	s_ashr_i32 s13, s12, 31
	s_lshl_b64 s[12:13], s[12:13], 1
	s_add_i32 s9, s4, 0xfffffb00
	s_waitcnt vmcnt(21)
	v_lshlrev_b32_e32 v12, 16, v129
	v_addc_co_u32_e32 v103, vcc, v118, v103, vcc
	s_cmp_lt_i32 s9, s10
	v_fmac_f32_e32 v119, v21, v12
	global_load_ushort v21, v[62:63], off
	v_add_co_u32_e32 v104, vcc, s12, v117
	s_cselect_b32 s12, s9, s11
	s_waitcnt vmcnt(21)
	v_lshlrev_b32_e32 v12, 16, v130
	global_load_ushort v43, v[64:65], off
	v_mov_b32_e32 v105, s13
	s_ashr_i32 s13, s12, 31
	v_fmac_f32_e32 v119, v22, v12
	global_load_ushort v22, v[66:67], off
	s_waitcnt vmcnt(22)
	v_lshlrev_b32_e32 v12, 16, v131
	s_lshl_b64 s[12:13], s[12:13], 1
	s_add_i32 s9, s4, 0xfffffb80
	v_fmac_f32_e32 v119, v23, v12
	global_load_ushort v23, v[68:69], off
	global_load_ushort v44, v[70:71], off
	v_addc_co_u32_e32 v105, vcc, v118, v105, vcc
	s_cmp_lt_i32 s9, s10
	s_waitcnt vmcnt(23)
	v_lshlrev_b32_e32 v12, 16, v132
	v_add_co_u32_e32 v108, vcc, s12, v117
	s_cselect_b32 s12, s9, s11
	s_waitcnt lgkmcnt(0)
	v_fmac_f32_e32 v119, v24, v12
	global_load_ushort v24, v[72:73], off
	global_load_ushort v45, v[74:75], off
	v_mov_b32_e32 v106, s13
	s_ashr_i32 s13, s12, 31
	s_waitcnt vmcnt(24)
	v_lshlrev_b32_e32 v12, 16, v133
	s_lshl_b64 s[12:13], s[12:13], 1
	s_add_i32 s9, s4, 0xfffffc00
	v_fmac_f32_e32 v119, v25, v12
	global_load_ushort v25, v[76:77], off
	v_addc_co_u32_e32 v109, vcc, v118, v106, vcc
	s_cmp_lt_i32 s9, s10
	v_add_co_u32_e32 v106, vcc, s12, v117
	s_cselect_b32 s12, s9, s11
	s_waitcnt vmcnt(24)
	v_lshlrev_b32_e32 v12, 16, v134
	v_mov_b32_e32 v107, s13
	s_ashr_i32 s13, s12, 31
	v_fmac_f32_e32 v119, v26, v12
	global_load_ushort v26, v[78:79], off
	s_waitcnt vmcnt(24)
	v_lshlrev_b32_e32 v12, 16, v135
	s_lshl_b64 s[12:13], s[12:13], 1
	s_add_i32 s9, s4, 0xfffffc80
	v_fmac_f32_e32 v119, v27, v12
	ds_read_b128 v[12:15], v35 offset:64
	ds_read_b128 v[16:19], v35 offset:80
	v_addc_co_u32_e32 v107, vcc, v118, v107, vcc
	s_cmp_lt_i32 s9, s10
	global_load_ushort v46, v[80:81], off
	global_load_ushort v27, v[82:83], off
	;; [unrolled: 1-line block ×4, first 2 shown]
	v_add_co_u32_e32 v112, vcc, s12, v117
	s_cselect_b32 s12, s9, s11
	v_mov_b32_e32 v110, s13
	s_ashr_i32 s13, s12, 31
	s_lshl_b64 s[12:13], s[12:13], 1
	s_add_i32 s9, s4, 0xfffffd00
	s_waitcnt vmcnt(27)
	v_lshlrev_b32_e32 v28, 16, v28
	v_addc_co_u32_e32 v113, vcc, v118, v110, vcc
	s_cmp_lt_i32 s9, s10
	s_waitcnt lgkmcnt(1)
	v_fmac_f32_e32 v119, v12, v28
	global_load_ushort v28, v[88:89], off
	v_add_co_u32_e32 v110, vcc, s12, v117
	s_cselect_b32 s12, s9, s11
	s_waitcnt vmcnt(27)
	v_lshlrev_b32_e32 v12, 16, v29
	global_load_ushort v29, v[90:91], off
	global_load_ushort v49, v[92:93], off
	v_mov_b32_e32 v111, s13
	s_ashr_i32 s13, s12, 31
	s_lshl_b64 s[12:13], s[12:13], 1
	s_add_i32 s9, s4, 0xfffffd80
	v_addc_co_u32_e32 v111, vcc, v118, v111, vcc
	s_cmp_lt_i32 s9, s10
	v_add_co_u32_e32 v114, vcc, s12, v117
	s_cselect_b32 s12, s9, s11
	v_mov_b32_e32 v115, s13
	s_ashr_i32 s13, s12, 31
	v_fmac_f32_e32 v119, v13, v12
	s_waitcnt vmcnt(28)
	v_lshlrev_b32_e32 v12, 16, v30
	global_load_ushort v30, v[94:95], off
	s_lshl_b64 s[12:13], s[12:13], 1
	s_add_i32 s9, s4, 0xfffffe00
	v_fmac_f32_e32 v119, v14, v12
	s_waitcnt vmcnt(28)
	v_lshlrev_b32_e32 v12, 16, v31
	global_load_ushort v31, v[96:97], off
	v_addc_co_u32_e32 v115, vcc, v118, v115, vcc
	s_cmp_lt_i32 s9, s10
	v_fmac_f32_e32 v119, v15, v12
	s_waitcnt vmcnt(28)
	v_lshlrev_b32_e32 v12, 16, v32
	global_load_ushort v32, v[98:99], off
	global_load_ushort v50, v[100:101], off
	v_add_co_u32_e32 v0, vcc, s12, v117
	s_cselect_b32 s12, s9, s11
	v_mov_b32_e32 v2, s13
	s_ashr_i32 s13, s12, 31
	s_lshl_b64 s[12:13], s[12:13], 1
	s_add_i32 s9, s4, 0xfffffe80
	s_waitcnt lgkmcnt(0)
	v_fmac_f32_e32 v119, v16, v12
	s_waitcnt vmcnt(29)
	v_lshlrev_b32_e32 v12, 16, v33
	global_load_ushort v33, v[102:103], off
	global_load_ushort v51, v[104:105], off
	;; [unrolled: 1-line block ×3, first 2 shown]
	v_addc_co_u32_e32 v1, vcc, v118, v2, vcc
	s_cmp_lt_i32 s9, s10
	v_add_co_u32_e32 v2, vcc, s12, v117
	s_cselect_b32 s12, s9, s11
	v_mov_b32_e32 v3, s13
	s_ashr_i32 s13, s12, 31
	v_fmac_f32_e32 v119, v17, v12
	s_waitcnt vmcnt(31)
	v_lshlrev_b32_e32 v12, 16, v36
	global_load_ushort v36, v[106:107], off
	global_load_ushort v53, v[112:113], off
	s_lshl_b64 s[12:13], s[12:13], 1
	s_add_i32 s9, s4, 0xffffff00
	v_addc_co_u32_e32 v3, vcc, v118, v3, vcc
	s_cmp_lt_i32 s9, s10
	v_fmac_f32_e32 v119, v18, v12
	s_waitcnt vmcnt(32)
	v_lshlrev_b32_e32 v12, 16, v37
	v_add_co_u32_e32 v4, vcc, s12, v117
	s_cselect_b32 s12, s9, s11
	v_fmac_f32_e32 v119, v19, v12
	ds_read_b128 v[12:15], v35 offset:96
	v_mov_b32_e32 v5, s13
	s_ashr_i32 s13, s12, 31
	s_lshl_b64 s[12:13], s[12:13], 1
	s_add_i32 s9, s4, 0xffffff80
	v_addc_co_u32_e32 v5, vcc, v118, v5, vcc
	s_cmp_lt_i32 s9, s10
	global_load_ushort v37, v[110:111], off
	global_load_ushort v54, v[114:115], off
	v_add_co_u32_e32 v8, vcc, s12, v117
	s_cselect_b32 s12, s9, s11
	s_waitcnt vmcnt(33)
	v_lshlrev_b32_e32 v34, 16, v34
	v_mov_b32_e32 v6, s13
	s_ashr_i32 s13, s12, 31
	s_waitcnt lgkmcnt(0)
	v_fmac_f32_e32 v119, v12, v34
	s_waitcnt vmcnt(32)
	v_lshlrev_b32_e32 v12, 16, v38
	s_lshl_b64 s[12:13], s[12:13], 1
	ds_read_b128 v[16:19], v35 offset:112
	v_fmac_f32_e32 v119, v13, v12
	global_load_ushort v12, v[0:1], off
	global_load_ushort v13, v[2:3], off
	v_addc_co_u32_e32 v9, vcc, v118, v6, vcc
	s_cmp_lt_i32 s4, s10
	v_add_co_u32_e32 v6, vcc, s12, v117
	s_cselect_b32 s12, s4, s11
	s_waitcnt vmcnt(33)
	v_lshlrev_b32_e32 v0, 16, v39
	v_mov_b32_e32 v7, s13
	s_ashr_i32 s13, s12, 31
	v_fmac_f32_e32 v119, v14, v0
	global_load_ushort v14, v[4:5], off
	global_load_ushort v34, v[8:9], off
	v_addc_co_u32_e32 v7, vcc, v118, v7, vcc
	s_lshl_b64 s[12:13], s[12:13], 1
	s_waitcnt vmcnt(34)
	v_lshlrev_b32_e32 v0, 16, v40
	v_mov_b32_e32 v11, s13
	v_add_co_u32_e32 v10, vcc, s12, v117
	v_fmac_f32_e32 v119, v15, v0
	s_waitcnt vmcnt(33)
	v_lshlrev_b32_e32 v0, 16, v41
	v_addc_co_u32_e32 v11, vcc, v118, v11, vcc
	s_waitcnt lgkmcnt(0)
	v_fmac_f32_e32 v119, v16, v0
	global_load_ushort v15, v[6:7], off
	global_load_ushort v16, v[10:11], off
	s_waitcnt vmcnt(34)
	v_lshlrev_b32_e32 v0, 16, v42
	v_fmac_f32_e32 v119, v17, v0
	s_waitcnt vmcnt(33)
	v_lshlrev_b32_e32 v0, 16, v20
	v_fmac_f32_e32 v119, v18, v0
	ds_read_b128 v[0:3], v35 offset:128
	s_waitcnt vmcnt(32)
	v_lshlrev_b32_e32 v4, 16, v21
	v_fmac_f32_e32 v119, v19, v4
	ds_read_b128 v[4:7], v35 offset:144
	s_waitcnt vmcnt(31)
	v_lshlrev_b32_e32 v8, 16, v43
	s_waitcnt lgkmcnt(1)
	v_fmac_f32_e32 v119, v0, v8
	s_waitcnt vmcnt(30)
	v_lshlrev_b32_e32 v0, 16, v22
	v_fmac_f32_e32 v119, v1, v0
	s_waitcnt vmcnt(29)
	v_lshlrev_b32_e32 v0, 16, v23
	;; [unrolled: 3-line block ×4, first 2 shown]
	s_waitcnt lgkmcnt(0)
	v_fmac_f32_e32 v119, v4, v0
	s_waitcnt vmcnt(26)
	v_lshlrev_b32_e32 v0, 16, v45
	v_fmac_f32_e32 v119, v5, v0
	s_waitcnt vmcnt(25)
	v_lshlrev_b32_e32 v0, 16, v25
	v_fmac_f32_e32 v119, v6, v0
	ds_read_b128 v[0:3], v35 offset:160
	s_waitcnt vmcnt(24)
	v_lshlrev_b32_e32 v4, 16, v26
	v_fmac_f32_e32 v119, v7, v4
	ds_read_b128 v[4:7], v35 offset:176
	s_waitcnt vmcnt(23)
	v_lshlrev_b32_e32 v8, 16, v46
	s_waitcnt lgkmcnt(1)
	v_fmac_f32_e32 v119, v0, v8
	s_waitcnt vmcnt(22)
	v_lshlrev_b32_e32 v0, 16, v27
	v_fmac_f32_e32 v119, v1, v0
	s_waitcnt vmcnt(21)
	v_lshlrev_b32_e32 v0, 16, v47
	v_fmac_f32_e32 v119, v2, v0
	s_waitcnt vmcnt(20)
	v_lshlrev_b32_e32 v0, 16, v48
	v_fmac_f32_e32 v119, v3, v0
	s_waitcnt vmcnt(19)
	v_lshlrev_b32_e32 v0, 16, v28
	s_waitcnt lgkmcnt(0)
	v_fmac_f32_e32 v119, v4, v0
	s_waitcnt vmcnt(18)
	v_lshlrev_b32_e32 v0, 16, v29
	v_fmac_f32_e32 v119, v5, v0
	s_waitcnt vmcnt(17)
	v_lshlrev_b32_e32 v0, 16, v49
	v_fmac_f32_e32 v119, v6, v0
	ds_read_b128 v[0:3], v35 offset:192
	s_waitcnt vmcnt(16)
	v_lshlrev_b32_e32 v4, 16, v30
	v_fmac_f32_e32 v119, v7, v4
	ds_read_b128 v[4:7], v35 offset:208
	s_waitcnt vmcnt(15)
	v_lshlrev_b32_e32 v8, 16, v31
	s_waitcnt lgkmcnt(1)
	v_fmac_f32_e32 v119, v0, v8
	s_waitcnt vmcnt(14)
	v_lshlrev_b32_e32 v0, 16, v32
	v_fmac_f32_e32 v119, v1, v0
	s_waitcnt vmcnt(13)
	v_lshlrev_b32_e32 v0, 16, v50
	;; [unrolled: 3-line block ×4, first 2 shown]
	v_lshlrev_b32_e32 v0, 16, v51
	s_waitcnt lgkmcnt(0)
	v_pk_mul_f32 v[0:1], v[4:5], v[0:1]
	v_add_f32_e32 v0, v119, v0
	v_add_f32_e32 v2, v0, v1
	s_waitcnt vmcnt(8)
	v_lshlrev_b32_e32 v1, 16, v53
	v_lshlrev_b32_e32 v0, 16, v36
	v_pk_mul_f32 v[4:5], v[6:7], v[0:1]
	v_add_f32_e32 v4, v2, v4
	ds_read_b128 v[0:3], v35 offset:224
	s_waitcnt vmcnt(6)
	v_lshlrev_b32_e32 v9, 16, v54
	v_lshlrev_b32_e32 v8, 16, v37
	v_add_f32_e32 v10, v4, v5
	ds_read_b128 v[4:7], v35 offset:240
	s_waitcnt lgkmcnt(1)
	v_pk_mul_f32 v[0:1], v[0:1], v[8:9]
	v_add_f32_e32 v0, v10, v0
	v_add_f32_e32 v8, v0, v1
	s_waitcnt vmcnt(4)
	v_lshlrev_b32_e32 v1, 16, v13
	v_lshlrev_b32_e32 v0, 16, v12
	v_pk_mul_f32 v[0:1], v[2:3], v[0:1]
	v_add_f32_e32 v0, v8, v0
	v_add_f32_e32 v2, v0, v1
	s_waitcnt vmcnt(2)
	v_lshlrev_b32_e32 v1, 16, v34
	v_lshlrev_b32_e32 v0, 16, v14
	s_waitcnt lgkmcnt(0)
	v_pk_mul_f32 v[0:1], v[4:5], v[0:1]
	v_add_f32_e32 v0, v2, v0
	v_add_f32_e32 v2, v0, v1
	s_waitcnt vmcnt(1)
	v_lshlrev_b32_e32 v0, 16, v15
	s_waitcnt vmcnt(0)
	v_lshlrev_b32_e32 v1, 16, v16
	v_pk_mul_f32 v[0:1], v[6:7], v[0:1]
	v_add_f32_e32 v0, v2, v0
	v_add_f32_e32 v119, v0, v1
	s_branch .LBB310_16
.LBB310_19:
	v_mov_b32_e32 v0, 0
	ds_read_b32 v0, v0 offset:1792
	s_cmp_lg_u64 s[2:3], 0
	s_cbranch_scc0 .LBB310_28
; %bb.20:
	s_load_dword s4, s[2:3], 0x0
	s_waitcnt lgkmcnt(0)
	v_div_scale_f32 v1, s[2:3], s4, s4, 1.0
	v_rcp_f32_e32 v2, v1
	v_div_scale_f32 v3, vcc, 1.0, s4, 1.0
	v_fma_f32 v4, -v1, v2, 1.0
	v_fmac_f32_e32 v2, v4, v2
	v_mul_f32_e32 v4, v3, v2
	v_fma_f32 v5, -v1, v4, v3
	v_fmac_f32_e32 v4, v5, v2
	v_fma_f32 v1, -v1, v4, v3
	v_div_fmas_f32 v1, v1, v2, v4
	v_div_fixup_f32 v1, v1, s4, 1.0
	s_andn2_b64 vcc, exec, s[30:31]
	s_cbranch_vccnz .LBB310_22
.LBB310_21:
	s_add_u32 s2, s28, s34
	s_addc_u32 s3, s29, s35
	s_load_dword s18, s[2:3], 0x0
	s_mov_b32 s19, 0
.LBB310_22:
	s_waitcnt lgkmcnt(0)
	v_add_f32_e32 v0, 0x358637bd, v0
	v_div_scale_f32 v2, s[2:3], v0, v0, 1.0
	v_rcp_f32_e32 v3, v2
	v_div_scale_f32 v4, vcc, 1.0, v0, 1.0
	s_mov_b32 s2, 0x7f800000
	v_fma_f32 v5, -v2, v3, 1.0
	v_fmac_f32_e32 v3, v5, v3
	v_mul_f32_e32 v5, v4, v3
	v_fma_f32 v6, -v2, v5, v4
	v_fmac_f32_e32 v5, v6, v3
	v_fma_f32 v2, -v2, v5, v4
	v_div_fmas_f32 v2, v2, v3, v5
	v_div_fixup_f32 v0, v2, v0, 1.0
	v_mul_f32_e32 v0, v119, v0
	v_mul_f32_e32 v1, v0, v1
	v_and_b32_e32 v0, 0x7f800000, v1
	v_cmp_ne_u32_e32 vcc, s2, v0
                                        ; implicit-def: $vgpr0
	s_and_saveexec_b64 s[2:3], vcc
	s_xor_b64 s[2:3], exec, s[2:3]
; %bb.23:
	v_bfe_u32 v0, v1, 16, 1
	s_movk_i32 s4, 0x7fff
	v_add3_u32 v0, v1, v0, s4
                                        ; implicit-def: $vgpr1
; %bb.24:
	s_andn2_saveexec_b64 s[2:3], s[2:3]
; %bb.25:
	v_mov_b32_e32 v0, 0
	v_or_b32_e32 v2, 0x10000, v1
	v_cmp_eq_u32_sdwa vcc, v1, v0 src0_sel:WORD_0 src1_sel:DWORD
	v_cndmask_b32_e32 v0, v2, v1, vcc
; %bb.26:
	s_or_b64 exec, exec, s[2:3]
	s_mul_i32 s2, s7, s19
	s_mul_hi_u32 s3, s7, s18
	s_add_i32 s3, s3, s2
	s_mul_i32 s2, s7, s18
	s_lshl_b64 s[2:3], s[2:3], 8
	s_add_u32 s2, s0, s2
	s_mov_b32 s7, 0
	s_addc_u32 s3, s1, s3
	s_lshl_b64 s[0:1], s[6:7], 8
	s_add_u32 s0, s2, s0
	s_addc_u32 s1, s3, s1
	global_store_short_d16_hi v116, v0, s[0:1]
	s_endpgm
.LBB310_27:
	s_mov_b64 s[2:3], 0
	s_branch .LBB310_2
.LBB310_28:
	v_mov_b32_e32 v1, 1.0
	s_andn2_b64 vcc, exec, s[30:31]
	s_cbranch_vccz .LBB310_21
	s_branch .LBB310_22
	.section	.rodata,"a",@progbits
	.p2align	6, 0x0
	.amdhsa_kernel _Z35paged_attention_ll4mi_reduce_kernelI14__hip_bfloat16S0_Li128ELi128ELi256ELi7EEvPT0_PKfS4_PKT_PKiS9_iS4_
		.amdhsa_group_segment_fixed_size 1796
		.amdhsa_private_segment_fixed_size 0
		.amdhsa_kernarg_size 320
		.amdhsa_user_sgpr_count 6
		.amdhsa_user_sgpr_private_segment_buffer 1
		.amdhsa_user_sgpr_dispatch_ptr 0
		.amdhsa_user_sgpr_queue_ptr 0
		.amdhsa_user_sgpr_kernarg_segment_ptr 1
		.amdhsa_user_sgpr_dispatch_id 0
		.amdhsa_user_sgpr_flat_scratch_init 0
		.amdhsa_user_sgpr_kernarg_preload_length 0
		.amdhsa_user_sgpr_kernarg_preload_offset 0
		.amdhsa_user_sgpr_private_segment_size 0
		.amdhsa_uses_dynamic_stack 0
		.amdhsa_system_sgpr_private_segment_wavefront_offset 0
		.amdhsa_system_sgpr_workgroup_id_x 1
		.amdhsa_system_sgpr_workgroup_id_y 1
		.amdhsa_system_sgpr_workgroup_id_z 0
		.amdhsa_system_sgpr_workgroup_info 0
		.amdhsa_system_vgpr_workitem_id 0
		.amdhsa_next_free_vgpr 136
		.amdhsa_next_free_sgpr 43
		.amdhsa_accum_offset 136
		.amdhsa_reserve_vcc 1
		.amdhsa_reserve_flat_scratch 0
		.amdhsa_float_round_mode_32 0
		.amdhsa_float_round_mode_16_64 0
		.amdhsa_float_denorm_mode_32 3
		.amdhsa_float_denorm_mode_16_64 3
		.amdhsa_dx10_clamp 1
		.amdhsa_ieee_mode 1
		.amdhsa_fp16_overflow 0
		.amdhsa_tg_split 0
		.amdhsa_exception_fp_ieee_invalid_op 0
		.amdhsa_exception_fp_denorm_src 0
		.amdhsa_exception_fp_ieee_div_zero 0
		.amdhsa_exception_fp_ieee_overflow 0
		.amdhsa_exception_fp_ieee_underflow 0
		.amdhsa_exception_fp_ieee_inexact 0
		.amdhsa_exception_int_div_zero 0
	.end_amdhsa_kernel
	.section	.text._Z35paged_attention_ll4mi_reduce_kernelI14__hip_bfloat16S0_Li128ELi128ELi256ELi7EEvPT0_PKfS4_PKT_PKiS9_iS4_,"axG",@progbits,_Z35paged_attention_ll4mi_reduce_kernelI14__hip_bfloat16S0_Li128ELi128ELi256ELi7EEvPT0_PKfS4_PKT_PKiS9_iS4_,comdat
.Lfunc_end310:
	.size	_Z35paged_attention_ll4mi_reduce_kernelI14__hip_bfloat16S0_Li128ELi128ELi256ELi7EEvPT0_PKfS4_PKT_PKiS9_iS4_, .Lfunc_end310-_Z35paged_attention_ll4mi_reduce_kernelI14__hip_bfloat16S0_Li128ELi128ELi256ELi7EEvPT0_PKfS4_PKT_PKiS9_iS4_
                                        ; -- End function
	.section	.AMDGPU.csdata,"",@progbits
; Kernel info:
; codeLenInByte = 10332
; NumSgprs: 47
; NumVgprs: 136
; NumAgprs: 0
; TotalNumVgprs: 136
; ScratchSize: 0
; MemoryBound: 0
; FloatMode: 240
; IeeeMode: 1
; LDSByteSize: 1796 bytes/workgroup (compile time only)
; SGPRBlocks: 5
; VGPRBlocks: 16
; NumSGPRsForWavesPerEU: 47
; NumVGPRsForWavesPerEU: 136
; AccumOffset: 136
; Occupancy: 3
; WaveLimiterHint : 1
; COMPUTE_PGM_RSRC2:SCRATCH_EN: 0
; COMPUTE_PGM_RSRC2:USER_SGPR: 6
; COMPUTE_PGM_RSRC2:TRAP_HANDLER: 0
; COMPUTE_PGM_RSRC2:TGID_X_EN: 1
; COMPUTE_PGM_RSRC2:TGID_Y_EN: 1
; COMPUTE_PGM_RSRC2:TGID_Z_EN: 0
; COMPUTE_PGM_RSRC2:TIDIG_COMP_CNT: 0
; COMPUTE_PGM_RSRC3_GFX90A:ACCUM_OFFSET: 33
; COMPUTE_PGM_RSRC3_GFX90A:TG_SPLIT: 0
	.section	.text._Z35paged_attention_ll4mi_reduce_kernelI14__hip_bfloat16S0_Li128ELi128ELi256ELi8EEvPT0_PKfS4_PKT_PKiS9_iS4_,"axG",@progbits,_Z35paged_attention_ll4mi_reduce_kernelI14__hip_bfloat16S0_Li128ELi128ELi256ELi8EEvPT0_PKfS4_PKT_PKiS9_iS4_,comdat
	.protected	_Z35paged_attention_ll4mi_reduce_kernelI14__hip_bfloat16S0_Li128ELi128ELi256ELi8EEvPT0_PKfS4_PKT_PKiS9_iS4_ ; -- Begin function _Z35paged_attention_ll4mi_reduce_kernelI14__hip_bfloat16S0_Li128ELi128ELi256ELi8EEvPT0_PKfS4_PKT_PKiS9_iS4_
	.globl	_Z35paged_attention_ll4mi_reduce_kernelI14__hip_bfloat16S0_Li128ELi128ELi256ELi8EEvPT0_PKfS4_PKT_PKiS9_iS4_
	.p2align	8
	.type	_Z35paged_attention_ll4mi_reduce_kernelI14__hip_bfloat16S0_Li128ELi128ELi256ELi8EEvPT0_PKfS4_PKT_PKiS9_iS4_,@function
_Z35paged_attention_ll4mi_reduce_kernelI14__hip_bfloat16S0_Li128ELi128ELi256ELi8EEvPT0_PKfS4_PKT_PKiS9_iS4_: ; @_Z35paged_attention_ll4mi_reduce_kernelI14__hip_bfloat16S0_Li128ELi128ELi256ELi8EEvPT0_PKfS4_PKT_PKiS9_iS4_
; %bb.0:
	s_load_dwordx2 s[30:31], s[4:5], 0x28
	s_mov_b32 s28, s7
	s_mov_b64 s[0:1], 0
	s_waitcnt lgkmcnt(0)
	s_cmp_lg_u64 s[30:31], 0
	s_cselect_b64 s[34:35], -1, 0
	s_and_b64 vcc, exec, s[34:35]
	s_cbranch_vccz .LBB311_27
; %bb.1:
	s_add_i32 s2, s28, 1
	s_mov_b32 s3, 0
	s_lshl_b64 s[8:9], s[2:3], 2
	s_add_u32 s8, s30, s8
	s_mov_b32 s29, s3
	s_addc_u32 s9, s31, s9
	s_lshl_b64 s[2:3], s[28:29], 2
	s_add_u32 s2, s30, s2
	s_addc_u32 s3, s31, s3
	s_load_dword s7, s[8:9], 0x0
	s_load_dword s10, s[2:3], 0x0
	s_waitcnt lgkmcnt(0)
	s_sub_i32 s2, s7, s10
	s_cmp_eq_u32 s2, 1
	s_cselect_b64 s[2:3], -1, 0
	s_andn2_b64 vcc, exec, s[0:1]
	s_cbranch_vccnz .LBB311_3
.LBB311_2:
	s_mov_b32 s29, 0
	s_mov_b64 s[2:3], -1
.LBB311_3:
	s_andn2_b64 vcc, exec, s[2:3]
	s_cbranch_vccz .LBB311_5
; %bb.4:
	s_endpgm
.LBB311_5:
	s_load_dwordx4 s[20:23], s[4:5], 0x18
	s_load_dword s8, s[4:5], 0x30
	s_lshl_b64 s[36:37], s[28:29], 2
	v_cmp_lt_u32_e32 vcc, 63, v0
	s_waitcnt lgkmcnt(0)
	s_add_u32 s0, s22, s36
	s_addc_u32 s1, s23, s37
	s_load_dword s44, s[0:1], 0x0
	s_load_dword s7, s[4:5], 0x40
	s_mul_i32 s22, s6, s8
	s_mul_i32 s2, s28, s8
	s_waitcnt lgkmcnt(0)
	s_add_i32 s3, s44, 0xff
	s_ashr_i32 s0, s3, 31
	s_lshr_b32 s0, s0, 24
	s_add_i32 s3, s3, s0
	s_and_saveexec_b64 s[0:1], vcc
	s_xor_b64 s[0:1], exec, s[0:1]
	s_or_saveexec_b64 s[38:39], s[0:1]
	s_ashr_i32 s33, s3, 8
	v_mov_b32_e32 v1, s22
	s_mul_i32 s40, s2, s7
	s_xor_b64 exec, exec, s[38:39]
	s_cbranch_execz .LBB311_9
; %bb.6:
	s_add_i32 s0, s33, -1
	v_or_b32_e32 v3, 64, v0
	v_mov_b32_e32 v1, s0
	v_cmp_gt_u32_e64 s[14:15], s33, v3
	v_cndmask_b32_e64 v4, v1, v3, s[14:15]
	v_or_b32_e32 v3, 0x80, v0
	v_cmp_gt_u32_e64 s[12:13], s33, v3
	v_cndmask_b32_e64 v6, v1, v3, s[12:13]
	v_or_b32_e32 v3, 0xc0, v0
	;; [unrolled: 3-line block ×3, first 2 shown]
	s_load_dwordx4 s[24:27], s[4:5], 0x8
	v_cmp_gt_u32_e64 s[8:9], s33, v3
	v_cndmask_b32_e64 v10, v1, v3, s[8:9]
	v_or_b32_e32 v3, 0x140, v0
	v_cmp_gt_u32_e64 s[2:3], s33, v3
	s_mov_b32 s41, 0
	v_cndmask_b32_e64 v12, v1, v3, s[2:3]
	v_or_b32_e32 v3, 0x180, v0
	v_cmp_gt_u32_e64 s[0:1], s33, v3
	s_lshl_b64 s[42:43], s[40:41], 2
	s_mov_b32 s23, s41
	v_cmp_gt_u32_e64 s[16:17], s33, v0
	v_cndmask_b32_e64 v14, v1, v3, s[0:1]
	v_or_b32_e32 v3, 0x1c0, v0
	s_waitcnt lgkmcnt(0)
	s_add_u32 s18, s26, s42
	v_cndmask_b32_e64 v2, v1, v0, s[16:17]
	v_cmp_gt_u32_e32 vcc, s33, v3
	s_addc_u32 s19, s27, s43
	s_lshl_b64 s[26:27], s[22:23], 2
	v_cndmask_b32_e32 v16, v1, v3, vcc
	s_add_u32 s23, s18, s26
	v_ashrrev_i32_e32 v3, 31, v2
	s_addc_u32 s41, s19, s27
	v_lshlrev_b64 v[2:3], 2, v[2:3]
	v_mov_b32_e32 v1, s41
	v_add_co_u32_e64 v18, s[18:19], s23, v2
	v_ashrrev_i32_e32 v5, 31, v4
	v_addc_co_u32_e64 v19, s[18:19], v1, v3, s[18:19]
	v_lshlrev_b64 v[4:5], 2, v[4:5]
	v_add_co_u32_e64 v20, s[18:19], s23, v4
	v_ashrrev_i32_e32 v7, 31, v6
	v_addc_co_u32_e64 v21, s[18:19], v1, v5, s[18:19]
	v_lshlrev_b64 v[6:7], 2, v[6:7]
	;; [unrolled: 4-line block ×7, first 2 shown]
	v_add_co_u32_e64 v32, s[18:19], s23, v16
	v_addc_co_u32_e64 v33, s[18:19], v1, v17, s[18:19]
	global_load_dword v1, v[18:19], off
	s_nop 0
	global_load_dword v18, v[20:21], off
	global_load_dword v19, v[22:23], off
	;; [unrolled: 1-line block ×7, first 2 shown]
	s_waitcnt vmcnt(7)
	v_max_f32_e32 v21, v1, v1
	s_waitcnt vmcnt(6)
	v_max_f32_e32 v20, v18, v18
	v_max_f32_e32 v20, v21, v20
	v_mbcnt_lo_u32_b32 v21, -1, 0
	v_mbcnt_hi_u32_b32 v21, -1, v21
	v_and_b32_e32 v22, 64, v21
	v_add_u32_e32 v22, 64, v22
	v_xor_b32_e32 v23, 32, v21
	s_waitcnt vmcnt(4)
	v_max3_f32 v20, v20, v19, v34
	v_cmp_lt_i32_e64 s[18:19], v23, v22
	s_waitcnt vmcnt(2)
	v_max3_f32 v20, v20, v35, v36
	v_cndmask_b32_e64 v23, v21, v23, s[18:19]
	s_waitcnt vmcnt(0)
	v_max3_f32 v20, v20, v37, v38
	v_lshlrev_b32_e32 v23, 2, v23
	ds_bpermute_b32 v24, v23, v20
	s_waitcnt lgkmcnt(0)
	v_max_f32_e32 v24, v24, v24
	v_max_f32_e32 v20, v20, v24
	v_xor_b32_e32 v24, 16, v21
	v_cmp_lt_i32_e64 s[18:19], v24, v22
	v_cndmask_b32_e64 v24, v21, v24, s[18:19]
	v_lshlrev_b32_e32 v24, 2, v24
	ds_bpermute_b32 v25, v24, v20
	s_waitcnt lgkmcnt(0)
	v_max_f32_e32 v25, v25, v25
	v_max_f32_e32 v20, v20, v25
	v_xor_b32_e32 v25, 8, v21
	v_cmp_lt_i32_e64 s[18:19], v25, v22
	v_cndmask_b32_e64 v25, v21, v25, s[18:19]
	;; [unrolled: 8-line block ×4, first 2 shown]
	v_lshlrev_b32_e32 v27, 2, v27
	s_add_u32 s18, s24, s42
	ds_bpermute_b32 v28, v27, v20
	s_addc_u32 s19, s25, s43
	s_add_u32 s23, s18, s26
	s_addc_u32 s24, s19, s27
	v_mov_b32_e32 v29, s24
	v_add_co_u32_e64 v2, s[18:19], s23, v2
	v_addc_co_u32_e64 v3, s[18:19], v29, v3, s[18:19]
	global_load_dword v29, v[2:3], off
	s_waitcnt lgkmcnt(0)
	v_max_f32_e32 v2, v28, v28
	v_max_f32_e32 v20, v20, v2
	v_xor_b32_e32 v2, 1, v21
	v_cmp_lt_i32_e64 s[18:19], v2, v22
	v_cndmask_b32_e64 v2, v21, v2, s[18:19]
	v_lshlrev_b32_e32 v21, 2, v2
	v_mov_b32_e32 v3, s24
	v_add_co_u32_e64 v2, s[18:19], s23, v4
	v_addc_co_u32_e64 v3, s[18:19], v3, v5, s[18:19]
	global_load_dword v28, v[2:3], off
	v_mov_b32_e32 v3, s24
	v_add_co_u32_e64 v2, s[18:19], s23, v6
	v_addc_co_u32_e64 v3, s[18:19], v3, v7, s[18:19]
	global_load_dword v30, v[2:3], off
	v_mov_b32_e32 v3, s24
	v_add_co_u32_e64 v2, s[18:19], s23, v8
	v_addc_co_u32_e64 v3, s[18:19], v3, v9, s[18:19]
	ds_bpermute_b32 v22, v21, v20
	global_load_dword v2, v[2:3], off
	v_mov_b32_e32 v5, s24
	v_add_co_u32_e64 v4, s[18:19], s23, v10
	v_addc_co_u32_e64 v5, s[18:19], v5, v11, s[18:19]
	v_mov_b32_e32 v7, s24
	v_add_co_u32_e64 v6, s[18:19], s23, v12
	v_addc_co_u32_e64 v7, s[18:19], v7, v13, s[18:19]
	s_waitcnt lgkmcnt(0)
	v_max_f32_e32 v12, v22, v22
	v_mov_b32_e32 v9, s24
	v_add_co_u32_e64 v8, s[18:19], s23, v14
	v_max_f32_e32 v12, v20, v12
	v_addc_co_u32_e64 v9, s[18:19], v9, v15, s[18:19]
	v_sub_f32_e32 v1, v1, v12
	v_add_co_u32_e64 v10, s[18:19], s23, v16
	s_mov_b32 s23, 0x3fb8aa3b
	v_mul_f32_e32 v3, 0x3fb8aa3b, v1
	v_fma_f32 v13, v1, s23, -v3
	v_rndne_f32_e32 v14, v3
	v_mov_b32_e32 v11, s24
	v_fmac_f32_e32 v13, 0x32a5705f, v1
	v_sub_f32_e32 v3, v3, v14
	v_addc_co_u32_e64 v11, s[18:19], v11, v17, s[18:19]
	v_add_f32_e32 v3, v3, v13
	v_cvt_i32_f32_e32 v13, v14
	global_load_dword v14, v[4:5], off
	global_load_dword v15, v[6:7], off
	;; [unrolled: 1-line block ×4, first 2 shown]
	v_sub_f32_e32 v5, v18, v12
	v_mul_f32_e32 v6, 0x3fb8aa3b, v5
	v_fma_f32 v7, v5, s23, -v6
	v_rndne_f32_e32 v8, v6
	v_exp_f32_e32 v3, v3
	v_fmac_f32_e32 v7, 0x32a5705f, v5
	v_sub_f32_e32 v6, v6, v8
	v_add_f32_e32 v6, v6, v7
	v_exp_f32_e32 v6, v6
	v_cvt_i32_f32_e32 v7, v8
	s_mov_b32 s24, 0xc2ce8ed0
	v_ldexp_f32 v3, v3, v13
	v_cmp_ngt_f32_e64 s[18:19], s24, v1
	s_mov_b32 s25, 0x42b17218
	v_cndmask_b32_e64 v3, 0, v3, s[18:19]
	v_mov_b32_e32 v4, 0x7f800000
	v_cmp_nlt_f32_e64 s[18:19], s25, v1
	v_cndmask_b32_e64 v1, v4, v3, s[18:19]
	v_ldexp_f32 v3, v6, v7
	v_sub_f32_e32 v6, v19, v12
	v_mul_f32_e32 v7, 0x3fb8aa3b, v6
	v_fma_f32 v8, v6, s23, -v7
	v_rndne_f32_e32 v9, v7
	v_fmac_f32_e32 v8, 0x32a5705f, v6
	v_sub_f32_e32 v7, v7, v9
	v_add_f32_e32 v7, v7, v8
	v_exp_f32_e32 v7, v7
	v_cvt_i32_f32_e32 v8, v9
	v_cndmask_b32_e64 v1, 0, v1, s[16:17]
	v_cmp_ngt_f32_e64 s[16:17], s24, v5
	v_cndmask_b32_e64 v3, 0, v3, s[16:17]
	v_cmp_nlt_f32_e64 s[16:17], s25, v5
	v_ldexp_f32 v5, v7, v8
	v_sub_f32_e32 v7, v34, v12
	v_mul_f32_e32 v8, 0x3fb8aa3b, v7
	v_fma_f32 v9, v7, s23, -v8
	v_rndne_f32_e32 v10, v8
	v_fmac_f32_e32 v9, 0x32a5705f, v7
	v_sub_f32_e32 v8, v8, v10
	v_add_f32_e32 v8, v8, v9
	v_exp_f32_e32 v8, v8
	v_cvt_i32_f32_e32 v9, v10
	v_cndmask_b32_e64 v3, v4, v3, s[16:17]
	v_cndmask_b32_e64 v3, 0, v3, s[14:15]
	v_cmp_ngt_f32_e64 s[14:15], s24, v6
	v_cndmask_b32_e64 v5, 0, v5, s[14:15]
	v_cmp_nlt_f32_e64 s[14:15], s25, v6
	v_ldexp_f32 v6, v8, v9
	v_sub_f32_e32 v8, v35, v12
	v_mul_f32_e32 v9, 0x3fb8aa3b, v8
	v_fma_f32 v10, v8, s23, -v9
	v_rndne_f32_e32 v11, v9
	v_fmac_f32_e32 v10, 0x32a5705f, v8
	v_sub_f32_e32 v9, v9, v11
	v_cndmask_b32_e64 v5, v4, v5, s[14:15]
	v_add_f32_e32 v9, v9, v10
	v_cndmask_b32_e64 v5, 0, v5, s[12:13]
	v_cmp_ngt_f32_e64 s[12:13], s24, v7
	v_exp_f32_e32 v9, v9
	v_cvt_i32_f32_e32 v10, v11
	v_cndmask_b32_e64 v6, 0, v6, s[12:13]
	v_cmp_nlt_f32_e64 s[12:13], s25, v7
	v_cndmask_b32_e64 v6, v4, v6, s[12:13]
	v_cndmask_b32_e64 v6, 0, v6, s[10:11]
	v_sub_f32_e32 v7, v36, v12
	s_waitcnt vmcnt(4)
	v_mul_f32_e32 v6, v2, v6
	v_ldexp_f32 v2, v9, v10
	v_mul_f32_e32 v9, 0x3fb8aa3b, v7
	v_fma_f32 v10, v7, s23, -v9
	v_rndne_f32_e32 v11, v9
	v_fmac_f32_e32 v10, 0x32a5705f, v7
	v_sub_f32_e32 v9, v9, v11
	v_add_f32_e32 v9, v9, v10
	v_cmp_ngt_f32_e64 s[10:11], s24, v8
	v_exp_f32_e32 v9, v9
	v_cvt_i32_f32_e32 v10, v11
	v_cndmask_b32_e64 v2, 0, v2, s[10:11]
	v_cmp_nlt_f32_e64 s[10:11], s25, v8
	v_cndmask_b32_e64 v2, v4, v2, s[10:11]
	v_cndmask_b32_e64 v2, 0, v2, s[8:9]
	s_waitcnt vmcnt(3)
	v_mul_f32_e32 v8, v14, v2
	v_ldexp_f32 v2, v9, v10
	v_sub_f32_e32 v9, v37, v12
	v_mul_f32_e32 v10, 0x3fb8aa3b, v9
	v_fma_f32 v11, v9, s23, -v10
	v_rndne_f32_e32 v13, v10
	v_fmac_f32_e32 v11, 0x32a5705f, v9
	v_sub_f32_e32 v10, v10, v13
	v_add_f32_e32 v10, v10, v11
	v_cmp_ngt_f32_e64 s[8:9], s24, v7
	v_exp_f32_e32 v10, v10
	v_cvt_i32_f32_e32 v11, v13
	v_cndmask_b32_e64 v2, 0, v2, s[8:9]
	v_cmp_nlt_f32_e64 s[8:9], s25, v7
	v_cndmask_b32_e64 v2, v4, v2, s[8:9]
	v_cndmask_b32_e64 v2, 0, v2, s[2:3]
	s_waitcnt vmcnt(2)
	v_mul_f32_e32 v7, v15, v2
	v_ldexp_f32 v2, v10, v11
	v_sub_f32_e32 v10, v38, v12
	v_mul_f32_e32 v11, 0x3fb8aa3b, v10
	v_fma_f32 v12, v10, s23, -v11
	v_rndne_f32_e32 v13, v11
	v_fmac_f32_e32 v12, 0x32a5705f, v10
	v_sub_f32_e32 v11, v11, v13
	v_add_f32_e32 v11, v11, v12
	v_exp_f32_e32 v11, v11
	v_cvt_i32_f32_e32 v12, v13
	v_cmp_ngt_f32_e64 s[2:3], s24, v9
	v_cndmask_b32_e64 v2, 0, v2, s[2:3]
	v_cmp_nlt_f32_e64 s[2:3], s25, v9
	v_cndmask_b32_e64 v2, v4, v2, s[2:3]
	v_cndmask_b32_e64 v2, 0, v2, s[0:1]
	v_ldexp_f32 v9, v11, v12
	v_cmp_ngt_f32_e64 s[0:1], s24, v10
	v_mul_f32_e32 v1, v29, v1
	v_mul_f32_e32 v3, v28, v3
	v_cndmask_b32_e64 v9, 0, v9, s[0:1]
	v_cmp_nlt_f32_e64 s[0:1], s25, v10
	v_mul_f32_e32 v5, v30, v5
	v_cndmask_b32_e64 v4, v4, v9, s[0:1]
	v_add_f32_e32 v9, v1, v3
	v_add_f32_e32 v9, v9, v5
	v_add_f32_e32 v9, v9, v6
	v_add_f32_e32 v9, v9, v8
	v_add_f32_e32 v9, v9, v7
	v_cndmask_b32_e32 v4, 0, v4, vcc
	s_waitcnt vmcnt(1)
	v_fmac_f32_e32 v9, v16, v2
	s_waitcnt vmcnt(0)
	v_fmac_f32_e32 v9, v17, v4
	ds_bpermute_b32 v10, v23, v9
	v_lshlrev_b32_e32 v12, 2, v0
	ds_write2st64_b32 v12, v1, v3 offset1:1
	v_mul_f32_e32 v11, v16, v2
	v_cmp_eq_u32_e32 vcc, 0, v0
	s_waitcnt lgkmcnt(1)
	v_add_f32_e32 v9, v9, v10
	ds_bpermute_b32 v10, v24, v9
	v_mul_f32_e32 v4, v17, v4
	ds_write2st64_b32 v12, v5, v6 offset0:2 offset1:3
	ds_write2st64_b32 v12, v8, v7 offset0:4 offset1:5
	ds_write2st64_b32 v12, v11, v4 offset0:6 offset1:7
	s_waitcnt lgkmcnt(3)
	v_add_f32_e32 v9, v9, v10
	ds_bpermute_b32 v10, v25, v9
	s_waitcnt lgkmcnt(0)
	v_add_f32_e32 v9, v9, v10
	ds_bpermute_b32 v10, v26, v9
	;; [unrolled: 3-line block ×4, first 2 shown]
	s_and_saveexec_b64 s[0:1], vcc
	s_cbranch_execz .LBB311_8
; %bb.7:
	s_waitcnt lgkmcnt(0)
	v_add_f32_e32 v1, v1, v2
	v_mov_b32_e32 v2, 0
	ds_write_b32 v2, v1 offset:2048
.LBB311_8:
	s_or_b64 exec, exec, s[0:1]
	v_mov_b32_e32 v1, s22
.LBB311_9:
	s_or_b64 exec, exec, s[38:39]
	s_lshl_b32 s0, s40, 7
	s_mov_b32 s1, 0
	s_lshl_b64 s[0:1], s[0:1], 1
	s_add_u32 s0, s20, s0
	s_addc_u32 s1, s21, s1
	s_lshl_b32 s10, s33, 7
	s_waitcnt lgkmcnt(0)
	v_lshlrev_b32_e32 v2, 7, v1
	v_mov_b32_e32 v3, 0
	s_add_i32 s11, s10, 0xffffff80
	v_lshlrev_b64 v[4:5], 1, v[2:3]
	s_cmp_lt_i32 s44, 1
	v_mov_b32_e32 v1, s1
	v_add_co_u32_e32 v2, vcc, s0, v4
	s_cselect_b32 s0, s11, 0
	v_addc_co_u32_e32 v1, vcc, v1, v5, vcc
	v_lshlrev_b32_e32 v116, 1, v0
	s_ashr_i32 s1, s0, 31
	v_add_co_u32_e32 v117, vcc, v2, v116
	s_lshl_b64 s[0:1], s[0:1], 1
	v_addc_co_u32_e32 v118, vcc, 0, v1, vcc
	s_cmpk_lt_i32 s44, 0x101
	v_add_co_u32_e32 v0, vcc, s0, v117
	s_cselect_b32 s0, s11, 0x80
	v_mov_b32_e32 v1, s1
	s_ashr_i32 s1, s0, 31
	s_lshl_b64 s[0:1], s[0:1], 1
	v_addc_co_u32_e32 v1, vcc, v118, v1, vcc
	s_cmpk_lt_i32 s44, 0x201
	v_add_co_u32_e32 v4, vcc, s0, v117
	s_cselect_b32 s0, s11, 0x100
	v_mov_b32_e32 v2, s1
	s_ashr_i32 s1, s0, 31
	;; [unrolled: 7-line block ×8, first 2 shown]
	s_lshl_b64 s[0:1], s[0:1], 1
	v_addc_co_u32_e32 v17, vcc, v118, v2, vcc
	s_cmpk_lt_i32 s44, 0x901
	global_load_ushort v40, v[0:1], off
	global_load_ushort v39, v[4:5], off
	;; [unrolled: 1-line block ×8, first 2 shown]
	v_add_co_u32_e32 v0, vcc, s0, v117
	s_cselect_b32 s0, s11, 0x480
	v_mov_b32_e32 v1, s1
	s_ashr_i32 s1, s0, 31
	s_lshl_b64 s[0:1], s[0:1], 1
	v_addc_co_u32_e32 v1, vcc, v118, v1, vcc
	s_cmpk_lt_i32 s44, 0xa01
	v_add_co_u32_e32 v4, vcc, s0, v117
	s_cselect_b32 s0, s11, 0x500
	v_mov_b32_e32 v5, s1
	s_ashr_i32 s1, s0, 31
	s_lshl_b64 s[0:1], s[0:1], 1
	v_addc_co_u32_e32 v5, vcc, v118, v5, vcc
	s_cmpk_lt_i32 s44, 0xb01
	v_add_co_u32_e32 v6, vcc, s0, v117
	s_cselect_b32 s0, s11, 0x580
	v_mov_b32_e32 v7, s1
	s_ashr_i32 s1, s0, 31
	s_lshl_b64 s[0:1], s[0:1], 1
	v_addc_co_u32_e32 v7, vcc, v118, v7, vcc
	s_cmpk_lt_i32 s44, 0xc01
	v_add_co_u32_e32 v8, vcc, s0, v117
	s_cselect_b32 s0, s11, 0x600
	v_mov_b32_e32 v9, s1
	s_ashr_i32 s1, s0, 31
	s_lshl_b64 s[0:1], s[0:1], 1
	v_addc_co_u32_e32 v9, vcc, v118, v9, vcc
	s_cmpk_lt_i32 s44, 0xd01
	v_add_co_u32_e32 v10, vcc, s0, v117
	s_cselect_b32 s0, s11, 0x680
	v_mov_b32_e32 v11, s1
	s_ashr_i32 s1, s0, 31
	s_lshl_b64 s[0:1], s[0:1], 1
	v_addc_co_u32_e32 v11, vcc, v118, v11, vcc
	s_cmpk_lt_i32 s44, 0xe01
	v_add_co_u32_e32 v12, vcc, s0, v117
	s_cselect_b32 s0, s11, 0x700
	v_mov_b32_e32 v13, s1
	s_ashr_i32 s1, s0, 31
	s_lshl_b64 s[0:1], s[0:1], 1
	v_addc_co_u32_e32 v13, vcc, v118, v13, vcc
	s_cmpk_lt_i32 s44, 0xf01
	v_add_co_u32_e32 v14, vcc, s0, v117
	s_cselect_b32 s0, s11, 0x780
	v_mov_b32_e32 v15, s1
	s_ashr_i32 s1, s0, 31
	v_addc_co_u32_e32 v15, vcc, v118, v15, vcc
	s_lshl_b64 s[0:1], s[0:1], 1
	v_mov_b32_e32 v17, s1
	v_add_co_u32_e32 v16, vcc, s0, v117
	v_addc_co_u32_e32 v17, vcc, v118, v17, vcc
	global_load_ushort v47, v[0:1], off
	global_load_ushort v48, v[4:5], off
	;; [unrolled: 1-line block ×8, first 2 shown]
	s_cmpk_gt_i32 s44, 0x1000
	s_cselect_b64 s[8:9], -1, 0
	s_cmpk_lt_i32 s44, 0x1001
	v_mov_b32_e32 v57, 0
	v_mov_b32_e32 v58, 0
	;; [unrolled: 1-line block ×48, first 2 shown]
	s_barrier
	s_cbranch_scc1 .LBB311_12
; %bb.10:
	s_cmpk_lt_u32 s44, 0x1101
	s_cselect_b32 s0, s11, 0x880
	s_ashr_i32 s1, s0, 31
	v_add_co_u32_e32 v0, vcc, 0x1000, v117
	s_lshl_b64 s[0:1], s[0:1], 1
	v_addc_co_u32_e32 v1, vcc, 0, v118, vcc
	s_cmpk_lt_u32 s44, 0x1201
	v_add_co_u32_e32 v4, vcc, s0, v117
	s_cselect_b32 s0, s11, 0x900
	v_mov_b32_e32 v5, s1
	s_ashr_i32 s1, s0, 31
	s_lshl_b64 s[0:1], s[0:1], 1
	v_addc_co_u32_e32 v5, vcc, v118, v5, vcc
	s_cmpk_lt_u32 s44, 0x1301
	v_add_co_u32_e32 v6, vcc, s0, v117
	s_cselect_b32 s0, s11, 0x980
	v_mov_b32_e32 v7, s1
	s_ashr_i32 s1, s0, 31
	;; [unrolled: 7-line block ×7, first 2 shown]
	s_lshl_b64 s[0:1], s[0:1], 1
	v_addc_co_u32_e32 v17, vcc, v118, v17, vcc
	s_cmpk_lt_u32 s44, 0x1901
	global_load_ushort v56, v[0:1], off
	global_load_ushort v55, v[4:5], off
	;; [unrolled: 1-line block ×8, first 2 shown]
	v_add_co_u32_e32 v0, vcc, s0, v117
	s_cselect_b32 s0, s11, 0xc80
	v_mov_b32_e32 v1, s1
	s_ashr_i32 s1, s0, 31
	s_lshl_b64 s[0:1], s[0:1], 1
	v_addc_co_u32_e32 v1, vcc, v118, v1, vcc
	s_cmpk_lt_u32 s44, 0x1a01
	v_add_co_u32_e32 v4, vcc, s0, v117
	s_cselect_b32 s0, s11, 0xd00
	v_mov_b32_e32 v5, s1
	s_ashr_i32 s1, s0, 31
	s_lshl_b64 s[0:1], s[0:1], 1
	v_addc_co_u32_e32 v5, vcc, v118, v5, vcc
	s_cmpk_lt_u32 s44, 0x1b01
	;; [unrolled: 7-line block ×6, first 2 shown]
	v_add_co_u32_e32 v14, vcc, s0, v117
	s_cselect_b32 s0, s11, 0xf80
	v_mov_b32_e32 v15, s1
	s_ashr_i32 s1, s0, 31
	v_addc_co_u32_e32 v15, vcc, v118, v15, vcc
	s_lshl_b64 s[0:1], s[0:1], 1
	v_mov_b32_e32 v17, s1
	v_add_co_u32_e32 v16, vcc, s0, v117
	v_addc_co_u32_e32 v17, vcc, v118, v17, vcc
	global_load_ushort v64, v[0:1], off
	global_load_ushort v63, v[4:5], off
	;; [unrolled: 1-line block ×8, first 2 shown]
	s_cmpk_lt_u32 s44, 0x2001
	v_mov_b32_e32 v33, 0
	v_mov_b32_e32 v31, 0
	;; [unrolled: 1-line block ×32, first 2 shown]
	s_cbranch_scc1 .LBB311_12
; %bb.11:
	s_cmpk_lt_u32 s44, 0x2101
	s_cselect_b32 s0, s11, 0x1080
	s_ashr_i32 s1, s0, 31
	s_lshl_b64 s[0:1], s[0:1], 1
	s_cmpk_lt_u32 s44, 0x2201
	v_add_co_u32_e32 v0, vcc, s0, v117
	s_cselect_b32 s0, s11, 0x1100
	v_mov_b32_e32 v1, s1
	s_ashr_i32 s1, s0, 31
	s_lshl_b64 s[0:1], s[0:1], 1
	v_addc_co_u32_e32 v1, vcc, v118, v1, vcc
	s_cmpk_lt_u32 s44, 0x2301
	v_add_co_u32_e32 v4, vcc, s0, v117
	s_cselect_b32 s0, s11, 0x1180
	v_mov_b32_e32 v5, s1
	s_ashr_i32 s1, s0, 31
	s_lshl_b64 s[0:1], s[0:1], 1
	v_addc_co_u32_e32 v5, vcc, v118, v5, vcc
	;; [unrolled: 7-line block ×30, first 2 shown]
	v_mov_b32_e32 v65, s1
	s_movk_i32 s1, 0x2000
	v_add_co_u32_e32 v94, vcc, s1, v117
	v_addc_co_u32_e32 v95, vcc, 0, v118, vcc
	global_load_ushort v96, v[94:95], off
	global_load_ushort v97, v[0:1], off
	;; [unrolled: 1-line block ×15, first 2 shown]
                                        ; kill: killed $vgpr18 killed $vgpr19
                                        ; kill: killed $vgpr0 killed $vgpr1
                                        ; kill: killed $vgpr28 killed $vgpr29
                                        ; kill: killed $vgpr8 killed $vgpr9
                                        ; kill: killed $vgpr14 killed $vgpr15
                                        ; kill: killed $vgpr20 killed $vgpr21
                                        ; kill: killed $vgpr4 killed $vgpr5
                                        ; kill: killed $vgpr94 killed $vgpr95
                                        ; kill: killed $vgpr32 killed $vgpr33
                                        ; kill: killed $vgpr10 killed $vgpr11
                                        ; kill: killed $vgpr16 killed $vgpr17
                                        ; kill: killed $vgpr24 killed $vgpr25
                                        ; kill: killed $vgpr6 killed $vgpr7
                                        ; kill: killed $vgpr66 killed $vgpr67
                                        ; kill: killed $vgpr12 killed $vgpr13
	global_load_ushort v4, v[22:23], off
	global_load_ushort v5, v[26:27], off
	;; [unrolled: 1-line block ×15, first 2 shown]
                                        ; kill: killed $vgpr82 killed $vgpr83
                                        ; kill: killed $vgpr30 killed $vgpr31
                                        ; kill: killed $vgpr88 killed $vgpr89
                                        ; kill: killed $vgpr72 killed $vgpr73
                                        ; kill: killed $vgpr78 killed $vgpr79
                                        ; kill: killed $vgpr22 killed $vgpr23
                                        ; kill: killed $vgpr68 killed $vgpr69
                                        ; kill: killed $vgpr90 killed $vgpr91
                                        ; kill: killed $vgpr74 killed $vgpr75
                                        ; kill: killed $vgpr80 killed $vgpr81
                                        ; kill: killed $vgpr26 killed $vgpr27
                                        ; kill: killed $vgpr86 killed $vgpr87
                                        ; kill: killed $vgpr70 killed $vgpr71
                                        ; kill: killed $vgpr92 killed $vgpr93
                                        ; kill: killed $vgpr76 killed $vgpr77
	global_load_ushort v68, v[84:85], off
	v_add_co_u32_e32 v0, vcc, s0, v117
	v_addc_co_u32_e32 v1, vcc, v118, v65, vcc
	global_load_ushort v1, v[0:1], off
	s_waitcnt vmcnt(31)
	v_lshlrev_b32_e32 v33, 16, v96
	s_waitcnt vmcnt(30)
	v_lshlrev_b32_e32 v31, 16, v97
	;; [unrolled: 2-line block ×32, first 2 shown]
.LBB311_12:
	s_load_dwordx2 s[0:1], s[4:5], 0x0
	s_load_dwordx2 s[2:3], s[4:5], 0x38
	ds_read_b128 v[66:69], v3
	s_waitcnt vmcnt(15)
	v_lshlrev_b32_e32 v40, 16, v40
	s_waitcnt vmcnt(14)
	v_lshlrev_b32_e32 v39, 16, v39
	ds_read_b128 v[70:73], v3 offset:16
	ds_read_b128 v[74:77], v3 offset:32
	;; [unrolled: 1-line block ×3, first 2 shown]
	s_waitcnt vmcnt(13)
	v_lshlrev_b32_e32 v38, 16, v38
	s_waitcnt lgkmcnt(0)
	v_fma_f32 v40, v66, v40, 0
	v_fmac_f32_e32 v40, v67, v39
	v_fmac_f32_e32 v40, v68, v38
	s_waitcnt vmcnt(12)
	v_lshlrev_b32_e32 v37, 16, v37
	v_fmac_f32_e32 v40, v69, v37
	s_waitcnt vmcnt(10)
	v_lshlrev_b32_e32 v37, 16, v36
	v_lshlrev_b32_e32 v36, 16, v35
	v_pk_mul_f32 v[36:37], v[70:71], v[36:37]
	v_add_f32_e32 v35, v40, v36
	v_add_f32_e32 v36, v35, v37
	s_waitcnt vmcnt(8)
	v_lshlrev_b32_e32 v35, 16, v34
	v_lshlrev_b32_e32 v34, 16, v2
	v_pk_mul_f32 v[34:35], v[72:73], v[34:35]
	v_add_f32_e32 v2, v36, v34
	v_add_f32_e32 v2, v2, v35
	;; [unrolled: 6-line block ×6, first 2 shown]
	s_and_b64 vcc, exec, s[8:9]
	s_cbranch_vccz .LBB311_15
; %bb.13:
	ds_read_b128 v[34:37], v3 offset:64
	v_lshlrev_b32_e32 v2, 16, v56
	ds_read_b128 v[38:41], v3 offset:80
	ds_read_b128 v[42:45], v3 offset:96
	;; [unrolled: 1-line block ×3, first 2 shown]
	s_cmpk_lt_u32 s44, 0x2001
	s_waitcnt lgkmcnt(3)
	v_fmac_f32_e32 v119, v34, v2
	v_lshlrev_b32_e32 v2, 16, v55
	v_fmac_f32_e32 v119, v35, v2
	v_lshlrev_b32_e32 v2, 16, v54
	v_fmac_f32_e32 v119, v36, v2
	v_lshlrev_b32_e32 v2, 16, v53
	v_fmac_f32_e32 v119, v37, v2
	v_lshlrev_b32_e32 v2, 16, v52
	s_waitcnt lgkmcnt(2)
	v_fmac_f32_e32 v119, v38, v2
	v_lshlrev_b32_e32 v2, 16, v51
	v_fmac_f32_e32 v119, v39, v2
	v_lshlrev_b32_e32 v2, 16, v50
	v_fmac_f32_e32 v119, v40, v2
	v_lshlrev_b32_e32 v2, 16, v49
	v_fmac_f32_e32 v119, v41, v2
	v_lshlrev_b32_e32 v2, 16, v64
	;; [unrolled: 9-line block ×3, first 2 shown]
	s_waitcnt lgkmcnt(0)
	v_fmac_f32_e32 v119, v66, v2
	v_lshlrev_b32_e32 v2, 16, v59
	v_fmac_f32_e32 v119, v67, v2
	v_lshlrev_b32_e32 v2, 16, v58
	;; [unrolled: 2-line block ×3, first 2 shown]
	v_fmac_f32_e32 v119, v69, v2
	s_cbranch_scc1 .LBB311_15
; %bb.14:
	v_mov_b32_e32 v50, 0
	ds_read_b128 v[34:37], v50 offset:128
	ds_read_b128 v[38:41], v50 offset:144
	;; [unrolled: 1-line block ×4, first 2 shown]
	s_waitcnt lgkmcnt(3)
	v_fmac_f32_e32 v119, v34, v33
	v_fmac_f32_e32 v119, v35, v31
	v_fmac_f32_e32 v119, v36, v32
	v_fmac_f32_e32 v119, v37, v29
	s_waitcnt lgkmcnt(2)
	v_fmac_f32_e32 v119, v38, v30
	v_fmac_f32_e32 v119, v39, v27
	v_fmac_f32_e32 v119, v40, v28
	v_fmac_f32_e32 v119, v41, v25
	;; [unrolled: 5-line block ×3, first 2 shown]
	s_waitcnt lgkmcnt(0)
	v_fmac_f32_e32 v119, v46, v22
	ds_read_b128 v[22:25], v50 offset:192
	v_fmac_f32_e32 v119, v47, v19
	v_fmac_f32_e32 v119, v48, v20
	;; [unrolled: 1-line block ×3, first 2 shown]
	ds_read_b128 v[18:21], v50 offset:208
	s_waitcnt lgkmcnt(1)
	v_fmac_f32_e32 v119, v22, v17
	v_fmac_f32_e32 v119, v23, v15
	;; [unrolled: 1-line block ×4, first 2 shown]
	s_waitcnt lgkmcnt(0)
	v_pk_mul_f32 v[2:3], v[18:19], v[12:13]
	ds_read_b128 v[12:15], v50 offset:224
	v_add_f32_e32 v2, v119, v2
	v_add_f32_e32 v16, v2, v3
	v_pk_mul_f32 v[2:3], v[20:21], v[10:11]
	v_add_f32_e32 v2, v16, v2
	ds_read_b128 v[16:19], v50 offset:240
	v_add_f32_e32 v10, v2, v3
	s_waitcnt lgkmcnt(1)
	v_pk_mul_f32 v[2:3], v[12:13], v[8:9]
	v_add_f32_e32 v2, v10, v2
	v_add_f32_e32 v8, v2, v3
	v_pk_mul_f32 v[2:3], v[14:15], v[6:7]
	v_add_f32_e32 v2, v8, v2
	v_add_f32_e32 v6, v2, v3
	s_waitcnt lgkmcnt(0)
	v_pk_mul_f32 v[2:3], v[16:17], v[4:5]
	v_add_f32_e32 v2, v6, v2
	v_add_f32_e32 v2, v2, v3
	v_pk_mul_f32 v[0:1], v[18:19], v[0:1]
	v_add_f32_e32 v0, v2, v0
	v_add_f32_e32 v119, v0, v1
.LBB311_15:
	s_movk_i32 s4, 0x3f80
	s_movk_i32 s5, 0x100
	s_mov_b32 s8, 64
	s_branch .LBB311_17
.LBB311_16:                             ;   in Loop: Header=BB311_17 Depth=1
	s_addk_i32 s4, 0x2000
	s_addk_i32 s5, 0x100
	s_add_i32 s8, s8, 64
	s_cmp_eq_u32 s4, 0x11f80
	s_cbranch_scc1 .LBB311_19
.LBB311_17:                             ; =>This Inner Loop Header: Depth=1
	s_cmp_le_i32 s33, s8
	s_cbranch_scc1 .LBB311_16
; %bb.18:                               ;   in Loop: Header=BB311_17 Depth=1
	s_add_i32 s9, s4, 0xffffe080
	s_cmp_lt_i32 s9, s10
	s_cselect_b32 s12, s9, s11
	s_ashr_i32 s13, s12, 31
	s_lshl_b64 s[12:13], s[12:13], 1
	s_add_i32 s9, s4, 0xffffe100
	s_cmp_lt_i32 s9, s10
	v_add_co_u32_e32 v2, vcc, s12, v117
	s_cselect_b32 s12, s9, s11
	v_mov_b32_e32 v0, s13
	s_ashr_i32 s13, s12, 31
	s_lshl_b64 s[12:13], s[12:13], 1
	s_add_i32 s9, s4, 0xffffe180
	v_addc_co_u32_e32 v3, vcc, v118, v0, vcc
	s_cmp_lt_i32 s9, s10
	v_add_co_u32_e32 v0, vcc, s12, v117
	s_cselect_b32 s12, s9, s11
	v_mov_b32_e32 v1, s13
	s_ashr_i32 s13, s12, 31
	s_lshl_b64 s[12:13], s[12:13], 1
	s_add_i32 s9, s4, 0xffffe200
	v_addc_co_u32_e32 v1, vcc, v118, v1, vcc
	;; [unrolled: 8-line block ×21, first 2 shown]
	s_cmp_lt_i32 s9, s10
	global_load_ushort v120, v[2:3], off
	global_load_ushort v122, v[4:5], off
	;; [unrolled: 1-line block ×4, first 2 shown]
	v_add_co_u32_e32 v42, vcc, s12, v117
	s_cselect_b32 s12, s9, s11
	v_mov_b32_e32 v43, s13
	s_ashr_i32 s13, s12, 31
	s_lshl_b64 s[12:13], s[12:13], 1
	s_add_i32 s9, s4, 0xffffec00
	v_addc_co_u32_e32 v43, vcc, v118, v43, vcc
	s_cmp_lt_i32 s9, s10
	v_add_co_u32_e32 v44, vcc, s12, v117
	s_cselect_b32 s12, s9, s11
	v_mov_b32_e32 v45, s13
	s_ashr_i32 s13, s12, 31
	s_lshl_b64 s[12:13], s[12:13], 1
	s_add_i32 s9, s4, 0xffffec80
	v_addc_co_u32_e32 v45, vcc, v118, v45, vcc
	s_cmp_lt_i32 s9, s10
	;; [unrolled: 8-line block ×8, first 2 shown]
	global_load_ushort v121, v[0:1], off
	v_add_co_u32_e32 v58, vcc, s12, v117
	s_cselect_b32 s12, s9, s11
	v_mov_b32_e32 v59, s13
	s_ashr_i32 s13, s12, 31
	s_lshl_b64 s[12:13], s[12:13], 1
	s_add_i32 s9, s4, 0xfffff000
	v_addc_co_u32_e32 v59, vcc, v118, v59, vcc
	s_cmp_lt_i32 s9, s10
	v_add_co_u32_e32 v60, vcc, s12, v117
	s_cselect_b32 s12, s9, s11
	global_load_ushort v125, v[10:11], off
	global_load_ushort v126, v[12:13], off
	v_mov_b32_e32 v61, s13
	s_ashr_i32 s13, s12, 31
	global_load_ushort v127, v[14:15], off
	global_load_ushort v128, v[16:17], off
	;; [unrolled: 1-line block ×3, first 2 shown]
	s_lshl_b64 s[12:13], s[12:13], 1
	s_add_i32 s9, s4, 0xfffff080
	v_addc_co_u32_e32 v61, vcc, v118, v61, vcc
	s_cmp_lt_i32 s9, s10
	v_add_co_u32_e32 v62, vcc, s12, v117
	s_cselect_b32 s12, s9, s11
	v_mov_b32_e32 v63, s13
	s_ashr_i32 s13, s12, 31
	s_lshl_b64 s[12:13], s[12:13], 1
	s_add_i32 s9, s4, 0xfffff100
	v_addc_co_u32_e32 v63, vcc, v118, v63, vcc
	s_cmp_lt_i32 s9, s10
	v_add_co_u32_e32 v64, vcc, s12, v117
	s_cselect_b32 s12, s9, s11
	v_mov_b32_e32 v65, s13
	s_ashr_i32 s13, s12, 31
	global_load_ushort v130, v[20:21], off
	global_load_ushort v131, v[22:23], off
	s_lshl_b64 s[12:13], s[12:13], 1
	s_add_i32 s9, s4, 0xfffff180
	v_addc_co_u32_e32 v65, vcc, v118, v65, vcc
	s_cmp_lt_i32 s9, s10
	global_load_ushort v132, v[24:25], off
	global_load_ushort v133, v[26:27], off
	v_add_co_u32_e32 v66, vcc, s12, v117
	s_cselect_b32 s12, s9, s11
	v_mov_b32_e32 v67, s13
	s_ashr_i32 s13, s12, 31
	s_lshl_b64 s[12:13], s[12:13], 1
	s_add_i32 s9, s4, 0xfffff200
	v_addc_co_u32_e32 v67, vcc, v118, v67, vcc
	s_cmp_lt_i32 s9, s10
	v_add_co_u32_e32 v68, vcc, s12, v117
	s_cselect_b32 s12, s9, s11
	v_mov_b32_e32 v69, s13
	s_ashr_i32 s13, s12, 31
	global_load_ushort v134, v[28:29], off
	global_load_ushort v135, v[30:31], off
	s_lshl_b64 s[12:13], s[12:13], 1
	s_add_i32 s9, s4, 0xfffff280
	v_addc_co_u32_e32 v69, vcc, v118, v69, vcc
	s_cmp_lt_i32 s9, s10
	v_add_co_u32_e32 v70, vcc, s12, v117
	s_cselect_b32 s12, s9, s11
	v_mov_b32_e32 v71, s13
	s_ashr_i32 s13, s12, 31
	s_lshl_b64 s[12:13], s[12:13], 1
	s_add_i32 s9, s4, 0xfffff300
	global_load_ushort v28, v[32:33], off
	global_load_ushort v29, v[34:35], off
	;; [unrolled: 1-line block ×4, first 2 shown]
	v_addc_co_u32_e32 v71, vcc, v118, v71, vcc
	s_cmp_lt_i32 s9, s10
	v_add_co_u32_e32 v72, vcc, s12, v117
	s_cselect_b32 s12, s9, s11
	v_mov_b32_e32 v73, s13
	s_ashr_i32 s13, s12, 31
	s_lshl_b64 s[12:13], s[12:13], 1
	s_add_i32 s9, s4, 0xfffff380
	v_addc_co_u32_e32 v73, vcc, v118, v73, vcc
	s_cmp_lt_i32 s9, s10
	v_add_co_u32_e32 v74, vcc, s12, v117
	s_cselect_b32 s12, s9, s11
	v_mov_b32_e32 v75, s13
	s_ashr_i32 s13, s12, 31
	s_lshl_b64 s[12:13], s[12:13], 1
	s_add_i32 s9, s4, 0xfffff400
	v_addc_co_u32_e32 v75, vcc, v118, v75, vcc
	s_cmp_lt_i32 s9, s10
	v_add_co_u32_e32 v76, vcc, s12, v117
	s_cselect_b32 s12, s9, s11
	global_load_ushort v32, v[40:41], off
	global_load_ushort v33, v[42:43], off
	v_mov_b32_e32 v77, s13
	s_ashr_i32 s13, s12, 31
	s_lshl_b64 s[12:13], s[12:13], 1
	s_add_i32 s9, s4, 0xfffff480
	v_addc_co_u32_e32 v77, vcc, v118, v77, vcc
	s_cmp_lt_i32 s9, s10
	v_add_co_u32_e32 v78, vcc, s12, v117
	s_cselect_b32 s12, s9, s11
	v_mov_b32_e32 v79, s13
	s_ashr_i32 s13, s12, 31
	global_load_ushort v36, v[44:45], off
	s_lshl_b64 s[12:13], s[12:13], 1
	s_add_i32 s9, s4, 0xfffff500
	v_mov_b32_e32 v35, s5
	v_addc_co_u32_e32 v79, vcc, v118, v79, vcc
	s_cmp_lt_i32 s9, s10
	ds_read_b128 v[12:15], v35
	ds_read_b128 v[16:19], v35 offset:16
	global_load_ushort v37, v[46:47], off
	v_add_co_u32_e32 v80, vcc, s12, v117
	s_cselect_b32 s12, s9, s11
	v_mov_b32_e32 v81, s13
	s_ashr_i32 s13, s12, 31
	s_lshl_b64 s[12:13], s[12:13], 1
	s_add_i32 s9, s4, 0xfffff580
	v_addc_co_u32_e32 v81, vcc, v118, v81, vcc
	s_cmp_lt_i32 s9, s10
	s_waitcnt vmcnt(23)
	v_lshlrev_b32_e32 v34, 16, v120
	v_add_co_u32_e32 v82, vcc, s12, v117
	s_cselect_b32 s12, s9, s11
	ds_read_b128 v[20:23], v35 offset:32
	ds_read_b128 v[24:27], v35 offset:48
	s_waitcnt lgkmcnt(3)
	v_fmac_f32_e32 v119, v12, v34
	global_load_ushort v34, v[48:49], off
	global_load_ushort v38, v[50:51], off
	;; [unrolled: 1-line block ×6, first 2 shown]
	v_mov_b32_e32 v83, s13
	s_ashr_i32 s13, s12, 31
	s_lshl_b64 s[12:13], s[12:13], 1
	s_add_i32 s9, s4, 0xfffff600
	v_addc_co_u32_e32 v83, vcc, v118, v83, vcc
	s_cmp_lt_i32 s9, s10
	v_add_co_u32_e32 v84, vcc, s12, v117
	s_cselect_b32 s12, s9, s11
	v_mov_b32_e32 v85, s13
	s_ashr_i32 s13, s12, 31
	s_lshl_b64 s[12:13], s[12:13], 1
	s_add_i32 s9, s4, 0xfffff680
	v_addc_co_u32_e32 v85, vcc, v118, v85, vcc
	s_cmp_lt_i32 s9, s10
	v_add_co_u32_e32 v86, vcc, s12, v117
	s_cselect_b32 s12, s9, s11
	;; [unrolled: 8-line block ×7, first 2 shown]
	v_mov_b32_e32 v97, s13
	s_ashr_i32 s13, s12, 31
	s_lshl_b64 s[12:13], s[12:13], 1
	s_add_i32 s9, s4, 0xfffff980
	v_addc_co_u32_e32 v97, vcc, v118, v97, vcc
	s_cmp_lt_i32 s9, s10
	s_waitcnt vmcnt(25)
	v_lshlrev_b32_e32 v12, 16, v121
	v_add_co_u32_e32 v98, vcc, s12, v117
	s_cselect_b32 s12, s9, s11
	v_fmac_f32_e32 v119, v13, v12
	v_lshlrev_b32_e32 v12, 16, v122
	v_mov_b32_e32 v99, s13
	s_ashr_i32 s13, s12, 31
	v_fmac_f32_e32 v119, v14, v12
	v_lshlrev_b32_e32 v12, 16, v123
	s_lshl_b64 s[12:13], s[12:13], 1
	s_add_i32 s9, s4, 0xfffffa00
	v_fmac_f32_e32 v119, v15, v12
	v_lshlrev_b32_e32 v12, 16, v124
	v_addc_co_u32_e32 v99, vcc, v118, v99, vcc
	s_cmp_lt_i32 s9, s10
	s_waitcnt lgkmcnt(2)
	v_fmac_f32_e32 v119, v16, v12
	s_waitcnt vmcnt(24)
	v_lshlrev_b32_e32 v12, 16, v125
	v_add_co_u32_e32 v100, vcc, s12, v117
	s_cselect_b32 s12, s9, s11
	v_fmac_f32_e32 v119, v17, v12
	s_waitcnt vmcnt(23)
	v_lshlrev_b32_e32 v12, 16, v126
	v_mov_b32_e32 v101, s13
	s_ashr_i32 s13, s12, 31
	v_fmac_f32_e32 v119, v18, v12
	s_waitcnt vmcnt(22)
	v_lshlrev_b32_e32 v12, 16, v127
	s_lshl_b64 s[12:13], s[12:13], 1
	s_add_i32 s9, s4, 0xfffffa80
	v_fmac_f32_e32 v119, v19, v12
	s_waitcnt vmcnt(21)
	v_lshlrev_b32_e32 v12, 16, v128
	v_addc_co_u32_e32 v101, vcc, v118, v101, vcc
	s_cmp_lt_i32 s9, s10
	s_waitcnt lgkmcnt(1)
	v_fmac_f32_e32 v119, v20, v12
	global_load_ushort v20, v[60:61], off
	v_add_co_u32_e32 v102, vcc, s12, v117
	s_cselect_b32 s12, s9, s11
	v_mov_b32_e32 v103, s13
	s_ashr_i32 s13, s12, 31
	s_lshl_b64 s[12:13], s[12:13], 1
	s_add_i32 s9, s4, 0xfffffb00
	s_waitcnt vmcnt(21)
	v_lshlrev_b32_e32 v12, 16, v129
	v_addc_co_u32_e32 v103, vcc, v118, v103, vcc
	s_cmp_lt_i32 s9, s10
	v_fmac_f32_e32 v119, v21, v12
	global_load_ushort v21, v[62:63], off
	v_add_co_u32_e32 v104, vcc, s12, v117
	s_cselect_b32 s12, s9, s11
	s_waitcnt vmcnt(21)
	v_lshlrev_b32_e32 v12, 16, v130
	global_load_ushort v43, v[64:65], off
	v_mov_b32_e32 v105, s13
	s_ashr_i32 s13, s12, 31
	v_fmac_f32_e32 v119, v22, v12
	global_load_ushort v22, v[66:67], off
	s_waitcnt vmcnt(22)
	v_lshlrev_b32_e32 v12, 16, v131
	s_lshl_b64 s[12:13], s[12:13], 1
	s_add_i32 s9, s4, 0xfffffb80
	v_fmac_f32_e32 v119, v23, v12
	global_load_ushort v23, v[68:69], off
	global_load_ushort v44, v[70:71], off
	v_addc_co_u32_e32 v105, vcc, v118, v105, vcc
	s_cmp_lt_i32 s9, s10
	s_waitcnt vmcnt(23)
	v_lshlrev_b32_e32 v12, 16, v132
	v_add_co_u32_e32 v108, vcc, s12, v117
	s_cselect_b32 s12, s9, s11
	s_waitcnt lgkmcnt(0)
	v_fmac_f32_e32 v119, v24, v12
	global_load_ushort v24, v[72:73], off
	global_load_ushort v45, v[74:75], off
	v_mov_b32_e32 v106, s13
	s_ashr_i32 s13, s12, 31
	s_waitcnt vmcnt(24)
	v_lshlrev_b32_e32 v12, 16, v133
	s_lshl_b64 s[12:13], s[12:13], 1
	s_add_i32 s9, s4, 0xfffffc00
	v_fmac_f32_e32 v119, v25, v12
	global_load_ushort v25, v[76:77], off
	v_addc_co_u32_e32 v109, vcc, v118, v106, vcc
	s_cmp_lt_i32 s9, s10
	v_add_co_u32_e32 v106, vcc, s12, v117
	s_cselect_b32 s12, s9, s11
	s_waitcnt vmcnt(24)
	v_lshlrev_b32_e32 v12, 16, v134
	v_mov_b32_e32 v107, s13
	s_ashr_i32 s13, s12, 31
	v_fmac_f32_e32 v119, v26, v12
	global_load_ushort v26, v[78:79], off
	s_waitcnt vmcnt(24)
	v_lshlrev_b32_e32 v12, 16, v135
	s_lshl_b64 s[12:13], s[12:13], 1
	s_add_i32 s9, s4, 0xfffffc80
	v_fmac_f32_e32 v119, v27, v12
	ds_read_b128 v[12:15], v35 offset:64
	ds_read_b128 v[16:19], v35 offset:80
	v_addc_co_u32_e32 v107, vcc, v118, v107, vcc
	s_cmp_lt_i32 s9, s10
	global_load_ushort v46, v[80:81], off
	global_load_ushort v27, v[82:83], off
	;; [unrolled: 1-line block ×4, first 2 shown]
	v_add_co_u32_e32 v112, vcc, s12, v117
	s_cselect_b32 s12, s9, s11
	v_mov_b32_e32 v110, s13
	s_ashr_i32 s13, s12, 31
	s_lshl_b64 s[12:13], s[12:13], 1
	s_add_i32 s9, s4, 0xfffffd00
	s_waitcnt vmcnt(27)
	v_lshlrev_b32_e32 v28, 16, v28
	v_addc_co_u32_e32 v113, vcc, v118, v110, vcc
	s_cmp_lt_i32 s9, s10
	s_waitcnt lgkmcnt(1)
	v_fmac_f32_e32 v119, v12, v28
	global_load_ushort v28, v[88:89], off
	v_add_co_u32_e32 v110, vcc, s12, v117
	s_cselect_b32 s12, s9, s11
	s_waitcnt vmcnt(27)
	v_lshlrev_b32_e32 v12, 16, v29
	global_load_ushort v29, v[90:91], off
	global_load_ushort v49, v[92:93], off
	v_mov_b32_e32 v111, s13
	s_ashr_i32 s13, s12, 31
	s_lshl_b64 s[12:13], s[12:13], 1
	s_add_i32 s9, s4, 0xfffffd80
	v_addc_co_u32_e32 v111, vcc, v118, v111, vcc
	s_cmp_lt_i32 s9, s10
	v_add_co_u32_e32 v114, vcc, s12, v117
	s_cselect_b32 s12, s9, s11
	v_mov_b32_e32 v115, s13
	s_ashr_i32 s13, s12, 31
	v_fmac_f32_e32 v119, v13, v12
	s_waitcnt vmcnt(28)
	v_lshlrev_b32_e32 v12, 16, v30
	global_load_ushort v30, v[94:95], off
	s_lshl_b64 s[12:13], s[12:13], 1
	s_add_i32 s9, s4, 0xfffffe00
	v_fmac_f32_e32 v119, v14, v12
	s_waitcnt vmcnt(28)
	v_lshlrev_b32_e32 v12, 16, v31
	global_load_ushort v31, v[96:97], off
	v_addc_co_u32_e32 v115, vcc, v118, v115, vcc
	s_cmp_lt_i32 s9, s10
	v_fmac_f32_e32 v119, v15, v12
	s_waitcnt vmcnt(28)
	v_lshlrev_b32_e32 v12, 16, v32
	global_load_ushort v32, v[98:99], off
	global_load_ushort v50, v[100:101], off
	v_add_co_u32_e32 v0, vcc, s12, v117
	s_cselect_b32 s12, s9, s11
	v_mov_b32_e32 v2, s13
	s_ashr_i32 s13, s12, 31
	s_lshl_b64 s[12:13], s[12:13], 1
	s_add_i32 s9, s4, 0xfffffe80
	s_waitcnt lgkmcnt(0)
	v_fmac_f32_e32 v119, v16, v12
	s_waitcnt vmcnt(29)
	v_lshlrev_b32_e32 v12, 16, v33
	global_load_ushort v33, v[102:103], off
	global_load_ushort v51, v[104:105], off
	global_load_ushort v52, v[108:109], off
	v_addc_co_u32_e32 v1, vcc, v118, v2, vcc
	s_cmp_lt_i32 s9, s10
	v_add_co_u32_e32 v2, vcc, s12, v117
	s_cselect_b32 s12, s9, s11
	v_mov_b32_e32 v3, s13
	s_ashr_i32 s13, s12, 31
	v_fmac_f32_e32 v119, v17, v12
	s_waitcnt vmcnt(31)
	v_lshlrev_b32_e32 v12, 16, v36
	global_load_ushort v36, v[106:107], off
	global_load_ushort v53, v[112:113], off
	s_lshl_b64 s[12:13], s[12:13], 1
	s_add_i32 s9, s4, 0xffffff00
	v_addc_co_u32_e32 v3, vcc, v118, v3, vcc
	s_cmp_lt_i32 s9, s10
	v_fmac_f32_e32 v119, v18, v12
	s_waitcnt vmcnt(32)
	v_lshlrev_b32_e32 v12, 16, v37
	v_add_co_u32_e32 v4, vcc, s12, v117
	s_cselect_b32 s12, s9, s11
	v_fmac_f32_e32 v119, v19, v12
	ds_read_b128 v[12:15], v35 offset:96
	v_mov_b32_e32 v5, s13
	s_ashr_i32 s13, s12, 31
	s_lshl_b64 s[12:13], s[12:13], 1
	s_add_i32 s9, s4, 0xffffff80
	v_addc_co_u32_e32 v5, vcc, v118, v5, vcc
	s_cmp_lt_i32 s9, s10
	global_load_ushort v37, v[110:111], off
	global_load_ushort v54, v[114:115], off
	v_add_co_u32_e32 v8, vcc, s12, v117
	s_cselect_b32 s12, s9, s11
	s_waitcnt vmcnt(33)
	v_lshlrev_b32_e32 v34, 16, v34
	v_mov_b32_e32 v6, s13
	s_ashr_i32 s13, s12, 31
	s_waitcnt lgkmcnt(0)
	v_fmac_f32_e32 v119, v12, v34
	s_waitcnt vmcnt(32)
	v_lshlrev_b32_e32 v12, 16, v38
	s_lshl_b64 s[12:13], s[12:13], 1
	ds_read_b128 v[16:19], v35 offset:112
	v_fmac_f32_e32 v119, v13, v12
	global_load_ushort v12, v[0:1], off
	global_load_ushort v13, v[2:3], off
	v_addc_co_u32_e32 v9, vcc, v118, v6, vcc
	s_cmp_lt_i32 s4, s10
	v_add_co_u32_e32 v6, vcc, s12, v117
	s_cselect_b32 s12, s4, s11
	s_waitcnt vmcnt(33)
	v_lshlrev_b32_e32 v0, 16, v39
	v_mov_b32_e32 v7, s13
	s_ashr_i32 s13, s12, 31
	v_fmac_f32_e32 v119, v14, v0
	global_load_ushort v14, v[4:5], off
	global_load_ushort v34, v[8:9], off
	v_addc_co_u32_e32 v7, vcc, v118, v7, vcc
	s_lshl_b64 s[12:13], s[12:13], 1
	s_waitcnt vmcnt(34)
	v_lshlrev_b32_e32 v0, 16, v40
	v_mov_b32_e32 v11, s13
	v_add_co_u32_e32 v10, vcc, s12, v117
	v_fmac_f32_e32 v119, v15, v0
	s_waitcnt vmcnt(33)
	v_lshlrev_b32_e32 v0, 16, v41
	v_addc_co_u32_e32 v11, vcc, v118, v11, vcc
	s_waitcnt lgkmcnt(0)
	v_fmac_f32_e32 v119, v16, v0
	global_load_ushort v15, v[6:7], off
	global_load_ushort v16, v[10:11], off
	s_waitcnt vmcnt(34)
	v_lshlrev_b32_e32 v0, 16, v42
	v_fmac_f32_e32 v119, v17, v0
	s_waitcnt vmcnt(33)
	v_lshlrev_b32_e32 v0, 16, v20
	v_fmac_f32_e32 v119, v18, v0
	ds_read_b128 v[0:3], v35 offset:128
	s_waitcnt vmcnt(32)
	v_lshlrev_b32_e32 v4, 16, v21
	v_fmac_f32_e32 v119, v19, v4
	ds_read_b128 v[4:7], v35 offset:144
	s_waitcnt vmcnt(31)
	v_lshlrev_b32_e32 v8, 16, v43
	s_waitcnt lgkmcnt(1)
	v_fmac_f32_e32 v119, v0, v8
	s_waitcnt vmcnt(30)
	v_lshlrev_b32_e32 v0, 16, v22
	v_fmac_f32_e32 v119, v1, v0
	s_waitcnt vmcnt(29)
	v_lshlrev_b32_e32 v0, 16, v23
	;; [unrolled: 3-line block ×4, first 2 shown]
	s_waitcnt lgkmcnt(0)
	v_fmac_f32_e32 v119, v4, v0
	s_waitcnt vmcnt(26)
	v_lshlrev_b32_e32 v0, 16, v45
	v_fmac_f32_e32 v119, v5, v0
	s_waitcnt vmcnt(25)
	v_lshlrev_b32_e32 v0, 16, v25
	v_fmac_f32_e32 v119, v6, v0
	ds_read_b128 v[0:3], v35 offset:160
	s_waitcnt vmcnt(24)
	v_lshlrev_b32_e32 v4, 16, v26
	v_fmac_f32_e32 v119, v7, v4
	ds_read_b128 v[4:7], v35 offset:176
	s_waitcnt vmcnt(23)
	v_lshlrev_b32_e32 v8, 16, v46
	s_waitcnt lgkmcnt(1)
	v_fmac_f32_e32 v119, v0, v8
	s_waitcnt vmcnt(22)
	v_lshlrev_b32_e32 v0, 16, v27
	v_fmac_f32_e32 v119, v1, v0
	s_waitcnt vmcnt(21)
	v_lshlrev_b32_e32 v0, 16, v47
	;; [unrolled: 3-line block ×4, first 2 shown]
	s_waitcnt lgkmcnt(0)
	v_fmac_f32_e32 v119, v4, v0
	s_waitcnt vmcnt(18)
	v_lshlrev_b32_e32 v0, 16, v29
	v_fmac_f32_e32 v119, v5, v0
	s_waitcnt vmcnt(17)
	v_lshlrev_b32_e32 v0, 16, v49
	v_fmac_f32_e32 v119, v6, v0
	ds_read_b128 v[0:3], v35 offset:192
	s_waitcnt vmcnt(16)
	v_lshlrev_b32_e32 v4, 16, v30
	v_fmac_f32_e32 v119, v7, v4
	ds_read_b128 v[4:7], v35 offset:208
	s_waitcnt vmcnt(15)
	v_lshlrev_b32_e32 v8, 16, v31
	s_waitcnt lgkmcnt(1)
	v_fmac_f32_e32 v119, v0, v8
	s_waitcnt vmcnt(14)
	v_lshlrev_b32_e32 v0, 16, v32
	v_fmac_f32_e32 v119, v1, v0
	s_waitcnt vmcnt(13)
	v_lshlrev_b32_e32 v0, 16, v50
	;; [unrolled: 3-line block ×4, first 2 shown]
	v_lshlrev_b32_e32 v0, 16, v51
	s_waitcnt lgkmcnt(0)
	v_pk_mul_f32 v[0:1], v[4:5], v[0:1]
	v_add_f32_e32 v0, v119, v0
	v_add_f32_e32 v2, v0, v1
	s_waitcnt vmcnt(8)
	v_lshlrev_b32_e32 v1, 16, v53
	v_lshlrev_b32_e32 v0, 16, v36
	v_pk_mul_f32 v[4:5], v[6:7], v[0:1]
	v_add_f32_e32 v4, v2, v4
	ds_read_b128 v[0:3], v35 offset:224
	s_waitcnt vmcnt(6)
	v_lshlrev_b32_e32 v9, 16, v54
	v_lshlrev_b32_e32 v8, 16, v37
	v_add_f32_e32 v10, v4, v5
	ds_read_b128 v[4:7], v35 offset:240
	s_waitcnt lgkmcnt(1)
	v_pk_mul_f32 v[0:1], v[0:1], v[8:9]
	v_add_f32_e32 v0, v10, v0
	v_add_f32_e32 v8, v0, v1
	s_waitcnt vmcnt(4)
	v_lshlrev_b32_e32 v1, 16, v13
	v_lshlrev_b32_e32 v0, 16, v12
	v_pk_mul_f32 v[0:1], v[2:3], v[0:1]
	v_add_f32_e32 v0, v8, v0
	v_add_f32_e32 v2, v0, v1
	s_waitcnt vmcnt(2)
	v_lshlrev_b32_e32 v1, 16, v34
	v_lshlrev_b32_e32 v0, 16, v14
	s_waitcnt lgkmcnt(0)
	v_pk_mul_f32 v[0:1], v[4:5], v[0:1]
	v_add_f32_e32 v0, v2, v0
	v_add_f32_e32 v2, v0, v1
	s_waitcnt vmcnt(1)
	v_lshlrev_b32_e32 v0, 16, v15
	s_waitcnt vmcnt(0)
	v_lshlrev_b32_e32 v1, 16, v16
	v_pk_mul_f32 v[0:1], v[6:7], v[0:1]
	v_add_f32_e32 v0, v2, v0
	v_add_f32_e32 v119, v0, v1
	s_branch .LBB311_16
.LBB311_19:
	v_mov_b32_e32 v0, 0
	ds_read_b32 v0, v0 offset:2048
	s_cmp_lg_u64 s[2:3], 0
	s_cbranch_scc0 .LBB311_28
; %bb.20:
	s_load_dword s4, s[2:3], 0x0
	s_waitcnt lgkmcnt(0)
	v_div_scale_f32 v1, s[2:3], s4, s4, 1.0
	v_rcp_f32_e32 v2, v1
	v_div_scale_f32 v3, vcc, 1.0, s4, 1.0
	v_fma_f32 v4, -v1, v2, 1.0
	v_fmac_f32_e32 v2, v4, v2
	v_mul_f32_e32 v4, v3, v2
	v_fma_f32 v5, -v1, v4, v3
	v_fmac_f32_e32 v4, v5, v2
	v_fma_f32 v1, -v1, v4, v3
	v_div_fmas_f32 v1, v1, v2, v4
	v_div_fixup_f32 v1, v1, s4, 1.0
	s_andn2_b64 vcc, exec, s[34:35]
	s_cbranch_vccnz .LBB311_22
.LBB311_21:
	s_add_u32 s2, s30, s36
	s_addc_u32 s3, s31, s37
	s_load_dword s28, s[2:3], 0x0
	s_mov_b32 s29, 0
.LBB311_22:
	s_waitcnt lgkmcnt(0)
	v_add_f32_e32 v0, 0x358637bd, v0
	v_div_scale_f32 v2, s[2:3], v0, v0, 1.0
	v_rcp_f32_e32 v3, v2
	v_div_scale_f32 v4, vcc, 1.0, v0, 1.0
	s_mov_b32 s2, 0x7f800000
	v_fma_f32 v5, -v2, v3, 1.0
	v_fmac_f32_e32 v3, v5, v3
	v_mul_f32_e32 v5, v4, v3
	v_fma_f32 v6, -v2, v5, v4
	v_fmac_f32_e32 v5, v6, v3
	v_fma_f32 v2, -v2, v5, v4
	v_div_fmas_f32 v2, v2, v3, v5
	v_div_fixup_f32 v0, v2, v0, 1.0
	v_mul_f32_e32 v0, v119, v0
	v_mul_f32_e32 v1, v0, v1
	v_and_b32_e32 v0, 0x7f800000, v1
	v_cmp_ne_u32_e32 vcc, s2, v0
                                        ; implicit-def: $vgpr0
	s_and_saveexec_b64 s[2:3], vcc
	s_xor_b64 s[2:3], exec, s[2:3]
; %bb.23:
	v_bfe_u32 v0, v1, 16, 1
	s_movk_i32 s4, 0x7fff
	v_add3_u32 v0, v1, v0, s4
                                        ; implicit-def: $vgpr1
; %bb.24:
	s_andn2_saveexec_b64 s[2:3], s[2:3]
; %bb.25:
	v_mov_b32_e32 v0, 0
	v_or_b32_e32 v2, 0x10000, v1
	v_cmp_eq_u32_sdwa vcc, v1, v0 src0_sel:WORD_0 src1_sel:DWORD
	v_cndmask_b32_e32 v0, v2, v1, vcc
; %bb.26:
	s_or_b64 exec, exec, s[2:3]
	s_mul_i32 s2, s7, s29
	s_mul_hi_u32 s3, s7, s28
	s_add_i32 s3, s3, s2
	s_mul_i32 s2, s7, s28
	s_lshl_b64 s[2:3], s[2:3], 8
	s_add_u32 s2, s0, s2
	s_mov_b32 s7, 0
	s_addc_u32 s3, s1, s3
	s_lshl_b64 s[0:1], s[6:7], 8
	s_add_u32 s0, s2, s0
	s_addc_u32 s1, s3, s1
	global_store_short_d16_hi v116, v0, s[0:1]
	s_endpgm
.LBB311_27:
	s_mov_b64 s[2:3], 0
	s_branch .LBB311_2
.LBB311_28:
	v_mov_b32_e32 v1, 1.0
	s_andn2_b64 vcc, exec, s[34:35]
	s_cbranch_vccz .LBB311_21
	s_branch .LBB311_22
	.section	.rodata,"a",@progbits
	.p2align	6, 0x0
	.amdhsa_kernel _Z35paged_attention_ll4mi_reduce_kernelI14__hip_bfloat16S0_Li128ELi128ELi256ELi8EEvPT0_PKfS4_PKT_PKiS9_iS4_
		.amdhsa_group_segment_fixed_size 2052
		.amdhsa_private_segment_fixed_size 0
		.amdhsa_kernarg_size 320
		.amdhsa_user_sgpr_count 6
		.amdhsa_user_sgpr_private_segment_buffer 1
		.amdhsa_user_sgpr_dispatch_ptr 0
		.amdhsa_user_sgpr_queue_ptr 0
		.amdhsa_user_sgpr_kernarg_segment_ptr 1
		.amdhsa_user_sgpr_dispatch_id 0
		.amdhsa_user_sgpr_flat_scratch_init 0
		.amdhsa_user_sgpr_kernarg_preload_length 0
		.amdhsa_user_sgpr_kernarg_preload_offset 0
		.amdhsa_user_sgpr_private_segment_size 0
		.amdhsa_uses_dynamic_stack 0
		.amdhsa_system_sgpr_private_segment_wavefront_offset 0
		.amdhsa_system_sgpr_workgroup_id_x 1
		.amdhsa_system_sgpr_workgroup_id_y 1
		.amdhsa_system_sgpr_workgroup_id_z 0
		.amdhsa_system_sgpr_workgroup_info 0
		.amdhsa_system_vgpr_workitem_id 0
		.amdhsa_next_free_vgpr 136
		.amdhsa_next_free_sgpr 45
		.amdhsa_accum_offset 136
		.amdhsa_reserve_vcc 1
		.amdhsa_reserve_flat_scratch 0
		.amdhsa_float_round_mode_32 0
		.amdhsa_float_round_mode_16_64 0
		.amdhsa_float_denorm_mode_32 3
		.amdhsa_float_denorm_mode_16_64 3
		.amdhsa_dx10_clamp 1
		.amdhsa_ieee_mode 1
		.amdhsa_fp16_overflow 0
		.amdhsa_tg_split 0
		.amdhsa_exception_fp_ieee_invalid_op 0
		.amdhsa_exception_fp_denorm_src 0
		.amdhsa_exception_fp_ieee_div_zero 0
		.amdhsa_exception_fp_ieee_overflow 0
		.amdhsa_exception_fp_ieee_underflow 0
		.amdhsa_exception_fp_ieee_inexact 0
		.amdhsa_exception_int_div_zero 0
	.end_amdhsa_kernel
	.section	.text._Z35paged_attention_ll4mi_reduce_kernelI14__hip_bfloat16S0_Li128ELi128ELi256ELi8EEvPT0_PKfS4_PKT_PKiS9_iS4_,"axG",@progbits,_Z35paged_attention_ll4mi_reduce_kernelI14__hip_bfloat16S0_Li128ELi128ELi256ELi8EEvPT0_PKfS4_PKT_PKiS9_iS4_,comdat
.Lfunc_end311:
	.size	_Z35paged_attention_ll4mi_reduce_kernelI14__hip_bfloat16S0_Li128ELi128ELi256ELi8EEvPT0_PKfS4_PKT_PKiS9_iS4_, .Lfunc_end311-_Z35paged_attention_ll4mi_reduce_kernelI14__hip_bfloat16S0_Li128ELi128ELi256ELi8EEvPT0_PKfS4_PKT_PKiS9_iS4_
                                        ; -- End function
	.section	.AMDGPU.csdata,"",@progbits
; Kernel info:
; codeLenInByte = 10556
; NumSgprs: 49
; NumVgprs: 136
; NumAgprs: 0
; TotalNumVgprs: 136
; ScratchSize: 0
; MemoryBound: 0
; FloatMode: 240
; IeeeMode: 1
; LDSByteSize: 2052 bytes/workgroup (compile time only)
; SGPRBlocks: 6
; VGPRBlocks: 16
; NumSGPRsForWavesPerEU: 49
; NumVGPRsForWavesPerEU: 136
; AccumOffset: 136
; Occupancy: 3
; WaveLimiterHint : 1
; COMPUTE_PGM_RSRC2:SCRATCH_EN: 0
; COMPUTE_PGM_RSRC2:USER_SGPR: 6
; COMPUTE_PGM_RSRC2:TRAP_HANDLER: 0
; COMPUTE_PGM_RSRC2:TGID_X_EN: 1
; COMPUTE_PGM_RSRC2:TGID_Y_EN: 1
; COMPUTE_PGM_RSRC2:TGID_Z_EN: 0
; COMPUTE_PGM_RSRC2:TIDIG_COMP_CNT: 0
; COMPUTE_PGM_RSRC3_GFX90A:ACCUM_OFFSET: 33
; COMPUTE_PGM_RSRC3_GFX90A:TG_SPLIT: 0
	.section	.text._Z39paged_attention_ll4mi_QKV_mfma16_kernelI14__hip_bfloat16S0_LN4vllm18Fp8KVCacheDataTypeE0ES0_Li16ELi128ELi256ELb1ELi1EL8MFMAType0EEvPKT_PKT0_S9_ifPKiSB_SB_iPKfiiiPfSE_PS4_PT2_iSD_SD_,"axG",@progbits,_Z39paged_attention_ll4mi_QKV_mfma16_kernelI14__hip_bfloat16S0_LN4vllm18Fp8KVCacheDataTypeE0ES0_Li16ELi128ELi256ELb1ELi1EL8MFMAType0EEvPKT_PKT0_S9_ifPKiSB_SB_iPKfiiiPfSE_PS4_PT2_iSD_SD_,comdat
	.protected	_Z39paged_attention_ll4mi_QKV_mfma16_kernelI14__hip_bfloat16S0_LN4vllm18Fp8KVCacheDataTypeE0ES0_Li16ELi128ELi256ELb1ELi1EL8MFMAType0EEvPKT_PKT0_S9_ifPKiSB_SB_iPKfiiiPfSE_PS4_PT2_iSD_SD_ ; -- Begin function _Z39paged_attention_ll4mi_QKV_mfma16_kernelI14__hip_bfloat16S0_LN4vllm18Fp8KVCacheDataTypeE0ES0_Li16ELi128ELi256ELb1ELi1EL8MFMAType0EEvPKT_PKT0_S9_ifPKiSB_SB_iPKfiiiPfSE_PS4_PT2_iSD_SD_
	.globl	_Z39paged_attention_ll4mi_QKV_mfma16_kernelI14__hip_bfloat16S0_LN4vllm18Fp8KVCacheDataTypeE0ES0_Li16ELi128ELi256ELb1ELi1EL8MFMAType0EEvPKT_PKT0_S9_ifPKiSB_SB_iPKfiiiPfSE_PS4_PT2_iSD_SD_
	.p2align	8
	.type	_Z39paged_attention_ll4mi_QKV_mfma16_kernelI14__hip_bfloat16S0_LN4vllm18Fp8KVCacheDataTypeE0ES0_Li16ELi128ELi256ELb1ELi1EL8MFMAType0EEvPKT_PKT0_S9_ifPKiSB_SB_iPKfiiiPfSE_PS4_PT2_iSD_SD_,@function
_Z39paged_attention_ll4mi_QKV_mfma16_kernelI14__hip_bfloat16S0_LN4vllm18Fp8KVCacheDataTypeE0ES0_Li16ELi128ELi256ELb1ELi1EL8MFMAType0EEvPKT_PKT0_S9_ifPKiSB_SB_iPKfiiiPfSE_PS4_PT2_iSD_SD_: ; @_Z39paged_attention_ll4mi_QKV_mfma16_kernelI14__hip_bfloat16S0_LN4vllm18Fp8KVCacheDataTypeE0ES0_Li16ELi128ELi256ELb1ELi1EL8MFMAType0EEvPKT_PKT0_S9_ifPKiSB_SB_iPKfiiiPfSE_PS4_PT2_iSD_SD_
; %bb.0:
	s_mov_b64 s[46:47], s[2:3]
	s_mov_b64 s[44:45], s[0:1]
	s_load_dwordx2 s[0:1], s[4:5], 0x30
	s_add_u32 s44, s44, s9
	s_addc_u32 s45, s45, 0
	s_mov_b32 s28, s7
	s_mov_b64 s[10:11], 0
	s_waitcnt lgkmcnt(0)
	s_cmp_lg_u64 s[0:1], 0
	s_cselect_b64 s[2:3], -1, 0
	s_and_b64 vcc, exec, s[2:3]
	s_cbranch_vccz .LBB312_7
; %bb.1:
	s_add_i32 s12, s6, 1
	s_mov_b32 s13, 0
	s_lshl_b64 s[14:15], s[12:13], 2
	s_add_u32 s14, s0, s14
	s_mov_b32 s7, s13
	s_addc_u32 s15, s1, s15
	s_lshl_b64 s[12:13], s[6:7], 2
	s_add_u32 s12, s0, s12
	s_addc_u32 s13, s1, s13
	s_load_dword s9, s[14:15], 0x0
	s_load_dword s16, s[12:13], 0x0
	s_waitcnt lgkmcnt(0)
	s_sub_i32 s9, s9, s16
	s_cmp_eq_u32 s9, 1
	s_cselect_b64 s[12:13], -1, 0
	s_andn2_b64 vcc, exec, s[10:11]
	s_cbranch_vccnz .LBB312_3
.LBB312_2:
	s_mov_b32 s7, 0
	s_mov_b64 s[12:13], -1
.LBB312_3:
	s_andn2_b64 vcc, exec, s[12:13]
	s_cbranch_vccnz .LBB312_19
; %bb.4:
	s_load_dwordx2 s[12:13], s[4:5], 0x28
	s_lshl_b64 s[10:11], s[6:7], 2
	s_waitcnt lgkmcnt(0)
	s_add_u32 s12, s12, s10
	s_addc_u32 s13, s13, s11
	s_load_dword s29, s[12:13], 0x0
	s_lshl_b32 s16, s28, 8
	s_waitcnt lgkmcnt(0)
	s_cmp_ge_i32 s16, s29
	s_cbranch_scc1 .LBB312_19
; %bb.5:
	s_add_i32 s14, s29, 15
	s_load_dwordx2 s[12:13], s[4:5], 0x20
	s_load_dword s9, s[4:5], 0x38
	s_ashr_i32 s15, s14, 31
	v_and_b32_e32 v1, 0xcf, v0
	s_lshr_b32 s15, s15, 28
	v_add_u32_e32 v1, s16, v1
	s_add_i32 s14, s14, s15
	v_ashrrev_i32_e32 v2, 31, v1
	s_ashr_i32 s19, s14, 4
	v_lshrrev_b32_e32 v4, 28, v2
	s_add_i32 s19, s19, -1
	v_add_u32_e32 v2, v1, v4
	s_waitcnt lgkmcnt(0)
	s_mul_i32 s14, s6, s9
	s_mov_b32 s15, 0
	v_ashrrev_i32_e32 v2, 4, v2
	v_mov_b32_e32 v5, s19
	v_cmp_gt_i32_e32 vcc, s29, v1
	s_lshl_b64 s[14:15], s[14:15], 2
	v_cndmask_b32_e32 v2, v5, v2, vcc
	s_add_u32 s17, s12, s14
	v_ashrrev_i32_e32 v3, 31, v2
	s_addc_u32 s18, s13, s15
	v_lshlrev_b64 v[2:3], 2, v[2:3]
	v_mov_b32_e32 v7, s18
	v_add_co_u32_e32 v6, vcc, s17, v2
	v_or_b32_e32 v2, 16, v1
	v_addc_co_u32_e32 v7, vcc, v7, v3, vcc
	v_add_u32_e32 v3, v2, v4
	v_ashrrev_i32_e32 v3, 4, v3
	v_cmp_gt_i32_e32 vcc, s29, v2
	v_cndmask_b32_e32 v2, v5, v3, vcc
	v_ashrrev_i32_e32 v3, 31, v2
	v_lshlrev_b64 v[2:3], 2, v[2:3]
	v_mov_b32_e32 v9, s18
	v_add_co_u32_e32 v8, vcc, s17, v2
	v_or_b32_e32 v2, 32, v1
	v_addc_co_u32_e32 v9, vcc, v9, v3, vcc
	v_add_u32_e32 v3, v2, v4
	v_ashrrev_i32_e32 v3, 4, v3
	v_cmp_gt_i32_e32 vcc, s29, v2
	v_cndmask_b32_e32 v2, v5, v3, vcc
	v_ashrrev_i32_e32 v3, 31, v2
	;; [unrolled: 10-line block ×3, first 2 shown]
	v_lshlrev_b64 v[2:3], 2, v[2:3]
	v_mov_b32_e32 v1, s18
	v_add_co_u32_e32 v12, vcc, s17, v2
	v_addc_co_u32_e32 v13, vcc, v1, v3, vcc
	global_load_dword v5, v[6:7], off
	global_load_dword v4, v[8:9], off
	;; [unrolled: 1-line block ×4, first 2 shown]
	s_load_dwordx2 s[12:13], s[4:5], 0x8
	s_andn2_b64 vcc, exec, s[2:3]
	s_cbranch_vccnz .LBB312_8
; %bb.6:
	s_add_u32 s0, s0, s10
	s_addc_u32 s1, s1, s11
	s_load_dword s9, s[0:1], 0x0
	s_branch .LBB312_9
.LBB312_7:
	s_mov_b64 s[12:13], 0
	s_branch .LBB312_2
.LBB312_8:
	s_mov_b32 s9, s6
.LBB312_9:
	s_load_dwordx2 s[10:11], s[4:5], 0x10
	s_load_dwordx4 s[0:3], s[4:5], 0x48
	v_lshrrev_b32_e32 v87, 6, v0
	v_bfe_u32 v84, v0, 4, 2
	v_and_b32_e32 v85, 15, v0
	v_lshl_or_b32 v1, v87, 2, v84
	v_lshlrev_b32_e32 v6, 3, v85
	v_cmp_eq_u32_e32 vcc, 0, v1
	v_lshlrev_b32_e32 v1, 1, v6
	buffer_store_dword v1, off, s[44:47], 0 ; 4-byte Folded Spill
	s_and_saveexec_b64 s[14:15], vcc
	s_cbranch_execz .LBB312_11
; %bb.10:
	buffer_load_dword v1, off, s[44:47], 0  ; 4-byte Folded Reload
	s_load_dwordx2 s[20:21], s[4:5], 0x0
	s_waitcnt lgkmcnt(0)
	s_ashr_i32 s3, s0, 31
	s_mul_hi_u32 s22, s9, s0
	s_mul_i32 s3, s9, s3
	s_add_i32 s23, s22, s3
	s_mul_i32 s22, s9, s0
	s_lshl_b64 s[22:23], s[22:23], 1
	s_add_u32 s0, s20, s22
	s_addc_u32 s3, s21, s23
	s_lshl_b32 s20, s8, 7
	s_ashr_i32 s21, s20, 31
	s_lshl_b64 s[20:21], s[20:21], 1
	s_add_u32 s20, s0, s20
	s_addc_u32 s21, s3, s21
	v_and_b32_e32 v10, 3, v0
	v_lshlrev_b32_e32 v11, 9, v85
	v_lshlrev_b32_e32 v10, 9, v10
	s_movk_i32 s0, 0x1800
	v_and_or_b32 v10, v11, s0, v10
	s_waitcnt vmcnt(0)
	global_load_dwordx4 v[6:9], v1, s[20:21]
	s_waitcnt vmcnt(0)
	ds_write_b128 v10, v[6:9]
.LBB312_11:
	s_or_b64 exec, exec, s[14:15]
	s_waitcnt lgkmcnt(0)
	s_mul_i32 s2, s8, s2
	s_mov_b32 s3, 0
	s_lshl_b64 s[2:3], s[2:3], 1
	s_add_u32 s0, s12, s2
	v_lshlrev_b32_e32 v1, 4, v0
	s_addc_u32 s9, s13, s3
	v_and_b32_e32 v6, 0xf0, v1
	v_mov_b32_e32 v7, s9
	v_add_co_u32_e32 v8, vcc, s0, v6
	v_addc_co_u32_e32 v9, vcc, 0, v7, vcc
	s_waitcnt vmcnt(4)
	v_mad_i64_i32 v[6:7], s[12:13], v5, s1, 0
	v_lshlrev_b64 v[6:7], 1, v[6:7]
	v_add_co_u32_e32 v5, vcc, v8, v6
	v_addc_co_u32_e32 v7, vcc, v9, v7, vcc
	v_and_b32_e32 v10, 0x300, v1
	v_add_co_u32_e32 v6, vcc, v5, v10
	s_waitcnt vmcnt(3)
	v_mad_i64_i32 v[4:5], s[12:13], v4, s1, 0
	v_addc_co_u32_e32 v7, vcc, 0, v7, vcc
	v_lshlrev_b64 v[4:5], 1, v[4:5]
	v_add_co_u32_e32 v4, vcc, v8, v4
	v_addc_co_u32_e32 v5, vcc, v9, v5, vcc
	v_add_co_u32_e32 v4, vcc, v4, v10
	v_addc_co_u32_e32 v5, vcc, 0, v5, vcc
	s_barrier
	global_load_dwordx4 v[74:77], v[6:7], off
	global_load_dwordx4 v[66:69], v[6:7], off offset:1024
	global_load_dwordx4 v[58:61], v[6:7], off offset:2048
	;; [unrolled: 1-line block ×3, first 2 shown]
	global_load_dwordx4 v[78:81], v[4:5], off
	global_load_dwordx4 v[70:73], v[4:5], off offset:1024
	global_load_dwordx4 v[62:65], v[4:5], off offset:2048
	global_load_dwordx4 v[46:49], v[4:5], off offset:3072
	s_waitcnt vmcnt(10)
	v_mad_i64_i32 v[4:5], s[12:13], v3, s1, 0
	v_lshlrev_b64 v[4:5], 1, v[4:5]
	v_add_co_u32_e32 v3, vcc, v8, v4
	v_addc_co_u32_e32 v5, vcc, v9, v5, vcc
	v_add_co_u32_e32 v4, vcc, v3, v10
	s_waitcnt vmcnt(9)
	v_mad_i64_i32 v[2:3], s[12:13], v2, s1, 0
	v_addc_co_u32_e32 v5, vcc, 0, v5, vcc
	v_lshlrev_b64 v[2:3], 1, v[2:3]
	v_add_co_u32_e32 v2, vcc, v8, v2
	v_addc_co_u32_e32 v3, vcc, v9, v3, vcc
	v_add_co_u32_e32 v6, vcc, v2, v10
	v_addc_co_u32_e32 v7, vcc, 0, v3, vcc
	global_load_dwordx4 v[38:41], v[4:5], off
	global_load_dwordx4 v[34:37], v[4:5], off offset:1024
	global_load_dwordx4 v[30:33], v[4:5], off offset:2048
	global_load_dwordx4 v[26:29], v[4:5], off offset:3072
	global_load_dwordx4 v[18:21], v[6:7], off
	global_load_dwordx4 v[10:13], v[6:7], off offset:1024
	s_nop 0
	global_load_dwordx4 v[2:5], v[6:7], off offset:2048
	global_load_dwordx4 v[50:53], v[6:7], off offset:3072
	v_lshlrev_b32_e32 v54, 9, v84
	ds_read_b128 v[22:25], v54
	ds_read_b128 v[14:17], v54 offset:2048
	ds_read_b128 v[6:9], v54 offset:4096
	;; [unrolled: 1-line block ×3, first 2 shown]
	v_and_b32_e32 v88, 63, v0
	v_cmp_eq_u32_e32 vcc, 0, v85
	v_mov_b32_e32 v89, 0
	s_and_saveexec_b64 s[12:13], vcc
	s_cbranch_execz .LBB312_13
; %bb.12:
	s_load_dwordx2 s[14:15], s[4:5], 0x40
	s_ashr_i32 s9, s8, 31
	s_lshl_b64 s[20:21], s[8:9], 2
	s_waitcnt lgkmcnt(0)
	s_add_u32 s14, s14, s20
	s_addc_u32 s15, s15, s21
	s_load_dword s0, s[14:15], 0x0
	s_waitcnt lgkmcnt(0)
	v_mov_b32_e32 v89, s0
.LBB312_13:
	s_or_b64 exec, exec, s[12:13]
	s_waitcnt vmcnt(15) lgkmcnt(3)
	v_mfma_f32_16x16x16bf16_1k v[90:93], v[74:75], v[22:23], 0
	s_add_u32 s9, s10, s2
	s_addc_u32 s10, s11, s3
	s_load_dword s0, s[4:5], 0x1c
	v_mfma_f32_16x16x16bf16_1k v[74:77], v[76:77], v[24:25], v[90:93]
	s_waitcnt vmcnt(14) lgkmcnt(0)
	v_mfma_f32_16x16x16bf16_1k v[74:77], v[66:67], v[14:15], v[74:77]
	s_nop 4
	v_lshl_or_b32 v90, v87, 4, v85
	v_mfma_f32_16x16x16bf16_1k v[66:69], v[68:69], v[16:17], v[74:77]
	s_waitcnt vmcnt(13)
	v_mfma_f32_16x16x16bf16_1k v[66:69], v[58:59], v[6:7], v[66:69]
	s_nop 4
	v_lshlrev_b32_e32 v76, 5, v90
	v_mfma_f32_16x16x16bf16_1k v[58:61], v[60:61], v[8:9], v[66:69]
	s_waitcnt vmcnt(12)
	v_mfma_f32_16x16x16bf16_1k v[58:61], v[42:43], v[54:55], v[58:61]
	s_nop 4
	v_mov_b32_e32 v66, s18
	v_mfma_f32_16x16x16bf16_1k v[58:61], v[44:45], v[56:57], v[58:61]
	s_waitcnt vmcnt(11)
	v_mfma_f32_16x16x16bf16_1k v[42:45], v[78:79], v[22:23], 0
	s_nop 7
	s_nop 0
	v_pk_mul_f32 v[58:59], s[0:1], v[58:59] op_sel_hi:[0,1]
	v_mfma_f32_16x16x16bf16_1k v[42:45], v[80:81], v[24:25], v[42:45]
	s_waitcnt vmcnt(10)
	v_mfma_f32_16x16x16bf16_1k v[42:45], v[70:71], v[14:15], v[42:45]
	v_mfma_f32_16x16x16bf16_1k v[42:45], v[72:73], v[16:17], v[42:45]
	s_waitcnt vmcnt(9)
	v_mfma_f32_16x16x16bf16_1k v[42:45], v[62:63], v[6:7], v[42:45]
	;; [unrolled: 3-line block ×3, first 2 shown]
	v_mfma_f32_16x16x16bf16_1k v[62:65], v[48:49], v[56:57], v[42:45]
	v_and_or_b32 v48, v0, 48, s16
	v_mov_b32_e32 v49, s19
	v_cmp_gt_i32_e32 vcc, s29, v48
	s_waitcnt vmcnt(7)
	v_mfma_f32_16x16x16bf16_1k v[42:45], v[38:39], v[22:23], 0
	v_ashrrev_i32_e32 v38, 4, v48
	v_cndmask_b32_e32 v38, v49, v38, vcc
	v_ashrrev_i32_e32 v39, 31, v38
	v_lshlrev_b64 v[46:47], 2, v[38:39]
	v_mfma_f32_16x16x16bf16_1k v[38:41], v[40:41], v[24:25], v[42:45]
	s_nop 6
	v_add_co_u32_e32 v42, vcc, s17, v46
	v_addc_co_u32_e32 v43, vcc, v66, v47, vcc
	global_load_dword v44, v[42:43], off
	v_or_b32_e32 v42, 64, v48
	v_ashrrev_i32_e32 v43, 4, v42
	v_cmp_gt_i32_e32 vcc, s29, v42
	v_cndmask_b32_e32 v42, v49, v43, vcc
	s_waitcnt vmcnt(7)
	v_mfma_f32_16x16x16bf16_1k v[38:41], v[34:35], v[14:15], v[38:41]
	v_ashrrev_i32_e32 v43, 31, v42
	v_lshlrev_b64 v[34:35], 2, v[42:43]
	v_mov_b32_e32 v42, s18
	v_add_co_u32_e32 v34, vcc, s17, v34
	v_addc_co_u32_e32 v35, vcc, v42, v35, vcc
	global_load_dword v72, v[34:35], off
	v_mfma_f32_16x16x16bf16_1k v[34:37], v[36:37], v[16:17], v[38:41]
	s_nop 6
	v_or_b32_e32 v38, 0x80, v48
	v_ashrrev_i32_e32 v39, 4, v38
	v_cmp_gt_i32_e32 vcc, s29, v38
	v_cndmask_b32_e32 v38, v49, v39, vcc
	v_ashrrev_i32_e32 v39, 31, v38
	v_lshlrev_b64 v[38:39], 2, v[38:39]
	v_mov_b32_e32 v40, s18
	s_waitcnt vmcnt(7)
	v_mfma_f32_16x16x16bf16_1k v[34:37], v[30:31], v[6:7], v[34:37]
	v_add_co_u32_e32 v30, vcc, s17, v38
	v_addc_co_u32_e32 v31, vcc, v40, v39, vcc
	global_load_dword v74, v[30:31], off
	v_or_b32_e32 v30, 0xc0, v48
	v_ashrrev_i32_e32 v31, 4, v30
	v_cmp_gt_i32_e32 vcc, s29, v30
	v_cndmask_b32_e32 v38, v49, v31, vcc
	v_ashrrev_i32_e32 v39, 31, v38
	v_mfma_f32_16x16x16bf16_1k v[30:33], v[32:33], v[8:9], v[34:37]
	s_nop 6
	v_lshlrev_b64 v[34:35], 2, v[38:39]
	v_mov_b32_e32 v36, s18
	v_add_co_u32_e32 v34, vcc, s17, v34
	v_addc_co_u32_e32 v35, vcc, v36, v35, vcc
	global_load_dword v75, v[34:35], off
	s_waitcnt vmcnt(8)
	v_mfma_f32_16x16x16bf16_1k v[30:33], v[26:27], v[54:55], v[30:33]
	v_mov_b32_e32 v26, s10
	v_add_co_u32_e32 v77, vcc, s9, v76
	v_addc_co_u32_e32 v78, vcc, 0, v26, vcc
	s_waitcnt vmcnt(3)
	v_mad_i64_i32 v[26:27], s[2:3], v44, s1, 0
	v_mfma_f32_16x16x16bf16_1k v[66:69], v[28:29], v[56:57], v[30:33]
	v_lshlrev_b64 v[70:71], 1, v[26:27]
	v_mfma_f32_16x16x16bf16_1k v[26:29], v[18:19], v[22:23], 0
	v_add_co_u32_e32 v18, vcc, v77, v70
	v_addc_co_u32_e32 v19, vcc, v78, v71, vcc
	global_load_dwordx4 v[46:49], v[18:19], off
	global_load_dwordx4 v[42:45], v[18:19], off offset:16
	s_waitcnt vmcnt(4)
	v_mad_i64_i32 v[18:19], s[2:3], v72, s1, 0
	v_lshlrev_b64 v[72:73], 1, v[18:19]
	v_mfma_f32_16x16x16bf16_1k v[18:21], v[20:21], v[24:25], v[26:29]
	v_add_co_u32_e32 v22, vcc, v77, v72
	v_addc_co_u32_e32 v23, vcc, v78, v73, vcc
	global_load_dwordx4 v[38:41], v[22:23], off
	global_load_dwordx4 v[34:37], v[22:23], off offset:16
	s_waitcnt vmcnt(5)
	v_mad_i64_i32 v[22:23], s[2:3], v74, s1, 0
	v_mfma_f32_16x16x16bf16_1k v[18:21], v[10:11], v[14:15], v[18:21]
	v_lshlrev_b64 v[82:83], 1, v[22:23]
	v_add_co_u32_e32 v10, vcc, v77, v82
	v_addc_co_u32_e32 v11, vcc, v78, v83, vcc
	global_load_dwordx4 v[30:33], v[10:11], off
	global_load_dwordx4 v[26:29], v[10:11], off offset:16
	s_waitcnt vmcnt(6)
	v_mad_i64_i32 v[14:15], s[2:3], v75, s1, 0
	v_mfma_f32_16x16x16bf16_1k v[10:13], v[12:13], v[16:17], v[18:21]
	v_lshlrev_b64 v[80:81], 1, v[14:15]
	v_add_co_u32_e32 v14, vcc, v77, v80
	v_addc_co_u32_e32 v15, vcc, v78, v81, vcc
	global_load_dwordx4 v[22:25], v[14:15], off
	s_nop 2
	global_load_dwordx4 v[18:21], v[14:15], off offset:16
	v_pk_mul_f32 v[78:79], s[0:1], v[60:61] op_sel_hi:[0,1]
	v_mfma_f32_16x16x16bf16_1k v[10:13], v[2:3], v[6:7], v[10:13]
	v_or_b32_e32 v2, 0x800, v76
	v_mov_b32_e32 v3, s10
	v_add_co_u32_e32 v91, vcc, s9, v2
	v_addc_co_u32_e32 v1, vcc, 0, v3, vcc
	v_add_co_u32_e32 v2, vcc, v91, v70
	v_mfma_f32_16x16x16bf16_1k v[10:13], v[4:5], v[8:9], v[10:13]
	v_addc_co_u32_e32 v3, vcc, v1, v71, vcc
	v_add_co_u32_e32 v70, vcc, v91, v72
	v_addc_co_u32_e32 v71, vcc, v1, v73, vcc
	global_load_dwordx4 v[6:9], v[2:3], off
	s_nop 0
	global_load_dwordx4 v[2:5], v[2:3], off offset:16
	v_mfma_f32_16x16x16bf16_1k v[92:95], v[50:51], v[54:55], v[10:13]
	global_load_dwordx4 v[14:17], v[70:71], off
	s_nop 5
	global_load_dwordx4 v[10:13], v[70:71], off offset:16
	v_pk_mul_f32 v[70:71], s[0:1], v[68:69] op_sel_hi:[0,1]
	v_pk_mul_f32 v[72:73], s[0:1], v[66:67] op_sel_hi:[0,1]
	v_pk_mul_f32 v[74:75], s[0:1], v[64:65] op_sel_hi:[0,1]
	v_pk_mul_f32 v[76:77], s[0:1], v[62:63] op_sel_hi:[0,1]
	s_mov_b32 s9, 0xff7fffff
	v_mfma_f32_16x16x16bf16_1k v[50:53], v[52:53], v[56:57], v[92:95]
	s_nop 7
	s_nop 2
	v_pk_mul_f32 v[68:69], s[0:1], v[50:51] op_sel_hi:[0,1]
	v_and_b32_e32 v50, 0xc0, v0
	v_add_u32_e32 v50, s16, v50
	v_lshl_or_b32 v50, v84, 2, v50
	v_or_b32_e32 v51, 1, v50
	v_pk_mul_f32 v[66:67], s[0:1], v[52:53] op_sel_hi:[0,1]
	v_subrev_u32_e32 v52, s29, v51
	v_add_u32_e32 v54, 1, v52
	v_add_u32_e32 v55, 2, v52
	v_cvt_f32_i32_e32 v53, v52
	v_cvt_f32_i32_e32 v54, v54
	;; [unrolled: 1-line block ×3, first 2 shown]
	v_add_u32_e32 v56, 3, v52
	v_fma_f32 v58, v89, v53, v58
	v_fmac_f32_e32 v59, v89, v54
	v_fma_f32 v78, v89, v55, v78
	v_add_u32_e32 v53, 16, v52
	v_add_u32_e32 v54, 17, v52
	;; [unrolled: 1-line block ×3, first 2 shown]
	v_cvt_f32_i32_e32 v56, v56
	v_cvt_f32_i32_e32 v53, v53
	;; [unrolled: 1-line block ×4, first 2 shown]
	v_fmac_f32_e32 v79, v89, v56
	v_add_u32_e32 v56, 19, v52
	v_fma_f32 v76, v89, v53, v76
	v_fmac_f32_e32 v77, v89, v54
	v_fma_f32 v74, v89, v55, v74
	v_add_u32_e32 v53, 32, v52
	v_add_u32_e32 v54, 33, v52
	;; [unrolled: 1-line block ×3, first 2 shown]
	v_cvt_f32_i32_e32 v56, v56
	v_cvt_f32_i32_e32 v53, v53
	v_cvt_f32_i32_e32 v54, v54
	v_cvt_f32_i32_e32 v55, v55
	v_fmac_f32_e32 v75, v89, v56
	v_add_u32_e32 v56, 35, v52
	v_fma_f32 v72, v89, v53, v72
	v_fmac_f32_e32 v73, v89, v54
	v_fma_f32 v70, v89, v55, v70
	v_add_u32_e32 v53, 48, v52
	v_add_u32_e32 v54, 49, v52
	;; [unrolled: 1-line block ×4, first 2 shown]
	v_cvt_f32_i32_e32 v52, v52
	v_cvt_f32_i32_e32 v53, v53
	;; [unrolled: 1-line block ×3, first 2 shown]
	v_cmp_gt_i32_e64 s[30:31], s29, v50
	v_fmac_f32_e32 v67, v89, v52
	v_mov_b32_e32 v52, 0xff7fffff
	v_cmp_gt_i32_e64 s[34:35], s29, v51
	v_fma_f32 v68, v89, v53, v68
	v_cndmask_b32_e64 v53, v52, v58, s[30:31]
	v_cndmask_b32_e64 v51, v52, v59, s[34:35]
	v_fmac_f32_e32 v69, v89, v54
	v_max3_f32 v51, v53, s9, v51
	v_or_b32_e32 v53, 2, v50
	v_or_b32_e32 v54, 3, v50
	v_cmp_gt_i32_e64 s[36:37], s29, v53
	v_cmp_gt_i32_e64 s[38:39], s29, v54
	v_cndmask_b32_e64 v53, v52, v78, s[36:37]
	v_cndmask_b32_e64 v54, v52, v79, s[38:39]
	v_max3_f32 v51, v51, v53, v54
	v_or_b32_e32 v53, 16, v50
	v_or_b32_e32 v54, 17, v50
	v_cmp_gt_i32_e64 s[24:25], s29, v53
	v_cmp_gt_i32_e64 s[26:27], s29, v54
	v_cndmask_b32_e64 v53, v52, v76, s[24:25]
	v_cndmask_b32_e64 v54, v52, v77, s[26:27]
	;; [unrolled: 7-line block ×3, first 2 shown]
	v_cvt_f32_i32_e32 v56, v56
	v_max3_f32 v51, v51, v53, v54
	v_or_b32_e32 v53, 32, v50
	v_or_b32_e32 v54, 33, v50
	v_cmp_gt_i32_e64 s[16:17], s29, v53
	v_cmp_gt_i32_e64 s[18:19], s29, v54
	v_cndmask_b32_e64 v53, v52, v72, s[16:17]
	v_cndmask_b32_e64 v54, v52, v73, s[18:19]
	v_max3_f32 v51, v51, v53, v54
	v_or_b32_e32 v53, 34, v50
	v_or_b32_e32 v54, 35, v50
	v_fmac_f32_e32 v71, v89, v56
	v_cmp_gt_i32_e64 s[12:13], s29, v53
	v_cmp_gt_i32_e64 s[14:15], s29, v54
	v_cndmask_b32_e64 v53, v52, v70, s[12:13]
	v_cndmask_b32_e64 v54, v52, v71, s[14:15]
	v_cvt_f32_i32_e32 v55, v55
	v_max3_f32 v51, v51, v53, v54
	v_or_b32_e32 v53, 48, v50
	v_or_b32_e32 v54, 49, v50
	v_cmp_gt_i32_e64 s[2:3], s29, v53
	v_cmp_gt_i32_e64 s[10:11], s29, v54
	v_cndmask_b32_e64 v53, v52, v68, s[2:3]
	v_cndmask_b32_e64 v54, v52, v69, s[10:11]
	v_max3_f32 v51, v51, v53, v54
	v_or_b32_e32 v53, 50, v50
	v_or_b32_e32 v50, 51, v50
	v_fma_f32 v66, v89, v55, v66
	v_cmp_gt_i32_e32 vcc, s29, v53
	v_cmp_gt_i32_e64 s[0:1], s29, v50
	v_cndmask_b32_e32 v53, v52, v66, vcc
	v_cndmask_b32_e64 v50, v52, v67, s[0:1]
	v_max3_f32 v60, v51, v53, v50
	v_mbcnt_lo_u32_b32 v50, -1, 0
	v_mbcnt_hi_u32_b32 v61, -1, v50
	v_and_b32_e32 v50, 64, v61
	v_add_u32_e32 v62, 64, v50
	v_xor_b32_e32 v50, 32, v61
	v_cmp_lt_i32_e64 s[40:41], v50, v62
	v_cndmask_b32_e64 v50, v61, v50, s[40:41]
	v_lshlrev_b32_e32 v89, 2, v50
	ds_bpermute_b32 v63, v89, v60
	v_add_co_u32_e64 v50, s[40:41], v91, v82
	v_addc_co_u32_e64 v51, s[40:41], v1, v83, s[40:41]
	s_waitcnt lgkmcnt(0)
	v_max_f32_e32 v63, v63, v63
	v_max_f32_e32 v63, v60, v63
	v_xor_b32_e32 v60, 16, v61
	v_cmp_lt_i32_e64 s[40:41], v60, v62
	v_cndmask_b32_e64 v60, v61, v60, s[40:41]
	v_lshlrev_b32_e32 v92, 2, v60
	ds_bpermute_b32 v62, v92, v63
	v_add_co_u32_e64 v60, s[40:41], v91, v80
	v_addc_co_u32_e64 v61, s[40:41], v1, v81, s[40:41]
	s_waitcnt lgkmcnt(0)
	v_max_f32_e32 v1, v62, v62
	v_max_f32_e32 v82, v63, v1
	v_sub_f32_e32 v1, v58, v82
	v_sub_f32_e32 v58, v59, v82
	v_mul_f32_e32 v58, 0x3fb8aa3b, v58
	global_load_dwordx4 v[54:57], v[50:51], off
	s_nop 0
	global_load_dwordx4 v[50:53], v[50:51], off offset:16
	v_exp_f32_e32 v81, v58
	global_load_dwordx4 v[62:65], v[60:61], off
	s_nop 0
	global_load_dwordx4 v[58:61], v[60:61], off offset:16
	v_mul_f32_e32 v1, 0x3fb8aa3b, v1
	v_exp_f32_e32 v1, v1
	v_sub_f32_e32 v78, v78, v82
	v_mul_f32_e32 v78, 0x3fb8aa3b, v78
	v_sub_f32_e32 v79, v79, v82
	v_exp_f32_e32 v78, v78
	v_mul_f32_e32 v79, 0x3fb8aa3b, v79
	v_sub_f32_e32 v76, v76, v82
	v_exp_f32_e32 v79, v79
	v_mul_f32_e32 v76, 0x3fb8aa3b, v76
	v_sub_f32_e32 v77, v77, v82
	v_cndmask_b32_e64 v80, 0, v1, s[30:31]
	v_exp_f32_e32 v76, v76
	v_mul_f32_e32 v77, 0x3fb8aa3b, v77
	v_sub_f32_e32 v74, v74, v82
	v_add_f32_e32 v1, 0, v80
	v_cndmask_b32_e64 v81, 0, v81, s[34:35]
	v_exp_f32_e32 v77, v77
	v_mul_f32_e32 v74, 0x3fb8aa3b, v74
	v_sub_f32_e32 v75, v75, v82
	v_add_f32_e32 v1, v1, v81
	;; [unrolled: 5-line block ×10, first 2 shown]
	v_cndmask_b32_e64 v70, 0, v70, s[12:13]
	v_exp_f32_e32 v66, v66
	v_mul_f32_e32 v67, 0x3fb8aa3b, v67
	v_add_f32_e32 v1, v1, v70
	v_cndmask_b32_e64 v71, 0, v71, s[14:15]
	v_exp_f32_e32 v67, v67
	v_add_f32_e32 v1, v1, v71
	v_cndmask_b32_e64 v68, 0, v68, s[2:3]
	v_add_f32_e32 v1, v1, v68
	v_cndmask_b32_e64 v69, 0, v69, s[10:11]
	v_add_f32_e32 v1, v1, v69
	v_cndmask_b32_e32 v66, 0, v66, vcc
	v_add_f32_e32 v1, v1, v66
	v_cndmask_b32_e64 v67, 0, v67, s[0:1]
	v_add_f32_e32 v1, v1, v67
	ds_bpermute_b32 v83, v89, v1
	v_cmp_lt_u32_e64 s[0:1], 15, v88
	v_cmp_gt_u32_e32 vcc, 16, v88
	s_waitcnt lgkmcnt(0)
	s_barrier
	v_add_f32_e32 v83, v1, v83
	ds_bpermute_b32 v89, v92, v83
	s_waitcnt lgkmcnt(0)
	s_and_saveexec_b64 s[2:3], vcc
	s_cbranch_execz .LBB312_15
; %bb.14:
	v_add_f32_e32 v1, v83, v89
	v_lshlrev_b32_e32 v83, 2, v90
	ds_write2st64_b32 v83, v82, v1 offset1:1
.LBB312_15:
	s_or_b64 exec, exec, s[2:3]
	v_lshlrev_b32_e32 v1, 2, v85
	s_load_dwordx2 s[2:3], s[4:5], 0x94
	s_waitcnt lgkmcnt(0)
	s_barrier
	ds_read2_b32 v[88:89], v1 offset1:16
	ds_read2_b32 v[90:91], v1 offset0:32 offset1:48
	ds_read2_b32 v[92:93], v1 offset0:64 offset1:80
	s_mov_b32 s12, 0x7060302
	s_waitcnt lgkmcnt(2)
	v_max3_f32 v82, v88, s9, v89
	s_waitcnt lgkmcnt(1)
	v_max3_f32 v82, v82, v90, v91
	v_sub_f32_e32 v83, v88, v82
	v_mul_f32_e32 v83, 0x3fb8aa3b, v83
	v_exp_f32_e32 v94, v83
	v_sub_f32_e32 v83, v89, v82
	v_mul_f32_e32 v83, 0x3fb8aa3b, v83
	v_exp_f32_e32 v95, v83
	v_sub_f32_e32 v83, v90, v82
	v_mul_f32_e32 v83, 0x3fb8aa3b, v83
	ds_read2_b32 v[88:89], v1 offset0:96 offset1:112
	v_sub_f32_e32 v1, v91, v82
	v_exp_f32_e32 v90, v83
	v_mul_f32_e32 v1, 0x3fb8aa3b, v1
	v_exp_f32_e32 v1, v1
	s_waitcnt lgkmcnt(1)
	v_fma_f32 v83, v94, v92, 0
	v_fmac_f32_e32 v83, v95, v93
	s_waitcnt lgkmcnt(0)
	v_fmac_f32_e32 v83, v90, v88
	v_fmac_f32_e32 v83, v1, v89
	v_add_f32_e32 v89, 0x358637bd, v83
	v_div_scale_f32 v91, s[10:11], v89, v89, 1.0
	v_rcp_f32_e32 v92, v91
	s_movk_i32 s9, 0x7fff
	v_mov_b32_e32 v88, 0
	v_fma_f32 v93, -v91, v92, 1.0
	v_fmac_f32_e32 v92, v93, v92
	v_div_scale_f32 v93, vcc, 1.0, v89, 1.0
	v_mul_f32_e32 v86, v93, v92
	v_fma_f32 v84, -v91, v86, v93
	v_fmac_f32_e32 v86, v84, v92
	v_fma_f32 v84, -v91, v86, v93
	v_div_fmas_f32 v84, v84, v92, v86
	v_cmp_eq_u32_e32 vcc, 1, v87
	v_cndmask_b32_e32 v86, v94, v95, vcc
	v_cmp_eq_u32_e32 vcc, 2, v87
	v_cndmask_b32_e32 v86, v86, v90, vcc
	v_cmp_eq_u32_e32 vcc, 3, v87
	v_div_fixup_f32 v84, v84, v89, 1.0
	v_cndmask_b32_e32 v1, v86, v1, vcc
	v_mul_f32_e32 v90, v1, v84
	v_pk_mul_f32 v[80:81], v[90:91], v[80:81] op_sel_hi:[0,1]
	v_bfe_u32 v1, v81, 16, 1
	v_bfe_u32 v84, v80, 16, 1
	v_pk_mul_f32 v[78:79], v[90:91], v[78:79] op_sel_hi:[0,1]
	v_add3_u32 v80, v80, v84, s9
	v_add3_u32 v1, v81, v1, s9
	v_perm_b32 v80, v1, v80, s12
	v_bfe_u32 v1, v79, 16, 1
	v_bfe_u32 v81, v78, 16, 1
	v_add3_u32 v78, v78, v81, s9
	v_add3_u32 v1, v79, v1, s9
	v_bfe_u32 v86, v0, 4, 2
	v_perm_b32 v81, v1, v78, s12
	v_lshlrev_b32_e32 v1, 3, v86
	v_lshlrev_b32_e32 v79, 5, v85
	;; [unrolled: 1-line block ×3, first 2 shown]
	v_pk_mul_f32 v[76:77], v[90:91], v[76:77] op_sel_hi:[0,1]
	v_or3_b32 v78, v78, v79, v1
	v_bfe_u32 v1, v77, 16, 1
	v_bfe_u32 v84, v76, 16, 1
	v_pk_mul_f32 v[74:75], v[90:91], v[74:75] op_sel_hi:[0,1]
	v_add3_u32 v76, v76, v84, s9
	v_add3_u32 v1, v77, v1, s9
	v_perm_b32 v76, v1, v76, s12
	v_bfe_u32 v1, v75, 16, 1
	v_bfe_u32 v77, v74, 16, 1
	v_add3_u32 v74, v74, v77, s9
	v_add3_u32 v1, v75, v1, s9
	v_pk_mul_f32 v[72:73], v[90:91], v[72:73] op_sel_hi:[0,1]
	v_perm_b32 v77, v1, v74, s12
	v_bfe_u32 v1, v73, 16, 1
	v_bfe_u32 v74, v72, 16, 1
	v_pk_mul_f32 v[70:71], v[90:91], v[70:71] op_sel_hi:[0,1]
	v_add3_u32 v72, v72, v74, s9
	v_add3_u32 v1, v73, v1, s9
	v_perm_b32 v72, v1, v72, s12
	v_bfe_u32 v1, v71, 16, 1
	v_bfe_u32 v73, v70, 16, 1
	v_add3_u32 v70, v70, v73, s9
	v_add3_u32 v1, v71, v1, s9
	v_pk_mul_f32 v[68:69], v[90:91], v[68:69] op_sel_hi:[0,1]
	v_perm_b32 v73, v1, v70, s12
	v_bfe_u32 v1, v69, 16, 1
	v_bfe_u32 v70, v68, 16, 1
	v_pk_mul_f32 v[66:67], v[90:91], v[66:67] op_sel_hi:[0,1]
	v_add3_u32 v68, v68, v70, s9
	v_add3_u32 v1, v69, v1, s9
	v_perm_b32 v68, v1, v68, s12
	v_bfe_u32 v1, v67, 16, 1
	v_bfe_u32 v69, v66, 16, 1
	v_add3_u32 v66, v66, v69, s9
	v_add3_u32 v1, v67, v1, s9
	v_mov_b32_e32 v89, v85
	v_perm_b32 v69, v1, v66, s12
	v_cmp_eq_u32_e32 vcc, 0, v0
	s_barrier
	ds_write2st64_b64 v78, v[80:81], v[76:77] offset1:1
	ds_write2st64_b64 v78, v[72:73], v[68:69] offset0:2 offset1:3
	s_and_saveexec_b64 s[10:11], vcc
	s_cbranch_execz .LBB312_17
; %bb.16:
	s_mul_i32 s7, s7, s3
	s_mul_hi_u32 s13, s6, s3
	s_add_i32 s13, s13, s7
	s_mul_i32 s7, s6, s3
	s_add_u32 s7, s7, s8
	s_addc_u32 s13, s13, 0
	s_load_dwordx4 s[16:19], s[4:5], 0x58
	s_mul_i32 s13, s13, s2
	s_mul_hi_u32 s14, s7, s2
	s_add_i32 s13, s14, s13
	s_mul_i32 s7, s7, s2
	s_add_u32 s14, s7, s28
	s_addc_u32 s15, s13, 0
	s_lshl_b64 s[14:15], s[14:15], 2
	s_waitcnt lgkmcnt(0)
	s_add_u32 s18, s18, s14
	s_addc_u32 s19, s19, s15
	s_add_u32 s14, s16, s14
	s_addc_u32 s15, s17, s15
	global_store_dword v88, v82, s[18:19]
	global_store_dword v88, v83, s[14:15]
.LBB312_17:
	s_or_b64 exec, exec, s[10:11]
	v_lshl_or_b32 v1, v86, 9, v79
	s_waitcnt lgkmcnt(0)
	s_barrier
	ds_read_b128 v[70:73], v1
	ds_read_b128 v[66:69], v1 offset:16
	s_waitcnt vmcnt(15) lgkmcnt(1)
	v_mfma_f32_16x16x16bf16_1k v[74:77], v[46:47], v[70:71], 0
	v_cmp_gt_u32_e32 vcc, 64, v0
	s_xor_b64 s[0:1], s[0:1], -1
	s_mov_b32 s7, 0
	s_and_b64 s[0:1], vcc, s[0:1]
	v_mfma_f32_16x16x16bf16_1k v[46:49], v[48:49], v[72:73], v[74:77]
	s_waitcnt vmcnt(14) lgkmcnt(0)
	v_mfma_f32_16x16x16bf16_1k v[46:49], v[42:43], v[66:67], v[46:49]
	v_mfma_f32_16x16x16bf16_1k v[42:45], v[44:45], v[68:69], v[46:49]
	s_nop 7
	s_nop 1
	ds_read_b128 v[46:49], v1 offset:2048
	ds_read_b128 v[74:77], v1 offset:2064
	s_waitcnt vmcnt(13) lgkmcnt(1)
	v_mfma_f32_16x16x16bf16_1k v[42:45], v[38:39], v[46:47], v[42:45]
	v_mfma_f32_16x16x16bf16_1k v[38:41], v[40:41], v[48:49], v[42:45]
	s_waitcnt vmcnt(12) lgkmcnt(0)
	v_mfma_f32_16x16x16bf16_1k v[38:41], v[34:35], v[74:75], v[38:41]
	v_mfma_f32_16x16x16bf16_1k v[34:37], v[36:37], v[76:77], v[38:41]
	s_nop 7
	s_nop 1
	ds_read_b128 v[38:41], v1 offset:4096
	ds_read_b128 v[42:45], v1 offset:4112
	s_waitcnt vmcnt(11) lgkmcnt(1)
	v_mfma_f32_16x16x16bf16_1k v[34:37], v[30:31], v[38:39], v[34:37]
	v_mfma_f32_16x16x16bf16_1k v[30:33], v[32:33], v[40:41], v[34:37]
	s_waitcnt vmcnt(10) lgkmcnt(0)
	v_mfma_f32_16x16x16bf16_1k v[30:33], v[26:27], v[42:43], v[30:33]
	v_mfma_f32_16x16x16bf16_1k v[26:29], v[28:29], v[44:45], v[30:33]
	s_nop 7
	s_nop 1
	ds_read_b128 v[30:33], v1 offset:6144
	ds_read_b128 v[34:37], v1 offset:6160
	s_waitcnt lgkmcnt(0)
	s_barrier
	s_waitcnt vmcnt(9)
	v_mfma_f32_16x16x16bf16_1k v[26:29], v[22:23], v[30:31], v[26:29]
	v_mfma_f32_16x16x16bf16_1k v[22:25], v[24:25], v[32:33], v[26:29]
	s_waitcnt vmcnt(8)
	v_mfma_f32_16x16x16bf16_1k v[22:25], v[18:19], v[34:35], v[22:25]
	v_mfma_f32_16x16x16bf16_1k v[18:21], v[20:21], v[36:37], v[22:25]
	s_waitcnt vmcnt(7)
	v_mfma_f32_16x16x16bf16_1k v[22:25], v[6:7], v[70:71], 0
	s_nop 7
	s_nop 0
	v_bfe_u32 v1, v19, 16, 1
	v_add3_u32 v1, v19, v1, s9
	v_mfma_f32_16x16x16bf16_1k v[6:9], v[8:9], v[72:73], v[22:25]
	s_waitcnt vmcnt(6)
	v_mfma_f32_16x16x16bf16_1k v[6:9], v[2:3], v[66:67], v[6:9]
	v_mfma_f32_16x16x16bf16_1k v[2:5], v[4:5], v[68:69], v[6:9]
	s_waitcnt vmcnt(5)
	v_mfma_f32_16x16x16bf16_1k v[2:5], v[14:15], v[46:47], v[2:5]
	s_nop 7
	v_bfe_u32 v6, v18, 16, 1
	v_add3_u32 v6, v18, v6, s9
	v_perm_b32 v6, v1, v6, s12
	v_bfe_u32 v1, v21, 16, 1
	v_bfe_u32 v7, v20, 16, 1
	v_add3_u32 v7, v20, v7, s9
	v_add3_u32 v1, v21, v1, s9
	v_mfma_f32_16x16x16bf16_1k v[2:5], v[16:17], v[48:49], v[2:5]
	v_perm_b32 v7, v1, v7, s12
	s_waitcnt vmcnt(4)
	v_mfma_f32_16x16x16bf16_1k v[2:5], v[10:11], v[74:75], v[2:5]
	v_mfma_f32_16x16x16bf16_1k v[2:5], v[12:13], v[76:77], v[2:5]
	s_waitcnt vmcnt(3)
	v_mfma_f32_16x16x16bf16_1k v[2:5], v[54:55], v[38:39], v[2:5]
	v_mfma_f32_16x16x16bf16_1k v[2:5], v[56:57], v[40:41], v[2:5]
	;; [unrolled: 3-line block ×5, first 2 shown]
	s_nop 7
	s_nop 2
	v_bfe_u32 v1, v3, 16, 1
	v_bfe_u32 v8, v2, 16, 1
	v_add3_u32 v2, v2, v8, s9
	v_add3_u32 v1, v3, v1, s9
	v_perm_b32 v2, v1, v2, s12
	v_bfe_u32 v1, v5, 16, 1
	v_bfe_u32 v3, v4, 16, 1
	v_add3_u32 v3, v4, v3, s9
	v_add3_u32 v1, v5, v1, s9
	v_perm_b32 v3, v1, v3, s12
	ds_write2st64_b64 v78, v[6:7], v[2:3] offset1:1
	s_waitcnt lgkmcnt(0)
	s_barrier
	s_and_saveexec_b64 s[10:11], s[0:1]
	s_cbranch_execz .LBB312_19
; %bb.18:
	v_lshlrev_b32_e32 v3, 6, v89
	v_lshlrev_b32_e32 v2, 4, v0
	v_lshl_or_b32 v0, v0, 10, v3
	v_lshlrev_b32_e32 v1, 5, v86
	v_and_b32_e32 v2, 16, v2
	v_and_b32_e32 v0, 0x1a00, v0
	v_or3_b32 v0, v0, v1, v2
	ds_read_b128 v[2:5], v0
	buffer_load_dword v0, off, s[44:47], 0  ; 4-byte Folded Reload
	s_load_dwordx2 s[0:1], s[4:5], 0x68
	s_mul_i32 s4, s3, s6
	s_lshl_b32 s5, s2, 7
	s_mul_hi_u32 s3, s4, s5
	s_mul_i32 s2, s4, s5
	s_lshl_b64 s[2:3], s[2:3], 1
	s_waitcnt lgkmcnt(0)
	s_add_u32 s2, s0, s2
	s_addc_u32 s3, s1, s3
	s_lshl_b32 s6, s28, 7
	s_lshl_b64 s[0:1], s[6:7], 1
	s_add_u32 s2, s2, s0
	s_addc_u32 s3, s3, s1
	s_mul_hi_u32 s1, s5, s8
	s_mul_i32 s0, s5, s8
	s_lshl_b64 s[0:1], s[0:1], 1
	s_add_u32 s0, s2, s0
	s_addc_u32 s1, s3, s1
	s_waitcnt vmcnt(0)
	global_store_dwordx4 v0, v[2:5], s[0:1]
.LBB312_19:
	s_endpgm
	.section	.rodata,"a",@progbits
	.p2align	6, 0x0
	.amdhsa_kernel _Z39paged_attention_ll4mi_QKV_mfma16_kernelI14__hip_bfloat16S0_LN4vllm18Fp8KVCacheDataTypeE0ES0_Li16ELi128ELi256ELb1ELi1EL8MFMAType0EEvPKT_PKT0_S9_ifPKiSB_SB_iPKfiiiPfSE_PS4_PT2_iSD_SD_
		.amdhsa_group_segment_fixed_size 8192
		.amdhsa_private_segment_fixed_size 8
		.amdhsa_kernarg_size 400
		.amdhsa_user_sgpr_count 6
		.amdhsa_user_sgpr_private_segment_buffer 1
		.amdhsa_user_sgpr_dispatch_ptr 0
		.amdhsa_user_sgpr_queue_ptr 0
		.amdhsa_user_sgpr_kernarg_segment_ptr 1
		.amdhsa_user_sgpr_dispatch_id 0
		.amdhsa_user_sgpr_flat_scratch_init 0
		.amdhsa_user_sgpr_kernarg_preload_length 0
		.amdhsa_user_sgpr_kernarg_preload_offset 0
		.amdhsa_user_sgpr_private_segment_size 0
		.amdhsa_uses_dynamic_stack 0
		.amdhsa_system_sgpr_private_segment_wavefront_offset 1
		.amdhsa_system_sgpr_workgroup_id_x 1
		.amdhsa_system_sgpr_workgroup_id_y 1
		.amdhsa_system_sgpr_workgroup_id_z 1
		.amdhsa_system_sgpr_workgroup_info 0
		.amdhsa_system_vgpr_workitem_id 0
		.amdhsa_next_free_vgpr 96
		.amdhsa_next_free_sgpr 48
		.amdhsa_accum_offset 96
		.amdhsa_reserve_vcc 1
		.amdhsa_reserve_flat_scratch 0
		.amdhsa_float_round_mode_32 0
		.amdhsa_float_round_mode_16_64 0
		.amdhsa_float_denorm_mode_32 3
		.amdhsa_float_denorm_mode_16_64 3
		.amdhsa_dx10_clamp 1
		.amdhsa_ieee_mode 1
		.amdhsa_fp16_overflow 0
		.amdhsa_tg_split 0
		.amdhsa_exception_fp_ieee_invalid_op 0
		.amdhsa_exception_fp_denorm_src 0
		.amdhsa_exception_fp_ieee_div_zero 0
		.amdhsa_exception_fp_ieee_overflow 0
		.amdhsa_exception_fp_ieee_underflow 0
		.amdhsa_exception_fp_ieee_inexact 0
		.amdhsa_exception_int_div_zero 0
	.end_amdhsa_kernel
	.section	.text._Z39paged_attention_ll4mi_QKV_mfma16_kernelI14__hip_bfloat16S0_LN4vllm18Fp8KVCacheDataTypeE0ES0_Li16ELi128ELi256ELb1ELi1EL8MFMAType0EEvPKT_PKT0_S9_ifPKiSB_SB_iPKfiiiPfSE_PS4_PT2_iSD_SD_,"axG",@progbits,_Z39paged_attention_ll4mi_QKV_mfma16_kernelI14__hip_bfloat16S0_LN4vllm18Fp8KVCacheDataTypeE0ES0_Li16ELi128ELi256ELb1ELi1EL8MFMAType0EEvPKT_PKT0_S9_ifPKiSB_SB_iPKfiiiPfSE_PS4_PT2_iSD_SD_,comdat
.Lfunc_end312:
	.size	_Z39paged_attention_ll4mi_QKV_mfma16_kernelI14__hip_bfloat16S0_LN4vllm18Fp8KVCacheDataTypeE0ES0_Li16ELi128ELi256ELb1ELi1EL8MFMAType0EEvPKT_PKT0_S9_ifPKiSB_SB_iPKfiiiPfSE_PS4_PT2_iSD_SD_, .Lfunc_end312-_Z39paged_attention_ll4mi_QKV_mfma16_kernelI14__hip_bfloat16S0_LN4vllm18Fp8KVCacheDataTypeE0ES0_Li16ELi128ELi256ELb1ELi1EL8MFMAType0EEvPKT_PKT0_S9_ifPKiSB_SB_iPKfiiiPfSE_PS4_PT2_iSD_SD_
                                        ; -- End function
	.section	.AMDGPU.csdata,"",@progbits
; Kernel info:
; codeLenInByte = 5048
; NumSgprs: 52
; NumVgprs: 96
; NumAgprs: 0
; TotalNumVgprs: 96
; ScratchSize: 8
; MemoryBound: 0
; FloatMode: 240
; IeeeMode: 1
; LDSByteSize: 8192 bytes/workgroup (compile time only)
; SGPRBlocks: 6
; VGPRBlocks: 11
; NumSGPRsForWavesPerEU: 52
; NumVGPRsForWavesPerEU: 96
; AccumOffset: 96
; Occupancy: 5
; WaveLimiterHint : 1
; COMPUTE_PGM_RSRC2:SCRATCH_EN: 1
; COMPUTE_PGM_RSRC2:USER_SGPR: 6
; COMPUTE_PGM_RSRC2:TRAP_HANDLER: 0
; COMPUTE_PGM_RSRC2:TGID_X_EN: 1
; COMPUTE_PGM_RSRC2:TGID_Y_EN: 1
; COMPUTE_PGM_RSRC2:TGID_Z_EN: 1
; COMPUTE_PGM_RSRC2:TIDIG_COMP_CNT: 0
; COMPUTE_PGM_RSRC3_GFX90A:ACCUM_OFFSET: 23
; COMPUTE_PGM_RSRC3_GFX90A:TG_SPLIT: 0
	.section	.text._Z39paged_attention_ll4mi_QKV_mfma16_kernelI14__hip_bfloat16S0_LN4vllm18Fp8KVCacheDataTypeE0ES0_Li16ELi128ELi256ELb1ELi2EL8MFMAType0EEvPKT_PKT0_S9_ifPKiSB_SB_iPKfiiiPfSE_PS4_PT2_iSD_SD_,"axG",@progbits,_Z39paged_attention_ll4mi_QKV_mfma16_kernelI14__hip_bfloat16S0_LN4vllm18Fp8KVCacheDataTypeE0ES0_Li16ELi128ELi256ELb1ELi2EL8MFMAType0EEvPKT_PKT0_S9_ifPKiSB_SB_iPKfiiiPfSE_PS4_PT2_iSD_SD_,comdat
	.protected	_Z39paged_attention_ll4mi_QKV_mfma16_kernelI14__hip_bfloat16S0_LN4vllm18Fp8KVCacheDataTypeE0ES0_Li16ELi128ELi256ELb1ELi2EL8MFMAType0EEvPKT_PKT0_S9_ifPKiSB_SB_iPKfiiiPfSE_PS4_PT2_iSD_SD_ ; -- Begin function _Z39paged_attention_ll4mi_QKV_mfma16_kernelI14__hip_bfloat16S0_LN4vllm18Fp8KVCacheDataTypeE0ES0_Li16ELi128ELi256ELb1ELi2EL8MFMAType0EEvPKT_PKT0_S9_ifPKiSB_SB_iPKfiiiPfSE_PS4_PT2_iSD_SD_
	.globl	_Z39paged_attention_ll4mi_QKV_mfma16_kernelI14__hip_bfloat16S0_LN4vllm18Fp8KVCacheDataTypeE0ES0_Li16ELi128ELi256ELb1ELi2EL8MFMAType0EEvPKT_PKT0_S9_ifPKiSB_SB_iPKfiiiPfSE_PS4_PT2_iSD_SD_
	.p2align	8
	.type	_Z39paged_attention_ll4mi_QKV_mfma16_kernelI14__hip_bfloat16S0_LN4vllm18Fp8KVCacheDataTypeE0ES0_Li16ELi128ELi256ELb1ELi2EL8MFMAType0EEvPKT_PKT0_S9_ifPKiSB_SB_iPKfiiiPfSE_PS4_PT2_iSD_SD_,@function
_Z39paged_attention_ll4mi_QKV_mfma16_kernelI14__hip_bfloat16S0_LN4vllm18Fp8KVCacheDataTypeE0ES0_Li16ELi128ELi256ELb1ELi2EL8MFMAType0EEvPKT_PKT0_S9_ifPKiSB_SB_iPKfiiiPfSE_PS4_PT2_iSD_SD_: ; @_Z39paged_attention_ll4mi_QKV_mfma16_kernelI14__hip_bfloat16S0_LN4vllm18Fp8KVCacheDataTypeE0ES0_Li16ELi128ELi256ELb1ELi2EL8MFMAType0EEvPKT_PKT0_S9_ifPKiSB_SB_iPKfiiiPfSE_PS4_PT2_iSD_SD_
; %bb.0:
	s_mov_b64 s[46:47], s[2:3]
	s_mov_b64 s[44:45], s[0:1]
	s_load_dwordx2 s[0:1], s[4:5], 0x30
	s_add_u32 s44, s44, s9
	s_addc_u32 s45, s45, 0
	s_mov_b32 s26, s7
	s_mov_b64 s[10:11], 0
	s_waitcnt lgkmcnt(0)
	s_cmp_lg_u64 s[0:1], 0
	s_cselect_b64 s[2:3], -1, 0
	s_and_b64 vcc, exec, s[2:3]
	s_cbranch_vccz .LBB313_7
; %bb.1:
	s_add_i32 s12, s6, 1
	s_mov_b32 s13, 0
	s_lshl_b64 s[14:15], s[12:13], 2
	s_add_u32 s14, s0, s14
	s_mov_b32 s7, s13
	s_addc_u32 s15, s1, s15
	s_lshl_b64 s[12:13], s[6:7], 2
	s_add_u32 s12, s0, s12
	s_addc_u32 s13, s1, s13
	s_load_dword s9, s[14:15], 0x0
	s_load_dword s16, s[12:13], 0x0
	s_waitcnt lgkmcnt(0)
	s_sub_i32 s9, s9, s16
	s_cmp_eq_u32 s9, 1
	s_cselect_b64 s[12:13], -1, 0
	s_andn2_b64 vcc, exec, s[10:11]
	s_cbranch_vccnz .LBB313_3
.LBB313_2:
	s_mov_b32 s7, 0
	s_mov_b64 s[12:13], -1
.LBB313_3:
	s_andn2_b64 vcc, exec, s[12:13]
	s_cbranch_vccnz .LBB313_19
; %bb.4:
	s_load_dwordx2 s[12:13], s[4:5], 0x28
	s_lshl_b64 s[10:11], s[6:7], 2
	s_waitcnt lgkmcnt(0)
	s_add_u32 s12, s12, s10
	s_addc_u32 s13, s13, s11
	s_load_dword s33, s[12:13], 0x0
	s_lshl_b32 s16, s26, 8
	s_waitcnt lgkmcnt(0)
	s_cmp_ge_i32 s16, s33
	s_cbranch_scc1 .LBB313_19
; %bb.5:
	s_add_i32 s14, s33, 15
	s_load_dwordx2 s[12:13], s[4:5], 0x20
	s_load_dword s9, s[4:5], 0x38
	s_ashr_i32 s15, s14, 31
	v_and_b32_e32 v1, 0xcf, v0
	s_lshr_b32 s15, s15, 28
	v_add_u32_e32 v1, s16, v1
	s_add_i32 s14, s14, s15
	v_ashrrev_i32_e32 v2, 31, v1
	s_ashr_i32 s19, s14, 4
	v_lshrrev_b32_e32 v4, 28, v2
	s_add_i32 s19, s19, -1
	v_add_u32_e32 v2, v1, v4
	s_waitcnt lgkmcnt(0)
	s_mul_i32 s14, s6, s9
	s_mov_b32 s15, 0
	v_ashrrev_i32_e32 v2, 4, v2
	v_mov_b32_e32 v5, s19
	v_cmp_gt_i32_e32 vcc, s33, v1
	s_lshl_b64 s[14:15], s[14:15], 2
	v_cndmask_b32_e32 v2, v5, v2, vcc
	s_add_u32 s17, s12, s14
	v_ashrrev_i32_e32 v3, 31, v2
	s_addc_u32 s18, s13, s15
	v_lshlrev_b64 v[2:3], 2, v[2:3]
	v_mov_b32_e32 v7, s18
	v_add_co_u32_e32 v6, vcc, s17, v2
	v_or_b32_e32 v2, 16, v1
	v_addc_co_u32_e32 v7, vcc, v7, v3, vcc
	v_add_u32_e32 v3, v2, v4
	v_ashrrev_i32_e32 v3, 4, v3
	v_cmp_gt_i32_e32 vcc, s33, v2
	v_cndmask_b32_e32 v2, v5, v3, vcc
	v_ashrrev_i32_e32 v3, 31, v2
	v_lshlrev_b64 v[2:3], 2, v[2:3]
	v_mov_b32_e32 v9, s18
	v_add_co_u32_e32 v8, vcc, s17, v2
	v_or_b32_e32 v2, 32, v1
	v_addc_co_u32_e32 v9, vcc, v9, v3, vcc
	v_add_u32_e32 v3, v2, v4
	v_ashrrev_i32_e32 v3, 4, v3
	v_cmp_gt_i32_e32 vcc, s33, v2
	v_cndmask_b32_e32 v2, v5, v3, vcc
	v_ashrrev_i32_e32 v3, 31, v2
	v_lshlrev_b64 v[2:3], 2, v[2:3]
	v_mov_b32_e32 v11, s18
	v_add_co_u32_e32 v10, vcc, s17, v2
	v_or_b32_e32 v1, 48, v1
	v_addc_co_u32_e32 v11, vcc, v11, v3, vcc
	v_add_u32_e32 v2, v1, v4
	v_ashrrev_i32_e32 v2, 4, v2
	v_cmp_gt_i32_e32 vcc, s33, v1
	v_cndmask_b32_e32 v2, v5, v2, vcc
	v_ashrrev_i32_e32 v3, 31, v2
	v_lshlrev_b64 v[2:3], 2, v[2:3]
	v_mov_b32_e32 v1, s18
	v_add_co_u32_e32 v12, vcc, s17, v2
	v_addc_co_u32_e32 v13, vcc, v1, v3, vcc
	global_load_dword v5, v[6:7], off
	global_load_dword v4, v[8:9], off
	global_load_dword v3, v[10:11], off
	global_load_dword v2, v[12:13], off
	s_load_dwordx2 s[12:13], s[4:5], 0x8
	s_andn2_b64 vcc, exec, s[2:3]
	s_cbranch_vccnz .LBB313_8
; %bb.6:
	s_add_u32 s0, s0, s10
	s_addc_u32 s1, s1, s11
	s_load_dword s9, s[0:1], 0x0
	s_branch .LBB313_9
.LBB313_7:
	s_mov_b64 s[12:13], 0
	s_branch .LBB313_2
.LBB313_8:
	s_mov_b32 s9, s6
.LBB313_9:
	s_load_dwordx2 s[10:11], s[4:5], 0x10
	s_load_dwordx4 s[0:3], s[4:5], 0x48
	v_lshrrev_b32_e32 v88, 6, v0
	v_bfe_u32 v84, v0, 4, 2
	v_and_b32_e32 v85, 15, v0
	v_lshl_or_b32 v6, v88, 2, v84
	v_lshlrev_b32_e32 v1, 3, v85
	s_lshl_b32 s27, s8, 1
	v_cmp_gt_u32_e32 vcc, 2, v6
	v_lshlrev_b32_e32 v1, 1, v1
	buffer_store_dword v1, off, s[44:47], 0 ; 4-byte Folded Spill
	s_and_saveexec_b64 s[14:15], vcc
	s_cbranch_execz .LBB313_11
; %bb.10:
	buffer_load_dword v1, off, s[44:47], 0  ; 4-byte Folded Reload
	s_load_dwordx2 s[20:21], s[4:5], 0x0
	s_waitcnt lgkmcnt(0)
	s_ashr_i32 s3, s0, 31
	s_mul_hi_u32 s22, s9, s0
	s_mul_i32 s3, s9, s3
	s_add_i32 s23, s22, s3
	s_mul_i32 s22, s9, s0
	s_lshl_b64 s[22:23], s[22:23], 1
	v_add_lshl_u32 v8, v84, s27, 7
	s_add_u32 s0, s20, s22
	v_ashrrev_i32_e32 v9, 31, v8
	s_addc_u32 s3, s21, s23
	v_lshlrev_b64 v[8:9], 1, v[8:9]
	v_mov_b32_e32 v7, s3
	v_add_co_u32_e32 v8, vcc, s0, v8
	v_addc_co_u32_e32 v7, vcc, v7, v9, vcc
	v_lshlrev_b32_e32 v12, 9, v85
	v_lshlrev_b32_e32 v6, 5, v6
	v_and_b32_e32 v12, 0x1800, v12
	s_waitcnt vmcnt(0)
	v_add_co_u32_e32 v8, vcc, v8, v1
	v_addc_co_u32_e32 v9, vcc, 0, v7, vcc
	global_load_dwordx4 v[8:11], v[8:9], off
	v_and_b32_e32 v7, 3, v0
	v_lshlrev_b32_e32 v7, 9, v7
	v_or3_b32 v6, v12, v7, v6
	s_waitcnt vmcnt(0)
	ds_write_b128 v6, v[8:11]
.LBB313_11:
	s_or_b64 exec, exec, s[14:15]
	s_waitcnt lgkmcnt(0)
	s_mul_i32 s2, s8, s2
	s_mov_b32 s3, 0
	s_lshl_b64 s[2:3], s[2:3], 1
	s_add_u32 s0, s12, s2
	v_lshlrev_b32_e32 v1, 4, v0
	s_addc_u32 s8, s13, s3
	v_and_b32_e32 v6, 0xf0, v1
	v_mov_b32_e32 v7, s8
	v_add_co_u32_e32 v8, vcc, s0, v6
	v_addc_co_u32_e32 v9, vcc, 0, v7, vcc
	s_waitcnt vmcnt(4)
	v_mad_i64_i32 v[6:7], s[8:9], v5, s1, 0
	v_lshlrev_b64 v[6:7], 1, v[6:7]
	v_add_co_u32_e32 v5, vcc, v8, v6
	v_addc_co_u32_e32 v7, vcc, v9, v7, vcc
	v_and_b32_e32 v10, 0x300, v1
	v_add_co_u32_e32 v6, vcc, v5, v10
	s_waitcnt vmcnt(3)
	v_mad_i64_i32 v[4:5], s[8:9], v4, s1, 0
	v_addc_co_u32_e32 v7, vcc, 0, v7, vcc
	v_lshlrev_b64 v[4:5], 1, v[4:5]
	v_add_co_u32_e32 v4, vcc, v8, v4
	v_addc_co_u32_e32 v5, vcc, v9, v5, vcc
	v_add_co_u32_e32 v4, vcc, v4, v10
	v_addc_co_u32_e32 v5, vcc, 0, v5, vcc
	s_barrier
	global_load_dwordx4 v[74:77], v[6:7], off
	global_load_dwordx4 v[66:69], v[6:7], off offset:1024
	global_load_dwordx4 v[58:61], v[6:7], off offset:2048
	global_load_dwordx4 v[42:45], v[6:7], off offset:3072
	global_load_dwordx4 v[78:81], v[4:5], off
	global_load_dwordx4 v[70:73], v[4:5], off offset:1024
	global_load_dwordx4 v[62:65], v[4:5], off offset:2048
	global_load_dwordx4 v[46:49], v[4:5], off offset:3072
	s_waitcnt vmcnt(10)
	v_mad_i64_i32 v[4:5], s[8:9], v3, s1, 0
	v_lshlrev_b64 v[4:5], 1, v[4:5]
	v_add_co_u32_e32 v3, vcc, v8, v4
	v_addc_co_u32_e32 v5, vcc, v9, v5, vcc
	v_add_co_u32_e32 v4, vcc, v3, v10
	s_waitcnt vmcnt(9)
	v_mad_i64_i32 v[2:3], s[8:9], v2, s1, 0
	v_addc_co_u32_e32 v5, vcc, 0, v5, vcc
	v_lshlrev_b64 v[2:3], 1, v[2:3]
	v_add_co_u32_e32 v2, vcc, v8, v2
	v_addc_co_u32_e32 v3, vcc, v9, v3, vcc
	v_add_co_u32_e32 v6, vcc, v2, v10
	v_addc_co_u32_e32 v7, vcc, 0, v3, vcc
	global_load_dwordx4 v[38:41], v[4:5], off
	global_load_dwordx4 v[34:37], v[4:5], off offset:1024
	global_load_dwordx4 v[30:33], v[4:5], off offset:2048
	;; [unrolled: 1-line block ×3, first 2 shown]
	global_load_dwordx4 v[18:21], v[6:7], off
	global_load_dwordx4 v[10:13], v[6:7], off offset:1024
	s_nop 0
	global_load_dwordx4 v[2:5], v[6:7], off offset:2048
	global_load_dwordx4 v[50:53], v[6:7], off offset:3072
	v_and_b32_e32 v6, 1, v0
	v_lshlrev_b32_e32 v6, 5, v6
	v_lshl_or_b32 v54, v84, 9, v6
	ds_read_b128 v[22:25], v54
	ds_read_b128 v[14:17], v54 offset:2048
	ds_read_b128 v[6:9], v54 offset:4096
	;; [unrolled: 1-line block ×3, first 2 shown]
	v_cmp_gt_u32_e32 vcc, 2, v85
	v_mov_b32_e32 v89, 0
	s_and_saveexec_b64 s[8:9], vcc
	s_cbranch_execz .LBB313_13
; %bb.12:
	s_load_dwordx2 s[12:13], s[4:5], 0x40
	v_or_b32_e32 v82, s27, v85
	v_ashrrev_i32_e32 v83, 31, v82
	v_lshlrev_b64 v[82:83], 2, v[82:83]
	s_waitcnt lgkmcnt(0)
	v_mov_b32_e32 v89, s13
	v_add_co_u32_e32 v82, vcc, s12, v82
	v_addc_co_u32_e32 v83, vcc, v89, v83, vcc
	global_load_dword v89, v[82:83], off
.LBB313_13:
	s_or_b64 exec, exec, s[8:9]
	s_waitcnt vmcnt(15) lgkmcnt(3)
	v_mfma_f32_16x16x16bf16_1k v[90:93], v[74:75], v[22:23], 0
	s_add_u32 s8, s10, s2
	s_addc_u32 s9, s11, s3
	s_load_dword s0, s[4:5], 0x1c
	s_mov_b32 s40, 0xff7fffff
	v_mfma_f32_16x16x16bf16_1k v[74:77], v[76:77], v[24:25], v[90:93]
	s_waitcnt vmcnt(14) lgkmcnt(0)
	v_mfma_f32_16x16x16bf16_1k v[74:77], v[66:67], v[14:15], v[74:77]
	s_nop 4
	v_lshl_or_b32 v90, v88, 4, v85
	v_mfma_f32_16x16x16bf16_1k v[66:69], v[68:69], v[16:17], v[74:77]
	s_waitcnt vmcnt(13)
	v_mfma_f32_16x16x16bf16_1k v[66:69], v[58:59], v[6:7], v[66:69]
	s_nop 4
	v_lshlrev_b32_e32 v76, 5, v90
	v_mfma_f32_16x16x16bf16_1k v[58:61], v[60:61], v[8:9], v[66:69]
	s_waitcnt vmcnt(12)
	v_mfma_f32_16x16x16bf16_1k v[58:61], v[42:43], v[54:55], v[58:61]
	s_nop 4
	v_mov_b32_e32 v66, s18
	v_mfma_f32_16x16x16bf16_1k v[58:61], v[44:45], v[56:57], v[58:61]
	s_waitcnt vmcnt(11)
	v_mfma_f32_16x16x16bf16_1k v[42:45], v[78:79], v[22:23], 0
	s_nop 7
	s_nop 0
	v_pk_mul_f32 v[58:59], s[0:1], v[58:59] op_sel_hi:[0,1]
	v_mfma_f32_16x16x16bf16_1k v[42:45], v[80:81], v[24:25], v[42:45]
	s_waitcnt vmcnt(10)
	v_mfma_f32_16x16x16bf16_1k v[42:45], v[70:71], v[14:15], v[42:45]
	v_mfma_f32_16x16x16bf16_1k v[42:45], v[72:73], v[16:17], v[42:45]
	s_waitcnt vmcnt(9)
	v_mfma_f32_16x16x16bf16_1k v[42:45], v[62:63], v[6:7], v[42:45]
	;; [unrolled: 3-line block ×3, first 2 shown]
	v_mfma_f32_16x16x16bf16_1k v[62:65], v[48:49], v[56:57], v[42:45]
	v_and_or_b32 v48, v0, 48, s16
	v_mov_b32_e32 v49, s19
	v_cmp_gt_i32_e32 vcc, s33, v48
	s_waitcnt vmcnt(7)
	v_mfma_f32_16x16x16bf16_1k v[42:45], v[38:39], v[22:23], 0
	v_ashrrev_i32_e32 v38, 4, v48
	v_cndmask_b32_e32 v38, v49, v38, vcc
	v_ashrrev_i32_e32 v39, 31, v38
	v_lshlrev_b64 v[46:47], 2, v[38:39]
	v_mfma_f32_16x16x16bf16_1k v[38:41], v[40:41], v[24:25], v[42:45]
	s_nop 6
	v_add_co_u32_e32 v42, vcc, s17, v46
	v_addc_co_u32_e32 v43, vcc, v66, v47, vcc
	global_load_dword v44, v[42:43], off
	v_or_b32_e32 v42, 64, v48
	v_ashrrev_i32_e32 v43, 4, v42
	v_cmp_gt_i32_e32 vcc, s33, v42
	v_cndmask_b32_e32 v42, v49, v43, vcc
	s_waitcnt vmcnt(7)
	v_mfma_f32_16x16x16bf16_1k v[38:41], v[34:35], v[14:15], v[38:41]
	v_ashrrev_i32_e32 v43, 31, v42
	v_lshlrev_b64 v[34:35], 2, v[42:43]
	v_mov_b32_e32 v42, s18
	v_add_co_u32_e32 v34, vcc, s17, v34
	v_addc_co_u32_e32 v35, vcc, v42, v35, vcc
	global_load_dword v72, v[34:35], off
	v_mfma_f32_16x16x16bf16_1k v[34:37], v[36:37], v[16:17], v[38:41]
	s_nop 6
	v_or_b32_e32 v38, 0x80, v48
	v_ashrrev_i32_e32 v39, 4, v38
	v_cmp_gt_i32_e32 vcc, s33, v38
	v_cndmask_b32_e32 v38, v49, v39, vcc
	v_ashrrev_i32_e32 v39, 31, v38
	v_lshlrev_b64 v[38:39], 2, v[38:39]
	v_mov_b32_e32 v40, s18
	s_waitcnt vmcnt(7)
	v_mfma_f32_16x16x16bf16_1k v[34:37], v[30:31], v[6:7], v[34:37]
	v_add_co_u32_e32 v30, vcc, s17, v38
	v_addc_co_u32_e32 v31, vcc, v40, v39, vcc
	global_load_dword v74, v[30:31], off
	v_or_b32_e32 v30, 0xc0, v48
	v_ashrrev_i32_e32 v31, 4, v30
	v_cmp_gt_i32_e32 vcc, s33, v30
	v_cndmask_b32_e32 v38, v49, v31, vcc
	v_ashrrev_i32_e32 v39, 31, v38
	v_mfma_f32_16x16x16bf16_1k v[30:33], v[32:33], v[8:9], v[34:37]
	s_nop 6
	v_lshlrev_b64 v[34:35], 2, v[38:39]
	v_mov_b32_e32 v36, s18
	v_add_co_u32_e32 v34, vcc, s17, v34
	v_addc_co_u32_e32 v35, vcc, v36, v35, vcc
	global_load_dword v75, v[34:35], off
	s_waitcnt vmcnt(8)
	v_mfma_f32_16x16x16bf16_1k v[30:33], v[26:27], v[54:55], v[30:33]
	v_mov_b32_e32 v26, s9
	v_add_co_u32_e32 v77, vcc, s8, v76
	v_addc_co_u32_e32 v78, vcc, 0, v26, vcc
	s_waitcnt vmcnt(3)
	v_mad_i64_i32 v[26:27], s[2:3], v44, s1, 0
	v_mfma_f32_16x16x16bf16_1k v[66:69], v[28:29], v[56:57], v[30:33]
	v_lshlrev_b64 v[70:71], 1, v[26:27]
	v_mfma_f32_16x16x16bf16_1k v[26:29], v[18:19], v[22:23], 0
	v_add_co_u32_e32 v18, vcc, v77, v70
	v_addc_co_u32_e32 v19, vcc, v78, v71, vcc
	global_load_dwordx4 v[46:49], v[18:19], off
	global_load_dwordx4 v[42:45], v[18:19], off offset:16
	s_waitcnt vmcnt(4)
	v_mad_i64_i32 v[18:19], s[2:3], v72, s1, 0
	v_lshlrev_b64 v[72:73], 1, v[18:19]
	v_mfma_f32_16x16x16bf16_1k v[18:21], v[20:21], v[24:25], v[26:29]
	v_add_co_u32_e32 v22, vcc, v77, v72
	v_addc_co_u32_e32 v23, vcc, v78, v73, vcc
	global_load_dwordx4 v[38:41], v[22:23], off
	global_load_dwordx4 v[34:37], v[22:23], off offset:16
	s_waitcnt vmcnt(5)
	v_mad_i64_i32 v[22:23], s[2:3], v74, s1, 0
	v_mfma_f32_16x16x16bf16_1k v[18:21], v[10:11], v[14:15], v[18:21]
	v_lshlrev_b64 v[82:83], 1, v[22:23]
	v_add_co_u32_e32 v10, vcc, v77, v82
	v_addc_co_u32_e32 v11, vcc, v78, v83, vcc
	global_load_dwordx4 v[30:33], v[10:11], off
	global_load_dwordx4 v[26:29], v[10:11], off offset:16
	s_waitcnt vmcnt(6)
	v_mad_i64_i32 v[14:15], s[2:3], v75, s1, 0
	v_mfma_f32_16x16x16bf16_1k v[10:13], v[12:13], v[16:17], v[18:21]
	v_lshlrev_b64 v[80:81], 1, v[14:15]
	v_add_co_u32_e32 v14, vcc, v77, v80
	v_addc_co_u32_e32 v15, vcc, v78, v81, vcc
	global_load_dwordx4 v[22:25], v[14:15], off
	s_nop 2
	global_load_dwordx4 v[18:21], v[14:15], off offset:16
	v_pk_mul_f32 v[78:79], s[0:1], v[60:61] op_sel_hi:[0,1]
	v_mfma_f32_16x16x16bf16_1k v[10:13], v[2:3], v[6:7], v[10:13]
	v_or_b32_e32 v2, 0x800, v76
	v_mov_b32_e32 v3, s9
	v_add_co_u32_e32 v91, vcc, s8, v2
	v_addc_co_u32_e32 v1, vcc, 0, v3, vcc
	v_add_co_u32_e32 v2, vcc, v91, v70
	v_mfma_f32_16x16x16bf16_1k v[10:13], v[4:5], v[8:9], v[10:13]
	v_addc_co_u32_e32 v3, vcc, v1, v71, vcc
	v_add_co_u32_e32 v70, vcc, v91, v72
	v_addc_co_u32_e32 v71, vcc, v1, v73, vcc
	global_load_dwordx4 v[6:9], v[2:3], off
	s_nop 0
	global_load_dwordx4 v[2:5], v[2:3], off offset:16
	v_mfma_f32_16x16x16bf16_1k v[92:95], v[50:51], v[54:55], v[10:13]
	global_load_dwordx4 v[14:17], v[70:71], off
	s_nop 5
	global_load_dwordx4 v[10:13], v[70:71], off offset:16
	v_pk_mul_f32 v[70:71], s[0:1], v[68:69] op_sel_hi:[0,1]
	v_pk_mul_f32 v[72:73], s[0:1], v[66:67] op_sel_hi:[0,1]
	v_pk_mul_f32 v[74:75], s[0:1], v[64:65] op_sel_hi:[0,1]
	v_pk_mul_f32 v[76:77], s[0:1], v[62:63] op_sel_hi:[0,1]
	v_mfma_f32_16x16x16bf16_1k v[50:53], v[52:53], v[56:57], v[92:95]
	s_nop 7
	s_nop 2
	v_pk_mul_f32 v[68:69], s[0:1], v[50:51] op_sel_hi:[0,1]
	v_and_b32_e32 v50, 0xc0, v0
	v_add_u32_e32 v50, s16, v50
	v_lshl_or_b32 v50, v84, 2, v50
	v_or_b32_e32 v51, 1, v50
	v_pk_mul_f32 v[66:67], s[0:1], v[52:53] op_sel_hi:[0,1]
	v_subrev_u32_e32 v52, s33, v51
	v_add_u32_e32 v54, 1, v52
	v_add_u32_e32 v55, 2, v52
	v_cvt_f32_i32_e32 v53, v52
	v_cvt_f32_i32_e32 v54, v54
	;; [unrolled: 1-line block ×3, first 2 shown]
	v_add_u32_e32 v56, 3, v52
	v_fma_f32 v58, v89, v53, v58
	v_fmac_f32_e32 v59, v89, v54
	v_fma_f32 v78, v89, v55, v78
	v_add_u32_e32 v53, 16, v52
	v_add_u32_e32 v54, 17, v52
	;; [unrolled: 1-line block ×3, first 2 shown]
	v_cvt_f32_i32_e32 v56, v56
	v_cvt_f32_i32_e32 v53, v53
	;; [unrolled: 1-line block ×4, first 2 shown]
	v_fmac_f32_e32 v79, v89, v56
	v_add_u32_e32 v56, 19, v52
	v_fma_f32 v76, v89, v53, v76
	v_fmac_f32_e32 v77, v89, v54
	v_fma_f32 v74, v89, v55, v74
	v_add_u32_e32 v53, 32, v52
	v_add_u32_e32 v54, 33, v52
	;; [unrolled: 1-line block ×3, first 2 shown]
	v_cvt_f32_i32_e32 v56, v56
	v_cvt_f32_i32_e32 v53, v53
	;; [unrolled: 1-line block ×4, first 2 shown]
	v_fmac_f32_e32 v75, v89, v56
	v_add_u32_e32 v56, 35, v52
	v_fma_f32 v72, v89, v53, v72
	v_fmac_f32_e32 v73, v89, v54
	v_fma_f32 v70, v89, v55, v70
	v_add_u32_e32 v53, 48, v52
	v_add_u32_e32 v54, 49, v52
	;; [unrolled: 1-line block ×4, first 2 shown]
	v_cvt_f32_i32_e32 v52, v52
	v_cvt_f32_i32_e32 v53, v53
	;; [unrolled: 1-line block ×3, first 2 shown]
	v_cmp_gt_i32_e64 s[28:29], s33, v50
	v_fmac_f32_e32 v67, v89, v52
	v_mov_b32_e32 v52, 0xff7fffff
	v_cmp_gt_i32_e64 s[30:31], s33, v51
	v_fma_f32 v68, v89, v53, v68
	v_cndmask_b32_e64 v53, v52, v58, s[28:29]
	v_cndmask_b32_e64 v51, v52, v59, s[30:31]
	v_fmac_f32_e32 v69, v89, v54
	v_max3_f32 v51, v53, s40, v51
	v_or_b32_e32 v53, 2, v50
	v_or_b32_e32 v54, 3, v50
	v_cmp_gt_i32_e64 s[34:35], s33, v53
	v_cmp_gt_i32_e64 s[36:37], s33, v54
	v_cndmask_b32_e64 v53, v52, v78, s[34:35]
	v_cndmask_b32_e64 v54, v52, v79, s[36:37]
	v_max3_f32 v51, v51, v53, v54
	v_or_b32_e32 v53, 16, v50
	v_or_b32_e32 v54, 17, v50
	v_cmp_gt_i32_e64 s[22:23], s33, v53
	v_cmp_gt_i32_e64 s[24:25], s33, v54
	v_cndmask_b32_e64 v53, v52, v76, s[22:23]
	v_cndmask_b32_e64 v54, v52, v77, s[24:25]
	;; [unrolled: 7-line block ×3, first 2 shown]
	v_cvt_f32_i32_e32 v56, v56
	v_max3_f32 v51, v51, v53, v54
	v_or_b32_e32 v53, 32, v50
	v_or_b32_e32 v54, 33, v50
	v_cmp_gt_i32_e64 s[14:15], s33, v53
	v_cmp_gt_i32_e64 s[16:17], s33, v54
	v_cndmask_b32_e64 v53, v52, v72, s[14:15]
	v_cndmask_b32_e64 v54, v52, v73, s[16:17]
	v_max3_f32 v51, v51, v53, v54
	v_or_b32_e32 v53, 34, v50
	v_or_b32_e32 v54, 35, v50
	v_fmac_f32_e32 v71, v89, v56
	v_cmp_gt_i32_e64 s[10:11], s33, v53
	v_cmp_gt_i32_e64 s[12:13], s33, v54
	v_cndmask_b32_e64 v53, v52, v70, s[10:11]
	v_cndmask_b32_e64 v54, v52, v71, s[12:13]
	v_cvt_f32_i32_e32 v55, v55
	v_max3_f32 v51, v51, v53, v54
	v_or_b32_e32 v53, 48, v50
	v_or_b32_e32 v54, 49, v50
	v_cmp_gt_i32_e64 s[2:3], s33, v53
	v_cmp_gt_i32_e64 s[8:9], s33, v54
	v_cndmask_b32_e64 v53, v52, v68, s[2:3]
	v_cndmask_b32_e64 v54, v52, v69, s[8:9]
	v_max3_f32 v51, v51, v53, v54
	v_or_b32_e32 v53, 50, v50
	v_or_b32_e32 v50, 51, v50
	v_fma_f32 v66, v89, v55, v66
	v_cmp_gt_i32_e32 vcc, s33, v53
	v_cmp_gt_i32_e64 s[0:1], s33, v50
	v_cndmask_b32_e32 v53, v52, v66, vcc
	v_cndmask_b32_e64 v50, v52, v67, s[0:1]
	v_max3_f32 v60, v51, v53, v50
	v_mbcnt_lo_u32_b32 v50, -1, 0
	v_mbcnt_hi_u32_b32 v61, -1, v50
	v_and_b32_e32 v50, 64, v61
	v_add_u32_e32 v62, 64, v50
	v_xor_b32_e32 v50, 32, v61
	v_cmp_lt_i32_e64 s[38:39], v50, v62
	v_cndmask_b32_e64 v50, v61, v50, s[38:39]
	v_lshlrev_b32_e32 v89, 2, v50
	ds_bpermute_b32 v63, v89, v60
	v_add_co_u32_e64 v50, s[38:39], v91, v82
	v_addc_co_u32_e64 v51, s[38:39], v1, v83, s[38:39]
	s_waitcnt lgkmcnt(0)
	v_max_f32_e32 v63, v63, v63
	v_max_f32_e32 v63, v60, v63
	v_xor_b32_e32 v60, 16, v61
	v_cmp_lt_i32_e64 s[38:39], v60, v62
	v_cndmask_b32_e64 v60, v61, v60, s[38:39]
	v_lshlrev_b32_e32 v92, 2, v60
	ds_bpermute_b32 v62, v92, v63
	v_add_co_u32_e64 v60, s[38:39], v91, v80
	v_addc_co_u32_e64 v61, s[38:39], v1, v81, s[38:39]
	s_waitcnt lgkmcnt(0)
	v_max_f32_e32 v1, v62, v62
	v_max_f32_e32 v82, v63, v1
	v_sub_f32_e32 v1, v58, v82
	v_sub_f32_e32 v58, v59, v82
	v_mul_f32_e32 v58, 0x3fb8aa3b, v58
	global_load_dwordx4 v[54:57], v[50:51], off
	s_nop 0
	global_load_dwordx4 v[50:53], v[50:51], off offset:16
	v_exp_f32_e32 v81, v58
	global_load_dwordx4 v[62:65], v[60:61], off
	s_nop 0
	global_load_dwordx4 v[58:61], v[60:61], off offset:16
	v_mul_f32_e32 v1, 0x3fb8aa3b, v1
	v_exp_f32_e32 v1, v1
	v_sub_f32_e32 v78, v78, v82
	v_mul_f32_e32 v78, 0x3fb8aa3b, v78
	v_sub_f32_e32 v79, v79, v82
	v_exp_f32_e32 v78, v78
	v_mul_f32_e32 v79, 0x3fb8aa3b, v79
	v_sub_f32_e32 v76, v76, v82
	v_exp_f32_e32 v79, v79
	v_mul_f32_e32 v76, 0x3fb8aa3b, v76
	v_sub_f32_e32 v77, v77, v82
	v_cndmask_b32_e64 v80, 0, v1, s[28:29]
	v_exp_f32_e32 v76, v76
	v_mul_f32_e32 v77, 0x3fb8aa3b, v77
	v_sub_f32_e32 v74, v74, v82
	v_add_f32_e32 v1, 0, v80
	v_cndmask_b32_e64 v81, 0, v81, s[30:31]
	v_exp_f32_e32 v77, v77
	v_mul_f32_e32 v74, 0x3fb8aa3b, v74
	v_sub_f32_e32 v75, v75, v82
	v_add_f32_e32 v1, v1, v81
	;; [unrolled: 5-line block ×10, first 2 shown]
	v_cndmask_b32_e64 v70, 0, v70, s[10:11]
	v_exp_f32_e32 v66, v66
	v_mul_f32_e32 v67, 0x3fb8aa3b, v67
	v_add_f32_e32 v1, v1, v70
	v_cndmask_b32_e64 v71, 0, v71, s[12:13]
	v_exp_f32_e32 v67, v67
	v_add_f32_e32 v1, v1, v71
	v_cndmask_b32_e64 v68, 0, v68, s[2:3]
	v_add_f32_e32 v1, v1, v68
	v_cndmask_b32_e64 v69, 0, v69, s[8:9]
	v_add_f32_e32 v1, v1, v69
	v_cndmask_b32_e32 v66, 0, v66, vcc
	v_add_f32_e32 v1, v1, v66
	v_cndmask_b32_e64 v67, 0, v67, s[0:1]
	v_add_f32_e32 v1, v1, v67
	ds_bpermute_b32 v83, v89, v1
	s_load_dword s3, s[4:5], 0x98
	s_waitcnt lgkmcnt(0)
	s_barrier
	v_add_f32_e32 v83, v1, v83
	ds_bpermute_b32 v89, v92, v83
	v_and_b32_e32 v1, 63, v0
	v_cmp_gt_u32_e32 vcc, 16, v1
	s_and_saveexec_b64 s[0:1], vcc
	s_cbranch_execz .LBB313_15
; %bb.14:
	s_waitcnt lgkmcnt(0)
	v_add_f32_e32 v1, v83, v89
	v_lshlrev_b32_e32 v83, 2, v90
	ds_write2st64_b32 v83, v82, v1 offset1:1
.LBB313_15:
	s_or_b64 exec, exec, s[0:1]
	v_lshlrev_b32_e32 v1, 2, v85
	s_load_dword s2, s[4:5], 0x94
	s_waitcnt lgkmcnt(0)
	s_barrier
	ds_read2_b32 v[90:91], v1 offset1:16
	ds_read2_b32 v[92:93], v1 offset0:32 offset1:48
	ds_read2_b32 v[94:95], v1 offset0:64 offset1:80
	s_movk_i32 s9, 0x7fff
	s_mov_b32 s10, 0x7060302
	s_waitcnt lgkmcnt(2)
	v_max3_f32 v82, v90, s40, v91
	s_waitcnt lgkmcnt(1)
	v_max3_f32 v82, v82, v92, v93
	v_sub_f32_e32 v83, v90, v82
	v_mul_f32_e32 v83, 0x3fb8aa3b, v83
	v_exp_f32_e32 v89, v83
	v_sub_f32_e32 v83, v91, v82
	v_mul_f32_e32 v83, 0x3fb8aa3b, v83
	v_exp_f32_e32 v87, v83
	v_sub_f32_e32 v83, v92, v82
	v_mul_f32_e32 v83, 0x3fb8aa3b, v83
	ds_read2_b32 v[90:91], v1 offset0:96 offset1:112
	v_sub_f32_e32 v1, v93, v82
	v_exp_f32_e32 v92, v83
	v_mul_f32_e32 v1, 0x3fb8aa3b, v1
	v_exp_f32_e32 v1, v1
	s_waitcnt lgkmcnt(1)
	v_fma_f32 v83, v89, v94, 0
	v_fmac_f32_e32 v83, v87, v95
	s_waitcnt lgkmcnt(0)
	v_fmac_f32_e32 v83, v92, v90
	v_fmac_f32_e32 v83, v1, v91
	v_add_f32_e32 v90, 0x358637bd, v83
	v_div_scale_f32 v91, s[0:1], v90, v90, 1.0
	v_rcp_f32_e32 v93, v91
	s_lshl_b32 s8, s3, 1
	s_barrier
	v_fma_f32 v94, -v91, v93, 1.0
	v_fmac_f32_e32 v93, v94, v93
	v_div_scale_f32 v94, vcc, 1.0, v90, 1.0
	v_mul_f32_e32 v95, v94, v93
	v_fma_f32 v86, -v91, v95, v94
	v_fmac_f32_e32 v95, v86, v93
	v_fma_f32 v86, -v91, v95, v94
	v_div_fmas_f32 v86, v86, v93, v95
	v_cmp_eq_u32_e32 vcc, 1, v88
	v_cndmask_b32_e32 v87, v89, v87, vcc
	v_cmp_eq_u32_e32 vcc, 2, v88
	v_cndmask_b32_e32 v87, v87, v92, vcc
	v_cmp_eq_u32_e32 vcc, 3, v88
	v_div_fixup_f32 v86, v86, v90, 1.0
	v_cndmask_b32_e32 v1, v87, v1, vcc
	v_mul_f32_e32 v90, v1, v86
	v_pk_mul_f32 v[80:81], v[90:91], v[80:81] op_sel_hi:[0,1]
	v_bfe_u32 v1, v81, 16, 1
	v_bfe_u32 v86, v80, 16, 1
	v_pk_mul_f32 v[78:79], v[90:91], v[78:79] op_sel_hi:[0,1]
	v_add3_u32 v80, v80, v86, s9
	v_add3_u32 v1, v81, v1, s9
	v_perm_b32 v80, v1, v80, s10
	v_bfe_u32 v1, v79, 16, 1
	v_bfe_u32 v81, v78, 16, 1
	v_add3_u32 v78, v78, v81, s9
	v_add3_u32 v1, v79, v1, s9
	v_perm_b32 v81, v1, v78, s10
	v_lshlrev_b32_e32 v1, 3, v84
	v_lshlrev_b32_e32 v79, 5, v85
	;; [unrolled: 1-line block ×3, first 2 shown]
	v_pk_mul_f32 v[76:77], v[90:91], v[76:77] op_sel_hi:[0,1]
	v_or3_b32 v78, v78, v79, v1
	v_bfe_u32 v1, v77, 16, 1
	v_bfe_u32 v86, v76, 16, 1
	v_pk_mul_f32 v[74:75], v[90:91], v[74:75] op_sel_hi:[0,1]
	v_add3_u32 v76, v76, v86, s9
	v_add3_u32 v1, v77, v1, s9
	v_perm_b32 v76, v1, v76, s10
	v_bfe_u32 v1, v75, 16, 1
	v_bfe_u32 v77, v74, 16, 1
	v_add3_u32 v74, v74, v77, s9
	v_add3_u32 v1, v75, v1, s9
	v_pk_mul_f32 v[72:73], v[90:91], v[72:73] op_sel_hi:[0,1]
	v_perm_b32 v77, v1, v74, s10
	v_bfe_u32 v1, v73, 16, 1
	v_bfe_u32 v74, v72, 16, 1
	v_pk_mul_f32 v[70:71], v[90:91], v[70:71] op_sel_hi:[0,1]
	v_add3_u32 v72, v72, v74, s9
	v_add3_u32 v1, v73, v1, s9
	v_perm_b32 v72, v1, v72, s10
	v_bfe_u32 v1, v71, 16, 1
	v_bfe_u32 v73, v70, 16, 1
	v_add3_u32 v70, v70, v73, s9
	v_add3_u32 v1, v71, v1, s9
	v_pk_mul_f32 v[68:69], v[90:91], v[68:69] op_sel_hi:[0,1]
	v_perm_b32 v73, v1, v70, s10
	v_bfe_u32 v1, v69, 16, 1
	v_bfe_u32 v70, v68, 16, 1
	v_pk_mul_f32 v[66:67], v[90:91], v[66:67] op_sel_hi:[0,1]
	v_add3_u32 v68, v68, v70, s9
	v_add3_u32 v1, v69, v1, s9
	v_perm_b32 v68, v1, v68, s10
	v_bfe_u32 v1, v67, 16, 1
	v_bfe_u32 v69, v66, 16, 1
	v_add3_u32 v66, v66, v69, s9
	v_add3_u32 v1, v67, v1, s9
	v_perm_b32 v69, v1, v66, s10
	v_cmp_gt_u32_e32 vcc, 2, v0
	ds_write2st64_b64 v78, v[80:81], v[76:77] offset1:1
	ds_write2st64_b64 v78, v[72:73], v[68:69] offset0:2 offset1:3
	s_and_saveexec_b64 s[0:1], vcc
	s_cbranch_execz .LBB313_17
; %bb.16:
	v_or_b32_e32 v66, s27, v0
	v_mov_b32_e32 v67, 0
	v_mov_b32_e32 v1, s8
	v_mad_u64_u32 v[68:69], s[16:17], s6, v1, v[66:67]
	v_mov_b32_e32 v66, s26
	s_load_dwordx4 s[12:15], s[4:5], 0x58
	s_mul_i32 s3, s7, s8
	v_mad_u64_u32 v[66:67], s[16:17], v68, s2, v[66:67]
	v_add_u32_e32 v1, s3, v69
	v_mov_b32_e32 v68, v67
	v_mad_u64_u32 v[68:69], s[16:17], v1, s2, v[68:69]
	v_mov_b32_e32 v67, v68
	v_lshlrev_b64 v[66:67], 2, v[66:67]
	s_waitcnt lgkmcnt(0)
	v_mov_b32_e32 v1, s15
	v_add_co_u32_e32 v68, vcc, s14, v66
	v_addc_co_u32_e32 v69, vcc, v1, v67, vcc
	v_mov_b32_e32 v1, s13
	v_add_co_u32_e32 v66, vcc, s12, v66
	v_addc_co_u32_e32 v67, vcc, v1, v67, vcc
	global_store_dword v[68:69], v82, off
	global_store_dword v[66:67], v83, off
.LBB313_17:
	s_or_b64 exec, exec, s[0:1]
	v_lshl_or_b32 v1, v84, 9, v79
	s_waitcnt lgkmcnt(0)
	s_barrier
	ds_read_b128 v[70:73], v1
	ds_read_b128 v[66:69], v1 offset:16
	s_waitcnt vmcnt(15) lgkmcnt(1)
	v_mfma_f32_16x16x16bf16_1k v[74:77], v[46:47], v[70:71], 0
	v_cmp_gt_u32_e32 vcc, 64, v0
	s_mov_b32 s3, 0
	v_mfma_f32_16x16x16bf16_1k v[46:49], v[48:49], v[72:73], v[74:77]
	s_waitcnt vmcnt(14) lgkmcnt(0)
	v_mfma_f32_16x16x16bf16_1k v[46:49], v[42:43], v[66:67], v[46:49]
	v_mfma_f32_16x16x16bf16_1k v[42:45], v[44:45], v[68:69], v[46:49]
	s_nop 7
	s_nop 1
	ds_read_b128 v[46:49], v1 offset:2048
	ds_read_b128 v[74:77], v1 offset:2064
	s_waitcnt vmcnt(13) lgkmcnt(1)
	v_mfma_f32_16x16x16bf16_1k v[42:45], v[38:39], v[46:47], v[42:45]
	v_mfma_f32_16x16x16bf16_1k v[38:41], v[40:41], v[48:49], v[42:45]
	s_waitcnt vmcnt(12) lgkmcnt(0)
	v_mfma_f32_16x16x16bf16_1k v[38:41], v[34:35], v[74:75], v[38:41]
	v_mfma_f32_16x16x16bf16_1k v[34:37], v[36:37], v[76:77], v[38:41]
	s_nop 7
	s_nop 1
	ds_read_b128 v[38:41], v1 offset:4096
	ds_read_b128 v[42:45], v1 offset:4112
	s_waitcnt vmcnt(11) lgkmcnt(1)
	v_mfma_f32_16x16x16bf16_1k v[34:37], v[30:31], v[38:39], v[34:37]
	v_mfma_f32_16x16x16bf16_1k v[30:33], v[32:33], v[40:41], v[34:37]
	s_waitcnt vmcnt(10) lgkmcnt(0)
	v_mfma_f32_16x16x16bf16_1k v[30:33], v[26:27], v[42:43], v[30:33]
	v_mfma_f32_16x16x16bf16_1k v[26:29], v[28:29], v[44:45], v[30:33]
	s_nop 7
	s_nop 1
	ds_read_b128 v[30:33], v1 offset:6144
	ds_read_b128 v[34:37], v1 offset:6160
	s_waitcnt lgkmcnt(0)
	s_barrier
	s_waitcnt vmcnt(9)
	v_mfma_f32_16x16x16bf16_1k v[26:29], v[22:23], v[30:31], v[26:29]
	v_mfma_f32_16x16x16bf16_1k v[22:25], v[24:25], v[32:33], v[26:29]
	s_waitcnt vmcnt(8)
	v_mfma_f32_16x16x16bf16_1k v[22:25], v[18:19], v[34:35], v[22:25]
	v_mfma_f32_16x16x16bf16_1k v[18:21], v[20:21], v[36:37], v[22:25]
	s_waitcnt vmcnt(7)
	v_mfma_f32_16x16x16bf16_1k v[22:25], v[6:7], v[70:71], 0
	s_nop 7
	s_nop 0
	v_bfe_u32 v1, v19, 16, 1
	v_add3_u32 v1, v19, v1, s9
	v_mfma_f32_16x16x16bf16_1k v[6:9], v[8:9], v[72:73], v[22:25]
	s_waitcnt vmcnt(6)
	v_mfma_f32_16x16x16bf16_1k v[6:9], v[2:3], v[66:67], v[6:9]
	v_mfma_f32_16x16x16bf16_1k v[2:5], v[4:5], v[68:69], v[6:9]
	s_waitcnt vmcnt(5)
	v_mfma_f32_16x16x16bf16_1k v[2:5], v[14:15], v[46:47], v[2:5]
	s_nop 7
	v_bfe_u32 v6, v18, 16, 1
	v_add3_u32 v6, v18, v6, s9
	v_perm_b32 v6, v1, v6, s10
	v_bfe_u32 v1, v21, 16, 1
	v_bfe_u32 v7, v20, 16, 1
	v_add3_u32 v7, v20, v7, s9
	v_add3_u32 v1, v21, v1, s9
	v_mfma_f32_16x16x16bf16_1k v[2:5], v[16:17], v[48:49], v[2:5]
	v_perm_b32 v7, v1, v7, s10
	s_waitcnt vmcnt(4)
	v_mfma_f32_16x16x16bf16_1k v[2:5], v[10:11], v[74:75], v[2:5]
	v_mfma_f32_16x16x16bf16_1k v[2:5], v[12:13], v[76:77], v[2:5]
	s_waitcnt vmcnt(3)
	v_mfma_f32_16x16x16bf16_1k v[2:5], v[54:55], v[38:39], v[2:5]
	v_mfma_f32_16x16x16bf16_1k v[2:5], v[56:57], v[40:41], v[2:5]
	;; [unrolled: 3-line block ×5, first 2 shown]
	s_nop 7
	s_nop 2
	v_bfe_u32 v1, v3, 16, 1
	v_bfe_u32 v8, v2, 16, 1
	v_add3_u32 v2, v2, v8, s9
	v_add3_u32 v1, v3, v1, s9
	v_perm_b32 v2, v1, v2, s10
	v_bfe_u32 v1, v5, 16, 1
	v_bfe_u32 v3, v4, 16, 1
	v_add3_u32 v3, v4, v3, s9
	v_add3_u32 v1, v5, v1, s9
	v_perm_b32 v3, v1, v3, s10
	v_and_b32_e32 v1, 63, v0
	v_cmp_gt_u32_e64 s[0:1], 32, v1
	s_and_b64 s[0:1], vcc, s[0:1]
	ds_write2st64_b64 v78, v[6:7], v[2:3] offset1:1
	s_waitcnt lgkmcnt(0)
	s_barrier
	s_and_saveexec_b64 s[10:11], s[0:1]
	s_cbranch_execz .LBB313_19
; %bb.18:
	s_load_dwordx2 s[0:1], s[4:5], 0x68
	s_mul_i32 s4, s8, s6
	s_lshl_b32 s6, s2, 7
	s_mul_hi_u32 s5, s4, s6
	s_mul_i32 s4, s4, s6
	v_lshlrev_b32_e32 v3, 6, v85
	s_lshl_b64 s[4:5], s[4:5], 1
	v_lshlrev_b32_e32 v2, 4, v0
	v_lshl_or_b32 v0, v0, 10, v3
	s_waitcnt lgkmcnt(0)
	s_add_u32 s4, s0, s4
	v_lshlrev_b32_e32 v1, 5, v84
	v_and_b32_e32 v2, 16, v2
	v_and_b32_e32 v0, 0x1a00, v0
	s_addc_u32 s5, s1, s5
	s_lshl_b32 s2, s26, 7
	v_or3_b32 v0, v0, v1, v2
	s_lshl_b64 s[0:1], s[2:3], 1
	ds_read_b128 v[2:5], v0
	s_add_u32 s2, s4, s0
	v_or_b32_e32 v0, s27, v84
	s_addc_u32 s3, s5, s1
	v_mad_u64_u32 v[6:7], s[0:1], s6, v0, 0
	v_lshlrev_b64 v[6:7], 1, v[6:7]
	v_mov_b32_e32 v0, s3
	v_add_co_u32_e32 v1, vcc, s2, v6
	v_addc_co_u32_e32 v6, vcc, v0, v7, vcc
	buffer_load_dword v0, off, s[44:47], 0  ; 4-byte Folded Reload
	s_waitcnt vmcnt(0)
	v_add_co_u32_e32 v0, vcc, v1, v0
	v_addc_co_u32_e32 v1, vcc, 0, v6, vcc
	s_waitcnt lgkmcnt(0)
	global_store_dwordx4 v[0:1], v[2:5], off
.LBB313_19:
	s_endpgm
	.section	.rodata,"a",@progbits
	.p2align	6, 0x0
	.amdhsa_kernel _Z39paged_attention_ll4mi_QKV_mfma16_kernelI14__hip_bfloat16S0_LN4vllm18Fp8KVCacheDataTypeE0ES0_Li16ELi128ELi256ELb1ELi2EL8MFMAType0EEvPKT_PKT0_S9_ifPKiSB_SB_iPKfiiiPfSE_PS4_PT2_iSD_SD_
		.amdhsa_group_segment_fixed_size 8192
		.amdhsa_private_segment_fixed_size 8
		.amdhsa_kernarg_size 400
		.amdhsa_user_sgpr_count 6
		.amdhsa_user_sgpr_private_segment_buffer 1
		.amdhsa_user_sgpr_dispatch_ptr 0
		.amdhsa_user_sgpr_queue_ptr 0
		.amdhsa_user_sgpr_kernarg_segment_ptr 1
		.amdhsa_user_sgpr_dispatch_id 0
		.amdhsa_user_sgpr_flat_scratch_init 0
		.amdhsa_user_sgpr_kernarg_preload_length 0
		.amdhsa_user_sgpr_kernarg_preload_offset 0
		.amdhsa_user_sgpr_private_segment_size 0
		.amdhsa_uses_dynamic_stack 0
		.amdhsa_system_sgpr_private_segment_wavefront_offset 1
		.amdhsa_system_sgpr_workgroup_id_x 1
		.amdhsa_system_sgpr_workgroup_id_y 1
		.amdhsa_system_sgpr_workgroup_id_z 1
		.amdhsa_system_sgpr_workgroup_info 0
		.amdhsa_system_vgpr_workitem_id 0
		.amdhsa_next_free_vgpr 96
		.amdhsa_next_free_sgpr 48
		.amdhsa_accum_offset 96
		.amdhsa_reserve_vcc 1
		.amdhsa_reserve_flat_scratch 0
		.amdhsa_float_round_mode_32 0
		.amdhsa_float_round_mode_16_64 0
		.amdhsa_float_denorm_mode_32 3
		.amdhsa_float_denorm_mode_16_64 3
		.amdhsa_dx10_clamp 1
		.amdhsa_ieee_mode 1
		.amdhsa_fp16_overflow 0
		.amdhsa_tg_split 0
		.amdhsa_exception_fp_ieee_invalid_op 0
		.amdhsa_exception_fp_denorm_src 0
		.amdhsa_exception_fp_ieee_div_zero 0
		.amdhsa_exception_fp_ieee_overflow 0
		.amdhsa_exception_fp_ieee_underflow 0
		.amdhsa_exception_fp_ieee_inexact 0
		.amdhsa_exception_int_div_zero 0
	.end_amdhsa_kernel
	.section	.text._Z39paged_attention_ll4mi_QKV_mfma16_kernelI14__hip_bfloat16S0_LN4vllm18Fp8KVCacheDataTypeE0ES0_Li16ELi128ELi256ELb1ELi2EL8MFMAType0EEvPKT_PKT0_S9_ifPKiSB_SB_iPKfiiiPfSE_PS4_PT2_iSD_SD_,"axG",@progbits,_Z39paged_attention_ll4mi_QKV_mfma16_kernelI14__hip_bfloat16S0_LN4vllm18Fp8KVCacheDataTypeE0ES0_Li16ELi128ELi256ELb1ELi2EL8MFMAType0EEvPKT_PKT0_S9_ifPKiSB_SB_iPKfiiiPfSE_PS4_PT2_iSD_SD_,comdat
.Lfunc_end313:
	.size	_Z39paged_attention_ll4mi_QKV_mfma16_kernelI14__hip_bfloat16S0_LN4vllm18Fp8KVCacheDataTypeE0ES0_Li16ELi128ELi256ELb1ELi2EL8MFMAType0EEvPKT_PKT0_S9_ifPKiSB_SB_iPKfiiiPfSE_PS4_PT2_iSD_SD_, .Lfunc_end313-_Z39paged_attention_ll4mi_QKV_mfma16_kernelI14__hip_bfloat16S0_LN4vllm18Fp8KVCacheDataTypeE0ES0_Li16ELi128ELi256ELb1ELi2EL8MFMAType0EEvPKT_PKT0_S9_ifPKiSB_SB_iPKfiiiPfSE_PS4_PT2_iSD_SD_
                                        ; -- End function
	.section	.AMDGPU.csdata,"",@progbits
; Kernel info:
; codeLenInByte = 5136
; NumSgprs: 52
; NumVgprs: 96
; NumAgprs: 0
; TotalNumVgprs: 96
; ScratchSize: 8
; MemoryBound: 0
; FloatMode: 240
; IeeeMode: 1
; LDSByteSize: 8192 bytes/workgroup (compile time only)
; SGPRBlocks: 6
; VGPRBlocks: 11
; NumSGPRsForWavesPerEU: 52
; NumVGPRsForWavesPerEU: 96
; AccumOffset: 96
; Occupancy: 5
; WaveLimiterHint : 1
; COMPUTE_PGM_RSRC2:SCRATCH_EN: 1
; COMPUTE_PGM_RSRC2:USER_SGPR: 6
; COMPUTE_PGM_RSRC2:TRAP_HANDLER: 0
; COMPUTE_PGM_RSRC2:TGID_X_EN: 1
; COMPUTE_PGM_RSRC2:TGID_Y_EN: 1
; COMPUTE_PGM_RSRC2:TGID_Z_EN: 1
; COMPUTE_PGM_RSRC2:TIDIG_COMP_CNT: 0
; COMPUTE_PGM_RSRC3_GFX90A:ACCUM_OFFSET: 23
; COMPUTE_PGM_RSRC3_GFX90A:TG_SPLIT: 0
	.section	.text._Z39paged_attention_ll4mi_QKV_mfma16_kernelI14__hip_bfloat16S0_LN4vllm18Fp8KVCacheDataTypeE0ES0_Li16ELi128ELi256ELb1ELi3EL8MFMAType0EEvPKT_PKT0_S9_ifPKiSB_SB_iPKfiiiPfSE_PS4_PT2_iSD_SD_,"axG",@progbits,_Z39paged_attention_ll4mi_QKV_mfma16_kernelI14__hip_bfloat16S0_LN4vllm18Fp8KVCacheDataTypeE0ES0_Li16ELi128ELi256ELb1ELi3EL8MFMAType0EEvPKT_PKT0_S9_ifPKiSB_SB_iPKfiiiPfSE_PS4_PT2_iSD_SD_,comdat
	.protected	_Z39paged_attention_ll4mi_QKV_mfma16_kernelI14__hip_bfloat16S0_LN4vllm18Fp8KVCacheDataTypeE0ES0_Li16ELi128ELi256ELb1ELi3EL8MFMAType0EEvPKT_PKT0_S9_ifPKiSB_SB_iPKfiiiPfSE_PS4_PT2_iSD_SD_ ; -- Begin function _Z39paged_attention_ll4mi_QKV_mfma16_kernelI14__hip_bfloat16S0_LN4vllm18Fp8KVCacheDataTypeE0ES0_Li16ELi128ELi256ELb1ELi3EL8MFMAType0EEvPKT_PKT0_S9_ifPKiSB_SB_iPKfiiiPfSE_PS4_PT2_iSD_SD_
	.globl	_Z39paged_attention_ll4mi_QKV_mfma16_kernelI14__hip_bfloat16S0_LN4vllm18Fp8KVCacheDataTypeE0ES0_Li16ELi128ELi256ELb1ELi3EL8MFMAType0EEvPKT_PKT0_S9_ifPKiSB_SB_iPKfiiiPfSE_PS4_PT2_iSD_SD_
	.p2align	8
	.type	_Z39paged_attention_ll4mi_QKV_mfma16_kernelI14__hip_bfloat16S0_LN4vllm18Fp8KVCacheDataTypeE0ES0_Li16ELi128ELi256ELb1ELi3EL8MFMAType0EEvPKT_PKT0_S9_ifPKiSB_SB_iPKfiiiPfSE_PS4_PT2_iSD_SD_,@function
_Z39paged_attention_ll4mi_QKV_mfma16_kernelI14__hip_bfloat16S0_LN4vllm18Fp8KVCacheDataTypeE0ES0_Li16ELi128ELi256ELb1ELi3EL8MFMAType0EEvPKT_PKT0_S9_ifPKiSB_SB_iPKfiiiPfSE_PS4_PT2_iSD_SD_: ; @_Z39paged_attention_ll4mi_QKV_mfma16_kernelI14__hip_bfloat16S0_LN4vllm18Fp8KVCacheDataTypeE0ES0_Li16ELi128ELi256ELb1ELi3EL8MFMAType0EEvPKT_PKT0_S9_ifPKiSB_SB_iPKfiiiPfSE_PS4_PT2_iSD_SD_
; %bb.0:
	s_mov_b64 s[46:47], s[2:3]
	s_mov_b64 s[44:45], s[0:1]
	s_load_dwordx2 s[0:1], s[4:5], 0x30
	s_add_u32 s44, s44, s9
	s_addc_u32 s45, s45, 0
	s_mov_b32 s26, s7
	s_mov_b64 s[10:11], 0
	s_waitcnt lgkmcnt(0)
	s_cmp_lg_u64 s[0:1], 0
	s_cselect_b64 s[2:3], -1, 0
	s_and_b64 vcc, exec, s[2:3]
	s_cbranch_vccz .LBB314_7
; %bb.1:
	s_add_i32 s12, s6, 1
	s_mov_b32 s13, 0
	s_lshl_b64 s[14:15], s[12:13], 2
	s_add_u32 s14, s0, s14
	s_mov_b32 s7, s13
	s_addc_u32 s15, s1, s15
	s_lshl_b64 s[12:13], s[6:7], 2
	s_add_u32 s12, s0, s12
	s_addc_u32 s13, s1, s13
	s_load_dword s9, s[14:15], 0x0
	s_load_dword s16, s[12:13], 0x0
	s_waitcnt lgkmcnt(0)
	s_sub_i32 s9, s9, s16
	s_cmp_eq_u32 s9, 1
	s_cselect_b64 s[12:13], -1, 0
	s_andn2_b64 vcc, exec, s[10:11]
	s_cbranch_vccnz .LBB314_3
.LBB314_2:
	s_mov_b32 s7, 0
	s_mov_b64 s[12:13], -1
.LBB314_3:
	s_andn2_b64 vcc, exec, s[12:13]
	s_cbranch_vccnz .LBB314_19
; %bb.4:
	s_load_dwordx2 s[12:13], s[4:5], 0x28
	s_lshl_b64 s[10:11], s[6:7], 2
	s_waitcnt lgkmcnt(0)
	s_add_u32 s12, s12, s10
	s_addc_u32 s13, s13, s11
	s_load_dword s33, s[12:13], 0x0
	s_lshl_b32 s16, s26, 8
	s_waitcnt lgkmcnt(0)
	s_cmp_ge_i32 s16, s33
	s_cbranch_scc1 .LBB314_19
; %bb.5:
	s_add_i32 s14, s33, 15
	s_load_dwordx2 s[12:13], s[4:5], 0x20
	s_load_dword s9, s[4:5], 0x38
	s_ashr_i32 s15, s14, 31
	v_and_b32_e32 v1, 0xcf, v0
	s_lshr_b32 s15, s15, 28
	v_add_u32_e32 v1, s16, v1
	s_add_i32 s14, s14, s15
	v_ashrrev_i32_e32 v2, 31, v1
	s_ashr_i32 s19, s14, 4
	v_lshrrev_b32_e32 v4, 28, v2
	s_add_i32 s19, s19, -1
	v_add_u32_e32 v2, v1, v4
	s_waitcnt lgkmcnt(0)
	s_mul_i32 s14, s6, s9
	s_mov_b32 s15, 0
	v_ashrrev_i32_e32 v2, 4, v2
	v_mov_b32_e32 v5, s19
	v_cmp_gt_i32_e32 vcc, s33, v1
	s_lshl_b64 s[14:15], s[14:15], 2
	v_cndmask_b32_e32 v2, v5, v2, vcc
	s_add_u32 s17, s12, s14
	v_ashrrev_i32_e32 v3, 31, v2
	s_addc_u32 s18, s13, s15
	v_lshlrev_b64 v[2:3], 2, v[2:3]
	v_mov_b32_e32 v7, s18
	v_add_co_u32_e32 v6, vcc, s17, v2
	v_or_b32_e32 v2, 16, v1
	v_addc_co_u32_e32 v7, vcc, v7, v3, vcc
	v_add_u32_e32 v3, v2, v4
	v_ashrrev_i32_e32 v3, 4, v3
	v_cmp_gt_i32_e32 vcc, s33, v2
	v_cndmask_b32_e32 v2, v5, v3, vcc
	v_ashrrev_i32_e32 v3, 31, v2
	v_lshlrev_b64 v[2:3], 2, v[2:3]
	v_mov_b32_e32 v9, s18
	v_add_co_u32_e32 v8, vcc, s17, v2
	v_or_b32_e32 v2, 32, v1
	v_addc_co_u32_e32 v9, vcc, v9, v3, vcc
	v_add_u32_e32 v3, v2, v4
	v_ashrrev_i32_e32 v3, 4, v3
	v_cmp_gt_i32_e32 vcc, s33, v2
	v_cndmask_b32_e32 v2, v5, v3, vcc
	v_ashrrev_i32_e32 v3, 31, v2
	;; [unrolled: 10-line block ×3, first 2 shown]
	v_lshlrev_b64 v[2:3], 2, v[2:3]
	v_mov_b32_e32 v1, s18
	v_add_co_u32_e32 v12, vcc, s17, v2
	v_addc_co_u32_e32 v13, vcc, v1, v3, vcc
	global_load_dword v5, v[6:7], off
	global_load_dword v4, v[8:9], off
	;; [unrolled: 1-line block ×4, first 2 shown]
	s_load_dwordx2 s[12:13], s[4:5], 0x8
	s_andn2_b64 vcc, exec, s[2:3]
	s_cbranch_vccnz .LBB314_8
; %bb.6:
	s_add_u32 s0, s0, s10
	s_addc_u32 s1, s1, s11
	s_load_dword s9, s[0:1], 0x0
	s_branch .LBB314_9
.LBB314_7:
	s_mov_b64 s[12:13], 0
	s_branch .LBB314_2
.LBB314_8:
	s_mov_b32 s9, s6
.LBB314_9:
	v_bfe_u32 v85, v0, 4, 2
	s_mul_i32 s27, s8, 3
	v_add_u32_e32 v1, s27, v85
	buffer_store_dword v1, off, s[44:47], 0 offset:4 ; 4-byte Folded Spill
	s_load_dwordx2 s[10:11], s[4:5], 0x10
	s_load_dwordx4 s[0:3], s[4:5], 0x48
	v_lshrrev_b32_e32 v88, 6, v0
	v_and_b32_e32 v86, 15, v0
	v_lshl_or_b32 v6, v88, 2, v85
	v_lshlrev_b32_e32 v1, 3, v86
	v_cmp_gt_u32_e32 vcc, 3, v6
	v_lshlrev_b32_e32 v1, 1, v1
	buffer_store_dword v1, off, s[44:47], 0 ; 4-byte Folded Spill
	s_and_saveexec_b64 s[14:15], vcc
	s_cbranch_execz .LBB314_11
; %bb.10:
	buffer_load_dword v1, off, s[44:47], 0 offset:4 ; 4-byte Folded Reload
	s_load_dwordx2 s[20:21], s[4:5], 0x0
	s_waitcnt lgkmcnt(0)
	s_ashr_i32 s3, s0, 31
	s_mul_hi_u32 s22, s9, s0
	s_mul_i32 s3, s9, s3
	s_add_i32 s23, s22, s3
	s_mul_i32 s22, s9, s0
	s_lshl_b64 s[22:23], s[22:23], 1
	s_add_u32 s0, s20, s22
	s_addc_u32 s3, s21, s23
	v_mov_b32_e32 v7, s3
	v_lshlrev_b32_e32 v12, 9, v86
	v_lshlrev_b32_e32 v6, 5, v6
	v_and_b32_e32 v12, 0x1800, v12
	s_waitcnt vmcnt(0)
	v_lshlrev_b32_e32 v8, 7, v1
	buffer_load_dword v1, off, s[44:47], 0  ; 4-byte Folded Reload
	v_ashrrev_i32_e32 v9, 31, v8
	v_lshlrev_b64 v[8:9], 1, v[8:9]
	v_add_co_u32_e32 v8, vcc, s0, v8
	v_addc_co_u32_e32 v7, vcc, v7, v9, vcc
	s_waitcnt vmcnt(0)
	v_add_co_u32_e32 v8, vcc, v8, v1
	v_addc_co_u32_e32 v9, vcc, 0, v7, vcc
	global_load_dwordx4 v[8:11], v[8:9], off
	v_and_b32_e32 v7, 3, v0
	v_lshlrev_b32_e32 v7, 9, v7
	v_or3_b32 v6, v12, v7, v6
	s_waitcnt vmcnt(0)
	ds_write_b128 v6, v[8:11]
.LBB314_11:
	s_or_b64 exec, exec, s[14:15]
	s_waitcnt lgkmcnt(0)
	s_mul_i32 s2, s8, s2
	s_mov_b32 s3, 0
	s_lshl_b64 s[2:3], s[2:3], 1
	s_add_u32 s0, s12, s2
	v_lshlrev_b32_e32 v1, 4, v0
	s_addc_u32 s8, s13, s3
	v_and_b32_e32 v6, 0xf0, v1
	v_mov_b32_e32 v7, s8
	v_add_co_u32_e32 v8, vcc, s0, v6
	v_addc_co_u32_e32 v9, vcc, 0, v7, vcc
	s_waitcnt vmcnt(5)
	v_mad_i64_i32 v[6:7], s[8:9], v5, s1, 0
	v_lshlrev_b64 v[6:7], 1, v[6:7]
	v_add_co_u32_e32 v5, vcc, v8, v6
	v_addc_co_u32_e32 v7, vcc, v9, v7, vcc
	v_and_b32_e32 v10, 0x300, v1
	v_add_co_u32_e32 v6, vcc, v5, v10
	s_waitcnt vmcnt(4)
	v_mad_i64_i32 v[4:5], s[8:9], v4, s1, 0
	v_addc_co_u32_e32 v7, vcc, 0, v7, vcc
	v_lshlrev_b64 v[4:5], 1, v[4:5]
	v_add_co_u32_e32 v4, vcc, v8, v4
	v_addc_co_u32_e32 v5, vcc, v9, v5, vcc
	v_add_co_u32_e32 v4, vcc, v4, v10
	v_addc_co_u32_e32 v5, vcc, 0, v5, vcc
	s_barrier
	global_load_dwordx4 v[74:77], v[6:7], off
	global_load_dwordx4 v[66:69], v[6:7], off offset:1024
	global_load_dwordx4 v[58:61], v[6:7], off offset:2048
	;; [unrolled: 1-line block ×3, first 2 shown]
	global_load_dwordx4 v[78:81], v[4:5], off
	global_load_dwordx4 v[70:73], v[4:5], off offset:1024
	global_load_dwordx4 v[62:65], v[4:5], off offset:2048
	;; [unrolled: 1-line block ×3, first 2 shown]
	s_waitcnt vmcnt(11)
	v_mad_i64_i32 v[4:5], s[8:9], v3, s1, 0
	v_lshlrev_b64 v[4:5], 1, v[4:5]
	v_add_co_u32_e32 v3, vcc, v8, v4
	v_addc_co_u32_e32 v5, vcc, v9, v5, vcc
	v_add_co_u32_e32 v4, vcc, v3, v10
	s_waitcnt vmcnt(10)
	v_mad_i64_i32 v[2:3], s[8:9], v2, s1, 0
	v_addc_co_u32_e32 v5, vcc, 0, v5, vcc
	v_lshlrev_b64 v[2:3], 1, v[2:3]
	v_add_co_u32_e32 v2, vcc, v8, v2
	v_addc_co_u32_e32 v3, vcc, v9, v3, vcc
	v_add_co_u32_e32 v6, vcc, v2, v10
	v_addc_co_u32_e32 v7, vcc, 0, v3, vcc
	global_load_dwordx4 v[38:41], v[4:5], off
	global_load_dwordx4 v[34:37], v[4:5], off offset:1024
	global_load_dwordx4 v[30:33], v[4:5], off offset:2048
	;; [unrolled: 1-line block ×3, first 2 shown]
	global_load_dwordx4 v[18:21], v[6:7], off
	global_load_dwordx4 v[10:13], v[6:7], off offset:1024
	s_nop 0
	global_load_dwordx4 v[2:5], v[6:7], off offset:2048
	global_load_dwordx4 v[50:53], v[6:7], off offset:3072
	v_mul_lo_u16_e32 v6, 0x56, v86
	v_mov_b32_e32 v7, 3
	v_mul_lo_u16_sdwa v6, v6, v7 dst_sel:DWORD dst_unused:UNUSED_PAD src0_sel:BYTE_1 src1_sel:DWORD
	v_sub_u16_e32 v6, v86, v6
	v_mov_b32_e32 v7, 5
	v_lshlrev_b32_sdwa v6, v7, v6 dst_sel:DWORD dst_unused:UNUSED_PAD src0_sel:DWORD src1_sel:BYTE_0
	v_lshl_add_u32 v54, v85, 9, v6
	ds_read_b128 v[26:29], v54
	ds_read_b128 v[14:17], v54 offset:2048
	ds_read_b128 v[6:9], v54 offset:4096
	;; [unrolled: 1-line block ×3, first 2 shown]
	v_and_b32_e32 v89, 63, v0
	v_cmp_gt_u32_e32 vcc, 3, v86
	v_mov_b32_e32 v90, 0
	s_and_saveexec_b64 s[8:9], vcc
	s_cbranch_execz .LBB314_13
; %bb.12:
	s_load_dwordx2 s[12:13], s[4:5], 0x40
	v_add_u32_e32 v82, s27, v86
	v_ashrrev_i32_e32 v83, 31, v82
	v_lshlrev_b64 v[82:83], 2, v[82:83]
	s_waitcnt lgkmcnt(0)
	v_mov_b32_e32 v90, s13
	v_add_co_u32_e32 v82, vcc, s12, v82
	v_addc_co_u32_e32 v83, vcc, v90, v83, vcc
	global_load_dword v90, v[82:83], off
.LBB314_13:
	s_or_b64 exec, exec, s[8:9]
	s_waitcnt vmcnt(15) lgkmcnt(3)
	v_mfma_f32_16x16x16bf16_1k v[92:95], v[74:75], v[26:27], 0
	s_add_u32 s8, s10, s2
	v_lshl_or_b32 v91, v88, 4, v86
	s_addc_u32 s9, s11, s3
	s_load_dword s0, s[4:5], 0x1c
	s_mov_b32 s40, 0xff7fffff
	v_mfma_f32_16x16x16bf16_1k v[74:77], v[76:77], v[28:29], v[92:95]
	s_waitcnt vmcnt(14) lgkmcnt(0)
	v_mfma_f32_16x16x16bf16_1k v[74:77], v[66:67], v[14:15], v[74:77]
	v_mfma_f32_16x16x16bf16_1k v[66:69], v[68:69], v[16:17], v[74:77]
	s_waitcnt vmcnt(13)
	v_mfma_f32_16x16x16bf16_1k v[66:69], v[58:59], v[6:7], v[66:69]
	s_nop 7
	v_lshlrev_b32_e32 v76, 5, v91
	v_mfma_f32_16x16x16bf16_1k v[58:61], v[60:61], v[8:9], v[66:69]
	s_waitcnt vmcnt(12)
	v_mfma_f32_16x16x16bf16_1k v[58:61], v[42:43], v[54:55], v[58:61]
	s_nop 4
	v_mov_b32_e32 v66, s18
	v_mfma_f32_16x16x16bf16_1k v[58:61], v[44:45], v[56:57], v[58:61]
	s_waitcnt vmcnt(11)
	v_mfma_f32_16x16x16bf16_1k v[42:45], v[78:79], v[26:27], 0
	s_nop 7
	s_nop 0
	v_pk_mul_f32 v[58:59], s[0:1], v[58:59] op_sel_hi:[0,1]
	v_mfma_f32_16x16x16bf16_1k v[42:45], v[80:81], v[28:29], v[42:45]
	s_waitcnt vmcnt(10)
	v_mfma_f32_16x16x16bf16_1k v[42:45], v[70:71], v[14:15], v[42:45]
	v_mfma_f32_16x16x16bf16_1k v[42:45], v[72:73], v[16:17], v[42:45]
	s_waitcnt vmcnt(9)
	v_mfma_f32_16x16x16bf16_1k v[42:45], v[62:63], v[6:7], v[42:45]
	;; [unrolled: 3-line block ×3, first 2 shown]
	v_mfma_f32_16x16x16bf16_1k v[62:65], v[48:49], v[56:57], v[42:45]
	v_and_or_b32 v48, v0, 48, s16
	v_mov_b32_e32 v49, s19
	v_cmp_gt_i32_e32 vcc, s33, v48
	s_waitcnt vmcnt(7)
	v_mfma_f32_16x16x16bf16_1k v[42:45], v[38:39], v[26:27], 0
	v_ashrrev_i32_e32 v38, 4, v48
	v_cndmask_b32_e32 v38, v49, v38, vcc
	v_ashrrev_i32_e32 v39, 31, v38
	v_lshlrev_b64 v[46:47], 2, v[38:39]
	v_mfma_f32_16x16x16bf16_1k v[38:41], v[40:41], v[28:29], v[42:45]
	s_nop 6
	v_add_co_u32_e32 v42, vcc, s17, v46
	v_addc_co_u32_e32 v43, vcc, v66, v47, vcc
	global_load_dword v44, v[42:43], off
	v_or_b32_e32 v42, 64, v48
	v_ashrrev_i32_e32 v43, 4, v42
	v_cmp_gt_i32_e32 vcc, s33, v42
	v_cndmask_b32_e32 v42, v49, v43, vcc
	s_waitcnt vmcnt(7)
	v_mfma_f32_16x16x16bf16_1k v[38:41], v[34:35], v[14:15], v[38:41]
	v_ashrrev_i32_e32 v43, 31, v42
	v_lshlrev_b64 v[34:35], 2, v[42:43]
	v_mov_b32_e32 v42, s18
	v_add_co_u32_e32 v34, vcc, s17, v34
	v_addc_co_u32_e32 v35, vcc, v42, v35, vcc
	global_load_dword v72, v[34:35], off
	v_mfma_f32_16x16x16bf16_1k v[34:37], v[36:37], v[16:17], v[38:41]
	s_nop 6
	v_or_b32_e32 v38, 0x80, v48
	v_ashrrev_i32_e32 v39, 4, v38
	v_cmp_gt_i32_e32 vcc, s33, v38
	v_cndmask_b32_e32 v38, v49, v39, vcc
	v_ashrrev_i32_e32 v39, 31, v38
	v_lshlrev_b64 v[38:39], 2, v[38:39]
	v_mov_b32_e32 v40, s18
	s_waitcnt vmcnt(7)
	v_mfma_f32_16x16x16bf16_1k v[34:37], v[30:31], v[6:7], v[34:37]
	v_add_co_u32_e32 v30, vcc, s17, v38
	v_addc_co_u32_e32 v31, vcc, v40, v39, vcc
	global_load_dword v74, v[30:31], off
	v_or_b32_e32 v30, 0xc0, v48
	v_ashrrev_i32_e32 v31, 4, v30
	v_cmp_gt_i32_e32 vcc, s33, v30
	v_cndmask_b32_e32 v38, v49, v31, vcc
	v_ashrrev_i32_e32 v39, 31, v38
	v_mfma_f32_16x16x16bf16_1k v[30:33], v[32:33], v[8:9], v[34:37]
	s_nop 6
	v_lshlrev_b64 v[34:35], 2, v[38:39]
	v_mov_b32_e32 v36, s18
	v_add_co_u32_e32 v34, vcc, s17, v34
	v_addc_co_u32_e32 v35, vcc, v36, v35, vcc
	global_load_dword v75, v[34:35], off
	s_waitcnt vmcnt(8)
	v_mfma_f32_16x16x16bf16_1k v[30:33], v[22:23], v[54:55], v[30:33]
	v_mov_b32_e32 v22, s9
	v_add_co_u32_e32 v77, vcc, s8, v76
	v_addc_co_u32_e32 v78, vcc, 0, v22, vcc
	s_waitcnt vmcnt(3)
	v_mad_i64_i32 v[22:23], s[2:3], v44, s1, 0
	v_mfma_f32_16x16x16bf16_1k v[66:69], v[24:25], v[56:57], v[30:33]
	v_lshlrev_b64 v[70:71], 1, v[22:23]
	v_mfma_f32_16x16x16bf16_1k v[22:25], v[18:19], v[26:27], 0
	v_add_co_u32_e32 v18, vcc, v77, v70
	v_addc_co_u32_e32 v19, vcc, v78, v71, vcc
	global_load_dwordx4 v[46:49], v[18:19], off
	global_load_dwordx4 v[42:45], v[18:19], off offset:16
	s_waitcnt vmcnt(4)
	v_mad_i64_i32 v[18:19], s[2:3], v72, s1, 0
	v_lshlrev_b64 v[72:73], 1, v[18:19]
	v_mfma_f32_16x16x16bf16_1k v[18:21], v[20:21], v[28:29], v[22:25]
	v_mfma_f32_16x16x16bf16_1k v[18:21], v[10:11], v[14:15], v[18:21]
	s_nop 5
	v_add_co_u32_e32 v22, vcc, v77, v72
	v_addc_co_u32_e32 v23, vcc, v78, v73, vcc
	global_load_dwordx4 v[38:41], v[22:23], off
	global_load_dwordx4 v[34:37], v[22:23], off offset:16
	s_waitcnt vmcnt(5)
	v_mad_i64_i32 v[22:23], s[2:3], v74, s1, 0
	v_lshlrev_b64 v[82:83], 1, v[22:23]
	v_add_co_u32_e32 v10, vcc, v77, v82
	v_addc_co_u32_e32 v11, vcc, v78, v83, vcc
	global_load_dwordx4 v[30:33], v[10:11], off
	global_load_dwordx4 v[26:29], v[10:11], off offset:16
	v_mfma_f32_16x16x16bf16_1k v[10:13], v[12:13], v[16:17], v[18:21]
	s_waitcnt vmcnt(6)
	v_mad_i64_i32 v[14:15], s[2:3], v75, s1, 0
	v_mfma_f32_16x16x16bf16_1k v[10:13], v[2:3], v[6:7], v[10:13]
	v_lshlrev_b64 v[80:81], 1, v[14:15]
	v_add_co_u32_e32 v14, vcc, v77, v80
	v_addc_co_u32_e32 v15, vcc, v78, v81, vcc
	v_or_b32_e32 v2, 0x800, v76
	v_mov_b32_e32 v3, s9
	v_mfma_f32_16x16x16bf16_1k v[10:13], v[4:5], v[8:9], v[10:13]
	v_add_co_u32_e32 v1, vcc, s8, v2
	v_addc_co_u32_e32 v84, vcc, 0, v3, vcc
	v_add_co_u32_e32 v2, vcc, v1, v70
	v_addc_co_u32_e32 v3, vcc, v84, v71, vcc
	v_mfma_f32_16x16x16bf16_1k v[92:95], v[50:51], v[54:55], v[10:13]
	v_add_co_u32_e32 v70, vcc, v1, v72
	v_addc_co_u32_e32 v71, vcc, v84, v73, vcc
	global_load_dwordx4 v[22:25], v[14:15], off
	global_load_dwordx4 v[18:21], v[14:15], off offset:16
	global_load_dwordx4 v[6:9], v[2:3], off
	s_nop 0
	global_load_dwordx4 v[2:5], v[2:3], off offset:16
	s_nop 0
	global_load_dwordx4 v[14:17], v[70:71], off
	global_load_dwordx4 v[10:13], v[70:71], off offset:16
	v_mfma_f32_16x16x16bf16_1k v[50:53], v[52:53], v[56:57], v[92:95]
	v_pk_mul_f32 v[70:71], s[0:1], v[68:69] op_sel_hi:[0,1]
	v_pk_mul_f32 v[72:73], s[0:1], v[66:67] op_sel_hi:[0,1]
	;; [unrolled: 1-line block ×5, first 2 shown]
	s_nop 5
	v_pk_mul_f32 v[68:69], s[0:1], v[50:51] op_sel_hi:[0,1]
	v_and_b32_e32 v50, 0xc0, v0
	v_add_u32_e32 v50, s16, v50
	v_lshl_or_b32 v50, v85, 2, v50
	v_or_b32_e32 v51, 1, v50
	v_pk_mul_f32 v[66:67], s[0:1], v[52:53] op_sel_hi:[0,1]
	v_subrev_u32_e32 v52, s33, v51
	v_add_u32_e32 v54, 1, v52
	v_add_u32_e32 v55, 2, v52
	v_cvt_f32_i32_e32 v53, v52
	v_cvt_f32_i32_e32 v54, v54
	;; [unrolled: 1-line block ×3, first 2 shown]
	v_add_u32_e32 v56, 3, v52
	v_fma_f32 v58, v90, v53, v58
	v_fmac_f32_e32 v59, v90, v54
	v_fma_f32 v78, v90, v55, v78
	v_add_u32_e32 v53, 16, v52
	v_add_u32_e32 v54, 17, v52
	;; [unrolled: 1-line block ×3, first 2 shown]
	v_cvt_f32_i32_e32 v56, v56
	v_cvt_f32_i32_e32 v53, v53
	;; [unrolled: 1-line block ×4, first 2 shown]
	v_fmac_f32_e32 v79, v90, v56
	v_add_u32_e32 v56, 19, v52
	v_fma_f32 v76, v90, v53, v76
	v_fmac_f32_e32 v77, v90, v54
	v_fma_f32 v74, v90, v55, v74
	v_add_u32_e32 v53, 32, v52
	v_add_u32_e32 v54, 33, v52
	;; [unrolled: 1-line block ×3, first 2 shown]
	v_cvt_f32_i32_e32 v56, v56
	v_cvt_f32_i32_e32 v53, v53
	v_cvt_f32_i32_e32 v54, v54
	v_cvt_f32_i32_e32 v55, v55
	v_fmac_f32_e32 v75, v90, v56
	v_add_u32_e32 v56, 35, v52
	v_fma_f32 v72, v90, v53, v72
	v_fmac_f32_e32 v73, v90, v54
	v_fma_f32 v70, v90, v55, v70
	v_add_u32_e32 v53, 48, v52
	v_add_u32_e32 v54, 49, v52
	;; [unrolled: 1-line block ×4, first 2 shown]
	v_cvt_f32_i32_e32 v52, v52
	v_cvt_f32_i32_e32 v53, v53
	v_cvt_f32_i32_e32 v54, v54
	v_cmp_gt_i32_e64 s[28:29], s33, v50
	v_fmac_f32_e32 v67, v90, v52
	v_mov_b32_e32 v52, 0xff7fffff
	v_cmp_gt_i32_e64 s[30:31], s33, v51
	v_fma_f32 v68, v90, v53, v68
	v_cndmask_b32_e64 v53, v52, v58, s[28:29]
	v_cndmask_b32_e64 v51, v52, v59, s[30:31]
	v_fmac_f32_e32 v69, v90, v54
	v_max3_f32 v51, v53, s40, v51
	v_or_b32_e32 v53, 2, v50
	v_or_b32_e32 v54, 3, v50
	v_cmp_gt_i32_e64 s[34:35], s33, v53
	v_cmp_gt_i32_e64 s[36:37], s33, v54
	v_cndmask_b32_e64 v53, v52, v78, s[34:35]
	v_cndmask_b32_e64 v54, v52, v79, s[36:37]
	v_max3_f32 v51, v51, v53, v54
	v_or_b32_e32 v53, 16, v50
	v_or_b32_e32 v54, 17, v50
	v_cmp_gt_i32_e64 s[22:23], s33, v53
	v_cmp_gt_i32_e64 s[24:25], s33, v54
	v_cndmask_b32_e64 v53, v52, v76, s[22:23]
	v_cndmask_b32_e64 v54, v52, v77, s[24:25]
	;; [unrolled: 7-line block ×3, first 2 shown]
	v_cvt_f32_i32_e32 v56, v56
	v_max3_f32 v51, v51, v53, v54
	v_or_b32_e32 v53, 32, v50
	v_or_b32_e32 v54, 33, v50
	v_cmp_gt_i32_e64 s[14:15], s33, v53
	v_cmp_gt_i32_e64 s[16:17], s33, v54
	v_cndmask_b32_e64 v53, v52, v72, s[14:15]
	v_cndmask_b32_e64 v54, v52, v73, s[16:17]
	v_max3_f32 v51, v51, v53, v54
	v_or_b32_e32 v53, 34, v50
	v_or_b32_e32 v54, 35, v50
	v_fmac_f32_e32 v71, v90, v56
	v_cmp_gt_i32_e64 s[10:11], s33, v53
	v_cmp_gt_i32_e64 s[12:13], s33, v54
	v_cndmask_b32_e64 v53, v52, v70, s[10:11]
	v_cndmask_b32_e64 v54, v52, v71, s[12:13]
	v_cvt_f32_i32_e32 v55, v55
	v_max3_f32 v51, v51, v53, v54
	v_or_b32_e32 v53, 48, v50
	v_or_b32_e32 v54, 49, v50
	v_cmp_gt_i32_e64 s[2:3], s33, v53
	v_cmp_gt_i32_e64 s[8:9], s33, v54
	v_cndmask_b32_e64 v53, v52, v68, s[2:3]
	v_cndmask_b32_e64 v54, v52, v69, s[8:9]
	v_max3_f32 v51, v51, v53, v54
	v_or_b32_e32 v53, 50, v50
	v_or_b32_e32 v50, 51, v50
	v_fma_f32 v66, v90, v55, v66
	v_cmp_gt_i32_e32 vcc, s33, v53
	v_cmp_gt_i32_e64 s[0:1], s33, v50
	v_cndmask_b32_e32 v53, v52, v66, vcc
	v_cndmask_b32_e64 v50, v52, v67, s[0:1]
	v_max3_f32 v60, v51, v53, v50
	v_mbcnt_lo_u32_b32 v50, -1, 0
	v_mbcnt_hi_u32_b32 v61, -1, v50
	v_and_b32_e32 v50, 64, v61
	v_add_u32_e32 v62, 64, v50
	v_xor_b32_e32 v50, 32, v61
	v_cmp_lt_i32_e64 s[38:39], v50, v62
	v_cndmask_b32_e64 v50, v61, v50, s[38:39]
	v_lshlrev_b32_e32 v90, 2, v50
	ds_bpermute_b32 v63, v90, v60
	v_add_co_u32_e64 v50, s[38:39], v1, v82
	v_addc_co_u32_e64 v51, s[38:39], v84, v83, s[38:39]
	s_waitcnt lgkmcnt(0)
	v_max_f32_e32 v63, v63, v63
	v_max_f32_e32 v63, v60, v63
	v_xor_b32_e32 v60, 16, v61
	v_cmp_lt_i32_e64 s[38:39], v60, v62
	v_cndmask_b32_e64 v60, v61, v60, s[38:39]
	v_lshlrev_b32_e32 v92, 2, v60
	ds_bpermute_b32 v62, v92, v63
	v_add_co_u32_e64 v60, s[38:39], v1, v80
	v_addc_co_u32_e64 v61, s[38:39], v84, v81, s[38:39]
	s_waitcnt lgkmcnt(0)
	v_max_f32_e32 v1, v62, v62
	v_max_f32_e32 v82, v63, v1
	v_sub_f32_e32 v1, v58, v82
	v_sub_f32_e32 v58, v59, v82
	v_mul_f32_e32 v58, 0x3fb8aa3b, v58
	global_load_dwordx4 v[54:57], v[50:51], off
	s_nop 0
	global_load_dwordx4 v[50:53], v[50:51], off offset:16
	v_exp_f32_e32 v81, v58
	global_load_dwordx4 v[62:65], v[60:61], off
	s_nop 0
	global_load_dwordx4 v[58:61], v[60:61], off offset:16
	v_mul_f32_e32 v1, 0x3fb8aa3b, v1
	v_exp_f32_e32 v1, v1
	v_sub_f32_e32 v78, v78, v82
	v_mul_f32_e32 v78, 0x3fb8aa3b, v78
	v_sub_f32_e32 v79, v79, v82
	v_exp_f32_e32 v78, v78
	v_mul_f32_e32 v79, 0x3fb8aa3b, v79
	v_sub_f32_e32 v76, v76, v82
	v_exp_f32_e32 v79, v79
	v_mul_f32_e32 v76, 0x3fb8aa3b, v76
	v_sub_f32_e32 v77, v77, v82
	v_cndmask_b32_e64 v80, 0, v1, s[28:29]
	v_exp_f32_e32 v76, v76
	v_mul_f32_e32 v77, 0x3fb8aa3b, v77
	v_sub_f32_e32 v74, v74, v82
	v_add_f32_e32 v1, 0, v80
	v_cndmask_b32_e64 v81, 0, v81, s[30:31]
	v_exp_f32_e32 v77, v77
	v_mul_f32_e32 v74, 0x3fb8aa3b, v74
	v_sub_f32_e32 v75, v75, v82
	v_add_f32_e32 v1, v1, v81
	;; [unrolled: 5-line block ×10, first 2 shown]
	v_cndmask_b32_e64 v70, 0, v70, s[10:11]
	v_exp_f32_e32 v66, v66
	v_mul_f32_e32 v67, 0x3fb8aa3b, v67
	v_add_f32_e32 v1, v1, v70
	v_cndmask_b32_e64 v71, 0, v71, s[12:13]
	v_exp_f32_e32 v67, v67
	v_add_f32_e32 v1, v1, v71
	v_cndmask_b32_e64 v68, 0, v68, s[2:3]
	v_add_f32_e32 v1, v1, v68
	v_cndmask_b32_e64 v69, 0, v69, s[8:9]
	v_add_f32_e32 v1, v1, v69
	v_cndmask_b32_e32 v66, 0, v66, vcc
	v_add_f32_e32 v1, v1, v66
	v_cndmask_b32_e64 v67, 0, v67, s[0:1]
	v_add_f32_e32 v1, v1, v67
	ds_bpermute_b32 v83, v90, v1
	s_load_dword s8, s[4:5], 0x98
	v_cmp_gt_u32_e32 vcc, 16, v89
	s_waitcnt lgkmcnt(0)
	s_barrier
	v_add_f32_e32 v83, v1, v83
	ds_bpermute_b32 v90, v92, v83
	s_waitcnt lgkmcnt(0)
	s_and_saveexec_b64 s[0:1], vcc
	s_cbranch_execz .LBB314_15
; %bb.14:
	v_add_f32_e32 v1, v83, v90
	v_lshlrev_b32_e32 v83, 2, v91
	ds_write2st64_b32 v83, v82, v1 offset1:1
.LBB314_15:
	s_or_b64 exec, exec, s[0:1]
	v_lshlrev_b32_e32 v1, 2, v86
	s_load_dword s2, s[4:5], 0x94
	s_waitcnt lgkmcnt(0)
	s_barrier
	ds_read2_b32 v[90:91], v1 offset1:16
	ds_read2_b32 v[92:93], v1 offset0:32 offset1:48
	ds_read2_b32 v[94:95], v1 offset0:64 offset1:80
	s_movk_i32 s9, 0x7fff
	s_mov_b32 s10, 0x7060302
	s_waitcnt lgkmcnt(2)
	v_max3_f32 v82, v90, s40, v91
	s_waitcnt lgkmcnt(1)
	v_max3_f32 v82, v82, v92, v93
	v_sub_f32_e32 v83, v90, v82
	v_mul_f32_e32 v83, 0x3fb8aa3b, v83
	v_exp_f32_e32 v84, v83
	v_sub_f32_e32 v83, v91, v82
	v_mul_f32_e32 v83, 0x3fb8aa3b, v83
	v_exp_f32_e32 v89, v83
	v_sub_f32_e32 v83, v92, v82
	v_mul_f32_e32 v83, 0x3fb8aa3b, v83
	ds_read2_b32 v[90:91], v1 offset0:96 offset1:112
	v_sub_f32_e32 v1, v93, v82
	v_exp_f32_e32 v92, v83
	v_mul_f32_e32 v1, 0x3fb8aa3b, v1
	v_exp_f32_e32 v1, v1
	s_waitcnt lgkmcnt(1)
	v_fma_f32 v83, v84, v94, 0
	v_fmac_f32_e32 v83, v89, v95
	s_waitcnt lgkmcnt(0)
	v_fmac_f32_e32 v83, v92, v90
	v_fmac_f32_e32 v83, v1, v91
	v_add_f32_e32 v90, 0x358637bd, v83
	v_div_scale_f32 v91, s[0:1], v90, v90, 1.0
	v_rcp_f32_e32 v93, v91
	s_mul_i32 s8, s8, 3
	s_barrier
	v_fma_f32 v94, -v91, v93, 1.0
	v_fmac_f32_e32 v93, v94, v93
	v_div_scale_f32 v94, vcc, 1.0, v90, 1.0
	v_mul_f32_e32 v95, v94, v93
	v_fma_f32 v87, -v91, v95, v94
	v_fmac_f32_e32 v95, v87, v93
	v_fma_f32 v87, -v91, v95, v94
	v_div_fmas_f32 v87, v87, v93, v95
	v_cmp_eq_u32_e32 vcc, 1, v88
	v_cndmask_b32_e32 v84, v84, v89, vcc
	v_cmp_eq_u32_e32 vcc, 2, v88
	v_cndmask_b32_e32 v84, v84, v92, vcc
	v_cmp_eq_u32_e32 vcc, 3, v88
	v_div_fixup_f32 v87, v87, v90, 1.0
	v_cndmask_b32_e32 v1, v84, v1, vcc
	v_mul_f32_e32 v90, v1, v87
	v_pk_mul_f32 v[80:81], v[90:91], v[80:81] op_sel_hi:[0,1]
	v_bfe_u32 v1, v81, 16, 1
	v_bfe_u32 v84, v80, 16, 1
	v_pk_mul_f32 v[78:79], v[90:91], v[78:79] op_sel_hi:[0,1]
	v_add3_u32 v80, v80, v84, s9
	v_add3_u32 v1, v81, v1, s9
	v_perm_b32 v80, v1, v80, s10
	v_bfe_u32 v1, v79, 16, 1
	v_bfe_u32 v81, v78, 16, 1
	v_add3_u32 v78, v78, v81, s9
	v_add3_u32 v1, v79, v1, s9
	v_perm_b32 v81, v1, v78, s10
	v_lshlrev_b32_e32 v1, 3, v85
	v_lshlrev_b32_e32 v79, 5, v86
	;; [unrolled: 1-line block ×3, first 2 shown]
	v_pk_mul_f32 v[76:77], v[90:91], v[76:77] op_sel_hi:[0,1]
	v_or3_b32 v78, v78, v79, v1
	v_bfe_u32 v1, v77, 16, 1
	v_bfe_u32 v84, v76, 16, 1
	v_pk_mul_f32 v[74:75], v[90:91], v[74:75] op_sel_hi:[0,1]
	v_add3_u32 v76, v76, v84, s9
	v_add3_u32 v1, v77, v1, s9
	v_perm_b32 v76, v1, v76, s10
	v_bfe_u32 v1, v75, 16, 1
	v_bfe_u32 v77, v74, 16, 1
	v_add3_u32 v74, v74, v77, s9
	v_add3_u32 v1, v75, v1, s9
	v_pk_mul_f32 v[72:73], v[90:91], v[72:73] op_sel_hi:[0,1]
	v_perm_b32 v77, v1, v74, s10
	v_bfe_u32 v1, v73, 16, 1
	v_bfe_u32 v74, v72, 16, 1
	v_pk_mul_f32 v[70:71], v[90:91], v[70:71] op_sel_hi:[0,1]
	v_add3_u32 v72, v72, v74, s9
	v_add3_u32 v1, v73, v1, s9
	v_perm_b32 v72, v1, v72, s10
	v_bfe_u32 v1, v71, 16, 1
	v_bfe_u32 v73, v70, 16, 1
	v_add3_u32 v70, v70, v73, s9
	v_add3_u32 v1, v71, v1, s9
	v_pk_mul_f32 v[68:69], v[90:91], v[68:69] op_sel_hi:[0,1]
	v_perm_b32 v73, v1, v70, s10
	v_bfe_u32 v1, v69, 16, 1
	v_bfe_u32 v70, v68, 16, 1
	v_pk_mul_f32 v[66:67], v[90:91], v[66:67] op_sel_hi:[0,1]
	v_add3_u32 v68, v68, v70, s9
	v_add3_u32 v1, v69, v1, s9
	v_perm_b32 v68, v1, v68, s10
	v_bfe_u32 v1, v67, 16, 1
	v_bfe_u32 v69, v66, 16, 1
	v_add3_u32 v66, v66, v69, s9
	v_add3_u32 v1, v67, v1, s9
	v_perm_b32 v69, v1, v66, s10
	v_cmp_gt_u32_e32 vcc, 3, v0
	ds_write2st64_b64 v78, v[80:81], v[76:77] offset1:1
	ds_write2st64_b64 v78, v[72:73], v[68:69] offset0:2 offset1:3
	s_and_saveexec_b64 s[0:1], vcc
	s_cbranch_execz .LBB314_17
; %bb.16:
	v_add_co_u32_e32 v68, vcc, s27, v86
	v_addc_co_u32_e64 v69, s[16:17], 0, 0, vcc
	v_mov_b32_e32 v1, s8
	v_mov_b32_e32 v67, 0
	v_mad_u64_u32 v[68:69], s[16:17], s6, v1, v[68:69]
	v_mov_b32_e32 v66, s26
	s_load_dwordx4 s[12:15], s[4:5], 0x58
	s_mul_i32 s3, s7, s8
	v_mad_u64_u32 v[66:67], s[16:17], v68, s2, v[66:67]
	v_add_u32_e32 v1, s3, v69
	v_mov_b32_e32 v68, v67
	v_mad_u64_u32 v[68:69], s[16:17], v1, s2, v[68:69]
	v_mov_b32_e32 v67, v68
	v_lshlrev_b64 v[66:67], 2, v[66:67]
	s_waitcnt lgkmcnt(0)
	v_mov_b32_e32 v1, s15
	v_add_co_u32_e32 v68, vcc, s14, v66
	v_addc_co_u32_e32 v69, vcc, v1, v67, vcc
	v_mov_b32_e32 v1, s13
	v_add_co_u32_e32 v66, vcc, s12, v66
	v_addc_co_u32_e32 v67, vcc, v1, v67, vcc
	global_store_dword v[68:69], v82, off
	global_store_dword v[66:67], v83, off
.LBB314_17:
	s_or_b64 exec, exec, s[0:1]
	v_lshl_or_b32 v1, v85, 9, v79
	s_waitcnt lgkmcnt(0)
	s_barrier
	ds_read_b128 v[70:73], v1
	ds_read_b128 v[66:69], v1 offset:16
	s_waitcnt vmcnt(15) lgkmcnt(1)
	v_mfma_f32_16x16x16bf16_1k v[74:77], v[46:47], v[70:71], 0
	v_cmp_gt_u32_e32 vcc, 64, v0
	v_cmp_ne_u32_e64 s[0:1], 3, v85
	s_mov_b32 s3, 0
	s_and_b64 s[0:1], vcc, s[0:1]
	v_mfma_f32_16x16x16bf16_1k v[46:49], v[48:49], v[72:73], v[74:77]
	s_waitcnt vmcnt(14) lgkmcnt(0)
	v_mfma_f32_16x16x16bf16_1k v[46:49], v[42:43], v[66:67], v[46:49]
	v_mfma_f32_16x16x16bf16_1k v[42:45], v[44:45], v[68:69], v[46:49]
	s_nop 7
	s_nop 1
	ds_read_b128 v[46:49], v1 offset:2048
	ds_read_b128 v[74:77], v1 offset:2064
	s_waitcnt vmcnt(13) lgkmcnt(1)
	v_mfma_f32_16x16x16bf16_1k v[42:45], v[38:39], v[46:47], v[42:45]
	v_mfma_f32_16x16x16bf16_1k v[38:41], v[40:41], v[48:49], v[42:45]
	s_waitcnt vmcnt(12) lgkmcnt(0)
	v_mfma_f32_16x16x16bf16_1k v[38:41], v[34:35], v[74:75], v[38:41]
	v_mfma_f32_16x16x16bf16_1k v[34:37], v[36:37], v[76:77], v[38:41]
	s_nop 7
	s_nop 1
	ds_read_b128 v[38:41], v1 offset:4096
	ds_read_b128 v[42:45], v1 offset:4112
	s_waitcnt vmcnt(11) lgkmcnt(1)
	v_mfma_f32_16x16x16bf16_1k v[34:37], v[30:31], v[38:39], v[34:37]
	v_mfma_f32_16x16x16bf16_1k v[30:33], v[32:33], v[40:41], v[34:37]
	s_waitcnt vmcnt(10) lgkmcnt(0)
	v_mfma_f32_16x16x16bf16_1k v[30:33], v[26:27], v[42:43], v[30:33]
	v_mfma_f32_16x16x16bf16_1k v[26:29], v[28:29], v[44:45], v[30:33]
	s_nop 7
	s_nop 1
	ds_read_b128 v[30:33], v1 offset:6144
	ds_read_b128 v[34:37], v1 offset:6160
	s_waitcnt lgkmcnt(0)
	s_barrier
	s_waitcnt vmcnt(9)
	v_mfma_f32_16x16x16bf16_1k v[26:29], v[22:23], v[30:31], v[26:29]
	v_mfma_f32_16x16x16bf16_1k v[22:25], v[24:25], v[32:33], v[26:29]
	s_waitcnt vmcnt(8)
	v_mfma_f32_16x16x16bf16_1k v[22:25], v[18:19], v[34:35], v[22:25]
	v_mfma_f32_16x16x16bf16_1k v[18:21], v[20:21], v[36:37], v[22:25]
	s_waitcnt vmcnt(7)
	v_mfma_f32_16x16x16bf16_1k v[22:25], v[6:7], v[70:71], 0
	s_nop 7
	s_nop 0
	v_bfe_u32 v1, v19, 16, 1
	v_add3_u32 v1, v19, v1, s9
	v_mfma_f32_16x16x16bf16_1k v[6:9], v[8:9], v[72:73], v[22:25]
	s_waitcnt vmcnt(6)
	v_mfma_f32_16x16x16bf16_1k v[6:9], v[2:3], v[66:67], v[6:9]
	v_mfma_f32_16x16x16bf16_1k v[2:5], v[4:5], v[68:69], v[6:9]
	s_waitcnt vmcnt(5)
	v_mfma_f32_16x16x16bf16_1k v[2:5], v[14:15], v[46:47], v[2:5]
	s_nop 7
	v_bfe_u32 v6, v18, 16, 1
	v_add3_u32 v6, v18, v6, s9
	v_perm_b32 v6, v1, v6, s10
	v_bfe_u32 v1, v21, 16, 1
	v_bfe_u32 v7, v20, 16, 1
	v_add3_u32 v7, v20, v7, s9
	v_add3_u32 v1, v21, v1, s9
	v_mfma_f32_16x16x16bf16_1k v[2:5], v[16:17], v[48:49], v[2:5]
	v_perm_b32 v7, v1, v7, s10
	s_waitcnt vmcnt(4)
	v_mfma_f32_16x16x16bf16_1k v[2:5], v[10:11], v[74:75], v[2:5]
	v_mfma_f32_16x16x16bf16_1k v[2:5], v[12:13], v[76:77], v[2:5]
	s_waitcnt vmcnt(3)
	v_mfma_f32_16x16x16bf16_1k v[2:5], v[54:55], v[38:39], v[2:5]
	v_mfma_f32_16x16x16bf16_1k v[2:5], v[56:57], v[40:41], v[2:5]
	;; [unrolled: 3-line block ×5, first 2 shown]
	s_nop 7
	s_nop 2
	v_bfe_u32 v1, v3, 16, 1
	v_bfe_u32 v8, v2, 16, 1
	v_add3_u32 v2, v2, v8, s9
	v_add3_u32 v1, v3, v1, s9
	v_perm_b32 v2, v1, v2, s10
	v_bfe_u32 v1, v5, 16, 1
	v_bfe_u32 v3, v4, 16, 1
	v_add3_u32 v3, v4, v3, s9
	v_add3_u32 v1, v5, v1, s9
	v_perm_b32 v3, v1, v3, s10
	ds_write2st64_b64 v78, v[6:7], v[2:3] offset1:1
	s_waitcnt lgkmcnt(0)
	s_barrier
	s_and_saveexec_b64 s[10:11], s[0:1]
	s_cbranch_execz .LBB314_19
; %bb.18:
	v_lshlrev_b32_e32 v3, 6, v86
	v_lshlrev_b32_e32 v2, 4, v0
	v_lshl_or_b32 v0, v0, 10, v3
	v_lshlrev_b32_e32 v1, 5, v85
	v_and_b32_e32 v2, 16, v2
	v_and_b32_e32 v0, 0x1a00, v0
	v_or3_b32 v0, v0, v1, v2
	ds_read_b128 v[2:5], v0
	buffer_load_dword v0, off, s[44:47], 0 offset:4 ; 4-byte Folded Reload
	s_load_dwordx2 s[0:1], s[4:5], 0x68
	s_mul_i32 s4, s8, s6
	s_lshl_b32 s6, s2, 7
	s_mul_hi_u32 s5, s4, s6
	s_mul_i32 s4, s4, s6
	s_lshl_b64 s[4:5], s[4:5], 1
	s_waitcnt lgkmcnt(0)
	s_add_u32 s4, s0, s4
	s_addc_u32 s5, s1, s5
	s_lshl_b32 s2, s26, 7
	s_lshl_b64 s[0:1], s[2:3], 1
	s_add_u32 s2, s4, s0
	s_addc_u32 s3, s5, s1
	s_waitcnt vmcnt(0)
	v_mad_u64_u32 v[6:7], s[0:1], s6, v0, 0
	v_lshlrev_b64 v[6:7], 1, v[6:7]
	v_mov_b32_e32 v0, s3
	v_add_co_u32_e32 v1, vcc, s2, v6
	v_addc_co_u32_e32 v6, vcc, v0, v7, vcc
	buffer_load_dword v0, off, s[44:47], 0  ; 4-byte Folded Reload
	s_waitcnt vmcnt(0)
	v_add_co_u32_e32 v0, vcc, v1, v0
	v_addc_co_u32_e32 v1, vcc, 0, v6, vcc
	global_store_dwordx4 v[0:1], v[2:5], off
.LBB314_19:
	s_endpgm
	.section	.rodata,"a",@progbits
	.p2align	6, 0x0
	.amdhsa_kernel _Z39paged_attention_ll4mi_QKV_mfma16_kernelI14__hip_bfloat16S0_LN4vllm18Fp8KVCacheDataTypeE0ES0_Li16ELi128ELi256ELb1ELi3EL8MFMAType0EEvPKT_PKT0_S9_ifPKiSB_SB_iPKfiiiPfSE_PS4_PT2_iSD_SD_
		.amdhsa_group_segment_fixed_size 8192
		.amdhsa_private_segment_fixed_size 12
		.amdhsa_kernarg_size 400
		.amdhsa_user_sgpr_count 6
		.amdhsa_user_sgpr_private_segment_buffer 1
		.amdhsa_user_sgpr_dispatch_ptr 0
		.amdhsa_user_sgpr_queue_ptr 0
		.amdhsa_user_sgpr_kernarg_segment_ptr 1
		.amdhsa_user_sgpr_dispatch_id 0
		.amdhsa_user_sgpr_flat_scratch_init 0
		.amdhsa_user_sgpr_kernarg_preload_length 0
		.amdhsa_user_sgpr_kernarg_preload_offset 0
		.amdhsa_user_sgpr_private_segment_size 0
		.amdhsa_uses_dynamic_stack 0
		.amdhsa_system_sgpr_private_segment_wavefront_offset 1
		.amdhsa_system_sgpr_workgroup_id_x 1
		.amdhsa_system_sgpr_workgroup_id_y 1
		.amdhsa_system_sgpr_workgroup_id_z 1
		.amdhsa_system_sgpr_workgroup_info 0
		.amdhsa_system_vgpr_workitem_id 0
		.amdhsa_next_free_vgpr 96
		.amdhsa_next_free_sgpr 48
		.amdhsa_accum_offset 96
		.amdhsa_reserve_vcc 1
		.amdhsa_reserve_flat_scratch 0
		.amdhsa_float_round_mode_32 0
		.amdhsa_float_round_mode_16_64 0
		.amdhsa_float_denorm_mode_32 3
		.amdhsa_float_denorm_mode_16_64 3
		.amdhsa_dx10_clamp 1
		.amdhsa_ieee_mode 1
		.amdhsa_fp16_overflow 0
		.amdhsa_tg_split 0
		.amdhsa_exception_fp_ieee_invalid_op 0
		.amdhsa_exception_fp_denorm_src 0
		.amdhsa_exception_fp_ieee_div_zero 0
		.amdhsa_exception_fp_ieee_overflow 0
		.amdhsa_exception_fp_ieee_underflow 0
		.amdhsa_exception_fp_ieee_inexact 0
		.amdhsa_exception_int_div_zero 0
	.end_amdhsa_kernel
	.section	.text._Z39paged_attention_ll4mi_QKV_mfma16_kernelI14__hip_bfloat16S0_LN4vllm18Fp8KVCacheDataTypeE0ES0_Li16ELi128ELi256ELb1ELi3EL8MFMAType0EEvPKT_PKT0_S9_ifPKiSB_SB_iPKfiiiPfSE_PS4_PT2_iSD_SD_,"axG",@progbits,_Z39paged_attention_ll4mi_QKV_mfma16_kernelI14__hip_bfloat16S0_LN4vllm18Fp8KVCacheDataTypeE0ES0_Li16ELi128ELi256ELb1ELi3EL8MFMAType0EEvPKT_PKT0_S9_ifPKiSB_SB_iPKfiiiPfSE_PS4_PT2_iSD_SD_,comdat
.Lfunc_end314:
	.size	_Z39paged_attention_ll4mi_QKV_mfma16_kernelI14__hip_bfloat16S0_LN4vllm18Fp8KVCacheDataTypeE0ES0_Li16ELi128ELi256ELb1ELi3EL8MFMAType0EEvPKT_PKT0_S9_ifPKiSB_SB_iPKfiiiPfSE_PS4_PT2_iSD_SD_, .Lfunc_end314-_Z39paged_attention_ll4mi_QKV_mfma16_kernelI14__hip_bfloat16S0_LN4vllm18Fp8KVCacheDataTypeE0ES0_Li16ELi128ELi256ELb1ELi3EL8MFMAType0EEvPKT_PKT0_S9_ifPKiSB_SB_iPKfiiiPfSE_PS4_PT2_iSD_SD_
                                        ; -- End function
	.section	.AMDGPU.csdata,"",@progbits
; Kernel info:
; codeLenInByte = 5184
; NumSgprs: 52
; NumVgprs: 96
; NumAgprs: 0
; TotalNumVgprs: 96
; ScratchSize: 12
; MemoryBound: 0
; FloatMode: 240
; IeeeMode: 1
; LDSByteSize: 8192 bytes/workgroup (compile time only)
; SGPRBlocks: 6
; VGPRBlocks: 11
; NumSGPRsForWavesPerEU: 52
; NumVGPRsForWavesPerEU: 96
; AccumOffset: 96
; Occupancy: 5
; WaveLimiterHint : 1
; COMPUTE_PGM_RSRC2:SCRATCH_EN: 1
; COMPUTE_PGM_RSRC2:USER_SGPR: 6
; COMPUTE_PGM_RSRC2:TRAP_HANDLER: 0
; COMPUTE_PGM_RSRC2:TGID_X_EN: 1
; COMPUTE_PGM_RSRC2:TGID_Y_EN: 1
; COMPUTE_PGM_RSRC2:TGID_Z_EN: 1
; COMPUTE_PGM_RSRC2:TIDIG_COMP_CNT: 0
; COMPUTE_PGM_RSRC3_GFX90A:ACCUM_OFFSET: 23
; COMPUTE_PGM_RSRC3_GFX90A:TG_SPLIT: 0
	.section	.text._Z39paged_attention_ll4mi_QKV_mfma16_kernelI14__hip_bfloat16S0_LN4vllm18Fp8KVCacheDataTypeE0ES0_Li16ELi128ELi256ELb1ELi4EL8MFMAType0EEvPKT_PKT0_S9_ifPKiSB_SB_iPKfiiiPfSE_PS4_PT2_iSD_SD_,"axG",@progbits,_Z39paged_attention_ll4mi_QKV_mfma16_kernelI14__hip_bfloat16S0_LN4vllm18Fp8KVCacheDataTypeE0ES0_Li16ELi128ELi256ELb1ELi4EL8MFMAType0EEvPKT_PKT0_S9_ifPKiSB_SB_iPKfiiiPfSE_PS4_PT2_iSD_SD_,comdat
	.protected	_Z39paged_attention_ll4mi_QKV_mfma16_kernelI14__hip_bfloat16S0_LN4vllm18Fp8KVCacheDataTypeE0ES0_Li16ELi128ELi256ELb1ELi4EL8MFMAType0EEvPKT_PKT0_S9_ifPKiSB_SB_iPKfiiiPfSE_PS4_PT2_iSD_SD_ ; -- Begin function _Z39paged_attention_ll4mi_QKV_mfma16_kernelI14__hip_bfloat16S0_LN4vllm18Fp8KVCacheDataTypeE0ES0_Li16ELi128ELi256ELb1ELi4EL8MFMAType0EEvPKT_PKT0_S9_ifPKiSB_SB_iPKfiiiPfSE_PS4_PT2_iSD_SD_
	.globl	_Z39paged_attention_ll4mi_QKV_mfma16_kernelI14__hip_bfloat16S0_LN4vllm18Fp8KVCacheDataTypeE0ES0_Li16ELi128ELi256ELb1ELi4EL8MFMAType0EEvPKT_PKT0_S9_ifPKiSB_SB_iPKfiiiPfSE_PS4_PT2_iSD_SD_
	.p2align	8
	.type	_Z39paged_attention_ll4mi_QKV_mfma16_kernelI14__hip_bfloat16S0_LN4vllm18Fp8KVCacheDataTypeE0ES0_Li16ELi128ELi256ELb1ELi4EL8MFMAType0EEvPKT_PKT0_S9_ifPKiSB_SB_iPKfiiiPfSE_PS4_PT2_iSD_SD_,@function
_Z39paged_attention_ll4mi_QKV_mfma16_kernelI14__hip_bfloat16S0_LN4vllm18Fp8KVCacheDataTypeE0ES0_Li16ELi128ELi256ELb1ELi4EL8MFMAType0EEvPKT_PKT0_S9_ifPKiSB_SB_iPKfiiiPfSE_PS4_PT2_iSD_SD_: ; @_Z39paged_attention_ll4mi_QKV_mfma16_kernelI14__hip_bfloat16S0_LN4vllm18Fp8KVCacheDataTypeE0ES0_Li16ELi128ELi256ELb1ELi4EL8MFMAType0EEvPKT_PKT0_S9_ifPKiSB_SB_iPKfiiiPfSE_PS4_PT2_iSD_SD_
; %bb.0:
	s_mov_b64 s[46:47], s[2:3]
	s_mov_b64 s[44:45], s[0:1]
	s_load_dwordx2 s[0:1], s[4:5], 0x30
	s_add_u32 s44, s44, s9
	s_addc_u32 s45, s45, 0
	s_mov_b32 s28, s7
	s_mov_b64 s[10:11], 0
	s_waitcnt lgkmcnt(0)
	s_cmp_lg_u64 s[0:1], 0
	s_cselect_b64 s[2:3], -1, 0
	s_and_b64 vcc, exec, s[2:3]
	s_cbranch_vccz .LBB315_7
; %bb.1:
	s_add_i32 s12, s6, 1
	s_mov_b32 s13, 0
	s_lshl_b64 s[14:15], s[12:13], 2
	s_add_u32 s14, s0, s14
	s_mov_b32 s7, s13
	s_addc_u32 s15, s1, s15
	s_lshl_b64 s[12:13], s[6:7], 2
	s_add_u32 s12, s0, s12
	s_addc_u32 s13, s1, s13
	s_load_dword s9, s[14:15], 0x0
	s_load_dword s16, s[12:13], 0x0
	s_waitcnt lgkmcnt(0)
	s_sub_i32 s9, s9, s16
	s_cmp_eq_u32 s9, 1
	s_cselect_b64 s[12:13], -1, 0
	s_andn2_b64 vcc, exec, s[10:11]
	s_cbranch_vccnz .LBB315_3
.LBB315_2:
	s_mov_b32 s7, 0
	s_mov_b64 s[12:13], -1
.LBB315_3:
	s_andn2_b64 vcc, exec, s[12:13]
	s_cbranch_vccnz .LBB315_19
; %bb.4:
	s_load_dwordx2 s[12:13], s[4:5], 0x28
	s_lshl_b64 s[10:11], s[6:7], 2
	s_waitcnt lgkmcnt(0)
	s_add_u32 s12, s12, s10
	s_addc_u32 s13, s13, s11
	s_load_dword s33, s[12:13], 0x0
	s_lshl_b32 s18, s28, 8
	s_waitcnt lgkmcnt(0)
	s_cmp_ge_i32 s18, s33
	s_cbranch_scc1 .LBB315_19
; %bb.5:
	s_add_i32 s14, s33, 15
	s_load_dwordx2 s[12:13], s[4:5], 0x20
	s_load_dword s9, s[4:5], 0x38
	s_ashr_i32 s15, s14, 31
	v_and_b32_e32 v1, 0xcf, v0
	s_lshr_b32 s15, s15, 28
	v_add_u32_e32 v1, s18, v1
	s_add_i32 s14, s14, s15
	v_ashrrev_i32_e32 v2, 31, v1
	s_ashr_i32 s21, s14, 4
	v_lshrrev_b32_e32 v4, 28, v2
	s_add_i32 s21, s21, -1
	v_add_u32_e32 v2, v1, v4
	s_waitcnt lgkmcnt(0)
	s_mul_i32 s14, s6, s9
	s_mov_b32 s15, 0
	v_ashrrev_i32_e32 v2, 4, v2
	v_mov_b32_e32 v5, s21
	v_cmp_gt_i32_e32 vcc, s33, v1
	s_lshl_b64 s[14:15], s[14:15], 2
	v_cndmask_b32_e32 v2, v5, v2, vcc
	s_add_u32 s19, s12, s14
	v_ashrrev_i32_e32 v3, 31, v2
	s_addc_u32 s20, s13, s15
	v_lshlrev_b64 v[2:3], 2, v[2:3]
	v_mov_b32_e32 v7, s20
	v_add_co_u32_e32 v6, vcc, s19, v2
	v_or_b32_e32 v2, 16, v1
	v_addc_co_u32_e32 v7, vcc, v7, v3, vcc
	v_add_u32_e32 v3, v2, v4
	v_ashrrev_i32_e32 v3, 4, v3
	v_cmp_gt_i32_e32 vcc, s33, v2
	v_cndmask_b32_e32 v2, v5, v3, vcc
	v_ashrrev_i32_e32 v3, 31, v2
	v_lshlrev_b64 v[2:3], 2, v[2:3]
	v_mov_b32_e32 v9, s20
	v_add_co_u32_e32 v8, vcc, s19, v2
	v_or_b32_e32 v2, 32, v1
	v_addc_co_u32_e32 v9, vcc, v9, v3, vcc
	v_add_u32_e32 v3, v2, v4
	v_ashrrev_i32_e32 v3, 4, v3
	v_cmp_gt_i32_e32 vcc, s33, v2
	v_cndmask_b32_e32 v2, v5, v3, vcc
	v_ashrrev_i32_e32 v3, 31, v2
	;; [unrolled: 10-line block ×3, first 2 shown]
	v_lshlrev_b64 v[2:3], 2, v[2:3]
	v_mov_b32_e32 v1, s20
	v_add_co_u32_e32 v12, vcc, s19, v2
	v_addc_co_u32_e32 v13, vcc, v1, v3, vcc
	global_load_dword v5, v[6:7], off
	global_load_dword v4, v[8:9], off
	;; [unrolled: 1-line block ×4, first 2 shown]
	s_load_dwordx2 s[16:17], s[4:5], 0x8
	s_andn2_b64 vcc, exec, s[2:3]
	s_cbranch_vccnz .LBB315_8
; %bb.6:
	s_add_u32 s0, s0, s10
	s_addc_u32 s1, s1, s11
	s_load_dword s9, s[0:1], 0x0
	s_branch .LBB315_9
.LBB315_7:
	s_mov_b64 s[12:13], 0
	s_branch .LBB315_2
.LBB315_8:
	s_mov_b32 s9, s6
.LBB315_9:
	v_bfe_u32 v88, v0, 4, 2
	s_lshl_b32 s29, s8, 2
	v_or_b32_e32 v1, s29, v88
	buffer_store_dword v1, off, s[44:47], 0 offset:4 ; 4-byte Folded Spill
	s_load_dwordx2 s[2:3], s[4:5], 0x10
	s_load_dwordx4 s[12:15], s[4:5], 0x48
	v_and_b32_e32 v90, 15, v0
	v_lshlrev_b32_e32 v7, 3, v90
	v_lshlrev_b32_e32 v1, 1, v7
	v_lshrrev_b32_e32 v89, 6, v0
	v_and_b32_e32 v6, 3, v0
	v_cmp_gt_u32_e64 s[0:1], 64, v0
	buffer_store_dword v1, off, s[44:47], 0 ; 4-byte Folded Spill
	v_lshlrev_b32_e32 v1, 5, v88
	buffer_store_dword v1, off, s[44:47], 0 offset:8 ; 4-byte Folded Spill
	s_and_saveexec_b64 s[10:11], s[0:1]
	s_cbranch_execz .LBB315_11
; %bb.10:
	buffer_load_dword v1, off, s[44:47], 0 offset:4 ; 4-byte Folded Reload
	s_load_dwordx2 s[22:23], s[4:5], 0x0
	s_waitcnt lgkmcnt(0)
	s_ashr_i32 s15, s12, 31
	s_mul_hi_u32 s24, s9, s12
	s_mul_i32 s15, s9, s15
	s_add_i32 s25, s24, s15
	s_mul_i32 s24, s9, s12
	s_lshl_b64 s[24:25], s[24:25], 1
	s_add_u32 s9, s22, s24
	s_addc_u32 s12, s23, s25
	v_mov_b32_e32 v7, s12
	v_lshlrev_b32_e32 v13, 9, v90
	v_lshlrev_b32_e32 v12, 9, v6
	v_and_b32_e32 v13, 0x1800, v13
	s_waitcnt vmcnt(0)
	v_lshlrev_b32_e32 v8, 7, v1
	buffer_load_dword v1, off, s[44:47], 0  ; 4-byte Folded Reload
	v_ashrrev_i32_e32 v9, 31, v8
	v_lshlrev_b64 v[8:9], 1, v[8:9]
	v_add_co_u32_e32 v8, vcc, s9, v8
	v_addc_co_u32_e32 v7, vcc, v7, v9, vcc
	s_waitcnt vmcnt(0)
	v_add_co_u32_e32 v8, vcc, v8, v1
	v_addc_co_u32_e32 v9, vcc, 0, v7, vcc
	global_load_dwordx4 v[8:11], v[8:9], off
	v_lshlrev_b32_e32 v1, 5, v88
	v_lshl_or_b32 v7, v89, 7, v1
	v_or3_b32 v7, v13, v12, v7
	s_waitcnt vmcnt(0)
	ds_write_b128 v7, v[8:11]
.LBB315_11:
	s_or_b64 exec, exec, s[10:11]
	s_waitcnt lgkmcnt(0)
	s_mul_i32 s8, s8, s14
	s_mov_b32 s9, 0
	s_lshl_b64 s[8:9], s[8:9], 1
	s_add_u32 s10, s16, s8
	v_lshlrev_b32_e32 v1, 4, v0
	s_addc_u32 s11, s17, s9
	v_and_b32_e32 v7, 0xf0, v1
	v_mov_b32_e32 v8, s11
	v_add_co_u32_e32 v7, vcc, s10, v7
	v_addc_co_u32_e32 v10, vcc, 0, v8, vcc
	s_waitcnt vmcnt(6)
	v_mad_i64_i32 v[8:9], s[10:11], v5, s13, 0
	v_lshlrev_b64 v[8:9], 1, v[8:9]
	v_add_co_u32_e32 v5, vcc, v7, v8
	v_addc_co_u32_e32 v9, vcc, v10, v9, vcc
	v_and_b32_e32 v11, 0x300, v1
	v_add_co_u32_e32 v8, vcc, v5, v11
	s_waitcnt vmcnt(5)
	v_mad_i64_i32 v[4:5], s[10:11], v4, s13, 0
	v_addc_co_u32_e32 v9, vcc, 0, v9, vcc
	v_lshlrev_b64 v[4:5], 1, v[4:5]
	v_add_co_u32_e32 v4, vcc, v7, v4
	v_addc_co_u32_e32 v5, vcc, v10, v5, vcc
	v_add_co_u32_e32 v4, vcc, v4, v11
	v_addc_co_u32_e32 v5, vcc, 0, v5, vcc
	s_barrier
	global_load_dwordx4 v[74:77], v[8:9], off
	global_load_dwordx4 v[66:69], v[8:9], off offset:1024
	global_load_dwordx4 v[58:61], v[8:9], off offset:2048
	;; [unrolled: 1-line block ×3, first 2 shown]
	global_load_dwordx4 v[78:81], v[4:5], off
	global_load_dwordx4 v[70:73], v[4:5], off offset:1024
	global_load_dwordx4 v[62:65], v[4:5], off offset:2048
	;; [unrolled: 1-line block ×3, first 2 shown]
	s_waitcnt vmcnt(12)
	v_mad_i64_i32 v[4:5], s[10:11], v3, s13, 0
	v_lshlrev_b64 v[4:5], 1, v[4:5]
	v_add_co_u32_e32 v3, vcc, v7, v4
	v_addc_co_u32_e32 v5, vcc, v10, v5, vcc
	v_add_co_u32_e32 v4, vcc, v3, v11
	s_waitcnt vmcnt(11)
	v_mad_i64_i32 v[2:3], s[10:11], v2, s13, 0
	v_addc_co_u32_e32 v5, vcc, 0, v5, vcc
	v_lshlrev_b64 v[2:3], 1, v[2:3]
	v_add_co_u32_e32 v2, vcc, v7, v2
	v_addc_co_u32_e32 v3, vcc, v10, v3, vcc
	v_add_co_u32_e32 v8, vcc, v2, v11
	v_addc_co_u32_e32 v9, vcc, 0, v3, vcc
	global_load_dwordx4 v[38:41], v[4:5], off
	global_load_dwordx4 v[34:37], v[4:5], off offset:1024
	global_load_dwordx4 v[30:33], v[4:5], off offset:2048
	;; [unrolled: 1-line block ×3, first 2 shown]
	global_load_dwordx4 v[18:21], v[8:9], off
	global_load_dwordx4 v[10:13], v[8:9], off offset:1024
	s_nop 0
	global_load_dwordx4 v[2:5], v[8:9], off offset:2048
	global_load_dwordx4 v[50:53], v[8:9], off offset:3072
	v_lshlrev_b32_e32 v6, 5, v6
	v_lshl_or_b32 v54, v88, 9, v6
	ds_read_b128 v[22:25], v54
	ds_read_b128 v[14:17], v54 offset:2048
	ds_read_b128 v[6:9], v54 offset:4096
	ds_read_b128 v[54:57], v54 offset:6144
	v_and_b32_e32 v1, 63, v0
	v_cmp_gt_u32_e32 vcc, 4, v90
	v_mov_b32_e32 v91, 0
	s_and_saveexec_b64 s[10:11], vcc
	s_cbranch_execz .LBB315_13
; %bb.12:
	s_load_dwordx2 s[14:15], s[4:5], 0x40
	v_or_b32_e32 v82, s29, v90
	v_ashrrev_i32_e32 v83, 31, v82
	v_lshlrev_b64 v[82:83], 2, v[82:83]
	s_waitcnt lgkmcnt(0)
	v_mov_b32_e32 v84, s15
	v_add_co_u32_e32 v82, vcc, s14, v82
	v_addc_co_u32_e32 v83, vcc, v84, v83, vcc
	global_load_dword v91, v[82:83], off
.LBB315_13:
	s_or_b64 exec, exec, s[10:11]
	s_waitcnt vmcnt(15) lgkmcnt(3)
	v_mfma_f32_16x16x16bf16_1k v[92:95], v[74:75], v[22:23], 0
	s_add_u32 s8, s2, s8
	s_addc_u32 s9, s3, s9
	s_load_dword s10, s[4:5], 0x1c
	s_mov_b32 s42, 0xff7fffff
	v_mfma_f32_16x16x16bf16_1k v[74:77], v[76:77], v[24:25], v[92:95]
	s_waitcnt vmcnt(14) lgkmcnt(0)
	v_mfma_f32_16x16x16bf16_1k v[74:77], v[66:67], v[14:15], v[74:77]
	s_nop 4
	v_lshl_or_b32 v92, v89, 4, v90
	v_mfma_f32_16x16x16bf16_1k v[66:69], v[68:69], v[16:17], v[74:77]
	s_waitcnt vmcnt(13)
	v_mfma_f32_16x16x16bf16_1k v[66:69], v[58:59], v[6:7], v[66:69]
	s_nop 4
	v_lshlrev_b32_e32 v76, 5, v92
	v_mfma_f32_16x16x16bf16_1k v[58:61], v[60:61], v[8:9], v[66:69]
	s_waitcnt vmcnt(12)
	v_mfma_f32_16x16x16bf16_1k v[58:61], v[42:43], v[54:55], v[58:61]
	s_nop 4
	v_mov_b32_e32 v66, s20
	v_mfma_f32_16x16x16bf16_1k v[58:61], v[44:45], v[56:57], v[58:61]
	s_waitcnt vmcnt(11)
	v_mfma_f32_16x16x16bf16_1k v[42:45], v[78:79], v[22:23], 0
	s_nop 7
	s_nop 0
	v_pk_mul_f32 v[58:59], s[10:11], v[58:59] op_sel_hi:[0,1]
	v_mfma_f32_16x16x16bf16_1k v[42:45], v[80:81], v[24:25], v[42:45]
	s_waitcnt vmcnt(10)
	v_mfma_f32_16x16x16bf16_1k v[42:45], v[70:71], v[14:15], v[42:45]
	v_mfma_f32_16x16x16bf16_1k v[42:45], v[72:73], v[16:17], v[42:45]
	s_waitcnt vmcnt(9)
	v_mfma_f32_16x16x16bf16_1k v[42:45], v[62:63], v[6:7], v[42:45]
	;; [unrolled: 3-line block ×3, first 2 shown]
	v_mfma_f32_16x16x16bf16_1k v[62:65], v[48:49], v[56:57], v[42:45]
	v_and_or_b32 v48, v0, 48, s18
	v_mov_b32_e32 v49, s21
	v_cmp_gt_i32_e32 vcc, s33, v48
	s_waitcnt vmcnt(7)
	v_mfma_f32_16x16x16bf16_1k v[42:45], v[38:39], v[22:23], 0
	v_ashrrev_i32_e32 v38, 4, v48
	v_cndmask_b32_e32 v38, v49, v38, vcc
	v_ashrrev_i32_e32 v39, 31, v38
	v_lshlrev_b64 v[46:47], 2, v[38:39]
	v_mfma_f32_16x16x16bf16_1k v[38:41], v[40:41], v[24:25], v[42:45]
	s_nop 6
	v_add_co_u32_e32 v42, vcc, s19, v46
	v_addc_co_u32_e32 v43, vcc, v66, v47, vcc
	global_load_dword v44, v[42:43], off
	v_or_b32_e32 v42, 64, v48
	v_ashrrev_i32_e32 v43, 4, v42
	v_cmp_gt_i32_e32 vcc, s33, v42
	v_cndmask_b32_e32 v42, v49, v43, vcc
	s_waitcnt vmcnt(7)
	v_mfma_f32_16x16x16bf16_1k v[38:41], v[34:35], v[14:15], v[38:41]
	v_ashrrev_i32_e32 v43, 31, v42
	v_lshlrev_b64 v[34:35], 2, v[42:43]
	v_mov_b32_e32 v42, s20
	v_add_co_u32_e32 v34, vcc, s19, v34
	v_addc_co_u32_e32 v35, vcc, v42, v35, vcc
	global_load_dword v72, v[34:35], off
	v_mfma_f32_16x16x16bf16_1k v[34:37], v[36:37], v[16:17], v[38:41]
	s_nop 6
	v_or_b32_e32 v38, 0x80, v48
	v_ashrrev_i32_e32 v39, 4, v38
	v_cmp_gt_i32_e32 vcc, s33, v38
	v_cndmask_b32_e32 v38, v49, v39, vcc
	v_ashrrev_i32_e32 v39, 31, v38
	v_lshlrev_b64 v[38:39], 2, v[38:39]
	v_mov_b32_e32 v40, s20
	s_waitcnt vmcnt(7)
	v_mfma_f32_16x16x16bf16_1k v[34:37], v[30:31], v[6:7], v[34:37]
	v_add_co_u32_e32 v30, vcc, s19, v38
	v_addc_co_u32_e32 v31, vcc, v40, v39, vcc
	global_load_dword v74, v[30:31], off
	v_or_b32_e32 v30, 0xc0, v48
	v_ashrrev_i32_e32 v31, 4, v30
	v_cmp_gt_i32_e32 vcc, s33, v30
	v_cndmask_b32_e32 v38, v49, v31, vcc
	v_ashrrev_i32_e32 v39, 31, v38
	v_mfma_f32_16x16x16bf16_1k v[30:33], v[32:33], v[8:9], v[34:37]
	s_nop 6
	v_lshlrev_b64 v[34:35], 2, v[38:39]
	v_mov_b32_e32 v36, s20
	v_add_co_u32_e32 v34, vcc, s19, v34
	v_addc_co_u32_e32 v35, vcc, v36, v35, vcc
	global_load_dword v75, v[34:35], off
	s_waitcnt vmcnt(8)
	v_mfma_f32_16x16x16bf16_1k v[30:33], v[26:27], v[54:55], v[30:33]
	v_mov_b32_e32 v26, s9
	v_add_co_u32_e32 v77, vcc, s8, v76
	v_addc_co_u32_e32 v78, vcc, 0, v26, vcc
	s_waitcnt vmcnt(3)
	v_mad_i64_i32 v[26:27], s[2:3], v44, s13, 0
	v_mfma_f32_16x16x16bf16_1k v[66:69], v[28:29], v[56:57], v[30:33]
	v_lshlrev_b64 v[70:71], 1, v[26:27]
	v_mfma_f32_16x16x16bf16_1k v[26:29], v[18:19], v[22:23], 0
	v_add_co_u32_e32 v18, vcc, v77, v70
	v_addc_co_u32_e32 v19, vcc, v78, v71, vcc
	global_load_dwordx4 v[46:49], v[18:19], off
	global_load_dwordx4 v[42:45], v[18:19], off offset:16
	s_waitcnt vmcnt(4)
	v_mad_i64_i32 v[18:19], s[2:3], v72, s13, 0
	v_lshlrev_b64 v[72:73], 1, v[18:19]
	v_mfma_f32_16x16x16bf16_1k v[18:21], v[20:21], v[24:25], v[26:29]
	v_add_co_u32_e32 v22, vcc, v77, v72
	v_addc_co_u32_e32 v23, vcc, v78, v73, vcc
	global_load_dwordx4 v[38:41], v[22:23], off
	global_load_dwordx4 v[34:37], v[22:23], off offset:16
	s_waitcnt vmcnt(5)
	v_mad_i64_i32 v[22:23], s[2:3], v74, s13, 0
	v_mfma_f32_16x16x16bf16_1k v[18:21], v[10:11], v[14:15], v[18:21]
	v_lshlrev_b64 v[82:83], 1, v[22:23]
	v_add_co_u32_e32 v10, vcc, v77, v82
	v_addc_co_u32_e32 v11, vcc, v78, v83, vcc
	global_load_dwordx4 v[30:33], v[10:11], off
	global_load_dwordx4 v[26:29], v[10:11], off offset:16
	s_waitcnt vmcnt(6)
	v_mad_i64_i32 v[14:15], s[2:3], v75, s13, 0
	v_mfma_f32_16x16x16bf16_1k v[10:13], v[12:13], v[16:17], v[18:21]
	v_lshlrev_b64 v[80:81], 1, v[14:15]
	v_add_co_u32_e32 v14, vcc, v77, v80
	v_addc_co_u32_e32 v15, vcc, v78, v81, vcc
	global_load_dwordx4 v[22:25], v[14:15], off
	s_nop 2
	global_load_dwordx4 v[18:21], v[14:15], off offset:16
	v_pk_mul_f32 v[78:79], s[10:11], v[60:61] op_sel_hi:[0,1]
	v_mfma_f32_16x16x16bf16_1k v[10:13], v[2:3], v[6:7], v[10:13]
	v_or_b32_e32 v2, 0x800, v76
	v_mov_b32_e32 v3, s9
	v_add_co_u32_e32 v93, vcc, s8, v2
	v_addc_co_u32_e32 v94, vcc, 0, v3, vcc
	v_add_co_u32_e32 v2, vcc, v93, v70
	v_mfma_f32_16x16x16bf16_1k v[10:13], v[4:5], v[8:9], v[10:13]
	v_addc_co_u32_e32 v3, vcc, v94, v71, vcc
	v_add_co_u32_e32 v70, vcc, v93, v72
	v_addc_co_u32_e32 v71, vcc, v94, v73, vcc
	global_load_dwordx4 v[6:9], v[2:3], off
	s_nop 0
	global_load_dwordx4 v[2:5], v[2:3], off offset:16
	v_mfma_f32_16x16x16bf16_1k v[84:87], v[50:51], v[54:55], v[10:13]
	global_load_dwordx4 v[14:17], v[70:71], off
	s_nop 5
	global_load_dwordx4 v[10:13], v[70:71], off offset:16
	v_pk_mul_f32 v[70:71], s[10:11], v[68:69] op_sel_hi:[0,1]
	v_pk_mul_f32 v[72:73], s[10:11], v[66:67] op_sel_hi:[0,1]
	v_pk_mul_f32 v[74:75], s[10:11], v[64:65] op_sel_hi:[0,1]
	v_pk_mul_f32 v[76:77], s[10:11], v[62:63] op_sel_hi:[0,1]
	v_mfma_f32_16x16x16bf16_1k v[50:53], v[52:53], v[56:57], v[84:87]
	s_nop 7
	s_nop 2
	v_pk_mul_f32 v[68:69], s[10:11], v[50:51] op_sel_hi:[0,1]
	v_and_b32_e32 v50, 0xc0, v0
	v_add_u32_e32 v50, s18, v50
	v_lshl_or_b32 v50, v88, 2, v50
	v_or_b32_e32 v51, 1, v50
	v_pk_mul_f32 v[66:67], s[10:11], v[52:53] op_sel_hi:[0,1]
	v_subrev_u32_e32 v52, s33, v51
	v_add_u32_e32 v54, 1, v52
	v_add_u32_e32 v55, 2, v52
	v_cvt_f32_i32_e32 v53, v52
	v_cvt_f32_i32_e32 v54, v54
	v_cvt_f32_i32_e32 v55, v55
	v_add_u32_e32 v56, 3, v52
	v_fma_f32 v58, v91, v53, v58
	v_fmac_f32_e32 v59, v91, v54
	v_fma_f32 v78, v91, v55, v78
	v_add_u32_e32 v53, 16, v52
	v_add_u32_e32 v54, 17, v52
	;; [unrolled: 1-line block ×3, first 2 shown]
	v_cvt_f32_i32_e32 v56, v56
	v_cvt_f32_i32_e32 v53, v53
	;; [unrolled: 1-line block ×4, first 2 shown]
	v_fmac_f32_e32 v79, v91, v56
	v_add_u32_e32 v56, 19, v52
	v_fma_f32 v76, v91, v53, v76
	v_fmac_f32_e32 v77, v91, v54
	v_fma_f32 v74, v91, v55, v74
	v_add_u32_e32 v53, 32, v52
	v_add_u32_e32 v54, 33, v52
	;; [unrolled: 1-line block ×3, first 2 shown]
	v_cvt_f32_i32_e32 v56, v56
	v_cvt_f32_i32_e32 v53, v53
	;; [unrolled: 1-line block ×4, first 2 shown]
	v_fmac_f32_e32 v75, v91, v56
	v_add_u32_e32 v56, 35, v52
	v_fma_f32 v72, v91, v53, v72
	v_fmac_f32_e32 v73, v91, v54
	v_fma_f32 v70, v91, v55, v70
	v_add_u32_e32 v53, 48, v52
	v_add_u32_e32 v54, 49, v52
	;; [unrolled: 1-line block ×4, first 2 shown]
	v_cvt_f32_i32_e32 v52, v52
	v_cvt_f32_i32_e32 v53, v53
	;; [unrolled: 1-line block ×3, first 2 shown]
	v_cmp_gt_i32_e64 s[30:31], s33, v50
	v_fmac_f32_e32 v67, v91, v52
	v_mov_b32_e32 v52, 0xff7fffff
	v_cmp_gt_i32_e64 s[34:35], s33, v51
	v_fma_f32 v68, v91, v53, v68
	v_cndmask_b32_e64 v53, v52, v58, s[30:31]
	v_cndmask_b32_e64 v51, v52, v59, s[34:35]
	v_fmac_f32_e32 v69, v91, v54
	v_max3_f32 v51, v53, s42, v51
	v_or_b32_e32 v53, 2, v50
	v_or_b32_e32 v54, 3, v50
	v_cmp_gt_i32_e64 s[36:37], s33, v53
	v_cmp_gt_i32_e64 s[38:39], s33, v54
	v_cndmask_b32_e64 v53, v52, v78, s[36:37]
	v_cndmask_b32_e64 v54, v52, v79, s[38:39]
	v_max3_f32 v51, v51, v53, v54
	v_or_b32_e32 v53, 16, v50
	v_or_b32_e32 v54, 17, v50
	v_cmp_gt_i32_e64 s[24:25], s33, v53
	v_cmp_gt_i32_e64 s[26:27], s33, v54
	v_cndmask_b32_e64 v53, v52, v76, s[24:25]
	v_cndmask_b32_e64 v54, v52, v77, s[26:27]
	;; [unrolled: 7-line block ×3, first 2 shown]
	v_cvt_f32_i32_e32 v56, v56
	v_max3_f32 v51, v51, v53, v54
	v_or_b32_e32 v53, 32, v50
	v_or_b32_e32 v54, 33, v50
	v_cmp_gt_i32_e64 s[16:17], s33, v53
	v_cmp_gt_i32_e64 s[18:19], s33, v54
	v_cndmask_b32_e64 v53, v52, v72, s[16:17]
	v_cndmask_b32_e64 v54, v52, v73, s[18:19]
	v_max3_f32 v51, v51, v53, v54
	v_or_b32_e32 v53, 34, v50
	v_or_b32_e32 v54, 35, v50
	v_fmac_f32_e32 v71, v91, v56
	v_cmp_gt_i32_e64 s[12:13], s33, v53
	v_cmp_gt_i32_e64 s[14:15], s33, v54
	v_cndmask_b32_e64 v53, v52, v70, s[12:13]
	v_cndmask_b32_e64 v54, v52, v71, s[14:15]
	v_cvt_f32_i32_e32 v55, v55
	v_max3_f32 v51, v51, v53, v54
	v_or_b32_e32 v53, 48, v50
	v_or_b32_e32 v54, 49, v50
	v_cmp_gt_i32_e64 s[8:9], s33, v53
	v_cmp_gt_i32_e64 s[10:11], s33, v54
	v_cndmask_b32_e64 v53, v52, v68, s[8:9]
	v_cndmask_b32_e64 v54, v52, v69, s[10:11]
	v_max3_f32 v51, v51, v53, v54
	v_or_b32_e32 v53, 50, v50
	v_or_b32_e32 v50, 51, v50
	v_fma_f32 v66, v91, v55, v66
	v_cmp_gt_i32_e32 vcc, s33, v53
	v_cmp_gt_i32_e64 s[2:3], s33, v50
	v_cndmask_b32_e32 v53, v52, v66, vcc
	v_cndmask_b32_e64 v50, v52, v67, s[2:3]
	v_max3_f32 v60, v51, v53, v50
	v_mbcnt_lo_u32_b32 v50, -1, 0
	v_mbcnt_hi_u32_b32 v61, -1, v50
	v_and_b32_e32 v50, 64, v61
	v_add_u32_e32 v62, 64, v50
	v_xor_b32_e32 v50, 32, v61
	v_cmp_lt_i32_e64 s[40:41], v50, v62
	v_cndmask_b32_e64 v50, v61, v50, s[40:41]
	v_lshlrev_b32_e32 v84, 2, v50
	ds_bpermute_b32 v63, v84, v60
	v_add_co_u32_e64 v50, s[40:41], v93, v82
	v_addc_co_u32_e64 v51, s[40:41], v94, v83, s[40:41]
	s_waitcnt lgkmcnt(0)
	v_max_f32_e32 v63, v63, v63
	v_max_f32_e32 v63, v60, v63
	v_xor_b32_e32 v60, 16, v61
	v_cmp_lt_i32_e64 s[40:41], v60, v62
	v_cndmask_b32_e64 v60, v61, v60, s[40:41]
	v_lshlrev_b32_e32 v85, 2, v60
	ds_bpermute_b32 v62, v85, v63
	v_add_co_u32_e64 v60, s[40:41], v93, v80
	v_addc_co_u32_e64 v61, s[40:41], v94, v81, s[40:41]
	s_waitcnt lgkmcnt(0)
	v_max_f32_e32 v62, v62, v62
	v_max_f32_e32 v82, v63, v62
	v_sub_f32_e32 v58, v58, v82
	v_mul_f32_e32 v58, 0x3fb8aa3b, v58
	v_exp_f32_e32 v80, v58
	v_sub_f32_e32 v58, v59, v82
	v_mul_f32_e32 v58, 0x3fb8aa3b, v58
	global_load_dwordx4 v[54:57], v[50:51], off
	s_nop 0
	global_load_dwordx4 v[50:53], v[50:51], off offset:16
	v_exp_f32_e32 v81, v58
	global_load_dwordx4 v[62:65], v[60:61], off
	s_nop 0
	global_load_dwordx4 v[58:61], v[60:61], off offset:16
	v_sub_f32_e32 v78, v78, v82
	v_mul_f32_e32 v78, 0x3fb8aa3b, v78
	v_sub_f32_e32 v79, v79, v82
	v_exp_f32_e32 v78, v78
	v_mul_f32_e32 v79, 0x3fb8aa3b, v79
	v_sub_f32_e32 v76, v76, v82
	v_exp_f32_e32 v79, v79
	v_mul_f32_e32 v76, 0x3fb8aa3b, v76
	v_sub_f32_e32 v77, v77, v82
	v_cndmask_b32_e64 v80, 0, v80, s[30:31]
	v_exp_f32_e32 v76, v76
	v_mul_f32_e32 v77, 0x3fb8aa3b, v77
	v_sub_f32_e32 v74, v74, v82
	v_add_f32_e32 v83, 0, v80
	v_cndmask_b32_e64 v81, 0, v81, s[34:35]
	v_exp_f32_e32 v77, v77
	v_mul_f32_e32 v74, 0x3fb8aa3b, v74
	v_sub_f32_e32 v75, v75, v82
	v_add_f32_e32 v83, v83, v81
	;; [unrolled: 5-line block ×10, first 2 shown]
	v_cndmask_b32_e64 v70, 0, v70, s[12:13]
	v_exp_f32_e32 v66, v66
	v_mul_f32_e32 v67, 0x3fb8aa3b, v67
	v_add_f32_e32 v83, v83, v70
	v_cndmask_b32_e64 v71, 0, v71, s[14:15]
	v_exp_f32_e32 v67, v67
	v_add_f32_e32 v83, v83, v71
	v_cndmask_b32_e64 v68, 0, v68, s[8:9]
	v_add_f32_e32 v83, v83, v68
	v_cndmask_b32_e64 v69, 0, v69, s[10:11]
	v_add_f32_e32 v83, v83, v69
	v_cndmask_b32_e32 v66, 0, v66, vcc
	v_add_f32_e32 v83, v83, v66
	v_cndmask_b32_e64 v67, 0, v67, s[2:3]
	v_add_f32_e32 v83, v83, v67
	ds_bpermute_b32 v84, v84, v83
	s_load_dword s9, s[4:5], 0x98
	v_cmp_gt_u32_e32 vcc, 16, v1
	s_waitcnt lgkmcnt(0)
	s_barrier
	v_add_f32_e32 v83, v83, v84
	ds_bpermute_b32 v91, v85, v83
	s_waitcnt lgkmcnt(0)
	s_and_saveexec_b64 s[2:3], vcc
	s_cbranch_execz .LBB315_15
; %bb.14:
	v_add_f32_e32 v83, v83, v91
	v_lshlrev_b32_e32 v84, 2, v92
	ds_write2st64_b32 v84, v82, v83 offset1:1
.LBB315_15:
	s_or_b64 exec, exec, s[2:3]
	v_lshlrev_b32_e32 v83, 2, v90
	s_load_dword s8, s[4:5], 0x94
	s_waitcnt lgkmcnt(0)
	s_barrier
	ds_read2_b32 v[84:85], v83 offset1:16
	ds_read2_b32 v[86:87], v83 offset0:32 offset1:48
	ds_read2_b32 v[92:93], v83 offset0:64 offset1:80
	s_movk_i32 s10, 0x7fff
	s_mov_b32 s11, 0x7060302
	s_waitcnt lgkmcnt(2)
	v_max3_f32 v82, v84, s42, v85
	s_waitcnt lgkmcnt(1)
	v_max3_f32 v82, v82, v86, v87
	v_sub_f32_e32 v84, v84, v82
	v_mul_f32_e32 v84, 0x3fb8aa3b, v84
	v_exp_f32_e32 v91, v84
	v_sub_f32_e32 v84, v85, v82
	v_mul_f32_e32 v84, 0x3fb8aa3b, v84
	v_exp_f32_e32 v94, v84
	;; [unrolled: 3-line block ×3, first 2 shown]
	ds_read2_b32 v[84:85], v83 offset0:96 offset1:112
	v_sub_f32_e32 v83, v87, v82
	v_mul_f32_e32 v83, 0x3fb8aa3b, v83
	v_exp_f32_e32 v87, v83
	s_waitcnt lgkmcnt(1)
	v_fma_f32 v83, v91, v92, 0
	v_fmac_f32_e32 v83, v94, v93
	s_waitcnt lgkmcnt(0)
	v_fmac_f32_e32 v83, v86, v84
	v_fmac_f32_e32 v83, v87, v85
	v_add_f32_e32 v84, 0x358637bd, v83
	v_div_scale_f32 v85, s[2:3], v84, v84, 1.0
	v_rcp_f32_e32 v92, v85
	s_lshl_b32 s9, s9, 2
	s_barrier
	v_fma_f32 v93, -v85, v92, 1.0
	v_fmac_f32_e32 v92, v93, v92
	v_div_scale_f32 v93, vcc, 1.0, v84, 1.0
	v_mul_f32_e32 v95, v93, v92
	v_fma_f32 v1, -v85, v95, v93
	v_fmac_f32_e32 v95, v1, v92
	v_fma_f32 v1, -v85, v95, v93
	v_div_fmas_f32 v1, v1, v92, v95
	v_cmp_eq_u32_e32 vcc, 1, v89
	v_div_fixup_f32 v1, v1, v84, 1.0
	v_cndmask_b32_e32 v84, v91, v94, vcc
	v_cmp_eq_u32_e32 vcc, 2, v89
	v_cndmask_b32_e32 v84, v84, v86, vcc
	v_cmp_eq_u32_e32 vcc, 3, v89
	v_cndmask_b32_e32 v84, v84, v87, vcc
	v_mul_f32_e32 v84, v84, v1
	v_pk_mul_f32 v[80:81], v[84:85], v[80:81] op_sel_hi:[0,1]
	v_pk_mul_f32 v[78:79], v[84:85], v[78:79] op_sel_hi:[0,1]
	v_bfe_u32 v1, v81, 16, 1
	v_bfe_u32 v85, v80, 16, 1
	v_add3_u32 v80, v80, v85, s10
	v_add3_u32 v1, v81, v1, s10
	v_perm_b32 v80, v1, v80, s11
	v_bfe_u32 v1, v79, 16, 1
	v_bfe_u32 v81, v78, 16, 1
	v_add3_u32 v78, v78, v81, s10
	v_add3_u32 v1, v79, v1, s10
	v_perm_b32 v81, v1, v78, s11
	v_lshlrev_b32_e32 v1, 3, v88
	v_lshlrev_b32_e32 v79, 5, v90
	v_lshlrev_b32_e32 v78, 11, v89
	v_pk_mul_f32 v[76:77], v[84:85], v[76:77] op_sel_hi:[0,1]
	v_or3_b32 v78, v78, v79, v1
	v_pk_mul_f32 v[74:75], v[84:85], v[74:75] op_sel_hi:[0,1]
	v_bfe_u32 v1, v77, 16, 1
	v_bfe_u32 v85, v76, 16, 1
	v_add3_u32 v76, v76, v85, s10
	v_add3_u32 v1, v77, v1, s10
	v_perm_b32 v76, v1, v76, s11
	v_bfe_u32 v1, v75, 16, 1
	v_bfe_u32 v77, v74, 16, 1
	v_add3_u32 v74, v74, v77, s10
	v_add3_u32 v1, v75, v1, s10
	v_pk_mul_f32 v[72:73], v[84:85], v[72:73] op_sel_hi:[0,1]
	v_perm_b32 v77, v1, v74, s11
	v_bfe_u32 v1, v73, 16, 1
	v_bfe_u32 v74, v72, 16, 1
	v_pk_mul_f32 v[70:71], v[84:85], v[70:71] op_sel_hi:[0,1]
	v_add3_u32 v72, v72, v74, s10
	v_add3_u32 v1, v73, v1, s10
	v_perm_b32 v72, v1, v72, s11
	v_bfe_u32 v1, v71, 16, 1
	v_bfe_u32 v73, v70, 16, 1
	v_add3_u32 v70, v70, v73, s10
	v_add3_u32 v1, v71, v1, s10
	v_pk_mul_f32 v[68:69], v[84:85], v[68:69] op_sel_hi:[0,1]
	v_perm_b32 v73, v1, v70, s11
	v_bfe_u32 v1, v69, 16, 1
	v_bfe_u32 v70, v68, 16, 1
	v_pk_mul_f32 v[66:67], v[84:85], v[66:67] op_sel_hi:[0,1]
	v_add3_u32 v68, v68, v70, s10
	v_add3_u32 v1, v69, v1, s10
	v_perm_b32 v68, v1, v68, s11
	v_bfe_u32 v1, v67, 16, 1
	v_bfe_u32 v69, v66, 16, 1
	v_add3_u32 v66, v66, v69, s10
	v_add3_u32 v1, v67, v1, s10
	v_perm_b32 v69, v1, v66, s11
	v_cmp_gt_u32_e32 vcc, 4, v0
	ds_write2st64_b64 v78, v[80:81], v[76:77] offset1:1
	ds_write2st64_b64 v78, v[72:73], v[68:69] offset0:2 offset1:3
	s_and_saveexec_b64 s[2:3], vcc
	s_cbranch_execz .LBB315_17
; %bb.16:
	v_or_b32_e32 v66, s29, v0
	v_mov_b32_e32 v67, 0
	v_mov_b32_e32 v1, s9
	v_mad_u64_u32 v[68:69], s[16:17], s6, v1, v[66:67]
	v_mov_b32_e32 v66, s28
	s_load_dwordx4 s[12:15], s[4:5], 0x58
	s_mul_i32 s7, s7, s9
	v_mad_u64_u32 v[66:67], s[16:17], v68, s8, v[66:67]
	v_add_u32_e32 v1, s7, v69
	v_mov_b32_e32 v68, v67
	v_mad_u64_u32 v[68:69], s[16:17], v1, s8, v[68:69]
	v_mov_b32_e32 v67, v68
	v_lshlrev_b64 v[66:67], 2, v[66:67]
	s_waitcnt lgkmcnt(0)
	v_mov_b32_e32 v1, s15
	v_add_co_u32_e32 v68, vcc, s14, v66
	v_addc_co_u32_e32 v69, vcc, v1, v67, vcc
	v_mov_b32_e32 v1, s13
	v_add_co_u32_e32 v66, vcc, s12, v66
	v_addc_co_u32_e32 v67, vcc, v1, v67, vcc
	global_store_dword v[68:69], v82, off
	global_store_dword v[66:67], v83, off
.LBB315_17:
	s_or_b64 exec, exec, s[2:3]
	v_lshl_or_b32 v1, v88, 9, v79
	s_waitcnt lgkmcnt(0)
	s_barrier
	ds_read_b128 v[70:73], v1
	ds_read_b128 v[66:69], v1 offset:16
	s_waitcnt vmcnt(15) lgkmcnt(1)
	v_mfma_f32_16x16x16bf16_1k v[74:77], v[46:47], v[70:71], 0
	s_mov_b32 s3, 0
	v_mfma_f32_16x16x16bf16_1k v[46:49], v[48:49], v[72:73], v[74:77]
	s_waitcnt vmcnt(14) lgkmcnt(0)
	v_mfma_f32_16x16x16bf16_1k v[46:49], v[42:43], v[66:67], v[46:49]
	v_mfma_f32_16x16x16bf16_1k v[42:45], v[44:45], v[68:69], v[46:49]
	s_nop 7
	s_nop 1
	ds_read_b128 v[46:49], v1 offset:2048
	ds_read_b128 v[74:77], v1 offset:2064
	s_waitcnt vmcnt(13) lgkmcnt(1)
	v_mfma_f32_16x16x16bf16_1k v[42:45], v[38:39], v[46:47], v[42:45]
	v_mfma_f32_16x16x16bf16_1k v[38:41], v[40:41], v[48:49], v[42:45]
	s_waitcnt vmcnt(12) lgkmcnt(0)
	v_mfma_f32_16x16x16bf16_1k v[38:41], v[34:35], v[74:75], v[38:41]
	v_mfma_f32_16x16x16bf16_1k v[34:37], v[36:37], v[76:77], v[38:41]
	s_nop 7
	s_nop 1
	ds_read_b128 v[38:41], v1 offset:4096
	ds_read_b128 v[42:45], v1 offset:4112
	s_waitcnt vmcnt(11) lgkmcnt(1)
	v_mfma_f32_16x16x16bf16_1k v[34:37], v[30:31], v[38:39], v[34:37]
	v_mfma_f32_16x16x16bf16_1k v[30:33], v[32:33], v[40:41], v[34:37]
	s_waitcnt vmcnt(10) lgkmcnt(0)
	v_mfma_f32_16x16x16bf16_1k v[30:33], v[26:27], v[42:43], v[30:33]
	v_mfma_f32_16x16x16bf16_1k v[26:29], v[28:29], v[44:45], v[30:33]
	s_nop 7
	s_nop 1
	ds_read_b128 v[30:33], v1 offset:6144
	ds_read_b128 v[34:37], v1 offset:6160
	s_waitcnt lgkmcnt(0)
	s_barrier
	s_waitcnt vmcnt(9)
	v_mfma_f32_16x16x16bf16_1k v[26:29], v[22:23], v[30:31], v[26:29]
	v_mfma_f32_16x16x16bf16_1k v[22:25], v[24:25], v[32:33], v[26:29]
	s_waitcnt vmcnt(8)
	v_mfma_f32_16x16x16bf16_1k v[22:25], v[18:19], v[34:35], v[22:25]
	v_mfma_f32_16x16x16bf16_1k v[18:21], v[20:21], v[36:37], v[22:25]
	s_waitcnt vmcnt(7)
	v_mfma_f32_16x16x16bf16_1k v[22:25], v[6:7], v[70:71], 0
	s_nop 7
	s_nop 0
	v_bfe_u32 v1, v19, 16, 1
	v_add3_u32 v1, v19, v1, s10
	v_mfma_f32_16x16x16bf16_1k v[6:9], v[8:9], v[72:73], v[22:25]
	s_waitcnt vmcnt(6)
	v_mfma_f32_16x16x16bf16_1k v[6:9], v[2:3], v[66:67], v[6:9]
	v_mfma_f32_16x16x16bf16_1k v[2:5], v[4:5], v[68:69], v[6:9]
	s_waitcnt vmcnt(5)
	v_mfma_f32_16x16x16bf16_1k v[2:5], v[14:15], v[46:47], v[2:5]
	s_nop 7
	v_bfe_u32 v6, v18, 16, 1
	v_add3_u32 v6, v18, v6, s10
	v_perm_b32 v6, v1, v6, s11
	v_bfe_u32 v1, v21, 16, 1
	v_bfe_u32 v7, v20, 16, 1
	v_add3_u32 v7, v20, v7, s10
	v_add3_u32 v1, v21, v1, s10
	v_mfma_f32_16x16x16bf16_1k v[2:5], v[16:17], v[48:49], v[2:5]
	v_perm_b32 v7, v1, v7, s11
	s_waitcnt vmcnt(4)
	v_mfma_f32_16x16x16bf16_1k v[2:5], v[10:11], v[74:75], v[2:5]
	v_mfma_f32_16x16x16bf16_1k v[2:5], v[12:13], v[76:77], v[2:5]
	s_waitcnt vmcnt(3)
	v_mfma_f32_16x16x16bf16_1k v[2:5], v[54:55], v[38:39], v[2:5]
	v_mfma_f32_16x16x16bf16_1k v[2:5], v[56:57], v[40:41], v[2:5]
	;; [unrolled: 3-line block ×5, first 2 shown]
	s_nop 7
	s_nop 2
	v_bfe_u32 v1, v3, 16, 1
	v_bfe_u32 v8, v2, 16, 1
	v_add3_u32 v2, v2, v8, s10
	v_add3_u32 v1, v3, v1, s10
	v_perm_b32 v2, v1, v2, s11
	v_bfe_u32 v1, v5, 16, 1
	v_bfe_u32 v3, v4, 16, 1
	v_add3_u32 v3, v4, v3, s10
	v_add3_u32 v1, v5, v1, s10
	v_perm_b32 v3, v1, v3, s11
	ds_write2st64_b64 v78, v[6:7], v[2:3] offset1:1
	s_waitcnt lgkmcnt(0)
	s_barrier
	s_and_saveexec_b64 s[10:11], s[0:1]
	s_cbranch_execz .LBB315_19
; %bb.18:
	v_lshlrev_b32_e32 v2, 6, v90
	v_lshlrev_b32_e32 v1, 4, v0
	v_lshl_or_b32 v0, v0, 10, v2
	buffer_load_dword v2, off, s[44:47], 0 offset:8 ; 4-byte Folded Reload
	v_and_b32_e32 v1, 16, v1
	v_and_b32_e32 v0, 0x1a00, v0
	s_load_dwordx2 s[0:1], s[4:5], 0x68
	s_lshl_b32 s7, s8, 7
	s_mul_i32 s2, s9, s6
	s_mul_hi_u32 s5, s2, s7
	s_mul_i32 s4, s2, s7
	s_lshl_b64 s[4:5], s[4:5], 1
	s_waitcnt lgkmcnt(0)
	s_add_u32 s4, s0, s4
	s_addc_u32 s5, s1, s5
	s_lshl_b32 s2, s28, 7
	s_lshl_b64 s[0:1], s[2:3], 1
	s_add_u32 s2, s4, s0
	s_addc_u32 s3, s5, s1
	v_mov_b32_e32 v6, s3
	s_waitcnt vmcnt(0)
	v_or3_b32 v0, v0, v2, v1
	ds_read_b128 v[2:5], v0
	buffer_load_dword v0, off, s[44:47], 0 offset:4 ; 4-byte Folded Reload
	s_waitcnt vmcnt(0)
	v_mad_u64_u32 v[0:1], s[0:1], s7, v0, 0
	v_lshlrev_b64 v[0:1], 1, v[0:1]
	v_add_co_u32_e32 v0, vcc, s2, v0
	v_addc_co_u32_e32 v1, vcc, v6, v1, vcc
	buffer_load_dword v6, off, s[44:47], 0  ; 4-byte Folded Reload
	s_waitcnt vmcnt(0)
	v_add_co_u32_e32 v0, vcc, v0, v6
	v_addc_co_u32_e32 v1, vcc, 0, v1, vcc
	s_waitcnt lgkmcnt(0)
	global_store_dwordx4 v[0:1], v[2:5], off
.LBB315_19:
	s_endpgm
	.section	.rodata,"a",@progbits
	.p2align	6, 0x0
	.amdhsa_kernel _Z39paged_attention_ll4mi_QKV_mfma16_kernelI14__hip_bfloat16S0_LN4vllm18Fp8KVCacheDataTypeE0ES0_Li16ELi128ELi256ELb1ELi4EL8MFMAType0EEvPKT_PKT0_S9_ifPKiSB_SB_iPKfiiiPfSE_PS4_PT2_iSD_SD_
		.amdhsa_group_segment_fixed_size 8192
		.amdhsa_private_segment_fixed_size 16
		.amdhsa_kernarg_size 400
		.amdhsa_user_sgpr_count 6
		.amdhsa_user_sgpr_private_segment_buffer 1
		.amdhsa_user_sgpr_dispatch_ptr 0
		.amdhsa_user_sgpr_queue_ptr 0
		.amdhsa_user_sgpr_kernarg_segment_ptr 1
		.amdhsa_user_sgpr_dispatch_id 0
		.amdhsa_user_sgpr_flat_scratch_init 0
		.amdhsa_user_sgpr_kernarg_preload_length 0
		.amdhsa_user_sgpr_kernarg_preload_offset 0
		.amdhsa_user_sgpr_private_segment_size 0
		.amdhsa_uses_dynamic_stack 0
		.amdhsa_system_sgpr_private_segment_wavefront_offset 1
		.amdhsa_system_sgpr_workgroup_id_x 1
		.amdhsa_system_sgpr_workgroup_id_y 1
		.amdhsa_system_sgpr_workgroup_id_z 1
		.amdhsa_system_sgpr_workgroup_info 0
		.amdhsa_system_vgpr_workitem_id 0
		.amdhsa_next_free_vgpr 96
		.amdhsa_next_free_sgpr 48
		.amdhsa_accum_offset 96
		.amdhsa_reserve_vcc 1
		.amdhsa_reserve_flat_scratch 0
		.amdhsa_float_round_mode_32 0
		.amdhsa_float_round_mode_16_64 0
		.amdhsa_float_denorm_mode_32 3
		.amdhsa_float_denorm_mode_16_64 3
		.amdhsa_dx10_clamp 1
		.amdhsa_ieee_mode 1
		.amdhsa_fp16_overflow 0
		.amdhsa_tg_split 0
		.amdhsa_exception_fp_ieee_invalid_op 0
		.amdhsa_exception_fp_denorm_src 0
		.amdhsa_exception_fp_ieee_div_zero 0
		.amdhsa_exception_fp_ieee_overflow 0
		.amdhsa_exception_fp_ieee_underflow 0
		.amdhsa_exception_fp_ieee_inexact 0
		.amdhsa_exception_int_div_zero 0
	.end_amdhsa_kernel
	.section	.text._Z39paged_attention_ll4mi_QKV_mfma16_kernelI14__hip_bfloat16S0_LN4vllm18Fp8KVCacheDataTypeE0ES0_Li16ELi128ELi256ELb1ELi4EL8MFMAType0EEvPKT_PKT0_S9_ifPKiSB_SB_iPKfiiiPfSE_PS4_PT2_iSD_SD_,"axG",@progbits,_Z39paged_attention_ll4mi_QKV_mfma16_kernelI14__hip_bfloat16S0_LN4vllm18Fp8KVCacheDataTypeE0ES0_Li16ELi128ELi256ELb1ELi4EL8MFMAType0EEvPKT_PKT0_S9_ifPKiSB_SB_iPKfiiiPfSE_PS4_PT2_iSD_SD_,comdat
.Lfunc_end315:
	.size	_Z39paged_attention_ll4mi_QKV_mfma16_kernelI14__hip_bfloat16S0_LN4vllm18Fp8KVCacheDataTypeE0ES0_Li16ELi128ELi256ELb1ELi4EL8MFMAType0EEvPKT_PKT0_S9_ifPKiSB_SB_iPKfiiiPfSE_PS4_PT2_iSD_SD_, .Lfunc_end315-_Z39paged_attention_ll4mi_QKV_mfma16_kernelI14__hip_bfloat16S0_LN4vllm18Fp8KVCacheDataTypeE0ES0_Li16ELi128ELi256ELb1ELi4EL8MFMAType0EEvPKT_PKT0_S9_ifPKiSB_SB_iPKfiiiPfSE_PS4_PT2_iSD_SD_
                                        ; -- End function
	.section	.AMDGPU.csdata,"",@progbits
; Kernel info:
; codeLenInByte = 5164
; NumSgprs: 52
; NumVgprs: 96
; NumAgprs: 0
; TotalNumVgprs: 96
; ScratchSize: 16
; MemoryBound: 0
; FloatMode: 240
; IeeeMode: 1
; LDSByteSize: 8192 bytes/workgroup (compile time only)
; SGPRBlocks: 6
; VGPRBlocks: 11
; NumSGPRsForWavesPerEU: 52
; NumVGPRsForWavesPerEU: 96
; AccumOffset: 96
; Occupancy: 5
; WaveLimiterHint : 1
; COMPUTE_PGM_RSRC2:SCRATCH_EN: 1
; COMPUTE_PGM_RSRC2:USER_SGPR: 6
; COMPUTE_PGM_RSRC2:TRAP_HANDLER: 0
; COMPUTE_PGM_RSRC2:TGID_X_EN: 1
; COMPUTE_PGM_RSRC2:TGID_Y_EN: 1
; COMPUTE_PGM_RSRC2:TGID_Z_EN: 1
; COMPUTE_PGM_RSRC2:TIDIG_COMP_CNT: 0
; COMPUTE_PGM_RSRC3_GFX90A:ACCUM_OFFSET: 23
; COMPUTE_PGM_RSRC3_GFX90A:TG_SPLIT: 0
	.section	.text._Z35paged_attention_ll4mi_reduce_kernelI14__hip_bfloat16S0_Li128ELi128ELi256ELi9EEvPT0_PKfS4_PKT_PKiS9_iS4_,"axG",@progbits,_Z35paged_attention_ll4mi_reduce_kernelI14__hip_bfloat16S0_Li128ELi128ELi256ELi9EEvPT0_PKfS4_PKT_PKiS9_iS4_,comdat
	.protected	_Z35paged_attention_ll4mi_reduce_kernelI14__hip_bfloat16S0_Li128ELi128ELi256ELi9EEvPT0_PKfS4_PKT_PKiS9_iS4_ ; -- Begin function _Z35paged_attention_ll4mi_reduce_kernelI14__hip_bfloat16S0_Li128ELi128ELi256ELi9EEvPT0_PKfS4_PKT_PKiS9_iS4_
	.globl	_Z35paged_attention_ll4mi_reduce_kernelI14__hip_bfloat16S0_Li128ELi128ELi256ELi9EEvPT0_PKfS4_PKT_PKiS9_iS4_
	.p2align	8
	.type	_Z35paged_attention_ll4mi_reduce_kernelI14__hip_bfloat16S0_Li128ELi128ELi256ELi9EEvPT0_PKfS4_PKT_PKiS9_iS4_,@function
_Z35paged_attention_ll4mi_reduce_kernelI14__hip_bfloat16S0_Li128ELi128ELi256ELi9EEvPT0_PKfS4_PKT_PKiS9_iS4_: ; @_Z35paged_attention_ll4mi_reduce_kernelI14__hip_bfloat16S0_Li128ELi128ELi256ELi9EEvPT0_PKfS4_PKT_PKiS9_iS4_
; %bb.0:
	s_load_dwordx2 s[34:35], s[4:5], 0x28
	s_mov_b32 s22, s7
	s_mov_b64 s[0:1], 0
	s_waitcnt lgkmcnt(0)
	s_cmp_lg_u64 s[34:35], 0
	s_cselect_b64 s[36:37], -1, 0
	s_and_b64 vcc, exec, s[36:37]
	s_cbranch_vccz .LBB316_27
; %bb.1:
	s_add_i32 s2, s22, 1
	s_mov_b32 s3, 0
	s_lshl_b64 s[8:9], s[2:3], 2
	s_add_u32 s8, s34, s8
	s_mov_b32 s23, s3
	s_addc_u32 s9, s35, s9
	s_lshl_b64 s[2:3], s[22:23], 2
	s_add_u32 s2, s34, s2
	s_addc_u32 s3, s35, s3
	s_load_dword s7, s[8:9], 0x0
	s_load_dword s10, s[2:3], 0x0
	s_waitcnt lgkmcnt(0)
	s_sub_i32 s2, s7, s10
	s_cmp_eq_u32 s2, 1
	s_cselect_b64 s[2:3], -1, 0
	s_andn2_b64 vcc, exec, s[0:1]
	s_cbranch_vccnz .LBB316_3
.LBB316_2:
	s_mov_b32 s23, 0
	s_mov_b64 s[2:3], -1
.LBB316_3:
	s_andn2_b64 vcc, exec, s[2:3]
	s_cbranch_vccz .LBB316_5
; %bb.4:
	s_endpgm
.LBB316_5:
	s_load_dwordx4 s[24:27], s[4:5], 0x18
	s_load_dword s8, s[4:5], 0x30
	s_lshl_b64 s[38:39], s[22:23], 2
	v_cmp_lt_u32_e32 vcc, 63, v0
	s_waitcnt lgkmcnt(0)
	s_add_u32 s0, s26, s38
	s_addc_u32 s1, s27, s39
	s_load_dword s46, s[0:1], 0x0
	s_load_dword s7, s[4:5], 0x40
	s_mul_i32 s26, s6, s8
	s_mul_i32 s2, s22, s8
	s_waitcnt lgkmcnt(0)
	s_add_i32 s3, s46, 0xff
	s_ashr_i32 s0, s3, 31
	s_lshr_b32 s0, s0, 24
	s_add_i32 s3, s3, s0
	s_and_saveexec_b64 s[0:1], vcc
	s_xor_b64 s[0:1], exec, s[0:1]
	s_or_saveexec_b64 s[40:41], s[0:1]
	s_ashr_i32 s33, s3, 8
	v_mov_b32_e32 v1, s26
	s_mul_i32 s42, s2, s7
	s_xor_b64 exec, exec, s[40:41]
	s_cbranch_execz .LBB316_9
; %bb.6:
	s_add_i32 s0, s33, -1
	v_or_b32_e32 v3, 64, v0
	v_mov_b32_e32 v1, s0
	v_cmp_gt_u32_e64 s[16:17], s33, v3
	v_cndmask_b32_e64 v4, v1, v3, s[16:17]
	v_or_b32_e32 v3, 0x80, v0
	v_cmp_gt_u32_e64 s[14:15], s33, v3
	v_cndmask_b32_e64 v6, v1, v3, s[14:15]
	v_or_b32_e32 v3, 0xc0, v0
	v_cmp_gt_u32_e64 s[12:13], s33, v3
	v_cndmask_b32_e64 v8, v1, v3, s[12:13]
	v_or_b32_e32 v3, 0x100, v0
	v_cmp_gt_u32_e64 s[10:11], s33, v3
	v_cndmask_b32_e64 v10, v1, v3, s[10:11]
	v_or_b32_e32 v3, 0x140, v0
	s_load_dwordx4 s[28:31], s[4:5], 0x8
	v_cmp_gt_u32_e64 s[8:9], s33, v3
	v_cndmask_b32_e64 v12, v1, v3, s[8:9]
	v_or_b32_e32 v3, 0x180, v0
	v_cmp_gt_u32_e64 s[2:3], s33, v3
	s_mov_b32 s43, 0
	v_cndmask_b32_e64 v14, v1, v3, s[2:3]
	v_or_b32_e32 v3, 0x1c0, v0
	v_cmp_gt_u32_e64 s[0:1], s33, v3
	s_lshl_b64 s[44:45], s[42:43], 2
	s_mov_b32 s27, s43
	v_cmp_gt_u32_e64 s[18:19], s33, v0
	v_cndmask_b32_e64 v16, v1, v3, s[0:1]
	v_or_b32_e32 v3, 0x200, v0
	s_waitcnt lgkmcnt(0)
	s_add_u32 s20, s30, s44
	v_cndmask_b32_e64 v2, v1, v0, s[18:19]
	v_cmp_gt_u32_e32 vcc, s33, v3
	s_addc_u32 s21, s31, s45
	s_lshl_b64 s[30:31], s[26:27], 2
	v_cndmask_b32_e32 v18, v1, v3, vcc
	s_add_u32 s27, s20, s30
	v_ashrrev_i32_e32 v3, 31, v2
	s_addc_u32 s43, s21, s31
	v_lshlrev_b64 v[2:3], 2, v[2:3]
	v_mov_b32_e32 v1, s43
	v_add_co_u32_e64 v20, s[20:21], s27, v2
	v_ashrrev_i32_e32 v5, 31, v4
	v_addc_co_u32_e64 v21, s[20:21], v1, v3, s[20:21]
	v_lshlrev_b64 v[4:5], 2, v[4:5]
	v_add_co_u32_e64 v22, s[20:21], s27, v4
	v_ashrrev_i32_e32 v7, 31, v6
	v_addc_co_u32_e64 v23, s[20:21], v1, v5, s[20:21]
	v_lshlrev_b64 v[6:7], 2, v[6:7]
	v_add_co_u32_e64 v24, s[20:21], s27, v6
	v_ashrrev_i32_e32 v9, 31, v8
	v_addc_co_u32_e64 v25, s[20:21], v1, v7, s[20:21]
	v_lshlrev_b64 v[8:9], 2, v[8:9]
	v_add_co_u32_e64 v26, s[20:21], s27, v8
	v_ashrrev_i32_e32 v11, 31, v10
	v_addc_co_u32_e64 v27, s[20:21], v1, v9, s[20:21]
	v_lshlrev_b64 v[10:11], 2, v[10:11]
	v_add_co_u32_e64 v28, s[20:21], s27, v10
	v_ashrrev_i32_e32 v13, 31, v12
	v_addc_co_u32_e64 v29, s[20:21], v1, v11, s[20:21]
	v_lshlrev_b64 v[12:13], 2, v[12:13]
	v_add_co_u32_e64 v30, s[20:21], s27, v12
	v_ashrrev_i32_e32 v15, 31, v14
	v_addc_co_u32_e64 v31, s[20:21], v1, v13, s[20:21]
	v_lshlrev_b64 v[14:15], 2, v[14:15]
	v_add_co_u32_e64 v32, s[20:21], s27, v14
	v_ashrrev_i32_e32 v17, 31, v16
	v_addc_co_u32_e64 v33, s[20:21], v1, v15, s[20:21]
	v_lshlrev_b64 v[16:17], 2, v[16:17]
	v_add_co_u32_e64 v34, s[20:21], s27, v16
	v_ashrrev_i32_e32 v19, 31, v18
	v_addc_co_u32_e64 v35, s[20:21], v1, v17, s[20:21]
	v_lshlrev_b64 v[18:19], 2, v[18:19]
	global_load_dword v1, v[20:21], off
	global_load_dword v36, v[22:23], off
	;; [unrolled: 1-line block ×8, first 2 shown]
	v_mov_b32_e32 v21, s43
	v_add_co_u32_e64 v20, s[20:21], s27, v18
	v_addc_co_u32_e64 v21, s[20:21], v21, v19, s[20:21]
	global_load_dword v20, v[20:21], off
	v_mbcnt_lo_u32_b32 v22, -1, 0
	v_mbcnt_hi_u32_b32 v22, -1, v22
	v_and_b32_e32 v23, 64, v22
	v_add_u32_e32 v23, 64, v23
	v_xor_b32_e32 v24, 32, v22
	v_cmp_lt_i32_e64 s[20:21], v24, v23
	v_cndmask_b32_e64 v24, v22, v24, s[20:21]
	v_lshlrev_b32_e32 v24, 2, v24
	s_waitcnt vmcnt(6)
	v_max3_f32 v21, v1, v36, v37
	s_waitcnt vmcnt(4)
	v_max3_f32 v21, v21, v38, v39
	;; [unrolled: 2-line block ×4, first 2 shown]
	ds_bpermute_b32 v25, v24, v21
	s_waitcnt lgkmcnt(0)
	v_max_f32_e32 v25, v25, v25
	v_max_f32_e32 v21, v21, v25
	v_xor_b32_e32 v25, 16, v22
	v_cmp_lt_i32_e64 s[20:21], v25, v23
	v_cndmask_b32_e64 v25, v22, v25, s[20:21]
	v_lshlrev_b32_e32 v25, 2, v25
	ds_bpermute_b32 v26, v25, v21
	s_waitcnt lgkmcnt(0)
	v_max_f32_e32 v26, v26, v26
	v_max_f32_e32 v21, v21, v26
	v_xor_b32_e32 v26, 8, v22
	v_cmp_lt_i32_e64 s[20:21], v26, v23
	v_cndmask_b32_e64 v26, v22, v26, s[20:21]
	v_lshlrev_b32_e32 v26, 2, v26
	;; [unrolled: 8-line block ×4, first 2 shown]
	ds_bpermute_b32 v29, v28, v21
	s_waitcnt lgkmcnt(0)
	v_max_f32_e32 v29, v29, v29
	v_max_f32_e32 v21, v21, v29
	v_xor_b32_e32 v29, 1, v22
	v_cmp_lt_i32_e64 s[20:21], v29, v23
	v_cndmask_b32_e64 v22, v22, v29, s[20:21]
	s_add_u32 s20, s28, s44
	s_addc_u32 s21, s29, s45
	s_add_u32 s27, s20, s30
	s_addc_u32 s28, s21, s31
	v_mov_b32_e32 v23, s28
	v_add_co_u32_e64 v2, s[20:21], s27, v2
	v_addc_co_u32_e64 v3, s[20:21], v23, v3, s[20:21]
	global_load_dword v23, v[2:3], off
	v_mov_b32_e32 v3, s28
	v_add_co_u32_e64 v2, s[20:21], s27, v4
	v_addc_co_u32_e64 v3, s[20:21], v3, v5, s[20:21]
	v_mov_b32_e32 v5, s28
	v_add_co_u32_e64 v4, s[20:21], s27, v6
	v_addc_co_u32_e64 v5, s[20:21], v5, v7, s[20:21]
	global_load_dword v30, v[2:3], off
	global_load_dword v31, v[4:5], off
	v_mov_b32_e32 v3, s28
	v_add_co_u32_e64 v2, s[20:21], s27, v8
	v_addc_co_u32_e64 v3, s[20:21], v3, v9, s[20:21]
	v_mov_b32_e32 v5, s28
	v_add_co_u32_e64 v4, s[20:21], s27, v10
	v_addc_co_u32_e64 v5, s[20:21], v5, v11, s[20:21]
	;; [unrolled: 3-line block ×5, first 2 shown]
	global_load_dword v12, v[2:3], off
	global_load_dword v13, v[4:5], off
	;; [unrolled: 1-line block ×5, first 2 shown]
	v_lshlrev_b32_e32 v22, 2, v22
	ds_bpermute_b32 v29, v22, v21
	v_mov_b32_e32 v3, s28
	s_mov_b32 s28, 0x3fb8aa3b
	s_mov_b32 s29, 0x42b17218
	s_waitcnt lgkmcnt(0)
	v_max_f32_e32 v2, v29, v29
	v_max_f32_e32 v4, v21, v2
	v_sub_f32_e32 v1, v1, v4
	v_mul_f32_e32 v2, 0x3fb8aa3b, v1
	v_fma_f32 v5, v1, s28, -v2
	v_rndne_f32_e32 v6, v2
	v_fmac_f32_e32 v5, 0x32a5705f, v1
	v_sub_f32_e32 v2, v2, v6
	v_add_f32_e32 v2, v2, v5
	v_exp_f32_e32 v5, v2
	v_cvt_i32_f32_e32 v6, v6
	v_add_co_u32_e64 v2, s[20:21], s27, v18
	v_addc_co_u32_e64 v3, s[20:21], v3, v19, s[20:21]
	global_load_dword v2, v[2:3], off
	v_ldexp_f32 v3, v5, v6
	v_sub_f32_e32 v6, v36, v4
	v_mul_f32_e32 v7, 0x3fb8aa3b, v6
	v_fma_f32 v8, v6, s28, -v7
	v_rndne_f32_e32 v9, v7
	v_fmac_f32_e32 v8, 0x32a5705f, v6
	v_sub_f32_e32 v7, v7, v9
	v_add_f32_e32 v7, v7, v8
	v_exp_f32_e32 v7, v7
	v_cvt_i32_f32_e32 v8, v9
	s_mov_b32 s27, 0xc2ce8ed0
	v_cmp_ngt_f32_e64 s[20:21], s27, v1
	v_cndmask_b32_e64 v3, 0, v3, s[20:21]
	v_mov_b32_e32 v5, 0x7f800000
	v_cmp_nlt_f32_e64 s[20:21], s29, v1
	v_cndmask_b32_e64 v1, v5, v3, s[20:21]
	v_ldexp_f32 v3, v7, v8
	v_sub_f32_e32 v7, v37, v4
	v_mul_f32_e32 v8, 0x3fb8aa3b, v7
	v_fma_f32 v9, v7, s28, -v8
	v_rndne_f32_e32 v10, v8
	v_fmac_f32_e32 v9, 0x32a5705f, v7
	v_sub_f32_e32 v8, v8, v10
	v_add_f32_e32 v8, v8, v9
	v_exp_f32_e32 v8, v8
	v_cvt_i32_f32_e32 v9, v10
	v_cndmask_b32_e64 v1, 0, v1, s[18:19]
	v_cmp_ngt_f32_e64 s[18:19], s27, v6
	v_cndmask_b32_e64 v3, 0, v3, s[18:19]
	v_cmp_nlt_f32_e64 s[18:19], s29, v6
	v_ldexp_f32 v6, v8, v9
	v_sub_f32_e32 v8, v38, v4
	v_mul_f32_e32 v9, 0x3fb8aa3b, v8
	v_fma_f32 v10, v8, s28, -v9
	v_rndne_f32_e32 v11, v9
	v_fmac_f32_e32 v10, 0x32a5705f, v8
	v_sub_f32_e32 v9, v9, v11
	v_add_f32_e32 v9, v9, v10
	v_exp_f32_e32 v9, v9
	v_cvt_i32_f32_e32 v10, v11
	v_cndmask_b32_e64 v3, v5, v3, s[18:19]
	v_cndmask_b32_e64 v3, 0, v3, s[16:17]
	v_cmp_ngt_f32_e64 s[16:17], s27, v7
	v_cndmask_b32_e64 v6, 0, v6, s[16:17]
	v_cmp_nlt_f32_e64 s[16:17], s29, v7
	v_ldexp_f32 v7, v9, v10
	v_sub_f32_e32 v9, v39, v4
	v_mul_f32_e32 v10, 0x3fb8aa3b, v9
	v_fma_f32 v11, v9, s28, -v10
	v_rndne_f32_e32 v17, v10
	v_fmac_f32_e32 v11, 0x32a5705f, v9
	v_sub_f32_e32 v10, v10, v17
	v_add_f32_e32 v10, v10, v11
	v_exp_f32_e32 v10, v10
	v_cvt_i32_f32_e32 v11, v17
	v_cndmask_b32_e64 v6, v5, v6, s[16:17]
	v_cndmask_b32_e64 v6, 0, v6, s[14:15]
	v_cmp_ngt_f32_e64 s[14:15], s27, v8
	v_cndmask_b32_e64 v7, 0, v7, s[14:15]
	v_cmp_nlt_f32_e64 s[14:15], s29, v8
	v_cndmask_b32_e64 v7, v5, v7, s[14:15]
	v_ldexp_f32 v8, v10, v11
	v_sub_f32_e32 v10, v40, v4
	v_cndmask_b32_e64 v7, 0, v7, s[12:13]
	v_mul_f32_e32 v11, 0x3fb8aa3b, v10
	s_waitcnt vmcnt(5)
	v_mul_f32_e32 v7, v12, v7
	v_fma_f32 v12, v10, s28, -v11
	v_rndne_f32_e32 v17, v11
	v_fmac_f32_e32 v12, 0x32a5705f, v10
	v_sub_f32_e32 v11, v11, v17
	v_add_f32_e32 v11, v11, v12
	v_exp_f32_e32 v11, v11
	v_cvt_i32_f32_e32 v12, v17
	v_cmp_ngt_f32_e64 s[12:13], s27, v9
	v_cndmask_b32_e64 v8, 0, v8, s[12:13]
	v_cmp_nlt_f32_e64 s[12:13], s29, v9
	v_cndmask_b32_e64 v8, v5, v8, s[12:13]
	v_ldexp_f32 v9, v11, v12
	v_sub_f32_e32 v11, v41, v4
	v_cndmask_b32_e64 v8, 0, v8, s[10:11]
	v_mul_f32_e32 v12, 0x3fb8aa3b, v11
	s_waitcnt vmcnt(4)
	v_mul_f32_e32 v8, v13, v8
	v_fma_f32 v13, v11, s28, -v12
	v_rndne_f32_e32 v17, v12
	v_fmac_f32_e32 v13, 0x32a5705f, v11
	v_sub_f32_e32 v12, v12, v17
	v_add_f32_e32 v12, v12, v13
	v_exp_f32_e32 v12, v12
	v_cvt_i32_f32_e32 v13, v17
	;; [unrolled: 17-line block ×3, first 2 shown]
	v_cmp_ngt_f32_e64 s[8:9], s27, v11
	v_sub_f32_e32 v4, v20, v4
	v_cndmask_b32_e64 v10, 0, v10, s[8:9]
	v_cmp_nlt_f32_e64 s[8:9], s29, v11
	v_ldexp_f32 v11, v13, v14
	v_mul_f32_e32 v13, 0x3fb8aa3b, v4
	v_fma_f32 v14, v4, s28, -v13
	v_rndne_f32_e32 v17, v13
	v_fmac_f32_e32 v14, 0x32a5705f, v4
	v_sub_f32_e32 v13, v13, v17
	v_add_f32_e32 v13, v13, v14
	v_cndmask_b32_e64 v10, v5, v10, s[8:9]
	v_exp_f32_e32 v13, v13
	v_cvt_i32_f32_e32 v14, v17
	v_cndmask_b32_e64 v10, 0, v10, s[2:3]
	v_cmp_ngt_f32_e64 s[2:3], s27, v12
	v_cndmask_b32_e64 v11, 0, v11, s[2:3]
	v_cmp_nlt_f32_e64 s[2:3], s29, v12
	v_cndmask_b32_e64 v11, v5, v11, s[2:3]
	v_cndmask_b32_e64 v11, 0, v11, s[0:1]
	v_ldexp_f32 v12, v13, v14
	v_cmp_ngt_f32_e64 s[0:1], s27, v4
	v_mul_f32_e32 v1, v23, v1
	v_mul_f32_e32 v3, v30, v3
	v_cndmask_b32_e64 v12, 0, v12, s[0:1]
	v_cmp_nlt_f32_e64 s[0:1], s29, v4
	v_mul_f32_e32 v6, v31, v6
	v_cndmask_b32_e64 v4, v5, v12, s[0:1]
	v_add_f32_e32 v5, v1, v3
	v_add_f32_e32 v5, v5, v6
	;; [unrolled: 1-line block ×5, first 2 shown]
	s_waitcnt vmcnt(2)
	v_fmac_f32_e32 v5, v15, v10
	v_cndmask_b32_e32 v4, 0, v4, vcc
	s_waitcnt vmcnt(1)
	v_fmac_f32_e32 v5, v16, v11
	s_waitcnt vmcnt(0)
	v_fmac_f32_e32 v5, v2, v4
	ds_bpermute_b32 v12, v24, v5
	v_lshlrev_b32_e32 v13, 2, v0
	ds_write2st64_b32 v13, v1, v3 offset1:1
	ds_write2st64_b32 v13, v6, v7 offset0:2 offset1:3
	v_mul_f32_e32 v4, v2, v4
	v_cmp_eq_u32_e32 vcc, 0, v0
	s_waitcnt lgkmcnt(2)
	v_add_f32_e32 v5, v5, v12
	ds_bpermute_b32 v12, v25, v5
	v_mul_f32_e32 v10, v15, v10
	v_mul_f32_e32 v11, v16, v11
	ds_write2st64_b32 v13, v8, v9 offset0:4 offset1:5
	ds_write2st64_b32 v13, v10, v11 offset0:6 offset1:7
	ds_write_b32 v13, v4 offset:2048
	s_waitcnt lgkmcnt(3)
	v_add_f32_e32 v5, v5, v12
	ds_bpermute_b32 v12, v26, v5
	s_waitcnt lgkmcnt(0)
	v_add_f32_e32 v5, v5, v12
	ds_bpermute_b32 v12, v27, v5
	;; [unrolled: 3-line block ×4, first 2 shown]
	s_and_saveexec_b64 s[0:1], vcc
	s_cbranch_execz .LBB316_8
; %bb.7:
	s_waitcnt lgkmcnt(0)
	v_add_f32_e32 v1, v1, v2
	v_mov_b32_e32 v2, 0
	ds_write_b32 v2, v1 offset:2304
.LBB316_8:
	s_or_b64 exec, exec, s[0:1]
	v_mov_b32_e32 v1, s26
.LBB316_9:
	s_or_b64 exec, exec, s[40:41]
	s_lshl_b32 s0, s42, 7
	s_mov_b32 s1, 0
	s_lshl_b64 s[0:1], s[0:1], 1
	s_add_u32 s0, s24, s0
	s_addc_u32 s1, s25, s1
	s_lshl_b32 s10, s33, 7
	s_waitcnt lgkmcnt(0)
	v_lshlrev_b32_e32 v2, 7, v1
	v_mov_b32_e32 v3, 0
	s_add_i32 s11, s10, 0xffffff80
	v_lshlrev_b64 v[4:5], 1, v[2:3]
	s_cmp_lt_i32 s46, 1
	v_mov_b32_e32 v1, s1
	v_add_co_u32_e32 v2, vcc, s0, v4
	s_cselect_b32 s0, s11, 0
	v_addc_co_u32_e32 v1, vcc, v1, v5, vcc
	v_lshlrev_b32_e32 v116, 1, v0
	s_ashr_i32 s1, s0, 31
	v_add_co_u32_e32 v117, vcc, v2, v116
	s_lshl_b64 s[0:1], s[0:1], 1
	v_addc_co_u32_e32 v118, vcc, 0, v1, vcc
	s_cmpk_lt_i32 s46, 0x101
	v_add_co_u32_e32 v0, vcc, s0, v117
	s_cselect_b32 s0, s11, 0x80
	v_mov_b32_e32 v1, s1
	s_ashr_i32 s1, s0, 31
	s_lshl_b64 s[0:1], s[0:1], 1
	v_addc_co_u32_e32 v1, vcc, v118, v1, vcc
	s_cmpk_lt_i32 s46, 0x201
	v_add_co_u32_e32 v4, vcc, s0, v117
	s_cselect_b32 s0, s11, 0x100
	v_mov_b32_e32 v2, s1
	s_ashr_i32 s1, s0, 31
	;; [unrolled: 7-line block ×8, first 2 shown]
	s_lshl_b64 s[0:1], s[0:1], 1
	v_addc_co_u32_e32 v17, vcc, v118, v2, vcc
	s_cmpk_lt_i32 s46, 0x901
	global_load_ushort v40, v[0:1], off
	global_load_ushort v39, v[4:5], off
	;; [unrolled: 1-line block ×8, first 2 shown]
	v_add_co_u32_e32 v0, vcc, s0, v117
	s_cselect_b32 s0, s11, 0x480
	v_mov_b32_e32 v1, s1
	s_ashr_i32 s1, s0, 31
	s_lshl_b64 s[0:1], s[0:1], 1
	v_addc_co_u32_e32 v1, vcc, v118, v1, vcc
	s_cmpk_lt_i32 s46, 0xa01
	v_add_co_u32_e32 v4, vcc, s0, v117
	s_cselect_b32 s0, s11, 0x500
	v_mov_b32_e32 v5, s1
	s_ashr_i32 s1, s0, 31
	s_lshl_b64 s[0:1], s[0:1], 1
	v_addc_co_u32_e32 v5, vcc, v118, v5, vcc
	s_cmpk_lt_i32 s46, 0xb01
	;; [unrolled: 7-line block ×6, first 2 shown]
	v_add_co_u32_e32 v14, vcc, s0, v117
	s_cselect_b32 s0, s11, 0x780
	v_mov_b32_e32 v15, s1
	s_ashr_i32 s1, s0, 31
	v_addc_co_u32_e32 v15, vcc, v118, v15, vcc
	s_lshl_b64 s[0:1], s[0:1], 1
	v_mov_b32_e32 v17, s1
	v_add_co_u32_e32 v16, vcc, s0, v117
	v_addc_co_u32_e32 v17, vcc, v118, v17, vcc
	global_load_ushort v47, v[0:1], off
	global_load_ushort v48, v[4:5], off
	;; [unrolled: 1-line block ×8, first 2 shown]
	s_cmpk_gt_i32 s46, 0x1000
	s_cselect_b64 s[8:9], -1, 0
	s_cmpk_lt_i32 s46, 0x1001
	v_mov_b32_e32 v57, 0
	v_mov_b32_e32 v58, 0
	;; [unrolled: 1-line block ×48, first 2 shown]
	s_barrier
	s_cbranch_scc1 .LBB316_12
; %bb.10:
	s_cmpk_lt_u32 s46, 0x1101
	s_cselect_b32 s0, s11, 0x880
	s_ashr_i32 s1, s0, 31
	v_add_co_u32_e32 v0, vcc, 0x1000, v117
	s_lshl_b64 s[0:1], s[0:1], 1
	v_addc_co_u32_e32 v1, vcc, 0, v118, vcc
	s_cmpk_lt_u32 s46, 0x1201
	v_add_co_u32_e32 v4, vcc, s0, v117
	s_cselect_b32 s0, s11, 0x900
	v_mov_b32_e32 v5, s1
	s_ashr_i32 s1, s0, 31
	s_lshl_b64 s[0:1], s[0:1], 1
	v_addc_co_u32_e32 v5, vcc, v118, v5, vcc
	s_cmpk_lt_u32 s46, 0x1301
	v_add_co_u32_e32 v6, vcc, s0, v117
	s_cselect_b32 s0, s11, 0x980
	v_mov_b32_e32 v7, s1
	s_ashr_i32 s1, s0, 31
	;; [unrolled: 7-line block ×7, first 2 shown]
	s_lshl_b64 s[0:1], s[0:1], 1
	v_addc_co_u32_e32 v17, vcc, v118, v17, vcc
	s_cmpk_lt_u32 s46, 0x1901
	global_load_ushort v56, v[0:1], off
	global_load_ushort v55, v[4:5], off
	;; [unrolled: 1-line block ×8, first 2 shown]
	v_add_co_u32_e32 v0, vcc, s0, v117
	s_cselect_b32 s0, s11, 0xc80
	v_mov_b32_e32 v1, s1
	s_ashr_i32 s1, s0, 31
	s_lshl_b64 s[0:1], s[0:1], 1
	v_addc_co_u32_e32 v1, vcc, v118, v1, vcc
	s_cmpk_lt_u32 s46, 0x1a01
	v_add_co_u32_e32 v4, vcc, s0, v117
	s_cselect_b32 s0, s11, 0xd00
	v_mov_b32_e32 v5, s1
	s_ashr_i32 s1, s0, 31
	s_lshl_b64 s[0:1], s[0:1], 1
	v_addc_co_u32_e32 v5, vcc, v118, v5, vcc
	s_cmpk_lt_u32 s46, 0x1b01
	;; [unrolled: 7-line block ×6, first 2 shown]
	v_add_co_u32_e32 v14, vcc, s0, v117
	s_cselect_b32 s0, s11, 0xf80
	v_mov_b32_e32 v15, s1
	s_ashr_i32 s1, s0, 31
	v_addc_co_u32_e32 v15, vcc, v118, v15, vcc
	s_lshl_b64 s[0:1], s[0:1], 1
	v_mov_b32_e32 v17, s1
	v_add_co_u32_e32 v16, vcc, s0, v117
	v_addc_co_u32_e32 v17, vcc, v118, v17, vcc
	global_load_ushort v64, v[0:1], off
	global_load_ushort v63, v[4:5], off
	;; [unrolled: 1-line block ×8, first 2 shown]
	s_cmpk_lt_u32 s46, 0x2001
	v_mov_b32_e32 v33, 0
	v_mov_b32_e32 v31, 0
	;; [unrolled: 1-line block ×32, first 2 shown]
	s_cbranch_scc1 .LBB316_12
; %bb.11:
	s_cmpk_lt_u32 s46, 0x2101
	s_cselect_b32 s0, s11, 0x1080
	s_ashr_i32 s1, s0, 31
	s_lshl_b64 s[0:1], s[0:1], 1
	s_cmpk_lt_u32 s46, 0x2201
	v_add_co_u32_e32 v0, vcc, s0, v117
	s_cselect_b32 s0, s11, 0x1100
	v_mov_b32_e32 v1, s1
	s_ashr_i32 s1, s0, 31
	s_lshl_b64 s[0:1], s[0:1], 1
	v_addc_co_u32_e32 v1, vcc, v118, v1, vcc
	s_cmpk_lt_u32 s46, 0x2301
	v_add_co_u32_e32 v4, vcc, s0, v117
	s_cselect_b32 s0, s11, 0x1180
	v_mov_b32_e32 v5, s1
	s_ashr_i32 s1, s0, 31
	s_lshl_b64 s[0:1], s[0:1], 1
	v_addc_co_u32_e32 v5, vcc, v118, v5, vcc
	;; [unrolled: 7-line block ×30, first 2 shown]
	v_mov_b32_e32 v65, s1
	s_movk_i32 s1, 0x2000
	v_add_co_u32_e32 v94, vcc, s1, v117
	v_addc_co_u32_e32 v95, vcc, 0, v118, vcc
	global_load_ushort v96, v[94:95], off
	global_load_ushort v97, v[0:1], off
	;; [unrolled: 1-line block ×15, first 2 shown]
                                        ; kill: killed $vgpr30 killed $vgpr31
                                        ; kill: killed $vgpr8 killed $vgpr9
                                        ; kill: killed $vgpr14 killed $vgpr15
                                        ; kill: killed $vgpr20 killed $vgpr21
                                        ; kill: killed $vgpr4 killed $vgpr5
                                        ; kill: killed $vgpr94 killed $vgpr95
                                        ; kill: killed $vgpr32 killed $vgpr33
                                        ; kill: killed $vgpr10 killed $vgpr11
                                        ; kill: killed $vgpr16 killed $vgpr17
                                        ; kill: killed $vgpr24 killed $vgpr25
                                        ; kill: killed $vgpr6 killed $vgpr7
                                        ; kill: killed $vgpr66 killed $vgpr67
                                        ; kill: killed $vgpr12 killed $vgpr13
                                        ; kill: killed $vgpr18 killed $vgpr19
                                        ; kill: killed $vgpr0 killed $vgpr1
	global_load_ushort v4, v[22:23], off
	global_load_ushort v5, v[26:27], off
	;; [unrolled: 1-line block ×15, first 2 shown]
                                        ; kill: killed $vgpr88 killed $vgpr89
                                        ; kill: killed $vgpr72 killed $vgpr73
                                        ; kill: killed $vgpr78 killed $vgpr79
                                        ; kill: killed $vgpr22 killed $vgpr23
                                        ; kill: killed $vgpr68 killed $vgpr69
                                        ; kill: killed $vgpr90 killed $vgpr91
                                        ; kill: killed $vgpr74 killed $vgpr75
                                        ; kill: killed $vgpr80 killed $vgpr81
                                        ; kill: killed $vgpr26 killed $vgpr27
                                        ; kill: killed $vgpr86 killed $vgpr87
                                        ; kill: killed $vgpr70 killed $vgpr71
                                        ; kill: killed $vgpr92 killed $vgpr93
                                        ; kill: killed $vgpr76 killed $vgpr77
                                        ; kill: killed $vgpr82 killed $vgpr83
                                        ; kill: killed $vgpr28 killed $vgpr29
	global_load_ushort v68, v[84:85], off
	v_add_co_u32_e32 v0, vcc, s0, v117
	v_addc_co_u32_e32 v1, vcc, v118, v65, vcc
	global_load_ushort v1, v[0:1], off
	s_waitcnt vmcnt(31)
	v_lshlrev_b32_e32 v33, 16, v96
	s_waitcnt vmcnt(30)
	v_lshlrev_b32_e32 v31, 16, v97
	;; [unrolled: 2-line block ×32, first 2 shown]
.LBB316_12:
	s_load_dwordx2 s[0:1], s[4:5], 0x0
	s_load_dwordx2 s[2:3], s[4:5], 0x38
	ds_read_b128 v[66:69], v3
	s_waitcnt vmcnt(15)
	v_lshlrev_b32_e32 v40, 16, v40
	s_waitcnt vmcnt(14)
	v_lshlrev_b32_e32 v39, 16, v39
	ds_read_b128 v[70:73], v3 offset:16
	ds_read_b128 v[74:77], v3 offset:32
	ds_read_b128 v[78:81], v3 offset:48
	s_waitcnt vmcnt(13)
	v_lshlrev_b32_e32 v38, 16, v38
	s_waitcnt lgkmcnt(0)
	v_fma_f32 v40, v66, v40, 0
	v_fmac_f32_e32 v40, v67, v39
	v_fmac_f32_e32 v40, v68, v38
	s_waitcnt vmcnt(12)
	v_lshlrev_b32_e32 v37, 16, v37
	v_fmac_f32_e32 v40, v69, v37
	s_waitcnt vmcnt(10)
	v_lshlrev_b32_e32 v37, 16, v36
	v_lshlrev_b32_e32 v36, 16, v35
	v_pk_mul_f32 v[36:37], v[70:71], v[36:37]
	v_add_f32_e32 v35, v40, v36
	v_add_f32_e32 v36, v35, v37
	s_waitcnt vmcnt(8)
	v_lshlrev_b32_e32 v35, 16, v34
	v_lshlrev_b32_e32 v34, 16, v2
	v_pk_mul_f32 v[34:35], v[72:73], v[34:35]
	v_add_f32_e32 v2, v36, v34
	v_add_f32_e32 v2, v2, v35
	;; [unrolled: 6-line block ×6, first 2 shown]
	s_and_b64 vcc, exec, s[8:9]
	s_cbranch_vccz .LBB316_15
; %bb.13:
	ds_read_b128 v[34:37], v3 offset:64
	v_lshlrev_b32_e32 v2, 16, v56
	ds_read_b128 v[38:41], v3 offset:80
	ds_read_b128 v[42:45], v3 offset:96
	;; [unrolled: 1-line block ×3, first 2 shown]
	s_cmpk_lt_u32 s46, 0x2001
	s_waitcnt lgkmcnt(3)
	v_fmac_f32_e32 v119, v34, v2
	v_lshlrev_b32_e32 v2, 16, v55
	v_fmac_f32_e32 v119, v35, v2
	v_lshlrev_b32_e32 v2, 16, v54
	v_fmac_f32_e32 v119, v36, v2
	v_lshlrev_b32_e32 v2, 16, v53
	v_fmac_f32_e32 v119, v37, v2
	v_lshlrev_b32_e32 v2, 16, v52
	s_waitcnt lgkmcnt(2)
	v_fmac_f32_e32 v119, v38, v2
	v_lshlrev_b32_e32 v2, 16, v51
	v_fmac_f32_e32 v119, v39, v2
	v_lshlrev_b32_e32 v2, 16, v50
	v_fmac_f32_e32 v119, v40, v2
	v_lshlrev_b32_e32 v2, 16, v49
	v_fmac_f32_e32 v119, v41, v2
	v_lshlrev_b32_e32 v2, 16, v64
	s_waitcnt lgkmcnt(1)
	v_fmac_f32_e32 v119, v42, v2
	v_lshlrev_b32_e32 v2, 16, v63
	v_fmac_f32_e32 v119, v43, v2
	v_lshlrev_b32_e32 v2, 16, v62
	v_fmac_f32_e32 v119, v44, v2
	v_lshlrev_b32_e32 v2, 16, v61
	v_fmac_f32_e32 v119, v45, v2
	v_lshlrev_b32_e32 v2, 16, v60
	s_waitcnt lgkmcnt(0)
	v_fmac_f32_e32 v119, v66, v2
	v_lshlrev_b32_e32 v2, 16, v59
	v_fmac_f32_e32 v119, v67, v2
	v_lshlrev_b32_e32 v2, 16, v58
	;; [unrolled: 2-line block ×3, first 2 shown]
	v_fmac_f32_e32 v119, v69, v2
	s_cbranch_scc1 .LBB316_15
; %bb.14:
	v_mov_b32_e32 v50, 0
	ds_read_b128 v[34:37], v50 offset:128
	ds_read_b128 v[38:41], v50 offset:144
	ds_read_b128 v[42:45], v50 offset:160
	ds_read_b128 v[46:49], v50 offset:176
	s_waitcnt lgkmcnt(3)
	v_fmac_f32_e32 v119, v34, v33
	v_fmac_f32_e32 v119, v35, v31
	v_fmac_f32_e32 v119, v36, v32
	v_fmac_f32_e32 v119, v37, v29
	s_waitcnt lgkmcnt(2)
	v_fmac_f32_e32 v119, v38, v30
	v_fmac_f32_e32 v119, v39, v27
	v_fmac_f32_e32 v119, v40, v28
	v_fmac_f32_e32 v119, v41, v25
	;; [unrolled: 5-line block ×3, first 2 shown]
	s_waitcnt lgkmcnt(0)
	v_fmac_f32_e32 v119, v46, v22
	ds_read_b128 v[22:25], v50 offset:192
	v_fmac_f32_e32 v119, v47, v19
	v_fmac_f32_e32 v119, v48, v20
	;; [unrolled: 1-line block ×3, first 2 shown]
	ds_read_b128 v[18:21], v50 offset:208
	s_waitcnt lgkmcnt(1)
	v_fmac_f32_e32 v119, v22, v17
	v_fmac_f32_e32 v119, v23, v15
	;; [unrolled: 1-line block ×4, first 2 shown]
	s_waitcnt lgkmcnt(0)
	v_pk_mul_f32 v[2:3], v[18:19], v[12:13]
	ds_read_b128 v[12:15], v50 offset:224
	v_add_f32_e32 v2, v119, v2
	v_add_f32_e32 v16, v2, v3
	v_pk_mul_f32 v[2:3], v[20:21], v[10:11]
	v_add_f32_e32 v2, v16, v2
	ds_read_b128 v[16:19], v50 offset:240
	v_add_f32_e32 v10, v2, v3
	s_waitcnt lgkmcnt(1)
	v_pk_mul_f32 v[2:3], v[12:13], v[8:9]
	v_add_f32_e32 v2, v10, v2
	v_add_f32_e32 v8, v2, v3
	v_pk_mul_f32 v[2:3], v[14:15], v[6:7]
	v_add_f32_e32 v2, v8, v2
	v_add_f32_e32 v6, v2, v3
	s_waitcnt lgkmcnt(0)
	v_pk_mul_f32 v[2:3], v[16:17], v[4:5]
	v_add_f32_e32 v2, v6, v2
	v_add_f32_e32 v2, v2, v3
	v_pk_mul_f32 v[0:1], v[18:19], v[0:1]
	v_add_f32_e32 v0, v2, v0
	v_add_f32_e32 v119, v0, v1
.LBB316_15:
	s_movk_i32 s4, 0x3f80
	s_movk_i32 s5, 0x100
	s_mov_b32 s8, 64
	s_branch .LBB316_17
.LBB316_16:                             ;   in Loop: Header=BB316_17 Depth=1
	s_addk_i32 s4, 0x2000
	s_addk_i32 s5, 0x100
	s_add_i32 s8, s8, 64
	s_cmp_eq_u32 s4, 0x13f80
	s_cbranch_scc1 .LBB316_19
.LBB316_17:                             ; =>This Inner Loop Header: Depth=1
	s_cmp_le_i32 s33, s8
	s_cbranch_scc1 .LBB316_16
; %bb.18:                               ;   in Loop: Header=BB316_17 Depth=1
	s_add_i32 s9, s4, 0xffffe080
	s_cmp_lt_i32 s9, s10
	s_cselect_b32 s12, s9, s11
	s_ashr_i32 s13, s12, 31
	s_lshl_b64 s[12:13], s[12:13], 1
	s_add_i32 s9, s4, 0xffffe100
	s_cmp_lt_i32 s9, s10
	v_add_co_u32_e32 v2, vcc, s12, v117
	s_cselect_b32 s12, s9, s11
	v_mov_b32_e32 v0, s13
	s_ashr_i32 s13, s12, 31
	s_lshl_b64 s[12:13], s[12:13], 1
	s_add_i32 s9, s4, 0xffffe180
	v_addc_co_u32_e32 v3, vcc, v118, v0, vcc
	s_cmp_lt_i32 s9, s10
	v_add_co_u32_e32 v0, vcc, s12, v117
	s_cselect_b32 s12, s9, s11
	v_mov_b32_e32 v1, s13
	s_ashr_i32 s13, s12, 31
	s_lshl_b64 s[12:13], s[12:13], 1
	s_add_i32 s9, s4, 0xffffe200
	v_addc_co_u32_e32 v1, vcc, v118, v1, vcc
	;; [unrolled: 8-line block ×21, first 2 shown]
	s_cmp_lt_i32 s9, s10
	global_load_ushort v120, v[2:3], off
	global_load_ushort v122, v[4:5], off
	;; [unrolled: 1-line block ×4, first 2 shown]
	v_add_co_u32_e32 v42, vcc, s12, v117
	s_cselect_b32 s12, s9, s11
	v_mov_b32_e32 v43, s13
	s_ashr_i32 s13, s12, 31
	s_lshl_b64 s[12:13], s[12:13], 1
	s_add_i32 s9, s4, 0xffffec00
	v_addc_co_u32_e32 v43, vcc, v118, v43, vcc
	s_cmp_lt_i32 s9, s10
	v_add_co_u32_e32 v44, vcc, s12, v117
	s_cselect_b32 s12, s9, s11
	v_mov_b32_e32 v45, s13
	s_ashr_i32 s13, s12, 31
	s_lshl_b64 s[12:13], s[12:13], 1
	s_add_i32 s9, s4, 0xffffec80
	v_addc_co_u32_e32 v45, vcc, v118, v45, vcc
	s_cmp_lt_i32 s9, s10
	;; [unrolled: 8-line block ×8, first 2 shown]
	global_load_ushort v121, v[0:1], off
	v_add_co_u32_e32 v58, vcc, s12, v117
	s_cselect_b32 s12, s9, s11
	v_mov_b32_e32 v59, s13
	s_ashr_i32 s13, s12, 31
	s_lshl_b64 s[12:13], s[12:13], 1
	s_add_i32 s9, s4, 0xfffff000
	v_addc_co_u32_e32 v59, vcc, v118, v59, vcc
	s_cmp_lt_i32 s9, s10
	v_add_co_u32_e32 v60, vcc, s12, v117
	s_cselect_b32 s12, s9, s11
	global_load_ushort v125, v[10:11], off
	global_load_ushort v126, v[12:13], off
	v_mov_b32_e32 v61, s13
	s_ashr_i32 s13, s12, 31
	global_load_ushort v127, v[14:15], off
	global_load_ushort v128, v[16:17], off
	global_load_ushort v129, v[18:19], off
	s_lshl_b64 s[12:13], s[12:13], 1
	s_add_i32 s9, s4, 0xfffff080
	v_addc_co_u32_e32 v61, vcc, v118, v61, vcc
	s_cmp_lt_i32 s9, s10
	v_add_co_u32_e32 v62, vcc, s12, v117
	s_cselect_b32 s12, s9, s11
	v_mov_b32_e32 v63, s13
	s_ashr_i32 s13, s12, 31
	s_lshl_b64 s[12:13], s[12:13], 1
	s_add_i32 s9, s4, 0xfffff100
	v_addc_co_u32_e32 v63, vcc, v118, v63, vcc
	s_cmp_lt_i32 s9, s10
	v_add_co_u32_e32 v64, vcc, s12, v117
	s_cselect_b32 s12, s9, s11
	v_mov_b32_e32 v65, s13
	s_ashr_i32 s13, s12, 31
	global_load_ushort v130, v[20:21], off
	global_load_ushort v131, v[22:23], off
	s_lshl_b64 s[12:13], s[12:13], 1
	s_add_i32 s9, s4, 0xfffff180
	v_addc_co_u32_e32 v65, vcc, v118, v65, vcc
	s_cmp_lt_i32 s9, s10
	global_load_ushort v132, v[24:25], off
	global_load_ushort v133, v[26:27], off
	v_add_co_u32_e32 v66, vcc, s12, v117
	s_cselect_b32 s12, s9, s11
	v_mov_b32_e32 v67, s13
	s_ashr_i32 s13, s12, 31
	s_lshl_b64 s[12:13], s[12:13], 1
	s_add_i32 s9, s4, 0xfffff200
	v_addc_co_u32_e32 v67, vcc, v118, v67, vcc
	s_cmp_lt_i32 s9, s10
	v_add_co_u32_e32 v68, vcc, s12, v117
	s_cselect_b32 s12, s9, s11
	v_mov_b32_e32 v69, s13
	s_ashr_i32 s13, s12, 31
	global_load_ushort v134, v[28:29], off
	global_load_ushort v135, v[30:31], off
	s_lshl_b64 s[12:13], s[12:13], 1
	s_add_i32 s9, s4, 0xfffff280
	v_addc_co_u32_e32 v69, vcc, v118, v69, vcc
	s_cmp_lt_i32 s9, s10
	v_add_co_u32_e32 v70, vcc, s12, v117
	s_cselect_b32 s12, s9, s11
	v_mov_b32_e32 v71, s13
	s_ashr_i32 s13, s12, 31
	s_lshl_b64 s[12:13], s[12:13], 1
	s_add_i32 s9, s4, 0xfffff300
	global_load_ushort v28, v[32:33], off
	global_load_ushort v29, v[34:35], off
	;; [unrolled: 1-line block ×4, first 2 shown]
	v_addc_co_u32_e32 v71, vcc, v118, v71, vcc
	s_cmp_lt_i32 s9, s10
	v_add_co_u32_e32 v72, vcc, s12, v117
	s_cselect_b32 s12, s9, s11
	v_mov_b32_e32 v73, s13
	s_ashr_i32 s13, s12, 31
	s_lshl_b64 s[12:13], s[12:13], 1
	s_add_i32 s9, s4, 0xfffff380
	v_addc_co_u32_e32 v73, vcc, v118, v73, vcc
	s_cmp_lt_i32 s9, s10
	v_add_co_u32_e32 v74, vcc, s12, v117
	s_cselect_b32 s12, s9, s11
	v_mov_b32_e32 v75, s13
	s_ashr_i32 s13, s12, 31
	s_lshl_b64 s[12:13], s[12:13], 1
	s_add_i32 s9, s4, 0xfffff400
	v_addc_co_u32_e32 v75, vcc, v118, v75, vcc
	s_cmp_lt_i32 s9, s10
	v_add_co_u32_e32 v76, vcc, s12, v117
	s_cselect_b32 s12, s9, s11
	global_load_ushort v32, v[40:41], off
	global_load_ushort v33, v[42:43], off
	v_mov_b32_e32 v77, s13
	s_ashr_i32 s13, s12, 31
	s_lshl_b64 s[12:13], s[12:13], 1
	s_add_i32 s9, s4, 0xfffff480
	v_addc_co_u32_e32 v77, vcc, v118, v77, vcc
	s_cmp_lt_i32 s9, s10
	v_add_co_u32_e32 v78, vcc, s12, v117
	s_cselect_b32 s12, s9, s11
	v_mov_b32_e32 v79, s13
	s_ashr_i32 s13, s12, 31
	global_load_ushort v36, v[44:45], off
	s_lshl_b64 s[12:13], s[12:13], 1
	s_add_i32 s9, s4, 0xfffff500
	v_mov_b32_e32 v35, s5
	v_addc_co_u32_e32 v79, vcc, v118, v79, vcc
	s_cmp_lt_i32 s9, s10
	ds_read_b128 v[12:15], v35
	ds_read_b128 v[16:19], v35 offset:16
	global_load_ushort v37, v[46:47], off
	v_add_co_u32_e32 v80, vcc, s12, v117
	s_cselect_b32 s12, s9, s11
	v_mov_b32_e32 v81, s13
	s_ashr_i32 s13, s12, 31
	s_lshl_b64 s[12:13], s[12:13], 1
	s_add_i32 s9, s4, 0xfffff580
	v_addc_co_u32_e32 v81, vcc, v118, v81, vcc
	s_cmp_lt_i32 s9, s10
	s_waitcnt vmcnt(23)
	v_lshlrev_b32_e32 v34, 16, v120
	v_add_co_u32_e32 v82, vcc, s12, v117
	s_cselect_b32 s12, s9, s11
	ds_read_b128 v[20:23], v35 offset:32
	ds_read_b128 v[24:27], v35 offset:48
	s_waitcnt lgkmcnt(3)
	v_fmac_f32_e32 v119, v12, v34
	global_load_ushort v34, v[48:49], off
	global_load_ushort v38, v[50:51], off
	;; [unrolled: 1-line block ×6, first 2 shown]
	v_mov_b32_e32 v83, s13
	s_ashr_i32 s13, s12, 31
	s_lshl_b64 s[12:13], s[12:13], 1
	s_add_i32 s9, s4, 0xfffff600
	v_addc_co_u32_e32 v83, vcc, v118, v83, vcc
	s_cmp_lt_i32 s9, s10
	v_add_co_u32_e32 v84, vcc, s12, v117
	s_cselect_b32 s12, s9, s11
	v_mov_b32_e32 v85, s13
	s_ashr_i32 s13, s12, 31
	s_lshl_b64 s[12:13], s[12:13], 1
	s_add_i32 s9, s4, 0xfffff680
	v_addc_co_u32_e32 v85, vcc, v118, v85, vcc
	s_cmp_lt_i32 s9, s10
	v_add_co_u32_e32 v86, vcc, s12, v117
	s_cselect_b32 s12, s9, s11
	;; [unrolled: 8-line block ×7, first 2 shown]
	v_mov_b32_e32 v97, s13
	s_ashr_i32 s13, s12, 31
	s_lshl_b64 s[12:13], s[12:13], 1
	s_add_i32 s9, s4, 0xfffff980
	v_addc_co_u32_e32 v97, vcc, v118, v97, vcc
	s_cmp_lt_i32 s9, s10
	s_waitcnt vmcnt(25)
	v_lshlrev_b32_e32 v12, 16, v121
	v_add_co_u32_e32 v98, vcc, s12, v117
	s_cselect_b32 s12, s9, s11
	v_fmac_f32_e32 v119, v13, v12
	v_lshlrev_b32_e32 v12, 16, v122
	v_mov_b32_e32 v99, s13
	s_ashr_i32 s13, s12, 31
	v_fmac_f32_e32 v119, v14, v12
	v_lshlrev_b32_e32 v12, 16, v123
	s_lshl_b64 s[12:13], s[12:13], 1
	s_add_i32 s9, s4, 0xfffffa00
	v_fmac_f32_e32 v119, v15, v12
	v_lshlrev_b32_e32 v12, 16, v124
	v_addc_co_u32_e32 v99, vcc, v118, v99, vcc
	s_cmp_lt_i32 s9, s10
	s_waitcnt lgkmcnt(2)
	v_fmac_f32_e32 v119, v16, v12
	s_waitcnt vmcnt(24)
	v_lshlrev_b32_e32 v12, 16, v125
	v_add_co_u32_e32 v100, vcc, s12, v117
	s_cselect_b32 s12, s9, s11
	v_fmac_f32_e32 v119, v17, v12
	s_waitcnt vmcnt(23)
	v_lshlrev_b32_e32 v12, 16, v126
	v_mov_b32_e32 v101, s13
	s_ashr_i32 s13, s12, 31
	v_fmac_f32_e32 v119, v18, v12
	s_waitcnt vmcnt(22)
	v_lshlrev_b32_e32 v12, 16, v127
	s_lshl_b64 s[12:13], s[12:13], 1
	s_add_i32 s9, s4, 0xfffffa80
	v_fmac_f32_e32 v119, v19, v12
	s_waitcnt vmcnt(21)
	v_lshlrev_b32_e32 v12, 16, v128
	v_addc_co_u32_e32 v101, vcc, v118, v101, vcc
	s_cmp_lt_i32 s9, s10
	s_waitcnt lgkmcnt(1)
	v_fmac_f32_e32 v119, v20, v12
	global_load_ushort v20, v[60:61], off
	v_add_co_u32_e32 v102, vcc, s12, v117
	s_cselect_b32 s12, s9, s11
	v_mov_b32_e32 v103, s13
	s_ashr_i32 s13, s12, 31
	s_lshl_b64 s[12:13], s[12:13], 1
	s_add_i32 s9, s4, 0xfffffb00
	s_waitcnt vmcnt(21)
	v_lshlrev_b32_e32 v12, 16, v129
	v_addc_co_u32_e32 v103, vcc, v118, v103, vcc
	s_cmp_lt_i32 s9, s10
	v_fmac_f32_e32 v119, v21, v12
	global_load_ushort v21, v[62:63], off
	v_add_co_u32_e32 v104, vcc, s12, v117
	s_cselect_b32 s12, s9, s11
	s_waitcnt vmcnt(21)
	v_lshlrev_b32_e32 v12, 16, v130
	global_load_ushort v43, v[64:65], off
	v_mov_b32_e32 v105, s13
	s_ashr_i32 s13, s12, 31
	v_fmac_f32_e32 v119, v22, v12
	global_load_ushort v22, v[66:67], off
	s_waitcnt vmcnt(22)
	v_lshlrev_b32_e32 v12, 16, v131
	s_lshl_b64 s[12:13], s[12:13], 1
	s_add_i32 s9, s4, 0xfffffb80
	v_fmac_f32_e32 v119, v23, v12
	global_load_ushort v23, v[68:69], off
	global_load_ushort v44, v[70:71], off
	v_addc_co_u32_e32 v105, vcc, v118, v105, vcc
	s_cmp_lt_i32 s9, s10
	s_waitcnt vmcnt(23)
	v_lshlrev_b32_e32 v12, 16, v132
	v_add_co_u32_e32 v108, vcc, s12, v117
	s_cselect_b32 s12, s9, s11
	s_waitcnt lgkmcnt(0)
	v_fmac_f32_e32 v119, v24, v12
	global_load_ushort v24, v[72:73], off
	global_load_ushort v45, v[74:75], off
	v_mov_b32_e32 v106, s13
	s_ashr_i32 s13, s12, 31
	s_waitcnt vmcnt(24)
	v_lshlrev_b32_e32 v12, 16, v133
	s_lshl_b64 s[12:13], s[12:13], 1
	s_add_i32 s9, s4, 0xfffffc00
	v_fmac_f32_e32 v119, v25, v12
	global_load_ushort v25, v[76:77], off
	v_addc_co_u32_e32 v109, vcc, v118, v106, vcc
	s_cmp_lt_i32 s9, s10
	v_add_co_u32_e32 v106, vcc, s12, v117
	s_cselect_b32 s12, s9, s11
	s_waitcnt vmcnt(24)
	v_lshlrev_b32_e32 v12, 16, v134
	v_mov_b32_e32 v107, s13
	s_ashr_i32 s13, s12, 31
	v_fmac_f32_e32 v119, v26, v12
	global_load_ushort v26, v[78:79], off
	s_waitcnt vmcnt(24)
	v_lshlrev_b32_e32 v12, 16, v135
	s_lshl_b64 s[12:13], s[12:13], 1
	s_add_i32 s9, s4, 0xfffffc80
	v_fmac_f32_e32 v119, v27, v12
	ds_read_b128 v[12:15], v35 offset:64
	ds_read_b128 v[16:19], v35 offset:80
	v_addc_co_u32_e32 v107, vcc, v118, v107, vcc
	s_cmp_lt_i32 s9, s10
	global_load_ushort v46, v[80:81], off
	global_load_ushort v27, v[82:83], off
	;; [unrolled: 1-line block ×4, first 2 shown]
	v_add_co_u32_e32 v112, vcc, s12, v117
	s_cselect_b32 s12, s9, s11
	v_mov_b32_e32 v110, s13
	s_ashr_i32 s13, s12, 31
	s_lshl_b64 s[12:13], s[12:13], 1
	s_add_i32 s9, s4, 0xfffffd00
	s_waitcnt vmcnt(27)
	v_lshlrev_b32_e32 v28, 16, v28
	v_addc_co_u32_e32 v113, vcc, v118, v110, vcc
	s_cmp_lt_i32 s9, s10
	s_waitcnt lgkmcnt(1)
	v_fmac_f32_e32 v119, v12, v28
	global_load_ushort v28, v[88:89], off
	v_add_co_u32_e32 v110, vcc, s12, v117
	s_cselect_b32 s12, s9, s11
	s_waitcnt vmcnt(27)
	v_lshlrev_b32_e32 v12, 16, v29
	global_load_ushort v29, v[90:91], off
	global_load_ushort v49, v[92:93], off
	v_mov_b32_e32 v111, s13
	s_ashr_i32 s13, s12, 31
	s_lshl_b64 s[12:13], s[12:13], 1
	s_add_i32 s9, s4, 0xfffffd80
	v_addc_co_u32_e32 v111, vcc, v118, v111, vcc
	s_cmp_lt_i32 s9, s10
	v_add_co_u32_e32 v114, vcc, s12, v117
	s_cselect_b32 s12, s9, s11
	v_mov_b32_e32 v115, s13
	s_ashr_i32 s13, s12, 31
	v_fmac_f32_e32 v119, v13, v12
	s_waitcnt vmcnt(28)
	v_lshlrev_b32_e32 v12, 16, v30
	global_load_ushort v30, v[94:95], off
	s_lshl_b64 s[12:13], s[12:13], 1
	s_add_i32 s9, s4, 0xfffffe00
	v_fmac_f32_e32 v119, v14, v12
	s_waitcnt vmcnt(28)
	v_lshlrev_b32_e32 v12, 16, v31
	global_load_ushort v31, v[96:97], off
	v_addc_co_u32_e32 v115, vcc, v118, v115, vcc
	s_cmp_lt_i32 s9, s10
	v_fmac_f32_e32 v119, v15, v12
	s_waitcnt vmcnt(28)
	v_lshlrev_b32_e32 v12, 16, v32
	global_load_ushort v32, v[98:99], off
	global_load_ushort v50, v[100:101], off
	v_add_co_u32_e32 v0, vcc, s12, v117
	s_cselect_b32 s12, s9, s11
	v_mov_b32_e32 v2, s13
	s_ashr_i32 s13, s12, 31
	s_lshl_b64 s[12:13], s[12:13], 1
	s_add_i32 s9, s4, 0xfffffe80
	s_waitcnt lgkmcnt(0)
	v_fmac_f32_e32 v119, v16, v12
	s_waitcnt vmcnt(29)
	v_lshlrev_b32_e32 v12, 16, v33
	global_load_ushort v33, v[102:103], off
	global_load_ushort v51, v[104:105], off
	;; [unrolled: 1-line block ×3, first 2 shown]
	v_addc_co_u32_e32 v1, vcc, v118, v2, vcc
	s_cmp_lt_i32 s9, s10
	v_add_co_u32_e32 v2, vcc, s12, v117
	s_cselect_b32 s12, s9, s11
	v_mov_b32_e32 v3, s13
	s_ashr_i32 s13, s12, 31
	v_fmac_f32_e32 v119, v17, v12
	s_waitcnt vmcnt(31)
	v_lshlrev_b32_e32 v12, 16, v36
	global_load_ushort v36, v[106:107], off
	global_load_ushort v53, v[112:113], off
	s_lshl_b64 s[12:13], s[12:13], 1
	s_add_i32 s9, s4, 0xffffff00
	v_addc_co_u32_e32 v3, vcc, v118, v3, vcc
	s_cmp_lt_i32 s9, s10
	v_fmac_f32_e32 v119, v18, v12
	s_waitcnt vmcnt(32)
	v_lshlrev_b32_e32 v12, 16, v37
	v_add_co_u32_e32 v4, vcc, s12, v117
	s_cselect_b32 s12, s9, s11
	v_fmac_f32_e32 v119, v19, v12
	ds_read_b128 v[12:15], v35 offset:96
	v_mov_b32_e32 v5, s13
	s_ashr_i32 s13, s12, 31
	s_lshl_b64 s[12:13], s[12:13], 1
	s_add_i32 s9, s4, 0xffffff80
	v_addc_co_u32_e32 v5, vcc, v118, v5, vcc
	s_cmp_lt_i32 s9, s10
	global_load_ushort v37, v[110:111], off
	global_load_ushort v54, v[114:115], off
	v_add_co_u32_e32 v8, vcc, s12, v117
	s_cselect_b32 s12, s9, s11
	s_waitcnt vmcnt(33)
	v_lshlrev_b32_e32 v34, 16, v34
	v_mov_b32_e32 v6, s13
	s_ashr_i32 s13, s12, 31
	s_waitcnt lgkmcnt(0)
	v_fmac_f32_e32 v119, v12, v34
	s_waitcnt vmcnt(32)
	v_lshlrev_b32_e32 v12, 16, v38
	s_lshl_b64 s[12:13], s[12:13], 1
	ds_read_b128 v[16:19], v35 offset:112
	v_fmac_f32_e32 v119, v13, v12
	global_load_ushort v12, v[0:1], off
	global_load_ushort v13, v[2:3], off
	v_addc_co_u32_e32 v9, vcc, v118, v6, vcc
	s_cmp_lt_i32 s4, s10
	v_add_co_u32_e32 v6, vcc, s12, v117
	s_cselect_b32 s12, s4, s11
	s_waitcnt vmcnt(33)
	v_lshlrev_b32_e32 v0, 16, v39
	v_mov_b32_e32 v7, s13
	s_ashr_i32 s13, s12, 31
	v_fmac_f32_e32 v119, v14, v0
	global_load_ushort v14, v[4:5], off
	global_load_ushort v34, v[8:9], off
	v_addc_co_u32_e32 v7, vcc, v118, v7, vcc
	s_lshl_b64 s[12:13], s[12:13], 1
	s_waitcnt vmcnt(34)
	v_lshlrev_b32_e32 v0, 16, v40
	v_mov_b32_e32 v11, s13
	v_add_co_u32_e32 v10, vcc, s12, v117
	v_fmac_f32_e32 v119, v15, v0
	s_waitcnt vmcnt(33)
	v_lshlrev_b32_e32 v0, 16, v41
	v_addc_co_u32_e32 v11, vcc, v118, v11, vcc
	s_waitcnt lgkmcnt(0)
	v_fmac_f32_e32 v119, v16, v0
	global_load_ushort v15, v[6:7], off
	global_load_ushort v16, v[10:11], off
	s_waitcnt vmcnt(34)
	v_lshlrev_b32_e32 v0, 16, v42
	v_fmac_f32_e32 v119, v17, v0
	s_waitcnt vmcnt(33)
	v_lshlrev_b32_e32 v0, 16, v20
	v_fmac_f32_e32 v119, v18, v0
	ds_read_b128 v[0:3], v35 offset:128
	s_waitcnt vmcnt(32)
	v_lshlrev_b32_e32 v4, 16, v21
	v_fmac_f32_e32 v119, v19, v4
	ds_read_b128 v[4:7], v35 offset:144
	s_waitcnt vmcnt(31)
	v_lshlrev_b32_e32 v8, 16, v43
	s_waitcnt lgkmcnt(1)
	v_fmac_f32_e32 v119, v0, v8
	s_waitcnt vmcnt(30)
	v_lshlrev_b32_e32 v0, 16, v22
	v_fmac_f32_e32 v119, v1, v0
	s_waitcnt vmcnt(29)
	v_lshlrev_b32_e32 v0, 16, v23
	;; [unrolled: 3-line block ×4, first 2 shown]
	s_waitcnt lgkmcnt(0)
	v_fmac_f32_e32 v119, v4, v0
	s_waitcnt vmcnt(26)
	v_lshlrev_b32_e32 v0, 16, v45
	v_fmac_f32_e32 v119, v5, v0
	s_waitcnt vmcnt(25)
	v_lshlrev_b32_e32 v0, 16, v25
	v_fmac_f32_e32 v119, v6, v0
	ds_read_b128 v[0:3], v35 offset:160
	s_waitcnt vmcnt(24)
	v_lshlrev_b32_e32 v4, 16, v26
	v_fmac_f32_e32 v119, v7, v4
	ds_read_b128 v[4:7], v35 offset:176
	s_waitcnt vmcnt(23)
	v_lshlrev_b32_e32 v8, 16, v46
	s_waitcnt lgkmcnt(1)
	v_fmac_f32_e32 v119, v0, v8
	s_waitcnt vmcnt(22)
	v_lshlrev_b32_e32 v0, 16, v27
	v_fmac_f32_e32 v119, v1, v0
	s_waitcnt vmcnt(21)
	v_lshlrev_b32_e32 v0, 16, v47
	;; [unrolled: 3-line block ×4, first 2 shown]
	s_waitcnt lgkmcnt(0)
	v_fmac_f32_e32 v119, v4, v0
	s_waitcnt vmcnt(18)
	v_lshlrev_b32_e32 v0, 16, v29
	v_fmac_f32_e32 v119, v5, v0
	s_waitcnt vmcnt(17)
	v_lshlrev_b32_e32 v0, 16, v49
	v_fmac_f32_e32 v119, v6, v0
	ds_read_b128 v[0:3], v35 offset:192
	s_waitcnt vmcnt(16)
	v_lshlrev_b32_e32 v4, 16, v30
	v_fmac_f32_e32 v119, v7, v4
	ds_read_b128 v[4:7], v35 offset:208
	s_waitcnt vmcnt(15)
	v_lshlrev_b32_e32 v8, 16, v31
	s_waitcnt lgkmcnt(1)
	v_fmac_f32_e32 v119, v0, v8
	s_waitcnt vmcnt(14)
	v_lshlrev_b32_e32 v0, 16, v32
	v_fmac_f32_e32 v119, v1, v0
	s_waitcnt vmcnt(13)
	v_lshlrev_b32_e32 v0, 16, v50
	;; [unrolled: 3-line block ×4, first 2 shown]
	v_lshlrev_b32_e32 v0, 16, v51
	s_waitcnt lgkmcnt(0)
	v_pk_mul_f32 v[0:1], v[4:5], v[0:1]
	v_add_f32_e32 v0, v119, v0
	v_add_f32_e32 v2, v0, v1
	s_waitcnt vmcnt(8)
	v_lshlrev_b32_e32 v1, 16, v53
	v_lshlrev_b32_e32 v0, 16, v36
	v_pk_mul_f32 v[4:5], v[6:7], v[0:1]
	v_add_f32_e32 v4, v2, v4
	ds_read_b128 v[0:3], v35 offset:224
	s_waitcnt vmcnt(6)
	v_lshlrev_b32_e32 v9, 16, v54
	v_lshlrev_b32_e32 v8, 16, v37
	v_add_f32_e32 v10, v4, v5
	ds_read_b128 v[4:7], v35 offset:240
	s_waitcnt lgkmcnt(1)
	v_pk_mul_f32 v[0:1], v[0:1], v[8:9]
	v_add_f32_e32 v0, v10, v0
	v_add_f32_e32 v8, v0, v1
	s_waitcnt vmcnt(4)
	v_lshlrev_b32_e32 v1, 16, v13
	v_lshlrev_b32_e32 v0, 16, v12
	v_pk_mul_f32 v[0:1], v[2:3], v[0:1]
	v_add_f32_e32 v0, v8, v0
	v_add_f32_e32 v2, v0, v1
	s_waitcnt vmcnt(2)
	v_lshlrev_b32_e32 v1, 16, v34
	v_lshlrev_b32_e32 v0, 16, v14
	s_waitcnt lgkmcnt(0)
	v_pk_mul_f32 v[0:1], v[4:5], v[0:1]
	v_add_f32_e32 v0, v2, v0
	v_add_f32_e32 v2, v0, v1
	s_waitcnt vmcnt(1)
	v_lshlrev_b32_e32 v0, 16, v15
	s_waitcnt vmcnt(0)
	v_lshlrev_b32_e32 v1, 16, v16
	v_pk_mul_f32 v[0:1], v[6:7], v[0:1]
	v_add_f32_e32 v0, v2, v0
	v_add_f32_e32 v119, v0, v1
	s_branch .LBB316_16
.LBB316_19:
	v_mov_b32_e32 v0, 0
	ds_read_b32 v0, v0 offset:2304
	s_cmp_lg_u64 s[2:3], 0
	s_cbranch_scc0 .LBB316_28
; %bb.20:
	s_load_dword s4, s[2:3], 0x0
	s_waitcnt lgkmcnt(0)
	v_div_scale_f32 v1, s[2:3], s4, s4, 1.0
	v_rcp_f32_e32 v2, v1
	v_div_scale_f32 v3, vcc, 1.0, s4, 1.0
	v_fma_f32 v4, -v1, v2, 1.0
	v_fmac_f32_e32 v2, v4, v2
	v_mul_f32_e32 v4, v3, v2
	v_fma_f32 v5, -v1, v4, v3
	v_fmac_f32_e32 v4, v5, v2
	v_fma_f32 v1, -v1, v4, v3
	v_div_fmas_f32 v1, v1, v2, v4
	v_div_fixup_f32 v1, v1, s4, 1.0
	s_andn2_b64 vcc, exec, s[36:37]
	s_cbranch_vccnz .LBB316_22
.LBB316_21:
	s_add_u32 s2, s34, s38
	s_addc_u32 s3, s35, s39
	s_load_dword s22, s[2:3], 0x0
	s_mov_b32 s23, 0
.LBB316_22:
	s_waitcnt lgkmcnt(0)
	v_add_f32_e32 v0, 0x358637bd, v0
	v_div_scale_f32 v2, s[2:3], v0, v0, 1.0
	v_rcp_f32_e32 v3, v2
	v_div_scale_f32 v4, vcc, 1.0, v0, 1.0
	s_mov_b32 s2, 0x7f800000
	v_fma_f32 v5, -v2, v3, 1.0
	v_fmac_f32_e32 v3, v5, v3
	v_mul_f32_e32 v5, v4, v3
	v_fma_f32 v6, -v2, v5, v4
	v_fmac_f32_e32 v5, v6, v3
	v_fma_f32 v2, -v2, v5, v4
	v_div_fmas_f32 v2, v2, v3, v5
	v_div_fixup_f32 v0, v2, v0, 1.0
	v_mul_f32_e32 v0, v119, v0
	v_mul_f32_e32 v1, v0, v1
	v_and_b32_e32 v0, 0x7f800000, v1
	v_cmp_ne_u32_e32 vcc, s2, v0
                                        ; implicit-def: $vgpr0
	s_and_saveexec_b64 s[2:3], vcc
	s_xor_b64 s[2:3], exec, s[2:3]
; %bb.23:
	v_bfe_u32 v0, v1, 16, 1
	s_movk_i32 s4, 0x7fff
	v_add3_u32 v0, v1, v0, s4
                                        ; implicit-def: $vgpr1
; %bb.24:
	s_andn2_saveexec_b64 s[2:3], s[2:3]
; %bb.25:
	v_mov_b32_e32 v0, 0
	v_or_b32_e32 v2, 0x10000, v1
	v_cmp_eq_u32_sdwa vcc, v1, v0 src0_sel:WORD_0 src1_sel:DWORD
	v_cndmask_b32_e32 v0, v2, v1, vcc
; %bb.26:
	s_or_b64 exec, exec, s[2:3]
	s_mul_i32 s2, s7, s23
	s_mul_hi_u32 s3, s7, s22
	s_add_i32 s3, s3, s2
	s_mul_i32 s2, s7, s22
	s_lshl_b64 s[2:3], s[2:3], 8
	s_add_u32 s2, s0, s2
	s_mov_b32 s7, 0
	s_addc_u32 s3, s1, s3
	s_lshl_b64 s[0:1], s[6:7], 8
	s_add_u32 s0, s2, s0
	s_addc_u32 s1, s3, s1
	global_store_short_d16_hi v116, v0, s[0:1]
	s_endpgm
.LBB316_27:
	s_mov_b64 s[2:3], 0
	s_branch .LBB316_2
.LBB316_28:
	v_mov_b32_e32 v1, 1.0
	s_andn2_b64 vcc, exec, s[36:37]
	s_cbranch_vccz .LBB316_21
	s_branch .LBB316_22
	.section	.rodata,"a",@progbits
	.p2align	6, 0x0
	.amdhsa_kernel _Z35paged_attention_ll4mi_reduce_kernelI14__hip_bfloat16S0_Li128ELi128ELi256ELi9EEvPT0_PKfS4_PKT_PKiS9_iS4_
		.amdhsa_group_segment_fixed_size 2308
		.amdhsa_private_segment_fixed_size 0
		.amdhsa_kernarg_size 320
		.amdhsa_user_sgpr_count 6
		.amdhsa_user_sgpr_private_segment_buffer 1
		.amdhsa_user_sgpr_dispatch_ptr 0
		.amdhsa_user_sgpr_queue_ptr 0
		.amdhsa_user_sgpr_kernarg_segment_ptr 1
		.amdhsa_user_sgpr_dispatch_id 0
		.amdhsa_user_sgpr_flat_scratch_init 0
		.amdhsa_user_sgpr_kernarg_preload_length 0
		.amdhsa_user_sgpr_kernarg_preload_offset 0
		.amdhsa_user_sgpr_private_segment_size 0
		.amdhsa_uses_dynamic_stack 0
		.amdhsa_system_sgpr_private_segment_wavefront_offset 0
		.amdhsa_system_sgpr_workgroup_id_x 1
		.amdhsa_system_sgpr_workgroup_id_y 1
		.amdhsa_system_sgpr_workgroup_id_z 0
		.amdhsa_system_sgpr_workgroup_info 0
		.amdhsa_system_vgpr_workitem_id 0
		.amdhsa_next_free_vgpr 136
		.amdhsa_next_free_sgpr 47
		.amdhsa_accum_offset 136
		.amdhsa_reserve_vcc 1
		.amdhsa_reserve_flat_scratch 0
		.amdhsa_float_round_mode_32 0
		.amdhsa_float_round_mode_16_64 0
		.amdhsa_float_denorm_mode_32 3
		.amdhsa_float_denorm_mode_16_64 3
		.amdhsa_dx10_clamp 1
		.amdhsa_ieee_mode 1
		.amdhsa_fp16_overflow 0
		.amdhsa_tg_split 0
		.amdhsa_exception_fp_ieee_invalid_op 0
		.amdhsa_exception_fp_denorm_src 0
		.amdhsa_exception_fp_ieee_div_zero 0
		.amdhsa_exception_fp_ieee_overflow 0
		.amdhsa_exception_fp_ieee_underflow 0
		.amdhsa_exception_fp_ieee_inexact 0
		.amdhsa_exception_int_div_zero 0
	.end_amdhsa_kernel
	.section	.text._Z35paged_attention_ll4mi_reduce_kernelI14__hip_bfloat16S0_Li128ELi128ELi256ELi9EEvPT0_PKfS4_PKT_PKiS9_iS4_,"axG",@progbits,_Z35paged_attention_ll4mi_reduce_kernelI14__hip_bfloat16S0_Li128ELi128ELi256ELi9EEvPT0_PKfS4_PKT_PKiS9_iS4_,comdat
.Lfunc_end316:
	.size	_Z35paged_attention_ll4mi_reduce_kernelI14__hip_bfloat16S0_Li128ELi128ELi256ELi9EEvPT0_PKfS4_PKT_PKiS9_iS4_, .Lfunc_end316-_Z35paged_attention_ll4mi_reduce_kernelI14__hip_bfloat16S0_Li128ELi128ELi256ELi9EEvPT0_PKfS4_PKT_PKiS9_iS4_
                                        ; -- End function
	.section	.AMDGPU.csdata,"",@progbits
; Kernel info:
; codeLenInByte = 10752
; NumSgprs: 51
; NumVgprs: 136
; NumAgprs: 0
; TotalNumVgprs: 136
; ScratchSize: 0
; MemoryBound: 0
; FloatMode: 240
; IeeeMode: 1
; LDSByteSize: 2308 bytes/workgroup (compile time only)
; SGPRBlocks: 6
; VGPRBlocks: 16
; NumSGPRsForWavesPerEU: 51
; NumVGPRsForWavesPerEU: 136
; AccumOffset: 136
; Occupancy: 3
; WaveLimiterHint : 1
; COMPUTE_PGM_RSRC2:SCRATCH_EN: 0
; COMPUTE_PGM_RSRC2:USER_SGPR: 6
; COMPUTE_PGM_RSRC2:TRAP_HANDLER: 0
; COMPUTE_PGM_RSRC2:TGID_X_EN: 1
; COMPUTE_PGM_RSRC2:TGID_Y_EN: 1
; COMPUTE_PGM_RSRC2:TGID_Z_EN: 0
; COMPUTE_PGM_RSRC2:TIDIG_COMP_CNT: 0
; COMPUTE_PGM_RSRC3_GFX90A:ACCUM_OFFSET: 33
; COMPUTE_PGM_RSRC3_GFX90A:TG_SPLIT: 0
	.section	.text._Z35paged_attention_ll4mi_reduce_kernelI14__hip_bfloat16S0_Li128ELi128ELi256ELi10EEvPT0_PKfS4_PKT_PKiS9_iS4_,"axG",@progbits,_Z35paged_attention_ll4mi_reduce_kernelI14__hip_bfloat16S0_Li128ELi128ELi256ELi10EEvPT0_PKfS4_PKT_PKiS9_iS4_,comdat
	.protected	_Z35paged_attention_ll4mi_reduce_kernelI14__hip_bfloat16S0_Li128ELi128ELi256ELi10EEvPT0_PKfS4_PKT_PKiS9_iS4_ ; -- Begin function _Z35paged_attention_ll4mi_reduce_kernelI14__hip_bfloat16S0_Li128ELi128ELi256ELi10EEvPT0_PKfS4_PKT_PKiS9_iS4_
	.globl	_Z35paged_attention_ll4mi_reduce_kernelI14__hip_bfloat16S0_Li128ELi128ELi256ELi10EEvPT0_PKfS4_PKT_PKiS9_iS4_
	.p2align	8
	.type	_Z35paged_attention_ll4mi_reduce_kernelI14__hip_bfloat16S0_Li128ELi128ELi256ELi10EEvPT0_PKfS4_PKT_PKiS9_iS4_,@function
_Z35paged_attention_ll4mi_reduce_kernelI14__hip_bfloat16S0_Li128ELi128ELi256ELi10EEvPT0_PKfS4_PKT_PKiS9_iS4_: ; @_Z35paged_attention_ll4mi_reduce_kernelI14__hip_bfloat16S0_Li128ELi128ELi256ELi10EEvPT0_PKfS4_PKT_PKiS9_iS4_
; %bb.0:
	s_load_dwordx2 s[36:37], s[4:5], 0x28
	s_mov_b32 s34, s7
	s_mov_b64 s[0:1], 0
	s_waitcnt lgkmcnt(0)
	s_cmp_lg_u64 s[36:37], 0
	s_cselect_b64 s[38:39], -1, 0
	s_and_b64 vcc, exec, s[38:39]
	s_cbranch_vccz .LBB317_27
; %bb.1:
	s_add_i32 s2, s34, 1
	s_mov_b32 s3, 0
	s_lshl_b64 s[8:9], s[2:3], 2
	s_add_u32 s8, s36, s8
	s_mov_b32 s35, s3
	s_addc_u32 s9, s37, s9
	s_lshl_b64 s[2:3], s[34:35], 2
	s_add_u32 s2, s36, s2
	s_addc_u32 s3, s37, s3
	s_load_dword s7, s[8:9], 0x0
	s_load_dword s10, s[2:3], 0x0
	s_waitcnt lgkmcnt(0)
	s_sub_i32 s2, s7, s10
	s_cmp_eq_u32 s2, 1
	s_cselect_b64 s[2:3], -1, 0
	s_andn2_b64 vcc, exec, s[0:1]
	s_cbranch_vccnz .LBB317_3
.LBB317_2:
	s_mov_b32 s35, 0
	s_mov_b64 s[2:3], -1
.LBB317_3:
	s_andn2_b64 vcc, exec, s[2:3]
	s_cbranch_vccz .LBB317_5
; %bb.4:
	s_endpgm
.LBB317_5:
	s_load_dwordx4 s[24:27], s[4:5], 0x18
	s_load_dword s8, s[4:5], 0x30
	s_lshl_b64 s[40:41], s[34:35], 2
	v_cmp_lt_u32_e32 vcc, 63, v0
	s_waitcnt lgkmcnt(0)
	s_add_u32 s0, s26, s40
	s_addc_u32 s1, s27, s41
	s_load_dword s48, s[0:1], 0x0
	s_load_dword s7, s[4:5], 0x40
	s_mul_i32 s26, s6, s8
	s_mul_i32 s2, s34, s8
	s_waitcnt lgkmcnt(0)
	s_add_i32 s3, s48, 0xff
	s_ashr_i32 s0, s3, 31
	s_lshr_b32 s0, s0, 24
	s_add_i32 s3, s3, s0
	s_and_saveexec_b64 s[0:1], vcc
	s_xor_b64 s[0:1], exec, s[0:1]
	s_or_saveexec_b64 s[42:43], s[0:1]
	s_ashr_i32 s33, s3, 8
	v_mov_b32_e32 v1, s26
	s_mul_i32 s44, s2, s7
	s_xor_b64 exec, exec, s[42:43]
	s_cbranch_execz .LBB317_9
; %bb.6:
	s_add_i32 s0, s33, -1
	v_or_b32_e32 v3, 64, v0
	v_mov_b32_e32 v1, s0
	v_cmp_gt_u32_e64 s[18:19], s33, v3
	v_cndmask_b32_e64 v4, v1, v3, s[18:19]
	v_or_b32_e32 v3, 0x80, v0
	v_cmp_gt_u32_e64 s[16:17], s33, v3
	v_cndmask_b32_e64 v6, v1, v3, s[16:17]
	v_or_b32_e32 v3, 0xc0, v0
	;; [unrolled: 3-line block ×5, first 2 shown]
	s_load_dwordx4 s[28:31], s[4:5], 0x8
	v_cmp_gt_u32_e64 s[8:9], s33, v3
	v_cndmask_b32_e64 v14, v1, v3, s[8:9]
	v_or_b32_e32 v3, 0x1c0, v0
	v_cmp_gt_u32_e64 s[2:3], s33, v3
	s_mov_b32 s45, 0
	v_cndmask_b32_e64 v16, v1, v3, s[2:3]
	v_or_b32_e32 v3, 0x200, v0
	v_cmp_gt_u32_e64 s[0:1], s33, v3
	s_lshl_b64 s[46:47], s[44:45], 2
	s_mov_b32 s27, s45
	v_cmp_gt_u32_e64 s[20:21], s33, v0
	v_cndmask_b32_e64 v18, v1, v3, s[0:1]
	v_or_b32_e32 v3, 0x240, v0
	s_waitcnt lgkmcnt(0)
	s_add_u32 s22, s30, s46
	v_cndmask_b32_e64 v2, v1, v0, s[20:21]
	v_cmp_gt_u32_e32 vcc, s33, v3
	s_addc_u32 s23, s31, s47
	s_lshl_b64 s[30:31], s[26:27], 2
	v_cndmask_b32_e32 v20, v1, v3, vcc
	s_add_u32 s27, s22, s30
	v_ashrrev_i32_e32 v3, 31, v2
	s_addc_u32 s45, s23, s31
	v_lshlrev_b64 v[2:3], 2, v[2:3]
	v_mov_b32_e32 v1, s45
	v_add_co_u32_e64 v22, s[22:23], s27, v2
	v_ashrrev_i32_e32 v5, 31, v4
	v_addc_co_u32_e64 v23, s[22:23], v1, v3, s[22:23]
	v_lshlrev_b64 v[4:5], 2, v[4:5]
	v_add_co_u32_e64 v24, s[22:23], s27, v4
	v_ashrrev_i32_e32 v7, 31, v6
	v_addc_co_u32_e64 v25, s[22:23], v1, v5, s[22:23]
	v_lshlrev_b64 v[6:7], 2, v[6:7]
	;; [unrolled: 4-line block ×8, first 2 shown]
	global_load_dword v1, v[22:23], off
	global_load_dword v38, v[24:25], off
	s_nop 0
	global_load_dword v26, v[26:27], off
	s_nop 0
	;; [unrolled: 2-line block ×3, first 2 shown]
	global_load_dword v28, v[30:31], off
	global_load_dword v29, v[32:33], off
	s_nop 0
	global_load_dword v30, v[34:35], off
	global_load_dword v31, v[36:37], off
	v_mov_b32_e32 v21, s45
	v_add_co_u32_e64 v22, s[22:23], s27, v18
	v_addc_co_u32_e64 v23, s[22:23], v21, v19, s[22:23]
	v_ashrrev_i32_e32 v21, 31, v20
	v_lshlrev_b64 v[20:21], 2, v[20:21]
	v_mov_b32_e32 v25, s45
	v_add_co_u32_e64 v24, s[22:23], s27, v20
	v_addc_co_u32_e64 v25, s[22:23], v25, v21, s[22:23]
	global_load_dword v22, v[22:23], off
	s_nop 0
	global_load_dword v23, v[24:25], off
	s_waitcnt vmcnt(9)
	v_max_f32_e32 v25, v1, v1
	s_waitcnt vmcnt(8)
	v_max_f32_e32 v24, v38, v38
	v_max_f32_e32 v24, v25, v24
	v_mbcnt_lo_u32_b32 v25, -1, 0
	v_mbcnt_hi_u32_b32 v25, -1, v25
	v_and_b32_e32 v32, 64, v25
	s_waitcnt vmcnt(6)
	v_max3_f32 v24, v24, v26, v27
	v_add_u32_e32 v32, 64, v32
	v_xor_b32_e32 v33, 32, v25
	s_waitcnt vmcnt(4)
	v_max3_f32 v24, v24, v28, v29
	v_cmp_lt_i32_e64 s[22:23], v33, v32
	s_waitcnt vmcnt(2)
	v_max3_f32 v24, v24, v30, v31
	v_cndmask_b32_e64 v33, v25, v33, s[22:23]
	v_lshlrev_b32_e32 v33, 2, v33
	s_waitcnt vmcnt(0)
	v_max3_f32 v24, v24, v22, v23
	ds_bpermute_b32 v34, v33, v24
	s_waitcnt lgkmcnt(0)
	v_max_f32_e32 v34, v34, v34
	v_max_f32_e32 v24, v24, v34
	v_xor_b32_e32 v34, 16, v25
	v_cmp_lt_i32_e64 s[22:23], v34, v32
	v_cndmask_b32_e64 v34, v25, v34, s[22:23]
	v_lshlrev_b32_e32 v34, 2, v34
	ds_bpermute_b32 v35, v34, v24
	s_waitcnt lgkmcnt(0)
	v_max_f32_e32 v35, v35, v35
	v_max_f32_e32 v24, v24, v35
	v_xor_b32_e32 v35, 8, v25
	v_cmp_lt_i32_e64 s[22:23], v35, v32
	v_cndmask_b32_e64 v35, v25, v35, s[22:23]
	v_lshlrev_b32_e32 v35, 2, v35
	;; [unrolled: 8-line block ×4, first 2 shown]
	ds_bpermute_b32 v39, v37, v24
	s_waitcnt lgkmcnt(0)
	v_max_f32_e32 v39, v39, v39
	v_max_f32_e32 v24, v24, v39
	v_xor_b32_e32 v39, 1, v25
	v_cmp_lt_i32_e64 s[22:23], v39, v32
	v_cndmask_b32_e64 v25, v25, v39, s[22:23]
	s_add_u32 s22, s28, s46
	s_addc_u32 s23, s29, s47
	s_add_u32 s28, s22, s30
	s_addc_u32 s27, s23, s31
	v_mov_b32_e32 v39, s27
	v_add_co_u32_e64 v2, s[22:23], s28, v2
	v_addc_co_u32_e64 v3, s[22:23], v39, v3, s[22:23]
	v_add_co_u32_e64 v4, s[22:23], s28, v4
	v_addc_co_u32_e64 v5, s[22:23], v39, v5, s[22:23]
	global_load_dword v39, v[2:3], off
	global_load_dword v40, v[4:5], off
	v_mov_b32_e32 v3, s27
	v_add_co_u32_e64 v2, s[22:23], s28, v6
	v_addc_co_u32_e64 v3, s[22:23], v3, v7, s[22:23]
	v_mov_b32_e32 v5, s27
	v_add_co_u32_e64 v4, s[22:23], s28, v8
	v_addc_co_u32_e64 v5, s[22:23], v5, v9, s[22:23]
	;; [unrolled: 3-line block ×6, first 2 shown]
	global_load_dword v14, v[2:3], off
	global_load_dword v15, v[4:5], off
	;; [unrolled: 1-line block ×6, first 2 shown]
	v_lshlrev_b32_e32 v25, 2, v25
	ds_bpermute_b32 v32, v25, v24
	v_mov_b32_e32 v3, s27
	v_mov_b32_e32 v5, s27
	s_mov_b32 s27, 0x3fb8aa3b
	v_add_co_u32_e64 v2, s[22:23], s28, v18
	s_waitcnt lgkmcnt(0)
	v_max_f32_e32 v4, v32, v32
	v_max_f32_e32 v6, v24, v4
	v_sub_f32_e32 v1, v1, v6
	v_mul_f32_e32 v4, 0x3fb8aa3b, v1
	v_fma_f32 v7, v1, s27, -v4
	v_rndne_f32_e32 v8, v4
	v_fmac_f32_e32 v7, 0x32a5705f, v1
	v_sub_f32_e32 v4, v4, v8
	v_add_f32_e32 v4, v4, v7
	v_addc_co_u32_e64 v3, s[22:23], v3, v19, s[22:23]
	v_exp_f32_e32 v7, v4
	v_cvt_i32_f32_e32 v8, v8
	v_add_co_u32_e64 v4, s[22:23], s28, v20
	v_addc_co_u32_e64 v5, s[22:23], v5, v21, s[22:23]
	global_load_dword v9, v[2:3], off
	global_load_dword v10, v[4:5], off
	v_sub_f32_e32 v4, v38, v6
	v_mul_f32_e32 v5, 0x3fb8aa3b, v4
	v_ldexp_f32 v2, v7, v8
	v_fma_f32 v7, v4, s27, -v5
	v_rndne_f32_e32 v8, v5
	v_fmac_f32_e32 v7, 0x32a5705f, v4
	v_sub_f32_e32 v5, v5, v8
	v_add_f32_e32 v5, v5, v7
	v_exp_f32_e32 v5, v5
	v_cvt_i32_f32_e32 v7, v8
	s_mov_b32 s28, 0xc2ce8ed0
	v_cmp_ngt_f32_e64 s[22:23], s28, v1
	s_mov_b32 s29, 0x42b17218
	v_cndmask_b32_e64 v2, 0, v2, s[22:23]
	v_mov_b32_e32 v3, 0x7f800000
	v_cmp_nlt_f32_e64 s[22:23], s29, v1
	v_cndmask_b32_e64 v1, v3, v2, s[22:23]
	v_ldexp_f32 v2, v5, v7
	v_sub_f32_e32 v5, v26, v6
	v_mul_f32_e32 v7, 0x3fb8aa3b, v5
	v_fma_f32 v8, v5, s27, -v7
	v_rndne_f32_e32 v11, v7
	v_fmac_f32_e32 v8, 0x32a5705f, v5
	v_sub_f32_e32 v7, v7, v11
	v_add_f32_e32 v7, v7, v8
	v_exp_f32_e32 v7, v7
	v_cvt_i32_f32_e32 v8, v11
	v_cndmask_b32_e64 v1, 0, v1, s[20:21]
	v_cmp_ngt_f32_e64 s[20:21], s28, v4
	v_cndmask_b32_e64 v2, 0, v2, s[20:21]
	v_cmp_nlt_f32_e64 s[20:21], s29, v4
	v_ldexp_f32 v4, v7, v8
	v_sub_f32_e32 v7, v27, v6
	v_mul_f32_e32 v8, 0x3fb8aa3b, v7
	v_fma_f32 v11, v7, s27, -v8
	v_rndne_f32_e32 v12, v8
	v_fmac_f32_e32 v11, 0x32a5705f, v7
	v_sub_f32_e32 v8, v8, v12
	v_add_f32_e32 v8, v8, v11
	v_exp_f32_e32 v8, v8
	v_cvt_i32_f32_e32 v11, v12
	v_cndmask_b32_e64 v2, v3, v2, s[20:21]
	v_cndmask_b32_e64 v2, 0, v2, s[18:19]
	v_cmp_ngt_f32_e64 s[18:19], s28, v5
	v_cndmask_b32_e64 v4, 0, v4, s[18:19]
	v_cmp_nlt_f32_e64 s[18:19], s29, v5
	v_ldexp_f32 v5, v8, v11
	v_sub_f32_e32 v8, v28, v6
	v_mul_f32_e32 v11, 0x3fb8aa3b, v8
	v_fma_f32 v12, v8, s27, -v11
	v_rndne_f32_e32 v13, v11
	v_fmac_f32_e32 v12, 0x32a5705f, v8
	v_sub_f32_e32 v11, v11, v13
	v_add_f32_e32 v11, v11, v12
	v_exp_f32_e32 v11, v11
	v_cvt_i32_f32_e32 v12, v13
	v_cndmask_b32_e64 v4, v3, v4, s[18:19]
	v_cndmask_b32_e64 v4, 0, v4, s[16:17]
	v_cmp_ngt_f32_e64 s[16:17], s28, v7
	v_cndmask_b32_e64 v5, 0, v5, s[16:17]
	v_cmp_nlt_f32_e64 s[16:17], s29, v7
	v_ldexp_f32 v7, v11, v12
	v_sub_f32_e32 v11, v29, v6
	v_mul_f32_e32 v12, 0x3fb8aa3b, v11
	s_waitcnt vmcnt(7)
	v_mul_f32_e32 v4, v14, v4
	v_fma_f32 v13, v11, s27, -v12
	v_rndne_f32_e32 v14, v12
	v_fmac_f32_e32 v13, 0x32a5705f, v11
	v_sub_f32_e32 v12, v12, v14
	v_add_f32_e32 v12, v12, v13
	v_exp_f32_e32 v12, v12
	v_cvt_i32_f32_e32 v13, v14
	v_cndmask_b32_e64 v5, v3, v5, s[16:17]
	v_cndmask_b32_e64 v5, 0, v5, s[14:15]
	v_cmp_ngt_f32_e64 s[14:15], s28, v8
	v_cndmask_b32_e64 v7, 0, v7, s[14:15]
	v_cmp_nlt_f32_e64 s[14:15], s29, v8
	v_ldexp_f32 v8, v12, v13
	v_sub_f32_e32 v12, v30, v6
	v_mul_f32_e32 v13, 0x3fb8aa3b, v12
	s_waitcnt vmcnt(6)
	;; [unrolled: 17-line block ×4, first 2 shown]
	v_mul_f32_e32 v8, v17, v8
	v_fma_f32 v16, v14, s27, -v15
	v_rndne_f32_e32 v17, v15
	v_fmac_f32_e32 v16, 0x32a5705f, v14
	v_sub_f32_e32 v15, v15, v17
	v_add_f32_e32 v15, v15, v16
	v_exp_f32_e32 v15, v15
	v_cvt_i32_f32_e32 v16, v17
	v_cndmask_b32_e64 v11, v3, v11, s[10:11]
	v_cndmask_b32_e64 v11, 0, v11, s[8:9]
	v_cmp_ngt_f32_e64 s[8:9], s28, v13
	v_sub_f32_e32 v6, v23, v6
	v_cndmask_b32_e64 v12, 0, v12, s[8:9]
	v_cmp_nlt_f32_e64 s[8:9], s29, v13
	v_ldexp_f32 v13, v15, v16
	v_mul_f32_e32 v15, 0x3fb8aa3b, v6
	v_fma_f32 v16, v6, s27, -v15
	v_rndne_f32_e32 v17, v15
	v_fmac_f32_e32 v16, 0x32a5705f, v6
	v_sub_f32_e32 v15, v15, v17
	v_add_f32_e32 v15, v15, v16
	v_cndmask_b32_e64 v12, v3, v12, s[8:9]
	v_exp_f32_e32 v15, v15
	v_cvt_i32_f32_e32 v16, v17
	v_cndmask_b32_e64 v12, 0, v12, s[2:3]
	v_cmp_ngt_f32_e64 s[2:3], s28, v14
	v_cndmask_b32_e64 v13, 0, v13, s[2:3]
	v_cmp_nlt_f32_e64 s[2:3], s29, v14
	v_cndmask_b32_e64 v13, v3, v13, s[2:3]
	v_mul_f32_e32 v1, v39, v1
	v_mul_f32_e32 v2, v40, v2
	v_cndmask_b32_e64 v13, 0, v13, s[0:1]
	v_ldexp_f32 v14, v15, v16
	v_cmp_ngt_f32_e64 s[0:1], s28, v6
	v_cndmask_b32_e64 v14, 0, v14, s[0:1]
	v_cmp_nlt_f32_e64 s[0:1], s29, v6
	v_add_f32_e32 v6, v1, v2
	v_add_f32_e32 v6, v6, v4
	;; [unrolled: 1-line block ×5, first 2 shown]
	s_waitcnt vmcnt(3)
	v_fmac_f32_e32 v6, v41, v11
	v_cndmask_b32_e64 v3, v3, v14, s[0:1]
	s_waitcnt vmcnt(2)
	v_fmac_f32_e32 v6, v42, v12
	v_cndmask_b32_e32 v3, 0, v3, vcc
	s_waitcnt vmcnt(1)
	v_fmac_f32_e32 v6, v9, v13
	s_waitcnt vmcnt(0)
	v_fmac_f32_e32 v6, v10, v3
	ds_bpermute_b32 v14, v33, v6
	v_mul_f32_e32 v9, v9, v13
	v_mul_f32_e32 v3, v10, v3
	v_lshlrev_b32_e32 v10, 2, v0
	ds_write2st64_b32 v10, v1, v2 offset1:1
	ds_write2st64_b32 v10, v4, v5 offset0:2 offset1:3
	s_waitcnt lgkmcnt(2)
	v_add_f32_e32 v6, v6, v14
	ds_bpermute_b32 v14, v34, v6
	v_cmp_eq_u32_e32 vcc, 0, v0
	v_mul_f32_e32 v11, v41, v11
	v_mul_f32_e32 v12, v42, v12
	ds_write2st64_b32 v10, v7, v8 offset0:4 offset1:5
	ds_write2st64_b32 v10, v11, v12 offset0:6 offset1:7
	;; [unrolled: 1-line block ×3, first 2 shown]
	s_waitcnt lgkmcnt(3)
	v_add_f32_e32 v6, v6, v14
	ds_bpermute_b32 v14, v35, v6
	s_waitcnt lgkmcnt(0)
	v_add_f32_e32 v6, v6, v14
	ds_bpermute_b32 v14, v36, v6
	;; [unrolled: 3-line block ×4, first 2 shown]
	s_and_saveexec_b64 s[0:1], vcc
	s_cbranch_execz .LBB317_8
; %bb.7:
	s_waitcnt lgkmcnt(0)
	v_add_f32_e32 v1, v1, v2
	v_mov_b32_e32 v2, 0
	ds_write_b32 v2, v1 offset:2560
.LBB317_8:
	s_or_b64 exec, exec, s[0:1]
	v_mov_b32_e32 v1, s26
.LBB317_9:
	s_or_b64 exec, exec, s[42:43]
	s_lshl_b32 s0, s44, 7
	s_mov_b32 s1, 0
	s_lshl_b64 s[0:1], s[0:1], 1
	s_add_u32 s0, s24, s0
	s_addc_u32 s1, s25, s1
	s_lshl_b32 s10, s33, 7
	s_waitcnt lgkmcnt(0)
	v_lshlrev_b32_e32 v2, 7, v1
	v_mov_b32_e32 v3, 0
	s_add_i32 s11, s10, 0xffffff80
	v_lshlrev_b64 v[4:5], 1, v[2:3]
	s_cmp_lt_i32 s48, 1
	v_mov_b32_e32 v1, s1
	v_add_co_u32_e32 v2, vcc, s0, v4
	s_cselect_b32 s0, s11, 0
	v_addc_co_u32_e32 v1, vcc, v1, v5, vcc
	v_lshlrev_b32_e32 v116, 1, v0
	s_ashr_i32 s1, s0, 31
	v_add_co_u32_e32 v117, vcc, v2, v116
	s_lshl_b64 s[0:1], s[0:1], 1
	v_addc_co_u32_e32 v118, vcc, 0, v1, vcc
	s_cmpk_lt_i32 s48, 0x101
	v_add_co_u32_e32 v0, vcc, s0, v117
	s_cselect_b32 s0, s11, 0x80
	v_mov_b32_e32 v1, s1
	s_ashr_i32 s1, s0, 31
	s_lshl_b64 s[0:1], s[0:1], 1
	v_addc_co_u32_e32 v1, vcc, v118, v1, vcc
	s_cmpk_lt_i32 s48, 0x201
	v_add_co_u32_e32 v4, vcc, s0, v117
	s_cselect_b32 s0, s11, 0x100
	v_mov_b32_e32 v2, s1
	s_ashr_i32 s1, s0, 31
	;; [unrolled: 7-line block ×8, first 2 shown]
	s_lshl_b64 s[0:1], s[0:1], 1
	v_addc_co_u32_e32 v17, vcc, v118, v2, vcc
	s_cmpk_lt_i32 s48, 0x901
	global_load_ushort v40, v[0:1], off
	global_load_ushort v39, v[4:5], off
	;; [unrolled: 1-line block ×8, first 2 shown]
	v_add_co_u32_e32 v0, vcc, s0, v117
	s_cselect_b32 s0, s11, 0x480
	v_mov_b32_e32 v1, s1
	s_ashr_i32 s1, s0, 31
	s_lshl_b64 s[0:1], s[0:1], 1
	v_addc_co_u32_e32 v1, vcc, v118, v1, vcc
	s_cmpk_lt_i32 s48, 0xa01
	v_add_co_u32_e32 v4, vcc, s0, v117
	s_cselect_b32 s0, s11, 0x500
	v_mov_b32_e32 v5, s1
	s_ashr_i32 s1, s0, 31
	s_lshl_b64 s[0:1], s[0:1], 1
	v_addc_co_u32_e32 v5, vcc, v118, v5, vcc
	s_cmpk_lt_i32 s48, 0xb01
	;; [unrolled: 7-line block ×6, first 2 shown]
	v_add_co_u32_e32 v14, vcc, s0, v117
	s_cselect_b32 s0, s11, 0x780
	v_mov_b32_e32 v15, s1
	s_ashr_i32 s1, s0, 31
	v_addc_co_u32_e32 v15, vcc, v118, v15, vcc
	s_lshl_b64 s[0:1], s[0:1], 1
	v_mov_b32_e32 v17, s1
	v_add_co_u32_e32 v16, vcc, s0, v117
	v_addc_co_u32_e32 v17, vcc, v118, v17, vcc
	global_load_ushort v47, v[0:1], off
	global_load_ushort v48, v[4:5], off
	;; [unrolled: 1-line block ×8, first 2 shown]
	s_cmpk_gt_i32 s48, 0x1000
	s_cselect_b64 s[8:9], -1, 0
	s_cmpk_lt_i32 s48, 0x1001
	v_mov_b32_e32 v57, 0
	v_mov_b32_e32 v58, 0
	;; [unrolled: 1-line block ×48, first 2 shown]
	s_barrier
	s_cbranch_scc1 .LBB317_12
; %bb.10:
	s_cmpk_lt_u32 s48, 0x1101
	s_cselect_b32 s0, s11, 0x880
	s_ashr_i32 s1, s0, 31
	v_add_co_u32_e32 v0, vcc, 0x1000, v117
	s_lshl_b64 s[0:1], s[0:1], 1
	v_addc_co_u32_e32 v1, vcc, 0, v118, vcc
	s_cmpk_lt_u32 s48, 0x1201
	v_add_co_u32_e32 v4, vcc, s0, v117
	s_cselect_b32 s0, s11, 0x900
	v_mov_b32_e32 v5, s1
	s_ashr_i32 s1, s0, 31
	s_lshl_b64 s[0:1], s[0:1], 1
	v_addc_co_u32_e32 v5, vcc, v118, v5, vcc
	s_cmpk_lt_u32 s48, 0x1301
	v_add_co_u32_e32 v6, vcc, s0, v117
	s_cselect_b32 s0, s11, 0x980
	v_mov_b32_e32 v7, s1
	s_ashr_i32 s1, s0, 31
	;; [unrolled: 7-line block ×7, first 2 shown]
	s_lshl_b64 s[0:1], s[0:1], 1
	v_addc_co_u32_e32 v17, vcc, v118, v17, vcc
	s_cmpk_lt_u32 s48, 0x1901
	global_load_ushort v56, v[0:1], off
	global_load_ushort v55, v[4:5], off
	;; [unrolled: 1-line block ×8, first 2 shown]
	v_add_co_u32_e32 v0, vcc, s0, v117
	s_cselect_b32 s0, s11, 0xc80
	v_mov_b32_e32 v1, s1
	s_ashr_i32 s1, s0, 31
	s_lshl_b64 s[0:1], s[0:1], 1
	v_addc_co_u32_e32 v1, vcc, v118, v1, vcc
	s_cmpk_lt_u32 s48, 0x1a01
	v_add_co_u32_e32 v4, vcc, s0, v117
	s_cselect_b32 s0, s11, 0xd00
	v_mov_b32_e32 v5, s1
	s_ashr_i32 s1, s0, 31
	s_lshl_b64 s[0:1], s[0:1], 1
	v_addc_co_u32_e32 v5, vcc, v118, v5, vcc
	s_cmpk_lt_u32 s48, 0x1b01
	;; [unrolled: 7-line block ×6, first 2 shown]
	v_add_co_u32_e32 v14, vcc, s0, v117
	s_cselect_b32 s0, s11, 0xf80
	v_mov_b32_e32 v15, s1
	s_ashr_i32 s1, s0, 31
	v_addc_co_u32_e32 v15, vcc, v118, v15, vcc
	s_lshl_b64 s[0:1], s[0:1], 1
	v_mov_b32_e32 v17, s1
	v_add_co_u32_e32 v16, vcc, s0, v117
	v_addc_co_u32_e32 v17, vcc, v118, v17, vcc
	global_load_ushort v64, v[0:1], off
	global_load_ushort v63, v[4:5], off
	global_load_ushort v62, v[6:7], off
	global_load_ushort v61, v[8:9], off
	global_load_ushort v60, v[10:11], off
	global_load_ushort v59, v[12:13], off
	global_load_ushort v58, v[14:15], off
	global_load_ushort v57, v[16:17], off
	s_cmpk_lt_u32 s48, 0x2001
	v_mov_b32_e32 v33, 0
	v_mov_b32_e32 v31, 0
	;; [unrolled: 1-line block ×32, first 2 shown]
	s_cbranch_scc1 .LBB317_12
; %bb.11:
	s_cmpk_lt_u32 s48, 0x2101
	s_cselect_b32 s0, s11, 0x1080
	s_ashr_i32 s1, s0, 31
	s_lshl_b64 s[0:1], s[0:1], 1
	s_cmpk_lt_u32 s48, 0x2201
	v_add_co_u32_e32 v0, vcc, s0, v117
	s_cselect_b32 s0, s11, 0x1100
	v_mov_b32_e32 v1, s1
	s_ashr_i32 s1, s0, 31
	s_lshl_b64 s[0:1], s[0:1], 1
	v_addc_co_u32_e32 v1, vcc, v118, v1, vcc
	s_cmpk_lt_u32 s48, 0x2301
	v_add_co_u32_e32 v4, vcc, s0, v117
	s_cselect_b32 s0, s11, 0x1180
	v_mov_b32_e32 v5, s1
	s_ashr_i32 s1, s0, 31
	s_lshl_b64 s[0:1], s[0:1], 1
	v_addc_co_u32_e32 v5, vcc, v118, v5, vcc
	;; [unrolled: 7-line block ×30, first 2 shown]
	v_mov_b32_e32 v65, s1
	s_movk_i32 s1, 0x2000
	v_add_co_u32_e32 v94, vcc, s1, v117
	v_addc_co_u32_e32 v95, vcc, 0, v118, vcc
	global_load_ushort v96, v[94:95], off
	global_load_ushort v97, v[0:1], off
	;; [unrolled: 1-line block ×15, first 2 shown]
                                        ; kill: killed $vgpr30 killed $vgpr31
                                        ; kill: killed $vgpr8 killed $vgpr9
                                        ; kill: killed $vgpr14 killed $vgpr15
                                        ; kill: killed $vgpr20 killed $vgpr21
                                        ; kill: killed $vgpr4 killed $vgpr5
                                        ; kill: killed $vgpr94 killed $vgpr95
                                        ; kill: killed $vgpr32 killed $vgpr33
                                        ; kill: killed $vgpr10 killed $vgpr11
                                        ; kill: killed $vgpr16 killed $vgpr17
                                        ; kill: killed $vgpr24 killed $vgpr25
                                        ; kill: killed $vgpr6 killed $vgpr7
                                        ; kill: killed $vgpr66 killed $vgpr67
                                        ; kill: killed $vgpr12 killed $vgpr13
                                        ; kill: killed $vgpr18 killed $vgpr19
                                        ; kill: killed $vgpr0 killed $vgpr1
	global_load_ushort v4, v[22:23], off
	global_load_ushort v5, v[26:27], off
	;; [unrolled: 1-line block ×15, first 2 shown]
                                        ; kill: killed $vgpr88 killed $vgpr89
                                        ; kill: killed $vgpr72 killed $vgpr73
                                        ; kill: killed $vgpr78 killed $vgpr79
                                        ; kill: killed $vgpr22 killed $vgpr23
                                        ; kill: killed $vgpr68 killed $vgpr69
                                        ; kill: killed $vgpr90 killed $vgpr91
                                        ; kill: killed $vgpr74 killed $vgpr75
                                        ; kill: killed $vgpr80 killed $vgpr81
                                        ; kill: killed $vgpr26 killed $vgpr27
                                        ; kill: killed $vgpr86 killed $vgpr87
                                        ; kill: killed $vgpr70 killed $vgpr71
                                        ; kill: killed $vgpr92 killed $vgpr93
                                        ; kill: killed $vgpr76 killed $vgpr77
                                        ; kill: killed $vgpr82 killed $vgpr83
                                        ; kill: killed $vgpr28 killed $vgpr29
	global_load_ushort v68, v[84:85], off
	v_add_co_u32_e32 v0, vcc, s0, v117
	v_addc_co_u32_e32 v1, vcc, v118, v65, vcc
	global_load_ushort v1, v[0:1], off
	s_waitcnt vmcnt(31)
	v_lshlrev_b32_e32 v33, 16, v96
	s_waitcnt vmcnt(30)
	v_lshlrev_b32_e32 v31, 16, v97
	;; [unrolled: 2-line block ×32, first 2 shown]
.LBB317_12:
	s_load_dwordx2 s[0:1], s[4:5], 0x0
	s_load_dwordx2 s[2:3], s[4:5], 0x38
	ds_read_b128 v[66:69], v3
	s_waitcnt vmcnt(15)
	v_lshlrev_b32_e32 v40, 16, v40
	s_waitcnt vmcnt(14)
	v_lshlrev_b32_e32 v39, 16, v39
	ds_read_b128 v[70:73], v3 offset:16
	ds_read_b128 v[74:77], v3 offset:32
	;; [unrolled: 1-line block ×3, first 2 shown]
	s_waitcnt vmcnt(13)
	v_lshlrev_b32_e32 v38, 16, v38
	s_waitcnt lgkmcnt(0)
	v_fma_f32 v40, v66, v40, 0
	v_fmac_f32_e32 v40, v67, v39
	v_fmac_f32_e32 v40, v68, v38
	s_waitcnt vmcnt(12)
	v_lshlrev_b32_e32 v37, 16, v37
	v_fmac_f32_e32 v40, v69, v37
	s_waitcnt vmcnt(10)
	v_lshlrev_b32_e32 v37, 16, v36
	v_lshlrev_b32_e32 v36, 16, v35
	v_pk_mul_f32 v[36:37], v[70:71], v[36:37]
	v_add_f32_e32 v35, v40, v36
	v_add_f32_e32 v36, v35, v37
	s_waitcnt vmcnt(8)
	v_lshlrev_b32_e32 v35, 16, v34
	v_lshlrev_b32_e32 v34, 16, v2
	v_pk_mul_f32 v[34:35], v[72:73], v[34:35]
	v_add_f32_e32 v2, v36, v34
	v_add_f32_e32 v2, v2, v35
	;; [unrolled: 6-line block ×6, first 2 shown]
	s_and_b64 vcc, exec, s[8:9]
	s_cbranch_vccz .LBB317_15
; %bb.13:
	ds_read_b128 v[34:37], v3 offset:64
	v_lshlrev_b32_e32 v2, 16, v56
	ds_read_b128 v[38:41], v3 offset:80
	ds_read_b128 v[42:45], v3 offset:96
	;; [unrolled: 1-line block ×3, first 2 shown]
	s_cmpk_lt_u32 s48, 0x2001
	s_waitcnt lgkmcnt(3)
	v_fmac_f32_e32 v119, v34, v2
	v_lshlrev_b32_e32 v2, 16, v55
	v_fmac_f32_e32 v119, v35, v2
	v_lshlrev_b32_e32 v2, 16, v54
	v_fmac_f32_e32 v119, v36, v2
	v_lshlrev_b32_e32 v2, 16, v53
	v_fmac_f32_e32 v119, v37, v2
	v_lshlrev_b32_e32 v2, 16, v52
	s_waitcnt lgkmcnt(2)
	v_fmac_f32_e32 v119, v38, v2
	v_lshlrev_b32_e32 v2, 16, v51
	v_fmac_f32_e32 v119, v39, v2
	v_lshlrev_b32_e32 v2, 16, v50
	v_fmac_f32_e32 v119, v40, v2
	v_lshlrev_b32_e32 v2, 16, v49
	v_fmac_f32_e32 v119, v41, v2
	v_lshlrev_b32_e32 v2, 16, v64
	;; [unrolled: 9-line block ×3, first 2 shown]
	s_waitcnt lgkmcnt(0)
	v_fmac_f32_e32 v119, v66, v2
	v_lshlrev_b32_e32 v2, 16, v59
	v_fmac_f32_e32 v119, v67, v2
	v_lshlrev_b32_e32 v2, 16, v58
	;; [unrolled: 2-line block ×3, first 2 shown]
	v_fmac_f32_e32 v119, v69, v2
	s_cbranch_scc1 .LBB317_15
; %bb.14:
	v_mov_b32_e32 v50, 0
	ds_read_b128 v[34:37], v50 offset:128
	ds_read_b128 v[38:41], v50 offset:144
	;; [unrolled: 1-line block ×4, first 2 shown]
	s_waitcnt lgkmcnt(3)
	v_fmac_f32_e32 v119, v34, v33
	v_fmac_f32_e32 v119, v35, v31
	v_fmac_f32_e32 v119, v36, v32
	v_fmac_f32_e32 v119, v37, v29
	s_waitcnt lgkmcnt(2)
	v_fmac_f32_e32 v119, v38, v30
	v_fmac_f32_e32 v119, v39, v27
	v_fmac_f32_e32 v119, v40, v28
	v_fmac_f32_e32 v119, v41, v25
	;; [unrolled: 5-line block ×3, first 2 shown]
	s_waitcnt lgkmcnt(0)
	v_fmac_f32_e32 v119, v46, v22
	ds_read_b128 v[22:25], v50 offset:192
	v_fmac_f32_e32 v119, v47, v19
	v_fmac_f32_e32 v119, v48, v20
	;; [unrolled: 1-line block ×3, first 2 shown]
	ds_read_b128 v[18:21], v50 offset:208
	s_waitcnt lgkmcnt(1)
	v_fmac_f32_e32 v119, v22, v17
	v_fmac_f32_e32 v119, v23, v15
	v_fmac_f32_e32 v119, v24, v16
	v_fmac_f32_e32 v119, v25, v14
	s_waitcnt lgkmcnt(0)
	v_pk_mul_f32 v[2:3], v[18:19], v[12:13]
	ds_read_b128 v[12:15], v50 offset:224
	v_add_f32_e32 v2, v119, v2
	v_add_f32_e32 v16, v2, v3
	v_pk_mul_f32 v[2:3], v[20:21], v[10:11]
	v_add_f32_e32 v2, v16, v2
	ds_read_b128 v[16:19], v50 offset:240
	v_add_f32_e32 v10, v2, v3
	s_waitcnt lgkmcnt(1)
	v_pk_mul_f32 v[2:3], v[12:13], v[8:9]
	v_add_f32_e32 v2, v10, v2
	v_add_f32_e32 v8, v2, v3
	v_pk_mul_f32 v[2:3], v[14:15], v[6:7]
	v_add_f32_e32 v2, v8, v2
	v_add_f32_e32 v6, v2, v3
	s_waitcnt lgkmcnt(0)
	v_pk_mul_f32 v[2:3], v[16:17], v[4:5]
	v_add_f32_e32 v2, v6, v2
	v_add_f32_e32 v2, v2, v3
	v_pk_mul_f32 v[0:1], v[18:19], v[0:1]
	v_add_f32_e32 v0, v2, v0
	v_add_f32_e32 v119, v0, v1
.LBB317_15:
	s_movk_i32 s4, 0x3f80
	s_movk_i32 s5, 0x100
	s_mov_b32 s8, 64
	s_branch .LBB317_17
.LBB317_16:                             ;   in Loop: Header=BB317_17 Depth=1
	s_addk_i32 s4, 0x2000
	s_addk_i32 s5, 0x100
	s_add_i32 s8, s8, 64
	s_cmp_eq_u32 s4, 0x15f80
	s_cbranch_scc1 .LBB317_19
.LBB317_17:                             ; =>This Inner Loop Header: Depth=1
	s_cmp_le_i32 s33, s8
	s_cbranch_scc1 .LBB317_16
; %bb.18:                               ;   in Loop: Header=BB317_17 Depth=1
	s_add_i32 s9, s4, 0xffffe080
	s_cmp_lt_i32 s9, s10
	s_cselect_b32 s12, s9, s11
	s_ashr_i32 s13, s12, 31
	s_lshl_b64 s[12:13], s[12:13], 1
	s_add_i32 s9, s4, 0xffffe100
	s_cmp_lt_i32 s9, s10
	v_add_co_u32_e32 v2, vcc, s12, v117
	s_cselect_b32 s12, s9, s11
	v_mov_b32_e32 v0, s13
	s_ashr_i32 s13, s12, 31
	s_lshl_b64 s[12:13], s[12:13], 1
	s_add_i32 s9, s4, 0xffffe180
	v_addc_co_u32_e32 v3, vcc, v118, v0, vcc
	s_cmp_lt_i32 s9, s10
	v_add_co_u32_e32 v0, vcc, s12, v117
	s_cselect_b32 s12, s9, s11
	v_mov_b32_e32 v1, s13
	s_ashr_i32 s13, s12, 31
	s_lshl_b64 s[12:13], s[12:13], 1
	s_add_i32 s9, s4, 0xffffe200
	v_addc_co_u32_e32 v1, vcc, v118, v1, vcc
	;; [unrolled: 8-line block ×21, first 2 shown]
	s_cmp_lt_i32 s9, s10
	global_load_ushort v120, v[2:3], off
	global_load_ushort v122, v[4:5], off
	;; [unrolled: 1-line block ×4, first 2 shown]
	v_add_co_u32_e32 v42, vcc, s12, v117
	s_cselect_b32 s12, s9, s11
	v_mov_b32_e32 v43, s13
	s_ashr_i32 s13, s12, 31
	s_lshl_b64 s[12:13], s[12:13], 1
	s_add_i32 s9, s4, 0xffffec00
	v_addc_co_u32_e32 v43, vcc, v118, v43, vcc
	s_cmp_lt_i32 s9, s10
	v_add_co_u32_e32 v44, vcc, s12, v117
	s_cselect_b32 s12, s9, s11
	v_mov_b32_e32 v45, s13
	s_ashr_i32 s13, s12, 31
	s_lshl_b64 s[12:13], s[12:13], 1
	s_add_i32 s9, s4, 0xffffec80
	v_addc_co_u32_e32 v45, vcc, v118, v45, vcc
	s_cmp_lt_i32 s9, s10
	;; [unrolled: 8-line block ×8, first 2 shown]
	global_load_ushort v121, v[0:1], off
	v_add_co_u32_e32 v58, vcc, s12, v117
	s_cselect_b32 s12, s9, s11
	v_mov_b32_e32 v59, s13
	s_ashr_i32 s13, s12, 31
	s_lshl_b64 s[12:13], s[12:13], 1
	s_add_i32 s9, s4, 0xfffff000
	v_addc_co_u32_e32 v59, vcc, v118, v59, vcc
	s_cmp_lt_i32 s9, s10
	v_add_co_u32_e32 v60, vcc, s12, v117
	s_cselect_b32 s12, s9, s11
	global_load_ushort v125, v[10:11], off
	global_load_ushort v126, v[12:13], off
	v_mov_b32_e32 v61, s13
	s_ashr_i32 s13, s12, 31
	global_load_ushort v127, v[14:15], off
	global_load_ushort v128, v[16:17], off
	;; [unrolled: 1-line block ×3, first 2 shown]
	s_lshl_b64 s[12:13], s[12:13], 1
	s_add_i32 s9, s4, 0xfffff080
	v_addc_co_u32_e32 v61, vcc, v118, v61, vcc
	s_cmp_lt_i32 s9, s10
	v_add_co_u32_e32 v62, vcc, s12, v117
	s_cselect_b32 s12, s9, s11
	v_mov_b32_e32 v63, s13
	s_ashr_i32 s13, s12, 31
	s_lshl_b64 s[12:13], s[12:13], 1
	s_add_i32 s9, s4, 0xfffff100
	v_addc_co_u32_e32 v63, vcc, v118, v63, vcc
	s_cmp_lt_i32 s9, s10
	v_add_co_u32_e32 v64, vcc, s12, v117
	s_cselect_b32 s12, s9, s11
	v_mov_b32_e32 v65, s13
	s_ashr_i32 s13, s12, 31
	global_load_ushort v130, v[20:21], off
	global_load_ushort v131, v[22:23], off
	s_lshl_b64 s[12:13], s[12:13], 1
	s_add_i32 s9, s4, 0xfffff180
	v_addc_co_u32_e32 v65, vcc, v118, v65, vcc
	s_cmp_lt_i32 s9, s10
	global_load_ushort v132, v[24:25], off
	global_load_ushort v133, v[26:27], off
	v_add_co_u32_e32 v66, vcc, s12, v117
	s_cselect_b32 s12, s9, s11
	v_mov_b32_e32 v67, s13
	s_ashr_i32 s13, s12, 31
	s_lshl_b64 s[12:13], s[12:13], 1
	s_add_i32 s9, s4, 0xfffff200
	v_addc_co_u32_e32 v67, vcc, v118, v67, vcc
	s_cmp_lt_i32 s9, s10
	v_add_co_u32_e32 v68, vcc, s12, v117
	s_cselect_b32 s12, s9, s11
	v_mov_b32_e32 v69, s13
	s_ashr_i32 s13, s12, 31
	global_load_ushort v134, v[28:29], off
	global_load_ushort v135, v[30:31], off
	s_lshl_b64 s[12:13], s[12:13], 1
	s_add_i32 s9, s4, 0xfffff280
	v_addc_co_u32_e32 v69, vcc, v118, v69, vcc
	s_cmp_lt_i32 s9, s10
	v_add_co_u32_e32 v70, vcc, s12, v117
	s_cselect_b32 s12, s9, s11
	v_mov_b32_e32 v71, s13
	s_ashr_i32 s13, s12, 31
	s_lshl_b64 s[12:13], s[12:13], 1
	s_add_i32 s9, s4, 0xfffff300
	global_load_ushort v28, v[32:33], off
	global_load_ushort v29, v[34:35], off
	;; [unrolled: 1-line block ×4, first 2 shown]
	v_addc_co_u32_e32 v71, vcc, v118, v71, vcc
	s_cmp_lt_i32 s9, s10
	v_add_co_u32_e32 v72, vcc, s12, v117
	s_cselect_b32 s12, s9, s11
	v_mov_b32_e32 v73, s13
	s_ashr_i32 s13, s12, 31
	s_lshl_b64 s[12:13], s[12:13], 1
	s_add_i32 s9, s4, 0xfffff380
	v_addc_co_u32_e32 v73, vcc, v118, v73, vcc
	s_cmp_lt_i32 s9, s10
	v_add_co_u32_e32 v74, vcc, s12, v117
	s_cselect_b32 s12, s9, s11
	v_mov_b32_e32 v75, s13
	s_ashr_i32 s13, s12, 31
	s_lshl_b64 s[12:13], s[12:13], 1
	s_add_i32 s9, s4, 0xfffff400
	v_addc_co_u32_e32 v75, vcc, v118, v75, vcc
	s_cmp_lt_i32 s9, s10
	v_add_co_u32_e32 v76, vcc, s12, v117
	s_cselect_b32 s12, s9, s11
	global_load_ushort v32, v[40:41], off
	global_load_ushort v33, v[42:43], off
	v_mov_b32_e32 v77, s13
	s_ashr_i32 s13, s12, 31
	s_lshl_b64 s[12:13], s[12:13], 1
	s_add_i32 s9, s4, 0xfffff480
	v_addc_co_u32_e32 v77, vcc, v118, v77, vcc
	s_cmp_lt_i32 s9, s10
	v_add_co_u32_e32 v78, vcc, s12, v117
	s_cselect_b32 s12, s9, s11
	v_mov_b32_e32 v79, s13
	s_ashr_i32 s13, s12, 31
	global_load_ushort v36, v[44:45], off
	s_lshl_b64 s[12:13], s[12:13], 1
	s_add_i32 s9, s4, 0xfffff500
	v_mov_b32_e32 v35, s5
	v_addc_co_u32_e32 v79, vcc, v118, v79, vcc
	s_cmp_lt_i32 s9, s10
	ds_read_b128 v[12:15], v35
	ds_read_b128 v[16:19], v35 offset:16
	global_load_ushort v37, v[46:47], off
	v_add_co_u32_e32 v80, vcc, s12, v117
	s_cselect_b32 s12, s9, s11
	v_mov_b32_e32 v81, s13
	s_ashr_i32 s13, s12, 31
	s_lshl_b64 s[12:13], s[12:13], 1
	s_add_i32 s9, s4, 0xfffff580
	v_addc_co_u32_e32 v81, vcc, v118, v81, vcc
	s_cmp_lt_i32 s9, s10
	s_waitcnt vmcnt(23)
	v_lshlrev_b32_e32 v34, 16, v120
	v_add_co_u32_e32 v82, vcc, s12, v117
	s_cselect_b32 s12, s9, s11
	ds_read_b128 v[20:23], v35 offset:32
	ds_read_b128 v[24:27], v35 offset:48
	s_waitcnt lgkmcnt(3)
	v_fmac_f32_e32 v119, v12, v34
	global_load_ushort v34, v[48:49], off
	global_load_ushort v38, v[50:51], off
	;; [unrolled: 1-line block ×6, first 2 shown]
	v_mov_b32_e32 v83, s13
	s_ashr_i32 s13, s12, 31
	s_lshl_b64 s[12:13], s[12:13], 1
	s_add_i32 s9, s4, 0xfffff600
	v_addc_co_u32_e32 v83, vcc, v118, v83, vcc
	s_cmp_lt_i32 s9, s10
	v_add_co_u32_e32 v84, vcc, s12, v117
	s_cselect_b32 s12, s9, s11
	v_mov_b32_e32 v85, s13
	s_ashr_i32 s13, s12, 31
	s_lshl_b64 s[12:13], s[12:13], 1
	s_add_i32 s9, s4, 0xfffff680
	v_addc_co_u32_e32 v85, vcc, v118, v85, vcc
	s_cmp_lt_i32 s9, s10
	v_add_co_u32_e32 v86, vcc, s12, v117
	s_cselect_b32 s12, s9, s11
	;; [unrolled: 8-line block ×7, first 2 shown]
	v_mov_b32_e32 v97, s13
	s_ashr_i32 s13, s12, 31
	s_lshl_b64 s[12:13], s[12:13], 1
	s_add_i32 s9, s4, 0xfffff980
	v_addc_co_u32_e32 v97, vcc, v118, v97, vcc
	s_cmp_lt_i32 s9, s10
	s_waitcnt vmcnt(25)
	v_lshlrev_b32_e32 v12, 16, v121
	v_add_co_u32_e32 v98, vcc, s12, v117
	s_cselect_b32 s12, s9, s11
	v_fmac_f32_e32 v119, v13, v12
	v_lshlrev_b32_e32 v12, 16, v122
	v_mov_b32_e32 v99, s13
	s_ashr_i32 s13, s12, 31
	v_fmac_f32_e32 v119, v14, v12
	v_lshlrev_b32_e32 v12, 16, v123
	s_lshl_b64 s[12:13], s[12:13], 1
	s_add_i32 s9, s4, 0xfffffa00
	v_fmac_f32_e32 v119, v15, v12
	v_lshlrev_b32_e32 v12, 16, v124
	v_addc_co_u32_e32 v99, vcc, v118, v99, vcc
	s_cmp_lt_i32 s9, s10
	s_waitcnt lgkmcnt(2)
	v_fmac_f32_e32 v119, v16, v12
	s_waitcnt vmcnt(24)
	v_lshlrev_b32_e32 v12, 16, v125
	v_add_co_u32_e32 v100, vcc, s12, v117
	s_cselect_b32 s12, s9, s11
	v_fmac_f32_e32 v119, v17, v12
	s_waitcnt vmcnt(23)
	v_lshlrev_b32_e32 v12, 16, v126
	v_mov_b32_e32 v101, s13
	s_ashr_i32 s13, s12, 31
	v_fmac_f32_e32 v119, v18, v12
	s_waitcnt vmcnt(22)
	v_lshlrev_b32_e32 v12, 16, v127
	s_lshl_b64 s[12:13], s[12:13], 1
	s_add_i32 s9, s4, 0xfffffa80
	v_fmac_f32_e32 v119, v19, v12
	s_waitcnt vmcnt(21)
	v_lshlrev_b32_e32 v12, 16, v128
	v_addc_co_u32_e32 v101, vcc, v118, v101, vcc
	s_cmp_lt_i32 s9, s10
	s_waitcnt lgkmcnt(1)
	v_fmac_f32_e32 v119, v20, v12
	global_load_ushort v20, v[60:61], off
	v_add_co_u32_e32 v102, vcc, s12, v117
	s_cselect_b32 s12, s9, s11
	v_mov_b32_e32 v103, s13
	s_ashr_i32 s13, s12, 31
	s_lshl_b64 s[12:13], s[12:13], 1
	s_add_i32 s9, s4, 0xfffffb00
	s_waitcnt vmcnt(21)
	v_lshlrev_b32_e32 v12, 16, v129
	v_addc_co_u32_e32 v103, vcc, v118, v103, vcc
	s_cmp_lt_i32 s9, s10
	v_fmac_f32_e32 v119, v21, v12
	global_load_ushort v21, v[62:63], off
	v_add_co_u32_e32 v104, vcc, s12, v117
	s_cselect_b32 s12, s9, s11
	s_waitcnt vmcnt(21)
	v_lshlrev_b32_e32 v12, 16, v130
	global_load_ushort v43, v[64:65], off
	v_mov_b32_e32 v105, s13
	s_ashr_i32 s13, s12, 31
	v_fmac_f32_e32 v119, v22, v12
	global_load_ushort v22, v[66:67], off
	s_waitcnt vmcnt(22)
	v_lshlrev_b32_e32 v12, 16, v131
	s_lshl_b64 s[12:13], s[12:13], 1
	s_add_i32 s9, s4, 0xfffffb80
	v_fmac_f32_e32 v119, v23, v12
	global_load_ushort v23, v[68:69], off
	global_load_ushort v44, v[70:71], off
	v_addc_co_u32_e32 v105, vcc, v118, v105, vcc
	s_cmp_lt_i32 s9, s10
	s_waitcnt vmcnt(23)
	v_lshlrev_b32_e32 v12, 16, v132
	v_add_co_u32_e32 v108, vcc, s12, v117
	s_cselect_b32 s12, s9, s11
	s_waitcnt lgkmcnt(0)
	v_fmac_f32_e32 v119, v24, v12
	global_load_ushort v24, v[72:73], off
	global_load_ushort v45, v[74:75], off
	v_mov_b32_e32 v106, s13
	s_ashr_i32 s13, s12, 31
	s_waitcnt vmcnt(24)
	v_lshlrev_b32_e32 v12, 16, v133
	s_lshl_b64 s[12:13], s[12:13], 1
	s_add_i32 s9, s4, 0xfffffc00
	v_fmac_f32_e32 v119, v25, v12
	global_load_ushort v25, v[76:77], off
	v_addc_co_u32_e32 v109, vcc, v118, v106, vcc
	s_cmp_lt_i32 s9, s10
	v_add_co_u32_e32 v106, vcc, s12, v117
	s_cselect_b32 s12, s9, s11
	s_waitcnt vmcnt(24)
	v_lshlrev_b32_e32 v12, 16, v134
	v_mov_b32_e32 v107, s13
	s_ashr_i32 s13, s12, 31
	v_fmac_f32_e32 v119, v26, v12
	global_load_ushort v26, v[78:79], off
	s_waitcnt vmcnt(24)
	v_lshlrev_b32_e32 v12, 16, v135
	s_lshl_b64 s[12:13], s[12:13], 1
	s_add_i32 s9, s4, 0xfffffc80
	v_fmac_f32_e32 v119, v27, v12
	ds_read_b128 v[12:15], v35 offset:64
	ds_read_b128 v[16:19], v35 offset:80
	v_addc_co_u32_e32 v107, vcc, v118, v107, vcc
	s_cmp_lt_i32 s9, s10
	global_load_ushort v46, v[80:81], off
	global_load_ushort v27, v[82:83], off
	;; [unrolled: 1-line block ×4, first 2 shown]
	v_add_co_u32_e32 v112, vcc, s12, v117
	s_cselect_b32 s12, s9, s11
	v_mov_b32_e32 v110, s13
	s_ashr_i32 s13, s12, 31
	s_lshl_b64 s[12:13], s[12:13], 1
	s_add_i32 s9, s4, 0xfffffd00
	s_waitcnt vmcnt(27)
	v_lshlrev_b32_e32 v28, 16, v28
	v_addc_co_u32_e32 v113, vcc, v118, v110, vcc
	s_cmp_lt_i32 s9, s10
	s_waitcnt lgkmcnt(1)
	v_fmac_f32_e32 v119, v12, v28
	global_load_ushort v28, v[88:89], off
	v_add_co_u32_e32 v110, vcc, s12, v117
	s_cselect_b32 s12, s9, s11
	s_waitcnt vmcnt(27)
	v_lshlrev_b32_e32 v12, 16, v29
	global_load_ushort v29, v[90:91], off
	global_load_ushort v49, v[92:93], off
	v_mov_b32_e32 v111, s13
	s_ashr_i32 s13, s12, 31
	s_lshl_b64 s[12:13], s[12:13], 1
	s_add_i32 s9, s4, 0xfffffd80
	v_addc_co_u32_e32 v111, vcc, v118, v111, vcc
	s_cmp_lt_i32 s9, s10
	v_add_co_u32_e32 v114, vcc, s12, v117
	s_cselect_b32 s12, s9, s11
	v_mov_b32_e32 v115, s13
	s_ashr_i32 s13, s12, 31
	v_fmac_f32_e32 v119, v13, v12
	s_waitcnt vmcnt(28)
	v_lshlrev_b32_e32 v12, 16, v30
	global_load_ushort v30, v[94:95], off
	s_lshl_b64 s[12:13], s[12:13], 1
	s_add_i32 s9, s4, 0xfffffe00
	v_fmac_f32_e32 v119, v14, v12
	s_waitcnt vmcnt(28)
	v_lshlrev_b32_e32 v12, 16, v31
	global_load_ushort v31, v[96:97], off
	v_addc_co_u32_e32 v115, vcc, v118, v115, vcc
	s_cmp_lt_i32 s9, s10
	v_fmac_f32_e32 v119, v15, v12
	s_waitcnt vmcnt(28)
	v_lshlrev_b32_e32 v12, 16, v32
	global_load_ushort v32, v[98:99], off
	global_load_ushort v50, v[100:101], off
	v_add_co_u32_e32 v0, vcc, s12, v117
	s_cselect_b32 s12, s9, s11
	v_mov_b32_e32 v2, s13
	s_ashr_i32 s13, s12, 31
	s_lshl_b64 s[12:13], s[12:13], 1
	s_add_i32 s9, s4, 0xfffffe80
	s_waitcnt lgkmcnt(0)
	v_fmac_f32_e32 v119, v16, v12
	s_waitcnt vmcnt(29)
	v_lshlrev_b32_e32 v12, 16, v33
	global_load_ushort v33, v[102:103], off
	global_load_ushort v51, v[104:105], off
	;; [unrolled: 1-line block ×3, first 2 shown]
	v_addc_co_u32_e32 v1, vcc, v118, v2, vcc
	s_cmp_lt_i32 s9, s10
	v_add_co_u32_e32 v2, vcc, s12, v117
	s_cselect_b32 s12, s9, s11
	v_mov_b32_e32 v3, s13
	s_ashr_i32 s13, s12, 31
	v_fmac_f32_e32 v119, v17, v12
	s_waitcnt vmcnt(31)
	v_lshlrev_b32_e32 v12, 16, v36
	global_load_ushort v36, v[106:107], off
	global_load_ushort v53, v[112:113], off
	s_lshl_b64 s[12:13], s[12:13], 1
	s_add_i32 s9, s4, 0xffffff00
	v_addc_co_u32_e32 v3, vcc, v118, v3, vcc
	s_cmp_lt_i32 s9, s10
	v_fmac_f32_e32 v119, v18, v12
	s_waitcnt vmcnt(32)
	v_lshlrev_b32_e32 v12, 16, v37
	v_add_co_u32_e32 v4, vcc, s12, v117
	s_cselect_b32 s12, s9, s11
	v_fmac_f32_e32 v119, v19, v12
	ds_read_b128 v[12:15], v35 offset:96
	v_mov_b32_e32 v5, s13
	s_ashr_i32 s13, s12, 31
	s_lshl_b64 s[12:13], s[12:13], 1
	s_add_i32 s9, s4, 0xffffff80
	v_addc_co_u32_e32 v5, vcc, v118, v5, vcc
	s_cmp_lt_i32 s9, s10
	global_load_ushort v37, v[110:111], off
	global_load_ushort v54, v[114:115], off
	v_add_co_u32_e32 v8, vcc, s12, v117
	s_cselect_b32 s12, s9, s11
	s_waitcnt vmcnt(33)
	v_lshlrev_b32_e32 v34, 16, v34
	v_mov_b32_e32 v6, s13
	s_ashr_i32 s13, s12, 31
	s_waitcnt lgkmcnt(0)
	v_fmac_f32_e32 v119, v12, v34
	s_waitcnt vmcnt(32)
	v_lshlrev_b32_e32 v12, 16, v38
	s_lshl_b64 s[12:13], s[12:13], 1
	ds_read_b128 v[16:19], v35 offset:112
	v_fmac_f32_e32 v119, v13, v12
	global_load_ushort v12, v[0:1], off
	global_load_ushort v13, v[2:3], off
	v_addc_co_u32_e32 v9, vcc, v118, v6, vcc
	s_cmp_lt_i32 s4, s10
	v_add_co_u32_e32 v6, vcc, s12, v117
	s_cselect_b32 s12, s4, s11
	s_waitcnt vmcnt(33)
	v_lshlrev_b32_e32 v0, 16, v39
	v_mov_b32_e32 v7, s13
	s_ashr_i32 s13, s12, 31
	v_fmac_f32_e32 v119, v14, v0
	global_load_ushort v14, v[4:5], off
	global_load_ushort v34, v[8:9], off
	v_addc_co_u32_e32 v7, vcc, v118, v7, vcc
	s_lshl_b64 s[12:13], s[12:13], 1
	s_waitcnt vmcnt(34)
	v_lshlrev_b32_e32 v0, 16, v40
	v_mov_b32_e32 v11, s13
	v_add_co_u32_e32 v10, vcc, s12, v117
	v_fmac_f32_e32 v119, v15, v0
	s_waitcnt vmcnt(33)
	v_lshlrev_b32_e32 v0, 16, v41
	v_addc_co_u32_e32 v11, vcc, v118, v11, vcc
	s_waitcnt lgkmcnt(0)
	v_fmac_f32_e32 v119, v16, v0
	global_load_ushort v15, v[6:7], off
	global_load_ushort v16, v[10:11], off
	s_waitcnt vmcnt(34)
	v_lshlrev_b32_e32 v0, 16, v42
	v_fmac_f32_e32 v119, v17, v0
	s_waitcnt vmcnt(33)
	v_lshlrev_b32_e32 v0, 16, v20
	v_fmac_f32_e32 v119, v18, v0
	ds_read_b128 v[0:3], v35 offset:128
	s_waitcnt vmcnt(32)
	v_lshlrev_b32_e32 v4, 16, v21
	v_fmac_f32_e32 v119, v19, v4
	ds_read_b128 v[4:7], v35 offset:144
	s_waitcnt vmcnt(31)
	v_lshlrev_b32_e32 v8, 16, v43
	s_waitcnt lgkmcnt(1)
	v_fmac_f32_e32 v119, v0, v8
	s_waitcnt vmcnt(30)
	v_lshlrev_b32_e32 v0, 16, v22
	v_fmac_f32_e32 v119, v1, v0
	s_waitcnt vmcnt(29)
	v_lshlrev_b32_e32 v0, 16, v23
	;; [unrolled: 3-line block ×4, first 2 shown]
	s_waitcnt lgkmcnt(0)
	v_fmac_f32_e32 v119, v4, v0
	s_waitcnt vmcnt(26)
	v_lshlrev_b32_e32 v0, 16, v45
	v_fmac_f32_e32 v119, v5, v0
	s_waitcnt vmcnt(25)
	v_lshlrev_b32_e32 v0, 16, v25
	v_fmac_f32_e32 v119, v6, v0
	ds_read_b128 v[0:3], v35 offset:160
	s_waitcnt vmcnt(24)
	v_lshlrev_b32_e32 v4, 16, v26
	v_fmac_f32_e32 v119, v7, v4
	ds_read_b128 v[4:7], v35 offset:176
	s_waitcnt vmcnt(23)
	v_lshlrev_b32_e32 v8, 16, v46
	s_waitcnt lgkmcnt(1)
	v_fmac_f32_e32 v119, v0, v8
	s_waitcnt vmcnt(22)
	v_lshlrev_b32_e32 v0, 16, v27
	v_fmac_f32_e32 v119, v1, v0
	s_waitcnt vmcnt(21)
	v_lshlrev_b32_e32 v0, 16, v47
	;; [unrolled: 3-line block ×4, first 2 shown]
	s_waitcnt lgkmcnt(0)
	v_fmac_f32_e32 v119, v4, v0
	s_waitcnt vmcnt(18)
	v_lshlrev_b32_e32 v0, 16, v29
	v_fmac_f32_e32 v119, v5, v0
	s_waitcnt vmcnt(17)
	v_lshlrev_b32_e32 v0, 16, v49
	v_fmac_f32_e32 v119, v6, v0
	ds_read_b128 v[0:3], v35 offset:192
	s_waitcnt vmcnt(16)
	v_lshlrev_b32_e32 v4, 16, v30
	v_fmac_f32_e32 v119, v7, v4
	ds_read_b128 v[4:7], v35 offset:208
	s_waitcnt vmcnt(15)
	v_lshlrev_b32_e32 v8, 16, v31
	s_waitcnt lgkmcnt(1)
	v_fmac_f32_e32 v119, v0, v8
	s_waitcnt vmcnt(14)
	v_lshlrev_b32_e32 v0, 16, v32
	v_fmac_f32_e32 v119, v1, v0
	s_waitcnt vmcnt(13)
	v_lshlrev_b32_e32 v0, 16, v50
	;; [unrolled: 3-line block ×4, first 2 shown]
	v_lshlrev_b32_e32 v0, 16, v51
	s_waitcnt lgkmcnt(0)
	v_pk_mul_f32 v[0:1], v[4:5], v[0:1]
	v_add_f32_e32 v0, v119, v0
	v_add_f32_e32 v2, v0, v1
	s_waitcnt vmcnt(8)
	v_lshlrev_b32_e32 v1, 16, v53
	v_lshlrev_b32_e32 v0, 16, v36
	v_pk_mul_f32 v[4:5], v[6:7], v[0:1]
	v_add_f32_e32 v4, v2, v4
	ds_read_b128 v[0:3], v35 offset:224
	s_waitcnt vmcnt(6)
	v_lshlrev_b32_e32 v9, 16, v54
	v_lshlrev_b32_e32 v8, 16, v37
	v_add_f32_e32 v10, v4, v5
	ds_read_b128 v[4:7], v35 offset:240
	s_waitcnt lgkmcnt(1)
	v_pk_mul_f32 v[0:1], v[0:1], v[8:9]
	v_add_f32_e32 v0, v10, v0
	v_add_f32_e32 v8, v0, v1
	s_waitcnt vmcnt(4)
	v_lshlrev_b32_e32 v1, 16, v13
	v_lshlrev_b32_e32 v0, 16, v12
	v_pk_mul_f32 v[0:1], v[2:3], v[0:1]
	v_add_f32_e32 v0, v8, v0
	v_add_f32_e32 v2, v0, v1
	s_waitcnt vmcnt(2)
	v_lshlrev_b32_e32 v1, 16, v34
	v_lshlrev_b32_e32 v0, 16, v14
	s_waitcnt lgkmcnt(0)
	v_pk_mul_f32 v[0:1], v[4:5], v[0:1]
	v_add_f32_e32 v0, v2, v0
	v_add_f32_e32 v2, v0, v1
	s_waitcnt vmcnt(1)
	v_lshlrev_b32_e32 v0, 16, v15
	s_waitcnt vmcnt(0)
	v_lshlrev_b32_e32 v1, 16, v16
	v_pk_mul_f32 v[0:1], v[6:7], v[0:1]
	v_add_f32_e32 v0, v2, v0
	v_add_f32_e32 v119, v0, v1
	s_branch .LBB317_16
.LBB317_19:
	v_mov_b32_e32 v0, 0
	ds_read_b32 v0, v0 offset:2560
	s_cmp_lg_u64 s[2:3], 0
	s_cbranch_scc0 .LBB317_28
; %bb.20:
	s_load_dword s4, s[2:3], 0x0
	s_waitcnt lgkmcnt(0)
	v_div_scale_f32 v1, s[2:3], s4, s4, 1.0
	v_rcp_f32_e32 v2, v1
	v_div_scale_f32 v3, vcc, 1.0, s4, 1.0
	v_fma_f32 v4, -v1, v2, 1.0
	v_fmac_f32_e32 v2, v4, v2
	v_mul_f32_e32 v4, v3, v2
	v_fma_f32 v5, -v1, v4, v3
	v_fmac_f32_e32 v4, v5, v2
	v_fma_f32 v1, -v1, v4, v3
	v_div_fmas_f32 v1, v1, v2, v4
	v_div_fixup_f32 v1, v1, s4, 1.0
	s_andn2_b64 vcc, exec, s[38:39]
	s_cbranch_vccnz .LBB317_22
.LBB317_21:
	s_add_u32 s2, s36, s40
	s_addc_u32 s3, s37, s41
	s_load_dword s34, s[2:3], 0x0
	s_mov_b32 s35, 0
.LBB317_22:
	s_waitcnt lgkmcnt(0)
	v_add_f32_e32 v0, 0x358637bd, v0
	v_div_scale_f32 v2, s[2:3], v0, v0, 1.0
	v_rcp_f32_e32 v3, v2
	v_div_scale_f32 v4, vcc, 1.0, v0, 1.0
	s_mov_b32 s2, 0x7f800000
	v_fma_f32 v5, -v2, v3, 1.0
	v_fmac_f32_e32 v3, v5, v3
	v_mul_f32_e32 v5, v4, v3
	v_fma_f32 v6, -v2, v5, v4
	v_fmac_f32_e32 v5, v6, v3
	v_fma_f32 v2, -v2, v5, v4
	v_div_fmas_f32 v2, v2, v3, v5
	v_div_fixup_f32 v0, v2, v0, 1.0
	v_mul_f32_e32 v0, v119, v0
	v_mul_f32_e32 v1, v0, v1
	v_and_b32_e32 v0, 0x7f800000, v1
	v_cmp_ne_u32_e32 vcc, s2, v0
                                        ; implicit-def: $vgpr0
	s_and_saveexec_b64 s[2:3], vcc
	s_xor_b64 s[2:3], exec, s[2:3]
; %bb.23:
	v_bfe_u32 v0, v1, 16, 1
	s_movk_i32 s4, 0x7fff
	v_add3_u32 v0, v1, v0, s4
                                        ; implicit-def: $vgpr1
; %bb.24:
	s_andn2_saveexec_b64 s[2:3], s[2:3]
; %bb.25:
	v_mov_b32_e32 v0, 0
	v_or_b32_e32 v2, 0x10000, v1
	v_cmp_eq_u32_sdwa vcc, v1, v0 src0_sel:WORD_0 src1_sel:DWORD
	v_cndmask_b32_e32 v0, v2, v1, vcc
; %bb.26:
	s_or_b64 exec, exec, s[2:3]
	s_mul_i32 s2, s7, s35
	s_mul_hi_u32 s3, s7, s34
	s_add_i32 s3, s3, s2
	s_mul_i32 s2, s7, s34
	s_lshl_b64 s[2:3], s[2:3], 8
	s_add_u32 s2, s0, s2
	s_mov_b32 s7, 0
	s_addc_u32 s3, s1, s3
	s_lshl_b64 s[0:1], s[6:7], 8
	s_add_u32 s0, s2, s0
	s_addc_u32 s1, s3, s1
	global_store_short_d16_hi v116, v0, s[0:1]
	s_endpgm
.LBB317_27:
	s_mov_b64 s[2:3], 0
	s_branch .LBB317_2
.LBB317_28:
	v_mov_b32_e32 v1, 1.0
	s_andn2_b64 vcc, exec, s[38:39]
	s_cbranch_vccz .LBB317_21
	s_branch .LBB317_22
	.section	.rodata,"a",@progbits
	.p2align	6, 0x0
	.amdhsa_kernel _Z35paged_attention_ll4mi_reduce_kernelI14__hip_bfloat16S0_Li128ELi128ELi256ELi10EEvPT0_PKfS4_PKT_PKiS9_iS4_
		.amdhsa_group_segment_fixed_size 2564
		.amdhsa_private_segment_fixed_size 0
		.amdhsa_kernarg_size 320
		.amdhsa_user_sgpr_count 6
		.amdhsa_user_sgpr_private_segment_buffer 1
		.amdhsa_user_sgpr_dispatch_ptr 0
		.amdhsa_user_sgpr_queue_ptr 0
		.amdhsa_user_sgpr_kernarg_segment_ptr 1
		.amdhsa_user_sgpr_dispatch_id 0
		.amdhsa_user_sgpr_flat_scratch_init 0
		.amdhsa_user_sgpr_kernarg_preload_length 0
		.amdhsa_user_sgpr_kernarg_preload_offset 0
		.amdhsa_user_sgpr_private_segment_size 0
		.amdhsa_uses_dynamic_stack 0
		.amdhsa_system_sgpr_private_segment_wavefront_offset 0
		.amdhsa_system_sgpr_workgroup_id_x 1
		.amdhsa_system_sgpr_workgroup_id_y 1
		.amdhsa_system_sgpr_workgroup_id_z 0
		.amdhsa_system_sgpr_workgroup_info 0
		.amdhsa_system_vgpr_workitem_id 0
		.amdhsa_next_free_vgpr 136
		.amdhsa_next_free_sgpr 49
		.amdhsa_accum_offset 136
		.amdhsa_reserve_vcc 1
		.amdhsa_reserve_flat_scratch 0
		.amdhsa_float_round_mode_32 0
		.amdhsa_float_round_mode_16_64 0
		.amdhsa_float_denorm_mode_32 3
		.amdhsa_float_denorm_mode_16_64 3
		.amdhsa_dx10_clamp 1
		.amdhsa_ieee_mode 1
		.amdhsa_fp16_overflow 0
		.amdhsa_tg_split 0
		.amdhsa_exception_fp_ieee_invalid_op 0
		.amdhsa_exception_fp_denorm_src 0
		.amdhsa_exception_fp_ieee_div_zero 0
		.amdhsa_exception_fp_ieee_overflow 0
		.amdhsa_exception_fp_ieee_underflow 0
		.amdhsa_exception_fp_ieee_inexact 0
		.amdhsa_exception_int_div_zero 0
	.end_amdhsa_kernel
	.section	.text._Z35paged_attention_ll4mi_reduce_kernelI14__hip_bfloat16S0_Li128ELi128ELi256ELi10EEvPT0_PKfS4_PKT_PKiS9_iS4_,"axG",@progbits,_Z35paged_attention_ll4mi_reduce_kernelI14__hip_bfloat16S0_Li128ELi128ELi256ELi10EEvPT0_PKfS4_PKT_PKiS9_iS4_,comdat
.Lfunc_end317:
	.size	_Z35paged_attention_ll4mi_reduce_kernelI14__hip_bfloat16S0_Li128ELi128ELi256ELi10EEvPT0_PKfS4_PKT_PKiS9_iS4_, .Lfunc_end317-_Z35paged_attention_ll4mi_reduce_kernelI14__hip_bfloat16S0_Li128ELi128ELi256ELi10EEvPT0_PKfS4_PKT_PKiS9_iS4_
                                        ; -- End function
	.section	.AMDGPU.csdata,"",@progbits
; Kernel info:
; codeLenInByte = 10992
; NumSgprs: 53
; NumVgprs: 136
; NumAgprs: 0
; TotalNumVgprs: 136
; ScratchSize: 0
; MemoryBound: 0
; FloatMode: 240
; IeeeMode: 1
; LDSByteSize: 2564 bytes/workgroup (compile time only)
; SGPRBlocks: 6
; VGPRBlocks: 16
; NumSGPRsForWavesPerEU: 53
; NumVGPRsForWavesPerEU: 136
; AccumOffset: 136
; Occupancy: 3
; WaveLimiterHint : 1
; COMPUTE_PGM_RSRC2:SCRATCH_EN: 0
; COMPUTE_PGM_RSRC2:USER_SGPR: 6
; COMPUTE_PGM_RSRC2:TRAP_HANDLER: 0
; COMPUTE_PGM_RSRC2:TGID_X_EN: 1
; COMPUTE_PGM_RSRC2:TGID_Y_EN: 1
; COMPUTE_PGM_RSRC2:TGID_Z_EN: 0
; COMPUTE_PGM_RSRC2:TIDIG_COMP_CNT: 0
; COMPUTE_PGM_RSRC3_GFX90A:ACCUM_OFFSET: 33
; COMPUTE_PGM_RSRC3_GFX90A:TG_SPLIT: 0
	.section	.text._Z35paged_attention_ll4mi_reduce_kernelI14__hip_bfloat16S0_Li128ELi128ELi256ELi11EEvPT0_PKfS4_PKT_PKiS9_iS4_,"axG",@progbits,_Z35paged_attention_ll4mi_reduce_kernelI14__hip_bfloat16S0_Li128ELi128ELi256ELi11EEvPT0_PKfS4_PKT_PKiS9_iS4_,comdat
	.protected	_Z35paged_attention_ll4mi_reduce_kernelI14__hip_bfloat16S0_Li128ELi128ELi256ELi11EEvPT0_PKfS4_PKT_PKiS9_iS4_ ; -- Begin function _Z35paged_attention_ll4mi_reduce_kernelI14__hip_bfloat16S0_Li128ELi128ELi256ELi11EEvPT0_PKfS4_PKT_PKiS9_iS4_
	.globl	_Z35paged_attention_ll4mi_reduce_kernelI14__hip_bfloat16S0_Li128ELi128ELi256ELi11EEvPT0_PKfS4_PKT_PKiS9_iS4_
	.p2align	8
	.type	_Z35paged_attention_ll4mi_reduce_kernelI14__hip_bfloat16S0_Li128ELi128ELi256ELi11EEvPT0_PKfS4_PKT_PKiS9_iS4_,@function
_Z35paged_attention_ll4mi_reduce_kernelI14__hip_bfloat16S0_Li128ELi128ELi256ELi11EEvPT0_PKfS4_PKT_PKiS9_iS4_: ; @_Z35paged_attention_ll4mi_reduce_kernelI14__hip_bfloat16S0_Li128ELi128ELi256ELi11EEvPT0_PKfS4_PKT_PKiS9_iS4_
; %bb.0:
	s_load_dwordx2 s[34:35], s[4:5], 0x28
	s_mov_b32 s26, s7
	s_mov_b64 s[0:1], 0
	s_waitcnt lgkmcnt(0)
	s_cmp_lg_u64 s[34:35], 0
	s_cselect_b64 s[40:41], -1, 0
	s_and_b64 vcc, exec, s[40:41]
	s_cbranch_vccz .LBB318_27
; %bb.1:
	s_add_i32 s2, s26, 1
	s_mov_b32 s3, 0
	s_lshl_b64 s[8:9], s[2:3], 2
	s_add_u32 s8, s34, s8
	s_mov_b32 s27, s3
	s_addc_u32 s9, s35, s9
	s_lshl_b64 s[2:3], s[26:27], 2
	s_add_u32 s2, s34, s2
	s_addc_u32 s3, s35, s3
	s_load_dword s7, s[8:9], 0x0
	s_load_dword s10, s[2:3], 0x0
	s_waitcnt lgkmcnt(0)
	s_sub_i32 s2, s7, s10
	s_cmp_eq_u32 s2, 1
	s_cselect_b64 s[2:3], -1, 0
	s_andn2_b64 vcc, exec, s[0:1]
	s_cbranch_vccnz .LBB318_3
.LBB318_2:
	s_mov_b32 s27, 0
	s_mov_b64 s[2:3], -1
.LBB318_3:
	s_andn2_b64 vcc, exec, s[2:3]
	s_cbranch_vccz .LBB318_5
; %bb.4:
	s_endpgm
.LBB318_5:
	s_load_dwordx4 s[28:31], s[4:5], 0x18
	s_load_dword s8, s[4:5], 0x30
	s_lshl_b64 s[42:43], s[26:27], 2
	v_cmp_lt_u32_e32 vcc, 63, v0
	s_waitcnt lgkmcnt(0)
	s_add_u32 s0, s30, s42
	s_addc_u32 s1, s31, s43
	s_load_dword s50, s[0:1], 0x0
	s_load_dword s7, s[4:5], 0x40
	s_mul_i32 s30, s6, s8
	s_mul_i32 s2, s26, s8
	s_waitcnt lgkmcnt(0)
	s_add_i32 s3, s50, 0xff
	s_ashr_i32 s0, s3, 31
	s_lshr_b32 s0, s0, 24
	s_add_i32 s3, s3, s0
	s_and_saveexec_b64 s[0:1], vcc
	s_xor_b64 s[0:1], exec, s[0:1]
	s_or_saveexec_b64 s[44:45], s[0:1]
	s_ashr_i32 s33, s3, 8
	v_mov_b32_e32 v1, s30
	s_mul_i32 s46, s2, s7
	s_xor_b64 exec, exec, s[44:45]
	s_cbranch_execz .LBB318_9
; %bb.6:
	s_add_i32 s0, s33, -1
	v_or_b32_e32 v3, 64, v0
	v_mov_b32_e32 v1, s0
	v_cmp_gt_u32_e64 s[20:21], s33, v3
	v_cndmask_b32_e64 v4, v1, v3, s[20:21]
	v_or_b32_e32 v3, 0x80, v0
	v_cmp_gt_u32_e64 s[18:19], s33, v3
	v_cndmask_b32_e64 v6, v1, v3, s[18:19]
	v_or_b32_e32 v3, 0xc0, v0
	;; [unrolled: 3-line block ×6, first 2 shown]
	s_load_dwordx4 s[36:39], s[4:5], 0x8
	v_cmp_gt_u32_e64 s[8:9], s33, v3
	v_cndmask_b32_e64 v16, v1, v3, s[8:9]
	v_or_b32_e32 v3, 0x200, v0
	v_cmp_gt_u32_e64 s[2:3], s33, v3
	s_mov_b32 s47, 0
	v_cndmask_b32_e64 v18, v1, v3, s[2:3]
	v_or_b32_e32 v3, 0x240, v0
	v_cmp_gt_u32_e64 s[0:1], s33, v3
	s_lshl_b64 s[48:49], s[46:47], 2
	s_mov_b32 s31, s47
	v_cmp_gt_u32_e64 s[22:23], s33, v0
	v_cndmask_b32_e64 v20, v1, v3, s[0:1]
	v_or_b32_e32 v3, 0x280, v0
	s_waitcnt lgkmcnt(0)
	s_add_u32 s24, s38, s48
	v_cndmask_b32_e64 v2, v1, v0, s[22:23]
	v_cmp_gt_u32_e32 vcc, s33, v3
	s_addc_u32 s25, s39, s49
	s_lshl_b64 s[38:39], s[30:31], 2
	v_cndmask_b32_e32 v22, v1, v3, vcc
	s_add_u32 s31, s24, s38
	v_ashrrev_i32_e32 v3, 31, v2
	s_addc_u32 s47, s25, s39
	v_lshlrev_b64 v[2:3], 2, v[2:3]
	v_mov_b32_e32 v1, s47
	v_add_co_u32_e64 v24, s[24:25], s31, v2
	v_ashrrev_i32_e32 v5, 31, v4
	v_addc_co_u32_e64 v25, s[24:25], v1, v3, s[24:25]
	v_lshlrev_b64 v[4:5], 2, v[4:5]
	v_add_co_u32_e64 v26, s[24:25], s31, v4
	v_ashrrev_i32_e32 v7, 31, v6
	v_addc_co_u32_e64 v27, s[24:25], v1, v5, s[24:25]
	v_lshlrev_b64 v[6:7], 2, v[6:7]
	;; [unrolled: 4-line block ×8, first 2 shown]
	global_load_dword v1, v[24:25], off
	global_load_dword v40, v[26:27], off
	;; [unrolled: 1-line block ×3, first 2 shown]
	s_nop 0
	global_load_dword v30, v[30:31], off
	s_nop 0
	global_load_dword v31, v[32:33], off
	;; [unrolled: 2-line block ×3, first 2 shown]
	global_load_dword v33, v[36:37], off
	s_nop 0
	global_load_dword v34, v[38:39], off
	v_mov_b32_e32 v21, s47
	v_add_co_u32_e64 v24, s[24:25], s31, v18
	v_addc_co_u32_e64 v25, s[24:25], v21, v19, s[24:25]
	v_ashrrev_i32_e32 v21, 31, v20
	v_lshlrev_b64 v[20:21], 2, v[20:21]
	v_mov_b32_e32 v23, s47
	v_add_co_u32_e64 v26, s[24:25], s31, v20
	v_addc_co_u32_e64 v27, s[24:25], v23, v21, s[24:25]
	v_ashrrev_i32_e32 v23, 31, v22
	v_lshlrev_b64 v[22:23], 2, v[22:23]
	v_mov_b32_e32 v29, s47
	v_add_co_u32_e64 v28, s[24:25], s31, v22
	v_addc_co_u32_e64 v29, s[24:25], v29, v23, s[24:25]
	global_load_dword v24, v[24:25], off
	s_nop 0
	global_load_dword v25, v[26:27], off
	s_nop 0
	global_load_dword v26, v[28:29], off
	v_mbcnt_lo_u32_b32 v28, -1, 0
	v_mbcnt_hi_u32_b32 v28, -1, v28
	v_and_b32_e32 v29, 64, v28
	v_add_u32_e32 v29, 64, v29
	v_xor_b32_e32 v35, 32, v28
	v_cmp_lt_i32_e64 s[24:25], v35, v29
	v_cndmask_b32_e64 v35, v28, v35, s[24:25]
	v_lshlrev_b32_e32 v35, 2, v35
	s_waitcnt vmcnt(8)
	v_max3_f32 v27, v1, v40, v41
	s_waitcnt vmcnt(6)
	v_max3_f32 v27, v27, v30, v31
	;; [unrolled: 2-line block ×5, first 2 shown]
	ds_bpermute_b32 v36, v35, v27
	s_waitcnt lgkmcnt(0)
	v_max_f32_e32 v36, v36, v36
	v_max_f32_e32 v27, v27, v36
	v_xor_b32_e32 v36, 16, v28
	v_cmp_lt_i32_e64 s[24:25], v36, v29
	v_cndmask_b32_e64 v36, v28, v36, s[24:25]
	v_lshlrev_b32_e32 v36, 2, v36
	ds_bpermute_b32 v37, v36, v27
	s_waitcnt lgkmcnt(0)
	v_max_f32_e32 v37, v37, v37
	v_max_f32_e32 v27, v27, v37
	v_xor_b32_e32 v37, 8, v28
	v_cmp_lt_i32_e64 s[24:25], v37, v29
	v_cndmask_b32_e64 v37, v28, v37, s[24:25]
	v_lshlrev_b32_e32 v37, 2, v37
	;; [unrolled: 8-line block ×4, first 2 shown]
	ds_bpermute_b32 v42, v39, v27
	s_waitcnt lgkmcnt(0)
	v_max_f32_e32 v42, v42, v42
	v_max_f32_e32 v27, v27, v42
	v_xor_b32_e32 v42, 1, v28
	v_cmp_lt_i32_e64 s[24:25], v42, v29
	v_cndmask_b32_e64 v28, v28, v42, s[24:25]
	s_add_u32 s24, s36, s48
	s_addc_u32 s25, s37, s49
	s_add_u32 s31, s24, s38
	s_addc_u32 s36, s25, s39
	v_mov_b32_e32 v42, s36
	v_add_co_u32_e64 v2, s[24:25], s31, v2
	v_addc_co_u32_e64 v3, s[24:25], v42, v3, s[24:25]
	v_add_co_u32_e64 v4, s[24:25], s31, v4
	v_addc_co_u32_e64 v5, s[24:25], v42, v5, s[24:25]
	global_load_dword v42, v[2:3], off
	global_load_dword v43, v[4:5], off
	v_mov_b32_e32 v3, s36
	v_add_co_u32_e64 v2, s[24:25], s31, v6
	v_addc_co_u32_e64 v3, s[24:25], v3, v7, s[24:25]
	v_mov_b32_e32 v5, s36
	v_add_co_u32_e64 v4, s[24:25], s31, v8
	v_addc_co_u32_e64 v5, s[24:25], v5, v9, s[24:25]
	;; [unrolled: 3-line block ×6, first 2 shown]
	global_load_dword v14, v[2:3], off
	global_load_dword v15, v[4:5], off
	;; [unrolled: 1-line block ×6, first 2 shown]
	v_lshlrev_b32_e32 v28, 2, v28
	ds_bpermute_b32 v29, v28, v27
	v_mov_b32_e32 v3, s36
	v_add_co_u32_e64 v2, s[24:25], s31, v18
	v_addc_co_u32_e64 v3, s[24:25], v3, v19, s[24:25]
	s_waitcnt lgkmcnt(0)
	v_max_f32_e32 v8, v29, v29
	v_mov_b32_e32 v5, s36
	v_add_co_u32_e64 v4, s[24:25], s31, v20
	v_max_f32_e32 v8, v27, v8
	v_addc_co_u32_e64 v5, s[24:25], v5, v21, s[24:25]
	v_sub_f32_e32 v1, v1, v8
	v_add_co_u32_e64 v6, s[24:25], s31, v22
	s_mov_b32 s31, 0x3fb8aa3b
	v_mul_f32_e32 v9, 0x3fb8aa3b, v1
	v_fma_f32 v10, v1, s31, -v9
	v_rndne_f32_e32 v11, v9
	v_fmac_f32_e32 v10, 0x32a5705f, v1
	v_sub_f32_e32 v9, v9, v11
	v_add_f32_e32 v9, v9, v10
	v_exp_f32_e32 v9, v9
	v_cvt_i32_f32_e32 v10, v11
	v_mov_b32_e32 v7, s36
	v_addc_co_u32_e64 v7, s[24:25], v7, v23, s[24:25]
	global_load_dword v2, v[2:3], off
	s_nop 0
	global_load_dword v3, v[4:5], off
	global_load_dword v11, v[6:7], off
	v_sub_f32_e32 v6, v40, v8
	v_mul_f32_e32 v7, 0x3fb8aa3b, v6
	v_ldexp_f32 v4, v9, v10
	v_fma_f32 v9, v6, s31, -v7
	v_rndne_f32_e32 v10, v7
	v_fmac_f32_e32 v9, 0x32a5705f, v6
	v_sub_f32_e32 v7, v7, v10
	v_add_f32_e32 v7, v7, v9
	v_exp_f32_e32 v7, v7
	v_cvt_i32_f32_e32 v9, v10
	s_mov_b32 s36, 0xc2ce8ed0
	v_cmp_ngt_f32_e64 s[24:25], s36, v1
	s_mov_b32 s37, 0x42b17218
	v_cndmask_b32_e64 v4, 0, v4, s[24:25]
	v_mov_b32_e32 v5, 0x7f800000
	v_cmp_nlt_f32_e64 s[24:25], s37, v1
	v_cndmask_b32_e64 v1, v5, v4, s[24:25]
	v_ldexp_f32 v4, v7, v9
	v_sub_f32_e32 v7, v41, v8
	v_mul_f32_e32 v9, 0x3fb8aa3b, v7
	v_fma_f32 v10, v7, s31, -v9
	v_rndne_f32_e32 v12, v9
	v_fmac_f32_e32 v10, 0x32a5705f, v7
	v_sub_f32_e32 v9, v9, v12
	v_add_f32_e32 v9, v9, v10
	v_exp_f32_e32 v9, v9
	v_cvt_i32_f32_e32 v10, v12
	v_cndmask_b32_e64 v1, 0, v1, s[22:23]
	v_cmp_ngt_f32_e64 s[22:23], s36, v6
	v_cndmask_b32_e64 v4, 0, v4, s[22:23]
	v_cmp_nlt_f32_e64 s[22:23], s37, v6
	v_ldexp_f32 v6, v9, v10
	v_sub_f32_e32 v9, v30, v8
	v_mul_f32_e32 v10, 0x3fb8aa3b, v9
	v_fma_f32 v12, v9, s31, -v10
	v_rndne_f32_e32 v13, v10
	v_fmac_f32_e32 v12, 0x32a5705f, v9
	v_sub_f32_e32 v10, v10, v13
	v_add_f32_e32 v10, v10, v12
	v_exp_f32_e32 v10, v10
	v_cvt_i32_f32_e32 v12, v13
	v_cndmask_b32_e64 v4, v5, v4, s[22:23]
	v_cndmask_b32_e64 v4, 0, v4, s[20:21]
	v_cmp_ngt_f32_e64 s[20:21], s36, v7
	v_cndmask_b32_e64 v6, 0, v6, s[20:21]
	v_cmp_nlt_f32_e64 s[20:21], s37, v7
	v_cndmask_b32_e64 v6, v5, v6, s[20:21]
	v_ldexp_f32 v7, v10, v12
	v_sub_f32_e32 v10, v31, v8
	v_cndmask_b32_e64 v6, 0, v6, s[18:19]
	v_mul_f32_e32 v12, 0x3fb8aa3b, v10
	s_waitcnt vmcnt(8)
	v_mul_f32_e32 v6, v14, v6
	v_fma_f32 v13, v10, s31, -v12
	v_rndne_f32_e32 v14, v12
	v_fmac_f32_e32 v13, 0x32a5705f, v10
	v_sub_f32_e32 v12, v12, v14
	v_add_f32_e32 v12, v12, v13
	v_exp_f32_e32 v12, v12
	v_cvt_i32_f32_e32 v13, v14
	v_cmp_ngt_f32_e64 s[18:19], s36, v9
	v_cndmask_b32_e64 v7, 0, v7, s[18:19]
	v_cmp_nlt_f32_e64 s[18:19], s37, v9
	v_cndmask_b32_e64 v7, v5, v7, s[18:19]
	v_ldexp_f32 v9, v12, v13
	v_sub_f32_e32 v12, v32, v8
	v_cndmask_b32_e64 v7, 0, v7, s[16:17]
	v_mul_f32_e32 v13, 0x3fb8aa3b, v12
	s_waitcnt vmcnt(7)
	v_mul_f32_e32 v7, v15, v7
	v_fma_f32 v14, v12, s31, -v13
	v_rndne_f32_e32 v15, v13
	v_fmac_f32_e32 v14, 0x32a5705f, v12
	v_sub_f32_e32 v13, v13, v15
	v_add_f32_e32 v13, v13, v14
	v_exp_f32_e32 v13, v13
	v_cvt_i32_f32_e32 v14, v15
	;; [unrolled: 17-line block ×4, first 2 shown]
	v_cmp_ngt_f32_e64 s[12:13], s36, v13
	v_cndmask_b32_e64 v12, 0, v12, s[12:13]
	v_cmp_nlt_f32_e64 s[12:13], s37, v13
	v_ldexp_f32 v13, v15, v16
	v_sub_f32_e32 v15, v24, v8
	v_mul_f32_e32 v16, 0x3fb8aa3b, v15
	v_fma_f32 v17, v15, s31, -v16
	v_rndne_f32_e32 v18, v16
	v_fmac_f32_e32 v17, 0x32a5705f, v15
	v_sub_f32_e32 v16, v16, v18
	v_add_f32_e32 v16, v16, v17
	v_exp_f32_e32 v16, v16
	v_cvt_i32_f32_e32 v17, v18
	v_cndmask_b32_e64 v12, v5, v12, s[12:13]
	v_cndmask_b32_e64 v12, 0, v12, s[10:11]
	v_cmp_ngt_f32_e64 s[10:11], s36, v14
	v_cndmask_b32_e64 v13, 0, v13, s[10:11]
	v_cmp_nlt_f32_e64 s[10:11], s37, v14
	v_ldexp_f32 v14, v16, v17
	v_sub_f32_e32 v16, v25, v8
	v_mul_f32_e32 v17, 0x3fb8aa3b, v16
	v_fma_f32 v18, v16, s31, -v17
	v_rndne_f32_e32 v19, v17
	v_fmac_f32_e32 v18, 0x32a5705f, v16
	v_sub_f32_e32 v17, v17, v19
	v_cndmask_b32_e64 v13, v5, v13, s[10:11]
	v_add_f32_e32 v17, v17, v18
	v_cndmask_b32_e64 v13, 0, v13, s[8:9]
	v_cmp_ngt_f32_e64 s[8:9], s36, v15
	v_exp_f32_e32 v17, v17
	v_cvt_i32_f32_e32 v18, v19
	v_cndmask_b32_e64 v14, 0, v14, s[8:9]
	v_cmp_nlt_f32_e64 s[8:9], s37, v15
	v_cndmask_b32_e64 v14, v5, v14, s[8:9]
	v_sub_f32_e32 v8, v26, v8
	v_cndmask_b32_e64 v14, 0, v14, s[2:3]
	v_mul_f32_e32 v15, 0x3fb8aa3b, v8
	s_waitcnt vmcnt(2)
	v_mul_f32_e32 v14, v2, v14
	v_ldexp_f32 v2, v17, v18
	v_fma_f32 v17, v8, s31, -v15
	v_rndne_f32_e32 v18, v15
	v_fmac_f32_e32 v17, 0x32a5705f, v8
	v_sub_f32_e32 v15, v15, v18
	v_add_f32_e32 v15, v15, v17
	v_cmp_ngt_f32_e64 s[2:3], s36, v16
	v_exp_f32_e32 v15, v15
	v_cvt_i32_f32_e32 v17, v18
	v_cndmask_b32_e64 v2, 0, v2, s[2:3]
	v_cmp_nlt_f32_e64 s[2:3], s37, v16
	v_cndmask_b32_e64 v2, v5, v2, s[2:3]
	v_cndmask_b32_e64 v2, 0, v2, s[0:1]
	s_waitcnt vmcnt(1)
	v_mul_f32_e32 v3, v3, v2
	v_ldexp_f32 v2, v15, v17
	v_cmp_ngt_f32_e64 s[0:1], s36, v8
	v_cndmask_b32_e64 v2, 0, v2, s[0:1]
	v_cmp_nlt_f32_e64 s[0:1], s37, v8
	v_cndmask_b32_e64 v2, v5, v2, s[0:1]
	v_mul_f32_e32 v1, v42, v1
	v_mul_f32_e32 v4, v43, v4
	v_cndmask_b32_e32 v2, 0, v2, vcc
	s_waitcnt vmcnt(0)
	v_mul_f32_e32 v5, v11, v2
	v_add_f32_e32 v2, v1, v4
	v_add_f32_e32 v2, v2, v6
	v_add_f32_e32 v2, v2, v7
	v_add_f32_e32 v2, v2, v9
	v_mul_f32_e32 v12, v44, v12
	v_add_f32_e32 v2, v2, v10
	v_mul_f32_e32 v13, v45, v13
	v_add_f32_e32 v2, v2, v12
	v_add_f32_e32 v2, v2, v13
	;; [unrolled: 1-line block ×5, first 2 shown]
	ds_bpermute_b32 v8, v35, v2
	v_lshlrev_b32_e32 v11, 2, v0
	ds_write2st64_b32 v11, v1, v4 offset1:1
	ds_write2st64_b32 v11, v6, v7 offset0:2 offset1:3
	ds_write2st64_b32 v11, v9, v10 offset0:4 offset1:5
	v_cmp_eq_u32_e32 vcc, 0, v0
	ds_write2st64_b32 v11, v12, v13 offset0:6 offset1:7
	ds_write2st64_b32 v11, v14, v3 offset0:8 offset1:9
	ds_write_b32 v11, v5 offset:2560
	s_waitcnt lgkmcnt(6)
	v_add_f32_e32 v2, v2, v8
	ds_bpermute_b32 v8, v36, v2
	s_waitcnt lgkmcnt(0)
	v_add_f32_e32 v2, v2, v8
	ds_bpermute_b32 v8, v37, v2
	;; [unrolled: 3-line block ×5, first 2 shown]
	s_and_saveexec_b64 s[0:1], vcc
	s_cbranch_execz .LBB318_8
; %bb.7:
	s_waitcnt lgkmcnt(0)
	v_add_f32_e32 v1, v1, v2
	v_mov_b32_e32 v2, 0
	ds_write_b32 v2, v1 offset:2816
.LBB318_8:
	s_or_b64 exec, exec, s[0:1]
	v_mov_b32_e32 v1, s30
.LBB318_9:
	s_or_b64 exec, exec, s[44:45]
	s_lshl_b32 s0, s46, 7
	s_mov_b32 s1, 0
	s_lshl_b64 s[0:1], s[0:1], 1
	s_add_u32 s0, s28, s0
	s_addc_u32 s1, s29, s1
	s_lshl_b32 s10, s33, 7
	s_waitcnt lgkmcnt(0)
	v_lshlrev_b32_e32 v2, 7, v1
	v_mov_b32_e32 v3, 0
	s_add_i32 s11, s10, 0xffffff80
	v_lshlrev_b64 v[4:5], 1, v[2:3]
	s_cmp_lt_i32 s50, 1
	v_mov_b32_e32 v1, s1
	v_add_co_u32_e32 v2, vcc, s0, v4
	s_cselect_b32 s0, s11, 0
	v_addc_co_u32_e32 v1, vcc, v1, v5, vcc
	v_lshlrev_b32_e32 v116, 1, v0
	s_ashr_i32 s1, s0, 31
	v_add_co_u32_e32 v117, vcc, v2, v116
	s_lshl_b64 s[0:1], s[0:1], 1
	v_addc_co_u32_e32 v118, vcc, 0, v1, vcc
	s_cmpk_lt_i32 s50, 0x101
	v_add_co_u32_e32 v0, vcc, s0, v117
	s_cselect_b32 s0, s11, 0x80
	v_mov_b32_e32 v1, s1
	s_ashr_i32 s1, s0, 31
	s_lshl_b64 s[0:1], s[0:1], 1
	v_addc_co_u32_e32 v1, vcc, v118, v1, vcc
	s_cmpk_lt_i32 s50, 0x201
	v_add_co_u32_e32 v4, vcc, s0, v117
	s_cselect_b32 s0, s11, 0x100
	v_mov_b32_e32 v2, s1
	s_ashr_i32 s1, s0, 31
	;; [unrolled: 7-line block ×8, first 2 shown]
	s_lshl_b64 s[0:1], s[0:1], 1
	v_addc_co_u32_e32 v17, vcc, v118, v2, vcc
	s_cmpk_lt_i32 s50, 0x901
	global_load_ushort v42, v[0:1], off
	global_load_ushort v41, v[4:5], off
	;; [unrolled: 1-line block ×8, first 2 shown]
	v_add_co_u32_e32 v0, vcc, s0, v117
	s_cselect_b32 s0, s11, 0x480
	v_mov_b32_e32 v1, s1
	s_ashr_i32 s1, s0, 31
	s_lshl_b64 s[0:1], s[0:1], 1
	v_addc_co_u32_e32 v1, vcc, v118, v1, vcc
	s_cmpk_lt_i32 s50, 0xa01
	v_add_co_u32_e32 v4, vcc, s0, v117
	s_cselect_b32 s0, s11, 0x500
	v_mov_b32_e32 v5, s1
	s_ashr_i32 s1, s0, 31
	s_lshl_b64 s[0:1], s[0:1], 1
	v_addc_co_u32_e32 v5, vcc, v118, v5, vcc
	s_cmpk_lt_i32 s50, 0xb01
	;; [unrolled: 7-line block ×6, first 2 shown]
	v_add_co_u32_e32 v14, vcc, s0, v117
	s_cselect_b32 s0, s11, 0x780
	v_mov_b32_e32 v15, s1
	s_ashr_i32 s1, s0, 31
	v_addc_co_u32_e32 v15, vcc, v118, v15, vcc
	s_lshl_b64 s[0:1], s[0:1], 1
	v_mov_b32_e32 v17, s1
	v_add_co_u32_e32 v16, vcc, s0, v117
	v_addc_co_u32_e32 v17, vcc, v118, v17, vcc
	global_load_ushort v49, v[0:1], off
	global_load_ushort v50, v[4:5], off
	;; [unrolled: 1-line block ×8, first 2 shown]
	s_cmpk_gt_i32 s50, 0x1000
	s_cselect_b64 s[8:9], -1, 0
	s_cmpk_lt_i32 s50, 0x1001
	v_mov_b32_e32 v59, 0
	v_mov_b32_e32 v60, 0
	;; [unrolled: 1-line block ×48, first 2 shown]
	s_barrier
	s_cbranch_scc1 .LBB318_12
; %bb.10:
	s_cmpk_lt_u32 s50, 0x1101
	s_cselect_b32 s0, s11, 0x880
	s_ashr_i32 s1, s0, 31
	v_add_co_u32_e32 v0, vcc, 0x1000, v117
	s_lshl_b64 s[0:1], s[0:1], 1
	v_addc_co_u32_e32 v1, vcc, 0, v118, vcc
	s_cmpk_lt_u32 s50, 0x1201
	v_add_co_u32_e32 v4, vcc, s0, v117
	s_cselect_b32 s0, s11, 0x900
	v_mov_b32_e32 v5, s1
	s_ashr_i32 s1, s0, 31
	s_lshl_b64 s[0:1], s[0:1], 1
	v_addc_co_u32_e32 v5, vcc, v118, v5, vcc
	s_cmpk_lt_u32 s50, 0x1301
	v_add_co_u32_e32 v6, vcc, s0, v117
	s_cselect_b32 s0, s11, 0x980
	v_mov_b32_e32 v7, s1
	s_ashr_i32 s1, s0, 31
	;; [unrolled: 7-line block ×7, first 2 shown]
	s_lshl_b64 s[0:1], s[0:1], 1
	v_addc_co_u32_e32 v17, vcc, v118, v17, vcc
	s_cmpk_lt_u32 s50, 0x1901
	global_load_ushort v58, v[0:1], off
	global_load_ushort v57, v[4:5], off
	;; [unrolled: 1-line block ×8, first 2 shown]
	v_add_co_u32_e32 v0, vcc, s0, v117
	s_cselect_b32 s0, s11, 0xc80
	v_mov_b32_e32 v1, s1
	s_ashr_i32 s1, s0, 31
	s_lshl_b64 s[0:1], s[0:1], 1
	v_addc_co_u32_e32 v1, vcc, v118, v1, vcc
	s_cmpk_lt_u32 s50, 0x1a01
	v_add_co_u32_e32 v4, vcc, s0, v117
	s_cselect_b32 s0, s11, 0xd00
	v_mov_b32_e32 v5, s1
	s_ashr_i32 s1, s0, 31
	s_lshl_b64 s[0:1], s[0:1], 1
	v_addc_co_u32_e32 v5, vcc, v118, v5, vcc
	s_cmpk_lt_u32 s50, 0x1b01
	;; [unrolled: 7-line block ×6, first 2 shown]
	v_add_co_u32_e32 v14, vcc, s0, v117
	s_cselect_b32 s0, s11, 0xf80
	v_mov_b32_e32 v15, s1
	s_ashr_i32 s1, s0, 31
	v_addc_co_u32_e32 v15, vcc, v118, v15, vcc
	s_lshl_b64 s[0:1], s[0:1], 1
	v_mov_b32_e32 v17, s1
	v_add_co_u32_e32 v16, vcc, s0, v117
	v_addc_co_u32_e32 v17, vcc, v118, v17, vcc
	global_load_ushort v66, v[0:1], off
	global_load_ushort v65, v[4:5], off
	;; [unrolled: 1-line block ×8, first 2 shown]
	s_cmpk_lt_u32 s50, 0x2001
	v_mov_b32_e32 v33, 0
	v_mov_b32_e32 v31, 0
	;; [unrolled: 1-line block ×32, first 2 shown]
	s_cbranch_scc1 .LBB318_12
; %bb.11:
	s_cmpk_lt_u32 s50, 0x2101
	s_cselect_b32 s0, s11, 0x1080
	s_ashr_i32 s1, s0, 31
	s_lshl_b64 s[0:1], s[0:1], 1
	s_cmpk_lt_u32 s50, 0x2201
	v_add_co_u32_e32 v0, vcc, s0, v117
	s_cselect_b32 s0, s11, 0x1100
	v_mov_b32_e32 v1, s1
	s_ashr_i32 s1, s0, 31
	s_lshl_b64 s[0:1], s[0:1], 1
	v_addc_co_u32_e32 v1, vcc, v118, v1, vcc
	s_cmpk_lt_u32 s50, 0x2301
	v_add_co_u32_e32 v4, vcc, s0, v117
	s_cselect_b32 s0, s11, 0x1180
	v_mov_b32_e32 v5, s1
	s_ashr_i32 s1, s0, 31
	s_lshl_b64 s[0:1], s[0:1], 1
	v_addc_co_u32_e32 v5, vcc, v118, v5, vcc
	;; [unrolled: 7-line block ×30, first 2 shown]
	v_mov_b32_e32 v67, s1
	s_movk_i32 s1, 0x2000
	v_add_co_u32_e32 v94, vcc, s1, v117
	v_addc_co_u32_e32 v95, vcc, 0, v118, vcc
	global_load_ushort v96, v[94:95], off
	global_load_ushort v97, v[0:1], off
	;; [unrolled: 1-line block ×15, first 2 shown]
                                        ; kill: killed $vgpr16 killed $vgpr17
                                        ; kill: killed $vgpr24 killed $vgpr25
                                        ; kill: killed $vgpr6 killed $vgpr7
                                        ; kill: killed $vgpr68 killed $vgpr69
                                        ; kill: killed $vgpr12 killed $vgpr13
                                        ; kill: killed $vgpr18 killed $vgpr19
                                        ; kill: killed $vgpr0 killed $vgpr1
                                        ; kill: killed $vgpr28 killed $vgpr29
                                        ; kill: killed $vgpr8 killed $vgpr9
                                        ; kill: killed $vgpr14 killed $vgpr15
                                        ; kill: killed $vgpr20 killed $vgpr21
                                        ; kill: killed $vgpr4 killed $vgpr5
                                        ; kill: killed $vgpr94 killed $vgpr95
                                        ; kill: killed $vgpr32 killed $vgpr33
                                        ; kill: killed $vgpr10 killed $vgpr11
	global_load_ushort v4, v[22:23], off
	global_load_ushort v5, v[26:27], off
	;; [unrolled: 1-line block ×15, first 2 shown]
                                        ; kill: killed $vgpr80 killed $vgpr81
                                        ; kill: killed $vgpr26 killed $vgpr27
                                        ; kill: killed $vgpr86 killed $vgpr87
                                        ; kill: killed $vgpr70 killed $vgpr71
                                        ; kill: killed $vgpr92 killed $vgpr93
                                        ; kill: killed $vgpr76 killed $vgpr77
                                        ; kill: killed $vgpr82 killed $vgpr83
                                        ; kill: killed $vgpr30 killed $vgpr31
                                        ; kill: killed $vgpr88 killed $vgpr89
                                        ; kill: killed $vgpr72 killed $vgpr73
                                        ; kill: killed $vgpr78 killed $vgpr79
                                        ; kill: killed $vgpr22 killed $vgpr23
                                        ; kill: killed $vgpr34 killed $vgpr35
                                        ; kill: killed $vgpr90 killed $vgpr91
                                        ; kill: killed $vgpr74 killed $vgpr75
	global_load_ushort v34, v[84:85], off
	v_add_co_u32_e32 v0, vcc, s0, v117
	v_addc_co_u32_e32 v1, vcc, v118, v67, vcc
	global_load_ushort v1, v[0:1], off
	s_waitcnt vmcnt(31)
	v_lshlrev_b32_e32 v33, 16, v96
	s_waitcnt vmcnt(30)
	v_lshlrev_b32_e32 v31, 16, v97
	s_waitcnt vmcnt(29)
	v_lshlrev_b32_e32 v32, 16, v98
	s_waitcnt vmcnt(28)
	v_lshlrev_b32_e32 v29, 16, v99
	s_waitcnt vmcnt(27)
	v_lshlrev_b32_e32 v30, 16, v100
	s_waitcnt vmcnt(26)
	v_lshlrev_b32_e32 v27, 16, v101
	s_waitcnt vmcnt(25)
	v_lshlrev_b32_e32 v28, 16, v102
	s_waitcnt vmcnt(24)
	v_lshlrev_b32_e32 v25, 16, v103
	s_waitcnt vmcnt(23)
	v_lshlrev_b32_e32 v26, 16, v104
	s_waitcnt vmcnt(22)
	v_lshlrev_b32_e32 v23, 16, v105
	s_waitcnt vmcnt(21)
	v_lshlrev_b32_e32 v24, 16, v106
	s_waitcnt vmcnt(20)
	v_lshlrev_b32_e32 v21, 16, v107
	s_waitcnt vmcnt(19)
	v_lshlrev_b32_e32 v22, 16, v108
	s_waitcnt vmcnt(18)
	v_lshlrev_b32_e32 v19, 16, v109
	s_waitcnt vmcnt(17)
	v_lshlrev_b32_e32 v20, 16, v110
	s_waitcnt vmcnt(16)
	v_lshlrev_b32_e32 v18, 16, v4
	s_waitcnt vmcnt(15)
	v_lshlrev_b32_e32 v17, 16, v5
	s_waitcnt vmcnt(14)
	v_lshlrev_b32_e32 v15, 16, v6
	s_waitcnt vmcnt(13)
	v_lshlrev_b32_e32 v16, 16, v7
	s_waitcnt vmcnt(12)
	v_lshlrev_b32_e32 v14, 16, v8
	s_waitcnt vmcnt(11)
	v_lshlrev_b32_e32 v8, 16, v9
	s_waitcnt vmcnt(10)
	v_lshlrev_b32_e32 v11, 16, v11
	s_waitcnt vmcnt(9)
	v_lshlrev_b32_e32 v10, 16, v10
	s_waitcnt vmcnt(8)
	v_lshlrev_b32_e32 v13, 16, v13
	s_waitcnt vmcnt(7)
	v_lshlrev_b32_e32 v12, 16, v12
	s_waitcnt vmcnt(6)
	v_lshlrev_b32_e32 v9, 16, v68
	s_waitcnt vmcnt(5)
	v_lshlrev_b32_e32 v0, 16, v69
	s_waitcnt vmcnt(4)
	v_lshlrev_b32_e32 v5, 16, v94
	s_waitcnt vmcnt(3)
	v_lshlrev_b32_e32 v4, 16, v95
	s_waitcnt vmcnt(2)
	v_lshlrev_b32_e32 v7, 16, v111
	s_waitcnt vmcnt(1)
	v_lshlrev_b32_e32 v6, 16, v34
	s_waitcnt vmcnt(0)
	v_lshlrev_b32_e32 v1, 16, v1
.LBB318_12:
	s_load_dwordx2 s[0:1], s[4:5], 0x0
	s_load_dwordx2 s[2:3], s[4:5], 0x38
	ds_read_b128 v[68:71], v3
	s_waitcnt vmcnt(15)
	v_lshlrev_b32_e32 v34, 16, v42
	ds_read_b128 v[72:75], v3 offset:16
	ds_read_b128 v[76:79], v3 offset:32
	;; [unrolled: 1-line block ×3, first 2 shown]
	s_waitcnt vmcnt(10)
	v_lshlrev_b32_e32 v35, 16, v38
	s_and_b64 vcc, exec, s[8:9]
	s_waitcnt lgkmcnt(0)
	v_fma_f32 v42, v68, v34, 0
	v_lshlrev_b32_e32 v34, 16, v41
	v_fmac_f32_e32 v42, v69, v34
	v_lshlrev_b32_e32 v34, 16, v40
	v_fmac_f32_e32 v42, v70, v34
	;; [unrolled: 2-line block ×3, first 2 shown]
	v_lshlrev_b32_e32 v34, 16, v37
	v_pk_mul_f32 v[34:35], v[72:73], v[34:35]
	v_add_f32_e32 v34, v42, v34
	v_add_f32_e32 v37, v34, v35
	s_waitcnt vmcnt(8)
	v_lshlrev_b32_e32 v35, 16, v36
	v_lshlrev_b32_e32 v34, 16, v2
	v_pk_mul_f32 v[34:35], v[74:75], v[34:35]
	v_add_f32_e32 v2, v37, v34
	v_add_f32_e32 v2, v2, v35
	s_waitcnt vmcnt(6)
	v_lshlrev_b32_e32 v35, 16, v50
	;; [unrolled: 6-line block ×5, first 2 shown]
	v_lshlrev_b32_e32 v34, 16, v43
	v_pk_mul_f32 v[34:35], v[82:83], v[34:35]
	v_add_f32_e32 v2, v2, v34
	v_add_f32_e32 v119, v2, v35
	s_cbranch_vccz .LBB318_15
; %bb.13:
	ds_read_b128 v[34:37], v3 offset:64
	v_lshlrev_b32_e32 v2, 16, v58
	ds_read_b128 v[38:41], v3 offset:80
	ds_read_b128 v[42:45], v3 offset:96
	;; [unrolled: 1-line block ×3, first 2 shown]
	s_cmpk_lt_u32 s50, 0x2001
	s_waitcnt lgkmcnt(3)
	v_fmac_f32_e32 v119, v34, v2
	v_lshlrev_b32_e32 v2, 16, v57
	v_fmac_f32_e32 v119, v35, v2
	v_lshlrev_b32_e32 v2, 16, v56
	v_fmac_f32_e32 v119, v36, v2
	v_lshlrev_b32_e32 v2, 16, v55
	v_fmac_f32_e32 v119, v37, v2
	v_lshlrev_b32_e32 v2, 16, v54
	s_waitcnt lgkmcnt(2)
	v_fmac_f32_e32 v119, v38, v2
	v_lshlrev_b32_e32 v2, 16, v53
	v_fmac_f32_e32 v119, v39, v2
	v_lshlrev_b32_e32 v2, 16, v52
	v_fmac_f32_e32 v119, v40, v2
	v_lshlrev_b32_e32 v2, 16, v51
	v_fmac_f32_e32 v119, v41, v2
	v_lshlrev_b32_e32 v2, 16, v66
	s_waitcnt lgkmcnt(1)
	v_fmac_f32_e32 v119, v42, v2
	v_lshlrev_b32_e32 v2, 16, v65
	v_fmac_f32_e32 v119, v43, v2
	v_lshlrev_b32_e32 v2, 16, v64
	v_fmac_f32_e32 v119, v44, v2
	v_lshlrev_b32_e32 v2, 16, v63
	v_fmac_f32_e32 v119, v45, v2
	v_lshlrev_b32_e32 v2, 16, v62
	s_waitcnt lgkmcnt(0)
	v_fmac_f32_e32 v119, v46, v2
	v_lshlrev_b32_e32 v2, 16, v61
	v_fmac_f32_e32 v119, v47, v2
	v_lshlrev_b32_e32 v2, 16, v60
	;; [unrolled: 2-line block ×3, first 2 shown]
	v_fmac_f32_e32 v119, v49, v2
	s_cbranch_scc1 .LBB318_15
; %bb.14:
	v_mov_b32_e32 v50, 0
	ds_read_b128 v[34:37], v50 offset:128
	ds_read_b128 v[38:41], v50 offset:144
	ds_read_b128 v[42:45], v50 offset:160
	ds_read_b128 v[46:49], v50 offset:176
	s_waitcnt lgkmcnt(3)
	v_fmac_f32_e32 v119, v34, v33
	v_fmac_f32_e32 v119, v35, v31
	v_fmac_f32_e32 v119, v36, v32
	v_fmac_f32_e32 v119, v37, v29
	s_waitcnt lgkmcnt(2)
	v_fmac_f32_e32 v119, v38, v30
	v_fmac_f32_e32 v119, v39, v27
	v_fmac_f32_e32 v119, v40, v28
	v_fmac_f32_e32 v119, v41, v25
	;; [unrolled: 5-line block ×3, first 2 shown]
	s_waitcnt lgkmcnt(0)
	v_fmac_f32_e32 v119, v46, v22
	ds_read_b128 v[22:25], v50 offset:192
	v_fmac_f32_e32 v119, v47, v19
	v_fmac_f32_e32 v119, v48, v20
	;; [unrolled: 1-line block ×3, first 2 shown]
	ds_read_b128 v[18:21], v50 offset:208
	s_waitcnt lgkmcnt(1)
	v_fmac_f32_e32 v119, v22, v17
	v_fmac_f32_e32 v119, v23, v15
	;; [unrolled: 1-line block ×4, first 2 shown]
	s_waitcnt lgkmcnt(0)
	v_pk_mul_f32 v[2:3], v[18:19], v[12:13]
	ds_read_b128 v[12:15], v50 offset:224
	v_add_f32_e32 v2, v119, v2
	v_add_f32_e32 v16, v2, v3
	v_pk_mul_f32 v[2:3], v[20:21], v[10:11]
	v_add_f32_e32 v2, v16, v2
	ds_read_b128 v[16:19], v50 offset:240
	v_add_f32_e32 v10, v2, v3
	s_waitcnt lgkmcnt(1)
	v_pk_mul_f32 v[2:3], v[12:13], v[8:9]
	v_add_f32_e32 v2, v10, v2
	v_add_f32_e32 v8, v2, v3
	v_pk_mul_f32 v[2:3], v[14:15], v[6:7]
	v_add_f32_e32 v2, v8, v2
	v_add_f32_e32 v6, v2, v3
	s_waitcnt lgkmcnt(0)
	v_pk_mul_f32 v[2:3], v[16:17], v[4:5]
	v_add_f32_e32 v2, v6, v2
	v_add_f32_e32 v2, v2, v3
	v_pk_mul_f32 v[0:1], v[18:19], v[0:1]
	v_add_f32_e32 v0, v2, v0
	v_add_f32_e32 v119, v0, v1
.LBB318_15:
	s_movk_i32 s4, 0x3f80
	s_movk_i32 s5, 0x100
	s_mov_b32 s8, 64
	s_branch .LBB318_17
.LBB318_16:                             ;   in Loop: Header=BB318_17 Depth=1
	s_addk_i32 s4, 0x2000
	s_addk_i32 s5, 0x100
	s_add_i32 s8, s8, 64
	s_cmp_eq_u32 s4, 0x17f80
	s_cbranch_scc1 .LBB318_19
.LBB318_17:                             ; =>This Inner Loop Header: Depth=1
	s_cmp_le_i32 s33, s8
	s_cbranch_scc1 .LBB318_16
; %bb.18:                               ;   in Loop: Header=BB318_17 Depth=1
	s_add_i32 s9, s4, 0xffffe080
	s_cmp_lt_i32 s9, s10
	s_cselect_b32 s12, s9, s11
	s_ashr_i32 s13, s12, 31
	s_lshl_b64 s[12:13], s[12:13], 1
	s_add_i32 s9, s4, 0xffffe100
	s_cmp_lt_i32 s9, s10
	v_add_co_u32_e32 v2, vcc, s12, v117
	s_cselect_b32 s12, s9, s11
	v_mov_b32_e32 v0, s13
	s_ashr_i32 s13, s12, 31
	s_lshl_b64 s[12:13], s[12:13], 1
	s_add_i32 s9, s4, 0xffffe180
	v_addc_co_u32_e32 v3, vcc, v118, v0, vcc
	s_cmp_lt_i32 s9, s10
	v_add_co_u32_e32 v0, vcc, s12, v117
	s_cselect_b32 s12, s9, s11
	v_mov_b32_e32 v1, s13
	s_ashr_i32 s13, s12, 31
	s_lshl_b64 s[12:13], s[12:13], 1
	s_add_i32 s9, s4, 0xffffe200
	v_addc_co_u32_e32 v1, vcc, v118, v1, vcc
	;; [unrolled: 8-line block ×21, first 2 shown]
	s_cmp_lt_i32 s9, s10
	global_load_ushort v120, v[2:3], off
	global_load_ushort v122, v[4:5], off
	;; [unrolled: 1-line block ×4, first 2 shown]
	v_add_co_u32_e32 v42, vcc, s12, v117
	s_cselect_b32 s12, s9, s11
	v_mov_b32_e32 v43, s13
	s_ashr_i32 s13, s12, 31
	s_lshl_b64 s[12:13], s[12:13], 1
	s_add_i32 s9, s4, 0xffffec00
	v_addc_co_u32_e32 v43, vcc, v118, v43, vcc
	s_cmp_lt_i32 s9, s10
	v_add_co_u32_e32 v44, vcc, s12, v117
	s_cselect_b32 s12, s9, s11
	v_mov_b32_e32 v45, s13
	s_ashr_i32 s13, s12, 31
	s_lshl_b64 s[12:13], s[12:13], 1
	s_add_i32 s9, s4, 0xffffec80
	v_addc_co_u32_e32 v45, vcc, v118, v45, vcc
	s_cmp_lt_i32 s9, s10
	;; [unrolled: 8-line block ×8, first 2 shown]
	global_load_ushort v121, v[0:1], off
	v_add_co_u32_e32 v58, vcc, s12, v117
	s_cselect_b32 s12, s9, s11
	v_mov_b32_e32 v59, s13
	s_ashr_i32 s13, s12, 31
	s_lshl_b64 s[12:13], s[12:13], 1
	s_add_i32 s9, s4, 0xfffff000
	v_addc_co_u32_e32 v59, vcc, v118, v59, vcc
	s_cmp_lt_i32 s9, s10
	v_add_co_u32_e32 v60, vcc, s12, v117
	s_cselect_b32 s12, s9, s11
	global_load_ushort v125, v[10:11], off
	global_load_ushort v126, v[12:13], off
	v_mov_b32_e32 v61, s13
	s_ashr_i32 s13, s12, 31
	global_load_ushort v127, v[14:15], off
	global_load_ushort v128, v[16:17], off
	;; [unrolled: 1-line block ×3, first 2 shown]
	s_lshl_b64 s[12:13], s[12:13], 1
	s_add_i32 s9, s4, 0xfffff080
	v_addc_co_u32_e32 v61, vcc, v118, v61, vcc
	s_cmp_lt_i32 s9, s10
	v_add_co_u32_e32 v62, vcc, s12, v117
	s_cselect_b32 s12, s9, s11
	v_mov_b32_e32 v63, s13
	s_ashr_i32 s13, s12, 31
	s_lshl_b64 s[12:13], s[12:13], 1
	s_add_i32 s9, s4, 0xfffff100
	v_addc_co_u32_e32 v63, vcc, v118, v63, vcc
	s_cmp_lt_i32 s9, s10
	v_add_co_u32_e32 v64, vcc, s12, v117
	s_cselect_b32 s12, s9, s11
	v_mov_b32_e32 v65, s13
	s_ashr_i32 s13, s12, 31
	global_load_ushort v130, v[20:21], off
	global_load_ushort v131, v[22:23], off
	s_lshl_b64 s[12:13], s[12:13], 1
	s_add_i32 s9, s4, 0xfffff180
	v_addc_co_u32_e32 v65, vcc, v118, v65, vcc
	s_cmp_lt_i32 s9, s10
	global_load_ushort v132, v[24:25], off
	global_load_ushort v133, v[26:27], off
	v_add_co_u32_e32 v66, vcc, s12, v117
	s_cselect_b32 s12, s9, s11
	v_mov_b32_e32 v67, s13
	s_ashr_i32 s13, s12, 31
	s_lshl_b64 s[12:13], s[12:13], 1
	s_add_i32 s9, s4, 0xfffff200
	v_addc_co_u32_e32 v67, vcc, v118, v67, vcc
	s_cmp_lt_i32 s9, s10
	v_add_co_u32_e32 v68, vcc, s12, v117
	s_cselect_b32 s12, s9, s11
	v_mov_b32_e32 v69, s13
	s_ashr_i32 s13, s12, 31
	global_load_ushort v134, v[28:29], off
	global_load_ushort v135, v[30:31], off
	s_lshl_b64 s[12:13], s[12:13], 1
	s_add_i32 s9, s4, 0xfffff280
	v_addc_co_u32_e32 v69, vcc, v118, v69, vcc
	s_cmp_lt_i32 s9, s10
	v_add_co_u32_e32 v70, vcc, s12, v117
	s_cselect_b32 s12, s9, s11
	v_mov_b32_e32 v71, s13
	s_ashr_i32 s13, s12, 31
	s_lshl_b64 s[12:13], s[12:13], 1
	s_add_i32 s9, s4, 0xfffff300
	global_load_ushort v28, v[32:33], off
	global_load_ushort v29, v[34:35], off
	;; [unrolled: 1-line block ×4, first 2 shown]
	v_addc_co_u32_e32 v71, vcc, v118, v71, vcc
	s_cmp_lt_i32 s9, s10
	v_add_co_u32_e32 v72, vcc, s12, v117
	s_cselect_b32 s12, s9, s11
	v_mov_b32_e32 v73, s13
	s_ashr_i32 s13, s12, 31
	s_lshl_b64 s[12:13], s[12:13], 1
	s_add_i32 s9, s4, 0xfffff380
	v_addc_co_u32_e32 v73, vcc, v118, v73, vcc
	s_cmp_lt_i32 s9, s10
	v_add_co_u32_e32 v74, vcc, s12, v117
	s_cselect_b32 s12, s9, s11
	v_mov_b32_e32 v75, s13
	s_ashr_i32 s13, s12, 31
	s_lshl_b64 s[12:13], s[12:13], 1
	s_add_i32 s9, s4, 0xfffff400
	v_addc_co_u32_e32 v75, vcc, v118, v75, vcc
	s_cmp_lt_i32 s9, s10
	v_add_co_u32_e32 v76, vcc, s12, v117
	s_cselect_b32 s12, s9, s11
	global_load_ushort v32, v[40:41], off
	global_load_ushort v33, v[42:43], off
	v_mov_b32_e32 v77, s13
	s_ashr_i32 s13, s12, 31
	s_lshl_b64 s[12:13], s[12:13], 1
	s_add_i32 s9, s4, 0xfffff480
	v_addc_co_u32_e32 v77, vcc, v118, v77, vcc
	s_cmp_lt_i32 s9, s10
	v_add_co_u32_e32 v78, vcc, s12, v117
	s_cselect_b32 s12, s9, s11
	v_mov_b32_e32 v79, s13
	s_ashr_i32 s13, s12, 31
	global_load_ushort v36, v[44:45], off
	s_lshl_b64 s[12:13], s[12:13], 1
	s_add_i32 s9, s4, 0xfffff500
	v_mov_b32_e32 v35, s5
	v_addc_co_u32_e32 v79, vcc, v118, v79, vcc
	s_cmp_lt_i32 s9, s10
	ds_read_b128 v[12:15], v35
	ds_read_b128 v[16:19], v35 offset:16
	global_load_ushort v37, v[46:47], off
	v_add_co_u32_e32 v80, vcc, s12, v117
	s_cselect_b32 s12, s9, s11
	v_mov_b32_e32 v81, s13
	s_ashr_i32 s13, s12, 31
	s_lshl_b64 s[12:13], s[12:13], 1
	s_add_i32 s9, s4, 0xfffff580
	v_addc_co_u32_e32 v81, vcc, v118, v81, vcc
	s_cmp_lt_i32 s9, s10
	s_waitcnt vmcnt(23)
	v_lshlrev_b32_e32 v34, 16, v120
	v_add_co_u32_e32 v82, vcc, s12, v117
	s_cselect_b32 s12, s9, s11
	ds_read_b128 v[20:23], v35 offset:32
	ds_read_b128 v[24:27], v35 offset:48
	s_waitcnt lgkmcnt(3)
	v_fmac_f32_e32 v119, v12, v34
	global_load_ushort v34, v[48:49], off
	global_load_ushort v38, v[50:51], off
	global_load_ushort v39, v[52:53], off
	global_load_ushort v40, v[54:55], off
	global_load_ushort v41, v[56:57], off
	global_load_ushort v42, v[58:59], off
	v_mov_b32_e32 v83, s13
	s_ashr_i32 s13, s12, 31
	s_lshl_b64 s[12:13], s[12:13], 1
	s_add_i32 s9, s4, 0xfffff600
	v_addc_co_u32_e32 v83, vcc, v118, v83, vcc
	s_cmp_lt_i32 s9, s10
	v_add_co_u32_e32 v84, vcc, s12, v117
	s_cselect_b32 s12, s9, s11
	v_mov_b32_e32 v85, s13
	s_ashr_i32 s13, s12, 31
	s_lshl_b64 s[12:13], s[12:13], 1
	s_add_i32 s9, s4, 0xfffff680
	v_addc_co_u32_e32 v85, vcc, v118, v85, vcc
	s_cmp_lt_i32 s9, s10
	v_add_co_u32_e32 v86, vcc, s12, v117
	s_cselect_b32 s12, s9, s11
	;; [unrolled: 8-line block ×7, first 2 shown]
	v_mov_b32_e32 v97, s13
	s_ashr_i32 s13, s12, 31
	s_lshl_b64 s[12:13], s[12:13], 1
	s_add_i32 s9, s4, 0xfffff980
	v_addc_co_u32_e32 v97, vcc, v118, v97, vcc
	s_cmp_lt_i32 s9, s10
	s_waitcnt vmcnt(25)
	v_lshlrev_b32_e32 v12, 16, v121
	v_add_co_u32_e32 v98, vcc, s12, v117
	s_cselect_b32 s12, s9, s11
	v_fmac_f32_e32 v119, v13, v12
	v_lshlrev_b32_e32 v12, 16, v122
	v_mov_b32_e32 v99, s13
	s_ashr_i32 s13, s12, 31
	v_fmac_f32_e32 v119, v14, v12
	v_lshlrev_b32_e32 v12, 16, v123
	s_lshl_b64 s[12:13], s[12:13], 1
	s_add_i32 s9, s4, 0xfffffa00
	v_fmac_f32_e32 v119, v15, v12
	v_lshlrev_b32_e32 v12, 16, v124
	v_addc_co_u32_e32 v99, vcc, v118, v99, vcc
	s_cmp_lt_i32 s9, s10
	s_waitcnt lgkmcnt(2)
	v_fmac_f32_e32 v119, v16, v12
	s_waitcnt vmcnt(24)
	v_lshlrev_b32_e32 v12, 16, v125
	v_add_co_u32_e32 v100, vcc, s12, v117
	s_cselect_b32 s12, s9, s11
	v_fmac_f32_e32 v119, v17, v12
	s_waitcnt vmcnt(23)
	v_lshlrev_b32_e32 v12, 16, v126
	v_mov_b32_e32 v101, s13
	s_ashr_i32 s13, s12, 31
	v_fmac_f32_e32 v119, v18, v12
	s_waitcnt vmcnt(22)
	v_lshlrev_b32_e32 v12, 16, v127
	s_lshl_b64 s[12:13], s[12:13], 1
	s_add_i32 s9, s4, 0xfffffa80
	v_fmac_f32_e32 v119, v19, v12
	s_waitcnt vmcnt(21)
	v_lshlrev_b32_e32 v12, 16, v128
	v_addc_co_u32_e32 v101, vcc, v118, v101, vcc
	s_cmp_lt_i32 s9, s10
	s_waitcnt lgkmcnt(1)
	v_fmac_f32_e32 v119, v20, v12
	global_load_ushort v20, v[60:61], off
	v_add_co_u32_e32 v102, vcc, s12, v117
	s_cselect_b32 s12, s9, s11
	v_mov_b32_e32 v103, s13
	s_ashr_i32 s13, s12, 31
	s_lshl_b64 s[12:13], s[12:13], 1
	s_add_i32 s9, s4, 0xfffffb00
	s_waitcnt vmcnt(21)
	v_lshlrev_b32_e32 v12, 16, v129
	v_addc_co_u32_e32 v103, vcc, v118, v103, vcc
	s_cmp_lt_i32 s9, s10
	v_fmac_f32_e32 v119, v21, v12
	global_load_ushort v21, v[62:63], off
	v_add_co_u32_e32 v104, vcc, s12, v117
	s_cselect_b32 s12, s9, s11
	s_waitcnt vmcnt(21)
	v_lshlrev_b32_e32 v12, 16, v130
	global_load_ushort v43, v[64:65], off
	v_mov_b32_e32 v105, s13
	s_ashr_i32 s13, s12, 31
	v_fmac_f32_e32 v119, v22, v12
	global_load_ushort v22, v[66:67], off
	s_waitcnt vmcnt(22)
	v_lshlrev_b32_e32 v12, 16, v131
	s_lshl_b64 s[12:13], s[12:13], 1
	s_add_i32 s9, s4, 0xfffffb80
	v_fmac_f32_e32 v119, v23, v12
	global_load_ushort v23, v[68:69], off
	global_load_ushort v44, v[70:71], off
	v_addc_co_u32_e32 v105, vcc, v118, v105, vcc
	s_cmp_lt_i32 s9, s10
	s_waitcnt vmcnt(23)
	v_lshlrev_b32_e32 v12, 16, v132
	v_add_co_u32_e32 v108, vcc, s12, v117
	s_cselect_b32 s12, s9, s11
	s_waitcnt lgkmcnt(0)
	v_fmac_f32_e32 v119, v24, v12
	global_load_ushort v24, v[72:73], off
	global_load_ushort v45, v[74:75], off
	v_mov_b32_e32 v106, s13
	s_ashr_i32 s13, s12, 31
	s_waitcnt vmcnt(24)
	v_lshlrev_b32_e32 v12, 16, v133
	s_lshl_b64 s[12:13], s[12:13], 1
	s_add_i32 s9, s4, 0xfffffc00
	v_fmac_f32_e32 v119, v25, v12
	global_load_ushort v25, v[76:77], off
	v_addc_co_u32_e32 v109, vcc, v118, v106, vcc
	s_cmp_lt_i32 s9, s10
	v_add_co_u32_e32 v106, vcc, s12, v117
	s_cselect_b32 s12, s9, s11
	s_waitcnt vmcnt(24)
	v_lshlrev_b32_e32 v12, 16, v134
	v_mov_b32_e32 v107, s13
	s_ashr_i32 s13, s12, 31
	v_fmac_f32_e32 v119, v26, v12
	global_load_ushort v26, v[78:79], off
	s_waitcnt vmcnt(24)
	v_lshlrev_b32_e32 v12, 16, v135
	s_lshl_b64 s[12:13], s[12:13], 1
	s_add_i32 s9, s4, 0xfffffc80
	v_fmac_f32_e32 v119, v27, v12
	ds_read_b128 v[12:15], v35 offset:64
	ds_read_b128 v[16:19], v35 offset:80
	v_addc_co_u32_e32 v107, vcc, v118, v107, vcc
	s_cmp_lt_i32 s9, s10
	global_load_ushort v46, v[80:81], off
	global_load_ushort v27, v[82:83], off
	;; [unrolled: 1-line block ×4, first 2 shown]
	v_add_co_u32_e32 v112, vcc, s12, v117
	s_cselect_b32 s12, s9, s11
	v_mov_b32_e32 v110, s13
	s_ashr_i32 s13, s12, 31
	s_lshl_b64 s[12:13], s[12:13], 1
	s_add_i32 s9, s4, 0xfffffd00
	s_waitcnt vmcnt(27)
	v_lshlrev_b32_e32 v28, 16, v28
	v_addc_co_u32_e32 v113, vcc, v118, v110, vcc
	s_cmp_lt_i32 s9, s10
	s_waitcnt lgkmcnt(1)
	v_fmac_f32_e32 v119, v12, v28
	global_load_ushort v28, v[88:89], off
	v_add_co_u32_e32 v110, vcc, s12, v117
	s_cselect_b32 s12, s9, s11
	s_waitcnt vmcnt(27)
	v_lshlrev_b32_e32 v12, 16, v29
	global_load_ushort v29, v[90:91], off
	global_load_ushort v49, v[92:93], off
	v_mov_b32_e32 v111, s13
	s_ashr_i32 s13, s12, 31
	s_lshl_b64 s[12:13], s[12:13], 1
	s_add_i32 s9, s4, 0xfffffd80
	v_addc_co_u32_e32 v111, vcc, v118, v111, vcc
	s_cmp_lt_i32 s9, s10
	v_add_co_u32_e32 v114, vcc, s12, v117
	s_cselect_b32 s12, s9, s11
	v_mov_b32_e32 v115, s13
	s_ashr_i32 s13, s12, 31
	v_fmac_f32_e32 v119, v13, v12
	s_waitcnt vmcnt(28)
	v_lshlrev_b32_e32 v12, 16, v30
	global_load_ushort v30, v[94:95], off
	s_lshl_b64 s[12:13], s[12:13], 1
	s_add_i32 s9, s4, 0xfffffe00
	v_fmac_f32_e32 v119, v14, v12
	s_waitcnt vmcnt(28)
	v_lshlrev_b32_e32 v12, 16, v31
	global_load_ushort v31, v[96:97], off
	v_addc_co_u32_e32 v115, vcc, v118, v115, vcc
	s_cmp_lt_i32 s9, s10
	v_fmac_f32_e32 v119, v15, v12
	s_waitcnt vmcnt(28)
	v_lshlrev_b32_e32 v12, 16, v32
	global_load_ushort v32, v[98:99], off
	global_load_ushort v50, v[100:101], off
	v_add_co_u32_e32 v0, vcc, s12, v117
	s_cselect_b32 s12, s9, s11
	v_mov_b32_e32 v2, s13
	s_ashr_i32 s13, s12, 31
	s_lshl_b64 s[12:13], s[12:13], 1
	s_add_i32 s9, s4, 0xfffffe80
	s_waitcnt lgkmcnt(0)
	v_fmac_f32_e32 v119, v16, v12
	s_waitcnt vmcnt(29)
	v_lshlrev_b32_e32 v12, 16, v33
	global_load_ushort v33, v[102:103], off
	global_load_ushort v51, v[104:105], off
	;; [unrolled: 1-line block ×3, first 2 shown]
	v_addc_co_u32_e32 v1, vcc, v118, v2, vcc
	s_cmp_lt_i32 s9, s10
	v_add_co_u32_e32 v2, vcc, s12, v117
	s_cselect_b32 s12, s9, s11
	v_mov_b32_e32 v3, s13
	s_ashr_i32 s13, s12, 31
	v_fmac_f32_e32 v119, v17, v12
	s_waitcnt vmcnt(31)
	v_lshlrev_b32_e32 v12, 16, v36
	global_load_ushort v36, v[106:107], off
	global_load_ushort v53, v[112:113], off
	s_lshl_b64 s[12:13], s[12:13], 1
	s_add_i32 s9, s4, 0xffffff00
	v_addc_co_u32_e32 v3, vcc, v118, v3, vcc
	s_cmp_lt_i32 s9, s10
	v_fmac_f32_e32 v119, v18, v12
	s_waitcnt vmcnt(32)
	v_lshlrev_b32_e32 v12, 16, v37
	v_add_co_u32_e32 v4, vcc, s12, v117
	s_cselect_b32 s12, s9, s11
	v_fmac_f32_e32 v119, v19, v12
	ds_read_b128 v[12:15], v35 offset:96
	v_mov_b32_e32 v5, s13
	s_ashr_i32 s13, s12, 31
	s_lshl_b64 s[12:13], s[12:13], 1
	s_add_i32 s9, s4, 0xffffff80
	v_addc_co_u32_e32 v5, vcc, v118, v5, vcc
	s_cmp_lt_i32 s9, s10
	global_load_ushort v37, v[110:111], off
	global_load_ushort v54, v[114:115], off
	v_add_co_u32_e32 v8, vcc, s12, v117
	s_cselect_b32 s12, s9, s11
	s_waitcnt vmcnt(33)
	v_lshlrev_b32_e32 v34, 16, v34
	v_mov_b32_e32 v6, s13
	s_ashr_i32 s13, s12, 31
	s_waitcnt lgkmcnt(0)
	v_fmac_f32_e32 v119, v12, v34
	s_waitcnt vmcnt(32)
	v_lshlrev_b32_e32 v12, 16, v38
	s_lshl_b64 s[12:13], s[12:13], 1
	ds_read_b128 v[16:19], v35 offset:112
	v_fmac_f32_e32 v119, v13, v12
	global_load_ushort v12, v[0:1], off
	global_load_ushort v13, v[2:3], off
	v_addc_co_u32_e32 v9, vcc, v118, v6, vcc
	s_cmp_lt_i32 s4, s10
	v_add_co_u32_e32 v6, vcc, s12, v117
	s_cselect_b32 s12, s4, s11
	s_waitcnt vmcnt(33)
	v_lshlrev_b32_e32 v0, 16, v39
	v_mov_b32_e32 v7, s13
	s_ashr_i32 s13, s12, 31
	v_fmac_f32_e32 v119, v14, v0
	global_load_ushort v14, v[4:5], off
	global_load_ushort v34, v[8:9], off
	v_addc_co_u32_e32 v7, vcc, v118, v7, vcc
	s_lshl_b64 s[12:13], s[12:13], 1
	s_waitcnt vmcnt(34)
	v_lshlrev_b32_e32 v0, 16, v40
	v_mov_b32_e32 v11, s13
	v_add_co_u32_e32 v10, vcc, s12, v117
	v_fmac_f32_e32 v119, v15, v0
	s_waitcnt vmcnt(33)
	v_lshlrev_b32_e32 v0, 16, v41
	v_addc_co_u32_e32 v11, vcc, v118, v11, vcc
	s_waitcnt lgkmcnt(0)
	v_fmac_f32_e32 v119, v16, v0
	global_load_ushort v15, v[6:7], off
	global_load_ushort v16, v[10:11], off
	s_waitcnt vmcnt(34)
	v_lshlrev_b32_e32 v0, 16, v42
	v_fmac_f32_e32 v119, v17, v0
	s_waitcnt vmcnt(33)
	v_lshlrev_b32_e32 v0, 16, v20
	v_fmac_f32_e32 v119, v18, v0
	ds_read_b128 v[0:3], v35 offset:128
	s_waitcnt vmcnt(32)
	v_lshlrev_b32_e32 v4, 16, v21
	v_fmac_f32_e32 v119, v19, v4
	ds_read_b128 v[4:7], v35 offset:144
	s_waitcnt vmcnt(31)
	v_lshlrev_b32_e32 v8, 16, v43
	s_waitcnt lgkmcnt(1)
	v_fmac_f32_e32 v119, v0, v8
	s_waitcnt vmcnt(30)
	v_lshlrev_b32_e32 v0, 16, v22
	v_fmac_f32_e32 v119, v1, v0
	s_waitcnt vmcnt(29)
	v_lshlrev_b32_e32 v0, 16, v23
	v_fmac_f32_e32 v119, v2, v0
	s_waitcnt vmcnt(28)
	v_lshlrev_b32_e32 v0, 16, v44
	v_fmac_f32_e32 v119, v3, v0
	s_waitcnt vmcnt(27)
	v_lshlrev_b32_e32 v0, 16, v24
	s_waitcnt lgkmcnt(0)
	v_fmac_f32_e32 v119, v4, v0
	s_waitcnt vmcnt(26)
	v_lshlrev_b32_e32 v0, 16, v45
	v_fmac_f32_e32 v119, v5, v0
	s_waitcnt vmcnt(25)
	v_lshlrev_b32_e32 v0, 16, v25
	v_fmac_f32_e32 v119, v6, v0
	ds_read_b128 v[0:3], v35 offset:160
	s_waitcnt vmcnt(24)
	v_lshlrev_b32_e32 v4, 16, v26
	v_fmac_f32_e32 v119, v7, v4
	ds_read_b128 v[4:7], v35 offset:176
	s_waitcnt vmcnt(23)
	v_lshlrev_b32_e32 v8, 16, v46
	s_waitcnt lgkmcnt(1)
	v_fmac_f32_e32 v119, v0, v8
	s_waitcnt vmcnt(22)
	v_lshlrev_b32_e32 v0, 16, v27
	v_fmac_f32_e32 v119, v1, v0
	s_waitcnt vmcnt(21)
	v_lshlrev_b32_e32 v0, 16, v47
	;; [unrolled: 3-line block ×4, first 2 shown]
	s_waitcnt lgkmcnt(0)
	v_fmac_f32_e32 v119, v4, v0
	s_waitcnt vmcnt(18)
	v_lshlrev_b32_e32 v0, 16, v29
	v_fmac_f32_e32 v119, v5, v0
	s_waitcnt vmcnt(17)
	v_lshlrev_b32_e32 v0, 16, v49
	v_fmac_f32_e32 v119, v6, v0
	ds_read_b128 v[0:3], v35 offset:192
	s_waitcnt vmcnt(16)
	v_lshlrev_b32_e32 v4, 16, v30
	v_fmac_f32_e32 v119, v7, v4
	ds_read_b128 v[4:7], v35 offset:208
	s_waitcnt vmcnt(15)
	v_lshlrev_b32_e32 v8, 16, v31
	s_waitcnt lgkmcnt(1)
	v_fmac_f32_e32 v119, v0, v8
	s_waitcnt vmcnt(14)
	v_lshlrev_b32_e32 v0, 16, v32
	v_fmac_f32_e32 v119, v1, v0
	s_waitcnt vmcnt(13)
	v_lshlrev_b32_e32 v0, 16, v50
	;; [unrolled: 3-line block ×4, first 2 shown]
	v_lshlrev_b32_e32 v0, 16, v51
	s_waitcnt lgkmcnt(0)
	v_pk_mul_f32 v[0:1], v[4:5], v[0:1]
	v_add_f32_e32 v0, v119, v0
	v_add_f32_e32 v2, v0, v1
	s_waitcnt vmcnt(8)
	v_lshlrev_b32_e32 v1, 16, v53
	v_lshlrev_b32_e32 v0, 16, v36
	v_pk_mul_f32 v[4:5], v[6:7], v[0:1]
	v_add_f32_e32 v4, v2, v4
	ds_read_b128 v[0:3], v35 offset:224
	s_waitcnt vmcnt(6)
	v_lshlrev_b32_e32 v9, 16, v54
	v_lshlrev_b32_e32 v8, 16, v37
	v_add_f32_e32 v10, v4, v5
	ds_read_b128 v[4:7], v35 offset:240
	s_waitcnt lgkmcnt(1)
	v_pk_mul_f32 v[0:1], v[0:1], v[8:9]
	v_add_f32_e32 v0, v10, v0
	v_add_f32_e32 v8, v0, v1
	s_waitcnt vmcnt(4)
	v_lshlrev_b32_e32 v1, 16, v13
	v_lshlrev_b32_e32 v0, 16, v12
	v_pk_mul_f32 v[0:1], v[2:3], v[0:1]
	v_add_f32_e32 v0, v8, v0
	v_add_f32_e32 v2, v0, v1
	s_waitcnt vmcnt(2)
	v_lshlrev_b32_e32 v1, 16, v34
	v_lshlrev_b32_e32 v0, 16, v14
	s_waitcnt lgkmcnt(0)
	v_pk_mul_f32 v[0:1], v[4:5], v[0:1]
	v_add_f32_e32 v0, v2, v0
	v_add_f32_e32 v2, v0, v1
	s_waitcnt vmcnt(1)
	v_lshlrev_b32_e32 v0, 16, v15
	s_waitcnt vmcnt(0)
	v_lshlrev_b32_e32 v1, 16, v16
	v_pk_mul_f32 v[0:1], v[6:7], v[0:1]
	v_add_f32_e32 v0, v2, v0
	v_add_f32_e32 v119, v0, v1
	s_branch .LBB318_16
.LBB318_19:
	v_mov_b32_e32 v0, 0
	ds_read_b32 v0, v0 offset:2816
	s_cmp_lg_u64 s[2:3], 0
	s_cbranch_scc0 .LBB318_28
; %bb.20:
	s_load_dword s4, s[2:3], 0x0
	s_waitcnt lgkmcnt(0)
	v_div_scale_f32 v1, s[2:3], s4, s4, 1.0
	v_rcp_f32_e32 v2, v1
	v_div_scale_f32 v3, vcc, 1.0, s4, 1.0
	v_fma_f32 v4, -v1, v2, 1.0
	v_fmac_f32_e32 v2, v4, v2
	v_mul_f32_e32 v4, v3, v2
	v_fma_f32 v5, -v1, v4, v3
	v_fmac_f32_e32 v4, v5, v2
	v_fma_f32 v1, -v1, v4, v3
	v_div_fmas_f32 v1, v1, v2, v4
	v_div_fixup_f32 v1, v1, s4, 1.0
	s_andn2_b64 vcc, exec, s[40:41]
	s_cbranch_vccnz .LBB318_22
.LBB318_21:
	s_add_u32 s2, s34, s42
	s_addc_u32 s3, s35, s43
	s_load_dword s26, s[2:3], 0x0
	s_mov_b32 s27, 0
.LBB318_22:
	s_waitcnt lgkmcnt(0)
	v_add_f32_e32 v0, 0x358637bd, v0
	v_div_scale_f32 v2, s[2:3], v0, v0, 1.0
	v_rcp_f32_e32 v3, v2
	v_div_scale_f32 v4, vcc, 1.0, v0, 1.0
	s_mov_b32 s2, 0x7f800000
	v_fma_f32 v5, -v2, v3, 1.0
	v_fmac_f32_e32 v3, v5, v3
	v_mul_f32_e32 v5, v4, v3
	v_fma_f32 v6, -v2, v5, v4
	v_fmac_f32_e32 v5, v6, v3
	v_fma_f32 v2, -v2, v5, v4
	v_div_fmas_f32 v2, v2, v3, v5
	v_div_fixup_f32 v0, v2, v0, 1.0
	v_mul_f32_e32 v0, v119, v0
	v_mul_f32_e32 v1, v0, v1
	v_and_b32_e32 v0, 0x7f800000, v1
	v_cmp_ne_u32_e32 vcc, s2, v0
                                        ; implicit-def: $vgpr0
	s_and_saveexec_b64 s[2:3], vcc
	s_xor_b64 s[2:3], exec, s[2:3]
; %bb.23:
	v_bfe_u32 v0, v1, 16, 1
	s_movk_i32 s4, 0x7fff
	v_add3_u32 v0, v1, v0, s4
                                        ; implicit-def: $vgpr1
; %bb.24:
	s_andn2_saveexec_b64 s[2:3], s[2:3]
; %bb.25:
	v_mov_b32_e32 v0, 0
	v_or_b32_e32 v2, 0x10000, v1
	v_cmp_eq_u32_sdwa vcc, v1, v0 src0_sel:WORD_0 src1_sel:DWORD
	v_cndmask_b32_e32 v0, v2, v1, vcc
; %bb.26:
	s_or_b64 exec, exec, s[2:3]
	s_mul_i32 s2, s7, s27
	s_mul_hi_u32 s3, s7, s26
	s_add_i32 s3, s3, s2
	s_mul_i32 s2, s7, s26
	s_lshl_b64 s[2:3], s[2:3], 8
	s_add_u32 s2, s0, s2
	s_mov_b32 s7, 0
	s_addc_u32 s3, s1, s3
	s_lshl_b64 s[0:1], s[6:7], 8
	s_add_u32 s0, s2, s0
	s_addc_u32 s1, s3, s1
	global_store_short_d16_hi v116, v0, s[0:1]
	s_endpgm
.LBB318_27:
	s_mov_b64 s[2:3], 0
	s_branch .LBB318_2
.LBB318_28:
	v_mov_b32_e32 v1, 1.0
	s_andn2_b64 vcc, exec, s[40:41]
	s_cbranch_vccz .LBB318_21
	s_branch .LBB318_22
	.section	.rodata,"a",@progbits
	.p2align	6, 0x0
	.amdhsa_kernel _Z35paged_attention_ll4mi_reduce_kernelI14__hip_bfloat16S0_Li128ELi128ELi256ELi11EEvPT0_PKfS4_PKT_PKiS9_iS4_
		.amdhsa_group_segment_fixed_size 2820
		.amdhsa_private_segment_fixed_size 0
		.amdhsa_kernarg_size 320
		.amdhsa_user_sgpr_count 6
		.amdhsa_user_sgpr_private_segment_buffer 1
		.amdhsa_user_sgpr_dispatch_ptr 0
		.amdhsa_user_sgpr_queue_ptr 0
		.amdhsa_user_sgpr_kernarg_segment_ptr 1
		.amdhsa_user_sgpr_dispatch_id 0
		.amdhsa_user_sgpr_flat_scratch_init 0
		.amdhsa_user_sgpr_kernarg_preload_length 0
		.amdhsa_user_sgpr_kernarg_preload_offset 0
		.amdhsa_user_sgpr_private_segment_size 0
		.amdhsa_uses_dynamic_stack 0
		.amdhsa_system_sgpr_private_segment_wavefront_offset 0
		.amdhsa_system_sgpr_workgroup_id_x 1
		.amdhsa_system_sgpr_workgroup_id_y 1
		.amdhsa_system_sgpr_workgroup_id_z 0
		.amdhsa_system_sgpr_workgroup_info 0
		.amdhsa_system_vgpr_workitem_id 0
		.amdhsa_next_free_vgpr 136
		.amdhsa_next_free_sgpr 51
		.amdhsa_accum_offset 136
		.amdhsa_reserve_vcc 1
		.amdhsa_reserve_flat_scratch 0
		.amdhsa_float_round_mode_32 0
		.amdhsa_float_round_mode_16_64 0
		.amdhsa_float_denorm_mode_32 3
		.amdhsa_float_denorm_mode_16_64 3
		.amdhsa_dx10_clamp 1
		.amdhsa_ieee_mode 1
		.amdhsa_fp16_overflow 0
		.amdhsa_tg_split 0
		.amdhsa_exception_fp_ieee_invalid_op 0
		.amdhsa_exception_fp_denorm_src 0
		.amdhsa_exception_fp_ieee_div_zero 0
		.amdhsa_exception_fp_ieee_overflow 0
		.amdhsa_exception_fp_ieee_underflow 0
		.amdhsa_exception_fp_ieee_inexact 0
		.amdhsa_exception_int_div_zero 0
	.end_amdhsa_kernel
	.section	.text._Z35paged_attention_ll4mi_reduce_kernelI14__hip_bfloat16S0_Li128ELi128ELi256ELi11EEvPT0_PKfS4_PKT_PKiS9_iS4_,"axG",@progbits,_Z35paged_attention_ll4mi_reduce_kernelI14__hip_bfloat16S0_Li128ELi128ELi256ELi11EEvPT0_PKfS4_PKT_PKiS9_iS4_,comdat
.Lfunc_end318:
	.size	_Z35paged_attention_ll4mi_reduce_kernelI14__hip_bfloat16S0_Li128ELi128ELi256ELi11EEvPT0_PKfS4_PKT_PKiS9_iS4_, .Lfunc_end318-_Z35paged_attention_ll4mi_reduce_kernelI14__hip_bfloat16S0_Li128ELi128ELi256ELi11EEvPT0_PKfS4_PKT_PKiS9_iS4_
                                        ; -- End function
	.section	.AMDGPU.csdata,"",@progbits
; Kernel info:
; codeLenInByte = 11180
; NumSgprs: 55
; NumVgprs: 136
; NumAgprs: 0
; TotalNumVgprs: 136
; ScratchSize: 0
; MemoryBound: 0
; FloatMode: 240
; IeeeMode: 1
; LDSByteSize: 2820 bytes/workgroup (compile time only)
; SGPRBlocks: 6
; VGPRBlocks: 16
; NumSGPRsForWavesPerEU: 55
; NumVGPRsForWavesPerEU: 136
; AccumOffset: 136
; Occupancy: 3
; WaveLimiterHint : 1
; COMPUTE_PGM_RSRC2:SCRATCH_EN: 0
; COMPUTE_PGM_RSRC2:USER_SGPR: 6
; COMPUTE_PGM_RSRC2:TRAP_HANDLER: 0
; COMPUTE_PGM_RSRC2:TGID_X_EN: 1
; COMPUTE_PGM_RSRC2:TGID_Y_EN: 1
; COMPUTE_PGM_RSRC2:TGID_Z_EN: 0
; COMPUTE_PGM_RSRC2:TIDIG_COMP_CNT: 0
; COMPUTE_PGM_RSRC3_GFX90A:ACCUM_OFFSET: 33
; COMPUTE_PGM_RSRC3_GFX90A:TG_SPLIT: 0
	.section	.text._Z35paged_attention_ll4mi_reduce_kernelI14__hip_bfloat16S0_Li128ELi128ELi256ELi12EEvPT0_PKfS4_PKT_PKiS9_iS4_,"axG",@progbits,_Z35paged_attention_ll4mi_reduce_kernelI14__hip_bfloat16S0_Li128ELi128ELi256ELi12EEvPT0_PKfS4_PKT_PKiS9_iS4_,comdat
	.protected	_Z35paged_attention_ll4mi_reduce_kernelI14__hip_bfloat16S0_Li128ELi128ELi256ELi12EEvPT0_PKfS4_PKT_PKiS9_iS4_ ; -- Begin function _Z35paged_attention_ll4mi_reduce_kernelI14__hip_bfloat16S0_Li128ELi128ELi256ELi12EEvPT0_PKfS4_PKT_PKiS9_iS4_
	.globl	_Z35paged_attention_ll4mi_reduce_kernelI14__hip_bfloat16S0_Li128ELi128ELi256ELi12EEvPT0_PKfS4_PKT_PKiS9_iS4_
	.p2align	8
	.type	_Z35paged_attention_ll4mi_reduce_kernelI14__hip_bfloat16S0_Li128ELi128ELi256ELi12EEvPT0_PKfS4_PKT_PKiS9_iS4_,@function
_Z35paged_attention_ll4mi_reduce_kernelI14__hip_bfloat16S0_Li128ELi128ELi256ELi12EEvPT0_PKfS4_PKT_PKiS9_iS4_: ; @_Z35paged_attention_ll4mi_reduce_kernelI14__hip_bfloat16S0_Li128ELi128ELi256ELi12EEvPT0_PKfS4_PKT_PKiS9_iS4_
; %bb.0:
	s_load_dwordx2 s[40:41], s[4:5], 0x28
	s_mov_b32 s34, s7
	s_mov_b64 s[0:1], 0
	s_waitcnt lgkmcnt(0)
	s_cmp_lg_u64 s[40:41], 0
	s_cselect_b64 s[42:43], -1, 0
	s_and_b64 vcc, exec, s[42:43]
	s_cbranch_vccz .LBB319_27
; %bb.1:
	s_add_i32 s2, s34, 1
	s_mov_b32 s3, 0
	s_lshl_b64 s[8:9], s[2:3], 2
	s_add_u32 s8, s40, s8
	s_mov_b32 s35, s3
	s_addc_u32 s9, s41, s9
	s_lshl_b64 s[2:3], s[34:35], 2
	s_add_u32 s2, s40, s2
	s_addc_u32 s3, s41, s3
	s_load_dword s7, s[8:9], 0x0
	s_load_dword s10, s[2:3], 0x0
	s_waitcnt lgkmcnt(0)
	s_sub_i32 s2, s7, s10
	s_cmp_eq_u32 s2, 1
	s_cselect_b64 s[2:3], -1, 0
	s_andn2_b64 vcc, exec, s[0:1]
	s_cbranch_vccnz .LBB319_3
.LBB319_2:
	s_mov_b32 s35, 0
	s_mov_b64 s[2:3], -1
.LBB319_3:
	s_andn2_b64 vcc, exec, s[2:3]
	s_cbranch_vccz .LBB319_5
; %bb.4:
	s_endpgm
.LBB319_5:
	s_load_dwordx4 s[28:31], s[4:5], 0x18
	s_load_dword s8, s[4:5], 0x30
	s_lshl_b64 s[44:45], s[34:35], 2
	v_cmp_lt_u32_e32 vcc, 63, v0
	s_waitcnt lgkmcnt(0)
	s_add_u32 s0, s30, s44
	s_addc_u32 s1, s31, s45
	s_load_dword s52, s[0:1], 0x0
	s_load_dword s7, s[4:5], 0x40
	s_mul_i32 s30, s6, s8
	s_mul_i32 s2, s34, s8
	s_waitcnt lgkmcnt(0)
	s_add_i32 s3, s52, 0xff
	s_ashr_i32 s0, s3, 31
	s_lshr_b32 s0, s0, 24
	s_add_i32 s3, s3, s0
	s_and_saveexec_b64 s[0:1], vcc
	s_xor_b64 s[0:1], exec, s[0:1]
	s_or_saveexec_b64 s[46:47], s[0:1]
	s_ashr_i32 s33, s3, 8
	v_mov_b32_e32 v1, s30
	s_mul_i32 s48, s2, s7
	s_xor_b64 exec, exec, s[46:47]
	s_cbranch_execz .LBB319_9
; %bb.6:
	s_add_i32 s0, s33, -1
	v_or_b32_e32 v3, 64, v0
	v_mov_b32_e32 v1, s0
	v_cmp_gt_u32_e64 s[22:23], s33, v3
	v_cndmask_b32_e64 v4, v1, v3, s[22:23]
	v_or_b32_e32 v3, 0x80, v0
	v_cmp_gt_u32_e64 s[20:21], s33, v3
	v_cndmask_b32_e64 v6, v1, v3, s[20:21]
	v_or_b32_e32 v3, 0xc0, v0
	;; [unrolled: 3-line block ×7, first 2 shown]
	s_load_dwordx4 s[36:39], s[4:5], 0x8
	v_cmp_gt_u32_e64 s[8:9], s33, v3
	v_cndmask_b32_e64 v18, v1, v3, s[8:9]
	v_or_b32_e32 v3, 0x240, v0
	v_cmp_gt_u32_e64 s[2:3], s33, v3
	s_mov_b32 s49, 0
	v_cndmask_b32_e64 v20, v1, v3, s[2:3]
	v_or_b32_e32 v3, 0x280, v0
	v_cmp_gt_u32_e64 s[0:1], s33, v3
	s_lshl_b64 s[50:51], s[48:49], 2
	s_mov_b32 s31, s49
	v_cmp_gt_u32_e64 s[24:25], s33, v0
	v_cndmask_b32_e64 v22, v1, v3, s[0:1]
	v_or_b32_e32 v3, 0x2c0, v0
	s_waitcnt lgkmcnt(0)
	s_add_u32 s26, s38, s50
	v_cndmask_b32_e64 v2, v1, v0, s[24:25]
	v_cmp_gt_u32_e32 vcc, s33, v3
	s_addc_u32 s27, s39, s51
	s_lshl_b64 s[38:39], s[30:31], 2
	v_cndmask_b32_e32 v24, v1, v3, vcc
	s_add_u32 s31, s26, s38
	v_ashrrev_i32_e32 v3, 31, v2
	s_addc_u32 s49, s27, s39
	v_lshlrev_b64 v[2:3], 2, v[2:3]
	v_mov_b32_e32 v1, s49
	v_add_co_u32_e64 v26, s[26:27], s31, v2
	v_ashrrev_i32_e32 v5, 31, v4
	v_addc_co_u32_e64 v27, s[26:27], v1, v3, s[26:27]
	v_lshlrev_b64 v[4:5], 2, v[4:5]
	v_add_co_u32_e64 v28, s[26:27], s31, v4
	v_ashrrev_i32_e32 v7, 31, v6
	v_addc_co_u32_e64 v29, s[26:27], v1, v5, s[26:27]
	v_lshlrev_b64 v[6:7], 2, v[6:7]
	;; [unrolled: 4-line block ×8, first 2 shown]
	global_load_dword v1, v[26:27], off
	global_load_dword v42, v[28:29], off
	;; [unrolled: 1-line block ×4, first 2 shown]
	s_nop 0
	global_load_dword v34, v[34:35], off
	s_nop 0
	global_load_dword v35, v[36:37], off
	;; [unrolled: 2-line block ×3, first 2 shown]
	global_load_dword v37, v[40:41], off
	v_mov_b32_e32 v21, s49
	v_add_co_u32_e64 v26, s[26:27], s31, v18
	v_addc_co_u32_e64 v27, s[26:27], v21, v19, s[26:27]
	v_ashrrev_i32_e32 v21, 31, v20
	v_lshlrev_b64 v[20:21], 2, v[20:21]
	v_mov_b32_e32 v23, s49
	v_add_co_u32_e64 v28, s[26:27], s31, v20
	v_addc_co_u32_e64 v29, s[26:27], v23, v21, s[26:27]
	v_ashrrev_i32_e32 v23, 31, v22
	v_lshlrev_b64 v[22:23], 2, v[22:23]
	;; [unrolled: 5-line block ×3, first 2 shown]
	v_mov_b32_e32 v33, s49
	v_add_co_u32_e64 v32, s[26:27], s31, v24
	v_addc_co_u32_e64 v33, s[26:27], v33, v25, s[26:27]
	global_load_dword v26, v[26:27], off
	s_nop 0
	global_load_dword v27, v[28:29], off
	s_nop 0
	global_load_dword v28, v[30:31], off
	global_load_dword v29, v[32:33], off
	s_waitcnt vmcnt(11)
	v_max_f32_e32 v31, v1, v1
	s_waitcnt vmcnt(10)
	v_max_f32_e32 v30, v42, v42
	v_max_f32_e32 v30, v31, v30
	v_mbcnt_lo_u32_b32 v31, -1, 0
	v_mbcnt_hi_u32_b32 v31, -1, v31
	s_waitcnt vmcnt(8)
	v_max3_f32 v30, v30, v43, v44
	v_and_b32_e32 v32, 64, v31
	s_waitcnt vmcnt(6)
	v_max3_f32 v30, v30, v34, v35
	v_add_u32_e32 v32, 64, v32
	v_xor_b32_e32 v33, 32, v31
	s_waitcnt vmcnt(4)
	v_max3_f32 v30, v30, v36, v37
	v_cmp_lt_i32_e64 s[26:27], v33, v32
	v_cndmask_b32_e64 v33, v31, v33, s[26:27]
	v_lshlrev_b32_e32 v33, 2, v33
	s_waitcnt vmcnt(2)
	v_max3_f32 v30, v30, v26, v27
	s_waitcnt vmcnt(0)
	v_max3_f32 v30, v30, v28, v29
	ds_bpermute_b32 v38, v33, v30
	s_waitcnt lgkmcnt(0)
	v_max_f32_e32 v38, v38, v38
	v_max_f32_e32 v30, v30, v38
	v_xor_b32_e32 v38, 16, v31
	v_cmp_lt_i32_e64 s[26:27], v38, v32
	v_cndmask_b32_e64 v38, v31, v38, s[26:27]
	v_lshlrev_b32_e32 v38, 2, v38
	ds_bpermute_b32 v39, v38, v30
	s_waitcnt lgkmcnt(0)
	v_max_f32_e32 v39, v39, v39
	v_max_f32_e32 v30, v30, v39
	v_xor_b32_e32 v39, 8, v31
	v_cmp_lt_i32_e64 s[26:27], v39, v32
	v_cndmask_b32_e64 v39, v31, v39, s[26:27]
	v_lshlrev_b32_e32 v39, 2, v39
	;; [unrolled: 8-line block ×4, first 2 shown]
	ds_bpermute_b32 v45, v41, v30
	s_waitcnt lgkmcnt(0)
	v_max_f32_e32 v45, v45, v45
	v_max_f32_e32 v30, v30, v45
	v_xor_b32_e32 v45, 1, v31
	v_cmp_lt_i32_e64 s[26:27], v45, v32
	v_cndmask_b32_e64 v31, v31, v45, s[26:27]
	s_add_u32 s26, s36, s50
	s_addc_u32 s27, s37, s51
	s_add_u32 s31, s26, s38
	s_addc_u32 s36, s27, s39
	v_mov_b32_e32 v45, s36
	v_add_co_u32_e64 v2, s[26:27], s31, v2
	v_addc_co_u32_e64 v3, s[26:27], v45, v3, s[26:27]
	v_add_co_u32_e64 v4, s[26:27], s31, v4
	v_addc_co_u32_e64 v5, s[26:27], v45, v5, s[26:27]
	global_load_dword v45, v[2:3], off
	global_load_dword v46, v[4:5], off
	v_mov_b32_e32 v3, s36
	v_add_co_u32_e64 v2, s[26:27], s31, v6
	v_addc_co_u32_e64 v3, s[26:27], v3, v7, s[26:27]
	v_mov_b32_e32 v5, s36
	v_add_co_u32_e64 v4, s[26:27], s31, v8
	v_addc_co_u32_e64 v5, s[26:27], v5, v9, s[26:27]
	;; [unrolled: 3-line block ×6, first 2 shown]
	global_load_dword v14, v[2:3], off
	global_load_dword v15, v[4:5], off
	;; [unrolled: 1-line block ×6, first 2 shown]
	v_lshlrev_b32_e32 v31, 2, v31
	ds_bpermute_b32 v32, v31, v30
	v_mov_b32_e32 v3, s36
	v_add_co_u32_e64 v2, s[26:27], s31, v18
	v_addc_co_u32_e64 v3, s[26:27], v3, v19, s[26:27]
	v_mov_b32_e32 v5, s36
	v_add_co_u32_e64 v4, s[26:27], s31, v20
	v_addc_co_u32_e64 v5, s[26:27], v5, v21, s[26:27]
	s_waitcnt lgkmcnt(0)
	v_max_f32_e32 v10, v32, v32
	v_mov_b32_e32 v7, s36
	v_add_co_u32_e64 v6, s[26:27], s31, v22
	v_max_f32_e32 v10, v30, v10
	v_addc_co_u32_e64 v7, s[26:27], v7, v23, s[26:27]
	v_sub_f32_e32 v1, v1, v10
	v_add_co_u32_e64 v8, s[26:27], s31, v24
	s_mov_b32 s31, 0x3fb8aa3b
	v_mul_f32_e32 v11, 0x3fb8aa3b, v1
	v_fma_f32 v12, v1, s31, -v11
	v_rndne_f32_e32 v13, v11
	v_mov_b32_e32 v9, s36
	v_fmac_f32_e32 v12, 0x32a5705f, v1
	v_sub_f32_e32 v11, v11, v13
	v_addc_co_u32_e64 v9, s[26:27], v9, v25, s[26:27]
	v_add_f32_e32 v11, v11, v12
	v_cvt_i32_f32_e32 v12, v13
	global_load_dword v2, v[2:3], off
	s_nop 0
	global_load_dword v3, v[4:5], off
	global_load_dword v13, v[6:7], off
	;; [unrolled: 1-line block ×3, first 2 shown]
	v_sub_f32_e32 v6, v42, v10
	v_mul_f32_e32 v7, 0x3fb8aa3b, v6
	v_fma_f32 v8, v6, s31, -v7
	v_rndne_f32_e32 v9, v7
	v_exp_f32_e32 v11, v11
	v_fmac_f32_e32 v8, 0x32a5705f, v6
	v_sub_f32_e32 v7, v7, v9
	v_add_f32_e32 v7, v7, v8
	v_exp_f32_e32 v7, v7
	v_cvt_i32_f32_e32 v8, v9
	s_mov_b32 s36, 0xc2ce8ed0
	v_ldexp_f32 v4, v11, v12
	v_cmp_ngt_f32_e64 s[26:27], s36, v1
	s_mov_b32 s37, 0x42b17218
	v_cndmask_b32_e64 v4, 0, v4, s[26:27]
	v_mov_b32_e32 v5, 0x7f800000
	v_cmp_nlt_f32_e64 s[26:27], s37, v1
	v_cndmask_b32_e64 v1, v5, v4, s[26:27]
	v_ldexp_f32 v4, v7, v8
	v_sub_f32_e32 v7, v43, v10
	v_mul_f32_e32 v8, 0x3fb8aa3b, v7
	v_fma_f32 v9, v7, s31, -v8
	v_rndne_f32_e32 v11, v8
	v_fmac_f32_e32 v9, 0x32a5705f, v7
	v_sub_f32_e32 v8, v8, v11
	v_add_f32_e32 v8, v8, v9
	v_exp_f32_e32 v8, v8
	v_cvt_i32_f32_e32 v9, v11
	v_cndmask_b32_e64 v1, 0, v1, s[24:25]
	v_cmp_ngt_f32_e64 s[24:25], s36, v6
	v_cndmask_b32_e64 v4, 0, v4, s[24:25]
	v_cmp_nlt_f32_e64 s[24:25], s37, v6
	v_ldexp_f32 v6, v8, v9
	v_sub_f32_e32 v8, v44, v10
	v_mul_f32_e32 v9, 0x3fb8aa3b, v8
	v_fma_f32 v11, v8, s31, -v9
	v_rndne_f32_e32 v12, v9
	v_fmac_f32_e32 v11, 0x32a5705f, v8
	v_sub_f32_e32 v9, v9, v12
	v_add_f32_e32 v9, v9, v11
	v_exp_f32_e32 v9, v9
	v_cvt_i32_f32_e32 v11, v12
	v_cndmask_b32_e64 v4, v5, v4, s[24:25]
	v_cndmask_b32_e64 v4, 0, v4, s[22:23]
	v_cmp_ngt_f32_e64 s[22:23], s36, v7
	v_cndmask_b32_e64 v6, 0, v6, s[22:23]
	v_cmp_nlt_f32_e64 s[22:23], s37, v7
	v_cndmask_b32_e64 v6, v5, v6, s[22:23]
	v_ldexp_f32 v7, v9, v11
	v_sub_f32_e32 v9, v34, v10
	v_cndmask_b32_e64 v6, 0, v6, s[20:21]
	v_mul_f32_e32 v11, 0x3fb8aa3b, v9
	s_waitcnt vmcnt(9)
	v_mul_f32_e32 v6, v14, v6
	v_fma_f32 v12, v9, s31, -v11
	v_rndne_f32_e32 v14, v11
	v_fmac_f32_e32 v12, 0x32a5705f, v9
	v_sub_f32_e32 v11, v11, v14
	v_add_f32_e32 v11, v11, v12
	v_exp_f32_e32 v11, v11
	v_cvt_i32_f32_e32 v12, v14
	v_cmp_ngt_f32_e64 s[20:21], s36, v8
	v_cndmask_b32_e64 v7, 0, v7, s[20:21]
	v_cmp_nlt_f32_e64 s[20:21], s37, v8
	v_cndmask_b32_e64 v7, v5, v7, s[20:21]
	v_ldexp_f32 v8, v11, v12
	v_sub_f32_e32 v11, v35, v10
	v_cndmask_b32_e64 v7, 0, v7, s[18:19]
	v_mul_f32_e32 v12, 0x3fb8aa3b, v11
	s_waitcnt vmcnt(8)
	v_mul_f32_e32 v7, v15, v7
	v_fma_f32 v14, v11, s31, -v12
	v_rndne_f32_e32 v15, v12
	v_fmac_f32_e32 v14, 0x32a5705f, v11
	v_sub_f32_e32 v12, v12, v15
	v_add_f32_e32 v12, v12, v14
	v_exp_f32_e32 v12, v12
	v_cvt_i32_f32_e32 v14, v15
	;; [unrolled: 17-line block ×4, first 2 shown]
	v_cmp_ngt_f32_e64 s[14:15], s36, v12
	v_cndmask_b32_e64 v11, 0, v11, s[14:15]
	v_cmp_nlt_f32_e64 s[14:15], s37, v12
	v_ldexp_f32 v12, v15, v16
	v_sub_f32_e32 v15, v26, v10
	v_mul_f32_e32 v16, 0x3fb8aa3b, v15
	v_fma_f32 v17, v15, s31, -v16
	v_rndne_f32_e32 v19, v16
	v_fmac_f32_e32 v17, 0x32a5705f, v15
	v_sub_f32_e32 v16, v16, v19
	v_add_f32_e32 v16, v16, v17
	v_exp_f32_e32 v16, v16
	v_cvt_i32_f32_e32 v17, v19
	v_cndmask_b32_e64 v11, v5, v11, s[14:15]
	v_cndmask_b32_e64 v11, 0, v11, s[12:13]
	v_cmp_ngt_f32_e64 s[12:13], s36, v14
	v_cndmask_b32_e64 v12, 0, v12, s[12:13]
	v_cmp_nlt_f32_e64 s[12:13], s37, v14
	v_ldexp_f32 v14, v16, v17
	v_sub_f32_e32 v16, v27, v10
	v_mul_f32_e32 v17, 0x3fb8aa3b, v16
	v_fma_f32 v19, v16, s31, -v17
	v_rndne_f32_e32 v20, v17
	v_fmac_f32_e32 v19, 0x32a5705f, v16
	v_sub_f32_e32 v17, v17, v20
	v_cndmask_b32_e64 v12, v5, v12, s[12:13]
	v_add_f32_e32 v17, v17, v19
	v_cndmask_b32_e64 v12, 0, v12, s[10:11]
	v_cmp_ngt_f32_e64 s[10:11], s36, v15
	v_exp_f32_e32 v17, v17
	v_cvt_i32_f32_e32 v19, v20
	v_cndmask_b32_e64 v14, 0, v14, s[10:11]
	v_cmp_nlt_f32_e64 s[10:11], s37, v15
	v_cndmask_b32_e64 v14, v5, v14, s[10:11]
	v_cndmask_b32_e64 v14, 0, v14, s[8:9]
	v_sub_f32_e32 v15, v28, v10
	s_waitcnt vmcnt(3)
	v_mul_f32_e32 v14, v2, v14
	v_ldexp_f32 v2, v17, v19
	v_mul_f32_e32 v17, 0x3fb8aa3b, v15
	v_fma_f32 v19, v15, s31, -v17
	v_rndne_f32_e32 v20, v17
	v_fmac_f32_e32 v19, 0x32a5705f, v15
	v_sub_f32_e32 v17, v17, v20
	v_add_f32_e32 v17, v17, v19
	v_cmp_ngt_f32_e64 s[8:9], s36, v16
	v_exp_f32_e32 v17, v17
	v_cvt_i32_f32_e32 v19, v20
	v_cndmask_b32_e64 v2, 0, v2, s[8:9]
	v_cmp_nlt_f32_e64 s[8:9], s37, v16
	v_cndmask_b32_e64 v2, v5, v2, s[8:9]
	v_sub_f32_e32 v10, v29, v10
	v_cndmask_b32_e64 v2, 0, v2, s[2:3]
	v_mul_f32_e32 v16, 0x3fb8aa3b, v10
	s_waitcnt vmcnt(2)
	v_mul_f32_e32 v3, v3, v2
	v_ldexp_f32 v2, v17, v19
	v_fma_f32 v17, v10, s31, -v16
	v_rndne_f32_e32 v19, v16
	v_fmac_f32_e32 v17, 0x32a5705f, v10
	v_sub_f32_e32 v16, v16, v19
	v_add_f32_e32 v16, v16, v17
	v_cmp_ngt_f32_e64 s[2:3], s36, v15
	v_exp_f32_e32 v16, v16
	v_cvt_i32_f32_e32 v17, v19
	v_cndmask_b32_e64 v2, 0, v2, s[2:3]
	v_cmp_nlt_f32_e64 s[2:3], s37, v15
	v_cndmask_b32_e64 v2, v5, v2, s[2:3]
	v_cndmask_b32_e64 v2, 0, v2, s[0:1]
	s_waitcnt vmcnt(1)
	v_mul_f32_e32 v13, v13, v2
	v_ldexp_f32 v2, v16, v17
	v_cmp_ngt_f32_e64 s[0:1], s36, v10
	v_mul_f32_e32 v1, v45, v1
	v_mul_f32_e32 v4, v46, v4
	v_cndmask_b32_e64 v2, 0, v2, s[0:1]
	v_cmp_nlt_f32_e64 s[0:1], s37, v10
	v_cndmask_b32_e64 v2, v5, v2, s[0:1]
	v_add_f32_e32 v5, v1, v4
	v_add_f32_e32 v5, v5, v6
	;; [unrolled: 1-line block ×4, first 2 shown]
	v_mul_f32_e32 v11, v47, v11
	v_add_f32_e32 v5, v5, v9
	v_mul_f32_e32 v12, v48, v12
	v_add_f32_e32 v5, v5, v11
	v_add_f32_e32 v5, v5, v12
	;; [unrolled: 1-line block ×4, first 2 shown]
	v_cndmask_b32_e32 v2, 0, v2, vcc
	v_add_f32_e32 v5, v5, v13
	s_waitcnt vmcnt(0)
	v_fmac_f32_e32 v5, v18, v2
	ds_bpermute_b32 v10, v33, v5
	v_mul_f32_e32 v15, v18, v2
	v_cmp_eq_u32_e32 vcc, 0, v0
	s_waitcnt lgkmcnt(0)
	v_add_f32_e32 v5, v5, v10
	ds_bpermute_b32 v10, v38, v5
	s_waitcnt lgkmcnt(0)
	v_add_f32_e32 v5, v5, v10
	ds_bpermute_b32 v10, v39, v5
	;; [unrolled: 3-line block ×4, first 2 shown]
	v_lshlrev_b32_e32 v10, 2, v0
	ds_write2st64_b32 v10, v1, v4 offset1:1
	ds_write2st64_b32 v10, v6, v7 offset0:2 offset1:3
	ds_write2st64_b32 v10, v8, v9 offset0:4 offset1:5
	;; [unrolled: 1-line block ×5, first 2 shown]
	s_waitcnt lgkmcnt(6)
	v_add_f32_e32 v1, v2, v5
	ds_bpermute_b32 v2, v31, v1
	s_and_saveexec_b64 s[0:1], vcc
	s_cbranch_execz .LBB319_8
; %bb.7:
	s_waitcnt lgkmcnt(0)
	v_add_f32_e32 v1, v1, v2
	v_mov_b32_e32 v2, 0
	ds_write_b32 v2, v1 offset:3072
.LBB319_8:
	s_or_b64 exec, exec, s[0:1]
	v_mov_b32_e32 v1, s30
.LBB319_9:
	s_or_b64 exec, exec, s[46:47]
	s_lshl_b32 s0, s48, 7
	s_mov_b32 s1, 0
	s_lshl_b64 s[0:1], s[0:1], 1
	s_add_u32 s0, s28, s0
	s_addc_u32 s1, s29, s1
	s_lshl_b32 s10, s33, 7
	s_waitcnt lgkmcnt(0)
	v_lshlrev_b32_e32 v2, 7, v1
	v_mov_b32_e32 v3, 0
	s_add_i32 s11, s10, 0xffffff80
	v_lshlrev_b64 v[4:5], 1, v[2:3]
	s_cmp_lt_i32 s52, 1
	v_mov_b32_e32 v1, s1
	v_add_co_u32_e32 v2, vcc, s0, v4
	s_cselect_b32 s0, s11, 0
	v_addc_co_u32_e32 v1, vcc, v1, v5, vcc
	v_lshlrev_b32_e32 v116, 1, v0
	s_ashr_i32 s1, s0, 31
	v_add_co_u32_e32 v117, vcc, v2, v116
	s_lshl_b64 s[0:1], s[0:1], 1
	v_addc_co_u32_e32 v118, vcc, 0, v1, vcc
	s_cmpk_lt_i32 s52, 0x101
	v_add_co_u32_e32 v0, vcc, s0, v117
	s_cselect_b32 s0, s11, 0x80
	v_mov_b32_e32 v1, s1
	s_ashr_i32 s1, s0, 31
	s_lshl_b64 s[0:1], s[0:1], 1
	v_addc_co_u32_e32 v1, vcc, v118, v1, vcc
	s_cmpk_lt_i32 s52, 0x201
	v_add_co_u32_e32 v4, vcc, s0, v117
	s_cselect_b32 s0, s11, 0x100
	v_mov_b32_e32 v2, s1
	s_ashr_i32 s1, s0, 31
	;; [unrolled: 7-line block ×8, first 2 shown]
	s_lshl_b64 s[0:1], s[0:1], 1
	v_addc_co_u32_e32 v17, vcc, v118, v2, vcc
	s_cmpk_lt_i32 s52, 0x901
	global_load_ushort v40, v[0:1], off
	global_load_ushort v39, v[4:5], off
	;; [unrolled: 1-line block ×8, first 2 shown]
	v_add_co_u32_e32 v0, vcc, s0, v117
	s_cselect_b32 s0, s11, 0x480
	v_mov_b32_e32 v1, s1
	s_ashr_i32 s1, s0, 31
	s_lshl_b64 s[0:1], s[0:1], 1
	v_addc_co_u32_e32 v1, vcc, v118, v1, vcc
	s_cmpk_lt_i32 s52, 0xa01
	v_add_co_u32_e32 v4, vcc, s0, v117
	s_cselect_b32 s0, s11, 0x500
	v_mov_b32_e32 v5, s1
	s_ashr_i32 s1, s0, 31
	s_lshl_b64 s[0:1], s[0:1], 1
	v_addc_co_u32_e32 v5, vcc, v118, v5, vcc
	s_cmpk_lt_i32 s52, 0xb01
	;; [unrolled: 7-line block ×6, first 2 shown]
	v_add_co_u32_e32 v14, vcc, s0, v117
	s_cselect_b32 s0, s11, 0x780
	v_mov_b32_e32 v15, s1
	s_ashr_i32 s1, s0, 31
	v_addc_co_u32_e32 v15, vcc, v118, v15, vcc
	s_lshl_b64 s[0:1], s[0:1], 1
	v_mov_b32_e32 v17, s1
	v_add_co_u32_e32 v16, vcc, s0, v117
	v_addc_co_u32_e32 v17, vcc, v118, v17, vcc
	global_load_ushort v47, v[0:1], off
	global_load_ushort v48, v[4:5], off
	;; [unrolled: 1-line block ×8, first 2 shown]
	s_cmpk_gt_i32 s52, 0x1000
	s_cselect_b64 s[8:9], -1, 0
	s_cmpk_lt_i32 s52, 0x1001
	v_mov_b32_e32 v57, 0
	v_mov_b32_e32 v58, 0
	;; [unrolled: 1-line block ×48, first 2 shown]
	s_barrier
	s_cbranch_scc1 .LBB319_12
; %bb.10:
	s_cmpk_lt_u32 s52, 0x1101
	s_cselect_b32 s0, s11, 0x880
	s_ashr_i32 s1, s0, 31
	v_add_co_u32_e32 v0, vcc, 0x1000, v117
	s_lshl_b64 s[0:1], s[0:1], 1
	v_addc_co_u32_e32 v1, vcc, 0, v118, vcc
	s_cmpk_lt_u32 s52, 0x1201
	v_add_co_u32_e32 v4, vcc, s0, v117
	s_cselect_b32 s0, s11, 0x900
	v_mov_b32_e32 v5, s1
	s_ashr_i32 s1, s0, 31
	s_lshl_b64 s[0:1], s[0:1], 1
	v_addc_co_u32_e32 v5, vcc, v118, v5, vcc
	s_cmpk_lt_u32 s52, 0x1301
	v_add_co_u32_e32 v6, vcc, s0, v117
	s_cselect_b32 s0, s11, 0x980
	v_mov_b32_e32 v7, s1
	s_ashr_i32 s1, s0, 31
	;; [unrolled: 7-line block ×7, first 2 shown]
	s_lshl_b64 s[0:1], s[0:1], 1
	v_addc_co_u32_e32 v17, vcc, v118, v17, vcc
	s_cmpk_lt_u32 s52, 0x1901
	global_load_ushort v56, v[0:1], off
	global_load_ushort v55, v[4:5], off
	;; [unrolled: 1-line block ×8, first 2 shown]
	v_add_co_u32_e32 v0, vcc, s0, v117
	s_cselect_b32 s0, s11, 0xc80
	v_mov_b32_e32 v1, s1
	s_ashr_i32 s1, s0, 31
	s_lshl_b64 s[0:1], s[0:1], 1
	v_addc_co_u32_e32 v1, vcc, v118, v1, vcc
	s_cmpk_lt_u32 s52, 0x1a01
	v_add_co_u32_e32 v4, vcc, s0, v117
	s_cselect_b32 s0, s11, 0xd00
	v_mov_b32_e32 v5, s1
	s_ashr_i32 s1, s0, 31
	s_lshl_b64 s[0:1], s[0:1], 1
	v_addc_co_u32_e32 v5, vcc, v118, v5, vcc
	s_cmpk_lt_u32 s52, 0x1b01
	;; [unrolled: 7-line block ×6, first 2 shown]
	v_add_co_u32_e32 v14, vcc, s0, v117
	s_cselect_b32 s0, s11, 0xf80
	v_mov_b32_e32 v15, s1
	s_ashr_i32 s1, s0, 31
	v_addc_co_u32_e32 v15, vcc, v118, v15, vcc
	s_lshl_b64 s[0:1], s[0:1], 1
	v_mov_b32_e32 v17, s1
	v_add_co_u32_e32 v16, vcc, s0, v117
	v_addc_co_u32_e32 v17, vcc, v118, v17, vcc
	global_load_ushort v64, v[0:1], off
	global_load_ushort v63, v[4:5], off
	;; [unrolled: 1-line block ×8, first 2 shown]
	s_cmpk_lt_u32 s52, 0x2001
	v_mov_b32_e32 v33, 0
	v_mov_b32_e32 v31, 0
	;; [unrolled: 1-line block ×32, first 2 shown]
	s_cbranch_scc1 .LBB319_12
; %bb.11:
	s_cmpk_lt_u32 s52, 0x2101
	s_cselect_b32 s0, s11, 0x1080
	s_ashr_i32 s1, s0, 31
	s_lshl_b64 s[0:1], s[0:1], 1
	s_cmpk_lt_u32 s52, 0x2201
	v_add_co_u32_e32 v0, vcc, s0, v117
	s_cselect_b32 s0, s11, 0x1100
	v_mov_b32_e32 v1, s1
	s_ashr_i32 s1, s0, 31
	s_lshl_b64 s[0:1], s[0:1], 1
	v_addc_co_u32_e32 v1, vcc, v118, v1, vcc
	s_cmpk_lt_u32 s52, 0x2301
	v_add_co_u32_e32 v4, vcc, s0, v117
	s_cselect_b32 s0, s11, 0x1180
	v_mov_b32_e32 v5, s1
	s_ashr_i32 s1, s0, 31
	s_lshl_b64 s[0:1], s[0:1], 1
	v_addc_co_u32_e32 v5, vcc, v118, v5, vcc
	;; [unrolled: 7-line block ×30, first 2 shown]
	v_mov_b32_e32 v65, s1
	s_movk_i32 s1, 0x2000
	v_add_co_u32_e32 v94, vcc, s1, v117
	v_addc_co_u32_e32 v95, vcc, 0, v118, vcc
	global_load_ushort v96, v[94:95], off
	global_load_ushort v97, v[0:1], off
	;; [unrolled: 1-line block ×15, first 2 shown]
                                        ; kill: killed $vgpr30 killed $vgpr31
                                        ; kill: killed $vgpr8 killed $vgpr9
                                        ; kill: killed $vgpr14 killed $vgpr15
                                        ; kill: killed $vgpr20 killed $vgpr21
                                        ; kill: killed $vgpr4 killed $vgpr5
                                        ; kill: killed $vgpr94 killed $vgpr95
                                        ; kill: killed $vgpr32 killed $vgpr33
                                        ; kill: killed $vgpr10 killed $vgpr11
                                        ; kill: killed $vgpr16 killed $vgpr17
                                        ; kill: killed $vgpr24 killed $vgpr25
                                        ; kill: killed $vgpr6 killed $vgpr7
                                        ; kill: killed $vgpr66 killed $vgpr67
                                        ; kill: killed $vgpr12 killed $vgpr13
                                        ; kill: killed $vgpr18 killed $vgpr19
                                        ; kill: killed $vgpr0 killed $vgpr1
	global_load_ushort v4, v[22:23], off
	global_load_ushort v5, v[26:27], off
	;; [unrolled: 1-line block ×15, first 2 shown]
                                        ; kill: killed $vgpr88 killed $vgpr89
                                        ; kill: killed $vgpr72 killed $vgpr73
                                        ; kill: killed $vgpr78 killed $vgpr79
                                        ; kill: killed $vgpr22 killed $vgpr23
                                        ; kill: killed $vgpr68 killed $vgpr69
                                        ; kill: killed $vgpr90 killed $vgpr91
                                        ; kill: killed $vgpr74 killed $vgpr75
                                        ; kill: killed $vgpr80 killed $vgpr81
                                        ; kill: killed $vgpr26 killed $vgpr27
                                        ; kill: killed $vgpr86 killed $vgpr87
                                        ; kill: killed $vgpr70 killed $vgpr71
                                        ; kill: killed $vgpr92 killed $vgpr93
                                        ; kill: killed $vgpr76 killed $vgpr77
                                        ; kill: killed $vgpr82 killed $vgpr83
                                        ; kill: killed $vgpr28 killed $vgpr29
	global_load_ushort v68, v[84:85], off
	v_add_co_u32_e32 v0, vcc, s0, v117
	v_addc_co_u32_e32 v1, vcc, v118, v65, vcc
	global_load_ushort v1, v[0:1], off
	s_waitcnt vmcnt(31)
	v_lshlrev_b32_e32 v33, 16, v96
	s_waitcnt vmcnt(30)
	v_lshlrev_b32_e32 v31, 16, v97
	s_waitcnt vmcnt(29)
	v_lshlrev_b32_e32 v32, 16, v98
	s_waitcnt vmcnt(28)
	v_lshlrev_b32_e32 v29, 16, v99
	s_waitcnt vmcnt(27)
	v_lshlrev_b32_e32 v30, 16, v100
	s_waitcnt vmcnt(26)
	v_lshlrev_b32_e32 v27, 16, v101
	s_waitcnt vmcnt(25)
	v_lshlrev_b32_e32 v28, 16, v102
	s_waitcnt vmcnt(24)
	v_lshlrev_b32_e32 v25, 16, v103
	s_waitcnt vmcnt(23)
	v_lshlrev_b32_e32 v26, 16, v104
	s_waitcnt vmcnt(22)
	v_lshlrev_b32_e32 v23, 16, v105
	s_waitcnt vmcnt(21)
	v_lshlrev_b32_e32 v24, 16, v106
	s_waitcnt vmcnt(20)
	v_lshlrev_b32_e32 v21, 16, v107
	s_waitcnt vmcnt(19)
	v_lshlrev_b32_e32 v22, 16, v108
	s_waitcnt vmcnt(18)
	v_lshlrev_b32_e32 v19, 16, v109
	s_waitcnt vmcnt(17)
	v_lshlrev_b32_e32 v20, 16, v110
	s_waitcnt vmcnt(16)
	v_lshlrev_b32_e32 v18, 16, v4
	s_waitcnt vmcnt(15)
	v_lshlrev_b32_e32 v17, 16, v5
	s_waitcnt vmcnt(14)
	v_lshlrev_b32_e32 v15, 16, v6
	s_waitcnt vmcnt(13)
	v_lshlrev_b32_e32 v16, 16, v7
	s_waitcnt vmcnt(12)
	v_lshlrev_b32_e32 v14, 16, v8
	s_waitcnt vmcnt(11)
	v_lshlrev_b32_e32 v8, 16, v9
	s_waitcnt vmcnt(10)
	v_lshlrev_b32_e32 v11, 16, v11
	s_waitcnt vmcnt(9)
	v_lshlrev_b32_e32 v10, 16, v10
	s_waitcnt vmcnt(8)
	v_lshlrev_b32_e32 v13, 16, v13
	s_waitcnt vmcnt(7)
	v_lshlrev_b32_e32 v12, 16, v12
	s_waitcnt vmcnt(6)
	v_lshlrev_b32_e32 v9, 16, v66
	s_waitcnt vmcnt(5)
	v_lshlrev_b32_e32 v0, 16, v67
	s_waitcnt vmcnt(4)
	v_lshlrev_b32_e32 v5, 16, v94
	s_waitcnt vmcnt(3)
	v_lshlrev_b32_e32 v4, 16, v95
	s_waitcnt vmcnt(2)
	v_lshlrev_b32_e32 v7, 16, v111
	s_waitcnt vmcnt(1)
	v_lshlrev_b32_e32 v6, 16, v68
	s_waitcnt vmcnt(0)
	v_lshlrev_b32_e32 v1, 16, v1
.LBB319_12:
	s_load_dwordx2 s[0:1], s[4:5], 0x0
	s_load_dwordx2 s[2:3], s[4:5], 0x38
	ds_read_b128 v[66:69], v3
	s_waitcnt vmcnt(15)
	v_lshlrev_b32_e32 v40, 16, v40
	s_waitcnt vmcnt(14)
	v_lshlrev_b32_e32 v39, 16, v39
	ds_read_b128 v[70:73], v3 offset:16
	ds_read_b128 v[74:77], v3 offset:32
	;; [unrolled: 1-line block ×3, first 2 shown]
	s_waitcnt vmcnt(13)
	v_lshlrev_b32_e32 v38, 16, v38
	s_waitcnt lgkmcnt(0)
	v_fma_f32 v40, v66, v40, 0
	v_fmac_f32_e32 v40, v67, v39
	v_fmac_f32_e32 v40, v68, v38
	s_waitcnt vmcnt(12)
	v_lshlrev_b32_e32 v37, 16, v37
	v_fmac_f32_e32 v40, v69, v37
	s_waitcnt vmcnt(10)
	v_lshlrev_b32_e32 v37, 16, v36
	v_lshlrev_b32_e32 v36, 16, v35
	v_pk_mul_f32 v[36:37], v[70:71], v[36:37]
	v_add_f32_e32 v35, v40, v36
	v_add_f32_e32 v36, v35, v37
	s_waitcnt vmcnt(8)
	v_lshlrev_b32_e32 v35, 16, v34
	v_lshlrev_b32_e32 v34, 16, v2
	v_pk_mul_f32 v[34:35], v[72:73], v[34:35]
	v_add_f32_e32 v2, v36, v34
	v_add_f32_e32 v2, v2, v35
	s_waitcnt vmcnt(6)
	v_lshlrev_b32_e32 v35, 16, v48
	v_lshlrev_b32_e32 v34, 16, v47
	v_pk_mul_f32 v[34:35], v[74:75], v[34:35]
	v_add_f32_e32 v2, v2, v34
	v_add_f32_e32 v2, v2, v35
	s_waitcnt vmcnt(4)
	v_lshlrev_b32_e32 v35, 16, v46
	v_lshlrev_b32_e32 v34, 16, v45
	v_pk_mul_f32 v[34:35], v[76:77], v[34:35]
	v_add_f32_e32 v2, v2, v34
	v_add_f32_e32 v2, v2, v35
	s_waitcnt vmcnt(2)
	v_lshlrev_b32_e32 v35, 16, v44
	v_lshlrev_b32_e32 v34, 16, v43
	v_pk_mul_f32 v[34:35], v[78:79], v[34:35]
	v_add_f32_e32 v2, v2, v34
	v_add_f32_e32 v2, v2, v35
	s_waitcnt vmcnt(0)
	v_lshlrev_b32_e32 v35, 16, v42
	v_lshlrev_b32_e32 v34, 16, v41
	v_pk_mul_f32 v[34:35], v[80:81], v[34:35]
	v_add_f32_e32 v2, v2, v34
	v_add_f32_e32 v119, v2, v35
	s_and_b64 vcc, exec, s[8:9]
	s_cbranch_vccz .LBB319_15
; %bb.13:
	ds_read_b128 v[34:37], v3 offset:64
	v_lshlrev_b32_e32 v2, 16, v56
	ds_read_b128 v[38:41], v3 offset:80
	ds_read_b128 v[42:45], v3 offset:96
	;; [unrolled: 1-line block ×3, first 2 shown]
	s_cmpk_lt_u32 s52, 0x2001
	s_waitcnt lgkmcnt(3)
	v_fmac_f32_e32 v119, v34, v2
	v_lshlrev_b32_e32 v2, 16, v55
	v_fmac_f32_e32 v119, v35, v2
	v_lshlrev_b32_e32 v2, 16, v54
	v_fmac_f32_e32 v119, v36, v2
	v_lshlrev_b32_e32 v2, 16, v53
	v_fmac_f32_e32 v119, v37, v2
	v_lshlrev_b32_e32 v2, 16, v52
	s_waitcnt lgkmcnt(2)
	v_fmac_f32_e32 v119, v38, v2
	v_lshlrev_b32_e32 v2, 16, v51
	v_fmac_f32_e32 v119, v39, v2
	v_lshlrev_b32_e32 v2, 16, v50
	v_fmac_f32_e32 v119, v40, v2
	v_lshlrev_b32_e32 v2, 16, v49
	v_fmac_f32_e32 v119, v41, v2
	v_lshlrev_b32_e32 v2, 16, v64
	;; [unrolled: 9-line block ×3, first 2 shown]
	s_waitcnt lgkmcnt(0)
	v_fmac_f32_e32 v119, v66, v2
	v_lshlrev_b32_e32 v2, 16, v59
	v_fmac_f32_e32 v119, v67, v2
	v_lshlrev_b32_e32 v2, 16, v58
	;; [unrolled: 2-line block ×3, first 2 shown]
	v_fmac_f32_e32 v119, v69, v2
	s_cbranch_scc1 .LBB319_15
; %bb.14:
	v_mov_b32_e32 v50, 0
	ds_read_b128 v[34:37], v50 offset:128
	ds_read_b128 v[38:41], v50 offset:144
	;; [unrolled: 1-line block ×4, first 2 shown]
	s_waitcnt lgkmcnt(3)
	v_fmac_f32_e32 v119, v34, v33
	v_fmac_f32_e32 v119, v35, v31
	v_fmac_f32_e32 v119, v36, v32
	v_fmac_f32_e32 v119, v37, v29
	s_waitcnt lgkmcnt(2)
	v_fmac_f32_e32 v119, v38, v30
	v_fmac_f32_e32 v119, v39, v27
	v_fmac_f32_e32 v119, v40, v28
	v_fmac_f32_e32 v119, v41, v25
	;; [unrolled: 5-line block ×3, first 2 shown]
	s_waitcnt lgkmcnt(0)
	v_fmac_f32_e32 v119, v46, v22
	ds_read_b128 v[22:25], v50 offset:192
	v_fmac_f32_e32 v119, v47, v19
	v_fmac_f32_e32 v119, v48, v20
	;; [unrolled: 1-line block ×3, first 2 shown]
	ds_read_b128 v[18:21], v50 offset:208
	s_waitcnt lgkmcnt(1)
	v_fmac_f32_e32 v119, v22, v17
	v_fmac_f32_e32 v119, v23, v15
	;; [unrolled: 1-line block ×4, first 2 shown]
	s_waitcnt lgkmcnt(0)
	v_pk_mul_f32 v[2:3], v[18:19], v[12:13]
	ds_read_b128 v[12:15], v50 offset:224
	v_add_f32_e32 v2, v119, v2
	v_add_f32_e32 v16, v2, v3
	v_pk_mul_f32 v[2:3], v[20:21], v[10:11]
	v_add_f32_e32 v2, v16, v2
	ds_read_b128 v[16:19], v50 offset:240
	v_add_f32_e32 v10, v2, v3
	s_waitcnt lgkmcnt(1)
	v_pk_mul_f32 v[2:3], v[12:13], v[8:9]
	v_add_f32_e32 v2, v10, v2
	v_add_f32_e32 v8, v2, v3
	v_pk_mul_f32 v[2:3], v[14:15], v[6:7]
	v_add_f32_e32 v2, v8, v2
	v_add_f32_e32 v6, v2, v3
	s_waitcnt lgkmcnt(0)
	v_pk_mul_f32 v[2:3], v[16:17], v[4:5]
	v_add_f32_e32 v2, v6, v2
	v_add_f32_e32 v2, v2, v3
	v_pk_mul_f32 v[0:1], v[18:19], v[0:1]
	v_add_f32_e32 v0, v2, v0
	v_add_f32_e32 v119, v0, v1
.LBB319_15:
	s_movk_i32 s4, 0x3f80
	s_movk_i32 s5, 0x100
	s_mov_b32 s8, 64
	s_branch .LBB319_17
.LBB319_16:                             ;   in Loop: Header=BB319_17 Depth=1
	s_addk_i32 s4, 0x2000
	s_addk_i32 s5, 0x100
	s_add_i32 s8, s8, 64
	s_cmp_eq_u32 s4, 0x19f80
	s_cbranch_scc1 .LBB319_19
.LBB319_17:                             ; =>This Inner Loop Header: Depth=1
	s_cmp_le_i32 s33, s8
	s_cbranch_scc1 .LBB319_16
; %bb.18:                               ;   in Loop: Header=BB319_17 Depth=1
	s_add_i32 s9, s4, 0xffffe080
	s_cmp_lt_i32 s9, s10
	s_cselect_b32 s12, s9, s11
	s_ashr_i32 s13, s12, 31
	s_lshl_b64 s[12:13], s[12:13], 1
	s_add_i32 s9, s4, 0xffffe100
	s_cmp_lt_i32 s9, s10
	v_add_co_u32_e32 v2, vcc, s12, v117
	s_cselect_b32 s12, s9, s11
	v_mov_b32_e32 v0, s13
	s_ashr_i32 s13, s12, 31
	s_lshl_b64 s[12:13], s[12:13], 1
	s_add_i32 s9, s4, 0xffffe180
	v_addc_co_u32_e32 v3, vcc, v118, v0, vcc
	s_cmp_lt_i32 s9, s10
	v_add_co_u32_e32 v0, vcc, s12, v117
	s_cselect_b32 s12, s9, s11
	v_mov_b32_e32 v1, s13
	s_ashr_i32 s13, s12, 31
	s_lshl_b64 s[12:13], s[12:13], 1
	s_add_i32 s9, s4, 0xffffe200
	v_addc_co_u32_e32 v1, vcc, v118, v1, vcc
	;; [unrolled: 8-line block ×21, first 2 shown]
	s_cmp_lt_i32 s9, s10
	global_load_ushort v120, v[2:3], off
	global_load_ushort v122, v[4:5], off
	;; [unrolled: 1-line block ×4, first 2 shown]
	v_add_co_u32_e32 v42, vcc, s12, v117
	s_cselect_b32 s12, s9, s11
	v_mov_b32_e32 v43, s13
	s_ashr_i32 s13, s12, 31
	s_lshl_b64 s[12:13], s[12:13], 1
	s_add_i32 s9, s4, 0xffffec00
	v_addc_co_u32_e32 v43, vcc, v118, v43, vcc
	s_cmp_lt_i32 s9, s10
	v_add_co_u32_e32 v44, vcc, s12, v117
	s_cselect_b32 s12, s9, s11
	v_mov_b32_e32 v45, s13
	s_ashr_i32 s13, s12, 31
	s_lshl_b64 s[12:13], s[12:13], 1
	s_add_i32 s9, s4, 0xffffec80
	v_addc_co_u32_e32 v45, vcc, v118, v45, vcc
	s_cmp_lt_i32 s9, s10
	;; [unrolled: 8-line block ×8, first 2 shown]
	global_load_ushort v121, v[0:1], off
	v_add_co_u32_e32 v58, vcc, s12, v117
	s_cselect_b32 s12, s9, s11
	v_mov_b32_e32 v59, s13
	s_ashr_i32 s13, s12, 31
	s_lshl_b64 s[12:13], s[12:13], 1
	s_add_i32 s9, s4, 0xfffff000
	v_addc_co_u32_e32 v59, vcc, v118, v59, vcc
	s_cmp_lt_i32 s9, s10
	v_add_co_u32_e32 v60, vcc, s12, v117
	s_cselect_b32 s12, s9, s11
	global_load_ushort v125, v[10:11], off
	global_load_ushort v126, v[12:13], off
	v_mov_b32_e32 v61, s13
	s_ashr_i32 s13, s12, 31
	global_load_ushort v127, v[14:15], off
	global_load_ushort v128, v[16:17], off
	;; [unrolled: 1-line block ×3, first 2 shown]
	s_lshl_b64 s[12:13], s[12:13], 1
	s_add_i32 s9, s4, 0xfffff080
	v_addc_co_u32_e32 v61, vcc, v118, v61, vcc
	s_cmp_lt_i32 s9, s10
	v_add_co_u32_e32 v62, vcc, s12, v117
	s_cselect_b32 s12, s9, s11
	v_mov_b32_e32 v63, s13
	s_ashr_i32 s13, s12, 31
	s_lshl_b64 s[12:13], s[12:13], 1
	s_add_i32 s9, s4, 0xfffff100
	v_addc_co_u32_e32 v63, vcc, v118, v63, vcc
	s_cmp_lt_i32 s9, s10
	v_add_co_u32_e32 v64, vcc, s12, v117
	s_cselect_b32 s12, s9, s11
	v_mov_b32_e32 v65, s13
	s_ashr_i32 s13, s12, 31
	global_load_ushort v130, v[20:21], off
	global_load_ushort v131, v[22:23], off
	s_lshl_b64 s[12:13], s[12:13], 1
	s_add_i32 s9, s4, 0xfffff180
	v_addc_co_u32_e32 v65, vcc, v118, v65, vcc
	s_cmp_lt_i32 s9, s10
	global_load_ushort v132, v[24:25], off
	global_load_ushort v133, v[26:27], off
	v_add_co_u32_e32 v66, vcc, s12, v117
	s_cselect_b32 s12, s9, s11
	v_mov_b32_e32 v67, s13
	s_ashr_i32 s13, s12, 31
	s_lshl_b64 s[12:13], s[12:13], 1
	s_add_i32 s9, s4, 0xfffff200
	v_addc_co_u32_e32 v67, vcc, v118, v67, vcc
	s_cmp_lt_i32 s9, s10
	v_add_co_u32_e32 v68, vcc, s12, v117
	s_cselect_b32 s12, s9, s11
	v_mov_b32_e32 v69, s13
	s_ashr_i32 s13, s12, 31
	global_load_ushort v134, v[28:29], off
	global_load_ushort v135, v[30:31], off
	s_lshl_b64 s[12:13], s[12:13], 1
	s_add_i32 s9, s4, 0xfffff280
	v_addc_co_u32_e32 v69, vcc, v118, v69, vcc
	s_cmp_lt_i32 s9, s10
	v_add_co_u32_e32 v70, vcc, s12, v117
	s_cselect_b32 s12, s9, s11
	v_mov_b32_e32 v71, s13
	s_ashr_i32 s13, s12, 31
	s_lshl_b64 s[12:13], s[12:13], 1
	s_add_i32 s9, s4, 0xfffff300
	global_load_ushort v28, v[32:33], off
	global_load_ushort v29, v[34:35], off
	;; [unrolled: 1-line block ×4, first 2 shown]
	v_addc_co_u32_e32 v71, vcc, v118, v71, vcc
	s_cmp_lt_i32 s9, s10
	v_add_co_u32_e32 v72, vcc, s12, v117
	s_cselect_b32 s12, s9, s11
	v_mov_b32_e32 v73, s13
	s_ashr_i32 s13, s12, 31
	s_lshl_b64 s[12:13], s[12:13], 1
	s_add_i32 s9, s4, 0xfffff380
	v_addc_co_u32_e32 v73, vcc, v118, v73, vcc
	s_cmp_lt_i32 s9, s10
	v_add_co_u32_e32 v74, vcc, s12, v117
	s_cselect_b32 s12, s9, s11
	v_mov_b32_e32 v75, s13
	s_ashr_i32 s13, s12, 31
	s_lshl_b64 s[12:13], s[12:13], 1
	s_add_i32 s9, s4, 0xfffff400
	v_addc_co_u32_e32 v75, vcc, v118, v75, vcc
	s_cmp_lt_i32 s9, s10
	v_add_co_u32_e32 v76, vcc, s12, v117
	s_cselect_b32 s12, s9, s11
	global_load_ushort v32, v[40:41], off
	global_load_ushort v33, v[42:43], off
	v_mov_b32_e32 v77, s13
	s_ashr_i32 s13, s12, 31
	s_lshl_b64 s[12:13], s[12:13], 1
	s_add_i32 s9, s4, 0xfffff480
	v_addc_co_u32_e32 v77, vcc, v118, v77, vcc
	s_cmp_lt_i32 s9, s10
	v_add_co_u32_e32 v78, vcc, s12, v117
	s_cselect_b32 s12, s9, s11
	v_mov_b32_e32 v79, s13
	s_ashr_i32 s13, s12, 31
	global_load_ushort v36, v[44:45], off
	s_lshl_b64 s[12:13], s[12:13], 1
	s_add_i32 s9, s4, 0xfffff500
	v_mov_b32_e32 v35, s5
	v_addc_co_u32_e32 v79, vcc, v118, v79, vcc
	s_cmp_lt_i32 s9, s10
	ds_read_b128 v[12:15], v35
	ds_read_b128 v[16:19], v35 offset:16
	global_load_ushort v37, v[46:47], off
	v_add_co_u32_e32 v80, vcc, s12, v117
	s_cselect_b32 s12, s9, s11
	v_mov_b32_e32 v81, s13
	s_ashr_i32 s13, s12, 31
	s_lshl_b64 s[12:13], s[12:13], 1
	s_add_i32 s9, s4, 0xfffff580
	v_addc_co_u32_e32 v81, vcc, v118, v81, vcc
	s_cmp_lt_i32 s9, s10
	s_waitcnt vmcnt(23)
	v_lshlrev_b32_e32 v34, 16, v120
	v_add_co_u32_e32 v82, vcc, s12, v117
	s_cselect_b32 s12, s9, s11
	ds_read_b128 v[20:23], v35 offset:32
	ds_read_b128 v[24:27], v35 offset:48
	s_waitcnt lgkmcnt(3)
	v_fmac_f32_e32 v119, v12, v34
	global_load_ushort v34, v[48:49], off
	global_load_ushort v38, v[50:51], off
	global_load_ushort v39, v[52:53], off
	global_load_ushort v40, v[54:55], off
	global_load_ushort v41, v[56:57], off
	global_load_ushort v42, v[58:59], off
	v_mov_b32_e32 v83, s13
	s_ashr_i32 s13, s12, 31
	s_lshl_b64 s[12:13], s[12:13], 1
	s_add_i32 s9, s4, 0xfffff600
	v_addc_co_u32_e32 v83, vcc, v118, v83, vcc
	s_cmp_lt_i32 s9, s10
	v_add_co_u32_e32 v84, vcc, s12, v117
	s_cselect_b32 s12, s9, s11
	v_mov_b32_e32 v85, s13
	s_ashr_i32 s13, s12, 31
	s_lshl_b64 s[12:13], s[12:13], 1
	s_add_i32 s9, s4, 0xfffff680
	v_addc_co_u32_e32 v85, vcc, v118, v85, vcc
	s_cmp_lt_i32 s9, s10
	v_add_co_u32_e32 v86, vcc, s12, v117
	s_cselect_b32 s12, s9, s11
	;; [unrolled: 8-line block ×7, first 2 shown]
	v_mov_b32_e32 v97, s13
	s_ashr_i32 s13, s12, 31
	s_lshl_b64 s[12:13], s[12:13], 1
	s_add_i32 s9, s4, 0xfffff980
	v_addc_co_u32_e32 v97, vcc, v118, v97, vcc
	s_cmp_lt_i32 s9, s10
	s_waitcnt vmcnt(25)
	v_lshlrev_b32_e32 v12, 16, v121
	v_add_co_u32_e32 v98, vcc, s12, v117
	s_cselect_b32 s12, s9, s11
	v_fmac_f32_e32 v119, v13, v12
	v_lshlrev_b32_e32 v12, 16, v122
	v_mov_b32_e32 v99, s13
	s_ashr_i32 s13, s12, 31
	v_fmac_f32_e32 v119, v14, v12
	v_lshlrev_b32_e32 v12, 16, v123
	s_lshl_b64 s[12:13], s[12:13], 1
	s_add_i32 s9, s4, 0xfffffa00
	v_fmac_f32_e32 v119, v15, v12
	v_lshlrev_b32_e32 v12, 16, v124
	v_addc_co_u32_e32 v99, vcc, v118, v99, vcc
	s_cmp_lt_i32 s9, s10
	s_waitcnt lgkmcnt(2)
	v_fmac_f32_e32 v119, v16, v12
	s_waitcnt vmcnt(24)
	v_lshlrev_b32_e32 v12, 16, v125
	v_add_co_u32_e32 v100, vcc, s12, v117
	s_cselect_b32 s12, s9, s11
	v_fmac_f32_e32 v119, v17, v12
	s_waitcnt vmcnt(23)
	v_lshlrev_b32_e32 v12, 16, v126
	v_mov_b32_e32 v101, s13
	s_ashr_i32 s13, s12, 31
	v_fmac_f32_e32 v119, v18, v12
	s_waitcnt vmcnt(22)
	v_lshlrev_b32_e32 v12, 16, v127
	s_lshl_b64 s[12:13], s[12:13], 1
	s_add_i32 s9, s4, 0xfffffa80
	v_fmac_f32_e32 v119, v19, v12
	s_waitcnt vmcnt(21)
	v_lshlrev_b32_e32 v12, 16, v128
	v_addc_co_u32_e32 v101, vcc, v118, v101, vcc
	s_cmp_lt_i32 s9, s10
	s_waitcnt lgkmcnt(1)
	v_fmac_f32_e32 v119, v20, v12
	global_load_ushort v20, v[60:61], off
	v_add_co_u32_e32 v102, vcc, s12, v117
	s_cselect_b32 s12, s9, s11
	v_mov_b32_e32 v103, s13
	s_ashr_i32 s13, s12, 31
	s_lshl_b64 s[12:13], s[12:13], 1
	s_add_i32 s9, s4, 0xfffffb00
	s_waitcnt vmcnt(21)
	v_lshlrev_b32_e32 v12, 16, v129
	v_addc_co_u32_e32 v103, vcc, v118, v103, vcc
	s_cmp_lt_i32 s9, s10
	v_fmac_f32_e32 v119, v21, v12
	global_load_ushort v21, v[62:63], off
	v_add_co_u32_e32 v104, vcc, s12, v117
	s_cselect_b32 s12, s9, s11
	s_waitcnt vmcnt(21)
	v_lshlrev_b32_e32 v12, 16, v130
	global_load_ushort v43, v[64:65], off
	v_mov_b32_e32 v105, s13
	s_ashr_i32 s13, s12, 31
	v_fmac_f32_e32 v119, v22, v12
	global_load_ushort v22, v[66:67], off
	s_waitcnt vmcnt(22)
	v_lshlrev_b32_e32 v12, 16, v131
	s_lshl_b64 s[12:13], s[12:13], 1
	s_add_i32 s9, s4, 0xfffffb80
	v_fmac_f32_e32 v119, v23, v12
	global_load_ushort v23, v[68:69], off
	global_load_ushort v44, v[70:71], off
	v_addc_co_u32_e32 v105, vcc, v118, v105, vcc
	s_cmp_lt_i32 s9, s10
	s_waitcnt vmcnt(23)
	v_lshlrev_b32_e32 v12, 16, v132
	v_add_co_u32_e32 v108, vcc, s12, v117
	s_cselect_b32 s12, s9, s11
	s_waitcnt lgkmcnt(0)
	v_fmac_f32_e32 v119, v24, v12
	global_load_ushort v24, v[72:73], off
	global_load_ushort v45, v[74:75], off
	v_mov_b32_e32 v106, s13
	s_ashr_i32 s13, s12, 31
	s_waitcnt vmcnt(24)
	v_lshlrev_b32_e32 v12, 16, v133
	s_lshl_b64 s[12:13], s[12:13], 1
	s_add_i32 s9, s4, 0xfffffc00
	v_fmac_f32_e32 v119, v25, v12
	global_load_ushort v25, v[76:77], off
	v_addc_co_u32_e32 v109, vcc, v118, v106, vcc
	s_cmp_lt_i32 s9, s10
	v_add_co_u32_e32 v106, vcc, s12, v117
	s_cselect_b32 s12, s9, s11
	s_waitcnt vmcnt(24)
	v_lshlrev_b32_e32 v12, 16, v134
	v_mov_b32_e32 v107, s13
	s_ashr_i32 s13, s12, 31
	v_fmac_f32_e32 v119, v26, v12
	global_load_ushort v26, v[78:79], off
	s_waitcnt vmcnt(24)
	v_lshlrev_b32_e32 v12, 16, v135
	s_lshl_b64 s[12:13], s[12:13], 1
	s_add_i32 s9, s4, 0xfffffc80
	v_fmac_f32_e32 v119, v27, v12
	ds_read_b128 v[12:15], v35 offset:64
	ds_read_b128 v[16:19], v35 offset:80
	v_addc_co_u32_e32 v107, vcc, v118, v107, vcc
	s_cmp_lt_i32 s9, s10
	global_load_ushort v46, v[80:81], off
	global_load_ushort v27, v[82:83], off
	;; [unrolled: 1-line block ×4, first 2 shown]
	v_add_co_u32_e32 v112, vcc, s12, v117
	s_cselect_b32 s12, s9, s11
	v_mov_b32_e32 v110, s13
	s_ashr_i32 s13, s12, 31
	s_lshl_b64 s[12:13], s[12:13], 1
	s_add_i32 s9, s4, 0xfffffd00
	s_waitcnt vmcnt(27)
	v_lshlrev_b32_e32 v28, 16, v28
	v_addc_co_u32_e32 v113, vcc, v118, v110, vcc
	s_cmp_lt_i32 s9, s10
	s_waitcnt lgkmcnt(1)
	v_fmac_f32_e32 v119, v12, v28
	global_load_ushort v28, v[88:89], off
	v_add_co_u32_e32 v110, vcc, s12, v117
	s_cselect_b32 s12, s9, s11
	s_waitcnt vmcnt(27)
	v_lshlrev_b32_e32 v12, 16, v29
	global_load_ushort v29, v[90:91], off
	global_load_ushort v49, v[92:93], off
	v_mov_b32_e32 v111, s13
	s_ashr_i32 s13, s12, 31
	s_lshl_b64 s[12:13], s[12:13], 1
	s_add_i32 s9, s4, 0xfffffd80
	v_addc_co_u32_e32 v111, vcc, v118, v111, vcc
	s_cmp_lt_i32 s9, s10
	v_add_co_u32_e32 v114, vcc, s12, v117
	s_cselect_b32 s12, s9, s11
	v_mov_b32_e32 v115, s13
	s_ashr_i32 s13, s12, 31
	v_fmac_f32_e32 v119, v13, v12
	s_waitcnt vmcnt(28)
	v_lshlrev_b32_e32 v12, 16, v30
	global_load_ushort v30, v[94:95], off
	s_lshl_b64 s[12:13], s[12:13], 1
	s_add_i32 s9, s4, 0xfffffe00
	v_fmac_f32_e32 v119, v14, v12
	s_waitcnt vmcnt(28)
	v_lshlrev_b32_e32 v12, 16, v31
	global_load_ushort v31, v[96:97], off
	v_addc_co_u32_e32 v115, vcc, v118, v115, vcc
	s_cmp_lt_i32 s9, s10
	v_fmac_f32_e32 v119, v15, v12
	s_waitcnt vmcnt(28)
	v_lshlrev_b32_e32 v12, 16, v32
	global_load_ushort v32, v[98:99], off
	global_load_ushort v50, v[100:101], off
	v_add_co_u32_e32 v0, vcc, s12, v117
	s_cselect_b32 s12, s9, s11
	v_mov_b32_e32 v2, s13
	s_ashr_i32 s13, s12, 31
	s_lshl_b64 s[12:13], s[12:13], 1
	s_add_i32 s9, s4, 0xfffffe80
	s_waitcnt lgkmcnt(0)
	v_fmac_f32_e32 v119, v16, v12
	s_waitcnt vmcnt(29)
	v_lshlrev_b32_e32 v12, 16, v33
	global_load_ushort v33, v[102:103], off
	global_load_ushort v51, v[104:105], off
	;; [unrolled: 1-line block ×3, first 2 shown]
	v_addc_co_u32_e32 v1, vcc, v118, v2, vcc
	s_cmp_lt_i32 s9, s10
	v_add_co_u32_e32 v2, vcc, s12, v117
	s_cselect_b32 s12, s9, s11
	v_mov_b32_e32 v3, s13
	s_ashr_i32 s13, s12, 31
	v_fmac_f32_e32 v119, v17, v12
	s_waitcnt vmcnt(31)
	v_lshlrev_b32_e32 v12, 16, v36
	global_load_ushort v36, v[106:107], off
	global_load_ushort v53, v[112:113], off
	s_lshl_b64 s[12:13], s[12:13], 1
	s_add_i32 s9, s4, 0xffffff00
	v_addc_co_u32_e32 v3, vcc, v118, v3, vcc
	s_cmp_lt_i32 s9, s10
	v_fmac_f32_e32 v119, v18, v12
	s_waitcnt vmcnt(32)
	v_lshlrev_b32_e32 v12, 16, v37
	v_add_co_u32_e32 v4, vcc, s12, v117
	s_cselect_b32 s12, s9, s11
	v_fmac_f32_e32 v119, v19, v12
	ds_read_b128 v[12:15], v35 offset:96
	v_mov_b32_e32 v5, s13
	s_ashr_i32 s13, s12, 31
	s_lshl_b64 s[12:13], s[12:13], 1
	s_add_i32 s9, s4, 0xffffff80
	v_addc_co_u32_e32 v5, vcc, v118, v5, vcc
	s_cmp_lt_i32 s9, s10
	global_load_ushort v37, v[110:111], off
	global_load_ushort v54, v[114:115], off
	v_add_co_u32_e32 v8, vcc, s12, v117
	s_cselect_b32 s12, s9, s11
	s_waitcnt vmcnt(33)
	v_lshlrev_b32_e32 v34, 16, v34
	v_mov_b32_e32 v6, s13
	s_ashr_i32 s13, s12, 31
	s_waitcnt lgkmcnt(0)
	v_fmac_f32_e32 v119, v12, v34
	s_waitcnt vmcnt(32)
	v_lshlrev_b32_e32 v12, 16, v38
	s_lshl_b64 s[12:13], s[12:13], 1
	ds_read_b128 v[16:19], v35 offset:112
	v_fmac_f32_e32 v119, v13, v12
	global_load_ushort v12, v[0:1], off
	global_load_ushort v13, v[2:3], off
	v_addc_co_u32_e32 v9, vcc, v118, v6, vcc
	s_cmp_lt_i32 s4, s10
	v_add_co_u32_e32 v6, vcc, s12, v117
	s_cselect_b32 s12, s4, s11
	s_waitcnt vmcnt(33)
	v_lshlrev_b32_e32 v0, 16, v39
	v_mov_b32_e32 v7, s13
	s_ashr_i32 s13, s12, 31
	v_fmac_f32_e32 v119, v14, v0
	global_load_ushort v14, v[4:5], off
	global_load_ushort v34, v[8:9], off
	v_addc_co_u32_e32 v7, vcc, v118, v7, vcc
	s_lshl_b64 s[12:13], s[12:13], 1
	s_waitcnt vmcnt(34)
	v_lshlrev_b32_e32 v0, 16, v40
	v_mov_b32_e32 v11, s13
	v_add_co_u32_e32 v10, vcc, s12, v117
	v_fmac_f32_e32 v119, v15, v0
	s_waitcnt vmcnt(33)
	v_lshlrev_b32_e32 v0, 16, v41
	v_addc_co_u32_e32 v11, vcc, v118, v11, vcc
	s_waitcnt lgkmcnt(0)
	v_fmac_f32_e32 v119, v16, v0
	global_load_ushort v15, v[6:7], off
	global_load_ushort v16, v[10:11], off
	s_waitcnt vmcnt(34)
	v_lshlrev_b32_e32 v0, 16, v42
	v_fmac_f32_e32 v119, v17, v0
	s_waitcnt vmcnt(33)
	v_lshlrev_b32_e32 v0, 16, v20
	v_fmac_f32_e32 v119, v18, v0
	ds_read_b128 v[0:3], v35 offset:128
	s_waitcnt vmcnt(32)
	v_lshlrev_b32_e32 v4, 16, v21
	v_fmac_f32_e32 v119, v19, v4
	ds_read_b128 v[4:7], v35 offset:144
	s_waitcnt vmcnt(31)
	v_lshlrev_b32_e32 v8, 16, v43
	s_waitcnt lgkmcnt(1)
	v_fmac_f32_e32 v119, v0, v8
	s_waitcnt vmcnt(30)
	v_lshlrev_b32_e32 v0, 16, v22
	v_fmac_f32_e32 v119, v1, v0
	s_waitcnt vmcnt(29)
	v_lshlrev_b32_e32 v0, 16, v23
	;; [unrolled: 3-line block ×4, first 2 shown]
	s_waitcnt lgkmcnt(0)
	v_fmac_f32_e32 v119, v4, v0
	s_waitcnt vmcnt(26)
	v_lshlrev_b32_e32 v0, 16, v45
	v_fmac_f32_e32 v119, v5, v0
	s_waitcnt vmcnt(25)
	v_lshlrev_b32_e32 v0, 16, v25
	v_fmac_f32_e32 v119, v6, v0
	ds_read_b128 v[0:3], v35 offset:160
	s_waitcnt vmcnt(24)
	v_lshlrev_b32_e32 v4, 16, v26
	v_fmac_f32_e32 v119, v7, v4
	ds_read_b128 v[4:7], v35 offset:176
	s_waitcnt vmcnt(23)
	v_lshlrev_b32_e32 v8, 16, v46
	s_waitcnt lgkmcnt(1)
	v_fmac_f32_e32 v119, v0, v8
	s_waitcnt vmcnt(22)
	v_lshlrev_b32_e32 v0, 16, v27
	v_fmac_f32_e32 v119, v1, v0
	s_waitcnt vmcnt(21)
	v_lshlrev_b32_e32 v0, 16, v47
	;; [unrolled: 3-line block ×4, first 2 shown]
	s_waitcnt lgkmcnt(0)
	v_fmac_f32_e32 v119, v4, v0
	s_waitcnt vmcnt(18)
	v_lshlrev_b32_e32 v0, 16, v29
	v_fmac_f32_e32 v119, v5, v0
	s_waitcnt vmcnt(17)
	v_lshlrev_b32_e32 v0, 16, v49
	v_fmac_f32_e32 v119, v6, v0
	ds_read_b128 v[0:3], v35 offset:192
	s_waitcnt vmcnt(16)
	v_lshlrev_b32_e32 v4, 16, v30
	v_fmac_f32_e32 v119, v7, v4
	ds_read_b128 v[4:7], v35 offset:208
	s_waitcnt vmcnt(15)
	v_lshlrev_b32_e32 v8, 16, v31
	s_waitcnt lgkmcnt(1)
	v_fmac_f32_e32 v119, v0, v8
	s_waitcnt vmcnt(14)
	v_lshlrev_b32_e32 v0, 16, v32
	v_fmac_f32_e32 v119, v1, v0
	s_waitcnt vmcnt(13)
	v_lshlrev_b32_e32 v0, 16, v50
	;; [unrolled: 3-line block ×4, first 2 shown]
	v_lshlrev_b32_e32 v0, 16, v51
	s_waitcnt lgkmcnt(0)
	v_pk_mul_f32 v[0:1], v[4:5], v[0:1]
	v_add_f32_e32 v0, v119, v0
	v_add_f32_e32 v2, v0, v1
	s_waitcnt vmcnt(8)
	v_lshlrev_b32_e32 v1, 16, v53
	v_lshlrev_b32_e32 v0, 16, v36
	v_pk_mul_f32 v[4:5], v[6:7], v[0:1]
	v_add_f32_e32 v4, v2, v4
	ds_read_b128 v[0:3], v35 offset:224
	s_waitcnt vmcnt(6)
	v_lshlrev_b32_e32 v9, 16, v54
	v_lshlrev_b32_e32 v8, 16, v37
	v_add_f32_e32 v10, v4, v5
	ds_read_b128 v[4:7], v35 offset:240
	s_waitcnt lgkmcnt(1)
	v_pk_mul_f32 v[0:1], v[0:1], v[8:9]
	v_add_f32_e32 v0, v10, v0
	v_add_f32_e32 v8, v0, v1
	s_waitcnt vmcnt(4)
	v_lshlrev_b32_e32 v1, 16, v13
	v_lshlrev_b32_e32 v0, 16, v12
	v_pk_mul_f32 v[0:1], v[2:3], v[0:1]
	v_add_f32_e32 v0, v8, v0
	v_add_f32_e32 v2, v0, v1
	s_waitcnt vmcnt(2)
	v_lshlrev_b32_e32 v1, 16, v34
	v_lshlrev_b32_e32 v0, 16, v14
	s_waitcnt lgkmcnt(0)
	v_pk_mul_f32 v[0:1], v[4:5], v[0:1]
	v_add_f32_e32 v0, v2, v0
	v_add_f32_e32 v2, v0, v1
	s_waitcnt vmcnt(1)
	v_lshlrev_b32_e32 v0, 16, v15
	s_waitcnt vmcnt(0)
	v_lshlrev_b32_e32 v1, 16, v16
	v_pk_mul_f32 v[0:1], v[6:7], v[0:1]
	v_add_f32_e32 v0, v2, v0
	v_add_f32_e32 v119, v0, v1
	s_branch .LBB319_16
.LBB319_19:
	v_mov_b32_e32 v0, 0
	ds_read_b32 v0, v0 offset:3072
	s_cmp_lg_u64 s[2:3], 0
	s_cbranch_scc0 .LBB319_28
; %bb.20:
	s_load_dword s4, s[2:3], 0x0
	s_waitcnt lgkmcnt(0)
	v_div_scale_f32 v1, s[2:3], s4, s4, 1.0
	v_rcp_f32_e32 v2, v1
	v_div_scale_f32 v3, vcc, 1.0, s4, 1.0
	v_fma_f32 v4, -v1, v2, 1.0
	v_fmac_f32_e32 v2, v4, v2
	v_mul_f32_e32 v4, v3, v2
	v_fma_f32 v5, -v1, v4, v3
	v_fmac_f32_e32 v4, v5, v2
	v_fma_f32 v1, -v1, v4, v3
	v_div_fmas_f32 v1, v1, v2, v4
	v_div_fixup_f32 v1, v1, s4, 1.0
	s_andn2_b64 vcc, exec, s[42:43]
	s_cbranch_vccnz .LBB319_22
.LBB319_21:
	s_add_u32 s2, s40, s44
	s_addc_u32 s3, s41, s45
	s_load_dword s34, s[2:3], 0x0
	s_mov_b32 s35, 0
.LBB319_22:
	s_waitcnt lgkmcnt(0)
	v_add_f32_e32 v0, 0x358637bd, v0
	v_div_scale_f32 v2, s[2:3], v0, v0, 1.0
	v_rcp_f32_e32 v3, v2
	v_div_scale_f32 v4, vcc, 1.0, v0, 1.0
	s_mov_b32 s2, 0x7f800000
	v_fma_f32 v5, -v2, v3, 1.0
	v_fmac_f32_e32 v3, v5, v3
	v_mul_f32_e32 v5, v4, v3
	v_fma_f32 v6, -v2, v5, v4
	v_fmac_f32_e32 v5, v6, v3
	v_fma_f32 v2, -v2, v5, v4
	v_div_fmas_f32 v2, v2, v3, v5
	v_div_fixup_f32 v0, v2, v0, 1.0
	v_mul_f32_e32 v0, v119, v0
	v_mul_f32_e32 v1, v0, v1
	v_and_b32_e32 v0, 0x7f800000, v1
	v_cmp_ne_u32_e32 vcc, s2, v0
                                        ; implicit-def: $vgpr0
	s_and_saveexec_b64 s[2:3], vcc
	s_xor_b64 s[2:3], exec, s[2:3]
; %bb.23:
	v_bfe_u32 v0, v1, 16, 1
	s_movk_i32 s4, 0x7fff
	v_add3_u32 v0, v1, v0, s4
                                        ; implicit-def: $vgpr1
; %bb.24:
	s_andn2_saveexec_b64 s[2:3], s[2:3]
; %bb.25:
	v_mov_b32_e32 v0, 0
	v_or_b32_e32 v2, 0x10000, v1
	v_cmp_eq_u32_sdwa vcc, v1, v0 src0_sel:WORD_0 src1_sel:DWORD
	v_cndmask_b32_e32 v0, v2, v1, vcc
; %bb.26:
	s_or_b64 exec, exec, s[2:3]
	s_mul_i32 s2, s7, s35
	s_mul_hi_u32 s3, s7, s34
	s_add_i32 s3, s3, s2
	s_mul_i32 s2, s7, s34
	s_lshl_b64 s[2:3], s[2:3], 8
	s_add_u32 s2, s0, s2
	s_mov_b32 s7, 0
	s_addc_u32 s3, s1, s3
	s_lshl_b64 s[0:1], s[6:7], 8
	s_add_u32 s0, s2, s0
	s_addc_u32 s1, s3, s1
	global_store_short_d16_hi v116, v0, s[0:1]
	s_endpgm
.LBB319_27:
	s_mov_b64 s[2:3], 0
	s_branch .LBB319_2
.LBB319_28:
	v_mov_b32_e32 v1, 1.0
	s_andn2_b64 vcc, exec, s[42:43]
	s_cbranch_vccz .LBB319_21
	s_branch .LBB319_22
	.section	.rodata,"a",@progbits
	.p2align	6, 0x0
	.amdhsa_kernel _Z35paged_attention_ll4mi_reduce_kernelI14__hip_bfloat16S0_Li128ELi128ELi256ELi12EEvPT0_PKfS4_PKT_PKiS9_iS4_
		.amdhsa_group_segment_fixed_size 3076
		.amdhsa_private_segment_fixed_size 0
		.amdhsa_kernarg_size 320
		.amdhsa_user_sgpr_count 6
		.amdhsa_user_sgpr_private_segment_buffer 1
		.amdhsa_user_sgpr_dispatch_ptr 0
		.amdhsa_user_sgpr_queue_ptr 0
		.amdhsa_user_sgpr_kernarg_segment_ptr 1
		.amdhsa_user_sgpr_dispatch_id 0
		.amdhsa_user_sgpr_flat_scratch_init 0
		.amdhsa_user_sgpr_kernarg_preload_length 0
		.amdhsa_user_sgpr_kernarg_preload_offset 0
		.amdhsa_user_sgpr_private_segment_size 0
		.amdhsa_uses_dynamic_stack 0
		.amdhsa_system_sgpr_private_segment_wavefront_offset 0
		.amdhsa_system_sgpr_workgroup_id_x 1
		.amdhsa_system_sgpr_workgroup_id_y 1
		.amdhsa_system_sgpr_workgroup_id_z 0
		.amdhsa_system_sgpr_workgroup_info 0
		.amdhsa_system_vgpr_workitem_id 0
		.amdhsa_next_free_vgpr 136
		.amdhsa_next_free_sgpr 53
		.amdhsa_accum_offset 136
		.amdhsa_reserve_vcc 1
		.amdhsa_reserve_flat_scratch 0
		.amdhsa_float_round_mode_32 0
		.amdhsa_float_round_mode_16_64 0
		.amdhsa_float_denorm_mode_32 3
		.amdhsa_float_denorm_mode_16_64 3
		.amdhsa_dx10_clamp 1
		.amdhsa_ieee_mode 1
		.amdhsa_fp16_overflow 0
		.amdhsa_tg_split 0
		.amdhsa_exception_fp_ieee_invalid_op 0
		.amdhsa_exception_fp_denorm_src 0
		.amdhsa_exception_fp_ieee_div_zero 0
		.amdhsa_exception_fp_ieee_overflow 0
		.amdhsa_exception_fp_ieee_underflow 0
		.amdhsa_exception_fp_ieee_inexact 0
		.amdhsa_exception_int_div_zero 0
	.end_amdhsa_kernel
	.section	.text._Z35paged_attention_ll4mi_reduce_kernelI14__hip_bfloat16S0_Li128ELi128ELi256ELi12EEvPT0_PKfS4_PKT_PKiS9_iS4_,"axG",@progbits,_Z35paged_attention_ll4mi_reduce_kernelI14__hip_bfloat16S0_Li128ELi128ELi256ELi12EEvPT0_PKfS4_PKT_PKiS9_iS4_,comdat
.Lfunc_end319:
	.size	_Z35paged_attention_ll4mi_reduce_kernelI14__hip_bfloat16S0_Li128ELi128ELi256ELi12EEvPT0_PKfS4_PKT_PKiS9_iS4_, .Lfunc_end319-_Z35paged_attention_ll4mi_reduce_kernelI14__hip_bfloat16S0_Li128ELi128ELi256ELi12EEvPT0_PKfS4_PKT_PKiS9_iS4_
                                        ; -- End function
	.section	.AMDGPU.csdata,"",@progbits
; Kernel info:
; codeLenInByte = 11408
; NumSgprs: 57
; NumVgprs: 136
; NumAgprs: 0
; TotalNumVgprs: 136
; ScratchSize: 0
; MemoryBound: 0
; FloatMode: 240
; IeeeMode: 1
; LDSByteSize: 3076 bytes/workgroup (compile time only)
; SGPRBlocks: 7
; VGPRBlocks: 16
; NumSGPRsForWavesPerEU: 57
; NumVGPRsForWavesPerEU: 136
; AccumOffset: 136
; Occupancy: 3
; WaveLimiterHint : 1
; COMPUTE_PGM_RSRC2:SCRATCH_EN: 0
; COMPUTE_PGM_RSRC2:USER_SGPR: 6
; COMPUTE_PGM_RSRC2:TRAP_HANDLER: 0
; COMPUTE_PGM_RSRC2:TGID_X_EN: 1
; COMPUTE_PGM_RSRC2:TGID_Y_EN: 1
; COMPUTE_PGM_RSRC2:TGID_Z_EN: 0
; COMPUTE_PGM_RSRC2:TIDIG_COMP_CNT: 0
; COMPUTE_PGM_RSRC3_GFX90A:ACCUM_OFFSET: 33
; COMPUTE_PGM_RSRC3_GFX90A:TG_SPLIT: 0
	.section	.text._Z35paged_attention_ll4mi_reduce_kernelI14__hip_bfloat16S0_Li128ELi128ELi256ELi13EEvPT0_PKfS4_PKT_PKiS9_iS4_,"axG",@progbits,_Z35paged_attention_ll4mi_reduce_kernelI14__hip_bfloat16S0_Li128ELi128ELi256ELi13EEvPT0_PKfS4_PKT_PKiS9_iS4_,comdat
	.protected	_Z35paged_attention_ll4mi_reduce_kernelI14__hip_bfloat16S0_Li128ELi128ELi256ELi13EEvPT0_PKfS4_PKT_PKiS9_iS4_ ; -- Begin function _Z35paged_attention_ll4mi_reduce_kernelI14__hip_bfloat16S0_Li128ELi128ELi256ELi13EEvPT0_PKfS4_PKT_PKiS9_iS4_
	.globl	_Z35paged_attention_ll4mi_reduce_kernelI14__hip_bfloat16S0_Li128ELi128ELi256ELi13EEvPT0_PKfS4_PKT_PKiS9_iS4_
	.p2align	8
	.type	_Z35paged_attention_ll4mi_reduce_kernelI14__hip_bfloat16S0_Li128ELi128ELi256ELi13EEvPT0_PKfS4_PKT_PKiS9_iS4_,@function
_Z35paged_attention_ll4mi_reduce_kernelI14__hip_bfloat16S0_Li128ELi128ELi256ELi13EEvPT0_PKfS4_PKT_PKiS9_iS4_: ; @_Z35paged_attention_ll4mi_reduce_kernelI14__hip_bfloat16S0_Li128ELi128ELi256ELi13EEvPT0_PKfS4_PKT_PKiS9_iS4_
; %bb.0:
	s_load_dwordx2 s[34:35], s[4:5], 0x28
	s_mov_b32 s30, s7
	s_mov_b64 s[0:1], 0
	s_waitcnt lgkmcnt(0)
	s_cmp_lg_u64 s[34:35], 0
	s_cselect_b64 s[44:45], -1, 0
	s_and_b64 vcc, exec, s[44:45]
	s_cbranch_vccz .LBB320_27
; %bb.1:
	s_add_i32 s2, s30, 1
	s_mov_b32 s3, 0
	s_lshl_b64 s[8:9], s[2:3], 2
	s_add_u32 s8, s34, s8
	s_mov_b32 s31, s3
	s_addc_u32 s9, s35, s9
	s_lshl_b64 s[2:3], s[30:31], 2
	s_add_u32 s2, s34, s2
	s_addc_u32 s3, s35, s3
	s_load_dword s7, s[8:9], 0x0
	s_load_dword s10, s[2:3], 0x0
	s_waitcnt lgkmcnt(0)
	s_sub_i32 s2, s7, s10
	s_cmp_eq_u32 s2, 1
	s_cselect_b64 s[2:3], -1, 0
	s_andn2_b64 vcc, exec, s[0:1]
	s_cbranch_vccnz .LBB320_3
.LBB320_2:
	s_mov_b32 s31, 0
	s_mov_b64 s[2:3], -1
.LBB320_3:
	s_andn2_b64 vcc, exec, s[2:3]
	s_cbranch_vccz .LBB320_5
; %bb.4:
	s_endpgm
.LBB320_5:
	s_load_dwordx4 s[36:39], s[4:5], 0x18
	s_load_dword s8, s[4:5], 0x30
	s_lshl_b64 s[46:47], s[30:31], 2
	v_cmp_lt_u32_e32 vcc, 63, v0
	s_waitcnt lgkmcnt(0)
	s_add_u32 s0, s38, s46
	s_addc_u32 s1, s39, s47
	s_load_dword s54, s[0:1], 0x0
	s_load_dword s7, s[4:5], 0x40
	s_mul_i32 s38, s6, s8
	s_mul_i32 s2, s30, s8
	s_waitcnt lgkmcnt(0)
	s_add_i32 s3, s54, 0xff
	s_ashr_i32 s0, s3, 31
	s_lshr_b32 s0, s0, 24
	s_add_i32 s3, s3, s0
	s_and_saveexec_b64 s[0:1], vcc
	s_xor_b64 s[0:1], exec, s[0:1]
	s_or_saveexec_b64 s[48:49], s[0:1]
	s_ashr_i32 s33, s3, 8
	v_mov_b32_e32 v1, s38
	s_mul_i32 s50, s2, s7
	s_xor_b64 exec, exec, s[48:49]
	s_cbranch_execz .LBB320_9
; %bb.6:
	s_add_i32 s0, s33, -1
	v_or_b32_e32 v3, 64, v0
	v_mov_b32_e32 v1, s0
	v_cmp_gt_u32_e64 s[24:25], s33, v3
	v_cndmask_b32_e64 v4, v1, v3, s[24:25]
	v_or_b32_e32 v3, 0x80, v0
	v_cmp_gt_u32_e64 s[22:23], s33, v3
	v_cndmask_b32_e64 v6, v1, v3, s[22:23]
	v_or_b32_e32 v3, 0xc0, v0
	;; [unrolled: 3-line block ×8, first 2 shown]
	s_load_dwordx4 s[40:43], s[4:5], 0x8
	v_cmp_gt_u32_e64 s[8:9], s33, v3
	v_cndmask_b32_e64 v20, v1, v3, s[8:9]
	v_or_b32_e32 v3, 0x280, v0
	v_cmp_gt_u32_e64 s[2:3], s33, v3
	s_mov_b32 s51, 0
	v_cndmask_b32_e64 v22, v1, v3, s[2:3]
	v_or_b32_e32 v3, 0x2c0, v0
	v_cmp_gt_u32_e64 s[0:1], s33, v3
	s_lshl_b64 s[52:53], s[50:51], 2
	s_mov_b32 s39, s51
	v_cmp_gt_u32_e64 s[26:27], s33, v0
	v_cndmask_b32_e64 v24, v1, v3, s[0:1]
	v_or_b32_e32 v3, 0x300, v0
	s_waitcnt lgkmcnt(0)
	s_add_u32 s28, s42, s52
	v_cndmask_b32_e64 v2, v1, v0, s[26:27]
	v_cmp_gt_u32_e32 vcc, s33, v3
	s_addc_u32 s29, s43, s53
	s_lshl_b64 s[42:43], s[38:39], 2
	v_cndmask_b32_e32 v26, v1, v3, vcc
	s_add_u32 s39, s28, s42
	v_ashrrev_i32_e32 v3, 31, v2
	s_addc_u32 s51, s29, s43
	v_lshlrev_b64 v[2:3], 2, v[2:3]
	v_mov_b32_e32 v1, s51
	v_add_co_u32_e64 v28, s[28:29], s39, v2
	v_ashrrev_i32_e32 v5, 31, v4
	v_addc_co_u32_e64 v29, s[28:29], v1, v3, s[28:29]
	v_lshlrev_b64 v[4:5], 2, v[4:5]
	v_add_co_u32_e64 v30, s[28:29], s39, v4
	v_ashrrev_i32_e32 v7, 31, v6
	v_addc_co_u32_e64 v31, s[28:29], v1, v5, s[28:29]
	v_lshlrev_b64 v[6:7], 2, v[6:7]
	;; [unrolled: 4-line block ×8, first 2 shown]
	global_load_dword v1, v[28:29], off
	global_load_dword v44, v[30:31], off
	;; [unrolled: 1-line block ×5, first 2 shown]
	s_nop 0
	global_load_dword v38, v[38:39], off
	s_nop 0
	global_load_dword v39, v[40:41], off
	;; [unrolled: 2-line block ×3, first 2 shown]
	v_mov_b32_e32 v21, s51
	v_add_co_u32_e64 v28, s[28:29], s39, v18
	v_addc_co_u32_e64 v29, s[28:29], v21, v19, s[28:29]
	v_ashrrev_i32_e32 v21, 31, v20
	v_lshlrev_b64 v[20:21], 2, v[20:21]
	v_mov_b32_e32 v23, s51
	v_add_co_u32_e64 v30, s[28:29], s39, v20
	v_addc_co_u32_e64 v31, s[28:29], v23, v21, s[28:29]
	v_ashrrev_i32_e32 v23, 31, v22
	v_lshlrev_b64 v[22:23], 2, v[22:23]
	;; [unrolled: 5-line block ×4, first 2 shown]
	v_mov_b32_e32 v37, s51
	v_add_co_u32_e64 v36, s[28:29], s39, v26
	v_addc_co_u32_e64 v37, s[28:29], v37, v27, s[28:29]
	global_load_dword v28, v[28:29], off
	s_nop 0
	global_load_dword v29, v[30:31], off
	s_nop 0
	global_load_dword v30, v[32:33], off
	global_load_dword v31, v[34:35], off
	s_nop 0
	global_load_dword v32, v[36:37], off
	v_mbcnt_lo_u32_b32 v34, -1, 0
	v_mbcnt_hi_u32_b32 v34, -1, v34
	v_and_b32_e32 v35, 64, v34
	v_add_u32_e32 v35, 64, v35
	v_xor_b32_e32 v36, 32, v34
	v_cmp_lt_i32_e64 s[28:29], v36, v35
	v_cndmask_b32_e64 v36, v34, v36, s[28:29]
	v_lshlrev_b32_e32 v36, 2, v36
	s_waitcnt vmcnt(10)
	v_max3_f32 v33, v1, v44, v45
	s_waitcnt vmcnt(8)
	v_max3_f32 v33, v33, v46, v47
	;; [unrolled: 2-line block ×6, first 2 shown]
	ds_bpermute_b32 v37, v36, v33
	s_waitcnt lgkmcnt(0)
	v_max_f32_e32 v37, v37, v37
	v_max_f32_e32 v33, v33, v37
	v_xor_b32_e32 v37, 16, v34
	v_cmp_lt_i32_e64 s[28:29], v37, v35
	v_cndmask_b32_e64 v37, v34, v37, s[28:29]
	v_lshlrev_b32_e32 v37, 2, v37
	ds_bpermute_b32 v41, v37, v33
	s_waitcnt lgkmcnt(0)
	v_max_f32_e32 v41, v41, v41
	v_max_f32_e32 v33, v33, v41
	v_xor_b32_e32 v41, 8, v34
	v_cmp_lt_i32_e64 s[28:29], v41, v35
	v_cndmask_b32_e64 v41, v34, v41, s[28:29]
	v_lshlrev_b32_e32 v41, 2, v41
	;; [unrolled: 8-line block ×4, first 2 shown]
	ds_bpermute_b32 v48, v43, v33
	s_waitcnt lgkmcnt(0)
	v_max_f32_e32 v48, v48, v48
	v_max_f32_e32 v33, v33, v48
	v_xor_b32_e32 v48, 1, v34
	v_cmp_lt_i32_e64 s[28:29], v48, v35
	v_cndmask_b32_e64 v34, v34, v48, s[28:29]
	s_add_u32 s28, s40, s52
	s_addc_u32 s29, s41, s53
	s_add_u32 s39, s28, s42
	s_addc_u32 s40, s29, s43
	v_mov_b32_e32 v48, s40
	v_add_co_u32_e64 v2, s[28:29], s39, v2
	v_addc_co_u32_e64 v3, s[28:29], v48, v3, s[28:29]
	global_load_dword v48, v[2:3], off
	v_mov_b32_e32 v3, s40
	v_add_co_u32_e64 v2, s[28:29], s39, v4
	v_addc_co_u32_e64 v3, s[28:29], v3, v5, s[28:29]
	v_mov_b32_e32 v5, s40
	v_add_co_u32_e64 v4, s[28:29], s39, v6
	v_addc_co_u32_e64 v5, s[28:29], v5, v7, s[28:29]
	;; [unrolled: 3-line block ×7, first 2 shown]
	global_load_dword v16, v[2:3], off
	global_load_dword v17, v[4:5], off
	;; [unrolled: 1-line block ×5, first 2 shown]
	s_nop 0
	global_load_dword v12, v[12:13], off
	s_nop 0
	global_load_dword v13, v[14:15], off
	v_lshlrev_b32_e32 v34, 2, v34
	ds_bpermute_b32 v35, v34, v33
	v_mov_b32_e32 v3, s40
	v_add_co_u32_e64 v2, s[28:29], s39, v18
	v_addc_co_u32_e64 v3, s[28:29], v3, v19, s[28:29]
	v_mov_b32_e32 v5, s40
	v_add_co_u32_e64 v4, s[28:29], s39, v20
	v_addc_co_u32_e64 v5, s[28:29], v5, v21, s[28:29]
	;; [unrolled: 3-line block ×3, first 2 shown]
	s_waitcnt lgkmcnt(0)
	v_max_f32_e32 v14, v35, v35
	v_mov_b32_e32 v9, s40
	v_add_co_u32_e64 v8, s[28:29], s39, v24
	v_max_f32_e32 v14, v33, v14
	v_addc_co_u32_e64 v9, s[28:29], v9, v25, s[28:29]
	v_sub_f32_e32 v1, v1, v14
	v_add_co_u32_e64 v10, s[28:29], s39, v26
	s_mov_b32 s39, 0x3fb8aa3b
	v_mul_f32_e32 v15, 0x3fb8aa3b, v1
	v_fma_f32 v18, v1, s39, -v15
	v_rndne_f32_e32 v19, v15
	v_mov_b32_e32 v11, s40
	v_fmac_f32_e32 v18, 0x32a5705f, v1
	v_sub_f32_e32 v15, v15, v19
	v_addc_co_u32_e64 v11, s[28:29], v11, v27, s[28:29]
	v_add_f32_e32 v15, v15, v18
	v_cvt_i32_f32_e32 v18, v19
	global_load_dword v2, v[2:3], off
	s_nop 0
	global_load_dword v3, v[4:5], off
	global_load_dword v19, v[6:7], off
	global_load_dword v20, v[8:9], off
	global_load_dword v21, v[10:11], off
	v_sub_f32_e32 v6, v44, v14
	v_mul_f32_e32 v7, 0x3fb8aa3b, v6
	v_fma_f32 v8, v6, s39, -v7
	v_rndne_f32_e32 v9, v7
	v_exp_f32_e32 v15, v15
	v_fmac_f32_e32 v8, 0x32a5705f, v6
	v_sub_f32_e32 v7, v7, v9
	v_add_f32_e32 v7, v7, v8
	v_exp_f32_e32 v7, v7
	v_cvt_i32_f32_e32 v8, v9
	s_mov_b32 s40, 0xc2ce8ed0
	v_ldexp_f32 v4, v15, v18
	v_cmp_ngt_f32_e64 s[28:29], s40, v1
	s_mov_b32 s41, 0x42b17218
	v_cndmask_b32_e64 v4, 0, v4, s[28:29]
	v_mov_b32_e32 v5, 0x7f800000
	v_cmp_nlt_f32_e64 s[28:29], s41, v1
	v_cndmask_b32_e64 v1, v5, v4, s[28:29]
	v_ldexp_f32 v4, v7, v8
	v_sub_f32_e32 v7, v45, v14
	v_mul_f32_e32 v8, 0x3fb8aa3b, v7
	v_fma_f32 v9, v7, s39, -v8
	v_rndne_f32_e32 v10, v8
	v_fmac_f32_e32 v9, 0x32a5705f, v7
	v_sub_f32_e32 v8, v8, v10
	v_add_f32_e32 v8, v8, v9
	v_exp_f32_e32 v8, v8
	v_cvt_i32_f32_e32 v9, v10
	v_cndmask_b32_e64 v1, 0, v1, s[26:27]
	v_cmp_ngt_f32_e64 s[26:27], s40, v6
	v_cndmask_b32_e64 v4, 0, v4, s[26:27]
	v_cmp_nlt_f32_e64 s[26:27], s41, v6
	v_ldexp_f32 v6, v8, v9
	v_sub_f32_e32 v8, v46, v14
	v_mul_f32_e32 v9, 0x3fb8aa3b, v8
	v_fma_f32 v10, v8, s39, -v9
	v_rndne_f32_e32 v11, v9
	v_fmac_f32_e32 v10, 0x32a5705f, v8
	v_sub_f32_e32 v9, v9, v11
	v_add_f32_e32 v9, v9, v10
	v_exp_f32_e32 v9, v9
	v_cvt_i32_f32_e32 v10, v11
	v_cndmask_b32_e64 v4, v5, v4, s[26:27]
	v_cndmask_b32_e64 v4, 0, v4, s[24:25]
	v_cmp_ngt_f32_e64 s[24:25], s40, v7
	v_cndmask_b32_e64 v6, 0, v6, s[24:25]
	v_cmp_nlt_f32_e64 s[24:25], s41, v7
	v_ldexp_f32 v7, v9, v10
	v_sub_f32_e32 v9, v47, v14
	v_mul_f32_e32 v10, 0x3fb8aa3b, v9
	v_fma_f32 v11, v9, s39, -v10
	v_rndne_f32_e32 v15, v10
	v_fmac_f32_e32 v11, 0x32a5705f, v9
	v_sub_f32_e32 v10, v10, v15
	v_add_f32_e32 v10, v10, v11
	v_exp_f32_e32 v10, v10
	v_cvt_i32_f32_e32 v11, v15
	v_cndmask_b32_e64 v6, v5, v6, s[24:25]
	v_cndmask_b32_e64 v6, 0, v6, s[22:23]
	v_cmp_ngt_f32_e64 s[22:23], s40, v8
	v_cndmask_b32_e64 v7, 0, v7, s[22:23]
	v_cmp_nlt_f32_e64 s[22:23], s41, v8
	v_ldexp_f32 v8, v10, v11
	v_sub_f32_e32 v10, v38, v14
	v_mul_f32_e32 v11, 0x3fb8aa3b, v10
	s_waitcnt vmcnt(11)
	v_mul_f32_e32 v4, v16, v4
	v_fma_f32 v15, v10, s39, -v11
	v_rndne_f32_e32 v16, v11
	v_fmac_f32_e32 v15, 0x32a5705f, v10
	v_sub_f32_e32 v11, v11, v16
	v_add_f32_e32 v11, v11, v15
	v_exp_f32_e32 v11, v11
	v_cvt_i32_f32_e32 v15, v16
	v_cndmask_b32_e64 v7, v5, v7, s[22:23]
	v_cndmask_b32_e64 v7, 0, v7, s[20:21]
	v_cmp_ngt_f32_e64 s[20:21], s40, v9
	v_cndmask_b32_e64 v8, 0, v8, s[20:21]
	v_cmp_nlt_f32_e64 s[20:21], s41, v9
	v_ldexp_f32 v9, v11, v15
	v_sub_f32_e32 v11, v39, v14
	v_mul_f32_e32 v15, 0x3fb8aa3b, v11
	s_waitcnt vmcnt(10)
	v_mul_f32_e32 v6, v17, v6
	v_fma_f32 v16, v11, s39, -v15
	v_rndne_f32_e32 v17, v15
	v_fmac_f32_e32 v16, 0x32a5705f, v11
	v_sub_f32_e32 v15, v15, v17
	v_add_f32_e32 v15, v15, v16
	v_exp_f32_e32 v15, v15
	v_cvt_i32_f32_e32 v16, v17
	v_cndmask_b32_e64 v8, v5, v8, s[20:21]
	v_cndmask_b32_e64 v8, 0, v8, s[18:19]
	v_cmp_ngt_f32_e64 s[18:19], s40, v10
	v_cndmask_b32_e64 v9, 0, v9, s[18:19]
	v_cmp_nlt_f32_e64 s[18:19], s41, v10
	v_ldexp_f32 v10, v15, v16
	v_sub_f32_e32 v15, v40, v14
	v_mul_f32_e32 v16, 0x3fb8aa3b, v15
	v_fma_f32 v17, v15, s39, -v16
	v_rndne_f32_e32 v18, v16
	v_cndmask_b32_e64 v9, v5, v9, s[18:19]
	v_fmac_f32_e32 v17, 0x32a5705f, v15
	v_sub_f32_e32 v16, v16, v18
	v_cndmask_b32_e64 v9, 0, v9, s[16:17]
	v_cmp_ngt_f32_e64 s[16:17], s40, v11
	v_add_f32_e32 v16, v16, v17
	v_cndmask_b32_e64 v10, 0, v10, s[16:17]
	v_exp_f32_e32 v16, v16
	v_cvt_i32_f32_e32 v17, v18
	v_cmp_nlt_f32_e64 s[16:17], s41, v11
	v_cndmask_b32_e64 v10, v5, v10, s[16:17]
	v_cndmask_b32_e64 v10, 0, v10, s[14:15]
	s_waitcnt vmcnt(6)
	v_mul_f32_e32 v10, v12, v10
	v_sub_f32_e32 v12, v28, v14
	v_ldexp_f32 v11, v16, v17
	v_mul_f32_e32 v16, 0x3fb8aa3b, v12
	v_fma_f32 v17, v12, s39, -v16
	v_rndne_f32_e32 v18, v16
	v_fmac_f32_e32 v17, 0x32a5705f, v12
	v_sub_f32_e32 v16, v16, v18
	v_add_f32_e32 v16, v16, v17
	v_cmp_ngt_f32_e64 s[14:15], s40, v15
	v_exp_f32_e32 v16, v16
	v_cvt_i32_f32_e32 v17, v18
	v_cndmask_b32_e64 v11, 0, v11, s[14:15]
	v_cmp_nlt_f32_e64 s[14:15], s41, v15
	v_cndmask_b32_e64 v11, v5, v11, s[14:15]
	v_cndmask_b32_e64 v11, 0, v11, s[12:13]
	v_sub_f32_e32 v15, v29, v14
	s_waitcnt vmcnt(5)
	v_mul_f32_e32 v11, v13, v11
	v_ldexp_f32 v13, v16, v17
	v_mul_f32_e32 v16, 0x3fb8aa3b, v15
	v_fma_f32 v17, v15, s39, -v16
	v_rndne_f32_e32 v18, v16
	v_fmac_f32_e32 v17, 0x32a5705f, v15
	v_sub_f32_e32 v16, v16, v18
	v_add_f32_e32 v16, v16, v17
	v_cmp_ngt_f32_e64 s[12:13], s40, v12
	v_exp_f32_e32 v16, v16
	v_cvt_i32_f32_e32 v17, v18
	v_cndmask_b32_e64 v13, 0, v13, s[12:13]
	v_cmp_nlt_f32_e64 s[12:13], s41, v12
	v_cndmask_b32_e64 v12, v5, v13, s[12:13]
	v_cndmask_b32_e64 v12, 0, v12, s[10:11]
	v_sub_f32_e32 v13, v30, v14
	s_waitcnt vmcnt(4)
	v_mul_f32_e32 v12, v2, v12
	;; [unrolled: 17-line block ×4, first 2 shown]
	v_ldexp_f32 v2, v16, v17
	v_mul_f32_e32 v16, 0x3fb8aa3b, v14
	v_fma_f32 v17, v14, s39, -v16
	v_rndne_f32_e32 v18, v16
	v_fmac_f32_e32 v17, 0x32a5705f, v14
	v_sub_f32_e32 v16, v16, v18
	v_add_f32_e32 v16, v16, v17
	v_exp_f32_e32 v16, v16
	v_cvt_i32_f32_e32 v17, v18
	v_cmp_ngt_f32_e64 s[2:3], s40, v15
	v_cndmask_b32_e64 v2, 0, v2, s[2:3]
	v_cmp_nlt_f32_e64 s[2:3], s41, v15
	v_cndmask_b32_e64 v2, v5, v2, s[2:3]
	v_mul_f32_e32 v1, v48, v1
	v_cndmask_b32_e64 v2, 0, v2, s[0:1]
	v_ldexp_f32 v15, v16, v17
	v_cmp_ngt_f32_e64 s[0:1], s40, v14
	v_cndmask_b32_e64 v15, 0, v15, s[0:1]
	v_cmp_nlt_f32_e64 s[0:1], s41, v14
	v_add_f32_e32 v14, v1, v4
	v_mul_f32_e32 v7, v49, v7
	v_add_f32_e32 v14, v14, v6
	v_mul_f32_e32 v8, v50, v8
	;; [unrolled: 2-line block ×3, first 2 shown]
	v_add_f32_e32 v14, v14, v8
	v_add_f32_e32 v14, v14, v9
	;; [unrolled: 1-line block ×6, first 2 shown]
	v_cndmask_b32_e64 v5, v5, v15, s[0:1]
	v_add_f32_e32 v14, v14, v13
	v_cndmask_b32_e32 v5, 0, v5, vcc
	s_waitcnt vmcnt(1)
	v_fmac_f32_e32 v14, v20, v2
	s_waitcnt vmcnt(0)
	v_fmac_f32_e32 v14, v21, v5
	ds_bpermute_b32 v15, v36, v14
	v_mul_f32_e32 v16, v20, v2
	v_lshlrev_b32_e32 v17, 2, v0
	ds_write2st64_b32 v17, v1, v4 offset1:1
	ds_write2st64_b32 v17, v6, v7 offset0:2 offset1:3
	ds_write2st64_b32 v17, v8, v9 offset0:4 offset1:5
	ds_write2st64_b32 v17, v10, v11 offset0:6 offset1:7
	v_cmp_eq_u32_e32 vcc, 0, v0
	s_waitcnt lgkmcnt(4)
	v_add_f32_e32 v14, v14, v15
	ds_bpermute_b32 v15, v37, v14
	v_mul_f32_e32 v5, v21, v5
	ds_write2st64_b32 v17, v12, v3 offset0:8 offset1:9
	ds_write2st64_b32 v17, v13, v16 offset0:10 offset1:11
	ds_write_b32 v17, v5 offset:3072
	s_waitcnt lgkmcnt(3)
	v_add_f32_e32 v14, v14, v15
	ds_bpermute_b32 v15, v41, v14
	s_waitcnt lgkmcnt(0)
	v_add_f32_e32 v14, v14, v15
	ds_bpermute_b32 v15, v42, v14
	;; [unrolled: 3-line block ×4, first 2 shown]
	s_and_saveexec_b64 s[0:1], vcc
	s_cbranch_execz .LBB320_8
; %bb.7:
	s_waitcnt lgkmcnt(0)
	v_add_f32_e32 v1, v1, v2
	v_mov_b32_e32 v2, 0
	ds_write_b32 v2, v1 offset:3328
.LBB320_8:
	s_or_b64 exec, exec, s[0:1]
	v_mov_b32_e32 v1, s38
.LBB320_9:
	s_or_b64 exec, exec, s[48:49]
	s_lshl_b32 s0, s50, 7
	s_mov_b32 s1, 0
	s_lshl_b64 s[0:1], s[0:1], 1
	s_add_u32 s0, s36, s0
	s_addc_u32 s1, s37, s1
	s_lshl_b32 s10, s33, 7
	s_waitcnt lgkmcnt(0)
	v_lshlrev_b32_e32 v2, 7, v1
	v_mov_b32_e32 v3, 0
	s_add_i32 s11, s10, 0xffffff80
	v_lshlrev_b64 v[4:5], 1, v[2:3]
	s_cmp_lt_i32 s54, 1
	v_mov_b32_e32 v1, s1
	v_add_co_u32_e32 v2, vcc, s0, v4
	s_cselect_b32 s0, s11, 0
	v_addc_co_u32_e32 v1, vcc, v1, v5, vcc
	v_lshlrev_b32_e32 v116, 1, v0
	s_ashr_i32 s1, s0, 31
	v_add_co_u32_e32 v117, vcc, v2, v116
	s_lshl_b64 s[0:1], s[0:1], 1
	v_addc_co_u32_e32 v118, vcc, 0, v1, vcc
	s_cmpk_lt_i32 s54, 0x101
	v_add_co_u32_e32 v0, vcc, s0, v117
	s_cselect_b32 s0, s11, 0x80
	v_mov_b32_e32 v1, s1
	s_ashr_i32 s1, s0, 31
	s_lshl_b64 s[0:1], s[0:1], 1
	v_addc_co_u32_e32 v1, vcc, v118, v1, vcc
	s_cmpk_lt_i32 s54, 0x201
	v_add_co_u32_e32 v4, vcc, s0, v117
	s_cselect_b32 s0, s11, 0x100
	v_mov_b32_e32 v2, s1
	s_ashr_i32 s1, s0, 31
	;; [unrolled: 7-line block ×8, first 2 shown]
	s_lshl_b64 s[0:1], s[0:1], 1
	v_addc_co_u32_e32 v17, vcc, v118, v2, vcc
	s_cmpk_lt_i32 s54, 0x901
	global_load_ushort v40, v[0:1], off
	global_load_ushort v39, v[4:5], off
	;; [unrolled: 1-line block ×8, first 2 shown]
	v_add_co_u32_e32 v0, vcc, s0, v117
	s_cselect_b32 s0, s11, 0x480
	v_mov_b32_e32 v1, s1
	s_ashr_i32 s1, s0, 31
	s_lshl_b64 s[0:1], s[0:1], 1
	v_addc_co_u32_e32 v1, vcc, v118, v1, vcc
	s_cmpk_lt_i32 s54, 0xa01
	v_add_co_u32_e32 v4, vcc, s0, v117
	s_cselect_b32 s0, s11, 0x500
	v_mov_b32_e32 v5, s1
	s_ashr_i32 s1, s0, 31
	s_lshl_b64 s[0:1], s[0:1], 1
	v_addc_co_u32_e32 v5, vcc, v118, v5, vcc
	s_cmpk_lt_i32 s54, 0xb01
	;; [unrolled: 7-line block ×6, first 2 shown]
	v_add_co_u32_e32 v14, vcc, s0, v117
	s_cselect_b32 s0, s11, 0x780
	v_mov_b32_e32 v15, s1
	s_ashr_i32 s1, s0, 31
	v_addc_co_u32_e32 v15, vcc, v118, v15, vcc
	s_lshl_b64 s[0:1], s[0:1], 1
	v_mov_b32_e32 v17, s1
	v_add_co_u32_e32 v16, vcc, s0, v117
	v_addc_co_u32_e32 v17, vcc, v118, v17, vcc
	global_load_ushort v47, v[0:1], off
	global_load_ushort v48, v[4:5], off
	;; [unrolled: 1-line block ×8, first 2 shown]
	s_cmpk_gt_i32 s54, 0x1000
	s_cselect_b64 s[8:9], -1, 0
	s_cmpk_lt_i32 s54, 0x1001
	v_mov_b32_e32 v57, 0
	v_mov_b32_e32 v58, 0
	;; [unrolled: 1-line block ×48, first 2 shown]
	s_barrier
	s_cbranch_scc1 .LBB320_12
; %bb.10:
	s_cmpk_lt_u32 s54, 0x1101
	s_cselect_b32 s0, s11, 0x880
	s_ashr_i32 s1, s0, 31
	v_add_co_u32_e32 v0, vcc, 0x1000, v117
	s_lshl_b64 s[0:1], s[0:1], 1
	v_addc_co_u32_e32 v1, vcc, 0, v118, vcc
	s_cmpk_lt_u32 s54, 0x1201
	v_add_co_u32_e32 v4, vcc, s0, v117
	s_cselect_b32 s0, s11, 0x900
	v_mov_b32_e32 v5, s1
	s_ashr_i32 s1, s0, 31
	s_lshl_b64 s[0:1], s[0:1], 1
	v_addc_co_u32_e32 v5, vcc, v118, v5, vcc
	s_cmpk_lt_u32 s54, 0x1301
	v_add_co_u32_e32 v6, vcc, s0, v117
	s_cselect_b32 s0, s11, 0x980
	v_mov_b32_e32 v7, s1
	s_ashr_i32 s1, s0, 31
	;; [unrolled: 7-line block ×7, first 2 shown]
	s_lshl_b64 s[0:1], s[0:1], 1
	v_addc_co_u32_e32 v17, vcc, v118, v17, vcc
	s_cmpk_lt_u32 s54, 0x1901
	global_load_ushort v56, v[0:1], off
	global_load_ushort v55, v[4:5], off
	;; [unrolled: 1-line block ×8, first 2 shown]
	v_add_co_u32_e32 v0, vcc, s0, v117
	s_cselect_b32 s0, s11, 0xc80
	v_mov_b32_e32 v1, s1
	s_ashr_i32 s1, s0, 31
	s_lshl_b64 s[0:1], s[0:1], 1
	v_addc_co_u32_e32 v1, vcc, v118, v1, vcc
	s_cmpk_lt_u32 s54, 0x1a01
	v_add_co_u32_e32 v4, vcc, s0, v117
	s_cselect_b32 s0, s11, 0xd00
	v_mov_b32_e32 v5, s1
	s_ashr_i32 s1, s0, 31
	s_lshl_b64 s[0:1], s[0:1], 1
	v_addc_co_u32_e32 v5, vcc, v118, v5, vcc
	s_cmpk_lt_u32 s54, 0x1b01
	;; [unrolled: 7-line block ×6, first 2 shown]
	v_add_co_u32_e32 v14, vcc, s0, v117
	s_cselect_b32 s0, s11, 0xf80
	v_mov_b32_e32 v15, s1
	s_ashr_i32 s1, s0, 31
	v_addc_co_u32_e32 v15, vcc, v118, v15, vcc
	s_lshl_b64 s[0:1], s[0:1], 1
	v_mov_b32_e32 v17, s1
	v_add_co_u32_e32 v16, vcc, s0, v117
	v_addc_co_u32_e32 v17, vcc, v118, v17, vcc
	global_load_ushort v64, v[0:1], off
	global_load_ushort v63, v[4:5], off
	;; [unrolled: 1-line block ×8, first 2 shown]
	s_cmpk_lt_u32 s54, 0x2001
	v_mov_b32_e32 v33, 0
	v_mov_b32_e32 v31, 0
	;; [unrolled: 1-line block ×32, first 2 shown]
	s_cbranch_scc1 .LBB320_12
; %bb.11:
	s_cmpk_lt_u32 s54, 0x2101
	s_cselect_b32 s0, s11, 0x1080
	s_ashr_i32 s1, s0, 31
	s_lshl_b64 s[0:1], s[0:1], 1
	s_cmpk_lt_u32 s54, 0x2201
	v_add_co_u32_e32 v0, vcc, s0, v117
	s_cselect_b32 s0, s11, 0x1100
	v_mov_b32_e32 v1, s1
	s_ashr_i32 s1, s0, 31
	s_lshl_b64 s[0:1], s[0:1], 1
	v_addc_co_u32_e32 v1, vcc, v118, v1, vcc
	s_cmpk_lt_u32 s54, 0x2301
	v_add_co_u32_e32 v4, vcc, s0, v117
	s_cselect_b32 s0, s11, 0x1180
	v_mov_b32_e32 v5, s1
	s_ashr_i32 s1, s0, 31
	s_lshl_b64 s[0:1], s[0:1], 1
	v_addc_co_u32_e32 v5, vcc, v118, v5, vcc
	;; [unrolled: 7-line block ×30, first 2 shown]
	v_mov_b32_e32 v65, s1
	s_movk_i32 s1, 0x2000
	v_add_co_u32_e32 v94, vcc, s1, v117
	v_addc_co_u32_e32 v95, vcc, 0, v118, vcc
	global_load_ushort v96, v[94:95], off
	global_load_ushort v97, v[0:1], off
	global_load_ushort v98, v[4:5], off
	global_load_ushort v99, v[6:7], off
	global_load_ushort v100, v[8:9], off
	global_load_ushort v101, v[10:11], off
	global_load_ushort v102, v[12:13], off
	global_load_ushort v103, v[14:15], off
	global_load_ushort v104, v[16:17], off
	global_load_ushort v105, v[18:19], off
	global_load_ushort v106, v[20:21], off
	global_load_ushort v107, v[24:25], off
	global_load_ushort v108, v[30:31], off
	global_load_ushort v109, v[32:33], off
	global_load_ushort v110, v[66:67], off
                                        ; kill: killed $vgpr30 killed $vgpr31
                                        ; kill: killed $vgpr8 killed $vgpr9
                                        ; kill: killed $vgpr14 killed $vgpr15
                                        ; kill: killed $vgpr20 killed $vgpr21
                                        ; kill: killed $vgpr4 killed $vgpr5
                                        ; kill: killed $vgpr94 killed $vgpr95
                                        ; kill: killed $vgpr32 killed $vgpr33
                                        ; kill: killed $vgpr10 killed $vgpr11
                                        ; kill: killed $vgpr16 killed $vgpr17
                                        ; kill: killed $vgpr24 killed $vgpr25
                                        ; kill: killed $vgpr6 killed $vgpr7
                                        ; kill: killed $vgpr66 killed $vgpr67
                                        ; kill: killed $vgpr12 killed $vgpr13
                                        ; kill: killed $vgpr18 killed $vgpr19
                                        ; kill: killed $vgpr0 killed $vgpr1
	global_load_ushort v4, v[22:23], off
	global_load_ushort v5, v[26:27], off
	;; [unrolled: 1-line block ×15, first 2 shown]
                                        ; kill: killed $vgpr88 killed $vgpr89
                                        ; kill: killed $vgpr72 killed $vgpr73
                                        ; kill: killed $vgpr78 killed $vgpr79
                                        ; kill: killed $vgpr22 killed $vgpr23
                                        ; kill: killed $vgpr68 killed $vgpr69
                                        ; kill: killed $vgpr90 killed $vgpr91
                                        ; kill: killed $vgpr74 killed $vgpr75
                                        ; kill: killed $vgpr80 killed $vgpr81
                                        ; kill: killed $vgpr26 killed $vgpr27
                                        ; kill: killed $vgpr86 killed $vgpr87
                                        ; kill: killed $vgpr70 killed $vgpr71
                                        ; kill: killed $vgpr92 killed $vgpr93
                                        ; kill: killed $vgpr76 killed $vgpr77
                                        ; kill: killed $vgpr82 killed $vgpr83
                                        ; kill: killed $vgpr28 killed $vgpr29
	global_load_ushort v68, v[84:85], off
	v_add_co_u32_e32 v0, vcc, s0, v117
	v_addc_co_u32_e32 v1, vcc, v118, v65, vcc
	global_load_ushort v1, v[0:1], off
	s_waitcnt vmcnt(31)
	v_lshlrev_b32_e32 v33, 16, v96
	s_waitcnt vmcnt(30)
	v_lshlrev_b32_e32 v31, 16, v97
	;; [unrolled: 2-line block ×32, first 2 shown]
.LBB320_12:
	s_load_dwordx2 s[0:1], s[4:5], 0x0
	s_load_dwordx2 s[2:3], s[4:5], 0x38
	ds_read_b128 v[66:69], v3
	s_waitcnt vmcnt(15)
	v_lshlrev_b32_e32 v40, 16, v40
	s_waitcnt vmcnt(14)
	v_lshlrev_b32_e32 v39, 16, v39
	ds_read_b128 v[70:73], v3 offset:16
	ds_read_b128 v[74:77], v3 offset:32
	;; [unrolled: 1-line block ×3, first 2 shown]
	s_waitcnt vmcnt(13)
	v_lshlrev_b32_e32 v38, 16, v38
	s_waitcnt lgkmcnt(0)
	v_fma_f32 v40, v66, v40, 0
	v_fmac_f32_e32 v40, v67, v39
	v_fmac_f32_e32 v40, v68, v38
	s_waitcnt vmcnt(12)
	v_lshlrev_b32_e32 v37, 16, v37
	v_fmac_f32_e32 v40, v69, v37
	s_waitcnt vmcnt(10)
	v_lshlrev_b32_e32 v37, 16, v36
	v_lshlrev_b32_e32 v36, 16, v35
	v_pk_mul_f32 v[36:37], v[70:71], v[36:37]
	v_add_f32_e32 v35, v40, v36
	v_add_f32_e32 v36, v35, v37
	s_waitcnt vmcnt(8)
	v_lshlrev_b32_e32 v35, 16, v34
	v_lshlrev_b32_e32 v34, 16, v2
	v_pk_mul_f32 v[34:35], v[72:73], v[34:35]
	v_add_f32_e32 v2, v36, v34
	v_add_f32_e32 v2, v2, v35
	s_waitcnt vmcnt(6)
	v_lshlrev_b32_e32 v35, 16, v48
	v_lshlrev_b32_e32 v34, 16, v47
	v_pk_mul_f32 v[34:35], v[74:75], v[34:35]
	v_add_f32_e32 v2, v2, v34
	v_add_f32_e32 v2, v2, v35
	s_waitcnt vmcnt(4)
	v_lshlrev_b32_e32 v35, 16, v46
	v_lshlrev_b32_e32 v34, 16, v45
	v_pk_mul_f32 v[34:35], v[76:77], v[34:35]
	v_add_f32_e32 v2, v2, v34
	v_add_f32_e32 v2, v2, v35
	s_waitcnt vmcnt(2)
	v_lshlrev_b32_e32 v35, 16, v44
	v_lshlrev_b32_e32 v34, 16, v43
	v_pk_mul_f32 v[34:35], v[78:79], v[34:35]
	v_add_f32_e32 v2, v2, v34
	v_add_f32_e32 v2, v2, v35
	s_waitcnt vmcnt(0)
	v_lshlrev_b32_e32 v35, 16, v42
	v_lshlrev_b32_e32 v34, 16, v41
	v_pk_mul_f32 v[34:35], v[80:81], v[34:35]
	v_add_f32_e32 v2, v2, v34
	v_add_f32_e32 v119, v2, v35
	s_and_b64 vcc, exec, s[8:9]
	s_cbranch_vccz .LBB320_15
; %bb.13:
	ds_read_b128 v[34:37], v3 offset:64
	v_lshlrev_b32_e32 v2, 16, v56
	ds_read_b128 v[38:41], v3 offset:80
	ds_read_b128 v[42:45], v3 offset:96
	;; [unrolled: 1-line block ×3, first 2 shown]
	s_cmpk_lt_u32 s54, 0x2001
	s_waitcnt lgkmcnt(3)
	v_fmac_f32_e32 v119, v34, v2
	v_lshlrev_b32_e32 v2, 16, v55
	v_fmac_f32_e32 v119, v35, v2
	v_lshlrev_b32_e32 v2, 16, v54
	v_fmac_f32_e32 v119, v36, v2
	v_lshlrev_b32_e32 v2, 16, v53
	v_fmac_f32_e32 v119, v37, v2
	v_lshlrev_b32_e32 v2, 16, v52
	s_waitcnt lgkmcnt(2)
	v_fmac_f32_e32 v119, v38, v2
	v_lshlrev_b32_e32 v2, 16, v51
	v_fmac_f32_e32 v119, v39, v2
	v_lshlrev_b32_e32 v2, 16, v50
	v_fmac_f32_e32 v119, v40, v2
	v_lshlrev_b32_e32 v2, 16, v49
	v_fmac_f32_e32 v119, v41, v2
	v_lshlrev_b32_e32 v2, 16, v64
	;; [unrolled: 9-line block ×3, first 2 shown]
	s_waitcnt lgkmcnt(0)
	v_fmac_f32_e32 v119, v66, v2
	v_lshlrev_b32_e32 v2, 16, v59
	v_fmac_f32_e32 v119, v67, v2
	v_lshlrev_b32_e32 v2, 16, v58
	;; [unrolled: 2-line block ×3, first 2 shown]
	v_fmac_f32_e32 v119, v69, v2
	s_cbranch_scc1 .LBB320_15
; %bb.14:
	v_mov_b32_e32 v50, 0
	ds_read_b128 v[34:37], v50 offset:128
	ds_read_b128 v[38:41], v50 offset:144
	;; [unrolled: 1-line block ×4, first 2 shown]
	s_waitcnt lgkmcnt(3)
	v_fmac_f32_e32 v119, v34, v33
	v_fmac_f32_e32 v119, v35, v31
	v_fmac_f32_e32 v119, v36, v32
	v_fmac_f32_e32 v119, v37, v29
	s_waitcnt lgkmcnt(2)
	v_fmac_f32_e32 v119, v38, v30
	v_fmac_f32_e32 v119, v39, v27
	v_fmac_f32_e32 v119, v40, v28
	v_fmac_f32_e32 v119, v41, v25
	;; [unrolled: 5-line block ×3, first 2 shown]
	s_waitcnt lgkmcnt(0)
	v_fmac_f32_e32 v119, v46, v22
	ds_read_b128 v[22:25], v50 offset:192
	v_fmac_f32_e32 v119, v47, v19
	v_fmac_f32_e32 v119, v48, v20
	;; [unrolled: 1-line block ×3, first 2 shown]
	ds_read_b128 v[18:21], v50 offset:208
	s_waitcnt lgkmcnt(1)
	v_fmac_f32_e32 v119, v22, v17
	v_fmac_f32_e32 v119, v23, v15
	;; [unrolled: 1-line block ×4, first 2 shown]
	s_waitcnt lgkmcnt(0)
	v_pk_mul_f32 v[2:3], v[18:19], v[12:13]
	ds_read_b128 v[12:15], v50 offset:224
	v_add_f32_e32 v2, v119, v2
	v_add_f32_e32 v16, v2, v3
	v_pk_mul_f32 v[2:3], v[20:21], v[10:11]
	v_add_f32_e32 v2, v16, v2
	ds_read_b128 v[16:19], v50 offset:240
	v_add_f32_e32 v10, v2, v3
	s_waitcnt lgkmcnt(1)
	v_pk_mul_f32 v[2:3], v[12:13], v[8:9]
	v_add_f32_e32 v2, v10, v2
	v_add_f32_e32 v8, v2, v3
	v_pk_mul_f32 v[2:3], v[14:15], v[6:7]
	v_add_f32_e32 v2, v8, v2
	v_add_f32_e32 v6, v2, v3
	s_waitcnt lgkmcnt(0)
	v_pk_mul_f32 v[2:3], v[16:17], v[4:5]
	v_add_f32_e32 v2, v6, v2
	v_add_f32_e32 v2, v2, v3
	v_pk_mul_f32 v[0:1], v[18:19], v[0:1]
	v_add_f32_e32 v0, v2, v0
	v_add_f32_e32 v119, v0, v1
.LBB320_15:
	s_movk_i32 s4, 0x3f80
	s_movk_i32 s5, 0x100
	s_mov_b32 s8, 64
	s_branch .LBB320_17
.LBB320_16:                             ;   in Loop: Header=BB320_17 Depth=1
	s_addk_i32 s4, 0x2000
	s_addk_i32 s5, 0x100
	s_add_i32 s8, s8, 64
	s_cmp_eq_u32 s4, 0x1bf80
	s_cbranch_scc1 .LBB320_19
.LBB320_17:                             ; =>This Inner Loop Header: Depth=1
	s_cmp_le_i32 s33, s8
	s_cbranch_scc1 .LBB320_16
; %bb.18:                               ;   in Loop: Header=BB320_17 Depth=1
	s_add_i32 s9, s4, 0xffffe080
	s_cmp_lt_i32 s9, s10
	s_cselect_b32 s12, s9, s11
	s_ashr_i32 s13, s12, 31
	s_lshl_b64 s[12:13], s[12:13], 1
	s_add_i32 s9, s4, 0xffffe100
	s_cmp_lt_i32 s9, s10
	v_add_co_u32_e32 v2, vcc, s12, v117
	s_cselect_b32 s12, s9, s11
	v_mov_b32_e32 v0, s13
	s_ashr_i32 s13, s12, 31
	s_lshl_b64 s[12:13], s[12:13], 1
	s_add_i32 s9, s4, 0xffffe180
	v_addc_co_u32_e32 v3, vcc, v118, v0, vcc
	s_cmp_lt_i32 s9, s10
	v_add_co_u32_e32 v0, vcc, s12, v117
	s_cselect_b32 s12, s9, s11
	v_mov_b32_e32 v1, s13
	s_ashr_i32 s13, s12, 31
	s_lshl_b64 s[12:13], s[12:13], 1
	s_add_i32 s9, s4, 0xffffe200
	v_addc_co_u32_e32 v1, vcc, v118, v1, vcc
	;; [unrolled: 8-line block ×21, first 2 shown]
	s_cmp_lt_i32 s9, s10
	global_load_ushort v120, v[2:3], off
	global_load_ushort v122, v[4:5], off
	;; [unrolled: 1-line block ×4, first 2 shown]
	v_add_co_u32_e32 v42, vcc, s12, v117
	s_cselect_b32 s12, s9, s11
	v_mov_b32_e32 v43, s13
	s_ashr_i32 s13, s12, 31
	s_lshl_b64 s[12:13], s[12:13], 1
	s_add_i32 s9, s4, 0xffffec00
	v_addc_co_u32_e32 v43, vcc, v118, v43, vcc
	s_cmp_lt_i32 s9, s10
	v_add_co_u32_e32 v44, vcc, s12, v117
	s_cselect_b32 s12, s9, s11
	v_mov_b32_e32 v45, s13
	s_ashr_i32 s13, s12, 31
	s_lshl_b64 s[12:13], s[12:13], 1
	s_add_i32 s9, s4, 0xffffec80
	v_addc_co_u32_e32 v45, vcc, v118, v45, vcc
	s_cmp_lt_i32 s9, s10
	;; [unrolled: 8-line block ×8, first 2 shown]
	global_load_ushort v121, v[0:1], off
	v_add_co_u32_e32 v58, vcc, s12, v117
	s_cselect_b32 s12, s9, s11
	v_mov_b32_e32 v59, s13
	s_ashr_i32 s13, s12, 31
	s_lshl_b64 s[12:13], s[12:13], 1
	s_add_i32 s9, s4, 0xfffff000
	v_addc_co_u32_e32 v59, vcc, v118, v59, vcc
	s_cmp_lt_i32 s9, s10
	v_add_co_u32_e32 v60, vcc, s12, v117
	s_cselect_b32 s12, s9, s11
	global_load_ushort v125, v[10:11], off
	global_load_ushort v126, v[12:13], off
	v_mov_b32_e32 v61, s13
	s_ashr_i32 s13, s12, 31
	global_load_ushort v127, v[14:15], off
	global_load_ushort v128, v[16:17], off
	;; [unrolled: 1-line block ×3, first 2 shown]
	s_lshl_b64 s[12:13], s[12:13], 1
	s_add_i32 s9, s4, 0xfffff080
	v_addc_co_u32_e32 v61, vcc, v118, v61, vcc
	s_cmp_lt_i32 s9, s10
	v_add_co_u32_e32 v62, vcc, s12, v117
	s_cselect_b32 s12, s9, s11
	v_mov_b32_e32 v63, s13
	s_ashr_i32 s13, s12, 31
	s_lshl_b64 s[12:13], s[12:13], 1
	s_add_i32 s9, s4, 0xfffff100
	v_addc_co_u32_e32 v63, vcc, v118, v63, vcc
	s_cmp_lt_i32 s9, s10
	v_add_co_u32_e32 v64, vcc, s12, v117
	s_cselect_b32 s12, s9, s11
	v_mov_b32_e32 v65, s13
	s_ashr_i32 s13, s12, 31
	global_load_ushort v130, v[20:21], off
	global_load_ushort v131, v[22:23], off
	s_lshl_b64 s[12:13], s[12:13], 1
	s_add_i32 s9, s4, 0xfffff180
	v_addc_co_u32_e32 v65, vcc, v118, v65, vcc
	s_cmp_lt_i32 s9, s10
	global_load_ushort v132, v[24:25], off
	global_load_ushort v133, v[26:27], off
	v_add_co_u32_e32 v66, vcc, s12, v117
	s_cselect_b32 s12, s9, s11
	v_mov_b32_e32 v67, s13
	s_ashr_i32 s13, s12, 31
	s_lshl_b64 s[12:13], s[12:13], 1
	s_add_i32 s9, s4, 0xfffff200
	v_addc_co_u32_e32 v67, vcc, v118, v67, vcc
	s_cmp_lt_i32 s9, s10
	v_add_co_u32_e32 v68, vcc, s12, v117
	s_cselect_b32 s12, s9, s11
	v_mov_b32_e32 v69, s13
	s_ashr_i32 s13, s12, 31
	global_load_ushort v134, v[28:29], off
	global_load_ushort v135, v[30:31], off
	s_lshl_b64 s[12:13], s[12:13], 1
	s_add_i32 s9, s4, 0xfffff280
	v_addc_co_u32_e32 v69, vcc, v118, v69, vcc
	s_cmp_lt_i32 s9, s10
	v_add_co_u32_e32 v70, vcc, s12, v117
	s_cselect_b32 s12, s9, s11
	v_mov_b32_e32 v71, s13
	s_ashr_i32 s13, s12, 31
	s_lshl_b64 s[12:13], s[12:13], 1
	s_add_i32 s9, s4, 0xfffff300
	global_load_ushort v28, v[32:33], off
	global_load_ushort v29, v[34:35], off
	global_load_ushort v30, v[36:37], off
	global_load_ushort v31, v[38:39], off
	v_addc_co_u32_e32 v71, vcc, v118, v71, vcc
	s_cmp_lt_i32 s9, s10
	v_add_co_u32_e32 v72, vcc, s12, v117
	s_cselect_b32 s12, s9, s11
	v_mov_b32_e32 v73, s13
	s_ashr_i32 s13, s12, 31
	s_lshl_b64 s[12:13], s[12:13], 1
	s_add_i32 s9, s4, 0xfffff380
	v_addc_co_u32_e32 v73, vcc, v118, v73, vcc
	s_cmp_lt_i32 s9, s10
	v_add_co_u32_e32 v74, vcc, s12, v117
	s_cselect_b32 s12, s9, s11
	v_mov_b32_e32 v75, s13
	s_ashr_i32 s13, s12, 31
	s_lshl_b64 s[12:13], s[12:13], 1
	s_add_i32 s9, s4, 0xfffff400
	v_addc_co_u32_e32 v75, vcc, v118, v75, vcc
	s_cmp_lt_i32 s9, s10
	v_add_co_u32_e32 v76, vcc, s12, v117
	s_cselect_b32 s12, s9, s11
	global_load_ushort v32, v[40:41], off
	global_load_ushort v33, v[42:43], off
	v_mov_b32_e32 v77, s13
	s_ashr_i32 s13, s12, 31
	s_lshl_b64 s[12:13], s[12:13], 1
	s_add_i32 s9, s4, 0xfffff480
	v_addc_co_u32_e32 v77, vcc, v118, v77, vcc
	s_cmp_lt_i32 s9, s10
	v_add_co_u32_e32 v78, vcc, s12, v117
	s_cselect_b32 s12, s9, s11
	v_mov_b32_e32 v79, s13
	s_ashr_i32 s13, s12, 31
	global_load_ushort v36, v[44:45], off
	s_lshl_b64 s[12:13], s[12:13], 1
	s_add_i32 s9, s4, 0xfffff500
	v_mov_b32_e32 v35, s5
	v_addc_co_u32_e32 v79, vcc, v118, v79, vcc
	s_cmp_lt_i32 s9, s10
	ds_read_b128 v[12:15], v35
	ds_read_b128 v[16:19], v35 offset:16
	global_load_ushort v37, v[46:47], off
	v_add_co_u32_e32 v80, vcc, s12, v117
	s_cselect_b32 s12, s9, s11
	v_mov_b32_e32 v81, s13
	s_ashr_i32 s13, s12, 31
	s_lshl_b64 s[12:13], s[12:13], 1
	s_add_i32 s9, s4, 0xfffff580
	v_addc_co_u32_e32 v81, vcc, v118, v81, vcc
	s_cmp_lt_i32 s9, s10
	s_waitcnt vmcnt(23)
	v_lshlrev_b32_e32 v34, 16, v120
	v_add_co_u32_e32 v82, vcc, s12, v117
	s_cselect_b32 s12, s9, s11
	ds_read_b128 v[20:23], v35 offset:32
	ds_read_b128 v[24:27], v35 offset:48
	s_waitcnt lgkmcnt(3)
	v_fmac_f32_e32 v119, v12, v34
	global_load_ushort v34, v[48:49], off
	global_load_ushort v38, v[50:51], off
	;; [unrolled: 1-line block ×6, first 2 shown]
	v_mov_b32_e32 v83, s13
	s_ashr_i32 s13, s12, 31
	s_lshl_b64 s[12:13], s[12:13], 1
	s_add_i32 s9, s4, 0xfffff600
	v_addc_co_u32_e32 v83, vcc, v118, v83, vcc
	s_cmp_lt_i32 s9, s10
	v_add_co_u32_e32 v84, vcc, s12, v117
	s_cselect_b32 s12, s9, s11
	v_mov_b32_e32 v85, s13
	s_ashr_i32 s13, s12, 31
	s_lshl_b64 s[12:13], s[12:13], 1
	s_add_i32 s9, s4, 0xfffff680
	v_addc_co_u32_e32 v85, vcc, v118, v85, vcc
	s_cmp_lt_i32 s9, s10
	v_add_co_u32_e32 v86, vcc, s12, v117
	s_cselect_b32 s12, s9, s11
	v_mov_b32_e32 v87, s13
	s_ashr_i32 s13, s12, 31
	s_lshl_b64 s[12:13], s[12:13], 1
	s_add_i32 s9, s4, 0xfffff700
	v_addc_co_u32_e32 v87, vcc, v118, v87, vcc
	s_cmp_lt_i32 s9, s10
	v_add_co_u32_e32 v88, vcc, s12, v117
	s_cselect_b32 s12, s9, s11
	v_mov_b32_e32 v89, s13
	s_ashr_i32 s13, s12, 31
	s_lshl_b64 s[12:13], s[12:13], 1
	s_add_i32 s9, s4, 0xfffff780
	v_addc_co_u32_e32 v89, vcc, v118, v89, vcc
	s_cmp_lt_i32 s9, s10
	v_add_co_u32_e32 v90, vcc, s12, v117
	s_cselect_b32 s12, s9, s11
	v_mov_b32_e32 v91, s13
	s_ashr_i32 s13, s12, 31
	s_lshl_b64 s[12:13], s[12:13], 1
	s_add_i32 s9, s4, 0xfffff800
	v_addc_co_u32_e32 v91, vcc, v118, v91, vcc
	s_cmp_lt_i32 s9, s10
	v_add_co_u32_e32 v92, vcc, s12, v117
	s_cselect_b32 s12, s9, s11
	v_mov_b32_e32 v93, s13
	s_ashr_i32 s13, s12, 31
	s_lshl_b64 s[12:13], s[12:13], 1
	s_add_i32 s9, s4, 0xfffff880
	v_addc_co_u32_e32 v93, vcc, v118, v93, vcc
	s_cmp_lt_i32 s9, s10
	v_add_co_u32_e32 v94, vcc, s12, v117
	s_cselect_b32 s12, s9, s11
	v_mov_b32_e32 v95, s13
	s_ashr_i32 s13, s12, 31
	s_lshl_b64 s[12:13], s[12:13], 1
	s_add_i32 s9, s4, 0xfffff900
	v_addc_co_u32_e32 v95, vcc, v118, v95, vcc
	s_cmp_lt_i32 s9, s10
	v_add_co_u32_e32 v96, vcc, s12, v117
	s_cselect_b32 s12, s9, s11
	v_mov_b32_e32 v97, s13
	s_ashr_i32 s13, s12, 31
	s_lshl_b64 s[12:13], s[12:13], 1
	s_add_i32 s9, s4, 0xfffff980
	v_addc_co_u32_e32 v97, vcc, v118, v97, vcc
	s_cmp_lt_i32 s9, s10
	s_waitcnt vmcnt(25)
	v_lshlrev_b32_e32 v12, 16, v121
	v_add_co_u32_e32 v98, vcc, s12, v117
	s_cselect_b32 s12, s9, s11
	v_fmac_f32_e32 v119, v13, v12
	v_lshlrev_b32_e32 v12, 16, v122
	v_mov_b32_e32 v99, s13
	s_ashr_i32 s13, s12, 31
	v_fmac_f32_e32 v119, v14, v12
	v_lshlrev_b32_e32 v12, 16, v123
	s_lshl_b64 s[12:13], s[12:13], 1
	s_add_i32 s9, s4, 0xfffffa00
	v_fmac_f32_e32 v119, v15, v12
	v_lshlrev_b32_e32 v12, 16, v124
	v_addc_co_u32_e32 v99, vcc, v118, v99, vcc
	s_cmp_lt_i32 s9, s10
	s_waitcnt lgkmcnt(2)
	v_fmac_f32_e32 v119, v16, v12
	s_waitcnt vmcnt(24)
	v_lshlrev_b32_e32 v12, 16, v125
	v_add_co_u32_e32 v100, vcc, s12, v117
	s_cselect_b32 s12, s9, s11
	v_fmac_f32_e32 v119, v17, v12
	s_waitcnt vmcnt(23)
	v_lshlrev_b32_e32 v12, 16, v126
	v_mov_b32_e32 v101, s13
	s_ashr_i32 s13, s12, 31
	v_fmac_f32_e32 v119, v18, v12
	s_waitcnt vmcnt(22)
	v_lshlrev_b32_e32 v12, 16, v127
	s_lshl_b64 s[12:13], s[12:13], 1
	s_add_i32 s9, s4, 0xfffffa80
	v_fmac_f32_e32 v119, v19, v12
	s_waitcnt vmcnt(21)
	v_lshlrev_b32_e32 v12, 16, v128
	v_addc_co_u32_e32 v101, vcc, v118, v101, vcc
	s_cmp_lt_i32 s9, s10
	s_waitcnt lgkmcnt(1)
	v_fmac_f32_e32 v119, v20, v12
	global_load_ushort v20, v[60:61], off
	v_add_co_u32_e32 v102, vcc, s12, v117
	s_cselect_b32 s12, s9, s11
	v_mov_b32_e32 v103, s13
	s_ashr_i32 s13, s12, 31
	s_lshl_b64 s[12:13], s[12:13], 1
	s_add_i32 s9, s4, 0xfffffb00
	s_waitcnt vmcnt(21)
	v_lshlrev_b32_e32 v12, 16, v129
	v_addc_co_u32_e32 v103, vcc, v118, v103, vcc
	s_cmp_lt_i32 s9, s10
	v_fmac_f32_e32 v119, v21, v12
	global_load_ushort v21, v[62:63], off
	v_add_co_u32_e32 v104, vcc, s12, v117
	s_cselect_b32 s12, s9, s11
	s_waitcnt vmcnt(21)
	v_lshlrev_b32_e32 v12, 16, v130
	global_load_ushort v43, v[64:65], off
	v_mov_b32_e32 v105, s13
	s_ashr_i32 s13, s12, 31
	v_fmac_f32_e32 v119, v22, v12
	global_load_ushort v22, v[66:67], off
	s_waitcnt vmcnt(22)
	v_lshlrev_b32_e32 v12, 16, v131
	s_lshl_b64 s[12:13], s[12:13], 1
	s_add_i32 s9, s4, 0xfffffb80
	v_fmac_f32_e32 v119, v23, v12
	global_load_ushort v23, v[68:69], off
	global_load_ushort v44, v[70:71], off
	v_addc_co_u32_e32 v105, vcc, v118, v105, vcc
	s_cmp_lt_i32 s9, s10
	s_waitcnt vmcnt(23)
	v_lshlrev_b32_e32 v12, 16, v132
	v_add_co_u32_e32 v108, vcc, s12, v117
	s_cselect_b32 s12, s9, s11
	s_waitcnt lgkmcnt(0)
	v_fmac_f32_e32 v119, v24, v12
	global_load_ushort v24, v[72:73], off
	global_load_ushort v45, v[74:75], off
	v_mov_b32_e32 v106, s13
	s_ashr_i32 s13, s12, 31
	s_waitcnt vmcnt(24)
	v_lshlrev_b32_e32 v12, 16, v133
	s_lshl_b64 s[12:13], s[12:13], 1
	s_add_i32 s9, s4, 0xfffffc00
	v_fmac_f32_e32 v119, v25, v12
	global_load_ushort v25, v[76:77], off
	v_addc_co_u32_e32 v109, vcc, v118, v106, vcc
	s_cmp_lt_i32 s9, s10
	v_add_co_u32_e32 v106, vcc, s12, v117
	s_cselect_b32 s12, s9, s11
	s_waitcnt vmcnt(24)
	v_lshlrev_b32_e32 v12, 16, v134
	v_mov_b32_e32 v107, s13
	s_ashr_i32 s13, s12, 31
	v_fmac_f32_e32 v119, v26, v12
	global_load_ushort v26, v[78:79], off
	s_waitcnt vmcnt(24)
	v_lshlrev_b32_e32 v12, 16, v135
	s_lshl_b64 s[12:13], s[12:13], 1
	s_add_i32 s9, s4, 0xfffffc80
	v_fmac_f32_e32 v119, v27, v12
	ds_read_b128 v[12:15], v35 offset:64
	ds_read_b128 v[16:19], v35 offset:80
	v_addc_co_u32_e32 v107, vcc, v118, v107, vcc
	s_cmp_lt_i32 s9, s10
	global_load_ushort v46, v[80:81], off
	global_load_ushort v27, v[82:83], off
	global_load_ushort v47, v[84:85], off
	global_load_ushort v48, v[86:87], off
	v_add_co_u32_e32 v112, vcc, s12, v117
	s_cselect_b32 s12, s9, s11
	v_mov_b32_e32 v110, s13
	s_ashr_i32 s13, s12, 31
	s_lshl_b64 s[12:13], s[12:13], 1
	s_add_i32 s9, s4, 0xfffffd00
	s_waitcnt vmcnt(27)
	v_lshlrev_b32_e32 v28, 16, v28
	v_addc_co_u32_e32 v113, vcc, v118, v110, vcc
	s_cmp_lt_i32 s9, s10
	s_waitcnt lgkmcnt(1)
	v_fmac_f32_e32 v119, v12, v28
	global_load_ushort v28, v[88:89], off
	v_add_co_u32_e32 v110, vcc, s12, v117
	s_cselect_b32 s12, s9, s11
	s_waitcnt vmcnt(27)
	v_lshlrev_b32_e32 v12, 16, v29
	global_load_ushort v29, v[90:91], off
	global_load_ushort v49, v[92:93], off
	v_mov_b32_e32 v111, s13
	s_ashr_i32 s13, s12, 31
	s_lshl_b64 s[12:13], s[12:13], 1
	s_add_i32 s9, s4, 0xfffffd80
	v_addc_co_u32_e32 v111, vcc, v118, v111, vcc
	s_cmp_lt_i32 s9, s10
	v_add_co_u32_e32 v114, vcc, s12, v117
	s_cselect_b32 s12, s9, s11
	v_mov_b32_e32 v115, s13
	s_ashr_i32 s13, s12, 31
	v_fmac_f32_e32 v119, v13, v12
	s_waitcnt vmcnt(28)
	v_lshlrev_b32_e32 v12, 16, v30
	global_load_ushort v30, v[94:95], off
	s_lshl_b64 s[12:13], s[12:13], 1
	s_add_i32 s9, s4, 0xfffffe00
	v_fmac_f32_e32 v119, v14, v12
	s_waitcnt vmcnt(28)
	v_lshlrev_b32_e32 v12, 16, v31
	global_load_ushort v31, v[96:97], off
	v_addc_co_u32_e32 v115, vcc, v118, v115, vcc
	s_cmp_lt_i32 s9, s10
	v_fmac_f32_e32 v119, v15, v12
	s_waitcnt vmcnt(28)
	v_lshlrev_b32_e32 v12, 16, v32
	global_load_ushort v32, v[98:99], off
	global_load_ushort v50, v[100:101], off
	v_add_co_u32_e32 v0, vcc, s12, v117
	s_cselect_b32 s12, s9, s11
	v_mov_b32_e32 v2, s13
	s_ashr_i32 s13, s12, 31
	s_lshl_b64 s[12:13], s[12:13], 1
	s_add_i32 s9, s4, 0xfffffe80
	s_waitcnt lgkmcnt(0)
	v_fmac_f32_e32 v119, v16, v12
	s_waitcnt vmcnt(29)
	v_lshlrev_b32_e32 v12, 16, v33
	global_load_ushort v33, v[102:103], off
	global_load_ushort v51, v[104:105], off
	;; [unrolled: 1-line block ×3, first 2 shown]
	v_addc_co_u32_e32 v1, vcc, v118, v2, vcc
	s_cmp_lt_i32 s9, s10
	v_add_co_u32_e32 v2, vcc, s12, v117
	s_cselect_b32 s12, s9, s11
	v_mov_b32_e32 v3, s13
	s_ashr_i32 s13, s12, 31
	v_fmac_f32_e32 v119, v17, v12
	s_waitcnt vmcnt(31)
	v_lshlrev_b32_e32 v12, 16, v36
	global_load_ushort v36, v[106:107], off
	global_load_ushort v53, v[112:113], off
	s_lshl_b64 s[12:13], s[12:13], 1
	s_add_i32 s9, s4, 0xffffff00
	v_addc_co_u32_e32 v3, vcc, v118, v3, vcc
	s_cmp_lt_i32 s9, s10
	v_fmac_f32_e32 v119, v18, v12
	s_waitcnt vmcnt(32)
	v_lshlrev_b32_e32 v12, 16, v37
	v_add_co_u32_e32 v4, vcc, s12, v117
	s_cselect_b32 s12, s9, s11
	v_fmac_f32_e32 v119, v19, v12
	ds_read_b128 v[12:15], v35 offset:96
	v_mov_b32_e32 v5, s13
	s_ashr_i32 s13, s12, 31
	s_lshl_b64 s[12:13], s[12:13], 1
	s_add_i32 s9, s4, 0xffffff80
	v_addc_co_u32_e32 v5, vcc, v118, v5, vcc
	s_cmp_lt_i32 s9, s10
	global_load_ushort v37, v[110:111], off
	global_load_ushort v54, v[114:115], off
	v_add_co_u32_e32 v8, vcc, s12, v117
	s_cselect_b32 s12, s9, s11
	s_waitcnt vmcnt(33)
	v_lshlrev_b32_e32 v34, 16, v34
	v_mov_b32_e32 v6, s13
	s_ashr_i32 s13, s12, 31
	s_waitcnt lgkmcnt(0)
	v_fmac_f32_e32 v119, v12, v34
	s_waitcnt vmcnt(32)
	v_lshlrev_b32_e32 v12, 16, v38
	s_lshl_b64 s[12:13], s[12:13], 1
	ds_read_b128 v[16:19], v35 offset:112
	v_fmac_f32_e32 v119, v13, v12
	global_load_ushort v12, v[0:1], off
	global_load_ushort v13, v[2:3], off
	v_addc_co_u32_e32 v9, vcc, v118, v6, vcc
	s_cmp_lt_i32 s4, s10
	v_add_co_u32_e32 v6, vcc, s12, v117
	s_cselect_b32 s12, s4, s11
	s_waitcnt vmcnt(33)
	v_lshlrev_b32_e32 v0, 16, v39
	v_mov_b32_e32 v7, s13
	s_ashr_i32 s13, s12, 31
	v_fmac_f32_e32 v119, v14, v0
	global_load_ushort v14, v[4:5], off
	global_load_ushort v34, v[8:9], off
	v_addc_co_u32_e32 v7, vcc, v118, v7, vcc
	s_lshl_b64 s[12:13], s[12:13], 1
	s_waitcnt vmcnt(34)
	v_lshlrev_b32_e32 v0, 16, v40
	v_mov_b32_e32 v11, s13
	v_add_co_u32_e32 v10, vcc, s12, v117
	v_fmac_f32_e32 v119, v15, v0
	s_waitcnt vmcnt(33)
	v_lshlrev_b32_e32 v0, 16, v41
	v_addc_co_u32_e32 v11, vcc, v118, v11, vcc
	s_waitcnt lgkmcnt(0)
	v_fmac_f32_e32 v119, v16, v0
	global_load_ushort v15, v[6:7], off
	global_load_ushort v16, v[10:11], off
	s_waitcnt vmcnt(34)
	v_lshlrev_b32_e32 v0, 16, v42
	v_fmac_f32_e32 v119, v17, v0
	s_waitcnt vmcnt(33)
	v_lshlrev_b32_e32 v0, 16, v20
	v_fmac_f32_e32 v119, v18, v0
	ds_read_b128 v[0:3], v35 offset:128
	s_waitcnt vmcnt(32)
	v_lshlrev_b32_e32 v4, 16, v21
	v_fmac_f32_e32 v119, v19, v4
	ds_read_b128 v[4:7], v35 offset:144
	s_waitcnt vmcnt(31)
	v_lshlrev_b32_e32 v8, 16, v43
	s_waitcnt lgkmcnt(1)
	v_fmac_f32_e32 v119, v0, v8
	s_waitcnt vmcnt(30)
	v_lshlrev_b32_e32 v0, 16, v22
	v_fmac_f32_e32 v119, v1, v0
	s_waitcnt vmcnt(29)
	v_lshlrev_b32_e32 v0, 16, v23
	;; [unrolled: 3-line block ×4, first 2 shown]
	s_waitcnt lgkmcnt(0)
	v_fmac_f32_e32 v119, v4, v0
	s_waitcnt vmcnt(26)
	v_lshlrev_b32_e32 v0, 16, v45
	v_fmac_f32_e32 v119, v5, v0
	s_waitcnt vmcnt(25)
	v_lshlrev_b32_e32 v0, 16, v25
	v_fmac_f32_e32 v119, v6, v0
	ds_read_b128 v[0:3], v35 offset:160
	s_waitcnt vmcnt(24)
	v_lshlrev_b32_e32 v4, 16, v26
	v_fmac_f32_e32 v119, v7, v4
	ds_read_b128 v[4:7], v35 offset:176
	s_waitcnt vmcnt(23)
	v_lshlrev_b32_e32 v8, 16, v46
	s_waitcnt lgkmcnt(1)
	v_fmac_f32_e32 v119, v0, v8
	s_waitcnt vmcnt(22)
	v_lshlrev_b32_e32 v0, 16, v27
	v_fmac_f32_e32 v119, v1, v0
	s_waitcnt vmcnt(21)
	v_lshlrev_b32_e32 v0, 16, v47
	;; [unrolled: 3-line block ×4, first 2 shown]
	s_waitcnt lgkmcnt(0)
	v_fmac_f32_e32 v119, v4, v0
	s_waitcnt vmcnt(18)
	v_lshlrev_b32_e32 v0, 16, v29
	v_fmac_f32_e32 v119, v5, v0
	s_waitcnt vmcnt(17)
	v_lshlrev_b32_e32 v0, 16, v49
	v_fmac_f32_e32 v119, v6, v0
	ds_read_b128 v[0:3], v35 offset:192
	s_waitcnt vmcnt(16)
	v_lshlrev_b32_e32 v4, 16, v30
	v_fmac_f32_e32 v119, v7, v4
	ds_read_b128 v[4:7], v35 offset:208
	s_waitcnt vmcnt(15)
	v_lshlrev_b32_e32 v8, 16, v31
	s_waitcnt lgkmcnt(1)
	v_fmac_f32_e32 v119, v0, v8
	s_waitcnt vmcnt(14)
	v_lshlrev_b32_e32 v0, 16, v32
	v_fmac_f32_e32 v119, v1, v0
	s_waitcnt vmcnt(13)
	v_lshlrev_b32_e32 v0, 16, v50
	v_fmac_f32_e32 v119, v2, v0
	s_waitcnt vmcnt(12)
	v_lshlrev_b32_e32 v0, 16, v33
	v_fmac_f32_e32 v119, v3, v0
	s_waitcnt vmcnt(10)
	v_lshlrev_b32_e32 v1, 16, v52
	v_lshlrev_b32_e32 v0, 16, v51
	s_waitcnt lgkmcnt(0)
	v_pk_mul_f32 v[0:1], v[4:5], v[0:1]
	v_add_f32_e32 v0, v119, v0
	v_add_f32_e32 v2, v0, v1
	s_waitcnt vmcnt(8)
	v_lshlrev_b32_e32 v1, 16, v53
	v_lshlrev_b32_e32 v0, 16, v36
	v_pk_mul_f32 v[4:5], v[6:7], v[0:1]
	v_add_f32_e32 v4, v2, v4
	ds_read_b128 v[0:3], v35 offset:224
	s_waitcnt vmcnt(6)
	v_lshlrev_b32_e32 v9, 16, v54
	v_lshlrev_b32_e32 v8, 16, v37
	v_add_f32_e32 v10, v4, v5
	ds_read_b128 v[4:7], v35 offset:240
	s_waitcnt lgkmcnt(1)
	v_pk_mul_f32 v[0:1], v[0:1], v[8:9]
	v_add_f32_e32 v0, v10, v0
	v_add_f32_e32 v8, v0, v1
	s_waitcnt vmcnt(4)
	v_lshlrev_b32_e32 v1, 16, v13
	v_lshlrev_b32_e32 v0, 16, v12
	v_pk_mul_f32 v[0:1], v[2:3], v[0:1]
	v_add_f32_e32 v0, v8, v0
	v_add_f32_e32 v2, v0, v1
	s_waitcnt vmcnt(2)
	v_lshlrev_b32_e32 v1, 16, v34
	v_lshlrev_b32_e32 v0, 16, v14
	s_waitcnt lgkmcnt(0)
	v_pk_mul_f32 v[0:1], v[4:5], v[0:1]
	v_add_f32_e32 v0, v2, v0
	v_add_f32_e32 v2, v0, v1
	s_waitcnt vmcnt(1)
	v_lshlrev_b32_e32 v0, 16, v15
	s_waitcnt vmcnt(0)
	v_lshlrev_b32_e32 v1, 16, v16
	v_pk_mul_f32 v[0:1], v[6:7], v[0:1]
	v_add_f32_e32 v0, v2, v0
	v_add_f32_e32 v119, v0, v1
	s_branch .LBB320_16
.LBB320_19:
	v_mov_b32_e32 v0, 0
	ds_read_b32 v0, v0 offset:3328
	s_cmp_lg_u64 s[2:3], 0
	s_cbranch_scc0 .LBB320_28
; %bb.20:
	s_load_dword s4, s[2:3], 0x0
	s_waitcnt lgkmcnt(0)
	v_div_scale_f32 v1, s[2:3], s4, s4, 1.0
	v_rcp_f32_e32 v2, v1
	v_div_scale_f32 v3, vcc, 1.0, s4, 1.0
	v_fma_f32 v4, -v1, v2, 1.0
	v_fmac_f32_e32 v2, v4, v2
	v_mul_f32_e32 v4, v3, v2
	v_fma_f32 v5, -v1, v4, v3
	v_fmac_f32_e32 v4, v5, v2
	v_fma_f32 v1, -v1, v4, v3
	v_div_fmas_f32 v1, v1, v2, v4
	v_div_fixup_f32 v1, v1, s4, 1.0
	s_andn2_b64 vcc, exec, s[44:45]
	s_cbranch_vccnz .LBB320_22
.LBB320_21:
	s_add_u32 s2, s34, s46
	s_addc_u32 s3, s35, s47
	s_load_dword s30, s[2:3], 0x0
	s_mov_b32 s31, 0
.LBB320_22:
	s_waitcnt lgkmcnt(0)
	v_add_f32_e32 v0, 0x358637bd, v0
	v_div_scale_f32 v2, s[2:3], v0, v0, 1.0
	v_rcp_f32_e32 v3, v2
	v_div_scale_f32 v4, vcc, 1.0, v0, 1.0
	s_mov_b32 s2, 0x7f800000
	v_fma_f32 v5, -v2, v3, 1.0
	v_fmac_f32_e32 v3, v5, v3
	v_mul_f32_e32 v5, v4, v3
	v_fma_f32 v6, -v2, v5, v4
	v_fmac_f32_e32 v5, v6, v3
	v_fma_f32 v2, -v2, v5, v4
	v_div_fmas_f32 v2, v2, v3, v5
	v_div_fixup_f32 v0, v2, v0, 1.0
	v_mul_f32_e32 v0, v119, v0
	v_mul_f32_e32 v1, v0, v1
	v_and_b32_e32 v0, 0x7f800000, v1
	v_cmp_ne_u32_e32 vcc, s2, v0
                                        ; implicit-def: $vgpr0
	s_and_saveexec_b64 s[2:3], vcc
	s_xor_b64 s[2:3], exec, s[2:3]
; %bb.23:
	v_bfe_u32 v0, v1, 16, 1
	s_movk_i32 s4, 0x7fff
	v_add3_u32 v0, v1, v0, s4
                                        ; implicit-def: $vgpr1
; %bb.24:
	s_andn2_saveexec_b64 s[2:3], s[2:3]
; %bb.25:
	v_mov_b32_e32 v0, 0
	v_or_b32_e32 v2, 0x10000, v1
	v_cmp_eq_u32_sdwa vcc, v1, v0 src0_sel:WORD_0 src1_sel:DWORD
	v_cndmask_b32_e32 v0, v2, v1, vcc
; %bb.26:
	s_or_b64 exec, exec, s[2:3]
	s_mul_i32 s2, s7, s31
	s_mul_hi_u32 s3, s7, s30
	s_add_i32 s3, s3, s2
	s_mul_i32 s2, s7, s30
	s_lshl_b64 s[2:3], s[2:3], 8
	s_add_u32 s2, s0, s2
	s_mov_b32 s7, 0
	s_addc_u32 s3, s1, s3
	s_lshl_b64 s[0:1], s[6:7], 8
	s_add_u32 s0, s2, s0
	s_addc_u32 s1, s3, s1
	global_store_short_d16_hi v116, v0, s[0:1]
	s_endpgm
.LBB320_27:
	s_mov_b64 s[2:3], 0
	s_branch .LBB320_2
.LBB320_28:
	v_mov_b32_e32 v1, 1.0
	s_andn2_b64 vcc, exec, s[44:45]
	s_cbranch_vccz .LBB320_21
	s_branch .LBB320_22
	.section	.rodata,"a",@progbits
	.p2align	6, 0x0
	.amdhsa_kernel _Z35paged_attention_ll4mi_reduce_kernelI14__hip_bfloat16S0_Li128ELi128ELi256ELi13EEvPT0_PKfS4_PKT_PKiS9_iS4_
		.amdhsa_group_segment_fixed_size 3332
		.amdhsa_private_segment_fixed_size 0
		.amdhsa_kernarg_size 320
		.amdhsa_user_sgpr_count 6
		.amdhsa_user_sgpr_private_segment_buffer 1
		.amdhsa_user_sgpr_dispatch_ptr 0
		.amdhsa_user_sgpr_queue_ptr 0
		.amdhsa_user_sgpr_kernarg_segment_ptr 1
		.amdhsa_user_sgpr_dispatch_id 0
		.amdhsa_user_sgpr_flat_scratch_init 0
		.amdhsa_user_sgpr_kernarg_preload_length 0
		.amdhsa_user_sgpr_kernarg_preload_offset 0
		.amdhsa_user_sgpr_private_segment_size 0
		.amdhsa_uses_dynamic_stack 0
		.amdhsa_system_sgpr_private_segment_wavefront_offset 0
		.amdhsa_system_sgpr_workgroup_id_x 1
		.amdhsa_system_sgpr_workgroup_id_y 1
		.amdhsa_system_sgpr_workgroup_id_z 0
		.amdhsa_system_sgpr_workgroup_info 0
		.amdhsa_system_vgpr_workitem_id 0
		.amdhsa_next_free_vgpr 136
		.amdhsa_next_free_sgpr 55
		.amdhsa_accum_offset 136
		.amdhsa_reserve_vcc 1
		.amdhsa_reserve_flat_scratch 0
		.amdhsa_float_round_mode_32 0
		.amdhsa_float_round_mode_16_64 0
		.amdhsa_float_denorm_mode_32 3
		.amdhsa_float_denorm_mode_16_64 3
		.amdhsa_dx10_clamp 1
		.amdhsa_ieee_mode 1
		.amdhsa_fp16_overflow 0
		.amdhsa_tg_split 0
		.amdhsa_exception_fp_ieee_invalid_op 0
		.amdhsa_exception_fp_denorm_src 0
		.amdhsa_exception_fp_ieee_div_zero 0
		.amdhsa_exception_fp_ieee_overflow 0
		.amdhsa_exception_fp_ieee_underflow 0
		.amdhsa_exception_fp_ieee_inexact 0
		.amdhsa_exception_int_div_zero 0
	.end_amdhsa_kernel
	.section	.text._Z35paged_attention_ll4mi_reduce_kernelI14__hip_bfloat16S0_Li128ELi128ELi256ELi13EEvPT0_PKfS4_PKT_PKiS9_iS4_,"axG",@progbits,_Z35paged_attention_ll4mi_reduce_kernelI14__hip_bfloat16S0_Li128ELi128ELi256ELi13EEvPT0_PKfS4_PKT_PKiS9_iS4_,comdat
.Lfunc_end320:
	.size	_Z35paged_attention_ll4mi_reduce_kernelI14__hip_bfloat16S0_Li128ELi128ELi256ELi13EEvPT0_PKfS4_PKT_PKiS9_iS4_, .Lfunc_end320-_Z35paged_attention_ll4mi_reduce_kernelI14__hip_bfloat16S0_Li128ELi128ELi256ELi13EEvPT0_PKfS4_PKT_PKiS9_iS4_
                                        ; -- End function
	.section	.AMDGPU.csdata,"",@progbits
; Kernel info:
; codeLenInByte = 11624
; NumSgprs: 59
; NumVgprs: 136
; NumAgprs: 0
; TotalNumVgprs: 136
; ScratchSize: 0
; MemoryBound: 0
; FloatMode: 240
; IeeeMode: 1
; LDSByteSize: 3332 bytes/workgroup (compile time only)
; SGPRBlocks: 7
; VGPRBlocks: 16
; NumSGPRsForWavesPerEU: 59
; NumVGPRsForWavesPerEU: 136
; AccumOffset: 136
; Occupancy: 3
; WaveLimiterHint : 1
; COMPUTE_PGM_RSRC2:SCRATCH_EN: 0
; COMPUTE_PGM_RSRC2:USER_SGPR: 6
; COMPUTE_PGM_RSRC2:TRAP_HANDLER: 0
; COMPUTE_PGM_RSRC2:TGID_X_EN: 1
; COMPUTE_PGM_RSRC2:TGID_Y_EN: 1
; COMPUTE_PGM_RSRC2:TGID_Z_EN: 0
; COMPUTE_PGM_RSRC2:TIDIG_COMP_CNT: 0
; COMPUTE_PGM_RSRC3_GFX90A:ACCUM_OFFSET: 33
; COMPUTE_PGM_RSRC3_GFX90A:TG_SPLIT: 0
	.section	.text._Z35paged_attention_ll4mi_reduce_kernelI14__hip_bfloat16S0_Li128ELi128ELi256ELi14EEvPT0_PKfS4_PKT_PKiS9_iS4_,"axG",@progbits,_Z35paged_attention_ll4mi_reduce_kernelI14__hip_bfloat16S0_Li128ELi128ELi256ELi14EEvPT0_PKfS4_PKT_PKiS9_iS4_,comdat
	.protected	_Z35paged_attention_ll4mi_reduce_kernelI14__hip_bfloat16S0_Li128ELi128ELi256ELi14EEvPT0_PKfS4_PKT_PKiS9_iS4_ ; -- Begin function _Z35paged_attention_ll4mi_reduce_kernelI14__hip_bfloat16S0_Li128ELi128ELi256ELi14EEvPT0_PKfS4_PKT_PKiS9_iS4_
	.globl	_Z35paged_attention_ll4mi_reduce_kernelI14__hip_bfloat16S0_Li128ELi128ELi256ELi14EEvPT0_PKfS4_PKT_PKiS9_iS4_
	.p2align	8
	.type	_Z35paged_attention_ll4mi_reduce_kernelI14__hip_bfloat16S0_Li128ELi128ELi256ELi14EEvPT0_PKfS4_PKT_PKiS9_iS4_,@function
_Z35paged_attention_ll4mi_reduce_kernelI14__hip_bfloat16S0_Li128ELi128ELi256ELi14EEvPT0_PKfS4_PKT_PKiS9_iS4_: ; @_Z35paged_attention_ll4mi_reduce_kernelI14__hip_bfloat16S0_Li128ELi128ELi256ELi14EEvPT0_PKfS4_PKT_PKiS9_iS4_
; %bb.0:
	s_load_dwordx2 s[44:45], s[4:5], 0x28
	s_mov_b32 s34, s7
	s_mov_b64 s[0:1], 0
	s_waitcnt lgkmcnt(0)
	s_cmp_lg_u64 s[44:45], 0
	s_cselect_b64 s[46:47], -1, 0
	s_and_b64 vcc, exec, s[46:47]
	s_cbranch_vccz .LBB321_27
; %bb.1:
	s_add_i32 s2, s34, 1
	s_mov_b32 s3, 0
	s_lshl_b64 s[8:9], s[2:3], 2
	s_add_u32 s8, s44, s8
	s_mov_b32 s35, s3
	s_addc_u32 s9, s45, s9
	s_lshl_b64 s[2:3], s[34:35], 2
	s_add_u32 s2, s44, s2
	s_addc_u32 s3, s45, s3
	s_load_dword s7, s[8:9], 0x0
	s_load_dword s10, s[2:3], 0x0
	s_waitcnt lgkmcnt(0)
	s_sub_i32 s2, s7, s10
	s_cmp_eq_u32 s2, 1
	s_cselect_b64 s[2:3], -1, 0
	s_andn2_b64 vcc, exec, s[0:1]
	s_cbranch_vccnz .LBB321_3
.LBB321_2:
	s_mov_b32 s35, 0
	s_mov_b64 s[2:3], -1
.LBB321_3:
	s_andn2_b64 vcc, exec, s[2:3]
	s_cbranch_vccz .LBB321_5
; %bb.4:
	s_endpgm
.LBB321_5:
	s_load_dwordx4 s[36:39], s[4:5], 0x18
	s_load_dword s8, s[4:5], 0x30
	s_lshl_b64 s[48:49], s[34:35], 2
	v_cmp_lt_u32_e32 vcc, 63, v0
	s_waitcnt lgkmcnt(0)
	s_add_u32 s0, s38, s48
	s_addc_u32 s1, s39, s49
	s_load_dword s56, s[0:1], 0x0
	s_load_dword s7, s[4:5], 0x40
	s_mul_i32 s38, s6, s8
	s_mul_i32 s2, s34, s8
	s_waitcnt lgkmcnt(0)
	s_add_i32 s3, s56, 0xff
	s_ashr_i32 s0, s3, 31
	s_lshr_b32 s0, s0, 24
	s_add_i32 s3, s3, s0
	s_and_saveexec_b64 s[0:1], vcc
	s_xor_b64 s[0:1], exec, s[0:1]
	s_or_saveexec_b64 s[50:51], s[0:1]
	s_ashr_i32 s33, s3, 8
	v_mov_b32_e32 v1, s38
	s_mul_i32 s52, s2, s7
	s_xor_b64 exec, exec, s[50:51]
	s_cbranch_execz .LBB321_9
; %bb.6:
	s_add_i32 s0, s33, -1
	v_or_b32_e32 v3, 64, v0
	v_mov_b32_e32 v1, s0
	v_cmp_gt_u32_e64 s[26:27], s33, v3
	v_cndmask_b32_e64 v4, v1, v3, s[26:27]
	v_or_b32_e32 v3, 0x80, v0
	v_cmp_gt_u32_e64 s[24:25], s33, v3
	v_cndmask_b32_e64 v6, v1, v3, s[24:25]
	v_or_b32_e32 v3, 0xc0, v0
	;; [unrolled: 3-line block ×9, first 2 shown]
	s_load_dwordx4 s[40:43], s[4:5], 0x8
	v_cmp_gt_u32_e64 s[8:9], s33, v3
	v_cndmask_b32_e64 v22, v1, v3, s[8:9]
	v_or_b32_e32 v3, 0x2c0, v0
	v_cmp_gt_u32_e64 s[2:3], s33, v3
	s_mov_b32 s53, 0
	v_cndmask_b32_e64 v24, v1, v3, s[2:3]
	v_or_b32_e32 v3, 0x300, v0
	v_cmp_gt_u32_e64 s[0:1], s33, v3
	s_lshl_b64 s[54:55], s[52:53], 2
	s_mov_b32 s39, s53
	v_cmp_gt_u32_e64 s[28:29], s33, v0
	v_cndmask_b32_e64 v26, v1, v3, s[0:1]
	v_or_b32_e32 v3, 0x340, v0
	s_waitcnt lgkmcnt(0)
	s_add_u32 s30, s42, s54
	v_cndmask_b32_e64 v2, v1, v0, s[28:29]
	v_cmp_gt_u32_e32 vcc, s33, v3
	s_addc_u32 s31, s43, s55
	s_lshl_b64 s[42:43], s[38:39], 2
	v_cndmask_b32_e32 v28, v1, v3, vcc
	s_add_u32 s39, s30, s42
	v_ashrrev_i32_e32 v3, 31, v2
	s_addc_u32 s53, s31, s43
	v_lshlrev_b64 v[2:3], 2, v[2:3]
	v_mov_b32_e32 v1, s53
	v_add_co_u32_e64 v30, s[30:31], s39, v2
	v_ashrrev_i32_e32 v5, 31, v4
	v_addc_co_u32_e64 v31, s[30:31], v1, v3, s[30:31]
	v_lshlrev_b64 v[4:5], 2, v[4:5]
	v_add_co_u32_e64 v32, s[30:31], s39, v4
	v_ashrrev_i32_e32 v7, 31, v6
	v_addc_co_u32_e64 v33, s[30:31], v1, v5, s[30:31]
	v_lshlrev_b64 v[6:7], 2, v[6:7]
	;; [unrolled: 4-line block ×8, first 2 shown]
	global_load_dword v1, v[30:31], off
	global_load_dword v46, v[32:33], off
	global_load_dword v47, v[34:35], off
	global_load_dword v48, v[36:37], off
	global_load_dword v49, v[38:39], off
	global_load_dword v50, v[40:41], off
	s_nop 0
	global_load_dword v42, v[42:43], off
	s_nop 0
	global_load_dword v43, v[44:45], off
	v_mov_b32_e32 v21, s53
	v_add_co_u32_e64 v30, s[30:31], s39, v18
	v_addc_co_u32_e64 v31, s[30:31], v21, v19, s[30:31]
	v_ashrrev_i32_e32 v21, 31, v20
	v_lshlrev_b64 v[20:21], 2, v[20:21]
	v_mov_b32_e32 v23, s53
	v_add_co_u32_e64 v32, s[30:31], s39, v20
	v_addc_co_u32_e64 v33, s[30:31], v23, v21, s[30:31]
	v_ashrrev_i32_e32 v23, 31, v22
	v_lshlrev_b64 v[22:23], 2, v[22:23]
	;; [unrolled: 5-line block ×5, first 2 shown]
	v_mov_b32_e32 v41, s53
	v_add_co_u32_e64 v40, s[30:31], s39, v28
	v_addc_co_u32_e64 v41, s[30:31], v41, v29, s[30:31]
	global_load_dword v30, v[30:31], off
	s_nop 0
	global_load_dword v31, v[32:33], off
	s_nop 0
	global_load_dword v32, v[34:35], off
	global_load_dword v33, v[36:37], off
	s_nop 0
	global_load_dword v34, v[38:39], off
	global_load_dword v35, v[40:41], off
	s_waitcnt vmcnt(13)
	v_max_f32_e32 v37, v1, v1
	s_waitcnt vmcnt(12)
	v_max_f32_e32 v36, v46, v46
	v_max_f32_e32 v36, v37, v36
	v_mbcnt_lo_u32_b32 v37, -1, 0
	s_waitcnt vmcnt(10)
	v_max3_f32 v36, v36, v47, v48
	v_mbcnt_hi_u32_b32 v37, -1, v37
	s_waitcnt vmcnt(8)
	v_max3_f32 v36, v36, v49, v50
	v_and_b32_e32 v38, 64, v37
	s_waitcnt vmcnt(6)
	v_max3_f32 v36, v36, v42, v43
	v_add_u32_e32 v38, 64, v38
	v_xor_b32_e32 v39, 32, v37
	v_cmp_lt_i32_e64 s[30:31], v39, v38
	v_cndmask_b32_e64 v39, v37, v39, s[30:31]
	v_lshlrev_b32_e32 v39, 2, v39
	s_waitcnt vmcnt(4)
	v_max3_f32 v36, v36, v30, v31
	s_waitcnt vmcnt(2)
	v_max3_f32 v36, v36, v32, v33
	;; [unrolled: 2-line block ×3, first 2 shown]
	ds_bpermute_b32 v40, v39, v36
	s_waitcnt lgkmcnt(0)
	v_max_f32_e32 v40, v40, v40
	v_max_f32_e32 v36, v36, v40
	v_xor_b32_e32 v40, 16, v37
	v_cmp_lt_i32_e64 s[30:31], v40, v38
	v_cndmask_b32_e64 v40, v37, v40, s[30:31]
	v_lshlrev_b32_e32 v40, 2, v40
	ds_bpermute_b32 v41, v40, v36
	s_waitcnt lgkmcnt(0)
	v_max_f32_e32 v41, v41, v41
	v_max_f32_e32 v36, v36, v41
	v_xor_b32_e32 v41, 8, v37
	v_cmp_lt_i32_e64 s[30:31], v41, v38
	v_cndmask_b32_e64 v41, v37, v41, s[30:31]
	v_lshlrev_b32_e32 v41, 2, v41
	;; [unrolled: 8-line block ×4, first 2 shown]
	ds_bpermute_b32 v51, v45, v36
	s_waitcnt lgkmcnt(0)
	v_max_f32_e32 v51, v51, v51
	v_max_f32_e32 v36, v36, v51
	v_xor_b32_e32 v51, 1, v37
	v_cmp_lt_i32_e64 s[30:31], v51, v38
	v_cndmask_b32_e64 v37, v37, v51, s[30:31]
	s_add_u32 s30, s40, s54
	s_addc_u32 s31, s41, s55
	s_add_u32 s39, s30, s42
	s_addc_u32 s40, s31, s43
	v_mov_b32_e32 v51, s40
	v_add_co_u32_e64 v2, s[30:31], s39, v2
	v_addc_co_u32_e64 v3, s[30:31], v51, v3, s[30:31]
	global_load_dword v51, v[2:3], off
	v_mov_b32_e32 v3, s40
	v_add_co_u32_e64 v2, s[30:31], s39, v4
	v_addc_co_u32_e64 v3, s[30:31], v3, v5, s[30:31]
	v_mov_b32_e32 v5, s40
	v_add_co_u32_e64 v4, s[30:31], s39, v6
	v_addc_co_u32_e64 v5, s[30:31], v5, v7, s[30:31]
	;; [unrolled: 3-line block ×7, first 2 shown]
	global_load_dword v16, v[2:3], off
	global_load_dword v17, v[4:5], off
	;; [unrolled: 1-line block ×6, first 2 shown]
	s_nop 0
	global_load_dword v14, v[14:15], off
	v_mov_b32_e32 v3, s40
	v_add_co_u32_e64 v2, s[30:31], s39, v18
	v_lshlrev_b32_e32 v37, 2, v37
	v_addc_co_u32_e64 v3, s[30:31], v3, v19, s[30:31]
	ds_bpermute_b32 v38, v37, v36
	v_mov_b32_e32 v5, s40
	v_add_co_u32_e64 v4, s[30:31], s39, v20
	v_addc_co_u32_e64 v5, s[30:31], v5, v21, s[30:31]
	v_mov_b32_e32 v7, s40
	v_add_co_u32_e64 v6, s[30:31], s39, v22
	v_addc_co_u32_e64 v7, s[30:31], v7, v23, s[30:31]
	;; [unrolled: 3-line block ×3, first 2 shown]
	s_waitcnt lgkmcnt(0)
	v_max_f32_e32 v15, v38, v38
	v_mov_b32_e32 v11, s40
	v_add_co_u32_e64 v10, s[30:31], s39, v26
	v_max_f32_e32 v15, v36, v15
	v_addc_co_u32_e64 v11, s[30:31], v11, v27, s[30:31]
	v_sub_f32_e32 v1, v1, v15
	v_mov_b32_e32 v13, s40
	v_add_co_u32_e64 v12, s[30:31], s39, v28
	s_mov_b32 s39, 0x3fb8aa3b
	v_mul_f32_e32 v18, 0x3fb8aa3b, v1
	v_addc_co_u32_e64 v13, s[30:31], v13, v29, s[30:31]
	v_fma_f32 v19, v1, s39, -v18
	v_rndne_f32_e32 v20, v18
	global_load_dword v2, v[2:3], off
	s_nop 0
	global_load_dword v3, v[4:5], off
	s_nop 0
	global_load_dword v4, v[6:7], off
	global_load_dword v5, v[8:9], off
	s_nop 0
	global_load_dword v6, v[10:11], off
	global_load_dword v7, v[12:13], off
	v_sub_f32_e32 v10, v46, v15
	v_fmac_f32_e32 v19, 0x32a5705f, v1
	v_sub_f32_e32 v18, v18, v20
	v_mul_f32_e32 v11, 0x3fb8aa3b, v10
	v_add_f32_e32 v18, v18, v19
	v_fma_f32 v12, v10, s39, -v11
	v_rndne_f32_e32 v13, v11
	v_exp_f32_e32 v18, v18
	v_cvt_i32_f32_e32 v19, v20
	v_fmac_f32_e32 v12, 0x32a5705f, v10
	v_sub_f32_e32 v11, v11, v13
	v_add_f32_e32 v11, v11, v12
	v_exp_f32_e32 v11, v11
	v_cvt_i32_f32_e32 v12, v13
	s_mov_b32 s40, 0xc2ce8ed0
	v_ldexp_f32 v8, v18, v19
	v_cmp_ngt_f32_e64 s[30:31], s40, v1
	s_mov_b32 s41, 0x42b17218
	v_cndmask_b32_e64 v8, 0, v8, s[30:31]
	v_mov_b32_e32 v9, 0x7f800000
	v_cmp_nlt_f32_e64 s[30:31], s41, v1
	v_cndmask_b32_e64 v1, v9, v8, s[30:31]
	v_ldexp_f32 v8, v11, v12
	v_sub_f32_e32 v11, v47, v15
	v_mul_f32_e32 v12, 0x3fb8aa3b, v11
	v_fma_f32 v13, v11, s39, -v12
	v_rndne_f32_e32 v18, v12
	v_fmac_f32_e32 v13, 0x32a5705f, v11
	v_sub_f32_e32 v12, v12, v18
	v_add_f32_e32 v12, v12, v13
	v_exp_f32_e32 v12, v12
	v_cvt_i32_f32_e32 v13, v18
	v_cndmask_b32_e64 v1, 0, v1, s[28:29]
	v_cmp_ngt_f32_e64 s[28:29], s40, v10
	v_cndmask_b32_e64 v8, 0, v8, s[28:29]
	v_cmp_nlt_f32_e64 s[28:29], s41, v10
	v_cndmask_b32_e64 v8, v9, v8, s[28:29]
	v_ldexp_f32 v10, v12, v13
	v_sub_f32_e32 v12, v48, v15
	v_cndmask_b32_e64 v8, 0, v8, s[26:27]
	v_mul_f32_e32 v13, 0x3fb8aa3b, v12
	s_waitcnt vmcnt(12)
	v_mul_f32_e32 v8, v16, v8
	v_fma_f32 v16, v12, s39, -v13
	v_rndne_f32_e32 v18, v13
	v_fmac_f32_e32 v16, 0x32a5705f, v12
	v_sub_f32_e32 v13, v13, v18
	v_add_f32_e32 v13, v13, v16
	v_exp_f32_e32 v13, v13
	v_cvt_i32_f32_e32 v16, v18
	v_cmp_ngt_f32_e64 s[26:27], s40, v11
	v_cndmask_b32_e64 v10, 0, v10, s[26:27]
	v_cmp_nlt_f32_e64 s[26:27], s41, v11
	v_cndmask_b32_e64 v10, v9, v10, s[26:27]
	v_ldexp_f32 v11, v13, v16
	v_sub_f32_e32 v13, v49, v15
	v_cndmask_b32_e64 v10, 0, v10, s[24:25]
	v_mul_f32_e32 v16, 0x3fb8aa3b, v13
	s_waitcnt vmcnt(11)
	v_mul_f32_e32 v10, v17, v10
	v_fma_f32 v17, v13, s39, -v16
	v_rndne_f32_e32 v18, v16
	v_fmac_f32_e32 v17, 0x32a5705f, v13
	v_sub_f32_e32 v16, v16, v18
	v_add_f32_e32 v16, v16, v17
	v_exp_f32_e32 v16, v16
	v_cvt_i32_f32_e32 v17, v18
	v_cmp_ngt_f32_e64 s[24:25], s40, v12
	v_cndmask_b32_e64 v11, 0, v11, s[24:25]
	v_cmp_nlt_f32_e64 s[24:25], s41, v12
	v_ldexp_f32 v12, v16, v17
	v_sub_f32_e32 v16, v50, v15
	v_mul_f32_e32 v17, 0x3fb8aa3b, v16
	v_fma_f32 v18, v16, s39, -v17
	v_rndne_f32_e32 v19, v17
	v_fmac_f32_e32 v18, 0x32a5705f, v16
	v_sub_f32_e32 v17, v17, v19
	v_add_f32_e32 v17, v17, v18
	v_exp_f32_e32 v17, v17
	v_cvt_i32_f32_e32 v18, v19
	v_cndmask_b32_e64 v11, v9, v11, s[24:25]
	v_cndmask_b32_e64 v11, 0, v11, s[22:23]
	v_cmp_ngt_f32_e64 s[22:23], s40, v13
	v_cndmask_b32_e64 v12, 0, v12, s[22:23]
	v_cmp_nlt_f32_e64 s[22:23], s41, v13
	v_ldexp_f32 v13, v17, v18
	v_sub_f32_e32 v17, v42, v15
	v_mul_f32_e32 v18, 0x3fb8aa3b, v17
	v_fma_f32 v19, v17, s39, -v18
	v_rndne_f32_e32 v20, v18
	v_fmac_f32_e32 v19, 0x32a5705f, v17
	v_sub_f32_e32 v18, v18, v20
	v_add_f32_e32 v18, v18, v19
	v_exp_f32_e32 v18, v18
	v_cvt_i32_f32_e32 v19, v20
	v_cndmask_b32_e64 v12, v9, v12, s[22:23]
	v_cndmask_b32_e64 v12, 0, v12, s[20:21]
	;; [unrolled: 15-line block ×3, first 2 shown]
	v_cmp_ngt_f32_e64 s[18:19], s40, v17
	v_cndmask_b32_e64 v16, 0, v16, s[18:19]
	v_cmp_nlt_f32_e64 s[18:19], s41, v17
	v_ldexp_f32 v17, v19, v20
	v_sub_f32_e32 v19, v30, v15
	v_mul_f32_e32 v20, 0x3fb8aa3b, v19
	v_fma_f32 v21, v19, s39, -v20
	v_rndne_f32_e32 v22, v20
	v_fmac_f32_e32 v21, 0x32a5705f, v19
	v_sub_f32_e32 v20, v20, v22
	v_cndmask_b32_e64 v16, v9, v16, s[18:19]
	v_add_f32_e32 v20, v20, v21
	v_cndmask_b32_e64 v16, 0, v16, s[16:17]
	v_cmp_ngt_f32_e64 s[16:17], s40, v18
	v_exp_f32_e32 v20, v20
	v_cvt_i32_f32_e32 v21, v22
	v_cndmask_b32_e64 v17, 0, v17, s[16:17]
	v_cmp_nlt_f32_e64 s[16:17], s41, v18
	v_cndmask_b32_e64 v17, v9, v17, s[16:17]
	v_cndmask_b32_e64 v17, 0, v17, s[14:15]
	v_sub_f32_e32 v18, v31, v15
	s_waitcnt vmcnt(6)
	v_mul_f32_e32 v14, v14, v17
	v_ldexp_f32 v17, v20, v21
	v_mul_f32_e32 v20, 0x3fb8aa3b, v18
	v_fma_f32 v21, v18, s39, -v20
	v_rndne_f32_e32 v22, v20
	v_fmac_f32_e32 v21, 0x32a5705f, v18
	v_sub_f32_e32 v20, v20, v22
	v_add_f32_e32 v20, v20, v21
	v_cmp_ngt_f32_e64 s[14:15], s40, v19
	v_exp_f32_e32 v20, v20
	v_cvt_i32_f32_e32 v21, v22
	v_cndmask_b32_e64 v17, 0, v17, s[14:15]
	v_cmp_nlt_f32_e64 s[14:15], s41, v19
	v_cndmask_b32_e64 v17, v9, v17, s[14:15]
	v_cndmask_b32_e64 v17, 0, v17, s[12:13]
	v_sub_f32_e32 v19, v32, v15
	s_waitcnt vmcnt(5)
	v_mul_f32_e32 v17, v2, v17
	v_ldexp_f32 v2, v20, v21
	v_mul_f32_e32 v20, 0x3fb8aa3b, v19
	v_fma_f32 v21, v19, s39, -v20
	v_rndne_f32_e32 v22, v20
	v_fmac_f32_e32 v21, 0x32a5705f, v19
	v_sub_f32_e32 v20, v20, v22
	v_add_f32_e32 v20, v20, v21
	;; [unrolled: 17-line block ×4, first 2 shown]
	v_exp_f32_e32 v20, v20
	v_cvt_i32_f32_e32 v21, v22
	v_cmp_ngt_f32_e64 s[8:9], s40, v18
	v_sub_f32_e32 v15, v35, v15
	v_cndmask_b32_e64 v2, 0, v2, s[8:9]
	v_cmp_nlt_f32_e64 s[8:9], s41, v18
	v_ldexp_f32 v18, v20, v21
	v_mul_f32_e32 v20, 0x3fb8aa3b, v15
	v_fma_f32 v21, v15, s39, -v20
	v_rndne_f32_e32 v22, v20
	v_fmac_f32_e32 v21, 0x32a5705f, v15
	v_sub_f32_e32 v20, v20, v22
	v_add_f32_e32 v20, v20, v21
	v_cndmask_b32_e64 v2, v9, v2, s[8:9]
	v_exp_f32_e32 v20, v20
	v_cvt_i32_f32_e32 v21, v22
	v_cndmask_b32_e64 v2, 0, v2, s[2:3]
	v_cmp_ngt_f32_e64 s[2:3], s40, v19
	v_cndmask_b32_e64 v18, 0, v18, s[2:3]
	v_cmp_nlt_f32_e64 s[2:3], s41, v19
	v_cndmask_b32_e64 v18, v9, v18, s[2:3]
	v_mul_f32_e32 v1, v51, v1
	v_cndmask_b32_e64 v18, 0, v18, s[0:1]
	v_ldexp_f32 v19, v20, v21
	v_cmp_ngt_f32_e64 s[0:1], s40, v15
	v_cndmask_b32_e64 v19, 0, v19, s[0:1]
	v_cmp_nlt_f32_e64 s[0:1], s41, v15
	v_add_f32_e32 v15, v1, v8
	v_mul_f32_e32 v11, v52, v11
	v_add_f32_e32 v15, v15, v10
	v_mul_f32_e32 v12, v53, v12
	v_add_f32_e32 v15, v15, v11
	v_mul_f32_e32 v13, v54, v13
	v_add_f32_e32 v15, v15, v12
	v_mul_f32_e32 v16, v55, v16
	v_add_f32_e32 v15, v15, v13
	v_add_f32_e32 v15, v15, v16
	;; [unrolled: 1-line block ×6, first 2 shown]
	v_cndmask_b32_e64 v9, v9, v19, s[0:1]
	s_waitcnt vmcnt(2)
	v_fmac_f32_e32 v15, v5, v2
	v_cndmask_b32_e32 v9, 0, v9, vcc
	s_waitcnt vmcnt(1)
	v_fmac_f32_e32 v15, v6, v18
	s_waitcnt vmcnt(0)
	v_fmac_f32_e32 v15, v7, v9
	ds_bpermute_b32 v19, v39, v15
	v_mul_f32_e32 v5, v5, v2
	v_mul_f32_e32 v7, v7, v9
	v_lshlrev_b32_e32 v9, 2, v0
	ds_write2st64_b32 v9, v1, v8 offset1:1
	ds_write2st64_b32 v9, v10, v11 offset0:2 offset1:3
	ds_write2st64_b32 v9, v12, v13 offset0:4 offset1:5
	;; [unrolled: 1-line block ×3, first 2 shown]
	s_waitcnt lgkmcnt(4)
	v_add_f32_e32 v15, v15, v19
	ds_bpermute_b32 v19, v40, v15
	v_cmp_eq_u32_e32 vcc, 0, v0
	v_mul_f32_e32 v6, v6, v18
	ds_write2st64_b32 v9, v17, v3 offset0:8 offset1:9
	ds_write2st64_b32 v9, v4, v5 offset0:10 offset1:11
	ds_write2st64_b32 v9, v6, v7 offset0:12 offset1:13
	s_waitcnt lgkmcnt(3)
	v_add_f32_e32 v15, v15, v19
	ds_bpermute_b32 v19, v41, v15
	s_waitcnt lgkmcnt(0)
	v_add_f32_e32 v15, v15, v19
	ds_bpermute_b32 v19, v44, v15
	;; [unrolled: 3-line block ×4, first 2 shown]
	s_and_saveexec_b64 s[0:1], vcc
	s_cbranch_execz .LBB321_8
; %bb.7:
	s_waitcnt lgkmcnt(0)
	v_add_f32_e32 v1, v1, v2
	v_mov_b32_e32 v2, 0
	ds_write_b32 v2, v1 offset:3584
.LBB321_8:
	s_or_b64 exec, exec, s[0:1]
	v_mov_b32_e32 v1, s38
.LBB321_9:
	s_or_b64 exec, exec, s[50:51]
	s_lshl_b32 s0, s52, 7
	s_mov_b32 s1, 0
	s_lshl_b64 s[0:1], s[0:1], 1
	s_add_u32 s0, s36, s0
	s_addc_u32 s1, s37, s1
	s_lshl_b32 s10, s33, 7
	s_waitcnt lgkmcnt(0)
	v_lshlrev_b32_e32 v2, 7, v1
	v_mov_b32_e32 v3, 0
	s_add_i32 s11, s10, 0xffffff80
	v_lshlrev_b64 v[4:5], 1, v[2:3]
	s_cmp_lt_i32 s56, 1
	v_mov_b32_e32 v1, s1
	v_add_co_u32_e32 v2, vcc, s0, v4
	s_cselect_b32 s0, s11, 0
	v_addc_co_u32_e32 v1, vcc, v1, v5, vcc
	v_lshlrev_b32_e32 v116, 1, v0
	s_ashr_i32 s1, s0, 31
	v_add_co_u32_e32 v117, vcc, v2, v116
	s_lshl_b64 s[0:1], s[0:1], 1
	v_addc_co_u32_e32 v118, vcc, 0, v1, vcc
	s_cmpk_lt_i32 s56, 0x101
	v_add_co_u32_e32 v0, vcc, s0, v117
	s_cselect_b32 s0, s11, 0x80
	v_mov_b32_e32 v1, s1
	s_ashr_i32 s1, s0, 31
	s_lshl_b64 s[0:1], s[0:1], 1
	v_addc_co_u32_e32 v1, vcc, v118, v1, vcc
	s_cmpk_lt_i32 s56, 0x201
	v_add_co_u32_e32 v4, vcc, s0, v117
	s_cselect_b32 s0, s11, 0x100
	v_mov_b32_e32 v2, s1
	s_ashr_i32 s1, s0, 31
	;; [unrolled: 7-line block ×8, first 2 shown]
	s_lshl_b64 s[0:1], s[0:1], 1
	v_addc_co_u32_e32 v17, vcc, v118, v2, vcc
	s_cmpk_lt_i32 s56, 0x901
	global_load_ushort v40, v[0:1], off
	global_load_ushort v39, v[4:5], off
	;; [unrolled: 1-line block ×8, first 2 shown]
	v_add_co_u32_e32 v0, vcc, s0, v117
	s_cselect_b32 s0, s11, 0x480
	v_mov_b32_e32 v1, s1
	s_ashr_i32 s1, s0, 31
	s_lshl_b64 s[0:1], s[0:1], 1
	v_addc_co_u32_e32 v1, vcc, v118, v1, vcc
	s_cmpk_lt_i32 s56, 0xa01
	v_add_co_u32_e32 v4, vcc, s0, v117
	s_cselect_b32 s0, s11, 0x500
	v_mov_b32_e32 v5, s1
	s_ashr_i32 s1, s0, 31
	s_lshl_b64 s[0:1], s[0:1], 1
	v_addc_co_u32_e32 v5, vcc, v118, v5, vcc
	s_cmpk_lt_i32 s56, 0xb01
	;; [unrolled: 7-line block ×6, first 2 shown]
	v_add_co_u32_e32 v14, vcc, s0, v117
	s_cselect_b32 s0, s11, 0x780
	v_mov_b32_e32 v15, s1
	s_ashr_i32 s1, s0, 31
	v_addc_co_u32_e32 v15, vcc, v118, v15, vcc
	s_lshl_b64 s[0:1], s[0:1], 1
	v_mov_b32_e32 v17, s1
	v_add_co_u32_e32 v16, vcc, s0, v117
	v_addc_co_u32_e32 v17, vcc, v118, v17, vcc
	global_load_ushort v47, v[0:1], off
	global_load_ushort v48, v[4:5], off
	;; [unrolled: 1-line block ×8, first 2 shown]
	s_cmpk_gt_i32 s56, 0x1000
	s_cselect_b64 s[8:9], -1, 0
	s_cmpk_lt_i32 s56, 0x1001
	v_mov_b32_e32 v57, 0
	v_mov_b32_e32 v58, 0
	v_mov_b32_e32 v59, 0
	v_mov_b32_e32 v60, 0
	v_mov_b32_e32 v61, 0
	v_mov_b32_e32 v62, 0
	v_mov_b32_e32 v63, 0
	v_mov_b32_e32 v64, 0
	v_mov_b32_e32 v49, 0
	v_mov_b32_e32 v50, 0
	v_mov_b32_e32 v51, 0
	v_mov_b32_e32 v52, 0
	v_mov_b32_e32 v53, 0
	v_mov_b32_e32 v54, 0
	v_mov_b32_e32 v55, 0
	v_mov_b32_e32 v56, 0
	v_mov_b32_e32 v0, 0
	v_mov_b32_e32 v1, 0
	v_mov_b32_e32 v4, 0
	v_mov_b32_e32 v5, 0
	v_mov_b32_e32 v6, 0
	v_mov_b32_e32 v7, 0
	v_mov_b32_e32 v8, 0
	v_mov_b32_e32 v9, 0
	v_mov_b32_e32 v10, 0
	v_mov_b32_e32 v11, 0
	v_mov_b32_e32 v12, 0
	v_mov_b32_e32 v13, 0
	v_mov_b32_e32 v14, 0
	v_mov_b32_e32 v16, 0
	v_mov_b32_e32 v15, 0
	v_mov_b32_e32 v17, 0
	v_mov_b32_e32 v18, 0
	v_mov_b32_e32 v20, 0
	v_mov_b32_e32 v19, 0
	v_mov_b32_e32 v22, 0
	v_mov_b32_e32 v21, 0
	v_mov_b32_e32 v24, 0
	v_mov_b32_e32 v23, 0
	v_mov_b32_e32 v26, 0
	v_mov_b32_e32 v25, 0
	v_mov_b32_e32 v28, 0
	v_mov_b32_e32 v27, 0
	v_mov_b32_e32 v30, 0
	v_mov_b32_e32 v29, 0
	v_mov_b32_e32 v32, 0
	v_mov_b32_e32 v31, 0
	v_mov_b32_e32 v33, 0
	s_barrier
	s_cbranch_scc1 .LBB321_12
; %bb.10:
	s_cmpk_lt_u32 s56, 0x1101
	s_cselect_b32 s0, s11, 0x880
	s_ashr_i32 s1, s0, 31
	v_add_co_u32_e32 v0, vcc, 0x1000, v117
	s_lshl_b64 s[0:1], s[0:1], 1
	v_addc_co_u32_e32 v1, vcc, 0, v118, vcc
	s_cmpk_lt_u32 s56, 0x1201
	v_add_co_u32_e32 v4, vcc, s0, v117
	s_cselect_b32 s0, s11, 0x900
	v_mov_b32_e32 v5, s1
	s_ashr_i32 s1, s0, 31
	s_lshl_b64 s[0:1], s[0:1], 1
	v_addc_co_u32_e32 v5, vcc, v118, v5, vcc
	s_cmpk_lt_u32 s56, 0x1301
	v_add_co_u32_e32 v6, vcc, s0, v117
	s_cselect_b32 s0, s11, 0x980
	v_mov_b32_e32 v7, s1
	s_ashr_i32 s1, s0, 31
	;; [unrolled: 7-line block ×7, first 2 shown]
	s_lshl_b64 s[0:1], s[0:1], 1
	v_addc_co_u32_e32 v17, vcc, v118, v17, vcc
	s_cmpk_lt_u32 s56, 0x1901
	global_load_ushort v56, v[0:1], off
	global_load_ushort v55, v[4:5], off
	;; [unrolled: 1-line block ×8, first 2 shown]
	v_add_co_u32_e32 v0, vcc, s0, v117
	s_cselect_b32 s0, s11, 0xc80
	v_mov_b32_e32 v1, s1
	s_ashr_i32 s1, s0, 31
	s_lshl_b64 s[0:1], s[0:1], 1
	v_addc_co_u32_e32 v1, vcc, v118, v1, vcc
	s_cmpk_lt_u32 s56, 0x1a01
	v_add_co_u32_e32 v4, vcc, s0, v117
	s_cselect_b32 s0, s11, 0xd00
	v_mov_b32_e32 v5, s1
	s_ashr_i32 s1, s0, 31
	s_lshl_b64 s[0:1], s[0:1], 1
	v_addc_co_u32_e32 v5, vcc, v118, v5, vcc
	s_cmpk_lt_u32 s56, 0x1b01
	;; [unrolled: 7-line block ×6, first 2 shown]
	v_add_co_u32_e32 v14, vcc, s0, v117
	s_cselect_b32 s0, s11, 0xf80
	v_mov_b32_e32 v15, s1
	s_ashr_i32 s1, s0, 31
	v_addc_co_u32_e32 v15, vcc, v118, v15, vcc
	s_lshl_b64 s[0:1], s[0:1], 1
	v_mov_b32_e32 v17, s1
	v_add_co_u32_e32 v16, vcc, s0, v117
	v_addc_co_u32_e32 v17, vcc, v118, v17, vcc
	global_load_ushort v64, v[0:1], off
	global_load_ushort v63, v[4:5], off
	;; [unrolled: 1-line block ×8, first 2 shown]
	s_cmpk_lt_u32 s56, 0x2001
	v_mov_b32_e32 v33, 0
	v_mov_b32_e32 v31, 0
	;; [unrolled: 1-line block ×32, first 2 shown]
	s_cbranch_scc1 .LBB321_12
; %bb.11:
	s_cmpk_lt_u32 s56, 0x2101
	s_cselect_b32 s0, s11, 0x1080
	s_ashr_i32 s1, s0, 31
	s_lshl_b64 s[0:1], s[0:1], 1
	s_cmpk_lt_u32 s56, 0x2201
	v_add_co_u32_e32 v0, vcc, s0, v117
	s_cselect_b32 s0, s11, 0x1100
	v_mov_b32_e32 v1, s1
	s_ashr_i32 s1, s0, 31
	s_lshl_b64 s[0:1], s[0:1], 1
	v_addc_co_u32_e32 v1, vcc, v118, v1, vcc
	s_cmpk_lt_u32 s56, 0x2301
	v_add_co_u32_e32 v4, vcc, s0, v117
	s_cselect_b32 s0, s11, 0x1180
	v_mov_b32_e32 v5, s1
	s_ashr_i32 s1, s0, 31
	s_lshl_b64 s[0:1], s[0:1], 1
	v_addc_co_u32_e32 v5, vcc, v118, v5, vcc
	;; [unrolled: 7-line block ×30, first 2 shown]
	v_mov_b32_e32 v65, s1
	s_movk_i32 s1, 0x2000
	v_add_co_u32_e32 v94, vcc, s1, v117
	v_addc_co_u32_e32 v95, vcc, 0, v118, vcc
	global_load_ushort v96, v[94:95], off
	global_load_ushort v97, v[0:1], off
	;; [unrolled: 1-line block ×15, first 2 shown]
                                        ; kill: killed $vgpr30 killed $vgpr31
                                        ; kill: killed $vgpr8 killed $vgpr9
                                        ; kill: killed $vgpr14 killed $vgpr15
                                        ; kill: killed $vgpr20 killed $vgpr21
                                        ; kill: killed $vgpr4 killed $vgpr5
                                        ; kill: killed $vgpr94 killed $vgpr95
                                        ; kill: killed $vgpr32 killed $vgpr33
                                        ; kill: killed $vgpr10 killed $vgpr11
                                        ; kill: killed $vgpr16 killed $vgpr17
                                        ; kill: killed $vgpr24 killed $vgpr25
                                        ; kill: killed $vgpr6 killed $vgpr7
                                        ; kill: killed $vgpr66 killed $vgpr67
                                        ; kill: killed $vgpr12 killed $vgpr13
                                        ; kill: killed $vgpr18 killed $vgpr19
                                        ; kill: killed $vgpr0 killed $vgpr1
	global_load_ushort v4, v[22:23], off
	global_load_ushort v5, v[26:27], off
	;; [unrolled: 1-line block ×15, first 2 shown]
                                        ; kill: killed $vgpr88 killed $vgpr89
                                        ; kill: killed $vgpr72 killed $vgpr73
                                        ; kill: killed $vgpr78 killed $vgpr79
                                        ; kill: killed $vgpr22 killed $vgpr23
                                        ; kill: killed $vgpr68 killed $vgpr69
                                        ; kill: killed $vgpr90 killed $vgpr91
                                        ; kill: killed $vgpr74 killed $vgpr75
                                        ; kill: killed $vgpr80 killed $vgpr81
                                        ; kill: killed $vgpr26 killed $vgpr27
                                        ; kill: killed $vgpr86 killed $vgpr87
                                        ; kill: killed $vgpr70 killed $vgpr71
                                        ; kill: killed $vgpr92 killed $vgpr93
                                        ; kill: killed $vgpr76 killed $vgpr77
                                        ; kill: killed $vgpr82 killed $vgpr83
                                        ; kill: killed $vgpr28 killed $vgpr29
	global_load_ushort v68, v[84:85], off
	v_add_co_u32_e32 v0, vcc, s0, v117
	v_addc_co_u32_e32 v1, vcc, v118, v65, vcc
	global_load_ushort v1, v[0:1], off
	s_waitcnt vmcnt(31)
	v_lshlrev_b32_e32 v33, 16, v96
	s_waitcnt vmcnt(30)
	v_lshlrev_b32_e32 v31, 16, v97
	;; [unrolled: 2-line block ×32, first 2 shown]
.LBB321_12:
	s_load_dwordx2 s[0:1], s[4:5], 0x0
	s_load_dwordx2 s[2:3], s[4:5], 0x38
	ds_read_b128 v[66:69], v3
	s_waitcnt vmcnt(15)
	v_lshlrev_b32_e32 v40, 16, v40
	s_waitcnt vmcnt(14)
	v_lshlrev_b32_e32 v39, 16, v39
	ds_read_b128 v[70:73], v3 offset:16
	ds_read_b128 v[74:77], v3 offset:32
	;; [unrolled: 1-line block ×3, first 2 shown]
	s_waitcnt vmcnt(13)
	v_lshlrev_b32_e32 v38, 16, v38
	s_waitcnt lgkmcnt(0)
	v_fma_f32 v40, v66, v40, 0
	v_fmac_f32_e32 v40, v67, v39
	v_fmac_f32_e32 v40, v68, v38
	s_waitcnt vmcnt(12)
	v_lshlrev_b32_e32 v37, 16, v37
	v_fmac_f32_e32 v40, v69, v37
	s_waitcnt vmcnt(10)
	v_lshlrev_b32_e32 v37, 16, v36
	v_lshlrev_b32_e32 v36, 16, v35
	v_pk_mul_f32 v[36:37], v[70:71], v[36:37]
	v_add_f32_e32 v35, v40, v36
	v_add_f32_e32 v36, v35, v37
	s_waitcnt vmcnt(8)
	v_lshlrev_b32_e32 v35, 16, v34
	v_lshlrev_b32_e32 v34, 16, v2
	v_pk_mul_f32 v[34:35], v[72:73], v[34:35]
	v_add_f32_e32 v2, v36, v34
	v_add_f32_e32 v2, v2, v35
	;; [unrolled: 6-line block ×6, first 2 shown]
	s_and_b64 vcc, exec, s[8:9]
	s_cbranch_vccz .LBB321_15
; %bb.13:
	ds_read_b128 v[34:37], v3 offset:64
	v_lshlrev_b32_e32 v2, 16, v56
	ds_read_b128 v[38:41], v3 offset:80
	ds_read_b128 v[42:45], v3 offset:96
	;; [unrolled: 1-line block ×3, first 2 shown]
	s_cmpk_lt_u32 s56, 0x2001
	s_waitcnt lgkmcnt(3)
	v_fmac_f32_e32 v119, v34, v2
	v_lshlrev_b32_e32 v2, 16, v55
	v_fmac_f32_e32 v119, v35, v2
	v_lshlrev_b32_e32 v2, 16, v54
	v_fmac_f32_e32 v119, v36, v2
	v_lshlrev_b32_e32 v2, 16, v53
	v_fmac_f32_e32 v119, v37, v2
	v_lshlrev_b32_e32 v2, 16, v52
	s_waitcnt lgkmcnt(2)
	v_fmac_f32_e32 v119, v38, v2
	v_lshlrev_b32_e32 v2, 16, v51
	v_fmac_f32_e32 v119, v39, v2
	v_lshlrev_b32_e32 v2, 16, v50
	v_fmac_f32_e32 v119, v40, v2
	v_lshlrev_b32_e32 v2, 16, v49
	v_fmac_f32_e32 v119, v41, v2
	v_lshlrev_b32_e32 v2, 16, v64
	;; [unrolled: 9-line block ×3, first 2 shown]
	s_waitcnt lgkmcnt(0)
	v_fmac_f32_e32 v119, v66, v2
	v_lshlrev_b32_e32 v2, 16, v59
	v_fmac_f32_e32 v119, v67, v2
	v_lshlrev_b32_e32 v2, 16, v58
	;; [unrolled: 2-line block ×3, first 2 shown]
	v_fmac_f32_e32 v119, v69, v2
	s_cbranch_scc1 .LBB321_15
; %bb.14:
	v_mov_b32_e32 v50, 0
	ds_read_b128 v[34:37], v50 offset:128
	ds_read_b128 v[38:41], v50 offset:144
	;; [unrolled: 1-line block ×4, first 2 shown]
	s_waitcnt lgkmcnt(3)
	v_fmac_f32_e32 v119, v34, v33
	v_fmac_f32_e32 v119, v35, v31
	v_fmac_f32_e32 v119, v36, v32
	v_fmac_f32_e32 v119, v37, v29
	s_waitcnt lgkmcnt(2)
	v_fmac_f32_e32 v119, v38, v30
	v_fmac_f32_e32 v119, v39, v27
	v_fmac_f32_e32 v119, v40, v28
	v_fmac_f32_e32 v119, v41, v25
	;; [unrolled: 5-line block ×3, first 2 shown]
	s_waitcnt lgkmcnt(0)
	v_fmac_f32_e32 v119, v46, v22
	ds_read_b128 v[22:25], v50 offset:192
	v_fmac_f32_e32 v119, v47, v19
	v_fmac_f32_e32 v119, v48, v20
	;; [unrolled: 1-line block ×3, first 2 shown]
	ds_read_b128 v[18:21], v50 offset:208
	s_waitcnt lgkmcnt(1)
	v_fmac_f32_e32 v119, v22, v17
	v_fmac_f32_e32 v119, v23, v15
	;; [unrolled: 1-line block ×4, first 2 shown]
	s_waitcnt lgkmcnt(0)
	v_pk_mul_f32 v[2:3], v[18:19], v[12:13]
	ds_read_b128 v[12:15], v50 offset:224
	v_add_f32_e32 v2, v119, v2
	v_add_f32_e32 v16, v2, v3
	v_pk_mul_f32 v[2:3], v[20:21], v[10:11]
	v_add_f32_e32 v2, v16, v2
	ds_read_b128 v[16:19], v50 offset:240
	v_add_f32_e32 v10, v2, v3
	s_waitcnt lgkmcnt(1)
	v_pk_mul_f32 v[2:3], v[12:13], v[8:9]
	v_add_f32_e32 v2, v10, v2
	v_add_f32_e32 v8, v2, v3
	v_pk_mul_f32 v[2:3], v[14:15], v[6:7]
	v_add_f32_e32 v2, v8, v2
	v_add_f32_e32 v6, v2, v3
	s_waitcnt lgkmcnt(0)
	v_pk_mul_f32 v[2:3], v[16:17], v[4:5]
	v_add_f32_e32 v2, v6, v2
	v_add_f32_e32 v2, v2, v3
	v_pk_mul_f32 v[0:1], v[18:19], v[0:1]
	v_add_f32_e32 v0, v2, v0
	v_add_f32_e32 v119, v0, v1
.LBB321_15:
	s_movk_i32 s4, 0x3f80
	s_movk_i32 s5, 0x100
	s_mov_b32 s8, 64
	s_branch .LBB321_17
.LBB321_16:                             ;   in Loop: Header=BB321_17 Depth=1
	s_addk_i32 s4, 0x2000
	s_addk_i32 s5, 0x100
	s_add_i32 s8, s8, 64
	s_cmp_eq_u32 s4, 0x1df80
	s_cbranch_scc1 .LBB321_19
.LBB321_17:                             ; =>This Inner Loop Header: Depth=1
	s_cmp_le_i32 s33, s8
	s_cbranch_scc1 .LBB321_16
; %bb.18:                               ;   in Loop: Header=BB321_17 Depth=1
	s_add_i32 s9, s4, 0xffffe080
	s_cmp_lt_i32 s9, s10
	s_cselect_b32 s12, s9, s11
	s_ashr_i32 s13, s12, 31
	s_lshl_b64 s[12:13], s[12:13], 1
	s_add_i32 s9, s4, 0xffffe100
	s_cmp_lt_i32 s9, s10
	v_add_co_u32_e32 v2, vcc, s12, v117
	s_cselect_b32 s12, s9, s11
	v_mov_b32_e32 v0, s13
	s_ashr_i32 s13, s12, 31
	s_lshl_b64 s[12:13], s[12:13], 1
	s_add_i32 s9, s4, 0xffffe180
	v_addc_co_u32_e32 v3, vcc, v118, v0, vcc
	s_cmp_lt_i32 s9, s10
	v_add_co_u32_e32 v0, vcc, s12, v117
	s_cselect_b32 s12, s9, s11
	v_mov_b32_e32 v1, s13
	s_ashr_i32 s13, s12, 31
	s_lshl_b64 s[12:13], s[12:13], 1
	s_add_i32 s9, s4, 0xffffe200
	v_addc_co_u32_e32 v1, vcc, v118, v1, vcc
	;; [unrolled: 8-line block ×21, first 2 shown]
	s_cmp_lt_i32 s9, s10
	global_load_ushort v120, v[2:3], off
	global_load_ushort v122, v[4:5], off
	;; [unrolled: 1-line block ×4, first 2 shown]
	v_add_co_u32_e32 v42, vcc, s12, v117
	s_cselect_b32 s12, s9, s11
	v_mov_b32_e32 v43, s13
	s_ashr_i32 s13, s12, 31
	s_lshl_b64 s[12:13], s[12:13], 1
	s_add_i32 s9, s4, 0xffffec00
	v_addc_co_u32_e32 v43, vcc, v118, v43, vcc
	s_cmp_lt_i32 s9, s10
	v_add_co_u32_e32 v44, vcc, s12, v117
	s_cselect_b32 s12, s9, s11
	v_mov_b32_e32 v45, s13
	s_ashr_i32 s13, s12, 31
	s_lshl_b64 s[12:13], s[12:13], 1
	s_add_i32 s9, s4, 0xffffec80
	v_addc_co_u32_e32 v45, vcc, v118, v45, vcc
	s_cmp_lt_i32 s9, s10
	;; [unrolled: 8-line block ×8, first 2 shown]
	global_load_ushort v121, v[0:1], off
	v_add_co_u32_e32 v58, vcc, s12, v117
	s_cselect_b32 s12, s9, s11
	v_mov_b32_e32 v59, s13
	s_ashr_i32 s13, s12, 31
	s_lshl_b64 s[12:13], s[12:13], 1
	s_add_i32 s9, s4, 0xfffff000
	v_addc_co_u32_e32 v59, vcc, v118, v59, vcc
	s_cmp_lt_i32 s9, s10
	v_add_co_u32_e32 v60, vcc, s12, v117
	s_cselect_b32 s12, s9, s11
	global_load_ushort v125, v[10:11], off
	global_load_ushort v126, v[12:13], off
	v_mov_b32_e32 v61, s13
	s_ashr_i32 s13, s12, 31
	global_load_ushort v127, v[14:15], off
	global_load_ushort v128, v[16:17], off
	;; [unrolled: 1-line block ×3, first 2 shown]
	s_lshl_b64 s[12:13], s[12:13], 1
	s_add_i32 s9, s4, 0xfffff080
	v_addc_co_u32_e32 v61, vcc, v118, v61, vcc
	s_cmp_lt_i32 s9, s10
	v_add_co_u32_e32 v62, vcc, s12, v117
	s_cselect_b32 s12, s9, s11
	v_mov_b32_e32 v63, s13
	s_ashr_i32 s13, s12, 31
	s_lshl_b64 s[12:13], s[12:13], 1
	s_add_i32 s9, s4, 0xfffff100
	v_addc_co_u32_e32 v63, vcc, v118, v63, vcc
	s_cmp_lt_i32 s9, s10
	v_add_co_u32_e32 v64, vcc, s12, v117
	s_cselect_b32 s12, s9, s11
	v_mov_b32_e32 v65, s13
	s_ashr_i32 s13, s12, 31
	global_load_ushort v130, v[20:21], off
	global_load_ushort v131, v[22:23], off
	s_lshl_b64 s[12:13], s[12:13], 1
	s_add_i32 s9, s4, 0xfffff180
	v_addc_co_u32_e32 v65, vcc, v118, v65, vcc
	s_cmp_lt_i32 s9, s10
	global_load_ushort v132, v[24:25], off
	global_load_ushort v133, v[26:27], off
	v_add_co_u32_e32 v66, vcc, s12, v117
	s_cselect_b32 s12, s9, s11
	v_mov_b32_e32 v67, s13
	s_ashr_i32 s13, s12, 31
	s_lshl_b64 s[12:13], s[12:13], 1
	s_add_i32 s9, s4, 0xfffff200
	v_addc_co_u32_e32 v67, vcc, v118, v67, vcc
	s_cmp_lt_i32 s9, s10
	v_add_co_u32_e32 v68, vcc, s12, v117
	s_cselect_b32 s12, s9, s11
	v_mov_b32_e32 v69, s13
	s_ashr_i32 s13, s12, 31
	global_load_ushort v134, v[28:29], off
	global_load_ushort v135, v[30:31], off
	s_lshl_b64 s[12:13], s[12:13], 1
	s_add_i32 s9, s4, 0xfffff280
	v_addc_co_u32_e32 v69, vcc, v118, v69, vcc
	s_cmp_lt_i32 s9, s10
	v_add_co_u32_e32 v70, vcc, s12, v117
	s_cselect_b32 s12, s9, s11
	v_mov_b32_e32 v71, s13
	s_ashr_i32 s13, s12, 31
	s_lshl_b64 s[12:13], s[12:13], 1
	s_add_i32 s9, s4, 0xfffff300
	global_load_ushort v28, v[32:33], off
	global_load_ushort v29, v[34:35], off
	;; [unrolled: 1-line block ×4, first 2 shown]
	v_addc_co_u32_e32 v71, vcc, v118, v71, vcc
	s_cmp_lt_i32 s9, s10
	v_add_co_u32_e32 v72, vcc, s12, v117
	s_cselect_b32 s12, s9, s11
	v_mov_b32_e32 v73, s13
	s_ashr_i32 s13, s12, 31
	s_lshl_b64 s[12:13], s[12:13], 1
	s_add_i32 s9, s4, 0xfffff380
	v_addc_co_u32_e32 v73, vcc, v118, v73, vcc
	s_cmp_lt_i32 s9, s10
	v_add_co_u32_e32 v74, vcc, s12, v117
	s_cselect_b32 s12, s9, s11
	v_mov_b32_e32 v75, s13
	s_ashr_i32 s13, s12, 31
	s_lshl_b64 s[12:13], s[12:13], 1
	s_add_i32 s9, s4, 0xfffff400
	v_addc_co_u32_e32 v75, vcc, v118, v75, vcc
	s_cmp_lt_i32 s9, s10
	v_add_co_u32_e32 v76, vcc, s12, v117
	s_cselect_b32 s12, s9, s11
	global_load_ushort v32, v[40:41], off
	global_load_ushort v33, v[42:43], off
	v_mov_b32_e32 v77, s13
	s_ashr_i32 s13, s12, 31
	s_lshl_b64 s[12:13], s[12:13], 1
	s_add_i32 s9, s4, 0xfffff480
	v_addc_co_u32_e32 v77, vcc, v118, v77, vcc
	s_cmp_lt_i32 s9, s10
	v_add_co_u32_e32 v78, vcc, s12, v117
	s_cselect_b32 s12, s9, s11
	v_mov_b32_e32 v79, s13
	s_ashr_i32 s13, s12, 31
	global_load_ushort v36, v[44:45], off
	s_lshl_b64 s[12:13], s[12:13], 1
	s_add_i32 s9, s4, 0xfffff500
	v_mov_b32_e32 v35, s5
	v_addc_co_u32_e32 v79, vcc, v118, v79, vcc
	s_cmp_lt_i32 s9, s10
	ds_read_b128 v[12:15], v35
	ds_read_b128 v[16:19], v35 offset:16
	global_load_ushort v37, v[46:47], off
	v_add_co_u32_e32 v80, vcc, s12, v117
	s_cselect_b32 s12, s9, s11
	v_mov_b32_e32 v81, s13
	s_ashr_i32 s13, s12, 31
	s_lshl_b64 s[12:13], s[12:13], 1
	s_add_i32 s9, s4, 0xfffff580
	v_addc_co_u32_e32 v81, vcc, v118, v81, vcc
	s_cmp_lt_i32 s9, s10
	s_waitcnt vmcnt(23)
	v_lshlrev_b32_e32 v34, 16, v120
	v_add_co_u32_e32 v82, vcc, s12, v117
	s_cselect_b32 s12, s9, s11
	ds_read_b128 v[20:23], v35 offset:32
	ds_read_b128 v[24:27], v35 offset:48
	s_waitcnt lgkmcnt(3)
	v_fmac_f32_e32 v119, v12, v34
	global_load_ushort v34, v[48:49], off
	global_load_ushort v38, v[50:51], off
	;; [unrolled: 1-line block ×6, first 2 shown]
	v_mov_b32_e32 v83, s13
	s_ashr_i32 s13, s12, 31
	s_lshl_b64 s[12:13], s[12:13], 1
	s_add_i32 s9, s4, 0xfffff600
	v_addc_co_u32_e32 v83, vcc, v118, v83, vcc
	s_cmp_lt_i32 s9, s10
	v_add_co_u32_e32 v84, vcc, s12, v117
	s_cselect_b32 s12, s9, s11
	v_mov_b32_e32 v85, s13
	s_ashr_i32 s13, s12, 31
	s_lshl_b64 s[12:13], s[12:13], 1
	s_add_i32 s9, s4, 0xfffff680
	v_addc_co_u32_e32 v85, vcc, v118, v85, vcc
	s_cmp_lt_i32 s9, s10
	v_add_co_u32_e32 v86, vcc, s12, v117
	s_cselect_b32 s12, s9, s11
	;; [unrolled: 8-line block ×7, first 2 shown]
	v_mov_b32_e32 v97, s13
	s_ashr_i32 s13, s12, 31
	s_lshl_b64 s[12:13], s[12:13], 1
	s_add_i32 s9, s4, 0xfffff980
	v_addc_co_u32_e32 v97, vcc, v118, v97, vcc
	s_cmp_lt_i32 s9, s10
	s_waitcnt vmcnt(25)
	v_lshlrev_b32_e32 v12, 16, v121
	v_add_co_u32_e32 v98, vcc, s12, v117
	s_cselect_b32 s12, s9, s11
	v_fmac_f32_e32 v119, v13, v12
	v_lshlrev_b32_e32 v12, 16, v122
	v_mov_b32_e32 v99, s13
	s_ashr_i32 s13, s12, 31
	v_fmac_f32_e32 v119, v14, v12
	v_lshlrev_b32_e32 v12, 16, v123
	s_lshl_b64 s[12:13], s[12:13], 1
	s_add_i32 s9, s4, 0xfffffa00
	v_fmac_f32_e32 v119, v15, v12
	v_lshlrev_b32_e32 v12, 16, v124
	v_addc_co_u32_e32 v99, vcc, v118, v99, vcc
	s_cmp_lt_i32 s9, s10
	s_waitcnt lgkmcnt(2)
	v_fmac_f32_e32 v119, v16, v12
	s_waitcnt vmcnt(24)
	v_lshlrev_b32_e32 v12, 16, v125
	v_add_co_u32_e32 v100, vcc, s12, v117
	s_cselect_b32 s12, s9, s11
	v_fmac_f32_e32 v119, v17, v12
	s_waitcnt vmcnt(23)
	v_lshlrev_b32_e32 v12, 16, v126
	v_mov_b32_e32 v101, s13
	s_ashr_i32 s13, s12, 31
	v_fmac_f32_e32 v119, v18, v12
	s_waitcnt vmcnt(22)
	v_lshlrev_b32_e32 v12, 16, v127
	s_lshl_b64 s[12:13], s[12:13], 1
	s_add_i32 s9, s4, 0xfffffa80
	v_fmac_f32_e32 v119, v19, v12
	s_waitcnt vmcnt(21)
	v_lshlrev_b32_e32 v12, 16, v128
	v_addc_co_u32_e32 v101, vcc, v118, v101, vcc
	s_cmp_lt_i32 s9, s10
	s_waitcnt lgkmcnt(1)
	v_fmac_f32_e32 v119, v20, v12
	global_load_ushort v20, v[60:61], off
	v_add_co_u32_e32 v102, vcc, s12, v117
	s_cselect_b32 s12, s9, s11
	v_mov_b32_e32 v103, s13
	s_ashr_i32 s13, s12, 31
	s_lshl_b64 s[12:13], s[12:13], 1
	s_add_i32 s9, s4, 0xfffffb00
	s_waitcnt vmcnt(21)
	v_lshlrev_b32_e32 v12, 16, v129
	v_addc_co_u32_e32 v103, vcc, v118, v103, vcc
	s_cmp_lt_i32 s9, s10
	v_fmac_f32_e32 v119, v21, v12
	global_load_ushort v21, v[62:63], off
	v_add_co_u32_e32 v104, vcc, s12, v117
	s_cselect_b32 s12, s9, s11
	s_waitcnt vmcnt(21)
	v_lshlrev_b32_e32 v12, 16, v130
	global_load_ushort v43, v[64:65], off
	v_mov_b32_e32 v105, s13
	s_ashr_i32 s13, s12, 31
	v_fmac_f32_e32 v119, v22, v12
	global_load_ushort v22, v[66:67], off
	s_waitcnt vmcnt(22)
	v_lshlrev_b32_e32 v12, 16, v131
	s_lshl_b64 s[12:13], s[12:13], 1
	s_add_i32 s9, s4, 0xfffffb80
	v_fmac_f32_e32 v119, v23, v12
	global_load_ushort v23, v[68:69], off
	global_load_ushort v44, v[70:71], off
	v_addc_co_u32_e32 v105, vcc, v118, v105, vcc
	s_cmp_lt_i32 s9, s10
	s_waitcnt vmcnt(23)
	v_lshlrev_b32_e32 v12, 16, v132
	v_add_co_u32_e32 v108, vcc, s12, v117
	s_cselect_b32 s12, s9, s11
	s_waitcnt lgkmcnt(0)
	v_fmac_f32_e32 v119, v24, v12
	global_load_ushort v24, v[72:73], off
	global_load_ushort v45, v[74:75], off
	v_mov_b32_e32 v106, s13
	s_ashr_i32 s13, s12, 31
	s_waitcnt vmcnt(24)
	v_lshlrev_b32_e32 v12, 16, v133
	s_lshl_b64 s[12:13], s[12:13], 1
	s_add_i32 s9, s4, 0xfffffc00
	v_fmac_f32_e32 v119, v25, v12
	global_load_ushort v25, v[76:77], off
	v_addc_co_u32_e32 v109, vcc, v118, v106, vcc
	s_cmp_lt_i32 s9, s10
	v_add_co_u32_e32 v106, vcc, s12, v117
	s_cselect_b32 s12, s9, s11
	s_waitcnt vmcnt(24)
	v_lshlrev_b32_e32 v12, 16, v134
	v_mov_b32_e32 v107, s13
	s_ashr_i32 s13, s12, 31
	v_fmac_f32_e32 v119, v26, v12
	global_load_ushort v26, v[78:79], off
	s_waitcnt vmcnt(24)
	v_lshlrev_b32_e32 v12, 16, v135
	s_lshl_b64 s[12:13], s[12:13], 1
	s_add_i32 s9, s4, 0xfffffc80
	v_fmac_f32_e32 v119, v27, v12
	ds_read_b128 v[12:15], v35 offset:64
	ds_read_b128 v[16:19], v35 offset:80
	v_addc_co_u32_e32 v107, vcc, v118, v107, vcc
	s_cmp_lt_i32 s9, s10
	global_load_ushort v46, v[80:81], off
	global_load_ushort v27, v[82:83], off
	;; [unrolled: 1-line block ×4, first 2 shown]
	v_add_co_u32_e32 v112, vcc, s12, v117
	s_cselect_b32 s12, s9, s11
	v_mov_b32_e32 v110, s13
	s_ashr_i32 s13, s12, 31
	s_lshl_b64 s[12:13], s[12:13], 1
	s_add_i32 s9, s4, 0xfffffd00
	s_waitcnt vmcnt(27)
	v_lshlrev_b32_e32 v28, 16, v28
	v_addc_co_u32_e32 v113, vcc, v118, v110, vcc
	s_cmp_lt_i32 s9, s10
	s_waitcnt lgkmcnt(1)
	v_fmac_f32_e32 v119, v12, v28
	global_load_ushort v28, v[88:89], off
	v_add_co_u32_e32 v110, vcc, s12, v117
	s_cselect_b32 s12, s9, s11
	s_waitcnt vmcnt(27)
	v_lshlrev_b32_e32 v12, 16, v29
	global_load_ushort v29, v[90:91], off
	global_load_ushort v49, v[92:93], off
	v_mov_b32_e32 v111, s13
	s_ashr_i32 s13, s12, 31
	s_lshl_b64 s[12:13], s[12:13], 1
	s_add_i32 s9, s4, 0xfffffd80
	v_addc_co_u32_e32 v111, vcc, v118, v111, vcc
	s_cmp_lt_i32 s9, s10
	v_add_co_u32_e32 v114, vcc, s12, v117
	s_cselect_b32 s12, s9, s11
	v_mov_b32_e32 v115, s13
	s_ashr_i32 s13, s12, 31
	v_fmac_f32_e32 v119, v13, v12
	s_waitcnt vmcnt(28)
	v_lshlrev_b32_e32 v12, 16, v30
	global_load_ushort v30, v[94:95], off
	s_lshl_b64 s[12:13], s[12:13], 1
	s_add_i32 s9, s4, 0xfffffe00
	v_fmac_f32_e32 v119, v14, v12
	s_waitcnt vmcnt(28)
	v_lshlrev_b32_e32 v12, 16, v31
	global_load_ushort v31, v[96:97], off
	v_addc_co_u32_e32 v115, vcc, v118, v115, vcc
	s_cmp_lt_i32 s9, s10
	v_fmac_f32_e32 v119, v15, v12
	s_waitcnt vmcnt(28)
	v_lshlrev_b32_e32 v12, 16, v32
	global_load_ushort v32, v[98:99], off
	global_load_ushort v50, v[100:101], off
	v_add_co_u32_e32 v0, vcc, s12, v117
	s_cselect_b32 s12, s9, s11
	v_mov_b32_e32 v2, s13
	s_ashr_i32 s13, s12, 31
	s_lshl_b64 s[12:13], s[12:13], 1
	s_add_i32 s9, s4, 0xfffffe80
	s_waitcnt lgkmcnt(0)
	v_fmac_f32_e32 v119, v16, v12
	s_waitcnt vmcnt(29)
	v_lshlrev_b32_e32 v12, 16, v33
	global_load_ushort v33, v[102:103], off
	global_load_ushort v51, v[104:105], off
	;; [unrolled: 1-line block ×3, first 2 shown]
	v_addc_co_u32_e32 v1, vcc, v118, v2, vcc
	s_cmp_lt_i32 s9, s10
	v_add_co_u32_e32 v2, vcc, s12, v117
	s_cselect_b32 s12, s9, s11
	v_mov_b32_e32 v3, s13
	s_ashr_i32 s13, s12, 31
	v_fmac_f32_e32 v119, v17, v12
	s_waitcnt vmcnt(31)
	v_lshlrev_b32_e32 v12, 16, v36
	global_load_ushort v36, v[106:107], off
	global_load_ushort v53, v[112:113], off
	s_lshl_b64 s[12:13], s[12:13], 1
	s_add_i32 s9, s4, 0xffffff00
	v_addc_co_u32_e32 v3, vcc, v118, v3, vcc
	s_cmp_lt_i32 s9, s10
	v_fmac_f32_e32 v119, v18, v12
	s_waitcnt vmcnt(32)
	v_lshlrev_b32_e32 v12, 16, v37
	v_add_co_u32_e32 v4, vcc, s12, v117
	s_cselect_b32 s12, s9, s11
	v_fmac_f32_e32 v119, v19, v12
	ds_read_b128 v[12:15], v35 offset:96
	v_mov_b32_e32 v5, s13
	s_ashr_i32 s13, s12, 31
	s_lshl_b64 s[12:13], s[12:13], 1
	s_add_i32 s9, s4, 0xffffff80
	v_addc_co_u32_e32 v5, vcc, v118, v5, vcc
	s_cmp_lt_i32 s9, s10
	global_load_ushort v37, v[110:111], off
	global_load_ushort v54, v[114:115], off
	v_add_co_u32_e32 v8, vcc, s12, v117
	s_cselect_b32 s12, s9, s11
	s_waitcnt vmcnt(33)
	v_lshlrev_b32_e32 v34, 16, v34
	v_mov_b32_e32 v6, s13
	s_ashr_i32 s13, s12, 31
	s_waitcnt lgkmcnt(0)
	v_fmac_f32_e32 v119, v12, v34
	s_waitcnt vmcnt(32)
	v_lshlrev_b32_e32 v12, 16, v38
	s_lshl_b64 s[12:13], s[12:13], 1
	ds_read_b128 v[16:19], v35 offset:112
	v_fmac_f32_e32 v119, v13, v12
	global_load_ushort v12, v[0:1], off
	global_load_ushort v13, v[2:3], off
	v_addc_co_u32_e32 v9, vcc, v118, v6, vcc
	s_cmp_lt_i32 s4, s10
	v_add_co_u32_e32 v6, vcc, s12, v117
	s_cselect_b32 s12, s4, s11
	s_waitcnt vmcnt(33)
	v_lshlrev_b32_e32 v0, 16, v39
	v_mov_b32_e32 v7, s13
	s_ashr_i32 s13, s12, 31
	v_fmac_f32_e32 v119, v14, v0
	global_load_ushort v14, v[4:5], off
	global_load_ushort v34, v[8:9], off
	v_addc_co_u32_e32 v7, vcc, v118, v7, vcc
	s_lshl_b64 s[12:13], s[12:13], 1
	s_waitcnt vmcnt(34)
	v_lshlrev_b32_e32 v0, 16, v40
	v_mov_b32_e32 v11, s13
	v_add_co_u32_e32 v10, vcc, s12, v117
	v_fmac_f32_e32 v119, v15, v0
	s_waitcnt vmcnt(33)
	v_lshlrev_b32_e32 v0, 16, v41
	v_addc_co_u32_e32 v11, vcc, v118, v11, vcc
	s_waitcnt lgkmcnt(0)
	v_fmac_f32_e32 v119, v16, v0
	global_load_ushort v15, v[6:7], off
	global_load_ushort v16, v[10:11], off
	s_waitcnt vmcnt(34)
	v_lshlrev_b32_e32 v0, 16, v42
	v_fmac_f32_e32 v119, v17, v0
	s_waitcnt vmcnt(33)
	v_lshlrev_b32_e32 v0, 16, v20
	v_fmac_f32_e32 v119, v18, v0
	ds_read_b128 v[0:3], v35 offset:128
	s_waitcnt vmcnt(32)
	v_lshlrev_b32_e32 v4, 16, v21
	v_fmac_f32_e32 v119, v19, v4
	ds_read_b128 v[4:7], v35 offset:144
	s_waitcnt vmcnt(31)
	v_lshlrev_b32_e32 v8, 16, v43
	s_waitcnt lgkmcnt(1)
	v_fmac_f32_e32 v119, v0, v8
	s_waitcnt vmcnt(30)
	v_lshlrev_b32_e32 v0, 16, v22
	v_fmac_f32_e32 v119, v1, v0
	s_waitcnt vmcnt(29)
	v_lshlrev_b32_e32 v0, 16, v23
	v_fmac_f32_e32 v119, v2, v0
	s_waitcnt vmcnt(28)
	v_lshlrev_b32_e32 v0, 16, v44
	v_fmac_f32_e32 v119, v3, v0
	s_waitcnt vmcnt(27)
	v_lshlrev_b32_e32 v0, 16, v24
	s_waitcnt lgkmcnt(0)
	v_fmac_f32_e32 v119, v4, v0
	s_waitcnt vmcnt(26)
	v_lshlrev_b32_e32 v0, 16, v45
	v_fmac_f32_e32 v119, v5, v0
	s_waitcnt vmcnt(25)
	v_lshlrev_b32_e32 v0, 16, v25
	v_fmac_f32_e32 v119, v6, v0
	ds_read_b128 v[0:3], v35 offset:160
	s_waitcnt vmcnt(24)
	v_lshlrev_b32_e32 v4, 16, v26
	v_fmac_f32_e32 v119, v7, v4
	ds_read_b128 v[4:7], v35 offset:176
	s_waitcnt vmcnt(23)
	v_lshlrev_b32_e32 v8, 16, v46
	s_waitcnt lgkmcnt(1)
	v_fmac_f32_e32 v119, v0, v8
	s_waitcnt vmcnt(22)
	v_lshlrev_b32_e32 v0, 16, v27
	v_fmac_f32_e32 v119, v1, v0
	s_waitcnt vmcnt(21)
	v_lshlrev_b32_e32 v0, 16, v47
	;; [unrolled: 3-line block ×4, first 2 shown]
	s_waitcnt lgkmcnt(0)
	v_fmac_f32_e32 v119, v4, v0
	s_waitcnt vmcnt(18)
	v_lshlrev_b32_e32 v0, 16, v29
	v_fmac_f32_e32 v119, v5, v0
	s_waitcnt vmcnt(17)
	v_lshlrev_b32_e32 v0, 16, v49
	v_fmac_f32_e32 v119, v6, v0
	ds_read_b128 v[0:3], v35 offset:192
	s_waitcnt vmcnt(16)
	v_lshlrev_b32_e32 v4, 16, v30
	v_fmac_f32_e32 v119, v7, v4
	ds_read_b128 v[4:7], v35 offset:208
	s_waitcnt vmcnt(15)
	v_lshlrev_b32_e32 v8, 16, v31
	s_waitcnt lgkmcnt(1)
	v_fmac_f32_e32 v119, v0, v8
	s_waitcnt vmcnt(14)
	v_lshlrev_b32_e32 v0, 16, v32
	v_fmac_f32_e32 v119, v1, v0
	s_waitcnt vmcnt(13)
	v_lshlrev_b32_e32 v0, 16, v50
	;; [unrolled: 3-line block ×4, first 2 shown]
	v_lshlrev_b32_e32 v0, 16, v51
	s_waitcnt lgkmcnt(0)
	v_pk_mul_f32 v[0:1], v[4:5], v[0:1]
	v_add_f32_e32 v0, v119, v0
	v_add_f32_e32 v2, v0, v1
	s_waitcnt vmcnt(8)
	v_lshlrev_b32_e32 v1, 16, v53
	v_lshlrev_b32_e32 v0, 16, v36
	v_pk_mul_f32 v[4:5], v[6:7], v[0:1]
	v_add_f32_e32 v4, v2, v4
	ds_read_b128 v[0:3], v35 offset:224
	s_waitcnt vmcnt(6)
	v_lshlrev_b32_e32 v9, 16, v54
	v_lshlrev_b32_e32 v8, 16, v37
	v_add_f32_e32 v10, v4, v5
	ds_read_b128 v[4:7], v35 offset:240
	s_waitcnt lgkmcnt(1)
	v_pk_mul_f32 v[0:1], v[0:1], v[8:9]
	v_add_f32_e32 v0, v10, v0
	v_add_f32_e32 v8, v0, v1
	s_waitcnt vmcnt(4)
	v_lshlrev_b32_e32 v1, 16, v13
	v_lshlrev_b32_e32 v0, 16, v12
	v_pk_mul_f32 v[0:1], v[2:3], v[0:1]
	v_add_f32_e32 v0, v8, v0
	v_add_f32_e32 v2, v0, v1
	s_waitcnt vmcnt(2)
	v_lshlrev_b32_e32 v1, 16, v34
	v_lshlrev_b32_e32 v0, 16, v14
	s_waitcnt lgkmcnt(0)
	v_pk_mul_f32 v[0:1], v[4:5], v[0:1]
	v_add_f32_e32 v0, v2, v0
	v_add_f32_e32 v2, v0, v1
	s_waitcnt vmcnt(1)
	v_lshlrev_b32_e32 v0, 16, v15
	s_waitcnt vmcnt(0)
	v_lshlrev_b32_e32 v1, 16, v16
	v_pk_mul_f32 v[0:1], v[6:7], v[0:1]
	v_add_f32_e32 v0, v2, v0
	v_add_f32_e32 v119, v0, v1
	s_branch .LBB321_16
.LBB321_19:
	v_mov_b32_e32 v0, 0
	ds_read_b32 v0, v0 offset:3584
	s_cmp_lg_u64 s[2:3], 0
	s_cbranch_scc0 .LBB321_28
; %bb.20:
	s_load_dword s4, s[2:3], 0x0
	s_waitcnt lgkmcnt(0)
	v_div_scale_f32 v1, s[2:3], s4, s4, 1.0
	v_rcp_f32_e32 v2, v1
	v_div_scale_f32 v3, vcc, 1.0, s4, 1.0
	v_fma_f32 v4, -v1, v2, 1.0
	v_fmac_f32_e32 v2, v4, v2
	v_mul_f32_e32 v4, v3, v2
	v_fma_f32 v5, -v1, v4, v3
	v_fmac_f32_e32 v4, v5, v2
	v_fma_f32 v1, -v1, v4, v3
	v_div_fmas_f32 v1, v1, v2, v4
	v_div_fixup_f32 v1, v1, s4, 1.0
	s_andn2_b64 vcc, exec, s[46:47]
	s_cbranch_vccnz .LBB321_22
.LBB321_21:
	s_add_u32 s2, s44, s48
	s_addc_u32 s3, s45, s49
	s_load_dword s34, s[2:3], 0x0
	s_mov_b32 s35, 0
.LBB321_22:
	s_waitcnt lgkmcnt(0)
	v_add_f32_e32 v0, 0x358637bd, v0
	v_div_scale_f32 v2, s[2:3], v0, v0, 1.0
	v_rcp_f32_e32 v3, v2
	v_div_scale_f32 v4, vcc, 1.0, v0, 1.0
	s_mov_b32 s2, 0x7f800000
	v_fma_f32 v5, -v2, v3, 1.0
	v_fmac_f32_e32 v3, v5, v3
	v_mul_f32_e32 v5, v4, v3
	v_fma_f32 v6, -v2, v5, v4
	v_fmac_f32_e32 v5, v6, v3
	v_fma_f32 v2, -v2, v5, v4
	v_div_fmas_f32 v2, v2, v3, v5
	v_div_fixup_f32 v0, v2, v0, 1.0
	v_mul_f32_e32 v0, v119, v0
	v_mul_f32_e32 v1, v0, v1
	v_and_b32_e32 v0, 0x7f800000, v1
	v_cmp_ne_u32_e32 vcc, s2, v0
                                        ; implicit-def: $vgpr0
	s_and_saveexec_b64 s[2:3], vcc
	s_xor_b64 s[2:3], exec, s[2:3]
; %bb.23:
	v_bfe_u32 v0, v1, 16, 1
	s_movk_i32 s4, 0x7fff
	v_add3_u32 v0, v1, v0, s4
                                        ; implicit-def: $vgpr1
; %bb.24:
	s_andn2_saveexec_b64 s[2:3], s[2:3]
; %bb.25:
	v_mov_b32_e32 v0, 0
	v_or_b32_e32 v2, 0x10000, v1
	v_cmp_eq_u32_sdwa vcc, v1, v0 src0_sel:WORD_0 src1_sel:DWORD
	v_cndmask_b32_e32 v0, v2, v1, vcc
; %bb.26:
	s_or_b64 exec, exec, s[2:3]
	s_mul_i32 s2, s7, s35
	s_mul_hi_u32 s3, s7, s34
	s_add_i32 s3, s3, s2
	s_mul_i32 s2, s7, s34
	s_lshl_b64 s[2:3], s[2:3], 8
	s_add_u32 s2, s0, s2
	s_mov_b32 s7, 0
	s_addc_u32 s3, s1, s3
	s_lshl_b64 s[0:1], s[6:7], 8
	s_add_u32 s0, s2, s0
	s_addc_u32 s1, s3, s1
	global_store_short_d16_hi v116, v0, s[0:1]
	s_endpgm
.LBB321_27:
	s_mov_b64 s[2:3], 0
	s_branch .LBB321_2
.LBB321_28:
	v_mov_b32_e32 v1, 1.0
	s_andn2_b64 vcc, exec, s[46:47]
	s_cbranch_vccz .LBB321_21
	s_branch .LBB321_22
	.section	.rodata,"a",@progbits
	.p2align	6, 0x0
	.amdhsa_kernel _Z35paged_attention_ll4mi_reduce_kernelI14__hip_bfloat16S0_Li128ELi128ELi256ELi14EEvPT0_PKfS4_PKT_PKiS9_iS4_
		.amdhsa_group_segment_fixed_size 3588
		.amdhsa_private_segment_fixed_size 0
		.amdhsa_kernarg_size 320
		.amdhsa_user_sgpr_count 6
		.amdhsa_user_sgpr_private_segment_buffer 1
		.amdhsa_user_sgpr_dispatch_ptr 0
		.amdhsa_user_sgpr_queue_ptr 0
		.amdhsa_user_sgpr_kernarg_segment_ptr 1
		.amdhsa_user_sgpr_dispatch_id 0
		.amdhsa_user_sgpr_flat_scratch_init 0
		.amdhsa_user_sgpr_kernarg_preload_length 0
		.amdhsa_user_sgpr_kernarg_preload_offset 0
		.amdhsa_user_sgpr_private_segment_size 0
		.amdhsa_uses_dynamic_stack 0
		.amdhsa_system_sgpr_private_segment_wavefront_offset 0
		.amdhsa_system_sgpr_workgroup_id_x 1
		.amdhsa_system_sgpr_workgroup_id_y 1
		.amdhsa_system_sgpr_workgroup_id_z 0
		.amdhsa_system_sgpr_workgroup_info 0
		.amdhsa_system_vgpr_workitem_id 0
		.amdhsa_next_free_vgpr 136
		.amdhsa_next_free_sgpr 57
		.amdhsa_accum_offset 136
		.amdhsa_reserve_vcc 1
		.amdhsa_reserve_flat_scratch 0
		.amdhsa_float_round_mode_32 0
		.amdhsa_float_round_mode_16_64 0
		.amdhsa_float_denorm_mode_32 3
		.amdhsa_float_denorm_mode_16_64 3
		.amdhsa_dx10_clamp 1
		.amdhsa_ieee_mode 1
		.amdhsa_fp16_overflow 0
		.amdhsa_tg_split 0
		.amdhsa_exception_fp_ieee_invalid_op 0
		.amdhsa_exception_fp_denorm_src 0
		.amdhsa_exception_fp_ieee_div_zero 0
		.amdhsa_exception_fp_ieee_overflow 0
		.amdhsa_exception_fp_ieee_underflow 0
		.amdhsa_exception_fp_ieee_inexact 0
		.amdhsa_exception_int_div_zero 0
	.end_amdhsa_kernel
	.section	.text._Z35paged_attention_ll4mi_reduce_kernelI14__hip_bfloat16S0_Li128ELi128ELi256ELi14EEvPT0_PKfS4_PKT_PKiS9_iS4_,"axG",@progbits,_Z35paged_attention_ll4mi_reduce_kernelI14__hip_bfloat16S0_Li128ELi128ELi256ELi14EEvPT0_PKfS4_PKT_PKiS9_iS4_,comdat
.Lfunc_end321:
	.size	_Z35paged_attention_ll4mi_reduce_kernelI14__hip_bfloat16S0_Li128ELi128ELi256ELi14EEvPT0_PKfS4_PKT_PKiS9_iS4_, .Lfunc_end321-_Z35paged_attention_ll4mi_reduce_kernelI14__hip_bfloat16S0_Li128ELi128ELi256ELi14EEvPT0_PKfS4_PKT_PKiS9_iS4_
                                        ; -- End function
	.section	.AMDGPU.csdata,"",@progbits
; Kernel info:
; codeLenInByte = 11840
; NumSgprs: 61
; NumVgprs: 136
; NumAgprs: 0
; TotalNumVgprs: 136
; ScratchSize: 0
; MemoryBound: 0
; FloatMode: 240
; IeeeMode: 1
; LDSByteSize: 3588 bytes/workgroup (compile time only)
; SGPRBlocks: 7
; VGPRBlocks: 16
; NumSGPRsForWavesPerEU: 61
; NumVGPRsForWavesPerEU: 136
; AccumOffset: 136
; Occupancy: 3
; WaveLimiterHint : 1
; COMPUTE_PGM_RSRC2:SCRATCH_EN: 0
; COMPUTE_PGM_RSRC2:USER_SGPR: 6
; COMPUTE_PGM_RSRC2:TRAP_HANDLER: 0
; COMPUTE_PGM_RSRC2:TGID_X_EN: 1
; COMPUTE_PGM_RSRC2:TGID_Y_EN: 1
; COMPUTE_PGM_RSRC2:TGID_Z_EN: 0
; COMPUTE_PGM_RSRC2:TIDIG_COMP_CNT: 0
; COMPUTE_PGM_RSRC3_GFX90A:ACCUM_OFFSET: 33
; COMPUTE_PGM_RSRC3_GFX90A:TG_SPLIT: 0
	.section	.text._Z35paged_attention_ll4mi_reduce_kernelI14__hip_bfloat16S0_Li128ELi128ELi256ELi15EEvPT0_PKfS4_PKT_PKiS9_iS4_,"axG",@progbits,_Z35paged_attention_ll4mi_reduce_kernelI14__hip_bfloat16S0_Li128ELi128ELi256ELi15EEvPT0_PKfS4_PKT_PKiS9_iS4_,comdat
	.protected	_Z35paged_attention_ll4mi_reduce_kernelI14__hip_bfloat16S0_Li128ELi128ELi256ELi15EEvPT0_PKfS4_PKT_PKiS9_iS4_ ; -- Begin function _Z35paged_attention_ll4mi_reduce_kernelI14__hip_bfloat16S0_Li128ELi128ELi256ELi15EEvPT0_PKfS4_PKT_PKiS9_iS4_
	.globl	_Z35paged_attention_ll4mi_reduce_kernelI14__hip_bfloat16S0_Li128ELi128ELi256ELi15EEvPT0_PKfS4_PKT_PKiS9_iS4_
	.p2align	8
	.type	_Z35paged_attention_ll4mi_reduce_kernelI14__hip_bfloat16S0_Li128ELi128ELi256ELi15EEvPT0_PKfS4_PKT_PKiS9_iS4_,@function
_Z35paged_attention_ll4mi_reduce_kernelI14__hip_bfloat16S0_Li128ELi128ELi256ELi15EEvPT0_PKfS4_PKT_PKiS9_iS4_: ; @_Z35paged_attention_ll4mi_reduce_kernelI14__hip_bfloat16S0_Li128ELi128ELi256ELi15EEvPT0_PKfS4_PKT_PKiS9_iS4_
; %bb.0:
	s_load_dwordx2 s[46:47], s[4:5], 0x28
	s_mov_b32 s44, s7
	s_mov_b64 s[0:1], 0
	s_waitcnt lgkmcnt(0)
	s_cmp_lg_u64 s[46:47], 0
	s_cselect_b64 s[48:49], -1, 0
	s_and_b64 vcc, exec, s[48:49]
	s_cbranch_vccz .LBB322_27
; %bb.1:
	s_add_i32 s2, s44, 1
	s_mov_b32 s3, 0
	s_lshl_b64 s[8:9], s[2:3], 2
	s_add_u32 s8, s46, s8
	s_mov_b32 s45, s3
	s_addc_u32 s9, s47, s9
	s_lshl_b64 s[2:3], s[44:45], 2
	s_add_u32 s2, s46, s2
	s_addc_u32 s3, s47, s3
	s_load_dword s7, s[8:9], 0x0
	s_load_dword s10, s[2:3], 0x0
	s_waitcnt lgkmcnt(0)
	s_sub_i32 s2, s7, s10
	s_cmp_eq_u32 s2, 1
	s_cselect_b64 s[2:3], -1, 0
	s_andn2_b64 vcc, exec, s[0:1]
	s_cbranch_vccnz .LBB322_3
.LBB322_2:
	s_mov_b32 s45, 0
	s_mov_b64 s[2:3], -1
.LBB322_3:
	s_andn2_b64 vcc, exec, s[2:3]
	s_cbranch_vccz .LBB322_5
; %bb.4:
	s_endpgm
.LBB322_5:
	s_load_dwordx4 s[36:39], s[4:5], 0x18
	s_load_dword s8, s[4:5], 0x30
	s_lshl_b64 s[50:51], s[44:45], 2
	v_cmp_lt_u32_e32 vcc, 63, v0
	s_waitcnt lgkmcnt(0)
	s_add_u32 s0, s38, s50
	s_addc_u32 s1, s39, s51
	s_load_dword s58, s[0:1], 0x0
	s_load_dword s7, s[4:5], 0x40
	s_mul_i32 s38, s6, s8
	s_mul_i32 s2, s44, s8
	s_waitcnt lgkmcnt(0)
	s_add_i32 s3, s58, 0xff
	s_ashr_i32 s0, s3, 31
	s_lshr_b32 s0, s0, 24
	s_add_i32 s3, s3, s0
	s_and_saveexec_b64 s[0:1], vcc
	s_xor_b64 s[0:1], exec, s[0:1]
	s_or_saveexec_b64 s[52:53], s[0:1]
	s_ashr_i32 s33, s3, 8
	v_mov_b32_e32 v1, s38
	s_mul_i32 s54, s2, s7
	s_xor_b64 exec, exec, s[52:53]
	s_cbranch_execz .LBB322_9
; %bb.6:
	s_add_i32 s0, s33, -1
	v_or_b32_e32 v3, 64, v0
	v_mov_b32_e32 v1, s0
	v_cmp_gt_u32_e64 s[28:29], s33, v3
	v_cndmask_b32_e64 v4, v1, v3, s[28:29]
	v_or_b32_e32 v3, 0x80, v0
	v_cmp_gt_u32_e64 s[26:27], s33, v3
	v_cndmask_b32_e64 v6, v1, v3, s[26:27]
	v_or_b32_e32 v3, 0xc0, v0
	;; [unrolled: 3-line block ×10, first 2 shown]
	s_load_dwordx4 s[40:43], s[4:5], 0x8
	v_cmp_gt_u32_e64 s[8:9], s33, v3
	v_cndmask_b32_e64 v24, v1, v3, s[8:9]
	v_or_b32_e32 v3, 0x300, v0
	v_cmp_gt_u32_e64 s[2:3], s33, v3
	s_mov_b32 s55, 0
	v_cndmask_b32_e64 v26, v1, v3, s[2:3]
	v_or_b32_e32 v3, 0x340, v0
	v_cmp_gt_u32_e64 s[0:1], s33, v3
	s_lshl_b64 s[56:57], s[54:55], 2
	s_mov_b32 s39, s55
	v_cmp_gt_u32_e64 s[30:31], s33, v0
	v_cndmask_b32_e64 v28, v1, v3, s[0:1]
	v_or_b32_e32 v3, 0x380, v0
	s_waitcnt lgkmcnt(0)
	s_add_u32 s34, s42, s56
	v_cndmask_b32_e64 v2, v1, v0, s[30:31]
	v_cmp_gt_u32_e32 vcc, s33, v3
	s_addc_u32 s35, s43, s57
	s_lshl_b64 s[42:43], s[38:39], 2
	v_cndmask_b32_e32 v30, v1, v3, vcc
	s_add_u32 s39, s34, s42
	v_ashrrev_i32_e32 v3, 31, v2
	s_addc_u32 s55, s35, s43
	v_lshlrev_b64 v[2:3], 2, v[2:3]
	v_mov_b32_e32 v1, s55
	v_add_co_u32_e64 v32, s[34:35], s39, v2
	v_ashrrev_i32_e32 v5, 31, v4
	v_addc_co_u32_e64 v33, s[34:35], v1, v3, s[34:35]
	v_lshlrev_b64 v[4:5], 2, v[4:5]
	v_add_co_u32_e64 v34, s[34:35], s39, v4
	v_ashrrev_i32_e32 v7, 31, v6
	v_addc_co_u32_e64 v35, s[34:35], v1, v5, s[34:35]
	v_lshlrev_b64 v[6:7], 2, v[6:7]
	;; [unrolled: 4-line block ×8, first 2 shown]
	global_load_dword v1, v[32:33], off
	global_load_dword v48, v[34:35], off
	;; [unrolled: 1-line block ×7, first 2 shown]
	s_nop 0
	global_load_dword v46, v[46:47], off
	v_mov_b32_e32 v21, s55
	v_add_co_u32_e64 v32, s[34:35], s39, v18
	v_addc_co_u32_e64 v33, s[34:35], v21, v19, s[34:35]
	v_ashrrev_i32_e32 v21, 31, v20
	v_lshlrev_b64 v[20:21], 2, v[20:21]
	v_mov_b32_e32 v23, s55
	v_add_co_u32_e64 v34, s[34:35], s39, v20
	v_addc_co_u32_e64 v35, s[34:35], v23, v21, s[34:35]
	v_ashrrev_i32_e32 v23, 31, v22
	v_lshlrev_b64 v[22:23], 2, v[22:23]
	;; [unrolled: 5-line block ×6, first 2 shown]
	v_mov_b32_e32 v45, s55
	v_add_co_u32_e64 v44, s[34:35], s39, v30
	v_addc_co_u32_e64 v45, s[34:35], v45, v31, s[34:35]
	global_load_dword v32, v[32:33], off
	s_nop 0
	global_load_dword v33, v[34:35], off
	s_nop 0
	global_load_dword v34, v[36:37], off
	global_load_dword v35, v[38:39], off
	s_nop 0
	global_load_dword v36, v[40:41], off
	global_load_dword v37, v[42:43], off
	;; [unrolled: 1-line block ×3, first 2 shown]
	v_mbcnt_lo_u32_b32 v40, -1, 0
	v_mbcnt_hi_u32_b32 v40, -1, v40
	v_and_b32_e32 v41, 64, v40
	v_add_u32_e32 v41, 64, v41
	v_xor_b32_e32 v42, 32, v40
	v_cmp_lt_i32_e64 s[34:35], v42, v41
	v_cndmask_b32_e64 v42, v40, v42, s[34:35]
	v_lshlrev_b32_e32 v42, 2, v42
	s_waitcnt vmcnt(12)
	v_max3_f32 v39, v1, v48, v49
	s_waitcnt vmcnt(10)
	v_max3_f32 v39, v39, v50, v51
	;; [unrolled: 2-line block ×7, first 2 shown]
	ds_bpermute_b32 v43, v42, v39
	s_waitcnt lgkmcnt(0)
	v_max_f32_e32 v43, v43, v43
	v_max_f32_e32 v39, v39, v43
	v_xor_b32_e32 v43, 16, v40
	v_cmp_lt_i32_e64 s[34:35], v43, v41
	v_cndmask_b32_e64 v43, v40, v43, s[34:35]
	v_lshlrev_b32_e32 v43, 2, v43
	ds_bpermute_b32 v44, v43, v39
	s_waitcnt lgkmcnt(0)
	v_max_f32_e32 v44, v44, v44
	v_max_f32_e32 v39, v39, v44
	v_xor_b32_e32 v44, 8, v40
	v_cmp_lt_i32_e64 s[34:35], v44, v41
	v_cndmask_b32_e64 v44, v40, v44, s[34:35]
	v_lshlrev_b32_e32 v44, 2, v44
	;; [unrolled: 8-line block ×4, first 2 shown]
	ds_bpermute_b32 v54, v47, v39
	s_waitcnt lgkmcnt(0)
	v_max_f32_e32 v54, v54, v54
	v_max_f32_e32 v39, v39, v54
	v_xor_b32_e32 v54, 1, v40
	v_cmp_lt_i32_e64 s[34:35], v54, v41
	v_cndmask_b32_e64 v40, v40, v54, s[34:35]
	s_add_u32 s34, s40, s56
	s_addc_u32 s35, s41, s57
	s_add_u32 s39, s34, s42
	s_addc_u32 s40, s35, s43
	v_mov_b32_e32 v54, s40
	v_add_co_u32_e64 v2, s[34:35], s39, v2
	v_addc_co_u32_e64 v3, s[34:35], v54, v3, s[34:35]
	v_add_co_u32_e64 v4, s[34:35], s39, v4
	v_addc_co_u32_e64 v5, s[34:35], v54, v5, s[34:35]
	;; [unrolled: 2-line block ×8, first 2 shown]
	global_load_dword v54, v[2:3], off
	global_load_dword v55, v[4:5], off
	;; [unrolled: 1-line block ×7, first 2 shown]
	s_nop 0
	global_load_dword v16, v[16:17], off
	v_mov_b32_e32 v3, s40
	v_add_co_u32_e64 v2, s[34:35], s39, v18
	v_addc_co_u32_e64 v3, s[34:35], v3, v19, s[34:35]
	v_mov_b32_e32 v5, s40
	v_add_co_u32_e64 v4, s[34:35], s39, v20
	v_lshlrev_b32_e32 v40, 2, v40
	v_addc_co_u32_e64 v5, s[34:35], v5, v21, s[34:35]
	ds_bpermute_b32 v41, v40, v39
	v_mov_b32_e32 v7, s40
	v_add_co_u32_e64 v6, s[34:35], s39, v22
	v_addc_co_u32_e64 v7, s[34:35], v7, v23, s[34:35]
	v_mov_b32_e32 v9, s40
	v_add_co_u32_e64 v8, s[34:35], s39, v24
	v_addc_co_u32_e64 v9, s[34:35], v9, v25, s[34:35]
	;; [unrolled: 3-line block ×3, first 2 shown]
	s_waitcnt lgkmcnt(0)
	v_max_f32_e32 v17, v41, v41
	v_mov_b32_e32 v13, s40
	v_add_co_u32_e64 v12, s[34:35], s39, v28
	v_max_f32_e32 v17, v39, v17
	v_addc_co_u32_e64 v13, s[34:35], v13, v29, s[34:35]
	v_sub_f32_e32 v1, v1, v17
	v_mov_b32_e32 v15, s40
	v_add_co_u32_e64 v14, s[34:35], s39, v30
	s_mov_b32 s39, 0x3fb8aa3b
	v_mul_f32_e32 v18, 0x3fb8aa3b, v1
	v_addc_co_u32_e64 v15, s[34:35], v15, v31, s[34:35]
	v_fma_f32 v19, v1, s39, -v18
	v_rndne_f32_e32 v20, v18
	global_load_dword v2, v[2:3], off
	s_nop 0
	global_load_dword v3, v[4:5], off
	s_nop 0
	global_load_dword v4, v[6:7], off
	global_load_dword v5, v[8:9], off
	s_nop 0
	global_load_dword v6, v[10:11], off
	global_load_dword v7, v[12:13], off
	;; [unrolled: 1-line block ×3, first 2 shown]
	v_sub_f32_e32 v11, v48, v17
	v_fmac_f32_e32 v19, 0x32a5705f, v1
	v_sub_f32_e32 v18, v18, v20
	v_mul_f32_e32 v12, 0x3fb8aa3b, v11
	v_add_f32_e32 v18, v18, v19
	v_fma_f32 v13, v11, s39, -v12
	v_rndne_f32_e32 v14, v12
	v_exp_f32_e32 v18, v18
	v_cvt_i32_f32_e32 v19, v20
	v_fmac_f32_e32 v13, 0x32a5705f, v11
	v_sub_f32_e32 v12, v12, v14
	v_add_f32_e32 v12, v12, v13
	v_exp_f32_e32 v12, v12
	v_cvt_i32_f32_e32 v13, v14
	s_mov_b32 s40, 0xc2ce8ed0
	v_ldexp_f32 v9, v18, v19
	v_cmp_ngt_f32_e64 s[34:35], s40, v1
	s_mov_b32 s41, 0x42b17218
	v_cndmask_b32_e64 v9, 0, v9, s[34:35]
	v_mov_b32_e32 v10, 0x7f800000
	v_cmp_nlt_f32_e64 s[34:35], s41, v1
	v_cndmask_b32_e64 v1, v10, v9, s[34:35]
	v_ldexp_f32 v9, v12, v13
	v_sub_f32_e32 v12, v49, v17
	v_mul_f32_e32 v13, 0x3fb8aa3b, v12
	v_fma_f32 v14, v12, s39, -v13
	v_rndne_f32_e32 v15, v13
	v_fmac_f32_e32 v14, 0x32a5705f, v12
	v_sub_f32_e32 v13, v13, v15
	v_add_f32_e32 v13, v13, v14
	v_exp_f32_e32 v13, v13
	v_cvt_i32_f32_e32 v14, v15
	v_cndmask_b32_e64 v1, 0, v1, s[30:31]
	v_cmp_ngt_f32_e64 s[30:31], s40, v11
	v_cndmask_b32_e64 v9, 0, v9, s[30:31]
	v_cmp_nlt_f32_e64 s[30:31], s41, v11
	v_ldexp_f32 v11, v13, v14
	v_sub_f32_e32 v13, v50, v17
	v_mul_f32_e32 v14, 0x3fb8aa3b, v13
	v_fma_f32 v15, v13, s39, -v14
	v_rndne_f32_e32 v18, v14
	v_fmac_f32_e32 v15, 0x32a5705f, v13
	v_sub_f32_e32 v14, v14, v18
	v_add_f32_e32 v14, v14, v15
	v_exp_f32_e32 v14, v14
	v_cvt_i32_f32_e32 v15, v18
	v_cndmask_b32_e64 v9, v10, v9, s[30:31]
	v_cndmask_b32_e64 v9, 0, v9, s[28:29]
	v_cmp_ngt_f32_e64 s[28:29], s40, v12
	v_cndmask_b32_e64 v11, 0, v11, s[28:29]
	v_cmp_nlt_f32_e64 s[28:29], s41, v12
	v_ldexp_f32 v12, v14, v15
	v_sub_f32_e32 v14, v51, v17
	v_mul_f32_e32 v15, 0x3fb8aa3b, v14
	v_fma_f32 v18, v14, s39, -v15
	v_rndne_f32_e32 v19, v15
	v_fmac_f32_e32 v18, 0x32a5705f, v14
	v_sub_f32_e32 v15, v15, v19
	v_add_f32_e32 v15, v15, v18
	v_exp_f32_e32 v15, v15
	v_cvt_i32_f32_e32 v18, v19
	v_cndmask_b32_e64 v11, v10, v11, s[28:29]
	;; [unrolled: 15-line block ×5, first 2 shown]
	v_cndmask_b32_e64 v14, 0, v14, s[20:21]
	v_cmp_ngt_f32_e64 s[20:21], s40, v18
	v_cndmask_b32_e64 v15, 0, v15, s[20:21]
	v_cmp_nlt_f32_e64 s[20:21], s41, v18
	v_ldexp_f32 v18, v20, v21
	v_sub_f32_e32 v20, v32, v17
	v_mul_f32_e32 v21, 0x3fb8aa3b, v20
	v_fma_f32 v22, v20, s39, -v21
	v_rndne_f32_e32 v23, v21
	v_fmac_f32_e32 v22, 0x32a5705f, v20
	v_sub_f32_e32 v21, v21, v23
	v_cndmask_b32_e64 v15, v10, v15, s[20:21]
	v_add_f32_e32 v21, v21, v22
	v_cndmask_b32_e64 v15, 0, v15, s[18:19]
	v_cmp_ngt_f32_e64 s[18:19], s40, v19
	v_exp_f32_e32 v21, v21
	v_cvt_i32_f32_e32 v22, v23
	v_cndmask_b32_e64 v18, 0, v18, s[18:19]
	v_cmp_nlt_f32_e64 s[18:19], s41, v19
	v_cndmask_b32_e64 v18, v10, v18, s[18:19]
	v_cndmask_b32_e64 v18, 0, v18, s[16:17]
	v_sub_f32_e32 v19, v33, v17
	s_waitcnt vmcnt(7)
	v_mul_f32_e32 v16, v16, v18
	v_ldexp_f32 v18, v21, v22
	v_mul_f32_e32 v21, 0x3fb8aa3b, v19
	v_fma_f32 v22, v19, s39, -v21
	v_rndne_f32_e32 v23, v21
	v_fmac_f32_e32 v22, 0x32a5705f, v19
	v_sub_f32_e32 v21, v21, v23
	v_add_f32_e32 v21, v21, v22
	v_cmp_ngt_f32_e64 s[16:17], s40, v20
	v_exp_f32_e32 v21, v21
	v_cvt_i32_f32_e32 v22, v23
	v_cndmask_b32_e64 v18, 0, v18, s[16:17]
	v_cmp_nlt_f32_e64 s[16:17], s41, v20
	v_cndmask_b32_e64 v18, v10, v18, s[16:17]
	v_cndmask_b32_e64 v18, 0, v18, s[14:15]
	v_sub_f32_e32 v20, v34, v17
	s_waitcnt vmcnt(6)
	v_mul_f32_e32 v2, v2, v18
	v_ldexp_f32 v18, v21, v22
	v_mul_f32_e32 v21, 0x3fb8aa3b, v20
	v_fma_f32 v22, v20, s39, -v21
	v_rndne_f32_e32 v23, v21
	v_fmac_f32_e32 v22, 0x32a5705f, v20
	v_sub_f32_e32 v21, v21, v23
	v_add_f32_e32 v21, v21, v22
	;; [unrolled: 17-line block ×4, first 2 shown]
	v_exp_f32_e32 v21, v21
	v_cvt_i32_f32_e32 v22, v23
	v_cmp_ngt_f32_e64 s[10:11], s40, v19
	v_cndmask_b32_e64 v18, 0, v18, s[10:11]
	v_cmp_nlt_f32_e64 s[10:11], s41, v19
	v_ldexp_f32 v19, v21, v22
	v_sub_f32_e32 v21, v37, v17
	v_mul_f32_e32 v22, 0x3fb8aa3b, v21
	v_fma_f32 v23, v21, s39, -v22
	v_rndne_f32_e32 v24, v22
	v_fmac_f32_e32 v23, 0x32a5705f, v21
	v_sub_f32_e32 v22, v22, v24
	v_add_f32_e32 v22, v22, v23
	v_exp_f32_e32 v22, v22
	v_cvt_i32_f32_e32 v23, v24
	v_cndmask_b32_e64 v18, v10, v18, s[10:11]
	v_cndmask_b32_e64 v18, 0, v18, s[8:9]
	v_cmp_ngt_f32_e64 s[8:9], s40, v20
	v_sub_f32_e32 v17, v38, v17
	v_cndmask_b32_e64 v19, 0, v19, s[8:9]
	v_cmp_nlt_f32_e64 s[8:9], s41, v20
	v_ldexp_f32 v20, v22, v23
	v_mul_f32_e32 v22, 0x3fb8aa3b, v17
	v_fma_f32 v23, v17, s39, -v22
	v_rndne_f32_e32 v24, v22
	v_fmac_f32_e32 v23, 0x32a5705f, v17
	v_sub_f32_e32 v22, v22, v24
	v_add_f32_e32 v22, v22, v23
	v_cndmask_b32_e64 v19, v10, v19, s[8:9]
	v_exp_f32_e32 v22, v22
	v_cvt_i32_f32_e32 v23, v24
	v_cndmask_b32_e64 v19, 0, v19, s[2:3]
	v_cmp_ngt_f32_e64 s[2:3], s40, v21
	v_cndmask_b32_e64 v20, 0, v20, s[2:3]
	v_cmp_nlt_f32_e64 s[2:3], s41, v21
	v_cndmask_b32_e64 v20, v10, v20, s[2:3]
	v_mul_f32_e32 v1, v54, v1
	v_mul_f32_e32 v9, v55, v9
	v_cndmask_b32_e64 v20, 0, v20, s[0:1]
	v_ldexp_f32 v21, v22, v23
	v_cmp_ngt_f32_e64 s[0:1], s40, v17
	v_mul_f32_e32 v11, v56, v11
	v_cndmask_b32_e64 v21, 0, v21, s[0:1]
	v_cmp_nlt_f32_e64 s[0:1], s41, v17
	v_add_f32_e32 v17, v1, v9
	v_mul_f32_e32 v12, v57, v12
	v_add_f32_e32 v17, v17, v11
	v_mul_f32_e32 v13, v58, v13
	;; [unrolled: 2-line block ×4, first 2 shown]
	v_add_f32_e32 v17, v17, v14
	v_add_f32_e32 v17, v17, v15
	;; [unrolled: 1-line block ×6, first 2 shown]
	s_waitcnt vmcnt(3)
	v_fmac_f32_e32 v17, v5, v18
	v_cndmask_b32_e64 v10, v10, v21, s[0:1]
	s_waitcnt vmcnt(2)
	v_fmac_f32_e32 v17, v6, v19
	v_cndmask_b32_e32 v10, 0, v10, vcc
	s_waitcnt vmcnt(1)
	v_fmac_f32_e32 v17, v7, v20
	s_waitcnt vmcnt(0)
	v_fmac_f32_e32 v17, v8, v10
	ds_bpermute_b32 v21, v42, v17
	v_mul_f32_e32 v5, v5, v18
	v_mul_f32_e32 v8, v8, v10
	v_lshlrev_b32_e32 v10, 2, v0
	ds_write2st64_b32 v10, v1, v9 offset1:1
	s_waitcnt lgkmcnt(1)
	v_add_f32_e32 v17, v17, v21
	ds_bpermute_b32 v21, v43, v17
	ds_write2st64_b32 v10, v11, v12 offset0:2 offset1:3
	ds_write2st64_b32 v10, v13, v14 offset0:4 offset1:5
	;; [unrolled: 1-line block ×4, first 2 shown]
	v_cmp_eq_u32_e32 vcc, 0, v0
	v_mul_f32_e32 v6, v6, v19
	v_mul_f32_e32 v7, v7, v20
	s_waitcnt lgkmcnt(4)
	v_add_f32_e32 v17, v17, v21
	ds_bpermute_b32 v21, v44, v17
	ds_write2st64_b32 v10, v4, v5 offset0:10 offset1:11
	ds_write2st64_b32 v10, v6, v7 offset0:12 offset1:13
	ds_write_b32 v10, v8 offset:3584
	s_waitcnt lgkmcnt(3)
	v_add_f32_e32 v17, v17, v21
	ds_bpermute_b32 v18, v45, v17
	s_waitcnt lgkmcnt(0)
	v_add_f32_e32 v1, v17, v18
	ds_bpermute_b32 v9, v47, v1
	;; [unrolled: 3-line block ×3, first 2 shown]
	s_and_saveexec_b64 s[0:1], vcc
	s_cbranch_execz .LBB322_8
; %bb.7:
	s_waitcnt lgkmcnt(0)
	v_add_f32_e32 v1, v1, v2
	v_mov_b32_e32 v2, 0
	ds_write_b32 v2, v1 offset:3840
.LBB322_8:
	s_or_b64 exec, exec, s[0:1]
	v_mov_b32_e32 v1, s38
.LBB322_9:
	s_or_b64 exec, exec, s[52:53]
	s_lshl_b32 s0, s54, 7
	s_mov_b32 s1, 0
	s_lshl_b64 s[0:1], s[0:1], 1
	s_add_u32 s0, s36, s0
	s_addc_u32 s1, s37, s1
	s_lshl_b32 s10, s33, 7
	s_waitcnt lgkmcnt(0)
	v_lshlrev_b32_e32 v2, 7, v1
	v_mov_b32_e32 v3, 0
	s_add_i32 s11, s10, 0xffffff80
	v_lshlrev_b64 v[4:5], 1, v[2:3]
	s_cmp_lt_i32 s58, 1
	v_mov_b32_e32 v1, s1
	v_add_co_u32_e32 v2, vcc, s0, v4
	s_cselect_b32 s0, s11, 0
	v_addc_co_u32_e32 v1, vcc, v1, v5, vcc
	v_lshlrev_b32_e32 v116, 1, v0
	s_ashr_i32 s1, s0, 31
	v_add_co_u32_e32 v117, vcc, v2, v116
	s_lshl_b64 s[0:1], s[0:1], 1
	v_addc_co_u32_e32 v118, vcc, 0, v1, vcc
	s_cmpk_lt_i32 s58, 0x101
	v_add_co_u32_e32 v0, vcc, s0, v117
	s_cselect_b32 s0, s11, 0x80
	v_mov_b32_e32 v1, s1
	s_ashr_i32 s1, s0, 31
	s_lshl_b64 s[0:1], s[0:1], 1
	v_addc_co_u32_e32 v1, vcc, v118, v1, vcc
	s_cmpk_lt_i32 s58, 0x201
	v_add_co_u32_e32 v4, vcc, s0, v117
	s_cselect_b32 s0, s11, 0x100
	v_mov_b32_e32 v2, s1
	s_ashr_i32 s1, s0, 31
	;; [unrolled: 7-line block ×8, first 2 shown]
	s_lshl_b64 s[0:1], s[0:1], 1
	v_addc_co_u32_e32 v17, vcc, v118, v2, vcc
	s_cmpk_lt_i32 s58, 0x901
	global_load_ushort v40, v[0:1], off
	global_load_ushort v39, v[4:5], off
	;; [unrolled: 1-line block ×8, first 2 shown]
	v_add_co_u32_e32 v0, vcc, s0, v117
	s_cselect_b32 s0, s11, 0x480
	v_mov_b32_e32 v1, s1
	s_ashr_i32 s1, s0, 31
	s_lshl_b64 s[0:1], s[0:1], 1
	v_addc_co_u32_e32 v1, vcc, v118, v1, vcc
	s_cmpk_lt_i32 s58, 0xa01
	v_add_co_u32_e32 v4, vcc, s0, v117
	s_cselect_b32 s0, s11, 0x500
	v_mov_b32_e32 v5, s1
	s_ashr_i32 s1, s0, 31
	s_lshl_b64 s[0:1], s[0:1], 1
	v_addc_co_u32_e32 v5, vcc, v118, v5, vcc
	s_cmpk_lt_i32 s58, 0xb01
	v_add_co_u32_e32 v6, vcc, s0, v117
	s_cselect_b32 s0, s11, 0x580
	v_mov_b32_e32 v7, s1
	s_ashr_i32 s1, s0, 31
	s_lshl_b64 s[0:1], s[0:1], 1
	v_addc_co_u32_e32 v7, vcc, v118, v7, vcc
	s_cmpk_lt_i32 s58, 0xc01
	v_add_co_u32_e32 v8, vcc, s0, v117
	s_cselect_b32 s0, s11, 0x600
	v_mov_b32_e32 v9, s1
	s_ashr_i32 s1, s0, 31
	s_lshl_b64 s[0:1], s[0:1], 1
	v_addc_co_u32_e32 v9, vcc, v118, v9, vcc
	s_cmpk_lt_i32 s58, 0xd01
	v_add_co_u32_e32 v10, vcc, s0, v117
	s_cselect_b32 s0, s11, 0x680
	v_mov_b32_e32 v11, s1
	s_ashr_i32 s1, s0, 31
	s_lshl_b64 s[0:1], s[0:1], 1
	v_addc_co_u32_e32 v11, vcc, v118, v11, vcc
	s_cmpk_lt_i32 s58, 0xe01
	v_add_co_u32_e32 v12, vcc, s0, v117
	s_cselect_b32 s0, s11, 0x700
	v_mov_b32_e32 v13, s1
	s_ashr_i32 s1, s0, 31
	s_lshl_b64 s[0:1], s[0:1], 1
	v_addc_co_u32_e32 v13, vcc, v118, v13, vcc
	s_cmpk_lt_i32 s58, 0xf01
	v_add_co_u32_e32 v14, vcc, s0, v117
	s_cselect_b32 s0, s11, 0x780
	v_mov_b32_e32 v15, s1
	s_ashr_i32 s1, s0, 31
	v_addc_co_u32_e32 v15, vcc, v118, v15, vcc
	s_lshl_b64 s[0:1], s[0:1], 1
	v_mov_b32_e32 v17, s1
	v_add_co_u32_e32 v16, vcc, s0, v117
	v_addc_co_u32_e32 v17, vcc, v118, v17, vcc
	global_load_ushort v47, v[0:1], off
	global_load_ushort v48, v[4:5], off
	;; [unrolled: 1-line block ×8, first 2 shown]
	s_cmpk_gt_i32 s58, 0x1000
	s_cselect_b64 s[8:9], -1, 0
	s_cmpk_lt_i32 s58, 0x1001
	v_mov_b32_e32 v57, 0
	v_mov_b32_e32 v58, 0
	;; [unrolled: 1-line block ×48, first 2 shown]
	s_barrier
	s_cbranch_scc1 .LBB322_12
; %bb.10:
	s_cmpk_lt_u32 s58, 0x1101
	s_cselect_b32 s0, s11, 0x880
	s_ashr_i32 s1, s0, 31
	v_add_co_u32_e32 v0, vcc, 0x1000, v117
	s_lshl_b64 s[0:1], s[0:1], 1
	v_addc_co_u32_e32 v1, vcc, 0, v118, vcc
	s_cmpk_lt_u32 s58, 0x1201
	v_add_co_u32_e32 v4, vcc, s0, v117
	s_cselect_b32 s0, s11, 0x900
	v_mov_b32_e32 v5, s1
	s_ashr_i32 s1, s0, 31
	s_lshl_b64 s[0:1], s[0:1], 1
	v_addc_co_u32_e32 v5, vcc, v118, v5, vcc
	s_cmpk_lt_u32 s58, 0x1301
	v_add_co_u32_e32 v6, vcc, s0, v117
	s_cselect_b32 s0, s11, 0x980
	v_mov_b32_e32 v7, s1
	s_ashr_i32 s1, s0, 31
	;; [unrolled: 7-line block ×7, first 2 shown]
	s_lshl_b64 s[0:1], s[0:1], 1
	v_addc_co_u32_e32 v17, vcc, v118, v17, vcc
	s_cmpk_lt_u32 s58, 0x1901
	global_load_ushort v56, v[0:1], off
	global_load_ushort v55, v[4:5], off
	;; [unrolled: 1-line block ×8, first 2 shown]
	v_add_co_u32_e32 v0, vcc, s0, v117
	s_cselect_b32 s0, s11, 0xc80
	v_mov_b32_e32 v1, s1
	s_ashr_i32 s1, s0, 31
	s_lshl_b64 s[0:1], s[0:1], 1
	v_addc_co_u32_e32 v1, vcc, v118, v1, vcc
	s_cmpk_lt_u32 s58, 0x1a01
	v_add_co_u32_e32 v4, vcc, s0, v117
	s_cselect_b32 s0, s11, 0xd00
	v_mov_b32_e32 v5, s1
	s_ashr_i32 s1, s0, 31
	s_lshl_b64 s[0:1], s[0:1], 1
	v_addc_co_u32_e32 v5, vcc, v118, v5, vcc
	s_cmpk_lt_u32 s58, 0x1b01
	;; [unrolled: 7-line block ×6, first 2 shown]
	v_add_co_u32_e32 v14, vcc, s0, v117
	s_cselect_b32 s0, s11, 0xf80
	v_mov_b32_e32 v15, s1
	s_ashr_i32 s1, s0, 31
	v_addc_co_u32_e32 v15, vcc, v118, v15, vcc
	s_lshl_b64 s[0:1], s[0:1], 1
	v_mov_b32_e32 v17, s1
	v_add_co_u32_e32 v16, vcc, s0, v117
	v_addc_co_u32_e32 v17, vcc, v118, v17, vcc
	global_load_ushort v64, v[0:1], off
	global_load_ushort v63, v[4:5], off
	;; [unrolled: 1-line block ×8, first 2 shown]
	s_cmpk_lt_u32 s58, 0x2001
	v_mov_b32_e32 v33, 0
	v_mov_b32_e32 v31, 0
	;; [unrolled: 1-line block ×32, first 2 shown]
	s_cbranch_scc1 .LBB322_12
; %bb.11:
	s_cmpk_lt_u32 s58, 0x2101
	s_cselect_b32 s0, s11, 0x1080
	s_ashr_i32 s1, s0, 31
	s_lshl_b64 s[0:1], s[0:1], 1
	s_cmpk_lt_u32 s58, 0x2201
	v_add_co_u32_e32 v0, vcc, s0, v117
	s_cselect_b32 s0, s11, 0x1100
	v_mov_b32_e32 v1, s1
	s_ashr_i32 s1, s0, 31
	s_lshl_b64 s[0:1], s[0:1], 1
	v_addc_co_u32_e32 v1, vcc, v118, v1, vcc
	s_cmpk_lt_u32 s58, 0x2301
	v_add_co_u32_e32 v4, vcc, s0, v117
	s_cselect_b32 s0, s11, 0x1180
	v_mov_b32_e32 v5, s1
	s_ashr_i32 s1, s0, 31
	s_lshl_b64 s[0:1], s[0:1], 1
	v_addc_co_u32_e32 v5, vcc, v118, v5, vcc
	;; [unrolled: 7-line block ×30, first 2 shown]
	v_mov_b32_e32 v65, s1
	s_movk_i32 s1, 0x2000
	v_add_co_u32_e32 v94, vcc, s1, v117
	v_addc_co_u32_e32 v95, vcc, 0, v118, vcc
	global_load_ushort v96, v[94:95], off
	global_load_ushort v97, v[0:1], off
	;; [unrolled: 1-line block ×15, first 2 shown]
                                        ; kill: killed $vgpr30 killed $vgpr31
                                        ; kill: killed $vgpr8 killed $vgpr9
                                        ; kill: killed $vgpr14 killed $vgpr15
                                        ; kill: killed $vgpr20 killed $vgpr21
                                        ; kill: killed $vgpr4 killed $vgpr5
                                        ; kill: killed $vgpr32 killed $vgpr33
                                        ; kill: killed $vgpr94 killed $vgpr95
                                        ; kill: killed $vgpr10 killed $vgpr11
                                        ; kill: killed $vgpr16 killed $vgpr17
                                        ; kill: killed $vgpr24 killed $vgpr25
                                        ; kill: killed $vgpr6 killed $vgpr7
                                        ; kill: killed $vgpr66 killed $vgpr67
                                        ; kill: killed $vgpr12 killed $vgpr13
                                        ; kill: killed $vgpr18 killed $vgpr19
                                        ; kill: killed $vgpr0 killed $vgpr1
	global_load_ushort v4, v[22:23], off
	global_load_ushort v5, v[26:27], off
	;; [unrolled: 1-line block ×15, first 2 shown]
                                        ; kill: killed $vgpr88 killed $vgpr89
                                        ; kill: killed $vgpr72 killed $vgpr73
                                        ; kill: killed $vgpr78 killed $vgpr79
                                        ; kill: killed $vgpr22 killed $vgpr23
                                        ; kill: killed $vgpr68 killed $vgpr69
                                        ; kill: killed $vgpr90 killed $vgpr91
                                        ; kill: killed $vgpr74 killed $vgpr75
                                        ; kill: killed $vgpr80 killed $vgpr81
                                        ; kill: killed $vgpr26 killed $vgpr27
                                        ; kill: killed $vgpr86 killed $vgpr87
                                        ; kill: killed $vgpr70 killed $vgpr71
                                        ; kill: killed $vgpr92 killed $vgpr93
                                        ; kill: killed $vgpr76 killed $vgpr77
                                        ; kill: killed $vgpr82 killed $vgpr83
                                        ; kill: killed $vgpr28 killed $vgpr29
	global_load_ushort v68, v[84:85], off
	v_add_co_u32_e32 v0, vcc, s0, v117
	v_addc_co_u32_e32 v1, vcc, v118, v65, vcc
	global_load_ushort v1, v[0:1], off
	s_waitcnt vmcnt(31)
	v_lshlrev_b32_e32 v33, 16, v96
	s_waitcnt vmcnt(30)
	v_lshlrev_b32_e32 v31, 16, v97
	;; [unrolled: 2-line block ×32, first 2 shown]
.LBB322_12:
	s_load_dwordx2 s[0:1], s[4:5], 0x0
	s_load_dwordx2 s[2:3], s[4:5], 0x38
	ds_read_b128 v[66:69], v3
	s_waitcnt vmcnt(15)
	v_lshlrev_b32_e32 v40, 16, v40
	s_waitcnt vmcnt(14)
	v_lshlrev_b32_e32 v39, 16, v39
	ds_read_b128 v[70:73], v3 offset:16
	ds_read_b128 v[74:77], v3 offset:32
	;; [unrolled: 1-line block ×3, first 2 shown]
	s_waitcnt vmcnt(13)
	v_lshlrev_b32_e32 v38, 16, v38
	s_waitcnt lgkmcnt(0)
	v_fma_f32 v40, v66, v40, 0
	v_fmac_f32_e32 v40, v67, v39
	v_fmac_f32_e32 v40, v68, v38
	s_waitcnt vmcnt(12)
	v_lshlrev_b32_e32 v37, 16, v37
	v_fmac_f32_e32 v40, v69, v37
	s_waitcnt vmcnt(10)
	v_lshlrev_b32_e32 v37, 16, v36
	v_lshlrev_b32_e32 v36, 16, v35
	v_pk_mul_f32 v[36:37], v[70:71], v[36:37]
	v_add_f32_e32 v35, v40, v36
	v_add_f32_e32 v36, v35, v37
	s_waitcnt vmcnt(8)
	v_lshlrev_b32_e32 v35, 16, v34
	v_lshlrev_b32_e32 v34, 16, v2
	v_pk_mul_f32 v[34:35], v[72:73], v[34:35]
	v_add_f32_e32 v2, v36, v34
	v_add_f32_e32 v2, v2, v35
	;; [unrolled: 6-line block ×6, first 2 shown]
	s_and_b64 vcc, exec, s[8:9]
	s_cbranch_vccz .LBB322_15
; %bb.13:
	ds_read_b128 v[34:37], v3 offset:64
	v_lshlrev_b32_e32 v2, 16, v56
	ds_read_b128 v[38:41], v3 offset:80
	ds_read_b128 v[42:45], v3 offset:96
	;; [unrolled: 1-line block ×3, first 2 shown]
	s_cmpk_lt_u32 s58, 0x2001
	s_waitcnt lgkmcnt(3)
	v_fmac_f32_e32 v119, v34, v2
	v_lshlrev_b32_e32 v2, 16, v55
	v_fmac_f32_e32 v119, v35, v2
	v_lshlrev_b32_e32 v2, 16, v54
	v_fmac_f32_e32 v119, v36, v2
	v_lshlrev_b32_e32 v2, 16, v53
	v_fmac_f32_e32 v119, v37, v2
	v_lshlrev_b32_e32 v2, 16, v52
	s_waitcnt lgkmcnt(2)
	v_fmac_f32_e32 v119, v38, v2
	v_lshlrev_b32_e32 v2, 16, v51
	v_fmac_f32_e32 v119, v39, v2
	v_lshlrev_b32_e32 v2, 16, v50
	v_fmac_f32_e32 v119, v40, v2
	v_lshlrev_b32_e32 v2, 16, v49
	v_fmac_f32_e32 v119, v41, v2
	v_lshlrev_b32_e32 v2, 16, v64
	;; [unrolled: 9-line block ×3, first 2 shown]
	s_waitcnt lgkmcnt(0)
	v_fmac_f32_e32 v119, v66, v2
	v_lshlrev_b32_e32 v2, 16, v59
	v_fmac_f32_e32 v119, v67, v2
	v_lshlrev_b32_e32 v2, 16, v58
	;; [unrolled: 2-line block ×3, first 2 shown]
	v_fmac_f32_e32 v119, v69, v2
	s_cbranch_scc1 .LBB322_15
; %bb.14:
	v_mov_b32_e32 v50, 0
	ds_read_b128 v[34:37], v50 offset:128
	ds_read_b128 v[38:41], v50 offset:144
	;; [unrolled: 1-line block ×4, first 2 shown]
	s_waitcnt lgkmcnt(3)
	v_fmac_f32_e32 v119, v34, v33
	v_fmac_f32_e32 v119, v35, v31
	v_fmac_f32_e32 v119, v36, v32
	v_fmac_f32_e32 v119, v37, v29
	s_waitcnt lgkmcnt(2)
	v_fmac_f32_e32 v119, v38, v30
	v_fmac_f32_e32 v119, v39, v27
	v_fmac_f32_e32 v119, v40, v28
	v_fmac_f32_e32 v119, v41, v25
	;; [unrolled: 5-line block ×3, first 2 shown]
	s_waitcnt lgkmcnt(0)
	v_fmac_f32_e32 v119, v46, v22
	ds_read_b128 v[22:25], v50 offset:192
	v_fmac_f32_e32 v119, v47, v19
	v_fmac_f32_e32 v119, v48, v20
	;; [unrolled: 1-line block ×3, first 2 shown]
	ds_read_b128 v[18:21], v50 offset:208
	s_waitcnt lgkmcnt(1)
	v_fmac_f32_e32 v119, v22, v17
	v_fmac_f32_e32 v119, v23, v15
	;; [unrolled: 1-line block ×4, first 2 shown]
	s_waitcnt lgkmcnt(0)
	v_pk_mul_f32 v[2:3], v[18:19], v[12:13]
	ds_read_b128 v[12:15], v50 offset:224
	v_add_f32_e32 v2, v119, v2
	v_add_f32_e32 v16, v2, v3
	v_pk_mul_f32 v[2:3], v[20:21], v[10:11]
	v_add_f32_e32 v2, v16, v2
	ds_read_b128 v[16:19], v50 offset:240
	v_add_f32_e32 v10, v2, v3
	s_waitcnt lgkmcnt(1)
	v_pk_mul_f32 v[2:3], v[12:13], v[8:9]
	v_add_f32_e32 v2, v10, v2
	v_add_f32_e32 v8, v2, v3
	v_pk_mul_f32 v[2:3], v[14:15], v[6:7]
	v_add_f32_e32 v2, v8, v2
	v_add_f32_e32 v6, v2, v3
	s_waitcnt lgkmcnt(0)
	v_pk_mul_f32 v[2:3], v[16:17], v[4:5]
	v_add_f32_e32 v2, v6, v2
	v_add_f32_e32 v2, v2, v3
	v_pk_mul_f32 v[0:1], v[18:19], v[0:1]
	v_add_f32_e32 v0, v2, v0
	v_add_f32_e32 v119, v0, v1
.LBB322_15:
	s_movk_i32 s4, 0x3f80
	s_movk_i32 s5, 0x100
	s_mov_b32 s8, 64
	s_branch .LBB322_17
.LBB322_16:                             ;   in Loop: Header=BB322_17 Depth=1
	s_addk_i32 s4, 0x2000
	s_addk_i32 s5, 0x100
	s_add_i32 s8, s8, 64
	s_cmp_eq_u32 s4, 0x1ff80
	s_cbranch_scc1 .LBB322_19
.LBB322_17:                             ; =>This Inner Loop Header: Depth=1
	s_cmp_le_i32 s33, s8
	s_cbranch_scc1 .LBB322_16
; %bb.18:                               ;   in Loop: Header=BB322_17 Depth=1
	s_add_i32 s9, s4, 0xffffe080
	s_cmp_lt_i32 s9, s10
	s_cselect_b32 s12, s9, s11
	s_ashr_i32 s13, s12, 31
	s_lshl_b64 s[12:13], s[12:13], 1
	s_add_i32 s9, s4, 0xffffe100
	s_cmp_lt_i32 s9, s10
	v_add_co_u32_e32 v2, vcc, s12, v117
	s_cselect_b32 s12, s9, s11
	v_mov_b32_e32 v0, s13
	s_ashr_i32 s13, s12, 31
	s_lshl_b64 s[12:13], s[12:13], 1
	s_add_i32 s9, s4, 0xffffe180
	v_addc_co_u32_e32 v3, vcc, v118, v0, vcc
	s_cmp_lt_i32 s9, s10
	v_add_co_u32_e32 v0, vcc, s12, v117
	s_cselect_b32 s12, s9, s11
	v_mov_b32_e32 v1, s13
	s_ashr_i32 s13, s12, 31
	s_lshl_b64 s[12:13], s[12:13], 1
	s_add_i32 s9, s4, 0xffffe200
	v_addc_co_u32_e32 v1, vcc, v118, v1, vcc
	;; [unrolled: 8-line block ×21, first 2 shown]
	s_cmp_lt_i32 s9, s10
	global_load_ushort v120, v[2:3], off
	global_load_ushort v122, v[4:5], off
	global_load_ushort v123, v[6:7], off
	global_load_ushort v124, v[8:9], off
	v_add_co_u32_e32 v42, vcc, s12, v117
	s_cselect_b32 s12, s9, s11
	v_mov_b32_e32 v43, s13
	s_ashr_i32 s13, s12, 31
	s_lshl_b64 s[12:13], s[12:13], 1
	s_add_i32 s9, s4, 0xffffec00
	v_addc_co_u32_e32 v43, vcc, v118, v43, vcc
	s_cmp_lt_i32 s9, s10
	v_add_co_u32_e32 v44, vcc, s12, v117
	s_cselect_b32 s12, s9, s11
	v_mov_b32_e32 v45, s13
	s_ashr_i32 s13, s12, 31
	s_lshl_b64 s[12:13], s[12:13], 1
	s_add_i32 s9, s4, 0xffffec80
	v_addc_co_u32_e32 v45, vcc, v118, v45, vcc
	s_cmp_lt_i32 s9, s10
	;; [unrolled: 8-line block ×8, first 2 shown]
	global_load_ushort v121, v[0:1], off
	v_add_co_u32_e32 v58, vcc, s12, v117
	s_cselect_b32 s12, s9, s11
	v_mov_b32_e32 v59, s13
	s_ashr_i32 s13, s12, 31
	s_lshl_b64 s[12:13], s[12:13], 1
	s_add_i32 s9, s4, 0xfffff000
	v_addc_co_u32_e32 v59, vcc, v118, v59, vcc
	s_cmp_lt_i32 s9, s10
	v_add_co_u32_e32 v60, vcc, s12, v117
	s_cselect_b32 s12, s9, s11
	global_load_ushort v125, v[10:11], off
	global_load_ushort v126, v[12:13], off
	v_mov_b32_e32 v61, s13
	s_ashr_i32 s13, s12, 31
	global_load_ushort v127, v[14:15], off
	global_load_ushort v128, v[16:17], off
	;; [unrolled: 1-line block ×3, first 2 shown]
	s_lshl_b64 s[12:13], s[12:13], 1
	s_add_i32 s9, s4, 0xfffff080
	v_addc_co_u32_e32 v61, vcc, v118, v61, vcc
	s_cmp_lt_i32 s9, s10
	v_add_co_u32_e32 v62, vcc, s12, v117
	s_cselect_b32 s12, s9, s11
	v_mov_b32_e32 v63, s13
	s_ashr_i32 s13, s12, 31
	s_lshl_b64 s[12:13], s[12:13], 1
	s_add_i32 s9, s4, 0xfffff100
	v_addc_co_u32_e32 v63, vcc, v118, v63, vcc
	s_cmp_lt_i32 s9, s10
	v_add_co_u32_e32 v64, vcc, s12, v117
	s_cselect_b32 s12, s9, s11
	v_mov_b32_e32 v65, s13
	s_ashr_i32 s13, s12, 31
	global_load_ushort v130, v[20:21], off
	global_load_ushort v131, v[22:23], off
	s_lshl_b64 s[12:13], s[12:13], 1
	s_add_i32 s9, s4, 0xfffff180
	v_addc_co_u32_e32 v65, vcc, v118, v65, vcc
	s_cmp_lt_i32 s9, s10
	global_load_ushort v132, v[24:25], off
	global_load_ushort v133, v[26:27], off
	v_add_co_u32_e32 v66, vcc, s12, v117
	s_cselect_b32 s12, s9, s11
	v_mov_b32_e32 v67, s13
	s_ashr_i32 s13, s12, 31
	s_lshl_b64 s[12:13], s[12:13], 1
	s_add_i32 s9, s4, 0xfffff200
	v_addc_co_u32_e32 v67, vcc, v118, v67, vcc
	s_cmp_lt_i32 s9, s10
	v_add_co_u32_e32 v68, vcc, s12, v117
	s_cselect_b32 s12, s9, s11
	v_mov_b32_e32 v69, s13
	s_ashr_i32 s13, s12, 31
	global_load_ushort v134, v[28:29], off
	global_load_ushort v135, v[30:31], off
	s_lshl_b64 s[12:13], s[12:13], 1
	s_add_i32 s9, s4, 0xfffff280
	v_addc_co_u32_e32 v69, vcc, v118, v69, vcc
	s_cmp_lt_i32 s9, s10
	v_add_co_u32_e32 v70, vcc, s12, v117
	s_cselect_b32 s12, s9, s11
	v_mov_b32_e32 v71, s13
	s_ashr_i32 s13, s12, 31
	s_lshl_b64 s[12:13], s[12:13], 1
	s_add_i32 s9, s4, 0xfffff300
	global_load_ushort v28, v[32:33], off
	global_load_ushort v29, v[34:35], off
	;; [unrolled: 1-line block ×4, first 2 shown]
	v_addc_co_u32_e32 v71, vcc, v118, v71, vcc
	s_cmp_lt_i32 s9, s10
	v_add_co_u32_e32 v72, vcc, s12, v117
	s_cselect_b32 s12, s9, s11
	v_mov_b32_e32 v73, s13
	s_ashr_i32 s13, s12, 31
	s_lshl_b64 s[12:13], s[12:13], 1
	s_add_i32 s9, s4, 0xfffff380
	v_addc_co_u32_e32 v73, vcc, v118, v73, vcc
	s_cmp_lt_i32 s9, s10
	v_add_co_u32_e32 v74, vcc, s12, v117
	s_cselect_b32 s12, s9, s11
	v_mov_b32_e32 v75, s13
	s_ashr_i32 s13, s12, 31
	s_lshl_b64 s[12:13], s[12:13], 1
	s_add_i32 s9, s4, 0xfffff400
	v_addc_co_u32_e32 v75, vcc, v118, v75, vcc
	s_cmp_lt_i32 s9, s10
	v_add_co_u32_e32 v76, vcc, s12, v117
	s_cselect_b32 s12, s9, s11
	global_load_ushort v32, v[40:41], off
	global_load_ushort v33, v[42:43], off
	v_mov_b32_e32 v77, s13
	s_ashr_i32 s13, s12, 31
	s_lshl_b64 s[12:13], s[12:13], 1
	s_add_i32 s9, s4, 0xfffff480
	v_addc_co_u32_e32 v77, vcc, v118, v77, vcc
	s_cmp_lt_i32 s9, s10
	v_add_co_u32_e32 v78, vcc, s12, v117
	s_cselect_b32 s12, s9, s11
	v_mov_b32_e32 v79, s13
	s_ashr_i32 s13, s12, 31
	global_load_ushort v36, v[44:45], off
	s_lshl_b64 s[12:13], s[12:13], 1
	s_add_i32 s9, s4, 0xfffff500
	v_mov_b32_e32 v35, s5
	v_addc_co_u32_e32 v79, vcc, v118, v79, vcc
	s_cmp_lt_i32 s9, s10
	ds_read_b128 v[12:15], v35
	ds_read_b128 v[16:19], v35 offset:16
	global_load_ushort v37, v[46:47], off
	v_add_co_u32_e32 v80, vcc, s12, v117
	s_cselect_b32 s12, s9, s11
	v_mov_b32_e32 v81, s13
	s_ashr_i32 s13, s12, 31
	s_lshl_b64 s[12:13], s[12:13], 1
	s_add_i32 s9, s4, 0xfffff580
	v_addc_co_u32_e32 v81, vcc, v118, v81, vcc
	s_cmp_lt_i32 s9, s10
	s_waitcnt vmcnt(23)
	v_lshlrev_b32_e32 v34, 16, v120
	v_add_co_u32_e32 v82, vcc, s12, v117
	s_cselect_b32 s12, s9, s11
	ds_read_b128 v[20:23], v35 offset:32
	ds_read_b128 v[24:27], v35 offset:48
	s_waitcnt lgkmcnt(3)
	v_fmac_f32_e32 v119, v12, v34
	global_load_ushort v34, v[48:49], off
	global_load_ushort v38, v[50:51], off
	;; [unrolled: 1-line block ×6, first 2 shown]
	v_mov_b32_e32 v83, s13
	s_ashr_i32 s13, s12, 31
	s_lshl_b64 s[12:13], s[12:13], 1
	s_add_i32 s9, s4, 0xfffff600
	v_addc_co_u32_e32 v83, vcc, v118, v83, vcc
	s_cmp_lt_i32 s9, s10
	v_add_co_u32_e32 v84, vcc, s12, v117
	s_cselect_b32 s12, s9, s11
	v_mov_b32_e32 v85, s13
	s_ashr_i32 s13, s12, 31
	s_lshl_b64 s[12:13], s[12:13], 1
	s_add_i32 s9, s4, 0xfffff680
	v_addc_co_u32_e32 v85, vcc, v118, v85, vcc
	s_cmp_lt_i32 s9, s10
	v_add_co_u32_e32 v86, vcc, s12, v117
	s_cselect_b32 s12, s9, s11
	;; [unrolled: 8-line block ×7, first 2 shown]
	v_mov_b32_e32 v97, s13
	s_ashr_i32 s13, s12, 31
	s_lshl_b64 s[12:13], s[12:13], 1
	s_add_i32 s9, s4, 0xfffff980
	v_addc_co_u32_e32 v97, vcc, v118, v97, vcc
	s_cmp_lt_i32 s9, s10
	s_waitcnt vmcnt(25)
	v_lshlrev_b32_e32 v12, 16, v121
	v_add_co_u32_e32 v98, vcc, s12, v117
	s_cselect_b32 s12, s9, s11
	v_fmac_f32_e32 v119, v13, v12
	v_lshlrev_b32_e32 v12, 16, v122
	v_mov_b32_e32 v99, s13
	s_ashr_i32 s13, s12, 31
	v_fmac_f32_e32 v119, v14, v12
	v_lshlrev_b32_e32 v12, 16, v123
	s_lshl_b64 s[12:13], s[12:13], 1
	s_add_i32 s9, s4, 0xfffffa00
	v_fmac_f32_e32 v119, v15, v12
	v_lshlrev_b32_e32 v12, 16, v124
	v_addc_co_u32_e32 v99, vcc, v118, v99, vcc
	s_cmp_lt_i32 s9, s10
	s_waitcnt lgkmcnt(2)
	v_fmac_f32_e32 v119, v16, v12
	s_waitcnt vmcnt(24)
	v_lshlrev_b32_e32 v12, 16, v125
	v_add_co_u32_e32 v100, vcc, s12, v117
	s_cselect_b32 s12, s9, s11
	v_fmac_f32_e32 v119, v17, v12
	s_waitcnt vmcnt(23)
	v_lshlrev_b32_e32 v12, 16, v126
	v_mov_b32_e32 v101, s13
	s_ashr_i32 s13, s12, 31
	v_fmac_f32_e32 v119, v18, v12
	s_waitcnt vmcnt(22)
	v_lshlrev_b32_e32 v12, 16, v127
	s_lshl_b64 s[12:13], s[12:13], 1
	s_add_i32 s9, s4, 0xfffffa80
	v_fmac_f32_e32 v119, v19, v12
	s_waitcnt vmcnt(21)
	v_lshlrev_b32_e32 v12, 16, v128
	v_addc_co_u32_e32 v101, vcc, v118, v101, vcc
	s_cmp_lt_i32 s9, s10
	s_waitcnt lgkmcnt(1)
	v_fmac_f32_e32 v119, v20, v12
	global_load_ushort v20, v[60:61], off
	v_add_co_u32_e32 v102, vcc, s12, v117
	s_cselect_b32 s12, s9, s11
	v_mov_b32_e32 v103, s13
	s_ashr_i32 s13, s12, 31
	s_lshl_b64 s[12:13], s[12:13], 1
	s_add_i32 s9, s4, 0xfffffb00
	s_waitcnt vmcnt(21)
	v_lshlrev_b32_e32 v12, 16, v129
	v_addc_co_u32_e32 v103, vcc, v118, v103, vcc
	s_cmp_lt_i32 s9, s10
	v_fmac_f32_e32 v119, v21, v12
	global_load_ushort v21, v[62:63], off
	v_add_co_u32_e32 v104, vcc, s12, v117
	s_cselect_b32 s12, s9, s11
	s_waitcnt vmcnt(21)
	v_lshlrev_b32_e32 v12, 16, v130
	global_load_ushort v43, v[64:65], off
	v_mov_b32_e32 v105, s13
	s_ashr_i32 s13, s12, 31
	v_fmac_f32_e32 v119, v22, v12
	global_load_ushort v22, v[66:67], off
	s_waitcnt vmcnt(22)
	v_lshlrev_b32_e32 v12, 16, v131
	s_lshl_b64 s[12:13], s[12:13], 1
	s_add_i32 s9, s4, 0xfffffb80
	v_fmac_f32_e32 v119, v23, v12
	global_load_ushort v23, v[68:69], off
	global_load_ushort v44, v[70:71], off
	v_addc_co_u32_e32 v105, vcc, v118, v105, vcc
	s_cmp_lt_i32 s9, s10
	s_waitcnt vmcnt(23)
	v_lshlrev_b32_e32 v12, 16, v132
	v_add_co_u32_e32 v108, vcc, s12, v117
	s_cselect_b32 s12, s9, s11
	s_waitcnt lgkmcnt(0)
	v_fmac_f32_e32 v119, v24, v12
	global_load_ushort v24, v[72:73], off
	global_load_ushort v45, v[74:75], off
	v_mov_b32_e32 v106, s13
	s_ashr_i32 s13, s12, 31
	s_waitcnt vmcnt(24)
	v_lshlrev_b32_e32 v12, 16, v133
	s_lshl_b64 s[12:13], s[12:13], 1
	s_add_i32 s9, s4, 0xfffffc00
	v_fmac_f32_e32 v119, v25, v12
	global_load_ushort v25, v[76:77], off
	v_addc_co_u32_e32 v109, vcc, v118, v106, vcc
	s_cmp_lt_i32 s9, s10
	v_add_co_u32_e32 v106, vcc, s12, v117
	s_cselect_b32 s12, s9, s11
	s_waitcnt vmcnt(24)
	v_lshlrev_b32_e32 v12, 16, v134
	v_mov_b32_e32 v107, s13
	s_ashr_i32 s13, s12, 31
	v_fmac_f32_e32 v119, v26, v12
	global_load_ushort v26, v[78:79], off
	s_waitcnt vmcnt(24)
	v_lshlrev_b32_e32 v12, 16, v135
	s_lshl_b64 s[12:13], s[12:13], 1
	s_add_i32 s9, s4, 0xfffffc80
	v_fmac_f32_e32 v119, v27, v12
	ds_read_b128 v[12:15], v35 offset:64
	ds_read_b128 v[16:19], v35 offset:80
	v_addc_co_u32_e32 v107, vcc, v118, v107, vcc
	s_cmp_lt_i32 s9, s10
	global_load_ushort v46, v[80:81], off
	global_load_ushort v27, v[82:83], off
	;; [unrolled: 1-line block ×4, first 2 shown]
	v_add_co_u32_e32 v112, vcc, s12, v117
	s_cselect_b32 s12, s9, s11
	v_mov_b32_e32 v110, s13
	s_ashr_i32 s13, s12, 31
	s_lshl_b64 s[12:13], s[12:13], 1
	s_add_i32 s9, s4, 0xfffffd00
	s_waitcnt vmcnt(27)
	v_lshlrev_b32_e32 v28, 16, v28
	v_addc_co_u32_e32 v113, vcc, v118, v110, vcc
	s_cmp_lt_i32 s9, s10
	s_waitcnt lgkmcnt(1)
	v_fmac_f32_e32 v119, v12, v28
	global_load_ushort v28, v[88:89], off
	v_add_co_u32_e32 v110, vcc, s12, v117
	s_cselect_b32 s12, s9, s11
	s_waitcnt vmcnt(27)
	v_lshlrev_b32_e32 v12, 16, v29
	global_load_ushort v29, v[90:91], off
	global_load_ushort v49, v[92:93], off
	v_mov_b32_e32 v111, s13
	s_ashr_i32 s13, s12, 31
	s_lshl_b64 s[12:13], s[12:13], 1
	s_add_i32 s9, s4, 0xfffffd80
	v_addc_co_u32_e32 v111, vcc, v118, v111, vcc
	s_cmp_lt_i32 s9, s10
	v_add_co_u32_e32 v114, vcc, s12, v117
	s_cselect_b32 s12, s9, s11
	v_mov_b32_e32 v115, s13
	s_ashr_i32 s13, s12, 31
	v_fmac_f32_e32 v119, v13, v12
	s_waitcnt vmcnt(28)
	v_lshlrev_b32_e32 v12, 16, v30
	global_load_ushort v30, v[94:95], off
	s_lshl_b64 s[12:13], s[12:13], 1
	s_add_i32 s9, s4, 0xfffffe00
	v_fmac_f32_e32 v119, v14, v12
	s_waitcnt vmcnt(28)
	v_lshlrev_b32_e32 v12, 16, v31
	global_load_ushort v31, v[96:97], off
	v_addc_co_u32_e32 v115, vcc, v118, v115, vcc
	s_cmp_lt_i32 s9, s10
	v_fmac_f32_e32 v119, v15, v12
	s_waitcnt vmcnt(28)
	v_lshlrev_b32_e32 v12, 16, v32
	global_load_ushort v32, v[98:99], off
	global_load_ushort v50, v[100:101], off
	v_add_co_u32_e32 v0, vcc, s12, v117
	s_cselect_b32 s12, s9, s11
	v_mov_b32_e32 v2, s13
	s_ashr_i32 s13, s12, 31
	s_lshl_b64 s[12:13], s[12:13], 1
	s_add_i32 s9, s4, 0xfffffe80
	s_waitcnt lgkmcnt(0)
	v_fmac_f32_e32 v119, v16, v12
	s_waitcnt vmcnt(29)
	v_lshlrev_b32_e32 v12, 16, v33
	global_load_ushort v33, v[102:103], off
	global_load_ushort v51, v[104:105], off
	;; [unrolled: 1-line block ×3, first 2 shown]
	v_addc_co_u32_e32 v1, vcc, v118, v2, vcc
	s_cmp_lt_i32 s9, s10
	v_add_co_u32_e32 v2, vcc, s12, v117
	s_cselect_b32 s12, s9, s11
	v_mov_b32_e32 v3, s13
	s_ashr_i32 s13, s12, 31
	v_fmac_f32_e32 v119, v17, v12
	s_waitcnt vmcnt(31)
	v_lshlrev_b32_e32 v12, 16, v36
	global_load_ushort v36, v[106:107], off
	global_load_ushort v53, v[112:113], off
	s_lshl_b64 s[12:13], s[12:13], 1
	s_add_i32 s9, s4, 0xffffff00
	v_addc_co_u32_e32 v3, vcc, v118, v3, vcc
	s_cmp_lt_i32 s9, s10
	v_fmac_f32_e32 v119, v18, v12
	s_waitcnt vmcnt(32)
	v_lshlrev_b32_e32 v12, 16, v37
	v_add_co_u32_e32 v4, vcc, s12, v117
	s_cselect_b32 s12, s9, s11
	v_fmac_f32_e32 v119, v19, v12
	ds_read_b128 v[12:15], v35 offset:96
	v_mov_b32_e32 v5, s13
	s_ashr_i32 s13, s12, 31
	s_lshl_b64 s[12:13], s[12:13], 1
	s_add_i32 s9, s4, 0xffffff80
	v_addc_co_u32_e32 v5, vcc, v118, v5, vcc
	s_cmp_lt_i32 s9, s10
	global_load_ushort v37, v[110:111], off
	global_load_ushort v54, v[114:115], off
	v_add_co_u32_e32 v8, vcc, s12, v117
	s_cselect_b32 s12, s9, s11
	s_waitcnt vmcnt(33)
	v_lshlrev_b32_e32 v34, 16, v34
	v_mov_b32_e32 v6, s13
	s_ashr_i32 s13, s12, 31
	s_waitcnt lgkmcnt(0)
	v_fmac_f32_e32 v119, v12, v34
	s_waitcnt vmcnt(32)
	v_lshlrev_b32_e32 v12, 16, v38
	s_lshl_b64 s[12:13], s[12:13], 1
	ds_read_b128 v[16:19], v35 offset:112
	v_fmac_f32_e32 v119, v13, v12
	global_load_ushort v12, v[0:1], off
	global_load_ushort v13, v[2:3], off
	v_addc_co_u32_e32 v9, vcc, v118, v6, vcc
	s_cmp_lt_i32 s4, s10
	v_add_co_u32_e32 v6, vcc, s12, v117
	s_cselect_b32 s12, s4, s11
	s_waitcnt vmcnt(33)
	v_lshlrev_b32_e32 v0, 16, v39
	v_mov_b32_e32 v7, s13
	s_ashr_i32 s13, s12, 31
	v_fmac_f32_e32 v119, v14, v0
	global_load_ushort v14, v[4:5], off
	global_load_ushort v34, v[8:9], off
	v_addc_co_u32_e32 v7, vcc, v118, v7, vcc
	s_lshl_b64 s[12:13], s[12:13], 1
	s_waitcnt vmcnt(34)
	v_lshlrev_b32_e32 v0, 16, v40
	v_mov_b32_e32 v11, s13
	v_add_co_u32_e32 v10, vcc, s12, v117
	v_fmac_f32_e32 v119, v15, v0
	s_waitcnt vmcnt(33)
	v_lshlrev_b32_e32 v0, 16, v41
	v_addc_co_u32_e32 v11, vcc, v118, v11, vcc
	s_waitcnt lgkmcnt(0)
	v_fmac_f32_e32 v119, v16, v0
	global_load_ushort v15, v[6:7], off
	global_load_ushort v16, v[10:11], off
	s_waitcnt vmcnt(34)
	v_lshlrev_b32_e32 v0, 16, v42
	v_fmac_f32_e32 v119, v17, v0
	s_waitcnt vmcnt(33)
	v_lshlrev_b32_e32 v0, 16, v20
	v_fmac_f32_e32 v119, v18, v0
	ds_read_b128 v[0:3], v35 offset:128
	s_waitcnt vmcnt(32)
	v_lshlrev_b32_e32 v4, 16, v21
	v_fmac_f32_e32 v119, v19, v4
	ds_read_b128 v[4:7], v35 offset:144
	s_waitcnt vmcnt(31)
	v_lshlrev_b32_e32 v8, 16, v43
	s_waitcnt lgkmcnt(1)
	v_fmac_f32_e32 v119, v0, v8
	s_waitcnt vmcnt(30)
	v_lshlrev_b32_e32 v0, 16, v22
	v_fmac_f32_e32 v119, v1, v0
	s_waitcnt vmcnt(29)
	v_lshlrev_b32_e32 v0, 16, v23
	;; [unrolled: 3-line block ×4, first 2 shown]
	s_waitcnt lgkmcnt(0)
	v_fmac_f32_e32 v119, v4, v0
	s_waitcnt vmcnt(26)
	v_lshlrev_b32_e32 v0, 16, v45
	v_fmac_f32_e32 v119, v5, v0
	s_waitcnt vmcnt(25)
	v_lshlrev_b32_e32 v0, 16, v25
	v_fmac_f32_e32 v119, v6, v0
	ds_read_b128 v[0:3], v35 offset:160
	s_waitcnt vmcnt(24)
	v_lshlrev_b32_e32 v4, 16, v26
	v_fmac_f32_e32 v119, v7, v4
	ds_read_b128 v[4:7], v35 offset:176
	s_waitcnt vmcnt(23)
	v_lshlrev_b32_e32 v8, 16, v46
	s_waitcnt lgkmcnt(1)
	v_fmac_f32_e32 v119, v0, v8
	s_waitcnt vmcnt(22)
	v_lshlrev_b32_e32 v0, 16, v27
	v_fmac_f32_e32 v119, v1, v0
	s_waitcnt vmcnt(21)
	v_lshlrev_b32_e32 v0, 16, v47
	;; [unrolled: 3-line block ×4, first 2 shown]
	s_waitcnt lgkmcnt(0)
	v_fmac_f32_e32 v119, v4, v0
	s_waitcnt vmcnt(18)
	v_lshlrev_b32_e32 v0, 16, v29
	v_fmac_f32_e32 v119, v5, v0
	s_waitcnt vmcnt(17)
	v_lshlrev_b32_e32 v0, 16, v49
	v_fmac_f32_e32 v119, v6, v0
	ds_read_b128 v[0:3], v35 offset:192
	s_waitcnt vmcnt(16)
	v_lshlrev_b32_e32 v4, 16, v30
	v_fmac_f32_e32 v119, v7, v4
	ds_read_b128 v[4:7], v35 offset:208
	s_waitcnt vmcnt(15)
	v_lshlrev_b32_e32 v8, 16, v31
	s_waitcnt lgkmcnt(1)
	v_fmac_f32_e32 v119, v0, v8
	s_waitcnt vmcnt(14)
	v_lshlrev_b32_e32 v0, 16, v32
	v_fmac_f32_e32 v119, v1, v0
	s_waitcnt vmcnt(13)
	v_lshlrev_b32_e32 v0, 16, v50
	;; [unrolled: 3-line block ×4, first 2 shown]
	v_lshlrev_b32_e32 v0, 16, v51
	s_waitcnt lgkmcnt(0)
	v_pk_mul_f32 v[0:1], v[4:5], v[0:1]
	v_add_f32_e32 v0, v119, v0
	v_add_f32_e32 v2, v0, v1
	s_waitcnt vmcnt(8)
	v_lshlrev_b32_e32 v1, 16, v53
	v_lshlrev_b32_e32 v0, 16, v36
	v_pk_mul_f32 v[4:5], v[6:7], v[0:1]
	v_add_f32_e32 v4, v2, v4
	ds_read_b128 v[0:3], v35 offset:224
	s_waitcnt vmcnt(6)
	v_lshlrev_b32_e32 v9, 16, v54
	v_lshlrev_b32_e32 v8, 16, v37
	v_add_f32_e32 v10, v4, v5
	ds_read_b128 v[4:7], v35 offset:240
	s_waitcnt lgkmcnt(1)
	v_pk_mul_f32 v[0:1], v[0:1], v[8:9]
	v_add_f32_e32 v0, v10, v0
	v_add_f32_e32 v8, v0, v1
	s_waitcnt vmcnt(4)
	v_lshlrev_b32_e32 v1, 16, v13
	v_lshlrev_b32_e32 v0, 16, v12
	v_pk_mul_f32 v[0:1], v[2:3], v[0:1]
	v_add_f32_e32 v0, v8, v0
	v_add_f32_e32 v2, v0, v1
	s_waitcnt vmcnt(2)
	v_lshlrev_b32_e32 v1, 16, v34
	v_lshlrev_b32_e32 v0, 16, v14
	s_waitcnt lgkmcnt(0)
	v_pk_mul_f32 v[0:1], v[4:5], v[0:1]
	v_add_f32_e32 v0, v2, v0
	v_add_f32_e32 v2, v0, v1
	s_waitcnt vmcnt(1)
	v_lshlrev_b32_e32 v0, 16, v15
	s_waitcnt vmcnt(0)
	v_lshlrev_b32_e32 v1, 16, v16
	v_pk_mul_f32 v[0:1], v[6:7], v[0:1]
	v_add_f32_e32 v0, v2, v0
	v_add_f32_e32 v119, v0, v1
	s_branch .LBB322_16
.LBB322_19:
	v_mov_b32_e32 v0, 0
	ds_read_b32 v0, v0 offset:3840
	s_cmp_lg_u64 s[2:3], 0
	s_cbranch_scc0 .LBB322_28
; %bb.20:
	s_load_dword s4, s[2:3], 0x0
	s_waitcnt lgkmcnt(0)
	v_div_scale_f32 v1, s[2:3], s4, s4, 1.0
	v_rcp_f32_e32 v2, v1
	v_div_scale_f32 v3, vcc, 1.0, s4, 1.0
	v_fma_f32 v4, -v1, v2, 1.0
	v_fmac_f32_e32 v2, v4, v2
	v_mul_f32_e32 v4, v3, v2
	v_fma_f32 v5, -v1, v4, v3
	v_fmac_f32_e32 v4, v5, v2
	v_fma_f32 v1, -v1, v4, v3
	v_div_fmas_f32 v1, v1, v2, v4
	v_div_fixup_f32 v1, v1, s4, 1.0
	s_andn2_b64 vcc, exec, s[48:49]
	s_cbranch_vccnz .LBB322_22
.LBB322_21:
	s_add_u32 s2, s46, s50
	s_addc_u32 s3, s47, s51
	s_load_dword s44, s[2:3], 0x0
	s_mov_b32 s45, 0
.LBB322_22:
	s_waitcnt lgkmcnt(0)
	v_add_f32_e32 v0, 0x358637bd, v0
	v_div_scale_f32 v2, s[2:3], v0, v0, 1.0
	v_rcp_f32_e32 v3, v2
	v_div_scale_f32 v4, vcc, 1.0, v0, 1.0
	s_mov_b32 s2, 0x7f800000
	v_fma_f32 v5, -v2, v3, 1.0
	v_fmac_f32_e32 v3, v5, v3
	v_mul_f32_e32 v5, v4, v3
	v_fma_f32 v6, -v2, v5, v4
	v_fmac_f32_e32 v5, v6, v3
	v_fma_f32 v2, -v2, v5, v4
	v_div_fmas_f32 v2, v2, v3, v5
	v_div_fixup_f32 v0, v2, v0, 1.0
	v_mul_f32_e32 v0, v119, v0
	v_mul_f32_e32 v1, v0, v1
	v_and_b32_e32 v0, 0x7f800000, v1
	v_cmp_ne_u32_e32 vcc, s2, v0
                                        ; implicit-def: $vgpr0
	s_and_saveexec_b64 s[2:3], vcc
	s_xor_b64 s[2:3], exec, s[2:3]
; %bb.23:
	v_bfe_u32 v0, v1, 16, 1
	s_movk_i32 s4, 0x7fff
	v_add3_u32 v0, v1, v0, s4
                                        ; implicit-def: $vgpr1
; %bb.24:
	s_andn2_saveexec_b64 s[2:3], s[2:3]
; %bb.25:
	v_mov_b32_e32 v0, 0
	v_or_b32_e32 v2, 0x10000, v1
	v_cmp_eq_u32_sdwa vcc, v1, v0 src0_sel:WORD_0 src1_sel:DWORD
	v_cndmask_b32_e32 v0, v2, v1, vcc
; %bb.26:
	s_or_b64 exec, exec, s[2:3]
	s_mul_i32 s2, s7, s45
	s_mul_hi_u32 s3, s7, s44
	s_add_i32 s3, s3, s2
	s_mul_i32 s2, s7, s44
	s_lshl_b64 s[2:3], s[2:3], 8
	s_add_u32 s2, s0, s2
	s_mov_b32 s7, 0
	s_addc_u32 s3, s1, s3
	s_lshl_b64 s[0:1], s[6:7], 8
	s_add_u32 s0, s2, s0
	s_addc_u32 s1, s3, s1
	global_store_short_d16_hi v116, v0, s[0:1]
	s_endpgm
.LBB322_27:
	s_mov_b64 s[2:3], 0
	s_branch .LBB322_2
.LBB322_28:
	v_mov_b32_e32 v1, 1.0
	s_andn2_b64 vcc, exec, s[48:49]
	s_cbranch_vccz .LBB322_21
	s_branch .LBB322_22
	.section	.rodata,"a",@progbits
	.p2align	6, 0x0
	.amdhsa_kernel _Z35paged_attention_ll4mi_reduce_kernelI14__hip_bfloat16S0_Li128ELi128ELi256ELi15EEvPT0_PKfS4_PKT_PKiS9_iS4_
		.amdhsa_group_segment_fixed_size 3844
		.amdhsa_private_segment_fixed_size 0
		.amdhsa_kernarg_size 320
		.amdhsa_user_sgpr_count 6
		.amdhsa_user_sgpr_private_segment_buffer 1
		.amdhsa_user_sgpr_dispatch_ptr 0
		.amdhsa_user_sgpr_queue_ptr 0
		.amdhsa_user_sgpr_kernarg_segment_ptr 1
		.amdhsa_user_sgpr_dispatch_id 0
		.amdhsa_user_sgpr_flat_scratch_init 0
		.amdhsa_user_sgpr_kernarg_preload_length 0
		.amdhsa_user_sgpr_kernarg_preload_offset 0
		.amdhsa_user_sgpr_private_segment_size 0
		.amdhsa_uses_dynamic_stack 0
		.amdhsa_system_sgpr_private_segment_wavefront_offset 0
		.amdhsa_system_sgpr_workgroup_id_x 1
		.amdhsa_system_sgpr_workgroup_id_y 1
		.amdhsa_system_sgpr_workgroup_id_z 0
		.amdhsa_system_sgpr_workgroup_info 0
		.amdhsa_system_vgpr_workitem_id 0
		.amdhsa_next_free_vgpr 136
		.amdhsa_next_free_sgpr 59
		.amdhsa_accum_offset 136
		.amdhsa_reserve_vcc 1
		.amdhsa_reserve_flat_scratch 0
		.amdhsa_float_round_mode_32 0
		.amdhsa_float_round_mode_16_64 0
		.amdhsa_float_denorm_mode_32 3
		.amdhsa_float_denorm_mode_16_64 3
		.amdhsa_dx10_clamp 1
		.amdhsa_ieee_mode 1
		.amdhsa_fp16_overflow 0
		.amdhsa_tg_split 0
		.amdhsa_exception_fp_ieee_invalid_op 0
		.amdhsa_exception_fp_denorm_src 0
		.amdhsa_exception_fp_ieee_div_zero 0
		.amdhsa_exception_fp_ieee_overflow 0
		.amdhsa_exception_fp_ieee_underflow 0
		.amdhsa_exception_fp_ieee_inexact 0
		.amdhsa_exception_int_div_zero 0
	.end_amdhsa_kernel
	.section	.text._Z35paged_attention_ll4mi_reduce_kernelI14__hip_bfloat16S0_Li128ELi128ELi256ELi15EEvPT0_PKfS4_PKT_PKiS9_iS4_,"axG",@progbits,_Z35paged_attention_ll4mi_reduce_kernelI14__hip_bfloat16S0_Li128ELi128ELi256ELi15EEvPT0_PKfS4_PKT_PKiS9_iS4_,comdat
.Lfunc_end322:
	.size	_Z35paged_attention_ll4mi_reduce_kernelI14__hip_bfloat16S0_Li128ELi128ELi256ELi15EEvPT0_PKfS4_PKT_PKiS9_iS4_, .Lfunc_end322-_Z35paged_attention_ll4mi_reduce_kernelI14__hip_bfloat16S0_Li128ELi128ELi256ELi15EEvPT0_PKfS4_PKT_PKiS9_iS4_
                                        ; -- End function
	.section	.AMDGPU.csdata,"",@progbits
; Kernel info:
; codeLenInByte = 12000
; NumSgprs: 63
; NumVgprs: 136
; NumAgprs: 0
; TotalNumVgprs: 136
; ScratchSize: 0
; MemoryBound: 0
; FloatMode: 240
; IeeeMode: 1
; LDSByteSize: 3844 bytes/workgroup (compile time only)
; SGPRBlocks: 7
; VGPRBlocks: 16
; NumSGPRsForWavesPerEU: 63
; NumVGPRsForWavesPerEU: 136
; AccumOffset: 136
; Occupancy: 3
; WaveLimiterHint : 1
; COMPUTE_PGM_RSRC2:SCRATCH_EN: 0
; COMPUTE_PGM_RSRC2:USER_SGPR: 6
; COMPUTE_PGM_RSRC2:TRAP_HANDLER: 0
; COMPUTE_PGM_RSRC2:TGID_X_EN: 1
; COMPUTE_PGM_RSRC2:TGID_Y_EN: 1
; COMPUTE_PGM_RSRC2:TGID_Z_EN: 0
; COMPUTE_PGM_RSRC2:TIDIG_COMP_CNT: 0
; COMPUTE_PGM_RSRC3_GFX90A:ACCUM_OFFSET: 33
; COMPUTE_PGM_RSRC3_GFX90A:TG_SPLIT: 0
	.section	.text._Z35paged_attention_ll4mi_reduce_kernelI14__hip_bfloat16S0_Li128ELi128ELi256ELi16EEvPT0_PKfS4_PKT_PKiS9_iS4_,"axG",@progbits,_Z35paged_attention_ll4mi_reduce_kernelI14__hip_bfloat16S0_Li128ELi128ELi256ELi16EEvPT0_PKfS4_PKT_PKiS9_iS4_,comdat
	.protected	_Z35paged_attention_ll4mi_reduce_kernelI14__hip_bfloat16S0_Li128ELi128ELi256ELi16EEvPT0_PKfS4_PKT_PKiS9_iS4_ ; -- Begin function _Z35paged_attention_ll4mi_reduce_kernelI14__hip_bfloat16S0_Li128ELi128ELi256ELi16EEvPT0_PKfS4_PKT_PKiS9_iS4_
	.globl	_Z35paged_attention_ll4mi_reduce_kernelI14__hip_bfloat16S0_Li128ELi128ELi256ELi16EEvPT0_PKfS4_PKT_PKiS9_iS4_
	.p2align	8
	.type	_Z35paged_attention_ll4mi_reduce_kernelI14__hip_bfloat16S0_Li128ELi128ELi256ELi16EEvPT0_PKfS4_PKT_PKiS9_iS4_,@function
_Z35paged_attention_ll4mi_reduce_kernelI14__hip_bfloat16S0_Li128ELi128ELi256ELi16EEvPT0_PKfS4_PKT_PKiS9_iS4_: ; @_Z35paged_attention_ll4mi_reduce_kernelI14__hip_bfloat16S0_Li128ELi128ELi256ELi16EEvPT0_PKfS4_PKT_PKiS9_iS4_
; %bb.0:
	s_load_dwordx2 s[48:49], s[4:5], 0x28
	s_mov_b32 s38, s7
	s_mov_b64 s[0:1], 0
	s_waitcnt lgkmcnt(0)
	s_cmp_lg_u64 s[48:49], 0
	s_cselect_b64 s[50:51], -1, 0
	s_and_b64 vcc, exec, s[50:51]
	s_cbranch_vccz .LBB323_27
; %bb.1:
	s_add_i32 s2, s38, 1
	s_mov_b32 s3, 0
	s_lshl_b64 s[8:9], s[2:3], 2
	s_add_u32 s8, s48, s8
	s_mov_b32 s39, s3
	s_addc_u32 s9, s49, s9
	s_lshl_b64 s[2:3], s[38:39], 2
	s_add_u32 s2, s48, s2
	s_addc_u32 s3, s49, s3
	s_load_dword s7, s[8:9], 0x0
	s_load_dword s10, s[2:3], 0x0
	s_waitcnt lgkmcnt(0)
	s_sub_i32 s2, s7, s10
	s_cmp_eq_u32 s2, 1
	s_cselect_b64 s[2:3], -1, 0
	s_andn2_b64 vcc, exec, s[0:1]
	s_cbranch_vccnz .LBB323_3
.LBB323_2:
	s_mov_b32 s39, 0
	s_mov_b64 s[2:3], -1
.LBB323_3:
	s_andn2_b64 vcc, exec, s[2:3]
	s_cbranch_vccz .LBB323_5
; %bb.4:
	s_endpgm
.LBB323_5:
	s_load_dwordx4 s[40:43], s[4:5], 0x18
	s_load_dword s8, s[4:5], 0x30
	s_lshl_b64 s[52:53], s[38:39], 2
	v_cmp_lt_u32_e32 vcc, 63, v0
	s_waitcnt lgkmcnt(0)
	s_add_u32 s0, s42, s52
	s_addc_u32 s1, s43, s53
	s_load_dword s60, s[0:1], 0x0
	s_load_dword s7, s[4:5], 0x40
	s_mul_i32 s42, s6, s8
	s_mul_i32 s2, s38, s8
	s_waitcnt lgkmcnt(0)
	s_add_i32 s3, s60, 0xff
	s_ashr_i32 s0, s3, 31
	s_lshr_b32 s0, s0, 24
	s_add_i32 s3, s3, s0
	s_and_saveexec_b64 s[0:1], vcc
	s_xor_b64 s[0:1], exec, s[0:1]
	s_or_saveexec_b64 s[54:55], s[0:1]
	s_ashr_i32 s33, s3, 8
	v_mov_b32_e32 v1, s42
	s_mul_i32 s56, s2, s7
	s_xor_b64 exec, exec, s[54:55]
	s_cbranch_execz .LBB323_9
; %bb.6:
	s_add_i32 s0, s33, -1
	v_or_b32_e32 v3, 64, v0
	v_mov_b32_e32 v1, s0
	v_cmp_gt_u32_e64 s[22:23], s33, v3
	v_cndmask_b32_e64 v6, v1, v3, s[22:23]
	v_or_b32_e32 v3, 0x80, v0
	v_cmp_gt_u32_e64 s[20:21], s33, v3
	v_cndmask_b32_e64 v8, v1, v3, s[20:21]
	v_or_b32_e32 v3, 0xc0, v0
	;; [unrolled: 3-line block ×9, first 2 shown]
	v_cmp_gt_u32_e32 vcc, s33, v3
	v_cndmask_b32_e32 v28, v1, v3, vcc
	v_or_b32_e32 v3, 0x2c0, v0
	v_cmp_gt_u32_e64 s[34:35], s33, v3
	v_cndmask_b32_e64 v30, v1, v3, s[34:35]
	v_or_b32_e32 v3, 0x300, v0
	s_load_dwordx4 s[44:47], s[4:5], 0x8
	v_cmp_gt_u32_e64 s[30:31], s33, v3
	v_cndmask_b32_e64 v32, v1, v3, s[30:31]
	v_or_b32_e32 v3, 0x340, v0
	v_cmp_gt_u32_e64 s[28:29], s33, v3
	s_mov_b32 s57, 0
	v_cndmask_b32_e64 v36, v1, v3, s[28:29]
	v_or_b32_e32 v3, 0x380, v0
	v_cmp_gt_u32_e64 s[26:27], s33, v3
	s_lshl_b64 s[58:59], s[56:57], 2
	s_mov_b32 s43, s57
	v_cmp_gt_u32_e64 s[24:25], s33, v0
	v_cndmask_b32_e64 v48, v1, v3, s[26:27]
	v_or_b32_e32 v3, 0x3c0, v0
	s_waitcnt lgkmcnt(0)
	s_add_u32 s36, s46, s58
	v_cndmask_b32_e64 v2, v1, v0, s[24:25]
	v_cmp_gt_u32_e64 s[10:11], s33, v3
	s_addc_u32 s37, s47, s59
	s_lshl_b64 s[46:47], s[42:43], 2
	v_cndmask_b32_e64 v50, v1, v3, s[10:11]
	s_add_u32 s43, s36, s46
	v_ashrrev_i32_e32 v3, 31, v2
	s_addc_u32 s57, s37, s47
	v_lshlrev_b64 v[4:5], 2, v[2:3]
	v_mov_b32_e32 v1, s57
	v_add_co_u32_e64 v34, s[36:37], s43, v4
	v_ashrrev_i32_e32 v7, 31, v6
	v_addc_co_u32_e64 v35, s[36:37], v1, v5, s[36:37]
	v_lshlrev_b64 v[2:3], 2, v[6:7]
	v_add_co_u32_e64 v38, s[36:37], s43, v2
	v_ashrrev_i32_e32 v9, 31, v8
	v_addc_co_u32_e64 v39, s[36:37], v1, v3, s[36:37]
	v_lshlrev_b64 v[6:7], 2, v[8:9]
	;; [unrolled: 4-line block ×8, first 2 shown]
	global_load_dword v46, v[34:35], off
	global_load_dword v45, v[38:39], off
	;; [unrolled: 1-line block ×4, first 2 shown]
	s_nop 0
	global_load_dword v40, v[12:13], off
	global_load_dword v39, v[14:15], off
	global_load_dword v35, v[52:53], off
	global_load_dword v1, v[54:55], off
	v_mov_b32_e32 v10, s57
	v_add_co_u32_e64 v12, s[36:37], s43, v24
	v_ashrrev_i32_e32 v27, 31, v26
	v_addc_co_u32_e64 v13, s[36:37], v10, v25, s[36:37]
	v_lshlrev_b64 v[26:27], 2, v[26:27]
	v_add_co_u32_e64 v14, s[36:37], s43, v26
	v_ashrrev_i32_e32 v29, 31, v28
	v_addc_co_u32_e64 v15, s[36:37], v10, v27, s[36:37]
	v_lshlrev_b64 v[10:11], 2, v[28:29]
	v_mov_b32_e32 v29, s57
	v_add_co_u32_e64 v28, s[36:37], s43, v10
	v_ashrrev_i32_e32 v31, 31, v30
	v_addc_co_u32_e64 v29, s[36:37], v29, v11, s[36:37]
	v_lshlrev_b64 v[52:53], 2, v[30:31]
	v_mov_b32_e32 v30, s57
	v_add_co_u32_e64 v54, s[36:37], s43, v52
	v_ashrrev_i32_e32 v33, 31, v32
	v_addc_co_u32_e64 v55, s[36:37], v30, v53, s[36:37]
	v_lshlrev_b64 v[56:57], 2, v[32:33]
	v_add_co_u32_e64 v32, s[36:37], s43, v56
	v_ashrrev_i32_e32 v37, 31, v36
	v_addc_co_u32_e64 v33, s[36:37], v30, v57, s[36:37]
	v_lshlrev_b64 v[58:59], 2, v[36:37]
	;; [unrolled: 4-line block ×4, first 2 shown]
	v_add_co_u32_e64 v62, s[36:37], s43, v50
	v_addc_co_u32_e64 v63, s[36:37], v30, v51, s[36:37]
	global_load_dword v41, v[12:13], off
	global_load_dword v38, v[14:15], off
	;; [unrolled: 1-line block ×3, first 2 shown]
	s_nop 0
	global_load_dword v54, v[54:55], off
	s_nop 0
	global_load_dword v55, v[32:33], off
	global_load_dword v64, v[36:37], off
	s_nop 0
	global_load_dword v60, v[60:61], off
	s_nop 0
	global_load_dword v44, v[62:63], off
	s_mov_b32 s43, 0x3fb8aa3b
	s_waitcnt vmcnt(15)
	v_max_f32_e32 v13, v46, v46
	s_waitcnt vmcnt(14)
	v_max_f32_e32 v12, v45, v45
	v_max_f32_e32 v12, v13, v12
	s_waitcnt vmcnt(12)
	v_max3_f32 v12, v12, v43, v42
	v_mbcnt_lo_u32_b32 v13, -1, 0
	s_waitcnt vmcnt(10)
	v_max3_f32 v12, v12, v40, v39
	v_mbcnt_hi_u32_b32 v13, -1, v13
	s_waitcnt vmcnt(8)
	v_max3_f32 v12, v12, v35, v1
	v_and_b32_e32 v14, 64, v13
	v_add_u32_e32 v14, 64, v14
	v_xor_b32_e32 v15, 32, v13
	v_cmp_lt_i32_e64 s[36:37], v15, v14
	v_cndmask_b32_e64 v15, v13, v15, s[36:37]
	v_lshlrev_b32_e32 v30, 2, v15
	s_waitcnt vmcnt(6)
	v_max3_f32 v12, v12, v41, v38
	s_waitcnt vmcnt(4)
	v_max3_f32 v12, v12, v31, v54
	;; [unrolled: 2-line block ×4, first 2 shown]
	ds_bpermute_b32 v15, v30, v12
	s_waitcnt lgkmcnt(0)
	v_max_f32_e32 v15, v15, v15
	v_max_f32_e32 v12, v12, v15
	v_xor_b32_e32 v15, 16, v13
	v_cmp_lt_i32_e64 s[36:37], v15, v14
	v_cndmask_b32_e64 v15, v13, v15, s[36:37]
	v_lshlrev_b32_e32 v32, 2, v15
	ds_bpermute_b32 v15, v32, v12
	s_waitcnt lgkmcnt(0)
	v_max_f32_e32 v15, v15, v15
	v_max_f32_e32 v12, v12, v15
	v_xor_b32_e32 v15, 8, v13
	v_cmp_lt_i32_e64 s[36:37], v15, v14
	v_cndmask_b32_e64 v15, v13, v15, s[36:37]
	v_lshlrev_b32_e32 v33, 2, v15
	;; [unrolled: 8-line block ×4, first 2 shown]
	ds_bpermute_b32 v15, v36, v12
	s_waitcnt lgkmcnt(0)
	v_max_f32_e32 v15, v15, v15
	v_max_f32_e32 v47, v12, v15
	v_xor_b32_e32 v12, 1, v13
	v_cmp_lt_i32_e64 s[36:37], v12, v14
	v_cndmask_b32_e64 v12, v13, v12, s[36:37]
	s_add_u32 s36, s44, s58
	s_addc_u32 s37, s45, s59
	s_add_u32 s44, s36, s46
	s_addc_u32 s45, s37, s47
	v_lshlrev_b32_e32 v37, 2, v12
	v_mov_b32_e32 v12, s45
	v_add_co_u32_e64 v28, s[36:37], s44, v52
	v_addc_co_u32_e64 v29, s[36:37], v12, v53, s[36:37]
	v_mov_b32_e32 v13, s45
	v_add_co_u32_e64 v12, s[36:37], s44, v56
	v_addc_co_u32_e64 v13, s[36:37], v13, v57, s[36:37]
	ds_bpermute_b32 v61, v37, v47
	v_mov_b32_e32 v15, s45
	v_add_co_u32_e64 v14, s[36:37], s44, v58
	v_addc_co_u32_e64 v15, s[36:37], v15, v59, s[36:37]
	v_mov_b32_e32 v52, s45
	v_add_co_u32_e64 v48, s[36:37], s44, v48
	v_addc_co_u32_e64 v49, s[36:37], v52, v49, s[36:37]
	v_add_co_u32_e64 v50, s[36:37], s44, v50
	v_addc_co_u32_e64 v51, s[36:37], v52, v51, s[36:37]
	s_waitcnt lgkmcnt(0)
	v_max_f32_e32 v52, v61, v61
	v_max_f32_e32 v47, v47, v52
	v_sub_f32_e32 v52, v54, v47
	v_mul_f32_e32 v53, 0x3fb8aa3b, v52
	v_fma_f32 v54, v52, s43, -v53
	v_rndne_f32_e32 v56, v53
	v_fmac_f32_e32 v54, 0x32a5705f, v52
	v_sub_f32_e32 v53, v53, v56
	v_add_f32_e32 v53, v53, v54
	v_exp_f32_e32 v53, v53
	v_cvt_i32_f32_e32 v54, v56
	s_mov_b32 s47, 0xc2ce8ed0
	s_mov_b32 s46, 0x42b17218
	v_cmp_ngt_f32_e64 s[36:37], s47, v52
	v_ldexp_f32 v53, v53, v54
	v_mov_b32_e32 v56, 0x7f800000
	v_cndmask_b32_e64 v53, 0, v53, s[36:37]
	v_cmp_nlt_f32_e64 s[36:37], s46, v52
	v_cndmask_b32_e64 v52, v56, v53, s[36:37]
	v_cndmask_b32_e64 v52, 0, v52, s[34:35]
	global_load_dword v12, v[12:13], off
	s_nop 0
	global_load_dword v13, v[14:15], off
	s_nop 0
	global_load_dword v14, v[48:49], off
	global_load_dword v15, v[50:51], off
	v_mov_b32_e32 v48, s45
	v_add_co_u32_e64 v10, s[34:35], s44, v10
	v_addc_co_u32_e64 v11, s[34:35], v48, v11, s[34:35]
	global_load_dword v48, v[10:11], off
	s_nop 0
	global_load_dword v11, v[28:29], off
	v_sub_f32_e32 v29, v55, v47
	v_mul_f32_e32 v10, 0x3fb8aa3b, v29
	v_rndne_f32_e32 v49, v10
	v_sub_f32_e32 v1, v1, v47
	s_waitcnt vmcnt(0)
	v_mul_f32_e32 v28, v11, v52
	v_fma_f32 v11, v29, s43, -v10
	v_fmac_f32_e32 v11, 0x32a5705f, v29
	v_sub_f32_e32 v10, v10, v49
	v_add_f32_e32 v10, v10, v11
	v_exp_f32_e32 v50, v10
	v_mov_b32_e32 v11, s45
	v_add_co_u32_e64 v10, s[34:35], s44, v24
	v_addc_co_u32_e64 v11, s[34:35], v11, v25, s[34:35]
	v_cvt_i32_f32_e32 v49, v49
	v_mov_b32_e32 v25, s45
	v_add_co_u32_e64 v24, s[34:35], s44, v26
	v_addc_co_u32_e64 v25, s[34:35], v25, v27, s[34:35]
	global_load_dword v10, v[10:11], off
	s_nop 0
	global_load_dword v11, v[24:25], off
	v_sub_f32_e32 v25, v64, v47
	v_mul_f32_e32 v26, 0x3fb8aa3b, v25
	v_ldexp_f32 v24, v50, v49
	v_fma_f32 v27, v25, s43, -v26
	v_rndne_f32_e32 v49, v26
	v_fmac_f32_e32 v27, 0x32a5705f, v25
	v_sub_f32_e32 v26, v26, v49
	v_add_f32_e32 v26, v26, v27
	v_cmp_ngt_f32_e64 s[34:35], s47, v29
	v_exp_f32_e32 v26, v26
	v_cvt_i32_f32_e32 v27, v49
	v_cndmask_b32_e64 v24, 0, v24, s[34:35]
	v_cmp_nlt_f32_e64 s[34:35], s46, v29
	v_cndmask_b32_e64 v24, v56, v24, s[34:35]
	v_cndmask_b32_e64 v24, 0, v24, s[30:31]
	v_mul_f32_e32 v12, v12, v24
	v_ldexp_f32 v24, v26, v27
	v_sub_f32_e32 v26, v60, v47
	v_mul_f32_e32 v27, 0x3fb8aa3b, v26
	v_fma_f32 v29, v26, s43, -v27
	v_rndne_f32_e32 v49, v27
	v_cmp_ngt_f32_e64 s[30:31], s47, v25
	v_fmac_f32_e32 v29, 0x32a5705f, v26
	v_sub_f32_e32 v27, v27, v49
	v_cndmask_b32_e64 v24, 0, v24, s[30:31]
	v_add_f32_e32 v27, v27, v29
	v_mov_b32_e32 v29, s45
	v_add_co_u32_e64 v4, s[30:31], s44, v4
	v_addc_co_u32_e64 v5, s[30:31], v29, v5, s[30:31]
	global_load_dword v29, v[4:5], off
	v_exp_f32_e32 v4, v27
	v_cvt_i32_f32_e32 v5, v49
	v_cmp_nlt_f32_e64 s[30:31], s46, v25
	v_cndmask_b32_e64 v24, v56, v24, s[30:31]
	v_cndmask_b32_e64 v24, 0, v24, s[28:29]
	v_ldexp_f32 v4, v4, v5
	v_cmp_ngt_f32_e64 s[28:29], s47, v26
	v_cndmask_b32_e64 v4, 0, v4, s[28:29]
	v_mov_b32_e32 v5, s45
	v_add_co_u32_e64 v2, s[28:29], s44, v2
	v_addc_co_u32_e64 v3, s[28:29], v5, v3, s[28:29]
	v_cmp_nlt_f32_e64 s[28:29], s46, v26
	v_mul_f32_e32 v13, v13, v24
	global_load_dword v24, v[2:3], off
	v_cndmask_b32_e64 v2, v56, v4, s[28:29]
	v_cndmask_b32_e64 v2, 0, v2, s[26:27]
	v_mul_f32_e32 v14, v14, v2
	v_mov_b32_e32 v3, s45
	v_add_co_u32_e64 v2, s[26:27], s44, v6
	v_addc_co_u32_e64 v3, s[26:27], v3, v7, s[26:27]
	v_add_co_u32_e64 v4, s[26:27], s44, v8
	v_addc_co_u32_e64 v5, s[26:27], v5, v9, s[26:27]
	global_load_dword v25, v[2:3], off
	global_load_dword v26, v[4:5], off
	v_mov_b32_e32 v3, s45
	v_add_co_u32_e64 v2, s[26:27], s44, v16
	v_addc_co_u32_e64 v3, s[26:27], v3, v17, s[26:27]
	v_mov_b32_e32 v5, s45
	v_add_co_u32_e64 v4, s[26:27], s44, v18
	v_addc_co_u32_e64 v5, s[26:27], v5, v19, s[26:27]
	v_sub_f32_e32 v16, v46, v47
	v_mov_b32_e32 v7, s45
	v_add_co_u32_e64 v6, s[26:27], s44, v20
	v_mul_f32_e32 v17, 0x3fb8aa3b, v16
	v_addc_co_u32_e64 v7, s[26:27], v7, v21, s[26:27]
	v_fma_f32 v18, v16, s43, -v17
	v_rndne_f32_e32 v19, v17
	v_mov_b32_e32 v9, s45
	v_add_co_u32_e64 v8, s[26:27], s44, v22
	v_fmac_f32_e32 v18, 0x32a5705f, v16
	v_sub_f32_e32 v17, v17, v19
	v_addc_co_u32_e64 v9, s[26:27], v9, v23, s[26:27]
	v_add_f32_e32 v17, v17, v18
	v_cvt_i32_f32_e32 v18, v19
	global_load_dword v2, v[2:3], off
	s_nop 0
	global_load_dword v3, v[4:5], off
	global_load_dword v19, v[6:7], off
	;; [unrolled: 1-line block ×3, first 2 shown]
	v_sub_f32_e32 v5, v45, v47
	v_mul_f32_e32 v6, 0x3fb8aa3b, v5
	v_fma_f32 v7, v5, s43, -v6
	v_rndne_f32_e32 v8, v6
	v_fmac_f32_e32 v7, 0x32a5705f, v5
	v_sub_f32_e32 v6, v6, v8
	v_add_f32_e32 v6, v6, v7
	v_exp_f32_e32 v6, v6
	v_cvt_i32_f32_e32 v7, v8
	v_exp_f32_e32 v17, v17
	v_cmp_ngt_f32_e64 s[26:27], s47, v16
	v_ldexp_f32 v6, v6, v7
	v_sub_f32_e32 v7, v43, v47
	v_ldexp_f32 v4, v17, v18
	v_mul_f32_e32 v8, 0x3fb8aa3b, v7
	v_cndmask_b32_e64 v4, 0, v4, s[26:27]
	v_cmp_nlt_f32_e64 s[26:27], s46, v16
	v_fma_f32 v9, v7, s43, -v8
	v_rndne_f32_e32 v16, v8
	v_fmac_f32_e32 v9, 0x32a5705f, v7
	v_sub_f32_e32 v8, v8, v16
	v_add_f32_e32 v8, v8, v9
	v_exp_f32_e32 v8, v8
	v_cvt_i32_f32_e32 v9, v16
	v_cndmask_b32_e64 v4, v56, v4, s[26:27]
	v_cndmask_b32_e64 v4, 0, v4, s[24:25]
	v_cmp_ngt_f32_e64 s[24:25], s47, v5
	v_cndmask_b32_e64 v6, 0, v6, s[24:25]
	v_cmp_nlt_f32_e64 s[24:25], s46, v5
	v_cndmask_b32_e64 v5, v56, v6, s[24:25]
	v_ldexp_f32 v6, v8, v9
	v_sub_f32_e32 v8, v42, v47
	v_mul_f32_e32 v9, 0x3fb8aa3b, v8
	v_fma_f32 v16, v8, s43, -v9
	v_rndne_f32_e32 v17, v9
	v_fmac_f32_e32 v16, 0x32a5705f, v8
	v_sub_f32_e32 v9, v9, v17
	v_add_f32_e32 v9, v9, v16
	v_cndmask_b32_e64 v5, 0, v5, s[22:23]
	v_cmp_ngt_f32_e64 s[22:23], s47, v7
	v_exp_f32_e32 v9, v9
	v_cvt_i32_f32_e32 v16, v17
	v_cndmask_b32_e64 v6, 0, v6, s[22:23]
	v_cmp_nlt_f32_e64 s[22:23], s46, v7
	v_cndmask_b32_e64 v6, v56, v6, s[22:23]
	v_cndmask_b32_e64 v6, 0, v6, s[20:21]
	v_sub_f32_e32 v7, v40, v47
	v_cmp_ngt_f32_e64 s[20:21], s47, v8
	s_waitcnt vmcnt(5)
	v_mul_f32_e32 v17, v25, v6
	v_ldexp_f32 v6, v9, v16
	v_mul_f32_e32 v9, 0x3fb8aa3b, v7
	v_fma_f32 v16, v7, s43, -v9
	v_rndne_f32_e32 v18, v9
	v_fmac_f32_e32 v16, 0x32a5705f, v7
	v_sub_f32_e32 v9, v9, v18
	v_add_f32_e32 v9, v9, v16
	v_exp_f32_e32 v9, v9
	v_cvt_i32_f32_e32 v16, v18
	v_cndmask_b32_e64 v6, 0, v6, s[20:21]
	v_cmp_nlt_f32_e64 s[20:21], s46, v8
	v_cndmask_b32_e64 v6, v56, v6, s[20:21]
	v_cndmask_b32_e64 v6, 0, v6, s[18:19]
	v_sub_f32_e32 v8, v39, v47
	s_waitcnt vmcnt(4)
	v_mul_f32_e32 v18, v26, v6
	v_ldexp_f32 v6, v9, v16
	v_mul_f32_e32 v9, 0x3fb8aa3b, v8
	v_fma_f32 v16, v8, s43, -v9
	v_rndne_f32_e32 v21, v9
	v_fmac_f32_e32 v16, 0x32a5705f, v8
	v_sub_f32_e32 v9, v9, v21
	v_add_f32_e32 v9, v9, v16
	v_cmp_ngt_f32_e64 s[18:19], s47, v7
	v_exp_f32_e32 v9, v9
	v_cvt_i32_f32_e32 v16, v21
	v_cndmask_b32_e64 v6, 0, v6, s[18:19]
	v_cmp_nlt_f32_e64 s[18:19], s46, v7
	v_cndmask_b32_e64 v6, v56, v6, s[18:19]
	v_cndmask_b32_e64 v6, 0, v6, s[16:17]
	v_sub_f32_e32 v7, v35, v47
	s_waitcnt vmcnt(3)
	v_mul_f32_e32 v2, v2, v6
	v_ldexp_f32 v6, v9, v16
	v_mul_f32_e32 v9, 0x3fb8aa3b, v7
	v_fma_f32 v16, v7, s43, -v9
	v_rndne_f32_e32 v21, v9
	v_fmac_f32_e32 v16, 0x32a5705f, v7
	v_sub_f32_e32 v9, v9, v21
	v_add_f32_e32 v9, v9, v16
	v_cmp_ngt_f32_e64 s[16:17], s47, v8
	v_exp_f32_e32 v9, v9
	v_cvt_i32_f32_e32 v16, v21
	v_cndmask_b32_e64 v6, 0, v6, s[16:17]
	v_cmp_nlt_f32_e64 s[16:17], s46, v8
	v_cndmask_b32_e64 v6, v56, v6, s[16:17]
	v_cndmask_b32_e64 v6, 0, v6, s[14:15]
	s_waitcnt vmcnt(2)
	v_mul_f32_e32 v3, v3, v6
	v_ldexp_f32 v6, v9, v16
	v_cmp_ngt_f32_e64 s[14:15], s47, v7
	v_cndmask_b32_e64 v6, 0, v6, s[14:15]
	v_cmp_nlt_f32_e64 s[14:15], s46, v7
	v_mul_f32_e32 v7, 0x3fb8aa3b, v1
	v_fma_f32 v8, v1, s43, -v7
	v_rndne_f32_e32 v9, v7
	v_fmac_f32_e32 v8, 0x32a5705f, v1
	v_sub_f32_e32 v7, v7, v9
	v_add_f32_e32 v7, v7, v8
	v_cvt_i32_f32_e32 v8, v9
	v_sub_f32_e32 v9, v44, v47
	v_mul_f32_e32 v16, 0x3fb8aa3b, v9
	v_fma_f32 v21, v9, s43, -v16
	v_rndne_f32_e32 v22, v16
	v_fmac_f32_e32 v21, 0x32a5705f, v9
	v_sub_f32_e32 v16, v16, v22
	v_exp_f32_e32 v7, v7
	v_add_f32_e32 v16, v16, v21
	v_exp_f32_e32 v16, v16
	v_cvt_i32_f32_e32 v21, v22
	v_cndmask_b32_e64 v6, v56, v6, s[14:15]
	v_cndmask_b32_e64 v6, 0, v6, s[12:13]
	v_ldexp_f32 v7, v7, v8
	v_cmp_ngt_f32_e64 s[12:13], s47, v1
	v_cndmask_b32_e64 v7, 0, v7, s[12:13]
	v_ldexp_f32 v8, v16, v21
	v_cmp_ngt_f32_e64 s[12:13], s47, v9
	v_cndmask_b32_e64 v8, 0, v8, s[12:13]
	v_cmp_nlt_f32_e64 s[12:13], s46, v1
	v_cndmask_b32_e64 v1, v56, v7, s[12:13]
	v_cndmask_b32_e64 v1, 0, v1, s[8:9]
	v_cmp_nlt_f32_e64 s[8:9], s46, v9
	v_cndmask_b32_e64 v7, v56, v8, s[8:9]
	v_cndmask_b32_e64 v7, 0, v7, s[10:11]
	v_mul_f32_e32 v15, v15, v7
	s_waitcnt vmcnt(0)
	v_mul_f32_e32 v7, v20, v1
	v_sub_f32_e32 v1, v41, v47
	v_mul_f32_e32 v9, 0x3fb8aa3b, v1
	v_mul_f32_e32 v6, v19, v6
	v_fma_f32 v16, v1, s43, -v9
	v_rndne_f32_e32 v19, v9
	v_mul_f32_e32 v4, v29, v4
	v_mul_f32_e32 v5, v24, v5
	v_fmac_f32_e32 v16, 0x32a5705f, v1
	v_sub_f32_e32 v9, v9, v19
	v_add_f32_e32 v8, v4, v5
	v_add_f32_e32 v9, v9, v16
	;; [unrolled: 1-line block ×3, first 2 shown]
	v_exp_f32_e32 v9, v9
	v_cvt_i32_f32_e32 v16, v19
	v_add_f32_e32 v8, v8, v18
	v_add_f32_e32 v8, v8, v2
	;; [unrolled: 1-line block ×4, first 2 shown]
	v_ldexp_f32 v8, v9, v16
	v_sub_f32_e32 v9, v38, v47
	v_mul_f32_e32 v16, 0x3fb8aa3b, v9
	v_fma_f32 v20, v9, s43, -v16
	v_rndne_f32_e32 v21, v16
	v_fmac_f32_e32 v20, 0x32a5705f, v9
	v_sub_f32_e32 v16, v16, v21
	v_add_f32_e32 v16, v16, v20
	v_cmp_ngt_f32_e64 s[8:9], s47, v1
	v_exp_f32_e32 v16, v16
	v_cvt_i32_f32_e32 v20, v21
	v_cndmask_b32_e64 v8, 0, v8, s[8:9]
	v_cmp_nlt_f32_e64 s[8:9], s46, v1
	v_cndmask_b32_e64 v1, v56, v8, s[8:9]
	v_cndmask_b32_e64 v1, 0, v1, s[2:3]
	v_mul_f32_e32 v8, v10, v1
	v_ldexp_f32 v1, v16, v20
	v_cmp_ngt_f32_e64 s[2:3], s47, v9
	v_sub_f32_e32 v10, v31, v47
	v_cndmask_b32_e64 v1, 0, v1, s[2:3]
	v_cmp_nlt_f32_e64 s[2:3], s46, v9
	v_mul_f32_e32 v9, 0x3fb8aa3b, v10
	v_fma_f32 v16, v10, s43, -v9
	v_rndne_f32_e32 v20, v9
	v_fmac_f32_e32 v16, 0x32a5705f, v10
	v_sub_f32_e32 v9, v9, v20
	v_add_f32_e32 v9, v9, v16
	v_exp_f32_e32 v16, v9
	v_cvt_i32_f32_e32 v20, v20
	v_cndmask_b32_e64 v1, v56, v1, s[2:3]
	v_cndmask_b32_e64 v1, 0, v1, s[0:1]
	v_mul_f32_e32 v9, v11, v1
	v_ldexp_f32 v1, v16, v20
	v_cmp_ngt_f32_e64 s[0:1], s47, v10
	v_cndmask_b32_e64 v1, 0, v1, s[0:1]
	v_cmp_nlt_f32_e64 s[0:1], s46, v10
	v_add_f32_e32 v19, v19, v7
	v_cndmask_b32_e64 v1, v56, v1, s[0:1]
	v_cndmask_b32_e32 v1, 0, v1, vcc
	v_add_f32_e32 v10, v19, v8
	v_add_f32_e32 v11, v10, v9
	v_mul_f32_e32 v10, v48, v1
	v_add_f32_e32 v1, v11, v10
	v_add_f32_e32 v1, v1, v28
	v_add_f32_e32 v1, v1, v12
	v_add_f32_e32 v1, v1, v13
	v_add_f32_e32 v1, v1, v14
	v_add_f32_e32 v1, v1, v15
	ds_bpermute_b32 v11, v30, v1
	v_lshlrev_b32_e32 v16, 2, v0
	ds_write2st64_b32 v16, v6, v7 offset0:6 offset1:7
	ds_write2st64_b32 v16, v4, v5 offset1:1
	ds_write2st64_b32 v16, v17, v18 offset0:2 offset1:3
	ds_write2st64_b32 v16, v2, v3 offset0:4 offset1:5
	;; [unrolled: 1-line block ×3, first 2 shown]
	v_cmp_eq_u32_e32 vcc, 0, v0
	s_waitcnt lgkmcnt(5)
	v_add_f32_e32 v1, v1, v11
	ds_bpermute_b32 v11, v32, v1
	ds_write2st64_b32 v16, v10, v28 offset0:10 offset1:11
	ds_write2st64_b32 v16, v12, v13 offset0:12 offset1:13
	;; [unrolled: 1-line block ×3, first 2 shown]
	s_waitcnt lgkmcnt(3)
	v_add_f32_e32 v1, v1, v11
	ds_bpermute_b32 v11, v33, v1
	s_waitcnt lgkmcnt(0)
	v_add_f32_e32 v1, v1, v11
	ds_bpermute_b32 v11, v34, v1
	;; [unrolled: 3-line block ×4, first 2 shown]
	s_and_saveexec_b64 s[0:1], vcc
	s_cbranch_execz .LBB323_8
; %bb.7:
	s_waitcnt lgkmcnt(0)
	v_add_f32_e32 v1, v1, v2
	v_mov_b32_e32 v2, 0
	ds_write_b32 v2, v1 offset:4096
.LBB323_8:
	s_or_b64 exec, exec, s[0:1]
	v_mov_b32_e32 v1, s42
.LBB323_9:
	s_or_b64 exec, exec, s[54:55]
	s_lshl_b32 s0, s56, 7
	s_mov_b32 s1, 0
	s_lshl_b64 s[0:1], s[0:1], 1
	s_add_u32 s0, s40, s0
	s_addc_u32 s1, s41, s1
	s_lshl_b32 s10, s33, 7
	s_waitcnt lgkmcnt(0)
	v_lshlrev_b32_e32 v2, 7, v1
	v_mov_b32_e32 v3, 0
	s_add_i32 s11, s10, 0xffffff80
	v_lshlrev_b64 v[4:5], 1, v[2:3]
	s_cmp_lt_i32 s60, 1
	v_mov_b32_e32 v1, s1
	v_add_co_u32_e32 v2, vcc, s0, v4
	s_cselect_b32 s0, s11, 0
	v_addc_co_u32_e32 v1, vcc, v1, v5, vcc
	v_lshlrev_b32_e32 v116, 1, v0
	s_ashr_i32 s1, s0, 31
	v_add_co_u32_e32 v117, vcc, v2, v116
	s_lshl_b64 s[0:1], s[0:1], 1
	v_addc_co_u32_e32 v118, vcc, 0, v1, vcc
	s_cmpk_lt_i32 s60, 0x101
	v_add_co_u32_e32 v0, vcc, s0, v117
	s_cselect_b32 s0, s11, 0x80
	v_mov_b32_e32 v1, s1
	s_ashr_i32 s1, s0, 31
	s_lshl_b64 s[0:1], s[0:1], 1
	v_addc_co_u32_e32 v1, vcc, v118, v1, vcc
	s_cmpk_lt_i32 s60, 0x201
	v_add_co_u32_e32 v4, vcc, s0, v117
	s_cselect_b32 s0, s11, 0x100
	v_mov_b32_e32 v2, s1
	s_ashr_i32 s1, s0, 31
	;; [unrolled: 7-line block ×8, first 2 shown]
	s_lshl_b64 s[0:1], s[0:1], 1
	v_addc_co_u32_e32 v17, vcc, v118, v2, vcc
	s_cmpk_lt_i32 s60, 0x901
	global_load_ushort v42, v[0:1], off
	global_load_ushort v41, v[4:5], off
	;; [unrolled: 1-line block ×8, first 2 shown]
	v_add_co_u32_e32 v0, vcc, s0, v117
	s_cselect_b32 s0, s11, 0x480
	v_mov_b32_e32 v1, s1
	s_ashr_i32 s1, s0, 31
	s_lshl_b64 s[0:1], s[0:1], 1
	v_addc_co_u32_e32 v1, vcc, v118, v1, vcc
	s_cmpk_lt_i32 s60, 0xa01
	v_add_co_u32_e32 v4, vcc, s0, v117
	s_cselect_b32 s0, s11, 0x500
	v_mov_b32_e32 v5, s1
	s_ashr_i32 s1, s0, 31
	s_lshl_b64 s[0:1], s[0:1], 1
	v_addc_co_u32_e32 v5, vcc, v118, v5, vcc
	s_cmpk_lt_i32 s60, 0xb01
	v_add_co_u32_e32 v6, vcc, s0, v117
	s_cselect_b32 s0, s11, 0x580
	v_mov_b32_e32 v7, s1
	s_ashr_i32 s1, s0, 31
	s_lshl_b64 s[0:1], s[0:1], 1
	v_addc_co_u32_e32 v7, vcc, v118, v7, vcc
	s_cmpk_lt_i32 s60, 0xc01
	v_add_co_u32_e32 v8, vcc, s0, v117
	s_cselect_b32 s0, s11, 0x600
	v_mov_b32_e32 v9, s1
	s_ashr_i32 s1, s0, 31
	s_lshl_b64 s[0:1], s[0:1], 1
	v_addc_co_u32_e32 v9, vcc, v118, v9, vcc
	s_cmpk_lt_i32 s60, 0xd01
	v_add_co_u32_e32 v10, vcc, s0, v117
	s_cselect_b32 s0, s11, 0x680
	v_mov_b32_e32 v11, s1
	s_ashr_i32 s1, s0, 31
	s_lshl_b64 s[0:1], s[0:1], 1
	v_addc_co_u32_e32 v11, vcc, v118, v11, vcc
	s_cmpk_lt_i32 s60, 0xe01
	v_add_co_u32_e32 v12, vcc, s0, v117
	s_cselect_b32 s0, s11, 0x700
	v_mov_b32_e32 v13, s1
	s_ashr_i32 s1, s0, 31
	s_lshl_b64 s[0:1], s[0:1], 1
	v_addc_co_u32_e32 v13, vcc, v118, v13, vcc
	s_cmpk_lt_i32 s60, 0xf01
	v_add_co_u32_e32 v14, vcc, s0, v117
	s_cselect_b32 s0, s11, 0x780
	v_mov_b32_e32 v15, s1
	s_ashr_i32 s1, s0, 31
	v_addc_co_u32_e32 v15, vcc, v118, v15, vcc
	s_lshl_b64 s[0:1], s[0:1], 1
	v_mov_b32_e32 v17, s1
	v_add_co_u32_e32 v16, vcc, s0, v117
	v_addc_co_u32_e32 v17, vcc, v118, v17, vcc
	global_load_ushort v49, v[0:1], off
	global_load_ushort v50, v[4:5], off
	global_load_ushort v47, v[6:7], off
	global_load_ushort v48, v[8:9], off
	global_load_ushort v45, v[10:11], off
	global_load_ushort v46, v[12:13], off
	global_load_ushort v43, v[14:15], off
	global_load_ushort v44, v[16:17], off
	s_cmpk_gt_i32 s60, 0x1000
	s_cselect_b64 s[8:9], -1, 0
	s_cmpk_lt_i32 s60, 0x1001
	v_mov_b32_e32 v59, 0
	v_mov_b32_e32 v60, 0
	;; [unrolled: 1-line block ×48, first 2 shown]
	s_barrier
	s_cbranch_scc1 .LBB323_12
; %bb.10:
	s_cmpk_lt_u32 s60, 0x1101
	s_cselect_b32 s0, s11, 0x880
	s_ashr_i32 s1, s0, 31
	v_add_co_u32_e32 v0, vcc, 0x1000, v117
	s_lshl_b64 s[0:1], s[0:1], 1
	v_addc_co_u32_e32 v1, vcc, 0, v118, vcc
	s_cmpk_lt_u32 s60, 0x1201
	v_add_co_u32_e32 v4, vcc, s0, v117
	s_cselect_b32 s0, s11, 0x900
	v_mov_b32_e32 v5, s1
	s_ashr_i32 s1, s0, 31
	s_lshl_b64 s[0:1], s[0:1], 1
	v_addc_co_u32_e32 v5, vcc, v118, v5, vcc
	s_cmpk_lt_u32 s60, 0x1301
	v_add_co_u32_e32 v6, vcc, s0, v117
	s_cselect_b32 s0, s11, 0x980
	v_mov_b32_e32 v7, s1
	s_ashr_i32 s1, s0, 31
	;; [unrolled: 7-line block ×7, first 2 shown]
	s_lshl_b64 s[0:1], s[0:1], 1
	v_addc_co_u32_e32 v17, vcc, v118, v17, vcc
	s_cmpk_lt_u32 s60, 0x1901
	global_load_ushort v58, v[0:1], off
	global_load_ushort v57, v[4:5], off
	;; [unrolled: 1-line block ×8, first 2 shown]
	v_add_co_u32_e32 v0, vcc, s0, v117
	s_cselect_b32 s0, s11, 0xc80
	v_mov_b32_e32 v1, s1
	s_ashr_i32 s1, s0, 31
	s_lshl_b64 s[0:1], s[0:1], 1
	v_addc_co_u32_e32 v1, vcc, v118, v1, vcc
	s_cmpk_lt_u32 s60, 0x1a01
	v_add_co_u32_e32 v4, vcc, s0, v117
	s_cselect_b32 s0, s11, 0xd00
	v_mov_b32_e32 v5, s1
	s_ashr_i32 s1, s0, 31
	s_lshl_b64 s[0:1], s[0:1], 1
	v_addc_co_u32_e32 v5, vcc, v118, v5, vcc
	s_cmpk_lt_u32 s60, 0x1b01
	;; [unrolled: 7-line block ×6, first 2 shown]
	v_add_co_u32_e32 v14, vcc, s0, v117
	s_cselect_b32 s0, s11, 0xf80
	v_mov_b32_e32 v15, s1
	s_ashr_i32 s1, s0, 31
	v_addc_co_u32_e32 v15, vcc, v118, v15, vcc
	s_lshl_b64 s[0:1], s[0:1], 1
	v_mov_b32_e32 v17, s1
	v_add_co_u32_e32 v16, vcc, s0, v117
	v_addc_co_u32_e32 v17, vcc, v118, v17, vcc
	global_load_ushort v66, v[0:1], off
	global_load_ushort v65, v[4:5], off
	;; [unrolled: 1-line block ×8, first 2 shown]
	s_cmpk_lt_u32 s60, 0x2001
	v_mov_b32_e32 v33, 0
	v_mov_b32_e32 v31, 0
	v_mov_b32_e32 v32, 0
	v_mov_b32_e32 v29, 0
	v_mov_b32_e32 v30, 0
	v_mov_b32_e32 v27, 0
	v_mov_b32_e32 v28, 0
	v_mov_b32_e32 v25, 0
	v_mov_b32_e32 v26, 0
	v_mov_b32_e32 v23, 0
	v_mov_b32_e32 v24, 0
	v_mov_b32_e32 v21, 0
	v_mov_b32_e32 v22, 0
	v_mov_b32_e32 v19, 0
	v_mov_b32_e32 v20, 0
	v_mov_b32_e32 v18, 0
	v_mov_b32_e32 v17, 0
	v_mov_b32_e32 v15, 0
	v_mov_b32_e32 v16, 0
	v_mov_b32_e32 v14, 0
	v_mov_b32_e32 v13, 0
	v_mov_b32_e32 v12, 0
	v_mov_b32_e32 v11, 0
	v_mov_b32_e32 v10, 0
	v_mov_b32_e32 v9, 0
	v_mov_b32_e32 v8, 0
	v_mov_b32_e32 v7, 0
	v_mov_b32_e32 v6, 0
	v_mov_b32_e32 v5, 0
	v_mov_b32_e32 v4, 0
	v_mov_b32_e32 v1, 0
	v_mov_b32_e32 v0, 0
	s_cbranch_scc1 .LBB323_12
; %bb.11:
	s_cmpk_lt_u32 s60, 0x2101
	s_cselect_b32 s0, s11, 0x1080
	s_ashr_i32 s1, s0, 31
	s_lshl_b64 s[0:1], s[0:1], 1
	s_cmpk_lt_u32 s60, 0x2201
	v_add_co_u32_e32 v0, vcc, s0, v117
	s_cselect_b32 s0, s11, 0x1100
	v_mov_b32_e32 v1, s1
	s_ashr_i32 s1, s0, 31
	s_lshl_b64 s[0:1], s[0:1], 1
	v_addc_co_u32_e32 v1, vcc, v118, v1, vcc
	s_cmpk_lt_u32 s60, 0x2301
	v_add_co_u32_e32 v4, vcc, s0, v117
	s_cselect_b32 s0, s11, 0x1180
	v_mov_b32_e32 v5, s1
	s_ashr_i32 s1, s0, 31
	s_lshl_b64 s[0:1], s[0:1], 1
	v_addc_co_u32_e32 v5, vcc, v118, v5, vcc
	s_cmpk_lt_u32 s60, 0x2401
	v_add_co_u32_e32 v6, vcc, s0, v117
	s_cselect_b32 s0, s11, 0x1200
	v_mov_b32_e32 v7, s1
	s_ashr_i32 s1, s0, 31
	s_lshl_b64 s[0:1], s[0:1], 1
	v_addc_co_u32_e32 v7, vcc, v118, v7, vcc
	s_cmpk_lt_u32 s60, 0x2501
	v_add_co_u32_e32 v8, vcc, s0, v117
	s_cselect_b32 s0, s11, 0x1280
	v_mov_b32_e32 v9, s1
	s_ashr_i32 s1, s0, 31
	s_lshl_b64 s[0:1], s[0:1], 1
	v_addc_co_u32_e32 v9, vcc, v118, v9, vcc
	s_cmpk_lt_u32 s60, 0x2601
	v_add_co_u32_e32 v10, vcc, s0, v117
	s_cselect_b32 s0, s11, 0x1300
	v_mov_b32_e32 v11, s1
	s_ashr_i32 s1, s0, 31
	s_lshl_b64 s[0:1], s[0:1], 1
	v_addc_co_u32_e32 v11, vcc, v118, v11, vcc
	s_cmpk_lt_u32 s60, 0x2701
	v_add_co_u32_e32 v12, vcc, s0, v117
	s_cselect_b32 s0, s11, 0x1380
	v_mov_b32_e32 v13, s1
	s_ashr_i32 s1, s0, 31
	s_lshl_b64 s[0:1], s[0:1], 1
	v_addc_co_u32_e32 v13, vcc, v118, v13, vcc
	s_cmpk_lt_u32 s60, 0x2801
	v_add_co_u32_e32 v14, vcc, s0, v117
	s_cselect_b32 s0, s11, 0x1400
	v_mov_b32_e32 v15, s1
	s_ashr_i32 s1, s0, 31
	s_lshl_b64 s[0:1], s[0:1], 1
	v_addc_co_u32_e32 v15, vcc, v118, v15, vcc
	s_cmpk_lt_u32 s60, 0x2901
	v_add_co_u32_e32 v16, vcc, s0, v117
	s_cselect_b32 s0, s11, 0x1480
	v_mov_b32_e32 v17, s1
	s_ashr_i32 s1, s0, 31
	s_lshl_b64 s[0:1], s[0:1], 1
	v_addc_co_u32_e32 v17, vcc, v118, v17, vcc
	s_cmpk_lt_u32 s60, 0x2a01
	v_add_co_u32_e32 v18, vcc, s0, v117
	s_cselect_b32 s0, s11, 0x1500
	v_mov_b32_e32 v19, s1
	s_ashr_i32 s1, s0, 31
	s_lshl_b64 s[0:1], s[0:1], 1
	v_addc_co_u32_e32 v19, vcc, v118, v19, vcc
	s_cmpk_lt_u32 s60, 0x2b01
	v_add_co_u32_e32 v20, vcc, s0, v117
	s_cselect_b32 s0, s11, 0x1580
	v_mov_b32_e32 v21, s1
	s_ashr_i32 s1, s0, 31
	s_lshl_b64 s[0:1], s[0:1], 1
	v_addc_co_u32_e32 v21, vcc, v118, v21, vcc
	s_cmpk_lt_u32 s60, 0x2c01
	v_add_co_u32_e32 v24, vcc, s0, v117
	s_cselect_b32 s0, s11, 0x1600
	v_mov_b32_e32 v22, s1
	s_ashr_i32 s1, s0, 31
	s_lshl_b64 s[0:1], s[0:1], 1
	v_addc_co_u32_e32 v25, vcc, v118, v22, vcc
	s_cmpk_lt_u32 s60, 0x2d01
	v_add_co_u32_e32 v28, vcc, s0, v117
	s_cselect_b32 s0, s11, 0x1680
	v_mov_b32_e32 v22, s1
	s_ashr_i32 s1, s0, 31
	s_lshl_b64 s[0:1], s[0:1], 1
	v_addc_co_u32_e32 v29, vcc, v118, v22, vcc
	s_cmpk_lt_u32 s60, 0x2e01
	v_add_co_u32_e32 v32, vcc, s0, v117
	s_cselect_b32 s0, s11, 0x1700
	v_mov_b32_e32 v22, s1
	s_ashr_i32 s1, s0, 31
	s_lshl_b64 s[0:1], s[0:1], 1
	v_addc_co_u32_e32 v33, vcc, v118, v22, vcc
	s_cmpk_lt_u32 s60, 0x2f01
	v_add_co_u32_e32 v68, vcc, s0, v117
	s_cselect_b32 s0, s11, 0x1780
	v_mov_b32_e32 v22, s1
	s_ashr_i32 s1, s0, 31
	s_lshl_b64 s[0:1], s[0:1], 1
	v_addc_co_u32_e32 v69, vcc, v118, v22, vcc
	s_cmpk_lt_u32 s60, 0x3001
	v_add_co_u32_e32 v22, vcc, s0, v117
	s_cselect_b32 s0, s11, 0x1800
	v_mov_b32_e32 v23, s1
	s_ashr_i32 s1, s0, 31
	s_lshl_b64 s[0:1], s[0:1], 1
	v_addc_co_u32_e32 v23, vcc, v118, v23, vcc
	s_cmpk_lt_u32 s60, 0x3101
	v_add_co_u32_e32 v26, vcc, s0, v117
	s_cselect_b32 s0, s11, 0x1880
	v_mov_b32_e32 v27, s1
	s_ashr_i32 s1, s0, 31
	s_lshl_b64 s[0:1], s[0:1], 1
	v_addc_co_u32_e32 v27, vcc, v118, v27, vcc
	s_cmpk_lt_u32 s60, 0x3201
	v_add_co_u32_e32 v30, vcc, s0, v117
	s_cselect_b32 s0, s11, 0x1900
	v_mov_b32_e32 v31, s1
	s_ashr_i32 s1, s0, 31
	s_lshl_b64 s[0:1], s[0:1], 1
	v_addc_co_u32_e32 v31, vcc, v118, v31, vcc
	s_cmpk_lt_u32 s60, 0x3301
	v_add_co_u32_e32 v34, vcc, s0, v117
	s_cselect_b32 s0, s11, 0x1980
	v_mov_b32_e32 v35, s1
	s_ashr_i32 s1, s0, 31
	s_lshl_b64 s[0:1], s[0:1], 1
	v_addc_co_u32_e32 v35, vcc, v118, v35, vcc
	s_cmpk_lt_u32 s60, 0x3401
	v_add_co_u32_e32 v70, vcc, s0, v117
	s_cselect_b32 s0, s11, 0x1a00
	v_mov_b32_e32 v67, s1
	s_ashr_i32 s1, s0, 31
	s_lshl_b64 s[0:1], s[0:1], 1
	v_addc_co_u32_e32 v71, vcc, v118, v67, vcc
	s_cmpk_lt_u32 s60, 0x3501
	v_add_co_u32_e32 v72, vcc, s0, v117
	s_cselect_b32 s0, s11, 0x1a80
	v_mov_b32_e32 v67, s1
	s_ashr_i32 s1, s0, 31
	s_lshl_b64 s[0:1], s[0:1], 1
	v_addc_co_u32_e32 v73, vcc, v118, v67, vcc
	s_cmpk_lt_u32 s60, 0x3601
	v_add_co_u32_e32 v74, vcc, s0, v117
	s_cselect_b32 s0, s11, 0x1b00
	v_mov_b32_e32 v67, s1
	s_ashr_i32 s1, s0, 31
	s_lshl_b64 s[0:1], s[0:1], 1
	v_addc_co_u32_e32 v75, vcc, v118, v67, vcc
	s_cmpk_lt_u32 s60, 0x3701
	v_add_co_u32_e32 v76, vcc, s0, v117
	s_cselect_b32 s0, s11, 0x1b80
	v_mov_b32_e32 v67, s1
	s_ashr_i32 s1, s0, 31
	s_lshl_b64 s[0:1], s[0:1], 1
	v_addc_co_u32_e32 v77, vcc, v118, v67, vcc
	s_cmpk_lt_u32 s60, 0x3801
	v_add_co_u32_e32 v78, vcc, s0, v117
	s_cselect_b32 s0, s11, 0x1c00
	v_mov_b32_e32 v67, s1
	s_ashr_i32 s1, s0, 31
	s_lshl_b64 s[0:1], s[0:1], 1
	v_addc_co_u32_e32 v79, vcc, v118, v67, vcc
	s_cmpk_lt_u32 s60, 0x3901
	v_add_co_u32_e32 v80, vcc, s0, v117
	s_cselect_b32 s0, s11, 0x1c80
	v_mov_b32_e32 v67, s1
	s_ashr_i32 s1, s0, 31
	s_lshl_b64 s[0:1], s[0:1], 1
	v_addc_co_u32_e32 v81, vcc, v118, v67, vcc
	s_cmpk_lt_u32 s60, 0x3a01
	v_add_co_u32_e32 v82, vcc, s0, v117
	s_cselect_b32 s0, s11, 0x1d00
	v_mov_b32_e32 v67, s1
	s_ashr_i32 s1, s0, 31
	s_lshl_b64 s[0:1], s[0:1], 1
	v_addc_co_u32_e32 v83, vcc, v118, v67, vcc
	s_cmpk_lt_u32 s60, 0x3b01
	v_add_co_u32_e32 v84, vcc, s0, v117
	s_cselect_b32 s0, s11, 0x1d80
	v_mov_b32_e32 v67, s1
	s_ashr_i32 s1, s0, 31
	s_lshl_b64 s[0:1], s[0:1], 1
	v_addc_co_u32_e32 v85, vcc, v118, v67, vcc
	s_cmpk_lt_u32 s60, 0x3c01
	v_add_co_u32_e32 v86, vcc, s0, v117
	s_cselect_b32 s0, s11, 0x1e00
	v_mov_b32_e32 v67, s1
	s_ashr_i32 s1, s0, 31
	s_lshl_b64 s[0:1], s[0:1], 1
	v_addc_co_u32_e32 v87, vcc, v118, v67, vcc
	s_cmpk_lt_u32 s60, 0x3d01
	v_add_co_u32_e32 v88, vcc, s0, v117
	s_cselect_b32 s0, s11, 0x1e80
	v_mov_b32_e32 v67, s1
	s_ashr_i32 s1, s0, 31
	s_lshl_b64 s[0:1], s[0:1], 1
	v_addc_co_u32_e32 v89, vcc, v118, v67, vcc
	s_cmpk_lt_u32 s60, 0x3e01
	v_add_co_u32_e32 v90, vcc, s0, v117
	s_cselect_b32 s0, s11, 0x1f00
	v_mov_b32_e32 v67, s1
	s_ashr_i32 s1, s0, 31
	s_lshl_b64 s[0:1], s[0:1], 1
	v_addc_co_u32_e32 v91, vcc, v118, v67, vcc
	s_cmpk_lt_u32 s60, 0x3f01
	v_add_co_u32_e32 v92, vcc, s0, v117
	s_cselect_b32 s0, s11, 0x1f80
	v_mov_b32_e32 v67, s1
	s_ashr_i32 s1, s0, 31
	s_lshl_b64 s[0:1], s[0:1], 1
	v_addc_co_u32_e32 v93, vcc, v118, v67, vcc
	v_mov_b32_e32 v67, s1
	s_movk_i32 s1, 0x2000
	v_add_co_u32_e32 v94, vcc, s1, v117
	v_addc_co_u32_e32 v95, vcc, 0, v118, vcc
	global_load_ushort v96, v[94:95], off
	global_load_ushort v97, v[0:1], off
	;; [unrolled: 1-line block ×15, first 2 shown]
                                        ; kill: killed $vgpr68 killed $vgpr69
                                        ; kill: killed $vgpr12 killed $vgpr13
                                        ; kill: killed $vgpr18 killed $vgpr19
                                        ; kill: killed $vgpr0 killed $vgpr1
                                        ; kill: killed $vgpr28 killed $vgpr29
                                        ; kill: killed $vgpr8 killed $vgpr9
                                        ; kill: killed $vgpr14 killed $vgpr15
                                        ; kill: killed $vgpr20 killed $vgpr21
                                        ; kill: killed $vgpr4 killed $vgpr5
                                        ; kill: killed $vgpr94 killed $vgpr95
                                        ; kill: killed $vgpr32 killed $vgpr33
                                        ; kill: killed $vgpr10 killed $vgpr11
                                        ; kill: killed $vgpr16 killed $vgpr17
                                        ; kill: killed $vgpr24 killed $vgpr25
                                        ; kill: killed $vgpr6 killed $vgpr7
	global_load_ushort v4, v[22:23], off
	global_load_ushort v5, v[26:27], off
	;; [unrolled: 1-line block ×15, first 2 shown]
                                        ; kill: killed $vgpr92 killed $vgpr93
                                        ; kill: killed $vgpr76 killed $vgpr77
                                        ; kill: killed $vgpr82 killed $vgpr83
                                        ; kill: killed $vgpr30 killed $vgpr31
                                        ; kill: killed $vgpr88 killed $vgpr89
                                        ; kill: killed $vgpr72 killed $vgpr73
                                        ; kill: killed $vgpr78 killed $vgpr79
                                        ; kill: killed $vgpr22 killed $vgpr23
                                        ; kill: killed $vgpr34 killed $vgpr35
                                        ; kill: killed $vgpr90 killed $vgpr91
                                        ; kill: killed $vgpr74 killed $vgpr75
                                        ; kill: killed $vgpr80 killed $vgpr81
                                        ; kill: killed $vgpr26 killed $vgpr27
                                        ; kill: killed $vgpr86 killed $vgpr87
                                        ; kill: killed $vgpr70 killed $vgpr71
	global_load_ushort v34, v[84:85], off
	v_add_co_u32_e32 v0, vcc, s0, v117
	v_addc_co_u32_e32 v1, vcc, v118, v67, vcc
	global_load_ushort v1, v[0:1], off
	s_waitcnt vmcnt(31)
	v_lshlrev_b32_e32 v33, 16, v96
	s_waitcnt vmcnt(30)
	v_lshlrev_b32_e32 v31, 16, v97
	s_waitcnt vmcnt(29)
	v_lshlrev_b32_e32 v32, 16, v98
	s_waitcnt vmcnt(28)
	v_lshlrev_b32_e32 v29, 16, v99
	s_waitcnt vmcnt(27)
	v_lshlrev_b32_e32 v30, 16, v100
	s_waitcnt vmcnt(26)
	v_lshlrev_b32_e32 v27, 16, v101
	s_waitcnt vmcnt(25)
	v_lshlrev_b32_e32 v28, 16, v102
	s_waitcnt vmcnt(24)
	v_lshlrev_b32_e32 v25, 16, v103
	s_waitcnt vmcnt(23)
	v_lshlrev_b32_e32 v26, 16, v104
	s_waitcnt vmcnt(22)
	v_lshlrev_b32_e32 v23, 16, v105
	s_waitcnt vmcnt(21)
	v_lshlrev_b32_e32 v24, 16, v106
	s_waitcnt vmcnt(20)
	v_lshlrev_b32_e32 v21, 16, v107
	s_waitcnt vmcnt(19)
	v_lshlrev_b32_e32 v22, 16, v108
	s_waitcnt vmcnt(18)
	v_lshlrev_b32_e32 v19, 16, v109
	s_waitcnt vmcnt(17)
	v_lshlrev_b32_e32 v20, 16, v110
	s_waitcnt vmcnt(16)
	v_lshlrev_b32_e32 v18, 16, v4
	s_waitcnt vmcnt(15)
	v_lshlrev_b32_e32 v17, 16, v5
	s_waitcnt vmcnt(14)
	v_lshlrev_b32_e32 v15, 16, v6
	s_waitcnt vmcnt(13)
	v_lshlrev_b32_e32 v16, 16, v7
	s_waitcnt vmcnt(12)
	v_lshlrev_b32_e32 v14, 16, v8
	s_waitcnt vmcnt(11)
	v_lshlrev_b32_e32 v8, 16, v9
	s_waitcnt vmcnt(10)
	v_lshlrev_b32_e32 v11, 16, v11
	s_waitcnt vmcnt(9)
	v_lshlrev_b32_e32 v10, 16, v10
	s_waitcnt vmcnt(8)
	v_lshlrev_b32_e32 v13, 16, v13
	s_waitcnt vmcnt(7)
	v_lshlrev_b32_e32 v12, 16, v12
	s_waitcnt vmcnt(6)
	v_lshlrev_b32_e32 v9, 16, v68
	s_waitcnt vmcnt(5)
	v_lshlrev_b32_e32 v0, 16, v69
	s_waitcnt vmcnt(4)
	v_lshlrev_b32_e32 v5, 16, v94
	s_waitcnt vmcnt(3)
	v_lshlrev_b32_e32 v4, 16, v95
	s_waitcnt vmcnt(2)
	v_lshlrev_b32_e32 v7, 16, v111
	s_waitcnt vmcnt(1)
	v_lshlrev_b32_e32 v6, 16, v34
	s_waitcnt vmcnt(0)
	v_lshlrev_b32_e32 v1, 16, v1
.LBB323_12:
	s_load_dwordx2 s[0:1], s[4:5], 0x0
	s_load_dwordx2 s[2:3], s[4:5], 0x38
	ds_read_b128 v[68:71], v3
	s_waitcnt vmcnt(15)
	v_lshlrev_b32_e32 v34, 16, v42
	ds_read_b128 v[72:75], v3 offset:16
	ds_read_b128 v[76:79], v3 offset:32
	;; [unrolled: 1-line block ×3, first 2 shown]
	s_waitcnt vmcnt(10)
	v_lshlrev_b32_e32 v35, 16, v38
	s_and_b64 vcc, exec, s[8:9]
	s_waitcnt lgkmcnt(0)
	v_fma_f32 v42, v68, v34, 0
	v_lshlrev_b32_e32 v34, 16, v41
	v_fmac_f32_e32 v42, v69, v34
	v_lshlrev_b32_e32 v34, 16, v40
	v_fmac_f32_e32 v42, v70, v34
	v_lshlrev_b32_e32 v34, 16, v39
	v_fmac_f32_e32 v42, v71, v34
	v_lshlrev_b32_e32 v34, 16, v37
	v_pk_mul_f32 v[34:35], v[72:73], v[34:35]
	v_add_f32_e32 v34, v42, v34
	v_add_f32_e32 v37, v34, v35
	s_waitcnt vmcnt(8)
	v_lshlrev_b32_e32 v35, 16, v36
	v_lshlrev_b32_e32 v34, 16, v2
	v_pk_mul_f32 v[34:35], v[74:75], v[34:35]
	v_add_f32_e32 v2, v37, v34
	v_add_f32_e32 v2, v2, v35
	s_waitcnt vmcnt(6)
	v_lshlrev_b32_e32 v35, 16, v50
	;; [unrolled: 6-line block ×5, first 2 shown]
	v_lshlrev_b32_e32 v34, 16, v43
	v_pk_mul_f32 v[34:35], v[82:83], v[34:35]
	v_add_f32_e32 v2, v2, v34
	v_add_f32_e32 v119, v2, v35
	s_cbranch_vccz .LBB323_15
; %bb.13:
	ds_read_b128 v[34:37], v3 offset:64
	v_lshlrev_b32_e32 v2, 16, v58
	ds_read_b128 v[38:41], v3 offset:80
	ds_read_b128 v[42:45], v3 offset:96
	;; [unrolled: 1-line block ×3, first 2 shown]
	s_cmpk_lt_u32 s60, 0x2001
	s_waitcnt lgkmcnt(3)
	v_fmac_f32_e32 v119, v34, v2
	v_lshlrev_b32_e32 v2, 16, v57
	v_fmac_f32_e32 v119, v35, v2
	v_lshlrev_b32_e32 v2, 16, v56
	v_fmac_f32_e32 v119, v36, v2
	v_lshlrev_b32_e32 v2, 16, v55
	v_fmac_f32_e32 v119, v37, v2
	v_lshlrev_b32_e32 v2, 16, v54
	s_waitcnt lgkmcnt(2)
	v_fmac_f32_e32 v119, v38, v2
	v_lshlrev_b32_e32 v2, 16, v53
	v_fmac_f32_e32 v119, v39, v2
	v_lshlrev_b32_e32 v2, 16, v52
	v_fmac_f32_e32 v119, v40, v2
	v_lshlrev_b32_e32 v2, 16, v51
	v_fmac_f32_e32 v119, v41, v2
	v_lshlrev_b32_e32 v2, 16, v66
	;; [unrolled: 9-line block ×3, first 2 shown]
	s_waitcnt lgkmcnt(0)
	v_fmac_f32_e32 v119, v46, v2
	v_lshlrev_b32_e32 v2, 16, v61
	v_fmac_f32_e32 v119, v47, v2
	v_lshlrev_b32_e32 v2, 16, v60
	;; [unrolled: 2-line block ×3, first 2 shown]
	v_fmac_f32_e32 v119, v49, v2
	s_cbranch_scc1 .LBB323_15
; %bb.14:
	v_mov_b32_e32 v50, 0
	ds_read_b128 v[34:37], v50 offset:128
	ds_read_b128 v[38:41], v50 offset:144
	;; [unrolled: 1-line block ×4, first 2 shown]
	s_waitcnt lgkmcnt(3)
	v_fmac_f32_e32 v119, v34, v33
	v_fmac_f32_e32 v119, v35, v31
	v_fmac_f32_e32 v119, v36, v32
	v_fmac_f32_e32 v119, v37, v29
	s_waitcnt lgkmcnt(2)
	v_fmac_f32_e32 v119, v38, v30
	v_fmac_f32_e32 v119, v39, v27
	v_fmac_f32_e32 v119, v40, v28
	v_fmac_f32_e32 v119, v41, v25
	;; [unrolled: 5-line block ×3, first 2 shown]
	s_waitcnt lgkmcnt(0)
	v_fmac_f32_e32 v119, v46, v22
	ds_read_b128 v[22:25], v50 offset:192
	v_fmac_f32_e32 v119, v47, v19
	v_fmac_f32_e32 v119, v48, v20
	;; [unrolled: 1-line block ×3, first 2 shown]
	ds_read_b128 v[18:21], v50 offset:208
	s_waitcnt lgkmcnt(1)
	v_fmac_f32_e32 v119, v22, v17
	v_fmac_f32_e32 v119, v23, v15
	;; [unrolled: 1-line block ×4, first 2 shown]
	s_waitcnt lgkmcnt(0)
	v_pk_mul_f32 v[2:3], v[18:19], v[12:13]
	ds_read_b128 v[12:15], v50 offset:224
	v_add_f32_e32 v2, v119, v2
	v_add_f32_e32 v16, v2, v3
	v_pk_mul_f32 v[2:3], v[20:21], v[10:11]
	v_add_f32_e32 v2, v16, v2
	ds_read_b128 v[16:19], v50 offset:240
	v_add_f32_e32 v10, v2, v3
	s_waitcnt lgkmcnt(1)
	v_pk_mul_f32 v[2:3], v[12:13], v[8:9]
	v_add_f32_e32 v2, v10, v2
	v_add_f32_e32 v8, v2, v3
	v_pk_mul_f32 v[2:3], v[14:15], v[6:7]
	v_add_f32_e32 v2, v8, v2
	v_add_f32_e32 v6, v2, v3
	s_waitcnt lgkmcnt(0)
	v_pk_mul_f32 v[2:3], v[16:17], v[4:5]
	v_add_f32_e32 v2, v6, v2
	v_add_f32_e32 v2, v2, v3
	v_pk_mul_f32 v[0:1], v[18:19], v[0:1]
	v_add_f32_e32 v0, v2, v0
	v_add_f32_e32 v119, v0, v1
.LBB323_15:
	s_movk_i32 s4, 0x3f80
	s_movk_i32 s5, 0x100
	s_mov_b32 s8, 64
	s_branch .LBB323_17
.LBB323_16:                             ;   in Loop: Header=BB323_17 Depth=1
	s_addk_i32 s4, 0x2000
	s_addk_i32 s5, 0x100
	s_add_i32 s8, s8, 64
	s_cmp_eq_u32 s4, 0x21f80
	s_cbranch_scc1 .LBB323_19
.LBB323_17:                             ; =>This Inner Loop Header: Depth=1
	s_cmp_le_i32 s33, s8
	s_cbranch_scc1 .LBB323_16
; %bb.18:                               ;   in Loop: Header=BB323_17 Depth=1
	s_add_i32 s9, s4, 0xffffe080
	s_cmp_lt_i32 s9, s10
	s_cselect_b32 s12, s9, s11
	s_ashr_i32 s13, s12, 31
	s_lshl_b64 s[12:13], s[12:13], 1
	s_add_i32 s9, s4, 0xffffe100
	s_cmp_lt_i32 s9, s10
	v_add_co_u32_e32 v2, vcc, s12, v117
	s_cselect_b32 s12, s9, s11
	v_mov_b32_e32 v0, s13
	s_ashr_i32 s13, s12, 31
	s_lshl_b64 s[12:13], s[12:13], 1
	s_add_i32 s9, s4, 0xffffe180
	v_addc_co_u32_e32 v3, vcc, v118, v0, vcc
	s_cmp_lt_i32 s9, s10
	v_add_co_u32_e32 v0, vcc, s12, v117
	s_cselect_b32 s12, s9, s11
	v_mov_b32_e32 v1, s13
	s_ashr_i32 s13, s12, 31
	s_lshl_b64 s[12:13], s[12:13], 1
	s_add_i32 s9, s4, 0xffffe200
	v_addc_co_u32_e32 v1, vcc, v118, v1, vcc
	;; [unrolled: 8-line block ×21, first 2 shown]
	s_cmp_lt_i32 s9, s10
	global_load_ushort v120, v[2:3], off
	global_load_ushort v122, v[4:5], off
	;; [unrolled: 1-line block ×4, first 2 shown]
	v_add_co_u32_e32 v42, vcc, s12, v117
	s_cselect_b32 s12, s9, s11
	v_mov_b32_e32 v43, s13
	s_ashr_i32 s13, s12, 31
	s_lshl_b64 s[12:13], s[12:13], 1
	s_add_i32 s9, s4, 0xffffec00
	v_addc_co_u32_e32 v43, vcc, v118, v43, vcc
	s_cmp_lt_i32 s9, s10
	v_add_co_u32_e32 v44, vcc, s12, v117
	s_cselect_b32 s12, s9, s11
	v_mov_b32_e32 v45, s13
	s_ashr_i32 s13, s12, 31
	s_lshl_b64 s[12:13], s[12:13], 1
	s_add_i32 s9, s4, 0xffffec80
	v_addc_co_u32_e32 v45, vcc, v118, v45, vcc
	s_cmp_lt_i32 s9, s10
	;; [unrolled: 8-line block ×8, first 2 shown]
	global_load_ushort v121, v[0:1], off
	v_add_co_u32_e32 v58, vcc, s12, v117
	s_cselect_b32 s12, s9, s11
	v_mov_b32_e32 v59, s13
	s_ashr_i32 s13, s12, 31
	s_lshl_b64 s[12:13], s[12:13], 1
	s_add_i32 s9, s4, 0xfffff000
	v_addc_co_u32_e32 v59, vcc, v118, v59, vcc
	s_cmp_lt_i32 s9, s10
	v_add_co_u32_e32 v60, vcc, s12, v117
	s_cselect_b32 s12, s9, s11
	global_load_ushort v125, v[10:11], off
	global_load_ushort v126, v[12:13], off
	v_mov_b32_e32 v61, s13
	s_ashr_i32 s13, s12, 31
	global_load_ushort v127, v[14:15], off
	global_load_ushort v128, v[16:17], off
	;; [unrolled: 1-line block ×3, first 2 shown]
	s_lshl_b64 s[12:13], s[12:13], 1
	s_add_i32 s9, s4, 0xfffff080
	v_addc_co_u32_e32 v61, vcc, v118, v61, vcc
	s_cmp_lt_i32 s9, s10
	v_add_co_u32_e32 v62, vcc, s12, v117
	s_cselect_b32 s12, s9, s11
	v_mov_b32_e32 v63, s13
	s_ashr_i32 s13, s12, 31
	s_lshl_b64 s[12:13], s[12:13], 1
	s_add_i32 s9, s4, 0xfffff100
	v_addc_co_u32_e32 v63, vcc, v118, v63, vcc
	s_cmp_lt_i32 s9, s10
	v_add_co_u32_e32 v64, vcc, s12, v117
	s_cselect_b32 s12, s9, s11
	v_mov_b32_e32 v65, s13
	s_ashr_i32 s13, s12, 31
	global_load_ushort v130, v[20:21], off
	global_load_ushort v131, v[22:23], off
	s_lshl_b64 s[12:13], s[12:13], 1
	s_add_i32 s9, s4, 0xfffff180
	v_addc_co_u32_e32 v65, vcc, v118, v65, vcc
	s_cmp_lt_i32 s9, s10
	global_load_ushort v132, v[24:25], off
	global_load_ushort v133, v[26:27], off
	v_add_co_u32_e32 v66, vcc, s12, v117
	s_cselect_b32 s12, s9, s11
	v_mov_b32_e32 v67, s13
	s_ashr_i32 s13, s12, 31
	s_lshl_b64 s[12:13], s[12:13], 1
	s_add_i32 s9, s4, 0xfffff200
	v_addc_co_u32_e32 v67, vcc, v118, v67, vcc
	s_cmp_lt_i32 s9, s10
	v_add_co_u32_e32 v68, vcc, s12, v117
	s_cselect_b32 s12, s9, s11
	v_mov_b32_e32 v69, s13
	s_ashr_i32 s13, s12, 31
	global_load_ushort v134, v[28:29], off
	global_load_ushort v135, v[30:31], off
	s_lshl_b64 s[12:13], s[12:13], 1
	s_add_i32 s9, s4, 0xfffff280
	v_addc_co_u32_e32 v69, vcc, v118, v69, vcc
	s_cmp_lt_i32 s9, s10
	v_add_co_u32_e32 v70, vcc, s12, v117
	s_cselect_b32 s12, s9, s11
	v_mov_b32_e32 v71, s13
	s_ashr_i32 s13, s12, 31
	s_lshl_b64 s[12:13], s[12:13], 1
	s_add_i32 s9, s4, 0xfffff300
	global_load_ushort v28, v[32:33], off
	global_load_ushort v29, v[34:35], off
	;; [unrolled: 1-line block ×4, first 2 shown]
	v_addc_co_u32_e32 v71, vcc, v118, v71, vcc
	s_cmp_lt_i32 s9, s10
	v_add_co_u32_e32 v72, vcc, s12, v117
	s_cselect_b32 s12, s9, s11
	v_mov_b32_e32 v73, s13
	s_ashr_i32 s13, s12, 31
	s_lshl_b64 s[12:13], s[12:13], 1
	s_add_i32 s9, s4, 0xfffff380
	v_addc_co_u32_e32 v73, vcc, v118, v73, vcc
	s_cmp_lt_i32 s9, s10
	v_add_co_u32_e32 v74, vcc, s12, v117
	s_cselect_b32 s12, s9, s11
	v_mov_b32_e32 v75, s13
	s_ashr_i32 s13, s12, 31
	s_lshl_b64 s[12:13], s[12:13], 1
	s_add_i32 s9, s4, 0xfffff400
	v_addc_co_u32_e32 v75, vcc, v118, v75, vcc
	s_cmp_lt_i32 s9, s10
	v_add_co_u32_e32 v76, vcc, s12, v117
	s_cselect_b32 s12, s9, s11
	global_load_ushort v32, v[40:41], off
	global_load_ushort v33, v[42:43], off
	v_mov_b32_e32 v77, s13
	s_ashr_i32 s13, s12, 31
	s_lshl_b64 s[12:13], s[12:13], 1
	s_add_i32 s9, s4, 0xfffff480
	v_addc_co_u32_e32 v77, vcc, v118, v77, vcc
	s_cmp_lt_i32 s9, s10
	v_add_co_u32_e32 v78, vcc, s12, v117
	s_cselect_b32 s12, s9, s11
	v_mov_b32_e32 v79, s13
	s_ashr_i32 s13, s12, 31
	global_load_ushort v36, v[44:45], off
	s_lshl_b64 s[12:13], s[12:13], 1
	s_add_i32 s9, s4, 0xfffff500
	v_mov_b32_e32 v35, s5
	v_addc_co_u32_e32 v79, vcc, v118, v79, vcc
	s_cmp_lt_i32 s9, s10
	ds_read_b128 v[12:15], v35
	ds_read_b128 v[16:19], v35 offset:16
	global_load_ushort v37, v[46:47], off
	v_add_co_u32_e32 v80, vcc, s12, v117
	s_cselect_b32 s12, s9, s11
	v_mov_b32_e32 v81, s13
	s_ashr_i32 s13, s12, 31
	s_lshl_b64 s[12:13], s[12:13], 1
	s_add_i32 s9, s4, 0xfffff580
	v_addc_co_u32_e32 v81, vcc, v118, v81, vcc
	s_cmp_lt_i32 s9, s10
	s_waitcnt vmcnt(23)
	v_lshlrev_b32_e32 v34, 16, v120
	v_add_co_u32_e32 v82, vcc, s12, v117
	s_cselect_b32 s12, s9, s11
	ds_read_b128 v[20:23], v35 offset:32
	ds_read_b128 v[24:27], v35 offset:48
	s_waitcnt lgkmcnt(3)
	v_fmac_f32_e32 v119, v12, v34
	global_load_ushort v34, v[48:49], off
	global_load_ushort v38, v[50:51], off
	;; [unrolled: 1-line block ×6, first 2 shown]
	v_mov_b32_e32 v83, s13
	s_ashr_i32 s13, s12, 31
	s_lshl_b64 s[12:13], s[12:13], 1
	s_add_i32 s9, s4, 0xfffff600
	v_addc_co_u32_e32 v83, vcc, v118, v83, vcc
	s_cmp_lt_i32 s9, s10
	v_add_co_u32_e32 v84, vcc, s12, v117
	s_cselect_b32 s12, s9, s11
	v_mov_b32_e32 v85, s13
	s_ashr_i32 s13, s12, 31
	s_lshl_b64 s[12:13], s[12:13], 1
	s_add_i32 s9, s4, 0xfffff680
	v_addc_co_u32_e32 v85, vcc, v118, v85, vcc
	s_cmp_lt_i32 s9, s10
	v_add_co_u32_e32 v86, vcc, s12, v117
	s_cselect_b32 s12, s9, s11
	;; [unrolled: 8-line block ×7, first 2 shown]
	v_mov_b32_e32 v97, s13
	s_ashr_i32 s13, s12, 31
	s_lshl_b64 s[12:13], s[12:13], 1
	s_add_i32 s9, s4, 0xfffff980
	v_addc_co_u32_e32 v97, vcc, v118, v97, vcc
	s_cmp_lt_i32 s9, s10
	s_waitcnt vmcnt(25)
	v_lshlrev_b32_e32 v12, 16, v121
	v_add_co_u32_e32 v98, vcc, s12, v117
	s_cselect_b32 s12, s9, s11
	v_fmac_f32_e32 v119, v13, v12
	v_lshlrev_b32_e32 v12, 16, v122
	v_mov_b32_e32 v99, s13
	s_ashr_i32 s13, s12, 31
	v_fmac_f32_e32 v119, v14, v12
	v_lshlrev_b32_e32 v12, 16, v123
	s_lshl_b64 s[12:13], s[12:13], 1
	s_add_i32 s9, s4, 0xfffffa00
	v_fmac_f32_e32 v119, v15, v12
	v_lshlrev_b32_e32 v12, 16, v124
	v_addc_co_u32_e32 v99, vcc, v118, v99, vcc
	s_cmp_lt_i32 s9, s10
	s_waitcnt lgkmcnt(2)
	v_fmac_f32_e32 v119, v16, v12
	s_waitcnt vmcnt(24)
	v_lshlrev_b32_e32 v12, 16, v125
	v_add_co_u32_e32 v100, vcc, s12, v117
	s_cselect_b32 s12, s9, s11
	v_fmac_f32_e32 v119, v17, v12
	s_waitcnt vmcnt(23)
	v_lshlrev_b32_e32 v12, 16, v126
	v_mov_b32_e32 v101, s13
	s_ashr_i32 s13, s12, 31
	v_fmac_f32_e32 v119, v18, v12
	s_waitcnt vmcnt(22)
	v_lshlrev_b32_e32 v12, 16, v127
	s_lshl_b64 s[12:13], s[12:13], 1
	s_add_i32 s9, s4, 0xfffffa80
	v_fmac_f32_e32 v119, v19, v12
	s_waitcnt vmcnt(21)
	v_lshlrev_b32_e32 v12, 16, v128
	v_addc_co_u32_e32 v101, vcc, v118, v101, vcc
	s_cmp_lt_i32 s9, s10
	s_waitcnt lgkmcnt(1)
	v_fmac_f32_e32 v119, v20, v12
	global_load_ushort v20, v[60:61], off
	v_add_co_u32_e32 v102, vcc, s12, v117
	s_cselect_b32 s12, s9, s11
	v_mov_b32_e32 v103, s13
	s_ashr_i32 s13, s12, 31
	s_lshl_b64 s[12:13], s[12:13], 1
	s_add_i32 s9, s4, 0xfffffb00
	s_waitcnt vmcnt(21)
	v_lshlrev_b32_e32 v12, 16, v129
	v_addc_co_u32_e32 v103, vcc, v118, v103, vcc
	s_cmp_lt_i32 s9, s10
	v_fmac_f32_e32 v119, v21, v12
	global_load_ushort v21, v[62:63], off
	v_add_co_u32_e32 v104, vcc, s12, v117
	s_cselect_b32 s12, s9, s11
	s_waitcnt vmcnt(21)
	v_lshlrev_b32_e32 v12, 16, v130
	global_load_ushort v43, v[64:65], off
	v_mov_b32_e32 v105, s13
	s_ashr_i32 s13, s12, 31
	v_fmac_f32_e32 v119, v22, v12
	global_load_ushort v22, v[66:67], off
	s_waitcnt vmcnt(22)
	v_lshlrev_b32_e32 v12, 16, v131
	s_lshl_b64 s[12:13], s[12:13], 1
	s_add_i32 s9, s4, 0xfffffb80
	v_fmac_f32_e32 v119, v23, v12
	global_load_ushort v23, v[68:69], off
	global_load_ushort v44, v[70:71], off
	v_addc_co_u32_e32 v105, vcc, v118, v105, vcc
	s_cmp_lt_i32 s9, s10
	s_waitcnt vmcnt(23)
	v_lshlrev_b32_e32 v12, 16, v132
	v_add_co_u32_e32 v108, vcc, s12, v117
	s_cselect_b32 s12, s9, s11
	s_waitcnt lgkmcnt(0)
	v_fmac_f32_e32 v119, v24, v12
	global_load_ushort v24, v[72:73], off
	global_load_ushort v45, v[74:75], off
	v_mov_b32_e32 v106, s13
	s_ashr_i32 s13, s12, 31
	s_waitcnt vmcnt(24)
	v_lshlrev_b32_e32 v12, 16, v133
	s_lshl_b64 s[12:13], s[12:13], 1
	s_add_i32 s9, s4, 0xfffffc00
	v_fmac_f32_e32 v119, v25, v12
	global_load_ushort v25, v[76:77], off
	v_addc_co_u32_e32 v109, vcc, v118, v106, vcc
	s_cmp_lt_i32 s9, s10
	v_add_co_u32_e32 v106, vcc, s12, v117
	s_cselect_b32 s12, s9, s11
	s_waitcnt vmcnt(24)
	v_lshlrev_b32_e32 v12, 16, v134
	v_mov_b32_e32 v107, s13
	s_ashr_i32 s13, s12, 31
	v_fmac_f32_e32 v119, v26, v12
	global_load_ushort v26, v[78:79], off
	s_waitcnt vmcnt(24)
	v_lshlrev_b32_e32 v12, 16, v135
	s_lshl_b64 s[12:13], s[12:13], 1
	s_add_i32 s9, s4, 0xfffffc80
	v_fmac_f32_e32 v119, v27, v12
	ds_read_b128 v[12:15], v35 offset:64
	ds_read_b128 v[16:19], v35 offset:80
	v_addc_co_u32_e32 v107, vcc, v118, v107, vcc
	s_cmp_lt_i32 s9, s10
	global_load_ushort v46, v[80:81], off
	global_load_ushort v27, v[82:83], off
	;; [unrolled: 1-line block ×4, first 2 shown]
	v_add_co_u32_e32 v112, vcc, s12, v117
	s_cselect_b32 s12, s9, s11
	v_mov_b32_e32 v110, s13
	s_ashr_i32 s13, s12, 31
	s_lshl_b64 s[12:13], s[12:13], 1
	s_add_i32 s9, s4, 0xfffffd00
	s_waitcnt vmcnt(27)
	v_lshlrev_b32_e32 v28, 16, v28
	v_addc_co_u32_e32 v113, vcc, v118, v110, vcc
	s_cmp_lt_i32 s9, s10
	s_waitcnt lgkmcnt(1)
	v_fmac_f32_e32 v119, v12, v28
	global_load_ushort v28, v[88:89], off
	v_add_co_u32_e32 v110, vcc, s12, v117
	s_cselect_b32 s12, s9, s11
	s_waitcnt vmcnt(27)
	v_lshlrev_b32_e32 v12, 16, v29
	global_load_ushort v29, v[90:91], off
	global_load_ushort v49, v[92:93], off
	v_mov_b32_e32 v111, s13
	s_ashr_i32 s13, s12, 31
	s_lshl_b64 s[12:13], s[12:13], 1
	s_add_i32 s9, s4, 0xfffffd80
	v_addc_co_u32_e32 v111, vcc, v118, v111, vcc
	s_cmp_lt_i32 s9, s10
	v_add_co_u32_e32 v114, vcc, s12, v117
	s_cselect_b32 s12, s9, s11
	v_mov_b32_e32 v115, s13
	s_ashr_i32 s13, s12, 31
	v_fmac_f32_e32 v119, v13, v12
	s_waitcnt vmcnt(28)
	v_lshlrev_b32_e32 v12, 16, v30
	global_load_ushort v30, v[94:95], off
	s_lshl_b64 s[12:13], s[12:13], 1
	s_add_i32 s9, s4, 0xfffffe00
	v_fmac_f32_e32 v119, v14, v12
	s_waitcnt vmcnt(28)
	v_lshlrev_b32_e32 v12, 16, v31
	global_load_ushort v31, v[96:97], off
	v_addc_co_u32_e32 v115, vcc, v118, v115, vcc
	s_cmp_lt_i32 s9, s10
	v_fmac_f32_e32 v119, v15, v12
	s_waitcnt vmcnt(28)
	v_lshlrev_b32_e32 v12, 16, v32
	global_load_ushort v32, v[98:99], off
	global_load_ushort v50, v[100:101], off
	v_add_co_u32_e32 v0, vcc, s12, v117
	s_cselect_b32 s12, s9, s11
	v_mov_b32_e32 v2, s13
	s_ashr_i32 s13, s12, 31
	s_lshl_b64 s[12:13], s[12:13], 1
	s_add_i32 s9, s4, 0xfffffe80
	s_waitcnt lgkmcnt(0)
	v_fmac_f32_e32 v119, v16, v12
	s_waitcnt vmcnt(29)
	v_lshlrev_b32_e32 v12, 16, v33
	global_load_ushort v33, v[102:103], off
	global_load_ushort v51, v[104:105], off
	;; [unrolled: 1-line block ×3, first 2 shown]
	v_addc_co_u32_e32 v1, vcc, v118, v2, vcc
	s_cmp_lt_i32 s9, s10
	v_add_co_u32_e32 v2, vcc, s12, v117
	s_cselect_b32 s12, s9, s11
	v_mov_b32_e32 v3, s13
	s_ashr_i32 s13, s12, 31
	v_fmac_f32_e32 v119, v17, v12
	s_waitcnt vmcnt(31)
	v_lshlrev_b32_e32 v12, 16, v36
	global_load_ushort v36, v[106:107], off
	global_load_ushort v53, v[112:113], off
	s_lshl_b64 s[12:13], s[12:13], 1
	s_add_i32 s9, s4, 0xffffff00
	v_addc_co_u32_e32 v3, vcc, v118, v3, vcc
	s_cmp_lt_i32 s9, s10
	v_fmac_f32_e32 v119, v18, v12
	s_waitcnt vmcnt(32)
	v_lshlrev_b32_e32 v12, 16, v37
	v_add_co_u32_e32 v4, vcc, s12, v117
	s_cselect_b32 s12, s9, s11
	v_fmac_f32_e32 v119, v19, v12
	ds_read_b128 v[12:15], v35 offset:96
	v_mov_b32_e32 v5, s13
	s_ashr_i32 s13, s12, 31
	s_lshl_b64 s[12:13], s[12:13], 1
	s_add_i32 s9, s4, 0xffffff80
	v_addc_co_u32_e32 v5, vcc, v118, v5, vcc
	s_cmp_lt_i32 s9, s10
	global_load_ushort v37, v[110:111], off
	global_load_ushort v54, v[114:115], off
	v_add_co_u32_e32 v8, vcc, s12, v117
	s_cselect_b32 s12, s9, s11
	s_waitcnt vmcnt(33)
	v_lshlrev_b32_e32 v34, 16, v34
	v_mov_b32_e32 v6, s13
	s_ashr_i32 s13, s12, 31
	s_waitcnt lgkmcnt(0)
	v_fmac_f32_e32 v119, v12, v34
	s_waitcnt vmcnt(32)
	v_lshlrev_b32_e32 v12, 16, v38
	s_lshl_b64 s[12:13], s[12:13], 1
	ds_read_b128 v[16:19], v35 offset:112
	v_fmac_f32_e32 v119, v13, v12
	global_load_ushort v12, v[0:1], off
	global_load_ushort v13, v[2:3], off
	v_addc_co_u32_e32 v9, vcc, v118, v6, vcc
	s_cmp_lt_i32 s4, s10
	v_add_co_u32_e32 v6, vcc, s12, v117
	s_cselect_b32 s12, s4, s11
	s_waitcnt vmcnt(33)
	v_lshlrev_b32_e32 v0, 16, v39
	v_mov_b32_e32 v7, s13
	s_ashr_i32 s13, s12, 31
	v_fmac_f32_e32 v119, v14, v0
	global_load_ushort v14, v[4:5], off
	global_load_ushort v34, v[8:9], off
	v_addc_co_u32_e32 v7, vcc, v118, v7, vcc
	s_lshl_b64 s[12:13], s[12:13], 1
	s_waitcnt vmcnt(34)
	v_lshlrev_b32_e32 v0, 16, v40
	v_mov_b32_e32 v11, s13
	v_add_co_u32_e32 v10, vcc, s12, v117
	v_fmac_f32_e32 v119, v15, v0
	s_waitcnt vmcnt(33)
	v_lshlrev_b32_e32 v0, 16, v41
	v_addc_co_u32_e32 v11, vcc, v118, v11, vcc
	s_waitcnt lgkmcnt(0)
	v_fmac_f32_e32 v119, v16, v0
	global_load_ushort v15, v[6:7], off
	global_load_ushort v16, v[10:11], off
	s_waitcnt vmcnt(34)
	v_lshlrev_b32_e32 v0, 16, v42
	v_fmac_f32_e32 v119, v17, v0
	s_waitcnt vmcnt(33)
	v_lshlrev_b32_e32 v0, 16, v20
	v_fmac_f32_e32 v119, v18, v0
	ds_read_b128 v[0:3], v35 offset:128
	s_waitcnt vmcnt(32)
	v_lshlrev_b32_e32 v4, 16, v21
	v_fmac_f32_e32 v119, v19, v4
	ds_read_b128 v[4:7], v35 offset:144
	s_waitcnt vmcnt(31)
	v_lshlrev_b32_e32 v8, 16, v43
	s_waitcnt lgkmcnt(1)
	v_fmac_f32_e32 v119, v0, v8
	s_waitcnt vmcnt(30)
	v_lshlrev_b32_e32 v0, 16, v22
	v_fmac_f32_e32 v119, v1, v0
	s_waitcnt vmcnt(29)
	v_lshlrev_b32_e32 v0, 16, v23
	;; [unrolled: 3-line block ×4, first 2 shown]
	s_waitcnt lgkmcnt(0)
	v_fmac_f32_e32 v119, v4, v0
	s_waitcnt vmcnt(26)
	v_lshlrev_b32_e32 v0, 16, v45
	v_fmac_f32_e32 v119, v5, v0
	s_waitcnt vmcnt(25)
	v_lshlrev_b32_e32 v0, 16, v25
	v_fmac_f32_e32 v119, v6, v0
	ds_read_b128 v[0:3], v35 offset:160
	s_waitcnt vmcnt(24)
	v_lshlrev_b32_e32 v4, 16, v26
	v_fmac_f32_e32 v119, v7, v4
	ds_read_b128 v[4:7], v35 offset:176
	s_waitcnt vmcnt(23)
	v_lshlrev_b32_e32 v8, 16, v46
	s_waitcnt lgkmcnt(1)
	v_fmac_f32_e32 v119, v0, v8
	s_waitcnt vmcnt(22)
	v_lshlrev_b32_e32 v0, 16, v27
	v_fmac_f32_e32 v119, v1, v0
	s_waitcnt vmcnt(21)
	v_lshlrev_b32_e32 v0, 16, v47
	v_fmac_f32_e32 v119, v2, v0
	s_waitcnt vmcnt(20)
	v_lshlrev_b32_e32 v0, 16, v48
	v_fmac_f32_e32 v119, v3, v0
	s_waitcnt vmcnt(19)
	v_lshlrev_b32_e32 v0, 16, v28
	s_waitcnt lgkmcnt(0)
	v_fmac_f32_e32 v119, v4, v0
	s_waitcnt vmcnt(18)
	v_lshlrev_b32_e32 v0, 16, v29
	v_fmac_f32_e32 v119, v5, v0
	s_waitcnt vmcnt(17)
	v_lshlrev_b32_e32 v0, 16, v49
	v_fmac_f32_e32 v119, v6, v0
	ds_read_b128 v[0:3], v35 offset:192
	s_waitcnt vmcnt(16)
	v_lshlrev_b32_e32 v4, 16, v30
	v_fmac_f32_e32 v119, v7, v4
	ds_read_b128 v[4:7], v35 offset:208
	s_waitcnt vmcnt(15)
	v_lshlrev_b32_e32 v8, 16, v31
	s_waitcnt lgkmcnt(1)
	v_fmac_f32_e32 v119, v0, v8
	s_waitcnt vmcnt(14)
	v_lshlrev_b32_e32 v0, 16, v32
	v_fmac_f32_e32 v119, v1, v0
	s_waitcnt vmcnt(13)
	v_lshlrev_b32_e32 v0, 16, v50
	;; [unrolled: 3-line block ×4, first 2 shown]
	v_lshlrev_b32_e32 v0, 16, v51
	s_waitcnt lgkmcnt(0)
	v_pk_mul_f32 v[0:1], v[4:5], v[0:1]
	v_add_f32_e32 v0, v119, v0
	v_add_f32_e32 v2, v0, v1
	s_waitcnt vmcnt(8)
	v_lshlrev_b32_e32 v1, 16, v53
	v_lshlrev_b32_e32 v0, 16, v36
	v_pk_mul_f32 v[4:5], v[6:7], v[0:1]
	v_add_f32_e32 v4, v2, v4
	ds_read_b128 v[0:3], v35 offset:224
	s_waitcnt vmcnt(6)
	v_lshlrev_b32_e32 v9, 16, v54
	v_lshlrev_b32_e32 v8, 16, v37
	v_add_f32_e32 v10, v4, v5
	ds_read_b128 v[4:7], v35 offset:240
	s_waitcnt lgkmcnt(1)
	v_pk_mul_f32 v[0:1], v[0:1], v[8:9]
	v_add_f32_e32 v0, v10, v0
	v_add_f32_e32 v8, v0, v1
	s_waitcnt vmcnt(4)
	v_lshlrev_b32_e32 v1, 16, v13
	v_lshlrev_b32_e32 v0, 16, v12
	v_pk_mul_f32 v[0:1], v[2:3], v[0:1]
	v_add_f32_e32 v0, v8, v0
	v_add_f32_e32 v2, v0, v1
	s_waitcnt vmcnt(2)
	v_lshlrev_b32_e32 v1, 16, v34
	v_lshlrev_b32_e32 v0, 16, v14
	s_waitcnt lgkmcnt(0)
	v_pk_mul_f32 v[0:1], v[4:5], v[0:1]
	v_add_f32_e32 v0, v2, v0
	v_add_f32_e32 v2, v0, v1
	s_waitcnt vmcnt(1)
	v_lshlrev_b32_e32 v0, 16, v15
	s_waitcnt vmcnt(0)
	v_lshlrev_b32_e32 v1, 16, v16
	v_pk_mul_f32 v[0:1], v[6:7], v[0:1]
	v_add_f32_e32 v0, v2, v0
	v_add_f32_e32 v119, v0, v1
	s_branch .LBB323_16
.LBB323_19:
	v_mov_b32_e32 v0, 0
	ds_read_b32 v0, v0 offset:4096
	s_cmp_lg_u64 s[2:3], 0
	s_cbranch_scc0 .LBB323_28
; %bb.20:
	s_load_dword s4, s[2:3], 0x0
	s_waitcnt lgkmcnt(0)
	v_div_scale_f32 v1, s[2:3], s4, s4, 1.0
	v_rcp_f32_e32 v2, v1
	v_div_scale_f32 v3, vcc, 1.0, s4, 1.0
	v_fma_f32 v4, -v1, v2, 1.0
	v_fmac_f32_e32 v2, v4, v2
	v_mul_f32_e32 v4, v3, v2
	v_fma_f32 v5, -v1, v4, v3
	v_fmac_f32_e32 v4, v5, v2
	v_fma_f32 v1, -v1, v4, v3
	v_div_fmas_f32 v1, v1, v2, v4
	v_div_fixup_f32 v1, v1, s4, 1.0
	s_andn2_b64 vcc, exec, s[50:51]
	s_cbranch_vccnz .LBB323_22
.LBB323_21:
	s_add_u32 s2, s48, s52
	s_addc_u32 s3, s49, s53
	s_load_dword s38, s[2:3], 0x0
	s_mov_b32 s39, 0
.LBB323_22:
	s_waitcnt lgkmcnt(0)
	v_add_f32_e32 v0, 0x358637bd, v0
	v_div_scale_f32 v2, s[2:3], v0, v0, 1.0
	v_rcp_f32_e32 v3, v2
	v_div_scale_f32 v4, vcc, 1.0, v0, 1.0
	s_mov_b32 s2, 0x7f800000
	v_fma_f32 v5, -v2, v3, 1.0
	v_fmac_f32_e32 v3, v5, v3
	v_mul_f32_e32 v5, v4, v3
	v_fma_f32 v6, -v2, v5, v4
	v_fmac_f32_e32 v5, v6, v3
	v_fma_f32 v2, -v2, v5, v4
	v_div_fmas_f32 v2, v2, v3, v5
	v_div_fixup_f32 v0, v2, v0, 1.0
	v_mul_f32_e32 v0, v119, v0
	v_mul_f32_e32 v1, v0, v1
	v_and_b32_e32 v0, 0x7f800000, v1
	v_cmp_ne_u32_e32 vcc, s2, v0
                                        ; implicit-def: $vgpr0
	s_and_saveexec_b64 s[2:3], vcc
	s_xor_b64 s[2:3], exec, s[2:3]
; %bb.23:
	v_bfe_u32 v0, v1, 16, 1
	s_movk_i32 s4, 0x7fff
	v_add3_u32 v0, v1, v0, s4
                                        ; implicit-def: $vgpr1
; %bb.24:
	s_andn2_saveexec_b64 s[2:3], s[2:3]
; %bb.25:
	v_mov_b32_e32 v0, 0
	v_or_b32_e32 v2, 0x10000, v1
	v_cmp_eq_u32_sdwa vcc, v1, v0 src0_sel:WORD_0 src1_sel:DWORD
	v_cndmask_b32_e32 v0, v2, v1, vcc
; %bb.26:
	s_or_b64 exec, exec, s[2:3]
	s_mul_i32 s2, s7, s39
	s_mul_hi_u32 s3, s7, s38
	s_add_i32 s3, s3, s2
	s_mul_i32 s2, s7, s38
	s_lshl_b64 s[2:3], s[2:3], 8
	s_add_u32 s2, s0, s2
	s_mov_b32 s7, 0
	s_addc_u32 s3, s1, s3
	s_lshl_b64 s[0:1], s[6:7], 8
	s_add_u32 s0, s2, s0
	s_addc_u32 s1, s3, s1
	global_store_short_d16_hi v116, v0, s[0:1]
	s_endpgm
.LBB323_27:
	s_mov_b64 s[2:3], 0
	s_branch .LBB323_2
.LBB323_28:
	v_mov_b32_e32 v1, 1.0
	s_andn2_b64 vcc, exec, s[50:51]
	s_cbranch_vccz .LBB323_21
	s_branch .LBB323_22
	.section	.rodata,"a",@progbits
	.p2align	6, 0x0
	.amdhsa_kernel _Z35paged_attention_ll4mi_reduce_kernelI14__hip_bfloat16S0_Li128ELi128ELi256ELi16EEvPT0_PKfS4_PKT_PKiS9_iS4_
		.amdhsa_group_segment_fixed_size 4100
		.amdhsa_private_segment_fixed_size 0
		.amdhsa_kernarg_size 320
		.amdhsa_user_sgpr_count 6
		.amdhsa_user_sgpr_private_segment_buffer 1
		.amdhsa_user_sgpr_dispatch_ptr 0
		.amdhsa_user_sgpr_queue_ptr 0
		.amdhsa_user_sgpr_kernarg_segment_ptr 1
		.amdhsa_user_sgpr_dispatch_id 0
		.amdhsa_user_sgpr_flat_scratch_init 0
		.amdhsa_user_sgpr_kernarg_preload_length 0
		.amdhsa_user_sgpr_kernarg_preload_offset 0
		.amdhsa_user_sgpr_private_segment_size 0
		.amdhsa_uses_dynamic_stack 0
		.amdhsa_system_sgpr_private_segment_wavefront_offset 0
		.amdhsa_system_sgpr_workgroup_id_x 1
		.amdhsa_system_sgpr_workgroup_id_y 1
		.amdhsa_system_sgpr_workgroup_id_z 0
		.amdhsa_system_sgpr_workgroup_info 0
		.amdhsa_system_vgpr_workitem_id 0
		.amdhsa_next_free_vgpr 136
		.amdhsa_next_free_sgpr 61
		.amdhsa_accum_offset 136
		.amdhsa_reserve_vcc 1
		.amdhsa_reserve_flat_scratch 0
		.amdhsa_float_round_mode_32 0
		.amdhsa_float_round_mode_16_64 0
		.amdhsa_float_denorm_mode_32 3
		.amdhsa_float_denorm_mode_16_64 3
		.amdhsa_dx10_clamp 1
		.amdhsa_ieee_mode 1
		.amdhsa_fp16_overflow 0
		.amdhsa_tg_split 0
		.amdhsa_exception_fp_ieee_invalid_op 0
		.amdhsa_exception_fp_denorm_src 0
		.amdhsa_exception_fp_ieee_div_zero 0
		.amdhsa_exception_fp_ieee_overflow 0
		.amdhsa_exception_fp_ieee_underflow 0
		.amdhsa_exception_fp_ieee_inexact 0
		.amdhsa_exception_int_div_zero 0
	.end_amdhsa_kernel
	.section	.text._Z35paged_attention_ll4mi_reduce_kernelI14__hip_bfloat16S0_Li128ELi128ELi256ELi16EEvPT0_PKfS4_PKT_PKiS9_iS4_,"axG",@progbits,_Z35paged_attention_ll4mi_reduce_kernelI14__hip_bfloat16S0_Li128ELi128ELi256ELi16EEvPT0_PKfS4_PKT_PKiS9_iS4_,comdat
.Lfunc_end323:
	.size	_Z35paged_attention_ll4mi_reduce_kernelI14__hip_bfloat16S0_Li128ELi128ELi256ELi16EEvPT0_PKfS4_PKT_PKiS9_iS4_, .Lfunc_end323-_Z35paged_attention_ll4mi_reduce_kernelI14__hip_bfloat16S0_Li128ELi128ELi256ELi16EEvPT0_PKfS4_PKT_PKiS9_iS4_
                                        ; -- End function
	.section	.AMDGPU.csdata,"",@progbits
; Kernel info:
; codeLenInByte = 12204
; NumSgprs: 65
; NumVgprs: 136
; NumAgprs: 0
; TotalNumVgprs: 136
; ScratchSize: 0
; MemoryBound: 0
; FloatMode: 240
; IeeeMode: 1
; LDSByteSize: 4100 bytes/workgroup (compile time only)
; SGPRBlocks: 8
; VGPRBlocks: 16
; NumSGPRsForWavesPerEU: 65
; NumVGPRsForWavesPerEU: 136
; AccumOffset: 136
; Occupancy: 3
; WaveLimiterHint : 1
; COMPUTE_PGM_RSRC2:SCRATCH_EN: 0
; COMPUTE_PGM_RSRC2:USER_SGPR: 6
; COMPUTE_PGM_RSRC2:TRAP_HANDLER: 0
; COMPUTE_PGM_RSRC2:TGID_X_EN: 1
; COMPUTE_PGM_RSRC2:TGID_Y_EN: 1
; COMPUTE_PGM_RSRC2:TGID_Z_EN: 0
; COMPUTE_PGM_RSRC2:TIDIG_COMP_CNT: 0
; COMPUTE_PGM_RSRC3_GFX90A:ACCUM_OFFSET: 33
; COMPUTE_PGM_RSRC3_GFX90A:TG_SPLIT: 0
	.section	.text._Z38paged_attention_ll4mi_QKV_mfma4_kernelI14__hip_bfloat16S0_LN4vllm18Fp8KVCacheDataTypeE0ES0_Li16ELi128ELi256ELb0ELi1EEvPKT_PKT0_S8_ifPKiSA_SA_iPKfiiiPfSD_PS3_PT2_iSC_SC_,"axG",@progbits,_Z38paged_attention_ll4mi_QKV_mfma4_kernelI14__hip_bfloat16S0_LN4vllm18Fp8KVCacheDataTypeE0ES0_Li16ELi128ELi256ELb0ELi1EEvPKT_PKT0_S8_ifPKiSA_SA_iPKfiiiPfSD_PS3_PT2_iSC_SC_,comdat
	.protected	_Z38paged_attention_ll4mi_QKV_mfma4_kernelI14__hip_bfloat16S0_LN4vllm18Fp8KVCacheDataTypeE0ES0_Li16ELi128ELi256ELb0ELi1EEvPKT_PKT0_S8_ifPKiSA_SA_iPKfiiiPfSD_PS3_PT2_iSC_SC_ ; -- Begin function _Z38paged_attention_ll4mi_QKV_mfma4_kernelI14__hip_bfloat16S0_LN4vllm18Fp8KVCacheDataTypeE0ES0_Li16ELi128ELi256ELb0ELi1EEvPKT_PKT0_S8_ifPKiSA_SA_iPKfiiiPfSD_PS3_PT2_iSC_SC_
	.globl	_Z38paged_attention_ll4mi_QKV_mfma4_kernelI14__hip_bfloat16S0_LN4vllm18Fp8KVCacheDataTypeE0ES0_Li16ELi128ELi256ELb0ELi1EEvPKT_PKT0_S8_ifPKiSA_SA_iPKfiiiPfSD_PS3_PT2_iSC_SC_
	.p2align	8
	.type	_Z38paged_attention_ll4mi_QKV_mfma4_kernelI14__hip_bfloat16S0_LN4vllm18Fp8KVCacheDataTypeE0ES0_Li16ELi128ELi256ELb0ELi1EEvPKT_PKT0_S8_ifPKiSA_SA_iPKfiiiPfSD_PS3_PT2_iSC_SC_,@function
_Z38paged_attention_ll4mi_QKV_mfma4_kernelI14__hip_bfloat16S0_LN4vllm18Fp8KVCacheDataTypeE0ES0_Li16ELi128ELi256ELb0ELi1EEvPKT_PKT0_S8_ifPKiSA_SA_iPKfiiiPfSD_PS3_PT2_iSC_SC_: ; @_Z38paged_attention_ll4mi_QKV_mfma4_kernelI14__hip_bfloat16S0_LN4vllm18Fp8KVCacheDataTypeE0ES0_Li16ELi128ELi256ELb0ELi1EEvPKT_PKT0_S8_ifPKiSA_SA_iPKfiiiPfSD_PS3_PT2_iSC_SC_
; %bb.0:
	s_load_dwordx2 s[2:3], s[4:5], 0x30
	s_mov_b32 s24, s7
	s_mov_b64 s[0:1], 0
	s_waitcnt lgkmcnt(0)
	s_cmp_lg_u64 s[2:3], 0
	s_cselect_b64 s[10:11], -1, 0
	s_and_b64 vcc, exec, s[10:11]
	s_cbranch_vccz .LBB324_10
; %bb.1:
	s_add_i32 s12, s6, 1
	s_mov_b32 s13, 0
	s_lshl_b64 s[14:15], s[12:13], 2
	s_add_u32 s14, s2, s14
	s_mov_b32 s7, s13
	s_addc_u32 s15, s3, s15
	s_lshl_b64 s[12:13], s[6:7], 2
	s_add_u32 s12, s2, s12
	s_addc_u32 s13, s3, s13
	s_load_dword s9, s[14:15], 0x0
	s_load_dword s16, s[12:13], 0x0
	s_waitcnt lgkmcnt(0)
	s_sub_i32 s9, s9, s16
	s_cmp_eq_u32 s9, 1
	s_cselect_b64 s[12:13], -1, 0
	s_andn2_b64 vcc, exec, s[0:1]
	s_cbranch_vccnz .LBB324_3
.LBB324_2:
	s_mov_b32 s7, 0
	s_mov_b64 s[12:13], -1
.LBB324_3:
	s_andn2_b64 vcc, exec, s[12:13]
	s_cbranch_vccnz .LBB324_25
; %bb.4:
	s_load_dword s9, s[4:5], 0x9c
	s_load_dwordx2 s[0:1], s[4:5], 0x28
	s_add_u32 s28, s4, 0x90
	s_addc_u32 s29, s5, 0
	s_lshl_b64 s[16:17], s[6:7], 2
	s_waitcnt lgkmcnt(0)
	s_and_b32 s12, s9, 0xffff
	s_add_u32 s0, s0, s16
	s_addc_u32 s1, s1, s17
	s_load_dword s9, s[0:1], 0x0
	s_mul_i32 s18, s24, s12
	s_waitcnt lgkmcnt(0)
	s_cmp_ge_i32 s18, s9
	s_cbranch_scc1 .LBB324_25
; %bb.5:
	v_and_b32_e32 v1, 0xc0, v0
	v_add_u32_e32 v2, s18, v1
	v_lshrrev_b32_e32 v70, 6, v0
	v_cmp_le_i32_e64 s[0:1], s9, v2
                                        ; implicit-def: $sgpr20
                                        ; implicit-def: $sgpr19
	s_and_saveexec_b64 s[12:13], s[0:1]
	s_xor_b64 s[12:13], exec, s[12:13]
	s_cbranch_execz .LBB324_7
; %bb.6:
	v_mul_u32_u24_e32 v1, 20, v70
	v_or_b32_e32 v1, 0x1400, v1
	v_mov_b32_e32 v2, 0x1450
	v_mov_b32_e32 v3, 0xff7fffff
	v_mad_u32_u24 v2, v70, 20, v2
	ds_write2_b32 v1, v3, v3 offset1:1
	v_mov_b32_e32 v1, 0
	ds_write2_b32 v2, v1, v1 offset1:1
	v_mov_b32_e32 v2, 0x1408
	s_mov_b32 s19, 0xff7fffff
	s_mov_b32 s20, 0
	v_mad_u32_u24 v2, v70, 20, v2
	v_mov_b32_e32 v4, 0x1458
	v_mad_u32_u24 v4, v70, 20, v4
	ds_write2_b32 v2, v3, v3 offset1:1
	ds_write2_b32 v4, v1, v1 offset1:1
                                        ; implicit-def: $vgpr2
.LBB324_7:
	s_or_saveexec_b64 s[30:31], s[12:13]
	s_load_dwordx2 s[26:27], s[4:5], 0x68
	s_load_dwordx4 s[12:15], s[4:5], 0x58
	s_load_dword s7, s[28:29], 0x4
	v_and_b32_e32 v1, 63, v0
	v_and_b32_e32 v71, 3, v0
	v_mov_b32_e32 v69, s20
	v_mov_b32_e32 v72, s19
	;; [unrolled: 1-line block ×5, first 2 shown]
                                        ; implicit-def: $vgpr3
                                        ; implicit-def: $vgpr7
                                        ; implicit-def: $vgpr27
                                        ; implicit-def: $vgpr35
                                        ; implicit-def: $vgpr55
                                        ; implicit-def: $vgpr23
                                        ; implicit-def: $vgpr39
                                        ; implicit-def: $vgpr47
                                        ; implicit-def: $vgpr15
                                        ; implicit-def: $vgpr11
                                        ; implicit-def: $vgpr19
                                        ; implicit-def: $vgpr31
                                        ; implicit-def: $vgpr43
                                        ; implicit-def: $vgpr51
                                        ; implicit-def: $vgpr59
                                        ; implicit-def: $vgpr63
	s_xor_b64 exec, exec, s[30:31]
	s_cbranch_execz .LBB324_17
; %bb.8:
	s_add_i32 s22, s9, 15
	s_load_dwordx2 s[20:21], s[4:5], 0x20
	s_load_dword s19, s[4:5], 0x38
	s_ashr_i32 s23, s22, 31
	s_lshr_b32 s23, s23, 28
	v_add_u32_e32 v66, s18, v0
	s_add_i32 s22, s22, s23
	v_ashrrev_i32_e32 v3, 31, v66
	s_ashr_i32 s22, s22, 4
	v_lshrrev_b32_e32 v3, 28, v3
	s_add_i32 s25, s22, -1
	v_add_u32_e32 v3, v66, v3
	s_waitcnt lgkmcnt(0)
	s_mul_i32 s22, s6, s19
	s_mov_b32 s23, 0
	v_ashrrev_i32_e32 v3, 4, v3
	v_mov_b32_e32 v4, s25
	v_cmp_gt_i32_e32 vcc, s9, v66
	s_lshl_b64 s[22:23], s[22:23], 2
	v_cndmask_b32_e32 v4, v4, v3, vcc
	s_add_u32 s19, s20, s22
	v_ashrrev_i32_e32 v5, 31, v4
	s_addc_u32 s20, s21, s23
	v_lshlrev_b64 v[4:5], 2, v[4:5]
	v_mov_b32_e32 v3, s20
	v_add_co_u32_e32 v4, vcc, s19, v4
	v_addc_co_u32_e32 v5, vcc, v3, v5, vcc
	v_ashrrev_i32_e32 v3, 31, v2
	v_lshrrev_b32_e32 v3, 28, v3
	v_add_u32_e32 v2, v2, v3
	v_ashrrev_i32_e32 v6, 4, v2
	v_min_i32_e32 v2, s25, v6
	v_ashrrev_i32_e32 v3, 31, v2
	v_lshlrev_b64 v[2:3], 2, v[2:3]
	v_add_co_u32_e32 v10, vcc, s19, v2
	v_add_u32_e32 v2, 1, v6
	v_mov_b32_e32 v7, s20
	v_min_i32_e32 v2, s25, v2
	v_addc_co_u32_e32 v11, vcc, v7, v3, vcc
	v_ashrrev_i32_e32 v3, 31, v2
	v_lshlrev_b64 v[2:3], 2, v[2:3]
	v_add_co_u32_e32 v12, vcc, s19, v2
	v_add_u32_e32 v2, 2, v6
	v_min_i32_e32 v2, s25, v2
	v_addc_co_u32_e32 v13, vcc, v7, v3, vcc
	v_ashrrev_i32_e32 v3, 31, v2
	v_lshlrev_b64 v[2:3], 2, v[2:3]
	v_add_co_u32_e32 v14, vcc, s19, v2
	v_add_u32_e32 v2, 3, v6
	v_min_i32_e32 v2, s25, v2
	v_addc_co_u32_e32 v15, vcc, v7, v3, vcc
	v_ashrrev_i32_e32 v3, 31, v2
	v_lshlrev_b64 v[2:3], 2, v[2:3]
	v_mov_b32_e32 v6, s20
	v_add_co_u32_e32 v16, vcc, s19, v2
	v_addc_co_u32_e32 v17, vcc, v6, v3, vcc
	global_load_dword v2, v[4:5], off
	global_load_dword v9, v[10:11], off
	;; [unrolled: 1-line block ×5, first 2 shown]
	s_load_dwordx4 s[20:23], s[4:5], 0x8
	s_andn2_b64 vcc, exec, s[10:11]
	s_cbranch_vccnz .LBB324_11
; %bb.9:
	s_add_u32 s2, s2, s16
	s_addc_u32 s3, s3, s17
	s_load_dword s2, s[2:3], 0x0
	s_branch .LBB324_12
.LBB324_10:
	s_mov_b64 s[12:13], 0
	s_branch .LBB324_2
.LBB324_11:
	s_mov_b32 s2, s6
.LBB324_12:
	s_load_dwordx4 s[16:19], s[4:5], 0x48
	v_cmp_eq_u32_e32 vcc, 0, v71
	s_mov_b32 s3, 0
	v_mov_b32_e32 v67, 0
	v_mov_b32_e32 v3, 0
	;; [unrolled: 1-line block ×6, first 2 shown]
	s_and_saveexec_b64 s[10:11], vcc
	s_cbranch_execz .LBB324_14
; %bb.13:
	s_load_dwordx2 s[34:35], s[4:5], 0x0
	s_waitcnt lgkmcnt(0)
	s_ashr_i32 s19, s16, 31
	s_mul_hi_u32 s25, s2, s16
	s_mul_i32 s19, s2, s19
	s_add_i32 s37, s25, s19
	s_mul_i32 s36, s2, s16
	s_lshl_b64 s[36:37], s[36:37], 1
	s_add_u32 s16, s34, s36
	s_addc_u32 s19, s35, s37
	s_lshl_b32 s2, s8, 7
	s_lshl_b64 s[34:35], s[2:3], 1
	s_add_u32 s34, s16, s34
	s_addc_u32 s35, s19, s35
	v_lshlrev_b32_e32 v4, 2, v1
	global_load_dwordx4 v[58:61], v4, s[34:35]
	v_mov_b32_e32 v67, 1.0
.LBB324_14:
	s_or_b64 exec, exec, s[10:11]
	s_waitcnt lgkmcnt(0)
	s_mul_i32 s2, s8, s18
	s_waitcnt vmcnt(4)
	v_mad_i64_i32 v[4:5], s[10:11], v2, s17, 0
	s_lshl_b64 s[2:3], s[2:3], 1
	s_add_u32 s10, s2, s20
	v_lshlrev_b64 v[4:5], 1, v[4:5]
	s_addc_u32 s11, s3, s21
	v_mov_b32_e32 v2, s11
	v_add_co_u32_e32 v4, vcc, s10, v4
	v_addc_co_u32_e32 v2, vcc, v2, v5, vcc
	v_and_b32_e32 v5, 15, v0
	v_lshlrev_b32_e32 v5, 4, v5
	v_add_co_u32_e32 v4, vcc, v4, v5
	v_addc_co_u32_e32 v5, vcc, 0, v2, vcc
	global_load_dwordx4 v[10:13], v[4:5], off
	global_load_dwordx4 v[14:17], v[4:5], off offset:256
	global_load_dwordx4 v[18:21], v[4:5], off offset:512
	;; [unrolled: 1-line block ×11, first 2 shown]
	s_waitcnt vmcnt(14)
	v_mul_hi_i32 v62, v8, s17
	s_waitcnt vmcnt(13)
	v_mul_hi_i32 v63, v7, s17
	s_waitcnt vmcnt(12)
	v_mul_hi_i32 v64, v6, s17
	v_ashrrev_i32_e32 v72, 31, v62
	v_ashrrev_i32_e32 v76, 31, v63
	;; [unrolled: 1-line block ×3, first 2 shown]
	global_load_dwordx4 v[62:65], v[4:5], off offset:3072
	v_mul_hi_i32 v2, v9, s17
	v_ashrrev_i32_e32 v2, 31, v2
	v_lshrrev_b32_e32 v2, 29, v2
	v_mad_i64_i32 v[68:69], s[10:11], v9, s17, v[2:3]
	v_lshrrev_b32_e32 v2, 29, v72
	global_load_dwordx4 v[72:75], v[4:5], off offset:3328
	v_mad_i64_i32 v[8:9], s[10:11], v8, s17, v[2:3]
	v_lshrrev_b32_e32 v2, 29, v76
	global_load_dwordx4 v[76:79], v[4:5], off offset:3584
	s_load_dword s4, s[4:5], 0x1c
	s_add_u32 s5, s22, s2
	s_addc_u32 s10, s23, s3
	v_lshlrev_b64 v[68:69], 1, v[68:69]
	v_lshlrev_b64 v[8:9], 1, v[8:9]
	v_and_b32_e32 v8, -16, v8
	v_lshlrev_b32_e32 v84, 5, v1
	s_waitcnt vmcnt(14)
	v_mfma_f32_4x4x4bf16_1k a[0:3], v[58:59], v[10:11], 0 cbsz:4
	v_mad_i64_i32 v[10:11], s[2:3], v7, s17, v[2:3]
	v_lshrrev_b32_e32 v2, 29, v80
	global_load_dwordx4 v[80:83], v[4:5], off offset:3840
	v_mfma_f32_4x4x4bf16_1k a[0:3], v[60:61], v[12:13], a[0:3] cbsz:4
	v_and_b32_e32 v12, -16, v68
	s_waitcnt vmcnt(14)
	v_mfma_f32_4x4x4bf16_1k a[0:3], v[58:59], v[14:15], a[0:3] cbsz:4 abid:1
	v_mov_b32_e32 v7, s10
	v_mfma_f32_4x4x4bf16_1k a[0:3], v[60:61], v[16:17], a[0:3] cbsz:4 abid:1
	v_mad_i64_i32 v[2:3], s[2:3], v6, s17, v[2:3]
	s_waitcnt vmcnt(13)
	v_mfma_f32_4x4x4bf16_1k a[0:3], v[58:59], v[18:19], a[0:3] cbsz:4 abid:2
	v_add_co_u32_e32 v6, vcc, s5, v12
	v_mfma_f32_4x4x4bf16_1k a[0:3], v[60:61], v[20:21], a[0:3] cbsz:4 abid:2
	v_addc_co_u32_e32 v7, vcc, v7, v69, vcc
	s_waitcnt vmcnt(12)
	v_mfma_f32_4x4x4bf16_1k a[0:3], v[58:59], v[22:23], a[0:3] cbsz:4 abid:3
	v_mov_b32_e32 v13, s10
	v_mfma_f32_4x4x4bf16_1k a[0:3], v[60:61], v[24:25], a[0:3] cbsz:4 abid:3
	v_add_co_u32_e32 v8, vcc, s5, v8
	s_waitcnt vmcnt(11)
	v_mfma_f32_4x4x4bf16_1k a[0:3], v[58:59], v[26:27], a[0:3] cbsz:4 abid:4
	v_addc_co_u32_e32 v9, vcc, v13, v9, vcc
	v_mfma_f32_4x4x4bf16_1k a[0:3], v[60:61], v[28:29], a[0:3] cbsz:4 abid:4
	v_add_co_u32_e32 v18, vcc, v6, v84
	s_waitcnt vmcnt(10)
	v_mfma_f32_4x4x4bf16_1k a[0:3], v[58:59], v[30:31], a[0:3] cbsz:4 abid:5
	v_addc_co_u32_e32 v19, vcc, 0, v7, vcc
	v_mfma_f32_4x4x4bf16_1k a[0:3], v[60:61], v[32:33], a[0:3] cbsz:4 abid:5
	v_lshlrev_b64 v[4:5], 1, v[10:11]
	s_waitcnt vmcnt(9)
	v_mfma_f32_4x4x4bf16_1k a[0:3], v[58:59], v[34:35], a[0:3] cbsz:4 abid:6
	v_add_co_u32_e32 v24, vcc, v8, v84
	v_mfma_f32_4x4x4bf16_1k a[0:3], v[60:61], v[36:37], a[0:3] cbsz:4 abid:6
	v_and_b32_e32 v4, -16, v4
	s_waitcnt vmcnt(8)
	v_mfma_f32_4x4x4bf16_1k a[0:3], v[58:59], v[38:39], a[0:3] cbsz:4 abid:7
	v_addc_co_u32_e32 v25, vcc, 0, v9, vcc
	v_mfma_f32_4x4x4bf16_1k a[0:3], v[60:61], v[40:41], a[0:3] cbsz:4 abid:7
	v_mov_b32_e32 v10, s10
	s_waitcnt vmcnt(7)
	v_mfma_f32_4x4x4bf16_1k a[0:3], v[58:59], v[42:43], a[0:3] cbsz:4 abid:8
	v_add_co_u32_e32 v38, vcc, s5, v4
	v_mfma_f32_4x4x4bf16_1k a[0:3], v[60:61], v[44:45], a[0:3] cbsz:4 abid:8
	v_addc_co_u32_e32 v39, vcc, v10, v5, vcc
	s_waitcnt vmcnt(6)
	v_mfma_f32_4x4x4bf16_1k a[0:3], v[58:59], v[46:47], a[0:3] cbsz:4 abid:9
	v_lshlrev_b64 v[22:23], 1, v[2:3]
	v_mfma_f32_4x4x4bf16_1k a[0:3], v[60:61], v[48:49], a[0:3] cbsz:4 abid:9
	v_add_co_u32_e32 v38, vcc, v38, v84
	s_waitcnt vmcnt(5)
	v_mfma_f32_4x4x4bf16_1k a[0:3], v[58:59], v[50:51], a[0:3] cbsz:4 abid:10
	v_and_b32_e32 v22, -16, v22
	v_mfma_f32_4x4x4bf16_1k a[0:3], v[60:61], v[52:53], a[0:3] cbsz:4 abid:10
	v_addc_co_u32_e32 v39, vcc, 0, v39, vcc
	s_waitcnt vmcnt(4)
	v_mfma_f32_4x4x4bf16_1k a[0:3], v[58:59], v[54:55], a[0:3] cbsz:4 abid:11
	v_mov_b32_e32 v68, s10
	v_mfma_f32_4x4x4bf16_1k a[0:3], v[60:61], v[56:57], a[0:3] cbsz:4 abid:11
	v_add_co_u32_e32 v40, vcc, s5, v22
	s_waitcnt vmcnt(3)
	v_mfma_f32_4x4x4bf16_1k a[0:3], v[58:59], v[62:63], a[0:3] cbsz:4 abid:12
	v_addc_co_u32_e32 v41, vcc, v68, v23, vcc
	v_mfma_f32_4x4x4bf16_1k a[0:3], v[60:61], v[64:65], a[0:3] cbsz:4 abid:12
	v_add_co_u32_e32 v68, vcc, v40, v84
	s_waitcnt vmcnt(2)
	v_mfma_f32_4x4x4bf16_1k a[0:3], v[58:59], v[72:73], a[0:3] cbsz:4 abid:13
	v_addc_co_u32_e32 v69, vcc, 0, v41, vcc
	v_mfma_f32_4x4x4bf16_1k a[0:3], v[60:61], v[74:75], a[0:3] cbsz:4 abid:13
	global_load_dwordx4 v[2:5], v[18:19], off
	global_load_dwordx4 v[6:9], v[18:19], off offset:16
	s_waitcnt vmcnt(3)
	v_mfma_f32_4x4x4bf16_1k a[0:3], v[58:59], v[76:77], a[0:3] cbsz:4 abid:14
	global_load_dwordx4 v[14:17], v[18:19], off offset:2048
	global_load_dwordx4 v[10:13], v[18:19], off offset:2064
	v_mfma_f32_4x4x4bf16_1k a[0:3], v[60:61], v[78:79], a[0:3] cbsz:4 abid:14
	global_load_dwordx4 v[26:29], v[24:25], off
	global_load_dwordx4 v[34:37], v[24:25], off offset:16
	s_waitcnt vmcnt(6)
	v_mfma_f32_4x4x4bf16_1k a[0:3], v[58:59], v[80:81], a[0:3] cbsz:4 abid:15
	global_load_dwordx4 v[18:21], v[24:25], off offset:2048
	global_load_dwordx4 v[30:33], v[24:25], off offset:2064
	v_mfma_f32_4x4x4bf16_1k a[0:3], v[60:61], v[82:83], a[0:3] cbsz:4 abid:15
	global_load_dwordx4 v[54:57], v[38:39], off
	global_load_dwordx4 v[22:25], v[38:39], off offset:16
	global_load_dwordx4 v[42:45], v[38:39], off offset:2048
	;; [unrolled: 1-line block ×3, first 2 shown]
	s_nop 0
	global_load_dwordx4 v[38:41], v[68:69], off
	global_load_dwordx4 v[46:49], v[68:69], off offset:16
	v_accvgpr_read_b32 v59, a1
	v_accvgpr_read_b32 v58, a0
	s_waitcnt lgkmcnt(0)
	v_pk_mul_f32 v[72:73], s[4:5], v[58:59] op_sel_hi:[0,1]
	global_load_dwordx4 v[58:61], v[68:69], off offset:2048
	global_load_dwordx4 v[62:65], v[68:69], off offset:2064
	v_accvgpr_read_b32 v69, a3
	v_accvgpr_read_b32 v68, a2
	v_pk_mul_f32 v[68:69], s[4:5], v[68:69] op_sel_hi:[0,1]
	v_mfma_f32_4x4x1f32 a[0:3], v72, v67, 0
	v_cmp_eq_u32_e32 vcc, 1, v71
	v_cndmask_b32_e64 v67, 0, 1.0, vcc
	v_cmp_eq_u32_e32 vcc, 2, v71
	s_nop 0
	v_mfma_f32_4x4x1f32 a[0:3], v73, v67, a[0:3]
	v_cndmask_b32_e64 v67, 0, 1.0, vcc
	v_cmp_eq_u32_e32 vcc, 3, v71
	v_mov_b32_e32 v73, 0xff7fffff
	v_mfma_f32_4x4x1f32 a[0:3], v68, v67, a[0:3]
	v_cndmask_b32_e64 v67, 0, 1.0, vcc
	v_lshlrev_b32_e32 v68, 2, v0
	v_and_or_b32 v68, v68, 48, v71
	v_mfma_f32_4x4x1f32 a[0:3], v69, v67, a[0:3]
	v_and_b32_e32 v67, -4, v66
	v_cmp_gt_i32_e32 vcc, s9, v67
	v_or_b32_e32 v66, 3, v66
	v_cmp_gt_i32_e64 s[10:11], s9, v66
	v_lshlrev_b32_e32 v76, 2, v68
	v_accvgpr_read_b32 v69, a0
	v_max_f32_e32 v72, v69, v69
	v_max_f32_e32 v72, 0xff7fffff, v72
	v_accvgpr_read_b32 v74, a1
	v_cndmask_b32_e32 v72, v73, v72, vcc
	v_or_b32_e32 v73, 1, v67
	v_max_f32_e32 v75, v74, v74
	v_max_f32_e32 v75, v72, v75
	v_cmp_gt_i32_e64 s[2:3], s9, v73
	v_accvgpr_read_b32 v73, a2
	v_cndmask_b32_e64 v72, v72, v75, s[2:3]
	v_or_b32_e32 v67, 2, v67
	v_max_f32_e32 v75, v73, v73
	v_max_f32_e32 v75, v72, v75
	v_cmp_gt_i32_e64 s[4:5], s9, v67
	v_cndmask_b32_e64 v67, v72, v75, s[4:5]
	v_accvgpr_read_b32 v75, a3
	v_max_f32_e32 v72, v75, v75
	v_max_f32_e32 v72, v67, v72
	v_cndmask_b32_e64 v66, v67, v72, s[10:11]
	;;#ASMSTART
	v_nop
 v_nop
 v_max_f32_dpp v66, v66, v66 row_ror:4
	;;#ASMEND
	;;#ASMSTART
	v_nop
 v_nop
 v_max_f32_dpp v66, v66, v66 row_ror:8
	;;#ASMEND
	ds_bpermute_b32 v66, v76, v66
	s_waitcnt lgkmcnt(0)
	;;#ASMSTART
	v_nop
 v_nop
 v_max_f32_dpp v66, v66, v66 row_ror:4
	;;#ASMEND
	;;#ASMSTART
	v_nop
 v_nop
 v_max_f32_dpp v72, v66, v66 row_ror:8
	;;#ASMEND
	v_sub_f32_e32 v66, v69, v72
	v_mul_f32_e32 v66, 0x3fb8aa3b, v66
	v_sub_f32_e32 v67, v74, v72
	v_exp_f32_e32 v66, v66
	v_mul_f32_e32 v67, 0x3fb8aa3b, v67
	v_sub_f32_e32 v69, v73, v72
	v_exp_f32_e32 v67, v67
	;; [unrolled: 3-line block ×3, first 2 shown]
	v_mul_f32_e32 v73, 0x3fb8aa3b, v73
	v_exp_f32_e32 v73, v73
	v_cndmask_b32_e32 v66, 0, v66, vcc
	v_add_f32_e32 v68, 0, v66
	v_cndmask_b32_e64 v67, 0, v67, s[2:3]
	v_add_f32_e32 v74, v68, v67
	v_cndmask_b32_e64 v68, 0, v69, s[4:5]
	;; [unrolled: 2-line block ×3, first 2 shown]
	v_add_f32_e32 v73, v74, v69
	;;#ASMSTART
	v_nop
 v_nop
 v_add_f32_dpp v73, v73, v73 row_ror:4
	;;#ASMEND
	;;#ASMSTART
	v_nop
 v_nop
 v_add_f32_dpp v73, v73, v73 row_ror:8
	;;#ASMEND
	ds_bpermute_b32 v73, v76, v73
	s_waitcnt lgkmcnt(0)
	;;#ASMSTART
	v_nop
 v_nop
 v_add_f32_dpp v73, v73, v73 row_ror:4
	;;#ASMEND
	v_cmp_gt_u32_e32 vcc, 4, v1
	;;#ASMSTART
	v_nop
 v_nop
 v_add_f32_dpp v73, v73, v73 row_ror:8
	;;#ASMEND
	s_and_saveexec_b64 s[2:3], vcc
	s_cbranch_execz .LBB324_16
; %bb.15:
	v_mul_u32_u24_e32 v74, 20, v70
	v_lshl_add_u32 v74, v71, 2, v74
	v_add_u32_e32 v74, 0x1400, v74
	ds_write2_b32 v74, v72, v73 offset1:20
.LBB324_16:
	s_or_b64 exec, exec, s[2:3]
.LBB324_17:
	s_or_b64 exec, exec, s[30:31]
	s_waitcnt lgkmcnt(0)
	s_barrier
	s_load_dword s2, s[28:29], 0x8
	v_lshlrev_b32_e32 v73, 2, v71
	v_add_u32_e32 v75, 0x1400, v73
	ds_read2_b32 v[76:77], v75 offset1:5
	ds_read2_b32 v[78:79], v75 offset0:10 offset1:15
	s_mul_i32 s3, s7, s6
	s_waitcnt lgkmcnt(0)
	s_mul_i32 s2, s3, s2
	s_mov_b32 s3, 0xff7fffff
	v_max3_f32 v73, v76, s3, v77
	v_max3_f32 v74, v73, v78, v79
	v_sub_f32_e32 v73, v76, v74
	v_sub_f32_e32 v76, v77, v74
	v_mul_f32_e32 v76, 0x3fb8aa3b, v76
	ds_read2_b32 v[80:81], v75 offset0:20 offset1:25
	v_mul_f32_e32 v73, 0x3fb8aa3b, v73
	v_exp_f32_e32 v83, v76
	ds_read2_b32 v[76:77], v75 offset0:30 offset1:35
	v_sub_f32_e32 v75, v78, v74
	v_exp_f32_e32 v82, v73
	v_mul_f32_e32 v75, 0x3fb8aa3b, v75
	v_exp_f32_e32 v78, v75
	v_sub_f32_e32 v75, v79, v74
	v_mul_f32_e32 v75, 0x3fb8aa3b, v75
	v_exp_f32_e32 v79, v75
	s_waitcnt lgkmcnt(1)
	v_fma_f32 v75, v82, v80, 0
	v_fmac_f32_e32 v75, v83, v81
	s_waitcnt lgkmcnt(0)
	v_fmac_f32_e32 v75, v78, v76
	v_mov_b32_e32 v73, 0
	v_fmac_f32_e32 v75, v79, v77
	s_mov_b32 s3, 0
	v_cmp_eq_u32_e32 vcc, 0, v71
	s_and_saveexec_b64 s[4:5], vcc
	s_cbranch_execz .LBB324_19
; %bb.18:
	s_lshl_b64 s[10:11], s[2:3], 2
	s_add_u32 s6, s12, s10
	s_mov_b32 s25, s3
	s_addc_u32 s9, s13, s11
	s_lshl_b64 s[12:13], s[24:25], 2
	s_add_u32 s6, s6, s12
	s_addc_u32 s9, s9, s13
	s_add_u32 s10, s14, s10
	s_addc_u32 s11, s15, s11
	;; [unrolled: 2-line block ×3, first 2 shown]
	s_mul_i32 s10, s7, s8
	s_mov_b32 s11, s3
	s_lshl_b64 s[10:11], s[10:11], 2
	s_add_u32 s12, s6, s10
	s_addc_u32 s13, s9, s11
	s_add_u32 s10, s14, s10
	s_addc_u32 s11, s15, s11
	global_store_dword v73, v74, s[10:11]
	global_store_dword v73, v75, s[12:13]
.LBB324_19:
	s_or_b64 exec, exec, s[4:5]
	v_lshlrev_b32_e32 v73, 3, v70
                                        ; implicit-def: $sgpr3
	s_and_saveexec_b64 s[4:5], s[0:1]
	s_xor_b64 s[0:1], exec, s[4:5]
	s_cbranch_execz .LBB324_21
; %bb.20:
	s_waitcnt vmcnt(15)
	v_mov_b32_e32 v2, 0
	v_mad_u32_u24 v4, v1, 40, v73
	s_mov_b32 s3, 0
	v_mov_b32_e32 v3, v2
	ds_write_b64 v4, v[2:3]
                                        ; implicit-def: $vgpr69
                                        ; implicit-def: $vgpr67
                                        ; implicit-def: $vgpr3
                                        ; implicit-def: $vgpr7
                                        ; implicit-def: $vgpr27
                                        ; implicit-def: $vgpr35
                                        ; implicit-def: $vgpr55
                                        ; implicit-def: $vgpr23
                                        ; implicit-def: $vgpr39
                                        ; implicit-def: $vgpr47
                                        ; implicit-def: $vgpr15
                                        ; implicit-def: $vgpr11
                                        ; implicit-def: $vgpr19
                                        ; implicit-def: $vgpr31
                                        ; implicit-def: $vgpr43
                                        ; implicit-def: $vgpr51
                                        ; implicit-def: $vgpr59
                                        ; implicit-def: $vgpr63
                                        ; implicit-def: $vgpr72
                                        ; implicit-def: $vgpr74
                                        ; implicit-def: $vgpr75
.LBB324_21:
	s_or_saveexec_b64 s[0:1], s[0:1]
	v_mov_b32_e32 v70, s3
	v_mov_b32_e32 v71, s3
	s_xor_b64 exec, exec, s[0:1]
	s_cbranch_execz .LBB324_23
; %bb.22:
	v_add_f32_e32 v70, 0x358637bd, v75
	v_div_scale_f32 v71, s[4:5], v70, v70, 1.0
	v_rcp_f32_e32 v75, v71
	v_sub_f32_e32 v72, v72, v74
	v_mul_f32_e32 v72, 0x3fb8aa3b, v72
	v_exp_f32_e32 v72, v72
	v_fma_f32 v74, -v71, v75, 1.0
	v_fmac_f32_e32 v75, v74, v75
	v_div_scale_f32 v74, vcc, 1.0, v70, 1.0
	v_mul_f32_e32 v76, v74, v75
	v_fma_f32 v77, -v71, v76, v74
	v_fmac_f32_e32 v76, v77, v75
	v_fma_f32 v71, -v71, v76, v74
	v_div_fmas_f32 v71, v71, v75, v76
	v_div_fixup_f32 v70, v71, v70, 1.0
	v_mul_f32_e32 v70, v72, v70
	v_pk_mul_f32 v[66:67], v[66:67], v[70:71] op_sel_hi:[1,0]
	v_pk_mul_f32 v[68:69], v[68:69], v[70:71] op_sel_hi:[1,0]
	v_bfe_u32 v70, v67, 16, 1
	v_bfe_u32 v71, v66, 16, 1
	s_movk_i32 s3, 0x7fff
	v_add3_u32 v66, v66, v71, s3
	v_add3_u32 v67, v67, v70, s3
	s_mov_b32 s4, 0x7060302
	v_perm_b32 v66, v67, v66, s4
	v_bfe_u32 v67, v69, 16, 1
	v_bfe_u32 v70, v68, 16, 1
	v_add3_u32 v68, v68, v70, s3
	v_add3_u32 v67, v69, v67, s3
	v_perm_b32 v67, v67, v68, s4
	s_waitcnt vmcnt(15)
	s_nop 0
	v_mfma_f32_4x4x4bf16_1k a[0:3], v[66:67], v[2:3], 0 cbsz:4
	v_mfma_f32_4x4x4bf16_1k a[0:3], v[66:67], v[4:5], a[0:3] cbsz:4 abid:1
	s_waitcnt vmcnt(14)
	v_mfma_f32_4x4x4bf16_1k a[0:3], v[66:67], v[6:7], a[0:3] cbsz:4 abid:2
	v_mfma_f32_4x4x4bf16_1k a[0:3], v[66:67], v[8:9], a[0:3] cbsz:4 abid:3
	s_waitcnt vmcnt(11)
	v_mfma_f32_4x4x4bf16_1k a[0:3], v[66:67], v[26:27], a[0:3] cbsz:4 abid:4
	v_mfma_f32_4x4x4bf16_1k a[0:3], v[66:67], v[28:29], a[0:3] cbsz:4 abid:5
	s_waitcnt vmcnt(10)
	v_mfma_f32_4x4x4bf16_1k a[0:3], v[66:67], v[34:35], a[0:3] cbsz:4 abid:6
	v_mfma_f32_4x4x4bf16_1k a[0:3], v[66:67], v[36:37], a[0:3] cbsz:4 abid:7
	s_waitcnt vmcnt(7)
	v_mfma_f32_4x4x4bf16_1k a[0:3], v[66:67], v[54:55], a[0:3] cbsz:4 abid:8
	v_mfma_f32_4x4x4bf16_1k a[0:3], v[66:67], v[56:57], a[0:3] cbsz:4 abid:9
	s_waitcnt vmcnt(6)
	v_mfma_f32_4x4x4bf16_1k a[0:3], v[66:67], v[22:23], a[0:3] cbsz:4 abid:10
	v_mfma_f32_4x4x4bf16_1k a[0:3], v[66:67], v[24:25], a[0:3] cbsz:4 abid:11
	s_waitcnt vmcnt(3)
	v_mfma_f32_4x4x4bf16_1k a[0:3], v[66:67], v[38:39], a[0:3] cbsz:4 abid:12
	v_mfma_f32_4x4x4bf16_1k a[4:7], v[66:67], v[14:15], 0 cbsz:4
	v_mfma_f32_4x4x4bf16_1k a[0:3], v[66:67], v[40:41], a[0:3] cbsz:4 abid:13
	v_mfma_f32_4x4x4bf16_1k a[4:7], v[66:67], v[16:17], a[4:7] cbsz:4 abid:1
	s_waitcnt vmcnt(2)
	v_mfma_f32_4x4x4bf16_1k a[0:3], v[66:67], v[46:47], a[0:3] cbsz:4 abid:14
	v_mfma_f32_4x4x4bf16_1k a[4:7], v[66:67], v[10:11], a[4:7] cbsz:4 abid:2
	;; [unrolled: 1-line block ×3, first 2 shown]
	s_nop 4
	v_accvgpr_read_b32 v3, a2
	v_accvgpr_read_b32 v4, a3
	;; [unrolled: 1-line block ×4, first 2 shown]
	v_mfma_f32_4x4x4bf16_1k a[0:3], v[66:67], v[12:13], a[4:7] cbsz:4 abid:3
	v_bfe_u32 v6, v5, 16, 1
	v_mfma_f32_4x4x4bf16_1k a[0:3], v[66:67], v[18:19], a[0:3] cbsz:4 abid:4
	v_bfe_u32 v7, v2, 16, 1
	v_mfma_f32_4x4x4bf16_1k a[0:3], v[66:67], v[20:21], a[0:3] cbsz:4 abid:5
	v_add3_u32 v2, v2, v7, s3
	v_mfma_f32_4x4x4bf16_1k a[0:3], v[66:67], v[30:31], a[0:3] cbsz:4 abid:6
	v_add3_u32 v5, v5, v6, s3
	v_mfma_f32_4x4x4bf16_1k a[0:3], v[66:67], v[32:33], a[0:3] cbsz:4 abid:7
	v_perm_b32 v2, v5, v2, s4
	v_mfma_f32_4x4x4bf16_1k a[0:3], v[66:67], v[42:43], a[0:3] cbsz:4 abid:8
	v_bfe_u32 v5, v4, 16, 1
	v_mfma_f32_4x4x4bf16_1k a[0:3], v[66:67], v[44:45], a[0:3] cbsz:4 abid:9
	v_bfe_u32 v6, v3, 16, 1
	v_mfma_f32_4x4x4bf16_1k a[0:3], v[66:67], v[50:51], a[0:3] cbsz:4 abid:10
	v_add3_u32 v3, v3, v6, s3
	v_mfma_f32_4x4x4bf16_1k a[0:3], v[66:67], v[52:53], a[0:3] cbsz:4 abid:11
	v_add3_u32 v4, v4, v5, s3
	s_waitcnt vmcnt(1)
	v_mfma_f32_4x4x4bf16_1k a[0:3], v[66:67], v[58:59], a[0:3] cbsz:4 abid:12
	v_perm_b32 v3, v4, v3, s4
	v_mfma_f32_4x4x4bf16_1k a[0:3], v[66:67], v[60:61], a[0:3] cbsz:4 abid:13
	v_mad_u32_u24 v4, v1, 40, v73
	s_waitcnt vmcnt(0)
	v_mfma_f32_4x4x4bf16_1k a[0:3], v[66:67], v[62:63], a[0:3] cbsz:4 abid:14
	ds_write_b64 v4, v[2:3]
	v_mfma_f32_4x4x4bf16_1k a[0:3], v[66:67], v[64:65], a[0:3] cbsz:4 abid:15
	s_nop 4
	v_accvgpr_read_b32 v4, a0
	v_accvgpr_read_b32 v5, a1
	;; [unrolled: 1-line block ×4, first 2 shown]
	v_bfe_u32 v6, v5, 16, 1
	v_bfe_u32 v7, v4, 16, 1
	v_add3_u32 v4, v4, v7, s3
	v_add3_u32 v5, v5, v6, s3
	v_bfe_u32 v6, v3, 16, 1
	v_bfe_u32 v7, v2, 16, 1
	v_add3_u32 v2, v2, v7, s3
	v_add3_u32 v3, v3, v6, s3
	v_perm_b32 v71, v3, v2, s4
	v_perm_b32 v70, v5, v4, s4
.LBB324_23:
	s_or_b64 exec, exec, s[0:1]
	s_waitcnt vmcnt(15)
	v_mad_u32_u24 v2, v1, 40, v73
	v_cmp_gt_u32_e32 vcc, 64, v0
	ds_write_b64 v2, v[70:71] offset:2560
	s_waitcnt lgkmcnt(0)
	s_barrier
	s_and_saveexec_b64 s[0:1], vcc
	s_cbranch_execz .LBB324_25
; %bb.24:
	v_mov_b32_e32 v2, 0xa00
	v_mad_u32_u24 v2, v1, 40, v2
	ds_read2_b64 v[2:5], v2 offset1:1
	s_waitcnt lgkmcnt(0)
	v_mov_b32_e32 v3, 0xa10
	s_waitcnt vmcnt(12)
	v_mul_u32_u24_e32 v10, 40, v1
	v_mad_u32_u24 v1, v1, 40, v3
	ds_read2_b64 v[6:9], v1 offset1:1
	v_lshlrev_b32_e32 v1, 16, v2
	v_add_f32_e32 v1, 0, v1
	v_and_b32_e32 v1, 0xffff0000, v1
	v_lshlrev_b32_e32 v2, 16, v4
	v_add_f32_e32 v1, v1, v2
	s_mov_b32 s1, 0
	v_and_b32_e32 v1, 0xffff0000, v1
	s_waitcnt lgkmcnt(0)
	v_lshlrev_b32_e32 v2, 16, v6
	s_lshl_b32 s0, s2, 7
	v_add_f32_e32 v1, v1, v2
	s_lshl_b64 s[2:3], s[0:1], 1
	v_and_b32_e32 v1, 0xffff0000, v1
	v_lshlrev_b32_e32 v2, 16, v8
	s_add_u32 s2, s26, s2
	s_mul_i32 s8, s8, s7
	v_add_f32_e32 v11, v1, v2
	s_addc_u32 s3, s27, s3
	s_lshl_b32 s0, s24, 7
	v_lshl_or_b32 v0, s8, 7, v0
	v_mov_b32_e32 v1, 0
	s_lshl_b64 s[0:1], s[0:1], 1
	v_lshlrev_b64 v[4:5], 1, v[0:1]
	ds_read2_b64 v[0:3], v10 offset1:1
	s_add_u32 s0, s2, s0
	s_addc_u32 s1, s3, s1
	v_mov_b32_e32 v6, s1
	v_add_co_u32_e32 v8, vcc, s0, v4
	v_addc_co_u32_e32 v9, vcc, v6, v5, vcc
	ds_read2_b64 v[4:7], v10 offset0:2 offset1:3
	s_waitcnt lgkmcnt(1)
	v_lshlrev_b32_e32 v0, 16, v0
	v_add_f32_e32 v0, 0, v0
	v_and_b32_e32 v0, 0xffff0000, v0
	v_lshlrev_b32_e32 v1, 16, v2
	v_add_f32_e32 v0, v0, v1
	v_and_b32_e32 v0, 0xffff0000, v0
	s_waitcnt lgkmcnt(0)
	v_lshlrev_b32_e32 v1, 16, v4
	v_add_f32_e32 v0, v0, v1
	v_and_b32_e32 v0, 0xffff0000, v0
	v_lshlrev_b32_e32 v1, 16, v6
	v_add_f32_e32 v0, v0, v1
	global_store_short_d16_hi v[8:9], v0, off
	global_store_short_d16_hi v[8:9], v11, off offset:128
.LBB324_25:
	s_endpgm
	.section	.rodata,"a",@progbits
	.p2align	6, 0x0
	.amdhsa_kernel _Z38paged_attention_ll4mi_QKV_mfma4_kernelI14__hip_bfloat16S0_LN4vllm18Fp8KVCacheDataTypeE0ES0_Li16ELi128ELi256ELb0ELi1EEvPKT_PKT0_S8_ifPKiSA_SA_iPKfiiiPfSD_PS3_PT2_iSC_SC_
		.amdhsa_group_segment_fixed_size 5280
		.amdhsa_private_segment_fixed_size 0
		.amdhsa_kernarg_size 400
		.amdhsa_user_sgpr_count 6
		.amdhsa_user_sgpr_private_segment_buffer 1
		.amdhsa_user_sgpr_dispatch_ptr 0
		.amdhsa_user_sgpr_queue_ptr 0
		.amdhsa_user_sgpr_kernarg_segment_ptr 1
		.amdhsa_user_sgpr_dispatch_id 0
		.amdhsa_user_sgpr_flat_scratch_init 0
		.amdhsa_user_sgpr_kernarg_preload_length 0
		.amdhsa_user_sgpr_kernarg_preload_offset 0
		.amdhsa_user_sgpr_private_segment_size 0
		.amdhsa_uses_dynamic_stack 0
		.amdhsa_system_sgpr_private_segment_wavefront_offset 0
		.amdhsa_system_sgpr_workgroup_id_x 1
		.amdhsa_system_sgpr_workgroup_id_y 1
		.amdhsa_system_sgpr_workgroup_id_z 1
		.amdhsa_system_sgpr_workgroup_info 0
		.amdhsa_system_vgpr_workitem_id 0
		.amdhsa_next_free_vgpr 96
		.amdhsa_next_free_sgpr 38
		.amdhsa_accum_offset 88
		.amdhsa_reserve_vcc 1
		.amdhsa_reserve_flat_scratch 0
		.amdhsa_float_round_mode_32 0
		.amdhsa_float_round_mode_16_64 0
		.amdhsa_float_denorm_mode_32 3
		.amdhsa_float_denorm_mode_16_64 3
		.amdhsa_dx10_clamp 1
		.amdhsa_ieee_mode 1
		.amdhsa_fp16_overflow 0
		.amdhsa_tg_split 0
		.amdhsa_exception_fp_ieee_invalid_op 0
		.amdhsa_exception_fp_denorm_src 0
		.amdhsa_exception_fp_ieee_div_zero 0
		.amdhsa_exception_fp_ieee_overflow 0
		.amdhsa_exception_fp_ieee_underflow 0
		.amdhsa_exception_fp_ieee_inexact 0
		.amdhsa_exception_int_div_zero 0
	.end_amdhsa_kernel
	.section	.text._Z38paged_attention_ll4mi_QKV_mfma4_kernelI14__hip_bfloat16S0_LN4vllm18Fp8KVCacheDataTypeE0ES0_Li16ELi128ELi256ELb0ELi1EEvPKT_PKT0_S8_ifPKiSA_SA_iPKfiiiPfSD_PS3_PT2_iSC_SC_,"axG",@progbits,_Z38paged_attention_ll4mi_QKV_mfma4_kernelI14__hip_bfloat16S0_LN4vllm18Fp8KVCacheDataTypeE0ES0_Li16ELi128ELi256ELb0ELi1EEvPKT_PKT0_S8_ifPKiSA_SA_iPKfiiiPfSD_PS3_PT2_iSC_SC_,comdat
.Lfunc_end324:
	.size	_Z38paged_attention_ll4mi_QKV_mfma4_kernelI14__hip_bfloat16S0_LN4vllm18Fp8KVCacheDataTypeE0ES0_Li16ELi128ELi256ELb0ELi1EEvPKT_PKT0_S8_ifPKiSA_SA_iPKfiiiPfSD_PS3_PT2_iSC_SC_, .Lfunc_end324-_Z38paged_attention_ll4mi_QKV_mfma4_kernelI14__hip_bfloat16S0_LN4vllm18Fp8KVCacheDataTypeE0ES0_Li16ELi128ELi256ELb0ELi1EEvPKT_PKT0_S8_ifPKiSA_SA_iPKfiiiPfSD_PS3_PT2_iSC_SC_
                                        ; -- End function
	.section	.AMDGPU.csdata,"",@progbits
; Kernel info:
; codeLenInByte = 3912
; NumSgprs: 42
; NumVgprs: 85
; NumAgprs: 8
; TotalNumVgprs: 96
; ScratchSize: 0
; MemoryBound: 0
; FloatMode: 240
; IeeeMode: 1
; LDSByteSize: 5280 bytes/workgroup (compile time only)
; SGPRBlocks: 5
; VGPRBlocks: 11
; NumSGPRsForWavesPerEU: 42
; NumVGPRsForWavesPerEU: 96
; AccumOffset: 88
; Occupancy: 5
; WaveLimiterHint : 1
; COMPUTE_PGM_RSRC2:SCRATCH_EN: 0
; COMPUTE_PGM_RSRC2:USER_SGPR: 6
; COMPUTE_PGM_RSRC2:TRAP_HANDLER: 0
; COMPUTE_PGM_RSRC2:TGID_X_EN: 1
; COMPUTE_PGM_RSRC2:TGID_Y_EN: 1
; COMPUTE_PGM_RSRC2:TGID_Z_EN: 1
; COMPUTE_PGM_RSRC2:TIDIG_COMP_CNT: 0
; COMPUTE_PGM_RSRC3_GFX90A:ACCUM_OFFSET: 21
; COMPUTE_PGM_RSRC3_GFX90A:TG_SPLIT: 0
	.section	.text._Z38paged_attention_ll4mi_QKV_mfma4_kernelI14__hip_bfloat16S0_LN4vllm18Fp8KVCacheDataTypeE0ES0_Li16ELi128ELi256ELb0ELi2EEvPKT_PKT0_S8_ifPKiSA_SA_iPKfiiiPfSD_PS3_PT2_iSC_SC_,"axG",@progbits,_Z38paged_attention_ll4mi_QKV_mfma4_kernelI14__hip_bfloat16S0_LN4vllm18Fp8KVCacheDataTypeE0ES0_Li16ELi128ELi256ELb0ELi2EEvPKT_PKT0_S8_ifPKiSA_SA_iPKfiiiPfSD_PS3_PT2_iSC_SC_,comdat
	.protected	_Z38paged_attention_ll4mi_QKV_mfma4_kernelI14__hip_bfloat16S0_LN4vllm18Fp8KVCacheDataTypeE0ES0_Li16ELi128ELi256ELb0ELi2EEvPKT_PKT0_S8_ifPKiSA_SA_iPKfiiiPfSD_PS3_PT2_iSC_SC_ ; -- Begin function _Z38paged_attention_ll4mi_QKV_mfma4_kernelI14__hip_bfloat16S0_LN4vllm18Fp8KVCacheDataTypeE0ES0_Li16ELi128ELi256ELb0ELi2EEvPKT_PKT0_S8_ifPKiSA_SA_iPKfiiiPfSD_PS3_PT2_iSC_SC_
	.globl	_Z38paged_attention_ll4mi_QKV_mfma4_kernelI14__hip_bfloat16S0_LN4vllm18Fp8KVCacheDataTypeE0ES0_Li16ELi128ELi256ELb0ELi2EEvPKT_PKT0_S8_ifPKiSA_SA_iPKfiiiPfSD_PS3_PT2_iSC_SC_
	.p2align	8
	.type	_Z38paged_attention_ll4mi_QKV_mfma4_kernelI14__hip_bfloat16S0_LN4vllm18Fp8KVCacheDataTypeE0ES0_Li16ELi128ELi256ELb0ELi2EEvPKT_PKT0_S8_ifPKiSA_SA_iPKfiiiPfSD_PS3_PT2_iSC_SC_,@function
_Z38paged_attention_ll4mi_QKV_mfma4_kernelI14__hip_bfloat16S0_LN4vllm18Fp8KVCacheDataTypeE0ES0_Li16ELi128ELi256ELb0ELi2EEvPKT_PKT0_S8_ifPKiSA_SA_iPKfiiiPfSD_PS3_PT2_iSC_SC_: ; @_Z38paged_attention_ll4mi_QKV_mfma4_kernelI14__hip_bfloat16S0_LN4vllm18Fp8KVCacheDataTypeE0ES0_Li16ELi128ELi256ELb0ELi2EEvPKT_PKT0_S8_ifPKiSA_SA_iPKfiiiPfSD_PS3_PT2_iSC_SC_
; %bb.0:
	s_load_dwordx2 s[2:3], s[4:5], 0x30
	s_mov_b32 s24, s7
	s_mov_b64 s[0:1], 0
	s_waitcnt lgkmcnt(0)
	s_cmp_lg_u64 s[2:3], 0
	s_cselect_b64 s[10:11], -1, 0
	s_and_b64 vcc, exec, s[10:11]
	s_cbranch_vccz .LBB325_10
; %bb.1:
	s_add_i32 s12, s6, 1
	s_mov_b32 s13, 0
	s_lshl_b64 s[14:15], s[12:13], 2
	s_add_u32 s14, s2, s14
	s_mov_b32 s7, s13
	s_addc_u32 s15, s3, s15
	s_lshl_b64 s[12:13], s[6:7], 2
	s_add_u32 s12, s2, s12
	s_addc_u32 s13, s3, s13
	s_load_dword s9, s[14:15], 0x0
	s_load_dword s16, s[12:13], 0x0
	s_waitcnt lgkmcnt(0)
	s_sub_i32 s9, s9, s16
	s_cmp_eq_u32 s9, 1
	s_cselect_b64 s[12:13], -1, 0
	s_andn2_b64 vcc, exec, s[0:1]
	s_cbranch_vccnz .LBB325_3
.LBB325_2:
	s_mov_b32 s7, 0
	s_mov_b64 s[12:13], -1
.LBB325_3:
	s_andn2_b64 vcc, exec, s[12:13]
	s_cbranch_vccnz .LBB325_25
; %bb.4:
	s_load_dword s9, s[4:5], 0x9c
	s_load_dwordx2 s[0:1], s[4:5], 0x28
	s_add_u32 s28, s4, 0x90
	s_addc_u32 s29, s5, 0
	s_lshl_b64 s[16:17], s[6:7], 2
	s_waitcnt lgkmcnt(0)
	s_and_b32 s12, s9, 0xffff
	s_add_u32 s0, s0, s16
	s_addc_u32 s1, s1, s17
	s_load_dword s9, s[0:1], 0x0
	s_mul_i32 s18, s24, s12
	s_waitcnt lgkmcnt(0)
	s_cmp_ge_i32 s18, s9
	s_cbranch_scc1 .LBB325_25
; %bb.5:
	v_and_b32_e32 v1, 0xc0, v0
	v_add_u32_e32 v2, s18, v1
	v_lshrrev_b32_e32 v70, 6, v0
	v_cmp_le_i32_e64 s[0:1], s9, v2
                                        ; implicit-def: $sgpr20
                                        ; implicit-def: $sgpr19
	s_and_saveexec_b64 s[12:13], s[0:1]
	s_xor_b64 s[12:13], exec, s[12:13]
	s_cbranch_execz .LBB325_7
; %bb.6:
	v_mul_u32_u24_e32 v1, 20, v70
	v_or_b32_e32 v1, 0x1400, v1
	v_mov_b32_e32 v2, 0x1450
	v_mov_b32_e32 v3, 0xff7fffff
	v_mad_u32_u24 v2, v70, 20, v2
	ds_write2_b32 v1, v3, v3 offset1:1
	v_mov_b32_e32 v1, 0
	ds_write2_b32 v2, v1, v1 offset1:1
	v_mov_b32_e32 v2, 0x1408
	s_mov_b32 s19, 0xff7fffff
	s_mov_b32 s20, 0
	v_mad_u32_u24 v2, v70, 20, v2
	v_mov_b32_e32 v4, 0x1458
	v_mad_u32_u24 v4, v70, 20, v4
	ds_write2_b32 v2, v3, v3 offset1:1
	ds_write2_b32 v4, v1, v1 offset1:1
                                        ; implicit-def: $vgpr2
.LBB325_7:
	s_or_saveexec_b64 s[30:31], s[12:13]
	s_load_dwordx2 s[26:27], s[4:5], 0x68
	s_load_dwordx4 s[12:15], s[4:5], 0x58
	s_load_dword s7, s[28:29], 0x4
	v_and_b32_e32 v1, 63, v0
	v_and_b32_e32 v71, 3, v0
	v_mov_b32_e32 v69, s20
	v_mov_b32_e32 v72, s19
	;; [unrolled: 1-line block ×5, first 2 shown]
                                        ; implicit-def: $vgpr3
                                        ; implicit-def: $vgpr7
                                        ; implicit-def: $vgpr27
                                        ; implicit-def: $vgpr35
                                        ; implicit-def: $vgpr55
                                        ; implicit-def: $vgpr23
                                        ; implicit-def: $vgpr39
                                        ; implicit-def: $vgpr47
                                        ; implicit-def: $vgpr15
                                        ; implicit-def: $vgpr11
                                        ; implicit-def: $vgpr19
                                        ; implicit-def: $vgpr31
                                        ; implicit-def: $vgpr43
                                        ; implicit-def: $vgpr51
                                        ; implicit-def: $vgpr59
                                        ; implicit-def: $vgpr63
	s_xor_b64 exec, exec, s[30:31]
	s_cbranch_execz .LBB325_17
; %bb.8:
	s_add_i32 s22, s9, 15
	s_load_dwordx2 s[20:21], s[4:5], 0x20
	s_load_dword s19, s[4:5], 0x38
	s_ashr_i32 s23, s22, 31
	s_lshr_b32 s23, s23, 28
	v_add_u32_e32 v66, s18, v0
	s_add_i32 s22, s22, s23
	v_ashrrev_i32_e32 v3, 31, v66
	s_ashr_i32 s22, s22, 4
	v_lshrrev_b32_e32 v3, 28, v3
	s_add_i32 s25, s22, -1
	v_add_u32_e32 v3, v66, v3
	s_waitcnt lgkmcnt(0)
	s_mul_i32 s22, s6, s19
	s_mov_b32 s23, 0
	v_ashrrev_i32_e32 v3, 4, v3
	v_mov_b32_e32 v4, s25
	v_cmp_gt_i32_e32 vcc, s9, v66
	s_lshl_b64 s[22:23], s[22:23], 2
	v_cndmask_b32_e32 v4, v4, v3, vcc
	s_add_u32 s19, s20, s22
	v_ashrrev_i32_e32 v5, 31, v4
	s_addc_u32 s20, s21, s23
	v_lshlrev_b64 v[4:5], 2, v[4:5]
	v_mov_b32_e32 v3, s20
	v_add_co_u32_e32 v4, vcc, s19, v4
	v_addc_co_u32_e32 v5, vcc, v3, v5, vcc
	v_ashrrev_i32_e32 v3, 31, v2
	v_lshrrev_b32_e32 v3, 28, v3
	v_add_u32_e32 v2, v2, v3
	v_ashrrev_i32_e32 v6, 4, v2
	v_min_i32_e32 v2, s25, v6
	v_ashrrev_i32_e32 v3, 31, v2
	v_lshlrev_b64 v[2:3], 2, v[2:3]
	v_add_co_u32_e32 v10, vcc, s19, v2
	v_add_u32_e32 v2, 1, v6
	v_mov_b32_e32 v7, s20
	v_min_i32_e32 v2, s25, v2
	v_addc_co_u32_e32 v11, vcc, v7, v3, vcc
	v_ashrrev_i32_e32 v3, 31, v2
	v_lshlrev_b64 v[2:3], 2, v[2:3]
	v_add_co_u32_e32 v12, vcc, s19, v2
	v_add_u32_e32 v2, 2, v6
	v_min_i32_e32 v2, s25, v2
	v_addc_co_u32_e32 v13, vcc, v7, v3, vcc
	v_ashrrev_i32_e32 v3, 31, v2
	v_lshlrev_b64 v[2:3], 2, v[2:3]
	v_add_co_u32_e32 v14, vcc, s19, v2
	v_add_u32_e32 v2, 3, v6
	v_min_i32_e32 v2, s25, v2
	v_addc_co_u32_e32 v15, vcc, v7, v3, vcc
	v_ashrrev_i32_e32 v3, 31, v2
	v_lshlrev_b64 v[2:3], 2, v[2:3]
	v_mov_b32_e32 v6, s20
	v_add_co_u32_e32 v16, vcc, s19, v2
	v_addc_co_u32_e32 v17, vcc, v6, v3, vcc
	global_load_dword v2, v[4:5], off
	global_load_dword v9, v[10:11], off
	;; [unrolled: 1-line block ×5, first 2 shown]
	s_load_dwordx4 s[20:23], s[4:5], 0x8
	s_andn2_b64 vcc, exec, s[10:11]
	s_cbranch_vccnz .LBB325_11
; %bb.9:
	s_add_u32 s2, s2, s16
	s_addc_u32 s3, s3, s17
	s_load_dword s2, s[2:3], 0x0
	s_branch .LBB325_12
.LBB325_10:
	s_mov_b64 s[12:13], 0
	s_branch .LBB325_2
.LBB325_11:
	s_mov_b32 s2, s6
.LBB325_12:
	s_load_dwordx4 s[16:19], s[4:5], 0x48
	v_cmp_gt_u32_e32 vcc, 2, v71
	s_mov_b32 s3, 0
	v_mov_b32_e32 v3, 0
	v_mov_b32_e32 v58, 0
	;; [unrolled: 1-line block ×5, first 2 shown]
	s_and_saveexec_b64 s[10:11], vcc
	s_cbranch_execz .LBB325_14
; %bb.13:
	s_load_dwordx2 s[34:35], s[4:5], 0x0
	s_waitcnt lgkmcnt(0)
	s_ashr_i32 s19, s16, 31
	s_mul_hi_u32 s25, s2, s16
	s_mul_i32 s19, s2, s19
	s_add_i32 s37, s25, s19
	s_mul_i32 s36, s2, s16
	s_lshl_b64 s[36:37], s[36:37], 1
	s_add_u32 s16, s34, s36
	s_addc_u32 s19, s35, s37
	s_lshl_b32 s2, s8, 8
	s_lshl_b64 s[34:35], s[2:3], 1
	v_lshlrev_b32_e32 v4, 2, v1
	s_add_u32 s34, s16, s34
	v_and_b32_e32 v4, 0xf0, v4
	s_addc_u32 s35, s19, s35
	v_lshl_or_b32 v4, v71, 8, v4
	global_load_dwordx4 v[58:61], v4, s[34:35]
.LBB325_14:
	s_or_b64 exec, exec, s[10:11]
	s_waitcnt lgkmcnt(0)
	s_mul_i32 s2, s8, s18
	s_waitcnt vmcnt(4)
	v_mad_i64_i32 v[4:5], s[10:11], v2, s17, 0
	s_lshl_b64 s[2:3], s[2:3], 1
	s_add_u32 s10, s2, s20
	v_lshlrev_b64 v[4:5], 1, v[4:5]
	s_addc_u32 s11, s3, s21
	v_mov_b32_e32 v2, s11
	v_add_co_u32_e32 v4, vcc, s10, v4
	v_addc_co_u32_e32 v2, vcc, v2, v5, vcc
	v_and_b32_e32 v5, 15, v0
	v_lshlrev_b32_e32 v5, 4, v5
	v_add_co_u32_e32 v4, vcc, v4, v5
	v_addc_co_u32_e32 v5, vcc, 0, v2, vcc
	global_load_dwordx4 v[10:13], v[4:5], off
	global_load_dwordx4 v[14:17], v[4:5], off offset:256
	global_load_dwordx4 v[18:21], v[4:5], off offset:512
	;; [unrolled: 1-line block ×11, first 2 shown]
	s_waitcnt vmcnt(14)
	v_mul_hi_i32 v62, v8, s17
	s_waitcnt vmcnt(13)
	v_mul_hi_i32 v63, v7, s17
	;; [unrolled: 2-line block ×3, first 2 shown]
	v_ashrrev_i32_e32 v72, 31, v62
	v_ashrrev_i32_e32 v76, 31, v63
	;; [unrolled: 1-line block ×3, first 2 shown]
	global_load_dwordx4 v[62:65], v[4:5], off offset:3072
	v_mul_hi_i32 v2, v9, s17
	v_ashrrev_i32_e32 v2, 31, v2
	v_lshrrev_b32_e32 v2, 29, v2
	v_mad_i64_i32 v[68:69], s[10:11], v9, s17, v[2:3]
	v_lshrrev_b32_e32 v2, 29, v72
	global_load_dwordx4 v[72:75], v[4:5], off offset:3328
	v_mad_i64_i32 v[8:9], s[10:11], v8, s17, v[2:3]
	v_lshrrev_b32_e32 v2, 29, v76
	global_load_dwordx4 v[76:79], v[4:5], off offset:3584
	s_load_dword s4, s[4:5], 0x1c
	s_add_u32 s5, s22, s2
	s_addc_u32 s10, s23, s3
	v_lshlrev_b64 v[68:69], 1, v[68:69]
	v_cmp_eq_u32_e32 vcc, 0, v71
	v_cndmask_b32_e64 v84, 0, 1.0, vcc
	v_lshlrev_b64 v[8:9], 1, v[8:9]
	v_and_b32_e32 v8, -16, v8
	v_lshlrev_b32_e32 v67, 5, v1
	s_waitcnt vmcnt(14)
	v_mfma_f32_4x4x4bf16_1k a[0:3], v[58:59], v[10:11], 0 cbsz:4
	v_mad_i64_i32 v[10:11], s[2:3], v7, s17, v[2:3]
	v_lshrrev_b32_e32 v2, 29, v80
	global_load_dwordx4 v[80:83], v[4:5], off offset:3840
	v_mfma_f32_4x4x4bf16_1k a[0:3], v[60:61], v[12:13], a[0:3] cbsz:4
	v_and_b32_e32 v12, -16, v68
	s_waitcnt vmcnt(14)
	v_mfma_f32_4x4x4bf16_1k a[0:3], v[58:59], v[14:15], a[0:3] cbsz:4 abid:1
	v_mov_b32_e32 v7, s10
	v_mfma_f32_4x4x4bf16_1k a[0:3], v[60:61], v[16:17], a[0:3] cbsz:4 abid:1
	v_mad_i64_i32 v[2:3], s[2:3], v6, s17, v[2:3]
	s_waitcnt vmcnt(13)
	v_mfma_f32_4x4x4bf16_1k a[0:3], v[58:59], v[18:19], a[0:3] cbsz:4 abid:2
	v_add_co_u32_e32 v6, vcc, s5, v12
	v_mfma_f32_4x4x4bf16_1k a[0:3], v[60:61], v[20:21], a[0:3] cbsz:4 abid:2
	v_addc_co_u32_e32 v7, vcc, v7, v69, vcc
	s_waitcnt vmcnt(12)
	v_mfma_f32_4x4x4bf16_1k a[0:3], v[58:59], v[22:23], a[0:3] cbsz:4 abid:3
	v_mov_b32_e32 v13, s10
	v_mfma_f32_4x4x4bf16_1k a[0:3], v[60:61], v[24:25], a[0:3] cbsz:4 abid:3
	v_add_co_u32_e32 v8, vcc, s5, v8
	s_waitcnt vmcnt(11)
	v_mfma_f32_4x4x4bf16_1k a[0:3], v[58:59], v[26:27], a[0:3] cbsz:4 abid:4
	v_addc_co_u32_e32 v9, vcc, v13, v9, vcc
	v_mfma_f32_4x4x4bf16_1k a[0:3], v[60:61], v[28:29], a[0:3] cbsz:4 abid:4
	v_add_co_u32_e32 v18, vcc, v6, v67
	s_waitcnt vmcnt(10)
	v_mfma_f32_4x4x4bf16_1k a[0:3], v[58:59], v[30:31], a[0:3] cbsz:4 abid:5
	v_addc_co_u32_e32 v19, vcc, 0, v7, vcc
	v_mfma_f32_4x4x4bf16_1k a[0:3], v[60:61], v[32:33], a[0:3] cbsz:4 abid:5
	v_lshlrev_b64 v[4:5], 1, v[10:11]
	s_waitcnt vmcnt(9)
	v_mfma_f32_4x4x4bf16_1k a[0:3], v[58:59], v[34:35], a[0:3] cbsz:4 abid:6
	v_add_co_u32_e32 v24, vcc, v8, v67
	v_mfma_f32_4x4x4bf16_1k a[0:3], v[60:61], v[36:37], a[0:3] cbsz:4 abid:6
	v_and_b32_e32 v4, -16, v4
	s_waitcnt vmcnt(8)
	v_mfma_f32_4x4x4bf16_1k a[0:3], v[58:59], v[38:39], a[0:3] cbsz:4 abid:7
	v_addc_co_u32_e32 v25, vcc, 0, v9, vcc
	v_mfma_f32_4x4x4bf16_1k a[0:3], v[60:61], v[40:41], a[0:3] cbsz:4 abid:7
	v_mov_b32_e32 v10, s10
	s_waitcnt vmcnt(7)
	v_mfma_f32_4x4x4bf16_1k a[0:3], v[58:59], v[42:43], a[0:3] cbsz:4 abid:8
	v_add_co_u32_e32 v38, vcc, s5, v4
	v_mfma_f32_4x4x4bf16_1k a[0:3], v[60:61], v[44:45], a[0:3] cbsz:4 abid:8
	v_addc_co_u32_e32 v39, vcc, v10, v5, vcc
	s_waitcnt vmcnt(6)
	v_mfma_f32_4x4x4bf16_1k a[0:3], v[58:59], v[46:47], a[0:3] cbsz:4 abid:9
	v_lshlrev_b64 v[22:23], 1, v[2:3]
	v_mfma_f32_4x4x4bf16_1k a[0:3], v[60:61], v[48:49], a[0:3] cbsz:4 abid:9
	v_add_co_u32_e32 v38, vcc, v38, v67
	s_waitcnt vmcnt(5)
	v_mfma_f32_4x4x4bf16_1k a[0:3], v[58:59], v[50:51], a[0:3] cbsz:4 abid:10
	v_and_b32_e32 v22, -16, v22
	v_mfma_f32_4x4x4bf16_1k a[0:3], v[60:61], v[52:53], a[0:3] cbsz:4 abid:10
	v_addc_co_u32_e32 v39, vcc, 0, v39, vcc
	s_waitcnt vmcnt(4)
	v_mfma_f32_4x4x4bf16_1k a[0:3], v[58:59], v[54:55], a[0:3] cbsz:4 abid:11
	v_mov_b32_e32 v68, s10
	v_mfma_f32_4x4x4bf16_1k a[0:3], v[60:61], v[56:57], a[0:3] cbsz:4 abid:11
	v_add_co_u32_e32 v40, vcc, s5, v22
	s_waitcnt vmcnt(3)
	v_mfma_f32_4x4x4bf16_1k a[0:3], v[58:59], v[62:63], a[0:3] cbsz:4 abid:12
	v_addc_co_u32_e32 v41, vcc, v68, v23, vcc
	v_mfma_f32_4x4x4bf16_1k a[0:3], v[60:61], v[64:65], a[0:3] cbsz:4 abid:12
	v_add_co_u32_e32 v68, vcc, v40, v67
	s_waitcnt vmcnt(2)
	v_mfma_f32_4x4x4bf16_1k a[0:3], v[58:59], v[72:73], a[0:3] cbsz:4 abid:13
	v_addc_co_u32_e32 v69, vcc, 0, v41, vcc
	v_mfma_f32_4x4x4bf16_1k a[0:3], v[60:61], v[74:75], a[0:3] cbsz:4 abid:13
	global_load_dwordx4 v[2:5], v[18:19], off
	global_load_dwordx4 v[6:9], v[18:19], off offset:16
	s_waitcnt vmcnt(3)
	v_mfma_f32_4x4x4bf16_1k a[0:3], v[58:59], v[76:77], a[0:3] cbsz:4 abid:14
	global_load_dwordx4 v[14:17], v[18:19], off offset:2048
	global_load_dwordx4 v[10:13], v[18:19], off offset:2064
	v_mfma_f32_4x4x4bf16_1k a[0:3], v[60:61], v[78:79], a[0:3] cbsz:4 abid:14
	global_load_dwordx4 v[26:29], v[24:25], off
	global_load_dwordx4 v[34:37], v[24:25], off offset:16
	s_waitcnt vmcnt(6)
	v_mfma_f32_4x4x4bf16_1k a[0:3], v[58:59], v[80:81], a[0:3] cbsz:4 abid:15
	global_load_dwordx4 v[18:21], v[24:25], off offset:2048
	global_load_dwordx4 v[30:33], v[24:25], off offset:2064
	v_mfma_f32_4x4x4bf16_1k a[0:3], v[60:61], v[82:83], a[0:3] cbsz:4 abid:15
	global_load_dwordx4 v[54:57], v[38:39], off
	global_load_dwordx4 v[22:25], v[38:39], off offset:16
	global_load_dwordx4 v[42:45], v[38:39], off offset:2048
	;; [unrolled: 1-line block ×3, first 2 shown]
	s_nop 0
	global_load_dwordx4 v[38:41], v[68:69], off
	global_load_dwordx4 v[46:49], v[68:69], off offset:16
	v_accvgpr_read_b32 v59, a1
	v_accvgpr_read_b32 v58, a0
	s_waitcnt lgkmcnt(0)
	v_pk_mul_f32 v[72:73], s[4:5], v[58:59] op_sel_hi:[0,1]
	global_load_dwordx4 v[58:61], v[68:69], off offset:2048
	global_load_dwordx4 v[62:65], v[68:69], off offset:2064
	v_accvgpr_read_b32 v69, a3
	v_accvgpr_read_b32 v68, a2
	v_pk_mul_f32 v[68:69], s[4:5], v[68:69] op_sel_hi:[0,1]
	v_mfma_f32_4x4x1f32 a[0:3], v72, v84, 0
	v_cmp_eq_u32_e32 vcc, 1, v71
	v_cndmask_b32_e64 v67, 0, 1.0, vcc
	v_cmp_eq_u32_e32 vcc, 2, v71
	s_nop 0
	v_mfma_f32_4x4x1f32 a[0:3], v73, v67, a[0:3]
	v_cndmask_b32_e64 v67, 0, 1.0, vcc
	v_cmp_eq_u32_e32 vcc, 3, v71
	v_mov_b32_e32 v73, 0xff7fffff
	v_mfma_f32_4x4x1f32 a[0:3], v68, v67, a[0:3]
	v_cndmask_b32_e64 v67, 0, 1.0, vcc
	v_lshlrev_b32_e32 v68, 2, v0
	v_and_or_b32 v68, v68, 48, v71
	v_mfma_f32_4x4x1f32 a[0:3], v69, v67, a[0:3]
	v_and_b32_e32 v67, -4, v66
	v_cmp_gt_i32_e32 vcc, s9, v67
	v_or_b32_e32 v66, 3, v66
	v_cmp_gt_i32_e64 s[10:11], s9, v66
	v_lshlrev_b32_e32 v76, 2, v68
	v_accvgpr_read_b32 v69, a0
	v_max_f32_e32 v72, v69, v69
	v_max_f32_e32 v72, 0xff7fffff, v72
	v_accvgpr_read_b32 v74, a1
	v_cndmask_b32_e32 v72, v73, v72, vcc
	v_or_b32_e32 v73, 1, v67
	v_max_f32_e32 v75, v74, v74
	v_max_f32_e32 v75, v72, v75
	v_cmp_gt_i32_e64 s[2:3], s9, v73
	v_accvgpr_read_b32 v73, a2
	v_cndmask_b32_e64 v72, v72, v75, s[2:3]
	v_or_b32_e32 v67, 2, v67
	v_max_f32_e32 v75, v73, v73
	v_max_f32_e32 v75, v72, v75
	v_cmp_gt_i32_e64 s[4:5], s9, v67
	v_cndmask_b32_e64 v67, v72, v75, s[4:5]
	v_accvgpr_read_b32 v75, a3
	v_max_f32_e32 v72, v75, v75
	v_max_f32_e32 v72, v67, v72
	v_cndmask_b32_e64 v66, v67, v72, s[10:11]
	;;#ASMSTART
	v_nop
 v_nop
 v_max_f32_dpp v66, v66, v66 row_ror:4
	;;#ASMEND
	;;#ASMSTART
	v_nop
 v_nop
 v_max_f32_dpp v66, v66, v66 row_ror:8
	;;#ASMEND
	ds_bpermute_b32 v66, v76, v66
	s_waitcnt lgkmcnt(0)
	;;#ASMSTART
	v_nop
 v_nop
 v_max_f32_dpp v66, v66, v66 row_ror:4
	;;#ASMEND
	;;#ASMSTART
	v_nop
 v_nop
 v_max_f32_dpp v72, v66, v66 row_ror:8
	;;#ASMEND
	v_sub_f32_e32 v66, v69, v72
	v_mul_f32_e32 v66, 0x3fb8aa3b, v66
	v_sub_f32_e32 v67, v74, v72
	v_exp_f32_e32 v66, v66
	v_mul_f32_e32 v67, 0x3fb8aa3b, v67
	v_sub_f32_e32 v69, v73, v72
	v_exp_f32_e32 v67, v67
	;; [unrolled: 3-line block ×3, first 2 shown]
	v_mul_f32_e32 v73, 0x3fb8aa3b, v73
	v_exp_f32_e32 v73, v73
	v_cndmask_b32_e32 v66, 0, v66, vcc
	v_add_f32_e32 v68, 0, v66
	v_cndmask_b32_e64 v67, 0, v67, s[2:3]
	v_add_f32_e32 v74, v68, v67
	v_cndmask_b32_e64 v68, 0, v69, s[4:5]
	;; [unrolled: 2-line block ×3, first 2 shown]
	v_add_f32_e32 v73, v74, v69
	;;#ASMSTART
	v_nop
 v_nop
 v_add_f32_dpp v73, v73, v73 row_ror:4
	;;#ASMEND
	;;#ASMSTART
	v_nop
 v_nop
 v_add_f32_dpp v73, v73, v73 row_ror:8
	;;#ASMEND
	ds_bpermute_b32 v73, v76, v73
	s_waitcnt lgkmcnt(0)
	;;#ASMSTART
	v_nop
 v_nop
 v_add_f32_dpp v73, v73, v73 row_ror:4
	;;#ASMEND
	v_cmp_gt_u32_e32 vcc, 4, v1
	;;#ASMSTART
	v_nop
 v_nop
 v_add_f32_dpp v73, v73, v73 row_ror:8
	;;#ASMEND
	s_and_saveexec_b64 s[2:3], vcc
	s_cbranch_execz .LBB325_16
; %bb.15:
	v_mul_u32_u24_e32 v74, 20, v70
	v_lshl_add_u32 v74, v71, 2, v74
	v_add_u32_e32 v74, 0x1400, v74
	ds_write2_b32 v74, v72, v73 offset1:20
.LBB325_16:
	s_or_b64 exec, exec, s[2:3]
.LBB325_17:
	s_or_b64 exec, exec, s[30:31]
	s_waitcnt lgkmcnt(0)
	s_barrier
	s_load_dword s2, s[28:29], 0x8
	v_lshlrev_b32_e32 v73, 2, v71
	v_add_u32_e32 v73, 0x1400, v73
	ds_read2_b32 v[76:77], v73 offset1:5
	ds_read2_b32 v[78:79], v73 offset0:10 offset1:15
	s_mul_i32 s3, s6, s7
	s_waitcnt lgkmcnt(0)
	s_mul_i32 s3, s3, s2
	s_lshl_b32 s2, s3, 1
	s_mov_b32 s3, 0xff7fffff
	v_max3_f32 v74, v76, s3, v77
	v_max3_f32 v74, v74, v78, v79
	v_sub_f32_e32 v75, v76, v74
	v_sub_f32_e32 v76, v77, v74
	ds_read2_b32 v[80:81], v73 offset0:20 offset1:25
	v_mul_f32_e32 v75, 0x3fb8aa3b, v75
	v_mul_f32_e32 v76, 0x3fb8aa3b, v76
	v_exp_f32_e32 v75, v75
	v_exp_f32_e32 v82, v76
	ds_read2_b32 v[76:77], v73 offset0:30 offset1:35
	v_sub_f32_e32 v73, v78, v74
	v_mul_f32_e32 v73, 0x3fb8aa3b, v73
	v_sub_f32_e32 v78, v79, v74
	v_exp_f32_e32 v73, v73
	v_mul_f32_e32 v78, 0x3fb8aa3b, v78
	v_exp_f32_e32 v78, v78
	s_waitcnt lgkmcnt(1)
	v_fma_f32 v75, v75, v80, 0
	v_fmac_f32_e32 v75, v82, v81
	s_waitcnt lgkmcnt(0)
	v_fmac_f32_e32 v75, v73, v76
	s_lshl_b32 s8, s8, 1
	v_fmac_f32_e32 v75, v78, v77
	v_cmp_gt_u32_e32 vcc, 2, v71
	s_and_saveexec_b64 s[4:5], vcc
	s_cbranch_execz .LBB325_19
; %bb.18:
	s_mov_b32 s3, 0
	s_lshl_b64 s[10:11], s[2:3], 2
	s_add_u32 s6, s12, s10
	s_mov_b32 s25, s3
	s_addc_u32 s9, s13, s11
	s_lshl_b64 s[12:13], s[24:25], 2
	s_add_u32 s3, s6, s12
	s_addc_u32 s6, s9, s13
	v_or_b32_e32 v71, s8, v71
	s_add_u32 s9, s14, s10
	v_mul_lo_u32 v76, s7, v71
	v_mov_b32_e32 v77, 0
	s_addc_u32 s10, s15, s11
	v_lshlrev_b64 v[76:77], 2, v[76:77]
	s_add_u32 s9, s9, s12
	v_mov_b32_e32 v71, s6
	v_add_co_u32_e32 v78, vcc, s3, v76
	s_addc_u32 s10, s10, s13
	v_addc_co_u32_e32 v79, vcc, v71, v77, vcc
	v_mov_b32_e32 v71, s10
	v_add_co_u32_e32 v76, vcc, s9, v76
	v_addc_co_u32_e32 v77, vcc, v71, v77, vcc
	global_store_dword v[76:77], v74, off
	global_store_dword v[78:79], v75, off
.LBB325_19:
	s_or_b64 exec, exec, s[4:5]
	v_lshlrev_b32_e32 v73, 3, v70
                                        ; implicit-def: $sgpr3
	s_and_saveexec_b64 s[4:5], s[0:1]
	s_xor_b64 s[0:1], exec, s[4:5]
	s_cbranch_execz .LBB325_21
; %bb.20:
	s_waitcnt vmcnt(15)
	v_mov_b32_e32 v2, 0
	v_mad_u32_u24 v4, v1, 40, v73
	s_mov_b32 s3, 0
	v_mov_b32_e32 v3, v2
	ds_write_b64 v4, v[2:3]
                                        ; implicit-def: $vgpr69
                                        ; implicit-def: $vgpr67
                                        ; implicit-def: $vgpr3
                                        ; implicit-def: $vgpr7
                                        ; implicit-def: $vgpr27
                                        ; implicit-def: $vgpr35
                                        ; implicit-def: $vgpr55
                                        ; implicit-def: $vgpr23
                                        ; implicit-def: $vgpr39
                                        ; implicit-def: $vgpr47
                                        ; implicit-def: $vgpr15
                                        ; implicit-def: $vgpr11
                                        ; implicit-def: $vgpr19
                                        ; implicit-def: $vgpr31
                                        ; implicit-def: $vgpr43
                                        ; implicit-def: $vgpr51
                                        ; implicit-def: $vgpr59
                                        ; implicit-def: $vgpr63
                                        ; implicit-def: $vgpr72
                                        ; implicit-def: $vgpr74
                                        ; implicit-def: $vgpr75
.LBB325_21:
	s_or_saveexec_b64 s[0:1], s[0:1]
	v_mov_b32_e32 v70, s3
	v_mov_b32_e32 v71, s3
	s_xor_b64 exec, exec, s[0:1]
	s_cbranch_execz .LBB325_23
; %bb.22:
	v_add_f32_e32 v70, 0x358637bd, v75
	v_div_scale_f32 v71, s[4:5], v70, v70, 1.0
	v_rcp_f32_e32 v75, v71
	v_sub_f32_e32 v72, v72, v74
	v_mul_f32_e32 v72, 0x3fb8aa3b, v72
	v_exp_f32_e32 v72, v72
	v_fma_f32 v74, -v71, v75, 1.0
	v_fmac_f32_e32 v75, v74, v75
	v_div_scale_f32 v74, vcc, 1.0, v70, 1.0
	v_mul_f32_e32 v76, v74, v75
	v_fma_f32 v77, -v71, v76, v74
	v_fmac_f32_e32 v76, v77, v75
	v_fma_f32 v71, -v71, v76, v74
	v_div_fmas_f32 v71, v71, v75, v76
	v_div_fixup_f32 v70, v71, v70, 1.0
	v_mul_f32_e32 v70, v72, v70
	v_pk_mul_f32 v[66:67], v[66:67], v[70:71] op_sel_hi:[1,0]
	v_pk_mul_f32 v[68:69], v[68:69], v[70:71] op_sel_hi:[1,0]
	v_bfe_u32 v70, v67, 16, 1
	v_bfe_u32 v71, v66, 16, 1
	s_movk_i32 s3, 0x7fff
	v_add3_u32 v66, v66, v71, s3
	v_add3_u32 v67, v67, v70, s3
	s_mov_b32 s4, 0x7060302
	v_perm_b32 v66, v67, v66, s4
	v_bfe_u32 v67, v69, 16, 1
	v_bfe_u32 v70, v68, 16, 1
	v_add3_u32 v68, v68, v70, s3
	v_add3_u32 v67, v69, v67, s3
	v_perm_b32 v67, v67, v68, s4
	s_waitcnt vmcnt(15)
	s_nop 0
	v_mfma_f32_4x4x4bf16_1k a[0:3], v[66:67], v[2:3], 0 cbsz:4
	v_mfma_f32_4x4x4bf16_1k a[0:3], v[66:67], v[4:5], a[0:3] cbsz:4 abid:1
	s_waitcnt vmcnt(14)
	v_mfma_f32_4x4x4bf16_1k a[0:3], v[66:67], v[6:7], a[0:3] cbsz:4 abid:2
	v_mfma_f32_4x4x4bf16_1k a[0:3], v[66:67], v[8:9], a[0:3] cbsz:4 abid:3
	s_waitcnt vmcnt(11)
	v_mfma_f32_4x4x4bf16_1k a[0:3], v[66:67], v[26:27], a[0:3] cbsz:4 abid:4
	;; [unrolled: 3-line block ×6, first 2 shown]
	v_mfma_f32_4x4x4bf16_1k a[4:7], v[66:67], v[14:15], 0 cbsz:4
	v_mfma_f32_4x4x4bf16_1k a[0:3], v[66:67], v[40:41], a[0:3] cbsz:4 abid:13
	v_mfma_f32_4x4x4bf16_1k a[4:7], v[66:67], v[16:17], a[4:7] cbsz:4 abid:1
	s_waitcnt vmcnt(2)
	v_mfma_f32_4x4x4bf16_1k a[0:3], v[66:67], v[46:47], a[0:3] cbsz:4 abid:14
	v_mfma_f32_4x4x4bf16_1k a[4:7], v[66:67], v[10:11], a[4:7] cbsz:4 abid:2
	;; [unrolled: 1-line block ×3, first 2 shown]
	s_nop 4
	v_accvgpr_read_b32 v3, a2
	v_accvgpr_read_b32 v4, a3
	;; [unrolled: 1-line block ×4, first 2 shown]
	v_mfma_f32_4x4x4bf16_1k a[0:3], v[66:67], v[12:13], a[4:7] cbsz:4 abid:3
	v_bfe_u32 v6, v5, 16, 1
	v_mfma_f32_4x4x4bf16_1k a[0:3], v[66:67], v[18:19], a[0:3] cbsz:4 abid:4
	v_bfe_u32 v7, v2, 16, 1
	v_mfma_f32_4x4x4bf16_1k a[0:3], v[66:67], v[20:21], a[0:3] cbsz:4 abid:5
	v_add3_u32 v2, v2, v7, s3
	v_mfma_f32_4x4x4bf16_1k a[0:3], v[66:67], v[30:31], a[0:3] cbsz:4 abid:6
	v_add3_u32 v5, v5, v6, s3
	v_mfma_f32_4x4x4bf16_1k a[0:3], v[66:67], v[32:33], a[0:3] cbsz:4 abid:7
	v_perm_b32 v2, v5, v2, s4
	v_mfma_f32_4x4x4bf16_1k a[0:3], v[66:67], v[42:43], a[0:3] cbsz:4 abid:8
	v_bfe_u32 v5, v4, 16, 1
	v_mfma_f32_4x4x4bf16_1k a[0:3], v[66:67], v[44:45], a[0:3] cbsz:4 abid:9
	v_bfe_u32 v6, v3, 16, 1
	v_mfma_f32_4x4x4bf16_1k a[0:3], v[66:67], v[50:51], a[0:3] cbsz:4 abid:10
	v_add3_u32 v3, v3, v6, s3
	v_mfma_f32_4x4x4bf16_1k a[0:3], v[66:67], v[52:53], a[0:3] cbsz:4 abid:11
	v_add3_u32 v4, v4, v5, s3
	s_waitcnt vmcnt(1)
	v_mfma_f32_4x4x4bf16_1k a[0:3], v[66:67], v[58:59], a[0:3] cbsz:4 abid:12
	v_perm_b32 v3, v4, v3, s4
	v_mfma_f32_4x4x4bf16_1k a[0:3], v[66:67], v[60:61], a[0:3] cbsz:4 abid:13
	v_mad_u32_u24 v4, v1, 40, v73
	s_waitcnt vmcnt(0)
	v_mfma_f32_4x4x4bf16_1k a[0:3], v[66:67], v[62:63], a[0:3] cbsz:4 abid:14
	ds_write_b64 v4, v[2:3]
	v_mfma_f32_4x4x4bf16_1k a[0:3], v[66:67], v[64:65], a[0:3] cbsz:4 abid:15
	s_nop 4
	v_accvgpr_read_b32 v4, a0
	v_accvgpr_read_b32 v5, a1
	;; [unrolled: 1-line block ×4, first 2 shown]
	v_bfe_u32 v6, v5, 16, 1
	v_bfe_u32 v7, v4, 16, 1
	v_add3_u32 v4, v4, v7, s3
	v_add3_u32 v5, v5, v6, s3
	v_bfe_u32 v6, v3, 16, 1
	v_bfe_u32 v7, v2, 16, 1
	v_add3_u32 v2, v2, v7, s3
	v_add3_u32 v3, v3, v6, s3
	v_perm_b32 v71, v3, v2, s4
	v_perm_b32 v70, v5, v4, s4
.LBB325_23:
	s_or_b64 exec, exec, s[0:1]
	s_waitcnt vmcnt(15)
	v_mad_u32_u24 v2, v1, 40, v73
	v_cmp_gt_u32_e32 vcc, 64, v0
	ds_write_b64 v2, v[70:71] offset:2560
	s_waitcnt lgkmcnt(0)
	s_barrier
	s_and_saveexec_b64 s[0:1], vcc
	s_cbranch_execz .LBB325_25
; %bb.24:
	s_waitcnt vmcnt(14)
	v_mul_u32_u24_e32 v6, 40, v1
	ds_read2_b64 v[2:5], v6 offset1:1
	ds_read2_b64 v[6:9], v6 offset0:2 offset1:3
	s_mov_b32 s1, 0
	s_lshl_b32 s0, s2, 7
	s_lshl_b64 s[2:3], s[0:1], 1
	s_waitcnt lgkmcnt(1)
	v_and_b32_e32 v3, 0xffff0000, v2
	v_add_f32_e32 v3, 0, v3
	v_and_b32_e32 v5, 0xffff0000, v4
	v_and_b32_e32 v3, 0xffff0000, v3
	v_add_f32_e32 v3, v3, v5
	s_waitcnt lgkmcnt(0)
	v_and_b32_e32 v7, 0xffff0000, v6
	v_and_b32_e32 v3, 0xffff0000, v3
	v_add_f32_e32 v3, v3, v7
	v_mov_b32_e32 v7, 0xa00
	v_mad_u32_u24 v7, v1, 40, v7
	s_waitcnt vmcnt(12)
	ds_read2_b64 v[10:13], v7 offset1:1
	v_and_b32_e32 v3, 0xffff0000, v3
	v_and_b32_e32 v5, 0xffff0000, v8
	v_add_f32_e32 v7, v3, v5
	v_mov_b32_e32 v3, 0xa10
	v_mad_u32_u24 v1, v1, 40, v3
	ds_read2_b64 v[14:17], v1 offset1:1
	s_waitcnt lgkmcnt(1)
	v_lshlrev_b32_e32 v1, 16, v10
	v_add_f32_e32 v1, 0, v1
	v_and_b32_e32 v3, 0xffff0000, v10
	v_and_b32_e32 v1, 0xffff0000, v1
	v_add_f32_e32 v3, 0, v3
	v_lshlrev_b32_e32 v5, 16, v12
	v_and_b32_e32 v3, 0xffff0000, v3
	v_add_f32_e32 v1, v1, v5
	v_and_b32_e32 v5, 0xffff0000, v12
	v_and_b32_e32 v1, 0xffff0000, v1
	v_add_f32_e32 v3, v3, v5
	s_waitcnt lgkmcnt(0)
	v_lshlrev_b32_e32 v5, 16, v14
	v_and_b32_e32 v3, 0xffff0000, v3
	v_add_f32_e32 v1, v1, v5
	v_and_b32_e32 v5, 0xffff0000, v14
	v_and_b32_e32 v1, 0xffff0000, v1
	v_add_f32_e32 v3, v3, v5
	v_lshlrev_b32_e32 v5, 16, v16
	v_and_b32_e32 v3, 0xffff0000, v3
	v_add_f32_e32 v9, v1, v5
	v_and_b32_e32 v1, 0xffff0000, v16
	v_add_f32_e32 v10, v3, v1
	v_lshlrev_b32_e32 v1, 16, v2
	s_add_u32 s2, s26, s2
	v_add_f32_e32 v1, 0, v1
	s_addc_u32 s3, s27, s3
	s_lshl_b32 s0, s24, 7
	v_and_b32_e32 v1, 0xffff0000, v1
	v_lshlrev_b32_e32 v2, 16, v4
	s_lshl_b64 s[0:1], s[0:1], 1
	v_add_f32_e32 v1, v1, v2
	s_add_u32 s0, s2, s0
	v_and_b32_e32 v1, 0xffff0000, v1
	v_lshlrev_b32_e32 v2, 16, v6
	s_addc_u32 s1, s3, s1
	s_lshl_b32 s2, s7, 7
	v_add_f32_e32 v1, v1, v2
	v_and_b32_e32 v1, 0xffff0000, v1
	v_lshlrev_b32_e32 v2, 16, v8
	s_mul_i32 s3, s2, s8
	v_add_f32_e32 v1, v1, v2
	v_or_b32_e32 v2, s3, v0
	v_mov_b32_e32 v3, 0
	v_lshlrev_b64 v[4:5], 1, v[2:3]
	v_mov_b32_e32 v2, s1
	v_add_co_u32_e32 v4, vcc, s0, v4
	s_add_i32 s3, s3, s2
	v_addc_co_u32_e32 v5, vcc, v2, v5, vcc
	v_or_b32_e32 v2, s3, v0
	global_store_short_d16_hi v[4:5], v1, off
	v_lshlrev_b64 v[0:1], 1, v[2:3]
	v_mov_b32_e32 v2, s1
	v_add_co_u32_e32 v0, vcc, s0, v0
	v_addc_co_u32_e32 v1, vcc, v2, v1, vcc
	global_store_short_d16_hi v[0:1], v7, off
	global_store_short_d16_hi v[4:5], v9, off offset:128
	global_store_short_d16_hi v[0:1], v10, off offset:128
.LBB325_25:
	s_endpgm
	.section	.rodata,"a",@progbits
	.p2align	6, 0x0
	.amdhsa_kernel _Z38paged_attention_ll4mi_QKV_mfma4_kernelI14__hip_bfloat16S0_LN4vllm18Fp8KVCacheDataTypeE0ES0_Li16ELi128ELi256ELb0ELi2EEvPKT_PKT0_S8_ifPKiSA_SA_iPKfiiiPfSD_PS3_PT2_iSC_SC_
		.amdhsa_group_segment_fixed_size 5280
		.amdhsa_private_segment_fixed_size 0
		.amdhsa_kernarg_size 400
		.amdhsa_user_sgpr_count 6
		.amdhsa_user_sgpr_private_segment_buffer 1
		.amdhsa_user_sgpr_dispatch_ptr 0
		.amdhsa_user_sgpr_queue_ptr 0
		.amdhsa_user_sgpr_kernarg_segment_ptr 1
		.amdhsa_user_sgpr_dispatch_id 0
		.amdhsa_user_sgpr_flat_scratch_init 0
		.amdhsa_user_sgpr_kernarg_preload_length 0
		.amdhsa_user_sgpr_kernarg_preload_offset 0
		.amdhsa_user_sgpr_private_segment_size 0
		.amdhsa_uses_dynamic_stack 0
		.amdhsa_system_sgpr_private_segment_wavefront_offset 0
		.amdhsa_system_sgpr_workgroup_id_x 1
		.amdhsa_system_sgpr_workgroup_id_y 1
		.amdhsa_system_sgpr_workgroup_id_z 1
		.amdhsa_system_sgpr_workgroup_info 0
		.amdhsa_system_vgpr_workitem_id 0
		.amdhsa_next_free_vgpr 96
		.amdhsa_next_free_sgpr 38
		.amdhsa_accum_offset 88
		.amdhsa_reserve_vcc 1
		.amdhsa_reserve_flat_scratch 0
		.amdhsa_float_round_mode_32 0
		.amdhsa_float_round_mode_16_64 0
		.amdhsa_float_denorm_mode_32 3
		.amdhsa_float_denorm_mode_16_64 3
		.amdhsa_dx10_clamp 1
		.amdhsa_ieee_mode 1
		.amdhsa_fp16_overflow 0
		.amdhsa_tg_split 0
		.amdhsa_exception_fp_ieee_invalid_op 0
		.amdhsa_exception_fp_denorm_src 0
		.amdhsa_exception_fp_ieee_div_zero 0
		.amdhsa_exception_fp_ieee_overflow 0
		.amdhsa_exception_fp_ieee_underflow 0
		.amdhsa_exception_fp_ieee_inexact 0
		.amdhsa_exception_int_div_zero 0
	.end_amdhsa_kernel
	.section	.text._Z38paged_attention_ll4mi_QKV_mfma4_kernelI14__hip_bfloat16S0_LN4vllm18Fp8KVCacheDataTypeE0ES0_Li16ELi128ELi256ELb0ELi2EEvPKT_PKT0_S8_ifPKiSA_SA_iPKfiiiPfSD_PS3_PT2_iSC_SC_,"axG",@progbits,_Z38paged_attention_ll4mi_QKV_mfma4_kernelI14__hip_bfloat16S0_LN4vllm18Fp8KVCacheDataTypeE0ES0_Li16ELi128ELi256ELb0ELi2EEvPKT_PKT0_S8_ifPKiSA_SA_iPKfiiiPfSD_PS3_PT2_iSC_SC_,comdat
.Lfunc_end325:
	.size	_Z38paged_attention_ll4mi_QKV_mfma4_kernelI14__hip_bfloat16S0_LN4vllm18Fp8KVCacheDataTypeE0ES0_Li16ELi128ELi256ELb0ELi2EEvPKT_PKT0_S8_ifPKiSA_SA_iPKfiiiPfSD_PS3_PT2_iSC_SC_, .Lfunc_end325-_Z38paged_attention_ll4mi_QKV_mfma4_kernelI14__hip_bfloat16S0_LN4vllm18Fp8KVCacheDataTypeE0ES0_Li16ELi128ELi256ELb0ELi2EEvPKT_PKT0_S8_ifPKiSA_SA_iPKfiiiPfSD_PS3_PT2_iSC_SC_
                                        ; -- End function
	.section	.AMDGPU.csdata,"",@progbits
; Kernel info:
; codeLenInByte = 4148
; NumSgprs: 42
; NumVgprs: 85
; NumAgprs: 8
; TotalNumVgprs: 96
; ScratchSize: 0
; MemoryBound: 0
; FloatMode: 240
; IeeeMode: 1
; LDSByteSize: 5280 bytes/workgroup (compile time only)
; SGPRBlocks: 5
; VGPRBlocks: 11
; NumSGPRsForWavesPerEU: 42
; NumVGPRsForWavesPerEU: 96
; AccumOffset: 88
; Occupancy: 5
; WaveLimiterHint : 1
; COMPUTE_PGM_RSRC2:SCRATCH_EN: 0
; COMPUTE_PGM_RSRC2:USER_SGPR: 6
; COMPUTE_PGM_RSRC2:TRAP_HANDLER: 0
; COMPUTE_PGM_RSRC2:TGID_X_EN: 1
; COMPUTE_PGM_RSRC2:TGID_Y_EN: 1
; COMPUTE_PGM_RSRC2:TGID_Z_EN: 1
; COMPUTE_PGM_RSRC2:TIDIG_COMP_CNT: 0
; COMPUTE_PGM_RSRC3_GFX90A:ACCUM_OFFSET: 21
; COMPUTE_PGM_RSRC3_GFX90A:TG_SPLIT: 0
	.section	.text._Z38paged_attention_ll4mi_QKV_mfma4_kernelI14__hip_bfloat16S0_LN4vllm18Fp8KVCacheDataTypeE0ES0_Li16ELi128ELi256ELb0ELi3EEvPKT_PKT0_S8_ifPKiSA_SA_iPKfiiiPfSD_PS3_PT2_iSC_SC_,"axG",@progbits,_Z38paged_attention_ll4mi_QKV_mfma4_kernelI14__hip_bfloat16S0_LN4vllm18Fp8KVCacheDataTypeE0ES0_Li16ELi128ELi256ELb0ELi3EEvPKT_PKT0_S8_ifPKiSA_SA_iPKfiiiPfSD_PS3_PT2_iSC_SC_,comdat
	.protected	_Z38paged_attention_ll4mi_QKV_mfma4_kernelI14__hip_bfloat16S0_LN4vllm18Fp8KVCacheDataTypeE0ES0_Li16ELi128ELi256ELb0ELi3EEvPKT_PKT0_S8_ifPKiSA_SA_iPKfiiiPfSD_PS3_PT2_iSC_SC_ ; -- Begin function _Z38paged_attention_ll4mi_QKV_mfma4_kernelI14__hip_bfloat16S0_LN4vllm18Fp8KVCacheDataTypeE0ES0_Li16ELi128ELi256ELb0ELi3EEvPKT_PKT0_S8_ifPKiSA_SA_iPKfiiiPfSD_PS3_PT2_iSC_SC_
	.globl	_Z38paged_attention_ll4mi_QKV_mfma4_kernelI14__hip_bfloat16S0_LN4vllm18Fp8KVCacheDataTypeE0ES0_Li16ELi128ELi256ELb0ELi3EEvPKT_PKT0_S8_ifPKiSA_SA_iPKfiiiPfSD_PS3_PT2_iSC_SC_
	.p2align	8
	.type	_Z38paged_attention_ll4mi_QKV_mfma4_kernelI14__hip_bfloat16S0_LN4vllm18Fp8KVCacheDataTypeE0ES0_Li16ELi128ELi256ELb0ELi3EEvPKT_PKT0_S8_ifPKiSA_SA_iPKfiiiPfSD_PS3_PT2_iSC_SC_,@function
_Z38paged_attention_ll4mi_QKV_mfma4_kernelI14__hip_bfloat16S0_LN4vllm18Fp8KVCacheDataTypeE0ES0_Li16ELi128ELi256ELb0ELi3EEvPKT_PKT0_S8_ifPKiSA_SA_iPKfiiiPfSD_PS3_PT2_iSC_SC_: ; @_Z38paged_attention_ll4mi_QKV_mfma4_kernelI14__hip_bfloat16S0_LN4vllm18Fp8KVCacheDataTypeE0ES0_Li16ELi128ELi256ELb0ELi3EEvPKT_PKT0_S8_ifPKiSA_SA_iPKfiiiPfSD_PS3_PT2_iSC_SC_
; %bb.0:
	s_load_dwordx2 s[2:3], s[4:5], 0x30
	s_mov_b32 s24, s7
	s_mov_b64 s[0:1], 0
	s_waitcnt lgkmcnt(0)
	s_cmp_lg_u64 s[2:3], 0
	s_cselect_b64 s[10:11], -1, 0
	s_and_b64 vcc, exec, s[10:11]
	s_cbranch_vccz .LBB326_10
; %bb.1:
	s_add_i32 s12, s6, 1
	s_mov_b32 s13, 0
	s_lshl_b64 s[14:15], s[12:13], 2
	s_add_u32 s14, s2, s14
	s_mov_b32 s7, s13
	s_addc_u32 s15, s3, s15
	s_lshl_b64 s[12:13], s[6:7], 2
	s_add_u32 s12, s2, s12
	s_addc_u32 s13, s3, s13
	s_load_dword s9, s[14:15], 0x0
	s_load_dword s16, s[12:13], 0x0
	s_waitcnt lgkmcnt(0)
	s_sub_i32 s9, s9, s16
	s_cmp_eq_u32 s9, 1
	s_cselect_b64 s[12:13], -1, 0
	s_andn2_b64 vcc, exec, s[0:1]
	s_cbranch_vccnz .LBB326_3
.LBB326_2:
	s_mov_b32 s7, 0
	s_mov_b64 s[12:13], -1
.LBB326_3:
	s_andn2_b64 vcc, exec, s[12:13]
	s_cbranch_vccnz .LBB326_25
; %bb.4:
	s_load_dword s9, s[4:5], 0x9c
	s_load_dwordx2 s[0:1], s[4:5], 0x28
	s_add_u32 s28, s4, 0x90
	s_addc_u32 s29, s5, 0
	s_lshl_b64 s[16:17], s[6:7], 2
	s_waitcnt lgkmcnt(0)
	s_and_b32 s12, s9, 0xffff
	s_add_u32 s0, s0, s16
	s_addc_u32 s1, s1, s17
	s_load_dword s9, s[0:1], 0x0
	s_mul_i32 s18, s24, s12
	s_waitcnt lgkmcnt(0)
	s_cmp_ge_i32 s18, s9
	s_cbranch_scc1 .LBB326_25
; %bb.5:
	v_and_b32_e32 v1, 0xc0, v0
	v_add_u32_e32 v2, s18, v1
	v_lshrrev_b32_e32 v70, 6, v0
	v_cmp_le_i32_e64 s[0:1], s9, v2
                                        ; implicit-def: $sgpr20
                                        ; implicit-def: $sgpr19
	s_and_saveexec_b64 s[12:13], s[0:1]
	s_xor_b64 s[12:13], exec, s[12:13]
	s_cbranch_execz .LBB326_7
; %bb.6:
	v_mul_u32_u24_e32 v1, 20, v70
	v_or_b32_e32 v1, 0x1400, v1
	v_mov_b32_e32 v2, 0x1450
	v_mov_b32_e32 v3, 0xff7fffff
	v_mad_u32_u24 v2, v70, 20, v2
	ds_write2_b32 v1, v3, v3 offset1:1
	v_mov_b32_e32 v1, 0
	ds_write2_b32 v2, v1, v1 offset1:1
	v_mov_b32_e32 v2, 0x1408
	s_mov_b32 s19, 0xff7fffff
	s_mov_b32 s20, 0
	v_mad_u32_u24 v2, v70, 20, v2
	v_mov_b32_e32 v4, 0x1458
	v_mad_u32_u24 v4, v70, 20, v4
	ds_write2_b32 v2, v3, v3 offset1:1
	ds_write2_b32 v4, v1, v1 offset1:1
                                        ; implicit-def: $vgpr2
.LBB326_7:
	s_or_saveexec_b64 s[30:31], s[12:13]
	s_load_dwordx2 s[26:27], s[4:5], 0x68
	s_load_dwordx4 s[12:15], s[4:5], 0x58
	s_load_dword s7, s[28:29], 0x4
	v_and_b32_e32 v1, 63, v0
	v_and_b32_e32 v71, 3, v0
	v_mov_b32_e32 v69, s20
	v_mov_b32_e32 v72, s19
	v_mov_b32_e32 v68, s20
	v_mov_b32_e32 v67, s20
	v_mov_b32_e32 v66, s20
                                        ; implicit-def: $vgpr3
                                        ; implicit-def: $vgpr7
                                        ; implicit-def: $vgpr27
                                        ; implicit-def: $vgpr35
                                        ; implicit-def: $vgpr55
                                        ; implicit-def: $vgpr23
                                        ; implicit-def: $vgpr39
                                        ; implicit-def: $vgpr51
                                        ; implicit-def: $vgpr15
                                        ; implicit-def: $vgpr11
                                        ; implicit-def: $vgpr19
                                        ; implicit-def: $vgpr31
                                        ; implicit-def: $vgpr43
                                        ; implicit-def: $vgpr47
                                        ; implicit-def: $vgpr59
                                        ; implicit-def: $vgpr63
	s_xor_b64 exec, exec, s[30:31]
	s_cbranch_execz .LBB326_17
; %bb.8:
	s_add_i32 s22, s9, 15
	s_load_dwordx2 s[20:21], s[4:5], 0x20
	s_load_dword s19, s[4:5], 0x38
	s_ashr_i32 s23, s22, 31
	s_lshr_b32 s23, s23, 28
	v_add_u32_e32 v66, s18, v0
	s_add_i32 s22, s22, s23
	v_ashrrev_i32_e32 v3, 31, v66
	s_ashr_i32 s22, s22, 4
	v_lshrrev_b32_e32 v3, 28, v3
	s_add_i32 s25, s22, -1
	v_add_u32_e32 v3, v66, v3
	s_waitcnt lgkmcnt(0)
	s_mul_i32 s22, s6, s19
	s_mov_b32 s23, 0
	v_ashrrev_i32_e32 v3, 4, v3
	v_mov_b32_e32 v4, s25
	v_cmp_gt_i32_e32 vcc, s9, v66
	s_lshl_b64 s[22:23], s[22:23], 2
	v_cndmask_b32_e32 v4, v4, v3, vcc
	s_add_u32 s19, s20, s22
	v_ashrrev_i32_e32 v5, 31, v4
	s_addc_u32 s20, s21, s23
	v_lshlrev_b64 v[4:5], 2, v[4:5]
	v_mov_b32_e32 v3, s20
	v_add_co_u32_e32 v4, vcc, s19, v4
	v_addc_co_u32_e32 v5, vcc, v3, v5, vcc
	v_ashrrev_i32_e32 v3, 31, v2
	v_lshrrev_b32_e32 v3, 28, v3
	v_add_u32_e32 v2, v2, v3
	v_ashrrev_i32_e32 v6, 4, v2
	v_min_i32_e32 v2, s25, v6
	v_ashrrev_i32_e32 v3, 31, v2
	v_lshlrev_b64 v[2:3], 2, v[2:3]
	v_add_co_u32_e32 v10, vcc, s19, v2
	v_add_u32_e32 v2, 1, v6
	v_mov_b32_e32 v7, s20
	v_min_i32_e32 v2, s25, v2
	v_addc_co_u32_e32 v11, vcc, v7, v3, vcc
	v_ashrrev_i32_e32 v3, 31, v2
	v_lshlrev_b64 v[2:3], 2, v[2:3]
	v_add_co_u32_e32 v12, vcc, s19, v2
	v_add_u32_e32 v2, 2, v6
	v_min_i32_e32 v2, s25, v2
	v_addc_co_u32_e32 v13, vcc, v7, v3, vcc
	v_ashrrev_i32_e32 v3, 31, v2
	v_lshlrev_b64 v[2:3], 2, v[2:3]
	v_add_co_u32_e32 v14, vcc, s19, v2
	v_add_u32_e32 v2, 3, v6
	v_min_i32_e32 v2, s25, v2
	v_addc_co_u32_e32 v15, vcc, v7, v3, vcc
	v_ashrrev_i32_e32 v3, 31, v2
	v_lshlrev_b64 v[2:3], 2, v[2:3]
	v_mov_b32_e32 v6, s20
	v_add_co_u32_e32 v16, vcc, s19, v2
	v_addc_co_u32_e32 v17, vcc, v6, v3, vcc
	global_load_dword v2, v[4:5], off
	global_load_dword v9, v[10:11], off
	;; [unrolled: 1-line block ×5, first 2 shown]
	s_load_dwordx4 s[20:23], s[4:5], 0x8
	s_andn2_b64 vcc, exec, s[10:11]
	s_cbranch_vccnz .LBB326_11
; %bb.9:
	s_add_u32 s2, s2, s16
	s_addc_u32 s3, s3, s17
	s_load_dword s2, s[2:3], 0x0
	s_branch .LBB326_12
.LBB326_10:
	s_mov_b64 s[12:13], 0
	s_branch .LBB326_2
.LBB326_11:
	s_mov_b32 s2, s6
.LBB326_12:
	s_load_dwordx4 s[16:19], s[4:5], 0x48
	v_cmp_ne_u32_e32 vcc, 3, v71
	s_mov_b32 s3, 0
	v_mov_b32_e32 v67, 1.0
	v_mov_b32_e32 v3, 0
	v_mov_b32_e32 v38, 0
	;; [unrolled: 1-line block ×5, first 2 shown]
	s_and_saveexec_b64 s[10:11], vcc
	s_cbranch_execz .LBB326_14
; %bb.13:
	s_load_dwordx2 s[34:35], s[4:5], 0x0
	s_waitcnt lgkmcnt(0)
	s_ashr_i32 s19, s16, 31
	s_mul_hi_u32 s25, s2, s16
	s_mul_i32 s19, s2, s19
	s_add_i32 s37, s25, s19
	s_mul_i32 s36, s2, s16
	s_lshl_b64 s[36:37], s[36:37], 1
	s_add_u32 s16, s34, s36
	s_mul_i32 s2, s8, 0x180
	s_addc_u32 s19, s35, s37
	s_lshl_b64 s[34:35], s[2:3], 1
	v_lshlrev_b32_e32 v4, 2, v1
	s_add_u32 s34, s16, s34
	v_and_b32_e32 v4, 0xf0, v4
	s_addc_u32 s35, s19, s35
	v_lshl_or_b32 v4, v71, 8, v4
	global_load_dwordx4 v[38:41], v4, s[34:35]
	v_mov_b32_e32 v67, 0
.LBB326_14:
	s_or_b64 exec, exec, s[10:11]
	s_waitcnt lgkmcnt(0)
	s_mul_i32 s2, s8, s18
	s_waitcnt vmcnt(4)
	v_mad_i64_i32 v[4:5], s[10:11], v2, s17, 0
	s_lshl_b64 s[2:3], s[2:3], 1
	s_add_u32 s10, s2, s20
	v_lshlrev_b64 v[4:5], 1, v[4:5]
	s_addc_u32 s11, s3, s21
	v_mov_b32_e32 v2, s11
	v_add_co_u32_e32 v4, vcc, s10, v4
	v_addc_co_u32_e32 v2, vcc, v2, v5, vcc
	v_and_b32_e32 v5, 15, v0
	v_lshlrev_b32_e32 v5, 4, v5
	v_add_co_u32_e32 v4, vcc, v4, v5
	v_addc_co_u32_e32 v5, vcc, 0, v2, vcc
	global_load_dwordx4 v[10:13], v[4:5], off
	global_load_dwordx4 v[14:17], v[4:5], off offset:256
	global_load_dwordx4 v[18:21], v[4:5], off offset:512
	global_load_dwordx4 v[22:25], v[4:5], off offset:768
	global_load_dwordx4 v[26:29], v[4:5], off offset:1024
	global_load_dwordx4 v[30:33], v[4:5], off offset:1280
	global_load_dwordx4 v[34:37], v[4:5], off offset:1536
	global_load_dwordx4 v[42:45], v[4:5], off offset:1792
	global_load_dwordx4 v[46:49], v[4:5], off offset:2048
	global_load_dwordx4 v[50:53], v[4:5], off offset:2304
	global_load_dwordx4 v[54:57], v[4:5], off offset:2560
	global_load_dwordx4 v[58:61], v[4:5], off offset:2816
	global_load_dwordx4 v[62:65], v[4:5], off offset:3072
	global_load_dwordx4 v[72:75], v[4:5], off offset:3328
	s_waitcnt vmcnt(17)
	v_mul_hi_i32 v2, v9, s17
	s_waitcnt vmcnt(16)
	v_mul_hi_i32 v68, v8, s17
	v_ashrrev_i32_e32 v2, 31, v2
	s_waitcnt vmcnt(15)
	v_mul_hi_i32 v69, v7, s17
	s_waitcnt vmcnt(14)
	v_mul_hi_i32 v76, v6, s17
	v_ashrrev_i32_e32 v77, 31, v68
	v_lshrrev_b32_e32 v2, 29, v2
	v_ashrrev_i32_e32 v80, 31, v69
	v_ashrrev_i32_e32 v88, 31, v76
	v_mad_i64_i32 v[68:69], s[10:11], v9, s17, v[2:3]
	v_lshrrev_b32_e32 v2, 29, v77
	global_load_dwordx4 v[76:79], v[4:5], off offset:3584
	v_mad_i64_i32 v[8:9], s[10:11], v8, s17, v[2:3]
	v_lshrrev_b32_e32 v2, 29, v80
	global_load_dwordx4 v[80:83], v[4:5], off offset:3840
	v_cmp_eq_u32_e32 vcc, 0, v71
	s_load_dword s4, s[4:5], 0x1c
	v_cndmask_b32_e64 v85, 0, 1.0, vcc
	v_cmp_eq_u32_e32 vcc, 1, v71
	s_add_u32 s5, s22, s2
	v_cndmask_b32_e64 v86, 0, 1.0, vcc
	v_cmp_eq_u32_e32 vcc, 2, v71
	s_addc_u32 s10, s23, s3
	v_lshlrev_b64 v[4:5], 1, v[8:9]
	v_mad_i64_i32 v[8:9], s[2:3], v7, s17, v[2:3]
	v_lshrrev_b32_e32 v2, 29, v88
	v_cndmask_b32_e64 v87, 0, 1.0, vcc
	v_mov_b32_e32 v7, s10
	v_mad_i64_i32 v[2:3], s[2:3], v6, s17, v[2:3]
	v_and_b32_e32 v4, -16, v4
	v_lshlrev_b32_e32 v84, 5, v1
	v_lshlrev_b64 v[8:9], 1, v[8:9]
	v_and_b32_e32 v8, -16, v8
	s_waitcnt vmcnt(15)
	v_mfma_f32_4x4x4bf16_1k a[0:3], v[38:39], v[10:11], 0 cbsz:4
	v_lshlrev_b64 v[10:11], 1, v[68:69]
	v_mfma_f32_4x4x4bf16_1k a[0:3], v[40:41], v[12:13], a[0:3] cbsz:4
	v_and_b32_e32 v10, -16, v10
	s_waitcnt vmcnt(14)
	v_mfma_f32_4x4x4bf16_1k a[0:3], v[38:39], v[14:15], a[0:3] cbsz:4 abid:1
	v_add_co_u32_e32 v6, vcc, s5, v10
	v_mfma_f32_4x4x4bf16_1k a[0:3], v[40:41], v[16:17], a[0:3] cbsz:4 abid:1
	v_addc_co_u32_e32 v7, vcc, v7, v11, vcc
	s_waitcnt vmcnt(13)
	v_mfma_f32_4x4x4bf16_1k a[0:3], v[38:39], v[18:19], a[0:3] cbsz:4 abid:2
	v_mov_b32_e32 v12, s10
	v_mfma_f32_4x4x4bf16_1k a[0:3], v[40:41], v[20:21], a[0:3] cbsz:4 abid:2
	v_add_co_u32_e32 v4, vcc, s5, v4
	s_waitcnt vmcnt(12)
	v_mfma_f32_4x4x4bf16_1k a[0:3], v[38:39], v[22:23], a[0:3] cbsz:4 abid:3
	v_addc_co_u32_e32 v5, vcc, v12, v5, vcc
	v_mfma_f32_4x4x4bf16_1k a[0:3], v[40:41], v[24:25], a[0:3] cbsz:4 abid:3
	v_add_co_u32_e32 v18, vcc, v6, v84
	s_waitcnt vmcnt(11)
	v_mfma_f32_4x4x4bf16_1k a[0:3], v[38:39], v[26:27], a[0:3] cbsz:4 abid:4
	v_addc_co_u32_e32 v19, vcc, 0, v7, vcc
	;; [unrolled: 5-line block ×3, first 2 shown]
	v_mfma_f32_4x4x4bf16_1k a[0:3], v[40:41], v[32:33], a[0:3] cbsz:4 abid:5
	v_mov_b32_e32 v13, s10
	s_waitcnt vmcnt(9)
	v_mfma_f32_4x4x4bf16_1k a[0:3], v[38:39], v[34:35], a[0:3] cbsz:4 abid:6
	v_lshlrev_b64 v[22:23], 1, v[2:3]
	v_mfma_f32_4x4x4bf16_1k a[0:3], v[40:41], v[36:37], a[0:3] cbsz:4 abid:6
	v_and_b32_e32 v22, -16, v22
	s_waitcnt vmcnt(8)
	v_mfma_f32_4x4x4bf16_1k a[0:3], v[38:39], v[42:43], a[0:3] cbsz:4 abid:7
	v_add_co_u32_e32 v43, vcc, s5, v8
	v_mfma_f32_4x4x4bf16_1k a[0:3], v[40:41], v[44:45], a[0:3] cbsz:4 abid:7
	v_addc_co_u32_e32 v44, vcc, v13, v9, vcc
	s_waitcnt vmcnt(7)
	v_mfma_f32_4x4x4bf16_1k a[0:3], v[38:39], v[46:47], a[0:3] cbsz:4 abid:8
	v_mov_b32_e32 v42, s10
	v_mfma_f32_4x4x4bf16_1k a[0:3], v[40:41], v[48:49], a[0:3] cbsz:4 abid:8
	global_load_dwordx4 v[2:5], v[18:19], off
	global_load_dwordx4 v[6:9], v[18:19], off offset:16
	s_waitcnt vmcnt(8)
	v_mfma_f32_4x4x4bf16_1k a[0:3], v[38:39], v[50:51], a[0:3] cbsz:4 abid:9
	v_add_co_u32_e32 v50, vcc, v43, v84
	v_mfma_f32_4x4x4bf16_1k a[0:3], v[40:41], v[52:53], a[0:3] cbsz:4 abid:9
	v_addc_co_u32_e32 v51, vcc, 0, v44, vcc
	s_waitcnt vmcnt(7)
	v_mfma_f32_4x4x4bf16_1k a[0:3], v[38:39], v[54:55], a[0:3] cbsz:4 abid:10
	v_add_co_u32_e32 v52, vcc, s5, v22
	v_mfma_f32_4x4x4bf16_1k a[0:3], v[40:41], v[56:57], a[0:3] cbsz:4 abid:10
	v_addc_co_u32_e32 v53, vcc, v42, v23, vcc
	s_waitcnt vmcnt(6)
	v_mfma_f32_4x4x4bf16_1k a[0:3], v[38:39], v[58:59], a[0:3] cbsz:4 abid:11
	global_load_dwordx4 v[14:17], v[18:19], off offset:2048
	global_load_dwordx4 v[10:13], v[18:19], off offset:2064
	v_mfma_f32_4x4x4bf16_1k a[0:3], v[40:41], v[60:61], a[0:3] cbsz:4 abid:11
	global_load_dwordx4 v[26:29], v[24:25], off
	global_load_dwordx4 v[34:37], v[24:25], off offset:16
	s_waitcnt vmcnt(9)
	v_mfma_f32_4x4x4bf16_1k a[0:3], v[38:39], v[62:63], a[0:3] cbsz:4 abid:12
	global_load_dwordx4 v[18:21], v[24:25], off offset:2048
	global_load_dwordx4 v[30:33], v[24:25], off offset:2064
	v_mfma_f32_4x4x4bf16_1k a[0:3], v[40:41], v[64:65], a[0:3] cbsz:4 abid:12
	global_load_dwordx4 v[54:57], v[50:51], off
	global_load_dwordx4 v[22:25], v[50:51], off offset:16
	s_waitcnt vmcnt(12)
	v_mfma_f32_4x4x4bf16_1k a[0:3], v[38:39], v[72:73], a[0:3] cbsz:4 abid:13
	v_add_co_u32_e32 v72, vcc, v52, v84
	v_mfma_f32_4x4x4bf16_1k a[0:3], v[40:41], v[74:75], a[0:3] cbsz:4 abid:13
	v_addc_co_u32_e32 v73, vcc, 0, v53, vcc
	s_waitcnt vmcnt(11)
	v_mfma_f32_4x4x4bf16_1k a[0:3], v[38:39], v[76:77], a[0:3] cbsz:4 abid:14
	global_load_dwordx4 v[42:45], v[50:51], off offset:2048
	global_load_dwordx4 v[46:49], v[50:51], off offset:2064
	v_mfma_f32_4x4x4bf16_1k a[0:3], v[40:41], v[78:79], a[0:3] cbsz:4 abid:14
	s_waitcnt vmcnt(12)
	v_mfma_f32_4x4x4bf16_1k a[0:3], v[38:39], v[80:81], a[0:3] cbsz:4 abid:15
	v_mfma_f32_4x4x4bf16_1k a[0:3], v[40:41], v[82:83], a[0:3] cbsz:4 abid:15
	s_nop 4
	v_accvgpr_read_b32 v39, a1
	v_accvgpr_read_b32 v38, a0
	s_waitcnt lgkmcnt(0)
	v_pk_mul_f32 v[38:39], s[4:5], v[38:39] op_sel_hi:[0,1]
	v_accvgpr_read_b32 v41, a3
	v_accvgpr_read_b32 v40, a2
	v_mfma_f32_4x4x1f32 a[0:3], v38, v85, 0
	v_pk_mul_f32 v[68:69], s[4:5], v[40:41] op_sel_hi:[0,1]
	v_mfma_f32_4x4x1f32 a[0:3], v39, v86, a[0:3]
	global_load_dwordx4 v[38:41], v[72:73], off
	global_load_dwordx4 v[50:53], v[72:73], off offset:16
	global_load_dwordx4 v[58:61], v[72:73], off offset:2048
	;; [unrolled: 1-line block ×3, first 2 shown]
	v_mfma_f32_4x4x1f32 a[0:3], v68, v87, a[0:3]
	v_mov_b32_e32 v73, 0xff7fffff
	v_mfma_f32_4x4x1f32 a[0:3], v69, v67, a[0:3]
	v_and_b32_e32 v67, -4, v66
	v_cmp_gt_i32_e32 vcc, s9, v67
	v_or_b32_e32 v66, 3, v66
	v_cmp_gt_i32_e64 s[10:11], s9, v66
	v_lshlrev_b32_e32 v68, 2, v0
	v_accvgpr_read_b32 v69, a0
	v_max_f32_e32 v72, v69, v69
	v_max_f32_e32 v72, 0xff7fffff, v72
	v_accvgpr_read_b32 v74, a1
	v_cndmask_b32_e32 v72, v73, v72, vcc
	v_or_b32_e32 v73, 1, v67
	v_max_f32_e32 v75, v74, v74
	v_max_f32_e32 v75, v72, v75
	v_cmp_gt_i32_e64 s[2:3], s9, v73
	v_accvgpr_read_b32 v73, a2
	v_cndmask_b32_e64 v72, v72, v75, s[2:3]
	v_or_b32_e32 v67, 2, v67
	v_max_f32_e32 v75, v73, v73
	v_max_f32_e32 v75, v72, v75
	v_cmp_gt_i32_e64 s[4:5], s9, v67
	v_cndmask_b32_e64 v67, v72, v75, s[4:5]
	v_accvgpr_read_b32 v75, a3
	v_max_f32_e32 v72, v75, v75
	v_max_f32_e32 v72, v67, v72
	v_cndmask_b32_e64 v66, v67, v72, s[10:11]
	v_and_or_b32 v68, v68, 48, v71
	;;#ASMSTART
	v_nop
 v_nop
 v_max_f32_dpp v66, v66, v66 row_ror:4
	;;#ASMEND
	v_lshlrev_b32_e32 v76, 2, v68
	;;#ASMSTART
	v_nop
 v_nop
 v_max_f32_dpp v66, v66, v66 row_ror:8
	;;#ASMEND
	ds_bpermute_b32 v66, v76, v66
	s_waitcnt lgkmcnt(0)
	;;#ASMSTART
	v_nop
 v_nop
 v_max_f32_dpp v66, v66, v66 row_ror:4
	;;#ASMEND
	;;#ASMSTART
	v_nop
 v_nop
 v_max_f32_dpp v72, v66, v66 row_ror:8
	;;#ASMEND
	v_sub_f32_e32 v66, v69, v72
	v_mul_f32_e32 v66, 0x3fb8aa3b, v66
	v_sub_f32_e32 v67, v74, v72
	v_exp_f32_e32 v66, v66
	v_mul_f32_e32 v67, 0x3fb8aa3b, v67
	v_sub_f32_e32 v69, v73, v72
	v_exp_f32_e32 v67, v67
	;; [unrolled: 3-line block ×3, first 2 shown]
	v_mul_f32_e32 v73, 0x3fb8aa3b, v73
	v_exp_f32_e32 v73, v73
	v_cndmask_b32_e32 v66, 0, v66, vcc
	v_add_f32_e32 v68, 0, v66
	v_cndmask_b32_e64 v67, 0, v67, s[2:3]
	v_add_f32_e32 v74, v68, v67
	v_cndmask_b32_e64 v68, 0, v69, s[4:5]
	v_add_f32_e32 v74, v74, v68
	v_cndmask_b32_e64 v69, 0, v73, s[10:11]
	v_add_f32_e32 v73, v74, v69
	;;#ASMSTART
	v_nop
 v_nop
 v_add_f32_dpp v73, v73, v73 row_ror:4
	;;#ASMEND
	;;#ASMSTART
	v_nop
 v_nop
 v_add_f32_dpp v73, v73, v73 row_ror:8
	;;#ASMEND
	ds_bpermute_b32 v73, v76, v73
	s_waitcnt lgkmcnt(0)
	;;#ASMSTART
	v_nop
 v_nop
 v_add_f32_dpp v73, v73, v73 row_ror:4
	;;#ASMEND
	v_cmp_gt_u32_e32 vcc, 4, v1
	;;#ASMSTART
	v_nop
 v_nop
 v_add_f32_dpp v73, v73, v73 row_ror:8
	;;#ASMEND
	s_and_saveexec_b64 s[2:3], vcc
	s_cbranch_execz .LBB326_16
; %bb.15:
	v_mul_u32_u24_e32 v74, 20, v70
	v_lshl_add_u32 v74, v71, 2, v74
	v_add_u32_e32 v74, 0x1400, v74
	ds_write2_b32 v74, v72, v73 offset1:20
.LBB326_16:
	s_or_b64 exec, exec, s[2:3]
.LBB326_17:
	s_or_b64 exec, exec, s[30:31]
	s_waitcnt lgkmcnt(0)
	s_barrier
	s_load_dword s2, s[28:29], 0x8
	v_lshlrev_b32_e32 v73, 2, v71
	v_add_u32_e32 v73, 0x1400, v73
	ds_read2_b32 v[76:77], v73 offset1:5
	ds_read2_b32 v[78:79], v73 offset0:10 offset1:15
	s_mul_i32 s3, s6, s7
	s_waitcnt lgkmcnt(0)
	s_mul_i32 s2, s3, s2
	s_mov_b32 s3, 0xff7fffff
	v_max3_f32 v74, v76, s3, v77
	v_max3_f32 v74, v74, v78, v79
	v_sub_f32_e32 v75, v76, v74
	v_sub_f32_e32 v76, v77, v74
	ds_read2_b32 v[80:81], v73 offset0:20 offset1:25
	v_mul_f32_e32 v75, 0x3fb8aa3b, v75
	v_mul_f32_e32 v76, 0x3fb8aa3b, v76
	v_exp_f32_e32 v75, v75
	v_exp_f32_e32 v82, v76
	ds_read2_b32 v[76:77], v73 offset0:30 offset1:35
	v_sub_f32_e32 v73, v78, v74
	v_mul_f32_e32 v73, 0x3fb8aa3b, v73
	v_sub_f32_e32 v78, v79, v74
	v_exp_f32_e32 v73, v73
	v_mul_f32_e32 v78, 0x3fb8aa3b, v78
	v_exp_f32_e32 v78, v78
	s_waitcnt lgkmcnt(1)
	v_fma_f32 v75, v75, v80, 0
	v_fmac_f32_e32 v75, v82, v81
	s_waitcnt lgkmcnt(0)
	v_fmac_f32_e32 v75, v73, v76
	s_mul_i32 s8, s8, 3
	s_mul_i32 s2, s2, 3
	v_fmac_f32_e32 v75, v78, v77
	v_cmp_ne_u32_e32 vcc, 3, v71
	s_and_saveexec_b64 s[4:5], vcc
	s_cbranch_execz .LBB326_19
; %bb.18:
	s_mov_b32 s3, 0
	s_lshl_b64 s[10:11], s[2:3], 2
	s_add_u32 s6, s12, s10
	s_mov_b32 s25, s3
	s_addc_u32 s9, s13, s11
	s_lshl_b64 s[12:13], s[24:25], 2
	s_add_u32 s3, s6, s12
	s_addc_u32 s6, s9, s13
	v_add_u32_e32 v71, s8, v71
	s_add_u32 s9, s14, s10
	v_mul_lo_u32 v76, s7, v71
	v_mov_b32_e32 v77, 0
	s_addc_u32 s10, s15, s11
	v_lshlrev_b64 v[76:77], 2, v[76:77]
	s_add_u32 s9, s9, s12
	v_mov_b32_e32 v71, s6
	v_add_co_u32_e32 v78, vcc, s3, v76
	s_addc_u32 s10, s10, s13
	v_addc_co_u32_e32 v79, vcc, v71, v77, vcc
	v_mov_b32_e32 v71, s10
	v_add_co_u32_e32 v76, vcc, s9, v76
	v_addc_co_u32_e32 v77, vcc, v71, v77, vcc
	global_store_dword v[76:77], v74, off
	global_store_dword v[78:79], v75, off
.LBB326_19:
	s_or_b64 exec, exec, s[4:5]
	v_lshlrev_b32_e32 v73, 3, v70
                                        ; implicit-def: $sgpr3
	s_and_saveexec_b64 s[4:5], s[0:1]
	s_xor_b64 s[0:1], exec, s[4:5]
	s_cbranch_execz .LBB326_21
; %bb.20:
	s_waitcnt vmcnt(15)
	v_mov_b32_e32 v2, 0
	v_mad_u32_u24 v4, v1, 40, v73
	s_mov_b32 s3, 0
	v_mov_b32_e32 v3, v2
	ds_write_b64 v4, v[2:3]
                                        ; implicit-def: $vgpr69
                                        ; implicit-def: $vgpr67
                                        ; implicit-def: $vgpr3
                                        ; implicit-def: $vgpr7
                                        ; implicit-def: $vgpr27
                                        ; implicit-def: $vgpr35
                                        ; implicit-def: $vgpr55
                                        ; implicit-def: $vgpr23
                                        ; implicit-def: $vgpr39
                                        ; implicit-def: $vgpr51
                                        ; implicit-def: $vgpr15
                                        ; implicit-def: $vgpr11
                                        ; implicit-def: $vgpr19
                                        ; implicit-def: $vgpr31
                                        ; implicit-def: $vgpr43
                                        ; implicit-def: $vgpr47
                                        ; implicit-def: $vgpr59
                                        ; implicit-def: $vgpr63
                                        ; implicit-def: $vgpr72
                                        ; implicit-def: $vgpr74
                                        ; implicit-def: $vgpr75
.LBB326_21:
	s_or_saveexec_b64 s[0:1], s[0:1]
	v_mov_b32_e32 v70, s3
	v_mov_b32_e32 v71, s3
	s_xor_b64 exec, exec, s[0:1]
	s_cbranch_execz .LBB326_23
; %bb.22:
	v_add_f32_e32 v70, 0x358637bd, v75
	v_div_scale_f32 v71, s[4:5], v70, v70, 1.0
	v_rcp_f32_e32 v75, v71
	v_sub_f32_e32 v72, v72, v74
	v_mul_f32_e32 v72, 0x3fb8aa3b, v72
	v_exp_f32_e32 v72, v72
	v_fma_f32 v74, -v71, v75, 1.0
	v_fmac_f32_e32 v75, v74, v75
	v_div_scale_f32 v74, vcc, 1.0, v70, 1.0
	v_mul_f32_e32 v76, v74, v75
	v_fma_f32 v77, -v71, v76, v74
	v_fmac_f32_e32 v76, v77, v75
	v_fma_f32 v71, -v71, v76, v74
	v_div_fmas_f32 v71, v71, v75, v76
	v_div_fixup_f32 v70, v71, v70, 1.0
	v_mul_f32_e32 v70, v72, v70
	v_pk_mul_f32 v[66:67], v[66:67], v[70:71] op_sel_hi:[1,0]
	v_pk_mul_f32 v[68:69], v[68:69], v[70:71] op_sel_hi:[1,0]
	v_bfe_u32 v70, v67, 16, 1
	v_bfe_u32 v71, v66, 16, 1
	s_movk_i32 s3, 0x7fff
	v_add3_u32 v66, v66, v71, s3
	v_add3_u32 v67, v67, v70, s3
	s_mov_b32 s4, 0x7060302
	v_perm_b32 v66, v67, v66, s4
	v_bfe_u32 v67, v69, 16, 1
	v_bfe_u32 v70, v68, 16, 1
	v_add3_u32 v68, v68, v70, s3
	v_add3_u32 v67, v69, v67, s3
	v_perm_b32 v67, v67, v68, s4
	s_waitcnt vmcnt(15)
	s_nop 0
	v_mfma_f32_4x4x4bf16_1k a[0:3], v[66:67], v[2:3], 0 cbsz:4
	v_mfma_f32_4x4x4bf16_1k a[0:3], v[66:67], v[4:5], a[0:3] cbsz:4 abid:1
	s_waitcnt vmcnt(14)
	v_mfma_f32_4x4x4bf16_1k a[0:3], v[66:67], v[6:7], a[0:3] cbsz:4 abid:2
	v_mfma_f32_4x4x4bf16_1k a[0:3], v[66:67], v[8:9], a[0:3] cbsz:4 abid:3
	s_waitcnt vmcnt(11)
	v_mfma_f32_4x4x4bf16_1k a[0:3], v[66:67], v[26:27], a[0:3] cbsz:4 abid:4
	;; [unrolled: 3-line block ×6, first 2 shown]
	v_mfma_f32_4x4x4bf16_1k a[4:7], v[66:67], v[14:15], 0 cbsz:4
	v_mfma_f32_4x4x4bf16_1k a[0:3], v[66:67], v[40:41], a[0:3] cbsz:4 abid:13
	v_mfma_f32_4x4x4bf16_1k a[4:7], v[66:67], v[16:17], a[4:7] cbsz:4 abid:1
	s_waitcnt vmcnt(2)
	v_mfma_f32_4x4x4bf16_1k a[0:3], v[66:67], v[50:51], a[0:3] cbsz:4 abid:14
	v_mfma_f32_4x4x4bf16_1k a[4:7], v[66:67], v[10:11], a[4:7] cbsz:4 abid:2
	;; [unrolled: 1-line block ×3, first 2 shown]
	s_nop 4
	v_accvgpr_read_b32 v3, a2
	v_accvgpr_read_b32 v4, a3
	;; [unrolled: 1-line block ×4, first 2 shown]
	v_mfma_f32_4x4x4bf16_1k a[0:3], v[66:67], v[12:13], a[4:7] cbsz:4 abid:3
	v_bfe_u32 v6, v5, 16, 1
	v_mfma_f32_4x4x4bf16_1k a[0:3], v[66:67], v[18:19], a[0:3] cbsz:4 abid:4
	v_bfe_u32 v7, v2, 16, 1
	v_mfma_f32_4x4x4bf16_1k a[0:3], v[66:67], v[20:21], a[0:3] cbsz:4 abid:5
	v_add3_u32 v2, v2, v7, s3
	v_mfma_f32_4x4x4bf16_1k a[0:3], v[66:67], v[30:31], a[0:3] cbsz:4 abid:6
	v_add3_u32 v5, v5, v6, s3
	v_mfma_f32_4x4x4bf16_1k a[0:3], v[66:67], v[32:33], a[0:3] cbsz:4 abid:7
	v_perm_b32 v2, v5, v2, s4
	v_mfma_f32_4x4x4bf16_1k a[0:3], v[66:67], v[42:43], a[0:3] cbsz:4 abid:8
	v_bfe_u32 v5, v4, 16, 1
	v_mfma_f32_4x4x4bf16_1k a[0:3], v[66:67], v[44:45], a[0:3] cbsz:4 abid:9
	v_bfe_u32 v6, v3, 16, 1
	v_mfma_f32_4x4x4bf16_1k a[0:3], v[66:67], v[46:47], a[0:3] cbsz:4 abid:10
	v_add3_u32 v3, v3, v6, s3
	v_mfma_f32_4x4x4bf16_1k a[0:3], v[66:67], v[48:49], a[0:3] cbsz:4 abid:11
	v_add3_u32 v4, v4, v5, s3
	s_waitcnt vmcnt(1)
	v_mfma_f32_4x4x4bf16_1k a[0:3], v[66:67], v[58:59], a[0:3] cbsz:4 abid:12
	v_perm_b32 v3, v4, v3, s4
	v_mfma_f32_4x4x4bf16_1k a[0:3], v[66:67], v[60:61], a[0:3] cbsz:4 abid:13
	v_mad_u32_u24 v4, v1, 40, v73
	s_waitcnt vmcnt(0)
	v_mfma_f32_4x4x4bf16_1k a[0:3], v[66:67], v[62:63], a[0:3] cbsz:4 abid:14
	ds_write_b64 v4, v[2:3]
	v_mfma_f32_4x4x4bf16_1k a[0:3], v[66:67], v[64:65], a[0:3] cbsz:4 abid:15
	s_nop 4
	v_accvgpr_read_b32 v4, a0
	v_accvgpr_read_b32 v5, a1
	;; [unrolled: 1-line block ×4, first 2 shown]
	v_bfe_u32 v6, v5, 16, 1
	v_bfe_u32 v7, v4, 16, 1
	v_add3_u32 v4, v4, v7, s3
	v_add3_u32 v5, v5, v6, s3
	v_bfe_u32 v6, v3, 16, 1
	v_bfe_u32 v7, v2, 16, 1
	v_add3_u32 v2, v2, v7, s3
	v_add3_u32 v3, v3, v6, s3
	v_perm_b32 v71, v3, v2, s4
	v_perm_b32 v70, v5, v4, s4
.LBB326_23:
	s_or_b64 exec, exec, s[0:1]
	s_waitcnt vmcnt(15)
	v_mad_u32_u24 v2, v1, 40, v73
	v_cmp_gt_u32_e32 vcc, 64, v0
	ds_write_b64 v2, v[70:71] offset:2560
	s_waitcnt lgkmcnt(0)
	s_barrier
	s_and_saveexec_b64 s[0:1], vcc
	s_cbranch_execz .LBB326_25
; %bb.24:
	s_waitcnt vmcnt(14)
	v_mul_u32_u24_e32 v6, 40, v1
	ds_read2_b64 v[2:5], v6 offset1:1
	ds_read2_b64 v[6:9], v6 offset0:2 offset1:3
	s_mov_b32 s1, 0
	s_lshl_b32 s0, s2, 7
	s_lshl_b64 s[2:3], s[0:1], 1
	s_waitcnt vmcnt(12) lgkmcnt(1)
	v_and_b32_e32 v10, 0xffff0000, v2
	v_lshlrev_b32_e32 v3, 16, v3
	v_add_f32_e32 v10, 0, v10
	v_add_f32_e32 v3, 0, v3
	v_and_b32_e32 v10, 0xffff0000, v10
	v_and_b32_e32 v11, 0xffff0000, v4
	;; [unrolled: 1-line block ×3, first 2 shown]
	v_add_f32_e32 v10, v10, v11
	v_lshlrev_b32_e32 v5, 16, v5
	v_and_b32_e32 v10, 0xffff0000, v10
	v_add_f32_e32 v3, v3, v5
	s_waitcnt lgkmcnt(0)
	v_and_b32_e32 v5, 0xffff0000, v6
	v_and_b32_e32 v3, 0xffff0000, v3
	v_add_f32_e32 v5, v10, v5
	v_lshlrev_b32_e32 v7, 16, v7
	v_and_b32_e32 v5, 0xffff0000, v5
	v_add_f32_e32 v3, v3, v7
	v_and_b32_e32 v7, 0xffff0000, v8
	s_waitcnt vmcnt(9)
	v_add_f32_e32 v18, v5, v7
	v_mov_b32_e32 v7, 0xa00
	v_mad_u32_u24 v7, v1, 40, v7
	ds_read2_b64 v[10:13], v7 offset1:1
	v_and_b32_e32 v3, 0xffff0000, v3
	v_lshlrev_b32_e32 v5, 16, v9
	v_add_f32_e32 v9, v3, v5
	v_mov_b32_e32 v3, 0xa10
	v_mad_u32_u24 v1, v1, 40, v3
	ds_read2_b64 v[14:17], v1 offset1:1
	s_waitcnt lgkmcnt(1)
	v_lshlrev_b32_e32 v1, 16, v10
	v_add_f32_e32 v1, 0, v1
	v_and_b32_e32 v3, 0xffff0000, v10
	v_and_b32_e32 v1, 0xffff0000, v1
	v_add_f32_e32 v3, 0, v3
	v_lshlrev_b32_e32 v5, 16, v11
	v_lshlrev_b32_e32 v7, 16, v12
	v_and_b32_e32 v3, 0xffff0000, v3
	v_add_f32_e32 v5, 0, v5
	v_add_f32_e32 v1, v1, v7
	v_and_b32_e32 v7, 0xffff0000, v12
	v_and_b32_e32 v5, 0xffff0000, v5
	v_add_f32_e32 v3, v3, v7
	v_lshlrev_b32_e32 v7, 16, v13
	v_and_b32_e32 v1, 0xffff0000, v1
	v_add_f32_e32 v5, v5, v7
	s_waitcnt lgkmcnt(0)
	v_lshlrev_b32_e32 v7, 16, v14
	v_and_b32_e32 v3, 0xffff0000, v3
	v_add_f32_e32 v1, v1, v7
	v_and_b32_e32 v7, 0xffff0000, v14
	v_and_b32_e32 v5, 0xffff0000, v5
	v_add_f32_e32 v3, v3, v7
	v_lshlrev_b32_e32 v7, 16, v15
	v_and_b32_e32 v1, 0xffff0000, v1
	v_add_f32_e32 v5, v5, v7
	v_lshlrev_b32_e32 v7, 16, v16
	v_and_b32_e32 v3, 0xffff0000, v3
	v_add_f32_e32 v10, v1, v7
	v_and_b32_e32 v1, 0xffff0000, v16
	v_and_b32_e32 v5, 0xffff0000, v5
	v_add_f32_e32 v11, v3, v1
	v_lshlrev_b32_e32 v1, 16, v17
	v_add_f32_e32 v12, v5, v1
	v_lshlrev_b32_e32 v1, 16, v2
	s_add_u32 s2, s26, s2
	v_add_f32_e32 v1, 0, v1
	s_addc_u32 s3, s27, s3
	s_lshl_b32 s0, s24, 7
	v_and_b32_e32 v1, 0xffff0000, v1
	v_lshlrev_b32_e32 v2, 16, v4
	s_lshl_b64 s[0:1], s[0:1], 1
	v_add_f32_e32 v1, v1, v2
	s_add_u32 s0, s2, s0
	v_and_b32_e32 v1, 0xffff0000, v1
	v_lshlrev_b32_e32 v2, 16, v6
	s_addc_u32 s1, s3, s1
	s_lshl_b32 s2, s7, 7
	v_add_f32_e32 v1, v1, v2
	v_and_b32_e32 v1, 0xffff0000, v1
	v_lshlrev_b32_e32 v2, 16, v8
	s_mul_i32 s3, s2, s8
	v_add_f32_e32 v1, v1, v2
	v_or_b32_e32 v2, s3, v0
	v_mov_b32_e32 v3, 0
	v_lshlrev_b64 v[4:5], 1, v[2:3]
	v_mov_b32_e32 v2, s1
	v_add_co_u32_e32 v4, vcc, s0, v4
	s_add_i32 s3, s3, s2
	v_addc_co_u32_e32 v5, vcc, v2, v5, vcc
	v_or_b32_e32 v2, s3, v0
	v_lshlrev_b64 v[6:7], 1, v[2:3]
	s_add_i32 s3, s3, s2
	global_store_short_d16_hi v[4:5], v1, off
	v_mov_b32_e32 v1, s1
	v_add_co_u32_e32 v6, vcc, s0, v6
	v_or_b32_e32 v2, s3, v0
	v_addc_co_u32_e32 v7, vcc, v1, v7, vcc
	v_lshlrev_b64 v[0:1], 1, v[2:3]
	v_mov_b32_e32 v2, s1
	v_add_co_u32_e32 v0, vcc, s0, v0
	v_addc_co_u32_e32 v1, vcc, v2, v1, vcc
	global_store_short_d16_hi v[6:7], v18, off
	global_store_short_d16_hi v[0:1], v9, off
	global_store_short_d16_hi v[4:5], v10, off offset:128
	global_store_short_d16_hi v[6:7], v11, off offset:128
	;; [unrolled: 1-line block ×3, first 2 shown]
.LBB326_25:
	s_endpgm
	.section	.rodata,"a",@progbits
	.p2align	6, 0x0
	.amdhsa_kernel _Z38paged_attention_ll4mi_QKV_mfma4_kernelI14__hip_bfloat16S0_LN4vllm18Fp8KVCacheDataTypeE0ES0_Li16ELi128ELi256ELb0ELi3EEvPKT_PKT0_S8_ifPKiSA_SA_iPKfiiiPfSD_PS3_PT2_iSC_SC_
		.amdhsa_group_segment_fixed_size 5280
		.amdhsa_private_segment_fixed_size 0
		.amdhsa_kernarg_size 400
		.amdhsa_user_sgpr_count 6
		.amdhsa_user_sgpr_private_segment_buffer 1
		.amdhsa_user_sgpr_dispatch_ptr 0
		.amdhsa_user_sgpr_queue_ptr 0
		.amdhsa_user_sgpr_kernarg_segment_ptr 1
		.amdhsa_user_sgpr_dispatch_id 0
		.amdhsa_user_sgpr_flat_scratch_init 0
		.amdhsa_user_sgpr_kernarg_preload_length 0
		.amdhsa_user_sgpr_kernarg_preload_offset 0
		.amdhsa_user_sgpr_private_segment_size 0
		.amdhsa_uses_dynamic_stack 0
		.amdhsa_system_sgpr_private_segment_wavefront_offset 0
		.amdhsa_system_sgpr_workgroup_id_x 1
		.amdhsa_system_sgpr_workgroup_id_y 1
		.amdhsa_system_sgpr_workgroup_id_z 1
		.amdhsa_system_sgpr_workgroup_info 0
		.amdhsa_system_vgpr_workitem_id 0
		.amdhsa_next_free_vgpr 100
		.amdhsa_next_free_sgpr 38
		.amdhsa_accum_offset 92
		.amdhsa_reserve_vcc 1
		.amdhsa_reserve_flat_scratch 0
		.amdhsa_float_round_mode_32 0
		.amdhsa_float_round_mode_16_64 0
		.amdhsa_float_denorm_mode_32 3
		.amdhsa_float_denorm_mode_16_64 3
		.amdhsa_dx10_clamp 1
		.amdhsa_ieee_mode 1
		.amdhsa_fp16_overflow 0
		.amdhsa_tg_split 0
		.amdhsa_exception_fp_ieee_invalid_op 0
		.amdhsa_exception_fp_denorm_src 0
		.amdhsa_exception_fp_ieee_div_zero 0
		.amdhsa_exception_fp_ieee_overflow 0
		.amdhsa_exception_fp_ieee_underflow 0
		.amdhsa_exception_fp_ieee_inexact 0
		.amdhsa_exception_int_div_zero 0
	.end_amdhsa_kernel
	.section	.text._Z38paged_attention_ll4mi_QKV_mfma4_kernelI14__hip_bfloat16S0_LN4vllm18Fp8KVCacheDataTypeE0ES0_Li16ELi128ELi256ELb0ELi3EEvPKT_PKT0_S8_ifPKiSA_SA_iPKfiiiPfSD_PS3_PT2_iSC_SC_,"axG",@progbits,_Z38paged_attention_ll4mi_QKV_mfma4_kernelI14__hip_bfloat16S0_LN4vllm18Fp8KVCacheDataTypeE0ES0_Li16ELi128ELi256ELb0ELi3EEvPKT_PKT0_S8_ifPKiSA_SA_iPKfiiiPfSD_PS3_PT2_iSC_SC_,comdat
.Lfunc_end326:
	.size	_Z38paged_attention_ll4mi_QKV_mfma4_kernelI14__hip_bfloat16S0_LN4vllm18Fp8KVCacheDataTypeE0ES0_Li16ELi128ELi256ELb0ELi3EEvPKT_PKT0_S8_ifPKiSA_SA_iPKfiiiPfSD_PS3_PT2_iSC_SC_, .Lfunc_end326-_Z38paged_attention_ll4mi_QKV_mfma4_kernelI14__hip_bfloat16S0_LN4vllm18Fp8KVCacheDataTypeE0ES0_Li16ELi128ELi256ELb0ELi3EEvPKT_PKT0_S8_ifPKiSA_SA_iPKfiiiPfSD_PS3_PT2_iSC_SC_
                                        ; -- End function
	.section	.AMDGPU.csdata,"",@progbits
; Kernel info:
; codeLenInByte = 4304
; NumSgprs: 42
; NumVgprs: 89
; NumAgprs: 8
; TotalNumVgprs: 100
; ScratchSize: 0
; MemoryBound: 0
; FloatMode: 240
; IeeeMode: 1
; LDSByteSize: 5280 bytes/workgroup (compile time only)
; SGPRBlocks: 5
; VGPRBlocks: 12
; NumSGPRsForWavesPerEU: 42
; NumVGPRsForWavesPerEU: 100
; AccumOffset: 92
; Occupancy: 4
; WaveLimiterHint : 1
; COMPUTE_PGM_RSRC2:SCRATCH_EN: 0
; COMPUTE_PGM_RSRC2:USER_SGPR: 6
; COMPUTE_PGM_RSRC2:TRAP_HANDLER: 0
; COMPUTE_PGM_RSRC2:TGID_X_EN: 1
; COMPUTE_PGM_RSRC2:TGID_Y_EN: 1
; COMPUTE_PGM_RSRC2:TGID_Z_EN: 1
; COMPUTE_PGM_RSRC2:TIDIG_COMP_CNT: 0
; COMPUTE_PGM_RSRC3_GFX90A:ACCUM_OFFSET: 22
; COMPUTE_PGM_RSRC3_GFX90A:TG_SPLIT: 0
	.section	.text._Z38paged_attention_ll4mi_QKV_mfma4_kernelI14__hip_bfloat16S0_LN4vllm18Fp8KVCacheDataTypeE0ES0_Li16ELi128ELi256ELb0ELi4EEvPKT_PKT0_S8_ifPKiSA_SA_iPKfiiiPfSD_PS3_PT2_iSC_SC_,"axG",@progbits,_Z38paged_attention_ll4mi_QKV_mfma4_kernelI14__hip_bfloat16S0_LN4vllm18Fp8KVCacheDataTypeE0ES0_Li16ELi128ELi256ELb0ELi4EEvPKT_PKT0_S8_ifPKiSA_SA_iPKfiiiPfSD_PS3_PT2_iSC_SC_,comdat
	.protected	_Z38paged_attention_ll4mi_QKV_mfma4_kernelI14__hip_bfloat16S0_LN4vllm18Fp8KVCacheDataTypeE0ES0_Li16ELi128ELi256ELb0ELi4EEvPKT_PKT0_S8_ifPKiSA_SA_iPKfiiiPfSD_PS3_PT2_iSC_SC_ ; -- Begin function _Z38paged_attention_ll4mi_QKV_mfma4_kernelI14__hip_bfloat16S0_LN4vllm18Fp8KVCacheDataTypeE0ES0_Li16ELi128ELi256ELb0ELi4EEvPKT_PKT0_S8_ifPKiSA_SA_iPKfiiiPfSD_PS3_PT2_iSC_SC_
	.globl	_Z38paged_attention_ll4mi_QKV_mfma4_kernelI14__hip_bfloat16S0_LN4vllm18Fp8KVCacheDataTypeE0ES0_Li16ELi128ELi256ELb0ELi4EEvPKT_PKT0_S8_ifPKiSA_SA_iPKfiiiPfSD_PS3_PT2_iSC_SC_
	.p2align	8
	.type	_Z38paged_attention_ll4mi_QKV_mfma4_kernelI14__hip_bfloat16S0_LN4vllm18Fp8KVCacheDataTypeE0ES0_Li16ELi128ELi256ELb0ELi4EEvPKT_PKT0_S8_ifPKiSA_SA_iPKfiiiPfSD_PS3_PT2_iSC_SC_,@function
_Z38paged_attention_ll4mi_QKV_mfma4_kernelI14__hip_bfloat16S0_LN4vllm18Fp8KVCacheDataTypeE0ES0_Li16ELi128ELi256ELb0ELi4EEvPKT_PKT0_S8_ifPKiSA_SA_iPKfiiiPfSD_PS3_PT2_iSC_SC_: ; @_Z38paged_attention_ll4mi_QKV_mfma4_kernelI14__hip_bfloat16S0_LN4vllm18Fp8KVCacheDataTypeE0ES0_Li16ELi128ELi256ELb0ELi4EEvPKT_PKT0_S8_ifPKiSA_SA_iPKfiiiPfSD_PS3_PT2_iSC_SC_
; %bb.0:
	s_load_dwordx2 s[10:11], s[4:5], 0x30
	s_mov_b32 s24, s7
	s_mov_b64 s[0:1], 0
	s_waitcnt lgkmcnt(0)
	s_cmp_lg_u64 s[10:11], 0
	s_cselect_b64 s[16:17], -1, 0
	s_and_b64 vcc, exec, s[16:17]
	s_cbranch_vccz .LBB327_20
; %bb.1:
	s_add_i32 s2, s6, 1
	s_mov_b32 s3, 0
	s_lshl_b64 s[12:13], s[2:3], 2
	s_add_u32 s12, s10, s12
	s_mov_b32 s7, s3
	s_addc_u32 s13, s11, s13
	s_lshl_b64 s[2:3], s[6:7], 2
	s_add_u32 s2, s10, s2
	s_addc_u32 s3, s11, s3
	s_load_dword s9, s[12:13], 0x0
	s_load_dword s14, s[2:3], 0x0
	s_mov_b64 s[34:35], s[6:7]
	s_waitcnt lgkmcnt(0)
	s_sub_i32 s2, s9, s14
	s_cmp_eq_u32 s2, 1
	s_cselect_b64 s[2:3], -1, 0
	s_andn2_b64 vcc, exec, s[0:1]
	s_cbranch_vccnz .LBB327_3
.LBB327_2:
	s_mov_b32 s7, 0
	s_mov_b64 s[2:3], -1
	s_mov_b64 s[34:35], s[6:7]
.LBB327_3:
	s_andn2_b64 vcc, exec, s[2:3]
	s_cbranch_vccnz .LBB327_19
; %bb.4:
	s_load_dword s2, s[4:5], 0x9c
	s_load_dwordx2 s[0:1], s[4:5], 0x28
	s_add_u32 s28, s4, 0x90
	s_addc_u32 s29, s5, 0
	s_lshl_b64 s[18:19], s[34:35], 2
	s_waitcnt lgkmcnt(0)
	s_and_b32 s2, s2, 0xffff
	s_add_u32 s0, s0, s18
	s_addc_u32 s1, s1, s19
	s_load_dword s9, s[0:1], 0x0
	s_mul_i32 s20, s24, s2
	s_waitcnt lgkmcnt(0)
	s_cmp_ge_i32 s20, s9
	s_cbranch_scc1 .LBB327_19
; %bb.5:
	v_and_b32_e32 v1, 0xc0, v0
	v_add_u32_e32 v2, s20, v1
	v_lshrrev_b32_e32 v72, 6, v0
	v_cmp_le_i32_e64 s[0:1], s9, v2
                                        ; implicit-def: $sgpr22
                                        ; implicit-def: $sgpr21
	s_and_saveexec_b64 s[2:3], s[0:1]
	s_xor_b64 s[2:3], exec, s[2:3]
	s_cbranch_execz .LBB327_7
; %bb.6:
	v_mul_u32_u24_e32 v1, 20, v72
	v_or_b32_e32 v1, 0x1400, v1
	v_mov_b32_e32 v2, 0x1450
	v_mov_b32_e32 v3, 0xff7fffff
	v_mad_u32_u24 v2, v72, 20, v2
	ds_write2_b32 v1, v3, v3 offset1:1
	v_mov_b32_e32 v1, 0
	ds_write2_b32 v2, v1, v1 offset1:1
	v_mov_b32_e32 v2, 0x1408
	s_mov_b32 s21, 0xff7fffff
	s_mov_b32 s22, 0
	v_mad_u32_u24 v2, v72, 20, v2
	v_mov_b32_e32 v4, 0x1458
	v_mad_u32_u24 v4, v72, 20, v4
	ds_write2_b32 v2, v3, v3 offset1:1
	ds_write2_b32 v4, v1, v1 offset1:1
                                        ; implicit-def: $vgpr2
.LBB327_7:
	s_or_saveexec_b64 s[30:31], s[2:3]
	s_load_dwordx2 s[26:27], s[4:5], 0x68
	s_load_dwordx4 s[12:15], s[4:5], 0x58
	s_load_dword s7, s[28:29], 0x4
	v_and_b32_e32 v1, 63, v0
	v_and_b32_e32 v70, 3, v0
	v_mov_b32_e32 v69, s22
	v_mov_b32_e32 v73, s21
	;; [unrolled: 1-line block ×5, first 2 shown]
                                        ; implicit-def: $vgpr3
                                        ; implicit-def: $vgpr7
                                        ; implicit-def: $vgpr27
                                        ; implicit-def: $vgpr35
                                        ; implicit-def: $vgpr55
                                        ; implicit-def: $vgpr15
                                        ; implicit-def: $vgpr39
                                        ; implicit-def: $vgpr51
                                        ; implicit-def: $vgpr19
                                        ; implicit-def: $vgpr11
                                        ; implicit-def: $vgpr23
                                        ; implicit-def: $vgpr31
                                        ; implicit-def: $vgpr43
                                        ; implicit-def: $vgpr47
                                        ; implicit-def: $vgpr59
                                        ; implicit-def: $vgpr63
	s_xor_b64 exec, exec, s[30:31]
	s_cbranch_execz .LBB327_13
; %bb.8:
	s_add_i32 s22, s9, 15
	s_load_dwordx2 s[2:3], s[4:5], 0x20
	s_load_dword s21, s[4:5], 0x38
	s_ashr_i32 s23, s22, 31
	s_lshr_b32 s23, s23, 28
	v_add_u32_e32 v66, s20, v0
	s_add_i32 s22, s22, s23
	v_ashrrev_i32_e32 v3, 31, v66
	s_ashr_i32 s22, s22, 4
	v_lshrrev_b32_e32 v3, 28, v3
	s_add_i32 s25, s22, -1
	v_add_u32_e32 v3, v66, v3
	s_waitcnt lgkmcnt(0)
	s_mul_i32 s36, s6, s21
	s_mov_b32 s37, 0
	v_ashrrev_i32_e32 v3, 4, v3
	v_mov_b32_e32 v4, s25
	v_cmp_gt_i32_e32 vcc, s9, v66
	s_lshl_b64 s[22:23], s[36:37], 2
	v_cndmask_b32_e32 v4, v4, v3, vcc
	s_add_u32 s2, s2, s22
	v_ashrrev_i32_e32 v5, 31, v4
	s_addc_u32 s3, s3, s23
	v_lshlrev_b64 v[4:5], 2, v[4:5]
	v_mov_b32_e32 v3, s3
	v_add_co_u32_e32 v8, vcc, s2, v4
	v_addc_co_u32_e32 v9, vcc, v3, v5, vcc
	v_ashrrev_i32_e32 v3, 31, v2
	v_lshrrev_b32_e32 v3, 28, v3
	v_add_u32_e32 v2, v2, v3
	v_ashrrev_i32_e32 v4, 4, v2
	v_min_i32_e32 v2, s25, v4
	v_ashrrev_i32_e32 v3, 31, v2
	v_lshlrev_b64 v[2:3], 2, v[2:3]
	v_add_co_u32_e32 v10, vcc, s2, v2
	v_add_u32_e32 v2, 1, v4
	v_mov_b32_e32 v5, s3
	v_min_i32_e32 v2, s25, v2
	v_addc_co_u32_e32 v11, vcc, v5, v3, vcc
	v_ashrrev_i32_e32 v3, 31, v2
	v_lshlrev_b64 v[2:3], 2, v[2:3]
	v_add_co_u32_e32 v12, vcc, s2, v2
	v_add_u32_e32 v2, 2, v4
	v_min_i32_e32 v2, s25, v2
	v_addc_co_u32_e32 v13, vcc, v5, v3, vcc
	v_ashrrev_i32_e32 v3, 31, v2
	v_lshlrev_b64 v[2:3], 2, v[2:3]
	v_add_co_u32_e32 v14, vcc, s2, v2
	v_add_u32_e32 v2, 3, v4
	v_min_i32_e32 v2, s25, v2
	v_addc_co_u32_e32 v15, vcc, v5, v3, vcc
	v_ashrrev_i32_e32 v3, 31, v2
	v_lshlrev_b64 v[2:3], 2, v[2:3]
	v_mov_b32_e32 v4, s3
	v_add_co_u32_e32 v16, vcc, s2, v2
	v_addc_co_u32_e32 v17, vcc, v4, v3, vcc
	global_load_dword v2, v[8:9], off
	global_load_dword v7, v[10:11], off
	;; [unrolled: 1-line block ×5, first 2 shown]
	s_load_dwordx4 s[20:23], s[4:5], 0x0
	s_load_dwordx2 s[2:3], s[4:5], 0x10
	s_andn2_b64 vcc, exec, s[16:17]
	s_cbranch_vccnz .LBB327_10
; %bb.9:
	s_add_u32 s10, s10, s18
	s_addc_u32 s11, s11, s19
	s_load_dword s36, s[10:11], 0x0
	s_waitcnt lgkmcnt(0)
	s_mov_b64 s[34:35], s[36:37]
.LBB327_10:
	s_load_dwordx4 s[16:19], s[4:5], 0x48
	v_lshlrev_b32_e32 v3, 2, v1
	v_and_b32_e32 v3, 0xf0, v3
	v_lshl_or_b32 v3, v70, 8, v3
	v_mov_b32_e32 v65, 0
	s_waitcnt lgkmcnt(0)
	s_ashr_i32 s11, s16, 31
	s_mul_hi_u32 s19, s34, s16
	s_mul_i32 s11, s34, s11
	s_mul_i32 s25, s35, s16
	s_add_i32 s11, s19, s11
	s_mul_i32 s10, s34, s16
	s_add_i32 s11, s11, s25
	s_lshl_b64 s[10:11], s[10:11], 1
	s_add_u32 s16, s20, s10
	s_addc_u32 s19, s21, s11
	s_lshl_b32 s36, s8, 9
	s_lshl_b64 s[10:11], s[36:37], 1
	s_add_u32 s10, s16, s10
	s_addc_u32 s11, s19, s11
	global_load_dwordx4 v[74:77], v3, s[10:11]
	s_waitcnt vmcnt(5)
	v_mad_i64_i32 v[2:3], s[10:11], v2, s17, 0
	s_mul_i32 s36, s8, s18
	s_lshl_b64 s[10:11], s[36:37], 1
	s_add_u32 s16, s10, s22
	v_lshlrev_b64 v[2:3], 1, v[2:3]
	s_addc_u32 s18, s11, s23
	v_mov_b32_e32 v8, s18
	v_add_co_u32_e32 v2, vcc, s16, v2
	v_addc_co_u32_e32 v3, vcc, v8, v3, vcc
	v_and_b32_e32 v8, 15, v0
	v_lshlrev_b32_e32 v8, 4, v8
	v_add_co_u32_e32 v2, vcc, v2, v8
	v_addc_co_u32_e32 v3, vcc, 0, v3, vcc
	global_load_dwordx4 v[8:11], v[2:3], off
	global_load_dwordx4 v[12:15], v[2:3], off offset:256
	global_load_dwordx4 v[16:19], v[2:3], off offset:512
	;; [unrolled: 1-line block ×10, first 2 shown]
	s_waitcnt vmcnt(15)
	v_mul_hi_i32 v52, v7, s17
	s_waitcnt vmcnt(14)
	v_mul_hi_i32 v53, v6, s17
	;; [unrolled: 2-line block ×3, first 2 shown]
	v_ashrrev_i32_e32 v57, 31, v52
	v_ashrrev_i32_e32 v58, 31, v53
	;; [unrolled: 1-line block ×3, first 2 shown]
	global_load_dwordx4 v[52:55], v[2:3], off offset:2816
	s_waitcnt vmcnt(13)
	v_mul_hi_i32 v56, v4, s17
	v_lshrrev_b32_e32 v64, 29, v57
	v_ashrrev_i32_e32 v71, 31, v56
	v_mad_i64_i32 v[60:61], s[18:19], v7, s17, v[64:65]
	v_lshrrev_b32_e32 v64, 29, v58
	global_load_dwordx4 v[56:59], v[2:3], off offset:3072
	v_lshlrev_b64 v[68:69], 1, v[60:61]
	v_mad_i64_i32 v[6:7], s[18:19], v6, s17, v[64:65]
	v_lshrrev_b32_e32 v64, 29, v62
	global_load_dwordx4 v[60:63], v[2:3], off offset:3328
	global_load_dwordx4 v[78:81], v[2:3], off offset:3584
	;; [unrolled: 1-line block ×3, first 2 shown]
	s_add_u32 s2, s2, s10
	v_and_b32_e32 v68, -16, v68
	s_addc_u32 s3, s3, s11
	v_lshlrev_b64 v[6:7], 1, v[6:7]
	v_mov_b32_e32 v3, s3
	v_and_b32_e32 v6, -16, v6
	v_lshlrev_b32_e32 v67, 5, v1
	s_load_dword s4, s[4:5], 0x1c
	v_mov_b32_e32 v73, 0xff7fffff
	s_waitcnt vmcnt(15)
	v_mfma_f32_4x4x4bf16_1k a[0:3], v[74:75], v[8:9], 0 cbsz:4
	v_mad_i64_i32 v[8:9], s[18:19], v5, s17, v[64:65]
	v_mfma_f32_4x4x4bf16_1k a[0:3], v[76:77], v[10:11], a[0:3] cbsz:4
	v_lshlrev_b64 v[8:9], 1, v[8:9]
	s_waitcnt vmcnt(14)
	v_mfma_f32_4x4x4bf16_1k a[0:3], v[74:75], v[12:13], a[0:3] cbsz:4 abid:1
	v_lshrrev_b32_e32 v64, 29, v71
	v_mfma_f32_4x4x4bf16_1k a[0:3], v[76:77], v[14:15], a[0:3] cbsz:4 abid:1
	v_and_b32_e32 v2, -16, v8
	s_waitcnt vmcnt(13)
	v_mfma_f32_4x4x4bf16_1k a[0:3], v[74:75], v[16:17], a[0:3] cbsz:4 abid:2
	v_add_co_u32_e32 v8, vcc, s2, v68
	v_mfma_f32_4x4x4bf16_1k a[0:3], v[76:77], v[18:19], a[0:3] cbsz:4 abid:2
	v_mad_i64_i32 v[4:5], s[16:17], v4, s17, v[64:65]
	s_waitcnt vmcnt(12)
	v_mfma_f32_4x4x4bf16_1k a[0:3], v[74:75], v[20:21], a[0:3] cbsz:4 abid:3
	v_addc_co_u32_e32 v3, vcc, v3, v69, vcc
	v_mfma_f32_4x4x4bf16_1k a[0:3], v[76:77], v[22:23], a[0:3] cbsz:4 abid:3
	v_lshlrev_b64 v[64:65], 1, v[4:5]
	s_waitcnt vmcnt(11)
	v_mfma_f32_4x4x4bf16_1k a[0:3], v[74:75], v[24:25], a[0:3] cbsz:4 abid:4
	v_mov_b32_e32 v4, s3
	v_mfma_f32_4x4x4bf16_1k a[0:3], v[76:77], v[26:27], a[0:3] cbsz:4 abid:4
	v_add_co_u32_e32 v6, vcc, s2, v6
	s_waitcnt vmcnt(10)
	v_mfma_f32_4x4x4bf16_1k a[0:3], v[74:75], v[28:29], a[0:3] cbsz:4 abid:5
	v_addc_co_u32_e32 v4, vcc, v4, v7, vcc
	v_mfma_f32_4x4x4bf16_1k a[0:3], v[76:77], v[30:31], a[0:3] cbsz:4 abid:5
	v_mov_b32_e32 v5, s3
	s_waitcnt vmcnt(9)
	v_mfma_f32_4x4x4bf16_1k a[0:3], v[74:75], v[32:33], a[0:3] cbsz:4 abid:6
	v_add_co_u32_e32 v2, vcc, s2, v2
	v_mfma_f32_4x4x4bf16_1k a[0:3], v[76:77], v[34:35], a[0:3] cbsz:4 abid:6
	v_addc_co_u32_e32 v5, vcc, v5, v9, vcc
	s_waitcnt vmcnt(8)
	v_mfma_f32_4x4x4bf16_1k a[0:3], v[74:75], v[36:37], a[0:3] cbsz:4 abid:7
	v_add_co_u32_e32 v14, vcc, v8, v67
	v_mfma_f32_4x4x4bf16_1k a[0:3], v[76:77], v[38:39], a[0:3] cbsz:4 abid:7
	v_addc_co_u32_e32 v15, vcc, 0, v3, vcc
	;; [unrolled: 5-line block ×3, first 2 shown]
	s_waitcnt vmcnt(6)
	v_mfma_f32_4x4x4bf16_1k a[0:3], v[74:75], v[44:45], a[0:3] cbsz:4 abid:9
	v_add_co_u32_e32 v38, vcc, v2, v67
	v_mfma_f32_4x4x4bf16_1k a[0:3], v[76:77], v[46:47], a[0:3] cbsz:4 abid:9
	v_and_b32_e32 v64, -16, v64
	s_waitcnt vmcnt(5)
	v_mfma_f32_4x4x4bf16_1k a[0:3], v[74:75], v[48:49], a[0:3] cbsz:4 abid:10
	v_addc_co_u32_e32 v39, vcc, 0, v5, vcc
	v_mfma_f32_4x4x4bf16_1k a[0:3], v[76:77], v[50:51], a[0:3] cbsz:4 abid:10
	v_mov_b32_e32 v71, s3
	s_waitcnt vmcnt(4)
	v_mfma_f32_4x4x4bf16_1k a[0:3], v[74:75], v[52:53], a[0:3] cbsz:4 abid:11
	global_load_dwordx4 v[2:5], v[14:15], off
	global_load_dwordx4 v[6:9], v[14:15], off offset:16
	v_mfma_f32_4x4x4bf16_1k a[0:3], v[76:77], v[54:55], a[0:3] cbsz:4 abid:11
	global_load_dwordx4 v[18:21], v[14:15], off offset:2048
	global_load_dwordx4 v[10:13], v[14:15], off offset:2064
	s_waitcnt vmcnt(7)
	v_mfma_f32_4x4x4bf16_1k a[0:3], v[74:75], v[56:57], a[0:3] cbsz:4 abid:12
	global_load_dwordx4 v[26:29], v[16:17], off
	global_load_dwordx4 v[34:37], v[16:17], off offset:16
	global_load_dwordx4 v[22:25], v[16:17], off offset:2048
	;; [unrolled: 1-line block ×3, first 2 shown]
	v_mfma_f32_4x4x4bf16_1k a[0:3], v[76:77], v[58:59], a[0:3] cbsz:4 abid:12
	global_load_dwordx4 v[54:57], v[38:39], off
	global_load_dwordx4 v[14:17], v[38:39], off offset:16
	global_load_dwordx4 v[42:45], v[38:39], off offset:2048
	;; [unrolled: 1-line block ×3, first 2 shown]
	v_add_co_u32_e32 v38, vcc, s2, v64
	v_addc_co_u32_e32 v39, vcc, v71, v65, vcc
	s_waitcnt vmcnt(14)
	v_mfma_f32_4x4x4bf16_1k a[0:3], v[74:75], v[60:61], a[0:3] cbsz:4 abid:13
	v_add_co_u32_e32 v68, vcc, v38, v67
	v_addc_co_u32_e32 v69, vcc, 0, v39, vcc
	v_mfma_f32_4x4x4bf16_1k a[0:3], v[76:77], v[62:63], a[0:3] cbsz:4 abid:13
	global_load_dwordx4 v[38:41], v[68:69], off
	global_load_dwordx4 v[50:53], v[68:69], off offset:16
	global_load_dwordx4 v[58:61], v[68:69], off offset:2048
	;; [unrolled: 1-line block ×3, first 2 shown]
	s_waitcnt vmcnt(17)
	v_mfma_f32_4x4x4bf16_1k a[0:3], v[74:75], v[78:79], a[0:3] cbsz:4 abid:14
	v_cmp_eq_u32_e32 vcc, 0, v70
	v_mfma_f32_4x4x4bf16_1k a[0:3], v[76:77], v[80:81], a[0:3] cbsz:4 abid:14
	v_cndmask_b32_e64 v67, 0, 1.0, vcc
	s_waitcnt vmcnt(16)
	v_mfma_f32_4x4x4bf16_1k a[0:3], v[74:75], v[82:83], a[0:3] cbsz:4 abid:15
	v_cmp_eq_u32_e32 vcc, 1, v70
	v_mfma_f32_4x4x4bf16_1k a[0:3], v[76:77], v[84:85], a[0:3] cbsz:4 abid:15
	s_nop 4
	v_accvgpr_read_b32 v75, a1
	v_accvgpr_read_b32 v74, a0
	s_waitcnt lgkmcnt(0)
	v_pk_mul_f32 v[74:75], s[4:5], v[74:75] op_sel_hi:[0,1]
	v_accvgpr_read_b32 v69, a3
	v_accvgpr_read_b32 v68, a2
	v_pk_mul_f32 v[68:69], s[4:5], v[68:69] op_sel_hi:[0,1]
	v_mfma_f32_4x4x1f32 a[0:3], v74, v67, 0
	v_cndmask_b32_e64 v67, 0, 1.0, vcc
	v_cmp_eq_u32_e32 vcc, 2, v70
	s_nop 0
	v_mfma_f32_4x4x1f32 a[0:3], v75, v67, a[0:3]
	v_cndmask_b32_e64 v67, 0, 1.0, vcc
	v_cmp_eq_u32_e32 vcc, 3, v70
	s_nop 0
	v_mfma_f32_4x4x1f32 a[0:3], v68, v67, a[0:3]
	v_cndmask_b32_e64 v67, 0, 1.0, vcc
	v_lshlrev_b32_e32 v68, 2, v0
	v_and_or_b32 v68, v68, 48, v70
	v_mfma_f32_4x4x1f32 a[0:3], v69, v67, a[0:3]
	v_and_b32_e32 v67, -4, v66
	v_cmp_gt_i32_e32 vcc, s9, v67
	v_or_b32_e32 v66, 3, v66
	v_cmp_gt_i32_e64 s[10:11], s9, v66
	v_lshlrev_b32_e32 v76, 2, v68
	v_accvgpr_read_b32 v69, a0
	v_max_f32_e32 v71, v69, v69
	v_max_f32_e32 v71, 0xff7fffff, v71
	v_accvgpr_read_b32 v74, a1
	v_cndmask_b32_e32 v71, v73, v71, vcc
	v_or_b32_e32 v73, 1, v67
	v_max_f32_e32 v75, v74, v74
	v_max_f32_e32 v75, v71, v75
	v_cmp_gt_i32_e64 s[2:3], s9, v73
	v_cndmask_b32_e64 v71, v71, v75, s[2:3]
	v_accvgpr_read_b32 v75, a2
	v_or_b32_e32 v67, 2, v67
	v_max_f32_e32 v73, v75, v75
	v_max_f32_e32 v73, v71, v73
	v_cmp_gt_i32_e64 s[4:5], s9, v67
	v_cndmask_b32_e64 v67, v71, v73, s[4:5]
	v_accvgpr_read_b32 v71, a3
	v_max_f32_e32 v73, v71, v71
	v_max_f32_e32 v73, v67, v73
	v_cndmask_b32_e64 v66, v67, v73, s[10:11]
	;;#ASMSTART
	v_nop
 v_nop
 v_max_f32_dpp v66, v66, v66 row_ror:4
	;;#ASMEND
	;;#ASMSTART
	v_nop
 v_nop
 v_max_f32_dpp v66, v66, v66 row_ror:8
	;;#ASMEND
	ds_bpermute_b32 v66, v76, v66
	s_waitcnt lgkmcnt(0)
	;;#ASMSTART
	v_nop
 v_nop
 v_max_f32_dpp v66, v66, v66 row_ror:4
	;;#ASMEND
	;;#ASMSTART
	v_nop
 v_nop
 v_max_f32_dpp v73, v66, v66 row_ror:8
	;;#ASMEND
	v_sub_f32_e32 v66, v69, v73
	v_mul_f32_e32 v66, 0x3fb8aa3b, v66
	v_sub_f32_e32 v67, v74, v73
	v_exp_f32_e32 v66, v66
	v_mul_f32_e32 v67, 0x3fb8aa3b, v67
	v_sub_f32_e32 v69, v75, v73
	v_exp_f32_e32 v67, v67
	;; [unrolled: 3-line block ×3, first 2 shown]
	v_mul_f32_e32 v71, 0x3fb8aa3b, v71
	v_exp_f32_e32 v71, v71
	v_cndmask_b32_e32 v66, 0, v66, vcc
	v_add_f32_e32 v68, 0, v66
	v_cndmask_b32_e64 v67, 0, v67, s[2:3]
	v_add_f32_e32 v74, v68, v67
	v_cndmask_b32_e64 v68, 0, v69, s[4:5]
	;; [unrolled: 2-line block ×3, first 2 shown]
	v_add_f32_e32 v71, v74, v69
	;;#ASMSTART
	v_nop
 v_nop
 v_add_f32_dpp v71, v71, v71 row_ror:4
	;;#ASMEND
	;;#ASMSTART
	v_nop
 v_nop
 v_add_f32_dpp v71, v71, v71 row_ror:8
	;;#ASMEND
	ds_bpermute_b32 v71, v76, v71
	s_waitcnt lgkmcnt(0)
	;;#ASMSTART
	v_nop
 v_nop
 v_add_f32_dpp v71, v71, v71 row_ror:4
	;;#ASMEND
	v_cmp_gt_u32_e32 vcc, 4, v1
	;;#ASMSTART
	v_nop
 v_nop
 v_add_f32_dpp v71, v71, v71 row_ror:8
	;;#ASMEND
	s_and_saveexec_b64 s[2:3], vcc
	s_cbranch_execz .LBB327_12
; %bb.11:
	v_mul_u32_u24_e32 v74, 20, v72
	v_lshl_add_u32 v74, v70, 2, v74
	v_add_u32_e32 v74, 0x1400, v74
	ds_write2_b32 v74, v73, v71 offset1:20
.LBB327_12:
	s_or_b64 exec, exec, s[2:3]
.LBB327_13:
	s_or_b64 exec, exec, s[30:31]
	v_lshlrev_b32_e32 v71, 2, v70
	v_add_u32_e32 v71, 0x1400, v71
	s_waitcnt lgkmcnt(0)
	s_barrier
	s_load_dword s2, s[28:29], 0x8
	ds_read2_b32 v[76:77], v71 offset1:5
	ds_read2_b32 v[78:79], v71 offset0:10 offset1:15
	s_mov_b32 s10, 0xff7fffff
	s_mul_i32 s3, s6, s7
	ds_read2_b32 v[80:81], v71 offset0:20 offset1:25
	s_waitcnt lgkmcnt(0)
	v_max3_f32 v74, v76, s10, v77
	v_max3_f32 v74, v74, v78, v79
	v_sub_f32_e32 v75, v76, v74
	v_sub_f32_e32 v76, v77, v74
	s_mul_i32 s3, s3, s2
	v_mul_f32_e32 v75, 0x3fb8aa3b, v75
	v_mul_f32_e32 v76, 0x3fb8aa3b, v76
	s_lshl_b32 s2, s3, 2
	s_mov_b32 s3, 0
	v_exp_f32_e32 v75, v75
	v_exp_f32_e32 v82, v76
	ds_read2_b32 v[76:77], v71 offset0:30 offset1:35
	v_sub_f32_e32 v71, v78, v74
	s_lshl_b32 s4, s8, 2
	s_lshl_b64 s[8:9], s[2:3], 2
	v_mul_f32_e32 v71, 0x3fb8aa3b, v71
	v_sub_f32_e32 v78, v79, v74
	s_add_u32 s5, s12, s8
	v_exp_f32_e32 v71, v71
	v_mul_f32_e32 v78, 0x3fb8aa3b, v78
	s_addc_u32 s6, s13, s9
	v_exp_f32_e32 v78, v78
	s_mov_b32 s25, s3
	s_add_u32 s10, s14, s8
	v_fma_f32 v75, v75, v80, 0
	s_addc_u32 s11, s15, s9
	s_lshl_b64 s[8:9], s[24:25], 2
	v_fmac_f32_e32 v75, v82, v81
	v_or_b32_e32 v70, s4, v70
	s_add_u32 s10, s10, s8
	s_waitcnt lgkmcnt(0)
	v_fmac_f32_e32 v75, v71, v76
	v_mul_lo_u32 v70, s7, v70
	v_mov_b32_e32 v71, 0
	s_addc_u32 s11, s11, s9
	v_fmac_f32_e32 v75, v78, v77
	v_lshlrev_b64 v[76:77], 2, v[70:71]
	s_add_u32 s5, s5, s8
	v_mov_b32_e32 v70, s11
	v_add_co_u32_e32 v78, vcc, s10, v76
	s_addc_u32 s6, s6, s9
	v_addc_co_u32_e32 v79, vcc, v70, v77, vcc
	v_mov_b32_e32 v70, s6
	v_add_co_u32_e32 v76, vcc, s5, v76
	v_addc_co_u32_e32 v77, vcc, v70, v77, vcc
	v_lshlrev_b32_e32 v72, 3, v72
	global_store_dword v[78:79], v74, off
	global_store_dword v[76:77], v75, off
	s_and_saveexec_b64 s[8:9], s[0:1]
	s_xor_b64 s[0:1], exec, s[8:9]
	s_cbranch_execz .LBB327_15
; %bb.14:
	s_waitcnt vmcnt(17)
	v_mad_u32_u24 v2, v1, 40, v72
	v_mov_b32_e32 v70, v71
	ds_write_b64 v2, v[70:71]
                                        ; implicit-def: $vgpr69
                                        ; implicit-def: $vgpr67
                                        ; implicit-def: $vgpr3
                                        ; implicit-def: $vgpr7
                                        ; implicit-def: $vgpr27
                                        ; implicit-def: $vgpr35
                                        ; implicit-def: $vgpr55
                                        ; implicit-def: $vgpr15
                                        ; implicit-def: $vgpr39
                                        ; implicit-def: $vgpr51
                                        ; implicit-def: $vgpr19
                                        ; implicit-def: $vgpr11
                                        ; implicit-def: $vgpr23
                                        ; implicit-def: $vgpr31
                                        ; implicit-def: $vgpr43
                                        ; implicit-def: $vgpr47
                                        ; implicit-def: $vgpr59
                                        ; implicit-def: $vgpr63
                                        ; implicit-def: $vgpr73
                                        ; implicit-def: $vgpr74
                                        ; implicit-def: $vgpr75
.LBB327_15:
	s_or_saveexec_b64 s[0:1], s[0:1]
	v_mov_b32_e32 v70, s3
	v_mov_b32_e32 v71, s3
	s_xor_b64 exec, exec, s[0:1]
	s_cbranch_execz .LBB327_17
; %bb.16:
	v_add_f32_e32 v70, 0x358637bd, v75
	v_div_scale_f32 v71, s[8:9], v70, v70, 1.0
	v_rcp_f32_e32 v75, v71
	v_sub_f32_e32 v73, v73, v74
	v_mul_f32_e32 v73, 0x3fb8aa3b, v73
	v_exp_f32_e32 v73, v73
	v_fma_f32 v74, -v71, v75, 1.0
	v_fmac_f32_e32 v75, v74, v75
	v_div_scale_f32 v74, vcc, 1.0, v70, 1.0
	v_mul_f32_e32 v76, v74, v75
	v_fma_f32 v77, -v71, v76, v74
	v_fmac_f32_e32 v76, v77, v75
	v_fma_f32 v71, -v71, v76, v74
	v_div_fmas_f32 v71, v71, v75, v76
	v_div_fixup_f32 v70, v71, v70, 1.0
	v_mul_f32_e32 v70, v73, v70
	v_pk_mul_f32 v[66:67], v[66:67], v[70:71] op_sel_hi:[1,0]
	v_pk_mul_f32 v[68:69], v[68:69], v[70:71] op_sel_hi:[1,0]
	v_bfe_u32 v70, v67, 16, 1
	v_bfe_u32 v71, v66, 16, 1
	s_movk_i32 s3, 0x7fff
	v_add3_u32 v66, v66, v71, s3
	v_add3_u32 v67, v67, v70, s3
	s_mov_b32 s5, 0x7060302
	v_perm_b32 v66, v67, v66, s5
	v_bfe_u32 v67, v69, 16, 1
	v_bfe_u32 v70, v68, 16, 1
	v_add3_u32 v68, v68, v70, s3
	v_add3_u32 v67, v69, v67, s3
	v_perm_b32 v67, v67, v68, s5
	s_waitcnt vmcnt(17)
	s_nop 0
	v_mfma_f32_4x4x4bf16_1k a[0:3], v[66:67], v[2:3], 0 cbsz:4
	v_mfma_f32_4x4x4bf16_1k a[0:3], v[66:67], v[4:5], a[0:3] cbsz:4 abid:1
	s_waitcnt vmcnt(16)
	v_mfma_f32_4x4x4bf16_1k a[0:3], v[66:67], v[6:7], a[0:3] cbsz:4 abid:2
	v_mfma_f32_4x4x4bf16_1k a[0:3], v[66:67], v[8:9], a[0:3] cbsz:4 abid:3
	s_waitcnt vmcnt(13)
	v_mfma_f32_4x4x4bf16_1k a[0:3], v[66:67], v[26:27], a[0:3] cbsz:4 abid:4
	;; [unrolled: 3-line block ×6, first 2 shown]
	v_mfma_f32_4x4x4bf16_1k a[4:7], v[66:67], v[18:19], 0 cbsz:4
	v_mfma_f32_4x4x4bf16_1k a[0:3], v[66:67], v[40:41], a[0:3] cbsz:4 abid:13
	v_mfma_f32_4x4x4bf16_1k a[4:7], v[66:67], v[20:21], a[4:7] cbsz:4 abid:1
	s_waitcnt vmcnt(4)
	v_mfma_f32_4x4x4bf16_1k a[0:3], v[66:67], v[50:51], a[0:3] cbsz:4 abid:14
	v_mfma_f32_4x4x4bf16_1k a[4:7], v[66:67], v[10:11], a[4:7] cbsz:4 abid:2
	;; [unrolled: 1-line block ×3, first 2 shown]
	s_nop 4
	v_accvgpr_read_b32 v3, a2
	v_accvgpr_read_b32 v4, a3
	;; [unrolled: 1-line block ×4, first 2 shown]
	v_mfma_f32_4x4x4bf16_1k a[0:3], v[66:67], v[12:13], a[4:7] cbsz:4 abid:3
	v_bfe_u32 v6, v5, 16, 1
	v_mfma_f32_4x4x4bf16_1k a[0:3], v[66:67], v[22:23], a[0:3] cbsz:4 abid:4
	v_bfe_u32 v7, v2, 16, 1
	v_mfma_f32_4x4x4bf16_1k a[0:3], v[66:67], v[24:25], a[0:3] cbsz:4 abid:5
	v_add3_u32 v2, v2, v7, s3
	v_mfma_f32_4x4x4bf16_1k a[0:3], v[66:67], v[30:31], a[0:3] cbsz:4 abid:6
	v_add3_u32 v5, v5, v6, s3
	v_mfma_f32_4x4x4bf16_1k a[0:3], v[66:67], v[32:33], a[0:3] cbsz:4 abid:7
	v_perm_b32 v2, v5, v2, s5
	v_mfma_f32_4x4x4bf16_1k a[0:3], v[66:67], v[42:43], a[0:3] cbsz:4 abid:8
	v_bfe_u32 v5, v4, 16, 1
	v_mfma_f32_4x4x4bf16_1k a[0:3], v[66:67], v[44:45], a[0:3] cbsz:4 abid:9
	v_bfe_u32 v6, v3, 16, 1
	v_mfma_f32_4x4x4bf16_1k a[0:3], v[66:67], v[46:47], a[0:3] cbsz:4 abid:10
	v_add3_u32 v3, v3, v6, s3
	v_mfma_f32_4x4x4bf16_1k a[0:3], v[66:67], v[48:49], a[0:3] cbsz:4 abid:11
	v_add3_u32 v4, v4, v5, s3
	s_waitcnt vmcnt(3)
	v_mfma_f32_4x4x4bf16_1k a[0:3], v[66:67], v[58:59], a[0:3] cbsz:4 abid:12
	v_perm_b32 v3, v4, v3, s5
	v_mfma_f32_4x4x4bf16_1k a[0:3], v[66:67], v[60:61], a[0:3] cbsz:4 abid:13
	v_mad_u32_u24 v4, v1, 40, v72
	s_waitcnt vmcnt(2)
	v_mfma_f32_4x4x4bf16_1k a[0:3], v[66:67], v[62:63], a[0:3] cbsz:4 abid:14
	ds_write_b64 v4, v[2:3]
	v_mfma_f32_4x4x4bf16_1k a[0:3], v[66:67], v[64:65], a[0:3] cbsz:4 abid:15
	s_nop 4
	v_accvgpr_read_b32 v4, a0
	v_accvgpr_read_b32 v5, a1
	;; [unrolled: 1-line block ×4, first 2 shown]
	v_bfe_u32 v6, v5, 16, 1
	v_bfe_u32 v7, v4, 16, 1
	v_add3_u32 v4, v4, v7, s3
	v_add3_u32 v5, v5, v6, s3
	v_bfe_u32 v6, v3, 16, 1
	v_bfe_u32 v7, v2, 16, 1
	v_add3_u32 v2, v2, v7, s3
	v_add3_u32 v3, v3, v6, s3
	v_perm_b32 v71, v3, v2, s5
	v_perm_b32 v70, v5, v4, s5
.LBB327_17:
	s_or_b64 exec, exec, s[0:1]
	s_waitcnt vmcnt(17)
	v_mad_u32_u24 v2, v1, 40, v72
	v_cmp_gt_u32_e32 vcc, 64, v0
	ds_write_b64 v2, v[70:71] offset:2560
	s_waitcnt lgkmcnt(0)
	s_barrier
	s_and_saveexec_b64 s[0:1], vcc
	s_cbranch_execz .LBB327_19
; %bb.18:
	s_waitcnt vmcnt(16)
	v_mul_u32_u24_e32 v6, 40, v1
	ds_read2_b64 v[2:5], v6 offset1:1
	ds_read2_b64 v[6:9], v6 offset0:2 offset1:3
	s_mov_b32 s1, 0
	s_lshl_b32 s0, s2, 7
	s_lshl_b64 s[2:3], s[0:1], 1
	s_waitcnt vmcnt(14) lgkmcnt(1)
	v_lshlrev_b32_e32 v10, 16, v2
	v_and_b32_e32 v2, 0xffff0000, v2
	v_add_f32_e32 v2, 0, v2
	v_lshlrev_b32_e32 v11, 16, v3
	v_and_b32_e32 v3, 0xffff0000, v3
	v_and_b32_e32 v2, 0xffff0000, v2
	v_add_f32_e32 v11, 0, v11
	v_add_f32_e32 v3, 0, v3
	v_lshlrev_b32_e32 v12, 16, v4
	v_and_b32_e32 v4, 0xffff0000, v4
	v_add_f32_e32 v10, 0, v10
	v_and_b32_e32 v11, 0xffff0000, v11
	v_and_b32_e32 v3, 0xffff0000, v3
	v_add_f32_e32 v2, v2, v4
	v_lshlrev_b32_e32 v4, 16, v5
	v_and_b32_e32 v5, 0xffff0000, v5
	v_and_b32_e32 v10, 0xffff0000, v10
	;; [unrolled: 1-line block ×3, first 2 shown]
	v_add_f32_e32 v4, v11, v4
	v_add_f32_e32 v3, v3, v5
	s_waitcnt lgkmcnt(0)
	v_lshlrev_b32_e32 v5, 16, v6
	v_and_b32_e32 v6, 0xffff0000, v6
	v_add_f32_e32 v10, v10, v12
	v_and_b32_e32 v4, 0xffff0000, v4
	v_add_f32_e32 v2, v2, v6
	v_lshlrev_b32_e32 v6, 16, v7
	v_and_b32_e32 v10, 0xffff0000, v10
	v_and_b32_e32 v3, 0xffff0000, v3
	v_add_f32_e32 v4, v4, v6
	v_and_b32_e32 v6, 0xffff0000, v7
	v_add_f32_e32 v5, v10, v5
	v_add_f32_e32 v3, v3, v6
	v_and_b32_e32 v5, 0xffff0000, v5
	v_and_b32_e32 v6, 0xffff0000, v3
	v_lshlrev_b32_e32 v3, 16, v8
	v_and_b32_e32 v2, 0xffff0000, v2
	v_add_f32_e32 v10, v5, v3
	v_and_b32_e32 v3, 0xffff0000, v8
	v_and_b32_e32 v4, 0xffff0000, v4
	v_add_f32_e32 v11, v2, v3
	v_lshlrev_b32_e32 v2, 16, v9
	v_add_f32_e32 v12, v4, v2
	v_mov_b32_e32 v2, 0xa00
	v_mad_u32_u24 v2, v1, 40, v2
	ds_read2_b64 v[2:5], v2 offset1:1
	v_and_b32_e32 v7, 0xffff0000, v9
	v_add_f32_e32 v13, v6, v7
	v_mov_b32_e32 v6, 0xa10
	v_mad_u32_u24 v1, v1, 40, v6
	ds_read2_b64 v[6:9], v1 offset1:1
	s_waitcnt lgkmcnt(1)
	v_lshlrev_b32_e32 v1, 16, v2
	v_and_b32_e32 v2, 0xffff0000, v2
	v_add_f32_e32 v1, 0, v1
	v_add_f32_e32 v2, 0, v2
	s_waitcnt vmcnt(8)
	v_lshlrev_b32_e32 v14, 16, v3
	v_and_b32_e32 v3, 0xffff0000, v3
	v_and_b32_e32 v1, 0xffff0000, v1
	;; [unrolled: 1-line block ×3, first 2 shown]
	v_add_f32_e32 v3, 0, v3
	v_lshlrev_b32_e32 v15, 16, v4
	v_and_b32_e32 v4, 0xffff0000, v4
	v_add_f32_e32 v14, 0, v14
	v_and_b32_e32 v3, 0xffff0000, v3
	v_add_f32_e32 v1, v1, v15
	v_add_f32_e32 v2, v2, v4
	v_lshlrev_b32_e32 v4, 16, v5
	v_and_b32_e32 v5, 0xffff0000, v5
	v_and_b32_e32 v14, 0xffff0000, v14
	;; [unrolled: 1-line block ×3, first 2 shown]
	v_add_f32_e32 v3, v3, v5
	s_waitcnt lgkmcnt(0)
	v_lshlrev_b32_e32 v5, 16, v6
	v_and_b32_e32 v2, 0xffff0000, v2
	v_add_f32_e32 v4, v14, v4
	v_add_f32_e32 v1, v1, v5
	v_and_b32_e32 v5, 0xffff0000, v6
	v_and_b32_e32 v4, 0xffff0000, v4
	v_add_f32_e32 v2, v2, v5
	v_lshlrev_b32_e32 v5, 16, v7
	s_add_u32 s2, s26, s2
	v_and_b32_e32 v3, 0xffff0000, v3
	v_add_f32_e32 v4, v4, v5
	v_and_b32_e32 v5, 0xffff0000, v7
	s_addc_u32 s3, s27, s3
	s_lshl_b32 s0, s24, 7
	v_and_b32_e32 v1, 0xffff0000, v1
	v_add_f32_e32 v3, v3, v5
	v_lshlrev_b32_e32 v5, 16, v8
	s_lshl_b64 s[0:1], s[0:1], 1
	v_and_b32_e32 v2, 0xffff0000, v2
	v_add_f32_e32 v14, v1, v5
	v_and_b32_e32 v1, 0xffff0000, v8
	s_add_u32 s0, s2, s0
	v_and_b32_e32 v4, 0xffff0000, v4
	v_add_f32_e32 v15, v2, v1
	v_lshlrev_b32_e32 v1, 16, v9
	s_addc_u32 s1, s3, s1
	s_lshl_b32 s2, s7, 7
	v_and_b32_e32 v3, 0xffff0000, v3
	v_add_f32_e32 v16, v4, v1
	v_and_b32_e32 v1, 0xffff0000, v9
	s_mul_i32 s3, s2, s4
	v_add_f32_e32 v17, v3, v1
	v_or_b32_e32 v2, s3, v0
	v_mov_b32_e32 v3, 0
	v_lshlrev_b64 v[4:5], 1, v[2:3]
	s_add_i32 s3, s3, s2
	v_mov_b32_e32 v1, s1
	v_add_co_u32_e32 v4, vcc, s0, v4
	v_or_b32_e32 v2, s3, v0
	v_addc_co_u32_e32 v5, vcc, v1, v5, vcc
	v_lshlrev_b64 v[6:7], 1, v[2:3]
	s_add_i32 s3, s3, s2
	v_add_co_u32_e32 v6, vcc, s0, v6
	v_or_b32_e32 v2, s3, v0
	v_addc_co_u32_e32 v7, vcc, v1, v7, vcc
	v_lshlrev_b64 v[8:9], 1, v[2:3]
	s_add_i32 s3, s3, s2
	v_add_co_u32_e32 v8, vcc, s0, v8
	v_or_b32_e32 v2, s3, v0
	v_addc_co_u32_e32 v9, vcc, v1, v9, vcc
	v_lshlrev_b64 v[0:1], 1, v[2:3]
	v_mov_b32_e32 v2, s1
	v_add_co_u32_e32 v0, vcc, s0, v0
	v_addc_co_u32_e32 v1, vcc, v2, v1, vcc
	global_store_short_d16_hi v[4:5], v10, off
	global_store_short_d16_hi v[6:7], v11, off
	;; [unrolled: 1-line block ×4, first 2 shown]
	global_store_short_d16_hi v[4:5], v14, off offset:128
	global_store_short_d16_hi v[6:7], v15, off offset:128
	;; [unrolled: 1-line block ×4, first 2 shown]
.LBB327_19:
	s_endpgm
.LBB327_20:
	s_mov_b64 s[2:3], 0
                                        ; implicit-def: $sgpr34_sgpr35
	s_branch .LBB327_2
	.section	.rodata,"a",@progbits
	.p2align	6, 0x0
	.amdhsa_kernel _Z38paged_attention_ll4mi_QKV_mfma4_kernelI14__hip_bfloat16S0_LN4vllm18Fp8KVCacheDataTypeE0ES0_Li16ELi128ELi256ELb0ELi4EEvPKT_PKT0_S8_ifPKiSA_SA_iPKfiiiPfSD_PS3_PT2_iSC_SC_
		.amdhsa_group_segment_fixed_size 5280
		.amdhsa_private_segment_fixed_size 0
		.amdhsa_kernarg_size 400
		.amdhsa_user_sgpr_count 6
		.amdhsa_user_sgpr_private_segment_buffer 1
		.amdhsa_user_sgpr_dispatch_ptr 0
		.amdhsa_user_sgpr_queue_ptr 0
		.amdhsa_user_sgpr_kernarg_segment_ptr 1
		.amdhsa_user_sgpr_dispatch_id 0
		.amdhsa_user_sgpr_flat_scratch_init 0
		.amdhsa_user_sgpr_kernarg_preload_length 0
		.amdhsa_user_sgpr_kernarg_preload_offset 0
		.amdhsa_user_sgpr_private_segment_size 0
		.amdhsa_uses_dynamic_stack 0
		.amdhsa_system_sgpr_private_segment_wavefront_offset 0
		.amdhsa_system_sgpr_workgroup_id_x 1
		.amdhsa_system_sgpr_workgroup_id_y 1
		.amdhsa_system_sgpr_workgroup_id_z 1
		.amdhsa_system_sgpr_workgroup_info 0
		.amdhsa_system_vgpr_workitem_id 0
		.amdhsa_next_free_vgpr 96
		.amdhsa_next_free_sgpr 38
		.amdhsa_accum_offset 88
		.amdhsa_reserve_vcc 1
		.amdhsa_reserve_flat_scratch 0
		.amdhsa_float_round_mode_32 0
		.amdhsa_float_round_mode_16_64 0
		.amdhsa_float_denorm_mode_32 3
		.amdhsa_float_denorm_mode_16_64 3
		.amdhsa_dx10_clamp 1
		.amdhsa_ieee_mode 1
		.amdhsa_fp16_overflow 0
		.amdhsa_tg_split 0
		.amdhsa_exception_fp_ieee_invalid_op 0
		.amdhsa_exception_fp_denorm_src 0
		.amdhsa_exception_fp_ieee_div_zero 0
		.amdhsa_exception_fp_ieee_overflow 0
		.amdhsa_exception_fp_ieee_underflow 0
		.amdhsa_exception_fp_ieee_inexact 0
		.amdhsa_exception_int_div_zero 0
	.end_amdhsa_kernel
	.section	.text._Z38paged_attention_ll4mi_QKV_mfma4_kernelI14__hip_bfloat16S0_LN4vllm18Fp8KVCacheDataTypeE0ES0_Li16ELi128ELi256ELb0ELi4EEvPKT_PKT0_S8_ifPKiSA_SA_iPKfiiiPfSD_PS3_PT2_iSC_SC_,"axG",@progbits,_Z38paged_attention_ll4mi_QKV_mfma4_kernelI14__hip_bfloat16S0_LN4vllm18Fp8KVCacheDataTypeE0ES0_Li16ELi128ELi256ELb0ELi4EEvPKT_PKT0_S8_ifPKiSA_SA_iPKfiiiPfSD_PS3_PT2_iSC_SC_,comdat
.Lfunc_end327:
	.size	_Z38paged_attention_ll4mi_QKV_mfma4_kernelI14__hip_bfloat16S0_LN4vllm18Fp8KVCacheDataTypeE0ES0_Li16ELi128ELi256ELb0ELi4EEvPKT_PKT0_S8_ifPKiSA_SA_iPKfiiiPfSD_PS3_PT2_iSC_SC_, .Lfunc_end327-_Z38paged_attention_ll4mi_QKV_mfma4_kernelI14__hip_bfloat16S0_LN4vllm18Fp8KVCacheDataTypeE0ES0_Li16ELi128ELi256ELb0ELi4EEvPKT_PKT0_S8_ifPKiSA_SA_iPKfiiiPfSD_PS3_PT2_iSC_SC_
                                        ; -- End function
	.section	.AMDGPU.csdata,"",@progbits
; Kernel info:
; codeLenInByte = 4440
; NumSgprs: 42
; NumVgprs: 86
; NumAgprs: 8
; TotalNumVgprs: 96
; ScratchSize: 0
; MemoryBound: 0
; FloatMode: 240
; IeeeMode: 1
; LDSByteSize: 5280 bytes/workgroup (compile time only)
; SGPRBlocks: 5
; VGPRBlocks: 11
; NumSGPRsForWavesPerEU: 42
; NumVGPRsForWavesPerEU: 96
; AccumOffset: 88
; Occupancy: 5
; WaveLimiterHint : 1
; COMPUTE_PGM_RSRC2:SCRATCH_EN: 0
; COMPUTE_PGM_RSRC2:USER_SGPR: 6
; COMPUTE_PGM_RSRC2:TRAP_HANDLER: 0
; COMPUTE_PGM_RSRC2:TGID_X_EN: 1
; COMPUTE_PGM_RSRC2:TGID_Y_EN: 1
; COMPUTE_PGM_RSRC2:TGID_Z_EN: 1
; COMPUTE_PGM_RSRC2:TIDIG_COMP_CNT: 0
; COMPUTE_PGM_RSRC3_GFX90A:ACCUM_OFFSET: 21
; COMPUTE_PGM_RSRC3_GFX90A:TG_SPLIT: 0
	.section	.text._Z39paged_attention_ll4mi_QKV_mfma16_kernelI14__hip_bfloat16S0_LN4vllm18Fp8KVCacheDataTypeE0ES0_Li16ELi128ELi256ELb0ELi5EL8MFMAType0EEvPKT_PKT0_S9_ifPKiSB_SB_iPKfiiiPfSE_PS4_PT2_iSD_SD_,"axG",@progbits,_Z39paged_attention_ll4mi_QKV_mfma16_kernelI14__hip_bfloat16S0_LN4vllm18Fp8KVCacheDataTypeE0ES0_Li16ELi128ELi256ELb0ELi5EL8MFMAType0EEvPKT_PKT0_S9_ifPKiSB_SB_iPKfiiiPfSE_PS4_PT2_iSD_SD_,comdat
	.protected	_Z39paged_attention_ll4mi_QKV_mfma16_kernelI14__hip_bfloat16S0_LN4vllm18Fp8KVCacheDataTypeE0ES0_Li16ELi128ELi256ELb0ELi5EL8MFMAType0EEvPKT_PKT0_S9_ifPKiSB_SB_iPKfiiiPfSE_PS4_PT2_iSD_SD_ ; -- Begin function _Z39paged_attention_ll4mi_QKV_mfma16_kernelI14__hip_bfloat16S0_LN4vllm18Fp8KVCacheDataTypeE0ES0_Li16ELi128ELi256ELb0ELi5EL8MFMAType0EEvPKT_PKT0_S9_ifPKiSB_SB_iPKfiiiPfSE_PS4_PT2_iSD_SD_
	.globl	_Z39paged_attention_ll4mi_QKV_mfma16_kernelI14__hip_bfloat16S0_LN4vllm18Fp8KVCacheDataTypeE0ES0_Li16ELi128ELi256ELb0ELi5EL8MFMAType0EEvPKT_PKT0_S9_ifPKiSB_SB_iPKfiiiPfSE_PS4_PT2_iSD_SD_
	.p2align	8
	.type	_Z39paged_attention_ll4mi_QKV_mfma16_kernelI14__hip_bfloat16S0_LN4vllm18Fp8KVCacheDataTypeE0ES0_Li16ELi128ELi256ELb0ELi5EL8MFMAType0EEvPKT_PKT0_S9_ifPKiSB_SB_iPKfiiiPfSE_PS4_PT2_iSD_SD_,@function
_Z39paged_attention_ll4mi_QKV_mfma16_kernelI14__hip_bfloat16S0_LN4vllm18Fp8KVCacheDataTypeE0ES0_Li16ELi128ELi256ELb0ELi5EL8MFMAType0EEvPKT_PKT0_S9_ifPKiSB_SB_iPKfiiiPfSE_PS4_PT2_iSD_SD_: ; @_Z39paged_attention_ll4mi_QKV_mfma16_kernelI14__hip_bfloat16S0_LN4vllm18Fp8KVCacheDataTypeE0ES0_Li16ELi128ELi256ELb0ELi5EL8MFMAType0EEvPKT_PKT0_S9_ifPKiSB_SB_iPKfiiiPfSE_PS4_PT2_iSD_SD_
; %bb.0:
	s_mov_b64 s[46:47], s[2:3]
	s_mov_b64 s[44:45], s[0:1]
	s_load_dwordx2 s[0:1], s[4:5], 0x30
	s_add_u32 s44, s44, s9
	s_addc_u32 s45, s45, 0
	s_mov_b32 s26, s7
	s_mov_b64 s[10:11], 0
	s_waitcnt lgkmcnt(0)
	s_cmp_lg_u64 s[0:1], 0
	s_cselect_b64 s[2:3], -1, 0
	s_and_b64 vcc, exec, s[2:3]
	s_cbranch_vccz .LBB328_7
; %bb.1:
	s_add_i32 s12, s6, 1
	s_mov_b32 s13, 0
	s_lshl_b64 s[14:15], s[12:13], 2
	s_add_u32 s14, s0, s14
	s_mov_b32 s7, s13
	s_addc_u32 s15, s1, s15
	s_lshl_b64 s[12:13], s[6:7], 2
	s_add_u32 s12, s0, s12
	s_addc_u32 s13, s1, s13
	s_load_dword s9, s[14:15], 0x0
	s_load_dword s16, s[12:13], 0x0
	s_waitcnt lgkmcnt(0)
	s_sub_i32 s9, s9, s16
	s_cmp_eq_u32 s9, 1
	s_cselect_b64 s[12:13], -1, 0
	s_andn2_b64 vcc, exec, s[10:11]
	s_cbranch_vccnz .LBB328_3
.LBB328_2:
	s_mov_b32 s7, 0
	s_mov_b64 s[12:13], -1
.LBB328_3:
	s_andn2_b64 vcc, exec, s[12:13]
	s_cbranch_vccnz .LBB328_18
; %bb.4:
	s_load_dwordx2 s[12:13], s[4:5], 0x28
	s_lshl_b64 s[10:11], s[6:7], 2
	s_waitcnt lgkmcnt(0)
	s_add_u32 s12, s12, s10
	s_addc_u32 s13, s13, s11
	s_load_dword s38, s[12:13], 0x0
	s_lshl_b32 s9, s26, 8
	s_waitcnt lgkmcnt(0)
	s_cmp_ge_i32 s9, s38
	s_cbranch_scc1 .LBB328_18
; %bb.5:
	s_add_i32 s15, s38, 15
	s_load_dwordx2 s[12:13], s[4:5], 0x20
	s_load_dword s14, s[4:5], 0x38
	s_ashr_i32 s16, s15, 31
	v_and_b32_e32 v1, 0xcf, v0
	s_lshr_b32 s16, s16, 28
	v_add_u32_e32 v1, s9, v1
	s_add_i32 s15, s15, s16
	v_ashrrev_i32_e32 v2, 31, v1
	s_ashr_i32 s18, s15, 4
	v_lshrrev_b32_e32 v6, 28, v2
	s_add_i32 s18, s18, -1
	v_add_u32_e32 v2, v1, v6
	s_waitcnt lgkmcnt(0)
	s_mul_i32 s14, s6, s14
	s_mov_b32 s15, 0
	v_ashrrev_i32_e32 v2, 4, v2
	v_mov_b32_e32 v7, s18
	v_cmp_gt_i32_e32 vcc, s38, v1
	s_lshl_b64 s[14:15], s[14:15], 2
	v_cndmask_b32_e32 v2, v7, v2, vcc
	s_add_u32 s16, s12, s14
	v_ashrrev_i32_e32 v3, 31, v2
	s_addc_u32 s17, s13, s15
	v_lshlrev_b64 v[2:3], 2, v[2:3]
	v_mov_b32_e32 v5, s17
	v_add_co_u32_e32 v4, vcc, s16, v2
	v_or_b32_e32 v2, 16, v1
	v_addc_co_u32_e32 v5, vcc, v5, v3, vcc
	v_add_u32_e32 v3, v2, v6
	v_ashrrev_i32_e32 v3, 4, v3
	v_cmp_gt_i32_e32 vcc, s38, v2
	v_cndmask_b32_e32 v2, v7, v3, vcc
	v_ashrrev_i32_e32 v3, 31, v2
	v_lshlrev_b64 v[2:3], 2, v[2:3]
	v_mov_b32_e32 v9, s17
	v_add_co_u32_e32 v8, vcc, s16, v2
	v_or_b32_e32 v2, 32, v1
	v_addc_co_u32_e32 v9, vcc, v9, v3, vcc
	v_add_u32_e32 v3, v2, v6
	v_ashrrev_i32_e32 v3, 4, v3
	v_cmp_gt_i32_e32 vcc, s38, v2
	v_cndmask_b32_e32 v2, v7, v3, vcc
	v_ashrrev_i32_e32 v3, 31, v2
	;; [unrolled: 10-line block ×3, first 2 shown]
	v_lshlrev_b64 v[2:3], 2, v[2:3]
	v_mov_b32_e32 v1, s17
	v_add_co_u32_e32 v12, vcc, s16, v2
	v_addc_co_u32_e32 v13, vcc, v1, v3, vcc
	global_load_dword v3, v[4:5], off
	global_load_dword v2, v[8:9], off
	;; [unrolled: 1-line block ×4, first 2 shown]
	s_load_dwordx4 s[12:15], s[4:5], 0x8
	s_andn2_b64 vcc, exec, s[2:3]
	s_cbranch_vccnz .LBB328_8
; %bb.6:
	s_add_u32 s0, s0, s10
	s_addc_u32 s1, s1, s11
	s_load_dword s19, s[0:1], 0x0
	s_branch .LBB328_9
.LBB328_7:
	s_mov_b64 s[12:13], 0
	s_branch .LBB328_2
.LBB328_8:
	s_mov_b32 s19, s6
.LBB328_9:
	s_load_dwordx4 s[0:3], s[4:5], 0x48
	v_lshrrev_b32_e32 v85, 6, v0
	v_bfe_u32 v1, v0, 4, 2
	v_and_b32_e32 v83, 15, v0
	v_lshl_or_b32 v4, v85, 2, v1
	v_lshlrev_b32_e32 v5, 3, v83
	v_and_b32_e32 v86, 63, v0
	s_mul_i32 s27, s8, 5
	v_cmp_gt_u32_e32 vcc, 5, v4
	v_lshlrev_b32_e32 v5, 1, v5
	buffer_store_dword v5, off, s[44:47], 0 ; 4-byte Folded Spill
	s_and_saveexec_b64 s[10:11], vcc
	s_cbranch_execz .LBB328_11
; %bb.10:
	s_load_dwordx2 s[20:21], s[4:5], 0x0
	s_waitcnt lgkmcnt(0)
	s_ashr_i32 s3, s0, 31
	s_mul_hi_u32 s22, s19, s0
	s_mul_i32 s3, s19, s3
	s_add_i32 s23, s22, s3
	s_mul_i32 s22, s19, s0
	v_add_lshl_u32 v8, v4, s27, 7
	s_lshl_b64 s[22:23], s[22:23], 1
	v_ashrrev_i32_e32 v9, 31, v8
	s_add_u32 s0, s20, s22
	v_lshlrev_b64 v[8:9], 1, v[8:9]
	v_add_co_u32_e32 v7, vcc, s0, v8
	buffer_load_dword v8, off, s[44:47], 0  ; 4-byte Folded Reload
	s_addc_u32 s3, s21, s23
	v_mov_b32_e32 v5, s3
	v_addc_co_u32_e32 v5, vcc, v5, v9, vcc
	v_lshlrev_b32_e32 v4, 5, v4
	s_waitcnt vmcnt(0)
	v_add_co_u32_e32 v8, vcc, v7, v8
	v_addc_co_u32_e32 v9, vcc, 0, v5, vcc
	global_load_dwordx4 v[8:11], v[8:9], off
	v_and_b32_e32 v5, 3, v0
	v_lshlrev_b32_e32 v7, 9, v83
	v_lshlrev_b32_e32 v5, 9, v5
	v_and_b32_e32 v7, 0x1800, v7
	v_or3_b32 v4, v7, v5, v4
	s_waitcnt vmcnt(0)
	ds_write_b128 v4, v[8:11]
.LBB328_11:
	s_or_b64 exec, exec, s[10:11]
	s_waitcnt lgkmcnt(0)
	s_mul_i32 s2, s8, s2
	s_mov_b32 s3, 0
	s_lshl_b64 s[2:3], s[2:3], 1
	s_add_u32 s8, s12, s2
	v_lshlrev_b32_e32 v7, 4, v0
	s_addc_u32 s10, s13, s3
	v_and_b32_e32 v4, 0xf0, v7
	v_mov_b32_e32 v5, s10
	v_add_co_u32_e32 v29, vcc, s8, v4
	v_addc_co_u32_e32 v30, vcc, 0, v5, vcc
	s_waitcnt vmcnt(4)
	v_mad_i64_i32 v[4:5], s[10:11], v3, s1, 0
	v_lshlrev_b64 v[4:5], 1, v[4:5]
	v_add_co_u32_e32 v3, vcc, v29, v4
	v_addc_co_u32_e32 v4, vcc, v30, v5, vcc
	v_and_b32_e32 v31, 0x300, v7
	v_add_co_u32_e32 v22, vcc, v3, v31
	v_addc_co_u32_e32 v23, vcc, 0, v4, vcc
	s_load_dword s33, s[4:5], 0x98
	s_load_dword s0, s[4:5], 0x1c
	s_waitcnt lgkmcnt(0)
	s_barrier
	global_load_dwordx4 v[10:13], v[22:23], off
	global_load_dwordx4 v[18:21], v[22:23], off offset:1024
	s_waitcnt vmcnt(5)
	v_mad_i64_i32 v[2:3], s[10:11], v2, s1, 0
	v_lshlrev_b64 v[2:3], 1, v[2:3]
	v_add_co_u32_e32 v2, vcc, v29, v2
	v_addc_co_u32_e32 v3, vcc, v30, v3, vcc
	v_add_co_u32_e32 v24, vcc, v2, v31
	v_addc_co_u32_e32 v25, vcc, 0, v3, vcc
	global_load_dwordx4 v[14:17], v[24:25], off
	global_load_dwordx4 v[38:41], v[24:25], off offset:1024
	v_mul_lo_u16_e32 v2, 52, v83
	v_mov_b32_e32 v3, 5
	v_mul_lo_u16_sdwa v2, v2, v3 dst_sel:DWORD dst_unused:UNUSED_PAD src0_sel:BYTE_1 src1_sel:DWORD
	v_sub_u16_e32 v2, v83, v2
	v_lshlrev_b32_sdwa v2, v3, v2 dst_sel:DWORD dst_unused:UNUSED_PAD src0_sel:DWORD src1_sel:BYTE_0
	v_lshl_add_u32 v32, v1, 9, v2
	ds_read_b128 v[2:5], v32
	s_waitcnt vmcnt(6)
	v_mad_i64_i32 v[6:7], s[10:11], v6, s1, 0
	v_lshlrev_b64 v[26:27], 1, v[6:7]
	ds_read_b128 v[6:9], v32 offset:2048
	v_and_or_b32 v62, v0, 48, s9
	v_mov_b32_e32 v63, s18
	v_mov_b32_e32 v68, s17
	s_add_u32 s8, s14, s2
	v_lshl_or_b32 v87, v85, 4, v83
	v_lshlrev_b32_e32 v76, 5, v87
	s_mov_b32 s40, 0xff7fffff
	s_waitcnt vmcnt(3) lgkmcnt(1)
	v_mfma_f32_16x16x16bf16_1k v[34:37], v[10:11], v[2:3], 0
	v_add_co_u32_e32 v10, vcc, v29, v26
	v_addc_co_u32_e32 v11, vcc, v30, v27, vcc
	v_add_co_u32_e32 v26, vcc, v10, v31
	v_addc_co_u32_e32 v27, vcc, 0, v11, vcc
	global_load_dwordx4 v[46:49], v[26:27], off
	global_load_dwordx4 v[58:61], v[26:27], off offset:1024
	s_waitcnt vmcnt(3)
	v_mfma_f32_16x16x16bf16_1k v[42:45], v[14:15], v[2:3], 0
	v_cmp_gt_i32_e32 vcc, s38, v62
	v_mfma_f32_16x16x16bf16_1k v[14:17], v[16:17], v[4:5], v[42:45]
	s_nop 7
	s_nop 0
	global_load_dwordx4 v[42:45], v[22:23], off offset:2048
	v_mfma_f32_16x16x16bf16_1k v[10:13], v[12:13], v[4:5], v[34:37]
	s_waitcnt vmcnt(3) lgkmcnt(0)
	v_mfma_f32_16x16x16bf16_1k v[14:17], v[38:39], v[6:7], v[14:17]
	v_mfma_f32_16x16x16bf16_1k v[10:13], v[18:19], v[6:7], v[10:13]
	;; [unrolled: 1-line block ×3, first 2 shown]
	global_load_dwordx4 v[38:41], v[22:23], off offset:3072
	v_mfma_f32_16x16x16bf16_1k v[18:21], v[20:21], v[8:9], v[10:13]
	s_waitcnt vmcnt(3)
	v_mfma_f32_16x16x16bf16_1k v[50:53], v[46:47], v[2:3], 0
	v_mfma_f32_16x16x16bf16_1k v[34:37], v[48:49], v[4:5], v[50:53]
	global_load_dwordx4 v[46:49], v[24:25], off offset:2048
	s_nop 3
	ds_read_b128 v[10:13], v32 offset:4096
	s_nop 3
	ds_read_b128 v[50:53], v32 offset:6144
	global_load_dwordx4 v[22:25], v[24:25], off offset:3072
	v_mad_i64_i32 v[32:33], s[10:11], v28, s1, 0
	v_mov_b32_e32 v28, s17
	s_addc_u32 s10, s15, s3
	s_waitcnt vmcnt(3) lgkmcnt(1)
	v_mfma_f32_16x16x16bf16_1k v[18:21], v[42:43], v[10:11], v[18:21]
	v_mfma_f32_16x16x16bf16_1k v[18:21], v[44:45], v[12:13], v[18:21]
	global_load_dwordx4 v[42:45], v[26:27], off offset:2048
	s_waitcnt vmcnt(3) lgkmcnt(0)
	v_mfma_f32_16x16x16bf16_1k v[18:21], v[38:39], v[50:51], v[18:21]
	v_or_b32_e32 v38, 64, v62
	v_ashrrev_i32_e32 v39, 4, v38
	v_mfma_f32_16x16x16bf16_1k v[54:57], v[40:41], v[52:53], v[18:21]
	s_waitcnt vmcnt(2)
	v_mfma_f32_16x16x16bf16_1k v[14:17], v[46:47], v[10:11], v[14:17]
	v_mfma_f32_16x16x16bf16_1k v[14:17], v[48:49], v[12:13], v[14:17]
	global_load_dwordx4 v[46:49], v[26:27], off offset:3072
	v_lshlrev_b64 v[26:27], 1, v[32:33]
	v_ashrrev_i32_e32 v32, 4, v62
	v_cndmask_b32_e32 v32, v63, v32, vcc
	v_ashrrev_i32_e32 v33, 31, v32
	v_cmp_gt_i32_e32 vcc, s38, v38
	v_cndmask_b32_e32 v38, v63, v39, vcc
	s_waitcnt vmcnt(2)
	v_mfma_f32_16x16x16bf16_1k v[14:17], v[22:23], v[50:51], v[14:17]
	v_lshlrev_b64 v[22:23], 2, v[32:33]
	v_add_co_u32_e32 v22, vcc, s16, v22
	v_addc_co_u32_e32 v23, vcc, v28, v23, vcc
	v_add_co_u32_e32 v18, vcc, v29, v26
	v_addc_co_u32_e32 v19, vcc, v30, v27, vcc
	;; [unrolled: 2-line block ×3, first 2 shown]
	v_mfma_f32_16x16x16bf16_1k v[64:67], v[24:25], v[52:53], v[14:17]
	global_load_dword v30, v[22:23], off
	v_ashrrev_i32_e32 v39, 31, v38
	v_lshlrev_b64 v[32:33], 2, v[38:39]
	v_add_co_u32_e32 v18, vcc, s16, v32
	v_addc_co_u32_e32 v19, vcc, v68, v33, vcc
	s_nop 1
	global_load_dwordx4 v[14:17], v[26:27], off
	global_load_dword v31, v[18:19], off
	s_nop 0
	global_load_dwordx4 v[18:21], v[26:27], off offset:1024
	global_load_dwordx4 v[68:71], v[26:27], off offset:2048
	;; [unrolled: 1-line block ×3, first 2 shown]
	v_mfma_f32_16x16x16bf16_1k v[22:25], v[58:59], v[6:7], v[34:37]
	v_or_b32_e32 v28, 0x80, v62
	v_ashrrev_i32_e32 v29, 4, v28
	v_cmp_gt_i32_e32 vcc, s38, v28
	v_cndmask_b32_e32 v28, v63, v29, vcc
	v_ashrrev_i32_e32 v29, 31, v28
	v_lshlrev_b64 v[28:29], 2, v[28:29]
	v_mov_b32_e32 v32, s17
	v_mfma_f32_16x16x16bf16_1k v[22:25], v[60:61], v[8:9], v[22:25]
	v_add_co_u32_e32 v28, vcc, s16, v28
	v_addc_co_u32_e32 v29, vcc, v32, v29, vcc
	global_load_dword v32, v[28:29], off
	v_or_b32_e32 v28, 0xc0, v62
	v_ashrrev_i32_e32 v29, 4, v28
	v_cmp_gt_i32_e32 vcc, s38, v28
	v_cndmask_b32_e32 v28, v63, v29, vcc
	v_ashrrev_i32_e32 v29, 31, v28
	v_lshlrev_b64 v[28:29], 2, v[28:29]
	s_waitcnt vmcnt(8)
	v_mfma_f32_16x16x16bf16_1k v[22:25], v[42:43], v[10:11], v[22:25]
	v_mov_b32_e32 v33, s17
	v_add_co_u32_e32 v28, vcc, s16, v28
	v_addc_co_u32_e32 v29, vcc, v33, v29, vcc
	global_load_dword v58, v[28:29], off
	v_mov_b32_e32 v26, s10
	v_mfma_f32_16x16x16bf16_1k v[22:25], v[44:45], v[12:13], v[22:25]
	v_add_co_u32_e32 v77, vcc, s8, v76
	v_addc_co_u32_e32 v78, vcc, 0, v26, vcc
	v_pk_mul_f32 v[80:81], s[0:1], v[66:67] op_sel_hi:[0,1]
	s_waitcnt vmcnt(8)
	v_mfma_f32_16x16x16bf16_1k v[22:25], v[46:47], v[50:51], v[22:25]
	v_mfma_f32_16x16x16bf16_1k v[88:91], v[48:49], v[52:53], v[22:25]
	s_waitcnt vmcnt(7)
	s_nop 7
	s_nop 0
	v_mad_i64_i32 v[22:23], s[2:3], v30, s1, 0
	v_lshlrev_b64 v[62:63], 1, v[22:23]
	s_waitcnt vmcnt(6)
	v_mfma_f32_16x16x16bf16_1k v[22:25], v[14:15], v[2:3], 0
	v_add_co_u32_e32 v2, vcc, v77, v62
	v_addc_co_u32_e32 v3, vcc, v78, v63, vcc
	global_load_dwordx4 v[46:49], v[2:3], off
	global_load_dwordx4 v[42:45], v[2:3], off offset:16
	s_waitcnt vmcnt(7)
	v_mad_i64_i32 v[2:3], s[2:3], v31, s1, 0
	v_lshlrev_b64 v[14:15], 1, v[2:3]
	v_mfma_f32_16x16x16bf16_1k v[2:5], v[16:17], v[4:5], v[22:25]
	v_add_co_u32_e32 v16, vcc, v77, v14
	v_addc_co_u32_e32 v17, vcc, v78, v15, vcc
	global_load_dwordx4 v[38:41], v[16:17], off
	global_load_dwordx4 v[34:37], v[16:17], off offset:16
	s_waitcnt vmcnt(5)
	v_mad_i64_i32 v[16:17], s[2:3], v32, s1, 0
	v_mfma_f32_16x16x16bf16_1k v[2:5], v[18:19], v[6:7], v[2:5]
	v_lshlrev_b64 v[60:61], 1, v[16:17]
	v_add_co_u32_e32 v6, vcc, v77, v60
	v_addc_co_u32_e32 v7, vcc, v78, v61, vcc
	global_load_dwordx4 v[30:33], v[6:7], off
	global_load_dwordx4 v[26:29], v[6:7], off offset:16
	s_waitcnt vmcnt(6)
	v_mad_i64_i32 v[6:7], s[2:3], v58, s1, 0
	v_mfma_f32_16x16x16bf16_1k v[2:5], v[20:21], v[8:9], v[2:5]
	v_lshlrev_b64 v[58:59], 1, v[6:7]
	v_add_co_u32_e32 v6, vcc, v77, v58
	v_addc_co_u32_e32 v7, vcc, v78, v59, vcc
	global_load_dwordx4 v[22:25], v[6:7], off
	global_load_dwordx4 v[18:21], v[6:7], off offset:16
	v_or_b32_e32 v6, 0x800, v76
	v_mfma_f32_16x16x16bf16_1k v[2:5], v[68:69], v[10:11], v[2:5]
	v_mov_b32_e32 v7, s10
	v_add_co_u32_e32 v68, vcc, s8, v6
	v_addc_co_u32_e32 v69, vcc, 0, v7, vcc
	v_pk_mul_f32 v[78:79], s[0:1], v[56:57] op_sel_hi:[0,1]
	v_pk_mul_f32 v[76:77], s[0:1], v[90:91] op_sel_hi:[0,1]
	v_mfma_f32_16x16x16bf16_1k v[10:13], v[70:71], v[12:13], v[2:5]
	v_pk_mul_f32 v[70:71], s[0:1], v[64:65] op_sel_hi:[0,1]
	v_mfma_f32_16x16x16bf16_1k v[92:95], v[72:73], v[50:51], v[10:13]
	s_nop 4
	v_add_co_u32_e32 v2, vcc, v68, v62
	v_addc_co_u32_e32 v3, vcc, v69, v63, vcc
	v_add_co_u32_e32 v62, vcc, v68, v14
	v_addc_co_u32_e32 v63, vcc, v69, v15, vcc
	v_mfma_f32_16x16x16bf16_1k v[50:53], v[74:75], v[52:53], v[92:95]
	global_load_dwordx4 v[6:9], v[2:3], off
	s_nop 0
	global_load_dwordx4 v[2:5], v[2:3], off offset:16
	s_nop 0
	global_load_dwordx4 v[14:17], v[62:63], off
	global_load_dwordx4 v[10:13], v[62:63], off offset:16
	v_pk_mul_f32 v[62:63], s[0:1], v[54:55] op_sel_hi:[0,1]
	v_pk_mul_f32 v[72:73], s[0:1], v[88:89] op_sel_hi:[0,1]
	s_nop 2
	v_pk_mul_f32 v[74:75], s[0:1], v[50:51] op_sel_hi:[0,1]
	v_and_b32_e32 v50, 0xc0, v0
	v_add_u32_e32 v50, s9, v50
	v_lshl_or_b32 v50, v1, 2, v50
	v_pk_mul_f32 v[66:67], s[0:1], v[52:53] op_sel_hi:[0,1]
	v_or_b32_e32 v53, 1, v50
	v_mov_b32_e32 v51, 0xff7fffff
	v_cmp_gt_i32_e64 s[28:29], s38, v50
	v_cmp_gt_i32_e64 s[30:31], s38, v53
	v_cndmask_b32_e64 v52, v51, v62, s[28:29]
	v_cndmask_b32_e64 v53, v51, v63, s[30:31]
	v_max3_f32 v52, v52, s40, v53
	v_or_b32_e32 v53, 2, v50
	v_or_b32_e32 v54, 3, v50
	v_cmp_gt_i32_e64 s[34:35], s38, v53
	v_cmp_gt_i32_e64 s[36:37], s38, v54
	v_cndmask_b32_e64 v53, v51, v78, s[34:35]
	v_cndmask_b32_e64 v54, v51, v79, s[36:37]
	v_max3_f32 v52, v52, v53, v54
	v_or_b32_e32 v53, 16, v50
	v_or_b32_e32 v54, 17, v50
	;; [unrolled: 7-line block ×7, first 2 shown]
	v_cmp_gt_i32_e32 vcc, s38, v53
	v_cmp_gt_i32_e64 s[0:1], s38, v50
	v_cndmask_b32_e32 v53, v51, v66, vcc
	v_cndmask_b32_e64 v50, v51, v67, s[0:1]
	v_max3_f32 v64, v52, v53, v50
	v_mbcnt_lo_u32_b32 v50, -1, 0
	v_mbcnt_hi_u32_b32 v65, -1, v50
	v_and_b32_e32 v50, 64, v65
	v_add_u32_e32 v88, 64, v50
	v_xor_b32_e32 v50, 32, v65
	v_cmp_lt_i32_e64 s[38:39], v50, v88
	v_cndmask_b32_e64 v50, v65, v50, s[38:39]
	v_lshlrev_b32_e32 v89, 2, v50
	ds_bpermute_b32 v90, v89, v64
	v_add_co_u32_e64 v50, s[38:39], v68, v60
	v_addc_co_u32_e64 v51, s[38:39], v69, v61, s[38:39]
	v_xor_b32_e32 v61, 16, v65
	v_cmp_lt_i32_e64 s[38:39], v61, v88
	s_waitcnt lgkmcnt(0)
	v_max_f32_e32 v60, v90, v90
	v_cndmask_b32_e64 v61, v65, v61, s[38:39]
	v_max_f32_e32 v60, v64, v60
	v_lshlrev_b32_e32 v90, 2, v61
	ds_bpermute_b32 v61, v90, v60
	v_add_co_u32_e64 v58, s[38:39], v68, v58
	v_addc_co_u32_e64 v59, s[38:39], v69, v59, s[38:39]
	s_waitcnt lgkmcnt(0)
	v_max_f32_e32 v61, v61, v61
	v_max_f32_e32 v88, v60, v61
	v_sub_f32_e32 v60, v62, v88
	v_mul_f32_e32 v60, 0x3fb8aa3b, v60
	v_exp_f32_e32 v68, v60
	v_sub_f32_e32 v60, v63, v88
	v_mul_f32_e32 v60, 0x3fb8aa3b, v60
	global_load_dwordx4 v[54:57], v[50:51], off
	s_nop 0
	global_load_dwordx4 v[50:53], v[50:51], off offset:16
	v_exp_f32_e32 v69, v60
	global_load_dwordx4 v[62:65], v[58:59], off
	s_nop 0
	global_load_dwordx4 v[58:61], v[58:59], off offset:16
	v_sub_f32_e32 v78, v78, v88
	v_mul_f32_e32 v78, 0x3fb8aa3b, v78
	v_sub_f32_e32 v79, v79, v88
	v_exp_f32_e32 v78, v78
	v_mul_f32_e32 v79, 0x3fb8aa3b, v79
	v_sub_f32_e32 v70, v70, v88
	v_exp_f32_e32 v79, v79
	v_mul_f32_e32 v70, 0x3fb8aa3b, v70
	v_sub_f32_e32 v71, v71, v88
	v_cndmask_b32_e64 v68, 0, v68, s[28:29]
	v_exp_f32_e32 v70, v70
	v_mul_f32_e32 v71, 0x3fb8aa3b, v71
	v_sub_f32_e32 v80, v80, v88
	v_add_f32_e32 v91, 0, v68
	v_cndmask_b32_e64 v69, 0, v69, s[30:31]
	v_exp_f32_e32 v71, v71
	v_mul_f32_e32 v80, 0x3fb8aa3b, v80
	v_sub_f32_e32 v81, v81, v88
	v_add_f32_e32 v91, v91, v69
	;; [unrolled: 5-line block ×10, first 2 shown]
	v_cndmask_b32_e64 v76, 0, v76, s[10:11]
	v_exp_f32_e32 v66, v66
	v_mul_f32_e32 v67, 0x3fb8aa3b, v67
	v_add_f32_e32 v91, v91, v76
	v_cndmask_b32_e64 v77, 0, v77, s[12:13]
	v_exp_f32_e32 v67, v67
	v_add_f32_e32 v91, v91, v77
	v_cndmask_b32_e64 v74, 0, v74, s[2:3]
	v_add_f32_e32 v91, v91, v74
	v_cndmask_b32_e64 v75, 0, v75, s[8:9]
	v_add_f32_e32 v91, v91, v75
	v_cndmask_b32_e32 v66, 0, v66, vcc
	v_add_f32_e32 v91, v91, v66
	v_cndmask_b32_e64 v67, 0, v67, s[0:1]
	v_add_f32_e32 v91, v91, v67
	ds_bpermute_b32 v89, v89, v91
	v_cmp_gt_u32_e64 s[0:1], 16, v86
	s_waitcnt lgkmcnt(0)
	s_barrier
	v_add_f32_e32 v89, v91, v89
	ds_bpermute_b32 v90, v90, v89
	s_and_saveexec_b64 s[2:3], s[0:1]
	s_cbranch_execz .LBB328_13
; %bb.12:
	s_waitcnt lgkmcnt(0)
	v_add_f32_e32 v86, v89, v90
	v_lshlrev_b32_e32 v87, 2, v87
	ds_write2st64_b32 v87, v88, v86 offset1:1
.LBB328_13:
	s_or_b64 exec, exec, s[2:3]
	v_lshlrev_b32_e32 v87, 2, v83
	s_load_dword s8, s[4:5], 0x94
	s_waitcnt lgkmcnt(0)
	s_barrier
	ds_read2_b32 v[88:89], v87 offset1:16
	ds_read2_b32 v[90:91], v87 offset0:32 offset1:48
	ds_read2_b32 v[92:93], v87 offset0:64 offset1:80
	s_movk_i32 s10, 0x7fff
	s_mov_b32 s11, 0x7060302
	s_waitcnt lgkmcnt(2)
	v_max3_f32 v86, v88, s40, v89
	s_waitcnt lgkmcnt(1)
	v_max3_f32 v86, v86, v90, v91
	v_sub_f32_e32 v88, v88, v86
	v_mul_f32_e32 v88, 0x3fb8aa3b, v88
	v_exp_f32_e32 v94, v88
	v_sub_f32_e32 v88, v89, v86
	v_mul_f32_e32 v88, 0x3fb8aa3b, v88
	v_exp_f32_e32 v95, v88
	;; [unrolled: 3-line block ×3, first 2 shown]
	ds_read2_b32 v[88:89], v87 offset0:96 offset1:112
	v_sub_f32_e32 v87, v91, v86
	v_mul_f32_e32 v87, 0x3fb8aa3b, v87
	v_exp_f32_e32 v91, v87
	s_waitcnt lgkmcnt(1)
	v_fma_f32 v87, v94, v92, 0
	v_fmac_f32_e32 v87, v95, v93
	s_waitcnt lgkmcnt(0)
	v_fmac_f32_e32 v87, v90, v88
	v_fmac_f32_e32 v87, v91, v89
	v_add_f32_e32 v88, 0x358637bd, v87
	v_div_scale_f32 v89, s[2:3], v88, v88, 1.0
	v_rcp_f32_e32 v92, v89
	s_barrier
	v_fma_f32 v93, -v89, v92, 1.0
	v_fmac_f32_e32 v92, v93, v92
	v_div_scale_f32 v93, vcc, 1.0, v88, 1.0
	v_mul_f32_e32 v82, v93, v92
	v_fma_f32 v84, -v89, v82, v93
	v_fmac_f32_e32 v82, v84, v92
	v_fma_f32 v84, -v89, v82, v93
	v_div_fmas_f32 v82, v84, v92, v82
	v_cmp_eq_u32_e32 vcc, 1, v85
	v_cndmask_b32_e32 v84, v94, v95, vcc
	v_cmp_eq_u32_e32 vcc, 2, v85
	v_cndmask_b32_e32 v84, v84, v90, vcc
	v_cmp_eq_u32_e32 vcc, 3, v85
	v_div_fixup_f32 v82, v82, v88, 1.0
	v_cndmask_b32_e32 v84, v84, v91, vcc
	v_mul_f32_e32 v88, v84, v82
	v_pk_mul_f32 v[68:69], v[88:89], v[68:69] op_sel_hi:[0,1]
	v_bfe_u32 v82, v69, 16, 1
	v_bfe_u32 v84, v68, 16, 1
	v_pk_mul_f32 v[78:79], v[88:89], v[78:79] op_sel_hi:[0,1]
	v_add3_u32 v68, v68, v84, s10
	v_add3_u32 v69, v69, v82, s10
	v_perm_b32 v90, v69, v68, s11
	v_bfe_u32 v68, v79, 16, 1
	v_bfe_u32 v69, v78, 16, 1
	v_add3_u32 v69, v78, v69, s10
	v_add3_u32 v68, v79, v68, s10
	v_perm_b32 v91, v68, v69, s11
	v_lshlrev_b32_e32 v69, 3, v1
	v_lshlrev_b32_e32 v68, 5, v83
	;; [unrolled: 1-line block ×3, first 2 shown]
	v_pk_mul_f32 v[70:71], v[88:89], v[70:71] op_sel_hi:[0,1]
	v_or3_b32 v78, v78, v68, v69
	v_bfe_u32 v69, v71, 16, 1
	v_bfe_u32 v79, v70, 16, 1
	v_pk_mul_f32 v[80:81], v[88:89], v[80:81] op_sel_hi:[0,1]
	v_add3_u32 v70, v70, v79, s10
	v_add3_u32 v69, v71, v69, s10
	v_perm_b32 v70, v69, v70, s11
	v_bfe_u32 v69, v81, 16, 1
	v_bfe_u32 v71, v80, 16, 1
	v_add3_u32 v71, v80, v71, s10
	v_add3_u32 v69, v81, v69, s10
	v_perm_b32 v71, v69, v71, s11
	v_pk_mul_f32 v[72:73], v[88:89], v[72:73] op_sel_hi:[0,1]
	ds_write2st64_b64 v78, v[90:91], v[70:71] offset1:1
	v_pk_mul_f32 v[70:71], v[88:89], v[76:77] op_sel_hi:[0,1]
	v_bfe_u32 v69, v73, 16, 1
	v_bfe_u32 v76, v72, 16, 1
	v_add3_u32 v72, v72, v76, s10
	v_add3_u32 v69, v73, v69, s10
	v_perm_b32 v72, v69, v72, s11
	v_bfe_u32 v69, v71, 16, 1
	v_bfe_u32 v73, v70, 16, 1
	v_add3_u32 v70, v70, v73, s10
	v_add3_u32 v69, v71, v69, s10
	v_perm_b32 v73, v69, v70, s11
	v_pk_mul_f32 v[70:71], v[88:89], v[74:75] op_sel_hi:[0,1]
	v_bfe_u32 v69, v71, 16, 1
	v_bfe_u32 v74, v70, 16, 1
	v_pk_mul_f32 v[66:67], v[88:89], v[66:67] op_sel_hi:[0,1]
	v_add3_u32 v70, v70, v74, s10
	v_add3_u32 v69, v71, v69, s10
	v_perm_b32 v70, v69, v70, s11
	v_bfe_u32 v69, v67, 16, 1
	v_bfe_u32 v71, v66, 16, 1
	v_add3_u32 v66, v66, v71, s10
	v_add3_u32 v67, v67, v69, s10
	s_mul_i32 s9, s33, 5
	v_perm_b32 v71, v67, v66, s11
	v_cmp_gt_u32_e32 vcc, 5, v0
	ds_write2st64_b64 v78, v[72:73], v[70:71] offset0:2 offset1:3
	s_and_saveexec_b64 s[2:3], vcc
	s_cbranch_execz .LBB328_15
; %bb.14:
	v_add_co_u32_e32 v70, vcc, s27, v83
	v_addc_co_u32_e64 v71, s[16:17], 0, 0, vcc
	v_mov_b32_e32 v66, s9
	v_mov_b32_e32 v67, 0
	v_mad_u64_u32 v[70:71], s[16:17], s6, v66, v[70:71]
	v_mov_b32_e32 v66, s26
	s_load_dwordx4 s[12:15], s[4:5], 0x58
	s_mul_i32 s7, s7, s9
	v_mad_u64_u32 v[66:67], s[16:17], v70, s8, v[66:67]
	v_add_u32_e32 v69, s7, v71
	v_mov_b32_e32 v70, v67
	v_mad_u64_u32 v[70:71], s[16:17], v69, s8, v[70:71]
	v_mov_b32_e32 v67, v70
	v_lshlrev_b64 v[66:67], 2, v[66:67]
	s_waitcnt lgkmcnt(0)
	v_mov_b32_e32 v69, s15
	v_add_co_u32_e32 v70, vcc, s14, v66
	v_addc_co_u32_e32 v71, vcc, v69, v67, vcc
	v_mov_b32_e32 v69, s13
	v_add_co_u32_e32 v66, vcc, s12, v66
	v_addc_co_u32_e32 v67, vcc, v69, v67, vcc
	global_store_dword v[70:71], v86, off
	global_store_dword v[66:67], v87, off
.LBB328_15:
	s_or_b64 exec, exec, s[2:3]
	v_lshl_or_b32 v79, v1, 9, v68
	s_waitcnt lgkmcnt(0)
	s_barrier
	ds_read_b128 v[70:73], v79
	ds_read_b128 v[66:69], v79 offset:16
	s_waitcnt vmcnt(15) lgkmcnt(1)
	v_mfma_f32_16x16x16bf16_1k v[74:77], v[46:47], v[70:71], 0
	s_mov_b32 s3, 0
	v_cmp_gt_u32_e32 vcc, 64, v0
	v_mfma_f32_16x16x16bf16_1k v[46:49], v[48:49], v[72:73], v[74:77]
	s_waitcnt vmcnt(14) lgkmcnt(0)
	v_mfma_f32_16x16x16bf16_1k v[46:49], v[42:43], v[66:67], v[46:49]
	v_mfma_f32_16x16x16bf16_1k v[42:45], v[44:45], v[68:69], v[46:49]
	s_nop 7
	s_nop 1
	ds_read_b128 v[46:49], v79 offset:2048
	ds_read_b128 v[74:77], v79 offset:2064
	s_waitcnt vmcnt(13) lgkmcnt(1)
	v_mfma_f32_16x16x16bf16_1k v[42:45], v[38:39], v[46:47], v[42:45]
	v_mfma_f32_16x16x16bf16_1k v[38:41], v[40:41], v[48:49], v[42:45]
	s_waitcnt vmcnt(12) lgkmcnt(0)
	v_mfma_f32_16x16x16bf16_1k v[38:41], v[34:35], v[74:75], v[38:41]
	v_mfma_f32_16x16x16bf16_1k v[34:37], v[36:37], v[76:77], v[38:41]
	s_nop 7
	s_nop 1
	ds_read_b128 v[38:41], v79 offset:4096
	ds_read_b128 v[42:45], v79 offset:4112
	s_waitcnt vmcnt(11) lgkmcnt(1)
	v_mfma_f32_16x16x16bf16_1k v[34:37], v[30:31], v[38:39], v[34:37]
	v_mfma_f32_16x16x16bf16_1k v[30:33], v[32:33], v[40:41], v[34:37]
	s_waitcnt vmcnt(10) lgkmcnt(0)
	v_mfma_f32_16x16x16bf16_1k v[30:33], v[26:27], v[42:43], v[30:33]
	v_mfma_f32_16x16x16bf16_1k v[26:29], v[28:29], v[44:45], v[30:33]
	s_nop 7
	s_nop 1
	ds_read_b128 v[30:33], v79 offset:6144
	ds_read_b128 v[34:37], v79 offset:6160
	s_waitcnt lgkmcnt(0)
	s_barrier
	s_waitcnt vmcnt(9)
	v_mfma_f32_16x16x16bf16_1k v[26:29], v[22:23], v[30:31], v[26:29]
	v_mfma_f32_16x16x16bf16_1k v[22:25], v[24:25], v[32:33], v[26:29]
	s_waitcnt vmcnt(8)
	v_mfma_f32_16x16x16bf16_1k v[22:25], v[18:19], v[34:35], v[22:25]
	v_mfma_f32_16x16x16bf16_1k v[18:21], v[20:21], v[36:37], v[22:25]
	;; [unrolled: 3-line block ×4, first 2 shown]
	s_waitcnt vmcnt(5)
	v_mfma_f32_16x16x16bf16_1k v[2:5], v[14:15], v[46:47], v[2:5]
	s_nop 7
	v_bfe_u32 v6, v19, 16, 1
	v_bfe_u32 v7, v18, 16, 1
	v_add3_u32 v7, v18, v7, s10
	v_add3_u32 v6, v19, v6, s10
	v_perm_b32 v6, v6, v7, s11
	v_bfe_u32 v7, v21, 16, 1
	v_bfe_u32 v8, v20, 16, 1
	v_mfma_f32_16x16x16bf16_1k v[2:5], v[16:17], v[48:49], v[2:5]
	v_add3_u32 v8, v20, v8, s10
	v_add3_u32 v7, v21, v7, s10
	v_perm_b32 v7, v7, v8, s11
	s_waitcnt vmcnt(4)
	v_mfma_f32_16x16x16bf16_1k v[2:5], v[10:11], v[74:75], v[2:5]
	v_mfma_f32_16x16x16bf16_1k v[2:5], v[12:13], v[76:77], v[2:5]
	s_waitcnt vmcnt(3)
	v_mfma_f32_16x16x16bf16_1k v[2:5], v[54:55], v[38:39], v[2:5]
	v_mfma_f32_16x16x16bf16_1k v[2:5], v[56:57], v[40:41], v[2:5]
	;; [unrolled: 3-line block ×5, first 2 shown]
	s_nop 7
	s_nop 2
	v_bfe_u32 v8, v3, 16, 1
	v_bfe_u32 v9, v2, 16, 1
	v_add3_u32 v2, v2, v9, s10
	v_add3_u32 v3, v3, v8, s10
	v_perm_b32 v2, v3, v2, s11
	v_bfe_u32 v3, v5, 16, 1
	v_bfe_u32 v8, v4, 16, 1
	v_add3_u32 v4, v4, v8, s10
	v_add3_u32 v3, v5, v3, s10
	v_perm_b32 v3, v3, v4, s11
	ds_write2st64_b64 v78, v[6:7], v[2:3] offset1:1
	s_waitcnt lgkmcnt(0)
	s_barrier
	s_and_saveexec_b64 s[10:11], vcc
	s_cbranch_execz .LBB328_18
; %bb.16:
	v_lshlrev_b32_e32 v4, 6, v83
	v_lshlrev_b32_e32 v3, 4, v0
	v_lshl_or_b32 v0, v0, 10, v4
	v_lshlrev_b32_e32 v2, 5, v1
	v_and_b32_e32 v3, 16, v3
	v_and_b32_e32 v0, 0x1a00, v0
	v_or3_b32 v0, v0, v2, v3
	buffer_load_dword v2, off, s[44:47], 0  ; 4-byte Folded Reload
	s_load_dwordx2 s[10:11], s[4:5], 0x68
	s_lshl_b32 s4, s8, 7
	s_mul_i32 s2, s9, s6
	s_mul_hi_u32 s7, s2, s4
	s_mul_i32 s6, s2, s4
	s_lshl_b64 s[6:7], s[6:7], 1
	s_waitcnt lgkmcnt(0)
	s_add_u32 s5, s10, s6
	s_addc_u32 s6, s11, s7
	s_lshl_b32 s2, s26, 7
	s_lshl_b64 s[2:3], s[2:3], 1
	s_add_u32 s2, s5, s2
	s_addc_u32 s3, s6, s3
	ds_read_b128 v[4:7], v0
	v_add_u32_e32 v8, s27, v1
	v_mov_b32_e32 v3, s3
	s_waitcnt vmcnt(0)
	v_add_co_u32_e32 v2, vcc, s2, v2
	v_mad_u64_u32 v[8:9], s[2:3], v8, s4, 0
	v_addc_co_u32_e32 v3, vcc, 0, v3, vcc
	v_lshlrev_b64 v[8:9], 1, v[8:9]
	v_add_co_u32_e32 v8, vcc, v2, v8
	v_addc_co_u32_e32 v9, vcc, v3, v9, vcc
	s_waitcnt lgkmcnt(0)
	global_store_dwordx4 v[8:9], v[4:7], off
	s_and_b64 exec, exec, s[0:1]
	s_cbranch_execz .LBB328_18
; %bb.17:
	ds_read_b128 v[4:7], v0 offset:128
	v_add3_u32 v0, s27, v1, 4
	v_mad_u64_u32 v[0:1], s[0:1], v0, s4, 0
	v_lshlrev_b64 v[0:1], 1, v[0:1]
	v_add_co_u32_e32 v0, vcc, v2, v0
	v_addc_co_u32_e32 v1, vcc, v3, v1, vcc
	s_waitcnt lgkmcnt(0)
	global_store_dwordx4 v[0:1], v[4:7], off
.LBB328_18:
	s_endpgm
	.section	.rodata,"a",@progbits
	.p2align	6, 0x0
	.amdhsa_kernel _Z39paged_attention_ll4mi_QKV_mfma16_kernelI14__hip_bfloat16S0_LN4vllm18Fp8KVCacheDataTypeE0ES0_Li16ELi128ELi256ELb0ELi5EL8MFMAType0EEvPKT_PKT0_S9_ifPKiSB_SB_iPKfiiiPfSE_PS4_PT2_iSD_SD_
		.amdhsa_group_segment_fixed_size 8192
		.amdhsa_private_segment_fixed_size 8
		.amdhsa_kernarg_size 400
		.amdhsa_user_sgpr_count 6
		.amdhsa_user_sgpr_private_segment_buffer 1
		.amdhsa_user_sgpr_dispatch_ptr 0
		.amdhsa_user_sgpr_queue_ptr 0
		.amdhsa_user_sgpr_kernarg_segment_ptr 1
		.amdhsa_user_sgpr_dispatch_id 0
		.amdhsa_user_sgpr_flat_scratch_init 0
		.amdhsa_user_sgpr_kernarg_preload_length 0
		.amdhsa_user_sgpr_kernarg_preload_offset 0
		.amdhsa_user_sgpr_private_segment_size 0
		.amdhsa_uses_dynamic_stack 0
		.amdhsa_system_sgpr_private_segment_wavefront_offset 1
		.amdhsa_system_sgpr_workgroup_id_x 1
		.amdhsa_system_sgpr_workgroup_id_y 1
		.amdhsa_system_sgpr_workgroup_id_z 1
		.amdhsa_system_sgpr_workgroup_info 0
		.amdhsa_system_vgpr_workitem_id 0
		.amdhsa_next_free_vgpr 96
		.amdhsa_next_free_sgpr 48
		.amdhsa_accum_offset 96
		.amdhsa_reserve_vcc 1
		.amdhsa_reserve_flat_scratch 0
		.amdhsa_float_round_mode_32 0
		.amdhsa_float_round_mode_16_64 0
		.amdhsa_float_denorm_mode_32 3
		.amdhsa_float_denorm_mode_16_64 3
		.amdhsa_dx10_clamp 1
		.amdhsa_ieee_mode 1
		.amdhsa_fp16_overflow 0
		.amdhsa_tg_split 0
		.amdhsa_exception_fp_ieee_invalid_op 0
		.amdhsa_exception_fp_denorm_src 0
		.amdhsa_exception_fp_ieee_div_zero 0
		.amdhsa_exception_fp_ieee_overflow 0
		.amdhsa_exception_fp_ieee_underflow 0
		.amdhsa_exception_fp_ieee_inexact 0
		.amdhsa_exception_int_div_zero 0
	.end_amdhsa_kernel
	.section	.text._Z39paged_attention_ll4mi_QKV_mfma16_kernelI14__hip_bfloat16S0_LN4vllm18Fp8KVCacheDataTypeE0ES0_Li16ELi128ELi256ELb0ELi5EL8MFMAType0EEvPKT_PKT0_S9_ifPKiSB_SB_iPKfiiiPfSE_PS4_PT2_iSD_SD_,"axG",@progbits,_Z39paged_attention_ll4mi_QKV_mfma16_kernelI14__hip_bfloat16S0_LN4vllm18Fp8KVCacheDataTypeE0ES0_Li16ELi128ELi256ELb0ELi5EL8MFMAType0EEvPKT_PKT0_S9_ifPKiSB_SB_iPKfiiiPfSE_PS4_PT2_iSD_SD_,comdat
.Lfunc_end328:
	.size	_Z39paged_attention_ll4mi_QKV_mfma16_kernelI14__hip_bfloat16S0_LN4vllm18Fp8KVCacheDataTypeE0ES0_Li16ELi128ELi256ELb0ELi5EL8MFMAType0EEvPKT_PKT0_S9_ifPKiSB_SB_iPKfiiiPfSE_PS4_PT2_iSD_SD_, .Lfunc_end328-_Z39paged_attention_ll4mi_QKV_mfma16_kernelI14__hip_bfloat16S0_LN4vllm18Fp8KVCacheDataTypeE0ES0_Li16ELi128ELi256ELb0ELi5EL8MFMAType0EEvPKT_PKT0_S9_ifPKiSB_SB_iPKfiiiPfSE_PS4_PT2_iSD_SD_
                                        ; -- End function
	.section	.AMDGPU.csdata,"",@progbits
; Kernel info:
; codeLenInByte = 4892
; NumSgprs: 52
; NumVgprs: 96
; NumAgprs: 0
; TotalNumVgprs: 96
; ScratchSize: 8
; MemoryBound: 0
; FloatMode: 240
; IeeeMode: 1
; LDSByteSize: 8192 bytes/workgroup (compile time only)
; SGPRBlocks: 6
; VGPRBlocks: 11
; NumSGPRsForWavesPerEU: 52
; NumVGPRsForWavesPerEU: 96
; AccumOffset: 96
; Occupancy: 5
; WaveLimiterHint : 1
; COMPUTE_PGM_RSRC2:SCRATCH_EN: 1
; COMPUTE_PGM_RSRC2:USER_SGPR: 6
; COMPUTE_PGM_RSRC2:TRAP_HANDLER: 0
; COMPUTE_PGM_RSRC2:TGID_X_EN: 1
; COMPUTE_PGM_RSRC2:TGID_Y_EN: 1
; COMPUTE_PGM_RSRC2:TGID_Z_EN: 1
; COMPUTE_PGM_RSRC2:TIDIG_COMP_CNT: 0
; COMPUTE_PGM_RSRC3_GFX90A:ACCUM_OFFSET: 23
; COMPUTE_PGM_RSRC3_GFX90A:TG_SPLIT: 0
	.section	.text._Z39paged_attention_ll4mi_QKV_mfma16_kernelI14__hip_bfloat16S0_LN4vllm18Fp8KVCacheDataTypeE0ES0_Li16ELi128ELi256ELb0ELi6EL8MFMAType0EEvPKT_PKT0_S9_ifPKiSB_SB_iPKfiiiPfSE_PS4_PT2_iSD_SD_,"axG",@progbits,_Z39paged_attention_ll4mi_QKV_mfma16_kernelI14__hip_bfloat16S0_LN4vllm18Fp8KVCacheDataTypeE0ES0_Li16ELi128ELi256ELb0ELi6EL8MFMAType0EEvPKT_PKT0_S9_ifPKiSB_SB_iPKfiiiPfSE_PS4_PT2_iSD_SD_,comdat
	.protected	_Z39paged_attention_ll4mi_QKV_mfma16_kernelI14__hip_bfloat16S0_LN4vllm18Fp8KVCacheDataTypeE0ES0_Li16ELi128ELi256ELb0ELi6EL8MFMAType0EEvPKT_PKT0_S9_ifPKiSB_SB_iPKfiiiPfSE_PS4_PT2_iSD_SD_ ; -- Begin function _Z39paged_attention_ll4mi_QKV_mfma16_kernelI14__hip_bfloat16S0_LN4vllm18Fp8KVCacheDataTypeE0ES0_Li16ELi128ELi256ELb0ELi6EL8MFMAType0EEvPKT_PKT0_S9_ifPKiSB_SB_iPKfiiiPfSE_PS4_PT2_iSD_SD_
	.globl	_Z39paged_attention_ll4mi_QKV_mfma16_kernelI14__hip_bfloat16S0_LN4vllm18Fp8KVCacheDataTypeE0ES0_Li16ELi128ELi256ELb0ELi6EL8MFMAType0EEvPKT_PKT0_S9_ifPKiSB_SB_iPKfiiiPfSE_PS4_PT2_iSD_SD_
	.p2align	8
	.type	_Z39paged_attention_ll4mi_QKV_mfma16_kernelI14__hip_bfloat16S0_LN4vllm18Fp8KVCacheDataTypeE0ES0_Li16ELi128ELi256ELb0ELi6EL8MFMAType0EEvPKT_PKT0_S9_ifPKiSB_SB_iPKfiiiPfSE_PS4_PT2_iSD_SD_,@function
_Z39paged_attention_ll4mi_QKV_mfma16_kernelI14__hip_bfloat16S0_LN4vllm18Fp8KVCacheDataTypeE0ES0_Li16ELi128ELi256ELb0ELi6EL8MFMAType0EEvPKT_PKT0_S9_ifPKiSB_SB_iPKfiiiPfSE_PS4_PT2_iSD_SD_: ; @_Z39paged_attention_ll4mi_QKV_mfma16_kernelI14__hip_bfloat16S0_LN4vllm18Fp8KVCacheDataTypeE0ES0_Li16ELi128ELi256ELb0ELi6EL8MFMAType0EEvPKT_PKT0_S9_ifPKiSB_SB_iPKfiiiPfSE_PS4_PT2_iSD_SD_
; %bb.0:
	s_mov_b64 s[46:47], s[2:3]
	s_mov_b64 s[44:45], s[0:1]
	s_load_dwordx2 s[0:1], s[4:5], 0x30
	s_add_u32 s44, s44, s9
	s_addc_u32 s45, s45, 0
	s_mov_b32 s26, s7
	s_mov_b64 s[10:11], 0
	s_waitcnt lgkmcnt(0)
	s_cmp_lg_u64 s[0:1], 0
	s_cselect_b64 s[2:3], -1, 0
	s_and_b64 vcc, exec, s[2:3]
	s_cbranch_vccz .LBB329_7
; %bb.1:
	s_add_i32 s12, s6, 1
	s_mov_b32 s13, 0
	s_lshl_b64 s[14:15], s[12:13], 2
	s_add_u32 s14, s0, s14
	s_mov_b32 s7, s13
	s_addc_u32 s15, s1, s15
	s_lshl_b64 s[12:13], s[6:7], 2
	s_add_u32 s12, s0, s12
	s_addc_u32 s13, s1, s13
	s_load_dword s9, s[14:15], 0x0
	s_load_dword s16, s[12:13], 0x0
	s_waitcnt lgkmcnt(0)
	s_sub_i32 s9, s9, s16
	s_cmp_eq_u32 s9, 1
	s_cselect_b64 s[12:13], -1, 0
	s_andn2_b64 vcc, exec, s[10:11]
	s_cbranch_vccnz .LBB329_3
.LBB329_2:
	s_mov_b32 s7, 0
	s_mov_b64 s[12:13], -1
.LBB329_3:
	s_andn2_b64 vcc, exec, s[12:13]
	s_cbranch_vccnz .LBB329_18
; %bb.4:
	s_load_dwordx2 s[12:13], s[4:5], 0x28
	s_lshl_b64 s[10:11], s[6:7], 2
	s_waitcnt lgkmcnt(0)
	s_add_u32 s12, s12, s10
	s_addc_u32 s13, s13, s11
	s_load_dword s38, s[12:13], 0x0
	s_lshl_b32 s9, s26, 8
	s_waitcnt lgkmcnt(0)
	s_cmp_ge_i32 s9, s38
	s_cbranch_scc1 .LBB329_18
; %bb.5:
	s_add_i32 s15, s38, 15
	s_load_dwordx2 s[12:13], s[4:5], 0x20
	s_load_dword s14, s[4:5], 0x38
	s_ashr_i32 s16, s15, 31
	v_and_b32_e32 v1, 0xcf, v0
	s_lshr_b32 s16, s16, 28
	v_add_u32_e32 v1, s9, v1
	s_add_i32 s15, s15, s16
	v_ashrrev_i32_e32 v2, 31, v1
	s_ashr_i32 s18, s15, 4
	v_lshrrev_b32_e32 v6, 28, v2
	s_add_i32 s18, s18, -1
	v_add_u32_e32 v2, v1, v6
	s_waitcnt lgkmcnt(0)
	s_mul_i32 s14, s6, s14
	s_mov_b32 s15, 0
	v_ashrrev_i32_e32 v2, 4, v2
	v_mov_b32_e32 v7, s18
	v_cmp_gt_i32_e32 vcc, s38, v1
	s_lshl_b64 s[14:15], s[14:15], 2
	v_cndmask_b32_e32 v2, v7, v2, vcc
	s_add_u32 s16, s12, s14
	v_ashrrev_i32_e32 v3, 31, v2
	s_addc_u32 s17, s13, s15
	v_lshlrev_b64 v[2:3], 2, v[2:3]
	v_mov_b32_e32 v5, s17
	v_add_co_u32_e32 v4, vcc, s16, v2
	v_or_b32_e32 v2, 16, v1
	v_addc_co_u32_e32 v5, vcc, v5, v3, vcc
	v_add_u32_e32 v3, v2, v6
	v_ashrrev_i32_e32 v3, 4, v3
	v_cmp_gt_i32_e32 vcc, s38, v2
	v_cndmask_b32_e32 v2, v7, v3, vcc
	v_ashrrev_i32_e32 v3, 31, v2
	v_lshlrev_b64 v[2:3], 2, v[2:3]
	v_mov_b32_e32 v9, s17
	v_add_co_u32_e32 v8, vcc, s16, v2
	v_or_b32_e32 v2, 32, v1
	v_addc_co_u32_e32 v9, vcc, v9, v3, vcc
	v_add_u32_e32 v3, v2, v6
	v_ashrrev_i32_e32 v3, 4, v3
	v_cmp_gt_i32_e32 vcc, s38, v2
	v_cndmask_b32_e32 v2, v7, v3, vcc
	v_ashrrev_i32_e32 v3, 31, v2
	;; [unrolled: 10-line block ×3, first 2 shown]
	v_lshlrev_b64 v[2:3], 2, v[2:3]
	v_mov_b32_e32 v1, s17
	v_add_co_u32_e32 v12, vcc, s16, v2
	v_addc_co_u32_e32 v13, vcc, v1, v3, vcc
	global_load_dword v3, v[4:5], off
	global_load_dword v2, v[8:9], off
	global_load_dword v6, v[10:11], off
	global_load_dword v28, v[12:13], off
	s_load_dwordx4 s[12:15], s[4:5], 0x8
	s_andn2_b64 vcc, exec, s[2:3]
	s_cbranch_vccnz .LBB329_8
; %bb.6:
	s_add_u32 s0, s0, s10
	s_addc_u32 s1, s1, s11
	s_load_dword s19, s[0:1], 0x0
	s_branch .LBB329_9
.LBB329_7:
	s_mov_b64 s[12:13], 0
	s_branch .LBB329_2
.LBB329_8:
	s_mov_b32 s19, s6
.LBB329_9:
	s_load_dwordx4 s[0:3], s[4:5], 0x48
	v_lshrrev_b32_e32 v85, 6, v0
	v_bfe_u32 v1, v0, 4, 2
	v_and_b32_e32 v83, 15, v0
	v_lshl_or_b32 v4, v85, 2, v1
	v_lshlrev_b32_e32 v5, 3, v83
	v_and_b32_e32 v86, 63, v0
	s_mul_i32 s27, s8, 6
	v_cmp_gt_u32_e32 vcc, 6, v4
	v_lshlrev_b32_e32 v5, 1, v5
	buffer_store_dword v5, off, s[44:47], 0 ; 4-byte Folded Spill
	s_and_saveexec_b64 s[10:11], vcc
	s_cbranch_execz .LBB329_11
; %bb.10:
	s_load_dwordx2 s[20:21], s[4:5], 0x0
	s_waitcnt lgkmcnt(0)
	s_ashr_i32 s3, s0, 31
	s_mul_hi_u32 s22, s19, s0
	s_mul_i32 s3, s19, s3
	s_add_i32 s23, s22, s3
	s_mul_i32 s22, s19, s0
	v_add_lshl_u32 v8, v4, s27, 7
	s_lshl_b64 s[22:23], s[22:23], 1
	v_ashrrev_i32_e32 v9, 31, v8
	s_add_u32 s0, s20, s22
	v_lshlrev_b64 v[8:9], 1, v[8:9]
	v_add_co_u32_e32 v7, vcc, s0, v8
	buffer_load_dword v8, off, s[44:47], 0  ; 4-byte Folded Reload
	s_addc_u32 s3, s21, s23
	v_mov_b32_e32 v5, s3
	v_addc_co_u32_e32 v5, vcc, v5, v9, vcc
	v_lshlrev_b32_e32 v4, 5, v4
	s_waitcnt vmcnt(0)
	v_add_co_u32_e32 v8, vcc, v7, v8
	v_addc_co_u32_e32 v9, vcc, 0, v5, vcc
	global_load_dwordx4 v[8:11], v[8:9], off
	v_and_b32_e32 v5, 3, v0
	v_lshlrev_b32_e32 v7, 9, v83
	v_lshlrev_b32_e32 v5, 9, v5
	v_and_b32_e32 v7, 0x1800, v7
	v_or3_b32 v4, v7, v5, v4
	s_waitcnt vmcnt(0)
	ds_write_b128 v4, v[8:11]
.LBB329_11:
	s_or_b64 exec, exec, s[10:11]
	s_waitcnt lgkmcnt(0)
	s_mul_i32 s2, s8, s2
	s_mov_b32 s3, 0
	s_lshl_b64 s[2:3], s[2:3], 1
	s_add_u32 s8, s12, s2
	v_lshlrev_b32_e32 v7, 4, v0
	s_addc_u32 s10, s13, s3
	v_and_b32_e32 v4, 0xf0, v7
	v_mov_b32_e32 v5, s10
	v_add_co_u32_e32 v29, vcc, s8, v4
	v_addc_co_u32_e32 v30, vcc, 0, v5, vcc
	s_waitcnt vmcnt(4)
	v_mad_i64_i32 v[4:5], s[10:11], v3, s1, 0
	v_lshlrev_b64 v[4:5], 1, v[4:5]
	v_add_co_u32_e32 v3, vcc, v29, v4
	v_addc_co_u32_e32 v4, vcc, v30, v5, vcc
	v_and_b32_e32 v31, 0x300, v7
	v_add_co_u32_e32 v22, vcc, v3, v31
	v_addc_co_u32_e32 v23, vcc, 0, v4, vcc
	s_load_dword s33, s[4:5], 0x98
	s_load_dword s0, s[4:5], 0x1c
	s_waitcnt lgkmcnt(0)
	s_barrier
	global_load_dwordx4 v[10:13], v[22:23], off
	global_load_dwordx4 v[18:21], v[22:23], off offset:1024
	s_waitcnt vmcnt(5)
	v_mad_i64_i32 v[2:3], s[10:11], v2, s1, 0
	v_lshlrev_b64 v[2:3], 1, v[2:3]
	v_add_co_u32_e32 v2, vcc, v29, v2
	v_addc_co_u32_e32 v3, vcc, v30, v3, vcc
	v_add_co_u32_e32 v24, vcc, v2, v31
	v_addc_co_u32_e32 v25, vcc, 0, v3, vcc
	global_load_dwordx4 v[14:17], v[24:25], off
	global_load_dwordx4 v[38:41], v[24:25], off offset:1024
	v_mul_lo_u16_e32 v2, 43, v83
	v_mov_b32_e32 v3, 6
	v_mul_lo_u16_sdwa v2, v2, v3 dst_sel:DWORD dst_unused:UNUSED_PAD src0_sel:BYTE_1 src1_sel:DWORD
	v_mov_b32_e32 v4, 5
	v_sub_u16_e32 v2, v83, v2
	v_lshlrev_b32_sdwa v2, v4, v2 dst_sel:DWORD dst_unused:UNUSED_PAD src0_sel:DWORD src1_sel:BYTE_0
	v_lshl_add_u32 v32, v1, 9, v2
	ds_read_b128 v[2:5], v32
	s_waitcnt vmcnt(6)
	v_mad_i64_i32 v[6:7], s[10:11], v6, s1, 0
	v_lshlrev_b64 v[26:27], 1, v[6:7]
	ds_read_b128 v[6:9], v32 offset:2048
	v_and_or_b32 v62, v0, 48, s9
	v_mov_b32_e32 v63, s18
	v_mov_b32_e32 v68, s17
	s_add_u32 s8, s14, s2
	v_lshl_or_b32 v87, v85, 4, v83
	v_lshlrev_b32_e32 v76, 5, v87
	s_mov_b32 s40, 0xff7fffff
	s_waitcnt vmcnt(3) lgkmcnt(1)
	v_mfma_f32_16x16x16bf16_1k v[34:37], v[10:11], v[2:3], 0
	v_add_co_u32_e32 v10, vcc, v29, v26
	v_addc_co_u32_e32 v11, vcc, v30, v27, vcc
	v_add_co_u32_e32 v26, vcc, v10, v31
	v_addc_co_u32_e32 v27, vcc, 0, v11, vcc
	global_load_dwordx4 v[46:49], v[26:27], off
	global_load_dwordx4 v[58:61], v[26:27], off offset:1024
	s_waitcnt vmcnt(3)
	v_mfma_f32_16x16x16bf16_1k v[42:45], v[14:15], v[2:3], 0
	v_cmp_gt_i32_e32 vcc, s38, v62
	v_mfma_f32_16x16x16bf16_1k v[14:17], v[16:17], v[4:5], v[42:45]
	s_nop 7
	s_nop 0
	global_load_dwordx4 v[42:45], v[22:23], off offset:2048
	v_mfma_f32_16x16x16bf16_1k v[10:13], v[12:13], v[4:5], v[34:37]
	s_waitcnt vmcnt(3) lgkmcnt(0)
	v_mfma_f32_16x16x16bf16_1k v[14:17], v[38:39], v[6:7], v[14:17]
	v_mfma_f32_16x16x16bf16_1k v[10:13], v[18:19], v[6:7], v[10:13]
	;; [unrolled: 1-line block ×3, first 2 shown]
	global_load_dwordx4 v[38:41], v[22:23], off offset:3072
	v_mfma_f32_16x16x16bf16_1k v[18:21], v[20:21], v[8:9], v[10:13]
	s_waitcnt vmcnt(3)
	v_mfma_f32_16x16x16bf16_1k v[50:53], v[46:47], v[2:3], 0
	v_mfma_f32_16x16x16bf16_1k v[34:37], v[48:49], v[4:5], v[50:53]
	global_load_dwordx4 v[46:49], v[24:25], off offset:2048
	s_nop 3
	ds_read_b128 v[10:13], v32 offset:4096
	s_nop 3
	ds_read_b128 v[50:53], v32 offset:6144
	global_load_dwordx4 v[22:25], v[24:25], off offset:3072
	v_mad_i64_i32 v[32:33], s[10:11], v28, s1, 0
	v_mov_b32_e32 v28, s17
	s_addc_u32 s10, s15, s3
	s_waitcnt vmcnt(3) lgkmcnt(1)
	v_mfma_f32_16x16x16bf16_1k v[18:21], v[42:43], v[10:11], v[18:21]
	v_mfma_f32_16x16x16bf16_1k v[18:21], v[44:45], v[12:13], v[18:21]
	global_load_dwordx4 v[42:45], v[26:27], off offset:2048
	s_waitcnt vmcnt(3) lgkmcnt(0)
	v_mfma_f32_16x16x16bf16_1k v[18:21], v[38:39], v[50:51], v[18:21]
	v_or_b32_e32 v38, 64, v62
	v_ashrrev_i32_e32 v39, 4, v38
	v_mfma_f32_16x16x16bf16_1k v[54:57], v[40:41], v[52:53], v[18:21]
	s_waitcnt vmcnt(2)
	v_mfma_f32_16x16x16bf16_1k v[14:17], v[46:47], v[10:11], v[14:17]
	v_mfma_f32_16x16x16bf16_1k v[14:17], v[48:49], v[12:13], v[14:17]
	global_load_dwordx4 v[46:49], v[26:27], off offset:3072
	v_lshlrev_b64 v[26:27], 1, v[32:33]
	v_ashrrev_i32_e32 v32, 4, v62
	v_cndmask_b32_e32 v32, v63, v32, vcc
	v_ashrrev_i32_e32 v33, 31, v32
	v_cmp_gt_i32_e32 vcc, s38, v38
	v_cndmask_b32_e32 v38, v63, v39, vcc
	s_waitcnt vmcnt(2)
	v_mfma_f32_16x16x16bf16_1k v[14:17], v[22:23], v[50:51], v[14:17]
	v_lshlrev_b64 v[22:23], 2, v[32:33]
	v_add_co_u32_e32 v22, vcc, s16, v22
	v_addc_co_u32_e32 v23, vcc, v28, v23, vcc
	v_add_co_u32_e32 v18, vcc, v29, v26
	v_addc_co_u32_e32 v19, vcc, v30, v27, vcc
	;; [unrolled: 2-line block ×3, first 2 shown]
	v_mfma_f32_16x16x16bf16_1k v[64:67], v[24:25], v[52:53], v[14:17]
	global_load_dword v30, v[22:23], off
	v_ashrrev_i32_e32 v39, 31, v38
	v_lshlrev_b64 v[32:33], 2, v[38:39]
	v_add_co_u32_e32 v18, vcc, s16, v32
	v_addc_co_u32_e32 v19, vcc, v68, v33, vcc
	s_nop 1
	global_load_dwordx4 v[14:17], v[26:27], off
	global_load_dword v31, v[18:19], off
	s_nop 0
	global_load_dwordx4 v[18:21], v[26:27], off offset:1024
	global_load_dwordx4 v[68:71], v[26:27], off offset:2048
	;; [unrolled: 1-line block ×3, first 2 shown]
	v_mfma_f32_16x16x16bf16_1k v[22:25], v[58:59], v[6:7], v[34:37]
	v_or_b32_e32 v28, 0x80, v62
	v_ashrrev_i32_e32 v29, 4, v28
	v_cmp_gt_i32_e32 vcc, s38, v28
	v_cndmask_b32_e32 v28, v63, v29, vcc
	v_ashrrev_i32_e32 v29, 31, v28
	v_lshlrev_b64 v[28:29], 2, v[28:29]
	v_mov_b32_e32 v32, s17
	v_mfma_f32_16x16x16bf16_1k v[22:25], v[60:61], v[8:9], v[22:25]
	v_add_co_u32_e32 v28, vcc, s16, v28
	v_addc_co_u32_e32 v29, vcc, v32, v29, vcc
	global_load_dword v32, v[28:29], off
	v_or_b32_e32 v28, 0xc0, v62
	v_ashrrev_i32_e32 v29, 4, v28
	v_cmp_gt_i32_e32 vcc, s38, v28
	v_cndmask_b32_e32 v28, v63, v29, vcc
	v_ashrrev_i32_e32 v29, 31, v28
	v_lshlrev_b64 v[28:29], 2, v[28:29]
	s_waitcnt vmcnt(8)
	v_mfma_f32_16x16x16bf16_1k v[22:25], v[42:43], v[10:11], v[22:25]
	v_mov_b32_e32 v33, s17
	v_add_co_u32_e32 v28, vcc, s16, v28
	v_addc_co_u32_e32 v29, vcc, v33, v29, vcc
	global_load_dword v58, v[28:29], off
	v_mov_b32_e32 v26, s10
	v_mfma_f32_16x16x16bf16_1k v[22:25], v[44:45], v[12:13], v[22:25]
	v_add_co_u32_e32 v77, vcc, s8, v76
	v_addc_co_u32_e32 v78, vcc, 0, v26, vcc
	v_pk_mul_f32 v[80:81], s[0:1], v[66:67] op_sel_hi:[0,1]
	s_waitcnt vmcnt(8)
	v_mfma_f32_16x16x16bf16_1k v[22:25], v[46:47], v[50:51], v[22:25]
	v_mfma_f32_16x16x16bf16_1k v[88:91], v[48:49], v[52:53], v[22:25]
	s_waitcnt vmcnt(7)
	s_nop 7
	s_nop 0
	v_mad_i64_i32 v[22:23], s[2:3], v30, s1, 0
	v_lshlrev_b64 v[62:63], 1, v[22:23]
	s_waitcnt vmcnt(6)
	v_mfma_f32_16x16x16bf16_1k v[22:25], v[14:15], v[2:3], 0
	v_add_co_u32_e32 v2, vcc, v77, v62
	v_addc_co_u32_e32 v3, vcc, v78, v63, vcc
	global_load_dwordx4 v[46:49], v[2:3], off
	global_load_dwordx4 v[42:45], v[2:3], off offset:16
	s_waitcnt vmcnt(7)
	v_mad_i64_i32 v[2:3], s[2:3], v31, s1, 0
	v_lshlrev_b64 v[14:15], 1, v[2:3]
	v_mfma_f32_16x16x16bf16_1k v[2:5], v[16:17], v[4:5], v[22:25]
	v_add_co_u32_e32 v16, vcc, v77, v14
	v_addc_co_u32_e32 v17, vcc, v78, v15, vcc
	global_load_dwordx4 v[38:41], v[16:17], off
	global_load_dwordx4 v[34:37], v[16:17], off offset:16
	s_waitcnt vmcnt(5)
	v_mad_i64_i32 v[16:17], s[2:3], v32, s1, 0
	v_mfma_f32_16x16x16bf16_1k v[2:5], v[18:19], v[6:7], v[2:5]
	v_lshlrev_b64 v[60:61], 1, v[16:17]
	v_add_co_u32_e32 v6, vcc, v77, v60
	v_addc_co_u32_e32 v7, vcc, v78, v61, vcc
	global_load_dwordx4 v[30:33], v[6:7], off
	global_load_dwordx4 v[26:29], v[6:7], off offset:16
	s_waitcnt vmcnt(6)
	v_mad_i64_i32 v[6:7], s[2:3], v58, s1, 0
	v_mfma_f32_16x16x16bf16_1k v[2:5], v[20:21], v[8:9], v[2:5]
	v_lshlrev_b64 v[58:59], 1, v[6:7]
	v_add_co_u32_e32 v6, vcc, v77, v58
	v_addc_co_u32_e32 v7, vcc, v78, v59, vcc
	global_load_dwordx4 v[22:25], v[6:7], off
	global_load_dwordx4 v[18:21], v[6:7], off offset:16
	v_or_b32_e32 v6, 0x800, v76
	v_mfma_f32_16x16x16bf16_1k v[2:5], v[68:69], v[10:11], v[2:5]
	v_mov_b32_e32 v7, s10
	v_add_co_u32_e32 v68, vcc, s8, v6
	v_addc_co_u32_e32 v69, vcc, 0, v7, vcc
	v_pk_mul_f32 v[78:79], s[0:1], v[56:57] op_sel_hi:[0,1]
	v_pk_mul_f32 v[76:77], s[0:1], v[90:91] op_sel_hi:[0,1]
	v_mfma_f32_16x16x16bf16_1k v[10:13], v[70:71], v[12:13], v[2:5]
	v_pk_mul_f32 v[70:71], s[0:1], v[64:65] op_sel_hi:[0,1]
	v_mfma_f32_16x16x16bf16_1k v[92:95], v[72:73], v[50:51], v[10:13]
	s_nop 4
	v_add_co_u32_e32 v2, vcc, v68, v62
	v_addc_co_u32_e32 v3, vcc, v69, v63, vcc
	v_add_co_u32_e32 v62, vcc, v68, v14
	v_addc_co_u32_e32 v63, vcc, v69, v15, vcc
	v_mfma_f32_16x16x16bf16_1k v[50:53], v[74:75], v[52:53], v[92:95]
	global_load_dwordx4 v[6:9], v[2:3], off
	s_nop 0
	global_load_dwordx4 v[2:5], v[2:3], off offset:16
	s_nop 0
	global_load_dwordx4 v[14:17], v[62:63], off
	global_load_dwordx4 v[10:13], v[62:63], off offset:16
	v_pk_mul_f32 v[62:63], s[0:1], v[54:55] op_sel_hi:[0,1]
	v_pk_mul_f32 v[72:73], s[0:1], v[88:89] op_sel_hi:[0,1]
	s_nop 2
	v_pk_mul_f32 v[74:75], s[0:1], v[50:51] op_sel_hi:[0,1]
	v_and_b32_e32 v50, 0xc0, v0
	v_add_u32_e32 v50, s9, v50
	v_lshl_or_b32 v50, v1, 2, v50
	v_pk_mul_f32 v[66:67], s[0:1], v[52:53] op_sel_hi:[0,1]
	v_or_b32_e32 v53, 1, v50
	v_mov_b32_e32 v51, 0xff7fffff
	v_cmp_gt_i32_e64 s[28:29], s38, v50
	v_cmp_gt_i32_e64 s[30:31], s38, v53
	v_cndmask_b32_e64 v52, v51, v62, s[28:29]
	v_cndmask_b32_e64 v53, v51, v63, s[30:31]
	v_max3_f32 v52, v52, s40, v53
	v_or_b32_e32 v53, 2, v50
	v_or_b32_e32 v54, 3, v50
	v_cmp_gt_i32_e64 s[34:35], s38, v53
	v_cmp_gt_i32_e64 s[36:37], s38, v54
	v_cndmask_b32_e64 v53, v51, v78, s[34:35]
	v_cndmask_b32_e64 v54, v51, v79, s[36:37]
	v_max3_f32 v52, v52, v53, v54
	v_or_b32_e32 v53, 16, v50
	v_or_b32_e32 v54, 17, v50
	;; [unrolled: 7-line block ×7, first 2 shown]
	v_cmp_gt_i32_e32 vcc, s38, v53
	v_cmp_gt_i32_e64 s[0:1], s38, v50
	v_cndmask_b32_e32 v53, v51, v66, vcc
	v_cndmask_b32_e64 v50, v51, v67, s[0:1]
	v_max3_f32 v64, v52, v53, v50
	v_mbcnt_lo_u32_b32 v50, -1, 0
	v_mbcnt_hi_u32_b32 v65, -1, v50
	v_and_b32_e32 v50, 64, v65
	v_add_u32_e32 v88, 64, v50
	v_xor_b32_e32 v50, 32, v65
	v_cmp_lt_i32_e64 s[38:39], v50, v88
	v_cndmask_b32_e64 v50, v65, v50, s[38:39]
	v_lshlrev_b32_e32 v89, 2, v50
	ds_bpermute_b32 v90, v89, v64
	v_add_co_u32_e64 v50, s[38:39], v68, v60
	v_addc_co_u32_e64 v51, s[38:39], v69, v61, s[38:39]
	v_xor_b32_e32 v61, 16, v65
	v_cmp_lt_i32_e64 s[38:39], v61, v88
	s_waitcnt lgkmcnt(0)
	v_max_f32_e32 v60, v90, v90
	v_cndmask_b32_e64 v61, v65, v61, s[38:39]
	v_max_f32_e32 v60, v64, v60
	v_lshlrev_b32_e32 v90, 2, v61
	ds_bpermute_b32 v61, v90, v60
	v_add_co_u32_e64 v58, s[38:39], v68, v58
	v_addc_co_u32_e64 v59, s[38:39], v69, v59, s[38:39]
	s_waitcnt lgkmcnt(0)
	v_max_f32_e32 v61, v61, v61
	v_max_f32_e32 v88, v60, v61
	v_sub_f32_e32 v60, v62, v88
	v_mul_f32_e32 v60, 0x3fb8aa3b, v60
	v_exp_f32_e32 v68, v60
	v_sub_f32_e32 v60, v63, v88
	v_mul_f32_e32 v60, 0x3fb8aa3b, v60
	global_load_dwordx4 v[54:57], v[50:51], off
	s_nop 0
	global_load_dwordx4 v[50:53], v[50:51], off offset:16
	v_exp_f32_e32 v69, v60
	global_load_dwordx4 v[62:65], v[58:59], off
	s_nop 0
	global_load_dwordx4 v[58:61], v[58:59], off offset:16
	v_sub_f32_e32 v78, v78, v88
	v_mul_f32_e32 v78, 0x3fb8aa3b, v78
	v_sub_f32_e32 v79, v79, v88
	v_exp_f32_e32 v78, v78
	v_mul_f32_e32 v79, 0x3fb8aa3b, v79
	v_sub_f32_e32 v70, v70, v88
	v_exp_f32_e32 v79, v79
	v_mul_f32_e32 v70, 0x3fb8aa3b, v70
	v_sub_f32_e32 v71, v71, v88
	v_cndmask_b32_e64 v68, 0, v68, s[28:29]
	v_exp_f32_e32 v70, v70
	v_mul_f32_e32 v71, 0x3fb8aa3b, v71
	v_sub_f32_e32 v80, v80, v88
	v_add_f32_e32 v91, 0, v68
	v_cndmask_b32_e64 v69, 0, v69, s[30:31]
	v_exp_f32_e32 v71, v71
	v_mul_f32_e32 v80, 0x3fb8aa3b, v80
	v_sub_f32_e32 v81, v81, v88
	v_add_f32_e32 v91, v91, v69
	;; [unrolled: 5-line block ×10, first 2 shown]
	v_cndmask_b32_e64 v76, 0, v76, s[10:11]
	v_exp_f32_e32 v66, v66
	v_mul_f32_e32 v67, 0x3fb8aa3b, v67
	v_add_f32_e32 v91, v91, v76
	v_cndmask_b32_e64 v77, 0, v77, s[12:13]
	v_exp_f32_e32 v67, v67
	v_add_f32_e32 v91, v91, v77
	v_cndmask_b32_e64 v74, 0, v74, s[2:3]
	v_add_f32_e32 v91, v91, v74
	v_cndmask_b32_e64 v75, 0, v75, s[8:9]
	v_add_f32_e32 v91, v91, v75
	v_cndmask_b32_e32 v66, 0, v66, vcc
	v_add_f32_e32 v91, v91, v66
	v_cndmask_b32_e64 v67, 0, v67, s[0:1]
	v_add_f32_e32 v91, v91, v67
	ds_bpermute_b32 v89, v89, v91
	v_cmp_gt_u32_e32 vcc, 16, v86
	s_waitcnt lgkmcnt(0)
	s_barrier
	v_add_f32_e32 v89, v91, v89
	ds_bpermute_b32 v90, v90, v89
	s_and_saveexec_b64 s[0:1], vcc
	s_cbranch_execz .LBB329_13
; %bb.12:
	s_waitcnt lgkmcnt(0)
	v_add_f32_e32 v86, v89, v90
	v_lshlrev_b32_e32 v87, 2, v87
	ds_write2st64_b32 v87, v88, v86 offset1:1
.LBB329_13:
	s_or_b64 exec, exec, s[0:1]
	v_lshlrev_b32_e32 v87, 2, v83
	s_load_dword s2, s[4:5], 0x94
	s_waitcnt lgkmcnt(0)
	s_barrier
	ds_read2_b32 v[88:89], v87 offset1:16
	ds_read2_b32 v[90:91], v87 offset0:32 offset1:48
	ds_read2_b32 v[92:93], v87 offset0:64 offset1:80
	s_movk_i32 s8, 0x7fff
	s_mov_b32 s9, 0x7060302
	s_waitcnt lgkmcnt(2)
	v_max3_f32 v86, v88, s40, v89
	s_waitcnt lgkmcnt(1)
	v_max3_f32 v86, v86, v90, v91
	v_sub_f32_e32 v88, v88, v86
	v_mul_f32_e32 v88, 0x3fb8aa3b, v88
	v_exp_f32_e32 v94, v88
	v_sub_f32_e32 v88, v89, v86
	v_mul_f32_e32 v88, 0x3fb8aa3b, v88
	v_exp_f32_e32 v95, v88
	;; [unrolled: 3-line block ×3, first 2 shown]
	ds_read2_b32 v[88:89], v87 offset0:96 offset1:112
	v_sub_f32_e32 v87, v91, v86
	v_mul_f32_e32 v87, 0x3fb8aa3b, v87
	v_exp_f32_e32 v91, v87
	s_waitcnt lgkmcnt(1)
	v_fma_f32 v87, v94, v92, 0
	v_fmac_f32_e32 v87, v95, v93
	s_waitcnt lgkmcnt(0)
	v_fmac_f32_e32 v87, v90, v88
	v_fmac_f32_e32 v87, v91, v89
	v_add_f32_e32 v88, 0x358637bd, v87
	v_div_scale_f32 v89, s[0:1], v88, v88, 1.0
	v_rcp_f32_e32 v92, v89
	s_barrier
	v_fma_f32 v93, -v89, v92, 1.0
	v_fmac_f32_e32 v92, v93, v92
	v_div_scale_f32 v93, vcc, 1.0, v88, 1.0
	v_mul_f32_e32 v82, v93, v92
	v_fma_f32 v84, -v89, v82, v93
	v_fmac_f32_e32 v82, v84, v92
	v_fma_f32 v84, -v89, v82, v93
	v_div_fmas_f32 v82, v84, v92, v82
	v_cmp_eq_u32_e32 vcc, 1, v85
	v_cndmask_b32_e32 v84, v94, v95, vcc
	v_cmp_eq_u32_e32 vcc, 2, v85
	v_cndmask_b32_e32 v84, v84, v90, vcc
	v_cmp_eq_u32_e32 vcc, 3, v85
	v_div_fixup_f32 v82, v82, v88, 1.0
	v_cndmask_b32_e32 v84, v84, v91, vcc
	v_mul_f32_e32 v88, v84, v82
	v_pk_mul_f32 v[68:69], v[88:89], v[68:69] op_sel_hi:[0,1]
	v_bfe_u32 v82, v69, 16, 1
	v_bfe_u32 v84, v68, 16, 1
	v_pk_mul_f32 v[78:79], v[88:89], v[78:79] op_sel_hi:[0,1]
	v_add3_u32 v68, v68, v84, s8
	v_add3_u32 v69, v69, v82, s8
	v_perm_b32 v90, v69, v68, s9
	v_bfe_u32 v68, v79, 16, 1
	v_bfe_u32 v69, v78, 16, 1
	v_add3_u32 v69, v78, v69, s8
	v_add3_u32 v68, v79, v68, s8
	v_perm_b32 v91, v68, v69, s9
	v_lshlrev_b32_e32 v69, 3, v1
	v_lshlrev_b32_e32 v68, 5, v83
	;; [unrolled: 1-line block ×3, first 2 shown]
	v_pk_mul_f32 v[70:71], v[88:89], v[70:71] op_sel_hi:[0,1]
	v_or3_b32 v78, v78, v68, v69
	v_bfe_u32 v69, v71, 16, 1
	v_bfe_u32 v79, v70, 16, 1
	v_pk_mul_f32 v[80:81], v[88:89], v[80:81] op_sel_hi:[0,1]
	v_add3_u32 v70, v70, v79, s8
	v_add3_u32 v69, v71, v69, s8
	v_perm_b32 v70, v69, v70, s9
	v_bfe_u32 v69, v81, 16, 1
	v_bfe_u32 v71, v80, 16, 1
	v_add3_u32 v71, v80, v71, s8
	v_add3_u32 v69, v81, v69, s8
	v_perm_b32 v71, v69, v71, s9
	v_pk_mul_f32 v[72:73], v[88:89], v[72:73] op_sel_hi:[0,1]
	ds_write2st64_b64 v78, v[90:91], v[70:71] offset1:1
	v_pk_mul_f32 v[70:71], v[88:89], v[76:77] op_sel_hi:[0,1]
	v_bfe_u32 v69, v73, 16, 1
	v_bfe_u32 v76, v72, 16, 1
	v_add3_u32 v72, v72, v76, s8
	v_add3_u32 v69, v73, v69, s8
	v_perm_b32 v72, v69, v72, s9
	v_bfe_u32 v69, v71, 16, 1
	v_bfe_u32 v73, v70, 16, 1
	v_add3_u32 v70, v70, v73, s8
	v_add3_u32 v69, v71, v69, s8
	v_perm_b32 v73, v69, v70, s9
	v_pk_mul_f32 v[70:71], v[88:89], v[74:75] op_sel_hi:[0,1]
	v_bfe_u32 v69, v71, 16, 1
	v_bfe_u32 v74, v70, 16, 1
	v_pk_mul_f32 v[66:67], v[88:89], v[66:67] op_sel_hi:[0,1]
	v_add3_u32 v70, v70, v74, s8
	v_add3_u32 v69, v71, v69, s8
	v_perm_b32 v70, v69, v70, s9
	v_bfe_u32 v69, v67, 16, 1
	v_bfe_u32 v71, v66, 16, 1
	v_add3_u32 v66, v66, v71, s8
	v_add3_u32 v67, v67, v69, s8
	s_mul_i32 s3, s33, 6
	v_perm_b32 v71, v67, v66, s9
	v_cmp_gt_u32_e32 vcc, 6, v0
	ds_write2st64_b64 v78, v[72:73], v[70:71] offset0:2 offset1:3
	s_and_saveexec_b64 s[0:1], vcc
	s_cbranch_execz .LBB329_15
; %bb.14:
	v_add_co_u32_e32 v70, vcc, s27, v83
	v_addc_co_u32_e64 v71, s[10:11], 0, 0, vcc
	v_mov_b32_e32 v66, s3
	v_mov_b32_e32 v67, 0
	v_mad_u64_u32 v[70:71], s[10:11], s6, v66, v[70:71]
	v_mov_b32_e32 v66, s26
	s_load_dwordx4 s[12:15], s[4:5], 0x58
	s_mul_i32 s7, s7, s3
	v_mad_u64_u32 v[66:67], s[10:11], v70, s2, v[66:67]
	v_add_u32_e32 v69, s7, v71
	v_mov_b32_e32 v70, v67
	v_mad_u64_u32 v[70:71], s[10:11], v69, s2, v[70:71]
	v_mov_b32_e32 v67, v70
	v_lshlrev_b64 v[66:67], 2, v[66:67]
	s_waitcnt lgkmcnt(0)
	v_mov_b32_e32 v69, s15
	v_add_co_u32_e32 v70, vcc, s14, v66
	v_addc_co_u32_e32 v71, vcc, v69, v67, vcc
	v_mov_b32_e32 v69, s13
	v_add_co_u32_e32 v66, vcc, s12, v66
	v_addc_co_u32_e32 v67, vcc, v69, v67, vcc
	global_store_dword v[70:71], v86, off
	global_store_dword v[66:67], v87, off
.LBB329_15:
	s_or_b64 exec, exec, s[0:1]
	v_lshl_or_b32 v79, v1, 9, v68
	s_waitcnt lgkmcnt(0)
	s_barrier
	ds_read_b128 v[70:73], v79
	ds_read_b128 v[66:69], v79 offset:16
	s_waitcnt vmcnt(15) lgkmcnt(1)
	v_mfma_f32_16x16x16bf16_1k v[74:77], v[46:47], v[70:71], 0
	s_mov_b32 s1, 0
	v_cmp_gt_u32_e32 vcc, 64, v0
	v_mfma_f32_16x16x16bf16_1k v[46:49], v[48:49], v[72:73], v[74:77]
	s_waitcnt vmcnt(14) lgkmcnt(0)
	v_mfma_f32_16x16x16bf16_1k v[46:49], v[42:43], v[66:67], v[46:49]
	v_mfma_f32_16x16x16bf16_1k v[42:45], v[44:45], v[68:69], v[46:49]
	s_nop 7
	s_nop 1
	ds_read_b128 v[46:49], v79 offset:2048
	ds_read_b128 v[74:77], v79 offset:2064
	s_waitcnt vmcnt(13) lgkmcnt(1)
	v_mfma_f32_16x16x16bf16_1k v[42:45], v[38:39], v[46:47], v[42:45]
	v_mfma_f32_16x16x16bf16_1k v[38:41], v[40:41], v[48:49], v[42:45]
	s_waitcnt vmcnt(12) lgkmcnt(0)
	v_mfma_f32_16x16x16bf16_1k v[38:41], v[34:35], v[74:75], v[38:41]
	v_mfma_f32_16x16x16bf16_1k v[34:37], v[36:37], v[76:77], v[38:41]
	s_nop 7
	s_nop 1
	ds_read_b128 v[38:41], v79 offset:4096
	ds_read_b128 v[42:45], v79 offset:4112
	s_waitcnt vmcnt(11) lgkmcnt(1)
	v_mfma_f32_16x16x16bf16_1k v[34:37], v[30:31], v[38:39], v[34:37]
	v_mfma_f32_16x16x16bf16_1k v[30:33], v[32:33], v[40:41], v[34:37]
	s_waitcnt vmcnt(10) lgkmcnt(0)
	v_mfma_f32_16x16x16bf16_1k v[30:33], v[26:27], v[42:43], v[30:33]
	v_mfma_f32_16x16x16bf16_1k v[26:29], v[28:29], v[44:45], v[30:33]
	s_nop 7
	s_nop 1
	ds_read_b128 v[30:33], v79 offset:6144
	ds_read_b128 v[34:37], v79 offset:6160
	s_waitcnt lgkmcnt(0)
	s_barrier
	s_waitcnt vmcnt(9)
	v_mfma_f32_16x16x16bf16_1k v[26:29], v[22:23], v[30:31], v[26:29]
	v_mfma_f32_16x16x16bf16_1k v[22:25], v[24:25], v[32:33], v[26:29]
	s_waitcnt vmcnt(8)
	v_mfma_f32_16x16x16bf16_1k v[22:25], v[18:19], v[34:35], v[22:25]
	v_mfma_f32_16x16x16bf16_1k v[18:21], v[20:21], v[36:37], v[22:25]
	;; [unrolled: 3-line block ×4, first 2 shown]
	s_waitcnt vmcnt(5)
	v_mfma_f32_16x16x16bf16_1k v[2:5], v[14:15], v[46:47], v[2:5]
	s_nop 7
	v_bfe_u32 v6, v19, 16, 1
	v_bfe_u32 v7, v18, 16, 1
	v_add3_u32 v7, v18, v7, s8
	v_add3_u32 v6, v19, v6, s8
	v_perm_b32 v6, v6, v7, s9
	v_bfe_u32 v7, v21, 16, 1
	v_bfe_u32 v8, v20, 16, 1
	v_mfma_f32_16x16x16bf16_1k v[2:5], v[16:17], v[48:49], v[2:5]
	v_add3_u32 v8, v20, v8, s8
	v_add3_u32 v7, v21, v7, s8
	v_perm_b32 v7, v7, v8, s9
	s_waitcnt vmcnt(4)
	v_mfma_f32_16x16x16bf16_1k v[2:5], v[10:11], v[74:75], v[2:5]
	v_mfma_f32_16x16x16bf16_1k v[2:5], v[12:13], v[76:77], v[2:5]
	s_waitcnt vmcnt(3)
	v_mfma_f32_16x16x16bf16_1k v[2:5], v[54:55], v[38:39], v[2:5]
	v_mfma_f32_16x16x16bf16_1k v[2:5], v[56:57], v[40:41], v[2:5]
	;; [unrolled: 3-line block ×5, first 2 shown]
	s_nop 7
	s_nop 2
	v_bfe_u32 v8, v3, 16, 1
	v_bfe_u32 v9, v2, 16, 1
	v_add3_u32 v2, v2, v9, s8
	v_add3_u32 v3, v3, v8, s8
	v_perm_b32 v2, v3, v2, s9
	v_bfe_u32 v3, v5, 16, 1
	v_bfe_u32 v8, v4, 16, 1
	v_add3_u32 v4, v4, v8, s8
	v_add3_u32 v3, v5, v3, s8
	v_perm_b32 v3, v3, v4, s9
	ds_write2st64_b64 v78, v[6:7], v[2:3] offset1:1
	s_waitcnt lgkmcnt(0)
	s_barrier
	s_and_saveexec_b64 s[8:9], vcc
	s_cbranch_execz .LBB329_18
; %bb.16:
	v_lshlrev_b32_e32 v5, 6, v83
	v_lshlrev_b32_e32 v4, 4, v0
	v_lshl_or_b32 v0, v0, 10, v5
	v_lshlrev_b32_e32 v3, 5, v1
	v_and_b32_e32 v4, 16, v4
	v_and_b32_e32 v0, 0x1a00, v0
	v_or3_b32 v0, v0, v3, v4
	buffer_load_dword v3, off, s[44:47], 0  ; 4-byte Folded Reload
	s_load_dwordx2 s[4:5], s[4:5], 0x68
	s_lshl_b32 s2, s2, 7
	s_mul_i32 s0, s3, s6
	s_mul_hi_u32 s7, s0, s2
	s_mul_i32 s6, s0, s2
	s_lshl_b64 s[6:7], s[6:7], 1
	s_waitcnt lgkmcnt(0)
	s_add_u32 s3, s4, s6
	s_addc_u32 s4, s5, s7
	s_lshl_b32 s0, s26, 7
	s_lshl_b64 s[0:1], s[0:1], 1
	s_add_u32 s0, s3, s0
	v_or_b32_e32 v2, 4, v1
	s_addc_u32 s1, s4, s1
	v_add_u32_e32 v1, s27, v1
	v_mov_b32_e32 v4, s1
	ds_read_b128 v[6:9], v0
	s_waitcnt vmcnt(0)
	v_add_co_u32_e32 v3, vcc, s0, v3
	v_mad_u64_u32 v[10:11], s[0:1], v1, s2, 0
	v_addc_co_u32_e32 v4, vcc, 0, v4, vcc
	v_lshlrev_b64 v[10:11], 1, v[10:11]
	v_add_co_u32_e32 v10, vcc, v3, v10
	v_addc_co_u32_e32 v11, vcc, v4, v11, vcc
	v_cmp_gt_u32_e32 vcc, 6, v2
	s_waitcnt lgkmcnt(0)
	global_store_dwordx4 v[10:11], v[6:9], off
	s_and_b64 exec, exec, vcc
	s_cbranch_execz .LBB329_18
; %bb.17:
	ds_read_b128 v[6:9], v0 offset:128
	v_add_u32_e32 v0, s27, v2
	v_mad_u64_u32 v[0:1], s[0:1], v0, s2, 0
	v_lshlrev_b64 v[0:1], 1, v[0:1]
	v_add_co_u32_e32 v0, vcc, v3, v0
	v_addc_co_u32_e32 v1, vcc, v4, v1, vcc
	s_waitcnt lgkmcnt(0)
	global_store_dwordx4 v[0:1], v[6:9], off
.LBB329_18:
	s_endpgm
	.section	.rodata,"a",@progbits
	.p2align	6, 0x0
	.amdhsa_kernel _Z39paged_attention_ll4mi_QKV_mfma16_kernelI14__hip_bfloat16S0_LN4vllm18Fp8KVCacheDataTypeE0ES0_Li16ELi128ELi256ELb0ELi6EL8MFMAType0EEvPKT_PKT0_S9_ifPKiSB_SB_iPKfiiiPfSE_PS4_PT2_iSD_SD_
		.amdhsa_group_segment_fixed_size 8192
		.amdhsa_private_segment_fixed_size 8
		.amdhsa_kernarg_size 400
		.amdhsa_user_sgpr_count 6
		.amdhsa_user_sgpr_private_segment_buffer 1
		.amdhsa_user_sgpr_dispatch_ptr 0
		.amdhsa_user_sgpr_queue_ptr 0
		.amdhsa_user_sgpr_kernarg_segment_ptr 1
		.amdhsa_user_sgpr_dispatch_id 0
		.amdhsa_user_sgpr_flat_scratch_init 0
		.amdhsa_user_sgpr_kernarg_preload_length 0
		.amdhsa_user_sgpr_kernarg_preload_offset 0
		.amdhsa_user_sgpr_private_segment_size 0
		.amdhsa_uses_dynamic_stack 0
		.amdhsa_system_sgpr_private_segment_wavefront_offset 1
		.amdhsa_system_sgpr_workgroup_id_x 1
		.amdhsa_system_sgpr_workgroup_id_y 1
		.amdhsa_system_sgpr_workgroup_id_z 1
		.amdhsa_system_sgpr_workgroup_info 0
		.amdhsa_system_vgpr_workitem_id 0
		.amdhsa_next_free_vgpr 96
		.amdhsa_next_free_sgpr 48
		.amdhsa_accum_offset 96
		.amdhsa_reserve_vcc 1
		.amdhsa_reserve_flat_scratch 0
		.amdhsa_float_round_mode_32 0
		.amdhsa_float_round_mode_16_64 0
		.amdhsa_float_denorm_mode_32 3
		.amdhsa_float_denorm_mode_16_64 3
		.amdhsa_dx10_clamp 1
		.amdhsa_ieee_mode 1
		.amdhsa_fp16_overflow 0
		.amdhsa_tg_split 0
		.amdhsa_exception_fp_ieee_invalid_op 0
		.amdhsa_exception_fp_denorm_src 0
		.amdhsa_exception_fp_ieee_div_zero 0
		.amdhsa_exception_fp_ieee_overflow 0
		.amdhsa_exception_fp_ieee_underflow 0
		.amdhsa_exception_fp_ieee_inexact 0
		.amdhsa_exception_int_div_zero 0
	.end_amdhsa_kernel
	.section	.text._Z39paged_attention_ll4mi_QKV_mfma16_kernelI14__hip_bfloat16S0_LN4vllm18Fp8KVCacheDataTypeE0ES0_Li16ELi128ELi256ELb0ELi6EL8MFMAType0EEvPKT_PKT0_S9_ifPKiSB_SB_iPKfiiiPfSE_PS4_PT2_iSD_SD_,"axG",@progbits,_Z39paged_attention_ll4mi_QKV_mfma16_kernelI14__hip_bfloat16S0_LN4vllm18Fp8KVCacheDataTypeE0ES0_Li16ELi128ELi256ELb0ELi6EL8MFMAType0EEvPKT_PKT0_S9_ifPKiSB_SB_iPKfiiiPfSE_PS4_PT2_iSD_SD_,comdat
.Lfunc_end329:
	.size	_Z39paged_attention_ll4mi_QKV_mfma16_kernelI14__hip_bfloat16S0_LN4vllm18Fp8KVCacheDataTypeE0ES0_Li16ELi128ELi256ELb0ELi6EL8MFMAType0EEvPKT_PKT0_S9_ifPKiSB_SB_iPKfiiiPfSE_PS4_PT2_iSD_SD_, .Lfunc_end329-_Z39paged_attention_ll4mi_QKV_mfma16_kernelI14__hip_bfloat16S0_LN4vllm18Fp8KVCacheDataTypeE0ES0_Li16ELi128ELi256ELb0ELi6EL8MFMAType0EEvPKT_PKT0_S9_ifPKiSB_SB_iPKfiiiPfSE_PS4_PT2_iSD_SD_
                                        ; -- End function
	.section	.AMDGPU.csdata,"",@progbits
; Kernel info:
; codeLenInByte = 4896
; NumSgprs: 52
; NumVgprs: 96
; NumAgprs: 0
; TotalNumVgprs: 96
; ScratchSize: 8
; MemoryBound: 0
; FloatMode: 240
; IeeeMode: 1
; LDSByteSize: 8192 bytes/workgroup (compile time only)
; SGPRBlocks: 6
; VGPRBlocks: 11
; NumSGPRsForWavesPerEU: 52
; NumVGPRsForWavesPerEU: 96
; AccumOffset: 96
; Occupancy: 5
; WaveLimiterHint : 1
; COMPUTE_PGM_RSRC2:SCRATCH_EN: 1
; COMPUTE_PGM_RSRC2:USER_SGPR: 6
; COMPUTE_PGM_RSRC2:TRAP_HANDLER: 0
; COMPUTE_PGM_RSRC2:TGID_X_EN: 1
; COMPUTE_PGM_RSRC2:TGID_Y_EN: 1
; COMPUTE_PGM_RSRC2:TGID_Z_EN: 1
; COMPUTE_PGM_RSRC2:TIDIG_COMP_CNT: 0
; COMPUTE_PGM_RSRC3_GFX90A:ACCUM_OFFSET: 23
; COMPUTE_PGM_RSRC3_GFX90A:TG_SPLIT: 0
	.section	.text._Z39paged_attention_ll4mi_QKV_mfma16_kernelI14__hip_bfloat16S0_LN4vllm18Fp8KVCacheDataTypeE0ES0_Li16ELi128ELi256ELb0ELi7EL8MFMAType0EEvPKT_PKT0_S9_ifPKiSB_SB_iPKfiiiPfSE_PS4_PT2_iSD_SD_,"axG",@progbits,_Z39paged_attention_ll4mi_QKV_mfma16_kernelI14__hip_bfloat16S0_LN4vllm18Fp8KVCacheDataTypeE0ES0_Li16ELi128ELi256ELb0ELi7EL8MFMAType0EEvPKT_PKT0_S9_ifPKiSB_SB_iPKfiiiPfSE_PS4_PT2_iSD_SD_,comdat
	.protected	_Z39paged_attention_ll4mi_QKV_mfma16_kernelI14__hip_bfloat16S0_LN4vllm18Fp8KVCacheDataTypeE0ES0_Li16ELi128ELi256ELb0ELi7EL8MFMAType0EEvPKT_PKT0_S9_ifPKiSB_SB_iPKfiiiPfSE_PS4_PT2_iSD_SD_ ; -- Begin function _Z39paged_attention_ll4mi_QKV_mfma16_kernelI14__hip_bfloat16S0_LN4vllm18Fp8KVCacheDataTypeE0ES0_Li16ELi128ELi256ELb0ELi7EL8MFMAType0EEvPKT_PKT0_S9_ifPKiSB_SB_iPKfiiiPfSE_PS4_PT2_iSD_SD_
	.globl	_Z39paged_attention_ll4mi_QKV_mfma16_kernelI14__hip_bfloat16S0_LN4vllm18Fp8KVCacheDataTypeE0ES0_Li16ELi128ELi256ELb0ELi7EL8MFMAType0EEvPKT_PKT0_S9_ifPKiSB_SB_iPKfiiiPfSE_PS4_PT2_iSD_SD_
	.p2align	8
	.type	_Z39paged_attention_ll4mi_QKV_mfma16_kernelI14__hip_bfloat16S0_LN4vllm18Fp8KVCacheDataTypeE0ES0_Li16ELi128ELi256ELb0ELi7EL8MFMAType0EEvPKT_PKT0_S9_ifPKiSB_SB_iPKfiiiPfSE_PS4_PT2_iSD_SD_,@function
_Z39paged_attention_ll4mi_QKV_mfma16_kernelI14__hip_bfloat16S0_LN4vllm18Fp8KVCacheDataTypeE0ES0_Li16ELi128ELi256ELb0ELi7EL8MFMAType0EEvPKT_PKT0_S9_ifPKiSB_SB_iPKfiiiPfSE_PS4_PT2_iSD_SD_: ; @_Z39paged_attention_ll4mi_QKV_mfma16_kernelI14__hip_bfloat16S0_LN4vllm18Fp8KVCacheDataTypeE0ES0_Li16ELi128ELi256ELb0ELi7EL8MFMAType0EEvPKT_PKT0_S9_ifPKiSB_SB_iPKfiiiPfSE_PS4_PT2_iSD_SD_
; %bb.0:
	s_mov_b64 s[46:47], s[2:3]
	s_mov_b64 s[44:45], s[0:1]
	s_load_dwordx2 s[0:1], s[4:5], 0x30
	s_add_u32 s44, s44, s9
	s_addc_u32 s45, s45, 0
	s_mov_b32 s26, s7
	s_mov_b64 s[10:11], 0
	s_waitcnt lgkmcnt(0)
	s_cmp_lg_u64 s[0:1], 0
	s_cselect_b64 s[2:3], -1, 0
	s_and_b64 vcc, exec, s[2:3]
	s_cbranch_vccz .LBB330_7
; %bb.1:
	s_add_i32 s12, s6, 1
	s_mov_b32 s13, 0
	s_lshl_b64 s[14:15], s[12:13], 2
	s_add_u32 s14, s0, s14
	s_mov_b32 s7, s13
	s_addc_u32 s15, s1, s15
	s_lshl_b64 s[12:13], s[6:7], 2
	s_add_u32 s12, s0, s12
	s_addc_u32 s13, s1, s13
	s_load_dword s9, s[14:15], 0x0
	s_load_dword s16, s[12:13], 0x0
	s_waitcnt lgkmcnt(0)
	s_sub_i32 s9, s9, s16
	s_cmp_eq_u32 s9, 1
	s_cselect_b64 s[12:13], -1, 0
	s_andn2_b64 vcc, exec, s[10:11]
	s_cbranch_vccnz .LBB330_3
.LBB330_2:
	s_mov_b32 s7, 0
	s_mov_b64 s[12:13], -1
.LBB330_3:
	s_andn2_b64 vcc, exec, s[12:13]
	s_cbranch_vccnz .LBB330_18
; %bb.4:
	s_load_dwordx2 s[12:13], s[4:5], 0x28
	s_lshl_b64 s[10:11], s[6:7], 2
	s_waitcnt lgkmcnt(0)
	s_add_u32 s12, s12, s10
	s_addc_u32 s13, s13, s11
	s_load_dword s38, s[12:13], 0x0
	s_lshl_b32 s9, s26, 8
	s_waitcnt lgkmcnt(0)
	s_cmp_ge_i32 s9, s38
	s_cbranch_scc1 .LBB330_18
; %bb.5:
	s_add_i32 s15, s38, 15
	s_load_dwordx2 s[12:13], s[4:5], 0x20
	s_load_dword s14, s[4:5], 0x38
	s_ashr_i32 s16, s15, 31
	v_and_b32_e32 v1, 0xcf, v0
	s_lshr_b32 s16, s16, 28
	v_add_u32_e32 v1, s9, v1
	s_add_i32 s15, s15, s16
	v_ashrrev_i32_e32 v2, 31, v1
	s_ashr_i32 s18, s15, 4
	v_lshrrev_b32_e32 v6, 28, v2
	s_add_i32 s18, s18, -1
	v_add_u32_e32 v2, v1, v6
	s_waitcnt lgkmcnt(0)
	s_mul_i32 s14, s6, s14
	s_mov_b32 s15, 0
	v_ashrrev_i32_e32 v2, 4, v2
	v_mov_b32_e32 v7, s18
	v_cmp_gt_i32_e32 vcc, s38, v1
	s_lshl_b64 s[14:15], s[14:15], 2
	v_cndmask_b32_e32 v2, v7, v2, vcc
	s_add_u32 s16, s12, s14
	v_ashrrev_i32_e32 v3, 31, v2
	s_addc_u32 s17, s13, s15
	v_lshlrev_b64 v[2:3], 2, v[2:3]
	v_mov_b32_e32 v5, s17
	v_add_co_u32_e32 v4, vcc, s16, v2
	v_or_b32_e32 v2, 16, v1
	v_addc_co_u32_e32 v5, vcc, v5, v3, vcc
	v_add_u32_e32 v3, v2, v6
	v_ashrrev_i32_e32 v3, 4, v3
	v_cmp_gt_i32_e32 vcc, s38, v2
	v_cndmask_b32_e32 v2, v7, v3, vcc
	v_ashrrev_i32_e32 v3, 31, v2
	v_lshlrev_b64 v[2:3], 2, v[2:3]
	v_mov_b32_e32 v9, s17
	v_add_co_u32_e32 v8, vcc, s16, v2
	v_or_b32_e32 v2, 32, v1
	v_addc_co_u32_e32 v9, vcc, v9, v3, vcc
	v_add_u32_e32 v3, v2, v6
	v_ashrrev_i32_e32 v3, 4, v3
	v_cmp_gt_i32_e32 vcc, s38, v2
	v_cndmask_b32_e32 v2, v7, v3, vcc
	v_ashrrev_i32_e32 v3, 31, v2
	;; [unrolled: 10-line block ×3, first 2 shown]
	v_lshlrev_b64 v[2:3], 2, v[2:3]
	v_mov_b32_e32 v1, s17
	v_add_co_u32_e32 v12, vcc, s16, v2
	v_addc_co_u32_e32 v13, vcc, v1, v3, vcc
	global_load_dword v3, v[4:5], off
	global_load_dword v2, v[8:9], off
	;; [unrolled: 1-line block ×4, first 2 shown]
	s_load_dwordx4 s[12:15], s[4:5], 0x8
	s_andn2_b64 vcc, exec, s[2:3]
	s_cbranch_vccnz .LBB330_8
; %bb.6:
	s_add_u32 s0, s0, s10
	s_addc_u32 s1, s1, s11
	s_load_dword s19, s[0:1], 0x0
	s_branch .LBB330_9
.LBB330_7:
	s_mov_b64 s[12:13], 0
	s_branch .LBB330_2
.LBB330_8:
	s_mov_b32 s19, s6
.LBB330_9:
	s_load_dwordx4 s[0:3], s[4:5], 0x48
	v_lshrrev_b32_e32 v85, 6, v0
	v_bfe_u32 v1, v0, 4, 2
	v_and_b32_e32 v83, 15, v0
	v_lshl_or_b32 v4, v85, 2, v1
	v_lshlrev_b32_e32 v5, 3, v83
	v_and_b32_e32 v86, 63, v0
	s_mul_i32 s27, s8, 7
	v_cmp_gt_u32_e32 vcc, 7, v4
	v_lshlrev_b32_e32 v5, 1, v5
	buffer_store_dword v5, off, s[44:47], 0 ; 4-byte Folded Spill
	s_and_saveexec_b64 s[10:11], vcc
	s_cbranch_execz .LBB330_11
; %bb.10:
	s_load_dwordx2 s[20:21], s[4:5], 0x0
	s_waitcnt lgkmcnt(0)
	s_ashr_i32 s3, s0, 31
	s_mul_hi_u32 s22, s19, s0
	s_mul_i32 s3, s19, s3
	s_add_i32 s23, s22, s3
	s_mul_i32 s22, s19, s0
	v_add_lshl_u32 v8, v4, s27, 7
	s_lshl_b64 s[22:23], s[22:23], 1
	v_ashrrev_i32_e32 v9, 31, v8
	s_add_u32 s0, s20, s22
	v_lshlrev_b64 v[8:9], 1, v[8:9]
	v_add_co_u32_e32 v7, vcc, s0, v8
	buffer_load_dword v8, off, s[44:47], 0  ; 4-byte Folded Reload
	s_addc_u32 s3, s21, s23
	v_mov_b32_e32 v5, s3
	v_addc_co_u32_e32 v5, vcc, v5, v9, vcc
	v_lshlrev_b32_e32 v4, 5, v4
	s_waitcnt vmcnt(0)
	v_add_co_u32_e32 v8, vcc, v7, v8
	v_addc_co_u32_e32 v9, vcc, 0, v5, vcc
	global_load_dwordx4 v[8:11], v[8:9], off
	v_and_b32_e32 v5, 3, v0
	v_lshlrev_b32_e32 v7, 9, v83
	v_lshlrev_b32_e32 v5, 9, v5
	v_and_b32_e32 v7, 0x1800, v7
	v_or3_b32 v4, v7, v5, v4
	s_waitcnt vmcnt(0)
	ds_write_b128 v4, v[8:11]
.LBB330_11:
	s_or_b64 exec, exec, s[10:11]
	s_waitcnt lgkmcnt(0)
	s_mul_i32 s2, s8, s2
	s_mov_b32 s3, 0
	s_lshl_b64 s[2:3], s[2:3], 1
	s_add_u32 s8, s12, s2
	v_lshlrev_b32_e32 v7, 4, v0
	s_addc_u32 s10, s13, s3
	v_and_b32_e32 v4, 0xf0, v7
	v_mov_b32_e32 v5, s10
	v_add_co_u32_e32 v29, vcc, s8, v4
	v_addc_co_u32_e32 v30, vcc, 0, v5, vcc
	s_waitcnt vmcnt(4)
	v_mad_i64_i32 v[4:5], s[10:11], v3, s1, 0
	v_lshlrev_b64 v[4:5], 1, v[4:5]
	v_add_co_u32_e32 v3, vcc, v29, v4
	v_addc_co_u32_e32 v4, vcc, v30, v5, vcc
	v_and_b32_e32 v31, 0x300, v7
	v_add_co_u32_e32 v22, vcc, v3, v31
	v_addc_co_u32_e32 v23, vcc, 0, v4, vcc
	s_load_dword s33, s[4:5], 0x98
	s_load_dword s0, s[4:5], 0x1c
	s_waitcnt lgkmcnt(0)
	s_barrier
	global_load_dwordx4 v[10:13], v[22:23], off
	global_load_dwordx4 v[18:21], v[22:23], off offset:1024
	s_waitcnt vmcnt(5)
	v_mad_i64_i32 v[2:3], s[10:11], v2, s1, 0
	v_lshlrev_b64 v[2:3], 1, v[2:3]
	v_add_co_u32_e32 v2, vcc, v29, v2
	v_addc_co_u32_e32 v3, vcc, v30, v3, vcc
	v_add_co_u32_e32 v24, vcc, v2, v31
	v_addc_co_u32_e32 v25, vcc, 0, v3, vcc
	global_load_dwordx4 v[14:17], v[24:25], off
	global_load_dwordx4 v[38:41], v[24:25], off offset:1024
	v_mul_lo_u16_e32 v2, 37, v83
	v_mov_b32_e32 v3, 7
	v_mul_lo_u16_sdwa v2, v2, v3 dst_sel:DWORD dst_unused:UNUSED_PAD src0_sel:BYTE_1 src1_sel:DWORD
	v_mov_b32_e32 v4, 5
	v_sub_u16_e32 v2, v83, v2
	v_lshlrev_b32_sdwa v2, v4, v2 dst_sel:DWORD dst_unused:UNUSED_PAD src0_sel:DWORD src1_sel:BYTE_0
	v_lshl_add_u32 v32, v1, 9, v2
	ds_read_b128 v[2:5], v32
	s_waitcnt vmcnt(6)
	v_mad_i64_i32 v[6:7], s[10:11], v6, s1, 0
	v_lshlrev_b64 v[26:27], 1, v[6:7]
	ds_read_b128 v[6:9], v32 offset:2048
	v_and_or_b32 v62, v0, 48, s9
	v_mov_b32_e32 v63, s18
	v_mov_b32_e32 v68, s17
	s_add_u32 s8, s14, s2
	v_lshl_or_b32 v87, v85, 4, v83
	v_lshlrev_b32_e32 v76, 5, v87
	s_mov_b32 s40, 0xff7fffff
	s_waitcnt vmcnt(3) lgkmcnt(1)
	v_mfma_f32_16x16x16bf16_1k v[34:37], v[10:11], v[2:3], 0
	v_add_co_u32_e32 v10, vcc, v29, v26
	v_addc_co_u32_e32 v11, vcc, v30, v27, vcc
	v_add_co_u32_e32 v26, vcc, v10, v31
	v_addc_co_u32_e32 v27, vcc, 0, v11, vcc
	global_load_dwordx4 v[46:49], v[26:27], off
	global_load_dwordx4 v[58:61], v[26:27], off offset:1024
	s_waitcnt vmcnt(3)
	v_mfma_f32_16x16x16bf16_1k v[42:45], v[14:15], v[2:3], 0
	v_cmp_gt_i32_e32 vcc, s38, v62
	v_mfma_f32_16x16x16bf16_1k v[14:17], v[16:17], v[4:5], v[42:45]
	s_nop 7
	s_nop 0
	global_load_dwordx4 v[42:45], v[22:23], off offset:2048
	v_mfma_f32_16x16x16bf16_1k v[10:13], v[12:13], v[4:5], v[34:37]
	s_waitcnt vmcnt(3) lgkmcnt(0)
	v_mfma_f32_16x16x16bf16_1k v[14:17], v[38:39], v[6:7], v[14:17]
	v_mfma_f32_16x16x16bf16_1k v[10:13], v[18:19], v[6:7], v[10:13]
	;; [unrolled: 1-line block ×3, first 2 shown]
	global_load_dwordx4 v[38:41], v[22:23], off offset:3072
	v_mfma_f32_16x16x16bf16_1k v[18:21], v[20:21], v[8:9], v[10:13]
	s_waitcnt vmcnt(3)
	v_mfma_f32_16x16x16bf16_1k v[50:53], v[46:47], v[2:3], 0
	v_mfma_f32_16x16x16bf16_1k v[34:37], v[48:49], v[4:5], v[50:53]
	global_load_dwordx4 v[46:49], v[24:25], off offset:2048
	s_nop 3
	ds_read_b128 v[10:13], v32 offset:4096
	s_nop 3
	ds_read_b128 v[50:53], v32 offset:6144
	global_load_dwordx4 v[22:25], v[24:25], off offset:3072
	v_mad_i64_i32 v[32:33], s[10:11], v28, s1, 0
	v_mov_b32_e32 v28, s17
	s_addc_u32 s10, s15, s3
	s_waitcnt vmcnt(3) lgkmcnt(1)
	v_mfma_f32_16x16x16bf16_1k v[18:21], v[42:43], v[10:11], v[18:21]
	v_mfma_f32_16x16x16bf16_1k v[18:21], v[44:45], v[12:13], v[18:21]
	global_load_dwordx4 v[42:45], v[26:27], off offset:2048
	s_waitcnt vmcnt(3) lgkmcnt(0)
	v_mfma_f32_16x16x16bf16_1k v[18:21], v[38:39], v[50:51], v[18:21]
	v_or_b32_e32 v38, 64, v62
	v_ashrrev_i32_e32 v39, 4, v38
	v_mfma_f32_16x16x16bf16_1k v[54:57], v[40:41], v[52:53], v[18:21]
	s_waitcnt vmcnt(2)
	v_mfma_f32_16x16x16bf16_1k v[14:17], v[46:47], v[10:11], v[14:17]
	v_mfma_f32_16x16x16bf16_1k v[14:17], v[48:49], v[12:13], v[14:17]
	global_load_dwordx4 v[46:49], v[26:27], off offset:3072
	v_lshlrev_b64 v[26:27], 1, v[32:33]
	v_ashrrev_i32_e32 v32, 4, v62
	v_cndmask_b32_e32 v32, v63, v32, vcc
	v_ashrrev_i32_e32 v33, 31, v32
	v_cmp_gt_i32_e32 vcc, s38, v38
	v_cndmask_b32_e32 v38, v63, v39, vcc
	s_waitcnt vmcnt(2)
	v_mfma_f32_16x16x16bf16_1k v[14:17], v[22:23], v[50:51], v[14:17]
	v_lshlrev_b64 v[22:23], 2, v[32:33]
	v_add_co_u32_e32 v22, vcc, s16, v22
	v_addc_co_u32_e32 v23, vcc, v28, v23, vcc
	v_add_co_u32_e32 v18, vcc, v29, v26
	v_addc_co_u32_e32 v19, vcc, v30, v27, vcc
	;; [unrolled: 2-line block ×3, first 2 shown]
	v_mfma_f32_16x16x16bf16_1k v[64:67], v[24:25], v[52:53], v[14:17]
	global_load_dword v30, v[22:23], off
	v_ashrrev_i32_e32 v39, 31, v38
	v_lshlrev_b64 v[32:33], 2, v[38:39]
	v_add_co_u32_e32 v18, vcc, s16, v32
	v_addc_co_u32_e32 v19, vcc, v68, v33, vcc
	s_nop 1
	global_load_dwordx4 v[14:17], v[26:27], off
	global_load_dword v31, v[18:19], off
	s_nop 0
	global_load_dwordx4 v[18:21], v[26:27], off offset:1024
	global_load_dwordx4 v[68:71], v[26:27], off offset:2048
	;; [unrolled: 1-line block ×3, first 2 shown]
	v_mfma_f32_16x16x16bf16_1k v[22:25], v[58:59], v[6:7], v[34:37]
	v_or_b32_e32 v28, 0x80, v62
	v_ashrrev_i32_e32 v29, 4, v28
	v_cmp_gt_i32_e32 vcc, s38, v28
	v_cndmask_b32_e32 v28, v63, v29, vcc
	v_ashrrev_i32_e32 v29, 31, v28
	v_lshlrev_b64 v[28:29], 2, v[28:29]
	v_mov_b32_e32 v32, s17
	v_mfma_f32_16x16x16bf16_1k v[22:25], v[60:61], v[8:9], v[22:25]
	v_add_co_u32_e32 v28, vcc, s16, v28
	v_addc_co_u32_e32 v29, vcc, v32, v29, vcc
	global_load_dword v32, v[28:29], off
	v_or_b32_e32 v28, 0xc0, v62
	v_ashrrev_i32_e32 v29, 4, v28
	v_cmp_gt_i32_e32 vcc, s38, v28
	v_cndmask_b32_e32 v28, v63, v29, vcc
	v_ashrrev_i32_e32 v29, 31, v28
	v_lshlrev_b64 v[28:29], 2, v[28:29]
	s_waitcnt vmcnt(8)
	v_mfma_f32_16x16x16bf16_1k v[22:25], v[42:43], v[10:11], v[22:25]
	v_mov_b32_e32 v33, s17
	v_add_co_u32_e32 v28, vcc, s16, v28
	v_addc_co_u32_e32 v29, vcc, v33, v29, vcc
	global_load_dword v58, v[28:29], off
	v_mov_b32_e32 v26, s10
	v_mfma_f32_16x16x16bf16_1k v[22:25], v[44:45], v[12:13], v[22:25]
	v_add_co_u32_e32 v77, vcc, s8, v76
	v_addc_co_u32_e32 v78, vcc, 0, v26, vcc
	v_pk_mul_f32 v[80:81], s[0:1], v[66:67] op_sel_hi:[0,1]
	s_waitcnt vmcnt(8)
	v_mfma_f32_16x16x16bf16_1k v[22:25], v[46:47], v[50:51], v[22:25]
	v_mfma_f32_16x16x16bf16_1k v[88:91], v[48:49], v[52:53], v[22:25]
	s_waitcnt vmcnt(7)
	s_nop 7
	s_nop 0
	v_mad_i64_i32 v[22:23], s[2:3], v30, s1, 0
	v_lshlrev_b64 v[62:63], 1, v[22:23]
	s_waitcnt vmcnt(6)
	v_mfma_f32_16x16x16bf16_1k v[22:25], v[14:15], v[2:3], 0
	v_add_co_u32_e32 v2, vcc, v77, v62
	v_addc_co_u32_e32 v3, vcc, v78, v63, vcc
	global_load_dwordx4 v[46:49], v[2:3], off
	global_load_dwordx4 v[42:45], v[2:3], off offset:16
	s_waitcnt vmcnt(7)
	v_mad_i64_i32 v[2:3], s[2:3], v31, s1, 0
	v_lshlrev_b64 v[14:15], 1, v[2:3]
	v_mfma_f32_16x16x16bf16_1k v[2:5], v[16:17], v[4:5], v[22:25]
	v_add_co_u32_e32 v16, vcc, v77, v14
	v_addc_co_u32_e32 v17, vcc, v78, v15, vcc
	global_load_dwordx4 v[38:41], v[16:17], off
	global_load_dwordx4 v[34:37], v[16:17], off offset:16
	s_waitcnt vmcnt(5)
	v_mad_i64_i32 v[16:17], s[2:3], v32, s1, 0
	v_mfma_f32_16x16x16bf16_1k v[2:5], v[18:19], v[6:7], v[2:5]
	v_lshlrev_b64 v[60:61], 1, v[16:17]
	v_add_co_u32_e32 v6, vcc, v77, v60
	v_addc_co_u32_e32 v7, vcc, v78, v61, vcc
	global_load_dwordx4 v[30:33], v[6:7], off
	global_load_dwordx4 v[26:29], v[6:7], off offset:16
	s_waitcnt vmcnt(6)
	v_mad_i64_i32 v[6:7], s[2:3], v58, s1, 0
	v_mfma_f32_16x16x16bf16_1k v[2:5], v[20:21], v[8:9], v[2:5]
	v_lshlrev_b64 v[58:59], 1, v[6:7]
	v_add_co_u32_e32 v6, vcc, v77, v58
	v_addc_co_u32_e32 v7, vcc, v78, v59, vcc
	global_load_dwordx4 v[22:25], v[6:7], off
	global_load_dwordx4 v[18:21], v[6:7], off offset:16
	v_or_b32_e32 v6, 0x800, v76
	v_mfma_f32_16x16x16bf16_1k v[2:5], v[68:69], v[10:11], v[2:5]
	v_mov_b32_e32 v7, s10
	v_add_co_u32_e32 v68, vcc, s8, v6
	v_addc_co_u32_e32 v69, vcc, 0, v7, vcc
	v_pk_mul_f32 v[78:79], s[0:1], v[56:57] op_sel_hi:[0,1]
	v_pk_mul_f32 v[76:77], s[0:1], v[90:91] op_sel_hi:[0,1]
	v_mfma_f32_16x16x16bf16_1k v[10:13], v[70:71], v[12:13], v[2:5]
	v_pk_mul_f32 v[70:71], s[0:1], v[64:65] op_sel_hi:[0,1]
	v_mfma_f32_16x16x16bf16_1k v[92:95], v[72:73], v[50:51], v[10:13]
	s_nop 4
	v_add_co_u32_e32 v2, vcc, v68, v62
	v_addc_co_u32_e32 v3, vcc, v69, v63, vcc
	v_add_co_u32_e32 v62, vcc, v68, v14
	v_addc_co_u32_e32 v63, vcc, v69, v15, vcc
	v_mfma_f32_16x16x16bf16_1k v[50:53], v[74:75], v[52:53], v[92:95]
	global_load_dwordx4 v[6:9], v[2:3], off
	s_nop 0
	global_load_dwordx4 v[2:5], v[2:3], off offset:16
	s_nop 0
	global_load_dwordx4 v[14:17], v[62:63], off
	global_load_dwordx4 v[10:13], v[62:63], off offset:16
	v_pk_mul_f32 v[62:63], s[0:1], v[54:55] op_sel_hi:[0,1]
	v_pk_mul_f32 v[72:73], s[0:1], v[88:89] op_sel_hi:[0,1]
	s_nop 2
	v_pk_mul_f32 v[74:75], s[0:1], v[50:51] op_sel_hi:[0,1]
	v_and_b32_e32 v50, 0xc0, v0
	v_add_u32_e32 v50, s9, v50
	v_lshl_or_b32 v50, v1, 2, v50
	v_pk_mul_f32 v[66:67], s[0:1], v[52:53] op_sel_hi:[0,1]
	v_or_b32_e32 v53, 1, v50
	v_mov_b32_e32 v51, 0xff7fffff
	v_cmp_gt_i32_e64 s[28:29], s38, v50
	v_cmp_gt_i32_e64 s[30:31], s38, v53
	v_cndmask_b32_e64 v52, v51, v62, s[28:29]
	v_cndmask_b32_e64 v53, v51, v63, s[30:31]
	v_max3_f32 v52, v52, s40, v53
	v_or_b32_e32 v53, 2, v50
	v_or_b32_e32 v54, 3, v50
	v_cmp_gt_i32_e64 s[34:35], s38, v53
	v_cmp_gt_i32_e64 s[36:37], s38, v54
	v_cndmask_b32_e64 v53, v51, v78, s[34:35]
	v_cndmask_b32_e64 v54, v51, v79, s[36:37]
	v_max3_f32 v52, v52, v53, v54
	v_or_b32_e32 v53, 16, v50
	v_or_b32_e32 v54, 17, v50
	;; [unrolled: 7-line block ×7, first 2 shown]
	v_cmp_gt_i32_e32 vcc, s38, v53
	v_cmp_gt_i32_e64 s[0:1], s38, v50
	v_cndmask_b32_e32 v53, v51, v66, vcc
	v_cndmask_b32_e64 v50, v51, v67, s[0:1]
	v_max3_f32 v64, v52, v53, v50
	v_mbcnt_lo_u32_b32 v50, -1, 0
	v_mbcnt_hi_u32_b32 v65, -1, v50
	v_and_b32_e32 v50, 64, v65
	v_add_u32_e32 v88, 64, v50
	v_xor_b32_e32 v50, 32, v65
	v_cmp_lt_i32_e64 s[38:39], v50, v88
	v_cndmask_b32_e64 v50, v65, v50, s[38:39]
	v_lshlrev_b32_e32 v89, 2, v50
	ds_bpermute_b32 v90, v89, v64
	v_add_co_u32_e64 v50, s[38:39], v68, v60
	v_addc_co_u32_e64 v51, s[38:39], v69, v61, s[38:39]
	v_xor_b32_e32 v61, 16, v65
	v_cmp_lt_i32_e64 s[38:39], v61, v88
	s_waitcnt lgkmcnt(0)
	v_max_f32_e32 v60, v90, v90
	v_cndmask_b32_e64 v61, v65, v61, s[38:39]
	v_max_f32_e32 v60, v64, v60
	v_lshlrev_b32_e32 v90, 2, v61
	ds_bpermute_b32 v61, v90, v60
	v_add_co_u32_e64 v58, s[38:39], v68, v58
	v_addc_co_u32_e64 v59, s[38:39], v69, v59, s[38:39]
	s_waitcnt lgkmcnt(0)
	v_max_f32_e32 v61, v61, v61
	v_max_f32_e32 v88, v60, v61
	v_sub_f32_e32 v60, v62, v88
	v_mul_f32_e32 v60, 0x3fb8aa3b, v60
	v_exp_f32_e32 v68, v60
	v_sub_f32_e32 v60, v63, v88
	v_mul_f32_e32 v60, 0x3fb8aa3b, v60
	global_load_dwordx4 v[54:57], v[50:51], off
	s_nop 0
	global_load_dwordx4 v[50:53], v[50:51], off offset:16
	v_exp_f32_e32 v69, v60
	global_load_dwordx4 v[62:65], v[58:59], off
	s_nop 0
	global_load_dwordx4 v[58:61], v[58:59], off offset:16
	v_sub_f32_e32 v78, v78, v88
	v_mul_f32_e32 v78, 0x3fb8aa3b, v78
	v_sub_f32_e32 v79, v79, v88
	v_exp_f32_e32 v78, v78
	v_mul_f32_e32 v79, 0x3fb8aa3b, v79
	v_sub_f32_e32 v70, v70, v88
	v_exp_f32_e32 v79, v79
	v_mul_f32_e32 v70, 0x3fb8aa3b, v70
	v_sub_f32_e32 v71, v71, v88
	v_cndmask_b32_e64 v68, 0, v68, s[28:29]
	v_exp_f32_e32 v70, v70
	v_mul_f32_e32 v71, 0x3fb8aa3b, v71
	v_sub_f32_e32 v80, v80, v88
	v_add_f32_e32 v91, 0, v68
	v_cndmask_b32_e64 v69, 0, v69, s[30:31]
	v_exp_f32_e32 v71, v71
	v_mul_f32_e32 v80, 0x3fb8aa3b, v80
	v_sub_f32_e32 v81, v81, v88
	v_add_f32_e32 v91, v91, v69
	;; [unrolled: 5-line block ×10, first 2 shown]
	v_cndmask_b32_e64 v76, 0, v76, s[10:11]
	v_exp_f32_e32 v66, v66
	v_mul_f32_e32 v67, 0x3fb8aa3b, v67
	v_add_f32_e32 v91, v91, v76
	v_cndmask_b32_e64 v77, 0, v77, s[12:13]
	v_exp_f32_e32 v67, v67
	v_add_f32_e32 v91, v91, v77
	v_cndmask_b32_e64 v74, 0, v74, s[2:3]
	v_add_f32_e32 v91, v91, v74
	v_cndmask_b32_e64 v75, 0, v75, s[8:9]
	v_add_f32_e32 v91, v91, v75
	v_cndmask_b32_e32 v66, 0, v66, vcc
	v_add_f32_e32 v91, v91, v66
	v_cndmask_b32_e64 v67, 0, v67, s[0:1]
	v_add_f32_e32 v91, v91, v67
	ds_bpermute_b32 v89, v89, v91
	v_cmp_gt_u32_e32 vcc, 16, v86
	s_waitcnt lgkmcnt(0)
	s_barrier
	v_add_f32_e32 v89, v91, v89
	ds_bpermute_b32 v90, v90, v89
	s_and_saveexec_b64 s[0:1], vcc
	s_cbranch_execz .LBB330_13
; %bb.12:
	s_waitcnt lgkmcnt(0)
	v_add_f32_e32 v86, v89, v90
	v_lshlrev_b32_e32 v87, 2, v87
	ds_write2st64_b32 v87, v88, v86 offset1:1
.LBB330_13:
	s_or_b64 exec, exec, s[0:1]
	v_lshlrev_b32_e32 v87, 2, v83
	s_load_dword s2, s[4:5], 0x94
	s_waitcnt lgkmcnt(0)
	s_barrier
	ds_read2_b32 v[88:89], v87 offset1:16
	ds_read2_b32 v[90:91], v87 offset0:32 offset1:48
	ds_read2_b32 v[92:93], v87 offset0:64 offset1:80
	s_movk_i32 s8, 0x7fff
	s_mov_b32 s9, 0x7060302
	s_waitcnt lgkmcnt(2)
	v_max3_f32 v86, v88, s40, v89
	s_waitcnt lgkmcnt(1)
	v_max3_f32 v86, v86, v90, v91
	v_sub_f32_e32 v88, v88, v86
	v_mul_f32_e32 v88, 0x3fb8aa3b, v88
	v_exp_f32_e32 v94, v88
	v_sub_f32_e32 v88, v89, v86
	v_mul_f32_e32 v88, 0x3fb8aa3b, v88
	v_exp_f32_e32 v95, v88
	;; [unrolled: 3-line block ×3, first 2 shown]
	ds_read2_b32 v[88:89], v87 offset0:96 offset1:112
	v_sub_f32_e32 v87, v91, v86
	v_mul_f32_e32 v87, 0x3fb8aa3b, v87
	v_exp_f32_e32 v91, v87
	s_waitcnt lgkmcnt(1)
	v_fma_f32 v87, v94, v92, 0
	v_fmac_f32_e32 v87, v95, v93
	s_waitcnt lgkmcnt(0)
	v_fmac_f32_e32 v87, v90, v88
	v_fmac_f32_e32 v87, v91, v89
	v_add_f32_e32 v88, 0x358637bd, v87
	v_div_scale_f32 v89, s[0:1], v88, v88, 1.0
	v_rcp_f32_e32 v92, v89
	s_barrier
	v_fma_f32 v93, -v89, v92, 1.0
	v_fmac_f32_e32 v92, v93, v92
	v_div_scale_f32 v93, vcc, 1.0, v88, 1.0
	v_mul_f32_e32 v82, v93, v92
	v_fma_f32 v84, -v89, v82, v93
	v_fmac_f32_e32 v82, v84, v92
	v_fma_f32 v84, -v89, v82, v93
	v_div_fmas_f32 v82, v84, v92, v82
	v_cmp_eq_u32_e32 vcc, 1, v85
	v_cndmask_b32_e32 v84, v94, v95, vcc
	v_cmp_eq_u32_e32 vcc, 2, v85
	v_cndmask_b32_e32 v84, v84, v90, vcc
	v_cmp_eq_u32_e32 vcc, 3, v85
	v_div_fixup_f32 v82, v82, v88, 1.0
	v_cndmask_b32_e32 v84, v84, v91, vcc
	v_mul_f32_e32 v88, v84, v82
	v_pk_mul_f32 v[68:69], v[88:89], v[68:69] op_sel_hi:[0,1]
	v_bfe_u32 v82, v69, 16, 1
	v_bfe_u32 v84, v68, 16, 1
	v_pk_mul_f32 v[78:79], v[88:89], v[78:79] op_sel_hi:[0,1]
	v_add3_u32 v68, v68, v84, s8
	v_add3_u32 v69, v69, v82, s8
	v_perm_b32 v90, v69, v68, s9
	v_bfe_u32 v68, v79, 16, 1
	v_bfe_u32 v69, v78, 16, 1
	v_add3_u32 v69, v78, v69, s8
	v_add3_u32 v68, v79, v68, s8
	v_perm_b32 v91, v68, v69, s9
	v_lshlrev_b32_e32 v69, 3, v1
	v_lshlrev_b32_e32 v68, 5, v83
	;; [unrolled: 1-line block ×3, first 2 shown]
	v_pk_mul_f32 v[70:71], v[88:89], v[70:71] op_sel_hi:[0,1]
	v_or3_b32 v78, v78, v68, v69
	v_bfe_u32 v69, v71, 16, 1
	v_bfe_u32 v79, v70, 16, 1
	v_pk_mul_f32 v[80:81], v[88:89], v[80:81] op_sel_hi:[0,1]
	v_add3_u32 v70, v70, v79, s8
	v_add3_u32 v69, v71, v69, s8
	v_perm_b32 v70, v69, v70, s9
	v_bfe_u32 v69, v81, 16, 1
	v_bfe_u32 v71, v80, 16, 1
	v_add3_u32 v71, v80, v71, s8
	v_add3_u32 v69, v81, v69, s8
	v_perm_b32 v71, v69, v71, s9
	v_pk_mul_f32 v[72:73], v[88:89], v[72:73] op_sel_hi:[0,1]
	ds_write2st64_b64 v78, v[90:91], v[70:71] offset1:1
	v_pk_mul_f32 v[70:71], v[88:89], v[76:77] op_sel_hi:[0,1]
	v_bfe_u32 v69, v73, 16, 1
	v_bfe_u32 v76, v72, 16, 1
	v_add3_u32 v72, v72, v76, s8
	v_add3_u32 v69, v73, v69, s8
	v_perm_b32 v72, v69, v72, s9
	v_bfe_u32 v69, v71, 16, 1
	v_bfe_u32 v73, v70, 16, 1
	v_add3_u32 v70, v70, v73, s8
	v_add3_u32 v69, v71, v69, s8
	v_perm_b32 v73, v69, v70, s9
	v_pk_mul_f32 v[70:71], v[88:89], v[74:75] op_sel_hi:[0,1]
	v_bfe_u32 v69, v71, 16, 1
	v_bfe_u32 v74, v70, 16, 1
	v_pk_mul_f32 v[66:67], v[88:89], v[66:67] op_sel_hi:[0,1]
	v_add3_u32 v70, v70, v74, s8
	v_add3_u32 v69, v71, v69, s8
	v_perm_b32 v70, v69, v70, s9
	v_bfe_u32 v69, v67, 16, 1
	v_bfe_u32 v71, v66, 16, 1
	v_add3_u32 v66, v66, v71, s8
	v_add3_u32 v67, v67, v69, s8
	s_mul_i32 s3, s33, 7
	v_perm_b32 v71, v67, v66, s9
	v_cmp_gt_u32_e32 vcc, 7, v0
	ds_write2st64_b64 v78, v[72:73], v[70:71] offset0:2 offset1:3
	s_and_saveexec_b64 s[0:1], vcc
	s_cbranch_execz .LBB330_15
; %bb.14:
	v_add_co_u32_e32 v70, vcc, s27, v83
	v_addc_co_u32_e64 v71, s[10:11], 0, 0, vcc
	v_mov_b32_e32 v66, s3
	v_mov_b32_e32 v67, 0
	v_mad_u64_u32 v[70:71], s[10:11], s6, v66, v[70:71]
	v_mov_b32_e32 v66, s26
	s_load_dwordx4 s[12:15], s[4:5], 0x58
	s_mul_i32 s7, s7, s3
	v_mad_u64_u32 v[66:67], s[10:11], v70, s2, v[66:67]
	v_add_u32_e32 v69, s7, v71
	v_mov_b32_e32 v70, v67
	v_mad_u64_u32 v[70:71], s[10:11], v69, s2, v[70:71]
	v_mov_b32_e32 v67, v70
	v_lshlrev_b64 v[66:67], 2, v[66:67]
	s_waitcnt lgkmcnt(0)
	v_mov_b32_e32 v69, s15
	v_add_co_u32_e32 v70, vcc, s14, v66
	v_addc_co_u32_e32 v71, vcc, v69, v67, vcc
	v_mov_b32_e32 v69, s13
	v_add_co_u32_e32 v66, vcc, s12, v66
	v_addc_co_u32_e32 v67, vcc, v69, v67, vcc
	global_store_dword v[70:71], v86, off
	global_store_dword v[66:67], v87, off
.LBB330_15:
	s_or_b64 exec, exec, s[0:1]
	v_lshl_or_b32 v79, v1, 9, v68
	s_waitcnt lgkmcnt(0)
	s_barrier
	ds_read_b128 v[70:73], v79
	ds_read_b128 v[66:69], v79 offset:16
	s_waitcnt vmcnt(15) lgkmcnt(1)
	v_mfma_f32_16x16x16bf16_1k v[74:77], v[46:47], v[70:71], 0
	s_mov_b32 s1, 0
	v_cmp_gt_u32_e32 vcc, 64, v0
	v_mfma_f32_16x16x16bf16_1k v[46:49], v[48:49], v[72:73], v[74:77]
	s_waitcnt vmcnt(14) lgkmcnt(0)
	v_mfma_f32_16x16x16bf16_1k v[46:49], v[42:43], v[66:67], v[46:49]
	v_mfma_f32_16x16x16bf16_1k v[42:45], v[44:45], v[68:69], v[46:49]
	s_nop 7
	s_nop 1
	ds_read_b128 v[46:49], v79 offset:2048
	ds_read_b128 v[74:77], v79 offset:2064
	s_waitcnt vmcnt(13) lgkmcnt(1)
	v_mfma_f32_16x16x16bf16_1k v[42:45], v[38:39], v[46:47], v[42:45]
	v_mfma_f32_16x16x16bf16_1k v[38:41], v[40:41], v[48:49], v[42:45]
	s_waitcnt vmcnt(12) lgkmcnt(0)
	v_mfma_f32_16x16x16bf16_1k v[38:41], v[34:35], v[74:75], v[38:41]
	v_mfma_f32_16x16x16bf16_1k v[34:37], v[36:37], v[76:77], v[38:41]
	s_nop 7
	s_nop 1
	ds_read_b128 v[38:41], v79 offset:4096
	ds_read_b128 v[42:45], v79 offset:4112
	s_waitcnt vmcnt(11) lgkmcnt(1)
	v_mfma_f32_16x16x16bf16_1k v[34:37], v[30:31], v[38:39], v[34:37]
	v_mfma_f32_16x16x16bf16_1k v[30:33], v[32:33], v[40:41], v[34:37]
	s_waitcnt vmcnt(10) lgkmcnt(0)
	v_mfma_f32_16x16x16bf16_1k v[30:33], v[26:27], v[42:43], v[30:33]
	v_mfma_f32_16x16x16bf16_1k v[26:29], v[28:29], v[44:45], v[30:33]
	s_nop 7
	s_nop 1
	ds_read_b128 v[30:33], v79 offset:6144
	ds_read_b128 v[34:37], v79 offset:6160
	s_waitcnt lgkmcnt(0)
	s_barrier
	s_waitcnt vmcnt(9)
	v_mfma_f32_16x16x16bf16_1k v[26:29], v[22:23], v[30:31], v[26:29]
	v_mfma_f32_16x16x16bf16_1k v[22:25], v[24:25], v[32:33], v[26:29]
	s_waitcnt vmcnt(8)
	v_mfma_f32_16x16x16bf16_1k v[22:25], v[18:19], v[34:35], v[22:25]
	v_mfma_f32_16x16x16bf16_1k v[18:21], v[20:21], v[36:37], v[22:25]
	;; [unrolled: 3-line block ×4, first 2 shown]
	s_waitcnt vmcnt(5)
	v_mfma_f32_16x16x16bf16_1k v[2:5], v[14:15], v[46:47], v[2:5]
	s_nop 7
	v_bfe_u32 v6, v19, 16, 1
	v_bfe_u32 v7, v18, 16, 1
	v_add3_u32 v7, v18, v7, s8
	v_add3_u32 v6, v19, v6, s8
	v_perm_b32 v6, v6, v7, s9
	v_bfe_u32 v7, v21, 16, 1
	v_bfe_u32 v8, v20, 16, 1
	v_mfma_f32_16x16x16bf16_1k v[2:5], v[16:17], v[48:49], v[2:5]
	v_add3_u32 v8, v20, v8, s8
	v_add3_u32 v7, v21, v7, s8
	v_perm_b32 v7, v7, v8, s9
	s_waitcnt vmcnt(4)
	v_mfma_f32_16x16x16bf16_1k v[2:5], v[10:11], v[74:75], v[2:5]
	v_mfma_f32_16x16x16bf16_1k v[2:5], v[12:13], v[76:77], v[2:5]
	s_waitcnt vmcnt(3)
	v_mfma_f32_16x16x16bf16_1k v[2:5], v[54:55], v[38:39], v[2:5]
	v_mfma_f32_16x16x16bf16_1k v[2:5], v[56:57], v[40:41], v[2:5]
	;; [unrolled: 3-line block ×5, first 2 shown]
	s_nop 7
	s_nop 2
	v_bfe_u32 v8, v3, 16, 1
	v_bfe_u32 v9, v2, 16, 1
	v_add3_u32 v2, v2, v9, s8
	v_add3_u32 v3, v3, v8, s8
	v_perm_b32 v2, v3, v2, s9
	v_bfe_u32 v3, v5, 16, 1
	v_bfe_u32 v8, v4, 16, 1
	v_add3_u32 v4, v4, v8, s8
	v_add3_u32 v3, v5, v3, s8
	v_perm_b32 v3, v3, v4, s9
	ds_write2st64_b64 v78, v[6:7], v[2:3] offset1:1
	s_waitcnt lgkmcnt(0)
	s_barrier
	s_and_saveexec_b64 s[8:9], vcc
	s_cbranch_execz .LBB330_18
; %bb.16:
	v_lshlrev_b32_e32 v4, 6, v83
	v_lshlrev_b32_e32 v3, 4, v0
	v_lshl_or_b32 v0, v0, 10, v4
	v_lshlrev_b32_e32 v2, 5, v1
	v_and_b32_e32 v3, 16, v3
	v_and_b32_e32 v0, 0x1a00, v0
	v_or3_b32 v0, v0, v2, v3
	buffer_load_dword v2, off, s[44:47], 0  ; 4-byte Folded Reload
	s_load_dwordx2 s[4:5], s[4:5], 0x68
	s_lshl_b32 s2, s2, 7
	s_mul_i32 s0, s3, s6
	s_mul_hi_u32 s7, s0, s2
	s_mul_i32 s6, s0, s2
	s_lshl_b64 s[6:7], s[6:7], 1
	s_waitcnt lgkmcnt(0)
	s_add_u32 s3, s4, s6
	s_addc_u32 s4, s5, s7
	s_lshl_b32 s0, s26, 7
	s_lshl_b64 s[0:1], s[0:1], 1
	s_add_u32 s0, s3, s0
	s_addc_u32 s1, s4, s1
	v_add_u32_e32 v8, s27, v1
	v_mov_b32_e32 v3, s1
	ds_read_b128 v[4:7], v0
	s_waitcnt vmcnt(0)
	v_add_co_u32_e32 v2, vcc, s0, v2
	v_mad_u64_u32 v[8:9], s[0:1], v8, s2, 0
	v_addc_co_u32_e32 v3, vcc, 0, v3, vcc
	v_lshlrev_b64 v[8:9], 1, v[8:9]
	v_add_co_u32_e32 v8, vcc, v2, v8
	v_addc_co_u32_e32 v9, vcc, v3, v9, vcc
	v_cmp_ne_u32_e32 vcc, 3, v1
	s_waitcnt lgkmcnt(0)
	global_store_dwordx4 v[8:9], v[4:7], off
	s_and_b64 exec, exec, vcc
	s_cbranch_execz .LBB330_18
; %bb.17:
	ds_read_b128 v[4:7], v0 offset:128
	v_add3_u32 v0, s27, v1, 4
	v_mad_u64_u32 v[0:1], s[0:1], v0, s2, 0
	v_lshlrev_b64 v[0:1], 1, v[0:1]
	v_add_co_u32_e32 v0, vcc, v2, v0
	v_addc_co_u32_e32 v1, vcc, v3, v1, vcc
	s_waitcnt lgkmcnt(0)
	global_store_dwordx4 v[0:1], v[4:7], off
.LBB330_18:
	s_endpgm
	.section	.rodata,"a",@progbits
	.p2align	6, 0x0
	.amdhsa_kernel _Z39paged_attention_ll4mi_QKV_mfma16_kernelI14__hip_bfloat16S0_LN4vllm18Fp8KVCacheDataTypeE0ES0_Li16ELi128ELi256ELb0ELi7EL8MFMAType0EEvPKT_PKT0_S9_ifPKiSB_SB_iPKfiiiPfSE_PS4_PT2_iSD_SD_
		.amdhsa_group_segment_fixed_size 8192
		.amdhsa_private_segment_fixed_size 8
		.amdhsa_kernarg_size 400
		.amdhsa_user_sgpr_count 6
		.amdhsa_user_sgpr_private_segment_buffer 1
		.amdhsa_user_sgpr_dispatch_ptr 0
		.amdhsa_user_sgpr_queue_ptr 0
		.amdhsa_user_sgpr_kernarg_segment_ptr 1
		.amdhsa_user_sgpr_dispatch_id 0
		.amdhsa_user_sgpr_flat_scratch_init 0
		.amdhsa_user_sgpr_kernarg_preload_length 0
		.amdhsa_user_sgpr_kernarg_preload_offset 0
		.amdhsa_user_sgpr_private_segment_size 0
		.amdhsa_uses_dynamic_stack 0
		.amdhsa_system_sgpr_private_segment_wavefront_offset 1
		.amdhsa_system_sgpr_workgroup_id_x 1
		.amdhsa_system_sgpr_workgroup_id_y 1
		.amdhsa_system_sgpr_workgroup_id_z 1
		.amdhsa_system_sgpr_workgroup_info 0
		.amdhsa_system_vgpr_workitem_id 0
		.amdhsa_next_free_vgpr 96
		.amdhsa_next_free_sgpr 48
		.amdhsa_accum_offset 96
		.amdhsa_reserve_vcc 1
		.amdhsa_reserve_flat_scratch 0
		.amdhsa_float_round_mode_32 0
		.amdhsa_float_round_mode_16_64 0
		.amdhsa_float_denorm_mode_32 3
		.amdhsa_float_denorm_mode_16_64 3
		.amdhsa_dx10_clamp 1
		.amdhsa_ieee_mode 1
		.amdhsa_fp16_overflow 0
		.amdhsa_tg_split 0
		.amdhsa_exception_fp_ieee_invalid_op 0
		.amdhsa_exception_fp_denorm_src 0
		.amdhsa_exception_fp_ieee_div_zero 0
		.amdhsa_exception_fp_ieee_overflow 0
		.amdhsa_exception_fp_ieee_underflow 0
		.amdhsa_exception_fp_ieee_inexact 0
		.amdhsa_exception_int_div_zero 0
	.end_amdhsa_kernel
	.section	.text._Z39paged_attention_ll4mi_QKV_mfma16_kernelI14__hip_bfloat16S0_LN4vllm18Fp8KVCacheDataTypeE0ES0_Li16ELi128ELi256ELb0ELi7EL8MFMAType0EEvPKT_PKT0_S9_ifPKiSB_SB_iPKfiiiPfSE_PS4_PT2_iSD_SD_,"axG",@progbits,_Z39paged_attention_ll4mi_QKV_mfma16_kernelI14__hip_bfloat16S0_LN4vllm18Fp8KVCacheDataTypeE0ES0_Li16ELi128ELi256ELb0ELi7EL8MFMAType0EEvPKT_PKT0_S9_ifPKiSB_SB_iPKfiiiPfSE_PS4_PT2_iSD_SD_,comdat
.Lfunc_end330:
	.size	_Z39paged_attention_ll4mi_QKV_mfma16_kernelI14__hip_bfloat16S0_LN4vllm18Fp8KVCacheDataTypeE0ES0_Li16ELi128ELi256ELb0ELi7EL8MFMAType0EEvPKT_PKT0_S9_ifPKiSB_SB_iPKfiiiPfSE_PS4_PT2_iSD_SD_, .Lfunc_end330-_Z39paged_attention_ll4mi_QKV_mfma16_kernelI14__hip_bfloat16S0_LN4vllm18Fp8KVCacheDataTypeE0ES0_Li16ELi128ELi256ELb0ELi7EL8MFMAType0EEvPKT_PKT0_S9_ifPKiSB_SB_iPKfiiiPfSE_PS4_PT2_iSD_SD_
                                        ; -- End function
	.section	.AMDGPU.csdata,"",@progbits
; Kernel info:
; codeLenInByte = 4896
; NumSgprs: 52
; NumVgprs: 96
; NumAgprs: 0
; TotalNumVgprs: 96
; ScratchSize: 8
; MemoryBound: 0
; FloatMode: 240
; IeeeMode: 1
; LDSByteSize: 8192 bytes/workgroup (compile time only)
; SGPRBlocks: 6
; VGPRBlocks: 11
; NumSGPRsForWavesPerEU: 52
; NumVGPRsForWavesPerEU: 96
; AccumOffset: 96
; Occupancy: 5
; WaveLimiterHint : 1
; COMPUTE_PGM_RSRC2:SCRATCH_EN: 1
; COMPUTE_PGM_RSRC2:USER_SGPR: 6
; COMPUTE_PGM_RSRC2:TRAP_HANDLER: 0
; COMPUTE_PGM_RSRC2:TGID_X_EN: 1
; COMPUTE_PGM_RSRC2:TGID_Y_EN: 1
; COMPUTE_PGM_RSRC2:TGID_Z_EN: 1
; COMPUTE_PGM_RSRC2:TIDIG_COMP_CNT: 0
; COMPUTE_PGM_RSRC3_GFX90A:ACCUM_OFFSET: 23
; COMPUTE_PGM_RSRC3_GFX90A:TG_SPLIT: 0
	.section	.text._Z39paged_attention_ll4mi_QKV_mfma16_kernelI14__hip_bfloat16S0_LN4vllm18Fp8KVCacheDataTypeE0ES0_Li16ELi128ELi256ELb0ELi8EL8MFMAType0EEvPKT_PKT0_S9_ifPKiSB_SB_iPKfiiiPfSE_PS4_PT2_iSD_SD_,"axG",@progbits,_Z39paged_attention_ll4mi_QKV_mfma16_kernelI14__hip_bfloat16S0_LN4vllm18Fp8KVCacheDataTypeE0ES0_Li16ELi128ELi256ELb0ELi8EL8MFMAType0EEvPKT_PKT0_S9_ifPKiSB_SB_iPKfiiiPfSE_PS4_PT2_iSD_SD_,comdat
	.protected	_Z39paged_attention_ll4mi_QKV_mfma16_kernelI14__hip_bfloat16S0_LN4vllm18Fp8KVCacheDataTypeE0ES0_Li16ELi128ELi256ELb0ELi8EL8MFMAType0EEvPKT_PKT0_S9_ifPKiSB_SB_iPKfiiiPfSE_PS4_PT2_iSD_SD_ ; -- Begin function _Z39paged_attention_ll4mi_QKV_mfma16_kernelI14__hip_bfloat16S0_LN4vllm18Fp8KVCacheDataTypeE0ES0_Li16ELi128ELi256ELb0ELi8EL8MFMAType0EEvPKT_PKT0_S9_ifPKiSB_SB_iPKfiiiPfSE_PS4_PT2_iSD_SD_
	.globl	_Z39paged_attention_ll4mi_QKV_mfma16_kernelI14__hip_bfloat16S0_LN4vllm18Fp8KVCacheDataTypeE0ES0_Li16ELi128ELi256ELb0ELi8EL8MFMAType0EEvPKT_PKT0_S9_ifPKiSB_SB_iPKfiiiPfSE_PS4_PT2_iSD_SD_
	.p2align	8
	.type	_Z39paged_attention_ll4mi_QKV_mfma16_kernelI14__hip_bfloat16S0_LN4vllm18Fp8KVCacheDataTypeE0ES0_Li16ELi128ELi256ELb0ELi8EL8MFMAType0EEvPKT_PKT0_S9_ifPKiSB_SB_iPKfiiiPfSE_PS4_PT2_iSD_SD_,@function
_Z39paged_attention_ll4mi_QKV_mfma16_kernelI14__hip_bfloat16S0_LN4vllm18Fp8KVCacheDataTypeE0ES0_Li16ELi128ELi256ELb0ELi8EL8MFMAType0EEvPKT_PKT0_S9_ifPKiSB_SB_iPKfiiiPfSE_PS4_PT2_iSD_SD_: ; @_Z39paged_attention_ll4mi_QKV_mfma16_kernelI14__hip_bfloat16S0_LN4vllm18Fp8KVCacheDataTypeE0ES0_Li16ELi128ELi256ELb0ELi8EL8MFMAType0EEvPKT_PKT0_S9_ifPKiSB_SB_iPKfiiiPfSE_PS4_PT2_iSD_SD_
; %bb.0:
	s_mov_b64 s[46:47], s[2:3]
	s_mov_b64 s[44:45], s[0:1]
	s_load_dwordx2 s[0:1], s[4:5], 0x30
	s_add_u32 s44, s44, s9
	s_addc_u32 s45, s45, 0
	s_mov_b32 s26, s7
	s_mov_b64 s[10:11], 0
	s_waitcnt lgkmcnt(0)
	s_cmp_lg_u64 s[0:1], 0
	s_cselect_b64 s[2:3], -1, 0
	s_and_b64 vcc, exec, s[2:3]
	s_cbranch_vccz .LBB331_7
; %bb.1:
	s_add_i32 s12, s6, 1
	s_mov_b32 s13, 0
	s_lshl_b64 s[14:15], s[12:13], 2
	s_add_u32 s14, s0, s14
	s_mov_b32 s7, s13
	s_addc_u32 s15, s1, s15
	s_lshl_b64 s[12:13], s[6:7], 2
	s_add_u32 s12, s0, s12
	s_addc_u32 s13, s1, s13
	s_load_dword s9, s[14:15], 0x0
	s_load_dword s16, s[12:13], 0x0
	s_waitcnt lgkmcnt(0)
	s_sub_i32 s9, s9, s16
	s_cmp_eq_u32 s9, 1
	s_cselect_b64 s[12:13], -1, 0
	s_andn2_b64 vcc, exec, s[10:11]
	s_cbranch_vccnz .LBB331_3
.LBB331_2:
	s_mov_b32 s7, 0
	s_mov_b64 s[12:13], -1
.LBB331_3:
	s_andn2_b64 vcc, exec, s[12:13]
	s_cbranch_vccnz .LBB331_17
; %bb.4:
	s_load_dwordx2 s[12:13], s[4:5], 0x28
	s_lshl_b64 s[10:11], s[6:7], 2
	s_waitcnt lgkmcnt(0)
	s_add_u32 s12, s12, s10
	s_addc_u32 s13, s13, s11
	s_load_dword s38, s[12:13], 0x0
	s_lshl_b32 s9, s26, 8
	s_waitcnt lgkmcnt(0)
	s_cmp_ge_i32 s9, s38
	s_cbranch_scc1 .LBB331_17
; %bb.5:
	s_add_i32 s15, s38, 15
	s_load_dwordx2 s[12:13], s[4:5], 0x20
	s_load_dword s14, s[4:5], 0x38
	s_ashr_i32 s16, s15, 31
	v_and_b32_e32 v1, 0xcf, v0
	s_lshr_b32 s16, s16, 28
	v_add_u32_e32 v1, s9, v1
	s_add_i32 s15, s15, s16
	v_ashrrev_i32_e32 v2, 31, v1
	s_ashr_i32 s18, s15, 4
	v_lshrrev_b32_e32 v6, 28, v2
	s_add_i32 s18, s18, -1
	v_add_u32_e32 v2, v1, v6
	s_waitcnt lgkmcnt(0)
	s_mul_i32 s14, s6, s14
	s_mov_b32 s15, 0
	v_ashrrev_i32_e32 v2, 4, v2
	v_mov_b32_e32 v7, s18
	v_cmp_gt_i32_e32 vcc, s38, v1
	s_lshl_b64 s[14:15], s[14:15], 2
	v_cndmask_b32_e32 v2, v7, v2, vcc
	s_add_u32 s16, s12, s14
	v_ashrrev_i32_e32 v3, 31, v2
	s_addc_u32 s17, s13, s15
	v_lshlrev_b64 v[2:3], 2, v[2:3]
	v_mov_b32_e32 v5, s17
	v_add_co_u32_e32 v4, vcc, s16, v2
	v_or_b32_e32 v2, 16, v1
	v_addc_co_u32_e32 v5, vcc, v5, v3, vcc
	v_add_u32_e32 v3, v2, v6
	v_ashrrev_i32_e32 v3, 4, v3
	v_cmp_gt_i32_e32 vcc, s38, v2
	v_cndmask_b32_e32 v2, v7, v3, vcc
	v_ashrrev_i32_e32 v3, 31, v2
	v_lshlrev_b64 v[2:3], 2, v[2:3]
	v_mov_b32_e32 v9, s17
	v_add_co_u32_e32 v8, vcc, s16, v2
	v_or_b32_e32 v2, 32, v1
	v_addc_co_u32_e32 v9, vcc, v9, v3, vcc
	v_add_u32_e32 v3, v2, v6
	v_ashrrev_i32_e32 v3, 4, v3
	v_cmp_gt_i32_e32 vcc, s38, v2
	v_cndmask_b32_e32 v2, v7, v3, vcc
	v_ashrrev_i32_e32 v3, 31, v2
	;; [unrolled: 10-line block ×3, first 2 shown]
	v_lshlrev_b64 v[2:3], 2, v[2:3]
	v_mov_b32_e32 v1, s17
	v_add_co_u32_e32 v12, vcc, s16, v2
	v_addc_co_u32_e32 v13, vcc, v1, v3, vcc
	global_load_dword v3, v[4:5], off
	global_load_dword v2, v[8:9], off
	;; [unrolled: 1-line block ×4, first 2 shown]
	s_load_dwordx4 s[12:15], s[4:5], 0x8
	s_andn2_b64 vcc, exec, s[2:3]
	s_cbranch_vccnz .LBB331_8
; %bb.6:
	s_add_u32 s0, s0, s10
	s_addc_u32 s1, s1, s11
	s_load_dword s19, s[0:1], 0x0
	s_branch .LBB331_9
.LBB331_7:
	s_mov_b64 s[12:13], 0
	s_branch .LBB331_2
.LBB331_8:
	s_mov_b32 s19, s6
.LBB331_9:
	s_load_dwordx4 s[0:3], s[4:5], 0x48
	v_and_b32_e32 v83, 15, v0
	v_lshlrev_b32_e32 v4, 3, v83
	s_waitcnt lgkmcnt(0)
	s_movk_i32 s3, 0x80
	v_lshrrev_b32_e32 v85, 6, v0
	v_and_b32_e32 v86, 63, v0
	v_bfe_u32 v1, v0, 4, 2
	s_lshl_b32 s27, s8, 3
	v_cmp_gt_u32_e32 vcc, s3, v0
	v_lshlrev_b32_e32 v4, 1, v4
	buffer_store_dword v4, off, s[44:47], 0 ; 4-byte Folded Spill
	s_and_saveexec_b64 s[10:11], vcc
	s_cbranch_execz .LBB331_11
; %bb.10:
	s_load_dwordx2 s[20:21], s[4:5], 0x0
	s_ashr_i32 s3, s0, 31
	s_mul_hi_u32 s22, s19, s0
	s_mul_i32 s3, s19, s3
	v_lshl_or_b32 v7, v85, 2, v1
	s_add_i32 s23, s22, s3
	s_mul_i32 s22, s19, s0
	s_lshl_b64 s[22:23], s[22:23], 1
	v_add_lshl_u32 v4, v7, s27, 7
	s_waitcnt lgkmcnt(0)
	s_add_u32 s0, s20, s22
	v_ashrrev_i32_e32 v5, 31, v4
	s_addc_u32 s3, s21, s23
	v_lshlrev_b64 v[4:5], 1, v[4:5]
	v_mov_b32_e32 v8, s3
	v_add_co_u32_e32 v4, vcc, s0, v4
	v_addc_co_u32_e32 v5, vcc, v8, v5, vcc
	buffer_load_dword v8, off, s[44:47], 0  ; 4-byte Folded Reload
	s_waitcnt vmcnt(0)
	v_add_co_u32_e32 v4, vcc, v4, v8
	v_addc_co_u32_e32 v5, vcc, 0, v5, vcc
	global_load_dwordx4 v[8:11], v[4:5], off
	v_and_b32_e32 v4, 3, v0
	v_lshlrev_b32_e32 v5, 5, v7
	v_lshlrev_b32_e32 v7, 9, v83
	;; [unrolled: 1-line block ×3, first 2 shown]
	v_and_b32_e32 v7, 0x1800, v7
	v_or3_b32 v4, v7, v4, v5
	s_waitcnt vmcnt(0)
	ds_write_b128 v4, v[8:11]
.LBB331_11:
	s_or_b64 exec, exec, s[10:11]
	s_mul_i32 s2, s8, s2
	s_mov_b32 s3, 0
	s_lshl_b64 s[2:3], s[2:3], 1
	s_add_u32 s8, s12, s2
	v_lshlrev_b32_e32 v7, 4, v0
	s_addc_u32 s10, s13, s3
	v_and_b32_e32 v4, 0xf0, v7
	v_mov_b32_e32 v5, s10
	v_add_co_u32_e32 v29, vcc, s8, v4
	v_addc_co_u32_e32 v30, vcc, 0, v5, vcc
	s_waitcnt vmcnt(4)
	v_mad_i64_i32 v[4:5], s[10:11], v3, s1, 0
	v_lshlrev_b64 v[4:5], 1, v[4:5]
	v_add_co_u32_e32 v3, vcc, v29, v4
	v_addc_co_u32_e32 v4, vcc, v30, v5, vcc
	v_and_b32_e32 v31, 0x300, v7
	v_add_co_u32_e32 v22, vcc, v3, v31
	v_addc_co_u32_e32 v23, vcc, 0, v4, vcc
	s_load_dword s33, s[4:5], 0x98
	s_load_dword s0, s[4:5], 0x1c
	s_waitcnt lgkmcnt(0)
	s_barrier
	global_load_dwordx4 v[10:13], v[22:23], off
	global_load_dwordx4 v[18:21], v[22:23], off offset:1024
	s_waitcnt vmcnt(5)
	v_mad_i64_i32 v[2:3], s[10:11], v2, s1, 0
	v_lshlrev_b64 v[2:3], 1, v[2:3]
	v_add_co_u32_e32 v2, vcc, v29, v2
	v_addc_co_u32_e32 v3, vcc, v30, v3, vcc
	v_add_co_u32_e32 v24, vcc, v2, v31
	v_addc_co_u32_e32 v25, vcc, 0, v3, vcc
	global_load_dwordx4 v[14:17], v[24:25], off
	global_load_dwordx4 v[38:41], v[24:25], off offset:1024
	v_and_b32_e32 v2, 7, v0
	v_lshlrev_b32_e32 v2, 5, v2
	v_lshl_or_b32 v32, v1, 9, v2
	ds_read_b128 v[2:5], v32
	s_waitcnt vmcnt(6)
	v_mad_i64_i32 v[6:7], s[10:11], v6, s1, 0
	v_lshlrev_b64 v[26:27], 1, v[6:7]
	ds_read_b128 v[6:9], v32 offset:2048
	v_and_or_b32 v62, v0, 48, s9
	v_mov_b32_e32 v63, s18
	v_mov_b32_e32 v68, s17
	s_add_u32 s8, s14, s2
	v_lshl_or_b32 v87, v85, 4, v83
	v_lshlrev_b32_e32 v76, 5, v87
	s_mov_b32 s40, 0xff7fffff
	s_waitcnt vmcnt(3) lgkmcnt(1)
	v_mfma_f32_16x16x16bf16_1k v[34:37], v[10:11], v[2:3], 0
	v_add_co_u32_e32 v10, vcc, v29, v26
	v_addc_co_u32_e32 v11, vcc, v30, v27, vcc
	v_add_co_u32_e32 v26, vcc, v10, v31
	v_addc_co_u32_e32 v27, vcc, 0, v11, vcc
	global_load_dwordx4 v[46:49], v[26:27], off
	global_load_dwordx4 v[58:61], v[26:27], off offset:1024
	s_waitcnt vmcnt(3)
	v_mfma_f32_16x16x16bf16_1k v[42:45], v[14:15], v[2:3], 0
	v_cmp_gt_i32_e32 vcc, s38, v62
	v_mfma_f32_16x16x16bf16_1k v[14:17], v[16:17], v[4:5], v[42:45]
	s_nop 7
	s_nop 0
	global_load_dwordx4 v[42:45], v[22:23], off offset:2048
	v_mfma_f32_16x16x16bf16_1k v[10:13], v[12:13], v[4:5], v[34:37]
	s_waitcnt vmcnt(3) lgkmcnt(0)
	v_mfma_f32_16x16x16bf16_1k v[14:17], v[38:39], v[6:7], v[14:17]
	v_mfma_f32_16x16x16bf16_1k v[10:13], v[18:19], v[6:7], v[10:13]
	;; [unrolled: 1-line block ×3, first 2 shown]
	global_load_dwordx4 v[38:41], v[22:23], off offset:3072
	v_mfma_f32_16x16x16bf16_1k v[18:21], v[20:21], v[8:9], v[10:13]
	s_waitcnt vmcnt(3)
	v_mfma_f32_16x16x16bf16_1k v[50:53], v[46:47], v[2:3], 0
	v_mfma_f32_16x16x16bf16_1k v[34:37], v[48:49], v[4:5], v[50:53]
	global_load_dwordx4 v[46:49], v[24:25], off offset:2048
	s_nop 3
	ds_read_b128 v[10:13], v32 offset:4096
	s_nop 3
	ds_read_b128 v[50:53], v32 offset:6144
	global_load_dwordx4 v[22:25], v[24:25], off offset:3072
	v_mad_i64_i32 v[32:33], s[10:11], v28, s1, 0
	v_mov_b32_e32 v28, s17
	s_addc_u32 s10, s15, s3
	s_waitcnt vmcnt(3) lgkmcnt(1)
	v_mfma_f32_16x16x16bf16_1k v[18:21], v[42:43], v[10:11], v[18:21]
	v_mfma_f32_16x16x16bf16_1k v[18:21], v[44:45], v[12:13], v[18:21]
	global_load_dwordx4 v[42:45], v[26:27], off offset:2048
	s_waitcnt vmcnt(3) lgkmcnt(0)
	v_mfma_f32_16x16x16bf16_1k v[18:21], v[38:39], v[50:51], v[18:21]
	v_or_b32_e32 v38, 64, v62
	v_ashrrev_i32_e32 v39, 4, v38
	v_mfma_f32_16x16x16bf16_1k v[54:57], v[40:41], v[52:53], v[18:21]
	s_waitcnt vmcnt(2)
	v_mfma_f32_16x16x16bf16_1k v[14:17], v[46:47], v[10:11], v[14:17]
	v_mfma_f32_16x16x16bf16_1k v[14:17], v[48:49], v[12:13], v[14:17]
	global_load_dwordx4 v[46:49], v[26:27], off offset:3072
	v_lshlrev_b64 v[26:27], 1, v[32:33]
	v_ashrrev_i32_e32 v32, 4, v62
	v_cndmask_b32_e32 v32, v63, v32, vcc
	v_ashrrev_i32_e32 v33, 31, v32
	v_cmp_gt_i32_e32 vcc, s38, v38
	v_cndmask_b32_e32 v38, v63, v39, vcc
	s_waitcnt vmcnt(2)
	v_mfma_f32_16x16x16bf16_1k v[14:17], v[22:23], v[50:51], v[14:17]
	v_lshlrev_b64 v[22:23], 2, v[32:33]
	v_add_co_u32_e32 v22, vcc, s16, v22
	v_addc_co_u32_e32 v23, vcc, v28, v23, vcc
	v_add_co_u32_e32 v18, vcc, v29, v26
	v_addc_co_u32_e32 v19, vcc, v30, v27, vcc
	;; [unrolled: 2-line block ×3, first 2 shown]
	v_mfma_f32_16x16x16bf16_1k v[64:67], v[24:25], v[52:53], v[14:17]
	global_load_dword v30, v[22:23], off
	v_ashrrev_i32_e32 v39, 31, v38
	v_lshlrev_b64 v[32:33], 2, v[38:39]
	v_add_co_u32_e32 v18, vcc, s16, v32
	v_addc_co_u32_e32 v19, vcc, v68, v33, vcc
	s_nop 1
	global_load_dwordx4 v[14:17], v[26:27], off
	global_load_dword v31, v[18:19], off
	s_nop 0
	global_load_dwordx4 v[18:21], v[26:27], off offset:1024
	global_load_dwordx4 v[68:71], v[26:27], off offset:2048
	;; [unrolled: 1-line block ×3, first 2 shown]
	v_mfma_f32_16x16x16bf16_1k v[22:25], v[58:59], v[6:7], v[34:37]
	v_or_b32_e32 v28, 0x80, v62
	v_ashrrev_i32_e32 v29, 4, v28
	v_cmp_gt_i32_e32 vcc, s38, v28
	v_cndmask_b32_e32 v28, v63, v29, vcc
	v_ashrrev_i32_e32 v29, 31, v28
	v_lshlrev_b64 v[28:29], 2, v[28:29]
	v_mov_b32_e32 v32, s17
	v_mfma_f32_16x16x16bf16_1k v[22:25], v[60:61], v[8:9], v[22:25]
	v_add_co_u32_e32 v28, vcc, s16, v28
	v_addc_co_u32_e32 v29, vcc, v32, v29, vcc
	global_load_dword v32, v[28:29], off
	v_or_b32_e32 v28, 0xc0, v62
	v_ashrrev_i32_e32 v29, 4, v28
	v_cmp_gt_i32_e32 vcc, s38, v28
	v_cndmask_b32_e32 v28, v63, v29, vcc
	v_ashrrev_i32_e32 v29, 31, v28
	v_lshlrev_b64 v[28:29], 2, v[28:29]
	s_waitcnt vmcnt(8)
	v_mfma_f32_16x16x16bf16_1k v[22:25], v[42:43], v[10:11], v[22:25]
	v_mov_b32_e32 v33, s17
	v_add_co_u32_e32 v28, vcc, s16, v28
	v_addc_co_u32_e32 v29, vcc, v33, v29, vcc
	global_load_dword v58, v[28:29], off
	v_mov_b32_e32 v26, s10
	v_mfma_f32_16x16x16bf16_1k v[22:25], v[44:45], v[12:13], v[22:25]
	v_add_co_u32_e32 v77, vcc, s8, v76
	v_addc_co_u32_e32 v78, vcc, 0, v26, vcc
	v_pk_mul_f32 v[80:81], s[0:1], v[66:67] op_sel_hi:[0,1]
	s_waitcnt vmcnt(8)
	v_mfma_f32_16x16x16bf16_1k v[22:25], v[46:47], v[50:51], v[22:25]
	v_mfma_f32_16x16x16bf16_1k v[88:91], v[48:49], v[52:53], v[22:25]
	s_waitcnt vmcnt(7)
	s_nop 7
	s_nop 0
	v_mad_i64_i32 v[22:23], s[2:3], v30, s1, 0
	v_lshlrev_b64 v[62:63], 1, v[22:23]
	s_waitcnt vmcnt(6)
	v_mfma_f32_16x16x16bf16_1k v[22:25], v[14:15], v[2:3], 0
	v_add_co_u32_e32 v2, vcc, v77, v62
	v_addc_co_u32_e32 v3, vcc, v78, v63, vcc
	global_load_dwordx4 v[46:49], v[2:3], off
	global_load_dwordx4 v[42:45], v[2:3], off offset:16
	s_waitcnt vmcnt(7)
	v_mad_i64_i32 v[2:3], s[2:3], v31, s1, 0
	v_lshlrev_b64 v[14:15], 1, v[2:3]
	v_mfma_f32_16x16x16bf16_1k v[2:5], v[16:17], v[4:5], v[22:25]
	v_add_co_u32_e32 v16, vcc, v77, v14
	v_addc_co_u32_e32 v17, vcc, v78, v15, vcc
	global_load_dwordx4 v[38:41], v[16:17], off
	global_load_dwordx4 v[34:37], v[16:17], off offset:16
	s_waitcnt vmcnt(5)
	v_mad_i64_i32 v[16:17], s[2:3], v32, s1, 0
	v_mfma_f32_16x16x16bf16_1k v[2:5], v[18:19], v[6:7], v[2:5]
	v_lshlrev_b64 v[60:61], 1, v[16:17]
	v_add_co_u32_e32 v6, vcc, v77, v60
	v_addc_co_u32_e32 v7, vcc, v78, v61, vcc
	global_load_dwordx4 v[30:33], v[6:7], off
	global_load_dwordx4 v[26:29], v[6:7], off offset:16
	s_waitcnt vmcnt(6)
	v_mad_i64_i32 v[6:7], s[2:3], v58, s1, 0
	v_mfma_f32_16x16x16bf16_1k v[2:5], v[20:21], v[8:9], v[2:5]
	v_lshlrev_b64 v[58:59], 1, v[6:7]
	v_add_co_u32_e32 v6, vcc, v77, v58
	v_addc_co_u32_e32 v7, vcc, v78, v59, vcc
	global_load_dwordx4 v[22:25], v[6:7], off
	global_load_dwordx4 v[18:21], v[6:7], off offset:16
	v_or_b32_e32 v6, 0x800, v76
	v_mfma_f32_16x16x16bf16_1k v[2:5], v[68:69], v[10:11], v[2:5]
	v_mov_b32_e32 v7, s10
	v_add_co_u32_e32 v68, vcc, s8, v6
	v_addc_co_u32_e32 v69, vcc, 0, v7, vcc
	v_pk_mul_f32 v[78:79], s[0:1], v[56:57] op_sel_hi:[0,1]
	v_pk_mul_f32 v[76:77], s[0:1], v[90:91] op_sel_hi:[0,1]
	v_mfma_f32_16x16x16bf16_1k v[10:13], v[70:71], v[12:13], v[2:5]
	v_pk_mul_f32 v[70:71], s[0:1], v[64:65] op_sel_hi:[0,1]
	v_mfma_f32_16x16x16bf16_1k v[92:95], v[72:73], v[50:51], v[10:13]
	s_nop 4
	v_add_co_u32_e32 v2, vcc, v68, v62
	v_addc_co_u32_e32 v3, vcc, v69, v63, vcc
	v_add_co_u32_e32 v62, vcc, v68, v14
	v_addc_co_u32_e32 v63, vcc, v69, v15, vcc
	v_mfma_f32_16x16x16bf16_1k v[50:53], v[74:75], v[52:53], v[92:95]
	global_load_dwordx4 v[6:9], v[2:3], off
	s_nop 0
	global_load_dwordx4 v[2:5], v[2:3], off offset:16
	s_nop 0
	global_load_dwordx4 v[14:17], v[62:63], off
	global_load_dwordx4 v[10:13], v[62:63], off offset:16
	v_pk_mul_f32 v[62:63], s[0:1], v[54:55] op_sel_hi:[0,1]
	v_pk_mul_f32 v[72:73], s[0:1], v[88:89] op_sel_hi:[0,1]
	s_nop 2
	v_pk_mul_f32 v[74:75], s[0:1], v[50:51] op_sel_hi:[0,1]
	v_and_b32_e32 v50, 0xc0, v0
	v_add_u32_e32 v50, s9, v50
	v_lshl_or_b32 v50, v1, 2, v50
	v_pk_mul_f32 v[66:67], s[0:1], v[52:53] op_sel_hi:[0,1]
	v_or_b32_e32 v53, 1, v50
	v_mov_b32_e32 v51, 0xff7fffff
	v_cmp_gt_i32_e64 s[28:29], s38, v50
	v_cmp_gt_i32_e64 s[30:31], s38, v53
	v_cndmask_b32_e64 v52, v51, v62, s[28:29]
	v_cndmask_b32_e64 v53, v51, v63, s[30:31]
	v_max3_f32 v52, v52, s40, v53
	v_or_b32_e32 v53, 2, v50
	v_or_b32_e32 v54, 3, v50
	v_cmp_gt_i32_e64 s[34:35], s38, v53
	v_cmp_gt_i32_e64 s[36:37], s38, v54
	v_cndmask_b32_e64 v53, v51, v78, s[34:35]
	v_cndmask_b32_e64 v54, v51, v79, s[36:37]
	v_max3_f32 v52, v52, v53, v54
	v_or_b32_e32 v53, 16, v50
	v_or_b32_e32 v54, 17, v50
	;; [unrolled: 7-line block ×7, first 2 shown]
	v_cmp_gt_i32_e32 vcc, s38, v53
	v_cmp_gt_i32_e64 s[0:1], s38, v50
	v_cndmask_b32_e32 v53, v51, v66, vcc
	v_cndmask_b32_e64 v50, v51, v67, s[0:1]
	v_max3_f32 v64, v52, v53, v50
	v_mbcnt_lo_u32_b32 v50, -1, 0
	v_mbcnt_hi_u32_b32 v65, -1, v50
	v_and_b32_e32 v50, 64, v65
	v_add_u32_e32 v88, 64, v50
	v_xor_b32_e32 v50, 32, v65
	v_cmp_lt_i32_e64 s[38:39], v50, v88
	v_cndmask_b32_e64 v50, v65, v50, s[38:39]
	v_lshlrev_b32_e32 v89, 2, v50
	ds_bpermute_b32 v90, v89, v64
	v_add_co_u32_e64 v50, s[38:39], v68, v60
	v_addc_co_u32_e64 v51, s[38:39], v69, v61, s[38:39]
	v_xor_b32_e32 v61, 16, v65
	v_cmp_lt_i32_e64 s[38:39], v61, v88
	s_waitcnt lgkmcnt(0)
	v_max_f32_e32 v60, v90, v90
	v_cndmask_b32_e64 v61, v65, v61, s[38:39]
	v_max_f32_e32 v60, v64, v60
	v_lshlrev_b32_e32 v90, 2, v61
	ds_bpermute_b32 v61, v90, v60
	v_add_co_u32_e64 v58, s[38:39], v68, v58
	v_addc_co_u32_e64 v59, s[38:39], v69, v59, s[38:39]
	s_waitcnt lgkmcnt(0)
	v_max_f32_e32 v61, v61, v61
	v_max_f32_e32 v88, v60, v61
	v_sub_f32_e32 v60, v62, v88
	v_mul_f32_e32 v60, 0x3fb8aa3b, v60
	v_exp_f32_e32 v68, v60
	v_sub_f32_e32 v60, v63, v88
	v_mul_f32_e32 v60, 0x3fb8aa3b, v60
	global_load_dwordx4 v[54:57], v[50:51], off
	s_nop 0
	global_load_dwordx4 v[50:53], v[50:51], off offset:16
	v_exp_f32_e32 v69, v60
	global_load_dwordx4 v[62:65], v[58:59], off
	s_nop 0
	global_load_dwordx4 v[58:61], v[58:59], off offset:16
	v_sub_f32_e32 v78, v78, v88
	v_mul_f32_e32 v78, 0x3fb8aa3b, v78
	v_sub_f32_e32 v79, v79, v88
	v_exp_f32_e32 v78, v78
	v_mul_f32_e32 v79, 0x3fb8aa3b, v79
	v_sub_f32_e32 v70, v70, v88
	v_exp_f32_e32 v79, v79
	v_mul_f32_e32 v70, 0x3fb8aa3b, v70
	v_sub_f32_e32 v71, v71, v88
	v_cndmask_b32_e64 v68, 0, v68, s[28:29]
	v_exp_f32_e32 v70, v70
	v_mul_f32_e32 v71, 0x3fb8aa3b, v71
	v_sub_f32_e32 v80, v80, v88
	v_add_f32_e32 v91, 0, v68
	v_cndmask_b32_e64 v69, 0, v69, s[30:31]
	v_exp_f32_e32 v71, v71
	v_mul_f32_e32 v80, 0x3fb8aa3b, v80
	v_sub_f32_e32 v81, v81, v88
	v_add_f32_e32 v91, v91, v69
	;; [unrolled: 5-line block ×10, first 2 shown]
	v_cndmask_b32_e64 v76, 0, v76, s[10:11]
	v_exp_f32_e32 v66, v66
	v_mul_f32_e32 v67, 0x3fb8aa3b, v67
	v_add_f32_e32 v91, v91, v76
	v_cndmask_b32_e64 v77, 0, v77, s[12:13]
	v_exp_f32_e32 v67, v67
	v_add_f32_e32 v91, v91, v77
	v_cndmask_b32_e64 v74, 0, v74, s[2:3]
	v_add_f32_e32 v91, v91, v74
	v_cndmask_b32_e64 v75, 0, v75, s[8:9]
	v_add_f32_e32 v91, v91, v75
	v_cndmask_b32_e32 v66, 0, v66, vcc
	v_add_f32_e32 v91, v91, v66
	v_cndmask_b32_e64 v67, 0, v67, s[0:1]
	v_add_f32_e32 v91, v91, v67
	ds_bpermute_b32 v89, v89, v91
	v_cmp_gt_u32_e32 vcc, 16, v86
	s_waitcnt lgkmcnt(0)
	s_barrier
	v_add_f32_e32 v89, v91, v89
	ds_bpermute_b32 v90, v90, v89
	s_and_saveexec_b64 s[0:1], vcc
	s_cbranch_execz .LBB331_13
; %bb.12:
	s_waitcnt lgkmcnt(0)
	v_add_f32_e32 v86, v89, v90
	v_lshlrev_b32_e32 v87, 2, v87
	ds_write2st64_b32 v87, v88, v86 offset1:1
.LBB331_13:
	s_or_b64 exec, exec, s[0:1]
	v_lshlrev_b32_e32 v87, 2, v83
	s_load_dword s2, s[4:5], 0x94
	s_waitcnt lgkmcnt(0)
	s_barrier
	ds_read2_b32 v[88:89], v87 offset1:16
	ds_read2_b32 v[90:91], v87 offset0:32 offset1:48
	ds_read2_b32 v[92:93], v87 offset0:64 offset1:80
	s_movk_i32 s8, 0x7fff
	s_mov_b32 s9, 0x7060302
	s_waitcnt lgkmcnt(2)
	v_max3_f32 v86, v88, s40, v89
	s_waitcnt lgkmcnt(1)
	v_max3_f32 v86, v86, v90, v91
	v_sub_f32_e32 v88, v88, v86
	v_mul_f32_e32 v88, 0x3fb8aa3b, v88
	v_exp_f32_e32 v94, v88
	v_sub_f32_e32 v88, v89, v86
	v_mul_f32_e32 v88, 0x3fb8aa3b, v88
	v_exp_f32_e32 v95, v88
	;; [unrolled: 3-line block ×3, first 2 shown]
	ds_read2_b32 v[88:89], v87 offset0:96 offset1:112
	v_sub_f32_e32 v87, v91, v86
	v_mul_f32_e32 v87, 0x3fb8aa3b, v87
	v_exp_f32_e32 v91, v87
	s_waitcnt lgkmcnt(1)
	v_fma_f32 v87, v94, v92, 0
	v_fmac_f32_e32 v87, v95, v93
	s_waitcnt lgkmcnt(0)
	v_fmac_f32_e32 v87, v90, v88
	v_fmac_f32_e32 v87, v91, v89
	v_add_f32_e32 v88, 0x358637bd, v87
	v_div_scale_f32 v89, s[0:1], v88, v88, 1.0
	v_rcp_f32_e32 v92, v89
	s_barrier
	v_fma_f32 v93, -v89, v92, 1.0
	v_fmac_f32_e32 v92, v93, v92
	v_div_scale_f32 v93, vcc, 1.0, v88, 1.0
	v_mul_f32_e32 v82, v93, v92
	v_fma_f32 v84, -v89, v82, v93
	v_fmac_f32_e32 v82, v84, v92
	v_fma_f32 v84, -v89, v82, v93
	v_div_fmas_f32 v82, v84, v92, v82
	v_cmp_eq_u32_e32 vcc, 1, v85
	v_cndmask_b32_e32 v84, v94, v95, vcc
	v_cmp_eq_u32_e32 vcc, 2, v85
	v_cndmask_b32_e32 v84, v84, v90, vcc
	v_cmp_eq_u32_e32 vcc, 3, v85
	v_div_fixup_f32 v82, v82, v88, 1.0
	v_cndmask_b32_e32 v84, v84, v91, vcc
	v_mul_f32_e32 v88, v84, v82
	v_pk_mul_f32 v[68:69], v[88:89], v[68:69] op_sel_hi:[0,1]
	v_bfe_u32 v82, v69, 16, 1
	v_bfe_u32 v84, v68, 16, 1
	v_pk_mul_f32 v[78:79], v[88:89], v[78:79] op_sel_hi:[0,1]
	v_add3_u32 v68, v68, v84, s8
	v_add3_u32 v69, v69, v82, s8
	v_perm_b32 v90, v69, v68, s9
	v_bfe_u32 v68, v79, 16, 1
	v_bfe_u32 v69, v78, 16, 1
	v_add3_u32 v69, v78, v69, s8
	v_add3_u32 v68, v79, v68, s8
	v_perm_b32 v91, v68, v69, s9
	v_lshlrev_b32_e32 v69, 3, v1
	v_lshlrev_b32_e32 v68, 5, v83
	;; [unrolled: 1-line block ×3, first 2 shown]
	v_pk_mul_f32 v[70:71], v[88:89], v[70:71] op_sel_hi:[0,1]
	v_or3_b32 v78, v78, v68, v69
	v_bfe_u32 v69, v71, 16, 1
	v_bfe_u32 v79, v70, 16, 1
	v_pk_mul_f32 v[80:81], v[88:89], v[80:81] op_sel_hi:[0,1]
	v_add3_u32 v70, v70, v79, s8
	v_add3_u32 v69, v71, v69, s8
	v_perm_b32 v70, v69, v70, s9
	v_bfe_u32 v69, v81, 16, 1
	v_bfe_u32 v71, v80, 16, 1
	v_add3_u32 v71, v80, v71, s8
	v_add3_u32 v69, v81, v69, s8
	v_perm_b32 v71, v69, v71, s9
	v_pk_mul_f32 v[72:73], v[88:89], v[72:73] op_sel_hi:[0,1]
	ds_write2st64_b64 v78, v[90:91], v[70:71] offset1:1
	v_pk_mul_f32 v[70:71], v[88:89], v[76:77] op_sel_hi:[0,1]
	v_bfe_u32 v69, v73, 16, 1
	v_bfe_u32 v76, v72, 16, 1
	v_add3_u32 v72, v72, v76, s8
	v_add3_u32 v69, v73, v69, s8
	v_perm_b32 v72, v69, v72, s9
	v_bfe_u32 v69, v71, 16, 1
	v_bfe_u32 v73, v70, 16, 1
	v_add3_u32 v70, v70, v73, s8
	v_add3_u32 v69, v71, v69, s8
	v_perm_b32 v73, v69, v70, s9
	v_pk_mul_f32 v[70:71], v[88:89], v[74:75] op_sel_hi:[0,1]
	v_bfe_u32 v69, v71, 16, 1
	v_bfe_u32 v74, v70, 16, 1
	v_pk_mul_f32 v[66:67], v[88:89], v[66:67] op_sel_hi:[0,1]
	v_add3_u32 v70, v70, v74, s8
	v_add3_u32 v69, v71, v69, s8
	v_perm_b32 v70, v69, v70, s9
	v_bfe_u32 v69, v67, 16, 1
	v_bfe_u32 v71, v66, 16, 1
	v_add3_u32 v66, v66, v71, s8
	v_add3_u32 v67, v67, v69, s8
	s_lshl_b32 s3, s33, 3
	v_perm_b32 v71, v67, v66, s9
	v_cmp_gt_u32_e32 vcc, 8, v0
	ds_write2st64_b64 v78, v[72:73], v[70:71] offset0:2 offset1:3
	s_and_saveexec_b64 s[0:1], vcc
	s_cbranch_execz .LBB331_15
; %bb.14:
	v_or_b32_e32 v66, s27, v0
	v_mov_b32_e32 v67, 0
	v_mov_b32_e32 v69, s3
	v_mad_u64_u32 v[70:71], s[10:11], s6, v69, v[66:67]
	v_mov_b32_e32 v66, s26
	s_load_dwordx4 s[12:15], s[4:5], 0x58
	s_mul_i32 s7, s7, s3
	v_mad_u64_u32 v[66:67], s[10:11], v70, s2, v[66:67]
	v_add_u32_e32 v69, s7, v71
	v_mov_b32_e32 v70, v67
	v_mad_u64_u32 v[70:71], s[10:11], v69, s2, v[70:71]
	v_mov_b32_e32 v67, v70
	v_lshlrev_b64 v[66:67], 2, v[66:67]
	s_waitcnt lgkmcnt(0)
	v_mov_b32_e32 v69, s15
	v_add_co_u32_e32 v70, vcc, s14, v66
	v_addc_co_u32_e32 v71, vcc, v69, v67, vcc
	v_mov_b32_e32 v69, s13
	v_add_co_u32_e32 v66, vcc, s12, v66
	v_addc_co_u32_e32 v67, vcc, v69, v67, vcc
	global_store_dword v[70:71], v86, off
	global_store_dword v[66:67], v87, off
.LBB331_15:
	s_or_b64 exec, exec, s[0:1]
	v_lshl_or_b32 v79, v1, 9, v68
	s_waitcnt lgkmcnt(0)
	s_barrier
	ds_read_b128 v[70:73], v79
	ds_read_b128 v[66:69], v79 offset:16
	s_waitcnt vmcnt(15) lgkmcnt(1)
	v_mfma_f32_16x16x16bf16_1k v[74:77], v[46:47], v[70:71], 0
	s_mov_b32 s1, 0
	v_cmp_gt_u32_e32 vcc, 64, v0
	v_mfma_f32_16x16x16bf16_1k v[46:49], v[48:49], v[72:73], v[74:77]
	s_waitcnt vmcnt(14) lgkmcnt(0)
	v_mfma_f32_16x16x16bf16_1k v[46:49], v[42:43], v[66:67], v[46:49]
	v_mfma_f32_16x16x16bf16_1k v[42:45], v[44:45], v[68:69], v[46:49]
	s_nop 7
	s_nop 1
	ds_read_b128 v[46:49], v79 offset:2048
	ds_read_b128 v[74:77], v79 offset:2064
	s_waitcnt vmcnt(13) lgkmcnt(1)
	v_mfma_f32_16x16x16bf16_1k v[42:45], v[38:39], v[46:47], v[42:45]
	v_mfma_f32_16x16x16bf16_1k v[38:41], v[40:41], v[48:49], v[42:45]
	s_waitcnt vmcnt(12) lgkmcnt(0)
	v_mfma_f32_16x16x16bf16_1k v[38:41], v[34:35], v[74:75], v[38:41]
	v_mfma_f32_16x16x16bf16_1k v[34:37], v[36:37], v[76:77], v[38:41]
	s_nop 7
	s_nop 1
	ds_read_b128 v[38:41], v79 offset:4096
	ds_read_b128 v[42:45], v79 offset:4112
	s_waitcnt vmcnt(11) lgkmcnt(1)
	v_mfma_f32_16x16x16bf16_1k v[34:37], v[30:31], v[38:39], v[34:37]
	v_mfma_f32_16x16x16bf16_1k v[30:33], v[32:33], v[40:41], v[34:37]
	s_waitcnt vmcnt(10) lgkmcnt(0)
	v_mfma_f32_16x16x16bf16_1k v[30:33], v[26:27], v[42:43], v[30:33]
	v_mfma_f32_16x16x16bf16_1k v[26:29], v[28:29], v[44:45], v[30:33]
	s_nop 7
	s_nop 1
	ds_read_b128 v[30:33], v79 offset:6144
	ds_read_b128 v[34:37], v79 offset:6160
	s_waitcnt lgkmcnt(0)
	s_barrier
	s_waitcnt vmcnt(9)
	v_mfma_f32_16x16x16bf16_1k v[26:29], v[22:23], v[30:31], v[26:29]
	v_mfma_f32_16x16x16bf16_1k v[22:25], v[24:25], v[32:33], v[26:29]
	s_waitcnt vmcnt(8)
	v_mfma_f32_16x16x16bf16_1k v[22:25], v[18:19], v[34:35], v[22:25]
	v_mfma_f32_16x16x16bf16_1k v[18:21], v[20:21], v[36:37], v[22:25]
	;; [unrolled: 3-line block ×4, first 2 shown]
	s_waitcnt vmcnt(5)
	v_mfma_f32_16x16x16bf16_1k v[2:5], v[14:15], v[46:47], v[2:5]
	s_nop 7
	v_bfe_u32 v6, v19, 16, 1
	v_bfe_u32 v7, v18, 16, 1
	v_add3_u32 v7, v18, v7, s8
	v_add3_u32 v6, v19, v6, s8
	v_perm_b32 v6, v6, v7, s9
	v_bfe_u32 v7, v21, 16, 1
	v_bfe_u32 v8, v20, 16, 1
	v_mfma_f32_16x16x16bf16_1k v[2:5], v[16:17], v[48:49], v[2:5]
	v_add3_u32 v8, v20, v8, s8
	v_add3_u32 v7, v21, v7, s8
	v_perm_b32 v7, v7, v8, s9
	s_waitcnt vmcnt(4)
	v_mfma_f32_16x16x16bf16_1k v[2:5], v[10:11], v[74:75], v[2:5]
	v_mfma_f32_16x16x16bf16_1k v[2:5], v[12:13], v[76:77], v[2:5]
	s_waitcnt vmcnt(3)
	v_mfma_f32_16x16x16bf16_1k v[2:5], v[54:55], v[38:39], v[2:5]
	v_mfma_f32_16x16x16bf16_1k v[2:5], v[56:57], v[40:41], v[2:5]
	;; [unrolled: 3-line block ×5, first 2 shown]
	s_nop 7
	s_nop 2
	v_bfe_u32 v8, v3, 16, 1
	v_bfe_u32 v9, v2, 16, 1
	v_add3_u32 v2, v2, v9, s8
	v_add3_u32 v3, v3, v8, s8
	v_perm_b32 v2, v3, v2, s9
	v_bfe_u32 v3, v5, 16, 1
	v_bfe_u32 v8, v4, 16, 1
	v_add3_u32 v4, v4, v8, s8
	v_add3_u32 v3, v5, v3, s8
	v_perm_b32 v3, v3, v4, s9
	ds_write2st64_b64 v78, v[6:7], v[2:3] offset1:1
	s_waitcnt lgkmcnt(0)
	s_barrier
	s_and_saveexec_b64 s[8:9], vcc
	s_cbranch_execz .LBB331_17
; %bb.16:
	v_lshlrev_b32_e32 v4, 6, v83
	v_lshlrev_b32_e32 v3, 4, v0
	v_lshl_or_b32 v0, v0, 10, v4
	v_lshlrev_b32_e32 v2, 5, v1
	v_and_b32_e32 v3, 16, v3
	v_and_b32_e32 v0, 0x1a00, v0
	v_or3_b32 v0, v0, v2, v3
	ds_read_b128 v[2:5], v0
	ds_read_b128 v[6:9], v0 offset:128
	buffer_load_dword v10, off, s[44:47], 0 ; 4-byte Folded Reload
	s_load_dwordx2 s[4:5], s[4:5], 0x68
	s_lshl_b32 s7, s2, 7
	s_mul_i32 s0, s3, s6
	s_mul_hi_u32 s3, s0, s7
	s_mul_i32 s2, s0, s7
	s_lshl_b64 s[2:3], s[2:3], 1
	s_waitcnt lgkmcnt(0)
	s_add_u32 s2, s4, s2
	s_addc_u32 s3, s5, s3
	s_lshl_b32 s0, s26, 7
	s_lshl_b64 s[0:1], s[0:1], 1
	s_add_u32 s0, s2, s0
	s_addc_u32 s1, s3, s1
	v_mov_b32_e32 v0, s1
	v_or_b32_e32 v12, s27, v1
	s_waitcnt vmcnt(0)
	v_add_co_u32_e32 v10, vcc, s0, v10
	v_addc_co_u32_e32 v11, vcc, 0, v0, vcc
	v_mad_u64_u32 v[0:1], s[0:1], v12, s7, 0
	v_lshlrev_b64 v[0:1], 1, v[0:1]
	v_add_co_u32_e32 v0, vcc, v10, v0
	v_addc_co_u32_e32 v1, vcc, v11, v1, vcc
	global_store_dwordx4 v[0:1], v[2:5], off
	v_or_b32_e32 v0, 4, v12
	v_mad_u64_u32 v[0:1], s[0:1], v0, s7, 0
	v_lshlrev_b64 v[0:1], 1, v[0:1]
	v_add_co_u32_e32 v0, vcc, v10, v0
	v_addc_co_u32_e32 v1, vcc, v11, v1, vcc
	global_store_dwordx4 v[0:1], v[6:9], off
.LBB331_17:
	s_endpgm
	.section	.rodata,"a",@progbits
	.p2align	6, 0x0
	.amdhsa_kernel _Z39paged_attention_ll4mi_QKV_mfma16_kernelI14__hip_bfloat16S0_LN4vllm18Fp8KVCacheDataTypeE0ES0_Li16ELi128ELi256ELb0ELi8EL8MFMAType0EEvPKT_PKT0_S9_ifPKiSB_SB_iPKfiiiPfSE_PS4_PT2_iSD_SD_
		.amdhsa_group_segment_fixed_size 8192
		.amdhsa_private_segment_fixed_size 8
		.amdhsa_kernarg_size 400
		.amdhsa_user_sgpr_count 6
		.amdhsa_user_sgpr_private_segment_buffer 1
		.amdhsa_user_sgpr_dispatch_ptr 0
		.amdhsa_user_sgpr_queue_ptr 0
		.amdhsa_user_sgpr_kernarg_segment_ptr 1
		.amdhsa_user_sgpr_dispatch_id 0
		.amdhsa_user_sgpr_flat_scratch_init 0
		.amdhsa_user_sgpr_kernarg_preload_length 0
		.amdhsa_user_sgpr_kernarg_preload_offset 0
		.amdhsa_user_sgpr_private_segment_size 0
		.amdhsa_uses_dynamic_stack 0
		.amdhsa_system_sgpr_private_segment_wavefront_offset 1
		.amdhsa_system_sgpr_workgroup_id_x 1
		.amdhsa_system_sgpr_workgroup_id_y 1
		.amdhsa_system_sgpr_workgroup_id_z 1
		.amdhsa_system_sgpr_workgroup_info 0
		.amdhsa_system_vgpr_workitem_id 0
		.amdhsa_next_free_vgpr 96
		.amdhsa_next_free_sgpr 48
		.amdhsa_accum_offset 96
		.amdhsa_reserve_vcc 1
		.amdhsa_reserve_flat_scratch 0
		.amdhsa_float_round_mode_32 0
		.amdhsa_float_round_mode_16_64 0
		.amdhsa_float_denorm_mode_32 3
		.amdhsa_float_denorm_mode_16_64 3
		.amdhsa_dx10_clamp 1
		.amdhsa_ieee_mode 1
		.amdhsa_fp16_overflow 0
		.amdhsa_tg_split 0
		.amdhsa_exception_fp_ieee_invalid_op 0
		.amdhsa_exception_fp_denorm_src 0
		.amdhsa_exception_fp_ieee_div_zero 0
		.amdhsa_exception_fp_ieee_overflow 0
		.amdhsa_exception_fp_ieee_underflow 0
		.amdhsa_exception_fp_ieee_inexact 0
		.amdhsa_exception_int_div_zero 0
	.end_amdhsa_kernel
	.section	.text._Z39paged_attention_ll4mi_QKV_mfma16_kernelI14__hip_bfloat16S0_LN4vllm18Fp8KVCacheDataTypeE0ES0_Li16ELi128ELi256ELb0ELi8EL8MFMAType0EEvPKT_PKT0_S9_ifPKiSB_SB_iPKfiiiPfSE_PS4_PT2_iSD_SD_,"axG",@progbits,_Z39paged_attention_ll4mi_QKV_mfma16_kernelI14__hip_bfloat16S0_LN4vllm18Fp8KVCacheDataTypeE0ES0_Li16ELi128ELi256ELb0ELi8EL8MFMAType0EEvPKT_PKT0_S9_ifPKiSB_SB_iPKfiiiPfSE_PS4_PT2_iSD_SD_,comdat
.Lfunc_end331:
	.size	_Z39paged_attention_ll4mi_QKV_mfma16_kernelI14__hip_bfloat16S0_LN4vllm18Fp8KVCacheDataTypeE0ES0_Li16ELi128ELi256ELb0ELi8EL8MFMAType0EEvPKT_PKT0_S9_ifPKiSB_SB_iPKfiiiPfSE_PS4_PT2_iSD_SD_, .Lfunc_end331-_Z39paged_attention_ll4mi_QKV_mfma16_kernelI14__hip_bfloat16S0_LN4vllm18Fp8KVCacheDataTypeE0ES0_Li16ELi128ELi256ELb0ELi8EL8MFMAType0EEvPKT_PKT0_S9_ifPKiSB_SB_iPKfiiiPfSE_PS4_PT2_iSD_SD_
                                        ; -- End function
	.section	.AMDGPU.csdata,"",@progbits
; Kernel info:
; codeLenInByte = 4844
; NumSgprs: 52
; NumVgprs: 96
; NumAgprs: 0
; TotalNumVgprs: 96
; ScratchSize: 8
; MemoryBound: 0
; FloatMode: 240
; IeeeMode: 1
; LDSByteSize: 8192 bytes/workgroup (compile time only)
; SGPRBlocks: 6
; VGPRBlocks: 11
; NumSGPRsForWavesPerEU: 52
; NumVGPRsForWavesPerEU: 96
; AccumOffset: 96
; Occupancy: 5
; WaveLimiterHint : 1
; COMPUTE_PGM_RSRC2:SCRATCH_EN: 1
; COMPUTE_PGM_RSRC2:USER_SGPR: 6
; COMPUTE_PGM_RSRC2:TRAP_HANDLER: 0
; COMPUTE_PGM_RSRC2:TGID_X_EN: 1
; COMPUTE_PGM_RSRC2:TGID_Y_EN: 1
; COMPUTE_PGM_RSRC2:TGID_Z_EN: 1
; COMPUTE_PGM_RSRC2:TIDIG_COMP_CNT: 0
; COMPUTE_PGM_RSRC3_GFX90A:ACCUM_OFFSET: 23
; COMPUTE_PGM_RSRC3_GFX90A:TG_SPLIT: 0
	.section	.text._Z39paged_attention_ll4mi_QKV_mfma16_kernelI14__hip_bfloat16S0_LN4vllm18Fp8KVCacheDataTypeE0ES0_Li16ELi128ELi256ELb0ELi9EL8MFMAType0EEvPKT_PKT0_S9_ifPKiSB_SB_iPKfiiiPfSE_PS4_PT2_iSD_SD_,"axG",@progbits,_Z39paged_attention_ll4mi_QKV_mfma16_kernelI14__hip_bfloat16S0_LN4vllm18Fp8KVCacheDataTypeE0ES0_Li16ELi128ELi256ELb0ELi9EL8MFMAType0EEvPKT_PKT0_S9_ifPKiSB_SB_iPKfiiiPfSE_PS4_PT2_iSD_SD_,comdat
	.protected	_Z39paged_attention_ll4mi_QKV_mfma16_kernelI14__hip_bfloat16S0_LN4vllm18Fp8KVCacheDataTypeE0ES0_Li16ELi128ELi256ELb0ELi9EL8MFMAType0EEvPKT_PKT0_S9_ifPKiSB_SB_iPKfiiiPfSE_PS4_PT2_iSD_SD_ ; -- Begin function _Z39paged_attention_ll4mi_QKV_mfma16_kernelI14__hip_bfloat16S0_LN4vllm18Fp8KVCacheDataTypeE0ES0_Li16ELi128ELi256ELb0ELi9EL8MFMAType0EEvPKT_PKT0_S9_ifPKiSB_SB_iPKfiiiPfSE_PS4_PT2_iSD_SD_
	.globl	_Z39paged_attention_ll4mi_QKV_mfma16_kernelI14__hip_bfloat16S0_LN4vllm18Fp8KVCacheDataTypeE0ES0_Li16ELi128ELi256ELb0ELi9EL8MFMAType0EEvPKT_PKT0_S9_ifPKiSB_SB_iPKfiiiPfSE_PS4_PT2_iSD_SD_
	.p2align	8
	.type	_Z39paged_attention_ll4mi_QKV_mfma16_kernelI14__hip_bfloat16S0_LN4vllm18Fp8KVCacheDataTypeE0ES0_Li16ELi128ELi256ELb0ELi9EL8MFMAType0EEvPKT_PKT0_S9_ifPKiSB_SB_iPKfiiiPfSE_PS4_PT2_iSD_SD_,@function
_Z39paged_attention_ll4mi_QKV_mfma16_kernelI14__hip_bfloat16S0_LN4vllm18Fp8KVCacheDataTypeE0ES0_Li16ELi128ELi256ELb0ELi9EL8MFMAType0EEvPKT_PKT0_S9_ifPKiSB_SB_iPKfiiiPfSE_PS4_PT2_iSD_SD_: ; @_Z39paged_attention_ll4mi_QKV_mfma16_kernelI14__hip_bfloat16S0_LN4vllm18Fp8KVCacheDataTypeE0ES0_Li16ELi128ELi256ELb0ELi9EL8MFMAType0EEvPKT_PKT0_S9_ifPKiSB_SB_iPKfiiiPfSE_PS4_PT2_iSD_SD_
; %bb.0:
	s_mov_b64 s[46:47], s[2:3]
	s_mov_b64 s[44:45], s[0:1]
	s_load_dwordx2 s[0:1], s[4:5], 0x30
	s_add_u32 s44, s44, s9
	s_addc_u32 s45, s45, 0
	s_mov_b32 s26, s7
	s_mov_b64 s[10:11], 0
	s_waitcnt lgkmcnt(0)
	s_cmp_lg_u64 s[0:1], 0
	s_cselect_b64 s[2:3], -1, 0
	s_and_b64 vcc, exec, s[2:3]
	s_cbranch_vccz .LBB332_7
; %bb.1:
	s_add_i32 s12, s6, 1
	s_mov_b32 s13, 0
	s_lshl_b64 s[14:15], s[12:13], 2
	s_add_u32 s14, s0, s14
	s_mov_b32 s7, s13
	s_addc_u32 s15, s1, s15
	s_lshl_b64 s[12:13], s[6:7], 2
	s_add_u32 s12, s0, s12
	s_addc_u32 s13, s1, s13
	s_load_dword s9, s[14:15], 0x0
	s_load_dword s16, s[12:13], 0x0
	s_waitcnt lgkmcnt(0)
	s_sub_i32 s9, s9, s16
	s_cmp_eq_u32 s9, 1
	s_cselect_b64 s[12:13], -1, 0
	s_andn2_b64 vcc, exec, s[10:11]
	s_cbranch_vccnz .LBB332_3
.LBB332_2:
	s_mov_b32 s7, 0
	s_mov_b64 s[12:13], -1
.LBB332_3:
	s_andn2_b64 vcc, exec, s[12:13]
	s_cbranch_vccnz .LBB332_18
; %bb.4:
	s_load_dwordx2 s[12:13], s[4:5], 0x28
	s_lshl_b64 s[10:11], s[6:7], 2
	s_waitcnt lgkmcnt(0)
	s_add_u32 s12, s12, s10
	s_addc_u32 s13, s13, s11
	s_load_dword s38, s[12:13], 0x0
	s_lshl_b32 s9, s26, 8
	s_waitcnt lgkmcnt(0)
	s_cmp_ge_i32 s9, s38
	s_cbranch_scc1 .LBB332_18
; %bb.5:
	s_add_i32 s15, s38, 15
	s_load_dwordx2 s[12:13], s[4:5], 0x20
	s_load_dword s14, s[4:5], 0x38
	s_ashr_i32 s16, s15, 31
	v_and_b32_e32 v1, 0xcf, v0
	s_lshr_b32 s16, s16, 28
	v_add_u32_e32 v1, s9, v1
	s_add_i32 s15, s15, s16
	v_ashrrev_i32_e32 v2, 31, v1
	s_ashr_i32 s18, s15, 4
	v_lshrrev_b32_e32 v6, 28, v2
	s_add_i32 s18, s18, -1
	v_add_u32_e32 v2, v1, v6
	s_waitcnt lgkmcnt(0)
	s_mul_i32 s14, s6, s14
	s_mov_b32 s15, 0
	v_ashrrev_i32_e32 v2, 4, v2
	v_mov_b32_e32 v7, s18
	v_cmp_gt_i32_e32 vcc, s38, v1
	s_lshl_b64 s[14:15], s[14:15], 2
	v_cndmask_b32_e32 v2, v7, v2, vcc
	s_add_u32 s16, s12, s14
	v_ashrrev_i32_e32 v3, 31, v2
	s_addc_u32 s17, s13, s15
	v_lshlrev_b64 v[2:3], 2, v[2:3]
	v_mov_b32_e32 v5, s17
	v_add_co_u32_e32 v4, vcc, s16, v2
	v_or_b32_e32 v2, 16, v1
	v_addc_co_u32_e32 v5, vcc, v5, v3, vcc
	v_add_u32_e32 v3, v2, v6
	v_ashrrev_i32_e32 v3, 4, v3
	v_cmp_gt_i32_e32 vcc, s38, v2
	v_cndmask_b32_e32 v2, v7, v3, vcc
	v_ashrrev_i32_e32 v3, 31, v2
	v_lshlrev_b64 v[2:3], 2, v[2:3]
	v_mov_b32_e32 v9, s17
	v_add_co_u32_e32 v8, vcc, s16, v2
	v_or_b32_e32 v2, 32, v1
	v_addc_co_u32_e32 v9, vcc, v9, v3, vcc
	v_add_u32_e32 v3, v2, v6
	v_ashrrev_i32_e32 v3, 4, v3
	v_cmp_gt_i32_e32 vcc, s38, v2
	v_cndmask_b32_e32 v2, v7, v3, vcc
	v_ashrrev_i32_e32 v3, 31, v2
	;; [unrolled: 10-line block ×3, first 2 shown]
	v_lshlrev_b64 v[2:3], 2, v[2:3]
	v_mov_b32_e32 v1, s17
	v_add_co_u32_e32 v12, vcc, s16, v2
	v_addc_co_u32_e32 v13, vcc, v1, v3, vcc
	global_load_dword v3, v[4:5], off
	global_load_dword v2, v[8:9], off
	;; [unrolled: 1-line block ×4, first 2 shown]
	s_load_dwordx4 s[12:15], s[4:5], 0x8
	s_andn2_b64 vcc, exec, s[2:3]
	s_cbranch_vccnz .LBB332_8
; %bb.6:
	s_add_u32 s0, s0, s10
	s_addc_u32 s1, s1, s11
	s_load_dword s19, s[0:1], 0x0
	s_branch .LBB332_9
.LBB332_7:
	s_mov_b64 s[12:13], 0
	s_branch .LBB332_2
.LBB332_8:
	s_mov_b32 s19, s6
.LBB332_9:
	s_load_dwordx4 s[0:3], s[4:5], 0x48
	v_lshrrev_b32_e32 v85, 6, v0
	v_bfe_u32 v1, v0, 4, 2
	v_and_b32_e32 v83, 15, v0
	v_lshl_or_b32 v4, v85, 2, v1
	v_lshlrev_b32_e32 v5, 3, v83
	v_and_b32_e32 v86, 63, v0
	s_mul_i32 s27, s8, 9
	v_cmp_gt_u32_e32 vcc, 9, v4
	v_lshlrev_b32_e32 v5, 1, v5
	buffer_store_dword v5, off, s[44:47], 0 ; 4-byte Folded Spill
	s_and_saveexec_b64 s[10:11], vcc
	s_cbranch_execz .LBB332_11
; %bb.10:
	s_load_dwordx2 s[20:21], s[4:5], 0x0
	s_waitcnt lgkmcnt(0)
	s_ashr_i32 s3, s0, 31
	s_mul_hi_u32 s22, s19, s0
	s_mul_i32 s3, s19, s3
	s_add_i32 s23, s22, s3
	s_mul_i32 s22, s19, s0
	v_add_lshl_u32 v8, v4, s27, 7
	s_lshl_b64 s[22:23], s[22:23], 1
	v_ashrrev_i32_e32 v9, 31, v8
	s_add_u32 s0, s20, s22
	v_lshlrev_b64 v[8:9], 1, v[8:9]
	v_add_co_u32_e32 v7, vcc, s0, v8
	buffer_load_dword v8, off, s[44:47], 0  ; 4-byte Folded Reload
	s_addc_u32 s3, s21, s23
	v_mov_b32_e32 v5, s3
	v_addc_co_u32_e32 v5, vcc, v5, v9, vcc
	v_lshlrev_b32_e32 v4, 5, v4
	s_waitcnt vmcnt(0)
	v_add_co_u32_e32 v8, vcc, v7, v8
	v_addc_co_u32_e32 v9, vcc, 0, v5, vcc
	global_load_dwordx4 v[8:11], v[8:9], off
	v_and_b32_e32 v5, 3, v0
	v_lshlrev_b32_e32 v7, 9, v83
	v_lshlrev_b32_e32 v5, 9, v5
	v_and_b32_e32 v7, 0x1800, v7
	v_or3_b32 v4, v7, v5, v4
	s_waitcnt vmcnt(0)
	ds_write_b128 v4, v[8:11]
.LBB332_11:
	s_or_b64 exec, exec, s[10:11]
	s_waitcnt lgkmcnt(0)
	s_mul_i32 s2, s8, s2
	s_mov_b32 s3, 0
	s_lshl_b64 s[2:3], s[2:3], 1
	s_add_u32 s8, s12, s2
	v_lshlrev_b32_e32 v7, 4, v0
	s_addc_u32 s10, s13, s3
	v_and_b32_e32 v4, 0xf0, v7
	v_mov_b32_e32 v5, s10
	v_add_co_u32_e32 v29, vcc, s8, v4
	v_addc_co_u32_e32 v30, vcc, 0, v5, vcc
	s_waitcnt vmcnt(4)
	v_mad_i64_i32 v[4:5], s[10:11], v3, s1, 0
	v_lshlrev_b64 v[4:5], 1, v[4:5]
	v_add_co_u32_e32 v3, vcc, v29, v4
	v_addc_co_u32_e32 v4, vcc, v30, v5, vcc
	v_and_b32_e32 v31, 0x300, v7
	v_add_co_u32_e32 v22, vcc, v3, v31
	v_addc_co_u32_e32 v23, vcc, 0, v4, vcc
	s_load_dword s33, s[4:5], 0x98
	s_load_dword s0, s[4:5], 0x1c
	s_waitcnt lgkmcnt(0)
	s_barrier
	global_load_dwordx4 v[10:13], v[22:23], off
	global_load_dwordx4 v[18:21], v[22:23], off offset:1024
	s_waitcnt vmcnt(5)
	v_mad_i64_i32 v[2:3], s[10:11], v2, s1, 0
	v_lshlrev_b64 v[2:3], 1, v[2:3]
	v_add_co_u32_e32 v2, vcc, v29, v2
	v_addc_co_u32_e32 v3, vcc, v30, v3, vcc
	v_add_co_u32_e32 v24, vcc, v2, v31
	v_addc_co_u32_e32 v25, vcc, 0, v3, vcc
	global_load_dwordx4 v[14:17], v[24:25], off
	global_load_dwordx4 v[38:41], v[24:25], off offset:1024
	v_add_u32_e32 v2, -9, v83
	v_cmp_gt_u32_e32 vcc, 9, v83
	v_cndmask_b32_e32 v2, v2, v83, vcc
	v_lshlrev_b32_e32 v2, 5, v2
	v_lshl_add_u32 v32, v1, 9, v2
	ds_read_b128 v[2:5], v32
	s_waitcnt vmcnt(6)
	v_mad_i64_i32 v[6:7], s[10:11], v6, s1, 0
	v_lshlrev_b64 v[26:27], 1, v[6:7]
	ds_read_b128 v[6:9], v32 offset:2048
	v_and_or_b32 v62, v0, 48, s9
	v_mov_b32_e32 v63, s18
	v_mov_b32_e32 v68, s17
	s_add_u32 s8, s14, s2
	v_lshl_or_b32 v87, v85, 4, v83
	v_lshlrev_b32_e32 v76, 5, v87
	s_mov_b32 s40, 0xff7fffff
	s_waitcnt vmcnt(3) lgkmcnt(1)
	v_mfma_f32_16x16x16bf16_1k v[34:37], v[10:11], v[2:3], 0
	v_add_co_u32_e32 v10, vcc, v29, v26
	v_addc_co_u32_e32 v11, vcc, v30, v27, vcc
	v_add_co_u32_e32 v26, vcc, v10, v31
	v_addc_co_u32_e32 v27, vcc, 0, v11, vcc
	global_load_dwordx4 v[46:49], v[26:27], off
	global_load_dwordx4 v[58:61], v[26:27], off offset:1024
	s_waitcnt vmcnt(3)
	v_mfma_f32_16x16x16bf16_1k v[42:45], v[14:15], v[2:3], 0
	v_cmp_gt_i32_e32 vcc, s38, v62
	v_mfma_f32_16x16x16bf16_1k v[14:17], v[16:17], v[4:5], v[42:45]
	s_nop 7
	s_nop 0
	global_load_dwordx4 v[42:45], v[22:23], off offset:2048
	v_mfma_f32_16x16x16bf16_1k v[10:13], v[12:13], v[4:5], v[34:37]
	s_waitcnt vmcnt(3) lgkmcnt(0)
	v_mfma_f32_16x16x16bf16_1k v[14:17], v[38:39], v[6:7], v[14:17]
	v_mfma_f32_16x16x16bf16_1k v[10:13], v[18:19], v[6:7], v[10:13]
	v_mfma_f32_16x16x16bf16_1k v[14:17], v[40:41], v[8:9], v[14:17]
	global_load_dwordx4 v[38:41], v[22:23], off offset:3072
	v_mfma_f32_16x16x16bf16_1k v[18:21], v[20:21], v[8:9], v[10:13]
	s_waitcnt vmcnt(3)
	v_mfma_f32_16x16x16bf16_1k v[50:53], v[46:47], v[2:3], 0
	v_mfma_f32_16x16x16bf16_1k v[34:37], v[48:49], v[4:5], v[50:53]
	global_load_dwordx4 v[46:49], v[24:25], off offset:2048
	s_nop 3
	ds_read_b128 v[10:13], v32 offset:4096
	s_nop 3
	ds_read_b128 v[50:53], v32 offset:6144
	global_load_dwordx4 v[22:25], v[24:25], off offset:3072
	v_mad_i64_i32 v[32:33], s[10:11], v28, s1, 0
	v_mov_b32_e32 v28, s17
	s_addc_u32 s10, s15, s3
	s_waitcnt vmcnt(3) lgkmcnt(1)
	v_mfma_f32_16x16x16bf16_1k v[18:21], v[42:43], v[10:11], v[18:21]
	v_mfma_f32_16x16x16bf16_1k v[18:21], v[44:45], v[12:13], v[18:21]
	global_load_dwordx4 v[42:45], v[26:27], off offset:2048
	s_waitcnt vmcnt(3) lgkmcnt(0)
	v_mfma_f32_16x16x16bf16_1k v[18:21], v[38:39], v[50:51], v[18:21]
	v_or_b32_e32 v38, 64, v62
	v_ashrrev_i32_e32 v39, 4, v38
	v_mfma_f32_16x16x16bf16_1k v[54:57], v[40:41], v[52:53], v[18:21]
	s_waitcnt vmcnt(2)
	v_mfma_f32_16x16x16bf16_1k v[14:17], v[46:47], v[10:11], v[14:17]
	v_mfma_f32_16x16x16bf16_1k v[14:17], v[48:49], v[12:13], v[14:17]
	global_load_dwordx4 v[46:49], v[26:27], off offset:3072
	v_lshlrev_b64 v[26:27], 1, v[32:33]
	v_ashrrev_i32_e32 v32, 4, v62
	v_cndmask_b32_e32 v32, v63, v32, vcc
	v_ashrrev_i32_e32 v33, 31, v32
	v_cmp_gt_i32_e32 vcc, s38, v38
	v_cndmask_b32_e32 v38, v63, v39, vcc
	s_waitcnt vmcnt(2)
	v_mfma_f32_16x16x16bf16_1k v[14:17], v[22:23], v[50:51], v[14:17]
	v_lshlrev_b64 v[22:23], 2, v[32:33]
	v_add_co_u32_e32 v22, vcc, s16, v22
	v_addc_co_u32_e32 v23, vcc, v28, v23, vcc
	v_add_co_u32_e32 v18, vcc, v29, v26
	v_addc_co_u32_e32 v19, vcc, v30, v27, vcc
	v_add_co_u32_e32 v26, vcc, v18, v31
	v_addc_co_u32_e32 v27, vcc, 0, v19, vcc
	v_mfma_f32_16x16x16bf16_1k v[64:67], v[24:25], v[52:53], v[14:17]
	global_load_dword v30, v[22:23], off
	v_ashrrev_i32_e32 v39, 31, v38
	v_lshlrev_b64 v[32:33], 2, v[38:39]
	v_add_co_u32_e32 v18, vcc, s16, v32
	v_addc_co_u32_e32 v19, vcc, v68, v33, vcc
	s_nop 1
	global_load_dwordx4 v[14:17], v[26:27], off
	global_load_dword v31, v[18:19], off
	s_nop 0
	global_load_dwordx4 v[18:21], v[26:27], off offset:1024
	global_load_dwordx4 v[68:71], v[26:27], off offset:2048
	;; [unrolled: 1-line block ×3, first 2 shown]
	v_mfma_f32_16x16x16bf16_1k v[22:25], v[58:59], v[6:7], v[34:37]
	v_or_b32_e32 v28, 0x80, v62
	v_ashrrev_i32_e32 v29, 4, v28
	v_cmp_gt_i32_e32 vcc, s38, v28
	v_cndmask_b32_e32 v28, v63, v29, vcc
	v_ashrrev_i32_e32 v29, 31, v28
	v_lshlrev_b64 v[28:29], 2, v[28:29]
	v_mov_b32_e32 v32, s17
	v_mfma_f32_16x16x16bf16_1k v[22:25], v[60:61], v[8:9], v[22:25]
	v_add_co_u32_e32 v28, vcc, s16, v28
	v_addc_co_u32_e32 v29, vcc, v32, v29, vcc
	global_load_dword v32, v[28:29], off
	v_or_b32_e32 v28, 0xc0, v62
	v_ashrrev_i32_e32 v29, 4, v28
	v_cmp_gt_i32_e32 vcc, s38, v28
	v_cndmask_b32_e32 v28, v63, v29, vcc
	v_ashrrev_i32_e32 v29, 31, v28
	v_lshlrev_b64 v[28:29], 2, v[28:29]
	s_waitcnt vmcnt(8)
	v_mfma_f32_16x16x16bf16_1k v[22:25], v[42:43], v[10:11], v[22:25]
	v_mov_b32_e32 v33, s17
	v_add_co_u32_e32 v28, vcc, s16, v28
	v_addc_co_u32_e32 v29, vcc, v33, v29, vcc
	global_load_dword v58, v[28:29], off
	v_mov_b32_e32 v26, s10
	v_mfma_f32_16x16x16bf16_1k v[22:25], v[44:45], v[12:13], v[22:25]
	v_add_co_u32_e32 v77, vcc, s8, v76
	v_addc_co_u32_e32 v78, vcc, 0, v26, vcc
	v_pk_mul_f32 v[80:81], s[0:1], v[66:67] op_sel_hi:[0,1]
	s_waitcnt vmcnt(8)
	v_mfma_f32_16x16x16bf16_1k v[22:25], v[46:47], v[50:51], v[22:25]
	v_mfma_f32_16x16x16bf16_1k v[88:91], v[48:49], v[52:53], v[22:25]
	s_waitcnt vmcnt(7)
	s_nop 7
	s_nop 0
	v_mad_i64_i32 v[22:23], s[2:3], v30, s1, 0
	v_lshlrev_b64 v[62:63], 1, v[22:23]
	s_waitcnt vmcnt(6)
	v_mfma_f32_16x16x16bf16_1k v[22:25], v[14:15], v[2:3], 0
	v_add_co_u32_e32 v2, vcc, v77, v62
	v_addc_co_u32_e32 v3, vcc, v78, v63, vcc
	global_load_dwordx4 v[46:49], v[2:3], off
	global_load_dwordx4 v[42:45], v[2:3], off offset:16
	s_waitcnt vmcnt(7)
	v_mad_i64_i32 v[2:3], s[2:3], v31, s1, 0
	v_lshlrev_b64 v[14:15], 1, v[2:3]
	v_mfma_f32_16x16x16bf16_1k v[2:5], v[16:17], v[4:5], v[22:25]
	v_add_co_u32_e32 v16, vcc, v77, v14
	v_addc_co_u32_e32 v17, vcc, v78, v15, vcc
	global_load_dwordx4 v[38:41], v[16:17], off
	global_load_dwordx4 v[34:37], v[16:17], off offset:16
	s_waitcnt vmcnt(5)
	v_mad_i64_i32 v[16:17], s[2:3], v32, s1, 0
	v_mfma_f32_16x16x16bf16_1k v[2:5], v[18:19], v[6:7], v[2:5]
	v_lshlrev_b64 v[60:61], 1, v[16:17]
	v_add_co_u32_e32 v6, vcc, v77, v60
	v_addc_co_u32_e32 v7, vcc, v78, v61, vcc
	global_load_dwordx4 v[30:33], v[6:7], off
	global_load_dwordx4 v[26:29], v[6:7], off offset:16
	s_waitcnt vmcnt(6)
	v_mad_i64_i32 v[6:7], s[2:3], v58, s1, 0
	v_mfma_f32_16x16x16bf16_1k v[2:5], v[20:21], v[8:9], v[2:5]
	v_lshlrev_b64 v[58:59], 1, v[6:7]
	v_add_co_u32_e32 v6, vcc, v77, v58
	v_addc_co_u32_e32 v7, vcc, v78, v59, vcc
	global_load_dwordx4 v[22:25], v[6:7], off
	global_load_dwordx4 v[18:21], v[6:7], off offset:16
	v_or_b32_e32 v6, 0x800, v76
	v_mfma_f32_16x16x16bf16_1k v[2:5], v[68:69], v[10:11], v[2:5]
	v_mov_b32_e32 v7, s10
	v_add_co_u32_e32 v68, vcc, s8, v6
	v_addc_co_u32_e32 v69, vcc, 0, v7, vcc
	v_pk_mul_f32 v[78:79], s[0:1], v[56:57] op_sel_hi:[0,1]
	v_pk_mul_f32 v[76:77], s[0:1], v[90:91] op_sel_hi:[0,1]
	v_mfma_f32_16x16x16bf16_1k v[10:13], v[70:71], v[12:13], v[2:5]
	v_pk_mul_f32 v[70:71], s[0:1], v[64:65] op_sel_hi:[0,1]
	v_mfma_f32_16x16x16bf16_1k v[92:95], v[72:73], v[50:51], v[10:13]
	s_nop 4
	v_add_co_u32_e32 v2, vcc, v68, v62
	v_addc_co_u32_e32 v3, vcc, v69, v63, vcc
	v_add_co_u32_e32 v62, vcc, v68, v14
	v_addc_co_u32_e32 v63, vcc, v69, v15, vcc
	v_mfma_f32_16x16x16bf16_1k v[50:53], v[74:75], v[52:53], v[92:95]
	global_load_dwordx4 v[6:9], v[2:3], off
	s_nop 0
	global_load_dwordx4 v[2:5], v[2:3], off offset:16
	s_nop 0
	global_load_dwordx4 v[14:17], v[62:63], off
	global_load_dwordx4 v[10:13], v[62:63], off offset:16
	v_pk_mul_f32 v[62:63], s[0:1], v[54:55] op_sel_hi:[0,1]
	v_pk_mul_f32 v[72:73], s[0:1], v[88:89] op_sel_hi:[0,1]
	s_nop 2
	v_pk_mul_f32 v[74:75], s[0:1], v[50:51] op_sel_hi:[0,1]
	v_and_b32_e32 v50, 0xc0, v0
	v_add_u32_e32 v50, s9, v50
	v_lshl_or_b32 v50, v1, 2, v50
	v_pk_mul_f32 v[66:67], s[0:1], v[52:53] op_sel_hi:[0,1]
	v_or_b32_e32 v53, 1, v50
	v_mov_b32_e32 v51, 0xff7fffff
	v_cmp_gt_i32_e64 s[28:29], s38, v50
	v_cmp_gt_i32_e64 s[30:31], s38, v53
	v_cndmask_b32_e64 v52, v51, v62, s[28:29]
	v_cndmask_b32_e64 v53, v51, v63, s[30:31]
	v_max3_f32 v52, v52, s40, v53
	v_or_b32_e32 v53, 2, v50
	v_or_b32_e32 v54, 3, v50
	v_cmp_gt_i32_e64 s[34:35], s38, v53
	v_cmp_gt_i32_e64 s[36:37], s38, v54
	v_cndmask_b32_e64 v53, v51, v78, s[34:35]
	v_cndmask_b32_e64 v54, v51, v79, s[36:37]
	v_max3_f32 v52, v52, v53, v54
	v_or_b32_e32 v53, 16, v50
	v_or_b32_e32 v54, 17, v50
	;; [unrolled: 7-line block ×7, first 2 shown]
	v_cmp_gt_i32_e32 vcc, s38, v53
	v_cmp_gt_i32_e64 s[0:1], s38, v50
	v_cndmask_b32_e32 v53, v51, v66, vcc
	v_cndmask_b32_e64 v50, v51, v67, s[0:1]
	v_max3_f32 v64, v52, v53, v50
	v_mbcnt_lo_u32_b32 v50, -1, 0
	v_mbcnt_hi_u32_b32 v65, -1, v50
	v_and_b32_e32 v50, 64, v65
	v_add_u32_e32 v88, 64, v50
	v_xor_b32_e32 v50, 32, v65
	v_cmp_lt_i32_e64 s[38:39], v50, v88
	v_cndmask_b32_e64 v50, v65, v50, s[38:39]
	v_lshlrev_b32_e32 v89, 2, v50
	ds_bpermute_b32 v90, v89, v64
	v_add_co_u32_e64 v50, s[38:39], v68, v60
	v_addc_co_u32_e64 v51, s[38:39], v69, v61, s[38:39]
	v_xor_b32_e32 v61, 16, v65
	v_cmp_lt_i32_e64 s[38:39], v61, v88
	s_waitcnt lgkmcnt(0)
	v_max_f32_e32 v60, v90, v90
	v_cndmask_b32_e64 v61, v65, v61, s[38:39]
	v_max_f32_e32 v60, v64, v60
	v_lshlrev_b32_e32 v90, 2, v61
	ds_bpermute_b32 v61, v90, v60
	v_add_co_u32_e64 v58, s[38:39], v68, v58
	v_addc_co_u32_e64 v59, s[38:39], v69, v59, s[38:39]
	s_waitcnt lgkmcnt(0)
	v_max_f32_e32 v61, v61, v61
	v_max_f32_e32 v88, v60, v61
	v_sub_f32_e32 v60, v62, v88
	v_mul_f32_e32 v60, 0x3fb8aa3b, v60
	v_exp_f32_e32 v68, v60
	v_sub_f32_e32 v60, v63, v88
	v_mul_f32_e32 v60, 0x3fb8aa3b, v60
	global_load_dwordx4 v[54:57], v[50:51], off
	s_nop 0
	global_load_dwordx4 v[50:53], v[50:51], off offset:16
	v_exp_f32_e32 v69, v60
	global_load_dwordx4 v[62:65], v[58:59], off
	s_nop 0
	global_load_dwordx4 v[58:61], v[58:59], off offset:16
	v_sub_f32_e32 v78, v78, v88
	v_mul_f32_e32 v78, 0x3fb8aa3b, v78
	v_sub_f32_e32 v79, v79, v88
	v_exp_f32_e32 v78, v78
	v_mul_f32_e32 v79, 0x3fb8aa3b, v79
	v_sub_f32_e32 v70, v70, v88
	v_exp_f32_e32 v79, v79
	v_mul_f32_e32 v70, 0x3fb8aa3b, v70
	v_sub_f32_e32 v71, v71, v88
	v_cndmask_b32_e64 v68, 0, v68, s[28:29]
	v_exp_f32_e32 v70, v70
	v_mul_f32_e32 v71, 0x3fb8aa3b, v71
	v_sub_f32_e32 v80, v80, v88
	v_add_f32_e32 v91, 0, v68
	v_cndmask_b32_e64 v69, 0, v69, s[30:31]
	v_exp_f32_e32 v71, v71
	v_mul_f32_e32 v80, 0x3fb8aa3b, v80
	v_sub_f32_e32 v81, v81, v88
	v_add_f32_e32 v91, v91, v69
	;; [unrolled: 5-line block ×10, first 2 shown]
	v_cndmask_b32_e64 v76, 0, v76, s[10:11]
	v_exp_f32_e32 v66, v66
	v_mul_f32_e32 v67, 0x3fb8aa3b, v67
	v_add_f32_e32 v91, v91, v76
	v_cndmask_b32_e64 v77, 0, v77, s[12:13]
	v_exp_f32_e32 v67, v67
	v_add_f32_e32 v91, v91, v77
	v_cndmask_b32_e64 v74, 0, v74, s[2:3]
	v_add_f32_e32 v91, v91, v74
	v_cndmask_b32_e64 v75, 0, v75, s[8:9]
	v_add_f32_e32 v91, v91, v75
	v_cndmask_b32_e32 v66, 0, v66, vcc
	v_add_f32_e32 v91, v91, v66
	v_cndmask_b32_e64 v67, 0, v67, s[0:1]
	v_add_f32_e32 v91, v91, v67
	ds_bpermute_b32 v89, v89, v91
	v_cmp_gt_u32_e64 s[0:1], 16, v86
	s_waitcnt lgkmcnt(0)
	s_barrier
	v_add_f32_e32 v89, v91, v89
	ds_bpermute_b32 v90, v90, v89
	s_and_saveexec_b64 s[2:3], s[0:1]
	s_cbranch_execz .LBB332_13
; %bb.12:
	s_waitcnt lgkmcnt(0)
	v_add_f32_e32 v86, v89, v90
	v_lshlrev_b32_e32 v87, 2, v87
	ds_write2st64_b32 v87, v88, v86 offset1:1
.LBB332_13:
	s_or_b64 exec, exec, s[2:3]
	v_lshlrev_b32_e32 v87, 2, v83
	s_load_dword s8, s[4:5], 0x94
	s_waitcnt lgkmcnt(0)
	s_barrier
	ds_read2_b32 v[88:89], v87 offset1:16
	ds_read2_b32 v[90:91], v87 offset0:32 offset1:48
	ds_read2_b32 v[92:93], v87 offset0:64 offset1:80
	s_movk_i32 s10, 0x7fff
	s_mov_b32 s11, 0x7060302
	s_waitcnt lgkmcnt(2)
	v_max3_f32 v86, v88, s40, v89
	s_waitcnt lgkmcnt(1)
	v_max3_f32 v86, v86, v90, v91
	v_sub_f32_e32 v88, v88, v86
	v_mul_f32_e32 v88, 0x3fb8aa3b, v88
	v_exp_f32_e32 v94, v88
	v_sub_f32_e32 v88, v89, v86
	v_mul_f32_e32 v88, 0x3fb8aa3b, v88
	v_exp_f32_e32 v95, v88
	;; [unrolled: 3-line block ×3, first 2 shown]
	ds_read2_b32 v[88:89], v87 offset0:96 offset1:112
	v_sub_f32_e32 v87, v91, v86
	v_mul_f32_e32 v87, 0x3fb8aa3b, v87
	v_exp_f32_e32 v91, v87
	s_waitcnt lgkmcnt(1)
	v_fma_f32 v87, v94, v92, 0
	v_fmac_f32_e32 v87, v95, v93
	s_waitcnt lgkmcnt(0)
	v_fmac_f32_e32 v87, v90, v88
	v_fmac_f32_e32 v87, v91, v89
	v_add_f32_e32 v88, 0x358637bd, v87
	v_div_scale_f32 v89, s[2:3], v88, v88, 1.0
	v_rcp_f32_e32 v92, v89
	s_barrier
	v_fma_f32 v93, -v89, v92, 1.0
	v_fmac_f32_e32 v92, v93, v92
	v_div_scale_f32 v93, vcc, 1.0, v88, 1.0
	v_mul_f32_e32 v82, v93, v92
	v_fma_f32 v84, -v89, v82, v93
	v_fmac_f32_e32 v82, v84, v92
	v_fma_f32 v84, -v89, v82, v93
	v_div_fmas_f32 v82, v84, v92, v82
	v_cmp_eq_u32_e32 vcc, 1, v85
	v_cndmask_b32_e32 v84, v94, v95, vcc
	v_cmp_eq_u32_e32 vcc, 2, v85
	v_cndmask_b32_e32 v84, v84, v90, vcc
	v_cmp_eq_u32_e32 vcc, 3, v85
	v_div_fixup_f32 v82, v82, v88, 1.0
	v_cndmask_b32_e32 v84, v84, v91, vcc
	v_mul_f32_e32 v88, v84, v82
	v_pk_mul_f32 v[68:69], v[88:89], v[68:69] op_sel_hi:[0,1]
	v_bfe_u32 v82, v69, 16, 1
	v_bfe_u32 v84, v68, 16, 1
	v_pk_mul_f32 v[78:79], v[88:89], v[78:79] op_sel_hi:[0,1]
	v_add3_u32 v68, v68, v84, s10
	v_add3_u32 v69, v69, v82, s10
	v_perm_b32 v90, v69, v68, s11
	v_bfe_u32 v68, v79, 16, 1
	v_bfe_u32 v69, v78, 16, 1
	v_add3_u32 v69, v78, v69, s10
	v_add3_u32 v68, v79, v68, s10
	v_perm_b32 v91, v68, v69, s11
	v_lshlrev_b32_e32 v69, 3, v1
	v_lshlrev_b32_e32 v68, 5, v83
	;; [unrolled: 1-line block ×3, first 2 shown]
	v_pk_mul_f32 v[70:71], v[88:89], v[70:71] op_sel_hi:[0,1]
	v_or3_b32 v78, v78, v68, v69
	v_bfe_u32 v69, v71, 16, 1
	v_bfe_u32 v79, v70, 16, 1
	v_pk_mul_f32 v[80:81], v[88:89], v[80:81] op_sel_hi:[0,1]
	v_add3_u32 v70, v70, v79, s10
	v_add3_u32 v69, v71, v69, s10
	v_perm_b32 v70, v69, v70, s11
	v_bfe_u32 v69, v81, 16, 1
	v_bfe_u32 v71, v80, 16, 1
	v_add3_u32 v71, v80, v71, s10
	v_add3_u32 v69, v81, v69, s10
	v_perm_b32 v71, v69, v71, s11
	v_pk_mul_f32 v[72:73], v[88:89], v[72:73] op_sel_hi:[0,1]
	ds_write2st64_b64 v78, v[90:91], v[70:71] offset1:1
	v_pk_mul_f32 v[70:71], v[88:89], v[76:77] op_sel_hi:[0,1]
	v_bfe_u32 v69, v73, 16, 1
	v_bfe_u32 v76, v72, 16, 1
	v_add3_u32 v72, v72, v76, s10
	v_add3_u32 v69, v73, v69, s10
	v_perm_b32 v72, v69, v72, s11
	v_bfe_u32 v69, v71, 16, 1
	v_bfe_u32 v73, v70, 16, 1
	v_add3_u32 v70, v70, v73, s10
	v_add3_u32 v69, v71, v69, s10
	v_perm_b32 v73, v69, v70, s11
	v_pk_mul_f32 v[70:71], v[88:89], v[74:75] op_sel_hi:[0,1]
	v_bfe_u32 v69, v71, 16, 1
	v_bfe_u32 v74, v70, 16, 1
	v_pk_mul_f32 v[66:67], v[88:89], v[66:67] op_sel_hi:[0,1]
	v_add3_u32 v70, v70, v74, s10
	v_add3_u32 v69, v71, v69, s10
	v_perm_b32 v70, v69, v70, s11
	v_bfe_u32 v69, v67, 16, 1
	v_bfe_u32 v71, v66, 16, 1
	v_add3_u32 v66, v66, v71, s10
	v_add3_u32 v67, v67, v69, s10
	s_mul_i32 s9, s33, 9
	v_perm_b32 v71, v67, v66, s11
	v_cmp_gt_u32_e32 vcc, 9, v0
	ds_write2st64_b64 v78, v[72:73], v[70:71] offset0:2 offset1:3
	s_and_saveexec_b64 s[2:3], vcc
	s_cbranch_execz .LBB332_15
; %bb.14:
	v_add_co_u32_e32 v70, vcc, s27, v83
	v_addc_co_u32_e64 v71, s[16:17], 0, 0, vcc
	v_mov_b32_e32 v66, s9
	v_mov_b32_e32 v67, 0
	v_mad_u64_u32 v[70:71], s[16:17], s6, v66, v[70:71]
	v_mov_b32_e32 v66, s26
	s_load_dwordx4 s[12:15], s[4:5], 0x58
	s_mul_i32 s7, s7, s9
	v_mad_u64_u32 v[66:67], s[16:17], v70, s8, v[66:67]
	v_add_u32_e32 v69, s7, v71
	v_mov_b32_e32 v70, v67
	v_mad_u64_u32 v[70:71], s[16:17], v69, s8, v[70:71]
	v_mov_b32_e32 v67, v70
	v_lshlrev_b64 v[66:67], 2, v[66:67]
	s_waitcnt lgkmcnt(0)
	v_mov_b32_e32 v69, s15
	v_add_co_u32_e32 v70, vcc, s14, v66
	v_addc_co_u32_e32 v71, vcc, v69, v67, vcc
	v_mov_b32_e32 v69, s13
	v_add_co_u32_e32 v66, vcc, s12, v66
	v_addc_co_u32_e32 v67, vcc, v69, v67, vcc
	global_store_dword v[70:71], v86, off
	global_store_dword v[66:67], v87, off
.LBB332_15:
	s_or_b64 exec, exec, s[2:3]
	v_lshl_or_b32 v79, v1, 9, v68
	s_waitcnt lgkmcnt(0)
	s_barrier
	ds_read_b128 v[70:73], v79
	ds_read_b128 v[66:69], v79 offset:16
	s_waitcnt vmcnt(15) lgkmcnt(1)
	v_mfma_f32_16x16x16bf16_1k v[74:77], v[46:47], v[70:71], 0
	s_mov_b32 s3, 0
	v_cmp_gt_u32_e32 vcc, 64, v0
	v_mfma_f32_16x16x16bf16_1k v[46:49], v[48:49], v[72:73], v[74:77]
	s_waitcnt vmcnt(14) lgkmcnt(0)
	v_mfma_f32_16x16x16bf16_1k v[46:49], v[42:43], v[66:67], v[46:49]
	v_mfma_f32_16x16x16bf16_1k v[42:45], v[44:45], v[68:69], v[46:49]
	s_nop 7
	s_nop 1
	ds_read_b128 v[46:49], v79 offset:2048
	ds_read_b128 v[74:77], v79 offset:2064
	s_waitcnt vmcnt(13) lgkmcnt(1)
	v_mfma_f32_16x16x16bf16_1k v[42:45], v[38:39], v[46:47], v[42:45]
	v_mfma_f32_16x16x16bf16_1k v[38:41], v[40:41], v[48:49], v[42:45]
	s_waitcnt vmcnt(12) lgkmcnt(0)
	v_mfma_f32_16x16x16bf16_1k v[38:41], v[34:35], v[74:75], v[38:41]
	v_mfma_f32_16x16x16bf16_1k v[34:37], v[36:37], v[76:77], v[38:41]
	s_nop 7
	s_nop 1
	ds_read_b128 v[38:41], v79 offset:4096
	ds_read_b128 v[42:45], v79 offset:4112
	s_waitcnt vmcnt(11) lgkmcnt(1)
	v_mfma_f32_16x16x16bf16_1k v[34:37], v[30:31], v[38:39], v[34:37]
	v_mfma_f32_16x16x16bf16_1k v[30:33], v[32:33], v[40:41], v[34:37]
	s_waitcnt vmcnt(10) lgkmcnt(0)
	v_mfma_f32_16x16x16bf16_1k v[30:33], v[26:27], v[42:43], v[30:33]
	v_mfma_f32_16x16x16bf16_1k v[26:29], v[28:29], v[44:45], v[30:33]
	s_nop 7
	s_nop 1
	ds_read_b128 v[30:33], v79 offset:6144
	ds_read_b128 v[34:37], v79 offset:6160
	s_waitcnt lgkmcnt(0)
	s_barrier
	s_waitcnt vmcnt(9)
	v_mfma_f32_16x16x16bf16_1k v[26:29], v[22:23], v[30:31], v[26:29]
	v_mfma_f32_16x16x16bf16_1k v[22:25], v[24:25], v[32:33], v[26:29]
	s_waitcnt vmcnt(8)
	v_mfma_f32_16x16x16bf16_1k v[22:25], v[18:19], v[34:35], v[22:25]
	v_mfma_f32_16x16x16bf16_1k v[18:21], v[20:21], v[36:37], v[22:25]
	;; [unrolled: 3-line block ×4, first 2 shown]
	s_waitcnt vmcnt(5)
	v_mfma_f32_16x16x16bf16_1k v[2:5], v[14:15], v[46:47], v[2:5]
	s_nop 7
	v_bfe_u32 v6, v19, 16, 1
	v_bfe_u32 v7, v18, 16, 1
	v_add3_u32 v7, v18, v7, s10
	v_add3_u32 v6, v19, v6, s10
	v_perm_b32 v6, v6, v7, s11
	v_bfe_u32 v7, v21, 16, 1
	v_bfe_u32 v8, v20, 16, 1
	v_mfma_f32_16x16x16bf16_1k v[2:5], v[16:17], v[48:49], v[2:5]
	v_add3_u32 v8, v20, v8, s10
	v_add3_u32 v7, v21, v7, s10
	v_perm_b32 v7, v7, v8, s11
	s_waitcnt vmcnt(4)
	v_mfma_f32_16x16x16bf16_1k v[2:5], v[10:11], v[74:75], v[2:5]
	v_mfma_f32_16x16x16bf16_1k v[2:5], v[12:13], v[76:77], v[2:5]
	s_waitcnt vmcnt(3)
	v_mfma_f32_16x16x16bf16_1k v[2:5], v[54:55], v[38:39], v[2:5]
	v_mfma_f32_16x16x16bf16_1k v[2:5], v[56:57], v[40:41], v[2:5]
	;; [unrolled: 3-line block ×5, first 2 shown]
	s_nop 7
	s_nop 2
	v_bfe_u32 v8, v3, 16, 1
	v_bfe_u32 v9, v2, 16, 1
	v_add3_u32 v2, v2, v9, s10
	v_add3_u32 v3, v3, v8, s10
	v_perm_b32 v2, v3, v2, s11
	v_bfe_u32 v3, v5, 16, 1
	v_bfe_u32 v8, v4, 16, 1
	v_add3_u32 v4, v4, v8, s10
	v_add3_u32 v3, v5, v3, s10
	v_perm_b32 v3, v3, v4, s11
	ds_write2st64_b64 v78, v[6:7], v[2:3] offset1:1
	s_waitcnt lgkmcnt(0)
	s_barrier
	s_and_saveexec_b64 s[10:11], vcc
	s_cbranch_execz .LBB332_18
; %bb.16:
	v_lshlrev_b32_e32 v4, 6, v83
	v_lshlrev_b32_e32 v3, 4, v0
	v_lshl_or_b32 v0, v0, 10, v4
	v_lshlrev_b32_e32 v2, 5, v1
	v_and_b32_e32 v3, 16, v3
	v_and_b32_e32 v0, 0x1a00, v0
	v_or3_b32 v0, v0, v2, v3
	buffer_load_dword v2, off, s[44:47], 0  ; 4-byte Folded Reload
	s_load_dwordx2 s[10:11], s[4:5], 0x68
	s_lshl_b32 s4, s8, 7
	s_mul_i32 s2, s9, s6
	s_mul_hi_u32 s7, s2, s4
	s_mul_i32 s6, s2, s4
	s_lshl_b64 s[6:7], s[6:7], 1
	s_waitcnt lgkmcnt(0)
	s_add_u32 s5, s10, s6
	s_addc_u32 s6, s11, s7
	s_lshl_b32 s2, s26, 7
	s_lshl_b64 s[2:3], s[2:3], 1
	s_add_u32 s2, s5, s2
	s_addc_u32 s3, s6, s3
	ds_read_b128 v[4:7], v0 offset:128
	ds_read_b128 v[8:11], v0
	v_add_u32_e32 v14, s27, v1
	v_mov_b32_e32 v3, s3
	s_waitcnt vmcnt(0)
	v_add_co_u32_e32 v2, vcc, s2, v2
	v_mad_u64_u32 v[12:13], s[2:3], v14, s4, 0
	v_addc_co_u32_e32 v3, vcc, 0, v3, vcc
	v_lshlrev_b64 v[12:13], 1, v[12:13]
	v_add_co_u32_e32 v12, vcc, v2, v12
	v_addc_co_u32_e32 v13, vcc, v3, v13, vcc
	s_waitcnt lgkmcnt(0)
	global_store_dwordx4 v[12:13], v[8:11], off
	s_nop 0
	v_add_u32_e32 v8, 4, v14
	v_mad_u64_u32 v[8:9], s[2:3], v8, s4, 0
	v_lshlrev_b64 v[8:9], 1, v[8:9]
	v_add_co_u32_e32 v8, vcc, v2, v8
	v_addc_co_u32_e32 v9, vcc, v3, v9, vcc
	global_store_dwordx4 v[8:9], v[4:7], off
	s_and_b64 exec, exec, s[0:1]
	s_cbranch_execz .LBB332_18
; %bb.17:
	ds_read_b128 v[4:7], v0 offset:256
	v_add3_u32 v0, s27, v1, 8
	v_mad_u64_u32 v[0:1], s[0:1], v0, s4, 0
	v_lshlrev_b64 v[0:1], 1, v[0:1]
	v_add_co_u32_e32 v0, vcc, v2, v0
	v_addc_co_u32_e32 v1, vcc, v3, v1, vcc
	s_waitcnt lgkmcnt(0)
	global_store_dwordx4 v[0:1], v[4:7], off
.LBB332_18:
	s_endpgm
	.section	.rodata,"a",@progbits
	.p2align	6, 0x0
	.amdhsa_kernel _Z39paged_attention_ll4mi_QKV_mfma16_kernelI14__hip_bfloat16S0_LN4vllm18Fp8KVCacheDataTypeE0ES0_Li16ELi128ELi256ELb0ELi9EL8MFMAType0EEvPKT_PKT0_S9_ifPKiSB_SB_iPKfiiiPfSE_PS4_PT2_iSD_SD_
		.amdhsa_group_segment_fixed_size 8192
		.amdhsa_private_segment_fixed_size 8
		.amdhsa_kernarg_size 400
		.amdhsa_user_sgpr_count 6
		.amdhsa_user_sgpr_private_segment_buffer 1
		.amdhsa_user_sgpr_dispatch_ptr 0
		.amdhsa_user_sgpr_queue_ptr 0
		.amdhsa_user_sgpr_kernarg_segment_ptr 1
		.amdhsa_user_sgpr_dispatch_id 0
		.amdhsa_user_sgpr_flat_scratch_init 0
		.amdhsa_user_sgpr_kernarg_preload_length 0
		.amdhsa_user_sgpr_kernarg_preload_offset 0
		.amdhsa_user_sgpr_private_segment_size 0
		.amdhsa_uses_dynamic_stack 0
		.amdhsa_system_sgpr_private_segment_wavefront_offset 1
		.amdhsa_system_sgpr_workgroup_id_x 1
		.amdhsa_system_sgpr_workgroup_id_y 1
		.amdhsa_system_sgpr_workgroup_id_z 1
		.amdhsa_system_sgpr_workgroup_info 0
		.amdhsa_system_vgpr_workitem_id 0
		.amdhsa_next_free_vgpr 96
		.amdhsa_next_free_sgpr 48
		.amdhsa_accum_offset 96
		.amdhsa_reserve_vcc 1
		.amdhsa_reserve_flat_scratch 0
		.amdhsa_float_round_mode_32 0
		.amdhsa_float_round_mode_16_64 0
		.amdhsa_float_denorm_mode_32 3
		.amdhsa_float_denorm_mode_16_64 3
		.amdhsa_dx10_clamp 1
		.amdhsa_ieee_mode 1
		.amdhsa_fp16_overflow 0
		.amdhsa_tg_split 0
		.amdhsa_exception_fp_ieee_invalid_op 0
		.amdhsa_exception_fp_denorm_src 0
		.amdhsa_exception_fp_ieee_div_zero 0
		.amdhsa_exception_fp_ieee_overflow 0
		.amdhsa_exception_fp_ieee_underflow 0
		.amdhsa_exception_fp_ieee_inexact 0
		.amdhsa_exception_int_div_zero 0
	.end_amdhsa_kernel
	.section	.text._Z39paged_attention_ll4mi_QKV_mfma16_kernelI14__hip_bfloat16S0_LN4vllm18Fp8KVCacheDataTypeE0ES0_Li16ELi128ELi256ELb0ELi9EL8MFMAType0EEvPKT_PKT0_S9_ifPKiSB_SB_iPKfiiiPfSE_PS4_PT2_iSD_SD_,"axG",@progbits,_Z39paged_attention_ll4mi_QKV_mfma16_kernelI14__hip_bfloat16S0_LN4vllm18Fp8KVCacheDataTypeE0ES0_Li16ELi128ELi256ELb0ELi9EL8MFMAType0EEvPKT_PKT0_S9_ifPKiSB_SB_iPKfiiiPfSE_PS4_PT2_iSD_SD_,comdat
.Lfunc_end332:
	.size	_Z39paged_attention_ll4mi_QKV_mfma16_kernelI14__hip_bfloat16S0_LN4vllm18Fp8KVCacheDataTypeE0ES0_Li16ELi128ELi256ELb0ELi9EL8MFMAType0EEvPKT_PKT0_S9_ifPKiSB_SB_iPKfiiiPfSE_PS4_PT2_iSD_SD_, .Lfunc_end332-_Z39paged_attention_ll4mi_QKV_mfma16_kernelI14__hip_bfloat16S0_LN4vllm18Fp8KVCacheDataTypeE0ES0_Li16ELi128ELi256ELb0ELi9EL8MFMAType0EEvPKT_PKT0_S9_ifPKiSB_SB_iPKfiiiPfSE_PS4_PT2_iSD_SD_
                                        ; -- End function
	.section	.AMDGPU.csdata,"",@progbits
; Kernel info:
; codeLenInByte = 4928
; NumSgprs: 52
; NumVgprs: 96
; NumAgprs: 0
; TotalNumVgprs: 96
; ScratchSize: 8
; MemoryBound: 0
; FloatMode: 240
; IeeeMode: 1
; LDSByteSize: 8192 bytes/workgroup (compile time only)
; SGPRBlocks: 6
; VGPRBlocks: 11
; NumSGPRsForWavesPerEU: 52
; NumVGPRsForWavesPerEU: 96
; AccumOffset: 96
; Occupancy: 5
; WaveLimiterHint : 1
; COMPUTE_PGM_RSRC2:SCRATCH_EN: 1
; COMPUTE_PGM_RSRC2:USER_SGPR: 6
; COMPUTE_PGM_RSRC2:TRAP_HANDLER: 0
; COMPUTE_PGM_RSRC2:TGID_X_EN: 1
; COMPUTE_PGM_RSRC2:TGID_Y_EN: 1
; COMPUTE_PGM_RSRC2:TGID_Z_EN: 1
; COMPUTE_PGM_RSRC2:TIDIG_COMP_CNT: 0
; COMPUTE_PGM_RSRC3_GFX90A:ACCUM_OFFSET: 23
; COMPUTE_PGM_RSRC3_GFX90A:TG_SPLIT: 0
	.section	.text._Z39paged_attention_ll4mi_QKV_mfma16_kernelI14__hip_bfloat16S0_LN4vllm18Fp8KVCacheDataTypeE0ES0_Li16ELi128ELi256ELb0ELi10EL8MFMAType0EEvPKT_PKT0_S9_ifPKiSB_SB_iPKfiiiPfSE_PS4_PT2_iSD_SD_,"axG",@progbits,_Z39paged_attention_ll4mi_QKV_mfma16_kernelI14__hip_bfloat16S0_LN4vllm18Fp8KVCacheDataTypeE0ES0_Li16ELi128ELi256ELb0ELi10EL8MFMAType0EEvPKT_PKT0_S9_ifPKiSB_SB_iPKfiiiPfSE_PS4_PT2_iSD_SD_,comdat
	.protected	_Z39paged_attention_ll4mi_QKV_mfma16_kernelI14__hip_bfloat16S0_LN4vllm18Fp8KVCacheDataTypeE0ES0_Li16ELi128ELi256ELb0ELi10EL8MFMAType0EEvPKT_PKT0_S9_ifPKiSB_SB_iPKfiiiPfSE_PS4_PT2_iSD_SD_ ; -- Begin function _Z39paged_attention_ll4mi_QKV_mfma16_kernelI14__hip_bfloat16S0_LN4vllm18Fp8KVCacheDataTypeE0ES0_Li16ELi128ELi256ELb0ELi10EL8MFMAType0EEvPKT_PKT0_S9_ifPKiSB_SB_iPKfiiiPfSE_PS4_PT2_iSD_SD_
	.globl	_Z39paged_attention_ll4mi_QKV_mfma16_kernelI14__hip_bfloat16S0_LN4vllm18Fp8KVCacheDataTypeE0ES0_Li16ELi128ELi256ELb0ELi10EL8MFMAType0EEvPKT_PKT0_S9_ifPKiSB_SB_iPKfiiiPfSE_PS4_PT2_iSD_SD_
	.p2align	8
	.type	_Z39paged_attention_ll4mi_QKV_mfma16_kernelI14__hip_bfloat16S0_LN4vllm18Fp8KVCacheDataTypeE0ES0_Li16ELi128ELi256ELb0ELi10EL8MFMAType0EEvPKT_PKT0_S9_ifPKiSB_SB_iPKfiiiPfSE_PS4_PT2_iSD_SD_,@function
_Z39paged_attention_ll4mi_QKV_mfma16_kernelI14__hip_bfloat16S0_LN4vllm18Fp8KVCacheDataTypeE0ES0_Li16ELi128ELi256ELb0ELi10EL8MFMAType0EEvPKT_PKT0_S9_ifPKiSB_SB_iPKfiiiPfSE_PS4_PT2_iSD_SD_: ; @_Z39paged_attention_ll4mi_QKV_mfma16_kernelI14__hip_bfloat16S0_LN4vllm18Fp8KVCacheDataTypeE0ES0_Li16ELi128ELi256ELb0ELi10EL8MFMAType0EEvPKT_PKT0_S9_ifPKiSB_SB_iPKfiiiPfSE_PS4_PT2_iSD_SD_
; %bb.0:
	s_mov_b64 s[46:47], s[2:3]
	s_mov_b64 s[44:45], s[0:1]
	s_load_dwordx2 s[0:1], s[4:5], 0x30
	s_add_u32 s44, s44, s9
	s_addc_u32 s45, s45, 0
	s_mov_b32 s26, s7
	s_mov_b64 s[10:11], 0
	s_waitcnt lgkmcnt(0)
	s_cmp_lg_u64 s[0:1], 0
	s_cselect_b64 s[2:3], -1, 0
	s_and_b64 vcc, exec, s[2:3]
	s_cbranch_vccz .LBB333_7
; %bb.1:
	s_add_i32 s12, s6, 1
	s_mov_b32 s13, 0
	s_lshl_b64 s[14:15], s[12:13], 2
	s_add_u32 s14, s0, s14
	s_mov_b32 s7, s13
	s_addc_u32 s15, s1, s15
	s_lshl_b64 s[12:13], s[6:7], 2
	s_add_u32 s12, s0, s12
	s_addc_u32 s13, s1, s13
	s_load_dword s9, s[14:15], 0x0
	s_load_dword s16, s[12:13], 0x0
	s_waitcnt lgkmcnt(0)
	s_sub_i32 s9, s9, s16
	s_cmp_eq_u32 s9, 1
	s_cselect_b64 s[12:13], -1, 0
	s_andn2_b64 vcc, exec, s[10:11]
	s_cbranch_vccnz .LBB333_3
.LBB333_2:
	s_mov_b32 s7, 0
	s_mov_b64 s[12:13], -1
.LBB333_3:
	s_andn2_b64 vcc, exec, s[12:13]
	s_cbranch_vccnz .LBB333_18
; %bb.4:
	s_load_dwordx2 s[12:13], s[4:5], 0x28
	s_lshl_b64 s[10:11], s[6:7], 2
	s_waitcnt lgkmcnt(0)
	s_add_u32 s12, s12, s10
	s_addc_u32 s13, s13, s11
	s_load_dword s38, s[12:13], 0x0
	s_lshl_b32 s9, s26, 8
	s_waitcnt lgkmcnt(0)
	s_cmp_ge_i32 s9, s38
	s_cbranch_scc1 .LBB333_18
; %bb.5:
	s_add_i32 s15, s38, 15
	s_load_dwordx2 s[12:13], s[4:5], 0x20
	s_load_dword s14, s[4:5], 0x38
	s_ashr_i32 s16, s15, 31
	v_and_b32_e32 v1, 0xcf, v0
	s_lshr_b32 s16, s16, 28
	v_add_u32_e32 v1, s9, v1
	s_add_i32 s15, s15, s16
	v_ashrrev_i32_e32 v2, 31, v1
	s_ashr_i32 s18, s15, 4
	v_lshrrev_b32_e32 v6, 28, v2
	s_add_i32 s18, s18, -1
	v_add_u32_e32 v2, v1, v6
	s_waitcnt lgkmcnt(0)
	s_mul_i32 s14, s6, s14
	s_mov_b32 s15, 0
	v_ashrrev_i32_e32 v2, 4, v2
	v_mov_b32_e32 v7, s18
	v_cmp_gt_i32_e32 vcc, s38, v1
	s_lshl_b64 s[14:15], s[14:15], 2
	v_cndmask_b32_e32 v2, v7, v2, vcc
	s_add_u32 s16, s12, s14
	v_ashrrev_i32_e32 v3, 31, v2
	s_addc_u32 s17, s13, s15
	v_lshlrev_b64 v[2:3], 2, v[2:3]
	v_mov_b32_e32 v5, s17
	v_add_co_u32_e32 v4, vcc, s16, v2
	v_or_b32_e32 v2, 16, v1
	v_addc_co_u32_e32 v5, vcc, v5, v3, vcc
	v_add_u32_e32 v3, v2, v6
	v_ashrrev_i32_e32 v3, 4, v3
	v_cmp_gt_i32_e32 vcc, s38, v2
	v_cndmask_b32_e32 v2, v7, v3, vcc
	v_ashrrev_i32_e32 v3, 31, v2
	v_lshlrev_b64 v[2:3], 2, v[2:3]
	v_mov_b32_e32 v9, s17
	v_add_co_u32_e32 v8, vcc, s16, v2
	v_or_b32_e32 v2, 32, v1
	v_addc_co_u32_e32 v9, vcc, v9, v3, vcc
	v_add_u32_e32 v3, v2, v6
	v_ashrrev_i32_e32 v3, 4, v3
	v_cmp_gt_i32_e32 vcc, s38, v2
	v_cndmask_b32_e32 v2, v7, v3, vcc
	v_ashrrev_i32_e32 v3, 31, v2
	;; [unrolled: 10-line block ×3, first 2 shown]
	v_lshlrev_b64 v[2:3], 2, v[2:3]
	v_mov_b32_e32 v1, s17
	v_add_co_u32_e32 v12, vcc, s16, v2
	v_addc_co_u32_e32 v13, vcc, v1, v3, vcc
	global_load_dword v3, v[4:5], off
	global_load_dword v2, v[8:9], off
	;; [unrolled: 1-line block ×4, first 2 shown]
	s_load_dwordx4 s[12:15], s[4:5], 0x8
	s_andn2_b64 vcc, exec, s[2:3]
	s_cbranch_vccnz .LBB333_8
; %bb.6:
	s_add_u32 s0, s0, s10
	s_addc_u32 s1, s1, s11
	s_load_dword s19, s[0:1], 0x0
	s_branch .LBB333_9
.LBB333_7:
	s_mov_b64 s[12:13], 0
	s_branch .LBB333_2
.LBB333_8:
	s_mov_b32 s19, s6
.LBB333_9:
	s_load_dwordx4 s[0:3], s[4:5], 0x48
	v_lshrrev_b32_e32 v85, 6, v0
	v_bfe_u32 v1, v0, 4, 2
	v_and_b32_e32 v83, 15, v0
	v_lshl_or_b32 v4, v85, 2, v1
	v_lshlrev_b32_e32 v5, 3, v83
	v_and_b32_e32 v86, 63, v0
	s_mul_i32 s27, s8, 10
	v_cmp_gt_u32_e32 vcc, 10, v4
	v_lshlrev_b32_e32 v5, 1, v5
	buffer_store_dword v5, off, s[44:47], 0 ; 4-byte Folded Spill
	s_and_saveexec_b64 s[10:11], vcc
	s_cbranch_execz .LBB333_11
; %bb.10:
	s_load_dwordx2 s[20:21], s[4:5], 0x0
	s_waitcnt lgkmcnt(0)
	s_ashr_i32 s3, s0, 31
	s_mul_hi_u32 s22, s19, s0
	s_mul_i32 s3, s19, s3
	s_add_i32 s23, s22, s3
	s_mul_i32 s22, s19, s0
	v_add_lshl_u32 v8, v4, s27, 7
	s_lshl_b64 s[22:23], s[22:23], 1
	v_ashrrev_i32_e32 v9, 31, v8
	s_add_u32 s0, s20, s22
	v_lshlrev_b64 v[8:9], 1, v[8:9]
	v_add_co_u32_e32 v7, vcc, s0, v8
	buffer_load_dword v8, off, s[44:47], 0  ; 4-byte Folded Reload
	s_addc_u32 s3, s21, s23
	v_mov_b32_e32 v5, s3
	v_addc_co_u32_e32 v5, vcc, v5, v9, vcc
	v_lshlrev_b32_e32 v4, 5, v4
	s_waitcnt vmcnt(0)
	v_add_co_u32_e32 v8, vcc, v7, v8
	v_addc_co_u32_e32 v9, vcc, 0, v5, vcc
	global_load_dwordx4 v[8:11], v[8:9], off
	v_and_b32_e32 v5, 3, v0
	v_lshlrev_b32_e32 v7, 9, v83
	v_lshlrev_b32_e32 v5, 9, v5
	v_and_b32_e32 v7, 0x1800, v7
	v_or3_b32 v4, v7, v5, v4
	s_waitcnt vmcnt(0)
	ds_write_b128 v4, v[8:11]
.LBB333_11:
	s_or_b64 exec, exec, s[10:11]
	s_waitcnt lgkmcnt(0)
	s_mul_i32 s2, s8, s2
	s_mov_b32 s3, 0
	s_lshl_b64 s[2:3], s[2:3], 1
	s_add_u32 s8, s12, s2
	v_lshlrev_b32_e32 v7, 4, v0
	s_addc_u32 s10, s13, s3
	v_and_b32_e32 v4, 0xf0, v7
	v_mov_b32_e32 v5, s10
	v_add_co_u32_e32 v29, vcc, s8, v4
	v_addc_co_u32_e32 v30, vcc, 0, v5, vcc
	s_waitcnt vmcnt(4)
	v_mad_i64_i32 v[4:5], s[10:11], v3, s1, 0
	v_lshlrev_b64 v[4:5], 1, v[4:5]
	v_add_co_u32_e32 v3, vcc, v29, v4
	v_addc_co_u32_e32 v4, vcc, v30, v5, vcc
	v_and_b32_e32 v31, 0x300, v7
	v_add_co_u32_e32 v22, vcc, v3, v31
	v_addc_co_u32_e32 v23, vcc, 0, v4, vcc
	s_load_dword s33, s[4:5], 0x98
	s_load_dword s0, s[4:5], 0x1c
	s_waitcnt lgkmcnt(0)
	s_barrier
	global_load_dwordx4 v[10:13], v[22:23], off
	global_load_dwordx4 v[18:21], v[22:23], off offset:1024
	s_waitcnt vmcnt(5)
	v_mad_i64_i32 v[2:3], s[10:11], v2, s1, 0
	v_lshlrev_b64 v[2:3], 1, v[2:3]
	v_add_co_u32_e32 v2, vcc, v29, v2
	v_addc_co_u32_e32 v3, vcc, v30, v3, vcc
	v_add_co_u32_e32 v24, vcc, v2, v31
	v_addc_co_u32_e32 v25, vcc, 0, v3, vcc
	global_load_dwordx4 v[14:17], v[24:25], off
	global_load_dwordx4 v[38:41], v[24:25], off offset:1024
	v_add_u32_e32 v2, -10, v83
	v_cmp_gt_u32_e32 vcc, 10, v83
	v_cndmask_b32_e32 v2, v2, v83, vcc
	v_lshlrev_b32_e32 v2, 5, v2
	v_lshl_add_u32 v32, v1, 9, v2
	ds_read_b128 v[2:5], v32
	s_waitcnt vmcnt(6)
	v_mad_i64_i32 v[6:7], s[10:11], v6, s1, 0
	v_lshlrev_b64 v[26:27], 1, v[6:7]
	ds_read_b128 v[6:9], v32 offset:2048
	v_and_or_b32 v62, v0, 48, s9
	v_mov_b32_e32 v63, s18
	v_mov_b32_e32 v68, s17
	s_add_u32 s8, s14, s2
	v_lshl_or_b32 v87, v85, 4, v83
	v_lshlrev_b32_e32 v76, 5, v87
	s_mov_b32 s40, 0xff7fffff
	s_waitcnt vmcnt(3) lgkmcnt(1)
	v_mfma_f32_16x16x16bf16_1k v[34:37], v[10:11], v[2:3], 0
	v_add_co_u32_e32 v10, vcc, v29, v26
	v_addc_co_u32_e32 v11, vcc, v30, v27, vcc
	v_add_co_u32_e32 v26, vcc, v10, v31
	v_addc_co_u32_e32 v27, vcc, 0, v11, vcc
	global_load_dwordx4 v[46:49], v[26:27], off
	global_load_dwordx4 v[58:61], v[26:27], off offset:1024
	s_waitcnt vmcnt(3)
	v_mfma_f32_16x16x16bf16_1k v[42:45], v[14:15], v[2:3], 0
	v_cmp_gt_i32_e32 vcc, s38, v62
	v_mfma_f32_16x16x16bf16_1k v[14:17], v[16:17], v[4:5], v[42:45]
	s_nop 7
	s_nop 0
	global_load_dwordx4 v[42:45], v[22:23], off offset:2048
	v_mfma_f32_16x16x16bf16_1k v[10:13], v[12:13], v[4:5], v[34:37]
	s_waitcnt vmcnt(3) lgkmcnt(0)
	v_mfma_f32_16x16x16bf16_1k v[14:17], v[38:39], v[6:7], v[14:17]
	v_mfma_f32_16x16x16bf16_1k v[10:13], v[18:19], v[6:7], v[10:13]
	;; [unrolled: 1-line block ×3, first 2 shown]
	global_load_dwordx4 v[38:41], v[22:23], off offset:3072
	v_mfma_f32_16x16x16bf16_1k v[18:21], v[20:21], v[8:9], v[10:13]
	s_waitcnt vmcnt(3)
	v_mfma_f32_16x16x16bf16_1k v[50:53], v[46:47], v[2:3], 0
	v_mfma_f32_16x16x16bf16_1k v[34:37], v[48:49], v[4:5], v[50:53]
	global_load_dwordx4 v[46:49], v[24:25], off offset:2048
	s_nop 3
	ds_read_b128 v[10:13], v32 offset:4096
	s_nop 3
	ds_read_b128 v[50:53], v32 offset:6144
	global_load_dwordx4 v[22:25], v[24:25], off offset:3072
	v_mad_i64_i32 v[32:33], s[10:11], v28, s1, 0
	v_mov_b32_e32 v28, s17
	s_addc_u32 s10, s15, s3
	s_waitcnt vmcnt(3) lgkmcnt(1)
	v_mfma_f32_16x16x16bf16_1k v[18:21], v[42:43], v[10:11], v[18:21]
	v_mfma_f32_16x16x16bf16_1k v[18:21], v[44:45], v[12:13], v[18:21]
	global_load_dwordx4 v[42:45], v[26:27], off offset:2048
	s_waitcnt vmcnt(3) lgkmcnt(0)
	v_mfma_f32_16x16x16bf16_1k v[18:21], v[38:39], v[50:51], v[18:21]
	v_or_b32_e32 v38, 64, v62
	v_ashrrev_i32_e32 v39, 4, v38
	v_mfma_f32_16x16x16bf16_1k v[54:57], v[40:41], v[52:53], v[18:21]
	s_waitcnt vmcnt(2)
	v_mfma_f32_16x16x16bf16_1k v[14:17], v[46:47], v[10:11], v[14:17]
	v_mfma_f32_16x16x16bf16_1k v[14:17], v[48:49], v[12:13], v[14:17]
	global_load_dwordx4 v[46:49], v[26:27], off offset:3072
	v_lshlrev_b64 v[26:27], 1, v[32:33]
	v_ashrrev_i32_e32 v32, 4, v62
	v_cndmask_b32_e32 v32, v63, v32, vcc
	v_ashrrev_i32_e32 v33, 31, v32
	v_cmp_gt_i32_e32 vcc, s38, v38
	v_cndmask_b32_e32 v38, v63, v39, vcc
	s_waitcnt vmcnt(2)
	v_mfma_f32_16x16x16bf16_1k v[14:17], v[22:23], v[50:51], v[14:17]
	v_lshlrev_b64 v[22:23], 2, v[32:33]
	v_add_co_u32_e32 v22, vcc, s16, v22
	v_addc_co_u32_e32 v23, vcc, v28, v23, vcc
	v_add_co_u32_e32 v18, vcc, v29, v26
	v_addc_co_u32_e32 v19, vcc, v30, v27, vcc
	;; [unrolled: 2-line block ×3, first 2 shown]
	v_mfma_f32_16x16x16bf16_1k v[64:67], v[24:25], v[52:53], v[14:17]
	global_load_dword v30, v[22:23], off
	v_ashrrev_i32_e32 v39, 31, v38
	v_lshlrev_b64 v[32:33], 2, v[38:39]
	v_add_co_u32_e32 v18, vcc, s16, v32
	v_addc_co_u32_e32 v19, vcc, v68, v33, vcc
	s_nop 1
	global_load_dwordx4 v[14:17], v[26:27], off
	global_load_dword v31, v[18:19], off
	s_nop 0
	global_load_dwordx4 v[18:21], v[26:27], off offset:1024
	global_load_dwordx4 v[68:71], v[26:27], off offset:2048
	;; [unrolled: 1-line block ×3, first 2 shown]
	v_mfma_f32_16x16x16bf16_1k v[22:25], v[58:59], v[6:7], v[34:37]
	v_or_b32_e32 v28, 0x80, v62
	v_ashrrev_i32_e32 v29, 4, v28
	v_cmp_gt_i32_e32 vcc, s38, v28
	v_cndmask_b32_e32 v28, v63, v29, vcc
	v_ashrrev_i32_e32 v29, 31, v28
	v_lshlrev_b64 v[28:29], 2, v[28:29]
	v_mov_b32_e32 v32, s17
	v_mfma_f32_16x16x16bf16_1k v[22:25], v[60:61], v[8:9], v[22:25]
	v_add_co_u32_e32 v28, vcc, s16, v28
	v_addc_co_u32_e32 v29, vcc, v32, v29, vcc
	global_load_dword v32, v[28:29], off
	v_or_b32_e32 v28, 0xc0, v62
	v_ashrrev_i32_e32 v29, 4, v28
	v_cmp_gt_i32_e32 vcc, s38, v28
	v_cndmask_b32_e32 v28, v63, v29, vcc
	v_ashrrev_i32_e32 v29, 31, v28
	v_lshlrev_b64 v[28:29], 2, v[28:29]
	s_waitcnt vmcnt(8)
	v_mfma_f32_16x16x16bf16_1k v[22:25], v[42:43], v[10:11], v[22:25]
	v_mov_b32_e32 v33, s17
	v_add_co_u32_e32 v28, vcc, s16, v28
	v_addc_co_u32_e32 v29, vcc, v33, v29, vcc
	global_load_dword v58, v[28:29], off
	v_mov_b32_e32 v26, s10
	v_mfma_f32_16x16x16bf16_1k v[22:25], v[44:45], v[12:13], v[22:25]
	v_add_co_u32_e32 v77, vcc, s8, v76
	v_addc_co_u32_e32 v78, vcc, 0, v26, vcc
	v_pk_mul_f32 v[80:81], s[0:1], v[66:67] op_sel_hi:[0,1]
	s_waitcnt vmcnt(8)
	v_mfma_f32_16x16x16bf16_1k v[22:25], v[46:47], v[50:51], v[22:25]
	v_mfma_f32_16x16x16bf16_1k v[88:91], v[48:49], v[52:53], v[22:25]
	s_waitcnt vmcnt(7)
	s_nop 7
	s_nop 0
	v_mad_i64_i32 v[22:23], s[2:3], v30, s1, 0
	v_lshlrev_b64 v[62:63], 1, v[22:23]
	s_waitcnt vmcnt(6)
	v_mfma_f32_16x16x16bf16_1k v[22:25], v[14:15], v[2:3], 0
	v_add_co_u32_e32 v2, vcc, v77, v62
	v_addc_co_u32_e32 v3, vcc, v78, v63, vcc
	global_load_dwordx4 v[46:49], v[2:3], off
	global_load_dwordx4 v[42:45], v[2:3], off offset:16
	s_waitcnt vmcnt(7)
	v_mad_i64_i32 v[2:3], s[2:3], v31, s1, 0
	v_lshlrev_b64 v[14:15], 1, v[2:3]
	v_mfma_f32_16x16x16bf16_1k v[2:5], v[16:17], v[4:5], v[22:25]
	v_add_co_u32_e32 v16, vcc, v77, v14
	v_addc_co_u32_e32 v17, vcc, v78, v15, vcc
	global_load_dwordx4 v[38:41], v[16:17], off
	global_load_dwordx4 v[34:37], v[16:17], off offset:16
	s_waitcnt vmcnt(5)
	v_mad_i64_i32 v[16:17], s[2:3], v32, s1, 0
	v_mfma_f32_16x16x16bf16_1k v[2:5], v[18:19], v[6:7], v[2:5]
	v_lshlrev_b64 v[60:61], 1, v[16:17]
	v_add_co_u32_e32 v6, vcc, v77, v60
	v_addc_co_u32_e32 v7, vcc, v78, v61, vcc
	global_load_dwordx4 v[30:33], v[6:7], off
	global_load_dwordx4 v[26:29], v[6:7], off offset:16
	s_waitcnt vmcnt(6)
	v_mad_i64_i32 v[6:7], s[2:3], v58, s1, 0
	v_mfma_f32_16x16x16bf16_1k v[2:5], v[20:21], v[8:9], v[2:5]
	v_lshlrev_b64 v[58:59], 1, v[6:7]
	v_add_co_u32_e32 v6, vcc, v77, v58
	v_addc_co_u32_e32 v7, vcc, v78, v59, vcc
	global_load_dwordx4 v[22:25], v[6:7], off
	global_load_dwordx4 v[18:21], v[6:7], off offset:16
	v_or_b32_e32 v6, 0x800, v76
	v_mfma_f32_16x16x16bf16_1k v[2:5], v[68:69], v[10:11], v[2:5]
	v_mov_b32_e32 v7, s10
	v_add_co_u32_e32 v68, vcc, s8, v6
	v_addc_co_u32_e32 v69, vcc, 0, v7, vcc
	v_pk_mul_f32 v[78:79], s[0:1], v[56:57] op_sel_hi:[0,1]
	v_pk_mul_f32 v[76:77], s[0:1], v[90:91] op_sel_hi:[0,1]
	v_mfma_f32_16x16x16bf16_1k v[10:13], v[70:71], v[12:13], v[2:5]
	v_pk_mul_f32 v[70:71], s[0:1], v[64:65] op_sel_hi:[0,1]
	v_mfma_f32_16x16x16bf16_1k v[92:95], v[72:73], v[50:51], v[10:13]
	s_nop 4
	v_add_co_u32_e32 v2, vcc, v68, v62
	v_addc_co_u32_e32 v3, vcc, v69, v63, vcc
	v_add_co_u32_e32 v62, vcc, v68, v14
	v_addc_co_u32_e32 v63, vcc, v69, v15, vcc
	v_mfma_f32_16x16x16bf16_1k v[50:53], v[74:75], v[52:53], v[92:95]
	global_load_dwordx4 v[6:9], v[2:3], off
	s_nop 0
	global_load_dwordx4 v[2:5], v[2:3], off offset:16
	s_nop 0
	global_load_dwordx4 v[14:17], v[62:63], off
	global_load_dwordx4 v[10:13], v[62:63], off offset:16
	v_pk_mul_f32 v[62:63], s[0:1], v[54:55] op_sel_hi:[0,1]
	v_pk_mul_f32 v[72:73], s[0:1], v[88:89] op_sel_hi:[0,1]
	s_nop 2
	v_pk_mul_f32 v[74:75], s[0:1], v[50:51] op_sel_hi:[0,1]
	v_and_b32_e32 v50, 0xc0, v0
	v_add_u32_e32 v50, s9, v50
	v_lshl_or_b32 v50, v1, 2, v50
	v_pk_mul_f32 v[66:67], s[0:1], v[52:53] op_sel_hi:[0,1]
	v_or_b32_e32 v53, 1, v50
	v_mov_b32_e32 v51, 0xff7fffff
	v_cmp_gt_i32_e64 s[28:29], s38, v50
	v_cmp_gt_i32_e64 s[30:31], s38, v53
	v_cndmask_b32_e64 v52, v51, v62, s[28:29]
	v_cndmask_b32_e64 v53, v51, v63, s[30:31]
	v_max3_f32 v52, v52, s40, v53
	v_or_b32_e32 v53, 2, v50
	v_or_b32_e32 v54, 3, v50
	v_cmp_gt_i32_e64 s[34:35], s38, v53
	v_cmp_gt_i32_e64 s[36:37], s38, v54
	v_cndmask_b32_e64 v53, v51, v78, s[34:35]
	v_cndmask_b32_e64 v54, v51, v79, s[36:37]
	v_max3_f32 v52, v52, v53, v54
	v_or_b32_e32 v53, 16, v50
	v_or_b32_e32 v54, 17, v50
	;; [unrolled: 7-line block ×7, first 2 shown]
	v_cmp_gt_i32_e32 vcc, s38, v53
	v_cmp_gt_i32_e64 s[0:1], s38, v50
	v_cndmask_b32_e32 v53, v51, v66, vcc
	v_cndmask_b32_e64 v50, v51, v67, s[0:1]
	v_max3_f32 v64, v52, v53, v50
	v_mbcnt_lo_u32_b32 v50, -1, 0
	v_mbcnt_hi_u32_b32 v65, -1, v50
	v_and_b32_e32 v50, 64, v65
	v_add_u32_e32 v88, 64, v50
	v_xor_b32_e32 v50, 32, v65
	v_cmp_lt_i32_e64 s[38:39], v50, v88
	v_cndmask_b32_e64 v50, v65, v50, s[38:39]
	v_lshlrev_b32_e32 v89, 2, v50
	ds_bpermute_b32 v90, v89, v64
	v_add_co_u32_e64 v50, s[38:39], v68, v60
	v_addc_co_u32_e64 v51, s[38:39], v69, v61, s[38:39]
	v_xor_b32_e32 v61, 16, v65
	v_cmp_lt_i32_e64 s[38:39], v61, v88
	s_waitcnt lgkmcnt(0)
	v_max_f32_e32 v60, v90, v90
	v_cndmask_b32_e64 v61, v65, v61, s[38:39]
	v_max_f32_e32 v60, v64, v60
	v_lshlrev_b32_e32 v90, 2, v61
	ds_bpermute_b32 v61, v90, v60
	v_add_co_u32_e64 v58, s[38:39], v68, v58
	v_addc_co_u32_e64 v59, s[38:39], v69, v59, s[38:39]
	s_waitcnt lgkmcnt(0)
	v_max_f32_e32 v61, v61, v61
	v_max_f32_e32 v88, v60, v61
	v_sub_f32_e32 v60, v62, v88
	v_mul_f32_e32 v60, 0x3fb8aa3b, v60
	v_exp_f32_e32 v68, v60
	v_sub_f32_e32 v60, v63, v88
	v_mul_f32_e32 v60, 0x3fb8aa3b, v60
	global_load_dwordx4 v[54:57], v[50:51], off
	s_nop 0
	global_load_dwordx4 v[50:53], v[50:51], off offset:16
	v_exp_f32_e32 v69, v60
	global_load_dwordx4 v[62:65], v[58:59], off
	s_nop 0
	global_load_dwordx4 v[58:61], v[58:59], off offset:16
	v_sub_f32_e32 v78, v78, v88
	v_mul_f32_e32 v78, 0x3fb8aa3b, v78
	v_sub_f32_e32 v79, v79, v88
	v_exp_f32_e32 v78, v78
	v_mul_f32_e32 v79, 0x3fb8aa3b, v79
	v_sub_f32_e32 v70, v70, v88
	v_exp_f32_e32 v79, v79
	v_mul_f32_e32 v70, 0x3fb8aa3b, v70
	v_sub_f32_e32 v71, v71, v88
	v_cndmask_b32_e64 v68, 0, v68, s[28:29]
	v_exp_f32_e32 v70, v70
	v_mul_f32_e32 v71, 0x3fb8aa3b, v71
	v_sub_f32_e32 v80, v80, v88
	v_add_f32_e32 v91, 0, v68
	v_cndmask_b32_e64 v69, 0, v69, s[30:31]
	v_exp_f32_e32 v71, v71
	v_mul_f32_e32 v80, 0x3fb8aa3b, v80
	v_sub_f32_e32 v81, v81, v88
	v_add_f32_e32 v91, v91, v69
	;; [unrolled: 5-line block ×10, first 2 shown]
	v_cndmask_b32_e64 v76, 0, v76, s[10:11]
	v_exp_f32_e32 v66, v66
	v_mul_f32_e32 v67, 0x3fb8aa3b, v67
	v_add_f32_e32 v91, v91, v76
	v_cndmask_b32_e64 v77, 0, v77, s[12:13]
	v_exp_f32_e32 v67, v67
	v_add_f32_e32 v91, v91, v77
	v_cndmask_b32_e64 v74, 0, v74, s[2:3]
	v_add_f32_e32 v91, v91, v74
	v_cndmask_b32_e64 v75, 0, v75, s[8:9]
	v_add_f32_e32 v91, v91, v75
	v_cndmask_b32_e32 v66, 0, v66, vcc
	v_add_f32_e32 v91, v91, v66
	v_cndmask_b32_e64 v67, 0, v67, s[0:1]
	v_add_f32_e32 v91, v91, v67
	ds_bpermute_b32 v89, v89, v91
	v_cmp_gt_u32_e32 vcc, 16, v86
	s_waitcnt lgkmcnt(0)
	s_barrier
	v_add_f32_e32 v89, v91, v89
	ds_bpermute_b32 v90, v90, v89
	s_and_saveexec_b64 s[0:1], vcc
	s_cbranch_execz .LBB333_13
; %bb.12:
	s_waitcnt lgkmcnt(0)
	v_add_f32_e32 v86, v89, v90
	v_lshlrev_b32_e32 v87, 2, v87
	ds_write2st64_b32 v87, v88, v86 offset1:1
.LBB333_13:
	s_or_b64 exec, exec, s[0:1]
	v_lshlrev_b32_e32 v87, 2, v83
	s_load_dword s2, s[4:5], 0x94
	s_waitcnt lgkmcnt(0)
	s_barrier
	ds_read2_b32 v[88:89], v87 offset1:16
	ds_read2_b32 v[90:91], v87 offset0:32 offset1:48
	ds_read2_b32 v[92:93], v87 offset0:64 offset1:80
	s_movk_i32 s8, 0x7fff
	s_mov_b32 s9, 0x7060302
	s_waitcnt lgkmcnt(2)
	v_max3_f32 v86, v88, s40, v89
	s_waitcnt lgkmcnt(1)
	v_max3_f32 v86, v86, v90, v91
	v_sub_f32_e32 v88, v88, v86
	v_mul_f32_e32 v88, 0x3fb8aa3b, v88
	v_exp_f32_e32 v94, v88
	v_sub_f32_e32 v88, v89, v86
	v_mul_f32_e32 v88, 0x3fb8aa3b, v88
	v_exp_f32_e32 v95, v88
	;; [unrolled: 3-line block ×3, first 2 shown]
	ds_read2_b32 v[88:89], v87 offset0:96 offset1:112
	v_sub_f32_e32 v87, v91, v86
	v_mul_f32_e32 v87, 0x3fb8aa3b, v87
	v_exp_f32_e32 v91, v87
	s_waitcnt lgkmcnt(1)
	v_fma_f32 v87, v94, v92, 0
	v_fmac_f32_e32 v87, v95, v93
	s_waitcnt lgkmcnt(0)
	v_fmac_f32_e32 v87, v90, v88
	v_fmac_f32_e32 v87, v91, v89
	v_add_f32_e32 v88, 0x358637bd, v87
	v_div_scale_f32 v89, s[0:1], v88, v88, 1.0
	v_rcp_f32_e32 v92, v89
	s_barrier
	v_fma_f32 v93, -v89, v92, 1.0
	v_fmac_f32_e32 v92, v93, v92
	v_div_scale_f32 v93, vcc, 1.0, v88, 1.0
	v_mul_f32_e32 v82, v93, v92
	v_fma_f32 v84, -v89, v82, v93
	v_fmac_f32_e32 v82, v84, v92
	v_fma_f32 v84, -v89, v82, v93
	v_div_fmas_f32 v82, v84, v92, v82
	v_cmp_eq_u32_e32 vcc, 1, v85
	v_cndmask_b32_e32 v84, v94, v95, vcc
	v_cmp_eq_u32_e32 vcc, 2, v85
	v_cndmask_b32_e32 v84, v84, v90, vcc
	v_cmp_eq_u32_e32 vcc, 3, v85
	v_div_fixup_f32 v82, v82, v88, 1.0
	v_cndmask_b32_e32 v84, v84, v91, vcc
	v_mul_f32_e32 v88, v84, v82
	v_pk_mul_f32 v[68:69], v[88:89], v[68:69] op_sel_hi:[0,1]
	v_bfe_u32 v82, v69, 16, 1
	v_bfe_u32 v84, v68, 16, 1
	v_pk_mul_f32 v[78:79], v[88:89], v[78:79] op_sel_hi:[0,1]
	v_add3_u32 v68, v68, v84, s8
	v_add3_u32 v69, v69, v82, s8
	v_perm_b32 v90, v69, v68, s9
	v_bfe_u32 v68, v79, 16, 1
	v_bfe_u32 v69, v78, 16, 1
	v_add3_u32 v69, v78, v69, s8
	v_add3_u32 v68, v79, v68, s8
	v_perm_b32 v91, v68, v69, s9
	v_lshlrev_b32_e32 v69, 3, v1
	v_lshlrev_b32_e32 v68, 5, v83
	;; [unrolled: 1-line block ×3, first 2 shown]
	v_pk_mul_f32 v[70:71], v[88:89], v[70:71] op_sel_hi:[0,1]
	v_or3_b32 v78, v78, v68, v69
	v_bfe_u32 v69, v71, 16, 1
	v_bfe_u32 v79, v70, 16, 1
	v_pk_mul_f32 v[80:81], v[88:89], v[80:81] op_sel_hi:[0,1]
	v_add3_u32 v70, v70, v79, s8
	v_add3_u32 v69, v71, v69, s8
	v_perm_b32 v70, v69, v70, s9
	v_bfe_u32 v69, v81, 16, 1
	v_bfe_u32 v71, v80, 16, 1
	v_add3_u32 v71, v80, v71, s8
	v_add3_u32 v69, v81, v69, s8
	v_perm_b32 v71, v69, v71, s9
	v_pk_mul_f32 v[72:73], v[88:89], v[72:73] op_sel_hi:[0,1]
	ds_write2st64_b64 v78, v[90:91], v[70:71] offset1:1
	v_pk_mul_f32 v[70:71], v[88:89], v[76:77] op_sel_hi:[0,1]
	v_bfe_u32 v69, v73, 16, 1
	v_bfe_u32 v76, v72, 16, 1
	v_add3_u32 v72, v72, v76, s8
	v_add3_u32 v69, v73, v69, s8
	v_perm_b32 v72, v69, v72, s9
	v_bfe_u32 v69, v71, 16, 1
	v_bfe_u32 v73, v70, 16, 1
	v_add3_u32 v70, v70, v73, s8
	v_add3_u32 v69, v71, v69, s8
	v_perm_b32 v73, v69, v70, s9
	v_pk_mul_f32 v[70:71], v[88:89], v[74:75] op_sel_hi:[0,1]
	v_bfe_u32 v69, v71, 16, 1
	v_bfe_u32 v74, v70, 16, 1
	v_pk_mul_f32 v[66:67], v[88:89], v[66:67] op_sel_hi:[0,1]
	v_add3_u32 v70, v70, v74, s8
	v_add3_u32 v69, v71, v69, s8
	v_perm_b32 v70, v69, v70, s9
	v_bfe_u32 v69, v67, 16, 1
	v_bfe_u32 v71, v66, 16, 1
	v_add3_u32 v66, v66, v71, s8
	v_add3_u32 v67, v67, v69, s8
	s_mul_i32 s3, s33, 10
	v_perm_b32 v71, v67, v66, s9
	v_cmp_gt_u32_e32 vcc, 10, v0
	ds_write2st64_b64 v78, v[72:73], v[70:71] offset0:2 offset1:3
	s_and_saveexec_b64 s[0:1], vcc
	s_cbranch_execz .LBB333_15
; %bb.14:
	v_add_co_u32_e32 v70, vcc, s27, v83
	v_addc_co_u32_e64 v71, s[10:11], 0, 0, vcc
	v_mov_b32_e32 v66, s3
	v_mov_b32_e32 v67, 0
	v_mad_u64_u32 v[70:71], s[10:11], s6, v66, v[70:71]
	v_mov_b32_e32 v66, s26
	s_load_dwordx4 s[12:15], s[4:5], 0x58
	s_mul_i32 s7, s7, s3
	v_mad_u64_u32 v[66:67], s[10:11], v70, s2, v[66:67]
	v_add_u32_e32 v69, s7, v71
	v_mov_b32_e32 v70, v67
	v_mad_u64_u32 v[70:71], s[10:11], v69, s2, v[70:71]
	v_mov_b32_e32 v67, v70
	v_lshlrev_b64 v[66:67], 2, v[66:67]
	s_waitcnt lgkmcnt(0)
	v_mov_b32_e32 v69, s15
	v_add_co_u32_e32 v70, vcc, s14, v66
	v_addc_co_u32_e32 v71, vcc, v69, v67, vcc
	v_mov_b32_e32 v69, s13
	v_add_co_u32_e32 v66, vcc, s12, v66
	v_addc_co_u32_e32 v67, vcc, v69, v67, vcc
	global_store_dword v[70:71], v86, off
	global_store_dword v[66:67], v87, off
.LBB333_15:
	s_or_b64 exec, exec, s[0:1]
	v_lshl_or_b32 v79, v1, 9, v68
	s_waitcnt lgkmcnt(0)
	s_barrier
	ds_read_b128 v[70:73], v79
	ds_read_b128 v[66:69], v79 offset:16
	s_waitcnt vmcnt(15) lgkmcnt(1)
	v_mfma_f32_16x16x16bf16_1k v[74:77], v[46:47], v[70:71], 0
	s_mov_b32 s1, 0
	v_cmp_gt_u32_e32 vcc, 64, v0
	v_mfma_f32_16x16x16bf16_1k v[46:49], v[48:49], v[72:73], v[74:77]
	s_waitcnt vmcnt(14) lgkmcnt(0)
	v_mfma_f32_16x16x16bf16_1k v[46:49], v[42:43], v[66:67], v[46:49]
	v_mfma_f32_16x16x16bf16_1k v[42:45], v[44:45], v[68:69], v[46:49]
	s_nop 7
	s_nop 1
	ds_read_b128 v[46:49], v79 offset:2048
	ds_read_b128 v[74:77], v79 offset:2064
	s_waitcnt vmcnt(13) lgkmcnt(1)
	v_mfma_f32_16x16x16bf16_1k v[42:45], v[38:39], v[46:47], v[42:45]
	v_mfma_f32_16x16x16bf16_1k v[38:41], v[40:41], v[48:49], v[42:45]
	s_waitcnt vmcnt(12) lgkmcnt(0)
	v_mfma_f32_16x16x16bf16_1k v[38:41], v[34:35], v[74:75], v[38:41]
	v_mfma_f32_16x16x16bf16_1k v[34:37], v[36:37], v[76:77], v[38:41]
	s_nop 7
	s_nop 1
	ds_read_b128 v[38:41], v79 offset:4096
	ds_read_b128 v[42:45], v79 offset:4112
	s_waitcnt vmcnt(11) lgkmcnt(1)
	v_mfma_f32_16x16x16bf16_1k v[34:37], v[30:31], v[38:39], v[34:37]
	v_mfma_f32_16x16x16bf16_1k v[30:33], v[32:33], v[40:41], v[34:37]
	s_waitcnt vmcnt(10) lgkmcnt(0)
	v_mfma_f32_16x16x16bf16_1k v[30:33], v[26:27], v[42:43], v[30:33]
	v_mfma_f32_16x16x16bf16_1k v[26:29], v[28:29], v[44:45], v[30:33]
	s_nop 7
	s_nop 1
	ds_read_b128 v[30:33], v79 offset:6144
	ds_read_b128 v[34:37], v79 offset:6160
	s_waitcnt lgkmcnt(0)
	s_barrier
	s_waitcnt vmcnt(9)
	v_mfma_f32_16x16x16bf16_1k v[26:29], v[22:23], v[30:31], v[26:29]
	v_mfma_f32_16x16x16bf16_1k v[22:25], v[24:25], v[32:33], v[26:29]
	s_waitcnt vmcnt(8)
	v_mfma_f32_16x16x16bf16_1k v[22:25], v[18:19], v[34:35], v[22:25]
	v_mfma_f32_16x16x16bf16_1k v[18:21], v[20:21], v[36:37], v[22:25]
	;; [unrolled: 3-line block ×4, first 2 shown]
	s_waitcnt vmcnt(5)
	v_mfma_f32_16x16x16bf16_1k v[2:5], v[14:15], v[46:47], v[2:5]
	s_nop 7
	v_bfe_u32 v6, v19, 16, 1
	v_bfe_u32 v7, v18, 16, 1
	v_add3_u32 v7, v18, v7, s8
	v_add3_u32 v6, v19, v6, s8
	v_perm_b32 v6, v6, v7, s9
	v_bfe_u32 v7, v21, 16, 1
	v_bfe_u32 v8, v20, 16, 1
	v_mfma_f32_16x16x16bf16_1k v[2:5], v[16:17], v[48:49], v[2:5]
	v_add3_u32 v8, v20, v8, s8
	v_add3_u32 v7, v21, v7, s8
	v_perm_b32 v7, v7, v8, s9
	s_waitcnt vmcnt(4)
	v_mfma_f32_16x16x16bf16_1k v[2:5], v[10:11], v[74:75], v[2:5]
	v_mfma_f32_16x16x16bf16_1k v[2:5], v[12:13], v[76:77], v[2:5]
	s_waitcnt vmcnt(3)
	v_mfma_f32_16x16x16bf16_1k v[2:5], v[54:55], v[38:39], v[2:5]
	v_mfma_f32_16x16x16bf16_1k v[2:5], v[56:57], v[40:41], v[2:5]
	s_waitcnt vmcnt(2)
	v_mfma_f32_16x16x16bf16_1k v[2:5], v[50:51], v[42:43], v[2:5]
	v_mfma_f32_16x16x16bf16_1k v[2:5], v[52:53], v[44:45], v[2:5]
	s_waitcnt vmcnt(1)
	v_mfma_f32_16x16x16bf16_1k v[2:5], v[62:63], v[30:31], v[2:5]
	v_mfma_f32_16x16x16bf16_1k v[2:5], v[64:65], v[32:33], v[2:5]
	s_waitcnt vmcnt(0)
	v_mfma_f32_16x16x16bf16_1k v[2:5], v[58:59], v[34:35], v[2:5]
	v_mfma_f32_16x16x16bf16_1k v[2:5], v[60:61], v[36:37], v[2:5]
	s_nop 7
	s_nop 2
	v_bfe_u32 v8, v3, 16, 1
	v_bfe_u32 v9, v2, 16, 1
	v_add3_u32 v2, v2, v9, s8
	v_add3_u32 v3, v3, v8, s8
	v_perm_b32 v2, v3, v2, s9
	v_bfe_u32 v3, v5, 16, 1
	v_bfe_u32 v8, v4, 16, 1
	v_add3_u32 v4, v4, v8, s8
	v_add3_u32 v3, v5, v3, s8
	v_perm_b32 v3, v3, v4, s9
	ds_write2st64_b64 v78, v[6:7], v[2:3] offset1:1
	s_waitcnt lgkmcnt(0)
	s_barrier
	s_and_saveexec_b64 s[8:9], vcc
	s_cbranch_execz .LBB333_18
; %bb.16:
	v_lshlrev_b32_e32 v4, 6, v83
	v_lshlrev_b32_e32 v3, 4, v0
	v_lshl_or_b32 v0, v0, 10, v4
	v_lshlrev_b32_e32 v2, 5, v1
	v_and_b32_e32 v3, 16, v3
	v_and_b32_e32 v0, 0x1a00, v0
	v_or3_b32 v0, v0, v2, v3
	buffer_load_dword v3, off, s[44:47], 0  ; 4-byte Folded Reload
	s_load_dwordx2 s[4:5], s[4:5], 0x68
	s_lshl_b32 s2, s2, 7
	s_mul_i32 s0, s3, s6
	s_mul_hi_u32 s7, s0, s2
	s_mul_i32 s6, s0, s2
	s_lshl_b64 s[6:7], s[6:7], 1
	s_waitcnt lgkmcnt(0)
	s_add_u32 s3, s4, s6
	s_addc_u32 s4, s5, s7
	s_lshl_b32 s0, s26, 7
	s_lshl_b64 s[0:1], s[0:1], 1
	s_add_u32 s0, s3, s0
	v_or_b32_e32 v2, 8, v1
	s_addc_u32 s1, s4, s1
	ds_read_b128 v[6:9], v0 offset:128
	ds_read_b128 v[10:13], v0
	v_add_u32_e32 v1, s27, v1
	v_mov_b32_e32 v4, s1
	s_waitcnt vmcnt(0)
	v_add_co_u32_e32 v3, vcc, s0, v3
	v_mad_u64_u32 v[14:15], s[0:1], v1, s2, 0
	v_addc_co_u32_e32 v4, vcc, 0, v4, vcc
	v_lshlrev_b64 v[14:15], 1, v[14:15]
	v_add_co_u32_e32 v14, vcc, v3, v14
	v_addc_co_u32_e32 v15, vcc, v4, v15, vcc
	v_add_u32_e32 v1, 4, v1
	s_waitcnt lgkmcnt(0)
	global_store_dwordx4 v[14:15], v[10:13], off
	s_nop 0
	v_mad_u64_u32 v[10:11], s[0:1], v1, s2, 0
	v_lshlrev_b64 v[10:11], 1, v[10:11]
	v_add_co_u32_e32 v10, vcc, v3, v10
	v_addc_co_u32_e32 v11, vcc, v4, v11, vcc
	v_cmp_gt_u32_e32 vcc, 10, v2
	global_store_dwordx4 v[10:11], v[6:9], off
	s_and_b64 exec, exec, vcc
	s_cbranch_execz .LBB333_18
; %bb.17:
	ds_read_b128 v[6:9], v0 offset:256
	v_add_u32_e32 v0, s27, v2
	v_mad_u64_u32 v[0:1], s[0:1], v0, s2, 0
	v_lshlrev_b64 v[0:1], 1, v[0:1]
	v_add_co_u32_e32 v0, vcc, v3, v0
	v_addc_co_u32_e32 v1, vcc, v4, v1, vcc
	s_waitcnt lgkmcnt(0)
	global_store_dwordx4 v[0:1], v[6:9], off
.LBB333_18:
	s_endpgm
	.section	.rodata,"a",@progbits
	.p2align	6, 0x0
	.amdhsa_kernel _Z39paged_attention_ll4mi_QKV_mfma16_kernelI14__hip_bfloat16S0_LN4vllm18Fp8KVCacheDataTypeE0ES0_Li16ELi128ELi256ELb0ELi10EL8MFMAType0EEvPKT_PKT0_S9_ifPKiSB_SB_iPKfiiiPfSE_PS4_PT2_iSD_SD_
		.amdhsa_group_segment_fixed_size 8192
		.amdhsa_private_segment_fixed_size 8
		.amdhsa_kernarg_size 400
		.amdhsa_user_sgpr_count 6
		.amdhsa_user_sgpr_private_segment_buffer 1
		.amdhsa_user_sgpr_dispatch_ptr 0
		.amdhsa_user_sgpr_queue_ptr 0
		.amdhsa_user_sgpr_kernarg_segment_ptr 1
		.amdhsa_user_sgpr_dispatch_id 0
		.amdhsa_user_sgpr_flat_scratch_init 0
		.amdhsa_user_sgpr_kernarg_preload_length 0
		.amdhsa_user_sgpr_kernarg_preload_offset 0
		.amdhsa_user_sgpr_private_segment_size 0
		.amdhsa_uses_dynamic_stack 0
		.amdhsa_system_sgpr_private_segment_wavefront_offset 1
		.amdhsa_system_sgpr_workgroup_id_x 1
		.amdhsa_system_sgpr_workgroup_id_y 1
		.amdhsa_system_sgpr_workgroup_id_z 1
		.amdhsa_system_sgpr_workgroup_info 0
		.amdhsa_system_vgpr_workitem_id 0
		.amdhsa_next_free_vgpr 96
		.amdhsa_next_free_sgpr 48
		.amdhsa_accum_offset 96
		.amdhsa_reserve_vcc 1
		.amdhsa_reserve_flat_scratch 0
		.amdhsa_float_round_mode_32 0
		.amdhsa_float_round_mode_16_64 0
		.amdhsa_float_denorm_mode_32 3
		.amdhsa_float_denorm_mode_16_64 3
		.amdhsa_dx10_clamp 1
		.amdhsa_ieee_mode 1
		.amdhsa_fp16_overflow 0
		.amdhsa_tg_split 0
		.amdhsa_exception_fp_ieee_invalid_op 0
		.amdhsa_exception_fp_denorm_src 0
		.amdhsa_exception_fp_ieee_div_zero 0
		.amdhsa_exception_fp_ieee_overflow 0
		.amdhsa_exception_fp_ieee_underflow 0
		.amdhsa_exception_fp_ieee_inexact 0
		.amdhsa_exception_int_div_zero 0
	.end_amdhsa_kernel
	.section	.text._Z39paged_attention_ll4mi_QKV_mfma16_kernelI14__hip_bfloat16S0_LN4vllm18Fp8KVCacheDataTypeE0ES0_Li16ELi128ELi256ELb0ELi10EL8MFMAType0EEvPKT_PKT0_S9_ifPKiSB_SB_iPKfiiiPfSE_PS4_PT2_iSD_SD_,"axG",@progbits,_Z39paged_attention_ll4mi_QKV_mfma16_kernelI14__hip_bfloat16S0_LN4vllm18Fp8KVCacheDataTypeE0ES0_Li16ELi128ELi256ELb0ELi10EL8MFMAType0EEvPKT_PKT0_S9_ifPKiSB_SB_iPKfiiiPfSE_PS4_PT2_iSD_SD_,comdat
.Lfunc_end333:
	.size	_Z39paged_attention_ll4mi_QKV_mfma16_kernelI14__hip_bfloat16S0_LN4vllm18Fp8KVCacheDataTypeE0ES0_Li16ELi128ELi256ELb0ELi10EL8MFMAType0EEvPKT_PKT0_S9_ifPKiSB_SB_iPKfiiiPfSE_PS4_PT2_iSD_SD_, .Lfunc_end333-_Z39paged_attention_ll4mi_QKV_mfma16_kernelI14__hip_bfloat16S0_LN4vllm18Fp8KVCacheDataTypeE0ES0_Li16ELi128ELi256ELb0ELi10EL8MFMAType0EEvPKT_PKT0_S9_ifPKiSB_SB_iPKfiiiPfSE_PS4_PT2_iSD_SD_
                                        ; -- End function
	.section	.AMDGPU.csdata,"",@progbits
; Kernel info:
; codeLenInByte = 4928
; NumSgprs: 52
; NumVgprs: 96
; NumAgprs: 0
; TotalNumVgprs: 96
; ScratchSize: 8
; MemoryBound: 0
; FloatMode: 240
; IeeeMode: 1
; LDSByteSize: 8192 bytes/workgroup (compile time only)
; SGPRBlocks: 6
; VGPRBlocks: 11
; NumSGPRsForWavesPerEU: 52
; NumVGPRsForWavesPerEU: 96
; AccumOffset: 96
; Occupancy: 5
; WaveLimiterHint : 1
; COMPUTE_PGM_RSRC2:SCRATCH_EN: 1
; COMPUTE_PGM_RSRC2:USER_SGPR: 6
; COMPUTE_PGM_RSRC2:TRAP_HANDLER: 0
; COMPUTE_PGM_RSRC2:TGID_X_EN: 1
; COMPUTE_PGM_RSRC2:TGID_Y_EN: 1
; COMPUTE_PGM_RSRC2:TGID_Z_EN: 1
; COMPUTE_PGM_RSRC2:TIDIG_COMP_CNT: 0
; COMPUTE_PGM_RSRC3_GFX90A:ACCUM_OFFSET: 23
; COMPUTE_PGM_RSRC3_GFX90A:TG_SPLIT: 0
	.section	.text._Z39paged_attention_ll4mi_QKV_mfma16_kernelI14__hip_bfloat16S0_LN4vllm18Fp8KVCacheDataTypeE0ES0_Li16ELi128ELi256ELb0ELi11EL8MFMAType0EEvPKT_PKT0_S9_ifPKiSB_SB_iPKfiiiPfSE_PS4_PT2_iSD_SD_,"axG",@progbits,_Z39paged_attention_ll4mi_QKV_mfma16_kernelI14__hip_bfloat16S0_LN4vllm18Fp8KVCacheDataTypeE0ES0_Li16ELi128ELi256ELb0ELi11EL8MFMAType0EEvPKT_PKT0_S9_ifPKiSB_SB_iPKfiiiPfSE_PS4_PT2_iSD_SD_,comdat
	.protected	_Z39paged_attention_ll4mi_QKV_mfma16_kernelI14__hip_bfloat16S0_LN4vllm18Fp8KVCacheDataTypeE0ES0_Li16ELi128ELi256ELb0ELi11EL8MFMAType0EEvPKT_PKT0_S9_ifPKiSB_SB_iPKfiiiPfSE_PS4_PT2_iSD_SD_ ; -- Begin function _Z39paged_attention_ll4mi_QKV_mfma16_kernelI14__hip_bfloat16S0_LN4vllm18Fp8KVCacheDataTypeE0ES0_Li16ELi128ELi256ELb0ELi11EL8MFMAType0EEvPKT_PKT0_S9_ifPKiSB_SB_iPKfiiiPfSE_PS4_PT2_iSD_SD_
	.globl	_Z39paged_attention_ll4mi_QKV_mfma16_kernelI14__hip_bfloat16S0_LN4vllm18Fp8KVCacheDataTypeE0ES0_Li16ELi128ELi256ELb0ELi11EL8MFMAType0EEvPKT_PKT0_S9_ifPKiSB_SB_iPKfiiiPfSE_PS4_PT2_iSD_SD_
	.p2align	8
	.type	_Z39paged_attention_ll4mi_QKV_mfma16_kernelI14__hip_bfloat16S0_LN4vllm18Fp8KVCacheDataTypeE0ES0_Li16ELi128ELi256ELb0ELi11EL8MFMAType0EEvPKT_PKT0_S9_ifPKiSB_SB_iPKfiiiPfSE_PS4_PT2_iSD_SD_,@function
_Z39paged_attention_ll4mi_QKV_mfma16_kernelI14__hip_bfloat16S0_LN4vllm18Fp8KVCacheDataTypeE0ES0_Li16ELi128ELi256ELb0ELi11EL8MFMAType0EEvPKT_PKT0_S9_ifPKiSB_SB_iPKfiiiPfSE_PS4_PT2_iSD_SD_: ; @_Z39paged_attention_ll4mi_QKV_mfma16_kernelI14__hip_bfloat16S0_LN4vllm18Fp8KVCacheDataTypeE0ES0_Li16ELi128ELi256ELb0ELi11EL8MFMAType0EEvPKT_PKT0_S9_ifPKiSB_SB_iPKfiiiPfSE_PS4_PT2_iSD_SD_
; %bb.0:
	s_mov_b64 s[46:47], s[2:3]
	s_mov_b64 s[44:45], s[0:1]
	s_load_dwordx2 s[0:1], s[4:5], 0x30
	s_add_u32 s44, s44, s9
	s_addc_u32 s45, s45, 0
	s_mov_b32 s26, s7
	s_mov_b64 s[10:11], 0
	s_waitcnt lgkmcnt(0)
	s_cmp_lg_u64 s[0:1], 0
	s_cselect_b64 s[2:3], -1, 0
	s_and_b64 vcc, exec, s[2:3]
	s_cbranch_vccz .LBB334_7
; %bb.1:
	s_add_i32 s12, s6, 1
	s_mov_b32 s13, 0
	s_lshl_b64 s[14:15], s[12:13], 2
	s_add_u32 s14, s0, s14
	s_mov_b32 s7, s13
	s_addc_u32 s15, s1, s15
	s_lshl_b64 s[12:13], s[6:7], 2
	s_add_u32 s12, s0, s12
	s_addc_u32 s13, s1, s13
	s_load_dword s9, s[14:15], 0x0
	s_load_dword s16, s[12:13], 0x0
	s_waitcnt lgkmcnt(0)
	s_sub_i32 s9, s9, s16
	s_cmp_eq_u32 s9, 1
	s_cselect_b64 s[12:13], -1, 0
	s_andn2_b64 vcc, exec, s[10:11]
	s_cbranch_vccnz .LBB334_3
.LBB334_2:
	s_mov_b32 s7, 0
	s_mov_b64 s[12:13], -1
.LBB334_3:
	s_andn2_b64 vcc, exec, s[12:13]
	s_cbranch_vccnz .LBB334_18
; %bb.4:
	s_load_dwordx2 s[12:13], s[4:5], 0x28
	s_lshl_b64 s[10:11], s[6:7], 2
	s_waitcnt lgkmcnt(0)
	s_add_u32 s12, s12, s10
	s_addc_u32 s13, s13, s11
	s_load_dword s38, s[12:13], 0x0
	s_lshl_b32 s9, s26, 8
	s_waitcnt lgkmcnt(0)
	s_cmp_ge_i32 s9, s38
	s_cbranch_scc1 .LBB334_18
; %bb.5:
	s_add_i32 s15, s38, 15
	s_load_dwordx2 s[12:13], s[4:5], 0x20
	s_load_dword s14, s[4:5], 0x38
	s_ashr_i32 s16, s15, 31
	v_and_b32_e32 v1, 0xcf, v0
	s_lshr_b32 s16, s16, 28
	v_add_u32_e32 v1, s9, v1
	s_add_i32 s15, s15, s16
	v_ashrrev_i32_e32 v2, 31, v1
	s_ashr_i32 s18, s15, 4
	v_lshrrev_b32_e32 v6, 28, v2
	s_add_i32 s18, s18, -1
	v_add_u32_e32 v2, v1, v6
	s_waitcnt lgkmcnt(0)
	s_mul_i32 s14, s6, s14
	s_mov_b32 s15, 0
	v_ashrrev_i32_e32 v2, 4, v2
	v_mov_b32_e32 v7, s18
	v_cmp_gt_i32_e32 vcc, s38, v1
	s_lshl_b64 s[14:15], s[14:15], 2
	v_cndmask_b32_e32 v2, v7, v2, vcc
	s_add_u32 s16, s12, s14
	v_ashrrev_i32_e32 v3, 31, v2
	s_addc_u32 s17, s13, s15
	v_lshlrev_b64 v[2:3], 2, v[2:3]
	v_mov_b32_e32 v5, s17
	v_add_co_u32_e32 v4, vcc, s16, v2
	v_or_b32_e32 v2, 16, v1
	v_addc_co_u32_e32 v5, vcc, v5, v3, vcc
	v_add_u32_e32 v3, v2, v6
	v_ashrrev_i32_e32 v3, 4, v3
	v_cmp_gt_i32_e32 vcc, s38, v2
	v_cndmask_b32_e32 v2, v7, v3, vcc
	v_ashrrev_i32_e32 v3, 31, v2
	v_lshlrev_b64 v[2:3], 2, v[2:3]
	v_mov_b32_e32 v9, s17
	v_add_co_u32_e32 v8, vcc, s16, v2
	v_or_b32_e32 v2, 32, v1
	v_addc_co_u32_e32 v9, vcc, v9, v3, vcc
	v_add_u32_e32 v3, v2, v6
	v_ashrrev_i32_e32 v3, 4, v3
	v_cmp_gt_i32_e32 vcc, s38, v2
	v_cndmask_b32_e32 v2, v7, v3, vcc
	v_ashrrev_i32_e32 v3, 31, v2
	;; [unrolled: 10-line block ×3, first 2 shown]
	v_lshlrev_b64 v[2:3], 2, v[2:3]
	v_mov_b32_e32 v1, s17
	v_add_co_u32_e32 v12, vcc, s16, v2
	v_addc_co_u32_e32 v13, vcc, v1, v3, vcc
	global_load_dword v3, v[4:5], off
	global_load_dword v2, v[8:9], off
	;; [unrolled: 1-line block ×4, first 2 shown]
	s_load_dwordx4 s[12:15], s[4:5], 0x8
	s_andn2_b64 vcc, exec, s[2:3]
	s_cbranch_vccnz .LBB334_8
; %bb.6:
	s_add_u32 s0, s0, s10
	s_addc_u32 s1, s1, s11
	s_load_dword s19, s[0:1], 0x0
	s_branch .LBB334_9
.LBB334_7:
	s_mov_b64 s[12:13], 0
	s_branch .LBB334_2
.LBB334_8:
	s_mov_b32 s19, s6
.LBB334_9:
	s_load_dwordx4 s[0:3], s[4:5], 0x48
	v_lshrrev_b32_e32 v85, 6, v0
	v_bfe_u32 v1, v0, 4, 2
	v_and_b32_e32 v83, 15, v0
	v_lshl_or_b32 v4, v85, 2, v1
	v_lshlrev_b32_e32 v5, 3, v83
	v_and_b32_e32 v86, 63, v0
	s_mul_i32 s27, s8, 11
	v_cmp_gt_u32_e32 vcc, 11, v4
	v_lshlrev_b32_e32 v5, 1, v5
	buffer_store_dword v5, off, s[44:47], 0 ; 4-byte Folded Spill
	s_and_saveexec_b64 s[10:11], vcc
	s_cbranch_execz .LBB334_11
; %bb.10:
	s_load_dwordx2 s[20:21], s[4:5], 0x0
	s_waitcnt lgkmcnt(0)
	s_ashr_i32 s3, s0, 31
	s_mul_hi_u32 s22, s19, s0
	s_mul_i32 s3, s19, s3
	s_add_i32 s23, s22, s3
	s_mul_i32 s22, s19, s0
	v_add_lshl_u32 v8, v4, s27, 7
	s_lshl_b64 s[22:23], s[22:23], 1
	v_ashrrev_i32_e32 v9, 31, v8
	s_add_u32 s0, s20, s22
	v_lshlrev_b64 v[8:9], 1, v[8:9]
	v_add_co_u32_e32 v7, vcc, s0, v8
	buffer_load_dword v8, off, s[44:47], 0  ; 4-byte Folded Reload
	s_addc_u32 s3, s21, s23
	v_mov_b32_e32 v5, s3
	v_addc_co_u32_e32 v5, vcc, v5, v9, vcc
	v_lshlrev_b32_e32 v4, 5, v4
	s_waitcnt vmcnt(0)
	v_add_co_u32_e32 v8, vcc, v7, v8
	v_addc_co_u32_e32 v9, vcc, 0, v5, vcc
	global_load_dwordx4 v[8:11], v[8:9], off
	v_and_b32_e32 v5, 3, v0
	v_lshlrev_b32_e32 v7, 9, v83
	v_lshlrev_b32_e32 v5, 9, v5
	v_and_b32_e32 v7, 0x1800, v7
	v_or3_b32 v4, v7, v5, v4
	s_waitcnt vmcnt(0)
	ds_write_b128 v4, v[8:11]
.LBB334_11:
	s_or_b64 exec, exec, s[10:11]
	s_waitcnt lgkmcnt(0)
	s_mul_i32 s2, s8, s2
	s_mov_b32 s3, 0
	s_lshl_b64 s[2:3], s[2:3], 1
	s_add_u32 s8, s12, s2
	v_lshlrev_b32_e32 v7, 4, v0
	s_addc_u32 s10, s13, s3
	v_and_b32_e32 v4, 0xf0, v7
	v_mov_b32_e32 v5, s10
	v_add_co_u32_e32 v29, vcc, s8, v4
	v_addc_co_u32_e32 v30, vcc, 0, v5, vcc
	s_waitcnt vmcnt(4)
	v_mad_i64_i32 v[4:5], s[10:11], v3, s1, 0
	v_lshlrev_b64 v[4:5], 1, v[4:5]
	v_add_co_u32_e32 v3, vcc, v29, v4
	v_addc_co_u32_e32 v4, vcc, v30, v5, vcc
	v_and_b32_e32 v31, 0x300, v7
	v_add_co_u32_e32 v22, vcc, v3, v31
	v_addc_co_u32_e32 v23, vcc, 0, v4, vcc
	s_load_dword s33, s[4:5], 0x98
	s_load_dword s0, s[4:5], 0x1c
	s_waitcnt lgkmcnt(0)
	s_barrier
	global_load_dwordx4 v[10:13], v[22:23], off
	global_load_dwordx4 v[18:21], v[22:23], off offset:1024
	s_waitcnt vmcnt(5)
	v_mad_i64_i32 v[2:3], s[10:11], v2, s1, 0
	v_lshlrev_b64 v[2:3], 1, v[2:3]
	v_add_co_u32_e32 v2, vcc, v29, v2
	v_addc_co_u32_e32 v3, vcc, v30, v3, vcc
	v_add_co_u32_e32 v24, vcc, v2, v31
	v_addc_co_u32_e32 v25, vcc, 0, v3, vcc
	global_load_dwordx4 v[14:17], v[24:25], off
	global_load_dwordx4 v[38:41], v[24:25], off offset:1024
	v_add_u32_e32 v2, -11, v83
	v_cmp_gt_u32_e32 vcc, 11, v83
	v_cndmask_b32_e32 v2, v2, v83, vcc
	v_lshlrev_b32_e32 v2, 5, v2
	v_lshl_add_u32 v32, v1, 9, v2
	ds_read_b128 v[2:5], v32
	s_waitcnt vmcnt(6)
	v_mad_i64_i32 v[6:7], s[10:11], v6, s1, 0
	v_lshlrev_b64 v[26:27], 1, v[6:7]
	ds_read_b128 v[6:9], v32 offset:2048
	v_and_or_b32 v62, v0, 48, s9
	v_mov_b32_e32 v63, s18
	v_mov_b32_e32 v68, s17
	s_add_u32 s8, s14, s2
	v_lshl_or_b32 v87, v85, 4, v83
	v_lshlrev_b32_e32 v76, 5, v87
	s_mov_b32 s40, 0xff7fffff
	s_waitcnt vmcnt(3) lgkmcnt(1)
	v_mfma_f32_16x16x16bf16_1k v[34:37], v[10:11], v[2:3], 0
	v_add_co_u32_e32 v10, vcc, v29, v26
	v_addc_co_u32_e32 v11, vcc, v30, v27, vcc
	v_add_co_u32_e32 v26, vcc, v10, v31
	v_addc_co_u32_e32 v27, vcc, 0, v11, vcc
	global_load_dwordx4 v[46:49], v[26:27], off
	global_load_dwordx4 v[58:61], v[26:27], off offset:1024
	s_waitcnt vmcnt(3)
	v_mfma_f32_16x16x16bf16_1k v[42:45], v[14:15], v[2:3], 0
	v_cmp_gt_i32_e32 vcc, s38, v62
	v_mfma_f32_16x16x16bf16_1k v[14:17], v[16:17], v[4:5], v[42:45]
	s_nop 7
	s_nop 0
	global_load_dwordx4 v[42:45], v[22:23], off offset:2048
	v_mfma_f32_16x16x16bf16_1k v[10:13], v[12:13], v[4:5], v[34:37]
	s_waitcnt vmcnt(3) lgkmcnt(0)
	v_mfma_f32_16x16x16bf16_1k v[14:17], v[38:39], v[6:7], v[14:17]
	v_mfma_f32_16x16x16bf16_1k v[10:13], v[18:19], v[6:7], v[10:13]
	;; [unrolled: 1-line block ×3, first 2 shown]
	global_load_dwordx4 v[38:41], v[22:23], off offset:3072
	v_mfma_f32_16x16x16bf16_1k v[18:21], v[20:21], v[8:9], v[10:13]
	s_waitcnt vmcnt(3)
	v_mfma_f32_16x16x16bf16_1k v[50:53], v[46:47], v[2:3], 0
	v_mfma_f32_16x16x16bf16_1k v[34:37], v[48:49], v[4:5], v[50:53]
	global_load_dwordx4 v[46:49], v[24:25], off offset:2048
	s_nop 3
	ds_read_b128 v[10:13], v32 offset:4096
	s_nop 3
	ds_read_b128 v[50:53], v32 offset:6144
	global_load_dwordx4 v[22:25], v[24:25], off offset:3072
	v_mad_i64_i32 v[32:33], s[10:11], v28, s1, 0
	v_mov_b32_e32 v28, s17
	s_addc_u32 s10, s15, s3
	s_waitcnt vmcnt(3) lgkmcnt(1)
	v_mfma_f32_16x16x16bf16_1k v[18:21], v[42:43], v[10:11], v[18:21]
	v_mfma_f32_16x16x16bf16_1k v[18:21], v[44:45], v[12:13], v[18:21]
	global_load_dwordx4 v[42:45], v[26:27], off offset:2048
	s_waitcnt vmcnt(3) lgkmcnt(0)
	v_mfma_f32_16x16x16bf16_1k v[18:21], v[38:39], v[50:51], v[18:21]
	v_or_b32_e32 v38, 64, v62
	v_ashrrev_i32_e32 v39, 4, v38
	v_mfma_f32_16x16x16bf16_1k v[54:57], v[40:41], v[52:53], v[18:21]
	s_waitcnt vmcnt(2)
	v_mfma_f32_16x16x16bf16_1k v[14:17], v[46:47], v[10:11], v[14:17]
	v_mfma_f32_16x16x16bf16_1k v[14:17], v[48:49], v[12:13], v[14:17]
	global_load_dwordx4 v[46:49], v[26:27], off offset:3072
	v_lshlrev_b64 v[26:27], 1, v[32:33]
	v_ashrrev_i32_e32 v32, 4, v62
	v_cndmask_b32_e32 v32, v63, v32, vcc
	v_ashrrev_i32_e32 v33, 31, v32
	v_cmp_gt_i32_e32 vcc, s38, v38
	v_cndmask_b32_e32 v38, v63, v39, vcc
	s_waitcnt vmcnt(2)
	v_mfma_f32_16x16x16bf16_1k v[14:17], v[22:23], v[50:51], v[14:17]
	v_lshlrev_b64 v[22:23], 2, v[32:33]
	v_add_co_u32_e32 v22, vcc, s16, v22
	v_addc_co_u32_e32 v23, vcc, v28, v23, vcc
	v_add_co_u32_e32 v18, vcc, v29, v26
	v_addc_co_u32_e32 v19, vcc, v30, v27, vcc
	;; [unrolled: 2-line block ×3, first 2 shown]
	v_mfma_f32_16x16x16bf16_1k v[64:67], v[24:25], v[52:53], v[14:17]
	global_load_dword v30, v[22:23], off
	v_ashrrev_i32_e32 v39, 31, v38
	v_lshlrev_b64 v[32:33], 2, v[38:39]
	v_add_co_u32_e32 v18, vcc, s16, v32
	v_addc_co_u32_e32 v19, vcc, v68, v33, vcc
	s_nop 1
	global_load_dwordx4 v[14:17], v[26:27], off
	global_load_dword v31, v[18:19], off
	s_nop 0
	global_load_dwordx4 v[18:21], v[26:27], off offset:1024
	global_load_dwordx4 v[68:71], v[26:27], off offset:2048
	;; [unrolled: 1-line block ×3, first 2 shown]
	v_mfma_f32_16x16x16bf16_1k v[22:25], v[58:59], v[6:7], v[34:37]
	v_or_b32_e32 v28, 0x80, v62
	v_ashrrev_i32_e32 v29, 4, v28
	v_cmp_gt_i32_e32 vcc, s38, v28
	v_cndmask_b32_e32 v28, v63, v29, vcc
	v_ashrrev_i32_e32 v29, 31, v28
	v_lshlrev_b64 v[28:29], 2, v[28:29]
	v_mov_b32_e32 v32, s17
	v_mfma_f32_16x16x16bf16_1k v[22:25], v[60:61], v[8:9], v[22:25]
	v_add_co_u32_e32 v28, vcc, s16, v28
	v_addc_co_u32_e32 v29, vcc, v32, v29, vcc
	global_load_dword v32, v[28:29], off
	v_or_b32_e32 v28, 0xc0, v62
	v_ashrrev_i32_e32 v29, 4, v28
	v_cmp_gt_i32_e32 vcc, s38, v28
	v_cndmask_b32_e32 v28, v63, v29, vcc
	v_ashrrev_i32_e32 v29, 31, v28
	v_lshlrev_b64 v[28:29], 2, v[28:29]
	s_waitcnt vmcnt(8)
	v_mfma_f32_16x16x16bf16_1k v[22:25], v[42:43], v[10:11], v[22:25]
	v_mov_b32_e32 v33, s17
	v_add_co_u32_e32 v28, vcc, s16, v28
	v_addc_co_u32_e32 v29, vcc, v33, v29, vcc
	global_load_dword v58, v[28:29], off
	v_mov_b32_e32 v26, s10
	v_mfma_f32_16x16x16bf16_1k v[22:25], v[44:45], v[12:13], v[22:25]
	v_add_co_u32_e32 v77, vcc, s8, v76
	v_addc_co_u32_e32 v78, vcc, 0, v26, vcc
	v_pk_mul_f32 v[80:81], s[0:1], v[66:67] op_sel_hi:[0,1]
	s_waitcnt vmcnt(8)
	v_mfma_f32_16x16x16bf16_1k v[22:25], v[46:47], v[50:51], v[22:25]
	v_mfma_f32_16x16x16bf16_1k v[88:91], v[48:49], v[52:53], v[22:25]
	s_waitcnt vmcnt(7)
	s_nop 7
	s_nop 0
	v_mad_i64_i32 v[22:23], s[2:3], v30, s1, 0
	v_lshlrev_b64 v[62:63], 1, v[22:23]
	s_waitcnt vmcnt(6)
	v_mfma_f32_16x16x16bf16_1k v[22:25], v[14:15], v[2:3], 0
	v_add_co_u32_e32 v2, vcc, v77, v62
	v_addc_co_u32_e32 v3, vcc, v78, v63, vcc
	global_load_dwordx4 v[46:49], v[2:3], off
	global_load_dwordx4 v[42:45], v[2:3], off offset:16
	s_waitcnt vmcnt(7)
	v_mad_i64_i32 v[2:3], s[2:3], v31, s1, 0
	v_lshlrev_b64 v[14:15], 1, v[2:3]
	v_mfma_f32_16x16x16bf16_1k v[2:5], v[16:17], v[4:5], v[22:25]
	v_add_co_u32_e32 v16, vcc, v77, v14
	v_addc_co_u32_e32 v17, vcc, v78, v15, vcc
	global_load_dwordx4 v[38:41], v[16:17], off
	global_load_dwordx4 v[34:37], v[16:17], off offset:16
	s_waitcnt vmcnt(5)
	v_mad_i64_i32 v[16:17], s[2:3], v32, s1, 0
	v_mfma_f32_16x16x16bf16_1k v[2:5], v[18:19], v[6:7], v[2:5]
	v_lshlrev_b64 v[60:61], 1, v[16:17]
	v_add_co_u32_e32 v6, vcc, v77, v60
	v_addc_co_u32_e32 v7, vcc, v78, v61, vcc
	global_load_dwordx4 v[30:33], v[6:7], off
	global_load_dwordx4 v[26:29], v[6:7], off offset:16
	s_waitcnt vmcnt(6)
	v_mad_i64_i32 v[6:7], s[2:3], v58, s1, 0
	v_mfma_f32_16x16x16bf16_1k v[2:5], v[20:21], v[8:9], v[2:5]
	v_lshlrev_b64 v[58:59], 1, v[6:7]
	v_add_co_u32_e32 v6, vcc, v77, v58
	v_addc_co_u32_e32 v7, vcc, v78, v59, vcc
	global_load_dwordx4 v[22:25], v[6:7], off
	global_load_dwordx4 v[18:21], v[6:7], off offset:16
	v_or_b32_e32 v6, 0x800, v76
	v_mfma_f32_16x16x16bf16_1k v[2:5], v[68:69], v[10:11], v[2:5]
	v_mov_b32_e32 v7, s10
	v_add_co_u32_e32 v68, vcc, s8, v6
	v_addc_co_u32_e32 v69, vcc, 0, v7, vcc
	v_pk_mul_f32 v[78:79], s[0:1], v[56:57] op_sel_hi:[0,1]
	v_pk_mul_f32 v[76:77], s[0:1], v[90:91] op_sel_hi:[0,1]
	v_mfma_f32_16x16x16bf16_1k v[10:13], v[70:71], v[12:13], v[2:5]
	v_pk_mul_f32 v[70:71], s[0:1], v[64:65] op_sel_hi:[0,1]
	v_mfma_f32_16x16x16bf16_1k v[92:95], v[72:73], v[50:51], v[10:13]
	s_nop 4
	v_add_co_u32_e32 v2, vcc, v68, v62
	v_addc_co_u32_e32 v3, vcc, v69, v63, vcc
	v_add_co_u32_e32 v62, vcc, v68, v14
	v_addc_co_u32_e32 v63, vcc, v69, v15, vcc
	v_mfma_f32_16x16x16bf16_1k v[50:53], v[74:75], v[52:53], v[92:95]
	global_load_dwordx4 v[6:9], v[2:3], off
	s_nop 0
	global_load_dwordx4 v[2:5], v[2:3], off offset:16
	s_nop 0
	global_load_dwordx4 v[14:17], v[62:63], off
	global_load_dwordx4 v[10:13], v[62:63], off offset:16
	v_pk_mul_f32 v[62:63], s[0:1], v[54:55] op_sel_hi:[0,1]
	v_pk_mul_f32 v[72:73], s[0:1], v[88:89] op_sel_hi:[0,1]
	s_nop 2
	v_pk_mul_f32 v[74:75], s[0:1], v[50:51] op_sel_hi:[0,1]
	v_and_b32_e32 v50, 0xc0, v0
	v_add_u32_e32 v50, s9, v50
	v_lshl_or_b32 v50, v1, 2, v50
	v_pk_mul_f32 v[66:67], s[0:1], v[52:53] op_sel_hi:[0,1]
	v_or_b32_e32 v53, 1, v50
	v_mov_b32_e32 v51, 0xff7fffff
	v_cmp_gt_i32_e64 s[28:29], s38, v50
	v_cmp_gt_i32_e64 s[30:31], s38, v53
	v_cndmask_b32_e64 v52, v51, v62, s[28:29]
	v_cndmask_b32_e64 v53, v51, v63, s[30:31]
	v_max3_f32 v52, v52, s40, v53
	v_or_b32_e32 v53, 2, v50
	v_or_b32_e32 v54, 3, v50
	v_cmp_gt_i32_e64 s[34:35], s38, v53
	v_cmp_gt_i32_e64 s[36:37], s38, v54
	v_cndmask_b32_e64 v53, v51, v78, s[34:35]
	v_cndmask_b32_e64 v54, v51, v79, s[36:37]
	v_max3_f32 v52, v52, v53, v54
	v_or_b32_e32 v53, 16, v50
	v_or_b32_e32 v54, 17, v50
	;; [unrolled: 7-line block ×7, first 2 shown]
	v_cmp_gt_i32_e32 vcc, s38, v53
	v_cmp_gt_i32_e64 s[0:1], s38, v50
	v_cndmask_b32_e32 v53, v51, v66, vcc
	v_cndmask_b32_e64 v50, v51, v67, s[0:1]
	v_max3_f32 v64, v52, v53, v50
	v_mbcnt_lo_u32_b32 v50, -1, 0
	v_mbcnt_hi_u32_b32 v65, -1, v50
	v_and_b32_e32 v50, 64, v65
	v_add_u32_e32 v88, 64, v50
	v_xor_b32_e32 v50, 32, v65
	v_cmp_lt_i32_e64 s[38:39], v50, v88
	v_cndmask_b32_e64 v50, v65, v50, s[38:39]
	v_lshlrev_b32_e32 v89, 2, v50
	ds_bpermute_b32 v90, v89, v64
	v_add_co_u32_e64 v50, s[38:39], v68, v60
	v_addc_co_u32_e64 v51, s[38:39], v69, v61, s[38:39]
	v_xor_b32_e32 v61, 16, v65
	v_cmp_lt_i32_e64 s[38:39], v61, v88
	s_waitcnt lgkmcnt(0)
	v_max_f32_e32 v60, v90, v90
	v_cndmask_b32_e64 v61, v65, v61, s[38:39]
	v_max_f32_e32 v60, v64, v60
	v_lshlrev_b32_e32 v90, 2, v61
	ds_bpermute_b32 v61, v90, v60
	v_add_co_u32_e64 v58, s[38:39], v68, v58
	v_addc_co_u32_e64 v59, s[38:39], v69, v59, s[38:39]
	s_waitcnt lgkmcnt(0)
	v_max_f32_e32 v61, v61, v61
	v_max_f32_e32 v88, v60, v61
	v_sub_f32_e32 v60, v62, v88
	v_mul_f32_e32 v60, 0x3fb8aa3b, v60
	v_exp_f32_e32 v68, v60
	v_sub_f32_e32 v60, v63, v88
	v_mul_f32_e32 v60, 0x3fb8aa3b, v60
	global_load_dwordx4 v[54:57], v[50:51], off
	s_nop 0
	global_load_dwordx4 v[50:53], v[50:51], off offset:16
	v_exp_f32_e32 v69, v60
	global_load_dwordx4 v[62:65], v[58:59], off
	s_nop 0
	global_load_dwordx4 v[58:61], v[58:59], off offset:16
	v_sub_f32_e32 v78, v78, v88
	v_mul_f32_e32 v78, 0x3fb8aa3b, v78
	v_sub_f32_e32 v79, v79, v88
	v_exp_f32_e32 v78, v78
	v_mul_f32_e32 v79, 0x3fb8aa3b, v79
	v_sub_f32_e32 v70, v70, v88
	v_exp_f32_e32 v79, v79
	v_mul_f32_e32 v70, 0x3fb8aa3b, v70
	v_sub_f32_e32 v71, v71, v88
	v_cndmask_b32_e64 v68, 0, v68, s[28:29]
	v_exp_f32_e32 v70, v70
	v_mul_f32_e32 v71, 0x3fb8aa3b, v71
	v_sub_f32_e32 v80, v80, v88
	v_add_f32_e32 v91, 0, v68
	v_cndmask_b32_e64 v69, 0, v69, s[30:31]
	v_exp_f32_e32 v71, v71
	v_mul_f32_e32 v80, 0x3fb8aa3b, v80
	v_sub_f32_e32 v81, v81, v88
	v_add_f32_e32 v91, v91, v69
	;; [unrolled: 5-line block ×10, first 2 shown]
	v_cndmask_b32_e64 v76, 0, v76, s[10:11]
	v_exp_f32_e32 v66, v66
	v_mul_f32_e32 v67, 0x3fb8aa3b, v67
	v_add_f32_e32 v91, v91, v76
	v_cndmask_b32_e64 v77, 0, v77, s[12:13]
	v_exp_f32_e32 v67, v67
	v_add_f32_e32 v91, v91, v77
	v_cndmask_b32_e64 v74, 0, v74, s[2:3]
	v_add_f32_e32 v91, v91, v74
	v_cndmask_b32_e64 v75, 0, v75, s[8:9]
	v_add_f32_e32 v91, v91, v75
	v_cndmask_b32_e32 v66, 0, v66, vcc
	v_add_f32_e32 v91, v91, v66
	v_cndmask_b32_e64 v67, 0, v67, s[0:1]
	v_add_f32_e32 v91, v91, v67
	ds_bpermute_b32 v89, v89, v91
	v_cmp_gt_u32_e32 vcc, 16, v86
	s_waitcnt lgkmcnt(0)
	s_barrier
	v_add_f32_e32 v89, v91, v89
	ds_bpermute_b32 v90, v90, v89
	s_and_saveexec_b64 s[0:1], vcc
	s_cbranch_execz .LBB334_13
; %bb.12:
	s_waitcnt lgkmcnt(0)
	v_add_f32_e32 v86, v89, v90
	v_lshlrev_b32_e32 v87, 2, v87
	ds_write2st64_b32 v87, v88, v86 offset1:1
.LBB334_13:
	s_or_b64 exec, exec, s[0:1]
	v_lshlrev_b32_e32 v87, 2, v83
	s_load_dword s2, s[4:5], 0x94
	s_waitcnt lgkmcnt(0)
	s_barrier
	ds_read2_b32 v[88:89], v87 offset1:16
	ds_read2_b32 v[90:91], v87 offset0:32 offset1:48
	ds_read2_b32 v[92:93], v87 offset0:64 offset1:80
	s_movk_i32 s8, 0x7fff
	s_mov_b32 s9, 0x7060302
	s_waitcnt lgkmcnt(2)
	v_max3_f32 v86, v88, s40, v89
	s_waitcnt lgkmcnt(1)
	v_max3_f32 v86, v86, v90, v91
	v_sub_f32_e32 v88, v88, v86
	v_mul_f32_e32 v88, 0x3fb8aa3b, v88
	v_exp_f32_e32 v94, v88
	v_sub_f32_e32 v88, v89, v86
	v_mul_f32_e32 v88, 0x3fb8aa3b, v88
	v_exp_f32_e32 v95, v88
	;; [unrolled: 3-line block ×3, first 2 shown]
	ds_read2_b32 v[88:89], v87 offset0:96 offset1:112
	v_sub_f32_e32 v87, v91, v86
	v_mul_f32_e32 v87, 0x3fb8aa3b, v87
	v_exp_f32_e32 v91, v87
	s_waitcnt lgkmcnt(1)
	v_fma_f32 v87, v94, v92, 0
	v_fmac_f32_e32 v87, v95, v93
	s_waitcnt lgkmcnt(0)
	v_fmac_f32_e32 v87, v90, v88
	v_fmac_f32_e32 v87, v91, v89
	v_add_f32_e32 v88, 0x358637bd, v87
	v_div_scale_f32 v89, s[0:1], v88, v88, 1.0
	v_rcp_f32_e32 v92, v89
	s_barrier
	v_fma_f32 v93, -v89, v92, 1.0
	v_fmac_f32_e32 v92, v93, v92
	v_div_scale_f32 v93, vcc, 1.0, v88, 1.0
	v_mul_f32_e32 v82, v93, v92
	v_fma_f32 v84, -v89, v82, v93
	v_fmac_f32_e32 v82, v84, v92
	v_fma_f32 v84, -v89, v82, v93
	v_div_fmas_f32 v82, v84, v92, v82
	v_cmp_eq_u32_e32 vcc, 1, v85
	v_cndmask_b32_e32 v84, v94, v95, vcc
	v_cmp_eq_u32_e32 vcc, 2, v85
	v_cndmask_b32_e32 v84, v84, v90, vcc
	v_cmp_eq_u32_e32 vcc, 3, v85
	v_div_fixup_f32 v82, v82, v88, 1.0
	v_cndmask_b32_e32 v84, v84, v91, vcc
	v_mul_f32_e32 v88, v84, v82
	v_pk_mul_f32 v[68:69], v[88:89], v[68:69] op_sel_hi:[0,1]
	v_bfe_u32 v82, v69, 16, 1
	v_bfe_u32 v84, v68, 16, 1
	v_pk_mul_f32 v[78:79], v[88:89], v[78:79] op_sel_hi:[0,1]
	v_add3_u32 v68, v68, v84, s8
	v_add3_u32 v69, v69, v82, s8
	v_perm_b32 v90, v69, v68, s9
	v_bfe_u32 v68, v79, 16, 1
	v_bfe_u32 v69, v78, 16, 1
	v_add3_u32 v69, v78, v69, s8
	v_add3_u32 v68, v79, v68, s8
	v_perm_b32 v91, v68, v69, s9
	v_lshlrev_b32_e32 v69, 3, v1
	v_lshlrev_b32_e32 v68, 5, v83
	;; [unrolled: 1-line block ×3, first 2 shown]
	v_pk_mul_f32 v[70:71], v[88:89], v[70:71] op_sel_hi:[0,1]
	v_or3_b32 v78, v78, v68, v69
	v_bfe_u32 v69, v71, 16, 1
	v_bfe_u32 v79, v70, 16, 1
	v_pk_mul_f32 v[80:81], v[88:89], v[80:81] op_sel_hi:[0,1]
	v_add3_u32 v70, v70, v79, s8
	v_add3_u32 v69, v71, v69, s8
	v_perm_b32 v70, v69, v70, s9
	v_bfe_u32 v69, v81, 16, 1
	v_bfe_u32 v71, v80, 16, 1
	v_add3_u32 v71, v80, v71, s8
	v_add3_u32 v69, v81, v69, s8
	v_perm_b32 v71, v69, v71, s9
	v_pk_mul_f32 v[72:73], v[88:89], v[72:73] op_sel_hi:[0,1]
	ds_write2st64_b64 v78, v[90:91], v[70:71] offset1:1
	v_pk_mul_f32 v[70:71], v[88:89], v[76:77] op_sel_hi:[0,1]
	v_bfe_u32 v69, v73, 16, 1
	v_bfe_u32 v76, v72, 16, 1
	v_add3_u32 v72, v72, v76, s8
	v_add3_u32 v69, v73, v69, s8
	v_perm_b32 v72, v69, v72, s9
	v_bfe_u32 v69, v71, 16, 1
	v_bfe_u32 v73, v70, 16, 1
	v_add3_u32 v70, v70, v73, s8
	v_add3_u32 v69, v71, v69, s8
	v_perm_b32 v73, v69, v70, s9
	v_pk_mul_f32 v[70:71], v[88:89], v[74:75] op_sel_hi:[0,1]
	v_bfe_u32 v69, v71, 16, 1
	v_bfe_u32 v74, v70, 16, 1
	v_pk_mul_f32 v[66:67], v[88:89], v[66:67] op_sel_hi:[0,1]
	v_add3_u32 v70, v70, v74, s8
	v_add3_u32 v69, v71, v69, s8
	v_perm_b32 v70, v69, v70, s9
	v_bfe_u32 v69, v67, 16, 1
	v_bfe_u32 v71, v66, 16, 1
	v_add3_u32 v66, v66, v71, s8
	v_add3_u32 v67, v67, v69, s8
	s_mul_i32 s3, s33, 11
	v_perm_b32 v71, v67, v66, s9
	v_cmp_gt_u32_e32 vcc, 11, v0
	ds_write2st64_b64 v78, v[72:73], v[70:71] offset0:2 offset1:3
	s_and_saveexec_b64 s[0:1], vcc
	s_cbranch_execz .LBB334_15
; %bb.14:
	v_add_co_u32_e32 v70, vcc, s27, v83
	v_addc_co_u32_e64 v71, s[10:11], 0, 0, vcc
	v_mov_b32_e32 v66, s3
	v_mov_b32_e32 v67, 0
	v_mad_u64_u32 v[70:71], s[10:11], s6, v66, v[70:71]
	v_mov_b32_e32 v66, s26
	s_load_dwordx4 s[12:15], s[4:5], 0x58
	s_mul_i32 s7, s7, s3
	v_mad_u64_u32 v[66:67], s[10:11], v70, s2, v[66:67]
	v_add_u32_e32 v69, s7, v71
	v_mov_b32_e32 v70, v67
	v_mad_u64_u32 v[70:71], s[10:11], v69, s2, v[70:71]
	v_mov_b32_e32 v67, v70
	v_lshlrev_b64 v[66:67], 2, v[66:67]
	s_waitcnt lgkmcnt(0)
	v_mov_b32_e32 v69, s15
	v_add_co_u32_e32 v70, vcc, s14, v66
	v_addc_co_u32_e32 v71, vcc, v69, v67, vcc
	v_mov_b32_e32 v69, s13
	v_add_co_u32_e32 v66, vcc, s12, v66
	v_addc_co_u32_e32 v67, vcc, v69, v67, vcc
	global_store_dword v[70:71], v86, off
	global_store_dword v[66:67], v87, off
.LBB334_15:
	s_or_b64 exec, exec, s[0:1]
	v_lshl_or_b32 v79, v1, 9, v68
	s_waitcnt lgkmcnt(0)
	s_barrier
	ds_read_b128 v[70:73], v79
	ds_read_b128 v[66:69], v79 offset:16
	s_waitcnt vmcnt(15) lgkmcnt(1)
	v_mfma_f32_16x16x16bf16_1k v[74:77], v[46:47], v[70:71], 0
	s_mov_b32 s1, 0
	v_cmp_gt_u32_e32 vcc, 64, v0
	v_mfma_f32_16x16x16bf16_1k v[46:49], v[48:49], v[72:73], v[74:77]
	s_waitcnt vmcnt(14) lgkmcnt(0)
	v_mfma_f32_16x16x16bf16_1k v[46:49], v[42:43], v[66:67], v[46:49]
	v_mfma_f32_16x16x16bf16_1k v[42:45], v[44:45], v[68:69], v[46:49]
	s_nop 7
	s_nop 1
	ds_read_b128 v[46:49], v79 offset:2048
	ds_read_b128 v[74:77], v79 offset:2064
	s_waitcnt vmcnt(13) lgkmcnt(1)
	v_mfma_f32_16x16x16bf16_1k v[42:45], v[38:39], v[46:47], v[42:45]
	v_mfma_f32_16x16x16bf16_1k v[38:41], v[40:41], v[48:49], v[42:45]
	s_waitcnt vmcnt(12) lgkmcnt(0)
	v_mfma_f32_16x16x16bf16_1k v[38:41], v[34:35], v[74:75], v[38:41]
	v_mfma_f32_16x16x16bf16_1k v[34:37], v[36:37], v[76:77], v[38:41]
	s_nop 7
	s_nop 1
	ds_read_b128 v[38:41], v79 offset:4096
	ds_read_b128 v[42:45], v79 offset:4112
	s_waitcnt vmcnt(11) lgkmcnt(1)
	v_mfma_f32_16x16x16bf16_1k v[34:37], v[30:31], v[38:39], v[34:37]
	v_mfma_f32_16x16x16bf16_1k v[30:33], v[32:33], v[40:41], v[34:37]
	s_waitcnt vmcnt(10) lgkmcnt(0)
	v_mfma_f32_16x16x16bf16_1k v[30:33], v[26:27], v[42:43], v[30:33]
	v_mfma_f32_16x16x16bf16_1k v[26:29], v[28:29], v[44:45], v[30:33]
	s_nop 7
	s_nop 1
	ds_read_b128 v[30:33], v79 offset:6144
	ds_read_b128 v[34:37], v79 offset:6160
	s_waitcnt lgkmcnt(0)
	s_barrier
	s_waitcnt vmcnt(9)
	v_mfma_f32_16x16x16bf16_1k v[26:29], v[22:23], v[30:31], v[26:29]
	v_mfma_f32_16x16x16bf16_1k v[22:25], v[24:25], v[32:33], v[26:29]
	s_waitcnt vmcnt(8)
	v_mfma_f32_16x16x16bf16_1k v[22:25], v[18:19], v[34:35], v[22:25]
	v_mfma_f32_16x16x16bf16_1k v[18:21], v[20:21], v[36:37], v[22:25]
	;; [unrolled: 3-line block ×4, first 2 shown]
	s_waitcnt vmcnt(5)
	v_mfma_f32_16x16x16bf16_1k v[2:5], v[14:15], v[46:47], v[2:5]
	s_nop 7
	v_bfe_u32 v6, v19, 16, 1
	v_bfe_u32 v7, v18, 16, 1
	v_add3_u32 v7, v18, v7, s8
	v_add3_u32 v6, v19, v6, s8
	v_perm_b32 v6, v6, v7, s9
	v_bfe_u32 v7, v21, 16, 1
	v_bfe_u32 v8, v20, 16, 1
	v_mfma_f32_16x16x16bf16_1k v[2:5], v[16:17], v[48:49], v[2:5]
	v_add3_u32 v8, v20, v8, s8
	v_add3_u32 v7, v21, v7, s8
	v_perm_b32 v7, v7, v8, s9
	s_waitcnt vmcnt(4)
	v_mfma_f32_16x16x16bf16_1k v[2:5], v[10:11], v[74:75], v[2:5]
	v_mfma_f32_16x16x16bf16_1k v[2:5], v[12:13], v[76:77], v[2:5]
	s_waitcnt vmcnt(3)
	v_mfma_f32_16x16x16bf16_1k v[2:5], v[54:55], v[38:39], v[2:5]
	v_mfma_f32_16x16x16bf16_1k v[2:5], v[56:57], v[40:41], v[2:5]
	;; [unrolled: 3-line block ×5, first 2 shown]
	s_nop 7
	s_nop 2
	v_bfe_u32 v8, v3, 16, 1
	v_bfe_u32 v9, v2, 16, 1
	v_add3_u32 v2, v2, v9, s8
	v_add3_u32 v3, v3, v8, s8
	v_perm_b32 v2, v3, v2, s9
	v_bfe_u32 v3, v5, 16, 1
	v_bfe_u32 v8, v4, 16, 1
	v_add3_u32 v4, v4, v8, s8
	v_add3_u32 v3, v5, v3, s8
	v_perm_b32 v3, v3, v4, s9
	ds_write2st64_b64 v78, v[6:7], v[2:3] offset1:1
	s_waitcnt lgkmcnt(0)
	s_barrier
	s_and_saveexec_b64 s[8:9], vcc
	s_cbranch_execz .LBB334_18
; %bb.16:
	v_lshlrev_b32_e32 v4, 6, v83
	v_lshlrev_b32_e32 v3, 4, v0
	v_lshl_or_b32 v0, v0, 10, v4
	v_lshlrev_b32_e32 v2, 5, v1
	v_and_b32_e32 v3, 16, v3
	v_and_b32_e32 v0, 0x1a00, v0
	v_or3_b32 v0, v0, v2, v3
	buffer_load_dword v2, off, s[44:47], 0  ; 4-byte Folded Reload
	s_load_dwordx2 s[4:5], s[4:5], 0x68
	s_lshl_b32 s2, s2, 7
	s_mul_i32 s0, s3, s6
	s_mul_hi_u32 s7, s0, s2
	s_mul_i32 s6, s0, s2
	s_lshl_b64 s[6:7], s[6:7], 1
	s_waitcnt lgkmcnt(0)
	s_add_u32 s3, s4, s6
	s_addc_u32 s4, s5, s7
	s_lshl_b32 s0, s26, 7
	s_lshl_b64 s[0:1], s[0:1], 1
	s_add_u32 s0, s3, s0
	s_addc_u32 s1, s4, s1
	ds_read_b128 v[4:7], v0 offset:128
	ds_read_b128 v[8:11], v0
	v_add_u32_e32 v14, s27, v1
	v_mov_b32_e32 v3, s1
	s_waitcnt vmcnt(0)
	v_add_co_u32_e32 v2, vcc, s0, v2
	v_mad_u64_u32 v[12:13], s[0:1], v14, s2, 0
	v_addc_co_u32_e32 v3, vcc, 0, v3, vcc
	v_lshlrev_b64 v[12:13], 1, v[12:13]
	v_add_co_u32_e32 v12, vcc, v2, v12
	v_addc_co_u32_e32 v13, vcc, v3, v13, vcc
	s_waitcnt lgkmcnt(0)
	global_store_dwordx4 v[12:13], v[8:11], off
	s_nop 0
	v_add_u32_e32 v8, 4, v14
	v_mad_u64_u32 v[8:9], s[0:1], v8, s2, 0
	v_lshlrev_b64 v[8:9], 1, v[8:9]
	v_add_co_u32_e32 v8, vcc, v2, v8
	v_addc_co_u32_e32 v9, vcc, v3, v9, vcc
	v_cmp_ne_u32_e32 vcc, 3, v1
	global_store_dwordx4 v[8:9], v[4:7], off
	s_and_b64 exec, exec, vcc
	s_cbranch_execz .LBB334_18
; %bb.17:
	ds_read_b128 v[4:7], v0 offset:256
	v_add3_u32 v0, s27, v1, 8
	v_mad_u64_u32 v[0:1], s[0:1], v0, s2, 0
	v_lshlrev_b64 v[0:1], 1, v[0:1]
	v_add_co_u32_e32 v0, vcc, v2, v0
	v_addc_co_u32_e32 v1, vcc, v3, v1, vcc
	s_waitcnt lgkmcnt(0)
	global_store_dwordx4 v[0:1], v[4:7], off
.LBB334_18:
	s_endpgm
	.section	.rodata,"a",@progbits
	.p2align	6, 0x0
	.amdhsa_kernel _Z39paged_attention_ll4mi_QKV_mfma16_kernelI14__hip_bfloat16S0_LN4vllm18Fp8KVCacheDataTypeE0ES0_Li16ELi128ELi256ELb0ELi11EL8MFMAType0EEvPKT_PKT0_S9_ifPKiSB_SB_iPKfiiiPfSE_PS4_PT2_iSD_SD_
		.amdhsa_group_segment_fixed_size 8192
		.amdhsa_private_segment_fixed_size 8
		.amdhsa_kernarg_size 400
		.amdhsa_user_sgpr_count 6
		.amdhsa_user_sgpr_private_segment_buffer 1
		.amdhsa_user_sgpr_dispatch_ptr 0
		.amdhsa_user_sgpr_queue_ptr 0
		.amdhsa_user_sgpr_kernarg_segment_ptr 1
		.amdhsa_user_sgpr_dispatch_id 0
		.amdhsa_user_sgpr_flat_scratch_init 0
		.amdhsa_user_sgpr_kernarg_preload_length 0
		.amdhsa_user_sgpr_kernarg_preload_offset 0
		.amdhsa_user_sgpr_private_segment_size 0
		.amdhsa_uses_dynamic_stack 0
		.amdhsa_system_sgpr_private_segment_wavefront_offset 1
		.amdhsa_system_sgpr_workgroup_id_x 1
		.amdhsa_system_sgpr_workgroup_id_y 1
		.amdhsa_system_sgpr_workgroup_id_z 1
		.amdhsa_system_sgpr_workgroup_info 0
		.amdhsa_system_vgpr_workitem_id 0
		.amdhsa_next_free_vgpr 96
		.amdhsa_next_free_sgpr 48
		.amdhsa_accum_offset 96
		.amdhsa_reserve_vcc 1
		.amdhsa_reserve_flat_scratch 0
		.amdhsa_float_round_mode_32 0
		.amdhsa_float_round_mode_16_64 0
		.amdhsa_float_denorm_mode_32 3
		.amdhsa_float_denorm_mode_16_64 3
		.amdhsa_dx10_clamp 1
		.amdhsa_ieee_mode 1
		.amdhsa_fp16_overflow 0
		.amdhsa_tg_split 0
		.amdhsa_exception_fp_ieee_invalid_op 0
		.amdhsa_exception_fp_denorm_src 0
		.amdhsa_exception_fp_ieee_div_zero 0
		.amdhsa_exception_fp_ieee_overflow 0
		.amdhsa_exception_fp_ieee_underflow 0
		.amdhsa_exception_fp_ieee_inexact 0
		.amdhsa_exception_int_div_zero 0
	.end_amdhsa_kernel
	.section	.text._Z39paged_attention_ll4mi_QKV_mfma16_kernelI14__hip_bfloat16S0_LN4vllm18Fp8KVCacheDataTypeE0ES0_Li16ELi128ELi256ELb0ELi11EL8MFMAType0EEvPKT_PKT0_S9_ifPKiSB_SB_iPKfiiiPfSE_PS4_PT2_iSD_SD_,"axG",@progbits,_Z39paged_attention_ll4mi_QKV_mfma16_kernelI14__hip_bfloat16S0_LN4vllm18Fp8KVCacheDataTypeE0ES0_Li16ELi128ELi256ELb0ELi11EL8MFMAType0EEvPKT_PKT0_S9_ifPKiSB_SB_iPKfiiiPfSE_PS4_PT2_iSD_SD_,comdat
.Lfunc_end334:
	.size	_Z39paged_attention_ll4mi_QKV_mfma16_kernelI14__hip_bfloat16S0_LN4vllm18Fp8KVCacheDataTypeE0ES0_Li16ELi128ELi256ELb0ELi11EL8MFMAType0EEvPKT_PKT0_S9_ifPKiSB_SB_iPKfiiiPfSE_PS4_PT2_iSD_SD_, .Lfunc_end334-_Z39paged_attention_ll4mi_QKV_mfma16_kernelI14__hip_bfloat16S0_LN4vllm18Fp8KVCacheDataTypeE0ES0_Li16ELi128ELi256ELb0ELi11EL8MFMAType0EEvPKT_PKT0_S9_ifPKiSB_SB_iPKfiiiPfSE_PS4_PT2_iSD_SD_
                                        ; -- End function
	.section	.AMDGPU.csdata,"",@progbits
; Kernel info:
; codeLenInByte = 4928
; NumSgprs: 52
; NumVgprs: 96
; NumAgprs: 0
; TotalNumVgprs: 96
; ScratchSize: 8
; MemoryBound: 0
; FloatMode: 240
; IeeeMode: 1
; LDSByteSize: 8192 bytes/workgroup (compile time only)
; SGPRBlocks: 6
; VGPRBlocks: 11
; NumSGPRsForWavesPerEU: 52
; NumVGPRsForWavesPerEU: 96
; AccumOffset: 96
; Occupancy: 5
; WaveLimiterHint : 1
; COMPUTE_PGM_RSRC2:SCRATCH_EN: 1
; COMPUTE_PGM_RSRC2:USER_SGPR: 6
; COMPUTE_PGM_RSRC2:TRAP_HANDLER: 0
; COMPUTE_PGM_RSRC2:TGID_X_EN: 1
; COMPUTE_PGM_RSRC2:TGID_Y_EN: 1
; COMPUTE_PGM_RSRC2:TGID_Z_EN: 1
; COMPUTE_PGM_RSRC2:TIDIG_COMP_CNT: 0
; COMPUTE_PGM_RSRC3_GFX90A:ACCUM_OFFSET: 23
; COMPUTE_PGM_RSRC3_GFX90A:TG_SPLIT: 0
	.section	.text._Z39paged_attention_ll4mi_QKV_mfma16_kernelI14__hip_bfloat16S0_LN4vllm18Fp8KVCacheDataTypeE0ES0_Li16ELi128ELi256ELb0ELi12EL8MFMAType0EEvPKT_PKT0_S9_ifPKiSB_SB_iPKfiiiPfSE_PS4_PT2_iSD_SD_,"axG",@progbits,_Z39paged_attention_ll4mi_QKV_mfma16_kernelI14__hip_bfloat16S0_LN4vllm18Fp8KVCacheDataTypeE0ES0_Li16ELi128ELi256ELb0ELi12EL8MFMAType0EEvPKT_PKT0_S9_ifPKiSB_SB_iPKfiiiPfSE_PS4_PT2_iSD_SD_,comdat
	.protected	_Z39paged_attention_ll4mi_QKV_mfma16_kernelI14__hip_bfloat16S0_LN4vllm18Fp8KVCacheDataTypeE0ES0_Li16ELi128ELi256ELb0ELi12EL8MFMAType0EEvPKT_PKT0_S9_ifPKiSB_SB_iPKfiiiPfSE_PS4_PT2_iSD_SD_ ; -- Begin function _Z39paged_attention_ll4mi_QKV_mfma16_kernelI14__hip_bfloat16S0_LN4vllm18Fp8KVCacheDataTypeE0ES0_Li16ELi128ELi256ELb0ELi12EL8MFMAType0EEvPKT_PKT0_S9_ifPKiSB_SB_iPKfiiiPfSE_PS4_PT2_iSD_SD_
	.globl	_Z39paged_attention_ll4mi_QKV_mfma16_kernelI14__hip_bfloat16S0_LN4vllm18Fp8KVCacheDataTypeE0ES0_Li16ELi128ELi256ELb0ELi12EL8MFMAType0EEvPKT_PKT0_S9_ifPKiSB_SB_iPKfiiiPfSE_PS4_PT2_iSD_SD_
	.p2align	8
	.type	_Z39paged_attention_ll4mi_QKV_mfma16_kernelI14__hip_bfloat16S0_LN4vllm18Fp8KVCacheDataTypeE0ES0_Li16ELi128ELi256ELb0ELi12EL8MFMAType0EEvPKT_PKT0_S9_ifPKiSB_SB_iPKfiiiPfSE_PS4_PT2_iSD_SD_,@function
_Z39paged_attention_ll4mi_QKV_mfma16_kernelI14__hip_bfloat16S0_LN4vllm18Fp8KVCacheDataTypeE0ES0_Li16ELi128ELi256ELb0ELi12EL8MFMAType0EEvPKT_PKT0_S9_ifPKiSB_SB_iPKfiiiPfSE_PS4_PT2_iSD_SD_: ; @_Z39paged_attention_ll4mi_QKV_mfma16_kernelI14__hip_bfloat16S0_LN4vllm18Fp8KVCacheDataTypeE0ES0_Li16ELi128ELi256ELb0ELi12EL8MFMAType0EEvPKT_PKT0_S9_ifPKiSB_SB_iPKfiiiPfSE_PS4_PT2_iSD_SD_
; %bb.0:
	s_mov_b64 s[46:47], s[2:3]
	s_mov_b64 s[44:45], s[0:1]
	s_load_dwordx2 s[0:1], s[4:5], 0x30
	s_add_u32 s44, s44, s9
	s_addc_u32 s45, s45, 0
	s_mov_b32 s26, s7
	s_mov_b64 s[10:11], 0
	s_waitcnt lgkmcnt(0)
	s_cmp_lg_u64 s[0:1], 0
	s_cselect_b64 s[2:3], -1, 0
	s_and_b64 vcc, exec, s[2:3]
	s_cbranch_vccz .LBB335_7
; %bb.1:
	s_add_i32 s12, s6, 1
	s_mov_b32 s13, 0
	s_lshl_b64 s[14:15], s[12:13], 2
	s_add_u32 s14, s0, s14
	s_mov_b32 s7, s13
	s_addc_u32 s15, s1, s15
	s_lshl_b64 s[12:13], s[6:7], 2
	s_add_u32 s12, s0, s12
	s_addc_u32 s13, s1, s13
	s_load_dword s9, s[14:15], 0x0
	s_load_dword s16, s[12:13], 0x0
	s_waitcnt lgkmcnt(0)
	s_sub_i32 s9, s9, s16
	s_cmp_eq_u32 s9, 1
	s_cselect_b64 s[12:13], -1, 0
	s_andn2_b64 vcc, exec, s[10:11]
	s_cbranch_vccnz .LBB335_3
.LBB335_2:
	s_mov_b32 s7, 0
	s_mov_b64 s[12:13], -1
.LBB335_3:
	s_andn2_b64 vcc, exec, s[12:13]
	s_cbranch_vccnz .LBB335_17
; %bb.4:
	s_load_dwordx2 s[12:13], s[4:5], 0x28
	s_lshl_b64 s[10:11], s[6:7], 2
	s_waitcnt lgkmcnt(0)
	s_add_u32 s12, s12, s10
	s_addc_u32 s13, s13, s11
	s_load_dword s38, s[12:13], 0x0
	s_lshl_b32 s9, s26, 8
	s_waitcnt lgkmcnt(0)
	s_cmp_ge_i32 s9, s38
	s_cbranch_scc1 .LBB335_17
; %bb.5:
	s_add_i32 s15, s38, 15
	s_load_dwordx2 s[12:13], s[4:5], 0x20
	s_load_dword s14, s[4:5], 0x38
	s_ashr_i32 s16, s15, 31
	v_and_b32_e32 v1, 0xcf, v0
	s_lshr_b32 s16, s16, 28
	v_add_u32_e32 v1, s9, v1
	s_add_i32 s15, s15, s16
	v_ashrrev_i32_e32 v2, 31, v1
	s_ashr_i32 s18, s15, 4
	v_lshrrev_b32_e32 v6, 28, v2
	s_add_i32 s18, s18, -1
	v_add_u32_e32 v2, v1, v6
	s_waitcnt lgkmcnt(0)
	s_mul_i32 s14, s6, s14
	s_mov_b32 s15, 0
	v_ashrrev_i32_e32 v2, 4, v2
	v_mov_b32_e32 v7, s18
	v_cmp_gt_i32_e32 vcc, s38, v1
	s_lshl_b64 s[14:15], s[14:15], 2
	v_cndmask_b32_e32 v2, v7, v2, vcc
	s_add_u32 s16, s12, s14
	v_ashrrev_i32_e32 v3, 31, v2
	s_addc_u32 s17, s13, s15
	v_lshlrev_b64 v[2:3], 2, v[2:3]
	v_mov_b32_e32 v5, s17
	v_add_co_u32_e32 v4, vcc, s16, v2
	v_or_b32_e32 v2, 16, v1
	v_addc_co_u32_e32 v5, vcc, v5, v3, vcc
	v_add_u32_e32 v3, v2, v6
	v_ashrrev_i32_e32 v3, 4, v3
	v_cmp_gt_i32_e32 vcc, s38, v2
	v_cndmask_b32_e32 v2, v7, v3, vcc
	v_ashrrev_i32_e32 v3, 31, v2
	v_lshlrev_b64 v[2:3], 2, v[2:3]
	v_mov_b32_e32 v9, s17
	v_add_co_u32_e32 v8, vcc, s16, v2
	v_or_b32_e32 v2, 32, v1
	v_addc_co_u32_e32 v9, vcc, v9, v3, vcc
	v_add_u32_e32 v3, v2, v6
	v_ashrrev_i32_e32 v3, 4, v3
	v_cmp_gt_i32_e32 vcc, s38, v2
	v_cndmask_b32_e32 v2, v7, v3, vcc
	v_ashrrev_i32_e32 v3, 31, v2
	;; [unrolled: 10-line block ×3, first 2 shown]
	v_lshlrev_b64 v[2:3], 2, v[2:3]
	v_mov_b32_e32 v1, s17
	v_add_co_u32_e32 v12, vcc, s16, v2
	v_addc_co_u32_e32 v13, vcc, v1, v3, vcc
	global_load_dword v3, v[4:5], off
	global_load_dword v2, v[8:9], off
	;; [unrolled: 1-line block ×4, first 2 shown]
	s_load_dwordx4 s[12:15], s[4:5], 0x8
	s_andn2_b64 vcc, exec, s[2:3]
	s_cbranch_vccnz .LBB335_8
; %bb.6:
	s_add_u32 s0, s0, s10
	s_addc_u32 s1, s1, s11
	s_load_dword s19, s[0:1], 0x0
	s_branch .LBB335_9
.LBB335_7:
	s_mov_b64 s[12:13], 0
	s_branch .LBB335_2
.LBB335_8:
	s_mov_b32 s19, s6
.LBB335_9:
	s_load_dwordx4 s[0:3], s[4:5], 0x48
	v_and_b32_e32 v83, 15, v0
	v_lshlrev_b32_e32 v4, 3, v83
	s_waitcnt lgkmcnt(0)
	s_movk_i32 s3, 0xc0
	v_lshrrev_b32_e32 v85, 6, v0
	v_and_b32_e32 v86, 63, v0
	v_bfe_u32 v1, v0, 4, 2
	s_mul_i32 s27, s8, 12
	v_cmp_gt_u32_e32 vcc, s3, v0
	v_lshlrev_b32_e32 v4, 1, v4
	buffer_store_dword v4, off, s[44:47], 0 ; 4-byte Folded Spill
	s_and_saveexec_b64 s[10:11], vcc
	s_cbranch_execz .LBB335_11
; %bb.10:
	s_load_dwordx2 s[20:21], s[4:5], 0x0
	s_ashr_i32 s3, s0, 31
	s_mul_hi_u32 s22, s19, s0
	s_mul_i32 s3, s19, s3
	v_lshl_or_b32 v7, v85, 2, v1
	s_add_i32 s23, s22, s3
	s_mul_i32 s22, s19, s0
	s_lshl_b64 s[22:23], s[22:23], 1
	v_add_lshl_u32 v4, v7, s27, 7
	s_waitcnt lgkmcnt(0)
	s_add_u32 s0, s20, s22
	v_ashrrev_i32_e32 v5, 31, v4
	s_addc_u32 s3, s21, s23
	v_lshlrev_b64 v[4:5], 1, v[4:5]
	v_mov_b32_e32 v8, s3
	v_add_co_u32_e32 v4, vcc, s0, v4
	v_addc_co_u32_e32 v5, vcc, v8, v5, vcc
	buffer_load_dword v8, off, s[44:47], 0  ; 4-byte Folded Reload
	s_waitcnt vmcnt(0)
	v_add_co_u32_e32 v4, vcc, v4, v8
	v_addc_co_u32_e32 v5, vcc, 0, v5, vcc
	global_load_dwordx4 v[8:11], v[4:5], off
	v_and_b32_e32 v4, 3, v0
	v_lshlrev_b32_e32 v5, 5, v7
	v_lshlrev_b32_e32 v7, 9, v83
	v_lshlrev_b32_e32 v4, 9, v4
	v_and_b32_e32 v7, 0x1800, v7
	v_or3_b32 v4, v7, v4, v5
	s_waitcnt vmcnt(0)
	ds_write_b128 v4, v[8:11]
.LBB335_11:
	s_or_b64 exec, exec, s[10:11]
	s_mul_i32 s2, s8, s2
	s_mov_b32 s3, 0
	s_lshl_b64 s[2:3], s[2:3], 1
	s_add_u32 s8, s12, s2
	v_lshlrev_b32_e32 v7, 4, v0
	s_addc_u32 s10, s13, s3
	v_and_b32_e32 v4, 0xf0, v7
	v_mov_b32_e32 v5, s10
	v_add_co_u32_e32 v29, vcc, s8, v4
	v_addc_co_u32_e32 v30, vcc, 0, v5, vcc
	s_waitcnt vmcnt(4)
	v_mad_i64_i32 v[4:5], s[10:11], v3, s1, 0
	v_lshlrev_b64 v[4:5], 1, v[4:5]
	v_add_co_u32_e32 v3, vcc, v29, v4
	v_addc_co_u32_e32 v4, vcc, v30, v5, vcc
	v_and_b32_e32 v31, 0x300, v7
	v_add_co_u32_e32 v22, vcc, v3, v31
	v_addc_co_u32_e32 v23, vcc, 0, v4, vcc
	s_load_dword s33, s[4:5], 0x98
	s_load_dword s0, s[4:5], 0x1c
	s_waitcnt lgkmcnt(0)
	s_barrier
	global_load_dwordx4 v[10:13], v[22:23], off
	global_load_dwordx4 v[18:21], v[22:23], off offset:1024
	s_waitcnt vmcnt(5)
	v_mad_i64_i32 v[2:3], s[10:11], v2, s1, 0
	v_lshlrev_b64 v[2:3], 1, v[2:3]
	v_add_co_u32_e32 v2, vcc, v29, v2
	v_addc_co_u32_e32 v3, vcc, v30, v3, vcc
	v_add_co_u32_e32 v24, vcc, v2, v31
	v_addc_co_u32_e32 v25, vcc, 0, v3, vcc
	global_load_dwordx4 v[14:17], v[24:25], off
	global_load_dwordx4 v[38:41], v[24:25], off offset:1024
	v_add_u32_e32 v2, -12, v83
	v_cmp_gt_u32_e32 vcc, 12, v83
	v_cndmask_b32_e32 v2, v2, v83, vcc
	v_lshlrev_b32_e32 v2, 5, v2
	v_lshl_add_u32 v32, v1, 9, v2
	ds_read_b128 v[2:5], v32
	s_waitcnt vmcnt(6)
	v_mad_i64_i32 v[6:7], s[10:11], v6, s1, 0
	v_lshlrev_b64 v[26:27], 1, v[6:7]
	ds_read_b128 v[6:9], v32 offset:2048
	v_and_or_b32 v62, v0, 48, s9
	v_mov_b32_e32 v63, s18
	v_mov_b32_e32 v68, s17
	s_add_u32 s8, s14, s2
	v_lshl_or_b32 v87, v85, 4, v83
	v_lshlrev_b32_e32 v76, 5, v87
	s_mov_b32 s40, 0xff7fffff
	s_waitcnt vmcnt(3) lgkmcnt(1)
	v_mfma_f32_16x16x16bf16_1k v[34:37], v[10:11], v[2:3], 0
	v_add_co_u32_e32 v10, vcc, v29, v26
	v_addc_co_u32_e32 v11, vcc, v30, v27, vcc
	v_add_co_u32_e32 v26, vcc, v10, v31
	v_addc_co_u32_e32 v27, vcc, 0, v11, vcc
	global_load_dwordx4 v[46:49], v[26:27], off
	global_load_dwordx4 v[58:61], v[26:27], off offset:1024
	s_waitcnt vmcnt(3)
	v_mfma_f32_16x16x16bf16_1k v[42:45], v[14:15], v[2:3], 0
	v_cmp_gt_i32_e32 vcc, s38, v62
	v_mfma_f32_16x16x16bf16_1k v[14:17], v[16:17], v[4:5], v[42:45]
	s_nop 7
	s_nop 0
	global_load_dwordx4 v[42:45], v[22:23], off offset:2048
	v_mfma_f32_16x16x16bf16_1k v[10:13], v[12:13], v[4:5], v[34:37]
	s_waitcnt vmcnt(3) lgkmcnt(0)
	v_mfma_f32_16x16x16bf16_1k v[14:17], v[38:39], v[6:7], v[14:17]
	v_mfma_f32_16x16x16bf16_1k v[10:13], v[18:19], v[6:7], v[10:13]
	;; [unrolled: 1-line block ×3, first 2 shown]
	global_load_dwordx4 v[38:41], v[22:23], off offset:3072
	v_mfma_f32_16x16x16bf16_1k v[18:21], v[20:21], v[8:9], v[10:13]
	s_waitcnt vmcnt(3)
	v_mfma_f32_16x16x16bf16_1k v[50:53], v[46:47], v[2:3], 0
	v_mfma_f32_16x16x16bf16_1k v[34:37], v[48:49], v[4:5], v[50:53]
	global_load_dwordx4 v[46:49], v[24:25], off offset:2048
	s_nop 3
	ds_read_b128 v[10:13], v32 offset:4096
	s_nop 3
	ds_read_b128 v[50:53], v32 offset:6144
	global_load_dwordx4 v[22:25], v[24:25], off offset:3072
	v_mad_i64_i32 v[32:33], s[10:11], v28, s1, 0
	v_mov_b32_e32 v28, s17
	s_addc_u32 s10, s15, s3
	s_waitcnt vmcnt(3) lgkmcnt(1)
	v_mfma_f32_16x16x16bf16_1k v[18:21], v[42:43], v[10:11], v[18:21]
	v_mfma_f32_16x16x16bf16_1k v[18:21], v[44:45], v[12:13], v[18:21]
	global_load_dwordx4 v[42:45], v[26:27], off offset:2048
	s_waitcnt vmcnt(3) lgkmcnt(0)
	v_mfma_f32_16x16x16bf16_1k v[18:21], v[38:39], v[50:51], v[18:21]
	v_or_b32_e32 v38, 64, v62
	v_ashrrev_i32_e32 v39, 4, v38
	v_mfma_f32_16x16x16bf16_1k v[54:57], v[40:41], v[52:53], v[18:21]
	s_waitcnt vmcnt(2)
	v_mfma_f32_16x16x16bf16_1k v[14:17], v[46:47], v[10:11], v[14:17]
	v_mfma_f32_16x16x16bf16_1k v[14:17], v[48:49], v[12:13], v[14:17]
	global_load_dwordx4 v[46:49], v[26:27], off offset:3072
	v_lshlrev_b64 v[26:27], 1, v[32:33]
	v_ashrrev_i32_e32 v32, 4, v62
	v_cndmask_b32_e32 v32, v63, v32, vcc
	v_ashrrev_i32_e32 v33, 31, v32
	v_cmp_gt_i32_e32 vcc, s38, v38
	v_cndmask_b32_e32 v38, v63, v39, vcc
	s_waitcnt vmcnt(2)
	v_mfma_f32_16x16x16bf16_1k v[14:17], v[22:23], v[50:51], v[14:17]
	v_lshlrev_b64 v[22:23], 2, v[32:33]
	v_add_co_u32_e32 v22, vcc, s16, v22
	v_addc_co_u32_e32 v23, vcc, v28, v23, vcc
	v_add_co_u32_e32 v18, vcc, v29, v26
	v_addc_co_u32_e32 v19, vcc, v30, v27, vcc
	;; [unrolled: 2-line block ×3, first 2 shown]
	v_mfma_f32_16x16x16bf16_1k v[64:67], v[24:25], v[52:53], v[14:17]
	global_load_dword v30, v[22:23], off
	v_ashrrev_i32_e32 v39, 31, v38
	v_lshlrev_b64 v[32:33], 2, v[38:39]
	v_add_co_u32_e32 v18, vcc, s16, v32
	v_addc_co_u32_e32 v19, vcc, v68, v33, vcc
	s_nop 1
	global_load_dwordx4 v[14:17], v[26:27], off
	global_load_dword v31, v[18:19], off
	s_nop 0
	global_load_dwordx4 v[18:21], v[26:27], off offset:1024
	global_load_dwordx4 v[68:71], v[26:27], off offset:2048
	;; [unrolled: 1-line block ×3, first 2 shown]
	v_mfma_f32_16x16x16bf16_1k v[22:25], v[58:59], v[6:7], v[34:37]
	v_or_b32_e32 v28, 0x80, v62
	v_ashrrev_i32_e32 v29, 4, v28
	v_cmp_gt_i32_e32 vcc, s38, v28
	v_cndmask_b32_e32 v28, v63, v29, vcc
	v_ashrrev_i32_e32 v29, 31, v28
	v_lshlrev_b64 v[28:29], 2, v[28:29]
	v_mov_b32_e32 v32, s17
	v_mfma_f32_16x16x16bf16_1k v[22:25], v[60:61], v[8:9], v[22:25]
	v_add_co_u32_e32 v28, vcc, s16, v28
	v_addc_co_u32_e32 v29, vcc, v32, v29, vcc
	global_load_dword v32, v[28:29], off
	v_or_b32_e32 v28, 0xc0, v62
	v_ashrrev_i32_e32 v29, 4, v28
	v_cmp_gt_i32_e32 vcc, s38, v28
	v_cndmask_b32_e32 v28, v63, v29, vcc
	v_ashrrev_i32_e32 v29, 31, v28
	v_lshlrev_b64 v[28:29], 2, v[28:29]
	s_waitcnt vmcnt(8)
	v_mfma_f32_16x16x16bf16_1k v[22:25], v[42:43], v[10:11], v[22:25]
	v_mov_b32_e32 v33, s17
	v_add_co_u32_e32 v28, vcc, s16, v28
	v_addc_co_u32_e32 v29, vcc, v33, v29, vcc
	global_load_dword v58, v[28:29], off
	v_mov_b32_e32 v26, s10
	v_mfma_f32_16x16x16bf16_1k v[22:25], v[44:45], v[12:13], v[22:25]
	v_add_co_u32_e32 v77, vcc, s8, v76
	v_addc_co_u32_e32 v78, vcc, 0, v26, vcc
	v_pk_mul_f32 v[80:81], s[0:1], v[66:67] op_sel_hi:[0,1]
	s_waitcnt vmcnt(8)
	v_mfma_f32_16x16x16bf16_1k v[22:25], v[46:47], v[50:51], v[22:25]
	v_mfma_f32_16x16x16bf16_1k v[88:91], v[48:49], v[52:53], v[22:25]
	s_waitcnt vmcnt(7)
	s_nop 7
	s_nop 0
	v_mad_i64_i32 v[22:23], s[2:3], v30, s1, 0
	v_lshlrev_b64 v[62:63], 1, v[22:23]
	s_waitcnt vmcnt(6)
	v_mfma_f32_16x16x16bf16_1k v[22:25], v[14:15], v[2:3], 0
	v_add_co_u32_e32 v2, vcc, v77, v62
	v_addc_co_u32_e32 v3, vcc, v78, v63, vcc
	global_load_dwordx4 v[46:49], v[2:3], off
	global_load_dwordx4 v[42:45], v[2:3], off offset:16
	s_waitcnt vmcnt(7)
	v_mad_i64_i32 v[2:3], s[2:3], v31, s1, 0
	v_lshlrev_b64 v[14:15], 1, v[2:3]
	v_mfma_f32_16x16x16bf16_1k v[2:5], v[16:17], v[4:5], v[22:25]
	v_add_co_u32_e32 v16, vcc, v77, v14
	v_addc_co_u32_e32 v17, vcc, v78, v15, vcc
	global_load_dwordx4 v[38:41], v[16:17], off
	global_load_dwordx4 v[34:37], v[16:17], off offset:16
	s_waitcnt vmcnt(5)
	v_mad_i64_i32 v[16:17], s[2:3], v32, s1, 0
	v_mfma_f32_16x16x16bf16_1k v[2:5], v[18:19], v[6:7], v[2:5]
	v_lshlrev_b64 v[60:61], 1, v[16:17]
	v_add_co_u32_e32 v6, vcc, v77, v60
	v_addc_co_u32_e32 v7, vcc, v78, v61, vcc
	global_load_dwordx4 v[30:33], v[6:7], off
	global_load_dwordx4 v[26:29], v[6:7], off offset:16
	s_waitcnt vmcnt(6)
	v_mad_i64_i32 v[6:7], s[2:3], v58, s1, 0
	v_mfma_f32_16x16x16bf16_1k v[2:5], v[20:21], v[8:9], v[2:5]
	v_lshlrev_b64 v[58:59], 1, v[6:7]
	v_add_co_u32_e32 v6, vcc, v77, v58
	v_addc_co_u32_e32 v7, vcc, v78, v59, vcc
	global_load_dwordx4 v[22:25], v[6:7], off
	global_load_dwordx4 v[18:21], v[6:7], off offset:16
	v_or_b32_e32 v6, 0x800, v76
	v_mfma_f32_16x16x16bf16_1k v[2:5], v[68:69], v[10:11], v[2:5]
	v_mov_b32_e32 v7, s10
	v_add_co_u32_e32 v68, vcc, s8, v6
	v_addc_co_u32_e32 v69, vcc, 0, v7, vcc
	v_pk_mul_f32 v[78:79], s[0:1], v[56:57] op_sel_hi:[0,1]
	v_pk_mul_f32 v[76:77], s[0:1], v[90:91] op_sel_hi:[0,1]
	v_mfma_f32_16x16x16bf16_1k v[10:13], v[70:71], v[12:13], v[2:5]
	v_pk_mul_f32 v[70:71], s[0:1], v[64:65] op_sel_hi:[0,1]
	v_mfma_f32_16x16x16bf16_1k v[92:95], v[72:73], v[50:51], v[10:13]
	s_nop 4
	v_add_co_u32_e32 v2, vcc, v68, v62
	v_addc_co_u32_e32 v3, vcc, v69, v63, vcc
	v_add_co_u32_e32 v62, vcc, v68, v14
	v_addc_co_u32_e32 v63, vcc, v69, v15, vcc
	v_mfma_f32_16x16x16bf16_1k v[50:53], v[74:75], v[52:53], v[92:95]
	global_load_dwordx4 v[6:9], v[2:3], off
	s_nop 0
	global_load_dwordx4 v[2:5], v[2:3], off offset:16
	s_nop 0
	global_load_dwordx4 v[14:17], v[62:63], off
	global_load_dwordx4 v[10:13], v[62:63], off offset:16
	v_pk_mul_f32 v[62:63], s[0:1], v[54:55] op_sel_hi:[0,1]
	v_pk_mul_f32 v[72:73], s[0:1], v[88:89] op_sel_hi:[0,1]
	s_nop 2
	v_pk_mul_f32 v[74:75], s[0:1], v[50:51] op_sel_hi:[0,1]
	v_and_b32_e32 v50, 0xc0, v0
	v_add_u32_e32 v50, s9, v50
	v_lshl_or_b32 v50, v1, 2, v50
	v_pk_mul_f32 v[66:67], s[0:1], v[52:53] op_sel_hi:[0,1]
	v_or_b32_e32 v53, 1, v50
	v_mov_b32_e32 v51, 0xff7fffff
	v_cmp_gt_i32_e64 s[28:29], s38, v50
	v_cmp_gt_i32_e64 s[30:31], s38, v53
	v_cndmask_b32_e64 v52, v51, v62, s[28:29]
	v_cndmask_b32_e64 v53, v51, v63, s[30:31]
	v_max3_f32 v52, v52, s40, v53
	v_or_b32_e32 v53, 2, v50
	v_or_b32_e32 v54, 3, v50
	v_cmp_gt_i32_e64 s[34:35], s38, v53
	v_cmp_gt_i32_e64 s[36:37], s38, v54
	v_cndmask_b32_e64 v53, v51, v78, s[34:35]
	v_cndmask_b32_e64 v54, v51, v79, s[36:37]
	v_max3_f32 v52, v52, v53, v54
	v_or_b32_e32 v53, 16, v50
	v_or_b32_e32 v54, 17, v50
	;; [unrolled: 7-line block ×7, first 2 shown]
	v_cmp_gt_i32_e32 vcc, s38, v53
	v_cmp_gt_i32_e64 s[0:1], s38, v50
	v_cndmask_b32_e32 v53, v51, v66, vcc
	v_cndmask_b32_e64 v50, v51, v67, s[0:1]
	v_max3_f32 v64, v52, v53, v50
	v_mbcnt_lo_u32_b32 v50, -1, 0
	v_mbcnt_hi_u32_b32 v65, -1, v50
	v_and_b32_e32 v50, 64, v65
	v_add_u32_e32 v88, 64, v50
	v_xor_b32_e32 v50, 32, v65
	v_cmp_lt_i32_e64 s[38:39], v50, v88
	v_cndmask_b32_e64 v50, v65, v50, s[38:39]
	v_lshlrev_b32_e32 v89, 2, v50
	ds_bpermute_b32 v90, v89, v64
	v_add_co_u32_e64 v50, s[38:39], v68, v60
	v_addc_co_u32_e64 v51, s[38:39], v69, v61, s[38:39]
	v_xor_b32_e32 v61, 16, v65
	v_cmp_lt_i32_e64 s[38:39], v61, v88
	s_waitcnt lgkmcnt(0)
	v_max_f32_e32 v60, v90, v90
	v_cndmask_b32_e64 v61, v65, v61, s[38:39]
	v_max_f32_e32 v60, v64, v60
	v_lshlrev_b32_e32 v90, 2, v61
	ds_bpermute_b32 v61, v90, v60
	v_add_co_u32_e64 v58, s[38:39], v68, v58
	v_addc_co_u32_e64 v59, s[38:39], v69, v59, s[38:39]
	s_waitcnt lgkmcnt(0)
	v_max_f32_e32 v61, v61, v61
	v_max_f32_e32 v88, v60, v61
	v_sub_f32_e32 v60, v62, v88
	v_mul_f32_e32 v60, 0x3fb8aa3b, v60
	v_exp_f32_e32 v68, v60
	v_sub_f32_e32 v60, v63, v88
	v_mul_f32_e32 v60, 0x3fb8aa3b, v60
	global_load_dwordx4 v[54:57], v[50:51], off
	s_nop 0
	global_load_dwordx4 v[50:53], v[50:51], off offset:16
	v_exp_f32_e32 v69, v60
	global_load_dwordx4 v[62:65], v[58:59], off
	s_nop 0
	global_load_dwordx4 v[58:61], v[58:59], off offset:16
	v_sub_f32_e32 v78, v78, v88
	v_mul_f32_e32 v78, 0x3fb8aa3b, v78
	v_sub_f32_e32 v79, v79, v88
	v_exp_f32_e32 v78, v78
	v_mul_f32_e32 v79, 0x3fb8aa3b, v79
	v_sub_f32_e32 v70, v70, v88
	v_exp_f32_e32 v79, v79
	v_mul_f32_e32 v70, 0x3fb8aa3b, v70
	v_sub_f32_e32 v71, v71, v88
	v_cndmask_b32_e64 v68, 0, v68, s[28:29]
	v_exp_f32_e32 v70, v70
	v_mul_f32_e32 v71, 0x3fb8aa3b, v71
	v_sub_f32_e32 v80, v80, v88
	v_add_f32_e32 v91, 0, v68
	v_cndmask_b32_e64 v69, 0, v69, s[30:31]
	v_exp_f32_e32 v71, v71
	v_mul_f32_e32 v80, 0x3fb8aa3b, v80
	v_sub_f32_e32 v81, v81, v88
	v_add_f32_e32 v91, v91, v69
	;; [unrolled: 5-line block ×10, first 2 shown]
	v_cndmask_b32_e64 v76, 0, v76, s[10:11]
	v_exp_f32_e32 v66, v66
	v_mul_f32_e32 v67, 0x3fb8aa3b, v67
	v_add_f32_e32 v91, v91, v76
	v_cndmask_b32_e64 v77, 0, v77, s[12:13]
	v_exp_f32_e32 v67, v67
	v_add_f32_e32 v91, v91, v77
	v_cndmask_b32_e64 v74, 0, v74, s[2:3]
	v_add_f32_e32 v91, v91, v74
	v_cndmask_b32_e64 v75, 0, v75, s[8:9]
	v_add_f32_e32 v91, v91, v75
	v_cndmask_b32_e32 v66, 0, v66, vcc
	v_add_f32_e32 v91, v91, v66
	v_cndmask_b32_e64 v67, 0, v67, s[0:1]
	v_add_f32_e32 v91, v91, v67
	ds_bpermute_b32 v89, v89, v91
	v_cmp_gt_u32_e32 vcc, 16, v86
	s_waitcnt lgkmcnt(0)
	s_barrier
	v_add_f32_e32 v89, v91, v89
	ds_bpermute_b32 v90, v90, v89
	s_and_saveexec_b64 s[0:1], vcc
	s_cbranch_execz .LBB335_13
; %bb.12:
	s_waitcnt lgkmcnt(0)
	v_add_f32_e32 v86, v89, v90
	v_lshlrev_b32_e32 v87, 2, v87
	ds_write2st64_b32 v87, v88, v86 offset1:1
.LBB335_13:
	s_or_b64 exec, exec, s[0:1]
	v_lshlrev_b32_e32 v87, 2, v83
	s_load_dword s2, s[4:5], 0x94
	s_waitcnt lgkmcnt(0)
	s_barrier
	ds_read2_b32 v[88:89], v87 offset1:16
	ds_read2_b32 v[90:91], v87 offset0:32 offset1:48
	ds_read2_b32 v[92:93], v87 offset0:64 offset1:80
	s_movk_i32 s8, 0x7fff
	s_mov_b32 s9, 0x7060302
	s_waitcnt lgkmcnt(2)
	v_max3_f32 v86, v88, s40, v89
	s_waitcnt lgkmcnt(1)
	v_max3_f32 v86, v86, v90, v91
	v_sub_f32_e32 v88, v88, v86
	v_mul_f32_e32 v88, 0x3fb8aa3b, v88
	v_exp_f32_e32 v94, v88
	v_sub_f32_e32 v88, v89, v86
	v_mul_f32_e32 v88, 0x3fb8aa3b, v88
	v_exp_f32_e32 v95, v88
	;; [unrolled: 3-line block ×3, first 2 shown]
	ds_read2_b32 v[88:89], v87 offset0:96 offset1:112
	v_sub_f32_e32 v87, v91, v86
	v_mul_f32_e32 v87, 0x3fb8aa3b, v87
	v_exp_f32_e32 v91, v87
	s_waitcnt lgkmcnt(1)
	v_fma_f32 v87, v94, v92, 0
	v_fmac_f32_e32 v87, v95, v93
	s_waitcnt lgkmcnt(0)
	v_fmac_f32_e32 v87, v90, v88
	v_fmac_f32_e32 v87, v91, v89
	v_add_f32_e32 v88, 0x358637bd, v87
	v_div_scale_f32 v89, s[0:1], v88, v88, 1.0
	v_rcp_f32_e32 v92, v89
	s_barrier
	v_fma_f32 v93, -v89, v92, 1.0
	v_fmac_f32_e32 v92, v93, v92
	v_div_scale_f32 v93, vcc, 1.0, v88, 1.0
	v_mul_f32_e32 v82, v93, v92
	v_fma_f32 v84, -v89, v82, v93
	v_fmac_f32_e32 v82, v84, v92
	v_fma_f32 v84, -v89, v82, v93
	v_div_fmas_f32 v82, v84, v92, v82
	v_cmp_eq_u32_e32 vcc, 1, v85
	v_cndmask_b32_e32 v84, v94, v95, vcc
	v_cmp_eq_u32_e32 vcc, 2, v85
	v_cndmask_b32_e32 v84, v84, v90, vcc
	v_cmp_eq_u32_e32 vcc, 3, v85
	v_div_fixup_f32 v82, v82, v88, 1.0
	v_cndmask_b32_e32 v84, v84, v91, vcc
	v_mul_f32_e32 v88, v84, v82
	v_pk_mul_f32 v[68:69], v[88:89], v[68:69] op_sel_hi:[0,1]
	v_bfe_u32 v82, v69, 16, 1
	v_bfe_u32 v84, v68, 16, 1
	v_pk_mul_f32 v[78:79], v[88:89], v[78:79] op_sel_hi:[0,1]
	v_add3_u32 v68, v68, v84, s8
	v_add3_u32 v69, v69, v82, s8
	v_perm_b32 v90, v69, v68, s9
	v_bfe_u32 v68, v79, 16, 1
	v_bfe_u32 v69, v78, 16, 1
	v_add3_u32 v69, v78, v69, s8
	v_add3_u32 v68, v79, v68, s8
	v_perm_b32 v91, v68, v69, s9
	v_lshlrev_b32_e32 v69, 3, v1
	v_lshlrev_b32_e32 v68, 5, v83
	;; [unrolled: 1-line block ×3, first 2 shown]
	v_pk_mul_f32 v[70:71], v[88:89], v[70:71] op_sel_hi:[0,1]
	v_or3_b32 v78, v78, v68, v69
	v_bfe_u32 v69, v71, 16, 1
	v_bfe_u32 v79, v70, 16, 1
	v_pk_mul_f32 v[80:81], v[88:89], v[80:81] op_sel_hi:[0,1]
	v_add3_u32 v70, v70, v79, s8
	v_add3_u32 v69, v71, v69, s8
	v_perm_b32 v70, v69, v70, s9
	v_bfe_u32 v69, v81, 16, 1
	v_bfe_u32 v71, v80, 16, 1
	v_add3_u32 v71, v80, v71, s8
	v_add3_u32 v69, v81, v69, s8
	v_perm_b32 v71, v69, v71, s9
	v_pk_mul_f32 v[72:73], v[88:89], v[72:73] op_sel_hi:[0,1]
	ds_write2st64_b64 v78, v[90:91], v[70:71] offset1:1
	v_pk_mul_f32 v[70:71], v[88:89], v[76:77] op_sel_hi:[0,1]
	v_bfe_u32 v69, v73, 16, 1
	v_bfe_u32 v76, v72, 16, 1
	v_add3_u32 v72, v72, v76, s8
	v_add3_u32 v69, v73, v69, s8
	v_perm_b32 v72, v69, v72, s9
	v_bfe_u32 v69, v71, 16, 1
	v_bfe_u32 v73, v70, 16, 1
	v_add3_u32 v70, v70, v73, s8
	v_add3_u32 v69, v71, v69, s8
	v_perm_b32 v73, v69, v70, s9
	v_pk_mul_f32 v[70:71], v[88:89], v[74:75] op_sel_hi:[0,1]
	v_bfe_u32 v69, v71, 16, 1
	v_bfe_u32 v74, v70, 16, 1
	v_pk_mul_f32 v[66:67], v[88:89], v[66:67] op_sel_hi:[0,1]
	v_add3_u32 v70, v70, v74, s8
	v_add3_u32 v69, v71, v69, s8
	v_perm_b32 v70, v69, v70, s9
	v_bfe_u32 v69, v67, 16, 1
	v_bfe_u32 v71, v66, 16, 1
	v_add3_u32 v66, v66, v71, s8
	v_add3_u32 v67, v67, v69, s8
	s_mul_i32 s3, s33, 12
	v_perm_b32 v71, v67, v66, s9
	v_cmp_gt_u32_e32 vcc, 12, v0
	ds_write2st64_b64 v78, v[72:73], v[70:71] offset0:2 offset1:3
	s_and_saveexec_b64 s[0:1], vcc
	s_cbranch_execz .LBB335_15
; %bb.14:
	v_add_co_u32_e32 v70, vcc, s27, v83
	v_addc_co_u32_e64 v71, s[10:11], 0, 0, vcc
	v_mov_b32_e32 v66, s3
	v_mov_b32_e32 v67, 0
	v_mad_u64_u32 v[70:71], s[10:11], s6, v66, v[70:71]
	v_mov_b32_e32 v66, s26
	s_load_dwordx4 s[12:15], s[4:5], 0x58
	s_mul_i32 s7, s7, s3
	v_mad_u64_u32 v[66:67], s[10:11], v70, s2, v[66:67]
	v_add_u32_e32 v69, s7, v71
	v_mov_b32_e32 v70, v67
	v_mad_u64_u32 v[70:71], s[10:11], v69, s2, v[70:71]
	v_mov_b32_e32 v67, v70
	v_lshlrev_b64 v[66:67], 2, v[66:67]
	s_waitcnt lgkmcnt(0)
	v_mov_b32_e32 v69, s15
	v_add_co_u32_e32 v70, vcc, s14, v66
	v_addc_co_u32_e32 v71, vcc, v69, v67, vcc
	v_mov_b32_e32 v69, s13
	v_add_co_u32_e32 v66, vcc, s12, v66
	v_addc_co_u32_e32 v67, vcc, v69, v67, vcc
	global_store_dword v[70:71], v86, off
	global_store_dword v[66:67], v87, off
.LBB335_15:
	s_or_b64 exec, exec, s[0:1]
	v_lshl_or_b32 v79, v1, 9, v68
	s_waitcnt lgkmcnt(0)
	s_barrier
	ds_read_b128 v[70:73], v79
	ds_read_b128 v[66:69], v79 offset:16
	s_waitcnt vmcnt(15) lgkmcnt(1)
	v_mfma_f32_16x16x16bf16_1k v[74:77], v[46:47], v[70:71], 0
	s_mov_b32 s1, 0
	v_cmp_gt_u32_e32 vcc, 64, v0
	v_mfma_f32_16x16x16bf16_1k v[46:49], v[48:49], v[72:73], v[74:77]
	s_waitcnt vmcnt(14) lgkmcnt(0)
	v_mfma_f32_16x16x16bf16_1k v[46:49], v[42:43], v[66:67], v[46:49]
	v_mfma_f32_16x16x16bf16_1k v[42:45], v[44:45], v[68:69], v[46:49]
	s_nop 7
	s_nop 1
	ds_read_b128 v[46:49], v79 offset:2048
	ds_read_b128 v[74:77], v79 offset:2064
	s_waitcnt vmcnt(13) lgkmcnt(1)
	v_mfma_f32_16x16x16bf16_1k v[42:45], v[38:39], v[46:47], v[42:45]
	v_mfma_f32_16x16x16bf16_1k v[38:41], v[40:41], v[48:49], v[42:45]
	s_waitcnt vmcnt(12) lgkmcnt(0)
	v_mfma_f32_16x16x16bf16_1k v[38:41], v[34:35], v[74:75], v[38:41]
	v_mfma_f32_16x16x16bf16_1k v[34:37], v[36:37], v[76:77], v[38:41]
	s_nop 7
	s_nop 1
	ds_read_b128 v[38:41], v79 offset:4096
	ds_read_b128 v[42:45], v79 offset:4112
	s_waitcnt vmcnt(11) lgkmcnt(1)
	v_mfma_f32_16x16x16bf16_1k v[34:37], v[30:31], v[38:39], v[34:37]
	v_mfma_f32_16x16x16bf16_1k v[30:33], v[32:33], v[40:41], v[34:37]
	s_waitcnt vmcnt(10) lgkmcnt(0)
	v_mfma_f32_16x16x16bf16_1k v[30:33], v[26:27], v[42:43], v[30:33]
	v_mfma_f32_16x16x16bf16_1k v[26:29], v[28:29], v[44:45], v[30:33]
	s_nop 7
	s_nop 1
	ds_read_b128 v[30:33], v79 offset:6144
	ds_read_b128 v[34:37], v79 offset:6160
	s_waitcnt lgkmcnt(0)
	s_barrier
	s_waitcnt vmcnt(9)
	v_mfma_f32_16x16x16bf16_1k v[26:29], v[22:23], v[30:31], v[26:29]
	v_mfma_f32_16x16x16bf16_1k v[22:25], v[24:25], v[32:33], v[26:29]
	s_waitcnt vmcnt(8)
	v_mfma_f32_16x16x16bf16_1k v[22:25], v[18:19], v[34:35], v[22:25]
	v_mfma_f32_16x16x16bf16_1k v[18:21], v[20:21], v[36:37], v[22:25]
	;; [unrolled: 3-line block ×4, first 2 shown]
	s_waitcnt vmcnt(5)
	v_mfma_f32_16x16x16bf16_1k v[2:5], v[14:15], v[46:47], v[2:5]
	s_nop 7
	v_bfe_u32 v6, v19, 16, 1
	v_bfe_u32 v7, v18, 16, 1
	v_add3_u32 v7, v18, v7, s8
	v_add3_u32 v6, v19, v6, s8
	v_perm_b32 v6, v6, v7, s9
	v_bfe_u32 v7, v21, 16, 1
	v_bfe_u32 v8, v20, 16, 1
	v_mfma_f32_16x16x16bf16_1k v[2:5], v[16:17], v[48:49], v[2:5]
	v_add3_u32 v8, v20, v8, s8
	v_add3_u32 v7, v21, v7, s8
	v_perm_b32 v7, v7, v8, s9
	s_waitcnt vmcnt(4)
	v_mfma_f32_16x16x16bf16_1k v[2:5], v[10:11], v[74:75], v[2:5]
	v_mfma_f32_16x16x16bf16_1k v[2:5], v[12:13], v[76:77], v[2:5]
	s_waitcnt vmcnt(3)
	v_mfma_f32_16x16x16bf16_1k v[2:5], v[54:55], v[38:39], v[2:5]
	v_mfma_f32_16x16x16bf16_1k v[2:5], v[56:57], v[40:41], v[2:5]
	;; [unrolled: 3-line block ×5, first 2 shown]
	s_nop 7
	s_nop 2
	v_bfe_u32 v8, v3, 16, 1
	v_bfe_u32 v9, v2, 16, 1
	v_add3_u32 v2, v2, v9, s8
	v_add3_u32 v3, v3, v8, s8
	v_perm_b32 v2, v3, v2, s9
	v_bfe_u32 v3, v5, 16, 1
	v_bfe_u32 v8, v4, 16, 1
	v_add3_u32 v4, v4, v8, s8
	v_add3_u32 v3, v5, v3, s8
	v_perm_b32 v3, v3, v4, s9
	ds_write2st64_b64 v78, v[6:7], v[2:3] offset1:1
	s_waitcnt lgkmcnt(0)
	s_barrier
	s_and_saveexec_b64 s[8:9], vcc
	s_cbranch_execz .LBB335_17
; %bb.16:
	v_lshlrev_b32_e32 v4, 6, v83
	v_lshlrev_b32_e32 v3, 4, v0
	v_lshl_or_b32 v0, v0, 10, v4
	v_lshlrev_b32_e32 v2, 5, v1
	v_and_b32_e32 v3, 16, v3
	v_and_b32_e32 v0, 0x1a00, v0
	v_or3_b32 v0, v0, v2, v3
	ds_read_b128 v[2:5], v0
	ds_read_b128 v[6:9], v0 offset:128
	ds_read_b128 v[10:13], v0 offset:256
	v_or_b32_e32 v14, s27, v1
	buffer_load_dword v1, off, s[44:47], 0  ; 4-byte Folded Reload
	s_load_dwordx2 s[4:5], s[4:5], 0x68
	s_lshl_b32 s7, s2, 7
	s_mul_i32 s0, s3, s6
	s_mul_hi_u32 s3, s0, s7
	s_mul_i32 s2, s0, s7
	s_lshl_b64 s[2:3], s[2:3], 1
	s_waitcnt lgkmcnt(0)
	s_add_u32 s2, s4, s2
	s_addc_u32 s3, s5, s3
	s_lshl_b32 s0, s26, 7
	s_lshl_b64 s[0:1], s[0:1], 1
	s_add_u32 s0, s2, s0
	s_addc_u32 s1, s3, s1
	v_mov_b32_e32 v0, s1
	s_waitcnt vmcnt(0)
	v_add_co_u32_e32 v15, vcc, s0, v1
	v_addc_co_u32_e32 v16, vcc, 0, v0, vcc
	v_mad_u64_u32 v[0:1], s[0:1], v14, s7, 0
	v_lshlrev_b64 v[0:1], 1, v[0:1]
	v_add_co_u32_e32 v0, vcc, v15, v0
	v_addc_co_u32_e32 v1, vcc, v16, v1, vcc
	global_store_dwordx4 v[0:1], v[2:5], off
	v_add_u32_e32 v0, 4, v14
	v_mad_u64_u32 v[0:1], s[0:1], v0, s7, 0
	v_lshlrev_b64 v[0:1], 1, v[0:1]
	v_add_co_u32_e32 v0, vcc, v15, v0
	v_addc_co_u32_e32 v1, vcc, v16, v1, vcc
	global_store_dwordx4 v[0:1], v[6:9], off
	v_add_u32_e32 v0, 8, v14
	v_mad_u64_u32 v[0:1], s[0:1], v0, s7, 0
	v_lshlrev_b64 v[0:1], 1, v[0:1]
	v_add_co_u32_e32 v0, vcc, v15, v0
	v_addc_co_u32_e32 v1, vcc, v16, v1, vcc
	global_store_dwordx4 v[0:1], v[10:13], off
.LBB335_17:
	s_endpgm
	.section	.rodata,"a",@progbits
	.p2align	6, 0x0
	.amdhsa_kernel _Z39paged_attention_ll4mi_QKV_mfma16_kernelI14__hip_bfloat16S0_LN4vllm18Fp8KVCacheDataTypeE0ES0_Li16ELi128ELi256ELb0ELi12EL8MFMAType0EEvPKT_PKT0_S9_ifPKiSB_SB_iPKfiiiPfSE_PS4_PT2_iSD_SD_
		.amdhsa_group_segment_fixed_size 8192
		.amdhsa_private_segment_fixed_size 8
		.amdhsa_kernarg_size 400
		.amdhsa_user_sgpr_count 6
		.amdhsa_user_sgpr_private_segment_buffer 1
		.amdhsa_user_sgpr_dispatch_ptr 0
		.amdhsa_user_sgpr_queue_ptr 0
		.amdhsa_user_sgpr_kernarg_segment_ptr 1
		.amdhsa_user_sgpr_dispatch_id 0
		.amdhsa_user_sgpr_flat_scratch_init 0
		.amdhsa_user_sgpr_kernarg_preload_length 0
		.amdhsa_user_sgpr_kernarg_preload_offset 0
		.amdhsa_user_sgpr_private_segment_size 0
		.amdhsa_uses_dynamic_stack 0
		.amdhsa_system_sgpr_private_segment_wavefront_offset 1
		.amdhsa_system_sgpr_workgroup_id_x 1
		.amdhsa_system_sgpr_workgroup_id_y 1
		.amdhsa_system_sgpr_workgroup_id_z 1
		.amdhsa_system_sgpr_workgroup_info 0
		.amdhsa_system_vgpr_workitem_id 0
		.amdhsa_next_free_vgpr 96
		.amdhsa_next_free_sgpr 48
		.amdhsa_accum_offset 96
		.amdhsa_reserve_vcc 1
		.amdhsa_reserve_flat_scratch 0
		.amdhsa_float_round_mode_32 0
		.amdhsa_float_round_mode_16_64 0
		.amdhsa_float_denorm_mode_32 3
		.amdhsa_float_denorm_mode_16_64 3
		.amdhsa_dx10_clamp 1
		.amdhsa_ieee_mode 1
		.amdhsa_fp16_overflow 0
		.amdhsa_tg_split 0
		.amdhsa_exception_fp_ieee_invalid_op 0
		.amdhsa_exception_fp_denorm_src 0
		.amdhsa_exception_fp_ieee_div_zero 0
		.amdhsa_exception_fp_ieee_overflow 0
		.amdhsa_exception_fp_ieee_underflow 0
		.amdhsa_exception_fp_ieee_inexact 0
		.amdhsa_exception_int_div_zero 0
	.end_amdhsa_kernel
	.section	.text._Z39paged_attention_ll4mi_QKV_mfma16_kernelI14__hip_bfloat16S0_LN4vllm18Fp8KVCacheDataTypeE0ES0_Li16ELi128ELi256ELb0ELi12EL8MFMAType0EEvPKT_PKT0_S9_ifPKiSB_SB_iPKfiiiPfSE_PS4_PT2_iSD_SD_,"axG",@progbits,_Z39paged_attention_ll4mi_QKV_mfma16_kernelI14__hip_bfloat16S0_LN4vllm18Fp8KVCacheDataTypeE0ES0_Li16ELi128ELi256ELb0ELi12EL8MFMAType0EEvPKT_PKT0_S9_ifPKiSB_SB_iPKfiiiPfSE_PS4_PT2_iSD_SD_,comdat
.Lfunc_end335:
	.size	_Z39paged_attention_ll4mi_QKV_mfma16_kernelI14__hip_bfloat16S0_LN4vllm18Fp8KVCacheDataTypeE0ES0_Li16ELi128ELi256ELb0ELi12EL8MFMAType0EEvPKT_PKT0_S9_ifPKiSB_SB_iPKfiiiPfSE_PS4_PT2_iSD_SD_, .Lfunc_end335-_Z39paged_attention_ll4mi_QKV_mfma16_kernelI14__hip_bfloat16S0_LN4vllm18Fp8KVCacheDataTypeE0ES0_Li16ELi128ELi256ELb0ELi12EL8MFMAType0EEvPKT_PKT0_S9_ifPKiSB_SB_iPKfiiiPfSE_PS4_PT2_iSD_SD_
                                        ; -- End function
	.section	.AMDGPU.csdata,"",@progbits
; Kernel info:
; codeLenInByte = 4904
; NumSgprs: 52
; NumVgprs: 96
; NumAgprs: 0
; TotalNumVgprs: 96
; ScratchSize: 8
; MemoryBound: 0
; FloatMode: 240
; IeeeMode: 1
; LDSByteSize: 8192 bytes/workgroup (compile time only)
; SGPRBlocks: 6
; VGPRBlocks: 11
; NumSGPRsForWavesPerEU: 52
; NumVGPRsForWavesPerEU: 96
; AccumOffset: 96
; Occupancy: 5
; WaveLimiterHint : 1
; COMPUTE_PGM_RSRC2:SCRATCH_EN: 1
; COMPUTE_PGM_RSRC2:USER_SGPR: 6
; COMPUTE_PGM_RSRC2:TRAP_HANDLER: 0
; COMPUTE_PGM_RSRC2:TGID_X_EN: 1
; COMPUTE_PGM_RSRC2:TGID_Y_EN: 1
; COMPUTE_PGM_RSRC2:TGID_Z_EN: 1
; COMPUTE_PGM_RSRC2:TIDIG_COMP_CNT: 0
; COMPUTE_PGM_RSRC3_GFX90A:ACCUM_OFFSET: 23
; COMPUTE_PGM_RSRC3_GFX90A:TG_SPLIT: 0
	.section	.text._Z39paged_attention_ll4mi_QKV_mfma16_kernelI14__hip_bfloat16S0_LN4vllm18Fp8KVCacheDataTypeE0ES0_Li16ELi128ELi256ELb0ELi13EL8MFMAType0EEvPKT_PKT0_S9_ifPKiSB_SB_iPKfiiiPfSE_PS4_PT2_iSD_SD_,"axG",@progbits,_Z39paged_attention_ll4mi_QKV_mfma16_kernelI14__hip_bfloat16S0_LN4vllm18Fp8KVCacheDataTypeE0ES0_Li16ELi128ELi256ELb0ELi13EL8MFMAType0EEvPKT_PKT0_S9_ifPKiSB_SB_iPKfiiiPfSE_PS4_PT2_iSD_SD_,comdat
	.protected	_Z39paged_attention_ll4mi_QKV_mfma16_kernelI14__hip_bfloat16S0_LN4vllm18Fp8KVCacheDataTypeE0ES0_Li16ELi128ELi256ELb0ELi13EL8MFMAType0EEvPKT_PKT0_S9_ifPKiSB_SB_iPKfiiiPfSE_PS4_PT2_iSD_SD_ ; -- Begin function _Z39paged_attention_ll4mi_QKV_mfma16_kernelI14__hip_bfloat16S0_LN4vllm18Fp8KVCacheDataTypeE0ES0_Li16ELi128ELi256ELb0ELi13EL8MFMAType0EEvPKT_PKT0_S9_ifPKiSB_SB_iPKfiiiPfSE_PS4_PT2_iSD_SD_
	.globl	_Z39paged_attention_ll4mi_QKV_mfma16_kernelI14__hip_bfloat16S0_LN4vllm18Fp8KVCacheDataTypeE0ES0_Li16ELi128ELi256ELb0ELi13EL8MFMAType0EEvPKT_PKT0_S9_ifPKiSB_SB_iPKfiiiPfSE_PS4_PT2_iSD_SD_
	.p2align	8
	.type	_Z39paged_attention_ll4mi_QKV_mfma16_kernelI14__hip_bfloat16S0_LN4vllm18Fp8KVCacheDataTypeE0ES0_Li16ELi128ELi256ELb0ELi13EL8MFMAType0EEvPKT_PKT0_S9_ifPKiSB_SB_iPKfiiiPfSE_PS4_PT2_iSD_SD_,@function
_Z39paged_attention_ll4mi_QKV_mfma16_kernelI14__hip_bfloat16S0_LN4vllm18Fp8KVCacheDataTypeE0ES0_Li16ELi128ELi256ELb0ELi13EL8MFMAType0EEvPKT_PKT0_S9_ifPKiSB_SB_iPKfiiiPfSE_PS4_PT2_iSD_SD_: ; @_Z39paged_attention_ll4mi_QKV_mfma16_kernelI14__hip_bfloat16S0_LN4vllm18Fp8KVCacheDataTypeE0ES0_Li16ELi128ELi256ELb0ELi13EL8MFMAType0EEvPKT_PKT0_S9_ifPKiSB_SB_iPKfiiiPfSE_PS4_PT2_iSD_SD_
; %bb.0:
	s_mov_b64 s[46:47], s[2:3]
	s_mov_b64 s[44:45], s[0:1]
	s_load_dwordx2 s[0:1], s[4:5], 0x30
	s_add_u32 s44, s44, s9
	s_addc_u32 s45, s45, 0
	s_mov_b32 s26, s7
	s_mov_b64 s[10:11], 0
	s_waitcnt lgkmcnt(0)
	s_cmp_lg_u64 s[0:1], 0
	s_cselect_b64 s[2:3], -1, 0
	s_and_b64 vcc, exec, s[2:3]
	s_cbranch_vccz .LBB336_7
; %bb.1:
	s_add_i32 s12, s6, 1
	s_mov_b32 s13, 0
	s_lshl_b64 s[14:15], s[12:13], 2
	s_add_u32 s14, s0, s14
	s_mov_b32 s7, s13
	s_addc_u32 s15, s1, s15
	s_lshl_b64 s[12:13], s[6:7], 2
	s_add_u32 s12, s0, s12
	s_addc_u32 s13, s1, s13
	s_load_dword s9, s[14:15], 0x0
	s_load_dword s16, s[12:13], 0x0
	s_waitcnt lgkmcnt(0)
	s_sub_i32 s9, s9, s16
	s_cmp_eq_u32 s9, 1
	s_cselect_b64 s[12:13], -1, 0
	s_andn2_b64 vcc, exec, s[10:11]
	s_cbranch_vccnz .LBB336_3
.LBB336_2:
	s_mov_b32 s7, 0
	s_mov_b64 s[12:13], -1
.LBB336_3:
	s_andn2_b64 vcc, exec, s[12:13]
	s_cbranch_vccnz .LBB336_18
; %bb.4:
	s_load_dwordx2 s[12:13], s[4:5], 0x28
	s_lshl_b64 s[10:11], s[6:7], 2
	s_waitcnt lgkmcnt(0)
	s_add_u32 s12, s12, s10
	s_addc_u32 s13, s13, s11
	s_load_dword s38, s[12:13], 0x0
	s_lshl_b32 s9, s26, 8
	s_waitcnt lgkmcnt(0)
	s_cmp_ge_i32 s9, s38
	s_cbranch_scc1 .LBB336_18
; %bb.5:
	s_add_i32 s15, s38, 15
	s_load_dwordx2 s[12:13], s[4:5], 0x20
	s_load_dword s14, s[4:5], 0x38
	s_ashr_i32 s16, s15, 31
	v_and_b32_e32 v1, 0xcf, v0
	s_lshr_b32 s16, s16, 28
	v_add_u32_e32 v1, s9, v1
	s_add_i32 s15, s15, s16
	v_ashrrev_i32_e32 v2, 31, v1
	s_ashr_i32 s18, s15, 4
	v_lshrrev_b32_e32 v6, 28, v2
	s_add_i32 s18, s18, -1
	v_add_u32_e32 v2, v1, v6
	s_waitcnt lgkmcnt(0)
	s_mul_i32 s14, s6, s14
	s_mov_b32 s15, 0
	v_ashrrev_i32_e32 v2, 4, v2
	v_mov_b32_e32 v7, s18
	v_cmp_gt_i32_e32 vcc, s38, v1
	s_lshl_b64 s[14:15], s[14:15], 2
	v_cndmask_b32_e32 v2, v7, v2, vcc
	s_add_u32 s16, s12, s14
	v_ashrrev_i32_e32 v3, 31, v2
	s_addc_u32 s17, s13, s15
	v_lshlrev_b64 v[2:3], 2, v[2:3]
	v_mov_b32_e32 v5, s17
	v_add_co_u32_e32 v4, vcc, s16, v2
	v_or_b32_e32 v2, 16, v1
	v_addc_co_u32_e32 v5, vcc, v5, v3, vcc
	v_add_u32_e32 v3, v2, v6
	v_ashrrev_i32_e32 v3, 4, v3
	v_cmp_gt_i32_e32 vcc, s38, v2
	v_cndmask_b32_e32 v2, v7, v3, vcc
	v_ashrrev_i32_e32 v3, 31, v2
	v_lshlrev_b64 v[2:3], 2, v[2:3]
	v_mov_b32_e32 v9, s17
	v_add_co_u32_e32 v8, vcc, s16, v2
	v_or_b32_e32 v2, 32, v1
	v_addc_co_u32_e32 v9, vcc, v9, v3, vcc
	v_add_u32_e32 v3, v2, v6
	v_ashrrev_i32_e32 v3, 4, v3
	v_cmp_gt_i32_e32 vcc, s38, v2
	v_cndmask_b32_e32 v2, v7, v3, vcc
	v_ashrrev_i32_e32 v3, 31, v2
	;; [unrolled: 10-line block ×3, first 2 shown]
	v_lshlrev_b64 v[2:3], 2, v[2:3]
	v_mov_b32_e32 v1, s17
	v_add_co_u32_e32 v12, vcc, s16, v2
	v_addc_co_u32_e32 v13, vcc, v1, v3, vcc
	global_load_dword v3, v[4:5], off
	global_load_dword v2, v[8:9], off
	;; [unrolled: 1-line block ×4, first 2 shown]
	s_load_dwordx4 s[12:15], s[4:5], 0x8
	s_andn2_b64 vcc, exec, s[2:3]
	s_cbranch_vccnz .LBB336_8
; %bb.6:
	s_add_u32 s0, s0, s10
	s_addc_u32 s1, s1, s11
	s_load_dword s19, s[0:1], 0x0
	s_branch .LBB336_9
.LBB336_7:
	s_mov_b64 s[12:13], 0
	s_branch .LBB336_2
.LBB336_8:
	s_mov_b32 s19, s6
.LBB336_9:
	s_load_dwordx4 s[0:3], s[4:5], 0x48
	v_lshrrev_b32_e32 v85, 6, v0
	v_bfe_u32 v1, v0, 4, 2
	v_and_b32_e32 v83, 15, v0
	v_lshl_or_b32 v4, v85, 2, v1
	v_lshlrev_b32_e32 v5, 3, v83
	v_and_b32_e32 v86, 63, v0
	s_mul_i32 s27, s8, 13
	v_cmp_gt_u32_e32 vcc, 13, v4
	v_lshlrev_b32_e32 v5, 1, v5
	buffer_store_dword v5, off, s[44:47], 0 ; 4-byte Folded Spill
	s_and_saveexec_b64 s[10:11], vcc
	s_cbranch_execz .LBB336_11
; %bb.10:
	s_load_dwordx2 s[20:21], s[4:5], 0x0
	s_waitcnt lgkmcnt(0)
	s_ashr_i32 s3, s0, 31
	s_mul_hi_u32 s22, s19, s0
	s_mul_i32 s3, s19, s3
	s_add_i32 s23, s22, s3
	s_mul_i32 s22, s19, s0
	v_add_lshl_u32 v8, v4, s27, 7
	s_lshl_b64 s[22:23], s[22:23], 1
	v_ashrrev_i32_e32 v9, 31, v8
	s_add_u32 s0, s20, s22
	v_lshlrev_b64 v[8:9], 1, v[8:9]
	v_add_co_u32_e32 v7, vcc, s0, v8
	buffer_load_dword v8, off, s[44:47], 0  ; 4-byte Folded Reload
	s_addc_u32 s3, s21, s23
	v_mov_b32_e32 v5, s3
	v_addc_co_u32_e32 v5, vcc, v5, v9, vcc
	v_lshlrev_b32_e32 v4, 5, v4
	s_waitcnt vmcnt(0)
	v_add_co_u32_e32 v8, vcc, v7, v8
	v_addc_co_u32_e32 v9, vcc, 0, v5, vcc
	global_load_dwordx4 v[8:11], v[8:9], off
	v_and_b32_e32 v5, 3, v0
	v_lshlrev_b32_e32 v7, 9, v83
	v_lshlrev_b32_e32 v5, 9, v5
	v_and_b32_e32 v7, 0x1800, v7
	v_or3_b32 v4, v7, v5, v4
	s_waitcnt vmcnt(0)
	ds_write_b128 v4, v[8:11]
.LBB336_11:
	s_or_b64 exec, exec, s[10:11]
	s_waitcnt lgkmcnt(0)
	s_mul_i32 s2, s8, s2
	s_mov_b32 s3, 0
	s_lshl_b64 s[2:3], s[2:3], 1
	s_add_u32 s8, s12, s2
	v_lshlrev_b32_e32 v7, 4, v0
	s_addc_u32 s10, s13, s3
	v_and_b32_e32 v4, 0xf0, v7
	v_mov_b32_e32 v5, s10
	v_add_co_u32_e32 v29, vcc, s8, v4
	v_addc_co_u32_e32 v30, vcc, 0, v5, vcc
	s_waitcnt vmcnt(4)
	v_mad_i64_i32 v[4:5], s[10:11], v3, s1, 0
	v_lshlrev_b64 v[4:5], 1, v[4:5]
	v_add_co_u32_e32 v3, vcc, v29, v4
	v_addc_co_u32_e32 v4, vcc, v30, v5, vcc
	v_and_b32_e32 v31, 0x300, v7
	v_add_co_u32_e32 v22, vcc, v3, v31
	v_addc_co_u32_e32 v23, vcc, 0, v4, vcc
	s_load_dword s33, s[4:5], 0x98
	s_load_dword s0, s[4:5], 0x1c
	s_waitcnt lgkmcnt(0)
	s_barrier
	global_load_dwordx4 v[10:13], v[22:23], off
	global_load_dwordx4 v[18:21], v[22:23], off offset:1024
	s_waitcnt vmcnt(5)
	v_mad_i64_i32 v[2:3], s[10:11], v2, s1, 0
	v_lshlrev_b64 v[2:3], 1, v[2:3]
	v_add_co_u32_e32 v2, vcc, v29, v2
	v_addc_co_u32_e32 v3, vcc, v30, v3, vcc
	v_add_co_u32_e32 v24, vcc, v2, v31
	v_addc_co_u32_e32 v25, vcc, 0, v3, vcc
	global_load_dwordx4 v[14:17], v[24:25], off
	global_load_dwordx4 v[38:41], v[24:25], off offset:1024
	v_add_u32_e32 v2, -13, v83
	v_cmp_gt_u32_e32 vcc, 13, v83
	v_cndmask_b32_e32 v2, v2, v83, vcc
	v_lshlrev_b32_e32 v2, 5, v2
	v_lshl_add_u32 v32, v1, 9, v2
	ds_read_b128 v[2:5], v32
	s_waitcnt vmcnt(6)
	v_mad_i64_i32 v[6:7], s[10:11], v6, s1, 0
	v_lshlrev_b64 v[26:27], 1, v[6:7]
	ds_read_b128 v[6:9], v32 offset:2048
	v_and_or_b32 v62, v0, 48, s9
	v_mov_b32_e32 v63, s18
	v_mov_b32_e32 v68, s17
	s_add_u32 s8, s14, s2
	v_lshl_or_b32 v87, v85, 4, v83
	v_lshlrev_b32_e32 v76, 5, v87
	s_mov_b32 s40, 0xff7fffff
	s_waitcnt vmcnt(3) lgkmcnt(1)
	v_mfma_f32_16x16x16bf16_1k v[34:37], v[10:11], v[2:3], 0
	v_add_co_u32_e32 v10, vcc, v29, v26
	v_addc_co_u32_e32 v11, vcc, v30, v27, vcc
	v_add_co_u32_e32 v26, vcc, v10, v31
	v_addc_co_u32_e32 v27, vcc, 0, v11, vcc
	global_load_dwordx4 v[46:49], v[26:27], off
	global_load_dwordx4 v[58:61], v[26:27], off offset:1024
	s_waitcnt vmcnt(3)
	v_mfma_f32_16x16x16bf16_1k v[42:45], v[14:15], v[2:3], 0
	v_cmp_gt_i32_e32 vcc, s38, v62
	v_mfma_f32_16x16x16bf16_1k v[14:17], v[16:17], v[4:5], v[42:45]
	s_nop 7
	s_nop 0
	global_load_dwordx4 v[42:45], v[22:23], off offset:2048
	v_mfma_f32_16x16x16bf16_1k v[10:13], v[12:13], v[4:5], v[34:37]
	s_waitcnt vmcnt(3) lgkmcnt(0)
	v_mfma_f32_16x16x16bf16_1k v[14:17], v[38:39], v[6:7], v[14:17]
	v_mfma_f32_16x16x16bf16_1k v[10:13], v[18:19], v[6:7], v[10:13]
	;; [unrolled: 1-line block ×3, first 2 shown]
	global_load_dwordx4 v[38:41], v[22:23], off offset:3072
	v_mfma_f32_16x16x16bf16_1k v[18:21], v[20:21], v[8:9], v[10:13]
	s_waitcnt vmcnt(3)
	v_mfma_f32_16x16x16bf16_1k v[50:53], v[46:47], v[2:3], 0
	v_mfma_f32_16x16x16bf16_1k v[34:37], v[48:49], v[4:5], v[50:53]
	global_load_dwordx4 v[46:49], v[24:25], off offset:2048
	s_nop 3
	ds_read_b128 v[10:13], v32 offset:4096
	s_nop 3
	ds_read_b128 v[50:53], v32 offset:6144
	global_load_dwordx4 v[22:25], v[24:25], off offset:3072
	v_mad_i64_i32 v[32:33], s[10:11], v28, s1, 0
	v_mov_b32_e32 v28, s17
	s_addc_u32 s10, s15, s3
	s_waitcnt vmcnt(3) lgkmcnt(1)
	v_mfma_f32_16x16x16bf16_1k v[18:21], v[42:43], v[10:11], v[18:21]
	v_mfma_f32_16x16x16bf16_1k v[18:21], v[44:45], v[12:13], v[18:21]
	global_load_dwordx4 v[42:45], v[26:27], off offset:2048
	s_waitcnt vmcnt(3) lgkmcnt(0)
	v_mfma_f32_16x16x16bf16_1k v[18:21], v[38:39], v[50:51], v[18:21]
	v_or_b32_e32 v38, 64, v62
	v_ashrrev_i32_e32 v39, 4, v38
	v_mfma_f32_16x16x16bf16_1k v[54:57], v[40:41], v[52:53], v[18:21]
	s_waitcnt vmcnt(2)
	v_mfma_f32_16x16x16bf16_1k v[14:17], v[46:47], v[10:11], v[14:17]
	v_mfma_f32_16x16x16bf16_1k v[14:17], v[48:49], v[12:13], v[14:17]
	global_load_dwordx4 v[46:49], v[26:27], off offset:3072
	v_lshlrev_b64 v[26:27], 1, v[32:33]
	v_ashrrev_i32_e32 v32, 4, v62
	v_cndmask_b32_e32 v32, v63, v32, vcc
	v_ashrrev_i32_e32 v33, 31, v32
	v_cmp_gt_i32_e32 vcc, s38, v38
	v_cndmask_b32_e32 v38, v63, v39, vcc
	s_waitcnt vmcnt(2)
	v_mfma_f32_16x16x16bf16_1k v[14:17], v[22:23], v[50:51], v[14:17]
	v_lshlrev_b64 v[22:23], 2, v[32:33]
	v_add_co_u32_e32 v22, vcc, s16, v22
	v_addc_co_u32_e32 v23, vcc, v28, v23, vcc
	v_add_co_u32_e32 v18, vcc, v29, v26
	v_addc_co_u32_e32 v19, vcc, v30, v27, vcc
	;; [unrolled: 2-line block ×3, first 2 shown]
	v_mfma_f32_16x16x16bf16_1k v[64:67], v[24:25], v[52:53], v[14:17]
	global_load_dword v30, v[22:23], off
	v_ashrrev_i32_e32 v39, 31, v38
	v_lshlrev_b64 v[32:33], 2, v[38:39]
	v_add_co_u32_e32 v18, vcc, s16, v32
	v_addc_co_u32_e32 v19, vcc, v68, v33, vcc
	s_nop 1
	global_load_dwordx4 v[14:17], v[26:27], off
	global_load_dword v31, v[18:19], off
	s_nop 0
	global_load_dwordx4 v[18:21], v[26:27], off offset:1024
	global_load_dwordx4 v[68:71], v[26:27], off offset:2048
	;; [unrolled: 1-line block ×3, first 2 shown]
	v_mfma_f32_16x16x16bf16_1k v[22:25], v[58:59], v[6:7], v[34:37]
	v_or_b32_e32 v28, 0x80, v62
	v_ashrrev_i32_e32 v29, 4, v28
	v_cmp_gt_i32_e32 vcc, s38, v28
	v_cndmask_b32_e32 v28, v63, v29, vcc
	v_ashrrev_i32_e32 v29, 31, v28
	v_lshlrev_b64 v[28:29], 2, v[28:29]
	v_mov_b32_e32 v32, s17
	v_mfma_f32_16x16x16bf16_1k v[22:25], v[60:61], v[8:9], v[22:25]
	v_add_co_u32_e32 v28, vcc, s16, v28
	v_addc_co_u32_e32 v29, vcc, v32, v29, vcc
	global_load_dword v32, v[28:29], off
	v_or_b32_e32 v28, 0xc0, v62
	v_ashrrev_i32_e32 v29, 4, v28
	v_cmp_gt_i32_e32 vcc, s38, v28
	v_cndmask_b32_e32 v28, v63, v29, vcc
	v_ashrrev_i32_e32 v29, 31, v28
	v_lshlrev_b64 v[28:29], 2, v[28:29]
	s_waitcnt vmcnt(8)
	v_mfma_f32_16x16x16bf16_1k v[22:25], v[42:43], v[10:11], v[22:25]
	v_mov_b32_e32 v33, s17
	v_add_co_u32_e32 v28, vcc, s16, v28
	v_addc_co_u32_e32 v29, vcc, v33, v29, vcc
	global_load_dword v58, v[28:29], off
	v_mov_b32_e32 v26, s10
	v_mfma_f32_16x16x16bf16_1k v[22:25], v[44:45], v[12:13], v[22:25]
	v_add_co_u32_e32 v77, vcc, s8, v76
	v_addc_co_u32_e32 v78, vcc, 0, v26, vcc
	v_pk_mul_f32 v[80:81], s[0:1], v[66:67] op_sel_hi:[0,1]
	s_waitcnt vmcnt(8)
	v_mfma_f32_16x16x16bf16_1k v[22:25], v[46:47], v[50:51], v[22:25]
	v_mfma_f32_16x16x16bf16_1k v[88:91], v[48:49], v[52:53], v[22:25]
	s_waitcnt vmcnt(7)
	s_nop 7
	s_nop 0
	v_mad_i64_i32 v[22:23], s[2:3], v30, s1, 0
	v_lshlrev_b64 v[62:63], 1, v[22:23]
	s_waitcnt vmcnt(6)
	v_mfma_f32_16x16x16bf16_1k v[22:25], v[14:15], v[2:3], 0
	v_add_co_u32_e32 v2, vcc, v77, v62
	v_addc_co_u32_e32 v3, vcc, v78, v63, vcc
	global_load_dwordx4 v[46:49], v[2:3], off
	global_load_dwordx4 v[42:45], v[2:3], off offset:16
	s_waitcnt vmcnt(7)
	v_mad_i64_i32 v[2:3], s[2:3], v31, s1, 0
	v_lshlrev_b64 v[14:15], 1, v[2:3]
	v_mfma_f32_16x16x16bf16_1k v[2:5], v[16:17], v[4:5], v[22:25]
	v_add_co_u32_e32 v16, vcc, v77, v14
	v_addc_co_u32_e32 v17, vcc, v78, v15, vcc
	global_load_dwordx4 v[38:41], v[16:17], off
	global_load_dwordx4 v[34:37], v[16:17], off offset:16
	s_waitcnt vmcnt(5)
	v_mad_i64_i32 v[16:17], s[2:3], v32, s1, 0
	v_mfma_f32_16x16x16bf16_1k v[2:5], v[18:19], v[6:7], v[2:5]
	v_lshlrev_b64 v[60:61], 1, v[16:17]
	v_add_co_u32_e32 v6, vcc, v77, v60
	v_addc_co_u32_e32 v7, vcc, v78, v61, vcc
	global_load_dwordx4 v[30:33], v[6:7], off
	global_load_dwordx4 v[26:29], v[6:7], off offset:16
	s_waitcnt vmcnt(6)
	v_mad_i64_i32 v[6:7], s[2:3], v58, s1, 0
	v_mfma_f32_16x16x16bf16_1k v[2:5], v[20:21], v[8:9], v[2:5]
	v_lshlrev_b64 v[58:59], 1, v[6:7]
	v_add_co_u32_e32 v6, vcc, v77, v58
	v_addc_co_u32_e32 v7, vcc, v78, v59, vcc
	global_load_dwordx4 v[22:25], v[6:7], off
	global_load_dwordx4 v[18:21], v[6:7], off offset:16
	v_or_b32_e32 v6, 0x800, v76
	v_mfma_f32_16x16x16bf16_1k v[2:5], v[68:69], v[10:11], v[2:5]
	v_mov_b32_e32 v7, s10
	v_add_co_u32_e32 v68, vcc, s8, v6
	v_addc_co_u32_e32 v69, vcc, 0, v7, vcc
	v_pk_mul_f32 v[78:79], s[0:1], v[56:57] op_sel_hi:[0,1]
	v_pk_mul_f32 v[76:77], s[0:1], v[90:91] op_sel_hi:[0,1]
	v_mfma_f32_16x16x16bf16_1k v[10:13], v[70:71], v[12:13], v[2:5]
	v_pk_mul_f32 v[70:71], s[0:1], v[64:65] op_sel_hi:[0,1]
	v_mfma_f32_16x16x16bf16_1k v[92:95], v[72:73], v[50:51], v[10:13]
	s_nop 4
	v_add_co_u32_e32 v2, vcc, v68, v62
	v_addc_co_u32_e32 v3, vcc, v69, v63, vcc
	v_add_co_u32_e32 v62, vcc, v68, v14
	v_addc_co_u32_e32 v63, vcc, v69, v15, vcc
	v_mfma_f32_16x16x16bf16_1k v[50:53], v[74:75], v[52:53], v[92:95]
	global_load_dwordx4 v[6:9], v[2:3], off
	s_nop 0
	global_load_dwordx4 v[2:5], v[2:3], off offset:16
	s_nop 0
	global_load_dwordx4 v[14:17], v[62:63], off
	global_load_dwordx4 v[10:13], v[62:63], off offset:16
	v_pk_mul_f32 v[62:63], s[0:1], v[54:55] op_sel_hi:[0,1]
	v_pk_mul_f32 v[72:73], s[0:1], v[88:89] op_sel_hi:[0,1]
	s_nop 2
	v_pk_mul_f32 v[74:75], s[0:1], v[50:51] op_sel_hi:[0,1]
	v_and_b32_e32 v50, 0xc0, v0
	v_add_u32_e32 v50, s9, v50
	v_lshl_or_b32 v50, v1, 2, v50
	v_pk_mul_f32 v[66:67], s[0:1], v[52:53] op_sel_hi:[0,1]
	v_or_b32_e32 v53, 1, v50
	v_mov_b32_e32 v51, 0xff7fffff
	v_cmp_gt_i32_e64 s[28:29], s38, v50
	v_cmp_gt_i32_e64 s[30:31], s38, v53
	v_cndmask_b32_e64 v52, v51, v62, s[28:29]
	v_cndmask_b32_e64 v53, v51, v63, s[30:31]
	v_max3_f32 v52, v52, s40, v53
	v_or_b32_e32 v53, 2, v50
	v_or_b32_e32 v54, 3, v50
	v_cmp_gt_i32_e64 s[34:35], s38, v53
	v_cmp_gt_i32_e64 s[36:37], s38, v54
	v_cndmask_b32_e64 v53, v51, v78, s[34:35]
	v_cndmask_b32_e64 v54, v51, v79, s[36:37]
	v_max3_f32 v52, v52, v53, v54
	v_or_b32_e32 v53, 16, v50
	v_or_b32_e32 v54, 17, v50
	;; [unrolled: 7-line block ×7, first 2 shown]
	v_cmp_gt_i32_e32 vcc, s38, v53
	v_cmp_gt_i32_e64 s[0:1], s38, v50
	v_cndmask_b32_e32 v53, v51, v66, vcc
	v_cndmask_b32_e64 v50, v51, v67, s[0:1]
	v_max3_f32 v64, v52, v53, v50
	v_mbcnt_lo_u32_b32 v50, -1, 0
	v_mbcnt_hi_u32_b32 v65, -1, v50
	v_and_b32_e32 v50, 64, v65
	v_add_u32_e32 v88, 64, v50
	v_xor_b32_e32 v50, 32, v65
	v_cmp_lt_i32_e64 s[38:39], v50, v88
	v_cndmask_b32_e64 v50, v65, v50, s[38:39]
	v_lshlrev_b32_e32 v89, 2, v50
	ds_bpermute_b32 v90, v89, v64
	v_add_co_u32_e64 v50, s[38:39], v68, v60
	v_addc_co_u32_e64 v51, s[38:39], v69, v61, s[38:39]
	v_xor_b32_e32 v61, 16, v65
	v_cmp_lt_i32_e64 s[38:39], v61, v88
	s_waitcnt lgkmcnt(0)
	v_max_f32_e32 v60, v90, v90
	v_cndmask_b32_e64 v61, v65, v61, s[38:39]
	v_max_f32_e32 v60, v64, v60
	v_lshlrev_b32_e32 v90, 2, v61
	ds_bpermute_b32 v61, v90, v60
	v_add_co_u32_e64 v58, s[38:39], v68, v58
	v_addc_co_u32_e64 v59, s[38:39], v69, v59, s[38:39]
	s_waitcnt lgkmcnt(0)
	v_max_f32_e32 v61, v61, v61
	v_max_f32_e32 v88, v60, v61
	v_sub_f32_e32 v60, v62, v88
	v_mul_f32_e32 v60, 0x3fb8aa3b, v60
	v_exp_f32_e32 v68, v60
	v_sub_f32_e32 v60, v63, v88
	v_mul_f32_e32 v60, 0x3fb8aa3b, v60
	global_load_dwordx4 v[54:57], v[50:51], off
	s_nop 0
	global_load_dwordx4 v[50:53], v[50:51], off offset:16
	v_exp_f32_e32 v69, v60
	global_load_dwordx4 v[62:65], v[58:59], off
	s_nop 0
	global_load_dwordx4 v[58:61], v[58:59], off offset:16
	v_sub_f32_e32 v78, v78, v88
	v_mul_f32_e32 v78, 0x3fb8aa3b, v78
	v_sub_f32_e32 v79, v79, v88
	v_exp_f32_e32 v78, v78
	v_mul_f32_e32 v79, 0x3fb8aa3b, v79
	v_sub_f32_e32 v70, v70, v88
	v_exp_f32_e32 v79, v79
	v_mul_f32_e32 v70, 0x3fb8aa3b, v70
	v_sub_f32_e32 v71, v71, v88
	v_cndmask_b32_e64 v68, 0, v68, s[28:29]
	v_exp_f32_e32 v70, v70
	v_mul_f32_e32 v71, 0x3fb8aa3b, v71
	v_sub_f32_e32 v80, v80, v88
	v_add_f32_e32 v91, 0, v68
	v_cndmask_b32_e64 v69, 0, v69, s[30:31]
	v_exp_f32_e32 v71, v71
	v_mul_f32_e32 v80, 0x3fb8aa3b, v80
	v_sub_f32_e32 v81, v81, v88
	v_add_f32_e32 v91, v91, v69
	;; [unrolled: 5-line block ×10, first 2 shown]
	v_cndmask_b32_e64 v76, 0, v76, s[10:11]
	v_exp_f32_e32 v66, v66
	v_mul_f32_e32 v67, 0x3fb8aa3b, v67
	v_add_f32_e32 v91, v91, v76
	v_cndmask_b32_e64 v77, 0, v77, s[12:13]
	v_exp_f32_e32 v67, v67
	v_add_f32_e32 v91, v91, v77
	v_cndmask_b32_e64 v74, 0, v74, s[2:3]
	v_add_f32_e32 v91, v91, v74
	v_cndmask_b32_e64 v75, 0, v75, s[8:9]
	v_add_f32_e32 v91, v91, v75
	v_cndmask_b32_e32 v66, 0, v66, vcc
	v_add_f32_e32 v91, v91, v66
	v_cndmask_b32_e64 v67, 0, v67, s[0:1]
	v_add_f32_e32 v91, v91, v67
	ds_bpermute_b32 v89, v89, v91
	v_cmp_gt_u32_e64 s[0:1], 16, v86
	s_waitcnt lgkmcnt(0)
	s_barrier
	v_add_f32_e32 v89, v91, v89
	ds_bpermute_b32 v90, v90, v89
	s_and_saveexec_b64 s[2:3], s[0:1]
	s_cbranch_execz .LBB336_13
; %bb.12:
	s_waitcnt lgkmcnt(0)
	v_add_f32_e32 v86, v89, v90
	v_lshlrev_b32_e32 v87, 2, v87
	ds_write2st64_b32 v87, v88, v86 offset1:1
.LBB336_13:
	s_or_b64 exec, exec, s[2:3]
	v_lshlrev_b32_e32 v87, 2, v83
	s_load_dword s8, s[4:5], 0x94
	s_waitcnt lgkmcnt(0)
	s_barrier
	ds_read2_b32 v[88:89], v87 offset1:16
	ds_read2_b32 v[90:91], v87 offset0:32 offset1:48
	ds_read2_b32 v[92:93], v87 offset0:64 offset1:80
	s_movk_i32 s10, 0x7fff
	s_mov_b32 s11, 0x7060302
	s_waitcnt lgkmcnt(2)
	v_max3_f32 v86, v88, s40, v89
	s_waitcnt lgkmcnt(1)
	v_max3_f32 v86, v86, v90, v91
	v_sub_f32_e32 v88, v88, v86
	v_mul_f32_e32 v88, 0x3fb8aa3b, v88
	v_exp_f32_e32 v94, v88
	v_sub_f32_e32 v88, v89, v86
	v_mul_f32_e32 v88, 0x3fb8aa3b, v88
	v_exp_f32_e32 v95, v88
	;; [unrolled: 3-line block ×3, first 2 shown]
	ds_read2_b32 v[88:89], v87 offset0:96 offset1:112
	v_sub_f32_e32 v87, v91, v86
	v_mul_f32_e32 v87, 0x3fb8aa3b, v87
	v_exp_f32_e32 v91, v87
	s_waitcnt lgkmcnt(1)
	v_fma_f32 v87, v94, v92, 0
	v_fmac_f32_e32 v87, v95, v93
	s_waitcnt lgkmcnt(0)
	v_fmac_f32_e32 v87, v90, v88
	v_fmac_f32_e32 v87, v91, v89
	v_add_f32_e32 v88, 0x358637bd, v87
	v_div_scale_f32 v89, s[2:3], v88, v88, 1.0
	v_rcp_f32_e32 v92, v89
	s_barrier
	v_fma_f32 v93, -v89, v92, 1.0
	v_fmac_f32_e32 v92, v93, v92
	v_div_scale_f32 v93, vcc, 1.0, v88, 1.0
	v_mul_f32_e32 v82, v93, v92
	v_fma_f32 v84, -v89, v82, v93
	v_fmac_f32_e32 v82, v84, v92
	v_fma_f32 v84, -v89, v82, v93
	v_div_fmas_f32 v82, v84, v92, v82
	v_cmp_eq_u32_e32 vcc, 1, v85
	v_cndmask_b32_e32 v84, v94, v95, vcc
	v_cmp_eq_u32_e32 vcc, 2, v85
	v_cndmask_b32_e32 v84, v84, v90, vcc
	v_cmp_eq_u32_e32 vcc, 3, v85
	v_div_fixup_f32 v82, v82, v88, 1.0
	v_cndmask_b32_e32 v84, v84, v91, vcc
	v_mul_f32_e32 v88, v84, v82
	v_pk_mul_f32 v[68:69], v[88:89], v[68:69] op_sel_hi:[0,1]
	v_bfe_u32 v82, v69, 16, 1
	v_bfe_u32 v84, v68, 16, 1
	v_pk_mul_f32 v[78:79], v[88:89], v[78:79] op_sel_hi:[0,1]
	v_add3_u32 v68, v68, v84, s10
	v_add3_u32 v69, v69, v82, s10
	v_perm_b32 v90, v69, v68, s11
	v_bfe_u32 v68, v79, 16, 1
	v_bfe_u32 v69, v78, 16, 1
	v_add3_u32 v69, v78, v69, s10
	v_add3_u32 v68, v79, v68, s10
	v_perm_b32 v91, v68, v69, s11
	v_lshlrev_b32_e32 v69, 3, v1
	v_lshlrev_b32_e32 v68, 5, v83
	v_lshlrev_b32_e32 v78, 11, v85
	v_pk_mul_f32 v[70:71], v[88:89], v[70:71] op_sel_hi:[0,1]
	v_or3_b32 v78, v78, v68, v69
	v_bfe_u32 v69, v71, 16, 1
	v_bfe_u32 v79, v70, 16, 1
	v_pk_mul_f32 v[80:81], v[88:89], v[80:81] op_sel_hi:[0,1]
	v_add3_u32 v70, v70, v79, s10
	v_add3_u32 v69, v71, v69, s10
	v_perm_b32 v70, v69, v70, s11
	v_bfe_u32 v69, v81, 16, 1
	v_bfe_u32 v71, v80, 16, 1
	v_add3_u32 v71, v80, v71, s10
	v_add3_u32 v69, v81, v69, s10
	v_perm_b32 v71, v69, v71, s11
	v_pk_mul_f32 v[72:73], v[88:89], v[72:73] op_sel_hi:[0,1]
	ds_write2st64_b64 v78, v[90:91], v[70:71] offset1:1
	v_pk_mul_f32 v[70:71], v[88:89], v[76:77] op_sel_hi:[0,1]
	v_bfe_u32 v69, v73, 16, 1
	v_bfe_u32 v76, v72, 16, 1
	v_add3_u32 v72, v72, v76, s10
	v_add3_u32 v69, v73, v69, s10
	v_perm_b32 v72, v69, v72, s11
	v_bfe_u32 v69, v71, 16, 1
	v_bfe_u32 v73, v70, 16, 1
	v_add3_u32 v70, v70, v73, s10
	v_add3_u32 v69, v71, v69, s10
	v_perm_b32 v73, v69, v70, s11
	v_pk_mul_f32 v[70:71], v[88:89], v[74:75] op_sel_hi:[0,1]
	v_bfe_u32 v69, v71, 16, 1
	v_bfe_u32 v74, v70, 16, 1
	v_pk_mul_f32 v[66:67], v[88:89], v[66:67] op_sel_hi:[0,1]
	v_add3_u32 v70, v70, v74, s10
	v_add3_u32 v69, v71, v69, s10
	v_perm_b32 v70, v69, v70, s11
	v_bfe_u32 v69, v67, 16, 1
	v_bfe_u32 v71, v66, 16, 1
	v_add3_u32 v66, v66, v71, s10
	v_add3_u32 v67, v67, v69, s10
	s_mul_i32 s9, s33, 13
	v_perm_b32 v71, v67, v66, s11
	v_cmp_gt_u32_e32 vcc, 13, v0
	ds_write2st64_b64 v78, v[72:73], v[70:71] offset0:2 offset1:3
	s_and_saveexec_b64 s[2:3], vcc
	s_cbranch_execz .LBB336_15
; %bb.14:
	v_add_co_u32_e32 v70, vcc, s27, v83
	v_addc_co_u32_e64 v71, s[16:17], 0, 0, vcc
	v_mov_b32_e32 v66, s9
	v_mov_b32_e32 v67, 0
	v_mad_u64_u32 v[70:71], s[16:17], s6, v66, v[70:71]
	v_mov_b32_e32 v66, s26
	s_load_dwordx4 s[12:15], s[4:5], 0x58
	s_mul_i32 s7, s7, s9
	v_mad_u64_u32 v[66:67], s[16:17], v70, s8, v[66:67]
	v_add_u32_e32 v69, s7, v71
	v_mov_b32_e32 v70, v67
	v_mad_u64_u32 v[70:71], s[16:17], v69, s8, v[70:71]
	v_mov_b32_e32 v67, v70
	v_lshlrev_b64 v[66:67], 2, v[66:67]
	s_waitcnt lgkmcnt(0)
	v_mov_b32_e32 v69, s15
	v_add_co_u32_e32 v70, vcc, s14, v66
	v_addc_co_u32_e32 v71, vcc, v69, v67, vcc
	v_mov_b32_e32 v69, s13
	v_add_co_u32_e32 v66, vcc, s12, v66
	v_addc_co_u32_e32 v67, vcc, v69, v67, vcc
	global_store_dword v[70:71], v86, off
	global_store_dword v[66:67], v87, off
.LBB336_15:
	s_or_b64 exec, exec, s[2:3]
	v_lshl_or_b32 v79, v1, 9, v68
	s_waitcnt lgkmcnt(0)
	s_barrier
	ds_read_b128 v[70:73], v79
	ds_read_b128 v[66:69], v79 offset:16
	s_waitcnt vmcnt(15) lgkmcnt(1)
	v_mfma_f32_16x16x16bf16_1k v[74:77], v[46:47], v[70:71], 0
	s_mov_b32 s3, 0
	v_cmp_gt_u32_e32 vcc, 64, v0
	v_mfma_f32_16x16x16bf16_1k v[46:49], v[48:49], v[72:73], v[74:77]
	s_waitcnt vmcnt(14) lgkmcnt(0)
	v_mfma_f32_16x16x16bf16_1k v[46:49], v[42:43], v[66:67], v[46:49]
	v_mfma_f32_16x16x16bf16_1k v[42:45], v[44:45], v[68:69], v[46:49]
	s_nop 7
	s_nop 1
	ds_read_b128 v[46:49], v79 offset:2048
	ds_read_b128 v[74:77], v79 offset:2064
	s_waitcnt vmcnt(13) lgkmcnt(1)
	v_mfma_f32_16x16x16bf16_1k v[42:45], v[38:39], v[46:47], v[42:45]
	v_mfma_f32_16x16x16bf16_1k v[38:41], v[40:41], v[48:49], v[42:45]
	s_waitcnt vmcnt(12) lgkmcnt(0)
	v_mfma_f32_16x16x16bf16_1k v[38:41], v[34:35], v[74:75], v[38:41]
	v_mfma_f32_16x16x16bf16_1k v[34:37], v[36:37], v[76:77], v[38:41]
	s_nop 7
	s_nop 1
	ds_read_b128 v[38:41], v79 offset:4096
	ds_read_b128 v[42:45], v79 offset:4112
	s_waitcnt vmcnt(11) lgkmcnt(1)
	v_mfma_f32_16x16x16bf16_1k v[34:37], v[30:31], v[38:39], v[34:37]
	v_mfma_f32_16x16x16bf16_1k v[30:33], v[32:33], v[40:41], v[34:37]
	s_waitcnt vmcnt(10) lgkmcnt(0)
	v_mfma_f32_16x16x16bf16_1k v[30:33], v[26:27], v[42:43], v[30:33]
	v_mfma_f32_16x16x16bf16_1k v[26:29], v[28:29], v[44:45], v[30:33]
	s_nop 7
	s_nop 1
	ds_read_b128 v[30:33], v79 offset:6144
	ds_read_b128 v[34:37], v79 offset:6160
	s_waitcnt lgkmcnt(0)
	s_barrier
	s_waitcnt vmcnt(9)
	v_mfma_f32_16x16x16bf16_1k v[26:29], v[22:23], v[30:31], v[26:29]
	v_mfma_f32_16x16x16bf16_1k v[22:25], v[24:25], v[32:33], v[26:29]
	s_waitcnt vmcnt(8)
	v_mfma_f32_16x16x16bf16_1k v[22:25], v[18:19], v[34:35], v[22:25]
	v_mfma_f32_16x16x16bf16_1k v[18:21], v[20:21], v[36:37], v[22:25]
	;; [unrolled: 3-line block ×4, first 2 shown]
	s_waitcnt vmcnt(5)
	v_mfma_f32_16x16x16bf16_1k v[2:5], v[14:15], v[46:47], v[2:5]
	s_nop 7
	v_bfe_u32 v6, v19, 16, 1
	v_bfe_u32 v7, v18, 16, 1
	v_add3_u32 v7, v18, v7, s10
	v_add3_u32 v6, v19, v6, s10
	v_perm_b32 v6, v6, v7, s11
	v_bfe_u32 v7, v21, 16, 1
	v_bfe_u32 v8, v20, 16, 1
	v_mfma_f32_16x16x16bf16_1k v[2:5], v[16:17], v[48:49], v[2:5]
	v_add3_u32 v8, v20, v8, s10
	v_add3_u32 v7, v21, v7, s10
	v_perm_b32 v7, v7, v8, s11
	s_waitcnt vmcnt(4)
	v_mfma_f32_16x16x16bf16_1k v[2:5], v[10:11], v[74:75], v[2:5]
	v_mfma_f32_16x16x16bf16_1k v[2:5], v[12:13], v[76:77], v[2:5]
	s_waitcnt vmcnt(3)
	v_mfma_f32_16x16x16bf16_1k v[2:5], v[54:55], v[38:39], v[2:5]
	v_mfma_f32_16x16x16bf16_1k v[2:5], v[56:57], v[40:41], v[2:5]
	;; [unrolled: 3-line block ×5, first 2 shown]
	s_nop 7
	s_nop 2
	v_bfe_u32 v8, v3, 16, 1
	v_bfe_u32 v9, v2, 16, 1
	v_add3_u32 v2, v2, v9, s10
	v_add3_u32 v3, v3, v8, s10
	v_perm_b32 v2, v3, v2, s11
	v_bfe_u32 v3, v5, 16, 1
	v_bfe_u32 v8, v4, 16, 1
	v_add3_u32 v4, v4, v8, s10
	v_add3_u32 v3, v5, v3, s10
	v_perm_b32 v3, v3, v4, s11
	ds_write2st64_b64 v78, v[6:7], v[2:3] offset1:1
	s_waitcnt lgkmcnt(0)
	s_barrier
	s_and_saveexec_b64 s[10:11], vcc
	s_cbranch_execz .LBB336_18
; %bb.16:
	v_lshlrev_b32_e32 v4, 6, v83
	v_lshlrev_b32_e32 v3, 4, v0
	v_lshl_or_b32 v0, v0, 10, v4
	v_lshlrev_b32_e32 v2, 5, v1
	v_and_b32_e32 v3, 16, v3
	v_and_b32_e32 v0, 0x1a00, v0
	v_or3_b32 v0, v0, v2, v3
	buffer_load_dword v2, off, s[44:47], 0  ; 4-byte Folded Reload
	s_load_dwordx2 s[10:11], s[4:5], 0x68
	s_lshl_b32 s4, s8, 7
	s_mul_i32 s2, s9, s6
	s_mul_hi_u32 s7, s2, s4
	s_mul_i32 s6, s2, s4
	s_lshl_b64 s[6:7], s[6:7], 1
	s_waitcnt lgkmcnt(0)
	s_add_u32 s5, s10, s6
	s_addc_u32 s6, s11, s7
	s_lshl_b32 s2, s26, 7
	s_lshl_b64 s[2:3], s[2:3], 1
	s_add_u32 s2, s5, s2
	ds_read_b128 v[4:7], v0 offset:256
	s_addc_u32 s3, s6, s3
	ds_read_b128 v[8:11], v0 offset:128
	ds_read_b128 v[12:15], v0
	v_add_u32_e32 v18, s27, v1
	v_mov_b32_e32 v3, s3
	s_waitcnt vmcnt(0)
	v_add_co_u32_e32 v2, vcc, s2, v2
	v_mad_u64_u32 v[16:17], s[2:3], v18, s4, 0
	v_addc_co_u32_e32 v3, vcc, 0, v3, vcc
	v_lshlrev_b64 v[16:17], 1, v[16:17]
	v_add_co_u32_e32 v16, vcc, v2, v16
	v_addc_co_u32_e32 v17, vcc, v3, v17, vcc
	s_waitcnt lgkmcnt(0)
	global_store_dwordx4 v[16:17], v[12:15], off
	s_nop 0
	v_add_u32_e32 v12, 4, v18
	v_mad_u64_u32 v[12:13], s[2:3], v12, s4, 0
	v_lshlrev_b64 v[12:13], 1, v[12:13]
	v_add_co_u32_e32 v12, vcc, v2, v12
	v_addc_co_u32_e32 v13, vcc, v3, v13, vcc
	global_store_dwordx4 v[12:13], v[8:11], off
	s_nop 0
	v_add_u32_e32 v8, 8, v18
	v_mad_u64_u32 v[8:9], s[2:3], v8, s4, 0
	v_lshlrev_b64 v[8:9], 1, v[8:9]
	v_add_co_u32_e32 v8, vcc, v2, v8
	v_addc_co_u32_e32 v9, vcc, v3, v9, vcc
	global_store_dwordx4 v[8:9], v[4:7], off
	s_and_b64 exec, exec, s[0:1]
	s_cbranch_execz .LBB336_18
; %bb.17:
	ds_read_b128 v[4:7], v0 offset:384
	v_add3_u32 v0, s27, v1, 12
	v_mad_u64_u32 v[0:1], s[0:1], v0, s4, 0
	v_lshlrev_b64 v[0:1], 1, v[0:1]
	v_add_co_u32_e32 v0, vcc, v2, v0
	v_addc_co_u32_e32 v1, vcc, v3, v1, vcc
	s_waitcnt lgkmcnt(0)
	global_store_dwordx4 v[0:1], v[4:7], off
.LBB336_18:
	s_endpgm
	.section	.rodata,"a",@progbits
	.p2align	6, 0x0
	.amdhsa_kernel _Z39paged_attention_ll4mi_QKV_mfma16_kernelI14__hip_bfloat16S0_LN4vllm18Fp8KVCacheDataTypeE0ES0_Li16ELi128ELi256ELb0ELi13EL8MFMAType0EEvPKT_PKT0_S9_ifPKiSB_SB_iPKfiiiPfSE_PS4_PT2_iSD_SD_
		.amdhsa_group_segment_fixed_size 8192
		.amdhsa_private_segment_fixed_size 8
		.amdhsa_kernarg_size 400
		.amdhsa_user_sgpr_count 6
		.amdhsa_user_sgpr_private_segment_buffer 1
		.amdhsa_user_sgpr_dispatch_ptr 0
		.amdhsa_user_sgpr_queue_ptr 0
		.amdhsa_user_sgpr_kernarg_segment_ptr 1
		.amdhsa_user_sgpr_dispatch_id 0
		.amdhsa_user_sgpr_flat_scratch_init 0
		.amdhsa_user_sgpr_kernarg_preload_length 0
		.amdhsa_user_sgpr_kernarg_preload_offset 0
		.amdhsa_user_sgpr_private_segment_size 0
		.amdhsa_uses_dynamic_stack 0
		.amdhsa_system_sgpr_private_segment_wavefront_offset 1
		.amdhsa_system_sgpr_workgroup_id_x 1
		.amdhsa_system_sgpr_workgroup_id_y 1
		.amdhsa_system_sgpr_workgroup_id_z 1
		.amdhsa_system_sgpr_workgroup_info 0
		.amdhsa_system_vgpr_workitem_id 0
		.amdhsa_next_free_vgpr 96
		.amdhsa_next_free_sgpr 48
		.amdhsa_accum_offset 96
		.amdhsa_reserve_vcc 1
		.amdhsa_reserve_flat_scratch 0
		.amdhsa_float_round_mode_32 0
		.amdhsa_float_round_mode_16_64 0
		.amdhsa_float_denorm_mode_32 3
		.amdhsa_float_denorm_mode_16_64 3
		.amdhsa_dx10_clamp 1
		.amdhsa_ieee_mode 1
		.amdhsa_fp16_overflow 0
		.amdhsa_tg_split 0
		.amdhsa_exception_fp_ieee_invalid_op 0
		.amdhsa_exception_fp_denorm_src 0
		.amdhsa_exception_fp_ieee_div_zero 0
		.amdhsa_exception_fp_ieee_overflow 0
		.amdhsa_exception_fp_ieee_underflow 0
		.amdhsa_exception_fp_ieee_inexact 0
		.amdhsa_exception_int_div_zero 0
	.end_amdhsa_kernel
	.section	.text._Z39paged_attention_ll4mi_QKV_mfma16_kernelI14__hip_bfloat16S0_LN4vllm18Fp8KVCacheDataTypeE0ES0_Li16ELi128ELi256ELb0ELi13EL8MFMAType0EEvPKT_PKT0_S9_ifPKiSB_SB_iPKfiiiPfSE_PS4_PT2_iSD_SD_,"axG",@progbits,_Z39paged_attention_ll4mi_QKV_mfma16_kernelI14__hip_bfloat16S0_LN4vllm18Fp8KVCacheDataTypeE0ES0_Li16ELi128ELi256ELb0ELi13EL8MFMAType0EEvPKT_PKT0_S9_ifPKiSB_SB_iPKfiiiPfSE_PS4_PT2_iSD_SD_,comdat
.Lfunc_end336:
	.size	_Z39paged_attention_ll4mi_QKV_mfma16_kernelI14__hip_bfloat16S0_LN4vllm18Fp8KVCacheDataTypeE0ES0_Li16ELi128ELi256ELb0ELi13EL8MFMAType0EEvPKT_PKT0_S9_ifPKiSB_SB_iPKfiiiPfSE_PS4_PT2_iSD_SD_, .Lfunc_end336-_Z39paged_attention_ll4mi_QKV_mfma16_kernelI14__hip_bfloat16S0_LN4vllm18Fp8KVCacheDataTypeE0ES0_Li16ELi128ELi256ELb0ELi13EL8MFMAType0EEvPKT_PKT0_S9_ifPKiSB_SB_iPKfiiiPfSE_PS4_PT2_iSD_SD_
                                        ; -- End function
	.section	.AMDGPU.csdata,"",@progbits
; Kernel info:
; codeLenInByte = 4976
; NumSgprs: 52
; NumVgprs: 96
; NumAgprs: 0
; TotalNumVgprs: 96
; ScratchSize: 8
; MemoryBound: 0
; FloatMode: 240
; IeeeMode: 1
; LDSByteSize: 8192 bytes/workgroup (compile time only)
; SGPRBlocks: 6
; VGPRBlocks: 11
; NumSGPRsForWavesPerEU: 52
; NumVGPRsForWavesPerEU: 96
; AccumOffset: 96
; Occupancy: 5
; WaveLimiterHint : 1
; COMPUTE_PGM_RSRC2:SCRATCH_EN: 1
; COMPUTE_PGM_RSRC2:USER_SGPR: 6
; COMPUTE_PGM_RSRC2:TRAP_HANDLER: 0
; COMPUTE_PGM_RSRC2:TGID_X_EN: 1
; COMPUTE_PGM_RSRC2:TGID_Y_EN: 1
; COMPUTE_PGM_RSRC2:TGID_Z_EN: 1
; COMPUTE_PGM_RSRC2:TIDIG_COMP_CNT: 0
; COMPUTE_PGM_RSRC3_GFX90A:ACCUM_OFFSET: 23
; COMPUTE_PGM_RSRC3_GFX90A:TG_SPLIT: 0
	.section	.text._Z39paged_attention_ll4mi_QKV_mfma16_kernelI14__hip_bfloat16S0_LN4vllm18Fp8KVCacheDataTypeE0ES0_Li16ELi128ELi256ELb0ELi14EL8MFMAType0EEvPKT_PKT0_S9_ifPKiSB_SB_iPKfiiiPfSE_PS4_PT2_iSD_SD_,"axG",@progbits,_Z39paged_attention_ll4mi_QKV_mfma16_kernelI14__hip_bfloat16S0_LN4vllm18Fp8KVCacheDataTypeE0ES0_Li16ELi128ELi256ELb0ELi14EL8MFMAType0EEvPKT_PKT0_S9_ifPKiSB_SB_iPKfiiiPfSE_PS4_PT2_iSD_SD_,comdat
	.protected	_Z39paged_attention_ll4mi_QKV_mfma16_kernelI14__hip_bfloat16S0_LN4vllm18Fp8KVCacheDataTypeE0ES0_Li16ELi128ELi256ELb0ELi14EL8MFMAType0EEvPKT_PKT0_S9_ifPKiSB_SB_iPKfiiiPfSE_PS4_PT2_iSD_SD_ ; -- Begin function _Z39paged_attention_ll4mi_QKV_mfma16_kernelI14__hip_bfloat16S0_LN4vllm18Fp8KVCacheDataTypeE0ES0_Li16ELi128ELi256ELb0ELi14EL8MFMAType0EEvPKT_PKT0_S9_ifPKiSB_SB_iPKfiiiPfSE_PS4_PT2_iSD_SD_
	.globl	_Z39paged_attention_ll4mi_QKV_mfma16_kernelI14__hip_bfloat16S0_LN4vllm18Fp8KVCacheDataTypeE0ES0_Li16ELi128ELi256ELb0ELi14EL8MFMAType0EEvPKT_PKT0_S9_ifPKiSB_SB_iPKfiiiPfSE_PS4_PT2_iSD_SD_
	.p2align	8
	.type	_Z39paged_attention_ll4mi_QKV_mfma16_kernelI14__hip_bfloat16S0_LN4vllm18Fp8KVCacheDataTypeE0ES0_Li16ELi128ELi256ELb0ELi14EL8MFMAType0EEvPKT_PKT0_S9_ifPKiSB_SB_iPKfiiiPfSE_PS4_PT2_iSD_SD_,@function
_Z39paged_attention_ll4mi_QKV_mfma16_kernelI14__hip_bfloat16S0_LN4vllm18Fp8KVCacheDataTypeE0ES0_Li16ELi128ELi256ELb0ELi14EL8MFMAType0EEvPKT_PKT0_S9_ifPKiSB_SB_iPKfiiiPfSE_PS4_PT2_iSD_SD_: ; @_Z39paged_attention_ll4mi_QKV_mfma16_kernelI14__hip_bfloat16S0_LN4vllm18Fp8KVCacheDataTypeE0ES0_Li16ELi128ELi256ELb0ELi14EL8MFMAType0EEvPKT_PKT0_S9_ifPKiSB_SB_iPKfiiiPfSE_PS4_PT2_iSD_SD_
; %bb.0:
	s_mov_b64 s[46:47], s[2:3]
	s_mov_b64 s[44:45], s[0:1]
	s_load_dwordx2 s[0:1], s[4:5], 0x30
	s_add_u32 s44, s44, s9
	s_addc_u32 s45, s45, 0
	s_mov_b32 s26, s7
	s_mov_b64 s[10:11], 0
	s_waitcnt lgkmcnt(0)
	s_cmp_lg_u64 s[0:1], 0
	s_cselect_b64 s[2:3], -1, 0
	s_and_b64 vcc, exec, s[2:3]
	s_cbranch_vccz .LBB337_7
; %bb.1:
	s_add_i32 s12, s6, 1
	s_mov_b32 s13, 0
	s_lshl_b64 s[14:15], s[12:13], 2
	s_add_u32 s14, s0, s14
	s_mov_b32 s7, s13
	s_addc_u32 s15, s1, s15
	s_lshl_b64 s[12:13], s[6:7], 2
	s_add_u32 s12, s0, s12
	s_addc_u32 s13, s1, s13
	s_load_dword s9, s[14:15], 0x0
	s_load_dword s16, s[12:13], 0x0
	s_waitcnt lgkmcnt(0)
	s_sub_i32 s9, s9, s16
	s_cmp_eq_u32 s9, 1
	s_cselect_b64 s[12:13], -1, 0
	s_andn2_b64 vcc, exec, s[10:11]
	s_cbranch_vccnz .LBB337_3
.LBB337_2:
	s_mov_b32 s7, 0
	s_mov_b64 s[12:13], -1
.LBB337_3:
	s_andn2_b64 vcc, exec, s[12:13]
	s_cbranch_vccnz .LBB337_18
; %bb.4:
	s_load_dwordx2 s[12:13], s[4:5], 0x28
	s_lshl_b64 s[10:11], s[6:7], 2
	s_waitcnt lgkmcnt(0)
	s_add_u32 s12, s12, s10
	s_addc_u32 s13, s13, s11
	s_load_dword s38, s[12:13], 0x0
	s_lshl_b32 s9, s26, 8
	s_waitcnt lgkmcnt(0)
	s_cmp_ge_i32 s9, s38
	s_cbranch_scc1 .LBB337_18
; %bb.5:
	s_add_i32 s15, s38, 15
	s_load_dwordx2 s[12:13], s[4:5], 0x20
	s_load_dword s14, s[4:5], 0x38
	s_ashr_i32 s16, s15, 31
	v_and_b32_e32 v1, 0xcf, v0
	s_lshr_b32 s16, s16, 28
	v_add_u32_e32 v1, s9, v1
	s_add_i32 s15, s15, s16
	v_ashrrev_i32_e32 v2, 31, v1
	s_ashr_i32 s18, s15, 4
	v_lshrrev_b32_e32 v6, 28, v2
	s_add_i32 s18, s18, -1
	v_add_u32_e32 v2, v1, v6
	s_waitcnt lgkmcnt(0)
	s_mul_i32 s14, s6, s14
	s_mov_b32 s15, 0
	v_ashrrev_i32_e32 v2, 4, v2
	v_mov_b32_e32 v7, s18
	v_cmp_gt_i32_e32 vcc, s38, v1
	s_lshl_b64 s[14:15], s[14:15], 2
	v_cndmask_b32_e32 v2, v7, v2, vcc
	s_add_u32 s16, s12, s14
	v_ashrrev_i32_e32 v3, 31, v2
	s_addc_u32 s17, s13, s15
	v_lshlrev_b64 v[2:3], 2, v[2:3]
	v_mov_b32_e32 v5, s17
	v_add_co_u32_e32 v4, vcc, s16, v2
	v_or_b32_e32 v2, 16, v1
	v_addc_co_u32_e32 v5, vcc, v5, v3, vcc
	v_add_u32_e32 v3, v2, v6
	v_ashrrev_i32_e32 v3, 4, v3
	v_cmp_gt_i32_e32 vcc, s38, v2
	v_cndmask_b32_e32 v2, v7, v3, vcc
	v_ashrrev_i32_e32 v3, 31, v2
	v_lshlrev_b64 v[2:3], 2, v[2:3]
	v_mov_b32_e32 v9, s17
	v_add_co_u32_e32 v8, vcc, s16, v2
	v_or_b32_e32 v2, 32, v1
	v_addc_co_u32_e32 v9, vcc, v9, v3, vcc
	v_add_u32_e32 v3, v2, v6
	v_ashrrev_i32_e32 v3, 4, v3
	v_cmp_gt_i32_e32 vcc, s38, v2
	v_cndmask_b32_e32 v2, v7, v3, vcc
	v_ashrrev_i32_e32 v3, 31, v2
	;; [unrolled: 10-line block ×3, first 2 shown]
	v_lshlrev_b64 v[2:3], 2, v[2:3]
	v_mov_b32_e32 v1, s17
	v_add_co_u32_e32 v12, vcc, s16, v2
	v_addc_co_u32_e32 v13, vcc, v1, v3, vcc
	global_load_dword v3, v[4:5], off
	global_load_dword v2, v[8:9], off
	;; [unrolled: 1-line block ×4, first 2 shown]
	s_load_dwordx4 s[12:15], s[4:5], 0x8
	s_andn2_b64 vcc, exec, s[2:3]
	s_cbranch_vccnz .LBB337_8
; %bb.6:
	s_add_u32 s0, s0, s10
	s_addc_u32 s1, s1, s11
	s_load_dword s19, s[0:1], 0x0
	s_branch .LBB337_9
.LBB337_7:
	s_mov_b64 s[12:13], 0
	s_branch .LBB337_2
.LBB337_8:
	s_mov_b32 s19, s6
.LBB337_9:
	s_load_dwordx4 s[0:3], s[4:5], 0x48
	v_lshrrev_b32_e32 v85, 6, v0
	v_bfe_u32 v1, v0, 4, 2
	v_and_b32_e32 v83, 15, v0
	v_lshl_or_b32 v4, v85, 2, v1
	v_lshlrev_b32_e32 v5, 3, v83
	v_and_b32_e32 v86, 63, v0
	s_mul_i32 s27, s8, 14
	v_cmp_gt_u32_e32 vcc, 14, v4
	v_lshlrev_b32_e32 v5, 1, v5
	buffer_store_dword v5, off, s[44:47], 0 ; 4-byte Folded Spill
	s_and_saveexec_b64 s[10:11], vcc
	s_cbranch_execz .LBB337_11
; %bb.10:
	s_load_dwordx2 s[20:21], s[4:5], 0x0
	s_waitcnt lgkmcnt(0)
	s_ashr_i32 s3, s0, 31
	s_mul_hi_u32 s22, s19, s0
	s_mul_i32 s3, s19, s3
	s_add_i32 s23, s22, s3
	s_mul_i32 s22, s19, s0
	v_add_lshl_u32 v8, v4, s27, 7
	s_lshl_b64 s[22:23], s[22:23], 1
	v_ashrrev_i32_e32 v9, 31, v8
	s_add_u32 s0, s20, s22
	v_lshlrev_b64 v[8:9], 1, v[8:9]
	v_add_co_u32_e32 v7, vcc, s0, v8
	buffer_load_dword v8, off, s[44:47], 0  ; 4-byte Folded Reload
	s_addc_u32 s3, s21, s23
	v_mov_b32_e32 v5, s3
	v_addc_co_u32_e32 v5, vcc, v5, v9, vcc
	v_lshlrev_b32_e32 v4, 5, v4
	s_waitcnt vmcnt(0)
	v_add_co_u32_e32 v8, vcc, v7, v8
	v_addc_co_u32_e32 v9, vcc, 0, v5, vcc
	global_load_dwordx4 v[8:11], v[8:9], off
	v_and_b32_e32 v5, 3, v0
	v_lshlrev_b32_e32 v7, 9, v83
	v_lshlrev_b32_e32 v5, 9, v5
	v_and_b32_e32 v7, 0x1800, v7
	v_or3_b32 v4, v7, v5, v4
	s_waitcnt vmcnt(0)
	ds_write_b128 v4, v[8:11]
.LBB337_11:
	s_or_b64 exec, exec, s[10:11]
	s_waitcnt lgkmcnt(0)
	s_mul_i32 s2, s8, s2
	s_mov_b32 s3, 0
	s_lshl_b64 s[2:3], s[2:3], 1
	s_add_u32 s8, s12, s2
	v_lshlrev_b32_e32 v7, 4, v0
	s_addc_u32 s10, s13, s3
	v_and_b32_e32 v4, 0xf0, v7
	v_mov_b32_e32 v5, s10
	v_add_co_u32_e32 v29, vcc, s8, v4
	v_addc_co_u32_e32 v30, vcc, 0, v5, vcc
	s_waitcnt vmcnt(4)
	v_mad_i64_i32 v[4:5], s[10:11], v3, s1, 0
	v_lshlrev_b64 v[4:5], 1, v[4:5]
	v_add_co_u32_e32 v3, vcc, v29, v4
	v_addc_co_u32_e32 v4, vcc, v30, v5, vcc
	v_and_b32_e32 v31, 0x300, v7
	v_add_co_u32_e32 v22, vcc, v3, v31
	v_addc_co_u32_e32 v23, vcc, 0, v4, vcc
	s_load_dword s33, s[4:5], 0x98
	s_load_dword s0, s[4:5], 0x1c
	s_waitcnt lgkmcnt(0)
	s_barrier
	global_load_dwordx4 v[10:13], v[22:23], off
	global_load_dwordx4 v[18:21], v[22:23], off offset:1024
	s_waitcnt vmcnt(5)
	v_mad_i64_i32 v[2:3], s[10:11], v2, s1, 0
	v_lshlrev_b64 v[2:3], 1, v[2:3]
	v_add_co_u32_e32 v2, vcc, v29, v2
	v_addc_co_u32_e32 v3, vcc, v30, v3, vcc
	v_add_co_u32_e32 v24, vcc, v2, v31
	v_addc_co_u32_e32 v25, vcc, 0, v3, vcc
	global_load_dwordx4 v[14:17], v[24:25], off
	global_load_dwordx4 v[38:41], v[24:25], off offset:1024
	v_add_u32_e32 v2, -14, v83
	v_cmp_gt_u32_e32 vcc, 14, v83
	v_cndmask_b32_e32 v2, v2, v83, vcc
	v_lshlrev_b32_e32 v2, 5, v2
	v_lshl_add_u32 v32, v1, 9, v2
	ds_read_b128 v[2:5], v32
	s_waitcnt vmcnt(6)
	v_mad_i64_i32 v[6:7], s[10:11], v6, s1, 0
	v_lshlrev_b64 v[26:27], 1, v[6:7]
	ds_read_b128 v[6:9], v32 offset:2048
	v_and_or_b32 v62, v0, 48, s9
	v_mov_b32_e32 v63, s18
	v_mov_b32_e32 v68, s17
	s_add_u32 s8, s14, s2
	v_lshl_or_b32 v87, v85, 4, v83
	v_lshlrev_b32_e32 v76, 5, v87
	s_mov_b32 s40, 0xff7fffff
	s_waitcnt vmcnt(3) lgkmcnt(1)
	v_mfma_f32_16x16x16bf16_1k v[34:37], v[10:11], v[2:3], 0
	v_add_co_u32_e32 v10, vcc, v29, v26
	v_addc_co_u32_e32 v11, vcc, v30, v27, vcc
	v_add_co_u32_e32 v26, vcc, v10, v31
	v_addc_co_u32_e32 v27, vcc, 0, v11, vcc
	global_load_dwordx4 v[46:49], v[26:27], off
	global_load_dwordx4 v[58:61], v[26:27], off offset:1024
	s_waitcnt vmcnt(3)
	v_mfma_f32_16x16x16bf16_1k v[42:45], v[14:15], v[2:3], 0
	v_cmp_gt_i32_e32 vcc, s38, v62
	v_mfma_f32_16x16x16bf16_1k v[14:17], v[16:17], v[4:5], v[42:45]
	s_nop 7
	s_nop 0
	global_load_dwordx4 v[42:45], v[22:23], off offset:2048
	v_mfma_f32_16x16x16bf16_1k v[10:13], v[12:13], v[4:5], v[34:37]
	s_waitcnt vmcnt(3) lgkmcnt(0)
	v_mfma_f32_16x16x16bf16_1k v[14:17], v[38:39], v[6:7], v[14:17]
	v_mfma_f32_16x16x16bf16_1k v[10:13], v[18:19], v[6:7], v[10:13]
	;; [unrolled: 1-line block ×3, first 2 shown]
	global_load_dwordx4 v[38:41], v[22:23], off offset:3072
	v_mfma_f32_16x16x16bf16_1k v[18:21], v[20:21], v[8:9], v[10:13]
	s_waitcnt vmcnt(3)
	v_mfma_f32_16x16x16bf16_1k v[50:53], v[46:47], v[2:3], 0
	v_mfma_f32_16x16x16bf16_1k v[34:37], v[48:49], v[4:5], v[50:53]
	global_load_dwordx4 v[46:49], v[24:25], off offset:2048
	s_nop 3
	ds_read_b128 v[10:13], v32 offset:4096
	s_nop 3
	ds_read_b128 v[50:53], v32 offset:6144
	global_load_dwordx4 v[22:25], v[24:25], off offset:3072
	v_mad_i64_i32 v[32:33], s[10:11], v28, s1, 0
	v_mov_b32_e32 v28, s17
	s_addc_u32 s10, s15, s3
	s_waitcnt vmcnt(3) lgkmcnt(1)
	v_mfma_f32_16x16x16bf16_1k v[18:21], v[42:43], v[10:11], v[18:21]
	v_mfma_f32_16x16x16bf16_1k v[18:21], v[44:45], v[12:13], v[18:21]
	global_load_dwordx4 v[42:45], v[26:27], off offset:2048
	s_waitcnt vmcnt(3) lgkmcnt(0)
	v_mfma_f32_16x16x16bf16_1k v[18:21], v[38:39], v[50:51], v[18:21]
	v_or_b32_e32 v38, 64, v62
	v_ashrrev_i32_e32 v39, 4, v38
	v_mfma_f32_16x16x16bf16_1k v[54:57], v[40:41], v[52:53], v[18:21]
	s_waitcnt vmcnt(2)
	v_mfma_f32_16x16x16bf16_1k v[14:17], v[46:47], v[10:11], v[14:17]
	v_mfma_f32_16x16x16bf16_1k v[14:17], v[48:49], v[12:13], v[14:17]
	global_load_dwordx4 v[46:49], v[26:27], off offset:3072
	v_lshlrev_b64 v[26:27], 1, v[32:33]
	v_ashrrev_i32_e32 v32, 4, v62
	v_cndmask_b32_e32 v32, v63, v32, vcc
	v_ashrrev_i32_e32 v33, 31, v32
	v_cmp_gt_i32_e32 vcc, s38, v38
	v_cndmask_b32_e32 v38, v63, v39, vcc
	s_waitcnt vmcnt(2)
	v_mfma_f32_16x16x16bf16_1k v[14:17], v[22:23], v[50:51], v[14:17]
	v_lshlrev_b64 v[22:23], 2, v[32:33]
	v_add_co_u32_e32 v22, vcc, s16, v22
	v_addc_co_u32_e32 v23, vcc, v28, v23, vcc
	v_add_co_u32_e32 v18, vcc, v29, v26
	v_addc_co_u32_e32 v19, vcc, v30, v27, vcc
	;; [unrolled: 2-line block ×3, first 2 shown]
	v_mfma_f32_16x16x16bf16_1k v[64:67], v[24:25], v[52:53], v[14:17]
	global_load_dword v30, v[22:23], off
	v_ashrrev_i32_e32 v39, 31, v38
	v_lshlrev_b64 v[32:33], 2, v[38:39]
	v_add_co_u32_e32 v18, vcc, s16, v32
	v_addc_co_u32_e32 v19, vcc, v68, v33, vcc
	s_nop 1
	global_load_dwordx4 v[14:17], v[26:27], off
	global_load_dword v31, v[18:19], off
	s_nop 0
	global_load_dwordx4 v[18:21], v[26:27], off offset:1024
	global_load_dwordx4 v[68:71], v[26:27], off offset:2048
	;; [unrolled: 1-line block ×3, first 2 shown]
	v_mfma_f32_16x16x16bf16_1k v[22:25], v[58:59], v[6:7], v[34:37]
	v_or_b32_e32 v28, 0x80, v62
	v_ashrrev_i32_e32 v29, 4, v28
	v_cmp_gt_i32_e32 vcc, s38, v28
	v_cndmask_b32_e32 v28, v63, v29, vcc
	v_ashrrev_i32_e32 v29, 31, v28
	v_lshlrev_b64 v[28:29], 2, v[28:29]
	v_mov_b32_e32 v32, s17
	v_mfma_f32_16x16x16bf16_1k v[22:25], v[60:61], v[8:9], v[22:25]
	v_add_co_u32_e32 v28, vcc, s16, v28
	v_addc_co_u32_e32 v29, vcc, v32, v29, vcc
	global_load_dword v32, v[28:29], off
	v_or_b32_e32 v28, 0xc0, v62
	v_ashrrev_i32_e32 v29, 4, v28
	v_cmp_gt_i32_e32 vcc, s38, v28
	v_cndmask_b32_e32 v28, v63, v29, vcc
	v_ashrrev_i32_e32 v29, 31, v28
	v_lshlrev_b64 v[28:29], 2, v[28:29]
	s_waitcnt vmcnt(8)
	v_mfma_f32_16x16x16bf16_1k v[22:25], v[42:43], v[10:11], v[22:25]
	v_mov_b32_e32 v33, s17
	v_add_co_u32_e32 v28, vcc, s16, v28
	v_addc_co_u32_e32 v29, vcc, v33, v29, vcc
	global_load_dword v58, v[28:29], off
	v_mov_b32_e32 v26, s10
	v_mfma_f32_16x16x16bf16_1k v[22:25], v[44:45], v[12:13], v[22:25]
	v_add_co_u32_e32 v77, vcc, s8, v76
	v_addc_co_u32_e32 v78, vcc, 0, v26, vcc
	v_pk_mul_f32 v[80:81], s[0:1], v[66:67] op_sel_hi:[0,1]
	s_waitcnt vmcnt(8)
	v_mfma_f32_16x16x16bf16_1k v[22:25], v[46:47], v[50:51], v[22:25]
	v_mfma_f32_16x16x16bf16_1k v[88:91], v[48:49], v[52:53], v[22:25]
	s_waitcnt vmcnt(7)
	s_nop 7
	s_nop 0
	v_mad_i64_i32 v[22:23], s[2:3], v30, s1, 0
	v_lshlrev_b64 v[62:63], 1, v[22:23]
	s_waitcnt vmcnt(6)
	v_mfma_f32_16x16x16bf16_1k v[22:25], v[14:15], v[2:3], 0
	v_add_co_u32_e32 v2, vcc, v77, v62
	v_addc_co_u32_e32 v3, vcc, v78, v63, vcc
	global_load_dwordx4 v[46:49], v[2:3], off
	global_load_dwordx4 v[42:45], v[2:3], off offset:16
	s_waitcnt vmcnt(7)
	v_mad_i64_i32 v[2:3], s[2:3], v31, s1, 0
	v_lshlrev_b64 v[14:15], 1, v[2:3]
	v_mfma_f32_16x16x16bf16_1k v[2:5], v[16:17], v[4:5], v[22:25]
	v_add_co_u32_e32 v16, vcc, v77, v14
	v_addc_co_u32_e32 v17, vcc, v78, v15, vcc
	global_load_dwordx4 v[38:41], v[16:17], off
	global_load_dwordx4 v[34:37], v[16:17], off offset:16
	s_waitcnt vmcnt(5)
	v_mad_i64_i32 v[16:17], s[2:3], v32, s1, 0
	v_mfma_f32_16x16x16bf16_1k v[2:5], v[18:19], v[6:7], v[2:5]
	v_lshlrev_b64 v[60:61], 1, v[16:17]
	v_add_co_u32_e32 v6, vcc, v77, v60
	v_addc_co_u32_e32 v7, vcc, v78, v61, vcc
	global_load_dwordx4 v[30:33], v[6:7], off
	global_load_dwordx4 v[26:29], v[6:7], off offset:16
	s_waitcnt vmcnt(6)
	v_mad_i64_i32 v[6:7], s[2:3], v58, s1, 0
	v_mfma_f32_16x16x16bf16_1k v[2:5], v[20:21], v[8:9], v[2:5]
	v_lshlrev_b64 v[58:59], 1, v[6:7]
	v_add_co_u32_e32 v6, vcc, v77, v58
	v_addc_co_u32_e32 v7, vcc, v78, v59, vcc
	global_load_dwordx4 v[22:25], v[6:7], off
	global_load_dwordx4 v[18:21], v[6:7], off offset:16
	v_or_b32_e32 v6, 0x800, v76
	v_mfma_f32_16x16x16bf16_1k v[2:5], v[68:69], v[10:11], v[2:5]
	v_mov_b32_e32 v7, s10
	v_add_co_u32_e32 v68, vcc, s8, v6
	v_addc_co_u32_e32 v69, vcc, 0, v7, vcc
	v_pk_mul_f32 v[78:79], s[0:1], v[56:57] op_sel_hi:[0,1]
	v_pk_mul_f32 v[76:77], s[0:1], v[90:91] op_sel_hi:[0,1]
	v_mfma_f32_16x16x16bf16_1k v[10:13], v[70:71], v[12:13], v[2:5]
	v_pk_mul_f32 v[70:71], s[0:1], v[64:65] op_sel_hi:[0,1]
	v_mfma_f32_16x16x16bf16_1k v[92:95], v[72:73], v[50:51], v[10:13]
	s_nop 4
	v_add_co_u32_e32 v2, vcc, v68, v62
	v_addc_co_u32_e32 v3, vcc, v69, v63, vcc
	v_add_co_u32_e32 v62, vcc, v68, v14
	v_addc_co_u32_e32 v63, vcc, v69, v15, vcc
	v_mfma_f32_16x16x16bf16_1k v[50:53], v[74:75], v[52:53], v[92:95]
	global_load_dwordx4 v[6:9], v[2:3], off
	s_nop 0
	global_load_dwordx4 v[2:5], v[2:3], off offset:16
	s_nop 0
	global_load_dwordx4 v[14:17], v[62:63], off
	global_load_dwordx4 v[10:13], v[62:63], off offset:16
	v_pk_mul_f32 v[62:63], s[0:1], v[54:55] op_sel_hi:[0,1]
	v_pk_mul_f32 v[72:73], s[0:1], v[88:89] op_sel_hi:[0,1]
	s_nop 2
	v_pk_mul_f32 v[74:75], s[0:1], v[50:51] op_sel_hi:[0,1]
	v_and_b32_e32 v50, 0xc0, v0
	v_add_u32_e32 v50, s9, v50
	v_lshl_or_b32 v50, v1, 2, v50
	v_pk_mul_f32 v[66:67], s[0:1], v[52:53] op_sel_hi:[0,1]
	v_or_b32_e32 v53, 1, v50
	v_mov_b32_e32 v51, 0xff7fffff
	v_cmp_gt_i32_e64 s[28:29], s38, v50
	v_cmp_gt_i32_e64 s[30:31], s38, v53
	v_cndmask_b32_e64 v52, v51, v62, s[28:29]
	v_cndmask_b32_e64 v53, v51, v63, s[30:31]
	v_max3_f32 v52, v52, s40, v53
	v_or_b32_e32 v53, 2, v50
	v_or_b32_e32 v54, 3, v50
	v_cmp_gt_i32_e64 s[34:35], s38, v53
	v_cmp_gt_i32_e64 s[36:37], s38, v54
	v_cndmask_b32_e64 v53, v51, v78, s[34:35]
	v_cndmask_b32_e64 v54, v51, v79, s[36:37]
	v_max3_f32 v52, v52, v53, v54
	v_or_b32_e32 v53, 16, v50
	v_or_b32_e32 v54, 17, v50
	;; [unrolled: 7-line block ×7, first 2 shown]
	v_cmp_gt_i32_e32 vcc, s38, v53
	v_cmp_gt_i32_e64 s[0:1], s38, v50
	v_cndmask_b32_e32 v53, v51, v66, vcc
	v_cndmask_b32_e64 v50, v51, v67, s[0:1]
	v_max3_f32 v64, v52, v53, v50
	v_mbcnt_lo_u32_b32 v50, -1, 0
	v_mbcnt_hi_u32_b32 v65, -1, v50
	v_and_b32_e32 v50, 64, v65
	v_add_u32_e32 v88, 64, v50
	v_xor_b32_e32 v50, 32, v65
	v_cmp_lt_i32_e64 s[38:39], v50, v88
	v_cndmask_b32_e64 v50, v65, v50, s[38:39]
	v_lshlrev_b32_e32 v89, 2, v50
	ds_bpermute_b32 v90, v89, v64
	v_add_co_u32_e64 v50, s[38:39], v68, v60
	v_addc_co_u32_e64 v51, s[38:39], v69, v61, s[38:39]
	v_xor_b32_e32 v61, 16, v65
	v_cmp_lt_i32_e64 s[38:39], v61, v88
	s_waitcnt lgkmcnt(0)
	v_max_f32_e32 v60, v90, v90
	v_cndmask_b32_e64 v61, v65, v61, s[38:39]
	v_max_f32_e32 v60, v64, v60
	v_lshlrev_b32_e32 v90, 2, v61
	ds_bpermute_b32 v61, v90, v60
	v_add_co_u32_e64 v58, s[38:39], v68, v58
	v_addc_co_u32_e64 v59, s[38:39], v69, v59, s[38:39]
	s_waitcnt lgkmcnt(0)
	v_max_f32_e32 v61, v61, v61
	v_max_f32_e32 v88, v60, v61
	v_sub_f32_e32 v60, v62, v88
	v_mul_f32_e32 v60, 0x3fb8aa3b, v60
	v_exp_f32_e32 v68, v60
	v_sub_f32_e32 v60, v63, v88
	v_mul_f32_e32 v60, 0x3fb8aa3b, v60
	global_load_dwordx4 v[54:57], v[50:51], off
	s_nop 0
	global_load_dwordx4 v[50:53], v[50:51], off offset:16
	v_exp_f32_e32 v69, v60
	global_load_dwordx4 v[62:65], v[58:59], off
	s_nop 0
	global_load_dwordx4 v[58:61], v[58:59], off offset:16
	v_sub_f32_e32 v78, v78, v88
	v_mul_f32_e32 v78, 0x3fb8aa3b, v78
	v_sub_f32_e32 v79, v79, v88
	v_exp_f32_e32 v78, v78
	v_mul_f32_e32 v79, 0x3fb8aa3b, v79
	v_sub_f32_e32 v70, v70, v88
	v_exp_f32_e32 v79, v79
	v_mul_f32_e32 v70, 0x3fb8aa3b, v70
	v_sub_f32_e32 v71, v71, v88
	v_cndmask_b32_e64 v68, 0, v68, s[28:29]
	v_exp_f32_e32 v70, v70
	v_mul_f32_e32 v71, 0x3fb8aa3b, v71
	v_sub_f32_e32 v80, v80, v88
	v_add_f32_e32 v91, 0, v68
	v_cndmask_b32_e64 v69, 0, v69, s[30:31]
	v_exp_f32_e32 v71, v71
	v_mul_f32_e32 v80, 0x3fb8aa3b, v80
	v_sub_f32_e32 v81, v81, v88
	v_add_f32_e32 v91, v91, v69
	;; [unrolled: 5-line block ×10, first 2 shown]
	v_cndmask_b32_e64 v76, 0, v76, s[10:11]
	v_exp_f32_e32 v66, v66
	v_mul_f32_e32 v67, 0x3fb8aa3b, v67
	v_add_f32_e32 v91, v91, v76
	v_cndmask_b32_e64 v77, 0, v77, s[12:13]
	v_exp_f32_e32 v67, v67
	v_add_f32_e32 v91, v91, v77
	v_cndmask_b32_e64 v74, 0, v74, s[2:3]
	v_add_f32_e32 v91, v91, v74
	v_cndmask_b32_e64 v75, 0, v75, s[8:9]
	v_add_f32_e32 v91, v91, v75
	v_cndmask_b32_e32 v66, 0, v66, vcc
	v_add_f32_e32 v91, v91, v66
	v_cndmask_b32_e64 v67, 0, v67, s[0:1]
	v_add_f32_e32 v91, v91, v67
	ds_bpermute_b32 v89, v89, v91
	v_cmp_gt_u32_e32 vcc, 16, v86
	s_waitcnt lgkmcnt(0)
	s_barrier
	v_add_f32_e32 v89, v91, v89
	ds_bpermute_b32 v90, v90, v89
	s_and_saveexec_b64 s[0:1], vcc
	s_cbranch_execz .LBB337_13
; %bb.12:
	s_waitcnt lgkmcnt(0)
	v_add_f32_e32 v86, v89, v90
	v_lshlrev_b32_e32 v87, 2, v87
	ds_write2st64_b32 v87, v88, v86 offset1:1
.LBB337_13:
	s_or_b64 exec, exec, s[0:1]
	v_lshlrev_b32_e32 v87, 2, v83
	s_load_dword s2, s[4:5], 0x94
	s_waitcnt lgkmcnt(0)
	s_barrier
	ds_read2_b32 v[88:89], v87 offset1:16
	ds_read2_b32 v[90:91], v87 offset0:32 offset1:48
	ds_read2_b32 v[92:93], v87 offset0:64 offset1:80
	s_movk_i32 s8, 0x7fff
	s_mov_b32 s9, 0x7060302
	s_waitcnt lgkmcnt(2)
	v_max3_f32 v86, v88, s40, v89
	s_waitcnt lgkmcnt(1)
	v_max3_f32 v86, v86, v90, v91
	v_sub_f32_e32 v88, v88, v86
	v_mul_f32_e32 v88, 0x3fb8aa3b, v88
	v_exp_f32_e32 v94, v88
	v_sub_f32_e32 v88, v89, v86
	v_mul_f32_e32 v88, 0x3fb8aa3b, v88
	v_exp_f32_e32 v95, v88
	;; [unrolled: 3-line block ×3, first 2 shown]
	ds_read2_b32 v[88:89], v87 offset0:96 offset1:112
	v_sub_f32_e32 v87, v91, v86
	v_mul_f32_e32 v87, 0x3fb8aa3b, v87
	v_exp_f32_e32 v91, v87
	s_waitcnt lgkmcnt(1)
	v_fma_f32 v87, v94, v92, 0
	v_fmac_f32_e32 v87, v95, v93
	s_waitcnt lgkmcnt(0)
	v_fmac_f32_e32 v87, v90, v88
	v_fmac_f32_e32 v87, v91, v89
	v_add_f32_e32 v88, 0x358637bd, v87
	v_div_scale_f32 v89, s[0:1], v88, v88, 1.0
	v_rcp_f32_e32 v92, v89
	s_barrier
	v_fma_f32 v93, -v89, v92, 1.0
	v_fmac_f32_e32 v92, v93, v92
	v_div_scale_f32 v93, vcc, 1.0, v88, 1.0
	v_mul_f32_e32 v82, v93, v92
	v_fma_f32 v84, -v89, v82, v93
	v_fmac_f32_e32 v82, v84, v92
	v_fma_f32 v84, -v89, v82, v93
	v_div_fmas_f32 v82, v84, v92, v82
	v_cmp_eq_u32_e32 vcc, 1, v85
	v_cndmask_b32_e32 v84, v94, v95, vcc
	v_cmp_eq_u32_e32 vcc, 2, v85
	v_cndmask_b32_e32 v84, v84, v90, vcc
	v_cmp_eq_u32_e32 vcc, 3, v85
	v_div_fixup_f32 v82, v82, v88, 1.0
	v_cndmask_b32_e32 v84, v84, v91, vcc
	v_mul_f32_e32 v88, v84, v82
	v_pk_mul_f32 v[68:69], v[88:89], v[68:69] op_sel_hi:[0,1]
	v_bfe_u32 v82, v69, 16, 1
	v_bfe_u32 v84, v68, 16, 1
	v_pk_mul_f32 v[78:79], v[88:89], v[78:79] op_sel_hi:[0,1]
	v_add3_u32 v68, v68, v84, s8
	v_add3_u32 v69, v69, v82, s8
	v_perm_b32 v90, v69, v68, s9
	v_bfe_u32 v68, v79, 16, 1
	v_bfe_u32 v69, v78, 16, 1
	v_add3_u32 v69, v78, v69, s8
	v_add3_u32 v68, v79, v68, s8
	v_perm_b32 v91, v68, v69, s9
	v_lshlrev_b32_e32 v69, 3, v1
	v_lshlrev_b32_e32 v68, 5, v83
	;; [unrolled: 1-line block ×3, first 2 shown]
	v_pk_mul_f32 v[70:71], v[88:89], v[70:71] op_sel_hi:[0,1]
	v_or3_b32 v78, v78, v68, v69
	v_bfe_u32 v69, v71, 16, 1
	v_bfe_u32 v79, v70, 16, 1
	v_pk_mul_f32 v[80:81], v[88:89], v[80:81] op_sel_hi:[0,1]
	v_add3_u32 v70, v70, v79, s8
	v_add3_u32 v69, v71, v69, s8
	v_perm_b32 v70, v69, v70, s9
	v_bfe_u32 v69, v81, 16, 1
	v_bfe_u32 v71, v80, 16, 1
	v_add3_u32 v71, v80, v71, s8
	v_add3_u32 v69, v81, v69, s8
	v_perm_b32 v71, v69, v71, s9
	v_pk_mul_f32 v[72:73], v[88:89], v[72:73] op_sel_hi:[0,1]
	ds_write2st64_b64 v78, v[90:91], v[70:71] offset1:1
	v_pk_mul_f32 v[70:71], v[88:89], v[76:77] op_sel_hi:[0,1]
	v_bfe_u32 v69, v73, 16, 1
	v_bfe_u32 v76, v72, 16, 1
	v_add3_u32 v72, v72, v76, s8
	v_add3_u32 v69, v73, v69, s8
	v_perm_b32 v72, v69, v72, s9
	v_bfe_u32 v69, v71, 16, 1
	v_bfe_u32 v73, v70, 16, 1
	v_add3_u32 v70, v70, v73, s8
	v_add3_u32 v69, v71, v69, s8
	v_perm_b32 v73, v69, v70, s9
	v_pk_mul_f32 v[70:71], v[88:89], v[74:75] op_sel_hi:[0,1]
	v_bfe_u32 v69, v71, 16, 1
	v_bfe_u32 v74, v70, 16, 1
	v_pk_mul_f32 v[66:67], v[88:89], v[66:67] op_sel_hi:[0,1]
	v_add3_u32 v70, v70, v74, s8
	v_add3_u32 v69, v71, v69, s8
	v_perm_b32 v70, v69, v70, s9
	v_bfe_u32 v69, v67, 16, 1
	v_bfe_u32 v71, v66, 16, 1
	v_add3_u32 v66, v66, v71, s8
	v_add3_u32 v67, v67, v69, s8
	s_mul_i32 s3, s33, 14
	v_perm_b32 v71, v67, v66, s9
	v_cmp_gt_u32_e32 vcc, 14, v0
	ds_write2st64_b64 v78, v[72:73], v[70:71] offset0:2 offset1:3
	s_and_saveexec_b64 s[0:1], vcc
	s_cbranch_execz .LBB337_15
; %bb.14:
	v_add_co_u32_e32 v70, vcc, s27, v83
	v_addc_co_u32_e64 v71, s[10:11], 0, 0, vcc
	v_mov_b32_e32 v66, s3
	v_mov_b32_e32 v67, 0
	v_mad_u64_u32 v[70:71], s[10:11], s6, v66, v[70:71]
	v_mov_b32_e32 v66, s26
	s_load_dwordx4 s[12:15], s[4:5], 0x58
	s_mul_i32 s7, s7, s3
	v_mad_u64_u32 v[66:67], s[10:11], v70, s2, v[66:67]
	v_add_u32_e32 v69, s7, v71
	v_mov_b32_e32 v70, v67
	v_mad_u64_u32 v[70:71], s[10:11], v69, s2, v[70:71]
	v_mov_b32_e32 v67, v70
	v_lshlrev_b64 v[66:67], 2, v[66:67]
	s_waitcnt lgkmcnt(0)
	v_mov_b32_e32 v69, s15
	v_add_co_u32_e32 v70, vcc, s14, v66
	v_addc_co_u32_e32 v71, vcc, v69, v67, vcc
	v_mov_b32_e32 v69, s13
	v_add_co_u32_e32 v66, vcc, s12, v66
	v_addc_co_u32_e32 v67, vcc, v69, v67, vcc
	global_store_dword v[70:71], v86, off
	global_store_dword v[66:67], v87, off
.LBB337_15:
	s_or_b64 exec, exec, s[0:1]
	v_lshl_or_b32 v79, v1, 9, v68
	s_waitcnt lgkmcnt(0)
	s_barrier
	ds_read_b128 v[70:73], v79
	ds_read_b128 v[66:69], v79 offset:16
	s_waitcnt vmcnt(15) lgkmcnt(1)
	v_mfma_f32_16x16x16bf16_1k v[74:77], v[46:47], v[70:71], 0
	s_mov_b32 s1, 0
	v_cmp_gt_u32_e32 vcc, 64, v0
	v_mfma_f32_16x16x16bf16_1k v[46:49], v[48:49], v[72:73], v[74:77]
	s_waitcnt vmcnt(14) lgkmcnt(0)
	v_mfma_f32_16x16x16bf16_1k v[46:49], v[42:43], v[66:67], v[46:49]
	v_mfma_f32_16x16x16bf16_1k v[42:45], v[44:45], v[68:69], v[46:49]
	s_nop 7
	s_nop 1
	ds_read_b128 v[46:49], v79 offset:2048
	ds_read_b128 v[74:77], v79 offset:2064
	s_waitcnt vmcnt(13) lgkmcnt(1)
	v_mfma_f32_16x16x16bf16_1k v[42:45], v[38:39], v[46:47], v[42:45]
	v_mfma_f32_16x16x16bf16_1k v[38:41], v[40:41], v[48:49], v[42:45]
	s_waitcnt vmcnt(12) lgkmcnt(0)
	v_mfma_f32_16x16x16bf16_1k v[38:41], v[34:35], v[74:75], v[38:41]
	v_mfma_f32_16x16x16bf16_1k v[34:37], v[36:37], v[76:77], v[38:41]
	s_nop 7
	s_nop 1
	ds_read_b128 v[38:41], v79 offset:4096
	ds_read_b128 v[42:45], v79 offset:4112
	s_waitcnt vmcnt(11) lgkmcnt(1)
	v_mfma_f32_16x16x16bf16_1k v[34:37], v[30:31], v[38:39], v[34:37]
	v_mfma_f32_16x16x16bf16_1k v[30:33], v[32:33], v[40:41], v[34:37]
	s_waitcnt vmcnt(10) lgkmcnt(0)
	v_mfma_f32_16x16x16bf16_1k v[30:33], v[26:27], v[42:43], v[30:33]
	v_mfma_f32_16x16x16bf16_1k v[26:29], v[28:29], v[44:45], v[30:33]
	s_nop 7
	s_nop 1
	ds_read_b128 v[30:33], v79 offset:6144
	ds_read_b128 v[34:37], v79 offset:6160
	s_waitcnt lgkmcnt(0)
	s_barrier
	s_waitcnt vmcnt(9)
	v_mfma_f32_16x16x16bf16_1k v[26:29], v[22:23], v[30:31], v[26:29]
	v_mfma_f32_16x16x16bf16_1k v[22:25], v[24:25], v[32:33], v[26:29]
	s_waitcnt vmcnt(8)
	v_mfma_f32_16x16x16bf16_1k v[22:25], v[18:19], v[34:35], v[22:25]
	v_mfma_f32_16x16x16bf16_1k v[18:21], v[20:21], v[36:37], v[22:25]
	;; [unrolled: 3-line block ×4, first 2 shown]
	s_waitcnt vmcnt(5)
	v_mfma_f32_16x16x16bf16_1k v[2:5], v[14:15], v[46:47], v[2:5]
	s_nop 7
	v_bfe_u32 v6, v19, 16, 1
	v_bfe_u32 v7, v18, 16, 1
	v_add3_u32 v7, v18, v7, s8
	v_add3_u32 v6, v19, v6, s8
	v_perm_b32 v6, v6, v7, s9
	v_bfe_u32 v7, v21, 16, 1
	v_bfe_u32 v8, v20, 16, 1
	v_mfma_f32_16x16x16bf16_1k v[2:5], v[16:17], v[48:49], v[2:5]
	v_add3_u32 v8, v20, v8, s8
	v_add3_u32 v7, v21, v7, s8
	v_perm_b32 v7, v7, v8, s9
	s_waitcnt vmcnt(4)
	v_mfma_f32_16x16x16bf16_1k v[2:5], v[10:11], v[74:75], v[2:5]
	v_mfma_f32_16x16x16bf16_1k v[2:5], v[12:13], v[76:77], v[2:5]
	s_waitcnt vmcnt(3)
	v_mfma_f32_16x16x16bf16_1k v[2:5], v[54:55], v[38:39], v[2:5]
	v_mfma_f32_16x16x16bf16_1k v[2:5], v[56:57], v[40:41], v[2:5]
	;; [unrolled: 3-line block ×5, first 2 shown]
	s_nop 7
	s_nop 2
	v_bfe_u32 v8, v3, 16, 1
	v_bfe_u32 v9, v2, 16, 1
	v_add3_u32 v2, v2, v9, s8
	v_add3_u32 v3, v3, v8, s8
	v_perm_b32 v2, v3, v2, s9
	v_bfe_u32 v3, v5, 16, 1
	v_bfe_u32 v8, v4, 16, 1
	v_add3_u32 v4, v4, v8, s8
	v_add3_u32 v3, v5, v3, s8
	v_perm_b32 v3, v3, v4, s9
	ds_write2st64_b64 v78, v[6:7], v[2:3] offset1:1
	s_waitcnt lgkmcnt(0)
	s_barrier
	s_and_saveexec_b64 s[8:9], vcc
	s_cbranch_execz .LBB337_18
; %bb.16:
	v_lshlrev_b32_e32 v4, 6, v83
	v_lshlrev_b32_e32 v3, 4, v0
	v_lshl_or_b32 v0, v0, 10, v4
	v_lshlrev_b32_e32 v2, 5, v1
	v_and_b32_e32 v3, 16, v3
	v_and_b32_e32 v0, 0x1a00, v0
	v_or3_b32 v0, v0, v2, v3
	buffer_load_dword v3, off, s[44:47], 0  ; 4-byte Folded Reload
	s_load_dwordx2 s[4:5], s[4:5], 0x68
	s_lshl_b32 s2, s2, 7
	s_mul_i32 s0, s3, s6
	s_mul_hi_u32 s7, s0, s2
	s_mul_i32 s6, s0, s2
	s_lshl_b64 s[6:7], s[6:7], 1
	s_waitcnt lgkmcnt(0)
	s_add_u32 s3, s4, s6
	s_addc_u32 s4, s5, s7
	s_lshl_b32 s0, s26, 7
	s_lshl_b64 s[0:1], s[0:1], 1
	s_add_u32 s0, s3, s0
	ds_read_b128 v[6:9], v0 offset:256
	v_or_b32_e32 v2, 12, v1
	s_addc_u32 s1, s4, s1
	ds_read_b128 v[10:13], v0 offset:128
	ds_read_b128 v[14:17], v0
	v_add_u32_e32 v1, s27, v1
	v_mov_b32_e32 v4, s1
	v_add_u32_e32 v5, 4, v1
	s_waitcnt vmcnt(0)
	v_add_co_u32_e32 v3, vcc, s0, v3
	v_mad_u64_u32 v[18:19], s[0:1], v1, s2, 0
	v_addc_co_u32_e32 v4, vcc, 0, v4, vcc
	v_lshlrev_b64 v[18:19], 1, v[18:19]
	v_add_co_u32_e32 v18, vcc, v3, v18
	v_addc_co_u32_e32 v19, vcc, v4, v19, vcc
	s_waitcnt lgkmcnt(0)
	global_store_dwordx4 v[18:19], v[14:17], off
	v_add_u32_e32 v1, 8, v1
	v_mad_u64_u32 v[14:15], s[0:1], v5, s2, 0
	v_lshlrev_b64 v[14:15], 1, v[14:15]
	v_add_co_u32_e32 v14, vcc, v3, v14
	v_addc_co_u32_e32 v15, vcc, v4, v15, vcc
	global_store_dwordx4 v[14:15], v[10:13], off
	s_nop 0
	v_mad_u64_u32 v[10:11], s[0:1], v1, s2, 0
	v_lshlrev_b64 v[10:11], 1, v[10:11]
	v_add_co_u32_e32 v10, vcc, v3, v10
	v_addc_co_u32_e32 v11, vcc, v4, v11, vcc
	v_cmp_gt_u32_e32 vcc, 14, v2
	global_store_dwordx4 v[10:11], v[6:9], off
	s_and_b64 exec, exec, vcc
	s_cbranch_execz .LBB337_18
; %bb.17:
	ds_read_b128 v[6:9], v0 offset:384
	v_add_u32_e32 v0, s27, v2
	v_mad_u64_u32 v[0:1], s[0:1], v0, s2, 0
	v_lshlrev_b64 v[0:1], 1, v[0:1]
	v_add_co_u32_e32 v0, vcc, v3, v0
	v_addc_co_u32_e32 v1, vcc, v4, v1, vcc
	s_waitcnt lgkmcnt(0)
	global_store_dwordx4 v[0:1], v[6:9], off
.LBB337_18:
	s_endpgm
	.section	.rodata,"a",@progbits
	.p2align	6, 0x0
	.amdhsa_kernel _Z39paged_attention_ll4mi_QKV_mfma16_kernelI14__hip_bfloat16S0_LN4vllm18Fp8KVCacheDataTypeE0ES0_Li16ELi128ELi256ELb0ELi14EL8MFMAType0EEvPKT_PKT0_S9_ifPKiSB_SB_iPKfiiiPfSE_PS4_PT2_iSD_SD_
		.amdhsa_group_segment_fixed_size 8192
		.amdhsa_private_segment_fixed_size 8
		.amdhsa_kernarg_size 400
		.amdhsa_user_sgpr_count 6
		.amdhsa_user_sgpr_private_segment_buffer 1
		.amdhsa_user_sgpr_dispatch_ptr 0
		.amdhsa_user_sgpr_queue_ptr 0
		.amdhsa_user_sgpr_kernarg_segment_ptr 1
		.amdhsa_user_sgpr_dispatch_id 0
		.amdhsa_user_sgpr_flat_scratch_init 0
		.amdhsa_user_sgpr_kernarg_preload_length 0
		.amdhsa_user_sgpr_kernarg_preload_offset 0
		.amdhsa_user_sgpr_private_segment_size 0
		.amdhsa_uses_dynamic_stack 0
		.amdhsa_system_sgpr_private_segment_wavefront_offset 1
		.amdhsa_system_sgpr_workgroup_id_x 1
		.amdhsa_system_sgpr_workgroup_id_y 1
		.amdhsa_system_sgpr_workgroup_id_z 1
		.amdhsa_system_sgpr_workgroup_info 0
		.amdhsa_system_vgpr_workitem_id 0
		.amdhsa_next_free_vgpr 96
		.amdhsa_next_free_sgpr 48
		.amdhsa_accum_offset 96
		.amdhsa_reserve_vcc 1
		.amdhsa_reserve_flat_scratch 0
		.amdhsa_float_round_mode_32 0
		.amdhsa_float_round_mode_16_64 0
		.amdhsa_float_denorm_mode_32 3
		.amdhsa_float_denorm_mode_16_64 3
		.amdhsa_dx10_clamp 1
		.amdhsa_ieee_mode 1
		.amdhsa_fp16_overflow 0
		.amdhsa_tg_split 0
		.amdhsa_exception_fp_ieee_invalid_op 0
		.amdhsa_exception_fp_denorm_src 0
		.amdhsa_exception_fp_ieee_div_zero 0
		.amdhsa_exception_fp_ieee_overflow 0
		.amdhsa_exception_fp_ieee_underflow 0
		.amdhsa_exception_fp_ieee_inexact 0
		.amdhsa_exception_int_div_zero 0
	.end_amdhsa_kernel
	.section	.text._Z39paged_attention_ll4mi_QKV_mfma16_kernelI14__hip_bfloat16S0_LN4vllm18Fp8KVCacheDataTypeE0ES0_Li16ELi128ELi256ELb0ELi14EL8MFMAType0EEvPKT_PKT0_S9_ifPKiSB_SB_iPKfiiiPfSE_PS4_PT2_iSD_SD_,"axG",@progbits,_Z39paged_attention_ll4mi_QKV_mfma16_kernelI14__hip_bfloat16S0_LN4vllm18Fp8KVCacheDataTypeE0ES0_Li16ELi128ELi256ELb0ELi14EL8MFMAType0EEvPKT_PKT0_S9_ifPKiSB_SB_iPKfiiiPfSE_PS4_PT2_iSD_SD_,comdat
.Lfunc_end337:
	.size	_Z39paged_attention_ll4mi_QKV_mfma16_kernelI14__hip_bfloat16S0_LN4vllm18Fp8KVCacheDataTypeE0ES0_Li16ELi128ELi256ELb0ELi14EL8MFMAType0EEvPKT_PKT0_S9_ifPKiSB_SB_iPKfiiiPfSE_PS4_PT2_iSD_SD_, .Lfunc_end337-_Z39paged_attention_ll4mi_QKV_mfma16_kernelI14__hip_bfloat16S0_LN4vllm18Fp8KVCacheDataTypeE0ES0_Li16ELi128ELi256ELb0ELi14EL8MFMAType0EEvPKT_PKT0_S9_ifPKiSB_SB_iPKfiiiPfSE_PS4_PT2_iSD_SD_
                                        ; -- End function
	.section	.AMDGPU.csdata,"",@progbits
; Kernel info:
; codeLenInByte = 4972
; NumSgprs: 52
; NumVgprs: 96
; NumAgprs: 0
; TotalNumVgprs: 96
; ScratchSize: 8
; MemoryBound: 0
; FloatMode: 240
; IeeeMode: 1
; LDSByteSize: 8192 bytes/workgroup (compile time only)
; SGPRBlocks: 6
; VGPRBlocks: 11
; NumSGPRsForWavesPerEU: 52
; NumVGPRsForWavesPerEU: 96
; AccumOffset: 96
; Occupancy: 5
; WaveLimiterHint : 1
; COMPUTE_PGM_RSRC2:SCRATCH_EN: 1
; COMPUTE_PGM_RSRC2:USER_SGPR: 6
; COMPUTE_PGM_RSRC2:TRAP_HANDLER: 0
; COMPUTE_PGM_RSRC2:TGID_X_EN: 1
; COMPUTE_PGM_RSRC2:TGID_Y_EN: 1
; COMPUTE_PGM_RSRC2:TGID_Z_EN: 1
; COMPUTE_PGM_RSRC2:TIDIG_COMP_CNT: 0
; COMPUTE_PGM_RSRC3_GFX90A:ACCUM_OFFSET: 23
; COMPUTE_PGM_RSRC3_GFX90A:TG_SPLIT: 0
	.section	.text._Z39paged_attention_ll4mi_QKV_mfma16_kernelI14__hip_bfloat16S0_LN4vllm18Fp8KVCacheDataTypeE0ES0_Li16ELi128ELi256ELb0ELi15EL8MFMAType0EEvPKT_PKT0_S9_ifPKiSB_SB_iPKfiiiPfSE_PS4_PT2_iSD_SD_,"axG",@progbits,_Z39paged_attention_ll4mi_QKV_mfma16_kernelI14__hip_bfloat16S0_LN4vllm18Fp8KVCacheDataTypeE0ES0_Li16ELi128ELi256ELb0ELi15EL8MFMAType0EEvPKT_PKT0_S9_ifPKiSB_SB_iPKfiiiPfSE_PS4_PT2_iSD_SD_,comdat
	.protected	_Z39paged_attention_ll4mi_QKV_mfma16_kernelI14__hip_bfloat16S0_LN4vllm18Fp8KVCacheDataTypeE0ES0_Li16ELi128ELi256ELb0ELi15EL8MFMAType0EEvPKT_PKT0_S9_ifPKiSB_SB_iPKfiiiPfSE_PS4_PT2_iSD_SD_ ; -- Begin function _Z39paged_attention_ll4mi_QKV_mfma16_kernelI14__hip_bfloat16S0_LN4vllm18Fp8KVCacheDataTypeE0ES0_Li16ELi128ELi256ELb0ELi15EL8MFMAType0EEvPKT_PKT0_S9_ifPKiSB_SB_iPKfiiiPfSE_PS4_PT2_iSD_SD_
	.globl	_Z39paged_attention_ll4mi_QKV_mfma16_kernelI14__hip_bfloat16S0_LN4vllm18Fp8KVCacheDataTypeE0ES0_Li16ELi128ELi256ELb0ELi15EL8MFMAType0EEvPKT_PKT0_S9_ifPKiSB_SB_iPKfiiiPfSE_PS4_PT2_iSD_SD_
	.p2align	8
	.type	_Z39paged_attention_ll4mi_QKV_mfma16_kernelI14__hip_bfloat16S0_LN4vllm18Fp8KVCacheDataTypeE0ES0_Li16ELi128ELi256ELb0ELi15EL8MFMAType0EEvPKT_PKT0_S9_ifPKiSB_SB_iPKfiiiPfSE_PS4_PT2_iSD_SD_,@function
_Z39paged_attention_ll4mi_QKV_mfma16_kernelI14__hip_bfloat16S0_LN4vllm18Fp8KVCacheDataTypeE0ES0_Li16ELi128ELi256ELb0ELi15EL8MFMAType0EEvPKT_PKT0_S9_ifPKiSB_SB_iPKfiiiPfSE_PS4_PT2_iSD_SD_: ; @_Z39paged_attention_ll4mi_QKV_mfma16_kernelI14__hip_bfloat16S0_LN4vllm18Fp8KVCacheDataTypeE0ES0_Li16ELi128ELi256ELb0ELi15EL8MFMAType0EEvPKT_PKT0_S9_ifPKiSB_SB_iPKfiiiPfSE_PS4_PT2_iSD_SD_
; %bb.0:
	s_mov_b64 s[46:47], s[2:3]
	s_mov_b64 s[44:45], s[0:1]
	s_load_dwordx2 s[0:1], s[4:5], 0x30
	s_add_u32 s44, s44, s9
	s_addc_u32 s45, s45, 0
	s_mov_b32 s26, s7
	s_mov_b64 s[10:11], 0
	s_waitcnt lgkmcnt(0)
	s_cmp_lg_u64 s[0:1], 0
	s_cselect_b64 s[2:3], -1, 0
	s_and_b64 vcc, exec, s[2:3]
	s_cbranch_vccz .LBB338_7
; %bb.1:
	s_add_i32 s12, s6, 1
	s_mov_b32 s13, 0
	s_lshl_b64 s[14:15], s[12:13], 2
	s_add_u32 s14, s0, s14
	s_mov_b32 s7, s13
	s_addc_u32 s15, s1, s15
	s_lshl_b64 s[12:13], s[6:7], 2
	s_add_u32 s12, s0, s12
	s_addc_u32 s13, s1, s13
	s_load_dword s9, s[14:15], 0x0
	s_load_dword s16, s[12:13], 0x0
	s_waitcnt lgkmcnt(0)
	s_sub_i32 s9, s9, s16
	s_cmp_eq_u32 s9, 1
	s_cselect_b64 s[12:13], -1, 0
	s_andn2_b64 vcc, exec, s[10:11]
	s_cbranch_vccnz .LBB338_3
.LBB338_2:
	s_mov_b32 s7, 0
	s_mov_b64 s[12:13], -1
.LBB338_3:
	s_andn2_b64 vcc, exec, s[12:13]
	s_cbranch_vccnz .LBB338_18
; %bb.4:
	s_load_dwordx2 s[12:13], s[4:5], 0x28
	s_lshl_b64 s[10:11], s[6:7], 2
	s_waitcnt lgkmcnt(0)
	s_add_u32 s12, s12, s10
	s_addc_u32 s13, s13, s11
	s_load_dword s38, s[12:13], 0x0
	s_lshl_b32 s9, s26, 8
	s_waitcnt lgkmcnt(0)
	s_cmp_ge_i32 s9, s38
	s_cbranch_scc1 .LBB338_18
; %bb.5:
	s_add_i32 s15, s38, 15
	s_load_dwordx2 s[12:13], s[4:5], 0x20
	s_load_dword s14, s[4:5], 0x38
	s_ashr_i32 s16, s15, 31
	v_and_b32_e32 v1, 0xcf, v0
	s_lshr_b32 s16, s16, 28
	v_add_u32_e32 v1, s9, v1
	s_add_i32 s15, s15, s16
	v_ashrrev_i32_e32 v2, 31, v1
	s_ashr_i32 s18, s15, 4
	v_lshrrev_b32_e32 v6, 28, v2
	s_add_i32 s18, s18, -1
	v_add_u32_e32 v2, v1, v6
	s_waitcnt lgkmcnt(0)
	s_mul_i32 s14, s6, s14
	s_mov_b32 s15, 0
	v_ashrrev_i32_e32 v2, 4, v2
	v_mov_b32_e32 v7, s18
	v_cmp_gt_i32_e32 vcc, s38, v1
	s_lshl_b64 s[14:15], s[14:15], 2
	v_cndmask_b32_e32 v2, v7, v2, vcc
	s_add_u32 s16, s12, s14
	v_ashrrev_i32_e32 v3, 31, v2
	s_addc_u32 s17, s13, s15
	v_lshlrev_b64 v[2:3], 2, v[2:3]
	v_mov_b32_e32 v5, s17
	v_add_co_u32_e32 v4, vcc, s16, v2
	v_or_b32_e32 v2, 16, v1
	v_addc_co_u32_e32 v5, vcc, v5, v3, vcc
	v_add_u32_e32 v3, v2, v6
	v_ashrrev_i32_e32 v3, 4, v3
	v_cmp_gt_i32_e32 vcc, s38, v2
	v_cndmask_b32_e32 v2, v7, v3, vcc
	v_ashrrev_i32_e32 v3, 31, v2
	v_lshlrev_b64 v[2:3], 2, v[2:3]
	v_mov_b32_e32 v9, s17
	v_add_co_u32_e32 v8, vcc, s16, v2
	v_or_b32_e32 v2, 32, v1
	v_addc_co_u32_e32 v9, vcc, v9, v3, vcc
	v_add_u32_e32 v3, v2, v6
	v_ashrrev_i32_e32 v3, 4, v3
	v_cmp_gt_i32_e32 vcc, s38, v2
	v_cndmask_b32_e32 v2, v7, v3, vcc
	v_ashrrev_i32_e32 v3, 31, v2
	;; [unrolled: 10-line block ×3, first 2 shown]
	v_lshlrev_b64 v[2:3], 2, v[2:3]
	v_mov_b32_e32 v1, s17
	v_add_co_u32_e32 v12, vcc, s16, v2
	v_addc_co_u32_e32 v13, vcc, v1, v3, vcc
	global_load_dword v3, v[4:5], off
	global_load_dword v2, v[8:9], off
	global_load_dword v6, v[10:11], off
	global_load_dword v28, v[12:13], off
	s_load_dwordx4 s[12:15], s[4:5], 0x8
	s_andn2_b64 vcc, exec, s[2:3]
	s_cbranch_vccnz .LBB338_8
; %bb.6:
	s_add_u32 s0, s0, s10
	s_addc_u32 s1, s1, s11
	s_load_dword s19, s[0:1], 0x0
	s_branch .LBB338_9
.LBB338_7:
	s_mov_b64 s[12:13], 0
	s_branch .LBB338_2
.LBB338_8:
	s_mov_b32 s19, s6
.LBB338_9:
	s_load_dwordx4 s[0:3], s[4:5], 0x48
	v_lshrrev_b32_e32 v85, 6, v0
	v_bfe_u32 v1, v0, 4, 2
	v_and_b32_e32 v83, 15, v0
	v_lshl_or_b32 v4, v85, 2, v1
	v_lshlrev_b32_e32 v5, 3, v83
	v_and_b32_e32 v86, 63, v0
	s_mul_i32 s27, s8, 15
	v_cmp_gt_u32_e32 vcc, 15, v4
	v_lshlrev_b32_e32 v5, 1, v5
	buffer_store_dword v5, off, s[44:47], 0 ; 4-byte Folded Spill
	s_and_saveexec_b64 s[10:11], vcc
	s_cbranch_execz .LBB338_11
; %bb.10:
	s_load_dwordx2 s[20:21], s[4:5], 0x0
	s_waitcnt lgkmcnt(0)
	s_ashr_i32 s3, s0, 31
	s_mul_hi_u32 s22, s19, s0
	s_mul_i32 s3, s19, s3
	s_add_i32 s23, s22, s3
	s_mul_i32 s22, s19, s0
	v_add_lshl_u32 v8, v4, s27, 7
	s_lshl_b64 s[22:23], s[22:23], 1
	v_ashrrev_i32_e32 v9, 31, v8
	s_add_u32 s0, s20, s22
	v_lshlrev_b64 v[8:9], 1, v[8:9]
	v_add_co_u32_e32 v7, vcc, s0, v8
	buffer_load_dword v8, off, s[44:47], 0  ; 4-byte Folded Reload
	s_addc_u32 s3, s21, s23
	v_mov_b32_e32 v5, s3
	v_addc_co_u32_e32 v5, vcc, v5, v9, vcc
	v_lshlrev_b32_e32 v4, 5, v4
	s_waitcnt vmcnt(0)
	v_add_co_u32_e32 v8, vcc, v7, v8
	v_addc_co_u32_e32 v9, vcc, 0, v5, vcc
	global_load_dwordx4 v[8:11], v[8:9], off
	v_and_b32_e32 v5, 3, v0
	v_lshlrev_b32_e32 v7, 9, v83
	v_lshlrev_b32_e32 v5, 9, v5
	v_and_b32_e32 v7, 0x1800, v7
	v_or3_b32 v4, v7, v5, v4
	s_waitcnt vmcnt(0)
	ds_write_b128 v4, v[8:11]
.LBB338_11:
	s_or_b64 exec, exec, s[10:11]
	s_waitcnt lgkmcnt(0)
	s_mov_b32 s3, 0
	s_mul_i32 s2, s8, s2
	s_lshl_b64 s[2:3], s[2:3], 1
	s_add_u32 s8, s12, s2
	v_lshlrev_b32_e32 v7, 4, v0
	s_addc_u32 s10, s13, s3
	v_and_b32_e32 v4, 0xf0, v7
	v_mov_b32_e32 v5, s10
	v_add_co_u32_e32 v29, vcc, s8, v4
	v_addc_co_u32_e32 v30, vcc, 0, v5, vcc
	s_waitcnt vmcnt(4)
	v_mad_i64_i32 v[4:5], s[10:11], v3, s1, 0
	v_lshlrev_b64 v[4:5], 1, v[4:5]
	v_add_co_u32_e32 v3, vcc, v29, v4
	v_addc_co_u32_e32 v4, vcc, v30, v5, vcc
	v_and_b32_e32 v31, 0x300, v7
	v_add_co_u32_e32 v22, vcc, v3, v31
	v_addc_co_u32_e32 v23, vcc, 0, v4, vcc
	s_load_dword s33, s[4:5], 0x98
	s_load_dword s0, s[4:5], 0x1c
	s_waitcnt lgkmcnt(0)
	s_barrier
	global_load_dwordx4 v[10:13], v[22:23], off
	global_load_dwordx4 v[18:21], v[22:23], off offset:1024
	s_waitcnt vmcnt(5)
	v_mad_i64_i32 v[2:3], s[10:11], v2, s1, 0
	v_lshlrev_b64 v[2:3], 1, v[2:3]
	v_add_co_u32_e32 v2, vcc, v29, v2
	v_addc_co_u32_e32 v3, vcc, v30, v3, vcc
	v_add_co_u32_e32 v24, vcc, v2, v31
	v_addc_co_u32_e32 v25, vcc, 0, v3, vcc
	global_load_dwordx4 v[14:17], v[24:25], off
	global_load_dwordx4 v[38:41], v[24:25], off offset:1024
	v_cmp_ne_u32_e32 vcc, 15, v83
	v_cndmask_b32_e32 v2, 0, v83, vcc
	v_lshlrev_b32_e32 v2, 5, v2
	v_lshl_or_b32 v32, v1, 9, v2
	ds_read_b128 v[2:5], v32
	s_waitcnt vmcnt(6)
	v_mad_i64_i32 v[6:7], s[10:11], v6, s1, 0
	v_lshlrev_b64 v[26:27], 1, v[6:7]
	ds_read_b128 v[6:9], v32 offset:2048
	v_and_or_b32 v62, v0, 48, s9
	v_mov_b32_e32 v63, s18
	v_mov_b32_e32 v68, s17
	s_add_u32 s8, s14, s2
	v_lshl_or_b32 v87, v85, 4, v83
	v_lshlrev_b32_e32 v76, 5, v87
	s_mov_b32 s40, 0xff7fffff
	s_waitcnt vmcnt(3) lgkmcnt(1)
	v_mfma_f32_16x16x16bf16_1k v[34:37], v[10:11], v[2:3], 0
	v_add_co_u32_e32 v10, vcc, v29, v26
	v_addc_co_u32_e32 v11, vcc, v30, v27, vcc
	v_add_co_u32_e32 v26, vcc, v10, v31
	v_addc_co_u32_e32 v27, vcc, 0, v11, vcc
	global_load_dwordx4 v[46:49], v[26:27], off
	global_load_dwordx4 v[58:61], v[26:27], off offset:1024
	s_waitcnt vmcnt(3)
	v_mfma_f32_16x16x16bf16_1k v[42:45], v[14:15], v[2:3], 0
	v_cmp_gt_i32_e32 vcc, s38, v62
	v_mfma_f32_16x16x16bf16_1k v[14:17], v[16:17], v[4:5], v[42:45]
	s_nop 7
	s_nop 0
	global_load_dwordx4 v[42:45], v[22:23], off offset:2048
	v_mfma_f32_16x16x16bf16_1k v[10:13], v[12:13], v[4:5], v[34:37]
	s_waitcnt vmcnt(3) lgkmcnt(0)
	v_mfma_f32_16x16x16bf16_1k v[14:17], v[38:39], v[6:7], v[14:17]
	v_mfma_f32_16x16x16bf16_1k v[10:13], v[18:19], v[6:7], v[10:13]
	v_mfma_f32_16x16x16bf16_1k v[14:17], v[40:41], v[8:9], v[14:17]
	global_load_dwordx4 v[38:41], v[22:23], off offset:3072
	v_mfma_f32_16x16x16bf16_1k v[18:21], v[20:21], v[8:9], v[10:13]
	s_waitcnt vmcnt(3)
	v_mfma_f32_16x16x16bf16_1k v[50:53], v[46:47], v[2:3], 0
	v_mfma_f32_16x16x16bf16_1k v[34:37], v[48:49], v[4:5], v[50:53]
	global_load_dwordx4 v[46:49], v[24:25], off offset:2048
	s_nop 3
	ds_read_b128 v[10:13], v32 offset:4096
	s_nop 3
	ds_read_b128 v[50:53], v32 offset:6144
	global_load_dwordx4 v[22:25], v[24:25], off offset:3072
	v_mad_i64_i32 v[32:33], s[10:11], v28, s1, 0
	v_mov_b32_e32 v28, s17
	s_addc_u32 s10, s15, s3
	s_waitcnt vmcnt(3) lgkmcnt(1)
	v_mfma_f32_16x16x16bf16_1k v[18:21], v[42:43], v[10:11], v[18:21]
	v_mfma_f32_16x16x16bf16_1k v[18:21], v[44:45], v[12:13], v[18:21]
	global_load_dwordx4 v[42:45], v[26:27], off offset:2048
	s_waitcnt vmcnt(3) lgkmcnt(0)
	v_mfma_f32_16x16x16bf16_1k v[18:21], v[38:39], v[50:51], v[18:21]
	v_or_b32_e32 v38, 64, v62
	v_ashrrev_i32_e32 v39, 4, v38
	v_mfma_f32_16x16x16bf16_1k v[54:57], v[40:41], v[52:53], v[18:21]
	s_waitcnt vmcnt(2)
	v_mfma_f32_16x16x16bf16_1k v[14:17], v[46:47], v[10:11], v[14:17]
	v_mfma_f32_16x16x16bf16_1k v[14:17], v[48:49], v[12:13], v[14:17]
	global_load_dwordx4 v[46:49], v[26:27], off offset:3072
	v_lshlrev_b64 v[26:27], 1, v[32:33]
	v_ashrrev_i32_e32 v32, 4, v62
	v_cndmask_b32_e32 v32, v63, v32, vcc
	v_ashrrev_i32_e32 v33, 31, v32
	v_cmp_gt_i32_e32 vcc, s38, v38
	v_cndmask_b32_e32 v38, v63, v39, vcc
	s_waitcnt vmcnt(2)
	v_mfma_f32_16x16x16bf16_1k v[14:17], v[22:23], v[50:51], v[14:17]
	v_lshlrev_b64 v[22:23], 2, v[32:33]
	v_add_co_u32_e32 v22, vcc, s16, v22
	v_addc_co_u32_e32 v23, vcc, v28, v23, vcc
	v_add_co_u32_e32 v18, vcc, v29, v26
	v_addc_co_u32_e32 v19, vcc, v30, v27, vcc
	;; [unrolled: 2-line block ×3, first 2 shown]
	v_mfma_f32_16x16x16bf16_1k v[64:67], v[24:25], v[52:53], v[14:17]
	global_load_dword v30, v[22:23], off
	v_ashrrev_i32_e32 v39, 31, v38
	v_lshlrev_b64 v[32:33], 2, v[38:39]
	v_add_co_u32_e32 v18, vcc, s16, v32
	v_addc_co_u32_e32 v19, vcc, v68, v33, vcc
	s_nop 1
	global_load_dwordx4 v[14:17], v[26:27], off
	global_load_dword v31, v[18:19], off
	s_nop 0
	global_load_dwordx4 v[18:21], v[26:27], off offset:1024
	global_load_dwordx4 v[68:71], v[26:27], off offset:2048
	;; [unrolled: 1-line block ×3, first 2 shown]
	v_mfma_f32_16x16x16bf16_1k v[22:25], v[58:59], v[6:7], v[34:37]
	v_or_b32_e32 v28, 0x80, v62
	v_ashrrev_i32_e32 v29, 4, v28
	v_cmp_gt_i32_e32 vcc, s38, v28
	v_cndmask_b32_e32 v28, v63, v29, vcc
	v_ashrrev_i32_e32 v29, 31, v28
	v_lshlrev_b64 v[28:29], 2, v[28:29]
	v_mov_b32_e32 v32, s17
	v_mfma_f32_16x16x16bf16_1k v[22:25], v[60:61], v[8:9], v[22:25]
	v_add_co_u32_e32 v28, vcc, s16, v28
	v_addc_co_u32_e32 v29, vcc, v32, v29, vcc
	global_load_dword v32, v[28:29], off
	v_or_b32_e32 v28, 0xc0, v62
	v_ashrrev_i32_e32 v29, 4, v28
	v_cmp_gt_i32_e32 vcc, s38, v28
	v_cndmask_b32_e32 v28, v63, v29, vcc
	v_ashrrev_i32_e32 v29, 31, v28
	v_lshlrev_b64 v[28:29], 2, v[28:29]
	s_waitcnt vmcnt(8)
	v_mfma_f32_16x16x16bf16_1k v[22:25], v[42:43], v[10:11], v[22:25]
	v_mov_b32_e32 v33, s17
	v_add_co_u32_e32 v28, vcc, s16, v28
	v_addc_co_u32_e32 v29, vcc, v33, v29, vcc
	global_load_dword v58, v[28:29], off
	v_mov_b32_e32 v26, s10
	v_mfma_f32_16x16x16bf16_1k v[22:25], v[44:45], v[12:13], v[22:25]
	v_add_co_u32_e32 v77, vcc, s8, v76
	v_addc_co_u32_e32 v78, vcc, 0, v26, vcc
	v_pk_mul_f32 v[80:81], s[0:1], v[66:67] op_sel_hi:[0,1]
	s_waitcnt vmcnt(8)
	v_mfma_f32_16x16x16bf16_1k v[22:25], v[46:47], v[50:51], v[22:25]
	v_mfma_f32_16x16x16bf16_1k v[88:91], v[48:49], v[52:53], v[22:25]
	s_waitcnt vmcnt(7)
	s_nop 7
	s_nop 0
	v_mad_i64_i32 v[22:23], s[2:3], v30, s1, 0
	v_lshlrev_b64 v[62:63], 1, v[22:23]
	s_waitcnt vmcnt(6)
	v_mfma_f32_16x16x16bf16_1k v[22:25], v[14:15], v[2:3], 0
	v_add_co_u32_e32 v2, vcc, v77, v62
	v_addc_co_u32_e32 v3, vcc, v78, v63, vcc
	global_load_dwordx4 v[46:49], v[2:3], off
	global_load_dwordx4 v[42:45], v[2:3], off offset:16
	s_waitcnt vmcnt(7)
	v_mad_i64_i32 v[2:3], s[2:3], v31, s1, 0
	v_lshlrev_b64 v[14:15], 1, v[2:3]
	v_mfma_f32_16x16x16bf16_1k v[2:5], v[16:17], v[4:5], v[22:25]
	v_add_co_u32_e32 v16, vcc, v77, v14
	v_addc_co_u32_e32 v17, vcc, v78, v15, vcc
	global_load_dwordx4 v[38:41], v[16:17], off
	global_load_dwordx4 v[34:37], v[16:17], off offset:16
	s_waitcnt vmcnt(5)
	v_mad_i64_i32 v[16:17], s[2:3], v32, s1, 0
	v_mfma_f32_16x16x16bf16_1k v[2:5], v[18:19], v[6:7], v[2:5]
	v_lshlrev_b64 v[60:61], 1, v[16:17]
	v_add_co_u32_e32 v6, vcc, v77, v60
	v_addc_co_u32_e32 v7, vcc, v78, v61, vcc
	global_load_dwordx4 v[30:33], v[6:7], off
	global_load_dwordx4 v[26:29], v[6:7], off offset:16
	s_waitcnt vmcnt(6)
	v_mad_i64_i32 v[6:7], s[2:3], v58, s1, 0
	v_mfma_f32_16x16x16bf16_1k v[2:5], v[20:21], v[8:9], v[2:5]
	v_lshlrev_b64 v[58:59], 1, v[6:7]
	v_add_co_u32_e32 v6, vcc, v77, v58
	v_addc_co_u32_e32 v7, vcc, v78, v59, vcc
	global_load_dwordx4 v[22:25], v[6:7], off
	global_load_dwordx4 v[18:21], v[6:7], off offset:16
	v_or_b32_e32 v6, 0x800, v76
	v_mfma_f32_16x16x16bf16_1k v[2:5], v[68:69], v[10:11], v[2:5]
	v_mov_b32_e32 v7, s10
	v_add_co_u32_e32 v68, vcc, s8, v6
	v_addc_co_u32_e32 v69, vcc, 0, v7, vcc
	v_pk_mul_f32 v[78:79], s[0:1], v[56:57] op_sel_hi:[0,1]
	v_pk_mul_f32 v[76:77], s[0:1], v[90:91] op_sel_hi:[0,1]
	v_mfma_f32_16x16x16bf16_1k v[10:13], v[70:71], v[12:13], v[2:5]
	v_pk_mul_f32 v[70:71], s[0:1], v[64:65] op_sel_hi:[0,1]
	v_mfma_f32_16x16x16bf16_1k v[92:95], v[72:73], v[50:51], v[10:13]
	s_nop 4
	v_add_co_u32_e32 v2, vcc, v68, v62
	v_addc_co_u32_e32 v3, vcc, v69, v63, vcc
	v_add_co_u32_e32 v62, vcc, v68, v14
	v_addc_co_u32_e32 v63, vcc, v69, v15, vcc
	v_mfma_f32_16x16x16bf16_1k v[50:53], v[74:75], v[52:53], v[92:95]
	global_load_dwordx4 v[6:9], v[2:3], off
	s_nop 0
	global_load_dwordx4 v[2:5], v[2:3], off offset:16
	s_nop 0
	global_load_dwordx4 v[14:17], v[62:63], off
	global_load_dwordx4 v[10:13], v[62:63], off offset:16
	v_pk_mul_f32 v[62:63], s[0:1], v[54:55] op_sel_hi:[0,1]
	v_pk_mul_f32 v[72:73], s[0:1], v[88:89] op_sel_hi:[0,1]
	s_nop 2
	v_pk_mul_f32 v[74:75], s[0:1], v[50:51] op_sel_hi:[0,1]
	v_and_b32_e32 v50, 0xc0, v0
	v_add_u32_e32 v50, s9, v50
	v_lshl_or_b32 v50, v1, 2, v50
	v_pk_mul_f32 v[66:67], s[0:1], v[52:53] op_sel_hi:[0,1]
	v_or_b32_e32 v53, 1, v50
	v_mov_b32_e32 v51, 0xff7fffff
	v_cmp_gt_i32_e64 s[28:29], s38, v50
	v_cmp_gt_i32_e64 s[30:31], s38, v53
	v_cndmask_b32_e64 v52, v51, v62, s[28:29]
	v_cndmask_b32_e64 v53, v51, v63, s[30:31]
	v_max3_f32 v52, v52, s40, v53
	v_or_b32_e32 v53, 2, v50
	v_or_b32_e32 v54, 3, v50
	v_cmp_gt_i32_e64 s[34:35], s38, v53
	v_cmp_gt_i32_e64 s[36:37], s38, v54
	v_cndmask_b32_e64 v53, v51, v78, s[34:35]
	v_cndmask_b32_e64 v54, v51, v79, s[36:37]
	v_max3_f32 v52, v52, v53, v54
	v_or_b32_e32 v53, 16, v50
	v_or_b32_e32 v54, 17, v50
	;; [unrolled: 7-line block ×7, first 2 shown]
	v_cmp_gt_i32_e32 vcc, s38, v53
	v_cmp_gt_i32_e64 s[0:1], s38, v50
	v_cndmask_b32_e32 v53, v51, v66, vcc
	v_cndmask_b32_e64 v50, v51, v67, s[0:1]
	v_max3_f32 v64, v52, v53, v50
	v_mbcnt_lo_u32_b32 v50, -1, 0
	v_mbcnt_hi_u32_b32 v65, -1, v50
	v_and_b32_e32 v50, 64, v65
	v_add_u32_e32 v88, 64, v50
	v_xor_b32_e32 v50, 32, v65
	v_cmp_lt_i32_e64 s[38:39], v50, v88
	v_cndmask_b32_e64 v50, v65, v50, s[38:39]
	v_lshlrev_b32_e32 v89, 2, v50
	ds_bpermute_b32 v90, v89, v64
	v_add_co_u32_e64 v50, s[38:39], v68, v60
	v_addc_co_u32_e64 v51, s[38:39], v69, v61, s[38:39]
	v_xor_b32_e32 v61, 16, v65
	v_cmp_lt_i32_e64 s[38:39], v61, v88
	s_waitcnt lgkmcnt(0)
	v_max_f32_e32 v60, v90, v90
	v_cndmask_b32_e64 v61, v65, v61, s[38:39]
	v_max_f32_e32 v60, v64, v60
	v_lshlrev_b32_e32 v90, 2, v61
	ds_bpermute_b32 v61, v90, v60
	v_add_co_u32_e64 v58, s[38:39], v68, v58
	v_addc_co_u32_e64 v59, s[38:39], v69, v59, s[38:39]
	s_waitcnt lgkmcnt(0)
	v_max_f32_e32 v61, v61, v61
	v_max_f32_e32 v88, v60, v61
	v_sub_f32_e32 v60, v62, v88
	v_mul_f32_e32 v60, 0x3fb8aa3b, v60
	v_exp_f32_e32 v68, v60
	v_sub_f32_e32 v60, v63, v88
	v_mul_f32_e32 v60, 0x3fb8aa3b, v60
	global_load_dwordx4 v[54:57], v[50:51], off
	s_nop 0
	global_load_dwordx4 v[50:53], v[50:51], off offset:16
	v_exp_f32_e32 v69, v60
	global_load_dwordx4 v[62:65], v[58:59], off
	s_nop 0
	global_load_dwordx4 v[58:61], v[58:59], off offset:16
	v_sub_f32_e32 v78, v78, v88
	v_mul_f32_e32 v78, 0x3fb8aa3b, v78
	v_sub_f32_e32 v79, v79, v88
	v_exp_f32_e32 v78, v78
	v_mul_f32_e32 v79, 0x3fb8aa3b, v79
	v_sub_f32_e32 v70, v70, v88
	v_exp_f32_e32 v79, v79
	v_mul_f32_e32 v70, 0x3fb8aa3b, v70
	v_sub_f32_e32 v71, v71, v88
	v_cndmask_b32_e64 v68, 0, v68, s[28:29]
	v_exp_f32_e32 v70, v70
	v_mul_f32_e32 v71, 0x3fb8aa3b, v71
	v_sub_f32_e32 v80, v80, v88
	v_add_f32_e32 v91, 0, v68
	v_cndmask_b32_e64 v69, 0, v69, s[30:31]
	v_exp_f32_e32 v71, v71
	v_mul_f32_e32 v80, 0x3fb8aa3b, v80
	v_sub_f32_e32 v81, v81, v88
	v_add_f32_e32 v91, v91, v69
	;; [unrolled: 5-line block ×10, first 2 shown]
	v_cndmask_b32_e64 v76, 0, v76, s[10:11]
	v_exp_f32_e32 v66, v66
	v_mul_f32_e32 v67, 0x3fb8aa3b, v67
	v_add_f32_e32 v91, v91, v76
	v_cndmask_b32_e64 v77, 0, v77, s[12:13]
	v_exp_f32_e32 v67, v67
	v_add_f32_e32 v91, v91, v77
	v_cndmask_b32_e64 v74, 0, v74, s[2:3]
	v_add_f32_e32 v91, v91, v74
	v_cndmask_b32_e64 v75, 0, v75, s[8:9]
	v_add_f32_e32 v91, v91, v75
	v_cndmask_b32_e32 v66, 0, v66, vcc
	v_add_f32_e32 v91, v91, v66
	v_cndmask_b32_e64 v67, 0, v67, s[0:1]
	v_add_f32_e32 v91, v91, v67
	ds_bpermute_b32 v89, v89, v91
	v_cmp_gt_u32_e32 vcc, 16, v86
	s_waitcnt lgkmcnt(0)
	s_barrier
	v_add_f32_e32 v89, v91, v89
	ds_bpermute_b32 v90, v90, v89
	s_and_saveexec_b64 s[0:1], vcc
	s_cbranch_execz .LBB338_13
; %bb.12:
	s_waitcnt lgkmcnt(0)
	v_add_f32_e32 v86, v89, v90
	v_lshlrev_b32_e32 v87, 2, v87
	ds_write2st64_b32 v87, v88, v86 offset1:1
.LBB338_13:
	s_or_b64 exec, exec, s[0:1]
	v_lshlrev_b32_e32 v87, 2, v83
	s_load_dword s2, s[4:5], 0x94
	s_waitcnt lgkmcnt(0)
	s_barrier
	ds_read2_b32 v[88:89], v87 offset1:16
	ds_read2_b32 v[90:91], v87 offset0:32 offset1:48
	ds_read2_b32 v[92:93], v87 offset0:64 offset1:80
	s_movk_i32 s8, 0x7fff
	s_mov_b32 s9, 0x7060302
	s_waitcnt lgkmcnt(2)
	v_max3_f32 v86, v88, s40, v89
	s_waitcnt lgkmcnt(1)
	v_max3_f32 v86, v86, v90, v91
	v_sub_f32_e32 v88, v88, v86
	v_mul_f32_e32 v88, 0x3fb8aa3b, v88
	v_exp_f32_e32 v94, v88
	v_sub_f32_e32 v88, v89, v86
	v_mul_f32_e32 v88, 0x3fb8aa3b, v88
	v_exp_f32_e32 v95, v88
	;; [unrolled: 3-line block ×3, first 2 shown]
	ds_read2_b32 v[88:89], v87 offset0:96 offset1:112
	v_sub_f32_e32 v87, v91, v86
	v_mul_f32_e32 v87, 0x3fb8aa3b, v87
	v_exp_f32_e32 v91, v87
	s_waitcnt lgkmcnt(1)
	v_fma_f32 v87, v94, v92, 0
	v_fmac_f32_e32 v87, v95, v93
	s_waitcnt lgkmcnt(0)
	v_fmac_f32_e32 v87, v90, v88
	v_fmac_f32_e32 v87, v91, v89
	v_add_f32_e32 v88, 0x358637bd, v87
	v_div_scale_f32 v89, s[0:1], v88, v88, 1.0
	v_rcp_f32_e32 v92, v89
	s_barrier
	v_fma_f32 v93, -v89, v92, 1.0
	v_fmac_f32_e32 v92, v93, v92
	v_div_scale_f32 v93, vcc, 1.0, v88, 1.0
	v_mul_f32_e32 v82, v93, v92
	v_fma_f32 v84, -v89, v82, v93
	v_fmac_f32_e32 v82, v84, v92
	v_fma_f32 v84, -v89, v82, v93
	v_div_fmas_f32 v82, v84, v92, v82
	v_cmp_eq_u32_e32 vcc, 1, v85
	v_cndmask_b32_e32 v84, v94, v95, vcc
	v_cmp_eq_u32_e32 vcc, 2, v85
	v_cndmask_b32_e32 v84, v84, v90, vcc
	v_cmp_eq_u32_e32 vcc, 3, v85
	v_div_fixup_f32 v82, v82, v88, 1.0
	v_cndmask_b32_e32 v84, v84, v91, vcc
	v_mul_f32_e32 v88, v84, v82
	v_pk_mul_f32 v[68:69], v[88:89], v[68:69] op_sel_hi:[0,1]
	v_bfe_u32 v82, v69, 16, 1
	v_bfe_u32 v84, v68, 16, 1
	v_pk_mul_f32 v[78:79], v[88:89], v[78:79] op_sel_hi:[0,1]
	v_add3_u32 v68, v68, v84, s8
	v_add3_u32 v69, v69, v82, s8
	v_perm_b32 v90, v69, v68, s9
	v_bfe_u32 v68, v79, 16, 1
	v_bfe_u32 v69, v78, 16, 1
	v_add3_u32 v69, v78, v69, s8
	v_add3_u32 v68, v79, v68, s8
	v_perm_b32 v91, v68, v69, s9
	v_lshlrev_b32_e32 v69, 3, v1
	v_lshlrev_b32_e32 v68, 5, v83
	;; [unrolled: 1-line block ×3, first 2 shown]
	v_pk_mul_f32 v[70:71], v[88:89], v[70:71] op_sel_hi:[0,1]
	v_or3_b32 v78, v78, v68, v69
	v_bfe_u32 v69, v71, 16, 1
	v_bfe_u32 v79, v70, 16, 1
	v_pk_mul_f32 v[80:81], v[88:89], v[80:81] op_sel_hi:[0,1]
	v_add3_u32 v70, v70, v79, s8
	v_add3_u32 v69, v71, v69, s8
	v_perm_b32 v70, v69, v70, s9
	v_bfe_u32 v69, v81, 16, 1
	v_bfe_u32 v71, v80, 16, 1
	v_add3_u32 v71, v80, v71, s8
	v_add3_u32 v69, v81, v69, s8
	v_perm_b32 v71, v69, v71, s9
	v_pk_mul_f32 v[72:73], v[88:89], v[72:73] op_sel_hi:[0,1]
	ds_write2st64_b64 v78, v[90:91], v[70:71] offset1:1
	v_pk_mul_f32 v[70:71], v[88:89], v[76:77] op_sel_hi:[0,1]
	v_bfe_u32 v69, v73, 16, 1
	v_bfe_u32 v76, v72, 16, 1
	v_add3_u32 v72, v72, v76, s8
	v_add3_u32 v69, v73, v69, s8
	v_perm_b32 v72, v69, v72, s9
	v_bfe_u32 v69, v71, 16, 1
	v_bfe_u32 v73, v70, 16, 1
	v_add3_u32 v70, v70, v73, s8
	v_add3_u32 v69, v71, v69, s8
	v_perm_b32 v73, v69, v70, s9
	v_pk_mul_f32 v[70:71], v[88:89], v[74:75] op_sel_hi:[0,1]
	v_bfe_u32 v69, v71, 16, 1
	v_bfe_u32 v74, v70, 16, 1
	v_pk_mul_f32 v[66:67], v[88:89], v[66:67] op_sel_hi:[0,1]
	v_add3_u32 v70, v70, v74, s8
	v_add3_u32 v69, v71, v69, s8
	v_perm_b32 v70, v69, v70, s9
	v_bfe_u32 v69, v67, 16, 1
	v_bfe_u32 v71, v66, 16, 1
	v_add3_u32 v66, v66, v71, s8
	v_add3_u32 v67, v67, v69, s8
	s_mul_i32 s3, s33, 15
	v_perm_b32 v71, v67, v66, s9
	v_cmp_gt_u32_e32 vcc, 15, v0
	ds_write2st64_b64 v78, v[72:73], v[70:71] offset0:2 offset1:3
	s_and_saveexec_b64 s[0:1], vcc
	s_cbranch_execz .LBB338_15
; %bb.14:
	v_add_co_u32_e32 v70, vcc, s27, v83
	v_addc_co_u32_e64 v71, s[10:11], 0, 0, vcc
	v_mov_b32_e32 v66, s3
	v_mov_b32_e32 v67, 0
	v_mad_u64_u32 v[70:71], s[10:11], s6, v66, v[70:71]
	v_mov_b32_e32 v66, s26
	s_load_dwordx4 s[12:15], s[4:5], 0x58
	s_mul_i32 s7, s7, s3
	v_mad_u64_u32 v[66:67], s[10:11], v70, s2, v[66:67]
	v_add_u32_e32 v69, s7, v71
	v_mov_b32_e32 v70, v67
	v_mad_u64_u32 v[70:71], s[10:11], v69, s2, v[70:71]
	v_mov_b32_e32 v67, v70
	v_lshlrev_b64 v[66:67], 2, v[66:67]
	s_waitcnt lgkmcnt(0)
	v_mov_b32_e32 v69, s15
	v_add_co_u32_e32 v70, vcc, s14, v66
	v_addc_co_u32_e32 v71, vcc, v69, v67, vcc
	v_mov_b32_e32 v69, s13
	v_add_co_u32_e32 v66, vcc, s12, v66
	v_addc_co_u32_e32 v67, vcc, v69, v67, vcc
	global_store_dword v[70:71], v86, off
	global_store_dword v[66:67], v87, off
.LBB338_15:
	s_or_b64 exec, exec, s[0:1]
	v_lshl_or_b32 v79, v1, 9, v68
	s_waitcnt lgkmcnt(0)
	s_barrier
	ds_read_b128 v[70:73], v79
	ds_read_b128 v[66:69], v79 offset:16
	s_waitcnt vmcnt(15) lgkmcnt(1)
	v_mfma_f32_16x16x16bf16_1k v[74:77], v[46:47], v[70:71], 0
	s_mov_b32 s1, 0
	v_cmp_gt_u32_e32 vcc, 64, v0
	v_mfma_f32_16x16x16bf16_1k v[46:49], v[48:49], v[72:73], v[74:77]
	s_waitcnt vmcnt(14) lgkmcnt(0)
	v_mfma_f32_16x16x16bf16_1k v[46:49], v[42:43], v[66:67], v[46:49]
	v_mfma_f32_16x16x16bf16_1k v[42:45], v[44:45], v[68:69], v[46:49]
	s_nop 7
	s_nop 1
	ds_read_b128 v[46:49], v79 offset:2048
	ds_read_b128 v[74:77], v79 offset:2064
	s_waitcnt vmcnt(13) lgkmcnt(1)
	v_mfma_f32_16x16x16bf16_1k v[42:45], v[38:39], v[46:47], v[42:45]
	v_mfma_f32_16x16x16bf16_1k v[38:41], v[40:41], v[48:49], v[42:45]
	s_waitcnt vmcnt(12) lgkmcnt(0)
	v_mfma_f32_16x16x16bf16_1k v[38:41], v[34:35], v[74:75], v[38:41]
	v_mfma_f32_16x16x16bf16_1k v[34:37], v[36:37], v[76:77], v[38:41]
	s_nop 7
	s_nop 1
	ds_read_b128 v[38:41], v79 offset:4096
	ds_read_b128 v[42:45], v79 offset:4112
	s_waitcnt vmcnt(11) lgkmcnt(1)
	v_mfma_f32_16x16x16bf16_1k v[34:37], v[30:31], v[38:39], v[34:37]
	v_mfma_f32_16x16x16bf16_1k v[30:33], v[32:33], v[40:41], v[34:37]
	s_waitcnt vmcnt(10) lgkmcnt(0)
	v_mfma_f32_16x16x16bf16_1k v[30:33], v[26:27], v[42:43], v[30:33]
	v_mfma_f32_16x16x16bf16_1k v[26:29], v[28:29], v[44:45], v[30:33]
	s_nop 7
	s_nop 1
	ds_read_b128 v[30:33], v79 offset:6144
	ds_read_b128 v[34:37], v79 offset:6160
	s_waitcnt lgkmcnt(0)
	s_barrier
	s_waitcnt vmcnt(9)
	v_mfma_f32_16x16x16bf16_1k v[26:29], v[22:23], v[30:31], v[26:29]
	v_mfma_f32_16x16x16bf16_1k v[22:25], v[24:25], v[32:33], v[26:29]
	s_waitcnt vmcnt(8)
	v_mfma_f32_16x16x16bf16_1k v[22:25], v[18:19], v[34:35], v[22:25]
	v_mfma_f32_16x16x16bf16_1k v[18:21], v[20:21], v[36:37], v[22:25]
	;; [unrolled: 3-line block ×4, first 2 shown]
	s_waitcnt vmcnt(5)
	v_mfma_f32_16x16x16bf16_1k v[2:5], v[14:15], v[46:47], v[2:5]
	s_nop 7
	v_bfe_u32 v6, v19, 16, 1
	v_bfe_u32 v7, v18, 16, 1
	v_add3_u32 v7, v18, v7, s8
	v_add3_u32 v6, v19, v6, s8
	v_perm_b32 v6, v6, v7, s9
	v_bfe_u32 v7, v21, 16, 1
	v_bfe_u32 v8, v20, 16, 1
	v_mfma_f32_16x16x16bf16_1k v[2:5], v[16:17], v[48:49], v[2:5]
	v_add3_u32 v8, v20, v8, s8
	v_add3_u32 v7, v21, v7, s8
	v_perm_b32 v7, v7, v8, s9
	s_waitcnt vmcnt(4)
	v_mfma_f32_16x16x16bf16_1k v[2:5], v[10:11], v[74:75], v[2:5]
	v_mfma_f32_16x16x16bf16_1k v[2:5], v[12:13], v[76:77], v[2:5]
	s_waitcnt vmcnt(3)
	v_mfma_f32_16x16x16bf16_1k v[2:5], v[54:55], v[38:39], v[2:5]
	v_mfma_f32_16x16x16bf16_1k v[2:5], v[56:57], v[40:41], v[2:5]
	;; [unrolled: 3-line block ×5, first 2 shown]
	s_nop 7
	s_nop 2
	v_bfe_u32 v8, v3, 16, 1
	v_bfe_u32 v9, v2, 16, 1
	v_add3_u32 v2, v2, v9, s8
	v_add3_u32 v3, v3, v8, s8
	v_perm_b32 v2, v3, v2, s9
	v_bfe_u32 v3, v5, 16, 1
	v_bfe_u32 v8, v4, 16, 1
	v_add3_u32 v4, v4, v8, s8
	v_add3_u32 v3, v5, v3, s8
	v_perm_b32 v3, v3, v4, s9
	ds_write2st64_b64 v78, v[6:7], v[2:3] offset1:1
	s_waitcnt lgkmcnt(0)
	s_barrier
	s_and_saveexec_b64 s[8:9], vcc
	s_cbranch_execz .LBB338_18
; %bb.16:
	v_lshlrev_b32_e32 v4, 6, v83
	v_lshlrev_b32_e32 v3, 4, v0
	v_lshl_or_b32 v0, v0, 10, v4
	v_lshlrev_b32_e32 v2, 5, v1
	v_and_b32_e32 v3, 16, v3
	v_and_b32_e32 v0, 0x1a00, v0
	v_or3_b32 v0, v0, v2, v3
	buffer_load_dword v2, off, s[44:47], 0  ; 4-byte Folded Reload
	s_load_dwordx2 s[4:5], s[4:5], 0x68
	s_lshl_b32 s2, s2, 7
	s_mul_i32 s0, s3, s6
	s_mul_hi_u32 s7, s0, s2
	s_mul_i32 s6, s0, s2
	s_lshl_b64 s[6:7], s[6:7], 1
	s_waitcnt lgkmcnt(0)
	s_add_u32 s3, s4, s6
	s_addc_u32 s4, s5, s7
	s_lshl_b32 s0, s26, 7
	s_lshl_b64 s[0:1], s[0:1], 1
	s_add_u32 s0, s3, s0
	ds_read_b128 v[4:7], v0 offset:256
	s_addc_u32 s1, s4, s1
	ds_read_b128 v[8:11], v0 offset:128
	ds_read_b128 v[12:15], v0
	v_add_u32_e32 v18, s27, v1
	v_mov_b32_e32 v3, s1
	s_waitcnt vmcnt(0)
	v_add_co_u32_e32 v2, vcc, s0, v2
	v_mad_u64_u32 v[16:17], s[0:1], v18, s2, 0
	v_addc_co_u32_e32 v3, vcc, 0, v3, vcc
	v_lshlrev_b64 v[16:17], 1, v[16:17]
	v_add_co_u32_e32 v16, vcc, v2, v16
	v_addc_co_u32_e32 v17, vcc, v3, v17, vcc
	s_waitcnt lgkmcnt(0)
	global_store_dwordx4 v[16:17], v[12:15], off
	s_nop 0
	v_add_u32_e32 v12, 4, v18
	v_mad_u64_u32 v[12:13], s[0:1], v12, s2, 0
	v_lshlrev_b64 v[12:13], 1, v[12:13]
	v_add_co_u32_e32 v12, vcc, v2, v12
	v_addc_co_u32_e32 v13, vcc, v3, v13, vcc
	global_store_dwordx4 v[12:13], v[8:11], off
	s_nop 0
	v_add_u32_e32 v8, 8, v18
	v_mad_u64_u32 v[8:9], s[0:1], v8, s2, 0
	v_lshlrev_b64 v[8:9], 1, v[8:9]
	v_add_co_u32_e32 v8, vcc, v2, v8
	v_addc_co_u32_e32 v9, vcc, v3, v9, vcc
	v_cmp_ne_u32_e32 vcc, 3, v1
	global_store_dwordx4 v[8:9], v[4:7], off
	s_and_b64 exec, exec, vcc
	s_cbranch_execz .LBB338_18
; %bb.17:
	ds_read_b128 v[4:7], v0 offset:384
	v_add3_u32 v0, s27, v1, 12
	v_mad_u64_u32 v[0:1], s[0:1], v0, s2, 0
	v_lshlrev_b64 v[0:1], 1, v[0:1]
	v_add_co_u32_e32 v0, vcc, v2, v0
	v_addc_co_u32_e32 v1, vcc, v3, v1, vcc
	s_waitcnt lgkmcnt(0)
	global_store_dwordx4 v[0:1], v[4:7], off
.LBB338_18:
	s_endpgm
	.section	.rodata,"a",@progbits
	.p2align	6, 0x0
	.amdhsa_kernel _Z39paged_attention_ll4mi_QKV_mfma16_kernelI14__hip_bfloat16S0_LN4vllm18Fp8KVCacheDataTypeE0ES0_Li16ELi128ELi256ELb0ELi15EL8MFMAType0EEvPKT_PKT0_S9_ifPKiSB_SB_iPKfiiiPfSE_PS4_PT2_iSD_SD_
		.amdhsa_group_segment_fixed_size 8192
		.amdhsa_private_segment_fixed_size 8
		.amdhsa_kernarg_size 400
		.amdhsa_user_sgpr_count 6
		.amdhsa_user_sgpr_private_segment_buffer 1
		.amdhsa_user_sgpr_dispatch_ptr 0
		.amdhsa_user_sgpr_queue_ptr 0
		.amdhsa_user_sgpr_kernarg_segment_ptr 1
		.amdhsa_user_sgpr_dispatch_id 0
		.amdhsa_user_sgpr_flat_scratch_init 0
		.amdhsa_user_sgpr_kernarg_preload_length 0
		.amdhsa_user_sgpr_kernarg_preload_offset 0
		.amdhsa_user_sgpr_private_segment_size 0
		.amdhsa_uses_dynamic_stack 0
		.amdhsa_system_sgpr_private_segment_wavefront_offset 1
		.amdhsa_system_sgpr_workgroup_id_x 1
		.amdhsa_system_sgpr_workgroup_id_y 1
		.amdhsa_system_sgpr_workgroup_id_z 1
		.amdhsa_system_sgpr_workgroup_info 0
		.amdhsa_system_vgpr_workitem_id 0
		.amdhsa_next_free_vgpr 96
		.amdhsa_next_free_sgpr 48
		.amdhsa_accum_offset 96
		.amdhsa_reserve_vcc 1
		.amdhsa_reserve_flat_scratch 0
		.amdhsa_float_round_mode_32 0
		.amdhsa_float_round_mode_16_64 0
		.amdhsa_float_denorm_mode_32 3
		.amdhsa_float_denorm_mode_16_64 3
		.amdhsa_dx10_clamp 1
		.amdhsa_ieee_mode 1
		.amdhsa_fp16_overflow 0
		.amdhsa_tg_split 0
		.amdhsa_exception_fp_ieee_invalid_op 0
		.amdhsa_exception_fp_denorm_src 0
		.amdhsa_exception_fp_ieee_div_zero 0
		.amdhsa_exception_fp_ieee_overflow 0
		.amdhsa_exception_fp_ieee_underflow 0
		.amdhsa_exception_fp_ieee_inexact 0
		.amdhsa_exception_int_div_zero 0
	.end_amdhsa_kernel
	.section	.text._Z39paged_attention_ll4mi_QKV_mfma16_kernelI14__hip_bfloat16S0_LN4vllm18Fp8KVCacheDataTypeE0ES0_Li16ELi128ELi256ELb0ELi15EL8MFMAType0EEvPKT_PKT0_S9_ifPKiSB_SB_iPKfiiiPfSE_PS4_PT2_iSD_SD_,"axG",@progbits,_Z39paged_attention_ll4mi_QKV_mfma16_kernelI14__hip_bfloat16S0_LN4vllm18Fp8KVCacheDataTypeE0ES0_Li16ELi128ELi256ELb0ELi15EL8MFMAType0EEvPKT_PKT0_S9_ifPKiSB_SB_iPKfiiiPfSE_PS4_PT2_iSD_SD_,comdat
.Lfunc_end338:
	.size	_Z39paged_attention_ll4mi_QKV_mfma16_kernelI14__hip_bfloat16S0_LN4vllm18Fp8KVCacheDataTypeE0ES0_Li16ELi128ELi256ELb0ELi15EL8MFMAType0EEvPKT_PKT0_S9_ifPKiSB_SB_iPKfiiiPfSE_PS4_PT2_iSD_SD_, .Lfunc_end338-_Z39paged_attention_ll4mi_QKV_mfma16_kernelI14__hip_bfloat16S0_LN4vllm18Fp8KVCacheDataTypeE0ES0_Li16ELi128ELi256ELb0ELi15EL8MFMAType0EEvPKT_PKT0_S9_ifPKiSB_SB_iPKfiiiPfSE_PS4_PT2_iSD_SD_
                                        ; -- End function
	.section	.AMDGPU.csdata,"",@progbits
; Kernel info:
; codeLenInByte = 4972
; NumSgprs: 52
; NumVgprs: 96
; NumAgprs: 0
; TotalNumVgprs: 96
; ScratchSize: 8
; MemoryBound: 0
; FloatMode: 240
; IeeeMode: 1
; LDSByteSize: 8192 bytes/workgroup (compile time only)
; SGPRBlocks: 6
; VGPRBlocks: 11
; NumSGPRsForWavesPerEU: 52
; NumVGPRsForWavesPerEU: 96
; AccumOffset: 96
; Occupancy: 5
; WaveLimiterHint : 1
; COMPUTE_PGM_RSRC2:SCRATCH_EN: 1
; COMPUTE_PGM_RSRC2:USER_SGPR: 6
; COMPUTE_PGM_RSRC2:TRAP_HANDLER: 0
; COMPUTE_PGM_RSRC2:TGID_X_EN: 1
; COMPUTE_PGM_RSRC2:TGID_Y_EN: 1
; COMPUTE_PGM_RSRC2:TGID_Z_EN: 1
; COMPUTE_PGM_RSRC2:TIDIG_COMP_CNT: 0
; COMPUTE_PGM_RSRC3_GFX90A:ACCUM_OFFSET: 23
; COMPUTE_PGM_RSRC3_GFX90A:TG_SPLIT: 0
	.section	.text._Z39paged_attention_ll4mi_QKV_mfma16_kernelI14__hip_bfloat16S0_LN4vllm18Fp8KVCacheDataTypeE0ES0_Li16ELi128ELi256ELb0ELi16EL8MFMAType0EEvPKT_PKT0_S9_ifPKiSB_SB_iPKfiiiPfSE_PS4_PT2_iSD_SD_,"axG",@progbits,_Z39paged_attention_ll4mi_QKV_mfma16_kernelI14__hip_bfloat16S0_LN4vllm18Fp8KVCacheDataTypeE0ES0_Li16ELi128ELi256ELb0ELi16EL8MFMAType0EEvPKT_PKT0_S9_ifPKiSB_SB_iPKfiiiPfSE_PS4_PT2_iSD_SD_,comdat
	.protected	_Z39paged_attention_ll4mi_QKV_mfma16_kernelI14__hip_bfloat16S0_LN4vllm18Fp8KVCacheDataTypeE0ES0_Li16ELi128ELi256ELb0ELi16EL8MFMAType0EEvPKT_PKT0_S9_ifPKiSB_SB_iPKfiiiPfSE_PS4_PT2_iSD_SD_ ; -- Begin function _Z39paged_attention_ll4mi_QKV_mfma16_kernelI14__hip_bfloat16S0_LN4vllm18Fp8KVCacheDataTypeE0ES0_Li16ELi128ELi256ELb0ELi16EL8MFMAType0EEvPKT_PKT0_S9_ifPKiSB_SB_iPKfiiiPfSE_PS4_PT2_iSD_SD_
	.globl	_Z39paged_attention_ll4mi_QKV_mfma16_kernelI14__hip_bfloat16S0_LN4vllm18Fp8KVCacheDataTypeE0ES0_Li16ELi128ELi256ELb0ELi16EL8MFMAType0EEvPKT_PKT0_S9_ifPKiSB_SB_iPKfiiiPfSE_PS4_PT2_iSD_SD_
	.p2align	8
	.type	_Z39paged_attention_ll4mi_QKV_mfma16_kernelI14__hip_bfloat16S0_LN4vllm18Fp8KVCacheDataTypeE0ES0_Li16ELi128ELi256ELb0ELi16EL8MFMAType0EEvPKT_PKT0_S9_ifPKiSB_SB_iPKfiiiPfSE_PS4_PT2_iSD_SD_,@function
_Z39paged_attention_ll4mi_QKV_mfma16_kernelI14__hip_bfloat16S0_LN4vllm18Fp8KVCacheDataTypeE0ES0_Li16ELi128ELi256ELb0ELi16EL8MFMAType0EEvPKT_PKT0_S9_ifPKiSB_SB_iPKfiiiPfSE_PS4_PT2_iSD_SD_: ; @_Z39paged_attention_ll4mi_QKV_mfma16_kernelI14__hip_bfloat16S0_LN4vllm18Fp8KVCacheDataTypeE0ES0_Li16ELi128ELi256ELb0ELi16EL8MFMAType0EEvPKT_PKT0_S9_ifPKiSB_SB_iPKfiiiPfSE_PS4_PT2_iSD_SD_
; %bb.0:
	s_mov_b64 s[46:47], s[2:3]
	s_mov_b64 s[44:45], s[0:1]
	s_load_dwordx2 s[0:1], s[4:5], 0x30
	s_add_u32 s44, s44, s9
	s_addc_u32 s45, s45, 0
	s_mov_b32 s26, s7
	s_mov_b64 s[10:11], 0
	s_waitcnt lgkmcnt(0)
	s_cmp_lg_u64 s[0:1], 0
	s_cselect_b64 s[2:3], -1, 0
	s_and_b64 vcc, exec, s[2:3]
	s_cbranch_vccz .LBB339_7
; %bb.1:
	s_add_i32 s12, s6, 1
	s_mov_b32 s13, 0
	s_lshl_b64 s[14:15], s[12:13], 2
	s_add_u32 s14, s0, s14
	s_mov_b32 s7, s13
	s_addc_u32 s15, s1, s15
	s_lshl_b64 s[12:13], s[6:7], 2
	s_add_u32 s12, s0, s12
	s_addc_u32 s13, s1, s13
	s_load_dword s9, s[14:15], 0x0
	s_load_dword s16, s[12:13], 0x0
	s_waitcnt lgkmcnt(0)
	s_sub_i32 s9, s9, s16
	s_cmp_eq_u32 s9, 1
	s_cselect_b64 s[12:13], -1, 0
	s_andn2_b64 vcc, exec, s[10:11]
	s_cbranch_vccnz .LBB339_3
.LBB339_2:
	s_mov_b32 s7, 0
	s_mov_b64 s[12:13], -1
.LBB339_3:
	s_andn2_b64 vcc, exec, s[12:13]
	s_cbranch_vccnz .LBB339_17
; %bb.4:
	s_load_dwordx2 s[12:13], s[4:5], 0x28
	s_lshl_b64 s[10:11], s[6:7], 2
	s_waitcnt lgkmcnt(0)
	s_add_u32 s12, s12, s10
	s_addc_u32 s13, s13, s11
	s_load_dword s38, s[12:13], 0x0
	s_lshl_b32 s9, s26, 8
	s_waitcnt lgkmcnt(0)
	s_cmp_ge_i32 s9, s38
	s_cbranch_scc1 .LBB339_17
; %bb.5:
	s_add_i32 s15, s38, 15
	s_load_dwordx2 s[12:13], s[4:5], 0x20
	s_load_dword s14, s[4:5], 0x38
	s_ashr_i32 s16, s15, 31
	v_and_b32_e32 v1, 0xcf, v0
	s_lshr_b32 s16, s16, 28
	v_add_u32_e32 v1, s9, v1
	s_add_i32 s15, s15, s16
	v_ashrrev_i32_e32 v2, 31, v1
	s_ashr_i32 s18, s15, 4
	v_lshrrev_b32_e32 v6, 28, v2
	s_add_i32 s18, s18, -1
	v_add_u32_e32 v2, v1, v6
	s_waitcnt lgkmcnt(0)
	s_mul_i32 s14, s6, s14
	s_mov_b32 s15, 0
	v_ashrrev_i32_e32 v2, 4, v2
	v_mov_b32_e32 v7, s18
	v_cmp_gt_i32_e32 vcc, s38, v1
	s_lshl_b64 s[14:15], s[14:15], 2
	v_cndmask_b32_e32 v2, v7, v2, vcc
	s_add_u32 s16, s12, s14
	v_ashrrev_i32_e32 v3, 31, v2
	s_addc_u32 s17, s13, s15
	v_lshlrev_b64 v[2:3], 2, v[2:3]
	v_mov_b32_e32 v5, s17
	v_add_co_u32_e32 v4, vcc, s16, v2
	v_or_b32_e32 v2, 16, v1
	v_addc_co_u32_e32 v5, vcc, v5, v3, vcc
	v_add_u32_e32 v3, v2, v6
	v_ashrrev_i32_e32 v3, 4, v3
	v_cmp_gt_i32_e32 vcc, s38, v2
	v_cndmask_b32_e32 v2, v7, v3, vcc
	v_ashrrev_i32_e32 v3, 31, v2
	v_lshlrev_b64 v[2:3], 2, v[2:3]
	v_mov_b32_e32 v9, s17
	v_add_co_u32_e32 v8, vcc, s16, v2
	v_or_b32_e32 v2, 32, v1
	v_addc_co_u32_e32 v9, vcc, v9, v3, vcc
	v_add_u32_e32 v3, v2, v6
	v_ashrrev_i32_e32 v3, 4, v3
	v_cmp_gt_i32_e32 vcc, s38, v2
	v_cndmask_b32_e32 v2, v7, v3, vcc
	v_ashrrev_i32_e32 v3, 31, v2
	;; [unrolled: 10-line block ×3, first 2 shown]
	v_lshlrev_b64 v[2:3], 2, v[2:3]
	v_mov_b32_e32 v1, s17
	v_add_co_u32_e32 v12, vcc, s16, v2
	v_addc_co_u32_e32 v13, vcc, v1, v3, vcc
	global_load_dword v3, v[4:5], off
	global_load_dword v2, v[8:9], off
	;; [unrolled: 1-line block ×4, first 2 shown]
	s_load_dwordx4 s[12:15], s[4:5], 0x8
	s_andn2_b64 vcc, exec, s[2:3]
	s_cbranch_vccnz .LBB339_8
; %bb.6:
	s_add_u32 s0, s0, s10
	s_addc_u32 s1, s1, s11
	s_load_dword s19, s[0:1], 0x0
	s_branch .LBB339_9
.LBB339_7:
	s_mov_b64 s[12:13], 0
	s_branch .LBB339_2
.LBB339_8:
	s_mov_b32 s19, s6
.LBB339_9:
	s_load_dwordx4 s[0:3], s[4:5], 0x48
	v_and_b32_e32 v72, 15, v0
	v_lshlrev_b32_e32 v4, 3, v72
	s_waitcnt lgkmcnt(0)
	s_movk_i32 s3, 0x100
	v_lshrrev_b32_e32 v94, 6, v0
	v_and_b32_e32 v82, 63, v0
	v_bfe_u32 v1, v0, 4, 2
	s_lshl_b32 s27, s8, 4
	v_cmp_gt_u32_e32 vcc, s3, v0
	v_lshlrev_b32_e32 v4, 1, v4
	buffer_store_dword v4, off, s[44:47], 0 ; 4-byte Folded Spill
	s_and_saveexec_b64 s[10:11], vcc
	s_cbranch_execz .LBB339_11
; %bb.10:
	s_load_dwordx2 s[20:21], s[4:5], 0x0
	s_ashr_i32 s3, s0, 31
	s_mul_hi_u32 s22, s19, s0
	s_mul_i32 s3, s19, s3
	v_lshl_or_b32 v7, v94, 2, v1
	s_add_i32 s23, s22, s3
	s_mul_i32 s22, s19, s0
	s_lshl_b64 s[22:23], s[22:23], 1
	v_add_lshl_u32 v4, v7, s27, 7
	s_waitcnt lgkmcnt(0)
	s_add_u32 s0, s20, s22
	v_ashrrev_i32_e32 v5, 31, v4
	s_addc_u32 s3, s21, s23
	v_lshlrev_b64 v[4:5], 1, v[4:5]
	v_mov_b32_e32 v8, s3
	v_add_co_u32_e32 v4, vcc, s0, v4
	v_addc_co_u32_e32 v5, vcc, v8, v5, vcc
	buffer_load_dword v8, off, s[44:47], 0  ; 4-byte Folded Reload
	s_waitcnt vmcnt(0)
	v_add_co_u32_e32 v4, vcc, v4, v8
	v_addc_co_u32_e32 v5, vcc, 0, v5, vcc
	global_load_dwordx4 v[8:11], v[4:5], off
	v_and_b32_e32 v4, 3, v0
	v_lshlrev_b32_e32 v5, 5, v7
	v_lshlrev_b32_e32 v7, 9, v72
	;; [unrolled: 1-line block ×3, first 2 shown]
	v_and_b32_e32 v7, 0x1800, v7
	v_or3_b32 v4, v7, v4, v5
	s_waitcnt vmcnt(0)
	ds_write_b128 v4, v[8:11]
.LBB339_11:
	s_or_b64 exec, exec, s[10:11]
	s_mul_i32 s2, s8, s2
	s_mov_b32 s3, 0
	s_lshl_b64 s[2:3], s[2:3], 1
	s_add_u32 s8, s12, s2
	v_lshlrev_b32_e32 v7, 4, v0
	s_addc_u32 s10, s13, s3
	v_and_b32_e32 v4, 0xf0, v7
	v_mov_b32_e32 v5, s10
	v_add_co_u32_e32 v29, vcc, s8, v4
	v_addc_co_u32_e32 v30, vcc, 0, v5, vcc
	s_waitcnt vmcnt(4)
	v_mad_i64_i32 v[4:5], s[10:11], v3, s1, 0
	v_lshlrev_b64 v[4:5], 1, v[4:5]
	v_add_co_u32_e32 v3, vcc, v29, v4
	v_addc_co_u32_e32 v4, vcc, v30, v5, vcc
	v_and_b32_e32 v31, 0x300, v7
	v_add_co_u32_e32 v22, vcc, v3, v31
	v_addc_co_u32_e32 v23, vcc, 0, v4, vcc
	s_load_dword s33, s[4:5], 0x98
	s_load_dword s0, s[4:5], 0x1c
	s_waitcnt lgkmcnt(0)
	s_barrier
	global_load_dwordx4 v[10:13], v[22:23], off
	global_load_dwordx4 v[18:21], v[22:23], off offset:1024
	s_waitcnt vmcnt(5)
	v_mad_i64_i32 v[2:3], s[10:11], v2, s1, 0
	v_lshlrev_b64 v[2:3], 1, v[2:3]
	v_add_co_u32_e32 v2, vcc, v29, v2
	v_addc_co_u32_e32 v3, vcc, v30, v3, vcc
	v_add_co_u32_e32 v24, vcc, v2, v31
	v_addc_co_u32_e32 v25, vcc, 0, v3, vcc
	global_load_dwordx4 v[14:17], v[24:25], off
	global_load_dwordx4 v[36:39], v[24:25], off offset:1024
	v_lshlrev_b32_e32 v2, 5, v72
	v_lshl_or_b32 v85, v1, 9, v2
	buffer_store_dword v2, off, s[44:47], 0 offset:4 ; 4-byte Folded Spill
	ds_read_b128 v[2:5], v85
	s_waitcnt vmcnt(7)
	v_mad_i64_i32 v[6:7], s[10:11], v6, s1, 0
	v_lshlrev_b64 v[26:27], 1, v[6:7]
	ds_read_b128 v[6:9], v85 offset:2048
	v_and_or_b32 v62, v0, 48, s9
	v_mov_b32_e32 v63, s18
	v_mov_b32_e32 v68, s17
	s_add_u32 s8, s14, s2
	v_lshl_or_b32 v84, v94, 4, v72
	v_lshlrev_b32_e32 v76, 5, v84
	s_mov_b32 s40, 0xff7fffff
	v_mov_b32_e32 v95, v1
	s_waitcnt vmcnt(4) lgkmcnt(1)
	v_mfma_f32_16x16x16bf16_1k v[32:35], v[10:11], v[2:3], 0
	v_add_co_u32_e32 v10, vcc, v29, v26
	v_addc_co_u32_e32 v11, vcc, v30, v27, vcc
	v_add_co_u32_e32 v26, vcc, v10, v31
	v_addc_co_u32_e32 v27, vcc, 0, v11, vcc
	global_load_dwordx4 v[44:47], v[26:27], off
	global_load_dwordx4 v[58:61], v[26:27], off offset:1024
	s_waitcnt vmcnt(4)
	v_mfma_f32_16x16x16bf16_1k v[40:43], v[14:15], v[2:3], 0
	v_cmp_gt_i32_e32 vcc, s38, v62
	v_mfma_f32_16x16x16bf16_1k v[14:17], v[16:17], v[4:5], v[40:43]
	s_nop 7
	s_nop 0
	global_load_dwordx4 v[40:43], v[22:23], off offset:2048
	v_mfma_f32_16x16x16bf16_1k v[10:13], v[12:13], v[4:5], v[32:35]
	s_waitcnt vmcnt(4) lgkmcnt(0)
	v_mfma_f32_16x16x16bf16_1k v[14:17], v[36:37], v[6:7], v[14:17]
	v_mfma_f32_16x16x16bf16_1k v[10:13], v[18:19], v[6:7], v[10:13]
	v_mfma_f32_16x16x16bf16_1k v[14:17], v[38:39], v[8:9], v[14:17]
	global_load_dwordx4 v[36:39], v[22:23], off offset:3072
	v_mfma_f32_16x16x16bf16_1k v[18:21], v[20:21], v[8:9], v[10:13]
	s_waitcnt vmcnt(3)
	v_mfma_f32_16x16x16bf16_1k v[48:51], v[44:45], v[2:3], 0
	v_mfma_f32_16x16x16bf16_1k v[32:35], v[46:47], v[4:5], v[48:51]
	global_load_dwordx4 v[44:47], v[24:25], off offset:2048
	s_nop 3
	ds_read_b128 v[10:13], v85 offset:4096
	s_nop 3
	ds_read_b128 v[50:53], v85 offset:6144
	global_load_dwordx4 v[22:25], v[24:25], off offset:3072
	v_mad_i64_i32 v[48:49], s[10:11], v28, s1, 0
	v_mov_b32_e32 v28, s17
	s_addc_u32 s10, s15, s3
	s_waitcnt vmcnt(3) lgkmcnt(1)
	v_mfma_f32_16x16x16bf16_1k v[18:21], v[40:41], v[10:11], v[18:21]
	v_mfma_f32_16x16x16bf16_1k v[18:21], v[42:43], v[12:13], v[18:21]
	global_load_dwordx4 v[40:43], v[26:27], off offset:2048
	s_waitcnt vmcnt(3) lgkmcnt(0)
	v_mfma_f32_16x16x16bf16_1k v[18:21], v[36:37], v[50:51], v[18:21]
	v_mfma_f32_16x16x16bf16_1k v[54:57], v[38:39], v[52:53], v[18:21]
	s_waitcnt vmcnt(2)
	v_mfma_f32_16x16x16bf16_1k v[14:17], v[44:45], v[10:11], v[14:17]
	v_mfma_f32_16x16x16bf16_1k v[14:17], v[46:47], v[12:13], v[14:17]
	global_load_dwordx4 v[44:47], v[26:27], off offset:3072
	v_lshlrev_b64 v[26:27], 1, v[48:49]
	v_ashrrev_i32_e32 v48, 4, v62
	v_cndmask_b32_e32 v36, v63, v48, vcc
	v_or_b32_e32 v49, 64, v62
	v_ashrrev_i32_e32 v37, 31, v36
	v_ashrrev_i32_e32 v48, 4, v49
	s_waitcnt vmcnt(2)
	v_mfma_f32_16x16x16bf16_1k v[14:17], v[22:23], v[50:51], v[14:17]
	v_cmp_gt_i32_e32 vcc, s38, v49
	v_lshlrev_b64 v[22:23], 2, v[36:37]
	v_cndmask_b32_e32 v48, v63, v48, vcc
	v_add_co_u32_e32 v22, vcc, s16, v22
	v_addc_co_u32_e32 v23, vcc, v28, v23, vcc
	v_add_co_u32_e32 v18, vcc, v29, v26
	v_addc_co_u32_e32 v19, vcc, v30, v27, vcc
	;; [unrolled: 2-line block ×3, first 2 shown]
	v_mfma_f32_16x16x16bf16_1k v[64:67], v[24:25], v[52:53], v[14:17]
	global_load_dword v30, v[22:23], off
	v_ashrrev_i32_e32 v49, 31, v48
	v_lshlrev_b64 v[36:37], 2, v[48:49]
	v_add_co_u32_e32 v18, vcc, s16, v36
	v_addc_co_u32_e32 v19, vcc, v68, v37, vcc
	s_nop 1
	global_load_dwordx4 v[14:17], v[26:27], off
	global_load_dword v31, v[18:19], off
	s_nop 0
	global_load_dwordx4 v[18:21], v[26:27], off offset:1024
	global_load_dwordx4 v[68:71], v[26:27], off offset:2048
	;; [unrolled: 1-line block ×3, first 2 shown]
	v_mfma_f32_16x16x16bf16_1k v[22:25], v[58:59], v[6:7], v[32:35]
	v_or_b32_e32 v28, 0x80, v62
	v_ashrrev_i32_e32 v29, 4, v28
	v_cmp_gt_i32_e32 vcc, s38, v28
	v_cndmask_b32_e32 v28, v63, v29, vcc
	v_ashrrev_i32_e32 v29, 31, v28
	v_lshlrev_b64 v[28:29], 2, v[28:29]
	s_nop 0
	v_mov_b32_e32 v32, s17
	v_mfma_f32_16x16x16bf16_1k v[22:25], v[60:61], v[8:9], v[22:25]
	v_add_co_u32_e32 v28, vcc, s16, v28
	v_addc_co_u32_e32 v29, vcc, v32, v29, vcc
	global_load_dword v32, v[28:29], off
	v_or_b32_e32 v28, 0xc0, v62
	v_ashrrev_i32_e32 v29, 4, v28
	v_cmp_gt_i32_e32 vcc, s38, v28
	v_cndmask_b32_e32 v28, v63, v29, vcc
	v_ashrrev_i32_e32 v29, 31, v28
	v_lshlrev_b64 v[28:29], 2, v[28:29]
	s_waitcnt vmcnt(8)
	v_mfma_f32_16x16x16bf16_1k v[22:25], v[40:41], v[10:11], v[22:25]
	v_mov_b32_e32 v33, s17
	v_add_co_u32_e32 v28, vcc, s16, v28
	v_addc_co_u32_e32 v29, vcc, v33, v29, vcc
	global_load_dword v58, v[28:29], off
	v_mov_b32_e32 v26, s10
	v_mfma_f32_16x16x16bf16_1k v[22:25], v[42:43], v[12:13], v[22:25]
	v_add_co_u32_e32 v77, vcc, s8, v76
	v_addc_co_u32_e32 v78, vcc, 0, v26, vcc
	v_pk_mul_f32 v[80:81], s[0:1], v[66:67] op_sel_hi:[0,1]
	s_waitcnt vmcnt(8)
	v_mfma_f32_16x16x16bf16_1k v[22:25], v[44:45], v[50:51], v[22:25]
	v_mfma_f32_16x16x16bf16_1k v[72:75], v[46:47], v[52:53], v[22:25]
	s_waitcnt vmcnt(7)
	s_nop 7
	s_nop 0
	v_mad_i64_i32 v[22:23], s[2:3], v30, s1, 0
	v_lshlrev_b64 v[62:63], 1, v[22:23]
	s_waitcnt vmcnt(6)
	v_mfma_f32_16x16x16bf16_1k v[22:25], v[14:15], v[2:3], 0
	v_add_co_u32_e32 v2, vcc, v77, v62
	v_addc_co_u32_e32 v3, vcc, v78, v63, vcc
	global_load_dwordx4 v[46:49], v[2:3], off
	global_load_dwordx4 v[42:45], v[2:3], off offset:16
	s_waitcnt vmcnt(7)
	v_mad_i64_i32 v[2:3], s[2:3], v31, s1, 0
	v_lshlrev_b64 v[14:15], 1, v[2:3]
	v_mfma_f32_16x16x16bf16_1k v[2:5], v[16:17], v[4:5], v[22:25]
	v_add_co_u32_e32 v16, vcc, v77, v14
	v_addc_co_u32_e32 v17, vcc, v78, v15, vcc
	global_load_dwordx4 v[38:41], v[16:17], off
	global_load_dwordx4 v[34:37], v[16:17], off offset:16
	s_waitcnt vmcnt(5)
	v_mad_i64_i32 v[16:17], s[2:3], v32, s1, 0
	v_mfma_f32_16x16x16bf16_1k v[2:5], v[18:19], v[6:7], v[2:5]
	v_lshlrev_b64 v[60:61], 1, v[16:17]
	v_add_co_u32_e32 v6, vcc, v77, v60
	v_addc_co_u32_e32 v7, vcc, v78, v61, vcc
	global_load_dwordx4 v[30:33], v[6:7], off
	global_load_dwordx4 v[26:29], v[6:7], off offset:16
	s_waitcnt vmcnt(6)
	v_mad_i64_i32 v[6:7], s[2:3], v58, s1, 0
	v_mfma_f32_16x16x16bf16_1k v[2:5], v[20:21], v[8:9], v[2:5]
	v_lshlrev_b64 v[58:59], 1, v[6:7]
	v_add_co_u32_e32 v6, vcc, v77, v58
	v_addc_co_u32_e32 v7, vcc, v78, v59, vcc
	global_load_dwordx4 v[22:25], v[6:7], off
	global_load_dwordx4 v[18:21], v[6:7], off offset:16
	v_or_b32_e32 v6, 0x800, v76
	v_mfma_f32_16x16x16bf16_1k v[2:5], v[68:69], v[10:11], v[2:5]
	v_mov_b32_e32 v7, s10
	v_add_co_u32_e32 v68, vcc, s8, v6
	v_addc_co_u32_e32 v69, vcc, 0, v7, vcc
	v_pk_mul_f32 v[76:77], s[0:1], v[74:75] op_sel_hi:[0,1]
	v_pk_mul_f32 v[74:75], s[0:1], v[72:73] op_sel_hi:[0,1]
	v_mfma_f32_16x16x16bf16_1k v[10:13], v[70:71], v[12:13], v[2:5]
	v_pk_mul_f32 v[78:79], s[0:1], v[56:57] op_sel_hi:[0,1]
	v_pk_mul_f32 v[70:71], s[0:1], v[64:65] op_sel_hi:[0,1]
	v_mfma_f32_16x16x16bf16_1k v[86:89], v[90:91], v[50:51], v[10:13]
	s_nop 3
	v_add_co_u32_e32 v2, vcc, v68, v62
	v_addc_co_u32_e32 v3, vcc, v69, v63, vcc
	v_add_co_u32_e32 v62, vcc, v68, v14
	v_addc_co_u32_e32 v63, vcc, v69, v15, vcc
	v_mfma_f32_16x16x16bf16_1k v[50:53], v[92:93], v[52:53], v[86:89]
	global_load_dwordx4 v[6:9], v[2:3], off
	s_nop 0
	global_load_dwordx4 v[2:5], v[2:3], off offset:16
	s_nop 0
	global_load_dwordx4 v[14:17], v[62:63], off
	global_load_dwordx4 v[10:13], v[62:63], off offset:16
	v_pk_mul_f32 v[62:63], s[0:1], v[54:55] op_sel_hi:[0,1]
	s_nop 3
	v_pk_mul_f32 v[72:73], s[0:1], v[50:51] op_sel_hi:[0,1]
	v_and_b32_e32 v50, 0xc0, v0
	v_add_u32_e32 v50, s9, v50
	v_lshl_or_b32 v50, v1, 2, v50
	v_pk_mul_f32 v[66:67], s[0:1], v[52:53] op_sel_hi:[0,1]
	v_or_b32_e32 v53, 1, v50
	v_mov_b32_e32 v51, 0xff7fffff
	v_cmp_gt_i32_e64 s[28:29], s38, v50
	v_cmp_gt_i32_e64 s[30:31], s38, v53
	v_cndmask_b32_e64 v52, v51, v62, s[28:29]
	v_cndmask_b32_e64 v53, v51, v63, s[30:31]
	v_max3_f32 v52, v52, s40, v53
	v_or_b32_e32 v53, 2, v50
	v_or_b32_e32 v54, 3, v50
	v_cmp_gt_i32_e64 s[34:35], s38, v53
	v_cmp_gt_i32_e64 s[36:37], s38, v54
	v_cndmask_b32_e64 v53, v51, v78, s[34:35]
	v_cndmask_b32_e64 v54, v51, v79, s[36:37]
	v_max3_f32 v52, v52, v53, v54
	v_or_b32_e32 v53, 16, v50
	v_or_b32_e32 v54, 17, v50
	;; [unrolled: 7-line block ×7, first 2 shown]
	v_cmp_gt_i32_e32 vcc, s38, v53
	v_cmp_gt_i32_e64 s[0:1], s38, v50
	v_cndmask_b32_e32 v53, v51, v66, vcc
	v_cndmask_b32_e64 v50, v51, v67, s[0:1]
	v_max3_f32 v64, v52, v53, v50
	v_mbcnt_lo_u32_b32 v50, -1, 0
	v_mbcnt_hi_u32_b32 v65, -1, v50
	v_and_b32_e32 v50, 64, v65
	v_add_u32_e32 v83, 64, v50
	v_xor_b32_e32 v50, 32, v65
	v_cmp_lt_i32_e64 s[38:39], v50, v83
	v_cndmask_b32_e64 v50, v65, v50, s[38:39]
	v_lshlrev_b32_e32 v86, 2, v50
	ds_bpermute_b32 v87, v86, v64
	v_add_co_u32_e64 v50, s[38:39], v68, v60
	v_addc_co_u32_e64 v51, s[38:39], v69, v61, s[38:39]
	v_xor_b32_e32 v61, 16, v65
	v_cmp_lt_i32_e64 s[38:39], v61, v83
	s_waitcnt lgkmcnt(0)
	v_max_f32_e32 v60, v87, v87
	v_cndmask_b32_e64 v61, v65, v61, s[38:39]
	v_max_f32_e32 v60, v64, v60
	v_lshlrev_b32_e32 v83, 2, v61
	ds_bpermute_b32 v61, v83, v60
	v_add_co_u32_e64 v58, s[38:39], v68, v58
	v_addc_co_u32_e64 v59, s[38:39], v69, v59, s[38:39]
	s_waitcnt lgkmcnt(0)
	v_max_f32_e32 v61, v61, v61
	v_max_f32_e32 v90, v60, v61
	v_sub_f32_e32 v60, v62, v90
	v_mul_f32_e32 v60, 0x3fb8aa3b, v60
	v_exp_f32_e32 v68, v60
	v_sub_f32_e32 v60, v63, v90
	v_mul_f32_e32 v60, 0x3fb8aa3b, v60
	global_load_dwordx4 v[54:57], v[50:51], off
	s_nop 0
	global_load_dwordx4 v[50:53], v[50:51], off offset:16
	v_exp_f32_e32 v69, v60
	global_load_dwordx4 v[62:65], v[58:59], off
	s_nop 0
	global_load_dwordx4 v[58:61], v[58:59], off offset:16
	v_sub_f32_e32 v78, v78, v90
	v_mul_f32_e32 v78, 0x3fb8aa3b, v78
	v_sub_f32_e32 v79, v79, v90
	v_exp_f32_e32 v78, v78
	v_mul_f32_e32 v79, 0x3fb8aa3b, v79
	v_sub_f32_e32 v70, v70, v90
	v_exp_f32_e32 v79, v79
	v_mul_f32_e32 v70, 0x3fb8aa3b, v70
	v_sub_f32_e32 v71, v71, v90
	v_cndmask_b32_e64 v68, 0, v68, s[28:29]
	v_exp_f32_e32 v70, v70
	v_mul_f32_e32 v71, 0x3fb8aa3b, v71
	v_sub_f32_e32 v80, v80, v90
	v_add_f32_e32 v87, 0, v68
	v_cndmask_b32_e64 v69, 0, v69, s[30:31]
	v_exp_f32_e32 v71, v71
	v_mul_f32_e32 v80, 0x3fb8aa3b, v80
	v_sub_f32_e32 v81, v81, v90
	v_add_f32_e32 v87, v87, v69
	;; [unrolled: 5-line block ×10, first 2 shown]
	v_cndmask_b32_e64 v76, 0, v76, s[10:11]
	v_exp_f32_e32 v66, v66
	v_mul_f32_e32 v67, 0x3fb8aa3b, v67
	v_add_f32_e32 v87, v87, v76
	v_cndmask_b32_e64 v77, 0, v77, s[12:13]
	v_exp_f32_e32 v67, v67
	v_add_f32_e32 v87, v87, v77
	v_cndmask_b32_e64 v72, 0, v72, s[2:3]
	v_add_f32_e32 v87, v87, v72
	v_cndmask_b32_e64 v73, 0, v73, s[8:9]
	v_add_f32_e32 v87, v87, v73
	v_cndmask_b32_e32 v66, 0, v66, vcc
	v_add_f32_e32 v87, v87, v66
	v_cndmask_b32_e64 v67, 0, v67, s[0:1]
	v_add_f32_e32 v87, v87, v67
	ds_bpermute_b32 v86, v86, v87
	v_cmp_gt_u32_e32 vcc, 16, v82
	s_waitcnt lgkmcnt(0)
	s_barrier
	v_add_f32_e32 v91, v87, v86
	ds_bpermute_b32 v92, v83, v91
	s_and_saveexec_b64 s[0:1], vcc
	s_cbranch_execz .LBB339_13
; %bb.12:
	s_waitcnt lgkmcnt(0)
	v_add_f32_e32 v82, v91, v92
	v_lshlrev_b32_e32 v83, 2, v84
	ds_write2st64_b32 v83, v90, v82 offset1:1
.LBB339_13:
	s_or_b64 exec, exec, s[0:1]
	v_and_b32_e32 v1, 15, v0
	v_lshlrev_b32_e32 v82, 2, v1
	s_load_dword s2, s[4:5], 0x94
	s_waitcnt lgkmcnt(0)
	s_barrier
	ds_read2_b32 v[88:89], v82 offset1:16
	ds_read2_b32 v[90:91], v82 offset0:32 offset1:48
	ds_read2_b32 v[92:93], v82 offset0:64 offset1:80
	s_movk_i32 s8, 0x7fff
	s_mov_b32 s9, 0x7060302
	s_waitcnt lgkmcnt(2)
	v_max3_f32 v83, v88, s40, v89
	s_waitcnt lgkmcnt(1)
	v_max3_f32 v87, v83, v90, v91
	v_sub_f32_e32 v83, v88, v87
	v_mul_f32_e32 v83, 0x3fb8aa3b, v83
	v_exp_f32_e32 v84, v83
	v_sub_f32_e32 v83, v89, v87
	v_mul_f32_e32 v83, 0x3fb8aa3b, v83
	v_exp_f32_e32 v86, v83
	;; [unrolled: 3-line block ×3, first 2 shown]
	ds_read2_b32 v[82:83], v82 offset0:96 offset1:112
	v_sub_f32_e32 v89, v91, v87
	v_mul_f32_e32 v89, 0x3fb8aa3b, v89
	v_exp_f32_e32 v90, v89
	s_waitcnt lgkmcnt(1)
	v_fma_f32 v89, v84, v92, 0
	v_fmac_f32_e32 v89, v86, v93
	s_waitcnt lgkmcnt(0)
	v_fmac_f32_e32 v89, v88, v82
	v_fmac_f32_e32 v89, v90, v83
	v_add_f32_e32 v82, 0x358637bd, v89
	v_div_scale_f32 v83, s[0:1], v82, v82, 1.0
	v_rcp_f32_e32 v91, v83
	s_barrier
	v_fma_f32 v92, -v83, v91, 1.0
	v_fmac_f32_e32 v91, v92, v91
	v_div_scale_f32 v92, vcc, 1.0, v82, 1.0
	v_mul_f32_e32 v93, v92, v91
	v_fma_f32 v1, -v83, v93, v92
	v_fmac_f32_e32 v93, v1, v91
	v_fma_f32 v1, -v83, v93, v92
	v_div_fmas_f32 v1, v1, v91, v93
	v_cmp_eq_u32_e32 vcc, 1, v94
	v_div_fixup_f32 v1, v1, v82, 1.0
	v_cndmask_b32_e32 v82, v84, v86, vcc
	v_cmp_eq_u32_e32 vcc, 2, v94
	v_cndmask_b32_e32 v82, v82, v88, vcc
	v_cmp_eq_u32_e32 vcc, 3, v94
	v_cndmask_b32_e32 v82, v82, v90, vcc
	v_mul_f32_e32 v82, v82, v1
	v_pk_mul_f32 v[68:69], v[82:83], v[68:69] op_sel_hi:[0,1]
	v_pk_mul_f32 v[78:79], v[82:83], v[78:79] op_sel_hi:[0,1]
	v_bfe_u32 v1, v69, 16, 1
	v_bfe_u32 v83, v68, 16, 1
	v_add3_u32 v68, v68, v83, s8
	v_add3_u32 v1, v69, v1, s8
	v_perm_b32 v68, v1, v68, s9
	v_bfe_u32 v1, v79, 16, 1
	v_add3_u32 v1, v79, v1, s8
	buffer_load_dword v79, off, s[44:47], 0 offset:4 ; 4-byte Folded Reload
	v_bfe_u32 v69, v78, 16, 1
	v_add3_u32 v69, v78, v69, s8
	v_perm_b32 v69, v1, v69, s9
	v_lshlrev_b32_e32 v1, 3, v95
	v_lshlrev_b32_e32 v78, 11, v94
	v_pk_mul_f32 v[70:71], v[82:83], v[70:71] op_sel_hi:[0,1]
	v_pk_mul_f32 v[80:81], v[82:83], v[80:81] op_sel_hi:[0,1]
	;; [unrolled: 1-line block ×3, first 2 shown]
	s_lshl_b32 s3, s33, 4
	v_cmp_gt_u32_e32 vcc, 16, v0
	s_waitcnt vmcnt(0)
	v_or3_b32 v78, v78, v79, v1
	v_bfe_u32 v1, v71, 16, 1
	v_bfe_u32 v79, v70, 16, 1
	v_add3_u32 v70, v70, v79, s8
	v_add3_u32 v1, v71, v1, s8
	v_perm_b32 v70, v1, v70, s9
	v_bfe_u32 v1, v81, 16, 1
	v_bfe_u32 v71, v80, 16, 1
	v_add3_u32 v71, v80, v71, s8
	v_add3_u32 v1, v81, v1, s8
	v_perm_b32 v71, v1, v71, s9
	ds_write2st64_b64 v78, v[68:69], v[70:71] offset1:1
	v_pk_mul_f32 v[70:71], v[82:83], v[74:75] op_sel_hi:[0,1]
	v_bfe_u32 v1, v71, 16, 1
	v_bfe_u32 v74, v70, 16, 1
	v_pk_mul_f32 v[68:69], v[82:83], v[76:77] op_sel_hi:[0,1]
	v_add3_u32 v70, v70, v74, s8
	v_add3_u32 v1, v71, v1, s8
	v_perm_b32 v70, v1, v70, s9
	v_bfe_u32 v1, v69, 16, 1
	v_bfe_u32 v71, v68, 16, 1
	v_add3_u32 v68, v68, v71, s8
	v_add3_u32 v1, v69, v1, s8
	v_perm_b32 v71, v1, v68, s9
	v_pk_mul_f32 v[68:69], v[82:83], v[72:73] op_sel_hi:[0,1]
	v_bfe_u32 v1, v69, 16, 1
	v_bfe_u32 v72, v68, 16, 1
	v_add3_u32 v68, v68, v72, s8
	v_add3_u32 v1, v69, v1, s8
	v_perm_b32 v68, v1, v68, s9
	v_bfe_u32 v1, v67, 16, 1
	v_bfe_u32 v69, v66, 16, 1
	v_add3_u32 v66, v66, v69, s8
	v_add3_u32 v1, v67, v1, s8
	v_perm_b32 v69, v1, v66, s9
	ds_write2st64_b64 v78, v[70:71], v[68:69] offset0:2 offset1:3
	s_and_saveexec_b64 s[0:1], vcc
	s_cbranch_execz .LBB339_15
; %bb.14:
	v_or_b32_e32 v66, s27, v0
	v_mov_b32_e32 v67, 0
	v_mov_b32_e32 v1, s3
	v_mad_u64_u32 v[68:69], s[10:11], s6, v1, v[66:67]
	v_mov_b32_e32 v66, s26
	s_load_dwordx4 s[12:15], s[4:5], 0x58
	s_mul_i32 s7, s7, s3
	v_mad_u64_u32 v[66:67], s[10:11], v68, s2, v[66:67]
	v_add_u32_e32 v1, s7, v69
	v_mov_b32_e32 v68, v67
	v_mad_u64_u32 v[68:69], s[10:11], v1, s2, v[68:69]
	v_mov_b32_e32 v67, v68
	v_lshlrev_b64 v[66:67], 2, v[66:67]
	s_waitcnt lgkmcnt(0)
	v_mov_b32_e32 v1, s15
	v_add_co_u32_e32 v68, vcc, s14, v66
	v_addc_co_u32_e32 v69, vcc, v1, v67, vcc
	v_mov_b32_e32 v1, s13
	v_add_co_u32_e32 v66, vcc, s12, v66
	v_addc_co_u32_e32 v67, vcc, v1, v67, vcc
	global_store_dword v[68:69], v87, off
	global_store_dword v[66:67], v89, off
.LBB339_15:
	s_or_b64 exec, exec, s[0:1]
	s_waitcnt lgkmcnt(0)
	s_barrier
	ds_read_b128 v[70:73], v85
	ds_read_b128 v[66:69], v85 offset:16
	s_waitcnt lgkmcnt(1)
	v_mfma_f32_16x16x16bf16_1k v[74:77], v[46:47], v[70:71], 0
	s_mov_b32 s1, 0
	v_cmp_gt_u32_e32 vcc, 64, v0
	v_mfma_f32_16x16x16bf16_1k v[46:49], v[48:49], v[72:73], v[74:77]
	s_waitcnt lgkmcnt(0)
	v_mfma_f32_16x16x16bf16_1k v[46:49], v[42:43], v[66:67], v[46:49]
	v_mfma_f32_16x16x16bf16_1k v[42:45], v[44:45], v[68:69], v[46:49]
	s_nop 7
	s_nop 1
	ds_read_b128 v[46:49], v85 offset:2048
	ds_read_b128 v[74:77], v85 offset:2064
	s_waitcnt lgkmcnt(1)
	v_mfma_f32_16x16x16bf16_1k v[42:45], v[38:39], v[46:47], v[42:45]
	v_mfma_f32_16x16x16bf16_1k v[38:41], v[40:41], v[48:49], v[42:45]
	s_waitcnt lgkmcnt(0)
	v_mfma_f32_16x16x16bf16_1k v[38:41], v[34:35], v[74:75], v[38:41]
	v_mfma_f32_16x16x16bf16_1k v[34:37], v[36:37], v[76:77], v[38:41]
	s_nop 7
	s_nop 1
	ds_read_b128 v[38:41], v85 offset:4096
	ds_read_b128 v[42:45], v85 offset:4112
	s_waitcnt lgkmcnt(1)
	v_mfma_f32_16x16x16bf16_1k v[34:37], v[30:31], v[38:39], v[34:37]
	v_mfma_f32_16x16x16bf16_1k v[30:33], v[32:33], v[40:41], v[34:37]
	s_waitcnt lgkmcnt(0)
	v_mfma_f32_16x16x16bf16_1k v[30:33], v[26:27], v[42:43], v[30:33]
	v_mfma_f32_16x16x16bf16_1k v[26:29], v[28:29], v[44:45], v[30:33]
	s_nop 7
	s_nop 1
	ds_read_b128 v[30:33], v85 offset:6144
	ds_read_b128 v[34:37], v85 offset:6160
	s_waitcnt lgkmcnt(0)
	s_barrier
	v_mfma_f32_16x16x16bf16_1k v[26:29], v[22:23], v[30:31], v[26:29]
	v_mfma_f32_16x16x16bf16_1k v[22:25], v[24:25], v[32:33], v[26:29]
	;; [unrolled: 1-line block ×5, first 2 shown]
	s_nop 7
	s_nop 1
	v_bfe_u32 v1, v19, 16, 1
	v_add3_u32 v1, v19, v1, s8
	v_mfma_f32_16x16x16bf16_1k v[6:9], v[8:9], v[72:73], v[22:25]
	v_mfma_f32_16x16x16bf16_1k v[6:9], v[2:3], v[66:67], v[6:9]
	;; [unrolled: 1-line block ×4, first 2 shown]
	s_nop 7
	s_nop 0
	v_bfe_u32 v6, v18, 16, 1
	v_add3_u32 v6, v18, v6, s8
	v_perm_b32 v6, v1, v6, s9
	v_bfe_u32 v1, v21, 16, 1
	v_bfe_u32 v7, v20, 16, 1
	v_add3_u32 v7, v20, v7, s8
	v_add3_u32 v1, v21, v1, s8
	v_mfma_f32_16x16x16bf16_1k v[2:5], v[16:17], v[48:49], v[2:5]
	v_perm_b32 v7, v1, v7, s9
	v_mfma_f32_16x16x16bf16_1k v[2:5], v[10:11], v[74:75], v[2:5]
	v_mfma_f32_16x16x16bf16_1k v[2:5], v[12:13], v[76:77], v[2:5]
	;; [unrolled: 1-line block ×10, first 2 shown]
	s_nop 7
	s_nop 2
	v_bfe_u32 v1, v3, 16, 1
	v_bfe_u32 v8, v2, 16, 1
	v_add3_u32 v2, v2, v8, s8
	v_add3_u32 v1, v3, v1, s8
	v_perm_b32 v2, v1, v2, s9
	v_bfe_u32 v1, v5, 16, 1
	v_bfe_u32 v3, v4, 16, 1
	v_add3_u32 v3, v4, v3, s8
	v_add3_u32 v1, v5, v1, s8
	v_perm_b32 v3, v1, v3, s9
	ds_write2st64_b64 v78, v[6:7], v[2:3] offset1:1
	s_waitcnt lgkmcnt(0)
	s_barrier
	s_and_saveexec_b64 s[8:9], vcc
	s_cbranch_execz .LBB339_17
; %bb.16:
	v_and_b32_e32 v3, 15, v0
	v_lshlrev_b32_e32 v3, 6, v3
	v_lshlrev_b32_e32 v2, 4, v0
	v_lshl_or_b32 v0, v0, 10, v3
	v_lshlrev_b32_e32 v1, 5, v95
	v_and_b32_e32 v2, 16, v2
	v_and_b32_e32 v0, 0x1a00, v0
	v_or3_b32 v0, v0, v1, v2
	ds_read_b128 v[2:5], v0
	ds_read_b128 v[6:9], v0 offset:128
	ds_read_b128 v[10:13], v0 offset:256
	;; [unrolled: 1-line block ×3, first 2 shown]
	buffer_load_dword v1, off, s[44:47], 0  ; 4-byte Folded Reload
	s_load_dwordx2 s[4:5], s[4:5], 0x68
	s_lshl_b32 s7, s2, 7
	s_mul_i32 s0, s3, s6
	s_mul_hi_u32 s3, s0, s7
	s_mul_i32 s2, s0, s7
	s_lshl_b64 s[2:3], s[2:3], 1
	s_waitcnt lgkmcnt(0)
	s_add_u32 s2, s4, s2
	s_addc_u32 s3, s5, s3
	s_lshl_b32 s0, s26, 7
	s_lshl_b64 s[0:1], s[0:1], 1
	s_add_u32 s0, s2, s0
	s_addc_u32 s1, s3, s1
	v_mov_b32_e32 v0, s1
	v_or_b32_e32 v20, s27, v95
	s_waitcnt vmcnt(0)
	v_add_co_u32_e32 v18, vcc, s0, v1
	v_addc_co_u32_e32 v19, vcc, 0, v0, vcc
	v_mad_u64_u32 v[0:1], s[0:1], v20, s7, 0
	v_lshlrev_b64 v[0:1], 1, v[0:1]
	v_add_co_u32_e32 v0, vcc, v18, v0
	v_addc_co_u32_e32 v1, vcc, v19, v1, vcc
	global_store_dwordx4 v[0:1], v[2:5], off
	v_or_b32_e32 v0, 4, v20
	v_mad_u64_u32 v[0:1], s[0:1], v0, s7, 0
	v_lshlrev_b64 v[0:1], 1, v[0:1]
	v_add_co_u32_e32 v0, vcc, v18, v0
	v_addc_co_u32_e32 v1, vcc, v19, v1, vcc
	global_store_dwordx4 v[0:1], v[6:9], off
	v_or_b32_e32 v0, 8, v20
	;; [unrolled: 6-line block ×3, first 2 shown]
	v_mad_u64_u32 v[0:1], s[0:1], v0, s7, 0
	v_lshlrev_b64 v[0:1], 1, v[0:1]
	v_add_co_u32_e32 v0, vcc, v18, v0
	v_addc_co_u32_e32 v1, vcc, v19, v1, vcc
	global_store_dwordx4 v[0:1], v[14:17], off
.LBB339_17:
	s_endpgm
	.section	.rodata,"a",@progbits
	.p2align	6, 0x0
	.amdhsa_kernel _Z39paged_attention_ll4mi_QKV_mfma16_kernelI14__hip_bfloat16S0_LN4vllm18Fp8KVCacheDataTypeE0ES0_Li16ELi128ELi256ELb0ELi16EL8MFMAType0EEvPKT_PKT0_S9_ifPKiSB_SB_iPKfiiiPfSE_PS4_PT2_iSD_SD_
		.amdhsa_group_segment_fixed_size 8192
		.amdhsa_private_segment_fixed_size 12
		.amdhsa_kernarg_size 400
		.amdhsa_user_sgpr_count 6
		.amdhsa_user_sgpr_private_segment_buffer 1
		.amdhsa_user_sgpr_dispatch_ptr 0
		.amdhsa_user_sgpr_queue_ptr 0
		.amdhsa_user_sgpr_kernarg_segment_ptr 1
		.amdhsa_user_sgpr_dispatch_id 0
		.amdhsa_user_sgpr_flat_scratch_init 0
		.amdhsa_user_sgpr_kernarg_preload_length 0
		.amdhsa_user_sgpr_kernarg_preload_offset 0
		.amdhsa_user_sgpr_private_segment_size 0
		.amdhsa_uses_dynamic_stack 0
		.amdhsa_system_sgpr_private_segment_wavefront_offset 1
		.amdhsa_system_sgpr_workgroup_id_x 1
		.amdhsa_system_sgpr_workgroup_id_y 1
		.amdhsa_system_sgpr_workgroup_id_z 1
		.amdhsa_system_sgpr_workgroup_info 0
		.amdhsa_system_vgpr_workitem_id 0
		.amdhsa_next_free_vgpr 96
		.amdhsa_next_free_sgpr 48
		.amdhsa_accum_offset 96
		.amdhsa_reserve_vcc 1
		.amdhsa_reserve_flat_scratch 0
		.amdhsa_float_round_mode_32 0
		.amdhsa_float_round_mode_16_64 0
		.amdhsa_float_denorm_mode_32 3
		.amdhsa_float_denorm_mode_16_64 3
		.amdhsa_dx10_clamp 1
		.amdhsa_ieee_mode 1
		.amdhsa_fp16_overflow 0
		.amdhsa_tg_split 0
		.amdhsa_exception_fp_ieee_invalid_op 0
		.amdhsa_exception_fp_denorm_src 0
		.amdhsa_exception_fp_ieee_div_zero 0
		.amdhsa_exception_fp_ieee_overflow 0
		.amdhsa_exception_fp_ieee_underflow 0
		.amdhsa_exception_fp_ieee_inexact 0
		.amdhsa_exception_int_div_zero 0
	.end_amdhsa_kernel
	.section	.text._Z39paged_attention_ll4mi_QKV_mfma16_kernelI14__hip_bfloat16S0_LN4vllm18Fp8KVCacheDataTypeE0ES0_Li16ELi128ELi256ELb0ELi16EL8MFMAType0EEvPKT_PKT0_S9_ifPKiSB_SB_iPKfiiiPfSE_PS4_PT2_iSD_SD_,"axG",@progbits,_Z39paged_attention_ll4mi_QKV_mfma16_kernelI14__hip_bfloat16S0_LN4vllm18Fp8KVCacheDataTypeE0ES0_Li16ELi128ELi256ELb0ELi16EL8MFMAType0EEvPKT_PKT0_S9_ifPKiSB_SB_iPKfiiiPfSE_PS4_PT2_iSD_SD_,comdat
.Lfunc_end339:
	.size	_Z39paged_attention_ll4mi_QKV_mfma16_kernelI14__hip_bfloat16S0_LN4vllm18Fp8KVCacheDataTypeE0ES0_Li16ELi128ELi256ELb0ELi16EL8MFMAType0EEvPKT_PKT0_S9_ifPKiSB_SB_iPKfiiiPfSE_PS4_PT2_iSD_SD_, .Lfunc_end339-_Z39paged_attention_ll4mi_QKV_mfma16_kernelI14__hip_bfloat16S0_LN4vllm18Fp8KVCacheDataTypeE0ES0_Li16ELi128ELi256ELb0ELi16EL8MFMAType0EEvPKT_PKT0_S9_ifPKiSB_SB_iPKfiiiPfSE_PS4_PT2_iSD_SD_
                                        ; -- End function
	.section	.AMDGPU.csdata,"",@progbits
; Kernel info:
; codeLenInByte = 4924
; NumSgprs: 52
; NumVgprs: 96
; NumAgprs: 0
; TotalNumVgprs: 96
; ScratchSize: 12
; MemoryBound: 0
; FloatMode: 240
; IeeeMode: 1
; LDSByteSize: 8192 bytes/workgroup (compile time only)
; SGPRBlocks: 6
; VGPRBlocks: 11
; NumSGPRsForWavesPerEU: 52
; NumVGPRsForWavesPerEU: 96
; AccumOffset: 96
; Occupancy: 5
; WaveLimiterHint : 1
; COMPUTE_PGM_RSRC2:SCRATCH_EN: 1
; COMPUTE_PGM_RSRC2:USER_SGPR: 6
; COMPUTE_PGM_RSRC2:TRAP_HANDLER: 0
; COMPUTE_PGM_RSRC2:TGID_X_EN: 1
; COMPUTE_PGM_RSRC2:TGID_Y_EN: 1
; COMPUTE_PGM_RSRC2:TGID_Z_EN: 1
; COMPUTE_PGM_RSRC2:TIDIG_COMP_CNT: 0
; COMPUTE_PGM_RSRC3_GFX90A:ACCUM_OFFSET: 23
; COMPUTE_PGM_RSRC3_GFX90A:TG_SPLIT: 0
	.section	.text._Z39paged_attention_ll4mi_QKV_mfma16_kernelI14__hip_bfloat16S0_LN4vllm18Fp8KVCacheDataTypeE0ES0_Li16ELi128ELi256ELb0ELi1EL8MFMAType0EEvPKT_PKT0_S9_ifPKiSB_SB_iPKfiiiPfSE_PS4_PT2_iSD_SD_,"axG",@progbits,_Z39paged_attention_ll4mi_QKV_mfma16_kernelI14__hip_bfloat16S0_LN4vllm18Fp8KVCacheDataTypeE0ES0_Li16ELi128ELi256ELb0ELi1EL8MFMAType0EEvPKT_PKT0_S9_ifPKiSB_SB_iPKfiiiPfSE_PS4_PT2_iSD_SD_,comdat
	.protected	_Z39paged_attention_ll4mi_QKV_mfma16_kernelI14__hip_bfloat16S0_LN4vllm18Fp8KVCacheDataTypeE0ES0_Li16ELi128ELi256ELb0ELi1EL8MFMAType0EEvPKT_PKT0_S9_ifPKiSB_SB_iPKfiiiPfSE_PS4_PT2_iSD_SD_ ; -- Begin function _Z39paged_attention_ll4mi_QKV_mfma16_kernelI14__hip_bfloat16S0_LN4vllm18Fp8KVCacheDataTypeE0ES0_Li16ELi128ELi256ELb0ELi1EL8MFMAType0EEvPKT_PKT0_S9_ifPKiSB_SB_iPKfiiiPfSE_PS4_PT2_iSD_SD_
	.globl	_Z39paged_attention_ll4mi_QKV_mfma16_kernelI14__hip_bfloat16S0_LN4vllm18Fp8KVCacheDataTypeE0ES0_Li16ELi128ELi256ELb0ELi1EL8MFMAType0EEvPKT_PKT0_S9_ifPKiSB_SB_iPKfiiiPfSE_PS4_PT2_iSD_SD_
	.p2align	8
	.type	_Z39paged_attention_ll4mi_QKV_mfma16_kernelI14__hip_bfloat16S0_LN4vllm18Fp8KVCacheDataTypeE0ES0_Li16ELi128ELi256ELb0ELi1EL8MFMAType0EEvPKT_PKT0_S9_ifPKiSB_SB_iPKfiiiPfSE_PS4_PT2_iSD_SD_,@function
_Z39paged_attention_ll4mi_QKV_mfma16_kernelI14__hip_bfloat16S0_LN4vllm18Fp8KVCacheDataTypeE0ES0_Li16ELi128ELi256ELb0ELi1EL8MFMAType0EEvPKT_PKT0_S9_ifPKiSB_SB_iPKfiiiPfSE_PS4_PT2_iSD_SD_: ; @_Z39paged_attention_ll4mi_QKV_mfma16_kernelI14__hip_bfloat16S0_LN4vllm18Fp8KVCacheDataTypeE0ES0_Li16ELi128ELi256ELb0ELi1EL8MFMAType0EEvPKT_PKT0_S9_ifPKiSB_SB_iPKfiiiPfSE_PS4_PT2_iSD_SD_
; %bb.0:
	s_mov_b64 s[46:47], s[2:3]
	s_mov_b64 s[44:45], s[0:1]
	s_load_dwordx2 s[0:1], s[4:5], 0x30
	s_add_u32 s44, s44, s9
	s_addc_u32 s45, s45, 0
	s_mov_b32 s9, s7
	s_mov_b64 s[10:11], 0
	s_waitcnt lgkmcnt(0)
	s_cmp_lg_u64 s[0:1], 0
	s_cselect_b64 s[2:3], -1, 0
	s_and_b64 vcc, exec, s[2:3]
	s_cbranch_vccz .LBB340_7
; %bb.1:
	s_add_i32 s12, s6, 1
	s_mov_b32 s13, 0
	s_lshl_b64 s[14:15], s[12:13], 2
	s_add_u32 s14, s0, s14
	s_mov_b32 s7, s13
	s_addc_u32 s15, s1, s15
	s_lshl_b64 s[12:13], s[6:7], 2
	s_add_u32 s12, s0, s12
	s_addc_u32 s13, s1, s13
	s_load_dword s16, s[14:15], 0x0
	s_load_dword s17, s[12:13], 0x0
	s_waitcnt lgkmcnt(0)
	s_sub_i32 s12, s16, s17
	s_cmp_eq_u32 s12, 1
	s_cselect_b64 s[12:13], -1, 0
	s_andn2_b64 vcc, exec, s[10:11]
	s_cbranch_vccnz .LBB340_3
.LBB340_2:
	s_mov_b32 s7, 0
	s_mov_b64 s[12:13], -1
.LBB340_3:
	s_andn2_b64 vcc, exec, s[12:13]
	s_cbranch_vccnz .LBB340_17
; %bb.4:
	s_load_dwordx2 s[12:13], s[4:5], 0x28
	s_lshl_b64 s[10:11], s[6:7], 2
	s_waitcnt lgkmcnt(0)
	s_add_u32 s12, s12, s10
	s_addc_u32 s13, s13, s11
	s_load_dword s33, s[12:13], 0x0
	s_lshl_b32 s16, s9, 8
	s_waitcnt lgkmcnt(0)
	s_cmp_ge_i32 s16, s33
	s_cbranch_scc1 .LBB340_17
; %bb.5:
	s_add_i32 s15, s33, 15
	s_load_dwordx2 s[12:13], s[4:5], 0x20
	s_load_dword s14, s[4:5], 0x38
	s_ashr_i32 s17, s15, 31
	v_and_b32_e32 v1, 0xcf, v0
	s_lshr_b32 s17, s17, 28
	v_add_u32_e32 v1, s16, v1
	s_add_i32 s15, s15, s17
	v_ashrrev_i32_e32 v2, 31, v1
	s_ashr_i32 s19, s15, 4
	v_lshrrev_b32_e32 v6, 28, v2
	s_add_i32 s19, s19, -1
	v_add_u32_e32 v2, v1, v6
	s_waitcnt lgkmcnt(0)
	s_mul_i32 s14, s6, s14
	s_mov_b32 s15, 0
	v_ashrrev_i32_e32 v2, 4, v2
	v_mov_b32_e32 v7, s19
	v_cmp_gt_i32_e32 vcc, s33, v1
	s_lshl_b64 s[14:15], s[14:15], 2
	v_cndmask_b32_e32 v2, v7, v2, vcc
	s_add_u32 s17, s12, s14
	v_ashrrev_i32_e32 v3, 31, v2
	s_addc_u32 s18, s13, s15
	v_lshlrev_b64 v[2:3], 2, v[2:3]
	v_mov_b32_e32 v5, s18
	v_add_co_u32_e32 v4, vcc, s17, v2
	v_or_b32_e32 v2, 16, v1
	v_addc_co_u32_e32 v5, vcc, v5, v3, vcc
	v_add_u32_e32 v3, v2, v6
	v_ashrrev_i32_e32 v3, 4, v3
	v_cmp_gt_i32_e32 vcc, s33, v2
	v_cndmask_b32_e32 v2, v7, v3, vcc
	v_ashrrev_i32_e32 v3, 31, v2
	v_lshlrev_b64 v[2:3], 2, v[2:3]
	v_mov_b32_e32 v9, s18
	v_add_co_u32_e32 v8, vcc, s17, v2
	v_or_b32_e32 v2, 32, v1
	v_addc_co_u32_e32 v9, vcc, v9, v3, vcc
	v_add_u32_e32 v3, v2, v6
	v_ashrrev_i32_e32 v3, 4, v3
	v_cmp_gt_i32_e32 vcc, s33, v2
	v_cndmask_b32_e32 v2, v7, v3, vcc
	v_ashrrev_i32_e32 v3, 31, v2
	;; [unrolled: 10-line block ×3, first 2 shown]
	v_lshlrev_b64 v[2:3], 2, v[2:3]
	v_mov_b32_e32 v1, s18
	v_add_co_u32_e32 v12, vcc, s17, v2
	v_addc_co_u32_e32 v13, vcc, v1, v3, vcc
	global_load_dword v3, v[4:5], off
	global_load_dword v2, v[8:9], off
	;; [unrolled: 1-line block ×4, first 2 shown]
	s_load_dwordx4 s[12:15], s[4:5], 0x8
	s_andn2_b64 vcc, exec, s[2:3]
	s_cbranch_vccnz .LBB340_8
; %bb.6:
	s_add_u32 s0, s0, s10
	s_addc_u32 s1, s1, s11
	s_load_dword s20, s[0:1], 0x0
	s_branch .LBB340_9
.LBB340_7:
	s_mov_b64 s[12:13], 0
	s_branch .LBB340_2
.LBB340_8:
	s_mov_b32 s20, s6
.LBB340_9:
	s_load_dwordx4 s[0:3], s[4:5], 0x48
	v_lshrrev_b32_e32 v85, 6, v0
	v_bfe_u32 v82, v0, 4, 2
	v_and_b32_e32 v83, 15, v0
	v_lshl_or_b32 v1, v85, 2, v82
	v_lshlrev_b32_e32 v4, 3, v83
	v_and_b32_e32 v86, 63, v0
	v_cmp_eq_u32_e32 vcc, 0, v1
	v_lshlrev_b32_e32 v1, 1, v4
	buffer_store_dword v1, off, s[44:47], 0 ; 4-byte Folded Spill
	s_and_saveexec_b64 s[10:11], vcc
	s_cbranch_execz .LBB340_11
; %bb.10:
	buffer_load_dword v1, off, s[44:47], 0  ; 4-byte Folded Reload
	s_load_dwordx2 s[22:23], s[4:5], 0x0
	s_waitcnt lgkmcnt(0)
	s_ashr_i32 s3, s0, 31
	s_mul_hi_u32 s21, s20, s0
	s_mul_i32 s3, s20, s3
	s_add_i32 s21, s21, s3
	s_mul_i32 s20, s20, s0
	s_lshl_b64 s[20:21], s[20:21], 1
	s_add_u32 s0, s22, s20
	s_addc_u32 s3, s23, s21
	s_lshl_b32 s20, s8, 7
	s_ashr_i32 s21, s20, 31
	s_lshl_b64 s[20:21], s[20:21], 1
	s_add_u32 s20, s0, s20
	s_addc_u32 s21, s3, s21
	v_and_b32_e32 v4, 3, v0
	v_lshlrev_b32_e32 v5, 9, v83
	v_lshlrev_b32_e32 v4, 9, v4
	s_movk_i32 s0, 0x1800
	v_and_or_b32 v4, v5, s0, v4
	s_waitcnt vmcnt(0)
	global_load_dwordx4 v[8:11], v1, s[20:21]
	s_waitcnt vmcnt(0)
	ds_write_b128 v4, v[8:11]
.LBB340_11:
	s_or_b64 exec, exec, s[10:11]
	s_waitcnt lgkmcnt(0)
	s_mul_i32 s2, s8, s2
	s_mov_b32 s3, 0
	s_lshl_b64 s[2:3], s[2:3], 1
	s_add_u32 s0, s12, s2
	v_lshlrev_b32_e32 v1, 4, v0
	s_addc_u32 s10, s13, s3
	v_and_b32_e32 v4, 0xf0, v1
	v_mov_b32_e32 v5, s10
	v_add_co_u32_e32 v29, vcc, s0, v4
	v_addc_co_u32_e32 v30, vcc, 0, v5, vcc
	s_waitcnt vmcnt(4)
	v_mad_i64_i32 v[4:5], s[10:11], v3, s1, 0
	v_lshlrev_b64 v[4:5], 1, v[4:5]
	v_add_co_u32_e32 v3, vcc, v29, v4
	v_addc_co_u32_e32 v4, vcc, v30, v5, vcc
	v_and_b32_e32 v31, 0x300, v1
	v_add_co_u32_e32 v22, vcc, v3, v31
	v_addc_co_u32_e32 v23, vcc, 0, v4, vcc
	s_barrier
	global_load_dwordx4 v[10:13], v[22:23], off
	s_waitcnt vmcnt(4)
	v_mad_i64_i32 v[2:3], s[10:11], v2, s1, 0
	v_lshlrev_b64 v[2:3], 1, v[2:3]
	v_add_co_u32_e32 v2, vcc, v29, v2
	v_addc_co_u32_e32 v3, vcc, v30, v3, vcc
	v_add_co_u32_e32 v24, vcc, v2, v31
	v_addc_co_u32_e32 v25, vcc, 0, v3, vcc
	global_load_dwordx4 v[14:17], v[24:25], off
	global_load_dwordx4 v[38:41], v[24:25], off offset:1024
	v_lshlrev_b32_e32 v32, 9, v82
	ds_read_b128 v[2:5], v32
	s_waitcnt vmcnt(5)
	v_mad_i64_i32 v[18:19], s[10:11], v6, s1, 0
	ds_read_b128 v[6:9], v32 offset:2048
	v_lshlrev_b64 v[26:27], 1, v[18:19]
	global_load_dwordx4 v[18:21], v[22:23], off offset:1024
	v_and_or_b32 v62, v0, 48, s16
	v_mov_b32_e32 v63, s19
	v_mov_b32_e32 v68, s18
	v_lshl_or_b32 v87, v85, 4, v83
	v_lshlrev_b32_e32 v76, 5, v87
	s_load_dword s0, s[4:5], 0x1c
	s_mov_b32 s40, 0xff7fffff
	s_waitcnt vmcnt(3) lgkmcnt(0)
	v_mfma_f32_16x16x16bf16_1k v[34:37], v[10:11], v[2:3], 0
	v_add_co_u32_e32 v10, vcc, v29, v26
	v_addc_co_u32_e32 v11, vcc, v30, v27, vcc
	v_add_co_u32_e32 v26, vcc, v10, v31
	v_addc_co_u32_e32 v27, vcc, 0, v11, vcc
	global_load_dwordx4 v[46:49], v[26:27], off
	global_load_dwordx4 v[58:61], v[26:27], off offset:1024
	s_waitcnt vmcnt(4)
	v_mfma_f32_16x16x16bf16_1k v[42:45], v[14:15], v[2:3], 0
	v_cmp_gt_i32_e32 vcc, s33, v62
	v_mfma_f32_16x16x16bf16_1k v[14:17], v[16:17], v[4:5], v[42:45]
	s_nop 7
	s_nop 0
	global_load_dwordx4 v[42:45], v[22:23], off offset:2048
	v_mfma_f32_16x16x16bf16_1k v[10:13], v[12:13], v[4:5], v[34:37]
	s_waitcnt vmcnt(4)
	v_mfma_f32_16x16x16bf16_1k v[14:17], v[38:39], v[6:7], v[14:17]
	s_waitcnt vmcnt(3)
	v_mfma_f32_16x16x16bf16_1k v[10:13], v[18:19], v[6:7], v[10:13]
	v_mfma_f32_16x16x16bf16_1k v[14:17], v[40:41], v[8:9], v[14:17]
	global_load_dwordx4 v[38:41], v[22:23], off offset:3072
	v_mfma_f32_16x16x16bf16_1k v[18:21], v[20:21], v[8:9], v[10:13]
	s_waitcnt vmcnt(3)
	v_mfma_f32_16x16x16bf16_1k v[50:53], v[46:47], v[2:3], 0
	v_mfma_f32_16x16x16bf16_1k v[34:37], v[48:49], v[4:5], v[50:53]
	global_load_dwordx4 v[46:49], v[24:25], off offset:2048
	s_nop 3
	ds_read_b128 v[10:13], v32 offset:4096
	s_nop 3
	ds_read_b128 v[50:53], v32 offset:6144
	global_load_dwordx4 v[22:25], v[24:25], off offset:3072
	v_mad_i64_i32 v[32:33], s[10:11], v28, s1, 0
	v_mov_b32_e32 v28, s18
	s_add_u32 s10, s14, s2
	s_waitcnt vmcnt(3) lgkmcnt(1)
	v_mfma_f32_16x16x16bf16_1k v[18:21], v[42:43], v[10:11], v[18:21]
	s_addc_u32 s11, s15, s3
	v_mfma_f32_16x16x16bf16_1k v[18:21], v[44:45], v[12:13], v[18:21]
	global_load_dwordx4 v[42:45], v[26:27], off offset:2048
	s_waitcnt vmcnt(3) lgkmcnt(0)
	v_mfma_f32_16x16x16bf16_1k v[18:21], v[38:39], v[50:51], v[18:21]
	v_or_b32_e32 v38, 64, v62
	v_ashrrev_i32_e32 v39, 4, v38
	v_mfma_f32_16x16x16bf16_1k v[54:57], v[40:41], v[52:53], v[18:21]
	s_waitcnt vmcnt(2)
	v_mfma_f32_16x16x16bf16_1k v[14:17], v[46:47], v[10:11], v[14:17]
	v_mfma_f32_16x16x16bf16_1k v[14:17], v[48:49], v[12:13], v[14:17]
	global_load_dwordx4 v[46:49], v[26:27], off offset:3072
	v_lshlrev_b64 v[26:27], 1, v[32:33]
	v_ashrrev_i32_e32 v32, 4, v62
	v_cndmask_b32_e32 v32, v63, v32, vcc
	v_ashrrev_i32_e32 v33, 31, v32
	v_cmp_gt_i32_e32 vcc, s33, v38
	v_cndmask_b32_e32 v38, v63, v39, vcc
	s_waitcnt vmcnt(2)
	v_mfma_f32_16x16x16bf16_1k v[14:17], v[22:23], v[50:51], v[14:17]
	v_lshlrev_b64 v[22:23], 2, v[32:33]
	v_add_co_u32_e32 v22, vcc, s17, v22
	v_addc_co_u32_e32 v23, vcc, v28, v23, vcc
	v_add_co_u32_e32 v18, vcc, v29, v26
	v_addc_co_u32_e32 v19, vcc, v30, v27, vcc
	;; [unrolled: 2-line block ×3, first 2 shown]
	v_mfma_f32_16x16x16bf16_1k v[64:67], v[24:25], v[52:53], v[14:17]
	global_load_dword v30, v[22:23], off
	v_ashrrev_i32_e32 v39, 31, v38
	v_lshlrev_b64 v[32:33], 2, v[38:39]
	v_add_co_u32_e32 v18, vcc, s17, v32
	v_addc_co_u32_e32 v19, vcc, v68, v33, vcc
	s_nop 1
	global_load_dwordx4 v[14:17], v[26:27], off
	global_load_dword v31, v[18:19], off
	s_nop 0
	global_load_dwordx4 v[18:21], v[26:27], off offset:1024
	global_load_dwordx4 v[68:71], v[26:27], off offset:2048
	;; [unrolled: 1-line block ×3, first 2 shown]
	v_mfma_f32_16x16x16bf16_1k v[22:25], v[58:59], v[6:7], v[34:37]
	v_or_b32_e32 v28, 0x80, v62
	v_ashrrev_i32_e32 v29, 4, v28
	v_cmp_gt_i32_e32 vcc, s33, v28
	v_cndmask_b32_e32 v28, v63, v29, vcc
	v_ashrrev_i32_e32 v29, 31, v28
	v_lshlrev_b64 v[28:29], 2, v[28:29]
	v_mov_b32_e32 v32, s18
	v_mfma_f32_16x16x16bf16_1k v[22:25], v[60:61], v[8:9], v[22:25]
	v_add_co_u32_e32 v28, vcc, s17, v28
	v_addc_co_u32_e32 v29, vcc, v32, v29, vcc
	global_load_dword v32, v[28:29], off
	v_or_b32_e32 v28, 0xc0, v62
	v_ashrrev_i32_e32 v29, 4, v28
	v_cmp_gt_i32_e32 vcc, s33, v28
	v_cndmask_b32_e32 v28, v63, v29, vcc
	v_ashrrev_i32_e32 v29, 31, v28
	v_lshlrev_b64 v[28:29], 2, v[28:29]
	s_waitcnt vmcnt(8)
	v_mfma_f32_16x16x16bf16_1k v[22:25], v[42:43], v[10:11], v[22:25]
	v_mov_b32_e32 v33, s18
	v_add_co_u32_e32 v28, vcc, s17, v28
	v_addc_co_u32_e32 v29, vcc, v33, v29, vcc
	global_load_dword v58, v[28:29], off
	v_mov_b32_e32 v26, s11
	v_mfma_f32_16x16x16bf16_1k v[22:25], v[44:45], v[12:13], v[22:25]
	v_add_co_u32_e32 v77, vcc, s10, v76
	v_addc_co_u32_e32 v78, vcc, 0, v26, vcc
	v_pk_mul_f32 v[80:81], s[0:1], v[66:67] op_sel_hi:[0,1]
	s_waitcnt vmcnt(8)
	v_mfma_f32_16x16x16bf16_1k v[22:25], v[46:47], v[50:51], v[22:25]
	v_mfma_f32_16x16x16bf16_1k v[88:91], v[48:49], v[52:53], v[22:25]
	s_waitcnt vmcnt(7)
	s_nop 7
	s_nop 0
	v_mad_i64_i32 v[22:23], s[2:3], v30, s1, 0
	v_lshlrev_b64 v[62:63], 1, v[22:23]
	s_waitcnt vmcnt(6)
	v_mfma_f32_16x16x16bf16_1k v[22:25], v[14:15], v[2:3], 0
	v_add_co_u32_e32 v2, vcc, v77, v62
	v_addc_co_u32_e32 v3, vcc, v78, v63, vcc
	global_load_dwordx4 v[46:49], v[2:3], off
	global_load_dwordx4 v[42:45], v[2:3], off offset:16
	s_waitcnt vmcnt(7)
	v_mad_i64_i32 v[2:3], s[2:3], v31, s1, 0
	v_lshlrev_b64 v[14:15], 1, v[2:3]
	v_mfma_f32_16x16x16bf16_1k v[2:5], v[16:17], v[4:5], v[22:25]
	v_add_co_u32_e32 v16, vcc, v77, v14
	v_addc_co_u32_e32 v17, vcc, v78, v15, vcc
	global_load_dwordx4 v[38:41], v[16:17], off
	global_load_dwordx4 v[34:37], v[16:17], off offset:16
	s_waitcnt vmcnt(5)
	v_mad_i64_i32 v[16:17], s[2:3], v32, s1, 0
	v_mfma_f32_16x16x16bf16_1k v[2:5], v[18:19], v[6:7], v[2:5]
	v_lshlrev_b64 v[60:61], 1, v[16:17]
	v_add_co_u32_e32 v6, vcc, v77, v60
	v_addc_co_u32_e32 v7, vcc, v78, v61, vcc
	global_load_dwordx4 v[30:33], v[6:7], off
	global_load_dwordx4 v[26:29], v[6:7], off offset:16
	s_waitcnt vmcnt(6)
	v_mad_i64_i32 v[6:7], s[2:3], v58, s1, 0
	v_mfma_f32_16x16x16bf16_1k v[2:5], v[20:21], v[8:9], v[2:5]
	v_lshlrev_b64 v[58:59], 1, v[6:7]
	v_add_co_u32_e32 v6, vcc, v77, v58
	v_addc_co_u32_e32 v7, vcc, v78, v59, vcc
	global_load_dwordx4 v[22:25], v[6:7], off
	global_load_dwordx4 v[18:21], v[6:7], off offset:16
	v_or_b32_e32 v6, 0x800, v76
	v_mfma_f32_16x16x16bf16_1k v[2:5], v[68:69], v[10:11], v[2:5]
	v_mov_b32_e32 v7, s11
	v_add_co_u32_e32 v68, vcc, s10, v6
	v_addc_co_u32_e32 v69, vcc, 0, v7, vcc
	v_pk_mul_f32 v[78:79], s[0:1], v[56:57] op_sel_hi:[0,1]
	v_pk_mul_f32 v[76:77], s[0:1], v[90:91] op_sel_hi:[0,1]
	v_mfma_f32_16x16x16bf16_1k v[10:13], v[70:71], v[12:13], v[2:5]
	v_pk_mul_f32 v[70:71], s[0:1], v[64:65] op_sel_hi:[0,1]
	v_mfma_f32_16x16x16bf16_1k v[92:95], v[72:73], v[50:51], v[10:13]
	s_nop 4
	v_add_co_u32_e32 v2, vcc, v68, v62
	v_addc_co_u32_e32 v3, vcc, v69, v63, vcc
	v_add_co_u32_e32 v62, vcc, v68, v14
	v_addc_co_u32_e32 v63, vcc, v69, v15, vcc
	v_mfma_f32_16x16x16bf16_1k v[50:53], v[74:75], v[52:53], v[92:95]
	global_load_dwordx4 v[6:9], v[2:3], off
	s_nop 0
	global_load_dwordx4 v[2:5], v[2:3], off offset:16
	s_nop 0
	global_load_dwordx4 v[14:17], v[62:63], off
	global_load_dwordx4 v[10:13], v[62:63], off offset:16
	v_pk_mul_f32 v[62:63], s[0:1], v[54:55] op_sel_hi:[0,1]
	v_pk_mul_f32 v[72:73], s[0:1], v[88:89] op_sel_hi:[0,1]
	s_nop 2
	v_pk_mul_f32 v[74:75], s[0:1], v[50:51] op_sel_hi:[0,1]
	v_and_b32_e32 v50, 0xc0, v0
	v_add_u32_e32 v50, s16, v50
	v_lshl_or_b32 v50, v82, 2, v50
	v_pk_mul_f32 v[66:67], s[0:1], v[52:53] op_sel_hi:[0,1]
	v_or_b32_e32 v53, 1, v50
	v_mov_b32_e32 v51, 0xff7fffff
	v_cmp_gt_i32_e64 s[28:29], s33, v50
	v_cmp_gt_i32_e64 s[30:31], s33, v53
	v_cndmask_b32_e64 v52, v51, v62, s[28:29]
	v_cndmask_b32_e64 v53, v51, v63, s[30:31]
	v_max3_f32 v52, v52, s40, v53
	v_or_b32_e32 v53, 2, v50
	v_or_b32_e32 v54, 3, v50
	v_cmp_gt_i32_e64 s[34:35], s33, v53
	v_cmp_gt_i32_e64 s[36:37], s33, v54
	v_cndmask_b32_e64 v53, v51, v78, s[34:35]
	v_cndmask_b32_e64 v54, v51, v79, s[36:37]
	v_max3_f32 v52, v52, v53, v54
	v_or_b32_e32 v53, 16, v50
	v_or_b32_e32 v54, 17, v50
	v_cmp_gt_i32_e64 s[22:23], s33, v53
	v_cmp_gt_i32_e64 s[24:25], s33, v54
	v_cndmask_b32_e64 v53, v51, v70, s[22:23]
	v_cndmask_b32_e64 v54, v51, v71, s[24:25]
	v_max3_f32 v52, v52, v53, v54
	v_or_b32_e32 v53, 18, v50
	v_or_b32_e32 v54, 19, v50
	v_cmp_gt_i32_e64 s[18:19], s33, v53
	v_cmp_gt_i32_e64 s[20:21], s33, v54
	v_cndmask_b32_e64 v53, v51, v80, s[18:19]
	v_cndmask_b32_e64 v54, v51, v81, s[20:21]
	v_max3_f32 v52, v52, v53, v54
	v_or_b32_e32 v53, 32, v50
	v_or_b32_e32 v54, 33, v50
	v_cmp_gt_i32_e64 s[14:15], s33, v53
	v_cmp_gt_i32_e64 s[16:17], s33, v54
	v_cndmask_b32_e64 v53, v51, v72, s[14:15]
	v_cndmask_b32_e64 v54, v51, v73, s[16:17]
	v_max3_f32 v52, v52, v53, v54
	v_or_b32_e32 v53, 34, v50
	v_or_b32_e32 v54, 35, v50
	v_cmp_gt_i32_e64 s[10:11], s33, v53
	v_cmp_gt_i32_e64 s[12:13], s33, v54
	v_cndmask_b32_e64 v53, v51, v76, s[10:11]
	v_cndmask_b32_e64 v54, v51, v77, s[12:13]
	v_max3_f32 v52, v52, v53, v54
	v_or_b32_e32 v53, 48, v50
	v_or_b32_e32 v54, 49, v50
	v_cmp_gt_i32_e64 s[2:3], s33, v53
	v_cmp_gt_i32_e64 s[26:27], s33, v54
	v_cndmask_b32_e64 v53, v51, v74, s[2:3]
	v_cndmask_b32_e64 v54, v51, v75, s[26:27]
	v_max3_f32 v52, v52, v53, v54
	v_or_b32_e32 v53, 50, v50
	v_or_b32_e32 v50, 51, v50
	v_cmp_gt_i32_e32 vcc, s33, v53
	v_cmp_gt_i32_e64 s[0:1], s33, v50
	v_cndmask_b32_e32 v53, v51, v66, vcc
	v_cndmask_b32_e64 v50, v51, v67, s[0:1]
	v_max3_f32 v64, v52, v53, v50
	v_mbcnt_lo_u32_b32 v50, -1, 0
	v_mbcnt_hi_u32_b32 v65, -1, v50
	v_and_b32_e32 v50, 64, v65
	v_add_u32_e32 v88, 64, v50
	v_xor_b32_e32 v50, 32, v65
	v_cmp_lt_i32_e64 s[38:39], v50, v88
	v_cndmask_b32_e64 v50, v65, v50, s[38:39]
	v_lshlrev_b32_e32 v89, 2, v50
	ds_bpermute_b32 v90, v89, v64
	v_add_co_u32_e64 v50, s[38:39], v68, v60
	v_addc_co_u32_e64 v51, s[38:39], v69, v61, s[38:39]
	v_xor_b32_e32 v61, 16, v65
	v_cmp_lt_i32_e64 s[38:39], v61, v88
	s_waitcnt lgkmcnt(0)
	v_max_f32_e32 v60, v90, v90
	v_cndmask_b32_e64 v61, v65, v61, s[38:39]
	v_max_f32_e32 v60, v64, v60
	v_lshlrev_b32_e32 v90, 2, v61
	ds_bpermute_b32 v61, v90, v60
	v_add_co_u32_e64 v58, s[38:39], v68, v58
	v_addc_co_u32_e64 v59, s[38:39], v69, v59, s[38:39]
	s_waitcnt lgkmcnt(0)
	v_max_f32_e32 v61, v61, v61
	v_max_f32_e32 v88, v60, v61
	v_sub_f32_e32 v60, v62, v88
	v_mul_f32_e32 v60, 0x3fb8aa3b, v60
	v_exp_f32_e32 v68, v60
	v_sub_f32_e32 v60, v63, v88
	v_mul_f32_e32 v60, 0x3fb8aa3b, v60
	global_load_dwordx4 v[54:57], v[50:51], off
	s_nop 0
	global_load_dwordx4 v[50:53], v[50:51], off offset:16
	v_exp_f32_e32 v69, v60
	global_load_dwordx4 v[62:65], v[58:59], off
	s_nop 0
	global_load_dwordx4 v[58:61], v[58:59], off offset:16
	v_sub_f32_e32 v78, v78, v88
	v_mul_f32_e32 v78, 0x3fb8aa3b, v78
	v_sub_f32_e32 v79, v79, v88
	v_exp_f32_e32 v78, v78
	v_mul_f32_e32 v79, 0x3fb8aa3b, v79
	v_sub_f32_e32 v70, v70, v88
	v_exp_f32_e32 v79, v79
	v_mul_f32_e32 v70, 0x3fb8aa3b, v70
	v_sub_f32_e32 v71, v71, v88
	v_cndmask_b32_e64 v68, 0, v68, s[28:29]
	v_exp_f32_e32 v70, v70
	v_mul_f32_e32 v71, 0x3fb8aa3b, v71
	v_sub_f32_e32 v80, v80, v88
	v_add_f32_e32 v91, 0, v68
	v_cndmask_b32_e64 v69, 0, v69, s[30:31]
	v_exp_f32_e32 v71, v71
	v_mul_f32_e32 v80, 0x3fb8aa3b, v80
	v_sub_f32_e32 v81, v81, v88
	v_add_f32_e32 v91, v91, v69
	;; [unrolled: 5-line block ×10, first 2 shown]
	v_cndmask_b32_e64 v76, 0, v76, s[10:11]
	v_exp_f32_e32 v66, v66
	v_mul_f32_e32 v67, 0x3fb8aa3b, v67
	v_add_f32_e32 v91, v91, v76
	v_cndmask_b32_e64 v77, 0, v77, s[12:13]
	v_exp_f32_e32 v67, v67
	v_add_f32_e32 v91, v91, v77
	v_cndmask_b32_e64 v74, 0, v74, s[2:3]
	v_add_f32_e32 v91, v91, v74
	v_cndmask_b32_e64 v75, 0, v75, s[26:27]
	v_add_f32_e32 v91, v91, v75
	v_cndmask_b32_e32 v66, 0, v66, vcc
	v_add_f32_e32 v91, v91, v66
	v_cndmask_b32_e64 v67, 0, v67, s[0:1]
	v_add_f32_e32 v91, v91, v67
	ds_bpermute_b32 v89, v89, v91
	v_cmp_lt_u32_e64 s[0:1], 15, v86
	v_cmp_gt_u32_e32 vcc, 16, v86
	s_waitcnt lgkmcnt(0)
	s_barrier
	v_add_f32_e32 v89, v91, v89
	ds_bpermute_b32 v90, v90, v89
	s_waitcnt lgkmcnt(0)
	s_and_saveexec_b64 s[2:3], vcc
	s_cbranch_execz .LBB340_13
; %bb.12:
	v_add_f32_e32 v86, v89, v90
	v_lshlrev_b32_e32 v87, 2, v87
	ds_write2st64_b32 v87, v88, v86 offset1:1
.LBB340_13:
	s_or_b64 exec, exec, s[2:3]
	v_lshlrev_b32_e32 v87, 2, v83
	s_load_dwordx2 s[2:3], s[4:5], 0x94
	s_waitcnt lgkmcnt(0)
	s_barrier
	ds_read2_b32 v[88:89], v87 offset1:16
	ds_read2_b32 v[90:91], v87 offset0:32 offset1:48
	ds_read2_b32 v[92:93], v87 offset0:64 offset1:80
	v_mov_b32_e32 v82, v83
	s_movk_i32 s12, 0x7fff
	s_waitcnt lgkmcnt(2)
	v_max3_f32 v86, v88, s40, v89
	s_waitcnt lgkmcnt(1)
	v_max3_f32 v86, v86, v90, v91
	v_sub_f32_e32 v88, v88, v86
	v_mul_f32_e32 v88, 0x3fb8aa3b, v88
	v_exp_f32_e32 v94, v88
	v_sub_f32_e32 v88, v89, v86
	v_mul_f32_e32 v88, 0x3fb8aa3b, v88
	v_exp_f32_e32 v95, v88
	;; [unrolled: 3-line block ×3, first 2 shown]
	ds_read2_b32 v[88:89], v87 offset0:96 offset1:112
	v_sub_f32_e32 v87, v91, v86
	v_mul_f32_e32 v87, 0x3fb8aa3b, v87
	v_exp_f32_e32 v91, v87
	s_waitcnt lgkmcnt(1)
	v_fma_f32 v87, v94, v92, 0
	v_fmac_f32_e32 v87, v95, v93
	s_waitcnt lgkmcnt(0)
	v_fmac_f32_e32 v87, v90, v88
	v_fmac_f32_e32 v87, v91, v89
	v_add_f32_e32 v89, 0x358637bd, v87
	v_div_scale_f32 v92, s[10:11], v89, v89, 1.0
	v_rcp_f32_e32 v93, v92
	s_mov_b32 s13, 0x7060302
	s_barrier
	v_fma_f32 v1, -v92, v93, 1.0
	v_fmac_f32_e32 v93, v1, v93
	v_div_scale_f32 v1, vcc, 1.0, v89, 1.0
	v_mul_f32_e32 v84, v1, v93
	v_fma_f32 v83, -v92, v84, v1
	v_fmac_f32_e32 v84, v83, v93
	v_fma_f32 v1, -v92, v84, v1
	v_div_fmas_f32 v1, v1, v93, v84
	v_cmp_eq_u32_e32 vcc, 1, v85
	v_cndmask_b32_e32 v83, v94, v95, vcc
	v_cmp_eq_u32_e32 vcc, 2, v85
	v_cndmask_b32_e32 v83, v83, v90, vcc
	v_cmp_eq_u32_e32 vcc, 3, v85
	v_div_fixup_f32 v1, v1, v89, 1.0
	v_cndmask_b32_e32 v83, v83, v91, vcc
	v_mul_f32_e32 v90, v83, v1
	v_pk_mul_f32 v[68:69], v[90:91], v[68:69] op_sel_hi:[0,1]
	v_bfe_u32 v1, v69, 16, 1
	v_bfe_u32 v83, v68, 16, 1
	v_pk_mul_f32 v[78:79], v[90:91], v[78:79] op_sel_hi:[0,1]
	v_add3_u32 v68, v68, v83, s12
	v_add3_u32 v1, v69, v1, s12
	v_perm_b32 v92, v1, v68, s13
	v_bfe_u32 v1, v79, 16, 1
	v_bfe_u32 v68, v78, 16, 1
	v_add3_u32 v68, v78, v68, s12
	v_add3_u32 v1, v79, v1, s12
	v_bfe_u32 v79, v0, 4, 2
	v_perm_b32 v93, v1, v68, s13
	v_lshlrev_b32_e32 v1, 3, v79
	v_lshlrev_b32_e32 v68, 5, v82
	v_lshlrev_b32_e32 v69, 11, v85
	v_pk_mul_f32 v[70:71], v[90:91], v[70:71] op_sel_hi:[0,1]
	v_or3_b32 v78, v69, v68, v1
	v_bfe_u32 v1, v71, 16, 1
	v_bfe_u32 v69, v70, 16, 1
	v_pk_mul_f32 v[80:81], v[90:91], v[80:81] op_sel_hi:[0,1]
	v_add3_u32 v69, v70, v69, s12
	v_add3_u32 v1, v71, v1, s12
	v_perm_b32 v70, v1, v69, s13
	v_bfe_u32 v1, v81, 16, 1
	v_bfe_u32 v69, v80, 16, 1
	v_add3_u32 v69, v80, v69, s12
	v_add3_u32 v1, v81, v1, s12
	v_pk_mul_f32 v[72:73], v[90:91], v[72:73] op_sel_hi:[0,1]
	v_perm_b32 v71, v1, v69, s13
	v_bfe_u32 v1, v73, 16, 1
	v_bfe_u32 v69, v72, 16, 1
	ds_write2st64_b64 v78, v[92:93], v[70:71] offset1:1
	v_pk_mul_f32 v[70:71], v[90:91], v[76:77] op_sel_hi:[0,1]
	v_add3_u32 v69, v72, v69, s12
	v_add3_u32 v1, v73, v1, s12
	v_perm_b32 v72, v1, v69, s13
	v_bfe_u32 v1, v71, 16, 1
	v_bfe_u32 v69, v70, 16, 1
	v_add3_u32 v69, v70, v69, s12
	v_add3_u32 v1, v71, v1, s12
	v_pk_mul_f32 v[70:71], v[90:91], v[74:75] op_sel_hi:[0,1]
	v_perm_b32 v73, v1, v69, s13
	v_bfe_u32 v1, v71, 16, 1
	v_bfe_u32 v69, v70, 16, 1
	v_pk_mul_f32 v[66:67], v[90:91], v[66:67] op_sel_hi:[0,1]
	v_add3_u32 v69, v70, v69, s12
	v_add3_u32 v1, v71, v1, s12
	v_perm_b32 v70, v1, v69, s13
	v_bfe_u32 v1, v67, 16, 1
	v_bfe_u32 v69, v66, 16, 1
	v_add3_u32 v66, v66, v69, s12
	v_add3_u32 v1, v67, v1, s12
	v_mov_b32_e32 v88, 0
	v_perm_b32 v71, v1, v66, s13
	v_cmp_eq_u32_e32 vcc, 0, v0
	ds_write2st64_b64 v78, v[72:73], v[70:71] offset0:2 offset1:3
	s_and_saveexec_b64 s[10:11], vcc
	s_cbranch_execz .LBB340_15
; %bb.14:
	s_mul_i32 s7, s7, s3
	s_mul_hi_u32 s14, s6, s3
	s_add_i32 s14, s14, s7
	s_mul_i32 s7, s6, s3
	s_add_u32 s7, s7, s8
	s_addc_u32 s14, s14, 0
	s_load_dwordx4 s[16:19], s[4:5], 0x58
	s_mul_i32 s14, s14, s2
	s_mul_hi_u32 s15, s7, s2
	s_add_i32 s15, s15, s14
	s_mul_i32 s7, s7, s2
	s_add_u32 s14, s7, s9
	s_addc_u32 s15, s15, 0
	s_lshl_b64 s[14:15], s[14:15], 2
	s_waitcnt lgkmcnt(0)
	s_add_u32 s18, s18, s14
	s_addc_u32 s19, s19, s15
	s_add_u32 s14, s16, s14
	s_addc_u32 s15, s17, s15
	global_store_dword v88, v86, s[18:19]
	global_store_dword v88, v87, s[14:15]
.LBB340_15:
	s_or_b64 exec, exec, s[10:11]
	v_lshl_or_b32 v1, v79, 9, v68
	s_waitcnt lgkmcnt(0)
	s_barrier
	ds_read_b128 v[70:73], v1
	ds_read_b128 v[66:69], v1 offset:16
	s_waitcnt vmcnt(15) lgkmcnt(1)
	v_mfma_f32_16x16x16bf16_1k v[74:77], v[46:47], v[70:71], 0
	v_cmp_gt_u32_e32 vcc, 64, v0
	s_xor_b64 s[0:1], s[0:1], -1
	s_mov_b32 s7, 0
	s_and_b64 s[0:1], vcc, s[0:1]
	v_mfma_f32_16x16x16bf16_1k v[46:49], v[48:49], v[72:73], v[74:77]
	s_waitcnt vmcnt(14) lgkmcnt(0)
	v_mfma_f32_16x16x16bf16_1k v[46:49], v[42:43], v[66:67], v[46:49]
	v_mfma_f32_16x16x16bf16_1k v[42:45], v[44:45], v[68:69], v[46:49]
	s_nop 7
	s_nop 1
	ds_read_b128 v[46:49], v1 offset:2048
	ds_read_b128 v[74:77], v1 offset:2064
	s_waitcnt vmcnt(13) lgkmcnt(1)
	v_mfma_f32_16x16x16bf16_1k v[42:45], v[38:39], v[46:47], v[42:45]
	v_mfma_f32_16x16x16bf16_1k v[38:41], v[40:41], v[48:49], v[42:45]
	s_waitcnt vmcnt(12) lgkmcnt(0)
	v_mfma_f32_16x16x16bf16_1k v[38:41], v[34:35], v[74:75], v[38:41]
	v_mfma_f32_16x16x16bf16_1k v[34:37], v[36:37], v[76:77], v[38:41]
	s_nop 7
	s_nop 1
	ds_read_b128 v[38:41], v1 offset:4096
	ds_read_b128 v[42:45], v1 offset:4112
	s_waitcnt vmcnt(11) lgkmcnt(1)
	v_mfma_f32_16x16x16bf16_1k v[34:37], v[30:31], v[38:39], v[34:37]
	v_mfma_f32_16x16x16bf16_1k v[30:33], v[32:33], v[40:41], v[34:37]
	s_waitcnt vmcnt(10) lgkmcnt(0)
	v_mfma_f32_16x16x16bf16_1k v[30:33], v[26:27], v[42:43], v[30:33]
	v_mfma_f32_16x16x16bf16_1k v[26:29], v[28:29], v[44:45], v[30:33]
	s_nop 7
	s_nop 1
	ds_read_b128 v[30:33], v1 offset:6144
	ds_read_b128 v[34:37], v1 offset:6160
	s_waitcnt lgkmcnt(0)
	s_barrier
	s_waitcnt vmcnt(9)
	v_mfma_f32_16x16x16bf16_1k v[26:29], v[22:23], v[30:31], v[26:29]
	v_mfma_f32_16x16x16bf16_1k v[22:25], v[24:25], v[32:33], v[26:29]
	s_waitcnt vmcnt(8)
	v_mfma_f32_16x16x16bf16_1k v[22:25], v[18:19], v[34:35], v[22:25]
	v_mfma_f32_16x16x16bf16_1k v[18:21], v[20:21], v[36:37], v[22:25]
	s_waitcnt vmcnt(7)
	v_mfma_f32_16x16x16bf16_1k v[22:25], v[6:7], v[70:71], 0
	s_nop 7
	s_nop 0
	v_bfe_u32 v1, v19, 16, 1
	v_add3_u32 v1, v19, v1, s12
	v_mfma_f32_16x16x16bf16_1k v[6:9], v[8:9], v[72:73], v[22:25]
	s_waitcnt vmcnt(6)
	v_mfma_f32_16x16x16bf16_1k v[6:9], v[2:3], v[66:67], v[6:9]
	v_mfma_f32_16x16x16bf16_1k v[2:5], v[4:5], v[68:69], v[6:9]
	s_waitcnt vmcnt(5)
	v_mfma_f32_16x16x16bf16_1k v[2:5], v[14:15], v[46:47], v[2:5]
	s_nop 7
	v_bfe_u32 v6, v18, 16, 1
	v_add3_u32 v6, v18, v6, s12
	v_perm_b32 v6, v1, v6, s13
	v_bfe_u32 v1, v21, 16, 1
	v_bfe_u32 v7, v20, 16, 1
	v_add3_u32 v7, v20, v7, s12
	v_add3_u32 v1, v21, v1, s12
	v_mfma_f32_16x16x16bf16_1k v[2:5], v[16:17], v[48:49], v[2:5]
	v_perm_b32 v7, v1, v7, s13
	s_waitcnt vmcnt(4)
	v_mfma_f32_16x16x16bf16_1k v[2:5], v[10:11], v[74:75], v[2:5]
	v_mfma_f32_16x16x16bf16_1k v[2:5], v[12:13], v[76:77], v[2:5]
	s_waitcnt vmcnt(3)
	v_mfma_f32_16x16x16bf16_1k v[2:5], v[54:55], v[38:39], v[2:5]
	v_mfma_f32_16x16x16bf16_1k v[2:5], v[56:57], v[40:41], v[2:5]
	;; [unrolled: 3-line block ×5, first 2 shown]
	s_nop 7
	s_nop 2
	v_bfe_u32 v1, v3, 16, 1
	v_bfe_u32 v8, v2, 16, 1
	v_add3_u32 v2, v2, v8, s12
	v_add3_u32 v1, v3, v1, s12
	v_perm_b32 v2, v1, v2, s13
	v_bfe_u32 v1, v5, 16, 1
	v_bfe_u32 v3, v4, 16, 1
	v_add3_u32 v3, v4, v3, s12
	v_add3_u32 v1, v5, v1, s12
	v_perm_b32 v3, v1, v3, s13
	ds_write2st64_b64 v78, v[6:7], v[2:3] offset1:1
	s_waitcnt lgkmcnt(0)
	s_barrier
	s_and_saveexec_b64 s[10:11], s[0:1]
	s_cbranch_execz .LBB340_17
; %bb.16:
	v_lshlrev_b32_e32 v3, 6, v82
	v_lshlrev_b32_e32 v2, 4, v0
	v_lshl_or_b32 v0, v0, 10, v3
	v_lshlrev_b32_e32 v1, 5, v79
	v_and_b32_e32 v2, 16, v2
	v_and_b32_e32 v0, 0x1a00, v0
	v_or3_b32 v0, v0, v1, v2
	ds_read_b128 v[2:5], v0
	buffer_load_dword v0, off, s[44:47], 0  ; 4-byte Folded Reload
	s_load_dwordx2 s[0:1], s[4:5], 0x68
	s_mul_i32 s4, s3, s6
	s_lshl_b32 s5, s2, 7
	s_mul_hi_u32 s3, s4, s5
	s_mul_i32 s2, s4, s5
	s_lshl_b64 s[2:3], s[2:3], 1
	s_waitcnt lgkmcnt(0)
	s_add_u32 s2, s0, s2
	s_addc_u32 s3, s1, s3
	s_lshl_b32 s6, s9, 7
	s_lshl_b64 s[0:1], s[6:7], 1
	s_add_u32 s2, s2, s0
	s_addc_u32 s3, s3, s1
	s_mul_hi_u32 s1, s5, s8
	s_mul_i32 s0, s5, s8
	s_lshl_b64 s[0:1], s[0:1], 1
	s_add_u32 s0, s2, s0
	s_addc_u32 s1, s3, s1
	s_waitcnt vmcnt(0)
	global_store_dwordx4 v0, v[2:5], s[0:1]
.LBB340_17:
	s_endpgm
	.section	.rodata,"a",@progbits
	.p2align	6, 0x0
	.amdhsa_kernel _Z39paged_attention_ll4mi_QKV_mfma16_kernelI14__hip_bfloat16S0_LN4vllm18Fp8KVCacheDataTypeE0ES0_Li16ELi128ELi256ELb0ELi1EL8MFMAType0EEvPKT_PKT0_S9_ifPKiSB_SB_iPKfiiiPfSE_PS4_PT2_iSD_SD_
		.amdhsa_group_segment_fixed_size 8192
		.amdhsa_private_segment_fixed_size 8
		.amdhsa_kernarg_size 400
		.amdhsa_user_sgpr_count 6
		.amdhsa_user_sgpr_private_segment_buffer 1
		.amdhsa_user_sgpr_dispatch_ptr 0
		.amdhsa_user_sgpr_queue_ptr 0
		.amdhsa_user_sgpr_kernarg_segment_ptr 1
		.amdhsa_user_sgpr_dispatch_id 0
		.amdhsa_user_sgpr_flat_scratch_init 0
		.amdhsa_user_sgpr_kernarg_preload_length 0
		.amdhsa_user_sgpr_kernarg_preload_offset 0
		.amdhsa_user_sgpr_private_segment_size 0
		.amdhsa_uses_dynamic_stack 0
		.amdhsa_system_sgpr_private_segment_wavefront_offset 1
		.amdhsa_system_sgpr_workgroup_id_x 1
		.amdhsa_system_sgpr_workgroup_id_y 1
		.amdhsa_system_sgpr_workgroup_id_z 1
		.amdhsa_system_sgpr_workgroup_info 0
		.amdhsa_system_vgpr_workitem_id 0
		.amdhsa_next_free_vgpr 96
		.amdhsa_next_free_sgpr 48
		.amdhsa_accum_offset 96
		.amdhsa_reserve_vcc 1
		.amdhsa_reserve_flat_scratch 0
		.amdhsa_float_round_mode_32 0
		.amdhsa_float_round_mode_16_64 0
		.amdhsa_float_denorm_mode_32 3
		.amdhsa_float_denorm_mode_16_64 3
		.amdhsa_dx10_clamp 1
		.amdhsa_ieee_mode 1
		.amdhsa_fp16_overflow 0
		.amdhsa_tg_split 0
		.amdhsa_exception_fp_ieee_invalid_op 0
		.amdhsa_exception_fp_denorm_src 0
		.amdhsa_exception_fp_ieee_div_zero 0
		.amdhsa_exception_fp_ieee_overflow 0
		.amdhsa_exception_fp_ieee_underflow 0
		.amdhsa_exception_fp_ieee_inexact 0
		.amdhsa_exception_int_div_zero 0
	.end_amdhsa_kernel
	.section	.text._Z39paged_attention_ll4mi_QKV_mfma16_kernelI14__hip_bfloat16S0_LN4vllm18Fp8KVCacheDataTypeE0ES0_Li16ELi128ELi256ELb0ELi1EL8MFMAType0EEvPKT_PKT0_S9_ifPKiSB_SB_iPKfiiiPfSE_PS4_PT2_iSD_SD_,"axG",@progbits,_Z39paged_attention_ll4mi_QKV_mfma16_kernelI14__hip_bfloat16S0_LN4vllm18Fp8KVCacheDataTypeE0ES0_Li16ELi128ELi256ELb0ELi1EL8MFMAType0EEvPKT_PKT0_S9_ifPKiSB_SB_iPKfiiiPfSE_PS4_PT2_iSD_SD_,comdat
.Lfunc_end340:
	.size	_Z39paged_attention_ll4mi_QKV_mfma16_kernelI14__hip_bfloat16S0_LN4vllm18Fp8KVCacheDataTypeE0ES0_Li16ELi128ELi256ELb0ELi1EL8MFMAType0EEvPKT_PKT0_S9_ifPKiSB_SB_iPKfiiiPfSE_PS4_PT2_iSD_SD_, .Lfunc_end340-_Z39paged_attention_ll4mi_QKV_mfma16_kernelI14__hip_bfloat16S0_LN4vllm18Fp8KVCacheDataTypeE0ES0_Li16ELi128ELi256ELb0ELi1EL8MFMAType0EEvPKT_PKT0_S9_ifPKiSB_SB_iPKfiiiPfSE_PS4_PT2_iSD_SD_
                                        ; -- End function
	.section	.AMDGPU.csdata,"",@progbits
; Kernel info:
; codeLenInByte = 4740
; NumSgprs: 52
; NumVgprs: 96
; NumAgprs: 0
; TotalNumVgprs: 96
; ScratchSize: 8
; MemoryBound: 0
; FloatMode: 240
; IeeeMode: 1
; LDSByteSize: 8192 bytes/workgroup (compile time only)
; SGPRBlocks: 6
; VGPRBlocks: 11
; NumSGPRsForWavesPerEU: 52
; NumVGPRsForWavesPerEU: 96
; AccumOffset: 96
; Occupancy: 5
; WaveLimiterHint : 1
; COMPUTE_PGM_RSRC2:SCRATCH_EN: 1
; COMPUTE_PGM_RSRC2:USER_SGPR: 6
; COMPUTE_PGM_RSRC2:TRAP_HANDLER: 0
; COMPUTE_PGM_RSRC2:TGID_X_EN: 1
; COMPUTE_PGM_RSRC2:TGID_Y_EN: 1
; COMPUTE_PGM_RSRC2:TGID_Z_EN: 1
; COMPUTE_PGM_RSRC2:TIDIG_COMP_CNT: 0
; COMPUTE_PGM_RSRC3_GFX90A:ACCUM_OFFSET: 23
; COMPUTE_PGM_RSRC3_GFX90A:TG_SPLIT: 0
	.section	.text._Z39paged_attention_ll4mi_QKV_mfma16_kernelI14__hip_bfloat16S0_LN4vllm18Fp8KVCacheDataTypeE0ES0_Li16ELi128ELi256ELb0ELi2EL8MFMAType0EEvPKT_PKT0_S9_ifPKiSB_SB_iPKfiiiPfSE_PS4_PT2_iSD_SD_,"axG",@progbits,_Z39paged_attention_ll4mi_QKV_mfma16_kernelI14__hip_bfloat16S0_LN4vllm18Fp8KVCacheDataTypeE0ES0_Li16ELi128ELi256ELb0ELi2EL8MFMAType0EEvPKT_PKT0_S9_ifPKiSB_SB_iPKfiiiPfSE_PS4_PT2_iSD_SD_,comdat
	.protected	_Z39paged_attention_ll4mi_QKV_mfma16_kernelI14__hip_bfloat16S0_LN4vllm18Fp8KVCacheDataTypeE0ES0_Li16ELi128ELi256ELb0ELi2EL8MFMAType0EEvPKT_PKT0_S9_ifPKiSB_SB_iPKfiiiPfSE_PS4_PT2_iSD_SD_ ; -- Begin function _Z39paged_attention_ll4mi_QKV_mfma16_kernelI14__hip_bfloat16S0_LN4vllm18Fp8KVCacheDataTypeE0ES0_Li16ELi128ELi256ELb0ELi2EL8MFMAType0EEvPKT_PKT0_S9_ifPKiSB_SB_iPKfiiiPfSE_PS4_PT2_iSD_SD_
	.globl	_Z39paged_attention_ll4mi_QKV_mfma16_kernelI14__hip_bfloat16S0_LN4vllm18Fp8KVCacheDataTypeE0ES0_Li16ELi128ELi256ELb0ELi2EL8MFMAType0EEvPKT_PKT0_S9_ifPKiSB_SB_iPKfiiiPfSE_PS4_PT2_iSD_SD_
	.p2align	8
	.type	_Z39paged_attention_ll4mi_QKV_mfma16_kernelI14__hip_bfloat16S0_LN4vllm18Fp8KVCacheDataTypeE0ES0_Li16ELi128ELi256ELb0ELi2EL8MFMAType0EEvPKT_PKT0_S9_ifPKiSB_SB_iPKfiiiPfSE_PS4_PT2_iSD_SD_,@function
_Z39paged_attention_ll4mi_QKV_mfma16_kernelI14__hip_bfloat16S0_LN4vllm18Fp8KVCacheDataTypeE0ES0_Li16ELi128ELi256ELb0ELi2EL8MFMAType0EEvPKT_PKT0_S9_ifPKiSB_SB_iPKfiiiPfSE_PS4_PT2_iSD_SD_: ; @_Z39paged_attention_ll4mi_QKV_mfma16_kernelI14__hip_bfloat16S0_LN4vllm18Fp8KVCacheDataTypeE0ES0_Li16ELi128ELi256ELb0ELi2EL8MFMAType0EEvPKT_PKT0_S9_ifPKiSB_SB_iPKfiiiPfSE_PS4_PT2_iSD_SD_
; %bb.0:
	s_mov_b64 s[46:47], s[2:3]
	s_mov_b64 s[44:45], s[0:1]
	s_load_dwordx2 s[0:1], s[4:5], 0x30
	s_add_u32 s44, s44, s9
	s_addc_u32 s45, s45, 0
	s_mov_b32 s26, s7
	s_mov_b64 s[10:11], 0
	s_waitcnt lgkmcnt(0)
	s_cmp_lg_u64 s[0:1], 0
	s_cselect_b64 s[2:3], -1, 0
	s_and_b64 vcc, exec, s[2:3]
	s_cbranch_vccz .LBB341_7
; %bb.1:
	s_add_i32 s12, s6, 1
	s_mov_b32 s13, 0
	s_lshl_b64 s[14:15], s[12:13], 2
	s_add_u32 s14, s0, s14
	s_mov_b32 s7, s13
	s_addc_u32 s15, s1, s15
	s_lshl_b64 s[12:13], s[6:7], 2
	s_add_u32 s12, s0, s12
	s_addc_u32 s13, s1, s13
	s_load_dword s9, s[14:15], 0x0
	s_load_dword s16, s[12:13], 0x0
	s_waitcnt lgkmcnt(0)
	s_sub_i32 s9, s9, s16
	s_cmp_eq_u32 s9, 1
	s_cselect_b64 s[12:13], -1, 0
	s_andn2_b64 vcc, exec, s[10:11]
	s_cbranch_vccnz .LBB341_3
.LBB341_2:
	s_mov_b32 s7, 0
	s_mov_b64 s[12:13], -1
.LBB341_3:
	s_andn2_b64 vcc, exec, s[12:13]
	s_cbranch_vccnz .LBB341_17
; %bb.4:
	s_load_dwordx2 s[12:13], s[4:5], 0x28
	s_lshl_b64 s[10:11], s[6:7], 2
	s_waitcnt lgkmcnt(0)
	s_add_u32 s12, s12, s10
	s_addc_u32 s13, s13, s11
	s_load_dword s38, s[12:13], 0x0
	s_lshl_b32 s9, s26, 8
	s_waitcnt lgkmcnt(0)
	s_cmp_ge_i32 s9, s38
	s_cbranch_scc1 .LBB341_17
; %bb.5:
	s_add_i32 s15, s38, 15
	s_load_dwordx2 s[12:13], s[4:5], 0x20
	s_load_dword s14, s[4:5], 0x38
	s_ashr_i32 s16, s15, 31
	v_and_b32_e32 v1, 0xcf, v0
	s_lshr_b32 s16, s16, 28
	v_add_u32_e32 v1, s9, v1
	s_add_i32 s15, s15, s16
	v_ashrrev_i32_e32 v2, 31, v1
	s_ashr_i32 s18, s15, 4
	v_lshrrev_b32_e32 v6, 28, v2
	s_add_i32 s18, s18, -1
	v_add_u32_e32 v2, v1, v6
	s_waitcnt lgkmcnt(0)
	s_mul_i32 s14, s6, s14
	s_mov_b32 s15, 0
	v_ashrrev_i32_e32 v2, 4, v2
	v_mov_b32_e32 v7, s18
	v_cmp_gt_i32_e32 vcc, s38, v1
	s_lshl_b64 s[14:15], s[14:15], 2
	v_cndmask_b32_e32 v2, v7, v2, vcc
	s_add_u32 s16, s12, s14
	v_ashrrev_i32_e32 v3, 31, v2
	s_addc_u32 s17, s13, s15
	v_lshlrev_b64 v[2:3], 2, v[2:3]
	v_mov_b32_e32 v5, s17
	v_add_co_u32_e32 v4, vcc, s16, v2
	v_or_b32_e32 v2, 16, v1
	v_addc_co_u32_e32 v5, vcc, v5, v3, vcc
	v_add_u32_e32 v3, v2, v6
	v_ashrrev_i32_e32 v3, 4, v3
	v_cmp_gt_i32_e32 vcc, s38, v2
	v_cndmask_b32_e32 v2, v7, v3, vcc
	v_ashrrev_i32_e32 v3, 31, v2
	v_lshlrev_b64 v[2:3], 2, v[2:3]
	v_mov_b32_e32 v9, s17
	v_add_co_u32_e32 v8, vcc, s16, v2
	v_or_b32_e32 v2, 32, v1
	v_addc_co_u32_e32 v9, vcc, v9, v3, vcc
	v_add_u32_e32 v3, v2, v6
	v_ashrrev_i32_e32 v3, 4, v3
	v_cmp_gt_i32_e32 vcc, s38, v2
	v_cndmask_b32_e32 v2, v7, v3, vcc
	v_ashrrev_i32_e32 v3, 31, v2
	;; [unrolled: 10-line block ×3, first 2 shown]
	v_lshlrev_b64 v[2:3], 2, v[2:3]
	v_mov_b32_e32 v1, s17
	v_add_co_u32_e32 v12, vcc, s16, v2
	v_addc_co_u32_e32 v13, vcc, v1, v3, vcc
	global_load_dword v3, v[4:5], off
	global_load_dword v2, v[8:9], off
	global_load_dword v6, v[10:11], off
	global_load_dword v28, v[12:13], off
	s_load_dwordx4 s[12:15], s[4:5], 0x8
	s_andn2_b64 vcc, exec, s[2:3]
	s_cbranch_vccnz .LBB341_8
; %bb.6:
	s_add_u32 s0, s0, s10
	s_addc_u32 s1, s1, s11
	s_load_dword s19, s[0:1], 0x0
	s_branch .LBB341_9
.LBB341_7:
	s_mov_b64 s[12:13], 0
	s_branch .LBB341_2
.LBB341_8:
	s_mov_b32 s19, s6
.LBB341_9:
	s_load_dwordx4 s[0:3], s[4:5], 0x48
	v_lshrrev_b32_e32 v86, 6, v0
	v_bfe_u32 v82, v0, 4, 2
	v_and_b32_e32 v83, 15, v0
	v_lshl_or_b32 v4, v86, 2, v82
	v_lshlrev_b32_e32 v1, 3, v83
	s_lshl_b32 s27, s8, 1
	v_cmp_gt_u32_e32 vcc, 2, v4
	v_lshlrev_b32_e32 v1, 1, v1
	buffer_store_dword v1, off, s[44:47], 0 ; 4-byte Folded Spill
	s_and_saveexec_b64 s[10:11], vcc
	s_cbranch_execz .LBB341_11
; %bb.10:
	buffer_load_dword v1, off, s[44:47], 0  ; 4-byte Folded Reload
	s_load_dwordx2 s[20:21], s[4:5], 0x0
	s_waitcnt lgkmcnt(0)
	s_ashr_i32 s3, s0, 31
	s_mul_hi_u32 s22, s19, s0
	s_mul_i32 s3, s19, s3
	s_add_i32 s23, s22, s3
	s_mul_i32 s22, s19, s0
	s_lshl_b64 s[22:23], s[22:23], 1
	v_add_lshl_u32 v8, v82, s27, 7
	s_add_u32 s0, s20, s22
	v_ashrrev_i32_e32 v9, 31, v8
	s_addc_u32 s3, s21, s23
	v_lshlrev_b64 v[8:9], 1, v[8:9]
	v_mov_b32_e32 v5, s3
	v_add_co_u32_e32 v7, vcc, s0, v8
	v_addc_co_u32_e32 v5, vcc, v5, v9, vcc
	v_lshlrev_b32_e32 v4, 5, v4
	s_waitcnt vmcnt(0)
	v_add_co_u32_e32 v8, vcc, v7, v1
	v_addc_co_u32_e32 v9, vcc, 0, v5, vcc
	global_load_dwordx4 v[8:11], v[8:9], off
	v_and_b32_e32 v5, 3, v0
	v_lshlrev_b32_e32 v7, 9, v83
	v_lshlrev_b32_e32 v5, 9, v5
	v_and_b32_e32 v7, 0x1800, v7
	v_or3_b32 v4, v7, v5, v4
	s_waitcnt vmcnt(0)
	ds_write_b128 v4, v[8:11]
.LBB341_11:
	s_or_b64 exec, exec, s[10:11]
	s_waitcnt lgkmcnt(0)
	s_mul_i32 s2, s8, s2
	s_mov_b32 s3, 0
	s_lshl_b64 s[2:3], s[2:3], 1
	s_add_u32 s8, s12, s2
	v_lshlrev_b32_e32 v1, 4, v0
	s_addc_u32 s10, s13, s3
	v_and_b32_e32 v4, 0xf0, v1
	v_mov_b32_e32 v5, s10
	v_add_co_u32_e32 v29, vcc, s8, v4
	v_addc_co_u32_e32 v30, vcc, 0, v5, vcc
	s_waitcnt vmcnt(4)
	v_mad_i64_i32 v[4:5], s[10:11], v3, s1, 0
	v_lshlrev_b64 v[4:5], 1, v[4:5]
	v_add_co_u32_e32 v3, vcc, v29, v4
	v_addc_co_u32_e32 v4, vcc, v30, v5, vcc
	v_and_b32_e32 v31, 0x300, v1
	v_add_co_u32_e32 v22, vcc, v3, v31
	v_addc_co_u32_e32 v23, vcc, 0, v4, vcc
	s_load_dword s33, s[4:5], 0x98
	s_load_dword s0, s[4:5], 0x1c
	s_waitcnt lgkmcnt(0)
	s_barrier
	global_load_dwordx4 v[10:13], v[22:23], off
	global_load_dwordx4 v[18:21], v[22:23], off offset:1024
	s_waitcnt vmcnt(5)
	v_mad_i64_i32 v[2:3], s[10:11], v2, s1, 0
	v_lshlrev_b64 v[2:3], 1, v[2:3]
	v_add_co_u32_e32 v2, vcc, v29, v2
	v_addc_co_u32_e32 v3, vcc, v30, v3, vcc
	v_add_co_u32_e32 v24, vcc, v2, v31
	v_addc_co_u32_e32 v25, vcc, 0, v3, vcc
	global_load_dwordx4 v[14:17], v[24:25], off
	global_load_dwordx4 v[38:41], v[24:25], off offset:1024
	v_and_b32_e32 v2, 1, v0
	v_lshlrev_b32_e32 v2, 5, v2
	v_lshl_or_b32 v32, v82, 9, v2
	ds_read_b128 v[2:5], v32
	s_waitcnt vmcnt(6)
	v_mad_i64_i32 v[6:7], s[10:11], v6, s1, 0
	v_lshlrev_b64 v[26:27], 1, v[6:7]
	ds_read_b128 v[6:9], v32 offset:2048
	v_and_or_b32 v62, v0, 48, s9
	v_mov_b32_e32 v63, s18
	v_mov_b32_e32 v68, s17
	s_add_u32 s8, s14, s2
	v_lshl_or_b32 v87, v86, 4, v83
	v_lshlrev_b32_e32 v76, 5, v87
	s_mov_b32 s40, 0xff7fffff
	v_and_b32_e32 v1, 63, v0
	s_waitcnt vmcnt(3) lgkmcnt(1)
	v_mfma_f32_16x16x16bf16_1k v[34:37], v[10:11], v[2:3], 0
	v_add_co_u32_e32 v10, vcc, v29, v26
	v_addc_co_u32_e32 v11, vcc, v30, v27, vcc
	v_add_co_u32_e32 v26, vcc, v10, v31
	v_addc_co_u32_e32 v27, vcc, 0, v11, vcc
	global_load_dwordx4 v[46:49], v[26:27], off
	global_load_dwordx4 v[58:61], v[26:27], off offset:1024
	s_waitcnt vmcnt(3)
	v_mfma_f32_16x16x16bf16_1k v[42:45], v[14:15], v[2:3], 0
	v_cmp_gt_i32_e32 vcc, s38, v62
	v_mfma_f32_16x16x16bf16_1k v[14:17], v[16:17], v[4:5], v[42:45]
	s_nop 7
	s_nop 0
	global_load_dwordx4 v[42:45], v[22:23], off offset:2048
	v_mfma_f32_16x16x16bf16_1k v[10:13], v[12:13], v[4:5], v[34:37]
	s_waitcnt vmcnt(3) lgkmcnt(0)
	v_mfma_f32_16x16x16bf16_1k v[14:17], v[38:39], v[6:7], v[14:17]
	v_mfma_f32_16x16x16bf16_1k v[10:13], v[18:19], v[6:7], v[10:13]
	;; [unrolled: 1-line block ×3, first 2 shown]
	global_load_dwordx4 v[38:41], v[22:23], off offset:3072
	v_mfma_f32_16x16x16bf16_1k v[18:21], v[20:21], v[8:9], v[10:13]
	s_waitcnt vmcnt(3)
	v_mfma_f32_16x16x16bf16_1k v[50:53], v[46:47], v[2:3], 0
	v_mfma_f32_16x16x16bf16_1k v[34:37], v[48:49], v[4:5], v[50:53]
	global_load_dwordx4 v[46:49], v[24:25], off offset:2048
	s_nop 3
	ds_read_b128 v[10:13], v32 offset:4096
	s_nop 3
	ds_read_b128 v[50:53], v32 offset:6144
	global_load_dwordx4 v[22:25], v[24:25], off offset:3072
	v_mad_i64_i32 v[32:33], s[10:11], v28, s1, 0
	v_mov_b32_e32 v28, s17
	s_addc_u32 s10, s15, s3
	s_waitcnt vmcnt(3) lgkmcnt(1)
	v_mfma_f32_16x16x16bf16_1k v[18:21], v[42:43], v[10:11], v[18:21]
	v_mfma_f32_16x16x16bf16_1k v[18:21], v[44:45], v[12:13], v[18:21]
	global_load_dwordx4 v[42:45], v[26:27], off offset:2048
	s_waitcnt vmcnt(3) lgkmcnt(0)
	v_mfma_f32_16x16x16bf16_1k v[18:21], v[38:39], v[50:51], v[18:21]
	v_or_b32_e32 v38, 64, v62
	v_ashrrev_i32_e32 v39, 4, v38
	v_mfma_f32_16x16x16bf16_1k v[54:57], v[40:41], v[52:53], v[18:21]
	s_waitcnt vmcnt(2)
	v_mfma_f32_16x16x16bf16_1k v[14:17], v[46:47], v[10:11], v[14:17]
	v_mfma_f32_16x16x16bf16_1k v[14:17], v[48:49], v[12:13], v[14:17]
	global_load_dwordx4 v[46:49], v[26:27], off offset:3072
	v_lshlrev_b64 v[26:27], 1, v[32:33]
	v_ashrrev_i32_e32 v32, 4, v62
	v_cndmask_b32_e32 v32, v63, v32, vcc
	v_ashrrev_i32_e32 v33, 31, v32
	v_cmp_gt_i32_e32 vcc, s38, v38
	v_cndmask_b32_e32 v38, v63, v39, vcc
	s_waitcnt vmcnt(2)
	v_mfma_f32_16x16x16bf16_1k v[14:17], v[22:23], v[50:51], v[14:17]
	v_lshlrev_b64 v[22:23], 2, v[32:33]
	v_add_co_u32_e32 v22, vcc, s16, v22
	v_addc_co_u32_e32 v23, vcc, v28, v23, vcc
	v_add_co_u32_e32 v18, vcc, v29, v26
	v_addc_co_u32_e32 v19, vcc, v30, v27, vcc
	;; [unrolled: 2-line block ×3, first 2 shown]
	v_mfma_f32_16x16x16bf16_1k v[64:67], v[24:25], v[52:53], v[14:17]
	global_load_dword v30, v[22:23], off
	v_ashrrev_i32_e32 v39, 31, v38
	v_lshlrev_b64 v[32:33], 2, v[38:39]
	v_add_co_u32_e32 v18, vcc, s16, v32
	v_addc_co_u32_e32 v19, vcc, v68, v33, vcc
	s_nop 1
	global_load_dwordx4 v[14:17], v[26:27], off
	global_load_dword v31, v[18:19], off
	s_nop 0
	global_load_dwordx4 v[18:21], v[26:27], off offset:1024
	global_load_dwordx4 v[68:71], v[26:27], off offset:2048
	;; [unrolled: 1-line block ×3, first 2 shown]
	v_mfma_f32_16x16x16bf16_1k v[22:25], v[58:59], v[6:7], v[34:37]
	v_or_b32_e32 v28, 0x80, v62
	v_ashrrev_i32_e32 v29, 4, v28
	v_cmp_gt_i32_e32 vcc, s38, v28
	v_cndmask_b32_e32 v28, v63, v29, vcc
	v_ashrrev_i32_e32 v29, 31, v28
	v_lshlrev_b64 v[28:29], 2, v[28:29]
	v_mov_b32_e32 v32, s17
	v_mfma_f32_16x16x16bf16_1k v[22:25], v[60:61], v[8:9], v[22:25]
	v_add_co_u32_e32 v28, vcc, s16, v28
	v_addc_co_u32_e32 v29, vcc, v32, v29, vcc
	global_load_dword v32, v[28:29], off
	v_or_b32_e32 v28, 0xc0, v62
	v_ashrrev_i32_e32 v29, 4, v28
	v_cmp_gt_i32_e32 vcc, s38, v28
	v_cndmask_b32_e32 v28, v63, v29, vcc
	v_ashrrev_i32_e32 v29, 31, v28
	v_lshlrev_b64 v[28:29], 2, v[28:29]
	s_waitcnt vmcnt(8)
	v_mfma_f32_16x16x16bf16_1k v[22:25], v[42:43], v[10:11], v[22:25]
	v_mov_b32_e32 v33, s17
	v_add_co_u32_e32 v28, vcc, s16, v28
	v_addc_co_u32_e32 v29, vcc, v33, v29, vcc
	global_load_dword v58, v[28:29], off
	v_mov_b32_e32 v26, s10
	v_mfma_f32_16x16x16bf16_1k v[22:25], v[44:45], v[12:13], v[22:25]
	v_add_co_u32_e32 v77, vcc, s8, v76
	v_addc_co_u32_e32 v78, vcc, 0, v26, vcc
	v_pk_mul_f32 v[80:81], s[0:1], v[66:67] op_sel_hi:[0,1]
	s_waitcnt vmcnt(8)
	v_mfma_f32_16x16x16bf16_1k v[22:25], v[46:47], v[50:51], v[22:25]
	v_mfma_f32_16x16x16bf16_1k v[88:91], v[48:49], v[52:53], v[22:25]
	s_waitcnt vmcnt(7)
	s_nop 7
	s_nop 0
	v_mad_i64_i32 v[22:23], s[2:3], v30, s1, 0
	v_lshlrev_b64 v[62:63], 1, v[22:23]
	s_waitcnt vmcnt(6)
	v_mfma_f32_16x16x16bf16_1k v[22:25], v[14:15], v[2:3], 0
	v_add_co_u32_e32 v2, vcc, v77, v62
	v_addc_co_u32_e32 v3, vcc, v78, v63, vcc
	global_load_dwordx4 v[46:49], v[2:3], off
	global_load_dwordx4 v[42:45], v[2:3], off offset:16
	s_waitcnt vmcnt(7)
	v_mad_i64_i32 v[2:3], s[2:3], v31, s1, 0
	v_lshlrev_b64 v[14:15], 1, v[2:3]
	v_mfma_f32_16x16x16bf16_1k v[2:5], v[16:17], v[4:5], v[22:25]
	v_add_co_u32_e32 v16, vcc, v77, v14
	v_addc_co_u32_e32 v17, vcc, v78, v15, vcc
	global_load_dwordx4 v[38:41], v[16:17], off
	global_load_dwordx4 v[34:37], v[16:17], off offset:16
	s_waitcnt vmcnt(5)
	v_mad_i64_i32 v[16:17], s[2:3], v32, s1, 0
	v_mfma_f32_16x16x16bf16_1k v[2:5], v[18:19], v[6:7], v[2:5]
	v_lshlrev_b64 v[60:61], 1, v[16:17]
	v_add_co_u32_e32 v6, vcc, v77, v60
	v_addc_co_u32_e32 v7, vcc, v78, v61, vcc
	global_load_dwordx4 v[30:33], v[6:7], off
	global_load_dwordx4 v[26:29], v[6:7], off offset:16
	s_waitcnt vmcnt(6)
	v_mad_i64_i32 v[6:7], s[2:3], v58, s1, 0
	v_mfma_f32_16x16x16bf16_1k v[2:5], v[20:21], v[8:9], v[2:5]
	v_lshlrev_b64 v[58:59], 1, v[6:7]
	v_add_co_u32_e32 v6, vcc, v77, v58
	v_addc_co_u32_e32 v7, vcc, v78, v59, vcc
	global_load_dwordx4 v[22:25], v[6:7], off
	global_load_dwordx4 v[18:21], v[6:7], off offset:16
	v_or_b32_e32 v6, 0x800, v76
	v_mfma_f32_16x16x16bf16_1k v[2:5], v[68:69], v[10:11], v[2:5]
	v_mov_b32_e32 v7, s10
	v_add_co_u32_e32 v68, vcc, s8, v6
	v_addc_co_u32_e32 v69, vcc, 0, v7, vcc
	v_pk_mul_f32 v[78:79], s[0:1], v[56:57] op_sel_hi:[0,1]
	v_pk_mul_f32 v[76:77], s[0:1], v[90:91] op_sel_hi:[0,1]
	v_mfma_f32_16x16x16bf16_1k v[10:13], v[70:71], v[12:13], v[2:5]
	v_pk_mul_f32 v[70:71], s[0:1], v[64:65] op_sel_hi:[0,1]
	v_mfma_f32_16x16x16bf16_1k v[92:95], v[72:73], v[50:51], v[10:13]
	s_nop 4
	v_add_co_u32_e32 v2, vcc, v68, v62
	v_addc_co_u32_e32 v3, vcc, v69, v63, vcc
	v_add_co_u32_e32 v62, vcc, v68, v14
	v_addc_co_u32_e32 v63, vcc, v69, v15, vcc
	v_mfma_f32_16x16x16bf16_1k v[50:53], v[74:75], v[52:53], v[92:95]
	global_load_dwordx4 v[6:9], v[2:3], off
	s_nop 0
	global_load_dwordx4 v[2:5], v[2:3], off offset:16
	s_nop 0
	global_load_dwordx4 v[14:17], v[62:63], off
	global_load_dwordx4 v[10:13], v[62:63], off offset:16
	v_pk_mul_f32 v[62:63], s[0:1], v[54:55] op_sel_hi:[0,1]
	v_pk_mul_f32 v[72:73], s[0:1], v[88:89] op_sel_hi:[0,1]
	s_nop 2
	v_pk_mul_f32 v[74:75], s[0:1], v[50:51] op_sel_hi:[0,1]
	v_and_b32_e32 v50, 0xc0, v0
	v_add_u32_e32 v50, s9, v50
	v_lshl_or_b32 v50, v82, 2, v50
	v_pk_mul_f32 v[66:67], s[0:1], v[52:53] op_sel_hi:[0,1]
	v_or_b32_e32 v53, 1, v50
	v_mov_b32_e32 v51, 0xff7fffff
	v_cmp_gt_i32_e64 s[28:29], s38, v50
	v_cmp_gt_i32_e64 s[30:31], s38, v53
	v_cndmask_b32_e64 v52, v51, v62, s[28:29]
	v_cndmask_b32_e64 v53, v51, v63, s[30:31]
	v_max3_f32 v52, v52, s40, v53
	v_or_b32_e32 v53, 2, v50
	v_or_b32_e32 v54, 3, v50
	v_cmp_gt_i32_e64 s[34:35], s38, v53
	v_cmp_gt_i32_e64 s[36:37], s38, v54
	v_cndmask_b32_e64 v53, v51, v78, s[34:35]
	v_cndmask_b32_e64 v54, v51, v79, s[36:37]
	v_max3_f32 v52, v52, v53, v54
	v_or_b32_e32 v53, 16, v50
	v_or_b32_e32 v54, 17, v50
	;; [unrolled: 7-line block ×7, first 2 shown]
	v_cmp_gt_i32_e32 vcc, s38, v53
	v_cmp_gt_i32_e64 s[0:1], s38, v50
	v_cndmask_b32_e32 v53, v51, v66, vcc
	v_cndmask_b32_e64 v50, v51, v67, s[0:1]
	v_max3_f32 v64, v52, v53, v50
	v_mbcnt_lo_u32_b32 v50, -1, 0
	v_mbcnt_hi_u32_b32 v65, -1, v50
	v_and_b32_e32 v50, 64, v65
	v_add_u32_e32 v88, 64, v50
	v_xor_b32_e32 v50, 32, v65
	v_cmp_lt_i32_e64 s[38:39], v50, v88
	v_cndmask_b32_e64 v50, v65, v50, s[38:39]
	v_lshlrev_b32_e32 v89, 2, v50
	ds_bpermute_b32 v90, v89, v64
	v_add_co_u32_e64 v50, s[38:39], v68, v60
	v_addc_co_u32_e64 v51, s[38:39], v69, v61, s[38:39]
	v_xor_b32_e32 v61, 16, v65
	v_cmp_lt_i32_e64 s[38:39], v61, v88
	s_waitcnt lgkmcnt(0)
	v_max_f32_e32 v60, v90, v90
	v_cndmask_b32_e64 v61, v65, v61, s[38:39]
	v_max_f32_e32 v60, v64, v60
	v_lshlrev_b32_e32 v90, 2, v61
	ds_bpermute_b32 v61, v90, v60
	v_add_co_u32_e64 v58, s[38:39], v68, v58
	v_addc_co_u32_e64 v59, s[38:39], v69, v59, s[38:39]
	s_waitcnt lgkmcnt(0)
	v_max_f32_e32 v61, v61, v61
	v_max_f32_e32 v88, v60, v61
	v_sub_f32_e32 v60, v62, v88
	v_mul_f32_e32 v60, 0x3fb8aa3b, v60
	v_exp_f32_e32 v68, v60
	v_sub_f32_e32 v60, v63, v88
	v_mul_f32_e32 v60, 0x3fb8aa3b, v60
	global_load_dwordx4 v[54:57], v[50:51], off
	s_nop 0
	global_load_dwordx4 v[50:53], v[50:51], off offset:16
	v_exp_f32_e32 v69, v60
	global_load_dwordx4 v[62:65], v[58:59], off
	s_nop 0
	global_load_dwordx4 v[58:61], v[58:59], off offset:16
	v_sub_f32_e32 v78, v78, v88
	v_mul_f32_e32 v78, 0x3fb8aa3b, v78
	v_sub_f32_e32 v79, v79, v88
	v_exp_f32_e32 v78, v78
	v_mul_f32_e32 v79, 0x3fb8aa3b, v79
	v_sub_f32_e32 v70, v70, v88
	v_exp_f32_e32 v79, v79
	v_mul_f32_e32 v70, 0x3fb8aa3b, v70
	v_sub_f32_e32 v71, v71, v88
	v_cndmask_b32_e64 v68, 0, v68, s[28:29]
	v_exp_f32_e32 v70, v70
	v_mul_f32_e32 v71, 0x3fb8aa3b, v71
	v_sub_f32_e32 v80, v80, v88
	v_add_f32_e32 v91, 0, v68
	v_cndmask_b32_e64 v69, 0, v69, s[30:31]
	v_exp_f32_e32 v71, v71
	v_mul_f32_e32 v80, 0x3fb8aa3b, v80
	v_sub_f32_e32 v81, v81, v88
	v_add_f32_e32 v91, v91, v69
	;; [unrolled: 5-line block ×10, first 2 shown]
	v_cndmask_b32_e64 v76, 0, v76, s[10:11]
	v_exp_f32_e32 v66, v66
	v_mul_f32_e32 v67, 0x3fb8aa3b, v67
	v_add_f32_e32 v91, v91, v76
	v_cndmask_b32_e64 v77, 0, v77, s[12:13]
	v_exp_f32_e32 v67, v67
	v_add_f32_e32 v91, v91, v77
	v_cndmask_b32_e64 v74, 0, v74, s[2:3]
	v_add_f32_e32 v91, v91, v74
	v_cndmask_b32_e64 v75, 0, v75, s[8:9]
	v_add_f32_e32 v91, v91, v75
	v_cndmask_b32_e32 v66, 0, v66, vcc
	v_add_f32_e32 v91, v91, v66
	v_cndmask_b32_e64 v67, 0, v67, s[0:1]
	v_add_f32_e32 v91, v91, v67
	ds_bpermute_b32 v89, v89, v91
	v_cmp_gt_u32_e32 vcc, 16, v1
	s_waitcnt lgkmcnt(0)
	s_barrier
	v_add_f32_e32 v89, v91, v89
	ds_bpermute_b32 v90, v90, v89
	s_and_saveexec_b64 s[0:1], vcc
	s_cbranch_execz .LBB341_13
; %bb.12:
	s_waitcnt lgkmcnt(0)
	v_add_f32_e32 v89, v89, v90
	v_lshlrev_b32_e32 v87, 2, v87
	ds_write2st64_b32 v87, v88, v89 offset1:1
.LBB341_13:
	s_or_b64 exec, exec, s[0:1]
	v_lshlrev_b32_e32 v94, 2, v83
	s_load_dword s2, s[4:5], 0x94
	s_waitcnt lgkmcnt(0)
	s_barrier
	ds_read2_b32 v[88:89], v94 offset1:16
	ds_read2_b32 v[90:91], v94 offset0:32 offset1:48
	ds_read2_b32 v[92:93], v94 offset0:64 offset1:80
	;; [unrolled: 1-line block ×3, first 2 shown]
	s_movk_i32 s9, 0x7fff
	s_waitcnt lgkmcnt(3)
	v_max3_f32 v87, v88, s40, v89
	s_waitcnt lgkmcnt(2)
	v_max3_f32 v87, v87, v90, v91
	v_sub_f32_e32 v88, v88, v87
	v_mul_f32_e32 v88, 0x3fb8aa3b, v88
	v_exp_f32_e32 v1, v88
	v_sub_f32_e32 v88, v89, v87
	v_mul_f32_e32 v88, 0x3fb8aa3b, v88
	v_exp_f32_e32 v89, v88
	;; [unrolled: 3-line block ×4, first 2 shown]
	s_waitcnt lgkmcnt(1)
	v_fma_f32 v88, v1, v92, 0
	v_fmac_f32_e32 v88, v89, v93
	s_waitcnt lgkmcnt(0)
	v_fmac_f32_e32 v88, v90, v94
	v_fmac_f32_e32 v88, v91, v95
	v_add_f32_e32 v92, 0x358637bd, v88
	v_div_scale_f32 v93, s[0:1], v92, v92, 1.0
	v_rcp_f32_e32 v94, v93
	s_mov_b32 s10, 0x7060302
	s_barrier
	v_fma_f32 v95, -v93, v94, 1.0
	v_fmac_f32_e32 v94, v95, v94
	v_div_scale_f32 v95, vcc, 1.0, v92, 1.0
	v_mul_f32_e32 v84, v95, v94
	v_fma_f32 v85, -v93, v84, v95
	v_fmac_f32_e32 v84, v85, v94
	v_fma_f32 v85, -v93, v84, v95
	v_div_fmas_f32 v84, v85, v94, v84
	v_cmp_eq_u32_e32 vcc, 1, v86
	v_cndmask_b32_e32 v1, v1, v89, vcc
	v_cmp_eq_u32_e32 vcc, 2, v86
	v_cndmask_b32_e32 v1, v1, v90, vcc
	v_cmp_eq_u32_e32 vcc, 3, v86
	v_div_fixup_f32 v84, v84, v92, 1.0
	v_cndmask_b32_e32 v1, v1, v91, vcc
	v_mul_f32_e32 v90, v1, v84
	v_pk_mul_f32 v[68:69], v[90:91], v[68:69] op_sel_hi:[0,1]
	v_bfe_u32 v1, v69, 16, 1
	v_bfe_u32 v84, v68, 16, 1
	v_pk_mul_f32 v[78:79], v[90:91], v[78:79] op_sel_hi:[0,1]
	v_add3_u32 v68, v68, v84, s9
	v_add3_u32 v1, v69, v1, s9
	v_perm_b32 v92, v1, v68, s10
	v_bfe_u32 v1, v79, 16, 1
	v_bfe_u32 v68, v78, 16, 1
	v_add3_u32 v68, v78, v68, s9
	v_add3_u32 v1, v79, v1, s9
	v_perm_b32 v93, v1, v68, s10
	v_lshlrev_b32_e32 v1, 3, v82
	v_lshlrev_b32_e32 v68, 5, v83
	;; [unrolled: 1-line block ×3, first 2 shown]
	v_pk_mul_f32 v[70:71], v[90:91], v[70:71] op_sel_hi:[0,1]
	v_or3_b32 v78, v69, v68, v1
	v_bfe_u32 v1, v71, 16, 1
	v_bfe_u32 v69, v70, 16, 1
	v_pk_mul_f32 v[80:81], v[90:91], v[80:81] op_sel_hi:[0,1]
	v_add3_u32 v69, v70, v69, s9
	v_add3_u32 v1, v71, v1, s9
	v_perm_b32 v70, v1, v69, s10
	v_bfe_u32 v1, v81, 16, 1
	v_bfe_u32 v69, v80, 16, 1
	v_add3_u32 v69, v80, v69, s9
	v_add3_u32 v1, v81, v1, s9
	v_pk_mul_f32 v[72:73], v[90:91], v[72:73] op_sel_hi:[0,1]
	v_perm_b32 v71, v1, v69, s10
	v_bfe_u32 v1, v73, 16, 1
	v_bfe_u32 v69, v72, 16, 1
	ds_write2st64_b64 v78, v[92:93], v[70:71] offset1:1
	v_pk_mul_f32 v[70:71], v[90:91], v[76:77] op_sel_hi:[0,1]
	v_add3_u32 v69, v72, v69, s9
	v_add3_u32 v1, v73, v1, s9
	v_perm_b32 v72, v1, v69, s10
	v_bfe_u32 v1, v71, 16, 1
	v_bfe_u32 v69, v70, 16, 1
	v_add3_u32 v69, v70, v69, s9
	v_add3_u32 v1, v71, v1, s9
	v_pk_mul_f32 v[70:71], v[90:91], v[74:75] op_sel_hi:[0,1]
	v_perm_b32 v73, v1, v69, s10
	v_bfe_u32 v1, v71, 16, 1
	v_bfe_u32 v69, v70, 16, 1
	v_pk_mul_f32 v[66:67], v[90:91], v[66:67] op_sel_hi:[0,1]
	v_add3_u32 v69, v70, v69, s9
	v_add3_u32 v1, v71, v1, s9
	v_perm_b32 v70, v1, v69, s10
	v_bfe_u32 v1, v67, 16, 1
	v_bfe_u32 v69, v66, 16, 1
	v_add3_u32 v66, v66, v69, s9
	v_add3_u32 v1, v67, v1, s9
	s_lshl_b32 s8, s33, 1
	v_perm_b32 v71, v1, v66, s10
	v_cmp_gt_u32_e32 vcc, 2, v0
	ds_write2st64_b64 v78, v[72:73], v[70:71] offset0:2 offset1:3
	s_and_saveexec_b64 s[0:1], vcc
	s_cbranch_execz .LBB341_15
; %bb.14:
	v_or_b32_e32 v66, s27, v0
	v_mov_b32_e32 v67, 0
	v_mov_b32_e32 v1, s8
	v_mad_u64_u32 v[70:71], s[16:17], s6, v1, v[66:67]
	v_mov_b32_e32 v66, s26
	s_load_dwordx4 s[12:15], s[4:5], 0x58
	s_mul_i32 s3, s7, s8
	v_mad_u64_u32 v[66:67], s[16:17], v70, s2, v[66:67]
	v_add_u32_e32 v1, s3, v71
	v_mov_b32_e32 v70, v67
	v_mad_u64_u32 v[70:71], s[16:17], v1, s2, v[70:71]
	v_mov_b32_e32 v67, v70
	v_lshlrev_b64 v[66:67], 2, v[66:67]
	s_waitcnt lgkmcnt(0)
	v_mov_b32_e32 v1, s15
	v_add_co_u32_e32 v70, vcc, s14, v66
	v_addc_co_u32_e32 v71, vcc, v1, v67, vcc
	v_mov_b32_e32 v1, s13
	v_add_co_u32_e32 v66, vcc, s12, v66
	v_addc_co_u32_e32 v67, vcc, v1, v67, vcc
	global_store_dword v[70:71], v87, off
	global_store_dword v[66:67], v88, off
.LBB341_15:
	s_or_b64 exec, exec, s[0:1]
	v_lshl_or_b32 v1, v82, 9, v68
	s_waitcnt lgkmcnt(0)
	s_barrier
	ds_read_b128 v[70:73], v1
	ds_read_b128 v[66:69], v1 offset:16
	s_waitcnt vmcnt(15) lgkmcnt(1)
	v_mfma_f32_16x16x16bf16_1k v[74:77], v[46:47], v[70:71], 0
	v_cmp_gt_u32_e32 vcc, 64, v0
	s_mov_b32 s3, 0
	v_mfma_f32_16x16x16bf16_1k v[46:49], v[48:49], v[72:73], v[74:77]
	s_waitcnt vmcnt(14) lgkmcnt(0)
	v_mfma_f32_16x16x16bf16_1k v[46:49], v[42:43], v[66:67], v[46:49]
	v_mfma_f32_16x16x16bf16_1k v[42:45], v[44:45], v[68:69], v[46:49]
	s_nop 7
	s_nop 1
	ds_read_b128 v[46:49], v1 offset:2048
	ds_read_b128 v[74:77], v1 offset:2064
	s_waitcnt vmcnt(13) lgkmcnt(1)
	v_mfma_f32_16x16x16bf16_1k v[42:45], v[38:39], v[46:47], v[42:45]
	v_mfma_f32_16x16x16bf16_1k v[38:41], v[40:41], v[48:49], v[42:45]
	s_waitcnt vmcnt(12) lgkmcnt(0)
	v_mfma_f32_16x16x16bf16_1k v[38:41], v[34:35], v[74:75], v[38:41]
	v_mfma_f32_16x16x16bf16_1k v[34:37], v[36:37], v[76:77], v[38:41]
	s_nop 7
	s_nop 1
	ds_read_b128 v[38:41], v1 offset:4096
	ds_read_b128 v[42:45], v1 offset:4112
	s_waitcnt vmcnt(11) lgkmcnt(1)
	v_mfma_f32_16x16x16bf16_1k v[34:37], v[30:31], v[38:39], v[34:37]
	v_mfma_f32_16x16x16bf16_1k v[30:33], v[32:33], v[40:41], v[34:37]
	s_waitcnt vmcnt(10) lgkmcnt(0)
	v_mfma_f32_16x16x16bf16_1k v[30:33], v[26:27], v[42:43], v[30:33]
	v_mfma_f32_16x16x16bf16_1k v[26:29], v[28:29], v[44:45], v[30:33]
	s_nop 7
	s_nop 1
	ds_read_b128 v[30:33], v1 offset:6144
	ds_read_b128 v[34:37], v1 offset:6160
	s_waitcnt lgkmcnt(0)
	s_barrier
	s_waitcnt vmcnt(9)
	v_mfma_f32_16x16x16bf16_1k v[26:29], v[22:23], v[30:31], v[26:29]
	v_mfma_f32_16x16x16bf16_1k v[22:25], v[24:25], v[32:33], v[26:29]
	s_waitcnt vmcnt(8)
	v_mfma_f32_16x16x16bf16_1k v[22:25], v[18:19], v[34:35], v[22:25]
	v_mfma_f32_16x16x16bf16_1k v[18:21], v[20:21], v[36:37], v[22:25]
	s_waitcnt vmcnt(7)
	v_mfma_f32_16x16x16bf16_1k v[22:25], v[6:7], v[70:71], 0
	s_nop 7
	s_nop 0
	v_bfe_u32 v1, v19, 16, 1
	v_add3_u32 v1, v19, v1, s9
	v_mfma_f32_16x16x16bf16_1k v[6:9], v[8:9], v[72:73], v[22:25]
	s_waitcnt vmcnt(6)
	v_mfma_f32_16x16x16bf16_1k v[6:9], v[2:3], v[66:67], v[6:9]
	v_mfma_f32_16x16x16bf16_1k v[2:5], v[4:5], v[68:69], v[6:9]
	s_waitcnt vmcnt(5)
	v_mfma_f32_16x16x16bf16_1k v[2:5], v[14:15], v[46:47], v[2:5]
	s_nop 7
	v_bfe_u32 v6, v18, 16, 1
	v_add3_u32 v6, v18, v6, s9
	v_perm_b32 v6, v1, v6, s10
	v_bfe_u32 v1, v21, 16, 1
	v_bfe_u32 v7, v20, 16, 1
	v_add3_u32 v7, v20, v7, s9
	v_add3_u32 v1, v21, v1, s9
	v_mfma_f32_16x16x16bf16_1k v[2:5], v[16:17], v[48:49], v[2:5]
	v_perm_b32 v7, v1, v7, s10
	s_waitcnt vmcnt(4)
	v_mfma_f32_16x16x16bf16_1k v[2:5], v[10:11], v[74:75], v[2:5]
	v_mfma_f32_16x16x16bf16_1k v[2:5], v[12:13], v[76:77], v[2:5]
	s_waitcnt vmcnt(3)
	v_mfma_f32_16x16x16bf16_1k v[2:5], v[54:55], v[38:39], v[2:5]
	v_mfma_f32_16x16x16bf16_1k v[2:5], v[56:57], v[40:41], v[2:5]
	;; [unrolled: 3-line block ×5, first 2 shown]
	s_nop 7
	s_nop 2
	v_bfe_u32 v1, v3, 16, 1
	v_bfe_u32 v8, v2, 16, 1
	v_add3_u32 v2, v2, v8, s9
	v_add3_u32 v1, v3, v1, s9
	v_perm_b32 v2, v1, v2, s10
	v_bfe_u32 v1, v5, 16, 1
	v_bfe_u32 v3, v4, 16, 1
	v_add3_u32 v3, v4, v3, s9
	v_add3_u32 v1, v5, v1, s9
	v_perm_b32 v3, v1, v3, s10
	v_and_b32_e32 v1, 63, v0
	v_cmp_gt_u32_e64 s[0:1], 32, v1
	s_and_b64 s[0:1], vcc, s[0:1]
	ds_write2st64_b64 v78, v[6:7], v[2:3] offset1:1
	s_waitcnt lgkmcnt(0)
	s_barrier
	s_and_saveexec_b64 s[10:11], s[0:1]
	s_cbranch_execz .LBB341_17
; %bb.16:
	s_load_dwordx2 s[0:1], s[4:5], 0x68
	s_mul_i32 s4, s8, s6
	s_lshl_b32 s6, s2, 7
	s_mul_hi_u32 s5, s4, s6
	s_mul_i32 s4, s4, s6
	v_lshlrev_b32_e32 v3, 6, v83
	s_lshl_b64 s[4:5], s[4:5], 1
	v_lshlrev_b32_e32 v2, 4, v0
	v_lshl_or_b32 v0, v0, 10, v3
	s_waitcnt lgkmcnt(0)
	s_add_u32 s4, s0, s4
	v_lshlrev_b32_e32 v1, 5, v82
	v_and_b32_e32 v2, 16, v2
	v_and_b32_e32 v0, 0x1a00, v0
	s_addc_u32 s5, s1, s5
	s_lshl_b32 s2, s26, 7
	v_or3_b32 v0, v0, v1, v2
	s_lshl_b64 s[0:1], s[2:3], 1
	ds_read_b128 v[2:5], v0
	s_add_u32 s2, s4, s0
	v_or_b32_e32 v0, s27, v82
	s_addc_u32 s3, s5, s1
	v_mad_u64_u32 v[6:7], s[0:1], s6, v0, 0
	v_lshlrev_b64 v[6:7], 1, v[6:7]
	v_mov_b32_e32 v0, s3
	v_add_co_u32_e32 v1, vcc, s2, v6
	v_addc_co_u32_e32 v6, vcc, v0, v7, vcc
	buffer_load_dword v0, off, s[44:47], 0  ; 4-byte Folded Reload
	s_waitcnt vmcnt(0)
	v_add_co_u32_e32 v0, vcc, v1, v0
	v_addc_co_u32_e32 v1, vcc, 0, v6, vcc
	s_waitcnt lgkmcnt(0)
	global_store_dwordx4 v[0:1], v[2:5], off
.LBB341_17:
	s_endpgm
	.section	.rodata,"a",@progbits
	.p2align	6, 0x0
	.amdhsa_kernel _Z39paged_attention_ll4mi_QKV_mfma16_kernelI14__hip_bfloat16S0_LN4vllm18Fp8KVCacheDataTypeE0ES0_Li16ELi128ELi256ELb0ELi2EL8MFMAType0EEvPKT_PKT0_S9_ifPKiSB_SB_iPKfiiiPfSE_PS4_PT2_iSD_SD_
		.amdhsa_group_segment_fixed_size 8192
		.amdhsa_private_segment_fixed_size 8
		.amdhsa_kernarg_size 400
		.amdhsa_user_sgpr_count 6
		.amdhsa_user_sgpr_private_segment_buffer 1
		.amdhsa_user_sgpr_dispatch_ptr 0
		.amdhsa_user_sgpr_queue_ptr 0
		.amdhsa_user_sgpr_kernarg_segment_ptr 1
		.amdhsa_user_sgpr_dispatch_id 0
		.amdhsa_user_sgpr_flat_scratch_init 0
		.amdhsa_user_sgpr_kernarg_preload_length 0
		.amdhsa_user_sgpr_kernarg_preload_offset 0
		.amdhsa_user_sgpr_private_segment_size 0
		.amdhsa_uses_dynamic_stack 0
		.amdhsa_system_sgpr_private_segment_wavefront_offset 1
		.amdhsa_system_sgpr_workgroup_id_x 1
		.amdhsa_system_sgpr_workgroup_id_y 1
		.amdhsa_system_sgpr_workgroup_id_z 1
		.amdhsa_system_sgpr_workgroup_info 0
		.amdhsa_system_vgpr_workitem_id 0
		.amdhsa_next_free_vgpr 96
		.amdhsa_next_free_sgpr 48
		.amdhsa_accum_offset 96
		.amdhsa_reserve_vcc 1
		.amdhsa_reserve_flat_scratch 0
		.amdhsa_float_round_mode_32 0
		.amdhsa_float_round_mode_16_64 0
		.amdhsa_float_denorm_mode_32 3
		.amdhsa_float_denorm_mode_16_64 3
		.amdhsa_dx10_clamp 1
		.amdhsa_ieee_mode 1
		.amdhsa_fp16_overflow 0
		.amdhsa_tg_split 0
		.amdhsa_exception_fp_ieee_invalid_op 0
		.amdhsa_exception_fp_denorm_src 0
		.amdhsa_exception_fp_ieee_div_zero 0
		.amdhsa_exception_fp_ieee_overflow 0
		.amdhsa_exception_fp_ieee_underflow 0
		.amdhsa_exception_fp_ieee_inexact 0
		.amdhsa_exception_int_div_zero 0
	.end_amdhsa_kernel
	.section	.text._Z39paged_attention_ll4mi_QKV_mfma16_kernelI14__hip_bfloat16S0_LN4vllm18Fp8KVCacheDataTypeE0ES0_Li16ELi128ELi256ELb0ELi2EL8MFMAType0EEvPKT_PKT0_S9_ifPKiSB_SB_iPKfiiiPfSE_PS4_PT2_iSD_SD_,"axG",@progbits,_Z39paged_attention_ll4mi_QKV_mfma16_kernelI14__hip_bfloat16S0_LN4vllm18Fp8KVCacheDataTypeE0ES0_Li16ELi128ELi256ELb0ELi2EL8MFMAType0EEvPKT_PKT0_S9_ifPKiSB_SB_iPKfiiiPfSE_PS4_PT2_iSD_SD_,comdat
.Lfunc_end341:
	.size	_Z39paged_attention_ll4mi_QKV_mfma16_kernelI14__hip_bfloat16S0_LN4vllm18Fp8KVCacheDataTypeE0ES0_Li16ELi128ELi256ELb0ELi2EL8MFMAType0EEvPKT_PKT0_S9_ifPKiSB_SB_iPKfiiiPfSE_PS4_PT2_iSD_SD_, .Lfunc_end341-_Z39paged_attention_ll4mi_QKV_mfma16_kernelI14__hip_bfloat16S0_LN4vllm18Fp8KVCacheDataTypeE0ES0_Li16ELi128ELi256ELb0ELi2EL8MFMAType0EEvPKT_PKT0_S9_ifPKiSB_SB_iPKfiiiPfSE_PS4_PT2_iSD_SD_
                                        ; -- End function
	.section	.AMDGPU.csdata,"",@progbits
; Kernel info:
; codeLenInByte = 4824
; NumSgprs: 52
; NumVgprs: 96
; NumAgprs: 0
; TotalNumVgprs: 96
; ScratchSize: 8
; MemoryBound: 0
; FloatMode: 240
; IeeeMode: 1
; LDSByteSize: 8192 bytes/workgroup (compile time only)
; SGPRBlocks: 6
; VGPRBlocks: 11
; NumSGPRsForWavesPerEU: 52
; NumVGPRsForWavesPerEU: 96
; AccumOffset: 96
; Occupancy: 5
; WaveLimiterHint : 1
; COMPUTE_PGM_RSRC2:SCRATCH_EN: 1
; COMPUTE_PGM_RSRC2:USER_SGPR: 6
; COMPUTE_PGM_RSRC2:TRAP_HANDLER: 0
; COMPUTE_PGM_RSRC2:TGID_X_EN: 1
; COMPUTE_PGM_RSRC2:TGID_Y_EN: 1
; COMPUTE_PGM_RSRC2:TGID_Z_EN: 1
; COMPUTE_PGM_RSRC2:TIDIG_COMP_CNT: 0
; COMPUTE_PGM_RSRC3_GFX90A:ACCUM_OFFSET: 23
; COMPUTE_PGM_RSRC3_GFX90A:TG_SPLIT: 0
	.section	.text._Z39paged_attention_ll4mi_QKV_mfma16_kernelI14__hip_bfloat16S0_LN4vllm18Fp8KVCacheDataTypeE0ES0_Li16ELi128ELi256ELb0ELi3EL8MFMAType0EEvPKT_PKT0_S9_ifPKiSB_SB_iPKfiiiPfSE_PS4_PT2_iSD_SD_,"axG",@progbits,_Z39paged_attention_ll4mi_QKV_mfma16_kernelI14__hip_bfloat16S0_LN4vllm18Fp8KVCacheDataTypeE0ES0_Li16ELi128ELi256ELb0ELi3EL8MFMAType0EEvPKT_PKT0_S9_ifPKiSB_SB_iPKfiiiPfSE_PS4_PT2_iSD_SD_,comdat
	.protected	_Z39paged_attention_ll4mi_QKV_mfma16_kernelI14__hip_bfloat16S0_LN4vllm18Fp8KVCacheDataTypeE0ES0_Li16ELi128ELi256ELb0ELi3EL8MFMAType0EEvPKT_PKT0_S9_ifPKiSB_SB_iPKfiiiPfSE_PS4_PT2_iSD_SD_ ; -- Begin function _Z39paged_attention_ll4mi_QKV_mfma16_kernelI14__hip_bfloat16S0_LN4vllm18Fp8KVCacheDataTypeE0ES0_Li16ELi128ELi256ELb0ELi3EL8MFMAType0EEvPKT_PKT0_S9_ifPKiSB_SB_iPKfiiiPfSE_PS4_PT2_iSD_SD_
	.globl	_Z39paged_attention_ll4mi_QKV_mfma16_kernelI14__hip_bfloat16S0_LN4vllm18Fp8KVCacheDataTypeE0ES0_Li16ELi128ELi256ELb0ELi3EL8MFMAType0EEvPKT_PKT0_S9_ifPKiSB_SB_iPKfiiiPfSE_PS4_PT2_iSD_SD_
	.p2align	8
	.type	_Z39paged_attention_ll4mi_QKV_mfma16_kernelI14__hip_bfloat16S0_LN4vllm18Fp8KVCacheDataTypeE0ES0_Li16ELi128ELi256ELb0ELi3EL8MFMAType0EEvPKT_PKT0_S9_ifPKiSB_SB_iPKfiiiPfSE_PS4_PT2_iSD_SD_,@function
_Z39paged_attention_ll4mi_QKV_mfma16_kernelI14__hip_bfloat16S0_LN4vllm18Fp8KVCacheDataTypeE0ES0_Li16ELi128ELi256ELb0ELi3EL8MFMAType0EEvPKT_PKT0_S9_ifPKiSB_SB_iPKfiiiPfSE_PS4_PT2_iSD_SD_: ; @_Z39paged_attention_ll4mi_QKV_mfma16_kernelI14__hip_bfloat16S0_LN4vllm18Fp8KVCacheDataTypeE0ES0_Li16ELi128ELi256ELb0ELi3EL8MFMAType0EEvPKT_PKT0_S9_ifPKiSB_SB_iPKfiiiPfSE_PS4_PT2_iSD_SD_
; %bb.0:
	s_mov_b64 s[46:47], s[2:3]
	s_mov_b64 s[44:45], s[0:1]
	s_load_dwordx2 s[0:1], s[4:5], 0x30
	s_add_u32 s44, s44, s9
	s_addc_u32 s45, s45, 0
	s_mov_b32 s26, s7
	s_mov_b64 s[10:11], 0
	s_waitcnt lgkmcnt(0)
	s_cmp_lg_u64 s[0:1], 0
	s_cselect_b64 s[2:3], -1, 0
	s_and_b64 vcc, exec, s[2:3]
	s_cbranch_vccz .LBB342_7
; %bb.1:
	s_add_i32 s12, s6, 1
	s_mov_b32 s13, 0
	s_lshl_b64 s[14:15], s[12:13], 2
	s_add_u32 s14, s0, s14
	s_mov_b32 s7, s13
	s_addc_u32 s15, s1, s15
	s_lshl_b64 s[12:13], s[6:7], 2
	s_add_u32 s12, s0, s12
	s_addc_u32 s13, s1, s13
	s_load_dword s9, s[14:15], 0x0
	s_load_dword s16, s[12:13], 0x0
	s_waitcnt lgkmcnt(0)
	s_sub_i32 s9, s9, s16
	s_cmp_eq_u32 s9, 1
	s_cselect_b64 s[12:13], -1, 0
	s_andn2_b64 vcc, exec, s[10:11]
	s_cbranch_vccnz .LBB342_3
.LBB342_2:
	s_mov_b32 s7, 0
	s_mov_b64 s[12:13], -1
.LBB342_3:
	s_andn2_b64 vcc, exec, s[12:13]
	s_cbranch_vccnz .LBB342_17
; %bb.4:
	s_load_dwordx2 s[12:13], s[4:5], 0x28
	s_lshl_b64 s[10:11], s[6:7], 2
	s_waitcnt lgkmcnt(0)
	s_add_u32 s12, s12, s10
	s_addc_u32 s13, s13, s11
	s_load_dword s38, s[12:13], 0x0
	s_lshl_b32 s9, s26, 8
	s_waitcnt lgkmcnt(0)
	s_cmp_ge_i32 s9, s38
	s_cbranch_scc1 .LBB342_17
; %bb.5:
	s_add_i32 s15, s38, 15
	s_load_dwordx2 s[12:13], s[4:5], 0x20
	s_load_dword s14, s[4:5], 0x38
	s_ashr_i32 s16, s15, 31
	v_and_b32_e32 v1, 0xcf, v0
	s_lshr_b32 s16, s16, 28
	v_add_u32_e32 v1, s9, v1
	s_add_i32 s15, s15, s16
	v_ashrrev_i32_e32 v2, 31, v1
	s_ashr_i32 s18, s15, 4
	v_lshrrev_b32_e32 v6, 28, v2
	s_add_i32 s18, s18, -1
	v_add_u32_e32 v2, v1, v6
	s_waitcnt lgkmcnt(0)
	s_mul_i32 s14, s6, s14
	s_mov_b32 s15, 0
	v_ashrrev_i32_e32 v2, 4, v2
	v_mov_b32_e32 v7, s18
	v_cmp_gt_i32_e32 vcc, s38, v1
	s_lshl_b64 s[14:15], s[14:15], 2
	v_cndmask_b32_e32 v2, v7, v2, vcc
	s_add_u32 s16, s12, s14
	v_ashrrev_i32_e32 v3, 31, v2
	s_addc_u32 s17, s13, s15
	v_lshlrev_b64 v[2:3], 2, v[2:3]
	v_mov_b32_e32 v5, s17
	v_add_co_u32_e32 v4, vcc, s16, v2
	v_or_b32_e32 v2, 16, v1
	v_addc_co_u32_e32 v5, vcc, v5, v3, vcc
	v_add_u32_e32 v3, v2, v6
	v_ashrrev_i32_e32 v3, 4, v3
	v_cmp_gt_i32_e32 vcc, s38, v2
	v_cndmask_b32_e32 v2, v7, v3, vcc
	v_ashrrev_i32_e32 v3, 31, v2
	v_lshlrev_b64 v[2:3], 2, v[2:3]
	v_mov_b32_e32 v9, s17
	v_add_co_u32_e32 v8, vcc, s16, v2
	v_or_b32_e32 v2, 32, v1
	v_addc_co_u32_e32 v9, vcc, v9, v3, vcc
	v_add_u32_e32 v3, v2, v6
	v_ashrrev_i32_e32 v3, 4, v3
	v_cmp_gt_i32_e32 vcc, s38, v2
	v_cndmask_b32_e32 v2, v7, v3, vcc
	v_ashrrev_i32_e32 v3, 31, v2
	;; [unrolled: 10-line block ×3, first 2 shown]
	v_lshlrev_b64 v[2:3], 2, v[2:3]
	v_mov_b32_e32 v1, s17
	v_add_co_u32_e32 v12, vcc, s16, v2
	v_addc_co_u32_e32 v13, vcc, v1, v3, vcc
	global_load_dword v3, v[4:5], off
	global_load_dword v2, v[8:9], off
	;; [unrolled: 1-line block ×4, first 2 shown]
	s_load_dwordx4 s[12:15], s[4:5], 0x8
	s_andn2_b64 vcc, exec, s[2:3]
	s_cbranch_vccnz .LBB342_8
; %bb.6:
	s_add_u32 s0, s0, s10
	s_addc_u32 s1, s1, s11
	s_load_dword s19, s[0:1], 0x0
	s_branch .LBB342_9
.LBB342_7:
	s_mov_b64 s[12:13], 0
	s_branch .LBB342_2
.LBB342_8:
	s_mov_b32 s19, s6
.LBB342_9:
	v_bfe_u32 v95, v0, 4, 2
	s_mul_i32 s27, s8, 3
	s_load_dwordx4 s[0:3], s[4:5], 0x48
	v_add_u32_e32 v1, s27, v95
	v_lshrrev_b32_e32 v86, 6, v0
	buffer_store_dword v1, off, s[44:47], 0 offset:4 ; 4-byte Folded Spill
	v_and_b32_e32 v1, 15, v0
	v_lshl_or_b32 v4, v86, 2, v95
	v_lshlrev_b32_e32 v5, 3, v1
	v_and_b32_e32 v87, 63, v0
	v_cmp_gt_u32_e32 vcc, 3, v4
	v_lshlrev_b32_e32 v5, 1, v5
	buffer_store_dword v5, off, s[44:47], 0 ; 4-byte Folded Spill
	s_and_saveexec_b64 s[10:11], vcc
	s_cbranch_execz .LBB342_11
; %bb.10:
	buffer_load_dword v5, off, s[44:47], 0 offset:4 ; 4-byte Folded Reload
	s_load_dwordx2 s[20:21], s[4:5], 0x0
	s_waitcnt lgkmcnt(0)
	s_ashr_i32 s3, s0, 31
	s_mul_hi_u32 s22, s19, s0
	s_mul_i32 s3, s19, s3
	s_add_i32 s23, s22, s3
	s_mul_i32 s22, s19, s0
	s_lshl_b64 s[22:23], s[22:23], 1
	s_add_u32 s0, s20, s22
	s_addc_u32 s3, s21, s23
	v_lshlrev_b32_e32 v4, 5, v4
	s_waitcnt vmcnt(0)
	v_lshlrev_b32_e32 v8, 7, v5
	v_ashrrev_i32_e32 v9, 31, v8
	v_lshlrev_b64 v[8:9], 1, v[8:9]
	v_add_co_u32_e32 v7, vcc, s0, v8
	buffer_load_dword v8, off, s[44:47], 0  ; 4-byte Folded Reload
	v_mov_b32_e32 v5, s3
	v_addc_co_u32_e32 v5, vcc, v5, v9, vcc
	s_waitcnt vmcnt(0)
	v_add_co_u32_e32 v8, vcc, v7, v8
	v_addc_co_u32_e32 v9, vcc, 0, v5, vcc
	global_load_dwordx4 v[8:11], v[8:9], off
	v_and_b32_e32 v5, 3, v0
	v_lshlrev_b32_e32 v7, 9, v1
	v_lshlrev_b32_e32 v5, 9, v5
	v_and_b32_e32 v7, 0x1800, v7
	v_or3_b32 v4, v7, v5, v4
	s_waitcnt vmcnt(0)
	ds_write_b128 v4, v[8:11]
.LBB342_11:
	s_or_b64 exec, exec, s[10:11]
	s_waitcnt lgkmcnt(0)
	s_mul_i32 s2, s8, s2
	s_mov_b32 s3, 0
	s_lshl_b64 s[2:3], s[2:3], 1
	s_add_u32 s8, s12, s2
	v_lshlrev_b32_e32 v7, 4, v0
	s_addc_u32 s10, s13, s3
	v_and_b32_e32 v4, 0xf0, v7
	v_mov_b32_e32 v5, s10
	v_add_co_u32_e32 v29, vcc, s8, v4
	v_addc_co_u32_e32 v30, vcc, 0, v5, vcc
	s_waitcnt vmcnt(5)
	v_mad_i64_i32 v[4:5], s[10:11], v3, s1, 0
	v_lshlrev_b64 v[4:5], 1, v[4:5]
	v_add_co_u32_e32 v3, vcc, v29, v4
	v_addc_co_u32_e32 v4, vcc, v30, v5, vcc
	v_and_b32_e32 v31, 0x300, v7
	v_add_co_u32_e32 v22, vcc, v3, v31
	v_addc_co_u32_e32 v23, vcc, 0, v4, vcc
	s_load_dword s33, s[4:5], 0x98
	s_load_dword s0, s[4:5], 0x1c
	s_waitcnt lgkmcnt(0)
	s_barrier
	global_load_dwordx4 v[10:13], v[22:23], off
	global_load_dwordx4 v[18:21], v[22:23], off offset:1024
	s_waitcnt vmcnt(6)
	v_mad_i64_i32 v[2:3], s[10:11], v2, s1, 0
	v_lshlrev_b64 v[2:3], 1, v[2:3]
	v_add_co_u32_e32 v2, vcc, v29, v2
	v_addc_co_u32_e32 v3, vcc, v30, v3, vcc
	v_add_co_u32_e32 v24, vcc, v2, v31
	v_addc_co_u32_e32 v25, vcc, 0, v3, vcc
	global_load_dwordx4 v[14:17], v[24:25], off
	global_load_dwordx4 v[38:41], v[24:25], off offset:1024
	v_mul_lo_u16_e32 v2, 0x56, v1
	v_mov_b32_e32 v3, 3
	v_mul_lo_u16_sdwa v2, v2, v3 dst_sel:DWORD dst_unused:UNUSED_PAD src0_sel:BYTE_1 src1_sel:DWORD
	v_mov_b32_e32 v4, 5
	v_sub_u16_e32 v2, v1, v2
	v_lshlrev_b32_sdwa v2, v4, v2 dst_sel:DWORD dst_unused:UNUSED_PAD src0_sel:DWORD src1_sel:BYTE_0
	v_lshl_add_u32 v32, v95, 9, v2
	ds_read_b128 v[2:5], v32
	s_waitcnt vmcnt(7)
	v_mad_i64_i32 v[6:7], s[10:11], v6, s1, 0
	v_lshlrev_b64 v[26:27], 1, v[6:7]
	ds_read_b128 v[6:9], v32 offset:2048
	v_and_or_b32 v62, v0, 48, s9
	v_mov_b32_e32 v63, s18
	v_mov_b32_e32 v68, s17
	s_add_u32 s8, s14, s2
	v_lshl_or_b32 v88, v86, 4, v1
	v_lshlrev_b32_e32 v76, 5, v88
	s_mov_b32 s40, 0xff7fffff
	s_waitcnt vmcnt(3) lgkmcnt(1)
	v_mfma_f32_16x16x16bf16_1k v[34:37], v[10:11], v[2:3], 0
	v_add_co_u32_e32 v10, vcc, v29, v26
	v_addc_co_u32_e32 v11, vcc, v30, v27, vcc
	v_add_co_u32_e32 v26, vcc, v10, v31
	v_addc_co_u32_e32 v27, vcc, 0, v11, vcc
	global_load_dwordx4 v[46:49], v[26:27], off
	global_load_dwordx4 v[58:61], v[26:27], off offset:1024
	s_waitcnt vmcnt(3)
	v_mfma_f32_16x16x16bf16_1k v[42:45], v[14:15], v[2:3], 0
	v_cmp_gt_i32_e32 vcc, s38, v62
	v_mfma_f32_16x16x16bf16_1k v[14:17], v[16:17], v[4:5], v[42:45]
	s_nop 7
	s_nop 0
	global_load_dwordx4 v[42:45], v[22:23], off offset:2048
	v_mfma_f32_16x16x16bf16_1k v[10:13], v[12:13], v[4:5], v[34:37]
	s_waitcnt vmcnt(3) lgkmcnt(0)
	v_mfma_f32_16x16x16bf16_1k v[14:17], v[38:39], v[6:7], v[14:17]
	v_mfma_f32_16x16x16bf16_1k v[10:13], v[18:19], v[6:7], v[10:13]
	;; [unrolled: 1-line block ×3, first 2 shown]
	global_load_dwordx4 v[38:41], v[22:23], off offset:3072
	v_mfma_f32_16x16x16bf16_1k v[18:21], v[20:21], v[8:9], v[10:13]
	s_waitcnt vmcnt(3)
	v_mfma_f32_16x16x16bf16_1k v[50:53], v[46:47], v[2:3], 0
	v_mfma_f32_16x16x16bf16_1k v[34:37], v[48:49], v[4:5], v[50:53]
	global_load_dwordx4 v[46:49], v[24:25], off offset:2048
	s_nop 3
	ds_read_b128 v[10:13], v32 offset:4096
	s_nop 3
	ds_read_b128 v[50:53], v32 offset:6144
	global_load_dwordx4 v[22:25], v[24:25], off offset:3072
	v_mad_i64_i32 v[32:33], s[10:11], v28, s1, 0
	v_mov_b32_e32 v28, s17
	s_addc_u32 s10, s15, s3
	s_waitcnt vmcnt(3) lgkmcnt(1)
	v_mfma_f32_16x16x16bf16_1k v[18:21], v[42:43], v[10:11], v[18:21]
	v_mfma_f32_16x16x16bf16_1k v[18:21], v[44:45], v[12:13], v[18:21]
	global_load_dwordx4 v[42:45], v[26:27], off offset:2048
	s_waitcnt vmcnt(3) lgkmcnt(0)
	v_mfma_f32_16x16x16bf16_1k v[18:21], v[38:39], v[50:51], v[18:21]
	v_or_b32_e32 v38, 64, v62
	v_ashrrev_i32_e32 v39, 4, v38
	v_mfma_f32_16x16x16bf16_1k v[54:57], v[40:41], v[52:53], v[18:21]
	s_waitcnt vmcnt(2)
	v_mfma_f32_16x16x16bf16_1k v[14:17], v[46:47], v[10:11], v[14:17]
	v_mfma_f32_16x16x16bf16_1k v[14:17], v[48:49], v[12:13], v[14:17]
	global_load_dwordx4 v[46:49], v[26:27], off offset:3072
	v_lshlrev_b64 v[26:27], 1, v[32:33]
	v_ashrrev_i32_e32 v32, 4, v62
	v_cndmask_b32_e32 v32, v63, v32, vcc
	v_ashrrev_i32_e32 v33, 31, v32
	v_cmp_gt_i32_e32 vcc, s38, v38
	v_cndmask_b32_e32 v38, v63, v39, vcc
	s_waitcnt vmcnt(2)
	v_mfma_f32_16x16x16bf16_1k v[14:17], v[22:23], v[50:51], v[14:17]
	v_lshlrev_b64 v[22:23], 2, v[32:33]
	v_add_co_u32_e32 v22, vcc, s16, v22
	v_addc_co_u32_e32 v23, vcc, v28, v23, vcc
	v_add_co_u32_e32 v18, vcc, v29, v26
	v_addc_co_u32_e32 v19, vcc, v30, v27, vcc
	;; [unrolled: 2-line block ×3, first 2 shown]
	v_mfma_f32_16x16x16bf16_1k v[64:67], v[24:25], v[52:53], v[14:17]
	global_load_dword v30, v[22:23], off
	v_ashrrev_i32_e32 v39, 31, v38
	v_lshlrev_b64 v[32:33], 2, v[38:39]
	v_add_co_u32_e32 v18, vcc, s16, v32
	v_addc_co_u32_e32 v19, vcc, v68, v33, vcc
	s_nop 1
	global_load_dwordx4 v[14:17], v[26:27], off
	global_load_dword v31, v[18:19], off
	s_nop 0
	global_load_dwordx4 v[18:21], v[26:27], off offset:1024
	global_load_dwordx4 v[68:71], v[26:27], off offset:2048
	;; [unrolled: 1-line block ×3, first 2 shown]
	v_mfma_f32_16x16x16bf16_1k v[22:25], v[58:59], v[6:7], v[34:37]
	v_or_b32_e32 v28, 0x80, v62
	v_ashrrev_i32_e32 v29, 4, v28
	v_cmp_gt_i32_e32 vcc, s38, v28
	v_cndmask_b32_e32 v28, v63, v29, vcc
	v_ashrrev_i32_e32 v29, 31, v28
	v_lshlrev_b64 v[28:29], 2, v[28:29]
	v_mov_b32_e32 v32, s17
	v_mfma_f32_16x16x16bf16_1k v[22:25], v[60:61], v[8:9], v[22:25]
	v_add_co_u32_e32 v28, vcc, s16, v28
	v_addc_co_u32_e32 v29, vcc, v32, v29, vcc
	global_load_dword v32, v[28:29], off
	v_or_b32_e32 v28, 0xc0, v62
	v_ashrrev_i32_e32 v29, 4, v28
	v_cmp_gt_i32_e32 vcc, s38, v28
	v_cndmask_b32_e32 v28, v63, v29, vcc
	v_ashrrev_i32_e32 v29, 31, v28
	v_lshlrev_b64 v[28:29], 2, v[28:29]
	s_waitcnt vmcnt(8)
	v_mfma_f32_16x16x16bf16_1k v[22:25], v[42:43], v[10:11], v[22:25]
	v_mov_b32_e32 v33, s17
	v_add_co_u32_e32 v28, vcc, s16, v28
	v_addc_co_u32_e32 v29, vcc, v33, v29, vcc
	global_load_dword v58, v[28:29], off
	v_mov_b32_e32 v26, s10
	v_mfma_f32_16x16x16bf16_1k v[22:25], v[44:45], v[12:13], v[22:25]
	v_add_co_u32_e32 v77, vcc, s8, v76
	v_addc_co_u32_e32 v78, vcc, 0, v26, vcc
	v_pk_mul_f32 v[80:81], s[0:1], v[66:67] op_sel_hi:[0,1]
	s_waitcnt vmcnt(8)
	v_mfma_f32_16x16x16bf16_1k v[22:25], v[46:47], v[50:51], v[22:25]
	v_mfma_f32_16x16x16bf16_1k v[90:93], v[48:49], v[52:53], v[22:25]
	s_waitcnt vmcnt(7)
	s_nop 7
	s_nop 0
	v_mad_i64_i32 v[22:23], s[2:3], v30, s1, 0
	v_lshlrev_b64 v[62:63], 1, v[22:23]
	s_waitcnt vmcnt(6)
	v_mfma_f32_16x16x16bf16_1k v[22:25], v[14:15], v[2:3], 0
	v_add_co_u32_e32 v2, vcc, v77, v62
	v_addc_co_u32_e32 v3, vcc, v78, v63, vcc
	global_load_dwordx4 v[46:49], v[2:3], off
	global_load_dwordx4 v[42:45], v[2:3], off offset:16
	s_waitcnt vmcnt(7)
	v_mad_i64_i32 v[2:3], s[2:3], v31, s1, 0
	v_lshlrev_b64 v[14:15], 1, v[2:3]
	v_mfma_f32_16x16x16bf16_1k v[2:5], v[16:17], v[4:5], v[22:25]
	v_add_co_u32_e32 v16, vcc, v77, v14
	v_addc_co_u32_e32 v17, vcc, v78, v15, vcc
	global_load_dwordx4 v[38:41], v[16:17], off
	global_load_dwordx4 v[34:37], v[16:17], off offset:16
	s_waitcnt vmcnt(5)
	v_mad_i64_i32 v[16:17], s[2:3], v32, s1, 0
	v_mfma_f32_16x16x16bf16_1k v[2:5], v[18:19], v[6:7], v[2:5]
	v_lshlrev_b64 v[60:61], 1, v[16:17]
	v_add_co_u32_e32 v6, vcc, v77, v60
	v_addc_co_u32_e32 v7, vcc, v78, v61, vcc
	global_load_dwordx4 v[30:33], v[6:7], off
	global_load_dwordx4 v[26:29], v[6:7], off offset:16
	s_waitcnt vmcnt(6)
	v_mad_i64_i32 v[6:7], s[2:3], v58, s1, 0
	v_mfma_f32_16x16x16bf16_1k v[2:5], v[20:21], v[8:9], v[2:5]
	v_lshlrev_b64 v[58:59], 1, v[6:7]
	v_add_co_u32_e32 v6, vcc, v77, v58
	v_addc_co_u32_e32 v7, vcc, v78, v59, vcc
	global_load_dwordx4 v[22:25], v[6:7], off
	global_load_dwordx4 v[18:21], v[6:7], off offset:16
	v_or_b32_e32 v6, 0x800, v76
	v_mfma_f32_16x16x16bf16_1k v[2:5], v[68:69], v[10:11], v[2:5]
	v_mov_b32_e32 v7, s10
	v_add_co_u32_e32 v68, vcc, s8, v6
	v_addc_co_u32_e32 v69, vcc, 0, v7, vcc
	v_pk_mul_f32 v[78:79], s[0:1], v[56:57] op_sel_hi:[0,1]
	v_pk_mul_f32 v[76:77], s[0:1], v[92:93] op_sel_hi:[0,1]
	v_mfma_f32_16x16x16bf16_1k v[10:13], v[70:71], v[12:13], v[2:5]
	v_pk_mul_f32 v[70:71], s[0:1], v[64:65] op_sel_hi:[0,1]
	v_mfma_f32_16x16x16bf16_1k v[82:85], v[72:73], v[50:51], v[10:13]
	s_nop 4
	v_add_co_u32_e32 v2, vcc, v68, v62
	v_addc_co_u32_e32 v3, vcc, v69, v63, vcc
	v_add_co_u32_e32 v62, vcc, v68, v14
	v_addc_co_u32_e32 v63, vcc, v69, v15, vcc
	v_mfma_f32_16x16x16bf16_1k v[50:53], v[74:75], v[52:53], v[82:85]
	global_load_dwordx4 v[6:9], v[2:3], off
	s_nop 0
	global_load_dwordx4 v[2:5], v[2:3], off offset:16
	s_nop 0
	global_load_dwordx4 v[14:17], v[62:63], off
	global_load_dwordx4 v[10:13], v[62:63], off offset:16
	v_pk_mul_f32 v[62:63], s[0:1], v[54:55] op_sel_hi:[0,1]
	v_pk_mul_f32 v[72:73], s[0:1], v[90:91] op_sel_hi:[0,1]
	s_nop 2
	v_pk_mul_f32 v[74:75], s[0:1], v[50:51] op_sel_hi:[0,1]
	v_and_b32_e32 v50, 0xc0, v0
	v_add_u32_e32 v50, s9, v50
	v_lshl_or_b32 v50, v95, 2, v50
	v_pk_mul_f32 v[66:67], s[0:1], v[52:53] op_sel_hi:[0,1]
	v_or_b32_e32 v53, 1, v50
	v_mov_b32_e32 v51, 0xff7fffff
	v_cmp_gt_i32_e64 s[28:29], s38, v50
	v_cmp_gt_i32_e64 s[30:31], s38, v53
	v_cndmask_b32_e64 v52, v51, v62, s[28:29]
	v_cndmask_b32_e64 v53, v51, v63, s[30:31]
	v_max3_f32 v52, v52, s40, v53
	v_or_b32_e32 v53, 2, v50
	v_or_b32_e32 v54, 3, v50
	v_cmp_gt_i32_e64 s[34:35], s38, v53
	v_cmp_gt_i32_e64 s[36:37], s38, v54
	v_cndmask_b32_e64 v53, v51, v78, s[34:35]
	v_cndmask_b32_e64 v54, v51, v79, s[36:37]
	v_max3_f32 v52, v52, v53, v54
	v_or_b32_e32 v53, 16, v50
	v_or_b32_e32 v54, 17, v50
	;; [unrolled: 7-line block ×7, first 2 shown]
	v_cmp_gt_i32_e32 vcc, s38, v53
	v_cmp_gt_i32_e64 s[0:1], s38, v50
	v_cndmask_b32_e32 v53, v51, v66, vcc
	v_cndmask_b32_e64 v50, v51, v67, s[0:1]
	v_max3_f32 v64, v52, v53, v50
	v_mbcnt_lo_u32_b32 v50, -1, 0
	v_mbcnt_hi_u32_b32 v65, -1, v50
	v_and_b32_e32 v50, 64, v65
	v_add_u32_e32 v82, 64, v50
	v_xor_b32_e32 v50, 32, v65
	v_cmp_lt_i32_e64 s[38:39], v50, v82
	v_cndmask_b32_e64 v50, v65, v50, s[38:39]
	v_lshlrev_b32_e32 v83, 2, v50
	ds_bpermute_b32 v84, v83, v64
	v_add_co_u32_e64 v50, s[38:39], v68, v60
	v_addc_co_u32_e64 v51, s[38:39], v69, v61, s[38:39]
	v_xor_b32_e32 v61, 16, v65
	v_cmp_lt_i32_e64 s[38:39], v61, v82
	s_waitcnt lgkmcnt(0)
	v_max_f32_e32 v60, v84, v84
	v_cndmask_b32_e64 v61, v65, v61, s[38:39]
	v_max_f32_e32 v60, v64, v60
	v_lshlrev_b32_e32 v82, 2, v61
	ds_bpermute_b32 v61, v82, v60
	v_add_co_u32_e64 v58, s[38:39], v68, v58
	v_addc_co_u32_e64 v59, s[38:39], v69, v59, s[38:39]
	s_waitcnt lgkmcnt(0)
	v_max_f32_e32 v61, v61, v61
	v_max_f32_e32 v89, v60, v61
	v_sub_f32_e32 v60, v62, v89
	v_mul_f32_e32 v60, 0x3fb8aa3b, v60
	v_exp_f32_e32 v68, v60
	v_sub_f32_e32 v60, v63, v89
	v_mul_f32_e32 v60, 0x3fb8aa3b, v60
	global_load_dwordx4 v[54:57], v[50:51], off
	s_nop 0
	global_load_dwordx4 v[50:53], v[50:51], off offset:16
	v_exp_f32_e32 v69, v60
	global_load_dwordx4 v[62:65], v[58:59], off
	s_nop 0
	global_load_dwordx4 v[58:61], v[58:59], off offset:16
	v_sub_f32_e32 v78, v78, v89
	v_mul_f32_e32 v78, 0x3fb8aa3b, v78
	v_sub_f32_e32 v79, v79, v89
	v_exp_f32_e32 v78, v78
	v_mul_f32_e32 v79, 0x3fb8aa3b, v79
	v_sub_f32_e32 v70, v70, v89
	v_exp_f32_e32 v79, v79
	v_mul_f32_e32 v70, 0x3fb8aa3b, v70
	v_sub_f32_e32 v71, v71, v89
	v_cndmask_b32_e64 v68, 0, v68, s[28:29]
	v_exp_f32_e32 v70, v70
	v_mul_f32_e32 v71, 0x3fb8aa3b, v71
	v_sub_f32_e32 v80, v80, v89
	v_add_f32_e32 v84, 0, v68
	v_cndmask_b32_e64 v69, 0, v69, s[30:31]
	v_exp_f32_e32 v71, v71
	v_mul_f32_e32 v80, 0x3fb8aa3b, v80
	v_sub_f32_e32 v81, v81, v89
	v_add_f32_e32 v84, v84, v69
	;; [unrolled: 5-line block ×10, first 2 shown]
	v_cndmask_b32_e64 v76, 0, v76, s[10:11]
	v_exp_f32_e32 v66, v66
	v_mul_f32_e32 v67, 0x3fb8aa3b, v67
	v_add_f32_e32 v84, v84, v76
	v_cndmask_b32_e64 v77, 0, v77, s[12:13]
	v_exp_f32_e32 v67, v67
	v_add_f32_e32 v84, v84, v77
	v_cndmask_b32_e64 v74, 0, v74, s[2:3]
	v_add_f32_e32 v84, v84, v74
	v_cndmask_b32_e64 v75, 0, v75, s[8:9]
	v_add_f32_e32 v84, v84, v75
	v_cndmask_b32_e32 v66, 0, v66, vcc
	v_add_f32_e32 v84, v84, v66
	v_cndmask_b32_e64 v67, 0, v67, s[0:1]
	v_add_f32_e32 v84, v84, v67
	ds_bpermute_b32 v83, v83, v84
	v_cmp_gt_u32_e32 vcc, 16, v87
	s_waitcnt lgkmcnt(0)
	s_barrier
	v_add_f32_e32 v90, v84, v83
	ds_bpermute_b32 v91, v82, v90
	s_and_saveexec_b64 s[0:1], vcc
	s_cbranch_execz .LBB342_13
; %bb.12:
	s_waitcnt lgkmcnt(0)
	v_add_f32_e32 v82, v90, v91
	v_lshlrev_b32_e32 v83, 2, v88
	ds_write2st64_b32 v83, v89, v82 offset1:1
.LBB342_13:
	s_or_b64 exec, exec, s[0:1]
	v_lshlrev_b32_e32 v90, 2, v1
	s_load_dword s2, s[4:5], 0x94
	s_waitcnt lgkmcnt(0)
	s_barrier
	ds_read2_b32 v[82:83], v90 offset1:16
	ds_read2_b32 v[84:85], v90 offset0:32 offset1:48
	ds_read2_b32 v[88:89], v90 offset0:64 offset1:80
	s_movk_i32 s9, 0x7fff
	s_mov_b32 s10, 0x7060302
	s_waitcnt lgkmcnt(2)
	v_max3_f32 v87, v82, s40, v83
	s_waitcnt lgkmcnt(1)
	v_max3_f32 v87, v87, v84, v85
	v_sub_f32_e32 v82, v82, v87
	v_mul_f32_e32 v82, 0x3fb8aa3b, v82
	v_exp_f32_e32 v91, v82
	v_sub_f32_e32 v82, v83, v87
	v_mul_f32_e32 v82, 0x3fb8aa3b, v82
	v_exp_f32_e32 v92, v82
	;; [unrolled: 3-line block ×3, first 2 shown]
	ds_read2_b32 v[82:83], v90 offset0:96 offset1:112
	v_sub_f32_e32 v85, v85, v87
	v_mul_f32_e32 v85, 0x3fb8aa3b, v85
	v_exp_f32_e32 v85, v85
	s_waitcnt lgkmcnt(1)
	v_fma_f32 v88, v91, v88, 0
	v_fmac_f32_e32 v88, v92, v89
	s_waitcnt lgkmcnt(0)
	v_fmac_f32_e32 v88, v84, v82
	v_fmac_f32_e32 v88, v85, v83
	v_add_f32_e32 v82, 0x358637bd, v88
	v_div_scale_f32 v83, s[0:1], v82, v82, 1.0
	v_rcp_f32_e32 v89, v83
	s_barrier
	v_fma_f32 v90, -v83, v89, 1.0
	v_fmac_f32_e32 v89, v90, v89
	v_div_scale_f32 v90, vcc, 1.0, v82, 1.0
	v_mul_f32_e32 v93, v90, v89
	v_fma_f32 v94, -v83, v93, v90
	v_fmac_f32_e32 v93, v94, v89
	v_fma_f32 v83, -v83, v93, v90
	v_div_fmas_f32 v83, v83, v89, v93
	v_cmp_eq_u32_e32 vcc, 1, v86
	v_div_fixup_f32 v82, v83, v82, 1.0
	v_cndmask_b32_e32 v83, v91, v92, vcc
	v_cmp_eq_u32_e32 vcc, 2, v86
	v_cndmask_b32_e32 v83, v83, v84, vcc
	v_cmp_eq_u32_e32 vcc, 3, v86
	v_cndmask_b32_e32 v83, v83, v85, vcc
	v_mul_f32_e32 v82, v83, v82
	v_pk_mul_f32 v[68:69], v[82:83], v[68:69] op_sel_hi:[0,1]
	v_pk_mul_f32 v[78:79], v[82:83], v[78:79] op_sel_hi:[0,1]
	v_bfe_u32 v83, v69, 16, 1
	v_bfe_u32 v84, v68, 16, 1
	v_add3_u32 v68, v68, v84, s9
	v_add3_u32 v69, v69, v83, s9
	v_perm_b32 v84, v69, v68, s10
	v_bfe_u32 v68, v79, 16, 1
	v_bfe_u32 v69, v78, 16, 1
	v_add3_u32 v69, v78, v69, s9
	v_add3_u32 v68, v79, v68, s9
	v_perm_b32 v85, v68, v69, s10
	v_lshlrev_b32_e32 v69, 3, v95
	v_lshlrev_b32_e32 v68, 5, v1
	v_lshlrev_b32_e32 v78, 11, v86
	v_pk_mul_f32 v[70:71], v[82:83], v[70:71] op_sel_hi:[0,1]
	v_or3_b32 v78, v78, v68, v69
	v_bfe_u32 v69, v71, 16, 1
	v_bfe_u32 v79, v70, 16, 1
	v_pk_mul_f32 v[80:81], v[82:83], v[80:81] op_sel_hi:[0,1]
	v_add3_u32 v70, v70, v79, s9
	v_add3_u32 v69, v71, v69, s9
	v_perm_b32 v70, v69, v70, s10
	v_bfe_u32 v69, v81, 16, 1
	v_bfe_u32 v71, v80, 16, 1
	v_add3_u32 v71, v80, v71, s9
	v_add3_u32 v69, v81, v69, s9
	v_perm_b32 v71, v69, v71, s10
	v_pk_mul_f32 v[72:73], v[82:83], v[72:73] op_sel_hi:[0,1]
	ds_write2st64_b64 v78, v[84:85], v[70:71] offset1:1
	v_pk_mul_f32 v[70:71], v[82:83], v[76:77] op_sel_hi:[0,1]
	v_bfe_u32 v69, v73, 16, 1
	v_bfe_u32 v76, v72, 16, 1
	v_add3_u32 v72, v72, v76, s9
	v_add3_u32 v69, v73, v69, s9
	v_perm_b32 v72, v69, v72, s10
	v_bfe_u32 v69, v71, 16, 1
	v_bfe_u32 v73, v70, 16, 1
	v_add3_u32 v70, v70, v73, s9
	v_add3_u32 v69, v71, v69, s9
	v_perm_b32 v73, v69, v70, s10
	v_pk_mul_f32 v[70:71], v[82:83], v[74:75] op_sel_hi:[0,1]
	v_bfe_u32 v69, v71, 16, 1
	v_bfe_u32 v74, v70, 16, 1
	v_pk_mul_f32 v[66:67], v[82:83], v[66:67] op_sel_hi:[0,1]
	v_add3_u32 v70, v70, v74, s9
	v_add3_u32 v69, v71, v69, s9
	v_perm_b32 v70, v69, v70, s10
	v_bfe_u32 v69, v67, 16, 1
	v_bfe_u32 v71, v66, 16, 1
	v_add3_u32 v66, v66, v71, s9
	v_add3_u32 v67, v67, v69, s9
	s_mul_i32 s8, s33, 3
	v_perm_b32 v71, v67, v66, s10
	v_cmp_gt_u32_e32 vcc, 3, v0
	ds_write2st64_b64 v78, v[72:73], v[70:71] offset0:2 offset1:3
	s_and_saveexec_b64 s[0:1], vcc
	s_cbranch_execz .LBB342_15
; %bb.14:
	v_add_co_u32_e32 v70, vcc, s27, v1
	v_addc_co_u32_e64 v71, s[16:17], 0, 0, vcc
	v_mov_b32_e32 v66, s8
	v_mov_b32_e32 v67, 0
	v_mad_u64_u32 v[70:71], s[16:17], s6, v66, v[70:71]
	v_mov_b32_e32 v66, s26
	s_load_dwordx4 s[12:15], s[4:5], 0x58
	s_mul_i32 s3, s7, s8
	v_mad_u64_u32 v[66:67], s[16:17], v70, s2, v[66:67]
	v_add_u32_e32 v69, s3, v71
	v_mov_b32_e32 v70, v67
	v_mad_u64_u32 v[70:71], s[16:17], v69, s2, v[70:71]
	v_mov_b32_e32 v67, v70
	v_lshlrev_b64 v[66:67], 2, v[66:67]
	s_waitcnt lgkmcnt(0)
	v_mov_b32_e32 v69, s15
	v_add_co_u32_e32 v70, vcc, s14, v66
	v_addc_co_u32_e32 v71, vcc, v69, v67, vcc
	v_mov_b32_e32 v69, s13
	v_add_co_u32_e32 v66, vcc, s12, v66
	v_addc_co_u32_e32 v67, vcc, v69, v67, vcc
	global_store_dword v[70:71], v87, off
	global_store_dword v[66:67], v88, off
.LBB342_15:
	s_or_b64 exec, exec, s[0:1]
	v_lshl_or_b32 v79, v95, 9, v68
	s_waitcnt lgkmcnt(0)
	s_barrier
	ds_read_b128 v[70:73], v79
	ds_read_b128 v[66:69], v79 offset:16
	s_waitcnt vmcnt(15) lgkmcnt(1)
	v_mfma_f32_16x16x16bf16_1k v[74:77], v[46:47], v[70:71], 0
	v_cmp_gt_u32_e32 vcc, 64, v0
	v_cmp_ne_u32_e64 s[0:1], 3, v95
	s_mov_b32 s3, 0
	s_and_b64 s[0:1], vcc, s[0:1]
	v_mfma_f32_16x16x16bf16_1k v[46:49], v[48:49], v[72:73], v[74:77]
	s_waitcnt vmcnt(14) lgkmcnt(0)
	v_mfma_f32_16x16x16bf16_1k v[46:49], v[42:43], v[66:67], v[46:49]
	v_mfma_f32_16x16x16bf16_1k v[42:45], v[44:45], v[68:69], v[46:49]
	s_nop 7
	s_nop 1
	ds_read_b128 v[46:49], v79 offset:2048
	ds_read_b128 v[74:77], v79 offset:2064
	s_waitcnt vmcnt(13) lgkmcnt(1)
	v_mfma_f32_16x16x16bf16_1k v[42:45], v[38:39], v[46:47], v[42:45]
	v_mfma_f32_16x16x16bf16_1k v[38:41], v[40:41], v[48:49], v[42:45]
	s_waitcnt vmcnt(12) lgkmcnt(0)
	v_mfma_f32_16x16x16bf16_1k v[38:41], v[34:35], v[74:75], v[38:41]
	v_mfma_f32_16x16x16bf16_1k v[34:37], v[36:37], v[76:77], v[38:41]
	s_nop 7
	s_nop 1
	ds_read_b128 v[38:41], v79 offset:4096
	ds_read_b128 v[42:45], v79 offset:4112
	s_waitcnt vmcnt(11) lgkmcnt(1)
	v_mfma_f32_16x16x16bf16_1k v[34:37], v[30:31], v[38:39], v[34:37]
	v_mfma_f32_16x16x16bf16_1k v[30:33], v[32:33], v[40:41], v[34:37]
	s_waitcnt vmcnt(10) lgkmcnt(0)
	v_mfma_f32_16x16x16bf16_1k v[30:33], v[26:27], v[42:43], v[30:33]
	v_mfma_f32_16x16x16bf16_1k v[26:29], v[28:29], v[44:45], v[30:33]
	s_nop 7
	s_nop 1
	ds_read_b128 v[30:33], v79 offset:6144
	ds_read_b128 v[34:37], v79 offset:6160
	s_waitcnt lgkmcnt(0)
	s_barrier
	s_waitcnt vmcnt(9)
	v_mfma_f32_16x16x16bf16_1k v[26:29], v[22:23], v[30:31], v[26:29]
	v_mfma_f32_16x16x16bf16_1k v[22:25], v[24:25], v[32:33], v[26:29]
	s_waitcnt vmcnt(8)
	v_mfma_f32_16x16x16bf16_1k v[22:25], v[18:19], v[34:35], v[22:25]
	v_mfma_f32_16x16x16bf16_1k v[18:21], v[20:21], v[36:37], v[22:25]
	;; [unrolled: 3-line block ×4, first 2 shown]
	s_waitcnt vmcnt(5)
	v_mfma_f32_16x16x16bf16_1k v[2:5], v[14:15], v[46:47], v[2:5]
	s_nop 7
	v_bfe_u32 v6, v19, 16, 1
	v_bfe_u32 v7, v18, 16, 1
	v_add3_u32 v7, v18, v7, s9
	v_add3_u32 v6, v19, v6, s9
	v_perm_b32 v6, v6, v7, s10
	v_bfe_u32 v7, v21, 16, 1
	v_bfe_u32 v8, v20, 16, 1
	v_mfma_f32_16x16x16bf16_1k v[2:5], v[16:17], v[48:49], v[2:5]
	v_add3_u32 v8, v20, v8, s9
	v_add3_u32 v7, v21, v7, s9
	v_perm_b32 v7, v7, v8, s10
	s_waitcnt vmcnt(4)
	v_mfma_f32_16x16x16bf16_1k v[2:5], v[10:11], v[74:75], v[2:5]
	v_mfma_f32_16x16x16bf16_1k v[2:5], v[12:13], v[76:77], v[2:5]
	s_waitcnt vmcnt(3)
	v_mfma_f32_16x16x16bf16_1k v[2:5], v[54:55], v[38:39], v[2:5]
	v_mfma_f32_16x16x16bf16_1k v[2:5], v[56:57], v[40:41], v[2:5]
	;; [unrolled: 3-line block ×5, first 2 shown]
	s_nop 7
	s_nop 2
	v_bfe_u32 v8, v3, 16, 1
	v_bfe_u32 v9, v2, 16, 1
	v_add3_u32 v2, v2, v9, s9
	v_add3_u32 v3, v3, v8, s9
	v_perm_b32 v2, v3, v2, s10
	v_bfe_u32 v3, v5, 16, 1
	v_bfe_u32 v8, v4, 16, 1
	v_add3_u32 v4, v4, v8, s9
	v_add3_u32 v3, v5, v3, s9
	v_perm_b32 v3, v3, v4, s10
	ds_write2st64_b64 v78, v[6:7], v[2:3] offset1:1
	s_waitcnt lgkmcnt(0)
	s_barrier
	s_and_saveexec_b64 s[10:11], s[0:1]
	s_cbranch_execz .LBB342_17
; %bb.16:
	buffer_load_dword v4, off, s[44:47], 0 offset:4 ; 4-byte Folded Reload
	s_load_dwordx2 s[0:1], s[4:5], 0x68
	s_mul_i32 s4, s8, s6
	s_lshl_b32 s6, s2, 7
	s_mul_hi_u32 s5, s4, s6
	s_mul_i32 s4, s4, s6
	s_lshl_b64 s[4:5], s[4:5], 1
	s_waitcnt lgkmcnt(0)
	s_add_u32 s4, s0, s4
	s_addc_u32 s5, s1, s5
	s_lshl_b32 s2, s26, 7
	s_lshl_b64 s[0:1], s[2:3], 1
	s_add_u32 s2, s4, s0
	s_addc_u32 s3, s5, s1
	v_mov_b32_e32 v6, s3
	v_lshlrev_b32_e32 v1, 6, v1
	v_lshlrev_b32_e32 v3, 4, v0
	v_lshl_or_b32 v0, v0, 10, v1
	v_lshlrev_b32_e32 v2, 5, v95
	v_and_b32_e32 v3, 16, v3
	v_and_b32_e32 v0, 0x1a00, v0
	v_or3_b32 v0, v0, v2, v3
	ds_read_b128 v[0:3], v0
	s_waitcnt vmcnt(0)
	v_mad_u64_u32 v[4:5], s[0:1], s6, v4, 0
	v_lshlrev_b64 v[4:5], 1, v[4:5]
	v_add_co_u32_e32 v4, vcc, s2, v4
	v_addc_co_u32_e32 v5, vcc, v6, v5, vcc
	buffer_load_dword v6, off, s[44:47], 0  ; 4-byte Folded Reload
	s_waitcnt vmcnt(0)
	v_add_co_u32_e32 v4, vcc, v4, v6
	v_addc_co_u32_e32 v5, vcc, 0, v5, vcc
	s_waitcnt lgkmcnt(0)
	global_store_dwordx4 v[4:5], v[0:3], off
.LBB342_17:
	s_endpgm
	.section	.rodata,"a",@progbits
	.p2align	6, 0x0
	.amdhsa_kernel _Z39paged_attention_ll4mi_QKV_mfma16_kernelI14__hip_bfloat16S0_LN4vllm18Fp8KVCacheDataTypeE0ES0_Li16ELi128ELi256ELb0ELi3EL8MFMAType0EEvPKT_PKT0_S9_ifPKiSB_SB_iPKfiiiPfSE_PS4_PT2_iSD_SD_
		.amdhsa_group_segment_fixed_size 8192
		.amdhsa_private_segment_fixed_size 12
		.amdhsa_kernarg_size 400
		.amdhsa_user_sgpr_count 6
		.amdhsa_user_sgpr_private_segment_buffer 1
		.amdhsa_user_sgpr_dispatch_ptr 0
		.amdhsa_user_sgpr_queue_ptr 0
		.amdhsa_user_sgpr_kernarg_segment_ptr 1
		.amdhsa_user_sgpr_dispatch_id 0
		.amdhsa_user_sgpr_flat_scratch_init 0
		.amdhsa_user_sgpr_kernarg_preload_length 0
		.amdhsa_user_sgpr_kernarg_preload_offset 0
		.amdhsa_user_sgpr_private_segment_size 0
		.amdhsa_uses_dynamic_stack 0
		.amdhsa_system_sgpr_private_segment_wavefront_offset 1
		.amdhsa_system_sgpr_workgroup_id_x 1
		.amdhsa_system_sgpr_workgroup_id_y 1
		.amdhsa_system_sgpr_workgroup_id_z 1
		.amdhsa_system_sgpr_workgroup_info 0
		.amdhsa_system_vgpr_workitem_id 0
		.amdhsa_next_free_vgpr 96
		.amdhsa_next_free_sgpr 48
		.amdhsa_accum_offset 96
		.amdhsa_reserve_vcc 1
		.amdhsa_reserve_flat_scratch 0
		.amdhsa_float_round_mode_32 0
		.amdhsa_float_round_mode_16_64 0
		.amdhsa_float_denorm_mode_32 3
		.amdhsa_float_denorm_mode_16_64 3
		.amdhsa_dx10_clamp 1
		.amdhsa_ieee_mode 1
		.amdhsa_fp16_overflow 0
		.amdhsa_tg_split 0
		.amdhsa_exception_fp_ieee_invalid_op 0
		.amdhsa_exception_fp_denorm_src 0
		.amdhsa_exception_fp_ieee_div_zero 0
		.amdhsa_exception_fp_ieee_overflow 0
		.amdhsa_exception_fp_ieee_underflow 0
		.amdhsa_exception_fp_ieee_inexact 0
		.amdhsa_exception_int_div_zero 0
	.end_amdhsa_kernel
	.section	.text._Z39paged_attention_ll4mi_QKV_mfma16_kernelI14__hip_bfloat16S0_LN4vllm18Fp8KVCacheDataTypeE0ES0_Li16ELi128ELi256ELb0ELi3EL8MFMAType0EEvPKT_PKT0_S9_ifPKiSB_SB_iPKfiiiPfSE_PS4_PT2_iSD_SD_,"axG",@progbits,_Z39paged_attention_ll4mi_QKV_mfma16_kernelI14__hip_bfloat16S0_LN4vllm18Fp8KVCacheDataTypeE0ES0_Li16ELi128ELi256ELb0ELi3EL8MFMAType0EEvPKT_PKT0_S9_ifPKiSB_SB_iPKfiiiPfSE_PS4_PT2_iSD_SD_,comdat
.Lfunc_end342:
	.size	_Z39paged_attention_ll4mi_QKV_mfma16_kernelI14__hip_bfloat16S0_LN4vllm18Fp8KVCacheDataTypeE0ES0_Li16ELi128ELi256ELb0ELi3EL8MFMAType0EEvPKT_PKT0_S9_ifPKiSB_SB_iPKfiiiPfSE_PS4_PT2_iSD_SD_, .Lfunc_end342-_Z39paged_attention_ll4mi_QKV_mfma16_kernelI14__hip_bfloat16S0_LN4vllm18Fp8KVCacheDataTypeE0ES0_Li16ELi128ELi256ELb0ELi3EL8MFMAType0EEvPKT_PKT0_S9_ifPKiSB_SB_iPKfiiiPfSE_PS4_PT2_iSD_SD_
                                        ; -- End function
	.section	.AMDGPU.csdata,"",@progbits
; Kernel info:
; codeLenInByte = 4876
; NumSgprs: 52
; NumVgprs: 96
; NumAgprs: 0
; TotalNumVgprs: 96
; ScratchSize: 12
; MemoryBound: 0
; FloatMode: 240
; IeeeMode: 1
; LDSByteSize: 8192 bytes/workgroup (compile time only)
; SGPRBlocks: 6
; VGPRBlocks: 11
; NumSGPRsForWavesPerEU: 52
; NumVGPRsForWavesPerEU: 96
; AccumOffset: 96
; Occupancy: 5
; WaveLimiterHint : 1
; COMPUTE_PGM_RSRC2:SCRATCH_EN: 1
; COMPUTE_PGM_RSRC2:USER_SGPR: 6
; COMPUTE_PGM_RSRC2:TRAP_HANDLER: 0
; COMPUTE_PGM_RSRC2:TGID_X_EN: 1
; COMPUTE_PGM_RSRC2:TGID_Y_EN: 1
; COMPUTE_PGM_RSRC2:TGID_Z_EN: 1
; COMPUTE_PGM_RSRC2:TIDIG_COMP_CNT: 0
; COMPUTE_PGM_RSRC3_GFX90A:ACCUM_OFFSET: 23
; COMPUTE_PGM_RSRC3_GFX90A:TG_SPLIT: 0
	.section	.text._Z39paged_attention_ll4mi_QKV_mfma16_kernelI14__hip_bfloat16S0_LN4vllm18Fp8KVCacheDataTypeE0ES0_Li16ELi128ELi256ELb0ELi4EL8MFMAType0EEvPKT_PKT0_S9_ifPKiSB_SB_iPKfiiiPfSE_PS4_PT2_iSD_SD_,"axG",@progbits,_Z39paged_attention_ll4mi_QKV_mfma16_kernelI14__hip_bfloat16S0_LN4vllm18Fp8KVCacheDataTypeE0ES0_Li16ELi128ELi256ELb0ELi4EL8MFMAType0EEvPKT_PKT0_S9_ifPKiSB_SB_iPKfiiiPfSE_PS4_PT2_iSD_SD_,comdat
	.protected	_Z39paged_attention_ll4mi_QKV_mfma16_kernelI14__hip_bfloat16S0_LN4vllm18Fp8KVCacheDataTypeE0ES0_Li16ELi128ELi256ELb0ELi4EL8MFMAType0EEvPKT_PKT0_S9_ifPKiSB_SB_iPKfiiiPfSE_PS4_PT2_iSD_SD_ ; -- Begin function _Z39paged_attention_ll4mi_QKV_mfma16_kernelI14__hip_bfloat16S0_LN4vllm18Fp8KVCacheDataTypeE0ES0_Li16ELi128ELi256ELb0ELi4EL8MFMAType0EEvPKT_PKT0_S9_ifPKiSB_SB_iPKfiiiPfSE_PS4_PT2_iSD_SD_
	.globl	_Z39paged_attention_ll4mi_QKV_mfma16_kernelI14__hip_bfloat16S0_LN4vllm18Fp8KVCacheDataTypeE0ES0_Li16ELi128ELi256ELb0ELi4EL8MFMAType0EEvPKT_PKT0_S9_ifPKiSB_SB_iPKfiiiPfSE_PS4_PT2_iSD_SD_
	.p2align	8
	.type	_Z39paged_attention_ll4mi_QKV_mfma16_kernelI14__hip_bfloat16S0_LN4vllm18Fp8KVCacheDataTypeE0ES0_Li16ELi128ELi256ELb0ELi4EL8MFMAType0EEvPKT_PKT0_S9_ifPKiSB_SB_iPKfiiiPfSE_PS4_PT2_iSD_SD_,@function
_Z39paged_attention_ll4mi_QKV_mfma16_kernelI14__hip_bfloat16S0_LN4vllm18Fp8KVCacheDataTypeE0ES0_Li16ELi128ELi256ELb0ELi4EL8MFMAType0EEvPKT_PKT0_S9_ifPKiSB_SB_iPKfiiiPfSE_PS4_PT2_iSD_SD_: ; @_Z39paged_attention_ll4mi_QKV_mfma16_kernelI14__hip_bfloat16S0_LN4vllm18Fp8KVCacheDataTypeE0ES0_Li16ELi128ELi256ELb0ELi4EL8MFMAType0EEvPKT_PKT0_S9_ifPKiSB_SB_iPKfiiiPfSE_PS4_PT2_iSD_SD_
; %bb.0:
	s_mov_b64 s[46:47], s[2:3]
	s_mov_b64 s[44:45], s[0:1]
	s_load_dwordx2 s[0:1], s[4:5], 0x30
	s_add_u32 s44, s44, s9
	s_addc_u32 s45, s45, 0
	s_mov_b32 s28, s7
	s_mov_b64 s[10:11], 0
	s_waitcnt lgkmcnt(0)
	s_cmp_lg_u64 s[0:1], 0
	s_cselect_b64 s[2:3], -1, 0
	s_and_b64 vcc, exec, s[2:3]
	s_cbranch_vccz .LBB343_7
; %bb.1:
	s_add_i32 s12, s6, 1
	s_mov_b32 s13, 0
	s_lshl_b64 s[14:15], s[12:13], 2
	s_add_u32 s14, s0, s14
	s_mov_b32 s7, s13
	s_addc_u32 s15, s1, s15
	s_lshl_b64 s[12:13], s[6:7], 2
	s_add_u32 s12, s0, s12
	s_addc_u32 s13, s1, s13
	s_load_dword s9, s[14:15], 0x0
	s_load_dword s16, s[12:13], 0x0
	s_waitcnt lgkmcnt(0)
	s_sub_i32 s9, s9, s16
	s_cmp_eq_u32 s9, 1
	s_cselect_b64 s[12:13], -1, 0
	s_andn2_b64 vcc, exec, s[10:11]
	s_cbranch_vccnz .LBB343_3
.LBB343_2:
	s_mov_b32 s7, 0
	s_mov_b64 s[12:13], -1
.LBB343_3:
	s_andn2_b64 vcc, exec, s[12:13]
	s_cbranch_vccnz .LBB343_17
; %bb.4:
	s_load_dwordx2 s[12:13], s[4:5], 0x28
	s_lshl_b64 s[10:11], s[6:7], 2
	s_waitcnt lgkmcnt(0)
	s_add_u32 s12, s12, s10
	s_addc_u32 s13, s13, s11
	s_load_dword s40, s[12:13], 0x0
	s_lshl_b32 s20, s28, 8
	s_waitcnt lgkmcnt(0)
	s_cmp_ge_i32 s20, s40
	s_cbranch_scc1 .LBB343_17
; %bb.5:
	s_add_i32 s14, s40, 15
	s_load_dwordx2 s[12:13], s[4:5], 0x20
	s_load_dword s9, s[4:5], 0x38
	s_ashr_i32 s15, s14, 31
	v_and_b32_e32 v1, 0xcf, v0
	s_lshr_b32 s15, s15, 28
	v_add_u32_e32 v1, s20, v1
	s_add_i32 s14, s14, s15
	v_ashrrev_i32_e32 v2, 31, v1
	s_ashr_i32 s23, s14, 4
	v_lshrrev_b32_e32 v4, 28, v2
	s_add_i32 s23, s23, -1
	v_add_u32_e32 v2, v1, v4
	s_waitcnt lgkmcnt(0)
	s_mul_i32 s14, s6, s9
	s_mov_b32 s15, 0
	v_ashrrev_i32_e32 v2, 4, v2
	v_mov_b32_e32 v5, s23
	v_cmp_gt_i32_e32 vcc, s40, v1
	s_lshl_b64 s[14:15], s[14:15], 2
	v_cndmask_b32_e32 v2, v5, v2, vcc
	s_add_u32 s21, s12, s14
	v_ashrrev_i32_e32 v3, 31, v2
	s_addc_u32 s22, s13, s15
	v_lshlrev_b64 v[2:3], 2, v[2:3]
	v_mov_b32_e32 v6, s22
	v_add_co_u32_e32 v8, vcc, s21, v2
	v_or_b32_e32 v2, 16, v1
	v_addc_co_u32_e32 v9, vcc, v6, v3, vcc
	v_add_u32_e32 v3, v2, v4
	v_ashrrev_i32_e32 v3, 4, v3
	v_cmp_gt_i32_e32 vcc, s40, v2
	v_cndmask_b32_e32 v2, v5, v3, vcc
	v_ashrrev_i32_e32 v3, 31, v2
	v_lshlrev_b64 v[2:3], 2, v[2:3]
	v_add_co_u32_e32 v10, vcc, s21, v2
	v_or_b32_e32 v2, 32, v1
	v_addc_co_u32_e32 v11, vcc, v6, v3, vcc
	v_add_u32_e32 v3, v2, v4
	v_ashrrev_i32_e32 v3, 4, v3
	v_cmp_gt_i32_e32 vcc, s40, v2
	v_cndmask_b32_e32 v2, v5, v3, vcc
	v_ashrrev_i32_e32 v3, 31, v2
	v_lshlrev_b64 v[2:3], 2, v[2:3]
	;; [unrolled: 9-line block ×3, first 2 shown]
	v_mov_b32_e32 v1, s22
	v_add_co_u32_e32 v14, vcc, s21, v2
	v_addc_co_u32_e32 v15, vcc, v1, v3, vcc
	global_load_dword v4, v[8:9], off
	global_load_dword v2, v[10:11], off
	;; [unrolled: 1-line block ×4, first 2 shown]
	s_load_dwordx4 s[16:19], s[4:5], 0x8
	s_andn2_b64 vcc, exec, s[2:3]
	s_cbranch_vccnz .LBB343_8
; %bb.6:
	s_add_u32 s0, s0, s10
	s_addc_u32 s1, s1, s11
	s_load_dword s9, s[0:1], 0x0
	s_branch .LBB343_9
.LBB343_7:
	s_mov_b64 s[12:13], 0
	s_branch .LBB343_2
.LBB343_8:
	s_mov_b32 s9, s6
.LBB343_9:
	v_bfe_u32 v86, v0, 4, 2
	s_lshl_b32 s29, s8, 2
	s_load_dwordx4 s[12:15], s[4:5], 0x48
	v_or_b32_e32 v1, s29, v86
	v_and_b32_e32 v95, 15, v0
	buffer_store_dword v1, off, s[44:47], 0 offset:4 ; 4-byte Folded Spill
	v_lshlrev_b32_e32 v1, 3, v95
	v_lshlrev_b32_e32 v1, 1, v1
	v_lshrrev_b32_e32 v87, 6, v0
	v_and_b32_e32 v88, 63, v0
	v_and_b32_e32 v3, 3, v0
	v_cmp_gt_u32_e64 s[0:1], 64, v0
	buffer_store_dword v1, off, s[44:47], 0 ; 4-byte Folded Spill
	v_lshlrev_b32_e32 v1, 5, v86
	buffer_store_dword v1, off, s[44:47], 0 offset:8 ; 4-byte Folded Spill
	s_and_saveexec_b64 s[2:3], s[0:1]
	s_cbranch_execz .LBB343_11
; %bb.10:
	buffer_load_dword v1, off, s[44:47], 0 offset:4 ; 4-byte Folded Reload
	s_load_dwordx2 s[10:11], s[4:5], 0x0
	s_waitcnt lgkmcnt(0)
	s_ashr_i32 s15, s12, 31
	s_mul_hi_u32 s24, s9, s12
	s_mul_i32 s15, s9, s15
	s_add_i32 s25, s24, s15
	s_mul_i32 s24, s9, s12
	s_lshl_b64 s[24:25], s[24:25], 1
	s_add_u32 s9, s10, s24
	s_addc_u32 s10, s11, s25
	v_mov_b32_e32 v5, s10
	v_lshlrev_b32_e32 v12, 9, v95
	v_and_b32_e32 v12, 0x1800, v12
	s_waitcnt vmcnt(0)
	v_lshlrev_b32_e32 v8, 7, v1
	buffer_load_dword v1, off, s[44:47], 0  ; 4-byte Folded Reload
	v_ashrrev_i32_e32 v9, 31, v8
	v_lshlrev_b64 v[8:9], 1, v[8:9]
	v_add_co_u32_e32 v7, vcc, s9, v8
	v_addc_co_u32_e32 v5, vcc, v5, v9, vcc
	s_waitcnt vmcnt(0)
	v_add_co_u32_e32 v8, vcc, v7, v1
	v_addc_co_u32_e32 v9, vcc, 0, v5, vcc
	global_load_dwordx4 v[8:11], v[8:9], off
	v_lshlrev_b32_e32 v1, 5, v86
	v_lshl_or_b32 v5, v87, 7, v1
	v_lshlrev_b32_e32 v7, 9, v3
	v_or3_b32 v5, v12, v7, v5
	s_waitcnt vmcnt(0)
	ds_write_b128 v5, v[8:11]
.LBB343_11:
	s_or_b64 exec, exec, s[2:3]
	s_waitcnt lgkmcnt(0)
	s_mul_i32 s8, s8, s14
	s_mov_b32 s9, 0
	s_lshl_b64 s[8:9], s[8:9], 1
	s_add_u32 s3, s16, s8
	v_lshlrev_b32_e32 v1, 4, v0
	s_addc_u32 s10, s17, s9
	v_and_b32_e32 v5, 0xf0, v1
	v_mov_b32_e32 v7, s10
	v_add_co_u32_e32 v29, vcc, s3, v5
	s_waitcnt vmcnt(6)
	v_mad_i64_i32 v[4:5], s[10:11], v4, s13, 0
	v_addc_co_u32_e32 v30, vcc, 0, v7, vcc
	v_lshlrev_b64 v[4:5], 1, v[4:5]
	v_add_co_u32_e32 v4, vcc, v29, v4
	v_addc_co_u32_e32 v5, vcc, v30, v5, vcc
	v_and_b32_e32 v31, 0x300, v1
	v_add_co_u32_e32 v22, vcc, v4, v31
	v_addc_co_u32_e32 v23, vcc, 0, v5, vcc
	s_load_dword s33, s[4:5], 0x98
	s_load_dword s2, s[4:5], 0x1c
	s_waitcnt lgkmcnt(0)
	s_barrier
	global_load_dwordx4 v[10:13], v[22:23], off
	global_load_dwordx4 v[18:21], v[22:23], off offset:1024
	s_waitcnt vmcnt(7)
	v_mad_i64_i32 v[4:5], s[10:11], v2, s13, 0
	v_lshlrev_b64 v[4:5], 1, v[4:5]
	v_add_co_u32_e32 v2, vcc, v29, v4
	v_addc_co_u32_e32 v4, vcc, v30, v5, vcc
	v_add_co_u32_e32 v24, vcc, v2, v31
	v_addc_co_u32_e32 v25, vcc, 0, v4, vcc
	global_load_dwordx4 v[14:17], v[24:25], off
	global_load_dwordx4 v[38:41], v[24:25], off offset:1024
	v_lshlrev_b32_e32 v2, 5, v3
	v_lshl_or_b32 v32, v86, 9, v2
	ds_read_b128 v[2:5], v32
	s_waitcnt vmcnt(8)
	v_mad_i64_i32 v[6:7], s[10:11], v6, s13, 0
	v_lshlrev_b64 v[26:27], 1, v[6:7]
	ds_read_b128 v[6:9], v32 offset:2048
	v_and_or_b32 v62, v0, 48, s20
	v_mov_b32_e32 v63, s23
	v_mov_b32_e32 v68, s22
	s_add_u32 s3, s18, s8
	v_lshl_or_b32 v89, v87, 4, v95
	v_lshlrev_b32_e32 v76, 5, v89
	s_mov_b32 s42, 0xff7fffff
	s_waitcnt vmcnt(3) lgkmcnt(1)
	v_mfma_f32_16x16x16bf16_1k v[34:37], v[10:11], v[2:3], 0
	v_add_co_u32_e32 v10, vcc, v29, v26
	v_addc_co_u32_e32 v11, vcc, v30, v27, vcc
	v_add_co_u32_e32 v26, vcc, v10, v31
	v_addc_co_u32_e32 v27, vcc, 0, v11, vcc
	global_load_dwordx4 v[46:49], v[26:27], off
	global_load_dwordx4 v[58:61], v[26:27], off offset:1024
	s_waitcnt vmcnt(3)
	v_mfma_f32_16x16x16bf16_1k v[42:45], v[14:15], v[2:3], 0
	v_cmp_gt_i32_e32 vcc, s40, v62
	v_mfma_f32_16x16x16bf16_1k v[14:17], v[16:17], v[4:5], v[42:45]
	s_nop 7
	s_nop 0
	global_load_dwordx4 v[42:45], v[22:23], off offset:2048
	v_mfma_f32_16x16x16bf16_1k v[10:13], v[12:13], v[4:5], v[34:37]
	s_waitcnt vmcnt(3) lgkmcnt(0)
	v_mfma_f32_16x16x16bf16_1k v[14:17], v[38:39], v[6:7], v[14:17]
	v_mfma_f32_16x16x16bf16_1k v[10:13], v[18:19], v[6:7], v[10:13]
	;; [unrolled: 1-line block ×3, first 2 shown]
	global_load_dwordx4 v[38:41], v[22:23], off offset:3072
	v_mfma_f32_16x16x16bf16_1k v[18:21], v[20:21], v[8:9], v[10:13]
	s_waitcnt vmcnt(3)
	v_mfma_f32_16x16x16bf16_1k v[50:53], v[46:47], v[2:3], 0
	v_mfma_f32_16x16x16bf16_1k v[34:37], v[48:49], v[4:5], v[50:53]
	global_load_dwordx4 v[46:49], v[24:25], off offset:2048
	s_nop 3
	ds_read_b128 v[10:13], v32 offset:4096
	s_nop 3
	ds_read_b128 v[50:53], v32 offset:6144
	global_load_dwordx4 v[22:25], v[24:25], off offset:3072
	v_mad_i64_i32 v[32:33], s[10:11], v28, s13, 0
	v_mov_b32_e32 v28, s22
	s_addc_u32 s10, s19, s9
	s_waitcnt vmcnt(3) lgkmcnt(1)
	v_mfma_f32_16x16x16bf16_1k v[18:21], v[42:43], v[10:11], v[18:21]
	v_mfma_f32_16x16x16bf16_1k v[18:21], v[44:45], v[12:13], v[18:21]
	global_load_dwordx4 v[42:45], v[26:27], off offset:2048
	s_waitcnt vmcnt(3) lgkmcnt(0)
	v_mfma_f32_16x16x16bf16_1k v[18:21], v[38:39], v[50:51], v[18:21]
	v_or_b32_e32 v38, 64, v62
	v_ashrrev_i32_e32 v39, 4, v38
	v_mfma_f32_16x16x16bf16_1k v[54:57], v[40:41], v[52:53], v[18:21]
	s_waitcnt vmcnt(2)
	v_mfma_f32_16x16x16bf16_1k v[14:17], v[46:47], v[10:11], v[14:17]
	v_mfma_f32_16x16x16bf16_1k v[14:17], v[48:49], v[12:13], v[14:17]
	global_load_dwordx4 v[46:49], v[26:27], off offset:3072
	v_lshlrev_b64 v[26:27], 1, v[32:33]
	v_ashrrev_i32_e32 v32, 4, v62
	v_cndmask_b32_e32 v32, v63, v32, vcc
	v_ashrrev_i32_e32 v33, 31, v32
	v_cmp_gt_i32_e32 vcc, s40, v38
	v_cndmask_b32_e32 v38, v63, v39, vcc
	s_waitcnt vmcnt(2)
	v_mfma_f32_16x16x16bf16_1k v[14:17], v[22:23], v[50:51], v[14:17]
	v_lshlrev_b64 v[22:23], 2, v[32:33]
	v_add_co_u32_e32 v22, vcc, s21, v22
	v_addc_co_u32_e32 v23, vcc, v28, v23, vcc
	v_add_co_u32_e32 v18, vcc, v29, v26
	v_addc_co_u32_e32 v19, vcc, v30, v27, vcc
	;; [unrolled: 2-line block ×3, first 2 shown]
	v_mfma_f32_16x16x16bf16_1k v[64:67], v[24:25], v[52:53], v[14:17]
	global_load_dword v30, v[22:23], off
	v_ashrrev_i32_e32 v39, 31, v38
	v_lshlrev_b64 v[32:33], 2, v[38:39]
	v_add_co_u32_e32 v18, vcc, s21, v32
	v_addc_co_u32_e32 v19, vcc, v68, v33, vcc
	s_nop 1
	global_load_dwordx4 v[14:17], v[26:27], off
	global_load_dword v31, v[18:19], off
	s_nop 0
	global_load_dwordx4 v[18:21], v[26:27], off offset:1024
	global_load_dwordx4 v[68:71], v[26:27], off offset:2048
	;; [unrolled: 1-line block ×3, first 2 shown]
	v_mfma_f32_16x16x16bf16_1k v[22:25], v[58:59], v[6:7], v[34:37]
	v_or_b32_e32 v28, 0x80, v62
	v_ashrrev_i32_e32 v29, 4, v28
	v_cmp_gt_i32_e32 vcc, s40, v28
	v_cndmask_b32_e32 v28, v63, v29, vcc
	v_ashrrev_i32_e32 v29, 31, v28
	v_lshlrev_b64 v[28:29], 2, v[28:29]
	v_mov_b32_e32 v32, s22
	v_mfma_f32_16x16x16bf16_1k v[22:25], v[60:61], v[8:9], v[22:25]
	v_add_co_u32_e32 v28, vcc, s21, v28
	v_addc_co_u32_e32 v29, vcc, v32, v29, vcc
	global_load_dword v32, v[28:29], off
	v_or_b32_e32 v28, 0xc0, v62
	v_ashrrev_i32_e32 v29, 4, v28
	v_cmp_gt_i32_e32 vcc, s40, v28
	v_cndmask_b32_e32 v28, v63, v29, vcc
	v_ashrrev_i32_e32 v29, 31, v28
	v_lshlrev_b64 v[28:29], 2, v[28:29]
	s_waitcnt vmcnt(8)
	v_mfma_f32_16x16x16bf16_1k v[22:25], v[42:43], v[10:11], v[22:25]
	v_mov_b32_e32 v33, s22
	v_add_co_u32_e32 v28, vcc, s21, v28
	v_addc_co_u32_e32 v29, vcc, v33, v29, vcc
	global_load_dword v58, v[28:29], off
	v_mov_b32_e32 v26, s10
	v_mfma_f32_16x16x16bf16_1k v[22:25], v[44:45], v[12:13], v[22:25]
	v_add_co_u32_e32 v77, vcc, s3, v76
	v_addc_co_u32_e32 v78, vcc, 0, v26, vcc
	v_pk_mul_f32 v[80:81], s[2:3], v[66:67] op_sel_hi:[0,1]
	s_waitcnt vmcnt(8)
	v_mfma_f32_16x16x16bf16_1k v[22:25], v[46:47], v[50:51], v[22:25]
	v_mfma_f32_16x16x16bf16_1k v[90:93], v[48:49], v[52:53], v[22:25]
	s_waitcnt vmcnt(7)
	s_nop 7
	s_nop 0
	v_mad_i64_i32 v[22:23], s[8:9], v30, s13, 0
	v_lshlrev_b64 v[62:63], 1, v[22:23]
	s_waitcnt vmcnt(6)
	v_mfma_f32_16x16x16bf16_1k v[22:25], v[14:15], v[2:3], 0
	v_add_co_u32_e32 v2, vcc, v77, v62
	v_addc_co_u32_e32 v3, vcc, v78, v63, vcc
	global_load_dwordx4 v[46:49], v[2:3], off
	global_load_dwordx4 v[42:45], v[2:3], off offset:16
	s_waitcnt vmcnt(7)
	v_mad_i64_i32 v[2:3], s[8:9], v31, s13, 0
	v_lshlrev_b64 v[14:15], 1, v[2:3]
	v_mfma_f32_16x16x16bf16_1k v[2:5], v[16:17], v[4:5], v[22:25]
	v_add_co_u32_e32 v16, vcc, v77, v14
	v_addc_co_u32_e32 v17, vcc, v78, v15, vcc
	global_load_dwordx4 v[38:41], v[16:17], off
	global_load_dwordx4 v[34:37], v[16:17], off offset:16
	s_waitcnt vmcnt(5)
	v_mad_i64_i32 v[16:17], s[8:9], v32, s13, 0
	v_mfma_f32_16x16x16bf16_1k v[2:5], v[18:19], v[6:7], v[2:5]
	v_lshlrev_b64 v[60:61], 1, v[16:17]
	v_add_co_u32_e32 v6, vcc, v77, v60
	v_addc_co_u32_e32 v7, vcc, v78, v61, vcc
	global_load_dwordx4 v[30:33], v[6:7], off
	global_load_dwordx4 v[26:29], v[6:7], off offset:16
	s_waitcnt vmcnt(6)
	v_mad_i64_i32 v[6:7], s[8:9], v58, s13, 0
	v_mfma_f32_16x16x16bf16_1k v[2:5], v[20:21], v[8:9], v[2:5]
	v_lshlrev_b64 v[58:59], 1, v[6:7]
	v_add_co_u32_e32 v6, vcc, v77, v58
	v_addc_co_u32_e32 v7, vcc, v78, v59, vcc
	global_load_dwordx4 v[22:25], v[6:7], off
	global_load_dwordx4 v[18:21], v[6:7], off offset:16
	v_or_b32_e32 v6, 0x800, v76
	v_mfma_f32_16x16x16bf16_1k v[2:5], v[68:69], v[10:11], v[2:5]
	v_mov_b32_e32 v7, s10
	v_add_co_u32_e32 v68, vcc, s3, v6
	v_addc_co_u32_e32 v69, vcc, 0, v7, vcc
	v_pk_mul_f32 v[78:79], s[2:3], v[56:57] op_sel_hi:[0,1]
	v_pk_mul_f32 v[76:77], s[2:3], v[92:93] op_sel_hi:[0,1]
	v_mfma_f32_16x16x16bf16_1k v[10:13], v[70:71], v[12:13], v[2:5]
	v_pk_mul_f32 v[70:71], s[2:3], v[64:65] op_sel_hi:[0,1]
	v_mfma_f32_16x16x16bf16_1k v[82:85], v[72:73], v[50:51], v[10:13]
	s_nop 4
	v_add_co_u32_e32 v2, vcc, v68, v62
	v_addc_co_u32_e32 v3, vcc, v69, v63, vcc
	v_add_co_u32_e32 v62, vcc, v68, v14
	v_addc_co_u32_e32 v63, vcc, v69, v15, vcc
	v_mfma_f32_16x16x16bf16_1k v[50:53], v[74:75], v[52:53], v[82:85]
	global_load_dwordx4 v[6:9], v[2:3], off
	s_nop 0
	global_load_dwordx4 v[2:5], v[2:3], off offset:16
	s_nop 0
	global_load_dwordx4 v[14:17], v[62:63], off
	global_load_dwordx4 v[10:13], v[62:63], off offset:16
	v_pk_mul_f32 v[62:63], s[2:3], v[54:55] op_sel_hi:[0,1]
	v_pk_mul_f32 v[72:73], s[2:3], v[90:91] op_sel_hi:[0,1]
	s_nop 2
	v_pk_mul_f32 v[74:75], s[2:3], v[50:51] op_sel_hi:[0,1]
	v_and_b32_e32 v50, 0xc0, v0
	v_add_u32_e32 v50, s20, v50
	v_lshl_or_b32 v50, v86, 2, v50
	v_pk_mul_f32 v[66:67], s[2:3], v[52:53] op_sel_hi:[0,1]
	v_or_b32_e32 v53, 1, v50
	v_mov_b32_e32 v51, 0xff7fffff
	v_cmp_gt_i32_e64 s[30:31], s40, v50
	v_cmp_gt_i32_e64 s[34:35], s40, v53
	v_cndmask_b32_e64 v52, v51, v62, s[30:31]
	v_cndmask_b32_e64 v53, v51, v63, s[34:35]
	v_max3_f32 v52, v52, s42, v53
	v_or_b32_e32 v53, 2, v50
	v_or_b32_e32 v54, 3, v50
	v_cmp_gt_i32_e64 s[36:37], s40, v53
	v_cmp_gt_i32_e64 s[38:39], s40, v54
	v_cndmask_b32_e64 v53, v51, v78, s[36:37]
	v_cndmask_b32_e64 v54, v51, v79, s[38:39]
	v_max3_f32 v52, v52, v53, v54
	v_or_b32_e32 v53, 16, v50
	v_or_b32_e32 v54, 17, v50
	v_cmp_gt_i32_e64 s[24:25], s40, v53
	v_cmp_gt_i32_e64 s[26:27], s40, v54
	v_cndmask_b32_e64 v53, v51, v70, s[24:25]
	v_cndmask_b32_e64 v54, v51, v71, s[26:27]
	v_max3_f32 v52, v52, v53, v54
	v_or_b32_e32 v53, 18, v50
	v_or_b32_e32 v54, 19, v50
	v_cmp_gt_i32_e64 s[20:21], s40, v53
	v_cmp_gt_i32_e64 s[22:23], s40, v54
	v_cndmask_b32_e64 v53, v51, v80, s[20:21]
	v_cndmask_b32_e64 v54, v51, v81, s[22:23]
	v_max3_f32 v52, v52, v53, v54
	v_or_b32_e32 v53, 32, v50
	v_or_b32_e32 v54, 33, v50
	v_cmp_gt_i32_e64 s[16:17], s40, v53
	v_cmp_gt_i32_e64 s[18:19], s40, v54
	v_cndmask_b32_e64 v53, v51, v72, s[16:17]
	v_cndmask_b32_e64 v54, v51, v73, s[18:19]
	v_max3_f32 v52, v52, v53, v54
	v_or_b32_e32 v53, 34, v50
	v_or_b32_e32 v54, 35, v50
	v_cmp_gt_i32_e64 s[12:13], s40, v53
	v_cmp_gt_i32_e64 s[14:15], s40, v54
	v_cndmask_b32_e64 v53, v51, v76, s[12:13]
	v_cndmask_b32_e64 v54, v51, v77, s[14:15]
	v_max3_f32 v52, v52, v53, v54
	v_or_b32_e32 v53, 48, v50
	v_or_b32_e32 v54, 49, v50
	v_cmp_gt_i32_e64 s[8:9], s40, v53
	v_cmp_gt_i32_e64 s[10:11], s40, v54
	v_cndmask_b32_e64 v53, v51, v74, s[8:9]
	v_cndmask_b32_e64 v54, v51, v75, s[10:11]
	v_max3_f32 v52, v52, v53, v54
	v_or_b32_e32 v53, 50, v50
	v_or_b32_e32 v50, 51, v50
	v_cmp_gt_i32_e32 vcc, s40, v53
	v_cmp_gt_i32_e64 s[2:3], s40, v50
	v_cndmask_b32_e32 v53, v51, v66, vcc
	v_cndmask_b32_e64 v50, v51, v67, s[2:3]
	v_max3_f32 v64, v52, v53, v50
	v_mbcnt_lo_u32_b32 v50, -1, 0
	v_mbcnt_hi_u32_b32 v65, -1, v50
	v_and_b32_e32 v50, 64, v65
	v_add_u32_e32 v82, 64, v50
	v_xor_b32_e32 v50, 32, v65
	v_cmp_lt_i32_e64 s[40:41], v50, v82
	v_cndmask_b32_e64 v50, v65, v50, s[40:41]
	v_lshlrev_b32_e32 v83, 2, v50
	ds_bpermute_b32 v84, v83, v64
	v_add_co_u32_e64 v50, s[40:41], v68, v60
	v_addc_co_u32_e64 v51, s[40:41], v69, v61, s[40:41]
	v_xor_b32_e32 v61, 16, v65
	v_cmp_lt_i32_e64 s[40:41], v61, v82
	s_waitcnt lgkmcnt(0)
	v_max_f32_e32 v60, v84, v84
	v_cndmask_b32_e64 v61, v65, v61, s[40:41]
	v_max_f32_e32 v60, v64, v60
	v_lshlrev_b32_e32 v82, 2, v61
	ds_bpermute_b32 v61, v82, v60
	v_add_co_u32_e64 v58, s[40:41], v68, v58
	v_addc_co_u32_e64 v59, s[40:41], v69, v59, s[40:41]
	s_waitcnt lgkmcnt(0)
	v_max_f32_e32 v61, v61, v61
	v_max_f32_e32 v90, v60, v61
	v_sub_f32_e32 v60, v62, v90
	v_mul_f32_e32 v60, 0x3fb8aa3b, v60
	v_exp_f32_e32 v68, v60
	v_sub_f32_e32 v60, v63, v90
	v_mul_f32_e32 v60, 0x3fb8aa3b, v60
	global_load_dwordx4 v[54:57], v[50:51], off
	s_nop 0
	global_load_dwordx4 v[50:53], v[50:51], off offset:16
	v_exp_f32_e32 v69, v60
	global_load_dwordx4 v[62:65], v[58:59], off
	s_nop 0
	global_load_dwordx4 v[58:61], v[58:59], off offset:16
	v_sub_f32_e32 v78, v78, v90
	v_mul_f32_e32 v78, 0x3fb8aa3b, v78
	v_sub_f32_e32 v79, v79, v90
	v_exp_f32_e32 v78, v78
	v_mul_f32_e32 v79, 0x3fb8aa3b, v79
	v_sub_f32_e32 v70, v70, v90
	v_exp_f32_e32 v79, v79
	v_mul_f32_e32 v70, 0x3fb8aa3b, v70
	v_sub_f32_e32 v71, v71, v90
	v_cndmask_b32_e64 v68, 0, v68, s[30:31]
	v_exp_f32_e32 v70, v70
	v_mul_f32_e32 v71, 0x3fb8aa3b, v71
	v_sub_f32_e32 v80, v80, v90
	v_add_f32_e32 v84, 0, v68
	v_cndmask_b32_e64 v69, 0, v69, s[34:35]
	v_exp_f32_e32 v71, v71
	v_mul_f32_e32 v80, 0x3fb8aa3b, v80
	v_sub_f32_e32 v81, v81, v90
	v_add_f32_e32 v84, v84, v69
	;; [unrolled: 5-line block ×10, first 2 shown]
	v_cndmask_b32_e64 v76, 0, v76, s[12:13]
	v_exp_f32_e32 v66, v66
	v_mul_f32_e32 v67, 0x3fb8aa3b, v67
	v_add_f32_e32 v84, v84, v76
	v_cndmask_b32_e64 v77, 0, v77, s[14:15]
	v_exp_f32_e32 v67, v67
	v_add_f32_e32 v84, v84, v77
	v_cndmask_b32_e64 v74, 0, v74, s[8:9]
	v_add_f32_e32 v84, v84, v74
	v_cndmask_b32_e64 v75, 0, v75, s[10:11]
	v_add_f32_e32 v84, v84, v75
	v_cndmask_b32_e32 v66, 0, v66, vcc
	v_add_f32_e32 v84, v84, v66
	v_cndmask_b32_e64 v67, 0, v67, s[2:3]
	v_add_f32_e32 v84, v84, v67
	ds_bpermute_b32 v83, v83, v84
	v_cmp_gt_u32_e32 vcc, 16, v88
	s_waitcnt lgkmcnt(0)
	s_barrier
	v_add_f32_e32 v91, v84, v83
	ds_bpermute_b32 v92, v82, v91
	s_and_saveexec_b64 s[2:3], vcc
	s_cbranch_execz .LBB343_13
; %bb.12:
	s_waitcnt lgkmcnt(0)
	v_add_f32_e32 v82, v91, v92
	v_lshlrev_b32_e32 v83, 2, v89
	ds_write2st64_b32 v83, v90, v82 offset1:1
.LBB343_13:
	s_or_b64 exec, exec, s[2:3]
	v_lshlrev_b32_e32 v89, 2, v95
	s_load_dword s8, s[4:5], 0x94
	s_waitcnt lgkmcnt(0)
	s_barrier
	ds_read2_b32 v[82:83], v89 offset1:16
	ds_read2_b32 v[84:85], v89 offset0:32 offset1:48
	ds_read2_b32 v[90:91], v89 offset0:64 offset1:80
	s_movk_i32 s10, 0x7fff
	s_mov_b32 s11, 0x7060302
	s_waitcnt lgkmcnt(2)
	v_max3_f32 v88, v82, s42, v83
	s_waitcnt lgkmcnt(1)
	v_max3_f32 v88, v88, v84, v85
	v_sub_f32_e32 v82, v82, v88
	v_mul_f32_e32 v82, 0x3fb8aa3b, v82
	v_exp_f32_e32 v92, v82
	v_sub_f32_e32 v82, v83, v88
	v_mul_f32_e32 v82, 0x3fb8aa3b, v82
	v_exp_f32_e32 v93, v82
	;; [unrolled: 3-line block ×3, first 2 shown]
	ds_read2_b32 v[82:83], v89 offset0:96 offset1:112
	v_sub_f32_e32 v85, v85, v88
	v_mul_f32_e32 v85, 0x3fb8aa3b, v85
	v_exp_f32_e32 v85, v85
	s_waitcnt lgkmcnt(1)
	v_fma_f32 v89, v92, v90, 0
	v_fmac_f32_e32 v89, v93, v91
	s_waitcnt lgkmcnt(0)
	v_fmac_f32_e32 v89, v84, v82
	v_fmac_f32_e32 v89, v85, v83
	v_add_f32_e32 v82, 0x358637bd, v89
	v_div_scale_f32 v83, s[2:3], v82, v82, 1.0
	v_rcp_f32_e32 v90, v83
	s_barrier
	v_fma_f32 v91, -v83, v90, 1.0
	v_fmac_f32_e32 v90, v91, v90
	v_div_scale_f32 v91, vcc, 1.0, v82, 1.0
	v_mul_f32_e32 v94, v91, v90
	v_fma_f32 v1, -v83, v94, v91
	v_fmac_f32_e32 v94, v1, v90
	v_fma_f32 v1, -v83, v94, v91
	v_div_fmas_f32 v1, v1, v90, v94
	v_cmp_eq_u32_e32 vcc, 1, v87
	v_div_fixup_f32 v1, v1, v82, 1.0
	v_cndmask_b32_e32 v82, v92, v93, vcc
	v_cmp_eq_u32_e32 vcc, 2, v87
	v_cndmask_b32_e32 v82, v82, v84, vcc
	v_cmp_eq_u32_e32 vcc, 3, v87
	v_cndmask_b32_e32 v82, v82, v85, vcc
	v_mul_f32_e32 v82, v82, v1
	v_pk_mul_f32 v[68:69], v[82:83], v[68:69] op_sel_hi:[0,1]
	v_pk_mul_f32 v[78:79], v[82:83], v[78:79] op_sel_hi:[0,1]
	v_bfe_u32 v1, v69, 16, 1
	v_bfe_u32 v83, v68, 16, 1
	v_add3_u32 v68, v68, v83, s10
	v_add3_u32 v1, v69, v1, s10
	v_perm_b32 v84, v1, v68, s11
	v_bfe_u32 v1, v79, 16, 1
	v_bfe_u32 v68, v78, 16, 1
	v_add3_u32 v68, v78, v68, s10
	v_add3_u32 v1, v79, v1, s10
	v_perm_b32 v85, v1, v68, s11
	v_lshlrev_b32_e32 v1, 3, v86
	v_lshlrev_b32_e32 v68, 5, v95
	v_lshlrev_b32_e32 v69, 11, v87
	v_pk_mul_f32 v[70:71], v[82:83], v[70:71] op_sel_hi:[0,1]
	v_or3_b32 v78, v69, v68, v1
	v_bfe_u32 v1, v71, 16, 1
	v_bfe_u32 v69, v70, 16, 1
	v_pk_mul_f32 v[80:81], v[82:83], v[80:81] op_sel_hi:[0,1]
	v_add3_u32 v69, v70, v69, s10
	v_add3_u32 v1, v71, v1, s10
	v_perm_b32 v70, v1, v69, s11
	v_bfe_u32 v1, v81, 16, 1
	v_bfe_u32 v69, v80, 16, 1
	v_add3_u32 v69, v80, v69, s10
	v_add3_u32 v1, v81, v1, s10
	v_pk_mul_f32 v[72:73], v[82:83], v[72:73] op_sel_hi:[0,1]
	v_perm_b32 v71, v1, v69, s11
	v_bfe_u32 v1, v73, 16, 1
	v_bfe_u32 v69, v72, 16, 1
	ds_write2st64_b64 v78, v[84:85], v[70:71] offset1:1
	v_pk_mul_f32 v[70:71], v[82:83], v[76:77] op_sel_hi:[0,1]
	v_add3_u32 v69, v72, v69, s10
	v_add3_u32 v1, v73, v1, s10
	v_perm_b32 v72, v1, v69, s11
	v_bfe_u32 v1, v71, 16, 1
	v_bfe_u32 v69, v70, 16, 1
	v_add3_u32 v69, v70, v69, s10
	v_add3_u32 v1, v71, v1, s10
	v_pk_mul_f32 v[70:71], v[82:83], v[74:75] op_sel_hi:[0,1]
	v_perm_b32 v73, v1, v69, s11
	v_bfe_u32 v1, v71, 16, 1
	v_bfe_u32 v69, v70, 16, 1
	v_pk_mul_f32 v[66:67], v[82:83], v[66:67] op_sel_hi:[0,1]
	v_add3_u32 v69, v70, v69, s10
	v_add3_u32 v1, v71, v1, s10
	v_perm_b32 v70, v1, v69, s11
	v_bfe_u32 v1, v67, 16, 1
	v_bfe_u32 v69, v66, 16, 1
	v_add3_u32 v66, v66, v69, s10
	v_add3_u32 v1, v67, v1, s10
	s_lshl_b32 s9, s33, 2
	v_perm_b32 v71, v1, v66, s11
	v_cmp_gt_u32_e32 vcc, 4, v0
	ds_write2st64_b64 v78, v[72:73], v[70:71] offset0:2 offset1:3
	s_and_saveexec_b64 s[2:3], vcc
	s_cbranch_execz .LBB343_15
; %bb.14:
	v_or_b32_e32 v66, s29, v0
	v_mov_b32_e32 v67, 0
	v_mov_b32_e32 v1, s9
	v_mad_u64_u32 v[70:71], s[16:17], s6, v1, v[66:67]
	v_mov_b32_e32 v66, s28
	s_load_dwordx4 s[12:15], s[4:5], 0x58
	s_mul_i32 s7, s7, s9
	v_mad_u64_u32 v[66:67], s[16:17], v70, s8, v[66:67]
	v_add_u32_e32 v1, s7, v71
	v_mov_b32_e32 v70, v67
	v_mad_u64_u32 v[70:71], s[16:17], v1, s8, v[70:71]
	v_mov_b32_e32 v67, v70
	v_lshlrev_b64 v[66:67], 2, v[66:67]
	s_waitcnt lgkmcnt(0)
	v_mov_b32_e32 v1, s15
	v_add_co_u32_e32 v70, vcc, s14, v66
	v_addc_co_u32_e32 v71, vcc, v1, v67, vcc
	v_mov_b32_e32 v1, s13
	v_add_co_u32_e32 v66, vcc, s12, v66
	v_addc_co_u32_e32 v67, vcc, v1, v67, vcc
	global_store_dword v[70:71], v88, off
	global_store_dword v[66:67], v89, off
.LBB343_15:
	s_or_b64 exec, exec, s[2:3]
	v_lshl_or_b32 v1, v86, 9, v68
	s_waitcnt lgkmcnt(0)
	s_barrier
	ds_read_b128 v[70:73], v1
	ds_read_b128 v[66:69], v1 offset:16
	s_waitcnt vmcnt(15) lgkmcnt(1)
	v_mfma_f32_16x16x16bf16_1k v[74:77], v[46:47], v[70:71], 0
	s_mov_b32 s3, 0
	v_mfma_f32_16x16x16bf16_1k v[46:49], v[48:49], v[72:73], v[74:77]
	s_waitcnt vmcnt(14) lgkmcnt(0)
	v_mfma_f32_16x16x16bf16_1k v[46:49], v[42:43], v[66:67], v[46:49]
	v_mfma_f32_16x16x16bf16_1k v[42:45], v[44:45], v[68:69], v[46:49]
	s_nop 7
	s_nop 1
	ds_read_b128 v[46:49], v1 offset:2048
	ds_read_b128 v[74:77], v1 offset:2064
	s_waitcnt vmcnt(13) lgkmcnt(1)
	v_mfma_f32_16x16x16bf16_1k v[42:45], v[38:39], v[46:47], v[42:45]
	v_mfma_f32_16x16x16bf16_1k v[38:41], v[40:41], v[48:49], v[42:45]
	s_waitcnt vmcnt(12) lgkmcnt(0)
	v_mfma_f32_16x16x16bf16_1k v[38:41], v[34:35], v[74:75], v[38:41]
	v_mfma_f32_16x16x16bf16_1k v[34:37], v[36:37], v[76:77], v[38:41]
	s_nop 7
	s_nop 1
	ds_read_b128 v[38:41], v1 offset:4096
	ds_read_b128 v[42:45], v1 offset:4112
	s_waitcnt vmcnt(11) lgkmcnt(1)
	v_mfma_f32_16x16x16bf16_1k v[34:37], v[30:31], v[38:39], v[34:37]
	v_mfma_f32_16x16x16bf16_1k v[30:33], v[32:33], v[40:41], v[34:37]
	s_waitcnt vmcnt(10) lgkmcnt(0)
	v_mfma_f32_16x16x16bf16_1k v[30:33], v[26:27], v[42:43], v[30:33]
	v_mfma_f32_16x16x16bf16_1k v[26:29], v[28:29], v[44:45], v[30:33]
	s_nop 7
	s_nop 1
	ds_read_b128 v[30:33], v1 offset:6144
	ds_read_b128 v[34:37], v1 offset:6160
	s_waitcnt lgkmcnt(0)
	s_barrier
	s_waitcnt vmcnt(9)
	v_mfma_f32_16x16x16bf16_1k v[26:29], v[22:23], v[30:31], v[26:29]
	v_mfma_f32_16x16x16bf16_1k v[22:25], v[24:25], v[32:33], v[26:29]
	s_waitcnt vmcnt(8)
	v_mfma_f32_16x16x16bf16_1k v[22:25], v[18:19], v[34:35], v[22:25]
	v_mfma_f32_16x16x16bf16_1k v[18:21], v[20:21], v[36:37], v[22:25]
	s_waitcnt vmcnt(7)
	v_mfma_f32_16x16x16bf16_1k v[22:25], v[6:7], v[70:71], 0
	s_nop 7
	s_nop 0
	v_bfe_u32 v1, v19, 16, 1
	v_add3_u32 v1, v19, v1, s10
	v_mfma_f32_16x16x16bf16_1k v[6:9], v[8:9], v[72:73], v[22:25]
	s_waitcnt vmcnt(6)
	v_mfma_f32_16x16x16bf16_1k v[6:9], v[2:3], v[66:67], v[6:9]
	v_mfma_f32_16x16x16bf16_1k v[2:5], v[4:5], v[68:69], v[6:9]
	s_waitcnt vmcnt(5)
	v_mfma_f32_16x16x16bf16_1k v[2:5], v[14:15], v[46:47], v[2:5]
	s_nop 7
	v_bfe_u32 v6, v18, 16, 1
	v_add3_u32 v6, v18, v6, s10
	v_perm_b32 v6, v1, v6, s11
	v_bfe_u32 v1, v21, 16, 1
	v_bfe_u32 v7, v20, 16, 1
	v_add3_u32 v7, v20, v7, s10
	v_add3_u32 v1, v21, v1, s10
	v_mfma_f32_16x16x16bf16_1k v[2:5], v[16:17], v[48:49], v[2:5]
	v_perm_b32 v7, v1, v7, s11
	s_waitcnt vmcnt(4)
	v_mfma_f32_16x16x16bf16_1k v[2:5], v[10:11], v[74:75], v[2:5]
	v_mfma_f32_16x16x16bf16_1k v[2:5], v[12:13], v[76:77], v[2:5]
	s_waitcnt vmcnt(3)
	v_mfma_f32_16x16x16bf16_1k v[2:5], v[54:55], v[38:39], v[2:5]
	v_mfma_f32_16x16x16bf16_1k v[2:5], v[56:57], v[40:41], v[2:5]
	s_waitcnt vmcnt(2)
	v_mfma_f32_16x16x16bf16_1k v[2:5], v[50:51], v[42:43], v[2:5]
	v_mfma_f32_16x16x16bf16_1k v[2:5], v[52:53], v[44:45], v[2:5]
	s_waitcnt vmcnt(1)
	v_mfma_f32_16x16x16bf16_1k v[2:5], v[62:63], v[30:31], v[2:5]
	v_mfma_f32_16x16x16bf16_1k v[2:5], v[64:65], v[32:33], v[2:5]
	s_waitcnt vmcnt(0)
	v_mfma_f32_16x16x16bf16_1k v[2:5], v[58:59], v[34:35], v[2:5]
	v_mfma_f32_16x16x16bf16_1k v[2:5], v[60:61], v[36:37], v[2:5]
	s_nop 7
	s_nop 2
	v_bfe_u32 v1, v3, 16, 1
	v_bfe_u32 v8, v2, 16, 1
	v_add3_u32 v2, v2, v8, s10
	v_add3_u32 v1, v3, v1, s10
	v_perm_b32 v2, v1, v2, s11
	v_bfe_u32 v1, v5, 16, 1
	v_bfe_u32 v3, v4, 16, 1
	v_add3_u32 v3, v4, v3, s10
	v_add3_u32 v1, v5, v1, s10
	v_perm_b32 v3, v1, v3, s11
	ds_write2st64_b64 v78, v[6:7], v[2:3] offset1:1
	s_waitcnt lgkmcnt(0)
	s_barrier
	s_and_saveexec_b64 s[10:11], s[0:1]
	s_cbranch_execz .LBB343_17
; %bb.16:
	buffer_load_dword v4, off, s[44:47], 0 offset:4 ; 4-byte Folded Reload
	s_load_dwordx2 s[0:1], s[4:5], 0x68
	s_lshl_b32 s7, s8, 7
	s_mul_i32 s2, s9, s6
	s_mul_hi_u32 s5, s2, s7
	s_mul_i32 s4, s2, s7
	s_lshl_b64 s[4:5], s[4:5], 1
	s_waitcnt lgkmcnt(0)
	s_add_u32 s4, s0, s4
	s_addc_u32 s5, s1, s5
	s_lshl_b32 s2, s28, 7
	v_lshlrev_b32_e32 v2, 6, v95
	s_lshl_b64 s[0:1], s[2:3], 1
	v_lshlrev_b32_e32 v1, 4, v0
	v_lshl_or_b32 v0, v0, 10, v2
	buffer_load_dword v2, off, s[44:47], 0 offset:8 ; 4-byte Folded Reload
	s_add_u32 s2, s4, s0
	s_addc_u32 s3, s5, s1
	v_mov_b32_e32 v6, s3
	v_and_b32_e32 v1, 16, v1
	v_and_b32_e32 v0, 0x1a00, v0
	s_waitcnt vmcnt(1)
	v_mad_u64_u32 v[4:5], s[0:1], s7, v4, 0
	v_lshlrev_b64 v[4:5], 1, v[4:5]
	v_add_co_u32_e32 v4, vcc, s2, v4
	v_addc_co_u32_e32 v5, vcc, v6, v5, vcc
	buffer_load_dword v6, off, s[44:47], 0  ; 4-byte Folded Reload
	s_waitcnt vmcnt(1)
	v_or3_b32 v0, v0, v2, v1
	ds_read_b128 v[0:3], v0
	s_waitcnt vmcnt(0)
	v_add_co_u32_e32 v4, vcc, v4, v6
	v_addc_co_u32_e32 v5, vcc, 0, v5, vcc
	s_waitcnt lgkmcnt(0)
	global_store_dwordx4 v[4:5], v[0:3], off
.LBB343_17:
	s_endpgm
	.section	.rodata,"a",@progbits
	.p2align	6, 0x0
	.amdhsa_kernel _Z39paged_attention_ll4mi_QKV_mfma16_kernelI14__hip_bfloat16S0_LN4vllm18Fp8KVCacheDataTypeE0ES0_Li16ELi128ELi256ELb0ELi4EL8MFMAType0EEvPKT_PKT0_S9_ifPKiSB_SB_iPKfiiiPfSE_PS4_PT2_iSD_SD_
		.amdhsa_group_segment_fixed_size 8192
		.amdhsa_private_segment_fixed_size 16
		.amdhsa_kernarg_size 400
		.amdhsa_user_sgpr_count 6
		.amdhsa_user_sgpr_private_segment_buffer 1
		.amdhsa_user_sgpr_dispatch_ptr 0
		.amdhsa_user_sgpr_queue_ptr 0
		.amdhsa_user_sgpr_kernarg_segment_ptr 1
		.amdhsa_user_sgpr_dispatch_id 0
		.amdhsa_user_sgpr_flat_scratch_init 0
		.amdhsa_user_sgpr_kernarg_preload_length 0
		.amdhsa_user_sgpr_kernarg_preload_offset 0
		.amdhsa_user_sgpr_private_segment_size 0
		.amdhsa_uses_dynamic_stack 0
		.amdhsa_system_sgpr_private_segment_wavefront_offset 1
		.amdhsa_system_sgpr_workgroup_id_x 1
		.amdhsa_system_sgpr_workgroup_id_y 1
		.amdhsa_system_sgpr_workgroup_id_z 1
		.amdhsa_system_sgpr_workgroup_info 0
		.amdhsa_system_vgpr_workitem_id 0
		.amdhsa_next_free_vgpr 96
		.amdhsa_next_free_sgpr 48
		.amdhsa_accum_offset 96
		.amdhsa_reserve_vcc 1
		.amdhsa_reserve_flat_scratch 0
		.amdhsa_float_round_mode_32 0
		.amdhsa_float_round_mode_16_64 0
		.amdhsa_float_denorm_mode_32 3
		.amdhsa_float_denorm_mode_16_64 3
		.amdhsa_dx10_clamp 1
		.amdhsa_ieee_mode 1
		.amdhsa_fp16_overflow 0
		.amdhsa_tg_split 0
		.amdhsa_exception_fp_ieee_invalid_op 0
		.amdhsa_exception_fp_denorm_src 0
		.amdhsa_exception_fp_ieee_div_zero 0
		.amdhsa_exception_fp_ieee_overflow 0
		.amdhsa_exception_fp_ieee_underflow 0
		.amdhsa_exception_fp_ieee_inexact 0
		.amdhsa_exception_int_div_zero 0
	.end_amdhsa_kernel
	.section	.text._Z39paged_attention_ll4mi_QKV_mfma16_kernelI14__hip_bfloat16S0_LN4vllm18Fp8KVCacheDataTypeE0ES0_Li16ELi128ELi256ELb0ELi4EL8MFMAType0EEvPKT_PKT0_S9_ifPKiSB_SB_iPKfiiiPfSE_PS4_PT2_iSD_SD_,"axG",@progbits,_Z39paged_attention_ll4mi_QKV_mfma16_kernelI14__hip_bfloat16S0_LN4vllm18Fp8KVCacheDataTypeE0ES0_Li16ELi128ELi256ELb0ELi4EL8MFMAType0EEvPKT_PKT0_S9_ifPKiSB_SB_iPKfiiiPfSE_PS4_PT2_iSD_SD_,comdat
.Lfunc_end343:
	.size	_Z39paged_attention_ll4mi_QKV_mfma16_kernelI14__hip_bfloat16S0_LN4vllm18Fp8KVCacheDataTypeE0ES0_Li16ELi128ELi256ELb0ELi4EL8MFMAType0EEvPKT_PKT0_S9_ifPKiSB_SB_iPKfiiiPfSE_PS4_PT2_iSD_SD_, .Lfunc_end343-_Z39paged_attention_ll4mi_QKV_mfma16_kernelI14__hip_bfloat16S0_LN4vllm18Fp8KVCacheDataTypeE0ES0_Li16ELi128ELi256ELb0ELi4EL8MFMAType0EEvPKT_PKT0_S9_ifPKiSB_SB_iPKfiiiPfSE_PS4_PT2_iSD_SD_
                                        ; -- End function
	.section	.AMDGPU.csdata,"",@progbits
; Kernel info:
; codeLenInByte = 4844
; NumSgprs: 52
; NumVgprs: 96
; NumAgprs: 0
; TotalNumVgprs: 96
; ScratchSize: 16
; MemoryBound: 0
; FloatMode: 240
; IeeeMode: 1
; LDSByteSize: 8192 bytes/workgroup (compile time only)
; SGPRBlocks: 6
; VGPRBlocks: 11
; NumSGPRsForWavesPerEU: 52
; NumVGPRsForWavesPerEU: 96
; AccumOffset: 96
; Occupancy: 5
; WaveLimiterHint : 1
; COMPUTE_PGM_RSRC2:SCRATCH_EN: 1
; COMPUTE_PGM_RSRC2:USER_SGPR: 6
; COMPUTE_PGM_RSRC2:TRAP_HANDLER: 0
; COMPUTE_PGM_RSRC2:TGID_X_EN: 1
; COMPUTE_PGM_RSRC2:TGID_Y_EN: 1
; COMPUTE_PGM_RSRC2:TGID_Z_EN: 1
; COMPUTE_PGM_RSRC2:TIDIG_COMP_CNT: 0
; COMPUTE_PGM_RSRC3_GFX90A:ACCUM_OFFSET: 23
; COMPUTE_PGM_RSRC3_GFX90A:TG_SPLIT: 0
	.section	.text._Z38paged_attention_ll4mi_QKV_mfma4_kernelI14__hip_bfloat16S0_LN4vllm18Fp8KVCacheDataTypeE0ES0_Li32ELi128ELi256ELb1ELi1EEvPKT_PKT0_S8_ifPKiSA_SA_iPKfiiiPfSD_PS3_PT2_iSC_SC_,"axG",@progbits,_Z38paged_attention_ll4mi_QKV_mfma4_kernelI14__hip_bfloat16S0_LN4vllm18Fp8KVCacheDataTypeE0ES0_Li32ELi128ELi256ELb1ELi1EEvPKT_PKT0_S8_ifPKiSA_SA_iPKfiiiPfSD_PS3_PT2_iSC_SC_,comdat
	.protected	_Z38paged_attention_ll4mi_QKV_mfma4_kernelI14__hip_bfloat16S0_LN4vllm18Fp8KVCacheDataTypeE0ES0_Li32ELi128ELi256ELb1ELi1EEvPKT_PKT0_S8_ifPKiSA_SA_iPKfiiiPfSD_PS3_PT2_iSC_SC_ ; -- Begin function _Z38paged_attention_ll4mi_QKV_mfma4_kernelI14__hip_bfloat16S0_LN4vllm18Fp8KVCacheDataTypeE0ES0_Li32ELi128ELi256ELb1ELi1EEvPKT_PKT0_S8_ifPKiSA_SA_iPKfiiiPfSD_PS3_PT2_iSC_SC_
	.globl	_Z38paged_attention_ll4mi_QKV_mfma4_kernelI14__hip_bfloat16S0_LN4vllm18Fp8KVCacheDataTypeE0ES0_Li32ELi128ELi256ELb1ELi1EEvPKT_PKT0_S8_ifPKiSA_SA_iPKfiiiPfSD_PS3_PT2_iSC_SC_
	.p2align	8
	.type	_Z38paged_attention_ll4mi_QKV_mfma4_kernelI14__hip_bfloat16S0_LN4vllm18Fp8KVCacheDataTypeE0ES0_Li32ELi128ELi256ELb1ELi1EEvPKT_PKT0_S8_ifPKiSA_SA_iPKfiiiPfSD_PS3_PT2_iSC_SC_,@function
_Z38paged_attention_ll4mi_QKV_mfma4_kernelI14__hip_bfloat16S0_LN4vllm18Fp8KVCacheDataTypeE0ES0_Li32ELi128ELi256ELb1ELi1EEvPKT_PKT0_S8_ifPKiSA_SA_iPKfiiiPfSD_PS3_PT2_iSC_SC_: ; @_Z38paged_attention_ll4mi_QKV_mfma4_kernelI14__hip_bfloat16S0_LN4vllm18Fp8KVCacheDataTypeE0ES0_Li32ELi128ELi256ELb1ELi1EEvPKT_PKT0_S8_ifPKiSA_SA_iPKfiiiPfSD_PS3_PT2_iSC_SC_
; %bb.0:
	s_load_dwordx2 s[2:3], s[4:5], 0x30
	s_mov_b32 s20, s7
	s_mov_b64 s[0:1], 0
	s_waitcnt lgkmcnt(0)
	s_cmp_lg_u64 s[2:3], 0
	s_cselect_b64 s[10:11], -1, 0
	s_and_b64 vcc, exec, s[10:11]
	s_cbranch_vccz .LBB344_10
; %bb.1:
	s_add_i32 s12, s6, 1
	s_mov_b32 s13, 0
	s_lshl_b64 s[14:15], s[12:13], 2
	s_add_u32 s14, s2, s14
	s_mov_b32 s7, s13
	s_addc_u32 s15, s3, s15
	s_lshl_b64 s[12:13], s[6:7], 2
	s_add_u32 s12, s2, s12
	s_addc_u32 s13, s3, s13
	s_load_dword s9, s[14:15], 0x0
	s_load_dword s16, s[12:13], 0x0
	s_waitcnt lgkmcnt(0)
	s_sub_i32 s9, s9, s16
	s_cmp_eq_u32 s9, 1
	s_cselect_b64 s[12:13], -1, 0
	s_andn2_b64 vcc, exec, s[0:1]
	s_cbranch_vccnz .LBB344_3
.LBB344_2:
	s_mov_b32 s7, 0
	s_mov_b64 s[12:13], -1
.LBB344_3:
	s_andn2_b64 vcc, exec, s[12:13]
	s_cbranch_vccnz .LBB344_27
; %bb.4:
	s_load_dword s9, s[4:5], 0x9c
	s_load_dwordx2 s[0:1], s[4:5], 0x28
	s_add_u32 s24, s4, 0x90
	s_addc_u32 s25, s5, 0
	s_lshl_b64 s[16:17], s[6:7], 2
	s_waitcnt lgkmcnt(0)
	s_and_b32 s9, s9, 0xffff
	s_add_u32 s0, s0, s16
	s_addc_u32 s1, s1, s17
	s_load_dword s21, s[0:1], 0x0
	s_mul_i32 s9, s20, s9
	s_waitcnt lgkmcnt(0)
	s_cmp_ge_i32 s9, s21
	s_cbranch_scc1 .LBB344_27
; %bb.5:
	v_and_b32_e32 v1, 0xc0, v0
	v_add_u32_e32 v2, s9, v1
	v_lshrrev_b32_e32 v76, 6, v0
	v_cmp_le_i32_e64 s[0:1], s21, v2
                                        ; implicit-def: $sgpr19
                                        ; implicit-def: $sgpr18
	s_and_saveexec_b64 s[12:13], s[0:1]
	s_xor_b64 s[12:13], exec, s[12:13]
	s_cbranch_execz .LBB344_7
; %bb.6:
	v_mul_u32_u24_e32 v1, 20, v76
	v_or_b32_e32 v1, 0x1400, v1
	v_mov_b32_e32 v2, 0x1450
	v_mov_b32_e32 v3, 0xff7fffff
	v_mad_u32_u24 v2, v76, 20, v2
	ds_write2_b32 v1, v3, v3 offset1:1
	v_mov_b32_e32 v1, 0
	ds_write2_b32 v2, v1, v1 offset1:1
	v_mov_b32_e32 v2, 0x1408
	s_mov_b32 s18, 0xff7fffff
	s_mov_b32 s19, 0
	v_mad_u32_u24 v2, v76, 20, v2
	v_mov_b32_e32 v4, 0x1458
	v_mad_u32_u24 v4, v76, 20, v4
	ds_write2_b32 v2, v3, v3 offset1:1
	ds_write2_b32 v4, v1, v1 offset1:1
                                        ; implicit-def: $vgpr2
.LBB344_7:
	s_or_saveexec_b64 s[26:27], s[12:13]
	s_load_dwordx2 s[22:23], s[4:5], 0x68
	s_load_dwordx4 s[12:15], s[4:5], 0x58
	s_load_dword s7, s[24:25], 0x4
	v_and_b32_e32 v1, 63, v0
	v_and_b32_e32 v77, 3, v0
	v_mov_b32_e32 v69, s19
	v_mov_b32_e32 v72, s18
	;; [unrolled: 1-line block ×5, first 2 shown]
                                        ; implicit-def: $vgpr3
                                        ; implicit-def: $vgpr7
                                        ; implicit-def: $vgpr11
                                        ; implicit-def: $vgpr15
                                        ; implicit-def: $vgpr47
                                        ; implicit-def: $vgpr35
                                        ; implicit-def: $vgpr39
                                        ; implicit-def: $vgpr43
                                        ; implicit-def: $vgpr27
                                        ; implicit-def: $vgpr19
                                        ; implicit-def: $vgpr23
                                        ; implicit-def: $vgpr31
                                        ; implicit-def: $vgpr51
                                        ; implicit-def: $vgpr55
                                        ; implicit-def: $vgpr59
                                        ; implicit-def: $vgpr63
	s_xor_b64 exec, exec, s[26:27]
	s_cbranch_execz .LBB344_19
; %bb.8:
	s_add_i32 s29, s21, 31
	s_load_dwordx2 s[18:19], s[4:5], 0x20
	s_load_dword s28, s[4:5], 0x38
	s_ashr_i32 s30, s29, 31
	s_lshr_b32 s30, s30, 27
	v_add_u32_e32 v78, s9, v0
	s_add_i32 s29, s29, s30
	v_ashrrev_i32_e32 v3, 31, v78
	s_ashr_i32 s29, s29, 5
	v_lshrrev_b32_e32 v3, 27, v3
	s_add_i32 s30, s29, -1
	v_add_u32_e32 v3, v78, v3
	s_waitcnt lgkmcnt(0)
	s_mul_i32 s28, s6, s28
	s_mov_b32 s29, 0
	v_ashrrev_i32_e32 v3, 5, v3
	v_mov_b32_e32 v4, s30
	v_cmp_gt_i32_e32 vcc, s21, v78
	s_lshl_b64 s[28:29], s[28:29], 2
	v_cndmask_b32_e32 v4, v4, v3, vcc
	s_add_u32 s18, s18, s28
	v_ashrrev_i32_e32 v5, 31, v4
	s_addc_u32 s19, s19, s29
	v_lshlrev_b64 v[4:5], 2, v[4:5]
	v_mov_b32_e32 v3, s19
	v_add_co_u32_e32 v4, vcc, s18, v4
	v_addc_co_u32_e32 v5, vcc, v3, v5, vcc
	v_ashrrev_i32_e32 v3, 31, v2
	v_lshrrev_b32_e32 v3, 27, v3
	v_add_u32_e32 v2, v2, v3
	v_ashrrev_i32_e32 v6, 5, v2
	v_min_i32_e32 v2, s30, v6
	v_ashrrev_i32_e32 v3, 31, v2
	v_lshlrev_b64 v[2:3], 2, v[2:3]
	v_add_co_u32_e32 v8, vcc, s18, v2
	v_add_u32_e32 v2, 1, v6
	v_mov_b32_e32 v7, s19
	v_min_i32_e32 v2, s30, v2
	v_addc_co_u32_e32 v9, vcc, v7, v3, vcc
	v_ashrrev_i32_e32 v3, 31, v2
	v_lshlrev_b64 v[2:3], 2, v[2:3]
	v_mov_b32_e32 v6, s19
	v_add_co_u32_e32 v10, vcc, s18, v2
	v_addc_co_u32_e32 v11, vcc, v6, v3, vcc
	global_load_dword v2, v[4:5], off
	global_load_dword v6, v[8:9], off
	;; [unrolled: 1-line block ×3, first 2 shown]
	s_load_dwordx2 s[30:31], s[4:5], 0x8
	s_andn2_b64 vcc, exec, s[10:11]
	s_cbranch_vccnz .LBB344_11
; %bb.9:
	s_add_u32 s2, s2, s16
	s_addc_u32 s3, s3, s17
	s_load_dword s9, s[2:3], 0x0
	s_branch .LBB344_12
.LBB344_10:
	s_mov_b64 s[12:13], 0
	s_branch .LBB344_2
.LBB344_11:
	s_mov_b32 s9, s6
.LBB344_12:
	s_load_dwordx2 s[10:11], s[4:5], 0x10
	s_load_dwordx4 s[16:19], s[4:5], 0x48
	v_cmp_eq_u32_e32 vcc, 0, v77
	s_mov_b32 s29, 0
	v_mov_b32_e32 v79, 0
	v_mov_b32_e32 v56, 0
	;; [unrolled: 1-line block ×5, first 2 shown]
	s_and_saveexec_b64 s[2:3], vcc
	s_cbranch_execz .LBB344_14
; %bb.13:
	s_load_dwordx2 s[34:35], s[4:5], 0x0
	s_waitcnt lgkmcnt(0)
	s_ashr_i32 s19, s16, 31
	s_mul_hi_u32 s28, s9, s16
	s_mul_i32 s19, s9, s19
	s_add_i32 s37, s28, s19
	s_mul_i32 s36, s9, s16
	s_lshl_b64 s[36:37], s[36:37], 1
	s_add_u32 s9, s34, s36
	s_addc_u32 s16, s35, s37
	s_lshl_b32 s28, s8, 7
	s_lshl_b64 s[34:35], s[28:29], 1
	s_add_u32 s34, s9, s34
	s_addc_u32 s35, s16, s35
	v_lshlrev_b32_e32 v3, 2, v1
	global_load_dwordx4 v[56:59], v3, s[34:35]
.LBB344_14:
	s_or_b64 exec, exec, s[2:3]
	s_waitcnt lgkmcnt(0)
	s_mul_i32 s28, s8, s18
	s_waitcnt vmcnt(2)
	v_mad_i64_i32 v[2:3], s[2:3], v2, s17, 0
	s_lshl_b64 s[18:19], s[28:29], 1
	s_add_u32 s2, s18, s30
	v_lshlrev_b64 v[2:3], 1, v[2:3]
	s_addc_u32 s3, s19, s31
	v_mov_b32_e32 v4, s3
	v_add_co_u32_e64 v7, s[2:3], s2, v2
	v_and_b32_e32 v2, 31, v0
	v_addc_co_u32_e64 v55, s[2:3], v4, v3, s[2:3]
	v_lshlrev_b32_e32 v62, 4, v2
	v_add_co_u32_e64 v16, s[2:3], v7, v62
	v_addc_co_u32_e64 v17, s[2:3], 0, v55, s[2:3]
	global_load_dwordx4 v[72:75], v[16:17], off
	global_load_dwordx4 v[68:71], v[16:17], off offset:512
	global_load_dwordx4 v[30:33], v[16:17], off offset:1024
	;; [unrolled: 1-line block ×7, first 2 shown]
	v_or_b32_e32 v16, 0x1000, v62
	v_add_co_u32_e64 v16, s[2:3], v7, v16
	v_addc_co_u32_e64 v17, s[2:3], 0, v55, s[2:3]
	v_or_b32_e32 v22, 0x1200, v62
	v_add_co_u32_e64 v38, s[2:3], v7, v22
	v_addc_co_u32_e64 v39, s[2:3], 0, v55, s[2:3]
	global_load_dwordx4 v[22:25], v[16:17], off
	global_load_dwordx4 v[34:37], v[38:39], off
	v_or_b32_e32 v16, 0x1400, v62
	v_add_co_u32_e64 v16, s[2:3], v7, v16
	v_addc_co_u32_e64 v17, s[2:3], 0, v55, s[2:3]
	v_or_b32_e32 v38, 0x1600, v62
	v_add_co_u32_e64 v46, s[2:3], v7, v38
	v_addc_co_u32_e64 v47, s[2:3], 0, v55, s[2:3]
	global_load_dwordx4 v[42:45], v[16:17], off
	global_load_dwordx4 v[38:41], v[46:47], off
	;; [unrolled: 8-line block ×3, first 2 shown]
	v_or_b32_e32 v16, 0x1c00, v62
	v_add_co_u32_e64 v16, s[2:3], v7, v16
	v_mov_b32_e32 v60, 0x1e00
	v_addc_co_u32_e64 v17, s[2:3], 0, v55, s[2:3]
	v_lshl_or_b32 v60, v0, 4, v60
	v_add_co_u32_e64 v80, s[2:3], v7, v60
	v_addc_co_u32_e64 v81, s[2:3], 0, v55, s[2:3]
	global_load_dwordx4 v[64:67], v[16:17], off
	global_load_dwordx4 v[60:63], v[80:81], off
	v_mov_b32_e32 v80, 0
	s_and_saveexec_b64 s[2:3], vcc
	s_cbranch_execz .LBB344_16
; %bb.15:
	s_load_dwordx2 s[30:31], s[4:5], 0x40
	s_mov_b32 s9, s29
	s_lshl_b64 s[28:29], s[8:9], 2
	v_mov_b32_e32 v79, 1.0
	s_waitcnt lgkmcnt(0)
	s_add_u32 s28, s30, s28
	s_addc_u32 s29, s31, s29
	s_load_dword s9, s[28:29], 0x0
	s_waitcnt lgkmcnt(0)
	v_mov_b32_e32 v80, s9
.LBB344_16:
	s_or_b64 exec, exec, s[2:3]
	s_waitcnt vmcnt(15)
	v_mfma_f32_4x4x4bf16_1k a[0:3], v[56:57], v[72:73], 0 cbsz:4
	v_mul_hi_i32 v7, v6, s17
	v_mfma_f32_4x4x4bf16_1k a[0:3], v[58:59], v[74:75], a[0:3] cbsz:4
	v_ashrrev_i32_e32 v7, 31, v7
	s_waitcnt vmcnt(14)
	v_mfma_f32_4x4x4bf16_1k a[0:3], v[56:57], v[68:69], a[0:3] cbsz:4 abid:1
	v_lshrrev_b32_e32 v68, 29, v7
	v_mfma_f32_4x4x4bf16_1k a[0:3], v[58:59], v[70:71], a[0:3] cbsz:4 abid:1
	v_mov_b32_e32 v69, 0
	s_waitcnt vmcnt(13)
	v_mfma_f32_4x4x4bf16_1k a[0:3], v[56:57], v[30:31], a[0:3] cbsz:4 abid:2
	s_load_dword s2, s[4:5], 0x1c
	v_mfma_f32_4x4x4bf16_1k a[0:3], v[58:59], v[32:33], a[0:3] cbsz:4 abid:2
	v_mad_i64_i32 v[6:7], s[4:5], v6, s17, v[68:69]
	s_waitcnt vmcnt(12)
	v_mfma_f32_4x4x4bf16_1k a[0:3], v[56:57], v[26:27], a[0:3] cbsz:4 abid:3
	s_add_u32 s3, s10, s18
	v_mfma_f32_4x4x4bf16_1k a[0:3], v[58:59], v[28:29], a[0:3] cbsz:4 abid:3
	v_lshlrev_b64 v[6:7], 1, v[6:7]
	s_waitcnt vmcnt(11)
	v_mfma_f32_4x4x4bf16_1k a[0:3], v[56:57], v[12:13], a[0:3] cbsz:4 abid:4
	s_addc_u32 s9, s11, s19
	v_mfma_f32_4x4x4bf16_1k a[0:3], v[58:59], v[14:15], a[0:3] cbsz:4 abid:4
	v_and_b32_e32 v6, -16, v6
	s_waitcnt vmcnt(10)
	v_mfma_f32_4x4x4bf16_1k a[0:3], v[56:57], v[2:3], a[0:3] cbsz:4 abid:5
	v_mov_b32_e32 v12, s9
	v_mfma_f32_4x4x4bf16_1k a[0:3], v[58:59], v[4:5], a[0:3] cbsz:4 abid:5
	v_add_co_u32_e32 v28, vcc, s3, v6
	s_waitcnt vmcnt(9)
	v_mfma_f32_4x4x4bf16_1k a[0:3], v[56:57], v[8:9], a[0:3] cbsz:4 abid:6
	v_addc_co_u32_e32 v29, vcc, v12, v7, vcc
	v_mfma_f32_4x4x4bf16_1k a[0:3], v[58:59], v[10:11], a[0:3] cbsz:4 abid:6
	v_lshlrev_b32_e32 v55, 6, v1
	s_waitcnt vmcnt(8)
	v_mfma_f32_4x4x4bf16_1k a[0:3], v[56:57], v[18:19], a[0:3] cbsz:4 abid:7
	v_add_co_u32_e32 v26, vcc, v28, v55
	v_mfma_f32_4x4x4bf16_1k a[0:3], v[58:59], v[20:21], a[0:3] cbsz:4 abid:7
	v_addc_co_u32_e32 v27, vcc, 0, v29, vcc
	s_waitcnt vmcnt(7)
	v_mfma_f32_4x4x4bf16_1k a[0:3], v[56:57], v[22:23], a[0:3] cbsz:4 abid:8
	v_or_b32_e32 v72, 0x1000, v55
	v_mfma_f32_4x4x4bf16_1k a[0:3], v[58:59], v[24:25], a[0:3] cbsz:4 abid:8
	v_add_co_u32_e32 v70, vcc, v28, v72
	s_waitcnt vmcnt(6)
	v_mfma_f32_4x4x4bf16_1k a[0:3], v[56:57], v[34:35], a[0:3] cbsz:4 abid:9
	v_mul_hi_i32 v34, v54, s17
	v_mfma_f32_4x4x4bf16_1k a[0:3], v[58:59], v[36:37], a[0:3] cbsz:4 abid:9
	v_ashrrev_i32_e32 v34, 31, v34
	s_waitcnt vmcnt(5)
	v_mfma_f32_4x4x4bf16_1k a[0:3], v[56:57], v[42:43], a[0:3] cbsz:4 abid:10
	v_lshrrev_b32_e32 v68, 29, v34
	v_mfma_f32_4x4x4bf16_1k a[0:3], v[58:59], v[44:45], a[0:3] cbsz:4 abid:10
	v_mad_i64_i32 v[34:35], s[4:5], v54, s17, v[68:69]
	s_waitcnt vmcnt(4)
	v_mfma_f32_4x4x4bf16_1k a[0:3], v[56:57], v[38:39], a[0:3] cbsz:4 abid:11
	v_lshlrev_b64 v[34:35], 1, v[34:35]
	v_mfma_f32_4x4x4bf16_1k a[0:3], v[58:59], v[40:41], a[0:3] cbsz:4 abid:11
	v_addc_co_u32_e32 v71, vcc, 0, v29, vcc
	s_waitcnt vmcnt(3)
	v_mfma_f32_4x4x4bf16_1k a[0:3], v[56:57], v[50:51], a[0:3] cbsz:4 abid:12
	v_and_b32_e32 v34, -16, v34
	v_mfma_f32_4x4x4bf16_1k a[0:3], v[58:59], v[52:53], a[0:3] cbsz:4 abid:12
	v_mov_b32_e32 v36, s9
	s_waitcnt vmcnt(2)
	v_mfma_f32_4x4x4bf16_1k a[0:3], v[56:57], v[46:47], a[0:3] cbsz:4 abid:13
	v_add_co_u32_e32 v52, vcc, s3, v34
	v_mfma_f32_4x4x4bf16_1k a[0:3], v[58:59], v[48:49], a[0:3] cbsz:4 abid:13
	v_addc_co_u32_e32 v53, vcc, v36, v35, vcc
	s_waitcnt vmcnt(1)
	v_mfma_f32_4x4x4bf16_1k a[0:3], v[56:57], v[64:65], a[0:3] cbsz:4 abid:14
	v_add_co_u32_e32 v50, vcc, v52, v55
	v_mfma_f32_4x4x4bf16_1k a[0:3], v[58:59], v[66:67], a[0:3] cbsz:4 abid:14
	v_addc_co_u32_e32 v51, vcc, 0, v53, vcc
	;; [unrolled: 5-line block ×3, first 2 shown]
	global_load_dwordx4 v[2:5], v[26:27], off
	global_load_dwordx4 v[6:9], v[26:27], off offset:16
	global_load_dwordx4 v[10:13], v[26:27], off offset:32
	;; [unrolled: 1-line block ×3, first 2 shown]
	v_accvgpr_read_b32 v59, a1
	v_accvgpr_read_b32 v58, a0
	global_load_dwordx4 v[26:29], v[70:71], off
	global_load_dwordx4 v[18:21], v[70:71], off offset:16
	global_load_dwordx4 v[22:25], v[70:71], off offset:32
	;; [unrolled: 1-line block ×3, first 2 shown]
	global_load_dwordx4 v[46:49], v[50:51], off
	global_load_dwordx4 v[34:37], v[50:51], off offset:16
	global_load_dwordx4 v[38:41], v[50:51], off offset:32
	;; [unrolled: 1-line block ×3, first 2 shown]
	s_nop 0
	global_load_dwordx4 v[50:53], v[66:67], off
	global_load_dwordx4 v[54:57], v[66:67], off offset:16
	s_waitcnt lgkmcnt(0)
	v_pk_mul_f32 v[68:69], s[2:3], v[58:59] op_sel_hi:[0,1]
	global_load_dwordx4 v[58:61], v[66:67], off offset:32
	global_load_dwordx4 v[62:65], v[66:67], off offset:48
	v_accvgpr_read_b32 v67, a3
	v_accvgpr_read_b32 v66, a2
	v_pk_mul_f32 v[66:67], s[2:3], v[66:67] op_sel_hi:[0,1]
	v_mfma_f32_4x4x1f32 a[0:3], v68, v79, 0
	v_cmp_eq_u32_e32 vcc, 1, v77
	v_cndmask_b32_e64 v68, 0, 1.0, vcc
	v_cmp_eq_u32_e32 vcc, 2, v77
	v_mov_b32_e32 v73, 0xff7fffff
	v_mfma_f32_4x4x1f32 a[0:3], v69, v68, a[0:3]
	v_cndmask_b32_e64 v68, 0, 1.0, vcc
	v_cmp_eq_u32_e32 vcc, 3, v77
	s_nop 0
	v_mfma_f32_4x4x1f32 a[0:3], v66, v68, a[0:3]
	v_cndmask_b32_e64 v66, 0, 1.0, vcc
	s_nop 1
	v_mfma_f32_4x4x1f32 a[0:3], v67, v66, a[0:3]
	v_and_b32_e32 v66, -4, v78
	v_subrev_u32_e32 v67, s21, v66
	v_add_u32_e32 v68, 1, v67
	v_cvt_f32_i32_e32 v68, v68
	v_add_u32_e32 v69, 2, v67
	v_cvt_f32_i32_e32 v69, v69
	v_accvgpr_read_b32 v70, a0
	v_fma_f32 v68, v80, v68, v70
	v_accvgpr_read_b32 v70, a1
	v_fma_f32 v69, v80, v69, v70
	v_add_u32_e32 v70, 3, v67
	v_cvt_f32_i32_e32 v70, v70
	v_add_u32_e32 v67, 4, v67
	v_max_f32_e32 v72, 0xff7fffff, v68
	v_cmp_gt_i32_e32 vcc, s21, v66
	v_cvt_f32_i32_e32 v67, v67
	v_cndmask_b32_e32 v72, v73, v72, vcc
	v_or_b32_e32 v73, 1, v66
	v_accvgpr_read_b32 v71, a2
	v_max_f32_e32 v74, v72, v69
	v_cmp_gt_i32_e64 s[2:3], s21, v73
	v_fma_f32 v70, v80, v70, v71
	v_cndmask_b32_e64 v72, v72, v74, s[2:3]
	v_or_b32_e32 v66, 2, v66
	v_accvgpr_read_b32 v71, a3
	v_max_f32_e32 v73, v72, v70
	v_cmp_gt_i32_e64 s[4:5], s21, v66
	v_fmac_f32_e32 v71, v80, v67
	v_cndmask_b32_e64 v66, v72, v73, s[4:5]
	v_or_b32_e32 v72, 3, v78
	v_max_f32_e32 v73, v66, v71
	v_cmp_gt_i32_e64 s[10:11], s21, v72
	v_lshlrev_b32_e32 v67, 2, v0
	v_cndmask_b32_e64 v66, v66, v73, s[10:11]
	v_and_or_b32 v67, v67, 48, v77
	;;#ASMSTART
	v_nop
 v_nop
 v_max_f32_dpp v66, v66, v66 row_ror:4
	;;#ASMEND
	v_lshlrev_b32_e32 v73, 2, v67
	;;#ASMSTART
	v_nop
 v_nop
 v_max_f32_dpp v66, v66, v66 row_ror:8
	;;#ASMEND
	ds_bpermute_b32 v66, v73, v66
	s_waitcnt lgkmcnt(0)
	;;#ASMSTART
	v_nop
 v_nop
 v_max_f32_dpp v66, v66, v66 row_ror:4
	;;#ASMEND
	;;#ASMSTART
	v_nop
 v_nop
 v_max_f32_dpp v72, v66, v66 row_ror:8
	;;#ASMEND
	v_sub_f32_e32 v66, v68, v72
	v_mul_f32_e32 v66, 0x3fb8aa3b, v66
	v_sub_f32_e32 v67, v69, v72
	v_exp_f32_e32 v66, v66
	v_mul_f32_e32 v67, 0x3fb8aa3b, v67
	v_sub_f32_e32 v69, v70, v72
	v_exp_f32_e32 v67, v67
	;; [unrolled: 3-line block ×3, first 2 shown]
	v_mul_f32_e32 v70, 0x3fb8aa3b, v70
	v_exp_f32_e32 v70, v70
	v_cndmask_b32_e32 v66, 0, v66, vcc
	v_add_f32_e32 v68, 0, v66
	v_cndmask_b32_e64 v67, 0, v67, s[2:3]
	v_add_f32_e32 v71, v68, v67
	v_cndmask_b32_e64 v68, 0, v69, s[4:5]
	;; [unrolled: 2-line block ×3, first 2 shown]
	v_add_f32_e32 v70, v71, v69
	;;#ASMSTART
	v_nop
 v_nop
 v_add_f32_dpp v70, v70, v70 row_ror:4
	;;#ASMEND
	;;#ASMSTART
	v_nop
 v_nop
 v_add_f32_dpp v70, v70, v70 row_ror:8
	;;#ASMEND
	ds_bpermute_b32 v70, v73, v70
	s_waitcnt lgkmcnt(0)
	;;#ASMSTART
	v_nop
 v_nop
 v_add_f32_dpp v70, v70, v70 row_ror:4
	;;#ASMEND
	v_cmp_gt_u32_e32 vcc, 4, v1
	;;#ASMSTART
	v_nop
 v_nop
 v_add_f32_dpp v70, v70, v70 row_ror:8
	;;#ASMEND
	s_and_saveexec_b64 s[2:3], vcc
	s_cbranch_execz .LBB344_18
; %bb.17:
	v_mul_u32_u24_e32 v71, 20, v76
	v_lshl_add_u32 v71, v77, 2, v71
	v_add_u32_e32 v71, 0x1400, v71
	ds_write2_b32 v71, v72, v70 offset1:20
.LBB344_18:
	s_or_b64 exec, exec, s[2:3]
.LBB344_19:
	s_or_b64 exec, exec, s[26:27]
	s_waitcnt lgkmcnt(0)
	s_barrier
	s_load_dword s2, s[24:25], 0x8
	v_lshlrev_b32_e32 v70, 2, v77
	v_add_u32_e32 v73, 0x1400, v70
	ds_read2_b32 v[70:71], v73 offset1:5
	ds_read2_b32 v[78:79], v73 offset0:10 offset1:15
	s_mul_i32 s3, s7, s6
	s_waitcnt lgkmcnt(0)
	s_mul_i32 s2, s3, s2
	s_mov_b32 s3, 0xff7fffff
	v_max3_f32 v74, v70, s3, v71
	v_max3_f32 v74, v74, v78, v79
	v_sub_f32_e32 v70, v70, v74
	ds_read2_b32 v[80:81], v73 offset0:20 offset1:25
	v_mul_f32_e32 v70, 0x3fb8aa3b, v70
	v_sub_f32_e32 v71, v71, v74
	v_exp_f32_e32 v75, v70
	v_mul_f32_e32 v71, 0x3fb8aa3b, v71
	ds_read2_b32 v[82:83], v73 offset0:30 offset1:35
	v_sub_f32_e32 v73, v78, v74
	v_exp_f32_e32 v71, v71
	v_mul_f32_e32 v73, 0x3fb8aa3b, v73
	v_sub_f32_e32 v78, v79, v74
	v_exp_f32_e32 v73, v73
	v_mul_f32_e32 v78, 0x3fb8aa3b, v78
	v_exp_f32_e32 v78, v78
	s_waitcnt lgkmcnt(1)
	v_fma_f32 v75, v75, v80, 0
	v_fmac_f32_e32 v75, v71, v81
	s_waitcnt lgkmcnt(0)
	v_fmac_f32_e32 v75, v73, v82
	v_mov_b32_e32 v70, 0
	v_fmac_f32_e32 v75, v78, v83
	s_mov_b32 s3, 0
	v_cmp_eq_u32_e32 vcc, 0, v77
	s_and_saveexec_b64 s[4:5], vcc
	s_cbranch_execz .LBB344_21
; %bb.20:
	s_lshl_b64 s[10:11], s[2:3], 2
	s_add_u32 s6, s12, s10
	s_mov_b32 s21, s3
	s_addc_u32 s9, s13, s11
	s_lshl_b64 s[12:13], s[20:21], 2
	s_add_u32 s6, s6, s12
	s_addc_u32 s9, s9, s13
	s_add_u32 s10, s14, s10
	s_addc_u32 s11, s15, s11
	;; [unrolled: 2-line block ×3, first 2 shown]
	s_mul_i32 s10, s7, s8
	s_mov_b32 s11, s3
	s_lshl_b64 s[10:11], s[10:11], 2
	s_add_u32 s12, s6, s10
	s_addc_u32 s13, s9, s11
	s_add_u32 s10, s14, s10
	s_addc_u32 s11, s15, s11
	global_store_dword v70, v74, s[10:11]
	global_store_dword v70, v75, s[12:13]
.LBB344_21:
	s_or_b64 exec, exec, s[4:5]
	v_lshlrev_b32_e32 v73, 3, v76
                                        ; implicit-def: $sgpr3
	s_and_saveexec_b64 s[4:5], s[0:1]
	s_xor_b64 s[0:1], exec, s[4:5]
	s_cbranch_execz .LBB344_23
; %bb.22:
	s_waitcnt vmcnt(15)
	v_mov_b32_e32 v2, 0
	v_mad_u32_u24 v4, v1, 40, v73
	s_mov_b32 s3, 0
	v_mov_b32_e32 v3, v2
	ds_write_b64 v4, v[2:3]
                                        ; implicit-def: $vgpr69
                                        ; implicit-def: $vgpr67
                                        ; implicit-def: $vgpr3
                                        ; implicit-def: $vgpr7
                                        ; implicit-def: $vgpr11
                                        ; implicit-def: $vgpr15
                                        ; implicit-def: $vgpr47
                                        ; implicit-def: $vgpr35
                                        ; implicit-def: $vgpr39
                                        ; implicit-def: $vgpr43
                                        ; implicit-def: $vgpr27
                                        ; implicit-def: $vgpr19
                                        ; implicit-def: $vgpr23
                                        ; implicit-def: $vgpr31
                                        ; implicit-def: $vgpr51
                                        ; implicit-def: $vgpr55
                                        ; implicit-def: $vgpr59
                                        ; implicit-def: $vgpr63
                                        ; implicit-def: $vgpr72
                                        ; implicit-def: $vgpr74
                                        ; implicit-def: $vgpr75
.LBB344_23:
	s_or_saveexec_b64 s[0:1], s[0:1]
	v_mov_b32_e32 v70, s3
	v_mov_b32_e32 v71, s3
	s_xor_b64 exec, exec, s[0:1]
	s_cbranch_execz .LBB344_25
; %bb.24:
	v_add_f32_e32 v70, 0x358637bd, v75
	v_div_scale_f32 v71, s[4:5], v70, v70, 1.0
	v_rcp_f32_e32 v75, v71
	v_sub_f32_e32 v72, v72, v74
	v_mul_f32_e32 v72, 0x3fb8aa3b, v72
	v_exp_f32_e32 v72, v72
	v_fma_f32 v74, -v71, v75, 1.0
	v_fmac_f32_e32 v75, v74, v75
	v_div_scale_f32 v74, vcc, 1.0, v70, 1.0
	v_mul_f32_e32 v76, v74, v75
	v_fma_f32 v77, -v71, v76, v74
	v_fmac_f32_e32 v76, v77, v75
	v_fma_f32 v71, -v71, v76, v74
	v_div_fmas_f32 v71, v71, v75, v76
	v_div_fixup_f32 v70, v71, v70, 1.0
	v_mul_f32_e32 v70, v72, v70
	v_pk_mul_f32 v[66:67], v[66:67], v[70:71] op_sel_hi:[1,0]
	v_pk_mul_f32 v[68:69], v[68:69], v[70:71] op_sel_hi:[1,0]
	v_bfe_u32 v70, v67, 16, 1
	v_bfe_u32 v71, v66, 16, 1
	s_movk_i32 s3, 0x7fff
	v_add3_u32 v66, v66, v71, s3
	v_add3_u32 v67, v67, v70, s3
	s_mov_b32 s4, 0x7060302
	v_perm_b32 v66, v67, v66, s4
	v_bfe_u32 v67, v69, 16, 1
	v_bfe_u32 v70, v68, 16, 1
	v_add3_u32 v68, v68, v70, s3
	v_add3_u32 v67, v69, v67, s3
	v_perm_b32 v67, v67, v68, s4
	s_waitcnt vmcnt(15)
	s_nop 0
	v_mfma_f32_4x4x4bf16_1k a[0:3], v[66:67], v[2:3], 0 cbsz:4
	v_mfma_f32_4x4x4bf16_1k a[0:3], v[66:67], v[4:5], a[0:3] cbsz:4 abid:1
	s_waitcnt vmcnt(14)
	v_mfma_f32_4x4x4bf16_1k a[0:3], v[66:67], v[6:7], a[0:3] cbsz:4 abid:2
	v_mfma_f32_4x4x4bf16_1k a[0:3], v[66:67], v[8:9], a[0:3] cbsz:4 abid:3
	s_waitcnt vmcnt(13)
	v_mfma_f32_4x4x4bf16_1k a[0:3], v[66:67], v[10:11], a[0:3] cbsz:4 abid:4
	;; [unrolled: 3-line block ×6, first 2 shown]
	v_mfma_f32_4x4x4bf16_1k a[4:7], v[66:67], v[26:27], 0 cbsz:4
	v_mfma_f32_4x4x4bf16_1k a[0:3], v[66:67], v[40:41], a[0:3] cbsz:4 abid:13
	v_mfma_f32_4x4x4bf16_1k a[4:7], v[66:67], v[28:29], a[4:7] cbsz:4 abid:1
	s_waitcnt vmcnt(4)
	v_mfma_f32_4x4x4bf16_1k a[0:3], v[66:67], v[42:43], a[0:3] cbsz:4 abid:14
	v_mfma_f32_4x4x4bf16_1k a[4:7], v[66:67], v[18:19], a[4:7] cbsz:4 abid:2
	;; [unrolled: 1-line block ×3, first 2 shown]
	s_nop 4
	v_accvgpr_read_b32 v3, a2
	v_accvgpr_read_b32 v4, a3
	;; [unrolled: 1-line block ×4, first 2 shown]
	v_mfma_f32_4x4x4bf16_1k a[0:3], v[66:67], v[20:21], a[4:7] cbsz:4 abid:3
	v_bfe_u32 v6, v5, 16, 1
	v_mfma_f32_4x4x4bf16_1k a[0:3], v[66:67], v[22:23], a[0:3] cbsz:4 abid:4
	v_bfe_u32 v7, v2, 16, 1
	v_mfma_f32_4x4x4bf16_1k a[0:3], v[66:67], v[24:25], a[0:3] cbsz:4 abid:5
	v_add3_u32 v2, v2, v7, s3
	v_mfma_f32_4x4x4bf16_1k a[0:3], v[66:67], v[30:31], a[0:3] cbsz:4 abid:6
	v_add3_u32 v5, v5, v6, s3
	v_mfma_f32_4x4x4bf16_1k a[0:3], v[66:67], v[32:33], a[0:3] cbsz:4 abid:7
	v_perm_b32 v2, v5, v2, s4
	s_waitcnt vmcnt(3)
	v_mfma_f32_4x4x4bf16_1k a[0:3], v[66:67], v[50:51], a[0:3] cbsz:4 abid:8
	v_bfe_u32 v5, v4, 16, 1
	v_mfma_f32_4x4x4bf16_1k a[0:3], v[66:67], v[52:53], a[0:3] cbsz:4 abid:9
	v_bfe_u32 v6, v3, 16, 1
	s_waitcnt vmcnt(2)
	v_mfma_f32_4x4x4bf16_1k a[0:3], v[66:67], v[54:55], a[0:3] cbsz:4 abid:10
	v_add3_u32 v3, v3, v6, s3
	v_mfma_f32_4x4x4bf16_1k a[0:3], v[66:67], v[56:57], a[0:3] cbsz:4 abid:11
	v_add3_u32 v4, v4, v5, s3
	s_waitcnt vmcnt(1)
	v_mfma_f32_4x4x4bf16_1k a[0:3], v[66:67], v[58:59], a[0:3] cbsz:4 abid:12
	v_perm_b32 v3, v4, v3, s4
	v_mfma_f32_4x4x4bf16_1k a[0:3], v[66:67], v[60:61], a[0:3] cbsz:4 abid:13
	v_mad_u32_u24 v4, v1, 40, v73
	s_waitcnt vmcnt(0)
	v_mfma_f32_4x4x4bf16_1k a[0:3], v[66:67], v[62:63], a[0:3] cbsz:4 abid:14
	ds_write_b64 v4, v[2:3]
	v_mfma_f32_4x4x4bf16_1k a[0:3], v[66:67], v[64:65], a[0:3] cbsz:4 abid:15
	s_nop 4
	v_accvgpr_read_b32 v4, a0
	v_accvgpr_read_b32 v5, a1
	v_accvgpr_read_b32 v2, a2
	v_accvgpr_read_b32 v3, a3
	v_bfe_u32 v6, v5, 16, 1
	v_bfe_u32 v7, v4, 16, 1
	v_add3_u32 v4, v4, v7, s3
	v_add3_u32 v5, v5, v6, s3
	v_bfe_u32 v6, v3, 16, 1
	v_bfe_u32 v7, v2, 16, 1
	v_add3_u32 v2, v2, v7, s3
	v_add3_u32 v3, v3, v6, s3
	v_perm_b32 v71, v3, v2, s4
	v_perm_b32 v70, v5, v4, s4
.LBB344_25:
	s_or_b64 exec, exec, s[0:1]
	s_waitcnt vmcnt(15)
	v_mad_u32_u24 v2, v1, 40, v73
	v_cmp_gt_u32_e32 vcc, 64, v0
	ds_write_b64 v2, v[70:71] offset:2560
	s_waitcnt lgkmcnt(0)
	s_barrier
	s_and_saveexec_b64 s[0:1], vcc
	s_cbranch_execz .LBB344_27
; %bb.26:
	v_mov_b32_e32 v2, 0xa00
	v_mad_u32_u24 v2, v1, 40, v2
	ds_read2_b64 v[2:5], v2 offset1:1
	s_waitcnt lgkmcnt(0)
	v_mov_b32_e32 v3, 0xa10
	s_waitcnt vmcnt(13)
	v_mul_u32_u24_e32 v10, 40, v1
	v_mad_u32_u24 v1, v1, 40, v3
	ds_read2_b64 v[6:9], v1 offset1:1
	v_lshlrev_b32_e32 v1, 16, v2
	s_mov_b32 s1, 0
	v_add_f32_e32 v1, 0, v1
	s_lshl_b32 s0, s2, 7
	v_and_b32_e32 v1, 0xffff0000, v1
	v_lshlrev_b32_e32 v2, 16, v4
	s_lshl_b64 s[2:3], s[0:1], 1
	v_add_f32_e32 v1, v1, v2
	s_add_u32 s2, s22, s2
	v_and_b32_e32 v1, 0xffff0000, v1
	s_waitcnt lgkmcnt(0)
	v_lshlrev_b32_e32 v2, 16, v6
	s_addc_u32 s3, s23, s3
	s_lshl_b32 s0, s20, 7
	v_add_f32_e32 v1, v1, v2
	s_lshl_b64 s[0:1], s[0:1], 1
	v_and_b32_e32 v1, 0xffff0000, v1
	v_lshlrev_b32_e32 v2, 16, v8
	s_add_u32 s0, s2, s0
	s_mul_i32 s2, s8, s7
	v_add_f32_e32 v11, v1, v2
	v_lshl_or_b32 v0, s2, 7, v0
	v_mov_b32_e32 v1, 0
	v_lshlrev_b64 v[4:5], 1, v[0:1]
	ds_read2_b64 v[0:3], v10 offset1:1
	s_addc_u32 s1, s3, s1
	v_mov_b32_e32 v6, s1
	v_add_co_u32_e32 v8, vcc, s0, v4
	v_addc_co_u32_e32 v9, vcc, v6, v5, vcc
	ds_read2_b64 v[4:7], v10 offset0:2 offset1:3
	s_waitcnt lgkmcnt(1)
	v_lshlrev_b32_e32 v0, 16, v0
	v_add_f32_e32 v0, 0, v0
	v_and_b32_e32 v0, 0xffff0000, v0
	v_lshlrev_b32_e32 v1, 16, v2
	v_add_f32_e32 v0, v0, v1
	v_and_b32_e32 v0, 0xffff0000, v0
	s_waitcnt lgkmcnt(0)
	v_lshlrev_b32_e32 v1, 16, v4
	v_add_f32_e32 v0, v0, v1
	v_and_b32_e32 v0, 0xffff0000, v0
	v_lshlrev_b32_e32 v1, 16, v6
	v_add_f32_e32 v0, v0, v1
	global_store_short_d16_hi v[8:9], v0, off
	global_store_short_d16_hi v[8:9], v11, off offset:128
.LBB344_27:
	s_endpgm
	.section	.rodata,"a",@progbits
	.p2align	6, 0x0
	.amdhsa_kernel _Z38paged_attention_ll4mi_QKV_mfma4_kernelI14__hip_bfloat16S0_LN4vllm18Fp8KVCacheDataTypeE0ES0_Li32ELi128ELi256ELb1ELi1EEvPKT_PKT0_S8_ifPKiSA_SA_iPKfiiiPfSD_PS3_PT2_iSC_SC_
		.amdhsa_group_segment_fixed_size 5280
		.amdhsa_private_segment_fixed_size 0
		.amdhsa_kernarg_size 400
		.amdhsa_user_sgpr_count 6
		.amdhsa_user_sgpr_private_segment_buffer 1
		.amdhsa_user_sgpr_dispatch_ptr 0
		.amdhsa_user_sgpr_queue_ptr 0
		.amdhsa_user_sgpr_kernarg_segment_ptr 1
		.amdhsa_user_sgpr_dispatch_id 0
		.amdhsa_user_sgpr_flat_scratch_init 0
		.amdhsa_user_sgpr_kernarg_preload_length 0
		.amdhsa_user_sgpr_kernarg_preload_offset 0
		.amdhsa_user_sgpr_private_segment_size 0
		.amdhsa_uses_dynamic_stack 0
		.amdhsa_system_sgpr_private_segment_wavefront_offset 0
		.amdhsa_system_sgpr_workgroup_id_x 1
		.amdhsa_system_sgpr_workgroup_id_y 1
		.amdhsa_system_sgpr_workgroup_id_z 1
		.amdhsa_system_sgpr_workgroup_info 0
		.amdhsa_system_vgpr_workitem_id 0
		.amdhsa_next_free_vgpr 92
		.amdhsa_next_free_sgpr 38
		.amdhsa_accum_offset 84
		.amdhsa_reserve_vcc 1
		.amdhsa_reserve_flat_scratch 0
		.amdhsa_float_round_mode_32 0
		.amdhsa_float_round_mode_16_64 0
		.amdhsa_float_denorm_mode_32 3
		.amdhsa_float_denorm_mode_16_64 3
		.amdhsa_dx10_clamp 1
		.amdhsa_ieee_mode 1
		.amdhsa_fp16_overflow 0
		.amdhsa_tg_split 0
		.amdhsa_exception_fp_ieee_invalid_op 0
		.amdhsa_exception_fp_denorm_src 0
		.amdhsa_exception_fp_ieee_div_zero 0
		.amdhsa_exception_fp_ieee_overflow 0
		.amdhsa_exception_fp_ieee_underflow 0
		.amdhsa_exception_fp_ieee_inexact 0
		.amdhsa_exception_int_div_zero 0
	.end_amdhsa_kernel
	.section	.text._Z38paged_attention_ll4mi_QKV_mfma4_kernelI14__hip_bfloat16S0_LN4vllm18Fp8KVCacheDataTypeE0ES0_Li32ELi128ELi256ELb1ELi1EEvPKT_PKT0_S8_ifPKiSA_SA_iPKfiiiPfSD_PS3_PT2_iSC_SC_,"axG",@progbits,_Z38paged_attention_ll4mi_QKV_mfma4_kernelI14__hip_bfloat16S0_LN4vllm18Fp8KVCacheDataTypeE0ES0_Li32ELi128ELi256ELb1ELi1EEvPKT_PKT0_S8_ifPKiSA_SA_iPKfiiiPfSD_PS3_PT2_iSC_SC_,comdat
.Lfunc_end344:
	.size	_Z38paged_attention_ll4mi_QKV_mfma4_kernelI14__hip_bfloat16S0_LN4vllm18Fp8KVCacheDataTypeE0ES0_Li32ELi128ELi256ELb1ELi1EEvPKT_PKT0_S8_ifPKiSA_SA_iPKfiiiPfSD_PS3_PT2_iSC_SC_, .Lfunc_end344-_Z38paged_attention_ll4mi_QKV_mfma4_kernelI14__hip_bfloat16S0_LN4vllm18Fp8KVCacheDataTypeE0ES0_Li32ELi128ELi256ELb1ELi1EEvPKT_PKT0_S8_ifPKiSA_SA_iPKfiiiPfSD_PS3_PT2_iSC_SC_
                                        ; -- End function
	.section	.AMDGPU.csdata,"",@progbits
; Kernel info:
; codeLenInByte = 4084
; NumSgprs: 42
; NumVgprs: 84
; NumAgprs: 8
; TotalNumVgprs: 92
; ScratchSize: 0
; MemoryBound: 0
; FloatMode: 240
; IeeeMode: 1
; LDSByteSize: 5280 bytes/workgroup (compile time only)
; SGPRBlocks: 5
; VGPRBlocks: 11
; NumSGPRsForWavesPerEU: 42
; NumVGPRsForWavesPerEU: 92
; AccumOffset: 84
; Occupancy: 5
; WaveLimiterHint : 1
; COMPUTE_PGM_RSRC2:SCRATCH_EN: 0
; COMPUTE_PGM_RSRC2:USER_SGPR: 6
; COMPUTE_PGM_RSRC2:TRAP_HANDLER: 0
; COMPUTE_PGM_RSRC2:TGID_X_EN: 1
; COMPUTE_PGM_RSRC2:TGID_Y_EN: 1
; COMPUTE_PGM_RSRC2:TGID_Z_EN: 1
; COMPUTE_PGM_RSRC2:TIDIG_COMP_CNT: 0
; COMPUTE_PGM_RSRC3_GFX90A:ACCUM_OFFSET: 20
; COMPUTE_PGM_RSRC3_GFX90A:TG_SPLIT: 0
	.section	.text._Z38paged_attention_ll4mi_QKV_mfma4_kernelI14__hip_bfloat16S0_LN4vllm18Fp8KVCacheDataTypeE0ES0_Li32ELi128ELi256ELb1ELi2EEvPKT_PKT0_S8_ifPKiSA_SA_iPKfiiiPfSD_PS3_PT2_iSC_SC_,"axG",@progbits,_Z38paged_attention_ll4mi_QKV_mfma4_kernelI14__hip_bfloat16S0_LN4vllm18Fp8KVCacheDataTypeE0ES0_Li32ELi128ELi256ELb1ELi2EEvPKT_PKT0_S8_ifPKiSA_SA_iPKfiiiPfSD_PS3_PT2_iSC_SC_,comdat
	.protected	_Z38paged_attention_ll4mi_QKV_mfma4_kernelI14__hip_bfloat16S0_LN4vllm18Fp8KVCacheDataTypeE0ES0_Li32ELi128ELi256ELb1ELi2EEvPKT_PKT0_S8_ifPKiSA_SA_iPKfiiiPfSD_PS3_PT2_iSC_SC_ ; -- Begin function _Z38paged_attention_ll4mi_QKV_mfma4_kernelI14__hip_bfloat16S0_LN4vllm18Fp8KVCacheDataTypeE0ES0_Li32ELi128ELi256ELb1ELi2EEvPKT_PKT0_S8_ifPKiSA_SA_iPKfiiiPfSD_PS3_PT2_iSC_SC_
	.globl	_Z38paged_attention_ll4mi_QKV_mfma4_kernelI14__hip_bfloat16S0_LN4vllm18Fp8KVCacheDataTypeE0ES0_Li32ELi128ELi256ELb1ELi2EEvPKT_PKT0_S8_ifPKiSA_SA_iPKfiiiPfSD_PS3_PT2_iSC_SC_
	.p2align	8
	.type	_Z38paged_attention_ll4mi_QKV_mfma4_kernelI14__hip_bfloat16S0_LN4vllm18Fp8KVCacheDataTypeE0ES0_Li32ELi128ELi256ELb1ELi2EEvPKT_PKT0_S8_ifPKiSA_SA_iPKfiiiPfSD_PS3_PT2_iSC_SC_,@function
_Z38paged_attention_ll4mi_QKV_mfma4_kernelI14__hip_bfloat16S0_LN4vllm18Fp8KVCacheDataTypeE0ES0_Li32ELi128ELi256ELb1ELi2EEvPKT_PKT0_S8_ifPKiSA_SA_iPKfiiiPfSD_PS3_PT2_iSC_SC_: ; @_Z38paged_attention_ll4mi_QKV_mfma4_kernelI14__hip_bfloat16S0_LN4vllm18Fp8KVCacheDataTypeE0ES0_Li32ELi128ELi256ELb1ELi2EEvPKT_PKT0_S8_ifPKiSA_SA_iPKfiiiPfSD_PS3_PT2_iSC_SC_
; %bb.0:
	s_load_dwordx2 s[2:3], s[4:5], 0x30
	s_mov_b32 s10, s7
	s_mov_b64 s[0:1], 0
	s_waitcnt lgkmcnt(0)
	s_cmp_lg_u64 s[2:3], 0
	s_cselect_b64 s[16:17], -1, 0
	s_and_b64 vcc, exec, s[16:17]
	s_cbranch_vccz .LBB345_10
; %bb.1:
	s_add_i32 s12, s6, 1
	s_mov_b32 s13, 0
	s_lshl_b64 s[14:15], s[12:13], 2
	s_add_u32 s14, s2, s14
	s_mov_b32 s7, s13
	s_addc_u32 s15, s3, s15
	s_lshl_b64 s[12:13], s[6:7], 2
	s_add_u32 s12, s2, s12
	s_addc_u32 s13, s3, s13
	s_load_dword s9, s[14:15], 0x0
	s_load_dword s11, s[12:13], 0x0
	s_waitcnt lgkmcnt(0)
	s_sub_i32 s9, s9, s11
	s_cmp_eq_u32 s9, 1
	s_cselect_b64 s[12:13], -1, 0
	s_andn2_b64 vcc, exec, s[0:1]
	s_cbranch_vccnz .LBB345_3
.LBB345_2:
	s_mov_b32 s7, 0
	s_mov_b64 s[12:13], -1
.LBB345_3:
	s_andn2_b64 vcc, exec, s[12:13]
	s_cbranch_vccnz .LBB345_27
; %bb.4:
	s_load_dword s9, s[4:5], 0x9c
	s_load_dwordx2 s[0:1], s[4:5], 0x28
	s_add_u32 s22, s4, 0x90
	s_addc_u32 s23, s5, 0
	s_lshl_b64 s[18:19], s[6:7], 2
	s_waitcnt lgkmcnt(0)
	s_and_b32 s9, s9, 0xffff
	s_add_u32 s0, s0, s18
	s_addc_u32 s1, s1, s19
	s_load_dword s11, s[0:1], 0x0
	s_mul_i32 s9, s10, s9
	s_waitcnt lgkmcnt(0)
	s_cmp_ge_i32 s9, s11
	s_cbranch_scc1 .LBB345_27
; %bb.5:
	v_and_b32_e32 v1, 0xc0, v0
	v_add_u32_e32 v2, s9, v1
	v_lshrrev_b32_e32 v72, 6, v0
	v_cmp_le_i32_e64 s[0:1], s11, v2
                                        ; implicit-def: $sgpr27
                                        ; implicit-def: $sgpr26
	s_and_saveexec_b64 s[12:13], s[0:1]
	s_xor_b64 s[12:13], exec, s[12:13]
	s_cbranch_execz .LBB345_7
; %bb.6:
	v_mul_u32_u24_e32 v1, 20, v72
	v_or_b32_e32 v1, 0x1400, v1
	v_mov_b32_e32 v2, 0x1450
	v_mov_b32_e32 v3, 0xff7fffff
	v_mad_u32_u24 v2, v72, 20, v2
	ds_write2_b32 v1, v3, v3 offset1:1
	v_mov_b32_e32 v1, 0
	ds_write2_b32 v2, v1, v1 offset1:1
	v_mov_b32_e32 v2, 0x1408
	s_mov_b32 s26, 0xff7fffff
	s_mov_b32 s27, 0
	v_mad_u32_u24 v2, v72, 20, v2
	v_mov_b32_e32 v4, 0x1458
	v_mad_u32_u24 v4, v72, 20, v4
	ds_write2_b32 v2, v3, v3 offset1:1
	ds_write2_b32 v4, v1, v1 offset1:1
                                        ; implicit-def: $vgpr2
.LBB345_7:
	s_or_saveexec_b64 s[24:25], s[12:13]
	s_load_dwordx2 s[20:21], s[4:5], 0x68
	s_load_dwordx4 s[12:15], s[4:5], 0x58
	s_load_dword s33, s[22:23], 0x4
	v_and_b32_e32 v1, 63, v0
	v_and_b32_e32 v73, 3, v0
	s_lshl_b32 s7, s8, 1
	v_mov_b32_e32 v69, s27
	v_mov_b32_e32 v74, s26
	;; [unrolled: 1-line block ×5, first 2 shown]
                                        ; implicit-def: $vgpr3
                                        ; implicit-def: $vgpr7
                                        ; implicit-def: $vgpr11
                                        ; implicit-def: $vgpr15
                                        ; implicit-def: $vgpr47
                                        ; implicit-def: $vgpr35
                                        ; implicit-def: $vgpr39
                                        ; implicit-def: $vgpr43
                                        ; implicit-def: $vgpr27
                                        ; implicit-def: $vgpr19
                                        ; implicit-def: $vgpr23
                                        ; implicit-def: $vgpr31
                                        ; implicit-def: $vgpr51
                                        ; implicit-def: $vgpr55
                                        ; implicit-def: $vgpr59
                                        ; implicit-def: $vgpr63
	s_xor_b64 exec, exec, s[24:25]
	s_cbranch_execz .LBB345_19
; %bb.8:
	s_add_i32 s29, s11, 31
	s_load_dwordx2 s[26:27], s[4:5], 0x20
	s_load_dword s28, s[4:5], 0x38
	s_ashr_i32 s30, s29, 31
	s_lshr_b32 s30, s30, 27
	v_add_u32_e32 v74, s9, v0
	s_add_i32 s29, s29, s30
	v_ashrrev_i32_e32 v3, 31, v74
	s_ashr_i32 s29, s29, 5
	v_lshrrev_b32_e32 v3, 27, v3
	s_add_i32 s30, s29, -1
	v_add_u32_e32 v3, v74, v3
	s_waitcnt lgkmcnt(0)
	s_mul_i32 s28, s6, s28
	s_mov_b32 s29, 0
	v_ashrrev_i32_e32 v3, 5, v3
	v_mov_b32_e32 v4, s30
	v_cmp_gt_i32_e32 vcc, s11, v74
	s_lshl_b64 s[28:29], s[28:29], 2
	v_cndmask_b32_e32 v4, v4, v3, vcc
	s_add_u32 s26, s26, s28
	v_ashrrev_i32_e32 v5, 31, v4
	s_addc_u32 s27, s27, s29
	v_lshlrev_b64 v[4:5], 2, v[4:5]
	v_mov_b32_e32 v3, s27
	v_add_co_u32_e32 v4, vcc, s26, v4
	v_addc_co_u32_e32 v5, vcc, v3, v5, vcc
	v_ashrrev_i32_e32 v3, 31, v2
	v_lshrrev_b32_e32 v3, 27, v3
	v_add_u32_e32 v2, v2, v3
	v_ashrrev_i32_e32 v8, 5, v2
	v_min_i32_e32 v2, s30, v8
	v_ashrrev_i32_e32 v3, 31, v2
	v_lshlrev_b64 v[2:3], 2, v[2:3]
	v_add_co_u32_e32 v6, vcc, s26, v2
	v_add_u32_e32 v2, 1, v8
	v_mov_b32_e32 v7, s27
	v_min_i32_e32 v2, s30, v2
	v_addc_co_u32_e32 v7, vcc, v7, v3, vcc
	v_ashrrev_i32_e32 v3, 31, v2
	v_lshlrev_b64 v[2:3], 2, v[2:3]
	v_mov_b32_e32 v9, s27
	v_add_co_u32_e32 v8, vcc, s26, v2
	v_addc_co_u32_e32 v9, vcc, v9, v3, vcc
	global_load_dword v2, v[4:5], off
	global_load_dword v63, v[6:7], off
	;; [unrolled: 1-line block ×3, first 2 shown]
	s_load_dwordx2 s[28:29], s[4:5], 0x8
	s_andn2_b64 vcc, exec, s[16:17]
	s_cbranch_vccnz .LBB345_11
; %bb.9:
	s_add_u32 s2, s2, s18
	s_addc_u32 s3, s3, s19
	s_load_dword s2, s[2:3], 0x0
	s_branch .LBB345_12
.LBB345_10:
	s_mov_b64 s[12:13], 0
	s_branch .LBB345_2
.LBB345_11:
	s_mov_b32 s2, s6
.LBB345_12:
	s_load_dwordx2 s[26:27], s[4:5], 0x10
	s_load_dwordx4 s[16:19], s[4:5], 0x48
	v_cmp_gt_u32_e32 vcc, 2, v73
	s_mov_b32 s3, 0
	v_mov_b32_e32 v75, 0
	v_mov_b32_e32 v64, 0
	;; [unrolled: 1-line block ×5, first 2 shown]
	s_and_saveexec_b64 s[30:31], vcc
	s_cbranch_execz .LBB345_14
; %bb.13:
	s_load_dwordx2 s[34:35], s[4:5], 0x0
	s_waitcnt lgkmcnt(0)
	s_ashr_i32 s9, s16, 31
	s_mul_hi_u32 s19, s2, s16
	s_mul_i32 s9, s2, s9
	s_add_i32 s37, s19, s9
	s_mul_i32 s36, s2, s16
	s_lshl_b64 s[36:37], s[36:37], 1
	s_add_u32 s9, s34, s36
	s_addc_u32 s16, s35, s37
	s_lshl_b32 s2, s8, 8
	s_lshl_b64 s[34:35], s[2:3], 1
	v_lshlrev_b32_e32 v3, 2, v1
	s_add_u32 s34, s9, s34
	v_and_b32_e32 v3, 0xf0, v3
	s_addc_u32 s35, s16, s35
	v_lshl_or_b32 v3, v73, 8, v3
	global_load_dwordx4 v[64:67], v3, s[34:35]
.LBB345_14:
	s_or_b64 exec, exec, s[30:31]
	s_waitcnt lgkmcnt(0)
	s_mul_i32 s2, s8, s18
	s_lshl_b64 s[8:9], s[2:3], 1
	s_waitcnt vmcnt(2)
	v_mad_i64_i32 v[2:3], s[30:31], v2, s17, 0
	s_add_u32 s2, s8, s28
	v_lshlrev_b64 v[2:3], 1, v[2:3]
	s_addc_u32 s3, s9, s29
	v_mov_b32_e32 v4, s3
	v_add_co_u32_e64 v68, s[2:3], s2, v2
	v_and_b32_e32 v2, 31, v0
	v_addc_co_u32_e64 v69, s[2:3], v4, v3, s[2:3]
	v_lshlrev_b32_e32 v70, 4, v2
	v_add_co_u32_e64 v34, s[2:3], v68, v70
	v_addc_co_u32_e64 v35, s[2:3], 0, v69, s[2:3]
	global_load_dwordx4 v[30:33], v[34:35], off
	global_load_dwordx4 v[26:29], v[34:35], off offset:512
	global_load_dwordx4 v[14:17], v[34:35], off offset:1024
	;; [unrolled: 1-line block ×7, first 2 shown]
	v_or_b32_e32 v34, 0x1000, v70
	v_add_co_u32_e64 v42, s[2:3], v68, v34
	v_addc_co_u32_e64 v43, s[2:3], 0, v69, s[2:3]
	v_or_b32_e32 v34, 0x1200, v70
	v_add_co_u32_e64 v44, s[2:3], v68, v34
	v_addc_co_u32_e64 v45, s[2:3], 0, v69, s[2:3]
	global_load_dwordx4 v[38:41], v[42:43], off
	global_load_dwordx4 v[34:37], v[44:45], off
	v_or_b32_e32 v42, 0x1400, v70
	v_add_co_u32_e64 v50, s[2:3], v68, v42
	v_addc_co_u32_e64 v51, s[2:3], 0, v69, s[2:3]
	v_or_b32_e32 v42, 0x1600, v70
	v_add_co_u32_e64 v52, s[2:3], v68, v42
	v_addc_co_u32_e64 v53, s[2:3], 0, v69, s[2:3]
	global_load_dwordx4 v[46:49], v[50:51], off
	global_load_dwordx4 v[42:45], v[52:53], off
	;; [unrolled: 8-line block ×3, first 2 shown]
	v_or_b32_e32 v58, 0x1c00, v70
	v_add_co_u32_e64 v76, s[2:3], v68, v58
	v_mov_b32_e32 v58, 0x1e00
	v_addc_co_u32_e64 v77, s[2:3], 0, v69, s[2:3]
	v_lshl_or_b32 v58, v0, 4, v58
	v_add_co_u32_e64 v78, s[2:3], v68, v58
	v_addc_co_u32_e64 v79, s[2:3], 0, v69, s[2:3]
	global_load_dwordx4 v[58:61], v[76:77], off
	global_load_dwordx4 v[68:71], v[78:79], off
	s_and_saveexec_b64 s[2:3], vcc
	s_cbranch_execz .LBB345_16
; %bb.15:
	s_load_dwordx2 s[18:19], s[4:5], 0x40
	v_or_b32_e32 v76, s7, v73
	v_mov_b32_e32 v77, 0
	v_lshlrev_b64 v[76:77], 2, v[76:77]
	s_waitcnt lgkmcnt(0)
	v_mov_b32_e32 v75, s19
	v_add_co_u32_e32 v76, vcc, s18, v76
	v_addc_co_u32_e32 v77, vcc, v75, v77, vcc
	global_load_dword v75, v[76:77], off
.LBB345_16:
	s_or_b64 exec, exec, s[2:3]
	s_waitcnt vmcnt(15)
	v_mfma_f32_4x4x4bf16_1k a[0:3], v[64:65], v[30:31], 0 cbsz:4
	v_mul_hi_i32 v30, v63, s17
	v_mfma_f32_4x4x4bf16_1k a[0:3], v[66:67], v[32:33], a[0:3] cbsz:4
	v_ashrrev_i32_e32 v30, 31, v30
	s_waitcnt vmcnt(14)
	v_mfma_f32_4x4x4bf16_1k a[0:3], v[64:65], v[26:27], a[0:3] cbsz:4 abid:1
	v_lshrrev_b32_e32 v76, 29, v30
	v_mfma_f32_4x4x4bf16_1k a[0:3], v[66:67], v[28:29], a[0:3] cbsz:4 abid:1
	v_mov_b32_e32 v77, 0
	s_waitcnt vmcnt(13)
	v_mfma_f32_4x4x4bf16_1k a[0:3], v[64:65], v[14:15], a[0:3] cbsz:4 abid:2
	s_load_dword s2, s[4:5], 0x1c
	v_mfma_f32_4x4x4bf16_1k a[0:3], v[66:67], v[16:17], a[0:3] cbsz:4 abid:2
	v_mad_i64_i32 v[14:15], s[4:5], v63, s17, v[76:77]
	s_waitcnt vmcnt(12)
	v_mfma_f32_4x4x4bf16_1k a[0:3], v[64:65], v[10:11], a[0:3] cbsz:4 abid:3
	s_add_u32 s3, s26, s8
	v_mfma_f32_4x4x4bf16_1k a[0:3], v[66:67], v[12:13], a[0:3] cbsz:4 abid:3
	v_lshlrev_b64 v[14:15], 1, v[14:15]
	s_waitcnt vmcnt(11)
	v_mfma_f32_4x4x4bf16_1k a[0:3], v[64:65], v[6:7], a[0:3] cbsz:4 abid:4
	s_addc_u32 s8, s27, s9
	v_mfma_f32_4x4x4bf16_1k a[0:3], v[66:67], v[8:9], a[0:3] cbsz:4 abid:4
	v_and_b32_e32 v10, -16, v14
	s_waitcnt vmcnt(10)
	v_mfma_f32_4x4x4bf16_1k a[0:3], v[64:65], v[2:3], a[0:3] cbsz:4 abid:5
	v_mov_b32_e32 v11, s8
	v_mfma_f32_4x4x4bf16_1k a[0:3], v[66:67], v[4:5], a[0:3] cbsz:4 abid:5
	v_add_co_u32_e32 v28, vcc, s3, v10
	s_waitcnt vmcnt(9)
	v_mfma_f32_4x4x4bf16_1k a[0:3], v[64:65], v[22:23], a[0:3] cbsz:4 abid:6
	v_addc_co_u32_e32 v29, vcc, v11, v15, vcc
	v_mfma_f32_4x4x4bf16_1k a[0:3], v[66:67], v[24:25], a[0:3] cbsz:4 abid:6
	v_lshlrev_b32_e32 v63, 6, v1
	s_waitcnt vmcnt(8)
	v_mfma_f32_4x4x4bf16_1k a[0:3], v[64:65], v[18:19], a[0:3] cbsz:4 abid:7
	v_add_co_u32_e32 v26, vcc, v28, v63
	v_mfma_f32_4x4x4bf16_1k a[0:3], v[66:67], v[20:21], a[0:3] cbsz:4 abid:7
	v_addc_co_u32_e32 v27, vcc, 0, v29, vcc
	s_waitcnt vmcnt(7)
	v_mfma_f32_4x4x4bf16_1k a[0:3], v[64:65], v[38:39], a[0:3] cbsz:4 abid:8
	v_mul_hi_i32 v38, v62, s17
	v_mfma_f32_4x4x4bf16_1k a[0:3], v[66:67], v[40:41], a[0:3] cbsz:4 abid:8
	v_or_b32_e32 v80, 0x1000, v63
	s_waitcnt vmcnt(6)
	v_mfma_f32_4x4x4bf16_1k a[0:3], v[64:65], v[34:35], a[0:3] cbsz:4 abid:9
	v_ashrrev_i32_e32 v34, 31, v38
	v_mfma_f32_4x4x4bf16_1k a[0:3], v[66:67], v[36:37], a[0:3] cbsz:4 abid:9
	v_lshrrev_b32_e32 v76, 29, v34
	s_waitcnt vmcnt(5)
	v_mfma_f32_4x4x4bf16_1k a[0:3], v[64:65], v[46:47], a[0:3] cbsz:4 abid:10
	v_mad_i64_i32 v[34:35], s[4:5], v62, s17, v[76:77]
	v_mfma_f32_4x4x4bf16_1k a[0:3], v[66:67], v[48:49], a[0:3] cbsz:4 abid:10
	v_add_co_u32_e32 v78, vcc, v28, v80
	s_waitcnt vmcnt(4)
	v_mfma_f32_4x4x4bf16_1k a[0:3], v[64:65], v[42:43], a[0:3] cbsz:4 abid:11
	v_lshlrev_b64 v[34:35], 1, v[34:35]
	v_mfma_f32_4x4x4bf16_1k a[0:3], v[66:67], v[44:45], a[0:3] cbsz:4 abid:11
	v_addc_co_u32_e32 v79, vcc, 0, v29, vcc
	s_waitcnt vmcnt(3)
	v_mfma_f32_4x4x4bf16_1k a[0:3], v[64:65], v[54:55], a[0:3] cbsz:4 abid:12
	v_and_b32_e32 v34, -16, v34
	v_mfma_f32_4x4x4bf16_1k a[0:3], v[66:67], v[56:57], a[0:3] cbsz:4 abid:12
	v_mov_b32_e32 v36, s8
	s_waitcnt vmcnt(2)
	v_mfma_f32_4x4x4bf16_1k a[0:3], v[64:65], v[50:51], a[0:3] cbsz:4 abid:13
	v_add_co_u32_e32 v62, vcc, s3, v34
	v_mfma_f32_4x4x4bf16_1k a[0:3], v[66:67], v[52:53], a[0:3] cbsz:4 abid:13
	v_addc_co_u32_e32 v77, vcc, v36, v35, vcc
	v_add_co_u32_e32 v54, vcc, v62, v63
	s_waitcnt vmcnt(1)
	v_mfma_f32_4x4x4bf16_1k a[0:3], v[64:65], v[58:59], a[0:3] cbsz:4 abid:14
	v_addc_co_u32_e32 v55, vcc, 0, v77, vcc
	v_add_co_u32_e32 v76, vcc, v62, v80
	v_mfma_f32_4x4x4bf16_1k a[0:3], v[66:67], v[60:61], a[0:3] cbsz:4 abid:14
	v_addc_co_u32_e32 v77, vcc, 0, v77, vcc
	global_load_dwordx4 v[2:5], v[26:27], off
	global_load_dwordx4 v[6:9], v[26:27], off offset:16
	global_load_dwordx4 v[10:13], v[26:27], off offset:32
	;; [unrolled: 1-line block ×3, first 2 shown]
	s_nop 0
	global_load_dwordx4 v[26:29], v[78:79], off
	global_load_dwordx4 v[18:21], v[78:79], off offset:16
	global_load_dwordx4 v[22:25], v[78:79], off offset:32
	;; [unrolled: 1-line block ×3, first 2 shown]
	global_load_dwordx4 v[46:49], v[54:55], off
	global_load_dwordx4 v[34:37], v[54:55], off offset:16
	global_load_dwordx4 v[38:41], v[54:55], off offset:32
	;; [unrolled: 1-line block ×3, first 2 shown]
	global_load_dwordx4 v[50:53], v[76:77], off
	s_nop 0
	global_load_dwordx4 v[54:57], v[76:77], off offset:16
	s_waitcnt vmcnt(14)
	v_mfma_f32_4x4x4bf16_1k a[0:3], v[64:65], v[68:69], a[0:3] cbsz:4 abid:15
	global_load_dwordx4 v[58:61], v[76:77], off offset:32
	global_load_dwordx4 v[62:65], v[76:77], off offset:48
	v_mfma_f32_4x4x4bf16_1k a[0:3], v[66:67], v[70:71], a[0:3] cbsz:4 abid:15
	v_cmp_eq_u32_e32 vcc, 0, v73
	v_cndmask_b32_e64 v70, 0, 1.0, vcc
	v_cmp_eq_u32_e32 vcc, 1, v73
	v_mov_b32_e32 v76, 0xff7fffff
	s_nop 0
	v_accvgpr_read_b32 v69, a1
	v_accvgpr_read_b32 v68, a0
	s_waitcnt lgkmcnt(0)
	v_pk_mul_f32 v[68:69], s[2:3], v[68:69] op_sel_hi:[0,1]
	v_accvgpr_read_b32 v67, a3
	v_accvgpr_read_b32 v66, a2
	v_pk_mul_f32 v[66:67], s[2:3], v[66:67] op_sel_hi:[0,1]
	v_mfma_f32_4x4x1f32 a[0:3], v68, v70, 0
	v_cndmask_b32_e64 v68, 0, 1.0, vcc
	v_cmp_eq_u32_e32 vcc, 2, v73
	s_nop 0
	v_mfma_f32_4x4x1f32 a[0:3], v69, v68, a[0:3]
	v_cndmask_b32_e64 v68, 0, 1.0, vcc
	v_cmp_eq_u32_e32 vcc, 3, v73
	s_nop 0
	v_mfma_f32_4x4x1f32 a[0:3], v66, v68, a[0:3]
	v_cndmask_b32_e64 v66, 0, 1.0, vcc
	s_nop 1
	v_mfma_f32_4x4x1f32 a[0:3], v67, v66, a[0:3]
	v_and_b32_e32 v66, -4, v74
	v_subrev_u32_e32 v67, s11, v66
	v_add_u32_e32 v68, 1, v67
	v_cvt_f32_i32_e32 v68, v68
	v_add_u32_e32 v69, 2, v67
	v_cvt_f32_i32_e32 v69, v69
	v_accvgpr_read_b32 v70, a0
	v_fma_f32 v68, v75, v68, v70
	v_accvgpr_read_b32 v70, a1
	v_fma_f32 v69, v75, v69, v70
	v_add_u32_e32 v70, 3, v67
	v_cvt_f32_i32_e32 v70, v70
	v_add_u32_e32 v67, 4, v67
	v_cvt_f32_i32_e32 v67, v67
	v_accvgpr_read_b32 v71, a2
	v_fma_f32 v70, v75, v70, v71
	v_accvgpr_read_b32 v71, a3
	v_fmac_f32_e32 v71, v75, v67
	v_max_f32_e32 v75, 0xff7fffff, v68
	v_cmp_gt_i32_e32 vcc, s11, v66
	v_cndmask_b32_e32 v75, v76, v75, vcc
	v_or_b32_e32 v76, 1, v66
	v_max_f32_e32 v77, v75, v69
	v_cmp_gt_i32_e64 s[2:3], s11, v76
	v_cndmask_b32_e64 v75, v75, v77, s[2:3]
	v_or_b32_e32 v66, 2, v66
	v_max_f32_e32 v76, v75, v70
	v_cmp_gt_i32_e64 s[4:5], s11, v66
	v_cndmask_b32_e64 v66, v75, v76, s[4:5]
	v_or_b32_e32 v74, 3, v74
	v_max_f32_e32 v75, v66, v71
	v_cmp_gt_i32_e64 s[8:9], s11, v74
	v_lshlrev_b32_e32 v67, 2, v0
	v_cndmask_b32_e64 v66, v66, v75, s[8:9]
	v_and_or_b32 v67, v67, 48, v73
	;;#ASMSTART
	v_nop
 v_nop
 v_max_f32_dpp v66, v66, v66 row_ror:4
	;;#ASMEND
	v_lshlrev_b32_e32 v75, 2, v67
	;;#ASMSTART
	v_nop
 v_nop
 v_max_f32_dpp v66, v66, v66 row_ror:8
	;;#ASMEND
	ds_bpermute_b32 v66, v75, v66
	s_waitcnt lgkmcnt(0)
	;;#ASMSTART
	v_nop
 v_nop
 v_max_f32_dpp v66, v66, v66 row_ror:4
	;;#ASMEND
	;;#ASMSTART
	v_nop
 v_nop
 v_max_f32_dpp v74, v66, v66 row_ror:8
	;;#ASMEND
	v_sub_f32_e32 v66, v68, v74
	v_mul_f32_e32 v66, 0x3fb8aa3b, v66
	v_sub_f32_e32 v67, v69, v74
	v_exp_f32_e32 v66, v66
	v_mul_f32_e32 v67, 0x3fb8aa3b, v67
	v_sub_f32_e32 v69, v70, v74
	v_exp_f32_e32 v67, v67
	;; [unrolled: 3-line block ×3, first 2 shown]
	v_mul_f32_e32 v70, 0x3fb8aa3b, v70
	v_exp_f32_e32 v70, v70
	v_cndmask_b32_e32 v66, 0, v66, vcc
	v_add_f32_e32 v68, 0, v66
	v_cndmask_b32_e64 v67, 0, v67, s[2:3]
	v_add_f32_e32 v71, v68, v67
	v_cndmask_b32_e64 v68, 0, v69, s[4:5]
	;; [unrolled: 2-line block ×3, first 2 shown]
	v_add_f32_e32 v70, v71, v69
	;;#ASMSTART
	v_nop
 v_nop
 v_add_f32_dpp v70, v70, v70 row_ror:4
	;;#ASMEND
	;;#ASMSTART
	v_nop
 v_nop
 v_add_f32_dpp v70, v70, v70 row_ror:8
	;;#ASMEND
	ds_bpermute_b32 v70, v75, v70
	s_waitcnt lgkmcnt(0)
	;;#ASMSTART
	v_nop
 v_nop
 v_add_f32_dpp v70, v70, v70 row_ror:4
	;;#ASMEND
	v_cmp_gt_u32_e32 vcc, 4, v1
	;;#ASMSTART
	v_nop
 v_nop
 v_add_f32_dpp v70, v70, v70 row_ror:8
	;;#ASMEND
	s_and_saveexec_b64 s[2:3], vcc
	s_cbranch_execz .LBB345_18
; %bb.17:
	v_mul_u32_u24_e32 v71, 20, v72
	v_lshl_add_u32 v71, v73, 2, v71
	v_add_u32_e32 v71, 0x1400, v71
	ds_write2_b32 v71, v74, v70 offset1:20
.LBB345_18:
	s_or_b64 exec, exec, s[2:3]
.LBB345_19:
	s_or_b64 exec, exec, s[24:25]
	s_waitcnt lgkmcnt(0)
	s_barrier
	s_load_dword s2, s[22:23], 0x8
	v_lshlrev_b32_e32 v70, 2, v73
	v_add_u32_e32 v80, 0x1400, v70
	ds_read2_b32 v[70:71], v80 offset1:5
	ds_read2_b32 v[76:77], v80 offset0:10 offset1:15
	s_mul_i32 s3, s6, s33
	s_waitcnt lgkmcnt(0)
	s_mul_i32 s3, s3, s2
	s_lshl_b32 s2, s3, 1
	s_mov_b32 s3, 0xff7fffff
	v_max3_f32 v75, v70, s3, v71
	v_max3_f32 v75, v75, v76, v77
	v_sub_f32_e32 v70, v70, v75
	v_mul_f32_e32 v70, 0x3fb8aa3b, v70
	ds_read2_b32 v[78:79], v80 offset0:20 offset1:25
	v_exp_f32_e32 v81, v70
	v_sub_f32_e32 v70, v71, v75
	v_sub_f32_e32 v76, v76, v75
	v_mul_f32_e32 v70, 0x3fb8aa3b, v70
	v_mul_f32_e32 v76, 0x3fb8aa3b, v76
	v_exp_f32_e32 v82, v70
	ds_read2_b32 v[70:71], v80 offset0:30 offset1:35
	v_exp_f32_e32 v80, v76
	v_sub_f32_e32 v76, v77, v75
	v_mul_f32_e32 v76, 0x3fb8aa3b, v76
	v_exp_f32_e32 v77, v76
	s_waitcnt lgkmcnt(1)
	v_fma_f32 v76, v81, v78, 0
	v_fmac_f32_e32 v76, v82, v79
	s_waitcnt lgkmcnt(0)
	v_fmac_f32_e32 v76, v80, v70
	v_fmac_f32_e32 v76, v77, v71
	v_cmp_gt_u32_e32 vcc, 2, v73
	s_and_saveexec_b64 s[4:5], vcc
	s_cbranch_execz .LBB345_21
; %bb.20:
	s_mov_b32 s3, 0
	s_lshl_b64 s[8:9], s[2:3], 2
	s_add_u32 s6, s12, s8
	s_mov_b32 s11, s3
	s_addc_u32 s16, s13, s9
	s_lshl_b64 s[12:13], s[10:11], 2
	s_add_u32 s3, s6, s12
	s_addc_u32 s6, s16, s13
	v_or_b32_e32 v70, s7, v73
	s_add_u32 s8, s14, s8
	v_mul_lo_u32 v70, s33, v70
	v_mov_b32_e32 v71, 0
	s_addc_u32 s9, s15, s9
	v_lshlrev_b64 v[70:71], 2, v[70:71]
	s_add_u32 s8, s8, s12
	v_mov_b32_e32 v73, s6
	v_add_co_u32_e32 v78, vcc, s3, v70
	s_addc_u32 s9, s9, s13
	v_addc_co_u32_e32 v79, vcc, v73, v71, vcc
	v_mov_b32_e32 v73, s9
	v_add_co_u32_e32 v70, vcc, s8, v70
	v_addc_co_u32_e32 v71, vcc, v73, v71, vcc
	global_store_dword v[70:71], v75, off
	global_store_dword v[78:79], v76, off
.LBB345_21:
	s_or_b64 exec, exec, s[4:5]
	v_lshlrev_b32_e32 v72, 3, v72
                                        ; implicit-def: $sgpr3
	s_and_saveexec_b64 s[4:5], s[0:1]
	s_xor_b64 s[0:1], exec, s[4:5]
	s_cbranch_execz .LBB345_23
; %bb.22:
	s_waitcnt vmcnt(15)
	v_mov_b32_e32 v2, 0
	v_mad_u32_u24 v4, v1, 40, v72
	s_mov_b32 s3, 0
	v_mov_b32_e32 v3, v2
	ds_write_b64 v4, v[2:3]
                                        ; implicit-def: $vgpr69
                                        ; implicit-def: $vgpr67
                                        ; implicit-def: $vgpr3
                                        ; implicit-def: $vgpr7
                                        ; implicit-def: $vgpr11
                                        ; implicit-def: $vgpr15
                                        ; implicit-def: $vgpr47
                                        ; implicit-def: $vgpr35
                                        ; implicit-def: $vgpr39
                                        ; implicit-def: $vgpr43
                                        ; implicit-def: $vgpr27
                                        ; implicit-def: $vgpr19
                                        ; implicit-def: $vgpr23
                                        ; implicit-def: $vgpr31
                                        ; implicit-def: $vgpr51
                                        ; implicit-def: $vgpr55
                                        ; implicit-def: $vgpr59
                                        ; implicit-def: $vgpr63
                                        ; implicit-def: $vgpr74
                                        ; implicit-def: $vgpr75
                                        ; implicit-def: $vgpr76
.LBB345_23:
	s_or_saveexec_b64 s[0:1], s[0:1]
	v_mov_b32_e32 v70, s3
	v_mov_b32_e32 v71, s3
	s_xor_b64 exec, exec, s[0:1]
	s_cbranch_execz .LBB345_25
; %bb.24:
	v_add_f32_e32 v70, 0x358637bd, v76
	v_div_scale_f32 v71, s[4:5], v70, v70, 1.0
	v_rcp_f32_e32 v73, v71
	v_sub_f32_e32 v74, v74, v75
	v_mul_f32_e32 v74, 0x3fb8aa3b, v74
	v_exp_f32_e32 v74, v74
	v_fma_f32 v75, -v71, v73, 1.0
	v_fmac_f32_e32 v73, v75, v73
	v_div_scale_f32 v75, vcc, 1.0, v70, 1.0
	v_mul_f32_e32 v76, v75, v73
	v_fma_f32 v77, -v71, v76, v75
	v_fmac_f32_e32 v76, v77, v73
	v_fma_f32 v71, -v71, v76, v75
	v_div_fmas_f32 v71, v71, v73, v76
	v_div_fixup_f32 v70, v71, v70, 1.0
	v_mul_f32_e32 v70, v74, v70
	v_pk_mul_f32 v[66:67], v[66:67], v[70:71] op_sel_hi:[1,0]
	v_pk_mul_f32 v[68:69], v[68:69], v[70:71] op_sel_hi:[1,0]
	v_bfe_u32 v70, v67, 16, 1
	v_bfe_u32 v71, v66, 16, 1
	s_movk_i32 s3, 0x7fff
	v_add3_u32 v66, v66, v71, s3
	v_add3_u32 v67, v67, v70, s3
	s_mov_b32 s4, 0x7060302
	v_perm_b32 v66, v67, v66, s4
	v_bfe_u32 v67, v69, 16, 1
	v_bfe_u32 v70, v68, 16, 1
	v_add3_u32 v68, v68, v70, s3
	v_add3_u32 v67, v69, v67, s3
	v_perm_b32 v67, v67, v68, s4
	s_waitcnt vmcnt(15)
	s_nop 0
	v_mfma_f32_4x4x4bf16_1k a[0:3], v[66:67], v[2:3], 0 cbsz:4
	v_mfma_f32_4x4x4bf16_1k a[0:3], v[66:67], v[4:5], a[0:3] cbsz:4 abid:1
	s_waitcnt vmcnt(14)
	v_mfma_f32_4x4x4bf16_1k a[0:3], v[66:67], v[6:7], a[0:3] cbsz:4 abid:2
	v_mfma_f32_4x4x4bf16_1k a[0:3], v[66:67], v[8:9], a[0:3] cbsz:4 abid:3
	s_waitcnt vmcnt(13)
	v_mfma_f32_4x4x4bf16_1k a[0:3], v[66:67], v[10:11], a[0:3] cbsz:4 abid:4
	;; [unrolled: 3-line block ×6, first 2 shown]
	v_mfma_f32_4x4x4bf16_1k a[4:7], v[66:67], v[26:27], 0 cbsz:4
	v_mfma_f32_4x4x4bf16_1k a[0:3], v[66:67], v[40:41], a[0:3] cbsz:4 abid:13
	v_mfma_f32_4x4x4bf16_1k a[4:7], v[66:67], v[28:29], a[4:7] cbsz:4 abid:1
	s_waitcnt vmcnt(4)
	v_mfma_f32_4x4x4bf16_1k a[0:3], v[66:67], v[42:43], a[0:3] cbsz:4 abid:14
	v_mfma_f32_4x4x4bf16_1k a[4:7], v[66:67], v[18:19], a[4:7] cbsz:4 abid:2
	;; [unrolled: 1-line block ×3, first 2 shown]
	s_nop 4
	v_accvgpr_read_b32 v3, a2
	v_accvgpr_read_b32 v4, a3
	;; [unrolled: 1-line block ×4, first 2 shown]
	v_mfma_f32_4x4x4bf16_1k a[0:3], v[66:67], v[20:21], a[4:7] cbsz:4 abid:3
	v_bfe_u32 v6, v5, 16, 1
	v_mfma_f32_4x4x4bf16_1k a[0:3], v[66:67], v[22:23], a[0:3] cbsz:4 abid:4
	v_bfe_u32 v7, v2, 16, 1
	v_mfma_f32_4x4x4bf16_1k a[0:3], v[66:67], v[24:25], a[0:3] cbsz:4 abid:5
	v_add3_u32 v2, v2, v7, s3
	v_mfma_f32_4x4x4bf16_1k a[0:3], v[66:67], v[30:31], a[0:3] cbsz:4 abid:6
	v_add3_u32 v5, v5, v6, s3
	v_mfma_f32_4x4x4bf16_1k a[0:3], v[66:67], v[32:33], a[0:3] cbsz:4 abid:7
	v_perm_b32 v2, v5, v2, s4
	s_waitcnt vmcnt(3)
	v_mfma_f32_4x4x4bf16_1k a[0:3], v[66:67], v[50:51], a[0:3] cbsz:4 abid:8
	v_bfe_u32 v5, v4, 16, 1
	v_mfma_f32_4x4x4bf16_1k a[0:3], v[66:67], v[52:53], a[0:3] cbsz:4 abid:9
	v_bfe_u32 v6, v3, 16, 1
	s_waitcnt vmcnt(2)
	v_mfma_f32_4x4x4bf16_1k a[0:3], v[66:67], v[54:55], a[0:3] cbsz:4 abid:10
	v_add3_u32 v3, v3, v6, s3
	v_mfma_f32_4x4x4bf16_1k a[0:3], v[66:67], v[56:57], a[0:3] cbsz:4 abid:11
	v_add3_u32 v4, v4, v5, s3
	s_waitcnt vmcnt(1)
	v_mfma_f32_4x4x4bf16_1k a[0:3], v[66:67], v[58:59], a[0:3] cbsz:4 abid:12
	v_perm_b32 v3, v4, v3, s4
	v_mfma_f32_4x4x4bf16_1k a[0:3], v[66:67], v[60:61], a[0:3] cbsz:4 abid:13
	v_mad_u32_u24 v4, v1, 40, v72
	s_waitcnt vmcnt(0)
	v_mfma_f32_4x4x4bf16_1k a[0:3], v[66:67], v[62:63], a[0:3] cbsz:4 abid:14
	ds_write_b64 v4, v[2:3]
	v_mfma_f32_4x4x4bf16_1k a[0:3], v[66:67], v[64:65], a[0:3] cbsz:4 abid:15
	s_nop 4
	v_accvgpr_read_b32 v4, a0
	v_accvgpr_read_b32 v5, a1
	;; [unrolled: 1-line block ×4, first 2 shown]
	v_bfe_u32 v6, v5, 16, 1
	v_bfe_u32 v7, v4, 16, 1
	v_add3_u32 v4, v4, v7, s3
	v_add3_u32 v5, v5, v6, s3
	v_bfe_u32 v6, v3, 16, 1
	v_bfe_u32 v7, v2, 16, 1
	v_add3_u32 v2, v2, v7, s3
	v_add3_u32 v3, v3, v6, s3
	v_perm_b32 v71, v3, v2, s4
	v_perm_b32 v70, v5, v4, s4
.LBB345_25:
	s_or_b64 exec, exec, s[0:1]
	s_waitcnt vmcnt(15)
	v_mad_u32_u24 v2, v1, 40, v72
	v_cmp_gt_u32_e32 vcc, 64, v0
	ds_write_b64 v2, v[70:71] offset:2560
	s_waitcnt lgkmcnt(0)
	s_barrier
	s_and_saveexec_b64 s[0:1], vcc
	s_cbranch_execz .LBB345_27
; %bb.26:
	s_waitcnt vmcnt(14)
	v_mul_u32_u24_e32 v6, 40, v1
	ds_read2_b64 v[2:5], v6 offset1:1
	ds_read2_b64 v[6:9], v6 offset0:2 offset1:3
	s_mov_b32 s1, 0
	s_lshl_b32 s0, s2, 7
	s_lshl_b64 s[2:3], s[0:1], 1
	s_waitcnt lgkmcnt(1)
	v_and_b32_e32 v3, 0xffff0000, v2
	v_add_f32_e32 v3, 0, v3
	v_and_b32_e32 v5, 0xffff0000, v4
	v_and_b32_e32 v3, 0xffff0000, v3
	v_add_f32_e32 v3, v3, v5
	s_waitcnt lgkmcnt(0)
	v_and_b32_e32 v7, 0xffff0000, v6
	v_and_b32_e32 v3, 0xffff0000, v3
	v_add_f32_e32 v3, v3, v7
	v_mov_b32_e32 v7, 0xa00
	v_mad_u32_u24 v7, v1, 40, v7
	s_waitcnt vmcnt(13)
	ds_read2_b64 v[10:13], v7 offset1:1
	v_and_b32_e32 v3, 0xffff0000, v3
	v_and_b32_e32 v5, 0xffff0000, v8
	v_add_f32_e32 v7, v3, v5
	v_mov_b32_e32 v3, 0xa10
	v_mad_u32_u24 v1, v1, 40, v3
	s_waitcnt vmcnt(12)
	ds_read2_b64 v[14:17], v1 offset1:1
	s_waitcnt lgkmcnt(1)
	v_lshlrev_b32_e32 v1, 16, v10
	v_add_f32_e32 v1, 0, v1
	v_and_b32_e32 v3, 0xffff0000, v10
	v_and_b32_e32 v1, 0xffff0000, v1
	v_add_f32_e32 v3, 0, v3
	v_lshlrev_b32_e32 v5, 16, v12
	v_and_b32_e32 v3, 0xffff0000, v3
	v_add_f32_e32 v1, v1, v5
	v_and_b32_e32 v5, 0xffff0000, v12
	v_and_b32_e32 v1, 0xffff0000, v1
	v_add_f32_e32 v3, v3, v5
	s_waitcnt lgkmcnt(0)
	v_lshlrev_b32_e32 v5, 16, v14
	v_and_b32_e32 v3, 0xffff0000, v3
	v_add_f32_e32 v1, v1, v5
	v_and_b32_e32 v5, 0xffff0000, v14
	v_and_b32_e32 v1, 0xffff0000, v1
	v_add_f32_e32 v3, v3, v5
	v_lshlrev_b32_e32 v5, 16, v16
	v_and_b32_e32 v3, 0xffff0000, v3
	v_add_f32_e32 v9, v1, v5
	v_and_b32_e32 v1, 0xffff0000, v16
	v_add_f32_e32 v10, v3, v1
	v_lshlrev_b32_e32 v1, 16, v2
	s_add_u32 s2, s20, s2
	v_add_f32_e32 v1, 0, v1
	s_addc_u32 s3, s21, s3
	s_lshl_b32 s0, s10, 7
	v_and_b32_e32 v1, 0xffff0000, v1
	v_lshlrev_b32_e32 v2, 16, v4
	s_lshl_b64 s[0:1], s[0:1], 1
	v_add_f32_e32 v1, v1, v2
	s_add_u32 s0, s2, s0
	v_and_b32_e32 v1, 0xffff0000, v1
	v_lshlrev_b32_e32 v2, 16, v6
	s_addc_u32 s1, s3, s1
	s_lshl_b32 s2, s33, 7
	v_add_f32_e32 v1, v1, v2
	v_and_b32_e32 v1, 0xffff0000, v1
	v_lshlrev_b32_e32 v2, 16, v8
	s_mul_i32 s3, s2, s7
	v_add_f32_e32 v1, v1, v2
	v_or_b32_e32 v2, s3, v0
	v_mov_b32_e32 v3, 0
	v_lshlrev_b64 v[4:5], 1, v[2:3]
	v_mov_b32_e32 v2, s1
	v_add_co_u32_e32 v4, vcc, s0, v4
	s_add_i32 s3, s3, s2
	v_addc_co_u32_e32 v5, vcc, v2, v5, vcc
	v_or_b32_e32 v2, s3, v0
	global_store_short_d16_hi v[4:5], v1, off
	v_lshlrev_b64 v[0:1], 1, v[2:3]
	v_mov_b32_e32 v2, s1
	v_add_co_u32_e32 v0, vcc, s0, v0
	v_addc_co_u32_e32 v1, vcc, v2, v1, vcc
	global_store_short_d16_hi v[0:1], v7, off
	global_store_short_d16_hi v[4:5], v9, off offset:128
	global_store_short_d16_hi v[0:1], v10, off offset:128
.LBB345_27:
	s_endpgm
	.section	.rodata,"a",@progbits
	.p2align	6, 0x0
	.amdhsa_kernel _Z38paged_attention_ll4mi_QKV_mfma4_kernelI14__hip_bfloat16S0_LN4vllm18Fp8KVCacheDataTypeE0ES0_Li32ELi128ELi256ELb1ELi2EEvPKT_PKT0_S8_ifPKiSA_SA_iPKfiiiPfSD_PS3_PT2_iSC_SC_
		.amdhsa_group_segment_fixed_size 5280
		.amdhsa_private_segment_fixed_size 0
		.amdhsa_kernarg_size 400
		.amdhsa_user_sgpr_count 6
		.amdhsa_user_sgpr_private_segment_buffer 1
		.amdhsa_user_sgpr_dispatch_ptr 0
		.amdhsa_user_sgpr_queue_ptr 0
		.amdhsa_user_sgpr_kernarg_segment_ptr 1
		.amdhsa_user_sgpr_dispatch_id 0
		.amdhsa_user_sgpr_flat_scratch_init 0
		.amdhsa_user_sgpr_kernarg_preload_length 0
		.amdhsa_user_sgpr_kernarg_preload_offset 0
		.amdhsa_user_sgpr_private_segment_size 0
		.amdhsa_uses_dynamic_stack 0
		.amdhsa_system_sgpr_private_segment_wavefront_offset 0
		.amdhsa_system_sgpr_workgroup_id_x 1
		.amdhsa_system_sgpr_workgroup_id_y 1
		.amdhsa_system_sgpr_workgroup_id_z 1
		.amdhsa_system_sgpr_workgroup_info 0
		.amdhsa_system_vgpr_workitem_id 0
		.amdhsa_next_free_vgpr 92
		.amdhsa_next_free_sgpr 38
		.amdhsa_accum_offset 84
		.amdhsa_reserve_vcc 1
		.amdhsa_reserve_flat_scratch 0
		.amdhsa_float_round_mode_32 0
		.amdhsa_float_round_mode_16_64 0
		.amdhsa_float_denorm_mode_32 3
		.amdhsa_float_denorm_mode_16_64 3
		.amdhsa_dx10_clamp 1
		.amdhsa_ieee_mode 1
		.amdhsa_fp16_overflow 0
		.amdhsa_tg_split 0
		.amdhsa_exception_fp_ieee_invalid_op 0
		.amdhsa_exception_fp_denorm_src 0
		.amdhsa_exception_fp_ieee_div_zero 0
		.amdhsa_exception_fp_ieee_overflow 0
		.amdhsa_exception_fp_ieee_underflow 0
		.amdhsa_exception_fp_ieee_inexact 0
		.amdhsa_exception_int_div_zero 0
	.end_amdhsa_kernel
	.section	.text._Z38paged_attention_ll4mi_QKV_mfma4_kernelI14__hip_bfloat16S0_LN4vllm18Fp8KVCacheDataTypeE0ES0_Li32ELi128ELi256ELb1ELi2EEvPKT_PKT0_S8_ifPKiSA_SA_iPKfiiiPfSD_PS3_PT2_iSC_SC_,"axG",@progbits,_Z38paged_attention_ll4mi_QKV_mfma4_kernelI14__hip_bfloat16S0_LN4vllm18Fp8KVCacheDataTypeE0ES0_Li32ELi128ELi256ELb1ELi2EEvPKT_PKT0_S8_ifPKiSA_SA_iPKfiiiPfSD_PS3_PT2_iSC_SC_,comdat
.Lfunc_end345:
	.size	_Z38paged_attention_ll4mi_QKV_mfma4_kernelI14__hip_bfloat16S0_LN4vllm18Fp8KVCacheDataTypeE0ES0_Li32ELi128ELi256ELb1ELi2EEvPKT_PKT0_S8_ifPKiSA_SA_iPKfiiiPfSD_PS3_PT2_iSC_SC_, .Lfunc_end345-_Z38paged_attention_ll4mi_QKV_mfma4_kernelI14__hip_bfloat16S0_LN4vllm18Fp8KVCacheDataTypeE0ES0_Li32ELi128ELi256ELb1ELi2EEvPKT_PKT0_S8_ifPKiSA_SA_iPKfiiiPfSD_PS3_PT2_iSC_SC_
                                        ; -- End function
	.section	.AMDGPU.csdata,"",@progbits
; Kernel info:
; codeLenInByte = 4340
; NumSgprs: 42
; NumVgprs: 83
; NumAgprs: 8
; TotalNumVgprs: 92
; ScratchSize: 0
; MemoryBound: 0
; FloatMode: 240
; IeeeMode: 1
; LDSByteSize: 5280 bytes/workgroup (compile time only)
; SGPRBlocks: 5
; VGPRBlocks: 11
; NumSGPRsForWavesPerEU: 42
; NumVGPRsForWavesPerEU: 92
; AccumOffset: 84
; Occupancy: 5
; WaveLimiterHint : 1
; COMPUTE_PGM_RSRC2:SCRATCH_EN: 0
; COMPUTE_PGM_RSRC2:USER_SGPR: 6
; COMPUTE_PGM_RSRC2:TRAP_HANDLER: 0
; COMPUTE_PGM_RSRC2:TGID_X_EN: 1
; COMPUTE_PGM_RSRC2:TGID_Y_EN: 1
; COMPUTE_PGM_RSRC2:TGID_Z_EN: 1
; COMPUTE_PGM_RSRC2:TIDIG_COMP_CNT: 0
; COMPUTE_PGM_RSRC3_GFX90A:ACCUM_OFFSET: 20
; COMPUTE_PGM_RSRC3_GFX90A:TG_SPLIT: 0
	.section	.text._Z38paged_attention_ll4mi_QKV_mfma4_kernelI14__hip_bfloat16S0_LN4vllm18Fp8KVCacheDataTypeE0ES0_Li32ELi128ELi256ELb1ELi3EEvPKT_PKT0_S8_ifPKiSA_SA_iPKfiiiPfSD_PS3_PT2_iSC_SC_,"axG",@progbits,_Z38paged_attention_ll4mi_QKV_mfma4_kernelI14__hip_bfloat16S0_LN4vllm18Fp8KVCacheDataTypeE0ES0_Li32ELi128ELi256ELb1ELi3EEvPKT_PKT0_S8_ifPKiSA_SA_iPKfiiiPfSD_PS3_PT2_iSC_SC_,comdat
	.protected	_Z38paged_attention_ll4mi_QKV_mfma4_kernelI14__hip_bfloat16S0_LN4vllm18Fp8KVCacheDataTypeE0ES0_Li32ELi128ELi256ELb1ELi3EEvPKT_PKT0_S8_ifPKiSA_SA_iPKfiiiPfSD_PS3_PT2_iSC_SC_ ; -- Begin function _Z38paged_attention_ll4mi_QKV_mfma4_kernelI14__hip_bfloat16S0_LN4vllm18Fp8KVCacheDataTypeE0ES0_Li32ELi128ELi256ELb1ELi3EEvPKT_PKT0_S8_ifPKiSA_SA_iPKfiiiPfSD_PS3_PT2_iSC_SC_
	.globl	_Z38paged_attention_ll4mi_QKV_mfma4_kernelI14__hip_bfloat16S0_LN4vllm18Fp8KVCacheDataTypeE0ES0_Li32ELi128ELi256ELb1ELi3EEvPKT_PKT0_S8_ifPKiSA_SA_iPKfiiiPfSD_PS3_PT2_iSC_SC_
	.p2align	8
	.type	_Z38paged_attention_ll4mi_QKV_mfma4_kernelI14__hip_bfloat16S0_LN4vllm18Fp8KVCacheDataTypeE0ES0_Li32ELi128ELi256ELb1ELi3EEvPKT_PKT0_S8_ifPKiSA_SA_iPKfiiiPfSD_PS3_PT2_iSC_SC_,@function
_Z38paged_attention_ll4mi_QKV_mfma4_kernelI14__hip_bfloat16S0_LN4vllm18Fp8KVCacheDataTypeE0ES0_Li32ELi128ELi256ELb1ELi3EEvPKT_PKT0_S8_ifPKiSA_SA_iPKfiiiPfSD_PS3_PT2_iSC_SC_: ; @_Z38paged_attention_ll4mi_QKV_mfma4_kernelI14__hip_bfloat16S0_LN4vllm18Fp8KVCacheDataTypeE0ES0_Li32ELi128ELi256ELb1ELi3EEvPKT_PKT0_S8_ifPKiSA_SA_iPKfiiiPfSD_PS3_PT2_iSC_SC_
; %bb.0:
	s_load_dwordx2 s[2:3], s[4:5], 0x30
	s_mov_b32 s10, s7
	s_mov_b64 s[0:1], 0
	s_waitcnt lgkmcnt(0)
	s_cmp_lg_u64 s[2:3], 0
	s_cselect_b64 s[16:17], -1, 0
	s_and_b64 vcc, exec, s[16:17]
	s_cbranch_vccz .LBB346_10
; %bb.1:
	s_add_i32 s12, s6, 1
	s_mov_b32 s13, 0
	s_lshl_b64 s[14:15], s[12:13], 2
	s_add_u32 s14, s2, s14
	s_mov_b32 s7, s13
	s_addc_u32 s15, s3, s15
	s_lshl_b64 s[12:13], s[6:7], 2
	s_add_u32 s12, s2, s12
	s_addc_u32 s13, s3, s13
	s_load_dword s9, s[14:15], 0x0
	s_load_dword s11, s[12:13], 0x0
	s_waitcnt lgkmcnt(0)
	s_sub_i32 s9, s9, s11
	s_cmp_eq_u32 s9, 1
	s_cselect_b64 s[12:13], -1, 0
	s_andn2_b64 vcc, exec, s[0:1]
	s_cbranch_vccnz .LBB346_3
.LBB346_2:
	s_mov_b32 s7, 0
	s_mov_b64 s[12:13], -1
.LBB346_3:
	s_andn2_b64 vcc, exec, s[12:13]
	s_cbranch_vccnz .LBB346_27
; %bb.4:
	s_load_dword s9, s[4:5], 0x9c
	s_load_dwordx2 s[0:1], s[4:5], 0x28
	s_add_u32 s22, s4, 0x90
	s_addc_u32 s23, s5, 0
	s_lshl_b64 s[18:19], s[6:7], 2
	s_waitcnt lgkmcnt(0)
	s_and_b32 s9, s9, 0xffff
	s_add_u32 s0, s0, s18
	s_addc_u32 s1, s1, s19
	s_load_dword s11, s[0:1], 0x0
	s_mul_i32 s9, s10, s9
	s_waitcnt lgkmcnt(0)
	s_cmp_ge_i32 s9, s11
	s_cbranch_scc1 .LBB346_27
; %bb.5:
	v_and_b32_e32 v1, 0xc0, v0
	v_add_u32_e32 v2, s9, v1
	v_lshrrev_b32_e32 v78, 6, v0
	v_cmp_le_i32_e64 s[0:1], s11, v2
                                        ; implicit-def: $sgpr27
                                        ; implicit-def: $sgpr26
	s_and_saveexec_b64 s[12:13], s[0:1]
	s_xor_b64 s[12:13], exec, s[12:13]
	s_cbranch_execz .LBB346_7
; %bb.6:
	v_mul_u32_u24_e32 v1, 20, v78
	v_or_b32_e32 v1, 0x1400, v1
	v_mov_b32_e32 v2, 0x1450
	v_mov_b32_e32 v3, 0xff7fffff
	v_mad_u32_u24 v2, v78, 20, v2
	ds_write2_b32 v1, v3, v3 offset1:1
	v_mov_b32_e32 v1, 0
	ds_write2_b32 v2, v1, v1 offset1:1
	v_mov_b32_e32 v2, 0x1408
	s_mov_b32 s26, 0xff7fffff
	s_mov_b32 s27, 0
	v_mad_u32_u24 v2, v78, 20, v2
	v_mov_b32_e32 v4, 0x1458
	v_mad_u32_u24 v4, v78, 20, v4
	ds_write2_b32 v2, v3, v3 offset1:1
	ds_write2_b32 v4, v1, v1 offset1:1
                                        ; implicit-def: $vgpr2
.LBB346_7:
	s_or_saveexec_b64 s[24:25], s[12:13]
	s_load_dwordx2 s[20:21], s[4:5], 0x68
	s_load_dwordx4 s[12:15], s[4:5], 0x58
	s_load_dword s33, s[22:23], 0x4
	v_and_b32_e32 v1, 63, v0
	v_and_b32_e32 v79, 3, v0
	s_mul_i32 s7, s8, 3
	v_mov_b32_e32 v69, s27
	v_mov_b32_e32 v72, s26
	v_mov_b32_e32 v68, s27
	v_mov_b32_e32 v67, s27
	v_mov_b32_e32 v66, s27
                                        ; implicit-def: $vgpr3
                                        ; implicit-def: $vgpr7
                                        ; implicit-def: $vgpr11
                                        ; implicit-def: $vgpr15
                                        ; implicit-def: $vgpr47
                                        ; implicit-def: $vgpr35
                                        ; implicit-def: $vgpr39
                                        ; implicit-def: $vgpr43
                                        ; implicit-def: $vgpr27
                                        ; implicit-def: $vgpr19
                                        ; implicit-def: $vgpr23
                                        ; implicit-def: $vgpr31
                                        ; implicit-def: $vgpr51
                                        ; implicit-def: $vgpr55
                                        ; implicit-def: $vgpr59
                                        ; implicit-def: $vgpr63
	s_xor_b64 exec, exec, s[24:25]
	s_cbranch_execz .LBB346_19
; %bb.8:
	s_add_i32 s29, s11, 31
	s_load_dwordx2 s[26:27], s[4:5], 0x20
	s_load_dword s28, s[4:5], 0x38
	s_ashr_i32 s30, s29, 31
	s_lshr_b32 s30, s30, 27
	v_add_u32_e32 v80, s9, v0
	s_add_i32 s29, s29, s30
	v_ashrrev_i32_e32 v3, 31, v80
	s_ashr_i32 s29, s29, 5
	v_lshrrev_b32_e32 v3, 27, v3
	s_add_i32 s30, s29, -1
	v_add_u32_e32 v3, v80, v3
	s_waitcnt lgkmcnt(0)
	s_mul_i32 s28, s6, s28
	s_mov_b32 s29, 0
	v_ashrrev_i32_e32 v3, 5, v3
	v_mov_b32_e32 v4, s30
	v_cmp_gt_i32_e32 vcc, s11, v80
	s_lshl_b64 s[28:29], s[28:29], 2
	v_cndmask_b32_e32 v4, v4, v3, vcc
	s_add_u32 s26, s26, s28
	v_ashrrev_i32_e32 v5, 31, v4
	s_addc_u32 s27, s27, s29
	v_lshlrev_b64 v[4:5], 2, v[4:5]
	v_mov_b32_e32 v3, s27
	v_add_co_u32_e32 v4, vcc, s26, v4
	v_addc_co_u32_e32 v5, vcc, v3, v5, vcc
	v_ashrrev_i32_e32 v3, 31, v2
	v_lshrrev_b32_e32 v3, 27, v3
	v_add_u32_e32 v2, v2, v3
	v_ashrrev_i32_e32 v6, 5, v2
	v_min_i32_e32 v2, s30, v6
	v_ashrrev_i32_e32 v3, 31, v2
	v_lshlrev_b64 v[2:3], 2, v[2:3]
	v_add_co_u32_e32 v8, vcc, s26, v2
	v_add_u32_e32 v2, 1, v6
	v_mov_b32_e32 v7, s27
	v_min_i32_e32 v2, s30, v2
	v_addc_co_u32_e32 v9, vcc, v7, v3, vcc
	v_ashrrev_i32_e32 v3, 31, v2
	v_lshlrev_b64 v[2:3], 2, v[2:3]
	v_mov_b32_e32 v6, s27
	v_add_co_u32_e32 v10, vcc, s26, v2
	v_addc_co_u32_e32 v11, vcc, v6, v3, vcc
	global_load_dword v2, v[4:5], off
	global_load_dword v6, v[8:9], off
	;; [unrolled: 1-line block ×3, first 2 shown]
	s_load_dwordx2 s[28:29], s[4:5], 0x8
	s_andn2_b64 vcc, exec, s[16:17]
	s_cbranch_vccnz .LBB346_11
; %bb.9:
	s_add_u32 s2, s2, s18
	s_addc_u32 s3, s3, s19
	s_load_dword s2, s[2:3], 0x0
	s_branch .LBB346_12
.LBB346_10:
	s_mov_b64 s[12:13], 0
	s_branch .LBB346_2
.LBB346_11:
	s_mov_b32 s2, s6
.LBB346_12:
	s_load_dwordx2 s[26:27], s[4:5], 0x10
	s_load_dwordx4 s[16:19], s[4:5], 0x48
	v_cmp_ne_u32_e32 vcc, 3, v79
	s_mov_b32 s3, 0
	v_mov_b32_e32 v76, 0
	v_mov_b32_e32 v56, 0
	;; [unrolled: 1-line block ×5, first 2 shown]
	s_and_saveexec_b64 s[30:31], vcc
	s_cbranch_execz .LBB346_14
; %bb.13:
	s_load_dwordx2 s[34:35], s[4:5], 0x0
	s_waitcnt lgkmcnt(0)
	s_ashr_i32 s9, s16, 31
	s_mul_hi_u32 s19, s2, s16
	s_mul_i32 s9, s2, s9
	s_add_i32 s37, s19, s9
	s_mul_i32 s36, s2, s16
	s_lshl_b64 s[36:37], s[36:37], 1
	s_add_u32 s9, s34, s36
	s_mul_i32 s2, s8, 0x180
	s_addc_u32 s16, s35, s37
	s_lshl_b64 s[34:35], s[2:3], 1
	v_lshlrev_b32_e32 v3, 2, v1
	s_add_u32 s34, s9, s34
	v_and_b32_e32 v3, 0xf0, v3
	s_addc_u32 s35, s16, s35
	v_lshl_or_b32 v3, v79, 8, v3
	global_load_dwordx4 v[56:59], v3, s[34:35]
.LBB346_14:
	s_or_b64 exec, exec, s[30:31]
	s_waitcnt lgkmcnt(0)
	s_mul_i32 s2, s8, s18
	s_lshl_b64 s[8:9], s[2:3], 1
	s_waitcnt vmcnt(2)
	v_mad_i64_i32 v[2:3], s[30:31], v2, s17, 0
	s_add_u32 s2, s8, s28
	v_lshlrev_b64 v[2:3], 1, v[2:3]
	s_addc_u32 s3, s9, s29
	v_mov_b32_e32 v4, s3
	v_add_co_u32_e64 v7, s[2:3], s2, v2
	v_and_b32_e32 v2, 31, v0
	v_addc_co_u32_e64 v55, s[2:3], v4, v3, s[2:3]
	v_lshlrev_b32_e32 v62, 4, v2
	v_add_co_u32_e64 v16, s[2:3], v7, v62
	v_addc_co_u32_e64 v17, s[2:3], 0, v55, s[2:3]
	global_load_dwordx4 v[72:75], v[16:17], off
	global_load_dwordx4 v[68:71], v[16:17], off offset:512
	global_load_dwordx4 v[30:33], v[16:17], off offset:1024
	;; [unrolled: 1-line block ×7, first 2 shown]
	v_or_b32_e32 v16, 0x1000, v62
	v_add_co_u32_e64 v16, s[2:3], v7, v16
	v_addc_co_u32_e64 v17, s[2:3], 0, v55, s[2:3]
	v_or_b32_e32 v22, 0x1200, v62
	v_add_co_u32_e64 v38, s[2:3], v7, v22
	v_addc_co_u32_e64 v39, s[2:3], 0, v55, s[2:3]
	global_load_dwordx4 v[22:25], v[16:17], off
	global_load_dwordx4 v[34:37], v[38:39], off
	v_or_b32_e32 v16, 0x1400, v62
	v_add_co_u32_e64 v16, s[2:3], v7, v16
	v_addc_co_u32_e64 v17, s[2:3], 0, v55, s[2:3]
	v_or_b32_e32 v38, 0x1600, v62
	v_add_co_u32_e64 v46, s[2:3], v7, v38
	v_addc_co_u32_e64 v47, s[2:3], 0, v55, s[2:3]
	global_load_dwordx4 v[42:45], v[16:17], off
	global_load_dwordx4 v[38:41], v[46:47], off
	;; [unrolled: 8-line block ×3, first 2 shown]
	v_or_b32_e32 v16, 0x1c00, v62
	v_add_co_u32_e64 v16, s[2:3], v7, v16
	v_mov_b32_e32 v60, 0x1e00
	v_addc_co_u32_e64 v17, s[2:3], 0, v55, s[2:3]
	v_lshl_or_b32 v60, v0, 4, v60
	v_add_co_u32_e64 v82, s[2:3], v7, v60
	v_addc_co_u32_e64 v83, s[2:3], 0, v55, s[2:3]
	global_load_dwordx4 v[64:67], v[16:17], off
	global_load_dwordx4 v[60:63], v[82:83], off
	v_mov_b32_e32 v77, 1.0
	s_and_saveexec_b64 s[2:3], vcc
	s_cbranch_execz .LBB346_16
; %bb.15:
	s_load_dwordx2 s[18:19], s[4:5], 0x40
	v_add_u32_e32 v76, s7, v79
	v_mov_b32_e32 v77, 0
	v_lshlrev_b64 v[16:17], 2, v[76:77]
	s_waitcnt lgkmcnt(0)
	v_mov_b32_e32 v7, s19
	v_add_co_u32_e32 v16, vcc, s18, v16
	v_addc_co_u32_e32 v17, vcc, v7, v17, vcc
	global_load_dword v76, v[16:17], off
.LBB346_16:
	s_or_b64 exec, exec, s[2:3]
	s_waitcnt vmcnt(15)
	v_mfma_f32_4x4x4bf16_1k a[0:3], v[56:57], v[72:73], 0 cbsz:4
	v_mul_hi_i32 v7, v6, s17
	v_mfma_f32_4x4x4bf16_1k a[0:3], v[58:59], v[74:75], a[0:3] cbsz:4
	v_ashrrev_i32_e32 v7, 31, v7
	s_waitcnt vmcnt(14)
	v_mfma_f32_4x4x4bf16_1k a[0:3], v[56:57], v[68:69], a[0:3] cbsz:4 abid:1
	v_lshrrev_b32_e32 v68, 29, v7
	v_mfma_f32_4x4x4bf16_1k a[0:3], v[58:59], v[70:71], a[0:3] cbsz:4 abid:1
	v_mov_b32_e32 v69, 0
	s_waitcnt vmcnt(13)
	v_mfma_f32_4x4x4bf16_1k a[0:3], v[56:57], v[30:31], a[0:3] cbsz:4 abid:2
	s_load_dword s2, s[4:5], 0x1c
	v_mfma_f32_4x4x4bf16_1k a[0:3], v[58:59], v[32:33], a[0:3] cbsz:4 abid:2
	v_mad_i64_i32 v[6:7], s[4:5], v6, s17, v[68:69]
	s_waitcnt vmcnt(12)
	v_mfma_f32_4x4x4bf16_1k a[0:3], v[56:57], v[26:27], a[0:3] cbsz:4 abid:3
	s_add_u32 s3, s26, s8
	v_mfma_f32_4x4x4bf16_1k a[0:3], v[58:59], v[28:29], a[0:3] cbsz:4 abid:3
	v_lshlrev_b64 v[6:7], 1, v[6:7]
	s_waitcnt vmcnt(11)
	v_mfma_f32_4x4x4bf16_1k a[0:3], v[56:57], v[12:13], a[0:3] cbsz:4 abid:4
	s_addc_u32 s8, s27, s9
	v_mfma_f32_4x4x4bf16_1k a[0:3], v[58:59], v[14:15], a[0:3] cbsz:4 abid:4
	v_and_b32_e32 v6, -16, v6
	s_waitcnt vmcnt(10)
	v_mfma_f32_4x4x4bf16_1k a[0:3], v[56:57], v[2:3], a[0:3] cbsz:4 abid:5
	v_mov_b32_e32 v12, s8
	v_mfma_f32_4x4x4bf16_1k a[0:3], v[58:59], v[4:5], a[0:3] cbsz:4 abid:5
	v_add_co_u32_e32 v28, vcc, s3, v6
	s_waitcnt vmcnt(9)
	v_mfma_f32_4x4x4bf16_1k a[0:3], v[56:57], v[8:9], a[0:3] cbsz:4 abid:6
	v_addc_co_u32_e32 v29, vcc, v12, v7, vcc
	v_mfma_f32_4x4x4bf16_1k a[0:3], v[58:59], v[10:11], a[0:3] cbsz:4 abid:6
	v_lshlrev_b32_e32 v55, 6, v1
	s_waitcnt vmcnt(8)
	v_mfma_f32_4x4x4bf16_1k a[0:3], v[56:57], v[18:19], a[0:3] cbsz:4 abid:7
	v_add_co_u32_e32 v26, vcc, v28, v55
	v_mfma_f32_4x4x4bf16_1k a[0:3], v[58:59], v[20:21], a[0:3] cbsz:4 abid:7
	v_addc_co_u32_e32 v27, vcc, 0, v29, vcc
	s_waitcnt vmcnt(7)
	v_mfma_f32_4x4x4bf16_1k a[0:3], v[56:57], v[22:23], a[0:3] cbsz:4 abid:8
	v_or_b32_e32 v72, 0x1000, v55
	v_mfma_f32_4x4x4bf16_1k a[0:3], v[58:59], v[24:25], a[0:3] cbsz:4 abid:8
	v_add_co_u32_e32 v70, vcc, v28, v72
	s_waitcnt vmcnt(6)
	v_mfma_f32_4x4x4bf16_1k a[0:3], v[56:57], v[34:35], a[0:3] cbsz:4 abid:9
	v_mul_hi_i32 v34, v54, s17
	v_mfma_f32_4x4x4bf16_1k a[0:3], v[58:59], v[36:37], a[0:3] cbsz:4 abid:9
	v_ashrrev_i32_e32 v34, 31, v34
	s_waitcnt vmcnt(5)
	v_mfma_f32_4x4x4bf16_1k a[0:3], v[56:57], v[42:43], a[0:3] cbsz:4 abid:10
	v_lshrrev_b32_e32 v68, 29, v34
	v_mfma_f32_4x4x4bf16_1k a[0:3], v[58:59], v[44:45], a[0:3] cbsz:4 abid:10
	v_mad_i64_i32 v[34:35], s[4:5], v54, s17, v[68:69]
	s_waitcnt vmcnt(4)
	v_mfma_f32_4x4x4bf16_1k a[0:3], v[56:57], v[38:39], a[0:3] cbsz:4 abid:11
	v_lshlrev_b64 v[34:35], 1, v[34:35]
	v_mfma_f32_4x4x4bf16_1k a[0:3], v[58:59], v[40:41], a[0:3] cbsz:4 abid:11
	v_addc_co_u32_e32 v71, vcc, 0, v29, vcc
	s_waitcnt vmcnt(3)
	v_mfma_f32_4x4x4bf16_1k a[0:3], v[56:57], v[50:51], a[0:3] cbsz:4 abid:12
	v_and_b32_e32 v34, -16, v34
	v_mfma_f32_4x4x4bf16_1k a[0:3], v[58:59], v[52:53], a[0:3] cbsz:4 abid:12
	v_mov_b32_e32 v36, s8
	s_waitcnt vmcnt(2)
	v_mfma_f32_4x4x4bf16_1k a[0:3], v[56:57], v[46:47], a[0:3] cbsz:4 abid:13
	v_add_co_u32_e32 v52, vcc, s3, v34
	v_mfma_f32_4x4x4bf16_1k a[0:3], v[58:59], v[48:49], a[0:3] cbsz:4 abid:13
	v_addc_co_u32_e32 v53, vcc, v36, v35, vcc
	s_waitcnt vmcnt(1)
	v_mfma_f32_4x4x4bf16_1k a[0:3], v[56:57], v[64:65], a[0:3] cbsz:4 abid:14
	v_add_co_u32_e32 v50, vcc, v52, v55
	v_mfma_f32_4x4x4bf16_1k a[0:3], v[58:59], v[66:67], a[0:3] cbsz:4 abid:14
	v_addc_co_u32_e32 v51, vcc, 0, v53, vcc
	;; [unrolled: 5-line block ×3, first 2 shown]
	v_cmp_eq_u32_e32 vcc, 0, v79
	global_load_dwordx4 v[2:5], v[26:27], off
	global_load_dwordx4 v[6:9], v[26:27], off offset:16
	s_nop 0
	v_accvgpr_read_b32 v61, a1
	v_accvgpr_read_b32 v60, a0
	s_waitcnt lgkmcnt(0)
	v_pk_mul_f32 v[60:61], s[2:3], v[60:61] op_sel_hi:[0,1]
	v_accvgpr_read_b32 v59, a3
	v_accvgpr_read_b32 v58, a2
	v_pk_mul_f32 v[68:69], s[2:3], v[58:59] op_sel_hi:[0,1]
	v_cndmask_b32_e64 v58, 0, 1.0, vcc
	v_cmp_eq_u32_e32 vcc, 1, v79
	global_load_dwordx4 v[10:13], v[26:27], off offset:32
	global_load_dwordx4 v[14:17], v[26:27], off offset:48
	v_mfma_f32_4x4x1f32 a[0:3], v60, v58, 0
	v_cndmask_b32_e64 v58, 0, 1.0, vcc
	v_cmp_eq_u32_e32 vcc, 2, v79
	global_load_dwordx4 v[26:29], v[70:71], off
	global_load_dwordx4 v[18:21], v[70:71], off offset:16
	v_mfma_f32_4x4x1f32 a[0:3], v61, v58, a[0:3]
	v_cndmask_b32_e64 v58, 0, 1.0, vcc
	global_load_dwordx4 v[22:25], v[70:71], off offset:32
	global_load_dwordx4 v[30:33], v[70:71], off offset:48
	global_load_dwordx4 v[46:49], v[50:51], off
	global_load_dwordx4 v[34:37], v[50:51], off offset:16
	global_load_dwordx4 v[38:41], v[50:51], off offset:32
	;; [unrolled: 1-line block ×3, first 2 shown]
	s_nop 0
	global_load_dwordx4 v[50:53], v[66:67], off
	global_load_dwordx4 v[54:57], v[66:67], off offset:16
	v_mfma_f32_4x4x1f32 a[0:3], v68, v58, a[0:3]
	global_load_dwordx4 v[58:61], v[66:67], off offset:32
	global_load_dwordx4 v[62:65], v[66:67], off offset:48
	v_and_b32_e32 v66, -4, v80
	v_subrev_u32_e32 v67, s11, v66
	v_add_u32_e32 v68, 1, v67
	v_mfma_f32_4x4x1f32 a[0:3], v69, v77, a[0:3]
	v_cvt_f32_i32_e32 v68, v68
	v_add_u32_e32 v69, 2, v67
	v_cvt_f32_i32_e32 v69, v69
	v_mov_b32_e32 v73, 0xff7fffff
	v_cmp_gt_i32_e32 vcc, s11, v66
	v_accvgpr_read_b32 v70, a0
	v_fma_f32 v68, v76, v68, v70
	v_accvgpr_read_b32 v70, a1
	v_fma_f32 v69, v76, v69, v70
	v_add_u32_e32 v70, 3, v67
	v_cvt_f32_i32_e32 v70, v70
	v_add_u32_e32 v67, 4, v67
	v_max_f32_e32 v72, 0xff7fffff, v68
	v_cvt_f32_i32_e32 v67, v67
	v_cndmask_b32_e32 v72, v73, v72, vcc
	v_or_b32_e32 v73, 1, v66
	v_accvgpr_read_b32 v71, a2
	v_max_f32_e32 v74, v72, v69
	v_cmp_gt_i32_e64 s[2:3], s11, v73
	v_fma_f32 v70, v76, v70, v71
	v_cndmask_b32_e64 v72, v72, v74, s[2:3]
	v_or_b32_e32 v66, 2, v66
	v_accvgpr_read_b32 v71, a3
	v_max_f32_e32 v73, v72, v70
	v_cmp_gt_i32_e64 s[4:5], s11, v66
	v_fmac_f32_e32 v71, v76, v67
	v_cndmask_b32_e64 v66, v72, v73, s[4:5]
	v_or_b32_e32 v72, 3, v80
	v_max_f32_e32 v73, v66, v71
	v_cmp_gt_i32_e64 s[8:9], s11, v72
	v_lshlrev_b32_e32 v67, 2, v0
	v_cndmask_b32_e64 v66, v66, v73, s[8:9]
	v_and_or_b32 v67, v67, 48, v79
	;;#ASMSTART
	v_nop
 v_nop
 v_max_f32_dpp v66, v66, v66 row_ror:4
	;;#ASMEND
	v_lshlrev_b32_e32 v73, 2, v67
	;;#ASMSTART
	v_nop
 v_nop
 v_max_f32_dpp v66, v66, v66 row_ror:8
	;;#ASMEND
	ds_bpermute_b32 v66, v73, v66
	s_waitcnt lgkmcnt(0)
	;;#ASMSTART
	v_nop
 v_nop
 v_max_f32_dpp v66, v66, v66 row_ror:4
	;;#ASMEND
	;;#ASMSTART
	v_nop
 v_nop
 v_max_f32_dpp v72, v66, v66 row_ror:8
	;;#ASMEND
	v_sub_f32_e32 v66, v68, v72
	v_mul_f32_e32 v66, 0x3fb8aa3b, v66
	v_sub_f32_e32 v67, v69, v72
	v_exp_f32_e32 v66, v66
	v_mul_f32_e32 v67, 0x3fb8aa3b, v67
	v_sub_f32_e32 v69, v70, v72
	v_exp_f32_e32 v67, v67
	;; [unrolled: 3-line block ×3, first 2 shown]
	v_mul_f32_e32 v70, 0x3fb8aa3b, v70
	v_exp_f32_e32 v70, v70
	v_cndmask_b32_e32 v66, 0, v66, vcc
	v_add_f32_e32 v68, 0, v66
	v_cndmask_b32_e64 v67, 0, v67, s[2:3]
	v_add_f32_e32 v71, v68, v67
	v_cndmask_b32_e64 v68, 0, v69, s[4:5]
	;; [unrolled: 2-line block ×3, first 2 shown]
	v_add_f32_e32 v70, v71, v69
	;;#ASMSTART
	v_nop
 v_nop
 v_add_f32_dpp v70, v70, v70 row_ror:4
	;;#ASMEND
	;;#ASMSTART
	v_nop
 v_nop
 v_add_f32_dpp v70, v70, v70 row_ror:8
	;;#ASMEND
	ds_bpermute_b32 v70, v73, v70
	s_waitcnt lgkmcnt(0)
	;;#ASMSTART
	v_nop
 v_nop
 v_add_f32_dpp v70, v70, v70 row_ror:4
	;;#ASMEND
	v_cmp_gt_u32_e32 vcc, 4, v1
	;;#ASMSTART
	v_nop
 v_nop
 v_add_f32_dpp v70, v70, v70 row_ror:8
	;;#ASMEND
	s_and_saveexec_b64 s[2:3], vcc
	s_cbranch_execz .LBB346_18
; %bb.17:
	v_mul_u32_u24_e32 v71, 20, v78
	v_lshl_add_u32 v71, v79, 2, v71
	v_add_u32_e32 v71, 0x1400, v71
	ds_write2_b32 v71, v72, v70 offset1:20
.LBB346_18:
	s_or_b64 exec, exec, s[2:3]
.LBB346_19:
	s_or_b64 exec, exec, s[24:25]
	s_waitcnt lgkmcnt(0)
	s_barrier
	s_load_dword s2, s[22:23], 0x8
	v_lshlrev_b32_e32 v70, 2, v79
	v_add_u32_e32 v73, 0x1400, v70
	ds_read2_b32 v[70:71], v73 offset1:5
	ds_read2_b32 v[76:77], v73 offset0:10 offset1:15
	s_mul_i32 s3, s6, s33
	s_waitcnt lgkmcnt(0)
	s_mul_i32 s2, s3, s2
	s_mov_b32 s3, 0xff7fffff
	v_max3_f32 v74, v70, s3, v71
	v_max3_f32 v74, v74, v76, v77
	v_sub_f32_e32 v70, v70, v74
	v_mul_f32_e32 v70, 0x3fb8aa3b, v70
	v_exp_f32_e32 v75, v70
	v_sub_f32_e32 v70, v71, v74
	ds_read2_b32 v[80:81], v73 offset0:20 offset1:25
	v_mul_f32_e32 v70, 0x3fb8aa3b, v70
	v_exp_f32_e32 v82, v70
	ds_read2_b32 v[70:71], v73 offset0:30 offset1:35
	v_sub_f32_e32 v73, v76, v74
	v_mul_f32_e32 v73, 0x3fb8aa3b, v73
	v_sub_f32_e32 v76, v77, v74
	v_exp_f32_e32 v73, v73
	v_mul_f32_e32 v76, 0x3fb8aa3b, v76
	v_exp_f32_e32 v76, v76
	s_waitcnt lgkmcnt(1)
	v_fma_f32 v75, v75, v80, 0
	v_fmac_f32_e32 v75, v82, v81
	s_waitcnt lgkmcnt(0)
	v_fmac_f32_e32 v75, v73, v70
	s_mul_i32 s2, s2, 3
	v_fmac_f32_e32 v75, v76, v71
	v_cmp_ne_u32_e32 vcc, 3, v79
	s_and_saveexec_b64 s[4:5], vcc
	s_cbranch_execz .LBB346_21
; %bb.20:
	s_mov_b32 s3, 0
	s_lshl_b64 s[8:9], s[2:3], 2
	s_add_u32 s6, s12, s8
	s_mov_b32 s11, s3
	s_addc_u32 s16, s13, s9
	s_lshl_b64 s[12:13], s[10:11], 2
	s_add_u32 s3, s6, s12
	s_addc_u32 s6, s16, s13
	v_add_u32_e32 v70, s7, v79
	s_add_u32 s8, s14, s8
	v_mul_lo_u32 v70, s33, v70
	v_mov_b32_e32 v71, 0
	s_addc_u32 s9, s15, s9
	v_lshlrev_b64 v[70:71], 2, v[70:71]
	s_add_u32 s8, s8, s12
	v_mov_b32_e32 v73, s6
	v_add_co_u32_e32 v76, vcc, s3, v70
	s_addc_u32 s9, s9, s13
	v_addc_co_u32_e32 v77, vcc, v73, v71, vcc
	v_mov_b32_e32 v73, s9
	v_add_co_u32_e32 v70, vcc, s8, v70
	v_addc_co_u32_e32 v71, vcc, v73, v71, vcc
	global_store_dword v[70:71], v74, off
	global_store_dword v[76:77], v75, off
.LBB346_21:
	s_or_b64 exec, exec, s[4:5]
	v_lshlrev_b32_e32 v73, 3, v78
                                        ; implicit-def: $sgpr3
	s_and_saveexec_b64 s[4:5], s[0:1]
	s_xor_b64 s[0:1], exec, s[4:5]
	s_cbranch_execz .LBB346_23
; %bb.22:
	s_waitcnt vmcnt(15)
	v_mov_b32_e32 v2, 0
	v_mad_u32_u24 v4, v1, 40, v73
	s_mov_b32 s3, 0
	v_mov_b32_e32 v3, v2
	ds_write_b64 v4, v[2:3]
                                        ; implicit-def: $vgpr69
                                        ; implicit-def: $vgpr67
                                        ; implicit-def: $vgpr3
                                        ; implicit-def: $vgpr7
                                        ; implicit-def: $vgpr11
                                        ; implicit-def: $vgpr15
                                        ; implicit-def: $vgpr47
                                        ; implicit-def: $vgpr35
                                        ; implicit-def: $vgpr39
                                        ; implicit-def: $vgpr43
                                        ; implicit-def: $vgpr27
                                        ; implicit-def: $vgpr19
                                        ; implicit-def: $vgpr23
                                        ; implicit-def: $vgpr31
                                        ; implicit-def: $vgpr51
                                        ; implicit-def: $vgpr55
                                        ; implicit-def: $vgpr59
                                        ; implicit-def: $vgpr63
                                        ; implicit-def: $vgpr72
                                        ; implicit-def: $vgpr74
                                        ; implicit-def: $vgpr75
.LBB346_23:
	s_or_saveexec_b64 s[0:1], s[0:1]
	v_mov_b32_e32 v70, s3
	v_mov_b32_e32 v71, s3
	s_xor_b64 exec, exec, s[0:1]
	s_cbranch_execz .LBB346_25
; %bb.24:
	v_add_f32_e32 v70, 0x358637bd, v75
	v_div_scale_f32 v71, s[4:5], v70, v70, 1.0
	v_rcp_f32_e32 v75, v71
	v_sub_f32_e32 v72, v72, v74
	v_mul_f32_e32 v72, 0x3fb8aa3b, v72
	v_exp_f32_e32 v72, v72
	v_fma_f32 v74, -v71, v75, 1.0
	v_fmac_f32_e32 v75, v74, v75
	v_div_scale_f32 v74, vcc, 1.0, v70, 1.0
	v_mul_f32_e32 v76, v74, v75
	v_fma_f32 v77, -v71, v76, v74
	v_fmac_f32_e32 v76, v77, v75
	v_fma_f32 v71, -v71, v76, v74
	v_div_fmas_f32 v71, v71, v75, v76
	v_div_fixup_f32 v70, v71, v70, 1.0
	v_mul_f32_e32 v70, v72, v70
	v_pk_mul_f32 v[66:67], v[66:67], v[70:71] op_sel_hi:[1,0]
	v_pk_mul_f32 v[68:69], v[68:69], v[70:71] op_sel_hi:[1,0]
	v_bfe_u32 v70, v67, 16, 1
	v_bfe_u32 v71, v66, 16, 1
	s_movk_i32 s3, 0x7fff
	v_add3_u32 v66, v66, v71, s3
	v_add3_u32 v67, v67, v70, s3
	s_mov_b32 s4, 0x7060302
	v_perm_b32 v66, v67, v66, s4
	v_bfe_u32 v67, v69, 16, 1
	v_bfe_u32 v70, v68, 16, 1
	v_add3_u32 v68, v68, v70, s3
	v_add3_u32 v67, v69, v67, s3
	v_perm_b32 v67, v67, v68, s4
	s_waitcnt vmcnt(15)
	s_nop 0
	v_mfma_f32_4x4x4bf16_1k a[0:3], v[66:67], v[2:3], 0 cbsz:4
	v_mfma_f32_4x4x4bf16_1k a[0:3], v[66:67], v[4:5], a[0:3] cbsz:4 abid:1
	s_waitcnt vmcnt(14)
	v_mfma_f32_4x4x4bf16_1k a[0:3], v[66:67], v[6:7], a[0:3] cbsz:4 abid:2
	v_mfma_f32_4x4x4bf16_1k a[0:3], v[66:67], v[8:9], a[0:3] cbsz:4 abid:3
	s_waitcnt vmcnt(13)
	v_mfma_f32_4x4x4bf16_1k a[0:3], v[66:67], v[10:11], a[0:3] cbsz:4 abid:4
	;; [unrolled: 3-line block ×6, first 2 shown]
	v_mfma_f32_4x4x4bf16_1k a[4:7], v[66:67], v[26:27], 0 cbsz:4
	v_mfma_f32_4x4x4bf16_1k a[0:3], v[66:67], v[40:41], a[0:3] cbsz:4 abid:13
	v_mfma_f32_4x4x4bf16_1k a[4:7], v[66:67], v[28:29], a[4:7] cbsz:4 abid:1
	s_waitcnt vmcnt(4)
	v_mfma_f32_4x4x4bf16_1k a[0:3], v[66:67], v[42:43], a[0:3] cbsz:4 abid:14
	v_mfma_f32_4x4x4bf16_1k a[4:7], v[66:67], v[18:19], a[4:7] cbsz:4 abid:2
	;; [unrolled: 1-line block ×3, first 2 shown]
	s_nop 4
	v_accvgpr_read_b32 v3, a2
	v_accvgpr_read_b32 v4, a3
	;; [unrolled: 1-line block ×4, first 2 shown]
	v_mfma_f32_4x4x4bf16_1k a[0:3], v[66:67], v[20:21], a[4:7] cbsz:4 abid:3
	v_bfe_u32 v6, v5, 16, 1
	v_mfma_f32_4x4x4bf16_1k a[0:3], v[66:67], v[22:23], a[0:3] cbsz:4 abid:4
	v_bfe_u32 v7, v2, 16, 1
	v_mfma_f32_4x4x4bf16_1k a[0:3], v[66:67], v[24:25], a[0:3] cbsz:4 abid:5
	v_add3_u32 v2, v2, v7, s3
	v_mfma_f32_4x4x4bf16_1k a[0:3], v[66:67], v[30:31], a[0:3] cbsz:4 abid:6
	v_add3_u32 v5, v5, v6, s3
	v_mfma_f32_4x4x4bf16_1k a[0:3], v[66:67], v[32:33], a[0:3] cbsz:4 abid:7
	v_perm_b32 v2, v5, v2, s4
	s_waitcnt vmcnt(3)
	v_mfma_f32_4x4x4bf16_1k a[0:3], v[66:67], v[50:51], a[0:3] cbsz:4 abid:8
	v_bfe_u32 v5, v4, 16, 1
	v_mfma_f32_4x4x4bf16_1k a[0:3], v[66:67], v[52:53], a[0:3] cbsz:4 abid:9
	v_bfe_u32 v6, v3, 16, 1
	s_waitcnt vmcnt(2)
	v_mfma_f32_4x4x4bf16_1k a[0:3], v[66:67], v[54:55], a[0:3] cbsz:4 abid:10
	v_add3_u32 v3, v3, v6, s3
	v_mfma_f32_4x4x4bf16_1k a[0:3], v[66:67], v[56:57], a[0:3] cbsz:4 abid:11
	v_add3_u32 v4, v4, v5, s3
	s_waitcnt vmcnt(1)
	v_mfma_f32_4x4x4bf16_1k a[0:3], v[66:67], v[58:59], a[0:3] cbsz:4 abid:12
	v_perm_b32 v3, v4, v3, s4
	v_mfma_f32_4x4x4bf16_1k a[0:3], v[66:67], v[60:61], a[0:3] cbsz:4 abid:13
	v_mad_u32_u24 v4, v1, 40, v73
	s_waitcnt vmcnt(0)
	v_mfma_f32_4x4x4bf16_1k a[0:3], v[66:67], v[62:63], a[0:3] cbsz:4 abid:14
	ds_write_b64 v4, v[2:3]
	v_mfma_f32_4x4x4bf16_1k a[0:3], v[66:67], v[64:65], a[0:3] cbsz:4 abid:15
	s_nop 4
	v_accvgpr_read_b32 v4, a0
	v_accvgpr_read_b32 v5, a1
	;; [unrolled: 1-line block ×4, first 2 shown]
	v_bfe_u32 v6, v5, 16, 1
	v_bfe_u32 v7, v4, 16, 1
	v_add3_u32 v4, v4, v7, s3
	v_add3_u32 v5, v5, v6, s3
	v_bfe_u32 v6, v3, 16, 1
	v_bfe_u32 v7, v2, 16, 1
	v_add3_u32 v2, v2, v7, s3
	v_add3_u32 v3, v3, v6, s3
	v_perm_b32 v71, v3, v2, s4
	v_perm_b32 v70, v5, v4, s4
.LBB346_25:
	s_or_b64 exec, exec, s[0:1]
	s_waitcnt vmcnt(15)
	v_mad_u32_u24 v2, v1, 40, v73
	v_cmp_gt_u32_e32 vcc, 64, v0
	ds_write_b64 v2, v[70:71] offset:2560
	s_waitcnt lgkmcnt(0)
	s_barrier
	s_and_saveexec_b64 s[0:1], vcc
	s_cbranch_execz .LBB346_27
; %bb.26:
	s_waitcnt vmcnt(14)
	v_mul_u32_u24_e32 v6, 40, v1
	ds_read2_b64 v[2:5], v6 offset1:1
	ds_read2_b64 v[6:9], v6 offset0:2 offset1:3
	s_mov_b32 s1, 0
	s_lshl_b32 s0, s2, 7
	s_lshl_b64 s[2:3], s[0:1], 1
	s_waitcnt vmcnt(13) lgkmcnt(1)
	v_and_b32_e32 v10, 0xffff0000, v2
	v_lshlrev_b32_e32 v3, 16, v3
	v_add_f32_e32 v10, 0, v10
	v_add_f32_e32 v3, 0, v3
	v_and_b32_e32 v10, 0xffff0000, v10
	v_and_b32_e32 v11, 0xffff0000, v4
	;; [unrolled: 1-line block ×3, first 2 shown]
	v_add_f32_e32 v10, v10, v11
	v_lshlrev_b32_e32 v5, 16, v5
	v_and_b32_e32 v10, 0xffff0000, v10
	v_add_f32_e32 v3, v3, v5
	s_waitcnt lgkmcnt(0)
	v_and_b32_e32 v5, 0xffff0000, v6
	v_and_b32_e32 v3, 0xffff0000, v3
	v_add_f32_e32 v5, v10, v5
	v_lshlrev_b32_e32 v7, 16, v7
	v_and_b32_e32 v5, 0xffff0000, v5
	v_add_f32_e32 v3, v3, v7
	v_and_b32_e32 v7, 0xffff0000, v8
	s_waitcnt vmcnt(10)
	v_add_f32_e32 v18, v5, v7
	v_mov_b32_e32 v7, 0xa00
	v_mad_u32_u24 v7, v1, 40, v7
	ds_read2_b64 v[10:13], v7 offset1:1
	v_and_b32_e32 v3, 0xffff0000, v3
	v_lshlrev_b32_e32 v5, 16, v9
	v_add_f32_e32 v9, v3, v5
	v_mov_b32_e32 v3, 0xa10
	v_mad_u32_u24 v1, v1, 40, v3
	ds_read2_b64 v[14:17], v1 offset1:1
	s_waitcnt lgkmcnt(1)
	v_lshlrev_b32_e32 v1, 16, v10
	v_add_f32_e32 v1, 0, v1
	v_and_b32_e32 v3, 0xffff0000, v10
	v_and_b32_e32 v1, 0xffff0000, v1
	v_add_f32_e32 v3, 0, v3
	v_lshlrev_b32_e32 v5, 16, v11
	v_lshlrev_b32_e32 v7, 16, v12
	v_and_b32_e32 v3, 0xffff0000, v3
	v_add_f32_e32 v5, 0, v5
	v_add_f32_e32 v1, v1, v7
	v_and_b32_e32 v7, 0xffff0000, v12
	v_and_b32_e32 v5, 0xffff0000, v5
	v_add_f32_e32 v3, v3, v7
	v_lshlrev_b32_e32 v7, 16, v13
	v_and_b32_e32 v1, 0xffff0000, v1
	v_add_f32_e32 v5, v5, v7
	s_waitcnt lgkmcnt(0)
	v_lshlrev_b32_e32 v7, 16, v14
	v_and_b32_e32 v3, 0xffff0000, v3
	v_add_f32_e32 v1, v1, v7
	v_and_b32_e32 v7, 0xffff0000, v14
	v_and_b32_e32 v5, 0xffff0000, v5
	v_add_f32_e32 v3, v3, v7
	v_lshlrev_b32_e32 v7, 16, v15
	v_and_b32_e32 v1, 0xffff0000, v1
	v_add_f32_e32 v5, v5, v7
	v_lshlrev_b32_e32 v7, 16, v16
	v_and_b32_e32 v3, 0xffff0000, v3
	v_add_f32_e32 v10, v1, v7
	v_and_b32_e32 v1, 0xffff0000, v16
	v_and_b32_e32 v5, 0xffff0000, v5
	v_add_f32_e32 v11, v3, v1
	v_lshlrev_b32_e32 v1, 16, v17
	v_add_f32_e32 v12, v5, v1
	v_lshlrev_b32_e32 v1, 16, v2
	s_add_u32 s2, s20, s2
	v_add_f32_e32 v1, 0, v1
	s_addc_u32 s3, s21, s3
	s_lshl_b32 s0, s10, 7
	v_and_b32_e32 v1, 0xffff0000, v1
	v_lshlrev_b32_e32 v2, 16, v4
	s_lshl_b64 s[0:1], s[0:1], 1
	v_add_f32_e32 v1, v1, v2
	s_add_u32 s0, s2, s0
	v_and_b32_e32 v1, 0xffff0000, v1
	v_lshlrev_b32_e32 v2, 16, v6
	s_addc_u32 s1, s3, s1
	s_lshl_b32 s2, s33, 7
	v_add_f32_e32 v1, v1, v2
	v_and_b32_e32 v1, 0xffff0000, v1
	v_lshlrev_b32_e32 v2, 16, v8
	s_mul_i32 s3, s2, s7
	v_add_f32_e32 v1, v1, v2
	v_or_b32_e32 v2, s3, v0
	v_mov_b32_e32 v3, 0
	v_lshlrev_b64 v[4:5], 1, v[2:3]
	v_mov_b32_e32 v2, s1
	v_add_co_u32_e32 v4, vcc, s0, v4
	s_add_i32 s3, s3, s2
	v_addc_co_u32_e32 v5, vcc, v2, v5, vcc
	v_or_b32_e32 v2, s3, v0
	v_lshlrev_b64 v[6:7], 1, v[2:3]
	s_add_i32 s3, s3, s2
	global_store_short_d16_hi v[4:5], v1, off
	v_mov_b32_e32 v1, s1
	v_add_co_u32_e32 v6, vcc, s0, v6
	v_or_b32_e32 v2, s3, v0
	v_addc_co_u32_e32 v7, vcc, v1, v7, vcc
	v_lshlrev_b64 v[0:1], 1, v[2:3]
	v_mov_b32_e32 v2, s1
	v_add_co_u32_e32 v0, vcc, s0, v0
	v_addc_co_u32_e32 v1, vcc, v2, v1, vcc
	global_store_short_d16_hi v[6:7], v18, off
	global_store_short_d16_hi v[0:1], v9, off
	global_store_short_d16_hi v[4:5], v10, off offset:128
	global_store_short_d16_hi v[6:7], v11, off offset:128
	;; [unrolled: 1-line block ×3, first 2 shown]
.LBB346_27:
	s_endpgm
	.section	.rodata,"a",@progbits
	.p2align	6, 0x0
	.amdhsa_kernel _Z38paged_attention_ll4mi_QKV_mfma4_kernelI14__hip_bfloat16S0_LN4vllm18Fp8KVCacheDataTypeE0ES0_Li32ELi128ELi256ELb1ELi3EEvPKT_PKT0_S8_ifPKiSA_SA_iPKfiiiPfSD_PS3_PT2_iSC_SC_
		.amdhsa_group_segment_fixed_size 5280
		.amdhsa_private_segment_fixed_size 0
		.amdhsa_kernarg_size 400
		.amdhsa_user_sgpr_count 6
		.amdhsa_user_sgpr_private_segment_buffer 1
		.amdhsa_user_sgpr_dispatch_ptr 0
		.amdhsa_user_sgpr_queue_ptr 0
		.amdhsa_user_sgpr_kernarg_segment_ptr 1
		.amdhsa_user_sgpr_dispatch_id 0
		.amdhsa_user_sgpr_flat_scratch_init 0
		.amdhsa_user_sgpr_kernarg_preload_length 0
		.amdhsa_user_sgpr_kernarg_preload_offset 0
		.amdhsa_user_sgpr_private_segment_size 0
		.amdhsa_uses_dynamic_stack 0
		.amdhsa_system_sgpr_private_segment_wavefront_offset 0
		.amdhsa_system_sgpr_workgroup_id_x 1
		.amdhsa_system_sgpr_workgroup_id_y 1
		.amdhsa_system_sgpr_workgroup_id_z 1
		.amdhsa_system_sgpr_workgroup_info 0
		.amdhsa_system_vgpr_workitem_id 0
		.amdhsa_next_free_vgpr 92
		.amdhsa_next_free_sgpr 38
		.amdhsa_accum_offset 84
		.amdhsa_reserve_vcc 1
		.amdhsa_reserve_flat_scratch 0
		.amdhsa_float_round_mode_32 0
		.amdhsa_float_round_mode_16_64 0
		.amdhsa_float_denorm_mode_32 3
		.amdhsa_float_denorm_mode_16_64 3
		.amdhsa_dx10_clamp 1
		.amdhsa_ieee_mode 1
		.amdhsa_fp16_overflow 0
		.amdhsa_tg_split 0
		.amdhsa_exception_fp_ieee_invalid_op 0
		.amdhsa_exception_fp_denorm_src 0
		.amdhsa_exception_fp_ieee_div_zero 0
		.amdhsa_exception_fp_ieee_overflow 0
		.amdhsa_exception_fp_ieee_underflow 0
		.amdhsa_exception_fp_ieee_inexact 0
		.amdhsa_exception_int_div_zero 0
	.end_amdhsa_kernel
	.section	.text._Z38paged_attention_ll4mi_QKV_mfma4_kernelI14__hip_bfloat16S0_LN4vllm18Fp8KVCacheDataTypeE0ES0_Li32ELi128ELi256ELb1ELi3EEvPKT_PKT0_S8_ifPKiSA_SA_iPKfiiiPfSD_PS3_PT2_iSC_SC_,"axG",@progbits,_Z38paged_attention_ll4mi_QKV_mfma4_kernelI14__hip_bfloat16S0_LN4vllm18Fp8KVCacheDataTypeE0ES0_Li32ELi128ELi256ELb1ELi3EEvPKT_PKT0_S8_ifPKiSA_SA_iPKfiiiPfSD_PS3_PT2_iSC_SC_,comdat
.Lfunc_end346:
	.size	_Z38paged_attention_ll4mi_QKV_mfma4_kernelI14__hip_bfloat16S0_LN4vllm18Fp8KVCacheDataTypeE0ES0_Li32ELi128ELi256ELb1ELi3EEvPKT_PKT0_S8_ifPKiSA_SA_iPKfiiiPfSD_PS3_PT2_iSC_SC_, .Lfunc_end346-_Z38paged_attention_ll4mi_QKV_mfma4_kernelI14__hip_bfloat16S0_LN4vllm18Fp8KVCacheDataTypeE0ES0_Li32ELi128ELi256ELb1ELi3EEvPKT_PKT0_S8_ifPKiSA_SA_iPKfiiiPfSD_PS3_PT2_iSC_SC_
                                        ; -- End function
	.section	.AMDGPU.csdata,"",@progbits
; Kernel info:
; codeLenInByte = 4472
; NumSgprs: 42
; NumVgprs: 84
; NumAgprs: 8
; TotalNumVgprs: 92
; ScratchSize: 0
; MemoryBound: 0
; FloatMode: 240
; IeeeMode: 1
; LDSByteSize: 5280 bytes/workgroup (compile time only)
; SGPRBlocks: 5
; VGPRBlocks: 11
; NumSGPRsForWavesPerEU: 42
; NumVGPRsForWavesPerEU: 92
; AccumOffset: 84
; Occupancy: 5
; WaveLimiterHint : 1
; COMPUTE_PGM_RSRC2:SCRATCH_EN: 0
; COMPUTE_PGM_RSRC2:USER_SGPR: 6
; COMPUTE_PGM_RSRC2:TRAP_HANDLER: 0
; COMPUTE_PGM_RSRC2:TGID_X_EN: 1
; COMPUTE_PGM_RSRC2:TGID_Y_EN: 1
; COMPUTE_PGM_RSRC2:TGID_Z_EN: 1
; COMPUTE_PGM_RSRC2:TIDIG_COMP_CNT: 0
; COMPUTE_PGM_RSRC3_GFX90A:ACCUM_OFFSET: 20
; COMPUTE_PGM_RSRC3_GFX90A:TG_SPLIT: 0
	.section	.text._Z38paged_attention_ll4mi_QKV_mfma4_kernelI14__hip_bfloat16S0_LN4vllm18Fp8KVCacheDataTypeE0ES0_Li32ELi128ELi256ELb1ELi4EEvPKT_PKT0_S8_ifPKiSA_SA_iPKfiiiPfSD_PS3_PT2_iSC_SC_,"axG",@progbits,_Z38paged_attention_ll4mi_QKV_mfma4_kernelI14__hip_bfloat16S0_LN4vllm18Fp8KVCacheDataTypeE0ES0_Li32ELi128ELi256ELb1ELi4EEvPKT_PKT0_S8_ifPKiSA_SA_iPKfiiiPfSD_PS3_PT2_iSC_SC_,comdat
	.protected	_Z38paged_attention_ll4mi_QKV_mfma4_kernelI14__hip_bfloat16S0_LN4vllm18Fp8KVCacheDataTypeE0ES0_Li32ELi128ELi256ELb1ELi4EEvPKT_PKT0_S8_ifPKiSA_SA_iPKfiiiPfSD_PS3_PT2_iSC_SC_ ; -- Begin function _Z38paged_attention_ll4mi_QKV_mfma4_kernelI14__hip_bfloat16S0_LN4vllm18Fp8KVCacheDataTypeE0ES0_Li32ELi128ELi256ELb1ELi4EEvPKT_PKT0_S8_ifPKiSA_SA_iPKfiiiPfSD_PS3_PT2_iSC_SC_
	.globl	_Z38paged_attention_ll4mi_QKV_mfma4_kernelI14__hip_bfloat16S0_LN4vllm18Fp8KVCacheDataTypeE0ES0_Li32ELi128ELi256ELb1ELi4EEvPKT_PKT0_S8_ifPKiSA_SA_iPKfiiiPfSD_PS3_PT2_iSC_SC_
	.p2align	8
	.type	_Z38paged_attention_ll4mi_QKV_mfma4_kernelI14__hip_bfloat16S0_LN4vllm18Fp8KVCacheDataTypeE0ES0_Li32ELi128ELi256ELb1ELi4EEvPKT_PKT0_S8_ifPKiSA_SA_iPKfiiiPfSD_PS3_PT2_iSC_SC_,@function
_Z38paged_attention_ll4mi_QKV_mfma4_kernelI14__hip_bfloat16S0_LN4vllm18Fp8KVCacheDataTypeE0ES0_Li32ELi128ELi256ELb1ELi4EEvPKT_PKT0_S8_ifPKiSA_SA_iPKfiiiPfSD_PS3_PT2_iSC_SC_: ; @_Z38paged_attention_ll4mi_QKV_mfma4_kernelI14__hip_bfloat16S0_LN4vllm18Fp8KVCacheDataTypeE0ES0_Li32ELi128ELi256ELb1ELi4EEvPKT_PKT0_S8_ifPKiSA_SA_iPKfiiiPfSD_PS3_PT2_iSC_SC_
; %bb.0:
	s_load_dwordx2 s[2:3], s[4:5], 0x30
	s_mov_b32 s10, s7
	s_mov_b64 s[0:1], 0
	s_waitcnt lgkmcnt(0)
	s_cmp_lg_u64 s[2:3], 0
	s_cselect_b64 s[16:17], -1, 0
	s_and_b64 vcc, exec, s[16:17]
	s_cbranch_vccz .LBB347_20
; %bb.1:
	s_add_i32 s12, s6, 1
	s_mov_b32 s13, 0
	s_lshl_b64 s[14:15], s[12:13], 2
	s_add_u32 s14, s2, s14
	s_mov_b32 s7, s13
	s_addc_u32 s15, s3, s15
	s_lshl_b64 s[12:13], s[6:7], 2
	s_add_u32 s12, s2, s12
	s_addc_u32 s13, s3, s13
	s_load_dword s9, s[14:15], 0x0
	s_load_dword s11, s[12:13], 0x0
	s_mov_b64 s[30:31], s[6:7]
	s_waitcnt lgkmcnt(0)
	s_sub_i32 s9, s9, s11
	s_cmp_eq_u32 s9, 1
	s_cselect_b64 s[12:13], -1, 0
	s_andn2_b64 vcc, exec, s[0:1]
	s_cbranch_vccnz .LBB347_3
.LBB347_2:
	s_mov_b32 s7, 0
	s_mov_b64 s[12:13], -1
	s_mov_b64 s[30:31], s[6:7]
.LBB347_3:
	s_andn2_b64 vcc, exec, s[12:13]
	s_cbranch_vccnz .LBB347_19
; %bb.4:
	s_load_dword s7, s[4:5], 0x9c
	s_load_dwordx2 s[0:1], s[4:5], 0x28
	s_add_u32 s26, s4, 0x90
	s_addc_u32 s27, s5, 0
	s_lshl_b64 s[18:19], s[30:31], 2
	s_waitcnt lgkmcnt(0)
	s_and_b32 s7, s7, 0xffff
	s_add_u32 s0, s0, s18
	s_addc_u32 s1, s1, s19
	s_load_dword s11, s[0:1], 0x0
	s_mul_i32 s9, s10, s7
	s_waitcnt lgkmcnt(0)
	s_cmp_ge_i32 s9, s11
	s_cbranch_scc1 .LBB347_19
; %bb.5:
	v_and_b32_e32 v1, 0xc0, v0
	v_and_b32_e32 v73, 3, v0
	s_lshl_b32 s7, s8, 2
	v_add_u32_e32 v2, s9, v1
	v_lshrrev_b32_e32 v72, 6, v0
	v_cmp_le_i32_e64 s[0:1], s11, v2
	v_or_b32_e32 v66, s7, v73
                                        ; implicit-def: $sgpr21
                                        ; implicit-def: $sgpr20
	s_and_saveexec_b64 s[12:13], s[0:1]
	s_xor_b64 s[12:13], exec, s[12:13]
	s_cbranch_execz .LBB347_7
; %bb.6:
	v_mul_u32_u24_e32 v1, 20, v72
	v_or_b32_e32 v1, 0x1400, v1
	v_mov_b32_e32 v2, 0x1450
	v_mov_b32_e32 v3, 0xff7fffff
	v_mad_u32_u24 v2, v72, 20, v2
	ds_write2_b32 v1, v3, v3 offset1:1
	v_mov_b32_e32 v1, 0
	ds_write2_b32 v2, v1, v1 offset1:1
	v_mov_b32_e32 v2, 0x1408
	s_mov_b32 s20, 0xff7fffff
	s_mov_b32 s21, 0
	v_mad_u32_u24 v2, v72, 20, v2
	v_mov_b32_e32 v4, 0x1458
	v_or_b32_e32 v66, s7, v73
	v_mad_u32_u24 v4, v72, 20, v4
	ds_write2_b32 v2, v3, v3 offset1:1
	ds_write2_b32 v4, v1, v1 offset1:1
                                        ; implicit-def: $vgpr2
.LBB347_7:
	s_or_saveexec_b64 s[28:29], s[12:13]
	s_load_dwordx2 s[24:25], s[4:5], 0x68
	s_load_dwordx4 s[12:15], s[4:5], 0x58
	s_load_dword s33, s[26:27], 0x4
	v_and_b32_e32 v1, 63, v0
	v_mov_b32_e32 v71, s21
	v_mov_b32_e32 v74, s20
	;; [unrolled: 1-line block ×5, first 2 shown]
                                        ; implicit-def: $vgpr3
                                        ; implicit-def: $vgpr7
                                        ; implicit-def: $vgpr11
                                        ; implicit-def: $vgpr15
                                        ; implicit-def: $vgpr47
                                        ; implicit-def: $vgpr35
                                        ; implicit-def: $vgpr39
                                        ; implicit-def: $vgpr43
                                        ; implicit-def: $vgpr27
                                        ; implicit-def: $vgpr19
                                        ; implicit-def: $vgpr23
                                        ; implicit-def: $vgpr31
                                        ; implicit-def: $vgpr51
                                        ; implicit-def: $vgpr55
                                        ; implicit-def: $vgpr59
                                        ; implicit-def: $vgpr63
	s_xor_b64 exec, exec, s[28:29]
	s_cbranch_execz .LBB347_13
; %bb.8:
	s_add_i32 s23, s11, 31
	s_load_dwordx2 s[20:21], s[4:5], 0x20
	s_load_dword s22, s[4:5], 0x38
	s_ashr_i32 s34, s23, 31
	s_lshr_b32 s34, s34, 27
	v_add_u32_e32 v68, s9, v0
	s_add_i32 s23, s23, s34
	v_ashrrev_i32_e32 v3, 31, v68
	s_ashr_i32 s23, s23, 5
	v_lshrrev_b32_e32 v3, 27, v3
	s_add_i32 s34, s23, -1
	v_add_u32_e32 v3, v68, v3
	s_waitcnt lgkmcnt(0)
	s_mul_i32 s38, s6, s22
	s_mov_b32 s39, 0
	v_ashrrev_i32_e32 v3, 5, v3
	v_mov_b32_e32 v4, s34
	v_cmp_gt_i32_e32 vcc, s11, v68
	s_lshl_b64 s[22:23], s[38:39], 2
	v_cndmask_b32_e32 v4, v4, v3, vcc
	s_add_u32 s20, s20, s22
	v_ashrrev_i32_e32 v5, 31, v4
	s_addc_u32 s21, s21, s23
	v_lshlrev_b64 v[4:5], 2, v[4:5]
	v_mov_b32_e32 v3, s21
	v_add_co_u32_e32 v4, vcc, s20, v4
	v_addc_co_u32_e32 v5, vcc, v3, v5, vcc
	v_ashrrev_i32_e32 v3, 31, v2
	v_lshrrev_b32_e32 v3, 27, v3
	v_add_u32_e32 v2, v2, v3
	v_ashrrev_i32_e32 v8, 5, v2
	v_min_i32_e32 v2, s34, v8
	v_ashrrev_i32_e32 v3, 31, v2
	v_lshlrev_b64 v[2:3], 2, v[2:3]
	v_add_co_u32_e32 v6, vcc, s20, v2
	v_add_u32_e32 v2, 1, v8
	v_mov_b32_e32 v7, s21
	v_min_i32_e32 v2, s34, v2
	v_addc_co_u32_e32 v7, vcc, v7, v3, vcc
	v_ashrrev_i32_e32 v3, 31, v2
	v_lshlrev_b64 v[2:3], 2, v[2:3]
	v_mov_b32_e32 v9, s21
	v_add_co_u32_e32 v8, vcc, s20, v2
	v_addc_co_u32_e32 v9, vcc, v9, v3, vcc
	global_load_dword v3, v[4:5], off
	global_load_dword v2, v[6:7], off
	;; [unrolled: 1-line block ×3, first 2 shown]
	s_load_dwordx2 s[36:37], s[4:5], 0x40
	s_load_dwordx4 s[20:23], s[4:5], 0x0
	s_load_dwordx2 s[34:35], s[4:5], 0x10
	s_andn2_b64 vcc, exec, s[16:17]
	s_cbranch_vccnz .LBB347_10
; %bb.9:
	s_add_u32 s2, s2, s18
	s_addc_u32 s3, s3, s19
	s_load_dword s38, s[2:3], 0x0
	s_waitcnt lgkmcnt(0)
	s_mov_b64 s[30:31], s[38:39]
.LBB347_10:
	s_load_dwordx4 s[16:19], s[4:5], 0x48
	v_lshlrev_b32_e32 v4, 2, v1
	v_and_b32_e32 v4, 0xf0, v4
	v_lshl_or_b32 v4, v73, 8, v4
	v_mov_b32_e32 v67, 0
	s_waitcnt lgkmcnt(0)
	s_ashr_i32 s3, s16, 31
	s_mul_hi_u32 s9, s30, s16
	s_mul_i32 s3, s30, s3
	s_mul_i32 s19, s31, s16
	s_add_i32 s3, s9, s3
	s_mul_i32 s2, s30, s16
	s_add_i32 s3, s3, s19
	s_lshl_b64 s[2:3], s[2:3], 1
	s_add_u32 s9, s20, s2
	s_addc_u32 s16, s21, s3
	s_lshl_b32 s38, s8, 9
	s_lshl_b64 s[2:3], s[38:39], 1
	s_add_u32 s2, s9, s2
	s_addc_u32 s3, s16, s3
	s_mul_i32 s38, s8, s18
	global_load_dwordx4 v[74:77], v4, s[2:3]
	s_waitcnt vmcnt(3)
	v_mad_i64_i32 v[4:5], s[2:3], v3, s17, 0
	s_lshl_b64 s[8:9], s[38:39], 1
	s_add_u32 s2, s8, s22
	v_lshlrev_b64 v[4:5], 1, v[4:5]
	s_addc_u32 s3, s9, s23
	v_mov_b32_e32 v3, s3
	v_add_co_u32_e32 v35, vcc, s2, v4
	v_and_b32_e32 v4, 31, v0
	v_addc_co_u32_e32 v3, vcc, v3, v5, vcc
	v_lshlrev_b32_e32 v69, 4, v4
	v_add_co_u32_e32 v32, vcc, v35, v69
	v_addc_co_u32_e32 v33, vcc, 0, v3, vcc
	global_load_dwordx4 v[4:7], v[32:33], off
	global_load_dwordx4 v[8:11], v[32:33], off offset:512
	global_load_dwordx4 v[12:15], v[32:33], off offset:1024
	;; [unrolled: 1-line block ×7, first 2 shown]
	v_or_b32_e32 v32, 0x1000, v69
	v_add_co_u32_e32 v32, vcc, v35, v32
	v_addc_co_u32_e32 v33, vcc, 0, v3, vcc
	v_or_b32_e32 v40, 0x1200, v69
	v_add_co_u32_e32 v48, vcc, v35, v40
	v_addc_co_u32_e32 v49, vcc, 0, v3, vcc
	global_load_dwordx4 v[40:43], v[32:33], off
	global_load_dwordx4 v[44:47], v[48:49], off
	v_or_b32_e32 v32, 0x1400, v69
	v_add_co_u32_e32 v32, vcc, v35, v32
	v_addc_co_u32_e32 v33, vcc, 0, v3, vcc
	v_or_b32_e32 v48, 0x1600, v69
	v_add_co_u32_e32 v56, vcc, v35, v48
	v_addc_co_u32_e32 v57, vcc, 0, v3, vcc
	global_load_dwordx4 v[48:51], v[32:33], off
	global_load_dwordx4 v[52:55], v[56:57], off
	v_or_b32_e32 v32, 0x1800, v69
	v_add_co_u32_e32 v32, vcc, v35, v32
	v_addc_co_u32_e32 v33, vcc, 0, v3, vcc
	v_or_b32_e32 v56, 0x1a00, v69
	v_add_co_u32_e32 v64, vcc, v35, v56
	v_addc_co_u32_e32 v65, vcc, 0, v3, vcc
	global_load_dwordx4 v[56:59], v[32:33], off
	global_load_dwordx4 v[60:63], v[64:65], off
	v_or_b32_e32 v32, 0x1c00, v69
	v_add_co_u32_e32 v32, vcc, v35, v32
	v_mov_b32_e32 v64, 0x1e00
	v_addc_co_u32_e32 v33, vcc, 0, v3, vcc
	v_lshl_or_b32 v64, v0, 4, v64
	v_add_co_u32_e32 v64, vcc, v35, v64
	v_addc_co_u32_e32 v65, vcc, 0, v3, vcc
	global_load_dwordx4 v[78:81], v[32:33], off
	global_load_dwordx4 v[82:85], v[64:65], off
	v_lshlrev_b64 v[32:33], 2, v[66:67]
	v_mov_b32_e32 v3, s37
	v_add_co_u32_e32 v32, vcc, s36, v32
	v_addc_co_u32_e32 v33, vcc, v3, v33, vcc
	global_load_dword v69, v[32:33], off
	s_waitcnt vmcnt(19)
	v_mul_hi_i32 v3, v2, s17
	v_ashrrev_i32_e32 v3, 31, v3
	s_load_dword s2, s[4:5], 0x1c
	s_add_u32 s3, s34, s8
	s_addc_u32 s8, s35, s9
	s_waitcnt vmcnt(18)
	v_mul_hi_i32 v35, v34, s17
	v_lshlrev_b32_e32 v70, 6, v1
	s_waitcnt vmcnt(16)
	v_mfma_f32_4x4x4bf16_1k a[0:3], v[74:75], v[4:5], 0 cbsz:4
	v_lshrrev_b32_e32 v4, 29, v3
	v_mfma_f32_4x4x4bf16_1k a[0:3], v[76:77], v[6:7], a[0:3] cbsz:4
	v_mov_b32_e32 v5, v67
	s_waitcnt vmcnt(15)
	v_mfma_f32_4x4x4bf16_1k a[0:3], v[74:75], v[8:9], a[0:3] cbsz:4 abid:1
	v_mad_i64_i32 v[2:3], s[4:5], v2, s17, v[4:5]
	v_mfma_f32_4x4x4bf16_1k a[0:3], v[76:77], v[10:11], a[0:3] cbsz:4 abid:1
	v_lshlrev_b64 v[2:3], 1, v[2:3]
	s_waitcnt vmcnt(14)
	v_mfma_f32_4x4x4bf16_1k a[0:3], v[74:75], v[12:13], a[0:3] cbsz:4 abid:2
	v_and_b32_e32 v2, -16, v2
	v_mfma_f32_4x4x4bf16_1k a[0:3], v[76:77], v[14:15], a[0:3] cbsz:4 abid:2
	v_mov_b32_e32 v4, s8
	s_waitcnt vmcnt(13)
	v_mfma_f32_4x4x4bf16_1k a[0:3], v[74:75], v[16:17], a[0:3] cbsz:4 abid:3
	v_add_co_u32_e32 v32, vcc, s3, v2
	v_mfma_f32_4x4x4bf16_1k a[0:3], v[76:77], v[18:19], a[0:3] cbsz:4 abid:3
	v_addc_co_u32_e32 v33, vcc, v4, v3, vcc
	s_waitcnt vmcnt(12)
	v_mfma_f32_4x4x4bf16_1k a[0:3], v[74:75], v[20:21], a[0:3] cbsz:4 abid:4
	v_ashrrev_i32_e32 v35, 31, v35
	v_mfma_f32_4x4x4bf16_1k a[0:3], v[76:77], v[22:23], a[0:3] cbsz:4 abid:4
	v_add_co_u32_e32 v18, vcc, v32, v70
	s_waitcnt vmcnt(11)
	v_mfma_f32_4x4x4bf16_1k a[0:3], v[74:75], v[24:25], a[0:3] cbsz:4 abid:5
	v_addc_co_u32_e32 v19, vcc, 0, v33, vcc
	v_mfma_f32_4x4x4bf16_1k a[0:3], v[76:77], v[26:27], a[0:3] cbsz:4 abid:5
	v_or_b32_e32 v71, 0x1000, v70
	s_waitcnt vmcnt(10)
	v_mfma_f32_4x4x4bf16_1k a[0:3], v[74:75], v[28:29], a[0:3] cbsz:4 abid:6
	v_add_co_u32_e32 v64, vcc, v32, v71
	v_mfma_f32_4x4x4bf16_1k a[0:3], v[76:77], v[30:31], a[0:3] cbsz:4 abid:6
	v_addc_co_u32_e32 v65, vcc, 0, v33, vcc
	s_waitcnt vmcnt(9)
	v_mfma_f32_4x4x4bf16_1k a[0:3], v[74:75], v[36:37], a[0:3] cbsz:4 abid:7
	v_lshrrev_b32_e32 v36, 29, v35
	v_mfma_f32_4x4x4bf16_1k a[0:3], v[76:77], v[38:39], a[0:3] cbsz:4 abid:7
	v_mov_b32_e32 v37, v67
	s_waitcnt vmcnt(8)
	v_mfma_f32_4x4x4bf16_1k a[0:3], v[74:75], v[40:41], a[0:3] cbsz:4 abid:8
	v_mad_i64_i32 v[34:35], s[4:5], v34, s17, v[36:37]
	v_mfma_f32_4x4x4bf16_1k a[0:3], v[76:77], v[42:43], a[0:3] cbsz:4 abid:8
	v_lshlrev_b64 v[34:35], 1, v[34:35]
	s_waitcnt vmcnt(7)
	v_mfma_f32_4x4x4bf16_1k a[0:3], v[74:75], v[44:45], a[0:3] cbsz:4 abid:9
	v_and_b32_e32 v34, -16, v34
	v_mfma_f32_4x4x4bf16_1k a[0:3], v[76:77], v[46:47], a[0:3] cbsz:4 abid:9
	v_mov_b32_e32 v36, s8
	s_waitcnt vmcnt(6)
	v_mfma_f32_4x4x4bf16_1k a[0:3], v[74:75], v[48:49], a[0:3] cbsz:4 abid:10
	global_load_dwordx4 v[2:5], v[18:19], off
	global_load_dwordx4 v[6:9], v[18:19], off offset:16
	v_mfma_f32_4x4x4bf16_1k a[0:3], v[76:77], v[50:51], a[0:3] cbsz:4 abid:10
	global_load_dwordx4 v[10:13], v[18:19], off offset:32
	global_load_dwordx4 v[14:17], v[18:19], off offset:48
	s_waitcnt vmcnt(9)
	v_mfma_f32_4x4x4bf16_1k a[0:3], v[74:75], v[52:53], a[0:3] cbsz:4 abid:11
	v_add_co_u32_e32 v52, vcc, s3, v34
	v_mfma_f32_4x4x4bf16_1k a[0:3], v[76:77], v[54:55], a[0:3] cbsz:4 abid:11
	v_addc_co_u32_e32 v53, vcc, v36, v35, vcc
	s_waitcnt vmcnt(8)
	v_mfma_f32_4x4x4bf16_1k a[0:3], v[74:75], v[56:57], a[0:3] cbsz:4 abid:12
	v_add_co_u32_e32 v50, vcc, v52, v70
	v_mfma_f32_4x4x4bf16_1k a[0:3], v[76:77], v[58:59], a[0:3] cbsz:4 abid:12
	v_addc_co_u32_e32 v51, vcc, 0, v53, vcc
	s_waitcnt vmcnt(7)
	v_mfma_f32_4x4x4bf16_1k a[0:3], v[74:75], v[60:61], a[0:3] cbsz:4 abid:13
	v_add_co_u32_e32 v70, vcc, v52, v71
	v_addc_co_u32_e32 v71, vcc, 0, v53, vcc
	global_load_dwordx4 v[26:29], v[64:65], off
	global_load_dwordx4 v[18:21], v[64:65], off offset:16
	global_load_dwordx4 v[22:25], v[64:65], off offset:32
	;; [unrolled: 1-line block ×3, first 2 shown]
	global_load_dwordx4 v[46:49], v[50:51], off
	global_load_dwordx4 v[34:37], v[50:51], off offset:16
	v_mfma_f32_4x4x4bf16_1k a[0:3], v[76:77], v[62:63], a[0:3] cbsz:4 abid:13
	global_load_dwordx4 v[38:41], v[50:51], off offset:32
	global_load_dwordx4 v[42:45], v[50:51], off offset:48
	s_nop 0
	global_load_dwordx4 v[50:53], v[70:71], off
	global_load_dwordx4 v[54:57], v[70:71], off offset:16
	global_load_dwordx4 v[58:61], v[70:71], off offset:32
	;; [unrolled: 1-line block ×3, first 2 shown]
	s_waitcnt vmcnt(18)
	v_mfma_f32_4x4x4bf16_1k a[0:3], v[74:75], v[78:79], a[0:3] cbsz:4 abid:14
	v_cmp_eq_u32_e32 vcc, 0, v73
	v_mfma_f32_4x4x4bf16_1k a[0:3], v[76:77], v[80:81], a[0:3] cbsz:4 abid:14
	v_cndmask_b32_e64 v67, 0, 1.0, vcc
	s_waitcnt vmcnt(17)
	v_mfma_f32_4x4x4bf16_1k a[0:3], v[74:75], v[82:83], a[0:3] cbsz:4 abid:15
	v_cmp_eq_u32_e32 vcc, 1, v73
	v_mfma_f32_4x4x4bf16_1k a[0:3], v[76:77], v[84:85], a[0:3] cbsz:4 abid:15
	s_nop 4
	v_accvgpr_read_b32 v75, a1
	v_accvgpr_read_b32 v74, a0
	s_waitcnt lgkmcnt(0)
	v_pk_mul_f32 v[74:75], s[2:3], v[74:75] op_sel_hi:[0,1]
	v_accvgpr_read_b32 v71, a3
	v_accvgpr_read_b32 v70, a2
	v_pk_mul_f32 v[70:71], s[2:3], v[70:71] op_sel_hi:[0,1]
	v_mfma_f32_4x4x1f32 a[0:3], v74, v67, 0
	v_cndmask_b32_e64 v67, 0, 1.0, vcc
	v_cmp_eq_u32_e32 vcc, 2, v73
	s_nop 0
	v_mfma_f32_4x4x1f32 a[0:3], v75, v67, a[0:3]
	v_cndmask_b32_e64 v67, 0, 1.0, vcc
	v_cmp_eq_u32_e32 vcc, 3, v73
	s_nop 0
	v_mfma_f32_4x4x1f32 a[0:3], v70, v67, a[0:3]
	v_cndmask_b32_e64 v67, 0, 1.0, vcc
	s_nop 1
	v_mfma_f32_4x4x1f32 a[0:3], v71, v67, a[0:3]
	v_and_b32_e32 v67, -4, v68
	v_subrev_u32_e32 v70, s11, v67
	v_add_u32_e32 v71, 1, v70
	v_cvt_f32_i32_e32 v71, v71
	v_add_u32_e32 v74, 2, v70
	v_cvt_f32_i32_e32 v74, v74
	v_accvgpr_read_b32 v75, a0
	s_waitcnt vmcnt(16)
	v_fma_f32 v71, v69, v71, v75
	v_accvgpr_read_b32 v75, a1
	v_fma_f32 v75, v69, v74, v75
	v_add_u32_e32 v74, 3, v70
	v_add_u32_e32 v70, 4, v70
	v_cvt_f32_i32_e32 v74, v74
	v_cvt_f32_i32_e32 v70, v70
	v_accvgpr_read_b32 v76, a2
	v_accvgpr_read_b32 v77, a3
	v_fma_f32 v76, v69, v74, v76
	v_fmac_f32_e32 v77, v69, v70
	v_max_f32_e32 v70, 0xff7fffff, v71
	v_mov_b32_e32 v74, 0xff7fffff
	v_cmp_gt_i32_e32 vcc, s11, v67
	v_cndmask_b32_e32 v70, v74, v70, vcc
	v_or_b32_e32 v74, 1, v67
	v_max_f32_e32 v78, v70, v75
	v_cmp_gt_i32_e64 s[2:3], s11, v74
	v_cndmask_b32_e64 v70, v70, v78, s[2:3]
	v_or_b32_e32 v67, 2, v67
	v_max_f32_e32 v74, v70, v76
	v_cmp_gt_i32_e64 s[4:5], s11, v67
	v_cndmask_b32_e64 v67, v70, v74, s[4:5]
	v_or_b32_e32 v68, 3, v68
	v_max_f32_e32 v70, v67, v77
	v_cmp_gt_i32_e64 s[8:9], s11, v68
	v_lshlrev_b32_e32 v69, 2, v0
	v_cndmask_b32_e64 v67, v67, v70, s[8:9]
	v_and_or_b32 v69, v69, 48, v73
	;;#ASMSTART
	v_nop
 v_nop
 v_max_f32_dpp v67, v67, v67 row_ror:4
	;;#ASMEND
	v_lshlrev_b32_e32 v78, 2, v69
	;;#ASMSTART
	v_nop
 v_nop
 v_max_f32_dpp v67, v67, v67 row_ror:8
	;;#ASMEND
	ds_bpermute_b32 v67, v78, v67
	s_waitcnt lgkmcnt(0)
	;;#ASMSTART
	v_nop
 v_nop
 v_max_f32_dpp v67, v67, v67 row_ror:4
	;;#ASMEND
	;;#ASMSTART
	v_nop
 v_nop
 v_max_f32_dpp v74, v67, v67 row_ror:8
	;;#ASMEND
	v_sub_f32_e32 v67, v71, v74
	v_mul_f32_e32 v67, 0x3fb8aa3b, v67
	v_sub_f32_e32 v68, v75, v74
	v_exp_f32_e32 v67, v67
	v_mul_f32_e32 v68, 0x3fb8aa3b, v68
	v_sub_f32_e32 v70, v76, v74
	v_exp_f32_e32 v69, v68
	;; [unrolled: 3-line block ×3, first 2 shown]
	v_mul_f32_e32 v71, 0x3fb8aa3b, v71
	v_exp_f32_e32 v71, v71
	v_cndmask_b32_e32 v68, 0, v67, vcc
	v_add_f32_e32 v67, 0, v68
	v_cndmask_b32_e64 v69, 0, v69, s[2:3]
	v_add_f32_e32 v67, v67, v69
	v_cndmask_b32_e64 v70, 0, v70, s[4:5]
	;; [unrolled: 2-line block ×3, first 2 shown]
	v_add_f32_e32 v67, v67, v71
	;;#ASMSTART
	v_nop
 v_nop
 v_add_f32_dpp v67, v67, v67 row_ror:4
	;;#ASMEND
	;;#ASMSTART
	v_nop
 v_nop
 v_add_f32_dpp v67, v67, v67 row_ror:8
	;;#ASMEND
	ds_bpermute_b32 v67, v78, v67
	s_waitcnt lgkmcnt(0)
	;;#ASMSTART
	v_nop
 v_nop
 v_add_f32_dpp v67, v67, v67 row_ror:4
	;;#ASMEND
	v_cmp_gt_u32_e32 vcc, 4, v1
	;;#ASMSTART
	v_nop
 v_nop
 v_add_f32_dpp v67, v67, v67 row_ror:8
	;;#ASMEND
	s_and_saveexec_b64 s[2:3], vcc
	s_cbranch_execz .LBB347_12
; %bb.11:
	v_mul_u32_u24_e32 v75, 20, v72
	v_lshl_add_u32 v75, v73, 2, v75
	v_add_u32_e32 v75, 0x1400, v75
	ds_write2_b32 v75, v74, v67 offset1:20
.LBB347_12:
	s_or_b64 exec, exec, s[2:3]
.LBB347_13:
	s_or_b64 exec, exec, s[28:29]
	v_lshlrev_b32_e32 v67, 2, v73
	v_add_u32_e32 v67, 0x1400, v67
	s_waitcnt lgkmcnt(0)
	s_barrier
	s_load_dword s2, s[26:27], 0x8
	ds_read2_b32 v[76:77], v67 offset1:5
	ds_read2_b32 v[78:79], v67 offset0:10 offset1:15
	s_mov_b32 s9, 0xff7fffff
	s_mul_i32 s3, s6, s33
	ds_read2_b32 v[80:81], v67 offset0:20 offset1:25
	s_waitcnt lgkmcnt(0)
	v_max3_f32 v73, v76, s9, v77
	v_max3_f32 v73, v73, v78, v79
	v_sub_f32_e32 v75, v76, v73
	v_sub_f32_e32 v76, v77, v73
	s_mul_i32 s3, s3, s2
	v_mul_f32_e32 v75, 0x3fb8aa3b, v75
	v_mul_f32_e32 v76, 0x3fb8aa3b, v76
	s_lshl_b32 s2, s3, 2
	s_mov_b32 s3, 0
	v_exp_f32_e32 v75, v75
	v_exp_f32_e32 v82, v76
	ds_read2_b32 v[76:77], v67 offset0:30 offset1:35
	v_sub_f32_e32 v67, v78, v73
	s_lshl_b64 s[4:5], s[2:3], 2
	v_mul_f32_e32 v67, 0x3fb8aa3b, v67
	v_sub_f32_e32 v78, v79, v73
	s_add_u32 s6, s12, s4
	v_exp_f32_e32 v67, v67
	v_mul_f32_e32 v78, 0x3fb8aa3b, v78
	s_addc_u32 s8, s13, s5
	v_exp_f32_e32 v78, v78
	s_mov_b32 s11, s3
	s_add_u32 s9, s14, s4
	v_fma_f32 v75, v75, v80, 0
	s_addc_u32 s12, s15, s5
	s_lshl_b64 s[4:5], s[10:11], 2
	v_fmac_f32_e32 v75, v82, v81
	s_add_u32 s9, s9, s4
	s_waitcnt lgkmcnt(0)
	v_fmac_f32_e32 v75, v67, v76
	v_mul_lo_u32 v66, s33, v66
	v_mov_b32_e32 v67, 0
	s_addc_u32 s11, s12, s5
	v_fmac_f32_e32 v75, v78, v77
	v_lshlrev_b64 v[76:77], 2, v[66:67]
	s_add_u32 s4, s6, s4
	v_mov_b32_e32 v66, s11
	v_add_co_u32_e32 v78, vcc, s9, v76
	s_addc_u32 s5, s8, s5
	v_addc_co_u32_e32 v79, vcc, v66, v77, vcc
	v_mov_b32_e32 v66, s5
	v_add_co_u32_e32 v76, vcc, s4, v76
	v_addc_co_u32_e32 v77, vcc, v66, v77, vcc
	v_lshlrev_b32_e32 v72, 3, v72
	global_store_dword v[78:79], v73, off
	global_store_dword v[76:77], v75, off
	s_and_saveexec_b64 s[4:5], s[0:1]
	s_xor_b64 s[0:1], exec, s[4:5]
	s_cbranch_execz .LBB347_15
; %bb.14:
	s_waitcnt vmcnt(17)
	v_mad_u32_u24 v2, v1, 40, v72
	v_mov_b32_e32 v66, v67
	ds_write_b64 v2, v[66:67]
                                        ; implicit-def: $vgpr71
                                        ; implicit-def: $vgpr69
                                        ; implicit-def: $vgpr3
                                        ; implicit-def: $vgpr7
                                        ; implicit-def: $vgpr11
                                        ; implicit-def: $vgpr15
                                        ; implicit-def: $vgpr47
                                        ; implicit-def: $vgpr35
                                        ; implicit-def: $vgpr39
                                        ; implicit-def: $vgpr43
                                        ; implicit-def: $vgpr27
                                        ; implicit-def: $vgpr19
                                        ; implicit-def: $vgpr23
                                        ; implicit-def: $vgpr31
                                        ; implicit-def: $vgpr51
                                        ; implicit-def: $vgpr55
                                        ; implicit-def: $vgpr59
                                        ; implicit-def: $vgpr63
                                        ; implicit-def: $vgpr74
                                        ; implicit-def: $vgpr73
                                        ; implicit-def: $vgpr75
.LBB347_15:
	s_or_saveexec_b64 s[0:1], s[0:1]
	v_mov_b32_e32 v66, s3
	v_mov_b32_e32 v67, s3
	s_xor_b64 exec, exec, s[0:1]
	s_cbranch_execz .LBB347_17
; %bb.16:
	v_add_f32_e32 v66, 0x358637bd, v75
	v_div_scale_f32 v67, s[4:5], v66, v66, 1.0
	v_rcp_f32_e32 v75, v67
	v_sub_f32_e32 v73, v74, v73
	v_mul_f32_e32 v73, 0x3fb8aa3b, v73
	v_exp_f32_e32 v73, v73
	v_fma_f32 v74, -v67, v75, 1.0
	v_fmac_f32_e32 v75, v74, v75
	v_div_scale_f32 v74, vcc, 1.0, v66, 1.0
	v_mul_f32_e32 v76, v74, v75
	v_fma_f32 v77, -v67, v76, v74
	v_fmac_f32_e32 v76, v77, v75
	v_fma_f32 v67, -v67, v76, v74
	v_div_fmas_f32 v67, v67, v75, v76
	v_div_fixup_f32 v66, v67, v66, 1.0
	v_mul_f32_e32 v66, v73, v66
	v_pk_mul_f32 v[70:71], v[70:71], v[66:67] op_sel_hi:[1,0]
	v_pk_mul_f32 v[66:67], v[68:69], v[66:67] op_sel_hi:[1,0]
	v_bfe_u32 v68, v67, 16, 1
	v_bfe_u32 v69, v66, 16, 1
	s_movk_i32 s3, 0x7fff
	v_add3_u32 v66, v66, v69, s3
	v_add3_u32 v67, v67, v68, s3
	s_mov_b32 s4, 0x7060302
	v_perm_b32 v66, v67, v66, s4
	v_bfe_u32 v67, v71, 16, 1
	v_bfe_u32 v68, v70, 16, 1
	v_add3_u32 v68, v70, v68, s3
	v_add3_u32 v67, v71, v67, s3
	v_perm_b32 v67, v67, v68, s4
	s_waitcnt vmcnt(17)
	s_nop 0
	v_mfma_f32_4x4x4bf16_1k a[0:3], v[66:67], v[2:3], 0 cbsz:4
	v_mfma_f32_4x4x4bf16_1k a[0:3], v[66:67], v[4:5], a[0:3] cbsz:4 abid:1
	s_waitcnt vmcnt(16)
	v_mfma_f32_4x4x4bf16_1k a[0:3], v[66:67], v[6:7], a[0:3] cbsz:4 abid:2
	v_mfma_f32_4x4x4bf16_1k a[0:3], v[66:67], v[8:9], a[0:3] cbsz:4 abid:3
	s_waitcnt vmcnt(15)
	v_mfma_f32_4x4x4bf16_1k a[0:3], v[66:67], v[10:11], a[0:3] cbsz:4 abid:4
	;; [unrolled: 3-line block ×6, first 2 shown]
	v_mfma_f32_4x4x4bf16_1k a[4:7], v[66:67], v[26:27], 0 cbsz:4
	v_mfma_f32_4x4x4bf16_1k a[0:3], v[66:67], v[40:41], a[0:3] cbsz:4 abid:13
	v_mfma_f32_4x4x4bf16_1k a[4:7], v[66:67], v[28:29], a[4:7] cbsz:4 abid:1
	s_waitcnt vmcnt(6)
	v_mfma_f32_4x4x4bf16_1k a[0:3], v[66:67], v[42:43], a[0:3] cbsz:4 abid:14
	v_mfma_f32_4x4x4bf16_1k a[4:7], v[66:67], v[18:19], a[4:7] cbsz:4 abid:2
	v_mfma_f32_4x4x4bf16_1k a[0:3], v[66:67], v[44:45], a[0:3] cbsz:4 abid:15
	s_nop 4
	v_accvgpr_read_b32 v3, a2
	v_accvgpr_read_b32 v4, a3
	;; [unrolled: 1-line block ×4, first 2 shown]
	v_mfma_f32_4x4x4bf16_1k a[0:3], v[66:67], v[20:21], a[4:7] cbsz:4 abid:3
	v_bfe_u32 v6, v5, 16, 1
	v_mfma_f32_4x4x4bf16_1k a[0:3], v[66:67], v[22:23], a[0:3] cbsz:4 abid:4
	v_bfe_u32 v7, v2, 16, 1
	v_mfma_f32_4x4x4bf16_1k a[0:3], v[66:67], v[24:25], a[0:3] cbsz:4 abid:5
	v_add3_u32 v2, v2, v7, s3
	v_mfma_f32_4x4x4bf16_1k a[0:3], v[66:67], v[30:31], a[0:3] cbsz:4 abid:6
	v_add3_u32 v5, v5, v6, s3
	v_mfma_f32_4x4x4bf16_1k a[0:3], v[66:67], v[32:33], a[0:3] cbsz:4 abid:7
	v_perm_b32 v2, v5, v2, s4
	s_waitcnt vmcnt(5)
	v_mfma_f32_4x4x4bf16_1k a[0:3], v[66:67], v[50:51], a[0:3] cbsz:4 abid:8
	v_bfe_u32 v5, v4, 16, 1
	v_mfma_f32_4x4x4bf16_1k a[0:3], v[66:67], v[52:53], a[0:3] cbsz:4 abid:9
	v_bfe_u32 v6, v3, 16, 1
	s_waitcnt vmcnt(4)
	v_mfma_f32_4x4x4bf16_1k a[0:3], v[66:67], v[54:55], a[0:3] cbsz:4 abid:10
	v_add3_u32 v3, v3, v6, s3
	v_mfma_f32_4x4x4bf16_1k a[0:3], v[66:67], v[56:57], a[0:3] cbsz:4 abid:11
	v_add3_u32 v4, v4, v5, s3
	s_waitcnt vmcnt(3)
	v_mfma_f32_4x4x4bf16_1k a[0:3], v[66:67], v[58:59], a[0:3] cbsz:4 abid:12
	v_perm_b32 v3, v4, v3, s4
	v_mfma_f32_4x4x4bf16_1k a[0:3], v[66:67], v[60:61], a[0:3] cbsz:4 abid:13
	v_mad_u32_u24 v4, v1, 40, v72
	s_waitcnt vmcnt(2)
	v_mfma_f32_4x4x4bf16_1k a[0:3], v[66:67], v[62:63], a[0:3] cbsz:4 abid:14
	ds_write_b64 v4, v[2:3]
	v_mfma_f32_4x4x4bf16_1k a[0:3], v[66:67], v[64:65], a[0:3] cbsz:4 abid:15
	s_nop 4
	v_accvgpr_read_b32 v4, a0
	v_accvgpr_read_b32 v5, a1
	;; [unrolled: 1-line block ×4, first 2 shown]
	v_bfe_u32 v6, v5, 16, 1
	v_bfe_u32 v7, v4, 16, 1
	v_add3_u32 v4, v4, v7, s3
	v_add3_u32 v5, v5, v6, s3
	v_bfe_u32 v6, v3, 16, 1
	v_bfe_u32 v7, v2, 16, 1
	v_add3_u32 v2, v2, v7, s3
	v_add3_u32 v3, v3, v6, s3
	v_perm_b32 v67, v3, v2, s4
	v_perm_b32 v66, v5, v4, s4
.LBB347_17:
	s_or_b64 exec, exec, s[0:1]
	s_waitcnt vmcnt(17)
	v_mad_u32_u24 v2, v1, 40, v72
	v_cmp_gt_u32_e32 vcc, 64, v0
	ds_write_b64 v2, v[66:67] offset:2560
	s_waitcnt lgkmcnt(0)
	s_barrier
	s_and_saveexec_b64 s[0:1], vcc
	s_cbranch_execz .LBB347_19
; %bb.18:
	s_waitcnt vmcnt(16)
	v_mul_u32_u24_e32 v6, 40, v1
	ds_read2_b64 v[2:5], v6 offset1:1
	ds_read2_b64 v[6:9], v6 offset0:2 offset1:3
	s_mov_b32 s1, 0
	s_lshl_b32 s0, s2, 7
	s_lshl_b64 s[2:3], s[0:1], 1
	s_waitcnt vmcnt(15) lgkmcnt(1)
	v_lshlrev_b32_e32 v10, 16, v2
	v_and_b32_e32 v2, 0xffff0000, v2
	v_add_f32_e32 v2, 0, v2
	v_lshlrev_b32_e32 v11, 16, v3
	v_and_b32_e32 v3, 0xffff0000, v3
	v_and_b32_e32 v2, 0xffff0000, v2
	v_add_f32_e32 v11, 0, v11
	v_add_f32_e32 v3, 0, v3
	v_lshlrev_b32_e32 v12, 16, v4
	v_and_b32_e32 v4, 0xffff0000, v4
	v_add_f32_e32 v10, 0, v10
	v_and_b32_e32 v11, 0xffff0000, v11
	v_and_b32_e32 v3, 0xffff0000, v3
	v_add_f32_e32 v2, v2, v4
	v_lshlrev_b32_e32 v4, 16, v5
	v_and_b32_e32 v5, 0xffff0000, v5
	v_and_b32_e32 v10, 0xffff0000, v10
	;; [unrolled: 1-line block ×3, first 2 shown]
	v_add_f32_e32 v4, v11, v4
	v_add_f32_e32 v3, v3, v5
	s_waitcnt lgkmcnt(0)
	v_lshlrev_b32_e32 v5, 16, v6
	v_and_b32_e32 v6, 0xffff0000, v6
	v_add_f32_e32 v10, v10, v12
	v_and_b32_e32 v4, 0xffff0000, v4
	v_add_f32_e32 v2, v2, v6
	v_lshlrev_b32_e32 v6, 16, v7
	v_and_b32_e32 v10, 0xffff0000, v10
	v_and_b32_e32 v3, 0xffff0000, v3
	v_add_f32_e32 v4, v4, v6
	v_and_b32_e32 v6, 0xffff0000, v7
	v_add_f32_e32 v5, v10, v5
	v_add_f32_e32 v3, v3, v6
	v_and_b32_e32 v5, 0xffff0000, v5
	v_and_b32_e32 v6, 0xffff0000, v3
	v_lshlrev_b32_e32 v3, 16, v8
	v_and_b32_e32 v2, 0xffff0000, v2
	v_add_f32_e32 v10, v5, v3
	v_and_b32_e32 v3, 0xffff0000, v8
	v_and_b32_e32 v4, 0xffff0000, v4
	v_add_f32_e32 v11, v2, v3
	v_lshlrev_b32_e32 v2, 16, v9
	v_add_f32_e32 v12, v4, v2
	v_mov_b32_e32 v2, 0xa00
	v_mad_u32_u24 v2, v1, 40, v2
	ds_read2_b64 v[2:5], v2 offset1:1
	v_and_b32_e32 v7, 0xffff0000, v9
	v_add_f32_e32 v13, v6, v7
	v_mov_b32_e32 v6, 0xa10
	v_mad_u32_u24 v1, v1, 40, v6
	ds_read2_b64 v[6:9], v1 offset1:1
	s_waitcnt lgkmcnt(1)
	v_lshlrev_b32_e32 v1, 16, v2
	v_and_b32_e32 v2, 0xffff0000, v2
	v_add_f32_e32 v1, 0, v1
	v_add_f32_e32 v2, 0, v2
	s_waitcnt vmcnt(14)
	v_lshlrev_b32_e32 v14, 16, v3
	v_and_b32_e32 v3, 0xffff0000, v3
	v_and_b32_e32 v1, 0xffff0000, v1
	;; [unrolled: 1-line block ×3, first 2 shown]
	v_add_f32_e32 v3, 0, v3
	v_lshlrev_b32_e32 v15, 16, v4
	v_and_b32_e32 v4, 0xffff0000, v4
	v_add_f32_e32 v14, 0, v14
	v_and_b32_e32 v3, 0xffff0000, v3
	v_add_f32_e32 v1, v1, v15
	v_add_f32_e32 v2, v2, v4
	v_lshlrev_b32_e32 v4, 16, v5
	v_and_b32_e32 v5, 0xffff0000, v5
	v_and_b32_e32 v14, 0xffff0000, v14
	;; [unrolled: 1-line block ×3, first 2 shown]
	v_add_f32_e32 v3, v3, v5
	s_waitcnt lgkmcnt(0)
	v_lshlrev_b32_e32 v5, 16, v6
	v_and_b32_e32 v2, 0xffff0000, v2
	v_add_f32_e32 v4, v14, v4
	v_add_f32_e32 v1, v1, v5
	v_and_b32_e32 v5, 0xffff0000, v6
	v_and_b32_e32 v4, 0xffff0000, v4
	v_add_f32_e32 v2, v2, v5
	v_lshlrev_b32_e32 v5, 16, v7
	s_add_u32 s2, s24, s2
	v_and_b32_e32 v3, 0xffff0000, v3
	v_add_f32_e32 v4, v4, v5
	v_and_b32_e32 v5, 0xffff0000, v7
	s_addc_u32 s3, s25, s3
	s_lshl_b32 s0, s10, 7
	v_and_b32_e32 v1, 0xffff0000, v1
	v_add_f32_e32 v3, v3, v5
	v_lshlrev_b32_e32 v5, 16, v8
	s_lshl_b64 s[0:1], s[0:1], 1
	v_and_b32_e32 v2, 0xffff0000, v2
	v_add_f32_e32 v14, v1, v5
	v_and_b32_e32 v1, 0xffff0000, v8
	s_add_u32 s0, s2, s0
	v_and_b32_e32 v4, 0xffff0000, v4
	v_add_f32_e32 v15, v2, v1
	v_lshlrev_b32_e32 v1, 16, v9
	s_addc_u32 s1, s3, s1
	s_lshl_b32 s2, s33, 7
	v_and_b32_e32 v3, 0xffff0000, v3
	v_add_f32_e32 v16, v4, v1
	v_and_b32_e32 v1, 0xffff0000, v9
	s_mul_i32 s3, s2, s7
	v_add_f32_e32 v17, v3, v1
	v_or_b32_e32 v2, s3, v0
	v_mov_b32_e32 v3, 0
	v_lshlrev_b64 v[4:5], 1, v[2:3]
	s_add_i32 s3, s3, s2
	v_mov_b32_e32 v1, s1
	v_add_co_u32_e32 v4, vcc, s0, v4
	v_or_b32_e32 v2, s3, v0
	v_addc_co_u32_e32 v5, vcc, v1, v5, vcc
	v_lshlrev_b64 v[6:7], 1, v[2:3]
	s_add_i32 s3, s3, s2
	v_add_co_u32_e32 v6, vcc, s0, v6
	v_or_b32_e32 v2, s3, v0
	v_addc_co_u32_e32 v7, vcc, v1, v7, vcc
	v_lshlrev_b64 v[8:9], 1, v[2:3]
	s_add_i32 s3, s3, s2
	v_add_co_u32_e32 v8, vcc, s0, v8
	v_or_b32_e32 v2, s3, v0
	v_addc_co_u32_e32 v9, vcc, v1, v9, vcc
	v_lshlrev_b64 v[0:1], 1, v[2:3]
	v_mov_b32_e32 v2, s1
	v_add_co_u32_e32 v0, vcc, s0, v0
	v_addc_co_u32_e32 v1, vcc, v2, v1, vcc
	global_store_short_d16_hi v[4:5], v10, off
	global_store_short_d16_hi v[6:7], v11, off
	;; [unrolled: 1-line block ×4, first 2 shown]
	global_store_short_d16_hi v[4:5], v14, off offset:128
	global_store_short_d16_hi v[6:7], v15, off offset:128
	;; [unrolled: 1-line block ×4, first 2 shown]
.LBB347_19:
	s_endpgm
.LBB347_20:
	s_mov_b64 s[12:13], 0
                                        ; implicit-def: $sgpr30_sgpr31
	s_branch .LBB347_2
	.section	.rodata,"a",@progbits
	.p2align	6, 0x0
	.amdhsa_kernel _Z38paged_attention_ll4mi_QKV_mfma4_kernelI14__hip_bfloat16S0_LN4vllm18Fp8KVCacheDataTypeE0ES0_Li32ELi128ELi256ELb1ELi4EEvPKT_PKT0_S8_ifPKiSA_SA_iPKfiiiPfSD_PS3_PT2_iSC_SC_
		.amdhsa_group_segment_fixed_size 5280
		.amdhsa_private_segment_fixed_size 0
		.amdhsa_kernarg_size 400
		.amdhsa_user_sgpr_count 6
		.amdhsa_user_sgpr_private_segment_buffer 1
		.amdhsa_user_sgpr_dispatch_ptr 0
		.amdhsa_user_sgpr_queue_ptr 0
		.amdhsa_user_sgpr_kernarg_segment_ptr 1
		.amdhsa_user_sgpr_dispatch_id 0
		.amdhsa_user_sgpr_flat_scratch_init 0
		.amdhsa_user_sgpr_kernarg_preload_length 0
		.amdhsa_user_sgpr_kernarg_preload_offset 0
		.amdhsa_user_sgpr_private_segment_size 0
		.amdhsa_uses_dynamic_stack 0
		.amdhsa_system_sgpr_private_segment_wavefront_offset 0
		.amdhsa_system_sgpr_workgroup_id_x 1
		.amdhsa_system_sgpr_workgroup_id_y 1
		.amdhsa_system_sgpr_workgroup_id_z 1
		.amdhsa_system_sgpr_workgroup_info 0
		.amdhsa_system_vgpr_workitem_id 0
		.amdhsa_next_free_vgpr 96
		.amdhsa_next_free_sgpr 40
		.amdhsa_accum_offset 88
		.amdhsa_reserve_vcc 1
		.amdhsa_reserve_flat_scratch 0
		.amdhsa_float_round_mode_32 0
		.amdhsa_float_round_mode_16_64 0
		.amdhsa_float_denorm_mode_32 3
		.amdhsa_float_denorm_mode_16_64 3
		.amdhsa_dx10_clamp 1
		.amdhsa_ieee_mode 1
		.amdhsa_fp16_overflow 0
		.amdhsa_tg_split 0
		.amdhsa_exception_fp_ieee_invalid_op 0
		.amdhsa_exception_fp_denorm_src 0
		.amdhsa_exception_fp_ieee_div_zero 0
		.amdhsa_exception_fp_ieee_overflow 0
		.amdhsa_exception_fp_ieee_underflow 0
		.amdhsa_exception_fp_ieee_inexact 0
		.amdhsa_exception_int_div_zero 0
	.end_amdhsa_kernel
	.section	.text._Z38paged_attention_ll4mi_QKV_mfma4_kernelI14__hip_bfloat16S0_LN4vllm18Fp8KVCacheDataTypeE0ES0_Li32ELi128ELi256ELb1ELi4EEvPKT_PKT0_S8_ifPKiSA_SA_iPKfiiiPfSD_PS3_PT2_iSC_SC_,"axG",@progbits,_Z38paged_attention_ll4mi_QKV_mfma4_kernelI14__hip_bfloat16S0_LN4vllm18Fp8KVCacheDataTypeE0ES0_Li32ELi128ELi256ELb1ELi4EEvPKT_PKT0_S8_ifPKiSA_SA_iPKfiiiPfSD_PS3_PT2_iSC_SC_,comdat
.Lfunc_end347:
	.size	_Z38paged_attention_ll4mi_QKV_mfma4_kernelI14__hip_bfloat16S0_LN4vllm18Fp8KVCacheDataTypeE0ES0_Li32ELi128ELi256ELb1ELi4EEvPKT_PKT0_S8_ifPKiSA_SA_iPKfiiiPfSD_PS3_PT2_iSC_SC_, .Lfunc_end347-_Z38paged_attention_ll4mi_QKV_mfma4_kernelI14__hip_bfloat16S0_LN4vllm18Fp8KVCacheDataTypeE0ES0_Li32ELi128ELi256ELb1ELi4EEvPKT_PKT0_S8_ifPKiSA_SA_iPKfiiiPfSD_PS3_PT2_iSC_SC_
                                        ; -- End function
	.section	.AMDGPU.csdata,"",@progbits
; Kernel info:
; codeLenInByte = 4524
; NumSgprs: 44
; NumVgprs: 86
; NumAgprs: 8
; TotalNumVgprs: 96
; ScratchSize: 0
; MemoryBound: 0
; FloatMode: 240
; IeeeMode: 1
; LDSByteSize: 5280 bytes/workgroup (compile time only)
; SGPRBlocks: 5
; VGPRBlocks: 11
; NumSGPRsForWavesPerEU: 44
; NumVGPRsForWavesPerEU: 96
; AccumOffset: 88
; Occupancy: 5
; WaveLimiterHint : 1
; COMPUTE_PGM_RSRC2:SCRATCH_EN: 0
; COMPUTE_PGM_RSRC2:USER_SGPR: 6
; COMPUTE_PGM_RSRC2:TRAP_HANDLER: 0
; COMPUTE_PGM_RSRC2:TGID_X_EN: 1
; COMPUTE_PGM_RSRC2:TGID_Y_EN: 1
; COMPUTE_PGM_RSRC2:TGID_Z_EN: 1
; COMPUTE_PGM_RSRC2:TIDIG_COMP_CNT: 0
; COMPUTE_PGM_RSRC3_GFX90A:ACCUM_OFFSET: 21
; COMPUTE_PGM_RSRC3_GFX90A:TG_SPLIT: 0
	.section	.text._Z39paged_attention_ll4mi_QKV_mfma16_kernelI14__hip_bfloat16S0_LN4vllm18Fp8KVCacheDataTypeE0ES0_Li32ELi128ELi256ELb1ELi5EL8MFMAType0EEvPKT_PKT0_S9_ifPKiSB_SB_iPKfiiiPfSE_PS4_PT2_iSD_SD_,"axG",@progbits,_Z39paged_attention_ll4mi_QKV_mfma16_kernelI14__hip_bfloat16S0_LN4vllm18Fp8KVCacheDataTypeE0ES0_Li32ELi128ELi256ELb1ELi5EL8MFMAType0EEvPKT_PKT0_S9_ifPKiSB_SB_iPKfiiiPfSE_PS4_PT2_iSD_SD_,comdat
	.protected	_Z39paged_attention_ll4mi_QKV_mfma16_kernelI14__hip_bfloat16S0_LN4vllm18Fp8KVCacheDataTypeE0ES0_Li32ELi128ELi256ELb1ELi5EL8MFMAType0EEvPKT_PKT0_S9_ifPKiSB_SB_iPKfiiiPfSE_PS4_PT2_iSD_SD_ ; -- Begin function _Z39paged_attention_ll4mi_QKV_mfma16_kernelI14__hip_bfloat16S0_LN4vllm18Fp8KVCacheDataTypeE0ES0_Li32ELi128ELi256ELb1ELi5EL8MFMAType0EEvPKT_PKT0_S9_ifPKiSB_SB_iPKfiiiPfSE_PS4_PT2_iSD_SD_
	.globl	_Z39paged_attention_ll4mi_QKV_mfma16_kernelI14__hip_bfloat16S0_LN4vllm18Fp8KVCacheDataTypeE0ES0_Li32ELi128ELi256ELb1ELi5EL8MFMAType0EEvPKT_PKT0_S9_ifPKiSB_SB_iPKfiiiPfSE_PS4_PT2_iSD_SD_
	.p2align	8
	.type	_Z39paged_attention_ll4mi_QKV_mfma16_kernelI14__hip_bfloat16S0_LN4vllm18Fp8KVCacheDataTypeE0ES0_Li32ELi128ELi256ELb1ELi5EL8MFMAType0EEvPKT_PKT0_S9_ifPKiSB_SB_iPKfiiiPfSE_PS4_PT2_iSD_SD_,@function
_Z39paged_attention_ll4mi_QKV_mfma16_kernelI14__hip_bfloat16S0_LN4vllm18Fp8KVCacheDataTypeE0ES0_Li32ELi128ELi256ELb1ELi5EL8MFMAType0EEvPKT_PKT0_S9_ifPKiSB_SB_iPKfiiiPfSE_PS4_PT2_iSD_SD_: ; @_Z39paged_attention_ll4mi_QKV_mfma16_kernelI14__hip_bfloat16S0_LN4vllm18Fp8KVCacheDataTypeE0ES0_Li32ELi128ELi256ELb1ELi5EL8MFMAType0EEvPKT_PKT0_S9_ifPKiSB_SB_iPKfiiiPfSE_PS4_PT2_iSD_SD_
; %bb.0:
	s_mov_b64 s[46:47], s[2:3]
	s_mov_b64 s[44:45], s[0:1]
	s_load_dwordx2 s[0:1], s[4:5], 0x30
	s_add_u32 s44, s44, s9
	s_addc_u32 s45, s45, 0
	s_mov_b32 s26, s7
	s_mov_b64 s[10:11], 0
	s_waitcnt lgkmcnt(0)
	s_cmp_lg_u64 s[0:1], 0
	s_cselect_b64 s[2:3], -1, 0
	s_and_b64 vcc, exec, s[2:3]
	s_cbranch_vccz .LBB348_7
; %bb.1:
	s_add_i32 s12, s6, 1
	s_mov_b32 s13, 0
	s_lshl_b64 s[14:15], s[12:13], 2
	s_add_u32 s14, s0, s14
	s_mov_b32 s7, s13
	s_addc_u32 s15, s1, s15
	s_lshl_b64 s[12:13], s[6:7], 2
	s_add_u32 s12, s0, s12
	s_addc_u32 s13, s1, s13
	s_load_dword s9, s[14:15], 0x0
	s_load_dword s16, s[12:13], 0x0
	s_waitcnt lgkmcnt(0)
	s_sub_i32 s9, s9, s16
	s_cmp_eq_u32 s9, 1
	s_cselect_b64 s[12:13], -1, 0
	s_andn2_b64 vcc, exec, s[10:11]
	s_cbranch_vccnz .LBB348_3
.LBB348_2:
	s_mov_b32 s7, 0
	s_mov_b64 s[12:13], -1
.LBB348_3:
	s_andn2_b64 vcc, exec, s[12:13]
	s_cbranch_vccnz .LBB348_22
; %bb.4:
	s_load_dwordx2 s[12:13], s[4:5], 0x28
	s_lshl_b64 s[10:11], s[6:7], 2
	s_waitcnt lgkmcnt(0)
	s_add_u32 s12, s12, s10
	s_addc_u32 s13, s13, s11
	s_load_dword s33, s[12:13], 0x0
	s_lshl_b32 s16, s26, 8
	s_waitcnt lgkmcnt(0)
	s_cmp_ge_i32 s16, s33
	s_cbranch_scc1 .LBB348_22
; %bb.5:
	s_add_i32 s14, s33, 31
	s_load_dwordx2 s[12:13], s[4:5], 0x20
	s_load_dword s9, s[4:5], 0x38
	s_ashr_i32 s15, s14, 31
	v_and_b32_e32 v1, 0xcf, v0
	s_lshr_b32 s15, s15, 27
	v_add_u32_e32 v1, s16, v1
	s_add_i32 s14, s14, s15
	v_ashrrev_i32_e32 v2, 31, v1
	s_ashr_i32 s19, s14, 5
	v_lshrrev_b32_e32 v6, 27, v2
	s_add_i32 s19, s19, -1
	v_add_u32_e32 v2, v1, v6
	s_waitcnt lgkmcnt(0)
	s_mul_i32 s14, s6, s9
	s_mov_b32 s15, 0
	v_ashrrev_i32_e32 v2, 5, v2
	v_mov_b32_e32 v7, s19
	v_cmp_gt_i32_e32 vcc, s33, v1
	s_lshl_b64 s[14:15], s[14:15], 2
	v_cndmask_b32_e32 v2, v7, v2, vcc
	s_add_u32 s17, s12, s14
	v_ashrrev_i32_e32 v3, 31, v2
	s_addc_u32 s18, s13, s15
	v_lshlrev_b64 v[2:3], 2, v[2:3]
	v_mov_b32_e32 v4, s18
	v_add_co_u32_e32 v2, vcc, s17, v2
	v_addc_co_u32_e32 v3, vcc, v4, v3, vcc
	v_or_b32_e32 v4, 16, v1
	v_add_u32_e32 v5, v4, v6
	v_ashrrev_i32_e32 v5, 5, v5
	v_cmp_gt_i32_e32 vcc, s33, v4
	v_cndmask_b32_e32 v4, v7, v5, vcc
	v_ashrrev_i32_e32 v5, 31, v4
	v_lshlrev_b64 v[4:5], 2, v[4:5]
	v_mov_b32_e32 v9, s18
	v_add_co_u32_e32 v8, vcc, s17, v4
	v_or_b32_e32 v4, 32, v1
	v_addc_co_u32_e32 v9, vcc, v9, v5, vcc
	v_add_u32_e32 v5, v4, v6
	v_ashrrev_i32_e32 v5, 5, v5
	v_cmp_gt_i32_e32 vcc, s33, v4
	v_cndmask_b32_e32 v4, v7, v5, vcc
	v_ashrrev_i32_e32 v5, 31, v4
	v_lshlrev_b64 v[4:5], 2, v[4:5]
	v_mov_b32_e32 v11, s18
	v_add_co_u32_e32 v10, vcc, s17, v4
	v_or_b32_e32 v1, 48, v1
	v_addc_co_u32_e32 v11, vcc, v11, v5, vcc
	v_add_u32_e32 v4, v1, v6
	v_ashrrev_i32_e32 v4, 5, v4
	v_cmp_gt_i32_e32 vcc, s33, v1
	v_cndmask_b32_e32 v4, v7, v4, vcc
	v_ashrrev_i32_e32 v5, 31, v4
	v_lshlrev_b64 v[4:5], 2, v[4:5]
	v_mov_b32_e32 v1, s18
	v_add_co_u32_e32 v12, vcc, s17, v4
	v_addc_co_u32_e32 v13, vcc, v1, v5, vcc
	global_load_dword v7, v[2:3], off
	global_load_dword v6, v[8:9], off
	;; [unrolled: 1-line block ×4, first 2 shown]
	s_andn2_b64 vcc, exec, s[2:3]
	s_cbranch_vccnz .LBB348_8
; %bb.6:
	s_add_u32 s0, s0, s10
	s_addc_u32 s1, s1, s11
	s_load_dword s9, s[0:1], 0x0
	s_branch .LBB348_9
.LBB348_7:
	s_mov_b64 s[12:13], 0
	s_branch .LBB348_2
.LBB348_8:
	s_mov_b32 s9, s6
.LBB348_9:
	s_load_dwordx2 s[12:13], s[4:5], 0x8
	s_load_dwordx4 s[0:3], s[4:5], 0x48
	v_lshrrev_b32_e32 v85, 6, v0
	v_bfe_u32 v1, v0, 4, 2
	v_lshl_or_b32 v8, v85, 2, v1
	v_and_b32_e32 v84, 15, v0
	v_lshlrev_b32_e32 v2, 3, v84
	v_cmp_lt_u32_e32 vcc, 4, v8
	s_and_saveexec_b64 s[10:11], vcc
	s_xor_b64 s[10:11], exec, s[10:11]
; %bb.10:
	v_mov_b32_e32 v3, 0
                                        ; implicit-def: $vgpr8
; %bb.11:
	s_or_saveexec_b64 s[14:15], s[10:11]
	s_load_dwordx2 s[10:11], s[4:5], 0x10
	s_mul_i32 s27, s8, 5
	s_xor_b64 exec, exec, s[14:15]
	s_cbranch_execz .LBB348_13
; %bb.12:
	s_load_dwordx2 s[20:21], s[4:5], 0x0
	s_waitcnt lgkmcnt(0)
	s_ashr_i32 s3, s0, 31
	s_mul_hi_u32 s22, s9, s0
	s_mul_i32 s3, s9, s3
	s_add_i32 s23, s22, s3
	s_mul_i32 s22, s9, s0
	s_lshl_b64 s[22:23], s[22:23], 1
	v_add_lshl_u32 v10, v8, s27, 7
	s_add_u32 s0, s20, s22
	v_ashrrev_i32_e32 v11, 31, v10
	s_addc_u32 s3, s21, s23
	v_lshlrev_b64 v[10:11], 1, v[10:11]
	v_mov_b32_e32 v3, s3
	v_add_co_u32_e32 v9, vcc, s0, v10
	v_addc_co_u32_e32 v3, vcc, v3, v11, vcc
	v_lshlrev_b32_e32 v10, 1, v2
	v_add_co_u32_e32 v10, vcc, v9, v10
	v_addc_co_u32_e32 v11, vcc, 0, v3, vcc
	global_load_dwordx4 v[10:13], v[10:11], off
	v_and_b32_e32 v9, 3, v0
	v_lshlrev_b32_e32 v14, 9, v84
	v_lshlrev_b32_e32 v8, 5, v8
	;; [unrolled: 1-line block ×3, first 2 shown]
	v_and_b32_e32 v14, 0x1800, v14
	v_mov_b32_e32 v3, 0
	v_or3_b32 v8, v14, v9, v8
	s_waitcnt vmcnt(0)
	ds_write_b128 v8, v[10:13]
.LBB348_13:
	s_or_b64 exec, exec, s[14:15]
	s_waitcnt lgkmcnt(0)
	s_mul_i32 s2, s8, s2
	s_mov_b32 s3, 0
	s_lshl_b64 s[2:3], s[2:3], 1
	s_add_u32 s0, s12, s2
	s_waitcnt vmcnt(3)
	v_mad_i64_i32 v[8:9], s[8:9], v7, s1, 0
	s_addc_u32 s12, s13, s3
	v_lshlrev_b64 v[8:9], 1, v[8:9]
	v_mov_b32_e32 v7, s12
	v_add_co_u32_e32 v8, vcc, s0, v8
	v_addc_co_u32_e32 v7, vcc, v7, v9, vcc
	v_lshlrev_b64 v[14:15], 1, v[2:3]
	v_add_co_u32_e32 v8, vcc, v8, v14
	v_lshlrev_b32_e32 v12, 9, v1
	v_addc_co_u32_e32 v7, vcc, v7, v15, vcc
	v_add_co_u32_e32 v2, vcc, v8, v12
	v_addc_co_u32_e32 v3, vcc, 0, v7, vcc
	v_or_b32_e32 v10, 0x1000, v12
	s_barrier
	global_load_dwordx4 v[38:41], v[2:3], off
	global_load_dwordx4 v[30:33], v[2:3], off offset:2048
	v_add_co_u32_e32 v2, vcc, v8, v10
	v_addc_co_u32_e32 v3, vcc, 0, v7, vcc
	v_or_b32_e32 v11, 0x1800, v12
	v_add_co_u32_e32 v8, vcc, v8, v11
	v_addc_co_u32_e32 v9, vcc, 0, v7, vcc
	global_load_dwordx4 v[46:49], v[2:3], off
	global_load_dwordx4 v[58:61], v[8:9], off
	s_waitcnt vmcnt(6)
	v_mad_i64_i32 v[2:3], s[8:9], v6, s1, 0
	v_lshlrev_b64 v[2:3], 1, v[2:3]
	v_mov_b32_e32 v6, s12
	v_add_co_u32_e32 v2, vcc, s0, v2
	v_addc_co_u32_e32 v3, vcc, v6, v3, vcc
	v_mov_b32_e32 v6, 0x100
	v_lshl_or_b32 v8, v84, 4, v6
	v_add_co_u32_e32 v6, vcc, v2, v8
	v_addc_co_u32_e32 v7, vcc, 0, v3, vcc
	v_add_co_u32_e32 v2, vcc, v6, v12
	v_addc_co_u32_e32 v3, vcc, 0, v7, vcc
	global_load_dwordx4 v[74:77], v[2:3], off
	global_load_dwordx4 v[70:73], v[2:3], off offset:2048
	v_add_co_u32_e32 v2, vcc, v6, v10
	v_addc_co_u32_e32 v3, vcc, 0, v7, vcc
	v_add_co_u32_e32 v6, vcc, v6, v11
	v_addc_co_u32_e32 v7, vcc, 0, v7, vcc
	global_load_dwordx4 v[78:81], v[2:3], off
	global_load_dwordx4 v[66:69], v[6:7], off
	s_waitcnt vmcnt(9)
	v_mad_i64_i32 v[2:3], s[8:9], v5, s1, 0
	v_lshlrev_b64 v[2:3], 1, v[2:3]
	v_mov_b32_e32 v5, s12
	v_add_co_u32_e32 v2, vcc, s0, v2
	v_addc_co_u32_e32 v3, vcc, v5, v3, vcc
	v_add_co_u32_e32 v5, vcc, v2, v14
	buffer_store_dword v14, off, s[44:47], 0 ; 4-byte Folded Spill
	s_nop 0
	buffer_store_dword v15, off, s[44:47], 0 offset:4 ; 4-byte Folded Spill
	v_and_b32_e32 v94, 63, v0
	v_mov_b32_e32 v87, 0
	v_addc_co_u32_e32 v7, vcc, v3, v15, vcc
	v_add_co_u32_e32 v2, vcc, v5, v12
	v_addc_co_u32_e32 v3, vcc, 0, v7, vcc
	global_load_dwordx4 v[62:65], v[2:3], off
	global_load_dwordx4 v[42:45], v[2:3], off offset:2048
	v_add_co_u32_e32 v2, vcc, v5, v10
	v_addc_co_u32_e32 v3, vcc, 0, v7, vcc
	v_add_co_u32_e32 v6, vcc, v5, v11
	v_addc_co_u32_e32 v7, vcc, 0, v7, vcc
	global_load_dwordx4 v[26:29], v[2:3], off
	global_load_dwordx4 v[18:21], v[6:7], off
	s_waitcnt vmcnt(14)
	v_mad_i64_i32 v[2:3], s[8:9], v4, s1, 0
	v_lshlrev_b64 v[2:3], 1, v[2:3]
	v_mov_b32_e32 v4, s12
	v_add_co_u32_e32 v2, vcc, s0, v2
	v_addc_co_u32_e32 v3, vcc, v4, v3, vcc
	v_add_co_u32_e32 v4, vcc, v2, v8
	v_addc_co_u32_e32 v5, vcc, 0, v3, vcc
	;; [unrolled: 2-line block ×3, first 2 shown]
	global_load_dwordx4 v[14:17], v[2:3], off
	global_load_dwordx4 v[6:9], v[2:3], off offset:2048
	v_add_co_u32_e32 v2, vcc, v4, v10
	v_addc_co_u32_e32 v3, vcc, 0, v5, vcc
	v_add_co_u32_e32 v10, vcc, v4, v11
	v_addc_co_u32_e32 v11, vcc, 0, v5, vcc
	global_load_dwordx4 v[2:5], v[2:3], off
	s_nop 0
	global_load_dwordx4 v[50:53], v[10:11], off
	v_mul_lo_u16_e32 v10, 52, v84
	v_mov_b32_e32 v11, 5
	v_mul_lo_u16_sdwa v10, v10, v11 dst_sel:DWORD dst_unused:UNUSED_PAD src0_sel:BYTE_1 src1_sel:DWORD
	v_sub_u16_e32 v10, v84, v10
	v_and_b32_e32 v10, 0xff, v10
	v_lshl_add_u32 v54, v10, 5, v12
	ds_read_b128 v[34:37], v54
	ds_read_b128 v[22:25], v54 offset:2048
	ds_read_b128 v[10:13], v54 offset:4096
	;; [unrolled: 1-line block ×3, first 2 shown]
	v_cmp_gt_u32_e32 vcc, 5, v84
	s_and_saveexec_b64 s[8:9], vcc
	s_cbranch_execz .LBB348_15
; %bb.14:
	s_load_dwordx2 s[12:13], s[4:5], 0x40
	v_add_u32_e32 v82, s27, v84
	v_ashrrev_i32_e32 v83, 31, v82
	v_lshlrev_b64 v[82:83], 2, v[82:83]
	s_waitcnt lgkmcnt(0)
	v_mov_b32_e32 v87, s13
	v_add_co_u32_e32 v82, vcc, s12, v82
	v_addc_co_u32_e32 v83, vcc, v87, v83, vcc
	global_load_dword v87, v[82:83], off
.LBB348_15:
	s_or_b64 exec, exec, s[8:9]
	s_waitcnt vmcnt(17) lgkmcnt(3)
	v_mfma_f32_16x16x16bf16_1k v[88:91], v[38:39], v[34:35], 0
	s_ashr_i32 s0, s16, 31
	s_lshr_b32 s0, s0, 27
	s_add_u32 s2, s10, s2
	s_addc_u32 s3, s11, s3
	s_mov_b32 s40, 0xff7fffff
	v_mfma_f32_16x16x16bf16_1k v[38:41], v[40:41], v[36:37], v[88:91]
	s_waitcnt vmcnt(16) lgkmcnt(2)
	v_mfma_f32_16x16x16bf16_1k v[38:41], v[30:31], v[22:23], v[38:41]
	s_nop 4
	v_lshl_or_b32 v88, v85, 4, v84
	v_mfma_f32_16x16x16bf16_1k v[30:33], v[32:33], v[24:25], v[38:41]
	s_waitcnt vmcnt(15) lgkmcnt(1)
	v_mfma_f32_16x16x16bf16_1k v[30:33], v[46:47], v[10:11], v[30:33]
	v_and_or_b32 v46, v0, 48, s16
	s_nop 3
	v_add_u32_e32 v38, s0, v46
	v_ashrrev_i32_e32 v38, 5, v38
	v_mov_b32_e32 v47, s19
	v_cmp_gt_i32_e32 vcc, s33, v46
	v_cndmask_b32_e32 v38, v47, v38, vcc
	v_ashrrev_i32_e32 v39, 31, v38
	v_mfma_f32_16x16x16bf16_1k v[30:33], v[48:49], v[12:13], v[30:33]
	v_or_b32_e32 v40, 64, v46
	v_add_u32_e32 v41, s0, v40
	v_ashrrev_i32_e32 v41, 5, v41
	v_mov_b32_e32 v48, s18
	s_waitcnt vmcnt(14) lgkmcnt(0)
	v_mfma_f32_16x16x16bf16_1k v[30:33], v[58:59], v[54:55], v[30:33]
	v_mfma_f32_16x16x16bf16_1k v[58:61], v[60:61], v[56:57], v[30:33]
	s_waitcnt vmcnt(13)
	v_mfma_f32_16x16x16bf16_1k v[30:33], v[74:75], v[34:35], 0
	v_mfma_f32_16x16x16bf16_1k v[30:33], v[76:77], v[36:37], v[30:33]
	v_lshlrev_b32_e32 v76, 6, v88
	s_waitcnt vmcnt(12)
	v_mfma_f32_16x16x16bf16_1k v[30:33], v[70:71], v[22:23], v[30:33]
	v_mfma_f32_16x16x16bf16_1k v[30:33], v[72:73], v[24:25], v[30:33]
	s_waitcnt vmcnt(11)
	v_mfma_f32_16x16x16bf16_1k v[30:33], v[78:79], v[10:11], v[30:33]
	v_mfma_f32_16x16x16bf16_1k v[30:33], v[80:81], v[12:13], v[30:33]
	;; [unrolled: 3-line block ×3, first 2 shown]
	s_nop 7
	s_nop 1
	v_lshlrev_b64 v[30:31], 2, v[38:39]
	v_mov_b32_e32 v32, s18
	v_add_co_u32_e32 v38, vcc, s17, v30
	v_addc_co_u32_e32 v39, vcc, v32, v31, vcc
	v_cmp_gt_i32_e32 vcc, s33, v40
	v_cndmask_b32_e32 v40, v47, v41, vcc
	v_ashrrev_i32_e32 v41, 31, v40
	v_lshlrev_b64 v[40:41], 2, v[40:41]
	v_add_co_u32_e32 v40, vcc, s17, v40
	v_addc_co_u32_e32 v41, vcc, v48, v41, vcc
	global_load_dword v48, v[38:39], off
	s_nop 0
	global_load_dword v40, v[40:41], off
	v_or_b32_e32 v38, 0x80, v46
	v_add_u32_e32 v39, s0, v38
	v_ashrrev_i32_e32 v39, 5, v39
	v_cmp_gt_i32_e32 vcc, s33, v38
	v_cndmask_b32_e32 v38, v47, v39, vcc
	v_ashrrev_i32_e32 v39, 31, v38
	v_lshlrev_b64 v[38:39], 2, v[38:39]
	v_mov_b32_e32 v41, s18
	v_add_co_u32_e32 v38, vcc, s17, v38
	v_addc_co_u32_e32 v39, vcc, v41, v39, vcc
	s_waitcnt vmcnt(9)
	v_mfma_f32_16x16x16bf16_1k v[30:33], v[62:63], v[34:35], 0
	global_load_dword v62, v[38:39], off
	v_or_b32_e32 v38, 0xc0, v46
	v_add_u32_e32 v39, s0, v38
	v_ashrrev_i32_e32 v39, 5, v39
	v_cmp_gt_i32_e32 vcc, s33, v38
	v_cndmask_b32_e32 v38, v47, v39, vcc
	v_ashrrev_i32_e32 v39, 31, v38
	v_mfma_f32_16x16x16bf16_1k v[30:33], v[64:65], v[36:37], v[30:33]
	s_load_dword s0, s[4:5], 0x1c
	s_waitcnt lgkmcnt(0)
	v_pk_mul_f32 v[58:59], s[0:1], v[58:59] op_sel_hi:[0,1]
	s_waitcnt vmcnt(9)
	v_mfma_f32_16x16x16bf16_1k v[30:33], v[42:43], v[22:23], v[30:33]
	v_mfma_f32_16x16x16bf16_1k v[30:33], v[44:45], v[24:25], v[30:33]
	s_waitcnt vmcnt(8)
	v_mfma_f32_16x16x16bf16_1k v[30:33], v[26:27], v[10:11], v[30:33]
	v_lshlrev_b64 v[26:27], 2, v[38:39]
	v_mov_b32_e32 v39, s18
	v_add_co_u32_e32 v38, vcc, s17, v26
	v_addc_co_u32_e32 v39, vcc, v39, v27, vcc
	global_load_dword v63, v[38:39], off
	v_mfma_f32_16x16x16bf16_1k v[26:29], v[28:29], v[12:13], v[30:33]
	s_waitcnt vmcnt(8)
	v_mfma_f32_16x16x16bf16_1k v[26:29], v[18:19], v[54:55], v[26:29]
	s_nop 4
	v_and_b32_e32 v30, 16, v0
	v_lshlrev_b32_e32 v30, 1, v30
	v_mov_b32_e32 v18, s3
	v_add_co_u32_e32 v74, vcc, s2, v30
	v_addc_co_u32_e32 v75, vcc, 0, v18, vcc
	v_mfma_f32_16x16x16bf16_1k v[90:93], v[20:21], v[56:57], v[26:29]
	v_add_co_u32_e32 v77, vcc, v74, v76
	v_addc_co_u32_e32 v78, vcc, 0, v75, vcc
	s_waitcnt vmcnt(3)
	v_mad_i64_i32 v[18:19], s[2:3], v48, s1, 0
	v_lshlrev_b64 v[70:71], 1, v[18:19]
	v_mfma_f32_16x16x16bf16_1k v[18:21], v[14:15], v[34:35], 0
	v_add_co_u32_e32 v14, vcc, v77, v70
	v_addc_co_u32_e32 v15, vcc, v78, v71, vcc
	global_load_dwordx4 v[46:49], v[14:15], off
	global_load_dwordx4 v[42:45], v[14:15], off offset:16
	s_waitcnt vmcnt(4)
	v_mad_i64_i32 v[14:15], s[2:3], v40, s1, 0
	v_lshlrev_b64 v[72:73], 1, v[14:15]
	v_mfma_f32_16x16x16bf16_1k v[14:17], v[16:17], v[36:37], v[18:21]
	v_mfma_f32_16x16x16bf16_1k v[14:17], v[6:7], v[22:23], v[14:17]
	s_nop 5
	v_add_co_u32_e32 v18, vcc, v77, v72
	v_addc_co_u32_e32 v19, vcc, v78, v73, vcc
	global_load_dwordx4 v[38:41], v[18:19], off
	global_load_dwordx4 v[34:37], v[18:19], off offset:16
	s_waitcnt vmcnt(5)
	v_mad_i64_i32 v[18:19], s[2:3], v62, s1, 0
	v_lshlrev_b64 v[64:65], 1, v[18:19]
	v_add_co_u32_e32 v6, vcc, v77, v64
	v_addc_co_u32_e32 v7, vcc, v78, v65, vcc
	global_load_dwordx4 v[30:33], v[6:7], off
	global_load_dwordx4 v[26:29], v[6:7], off offset:16
	v_mfma_f32_16x16x16bf16_1k v[6:9], v[8:9], v[24:25], v[14:17]
	v_mfma_f32_16x16x16bf16_1k v[6:9], v[2:3], v[10:11], v[6:9]
	v_or_b32_e32 v2, 0x1000, v76
	s_waitcnt vmcnt(6)
	s_nop 3
	v_mad_i64_i32 v[14:15], s[2:3], v63, s1, 0
	v_mfma_f32_16x16x16bf16_1k v[10:13], v[4:5], v[12:13], v[6:9]
	v_lshlrev_b64 v[62:63], 1, v[14:15]
	v_add_co_u32_e32 v14, vcc, v77, v62
	v_addc_co_u32_e32 v15, vcc, v78, v63, vcc
	v_add_co_u32_e32 v89, vcc, v74, v2
	v_mfma_f32_16x16x16bf16_1k v[80:83], v[50:51], v[54:55], v[10:13]
	v_addc_co_u32_e32 v86, vcc, 0, v75, vcc
	v_pk_mul_f32 v[74:75], s[0:1], v[68:69] op_sel_hi:[0,1]
	v_pk_mul_f32 v[76:77], s[0:1], v[66:67] op_sel_hi:[0,1]
	;; [unrolled: 1-line block ×3, first 2 shown]
	v_add_co_u32_e32 v2, vcc, v89, v70
	v_mfma_f32_16x16x16bf16_1k v[50:53], v[52:53], v[56:57], v[80:83]
	v_addc_co_u32_e32 v3, vcc, v86, v71, vcc
	v_add_co_u32_e32 v70, vcc, v89, v72
	v_addc_co_u32_e32 v71, vcc, v86, v73, vcc
	global_load_dwordx4 v[22:25], v[14:15], off
	global_load_dwordx4 v[18:21], v[14:15], off offset:16
	s_nop 5
	v_pk_mul_f32 v[68:69], s[0:1], v[50:51] op_sel_hi:[0,1]
	v_and_b32_e32 v50, 0xc0, v0
	v_add_u32_e32 v50, s16, v50
	v_lshl_or_b32 v50, v1, 2, v50
	v_or_b32_e32 v51, 1, v50
	v_pk_mul_f32 v[66:67], s[0:1], v[52:53] op_sel_hi:[0,1]
	v_subrev_u32_e32 v52, s33, v51
	v_add_u32_e32 v54, 1, v52
	v_add_u32_e32 v55, 2, v52
	v_cvt_f32_i32_e32 v53, v52
	v_cvt_f32_i32_e32 v54, v54
	;; [unrolled: 1-line block ×3, first 2 shown]
	v_add_u32_e32 v56, 3, v52
	v_fma_f32 v58, v87, v53, v58
	v_fmac_f32_e32 v59, v87, v54
	v_fma_f32 v78, v87, v55, v78
	v_add_u32_e32 v53, 16, v52
	v_add_u32_e32 v54, 17, v52
	;; [unrolled: 1-line block ×3, first 2 shown]
	v_cvt_f32_i32_e32 v56, v56
	v_cvt_f32_i32_e32 v53, v53
	;; [unrolled: 1-line block ×4, first 2 shown]
	v_fmac_f32_e32 v79, v87, v56
	v_add_u32_e32 v56, 19, v52
	v_fma_f32 v76, v87, v53, v76
	v_fmac_f32_e32 v77, v87, v54
	v_fma_f32 v74, v87, v55, v74
	v_add_u32_e32 v53, 32, v52
	v_add_u32_e32 v54, 33, v52
	;; [unrolled: 1-line block ×3, first 2 shown]
	v_cvt_f32_i32_e32 v56, v56
	v_cvt_f32_i32_e32 v53, v53
	;; [unrolled: 1-line block ×4, first 2 shown]
	global_load_dwordx4 v[6:9], v[2:3], off
	s_nop 0
	global_load_dwordx4 v[2:5], v[2:3], off offset:16
	s_nop 0
	global_load_dwordx4 v[14:17], v[70:71], off
	global_load_dwordx4 v[10:13], v[70:71], off offset:16
	v_pk_mul_f32 v[70:71], s[0:1], v[92:93] op_sel_hi:[0,1]
	v_pk_mul_f32 v[72:73], s[0:1], v[90:91] op_sel_hi:[0,1]
	v_fmac_f32_e32 v75, v87, v56
	v_add_u32_e32 v56, 35, v52
	v_fma_f32 v72, v87, v53, v72
	v_fmac_f32_e32 v73, v87, v54
	v_fma_f32 v70, v87, v55, v70
	v_add_u32_e32 v53, 48, v52
	v_add_u32_e32 v54, 49, v52
	;; [unrolled: 1-line block ×4, first 2 shown]
	v_cvt_f32_i32_e32 v52, v52
	v_cvt_f32_i32_e32 v53, v53
	;; [unrolled: 1-line block ×3, first 2 shown]
	v_cmp_gt_i32_e64 s[28:29], s33, v50
	v_fmac_f32_e32 v67, v87, v52
	v_mov_b32_e32 v52, 0xff7fffff
	v_cmp_gt_i32_e64 s[30:31], s33, v51
	v_fma_f32 v68, v87, v53, v68
	v_cndmask_b32_e64 v53, v52, v58, s[28:29]
	v_cndmask_b32_e64 v51, v52, v59, s[30:31]
	v_fmac_f32_e32 v69, v87, v54
	v_max3_f32 v51, v53, s40, v51
	v_or_b32_e32 v53, 2, v50
	v_or_b32_e32 v54, 3, v50
	v_cmp_gt_i32_e64 s[34:35], s33, v53
	v_cmp_gt_i32_e64 s[36:37], s33, v54
	v_cndmask_b32_e64 v53, v52, v78, s[34:35]
	v_cndmask_b32_e64 v54, v52, v79, s[36:37]
	v_max3_f32 v51, v51, v53, v54
	v_or_b32_e32 v53, 16, v50
	v_or_b32_e32 v54, 17, v50
	v_cmp_gt_i32_e64 s[22:23], s33, v53
	v_cmp_gt_i32_e64 s[24:25], s33, v54
	v_cndmask_b32_e64 v53, v52, v76, s[22:23]
	v_cndmask_b32_e64 v54, v52, v77, s[24:25]
	;; [unrolled: 7-line block ×3, first 2 shown]
	v_cvt_f32_i32_e32 v56, v56
	v_max3_f32 v51, v51, v53, v54
	v_or_b32_e32 v53, 32, v50
	v_or_b32_e32 v54, 33, v50
	v_cmp_gt_i32_e64 s[14:15], s33, v53
	v_cmp_gt_i32_e64 s[16:17], s33, v54
	v_cndmask_b32_e64 v53, v52, v72, s[14:15]
	v_cndmask_b32_e64 v54, v52, v73, s[16:17]
	v_max3_f32 v51, v51, v53, v54
	v_or_b32_e32 v53, 34, v50
	v_or_b32_e32 v54, 35, v50
	v_fmac_f32_e32 v71, v87, v56
	v_cmp_gt_i32_e64 s[10:11], s33, v53
	v_cmp_gt_i32_e64 s[12:13], s33, v54
	v_cndmask_b32_e64 v53, v52, v70, s[10:11]
	v_cndmask_b32_e64 v54, v52, v71, s[12:13]
	v_cvt_f32_i32_e32 v55, v55
	v_max3_f32 v51, v51, v53, v54
	v_or_b32_e32 v53, 48, v50
	v_or_b32_e32 v54, 49, v50
	v_cmp_gt_i32_e64 s[2:3], s33, v53
	v_cmp_gt_i32_e64 s[8:9], s33, v54
	v_cndmask_b32_e64 v53, v52, v68, s[2:3]
	v_cndmask_b32_e64 v54, v52, v69, s[8:9]
	v_max3_f32 v51, v51, v53, v54
	v_or_b32_e32 v53, 50, v50
	v_or_b32_e32 v50, 51, v50
	v_fma_f32 v66, v87, v55, v66
	v_cmp_gt_i32_e32 vcc, s33, v53
	v_cmp_gt_i32_e64 s[0:1], s33, v50
	v_cndmask_b32_e32 v53, v52, v66, vcc
	v_cndmask_b32_e64 v50, v52, v67, s[0:1]
	v_max3_f32 v60, v51, v53, v50
	v_mbcnt_lo_u32_b32 v50, -1, 0
	v_mbcnt_hi_u32_b32 v61, -1, v50
	v_and_b32_e32 v50, 64, v61
	v_add_u32_e32 v80, 64, v50
	v_xor_b32_e32 v50, 32, v61
	v_cmp_lt_i32_e64 s[38:39], v50, v80
	v_cndmask_b32_e64 v50, v61, v50, s[38:39]
	v_lshlrev_b32_e32 v82, 2, v50
	ds_bpermute_b32 v81, v82, v60
	v_add_co_u32_e64 v50, s[38:39], v89, v64
	v_addc_co_u32_e64 v51, s[38:39], v86, v65, s[38:39]
	s_waitcnt lgkmcnt(0)
	v_max_f32_e32 v64, v81, v81
	v_max_f32_e32 v64, v60, v64
	v_xor_b32_e32 v60, 16, v61
	v_cmp_lt_i32_e64 s[38:39], v60, v80
	v_cndmask_b32_e64 v60, v61, v60, s[38:39]
	v_lshlrev_b32_e32 v83, 2, v60
	ds_bpermute_b32 v65, v83, v64
	v_add_co_u32_e64 v60, s[38:39], v89, v62
	v_addc_co_u32_e64 v61, s[38:39], v86, v63, s[38:39]
	s_waitcnt lgkmcnt(0)
	v_max_f32_e32 v62, v65, v65
	v_max_f32_e32 v87, v64, v62
	v_sub_f32_e32 v58, v58, v87
	v_mul_f32_e32 v58, 0x3fb8aa3b, v58
	v_exp_f32_e32 v80, v58
	v_sub_f32_e32 v58, v59, v87
	v_mul_f32_e32 v58, 0x3fb8aa3b, v58
	global_load_dwordx4 v[54:57], v[50:51], off
	s_nop 0
	global_load_dwordx4 v[50:53], v[50:51], off offset:16
	v_exp_f32_e32 v81, v58
	global_load_dwordx4 v[62:65], v[60:61], off
	s_nop 0
	global_load_dwordx4 v[58:61], v[60:61], off offset:16
	v_sub_f32_e32 v78, v78, v87
	v_mul_f32_e32 v78, 0x3fb8aa3b, v78
	v_sub_f32_e32 v79, v79, v87
	v_exp_f32_e32 v78, v78
	v_mul_f32_e32 v79, 0x3fb8aa3b, v79
	v_sub_f32_e32 v76, v76, v87
	v_exp_f32_e32 v79, v79
	v_mul_f32_e32 v76, 0x3fb8aa3b, v76
	v_sub_f32_e32 v77, v77, v87
	v_cndmask_b32_e64 v80, 0, v80, s[28:29]
	v_exp_f32_e32 v76, v76
	v_mul_f32_e32 v77, 0x3fb8aa3b, v77
	v_sub_f32_e32 v74, v74, v87
	v_add_f32_e32 v86, 0, v80
	v_cndmask_b32_e64 v81, 0, v81, s[30:31]
	v_exp_f32_e32 v77, v77
	v_mul_f32_e32 v74, 0x3fb8aa3b, v74
	v_sub_f32_e32 v75, v75, v87
	v_add_f32_e32 v86, v86, v81
	;; [unrolled: 5-line block ×10, first 2 shown]
	v_cndmask_b32_e64 v70, 0, v70, s[10:11]
	v_exp_f32_e32 v66, v66
	v_mul_f32_e32 v67, 0x3fb8aa3b, v67
	v_add_f32_e32 v86, v86, v70
	v_cndmask_b32_e64 v71, 0, v71, s[12:13]
	v_exp_f32_e32 v67, v67
	v_add_f32_e32 v86, v86, v71
	v_cndmask_b32_e64 v68, 0, v68, s[2:3]
	v_add_f32_e32 v86, v86, v68
	v_cndmask_b32_e64 v69, 0, v69, s[8:9]
	v_add_f32_e32 v86, v86, v69
	v_cndmask_b32_e32 v66, 0, v66, vcc
	v_add_f32_e32 v86, v86, v66
	v_cndmask_b32_e64 v67, 0, v67, s[0:1]
	v_add_f32_e32 v86, v86, v67
	ds_bpermute_b32 v82, v82, v86
	s_load_dword s9, s[4:5], 0x98
	v_cmp_gt_u32_e64 s[0:1], 16, v94
	s_waitcnt lgkmcnt(0)
	s_barrier
	v_add_f32_e32 v89, v86, v82
	ds_bpermute_b32 v90, v83, v89
	s_waitcnt lgkmcnt(0)
	s_and_saveexec_b64 s[2:3], s[0:1]
	s_cbranch_execz .LBB348_17
; %bb.16:
	v_add_f32_e32 v82, v89, v90
	v_lshlrev_b32_e32 v83, 2, v88
	ds_write2st64_b32 v83, v87, v82 offset1:1
.LBB348_17:
	s_or_b64 exec, exec, s[2:3]
	v_lshlrev_b32_e32 v87, 2, v84
	s_load_dword s8, s[4:5], 0x94
	s_waitcnt lgkmcnt(0)
	s_barrier
	ds_read2_b32 v[82:83], v87 offset1:16
	ds_read2_b32 v[88:89], v87 offset0:32 offset1:48
	ds_read2_b32 v[90:91], v87 offset0:64 offset1:80
	s_movk_i32 s10, 0x7fff
	s_mov_b32 s11, 0x7060302
	s_waitcnt lgkmcnt(2)
	v_max3_f32 v86, v82, s40, v83
	s_waitcnt lgkmcnt(1)
	v_max3_f32 v86, v86, v88, v89
	v_sub_f32_e32 v82, v82, v86
	v_mul_f32_e32 v82, 0x3fb8aa3b, v82
	v_exp_f32_e32 v92, v82
	v_sub_f32_e32 v82, v83, v86
	v_mul_f32_e32 v82, 0x3fb8aa3b, v82
	v_exp_f32_e32 v93, v82
	;; [unrolled: 3-line block ×3, first 2 shown]
	ds_read2_b32 v[82:83], v87 offset0:96 offset1:112
	v_sub_f32_e32 v87, v89, v86
	v_mul_f32_e32 v87, 0x3fb8aa3b, v87
	v_exp_f32_e32 v89, v87
	s_waitcnt lgkmcnt(1)
	v_fma_f32 v87, v92, v90, 0
	v_fmac_f32_e32 v87, v93, v91
	s_waitcnt lgkmcnt(0)
	v_fmac_f32_e32 v87, v88, v82
	v_fmac_f32_e32 v87, v89, v83
	v_add_f32_e32 v82, 0x358637bd, v87
	v_div_scale_f32 v83, s[2:3], v82, v82, 1.0
	v_rcp_f32_e32 v90, v83
	s_mul_i32 s9, s9, 5
	s_barrier
	v_fma_f32 v91, -v83, v90, 1.0
	v_fmac_f32_e32 v90, v91, v90
	v_div_scale_f32 v91, vcc, 1.0, v82, 1.0
	v_mul_f32_e32 v94, v91, v90
	v_fma_f32 v95, -v83, v94, v91
	v_fmac_f32_e32 v94, v95, v90
	v_fma_f32 v83, -v83, v94, v91
	v_div_fmas_f32 v83, v83, v90, v94
	v_cmp_eq_u32_e32 vcc, 1, v85
	v_div_fixup_f32 v82, v83, v82, 1.0
	v_cndmask_b32_e32 v83, v92, v93, vcc
	v_cmp_eq_u32_e32 vcc, 2, v85
	v_cndmask_b32_e32 v83, v83, v88, vcc
	v_cmp_eq_u32_e32 vcc, 3, v85
	v_cndmask_b32_e32 v83, v83, v89, vcc
	v_mul_f32_e32 v82, v83, v82
	v_pk_mul_f32 v[80:81], v[82:83], v[80:81] op_sel_hi:[0,1]
	v_pk_mul_f32 v[78:79], v[82:83], v[78:79] op_sel_hi:[0,1]
	v_bfe_u32 v83, v81, 16, 1
	v_bfe_u32 v88, v80, 16, 1
	v_add3_u32 v80, v80, v88, s10
	v_add3_u32 v81, v81, v83, s10
	v_perm_b32 v80, v81, v80, s11
	v_bfe_u32 v81, v79, 16, 1
	v_bfe_u32 v83, v78, 16, 1
	v_add3_u32 v78, v78, v83, s10
	v_add3_u32 v79, v79, v81, s10
	v_lshlrev_b32_e32 v83, 11, v85
	v_perm_b32 v81, v79, v78, s11
	v_lshlrev_b32_e32 v78, 3, v1
	v_lshlrev_b32_e32 v79, 5, v84
	v_pk_mul_f32 v[76:77], v[82:83], v[76:77] op_sel_hi:[0,1]
	v_or3_b32 v78, v83, v79, v78
	v_pk_mul_f32 v[74:75], v[82:83], v[74:75] op_sel_hi:[0,1]
	v_bfe_u32 v83, v77, 16, 1
	v_bfe_u32 v85, v76, 16, 1
	v_add3_u32 v76, v76, v85, s10
	v_add3_u32 v77, v77, v83, s10
	v_perm_b32 v76, v77, v76, s11
	v_bfe_u32 v77, v75, 16, 1
	v_bfe_u32 v83, v74, 16, 1
	v_add3_u32 v74, v74, v83, s10
	v_add3_u32 v75, v75, v77, s10
	v_pk_mul_f32 v[72:73], v[82:83], v[72:73] op_sel_hi:[0,1]
	v_perm_b32 v77, v75, v74, s11
	v_bfe_u32 v74, v73, 16, 1
	v_bfe_u32 v75, v72, 16, 1
	v_pk_mul_f32 v[70:71], v[82:83], v[70:71] op_sel_hi:[0,1]
	v_add3_u32 v72, v72, v75, s10
	v_add3_u32 v73, v73, v74, s10
	v_perm_b32 v72, v73, v72, s11
	v_bfe_u32 v73, v71, 16, 1
	v_bfe_u32 v74, v70, 16, 1
	v_add3_u32 v70, v70, v74, s10
	v_add3_u32 v71, v71, v73, s10
	v_pk_mul_f32 v[68:69], v[82:83], v[68:69] op_sel_hi:[0,1]
	v_perm_b32 v73, v71, v70, s11
	v_bfe_u32 v70, v69, 16, 1
	v_bfe_u32 v71, v68, 16, 1
	v_pk_mul_f32 v[66:67], v[82:83], v[66:67] op_sel_hi:[0,1]
	v_add3_u32 v68, v68, v71, s10
	v_add3_u32 v69, v69, v70, s10
	v_perm_b32 v68, v69, v68, s11
	v_bfe_u32 v69, v67, 16, 1
	v_bfe_u32 v70, v66, 16, 1
	v_add3_u32 v66, v66, v70, s10
	v_add3_u32 v67, v67, v69, s10
	v_perm_b32 v69, v67, v66, s11
	v_cmp_gt_u32_e32 vcc, 5, v0
	ds_write2st64_b64 v78, v[80:81], v[76:77] offset1:1
	ds_write2st64_b64 v78, v[72:73], v[68:69] offset0:2 offset1:3
	s_and_saveexec_b64 s[2:3], vcc
	s_cbranch_execz .LBB348_19
; %bb.18:
	v_add_co_u32_e32 v68, vcc, s27, v84
	v_addc_co_u32_e64 v69, s[16:17], 0, 0, vcc
	v_mov_b32_e32 v66, s9
	v_mov_b32_e32 v67, 0
	v_mad_u64_u32 v[68:69], s[16:17], s6, v66, v[68:69]
	v_mov_b32_e32 v66, s26
	s_load_dwordx4 s[12:15], s[4:5], 0x58
	s_mul_i32 s7, s7, s9
	v_mad_u64_u32 v[66:67], s[16:17], v68, s8, v[66:67]
	v_add_u32_e32 v69, s7, v69
	v_mov_b32_e32 v68, v67
	v_mad_u64_u32 v[68:69], s[16:17], v69, s8, v[68:69]
	v_mov_b32_e32 v67, v68
	v_lshlrev_b64 v[66:67], 2, v[66:67]
	s_waitcnt lgkmcnt(0)
	v_mov_b32_e32 v69, s15
	v_add_co_u32_e32 v68, vcc, s14, v66
	v_addc_co_u32_e32 v69, vcc, v69, v67, vcc
	global_store_dword v[68:69], v86, off
	v_mov_b32_e32 v68, s13
	v_add_co_u32_e32 v66, vcc, s12, v66
	v_addc_co_u32_e32 v67, vcc, v68, v67, vcc
	global_store_dword v[66:67], v87, off
.LBB348_19:
	s_or_b64 exec, exec, s[2:3]
	v_lshl_or_b32 v79, v1, 9, v79
	s_waitcnt lgkmcnt(0)
	s_barrier
	ds_read_b128 v[70:73], v79
	ds_read_b128 v[66:69], v79 offset:16
	s_waitcnt vmcnt(15) lgkmcnt(1)
	v_mfma_f32_16x16x16bf16_1k v[74:77], v[46:47], v[70:71], 0
	s_mov_b32 s3, 0
	v_cmp_gt_u32_e32 vcc, 64, v0
	v_mfma_f32_16x16x16bf16_1k v[46:49], v[48:49], v[72:73], v[74:77]
	s_waitcnt vmcnt(14) lgkmcnt(0)
	v_mfma_f32_16x16x16bf16_1k v[46:49], v[42:43], v[66:67], v[46:49]
	v_mfma_f32_16x16x16bf16_1k v[42:45], v[44:45], v[68:69], v[46:49]
	s_nop 7
	s_nop 1
	ds_read_b128 v[46:49], v79 offset:2048
	ds_read_b128 v[74:77], v79 offset:2064
	s_waitcnt vmcnt(13) lgkmcnt(1)
	v_mfma_f32_16x16x16bf16_1k v[42:45], v[38:39], v[46:47], v[42:45]
	v_mfma_f32_16x16x16bf16_1k v[38:41], v[40:41], v[48:49], v[42:45]
	s_waitcnt vmcnt(12) lgkmcnt(0)
	v_mfma_f32_16x16x16bf16_1k v[38:41], v[34:35], v[74:75], v[38:41]
	v_mfma_f32_16x16x16bf16_1k v[34:37], v[36:37], v[76:77], v[38:41]
	s_nop 7
	s_nop 1
	ds_read_b128 v[38:41], v79 offset:4096
	ds_read_b128 v[42:45], v79 offset:4112
	s_waitcnt vmcnt(11) lgkmcnt(1)
	v_mfma_f32_16x16x16bf16_1k v[34:37], v[30:31], v[38:39], v[34:37]
	v_mfma_f32_16x16x16bf16_1k v[30:33], v[32:33], v[40:41], v[34:37]
	s_waitcnt vmcnt(10) lgkmcnt(0)
	v_mfma_f32_16x16x16bf16_1k v[30:33], v[26:27], v[42:43], v[30:33]
	v_mfma_f32_16x16x16bf16_1k v[26:29], v[28:29], v[44:45], v[30:33]
	s_nop 7
	s_nop 1
	ds_read_b128 v[30:33], v79 offset:6144
	ds_read_b128 v[34:37], v79 offset:6160
	s_waitcnt lgkmcnt(0)
	s_barrier
	s_waitcnt vmcnt(9)
	v_mfma_f32_16x16x16bf16_1k v[26:29], v[22:23], v[30:31], v[26:29]
	v_mfma_f32_16x16x16bf16_1k v[22:25], v[24:25], v[32:33], v[26:29]
	s_waitcnt vmcnt(8)
	v_mfma_f32_16x16x16bf16_1k v[22:25], v[18:19], v[34:35], v[22:25]
	v_mfma_f32_16x16x16bf16_1k v[18:21], v[20:21], v[36:37], v[22:25]
	;; [unrolled: 3-line block ×4, first 2 shown]
	s_waitcnt vmcnt(5)
	v_mfma_f32_16x16x16bf16_1k v[2:5], v[14:15], v[46:47], v[2:5]
	s_nop 7
	v_bfe_u32 v6, v19, 16, 1
	v_bfe_u32 v7, v18, 16, 1
	v_add3_u32 v7, v18, v7, s10
	v_add3_u32 v6, v19, v6, s10
	v_perm_b32 v6, v6, v7, s11
	v_bfe_u32 v7, v21, 16, 1
	v_bfe_u32 v8, v20, 16, 1
	v_mfma_f32_16x16x16bf16_1k v[2:5], v[16:17], v[48:49], v[2:5]
	v_add3_u32 v8, v20, v8, s10
	v_add3_u32 v7, v21, v7, s10
	v_perm_b32 v7, v7, v8, s11
	s_waitcnt vmcnt(4)
	v_mfma_f32_16x16x16bf16_1k v[2:5], v[10:11], v[74:75], v[2:5]
	v_mfma_f32_16x16x16bf16_1k v[2:5], v[12:13], v[76:77], v[2:5]
	s_waitcnt vmcnt(3)
	v_mfma_f32_16x16x16bf16_1k v[2:5], v[54:55], v[38:39], v[2:5]
	v_mfma_f32_16x16x16bf16_1k v[2:5], v[56:57], v[40:41], v[2:5]
	;; [unrolled: 3-line block ×5, first 2 shown]
	s_nop 7
	s_nop 2
	v_bfe_u32 v8, v3, 16, 1
	v_bfe_u32 v9, v2, 16, 1
	v_add3_u32 v2, v2, v9, s10
	v_add3_u32 v3, v3, v8, s10
	v_perm_b32 v2, v3, v2, s11
	v_bfe_u32 v3, v5, 16, 1
	v_bfe_u32 v8, v4, 16, 1
	v_add3_u32 v4, v4, v8, s10
	v_add3_u32 v3, v5, v3, s10
	v_perm_b32 v3, v3, v4, s11
	ds_write2st64_b64 v78, v[6:7], v[2:3] offset1:1
	s_waitcnt lgkmcnt(0)
	s_barrier
	s_and_saveexec_b64 s[10:11], vcc
	s_cbranch_execz .LBB348_22
; %bb.20:
	v_lshlrev_b32_e32 v4, 6, v84
	v_lshlrev_b32_e32 v3, 4, v0
	v_lshl_or_b32 v0, v0, 10, v4
	buffer_load_dword v4, off, s[44:47], 0  ; 4-byte Folded Reload
	buffer_load_dword v5, off, s[44:47], 0 offset:4 ; 4-byte Folded Reload
	s_load_dwordx2 s[10:11], s[4:5], 0x68
	s_lshl_b32 s4, s8, 7
	s_mul_i32 s2, s9, s6
	s_mul_hi_u32 s7, s2, s4
	s_mul_i32 s6, s2, s4
	s_lshl_b64 s[6:7], s[6:7], 1
	s_waitcnt lgkmcnt(0)
	s_add_u32 s5, s10, s6
	s_addc_u32 s6, s11, s7
	s_lshl_b32 s2, s26, 7
	s_lshl_b64 s[2:3], s[2:3], 1
	s_add_u32 s2, s5, s2
	v_lshlrev_b32_e32 v2, 5, v1
	v_and_b32_e32 v3, 16, v3
	v_and_b32_e32 v0, 0x1a00, v0
	s_addc_u32 s3, s6, s3
	v_or3_b32 v0, v0, v2, v3
	v_mov_b32_e32 v3, s3
	v_add_u32_e32 v8, s27, v1
	s_waitcnt vmcnt(1)
	v_add_co_u32_e32 v2, vcc, s2, v4
	s_waitcnt vmcnt(0)
	v_addc_co_u32_e32 v3, vcc, v3, v5, vcc
	ds_read_b128 v[4:7], v0
	v_mad_u64_u32 v[8:9], s[2:3], v8, s4, 0
	v_lshlrev_b64 v[8:9], 1, v[8:9]
	v_add_co_u32_e32 v8, vcc, v2, v8
	v_addc_co_u32_e32 v9, vcc, v3, v9, vcc
	s_waitcnt lgkmcnt(0)
	global_store_dwordx4 v[8:9], v[4:7], off
	s_and_b64 exec, exec, s[0:1]
	s_cbranch_execz .LBB348_22
; %bb.21:
	ds_read_b128 v[4:7], v0 offset:128
	v_add3_u32 v0, s27, v1, 4
	v_mad_u64_u32 v[0:1], s[0:1], v0, s4, 0
	v_lshlrev_b64 v[0:1], 1, v[0:1]
	v_add_co_u32_e32 v0, vcc, v2, v0
	v_addc_co_u32_e32 v1, vcc, v3, v1, vcc
	s_waitcnt lgkmcnt(0)
	global_store_dwordx4 v[0:1], v[4:7], off
.LBB348_22:
	s_endpgm
	.section	.rodata,"a",@progbits
	.p2align	6, 0x0
	.amdhsa_kernel _Z39paged_attention_ll4mi_QKV_mfma16_kernelI14__hip_bfloat16S0_LN4vllm18Fp8KVCacheDataTypeE0ES0_Li32ELi128ELi256ELb1ELi5EL8MFMAType0EEvPKT_PKT0_S9_ifPKiSB_SB_iPKfiiiPfSE_PS4_PT2_iSD_SD_
		.amdhsa_group_segment_fixed_size 8192
		.amdhsa_private_segment_fixed_size 12
		.amdhsa_kernarg_size 400
		.amdhsa_user_sgpr_count 6
		.amdhsa_user_sgpr_private_segment_buffer 1
		.amdhsa_user_sgpr_dispatch_ptr 0
		.amdhsa_user_sgpr_queue_ptr 0
		.amdhsa_user_sgpr_kernarg_segment_ptr 1
		.amdhsa_user_sgpr_dispatch_id 0
		.amdhsa_user_sgpr_flat_scratch_init 0
		.amdhsa_user_sgpr_kernarg_preload_length 0
		.amdhsa_user_sgpr_kernarg_preload_offset 0
		.amdhsa_user_sgpr_private_segment_size 0
		.amdhsa_uses_dynamic_stack 0
		.amdhsa_system_sgpr_private_segment_wavefront_offset 1
		.amdhsa_system_sgpr_workgroup_id_x 1
		.amdhsa_system_sgpr_workgroup_id_y 1
		.amdhsa_system_sgpr_workgroup_id_z 1
		.amdhsa_system_sgpr_workgroup_info 0
		.amdhsa_system_vgpr_workitem_id 0
		.amdhsa_next_free_vgpr 96
		.amdhsa_next_free_sgpr 48
		.amdhsa_accum_offset 96
		.amdhsa_reserve_vcc 1
		.amdhsa_reserve_flat_scratch 0
		.amdhsa_float_round_mode_32 0
		.amdhsa_float_round_mode_16_64 0
		.amdhsa_float_denorm_mode_32 3
		.amdhsa_float_denorm_mode_16_64 3
		.amdhsa_dx10_clamp 1
		.amdhsa_ieee_mode 1
		.amdhsa_fp16_overflow 0
		.amdhsa_tg_split 0
		.amdhsa_exception_fp_ieee_invalid_op 0
		.amdhsa_exception_fp_denorm_src 0
		.amdhsa_exception_fp_ieee_div_zero 0
		.amdhsa_exception_fp_ieee_overflow 0
		.amdhsa_exception_fp_ieee_underflow 0
		.amdhsa_exception_fp_ieee_inexact 0
		.amdhsa_exception_int_div_zero 0
	.end_amdhsa_kernel
	.section	.text._Z39paged_attention_ll4mi_QKV_mfma16_kernelI14__hip_bfloat16S0_LN4vllm18Fp8KVCacheDataTypeE0ES0_Li32ELi128ELi256ELb1ELi5EL8MFMAType0EEvPKT_PKT0_S9_ifPKiSB_SB_iPKfiiiPfSE_PS4_PT2_iSD_SD_,"axG",@progbits,_Z39paged_attention_ll4mi_QKV_mfma16_kernelI14__hip_bfloat16S0_LN4vllm18Fp8KVCacheDataTypeE0ES0_Li32ELi128ELi256ELb1ELi5EL8MFMAType0EEvPKT_PKT0_S9_ifPKiSB_SB_iPKfiiiPfSE_PS4_PT2_iSD_SD_,comdat
.Lfunc_end348:
	.size	_Z39paged_attention_ll4mi_QKV_mfma16_kernelI14__hip_bfloat16S0_LN4vllm18Fp8KVCacheDataTypeE0ES0_Li32ELi128ELi256ELb1ELi5EL8MFMAType0EEvPKT_PKT0_S9_ifPKiSB_SB_iPKfiiiPfSE_PS4_PT2_iSD_SD_, .Lfunc_end348-_Z39paged_attention_ll4mi_QKV_mfma16_kernelI14__hip_bfloat16S0_LN4vllm18Fp8KVCacheDataTypeE0ES0_Li32ELi128ELi256ELb1ELi5EL8MFMAType0EEvPKT_PKT0_S9_ifPKiSB_SB_iPKfiiiPfSE_PS4_PT2_iSD_SD_
                                        ; -- End function
	.section	.AMDGPU.csdata,"",@progbits
; Kernel info:
; codeLenInByte = 5392
; NumSgprs: 52
; NumVgprs: 96
; NumAgprs: 0
; TotalNumVgprs: 96
; ScratchSize: 12
; MemoryBound: 0
; FloatMode: 240
; IeeeMode: 1
; LDSByteSize: 8192 bytes/workgroup (compile time only)
; SGPRBlocks: 6
; VGPRBlocks: 11
; NumSGPRsForWavesPerEU: 52
; NumVGPRsForWavesPerEU: 96
; AccumOffset: 96
; Occupancy: 5
; WaveLimiterHint : 1
; COMPUTE_PGM_RSRC2:SCRATCH_EN: 1
; COMPUTE_PGM_RSRC2:USER_SGPR: 6
; COMPUTE_PGM_RSRC2:TRAP_HANDLER: 0
; COMPUTE_PGM_RSRC2:TGID_X_EN: 1
; COMPUTE_PGM_RSRC2:TGID_Y_EN: 1
; COMPUTE_PGM_RSRC2:TGID_Z_EN: 1
; COMPUTE_PGM_RSRC2:TIDIG_COMP_CNT: 0
; COMPUTE_PGM_RSRC3_GFX90A:ACCUM_OFFSET: 23
; COMPUTE_PGM_RSRC3_GFX90A:TG_SPLIT: 0
	.section	.text._Z39paged_attention_ll4mi_QKV_mfma16_kernelI14__hip_bfloat16S0_LN4vllm18Fp8KVCacheDataTypeE0ES0_Li32ELi128ELi256ELb1ELi6EL8MFMAType0EEvPKT_PKT0_S9_ifPKiSB_SB_iPKfiiiPfSE_PS4_PT2_iSD_SD_,"axG",@progbits,_Z39paged_attention_ll4mi_QKV_mfma16_kernelI14__hip_bfloat16S0_LN4vllm18Fp8KVCacheDataTypeE0ES0_Li32ELi128ELi256ELb1ELi6EL8MFMAType0EEvPKT_PKT0_S9_ifPKiSB_SB_iPKfiiiPfSE_PS4_PT2_iSD_SD_,comdat
	.protected	_Z39paged_attention_ll4mi_QKV_mfma16_kernelI14__hip_bfloat16S0_LN4vllm18Fp8KVCacheDataTypeE0ES0_Li32ELi128ELi256ELb1ELi6EL8MFMAType0EEvPKT_PKT0_S9_ifPKiSB_SB_iPKfiiiPfSE_PS4_PT2_iSD_SD_ ; -- Begin function _Z39paged_attention_ll4mi_QKV_mfma16_kernelI14__hip_bfloat16S0_LN4vllm18Fp8KVCacheDataTypeE0ES0_Li32ELi128ELi256ELb1ELi6EL8MFMAType0EEvPKT_PKT0_S9_ifPKiSB_SB_iPKfiiiPfSE_PS4_PT2_iSD_SD_
	.globl	_Z39paged_attention_ll4mi_QKV_mfma16_kernelI14__hip_bfloat16S0_LN4vllm18Fp8KVCacheDataTypeE0ES0_Li32ELi128ELi256ELb1ELi6EL8MFMAType0EEvPKT_PKT0_S9_ifPKiSB_SB_iPKfiiiPfSE_PS4_PT2_iSD_SD_
	.p2align	8
	.type	_Z39paged_attention_ll4mi_QKV_mfma16_kernelI14__hip_bfloat16S0_LN4vllm18Fp8KVCacheDataTypeE0ES0_Li32ELi128ELi256ELb1ELi6EL8MFMAType0EEvPKT_PKT0_S9_ifPKiSB_SB_iPKfiiiPfSE_PS4_PT2_iSD_SD_,@function
_Z39paged_attention_ll4mi_QKV_mfma16_kernelI14__hip_bfloat16S0_LN4vllm18Fp8KVCacheDataTypeE0ES0_Li32ELi128ELi256ELb1ELi6EL8MFMAType0EEvPKT_PKT0_S9_ifPKiSB_SB_iPKfiiiPfSE_PS4_PT2_iSD_SD_: ; @_Z39paged_attention_ll4mi_QKV_mfma16_kernelI14__hip_bfloat16S0_LN4vllm18Fp8KVCacheDataTypeE0ES0_Li32ELi128ELi256ELb1ELi6EL8MFMAType0EEvPKT_PKT0_S9_ifPKiSB_SB_iPKfiiiPfSE_PS4_PT2_iSD_SD_
; %bb.0:
	s_mov_b64 s[46:47], s[2:3]
	s_mov_b64 s[44:45], s[0:1]
	s_load_dwordx2 s[0:1], s[4:5], 0x30
	s_add_u32 s44, s44, s9
	s_addc_u32 s45, s45, 0
	s_mov_b32 s26, s7
	s_mov_b64 s[10:11], 0
	s_waitcnt lgkmcnt(0)
	s_cmp_lg_u64 s[0:1], 0
	s_cselect_b64 s[2:3], -1, 0
	s_and_b64 vcc, exec, s[2:3]
	s_cbranch_vccz .LBB349_7
; %bb.1:
	s_add_i32 s12, s6, 1
	s_mov_b32 s13, 0
	s_lshl_b64 s[14:15], s[12:13], 2
	s_add_u32 s14, s0, s14
	s_mov_b32 s7, s13
	s_addc_u32 s15, s1, s15
	s_lshl_b64 s[12:13], s[6:7], 2
	s_add_u32 s12, s0, s12
	s_addc_u32 s13, s1, s13
	s_load_dword s9, s[14:15], 0x0
	s_load_dword s16, s[12:13], 0x0
	s_waitcnt lgkmcnt(0)
	s_sub_i32 s9, s9, s16
	s_cmp_eq_u32 s9, 1
	s_cselect_b64 s[12:13], -1, 0
	s_andn2_b64 vcc, exec, s[10:11]
	s_cbranch_vccnz .LBB349_3
.LBB349_2:
	s_mov_b32 s7, 0
	s_mov_b64 s[12:13], -1
.LBB349_3:
	s_andn2_b64 vcc, exec, s[12:13]
	s_cbranch_vccnz .LBB349_22
; %bb.4:
	s_load_dwordx2 s[12:13], s[4:5], 0x28
	s_lshl_b64 s[10:11], s[6:7], 2
	s_waitcnt lgkmcnt(0)
	s_add_u32 s12, s12, s10
	s_addc_u32 s13, s13, s11
	s_load_dword s33, s[12:13], 0x0
	s_lshl_b32 s16, s26, 8
	s_waitcnt lgkmcnt(0)
	s_cmp_ge_i32 s16, s33
	s_cbranch_scc1 .LBB349_22
; %bb.5:
	s_add_i32 s14, s33, 31
	s_load_dwordx2 s[12:13], s[4:5], 0x20
	s_load_dword s9, s[4:5], 0x38
	s_ashr_i32 s15, s14, 31
	v_and_b32_e32 v1, 0xcf, v0
	s_lshr_b32 s15, s15, 27
	v_add_u32_e32 v1, s16, v1
	s_add_i32 s14, s14, s15
	v_ashrrev_i32_e32 v2, 31, v1
	s_ashr_i32 s19, s14, 5
	v_lshrrev_b32_e32 v6, 27, v2
	s_add_i32 s19, s19, -1
	v_add_u32_e32 v2, v1, v6
	s_waitcnt lgkmcnt(0)
	s_mul_i32 s14, s6, s9
	s_mov_b32 s15, 0
	v_ashrrev_i32_e32 v2, 5, v2
	v_mov_b32_e32 v7, s19
	v_cmp_gt_i32_e32 vcc, s33, v1
	s_lshl_b64 s[14:15], s[14:15], 2
	v_cndmask_b32_e32 v2, v7, v2, vcc
	s_add_u32 s17, s12, s14
	v_ashrrev_i32_e32 v3, 31, v2
	s_addc_u32 s18, s13, s15
	v_lshlrev_b64 v[2:3], 2, v[2:3]
	v_mov_b32_e32 v4, s18
	v_add_co_u32_e32 v2, vcc, s17, v2
	v_addc_co_u32_e32 v3, vcc, v4, v3, vcc
	v_or_b32_e32 v4, 16, v1
	v_add_u32_e32 v5, v4, v6
	v_ashrrev_i32_e32 v5, 5, v5
	v_cmp_gt_i32_e32 vcc, s33, v4
	v_cndmask_b32_e32 v4, v7, v5, vcc
	v_ashrrev_i32_e32 v5, 31, v4
	v_lshlrev_b64 v[4:5], 2, v[4:5]
	v_mov_b32_e32 v9, s18
	v_add_co_u32_e32 v8, vcc, s17, v4
	v_or_b32_e32 v4, 32, v1
	v_addc_co_u32_e32 v9, vcc, v9, v5, vcc
	v_add_u32_e32 v5, v4, v6
	v_ashrrev_i32_e32 v5, 5, v5
	v_cmp_gt_i32_e32 vcc, s33, v4
	v_cndmask_b32_e32 v4, v7, v5, vcc
	v_ashrrev_i32_e32 v5, 31, v4
	v_lshlrev_b64 v[4:5], 2, v[4:5]
	v_mov_b32_e32 v11, s18
	v_add_co_u32_e32 v10, vcc, s17, v4
	v_or_b32_e32 v1, 48, v1
	v_addc_co_u32_e32 v11, vcc, v11, v5, vcc
	v_add_u32_e32 v4, v1, v6
	v_ashrrev_i32_e32 v4, 5, v4
	v_cmp_gt_i32_e32 vcc, s33, v1
	v_cndmask_b32_e32 v4, v7, v4, vcc
	v_ashrrev_i32_e32 v5, 31, v4
	v_lshlrev_b64 v[4:5], 2, v[4:5]
	v_mov_b32_e32 v1, s18
	v_add_co_u32_e32 v12, vcc, s17, v4
	v_addc_co_u32_e32 v13, vcc, v1, v5, vcc
	global_load_dword v7, v[2:3], off
	global_load_dword v6, v[8:9], off
	;; [unrolled: 1-line block ×4, first 2 shown]
	s_andn2_b64 vcc, exec, s[2:3]
	s_cbranch_vccnz .LBB349_8
; %bb.6:
	s_add_u32 s0, s0, s10
	s_addc_u32 s1, s1, s11
	s_load_dword s9, s[0:1], 0x0
	s_branch .LBB349_9
.LBB349_7:
	s_mov_b64 s[12:13], 0
	s_branch .LBB349_2
.LBB349_8:
	s_mov_b32 s9, s6
.LBB349_9:
	s_load_dwordx2 s[12:13], s[4:5], 0x8
	s_load_dwordx4 s[0:3], s[4:5], 0x48
	v_lshrrev_b32_e32 v85, 6, v0
	v_bfe_u32 v1, v0, 4, 2
	v_lshl_or_b32 v8, v85, 2, v1
	v_and_b32_e32 v84, 15, v0
	v_lshlrev_b32_e32 v2, 3, v84
	v_cmp_lt_u32_e32 vcc, 5, v8
	s_and_saveexec_b64 s[10:11], vcc
	s_xor_b64 s[10:11], exec, s[10:11]
; %bb.10:
	v_mov_b32_e32 v3, 0
                                        ; implicit-def: $vgpr8
; %bb.11:
	s_or_saveexec_b64 s[14:15], s[10:11]
	s_load_dwordx2 s[10:11], s[4:5], 0x10
	s_mul_i32 s27, s8, 6
	s_xor_b64 exec, exec, s[14:15]
	s_cbranch_execz .LBB349_13
; %bb.12:
	s_load_dwordx2 s[20:21], s[4:5], 0x0
	s_waitcnt lgkmcnt(0)
	s_ashr_i32 s3, s0, 31
	s_mul_hi_u32 s22, s9, s0
	s_mul_i32 s3, s9, s3
	s_add_i32 s23, s22, s3
	s_mul_i32 s22, s9, s0
	s_lshl_b64 s[22:23], s[22:23], 1
	v_add_lshl_u32 v10, v8, s27, 7
	s_add_u32 s0, s20, s22
	v_ashrrev_i32_e32 v11, 31, v10
	s_addc_u32 s3, s21, s23
	v_lshlrev_b64 v[10:11], 1, v[10:11]
	v_mov_b32_e32 v3, s3
	v_add_co_u32_e32 v9, vcc, s0, v10
	v_addc_co_u32_e32 v3, vcc, v3, v11, vcc
	v_lshlrev_b32_e32 v10, 1, v2
	v_add_co_u32_e32 v10, vcc, v9, v10
	v_addc_co_u32_e32 v11, vcc, 0, v3, vcc
	global_load_dwordx4 v[10:13], v[10:11], off
	v_and_b32_e32 v9, 3, v0
	v_lshlrev_b32_e32 v14, 9, v84
	v_lshlrev_b32_e32 v8, 5, v8
	;; [unrolled: 1-line block ×3, first 2 shown]
	v_and_b32_e32 v14, 0x1800, v14
	v_mov_b32_e32 v3, 0
	v_or3_b32 v8, v14, v9, v8
	s_waitcnt vmcnt(0)
	ds_write_b128 v8, v[10:13]
.LBB349_13:
	s_or_b64 exec, exec, s[14:15]
	s_waitcnt lgkmcnt(0)
	s_mul_i32 s2, s8, s2
	s_mov_b32 s3, 0
	s_lshl_b64 s[2:3], s[2:3], 1
	s_add_u32 s0, s12, s2
	s_waitcnt vmcnt(3)
	v_mad_i64_i32 v[8:9], s[8:9], v7, s1, 0
	s_addc_u32 s12, s13, s3
	v_lshlrev_b64 v[8:9], 1, v[8:9]
	v_mov_b32_e32 v7, s12
	v_add_co_u32_e32 v8, vcc, s0, v8
	v_addc_co_u32_e32 v7, vcc, v7, v9, vcc
	v_lshlrev_b64 v[14:15], 1, v[2:3]
	v_add_co_u32_e32 v8, vcc, v8, v14
	v_lshlrev_b32_e32 v12, 9, v1
	v_addc_co_u32_e32 v7, vcc, v7, v15, vcc
	v_add_co_u32_e32 v2, vcc, v8, v12
	v_addc_co_u32_e32 v3, vcc, 0, v7, vcc
	v_or_b32_e32 v10, 0x1000, v12
	s_barrier
	global_load_dwordx4 v[38:41], v[2:3], off
	global_load_dwordx4 v[30:33], v[2:3], off offset:2048
	v_add_co_u32_e32 v2, vcc, v8, v10
	v_addc_co_u32_e32 v3, vcc, 0, v7, vcc
	v_or_b32_e32 v11, 0x1800, v12
	v_add_co_u32_e32 v8, vcc, v8, v11
	v_addc_co_u32_e32 v9, vcc, 0, v7, vcc
	global_load_dwordx4 v[46:49], v[2:3], off
	global_load_dwordx4 v[58:61], v[8:9], off
	s_waitcnt vmcnt(6)
	v_mad_i64_i32 v[2:3], s[8:9], v6, s1, 0
	v_lshlrev_b64 v[2:3], 1, v[2:3]
	v_mov_b32_e32 v6, s12
	v_add_co_u32_e32 v2, vcc, s0, v2
	v_addc_co_u32_e32 v3, vcc, v6, v3, vcc
	v_mov_b32_e32 v6, 0x100
	v_lshl_or_b32 v8, v84, 4, v6
	v_add_co_u32_e32 v6, vcc, v2, v8
	v_addc_co_u32_e32 v7, vcc, 0, v3, vcc
	v_add_co_u32_e32 v2, vcc, v6, v12
	v_addc_co_u32_e32 v3, vcc, 0, v7, vcc
	global_load_dwordx4 v[74:77], v[2:3], off
	global_load_dwordx4 v[70:73], v[2:3], off offset:2048
	v_add_co_u32_e32 v2, vcc, v6, v10
	v_addc_co_u32_e32 v3, vcc, 0, v7, vcc
	v_add_co_u32_e32 v6, vcc, v6, v11
	v_addc_co_u32_e32 v7, vcc, 0, v7, vcc
	global_load_dwordx4 v[78:81], v[2:3], off
	global_load_dwordx4 v[66:69], v[6:7], off
	s_waitcnt vmcnt(9)
	v_mad_i64_i32 v[2:3], s[8:9], v5, s1, 0
	v_lshlrev_b64 v[2:3], 1, v[2:3]
	v_mov_b32_e32 v5, s12
	v_add_co_u32_e32 v2, vcc, s0, v2
	v_addc_co_u32_e32 v3, vcc, v5, v3, vcc
	v_add_co_u32_e32 v5, vcc, v2, v14
	buffer_store_dword v14, off, s[44:47], 0 ; 4-byte Folded Spill
	s_nop 0
	buffer_store_dword v15, off, s[44:47], 0 offset:4 ; 4-byte Folded Spill
	v_and_b32_e32 v94, 63, v0
	v_mov_b32_e32 v87, 0
	v_addc_co_u32_e32 v7, vcc, v3, v15, vcc
	v_add_co_u32_e32 v2, vcc, v5, v12
	v_addc_co_u32_e32 v3, vcc, 0, v7, vcc
	global_load_dwordx4 v[62:65], v[2:3], off
	global_load_dwordx4 v[42:45], v[2:3], off offset:2048
	v_add_co_u32_e32 v2, vcc, v5, v10
	v_addc_co_u32_e32 v3, vcc, 0, v7, vcc
	v_add_co_u32_e32 v6, vcc, v5, v11
	v_addc_co_u32_e32 v7, vcc, 0, v7, vcc
	global_load_dwordx4 v[26:29], v[2:3], off
	global_load_dwordx4 v[18:21], v[6:7], off
	s_waitcnt vmcnt(14)
	v_mad_i64_i32 v[2:3], s[8:9], v4, s1, 0
	v_lshlrev_b64 v[2:3], 1, v[2:3]
	v_mov_b32_e32 v4, s12
	v_add_co_u32_e32 v2, vcc, s0, v2
	v_addc_co_u32_e32 v3, vcc, v4, v3, vcc
	v_add_co_u32_e32 v4, vcc, v2, v8
	v_addc_co_u32_e32 v5, vcc, 0, v3, vcc
	;; [unrolled: 2-line block ×3, first 2 shown]
	global_load_dwordx4 v[14:17], v[2:3], off
	global_load_dwordx4 v[6:9], v[2:3], off offset:2048
	v_add_co_u32_e32 v2, vcc, v4, v10
	v_addc_co_u32_e32 v3, vcc, 0, v5, vcc
	v_add_co_u32_e32 v10, vcc, v4, v11
	v_addc_co_u32_e32 v11, vcc, 0, v5, vcc
	global_load_dwordx4 v[2:5], v[2:3], off
	s_nop 0
	global_load_dwordx4 v[50:53], v[10:11], off
	v_mul_lo_u16_e32 v10, 43, v84
	v_mov_b32_e32 v11, 6
	v_mul_lo_u16_sdwa v10, v10, v11 dst_sel:DWORD dst_unused:UNUSED_PAD src0_sel:BYTE_1 src1_sel:DWORD
	v_sub_u16_e32 v10, v84, v10
	v_and_b32_e32 v10, 0xff, v10
	v_lshl_add_u32 v54, v10, 5, v12
	ds_read_b128 v[34:37], v54
	ds_read_b128 v[22:25], v54 offset:2048
	ds_read_b128 v[10:13], v54 offset:4096
	;; [unrolled: 1-line block ×3, first 2 shown]
	v_cmp_gt_u32_e32 vcc, 6, v84
	s_and_saveexec_b64 s[8:9], vcc
	s_cbranch_execz .LBB349_15
; %bb.14:
	s_load_dwordx2 s[12:13], s[4:5], 0x40
	v_add_u32_e32 v82, s27, v84
	v_ashrrev_i32_e32 v83, 31, v82
	v_lshlrev_b64 v[82:83], 2, v[82:83]
	s_waitcnt lgkmcnt(0)
	v_mov_b32_e32 v87, s13
	v_add_co_u32_e32 v82, vcc, s12, v82
	v_addc_co_u32_e32 v83, vcc, v87, v83, vcc
	global_load_dword v87, v[82:83], off
.LBB349_15:
	s_or_b64 exec, exec, s[8:9]
	s_waitcnt vmcnt(17) lgkmcnt(3)
	v_mfma_f32_16x16x16bf16_1k v[88:91], v[38:39], v[34:35], 0
	s_ashr_i32 s0, s16, 31
	s_lshr_b32 s0, s0, 27
	s_add_u32 s2, s10, s2
	s_addc_u32 s3, s11, s3
	s_mov_b32 s40, 0xff7fffff
	v_mfma_f32_16x16x16bf16_1k v[38:41], v[40:41], v[36:37], v[88:91]
	s_waitcnt vmcnt(16) lgkmcnt(2)
	v_mfma_f32_16x16x16bf16_1k v[38:41], v[30:31], v[22:23], v[38:41]
	s_nop 4
	v_lshl_or_b32 v88, v85, 4, v84
	v_mfma_f32_16x16x16bf16_1k v[30:33], v[32:33], v[24:25], v[38:41]
	s_waitcnt vmcnt(15) lgkmcnt(1)
	v_mfma_f32_16x16x16bf16_1k v[30:33], v[46:47], v[10:11], v[30:33]
	v_and_or_b32 v46, v0, 48, s16
	s_nop 3
	v_add_u32_e32 v38, s0, v46
	v_ashrrev_i32_e32 v38, 5, v38
	v_mov_b32_e32 v47, s19
	v_cmp_gt_i32_e32 vcc, s33, v46
	v_cndmask_b32_e32 v38, v47, v38, vcc
	v_ashrrev_i32_e32 v39, 31, v38
	v_mfma_f32_16x16x16bf16_1k v[30:33], v[48:49], v[12:13], v[30:33]
	v_or_b32_e32 v40, 64, v46
	v_add_u32_e32 v41, s0, v40
	v_ashrrev_i32_e32 v41, 5, v41
	v_mov_b32_e32 v48, s18
	s_waitcnt vmcnt(14) lgkmcnt(0)
	v_mfma_f32_16x16x16bf16_1k v[30:33], v[58:59], v[54:55], v[30:33]
	v_mfma_f32_16x16x16bf16_1k v[58:61], v[60:61], v[56:57], v[30:33]
	s_waitcnt vmcnt(13)
	v_mfma_f32_16x16x16bf16_1k v[30:33], v[74:75], v[34:35], 0
	v_mfma_f32_16x16x16bf16_1k v[30:33], v[76:77], v[36:37], v[30:33]
	v_lshlrev_b32_e32 v76, 6, v88
	s_waitcnt vmcnt(12)
	v_mfma_f32_16x16x16bf16_1k v[30:33], v[70:71], v[22:23], v[30:33]
	v_mfma_f32_16x16x16bf16_1k v[30:33], v[72:73], v[24:25], v[30:33]
	s_waitcnt vmcnt(11)
	v_mfma_f32_16x16x16bf16_1k v[30:33], v[78:79], v[10:11], v[30:33]
	v_mfma_f32_16x16x16bf16_1k v[30:33], v[80:81], v[12:13], v[30:33]
	;; [unrolled: 3-line block ×3, first 2 shown]
	s_nop 7
	s_nop 1
	v_lshlrev_b64 v[30:31], 2, v[38:39]
	v_mov_b32_e32 v32, s18
	v_add_co_u32_e32 v38, vcc, s17, v30
	v_addc_co_u32_e32 v39, vcc, v32, v31, vcc
	v_cmp_gt_i32_e32 vcc, s33, v40
	v_cndmask_b32_e32 v40, v47, v41, vcc
	v_ashrrev_i32_e32 v41, 31, v40
	v_lshlrev_b64 v[40:41], 2, v[40:41]
	v_add_co_u32_e32 v40, vcc, s17, v40
	v_addc_co_u32_e32 v41, vcc, v48, v41, vcc
	global_load_dword v48, v[38:39], off
	s_nop 0
	global_load_dword v40, v[40:41], off
	v_or_b32_e32 v38, 0x80, v46
	v_add_u32_e32 v39, s0, v38
	v_ashrrev_i32_e32 v39, 5, v39
	v_cmp_gt_i32_e32 vcc, s33, v38
	v_cndmask_b32_e32 v38, v47, v39, vcc
	v_ashrrev_i32_e32 v39, 31, v38
	v_lshlrev_b64 v[38:39], 2, v[38:39]
	v_mov_b32_e32 v41, s18
	v_add_co_u32_e32 v38, vcc, s17, v38
	v_addc_co_u32_e32 v39, vcc, v41, v39, vcc
	s_waitcnt vmcnt(9)
	v_mfma_f32_16x16x16bf16_1k v[30:33], v[62:63], v[34:35], 0
	global_load_dword v62, v[38:39], off
	v_or_b32_e32 v38, 0xc0, v46
	v_add_u32_e32 v39, s0, v38
	v_ashrrev_i32_e32 v39, 5, v39
	v_cmp_gt_i32_e32 vcc, s33, v38
	v_cndmask_b32_e32 v38, v47, v39, vcc
	v_ashrrev_i32_e32 v39, 31, v38
	v_mfma_f32_16x16x16bf16_1k v[30:33], v[64:65], v[36:37], v[30:33]
	s_load_dword s0, s[4:5], 0x1c
	s_waitcnt lgkmcnt(0)
	v_pk_mul_f32 v[58:59], s[0:1], v[58:59] op_sel_hi:[0,1]
	s_waitcnt vmcnt(9)
	v_mfma_f32_16x16x16bf16_1k v[30:33], v[42:43], v[22:23], v[30:33]
	v_mfma_f32_16x16x16bf16_1k v[30:33], v[44:45], v[24:25], v[30:33]
	s_waitcnt vmcnt(8)
	v_mfma_f32_16x16x16bf16_1k v[30:33], v[26:27], v[10:11], v[30:33]
	v_lshlrev_b64 v[26:27], 2, v[38:39]
	v_mov_b32_e32 v39, s18
	v_add_co_u32_e32 v38, vcc, s17, v26
	v_addc_co_u32_e32 v39, vcc, v39, v27, vcc
	global_load_dword v63, v[38:39], off
	v_mfma_f32_16x16x16bf16_1k v[26:29], v[28:29], v[12:13], v[30:33]
	s_waitcnt vmcnt(8)
	v_mfma_f32_16x16x16bf16_1k v[26:29], v[18:19], v[54:55], v[26:29]
	s_nop 4
	v_and_b32_e32 v30, 16, v0
	v_lshlrev_b32_e32 v30, 1, v30
	v_mov_b32_e32 v18, s3
	v_add_co_u32_e32 v74, vcc, s2, v30
	v_addc_co_u32_e32 v75, vcc, 0, v18, vcc
	v_mfma_f32_16x16x16bf16_1k v[90:93], v[20:21], v[56:57], v[26:29]
	v_add_co_u32_e32 v77, vcc, v74, v76
	v_addc_co_u32_e32 v78, vcc, 0, v75, vcc
	s_waitcnt vmcnt(3)
	v_mad_i64_i32 v[18:19], s[2:3], v48, s1, 0
	v_lshlrev_b64 v[70:71], 1, v[18:19]
	v_mfma_f32_16x16x16bf16_1k v[18:21], v[14:15], v[34:35], 0
	v_add_co_u32_e32 v14, vcc, v77, v70
	v_addc_co_u32_e32 v15, vcc, v78, v71, vcc
	global_load_dwordx4 v[46:49], v[14:15], off
	global_load_dwordx4 v[42:45], v[14:15], off offset:16
	s_waitcnt vmcnt(4)
	v_mad_i64_i32 v[14:15], s[2:3], v40, s1, 0
	v_lshlrev_b64 v[72:73], 1, v[14:15]
	v_mfma_f32_16x16x16bf16_1k v[14:17], v[16:17], v[36:37], v[18:21]
	v_mfma_f32_16x16x16bf16_1k v[14:17], v[6:7], v[22:23], v[14:17]
	s_nop 5
	v_add_co_u32_e32 v18, vcc, v77, v72
	v_addc_co_u32_e32 v19, vcc, v78, v73, vcc
	global_load_dwordx4 v[38:41], v[18:19], off
	global_load_dwordx4 v[34:37], v[18:19], off offset:16
	s_waitcnt vmcnt(5)
	v_mad_i64_i32 v[18:19], s[2:3], v62, s1, 0
	v_lshlrev_b64 v[64:65], 1, v[18:19]
	v_add_co_u32_e32 v6, vcc, v77, v64
	v_addc_co_u32_e32 v7, vcc, v78, v65, vcc
	global_load_dwordx4 v[30:33], v[6:7], off
	global_load_dwordx4 v[26:29], v[6:7], off offset:16
	v_mfma_f32_16x16x16bf16_1k v[6:9], v[8:9], v[24:25], v[14:17]
	v_mfma_f32_16x16x16bf16_1k v[6:9], v[2:3], v[10:11], v[6:9]
	v_or_b32_e32 v2, 0x1000, v76
	s_waitcnt vmcnt(6)
	s_nop 3
	v_mad_i64_i32 v[14:15], s[2:3], v63, s1, 0
	v_mfma_f32_16x16x16bf16_1k v[10:13], v[4:5], v[12:13], v[6:9]
	v_lshlrev_b64 v[62:63], 1, v[14:15]
	v_add_co_u32_e32 v14, vcc, v77, v62
	v_addc_co_u32_e32 v15, vcc, v78, v63, vcc
	v_add_co_u32_e32 v89, vcc, v74, v2
	v_mfma_f32_16x16x16bf16_1k v[80:83], v[50:51], v[54:55], v[10:13]
	v_addc_co_u32_e32 v86, vcc, 0, v75, vcc
	v_pk_mul_f32 v[74:75], s[0:1], v[68:69] op_sel_hi:[0,1]
	v_pk_mul_f32 v[76:77], s[0:1], v[66:67] op_sel_hi:[0,1]
	;; [unrolled: 1-line block ×3, first 2 shown]
	v_add_co_u32_e32 v2, vcc, v89, v70
	v_mfma_f32_16x16x16bf16_1k v[50:53], v[52:53], v[56:57], v[80:83]
	v_addc_co_u32_e32 v3, vcc, v86, v71, vcc
	v_add_co_u32_e32 v70, vcc, v89, v72
	v_addc_co_u32_e32 v71, vcc, v86, v73, vcc
	global_load_dwordx4 v[22:25], v[14:15], off
	global_load_dwordx4 v[18:21], v[14:15], off offset:16
	s_nop 5
	v_pk_mul_f32 v[68:69], s[0:1], v[50:51] op_sel_hi:[0,1]
	v_and_b32_e32 v50, 0xc0, v0
	v_add_u32_e32 v50, s16, v50
	v_lshl_or_b32 v50, v1, 2, v50
	v_or_b32_e32 v51, 1, v50
	v_pk_mul_f32 v[66:67], s[0:1], v[52:53] op_sel_hi:[0,1]
	v_subrev_u32_e32 v52, s33, v51
	v_add_u32_e32 v54, 1, v52
	v_add_u32_e32 v55, 2, v52
	v_cvt_f32_i32_e32 v53, v52
	v_cvt_f32_i32_e32 v54, v54
	;; [unrolled: 1-line block ×3, first 2 shown]
	v_add_u32_e32 v56, 3, v52
	v_fma_f32 v58, v87, v53, v58
	v_fmac_f32_e32 v59, v87, v54
	v_fma_f32 v78, v87, v55, v78
	v_add_u32_e32 v53, 16, v52
	v_add_u32_e32 v54, 17, v52
	;; [unrolled: 1-line block ×3, first 2 shown]
	v_cvt_f32_i32_e32 v56, v56
	v_cvt_f32_i32_e32 v53, v53
	;; [unrolled: 1-line block ×4, first 2 shown]
	v_fmac_f32_e32 v79, v87, v56
	v_add_u32_e32 v56, 19, v52
	v_fma_f32 v76, v87, v53, v76
	v_fmac_f32_e32 v77, v87, v54
	v_fma_f32 v74, v87, v55, v74
	v_add_u32_e32 v53, 32, v52
	v_add_u32_e32 v54, 33, v52
	;; [unrolled: 1-line block ×3, first 2 shown]
	v_cvt_f32_i32_e32 v56, v56
	v_cvt_f32_i32_e32 v53, v53
	;; [unrolled: 1-line block ×4, first 2 shown]
	global_load_dwordx4 v[6:9], v[2:3], off
	s_nop 0
	global_load_dwordx4 v[2:5], v[2:3], off offset:16
	s_nop 0
	global_load_dwordx4 v[14:17], v[70:71], off
	global_load_dwordx4 v[10:13], v[70:71], off offset:16
	v_pk_mul_f32 v[70:71], s[0:1], v[92:93] op_sel_hi:[0,1]
	v_pk_mul_f32 v[72:73], s[0:1], v[90:91] op_sel_hi:[0,1]
	v_fmac_f32_e32 v75, v87, v56
	v_add_u32_e32 v56, 35, v52
	v_fma_f32 v72, v87, v53, v72
	v_fmac_f32_e32 v73, v87, v54
	v_fma_f32 v70, v87, v55, v70
	v_add_u32_e32 v53, 48, v52
	v_add_u32_e32 v54, 49, v52
	v_add_u32_e32 v55, 50, v52
	v_add_u32_e32 v52, 51, v52
	v_cvt_f32_i32_e32 v52, v52
	v_cvt_f32_i32_e32 v53, v53
	;; [unrolled: 1-line block ×3, first 2 shown]
	v_cmp_gt_i32_e64 s[28:29], s33, v50
	v_fmac_f32_e32 v67, v87, v52
	v_mov_b32_e32 v52, 0xff7fffff
	v_cmp_gt_i32_e64 s[30:31], s33, v51
	v_fma_f32 v68, v87, v53, v68
	v_cndmask_b32_e64 v53, v52, v58, s[28:29]
	v_cndmask_b32_e64 v51, v52, v59, s[30:31]
	v_fmac_f32_e32 v69, v87, v54
	v_max3_f32 v51, v53, s40, v51
	v_or_b32_e32 v53, 2, v50
	v_or_b32_e32 v54, 3, v50
	v_cmp_gt_i32_e64 s[34:35], s33, v53
	v_cmp_gt_i32_e64 s[36:37], s33, v54
	v_cndmask_b32_e64 v53, v52, v78, s[34:35]
	v_cndmask_b32_e64 v54, v52, v79, s[36:37]
	v_max3_f32 v51, v51, v53, v54
	v_or_b32_e32 v53, 16, v50
	v_or_b32_e32 v54, 17, v50
	v_cmp_gt_i32_e64 s[22:23], s33, v53
	v_cmp_gt_i32_e64 s[24:25], s33, v54
	v_cndmask_b32_e64 v53, v52, v76, s[22:23]
	v_cndmask_b32_e64 v54, v52, v77, s[24:25]
	;; [unrolled: 7-line block ×3, first 2 shown]
	v_cvt_f32_i32_e32 v56, v56
	v_max3_f32 v51, v51, v53, v54
	v_or_b32_e32 v53, 32, v50
	v_or_b32_e32 v54, 33, v50
	v_cmp_gt_i32_e64 s[14:15], s33, v53
	v_cmp_gt_i32_e64 s[16:17], s33, v54
	v_cndmask_b32_e64 v53, v52, v72, s[14:15]
	v_cndmask_b32_e64 v54, v52, v73, s[16:17]
	v_max3_f32 v51, v51, v53, v54
	v_or_b32_e32 v53, 34, v50
	v_or_b32_e32 v54, 35, v50
	v_fmac_f32_e32 v71, v87, v56
	v_cmp_gt_i32_e64 s[10:11], s33, v53
	v_cmp_gt_i32_e64 s[12:13], s33, v54
	v_cndmask_b32_e64 v53, v52, v70, s[10:11]
	v_cndmask_b32_e64 v54, v52, v71, s[12:13]
	v_cvt_f32_i32_e32 v55, v55
	v_max3_f32 v51, v51, v53, v54
	v_or_b32_e32 v53, 48, v50
	v_or_b32_e32 v54, 49, v50
	v_cmp_gt_i32_e64 s[2:3], s33, v53
	v_cmp_gt_i32_e64 s[8:9], s33, v54
	v_cndmask_b32_e64 v53, v52, v68, s[2:3]
	v_cndmask_b32_e64 v54, v52, v69, s[8:9]
	v_max3_f32 v51, v51, v53, v54
	v_or_b32_e32 v53, 50, v50
	v_or_b32_e32 v50, 51, v50
	v_fma_f32 v66, v87, v55, v66
	v_cmp_gt_i32_e32 vcc, s33, v53
	v_cmp_gt_i32_e64 s[0:1], s33, v50
	v_cndmask_b32_e32 v53, v52, v66, vcc
	v_cndmask_b32_e64 v50, v52, v67, s[0:1]
	v_max3_f32 v60, v51, v53, v50
	v_mbcnt_lo_u32_b32 v50, -1, 0
	v_mbcnt_hi_u32_b32 v61, -1, v50
	v_and_b32_e32 v50, 64, v61
	v_add_u32_e32 v80, 64, v50
	v_xor_b32_e32 v50, 32, v61
	v_cmp_lt_i32_e64 s[38:39], v50, v80
	v_cndmask_b32_e64 v50, v61, v50, s[38:39]
	v_lshlrev_b32_e32 v82, 2, v50
	ds_bpermute_b32 v81, v82, v60
	v_add_co_u32_e64 v50, s[38:39], v89, v64
	v_addc_co_u32_e64 v51, s[38:39], v86, v65, s[38:39]
	s_waitcnt lgkmcnt(0)
	v_max_f32_e32 v64, v81, v81
	v_max_f32_e32 v64, v60, v64
	v_xor_b32_e32 v60, 16, v61
	v_cmp_lt_i32_e64 s[38:39], v60, v80
	v_cndmask_b32_e64 v60, v61, v60, s[38:39]
	v_lshlrev_b32_e32 v83, 2, v60
	ds_bpermute_b32 v65, v83, v64
	v_add_co_u32_e64 v60, s[38:39], v89, v62
	v_addc_co_u32_e64 v61, s[38:39], v86, v63, s[38:39]
	s_waitcnt lgkmcnt(0)
	v_max_f32_e32 v62, v65, v65
	v_max_f32_e32 v87, v64, v62
	v_sub_f32_e32 v58, v58, v87
	v_mul_f32_e32 v58, 0x3fb8aa3b, v58
	v_exp_f32_e32 v80, v58
	v_sub_f32_e32 v58, v59, v87
	v_mul_f32_e32 v58, 0x3fb8aa3b, v58
	global_load_dwordx4 v[54:57], v[50:51], off
	s_nop 0
	global_load_dwordx4 v[50:53], v[50:51], off offset:16
	v_exp_f32_e32 v81, v58
	global_load_dwordx4 v[62:65], v[60:61], off
	s_nop 0
	global_load_dwordx4 v[58:61], v[60:61], off offset:16
	v_sub_f32_e32 v78, v78, v87
	v_mul_f32_e32 v78, 0x3fb8aa3b, v78
	v_sub_f32_e32 v79, v79, v87
	v_exp_f32_e32 v78, v78
	v_mul_f32_e32 v79, 0x3fb8aa3b, v79
	v_sub_f32_e32 v76, v76, v87
	v_exp_f32_e32 v79, v79
	v_mul_f32_e32 v76, 0x3fb8aa3b, v76
	v_sub_f32_e32 v77, v77, v87
	v_cndmask_b32_e64 v80, 0, v80, s[28:29]
	v_exp_f32_e32 v76, v76
	v_mul_f32_e32 v77, 0x3fb8aa3b, v77
	v_sub_f32_e32 v74, v74, v87
	v_add_f32_e32 v86, 0, v80
	v_cndmask_b32_e64 v81, 0, v81, s[30:31]
	v_exp_f32_e32 v77, v77
	v_mul_f32_e32 v74, 0x3fb8aa3b, v74
	v_sub_f32_e32 v75, v75, v87
	v_add_f32_e32 v86, v86, v81
	;; [unrolled: 5-line block ×10, first 2 shown]
	v_cndmask_b32_e64 v70, 0, v70, s[10:11]
	v_exp_f32_e32 v66, v66
	v_mul_f32_e32 v67, 0x3fb8aa3b, v67
	v_add_f32_e32 v86, v86, v70
	v_cndmask_b32_e64 v71, 0, v71, s[12:13]
	v_exp_f32_e32 v67, v67
	v_add_f32_e32 v86, v86, v71
	v_cndmask_b32_e64 v68, 0, v68, s[2:3]
	v_add_f32_e32 v86, v86, v68
	v_cndmask_b32_e64 v69, 0, v69, s[8:9]
	v_add_f32_e32 v86, v86, v69
	v_cndmask_b32_e32 v66, 0, v66, vcc
	v_add_f32_e32 v86, v86, v66
	v_cndmask_b32_e64 v67, 0, v67, s[0:1]
	v_add_f32_e32 v86, v86, v67
	ds_bpermute_b32 v82, v82, v86
	s_load_dword s3, s[4:5], 0x98
	v_cmp_gt_u32_e32 vcc, 16, v94
	s_waitcnt lgkmcnt(0)
	s_barrier
	v_add_f32_e32 v89, v86, v82
	ds_bpermute_b32 v90, v83, v89
	s_waitcnt lgkmcnt(0)
	s_and_saveexec_b64 s[0:1], vcc
	s_cbranch_execz .LBB349_17
; %bb.16:
	v_add_f32_e32 v82, v89, v90
	v_lshlrev_b32_e32 v83, 2, v88
	ds_write2st64_b32 v83, v87, v82 offset1:1
.LBB349_17:
	s_or_b64 exec, exec, s[0:1]
	v_lshlrev_b32_e32 v87, 2, v84
	s_load_dword s2, s[4:5], 0x94
	s_waitcnt lgkmcnt(0)
	s_barrier
	ds_read2_b32 v[82:83], v87 offset1:16
	ds_read2_b32 v[88:89], v87 offset0:32 offset1:48
	ds_read2_b32 v[90:91], v87 offset0:64 offset1:80
	s_movk_i32 s8, 0x7fff
	s_mov_b32 s9, 0x7060302
	s_waitcnt lgkmcnt(2)
	v_max3_f32 v86, v82, s40, v83
	s_waitcnt lgkmcnt(1)
	v_max3_f32 v86, v86, v88, v89
	v_sub_f32_e32 v82, v82, v86
	v_mul_f32_e32 v82, 0x3fb8aa3b, v82
	v_exp_f32_e32 v92, v82
	v_sub_f32_e32 v82, v83, v86
	v_mul_f32_e32 v82, 0x3fb8aa3b, v82
	v_exp_f32_e32 v93, v82
	;; [unrolled: 3-line block ×3, first 2 shown]
	ds_read2_b32 v[82:83], v87 offset0:96 offset1:112
	v_sub_f32_e32 v87, v89, v86
	v_mul_f32_e32 v87, 0x3fb8aa3b, v87
	v_exp_f32_e32 v89, v87
	s_waitcnt lgkmcnt(1)
	v_fma_f32 v87, v92, v90, 0
	v_fmac_f32_e32 v87, v93, v91
	s_waitcnt lgkmcnt(0)
	v_fmac_f32_e32 v87, v88, v82
	v_fmac_f32_e32 v87, v89, v83
	v_add_f32_e32 v82, 0x358637bd, v87
	v_div_scale_f32 v83, s[0:1], v82, v82, 1.0
	v_rcp_f32_e32 v90, v83
	s_mul_i32 s3, s3, 6
	s_barrier
	v_fma_f32 v91, -v83, v90, 1.0
	v_fmac_f32_e32 v90, v91, v90
	v_div_scale_f32 v91, vcc, 1.0, v82, 1.0
	v_mul_f32_e32 v94, v91, v90
	v_fma_f32 v95, -v83, v94, v91
	v_fmac_f32_e32 v94, v95, v90
	v_fma_f32 v83, -v83, v94, v91
	v_div_fmas_f32 v83, v83, v90, v94
	v_cmp_eq_u32_e32 vcc, 1, v85
	v_div_fixup_f32 v82, v83, v82, 1.0
	v_cndmask_b32_e32 v83, v92, v93, vcc
	v_cmp_eq_u32_e32 vcc, 2, v85
	v_cndmask_b32_e32 v83, v83, v88, vcc
	v_cmp_eq_u32_e32 vcc, 3, v85
	v_cndmask_b32_e32 v83, v83, v89, vcc
	v_mul_f32_e32 v82, v83, v82
	v_pk_mul_f32 v[80:81], v[82:83], v[80:81] op_sel_hi:[0,1]
	v_pk_mul_f32 v[78:79], v[82:83], v[78:79] op_sel_hi:[0,1]
	v_bfe_u32 v83, v81, 16, 1
	v_bfe_u32 v88, v80, 16, 1
	v_add3_u32 v80, v80, v88, s8
	v_add3_u32 v81, v81, v83, s8
	v_perm_b32 v80, v81, v80, s9
	v_bfe_u32 v81, v79, 16, 1
	v_bfe_u32 v83, v78, 16, 1
	v_add3_u32 v78, v78, v83, s8
	v_add3_u32 v79, v79, v81, s8
	v_lshlrev_b32_e32 v83, 11, v85
	v_perm_b32 v81, v79, v78, s9
	v_lshlrev_b32_e32 v78, 3, v1
	v_lshlrev_b32_e32 v79, 5, v84
	v_pk_mul_f32 v[76:77], v[82:83], v[76:77] op_sel_hi:[0,1]
	v_or3_b32 v78, v83, v79, v78
	v_pk_mul_f32 v[74:75], v[82:83], v[74:75] op_sel_hi:[0,1]
	v_bfe_u32 v83, v77, 16, 1
	v_bfe_u32 v85, v76, 16, 1
	v_add3_u32 v76, v76, v85, s8
	v_add3_u32 v77, v77, v83, s8
	v_perm_b32 v76, v77, v76, s9
	v_bfe_u32 v77, v75, 16, 1
	v_bfe_u32 v83, v74, 16, 1
	v_add3_u32 v74, v74, v83, s8
	v_add3_u32 v75, v75, v77, s8
	v_pk_mul_f32 v[72:73], v[82:83], v[72:73] op_sel_hi:[0,1]
	v_perm_b32 v77, v75, v74, s9
	v_bfe_u32 v74, v73, 16, 1
	v_bfe_u32 v75, v72, 16, 1
	v_pk_mul_f32 v[70:71], v[82:83], v[70:71] op_sel_hi:[0,1]
	v_add3_u32 v72, v72, v75, s8
	v_add3_u32 v73, v73, v74, s8
	v_perm_b32 v72, v73, v72, s9
	v_bfe_u32 v73, v71, 16, 1
	v_bfe_u32 v74, v70, 16, 1
	v_add3_u32 v70, v70, v74, s8
	v_add3_u32 v71, v71, v73, s8
	v_pk_mul_f32 v[68:69], v[82:83], v[68:69] op_sel_hi:[0,1]
	v_perm_b32 v73, v71, v70, s9
	v_bfe_u32 v70, v69, 16, 1
	v_bfe_u32 v71, v68, 16, 1
	v_pk_mul_f32 v[66:67], v[82:83], v[66:67] op_sel_hi:[0,1]
	v_add3_u32 v68, v68, v71, s8
	v_add3_u32 v69, v69, v70, s8
	v_perm_b32 v68, v69, v68, s9
	v_bfe_u32 v69, v67, 16, 1
	v_bfe_u32 v70, v66, 16, 1
	v_add3_u32 v66, v66, v70, s8
	v_add3_u32 v67, v67, v69, s8
	v_perm_b32 v69, v67, v66, s9
	v_cmp_gt_u32_e32 vcc, 6, v0
	ds_write2st64_b64 v78, v[80:81], v[76:77] offset1:1
	ds_write2st64_b64 v78, v[72:73], v[68:69] offset0:2 offset1:3
	s_and_saveexec_b64 s[0:1], vcc
	s_cbranch_execz .LBB349_19
; %bb.18:
	v_add_co_u32_e32 v68, vcc, s27, v84
	v_addc_co_u32_e64 v69, s[10:11], 0, 0, vcc
	v_mov_b32_e32 v66, s3
	v_mov_b32_e32 v67, 0
	v_mad_u64_u32 v[68:69], s[10:11], s6, v66, v[68:69]
	v_mov_b32_e32 v66, s26
	s_load_dwordx4 s[12:15], s[4:5], 0x58
	s_mul_i32 s7, s7, s3
	v_mad_u64_u32 v[66:67], s[10:11], v68, s2, v[66:67]
	v_add_u32_e32 v69, s7, v69
	v_mov_b32_e32 v68, v67
	v_mad_u64_u32 v[68:69], s[10:11], v69, s2, v[68:69]
	v_mov_b32_e32 v67, v68
	v_lshlrev_b64 v[66:67], 2, v[66:67]
	s_waitcnt lgkmcnt(0)
	v_mov_b32_e32 v69, s15
	v_add_co_u32_e32 v68, vcc, s14, v66
	v_addc_co_u32_e32 v69, vcc, v69, v67, vcc
	global_store_dword v[68:69], v86, off
	v_mov_b32_e32 v68, s13
	v_add_co_u32_e32 v66, vcc, s12, v66
	v_addc_co_u32_e32 v67, vcc, v68, v67, vcc
	global_store_dword v[66:67], v87, off
.LBB349_19:
	s_or_b64 exec, exec, s[0:1]
	v_lshl_or_b32 v79, v1, 9, v79
	s_waitcnt lgkmcnt(0)
	s_barrier
	ds_read_b128 v[70:73], v79
	ds_read_b128 v[66:69], v79 offset:16
	s_waitcnt vmcnt(15) lgkmcnt(1)
	v_mfma_f32_16x16x16bf16_1k v[74:77], v[46:47], v[70:71], 0
	s_mov_b32 s1, 0
	v_cmp_gt_u32_e32 vcc, 64, v0
	v_mfma_f32_16x16x16bf16_1k v[46:49], v[48:49], v[72:73], v[74:77]
	s_waitcnt vmcnt(14) lgkmcnt(0)
	v_mfma_f32_16x16x16bf16_1k v[46:49], v[42:43], v[66:67], v[46:49]
	v_mfma_f32_16x16x16bf16_1k v[42:45], v[44:45], v[68:69], v[46:49]
	s_nop 7
	s_nop 1
	ds_read_b128 v[46:49], v79 offset:2048
	ds_read_b128 v[74:77], v79 offset:2064
	s_waitcnt vmcnt(13) lgkmcnt(1)
	v_mfma_f32_16x16x16bf16_1k v[42:45], v[38:39], v[46:47], v[42:45]
	v_mfma_f32_16x16x16bf16_1k v[38:41], v[40:41], v[48:49], v[42:45]
	s_waitcnt vmcnt(12) lgkmcnt(0)
	v_mfma_f32_16x16x16bf16_1k v[38:41], v[34:35], v[74:75], v[38:41]
	v_mfma_f32_16x16x16bf16_1k v[34:37], v[36:37], v[76:77], v[38:41]
	s_nop 7
	s_nop 1
	ds_read_b128 v[38:41], v79 offset:4096
	ds_read_b128 v[42:45], v79 offset:4112
	s_waitcnt vmcnt(11) lgkmcnt(1)
	v_mfma_f32_16x16x16bf16_1k v[34:37], v[30:31], v[38:39], v[34:37]
	v_mfma_f32_16x16x16bf16_1k v[30:33], v[32:33], v[40:41], v[34:37]
	s_waitcnt vmcnt(10) lgkmcnt(0)
	v_mfma_f32_16x16x16bf16_1k v[30:33], v[26:27], v[42:43], v[30:33]
	v_mfma_f32_16x16x16bf16_1k v[26:29], v[28:29], v[44:45], v[30:33]
	s_nop 7
	s_nop 1
	ds_read_b128 v[30:33], v79 offset:6144
	ds_read_b128 v[34:37], v79 offset:6160
	s_waitcnt lgkmcnt(0)
	s_barrier
	s_waitcnt vmcnt(9)
	v_mfma_f32_16x16x16bf16_1k v[26:29], v[22:23], v[30:31], v[26:29]
	v_mfma_f32_16x16x16bf16_1k v[22:25], v[24:25], v[32:33], v[26:29]
	s_waitcnt vmcnt(8)
	v_mfma_f32_16x16x16bf16_1k v[22:25], v[18:19], v[34:35], v[22:25]
	v_mfma_f32_16x16x16bf16_1k v[18:21], v[20:21], v[36:37], v[22:25]
	;; [unrolled: 3-line block ×4, first 2 shown]
	s_waitcnt vmcnt(5)
	v_mfma_f32_16x16x16bf16_1k v[2:5], v[14:15], v[46:47], v[2:5]
	s_nop 7
	v_bfe_u32 v6, v19, 16, 1
	v_bfe_u32 v7, v18, 16, 1
	v_add3_u32 v7, v18, v7, s8
	v_add3_u32 v6, v19, v6, s8
	v_perm_b32 v6, v6, v7, s9
	v_bfe_u32 v7, v21, 16, 1
	v_bfe_u32 v8, v20, 16, 1
	v_mfma_f32_16x16x16bf16_1k v[2:5], v[16:17], v[48:49], v[2:5]
	v_add3_u32 v8, v20, v8, s8
	v_add3_u32 v7, v21, v7, s8
	v_perm_b32 v7, v7, v8, s9
	s_waitcnt vmcnt(4)
	v_mfma_f32_16x16x16bf16_1k v[2:5], v[10:11], v[74:75], v[2:5]
	v_mfma_f32_16x16x16bf16_1k v[2:5], v[12:13], v[76:77], v[2:5]
	s_waitcnt vmcnt(3)
	v_mfma_f32_16x16x16bf16_1k v[2:5], v[54:55], v[38:39], v[2:5]
	v_mfma_f32_16x16x16bf16_1k v[2:5], v[56:57], v[40:41], v[2:5]
	;; [unrolled: 3-line block ×5, first 2 shown]
	s_nop 7
	s_nop 2
	v_bfe_u32 v8, v3, 16, 1
	v_bfe_u32 v9, v2, 16, 1
	v_add3_u32 v2, v2, v9, s8
	v_add3_u32 v3, v3, v8, s8
	v_perm_b32 v2, v3, v2, s9
	v_bfe_u32 v3, v5, 16, 1
	v_bfe_u32 v8, v4, 16, 1
	v_add3_u32 v4, v4, v8, s8
	v_add3_u32 v3, v5, v3, s8
	v_perm_b32 v3, v3, v4, s9
	ds_write2st64_b64 v78, v[6:7], v[2:3] offset1:1
	s_waitcnt lgkmcnt(0)
	s_barrier
	s_and_saveexec_b64 s[8:9], vcc
	s_cbranch_execz .LBB349_22
; %bb.20:
	buffer_load_dword v6, off, s[44:47], 0  ; 4-byte Folded Reload
	buffer_load_dword v7, off, s[44:47], 0 offset:4 ; 4-byte Folded Reload
	s_load_dwordx2 s[4:5], s[4:5], 0x68
	s_lshl_b32 s2, s2, 7
	s_mul_i32 s0, s3, s6
	s_mul_hi_u32 s7, s0, s2
	s_mul_i32 s6, s0, s2
	s_lshl_b64 s[6:7], s[6:7], 1
	s_waitcnt lgkmcnt(0)
	s_add_u32 s3, s4, s6
	s_addc_u32 s4, s5, s7
	s_lshl_b32 s0, s26, 7
	v_lshlrev_b32_e32 v5, 6, v84
	s_lshl_b64 s[0:1], s[0:1], 1
	v_lshlrev_b32_e32 v4, 4, v0
	v_lshl_or_b32 v0, v0, 10, v5
	s_add_u32 s0, s3, s0
	v_lshlrev_b32_e32 v3, 5, v1
	v_and_b32_e32 v4, 16, v4
	v_and_b32_e32 v0, 0x1a00, v0
	s_addc_u32 s1, s4, s1
	v_or_b32_e32 v2, 4, v1
	v_or3_b32 v0, v0, v3, v4
	v_mov_b32_e32 v4, s1
	v_add_u32_e32 v1, s27, v1
	s_waitcnt vmcnt(1)
	v_add_co_u32_e32 v3, vcc, s0, v6
	s_waitcnt vmcnt(0)
	v_addc_co_u32_e32 v4, vcc, v4, v7, vcc
	ds_read_b128 v[6:9], v0
	v_mad_u64_u32 v[10:11], s[0:1], v1, s2, 0
	v_lshlrev_b64 v[10:11], 1, v[10:11]
	v_add_co_u32_e32 v10, vcc, v3, v10
	v_addc_co_u32_e32 v11, vcc, v4, v11, vcc
	v_cmp_gt_u32_e32 vcc, 6, v2
	s_waitcnt lgkmcnt(0)
	global_store_dwordx4 v[10:11], v[6:9], off
	s_and_b64 exec, exec, vcc
	s_cbranch_execz .LBB349_22
; %bb.21:
	ds_read_b128 v[6:9], v0 offset:128
	v_add_u32_e32 v0, s27, v2
	v_mad_u64_u32 v[0:1], s[0:1], v0, s2, 0
	v_lshlrev_b64 v[0:1], 1, v[0:1]
	v_add_co_u32_e32 v0, vcc, v3, v0
	v_addc_co_u32_e32 v1, vcc, v4, v1, vcc
	s_waitcnt lgkmcnt(0)
	global_store_dwordx4 v[0:1], v[6:9], off
.LBB349_22:
	s_endpgm
	.section	.rodata,"a",@progbits
	.p2align	6, 0x0
	.amdhsa_kernel _Z39paged_attention_ll4mi_QKV_mfma16_kernelI14__hip_bfloat16S0_LN4vllm18Fp8KVCacheDataTypeE0ES0_Li32ELi128ELi256ELb1ELi6EL8MFMAType0EEvPKT_PKT0_S9_ifPKiSB_SB_iPKfiiiPfSE_PS4_PT2_iSD_SD_
		.amdhsa_group_segment_fixed_size 8192
		.amdhsa_private_segment_fixed_size 12
		.amdhsa_kernarg_size 400
		.amdhsa_user_sgpr_count 6
		.amdhsa_user_sgpr_private_segment_buffer 1
		.amdhsa_user_sgpr_dispatch_ptr 0
		.amdhsa_user_sgpr_queue_ptr 0
		.amdhsa_user_sgpr_kernarg_segment_ptr 1
		.amdhsa_user_sgpr_dispatch_id 0
		.amdhsa_user_sgpr_flat_scratch_init 0
		.amdhsa_user_sgpr_kernarg_preload_length 0
		.amdhsa_user_sgpr_kernarg_preload_offset 0
		.amdhsa_user_sgpr_private_segment_size 0
		.amdhsa_uses_dynamic_stack 0
		.amdhsa_system_sgpr_private_segment_wavefront_offset 1
		.amdhsa_system_sgpr_workgroup_id_x 1
		.amdhsa_system_sgpr_workgroup_id_y 1
		.amdhsa_system_sgpr_workgroup_id_z 1
		.amdhsa_system_sgpr_workgroup_info 0
		.amdhsa_system_vgpr_workitem_id 0
		.amdhsa_next_free_vgpr 96
		.amdhsa_next_free_sgpr 48
		.amdhsa_accum_offset 96
		.amdhsa_reserve_vcc 1
		.amdhsa_reserve_flat_scratch 0
		.amdhsa_float_round_mode_32 0
		.amdhsa_float_round_mode_16_64 0
		.amdhsa_float_denorm_mode_32 3
		.amdhsa_float_denorm_mode_16_64 3
		.amdhsa_dx10_clamp 1
		.amdhsa_ieee_mode 1
		.amdhsa_fp16_overflow 0
		.amdhsa_tg_split 0
		.amdhsa_exception_fp_ieee_invalid_op 0
		.amdhsa_exception_fp_denorm_src 0
		.amdhsa_exception_fp_ieee_div_zero 0
		.amdhsa_exception_fp_ieee_overflow 0
		.amdhsa_exception_fp_ieee_underflow 0
		.amdhsa_exception_fp_ieee_inexact 0
		.amdhsa_exception_int_div_zero 0
	.end_amdhsa_kernel
	.section	.text._Z39paged_attention_ll4mi_QKV_mfma16_kernelI14__hip_bfloat16S0_LN4vllm18Fp8KVCacheDataTypeE0ES0_Li32ELi128ELi256ELb1ELi6EL8MFMAType0EEvPKT_PKT0_S9_ifPKiSB_SB_iPKfiiiPfSE_PS4_PT2_iSD_SD_,"axG",@progbits,_Z39paged_attention_ll4mi_QKV_mfma16_kernelI14__hip_bfloat16S0_LN4vllm18Fp8KVCacheDataTypeE0ES0_Li32ELi128ELi256ELb1ELi6EL8MFMAType0EEvPKT_PKT0_S9_ifPKiSB_SB_iPKfiiiPfSE_PS4_PT2_iSD_SD_,comdat
.Lfunc_end349:
	.size	_Z39paged_attention_ll4mi_QKV_mfma16_kernelI14__hip_bfloat16S0_LN4vllm18Fp8KVCacheDataTypeE0ES0_Li32ELi128ELi256ELb1ELi6EL8MFMAType0EEvPKT_PKT0_S9_ifPKiSB_SB_iPKfiiiPfSE_PS4_PT2_iSD_SD_, .Lfunc_end349-_Z39paged_attention_ll4mi_QKV_mfma16_kernelI14__hip_bfloat16S0_LN4vllm18Fp8KVCacheDataTypeE0ES0_Li32ELi128ELi256ELb1ELi6EL8MFMAType0EEvPKT_PKT0_S9_ifPKiSB_SB_iPKfiiiPfSE_PS4_PT2_iSD_SD_
                                        ; -- End function
	.section	.AMDGPU.csdata,"",@progbits
; Kernel info:
; codeLenInByte = 5392
; NumSgprs: 52
; NumVgprs: 96
; NumAgprs: 0
; TotalNumVgprs: 96
; ScratchSize: 12
; MemoryBound: 0
; FloatMode: 240
; IeeeMode: 1
; LDSByteSize: 8192 bytes/workgroup (compile time only)
; SGPRBlocks: 6
; VGPRBlocks: 11
; NumSGPRsForWavesPerEU: 52
; NumVGPRsForWavesPerEU: 96
; AccumOffset: 96
; Occupancy: 5
; WaveLimiterHint : 1
; COMPUTE_PGM_RSRC2:SCRATCH_EN: 1
; COMPUTE_PGM_RSRC2:USER_SGPR: 6
; COMPUTE_PGM_RSRC2:TRAP_HANDLER: 0
; COMPUTE_PGM_RSRC2:TGID_X_EN: 1
; COMPUTE_PGM_RSRC2:TGID_Y_EN: 1
; COMPUTE_PGM_RSRC2:TGID_Z_EN: 1
; COMPUTE_PGM_RSRC2:TIDIG_COMP_CNT: 0
; COMPUTE_PGM_RSRC3_GFX90A:ACCUM_OFFSET: 23
; COMPUTE_PGM_RSRC3_GFX90A:TG_SPLIT: 0
	.section	.text._Z39paged_attention_ll4mi_QKV_mfma16_kernelI14__hip_bfloat16S0_LN4vllm18Fp8KVCacheDataTypeE0ES0_Li32ELi128ELi256ELb1ELi7EL8MFMAType0EEvPKT_PKT0_S9_ifPKiSB_SB_iPKfiiiPfSE_PS4_PT2_iSD_SD_,"axG",@progbits,_Z39paged_attention_ll4mi_QKV_mfma16_kernelI14__hip_bfloat16S0_LN4vllm18Fp8KVCacheDataTypeE0ES0_Li32ELi128ELi256ELb1ELi7EL8MFMAType0EEvPKT_PKT0_S9_ifPKiSB_SB_iPKfiiiPfSE_PS4_PT2_iSD_SD_,comdat
	.protected	_Z39paged_attention_ll4mi_QKV_mfma16_kernelI14__hip_bfloat16S0_LN4vllm18Fp8KVCacheDataTypeE0ES0_Li32ELi128ELi256ELb1ELi7EL8MFMAType0EEvPKT_PKT0_S9_ifPKiSB_SB_iPKfiiiPfSE_PS4_PT2_iSD_SD_ ; -- Begin function _Z39paged_attention_ll4mi_QKV_mfma16_kernelI14__hip_bfloat16S0_LN4vllm18Fp8KVCacheDataTypeE0ES0_Li32ELi128ELi256ELb1ELi7EL8MFMAType0EEvPKT_PKT0_S9_ifPKiSB_SB_iPKfiiiPfSE_PS4_PT2_iSD_SD_
	.globl	_Z39paged_attention_ll4mi_QKV_mfma16_kernelI14__hip_bfloat16S0_LN4vllm18Fp8KVCacheDataTypeE0ES0_Li32ELi128ELi256ELb1ELi7EL8MFMAType0EEvPKT_PKT0_S9_ifPKiSB_SB_iPKfiiiPfSE_PS4_PT2_iSD_SD_
	.p2align	8
	.type	_Z39paged_attention_ll4mi_QKV_mfma16_kernelI14__hip_bfloat16S0_LN4vllm18Fp8KVCacheDataTypeE0ES0_Li32ELi128ELi256ELb1ELi7EL8MFMAType0EEvPKT_PKT0_S9_ifPKiSB_SB_iPKfiiiPfSE_PS4_PT2_iSD_SD_,@function
_Z39paged_attention_ll4mi_QKV_mfma16_kernelI14__hip_bfloat16S0_LN4vllm18Fp8KVCacheDataTypeE0ES0_Li32ELi128ELi256ELb1ELi7EL8MFMAType0EEvPKT_PKT0_S9_ifPKiSB_SB_iPKfiiiPfSE_PS4_PT2_iSD_SD_: ; @_Z39paged_attention_ll4mi_QKV_mfma16_kernelI14__hip_bfloat16S0_LN4vllm18Fp8KVCacheDataTypeE0ES0_Li32ELi128ELi256ELb1ELi7EL8MFMAType0EEvPKT_PKT0_S9_ifPKiSB_SB_iPKfiiiPfSE_PS4_PT2_iSD_SD_
; %bb.0:
	s_mov_b64 s[46:47], s[2:3]
	s_mov_b64 s[44:45], s[0:1]
	s_load_dwordx2 s[0:1], s[4:5], 0x30
	s_add_u32 s44, s44, s9
	s_addc_u32 s45, s45, 0
	s_mov_b32 s26, s7
	s_mov_b64 s[10:11], 0
	s_waitcnt lgkmcnt(0)
	s_cmp_lg_u64 s[0:1], 0
	s_cselect_b64 s[2:3], -1, 0
	s_and_b64 vcc, exec, s[2:3]
	s_cbranch_vccz .LBB350_7
; %bb.1:
	s_add_i32 s12, s6, 1
	s_mov_b32 s13, 0
	s_lshl_b64 s[14:15], s[12:13], 2
	s_add_u32 s14, s0, s14
	s_mov_b32 s7, s13
	s_addc_u32 s15, s1, s15
	s_lshl_b64 s[12:13], s[6:7], 2
	s_add_u32 s12, s0, s12
	s_addc_u32 s13, s1, s13
	s_load_dword s9, s[14:15], 0x0
	s_load_dword s16, s[12:13], 0x0
	s_waitcnt lgkmcnt(0)
	s_sub_i32 s9, s9, s16
	s_cmp_eq_u32 s9, 1
	s_cselect_b64 s[12:13], -1, 0
	s_andn2_b64 vcc, exec, s[10:11]
	s_cbranch_vccnz .LBB350_3
.LBB350_2:
	s_mov_b32 s7, 0
	s_mov_b64 s[12:13], -1
.LBB350_3:
	s_andn2_b64 vcc, exec, s[12:13]
	s_cbranch_vccnz .LBB350_22
; %bb.4:
	s_load_dwordx2 s[12:13], s[4:5], 0x28
	s_lshl_b64 s[10:11], s[6:7], 2
	s_waitcnt lgkmcnt(0)
	s_add_u32 s12, s12, s10
	s_addc_u32 s13, s13, s11
	s_load_dword s33, s[12:13], 0x0
	s_lshl_b32 s16, s26, 8
	s_waitcnt lgkmcnt(0)
	s_cmp_ge_i32 s16, s33
	s_cbranch_scc1 .LBB350_22
; %bb.5:
	s_add_i32 s14, s33, 31
	s_load_dwordx2 s[12:13], s[4:5], 0x20
	s_load_dword s9, s[4:5], 0x38
	s_ashr_i32 s15, s14, 31
	v_and_b32_e32 v1, 0xcf, v0
	s_lshr_b32 s15, s15, 27
	v_add_u32_e32 v1, s16, v1
	s_add_i32 s14, s14, s15
	v_ashrrev_i32_e32 v2, 31, v1
	s_ashr_i32 s19, s14, 5
	v_lshrrev_b32_e32 v6, 27, v2
	s_add_i32 s19, s19, -1
	v_add_u32_e32 v2, v1, v6
	s_waitcnt lgkmcnt(0)
	s_mul_i32 s14, s6, s9
	s_mov_b32 s15, 0
	v_ashrrev_i32_e32 v2, 5, v2
	v_mov_b32_e32 v7, s19
	v_cmp_gt_i32_e32 vcc, s33, v1
	s_lshl_b64 s[14:15], s[14:15], 2
	v_cndmask_b32_e32 v2, v7, v2, vcc
	s_add_u32 s17, s12, s14
	v_ashrrev_i32_e32 v3, 31, v2
	s_addc_u32 s18, s13, s15
	v_lshlrev_b64 v[2:3], 2, v[2:3]
	v_mov_b32_e32 v4, s18
	v_add_co_u32_e32 v2, vcc, s17, v2
	v_addc_co_u32_e32 v3, vcc, v4, v3, vcc
	v_or_b32_e32 v4, 16, v1
	v_add_u32_e32 v5, v4, v6
	v_ashrrev_i32_e32 v5, 5, v5
	v_cmp_gt_i32_e32 vcc, s33, v4
	v_cndmask_b32_e32 v4, v7, v5, vcc
	v_ashrrev_i32_e32 v5, 31, v4
	v_lshlrev_b64 v[4:5], 2, v[4:5]
	v_mov_b32_e32 v9, s18
	v_add_co_u32_e32 v8, vcc, s17, v4
	v_or_b32_e32 v4, 32, v1
	v_addc_co_u32_e32 v9, vcc, v9, v5, vcc
	v_add_u32_e32 v5, v4, v6
	v_ashrrev_i32_e32 v5, 5, v5
	v_cmp_gt_i32_e32 vcc, s33, v4
	v_cndmask_b32_e32 v4, v7, v5, vcc
	v_ashrrev_i32_e32 v5, 31, v4
	v_lshlrev_b64 v[4:5], 2, v[4:5]
	v_mov_b32_e32 v11, s18
	v_add_co_u32_e32 v10, vcc, s17, v4
	v_or_b32_e32 v1, 48, v1
	v_addc_co_u32_e32 v11, vcc, v11, v5, vcc
	v_add_u32_e32 v4, v1, v6
	v_ashrrev_i32_e32 v4, 5, v4
	v_cmp_gt_i32_e32 vcc, s33, v1
	v_cndmask_b32_e32 v4, v7, v4, vcc
	v_ashrrev_i32_e32 v5, 31, v4
	v_lshlrev_b64 v[4:5], 2, v[4:5]
	v_mov_b32_e32 v1, s18
	v_add_co_u32_e32 v12, vcc, s17, v4
	v_addc_co_u32_e32 v13, vcc, v1, v5, vcc
	global_load_dword v7, v[2:3], off
	global_load_dword v6, v[8:9], off
	global_load_dword v5, v[10:11], off
	global_load_dword v4, v[12:13], off
	s_andn2_b64 vcc, exec, s[2:3]
	s_cbranch_vccnz .LBB350_8
; %bb.6:
	s_add_u32 s0, s0, s10
	s_addc_u32 s1, s1, s11
	s_load_dword s9, s[0:1], 0x0
	s_branch .LBB350_9
.LBB350_7:
	s_mov_b64 s[12:13], 0
	s_branch .LBB350_2
.LBB350_8:
	s_mov_b32 s9, s6
.LBB350_9:
	s_load_dwordx2 s[12:13], s[4:5], 0x8
	s_load_dwordx4 s[0:3], s[4:5], 0x48
	v_lshrrev_b32_e32 v85, 6, v0
	v_bfe_u32 v1, v0, 4, 2
	v_lshl_or_b32 v8, v85, 2, v1
	v_and_b32_e32 v84, 15, v0
	v_lshlrev_b32_e32 v2, 3, v84
	v_cmp_lt_u32_e32 vcc, 6, v8
	s_and_saveexec_b64 s[10:11], vcc
	s_xor_b64 s[10:11], exec, s[10:11]
; %bb.10:
	v_mov_b32_e32 v3, 0
                                        ; implicit-def: $vgpr8
; %bb.11:
	s_or_saveexec_b64 s[14:15], s[10:11]
	s_load_dwordx2 s[10:11], s[4:5], 0x10
	s_mul_i32 s27, s8, 7
	s_xor_b64 exec, exec, s[14:15]
	s_cbranch_execz .LBB350_13
; %bb.12:
	s_load_dwordx2 s[20:21], s[4:5], 0x0
	s_waitcnt lgkmcnt(0)
	s_ashr_i32 s3, s0, 31
	s_mul_hi_u32 s22, s9, s0
	s_mul_i32 s3, s9, s3
	s_add_i32 s23, s22, s3
	s_mul_i32 s22, s9, s0
	s_lshl_b64 s[22:23], s[22:23], 1
	v_add_lshl_u32 v10, v8, s27, 7
	s_add_u32 s0, s20, s22
	v_ashrrev_i32_e32 v11, 31, v10
	s_addc_u32 s3, s21, s23
	v_lshlrev_b64 v[10:11], 1, v[10:11]
	v_mov_b32_e32 v3, s3
	v_add_co_u32_e32 v9, vcc, s0, v10
	v_addc_co_u32_e32 v3, vcc, v3, v11, vcc
	v_lshlrev_b32_e32 v10, 1, v2
	v_add_co_u32_e32 v10, vcc, v9, v10
	v_addc_co_u32_e32 v11, vcc, 0, v3, vcc
	global_load_dwordx4 v[10:13], v[10:11], off
	v_and_b32_e32 v9, 3, v0
	v_lshlrev_b32_e32 v14, 9, v84
	v_lshlrev_b32_e32 v8, 5, v8
	;; [unrolled: 1-line block ×3, first 2 shown]
	v_and_b32_e32 v14, 0x1800, v14
	v_mov_b32_e32 v3, 0
	v_or3_b32 v8, v14, v9, v8
	s_waitcnt vmcnt(0)
	ds_write_b128 v8, v[10:13]
.LBB350_13:
	s_or_b64 exec, exec, s[14:15]
	s_waitcnt lgkmcnt(0)
	s_mul_i32 s2, s8, s2
	s_mov_b32 s3, 0
	s_lshl_b64 s[2:3], s[2:3], 1
	s_add_u32 s0, s12, s2
	s_waitcnt vmcnt(3)
	v_mad_i64_i32 v[8:9], s[8:9], v7, s1, 0
	s_addc_u32 s12, s13, s3
	v_lshlrev_b64 v[8:9], 1, v[8:9]
	v_mov_b32_e32 v7, s12
	v_add_co_u32_e32 v8, vcc, s0, v8
	v_addc_co_u32_e32 v7, vcc, v7, v9, vcc
	v_lshlrev_b64 v[14:15], 1, v[2:3]
	v_add_co_u32_e32 v8, vcc, v8, v14
	v_lshlrev_b32_e32 v12, 9, v1
	v_addc_co_u32_e32 v7, vcc, v7, v15, vcc
	v_add_co_u32_e32 v2, vcc, v8, v12
	v_addc_co_u32_e32 v3, vcc, 0, v7, vcc
	v_or_b32_e32 v10, 0x1000, v12
	s_barrier
	global_load_dwordx4 v[38:41], v[2:3], off
	global_load_dwordx4 v[30:33], v[2:3], off offset:2048
	v_add_co_u32_e32 v2, vcc, v8, v10
	v_addc_co_u32_e32 v3, vcc, 0, v7, vcc
	v_or_b32_e32 v11, 0x1800, v12
	v_add_co_u32_e32 v8, vcc, v8, v11
	v_addc_co_u32_e32 v9, vcc, 0, v7, vcc
	global_load_dwordx4 v[46:49], v[2:3], off
	global_load_dwordx4 v[58:61], v[8:9], off
	s_waitcnt vmcnt(6)
	v_mad_i64_i32 v[2:3], s[8:9], v6, s1, 0
	v_lshlrev_b64 v[2:3], 1, v[2:3]
	v_mov_b32_e32 v6, s12
	v_add_co_u32_e32 v2, vcc, s0, v2
	v_addc_co_u32_e32 v3, vcc, v6, v3, vcc
	v_mov_b32_e32 v6, 0x100
	v_lshl_or_b32 v8, v84, 4, v6
	v_add_co_u32_e32 v6, vcc, v2, v8
	v_addc_co_u32_e32 v7, vcc, 0, v3, vcc
	v_add_co_u32_e32 v2, vcc, v6, v12
	v_addc_co_u32_e32 v3, vcc, 0, v7, vcc
	global_load_dwordx4 v[74:77], v[2:3], off
	global_load_dwordx4 v[70:73], v[2:3], off offset:2048
	v_add_co_u32_e32 v2, vcc, v6, v10
	v_addc_co_u32_e32 v3, vcc, 0, v7, vcc
	v_add_co_u32_e32 v6, vcc, v6, v11
	v_addc_co_u32_e32 v7, vcc, 0, v7, vcc
	global_load_dwordx4 v[78:81], v[2:3], off
	global_load_dwordx4 v[66:69], v[6:7], off
	s_waitcnt vmcnt(9)
	v_mad_i64_i32 v[2:3], s[8:9], v5, s1, 0
	v_lshlrev_b64 v[2:3], 1, v[2:3]
	v_mov_b32_e32 v5, s12
	v_add_co_u32_e32 v2, vcc, s0, v2
	v_addc_co_u32_e32 v3, vcc, v5, v3, vcc
	v_add_co_u32_e32 v5, vcc, v2, v14
	buffer_store_dword v14, off, s[44:47], 0 ; 4-byte Folded Spill
	s_nop 0
	buffer_store_dword v15, off, s[44:47], 0 offset:4 ; 4-byte Folded Spill
	v_and_b32_e32 v94, 63, v0
	v_mov_b32_e32 v87, 0
	v_addc_co_u32_e32 v7, vcc, v3, v15, vcc
	v_add_co_u32_e32 v2, vcc, v5, v12
	v_addc_co_u32_e32 v3, vcc, 0, v7, vcc
	global_load_dwordx4 v[62:65], v[2:3], off
	global_load_dwordx4 v[42:45], v[2:3], off offset:2048
	v_add_co_u32_e32 v2, vcc, v5, v10
	v_addc_co_u32_e32 v3, vcc, 0, v7, vcc
	v_add_co_u32_e32 v6, vcc, v5, v11
	v_addc_co_u32_e32 v7, vcc, 0, v7, vcc
	global_load_dwordx4 v[26:29], v[2:3], off
	global_load_dwordx4 v[18:21], v[6:7], off
	s_waitcnt vmcnt(14)
	v_mad_i64_i32 v[2:3], s[8:9], v4, s1, 0
	v_lshlrev_b64 v[2:3], 1, v[2:3]
	v_mov_b32_e32 v4, s12
	v_add_co_u32_e32 v2, vcc, s0, v2
	v_addc_co_u32_e32 v3, vcc, v4, v3, vcc
	v_add_co_u32_e32 v4, vcc, v2, v8
	v_addc_co_u32_e32 v5, vcc, 0, v3, vcc
	;; [unrolled: 2-line block ×3, first 2 shown]
	global_load_dwordx4 v[14:17], v[2:3], off
	global_load_dwordx4 v[6:9], v[2:3], off offset:2048
	v_add_co_u32_e32 v2, vcc, v4, v10
	v_addc_co_u32_e32 v3, vcc, 0, v5, vcc
	v_add_co_u32_e32 v10, vcc, v4, v11
	v_addc_co_u32_e32 v11, vcc, 0, v5, vcc
	global_load_dwordx4 v[2:5], v[2:3], off
	s_nop 0
	global_load_dwordx4 v[50:53], v[10:11], off
	v_mul_lo_u16_e32 v10, 37, v84
	v_mov_b32_e32 v11, 7
	v_mul_lo_u16_sdwa v10, v10, v11 dst_sel:DWORD dst_unused:UNUSED_PAD src0_sel:BYTE_1 src1_sel:DWORD
	v_sub_u16_e32 v10, v84, v10
	v_and_b32_e32 v10, 0xff, v10
	v_lshl_add_u32 v54, v10, 5, v12
	ds_read_b128 v[34:37], v54
	ds_read_b128 v[22:25], v54 offset:2048
	ds_read_b128 v[10:13], v54 offset:4096
	ds_read_b128 v[54:57], v54 offset:6144
	v_cmp_gt_u32_e32 vcc, 7, v84
	s_and_saveexec_b64 s[8:9], vcc
	s_cbranch_execz .LBB350_15
; %bb.14:
	s_load_dwordx2 s[12:13], s[4:5], 0x40
	v_add_u32_e32 v82, s27, v84
	v_ashrrev_i32_e32 v83, 31, v82
	v_lshlrev_b64 v[82:83], 2, v[82:83]
	s_waitcnt lgkmcnt(0)
	v_mov_b32_e32 v87, s13
	v_add_co_u32_e32 v82, vcc, s12, v82
	v_addc_co_u32_e32 v83, vcc, v87, v83, vcc
	global_load_dword v87, v[82:83], off
.LBB350_15:
	s_or_b64 exec, exec, s[8:9]
	s_waitcnt vmcnt(17) lgkmcnt(3)
	v_mfma_f32_16x16x16bf16_1k v[88:91], v[38:39], v[34:35], 0
	s_ashr_i32 s0, s16, 31
	s_lshr_b32 s0, s0, 27
	s_add_u32 s2, s10, s2
	s_addc_u32 s3, s11, s3
	s_mov_b32 s40, 0xff7fffff
	v_mfma_f32_16x16x16bf16_1k v[38:41], v[40:41], v[36:37], v[88:91]
	s_waitcnt vmcnt(16) lgkmcnt(2)
	v_mfma_f32_16x16x16bf16_1k v[38:41], v[30:31], v[22:23], v[38:41]
	s_nop 4
	v_lshl_or_b32 v88, v85, 4, v84
	v_mfma_f32_16x16x16bf16_1k v[30:33], v[32:33], v[24:25], v[38:41]
	s_waitcnt vmcnt(15) lgkmcnt(1)
	v_mfma_f32_16x16x16bf16_1k v[30:33], v[46:47], v[10:11], v[30:33]
	v_and_or_b32 v46, v0, 48, s16
	s_nop 3
	v_add_u32_e32 v38, s0, v46
	v_ashrrev_i32_e32 v38, 5, v38
	v_mov_b32_e32 v47, s19
	v_cmp_gt_i32_e32 vcc, s33, v46
	v_cndmask_b32_e32 v38, v47, v38, vcc
	v_ashrrev_i32_e32 v39, 31, v38
	v_mfma_f32_16x16x16bf16_1k v[30:33], v[48:49], v[12:13], v[30:33]
	v_or_b32_e32 v40, 64, v46
	v_add_u32_e32 v41, s0, v40
	v_ashrrev_i32_e32 v41, 5, v41
	v_mov_b32_e32 v48, s18
	s_waitcnt vmcnt(14) lgkmcnt(0)
	v_mfma_f32_16x16x16bf16_1k v[30:33], v[58:59], v[54:55], v[30:33]
	v_mfma_f32_16x16x16bf16_1k v[58:61], v[60:61], v[56:57], v[30:33]
	s_waitcnt vmcnt(13)
	v_mfma_f32_16x16x16bf16_1k v[30:33], v[74:75], v[34:35], 0
	v_mfma_f32_16x16x16bf16_1k v[30:33], v[76:77], v[36:37], v[30:33]
	v_lshlrev_b32_e32 v76, 6, v88
	s_waitcnt vmcnt(12)
	v_mfma_f32_16x16x16bf16_1k v[30:33], v[70:71], v[22:23], v[30:33]
	v_mfma_f32_16x16x16bf16_1k v[30:33], v[72:73], v[24:25], v[30:33]
	s_waitcnt vmcnt(11)
	v_mfma_f32_16x16x16bf16_1k v[30:33], v[78:79], v[10:11], v[30:33]
	v_mfma_f32_16x16x16bf16_1k v[30:33], v[80:81], v[12:13], v[30:33]
	;; [unrolled: 3-line block ×3, first 2 shown]
	s_nop 7
	s_nop 1
	v_lshlrev_b64 v[30:31], 2, v[38:39]
	v_mov_b32_e32 v32, s18
	v_add_co_u32_e32 v38, vcc, s17, v30
	v_addc_co_u32_e32 v39, vcc, v32, v31, vcc
	v_cmp_gt_i32_e32 vcc, s33, v40
	v_cndmask_b32_e32 v40, v47, v41, vcc
	v_ashrrev_i32_e32 v41, 31, v40
	v_lshlrev_b64 v[40:41], 2, v[40:41]
	v_add_co_u32_e32 v40, vcc, s17, v40
	v_addc_co_u32_e32 v41, vcc, v48, v41, vcc
	global_load_dword v48, v[38:39], off
	s_nop 0
	global_load_dword v40, v[40:41], off
	v_or_b32_e32 v38, 0x80, v46
	v_add_u32_e32 v39, s0, v38
	v_ashrrev_i32_e32 v39, 5, v39
	v_cmp_gt_i32_e32 vcc, s33, v38
	v_cndmask_b32_e32 v38, v47, v39, vcc
	v_ashrrev_i32_e32 v39, 31, v38
	v_lshlrev_b64 v[38:39], 2, v[38:39]
	v_mov_b32_e32 v41, s18
	v_add_co_u32_e32 v38, vcc, s17, v38
	v_addc_co_u32_e32 v39, vcc, v41, v39, vcc
	s_waitcnt vmcnt(9)
	v_mfma_f32_16x16x16bf16_1k v[30:33], v[62:63], v[34:35], 0
	global_load_dword v62, v[38:39], off
	v_or_b32_e32 v38, 0xc0, v46
	v_add_u32_e32 v39, s0, v38
	v_ashrrev_i32_e32 v39, 5, v39
	v_cmp_gt_i32_e32 vcc, s33, v38
	v_cndmask_b32_e32 v38, v47, v39, vcc
	v_ashrrev_i32_e32 v39, 31, v38
	v_mfma_f32_16x16x16bf16_1k v[30:33], v[64:65], v[36:37], v[30:33]
	s_load_dword s0, s[4:5], 0x1c
	s_waitcnt lgkmcnt(0)
	v_pk_mul_f32 v[58:59], s[0:1], v[58:59] op_sel_hi:[0,1]
	s_waitcnt vmcnt(9)
	v_mfma_f32_16x16x16bf16_1k v[30:33], v[42:43], v[22:23], v[30:33]
	v_mfma_f32_16x16x16bf16_1k v[30:33], v[44:45], v[24:25], v[30:33]
	s_waitcnt vmcnt(8)
	v_mfma_f32_16x16x16bf16_1k v[30:33], v[26:27], v[10:11], v[30:33]
	v_lshlrev_b64 v[26:27], 2, v[38:39]
	v_mov_b32_e32 v39, s18
	v_add_co_u32_e32 v38, vcc, s17, v26
	v_addc_co_u32_e32 v39, vcc, v39, v27, vcc
	global_load_dword v63, v[38:39], off
	v_mfma_f32_16x16x16bf16_1k v[26:29], v[28:29], v[12:13], v[30:33]
	s_waitcnt vmcnt(8)
	v_mfma_f32_16x16x16bf16_1k v[26:29], v[18:19], v[54:55], v[26:29]
	s_nop 4
	v_and_b32_e32 v30, 16, v0
	v_lshlrev_b32_e32 v30, 1, v30
	v_mov_b32_e32 v18, s3
	v_add_co_u32_e32 v74, vcc, s2, v30
	v_addc_co_u32_e32 v75, vcc, 0, v18, vcc
	v_mfma_f32_16x16x16bf16_1k v[90:93], v[20:21], v[56:57], v[26:29]
	v_add_co_u32_e32 v77, vcc, v74, v76
	v_addc_co_u32_e32 v78, vcc, 0, v75, vcc
	s_waitcnt vmcnt(3)
	v_mad_i64_i32 v[18:19], s[2:3], v48, s1, 0
	v_lshlrev_b64 v[70:71], 1, v[18:19]
	v_mfma_f32_16x16x16bf16_1k v[18:21], v[14:15], v[34:35], 0
	v_add_co_u32_e32 v14, vcc, v77, v70
	v_addc_co_u32_e32 v15, vcc, v78, v71, vcc
	global_load_dwordx4 v[46:49], v[14:15], off
	global_load_dwordx4 v[42:45], v[14:15], off offset:16
	s_waitcnt vmcnt(4)
	v_mad_i64_i32 v[14:15], s[2:3], v40, s1, 0
	v_lshlrev_b64 v[72:73], 1, v[14:15]
	v_mfma_f32_16x16x16bf16_1k v[14:17], v[16:17], v[36:37], v[18:21]
	v_mfma_f32_16x16x16bf16_1k v[14:17], v[6:7], v[22:23], v[14:17]
	s_nop 5
	v_add_co_u32_e32 v18, vcc, v77, v72
	v_addc_co_u32_e32 v19, vcc, v78, v73, vcc
	global_load_dwordx4 v[38:41], v[18:19], off
	global_load_dwordx4 v[34:37], v[18:19], off offset:16
	s_waitcnt vmcnt(5)
	v_mad_i64_i32 v[18:19], s[2:3], v62, s1, 0
	v_lshlrev_b64 v[64:65], 1, v[18:19]
	v_add_co_u32_e32 v6, vcc, v77, v64
	v_addc_co_u32_e32 v7, vcc, v78, v65, vcc
	global_load_dwordx4 v[30:33], v[6:7], off
	global_load_dwordx4 v[26:29], v[6:7], off offset:16
	v_mfma_f32_16x16x16bf16_1k v[6:9], v[8:9], v[24:25], v[14:17]
	v_mfma_f32_16x16x16bf16_1k v[6:9], v[2:3], v[10:11], v[6:9]
	v_or_b32_e32 v2, 0x1000, v76
	s_waitcnt vmcnt(6)
	s_nop 3
	v_mad_i64_i32 v[14:15], s[2:3], v63, s1, 0
	v_mfma_f32_16x16x16bf16_1k v[10:13], v[4:5], v[12:13], v[6:9]
	v_lshlrev_b64 v[62:63], 1, v[14:15]
	v_add_co_u32_e32 v14, vcc, v77, v62
	v_addc_co_u32_e32 v15, vcc, v78, v63, vcc
	v_add_co_u32_e32 v89, vcc, v74, v2
	v_mfma_f32_16x16x16bf16_1k v[80:83], v[50:51], v[54:55], v[10:13]
	v_addc_co_u32_e32 v86, vcc, 0, v75, vcc
	v_pk_mul_f32 v[74:75], s[0:1], v[68:69] op_sel_hi:[0,1]
	v_pk_mul_f32 v[76:77], s[0:1], v[66:67] op_sel_hi:[0,1]
	;; [unrolled: 1-line block ×3, first 2 shown]
	v_add_co_u32_e32 v2, vcc, v89, v70
	v_mfma_f32_16x16x16bf16_1k v[50:53], v[52:53], v[56:57], v[80:83]
	v_addc_co_u32_e32 v3, vcc, v86, v71, vcc
	v_add_co_u32_e32 v70, vcc, v89, v72
	v_addc_co_u32_e32 v71, vcc, v86, v73, vcc
	global_load_dwordx4 v[22:25], v[14:15], off
	global_load_dwordx4 v[18:21], v[14:15], off offset:16
	s_nop 5
	v_pk_mul_f32 v[68:69], s[0:1], v[50:51] op_sel_hi:[0,1]
	v_and_b32_e32 v50, 0xc0, v0
	v_add_u32_e32 v50, s16, v50
	v_lshl_or_b32 v50, v1, 2, v50
	v_or_b32_e32 v51, 1, v50
	v_pk_mul_f32 v[66:67], s[0:1], v[52:53] op_sel_hi:[0,1]
	v_subrev_u32_e32 v52, s33, v51
	v_add_u32_e32 v54, 1, v52
	v_add_u32_e32 v55, 2, v52
	v_cvt_f32_i32_e32 v53, v52
	v_cvt_f32_i32_e32 v54, v54
	;; [unrolled: 1-line block ×3, first 2 shown]
	v_add_u32_e32 v56, 3, v52
	v_fma_f32 v58, v87, v53, v58
	v_fmac_f32_e32 v59, v87, v54
	v_fma_f32 v78, v87, v55, v78
	v_add_u32_e32 v53, 16, v52
	v_add_u32_e32 v54, 17, v52
	;; [unrolled: 1-line block ×3, first 2 shown]
	v_cvt_f32_i32_e32 v56, v56
	v_cvt_f32_i32_e32 v53, v53
	;; [unrolled: 1-line block ×4, first 2 shown]
	v_fmac_f32_e32 v79, v87, v56
	v_add_u32_e32 v56, 19, v52
	v_fma_f32 v76, v87, v53, v76
	v_fmac_f32_e32 v77, v87, v54
	v_fma_f32 v74, v87, v55, v74
	v_add_u32_e32 v53, 32, v52
	v_add_u32_e32 v54, 33, v52
	;; [unrolled: 1-line block ×3, first 2 shown]
	v_cvt_f32_i32_e32 v56, v56
	v_cvt_f32_i32_e32 v53, v53
	;; [unrolled: 1-line block ×4, first 2 shown]
	global_load_dwordx4 v[6:9], v[2:3], off
	s_nop 0
	global_load_dwordx4 v[2:5], v[2:3], off offset:16
	s_nop 0
	global_load_dwordx4 v[14:17], v[70:71], off
	global_load_dwordx4 v[10:13], v[70:71], off offset:16
	v_pk_mul_f32 v[70:71], s[0:1], v[92:93] op_sel_hi:[0,1]
	v_pk_mul_f32 v[72:73], s[0:1], v[90:91] op_sel_hi:[0,1]
	v_fmac_f32_e32 v75, v87, v56
	v_add_u32_e32 v56, 35, v52
	v_fma_f32 v72, v87, v53, v72
	v_fmac_f32_e32 v73, v87, v54
	v_fma_f32 v70, v87, v55, v70
	v_add_u32_e32 v53, 48, v52
	v_add_u32_e32 v54, 49, v52
	;; [unrolled: 1-line block ×4, first 2 shown]
	v_cvt_f32_i32_e32 v52, v52
	v_cvt_f32_i32_e32 v53, v53
	;; [unrolled: 1-line block ×3, first 2 shown]
	v_cmp_gt_i32_e64 s[28:29], s33, v50
	v_fmac_f32_e32 v67, v87, v52
	v_mov_b32_e32 v52, 0xff7fffff
	v_cmp_gt_i32_e64 s[30:31], s33, v51
	v_fma_f32 v68, v87, v53, v68
	v_cndmask_b32_e64 v53, v52, v58, s[28:29]
	v_cndmask_b32_e64 v51, v52, v59, s[30:31]
	v_fmac_f32_e32 v69, v87, v54
	v_max3_f32 v51, v53, s40, v51
	v_or_b32_e32 v53, 2, v50
	v_or_b32_e32 v54, 3, v50
	v_cmp_gt_i32_e64 s[34:35], s33, v53
	v_cmp_gt_i32_e64 s[36:37], s33, v54
	v_cndmask_b32_e64 v53, v52, v78, s[34:35]
	v_cndmask_b32_e64 v54, v52, v79, s[36:37]
	v_max3_f32 v51, v51, v53, v54
	v_or_b32_e32 v53, 16, v50
	v_or_b32_e32 v54, 17, v50
	v_cmp_gt_i32_e64 s[22:23], s33, v53
	v_cmp_gt_i32_e64 s[24:25], s33, v54
	v_cndmask_b32_e64 v53, v52, v76, s[22:23]
	v_cndmask_b32_e64 v54, v52, v77, s[24:25]
	;; [unrolled: 7-line block ×3, first 2 shown]
	v_cvt_f32_i32_e32 v56, v56
	v_max3_f32 v51, v51, v53, v54
	v_or_b32_e32 v53, 32, v50
	v_or_b32_e32 v54, 33, v50
	v_cmp_gt_i32_e64 s[14:15], s33, v53
	v_cmp_gt_i32_e64 s[16:17], s33, v54
	v_cndmask_b32_e64 v53, v52, v72, s[14:15]
	v_cndmask_b32_e64 v54, v52, v73, s[16:17]
	v_max3_f32 v51, v51, v53, v54
	v_or_b32_e32 v53, 34, v50
	v_or_b32_e32 v54, 35, v50
	v_fmac_f32_e32 v71, v87, v56
	v_cmp_gt_i32_e64 s[10:11], s33, v53
	v_cmp_gt_i32_e64 s[12:13], s33, v54
	v_cndmask_b32_e64 v53, v52, v70, s[10:11]
	v_cndmask_b32_e64 v54, v52, v71, s[12:13]
	v_cvt_f32_i32_e32 v55, v55
	v_max3_f32 v51, v51, v53, v54
	v_or_b32_e32 v53, 48, v50
	v_or_b32_e32 v54, 49, v50
	v_cmp_gt_i32_e64 s[2:3], s33, v53
	v_cmp_gt_i32_e64 s[8:9], s33, v54
	v_cndmask_b32_e64 v53, v52, v68, s[2:3]
	v_cndmask_b32_e64 v54, v52, v69, s[8:9]
	v_max3_f32 v51, v51, v53, v54
	v_or_b32_e32 v53, 50, v50
	v_or_b32_e32 v50, 51, v50
	v_fma_f32 v66, v87, v55, v66
	v_cmp_gt_i32_e32 vcc, s33, v53
	v_cmp_gt_i32_e64 s[0:1], s33, v50
	v_cndmask_b32_e32 v53, v52, v66, vcc
	v_cndmask_b32_e64 v50, v52, v67, s[0:1]
	v_max3_f32 v60, v51, v53, v50
	v_mbcnt_lo_u32_b32 v50, -1, 0
	v_mbcnt_hi_u32_b32 v61, -1, v50
	v_and_b32_e32 v50, 64, v61
	v_add_u32_e32 v80, 64, v50
	v_xor_b32_e32 v50, 32, v61
	v_cmp_lt_i32_e64 s[38:39], v50, v80
	v_cndmask_b32_e64 v50, v61, v50, s[38:39]
	v_lshlrev_b32_e32 v82, 2, v50
	ds_bpermute_b32 v81, v82, v60
	v_add_co_u32_e64 v50, s[38:39], v89, v64
	v_addc_co_u32_e64 v51, s[38:39], v86, v65, s[38:39]
	s_waitcnt lgkmcnt(0)
	v_max_f32_e32 v64, v81, v81
	v_max_f32_e32 v64, v60, v64
	v_xor_b32_e32 v60, 16, v61
	v_cmp_lt_i32_e64 s[38:39], v60, v80
	v_cndmask_b32_e64 v60, v61, v60, s[38:39]
	v_lshlrev_b32_e32 v83, 2, v60
	ds_bpermute_b32 v65, v83, v64
	v_add_co_u32_e64 v60, s[38:39], v89, v62
	v_addc_co_u32_e64 v61, s[38:39], v86, v63, s[38:39]
	s_waitcnt lgkmcnt(0)
	v_max_f32_e32 v62, v65, v65
	v_max_f32_e32 v87, v64, v62
	v_sub_f32_e32 v58, v58, v87
	v_mul_f32_e32 v58, 0x3fb8aa3b, v58
	v_exp_f32_e32 v80, v58
	v_sub_f32_e32 v58, v59, v87
	v_mul_f32_e32 v58, 0x3fb8aa3b, v58
	global_load_dwordx4 v[54:57], v[50:51], off
	s_nop 0
	global_load_dwordx4 v[50:53], v[50:51], off offset:16
	v_exp_f32_e32 v81, v58
	global_load_dwordx4 v[62:65], v[60:61], off
	s_nop 0
	global_load_dwordx4 v[58:61], v[60:61], off offset:16
	v_sub_f32_e32 v78, v78, v87
	v_mul_f32_e32 v78, 0x3fb8aa3b, v78
	v_sub_f32_e32 v79, v79, v87
	v_exp_f32_e32 v78, v78
	v_mul_f32_e32 v79, 0x3fb8aa3b, v79
	v_sub_f32_e32 v76, v76, v87
	v_exp_f32_e32 v79, v79
	v_mul_f32_e32 v76, 0x3fb8aa3b, v76
	v_sub_f32_e32 v77, v77, v87
	v_cndmask_b32_e64 v80, 0, v80, s[28:29]
	v_exp_f32_e32 v76, v76
	v_mul_f32_e32 v77, 0x3fb8aa3b, v77
	v_sub_f32_e32 v74, v74, v87
	v_add_f32_e32 v86, 0, v80
	v_cndmask_b32_e64 v81, 0, v81, s[30:31]
	v_exp_f32_e32 v77, v77
	v_mul_f32_e32 v74, 0x3fb8aa3b, v74
	v_sub_f32_e32 v75, v75, v87
	v_add_f32_e32 v86, v86, v81
	;; [unrolled: 5-line block ×10, first 2 shown]
	v_cndmask_b32_e64 v70, 0, v70, s[10:11]
	v_exp_f32_e32 v66, v66
	v_mul_f32_e32 v67, 0x3fb8aa3b, v67
	v_add_f32_e32 v86, v86, v70
	v_cndmask_b32_e64 v71, 0, v71, s[12:13]
	v_exp_f32_e32 v67, v67
	v_add_f32_e32 v86, v86, v71
	v_cndmask_b32_e64 v68, 0, v68, s[2:3]
	v_add_f32_e32 v86, v86, v68
	v_cndmask_b32_e64 v69, 0, v69, s[8:9]
	v_add_f32_e32 v86, v86, v69
	v_cndmask_b32_e32 v66, 0, v66, vcc
	v_add_f32_e32 v86, v86, v66
	v_cndmask_b32_e64 v67, 0, v67, s[0:1]
	v_add_f32_e32 v86, v86, v67
	ds_bpermute_b32 v82, v82, v86
	s_load_dword s3, s[4:5], 0x98
	v_cmp_gt_u32_e32 vcc, 16, v94
	s_waitcnt lgkmcnt(0)
	s_barrier
	v_add_f32_e32 v89, v86, v82
	ds_bpermute_b32 v90, v83, v89
	s_waitcnt lgkmcnt(0)
	s_and_saveexec_b64 s[0:1], vcc
	s_cbranch_execz .LBB350_17
; %bb.16:
	v_add_f32_e32 v82, v89, v90
	v_lshlrev_b32_e32 v83, 2, v88
	ds_write2st64_b32 v83, v87, v82 offset1:1
.LBB350_17:
	s_or_b64 exec, exec, s[0:1]
	v_lshlrev_b32_e32 v87, 2, v84
	s_load_dword s2, s[4:5], 0x94
	s_waitcnt lgkmcnt(0)
	s_barrier
	ds_read2_b32 v[82:83], v87 offset1:16
	ds_read2_b32 v[88:89], v87 offset0:32 offset1:48
	ds_read2_b32 v[90:91], v87 offset0:64 offset1:80
	s_movk_i32 s8, 0x7fff
	s_mov_b32 s9, 0x7060302
	s_waitcnt lgkmcnt(2)
	v_max3_f32 v86, v82, s40, v83
	s_waitcnt lgkmcnt(1)
	v_max3_f32 v86, v86, v88, v89
	v_sub_f32_e32 v82, v82, v86
	v_mul_f32_e32 v82, 0x3fb8aa3b, v82
	v_exp_f32_e32 v92, v82
	v_sub_f32_e32 v82, v83, v86
	v_mul_f32_e32 v82, 0x3fb8aa3b, v82
	v_exp_f32_e32 v93, v82
	;; [unrolled: 3-line block ×3, first 2 shown]
	ds_read2_b32 v[82:83], v87 offset0:96 offset1:112
	v_sub_f32_e32 v87, v89, v86
	v_mul_f32_e32 v87, 0x3fb8aa3b, v87
	v_exp_f32_e32 v89, v87
	s_waitcnt lgkmcnt(1)
	v_fma_f32 v87, v92, v90, 0
	v_fmac_f32_e32 v87, v93, v91
	s_waitcnt lgkmcnt(0)
	v_fmac_f32_e32 v87, v88, v82
	v_fmac_f32_e32 v87, v89, v83
	v_add_f32_e32 v82, 0x358637bd, v87
	v_div_scale_f32 v83, s[0:1], v82, v82, 1.0
	v_rcp_f32_e32 v90, v83
	s_mul_i32 s3, s3, 7
	s_barrier
	v_fma_f32 v91, -v83, v90, 1.0
	v_fmac_f32_e32 v90, v91, v90
	v_div_scale_f32 v91, vcc, 1.0, v82, 1.0
	v_mul_f32_e32 v94, v91, v90
	v_fma_f32 v95, -v83, v94, v91
	v_fmac_f32_e32 v94, v95, v90
	v_fma_f32 v83, -v83, v94, v91
	v_div_fmas_f32 v83, v83, v90, v94
	v_cmp_eq_u32_e32 vcc, 1, v85
	v_div_fixup_f32 v82, v83, v82, 1.0
	v_cndmask_b32_e32 v83, v92, v93, vcc
	v_cmp_eq_u32_e32 vcc, 2, v85
	v_cndmask_b32_e32 v83, v83, v88, vcc
	v_cmp_eq_u32_e32 vcc, 3, v85
	v_cndmask_b32_e32 v83, v83, v89, vcc
	v_mul_f32_e32 v82, v83, v82
	v_pk_mul_f32 v[80:81], v[82:83], v[80:81] op_sel_hi:[0,1]
	v_pk_mul_f32 v[78:79], v[82:83], v[78:79] op_sel_hi:[0,1]
	v_bfe_u32 v83, v81, 16, 1
	v_bfe_u32 v88, v80, 16, 1
	v_add3_u32 v80, v80, v88, s8
	v_add3_u32 v81, v81, v83, s8
	v_perm_b32 v80, v81, v80, s9
	v_bfe_u32 v81, v79, 16, 1
	v_bfe_u32 v83, v78, 16, 1
	v_add3_u32 v78, v78, v83, s8
	v_add3_u32 v79, v79, v81, s8
	v_lshlrev_b32_e32 v83, 11, v85
	v_perm_b32 v81, v79, v78, s9
	v_lshlrev_b32_e32 v78, 3, v1
	v_lshlrev_b32_e32 v79, 5, v84
	v_pk_mul_f32 v[76:77], v[82:83], v[76:77] op_sel_hi:[0,1]
	v_or3_b32 v78, v83, v79, v78
	v_pk_mul_f32 v[74:75], v[82:83], v[74:75] op_sel_hi:[0,1]
	v_bfe_u32 v83, v77, 16, 1
	v_bfe_u32 v85, v76, 16, 1
	v_add3_u32 v76, v76, v85, s8
	v_add3_u32 v77, v77, v83, s8
	v_perm_b32 v76, v77, v76, s9
	v_bfe_u32 v77, v75, 16, 1
	v_bfe_u32 v83, v74, 16, 1
	v_add3_u32 v74, v74, v83, s8
	v_add3_u32 v75, v75, v77, s8
	v_pk_mul_f32 v[72:73], v[82:83], v[72:73] op_sel_hi:[0,1]
	v_perm_b32 v77, v75, v74, s9
	v_bfe_u32 v74, v73, 16, 1
	v_bfe_u32 v75, v72, 16, 1
	v_pk_mul_f32 v[70:71], v[82:83], v[70:71] op_sel_hi:[0,1]
	v_add3_u32 v72, v72, v75, s8
	v_add3_u32 v73, v73, v74, s8
	v_perm_b32 v72, v73, v72, s9
	v_bfe_u32 v73, v71, 16, 1
	v_bfe_u32 v74, v70, 16, 1
	v_add3_u32 v70, v70, v74, s8
	v_add3_u32 v71, v71, v73, s8
	v_pk_mul_f32 v[68:69], v[82:83], v[68:69] op_sel_hi:[0,1]
	v_perm_b32 v73, v71, v70, s9
	v_bfe_u32 v70, v69, 16, 1
	v_bfe_u32 v71, v68, 16, 1
	v_pk_mul_f32 v[66:67], v[82:83], v[66:67] op_sel_hi:[0,1]
	v_add3_u32 v68, v68, v71, s8
	v_add3_u32 v69, v69, v70, s8
	v_perm_b32 v68, v69, v68, s9
	v_bfe_u32 v69, v67, 16, 1
	v_bfe_u32 v70, v66, 16, 1
	v_add3_u32 v66, v66, v70, s8
	v_add3_u32 v67, v67, v69, s8
	v_perm_b32 v69, v67, v66, s9
	v_cmp_gt_u32_e32 vcc, 7, v0
	ds_write2st64_b64 v78, v[80:81], v[76:77] offset1:1
	ds_write2st64_b64 v78, v[72:73], v[68:69] offset0:2 offset1:3
	s_and_saveexec_b64 s[0:1], vcc
	s_cbranch_execz .LBB350_19
; %bb.18:
	v_add_co_u32_e32 v68, vcc, s27, v84
	v_addc_co_u32_e64 v69, s[10:11], 0, 0, vcc
	v_mov_b32_e32 v66, s3
	v_mov_b32_e32 v67, 0
	v_mad_u64_u32 v[68:69], s[10:11], s6, v66, v[68:69]
	v_mov_b32_e32 v66, s26
	s_load_dwordx4 s[12:15], s[4:5], 0x58
	s_mul_i32 s7, s7, s3
	v_mad_u64_u32 v[66:67], s[10:11], v68, s2, v[66:67]
	v_add_u32_e32 v69, s7, v69
	v_mov_b32_e32 v68, v67
	v_mad_u64_u32 v[68:69], s[10:11], v69, s2, v[68:69]
	v_mov_b32_e32 v67, v68
	v_lshlrev_b64 v[66:67], 2, v[66:67]
	s_waitcnt lgkmcnt(0)
	v_mov_b32_e32 v69, s15
	v_add_co_u32_e32 v68, vcc, s14, v66
	v_addc_co_u32_e32 v69, vcc, v69, v67, vcc
	global_store_dword v[68:69], v86, off
	v_mov_b32_e32 v68, s13
	v_add_co_u32_e32 v66, vcc, s12, v66
	v_addc_co_u32_e32 v67, vcc, v68, v67, vcc
	global_store_dword v[66:67], v87, off
.LBB350_19:
	s_or_b64 exec, exec, s[0:1]
	v_lshl_or_b32 v79, v1, 9, v79
	s_waitcnt lgkmcnt(0)
	s_barrier
	ds_read_b128 v[70:73], v79
	ds_read_b128 v[66:69], v79 offset:16
	s_waitcnt vmcnt(15) lgkmcnt(1)
	v_mfma_f32_16x16x16bf16_1k v[74:77], v[46:47], v[70:71], 0
	s_mov_b32 s1, 0
	v_cmp_gt_u32_e32 vcc, 64, v0
	v_mfma_f32_16x16x16bf16_1k v[46:49], v[48:49], v[72:73], v[74:77]
	s_waitcnt vmcnt(14) lgkmcnt(0)
	v_mfma_f32_16x16x16bf16_1k v[46:49], v[42:43], v[66:67], v[46:49]
	v_mfma_f32_16x16x16bf16_1k v[42:45], v[44:45], v[68:69], v[46:49]
	s_nop 7
	s_nop 1
	ds_read_b128 v[46:49], v79 offset:2048
	ds_read_b128 v[74:77], v79 offset:2064
	s_waitcnt vmcnt(13) lgkmcnt(1)
	v_mfma_f32_16x16x16bf16_1k v[42:45], v[38:39], v[46:47], v[42:45]
	v_mfma_f32_16x16x16bf16_1k v[38:41], v[40:41], v[48:49], v[42:45]
	s_waitcnt vmcnt(12) lgkmcnt(0)
	v_mfma_f32_16x16x16bf16_1k v[38:41], v[34:35], v[74:75], v[38:41]
	v_mfma_f32_16x16x16bf16_1k v[34:37], v[36:37], v[76:77], v[38:41]
	s_nop 7
	s_nop 1
	ds_read_b128 v[38:41], v79 offset:4096
	ds_read_b128 v[42:45], v79 offset:4112
	s_waitcnt vmcnt(11) lgkmcnt(1)
	v_mfma_f32_16x16x16bf16_1k v[34:37], v[30:31], v[38:39], v[34:37]
	v_mfma_f32_16x16x16bf16_1k v[30:33], v[32:33], v[40:41], v[34:37]
	s_waitcnt vmcnt(10) lgkmcnt(0)
	v_mfma_f32_16x16x16bf16_1k v[30:33], v[26:27], v[42:43], v[30:33]
	v_mfma_f32_16x16x16bf16_1k v[26:29], v[28:29], v[44:45], v[30:33]
	s_nop 7
	s_nop 1
	ds_read_b128 v[30:33], v79 offset:6144
	ds_read_b128 v[34:37], v79 offset:6160
	s_waitcnt lgkmcnt(0)
	s_barrier
	s_waitcnt vmcnt(9)
	v_mfma_f32_16x16x16bf16_1k v[26:29], v[22:23], v[30:31], v[26:29]
	v_mfma_f32_16x16x16bf16_1k v[22:25], v[24:25], v[32:33], v[26:29]
	s_waitcnt vmcnt(8)
	v_mfma_f32_16x16x16bf16_1k v[22:25], v[18:19], v[34:35], v[22:25]
	v_mfma_f32_16x16x16bf16_1k v[18:21], v[20:21], v[36:37], v[22:25]
	;; [unrolled: 3-line block ×4, first 2 shown]
	s_waitcnt vmcnt(5)
	v_mfma_f32_16x16x16bf16_1k v[2:5], v[14:15], v[46:47], v[2:5]
	s_nop 7
	v_bfe_u32 v6, v19, 16, 1
	v_bfe_u32 v7, v18, 16, 1
	v_add3_u32 v7, v18, v7, s8
	v_add3_u32 v6, v19, v6, s8
	v_perm_b32 v6, v6, v7, s9
	v_bfe_u32 v7, v21, 16, 1
	v_bfe_u32 v8, v20, 16, 1
	v_mfma_f32_16x16x16bf16_1k v[2:5], v[16:17], v[48:49], v[2:5]
	v_add3_u32 v8, v20, v8, s8
	v_add3_u32 v7, v21, v7, s8
	v_perm_b32 v7, v7, v8, s9
	s_waitcnt vmcnt(4)
	v_mfma_f32_16x16x16bf16_1k v[2:5], v[10:11], v[74:75], v[2:5]
	v_mfma_f32_16x16x16bf16_1k v[2:5], v[12:13], v[76:77], v[2:5]
	s_waitcnt vmcnt(3)
	v_mfma_f32_16x16x16bf16_1k v[2:5], v[54:55], v[38:39], v[2:5]
	v_mfma_f32_16x16x16bf16_1k v[2:5], v[56:57], v[40:41], v[2:5]
	;; [unrolled: 3-line block ×5, first 2 shown]
	s_nop 7
	s_nop 2
	v_bfe_u32 v8, v3, 16, 1
	v_bfe_u32 v9, v2, 16, 1
	v_add3_u32 v2, v2, v9, s8
	v_add3_u32 v3, v3, v8, s8
	v_perm_b32 v2, v3, v2, s9
	v_bfe_u32 v3, v5, 16, 1
	v_bfe_u32 v8, v4, 16, 1
	v_add3_u32 v4, v4, v8, s8
	v_add3_u32 v3, v5, v3, s8
	v_perm_b32 v3, v3, v4, s9
	ds_write2st64_b64 v78, v[6:7], v[2:3] offset1:1
	s_waitcnt lgkmcnt(0)
	s_barrier
	s_and_saveexec_b64 s[8:9], vcc
	s_cbranch_execz .LBB350_22
; %bb.20:
	v_lshlrev_b32_e32 v4, 6, v84
	v_lshlrev_b32_e32 v3, 4, v0
	v_lshl_or_b32 v0, v0, 10, v4
	buffer_load_dword v4, off, s[44:47], 0  ; 4-byte Folded Reload
	buffer_load_dword v5, off, s[44:47], 0 offset:4 ; 4-byte Folded Reload
	s_load_dwordx2 s[4:5], s[4:5], 0x68
	s_lshl_b32 s2, s2, 7
	s_mul_i32 s0, s3, s6
	s_mul_hi_u32 s7, s0, s2
	s_mul_i32 s6, s0, s2
	s_lshl_b64 s[6:7], s[6:7], 1
	s_waitcnt lgkmcnt(0)
	s_add_u32 s3, s4, s6
	s_addc_u32 s4, s5, s7
	s_lshl_b32 s0, s26, 7
	s_lshl_b64 s[0:1], s[0:1], 1
	s_add_u32 s0, s3, s0
	v_lshlrev_b32_e32 v2, 5, v1
	v_and_b32_e32 v3, 16, v3
	v_and_b32_e32 v0, 0x1a00, v0
	s_addc_u32 s1, s4, s1
	v_or3_b32 v0, v0, v2, v3
	v_mov_b32_e32 v3, s1
	v_add_u32_e32 v8, s27, v1
	s_waitcnt vmcnt(1)
	v_add_co_u32_e32 v2, vcc, s0, v4
	s_waitcnt vmcnt(0)
	v_addc_co_u32_e32 v3, vcc, v3, v5, vcc
	ds_read_b128 v[4:7], v0
	v_mad_u64_u32 v[8:9], s[0:1], v8, s2, 0
	v_lshlrev_b64 v[8:9], 1, v[8:9]
	v_add_co_u32_e32 v8, vcc, v2, v8
	v_addc_co_u32_e32 v9, vcc, v3, v9, vcc
	v_cmp_ne_u32_e32 vcc, 3, v1
	s_waitcnt lgkmcnt(0)
	global_store_dwordx4 v[8:9], v[4:7], off
	s_and_b64 exec, exec, vcc
	s_cbranch_execz .LBB350_22
; %bb.21:
	ds_read_b128 v[4:7], v0 offset:128
	v_add3_u32 v0, s27, v1, 4
	v_mad_u64_u32 v[0:1], s[0:1], v0, s2, 0
	v_lshlrev_b64 v[0:1], 1, v[0:1]
	v_add_co_u32_e32 v0, vcc, v2, v0
	v_addc_co_u32_e32 v1, vcc, v3, v1, vcc
	s_waitcnt lgkmcnt(0)
	global_store_dwordx4 v[0:1], v[4:7], off
.LBB350_22:
	s_endpgm
	.section	.rodata,"a",@progbits
	.p2align	6, 0x0
	.amdhsa_kernel _Z39paged_attention_ll4mi_QKV_mfma16_kernelI14__hip_bfloat16S0_LN4vllm18Fp8KVCacheDataTypeE0ES0_Li32ELi128ELi256ELb1ELi7EL8MFMAType0EEvPKT_PKT0_S9_ifPKiSB_SB_iPKfiiiPfSE_PS4_PT2_iSD_SD_
		.amdhsa_group_segment_fixed_size 8192
		.amdhsa_private_segment_fixed_size 12
		.amdhsa_kernarg_size 400
		.amdhsa_user_sgpr_count 6
		.amdhsa_user_sgpr_private_segment_buffer 1
		.amdhsa_user_sgpr_dispatch_ptr 0
		.amdhsa_user_sgpr_queue_ptr 0
		.amdhsa_user_sgpr_kernarg_segment_ptr 1
		.amdhsa_user_sgpr_dispatch_id 0
		.amdhsa_user_sgpr_flat_scratch_init 0
		.amdhsa_user_sgpr_kernarg_preload_length 0
		.amdhsa_user_sgpr_kernarg_preload_offset 0
		.amdhsa_user_sgpr_private_segment_size 0
		.amdhsa_uses_dynamic_stack 0
		.amdhsa_system_sgpr_private_segment_wavefront_offset 1
		.amdhsa_system_sgpr_workgroup_id_x 1
		.amdhsa_system_sgpr_workgroup_id_y 1
		.amdhsa_system_sgpr_workgroup_id_z 1
		.amdhsa_system_sgpr_workgroup_info 0
		.amdhsa_system_vgpr_workitem_id 0
		.amdhsa_next_free_vgpr 96
		.amdhsa_next_free_sgpr 48
		.amdhsa_accum_offset 96
		.amdhsa_reserve_vcc 1
		.amdhsa_reserve_flat_scratch 0
		.amdhsa_float_round_mode_32 0
		.amdhsa_float_round_mode_16_64 0
		.amdhsa_float_denorm_mode_32 3
		.amdhsa_float_denorm_mode_16_64 3
		.amdhsa_dx10_clamp 1
		.amdhsa_ieee_mode 1
		.amdhsa_fp16_overflow 0
		.amdhsa_tg_split 0
		.amdhsa_exception_fp_ieee_invalid_op 0
		.amdhsa_exception_fp_denorm_src 0
		.amdhsa_exception_fp_ieee_div_zero 0
		.amdhsa_exception_fp_ieee_overflow 0
		.amdhsa_exception_fp_ieee_underflow 0
		.amdhsa_exception_fp_ieee_inexact 0
		.amdhsa_exception_int_div_zero 0
	.end_amdhsa_kernel
	.section	.text._Z39paged_attention_ll4mi_QKV_mfma16_kernelI14__hip_bfloat16S0_LN4vllm18Fp8KVCacheDataTypeE0ES0_Li32ELi128ELi256ELb1ELi7EL8MFMAType0EEvPKT_PKT0_S9_ifPKiSB_SB_iPKfiiiPfSE_PS4_PT2_iSD_SD_,"axG",@progbits,_Z39paged_attention_ll4mi_QKV_mfma16_kernelI14__hip_bfloat16S0_LN4vllm18Fp8KVCacheDataTypeE0ES0_Li32ELi128ELi256ELb1ELi7EL8MFMAType0EEvPKT_PKT0_S9_ifPKiSB_SB_iPKfiiiPfSE_PS4_PT2_iSD_SD_,comdat
.Lfunc_end350:
	.size	_Z39paged_attention_ll4mi_QKV_mfma16_kernelI14__hip_bfloat16S0_LN4vllm18Fp8KVCacheDataTypeE0ES0_Li32ELi128ELi256ELb1ELi7EL8MFMAType0EEvPKT_PKT0_S9_ifPKiSB_SB_iPKfiiiPfSE_PS4_PT2_iSD_SD_, .Lfunc_end350-_Z39paged_attention_ll4mi_QKV_mfma16_kernelI14__hip_bfloat16S0_LN4vllm18Fp8KVCacheDataTypeE0ES0_Li32ELi128ELi256ELb1ELi7EL8MFMAType0EEvPKT_PKT0_S9_ifPKiSB_SB_iPKfiiiPfSE_PS4_PT2_iSD_SD_
                                        ; -- End function
	.section	.AMDGPU.csdata,"",@progbits
; Kernel info:
; codeLenInByte = 5392
; NumSgprs: 52
; NumVgprs: 96
; NumAgprs: 0
; TotalNumVgprs: 96
; ScratchSize: 12
; MemoryBound: 0
; FloatMode: 240
; IeeeMode: 1
; LDSByteSize: 8192 bytes/workgroup (compile time only)
; SGPRBlocks: 6
; VGPRBlocks: 11
; NumSGPRsForWavesPerEU: 52
; NumVGPRsForWavesPerEU: 96
; AccumOffset: 96
; Occupancy: 5
; WaveLimiterHint : 1
; COMPUTE_PGM_RSRC2:SCRATCH_EN: 1
; COMPUTE_PGM_RSRC2:USER_SGPR: 6
; COMPUTE_PGM_RSRC2:TRAP_HANDLER: 0
; COMPUTE_PGM_RSRC2:TGID_X_EN: 1
; COMPUTE_PGM_RSRC2:TGID_Y_EN: 1
; COMPUTE_PGM_RSRC2:TGID_Z_EN: 1
; COMPUTE_PGM_RSRC2:TIDIG_COMP_CNT: 0
; COMPUTE_PGM_RSRC3_GFX90A:ACCUM_OFFSET: 23
; COMPUTE_PGM_RSRC3_GFX90A:TG_SPLIT: 0
	.section	.text._Z39paged_attention_ll4mi_QKV_mfma16_kernelI14__hip_bfloat16S0_LN4vllm18Fp8KVCacheDataTypeE0ES0_Li32ELi128ELi256ELb1ELi8EL8MFMAType0EEvPKT_PKT0_S9_ifPKiSB_SB_iPKfiiiPfSE_PS4_PT2_iSD_SD_,"axG",@progbits,_Z39paged_attention_ll4mi_QKV_mfma16_kernelI14__hip_bfloat16S0_LN4vllm18Fp8KVCacheDataTypeE0ES0_Li32ELi128ELi256ELb1ELi8EL8MFMAType0EEvPKT_PKT0_S9_ifPKiSB_SB_iPKfiiiPfSE_PS4_PT2_iSD_SD_,comdat
	.protected	_Z39paged_attention_ll4mi_QKV_mfma16_kernelI14__hip_bfloat16S0_LN4vllm18Fp8KVCacheDataTypeE0ES0_Li32ELi128ELi256ELb1ELi8EL8MFMAType0EEvPKT_PKT0_S9_ifPKiSB_SB_iPKfiiiPfSE_PS4_PT2_iSD_SD_ ; -- Begin function _Z39paged_attention_ll4mi_QKV_mfma16_kernelI14__hip_bfloat16S0_LN4vllm18Fp8KVCacheDataTypeE0ES0_Li32ELi128ELi256ELb1ELi8EL8MFMAType0EEvPKT_PKT0_S9_ifPKiSB_SB_iPKfiiiPfSE_PS4_PT2_iSD_SD_
	.globl	_Z39paged_attention_ll4mi_QKV_mfma16_kernelI14__hip_bfloat16S0_LN4vllm18Fp8KVCacheDataTypeE0ES0_Li32ELi128ELi256ELb1ELi8EL8MFMAType0EEvPKT_PKT0_S9_ifPKiSB_SB_iPKfiiiPfSE_PS4_PT2_iSD_SD_
	.p2align	8
	.type	_Z39paged_attention_ll4mi_QKV_mfma16_kernelI14__hip_bfloat16S0_LN4vllm18Fp8KVCacheDataTypeE0ES0_Li32ELi128ELi256ELb1ELi8EL8MFMAType0EEvPKT_PKT0_S9_ifPKiSB_SB_iPKfiiiPfSE_PS4_PT2_iSD_SD_,@function
_Z39paged_attention_ll4mi_QKV_mfma16_kernelI14__hip_bfloat16S0_LN4vllm18Fp8KVCacheDataTypeE0ES0_Li32ELi128ELi256ELb1ELi8EL8MFMAType0EEvPKT_PKT0_S9_ifPKiSB_SB_iPKfiiiPfSE_PS4_PT2_iSD_SD_: ; @_Z39paged_attention_ll4mi_QKV_mfma16_kernelI14__hip_bfloat16S0_LN4vllm18Fp8KVCacheDataTypeE0ES0_Li32ELi128ELi256ELb1ELi8EL8MFMAType0EEvPKT_PKT0_S9_ifPKiSB_SB_iPKfiiiPfSE_PS4_PT2_iSD_SD_
; %bb.0:
	s_mov_b64 s[46:47], s[2:3]
	s_mov_b64 s[44:45], s[0:1]
	s_load_dwordx2 s[0:1], s[4:5], 0x30
	s_add_u32 s44, s44, s9
	s_addc_u32 s45, s45, 0
	s_mov_b32 s26, s7
	s_mov_b64 s[10:11], 0
	s_waitcnt lgkmcnt(0)
	s_cmp_lg_u64 s[0:1], 0
	s_cselect_b64 s[2:3], -1, 0
	s_and_b64 vcc, exec, s[2:3]
	s_cbranch_vccz .LBB351_7
; %bb.1:
	s_add_i32 s12, s6, 1
	s_mov_b32 s13, 0
	s_lshl_b64 s[14:15], s[12:13], 2
	s_add_u32 s14, s0, s14
	s_mov_b32 s7, s13
	s_addc_u32 s15, s1, s15
	s_lshl_b64 s[12:13], s[6:7], 2
	s_add_u32 s12, s0, s12
	s_addc_u32 s13, s1, s13
	s_load_dword s9, s[14:15], 0x0
	s_load_dword s16, s[12:13], 0x0
	s_waitcnt lgkmcnt(0)
	s_sub_i32 s9, s9, s16
	s_cmp_eq_u32 s9, 1
	s_cselect_b64 s[12:13], -1, 0
	s_andn2_b64 vcc, exec, s[10:11]
	s_cbranch_vccnz .LBB351_3
.LBB351_2:
	s_mov_b32 s7, 0
	s_mov_b64 s[12:13], -1
.LBB351_3:
	s_andn2_b64 vcc, exec, s[12:13]
	s_cbranch_vccnz .LBB351_21
; %bb.4:
	s_load_dwordx2 s[12:13], s[4:5], 0x28
	s_lshl_b64 s[10:11], s[6:7], 2
	s_waitcnt lgkmcnt(0)
	s_add_u32 s12, s12, s10
	s_addc_u32 s13, s13, s11
	s_load_dword s33, s[12:13], 0x0
	s_lshl_b32 s16, s26, 8
	s_waitcnt lgkmcnt(0)
	s_cmp_ge_i32 s16, s33
	s_cbranch_scc1 .LBB351_21
; %bb.5:
	s_add_i32 s14, s33, 31
	s_load_dwordx2 s[12:13], s[4:5], 0x20
	s_load_dword s9, s[4:5], 0x38
	s_ashr_i32 s15, s14, 31
	v_and_b32_e32 v1, 0xcf, v0
	s_lshr_b32 s15, s15, 27
	v_add_u32_e32 v1, s16, v1
	s_add_i32 s14, s14, s15
	v_ashrrev_i32_e32 v2, 31, v1
	s_ashr_i32 s19, s14, 5
	v_lshrrev_b32_e32 v6, 27, v2
	s_add_i32 s19, s19, -1
	v_add_u32_e32 v2, v1, v6
	s_waitcnt lgkmcnt(0)
	s_mul_i32 s14, s6, s9
	s_mov_b32 s15, 0
	v_ashrrev_i32_e32 v2, 5, v2
	v_mov_b32_e32 v7, s19
	v_cmp_gt_i32_e32 vcc, s33, v1
	s_lshl_b64 s[14:15], s[14:15], 2
	v_cndmask_b32_e32 v2, v7, v2, vcc
	s_add_u32 s17, s12, s14
	v_ashrrev_i32_e32 v3, 31, v2
	s_addc_u32 s18, s13, s15
	v_lshlrev_b64 v[2:3], 2, v[2:3]
	v_mov_b32_e32 v4, s18
	v_add_co_u32_e32 v2, vcc, s17, v2
	v_addc_co_u32_e32 v3, vcc, v4, v3, vcc
	v_or_b32_e32 v4, 16, v1
	v_add_u32_e32 v5, v4, v6
	v_ashrrev_i32_e32 v5, 5, v5
	v_cmp_gt_i32_e32 vcc, s33, v4
	v_cndmask_b32_e32 v4, v7, v5, vcc
	v_ashrrev_i32_e32 v5, 31, v4
	v_lshlrev_b64 v[4:5], 2, v[4:5]
	v_mov_b32_e32 v9, s18
	v_add_co_u32_e32 v8, vcc, s17, v4
	v_or_b32_e32 v4, 32, v1
	v_addc_co_u32_e32 v9, vcc, v9, v5, vcc
	v_add_u32_e32 v5, v4, v6
	v_ashrrev_i32_e32 v5, 5, v5
	v_cmp_gt_i32_e32 vcc, s33, v4
	v_cndmask_b32_e32 v4, v7, v5, vcc
	v_ashrrev_i32_e32 v5, 31, v4
	v_lshlrev_b64 v[4:5], 2, v[4:5]
	v_mov_b32_e32 v11, s18
	v_add_co_u32_e32 v10, vcc, s17, v4
	v_or_b32_e32 v1, 48, v1
	v_addc_co_u32_e32 v11, vcc, v11, v5, vcc
	v_add_u32_e32 v4, v1, v6
	v_ashrrev_i32_e32 v4, 5, v4
	v_cmp_gt_i32_e32 vcc, s33, v1
	v_cndmask_b32_e32 v4, v7, v4, vcc
	v_ashrrev_i32_e32 v5, 31, v4
	v_lshlrev_b64 v[4:5], 2, v[4:5]
	v_mov_b32_e32 v1, s18
	v_add_co_u32_e32 v12, vcc, s17, v4
	v_addc_co_u32_e32 v13, vcc, v1, v5, vcc
	global_load_dword v7, v[2:3], off
	global_load_dword v6, v[8:9], off
	;; [unrolled: 1-line block ×4, first 2 shown]
	s_andn2_b64 vcc, exec, s[2:3]
	s_cbranch_vccnz .LBB351_8
; %bb.6:
	s_add_u32 s0, s0, s10
	s_addc_u32 s1, s1, s11
	s_load_dword s9, s[0:1], 0x0
	s_branch .LBB351_9
.LBB351_7:
	s_mov_b64 s[12:13], 0
	s_branch .LBB351_2
.LBB351_8:
	s_mov_b32 s9, s6
.LBB351_9:
	s_load_dwordx2 s[12:13], s[4:5], 0x8
	s_load_dwordx4 s[0:3], s[4:5], 0x48
	v_and_b32_e32 v1, 15, v0
	s_waitcnt lgkmcnt(0)
	s_movk_i32 s3, 0x7f
	v_lshlrev_b32_e32 v2, 3, v1
	v_cmp_lt_u32_e32 vcc, s3, v0
	s_and_saveexec_b64 s[10:11], vcc
	s_xor_b64 s[10:11], exec, s[10:11]
; %bb.10:
	v_mov_b32_e32 v3, 0
; %bb.11:
	s_or_saveexec_b64 s[14:15], s[10:11]
	s_load_dwordx2 s[10:11], s[4:5], 0x10
	v_lshrrev_b32_e32 v85, 6, v0
	s_lshl_b32 s27, s8, 3
	v_bfe_u32 v84, v0, 4, 2
	s_xor_b64 exec, exec, s[14:15]
	s_cbranch_execz .LBB351_13
; %bb.12:
	s_load_dwordx2 s[20:21], s[4:5], 0x0
	s_ashr_i32 s3, s0, 31
	s_mul_hi_u32 s22, s9, s0
	s_mul_i32 s3, s9, s3
	v_lshl_or_b32 v12, v85, 2, v84
	s_add_i32 s23, s22, s3
	s_mul_i32 s22, s9, s0
	s_lshl_b64 s[22:23], s[22:23], 1
	v_add_lshl_u32 v8, v12, s27, 7
	s_waitcnt lgkmcnt(0)
	s_add_u32 s0, s20, s22
	v_ashrrev_i32_e32 v9, 31, v8
	s_addc_u32 s3, s21, s23
	v_lshlrev_b64 v[8:9], 1, v[8:9]
	v_mov_b32_e32 v3, s3
	v_add_co_u32_e32 v8, vcc, s0, v8
	v_addc_co_u32_e32 v3, vcc, v3, v9, vcc
	v_lshlrev_b32_e32 v9, 1, v2
	v_add_co_u32_e32 v8, vcc, v8, v9
	v_addc_co_u32_e32 v9, vcc, 0, v3, vcc
	global_load_dwordx4 v[8:11], v[8:9], off
	v_and_b32_e32 v13, 3, v0
	v_lshlrev_b32_e32 v14, 9, v1
	v_lshlrev_b32_e32 v12, 5, v12
	;; [unrolled: 1-line block ×3, first 2 shown]
	v_and_b32_e32 v14, 0x1800, v14
	v_mov_b32_e32 v3, 0
	v_or3_b32 v12, v14, v13, v12
	s_waitcnt vmcnt(0)
	ds_write_b128 v12, v[8:11]
.LBB351_13:
	s_or_b64 exec, exec, s[14:15]
	s_mul_i32 s2, s8, s2
	s_mov_b32 s3, 0
	s_lshl_b64 s[2:3], s[2:3], 1
	s_add_u32 s0, s12, s2
	s_waitcnt vmcnt(3)
	v_mad_i64_i32 v[8:9], s[8:9], v7, s1, 0
	s_addc_u32 s12, s13, s3
	v_lshlrev_b64 v[8:9], 1, v[8:9]
	v_mov_b32_e32 v7, s12
	v_add_co_u32_e32 v8, vcc, s0, v8
	v_addc_co_u32_e32 v7, vcc, v7, v9, vcc
	v_lshlrev_b64 v[14:15], 1, v[2:3]
	v_add_co_u32_e32 v8, vcc, v8, v14
	v_lshlrev_b32_e32 v12, 9, v84
	v_addc_co_u32_e32 v7, vcc, v7, v15, vcc
	v_add_co_u32_e32 v2, vcc, v8, v12
	v_addc_co_u32_e32 v3, vcc, 0, v7, vcc
	v_or_b32_e32 v10, 0x1000, v12
	s_waitcnt lgkmcnt(0)
	s_barrier
	global_load_dwordx4 v[38:41], v[2:3], off
	global_load_dwordx4 v[34:37], v[2:3], off offset:2048
	v_add_co_u32_e32 v2, vcc, v8, v10
	v_addc_co_u32_e32 v3, vcc, 0, v7, vcc
	v_or_b32_e32 v11, 0x1800, v12
	v_add_co_u32_e32 v8, vcc, v8, v11
	v_addc_co_u32_e32 v9, vcc, 0, v7, vcc
	global_load_dwordx4 v[46:49], v[2:3], off
	global_load_dwordx4 v[58:61], v[8:9], off
	s_waitcnt vmcnt(6)
	v_mad_i64_i32 v[2:3], s[8:9], v6, s1, 0
	v_lshlrev_b64 v[2:3], 1, v[2:3]
	v_mov_b32_e32 v6, s12
	v_add_co_u32_e32 v2, vcc, s0, v2
	v_addc_co_u32_e32 v3, vcc, v6, v3, vcc
	v_mov_b32_e32 v6, 0x100
	v_lshl_or_b32 v8, v1, 4, v6
	v_add_co_u32_e32 v6, vcc, v2, v8
	v_addc_co_u32_e32 v7, vcc, 0, v3, vcc
	v_add_co_u32_e32 v2, vcc, v6, v12
	v_addc_co_u32_e32 v3, vcc, 0, v7, vcc
	global_load_dwordx4 v[74:77], v[2:3], off
	global_load_dwordx4 v[70:73], v[2:3], off offset:2048
	v_add_co_u32_e32 v2, vcc, v6, v10
	v_addc_co_u32_e32 v3, vcc, 0, v7, vcc
	v_add_co_u32_e32 v6, vcc, v6, v11
	v_addc_co_u32_e32 v7, vcc, 0, v7, vcc
	global_load_dwordx4 v[78:81], v[2:3], off
	global_load_dwordx4 v[66:69], v[6:7], off
	s_waitcnt vmcnt(9)
	v_mad_i64_i32 v[2:3], s[8:9], v5, s1, 0
	v_lshlrev_b64 v[2:3], 1, v[2:3]
	v_mov_b32_e32 v5, s12
	v_add_co_u32_e32 v2, vcc, s0, v2
	v_addc_co_u32_e32 v3, vcc, v5, v3, vcc
	v_add_co_u32_e32 v5, vcc, v2, v14
	buffer_store_dword v14, off, s[44:47], 0 ; 4-byte Folded Spill
	s_nop 0
	buffer_store_dword v15, off, s[44:47], 0 offset:4 ; 4-byte Folded Spill
	v_and_b32_e32 v94, 63, v0
	v_mov_b32_e32 v87, 0
	v_addc_co_u32_e32 v7, vcc, v3, v15, vcc
	v_add_co_u32_e32 v2, vcc, v5, v12
	v_addc_co_u32_e32 v3, vcc, 0, v7, vcc
	global_load_dwordx4 v[62:65], v[2:3], off
	global_load_dwordx4 v[42:45], v[2:3], off offset:2048
	v_add_co_u32_e32 v2, vcc, v5, v10
	v_addc_co_u32_e32 v3, vcc, 0, v7, vcc
	v_add_co_u32_e32 v6, vcc, v5, v11
	v_addc_co_u32_e32 v7, vcc, 0, v7, vcc
	global_load_dwordx4 v[26:29], v[2:3], off
	global_load_dwordx4 v[18:21], v[6:7], off
	s_waitcnt vmcnt(14)
	v_mad_i64_i32 v[2:3], s[8:9], v4, s1, 0
	v_lshlrev_b64 v[2:3], 1, v[2:3]
	v_mov_b32_e32 v4, s12
	v_add_co_u32_e32 v2, vcc, s0, v2
	v_addc_co_u32_e32 v3, vcc, v4, v3, vcc
	v_add_co_u32_e32 v4, vcc, v2, v8
	v_addc_co_u32_e32 v5, vcc, 0, v3, vcc
	;; [unrolled: 2-line block ×3, first 2 shown]
	global_load_dwordx4 v[14:17], v[2:3], off
	global_load_dwordx4 v[6:9], v[2:3], off offset:2048
	v_add_co_u32_e32 v2, vcc, v4, v10
	v_addc_co_u32_e32 v3, vcc, 0, v5, vcc
	v_add_co_u32_e32 v10, vcc, v4, v11
	v_addc_co_u32_e32 v11, vcc, 0, v5, vcc
	global_load_dwordx4 v[2:5], v[2:3], off
	s_nop 0
	global_load_dwordx4 v[50:53], v[10:11], off
	v_and_b32_e32 v10, 7, v0
	v_lshl_or_b32 v54, v10, 5, v12
	ds_read_b128 v[30:33], v54
	ds_read_b128 v[22:25], v54 offset:2048
	ds_read_b128 v[10:13], v54 offset:4096
	;; [unrolled: 1-line block ×3, first 2 shown]
	v_cmp_gt_u32_e32 vcc, 8, v1
	s_and_saveexec_b64 s[8:9], vcc
	s_cbranch_execz .LBB351_15
; %bb.14:
	s_load_dwordx2 s[12:13], s[4:5], 0x40
	v_or_b32_e32 v82, s27, v1
	v_ashrrev_i32_e32 v83, 31, v82
	v_lshlrev_b64 v[82:83], 2, v[82:83]
	s_waitcnt lgkmcnt(0)
	v_mov_b32_e32 v87, s13
	v_add_co_u32_e32 v82, vcc, s12, v82
	v_addc_co_u32_e32 v83, vcc, v87, v83, vcc
	global_load_dword v87, v[82:83], off
.LBB351_15:
	s_or_b64 exec, exec, s[8:9]
	s_waitcnt vmcnt(17) lgkmcnt(3)
	v_mfma_f32_16x16x16bf16_1k v[88:91], v[38:39], v[30:31], 0
	s_ashr_i32 s0, s16, 31
	s_lshr_b32 s0, s0, 27
	s_add_u32 s2, s10, s2
	s_addc_u32 s3, s11, s3
	s_mov_b32 s40, 0xff7fffff
	v_mfma_f32_16x16x16bf16_1k v[38:41], v[40:41], v[32:33], v[88:91]
	s_waitcnt vmcnt(16) lgkmcnt(2)
	v_mfma_f32_16x16x16bf16_1k v[38:41], v[34:35], v[22:23], v[38:41]
	s_nop 4
	v_lshl_or_b32 v88, v85, 4, v1
	v_mfma_f32_16x16x16bf16_1k v[34:37], v[36:37], v[24:25], v[38:41]
	s_waitcnt vmcnt(15) lgkmcnt(1)
	v_mfma_f32_16x16x16bf16_1k v[34:37], v[46:47], v[10:11], v[34:37]
	v_and_or_b32 v46, v0, 48, s16
	s_nop 3
	v_add_u32_e32 v38, s0, v46
	v_ashrrev_i32_e32 v38, 5, v38
	v_mov_b32_e32 v47, s19
	v_cmp_gt_i32_e32 vcc, s33, v46
	v_cndmask_b32_e32 v38, v47, v38, vcc
	v_ashrrev_i32_e32 v39, 31, v38
	v_mfma_f32_16x16x16bf16_1k v[34:37], v[48:49], v[12:13], v[34:37]
	v_or_b32_e32 v40, 64, v46
	v_add_u32_e32 v41, s0, v40
	v_ashrrev_i32_e32 v41, 5, v41
	v_mov_b32_e32 v48, s18
	s_waitcnt vmcnt(14) lgkmcnt(0)
	v_mfma_f32_16x16x16bf16_1k v[34:37], v[58:59], v[54:55], v[34:37]
	v_mfma_f32_16x16x16bf16_1k v[58:61], v[60:61], v[56:57], v[34:37]
	s_waitcnt vmcnt(13)
	v_mfma_f32_16x16x16bf16_1k v[34:37], v[74:75], v[30:31], 0
	v_mfma_f32_16x16x16bf16_1k v[34:37], v[76:77], v[32:33], v[34:37]
	v_lshlrev_b32_e32 v76, 6, v88
	s_waitcnt vmcnt(12)
	v_mfma_f32_16x16x16bf16_1k v[34:37], v[70:71], v[22:23], v[34:37]
	v_mfma_f32_16x16x16bf16_1k v[34:37], v[72:73], v[24:25], v[34:37]
	s_waitcnt vmcnt(11)
	v_mfma_f32_16x16x16bf16_1k v[34:37], v[78:79], v[10:11], v[34:37]
	v_mfma_f32_16x16x16bf16_1k v[34:37], v[80:81], v[12:13], v[34:37]
	;; [unrolled: 3-line block ×3, first 2 shown]
	s_nop 7
	s_nop 1
	v_lshlrev_b64 v[34:35], 2, v[38:39]
	v_mov_b32_e32 v36, s18
	v_add_co_u32_e32 v38, vcc, s17, v34
	v_addc_co_u32_e32 v39, vcc, v36, v35, vcc
	v_cmp_gt_i32_e32 vcc, s33, v40
	v_cndmask_b32_e32 v40, v47, v41, vcc
	v_ashrrev_i32_e32 v41, 31, v40
	v_lshlrev_b64 v[40:41], 2, v[40:41]
	v_add_co_u32_e32 v40, vcc, s17, v40
	v_addc_co_u32_e32 v41, vcc, v48, v41, vcc
	global_load_dword v48, v[38:39], off
	s_nop 0
	global_load_dword v40, v[40:41], off
	v_or_b32_e32 v38, 0x80, v46
	v_add_u32_e32 v39, s0, v38
	v_ashrrev_i32_e32 v39, 5, v39
	v_cmp_gt_i32_e32 vcc, s33, v38
	v_cndmask_b32_e32 v38, v47, v39, vcc
	v_ashrrev_i32_e32 v39, 31, v38
	v_lshlrev_b64 v[38:39], 2, v[38:39]
	v_mov_b32_e32 v41, s18
	v_add_co_u32_e32 v38, vcc, s17, v38
	v_addc_co_u32_e32 v39, vcc, v41, v39, vcc
	s_waitcnt vmcnt(9)
	v_mfma_f32_16x16x16bf16_1k v[34:37], v[62:63], v[30:31], 0
	global_load_dword v62, v[38:39], off
	v_or_b32_e32 v38, 0xc0, v46
	v_add_u32_e32 v39, s0, v38
	v_ashrrev_i32_e32 v39, 5, v39
	v_cmp_gt_i32_e32 vcc, s33, v38
	v_cndmask_b32_e32 v38, v47, v39, vcc
	v_ashrrev_i32_e32 v39, 31, v38
	v_mfma_f32_16x16x16bf16_1k v[34:37], v[64:65], v[32:33], v[34:37]
	s_load_dword s0, s[4:5], 0x1c
	s_waitcnt lgkmcnt(0)
	v_pk_mul_f32 v[58:59], s[0:1], v[58:59] op_sel_hi:[0,1]
	s_waitcnt vmcnt(9)
	v_mfma_f32_16x16x16bf16_1k v[34:37], v[42:43], v[22:23], v[34:37]
	v_mfma_f32_16x16x16bf16_1k v[34:37], v[44:45], v[24:25], v[34:37]
	s_waitcnt vmcnt(8)
	v_mfma_f32_16x16x16bf16_1k v[34:37], v[26:27], v[10:11], v[34:37]
	v_lshlrev_b64 v[26:27], 2, v[38:39]
	v_mov_b32_e32 v39, s18
	v_add_co_u32_e32 v38, vcc, s17, v26
	v_addc_co_u32_e32 v39, vcc, v39, v27, vcc
	global_load_dword v63, v[38:39], off
	v_mfma_f32_16x16x16bf16_1k v[26:29], v[28:29], v[12:13], v[34:37]
	s_waitcnt vmcnt(8)
	v_mfma_f32_16x16x16bf16_1k v[26:29], v[18:19], v[54:55], v[26:29]
	s_nop 4
	v_and_b32_e32 v34, 16, v0
	v_lshlrev_b32_e32 v34, 1, v34
	v_mov_b32_e32 v18, s3
	v_add_co_u32_e32 v74, vcc, s2, v34
	v_addc_co_u32_e32 v75, vcc, 0, v18, vcc
	v_mfma_f32_16x16x16bf16_1k v[90:93], v[20:21], v[56:57], v[26:29]
	v_add_co_u32_e32 v77, vcc, v74, v76
	v_addc_co_u32_e32 v78, vcc, 0, v75, vcc
	s_waitcnt vmcnt(3)
	v_mad_i64_i32 v[18:19], s[2:3], v48, s1, 0
	v_lshlrev_b64 v[70:71], 1, v[18:19]
	v_mfma_f32_16x16x16bf16_1k v[18:21], v[14:15], v[30:31], 0
	v_add_co_u32_e32 v14, vcc, v77, v70
	v_addc_co_u32_e32 v15, vcc, v78, v71, vcc
	global_load_dwordx4 v[46:49], v[14:15], off
	global_load_dwordx4 v[42:45], v[14:15], off offset:16
	s_waitcnt vmcnt(4)
	v_mad_i64_i32 v[14:15], s[2:3], v40, s1, 0
	v_lshlrev_b64 v[72:73], 1, v[14:15]
	v_mfma_f32_16x16x16bf16_1k v[14:17], v[16:17], v[32:33], v[18:21]
	v_mfma_f32_16x16x16bf16_1k v[14:17], v[6:7], v[22:23], v[14:17]
	s_nop 5
	v_add_co_u32_e32 v18, vcc, v77, v72
	v_addc_co_u32_e32 v19, vcc, v78, v73, vcc
	global_load_dwordx4 v[38:41], v[18:19], off
	global_load_dwordx4 v[34:37], v[18:19], off offset:16
	s_waitcnt vmcnt(5)
	v_mad_i64_i32 v[18:19], s[2:3], v62, s1, 0
	v_lshlrev_b64 v[64:65], 1, v[18:19]
	v_add_co_u32_e32 v6, vcc, v77, v64
	v_addc_co_u32_e32 v7, vcc, v78, v65, vcc
	global_load_dwordx4 v[30:33], v[6:7], off
	global_load_dwordx4 v[26:29], v[6:7], off offset:16
	v_mfma_f32_16x16x16bf16_1k v[6:9], v[8:9], v[24:25], v[14:17]
	v_mfma_f32_16x16x16bf16_1k v[6:9], v[2:3], v[10:11], v[6:9]
	v_or_b32_e32 v2, 0x1000, v76
	s_waitcnt vmcnt(6)
	s_nop 3
	v_mad_i64_i32 v[14:15], s[2:3], v63, s1, 0
	v_mfma_f32_16x16x16bf16_1k v[10:13], v[4:5], v[12:13], v[6:9]
	v_lshlrev_b64 v[62:63], 1, v[14:15]
	v_add_co_u32_e32 v14, vcc, v77, v62
	v_addc_co_u32_e32 v15, vcc, v78, v63, vcc
	v_add_co_u32_e32 v89, vcc, v74, v2
	v_mfma_f32_16x16x16bf16_1k v[80:83], v[50:51], v[54:55], v[10:13]
	v_addc_co_u32_e32 v86, vcc, 0, v75, vcc
	v_pk_mul_f32 v[74:75], s[0:1], v[68:69] op_sel_hi:[0,1]
	v_pk_mul_f32 v[76:77], s[0:1], v[66:67] op_sel_hi:[0,1]
	;; [unrolled: 1-line block ×3, first 2 shown]
	v_add_co_u32_e32 v2, vcc, v89, v70
	v_mfma_f32_16x16x16bf16_1k v[50:53], v[52:53], v[56:57], v[80:83]
	v_addc_co_u32_e32 v3, vcc, v86, v71, vcc
	v_add_co_u32_e32 v70, vcc, v89, v72
	v_addc_co_u32_e32 v71, vcc, v86, v73, vcc
	global_load_dwordx4 v[22:25], v[14:15], off
	global_load_dwordx4 v[18:21], v[14:15], off offset:16
	s_nop 5
	v_pk_mul_f32 v[68:69], s[0:1], v[50:51] op_sel_hi:[0,1]
	v_and_b32_e32 v50, 0xc0, v0
	v_add_u32_e32 v50, s16, v50
	v_lshl_or_b32 v50, v84, 2, v50
	v_or_b32_e32 v51, 1, v50
	v_pk_mul_f32 v[66:67], s[0:1], v[52:53] op_sel_hi:[0,1]
	v_subrev_u32_e32 v52, s33, v51
	v_add_u32_e32 v54, 1, v52
	v_add_u32_e32 v55, 2, v52
	v_cvt_f32_i32_e32 v53, v52
	v_cvt_f32_i32_e32 v54, v54
	;; [unrolled: 1-line block ×3, first 2 shown]
	v_add_u32_e32 v56, 3, v52
	v_fma_f32 v58, v87, v53, v58
	v_fmac_f32_e32 v59, v87, v54
	v_fma_f32 v78, v87, v55, v78
	v_add_u32_e32 v53, 16, v52
	v_add_u32_e32 v54, 17, v52
	v_add_u32_e32 v55, 18, v52
	v_cvt_f32_i32_e32 v56, v56
	v_cvt_f32_i32_e32 v53, v53
	;; [unrolled: 1-line block ×4, first 2 shown]
	v_fmac_f32_e32 v79, v87, v56
	v_add_u32_e32 v56, 19, v52
	v_fma_f32 v76, v87, v53, v76
	v_fmac_f32_e32 v77, v87, v54
	v_fma_f32 v74, v87, v55, v74
	v_add_u32_e32 v53, 32, v52
	v_add_u32_e32 v54, 33, v52
	;; [unrolled: 1-line block ×3, first 2 shown]
	v_cvt_f32_i32_e32 v56, v56
	v_cvt_f32_i32_e32 v53, v53
	;; [unrolled: 1-line block ×4, first 2 shown]
	global_load_dwordx4 v[6:9], v[2:3], off
	s_nop 0
	global_load_dwordx4 v[2:5], v[2:3], off offset:16
	s_nop 0
	global_load_dwordx4 v[14:17], v[70:71], off
	global_load_dwordx4 v[10:13], v[70:71], off offset:16
	v_pk_mul_f32 v[70:71], s[0:1], v[92:93] op_sel_hi:[0,1]
	v_pk_mul_f32 v[72:73], s[0:1], v[90:91] op_sel_hi:[0,1]
	v_fmac_f32_e32 v75, v87, v56
	v_add_u32_e32 v56, 35, v52
	v_fma_f32 v72, v87, v53, v72
	v_fmac_f32_e32 v73, v87, v54
	v_fma_f32 v70, v87, v55, v70
	v_add_u32_e32 v53, 48, v52
	v_add_u32_e32 v54, 49, v52
	;; [unrolled: 1-line block ×4, first 2 shown]
	v_cvt_f32_i32_e32 v52, v52
	v_cvt_f32_i32_e32 v53, v53
	;; [unrolled: 1-line block ×3, first 2 shown]
	v_cmp_gt_i32_e64 s[28:29], s33, v50
	v_fmac_f32_e32 v67, v87, v52
	v_mov_b32_e32 v52, 0xff7fffff
	v_cmp_gt_i32_e64 s[30:31], s33, v51
	v_fma_f32 v68, v87, v53, v68
	v_cndmask_b32_e64 v53, v52, v58, s[28:29]
	v_cndmask_b32_e64 v51, v52, v59, s[30:31]
	v_fmac_f32_e32 v69, v87, v54
	v_max3_f32 v51, v53, s40, v51
	v_or_b32_e32 v53, 2, v50
	v_or_b32_e32 v54, 3, v50
	v_cmp_gt_i32_e64 s[34:35], s33, v53
	v_cmp_gt_i32_e64 s[36:37], s33, v54
	v_cndmask_b32_e64 v53, v52, v78, s[34:35]
	v_cndmask_b32_e64 v54, v52, v79, s[36:37]
	v_max3_f32 v51, v51, v53, v54
	v_or_b32_e32 v53, 16, v50
	v_or_b32_e32 v54, 17, v50
	v_cmp_gt_i32_e64 s[22:23], s33, v53
	v_cmp_gt_i32_e64 s[24:25], s33, v54
	v_cndmask_b32_e64 v53, v52, v76, s[22:23]
	v_cndmask_b32_e64 v54, v52, v77, s[24:25]
	;; [unrolled: 7-line block ×3, first 2 shown]
	v_cvt_f32_i32_e32 v56, v56
	v_max3_f32 v51, v51, v53, v54
	v_or_b32_e32 v53, 32, v50
	v_or_b32_e32 v54, 33, v50
	v_cmp_gt_i32_e64 s[14:15], s33, v53
	v_cmp_gt_i32_e64 s[16:17], s33, v54
	v_cndmask_b32_e64 v53, v52, v72, s[14:15]
	v_cndmask_b32_e64 v54, v52, v73, s[16:17]
	v_max3_f32 v51, v51, v53, v54
	v_or_b32_e32 v53, 34, v50
	v_or_b32_e32 v54, 35, v50
	v_fmac_f32_e32 v71, v87, v56
	v_cmp_gt_i32_e64 s[10:11], s33, v53
	v_cmp_gt_i32_e64 s[12:13], s33, v54
	v_cndmask_b32_e64 v53, v52, v70, s[10:11]
	v_cndmask_b32_e64 v54, v52, v71, s[12:13]
	v_cvt_f32_i32_e32 v55, v55
	v_max3_f32 v51, v51, v53, v54
	v_or_b32_e32 v53, 48, v50
	v_or_b32_e32 v54, 49, v50
	v_cmp_gt_i32_e64 s[2:3], s33, v53
	v_cmp_gt_i32_e64 s[8:9], s33, v54
	v_cndmask_b32_e64 v53, v52, v68, s[2:3]
	v_cndmask_b32_e64 v54, v52, v69, s[8:9]
	v_max3_f32 v51, v51, v53, v54
	v_or_b32_e32 v53, 50, v50
	v_or_b32_e32 v50, 51, v50
	v_fma_f32 v66, v87, v55, v66
	v_cmp_gt_i32_e32 vcc, s33, v53
	v_cmp_gt_i32_e64 s[0:1], s33, v50
	v_cndmask_b32_e32 v53, v52, v66, vcc
	v_cndmask_b32_e64 v50, v52, v67, s[0:1]
	v_max3_f32 v60, v51, v53, v50
	v_mbcnt_lo_u32_b32 v50, -1, 0
	v_mbcnt_hi_u32_b32 v61, -1, v50
	v_and_b32_e32 v50, 64, v61
	v_add_u32_e32 v80, 64, v50
	v_xor_b32_e32 v50, 32, v61
	v_cmp_lt_i32_e64 s[38:39], v50, v80
	v_cndmask_b32_e64 v50, v61, v50, s[38:39]
	v_lshlrev_b32_e32 v82, 2, v50
	ds_bpermute_b32 v81, v82, v60
	v_add_co_u32_e64 v50, s[38:39], v89, v64
	v_addc_co_u32_e64 v51, s[38:39], v86, v65, s[38:39]
	s_waitcnt lgkmcnt(0)
	v_max_f32_e32 v64, v81, v81
	v_max_f32_e32 v64, v60, v64
	v_xor_b32_e32 v60, 16, v61
	v_cmp_lt_i32_e64 s[38:39], v60, v80
	v_cndmask_b32_e64 v60, v61, v60, s[38:39]
	v_lshlrev_b32_e32 v83, 2, v60
	ds_bpermute_b32 v65, v83, v64
	v_add_co_u32_e64 v60, s[38:39], v89, v62
	v_addc_co_u32_e64 v61, s[38:39], v86, v63, s[38:39]
	s_waitcnt lgkmcnt(0)
	v_max_f32_e32 v62, v65, v65
	v_max_f32_e32 v87, v64, v62
	v_sub_f32_e32 v58, v58, v87
	v_mul_f32_e32 v58, 0x3fb8aa3b, v58
	v_exp_f32_e32 v80, v58
	v_sub_f32_e32 v58, v59, v87
	v_mul_f32_e32 v58, 0x3fb8aa3b, v58
	global_load_dwordx4 v[54:57], v[50:51], off
	s_nop 0
	global_load_dwordx4 v[50:53], v[50:51], off offset:16
	v_exp_f32_e32 v81, v58
	global_load_dwordx4 v[62:65], v[60:61], off
	s_nop 0
	global_load_dwordx4 v[58:61], v[60:61], off offset:16
	v_sub_f32_e32 v78, v78, v87
	v_mul_f32_e32 v78, 0x3fb8aa3b, v78
	v_sub_f32_e32 v79, v79, v87
	v_exp_f32_e32 v78, v78
	v_mul_f32_e32 v79, 0x3fb8aa3b, v79
	v_sub_f32_e32 v76, v76, v87
	v_exp_f32_e32 v79, v79
	v_mul_f32_e32 v76, 0x3fb8aa3b, v76
	v_sub_f32_e32 v77, v77, v87
	v_cndmask_b32_e64 v80, 0, v80, s[28:29]
	v_exp_f32_e32 v76, v76
	v_mul_f32_e32 v77, 0x3fb8aa3b, v77
	v_sub_f32_e32 v74, v74, v87
	v_add_f32_e32 v86, 0, v80
	v_cndmask_b32_e64 v81, 0, v81, s[30:31]
	v_exp_f32_e32 v77, v77
	v_mul_f32_e32 v74, 0x3fb8aa3b, v74
	v_sub_f32_e32 v75, v75, v87
	v_add_f32_e32 v86, v86, v81
	;; [unrolled: 5-line block ×10, first 2 shown]
	v_cndmask_b32_e64 v70, 0, v70, s[10:11]
	v_exp_f32_e32 v66, v66
	v_mul_f32_e32 v67, 0x3fb8aa3b, v67
	v_add_f32_e32 v86, v86, v70
	v_cndmask_b32_e64 v71, 0, v71, s[12:13]
	v_exp_f32_e32 v67, v67
	v_add_f32_e32 v86, v86, v71
	v_cndmask_b32_e64 v68, 0, v68, s[2:3]
	v_add_f32_e32 v86, v86, v68
	v_cndmask_b32_e64 v69, 0, v69, s[8:9]
	v_add_f32_e32 v86, v86, v69
	v_cndmask_b32_e32 v66, 0, v66, vcc
	v_add_f32_e32 v86, v86, v66
	v_cndmask_b32_e64 v67, 0, v67, s[0:1]
	v_add_f32_e32 v86, v86, v67
	ds_bpermute_b32 v82, v82, v86
	s_load_dword s3, s[4:5], 0x98
	v_cmp_gt_u32_e32 vcc, 16, v94
	s_waitcnt lgkmcnt(0)
	s_barrier
	v_add_f32_e32 v89, v86, v82
	ds_bpermute_b32 v90, v83, v89
	s_waitcnt lgkmcnt(0)
	s_and_saveexec_b64 s[0:1], vcc
	s_cbranch_execz .LBB351_17
; %bb.16:
	v_add_f32_e32 v82, v89, v90
	v_lshlrev_b32_e32 v83, 2, v88
	ds_write2st64_b32 v83, v87, v82 offset1:1
.LBB351_17:
	s_or_b64 exec, exec, s[0:1]
	v_lshlrev_b32_e32 v87, 2, v1
	s_load_dword s2, s[4:5], 0x94
	s_waitcnt lgkmcnt(0)
	s_barrier
	ds_read2_b32 v[82:83], v87 offset1:16
	ds_read2_b32 v[88:89], v87 offset0:32 offset1:48
	ds_read2_b32 v[90:91], v87 offset0:64 offset1:80
	s_movk_i32 s8, 0x7fff
	s_mov_b32 s9, 0x7060302
	s_waitcnt lgkmcnt(2)
	v_max3_f32 v86, v82, s40, v83
	s_waitcnt lgkmcnt(1)
	v_max3_f32 v86, v86, v88, v89
	v_sub_f32_e32 v82, v82, v86
	v_mul_f32_e32 v82, 0x3fb8aa3b, v82
	v_exp_f32_e32 v92, v82
	v_sub_f32_e32 v82, v83, v86
	v_mul_f32_e32 v82, 0x3fb8aa3b, v82
	v_exp_f32_e32 v93, v82
	;; [unrolled: 3-line block ×3, first 2 shown]
	ds_read2_b32 v[82:83], v87 offset0:96 offset1:112
	v_sub_f32_e32 v87, v89, v86
	v_mul_f32_e32 v87, 0x3fb8aa3b, v87
	v_exp_f32_e32 v89, v87
	s_waitcnt lgkmcnt(1)
	v_fma_f32 v87, v92, v90, 0
	v_fmac_f32_e32 v87, v93, v91
	s_waitcnt lgkmcnt(0)
	v_fmac_f32_e32 v87, v88, v82
	v_fmac_f32_e32 v87, v89, v83
	v_add_f32_e32 v82, 0x358637bd, v87
	v_div_scale_f32 v83, s[0:1], v82, v82, 1.0
	v_rcp_f32_e32 v90, v83
	s_lshl_b32 s3, s3, 3
	s_barrier
	v_fma_f32 v91, -v83, v90, 1.0
	v_fmac_f32_e32 v90, v91, v90
	v_div_scale_f32 v91, vcc, 1.0, v82, 1.0
	v_mul_f32_e32 v94, v91, v90
	v_fma_f32 v95, -v83, v94, v91
	v_fmac_f32_e32 v94, v95, v90
	v_fma_f32 v83, -v83, v94, v91
	v_div_fmas_f32 v83, v83, v90, v94
	v_cmp_eq_u32_e32 vcc, 1, v85
	v_div_fixup_f32 v82, v83, v82, 1.0
	v_cndmask_b32_e32 v83, v92, v93, vcc
	v_cmp_eq_u32_e32 vcc, 2, v85
	v_cndmask_b32_e32 v83, v83, v88, vcc
	v_cmp_eq_u32_e32 vcc, 3, v85
	v_cndmask_b32_e32 v83, v83, v89, vcc
	v_mul_f32_e32 v82, v83, v82
	v_pk_mul_f32 v[80:81], v[82:83], v[80:81] op_sel_hi:[0,1]
	v_pk_mul_f32 v[78:79], v[82:83], v[78:79] op_sel_hi:[0,1]
	v_bfe_u32 v83, v81, 16, 1
	v_bfe_u32 v88, v80, 16, 1
	v_add3_u32 v80, v80, v88, s8
	v_add3_u32 v81, v81, v83, s8
	v_perm_b32 v80, v81, v80, s9
	v_bfe_u32 v81, v79, 16, 1
	v_bfe_u32 v83, v78, 16, 1
	v_add3_u32 v78, v78, v83, s8
	v_add3_u32 v79, v79, v81, s8
	v_lshlrev_b32_e32 v83, 11, v85
	v_perm_b32 v81, v79, v78, s9
	v_lshlrev_b32_e32 v78, 3, v84
	v_lshlrev_b32_e32 v79, 5, v1
	v_pk_mul_f32 v[76:77], v[82:83], v[76:77] op_sel_hi:[0,1]
	v_or3_b32 v78, v83, v79, v78
	v_pk_mul_f32 v[74:75], v[82:83], v[74:75] op_sel_hi:[0,1]
	v_bfe_u32 v83, v77, 16, 1
	v_bfe_u32 v85, v76, 16, 1
	v_add3_u32 v76, v76, v85, s8
	v_add3_u32 v77, v77, v83, s8
	v_perm_b32 v76, v77, v76, s9
	v_bfe_u32 v77, v75, 16, 1
	v_bfe_u32 v83, v74, 16, 1
	v_add3_u32 v74, v74, v83, s8
	v_add3_u32 v75, v75, v77, s8
	v_pk_mul_f32 v[72:73], v[82:83], v[72:73] op_sel_hi:[0,1]
	v_perm_b32 v77, v75, v74, s9
	v_bfe_u32 v74, v73, 16, 1
	v_bfe_u32 v75, v72, 16, 1
	v_pk_mul_f32 v[70:71], v[82:83], v[70:71] op_sel_hi:[0,1]
	v_add3_u32 v72, v72, v75, s8
	v_add3_u32 v73, v73, v74, s8
	v_perm_b32 v72, v73, v72, s9
	v_bfe_u32 v73, v71, 16, 1
	v_bfe_u32 v74, v70, 16, 1
	v_add3_u32 v70, v70, v74, s8
	v_add3_u32 v71, v71, v73, s8
	v_pk_mul_f32 v[68:69], v[82:83], v[68:69] op_sel_hi:[0,1]
	v_perm_b32 v73, v71, v70, s9
	v_bfe_u32 v70, v69, 16, 1
	v_bfe_u32 v71, v68, 16, 1
	v_pk_mul_f32 v[66:67], v[82:83], v[66:67] op_sel_hi:[0,1]
	v_add3_u32 v68, v68, v71, s8
	v_add3_u32 v69, v69, v70, s8
	v_perm_b32 v68, v69, v68, s9
	v_bfe_u32 v69, v67, 16, 1
	v_bfe_u32 v70, v66, 16, 1
	v_add3_u32 v66, v66, v70, s8
	v_add3_u32 v67, v67, v69, s8
	v_perm_b32 v69, v67, v66, s9
	v_cmp_gt_u32_e32 vcc, 8, v0
	ds_write2st64_b64 v78, v[80:81], v[76:77] offset1:1
	ds_write2st64_b64 v78, v[72:73], v[68:69] offset0:2 offset1:3
	s_and_saveexec_b64 s[0:1], vcc
	s_cbranch_execz .LBB351_19
; %bb.18:
	v_or_b32_e32 v66, s27, v0
	v_mov_b32_e32 v67, 0
	v_mov_b32_e32 v68, s3
	v_mad_u64_u32 v[68:69], s[10:11], s6, v68, v[66:67]
	v_mov_b32_e32 v66, s26
	s_load_dwordx4 s[12:15], s[4:5], 0x58
	s_mul_i32 s7, s7, s3
	v_mad_u64_u32 v[66:67], s[10:11], v68, s2, v[66:67]
	v_add_u32_e32 v69, s7, v69
	v_mov_b32_e32 v68, v67
	v_mad_u64_u32 v[68:69], s[10:11], v69, s2, v[68:69]
	v_mov_b32_e32 v67, v68
	v_lshlrev_b64 v[66:67], 2, v[66:67]
	s_waitcnt lgkmcnt(0)
	v_mov_b32_e32 v69, s15
	v_add_co_u32_e32 v68, vcc, s14, v66
	v_addc_co_u32_e32 v69, vcc, v69, v67, vcc
	global_store_dword v[68:69], v86, off
	v_mov_b32_e32 v68, s13
	v_add_co_u32_e32 v66, vcc, s12, v66
	v_addc_co_u32_e32 v67, vcc, v68, v67, vcc
	global_store_dword v[66:67], v87, off
.LBB351_19:
	s_or_b64 exec, exec, s[0:1]
	v_lshl_or_b32 v79, v84, 9, v79
	s_waitcnt lgkmcnt(0)
	s_barrier
	ds_read_b128 v[70:73], v79
	ds_read_b128 v[66:69], v79 offset:16
	s_waitcnt vmcnt(15) lgkmcnt(1)
	v_mfma_f32_16x16x16bf16_1k v[74:77], v[46:47], v[70:71], 0
	s_mov_b32 s1, 0
	v_cmp_gt_u32_e32 vcc, 64, v0
	v_mfma_f32_16x16x16bf16_1k v[46:49], v[48:49], v[72:73], v[74:77]
	s_waitcnt vmcnt(14) lgkmcnt(0)
	v_mfma_f32_16x16x16bf16_1k v[46:49], v[42:43], v[66:67], v[46:49]
	v_mfma_f32_16x16x16bf16_1k v[42:45], v[44:45], v[68:69], v[46:49]
	s_nop 7
	s_nop 1
	ds_read_b128 v[46:49], v79 offset:2048
	ds_read_b128 v[74:77], v79 offset:2064
	s_waitcnt vmcnt(13) lgkmcnt(1)
	v_mfma_f32_16x16x16bf16_1k v[42:45], v[38:39], v[46:47], v[42:45]
	v_mfma_f32_16x16x16bf16_1k v[38:41], v[40:41], v[48:49], v[42:45]
	s_waitcnt vmcnt(12) lgkmcnt(0)
	v_mfma_f32_16x16x16bf16_1k v[38:41], v[34:35], v[74:75], v[38:41]
	v_mfma_f32_16x16x16bf16_1k v[34:37], v[36:37], v[76:77], v[38:41]
	s_nop 7
	s_nop 1
	ds_read_b128 v[38:41], v79 offset:4096
	ds_read_b128 v[42:45], v79 offset:4112
	s_waitcnt vmcnt(11) lgkmcnt(1)
	v_mfma_f32_16x16x16bf16_1k v[34:37], v[30:31], v[38:39], v[34:37]
	v_mfma_f32_16x16x16bf16_1k v[30:33], v[32:33], v[40:41], v[34:37]
	s_waitcnt vmcnt(10) lgkmcnt(0)
	v_mfma_f32_16x16x16bf16_1k v[30:33], v[26:27], v[42:43], v[30:33]
	v_mfma_f32_16x16x16bf16_1k v[26:29], v[28:29], v[44:45], v[30:33]
	s_nop 7
	s_nop 1
	ds_read_b128 v[30:33], v79 offset:6144
	ds_read_b128 v[34:37], v79 offset:6160
	s_waitcnt lgkmcnt(0)
	s_barrier
	s_waitcnt vmcnt(9)
	v_mfma_f32_16x16x16bf16_1k v[26:29], v[22:23], v[30:31], v[26:29]
	v_mfma_f32_16x16x16bf16_1k v[22:25], v[24:25], v[32:33], v[26:29]
	s_waitcnt vmcnt(8)
	v_mfma_f32_16x16x16bf16_1k v[22:25], v[18:19], v[34:35], v[22:25]
	v_mfma_f32_16x16x16bf16_1k v[18:21], v[20:21], v[36:37], v[22:25]
	s_waitcnt vmcnt(7)
	v_mfma_f32_16x16x16bf16_1k v[22:25], v[6:7], v[70:71], 0
	v_mfma_f32_16x16x16bf16_1k v[6:9], v[8:9], v[72:73], v[22:25]
	s_waitcnt vmcnt(6)
	v_mfma_f32_16x16x16bf16_1k v[6:9], v[2:3], v[66:67], v[6:9]
	v_mfma_f32_16x16x16bf16_1k v[2:5], v[4:5], v[68:69], v[6:9]
	s_waitcnt vmcnt(5)
	v_mfma_f32_16x16x16bf16_1k v[2:5], v[14:15], v[46:47], v[2:5]
	s_nop 7
	v_bfe_u32 v6, v19, 16, 1
	v_bfe_u32 v7, v18, 16, 1
	v_add3_u32 v7, v18, v7, s8
	v_add3_u32 v6, v19, v6, s8
	v_perm_b32 v6, v6, v7, s9
	v_bfe_u32 v7, v21, 16, 1
	v_bfe_u32 v8, v20, 16, 1
	v_mfma_f32_16x16x16bf16_1k v[2:5], v[16:17], v[48:49], v[2:5]
	v_add3_u32 v8, v20, v8, s8
	v_add3_u32 v7, v21, v7, s8
	v_perm_b32 v7, v7, v8, s9
	s_waitcnt vmcnt(4)
	v_mfma_f32_16x16x16bf16_1k v[2:5], v[10:11], v[74:75], v[2:5]
	v_mfma_f32_16x16x16bf16_1k v[2:5], v[12:13], v[76:77], v[2:5]
	s_waitcnt vmcnt(3)
	v_mfma_f32_16x16x16bf16_1k v[2:5], v[54:55], v[38:39], v[2:5]
	v_mfma_f32_16x16x16bf16_1k v[2:5], v[56:57], v[40:41], v[2:5]
	s_waitcnt vmcnt(2)
	v_mfma_f32_16x16x16bf16_1k v[2:5], v[50:51], v[42:43], v[2:5]
	v_mfma_f32_16x16x16bf16_1k v[2:5], v[52:53], v[44:45], v[2:5]
	s_waitcnt vmcnt(1)
	v_mfma_f32_16x16x16bf16_1k v[2:5], v[62:63], v[30:31], v[2:5]
	v_mfma_f32_16x16x16bf16_1k v[2:5], v[64:65], v[32:33], v[2:5]
	s_waitcnt vmcnt(0)
	v_mfma_f32_16x16x16bf16_1k v[2:5], v[58:59], v[34:35], v[2:5]
	v_mfma_f32_16x16x16bf16_1k v[2:5], v[60:61], v[36:37], v[2:5]
	s_nop 7
	s_nop 2
	v_bfe_u32 v8, v3, 16, 1
	v_bfe_u32 v9, v2, 16, 1
	v_add3_u32 v2, v2, v9, s8
	v_add3_u32 v3, v3, v8, s8
	v_perm_b32 v2, v3, v2, s9
	v_bfe_u32 v3, v5, 16, 1
	v_bfe_u32 v8, v4, 16, 1
	v_add3_u32 v4, v4, v8, s8
	v_add3_u32 v3, v5, v3, s8
	v_perm_b32 v3, v3, v4, s9
	ds_write2st64_b64 v78, v[6:7], v[2:3] offset1:1
	s_waitcnt lgkmcnt(0)
	s_barrier
	s_and_saveexec_b64 s[8:9], vcc
	s_cbranch_execz .LBB351_21
; %bb.20:
	v_lshlrev_b32_e32 v1, 6, v1
	v_lshlrev_b32_e32 v3, 4, v0
	v_lshl_or_b32 v0, v0, 10, v1
	v_lshlrev_b32_e32 v2, 5, v84
	v_and_b32_e32 v3, 16, v3
	v_and_b32_e32 v0, 0x1a00, v0
	v_or3_b32 v4, v0, v2, v3
	ds_read_b128 v[0:3], v4
	ds_read_b128 v[4:7], v4 offset:128
	buffer_load_dword v10, off, s[44:47], 0 ; 4-byte Folded Reload
	buffer_load_dword v11, off, s[44:47], 0 offset:4 ; 4-byte Folded Reload
	s_load_dwordx2 s[4:5], s[4:5], 0x68
	s_lshl_b32 s7, s2, 7
	s_mul_i32 s0, s3, s6
	s_mul_hi_u32 s3, s0, s7
	s_mul_i32 s2, s0, s7
	s_lshl_b64 s[2:3], s[2:3], 1
	s_waitcnt lgkmcnt(0)
	s_add_u32 s2, s4, s2
	s_addc_u32 s3, s5, s3
	s_lshl_b32 s0, s26, 7
	s_lshl_b64 s[0:1], s[0:1], 1
	s_add_u32 s0, s2, s0
	s_addc_u32 s1, s3, s1
	v_mov_b32_e32 v8, s1
	v_or_b32_e32 v12, s27, v84
	s_waitcnt vmcnt(1)
	v_add_co_u32_e32 v10, vcc, s0, v10
	s_waitcnt vmcnt(0)
	v_addc_co_u32_e32 v11, vcc, v8, v11, vcc
	v_mad_u64_u32 v[8:9], s[0:1], v12, s7, 0
	v_lshlrev_b64 v[8:9], 1, v[8:9]
	v_add_co_u32_e32 v8, vcc, v10, v8
	v_addc_co_u32_e32 v9, vcc, v11, v9, vcc
	global_store_dwordx4 v[8:9], v[0:3], off
	s_nop 0
	v_or_b32_e32 v0, 4, v12
	v_mad_u64_u32 v[0:1], s[0:1], v0, s7, 0
	v_lshlrev_b64 v[0:1], 1, v[0:1]
	v_add_co_u32_e32 v0, vcc, v10, v0
	v_addc_co_u32_e32 v1, vcc, v11, v1, vcc
	global_store_dwordx4 v[0:1], v[4:7], off
.LBB351_21:
	s_endpgm
	.section	.rodata,"a",@progbits
	.p2align	6, 0x0
	.amdhsa_kernel _Z39paged_attention_ll4mi_QKV_mfma16_kernelI14__hip_bfloat16S0_LN4vllm18Fp8KVCacheDataTypeE0ES0_Li32ELi128ELi256ELb1ELi8EL8MFMAType0EEvPKT_PKT0_S9_ifPKiSB_SB_iPKfiiiPfSE_PS4_PT2_iSD_SD_
		.amdhsa_group_segment_fixed_size 8192
		.amdhsa_private_segment_fixed_size 12
		.amdhsa_kernarg_size 400
		.amdhsa_user_sgpr_count 6
		.amdhsa_user_sgpr_private_segment_buffer 1
		.amdhsa_user_sgpr_dispatch_ptr 0
		.amdhsa_user_sgpr_queue_ptr 0
		.amdhsa_user_sgpr_kernarg_segment_ptr 1
		.amdhsa_user_sgpr_dispatch_id 0
		.amdhsa_user_sgpr_flat_scratch_init 0
		.amdhsa_user_sgpr_kernarg_preload_length 0
		.amdhsa_user_sgpr_kernarg_preload_offset 0
		.amdhsa_user_sgpr_private_segment_size 0
		.amdhsa_uses_dynamic_stack 0
		.amdhsa_system_sgpr_private_segment_wavefront_offset 1
		.amdhsa_system_sgpr_workgroup_id_x 1
		.amdhsa_system_sgpr_workgroup_id_y 1
		.amdhsa_system_sgpr_workgroup_id_z 1
		.amdhsa_system_sgpr_workgroup_info 0
		.amdhsa_system_vgpr_workitem_id 0
		.amdhsa_next_free_vgpr 96
		.amdhsa_next_free_sgpr 48
		.amdhsa_accum_offset 96
		.amdhsa_reserve_vcc 1
		.amdhsa_reserve_flat_scratch 0
		.amdhsa_float_round_mode_32 0
		.amdhsa_float_round_mode_16_64 0
		.amdhsa_float_denorm_mode_32 3
		.amdhsa_float_denorm_mode_16_64 3
		.amdhsa_dx10_clamp 1
		.amdhsa_ieee_mode 1
		.amdhsa_fp16_overflow 0
		.amdhsa_tg_split 0
		.amdhsa_exception_fp_ieee_invalid_op 0
		.amdhsa_exception_fp_denorm_src 0
		.amdhsa_exception_fp_ieee_div_zero 0
		.amdhsa_exception_fp_ieee_overflow 0
		.amdhsa_exception_fp_ieee_underflow 0
		.amdhsa_exception_fp_ieee_inexact 0
		.amdhsa_exception_int_div_zero 0
	.end_amdhsa_kernel
	.section	.text._Z39paged_attention_ll4mi_QKV_mfma16_kernelI14__hip_bfloat16S0_LN4vllm18Fp8KVCacheDataTypeE0ES0_Li32ELi128ELi256ELb1ELi8EL8MFMAType0EEvPKT_PKT0_S9_ifPKiSB_SB_iPKfiiiPfSE_PS4_PT2_iSD_SD_,"axG",@progbits,_Z39paged_attention_ll4mi_QKV_mfma16_kernelI14__hip_bfloat16S0_LN4vllm18Fp8KVCacheDataTypeE0ES0_Li32ELi128ELi256ELb1ELi8EL8MFMAType0EEvPKT_PKT0_S9_ifPKiSB_SB_iPKfiiiPfSE_PS4_PT2_iSD_SD_,comdat
.Lfunc_end351:
	.size	_Z39paged_attention_ll4mi_QKV_mfma16_kernelI14__hip_bfloat16S0_LN4vllm18Fp8KVCacheDataTypeE0ES0_Li32ELi128ELi256ELb1ELi8EL8MFMAType0EEvPKT_PKT0_S9_ifPKiSB_SB_iPKfiiiPfSE_PS4_PT2_iSD_SD_, .Lfunc_end351-_Z39paged_attention_ll4mi_QKV_mfma16_kernelI14__hip_bfloat16S0_LN4vllm18Fp8KVCacheDataTypeE0ES0_Li32ELi128ELi256ELb1ELi8EL8MFMAType0EEvPKT_PKT0_S9_ifPKiSB_SB_iPKfiiiPfSE_PS4_PT2_iSD_SD_
                                        ; -- End function
	.section	.AMDGPU.csdata,"",@progbits
; Kernel info:
; codeLenInByte = 5348
; NumSgprs: 52
; NumVgprs: 96
; NumAgprs: 0
; TotalNumVgprs: 96
; ScratchSize: 12
; MemoryBound: 0
; FloatMode: 240
; IeeeMode: 1
; LDSByteSize: 8192 bytes/workgroup (compile time only)
; SGPRBlocks: 6
; VGPRBlocks: 11
; NumSGPRsForWavesPerEU: 52
; NumVGPRsForWavesPerEU: 96
; AccumOffset: 96
; Occupancy: 5
; WaveLimiterHint : 1
; COMPUTE_PGM_RSRC2:SCRATCH_EN: 1
; COMPUTE_PGM_RSRC2:USER_SGPR: 6
; COMPUTE_PGM_RSRC2:TRAP_HANDLER: 0
; COMPUTE_PGM_RSRC2:TGID_X_EN: 1
; COMPUTE_PGM_RSRC2:TGID_Y_EN: 1
; COMPUTE_PGM_RSRC2:TGID_Z_EN: 1
; COMPUTE_PGM_RSRC2:TIDIG_COMP_CNT: 0
; COMPUTE_PGM_RSRC3_GFX90A:ACCUM_OFFSET: 23
; COMPUTE_PGM_RSRC3_GFX90A:TG_SPLIT: 0
	.section	.text._Z39paged_attention_ll4mi_QKV_mfma16_kernelI14__hip_bfloat16S0_LN4vllm18Fp8KVCacheDataTypeE0ES0_Li32ELi128ELi256ELb1ELi9EL8MFMAType0EEvPKT_PKT0_S9_ifPKiSB_SB_iPKfiiiPfSE_PS4_PT2_iSD_SD_,"axG",@progbits,_Z39paged_attention_ll4mi_QKV_mfma16_kernelI14__hip_bfloat16S0_LN4vllm18Fp8KVCacheDataTypeE0ES0_Li32ELi128ELi256ELb1ELi9EL8MFMAType0EEvPKT_PKT0_S9_ifPKiSB_SB_iPKfiiiPfSE_PS4_PT2_iSD_SD_,comdat
	.protected	_Z39paged_attention_ll4mi_QKV_mfma16_kernelI14__hip_bfloat16S0_LN4vllm18Fp8KVCacheDataTypeE0ES0_Li32ELi128ELi256ELb1ELi9EL8MFMAType0EEvPKT_PKT0_S9_ifPKiSB_SB_iPKfiiiPfSE_PS4_PT2_iSD_SD_ ; -- Begin function _Z39paged_attention_ll4mi_QKV_mfma16_kernelI14__hip_bfloat16S0_LN4vllm18Fp8KVCacheDataTypeE0ES0_Li32ELi128ELi256ELb1ELi9EL8MFMAType0EEvPKT_PKT0_S9_ifPKiSB_SB_iPKfiiiPfSE_PS4_PT2_iSD_SD_
	.globl	_Z39paged_attention_ll4mi_QKV_mfma16_kernelI14__hip_bfloat16S0_LN4vllm18Fp8KVCacheDataTypeE0ES0_Li32ELi128ELi256ELb1ELi9EL8MFMAType0EEvPKT_PKT0_S9_ifPKiSB_SB_iPKfiiiPfSE_PS4_PT2_iSD_SD_
	.p2align	8
	.type	_Z39paged_attention_ll4mi_QKV_mfma16_kernelI14__hip_bfloat16S0_LN4vllm18Fp8KVCacheDataTypeE0ES0_Li32ELi128ELi256ELb1ELi9EL8MFMAType0EEvPKT_PKT0_S9_ifPKiSB_SB_iPKfiiiPfSE_PS4_PT2_iSD_SD_,@function
_Z39paged_attention_ll4mi_QKV_mfma16_kernelI14__hip_bfloat16S0_LN4vllm18Fp8KVCacheDataTypeE0ES0_Li32ELi128ELi256ELb1ELi9EL8MFMAType0EEvPKT_PKT0_S9_ifPKiSB_SB_iPKfiiiPfSE_PS4_PT2_iSD_SD_: ; @_Z39paged_attention_ll4mi_QKV_mfma16_kernelI14__hip_bfloat16S0_LN4vllm18Fp8KVCacheDataTypeE0ES0_Li32ELi128ELi256ELb1ELi9EL8MFMAType0EEvPKT_PKT0_S9_ifPKiSB_SB_iPKfiiiPfSE_PS4_PT2_iSD_SD_
; %bb.0:
	s_mov_b64 s[46:47], s[2:3]
	s_mov_b64 s[44:45], s[0:1]
	s_load_dwordx2 s[0:1], s[4:5], 0x30
	s_add_u32 s44, s44, s9
	s_addc_u32 s45, s45, 0
	s_mov_b32 s26, s7
	s_mov_b64 s[10:11], 0
	s_waitcnt lgkmcnt(0)
	s_cmp_lg_u64 s[0:1], 0
	s_cselect_b64 s[2:3], -1, 0
	s_and_b64 vcc, exec, s[2:3]
	s_cbranch_vccz .LBB352_7
; %bb.1:
	s_add_i32 s12, s6, 1
	s_mov_b32 s13, 0
	s_lshl_b64 s[14:15], s[12:13], 2
	s_add_u32 s14, s0, s14
	s_mov_b32 s7, s13
	s_addc_u32 s15, s1, s15
	s_lshl_b64 s[12:13], s[6:7], 2
	s_add_u32 s12, s0, s12
	s_addc_u32 s13, s1, s13
	s_load_dword s9, s[14:15], 0x0
	s_load_dword s16, s[12:13], 0x0
	s_waitcnt lgkmcnt(0)
	s_sub_i32 s9, s9, s16
	s_cmp_eq_u32 s9, 1
	s_cselect_b64 s[12:13], -1, 0
	s_andn2_b64 vcc, exec, s[10:11]
	s_cbranch_vccnz .LBB352_3
.LBB352_2:
	s_mov_b32 s7, 0
	s_mov_b64 s[12:13], -1
.LBB352_3:
	s_andn2_b64 vcc, exec, s[12:13]
	s_cbranch_vccnz .LBB352_22
; %bb.4:
	s_load_dwordx2 s[12:13], s[4:5], 0x28
	s_lshl_b64 s[10:11], s[6:7], 2
	s_waitcnt lgkmcnt(0)
	s_add_u32 s12, s12, s10
	s_addc_u32 s13, s13, s11
	s_load_dword s33, s[12:13], 0x0
	s_lshl_b32 s16, s26, 8
	s_waitcnt lgkmcnt(0)
	s_cmp_ge_i32 s16, s33
	s_cbranch_scc1 .LBB352_22
; %bb.5:
	s_add_i32 s14, s33, 31
	s_load_dwordx2 s[12:13], s[4:5], 0x20
	s_load_dword s9, s[4:5], 0x38
	s_ashr_i32 s15, s14, 31
	v_and_b32_e32 v1, 0xcf, v0
	s_lshr_b32 s15, s15, 27
	v_add_u32_e32 v1, s16, v1
	s_add_i32 s14, s14, s15
	v_ashrrev_i32_e32 v2, 31, v1
	s_ashr_i32 s19, s14, 5
	v_lshrrev_b32_e32 v6, 27, v2
	s_add_i32 s19, s19, -1
	v_add_u32_e32 v2, v1, v6
	s_waitcnt lgkmcnt(0)
	s_mul_i32 s14, s6, s9
	s_mov_b32 s15, 0
	v_ashrrev_i32_e32 v2, 5, v2
	v_mov_b32_e32 v7, s19
	v_cmp_gt_i32_e32 vcc, s33, v1
	s_lshl_b64 s[14:15], s[14:15], 2
	v_cndmask_b32_e32 v2, v7, v2, vcc
	s_add_u32 s17, s12, s14
	v_ashrrev_i32_e32 v3, 31, v2
	s_addc_u32 s18, s13, s15
	v_lshlrev_b64 v[2:3], 2, v[2:3]
	v_mov_b32_e32 v4, s18
	v_add_co_u32_e32 v2, vcc, s17, v2
	v_addc_co_u32_e32 v3, vcc, v4, v3, vcc
	v_or_b32_e32 v4, 16, v1
	v_add_u32_e32 v5, v4, v6
	v_ashrrev_i32_e32 v5, 5, v5
	v_cmp_gt_i32_e32 vcc, s33, v4
	v_cndmask_b32_e32 v4, v7, v5, vcc
	v_ashrrev_i32_e32 v5, 31, v4
	v_lshlrev_b64 v[4:5], 2, v[4:5]
	v_mov_b32_e32 v9, s18
	v_add_co_u32_e32 v8, vcc, s17, v4
	v_or_b32_e32 v4, 32, v1
	v_addc_co_u32_e32 v9, vcc, v9, v5, vcc
	v_add_u32_e32 v5, v4, v6
	v_ashrrev_i32_e32 v5, 5, v5
	v_cmp_gt_i32_e32 vcc, s33, v4
	v_cndmask_b32_e32 v4, v7, v5, vcc
	v_ashrrev_i32_e32 v5, 31, v4
	v_lshlrev_b64 v[4:5], 2, v[4:5]
	v_mov_b32_e32 v11, s18
	v_add_co_u32_e32 v10, vcc, s17, v4
	v_or_b32_e32 v1, 48, v1
	v_addc_co_u32_e32 v11, vcc, v11, v5, vcc
	v_add_u32_e32 v4, v1, v6
	v_ashrrev_i32_e32 v4, 5, v4
	v_cmp_gt_i32_e32 vcc, s33, v1
	v_cndmask_b32_e32 v4, v7, v4, vcc
	v_ashrrev_i32_e32 v5, 31, v4
	v_lshlrev_b64 v[4:5], 2, v[4:5]
	v_mov_b32_e32 v1, s18
	v_add_co_u32_e32 v12, vcc, s17, v4
	v_addc_co_u32_e32 v13, vcc, v1, v5, vcc
	global_load_dword v7, v[2:3], off
	global_load_dword v6, v[8:9], off
	;; [unrolled: 1-line block ×4, first 2 shown]
	s_andn2_b64 vcc, exec, s[2:3]
	s_cbranch_vccnz .LBB352_8
; %bb.6:
	s_add_u32 s0, s0, s10
	s_addc_u32 s1, s1, s11
	s_load_dword s9, s[0:1], 0x0
	s_branch .LBB352_9
.LBB352_7:
	s_mov_b64 s[12:13], 0
	s_branch .LBB352_2
.LBB352_8:
	s_mov_b32 s9, s6
.LBB352_9:
	s_load_dwordx2 s[12:13], s[4:5], 0x8
	s_load_dwordx4 s[0:3], s[4:5], 0x48
	v_lshrrev_b32_e32 v85, 6, v0
	v_bfe_u32 v1, v0, 4, 2
	v_lshl_or_b32 v8, v85, 2, v1
	v_and_b32_e32 v84, 15, v0
	v_lshlrev_b32_e32 v2, 3, v84
	v_cmp_lt_u32_e32 vcc, 8, v8
	s_and_saveexec_b64 s[10:11], vcc
	s_xor_b64 s[10:11], exec, s[10:11]
; %bb.10:
	v_mov_b32_e32 v3, 0
                                        ; implicit-def: $vgpr8
; %bb.11:
	s_or_saveexec_b64 s[14:15], s[10:11]
	s_load_dwordx2 s[10:11], s[4:5], 0x10
	s_mul_i32 s27, s8, 9
	s_xor_b64 exec, exec, s[14:15]
	s_cbranch_execz .LBB352_13
; %bb.12:
	s_load_dwordx2 s[20:21], s[4:5], 0x0
	s_waitcnt lgkmcnt(0)
	s_ashr_i32 s3, s0, 31
	s_mul_hi_u32 s22, s9, s0
	s_mul_i32 s3, s9, s3
	s_add_i32 s23, s22, s3
	s_mul_i32 s22, s9, s0
	s_lshl_b64 s[22:23], s[22:23], 1
	v_add_lshl_u32 v10, v8, s27, 7
	s_add_u32 s0, s20, s22
	v_ashrrev_i32_e32 v11, 31, v10
	s_addc_u32 s3, s21, s23
	v_lshlrev_b64 v[10:11], 1, v[10:11]
	v_mov_b32_e32 v3, s3
	v_add_co_u32_e32 v9, vcc, s0, v10
	v_addc_co_u32_e32 v3, vcc, v3, v11, vcc
	v_lshlrev_b32_e32 v10, 1, v2
	v_add_co_u32_e32 v10, vcc, v9, v10
	v_addc_co_u32_e32 v11, vcc, 0, v3, vcc
	global_load_dwordx4 v[10:13], v[10:11], off
	v_and_b32_e32 v9, 3, v0
	v_lshlrev_b32_e32 v14, 9, v84
	v_lshlrev_b32_e32 v8, 5, v8
	;; [unrolled: 1-line block ×3, first 2 shown]
	v_and_b32_e32 v14, 0x1800, v14
	v_mov_b32_e32 v3, 0
	v_or3_b32 v8, v14, v9, v8
	s_waitcnt vmcnt(0)
	ds_write_b128 v8, v[10:13]
.LBB352_13:
	s_or_b64 exec, exec, s[14:15]
	s_waitcnt lgkmcnt(0)
	s_mul_i32 s2, s8, s2
	s_mov_b32 s3, 0
	s_lshl_b64 s[2:3], s[2:3], 1
	s_add_u32 s0, s12, s2
	s_waitcnt vmcnt(3)
	v_mad_i64_i32 v[8:9], s[8:9], v7, s1, 0
	s_addc_u32 s12, s13, s3
	v_lshlrev_b64 v[8:9], 1, v[8:9]
	v_mov_b32_e32 v7, s12
	v_add_co_u32_e32 v8, vcc, s0, v8
	v_addc_co_u32_e32 v7, vcc, v7, v9, vcc
	v_lshlrev_b64 v[14:15], 1, v[2:3]
	v_add_co_u32_e32 v8, vcc, v8, v14
	v_lshlrev_b32_e32 v12, 9, v1
	v_addc_co_u32_e32 v7, vcc, v7, v15, vcc
	v_add_co_u32_e32 v2, vcc, v8, v12
	v_addc_co_u32_e32 v3, vcc, 0, v7, vcc
	v_or_b32_e32 v10, 0x1000, v12
	s_barrier
	global_load_dwordx4 v[38:41], v[2:3], off
	global_load_dwordx4 v[34:37], v[2:3], off offset:2048
	v_add_co_u32_e32 v2, vcc, v8, v10
	v_addc_co_u32_e32 v3, vcc, 0, v7, vcc
	v_or_b32_e32 v11, 0x1800, v12
	v_add_co_u32_e32 v8, vcc, v8, v11
	v_addc_co_u32_e32 v9, vcc, 0, v7, vcc
	global_load_dwordx4 v[46:49], v[2:3], off
	global_load_dwordx4 v[58:61], v[8:9], off
	s_waitcnt vmcnt(6)
	v_mad_i64_i32 v[2:3], s[8:9], v6, s1, 0
	v_lshlrev_b64 v[2:3], 1, v[2:3]
	v_mov_b32_e32 v6, s12
	v_add_co_u32_e32 v2, vcc, s0, v2
	v_addc_co_u32_e32 v3, vcc, v6, v3, vcc
	v_mov_b32_e32 v6, 0x100
	v_lshl_or_b32 v8, v84, 4, v6
	v_add_co_u32_e32 v6, vcc, v2, v8
	v_addc_co_u32_e32 v7, vcc, 0, v3, vcc
	v_add_co_u32_e32 v2, vcc, v6, v12
	v_addc_co_u32_e32 v3, vcc, 0, v7, vcc
	global_load_dwordx4 v[74:77], v[2:3], off
	global_load_dwordx4 v[70:73], v[2:3], off offset:2048
	v_add_co_u32_e32 v2, vcc, v6, v10
	v_addc_co_u32_e32 v3, vcc, 0, v7, vcc
	v_add_co_u32_e32 v6, vcc, v6, v11
	v_addc_co_u32_e32 v7, vcc, 0, v7, vcc
	global_load_dwordx4 v[78:81], v[2:3], off
	global_load_dwordx4 v[66:69], v[6:7], off
	s_waitcnt vmcnt(9)
	v_mad_i64_i32 v[2:3], s[8:9], v5, s1, 0
	v_lshlrev_b64 v[2:3], 1, v[2:3]
	v_mov_b32_e32 v5, s12
	v_add_co_u32_e32 v2, vcc, s0, v2
	v_addc_co_u32_e32 v3, vcc, v5, v3, vcc
	v_add_co_u32_e32 v5, vcc, v2, v14
	buffer_store_dword v14, off, s[44:47], 0 ; 4-byte Folded Spill
	s_nop 0
	buffer_store_dword v15, off, s[44:47], 0 offset:4 ; 4-byte Folded Spill
	v_and_b32_e32 v94, 63, v0
	v_mov_b32_e32 v87, 0
	v_addc_co_u32_e32 v7, vcc, v3, v15, vcc
	v_add_co_u32_e32 v2, vcc, v5, v12
	v_addc_co_u32_e32 v3, vcc, 0, v7, vcc
	global_load_dwordx4 v[62:65], v[2:3], off
	global_load_dwordx4 v[42:45], v[2:3], off offset:2048
	v_add_co_u32_e32 v2, vcc, v5, v10
	v_addc_co_u32_e32 v3, vcc, 0, v7, vcc
	v_add_co_u32_e32 v6, vcc, v5, v11
	v_addc_co_u32_e32 v7, vcc, 0, v7, vcc
	global_load_dwordx4 v[26:29], v[2:3], off
	global_load_dwordx4 v[18:21], v[6:7], off
	s_waitcnt vmcnt(14)
	v_mad_i64_i32 v[2:3], s[8:9], v4, s1, 0
	v_lshlrev_b64 v[2:3], 1, v[2:3]
	v_mov_b32_e32 v4, s12
	v_add_co_u32_e32 v2, vcc, s0, v2
	v_addc_co_u32_e32 v3, vcc, v4, v3, vcc
	v_add_co_u32_e32 v4, vcc, v2, v8
	v_addc_co_u32_e32 v5, vcc, 0, v3, vcc
	;; [unrolled: 2-line block ×3, first 2 shown]
	global_load_dwordx4 v[14:17], v[2:3], off
	global_load_dwordx4 v[6:9], v[2:3], off offset:2048
	v_add_co_u32_e32 v2, vcc, v4, v10
	v_addc_co_u32_e32 v3, vcc, 0, v5, vcc
	v_add_co_u32_e32 v10, vcc, v4, v11
	v_addc_co_u32_e32 v11, vcc, 0, v5, vcc
	global_load_dwordx4 v[2:5], v[2:3], off
	s_nop 0
	global_load_dwordx4 v[50:53], v[10:11], off
	v_add_u32_e32 v10, -9, v84
	v_cmp_gt_u32_e32 vcc, 9, v84
	v_cndmask_b32_e32 v10, v10, v84, vcc
	v_lshl_add_u32 v54, v10, 5, v12
	ds_read_b128 v[30:33], v54
	ds_read_b128 v[22:25], v54 offset:2048
	ds_read_b128 v[10:13], v54 offset:4096
	;; [unrolled: 1-line block ×3, first 2 shown]
	s_and_saveexec_b64 s[8:9], vcc
	s_cbranch_execz .LBB352_15
; %bb.14:
	s_load_dwordx2 s[12:13], s[4:5], 0x40
	v_add_u32_e32 v82, s27, v84
	v_ashrrev_i32_e32 v83, 31, v82
	v_lshlrev_b64 v[82:83], 2, v[82:83]
	s_waitcnt lgkmcnt(0)
	v_mov_b32_e32 v87, s13
	v_add_co_u32_e32 v82, vcc, s12, v82
	v_addc_co_u32_e32 v83, vcc, v87, v83, vcc
	global_load_dword v87, v[82:83], off
.LBB352_15:
	s_or_b64 exec, exec, s[8:9]
	s_waitcnt vmcnt(17) lgkmcnt(3)
	v_mfma_f32_16x16x16bf16_1k v[88:91], v[38:39], v[30:31], 0
	s_ashr_i32 s0, s16, 31
	s_lshr_b32 s0, s0, 27
	s_add_u32 s2, s10, s2
	s_addc_u32 s3, s11, s3
	s_mov_b32 s40, 0xff7fffff
	v_mfma_f32_16x16x16bf16_1k v[38:41], v[40:41], v[32:33], v[88:91]
	s_waitcnt vmcnt(16) lgkmcnt(2)
	v_mfma_f32_16x16x16bf16_1k v[38:41], v[34:35], v[22:23], v[38:41]
	s_nop 4
	v_lshl_or_b32 v88, v85, 4, v84
	v_mfma_f32_16x16x16bf16_1k v[34:37], v[36:37], v[24:25], v[38:41]
	s_waitcnt vmcnt(15) lgkmcnt(1)
	v_mfma_f32_16x16x16bf16_1k v[34:37], v[46:47], v[10:11], v[34:37]
	v_and_or_b32 v46, v0, 48, s16
	s_nop 3
	v_add_u32_e32 v38, s0, v46
	v_ashrrev_i32_e32 v38, 5, v38
	v_mov_b32_e32 v47, s19
	v_cmp_gt_i32_e32 vcc, s33, v46
	v_cndmask_b32_e32 v38, v47, v38, vcc
	v_ashrrev_i32_e32 v39, 31, v38
	v_mfma_f32_16x16x16bf16_1k v[34:37], v[48:49], v[12:13], v[34:37]
	v_or_b32_e32 v40, 64, v46
	v_add_u32_e32 v41, s0, v40
	v_ashrrev_i32_e32 v41, 5, v41
	v_mov_b32_e32 v48, s18
	s_waitcnt vmcnt(14) lgkmcnt(0)
	v_mfma_f32_16x16x16bf16_1k v[34:37], v[58:59], v[54:55], v[34:37]
	v_mfma_f32_16x16x16bf16_1k v[58:61], v[60:61], v[56:57], v[34:37]
	s_waitcnt vmcnt(13)
	v_mfma_f32_16x16x16bf16_1k v[34:37], v[74:75], v[30:31], 0
	v_mfma_f32_16x16x16bf16_1k v[34:37], v[76:77], v[32:33], v[34:37]
	v_lshlrev_b32_e32 v76, 6, v88
	s_waitcnt vmcnt(12)
	v_mfma_f32_16x16x16bf16_1k v[34:37], v[70:71], v[22:23], v[34:37]
	v_mfma_f32_16x16x16bf16_1k v[34:37], v[72:73], v[24:25], v[34:37]
	s_waitcnt vmcnt(11)
	v_mfma_f32_16x16x16bf16_1k v[34:37], v[78:79], v[10:11], v[34:37]
	v_mfma_f32_16x16x16bf16_1k v[34:37], v[80:81], v[12:13], v[34:37]
	;; [unrolled: 3-line block ×3, first 2 shown]
	s_nop 7
	s_nop 1
	v_lshlrev_b64 v[34:35], 2, v[38:39]
	v_mov_b32_e32 v36, s18
	v_add_co_u32_e32 v38, vcc, s17, v34
	v_addc_co_u32_e32 v39, vcc, v36, v35, vcc
	v_cmp_gt_i32_e32 vcc, s33, v40
	v_cndmask_b32_e32 v40, v47, v41, vcc
	v_ashrrev_i32_e32 v41, 31, v40
	v_lshlrev_b64 v[40:41], 2, v[40:41]
	v_add_co_u32_e32 v40, vcc, s17, v40
	v_addc_co_u32_e32 v41, vcc, v48, v41, vcc
	global_load_dword v48, v[38:39], off
	s_nop 0
	global_load_dword v40, v[40:41], off
	v_or_b32_e32 v38, 0x80, v46
	v_add_u32_e32 v39, s0, v38
	v_ashrrev_i32_e32 v39, 5, v39
	v_cmp_gt_i32_e32 vcc, s33, v38
	v_cndmask_b32_e32 v38, v47, v39, vcc
	v_ashrrev_i32_e32 v39, 31, v38
	v_lshlrev_b64 v[38:39], 2, v[38:39]
	v_mov_b32_e32 v41, s18
	v_add_co_u32_e32 v38, vcc, s17, v38
	v_addc_co_u32_e32 v39, vcc, v41, v39, vcc
	s_waitcnt vmcnt(9)
	v_mfma_f32_16x16x16bf16_1k v[34:37], v[62:63], v[30:31], 0
	global_load_dword v62, v[38:39], off
	v_or_b32_e32 v38, 0xc0, v46
	v_add_u32_e32 v39, s0, v38
	v_ashrrev_i32_e32 v39, 5, v39
	v_cmp_gt_i32_e32 vcc, s33, v38
	v_cndmask_b32_e32 v38, v47, v39, vcc
	v_ashrrev_i32_e32 v39, 31, v38
	v_mfma_f32_16x16x16bf16_1k v[34:37], v[64:65], v[32:33], v[34:37]
	s_load_dword s0, s[4:5], 0x1c
	s_waitcnt lgkmcnt(0)
	v_pk_mul_f32 v[58:59], s[0:1], v[58:59] op_sel_hi:[0,1]
	s_waitcnt vmcnt(9)
	v_mfma_f32_16x16x16bf16_1k v[34:37], v[42:43], v[22:23], v[34:37]
	v_mfma_f32_16x16x16bf16_1k v[34:37], v[44:45], v[24:25], v[34:37]
	s_waitcnt vmcnt(8)
	v_mfma_f32_16x16x16bf16_1k v[34:37], v[26:27], v[10:11], v[34:37]
	v_lshlrev_b64 v[26:27], 2, v[38:39]
	v_mov_b32_e32 v39, s18
	v_add_co_u32_e32 v38, vcc, s17, v26
	v_addc_co_u32_e32 v39, vcc, v39, v27, vcc
	global_load_dword v63, v[38:39], off
	v_mfma_f32_16x16x16bf16_1k v[26:29], v[28:29], v[12:13], v[34:37]
	s_waitcnt vmcnt(8)
	v_mfma_f32_16x16x16bf16_1k v[26:29], v[18:19], v[54:55], v[26:29]
	s_nop 4
	v_and_b32_e32 v34, 16, v0
	v_lshlrev_b32_e32 v34, 1, v34
	v_mov_b32_e32 v18, s3
	v_add_co_u32_e32 v74, vcc, s2, v34
	v_addc_co_u32_e32 v75, vcc, 0, v18, vcc
	v_mfma_f32_16x16x16bf16_1k v[90:93], v[20:21], v[56:57], v[26:29]
	v_add_co_u32_e32 v77, vcc, v74, v76
	v_addc_co_u32_e32 v78, vcc, 0, v75, vcc
	s_waitcnt vmcnt(3)
	v_mad_i64_i32 v[18:19], s[2:3], v48, s1, 0
	v_lshlrev_b64 v[70:71], 1, v[18:19]
	v_mfma_f32_16x16x16bf16_1k v[18:21], v[14:15], v[30:31], 0
	v_add_co_u32_e32 v14, vcc, v77, v70
	v_addc_co_u32_e32 v15, vcc, v78, v71, vcc
	global_load_dwordx4 v[46:49], v[14:15], off
	global_load_dwordx4 v[42:45], v[14:15], off offset:16
	s_waitcnt vmcnt(4)
	v_mad_i64_i32 v[14:15], s[2:3], v40, s1, 0
	v_lshlrev_b64 v[72:73], 1, v[14:15]
	v_mfma_f32_16x16x16bf16_1k v[14:17], v[16:17], v[32:33], v[18:21]
	v_mfma_f32_16x16x16bf16_1k v[14:17], v[6:7], v[22:23], v[14:17]
	s_nop 5
	v_add_co_u32_e32 v18, vcc, v77, v72
	v_addc_co_u32_e32 v19, vcc, v78, v73, vcc
	global_load_dwordx4 v[38:41], v[18:19], off
	global_load_dwordx4 v[34:37], v[18:19], off offset:16
	s_waitcnt vmcnt(5)
	v_mad_i64_i32 v[18:19], s[2:3], v62, s1, 0
	v_lshlrev_b64 v[64:65], 1, v[18:19]
	v_add_co_u32_e32 v6, vcc, v77, v64
	v_addc_co_u32_e32 v7, vcc, v78, v65, vcc
	global_load_dwordx4 v[30:33], v[6:7], off
	global_load_dwordx4 v[26:29], v[6:7], off offset:16
	v_mfma_f32_16x16x16bf16_1k v[6:9], v[8:9], v[24:25], v[14:17]
	v_mfma_f32_16x16x16bf16_1k v[6:9], v[2:3], v[10:11], v[6:9]
	v_or_b32_e32 v2, 0x1000, v76
	s_waitcnt vmcnt(6)
	s_nop 3
	v_mad_i64_i32 v[14:15], s[2:3], v63, s1, 0
	v_mfma_f32_16x16x16bf16_1k v[10:13], v[4:5], v[12:13], v[6:9]
	v_lshlrev_b64 v[62:63], 1, v[14:15]
	v_add_co_u32_e32 v14, vcc, v77, v62
	v_addc_co_u32_e32 v15, vcc, v78, v63, vcc
	v_add_co_u32_e32 v89, vcc, v74, v2
	v_mfma_f32_16x16x16bf16_1k v[80:83], v[50:51], v[54:55], v[10:13]
	v_addc_co_u32_e32 v86, vcc, 0, v75, vcc
	v_pk_mul_f32 v[74:75], s[0:1], v[68:69] op_sel_hi:[0,1]
	v_pk_mul_f32 v[76:77], s[0:1], v[66:67] op_sel_hi:[0,1]
	v_pk_mul_f32 v[78:79], s[0:1], v[60:61] op_sel_hi:[0,1]
	v_add_co_u32_e32 v2, vcc, v89, v70
	v_mfma_f32_16x16x16bf16_1k v[50:53], v[52:53], v[56:57], v[80:83]
	v_addc_co_u32_e32 v3, vcc, v86, v71, vcc
	v_add_co_u32_e32 v70, vcc, v89, v72
	v_addc_co_u32_e32 v71, vcc, v86, v73, vcc
	global_load_dwordx4 v[22:25], v[14:15], off
	global_load_dwordx4 v[18:21], v[14:15], off offset:16
	s_nop 5
	v_pk_mul_f32 v[68:69], s[0:1], v[50:51] op_sel_hi:[0,1]
	v_and_b32_e32 v50, 0xc0, v0
	v_add_u32_e32 v50, s16, v50
	v_lshl_or_b32 v50, v1, 2, v50
	v_or_b32_e32 v51, 1, v50
	v_pk_mul_f32 v[66:67], s[0:1], v[52:53] op_sel_hi:[0,1]
	v_subrev_u32_e32 v52, s33, v51
	v_add_u32_e32 v54, 1, v52
	v_add_u32_e32 v55, 2, v52
	v_cvt_f32_i32_e32 v53, v52
	v_cvt_f32_i32_e32 v54, v54
	;; [unrolled: 1-line block ×3, first 2 shown]
	v_add_u32_e32 v56, 3, v52
	v_fma_f32 v58, v87, v53, v58
	v_fmac_f32_e32 v59, v87, v54
	v_fma_f32 v78, v87, v55, v78
	v_add_u32_e32 v53, 16, v52
	v_add_u32_e32 v54, 17, v52
	;; [unrolled: 1-line block ×3, first 2 shown]
	v_cvt_f32_i32_e32 v56, v56
	v_cvt_f32_i32_e32 v53, v53
	;; [unrolled: 1-line block ×4, first 2 shown]
	v_fmac_f32_e32 v79, v87, v56
	v_add_u32_e32 v56, 19, v52
	v_fma_f32 v76, v87, v53, v76
	v_fmac_f32_e32 v77, v87, v54
	v_fma_f32 v74, v87, v55, v74
	v_add_u32_e32 v53, 32, v52
	v_add_u32_e32 v54, 33, v52
	;; [unrolled: 1-line block ×3, first 2 shown]
	v_cvt_f32_i32_e32 v56, v56
	v_cvt_f32_i32_e32 v53, v53
	;; [unrolled: 1-line block ×4, first 2 shown]
	global_load_dwordx4 v[6:9], v[2:3], off
	s_nop 0
	global_load_dwordx4 v[2:5], v[2:3], off offset:16
	s_nop 0
	global_load_dwordx4 v[14:17], v[70:71], off
	global_load_dwordx4 v[10:13], v[70:71], off offset:16
	v_pk_mul_f32 v[70:71], s[0:1], v[92:93] op_sel_hi:[0,1]
	v_pk_mul_f32 v[72:73], s[0:1], v[90:91] op_sel_hi:[0,1]
	v_fmac_f32_e32 v75, v87, v56
	v_add_u32_e32 v56, 35, v52
	v_fma_f32 v72, v87, v53, v72
	v_fmac_f32_e32 v73, v87, v54
	v_fma_f32 v70, v87, v55, v70
	v_add_u32_e32 v53, 48, v52
	v_add_u32_e32 v54, 49, v52
	v_add_u32_e32 v55, 50, v52
	v_add_u32_e32 v52, 51, v52
	v_cvt_f32_i32_e32 v52, v52
	v_cvt_f32_i32_e32 v53, v53
	;; [unrolled: 1-line block ×3, first 2 shown]
	v_cmp_gt_i32_e64 s[28:29], s33, v50
	v_fmac_f32_e32 v67, v87, v52
	v_mov_b32_e32 v52, 0xff7fffff
	v_cmp_gt_i32_e64 s[30:31], s33, v51
	v_fma_f32 v68, v87, v53, v68
	v_cndmask_b32_e64 v53, v52, v58, s[28:29]
	v_cndmask_b32_e64 v51, v52, v59, s[30:31]
	v_fmac_f32_e32 v69, v87, v54
	v_max3_f32 v51, v53, s40, v51
	v_or_b32_e32 v53, 2, v50
	v_or_b32_e32 v54, 3, v50
	v_cmp_gt_i32_e64 s[34:35], s33, v53
	v_cmp_gt_i32_e64 s[36:37], s33, v54
	v_cndmask_b32_e64 v53, v52, v78, s[34:35]
	v_cndmask_b32_e64 v54, v52, v79, s[36:37]
	v_max3_f32 v51, v51, v53, v54
	v_or_b32_e32 v53, 16, v50
	v_or_b32_e32 v54, 17, v50
	v_cmp_gt_i32_e64 s[22:23], s33, v53
	v_cmp_gt_i32_e64 s[24:25], s33, v54
	v_cndmask_b32_e64 v53, v52, v76, s[22:23]
	v_cndmask_b32_e64 v54, v52, v77, s[24:25]
	;; [unrolled: 7-line block ×3, first 2 shown]
	v_cvt_f32_i32_e32 v56, v56
	v_max3_f32 v51, v51, v53, v54
	v_or_b32_e32 v53, 32, v50
	v_or_b32_e32 v54, 33, v50
	v_cmp_gt_i32_e64 s[14:15], s33, v53
	v_cmp_gt_i32_e64 s[16:17], s33, v54
	v_cndmask_b32_e64 v53, v52, v72, s[14:15]
	v_cndmask_b32_e64 v54, v52, v73, s[16:17]
	v_max3_f32 v51, v51, v53, v54
	v_or_b32_e32 v53, 34, v50
	v_or_b32_e32 v54, 35, v50
	v_fmac_f32_e32 v71, v87, v56
	v_cmp_gt_i32_e64 s[10:11], s33, v53
	v_cmp_gt_i32_e64 s[12:13], s33, v54
	v_cndmask_b32_e64 v53, v52, v70, s[10:11]
	v_cndmask_b32_e64 v54, v52, v71, s[12:13]
	v_cvt_f32_i32_e32 v55, v55
	v_max3_f32 v51, v51, v53, v54
	v_or_b32_e32 v53, 48, v50
	v_or_b32_e32 v54, 49, v50
	v_cmp_gt_i32_e64 s[2:3], s33, v53
	v_cmp_gt_i32_e64 s[8:9], s33, v54
	v_cndmask_b32_e64 v53, v52, v68, s[2:3]
	v_cndmask_b32_e64 v54, v52, v69, s[8:9]
	v_max3_f32 v51, v51, v53, v54
	v_or_b32_e32 v53, 50, v50
	v_or_b32_e32 v50, 51, v50
	v_fma_f32 v66, v87, v55, v66
	v_cmp_gt_i32_e32 vcc, s33, v53
	v_cmp_gt_i32_e64 s[0:1], s33, v50
	v_cndmask_b32_e32 v53, v52, v66, vcc
	v_cndmask_b32_e64 v50, v52, v67, s[0:1]
	v_max3_f32 v60, v51, v53, v50
	v_mbcnt_lo_u32_b32 v50, -1, 0
	v_mbcnt_hi_u32_b32 v61, -1, v50
	v_and_b32_e32 v50, 64, v61
	v_add_u32_e32 v80, 64, v50
	v_xor_b32_e32 v50, 32, v61
	v_cmp_lt_i32_e64 s[38:39], v50, v80
	v_cndmask_b32_e64 v50, v61, v50, s[38:39]
	v_lshlrev_b32_e32 v82, 2, v50
	ds_bpermute_b32 v81, v82, v60
	v_add_co_u32_e64 v50, s[38:39], v89, v64
	v_addc_co_u32_e64 v51, s[38:39], v86, v65, s[38:39]
	s_waitcnt lgkmcnt(0)
	v_max_f32_e32 v64, v81, v81
	v_max_f32_e32 v64, v60, v64
	v_xor_b32_e32 v60, 16, v61
	v_cmp_lt_i32_e64 s[38:39], v60, v80
	v_cndmask_b32_e64 v60, v61, v60, s[38:39]
	v_lshlrev_b32_e32 v83, 2, v60
	ds_bpermute_b32 v65, v83, v64
	v_add_co_u32_e64 v60, s[38:39], v89, v62
	v_addc_co_u32_e64 v61, s[38:39], v86, v63, s[38:39]
	s_waitcnt lgkmcnt(0)
	v_max_f32_e32 v62, v65, v65
	v_max_f32_e32 v87, v64, v62
	v_sub_f32_e32 v58, v58, v87
	v_mul_f32_e32 v58, 0x3fb8aa3b, v58
	v_exp_f32_e32 v80, v58
	v_sub_f32_e32 v58, v59, v87
	v_mul_f32_e32 v58, 0x3fb8aa3b, v58
	global_load_dwordx4 v[54:57], v[50:51], off
	s_nop 0
	global_load_dwordx4 v[50:53], v[50:51], off offset:16
	v_exp_f32_e32 v81, v58
	global_load_dwordx4 v[62:65], v[60:61], off
	s_nop 0
	global_load_dwordx4 v[58:61], v[60:61], off offset:16
	v_sub_f32_e32 v78, v78, v87
	v_mul_f32_e32 v78, 0x3fb8aa3b, v78
	v_sub_f32_e32 v79, v79, v87
	v_exp_f32_e32 v78, v78
	v_mul_f32_e32 v79, 0x3fb8aa3b, v79
	v_sub_f32_e32 v76, v76, v87
	v_exp_f32_e32 v79, v79
	v_mul_f32_e32 v76, 0x3fb8aa3b, v76
	v_sub_f32_e32 v77, v77, v87
	v_cndmask_b32_e64 v80, 0, v80, s[28:29]
	v_exp_f32_e32 v76, v76
	v_mul_f32_e32 v77, 0x3fb8aa3b, v77
	v_sub_f32_e32 v74, v74, v87
	v_add_f32_e32 v86, 0, v80
	v_cndmask_b32_e64 v81, 0, v81, s[30:31]
	v_exp_f32_e32 v77, v77
	v_mul_f32_e32 v74, 0x3fb8aa3b, v74
	v_sub_f32_e32 v75, v75, v87
	v_add_f32_e32 v86, v86, v81
	;; [unrolled: 5-line block ×10, first 2 shown]
	v_cndmask_b32_e64 v70, 0, v70, s[10:11]
	v_exp_f32_e32 v66, v66
	v_mul_f32_e32 v67, 0x3fb8aa3b, v67
	v_add_f32_e32 v86, v86, v70
	v_cndmask_b32_e64 v71, 0, v71, s[12:13]
	v_exp_f32_e32 v67, v67
	v_add_f32_e32 v86, v86, v71
	v_cndmask_b32_e64 v68, 0, v68, s[2:3]
	v_add_f32_e32 v86, v86, v68
	v_cndmask_b32_e64 v69, 0, v69, s[8:9]
	v_add_f32_e32 v86, v86, v69
	v_cndmask_b32_e32 v66, 0, v66, vcc
	v_add_f32_e32 v86, v86, v66
	v_cndmask_b32_e64 v67, 0, v67, s[0:1]
	v_add_f32_e32 v86, v86, v67
	ds_bpermute_b32 v82, v82, v86
	s_load_dword s9, s[4:5], 0x98
	v_cmp_gt_u32_e64 s[0:1], 16, v94
	s_waitcnt lgkmcnt(0)
	s_barrier
	v_add_f32_e32 v89, v86, v82
	ds_bpermute_b32 v90, v83, v89
	s_waitcnt lgkmcnt(0)
	s_and_saveexec_b64 s[2:3], s[0:1]
	s_cbranch_execz .LBB352_17
; %bb.16:
	v_add_f32_e32 v82, v89, v90
	v_lshlrev_b32_e32 v83, 2, v88
	ds_write2st64_b32 v83, v87, v82 offset1:1
.LBB352_17:
	s_or_b64 exec, exec, s[2:3]
	v_lshlrev_b32_e32 v87, 2, v84
	s_load_dword s8, s[4:5], 0x94
	s_waitcnt lgkmcnt(0)
	s_barrier
	ds_read2_b32 v[82:83], v87 offset1:16
	ds_read2_b32 v[88:89], v87 offset0:32 offset1:48
	ds_read2_b32 v[90:91], v87 offset0:64 offset1:80
	s_movk_i32 s10, 0x7fff
	s_mov_b32 s11, 0x7060302
	s_waitcnt lgkmcnt(2)
	v_max3_f32 v86, v82, s40, v83
	s_waitcnt lgkmcnt(1)
	v_max3_f32 v86, v86, v88, v89
	v_sub_f32_e32 v82, v82, v86
	v_mul_f32_e32 v82, 0x3fb8aa3b, v82
	v_exp_f32_e32 v92, v82
	v_sub_f32_e32 v82, v83, v86
	v_mul_f32_e32 v82, 0x3fb8aa3b, v82
	v_exp_f32_e32 v93, v82
	;; [unrolled: 3-line block ×3, first 2 shown]
	ds_read2_b32 v[82:83], v87 offset0:96 offset1:112
	v_sub_f32_e32 v87, v89, v86
	v_mul_f32_e32 v87, 0x3fb8aa3b, v87
	v_exp_f32_e32 v89, v87
	s_waitcnt lgkmcnt(1)
	v_fma_f32 v87, v92, v90, 0
	v_fmac_f32_e32 v87, v93, v91
	s_waitcnt lgkmcnt(0)
	v_fmac_f32_e32 v87, v88, v82
	v_fmac_f32_e32 v87, v89, v83
	v_add_f32_e32 v82, 0x358637bd, v87
	v_div_scale_f32 v83, s[2:3], v82, v82, 1.0
	v_rcp_f32_e32 v90, v83
	s_mul_i32 s9, s9, 9
	s_barrier
	v_fma_f32 v91, -v83, v90, 1.0
	v_fmac_f32_e32 v90, v91, v90
	v_div_scale_f32 v91, vcc, 1.0, v82, 1.0
	v_mul_f32_e32 v94, v91, v90
	v_fma_f32 v95, -v83, v94, v91
	v_fmac_f32_e32 v94, v95, v90
	v_fma_f32 v83, -v83, v94, v91
	v_div_fmas_f32 v83, v83, v90, v94
	v_cmp_eq_u32_e32 vcc, 1, v85
	v_div_fixup_f32 v82, v83, v82, 1.0
	v_cndmask_b32_e32 v83, v92, v93, vcc
	v_cmp_eq_u32_e32 vcc, 2, v85
	v_cndmask_b32_e32 v83, v83, v88, vcc
	v_cmp_eq_u32_e32 vcc, 3, v85
	v_cndmask_b32_e32 v83, v83, v89, vcc
	v_mul_f32_e32 v82, v83, v82
	v_pk_mul_f32 v[80:81], v[82:83], v[80:81] op_sel_hi:[0,1]
	v_pk_mul_f32 v[78:79], v[82:83], v[78:79] op_sel_hi:[0,1]
	v_bfe_u32 v83, v81, 16, 1
	v_bfe_u32 v88, v80, 16, 1
	v_add3_u32 v80, v80, v88, s10
	v_add3_u32 v81, v81, v83, s10
	v_perm_b32 v80, v81, v80, s11
	v_bfe_u32 v81, v79, 16, 1
	v_bfe_u32 v83, v78, 16, 1
	v_add3_u32 v78, v78, v83, s10
	v_add3_u32 v79, v79, v81, s10
	v_lshlrev_b32_e32 v83, 11, v85
	v_perm_b32 v81, v79, v78, s11
	v_lshlrev_b32_e32 v78, 3, v1
	v_lshlrev_b32_e32 v79, 5, v84
	v_pk_mul_f32 v[76:77], v[82:83], v[76:77] op_sel_hi:[0,1]
	v_or3_b32 v78, v83, v79, v78
	v_pk_mul_f32 v[74:75], v[82:83], v[74:75] op_sel_hi:[0,1]
	v_bfe_u32 v83, v77, 16, 1
	v_bfe_u32 v85, v76, 16, 1
	v_add3_u32 v76, v76, v85, s10
	v_add3_u32 v77, v77, v83, s10
	v_perm_b32 v76, v77, v76, s11
	v_bfe_u32 v77, v75, 16, 1
	v_bfe_u32 v83, v74, 16, 1
	v_add3_u32 v74, v74, v83, s10
	v_add3_u32 v75, v75, v77, s10
	v_pk_mul_f32 v[72:73], v[82:83], v[72:73] op_sel_hi:[0,1]
	v_perm_b32 v77, v75, v74, s11
	v_bfe_u32 v74, v73, 16, 1
	v_bfe_u32 v75, v72, 16, 1
	v_pk_mul_f32 v[70:71], v[82:83], v[70:71] op_sel_hi:[0,1]
	v_add3_u32 v72, v72, v75, s10
	v_add3_u32 v73, v73, v74, s10
	v_perm_b32 v72, v73, v72, s11
	v_bfe_u32 v73, v71, 16, 1
	v_bfe_u32 v74, v70, 16, 1
	v_add3_u32 v70, v70, v74, s10
	v_add3_u32 v71, v71, v73, s10
	v_pk_mul_f32 v[68:69], v[82:83], v[68:69] op_sel_hi:[0,1]
	v_perm_b32 v73, v71, v70, s11
	v_bfe_u32 v70, v69, 16, 1
	v_bfe_u32 v71, v68, 16, 1
	v_pk_mul_f32 v[66:67], v[82:83], v[66:67] op_sel_hi:[0,1]
	v_add3_u32 v68, v68, v71, s10
	v_add3_u32 v69, v69, v70, s10
	v_perm_b32 v68, v69, v68, s11
	v_bfe_u32 v69, v67, 16, 1
	v_bfe_u32 v70, v66, 16, 1
	v_add3_u32 v66, v66, v70, s10
	v_add3_u32 v67, v67, v69, s10
	v_perm_b32 v69, v67, v66, s11
	v_cmp_gt_u32_e32 vcc, 9, v0
	ds_write2st64_b64 v78, v[80:81], v[76:77] offset1:1
	ds_write2st64_b64 v78, v[72:73], v[68:69] offset0:2 offset1:3
	s_and_saveexec_b64 s[2:3], vcc
	s_cbranch_execz .LBB352_19
; %bb.18:
	v_add_co_u32_e32 v68, vcc, s27, v84
	v_addc_co_u32_e64 v69, s[16:17], 0, 0, vcc
	v_mov_b32_e32 v66, s9
	v_mov_b32_e32 v67, 0
	v_mad_u64_u32 v[68:69], s[16:17], s6, v66, v[68:69]
	v_mov_b32_e32 v66, s26
	s_load_dwordx4 s[12:15], s[4:5], 0x58
	s_mul_i32 s7, s7, s9
	v_mad_u64_u32 v[66:67], s[16:17], v68, s8, v[66:67]
	v_add_u32_e32 v69, s7, v69
	v_mov_b32_e32 v68, v67
	v_mad_u64_u32 v[68:69], s[16:17], v69, s8, v[68:69]
	v_mov_b32_e32 v67, v68
	v_lshlrev_b64 v[66:67], 2, v[66:67]
	s_waitcnt lgkmcnt(0)
	v_mov_b32_e32 v69, s15
	v_add_co_u32_e32 v68, vcc, s14, v66
	v_addc_co_u32_e32 v69, vcc, v69, v67, vcc
	global_store_dword v[68:69], v86, off
	v_mov_b32_e32 v68, s13
	v_add_co_u32_e32 v66, vcc, s12, v66
	v_addc_co_u32_e32 v67, vcc, v68, v67, vcc
	global_store_dword v[66:67], v87, off
.LBB352_19:
	s_or_b64 exec, exec, s[2:3]
	v_lshl_or_b32 v79, v1, 9, v79
	s_waitcnt lgkmcnt(0)
	s_barrier
	ds_read_b128 v[70:73], v79
	ds_read_b128 v[66:69], v79 offset:16
	s_waitcnt vmcnt(15) lgkmcnt(1)
	v_mfma_f32_16x16x16bf16_1k v[74:77], v[46:47], v[70:71], 0
	s_mov_b32 s3, 0
	v_cmp_gt_u32_e32 vcc, 64, v0
	v_mfma_f32_16x16x16bf16_1k v[46:49], v[48:49], v[72:73], v[74:77]
	s_waitcnt vmcnt(14) lgkmcnt(0)
	v_mfma_f32_16x16x16bf16_1k v[46:49], v[42:43], v[66:67], v[46:49]
	v_mfma_f32_16x16x16bf16_1k v[42:45], v[44:45], v[68:69], v[46:49]
	s_nop 7
	s_nop 1
	ds_read_b128 v[46:49], v79 offset:2048
	ds_read_b128 v[74:77], v79 offset:2064
	s_waitcnt vmcnt(13) lgkmcnt(1)
	v_mfma_f32_16x16x16bf16_1k v[42:45], v[38:39], v[46:47], v[42:45]
	v_mfma_f32_16x16x16bf16_1k v[38:41], v[40:41], v[48:49], v[42:45]
	s_waitcnt vmcnt(12) lgkmcnt(0)
	v_mfma_f32_16x16x16bf16_1k v[38:41], v[34:35], v[74:75], v[38:41]
	v_mfma_f32_16x16x16bf16_1k v[34:37], v[36:37], v[76:77], v[38:41]
	s_nop 7
	s_nop 1
	ds_read_b128 v[38:41], v79 offset:4096
	ds_read_b128 v[42:45], v79 offset:4112
	s_waitcnt vmcnt(11) lgkmcnt(1)
	v_mfma_f32_16x16x16bf16_1k v[34:37], v[30:31], v[38:39], v[34:37]
	v_mfma_f32_16x16x16bf16_1k v[30:33], v[32:33], v[40:41], v[34:37]
	s_waitcnt vmcnt(10) lgkmcnt(0)
	v_mfma_f32_16x16x16bf16_1k v[30:33], v[26:27], v[42:43], v[30:33]
	v_mfma_f32_16x16x16bf16_1k v[26:29], v[28:29], v[44:45], v[30:33]
	s_nop 7
	s_nop 1
	ds_read_b128 v[30:33], v79 offset:6144
	ds_read_b128 v[34:37], v79 offset:6160
	s_waitcnt lgkmcnt(0)
	s_barrier
	s_waitcnt vmcnt(9)
	v_mfma_f32_16x16x16bf16_1k v[26:29], v[22:23], v[30:31], v[26:29]
	v_mfma_f32_16x16x16bf16_1k v[22:25], v[24:25], v[32:33], v[26:29]
	s_waitcnt vmcnt(8)
	v_mfma_f32_16x16x16bf16_1k v[22:25], v[18:19], v[34:35], v[22:25]
	v_mfma_f32_16x16x16bf16_1k v[18:21], v[20:21], v[36:37], v[22:25]
	;; [unrolled: 3-line block ×4, first 2 shown]
	s_waitcnt vmcnt(5)
	v_mfma_f32_16x16x16bf16_1k v[2:5], v[14:15], v[46:47], v[2:5]
	s_nop 7
	v_bfe_u32 v6, v19, 16, 1
	v_bfe_u32 v7, v18, 16, 1
	v_add3_u32 v7, v18, v7, s10
	v_add3_u32 v6, v19, v6, s10
	v_perm_b32 v6, v6, v7, s11
	v_bfe_u32 v7, v21, 16, 1
	v_bfe_u32 v8, v20, 16, 1
	v_mfma_f32_16x16x16bf16_1k v[2:5], v[16:17], v[48:49], v[2:5]
	v_add3_u32 v8, v20, v8, s10
	v_add3_u32 v7, v21, v7, s10
	v_perm_b32 v7, v7, v8, s11
	s_waitcnt vmcnt(4)
	v_mfma_f32_16x16x16bf16_1k v[2:5], v[10:11], v[74:75], v[2:5]
	v_mfma_f32_16x16x16bf16_1k v[2:5], v[12:13], v[76:77], v[2:5]
	s_waitcnt vmcnt(3)
	v_mfma_f32_16x16x16bf16_1k v[2:5], v[54:55], v[38:39], v[2:5]
	v_mfma_f32_16x16x16bf16_1k v[2:5], v[56:57], v[40:41], v[2:5]
	;; [unrolled: 3-line block ×5, first 2 shown]
	s_nop 7
	s_nop 2
	v_bfe_u32 v8, v3, 16, 1
	v_bfe_u32 v9, v2, 16, 1
	v_add3_u32 v2, v2, v9, s10
	v_add3_u32 v3, v3, v8, s10
	v_perm_b32 v2, v3, v2, s11
	v_bfe_u32 v3, v5, 16, 1
	v_bfe_u32 v8, v4, 16, 1
	v_add3_u32 v4, v4, v8, s10
	v_add3_u32 v3, v5, v3, s10
	v_perm_b32 v3, v3, v4, s11
	ds_write2st64_b64 v78, v[6:7], v[2:3] offset1:1
	s_waitcnt lgkmcnt(0)
	s_barrier
	s_and_saveexec_b64 s[10:11], vcc
	s_cbranch_execz .LBB352_22
; %bb.20:
	v_lshlrev_b32_e32 v4, 6, v84
	v_lshlrev_b32_e32 v3, 4, v0
	v_lshl_or_b32 v0, v0, 10, v4
	buffer_load_dword v4, off, s[44:47], 0  ; 4-byte Folded Reload
	buffer_load_dword v5, off, s[44:47], 0 offset:4 ; 4-byte Folded Reload
	s_load_dwordx2 s[10:11], s[4:5], 0x68
	s_lshl_b32 s4, s8, 7
	s_mul_i32 s2, s9, s6
	s_mul_hi_u32 s7, s2, s4
	s_mul_i32 s6, s2, s4
	s_lshl_b64 s[6:7], s[6:7], 1
	s_waitcnt lgkmcnt(0)
	s_add_u32 s5, s10, s6
	s_addc_u32 s6, s11, s7
	s_lshl_b32 s2, s26, 7
	s_lshl_b64 s[2:3], s[2:3], 1
	s_add_u32 s2, s5, s2
	v_lshlrev_b32_e32 v2, 5, v1
	v_and_b32_e32 v3, 16, v3
	v_and_b32_e32 v0, 0x1a00, v0
	s_addc_u32 s3, s6, s3
	v_or3_b32 v0, v0, v2, v3
	v_mov_b32_e32 v3, s3
	v_add_u32_e32 v14, s27, v1
	s_waitcnt vmcnt(1)
	v_add_co_u32_e32 v2, vcc, s2, v4
	s_waitcnt vmcnt(0)
	v_addc_co_u32_e32 v3, vcc, v3, v5, vcc
	ds_read_b128 v[4:7], v0 offset:128
	ds_read_b128 v[8:11], v0
	v_mad_u64_u32 v[12:13], s[2:3], v14, s4, 0
	v_lshlrev_b64 v[12:13], 1, v[12:13]
	v_add_co_u32_e32 v12, vcc, v2, v12
	v_addc_co_u32_e32 v13, vcc, v3, v13, vcc
	s_waitcnt lgkmcnt(0)
	global_store_dwordx4 v[12:13], v[8:11], off
	s_nop 0
	v_add_u32_e32 v8, 4, v14
	v_mad_u64_u32 v[8:9], s[2:3], v8, s4, 0
	v_lshlrev_b64 v[8:9], 1, v[8:9]
	v_add_co_u32_e32 v8, vcc, v2, v8
	v_addc_co_u32_e32 v9, vcc, v3, v9, vcc
	global_store_dwordx4 v[8:9], v[4:7], off
	s_and_b64 exec, exec, s[0:1]
	s_cbranch_execz .LBB352_22
; %bb.21:
	ds_read_b128 v[4:7], v0 offset:256
	v_add3_u32 v0, s27, v1, 8
	v_mad_u64_u32 v[0:1], s[0:1], v0, s4, 0
	v_lshlrev_b64 v[0:1], 1, v[0:1]
	v_add_co_u32_e32 v0, vcc, v2, v0
	v_addc_co_u32_e32 v1, vcc, v3, v1, vcc
	s_waitcnt lgkmcnt(0)
	global_store_dwordx4 v[0:1], v[4:7], off
.LBB352_22:
	s_endpgm
	.section	.rodata,"a",@progbits
	.p2align	6, 0x0
	.amdhsa_kernel _Z39paged_attention_ll4mi_QKV_mfma16_kernelI14__hip_bfloat16S0_LN4vllm18Fp8KVCacheDataTypeE0ES0_Li32ELi128ELi256ELb1ELi9EL8MFMAType0EEvPKT_PKT0_S9_ifPKiSB_SB_iPKfiiiPfSE_PS4_PT2_iSD_SD_
		.amdhsa_group_segment_fixed_size 8192
		.amdhsa_private_segment_fixed_size 12
		.amdhsa_kernarg_size 400
		.amdhsa_user_sgpr_count 6
		.amdhsa_user_sgpr_private_segment_buffer 1
		.amdhsa_user_sgpr_dispatch_ptr 0
		.amdhsa_user_sgpr_queue_ptr 0
		.amdhsa_user_sgpr_kernarg_segment_ptr 1
		.amdhsa_user_sgpr_dispatch_id 0
		.amdhsa_user_sgpr_flat_scratch_init 0
		.amdhsa_user_sgpr_kernarg_preload_length 0
		.amdhsa_user_sgpr_kernarg_preload_offset 0
		.amdhsa_user_sgpr_private_segment_size 0
		.amdhsa_uses_dynamic_stack 0
		.amdhsa_system_sgpr_private_segment_wavefront_offset 1
		.amdhsa_system_sgpr_workgroup_id_x 1
		.amdhsa_system_sgpr_workgroup_id_y 1
		.amdhsa_system_sgpr_workgroup_id_z 1
		.amdhsa_system_sgpr_workgroup_info 0
		.amdhsa_system_vgpr_workitem_id 0
		.amdhsa_next_free_vgpr 96
		.amdhsa_next_free_sgpr 48
		.amdhsa_accum_offset 96
		.amdhsa_reserve_vcc 1
		.amdhsa_reserve_flat_scratch 0
		.amdhsa_float_round_mode_32 0
		.amdhsa_float_round_mode_16_64 0
		.amdhsa_float_denorm_mode_32 3
		.amdhsa_float_denorm_mode_16_64 3
		.amdhsa_dx10_clamp 1
		.amdhsa_ieee_mode 1
		.amdhsa_fp16_overflow 0
		.amdhsa_tg_split 0
		.amdhsa_exception_fp_ieee_invalid_op 0
		.amdhsa_exception_fp_denorm_src 0
		.amdhsa_exception_fp_ieee_div_zero 0
		.amdhsa_exception_fp_ieee_overflow 0
		.amdhsa_exception_fp_ieee_underflow 0
		.amdhsa_exception_fp_ieee_inexact 0
		.amdhsa_exception_int_div_zero 0
	.end_amdhsa_kernel
	.section	.text._Z39paged_attention_ll4mi_QKV_mfma16_kernelI14__hip_bfloat16S0_LN4vllm18Fp8KVCacheDataTypeE0ES0_Li32ELi128ELi256ELb1ELi9EL8MFMAType0EEvPKT_PKT0_S9_ifPKiSB_SB_iPKfiiiPfSE_PS4_PT2_iSD_SD_,"axG",@progbits,_Z39paged_attention_ll4mi_QKV_mfma16_kernelI14__hip_bfloat16S0_LN4vllm18Fp8KVCacheDataTypeE0ES0_Li32ELi128ELi256ELb1ELi9EL8MFMAType0EEvPKT_PKT0_S9_ifPKiSB_SB_iPKfiiiPfSE_PS4_PT2_iSD_SD_,comdat
.Lfunc_end352:
	.size	_Z39paged_attention_ll4mi_QKV_mfma16_kernelI14__hip_bfloat16S0_LN4vllm18Fp8KVCacheDataTypeE0ES0_Li32ELi128ELi256ELb1ELi9EL8MFMAType0EEvPKT_PKT0_S9_ifPKiSB_SB_iPKfiiiPfSE_PS4_PT2_iSD_SD_, .Lfunc_end352-_Z39paged_attention_ll4mi_QKV_mfma16_kernelI14__hip_bfloat16S0_LN4vllm18Fp8KVCacheDataTypeE0ES0_Li32ELi128ELi256ELb1ELi9EL8MFMAType0EEvPKT_PKT0_S9_ifPKiSB_SB_iPKfiiiPfSE_PS4_PT2_iSD_SD_
                                        ; -- End function
	.section	.AMDGPU.csdata,"",@progbits
; Kernel info:
; codeLenInByte = 5420
; NumSgprs: 52
; NumVgprs: 96
; NumAgprs: 0
; TotalNumVgprs: 96
; ScratchSize: 12
; MemoryBound: 0
; FloatMode: 240
; IeeeMode: 1
; LDSByteSize: 8192 bytes/workgroup (compile time only)
; SGPRBlocks: 6
; VGPRBlocks: 11
; NumSGPRsForWavesPerEU: 52
; NumVGPRsForWavesPerEU: 96
; AccumOffset: 96
; Occupancy: 5
; WaveLimiterHint : 1
; COMPUTE_PGM_RSRC2:SCRATCH_EN: 1
; COMPUTE_PGM_RSRC2:USER_SGPR: 6
; COMPUTE_PGM_RSRC2:TRAP_HANDLER: 0
; COMPUTE_PGM_RSRC2:TGID_X_EN: 1
; COMPUTE_PGM_RSRC2:TGID_Y_EN: 1
; COMPUTE_PGM_RSRC2:TGID_Z_EN: 1
; COMPUTE_PGM_RSRC2:TIDIG_COMP_CNT: 0
; COMPUTE_PGM_RSRC3_GFX90A:ACCUM_OFFSET: 23
; COMPUTE_PGM_RSRC3_GFX90A:TG_SPLIT: 0
	.section	.text._Z39paged_attention_ll4mi_QKV_mfma16_kernelI14__hip_bfloat16S0_LN4vllm18Fp8KVCacheDataTypeE0ES0_Li32ELi128ELi256ELb1ELi10EL8MFMAType0EEvPKT_PKT0_S9_ifPKiSB_SB_iPKfiiiPfSE_PS4_PT2_iSD_SD_,"axG",@progbits,_Z39paged_attention_ll4mi_QKV_mfma16_kernelI14__hip_bfloat16S0_LN4vllm18Fp8KVCacheDataTypeE0ES0_Li32ELi128ELi256ELb1ELi10EL8MFMAType0EEvPKT_PKT0_S9_ifPKiSB_SB_iPKfiiiPfSE_PS4_PT2_iSD_SD_,comdat
	.protected	_Z39paged_attention_ll4mi_QKV_mfma16_kernelI14__hip_bfloat16S0_LN4vllm18Fp8KVCacheDataTypeE0ES0_Li32ELi128ELi256ELb1ELi10EL8MFMAType0EEvPKT_PKT0_S9_ifPKiSB_SB_iPKfiiiPfSE_PS4_PT2_iSD_SD_ ; -- Begin function _Z39paged_attention_ll4mi_QKV_mfma16_kernelI14__hip_bfloat16S0_LN4vllm18Fp8KVCacheDataTypeE0ES0_Li32ELi128ELi256ELb1ELi10EL8MFMAType0EEvPKT_PKT0_S9_ifPKiSB_SB_iPKfiiiPfSE_PS4_PT2_iSD_SD_
	.globl	_Z39paged_attention_ll4mi_QKV_mfma16_kernelI14__hip_bfloat16S0_LN4vllm18Fp8KVCacheDataTypeE0ES0_Li32ELi128ELi256ELb1ELi10EL8MFMAType0EEvPKT_PKT0_S9_ifPKiSB_SB_iPKfiiiPfSE_PS4_PT2_iSD_SD_
	.p2align	8
	.type	_Z39paged_attention_ll4mi_QKV_mfma16_kernelI14__hip_bfloat16S0_LN4vllm18Fp8KVCacheDataTypeE0ES0_Li32ELi128ELi256ELb1ELi10EL8MFMAType0EEvPKT_PKT0_S9_ifPKiSB_SB_iPKfiiiPfSE_PS4_PT2_iSD_SD_,@function
_Z39paged_attention_ll4mi_QKV_mfma16_kernelI14__hip_bfloat16S0_LN4vllm18Fp8KVCacheDataTypeE0ES0_Li32ELi128ELi256ELb1ELi10EL8MFMAType0EEvPKT_PKT0_S9_ifPKiSB_SB_iPKfiiiPfSE_PS4_PT2_iSD_SD_: ; @_Z39paged_attention_ll4mi_QKV_mfma16_kernelI14__hip_bfloat16S0_LN4vllm18Fp8KVCacheDataTypeE0ES0_Li32ELi128ELi256ELb1ELi10EL8MFMAType0EEvPKT_PKT0_S9_ifPKiSB_SB_iPKfiiiPfSE_PS4_PT2_iSD_SD_
; %bb.0:
	s_mov_b64 s[46:47], s[2:3]
	s_mov_b64 s[44:45], s[0:1]
	s_load_dwordx2 s[0:1], s[4:5], 0x30
	s_add_u32 s44, s44, s9
	s_addc_u32 s45, s45, 0
	s_mov_b32 s26, s7
	s_mov_b64 s[10:11], 0
	s_waitcnt lgkmcnt(0)
	s_cmp_lg_u64 s[0:1], 0
	s_cselect_b64 s[2:3], -1, 0
	s_and_b64 vcc, exec, s[2:3]
	s_cbranch_vccz .LBB353_7
; %bb.1:
	s_add_i32 s12, s6, 1
	s_mov_b32 s13, 0
	s_lshl_b64 s[14:15], s[12:13], 2
	s_add_u32 s14, s0, s14
	s_mov_b32 s7, s13
	s_addc_u32 s15, s1, s15
	s_lshl_b64 s[12:13], s[6:7], 2
	s_add_u32 s12, s0, s12
	s_addc_u32 s13, s1, s13
	s_load_dword s9, s[14:15], 0x0
	s_load_dword s16, s[12:13], 0x0
	s_waitcnt lgkmcnt(0)
	s_sub_i32 s9, s9, s16
	s_cmp_eq_u32 s9, 1
	s_cselect_b64 s[12:13], -1, 0
	s_andn2_b64 vcc, exec, s[10:11]
	s_cbranch_vccnz .LBB353_3
.LBB353_2:
	s_mov_b32 s7, 0
	s_mov_b64 s[12:13], -1
.LBB353_3:
	s_andn2_b64 vcc, exec, s[12:13]
	s_cbranch_vccnz .LBB353_22
; %bb.4:
	s_load_dwordx2 s[12:13], s[4:5], 0x28
	s_lshl_b64 s[10:11], s[6:7], 2
	s_waitcnt lgkmcnt(0)
	s_add_u32 s12, s12, s10
	s_addc_u32 s13, s13, s11
	s_load_dword s33, s[12:13], 0x0
	s_lshl_b32 s16, s26, 8
	s_waitcnt lgkmcnt(0)
	s_cmp_ge_i32 s16, s33
	s_cbranch_scc1 .LBB353_22
; %bb.5:
	s_add_i32 s14, s33, 31
	s_load_dwordx2 s[12:13], s[4:5], 0x20
	s_load_dword s9, s[4:5], 0x38
	s_ashr_i32 s15, s14, 31
	v_and_b32_e32 v1, 0xcf, v0
	s_lshr_b32 s15, s15, 27
	v_add_u32_e32 v1, s16, v1
	s_add_i32 s14, s14, s15
	v_ashrrev_i32_e32 v2, 31, v1
	s_ashr_i32 s19, s14, 5
	v_lshrrev_b32_e32 v6, 27, v2
	s_add_i32 s19, s19, -1
	v_add_u32_e32 v2, v1, v6
	s_waitcnt lgkmcnt(0)
	s_mul_i32 s14, s6, s9
	s_mov_b32 s15, 0
	v_ashrrev_i32_e32 v2, 5, v2
	v_mov_b32_e32 v7, s19
	v_cmp_gt_i32_e32 vcc, s33, v1
	s_lshl_b64 s[14:15], s[14:15], 2
	v_cndmask_b32_e32 v2, v7, v2, vcc
	s_add_u32 s17, s12, s14
	v_ashrrev_i32_e32 v3, 31, v2
	s_addc_u32 s18, s13, s15
	v_lshlrev_b64 v[2:3], 2, v[2:3]
	v_mov_b32_e32 v4, s18
	v_add_co_u32_e32 v2, vcc, s17, v2
	v_addc_co_u32_e32 v3, vcc, v4, v3, vcc
	v_or_b32_e32 v4, 16, v1
	v_add_u32_e32 v5, v4, v6
	v_ashrrev_i32_e32 v5, 5, v5
	v_cmp_gt_i32_e32 vcc, s33, v4
	v_cndmask_b32_e32 v4, v7, v5, vcc
	v_ashrrev_i32_e32 v5, 31, v4
	v_lshlrev_b64 v[4:5], 2, v[4:5]
	v_mov_b32_e32 v9, s18
	v_add_co_u32_e32 v8, vcc, s17, v4
	v_or_b32_e32 v4, 32, v1
	v_addc_co_u32_e32 v9, vcc, v9, v5, vcc
	v_add_u32_e32 v5, v4, v6
	v_ashrrev_i32_e32 v5, 5, v5
	v_cmp_gt_i32_e32 vcc, s33, v4
	v_cndmask_b32_e32 v4, v7, v5, vcc
	v_ashrrev_i32_e32 v5, 31, v4
	v_lshlrev_b64 v[4:5], 2, v[4:5]
	v_mov_b32_e32 v11, s18
	v_add_co_u32_e32 v10, vcc, s17, v4
	v_or_b32_e32 v1, 48, v1
	v_addc_co_u32_e32 v11, vcc, v11, v5, vcc
	v_add_u32_e32 v4, v1, v6
	v_ashrrev_i32_e32 v4, 5, v4
	v_cmp_gt_i32_e32 vcc, s33, v1
	v_cndmask_b32_e32 v4, v7, v4, vcc
	v_ashrrev_i32_e32 v5, 31, v4
	v_lshlrev_b64 v[4:5], 2, v[4:5]
	v_mov_b32_e32 v1, s18
	v_add_co_u32_e32 v12, vcc, s17, v4
	v_addc_co_u32_e32 v13, vcc, v1, v5, vcc
	global_load_dword v7, v[2:3], off
	global_load_dword v6, v[8:9], off
	;; [unrolled: 1-line block ×4, first 2 shown]
	s_andn2_b64 vcc, exec, s[2:3]
	s_cbranch_vccnz .LBB353_8
; %bb.6:
	s_add_u32 s0, s0, s10
	s_addc_u32 s1, s1, s11
	s_load_dword s9, s[0:1], 0x0
	s_branch .LBB353_9
.LBB353_7:
	s_mov_b64 s[12:13], 0
	s_branch .LBB353_2
.LBB353_8:
	s_mov_b32 s9, s6
.LBB353_9:
	s_load_dwordx2 s[12:13], s[4:5], 0x8
	s_load_dwordx4 s[0:3], s[4:5], 0x48
	v_lshrrev_b32_e32 v85, 6, v0
	v_bfe_u32 v1, v0, 4, 2
	v_lshl_or_b32 v8, v85, 2, v1
	v_and_b32_e32 v84, 15, v0
	v_lshlrev_b32_e32 v2, 3, v84
	v_cmp_lt_u32_e32 vcc, 9, v8
	s_and_saveexec_b64 s[10:11], vcc
	s_xor_b64 s[10:11], exec, s[10:11]
; %bb.10:
	v_mov_b32_e32 v3, 0
                                        ; implicit-def: $vgpr8
; %bb.11:
	s_or_saveexec_b64 s[14:15], s[10:11]
	s_load_dwordx2 s[10:11], s[4:5], 0x10
	s_mul_i32 s27, s8, 10
	s_xor_b64 exec, exec, s[14:15]
	s_cbranch_execz .LBB353_13
; %bb.12:
	s_load_dwordx2 s[20:21], s[4:5], 0x0
	s_waitcnt lgkmcnt(0)
	s_ashr_i32 s3, s0, 31
	s_mul_hi_u32 s22, s9, s0
	s_mul_i32 s3, s9, s3
	s_add_i32 s23, s22, s3
	s_mul_i32 s22, s9, s0
	s_lshl_b64 s[22:23], s[22:23], 1
	v_add_lshl_u32 v10, v8, s27, 7
	s_add_u32 s0, s20, s22
	v_ashrrev_i32_e32 v11, 31, v10
	s_addc_u32 s3, s21, s23
	v_lshlrev_b64 v[10:11], 1, v[10:11]
	v_mov_b32_e32 v3, s3
	v_add_co_u32_e32 v9, vcc, s0, v10
	v_addc_co_u32_e32 v3, vcc, v3, v11, vcc
	v_lshlrev_b32_e32 v10, 1, v2
	v_add_co_u32_e32 v10, vcc, v9, v10
	v_addc_co_u32_e32 v11, vcc, 0, v3, vcc
	global_load_dwordx4 v[10:13], v[10:11], off
	v_and_b32_e32 v9, 3, v0
	v_lshlrev_b32_e32 v14, 9, v84
	v_lshlrev_b32_e32 v8, 5, v8
	;; [unrolled: 1-line block ×3, first 2 shown]
	v_and_b32_e32 v14, 0x1800, v14
	v_mov_b32_e32 v3, 0
	v_or3_b32 v8, v14, v9, v8
	s_waitcnt vmcnt(0)
	ds_write_b128 v8, v[10:13]
.LBB353_13:
	s_or_b64 exec, exec, s[14:15]
	s_waitcnt lgkmcnt(0)
	s_mul_i32 s2, s8, s2
	s_mov_b32 s3, 0
	s_lshl_b64 s[2:3], s[2:3], 1
	s_add_u32 s0, s12, s2
	s_waitcnt vmcnt(3)
	v_mad_i64_i32 v[8:9], s[8:9], v7, s1, 0
	s_addc_u32 s12, s13, s3
	v_lshlrev_b64 v[8:9], 1, v[8:9]
	v_mov_b32_e32 v7, s12
	v_add_co_u32_e32 v8, vcc, s0, v8
	v_addc_co_u32_e32 v7, vcc, v7, v9, vcc
	v_lshlrev_b64 v[14:15], 1, v[2:3]
	v_add_co_u32_e32 v8, vcc, v8, v14
	v_lshlrev_b32_e32 v12, 9, v1
	v_addc_co_u32_e32 v7, vcc, v7, v15, vcc
	v_add_co_u32_e32 v2, vcc, v8, v12
	v_addc_co_u32_e32 v3, vcc, 0, v7, vcc
	v_or_b32_e32 v10, 0x1000, v12
	s_barrier
	global_load_dwordx4 v[38:41], v[2:3], off
	global_load_dwordx4 v[34:37], v[2:3], off offset:2048
	v_add_co_u32_e32 v2, vcc, v8, v10
	v_addc_co_u32_e32 v3, vcc, 0, v7, vcc
	v_or_b32_e32 v11, 0x1800, v12
	v_add_co_u32_e32 v8, vcc, v8, v11
	v_addc_co_u32_e32 v9, vcc, 0, v7, vcc
	global_load_dwordx4 v[46:49], v[2:3], off
	global_load_dwordx4 v[58:61], v[8:9], off
	s_waitcnt vmcnt(6)
	v_mad_i64_i32 v[2:3], s[8:9], v6, s1, 0
	v_lshlrev_b64 v[2:3], 1, v[2:3]
	v_mov_b32_e32 v6, s12
	v_add_co_u32_e32 v2, vcc, s0, v2
	v_addc_co_u32_e32 v3, vcc, v6, v3, vcc
	v_mov_b32_e32 v6, 0x100
	v_lshl_or_b32 v8, v84, 4, v6
	v_add_co_u32_e32 v6, vcc, v2, v8
	v_addc_co_u32_e32 v7, vcc, 0, v3, vcc
	v_add_co_u32_e32 v2, vcc, v6, v12
	v_addc_co_u32_e32 v3, vcc, 0, v7, vcc
	global_load_dwordx4 v[74:77], v[2:3], off
	global_load_dwordx4 v[70:73], v[2:3], off offset:2048
	v_add_co_u32_e32 v2, vcc, v6, v10
	v_addc_co_u32_e32 v3, vcc, 0, v7, vcc
	v_add_co_u32_e32 v6, vcc, v6, v11
	v_addc_co_u32_e32 v7, vcc, 0, v7, vcc
	global_load_dwordx4 v[78:81], v[2:3], off
	global_load_dwordx4 v[66:69], v[6:7], off
	s_waitcnt vmcnt(9)
	v_mad_i64_i32 v[2:3], s[8:9], v5, s1, 0
	v_lshlrev_b64 v[2:3], 1, v[2:3]
	v_mov_b32_e32 v5, s12
	v_add_co_u32_e32 v2, vcc, s0, v2
	v_addc_co_u32_e32 v3, vcc, v5, v3, vcc
	v_add_co_u32_e32 v5, vcc, v2, v14
	buffer_store_dword v14, off, s[44:47], 0 ; 4-byte Folded Spill
	s_nop 0
	buffer_store_dword v15, off, s[44:47], 0 offset:4 ; 4-byte Folded Spill
	v_and_b32_e32 v94, 63, v0
	v_mov_b32_e32 v87, 0
	v_addc_co_u32_e32 v7, vcc, v3, v15, vcc
	v_add_co_u32_e32 v2, vcc, v5, v12
	v_addc_co_u32_e32 v3, vcc, 0, v7, vcc
	global_load_dwordx4 v[62:65], v[2:3], off
	global_load_dwordx4 v[42:45], v[2:3], off offset:2048
	v_add_co_u32_e32 v2, vcc, v5, v10
	v_addc_co_u32_e32 v3, vcc, 0, v7, vcc
	v_add_co_u32_e32 v6, vcc, v5, v11
	v_addc_co_u32_e32 v7, vcc, 0, v7, vcc
	global_load_dwordx4 v[26:29], v[2:3], off
	global_load_dwordx4 v[18:21], v[6:7], off
	s_waitcnt vmcnt(14)
	v_mad_i64_i32 v[2:3], s[8:9], v4, s1, 0
	v_lshlrev_b64 v[2:3], 1, v[2:3]
	v_mov_b32_e32 v4, s12
	v_add_co_u32_e32 v2, vcc, s0, v2
	v_addc_co_u32_e32 v3, vcc, v4, v3, vcc
	v_add_co_u32_e32 v4, vcc, v2, v8
	v_addc_co_u32_e32 v5, vcc, 0, v3, vcc
	;; [unrolled: 2-line block ×3, first 2 shown]
	global_load_dwordx4 v[14:17], v[2:3], off
	global_load_dwordx4 v[6:9], v[2:3], off offset:2048
	v_add_co_u32_e32 v2, vcc, v4, v10
	v_addc_co_u32_e32 v3, vcc, 0, v5, vcc
	v_add_co_u32_e32 v10, vcc, v4, v11
	v_addc_co_u32_e32 v11, vcc, 0, v5, vcc
	global_load_dwordx4 v[2:5], v[2:3], off
	s_nop 0
	global_load_dwordx4 v[50:53], v[10:11], off
	v_add_u32_e32 v10, -10, v84
	v_cmp_gt_u32_e32 vcc, 10, v84
	v_cndmask_b32_e32 v10, v10, v84, vcc
	v_lshl_add_u32 v54, v10, 5, v12
	ds_read_b128 v[30:33], v54
	ds_read_b128 v[22:25], v54 offset:2048
	ds_read_b128 v[10:13], v54 offset:4096
	;; [unrolled: 1-line block ×3, first 2 shown]
	s_and_saveexec_b64 s[8:9], vcc
	s_cbranch_execz .LBB353_15
; %bb.14:
	s_load_dwordx2 s[12:13], s[4:5], 0x40
	v_add_u32_e32 v82, s27, v84
	v_ashrrev_i32_e32 v83, 31, v82
	v_lshlrev_b64 v[82:83], 2, v[82:83]
	s_waitcnt lgkmcnt(0)
	v_mov_b32_e32 v87, s13
	v_add_co_u32_e32 v82, vcc, s12, v82
	v_addc_co_u32_e32 v83, vcc, v87, v83, vcc
	global_load_dword v87, v[82:83], off
.LBB353_15:
	s_or_b64 exec, exec, s[8:9]
	s_waitcnt vmcnt(17) lgkmcnt(3)
	v_mfma_f32_16x16x16bf16_1k v[88:91], v[38:39], v[30:31], 0
	s_ashr_i32 s0, s16, 31
	s_lshr_b32 s0, s0, 27
	s_add_u32 s2, s10, s2
	s_addc_u32 s3, s11, s3
	s_mov_b32 s40, 0xff7fffff
	v_mfma_f32_16x16x16bf16_1k v[38:41], v[40:41], v[32:33], v[88:91]
	s_waitcnt vmcnt(16) lgkmcnt(2)
	v_mfma_f32_16x16x16bf16_1k v[38:41], v[34:35], v[22:23], v[38:41]
	s_nop 4
	v_lshl_or_b32 v88, v85, 4, v84
	v_mfma_f32_16x16x16bf16_1k v[34:37], v[36:37], v[24:25], v[38:41]
	s_waitcnt vmcnt(15) lgkmcnt(1)
	v_mfma_f32_16x16x16bf16_1k v[34:37], v[46:47], v[10:11], v[34:37]
	v_and_or_b32 v46, v0, 48, s16
	s_nop 3
	v_add_u32_e32 v38, s0, v46
	v_ashrrev_i32_e32 v38, 5, v38
	v_mov_b32_e32 v47, s19
	v_cmp_gt_i32_e32 vcc, s33, v46
	v_cndmask_b32_e32 v38, v47, v38, vcc
	v_ashrrev_i32_e32 v39, 31, v38
	v_mfma_f32_16x16x16bf16_1k v[34:37], v[48:49], v[12:13], v[34:37]
	v_or_b32_e32 v40, 64, v46
	v_add_u32_e32 v41, s0, v40
	v_ashrrev_i32_e32 v41, 5, v41
	v_mov_b32_e32 v48, s18
	s_waitcnt vmcnt(14) lgkmcnt(0)
	v_mfma_f32_16x16x16bf16_1k v[34:37], v[58:59], v[54:55], v[34:37]
	v_mfma_f32_16x16x16bf16_1k v[58:61], v[60:61], v[56:57], v[34:37]
	s_waitcnt vmcnt(13)
	v_mfma_f32_16x16x16bf16_1k v[34:37], v[74:75], v[30:31], 0
	v_mfma_f32_16x16x16bf16_1k v[34:37], v[76:77], v[32:33], v[34:37]
	v_lshlrev_b32_e32 v76, 6, v88
	s_waitcnt vmcnt(12)
	v_mfma_f32_16x16x16bf16_1k v[34:37], v[70:71], v[22:23], v[34:37]
	v_mfma_f32_16x16x16bf16_1k v[34:37], v[72:73], v[24:25], v[34:37]
	s_waitcnt vmcnt(11)
	v_mfma_f32_16x16x16bf16_1k v[34:37], v[78:79], v[10:11], v[34:37]
	v_mfma_f32_16x16x16bf16_1k v[34:37], v[80:81], v[12:13], v[34:37]
	;; [unrolled: 3-line block ×3, first 2 shown]
	s_nop 7
	s_nop 1
	v_lshlrev_b64 v[34:35], 2, v[38:39]
	v_mov_b32_e32 v36, s18
	v_add_co_u32_e32 v38, vcc, s17, v34
	v_addc_co_u32_e32 v39, vcc, v36, v35, vcc
	v_cmp_gt_i32_e32 vcc, s33, v40
	v_cndmask_b32_e32 v40, v47, v41, vcc
	v_ashrrev_i32_e32 v41, 31, v40
	v_lshlrev_b64 v[40:41], 2, v[40:41]
	v_add_co_u32_e32 v40, vcc, s17, v40
	v_addc_co_u32_e32 v41, vcc, v48, v41, vcc
	global_load_dword v48, v[38:39], off
	s_nop 0
	global_load_dword v40, v[40:41], off
	v_or_b32_e32 v38, 0x80, v46
	v_add_u32_e32 v39, s0, v38
	v_ashrrev_i32_e32 v39, 5, v39
	v_cmp_gt_i32_e32 vcc, s33, v38
	v_cndmask_b32_e32 v38, v47, v39, vcc
	v_ashrrev_i32_e32 v39, 31, v38
	v_lshlrev_b64 v[38:39], 2, v[38:39]
	v_mov_b32_e32 v41, s18
	v_add_co_u32_e32 v38, vcc, s17, v38
	v_addc_co_u32_e32 v39, vcc, v41, v39, vcc
	s_waitcnt vmcnt(9)
	v_mfma_f32_16x16x16bf16_1k v[34:37], v[62:63], v[30:31], 0
	global_load_dword v62, v[38:39], off
	v_or_b32_e32 v38, 0xc0, v46
	v_add_u32_e32 v39, s0, v38
	v_ashrrev_i32_e32 v39, 5, v39
	v_cmp_gt_i32_e32 vcc, s33, v38
	v_cndmask_b32_e32 v38, v47, v39, vcc
	v_ashrrev_i32_e32 v39, 31, v38
	v_mfma_f32_16x16x16bf16_1k v[34:37], v[64:65], v[32:33], v[34:37]
	s_load_dword s0, s[4:5], 0x1c
	s_waitcnt lgkmcnt(0)
	v_pk_mul_f32 v[58:59], s[0:1], v[58:59] op_sel_hi:[0,1]
	s_waitcnt vmcnt(9)
	v_mfma_f32_16x16x16bf16_1k v[34:37], v[42:43], v[22:23], v[34:37]
	v_mfma_f32_16x16x16bf16_1k v[34:37], v[44:45], v[24:25], v[34:37]
	s_waitcnt vmcnt(8)
	v_mfma_f32_16x16x16bf16_1k v[34:37], v[26:27], v[10:11], v[34:37]
	v_lshlrev_b64 v[26:27], 2, v[38:39]
	v_mov_b32_e32 v39, s18
	v_add_co_u32_e32 v38, vcc, s17, v26
	v_addc_co_u32_e32 v39, vcc, v39, v27, vcc
	global_load_dword v63, v[38:39], off
	v_mfma_f32_16x16x16bf16_1k v[26:29], v[28:29], v[12:13], v[34:37]
	s_waitcnt vmcnt(8)
	v_mfma_f32_16x16x16bf16_1k v[26:29], v[18:19], v[54:55], v[26:29]
	s_nop 4
	v_and_b32_e32 v34, 16, v0
	v_lshlrev_b32_e32 v34, 1, v34
	v_mov_b32_e32 v18, s3
	v_add_co_u32_e32 v74, vcc, s2, v34
	v_addc_co_u32_e32 v75, vcc, 0, v18, vcc
	v_mfma_f32_16x16x16bf16_1k v[90:93], v[20:21], v[56:57], v[26:29]
	v_add_co_u32_e32 v77, vcc, v74, v76
	v_addc_co_u32_e32 v78, vcc, 0, v75, vcc
	s_waitcnt vmcnt(3)
	v_mad_i64_i32 v[18:19], s[2:3], v48, s1, 0
	v_lshlrev_b64 v[70:71], 1, v[18:19]
	v_mfma_f32_16x16x16bf16_1k v[18:21], v[14:15], v[30:31], 0
	v_add_co_u32_e32 v14, vcc, v77, v70
	v_addc_co_u32_e32 v15, vcc, v78, v71, vcc
	global_load_dwordx4 v[46:49], v[14:15], off
	global_load_dwordx4 v[42:45], v[14:15], off offset:16
	s_waitcnt vmcnt(4)
	v_mad_i64_i32 v[14:15], s[2:3], v40, s1, 0
	v_lshlrev_b64 v[72:73], 1, v[14:15]
	v_mfma_f32_16x16x16bf16_1k v[14:17], v[16:17], v[32:33], v[18:21]
	v_mfma_f32_16x16x16bf16_1k v[14:17], v[6:7], v[22:23], v[14:17]
	s_nop 5
	v_add_co_u32_e32 v18, vcc, v77, v72
	v_addc_co_u32_e32 v19, vcc, v78, v73, vcc
	global_load_dwordx4 v[38:41], v[18:19], off
	global_load_dwordx4 v[34:37], v[18:19], off offset:16
	s_waitcnt vmcnt(5)
	v_mad_i64_i32 v[18:19], s[2:3], v62, s1, 0
	v_lshlrev_b64 v[64:65], 1, v[18:19]
	v_add_co_u32_e32 v6, vcc, v77, v64
	v_addc_co_u32_e32 v7, vcc, v78, v65, vcc
	global_load_dwordx4 v[30:33], v[6:7], off
	global_load_dwordx4 v[26:29], v[6:7], off offset:16
	v_mfma_f32_16x16x16bf16_1k v[6:9], v[8:9], v[24:25], v[14:17]
	v_mfma_f32_16x16x16bf16_1k v[6:9], v[2:3], v[10:11], v[6:9]
	v_or_b32_e32 v2, 0x1000, v76
	s_waitcnt vmcnt(6)
	s_nop 3
	v_mad_i64_i32 v[14:15], s[2:3], v63, s1, 0
	v_mfma_f32_16x16x16bf16_1k v[10:13], v[4:5], v[12:13], v[6:9]
	v_lshlrev_b64 v[62:63], 1, v[14:15]
	v_add_co_u32_e32 v14, vcc, v77, v62
	v_addc_co_u32_e32 v15, vcc, v78, v63, vcc
	v_add_co_u32_e32 v89, vcc, v74, v2
	v_mfma_f32_16x16x16bf16_1k v[80:83], v[50:51], v[54:55], v[10:13]
	v_addc_co_u32_e32 v86, vcc, 0, v75, vcc
	v_pk_mul_f32 v[74:75], s[0:1], v[68:69] op_sel_hi:[0,1]
	v_pk_mul_f32 v[76:77], s[0:1], v[66:67] op_sel_hi:[0,1]
	;; [unrolled: 1-line block ×3, first 2 shown]
	v_add_co_u32_e32 v2, vcc, v89, v70
	v_mfma_f32_16x16x16bf16_1k v[50:53], v[52:53], v[56:57], v[80:83]
	v_addc_co_u32_e32 v3, vcc, v86, v71, vcc
	v_add_co_u32_e32 v70, vcc, v89, v72
	v_addc_co_u32_e32 v71, vcc, v86, v73, vcc
	global_load_dwordx4 v[22:25], v[14:15], off
	global_load_dwordx4 v[18:21], v[14:15], off offset:16
	s_nop 5
	v_pk_mul_f32 v[68:69], s[0:1], v[50:51] op_sel_hi:[0,1]
	v_and_b32_e32 v50, 0xc0, v0
	v_add_u32_e32 v50, s16, v50
	v_lshl_or_b32 v50, v1, 2, v50
	v_or_b32_e32 v51, 1, v50
	v_pk_mul_f32 v[66:67], s[0:1], v[52:53] op_sel_hi:[0,1]
	v_subrev_u32_e32 v52, s33, v51
	v_add_u32_e32 v54, 1, v52
	v_add_u32_e32 v55, 2, v52
	v_cvt_f32_i32_e32 v53, v52
	v_cvt_f32_i32_e32 v54, v54
	;; [unrolled: 1-line block ×3, first 2 shown]
	v_add_u32_e32 v56, 3, v52
	v_fma_f32 v58, v87, v53, v58
	v_fmac_f32_e32 v59, v87, v54
	v_fma_f32 v78, v87, v55, v78
	v_add_u32_e32 v53, 16, v52
	v_add_u32_e32 v54, 17, v52
	;; [unrolled: 1-line block ×3, first 2 shown]
	v_cvt_f32_i32_e32 v56, v56
	v_cvt_f32_i32_e32 v53, v53
	;; [unrolled: 1-line block ×4, first 2 shown]
	v_fmac_f32_e32 v79, v87, v56
	v_add_u32_e32 v56, 19, v52
	v_fma_f32 v76, v87, v53, v76
	v_fmac_f32_e32 v77, v87, v54
	v_fma_f32 v74, v87, v55, v74
	v_add_u32_e32 v53, 32, v52
	v_add_u32_e32 v54, 33, v52
	;; [unrolled: 1-line block ×3, first 2 shown]
	v_cvt_f32_i32_e32 v56, v56
	v_cvt_f32_i32_e32 v53, v53
	v_cvt_f32_i32_e32 v54, v54
	v_cvt_f32_i32_e32 v55, v55
	global_load_dwordx4 v[6:9], v[2:3], off
	s_nop 0
	global_load_dwordx4 v[2:5], v[2:3], off offset:16
	s_nop 0
	global_load_dwordx4 v[14:17], v[70:71], off
	global_load_dwordx4 v[10:13], v[70:71], off offset:16
	v_pk_mul_f32 v[70:71], s[0:1], v[92:93] op_sel_hi:[0,1]
	v_pk_mul_f32 v[72:73], s[0:1], v[90:91] op_sel_hi:[0,1]
	v_fmac_f32_e32 v75, v87, v56
	v_add_u32_e32 v56, 35, v52
	v_fma_f32 v72, v87, v53, v72
	v_fmac_f32_e32 v73, v87, v54
	v_fma_f32 v70, v87, v55, v70
	v_add_u32_e32 v53, 48, v52
	v_add_u32_e32 v54, 49, v52
	;; [unrolled: 1-line block ×4, first 2 shown]
	v_cvt_f32_i32_e32 v52, v52
	v_cvt_f32_i32_e32 v53, v53
	;; [unrolled: 1-line block ×3, first 2 shown]
	v_cmp_gt_i32_e64 s[28:29], s33, v50
	v_fmac_f32_e32 v67, v87, v52
	v_mov_b32_e32 v52, 0xff7fffff
	v_cmp_gt_i32_e64 s[30:31], s33, v51
	v_fma_f32 v68, v87, v53, v68
	v_cndmask_b32_e64 v53, v52, v58, s[28:29]
	v_cndmask_b32_e64 v51, v52, v59, s[30:31]
	v_fmac_f32_e32 v69, v87, v54
	v_max3_f32 v51, v53, s40, v51
	v_or_b32_e32 v53, 2, v50
	v_or_b32_e32 v54, 3, v50
	v_cmp_gt_i32_e64 s[34:35], s33, v53
	v_cmp_gt_i32_e64 s[36:37], s33, v54
	v_cndmask_b32_e64 v53, v52, v78, s[34:35]
	v_cndmask_b32_e64 v54, v52, v79, s[36:37]
	v_max3_f32 v51, v51, v53, v54
	v_or_b32_e32 v53, 16, v50
	v_or_b32_e32 v54, 17, v50
	v_cmp_gt_i32_e64 s[22:23], s33, v53
	v_cmp_gt_i32_e64 s[24:25], s33, v54
	v_cndmask_b32_e64 v53, v52, v76, s[22:23]
	v_cndmask_b32_e64 v54, v52, v77, s[24:25]
	;; [unrolled: 7-line block ×3, first 2 shown]
	v_cvt_f32_i32_e32 v56, v56
	v_max3_f32 v51, v51, v53, v54
	v_or_b32_e32 v53, 32, v50
	v_or_b32_e32 v54, 33, v50
	v_cmp_gt_i32_e64 s[14:15], s33, v53
	v_cmp_gt_i32_e64 s[16:17], s33, v54
	v_cndmask_b32_e64 v53, v52, v72, s[14:15]
	v_cndmask_b32_e64 v54, v52, v73, s[16:17]
	v_max3_f32 v51, v51, v53, v54
	v_or_b32_e32 v53, 34, v50
	v_or_b32_e32 v54, 35, v50
	v_fmac_f32_e32 v71, v87, v56
	v_cmp_gt_i32_e64 s[10:11], s33, v53
	v_cmp_gt_i32_e64 s[12:13], s33, v54
	v_cndmask_b32_e64 v53, v52, v70, s[10:11]
	v_cndmask_b32_e64 v54, v52, v71, s[12:13]
	v_cvt_f32_i32_e32 v55, v55
	v_max3_f32 v51, v51, v53, v54
	v_or_b32_e32 v53, 48, v50
	v_or_b32_e32 v54, 49, v50
	v_cmp_gt_i32_e64 s[2:3], s33, v53
	v_cmp_gt_i32_e64 s[8:9], s33, v54
	v_cndmask_b32_e64 v53, v52, v68, s[2:3]
	v_cndmask_b32_e64 v54, v52, v69, s[8:9]
	v_max3_f32 v51, v51, v53, v54
	v_or_b32_e32 v53, 50, v50
	v_or_b32_e32 v50, 51, v50
	v_fma_f32 v66, v87, v55, v66
	v_cmp_gt_i32_e32 vcc, s33, v53
	v_cmp_gt_i32_e64 s[0:1], s33, v50
	v_cndmask_b32_e32 v53, v52, v66, vcc
	v_cndmask_b32_e64 v50, v52, v67, s[0:1]
	v_max3_f32 v60, v51, v53, v50
	v_mbcnt_lo_u32_b32 v50, -1, 0
	v_mbcnt_hi_u32_b32 v61, -1, v50
	v_and_b32_e32 v50, 64, v61
	v_add_u32_e32 v80, 64, v50
	v_xor_b32_e32 v50, 32, v61
	v_cmp_lt_i32_e64 s[38:39], v50, v80
	v_cndmask_b32_e64 v50, v61, v50, s[38:39]
	v_lshlrev_b32_e32 v82, 2, v50
	ds_bpermute_b32 v81, v82, v60
	v_add_co_u32_e64 v50, s[38:39], v89, v64
	v_addc_co_u32_e64 v51, s[38:39], v86, v65, s[38:39]
	s_waitcnt lgkmcnt(0)
	v_max_f32_e32 v64, v81, v81
	v_max_f32_e32 v64, v60, v64
	v_xor_b32_e32 v60, 16, v61
	v_cmp_lt_i32_e64 s[38:39], v60, v80
	v_cndmask_b32_e64 v60, v61, v60, s[38:39]
	v_lshlrev_b32_e32 v83, 2, v60
	ds_bpermute_b32 v65, v83, v64
	v_add_co_u32_e64 v60, s[38:39], v89, v62
	v_addc_co_u32_e64 v61, s[38:39], v86, v63, s[38:39]
	s_waitcnt lgkmcnt(0)
	v_max_f32_e32 v62, v65, v65
	v_max_f32_e32 v87, v64, v62
	v_sub_f32_e32 v58, v58, v87
	v_mul_f32_e32 v58, 0x3fb8aa3b, v58
	v_exp_f32_e32 v80, v58
	v_sub_f32_e32 v58, v59, v87
	v_mul_f32_e32 v58, 0x3fb8aa3b, v58
	global_load_dwordx4 v[54:57], v[50:51], off
	s_nop 0
	global_load_dwordx4 v[50:53], v[50:51], off offset:16
	v_exp_f32_e32 v81, v58
	global_load_dwordx4 v[62:65], v[60:61], off
	s_nop 0
	global_load_dwordx4 v[58:61], v[60:61], off offset:16
	v_sub_f32_e32 v78, v78, v87
	v_mul_f32_e32 v78, 0x3fb8aa3b, v78
	v_sub_f32_e32 v79, v79, v87
	v_exp_f32_e32 v78, v78
	v_mul_f32_e32 v79, 0x3fb8aa3b, v79
	v_sub_f32_e32 v76, v76, v87
	v_exp_f32_e32 v79, v79
	v_mul_f32_e32 v76, 0x3fb8aa3b, v76
	v_sub_f32_e32 v77, v77, v87
	v_cndmask_b32_e64 v80, 0, v80, s[28:29]
	v_exp_f32_e32 v76, v76
	v_mul_f32_e32 v77, 0x3fb8aa3b, v77
	v_sub_f32_e32 v74, v74, v87
	v_add_f32_e32 v86, 0, v80
	v_cndmask_b32_e64 v81, 0, v81, s[30:31]
	v_exp_f32_e32 v77, v77
	v_mul_f32_e32 v74, 0x3fb8aa3b, v74
	v_sub_f32_e32 v75, v75, v87
	v_add_f32_e32 v86, v86, v81
	;; [unrolled: 5-line block ×10, first 2 shown]
	v_cndmask_b32_e64 v70, 0, v70, s[10:11]
	v_exp_f32_e32 v66, v66
	v_mul_f32_e32 v67, 0x3fb8aa3b, v67
	v_add_f32_e32 v86, v86, v70
	v_cndmask_b32_e64 v71, 0, v71, s[12:13]
	v_exp_f32_e32 v67, v67
	v_add_f32_e32 v86, v86, v71
	v_cndmask_b32_e64 v68, 0, v68, s[2:3]
	v_add_f32_e32 v86, v86, v68
	v_cndmask_b32_e64 v69, 0, v69, s[8:9]
	v_add_f32_e32 v86, v86, v69
	v_cndmask_b32_e32 v66, 0, v66, vcc
	v_add_f32_e32 v86, v86, v66
	v_cndmask_b32_e64 v67, 0, v67, s[0:1]
	v_add_f32_e32 v86, v86, v67
	ds_bpermute_b32 v82, v82, v86
	s_load_dword s3, s[4:5], 0x98
	v_cmp_gt_u32_e32 vcc, 16, v94
	s_waitcnt lgkmcnt(0)
	s_barrier
	v_add_f32_e32 v89, v86, v82
	ds_bpermute_b32 v90, v83, v89
	s_waitcnt lgkmcnt(0)
	s_and_saveexec_b64 s[0:1], vcc
	s_cbranch_execz .LBB353_17
; %bb.16:
	v_add_f32_e32 v82, v89, v90
	v_lshlrev_b32_e32 v83, 2, v88
	ds_write2st64_b32 v83, v87, v82 offset1:1
.LBB353_17:
	s_or_b64 exec, exec, s[0:1]
	v_lshlrev_b32_e32 v87, 2, v84
	s_load_dword s2, s[4:5], 0x94
	s_waitcnt lgkmcnt(0)
	s_barrier
	ds_read2_b32 v[82:83], v87 offset1:16
	ds_read2_b32 v[88:89], v87 offset0:32 offset1:48
	ds_read2_b32 v[90:91], v87 offset0:64 offset1:80
	s_movk_i32 s8, 0x7fff
	s_mov_b32 s9, 0x7060302
	s_waitcnt lgkmcnt(2)
	v_max3_f32 v86, v82, s40, v83
	s_waitcnt lgkmcnt(1)
	v_max3_f32 v86, v86, v88, v89
	v_sub_f32_e32 v82, v82, v86
	v_mul_f32_e32 v82, 0x3fb8aa3b, v82
	v_exp_f32_e32 v92, v82
	v_sub_f32_e32 v82, v83, v86
	v_mul_f32_e32 v82, 0x3fb8aa3b, v82
	v_exp_f32_e32 v93, v82
	;; [unrolled: 3-line block ×3, first 2 shown]
	ds_read2_b32 v[82:83], v87 offset0:96 offset1:112
	v_sub_f32_e32 v87, v89, v86
	v_mul_f32_e32 v87, 0x3fb8aa3b, v87
	v_exp_f32_e32 v89, v87
	s_waitcnt lgkmcnt(1)
	v_fma_f32 v87, v92, v90, 0
	v_fmac_f32_e32 v87, v93, v91
	s_waitcnt lgkmcnt(0)
	v_fmac_f32_e32 v87, v88, v82
	v_fmac_f32_e32 v87, v89, v83
	v_add_f32_e32 v82, 0x358637bd, v87
	v_div_scale_f32 v83, s[0:1], v82, v82, 1.0
	v_rcp_f32_e32 v90, v83
	s_mul_i32 s3, s3, 10
	s_barrier
	v_fma_f32 v91, -v83, v90, 1.0
	v_fmac_f32_e32 v90, v91, v90
	v_div_scale_f32 v91, vcc, 1.0, v82, 1.0
	v_mul_f32_e32 v94, v91, v90
	v_fma_f32 v95, -v83, v94, v91
	v_fmac_f32_e32 v94, v95, v90
	v_fma_f32 v83, -v83, v94, v91
	v_div_fmas_f32 v83, v83, v90, v94
	v_cmp_eq_u32_e32 vcc, 1, v85
	v_div_fixup_f32 v82, v83, v82, 1.0
	v_cndmask_b32_e32 v83, v92, v93, vcc
	v_cmp_eq_u32_e32 vcc, 2, v85
	v_cndmask_b32_e32 v83, v83, v88, vcc
	v_cmp_eq_u32_e32 vcc, 3, v85
	v_cndmask_b32_e32 v83, v83, v89, vcc
	v_mul_f32_e32 v82, v83, v82
	v_pk_mul_f32 v[80:81], v[82:83], v[80:81] op_sel_hi:[0,1]
	v_pk_mul_f32 v[78:79], v[82:83], v[78:79] op_sel_hi:[0,1]
	v_bfe_u32 v83, v81, 16, 1
	v_bfe_u32 v88, v80, 16, 1
	v_add3_u32 v80, v80, v88, s8
	v_add3_u32 v81, v81, v83, s8
	v_perm_b32 v80, v81, v80, s9
	v_bfe_u32 v81, v79, 16, 1
	v_bfe_u32 v83, v78, 16, 1
	v_add3_u32 v78, v78, v83, s8
	v_add3_u32 v79, v79, v81, s8
	v_lshlrev_b32_e32 v83, 11, v85
	v_perm_b32 v81, v79, v78, s9
	v_lshlrev_b32_e32 v78, 3, v1
	v_lshlrev_b32_e32 v79, 5, v84
	v_pk_mul_f32 v[76:77], v[82:83], v[76:77] op_sel_hi:[0,1]
	v_or3_b32 v78, v83, v79, v78
	v_pk_mul_f32 v[74:75], v[82:83], v[74:75] op_sel_hi:[0,1]
	v_bfe_u32 v83, v77, 16, 1
	v_bfe_u32 v85, v76, 16, 1
	v_add3_u32 v76, v76, v85, s8
	v_add3_u32 v77, v77, v83, s8
	v_perm_b32 v76, v77, v76, s9
	v_bfe_u32 v77, v75, 16, 1
	v_bfe_u32 v83, v74, 16, 1
	v_add3_u32 v74, v74, v83, s8
	v_add3_u32 v75, v75, v77, s8
	v_pk_mul_f32 v[72:73], v[82:83], v[72:73] op_sel_hi:[0,1]
	v_perm_b32 v77, v75, v74, s9
	v_bfe_u32 v74, v73, 16, 1
	v_bfe_u32 v75, v72, 16, 1
	v_pk_mul_f32 v[70:71], v[82:83], v[70:71] op_sel_hi:[0,1]
	v_add3_u32 v72, v72, v75, s8
	v_add3_u32 v73, v73, v74, s8
	v_perm_b32 v72, v73, v72, s9
	v_bfe_u32 v73, v71, 16, 1
	v_bfe_u32 v74, v70, 16, 1
	v_add3_u32 v70, v70, v74, s8
	v_add3_u32 v71, v71, v73, s8
	v_pk_mul_f32 v[68:69], v[82:83], v[68:69] op_sel_hi:[0,1]
	v_perm_b32 v73, v71, v70, s9
	v_bfe_u32 v70, v69, 16, 1
	v_bfe_u32 v71, v68, 16, 1
	v_pk_mul_f32 v[66:67], v[82:83], v[66:67] op_sel_hi:[0,1]
	v_add3_u32 v68, v68, v71, s8
	v_add3_u32 v69, v69, v70, s8
	v_perm_b32 v68, v69, v68, s9
	v_bfe_u32 v69, v67, 16, 1
	v_bfe_u32 v70, v66, 16, 1
	v_add3_u32 v66, v66, v70, s8
	v_add3_u32 v67, v67, v69, s8
	v_perm_b32 v69, v67, v66, s9
	v_cmp_gt_u32_e32 vcc, 10, v0
	ds_write2st64_b64 v78, v[80:81], v[76:77] offset1:1
	ds_write2st64_b64 v78, v[72:73], v[68:69] offset0:2 offset1:3
	s_and_saveexec_b64 s[0:1], vcc
	s_cbranch_execz .LBB353_19
; %bb.18:
	v_add_co_u32_e32 v68, vcc, s27, v84
	v_addc_co_u32_e64 v69, s[10:11], 0, 0, vcc
	v_mov_b32_e32 v66, s3
	v_mov_b32_e32 v67, 0
	v_mad_u64_u32 v[68:69], s[10:11], s6, v66, v[68:69]
	v_mov_b32_e32 v66, s26
	s_load_dwordx4 s[12:15], s[4:5], 0x58
	s_mul_i32 s7, s7, s3
	v_mad_u64_u32 v[66:67], s[10:11], v68, s2, v[66:67]
	v_add_u32_e32 v69, s7, v69
	v_mov_b32_e32 v68, v67
	v_mad_u64_u32 v[68:69], s[10:11], v69, s2, v[68:69]
	v_mov_b32_e32 v67, v68
	v_lshlrev_b64 v[66:67], 2, v[66:67]
	s_waitcnt lgkmcnt(0)
	v_mov_b32_e32 v69, s15
	v_add_co_u32_e32 v68, vcc, s14, v66
	v_addc_co_u32_e32 v69, vcc, v69, v67, vcc
	global_store_dword v[68:69], v86, off
	v_mov_b32_e32 v68, s13
	v_add_co_u32_e32 v66, vcc, s12, v66
	v_addc_co_u32_e32 v67, vcc, v68, v67, vcc
	global_store_dword v[66:67], v87, off
.LBB353_19:
	s_or_b64 exec, exec, s[0:1]
	v_lshl_or_b32 v79, v1, 9, v79
	s_waitcnt lgkmcnt(0)
	s_barrier
	ds_read_b128 v[70:73], v79
	ds_read_b128 v[66:69], v79 offset:16
	s_waitcnt vmcnt(15) lgkmcnt(1)
	v_mfma_f32_16x16x16bf16_1k v[74:77], v[46:47], v[70:71], 0
	s_mov_b32 s1, 0
	v_cmp_gt_u32_e32 vcc, 64, v0
	v_mfma_f32_16x16x16bf16_1k v[46:49], v[48:49], v[72:73], v[74:77]
	s_waitcnt vmcnt(14) lgkmcnt(0)
	v_mfma_f32_16x16x16bf16_1k v[46:49], v[42:43], v[66:67], v[46:49]
	v_mfma_f32_16x16x16bf16_1k v[42:45], v[44:45], v[68:69], v[46:49]
	s_nop 7
	s_nop 1
	ds_read_b128 v[46:49], v79 offset:2048
	ds_read_b128 v[74:77], v79 offset:2064
	s_waitcnt vmcnt(13) lgkmcnt(1)
	v_mfma_f32_16x16x16bf16_1k v[42:45], v[38:39], v[46:47], v[42:45]
	v_mfma_f32_16x16x16bf16_1k v[38:41], v[40:41], v[48:49], v[42:45]
	s_waitcnt vmcnt(12) lgkmcnt(0)
	v_mfma_f32_16x16x16bf16_1k v[38:41], v[34:35], v[74:75], v[38:41]
	v_mfma_f32_16x16x16bf16_1k v[34:37], v[36:37], v[76:77], v[38:41]
	s_nop 7
	s_nop 1
	ds_read_b128 v[38:41], v79 offset:4096
	ds_read_b128 v[42:45], v79 offset:4112
	s_waitcnt vmcnt(11) lgkmcnt(1)
	v_mfma_f32_16x16x16bf16_1k v[34:37], v[30:31], v[38:39], v[34:37]
	v_mfma_f32_16x16x16bf16_1k v[30:33], v[32:33], v[40:41], v[34:37]
	s_waitcnt vmcnt(10) lgkmcnt(0)
	v_mfma_f32_16x16x16bf16_1k v[30:33], v[26:27], v[42:43], v[30:33]
	v_mfma_f32_16x16x16bf16_1k v[26:29], v[28:29], v[44:45], v[30:33]
	s_nop 7
	s_nop 1
	ds_read_b128 v[30:33], v79 offset:6144
	ds_read_b128 v[34:37], v79 offset:6160
	s_waitcnt lgkmcnt(0)
	s_barrier
	s_waitcnt vmcnt(9)
	v_mfma_f32_16x16x16bf16_1k v[26:29], v[22:23], v[30:31], v[26:29]
	v_mfma_f32_16x16x16bf16_1k v[22:25], v[24:25], v[32:33], v[26:29]
	s_waitcnt vmcnt(8)
	v_mfma_f32_16x16x16bf16_1k v[22:25], v[18:19], v[34:35], v[22:25]
	v_mfma_f32_16x16x16bf16_1k v[18:21], v[20:21], v[36:37], v[22:25]
	;; [unrolled: 3-line block ×4, first 2 shown]
	s_waitcnt vmcnt(5)
	v_mfma_f32_16x16x16bf16_1k v[2:5], v[14:15], v[46:47], v[2:5]
	s_nop 7
	v_bfe_u32 v6, v19, 16, 1
	v_bfe_u32 v7, v18, 16, 1
	v_add3_u32 v7, v18, v7, s8
	v_add3_u32 v6, v19, v6, s8
	v_perm_b32 v6, v6, v7, s9
	v_bfe_u32 v7, v21, 16, 1
	v_bfe_u32 v8, v20, 16, 1
	v_mfma_f32_16x16x16bf16_1k v[2:5], v[16:17], v[48:49], v[2:5]
	v_add3_u32 v8, v20, v8, s8
	v_add3_u32 v7, v21, v7, s8
	v_perm_b32 v7, v7, v8, s9
	s_waitcnt vmcnt(4)
	v_mfma_f32_16x16x16bf16_1k v[2:5], v[10:11], v[74:75], v[2:5]
	v_mfma_f32_16x16x16bf16_1k v[2:5], v[12:13], v[76:77], v[2:5]
	s_waitcnt vmcnt(3)
	v_mfma_f32_16x16x16bf16_1k v[2:5], v[54:55], v[38:39], v[2:5]
	v_mfma_f32_16x16x16bf16_1k v[2:5], v[56:57], v[40:41], v[2:5]
	;; [unrolled: 3-line block ×5, first 2 shown]
	s_nop 7
	s_nop 2
	v_bfe_u32 v8, v3, 16, 1
	v_bfe_u32 v9, v2, 16, 1
	v_add3_u32 v2, v2, v9, s8
	v_add3_u32 v3, v3, v8, s8
	v_perm_b32 v2, v3, v2, s9
	v_bfe_u32 v3, v5, 16, 1
	v_bfe_u32 v8, v4, 16, 1
	v_add3_u32 v4, v4, v8, s8
	v_add3_u32 v3, v5, v3, s8
	v_perm_b32 v3, v3, v4, s9
	ds_write2st64_b64 v78, v[6:7], v[2:3] offset1:1
	s_waitcnt lgkmcnt(0)
	s_barrier
	s_and_saveexec_b64 s[8:9], vcc
	s_cbranch_execz .LBB353_22
; %bb.20:
	buffer_load_dword v6, off, s[44:47], 0  ; 4-byte Folded Reload
	buffer_load_dword v7, off, s[44:47], 0 offset:4 ; 4-byte Folded Reload
	s_load_dwordx2 s[4:5], s[4:5], 0x68
	s_lshl_b32 s2, s2, 7
	s_mul_i32 s0, s3, s6
	s_mul_hi_u32 s7, s0, s2
	s_mul_i32 s6, s0, s2
	s_lshl_b64 s[6:7], s[6:7], 1
	s_waitcnt lgkmcnt(0)
	s_add_u32 s3, s4, s6
	s_addc_u32 s4, s5, s7
	s_lshl_b32 s0, s26, 7
	v_lshlrev_b32_e32 v4, 6, v84
	s_lshl_b64 s[0:1], s[0:1], 1
	v_lshlrev_b32_e32 v3, 4, v0
	v_lshl_or_b32 v0, v0, 10, v4
	s_add_u32 s0, s3, s0
	v_lshlrev_b32_e32 v2, 5, v1
	v_and_b32_e32 v3, 16, v3
	v_and_b32_e32 v0, 0x1a00, v0
	s_addc_u32 s1, s4, s1
	v_or3_b32 v0, v0, v2, v3
	v_mov_b32_e32 v4, s1
	v_or_b32_e32 v2, 8, v1
	v_add_u32_e32 v1, s27, v1
	s_waitcnt vmcnt(1)
	v_add_co_u32_e32 v3, vcc, s0, v6
	s_waitcnt vmcnt(0)
	v_addc_co_u32_e32 v4, vcc, v4, v7, vcc
	ds_read_b128 v[6:9], v0 offset:128
	ds_read_b128 v[10:13], v0
	v_mad_u64_u32 v[14:15], s[0:1], v1, s2, 0
	v_lshlrev_b64 v[14:15], 1, v[14:15]
	v_add_co_u32_e32 v14, vcc, v3, v14
	v_addc_co_u32_e32 v15, vcc, v4, v15, vcc
	v_add_u32_e32 v1, 4, v1
	s_waitcnt lgkmcnt(0)
	global_store_dwordx4 v[14:15], v[10:13], off
	s_nop 0
	v_mad_u64_u32 v[10:11], s[0:1], v1, s2, 0
	v_lshlrev_b64 v[10:11], 1, v[10:11]
	v_add_co_u32_e32 v10, vcc, v3, v10
	v_addc_co_u32_e32 v11, vcc, v4, v11, vcc
	v_cmp_gt_u32_e32 vcc, 10, v2
	global_store_dwordx4 v[10:11], v[6:9], off
	s_and_b64 exec, exec, vcc
	s_cbranch_execz .LBB353_22
; %bb.21:
	ds_read_b128 v[6:9], v0 offset:256
	v_add_u32_e32 v0, s27, v2
	v_mad_u64_u32 v[0:1], s[0:1], v0, s2, 0
	v_lshlrev_b64 v[0:1], 1, v[0:1]
	v_add_co_u32_e32 v0, vcc, v3, v0
	v_addc_co_u32_e32 v1, vcc, v4, v1, vcc
	s_waitcnt lgkmcnt(0)
	global_store_dwordx4 v[0:1], v[6:9], off
.LBB353_22:
	s_endpgm
	.section	.rodata,"a",@progbits
	.p2align	6, 0x0
	.amdhsa_kernel _Z39paged_attention_ll4mi_QKV_mfma16_kernelI14__hip_bfloat16S0_LN4vllm18Fp8KVCacheDataTypeE0ES0_Li32ELi128ELi256ELb1ELi10EL8MFMAType0EEvPKT_PKT0_S9_ifPKiSB_SB_iPKfiiiPfSE_PS4_PT2_iSD_SD_
		.amdhsa_group_segment_fixed_size 8192
		.amdhsa_private_segment_fixed_size 12
		.amdhsa_kernarg_size 400
		.amdhsa_user_sgpr_count 6
		.amdhsa_user_sgpr_private_segment_buffer 1
		.amdhsa_user_sgpr_dispatch_ptr 0
		.amdhsa_user_sgpr_queue_ptr 0
		.amdhsa_user_sgpr_kernarg_segment_ptr 1
		.amdhsa_user_sgpr_dispatch_id 0
		.amdhsa_user_sgpr_flat_scratch_init 0
		.amdhsa_user_sgpr_kernarg_preload_length 0
		.amdhsa_user_sgpr_kernarg_preload_offset 0
		.amdhsa_user_sgpr_private_segment_size 0
		.amdhsa_uses_dynamic_stack 0
		.amdhsa_system_sgpr_private_segment_wavefront_offset 1
		.amdhsa_system_sgpr_workgroup_id_x 1
		.amdhsa_system_sgpr_workgroup_id_y 1
		.amdhsa_system_sgpr_workgroup_id_z 1
		.amdhsa_system_sgpr_workgroup_info 0
		.amdhsa_system_vgpr_workitem_id 0
		.amdhsa_next_free_vgpr 96
		.amdhsa_next_free_sgpr 48
		.amdhsa_accum_offset 96
		.amdhsa_reserve_vcc 1
		.amdhsa_reserve_flat_scratch 0
		.amdhsa_float_round_mode_32 0
		.amdhsa_float_round_mode_16_64 0
		.amdhsa_float_denorm_mode_32 3
		.amdhsa_float_denorm_mode_16_64 3
		.amdhsa_dx10_clamp 1
		.amdhsa_ieee_mode 1
		.amdhsa_fp16_overflow 0
		.amdhsa_tg_split 0
		.amdhsa_exception_fp_ieee_invalid_op 0
		.amdhsa_exception_fp_denorm_src 0
		.amdhsa_exception_fp_ieee_div_zero 0
		.amdhsa_exception_fp_ieee_overflow 0
		.amdhsa_exception_fp_ieee_underflow 0
		.amdhsa_exception_fp_ieee_inexact 0
		.amdhsa_exception_int_div_zero 0
	.end_amdhsa_kernel
	.section	.text._Z39paged_attention_ll4mi_QKV_mfma16_kernelI14__hip_bfloat16S0_LN4vllm18Fp8KVCacheDataTypeE0ES0_Li32ELi128ELi256ELb1ELi10EL8MFMAType0EEvPKT_PKT0_S9_ifPKiSB_SB_iPKfiiiPfSE_PS4_PT2_iSD_SD_,"axG",@progbits,_Z39paged_attention_ll4mi_QKV_mfma16_kernelI14__hip_bfloat16S0_LN4vllm18Fp8KVCacheDataTypeE0ES0_Li32ELi128ELi256ELb1ELi10EL8MFMAType0EEvPKT_PKT0_S9_ifPKiSB_SB_iPKfiiiPfSE_PS4_PT2_iSD_SD_,comdat
.Lfunc_end353:
	.size	_Z39paged_attention_ll4mi_QKV_mfma16_kernelI14__hip_bfloat16S0_LN4vllm18Fp8KVCacheDataTypeE0ES0_Li32ELi128ELi256ELb1ELi10EL8MFMAType0EEvPKT_PKT0_S9_ifPKiSB_SB_iPKfiiiPfSE_PS4_PT2_iSD_SD_, .Lfunc_end353-_Z39paged_attention_ll4mi_QKV_mfma16_kernelI14__hip_bfloat16S0_LN4vllm18Fp8KVCacheDataTypeE0ES0_Li32ELi128ELi256ELb1ELi10EL8MFMAType0EEvPKT_PKT0_S9_ifPKiSB_SB_iPKfiiiPfSE_PS4_PT2_iSD_SD_
                                        ; -- End function
	.section	.AMDGPU.csdata,"",@progbits
; Kernel info:
; codeLenInByte = 5420
; NumSgprs: 52
; NumVgprs: 96
; NumAgprs: 0
; TotalNumVgprs: 96
; ScratchSize: 12
; MemoryBound: 0
; FloatMode: 240
; IeeeMode: 1
; LDSByteSize: 8192 bytes/workgroup (compile time only)
; SGPRBlocks: 6
; VGPRBlocks: 11
; NumSGPRsForWavesPerEU: 52
; NumVGPRsForWavesPerEU: 96
; AccumOffset: 96
; Occupancy: 5
; WaveLimiterHint : 1
; COMPUTE_PGM_RSRC2:SCRATCH_EN: 1
; COMPUTE_PGM_RSRC2:USER_SGPR: 6
; COMPUTE_PGM_RSRC2:TRAP_HANDLER: 0
; COMPUTE_PGM_RSRC2:TGID_X_EN: 1
; COMPUTE_PGM_RSRC2:TGID_Y_EN: 1
; COMPUTE_PGM_RSRC2:TGID_Z_EN: 1
; COMPUTE_PGM_RSRC2:TIDIG_COMP_CNT: 0
; COMPUTE_PGM_RSRC3_GFX90A:ACCUM_OFFSET: 23
; COMPUTE_PGM_RSRC3_GFX90A:TG_SPLIT: 0
	.section	.text._Z39paged_attention_ll4mi_QKV_mfma16_kernelI14__hip_bfloat16S0_LN4vllm18Fp8KVCacheDataTypeE0ES0_Li32ELi128ELi256ELb1ELi11EL8MFMAType0EEvPKT_PKT0_S9_ifPKiSB_SB_iPKfiiiPfSE_PS4_PT2_iSD_SD_,"axG",@progbits,_Z39paged_attention_ll4mi_QKV_mfma16_kernelI14__hip_bfloat16S0_LN4vllm18Fp8KVCacheDataTypeE0ES0_Li32ELi128ELi256ELb1ELi11EL8MFMAType0EEvPKT_PKT0_S9_ifPKiSB_SB_iPKfiiiPfSE_PS4_PT2_iSD_SD_,comdat
	.protected	_Z39paged_attention_ll4mi_QKV_mfma16_kernelI14__hip_bfloat16S0_LN4vllm18Fp8KVCacheDataTypeE0ES0_Li32ELi128ELi256ELb1ELi11EL8MFMAType0EEvPKT_PKT0_S9_ifPKiSB_SB_iPKfiiiPfSE_PS4_PT2_iSD_SD_ ; -- Begin function _Z39paged_attention_ll4mi_QKV_mfma16_kernelI14__hip_bfloat16S0_LN4vllm18Fp8KVCacheDataTypeE0ES0_Li32ELi128ELi256ELb1ELi11EL8MFMAType0EEvPKT_PKT0_S9_ifPKiSB_SB_iPKfiiiPfSE_PS4_PT2_iSD_SD_
	.globl	_Z39paged_attention_ll4mi_QKV_mfma16_kernelI14__hip_bfloat16S0_LN4vllm18Fp8KVCacheDataTypeE0ES0_Li32ELi128ELi256ELb1ELi11EL8MFMAType0EEvPKT_PKT0_S9_ifPKiSB_SB_iPKfiiiPfSE_PS4_PT2_iSD_SD_
	.p2align	8
	.type	_Z39paged_attention_ll4mi_QKV_mfma16_kernelI14__hip_bfloat16S0_LN4vllm18Fp8KVCacheDataTypeE0ES0_Li32ELi128ELi256ELb1ELi11EL8MFMAType0EEvPKT_PKT0_S9_ifPKiSB_SB_iPKfiiiPfSE_PS4_PT2_iSD_SD_,@function
_Z39paged_attention_ll4mi_QKV_mfma16_kernelI14__hip_bfloat16S0_LN4vllm18Fp8KVCacheDataTypeE0ES0_Li32ELi128ELi256ELb1ELi11EL8MFMAType0EEvPKT_PKT0_S9_ifPKiSB_SB_iPKfiiiPfSE_PS4_PT2_iSD_SD_: ; @_Z39paged_attention_ll4mi_QKV_mfma16_kernelI14__hip_bfloat16S0_LN4vllm18Fp8KVCacheDataTypeE0ES0_Li32ELi128ELi256ELb1ELi11EL8MFMAType0EEvPKT_PKT0_S9_ifPKiSB_SB_iPKfiiiPfSE_PS4_PT2_iSD_SD_
; %bb.0:
	s_mov_b64 s[46:47], s[2:3]
	s_mov_b64 s[44:45], s[0:1]
	s_load_dwordx2 s[0:1], s[4:5], 0x30
	s_add_u32 s44, s44, s9
	s_addc_u32 s45, s45, 0
	s_mov_b32 s26, s7
	s_mov_b64 s[10:11], 0
	s_waitcnt lgkmcnt(0)
	s_cmp_lg_u64 s[0:1], 0
	s_cselect_b64 s[2:3], -1, 0
	s_and_b64 vcc, exec, s[2:3]
	s_cbranch_vccz .LBB354_7
; %bb.1:
	s_add_i32 s12, s6, 1
	s_mov_b32 s13, 0
	s_lshl_b64 s[14:15], s[12:13], 2
	s_add_u32 s14, s0, s14
	s_mov_b32 s7, s13
	s_addc_u32 s15, s1, s15
	s_lshl_b64 s[12:13], s[6:7], 2
	s_add_u32 s12, s0, s12
	s_addc_u32 s13, s1, s13
	s_load_dword s9, s[14:15], 0x0
	s_load_dword s16, s[12:13], 0x0
	s_waitcnt lgkmcnt(0)
	s_sub_i32 s9, s9, s16
	s_cmp_eq_u32 s9, 1
	s_cselect_b64 s[12:13], -1, 0
	s_andn2_b64 vcc, exec, s[10:11]
	s_cbranch_vccnz .LBB354_3
.LBB354_2:
	s_mov_b32 s7, 0
	s_mov_b64 s[12:13], -1
.LBB354_3:
	s_andn2_b64 vcc, exec, s[12:13]
	s_cbranch_vccnz .LBB354_22
; %bb.4:
	s_load_dwordx2 s[12:13], s[4:5], 0x28
	s_lshl_b64 s[10:11], s[6:7], 2
	s_waitcnt lgkmcnt(0)
	s_add_u32 s12, s12, s10
	s_addc_u32 s13, s13, s11
	s_load_dword s33, s[12:13], 0x0
	s_lshl_b32 s16, s26, 8
	s_waitcnt lgkmcnt(0)
	s_cmp_ge_i32 s16, s33
	s_cbranch_scc1 .LBB354_22
; %bb.5:
	s_add_i32 s14, s33, 31
	s_load_dwordx2 s[12:13], s[4:5], 0x20
	s_load_dword s9, s[4:5], 0x38
	s_ashr_i32 s15, s14, 31
	v_and_b32_e32 v1, 0xcf, v0
	s_lshr_b32 s15, s15, 27
	v_add_u32_e32 v1, s16, v1
	s_add_i32 s14, s14, s15
	v_ashrrev_i32_e32 v2, 31, v1
	s_ashr_i32 s19, s14, 5
	v_lshrrev_b32_e32 v6, 27, v2
	s_add_i32 s19, s19, -1
	v_add_u32_e32 v2, v1, v6
	s_waitcnt lgkmcnt(0)
	s_mul_i32 s14, s6, s9
	s_mov_b32 s15, 0
	v_ashrrev_i32_e32 v2, 5, v2
	v_mov_b32_e32 v7, s19
	v_cmp_gt_i32_e32 vcc, s33, v1
	s_lshl_b64 s[14:15], s[14:15], 2
	v_cndmask_b32_e32 v2, v7, v2, vcc
	s_add_u32 s17, s12, s14
	v_ashrrev_i32_e32 v3, 31, v2
	s_addc_u32 s18, s13, s15
	v_lshlrev_b64 v[2:3], 2, v[2:3]
	v_mov_b32_e32 v4, s18
	v_add_co_u32_e32 v2, vcc, s17, v2
	v_addc_co_u32_e32 v3, vcc, v4, v3, vcc
	v_or_b32_e32 v4, 16, v1
	v_add_u32_e32 v5, v4, v6
	v_ashrrev_i32_e32 v5, 5, v5
	v_cmp_gt_i32_e32 vcc, s33, v4
	v_cndmask_b32_e32 v4, v7, v5, vcc
	v_ashrrev_i32_e32 v5, 31, v4
	v_lshlrev_b64 v[4:5], 2, v[4:5]
	v_mov_b32_e32 v9, s18
	v_add_co_u32_e32 v8, vcc, s17, v4
	v_or_b32_e32 v4, 32, v1
	v_addc_co_u32_e32 v9, vcc, v9, v5, vcc
	v_add_u32_e32 v5, v4, v6
	v_ashrrev_i32_e32 v5, 5, v5
	v_cmp_gt_i32_e32 vcc, s33, v4
	v_cndmask_b32_e32 v4, v7, v5, vcc
	v_ashrrev_i32_e32 v5, 31, v4
	v_lshlrev_b64 v[4:5], 2, v[4:5]
	v_mov_b32_e32 v11, s18
	v_add_co_u32_e32 v10, vcc, s17, v4
	v_or_b32_e32 v1, 48, v1
	v_addc_co_u32_e32 v11, vcc, v11, v5, vcc
	v_add_u32_e32 v4, v1, v6
	v_ashrrev_i32_e32 v4, 5, v4
	v_cmp_gt_i32_e32 vcc, s33, v1
	v_cndmask_b32_e32 v4, v7, v4, vcc
	v_ashrrev_i32_e32 v5, 31, v4
	v_lshlrev_b64 v[4:5], 2, v[4:5]
	v_mov_b32_e32 v1, s18
	v_add_co_u32_e32 v12, vcc, s17, v4
	v_addc_co_u32_e32 v13, vcc, v1, v5, vcc
	global_load_dword v7, v[2:3], off
	global_load_dword v6, v[8:9], off
	global_load_dword v5, v[10:11], off
	global_load_dword v4, v[12:13], off
	s_andn2_b64 vcc, exec, s[2:3]
	s_cbranch_vccnz .LBB354_8
; %bb.6:
	s_add_u32 s0, s0, s10
	s_addc_u32 s1, s1, s11
	s_load_dword s9, s[0:1], 0x0
	s_branch .LBB354_9
.LBB354_7:
	s_mov_b64 s[12:13], 0
	s_branch .LBB354_2
.LBB354_8:
	s_mov_b32 s9, s6
.LBB354_9:
	s_load_dwordx2 s[12:13], s[4:5], 0x8
	s_load_dwordx4 s[0:3], s[4:5], 0x48
	v_lshrrev_b32_e32 v85, 6, v0
	v_bfe_u32 v1, v0, 4, 2
	v_lshl_or_b32 v8, v85, 2, v1
	v_and_b32_e32 v84, 15, v0
	v_lshlrev_b32_e32 v2, 3, v84
	v_cmp_lt_u32_e32 vcc, 10, v8
	s_and_saveexec_b64 s[10:11], vcc
	s_xor_b64 s[10:11], exec, s[10:11]
; %bb.10:
	v_mov_b32_e32 v3, 0
                                        ; implicit-def: $vgpr8
; %bb.11:
	s_or_saveexec_b64 s[14:15], s[10:11]
	s_load_dwordx2 s[10:11], s[4:5], 0x10
	s_mul_i32 s27, s8, 11
	s_xor_b64 exec, exec, s[14:15]
	s_cbranch_execz .LBB354_13
; %bb.12:
	s_load_dwordx2 s[20:21], s[4:5], 0x0
	s_waitcnt lgkmcnt(0)
	s_ashr_i32 s3, s0, 31
	s_mul_hi_u32 s22, s9, s0
	s_mul_i32 s3, s9, s3
	s_add_i32 s23, s22, s3
	s_mul_i32 s22, s9, s0
	s_lshl_b64 s[22:23], s[22:23], 1
	v_add_lshl_u32 v10, v8, s27, 7
	s_add_u32 s0, s20, s22
	v_ashrrev_i32_e32 v11, 31, v10
	s_addc_u32 s3, s21, s23
	v_lshlrev_b64 v[10:11], 1, v[10:11]
	v_mov_b32_e32 v3, s3
	v_add_co_u32_e32 v9, vcc, s0, v10
	v_addc_co_u32_e32 v3, vcc, v3, v11, vcc
	v_lshlrev_b32_e32 v10, 1, v2
	v_add_co_u32_e32 v10, vcc, v9, v10
	v_addc_co_u32_e32 v11, vcc, 0, v3, vcc
	global_load_dwordx4 v[10:13], v[10:11], off
	v_and_b32_e32 v9, 3, v0
	v_lshlrev_b32_e32 v14, 9, v84
	v_lshlrev_b32_e32 v8, 5, v8
	;; [unrolled: 1-line block ×3, first 2 shown]
	v_and_b32_e32 v14, 0x1800, v14
	v_mov_b32_e32 v3, 0
	v_or3_b32 v8, v14, v9, v8
	s_waitcnt vmcnt(0)
	ds_write_b128 v8, v[10:13]
.LBB354_13:
	s_or_b64 exec, exec, s[14:15]
	s_waitcnt lgkmcnt(0)
	s_mul_i32 s2, s8, s2
	s_mov_b32 s3, 0
	s_lshl_b64 s[2:3], s[2:3], 1
	s_add_u32 s0, s12, s2
	s_waitcnt vmcnt(3)
	v_mad_i64_i32 v[8:9], s[8:9], v7, s1, 0
	s_addc_u32 s12, s13, s3
	v_lshlrev_b64 v[8:9], 1, v[8:9]
	v_mov_b32_e32 v7, s12
	v_add_co_u32_e32 v8, vcc, s0, v8
	v_addc_co_u32_e32 v7, vcc, v7, v9, vcc
	v_lshlrev_b64 v[14:15], 1, v[2:3]
	v_add_co_u32_e32 v8, vcc, v8, v14
	v_lshlrev_b32_e32 v12, 9, v1
	v_addc_co_u32_e32 v7, vcc, v7, v15, vcc
	v_add_co_u32_e32 v2, vcc, v8, v12
	v_addc_co_u32_e32 v3, vcc, 0, v7, vcc
	v_or_b32_e32 v10, 0x1000, v12
	s_barrier
	global_load_dwordx4 v[38:41], v[2:3], off
	global_load_dwordx4 v[34:37], v[2:3], off offset:2048
	v_add_co_u32_e32 v2, vcc, v8, v10
	v_addc_co_u32_e32 v3, vcc, 0, v7, vcc
	v_or_b32_e32 v11, 0x1800, v12
	v_add_co_u32_e32 v8, vcc, v8, v11
	v_addc_co_u32_e32 v9, vcc, 0, v7, vcc
	global_load_dwordx4 v[46:49], v[2:3], off
	global_load_dwordx4 v[58:61], v[8:9], off
	s_waitcnt vmcnt(6)
	v_mad_i64_i32 v[2:3], s[8:9], v6, s1, 0
	v_lshlrev_b64 v[2:3], 1, v[2:3]
	v_mov_b32_e32 v6, s12
	v_add_co_u32_e32 v2, vcc, s0, v2
	v_addc_co_u32_e32 v3, vcc, v6, v3, vcc
	v_mov_b32_e32 v6, 0x100
	v_lshl_or_b32 v8, v84, 4, v6
	v_add_co_u32_e32 v6, vcc, v2, v8
	v_addc_co_u32_e32 v7, vcc, 0, v3, vcc
	v_add_co_u32_e32 v2, vcc, v6, v12
	v_addc_co_u32_e32 v3, vcc, 0, v7, vcc
	global_load_dwordx4 v[74:77], v[2:3], off
	global_load_dwordx4 v[70:73], v[2:3], off offset:2048
	v_add_co_u32_e32 v2, vcc, v6, v10
	v_addc_co_u32_e32 v3, vcc, 0, v7, vcc
	v_add_co_u32_e32 v6, vcc, v6, v11
	v_addc_co_u32_e32 v7, vcc, 0, v7, vcc
	global_load_dwordx4 v[78:81], v[2:3], off
	global_load_dwordx4 v[66:69], v[6:7], off
	s_waitcnt vmcnt(9)
	v_mad_i64_i32 v[2:3], s[8:9], v5, s1, 0
	v_lshlrev_b64 v[2:3], 1, v[2:3]
	v_mov_b32_e32 v5, s12
	v_add_co_u32_e32 v2, vcc, s0, v2
	v_addc_co_u32_e32 v3, vcc, v5, v3, vcc
	v_add_co_u32_e32 v5, vcc, v2, v14
	buffer_store_dword v14, off, s[44:47], 0 ; 4-byte Folded Spill
	s_nop 0
	buffer_store_dword v15, off, s[44:47], 0 offset:4 ; 4-byte Folded Spill
	v_and_b32_e32 v94, 63, v0
	v_mov_b32_e32 v87, 0
	v_addc_co_u32_e32 v7, vcc, v3, v15, vcc
	v_add_co_u32_e32 v2, vcc, v5, v12
	v_addc_co_u32_e32 v3, vcc, 0, v7, vcc
	global_load_dwordx4 v[62:65], v[2:3], off
	global_load_dwordx4 v[42:45], v[2:3], off offset:2048
	v_add_co_u32_e32 v2, vcc, v5, v10
	v_addc_co_u32_e32 v3, vcc, 0, v7, vcc
	v_add_co_u32_e32 v6, vcc, v5, v11
	v_addc_co_u32_e32 v7, vcc, 0, v7, vcc
	global_load_dwordx4 v[26:29], v[2:3], off
	global_load_dwordx4 v[18:21], v[6:7], off
	s_waitcnt vmcnt(14)
	v_mad_i64_i32 v[2:3], s[8:9], v4, s1, 0
	v_lshlrev_b64 v[2:3], 1, v[2:3]
	v_mov_b32_e32 v4, s12
	v_add_co_u32_e32 v2, vcc, s0, v2
	v_addc_co_u32_e32 v3, vcc, v4, v3, vcc
	v_add_co_u32_e32 v4, vcc, v2, v8
	v_addc_co_u32_e32 v5, vcc, 0, v3, vcc
	v_add_co_u32_e32 v2, vcc, v4, v12
	v_addc_co_u32_e32 v3, vcc, 0, v5, vcc
	global_load_dwordx4 v[14:17], v[2:3], off
	global_load_dwordx4 v[6:9], v[2:3], off offset:2048
	v_add_co_u32_e32 v2, vcc, v4, v10
	v_addc_co_u32_e32 v3, vcc, 0, v5, vcc
	v_add_co_u32_e32 v10, vcc, v4, v11
	v_addc_co_u32_e32 v11, vcc, 0, v5, vcc
	global_load_dwordx4 v[2:5], v[2:3], off
	s_nop 0
	global_load_dwordx4 v[50:53], v[10:11], off
	v_add_u32_e32 v10, -11, v84
	v_cmp_gt_u32_e32 vcc, 11, v84
	v_cndmask_b32_e32 v10, v10, v84, vcc
	v_lshl_add_u32 v54, v10, 5, v12
	ds_read_b128 v[30:33], v54
	ds_read_b128 v[22:25], v54 offset:2048
	ds_read_b128 v[10:13], v54 offset:4096
	;; [unrolled: 1-line block ×3, first 2 shown]
	s_and_saveexec_b64 s[8:9], vcc
	s_cbranch_execz .LBB354_15
; %bb.14:
	s_load_dwordx2 s[12:13], s[4:5], 0x40
	v_add_u32_e32 v82, s27, v84
	v_ashrrev_i32_e32 v83, 31, v82
	v_lshlrev_b64 v[82:83], 2, v[82:83]
	s_waitcnt lgkmcnt(0)
	v_mov_b32_e32 v87, s13
	v_add_co_u32_e32 v82, vcc, s12, v82
	v_addc_co_u32_e32 v83, vcc, v87, v83, vcc
	global_load_dword v87, v[82:83], off
.LBB354_15:
	s_or_b64 exec, exec, s[8:9]
	s_waitcnt vmcnt(17) lgkmcnt(3)
	v_mfma_f32_16x16x16bf16_1k v[88:91], v[38:39], v[30:31], 0
	s_ashr_i32 s0, s16, 31
	s_lshr_b32 s0, s0, 27
	s_add_u32 s2, s10, s2
	s_addc_u32 s3, s11, s3
	s_mov_b32 s40, 0xff7fffff
	v_mfma_f32_16x16x16bf16_1k v[38:41], v[40:41], v[32:33], v[88:91]
	s_waitcnt vmcnt(16) lgkmcnt(2)
	v_mfma_f32_16x16x16bf16_1k v[38:41], v[34:35], v[22:23], v[38:41]
	s_nop 4
	v_lshl_or_b32 v88, v85, 4, v84
	v_mfma_f32_16x16x16bf16_1k v[34:37], v[36:37], v[24:25], v[38:41]
	s_waitcnt vmcnt(15) lgkmcnt(1)
	v_mfma_f32_16x16x16bf16_1k v[34:37], v[46:47], v[10:11], v[34:37]
	v_and_or_b32 v46, v0, 48, s16
	s_nop 3
	v_add_u32_e32 v38, s0, v46
	v_ashrrev_i32_e32 v38, 5, v38
	v_mov_b32_e32 v47, s19
	v_cmp_gt_i32_e32 vcc, s33, v46
	v_cndmask_b32_e32 v38, v47, v38, vcc
	v_ashrrev_i32_e32 v39, 31, v38
	v_mfma_f32_16x16x16bf16_1k v[34:37], v[48:49], v[12:13], v[34:37]
	v_or_b32_e32 v40, 64, v46
	v_add_u32_e32 v41, s0, v40
	v_ashrrev_i32_e32 v41, 5, v41
	v_mov_b32_e32 v48, s18
	s_waitcnt vmcnt(14) lgkmcnt(0)
	v_mfma_f32_16x16x16bf16_1k v[34:37], v[58:59], v[54:55], v[34:37]
	v_mfma_f32_16x16x16bf16_1k v[58:61], v[60:61], v[56:57], v[34:37]
	s_waitcnt vmcnt(13)
	v_mfma_f32_16x16x16bf16_1k v[34:37], v[74:75], v[30:31], 0
	v_mfma_f32_16x16x16bf16_1k v[34:37], v[76:77], v[32:33], v[34:37]
	v_lshlrev_b32_e32 v76, 6, v88
	s_waitcnt vmcnt(12)
	v_mfma_f32_16x16x16bf16_1k v[34:37], v[70:71], v[22:23], v[34:37]
	v_mfma_f32_16x16x16bf16_1k v[34:37], v[72:73], v[24:25], v[34:37]
	s_waitcnt vmcnt(11)
	v_mfma_f32_16x16x16bf16_1k v[34:37], v[78:79], v[10:11], v[34:37]
	v_mfma_f32_16x16x16bf16_1k v[34:37], v[80:81], v[12:13], v[34:37]
	;; [unrolled: 3-line block ×3, first 2 shown]
	s_nop 7
	s_nop 1
	v_lshlrev_b64 v[34:35], 2, v[38:39]
	v_mov_b32_e32 v36, s18
	v_add_co_u32_e32 v38, vcc, s17, v34
	v_addc_co_u32_e32 v39, vcc, v36, v35, vcc
	v_cmp_gt_i32_e32 vcc, s33, v40
	v_cndmask_b32_e32 v40, v47, v41, vcc
	v_ashrrev_i32_e32 v41, 31, v40
	v_lshlrev_b64 v[40:41], 2, v[40:41]
	v_add_co_u32_e32 v40, vcc, s17, v40
	v_addc_co_u32_e32 v41, vcc, v48, v41, vcc
	global_load_dword v48, v[38:39], off
	s_nop 0
	global_load_dword v40, v[40:41], off
	v_or_b32_e32 v38, 0x80, v46
	v_add_u32_e32 v39, s0, v38
	v_ashrrev_i32_e32 v39, 5, v39
	v_cmp_gt_i32_e32 vcc, s33, v38
	v_cndmask_b32_e32 v38, v47, v39, vcc
	v_ashrrev_i32_e32 v39, 31, v38
	v_lshlrev_b64 v[38:39], 2, v[38:39]
	v_mov_b32_e32 v41, s18
	v_add_co_u32_e32 v38, vcc, s17, v38
	v_addc_co_u32_e32 v39, vcc, v41, v39, vcc
	s_waitcnt vmcnt(9)
	v_mfma_f32_16x16x16bf16_1k v[34:37], v[62:63], v[30:31], 0
	global_load_dword v62, v[38:39], off
	v_or_b32_e32 v38, 0xc0, v46
	v_add_u32_e32 v39, s0, v38
	v_ashrrev_i32_e32 v39, 5, v39
	v_cmp_gt_i32_e32 vcc, s33, v38
	v_cndmask_b32_e32 v38, v47, v39, vcc
	v_ashrrev_i32_e32 v39, 31, v38
	v_mfma_f32_16x16x16bf16_1k v[34:37], v[64:65], v[32:33], v[34:37]
	s_load_dword s0, s[4:5], 0x1c
	s_waitcnt lgkmcnt(0)
	v_pk_mul_f32 v[58:59], s[0:1], v[58:59] op_sel_hi:[0,1]
	s_waitcnt vmcnt(9)
	v_mfma_f32_16x16x16bf16_1k v[34:37], v[42:43], v[22:23], v[34:37]
	v_mfma_f32_16x16x16bf16_1k v[34:37], v[44:45], v[24:25], v[34:37]
	s_waitcnt vmcnt(8)
	v_mfma_f32_16x16x16bf16_1k v[34:37], v[26:27], v[10:11], v[34:37]
	v_lshlrev_b64 v[26:27], 2, v[38:39]
	v_mov_b32_e32 v39, s18
	v_add_co_u32_e32 v38, vcc, s17, v26
	v_addc_co_u32_e32 v39, vcc, v39, v27, vcc
	global_load_dword v63, v[38:39], off
	v_mfma_f32_16x16x16bf16_1k v[26:29], v[28:29], v[12:13], v[34:37]
	s_waitcnt vmcnt(8)
	v_mfma_f32_16x16x16bf16_1k v[26:29], v[18:19], v[54:55], v[26:29]
	s_nop 4
	v_and_b32_e32 v34, 16, v0
	v_lshlrev_b32_e32 v34, 1, v34
	v_mov_b32_e32 v18, s3
	v_add_co_u32_e32 v74, vcc, s2, v34
	v_addc_co_u32_e32 v75, vcc, 0, v18, vcc
	v_mfma_f32_16x16x16bf16_1k v[90:93], v[20:21], v[56:57], v[26:29]
	v_add_co_u32_e32 v77, vcc, v74, v76
	v_addc_co_u32_e32 v78, vcc, 0, v75, vcc
	s_waitcnt vmcnt(3)
	v_mad_i64_i32 v[18:19], s[2:3], v48, s1, 0
	v_lshlrev_b64 v[70:71], 1, v[18:19]
	v_mfma_f32_16x16x16bf16_1k v[18:21], v[14:15], v[30:31], 0
	v_add_co_u32_e32 v14, vcc, v77, v70
	v_addc_co_u32_e32 v15, vcc, v78, v71, vcc
	global_load_dwordx4 v[46:49], v[14:15], off
	global_load_dwordx4 v[42:45], v[14:15], off offset:16
	s_waitcnt vmcnt(4)
	v_mad_i64_i32 v[14:15], s[2:3], v40, s1, 0
	v_lshlrev_b64 v[72:73], 1, v[14:15]
	v_mfma_f32_16x16x16bf16_1k v[14:17], v[16:17], v[32:33], v[18:21]
	v_mfma_f32_16x16x16bf16_1k v[14:17], v[6:7], v[22:23], v[14:17]
	s_nop 5
	v_add_co_u32_e32 v18, vcc, v77, v72
	v_addc_co_u32_e32 v19, vcc, v78, v73, vcc
	global_load_dwordx4 v[38:41], v[18:19], off
	global_load_dwordx4 v[34:37], v[18:19], off offset:16
	s_waitcnt vmcnt(5)
	v_mad_i64_i32 v[18:19], s[2:3], v62, s1, 0
	v_lshlrev_b64 v[64:65], 1, v[18:19]
	v_add_co_u32_e32 v6, vcc, v77, v64
	v_addc_co_u32_e32 v7, vcc, v78, v65, vcc
	global_load_dwordx4 v[30:33], v[6:7], off
	global_load_dwordx4 v[26:29], v[6:7], off offset:16
	v_mfma_f32_16x16x16bf16_1k v[6:9], v[8:9], v[24:25], v[14:17]
	v_mfma_f32_16x16x16bf16_1k v[6:9], v[2:3], v[10:11], v[6:9]
	v_or_b32_e32 v2, 0x1000, v76
	s_waitcnt vmcnt(6)
	s_nop 3
	v_mad_i64_i32 v[14:15], s[2:3], v63, s1, 0
	v_mfma_f32_16x16x16bf16_1k v[10:13], v[4:5], v[12:13], v[6:9]
	v_lshlrev_b64 v[62:63], 1, v[14:15]
	v_add_co_u32_e32 v14, vcc, v77, v62
	v_addc_co_u32_e32 v15, vcc, v78, v63, vcc
	v_add_co_u32_e32 v89, vcc, v74, v2
	v_mfma_f32_16x16x16bf16_1k v[80:83], v[50:51], v[54:55], v[10:13]
	v_addc_co_u32_e32 v86, vcc, 0, v75, vcc
	v_pk_mul_f32 v[74:75], s[0:1], v[68:69] op_sel_hi:[0,1]
	v_pk_mul_f32 v[76:77], s[0:1], v[66:67] op_sel_hi:[0,1]
	;; [unrolled: 1-line block ×3, first 2 shown]
	v_add_co_u32_e32 v2, vcc, v89, v70
	v_mfma_f32_16x16x16bf16_1k v[50:53], v[52:53], v[56:57], v[80:83]
	v_addc_co_u32_e32 v3, vcc, v86, v71, vcc
	v_add_co_u32_e32 v70, vcc, v89, v72
	v_addc_co_u32_e32 v71, vcc, v86, v73, vcc
	global_load_dwordx4 v[22:25], v[14:15], off
	global_load_dwordx4 v[18:21], v[14:15], off offset:16
	s_nop 5
	v_pk_mul_f32 v[68:69], s[0:1], v[50:51] op_sel_hi:[0,1]
	v_and_b32_e32 v50, 0xc0, v0
	v_add_u32_e32 v50, s16, v50
	v_lshl_or_b32 v50, v1, 2, v50
	v_or_b32_e32 v51, 1, v50
	v_pk_mul_f32 v[66:67], s[0:1], v[52:53] op_sel_hi:[0,1]
	v_subrev_u32_e32 v52, s33, v51
	v_add_u32_e32 v54, 1, v52
	v_add_u32_e32 v55, 2, v52
	v_cvt_f32_i32_e32 v53, v52
	v_cvt_f32_i32_e32 v54, v54
	;; [unrolled: 1-line block ×3, first 2 shown]
	v_add_u32_e32 v56, 3, v52
	v_fma_f32 v58, v87, v53, v58
	v_fmac_f32_e32 v59, v87, v54
	v_fma_f32 v78, v87, v55, v78
	v_add_u32_e32 v53, 16, v52
	v_add_u32_e32 v54, 17, v52
	;; [unrolled: 1-line block ×3, first 2 shown]
	v_cvt_f32_i32_e32 v56, v56
	v_cvt_f32_i32_e32 v53, v53
	;; [unrolled: 1-line block ×4, first 2 shown]
	v_fmac_f32_e32 v79, v87, v56
	v_add_u32_e32 v56, 19, v52
	v_fma_f32 v76, v87, v53, v76
	v_fmac_f32_e32 v77, v87, v54
	v_fma_f32 v74, v87, v55, v74
	v_add_u32_e32 v53, 32, v52
	v_add_u32_e32 v54, 33, v52
	;; [unrolled: 1-line block ×3, first 2 shown]
	v_cvt_f32_i32_e32 v56, v56
	v_cvt_f32_i32_e32 v53, v53
	;; [unrolled: 1-line block ×4, first 2 shown]
	global_load_dwordx4 v[6:9], v[2:3], off
	s_nop 0
	global_load_dwordx4 v[2:5], v[2:3], off offset:16
	s_nop 0
	global_load_dwordx4 v[14:17], v[70:71], off
	global_load_dwordx4 v[10:13], v[70:71], off offset:16
	v_pk_mul_f32 v[70:71], s[0:1], v[92:93] op_sel_hi:[0,1]
	v_pk_mul_f32 v[72:73], s[0:1], v[90:91] op_sel_hi:[0,1]
	v_fmac_f32_e32 v75, v87, v56
	v_add_u32_e32 v56, 35, v52
	v_fma_f32 v72, v87, v53, v72
	v_fmac_f32_e32 v73, v87, v54
	v_fma_f32 v70, v87, v55, v70
	v_add_u32_e32 v53, 48, v52
	v_add_u32_e32 v54, 49, v52
	;; [unrolled: 1-line block ×4, first 2 shown]
	v_cvt_f32_i32_e32 v52, v52
	v_cvt_f32_i32_e32 v53, v53
	;; [unrolled: 1-line block ×3, first 2 shown]
	v_cmp_gt_i32_e64 s[28:29], s33, v50
	v_fmac_f32_e32 v67, v87, v52
	v_mov_b32_e32 v52, 0xff7fffff
	v_cmp_gt_i32_e64 s[30:31], s33, v51
	v_fma_f32 v68, v87, v53, v68
	v_cndmask_b32_e64 v53, v52, v58, s[28:29]
	v_cndmask_b32_e64 v51, v52, v59, s[30:31]
	v_fmac_f32_e32 v69, v87, v54
	v_max3_f32 v51, v53, s40, v51
	v_or_b32_e32 v53, 2, v50
	v_or_b32_e32 v54, 3, v50
	v_cmp_gt_i32_e64 s[34:35], s33, v53
	v_cmp_gt_i32_e64 s[36:37], s33, v54
	v_cndmask_b32_e64 v53, v52, v78, s[34:35]
	v_cndmask_b32_e64 v54, v52, v79, s[36:37]
	v_max3_f32 v51, v51, v53, v54
	v_or_b32_e32 v53, 16, v50
	v_or_b32_e32 v54, 17, v50
	v_cmp_gt_i32_e64 s[22:23], s33, v53
	v_cmp_gt_i32_e64 s[24:25], s33, v54
	v_cndmask_b32_e64 v53, v52, v76, s[22:23]
	v_cndmask_b32_e64 v54, v52, v77, s[24:25]
	;; [unrolled: 7-line block ×3, first 2 shown]
	v_cvt_f32_i32_e32 v56, v56
	v_max3_f32 v51, v51, v53, v54
	v_or_b32_e32 v53, 32, v50
	v_or_b32_e32 v54, 33, v50
	v_cmp_gt_i32_e64 s[14:15], s33, v53
	v_cmp_gt_i32_e64 s[16:17], s33, v54
	v_cndmask_b32_e64 v53, v52, v72, s[14:15]
	v_cndmask_b32_e64 v54, v52, v73, s[16:17]
	v_max3_f32 v51, v51, v53, v54
	v_or_b32_e32 v53, 34, v50
	v_or_b32_e32 v54, 35, v50
	v_fmac_f32_e32 v71, v87, v56
	v_cmp_gt_i32_e64 s[10:11], s33, v53
	v_cmp_gt_i32_e64 s[12:13], s33, v54
	v_cndmask_b32_e64 v53, v52, v70, s[10:11]
	v_cndmask_b32_e64 v54, v52, v71, s[12:13]
	v_cvt_f32_i32_e32 v55, v55
	v_max3_f32 v51, v51, v53, v54
	v_or_b32_e32 v53, 48, v50
	v_or_b32_e32 v54, 49, v50
	v_cmp_gt_i32_e64 s[2:3], s33, v53
	v_cmp_gt_i32_e64 s[8:9], s33, v54
	v_cndmask_b32_e64 v53, v52, v68, s[2:3]
	v_cndmask_b32_e64 v54, v52, v69, s[8:9]
	v_max3_f32 v51, v51, v53, v54
	v_or_b32_e32 v53, 50, v50
	v_or_b32_e32 v50, 51, v50
	v_fma_f32 v66, v87, v55, v66
	v_cmp_gt_i32_e32 vcc, s33, v53
	v_cmp_gt_i32_e64 s[0:1], s33, v50
	v_cndmask_b32_e32 v53, v52, v66, vcc
	v_cndmask_b32_e64 v50, v52, v67, s[0:1]
	v_max3_f32 v60, v51, v53, v50
	v_mbcnt_lo_u32_b32 v50, -1, 0
	v_mbcnt_hi_u32_b32 v61, -1, v50
	v_and_b32_e32 v50, 64, v61
	v_add_u32_e32 v80, 64, v50
	v_xor_b32_e32 v50, 32, v61
	v_cmp_lt_i32_e64 s[38:39], v50, v80
	v_cndmask_b32_e64 v50, v61, v50, s[38:39]
	v_lshlrev_b32_e32 v82, 2, v50
	ds_bpermute_b32 v81, v82, v60
	v_add_co_u32_e64 v50, s[38:39], v89, v64
	v_addc_co_u32_e64 v51, s[38:39], v86, v65, s[38:39]
	s_waitcnt lgkmcnt(0)
	v_max_f32_e32 v64, v81, v81
	v_max_f32_e32 v64, v60, v64
	v_xor_b32_e32 v60, 16, v61
	v_cmp_lt_i32_e64 s[38:39], v60, v80
	v_cndmask_b32_e64 v60, v61, v60, s[38:39]
	v_lshlrev_b32_e32 v83, 2, v60
	ds_bpermute_b32 v65, v83, v64
	v_add_co_u32_e64 v60, s[38:39], v89, v62
	v_addc_co_u32_e64 v61, s[38:39], v86, v63, s[38:39]
	s_waitcnt lgkmcnt(0)
	v_max_f32_e32 v62, v65, v65
	v_max_f32_e32 v87, v64, v62
	v_sub_f32_e32 v58, v58, v87
	v_mul_f32_e32 v58, 0x3fb8aa3b, v58
	v_exp_f32_e32 v80, v58
	v_sub_f32_e32 v58, v59, v87
	v_mul_f32_e32 v58, 0x3fb8aa3b, v58
	global_load_dwordx4 v[54:57], v[50:51], off
	s_nop 0
	global_load_dwordx4 v[50:53], v[50:51], off offset:16
	v_exp_f32_e32 v81, v58
	global_load_dwordx4 v[62:65], v[60:61], off
	s_nop 0
	global_load_dwordx4 v[58:61], v[60:61], off offset:16
	v_sub_f32_e32 v78, v78, v87
	v_mul_f32_e32 v78, 0x3fb8aa3b, v78
	v_sub_f32_e32 v79, v79, v87
	v_exp_f32_e32 v78, v78
	v_mul_f32_e32 v79, 0x3fb8aa3b, v79
	v_sub_f32_e32 v76, v76, v87
	v_exp_f32_e32 v79, v79
	v_mul_f32_e32 v76, 0x3fb8aa3b, v76
	v_sub_f32_e32 v77, v77, v87
	v_cndmask_b32_e64 v80, 0, v80, s[28:29]
	v_exp_f32_e32 v76, v76
	v_mul_f32_e32 v77, 0x3fb8aa3b, v77
	v_sub_f32_e32 v74, v74, v87
	v_add_f32_e32 v86, 0, v80
	v_cndmask_b32_e64 v81, 0, v81, s[30:31]
	v_exp_f32_e32 v77, v77
	v_mul_f32_e32 v74, 0x3fb8aa3b, v74
	v_sub_f32_e32 v75, v75, v87
	v_add_f32_e32 v86, v86, v81
	;; [unrolled: 5-line block ×10, first 2 shown]
	v_cndmask_b32_e64 v70, 0, v70, s[10:11]
	v_exp_f32_e32 v66, v66
	v_mul_f32_e32 v67, 0x3fb8aa3b, v67
	v_add_f32_e32 v86, v86, v70
	v_cndmask_b32_e64 v71, 0, v71, s[12:13]
	v_exp_f32_e32 v67, v67
	v_add_f32_e32 v86, v86, v71
	v_cndmask_b32_e64 v68, 0, v68, s[2:3]
	v_add_f32_e32 v86, v86, v68
	v_cndmask_b32_e64 v69, 0, v69, s[8:9]
	v_add_f32_e32 v86, v86, v69
	v_cndmask_b32_e32 v66, 0, v66, vcc
	v_add_f32_e32 v86, v86, v66
	v_cndmask_b32_e64 v67, 0, v67, s[0:1]
	v_add_f32_e32 v86, v86, v67
	ds_bpermute_b32 v82, v82, v86
	s_load_dword s3, s[4:5], 0x98
	v_cmp_gt_u32_e32 vcc, 16, v94
	s_waitcnt lgkmcnt(0)
	s_barrier
	v_add_f32_e32 v89, v86, v82
	ds_bpermute_b32 v90, v83, v89
	s_waitcnt lgkmcnt(0)
	s_and_saveexec_b64 s[0:1], vcc
	s_cbranch_execz .LBB354_17
; %bb.16:
	v_add_f32_e32 v82, v89, v90
	v_lshlrev_b32_e32 v83, 2, v88
	ds_write2st64_b32 v83, v87, v82 offset1:1
.LBB354_17:
	s_or_b64 exec, exec, s[0:1]
	v_lshlrev_b32_e32 v87, 2, v84
	s_load_dword s2, s[4:5], 0x94
	s_waitcnt lgkmcnt(0)
	s_barrier
	ds_read2_b32 v[82:83], v87 offset1:16
	ds_read2_b32 v[88:89], v87 offset0:32 offset1:48
	ds_read2_b32 v[90:91], v87 offset0:64 offset1:80
	s_movk_i32 s8, 0x7fff
	s_mov_b32 s9, 0x7060302
	s_waitcnt lgkmcnt(2)
	v_max3_f32 v86, v82, s40, v83
	s_waitcnt lgkmcnt(1)
	v_max3_f32 v86, v86, v88, v89
	v_sub_f32_e32 v82, v82, v86
	v_mul_f32_e32 v82, 0x3fb8aa3b, v82
	v_exp_f32_e32 v92, v82
	v_sub_f32_e32 v82, v83, v86
	v_mul_f32_e32 v82, 0x3fb8aa3b, v82
	v_exp_f32_e32 v93, v82
	;; [unrolled: 3-line block ×3, first 2 shown]
	ds_read2_b32 v[82:83], v87 offset0:96 offset1:112
	v_sub_f32_e32 v87, v89, v86
	v_mul_f32_e32 v87, 0x3fb8aa3b, v87
	v_exp_f32_e32 v89, v87
	s_waitcnt lgkmcnt(1)
	v_fma_f32 v87, v92, v90, 0
	v_fmac_f32_e32 v87, v93, v91
	s_waitcnt lgkmcnt(0)
	v_fmac_f32_e32 v87, v88, v82
	v_fmac_f32_e32 v87, v89, v83
	v_add_f32_e32 v82, 0x358637bd, v87
	v_div_scale_f32 v83, s[0:1], v82, v82, 1.0
	v_rcp_f32_e32 v90, v83
	s_mul_i32 s3, s3, 11
	s_barrier
	v_fma_f32 v91, -v83, v90, 1.0
	v_fmac_f32_e32 v90, v91, v90
	v_div_scale_f32 v91, vcc, 1.0, v82, 1.0
	v_mul_f32_e32 v94, v91, v90
	v_fma_f32 v95, -v83, v94, v91
	v_fmac_f32_e32 v94, v95, v90
	v_fma_f32 v83, -v83, v94, v91
	v_div_fmas_f32 v83, v83, v90, v94
	v_cmp_eq_u32_e32 vcc, 1, v85
	v_div_fixup_f32 v82, v83, v82, 1.0
	v_cndmask_b32_e32 v83, v92, v93, vcc
	v_cmp_eq_u32_e32 vcc, 2, v85
	v_cndmask_b32_e32 v83, v83, v88, vcc
	v_cmp_eq_u32_e32 vcc, 3, v85
	v_cndmask_b32_e32 v83, v83, v89, vcc
	v_mul_f32_e32 v82, v83, v82
	v_pk_mul_f32 v[80:81], v[82:83], v[80:81] op_sel_hi:[0,1]
	v_pk_mul_f32 v[78:79], v[82:83], v[78:79] op_sel_hi:[0,1]
	v_bfe_u32 v83, v81, 16, 1
	v_bfe_u32 v88, v80, 16, 1
	v_add3_u32 v80, v80, v88, s8
	v_add3_u32 v81, v81, v83, s8
	v_perm_b32 v80, v81, v80, s9
	v_bfe_u32 v81, v79, 16, 1
	v_bfe_u32 v83, v78, 16, 1
	v_add3_u32 v78, v78, v83, s8
	v_add3_u32 v79, v79, v81, s8
	v_lshlrev_b32_e32 v83, 11, v85
	v_perm_b32 v81, v79, v78, s9
	v_lshlrev_b32_e32 v78, 3, v1
	v_lshlrev_b32_e32 v79, 5, v84
	v_pk_mul_f32 v[76:77], v[82:83], v[76:77] op_sel_hi:[0,1]
	v_or3_b32 v78, v83, v79, v78
	v_pk_mul_f32 v[74:75], v[82:83], v[74:75] op_sel_hi:[0,1]
	v_bfe_u32 v83, v77, 16, 1
	v_bfe_u32 v85, v76, 16, 1
	v_add3_u32 v76, v76, v85, s8
	v_add3_u32 v77, v77, v83, s8
	v_perm_b32 v76, v77, v76, s9
	v_bfe_u32 v77, v75, 16, 1
	v_bfe_u32 v83, v74, 16, 1
	v_add3_u32 v74, v74, v83, s8
	v_add3_u32 v75, v75, v77, s8
	v_pk_mul_f32 v[72:73], v[82:83], v[72:73] op_sel_hi:[0,1]
	v_perm_b32 v77, v75, v74, s9
	v_bfe_u32 v74, v73, 16, 1
	v_bfe_u32 v75, v72, 16, 1
	v_pk_mul_f32 v[70:71], v[82:83], v[70:71] op_sel_hi:[0,1]
	v_add3_u32 v72, v72, v75, s8
	v_add3_u32 v73, v73, v74, s8
	v_perm_b32 v72, v73, v72, s9
	v_bfe_u32 v73, v71, 16, 1
	v_bfe_u32 v74, v70, 16, 1
	v_add3_u32 v70, v70, v74, s8
	v_add3_u32 v71, v71, v73, s8
	v_pk_mul_f32 v[68:69], v[82:83], v[68:69] op_sel_hi:[0,1]
	v_perm_b32 v73, v71, v70, s9
	v_bfe_u32 v70, v69, 16, 1
	v_bfe_u32 v71, v68, 16, 1
	v_pk_mul_f32 v[66:67], v[82:83], v[66:67] op_sel_hi:[0,1]
	v_add3_u32 v68, v68, v71, s8
	v_add3_u32 v69, v69, v70, s8
	v_perm_b32 v68, v69, v68, s9
	v_bfe_u32 v69, v67, 16, 1
	v_bfe_u32 v70, v66, 16, 1
	v_add3_u32 v66, v66, v70, s8
	v_add3_u32 v67, v67, v69, s8
	v_perm_b32 v69, v67, v66, s9
	v_cmp_gt_u32_e32 vcc, 11, v0
	ds_write2st64_b64 v78, v[80:81], v[76:77] offset1:1
	ds_write2st64_b64 v78, v[72:73], v[68:69] offset0:2 offset1:3
	s_and_saveexec_b64 s[0:1], vcc
	s_cbranch_execz .LBB354_19
; %bb.18:
	v_add_co_u32_e32 v68, vcc, s27, v84
	v_addc_co_u32_e64 v69, s[10:11], 0, 0, vcc
	v_mov_b32_e32 v66, s3
	v_mov_b32_e32 v67, 0
	v_mad_u64_u32 v[68:69], s[10:11], s6, v66, v[68:69]
	v_mov_b32_e32 v66, s26
	s_load_dwordx4 s[12:15], s[4:5], 0x58
	s_mul_i32 s7, s7, s3
	v_mad_u64_u32 v[66:67], s[10:11], v68, s2, v[66:67]
	v_add_u32_e32 v69, s7, v69
	v_mov_b32_e32 v68, v67
	v_mad_u64_u32 v[68:69], s[10:11], v69, s2, v[68:69]
	v_mov_b32_e32 v67, v68
	v_lshlrev_b64 v[66:67], 2, v[66:67]
	s_waitcnt lgkmcnt(0)
	v_mov_b32_e32 v69, s15
	v_add_co_u32_e32 v68, vcc, s14, v66
	v_addc_co_u32_e32 v69, vcc, v69, v67, vcc
	global_store_dword v[68:69], v86, off
	v_mov_b32_e32 v68, s13
	v_add_co_u32_e32 v66, vcc, s12, v66
	v_addc_co_u32_e32 v67, vcc, v68, v67, vcc
	global_store_dword v[66:67], v87, off
.LBB354_19:
	s_or_b64 exec, exec, s[0:1]
	v_lshl_or_b32 v79, v1, 9, v79
	s_waitcnt lgkmcnt(0)
	s_barrier
	ds_read_b128 v[70:73], v79
	ds_read_b128 v[66:69], v79 offset:16
	s_waitcnt vmcnt(15) lgkmcnt(1)
	v_mfma_f32_16x16x16bf16_1k v[74:77], v[46:47], v[70:71], 0
	s_mov_b32 s1, 0
	v_cmp_gt_u32_e32 vcc, 64, v0
	v_mfma_f32_16x16x16bf16_1k v[46:49], v[48:49], v[72:73], v[74:77]
	s_waitcnt vmcnt(14) lgkmcnt(0)
	v_mfma_f32_16x16x16bf16_1k v[46:49], v[42:43], v[66:67], v[46:49]
	v_mfma_f32_16x16x16bf16_1k v[42:45], v[44:45], v[68:69], v[46:49]
	s_nop 7
	s_nop 1
	ds_read_b128 v[46:49], v79 offset:2048
	ds_read_b128 v[74:77], v79 offset:2064
	s_waitcnt vmcnt(13) lgkmcnt(1)
	v_mfma_f32_16x16x16bf16_1k v[42:45], v[38:39], v[46:47], v[42:45]
	v_mfma_f32_16x16x16bf16_1k v[38:41], v[40:41], v[48:49], v[42:45]
	s_waitcnt vmcnt(12) lgkmcnt(0)
	v_mfma_f32_16x16x16bf16_1k v[38:41], v[34:35], v[74:75], v[38:41]
	v_mfma_f32_16x16x16bf16_1k v[34:37], v[36:37], v[76:77], v[38:41]
	s_nop 7
	s_nop 1
	ds_read_b128 v[38:41], v79 offset:4096
	ds_read_b128 v[42:45], v79 offset:4112
	s_waitcnt vmcnt(11) lgkmcnt(1)
	v_mfma_f32_16x16x16bf16_1k v[34:37], v[30:31], v[38:39], v[34:37]
	v_mfma_f32_16x16x16bf16_1k v[30:33], v[32:33], v[40:41], v[34:37]
	s_waitcnt vmcnt(10) lgkmcnt(0)
	v_mfma_f32_16x16x16bf16_1k v[30:33], v[26:27], v[42:43], v[30:33]
	v_mfma_f32_16x16x16bf16_1k v[26:29], v[28:29], v[44:45], v[30:33]
	s_nop 7
	s_nop 1
	ds_read_b128 v[30:33], v79 offset:6144
	ds_read_b128 v[34:37], v79 offset:6160
	s_waitcnt lgkmcnt(0)
	s_barrier
	s_waitcnt vmcnt(9)
	v_mfma_f32_16x16x16bf16_1k v[26:29], v[22:23], v[30:31], v[26:29]
	v_mfma_f32_16x16x16bf16_1k v[22:25], v[24:25], v[32:33], v[26:29]
	s_waitcnt vmcnt(8)
	v_mfma_f32_16x16x16bf16_1k v[22:25], v[18:19], v[34:35], v[22:25]
	v_mfma_f32_16x16x16bf16_1k v[18:21], v[20:21], v[36:37], v[22:25]
	;; [unrolled: 3-line block ×4, first 2 shown]
	s_waitcnt vmcnt(5)
	v_mfma_f32_16x16x16bf16_1k v[2:5], v[14:15], v[46:47], v[2:5]
	s_nop 7
	v_bfe_u32 v6, v19, 16, 1
	v_bfe_u32 v7, v18, 16, 1
	v_add3_u32 v7, v18, v7, s8
	v_add3_u32 v6, v19, v6, s8
	v_perm_b32 v6, v6, v7, s9
	v_bfe_u32 v7, v21, 16, 1
	v_bfe_u32 v8, v20, 16, 1
	v_mfma_f32_16x16x16bf16_1k v[2:5], v[16:17], v[48:49], v[2:5]
	v_add3_u32 v8, v20, v8, s8
	v_add3_u32 v7, v21, v7, s8
	v_perm_b32 v7, v7, v8, s9
	s_waitcnt vmcnt(4)
	v_mfma_f32_16x16x16bf16_1k v[2:5], v[10:11], v[74:75], v[2:5]
	v_mfma_f32_16x16x16bf16_1k v[2:5], v[12:13], v[76:77], v[2:5]
	s_waitcnt vmcnt(3)
	v_mfma_f32_16x16x16bf16_1k v[2:5], v[54:55], v[38:39], v[2:5]
	v_mfma_f32_16x16x16bf16_1k v[2:5], v[56:57], v[40:41], v[2:5]
	;; [unrolled: 3-line block ×5, first 2 shown]
	s_nop 7
	s_nop 2
	v_bfe_u32 v8, v3, 16, 1
	v_bfe_u32 v9, v2, 16, 1
	v_add3_u32 v2, v2, v9, s8
	v_add3_u32 v3, v3, v8, s8
	v_perm_b32 v2, v3, v2, s9
	v_bfe_u32 v3, v5, 16, 1
	v_bfe_u32 v8, v4, 16, 1
	v_add3_u32 v4, v4, v8, s8
	v_add3_u32 v3, v5, v3, s8
	v_perm_b32 v3, v3, v4, s9
	ds_write2st64_b64 v78, v[6:7], v[2:3] offset1:1
	s_waitcnt lgkmcnt(0)
	s_barrier
	s_and_saveexec_b64 s[8:9], vcc
	s_cbranch_execz .LBB354_22
; %bb.20:
	v_lshlrev_b32_e32 v4, 6, v84
	v_lshlrev_b32_e32 v3, 4, v0
	v_lshl_or_b32 v0, v0, 10, v4
	buffer_load_dword v4, off, s[44:47], 0  ; 4-byte Folded Reload
	buffer_load_dword v5, off, s[44:47], 0 offset:4 ; 4-byte Folded Reload
	s_load_dwordx2 s[4:5], s[4:5], 0x68
	s_lshl_b32 s2, s2, 7
	s_mul_i32 s0, s3, s6
	s_mul_hi_u32 s7, s0, s2
	s_mul_i32 s6, s0, s2
	s_lshl_b64 s[6:7], s[6:7], 1
	s_waitcnt lgkmcnt(0)
	s_add_u32 s3, s4, s6
	s_addc_u32 s4, s5, s7
	s_lshl_b32 s0, s26, 7
	s_lshl_b64 s[0:1], s[0:1], 1
	s_add_u32 s0, s3, s0
	v_lshlrev_b32_e32 v2, 5, v1
	v_and_b32_e32 v3, 16, v3
	v_and_b32_e32 v0, 0x1a00, v0
	s_addc_u32 s1, s4, s1
	v_or3_b32 v0, v0, v2, v3
	v_mov_b32_e32 v3, s1
	v_add_u32_e32 v14, s27, v1
	s_waitcnt vmcnt(1)
	v_add_co_u32_e32 v2, vcc, s0, v4
	s_waitcnt vmcnt(0)
	v_addc_co_u32_e32 v3, vcc, v3, v5, vcc
	ds_read_b128 v[4:7], v0 offset:128
	ds_read_b128 v[8:11], v0
	v_mad_u64_u32 v[12:13], s[0:1], v14, s2, 0
	v_lshlrev_b64 v[12:13], 1, v[12:13]
	v_add_co_u32_e32 v12, vcc, v2, v12
	v_addc_co_u32_e32 v13, vcc, v3, v13, vcc
	s_waitcnt lgkmcnt(0)
	global_store_dwordx4 v[12:13], v[8:11], off
	s_nop 0
	v_add_u32_e32 v8, 4, v14
	v_mad_u64_u32 v[8:9], s[0:1], v8, s2, 0
	v_lshlrev_b64 v[8:9], 1, v[8:9]
	v_add_co_u32_e32 v8, vcc, v2, v8
	v_addc_co_u32_e32 v9, vcc, v3, v9, vcc
	v_cmp_ne_u32_e32 vcc, 3, v1
	global_store_dwordx4 v[8:9], v[4:7], off
	s_and_b64 exec, exec, vcc
	s_cbranch_execz .LBB354_22
; %bb.21:
	ds_read_b128 v[4:7], v0 offset:256
	v_add3_u32 v0, s27, v1, 8
	v_mad_u64_u32 v[0:1], s[0:1], v0, s2, 0
	v_lshlrev_b64 v[0:1], 1, v[0:1]
	v_add_co_u32_e32 v0, vcc, v2, v0
	v_addc_co_u32_e32 v1, vcc, v3, v1, vcc
	s_waitcnt lgkmcnt(0)
	global_store_dwordx4 v[0:1], v[4:7], off
.LBB354_22:
	s_endpgm
	.section	.rodata,"a",@progbits
	.p2align	6, 0x0
	.amdhsa_kernel _Z39paged_attention_ll4mi_QKV_mfma16_kernelI14__hip_bfloat16S0_LN4vllm18Fp8KVCacheDataTypeE0ES0_Li32ELi128ELi256ELb1ELi11EL8MFMAType0EEvPKT_PKT0_S9_ifPKiSB_SB_iPKfiiiPfSE_PS4_PT2_iSD_SD_
		.amdhsa_group_segment_fixed_size 8192
		.amdhsa_private_segment_fixed_size 12
		.amdhsa_kernarg_size 400
		.amdhsa_user_sgpr_count 6
		.amdhsa_user_sgpr_private_segment_buffer 1
		.amdhsa_user_sgpr_dispatch_ptr 0
		.amdhsa_user_sgpr_queue_ptr 0
		.amdhsa_user_sgpr_kernarg_segment_ptr 1
		.amdhsa_user_sgpr_dispatch_id 0
		.amdhsa_user_sgpr_flat_scratch_init 0
		.amdhsa_user_sgpr_kernarg_preload_length 0
		.amdhsa_user_sgpr_kernarg_preload_offset 0
		.amdhsa_user_sgpr_private_segment_size 0
		.amdhsa_uses_dynamic_stack 0
		.amdhsa_system_sgpr_private_segment_wavefront_offset 1
		.amdhsa_system_sgpr_workgroup_id_x 1
		.amdhsa_system_sgpr_workgroup_id_y 1
		.amdhsa_system_sgpr_workgroup_id_z 1
		.amdhsa_system_sgpr_workgroup_info 0
		.amdhsa_system_vgpr_workitem_id 0
		.amdhsa_next_free_vgpr 96
		.amdhsa_next_free_sgpr 48
		.amdhsa_accum_offset 96
		.amdhsa_reserve_vcc 1
		.amdhsa_reserve_flat_scratch 0
		.amdhsa_float_round_mode_32 0
		.amdhsa_float_round_mode_16_64 0
		.amdhsa_float_denorm_mode_32 3
		.amdhsa_float_denorm_mode_16_64 3
		.amdhsa_dx10_clamp 1
		.amdhsa_ieee_mode 1
		.amdhsa_fp16_overflow 0
		.amdhsa_tg_split 0
		.amdhsa_exception_fp_ieee_invalid_op 0
		.amdhsa_exception_fp_denorm_src 0
		.amdhsa_exception_fp_ieee_div_zero 0
		.amdhsa_exception_fp_ieee_overflow 0
		.amdhsa_exception_fp_ieee_underflow 0
		.amdhsa_exception_fp_ieee_inexact 0
		.amdhsa_exception_int_div_zero 0
	.end_amdhsa_kernel
	.section	.text._Z39paged_attention_ll4mi_QKV_mfma16_kernelI14__hip_bfloat16S0_LN4vllm18Fp8KVCacheDataTypeE0ES0_Li32ELi128ELi256ELb1ELi11EL8MFMAType0EEvPKT_PKT0_S9_ifPKiSB_SB_iPKfiiiPfSE_PS4_PT2_iSD_SD_,"axG",@progbits,_Z39paged_attention_ll4mi_QKV_mfma16_kernelI14__hip_bfloat16S0_LN4vllm18Fp8KVCacheDataTypeE0ES0_Li32ELi128ELi256ELb1ELi11EL8MFMAType0EEvPKT_PKT0_S9_ifPKiSB_SB_iPKfiiiPfSE_PS4_PT2_iSD_SD_,comdat
.Lfunc_end354:
	.size	_Z39paged_attention_ll4mi_QKV_mfma16_kernelI14__hip_bfloat16S0_LN4vllm18Fp8KVCacheDataTypeE0ES0_Li32ELi128ELi256ELb1ELi11EL8MFMAType0EEvPKT_PKT0_S9_ifPKiSB_SB_iPKfiiiPfSE_PS4_PT2_iSD_SD_, .Lfunc_end354-_Z39paged_attention_ll4mi_QKV_mfma16_kernelI14__hip_bfloat16S0_LN4vllm18Fp8KVCacheDataTypeE0ES0_Li32ELi128ELi256ELb1ELi11EL8MFMAType0EEvPKT_PKT0_S9_ifPKiSB_SB_iPKfiiiPfSE_PS4_PT2_iSD_SD_
                                        ; -- End function
	.section	.AMDGPU.csdata,"",@progbits
; Kernel info:
; codeLenInByte = 5420
; NumSgprs: 52
; NumVgprs: 96
; NumAgprs: 0
; TotalNumVgprs: 96
; ScratchSize: 12
; MemoryBound: 0
; FloatMode: 240
; IeeeMode: 1
; LDSByteSize: 8192 bytes/workgroup (compile time only)
; SGPRBlocks: 6
; VGPRBlocks: 11
; NumSGPRsForWavesPerEU: 52
; NumVGPRsForWavesPerEU: 96
; AccumOffset: 96
; Occupancy: 5
; WaveLimiterHint : 1
; COMPUTE_PGM_RSRC2:SCRATCH_EN: 1
; COMPUTE_PGM_RSRC2:USER_SGPR: 6
; COMPUTE_PGM_RSRC2:TRAP_HANDLER: 0
; COMPUTE_PGM_RSRC2:TGID_X_EN: 1
; COMPUTE_PGM_RSRC2:TGID_Y_EN: 1
; COMPUTE_PGM_RSRC2:TGID_Z_EN: 1
; COMPUTE_PGM_RSRC2:TIDIG_COMP_CNT: 0
; COMPUTE_PGM_RSRC3_GFX90A:ACCUM_OFFSET: 23
; COMPUTE_PGM_RSRC3_GFX90A:TG_SPLIT: 0
	.section	.text._Z39paged_attention_ll4mi_QKV_mfma16_kernelI14__hip_bfloat16S0_LN4vllm18Fp8KVCacheDataTypeE0ES0_Li32ELi128ELi256ELb1ELi12EL8MFMAType0EEvPKT_PKT0_S9_ifPKiSB_SB_iPKfiiiPfSE_PS4_PT2_iSD_SD_,"axG",@progbits,_Z39paged_attention_ll4mi_QKV_mfma16_kernelI14__hip_bfloat16S0_LN4vllm18Fp8KVCacheDataTypeE0ES0_Li32ELi128ELi256ELb1ELi12EL8MFMAType0EEvPKT_PKT0_S9_ifPKiSB_SB_iPKfiiiPfSE_PS4_PT2_iSD_SD_,comdat
	.protected	_Z39paged_attention_ll4mi_QKV_mfma16_kernelI14__hip_bfloat16S0_LN4vllm18Fp8KVCacheDataTypeE0ES0_Li32ELi128ELi256ELb1ELi12EL8MFMAType0EEvPKT_PKT0_S9_ifPKiSB_SB_iPKfiiiPfSE_PS4_PT2_iSD_SD_ ; -- Begin function _Z39paged_attention_ll4mi_QKV_mfma16_kernelI14__hip_bfloat16S0_LN4vllm18Fp8KVCacheDataTypeE0ES0_Li32ELi128ELi256ELb1ELi12EL8MFMAType0EEvPKT_PKT0_S9_ifPKiSB_SB_iPKfiiiPfSE_PS4_PT2_iSD_SD_
	.globl	_Z39paged_attention_ll4mi_QKV_mfma16_kernelI14__hip_bfloat16S0_LN4vllm18Fp8KVCacheDataTypeE0ES0_Li32ELi128ELi256ELb1ELi12EL8MFMAType0EEvPKT_PKT0_S9_ifPKiSB_SB_iPKfiiiPfSE_PS4_PT2_iSD_SD_
	.p2align	8
	.type	_Z39paged_attention_ll4mi_QKV_mfma16_kernelI14__hip_bfloat16S0_LN4vllm18Fp8KVCacheDataTypeE0ES0_Li32ELi128ELi256ELb1ELi12EL8MFMAType0EEvPKT_PKT0_S9_ifPKiSB_SB_iPKfiiiPfSE_PS4_PT2_iSD_SD_,@function
_Z39paged_attention_ll4mi_QKV_mfma16_kernelI14__hip_bfloat16S0_LN4vllm18Fp8KVCacheDataTypeE0ES0_Li32ELi128ELi256ELb1ELi12EL8MFMAType0EEvPKT_PKT0_S9_ifPKiSB_SB_iPKfiiiPfSE_PS4_PT2_iSD_SD_: ; @_Z39paged_attention_ll4mi_QKV_mfma16_kernelI14__hip_bfloat16S0_LN4vllm18Fp8KVCacheDataTypeE0ES0_Li32ELi128ELi256ELb1ELi12EL8MFMAType0EEvPKT_PKT0_S9_ifPKiSB_SB_iPKfiiiPfSE_PS4_PT2_iSD_SD_
; %bb.0:
	s_mov_b64 s[46:47], s[2:3]
	s_mov_b64 s[44:45], s[0:1]
	s_load_dwordx2 s[0:1], s[4:5], 0x30
	s_add_u32 s44, s44, s9
	s_addc_u32 s45, s45, 0
	s_mov_b32 s26, s7
	s_mov_b64 s[10:11], 0
	s_waitcnt lgkmcnt(0)
	s_cmp_lg_u64 s[0:1], 0
	s_cselect_b64 s[2:3], -1, 0
	s_and_b64 vcc, exec, s[2:3]
	s_cbranch_vccz .LBB355_7
; %bb.1:
	s_add_i32 s12, s6, 1
	s_mov_b32 s13, 0
	s_lshl_b64 s[14:15], s[12:13], 2
	s_add_u32 s14, s0, s14
	s_mov_b32 s7, s13
	s_addc_u32 s15, s1, s15
	s_lshl_b64 s[12:13], s[6:7], 2
	s_add_u32 s12, s0, s12
	s_addc_u32 s13, s1, s13
	s_load_dword s9, s[14:15], 0x0
	s_load_dword s16, s[12:13], 0x0
	s_waitcnt lgkmcnt(0)
	s_sub_i32 s9, s9, s16
	s_cmp_eq_u32 s9, 1
	s_cselect_b64 s[12:13], -1, 0
	s_andn2_b64 vcc, exec, s[10:11]
	s_cbranch_vccnz .LBB355_3
.LBB355_2:
	s_mov_b32 s7, 0
	s_mov_b64 s[12:13], -1
.LBB355_3:
	s_andn2_b64 vcc, exec, s[12:13]
	s_cbranch_vccnz .LBB355_21
; %bb.4:
	s_load_dwordx2 s[12:13], s[4:5], 0x28
	s_lshl_b64 s[10:11], s[6:7], 2
	s_waitcnt lgkmcnt(0)
	s_add_u32 s12, s12, s10
	s_addc_u32 s13, s13, s11
	s_load_dword s33, s[12:13], 0x0
	s_lshl_b32 s16, s26, 8
	s_waitcnt lgkmcnt(0)
	s_cmp_ge_i32 s16, s33
	s_cbranch_scc1 .LBB355_21
; %bb.5:
	s_add_i32 s14, s33, 31
	s_load_dwordx2 s[12:13], s[4:5], 0x20
	s_load_dword s9, s[4:5], 0x38
	s_ashr_i32 s15, s14, 31
	v_and_b32_e32 v1, 0xcf, v0
	s_lshr_b32 s15, s15, 27
	v_add_u32_e32 v1, s16, v1
	s_add_i32 s14, s14, s15
	v_ashrrev_i32_e32 v2, 31, v1
	s_ashr_i32 s19, s14, 5
	v_lshrrev_b32_e32 v6, 27, v2
	s_add_i32 s19, s19, -1
	v_add_u32_e32 v2, v1, v6
	s_waitcnt lgkmcnt(0)
	s_mul_i32 s14, s6, s9
	s_mov_b32 s15, 0
	v_ashrrev_i32_e32 v2, 5, v2
	v_mov_b32_e32 v7, s19
	v_cmp_gt_i32_e32 vcc, s33, v1
	s_lshl_b64 s[14:15], s[14:15], 2
	v_cndmask_b32_e32 v2, v7, v2, vcc
	s_add_u32 s17, s12, s14
	v_ashrrev_i32_e32 v3, 31, v2
	s_addc_u32 s18, s13, s15
	v_lshlrev_b64 v[2:3], 2, v[2:3]
	v_mov_b32_e32 v4, s18
	v_add_co_u32_e32 v2, vcc, s17, v2
	v_addc_co_u32_e32 v3, vcc, v4, v3, vcc
	v_or_b32_e32 v4, 16, v1
	v_add_u32_e32 v5, v4, v6
	v_ashrrev_i32_e32 v5, 5, v5
	v_cmp_gt_i32_e32 vcc, s33, v4
	v_cndmask_b32_e32 v4, v7, v5, vcc
	v_ashrrev_i32_e32 v5, 31, v4
	v_lshlrev_b64 v[4:5], 2, v[4:5]
	v_mov_b32_e32 v9, s18
	v_add_co_u32_e32 v8, vcc, s17, v4
	v_or_b32_e32 v4, 32, v1
	v_addc_co_u32_e32 v9, vcc, v9, v5, vcc
	v_add_u32_e32 v5, v4, v6
	v_ashrrev_i32_e32 v5, 5, v5
	v_cmp_gt_i32_e32 vcc, s33, v4
	v_cndmask_b32_e32 v4, v7, v5, vcc
	v_ashrrev_i32_e32 v5, 31, v4
	v_lshlrev_b64 v[4:5], 2, v[4:5]
	v_mov_b32_e32 v11, s18
	v_add_co_u32_e32 v10, vcc, s17, v4
	v_or_b32_e32 v1, 48, v1
	v_addc_co_u32_e32 v11, vcc, v11, v5, vcc
	v_add_u32_e32 v4, v1, v6
	v_ashrrev_i32_e32 v4, 5, v4
	v_cmp_gt_i32_e32 vcc, s33, v1
	v_cndmask_b32_e32 v4, v7, v4, vcc
	v_ashrrev_i32_e32 v5, 31, v4
	v_lshlrev_b64 v[4:5], 2, v[4:5]
	v_mov_b32_e32 v1, s18
	v_add_co_u32_e32 v12, vcc, s17, v4
	v_addc_co_u32_e32 v13, vcc, v1, v5, vcc
	global_load_dword v7, v[2:3], off
	global_load_dword v6, v[8:9], off
	;; [unrolled: 1-line block ×4, first 2 shown]
	s_andn2_b64 vcc, exec, s[2:3]
	s_cbranch_vccnz .LBB355_8
; %bb.6:
	s_add_u32 s0, s0, s10
	s_addc_u32 s1, s1, s11
	s_load_dword s9, s[0:1], 0x0
	s_branch .LBB355_9
.LBB355_7:
	s_mov_b64 s[12:13], 0
	s_branch .LBB355_2
.LBB355_8:
	s_mov_b32 s9, s6
.LBB355_9:
	s_load_dwordx2 s[12:13], s[4:5], 0x8
	s_load_dwordx4 s[0:3], s[4:5], 0x48
	v_and_b32_e32 v1, 15, v0
	s_waitcnt lgkmcnt(0)
	s_movk_i32 s3, 0xbf
	v_lshlrev_b32_e32 v2, 3, v1
	v_cmp_lt_u32_e32 vcc, s3, v0
	s_and_saveexec_b64 s[10:11], vcc
	s_xor_b64 s[10:11], exec, s[10:11]
; %bb.10:
	v_mov_b32_e32 v3, 0
; %bb.11:
	s_or_saveexec_b64 s[14:15], s[10:11]
	s_load_dwordx2 s[10:11], s[4:5], 0x10
	v_lshrrev_b32_e32 v85, 6, v0
	v_bfe_u32 v84, v0, 4, 2
	s_mul_i32 s27, s8, 12
	s_xor_b64 exec, exec, s[14:15]
	s_cbranch_execz .LBB355_13
; %bb.12:
	s_load_dwordx2 s[20:21], s[4:5], 0x0
	s_ashr_i32 s3, s0, 31
	s_mul_hi_u32 s22, s9, s0
	s_mul_i32 s3, s9, s3
	v_lshl_or_b32 v12, v85, 2, v84
	s_add_i32 s23, s22, s3
	s_mul_i32 s22, s9, s0
	s_lshl_b64 s[22:23], s[22:23], 1
	v_add_lshl_u32 v8, v12, s27, 7
	s_waitcnt lgkmcnt(0)
	s_add_u32 s0, s20, s22
	v_ashrrev_i32_e32 v9, 31, v8
	s_addc_u32 s3, s21, s23
	v_lshlrev_b64 v[8:9], 1, v[8:9]
	v_mov_b32_e32 v3, s3
	v_add_co_u32_e32 v8, vcc, s0, v8
	v_addc_co_u32_e32 v3, vcc, v3, v9, vcc
	v_lshlrev_b32_e32 v9, 1, v2
	v_add_co_u32_e32 v8, vcc, v8, v9
	v_addc_co_u32_e32 v9, vcc, 0, v3, vcc
	global_load_dwordx4 v[8:11], v[8:9], off
	v_and_b32_e32 v13, 3, v0
	v_lshlrev_b32_e32 v14, 9, v1
	v_lshlrev_b32_e32 v12, 5, v12
	;; [unrolled: 1-line block ×3, first 2 shown]
	v_and_b32_e32 v14, 0x1800, v14
	v_mov_b32_e32 v3, 0
	v_or3_b32 v12, v14, v13, v12
	s_waitcnt vmcnt(0)
	ds_write_b128 v12, v[8:11]
.LBB355_13:
	s_or_b64 exec, exec, s[14:15]
	s_mul_i32 s2, s8, s2
	s_mov_b32 s3, 0
	s_lshl_b64 s[2:3], s[2:3], 1
	s_add_u32 s0, s12, s2
	s_waitcnt vmcnt(3)
	v_mad_i64_i32 v[8:9], s[8:9], v7, s1, 0
	s_addc_u32 s12, s13, s3
	v_lshlrev_b64 v[8:9], 1, v[8:9]
	v_mov_b32_e32 v7, s12
	v_add_co_u32_e32 v8, vcc, s0, v8
	v_addc_co_u32_e32 v7, vcc, v7, v9, vcc
	v_lshlrev_b64 v[14:15], 1, v[2:3]
	v_add_co_u32_e32 v8, vcc, v8, v14
	v_lshlrev_b32_e32 v12, 9, v84
	v_addc_co_u32_e32 v7, vcc, v7, v15, vcc
	v_add_co_u32_e32 v2, vcc, v8, v12
	v_addc_co_u32_e32 v3, vcc, 0, v7, vcc
	v_or_b32_e32 v10, 0x1000, v12
	s_waitcnt lgkmcnt(0)
	s_barrier
	global_load_dwordx4 v[38:41], v[2:3], off
	global_load_dwordx4 v[34:37], v[2:3], off offset:2048
	v_add_co_u32_e32 v2, vcc, v8, v10
	v_addc_co_u32_e32 v3, vcc, 0, v7, vcc
	v_or_b32_e32 v11, 0x1800, v12
	v_add_co_u32_e32 v8, vcc, v8, v11
	v_addc_co_u32_e32 v9, vcc, 0, v7, vcc
	global_load_dwordx4 v[46:49], v[2:3], off
	global_load_dwordx4 v[58:61], v[8:9], off
	s_waitcnt vmcnt(6)
	v_mad_i64_i32 v[2:3], s[8:9], v6, s1, 0
	v_lshlrev_b64 v[2:3], 1, v[2:3]
	v_mov_b32_e32 v6, s12
	v_add_co_u32_e32 v2, vcc, s0, v2
	v_addc_co_u32_e32 v3, vcc, v6, v3, vcc
	v_mov_b32_e32 v6, 0x100
	v_lshl_or_b32 v8, v1, 4, v6
	v_add_co_u32_e32 v6, vcc, v2, v8
	v_addc_co_u32_e32 v7, vcc, 0, v3, vcc
	v_add_co_u32_e32 v2, vcc, v6, v12
	v_addc_co_u32_e32 v3, vcc, 0, v7, vcc
	global_load_dwordx4 v[74:77], v[2:3], off
	global_load_dwordx4 v[70:73], v[2:3], off offset:2048
	v_add_co_u32_e32 v2, vcc, v6, v10
	v_addc_co_u32_e32 v3, vcc, 0, v7, vcc
	v_add_co_u32_e32 v6, vcc, v6, v11
	v_addc_co_u32_e32 v7, vcc, 0, v7, vcc
	global_load_dwordx4 v[78:81], v[2:3], off
	global_load_dwordx4 v[66:69], v[6:7], off
	s_waitcnt vmcnt(9)
	v_mad_i64_i32 v[2:3], s[8:9], v5, s1, 0
	v_lshlrev_b64 v[2:3], 1, v[2:3]
	v_mov_b32_e32 v5, s12
	v_add_co_u32_e32 v2, vcc, s0, v2
	v_addc_co_u32_e32 v3, vcc, v5, v3, vcc
	v_add_co_u32_e32 v5, vcc, v2, v14
	buffer_store_dword v14, off, s[44:47], 0 ; 4-byte Folded Spill
	s_nop 0
	buffer_store_dword v15, off, s[44:47], 0 offset:4 ; 4-byte Folded Spill
	v_and_b32_e32 v94, 63, v0
	v_mov_b32_e32 v87, 0
	v_addc_co_u32_e32 v7, vcc, v3, v15, vcc
	v_add_co_u32_e32 v2, vcc, v5, v12
	v_addc_co_u32_e32 v3, vcc, 0, v7, vcc
	global_load_dwordx4 v[62:65], v[2:3], off
	global_load_dwordx4 v[42:45], v[2:3], off offset:2048
	v_add_co_u32_e32 v2, vcc, v5, v10
	v_addc_co_u32_e32 v3, vcc, 0, v7, vcc
	v_add_co_u32_e32 v6, vcc, v5, v11
	v_addc_co_u32_e32 v7, vcc, 0, v7, vcc
	global_load_dwordx4 v[26:29], v[2:3], off
	global_load_dwordx4 v[18:21], v[6:7], off
	s_waitcnt vmcnt(14)
	v_mad_i64_i32 v[2:3], s[8:9], v4, s1, 0
	v_lshlrev_b64 v[2:3], 1, v[2:3]
	v_mov_b32_e32 v4, s12
	v_add_co_u32_e32 v2, vcc, s0, v2
	v_addc_co_u32_e32 v3, vcc, v4, v3, vcc
	v_add_co_u32_e32 v4, vcc, v2, v8
	v_addc_co_u32_e32 v5, vcc, 0, v3, vcc
	;; [unrolled: 2-line block ×3, first 2 shown]
	global_load_dwordx4 v[14:17], v[2:3], off
	global_load_dwordx4 v[6:9], v[2:3], off offset:2048
	v_add_co_u32_e32 v2, vcc, v4, v10
	v_addc_co_u32_e32 v3, vcc, 0, v5, vcc
	v_add_co_u32_e32 v10, vcc, v4, v11
	v_addc_co_u32_e32 v11, vcc, 0, v5, vcc
	global_load_dwordx4 v[2:5], v[2:3], off
	s_nop 0
	global_load_dwordx4 v[50:53], v[10:11], off
	v_add_u32_e32 v10, -12, v1
	v_cmp_gt_u32_e32 vcc, 12, v1
	v_cndmask_b32_e32 v10, v10, v1, vcc
	v_lshl_add_u32 v54, v10, 5, v12
	ds_read_b128 v[30:33], v54
	ds_read_b128 v[22:25], v54 offset:2048
	ds_read_b128 v[10:13], v54 offset:4096
	;; [unrolled: 1-line block ×3, first 2 shown]
	s_and_saveexec_b64 s[8:9], vcc
	s_cbranch_execz .LBB355_15
; %bb.14:
	s_load_dwordx2 s[12:13], s[4:5], 0x40
	v_add_u32_e32 v82, s27, v1
	v_ashrrev_i32_e32 v83, 31, v82
	v_lshlrev_b64 v[82:83], 2, v[82:83]
	s_waitcnt lgkmcnt(0)
	v_mov_b32_e32 v87, s13
	v_add_co_u32_e32 v82, vcc, s12, v82
	v_addc_co_u32_e32 v83, vcc, v87, v83, vcc
	global_load_dword v87, v[82:83], off
.LBB355_15:
	s_or_b64 exec, exec, s[8:9]
	s_waitcnt vmcnt(17) lgkmcnt(3)
	v_mfma_f32_16x16x16bf16_1k v[88:91], v[38:39], v[30:31], 0
	s_ashr_i32 s0, s16, 31
	s_lshr_b32 s0, s0, 27
	s_add_u32 s2, s10, s2
	s_addc_u32 s3, s11, s3
	s_mov_b32 s40, 0xff7fffff
	v_mfma_f32_16x16x16bf16_1k v[38:41], v[40:41], v[32:33], v[88:91]
	s_waitcnt vmcnt(16) lgkmcnt(2)
	v_mfma_f32_16x16x16bf16_1k v[38:41], v[34:35], v[22:23], v[38:41]
	s_nop 4
	v_lshl_or_b32 v88, v85, 4, v1
	v_mfma_f32_16x16x16bf16_1k v[34:37], v[36:37], v[24:25], v[38:41]
	s_waitcnt vmcnt(15) lgkmcnt(1)
	v_mfma_f32_16x16x16bf16_1k v[34:37], v[46:47], v[10:11], v[34:37]
	v_and_or_b32 v46, v0, 48, s16
	s_nop 3
	v_add_u32_e32 v38, s0, v46
	v_ashrrev_i32_e32 v38, 5, v38
	v_mov_b32_e32 v47, s19
	v_cmp_gt_i32_e32 vcc, s33, v46
	v_cndmask_b32_e32 v38, v47, v38, vcc
	v_ashrrev_i32_e32 v39, 31, v38
	v_mfma_f32_16x16x16bf16_1k v[34:37], v[48:49], v[12:13], v[34:37]
	v_or_b32_e32 v40, 64, v46
	v_add_u32_e32 v41, s0, v40
	v_ashrrev_i32_e32 v41, 5, v41
	v_mov_b32_e32 v48, s18
	s_waitcnt vmcnt(14) lgkmcnt(0)
	v_mfma_f32_16x16x16bf16_1k v[34:37], v[58:59], v[54:55], v[34:37]
	v_mfma_f32_16x16x16bf16_1k v[58:61], v[60:61], v[56:57], v[34:37]
	s_waitcnt vmcnt(13)
	v_mfma_f32_16x16x16bf16_1k v[34:37], v[74:75], v[30:31], 0
	v_mfma_f32_16x16x16bf16_1k v[34:37], v[76:77], v[32:33], v[34:37]
	v_lshlrev_b32_e32 v76, 6, v88
	s_waitcnt vmcnt(12)
	v_mfma_f32_16x16x16bf16_1k v[34:37], v[70:71], v[22:23], v[34:37]
	v_mfma_f32_16x16x16bf16_1k v[34:37], v[72:73], v[24:25], v[34:37]
	s_waitcnt vmcnt(11)
	v_mfma_f32_16x16x16bf16_1k v[34:37], v[78:79], v[10:11], v[34:37]
	v_mfma_f32_16x16x16bf16_1k v[34:37], v[80:81], v[12:13], v[34:37]
	;; [unrolled: 3-line block ×3, first 2 shown]
	s_nop 7
	s_nop 1
	v_lshlrev_b64 v[34:35], 2, v[38:39]
	v_mov_b32_e32 v36, s18
	v_add_co_u32_e32 v38, vcc, s17, v34
	v_addc_co_u32_e32 v39, vcc, v36, v35, vcc
	v_cmp_gt_i32_e32 vcc, s33, v40
	v_cndmask_b32_e32 v40, v47, v41, vcc
	v_ashrrev_i32_e32 v41, 31, v40
	v_lshlrev_b64 v[40:41], 2, v[40:41]
	v_add_co_u32_e32 v40, vcc, s17, v40
	v_addc_co_u32_e32 v41, vcc, v48, v41, vcc
	global_load_dword v48, v[38:39], off
	s_nop 0
	global_load_dword v40, v[40:41], off
	v_or_b32_e32 v38, 0x80, v46
	v_add_u32_e32 v39, s0, v38
	v_ashrrev_i32_e32 v39, 5, v39
	v_cmp_gt_i32_e32 vcc, s33, v38
	v_cndmask_b32_e32 v38, v47, v39, vcc
	v_ashrrev_i32_e32 v39, 31, v38
	v_lshlrev_b64 v[38:39], 2, v[38:39]
	v_mov_b32_e32 v41, s18
	v_add_co_u32_e32 v38, vcc, s17, v38
	v_addc_co_u32_e32 v39, vcc, v41, v39, vcc
	s_waitcnt vmcnt(9)
	v_mfma_f32_16x16x16bf16_1k v[34:37], v[62:63], v[30:31], 0
	global_load_dword v62, v[38:39], off
	v_or_b32_e32 v38, 0xc0, v46
	v_add_u32_e32 v39, s0, v38
	v_ashrrev_i32_e32 v39, 5, v39
	v_cmp_gt_i32_e32 vcc, s33, v38
	v_cndmask_b32_e32 v38, v47, v39, vcc
	v_ashrrev_i32_e32 v39, 31, v38
	v_mfma_f32_16x16x16bf16_1k v[34:37], v[64:65], v[32:33], v[34:37]
	s_load_dword s0, s[4:5], 0x1c
	s_waitcnt lgkmcnt(0)
	v_pk_mul_f32 v[58:59], s[0:1], v[58:59] op_sel_hi:[0,1]
	s_waitcnt vmcnt(9)
	v_mfma_f32_16x16x16bf16_1k v[34:37], v[42:43], v[22:23], v[34:37]
	v_mfma_f32_16x16x16bf16_1k v[34:37], v[44:45], v[24:25], v[34:37]
	s_waitcnt vmcnt(8)
	v_mfma_f32_16x16x16bf16_1k v[34:37], v[26:27], v[10:11], v[34:37]
	v_lshlrev_b64 v[26:27], 2, v[38:39]
	v_mov_b32_e32 v39, s18
	v_add_co_u32_e32 v38, vcc, s17, v26
	v_addc_co_u32_e32 v39, vcc, v39, v27, vcc
	global_load_dword v63, v[38:39], off
	v_mfma_f32_16x16x16bf16_1k v[26:29], v[28:29], v[12:13], v[34:37]
	s_waitcnt vmcnt(8)
	v_mfma_f32_16x16x16bf16_1k v[26:29], v[18:19], v[54:55], v[26:29]
	s_nop 4
	v_and_b32_e32 v34, 16, v0
	v_lshlrev_b32_e32 v34, 1, v34
	v_mov_b32_e32 v18, s3
	v_add_co_u32_e32 v74, vcc, s2, v34
	v_addc_co_u32_e32 v75, vcc, 0, v18, vcc
	v_mfma_f32_16x16x16bf16_1k v[90:93], v[20:21], v[56:57], v[26:29]
	v_add_co_u32_e32 v77, vcc, v74, v76
	v_addc_co_u32_e32 v78, vcc, 0, v75, vcc
	s_waitcnt vmcnt(3)
	v_mad_i64_i32 v[18:19], s[2:3], v48, s1, 0
	v_lshlrev_b64 v[70:71], 1, v[18:19]
	v_mfma_f32_16x16x16bf16_1k v[18:21], v[14:15], v[30:31], 0
	v_add_co_u32_e32 v14, vcc, v77, v70
	v_addc_co_u32_e32 v15, vcc, v78, v71, vcc
	global_load_dwordx4 v[46:49], v[14:15], off
	global_load_dwordx4 v[42:45], v[14:15], off offset:16
	s_waitcnt vmcnt(4)
	v_mad_i64_i32 v[14:15], s[2:3], v40, s1, 0
	v_lshlrev_b64 v[72:73], 1, v[14:15]
	v_mfma_f32_16x16x16bf16_1k v[14:17], v[16:17], v[32:33], v[18:21]
	v_mfma_f32_16x16x16bf16_1k v[14:17], v[6:7], v[22:23], v[14:17]
	s_nop 5
	v_add_co_u32_e32 v18, vcc, v77, v72
	v_addc_co_u32_e32 v19, vcc, v78, v73, vcc
	global_load_dwordx4 v[38:41], v[18:19], off
	global_load_dwordx4 v[34:37], v[18:19], off offset:16
	s_waitcnt vmcnt(5)
	v_mad_i64_i32 v[18:19], s[2:3], v62, s1, 0
	v_lshlrev_b64 v[64:65], 1, v[18:19]
	v_add_co_u32_e32 v6, vcc, v77, v64
	v_addc_co_u32_e32 v7, vcc, v78, v65, vcc
	global_load_dwordx4 v[30:33], v[6:7], off
	global_load_dwordx4 v[26:29], v[6:7], off offset:16
	v_mfma_f32_16x16x16bf16_1k v[6:9], v[8:9], v[24:25], v[14:17]
	v_mfma_f32_16x16x16bf16_1k v[6:9], v[2:3], v[10:11], v[6:9]
	v_or_b32_e32 v2, 0x1000, v76
	s_waitcnt vmcnt(6)
	s_nop 3
	v_mad_i64_i32 v[14:15], s[2:3], v63, s1, 0
	v_mfma_f32_16x16x16bf16_1k v[10:13], v[4:5], v[12:13], v[6:9]
	v_lshlrev_b64 v[62:63], 1, v[14:15]
	v_add_co_u32_e32 v14, vcc, v77, v62
	v_addc_co_u32_e32 v15, vcc, v78, v63, vcc
	v_add_co_u32_e32 v89, vcc, v74, v2
	v_mfma_f32_16x16x16bf16_1k v[80:83], v[50:51], v[54:55], v[10:13]
	v_addc_co_u32_e32 v86, vcc, 0, v75, vcc
	v_pk_mul_f32 v[74:75], s[0:1], v[68:69] op_sel_hi:[0,1]
	v_pk_mul_f32 v[76:77], s[0:1], v[66:67] op_sel_hi:[0,1]
	;; [unrolled: 1-line block ×3, first 2 shown]
	v_add_co_u32_e32 v2, vcc, v89, v70
	v_mfma_f32_16x16x16bf16_1k v[50:53], v[52:53], v[56:57], v[80:83]
	v_addc_co_u32_e32 v3, vcc, v86, v71, vcc
	v_add_co_u32_e32 v70, vcc, v89, v72
	v_addc_co_u32_e32 v71, vcc, v86, v73, vcc
	global_load_dwordx4 v[22:25], v[14:15], off
	global_load_dwordx4 v[18:21], v[14:15], off offset:16
	s_nop 5
	v_pk_mul_f32 v[68:69], s[0:1], v[50:51] op_sel_hi:[0,1]
	v_and_b32_e32 v50, 0xc0, v0
	v_add_u32_e32 v50, s16, v50
	v_lshl_or_b32 v50, v84, 2, v50
	v_or_b32_e32 v51, 1, v50
	v_pk_mul_f32 v[66:67], s[0:1], v[52:53] op_sel_hi:[0,1]
	v_subrev_u32_e32 v52, s33, v51
	v_add_u32_e32 v54, 1, v52
	v_add_u32_e32 v55, 2, v52
	v_cvt_f32_i32_e32 v53, v52
	v_cvt_f32_i32_e32 v54, v54
	;; [unrolled: 1-line block ×3, first 2 shown]
	v_add_u32_e32 v56, 3, v52
	v_fma_f32 v58, v87, v53, v58
	v_fmac_f32_e32 v59, v87, v54
	v_fma_f32 v78, v87, v55, v78
	v_add_u32_e32 v53, 16, v52
	v_add_u32_e32 v54, 17, v52
	;; [unrolled: 1-line block ×3, first 2 shown]
	v_cvt_f32_i32_e32 v56, v56
	v_cvt_f32_i32_e32 v53, v53
	v_cvt_f32_i32_e32 v54, v54
	v_cvt_f32_i32_e32 v55, v55
	v_fmac_f32_e32 v79, v87, v56
	v_add_u32_e32 v56, 19, v52
	v_fma_f32 v76, v87, v53, v76
	v_fmac_f32_e32 v77, v87, v54
	v_fma_f32 v74, v87, v55, v74
	v_add_u32_e32 v53, 32, v52
	v_add_u32_e32 v54, 33, v52
	;; [unrolled: 1-line block ×3, first 2 shown]
	v_cvt_f32_i32_e32 v56, v56
	v_cvt_f32_i32_e32 v53, v53
	;; [unrolled: 1-line block ×4, first 2 shown]
	global_load_dwordx4 v[6:9], v[2:3], off
	s_nop 0
	global_load_dwordx4 v[2:5], v[2:3], off offset:16
	s_nop 0
	global_load_dwordx4 v[14:17], v[70:71], off
	global_load_dwordx4 v[10:13], v[70:71], off offset:16
	v_pk_mul_f32 v[70:71], s[0:1], v[92:93] op_sel_hi:[0,1]
	v_pk_mul_f32 v[72:73], s[0:1], v[90:91] op_sel_hi:[0,1]
	v_fmac_f32_e32 v75, v87, v56
	v_add_u32_e32 v56, 35, v52
	v_fma_f32 v72, v87, v53, v72
	v_fmac_f32_e32 v73, v87, v54
	v_fma_f32 v70, v87, v55, v70
	v_add_u32_e32 v53, 48, v52
	v_add_u32_e32 v54, 49, v52
	;; [unrolled: 1-line block ×4, first 2 shown]
	v_cvt_f32_i32_e32 v52, v52
	v_cvt_f32_i32_e32 v53, v53
	;; [unrolled: 1-line block ×3, first 2 shown]
	v_cmp_gt_i32_e64 s[28:29], s33, v50
	v_fmac_f32_e32 v67, v87, v52
	v_mov_b32_e32 v52, 0xff7fffff
	v_cmp_gt_i32_e64 s[30:31], s33, v51
	v_fma_f32 v68, v87, v53, v68
	v_cndmask_b32_e64 v53, v52, v58, s[28:29]
	v_cndmask_b32_e64 v51, v52, v59, s[30:31]
	v_fmac_f32_e32 v69, v87, v54
	v_max3_f32 v51, v53, s40, v51
	v_or_b32_e32 v53, 2, v50
	v_or_b32_e32 v54, 3, v50
	v_cmp_gt_i32_e64 s[34:35], s33, v53
	v_cmp_gt_i32_e64 s[36:37], s33, v54
	v_cndmask_b32_e64 v53, v52, v78, s[34:35]
	v_cndmask_b32_e64 v54, v52, v79, s[36:37]
	v_max3_f32 v51, v51, v53, v54
	v_or_b32_e32 v53, 16, v50
	v_or_b32_e32 v54, 17, v50
	v_cmp_gt_i32_e64 s[22:23], s33, v53
	v_cmp_gt_i32_e64 s[24:25], s33, v54
	v_cndmask_b32_e64 v53, v52, v76, s[22:23]
	v_cndmask_b32_e64 v54, v52, v77, s[24:25]
	;; [unrolled: 7-line block ×3, first 2 shown]
	v_cvt_f32_i32_e32 v56, v56
	v_max3_f32 v51, v51, v53, v54
	v_or_b32_e32 v53, 32, v50
	v_or_b32_e32 v54, 33, v50
	v_cmp_gt_i32_e64 s[14:15], s33, v53
	v_cmp_gt_i32_e64 s[16:17], s33, v54
	v_cndmask_b32_e64 v53, v52, v72, s[14:15]
	v_cndmask_b32_e64 v54, v52, v73, s[16:17]
	v_max3_f32 v51, v51, v53, v54
	v_or_b32_e32 v53, 34, v50
	v_or_b32_e32 v54, 35, v50
	v_fmac_f32_e32 v71, v87, v56
	v_cmp_gt_i32_e64 s[10:11], s33, v53
	v_cmp_gt_i32_e64 s[12:13], s33, v54
	v_cndmask_b32_e64 v53, v52, v70, s[10:11]
	v_cndmask_b32_e64 v54, v52, v71, s[12:13]
	v_cvt_f32_i32_e32 v55, v55
	v_max3_f32 v51, v51, v53, v54
	v_or_b32_e32 v53, 48, v50
	v_or_b32_e32 v54, 49, v50
	v_cmp_gt_i32_e64 s[2:3], s33, v53
	v_cmp_gt_i32_e64 s[8:9], s33, v54
	v_cndmask_b32_e64 v53, v52, v68, s[2:3]
	v_cndmask_b32_e64 v54, v52, v69, s[8:9]
	v_max3_f32 v51, v51, v53, v54
	v_or_b32_e32 v53, 50, v50
	v_or_b32_e32 v50, 51, v50
	v_fma_f32 v66, v87, v55, v66
	v_cmp_gt_i32_e32 vcc, s33, v53
	v_cmp_gt_i32_e64 s[0:1], s33, v50
	v_cndmask_b32_e32 v53, v52, v66, vcc
	v_cndmask_b32_e64 v50, v52, v67, s[0:1]
	v_max3_f32 v60, v51, v53, v50
	v_mbcnt_lo_u32_b32 v50, -1, 0
	v_mbcnt_hi_u32_b32 v61, -1, v50
	v_and_b32_e32 v50, 64, v61
	v_add_u32_e32 v80, 64, v50
	v_xor_b32_e32 v50, 32, v61
	v_cmp_lt_i32_e64 s[38:39], v50, v80
	v_cndmask_b32_e64 v50, v61, v50, s[38:39]
	v_lshlrev_b32_e32 v82, 2, v50
	ds_bpermute_b32 v81, v82, v60
	v_add_co_u32_e64 v50, s[38:39], v89, v64
	v_addc_co_u32_e64 v51, s[38:39], v86, v65, s[38:39]
	s_waitcnt lgkmcnt(0)
	v_max_f32_e32 v64, v81, v81
	v_max_f32_e32 v64, v60, v64
	v_xor_b32_e32 v60, 16, v61
	v_cmp_lt_i32_e64 s[38:39], v60, v80
	v_cndmask_b32_e64 v60, v61, v60, s[38:39]
	v_lshlrev_b32_e32 v83, 2, v60
	ds_bpermute_b32 v65, v83, v64
	v_add_co_u32_e64 v60, s[38:39], v89, v62
	v_addc_co_u32_e64 v61, s[38:39], v86, v63, s[38:39]
	s_waitcnt lgkmcnt(0)
	v_max_f32_e32 v62, v65, v65
	v_max_f32_e32 v87, v64, v62
	v_sub_f32_e32 v58, v58, v87
	v_mul_f32_e32 v58, 0x3fb8aa3b, v58
	v_exp_f32_e32 v80, v58
	v_sub_f32_e32 v58, v59, v87
	v_mul_f32_e32 v58, 0x3fb8aa3b, v58
	global_load_dwordx4 v[54:57], v[50:51], off
	s_nop 0
	global_load_dwordx4 v[50:53], v[50:51], off offset:16
	v_exp_f32_e32 v81, v58
	global_load_dwordx4 v[62:65], v[60:61], off
	s_nop 0
	global_load_dwordx4 v[58:61], v[60:61], off offset:16
	v_sub_f32_e32 v78, v78, v87
	v_mul_f32_e32 v78, 0x3fb8aa3b, v78
	v_sub_f32_e32 v79, v79, v87
	v_exp_f32_e32 v78, v78
	v_mul_f32_e32 v79, 0x3fb8aa3b, v79
	v_sub_f32_e32 v76, v76, v87
	v_exp_f32_e32 v79, v79
	v_mul_f32_e32 v76, 0x3fb8aa3b, v76
	v_sub_f32_e32 v77, v77, v87
	v_cndmask_b32_e64 v80, 0, v80, s[28:29]
	v_exp_f32_e32 v76, v76
	v_mul_f32_e32 v77, 0x3fb8aa3b, v77
	v_sub_f32_e32 v74, v74, v87
	v_add_f32_e32 v86, 0, v80
	v_cndmask_b32_e64 v81, 0, v81, s[30:31]
	v_exp_f32_e32 v77, v77
	v_mul_f32_e32 v74, 0x3fb8aa3b, v74
	v_sub_f32_e32 v75, v75, v87
	v_add_f32_e32 v86, v86, v81
	;; [unrolled: 5-line block ×10, first 2 shown]
	v_cndmask_b32_e64 v70, 0, v70, s[10:11]
	v_exp_f32_e32 v66, v66
	v_mul_f32_e32 v67, 0x3fb8aa3b, v67
	v_add_f32_e32 v86, v86, v70
	v_cndmask_b32_e64 v71, 0, v71, s[12:13]
	v_exp_f32_e32 v67, v67
	v_add_f32_e32 v86, v86, v71
	v_cndmask_b32_e64 v68, 0, v68, s[2:3]
	v_add_f32_e32 v86, v86, v68
	v_cndmask_b32_e64 v69, 0, v69, s[8:9]
	v_add_f32_e32 v86, v86, v69
	v_cndmask_b32_e32 v66, 0, v66, vcc
	v_add_f32_e32 v86, v86, v66
	v_cndmask_b32_e64 v67, 0, v67, s[0:1]
	v_add_f32_e32 v86, v86, v67
	ds_bpermute_b32 v82, v82, v86
	s_load_dword s3, s[4:5], 0x98
	v_cmp_gt_u32_e32 vcc, 16, v94
	s_waitcnt lgkmcnt(0)
	s_barrier
	v_add_f32_e32 v89, v86, v82
	ds_bpermute_b32 v90, v83, v89
	s_waitcnt lgkmcnt(0)
	s_and_saveexec_b64 s[0:1], vcc
	s_cbranch_execz .LBB355_17
; %bb.16:
	v_add_f32_e32 v82, v89, v90
	v_lshlrev_b32_e32 v83, 2, v88
	ds_write2st64_b32 v83, v87, v82 offset1:1
.LBB355_17:
	s_or_b64 exec, exec, s[0:1]
	v_lshlrev_b32_e32 v87, 2, v1
	s_load_dword s2, s[4:5], 0x94
	s_waitcnt lgkmcnt(0)
	s_barrier
	ds_read2_b32 v[82:83], v87 offset1:16
	ds_read2_b32 v[88:89], v87 offset0:32 offset1:48
	ds_read2_b32 v[90:91], v87 offset0:64 offset1:80
	s_movk_i32 s8, 0x7fff
	s_mov_b32 s9, 0x7060302
	s_waitcnt lgkmcnt(2)
	v_max3_f32 v86, v82, s40, v83
	s_waitcnt lgkmcnt(1)
	v_max3_f32 v86, v86, v88, v89
	v_sub_f32_e32 v82, v82, v86
	v_mul_f32_e32 v82, 0x3fb8aa3b, v82
	v_exp_f32_e32 v92, v82
	v_sub_f32_e32 v82, v83, v86
	v_mul_f32_e32 v82, 0x3fb8aa3b, v82
	v_exp_f32_e32 v93, v82
	;; [unrolled: 3-line block ×3, first 2 shown]
	ds_read2_b32 v[82:83], v87 offset0:96 offset1:112
	v_sub_f32_e32 v87, v89, v86
	v_mul_f32_e32 v87, 0x3fb8aa3b, v87
	v_exp_f32_e32 v89, v87
	s_waitcnt lgkmcnt(1)
	v_fma_f32 v87, v92, v90, 0
	v_fmac_f32_e32 v87, v93, v91
	s_waitcnt lgkmcnt(0)
	v_fmac_f32_e32 v87, v88, v82
	v_fmac_f32_e32 v87, v89, v83
	v_add_f32_e32 v82, 0x358637bd, v87
	v_div_scale_f32 v83, s[0:1], v82, v82, 1.0
	v_rcp_f32_e32 v90, v83
	s_mul_i32 s3, s3, 12
	s_barrier
	v_fma_f32 v91, -v83, v90, 1.0
	v_fmac_f32_e32 v90, v91, v90
	v_div_scale_f32 v91, vcc, 1.0, v82, 1.0
	v_mul_f32_e32 v94, v91, v90
	v_fma_f32 v95, -v83, v94, v91
	v_fmac_f32_e32 v94, v95, v90
	v_fma_f32 v83, -v83, v94, v91
	v_div_fmas_f32 v83, v83, v90, v94
	v_cmp_eq_u32_e32 vcc, 1, v85
	v_div_fixup_f32 v82, v83, v82, 1.0
	v_cndmask_b32_e32 v83, v92, v93, vcc
	v_cmp_eq_u32_e32 vcc, 2, v85
	v_cndmask_b32_e32 v83, v83, v88, vcc
	v_cmp_eq_u32_e32 vcc, 3, v85
	v_cndmask_b32_e32 v83, v83, v89, vcc
	v_mul_f32_e32 v82, v83, v82
	v_pk_mul_f32 v[80:81], v[82:83], v[80:81] op_sel_hi:[0,1]
	v_pk_mul_f32 v[78:79], v[82:83], v[78:79] op_sel_hi:[0,1]
	v_bfe_u32 v83, v81, 16, 1
	v_bfe_u32 v88, v80, 16, 1
	v_add3_u32 v80, v80, v88, s8
	v_add3_u32 v81, v81, v83, s8
	v_perm_b32 v80, v81, v80, s9
	v_bfe_u32 v81, v79, 16, 1
	v_bfe_u32 v83, v78, 16, 1
	v_add3_u32 v78, v78, v83, s8
	v_add3_u32 v79, v79, v81, s8
	v_lshlrev_b32_e32 v83, 11, v85
	v_perm_b32 v81, v79, v78, s9
	v_lshlrev_b32_e32 v78, 3, v84
	v_lshlrev_b32_e32 v79, 5, v1
	v_pk_mul_f32 v[76:77], v[82:83], v[76:77] op_sel_hi:[0,1]
	v_or3_b32 v78, v83, v79, v78
	v_pk_mul_f32 v[74:75], v[82:83], v[74:75] op_sel_hi:[0,1]
	v_bfe_u32 v83, v77, 16, 1
	v_bfe_u32 v85, v76, 16, 1
	v_add3_u32 v76, v76, v85, s8
	v_add3_u32 v77, v77, v83, s8
	v_perm_b32 v76, v77, v76, s9
	v_bfe_u32 v77, v75, 16, 1
	v_bfe_u32 v83, v74, 16, 1
	v_add3_u32 v74, v74, v83, s8
	v_add3_u32 v75, v75, v77, s8
	v_pk_mul_f32 v[72:73], v[82:83], v[72:73] op_sel_hi:[0,1]
	v_perm_b32 v77, v75, v74, s9
	v_bfe_u32 v74, v73, 16, 1
	v_bfe_u32 v75, v72, 16, 1
	v_pk_mul_f32 v[70:71], v[82:83], v[70:71] op_sel_hi:[0,1]
	v_add3_u32 v72, v72, v75, s8
	v_add3_u32 v73, v73, v74, s8
	v_perm_b32 v72, v73, v72, s9
	v_bfe_u32 v73, v71, 16, 1
	v_bfe_u32 v74, v70, 16, 1
	v_add3_u32 v70, v70, v74, s8
	v_add3_u32 v71, v71, v73, s8
	v_pk_mul_f32 v[68:69], v[82:83], v[68:69] op_sel_hi:[0,1]
	v_perm_b32 v73, v71, v70, s9
	v_bfe_u32 v70, v69, 16, 1
	v_bfe_u32 v71, v68, 16, 1
	v_pk_mul_f32 v[66:67], v[82:83], v[66:67] op_sel_hi:[0,1]
	v_add3_u32 v68, v68, v71, s8
	v_add3_u32 v69, v69, v70, s8
	v_perm_b32 v68, v69, v68, s9
	v_bfe_u32 v69, v67, 16, 1
	v_bfe_u32 v70, v66, 16, 1
	v_add3_u32 v66, v66, v70, s8
	v_add3_u32 v67, v67, v69, s8
	v_perm_b32 v69, v67, v66, s9
	v_cmp_gt_u32_e32 vcc, 12, v0
	ds_write2st64_b64 v78, v[80:81], v[76:77] offset1:1
	ds_write2st64_b64 v78, v[72:73], v[68:69] offset0:2 offset1:3
	s_and_saveexec_b64 s[0:1], vcc
	s_cbranch_execz .LBB355_19
; %bb.18:
	v_add_co_u32_e32 v68, vcc, s27, v1
	v_addc_co_u32_e64 v69, s[10:11], 0, 0, vcc
	v_mov_b32_e32 v66, s3
	v_mov_b32_e32 v67, 0
	v_mad_u64_u32 v[68:69], s[10:11], s6, v66, v[68:69]
	v_mov_b32_e32 v66, s26
	s_load_dwordx4 s[12:15], s[4:5], 0x58
	s_mul_i32 s7, s7, s3
	v_mad_u64_u32 v[66:67], s[10:11], v68, s2, v[66:67]
	v_add_u32_e32 v69, s7, v69
	v_mov_b32_e32 v68, v67
	v_mad_u64_u32 v[68:69], s[10:11], v69, s2, v[68:69]
	v_mov_b32_e32 v67, v68
	v_lshlrev_b64 v[66:67], 2, v[66:67]
	s_waitcnt lgkmcnt(0)
	v_mov_b32_e32 v69, s15
	v_add_co_u32_e32 v68, vcc, s14, v66
	v_addc_co_u32_e32 v69, vcc, v69, v67, vcc
	global_store_dword v[68:69], v86, off
	v_mov_b32_e32 v68, s13
	v_add_co_u32_e32 v66, vcc, s12, v66
	v_addc_co_u32_e32 v67, vcc, v68, v67, vcc
	global_store_dword v[66:67], v87, off
.LBB355_19:
	s_or_b64 exec, exec, s[0:1]
	v_lshl_or_b32 v79, v84, 9, v79
	s_waitcnt lgkmcnt(0)
	s_barrier
	ds_read_b128 v[70:73], v79
	ds_read_b128 v[66:69], v79 offset:16
	s_waitcnt vmcnt(15) lgkmcnt(1)
	v_mfma_f32_16x16x16bf16_1k v[74:77], v[46:47], v[70:71], 0
	s_mov_b32 s1, 0
	v_cmp_gt_u32_e32 vcc, 64, v0
	v_mfma_f32_16x16x16bf16_1k v[46:49], v[48:49], v[72:73], v[74:77]
	s_waitcnt vmcnt(14) lgkmcnt(0)
	v_mfma_f32_16x16x16bf16_1k v[46:49], v[42:43], v[66:67], v[46:49]
	v_mfma_f32_16x16x16bf16_1k v[42:45], v[44:45], v[68:69], v[46:49]
	s_nop 7
	s_nop 1
	ds_read_b128 v[46:49], v79 offset:2048
	ds_read_b128 v[74:77], v79 offset:2064
	s_waitcnt vmcnt(13) lgkmcnt(1)
	v_mfma_f32_16x16x16bf16_1k v[42:45], v[38:39], v[46:47], v[42:45]
	v_mfma_f32_16x16x16bf16_1k v[38:41], v[40:41], v[48:49], v[42:45]
	s_waitcnt vmcnt(12) lgkmcnt(0)
	v_mfma_f32_16x16x16bf16_1k v[38:41], v[34:35], v[74:75], v[38:41]
	v_mfma_f32_16x16x16bf16_1k v[34:37], v[36:37], v[76:77], v[38:41]
	s_nop 7
	s_nop 1
	ds_read_b128 v[38:41], v79 offset:4096
	ds_read_b128 v[42:45], v79 offset:4112
	s_waitcnt vmcnt(11) lgkmcnt(1)
	v_mfma_f32_16x16x16bf16_1k v[34:37], v[30:31], v[38:39], v[34:37]
	v_mfma_f32_16x16x16bf16_1k v[30:33], v[32:33], v[40:41], v[34:37]
	s_waitcnt vmcnt(10) lgkmcnt(0)
	v_mfma_f32_16x16x16bf16_1k v[30:33], v[26:27], v[42:43], v[30:33]
	v_mfma_f32_16x16x16bf16_1k v[26:29], v[28:29], v[44:45], v[30:33]
	s_nop 7
	s_nop 1
	ds_read_b128 v[30:33], v79 offset:6144
	ds_read_b128 v[34:37], v79 offset:6160
	s_waitcnt lgkmcnt(0)
	s_barrier
	s_waitcnt vmcnt(9)
	v_mfma_f32_16x16x16bf16_1k v[26:29], v[22:23], v[30:31], v[26:29]
	v_mfma_f32_16x16x16bf16_1k v[22:25], v[24:25], v[32:33], v[26:29]
	s_waitcnt vmcnt(8)
	v_mfma_f32_16x16x16bf16_1k v[22:25], v[18:19], v[34:35], v[22:25]
	v_mfma_f32_16x16x16bf16_1k v[18:21], v[20:21], v[36:37], v[22:25]
	;; [unrolled: 3-line block ×4, first 2 shown]
	s_waitcnt vmcnt(5)
	v_mfma_f32_16x16x16bf16_1k v[2:5], v[14:15], v[46:47], v[2:5]
	s_nop 7
	v_bfe_u32 v6, v19, 16, 1
	v_bfe_u32 v7, v18, 16, 1
	v_add3_u32 v7, v18, v7, s8
	v_add3_u32 v6, v19, v6, s8
	v_perm_b32 v6, v6, v7, s9
	v_bfe_u32 v7, v21, 16, 1
	v_bfe_u32 v8, v20, 16, 1
	v_mfma_f32_16x16x16bf16_1k v[2:5], v[16:17], v[48:49], v[2:5]
	v_add3_u32 v8, v20, v8, s8
	v_add3_u32 v7, v21, v7, s8
	v_perm_b32 v7, v7, v8, s9
	s_waitcnt vmcnt(4)
	v_mfma_f32_16x16x16bf16_1k v[2:5], v[10:11], v[74:75], v[2:5]
	v_mfma_f32_16x16x16bf16_1k v[2:5], v[12:13], v[76:77], v[2:5]
	s_waitcnt vmcnt(3)
	v_mfma_f32_16x16x16bf16_1k v[2:5], v[54:55], v[38:39], v[2:5]
	v_mfma_f32_16x16x16bf16_1k v[2:5], v[56:57], v[40:41], v[2:5]
	;; [unrolled: 3-line block ×5, first 2 shown]
	s_nop 7
	s_nop 2
	v_bfe_u32 v8, v3, 16, 1
	v_bfe_u32 v9, v2, 16, 1
	v_add3_u32 v2, v2, v9, s8
	v_add3_u32 v3, v3, v8, s8
	v_perm_b32 v2, v3, v2, s9
	v_bfe_u32 v3, v5, 16, 1
	v_bfe_u32 v8, v4, 16, 1
	v_add3_u32 v4, v4, v8, s8
	v_add3_u32 v3, v5, v3, s8
	v_perm_b32 v3, v3, v4, s9
	ds_write2st64_b64 v78, v[6:7], v[2:3] offset1:1
	s_waitcnt lgkmcnt(0)
	s_barrier
	s_and_saveexec_b64 s[8:9], vcc
	s_cbranch_execz .LBB355_21
; %bb.20:
	v_lshlrev_b32_e32 v1, 6, v1
	v_lshlrev_b32_e32 v3, 4, v0
	v_lshl_or_b32 v0, v0, 10, v1
	v_lshlrev_b32_e32 v2, 5, v84
	v_and_b32_e32 v3, 16, v3
	v_and_b32_e32 v0, 0x1a00, v0
	v_or3_b32 v8, v0, v2, v3
	ds_read_b128 v[0:3], v8
	ds_read_b128 v[4:7], v8 offset:128
	ds_read_b128 v[8:11], v8 offset:256
	buffer_load_dword v16, off, s[44:47], 0 ; 4-byte Folded Reload
	buffer_load_dword v17, off, s[44:47], 0 offset:4 ; 4-byte Folded Reload
	s_load_dwordx2 s[4:5], s[4:5], 0x68
	s_lshl_b32 s7, s2, 7
	s_mul_i32 s0, s3, s6
	s_mul_hi_u32 s3, s0, s7
	s_mul_i32 s2, s0, s7
	s_lshl_b64 s[2:3], s[2:3], 1
	s_waitcnt lgkmcnt(0)
	s_add_u32 s2, s4, s2
	s_addc_u32 s3, s5, s3
	s_lshl_b32 s0, s26, 7
	s_lshl_b64 s[0:1], s[0:1], 1
	s_add_u32 s0, s2, s0
	s_addc_u32 s1, s3, s1
	v_or_b32_e32 v14, s27, v84
	v_mov_b32_e32 v12, s1
	s_waitcnt vmcnt(1)
	v_add_co_u32_e32 v15, vcc, s0, v16
	s_waitcnt vmcnt(0)
	v_addc_co_u32_e32 v16, vcc, v12, v17, vcc
	v_mad_u64_u32 v[12:13], s[0:1], v14, s7, 0
	v_lshlrev_b64 v[12:13], 1, v[12:13]
	v_add_co_u32_e32 v12, vcc, v15, v12
	v_addc_co_u32_e32 v13, vcc, v16, v13, vcc
	global_store_dwordx4 v[12:13], v[0:3], off
	s_nop 0
	v_add_u32_e32 v0, 4, v14
	v_mad_u64_u32 v[0:1], s[0:1], v0, s7, 0
	v_lshlrev_b64 v[0:1], 1, v[0:1]
	v_add_co_u32_e32 v0, vcc, v15, v0
	v_addc_co_u32_e32 v1, vcc, v16, v1, vcc
	global_store_dwordx4 v[0:1], v[4:7], off
	v_add_u32_e32 v0, 8, v14
	v_mad_u64_u32 v[0:1], s[0:1], v0, s7, 0
	v_lshlrev_b64 v[0:1], 1, v[0:1]
	v_add_co_u32_e32 v0, vcc, v15, v0
	v_addc_co_u32_e32 v1, vcc, v16, v1, vcc
	global_store_dwordx4 v[0:1], v[8:11], off
.LBB355_21:
	s_endpgm
	.section	.rodata,"a",@progbits
	.p2align	6, 0x0
	.amdhsa_kernel _Z39paged_attention_ll4mi_QKV_mfma16_kernelI14__hip_bfloat16S0_LN4vllm18Fp8KVCacheDataTypeE0ES0_Li32ELi128ELi256ELb1ELi12EL8MFMAType0EEvPKT_PKT0_S9_ifPKiSB_SB_iPKfiiiPfSE_PS4_PT2_iSD_SD_
		.amdhsa_group_segment_fixed_size 8192
		.amdhsa_private_segment_fixed_size 12
		.amdhsa_kernarg_size 400
		.amdhsa_user_sgpr_count 6
		.amdhsa_user_sgpr_private_segment_buffer 1
		.amdhsa_user_sgpr_dispatch_ptr 0
		.amdhsa_user_sgpr_queue_ptr 0
		.amdhsa_user_sgpr_kernarg_segment_ptr 1
		.amdhsa_user_sgpr_dispatch_id 0
		.amdhsa_user_sgpr_flat_scratch_init 0
		.amdhsa_user_sgpr_kernarg_preload_length 0
		.amdhsa_user_sgpr_kernarg_preload_offset 0
		.amdhsa_user_sgpr_private_segment_size 0
		.amdhsa_uses_dynamic_stack 0
		.amdhsa_system_sgpr_private_segment_wavefront_offset 1
		.amdhsa_system_sgpr_workgroup_id_x 1
		.amdhsa_system_sgpr_workgroup_id_y 1
		.amdhsa_system_sgpr_workgroup_id_z 1
		.amdhsa_system_sgpr_workgroup_info 0
		.amdhsa_system_vgpr_workitem_id 0
		.amdhsa_next_free_vgpr 96
		.amdhsa_next_free_sgpr 48
		.amdhsa_accum_offset 96
		.amdhsa_reserve_vcc 1
		.amdhsa_reserve_flat_scratch 0
		.amdhsa_float_round_mode_32 0
		.amdhsa_float_round_mode_16_64 0
		.amdhsa_float_denorm_mode_32 3
		.amdhsa_float_denorm_mode_16_64 3
		.amdhsa_dx10_clamp 1
		.amdhsa_ieee_mode 1
		.amdhsa_fp16_overflow 0
		.amdhsa_tg_split 0
		.amdhsa_exception_fp_ieee_invalid_op 0
		.amdhsa_exception_fp_denorm_src 0
		.amdhsa_exception_fp_ieee_div_zero 0
		.amdhsa_exception_fp_ieee_overflow 0
		.amdhsa_exception_fp_ieee_underflow 0
		.amdhsa_exception_fp_ieee_inexact 0
		.amdhsa_exception_int_div_zero 0
	.end_amdhsa_kernel
	.section	.text._Z39paged_attention_ll4mi_QKV_mfma16_kernelI14__hip_bfloat16S0_LN4vllm18Fp8KVCacheDataTypeE0ES0_Li32ELi128ELi256ELb1ELi12EL8MFMAType0EEvPKT_PKT0_S9_ifPKiSB_SB_iPKfiiiPfSE_PS4_PT2_iSD_SD_,"axG",@progbits,_Z39paged_attention_ll4mi_QKV_mfma16_kernelI14__hip_bfloat16S0_LN4vllm18Fp8KVCacheDataTypeE0ES0_Li32ELi128ELi256ELb1ELi12EL8MFMAType0EEvPKT_PKT0_S9_ifPKiSB_SB_iPKfiiiPfSE_PS4_PT2_iSD_SD_,comdat
.Lfunc_end355:
	.size	_Z39paged_attention_ll4mi_QKV_mfma16_kernelI14__hip_bfloat16S0_LN4vllm18Fp8KVCacheDataTypeE0ES0_Li32ELi128ELi256ELb1ELi12EL8MFMAType0EEvPKT_PKT0_S9_ifPKiSB_SB_iPKfiiiPfSE_PS4_PT2_iSD_SD_, .Lfunc_end355-_Z39paged_attention_ll4mi_QKV_mfma16_kernelI14__hip_bfloat16S0_LN4vllm18Fp8KVCacheDataTypeE0ES0_Li32ELi128ELi256ELb1ELi12EL8MFMAType0EEvPKT_PKT0_S9_ifPKiSB_SB_iPKfiiiPfSE_PS4_PT2_iSD_SD_
                                        ; -- End function
	.section	.AMDGPU.csdata,"",@progbits
; Kernel info:
; codeLenInByte = 5404
; NumSgprs: 52
; NumVgprs: 96
; NumAgprs: 0
; TotalNumVgprs: 96
; ScratchSize: 12
; MemoryBound: 0
; FloatMode: 240
; IeeeMode: 1
; LDSByteSize: 8192 bytes/workgroup (compile time only)
; SGPRBlocks: 6
; VGPRBlocks: 11
; NumSGPRsForWavesPerEU: 52
; NumVGPRsForWavesPerEU: 96
; AccumOffset: 96
; Occupancy: 5
; WaveLimiterHint : 1
; COMPUTE_PGM_RSRC2:SCRATCH_EN: 1
; COMPUTE_PGM_RSRC2:USER_SGPR: 6
; COMPUTE_PGM_RSRC2:TRAP_HANDLER: 0
; COMPUTE_PGM_RSRC2:TGID_X_EN: 1
; COMPUTE_PGM_RSRC2:TGID_Y_EN: 1
; COMPUTE_PGM_RSRC2:TGID_Z_EN: 1
; COMPUTE_PGM_RSRC2:TIDIG_COMP_CNT: 0
; COMPUTE_PGM_RSRC3_GFX90A:ACCUM_OFFSET: 23
; COMPUTE_PGM_RSRC3_GFX90A:TG_SPLIT: 0
	.section	.text._Z39paged_attention_ll4mi_QKV_mfma16_kernelI14__hip_bfloat16S0_LN4vllm18Fp8KVCacheDataTypeE0ES0_Li32ELi128ELi256ELb1ELi13EL8MFMAType0EEvPKT_PKT0_S9_ifPKiSB_SB_iPKfiiiPfSE_PS4_PT2_iSD_SD_,"axG",@progbits,_Z39paged_attention_ll4mi_QKV_mfma16_kernelI14__hip_bfloat16S0_LN4vllm18Fp8KVCacheDataTypeE0ES0_Li32ELi128ELi256ELb1ELi13EL8MFMAType0EEvPKT_PKT0_S9_ifPKiSB_SB_iPKfiiiPfSE_PS4_PT2_iSD_SD_,comdat
	.protected	_Z39paged_attention_ll4mi_QKV_mfma16_kernelI14__hip_bfloat16S0_LN4vllm18Fp8KVCacheDataTypeE0ES0_Li32ELi128ELi256ELb1ELi13EL8MFMAType0EEvPKT_PKT0_S9_ifPKiSB_SB_iPKfiiiPfSE_PS4_PT2_iSD_SD_ ; -- Begin function _Z39paged_attention_ll4mi_QKV_mfma16_kernelI14__hip_bfloat16S0_LN4vllm18Fp8KVCacheDataTypeE0ES0_Li32ELi128ELi256ELb1ELi13EL8MFMAType0EEvPKT_PKT0_S9_ifPKiSB_SB_iPKfiiiPfSE_PS4_PT2_iSD_SD_
	.globl	_Z39paged_attention_ll4mi_QKV_mfma16_kernelI14__hip_bfloat16S0_LN4vllm18Fp8KVCacheDataTypeE0ES0_Li32ELi128ELi256ELb1ELi13EL8MFMAType0EEvPKT_PKT0_S9_ifPKiSB_SB_iPKfiiiPfSE_PS4_PT2_iSD_SD_
	.p2align	8
	.type	_Z39paged_attention_ll4mi_QKV_mfma16_kernelI14__hip_bfloat16S0_LN4vllm18Fp8KVCacheDataTypeE0ES0_Li32ELi128ELi256ELb1ELi13EL8MFMAType0EEvPKT_PKT0_S9_ifPKiSB_SB_iPKfiiiPfSE_PS4_PT2_iSD_SD_,@function
_Z39paged_attention_ll4mi_QKV_mfma16_kernelI14__hip_bfloat16S0_LN4vllm18Fp8KVCacheDataTypeE0ES0_Li32ELi128ELi256ELb1ELi13EL8MFMAType0EEvPKT_PKT0_S9_ifPKiSB_SB_iPKfiiiPfSE_PS4_PT2_iSD_SD_: ; @_Z39paged_attention_ll4mi_QKV_mfma16_kernelI14__hip_bfloat16S0_LN4vllm18Fp8KVCacheDataTypeE0ES0_Li32ELi128ELi256ELb1ELi13EL8MFMAType0EEvPKT_PKT0_S9_ifPKiSB_SB_iPKfiiiPfSE_PS4_PT2_iSD_SD_
; %bb.0:
	s_mov_b64 s[46:47], s[2:3]
	s_mov_b64 s[44:45], s[0:1]
	s_load_dwordx2 s[0:1], s[4:5], 0x30
	s_add_u32 s44, s44, s9
	s_addc_u32 s45, s45, 0
	s_mov_b32 s26, s7
	s_mov_b64 s[10:11], 0
	s_waitcnt lgkmcnt(0)
	s_cmp_lg_u64 s[0:1], 0
	s_cselect_b64 s[2:3], -1, 0
	s_and_b64 vcc, exec, s[2:3]
	s_cbranch_vccz .LBB356_7
; %bb.1:
	s_add_i32 s12, s6, 1
	s_mov_b32 s13, 0
	s_lshl_b64 s[14:15], s[12:13], 2
	s_add_u32 s14, s0, s14
	s_mov_b32 s7, s13
	s_addc_u32 s15, s1, s15
	s_lshl_b64 s[12:13], s[6:7], 2
	s_add_u32 s12, s0, s12
	s_addc_u32 s13, s1, s13
	s_load_dword s9, s[14:15], 0x0
	s_load_dword s16, s[12:13], 0x0
	s_waitcnt lgkmcnt(0)
	s_sub_i32 s9, s9, s16
	s_cmp_eq_u32 s9, 1
	s_cselect_b64 s[12:13], -1, 0
	s_andn2_b64 vcc, exec, s[10:11]
	s_cbranch_vccnz .LBB356_3
.LBB356_2:
	s_mov_b32 s7, 0
	s_mov_b64 s[12:13], -1
.LBB356_3:
	s_andn2_b64 vcc, exec, s[12:13]
	s_cbranch_vccnz .LBB356_22
; %bb.4:
	s_load_dwordx2 s[12:13], s[4:5], 0x28
	s_lshl_b64 s[10:11], s[6:7], 2
	s_waitcnt lgkmcnt(0)
	s_add_u32 s12, s12, s10
	s_addc_u32 s13, s13, s11
	s_load_dword s33, s[12:13], 0x0
	s_lshl_b32 s16, s26, 8
	s_waitcnt lgkmcnt(0)
	s_cmp_ge_i32 s16, s33
	s_cbranch_scc1 .LBB356_22
; %bb.5:
	s_add_i32 s14, s33, 31
	s_load_dwordx2 s[12:13], s[4:5], 0x20
	s_load_dword s9, s[4:5], 0x38
	s_ashr_i32 s15, s14, 31
	v_and_b32_e32 v1, 0xcf, v0
	s_lshr_b32 s15, s15, 27
	v_add_u32_e32 v1, s16, v1
	s_add_i32 s14, s14, s15
	v_ashrrev_i32_e32 v2, 31, v1
	s_ashr_i32 s19, s14, 5
	v_lshrrev_b32_e32 v6, 27, v2
	s_add_i32 s19, s19, -1
	v_add_u32_e32 v2, v1, v6
	s_waitcnt lgkmcnt(0)
	s_mul_i32 s14, s6, s9
	s_mov_b32 s15, 0
	v_ashrrev_i32_e32 v2, 5, v2
	v_mov_b32_e32 v7, s19
	v_cmp_gt_i32_e32 vcc, s33, v1
	s_lshl_b64 s[14:15], s[14:15], 2
	v_cndmask_b32_e32 v2, v7, v2, vcc
	s_add_u32 s17, s12, s14
	v_ashrrev_i32_e32 v3, 31, v2
	s_addc_u32 s18, s13, s15
	v_lshlrev_b64 v[2:3], 2, v[2:3]
	v_mov_b32_e32 v4, s18
	v_add_co_u32_e32 v2, vcc, s17, v2
	v_addc_co_u32_e32 v3, vcc, v4, v3, vcc
	v_or_b32_e32 v4, 16, v1
	v_add_u32_e32 v5, v4, v6
	v_ashrrev_i32_e32 v5, 5, v5
	v_cmp_gt_i32_e32 vcc, s33, v4
	v_cndmask_b32_e32 v4, v7, v5, vcc
	v_ashrrev_i32_e32 v5, 31, v4
	v_lshlrev_b64 v[4:5], 2, v[4:5]
	v_mov_b32_e32 v9, s18
	v_add_co_u32_e32 v8, vcc, s17, v4
	v_or_b32_e32 v4, 32, v1
	v_addc_co_u32_e32 v9, vcc, v9, v5, vcc
	v_add_u32_e32 v5, v4, v6
	v_ashrrev_i32_e32 v5, 5, v5
	v_cmp_gt_i32_e32 vcc, s33, v4
	v_cndmask_b32_e32 v4, v7, v5, vcc
	v_ashrrev_i32_e32 v5, 31, v4
	v_lshlrev_b64 v[4:5], 2, v[4:5]
	v_mov_b32_e32 v11, s18
	v_add_co_u32_e32 v10, vcc, s17, v4
	v_or_b32_e32 v1, 48, v1
	v_addc_co_u32_e32 v11, vcc, v11, v5, vcc
	v_add_u32_e32 v4, v1, v6
	v_ashrrev_i32_e32 v4, 5, v4
	v_cmp_gt_i32_e32 vcc, s33, v1
	v_cndmask_b32_e32 v4, v7, v4, vcc
	v_ashrrev_i32_e32 v5, 31, v4
	v_lshlrev_b64 v[4:5], 2, v[4:5]
	v_mov_b32_e32 v1, s18
	v_add_co_u32_e32 v12, vcc, s17, v4
	v_addc_co_u32_e32 v13, vcc, v1, v5, vcc
	global_load_dword v7, v[2:3], off
	global_load_dword v6, v[8:9], off
	;; [unrolled: 1-line block ×4, first 2 shown]
	s_andn2_b64 vcc, exec, s[2:3]
	s_cbranch_vccnz .LBB356_8
; %bb.6:
	s_add_u32 s0, s0, s10
	s_addc_u32 s1, s1, s11
	s_load_dword s9, s[0:1], 0x0
	s_branch .LBB356_9
.LBB356_7:
	s_mov_b64 s[12:13], 0
	s_branch .LBB356_2
.LBB356_8:
	s_mov_b32 s9, s6
.LBB356_9:
	s_load_dwordx2 s[12:13], s[4:5], 0x8
	s_load_dwordx4 s[0:3], s[4:5], 0x48
	v_lshrrev_b32_e32 v85, 6, v0
	v_bfe_u32 v1, v0, 4, 2
	v_lshl_or_b32 v8, v85, 2, v1
	v_and_b32_e32 v84, 15, v0
	v_lshlrev_b32_e32 v2, 3, v84
	v_cmp_lt_u32_e32 vcc, 12, v8
	s_and_saveexec_b64 s[10:11], vcc
	s_xor_b64 s[10:11], exec, s[10:11]
; %bb.10:
	v_mov_b32_e32 v3, 0
                                        ; implicit-def: $vgpr8
; %bb.11:
	s_or_saveexec_b64 s[14:15], s[10:11]
	s_load_dwordx2 s[10:11], s[4:5], 0x10
	s_mul_i32 s27, s8, 13
	s_xor_b64 exec, exec, s[14:15]
	s_cbranch_execz .LBB356_13
; %bb.12:
	s_load_dwordx2 s[20:21], s[4:5], 0x0
	s_waitcnt lgkmcnt(0)
	s_ashr_i32 s3, s0, 31
	s_mul_hi_u32 s22, s9, s0
	s_mul_i32 s3, s9, s3
	s_add_i32 s23, s22, s3
	s_mul_i32 s22, s9, s0
	s_lshl_b64 s[22:23], s[22:23], 1
	v_add_lshl_u32 v10, v8, s27, 7
	s_add_u32 s0, s20, s22
	v_ashrrev_i32_e32 v11, 31, v10
	s_addc_u32 s3, s21, s23
	v_lshlrev_b64 v[10:11], 1, v[10:11]
	v_mov_b32_e32 v3, s3
	v_add_co_u32_e32 v9, vcc, s0, v10
	v_addc_co_u32_e32 v3, vcc, v3, v11, vcc
	v_lshlrev_b32_e32 v10, 1, v2
	v_add_co_u32_e32 v10, vcc, v9, v10
	v_addc_co_u32_e32 v11, vcc, 0, v3, vcc
	global_load_dwordx4 v[10:13], v[10:11], off
	v_and_b32_e32 v9, 3, v0
	v_lshlrev_b32_e32 v14, 9, v84
	v_lshlrev_b32_e32 v8, 5, v8
	v_lshlrev_b32_e32 v9, 9, v9
	v_and_b32_e32 v14, 0x1800, v14
	v_mov_b32_e32 v3, 0
	v_or3_b32 v8, v14, v9, v8
	s_waitcnt vmcnt(0)
	ds_write_b128 v8, v[10:13]
.LBB356_13:
	s_or_b64 exec, exec, s[14:15]
	s_waitcnt lgkmcnt(0)
	s_mul_i32 s2, s8, s2
	s_mov_b32 s3, 0
	s_lshl_b64 s[2:3], s[2:3], 1
	s_add_u32 s0, s12, s2
	s_waitcnt vmcnt(3)
	v_mad_i64_i32 v[8:9], s[8:9], v7, s1, 0
	s_addc_u32 s12, s13, s3
	v_lshlrev_b64 v[8:9], 1, v[8:9]
	v_mov_b32_e32 v7, s12
	v_add_co_u32_e32 v8, vcc, s0, v8
	v_addc_co_u32_e32 v7, vcc, v7, v9, vcc
	v_lshlrev_b64 v[14:15], 1, v[2:3]
	v_add_co_u32_e32 v8, vcc, v8, v14
	v_lshlrev_b32_e32 v12, 9, v1
	v_addc_co_u32_e32 v7, vcc, v7, v15, vcc
	v_add_co_u32_e32 v2, vcc, v8, v12
	v_addc_co_u32_e32 v3, vcc, 0, v7, vcc
	v_or_b32_e32 v10, 0x1000, v12
	s_barrier
	global_load_dwordx4 v[38:41], v[2:3], off
	global_load_dwordx4 v[34:37], v[2:3], off offset:2048
	v_add_co_u32_e32 v2, vcc, v8, v10
	v_addc_co_u32_e32 v3, vcc, 0, v7, vcc
	v_or_b32_e32 v11, 0x1800, v12
	v_add_co_u32_e32 v8, vcc, v8, v11
	v_addc_co_u32_e32 v9, vcc, 0, v7, vcc
	global_load_dwordx4 v[46:49], v[2:3], off
	global_load_dwordx4 v[58:61], v[8:9], off
	s_waitcnt vmcnt(6)
	v_mad_i64_i32 v[2:3], s[8:9], v6, s1, 0
	v_lshlrev_b64 v[2:3], 1, v[2:3]
	v_mov_b32_e32 v6, s12
	v_add_co_u32_e32 v2, vcc, s0, v2
	v_addc_co_u32_e32 v3, vcc, v6, v3, vcc
	v_mov_b32_e32 v6, 0x100
	v_lshl_or_b32 v8, v84, 4, v6
	v_add_co_u32_e32 v6, vcc, v2, v8
	v_addc_co_u32_e32 v7, vcc, 0, v3, vcc
	v_add_co_u32_e32 v2, vcc, v6, v12
	v_addc_co_u32_e32 v3, vcc, 0, v7, vcc
	global_load_dwordx4 v[74:77], v[2:3], off
	global_load_dwordx4 v[70:73], v[2:3], off offset:2048
	v_add_co_u32_e32 v2, vcc, v6, v10
	v_addc_co_u32_e32 v3, vcc, 0, v7, vcc
	v_add_co_u32_e32 v6, vcc, v6, v11
	v_addc_co_u32_e32 v7, vcc, 0, v7, vcc
	global_load_dwordx4 v[78:81], v[2:3], off
	global_load_dwordx4 v[66:69], v[6:7], off
	s_waitcnt vmcnt(9)
	v_mad_i64_i32 v[2:3], s[8:9], v5, s1, 0
	v_lshlrev_b64 v[2:3], 1, v[2:3]
	v_mov_b32_e32 v5, s12
	v_add_co_u32_e32 v2, vcc, s0, v2
	v_addc_co_u32_e32 v3, vcc, v5, v3, vcc
	v_add_co_u32_e32 v5, vcc, v2, v14
	buffer_store_dword v14, off, s[44:47], 0 ; 4-byte Folded Spill
	s_nop 0
	buffer_store_dword v15, off, s[44:47], 0 offset:4 ; 4-byte Folded Spill
	v_and_b32_e32 v94, 63, v0
	v_mov_b32_e32 v87, 0
	v_addc_co_u32_e32 v7, vcc, v3, v15, vcc
	v_add_co_u32_e32 v2, vcc, v5, v12
	v_addc_co_u32_e32 v3, vcc, 0, v7, vcc
	global_load_dwordx4 v[62:65], v[2:3], off
	global_load_dwordx4 v[42:45], v[2:3], off offset:2048
	v_add_co_u32_e32 v2, vcc, v5, v10
	v_addc_co_u32_e32 v3, vcc, 0, v7, vcc
	v_add_co_u32_e32 v6, vcc, v5, v11
	v_addc_co_u32_e32 v7, vcc, 0, v7, vcc
	global_load_dwordx4 v[26:29], v[2:3], off
	global_load_dwordx4 v[18:21], v[6:7], off
	s_waitcnt vmcnt(14)
	v_mad_i64_i32 v[2:3], s[8:9], v4, s1, 0
	v_lshlrev_b64 v[2:3], 1, v[2:3]
	v_mov_b32_e32 v4, s12
	v_add_co_u32_e32 v2, vcc, s0, v2
	v_addc_co_u32_e32 v3, vcc, v4, v3, vcc
	v_add_co_u32_e32 v4, vcc, v2, v8
	v_addc_co_u32_e32 v5, vcc, 0, v3, vcc
	;; [unrolled: 2-line block ×3, first 2 shown]
	global_load_dwordx4 v[14:17], v[2:3], off
	global_load_dwordx4 v[6:9], v[2:3], off offset:2048
	v_add_co_u32_e32 v2, vcc, v4, v10
	v_addc_co_u32_e32 v3, vcc, 0, v5, vcc
	v_add_co_u32_e32 v10, vcc, v4, v11
	v_addc_co_u32_e32 v11, vcc, 0, v5, vcc
	global_load_dwordx4 v[2:5], v[2:3], off
	s_nop 0
	global_load_dwordx4 v[50:53], v[10:11], off
	v_add_u32_e32 v10, -13, v84
	v_cmp_gt_u32_e32 vcc, 13, v84
	v_cndmask_b32_e32 v10, v10, v84, vcc
	v_lshl_add_u32 v54, v10, 5, v12
	ds_read_b128 v[30:33], v54
	ds_read_b128 v[22:25], v54 offset:2048
	ds_read_b128 v[10:13], v54 offset:4096
	;; [unrolled: 1-line block ×3, first 2 shown]
	s_and_saveexec_b64 s[8:9], vcc
	s_cbranch_execz .LBB356_15
; %bb.14:
	s_load_dwordx2 s[12:13], s[4:5], 0x40
	v_add_u32_e32 v82, s27, v84
	v_ashrrev_i32_e32 v83, 31, v82
	v_lshlrev_b64 v[82:83], 2, v[82:83]
	s_waitcnt lgkmcnt(0)
	v_mov_b32_e32 v87, s13
	v_add_co_u32_e32 v82, vcc, s12, v82
	v_addc_co_u32_e32 v83, vcc, v87, v83, vcc
	global_load_dword v87, v[82:83], off
.LBB356_15:
	s_or_b64 exec, exec, s[8:9]
	s_waitcnt vmcnt(17) lgkmcnt(3)
	v_mfma_f32_16x16x16bf16_1k v[88:91], v[38:39], v[30:31], 0
	s_ashr_i32 s0, s16, 31
	s_lshr_b32 s0, s0, 27
	s_add_u32 s2, s10, s2
	s_addc_u32 s3, s11, s3
	s_mov_b32 s40, 0xff7fffff
	v_mfma_f32_16x16x16bf16_1k v[38:41], v[40:41], v[32:33], v[88:91]
	s_waitcnt vmcnt(16) lgkmcnt(2)
	v_mfma_f32_16x16x16bf16_1k v[38:41], v[34:35], v[22:23], v[38:41]
	s_nop 4
	v_lshl_or_b32 v88, v85, 4, v84
	v_mfma_f32_16x16x16bf16_1k v[34:37], v[36:37], v[24:25], v[38:41]
	s_waitcnt vmcnt(15) lgkmcnt(1)
	v_mfma_f32_16x16x16bf16_1k v[34:37], v[46:47], v[10:11], v[34:37]
	v_and_or_b32 v46, v0, 48, s16
	s_nop 3
	v_add_u32_e32 v38, s0, v46
	v_ashrrev_i32_e32 v38, 5, v38
	v_mov_b32_e32 v47, s19
	v_cmp_gt_i32_e32 vcc, s33, v46
	v_cndmask_b32_e32 v38, v47, v38, vcc
	v_ashrrev_i32_e32 v39, 31, v38
	v_mfma_f32_16x16x16bf16_1k v[34:37], v[48:49], v[12:13], v[34:37]
	v_or_b32_e32 v40, 64, v46
	v_add_u32_e32 v41, s0, v40
	v_ashrrev_i32_e32 v41, 5, v41
	v_mov_b32_e32 v48, s18
	s_waitcnt vmcnt(14) lgkmcnt(0)
	v_mfma_f32_16x16x16bf16_1k v[34:37], v[58:59], v[54:55], v[34:37]
	v_mfma_f32_16x16x16bf16_1k v[58:61], v[60:61], v[56:57], v[34:37]
	s_waitcnt vmcnt(13)
	v_mfma_f32_16x16x16bf16_1k v[34:37], v[74:75], v[30:31], 0
	v_mfma_f32_16x16x16bf16_1k v[34:37], v[76:77], v[32:33], v[34:37]
	v_lshlrev_b32_e32 v76, 6, v88
	s_waitcnt vmcnt(12)
	v_mfma_f32_16x16x16bf16_1k v[34:37], v[70:71], v[22:23], v[34:37]
	v_mfma_f32_16x16x16bf16_1k v[34:37], v[72:73], v[24:25], v[34:37]
	s_waitcnt vmcnt(11)
	v_mfma_f32_16x16x16bf16_1k v[34:37], v[78:79], v[10:11], v[34:37]
	v_mfma_f32_16x16x16bf16_1k v[34:37], v[80:81], v[12:13], v[34:37]
	;; [unrolled: 3-line block ×3, first 2 shown]
	s_nop 7
	s_nop 1
	v_lshlrev_b64 v[34:35], 2, v[38:39]
	v_mov_b32_e32 v36, s18
	v_add_co_u32_e32 v38, vcc, s17, v34
	v_addc_co_u32_e32 v39, vcc, v36, v35, vcc
	v_cmp_gt_i32_e32 vcc, s33, v40
	v_cndmask_b32_e32 v40, v47, v41, vcc
	v_ashrrev_i32_e32 v41, 31, v40
	v_lshlrev_b64 v[40:41], 2, v[40:41]
	v_add_co_u32_e32 v40, vcc, s17, v40
	v_addc_co_u32_e32 v41, vcc, v48, v41, vcc
	global_load_dword v48, v[38:39], off
	s_nop 0
	global_load_dword v40, v[40:41], off
	v_or_b32_e32 v38, 0x80, v46
	v_add_u32_e32 v39, s0, v38
	v_ashrrev_i32_e32 v39, 5, v39
	v_cmp_gt_i32_e32 vcc, s33, v38
	v_cndmask_b32_e32 v38, v47, v39, vcc
	v_ashrrev_i32_e32 v39, 31, v38
	v_lshlrev_b64 v[38:39], 2, v[38:39]
	v_mov_b32_e32 v41, s18
	v_add_co_u32_e32 v38, vcc, s17, v38
	v_addc_co_u32_e32 v39, vcc, v41, v39, vcc
	s_waitcnt vmcnt(9)
	v_mfma_f32_16x16x16bf16_1k v[34:37], v[62:63], v[30:31], 0
	global_load_dword v62, v[38:39], off
	v_or_b32_e32 v38, 0xc0, v46
	v_add_u32_e32 v39, s0, v38
	v_ashrrev_i32_e32 v39, 5, v39
	v_cmp_gt_i32_e32 vcc, s33, v38
	v_cndmask_b32_e32 v38, v47, v39, vcc
	v_ashrrev_i32_e32 v39, 31, v38
	v_mfma_f32_16x16x16bf16_1k v[34:37], v[64:65], v[32:33], v[34:37]
	s_load_dword s0, s[4:5], 0x1c
	s_waitcnt lgkmcnt(0)
	v_pk_mul_f32 v[58:59], s[0:1], v[58:59] op_sel_hi:[0,1]
	s_waitcnt vmcnt(9)
	v_mfma_f32_16x16x16bf16_1k v[34:37], v[42:43], v[22:23], v[34:37]
	v_mfma_f32_16x16x16bf16_1k v[34:37], v[44:45], v[24:25], v[34:37]
	s_waitcnt vmcnt(8)
	v_mfma_f32_16x16x16bf16_1k v[34:37], v[26:27], v[10:11], v[34:37]
	v_lshlrev_b64 v[26:27], 2, v[38:39]
	v_mov_b32_e32 v39, s18
	v_add_co_u32_e32 v38, vcc, s17, v26
	v_addc_co_u32_e32 v39, vcc, v39, v27, vcc
	global_load_dword v63, v[38:39], off
	v_mfma_f32_16x16x16bf16_1k v[26:29], v[28:29], v[12:13], v[34:37]
	s_waitcnt vmcnt(8)
	v_mfma_f32_16x16x16bf16_1k v[26:29], v[18:19], v[54:55], v[26:29]
	s_nop 4
	v_and_b32_e32 v34, 16, v0
	v_lshlrev_b32_e32 v34, 1, v34
	v_mov_b32_e32 v18, s3
	v_add_co_u32_e32 v74, vcc, s2, v34
	v_addc_co_u32_e32 v75, vcc, 0, v18, vcc
	v_mfma_f32_16x16x16bf16_1k v[90:93], v[20:21], v[56:57], v[26:29]
	v_add_co_u32_e32 v77, vcc, v74, v76
	v_addc_co_u32_e32 v78, vcc, 0, v75, vcc
	s_waitcnt vmcnt(3)
	v_mad_i64_i32 v[18:19], s[2:3], v48, s1, 0
	v_lshlrev_b64 v[70:71], 1, v[18:19]
	v_mfma_f32_16x16x16bf16_1k v[18:21], v[14:15], v[30:31], 0
	v_add_co_u32_e32 v14, vcc, v77, v70
	v_addc_co_u32_e32 v15, vcc, v78, v71, vcc
	global_load_dwordx4 v[46:49], v[14:15], off
	global_load_dwordx4 v[42:45], v[14:15], off offset:16
	s_waitcnt vmcnt(4)
	v_mad_i64_i32 v[14:15], s[2:3], v40, s1, 0
	v_lshlrev_b64 v[72:73], 1, v[14:15]
	v_mfma_f32_16x16x16bf16_1k v[14:17], v[16:17], v[32:33], v[18:21]
	v_mfma_f32_16x16x16bf16_1k v[14:17], v[6:7], v[22:23], v[14:17]
	s_nop 5
	v_add_co_u32_e32 v18, vcc, v77, v72
	v_addc_co_u32_e32 v19, vcc, v78, v73, vcc
	global_load_dwordx4 v[38:41], v[18:19], off
	global_load_dwordx4 v[34:37], v[18:19], off offset:16
	s_waitcnt vmcnt(5)
	v_mad_i64_i32 v[18:19], s[2:3], v62, s1, 0
	v_lshlrev_b64 v[64:65], 1, v[18:19]
	v_add_co_u32_e32 v6, vcc, v77, v64
	v_addc_co_u32_e32 v7, vcc, v78, v65, vcc
	global_load_dwordx4 v[30:33], v[6:7], off
	global_load_dwordx4 v[26:29], v[6:7], off offset:16
	v_mfma_f32_16x16x16bf16_1k v[6:9], v[8:9], v[24:25], v[14:17]
	v_mfma_f32_16x16x16bf16_1k v[6:9], v[2:3], v[10:11], v[6:9]
	v_or_b32_e32 v2, 0x1000, v76
	s_waitcnt vmcnt(6)
	s_nop 3
	v_mad_i64_i32 v[14:15], s[2:3], v63, s1, 0
	v_mfma_f32_16x16x16bf16_1k v[10:13], v[4:5], v[12:13], v[6:9]
	v_lshlrev_b64 v[62:63], 1, v[14:15]
	v_add_co_u32_e32 v14, vcc, v77, v62
	v_addc_co_u32_e32 v15, vcc, v78, v63, vcc
	v_add_co_u32_e32 v89, vcc, v74, v2
	v_mfma_f32_16x16x16bf16_1k v[80:83], v[50:51], v[54:55], v[10:13]
	v_addc_co_u32_e32 v86, vcc, 0, v75, vcc
	v_pk_mul_f32 v[74:75], s[0:1], v[68:69] op_sel_hi:[0,1]
	v_pk_mul_f32 v[76:77], s[0:1], v[66:67] op_sel_hi:[0,1]
	;; [unrolled: 1-line block ×3, first 2 shown]
	v_add_co_u32_e32 v2, vcc, v89, v70
	v_mfma_f32_16x16x16bf16_1k v[50:53], v[52:53], v[56:57], v[80:83]
	v_addc_co_u32_e32 v3, vcc, v86, v71, vcc
	v_add_co_u32_e32 v70, vcc, v89, v72
	v_addc_co_u32_e32 v71, vcc, v86, v73, vcc
	global_load_dwordx4 v[22:25], v[14:15], off
	global_load_dwordx4 v[18:21], v[14:15], off offset:16
	s_nop 5
	v_pk_mul_f32 v[68:69], s[0:1], v[50:51] op_sel_hi:[0,1]
	v_and_b32_e32 v50, 0xc0, v0
	v_add_u32_e32 v50, s16, v50
	v_lshl_or_b32 v50, v1, 2, v50
	v_or_b32_e32 v51, 1, v50
	v_pk_mul_f32 v[66:67], s[0:1], v[52:53] op_sel_hi:[0,1]
	v_subrev_u32_e32 v52, s33, v51
	v_add_u32_e32 v54, 1, v52
	v_add_u32_e32 v55, 2, v52
	v_cvt_f32_i32_e32 v53, v52
	v_cvt_f32_i32_e32 v54, v54
	;; [unrolled: 1-line block ×3, first 2 shown]
	v_add_u32_e32 v56, 3, v52
	v_fma_f32 v58, v87, v53, v58
	v_fmac_f32_e32 v59, v87, v54
	v_fma_f32 v78, v87, v55, v78
	v_add_u32_e32 v53, 16, v52
	v_add_u32_e32 v54, 17, v52
	;; [unrolled: 1-line block ×3, first 2 shown]
	v_cvt_f32_i32_e32 v56, v56
	v_cvt_f32_i32_e32 v53, v53
	;; [unrolled: 1-line block ×4, first 2 shown]
	v_fmac_f32_e32 v79, v87, v56
	v_add_u32_e32 v56, 19, v52
	v_fma_f32 v76, v87, v53, v76
	v_fmac_f32_e32 v77, v87, v54
	v_fma_f32 v74, v87, v55, v74
	v_add_u32_e32 v53, 32, v52
	v_add_u32_e32 v54, 33, v52
	;; [unrolled: 1-line block ×3, first 2 shown]
	v_cvt_f32_i32_e32 v56, v56
	v_cvt_f32_i32_e32 v53, v53
	;; [unrolled: 1-line block ×4, first 2 shown]
	global_load_dwordx4 v[6:9], v[2:3], off
	s_nop 0
	global_load_dwordx4 v[2:5], v[2:3], off offset:16
	s_nop 0
	global_load_dwordx4 v[14:17], v[70:71], off
	global_load_dwordx4 v[10:13], v[70:71], off offset:16
	v_pk_mul_f32 v[70:71], s[0:1], v[92:93] op_sel_hi:[0,1]
	v_pk_mul_f32 v[72:73], s[0:1], v[90:91] op_sel_hi:[0,1]
	v_fmac_f32_e32 v75, v87, v56
	v_add_u32_e32 v56, 35, v52
	v_fma_f32 v72, v87, v53, v72
	v_fmac_f32_e32 v73, v87, v54
	v_fma_f32 v70, v87, v55, v70
	v_add_u32_e32 v53, 48, v52
	v_add_u32_e32 v54, 49, v52
	;; [unrolled: 1-line block ×4, first 2 shown]
	v_cvt_f32_i32_e32 v52, v52
	v_cvt_f32_i32_e32 v53, v53
	;; [unrolled: 1-line block ×3, first 2 shown]
	v_cmp_gt_i32_e64 s[28:29], s33, v50
	v_fmac_f32_e32 v67, v87, v52
	v_mov_b32_e32 v52, 0xff7fffff
	v_cmp_gt_i32_e64 s[30:31], s33, v51
	v_fma_f32 v68, v87, v53, v68
	v_cndmask_b32_e64 v53, v52, v58, s[28:29]
	v_cndmask_b32_e64 v51, v52, v59, s[30:31]
	v_fmac_f32_e32 v69, v87, v54
	v_max3_f32 v51, v53, s40, v51
	v_or_b32_e32 v53, 2, v50
	v_or_b32_e32 v54, 3, v50
	v_cmp_gt_i32_e64 s[34:35], s33, v53
	v_cmp_gt_i32_e64 s[36:37], s33, v54
	v_cndmask_b32_e64 v53, v52, v78, s[34:35]
	v_cndmask_b32_e64 v54, v52, v79, s[36:37]
	v_max3_f32 v51, v51, v53, v54
	v_or_b32_e32 v53, 16, v50
	v_or_b32_e32 v54, 17, v50
	v_cmp_gt_i32_e64 s[22:23], s33, v53
	v_cmp_gt_i32_e64 s[24:25], s33, v54
	v_cndmask_b32_e64 v53, v52, v76, s[22:23]
	v_cndmask_b32_e64 v54, v52, v77, s[24:25]
	;; [unrolled: 7-line block ×3, first 2 shown]
	v_cvt_f32_i32_e32 v56, v56
	v_max3_f32 v51, v51, v53, v54
	v_or_b32_e32 v53, 32, v50
	v_or_b32_e32 v54, 33, v50
	v_cmp_gt_i32_e64 s[14:15], s33, v53
	v_cmp_gt_i32_e64 s[16:17], s33, v54
	v_cndmask_b32_e64 v53, v52, v72, s[14:15]
	v_cndmask_b32_e64 v54, v52, v73, s[16:17]
	v_max3_f32 v51, v51, v53, v54
	v_or_b32_e32 v53, 34, v50
	v_or_b32_e32 v54, 35, v50
	v_fmac_f32_e32 v71, v87, v56
	v_cmp_gt_i32_e64 s[10:11], s33, v53
	v_cmp_gt_i32_e64 s[12:13], s33, v54
	v_cndmask_b32_e64 v53, v52, v70, s[10:11]
	v_cndmask_b32_e64 v54, v52, v71, s[12:13]
	v_cvt_f32_i32_e32 v55, v55
	v_max3_f32 v51, v51, v53, v54
	v_or_b32_e32 v53, 48, v50
	v_or_b32_e32 v54, 49, v50
	v_cmp_gt_i32_e64 s[2:3], s33, v53
	v_cmp_gt_i32_e64 s[8:9], s33, v54
	v_cndmask_b32_e64 v53, v52, v68, s[2:3]
	v_cndmask_b32_e64 v54, v52, v69, s[8:9]
	v_max3_f32 v51, v51, v53, v54
	v_or_b32_e32 v53, 50, v50
	v_or_b32_e32 v50, 51, v50
	v_fma_f32 v66, v87, v55, v66
	v_cmp_gt_i32_e32 vcc, s33, v53
	v_cmp_gt_i32_e64 s[0:1], s33, v50
	v_cndmask_b32_e32 v53, v52, v66, vcc
	v_cndmask_b32_e64 v50, v52, v67, s[0:1]
	v_max3_f32 v60, v51, v53, v50
	v_mbcnt_lo_u32_b32 v50, -1, 0
	v_mbcnt_hi_u32_b32 v61, -1, v50
	v_and_b32_e32 v50, 64, v61
	v_add_u32_e32 v80, 64, v50
	v_xor_b32_e32 v50, 32, v61
	v_cmp_lt_i32_e64 s[38:39], v50, v80
	v_cndmask_b32_e64 v50, v61, v50, s[38:39]
	v_lshlrev_b32_e32 v82, 2, v50
	ds_bpermute_b32 v81, v82, v60
	v_add_co_u32_e64 v50, s[38:39], v89, v64
	v_addc_co_u32_e64 v51, s[38:39], v86, v65, s[38:39]
	s_waitcnt lgkmcnt(0)
	v_max_f32_e32 v64, v81, v81
	v_max_f32_e32 v64, v60, v64
	v_xor_b32_e32 v60, 16, v61
	v_cmp_lt_i32_e64 s[38:39], v60, v80
	v_cndmask_b32_e64 v60, v61, v60, s[38:39]
	v_lshlrev_b32_e32 v83, 2, v60
	ds_bpermute_b32 v65, v83, v64
	v_add_co_u32_e64 v60, s[38:39], v89, v62
	v_addc_co_u32_e64 v61, s[38:39], v86, v63, s[38:39]
	s_waitcnt lgkmcnt(0)
	v_max_f32_e32 v62, v65, v65
	v_max_f32_e32 v87, v64, v62
	v_sub_f32_e32 v58, v58, v87
	v_mul_f32_e32 v58, 0x3fb8aa3b, v58
	v_exp_f32_e32 v80, v58
	v_sub_f32_e32 v58, v59, v87
	v_mul_f32_e32 v58, 0x3fb8aa3b, v58
	global_load_dwordx4 v[54:57], v[50:51], off
	s_nop 0
	global_load_dwordx4 v[50:53], v[50:51], off offset:16
	v_exp_f32_e32 v81, v58
	global_load_dwordx4 v[62:65], v[60:61], off
	s_nop 0
	global_load_dwordx4 v[58:61], v[60:61], off offset:16
	v_sub_f32_e32 v78, v78, v87
	v_mul_f32_e32 v78, 0x3fb8aa3b, v78
	v_sub_f32_e32 v79, v79, v87
	v_exp_f32_e32 v78, v78
	v_mul_f32_e32 v79, 0x3fb8aa3b, v79
	v_sub_f32_e32 v76, v76, v87
	v_exp_f32_e32 v79, v79
	v_mul_f32_e32 v76, 0x3fb8aa3b, v76
	v_sub_f32_e32 v77, v77, v87
	v_cndmask_b32_e64 v80, 0, v80, s[28:29]
	v_exp_f32_e32 v76, v76
	v_mul_f32_e32 v77, 0x3fb8aa3b, v77
	v_sub_f32_e32 v74, v74, v87
	v_add_f32_e32 v86, 0, v80
	v_cndmask_b32_e64 v81, 0, v81, s[30:31]
	v_exp_f32_e32 v77, v77
	v_mul_f32_e32 v74, 0x3fb8aa3b, v74
	v_sub_f32_e32 v75, v75, v87
	v_add_f32_e32 v86, v86, v81
	v_cndmask_b32_e64 v78, 0, v78, s[34:35]
	v_exp_f32_e32 v74, v74
	v_mul_f32_e32 v75, 0x3fb8aa3b, v75
	v_sub_f32_e32 v72, v72, v87
	v_add_f32_e32 v86, v86, v78
	v_cndmask_b32_e64 v79, 0, v79, s[36:37]
	v_exp_f32_e32 v75, v75
	v_mul_f32_e32 v72, 0x3fb8aa3b, v72
	v_sub_f32_e32 v73, v73, v87
	v_add_f32_e32 v86, v86, v79
	v_cndmask_b32_e64 v76, 0, v76, s[22:23]
	v_exp_f32_e32 v72, v72
	v_mul_f32_e32 v73, 0x3fb8aa3b, v73
	v_sub_f32_e32 v70, v70, v87
	v_add_f32_e32 v86, v86, v76
	v_cndmask_b32_e64 v77, 0, v77, s[24:25]
	v_exp_f32_e32 v73, v73
	v_mul_f32_e32 v70, 0x3fb8aa3b, v70
	v_sub_f32_e32 v71, v71, v87
	v_add_f32_e32 v86, v86, v77
	v_cndmask_b32_e64 v74, 0, v74, s[18:19]
	v_exp_f32_e32 v70, v70
	v_mul_f32_e32 v71, 0x3fb8aa3b, v71
	v_sub_f32_e32 v68, v68, v87
	v_add_f32_e32 v86, v86, v74
	v_cndmask_b32_e64 v75, 0, v75, s[20:21]
	v_exp_f32_e32 v71, v71
	v_mul_f32_e32 v68, 0x3fb8aa3b, v68
	v_sub_f32_e32 v69, v69, v87
	v_add_f32_e32 v86, v86, v75
	v_cndmask_b32_e64 v72, 0, v72, s[14:15]
	v_exp_f32_e32 v68, v68
	v_mul_f32_e32 v69, 0x3fb8aa3b, v69
	v_sub_f32_e32 v66, v66, v87
	v_add_f32_e32 v86, v86, v72
	v_cndmask_b32_e64 v73, 0, v73, s[16:17]
	v_exp_f32_e32 v69, v69
	v_mul_f32_e32 v66, 0x3fb8aa3b, v66
	v_sub_f32_e32 v67, v67, v87
	v_add_f32_e32 v86, v86, v73
	v_cndmask_b32_e64 v70, 0, v70, s[10:11]
	v_exp_f32_e32 v66, v66
	v_mul_f32_e32 v67, 0x3fb8aa3b, v67
	v_add_f32_e32 v86, v86, v70
	v_cndmask_b32_e64 v71, 0, v71, s[12:13]
	v_exp_f32_e32 v67, v67
	v_add_f32_e32 v86, v86, v71
	v_cndmask_b32_e64 v68, 0, v68, s[2:3]
	v_add_f32_e32 v86, v86, v68
	v_cndmask_b32_e64 v69, 0, v69, s[8:9]
	v_add_f32_e32 v86, v86, v69
	v_cndmask_b32_e32 v66, 0, v66, vcc
	v_add_f32_e32 v86, v86, v66
	v_cndmask_b32_e64 v67, 0, v67, s[0:1]
	v_add_f32_e32 v86, v86, v67
	ds_bpermute_b32 v82, v82, v86
	s_load_dword s9, s[4:5], 0x98
	v_cmp_gt_u32_e64 s[0:1], 16, v94
	s_waitcnt lgkmcnt(0)
	s_barrier
	v_add_f32_e32 v89, v86, v82
	ds_bpermute_b32 v90, v83, v89
	s_waitcnt lgkmcnt(0)
	s_and_saveexec_b64 s[2:3], s[0:1]
	s_cbranch_execz .LBB356_17
; %bb.16:
	v_add_f32_e32 v82, v89, v90
	v_lshlrev_b32_e32 v83, 2, v88
	ds_write2st64_b32 v83, v87, v82 offset1:1
.LBB356_17:
	s_or_b64 exec, exec, s[2:3]
	v_lshlrev_b32_e32 v87, 2, v84
	s_load_dword s8, s[4:5], 0x94
	s_waitcnt lgkmcnt(0)
	s_barrier
	ds_read2_b32 v[82:83], v87 offset1:16
	ds_read2_b32 v[88:89], v87 offset0:32 offset1:48
	ds_read2_b32 v[90:91], v87 offset0:64 offset1:80
	s_movk_i32 s10, 0x7fff
	s_mov_b32 s11, 0x7060302
	s_waitcnt lgkmcnt(2)
	v_max3_f32 v86, v82, s40, v83
	s_waitcnt lgkmcnt(1)
	v_max3_f32 v86, v86, v88, v89
	v_sub_f32_e32 v82, v82, v86
	v_mul_f32_e32 v82, 0x3fb8aa3b, v82
	v_exp_f32_e32 v92, v82
	v_sub_f32_e32 v82, v83, v86
	v_mul_f32_e32 v82, 0x3fb8aa3b, v82
	v_exp_f32_e32 v93, v82
	;; [unrolled: 3-line block ×3, first 2 shown]
	ds_read2_b32 v[82:83], v87 offset0:96 offset1:112
	v_sub_f32_e32 v87, v89, v86
	v_mul_f32_e32 v87, 0x3fb8aa3b, v87
	v_exp_f32_e32 v89, v87
	s_waitcnt lgkmcnt(1)
	v_fma_f32 v87, v92, v90, 0
	v_fmac_f32_e32 v87, v93, v91
	s_waitcnt lgkmcnt(0)
	v_fmac_f32_e32 v87, v88, v82
	v_fmac_f32_e32 v87, v89, v83
	v_add_f32_e32 v82, 0x358637bd, v87
	v_div_scale_f32 v83, s[2:3], v82, v82, 1.0
	v_rcp_f32_e32 v90, v83
	s_mul_i32 s9, s9, 13
	s_barrier
	v_fma_f32 v91, -v83, v90, 1.0
	v_fmac_f32_e32 v90, v91, v90
	v_div_scale_f32 v91, vcc, 1.0, v82, 1.0
	v_mul_f32_e32 v94, v91, v90
	v_fma_f32 v95, -v83, v94, v91
	v_fmac_f32_e32 v94, v95, v90
	v_fma_f32 v83, -v83, v94, v91
	v_div_fmas_f32 v83, v83, v90, v94
	v_cmp_eq_u32_e32 vcc, 1, v85
	v_div_fixup_f32 v82, v83, v82, 1.0
	v_cndmask_b32_e32 v83, v92, v93, vcc
	v_cmp_eq_u32_e32 vcc, 2, v85
	v_cndmask_b32_e32 v83, v83, v88, vcc
	v_cmp_eq_u32_e32 vcc, 3, v85
	v_cndmask_b32_e32 v83, v83, v89, vcc
	v_mul_f32_e32 v82, v83, v82
	v_pk_mul_f32 v[80:81], v[82:83], v[80:81] op_sel_hi:[0,1]
	v_pk_mul_f32 v[78:79], v[82:83], v[78:79] op_sel_hi:[0,1]
	v_bfe_u32 v83, v81, 16, 1
	v_bfe_u32 v88, v80, 16, 1
	v_add3_u32 v80, v80, v88, s10
	v_add3_u32 v81, v81, v83, s10
	v_perm_b32 v80, v81, v80, s11
	v_bfe_u32 v81, v79, 16, 1
	v_bfe_u32 v83, v78, 16, 1
	v_add3_u32 v78, v78, v83, s10
	v_add3_u32 v79, v79, v81, s10
	v_lshlrev_b32_e32 v83, 11, v85
	v_perm_b32 v81, v79, v78, s11
	v_lshlrev_b32_e32 v78, 3, v1
	v_lshlrev_b32_e32 v79, 5, v84
	v_pk_mul_f32 v[76:77], v[82:83], v[76:77] op_sel_hi:[0,1]
	v_or3_b32 v78, v83, v79, v78
	v_pk_mul_f32 v[74:75], v[82:83], v[74:75] op_sel_hi:[0,1]
	v_bfe_u32 v83, v77, 16, 1
	v_bfe_u32 v85, v76, 16, 1
	v_add3_u32 v76, v76, v85, s10
	v_add3_u32 v77, v77, v83, s10
	v_perm_b32 v76, v77, v76, s11
	v_bfe_u32 v77, v75, 16, 1
	v_bfe_u32 v83, v74, 16, 1
	v_add3_u32 v74, v74, v83, s10
	v_add3_u32 v75, v75, v77, s10
	v_pk_mul_f32 v[72:73], v[82:83], v[72:73] op_sel_hi:[0,1]
	v_perm_b32 v77, v75, v74, s11
	v_bfe_u32 v74, v73, 16, 1
	v_bfe_u32 v75, v72, 16, 1
	v_pk_mul_f32 v[70:71], v[82:83], v[70:71] op_sel_hi:[0,1]
	v_add3_u32 v72, v72, v75, s10
	v_add3_u32 v73, v73, v74, s10
	v_perm_b32 v72, v73, v72, s11
	v_bfe_u32 v73, v71, 16, 1
	v_bfe_u32 v74, v70, 16, 1
	v_add3_u32 v70, v70, v74, s10
	v_add3_u32 v71, v71, v73, s10
	v_pk_mul_f32 v[68:69], v[82:83], v[68:69] op_sel_hi:[0,1]
	v_perm_b32 v73, v71, v70, s11
	v_bfe_u32 v70, v69, 16, 1
	v_bfe_u32 v71, v68, 16, 1
	v_pk_mul_f32 v[66:67], v[82:83], v[66:67] op_sel_hi:[0,1]
	v_add3_u32 v68, v68, v71, s10
	v_add3_u32 v69, v69, v70, s10
	v_perm_b32 v68, v69, v68, s11
	v_bfe_u32 v69, v67, 16, 1
	v_bfe_u32 v70, v66, 16, 1
	v_add3_u32 v66, v66, v70, s10
	v_add3_u32 v67, v67, v69, s10
	v_perm_b32 v69, v67, v66, s11
	v_cmp_gt_u32_e32 vcc, 13, v0
	ds_write2st64_b64 v78, v[80:81], v[76:77] offset1:1
	ds_write2st64_b64 v78, v[72:73], v[68:69] offset0:2 offset1:3
	s_and_saveexec_b64 s[2:3], vcc
	s_cbranch_execz .LBB356_19
; %bb.18:
	v_add_co_u32_e32 v68, vcc, s27, v84
	v_addc_co_u32_e64 v69, s[16:17], 0, 0, vcc
	v_mov_b32_e32 v66, s9
	v_mov_b32_e32 v67, 0
	v_mad_u64_u32 v[68:69], s[16:17], s6, v66, v[68:69]
	v_mov_b32_e32 v66, s26
	s_load_dwordx4 s[12:15], s[4:5], 0x58
	s_mul_i32 s7, s7, s9
	v_mad_u64_u32 v[66:67], s[16:17], v68, s8, v[66:67]
	v_add_u32_e32 v69, s7, v69
	v_mov_b32_e32 v68, v67
	v_mad_u64_u32 v[68:69], s[16:17], v69, s8, v[68:69]
	v_mov_b32_e32 v67, v68
	v_lshlrev_b64 v[66:67], 2, v[66:67]
	s_waitcnt lgkmcnt(0)
	v_mov_b32_e32 v69, s15
	v_add_co_u32_e32 v68, vcc, s14, v66
	v_addc_co_u32_e32 v69, vcc, v69, v67, vcc
	global_store_dword v[68:69], v86, off
	v_mov_b32_e32 v68, s13
	v_add_co_u32_e32 v66, vcc, s12, v66
	v_addc_co_u32_e32 v67, vcc, v68, v67, vcc
	global_store_dword v[66:67], v87, off
.LBB356_19:
	s_or_b64 exec, exec, s[2:3]
	v_lshl_or_b32 v79, v1, 9, v79
	s_waitcnt lgkmcnt(0)
	s_barrier
	ds_read_b128 v[70:73], v79
	ds_read_b128 v[66:69], v79 offset:16
	s_waitcnt vmcnt(15) lgkmcnt(1)
	v_mfma_f32_16x16x16bf16_1k v[74:77], v[46:47], v[70:71], 0
	s_mov_b32 s3, 0
	v_cmp_gt_u32_e32 vcc, 64, v0
	v_mfma_f32_16x16x16bf16_1k v[46:49], v[48:49], v[72:73], v[74:77]
	s_waitcnt vmcnt(14) lgkmcnt(0)
	v_mfma_f32_16x16x16bf16_1k v[46:49], v[42:43], v[66:67], v[46:49]
	v_mfma_f32_16x16x16bf16_1k v[42:45], v[44:45], v[68:69], v[46:49]
	s_nop 7
	s_nop 1
	ds_read_b128 v[46:49], v79 offset:2048
	ds_read_b128 v[74:77], v79 offset:2064
	s_waitcnt vmcnt(13) lgkmcnt(1)
	v_mfma_f32_16x16x16bf16_1k v[42:45], v[38:39], v[46:47], v[42:45]
	v_mfma_f32_16x16x16bf16_1k v[38:41], v[40:41], v[48:49], v[42:45]
	s_waitcnt vmcnt(12) lgkmcnt(0)
	v_mfma_f32_16x16x16bf16_1k v[38:41], v[34:35], v[74:75], v[38:41]
	v_mfma_f32_16x16x16bf16_1k v[34:37], v[36:37], v[76:77], v[38:41]
	s_nop 7
	s_nop 1
	ds_read_b128 v[38:41], v79 offset:4096
	ds_read_b128 v[42:45], v79 offset:4112
	s_waitcnt vmcnt(11) lgkmcnt(1)
	v_mfma_f32_16x16x16bf16_1k v[34:37], v[30:31], v[38:39], v[34:37]
	v_mfma_f32_16x16x16bf16_1k v[30:33], v[32:33], v[40:41], v[34:37]
	s_waitcnt vmcnt(10) lgkmcnt(0)
	v_mfma_f32_16x16x16bf16_1k v[30:33], v[26:27], v[42:43], v[30:33]
	v_mfma_f32_16x16x16bf16_1k v[26:29], v[28:29], v[44:45], v[30:33]
	s_nop 7
	s_nop 1
	ds_read_b128 v[30:33], v79 offset:6144
	ds_read_b128 v[34:37], v79 offset:6160
	s_waitcnt lgkmcnt(0)
	s_barrier
	s_waitcnt vmcnt(9)
	v_mfma_f32_16x16x16bf16_1k v[26:29], v[22:23], v[30:31], v[26:29]
	v_mfma_f32_16x16x16bf16_1k v[22:25], v[24:25], v[32:33], v[26:29]
	s_waitcnt vmcnt(8)
	v_mfma_f32_16x16x16bf16_1k v[22:25], v[18:19], v[34:35], v[22:25]
	v_mfma_f32_16x16x16bf16_1k v[18:21], v[20:21], v[36:37], v[22:25]
	;; [unrolled: 3-line block ×4, first 2 shown]
	s_waitcnt vmcnt(5)
	v_mfma_f32_16x16x16bf16_1k v[2:5], v[14:15], v[46:47], v[2:5]
	s_nop 7
	v_bfe_u32 v6, v19, 16, 1
	v_bfe_u32 v7, v18, 16, 1
	v_add3_u32 v7, v18, v7, s10
	v_add3_u32 v6, v19, v6, s10
	v_perm_b32 v6, v6, v7, s11
	v_bfe_u32 v7, v21, 16, 1
	v_bfe_u32 v8, v20, 16, 1
	v_mfma_f32_16x16x16bf16_1k v[2:5], v[16:17], v[48:49], v[2:5]
	v_add3_u32 v8, v20, v8, s10
	v_add3_u32 v7, v21, v7, s10
	v_perm_b32 v7, v7, v8, s11
	s_waitcnt vmcnt(4)
	v_mfma_f32_16x16x16bf16_1k v[2:5], v[10:11], v[74:75], v[2:5]
	v_mfma_f32_16x16x16bf16_1k v[2:5], v[12:13], v[76:77], v[2:5]
	s_waitcnt vmcnt(3)
	v_mfma_f32_16x16x16bf16_1k v[2:5], v[54:55], v[38:39], v[2:5]
	v_mfma_f32_16x16x16bf16_1k v[2:5], v[56:57], v[40:41], v[2:5]
	;; [unrolled: 3-line block ×5, first 2 shown]
	s_nop 7
	s_nop 2
	v_bfe_u32 v8, v3, 16, 1
	v_bfe_u32 v9, v2, 16, 1
	v_add3_u32 v2, v2, v9, s10
	v_add3_u32 v3, v3, v8, s10
	v_perm_b32 v2, v3, v2, s11
	v_bfe_u32 v3, v5, 16, 1
	v_bfe_u32 v8, v4, 16, 1
	v_add3_u32 v4, v4, v8, s10
	v_add3_u32 v3, v5, v3, s10
	v_perm_b32 v3, v3, v4, s11
	ds_write2st64_b64 v78, v[6:7], v[2:3] offset1:1
	s_waitcnt lgkmcnt(0)
	s_barrier
	s_and_saveexec_b64 s[10:11], vcc
	s_cbranch_execz .LBB356_22
; %bb.20:
	v_lshlrev_b32_e32 v4, 6, v84
	v_lshlrev_b32_e32 v3, 4, v0
	v_lshl_or_b32 v0, v0, 10, v4
	v_lshlrev_b32_e32 v2, 5, v1
	v_and_b32_e32 v3, 16, v3
	v_and_b32_e32 v0, 0x1a00, v0
	v_or3_b32 v0, v0, v2, v3
	ds_read_b128 v[4:7], v0 offset:256
	buffer_load_dword v8, off, s[44:47], 0  ; 4-byte Folded Reload
	buffer_load_dword v9, off, s[44:47], 0 offset:4 ; 4-byte Folded Reload
	s_load_dwordx2 s[10:11], s[4:5], 0x68
	s_lshl_b32 s4, s8, 7
	s_mul_i32 s2, s9, s6
	s_mul_hi_u32 s7, s2, s4
	s_mul_i32 s6, s2, s4
	s_lshl_b64 s[6:7], s[6:7], 1
	s_waitcnt lgkmcnt(0)
	s_add_u32 s5, s10, s6
	s_addc_u32 s6, s11, s7
	s_lshl_b32 s2, s26, 7
	s_lshl_b64 s[2:3], s[2:3], 1
	s_add_u32 s2, s5, s2
	s_addc_u32 s3, s6, s3
	v_mov_b32_e32 v3, s3
	v_add_u32_e32 v18, s27, v1
	s_waitcnt vmcnt(1)
	v_add_co_u32_e32 v2, vcc, s2, v8
	s_waitcnt vmcnt(0)
	v_addc_co_u32_e32 v3, vcc, v3, v9, vcc
	ds_read_b128 v[8:11], v0 offset:128
	ds_read_b128 v[12:15], v0
	v_mad_u64_u32 v[16:17], s[2:3], v18, s4, 0
	v_lshlrev_b64 v[16:17], 1, v[16:17]
	v_add_co_u32_e32 v16, vcc, v2, v16
	v_addc_co_u32_e32 v17, vcc, v3, v17, vcc
	s_waitcnt lgkmcnt(0)
	global_store_dwordx4 v[16:17], v[12:15], off
	s_nop 0
	v_add_u32_e32 v12, 4, v18
	v_mad_u64_u32 v[12:13], s[2:3], v12, s4, 0
	v_lshlrev_b64 v[12:13], 1, v[12:13]
	v_add_co_u32_e32 v12, vcc, v2, v12
	v_addc_co_u32_e32 v13, vcc, v3, v13, vcc
	global_store_dwordx4 v[12:13], v[8:11], off
	s_nop 0
	v_add_u32_e32 v8, 8, v18
	v_mad_u64_u32 v[8:9], s[2:3], v8, s4, 0
	v_lshlrev_b64 v[8:9], 1, v[8:9]
	v_add_co_u32_e32 v8, vcc, v2, v8
	v_addc_co_u32_e32 v9, vcc, v3, v9, vcc
	global_store_dwordx4 v[8:9], v[4:7], off
	s_and_b64 exec, exec, s[0:1]
	s_cbranch_execz .LBB356_22
; %bb.21:
	ds_read_b128 v[4:7], v0 offset:384
	v_add3_u32 v0, s27, v1, 12
	v_mad_u64_u32 v[0:1], s[0:1], v0, s4, 0
	v_lshlrev_b64 v[0:1], 1, v[0:1]
	v_add_co_u32_e32 v0, vcc, v2, v0
	v_addc_co_u32_e32 v1, vcc, v3, v1, vcc
	s_waitcnt lgkmcnt(0)
	global_store_dwordx4 v[0:1], v[4:7], off
.LBB356_22:
	s_endpgm
	.section	.rodata,"a",@progbits
	.p2align	6, 0x0
	.amdhsa_kernel _Z39paged_attention_ll4mi_QKV_mfma16_kernelI14__hip_bfloat16S0_LN4vllm18Fp8KVCacheDataTypeE0ES0_Li32ELi128ELi256ELb1ELi13EL8MFMAType0EEvPKT_PKT0_S9_ifPKiSB_SB_iPKfiiiPfSE_PS4_PT2_iSD_SD_
		.amdhsa_group_segment_fixed_size 8192
		.amdhsa_private_segment_fixed_size 12
		.amdhsa_kernarg_size 400
		.amdhsa_user_sgpr_count 6
		.amdhsa_user_sgpr_private_segment_buffer 1
		.amdhsa_user_sgpr_dispatch_ptr 0
		.amdhsa_user_sgpr_queue_ptr 0
		.amdhsa_user_sgpr_kernarg_segment_ptr 1
		.amdhsa_user_sgpr_dispatch_id 0
		.amdhsa_user_sgpr_flat_scratch_init 0
		.amdhsa_user_sgpr_kernarg_preload_length 0
		.amdhsa_user_sgpr_kernarg_preload_offset 0
		.amdhsa_user_sgpr_private_segment_size 0
		.amdhsa_uses_dynamic_stack 0
		.amdhsa_system_sgpr_private_segment_wavefront_offset 1
		.amdhsa_system_sgpr_workgroup_id_x 1
		.amdhsa_system_sgpr_workgroup_id_y 1
		.amdhsa_system_sgpr_workgroup_id_z 1
		.amdhsa_system_sgpr_workgroup_info 0
		.amdhsa_system_vgpr_workitem_id 0
		.amdhsa_next_free_vgpr 96
		.amdhsa_next_free_sgpr 48
		.amdhsa_accum_offset 96
		.amdhsa_reserve_vcc 1
		.amdhsa_reserve_flat_scratch 0
		.amdhsa_float_round_mode_32 0
		.amdhsa_float_round_mode_16_64 0
		.amdhsa_float_denorm_mode_32 3
		.amdhsa_float_denorm_mode_16_64 3
		.amdhsa_dx10_clamp 1
		.amdhsa_ieee_mode 1
		.amdhsa_fp16_overflow 0
		.amdhsa_tg_split 0
		.amdhsa_exception_fp_ieee_invalid_op 0
		.amdhsa_exception_fp_denorm_src 0
		.amdhsa_exception_fp_ieee_div_zero 0
		.amdhsa_exception_fp_ieee_overflow 0
		.amdhsa_exception_fp_ieee_underflow 0
		.amdhsa_exception_fp_ieee_inexact 0
		.amdhsa_exception_int_div_zero 0
	.end_amdhsa_kernel
	.section	.text._Z39paged_attention_ll4mi_QKV_mfma16_kernelI14__hip_bfloat16S0_LN4vllm18Fp8KVCacheDataTypeE0ES0_Li32ELi128ELi256ELb1ELi13EL8MFMAType0EEvPKT_PKT0_S9_ifPKiSB_SB_iPKfiiiPfSE_PS4_PT2_iSD_SD_,"axG",@progbits,_Z39paged_attention_ll4mi_QKV_mfma16_kernelI14__hip_bfloat16S0_LN4vllm18Fp8KVCacheDataTypeE0ES0_Li32ELi128ELi256ELb1ELi13EL8MFMAType0EEvPKT_PKT0_S9_ifPKiSB_SB_iPKfiiiPfSE_PS4_PT2_iSD_SD_,comdat
.Lfunc_end356:
	.size	_Z39paged_attention_ll4mi_QKV_mfma16_kernelI14__hip_bfloat16S0_LN4vllm18Fp8KVCacheDataTypeE0ES0_Li32ELi128ELi256ELb1ELi13EL8MFMAType0EEvPKT_PKT0_S9_ifPKiSB_SB_iPKfiiiPfSE_PS4_PT2_iSD_SD_, .Lfunc_end356-_Z39paged_attention_ll4mi_QKV_mfma16_kernelI14__hip_bfloat16S0_LN4vllm18Fp8KVCacheDataTypeE0ES0_Li32ELi128ELi256ELb1ELi13EL8MFMAType0EEvPKT_PKT0_S9_ifPKiSB_SB_iPKfiiiPfSE_PS4_PT2_iSD_SD_
                                        ; -- End function
	.section	.AMDGPU.csdata,"",@progbits
; Kernel info:
; codeLenInByte = 5468
; NumSgprs: 52
; NumVgprs: 96
; NumAgprs: 0
; TotalNumVgprs: 96
; ScratchSize: 12
; MemoryBound: 0
; FloatMode: 240
; IeeeMode: 1
; LDSByteSize: 8192 bytes/workgroup (compile time only)
; SGPRBlocks: 6
; VGPRBlocks: 11
; NumSGPRsForWavesPerEU: 52
; NumVGPRsForWavesPerEU: 96
; AccumOffset: 96
; Occupancy: 5
; WaveLimiterHint : 1
; COMPUTE_PGM_RSRC2:SCRATCH_EN: 1
; COMPUTE_PGM_RSRC2:USER_SGPR: 6
; COMPUTE_PGM_RSRC2:TRAP_HANDLER: 0
; COMPUTE_PGM_RSRC2:TGID_X_EN: 1
; COMPUTE_PGM_RSRC2:TGID_Y_EN: 1
; COMPUTE_PGM_RSRC2:TGID_Z_EN: 1
; COMPUTE_PGM_RSRC2:TIDIG_COMP_CNT: 0
; COMPUTE_PGM_RSRC3_GFX90A:ACCUM_OFFSET: 23
; COMPUTE_PGM_RSRC3_GFX90A:TG_SPLIT: 0
	.section	.text._Z39paged_attention_ll4mi_QKV_mfma16_kernelI14__hip_bfloat16S0_LN4vllm18Fp8KVCacheDataTypeE0ES0_Li32ELi128ELi256ELb1ELi14EL8MFMAType0EEvPKT_PKT0_S9_ifPKiSB_SB_iPKfiiiPfSE_PS4_PT2_iSD_SD_,"axG",@progbits,_Z39paged_attention_ll4mi_QKV_mfma16_kernelI14__hip_bfloat16S0_LN4vllm18Fp8KVCacheDataTypeE0ES0_Li32ELi128ELi256ELb1ELi14EL8MFMAType0EEvPKT_PKT0_S9_ifPKiSB_SB_iPKfiiiPfSE_PS4_PT2_iSD_SD_,comdat
	.protected	_Z39paged_attention_ll4mi_QKV_mfma16_kernelI14__hip_bfloat16S0_LN4vllm18Fp8KVCacheDataTypeE0ES0_Li32ELi128ELi256ELb1ELi14EL8MFMAType0EEvPKT_PKT0_S9_ifPKiSB_SB_iPKfiiiPfSE_PS4_PT2_iSD_SD_ ; -- Begin function _Z39paged_attention_ll4mi_QKV_mfma16_kernelI14__hip_bfloat16S0_LN4vllm18Fp8KVCacheDataTypeE0ES0_Li32ELi128ELi256ELb1ELi14EL8MFMAType0EEvPKT_PKT0_S9_ifPKiSB_SB_iPKfiiiPfSE_PS4_PT2_iSD_SD_
	.globl	_Z39paged_attention_ll4mi_QKV_mfma16_kernelI14__hip_bfloat16S0_LN4vllm18Fp8KVCacheDataTypeE0ES0_Li32ELi128ELi256ELb1ELi14EL8MFMAType0EEvPKT_PKT0_S9_ifPKiSB_SB_iPKfiiiPfSE_PS4_PT2_iSD_SD_
	.p2align	8
	.type	_Z39paged_attention_ll4mi_QKV_mfma16_kernelI14__hip_bfloat16S0_LN4vllm18Fp8KVCacheDataTypeE0ES0_Li32ELi128ELi256ELb1ELi14EL8MFMAType0EEvPKT_PKT0_S9_ifPKiSB_SB_iPKfiiiPfSE_PS4_PT2_iSD_SD_,@function
_Z39paged_attention_ll4mi_QKV_mfma16_kernelI14__hip_bfloat16S0_LN4vllm18Fp8KVCacheDataTypeE0ES0_Li32ELi128ELi256ELb1ELi14EL8MFMAType0EEvPKT_PKT0_S9_ifPKiSB_SB_iPKfiiiPfSE_PS4_PT2_iSD_SD_: ; @_Z39paged_attention_ll4mi_QKV_mfma16_kernelI14__hip_bfloat16S0_LN4vllm18Fp8KVCacheDataTypeE0ES0_Li32ELi128ELi256ELb1ELi14EL8MFMAType0EEvPKT_PKT0_S9_ifPKiSB_SB_iPKfiiiPfSE_PS4_PT2_iSD_SD_
; %bb.0:
	s_mov_b64 s[46:47], s[2:3]
	s_mov_b64 s[44:45], s[0:1]
	s_load_dwordx2 s[0:1], s[4:5], 0x30
	s_add_u32 s44, s44, s9
	s_addc_u32 s45, s45, 0
	s_mov_b32 s26, s7
	s_mov_b64 s[10:11], 0
	s_waitcnt lgkmcnt(0)
	s_cmp_lg_u64 s[0:1], 0
	s_cselect_b64 s[2:3], -1, 0
	s_and_b64 vcc, exec, s[2:3]
	s_cbranch_vccz .LBB357_7
; %bb.1:
	s_add_i32 s12, s6, 1
	s_mov_b32 s13, 0
	s_lshl_b64 s[14:15], s[12:13], 2
	s_add_u32 s14, s0, s14
	s_mov_b32 s7, s13
	s_addc_u32 s15, s1, s15
	s_lshl_b64 s[12:13], s[6:7], 2
	s_add_u32 s12, s0, s12
	s_addc_u32 s13, s1, s13
	s_load_dword s9, s[14:15], 0x0
	s_load_dword s16, s[12:13], 0x0
	s_waitcnt lgkmcnt(0)
	s_sub_i32 s9, s9, s16
	s_cmp_eq_u32 s9, 1
	s_cselect_b64 s[12:13], -1, 0
	s_andn2_b64 vcc, exec, s[10:11]
	s_cbranch_vccnz .LBB357_3
.LBB357_2:
	s_mov_b32 s7, 0
	s_mov_b64 s[12:13], -1
.LBB357_3:
	s_andn2_b64 vcc, exec, s[12:13]
	s_cbranch_vccnz .LBB357_22
; %bb.4:
	s_load_dwordx2 s[12:13], s[4:5], 0x28
	s_lshl_b64 s[10:11], s[6:7], 2
	s_waitcnt lgkmcnt(0)
	s_add_u32 s12, s12, s10
	s_addc_u32 s13, s13, s11
	s_load_dword s33, s[12:13], 0x0
	s_lshl_b32 s16, s26, 8
	s_waitcnt lgkmcnt(0)
	s_cmp_ge_i32 s16, s33
	s_cbranch_scc1 .LBB357_22
; %bb.5:
	s_add_i32 s14, s33, 31
	s_load_dwordx2 s[12:13], s[4:5], 0x20
	s_load_dword s9, s[4:5], 0x38
	s_ashr_i32 s15, s14, 31
	v_and_b32_e32 v1, 0xcf, v0
	s_lshr_b32 s15, s15, 27
	v_add_u32_e32 v1, s16, v1
	s_add_i32 s14, s14, s15
	v_ashrrev_i32_e32 v2, 31, v1
	s_ashr_i32 s19, s14, 5
	v_lshrrev_b32_e32 v6, 27, v2
	s_add_i32 s19, s19, -1
	v_add_u32_e32 v2, v1, v6
	s_waitcnt lgkmcnt(0)
	s_mul_i32 s14, s6, s9
	s_mov_b32 s15, 0
	v_ashrrev_i32_e32 v2, 5, v2
	v_mov_b32_e32 v7, s19
	v_cmp_gt_i32_e32 vcc, s33, v1
	s_lshl_b64 s[14:15], s[14:15], 2
	v_cndmask_b32_e32 v2, v7, v2, vcc
	s_add_u32 s17, s12, s14
	v_ashrrev_i32_e32 v3, 31, v2
	s_addc_u32 s18, s13, s15
	v_lshlrev_b64 v[2:3], 2, v[2:3]
	v_mov_b32_e32 v4, s18
	v_add_co_u32_e32 v2, vcc, s17, v2
	v_addc_co_u32_e32 v3, vcc, v4, v3, vcc
	v_or_b32_e32 v4, 16, v1
	v_add_u32_e32 v5, v4, v6
	v_ashrrev_i32_e32 v5, 5, v5
	v_cmp_gt_i32_e32 vcc, s33, v4
	v_cndmask_b32_e32 v4, v7, v5, vcc
	v_ashrrev_i32_e32 v5, 31, v4
	v_lshlrev_b64 v[4:5], 2, v[4:5]
	v_mov_b32_e32 v9, s18
	v_add_co_u32_e32 v8, vcc, s17, v4
	v_or_b32_e32 v4, 32, v1
	v_addc_co_u32_e32 v9, vcc, v9, v5, vcc
	v_add_u32_e32 v5, v4, v6
	v_ashrrev_i32_e32 v5, 5, v5
	v_cmp_gt_i32_e32 vcc, s33, v4
	v_cndmask_b32_e32 v4, v7, v5, vcc
	v_ashrrev_i32_e32 v5, 31, v4
	v_lshlrev_b64 v[4:5], 2, v[4:5]
	v_mov_b32_e32 v11, s18
	v_add_co_u32_e32 v10, vcc, s17, v4
	v_or_b32_e32 v1, 48, v1
	v_addc_co_u32_e32 v11, vcc, v11, v5, vcc
	v_add_u32_e32 v4, v1, v6
	v_ashrrev_i32_e32 v4, 5, v4
	v_cmp_gt_i32_e32 vcc, s33, v1
	v_cndmask_b32_e32 v4, v7, v4, vcc
	v_ashrrev_i32_e32 v5, 31, v4
	v_lshlrev_b64 v[4:5], 2, v[4:5]
	v_mov_b32_e32 v1, s18
	v_add_co_u32_e32 v12, vcc, s17, v4
	v_addc_co_u32_e32 v13, vcc, v1, v5, vcc
	global_load_dword v7, v[2:3], off
	global_load_dword v6, v[8:9], off
	global_load_dword v5, v[10:11], off
	global_load_dword v4, v[12:13], off
	s_andn2_b64 vcc, exec, s[2:3]
	s_cbranch_vccnz .LBB357_8
; %bb.6:
	s_add_u32 s0, s0, s10
	s_addc_u32 s1, s1, s11
	s_load_dword s9, s[0:1], 0x0
	s_branch .LBB357_9
.LBB357_7:
	s_mov_b64 s[12:13], 0
	s_branch .LBB357_2
.LBB357_8:
	s_mov_b32 s9, s6
.LBB357_9:
	s_load_dwordx2 s[12:13], s[4:5], 0x8
	s_load_dwordx4 s[0:3], s[4:5], 0x48
	v_lshrrev_b32_e32 v85, 6, v0
	v_bfe_u32 v1, v0, 4, 2
	v_lshl_or_b32 v8, v85, 2, v1
	v_and_b32_e32 v84, 15, v0
	v_lshlrev_b32_e32 v2, 3, v84
	v_cmp_lt_u32_e32 vcc, 13, v8
	s_and_saveexec_b64 s[10:11], vcc
	s_xor_b64 s[10:11], exec, s[10:11]
; %bb.10:
	v_mov_b32_e32 v3, 0
                                        ; implicit-def: $vgpr8
; %bb.11:
	s_or_saveexec_b64 s[14:15], s[10:11]
	s_load_dwordx2 s[10:11], s[4:5], 0x10
	s_mul_i32 s27, s8, 14
	s_xor_b64 exec, exec, s[14:15]
	s_cbranch_execz .LBB357_13
; %bb.12:
	s_load_dwordx2 s[20:21], s[4:5], 0x0
	s_waitcnt lgkmcnt(0)
	s_ashr_i32 s3, s0, 31
	s_mul_hi_u32 s22, s9, s0
	s_mul_i32 s3, s9, s3
	s_add_i32 s23, s22, s3
	s_mul_i32 s22, s9, s0
	s_lshl_b64 s[22:23], s[22:23], 1
	v_add_lshl_u32 v10, v8, s27, 7
	s_add_u32 s0, s20, s22
	v_ashrrev_i32_e32 v11, 31, v10
	s_addc_u32 s3, s21, s23
	v_lshlrev_b64 v[10:11], 1, v[10:11]
	v_mov_b32_e32 v3, s3
	v_add_co_u32_e32 v9, vcc, s0, v10
	v_addc_co_u32_e32 v3, vcc, v3, v11, vcc
	v_lshlrev_b32_e32 v10, 1, v2
	v_add_co_u32_e32 v10, vcc, v9, v10
	v_addc_co_u32_e32 v11, vcc, 0, v3, vcc
	global_load_dwordx4 v[10:13], v[10:11], off
	v_and_b32_e32 v9, 3, v0
	v_lshlrev_b32_e32 v14, 9, v84
	v_lshlrev_b32_e32 v8, 5, v8
	;; [unrolled: 1-line block ×3, first 2 shown]
	v_and_b32_e32 v14, 0x1800, v14
	v_mov_b32_e32 v3, 0
	v_or3_b32 v8, v14, v9, v8
	s_waitcnt vmcnt(0)
	ds_write_b128 v8, v[10:13]
.LBB357_13:
	s_or_b64 exec, exec, s[14:15]
	s_waitcnt lgkmcnt(0)
	s_mul_i32 s2, s8, s2
	s_mov_b32 s3, 0
	s_lshl_b64 s[2:3], s[2:3], 1
	s_add_u32 s0, s12, s2
	s_waitcnt vmcnt(3)
	v_mad_i64_i32 v[8:9], s[8:9], v7, s1, 0
	s_addc_u32 s12, s13, s3
	v_lshlrev_b64 v[8:9], 1, v[8:9]
	v_mov_b32_e32 v7, s12
	v_add_co_u32_e32 v8, vcc, s0, v8
	v_addc_co_u32_e32 v7, vcc, v7, v9, vcc
	v_lshlrev_b64 v[14:15], 1, v[2:3]
	v_add_co_u32_e32 v8, vcc, v8, v14
	v_lshlrev_b32_e32 v12, 9, v1
	v_addc_co_u32_e32 v7, vcc, v7, v15, vcc
	v_add_co_u32_e32 v2, vcc, v8, v12
	v_addc_co_u32_e32 v3, vcc, 0, v7, vcc
	v_or_b32_e32 v10, 0x1000, v12
	s_barrier
	global_load_dwordx4 v[38:41], v[2:3], off
	global_load_dwordx4 v[34:37], v[2:3], off offset:2048
	v_add_co_u32_e32 v2, vcc, v8, v10
	v_addc_co_u32_e32 v3, vcc, 0, v7, vcc
	v_or_b32_e32 v11, 0x1800, v12
	v_add_co_u32_e32 v8, vcc, v8, v11
	v_addc_co_u32_e32 v9, vcc, 0, v7, vcc
	global_load_dwordx4 v[46:49], v[2:3], off
	global_load_dwordx4 v[58:61], v[8:9], off
	s_waitcnt vmcnt(6)
	v_mad_i64_i32 v[2:3], s[8:9], v6, s1, 0
	v_lshlrev_b64 v[2:3], 1, v[2:3]
	v_mov_b32_e32 v6, s12
	v_add_co_u32_e32 v2, vcc, s0, v2
	v_addc_co_u32_e32 v3, vcc, v6, v3, vcc
	v_mov_b32_e32 v6, 0x100
	v_lshl_or_b32 v8, v84, 4, v6
	v_add_co_u32_e32 v6, vcc, v2, v8
	v_addc_co_u32_e32 v7, vcc, 0, v3, vcc
	v_add_co_u32_e32 v2, vcc, v6, v12
	v_addc_co_u32_e32 v3, vcc, 0, v7, vcc
	global_load_dwordx4 v[74:77], v[2:3], off
	global_load_dwordx4 v[70:73], v[2:3], off offset:2048
	v_add_co_u32_e32 v2, vcc, v6, v10
	v_addc_co_u32_e32 v3, vcc, 0, v7, vcc
	v_add_co_u32_e32 v6, vcc, v6, v11
	v_addc_co_u32_e32 v7, vcc, 0, v7, vcc
	global_load_dwordx4 v[78:81], v[2:3], off
	global_load_dwordx4 v[66:69], v[6:7], off
	s_waitcnt vmcnt(9)
	v_mad_i64_i32 v[2:3], s[8:9], v5, s1, 0
	v_lshlrev_b64 v[2:3], 1, v[2:3]
	v_mov_b32_e32 v5, s12
	v_add_co_u32_e32 v2, vcc, s0, v2
	v_addc_co_u32_e32 v3, vcc, v5, v3, vcc
	v_add_co_u32_e32 v5, vcc, v2, v14
	buffer_store_dword v14, off, s[44:47], 0 ; 4-byte Folded Spill
	s_nop 0
	buffer_store_dword v15, off, s[44:47], 0 offset:4 ; 4-byte Folded Spill
	v_and_b32_e32 v94, 63, v0
	v_mov_b32_e32 v87, 0
	v_addc_co_u32_e32 v7, vcc, v3, v15, vcc
	v_add_co_u32_e32 v2, vcc, v5, v12
	v_addc_co_u32_e32 v3, vcc, 0, v7, vcc
	global_load_dwordx4 v[62:65], v[2:3], off
	global_load_dwordx4 v[42:45], v[2:3], off offset:2048
	v_add_co_u32_e32 v2, vcc, v5, v10
	v_addc_co_u32_e32 v3, vcc, 0, v7, vcc
	v_add_co_u32_e32 v6, vcc, v5, v11
	v_addc_co_u32_e32 v7, vcc, 0, v7, vcc
	global_load_dwordx4 v[26:29], v[2:3], off
	global_load_dwordx4 v[18:21], v[6:7], off
	s_waitcnt vmcnt(14)
	v_mad_i64_i32 v[2:3], s[8:9], v4, s1, 0
	v_lshlrev_b64 v[2:3], 1, v[2:3]
	v_mov_b32_e32 v4, s12
	v_add_co_u32_e32 v2, vcc, s0, v2
	v_addc_co_u32_e32 v3, vcc, v4, v3, vcc
	v_add_co_u32_e32 v4, vcc, v2, v8
	v_addc_co_u32_e32 v5, vcc, 0, v3, vcc
	;; [unrolled: 2-line block ×3, first 2 shown]
	global_load_dwordx4 v[14:17], v[2:3], off
	global_load_dwordx4 v[6:9], v[2:3], off offset:2048
	v_add_co_u32_e32 v2, vcc, v4, v10
	v_addc_co_u32_e32 v3, vcc, 0, v5, vcc
	v_add_co_u32_e32 v10, vcc, v4, v11
	v_addc_co_u32_e32 v11, vcc, 0, v5, vcc
	global_load_dwordx4 v[2:5], v[2:3], off
	s_nop 0
	global_load_dwordx4 v[50:53], v[10:11], off
	v_add_u32_e32 v10, -14, v84
	v_cmp_gt_u32_e32 vcc, 14, v84
	v_cndmask_b32_e32 v10, v10, v84, vcc
	v_lshl_add_u32 v54, v10, 5, v12
	ds_read_b128 v[30:33], v54
	ds_read_b128 v[22:25], v54 offset:2048
	ds_read_b128 v[10:13], v54 offset:4096
	;; [unrolled: 1-line block ×3, first 2 shown]
	s_and_saveexec_b64 s[8:9], vcc
	s_cbranch_execz .LBB357_15
; %bb.14:
	s_load_dwordx2 s[12:13], s[4:5], 0x40
	v_add_u32_e32 v82, s27, v84
	v_ashrrev_i32_e32 v83, 31, v82
	v_lshlrev_b64 v[82:83], 2, v[82:83]
	s_waitcnt lgkmcnt(0)
	v_mov_b32_e32 v87, s13
	v_add_co_u32_e32 v82, vcc, s12, v82
	v_addc_co_u32_e32 v83, vcc, v87, v83, vcc
	global_load_dword v87, v[82:83], off
.LBB357_15:
	s_or_b64 exec, exec, s[8:9]
	s_waitcnt vmcnt(17) lgkmcnt(3)
	v_mfma_f32_16x16x16bf16_1k v[88:91], v[38:39], v[30:31], 0
	s_ashr_i32 s0, s16, 31
	s_lshr_b32 s0, s0, 27
	s_add_u32 s2, s10, s2
	s_addc_u32 s3, s11, s3
	s_mov_b32 s40, 0xff7fffff
	v_mfma_f32_16x16x16bf16_1k v[38:41], v[40:41], v[32:33], v[88:91]
	s_waitcnt vmcnt(16) lgkmcnt(2)
	v_mfma_f32_16x16x16bf16_1k v[38:41], v[34:35], v[22:23], v[38:41]
	s_nop 4
	v_lshl_or_b32 v88, v85, 4, v84
	v_mfma_f32_16x16x16bf16_1k v[34:37], v[36:37], v[24:25], v[38:41]
	s_waitcnt vmcnt(15) lgkmcnt(1)
	v_mfma_f32_16x16x16bf16_1k v[34:37], v[46:47], v[10:11], v[34:37]
	v_and_or_b32 v46, v0, 48, s16
	s_nop 3
	v_add_u32_e32 v38, s0, v46
	v_ashrrev_i32_e32 v38, 5, v38
	v_mov_b32_e32 v47, s19
	v_cmp_gt_i32_e32 vcc, s33, v46
	v_cndmask_b32_e32 v38, v47, v38, vcc
	v_ashrrev_i32_e32 v39, 31, v38
	v_mfma_f32_16x16x16bf16_1k v[34:37], v[48:49], v[12:13], v[34:37]
	v_or_b32_e32 v40, 64, v46
	v_add_u32_e32 v41, s0, v40
	v_ashrrev_i32_e32 v41, 5, v41
	v_mov_b32_e32 v48, s18
	s_waitcnt vmcnt(14) lgkmcnt(0)
	v_mfma_f32_16x16x16bf16_1k v[34:37], v[58:59], v[54:55], v[34:37]
	v_mfma_f32_16x16x16bf16_1k v[58:61], v[60:61], v[56:57], v[34:37]
	s_waitcnt vmcnt(13)
	v_mfma_f32_16x16x16bf16_1k v[34:37], v[74:75], v[30:31], 0
	v_mfma_f32_16x16x16bf16_1k v[34:37], v[76:77], v[32:33], v[34:37]
	v_lshlrev_b32_e32 v76, 6, v88
	s_waitcnt vmcnt(12)
	v_mfma_f32_16x16x16bf16_1k v[34:37], v[70:71], v[22:23], v[34:37]
	v_mfma_f32_16x16x16bf16_1k v[34:37], v[72:73], v[24:25], v[34:37]
	s_waitcnt vmcnt(11)
	v_mfma_f32_16x16x16bf16_1k v[34:37], v[78:79], v[10:11], v[34:37]
	v_mfma_f32_16x16x16bf16_1k v[34:37], v[80:81], v[12:13], v[34:37]
	;; [unrolled: 3-line block ×3, first 2 shown]
	s_nop 7
	s_nop 1
	v_lshlrev_b64 v[34:35], 2, v[38:39]
	v_mov_b32_e32 v36, s18
	v_add_co_u32_e32 v38, vcc, s17, v34
	v_addc_co_u32_e32 v39, vcc, v36, v35, vcc
	v_cmp_gt_i32_e32 vcc, s33, v40
	v_cndmask_b32_e32 v40, v47, v41, vcc
	v_ashrrev_i32_e32 v41, 31, v40
	v_lshlrev_b64 v[40:41], 2, v[40:41]
	v_add_co_u32_e32 v40, vcc, s17, v40
	v_addc_co_u32_e32 v41, vcc, v48, v41, vcc
	global_load_dword v48, v[38:39], off
	s_nop 0
	global_load_dword v40, v[40:41], off
	v_or_b32_e32 v38, 0x80, v46
	v_add_u32_e32 v39, s0, v38
	v_ashrrev_i32_e32 v39, 5, v39
	v_cmp_gt_i32_e32 vcc, s33, v38
	v_cndmask_b32_e32 v38, v47, v39, vcc
	v_ashrrev_i32_e32 v39, 31, v38
	v_lshlrev_b64 v[38:39], 2, v[38:39]
	v_mov_b32_e32 v41, s18
	v_add_co_u32_e32 v38, vcc, s17, v38
	v_addc_co_u32_e32 v39, vcc, v41, v39, vcc
	s_waitcnt vmcnt(9)
	v_mfma_f32_16x16x16bf16_1k v[34:37], v[62:63], v[30:31], 0
	global_load_dword v62, v[38:39], off
	v_or_b32_e32 v38, 0xc0, v46
	v_add_u32_e32 v39, s0, v38
	v_ashrrev_i32_e32 v39, 5, v39
	v_cmp_gt_i32_e32 vcc, s33, v38
	v_cndmask_b32_e32 v38, v47, v39, vcc
	v_ashrrev_i32_e32 v39, 31, v38
	v_mfma_f32_16x16x16bf16_1k v[34:37], v[64:65], v[32:33], v[34:37]
	s_load_dword s0, s[4:5], 0x1c
	s_waitcnt lgkmcnt(0)
	v_pk_mul_f32 v[58:59], s[0:1], v[58:59] op_sel_hi:[0,1]
	s_waitcnt vmcnt(9)
	v_mfma_f32_16x16x16bf16_1k v[34:37], v[42:43], v[22:23], v[34:37]
	v_mfma_f32_16x16x16bf16_1k v[34:37], v[44:45], v[24:25], v[34:37]
	s_waitcnt vmcnt(8)
	v_mfma_f32_16x16x16bf16_1k v[34:37], v[26:27], v[10:11], v[34:37]
	v_lshlrev_b64 v[26:27], 2, v[38:39]
	v_mov_b32_e32 v39, s18
	v_add_co_u32_e32 v38, vcc, s17, v26
	v_addc_co_u32_e32 v39, vcc, v39, v27, vcc
	global_load_dword v63, v[38:39], off
	v_mfma_f32_16x16x16bf16_1k v[26:29], v[28:29], v[12:13], v[34:37]
	s_waitcnt vmcnt(8)
	v_mfma_f32_16x16x16bf16_1k v[26:29], v[18:19], v[54:55], v[26:29]
	s_nop 4
	v_and_b32_e32 v34, 16, v0
	v_lshlrev_b32_e32 v34, 1, v34
	v_mov_b32_e32 v18, s3
	v_add_co_u32_e32 v74, vcc, s2, v34
	v_addc_co_u32_e32 v75, vcc, 0, v18, vcc
	v_mfma_f32_16x16x16bf16_1k v[90:93], v[20:21], v[56:57], v[26:29]
	v_add_co_u32_e32 v77, vcc, v74, v76
	v_addc_co_u32_e32 v78, vcc, 0, v75, vcc
	s_waitcnt vmcnt(3)
	v_mad_i64_i32 v[18:19], s[2:3], v48, s1, 0
	v_lshlrev_b64 v[70:71], 1, v[18:19]
	v_mfma_f32_16x16x16bf16_1k v[18:21], v[14:15], v[30:31], 0
	v_add_co_u32_e32 v14, vcc, v77, v70
	v_addc_co_u32_e32 v15, vcc, v78, v71, vcc
	global_load_dwordx4 v[46:49], v[14:15], off
	global_load_dwordx4 v[42:45], v[14:15], off offset:16
	s_waitcnt vmcnt(4)
	v_mad_i64_i32 v[14:15], s[2:3], v40, s1, 0
	v_lshlrev_b64 v[72:73], 1, v[14:15]
	v_mfma_f32_16x16x16bf16_1k v[14:17], v[16:17], v[32:33], v[18:21]
	v_mfma_f32_16x16x16bf16_1k v[14:17], v[6:7], v[22:23], v[14:17]
	s_nop 5
	v_add_co_u32_e32 v18, vcc, v77, v72
	v_addc_co_u32_e32 v19, vcc, v78, v73, vcc
	global_load_dwordx4 v[38:41], v[18:19], off
	global_load_dwordx4 v[34:37], v[18:19], off offset:16
	s_waitcnt vmcnt(5)
	v_mad_i64_i32 v[18:19], s[2:3], v62, s1, 0
	v_lshlrev_b64 v[64:65], 1, v[18:19]
	v_add_co_u32_e32 v6, vcc, v77, v64
	v_addc_co_u32_e32 v7, vcc, v78, v65, vcc
	global_load_dwordx4 v[30:33], v[6:7], off
	global_load_dwordx4 v[26:29], v[6:7], off offset:16
	v_mfma_f32_16x16x16bf16_1k v[6:9], v[8:9], v[24:25], v[14:17]
	v_mfma_f32_16x16x16bf16_1k v[6:9], v[2:3], v[10:11], v[6:9]
	v_or_b32_e32 v2, 0x1000, v76
	s_waitcnt vmcnt(6)
	s_nop 3
	v_mad_i64_i32 v[14:15], s[2:3], v63, s1, 0
	v_mfma_f32_16x16x16bf16_1k v[10:13], v[4:5], v[12:13], v[6:9]
	v_lshlrev_b64 v[62:63], 1, v[14:15]
	v_add_co_u32_e32 v14, vcc, v77, v62
	v_addc_co_u32_e32 v15, vcc, v78, v63, vcc
	v_add_co_u32_e32 v89, vcc, v74, v2
	v_mfma_f32_16x16x16bf16_1k v[80:83], v[50:51], v[54:55], v[10:13]
	v_addc_co_u32_e32 v86, vcc, 0, v75, vcc
	v_pk_mul_f32 v[74:75], s[0:1], v[68:69] op_sel_hi:[0,1]
	v_pk_mul_f32 v[76:77], s[0:1], v[66:67] op_sel_hi:[0,1]
	;; [unrolled: 1-line block ×3, first 2 shown]
	v_add_co_u32_e32 v2, vcc, v89, v70
	v_mfma_f32_16x16x16bf16_1k v[50:53], v[52:53], v[56:57], v[80:83]
	v_addc_co_u32_e32 v3, vcc, v86, v71, vcc
	v_add_co_u32_e32 v70, vcc, v89, v72
	v_addc_co_u32_e32 v71, vcc, v86, v73, vcc
	global_load_dwordx4 v[22:25], v[14:15], off
	global_load_dwordx4 v[18:21], v[14:15], off offset:16
	s_nop 5
	v_pk_mul_f32 v[68:69], s[0:1], v[50:51] op_sel_hi:[0,1]
	v_and_b32_e32 v50, 0xc0, v0
	v_add_u32_e32 v50, s16, v50
	v_lshl_or_b32 v50, v1, 2, v50
	v_or_b32_e32 v51, 1, v50
	v_pk_mul_f32 v[66:67], s[0:1], v[52:53] op_sel_hi:[0,1]
	v_subrev_u32_e32 v52, s33, v51
	v_add_u32_e32 v54, 1, v52
	v_add_u32_e32 v55, 2, v52
	v_cvt_f32_i32_e32 v53, v52
	v_cvt_f32_i32_e32 v54, v54
	;; [unrolled: 1-line block ×3, first 2 shown]
	v_add_u32_e32 v56, 3, v52
	v_fma_f32 v58, v87, v53, v58
	v_fmac_f32_e32 v59, v87, v54
	v_fma_f32 v78, v87, v55, v78
	v_add_u32_e32 v53, 16, v52
	v_add_u32_e32 v54, 17, v52
	;; [unrolled: 1-line block ×3, first 2 shown]
	v_cvt_f32_i32_e32 v56, v56
	v_cvt_f32_i32_e32 v53, v53
	;; [unrolled: 1-line block ×4, first 2 shown]
	v_fmac_f32_e32 v79, v87, v56
	v_add_u32_e32 v56, 19, v52
	v_fma_f32 v76, v87, v53, v76
	v_fmac_f32_e32 v77, v87, v54
	v_fma_f32 v74, v87, v55, v74
	v_add_u32_e32 v53, 32, v52
	v_add_u32_e32 v54, 33, v52
	;; [unrolled: 1-line block ×3, first 2 shown]
	v_cvt_f32_i32_e32 v56, v56
	v_cvt_f32_i32_e32 v53, v53
	;; [unrolled: 1-line block ×4, first 2 shown]
	global_load_dwordx4 v[6:9], v[2:3], off
	s_nop 0
	global_load_dwordx4 v[2:5], v[2:3], off offset:16
	s_nop 0
	global_load_dwordx4 v[14:17], v[70:71], off
	global_load_dwordx4 v[10:13], v[70:71], off offset:16
	v_pk_mul_f32 v[70:71], s[0:1], v[92:93] op_sel_hi:[0,1]
	v_pk_mul_f32 v[72:73], s[0:1], v[90:91] op_sel_hi:[0,1]
	v_fmac_f32_e32 v75, v87, v56
	v_add_u32_e32 v56, 35, v52
	v_fma_f32 v72, v87, v53, v72
	v_fmac_f32_e32 v73, v87, v54
	v_fma_f32 v70, v87, v55, v70
	v_add_u32_e32 v53, 48, v52
	v_add_u32_e32 v54, 49, v52
	;; [unrolled: 1-line block ×4, first 2 shown]
	v_cvt_f32_i32_e32 v52, v52
	v_cvt_f32_i32_e32 v53, v53
	;; [unrolled: 1-line block ×3, first 2 shown]
	v_cmp_gt_i32_e64 s[28:29], s33, v50
	v_fmac_f32_e32 v67, v87, v52
	v_mov_b32_e32 v52, 0xff7fffff
	v_cmp_gt_i32_e64 s[30:31], s33, v51
	v_fma_f32 v68, v87, v53, v68
	v_cndmask_b32_e64 v53, v52, v58, s[28:29]
	v_cndmask_b32_e64 v51, v52, v59, s[30:31]
	v_fmac_f32_e32 v69, v87, v54
	v_max3_f32 v51, v53, s40, v51
	v_or_b32_e32 v53, 2, v50
	v_or_b32_e32 v54, 3, v50
	v_cmp_gt_i32_e64 s[34:35], s33, v53
	v_cmp_gt_i32_e64 s[36:37], s33, v54
	v_cndmask_b32_e64 v53, v52, v78, s[34:35]
	v_cndmask_b32_e64 v54, v52, v79, s[36:37]
	v_max3_f32 v51, v51, v53, v54
	v_or_b32_e32 v53, 16, v50
	v_or_b32_e32 v54, 17, v50
	v_cmp_gt_i32_e64 s[22:23], s33, v53
	v_cmp_gt_i32_e64 s[24:25], s33, v54
	v_cndmask_b32_e64 v53, v52, v76, s[22:23]
	v_cndmask_b32_e64 v54, v52, v77, s[24:25]
	;; [unrolled: 7-line block ×3, first 2 shown]
	v_cvt_f32_i32_e32 v56, v56
	v_max3_f32 v51, v51, v53, v54
	v_or_b32_e32 v53, 32, v50
	v_or_b32_e32 v54, 33, v50
	v_cmp_gt_i32_e64 s[14:15], s33, v53
	v_cmp_gt_i32_e64 s[16:17], s33, v54
	v_cndmask_b32_e64 v53, v52, v72, s[14:15]
	v_cndmask_b32_e64 v54, v52, v73, s[16:17]
	v_max3_f32 v51, v51, v53, v54
	v_or_b32_e32 v53, 34, v50
	v_or_b32_e32 v54, 35, v50
	v_fmac_f32_e32 v71, v87, v56
	v_cmp_gt_i32_e64 s[10:11], s33, v53
	v_cmp_gt_i32_e64 s[12:13], s33, v54
	v_cndmask_b32_e64 v53, v52, v70, s[10:11]
	v_cndmask_b32_e64 v54, v52, v71, s[12:13]
	v_cvt_f32_i32_e32 v55, v55
	v_max3_f32 v51, v51, v53, v54
	v_or_b32_e32 v53, 48, v50
	v_or_b32_e32 v54, 49, v50
	v_cmp_gt_i32_e64 s[2:3], s33, v53
	v_cmp_gt_i32_e64 s[8:9], s33, v54
	v_cndmask_b32_e64 v53, v52, v68, s[2:3]
	v_cndmask_b32_e64 v54, v52, v69, s[8:9]
	v_max3_f32 v51, v51, v53, v54
	v_or_b32_e32 v53, 50, v50
	v_or_b32_e32 v50, 51, v50
	v_fma_f32 v66, v87, v55, v66
	v_cmp_gt_i32_e32 vcc, s33, v53
	v_cmp_gt_i32_e64 s[0:1], s33, v50
	v_cndmask_b32_e32 v53, v52, v66, vcc
	v_cndmask_b32_e64 v50, v52, v67, s[0:1]
	v_max3_f32 v60, v51, v53, v50
	v_mbcnt_lo_u32_b32 v50, -1, 0
	v_mbcnt_hi_u32_b32 v61, -1, v50
	v_and_b32_e32 v50, 64, v61
	v_add_u32_e32 v80, 64, v50
	v_xor_b32_e32 v50, 32, v61
	v_cmp_lt_i32_e64 s[38:39], v50, v80
	v_cndmask_b32_e64 v50, v61, v50, s[38:39]
	v_lshlrev_b32_e32 v82, 2, v50
	ds_bpermute_b32 v81, v82, v60
	v_add_co_u32_e64 v50, s[38:39], v89, v64
	v_addc_co_u32_e64 v51, s[38:39], v86, v65, s[38:39]
	s_waitcnt lgkmcnt(0)
	v_max_f32_e32 v64, v81, v81
	v_max_f32_e32 v64, v60, v64
	v_xor_b32_e32 v60, 16, v61
	v_cmp_lt_i32_e64 s[38:39], v60, v80
	v_cndmask_b32_e64 v60, v61, v60, s[38:39]
	v_lshlrev_b32_e32 v83, 2, v60
	ds_bpermute_b32 v65, v83, v64
	v_add_co_u32_e64 v60, s[38:39], v89, v62
	v_addc_co_u32_e64 v61, s[38:39], v86, v63, s[38:39]
	s_waitcnt lgkmcnt(0)
	v_max_f32_e32 v62, v65, v65
	v_max_f32_e32 v87, v64, v62
	v_sub_f32_e32 v58, v58, v87
	v_mul_f32_e32 v58, 0x3fb8aa3b, v58
	v_exp_f32_e32 v80, v58
	v_sub_f32_e32 v58, v59, v87
	v_mul_f32_e32 v58, 0x3fb8aa3b, v58
	global_load_dwordx4 v[54:57], v[50:51], off
	s_nop 0
	global_load_dwordx4 v[50:53], v[50:51], off offset:16
	v_exp_f32_e32 v81, v58
	global_load_dwordx4 v[62:65], v[60:61], off
	s_nop 0
	global_load_dwordx4 v[58:61], v[60:61], off offset:16
	v_sub_f32_e32 v78, v78, v87
	v_mul_f32_e32 v78, 0x3fb8aa3b, v78
	v_sub_f32_e32 v79, v79, v87
	v_exp_f32_e32 v78, v78
	v_mul_f32_e32 v79, 0x3fb8aa3b, v79
	v_sub_f32_e32 v76, v76, v87
	v_exp_f32_e32 v79, v79
	v_mul_f32_e32 v76, 0x3fb8aa3b, v76
	v_sub_f32_e32 v77, v77, v87
	v_cndmask_b32_e64 v80, 0, v80, s[28:29]
	v_exp_f32_e32 v76, v76
	v_mul_f32_e32 v77, 0x3fb8aa3b, v77
	v_sub_f32_e32 v74, v74, v87
	v_add_f32_e32 v86, 0, v80
	v_cndmask_b32_e64 v81, 0, v81, s[30:31]
	v_exp_f32_e32 v77, v77
	v_mul_f32_e32 v74, 0x3fb8aa3b, v74
	v_sub_f32_e32 v75, v75, v87
	v_add_f32_e32 v86, v86, v81
	;; [unrolled: 5-line block ×10, first 2 shown]
	v_cndmask_b32_e64 v70, 0, v70, s[10:11]
	v_exp_f32_e32 v66, v66
	v_mul_f32_e32 v67, 0x3fb8aa3b, v67
	v_add_f32_e32 v86, v86, v70
	v_cndmask_b32_e64 v71, 0, v71, s[12:13]
	v_exp_f32_e32 v67, v67
	v_add_f32_e32 v86, v86, v71
	v_cndmask_b32_e64 v68, 0, v68, s[2:3]
	v_add_f32_e32 v86, v86, v68
	v_cndmask_b32_e64 v69, 0, v69, s[8:9]
	v_add_f32_e32 v86, v86, v69
	v_cndmask_b32_e32 v66, 0, v66, vcc
	v_add_f32_e32 v86, v86, v66
	v_cndmask_b32_e64 v67, 0, v67, s[0:1]
	v_add_f32_e32 v86, v86, v67
	ds_bpermute_b32 v82, v82, v86
	s_load_dword s3, s[4:5], 0x98
	v_cmp_gt_u32_e32 vcc, 16, v94
	s_waitcnt lgkmcnt(0)
	s_barrier
	v_add_f32_e32 v89, v86, v82
	ds_bpermute_b32 v90, v83, v89
	s_waitcnt lgkmcnt(0)
	s_and_saveexec_b64 s[0:1], vcc
	s_cbranch_execz .LBB357_17
; %bb.16:
	v_add_f32_e32 v82, v89, v90
	v_lshlrev_b32_e32 v83, 2, v88
	ds_write2st64_b32 v83, v87, v82 offset1:1
.LBB357_17:
	s_or_b64 exec, exec, s[0:1]
	v_lshlrev_b32_e32 v87, 2, v84
	s_load_dword s2, s[4:5], 0x94
	s_waitcnt lgkmcnt(0)
	s_barrier
	ds_read2_b32 v[82:83], v87 offset1:16
	ds_read2_b32 v[88:89], v87 offset0:32 offset1:48
	ds_read2_b32 v[90:91], v87 offset0:64 offset1:80
	s_movk_i32 s8, 0x7fff
	s_mov_b32 s9, 0x7060302
	s_waitcnt lgkmcnt(2)
	v_max3_f32 v86, v82, s40, v83
	s_waitcnt lgkmcnt(1)
	v_max3_f32 v86, v86, v88, v89
	v_sub_f32_e32 v82, v82, v86
	v_mul_f32_e32 v82, 0x3fb8aa3b, v82
	v_exp_f32_e32 v92, v82
	v_sub_f32_e32 v82, v83, v86
	v_mul_f32_e32 v82, 0x3fb8aa3b, v82
	v_exp_f32_e32 v93, v82
	;; [unrolled: 3-line block ×3, first 2 shown]
	ds_read2_b32 v[82:83], v87 offset0:96 offset1:112
	v_sub_f32_e32 v87, v89, v86
	v_mul_f32_e32 v87, 0x3fb8aa3b, v87
	v_exp_f32_e32 v89, v87
	s_waitcnt lgkmcnt(1)
	v_fma_f32 v87, v92, v90, 0
	v_fmac_f32_e32 v87, v93, v91
	s_waitcnt lgkmcnt(0)
	v_fmac_f32_e32 v87, v88, v82
	v_fmac_f32_e32 v87, v89, v83
	v_add_f32_e32 v82, 0x358637bd, v87
	v_div_scale_f32 v83, s[0:1], v82, v82, 1.0
	v_rcp_f32_e32 v90, v83
	s_mul_i32 s3, s3, 14
	s_barrier
	v_fma_f32 v91, -v83, v90, 1.0
	v_fmac_f32_e32 v90, v91, v90
	v_div_scale_f32 v91, vcc, 1.0, v82, 1.0
	v_mul_f32_e32 v94, v91, v90
	v_fma_f32 v95, -v83, v94, v91
	v_fmac_f32_e32 v94, v95, v90
	v_fma_f32 v83, -v83, v94, v91
	v_div_fmas_f32 v83, v83, v90, v94
	v_cmp_eq_u32_e32 vcc, 1, v85
	v_div_fixup_f32 v82, v83, v82, 1.0
	v_cndmask_b32_e32 v83, v92, v93, vcc
	v_cmp_eq_u32_e32 vcc, 2, v85
	v_cndmask_b32_e32 v83, v83, v88, vcc
	v_cmp_eq_u32_e32 vcc, 3, v85
	v_cndmask_b32_e32 v83, v83, v89, vcc
	v_mul_f32_e32 v82, v83, v82
	v_pk_mul_f32 v[80:81], v[82:83], v[80:81] op_sel_hi:[0,1]
	v_pk_mul_f32 v[78:79], v[82:83], v[78:79] op_sel_hi:[0,1]
	v_bfe_u32 v83, v81, 16, 1
	v_bfe_u32 v88, v80, 16, 1
	v_add3_u32 v80, v80, v88, s8
	v_add3_u32 v81, v81, v83, s8
	v_perm_b32 v80, v81, v80, s9
	v_bfe_u32 v81, v79, 16, 1
	v_bfe_u32 v83, v78, 16, 1
	v_add3_u32 v78, v78, v83, s8
	v_add3_u32 v79, v79, v81, s8
	v_lshlrev_b32_e32 v83, 11, v85
	v_perm_b32 v81, v79, v78, s9
	v_lshlrev_b32_e32 v78, 3, v1
	v_lshlrev_b32_e32 v79, 5, v84
	v_pk_mul_f32 v[76:77], v[82:83], v[76:77] op_sel_hi:[0,1]
	v_or3_b32 v78, v83, v79, v78
	v_pk_mul_f32 v[74:75], v[82:83], v[74:75] op_sel_hi:[0,1]
	v_bfe_u32 v83, v77, 16, 1
	v_bfe_u32 v85, v76, 16, 1
	v_add3_u32 v76, v76, v85, s8
	v_add3_u32 v77, v77, v83, s8
	v_perm_b32 v76, v77, v76, s9
	v_bfe_u32 v77, v75, 16, 1
	v_bfe_u32 v83, v74, 16, 1
	v_add3_u32 v74, v74, v83, s8
	v_add3_u32 v75, v75, v77, s8
	v_pk_mul_f32 v[72:73], v[82:83], v[72:73] op_sel_hi:[0,1]
	v_perm_b32 v77, v75, v74, s9
	v_bfe_u32 v74, v73, 16, 1
	v_bfe_u32 v75, v72, 16, 1
	v_pk_mul_f32 v[70:71], v[82:83], v[70:71] op_sel_hi:[0,1]
	v_add3_u32 v72, v72, v75, s8
	v_add3_u32 v73, v73, v74, s8
	v_perm_b32 v72, v73, v72, s9
	v_bfe_u32 v73, v71, 16, 1
	v_bfe_u32 v74, v70, 16, 1
	v_add3_u32 v70, v70, v74, s8
	v_add3_u32 v71, v71, v73, s8
	v_pk_mul_f32 v[68:69], v[82:83], v[68:69] op_sel_hi:[0,1]
	v_perm_b32 v73, v71, v70, s9
	v_bfe_u32 v70, v69, 16, 1
	v_bfe_u32 v71, v68, 16, 1
	v_pk_mul_f32 v[66:67], v[82:83], v[66:67] op_sel_hi:[0,1]
	v_add3_u32 v68, v68, v71, s8
	v_add3_u32 v69, v69, v70, s8
	v_perm_b32 v68, v69, v68, s9
	v_bfe_u32 v69, v67, 16, 1
	v_bfe_u32 v70, v66, 16, 1
	v_add3_u32 v66, v66, v70, s8
	v_add3_u32 v67, v67, v69, s8
	v_perm_b32 v69, v67, v66, s9
	v_cmp_gt_u32_e32 vcc, 14, v0
	ds_write2st64_b64 v78, v[80:81], v[76:77] offset1:1
	ds_write2st64_b64 v78, v[72:73], v[68:69] offset0:2 offset1:3
	s_and_saveexec_b64 s[0:1], vcc
	s_cbranch_execz .LBB357_19
; %bb.18:
	v_add_co_u32_e32 v68, vcc, s27, v84
	v_addc_co_u32_e64 v69, s[10:11], 0, 0, vcc
	v_mov_b32_e32 v66, s3
	v_mov_b32_e32 v67, 0
	v_mad_u64_u32 v[68:69], s[10:11], s6, v66, v[68:69]
	v_mov_b32_e32 v66, s26
	s_load_dwordx4 s[12:15], s[4:5], 0x58
	s_mul_i32 s7, s7, s3
	v_mad_u64_u32 v[66:67], s[10:11], v68, s2, v[66:67]
	v_add_u32_e32 v69, s7, v69
	v_mov_b32_e32 v68, v67
	v_mad_u64_u32 v[68:69], s[10:11], v69, s2, v[68:69]
	v_mov_b32_e32 v67, v68
	v_lshlrev_b64 v[66:67], 2, v[66:67]
	s_waitcnt lgkmcnt(0)
	v_mov_b32_e32 v69, s15
	v_add_co_u32_e32 v68, vcc, s14, v66
	v_addc_co_u32_e32 v69, vcc, v69, v67, vcc
	global_store_dword v[68:69], v86, off
	v_mov_b32_e32 v68, s13
	v_add_co_u32_e32 v66, vcc, s12, v66
	v_addc_co_u32_e32 v67, vcc, v68, v67, vcc
	global_store_dword v[66:67], v87, off
.LBB357_19:
	s_or_b64 exec, exec, s[0:1]
	v_lshl_or_b32 v79, v1, 9, v79
	s_waitcnt lgkmcnt(0)
	s_barrier
	ds_read_b128 v[70:73], v79
	ds_read_b128 v[66:69], v79 offset:16
	s_waitcnt vmcnt(15) lgkmcnt(1)
	v_mfma_f32_16x16x16bf16_1k v[74:77], v[46:47], v[70:71], 0
	s_mov_b32 s1, 0
	v_cmp_gt_u32_e32 vcc, 64, v0
	v_mfma_f32_16x16x16bf16_1k v[46:49], v[48:49], v[72:73], v[74:77]
	s_waitcnt vmcnt(14) lgkmcnt(0)
	v_mfma_f32_16x16x16bf16_1k v[46:49], v[42:43], v[66:67], v[46:49]
	v_mfma_f32_16x16x16bf16_1k v[42:45], v[44:45], v[68:69], v[46:49]
	s_nop 7
	s_nop 1
	ds_read_b128 v[46:49], v79 offset:2048
	ds_read_b128 v[74:77], v79 offset:2064
	s_waitcnt vmcnt(13) lgkmcnt(1)
	v_mfma_f32_16x16x16bf16_1k v[42:45], v[38:39], v[46:47], v[42:45]
	v_mfma_f32_16x16x16bf16_1k v[38:41], v[40:41], v[48:49], v[42:45]
	s_waitcnt vmcnt(12) lgkmcnt(0)
	v_mfma_f32_16x16x16bf16_1k v[38:41], v[34:35], v[74:75], v[38:41]
	v_mfma_f32_16x16x16bf16_1k v[34:37], v[36:37], v[76:77], v[38:41]
	s_nop 7
	s_nop 1
	ds_read_b128 v[38:41], v79 offset:4096
	ds_read_b128 v[42:45], v79 offset:4112
	s_waitcnt vmcnt(11) lgkmcnt(1)
	v_mfma_f32_16x16x16bf16_1k v[34:37], v[30:31], v[38:39], v[34:37]
	v_mfma_f32_16x16x16bf16_1k v[30:33], v[32:33], v[40:41], v[34:37]
	s_waitcnt vmcnt(10) lgkmcnt(0)
	v_mfma_f32_16x16x16bf16_1k v[30:33], v[26:27], v[42:43], v[30:33]
	v_mfma_f32_16x16x16bf16_1k v[26:29], v[28:29], v[44:45], v[30:33]
	s_nop 7
	s_nop 1
	ds_read_b128 v[30:33], v79 offset:6144
	ds_read_b128 v[34:37], v79 offset:6160
	s_waitcnt lgkmcnt(0)
	s_barrier
	s_waitcnt vmcnt(9)
	v_mfma_f32_16x16x16bf16_1k v[26:29], v[22:23], v[30:31], v[26:29]
	v_mfma_f32_16x16x16bf16_1k v[22:25], v[24:25], v[32:33], v[26:29]
	s_waitcnt vmcnt(8)
	v_mfma_f32_16x16x16bf16_1k v[22:25], v[18:19], v[34:35], v[22:25]
	v_mfma_f32_16x16x16bf16_1k v[18:21], v[20:21], v[36:37], v[22:25]
	;; [unrolled: 3-line block ×4, first 2 shown]
	s_waitcnt vmcnt(5)
	v_mfma_f32_16x16x16bf16_1k v[2:5], v[14:15], v[46:47], v[2:5]
	s_nop 7
	v_bfe_u32 v6, v19, 16, 1
	v_bfe_u32 v7, v18, 16, 1
	v_add3_u32 v7, v18, v7, s8
	v_add3_u32 v6, v19, v6, s8
	v_perm_b32 v6, v6, v7, s9
	v_bfe_u32 v7, v21, 16, 1
	v_bfe_u32 v8, v20, 16, 1
	v_mfma_f32_16x16x16bf16_1k v[2:5], v[16:17], v[48:49], v[2:5]
	v_add3_u32 v8, v20, v8, s8
	v_add3_u32 v7, v21, v7, s8
	v_perm_b32 v7, v7, v8, s9
	s_waitcnt vmcnt(4)
	v_mfma_f32_16x16x16bf16_1k v[2:5], v[10:11], v[74:75], v[2:5]
	v_mfma_f32_16x16x16bf16_1k v[2:5], v[12:13], v[76:77], v[2:5]
	s_waitcnt vmcnt(3)
	v_mfma_f32_16x16x16bf16_1k v[2:5], v[54:55], v[38:39], v[2:5]
	v_mfma_f32_16x16x16bf16_1k v[2:5], v[56:57], v[40:41], v[2:5]
	;; [unrolled: 3-line block ×5, first 2 shown]
	s_nop 7
	s_nop 2
	v_bfe_u32 v8, v3, 16, 1
	v_bfe_u32 v9, v2, 16, 1
	v_add3_u32 v2, v2, v9, s8
	v_add3_u32 v3, v3, v8, s8
	v_perm_b32 v2, v3, v2, s9
	v_bfe_u32 v3, v5, 16, 1
	v_bfe_u32 v8, v4, 16, 1
	v_add3_u32 v4, v4, v8, s8
	v_add3_u32 v3, v5, v3, s8
	v_perm_b32 v3, v3, v4, s9
	ds_write2st64_b64 v78, v[6:7], v[2:3] offset1:1
	s_waitcnt lgkmcnt(0)
	s_barrier
	s_and_saveexec_b64 s[8:9], vcc
	s_cbranch_execz .LBB357_22
; %bb.20:
	v_lshlrev_b32_e32 v4, 6, v84
	v_lshlrev_b32_e32 v3, 4, v0
	v_lshl_or_b32 v0, v0, 10, v4
	v_lshlrev_b32_e32 v2, 5, v1
	v_and_b32_e32 v3, 16, v3
	v_and_b32_e32 v0, 0x1a00, v0
	v_or3_b32 v0, v0, v2, v3
	ds_read_b128 v[6:9], v0 offset:256
	buffer_load_dword v10, off, s[44:47], 0 ; 4-byte Folded Reload
	buffer_load_dword v11, off, s[44:47], 0 offset:4 ; 4-byte Folded Reload
	s_load_dwordx2 s[4:5], s[4:5], 0x68
	s_lshl_b32 s2, s2, 7
	s_mul_i32 s0, s3, s6
	s_mul_hi_u32 s7, s0, s2
	s_mul_i32 s6, s0, s2
	s_lshl_b64 s[6:7], s[6:7], 1
	s_waitcnt lgkmcnt(0)
	s_add_u32 s3, s4, s6
	s_addc_u32 s4, s5, s7
	s_lshl_b32 s0, s26, 7
	s_lshl_b64 s[0:1], s[0:1], 1
	s_add_u32 s0, s3, s0
	s_addc_u32 s1, s4, s1
	v_mov_b32_e32 v4, s1
	v_or_b32_e32 v2, 12, v1
	v_add_u32_e32 v1, s27, v1
	v_add_u32_e32 v5, 4, v1
	s_waitcnt vmcnt(1)
	v_add_co_u32_e32 v3, vcc, s0, v10
	s_waitcnt vmcnt(0)
	v_addc_co_u32_e32 v4, vcc, v4, v11, vcc
	ds_read_b128 v[10:13], v0 offset:128
	ds_read_b128 v[14:17], v0
	v_mad_u64_u32 v[18:19], s[0:1], v1, s2, 0
	v_lshlrev_b64 v[18:19], 1, v[18:19]
	v_add_co_u32_e32 v18, vcc, v3, v18
	v_addc_co_u32_e32 v19, vcc, v4, v19, vcc
	s_waitcnt lgkmcnt(0)
	global_store_dwordx4 v[18:19], v[14:17], off
	v_add_u32_e32 v1, 8, v1
	v_mad_u64_u32 v[14:15], s[0:1], v5, s2, 0
	v_lshlrev_b64 v[14:15], 1, v[14:15]
	v_add_co_u32_e32 v14, vcc, v3, v14
	v_addc_co_u32_e32 v15, vcc, v4, v15, vcc
	global_store_dwordx4 v[14:15], v[10:13], off
	s_nop 0
	v_mad_u64_u32 v[10:11], s[0:1], v1, s2, 0
	v_lshlrev_b64 v[10:11], 1, v[10:11]
	v_add_co_u32_e32 v10, vcc, v3, v10
	v_addc_co_u32_e32 v11, vcc, v4, v11, vcc
	v_cmp_gt_u32_e32 vcc, 14, v2
	global_store_dwordx4 v[10:11], v[6:9], off
	s_and_b64 exec, exec, vcc
	s_cbranch_execz .LBB357_22
; %bb.21:
	ds_read_b128 v[6:9], v0 offset:384
	v_add_u32_e32 v0, s27, v2
	v_mad_u64_u32 v[0:1], s[0:1], v0, s2, 0
	v_lshlrev_b64 v[0:1], 1, v[0:1]
	v_add_co_u32_e32 v0, vcc, v3, v0
	v_addc_co_u32_e32 v1, vcc, v4, v1, vcc
	s_waitcnt lgkmcnt(0)
	global_store_dwordx4 v[0:1], v[6:9], off
.LBB357_22:
	s_endpgm
	.section	.rodata,"a",@progbits
	.p2align	6, 0x0
	.amdhsa_kernel _Z39paged_attention_ll4mi_QKV_mfma16_kernelI14__hip_bfloat16S0_LN4vllm18Fp8KVCacheDataTypeE0ES0_Li32ELi128ELi256ELb1ELi14EL8MFMAType0EEvPKT_PKT0_S9_ifPKiSB_SB_iPKfiiiPfSE_PS4_PT2_iSD_SD_
		.amdhsa_group_segment_fixed_size 8192
		.amdhsa_private_segment_fixed_size 12
		.amdhsa_kernarg_size 400
		.amdhsa_user_sgpr_count 6
		.amdhsa_user_sgpr_private_segment_buffer 1
		.amdhsa_user_sgpr_dispatch_ptr 0
		.amdhsa_user_sgpr_queue_ptr 0
		.amdhsa_user_sgpr_kernarg_segment_ptr 1
		.amdhsa_user_sgpr_dispatch_id 0
		.amdhsa_user_sgpr_flat_scratch_init 0
		.amdhsa_user_sgpr_kernarg_preload_length 0
		.amdhsa_user_sgpr_kernarg_preload_offset 0
		.amdhsa_user_sgpr_private_segment_size 0
		.amdhsa_uses_dynamic_stack 0
		.amdhsa_system_sgpr_private_segment_wavefront_offset 1
		.amdhsa_system_sgpr_workgroup_id_x 1
		.amdhsa_system_sgpr_workgroup_id_y 1
		.amdhsa_system_sgpr_workgroup_id_z 1
		.amdhsa_system_sgpr_workgroup_info 0
		.amdhsa_system_vgpr_workitem_id 0
		.amdhsa_next_free_vgpr 96
		.amdhsa_next_free_sgpr 48
		.amdhsa_accum_offset 96
		.amdhsa_reserve_vcc 1
		.amdhsa_reserve_flat_scratch 0
		.amdhsa_float_round_mode_32 0
		.amdhsa_float_round_mode_16_64 0
		.amdhsa_float_denorm_mode_32 3
		.amdhsa_float_denorm_mode_16_64 3
		.amdhsa_dx10_clamp 1
		.amdhsa_ieee_mode 1
		.amdhsa_fp16_overflow 0
		.amdhsa_tg_split 0
		.amdhsa_exception_fp_ieee_invalid_op 0
		.amdhsa_exception_fp_denorm_src 0
		.amdhsa_exception_fp_ieee_div_zero 0
		.amdhsa_exception_fp_ieee_overflow 0
		.amdhsa_exception_fp_ieee_underflow 0
		.amdhsa_exception_fp_ieee_inexact 0
		.amdhsa_exception_int_div_zero 0
	.end_amdhsa_kernel
	.section	.text._Z39paged_attention_ll4mi_QKV_mfma16_kernelI14__hip_bfloat16S0_LN4vllm18Fp8KVCacheDataTypeE0ES0_Li32ELi128ELi256ELb1ELi14EL8MFMAType0EEvPKT_PKT0_S9_ifPKiSB_SB_iPKfiiiPfSE_PS4_PT2_iSD_SD_,"axG",@progbits,_Z39paged_attention_ll4mi_QKV_mfma16_kernelI14__hip_bfloat16S0_LN4vllm18Fp8KVCacheDataTypeE0ES0_Li32ELi128ELi256ELb1ELi14EL8MFMAType0EEvPKT_PKT0_S9_ifPKiSB_SB_iPKfiiiPfSE_PS4_PT2_iSD_SD_,comdat
.Lfunc_end357:
	.size	_Z39paged_attention_ll4mi_QKV_mfma16_kernelI14__hip_bfloat16S0_LN4vllm18Fp8KVCacheDataTypeE0ES0_Li32ELi128ELi256ELb1ELi14EL8MFMAType0EEvPKT_PKT0_S9_ifPKiSB_SB_iPKfiiiPfSE_PS4_PT2_iSD_SD_, .Lfunc_end357-_Z39paged_attention_ll4mi_QKV_mfma16_kernelI14__hip_bfloat16S0_LN4vllm18Fp8KVCacheDataTypeE0ES0_Li32ELi128ELi256ELb1ELi14EL8MFMAType0EEvPKT_PKT0_S9_ifPKiSB_SB_iPKfiiiPfSE_PS4_PT2_iSD_SD_
                                        ; -- End function
	.section	.AMDGPU.csdata,"",@progbits
; Kernel info:
; codeLenInByte = 5464
; NumSgprs: 52
; NumVgprs: 96
; NumAgprs: 0
; TotalNumVgprs: 96
; ScratchSize: 12
; MemoryBound: 0
; FloatMode: 240
; IeeeMode: 1
; LDSByteSize: 8192 bytes/workgroup (compile time only)
; SGPRBlocks: 6
; VGPRBlocks: 11
; NumSGPRsForWavesPerEU: 52
; NumVGPRsForWavesPerEU: 96
; AccumOffset: 96
; Occupancy: 5
; WaveLimiterHint : 1
; COMPUTE_PGM_RSRC2:SCRATCH_EN: 1
; COMPUTE_PGM_RSRC2:USER_SGPR: 6
; COMPUTE_PGM_RSRC2:TRAP_HANDLER: 0
; COMPUTE_PGM_RSRC2:TGID_X_EN: 1
; COMPUTE_PGM_RSRC2:TGID_Y_EN: 1
; COMPUTE_PGM_RSRC2:TGID_Z_EN: 1
; COMPUTE_PGM_RSRC2:TIDIG_COMP_CNT: 0
; COMPUTE_PGM_RSRC3_GFX90A:ACCUM_OFFSET: 23
; COMPUTE_PGM_RSRC3_GFX90A:TG_SPLIT: 0
	.section	.text._Z39paged_attention_ll4mi_QKV_mfma16_kernelI14__hip_bfloat16S0_LN4vllm18Fp8KVCacheDataTypeE0ES0_Li32ELi128ELi256ELb1ELi15EL8MFMAType0EEvPKT_PKT0_S9_ifPKiSB_SB_iPKfiiiPfSE_PS4_PT2_iSD_SD_,"axG",@progbits,_Z39paged_attention_ll4mi_QKV_mfma16_kernelI14__hip_bfloat16S0_LN4vllm18Fp8KVCacheDataTypeE0ES0_Li32ELi128ELi256ELb1ELi15EL8MFMAType0EEvPKT_PKT0_S9_ifPKiSB_SB_iPKfiiiPfSE_PS4_PT2_iSD_SD_,comdat
	.protected	_Z39paged_attention_ll4mi_QKV_mfma16_kernelI14__hip_bfloat16S0_LN4vllm18Fp8KVCacheDataTypeE0ES0_Li32ELi128ELi256ELb1ELi15EL8MFMAType0EEvPKT_PKT0_S9_ifPKiSB_SB_iPKfiiiPfSE_PS4_PT2_iSD_SD_ ; -- Begin function _Z39paged_attention_ll4mi_QKV_mfma16_kernelI14__hip_bfloat16S0_LN4vllm18Fp8KVCacheDataTypeE0ES0_Li32ELi128ELi256ELb1ELi15EL8MFMAType0EEvPKT_PKT0_S9_ifPKiSB_SB_iPKfiiiPfSE_PS4_PT2_iSD_SD_
	.globl	_Z39paged_attention_ll4mi_QKV_mfma16_kernelI14__hip_bfloat16S0_LN4vllm18Fp8KVCacheDataTypeE0ES0_Li32ELi128ELi256ELb1ELi15EL8MFMAType0EEvPKT_PKT0_S9_ifPKiSB_SB_iPKfiiiPfSE_PS4_PT2_iSD_SD_
	.p2align	8
	.type	_Z39paged_attention_ll4mi_QKV_mfma16_kernelI14__hip_bfloat16S0_LN4vllm18Fp8KVCacheDataTypeE0ES0_Li32ELi128ELi256ELb1ELi15EL8MFMAType0EEvPKT_PKT0_S9_ifPKiSB_SB_iPKfiiiPfSE_PS4_PT2_iSD_SD_,@function
_Z39paged_attention_ll4mi_QKV_mfma16_kernelI14__hip_bfloat16S0_LN4vllm18Fp8KVCacheDataTypeE0ES0_Li32ELi128ELi256ELb1ELi15EL8MFMAType0EEvPKT_PKT0_S9_ifPKiSB_SB_iPKfiiiPfSE_PS4_PT2_iSD_SD_: ; @_Z39paged_attention_ll4mi_QKV_mfma16_kernelI14__hip_bfloat16S0_LN4vllm18Fp8KVCacheDataTypeE0ES0_Li32ELi128ELi256ELb1ELi15EL8MFMAType0EEvPKT_PKT0_S9_ifPKiSB_SB_iPKfiiiPfSE_PS4_PT2_iSD_SD_
; %bb.0:
	s_mov_b64 s[46:47], s[2:3]
	s_mov_b64 s[44:45], s[0:1]
	s_load_dwordx2 s[0:1], s[4:5], 0x30
	s_add_u32 s44, s44, s9
	s_addc_u32 s45, s45, 0
	s_mov_b32 s26, s7
	s_mov_b64 s[10:11], 0
	s_waitcnt lgkmcnt(0)
	s_cmp_lg_u64 s[0:1], 0
	s_cselect_b64 s[2:3], -1, 0
	s_and_b64 vcc, exec, s[2:3]
	s_cbranch_vccz .LBB358_7
; %bb.1:
	s_add_i32 s12, s6, 1
	s_mov_b32 s13, 0
	s_lshl_b64 s[14:15], s[12:13], 2
	s_add_u32 s14, s0, s14
	s_mov_b32 s7, s13
	s_addc_u32 s15, s1, s15
	s_lshl_b64 s[12:13], s[6:7], 2
	s_add_u32 s12, s0, s12
	s_addc_u32 s13, s1, s13
	s_load_dword s9, s[14:15], 0x0
	s_load_dword s16, s[12:13], 0x0
	s_waitcnt lgkmcnt(0)
	s_sub_i32 s9, s9, s16
	s_cmp_eq_u32 s9, 1
	s_cselect_b64 s[12:13], -1, 0
	s_andn2_b64 vcc, exec, s[10:11]
	s_cbranch_vccnz .LBB358_3
.LBB358_2:
	s_mov_b32 s7, 0
	s_mov_b64 s[12:13], -1
.LBB358_3:
	s_andn2_b64 vcc, exec, s[12:13]
	s_cbranch_vccnz .LBB358_22
; %bb.4:
	s_load_dwordx2 s[12:13], s[4:5], 0x28
	s_lshl_b64 s[10:11], s[6:7], 2
	s_waitcnt lgkmcnt(0)
	s_add_u32 s12, s12, s10
	s_addc_u32 s13, s13, s11
	s_load_dword s33, s[12:13], 0x0
	s_lshl_b32 s16, s26, 8
	s_waitcnt lgkmcnt(0)
	s_cmp_ge_i32 s16, s33
	s_cbranch_scc1 .LBB358_22
; %bb.5:
	s_add_i32 s14, s33, 31
	s_load_dwordx2 s[12:13], s[4:5], 0x20
	s_load_dword s9, s[4:5], 0x38
	s_ashr_i32 s15, s14, 31
	v_and_b32_e32 v1, 0xcf, v0
	s_lshr_b32 s15, s15, 27
	v_add_u32_e32 v1, s16, v1
	s_add_i32 s14, s14, s15
	v_ashrrev_i32_e32 v2, 31, v1
	s_ashr_i32 s19, s14, 5
	v_lshrrev_b32_e32 v6, 27, v2
	s_add_i32 s19, s19, -1
	v_add_u32_e32 v2, v1, v6
	s_waitcnt lgkmcnt(0)
	s_mul_i32 s14, s6, s9
	s_mov_b32 s15, 0
	v_ashrrev_i32_e32 v2, 5, v2
	v_mov_b32_e32 v7, s19
	v_cmp_gt_i32_e32 vcc, s33, v1
	s_lshl_b64 s[14:15], s[14:15], 2
	v_cndmask_b32_e32 v2, v7, v2, vcc
	s_add_u32 s17, s12, s14
	v_ashrrev_i32_e32 v3, 31, v2
	s_addc_u32 s18, s13, s15
	v_lshlrev_b64 v[2:3], 2, v[2:3]
	v_mov_b32_e32 v4, s18
	v_add_co_u32_e32 v2, vcc, s17, v2
	v_addc_co_u32_e32 v3, vcc, v4, v3, vcc
	v_or_b32_e32 v4, 16, v1
	v_add_u32_e32 v5, v4, v6
	v_ashrrev_i32_e32 v5, 5, v5
	v_cmp_gt_i32_e32 vcc, s33, v4
	v_cndmask_b32_e32 v4, v7, v5, vcc
	v_ashrrev_i32_e32 v5, 31, v4
	v_lshlrev_b64 v[4:5], 2, v[4:5]
	v_mov_b32_e32 v9, s18
	v_add_co_u32_e32 v8, vcc, s17, v4
	v_or_b32_e32 v4, 32, v1
	v_addc_co_u32_e32 v9, vcc, v9, v5, vcc
	v_add_u32_e32 v5, v4, v6
	v_ashrrev_i32_e32 v5, 5, v5
	v_cmp_gt_i32_e32 vcc, s33, v4
	v_cndmask_b32_e32 v4, v7, v5, vcc
	v_ashrrev_i32_e32 v5, 31, v4
	v_lshlrev_b64 v[4:5], 2, v[4:5]
	v_mov_b32_e32 v11, s18
	v_add_co_u32_e32 v10, vcc, s17, v4
	v_or_b32_e32 v1, 48, v1
	v_addc_co_u32_e32 v11, vcc, v11, v5, vcc
	v_add_u32_e32 v4, v1, v6
	v_ashrrev_i32_e32 v4, 5, v4
	v_cmp_gt_i32_e32 vcc, s33, v1
	v_cndmask_b32_e32 v4, v7, v4, vcc
	v_ashrrev_i32_e32 v5, 31, v4
	v_lshlrev_b64 v[4:5], 2, v[4:5]
	v_mov_b32_e32 v1, s18
	v_add_co_u32_e32 v12, vcc, s17, v4
	v_addc_co_u32_e32 v13, vcc, v1, v5, vcc
	global_load_dword v7, v[2:3], off
	global_load_dword v6, v[8:9], off
	;; [unrolled: 1-line block ×4, first 2 shown]
	s_andn2_b64 vcc, exec, s[2:3]
	s_cbranch_vccnz .LBB358_8
; %bb.6:
	s_add_u32 s0, s0, s10
	s_addc_u32 s1, s1, s11
	s_load_dword s9, s[0:1], 0x0
	s_branch .LBB358_9
.LBB358_7:
	s_mov_b64 s[12:13], 0
	s_branch .LBB358_2
.LBB358_8:
	s_mov_b32 s9, s6
.LBB358_9:
	s_load_dwordx2 s[12:13], s[4:5], 0x8
	s_load_dwordx4 s[0:3], s[4:5], 0x48
	v_lshrrev_b32_e32 v85, 6, v0
	v_bfe_u32 v1, v0, 4, 2
	v_lshl_or_b32 v8, v85, 2, v1
	v_and_b32_e32 v84, 15, v0
	v_lshlrev_b32_e32 v2, 3, v84
	v_cmp_lt_u32_e32 vcc, 14, v8
	s_and_saveexec_b64 s[10:11], vcc
	s_xor_b64 s[10:11], exec, s[10:11]
; %bb.10:
	v_mov_b32_e32 v3, 0
                                        ; implicit-def: $vgpr8
; %bb.11:
	s_or_saveexec_b64 s[14:15], s[10:11]
	s_load_dwordx2 s[10:11], s[4:5], 0x10
	s_mul_i32 s27, s8, 15
	s_xor_b64 exec, exec, s[14:15]
	s_cbranch_execz .LBB358_13
; %bb.12:
	s_load_dwordx2 s[20:21], s[4:5], 0x0
	s_waitcnt lgkmcnt(0)
	s_ashr_i32 s3, s0, 31
	s_mul_hi_u32 s22, s9, s0
	s_mul_i32 s3, s9, s3
	s_add_i32 s23, s22, s3
	s_mul_i32 s22, s9, s0
	s_lshl_b64 s[22:23], s[22:23], 1
	v_add_lshl_u32 v10, v8, s27, 7
	s_add_u32 s0, s20, s22
	v_ashrrev_i32_e32 v11, 31, v10
	s_addc_u32 s3, s21, s23
	v_lshlrev_b64 v[10:11], 1, v[10:11]
	v_mov_b32_e32 v3, s3
	v_add_co_u32_e32 v9, vcc, s0, v10
	v_addc_co_u32_e32 v3, vcc, v3, v11, vcc
	v_lshlrev_b32_e32 v10, 1, v2
	v_add_co_u32_e32 v10, vcc, v9, v10
	v_addc_co_u32_e32 v11, vcc, 0, v3, vcc
	global_load_dwordx4 v[10:13], v[10:11], off
	v_and_b32_e32 v9, 3, v0
	v_lshlrev_b32_e32 v14, 9, v84
	v_lshlrev_b32_e32 v8, 5, v8
	;; [unrolled: 1-line block ×3, first 2 shown]
	v_and_b32_e32 v14, 0x1800, v14
	v_mov_b32_e32 v3, 0
	v_or3_b32 v8, v14, v9, v8
	s_waitcnt vmcnt(0)
	ds_write_b128 v8, v[10:13]
.LBB358_13:
	s_or_b64 exec, exec, s[14:15]
	s_waitcnt lgkmcnt(0)
	s_mov_b32 s3, 0
	s_mul_i32 s2, s8, s2
	s_lshl_b64 s[2:3], s[2:3], 1
	s_add_u32 s0, s12, s2
	s_waitcnt vmcnt(3)
	v_mad_i64_i32 v[8:9], s[8:9], v7, s1, 0
	s_addc_u32 s12, s13, s3
	v_lshlrev_b64 v[8:9], 1, v[8:9]
	v_mov_b32_e32 v7, s12
	v_add_co_u32_e32 v8, vcc, s0, v8
	v_addc_co_u32_e32 v7, vcc, v7, v9, vcc
	v_lshlrev_b64 v[14:15], 1, v[2:3]
	v_add_co_u32_e32 v8, vcc, v8, v14
	v_lshlrev_b32_e32 v12, 9, v1
	v_addc_co_u32_e32 v7, vcc, v7, v15, vcc
	v_add_co_u32_e32 v2, vcc, v8, v12
	v_addc_co_u32_e32 v3, vcc, 0, v7, vcc
	v_or_b32_e32 v10, 0x1000, v12
	s_barrier
	global_load_dwordx4 v[38:41], v[2:3], off
	global_load_dwordx4 v[34:37], v[2:3], off offset:2048
	v_add_co_u32_e32 v2, vcc, v8, v10
	v_addc_co_u32_e32 v3, vcc, 0, v7, vcc
	v_or_b32_e32 v11, 0x1800, v12
	v_add_co_u32_e32 v8, vcc, v8, v11
	v_addc_co_u32_e32 v9, vcc, 0, v7, vcc
	global_load_dwordx4 v[46:49], v[2:3], off
	global_load_dwordx4 v[58:61], v[8:9], off
	s_waitcnt vmcnt(6)
	v_mad_i64_i32 v[2:3], s[8:9], v6, s1, 0
	v_lshlrev_b64 v[2:3], 1, v[2:3]
	v_mov_b32_e32 v6, s12
	v_add_co_u32_e32 v2, vcc, s0, v2
	v_addc_co_u32_e32 v3, vcc, v6, v3, vcc
	v_mov_b32_e32 v6, 0x100
	v_lshl_or_b32 v8, v84, 4, v6
	v_add_co_u32_e32 v6, vcc, v2, v8
	v_addc_co_u32_e32 v7, vcc, 0, v3, vcc
	v_add_co_u32_e32 v2, vcc, v6, v12
	v_addc_co_u32_e32 v3, vcc, 0, v7, vcc
	global_load_dwordx4 v[74:77], v[2:3], off
	global_load_dwordx4 v[70:73], v[2:3], off offset:2048
	v_add_co_u32_e32 v2, vcc, v6, v10
	v_addc_co_u32_e32 v3, vcc, 0, v7, vcc
	v_add_co_u32_e32 v6, vcc, v6, v11
	v_addc_co_u32_e32 v7, vcc, 0, v7, vcc
	global_load_dwordx4 v[78:81], v[2:3], off
	global_load_dwordx4 v[66:69], v[6:7], off
	s_waitcnt vmcnt(9)
	v_mad_i64_i32 v[2:3], s[8:9], v5, s1, 0
	v_lshlrev_b64 v[2:3], 1, v[2:3]
	v_mov_b32_e32 v5, s12
	v_add_co_u32_e32 v2, vcc, s0, v2
	v_addc_co_u32_e32 v3, vcc, v5, v3, vcc
	v_add_co_u32_e32 v5, vcc, v2, v14
	buffer_store_dword v14, off, s[44:47], 0 ; 4-byte Folded Spill
	s_nop 0
	buffer_store_dword v15, off, s[44:47], 0 offset:4 ; 4-byte Folded Spill
	v_and_b32_e32 v94, 63, v0
	v_mov_b32_e32 v87, 0
	v_addc_co_u32_e32 v7, vcc, v3, v15, vcc
	v_add_co_u32_e32 v2, vcc, v5, v12
	v_addc_co_u32_e32 v3, vcc, 0, v7, vcc
	global_load_dwordx4 v[62:65], v[2:3], off
	global_load_dwordx4 v[42:45], v[2:3], off offset:2048
	v_add_co_u32_e32 v2, vcc, v5, v10
	v_addc_co_u32_e32 v3, vcc, 0, v7, vcc
	v_add_co_u32_e32 v6, vcc, v5, v11
	v_addc_co_u32_e32 v7, vcc, 0, v7, vcc
	global_load_dwordx4 v[26:29], v[2:3], off
	global_load_dwordx4 v[18:21], v[6:7], off
	s_waitcnt vmcnt(14)
	v_mad_i64_i32 v[2:3], s[8:9], v4, s1, 0
	v_lshlrev_b64 v[2:3], 1, v[2:3]
	v_mov_b32_e32 v4, s12
	v_add_co_u32_e32 v2, vcc, s0, v2
	v_addc_co_u32_e32 v3, vcc, v4, v3, vcc
	v_add_co_u32_e32 v4, vcc, v2, v8
	v_addc_co_u32_e32 v5, vcc, 0, v3, vcc
	;; [unrolled: 2-line block ×3, first 2 shown]
	global_load_dwordx4 v[14:17], v[2:3], off
	global_load_dwordx4 v[6:9], v[2:3], off offset:2048
	v_add_co_u32_e32 v2, vcc, v4, v10
	v_addc_co_u32_e32 v3, vcc, 0, v5, vcc
	v_add_co_u32_e32 v10, vcc, v4, v11
	v_addc_co_u32_e32 v11, vcc, 0, v5, vcc
	global_load_dwordx4 v[2:5], v[2:3], off
	s_nop 0
	global_load_dwordx4 v[50:53], v[10:11], off
	v_cmp_ne_u32_e32 vcc, 15, v84
	v_cndmask_b32_e32 v10, 0, v84, vcc
	v_lshl_or_b32 v54, v10, 5, v12
	ds_read_b128 v[30:33], v54
	ds_read_b128 v[22:25], v54 offset:2048
	ds_read_b128 v[10:13], v54 offset:4096
	;; [unrolled: 1-line block ×3, first 2 shown]
	s_and_saveexec_b64 s[8:9], vcc
	s_cbranch_execz .LBB358_15
; %bb.14:
	s_load_dwordx2 s[12:13], s[4:5], 0x40
	v_add_u32_e32 v82, s27, v84
	v_ashrrev_i32_e32 v83, 31, v82
	v_lshlrev_b64 v[82:83], 2, v[82:83]
	s_waitcnt lgkmcnt(0)
	v_mov_b32_e32 v87, s13
	v_add_co_u32_e32 v82, vcc, s12, v82
	v_addc_co_u32_e32 v83, vcc, v87, v83, vcc
	global_load_dword v87, v[82:83], off
.LBB358_15:
	s_or_b64 exec, exec, s[8:9]
	s_waitcnt vmcnt(17) lgkmcnt(3)
	v_mfma_f32_16x16x16bf16_1k v[88:91], v[38:39], v[30:31], 0
	s_ashr_i32 s0, s16, 31
	s_lshr_b32 s0, s0, 27
	s_add_u32 s2, s10, s2
	s_addc_u32 s3, s11, s3
	s_mov_b32 s40, 0xff7fffff
	v_mfma_f32_16x16x16bf16_1k v[38:41], v[40:41], v[32:33], v[88:91]
	s_waitcnt vmcnt(16) lgkmcnt(2)
	v_mfma_f32_16x16x16bf16_1k v[38:41], v[34:35], v[22:23], v[38:41]
	s_nop 4
	v_lshl_or_b32 v88, v85, 4, v84
	v_mfma_f32_16x16x16bf16_1k v[34:37], v[36:37], v[24:25], v[38:41]
	s_waitcnt vmcnt(15) lgkmcnt(1)
	v_mfma_f32_16x16x16bf16_1k v[34:37], v[46:47], v[10:11], v[34:37]
	v_and_or_b32 v46, v0, 48, s16
	s_nop 3
	v_add_u32_e32 v38, s0, v46
	v_ashrrev_i32_e32 v38, 5, v38
	v_mov_b32_e32 v47, s19
	v_cmp_gt_i32_e32 vcc, s33, v46
	v_cndmask_b32_e32 v38, v47, v38, vcc
	v_ashrrev_i32_e32 v39, 31, v38
	v_mfma_f32_16x16x16bf16_1k v[34:37], v[48:49], v[12:13], v[34:37]
	v_or_b32_e32 v40, 64, v46
	v_add_u32_e32 v41, s0, v40
	v_ashrrev_i32_e32 v41, 5, v41
	v_mov_b32_e32 v48, s18
	s_waitcnt vmcnt(14) lgkmcnt(0)
	v_mfma_f32_16x16x16bf16_1k v[34:37], v[58:59], v[54:55], v[34:37]
	v_mfma_f32_16x16x16bf16_1k v[58:61], v[60:61], v[56:57], v[34:37]
	s_waitcnt vmcnt(13)
	v_mfma_f32_16x16x16bf16_1k v[34:37], v[74:75], v[30:31], 0
	v_mfma_f32_16x16x16bf16_1k v[34:37], v[76:77], v[32:33], v[34:37]
	v_lshlrev_b32_e32 v76, 6, v88
	s_waitcnt vmcnt(12)
	v_mfma_f32_16x16x16bf16_1k v[34:37], v[70:71], v[22:23], v[34:37]
	v_mfma_f32_16x16x16bf16_1k v[34:37], v[72:73], v[24:25], v[34:37]
	s_waitcnt vmcnt(11)
	v_mfma_f32_16x16x16bf16_1k v[34:37], v[78:79], v[10:11], v[34:37]
	v_mfma_f32_16x16x16bf16_1k v[34:37], v[80:81], v[12:13], v[34:37]
	;; [unrolled: 3-line block ×3, first 2 shown]
	s_nop 7
	s_nop 1
	v_lshlrev_b64 v[34:35], 2, v[38:39]
	v_mov_b32_e32 v36, s18
	v_add_co_u32_e32 v38, vcc, s17, v34
	v_addc_co_u32_e32 v39, vcc, v36, v35, vcc
	v_cmp_gt_i32_e32 vcc, s33, v40
	v_cndmask_b32_e32 v40, v47, v41, vcc
	v_ashrrev_i32_e32 v41, 31, v40
	v_lshlrev_b64 v[40:41], 2, v[40:41]
	v_add_co_u32_e32 v40, vcc, s17, v40
	v_addc_co_u32_e32 v41, vcc, v48, v41, vcc
	global_load_dword v48, v[38:39], off
	s_nop 0
	global_load_dword v40, v[40:41], off
	v_or_b32_e32 v38, 0x80, v46
	v_add_u32_e32 v39, s0, v38
	v_ashrrev_i32_e32 v39, 5, v39
	v_cmp_gt_i32_e32 vcc, s33, v38
	v_cndmask_b32_e32 v38, v47, v39, vcc
	v_ashrrev_i32_e32 v39, 31, v38
	v_lshlrev_b64 v[38:39], 2, v[38:39]
	v_mov_b32_e32 v41, s18
	v_add_co_u32_e32 v38, vcc, s17, v38
	v_addc_co_u32_e32 v39, vcc, v41, v39, vcc
	s_waitcnt vmcnt(9)
	v_mfma_f32_16x16x16bf16_1k v[34:37], v[62:63], v[30:31], 0
	global_load_dword v62, v[38:39], off
	v_or_b32_e32 v38, 0xc0, v46
	v_add_u32_e32 v39, s0, v38
	v_ashrrev_i32_e32 v39, 5, v39
	v_cmp_gt_i32_e32 vcc, s33, v38
	v_cndmask_b32_e32 v38, v47, v39, vcc
	v_ashrrev_i32_e32 v39, 31, v38
	v_mfma_f32_16x16x16bf16_1k v[34:37], v[64:65], v[32:33], v[34:37]
	s_load_dword s0, s[4:5], 0x1c
	s_waitcnt lgkmcnt(0)
	v_pk_mul_f32 v[58:59], s[0:1], v[58:59] op_sel_hi:[0,1]
	s_waitcnt vmcnt(9)
	v_mfma_f32_16x16x16bf16_1k v[34:37], v[42:43], v[22:23], v[34:37]
	v_mfma_f32_16x16x16bf16_1k v[34:37], v[44:45], v[24:25], v[34:37]
	s_waitcnt vmcnt(8)
	v_mfma_f32_16x16x16bf16_1k v[34:37], v[26:27], v[10:11], v[34:37]
	v_lshlrev_b64 v[26:27], 2, v[38:39]
	v_mov_b32_e32 v39, s18
	v_add_co_u32_e32 v38, vcc, s17, v26
	v_addc_co_u32_e32 v39, vcc, v39, v27, vcc
	global_load_dword v63, v[38:39], off
	v_mfma_f32_16x16x16bf16_1k v[26:29], v[28:29], v[12:13], v[34:37]
	s_waitcnt vmcnt(8)
	v_mfma_f32_16x16x16bf16_1k v[26:29], v[18:19], v[54:55], v[26:29]
	s_nop 4
	v_and_b32_e32 v34, 16, v0
	v_lshlrev_b32_e32 v34, 1, v34
	v_mov_b32_e32 v18, s3
	v_add_co_u32_e32 v74, vcc, s2, v34
	v_addc_co_u32_e32 v75, vcc, 0, v18, vcc
	v_mfma_f32_16x16x16bf16_1k v[90:93], v[20:21], v[56:57], v[26:29]
	v_add_co_u32_e32 v77, vcc, v74, v76
	v_addc_co_u32_e32 v78, vcc, 0, v75, vcc
	s_waitcnt vmcnt(3)
	v_mad_i64_i32 v[18:19], s[2:3], v48, s1, 0
	v_lshlrev_b64 v[70:71], 1, v[18:19]
	v_mfma_f32_16x16x16bf16_1k v[18:21], v[14:15], v[30:31], 0
	v_add_co_u32_e32 v14, vcc, v77, v70
	v_addc_co_u32_e32 v15, vcc, v78, v71, vcc
	global_load_dwordx4 v[46:49], v[14:15], off
	global_load_dwordx4 v[42:45], v[14:15], off offset:16
	s_waitcnt vmcnt(4)
	v_mad_i64_i32 v[14:15], s[2:3], v40, s1, 0
	v_lshlrev_b64 v[72:73], 1, v[14:15]
	v_mfma_f32_16x16x16bf16_1k v[14:17], v[16:17], v[32:33], v[18:21]
	v_mfma_f32_16x16x16bf16_1k v[14:17], v[6:7], v[22:23], v[14:17]
	s_nop 5
	v_add_co_u32_e32 v18, vcc, v77, v72
	v_addc_co_u32_e32 v19, vcc, v78, v73, vcc
	global_load_dwordx4 v[38:41], v[18:19], off
	global_load_dwordx4 v[34:37], v[18:19], off offset:16
	s_waitcnt vmcnt(5)
	v_mad_i64_i32 v[18:19], s[2:3], v62, s1, 0
	v_lshlrev_b64 v[64:65], 1, v[18:19]
	v_add_co_u32_e32 v6, vcc, v77, v64
	v_addc_co_u32_e32 v7, vcc, v78, v65, vcc
	global_load_dwordx4 v[30:33], v[6:7], off
	global_load_dwordx4 v[26:29], v[6:7], off offset:16
	v_mfma_f32_16x16x16bf16_1k v[6:9], v[8:9], v[24:25], v[14:17]
	v_mfma_f32_16x16x16bf16_1k v[6:9], v[2:3], v[10:11], v[6:9]
	v_or_b32_e32 v2, 0x1000, v76
	s_waitcnt vmcnt(6)
	s_nop 3
	v_mad_i64_i32 v[14:15], s[2:3], v63, s1, 0
	v_mfma_f32_16x16x16bf16_1k v[10:13], v[4:5], v[12:13], v[6:9]
	v_lshlrev_b64 v[62:63], 1, v[14:15]
	v_add_co_u32_e32 v14, vcc, v77, v62
	v_addc_co_u32_e32 v15, vcc, v78, v63, vcc
	v_add_co_u32_e32 v89, vcc, v74, v2
	v_mfma_f32_16x16x16bf16_1k v[80:83], v[50:51], v[54:55], v[10:13]
	v_addc_co_u32_e32 v86, vcc, 0, v75, vcc
	v_pk_mul_f32 v[74:75], s[0:1], v[68:69] op_sel_hi:[0,1]
	v_pk_mul_f32 v[76:77], s[0:1], v[66:67] op_sel_hi:[0,1]
	;; [unrolled: 1-line block ×3, first 2 shown]
	v_add_co_u32_e32 v2, vcc, v89, v70
	v_mfma_f32_16x16x16bf16_1k v[50:53], v[52:53], v[56:57], v[80:83]
	v_addc_co_u32_e32 v3, vcc, v86, v71, vcc
	v_add_co_u32_e32 v70, vcc, v89, v72
	v_addc_co_u32_e32 v71, vcc, v86, v73, vcc
	global_load_dwordx4 v[22:25], v[14:15], off
	global_load_dwordx4 v[18:21], v[14:15], off offset:16
	s_nop 5
	v_pk_mul_f32 v[68:69], s[0:1], v[50:51] op_sel_hi:[0,1]
	v_and_b32_e32 v50, 0xc0, v0
	v_add_u32_e32 v50, s16, v50
	v_lshl_or_b32 v50, v1, 2, v50
	v_or_b32_e32 v51, 1, v50
	v_pk_mul_f32 v[66:67], s[0:1], v[52:53] op_sel_hi:[0,1]
	v_subrev_u32_e32 v52, s33, v51
	v_add_u32_e32 v54, 1, v52
	v_add_u32_e32 v55, 2, v52
	v_cvt_f32_i32_e32 v53, v52
	v_cvt_f32_i32_e32 v54, v54
	;; [unrolled: 1-line block ×3, first 2 shown]
	v_add_u32_e32 v56, 3, v52
	v_fma_f32 v58, v87, v53, v58
	v_fmac_f32_e32 v59, v87, v54
	v_fma_f32 v78, v87, v55, v78
	v_add_u32_e32 v53, 16, v52
	v_add_u32_e32 v54, 17, v52
	;; [unrolled: 1-line block ×3, first 2 shown]
	v_cvt_f32_i32_e32 v56, v56
	v_cvt_f32_i32_e32 v53, v53
	;; [unrolled: 1-line block ×4, first 2 shown]
	v_fmac_f32_e32 v79, v87, v56
	v_add_u32_e32 v56, 19, v52
	v_fma_f32 v76, v87, v53, v76
	v_fmac_f32_e32 v77, v87, v54
	v_fma_f32 v74, v87, v55, v74
	v_add_u32_e32 v53, 32, v52
	v_add_u32_e32 v54, 33, v52
	;; [unrolled: 1-line block ×3, first 2 shown]
	v_cvt_f32_i32_e32 v56, v56
	v_cvt_f32_i32_e32 v53, v53
	;; [unrolled: 1-line block ×4, first 2 shown]
	global_load_dwordx4 v[6:9], v[2:3], off
	s_nop 0
	global_load_dwordx4 v[2:5], v[2:3], off offset:16
	s_nop 0
	global_load_dwordx4 v[14:17], v[70:71], off
	global_load_dwordx4 v[10:13], v[70:71], off offset:16
	v_pk_mul_f32 v[70:71], s[0:1], v[92:93] op_sel_hi:[0,1]
	v_pk_mul_f32 v[72:73], s[0:1], v[90:91] op_sel_hi:[0,1]
	v_fmac_f32_e32 v75, v87, v56
	v_add_u32_e32 v56, 35, v52
	v_fma_f32 v72, v87, v53, v72
	v_fmac_f32_e32 v73, v87, v54
	v_fma_f32 v70, v87, v55, v70
	v_add_u32_e32 v53, 48, v52
	v_add_u32_e32 v54, 49, v52
	;; [unrolled: 1-line block ×4, first 2 shown]
	v_cvt_f32_i32_e32 v52, v52
	v_cvt_f32_i32_e32 v53, v53
	;; [unrolled: 1-line block ×3, first 2 shown]
	v_cmp_gt_i32_e64 s[28:29], s33, v50
	v_fmac_f32_e32 v67, v87, v52
	v_mov_b32_e32 v52, 0xff7fffff
	v_cmp_gt_i32_e64 s[30:31], s33, v51
	v_fma_f32 v68, v87, v53, v68
	v_cndmask_b32_e64 v53, v52, v58, s[28:29]
	v_cndmask_b32_e64 v51, v52, v59, s[30:31]
	v_fmac_f32_e32 v69, v87, v54
	v_max3_f32 v51, v53, s40, v51
	v_or_b32_e32 v53, 2, v50
	v_or_b32_e32 v54, 3, v50
	v_cmp_gt_i32_e64 s[34:35], s33, v53
	v_cmp_gt_i32_e64 s[36:37], s33, v54
	v_cndmask_b32_e64 v53, v52, v78, s[34:35]
	v_cndmask_b32_e64 v54, v52, v79, s[36:37]
	v_max3_f32 v51, v51, v53, v54
	v_or_b32_e32 v53, 16, v50
	v_or_b32_e32 v54, 17, v50
	v_cmp_gt_i32_e64 s[22:23], s33, v53
	v_cmp_gt_i32_e64 s[24:25], s33, v54
	v_cndmask_b32_e64 v53, v52, v76, s[22:23]
	v_cndmask_b32_e64 v54, v52, v77, s[24:25]
	;; [unrolled: 7-line block ×3, first 2 shown]
	v_cvt_f32_i32_e32 v56, v56
	v_max3_f32 v51, v51, v53, v54
	v_or_b32_e32 v53, 32, v50
	v_or_b32_e32 v54, 33, v50
	v_cmp_gt_i32_e64 s[14:15], s33, v53
	v_cmp_gt_i32_e64 s[16:17], s33, v54
	v_cndmask_b32_e64 v53, v52, v72, s[14:15]
	v_cndmask_b32_e64 v54, v52, v73, s[16:17]
	v_max3_f32 v51, v51, v53, v54
	v_or_b32_e32 v53, 34, v50
	v_or_b32_e32 v54, 35, v50
	v_fmac_f32_e32 v71, v87, v56
	v_cmp_gt_i32_e64 s[10:11], s33, v53
	v_cmp_gt_i32_e64 s[12:13], s33, v54
	v_cndmask_b32_e64 v53, v52, v70, s[10:11]
	v_cndmask_b32_e64 v54, v52, v71, s[12:13]
	v_cvt_f32_i32_e32 v55, v55
	v_max3_f32 v51, v51, v53, v54
	v_or_b32_e32 v53, 48, v50
	v_or_b32_e32 v54, 49, v50
	v_cmp_gt_i32_e64 s[2:3], s33, v53
	v_cmp_gt_i32_e64 s[8:9], s33, v54
	v_cndmask_b32_e64 v53, v52, v68, s[2:3]
	v_cndmask_b32_e64 v54, v52, v69, s[8:9]
	v_max3_f32 v51, v51, v53, v54
	v_or_b32_e32 v53, 50, v50
	v_or_b32_e32 v50, 51, v50
	v_fma_f32 v66, v87, v55, v66
	v_cmp_gt_i32_e32 vcc, s33, v53
	v_cmp_gt_i32_e64 s[0:1], s33, v50
	v_cndmask_b32_e32 v53, v52, v66, vcc
	v_cndmask_b32_e64 v50, v52, v67, s[0:1]
	v_max3_f32 v60, v51, v53, v50
	v_mbcnt_lo_u32_b32 v50, -1, 0
	v_mbcnt_hi_u32_b32 v61, -1, v50
	v_and_b32_e32 v50, 64, v61
	v_add_u32_e32 v80, 64, v50
	v_xor_b32_e32 v50, 32, v61
	v_cmp_lt_i32_e64 s[38:39], v50, v80
	v_cndmask_b32_e64 v50, v61, v50, s[38:39]
	v_lshlrev_b32_e32 v82, 2, v50
	ds_bpermute_b32 v81, v82, v60
	v_add_co_u32_e64 v50, s[38:39], v89, v64
	v_addc_co_u32_e64 v51, s[38:39], v86, v65, s[38:39]
	s_waitcnt lgkmcnt(0)
	v_max_f32_e32 v64, v81, v81
	v_max_f32_e32 v64, v60, v64
	v_xor_b32_e32 v60, 16, v61
	v_cmp_lt_i32_e64 s[38:39], v60, v80
	v_cndmask_b32_e64 v60, v61, v60, s[38:39]
	v_lshlrev_b32_e32 v83, 2, v60
	ds_bpermute_b32 v65, v83, v64
	v_add_co_u32_e64 v60, s[38:39], v89, v62
	v_addc_co_u32_e64 v61, s[38:39], v86, v63, s[38:39]
	s_waitcnt lgkmcnt(0)
	v_max_f32_e32 v62, v65, v65
	v_max_f32_e32 v87, v64, v62
	v_sub_f32_e32 v58, v58, v87
	v_mul_f32_e32 v58, 0x3fb8aa3b, v58
	v_exp_f32_e32 v80, v58
	v_sub_f32_e32 v58, v59, v87
	v_mul_f32_e32 v58, 0x3fb8aa3b, v58
	global_load_dwordx4 v[54:57], v[50:51], off
	s_nop 0
	global_load_dwordx4 v[50:53], v[50:51], off offset:16
	v_exp_f32_e32 v81, v58
	global_load_dwordx4 v[62:65], v[60:61], off
	s_nop 0
	global_load_dwordx4 v[58:61], v[60:61], off offset:16
	v_sub_f32_e32 v78, v78, v87
	v_mul_f32_e32 v78, 0x3fb8aa3b, v78
	v_sub_f32_e32 v79, v79, v87
	v_exp_f32_e32 v78, v78
	v_mul_f32_e32 v79, 0x3fb8aa3b, v79
	v_sub_f32_e32 v76, v76, v87
	v_exp_f32_e32 v79, v79
	v_mul_f32_e32 v76, 0x3fb8aa3b, v76
	v_sub_f32_e32 v77, v77, v87
	v_cndmask_b32_e64 v80, 0, v80, s[28:29]
	v_exp_f32_e32 v76, v76
	v_mul_f32_e32 v77, 0x3fb8aa3b, v77
	v_sub_f32_e32 v74, v74, v87
	v_add_f32_e32 v86, 0, v80
	v_cndmask_b32_e64 v81, 0, v81, s[30:31]
	v_exp_f32_e32 v77, v77
	v_mul_f32_e32 v74, 0x3fb8aa3b, v74
	v_sub_f32_e32 v75, v75, v87
	v_add_f32_e32 v86, v86, v81
	;; [unrolled: 5-line block ×10, first 2 shown]
	v_cndmask_b32_e64 v70, 0, v70, s[10:11]
	v_exp_f32_e32 v66, v66
	v_mul_f32_e32 v67, 0x3fb8aa3b, v67
	v_add_f32_e32 v86, v86, v70
	v_cndmask_b32_e64 v71, 0, v71, s[12:13]
	v_exp_f32_e32 v67, v67
	v_add_f32_e32 v86, v86, v71
	v_cndmask_b32_e64 v68, 0, v68, s[2:3]
	v_add_f32_e32 v86, v86, v68
	v_cndmask_b32_e64 v69, 0, v69, s[8:9]
	v_add_f32_e32 v86, v86, v69
	v_cndmask_b32_e32 v66, 0, v66, vcc
	v_add_f32_e32 v86, v86, v66
	v_cndmask_b32_e64 v67, 0, v67, s[0:1]
	v_add_f32_e32 v86, v86, v67
	ds_bpermute_b32 v82, v82, v86
	s_load_dword s3, s[4:5], 0x98
	v_cmp_gt_u32_e32 vcc, 16, v94
	s_waitcnt lgkmcnt(0)
	s_barrier
	v_add_f32_e32 v89, v86, v82
	ds_bpermute_b32 v90, v83, v89
	s_waitcnt lgkmcnt(0)
	s_and_saveexec_b64 s[0:1], vcc
	s_cbranch_execz .LBB358_17
; %bb.16:
	v_add_f32_e32 v82, v89, v90
	v_lshlrev_b32_e32 v83, 2, v88
	ds_write2st64_b32 v83, v87, v82 offset1:1
.LBB358_17:
	s_or_b64 exec, exec, s[0:1]
	v_lshlrev_b32_e32 v87, 2, v84
	s_load_dword s2, s[4:5], 0x94
	s_waitcnt lgkmcnt(0)
	s_barrier
	ds_read2_b32 v[82:83], v87 offset1:16
	ds_read2_b32 v[88:89], v87 offset0:32 offset1:48
	ds_read2_b32 v[90:91], v87 offset0:64 offset1:80
	s_movk_i32 s8, 0x7fff
	s_mov_b32 s9, 0x7060302
	s_waitcnt lgkmcnt(2)
	v_max3_f32 v86, v82, s40, v83
	s_waitcnt lgkmcnt(1)
	v_max3_f32 v86, v86, v88, v89
	v_sub_f32_e32 v82, v82, v86
	v_mul_f32_e32 v82, 0x3fb8aa3b, v82
	v_exp_f32_e32 v92, v82
	v_sub_f32_e32 v82, v83, v86
	v_mul_f32_e32 v82, 0x3fb8aa3b, v82
	v_exp_f32_e32 v93, v82
	;; [unrolled: 3-line block ×3, first 2 shown]
	ds_read2_b32 v[82:83], v87 offset0:96 offset1:112
	v_sub_f32_e32 v87, v89, v86
	v_mul_f32_e32 v87, 0x3fb8aa3b, v87
	v_exp_f32_e32 v89, v87
	s_waitcnt lgkmcnt(1)
	v_fma_f32 v87, v92, v90, 0
	v_fmac_f32_e32 v87, v93, v91
	s_waitcnt lgkmcnt(0)
	v_fmac_f32_e32 v87, v88, v82
	v_fmac_f32_e32 v87, v89, v83
	v_add_f32_e32 v82, 0x358637bd, v87
	v_div_scale_f32 v83, s[0:1], v82, v82, 1.0
	v_rcp_f32_e32 v90, v83
	s_mul_i32 s3, s3, 15
	s_barrier
	v_fma_f32 v91, -v83, v90, 1.0
	v_fmac_f32_e32 v90, v91, v90
	v_div_scale_f32 v91, vcc, 1.0, v82, 1.0
	v_mul_f32_e32 v94, v91, v90
	v_fma_f32 v95, -v83, v94, v91
	v_fmac_f32_e32 v94, v95, v90
	v_fma_f32 v83, -v83, v94, v91
	v_div_fmas_f32 v83, v83, v90, v94
	v_cmp_eq_u32_e32 vcc, 1, v85
	v_div_fixup_f32 v82, v83, v82, 1.0
	v_cndmask_b32_e32 v83, v92, v93, vcc
	v_cmp_eq_u32_e32 vcc, 2, v85
	v_cndmask_b32_e32 v83, v83, v88, vcc
	v_cmp_eq_u32_e32 vcc, 3, v85
	v_cndmask_b32_e32 v83, v83, v89, vcc
	v_mul_f32_e32 v82, v83, v82
	v_pk_mul_f32 v[80:81], v[82:83], v[80:81] op_sel_hi:[0,1]
	v_pk_mul_f32 v[78:79], v[82:83], v[78:79] op_sel_hi:[0,1]
	v_bfe_u32 v83, v81, 16, 1
	v_bfe_u32 v88, v80, 16, 1
	v_add3_u32 v80, v80, v88, s8
	v_add3_u32 v81, v81, v83, s8
	v_perm_b32 v80, v81, v80, s9
	v_bfe_u32 v81, v79, 16, 1
	v_bfe_u32 v83, v78, 16, 1
	v_add3_u32 v78, v78, v83, s8
	v_add3_u32 v79, v79, v81, s8
	v_lshlrev_b32_e32 v83, 11, v85
	v_perm_b32 v81, v79, v78, s9
	v_lshlrev_b32_e32 v78, 3, v1
	v_lshlrev_b32_e32 v79, 5, v84
	v_pk_mul_f32 v[76:77], v[82:83], v[76:77] op_sel_hi:[0,1]
	v_or3_b32 v78, v83, v79, v78
	v_pk_mul_f32 v[74:75], v[82:83], v[74:75] op_sel_hi:[0,1]
	v_bfe_u32 v83, v77, 16, 1
	v_bfe_u32 v85, v76, 16, 1
	v_add3_u32 v76, v76, v85, s8
	v_add3_u32 v77, v77, v83, s8
	v_perm_b32 v76, v77, v76, s9
	v_bfe_u32 v77, v75, 16, 1
	v_bfe_u32 v83, v74, 16, 1
	v_add3_u32 v74, v74, v83, s8
	v_add3_u32 v75, v75, v77, s8
	v_pk_mul_f32 v[72:73], v[82:83], v[72:73] op_sel_hi:[0,1]
	v_perm_b32 v77, v75, v74, s9
	v_bfe_u32 v74, v73, 16, 1
	v_bfe_u32 v75, v72, 16, 1
	v_pk_mul_f32 v[70:71], v[82:83], v[70:71] op_sel_hi:[0,1]
	v_add3_u32 v72, v72, v75, s8
	v_add3_u32 v73, v73, v74, s8
	v_perm_b32 v72, v73, v72, s9
	v_bfe_u32 v73, v71, 16, 1
	v_bfe_u32 v74, v70, 16, 1
	v_add3_u32 v70, v70, v74, s8
	v_add3_u32 v71, v71, v73, s8
	v_pk_mul_f32 v[68:69], v[82:83], v[68:69] op_sel_hi:[0,1]
	v_perm_b32 v73, v71, v70, s9
	v_bfe_u32 v70, v69, 16, 1
	v_bfe_u32 v71, v68, 16, 1
	v_pk_mul_f32 v[66:67], v[82:83], v[66:67] op_sel_hi:[0,1]
	v_add3_u32 v68, v68, v71, s8
	v_add3_u32 v69, v69, v70, s8
	v_perm_b32 v68, v69, v68, s9
	v_bfe_u32 v69, v67, 16, 1
	v_bfe_u32 v70, v66, 16, 1
	v_add3_u32 v66, v66, v70, s8
	v_add3_u32 v67, v67, v69, s8
	v_perm_b32 v69, v67, v66, s9
	v_cmp_gt_u32_e32 vcc, 15, v0
	ds_write2st64_b64 v78, v[80:81], v[76:77] offset1:1
	ds_write2st64_b64 v78, v[72:73], v[68:69] offset0:2 offset1:3
	s_and_saveexec_b64 s[0:1], vcc
	s_cbranch_execz .LBB358_19
; %bb.18:
	v_add_co_u32_e32 v68, vcc, s27, v84
	v_addc_co_u32_e64 v69, s[10:11], 0, 0, vcc
	v_mov_b32_e32 v66, s3
	v_mov_b32_e32 v67, 0
	v_mad_u64_u32 v[68:69], s[10:11], s6, v66, v[68:69]
	v_mov_b32_e32 v66, s26
	s_load_dwordx4 s[12:15], s[4:5], 0x58
	s_mul_i32 s7, s7, s3
	v_mad_u64_u32 v[66:67], s[10:11], v68, s2, v[66:67]
	v_add_u32_e32 v69, s7, v69
	v_mov_b32_e32 v68, v67
	v_mad_u64_u32 v[68:69], s[10:11], v69, s2, v[68:69]
	v_mov_b32_e32 v67, v68
	v_lshlrev_b64 v[66:67], 2, v[66:67]
	s_waitcnt lgkmcnt(0)
	v_mov_b32_e32 v69, s15
	v_add_co_u32_e32 v68, vcc, s14, v66
	v_addc_co_u32_e32 v69, vcc, v69, v67, vcc
	global_store_dword v[68:69], v86, off
	v_mov_b32_e32 v68, s13
	v_add_co_u32_e32 v66, vcc, s12, v66
	v_addc_co_u32_e32 v67, vcc, v68, v67, vcc
	global_store_dword v[66:67], v87, off
.LBB358_19:
	s_or_b64 exec, exec, s[0:1]
	v_lshl_or_b32 v79, v1, 9, v79
	s_waitcnt lgkmcnt(0)
	s_barrier
	ds_read_b128 v[70:73], v79
	ds_read_b128 v[66:69], v79 offset:16
	s_waitcnt vmcnt(15) lgkmcnt(1)
	v_mfma_f32_16x16x16bf16_1k v[74:77], v[46:47], v[70:71], 0
	s_mov_b32 s1, 0
	v_cmp_gt_u32_e32 vcc, 64, v0
	v_mfma_f32_16x16x16bf16_1k v[46:49], v[48:49], v[72:73], v[74:77]
	s_waitcnt vmcnt(14) lgkmcnt(0)
	v_mfma_f32_16x16x16bf16_1k v[46:49], v[42:43], v[66:67], v[46:49]
	v_mfma_f32_16x16x16bf16_1k v[42:45], v[44:45], v[68:69], v[46:49]
	s_nop 7
	s_nop 1
	ds_read_b128 v[46:49], v79 offset:2048
	ds_read_b128 v[74:77], v79 offset:2064
	s_waitcnt vmcnt(13) lgkmcnt(1)
	v_mfma_f32_16x16x16bf16_1k v[42:45], v[38:39], v[46:47], v[42:45]
	v_mfma_f32_16x16x16bf16_1k v[38:41], v[40:41], v[48:49], v[42:45]
	s_waitcnt vmcnt(12) lgkmcnt(0)
	v_mfma_f32_16x16x16bf16_1k v[38:41], v[34:35], v[74:75], v[38:41]
	v_mfma_f32_16x16x16bf16_1k v[34:37], v[36:37], v[76:77], v[38:41]
	s_nop 7
	s_nop 1
	ds_read_b128 v[38:41], v79 offset:4096
	ds_read_b128 v[42:45], v79 offset:4112
	s_waitcnt vmcnt(11) lgkmcnt(1)
	v_mfma_f32_16x16x16bf16_1k v[34:37], v[30:31], v[38:39], v[34:37]
	v_mfma_f32_16x16x16bf16_1k v[30:33], v[32:33], v[40:41], v[34:37]
	s_waitcnt vmcnt(10) lgkmcnt(0)
	v_mfma_f32_16x16x16bf16_1k v[30:33], v[26:27], v[42:43], v[30:33]
	v_mfma_f32_16x16x16bf16_1k v[26:29], v[28:29], v[44:45], v[30:33]
	s_nop 7
	s_nop 1
	ds_read_b128 v[30:33], v79 offset:6144
	ds_read_b128 v[34:37], v79 offset:6160
	s_waitcnt lgkmcnt(0)
	s_barrier
	s_waitcnt vmcnt(9)
	v_mfma_f32_16x16x16bf16_1k v[26:29], v[22:23], v[30:31], v[26:29]
	v_mfma_f32_16x16x16bf16_1k v[22:25], v[24:25], v[32:33], v[26:29]
	s_waitcnt vmcnt(8)
	v_mfma_f32_16x16x16bf16_1k v[22:25], v[18:19], v[34:35], v[22:25]
	v_mfma_f32_16x16x16bf16_1k v[18:21], v[20:21], v[36:37], v[22:25]
	;; [unrolled: 3-line block ×4, first 2 shown]
	s_waitcnt vmcnt(5)
	v_mfma_f32_16x16x16bf16_1k v[2:5], v[14:15], v[46:47], v[2:5]
	s_nop 7
	v_bfe_u32 v6, v19, 16, 1
	v_bfe_u32 v7, v18, 16, 1
	v_add3_u32 v7, v18, v7, s8
	v_add3_u32 v6, v19, v6, s8
	v_perm_b32 v6, v6, v7, s9
	v_bfe_u32 v7, v21, 16, 1
	v_bfe_u32 v8, v20, 16, 1
	v_mfma_f32_16x16x16bf16_1k v[2:5], v[16:17], v[48:49], v[2:5]
	v_add3_u32 v8, v20, v8, s8
	v_add3_u32 v7, v21, v7, s8
	v_perm_b32 v7, v7, v8, s9
	s_waitcnt vmcnt(4)
	v_mfma_f32_16x16x16bf16_1k v[2:5], v[10:11], v[74:75], v[2:5]
	v_mfma_f32_16x16x16bf16_1k v[2:5], v[12:13], v[76:77], v[2:5]
	s_waitcnt vmcnt(3)
	v_mfma_f32_16x16x16bf16_1k v[2:5], v[54:55], v[38:39], v[2:5]
	v_mfma_f32_16x16x16bf16_1k v[2:5], v[56:57], v[40:41], v[2:5]
	;; [unrolled: 3-line block ×5, first 2 shown]
	s_nop 7
	s_nop 2
	v_bfe_u32 v8, v3, 16, 1
	v_bfe_u32 v9, v2, 16, 1
	v_add3_u32 v2, v2, v9, s8
	v_add3_u32 v3, v3, v8, s8
	v_perm_b32 v2, v3, v2, s9
	v_bfe_u32 v3, v5, 16, 1
	v_bfe_u32 v8, v4, 16, 1
	v_add3_u32 v4, v4, v8, s8
	v_add3_u32 v3, v5, v3, s8
	v_perm_b32 v3, v3, v4, s9
	ds_write2st64_b64 v78, v[6:7], v[2:3] offset1:1
	s_waitcnt lgkmcnt(0)
	s_barrier
	s_and_saveexec_b64 s[8:9], vcc
	s_cbranch_execz .LBB358_22
; %bb.20:
	v_lshlrev_b32_e32 v4, 6, v84
	v_lshlrev_b32_e32 v3, 4, v0
	v_lshl_or_b32 v0, v0, 10, v4
	v_lshlrev_b32_e32 v2, 5, v1
	v_and_b32_e32 v3, 16, v3
	v_and_b32_e32 v0, 0x1a00, v0
	v_or3_b32 v0, v0, v2, v3
	ds_read_b128 v[4:7], v0 offset:256
	buffer_load_dword v8, off, s[44:47], 0  ; 4-byte Folded Reload
	buffer_load_dword v9, off, s[44:47], 0 offset:4 ; 4-byte Folded Reload
	s_load_dwordx2 s[4:5], s[4:5], 0x68
	s_lshl_b32 s2, s2, 7
	s_mul_i32 s0, s3, s6
	s_mul_hi_u32 s7, s0, s2
	s_mul_i32 s6, s0, s2
	s_lshl_b64 s[6:7], s[6:7], 1
	s_waitcnt lgkmcnt(0)
	s_add_u32 s3, s4, s6
	s_addc_u32 s4, s5, s7
	s_lshl_b32 s0, s26, 7
	s_lshl_b64 s[0:1], s[0:1], 1
	s_add_u32 s0, s3, s0
	s_addc_u32 s1, s4, s1
	v_mov_b32_e32 v3, s1
	v_add_u32_e32 v18, s27, v1
	s_waitcnt vmcnt(1)
	v_add_co_u32_e32 v2, vcc, s0, v8
	s_waitcnt vmcnt(0)
	v_addc_co_u32_e32 v3, vcc, v3, v9, vcc
	ds_read_b128 v[8:11], v0 offset:128
	ds_read_b128 v[12:15], v0
	v_mad_u64_u32 v[16:17], s[0:1], v18, s2, 0
	v_lshlrev_b64 v[16:17], 1, v[16:17]
	v_add_co_u32_e32 v16, vcc, v2, v16
	v_addc_co_u32_e32 v17, vcc, v3, v17, vcc
	s_waitcnt lgkmcnt(0)
	global_store_dwordx4 v[16:17], v[12:15], off
	s_nop 0
	v_add_u32_e32 v12, 4, v18
	v_mad_u64_u32 v[12:13], s[0:1], v12, s2, 0
	v_lshlrev_b64 v[12:13], 1, v[12:13]
	v_add_co_u32_e32 v12, vcc, v2, v12
	v_addc_co_u32_e32 v13, vcc, v3, v13, vcc
	global_store_dwordx4 v[12:13], v[8:11], off
	s_nop 0
	v_add_u32_e32 v8, 8, v18
	v_mad_u64_u32 v[8:9], s[0:1], v8, s2, 0
	v_lshlrev_b64 v[8:9], 1, v[8:9]
	v_add_co_u32_e32 v8, vcc, v2, v8
	v_addc_co_u32_e32 v9, vcc, v3, v9, vcc
	v_cmp_ne_u32_e32 vcc, 3, v1
	global_store_dwordx4 v[8:9], v[4:7], off
	s_and_b64 exec, exec, vcc
	s_cbranch_execz .LBB358_22
; %bb.21:
	ds_read_b128 v[4:7], v0 offset:384
	v_add3_u32 v0, s27, v1, 12
	v_mad_u64_u32 v[0:1], s[0:1], v0, s2, 0
	v_lshlrev_b64 v[0:1], 1, v[0:1]
	v_add_co_u32_e32 v0, vcc, v2, v0
	v_addc_co_u32_e32 v1, vcc, v3, v1, vcc
	s_waitcnt lgkmcnt(0)
	global_store_dwordx4 v[0:1], v[4:7], off
.LBB358_22:
	s_endpgm
	.section	.rodata,"a",@progbits
	.p2align	6, 0x0
	.amdhsa_kernel _Z39paged_attention_ll4mi_QKV_mfma16_kernelI14__hip_bfloat16S0_LN4vllm18Fp8KVCacheDataTypeE0ES0_Li32ELi128ELi256ELb1ELi15EL8MFMAType0EEvPKT_PKT0_S9_ifPKiSB_SB_iPKfiiiPfSE_PS4_PT2_iSD_SD_
		.amdhsa_group_segment_fixed_size 8192
		.amdhsa_private_segment_fixed_size 12
		.amdhsa_kernarg_size 400
		.amdhsa_user_sgpr_count 6
		.amdhsa_user_sgpr_private_segment_buffer 1
		.amdhsa_user_sgpr_dispatch_ptr 0
		.amdhsa_user_sgpr_queue_ptr 0
		.amdhsa_user_sgpr_kernarg_segment_ptr 1
		.amdhsa_user_sgpr_dispatch_id 0
		.amdhsa_user_sgpr_flat_scratch_init 0
		.amdhsa_user_sgpr_kernarg_preload_length 0
		.amdhsa_user_sgpr_kernarg_preload_offset 0
		.amdhsa_user_sgpr_private_segment_size 0
		.amdhsa_uses_dynamic_stack 0
		.amdhsa_system_sgpr_private_segment_wavefront_offset 1
		.amdhsa_system_sgpr_workgroup_id_x 1
		.amdhsa_system_sgpr_workgroup_id_y 1
		.amdhsa_system_sgpr_workgroup_id_z 1
		.amdhsa_system_sgpr_workgroup_info 0
		.amdhsa_system_vgpr_workitem_id 0
		.amdhsa_next_free_vgpr 96
		.amdhsa_next_free_sgpr 48
		.amdhsa_accum_offset 96
		.amdhsa_reserve_vcc 1
		.amdhsa_reserve_flat_scratch 0
		.amdhsa_float_round_mode_32 0
		.amdhsa_float_round_mode_16_64 0
		.amdhsa_float_denorm_mode_32 3
		.amdhsa_float_denorm_mode_16_64 3
		.amdhsa_dx10_clamp 1
		.amdhsa_ieee_mode 1
		.amdhsa_fp16_overflow 0
		.amdhsa_tg_split 0
		.amdhsa_exception_fp_ieee_invalid_op 0
		.amdhsa_exception_fp_denorm_src 0
		.amdhsa_exception_fp_ieee_div_zero 0
		.amdhsa_exception_fp_ieee_overflow 0
		.amdhsa_exception_fp_ieee_underflow 0
		.amdhsa_exception_fp_ieee_inexact 0
		.amdhsa_exception_int_div_zero 0
	.end_amdhsa_kernel
	.section	.text._Z39paged_attention_ll4mi_QKV_mfma16_kernelI14__hip_bfloat16S0_LN4vllm18Fp8KVCacheDataTypeE0ES0_Li32ELi128ELi256ELb1ELi15EL8MFMAType0EEvPKT_PKT0_S9_ifPKiSB_SB_iPKfiiiPfSE_PS4_PT2_iSD_SD_,"axG",@progbits,_Z39paged_attention_ll4mi_QKV_mfma16_kernelI14__hip_bfloat16S0_LN4vllm18Fp8KVCacheDataTypeE0ES0_Li32ELi128ELi256ELb1ELi15EL8MFMAType0EEvPKT_PKT0_S9_ifPKiSB_SB_iPKfiiiPfSE_PS4_PT2_iSD_SD_,comdat
.Lfunc_end358:
	.size	_Z39paged_attention_ll4mi_QKV_mfma16_kernelI14__hip_bfloat16S0_LN4vllm18Fp8KVCacheDataTypeE0ES0_Li32ELi128ELi256ELb1ELi15EL8MFMAType0EEvPKT_PKT0_S9_ifPKiSB_SB_iPKfiiiPfSE_PS4_PT2_iSD_SD_, .Lfunc_end358-_Z39paged_attention_ll4mi_QKV_mfma16_kernelI14__hip_bfloat16S0_LN4vllm18Fp8KVCacheDataTypeE0ES0_Li32ELi128ELi256ELb1ELi15EL8MFMAType0EEvPKT_PKT0_S9_ifPKiSB_SB_iPKfiiiPfSE_PS4_PT2_iSD_SD_
                                        ; -- End function
	.section	.AMDGPU.csdata,"",@progbits
; Kernel info:
; codeLenInByte = 5464
; NumSgprs: 52
; NumVgprs: 96
; NumAgprs: 0
; TotalNumVgprs: 96
; ScratchSize: 12
; MemoryBound: 0
; FloatMode: 240
; IeeeMode: 1
; LDSByteSize: 8192 bytes/workgroup (compile time only)
; SGPRBlocks: 6
; VGPRBlocks: 11
; NumSGPRsForWavesPerEU: 52
; NumVGPRsForWavesPerEU: 96
; AccumOffset: 96
; Occupancy: 5
; WaveLimiterHint : 1
; COMPUTE_PGM_RSRC2:SCRATCH_EN: 1
; COMPUTE_PGM_RSRC2:USER_SGPR: 6
; COMPUTE_PGM_RSRC2:TRAP_HANDLER: 0
; COMPUTE_PGM_RSRC2:TGID_X_EN: 1
; COMPUTE_PGM_RSRC2:TGID_Y_EN: 1
; COMPUTE_PGM_RSRC2:TGID_Z_EN: 1
; COMPUTE_PGM_RSRC2:TIDIG_COMP_CNT: 0
; COMPUTE_PGM_RSRC3_GFX90A:ACCUM_OFFSET: 23
; COMPUTE_PGM_RSRC3_GFX90A:TG_SPLIT: 0
	.section	.text._Z39paged_attention_ll4mi_QKV_mfma16_kernelI14__hip_bfloat16S0_LN4vllm18Fp8KVCacheDataTypeE0ES0_Li32ELi128ELi256ELb1ELi16EL8MFMAType0EEvPKT_PKT0_S9_ifPKiSB_SB_iPKfiiiPfSE_PS4_PT2_iSD_SD_,"axG",@progbits,_Z39paged_attention_ll4mi_QKV_mfma16_kernelI14__hip_bfloat16S0_LN4vllm18Fp8KVCacheDataTypeE0ES0_Li32ELi128ELi256ELb1ELi16EL8MFMAType0EEvPKT_PKT0_S9_ifPKiSB_SB_iPKfiiiPfSE_PS4_PT2_iSD_SD_,comdat
	.protected	_Z39paged_attention_ll4mi_QKV_mfma16_kernelI14__hip_bfloat16S0_LN4vllm18Fp8KVCacheDataTypeE0ES0_Li32ELi128ELi256ELb1ELi16EL8MFMAType0EEvPKT_PKT0_S9_ifPKiSB_SB_iPKfiiiPfSE_PS4_PT2_iSD_SD_ ; -- Begin function _Z39paged_attention_ll4mi_QKV_mfma16_kernelI14__hip_bfloat16S0_LN4vllm18Fp8KVCacheDataTypeE0ES0_Li32ELi128ELi256ELb1ELi16EL8MFMAType0EEvPKT_PKT0_S9_ifPKiSB_SB_iPKfiiiPfSE_PS4_PT2_iSD_SD_
	.globl	_Z39paged_attention_ll4mi_QKV_mfma16_kernelI14__hip_bfloat16S0_LN4vllm18Fp8KVCacheDataTypeE0ES0_Li32ELi128ELi256ELb1ELi16EL8MFMAType0EEvPKT_PKT0_S9_ifPKiSB_SB_iPKfiiiPfSE_PS4_PT2_iSD_SD_
	.p2align	8
	.type	_Z39paged_attention_ll4mi_QKV_mfma16_kernelI14__hip_bfloat16S0_LN4vllm18Fp8KVCacheDataTypeE0ES0_Li32ELi128ELi256ELb1ELi16EL8MFMAType0EEvPKT_PKT0_S9_ifPKiSB_SB_iPKfiiiPfSE_PS4_PT2_iSD_SD_,@function
_Z39paged_attention_ll4mi_QKV_mfma16_kernelI14__hip_bfloat16S0_LN4vllm18Fp8KVCacheDataTypeE0ES0_Li32ELi128ELi256ELb1ELi16EL8MFMAType0EEvPKT_PKT0_S9_ifPKiSB_SB_iPKfiiiPfSE_PS4_PT2_iSD_SD_: ; @_Z39paged_attention_ll4mi_QKV_mfma16_kernelI14__hip_bfloat16S0_LN4vllm18Fp8KVCacheDataTypeE0ES0_Li32ELi128ELi256ELb1ELi16EL8MFMAType0EEvPKT_PKT0_S9_ifPKiSB_SB_iPKfiiiPfSE_PS4_PT2_iSD_SD_
; %bb.0:
	s_mov_b64 s[46:47], s[2:3]
	s_mov_b64 s[44:45], s[0:1]
	s_load_dwordx2 s[0:1], s[4:5], 0x30
	s_add_u32 s44, s44, s9
	s_addc_u32 s45, s45, 0
	s_mov_b32 s26, s7
	s_mov_b64 s[10:11], 0
	s_waitcnt lgkmcnt(0)
	s_cmp_lg_u64 s[0:1], 0
	s_cselect_b64 s[2:3], -1, 0
	s_and_b64 vcc, exec, s[2:3]
	s_cbranch_vccz .LBB359_7
; %bb.1:
	s_add_i32 s12, s6, 1
	s_mov_b32 s13, 0
	s_lshl_b64 s[14:15], s[12:13], 2
	s_add_u32 s14, s0, s14
	s_mov_b32 s7, s13
	s_addc_u32 s15, s1, s15
	s_lshl_b64 s[12:13], s[6:7], 2
	s_add_u32 s12, s0, s12
	s_addc_u32 s13, s1, s13
	s_load_dword s9, s[14:15], 0x0
	s_load_dword s16, s[12:13], 0x0
	s_waitcnt lgkmcnt(0)
	s_sub_i32 s9, s9, s16
	s_cmp_eq_u32 s9, 1
	s_cselect_b64 s[12:13], -1, 0
	s_andn2_b64 vcc, exec, s[10:11]
	s_cbranch_vccnz .LBB359_3
.LBB359_2:
	s_mov_b32 s7, 0
	s_mov_b64 s[12:13], -1
.LBB359_3:
	s_andn2_b64 vcc, exec, s[12:13]
	s_cbranch_vccnz .LBB359_19
; %bb.4:
	s_load_dwordx2 s[12:13], s[4:5], 0x28
	s_lshl_b64 s[10:11], s[6:7], 2
	s_waitcnt lgkmcnt(0)
	s_add_u32 s12, s12, s10
	s_addc_u32 s13, s13, s11
	s_load_dword s33, s[12:13], 0x0
	s_lshl_b32 s9, s26, 8
	s_waitcnt lgkmcnt(0)
	s_cmp_ge_i32 s9, s33
	s_cbranch_scc1 .LBB359_19
; %bb.5:
	s_add_i32 s15, s33, 31
	s_load_dwordx2 s[12:13], s[4:5], 0x20
	s_load_dword s14, s[4:5], 0x38
	s_ashr_i32 s16, s15, 31
	v_and_b32_e32 v1, 0xcf, v0
	s_lshr_b32 s16, s16, 27
	v_add_u32_e32 v1, s9, v1
	s_add_i32 s15, s15, s16
	v_ashrrev_i32_e32 v2, 31, v1
	s_ashr_i32 s20, s15, 5
	v_lshrrev_b32_e32 v10, 27, v2
	s_add_i32 s20, s20, -1
	v_add_u32_e32 v2, v1, v10
	s_waitcnt lgkmcnt(0)
	s_mul_i32 s14, s6, s14
	s_mov_b32 s15, 0
	v_ashrrev_i32_e32 v2, 5, v2
	v_mov_b32_e32 v11, s20
	v_cmp_gt_i32_e32 vcc, s33, v1
	s_lshl_b64 s[14:15], s[14:15], 2
	v_cndmask_b32_e32 v2, v11, v2, vcc
	s_add_u32 s18, s12, s14
	v_ashrrev_i32_e32 v3, 31, v2
	s_addc_u32 s19, s13, s15
	v_lshlrev_b64 v[2:3], 2, v[2:3]
	v_mov_b32_e32 v4, s19
	v_add_co_u32_e32 v2, vcc, s18, v2
	v_addc_co_u32_e32 v3, vcc, v4, v3, vcc
	v_or_b32_e32 v4, 16, v1
	v_add_u32_e32 v5, v4, v10
	v_ashrrev_i32_e32 v5, 5, v5
	v_cmp_gt_i32_e32 vcc, s33, v4
	v_cndmask_b32_e32 v4, v11, v5, vcc
	v_ashrrev_i32_e32 v5, 31, v4
	v_lshlrev_b64 v[4:5], 2, v[4:5]
	v_mov_b32_e32 v7, s19
	v_add_co_u32_e32 v6, vcc, s18, v4
	v_or_b32_e32 v4, 32, v1
	v_addc_co_u32_e32 v7, vcc, v7, v5, vcc
	v_add_u32_e32 v5, v4, v10
	v_ashrrev_i32_e32 v5, 5, v5
	v_cmp_gt_i32_e32 vcc, s33, v4
	v_cndmask_b32_e32 v4, v11, v5, vcc
	v_ashrrev_i32_e32 v5, 31, v4
	v_lshlrev_b64 v[4:5], 2, v[4:5]
	v_mov_b32_e32 v9, s19
	v_add_co_u32_e32 v8, vcc, s18, v4
	v_or_b32_e32 v1, 48, v1
	v_addc_co_u32_e32 v9, vcc, v9, v5, vcc
	v_add_u32_e32 v4, v1, v10
	v_ashrrev_i32_e32 v4, 5, v4
	v_cmp_gt_i32_e32 vcc, s33, v1
	v_cndmask_b32_e32 v4, v11, v4, vcc
	v_ashrrev_i32_e32 v5, 31, v4
	v_lshlrev_b64 v[4:5], 2, v[4:5]
	v_mov_b32_e32 v1, s19
	v_add_co_u32_e32 v10, vcc, s18, v4
	v_addc_co_u32_e32 v11, vcc, v1, v5, vcc
	global_load_dword v5, v[2:3], off
	global_load_dword v4, v[6:7], off
	;; [unrolled: 1-line block ×4, first 2 shown]
	s_andn2_b64 vcc, exec, s[2:3]
	s_cbranch_vccnz .LBB359_8
; %bb.6:
	s_add_u32 s0, s0, s10
	s_addc_u32 s1, s1, s11
	s_load_dword s21, s[0:1], 0x0
	s_branch .LBB359_9
.LBB359_7:
	s_mov_b64 s[12:13], 0
	s_branch .LBB359_2
.LBB359_8:
	s_mov_b32 s21, s6
.LBB359_9:
	s_load_dwordx2 s[10:11], s[4:5], 0x40
	s_load_dwordx4 s[12:15], s[4:5], 0x8
	s_load_dwordx4 s[0:3], s[4:5], 0x48
	v_and_b32_e32 v1, 15, v0
	s_waitcnt lgkmcnt(0)
	s_movk_i32 s3, 0xff
	v_lshlrev_b32_e32 v2, 3, v1
	v_cmp_lt_u32_e32 vcc, s3, v0
	s_and_saveexec_b64 s[16:17], vcc
	s_xor_b64 s[16:17], exec, s[16:17]
; %bb.10:
	v_mov_b32_e32 v3, 0
; %bb.11:
	s_or_saveexec_b64 s[16:17], s[16:17]
	v_lshrrev_b32_e32 v72, 6, v0
	v_and_b32_e32 v95, 63, v0
	s_lshl_b32 s27, s8, 4
	v_bfe_u32 v88, v0, 4, 2
	s_xor_b64 exec, exec, s[16:17]
	s_cbranch_execz .LBB359_13
; %bb.12:
	s_load_dwordx2 s[22:23], s[4:5], 0x0
	s_ashr_i32 s3, s0, 31
	s_mul_hi_u32 s24, s21, s0
	s_mul_i32 s3, s21, s3
	v_lshl_or_b32 v10, v72, 2, v88
	s_add_i32 s25, s24, s3
	s_mul_i32 s24, s21, s0
	s_lshl_b64 s[24:25], s[24:25], 1
	v_add_lshl_u32 v6, v10, s27, 7
	s_waitcnt lgkmcnt(0)
	s_add_u32 s0, s22, s24
	v_ashrrev_i32_e32 v7, 31, v6
	s_addc_u32 s3, s23, s25
	v_lshlrev_b64 v[6:7], 1, v[6:7]
	v_mov_b32_e32 v3, s3
	v_add_co_u32_e32 v6, vcc, s0, v6
	v_addc_co_u32_e32 v3, vcc, v3, v7, vcc
	v_lshlrev_b32_e32 v7, 1, v2
	v_add_co_u32_e32 v6, vcc, v6, v7
	v_addc_co_u32_e32 v7, vcc, 0, v3, vcc
	global_load_dwordx4 v[6:9], v[6:7], off
	v_and_b32_e32 v11, 3, v0
	v_lshlrev_b32_e32 v12, 9, v1
	v_lshlrev_b32_e32 v10, 5, v10
	;; [unrolled: 1-line block ×3, first 2 shown]
	v_and_b32_e32 v12, 0x1800, v12
	v_mov_b32_e32 v3, 0
	v_or3_b32 v10, v12, v11, v10
	s_waitcnt vmcnt(0)
	ds_write_b128 v10, v[6:9]
.LBB359_13:
	s_or_b64 exec, exec, s[16:17]
	s_mul_i32 s2, s8, s2
	s_mov_b32 s3, 0
	s_lshl_b64 s[2:3], s[2:3], 1
	s_add_u32 s8, s12, s2
	s_waitcnt vmcnt(3)
	v_mad_i64_i32 v[6:7], s[16:17], v5, s1, 0
	s_addc_u32 s12, s13, s3
	v_lshlrev_b64 v[6:7], 1, v[6:7]
	v_mov_b32_e32 v5, s12
	v_add_co_u32_e32 v6, vcc, s8, v6
	v_addc_co_u32_e32 v5, vcc, v5, v7, vcc
	v_lshlrev_b64 v[48:49], 1, v[2:3]
	v_add_co_u32_e32 v27, vcc, v6, v48
	v_lshlrev_b32_e32 v26, 9, v88
	v_addc_co_u32_e32 v28, vcc, v5, v49, vcc
	v_add_co_u32_e32 v2, vcc, v27, v26
	v_addc_co_u32_e32 v3, vcc, 0, v28, vcc
	s_load_dword s40, s[4:5], 0x98
	s_load_dword s0, s[4:5], 0x1c
	s_waitcnt lgkmcnt(0)
	s_barrier
	global_load_dwordx4 v[10:13], v[2:3], off
	s_waitcnt vmcnt(3)
	v_mad_i64_i32 v[4:5], s[16:17], v4, s1, 0
	v_lshlrev_b64 v[4:5], 1, v[4:5]
	v_mov_b32_e32 v6, s12
	v_add_co_u32_e32 v4, vcc, s8, v4
	v_addc_co_u32_e32 v5, vcc, v6, v5, vcc
	v_mov_b32_e32 v6, 0x100
	v_lshl_or_b32 v29, v1, 4, v6
	v_add_co_u32_e32 v30, vcc, v4, v29
	v_addc_co_u32_e32 v31, vcc, 0, v5, vcc
	v_add_co_u32_e32 v22, vcc, v30, v26
	v_addc_co_u32_e32 v23, vcc, 0, v31, vcc
	global_load_dwordx4 v[18:21], v[22:23], off
	global_load_dwordx4 v[14:17], v[2:3], off offset:2048
	v_lshl_or_b32 v87, v1, 5, v26
	ds_read_b128 v[6:9], v87
	ds_read_b128 v[2:5], v87 offset:2048
	v_or_b32_e32 v54, 0x1000, v26
	global_load_dwordx4 v[36:39], v[22:23], off offset:2048
	v_or_b32_e32 v66, 0x1800, v26
	v_mov_b32_e32 v55, s12
	s_ashr_i32 s13, s9, 31
	v_and_or_b32 v67, v0, 48, s9
	v_mov_b32_e32 v68, s20
	s_mov_b32 s41, 0xff7fffff
	s_waitcnt vmcnt(3) lgkmcnt(1)
	v_mfma_f32_16x16x16bf16_1k v[32:35], v[10:11], v[6:7], 0
	s_waitcnt vmcnt(2)
	v_mfma_f32_16x16x16bf16_1k v[40:43], v[18:19], v[6:7], 0
	v_add_co_u32_e32 v18, vcc, v27, v54
	v_addc_co_u32_e32 v19, vcc, 0, v28, vcc
	v_mfma_f32_16x16x16bf16_1k v[10:13], v[12:13], v[8:9], v[32:35]
	s_nop 6
	global_load_dwordx4 v[32:35], v[18:19], off
	v_add_co_u32_e32 v22, vcc, v30, v54
	v_addc_co_u32_e32 v23, vcc, 0, v31, vcc
	v_mfma_f32_16x16x16bf16_1k v[18:21], v[20:21], v[8:9], v[40:43]
	s_nop 6
	global_load_dwordx4 v[40:43], v[22:23], off
	v_add_co_u32_e32 v22, vcc, v27, v66
	v_addc_co_u32_e32 v23, vcc, 0, v28, vcc
	s_waitcnt vmcnt(3) lgkmcnt(0)
	v_mfma_f32_16x16x16bf16_1k v[10:13], v[14:15], v[2:3], v[10:13]
	v_add_co_u32_e32 v14, vcc, v30, v66
	v_addc_co_u32_e32 v15, vcc, 0, v31, vcc
	global_load_dwordx4 v[44:47], v[22:23], off
	global_load_dwordx4 v[58:61], v[14:15], off
	v_mad_i64_i32 v[14:15], s[16:17], v25, s1, 0
	v_lshlrev_b64 v[14:15], 1, v[14:15]
	v_mov_b32_e32 v22, s12
	v_add_co_u32_e32 v23, vcc, s8, v14
	v_addc_co_u32_e32 v22, vcc, v22, v15, vcc
	v_add_co_u32_e32 v27, vcc, v23, v48
	buffer_store_dword v48, off, s[44:47], 0 ; 4-byte Folded Spill
	s_nop 0
	buffer_store_dword v49, off, s[44:47], 0 offset:4 ; 4-byte Folded Spill
	s_waitcnt vmcnt(6)
	v_mfma_f32_16x16x16bf16_1k v[18:21], v[36:37], v[2:3], v[18:21]
	v_mad_i64_i32 v[24:25], s[16:17], v24, s1, 0
	ds_read_b128 v[50:53], v87 offset:6144
	s_lshr_b32 s12, s13, 27
	s_add_u32 s2, s14, s2
	s_addc_u32 s3, s15, s3
	v_addc_co_u32_e32 v28, vcc, v22, v49, vcc
	v_add_co_u32_e32 v22, vcc, v27, v26
	v_addc_co_u32_e32 v23, vcc, 0, v28, vcc
	v_mfma_f32_16x16x16bf16_1k v[18:21], v[38:39], v[4:5], v[18:21]
	global_load_dwordx4 v[36:39], v[22:23], off
	v_lshlrev_b64 v[48:49], 1, v[24:25]
	v_mfma_f32_16x16x16bf16_1k v[14:17], v[16:17], v[4:5], v[10:13]
	s_nop 6
	ds_read_b128 v[10:13], v87 offset:4096
	s_waitcnt vmcnt(6) lgkmcnt(0)
	v_mfma_f32_16x16x16bf16_1k v[14:17], v[32:33], v[10:11], v[14:17]
	s_waitcnt vmcnt(5)
	v_mfma_f32_16x16x16bf16_1k v[30:33], v[40:41], v[10:11], v[18:21]
	s_nop 6
	v_add_co_u32_e32 v18, vcc, s8, v48
	v_addc_co_u32_e32 v19, vcc, v55, v49, vcc
	v_add_co_u32_e32 v48, vcc, v18, v29
	v_addc_co_u32_e32 v49, vcc, 0, v19, vcc
	;; [unrolled: 2-line block ×3, first 2 shown]
	global_load_dwordx4 v[62:65], v[18:19], off
	v_mfma_f32_16x16x16bf16_1k v[14:17], v[34:35], v[12:13], v[14:17]
	global_load_dwordx4 v[22:25], v[22:23], off offset:2048
	v_add_co_u32_e32 v18, vcc, v27, v66
	v_addc_co_u32_e32 v19, vcc, 0, v28, vcc
	v_add_co_u32_e32 v34, vcc, v48, v26
	s_waitcnt vmcnt(6)
	v_mfma_f32_16x16x16bf16_1k v[14:17], v[44:45], v[50:51], v[14:17]
	v_addc_co_u32_e32 v35, vcc, 0, v49, vcc
	v_add_co_u32_e32 v40, vcc, v48, v54
	v_add_u32_e32 v20, s12, v67
	v_addc_co_u32_e32 v41, vcc, 0, v49, vcc
	v_mfma_f32_16x16x16bf16_1k v[30:33], v[42:43], v[12:13], v[30:33]
	v_ashrrev_i32_e32 v20, 5, v20
	v_cmp_gt_i32_e32 vcc, s33, v67
	v_cndmask_b32_e32 v44, v68, v20, vcc
	v_ashrrev_i32_e32 v45, 31, v44
	v_mov_b32_e32 v42, s19
	v_mov_b32_e32 v43, s19
	v_mfma_f32_16x16x16bf16_1k v[54:57], v[46:47], v[52:53], v[14:17]
	global_load_dwordx4 v[26:29], v[18:19], off
	s_nop 0
	global_load_dwordx4 v[18:21], v[34:35], off
	s_nop 3
	global_load_dwordx4 v[14:17], v[34:35], off offset:2048
	v_lshlrev_b64 v[34:35], 2, v[44:45]
	v_add_co_u32_e32 v34, vcc, s18, v34
	v_addc_co_u32_e32 v35, vcc, v42, v35, vcc
	global_load_dword v42, v[34:35], off
	s_waitcnt vmcnt(9)
	v_mfma_f32_16x16x16bf16_1k v[30:33], v[58:59], v[50:51], v[30:33]
	v_or_b32_e32 v34, 64, v67
	v_add_u32_e32 v35, s12, v34
	v_ashrrev_i32_e32 v35, 5, v35
	v_cmp_gt_i32_e32 vcc, s33, v34
	v_cndmask_b32_e32 v34, v68, v35, vcc
	v_ashrrev_i32_e32 v35, 31, v34
	v_lshlrev_b64 v[34:35], 2, v[34:35]
	v_mfma_f32_16x16x16bf16_1k v[58:61], v[60:61], v[52:53], v[30:33]
	s_nop 6
	v_add_co_u32_e32 v30, vcc, s18, v34
	v_addc_co_u32_e32 v31, vcc, v43, v35, vcc
	global_load_dword v78, v[30:31], off
	v_or_b32_e32 v30, 0x80, v67
	v_add_u32_e32 v31, s12, v30
	v_ashrrev_i32_e32 v31, 5, v31
	v_cmp_gt_i32_e32 vcc, s33, v30
	v_cndmask_b32_e32 v34, v68, v31, vcc
	v_ashrrev_i32_e32 v35, 31, v34
	v_lshlrev_b64 v[34:35], 2, v[34:35]
	s_waitcnt vmcnt(7)
	v_mfma_f32_16x16x16bf16_1k v[30:33], v[36:37], v[6:7], 0
	v_mov_b32_e32 v36, s19
	v_add_co_u32_e32 v34, vcc, s18, v34
	v_addc_co_u32_e32 v35, vcc, v36, v35, vcc
	global_load_dword v80, v[34:35], off
	v_or_b32_e32 v34, 0xc0, v67
	v_mfma_f32_16x16x16bf16_1k v[30:33], v[38:39], v[8:9], v[30:33]
	v_add_u32_e32 v35, s12, v34
	v_ashrrev_i32_e32 v35, 5, v35
	v_cmp_gt_i32_e32 vcc, s33, v34
	v_cndmask_b32_e32 v34, v68, v35, vcc
	global_load_dwordx4 v[68:71], v[40:41], off
	v_ashrrev_i32_e32 v35, 31, v34
	s_waitcnt vmcnt(7)
	v_mfma_f32_16x16x16bf16_1k v[30:33], v[22:23], v[2:3], v[30:33]
	v_lshlrev_b64 v[22:23], 2, v[34:35]
	v_mov_b32_e32 v34, s19
	v_add_co_u32_e32 v22, vcc, s18, v22
	v_addc_co_u32_e32 v23, vcc, v34, v23, vcc
	global_load_dword v81, v[22:23], off
	v_mfma_f32_16x16x16bf16_1k v[22:25], v[24:25], v[4:5], v[30:33]
	s_nop 6
	v_add_co_u32_e32 v30, vcc, v48, v66
	v_addc_co_u32_e32 v31, vcc, 0, v49, vcc
	global_load_dwordx4 v[90:93], v[30:31], off
	v_mfma_f32_16x16x16bf16_1k v[22:25], v[62:63], v[10:11], v[22:25]
	v_or_b32_e32 v66, s27, v1
	v_ashrrev_i32_e32 v67, 31, v66
	v_lshlrev_b64 v[30:31], 2, v[66:67]
	v_mov_b32_e32 v32, s11
	v_add_co_u32_e32 v30, vcc, s10, v30
	v_addc_co_u32_e32 v31, vcc, v32, v31, vcc
	v_mfma_f32_16x16x16bf16_1k v[22:25], v[64:65], v[12:13], v[22:25]
	global_load_dword v89, v[30:31], off
	v_and_b32_e32 v30, 16, v0
	v_lshlrev_b32_e32 v30, 1, v30
	v_add_co_u32_e32 v82, vcc, s2, v30
	v_lshl_or_b32 v67, v72, 4, v1
	v_lshlrev_b32_e32 v84, 6, v67
	s_waitcnt vmcnt(9)
	v_mfma_f32_16x16x16bf16_1k v[22:25], v[26:27], v[50:51], v[22:25]
	v_mov_b32_e32 v26, s3
	v_addc_co_u32_e32 v83, vcc, 0, v26, vcc
	v_add_co_u32_e32 v85, vcc, v82, v84
	v_addc_co_u32_e32 v86, vcc, 0, v83, vcc
	v_mfma_f32_16x16x16bf16_1k v[74:77], v[28:29], v[52:53], v[22:25]
	s_waitcnt vmcnt(6)
	s_nop 5
	v_mad_i64_i32 v[22:23], s[2:3], v42, s1, 0
	v_lshlrev_b64 v[72:73], 1, v[22:23]
	v_mfma_f32_16x16x16bf16_1k v[22:25], v[18:19], v[6:7], 0
	v_add_co_u32_e32 v6, vcc, v85, v72
	v_addc_co_u32_e32 v7, vcc, v86, v73, vcc
	global_load_dwordx4 v[46:49], v[6:7], off
	global_load_dwordx4 v[42:45], v[6:7], off offset:16
	s_waitcnt vmcnt(7)
	v_mad_i64_i32 v[6:7], s[2:3], v78, s1, 0
	v_lshlrev_b64 v[78:79], 1, v[6:7]
	v_mfma_f32_16x16x16bf16_1k v[6:9], v[20:21], v[8:9], v[22:25]
	v_add_co_u32_e32 v18, vcc, v85, v78
	v_addc_co_u32_e32 v19, vcc, v86, v79, vcc
	global_load_dwordx4 v[38:41], v[18:19], off
	global_load_dwordx4 v[34:37], v[18:19], off offset:16
	s_waitcnt vmcnt(8)
	v_mad_i64_i32 v[18:19], s[2:3], v80, s1, 0
	v_mfma_f32_16x16x16bf16_1k v[6:9], v[14:15], v[2:3], v[6:9]
	v_lshlrev_b64 v[64:65], 1, v[18:19]
	v_add_co_u32_e32 v2, vcc, v85, v64
	v_addc_co_u32_e32 v3, vcc, v86, v65, vcc
	global_load_dwordx4 v[30:33], v[2:3], off
	global_load_dwordx4 v[26:29], v[2:3], off offset:16
	v_mfma_f32_16x16x16bf16_1k v[2:5], v[16:17], v[4:5], v[6:9]
	s_waitcnt vmcnt(9)
	v_mfma_f32_16x16x16bf16_1k v[2:5], v[68:69], v[10:11], v[2:5]
	s_waitcnt vmcnt(8)
	s_nop 3
	v_mad_i64_i32 v[6:7], s[2:3], v81, s1, 0
	v_lshlrev_b64 v[62:63], 1, v[6:7]
	v_add_co_u32_e32 v6, vcc, v85, v62
	v_addc_co_u32_e32 v7, vcc, v86, v63, vcc
	v_mfma_f32_16x16x16bf16_1k v[10:13], v[70:71], v[12:13], v[2:5]
	global_load_dwordx4 v[22:25], v[6:7], off
	global_load_dwordx4 v[18:21], v[6:7], off offset:16
	v_or_b32_e32 v6, 0x1000, v84
	v_add_co_u32_e32 v86, vcc, v82, v6
	v_addc_co_u32_e32 v94, vcc, 0, v83, vcc
	v_pk_mul_f32 v[84:85], s[0:1], v[54:55] op_sel_hi:[0,1]
	s_waitcnt vmcnt(9)
	v_mfma_f32_16x16x16bf16_1k v[68:71], v[90:91], v[50:51], v[10:13]
	v_add_co_u32_e32 v2, vcc, v86, v72
	v_addc_co_u32_e32 v3, vcc, v94, v73, vcc
	v_add_co_u32_e32 v72, vcc, v86, v78
	v_addc_co_u32_e32 v73, vcc, v94, v79, vcc
	v_mfma_f32_16x16x16bf16_1k v[50:53], v[92:93], v[52:53], v[68:71]
	v_pk_mul_f32 v[82:83], s[0:1], v[56:57] op_sel_hi:[0,1]
	global_load_dwordx4 v[6:9], v[2:3], off
	s_nop 0
	global_load_dwordx4 v[2:5], v[2:3], off offset:16
	s_nop 0
	global_load_dwordx4 v[14:17], v[72:73], off
	global_load_dwordx4 v[10:13], v[72:73], off offset:16
	v_pk_mul_f32 v[78:79], s[0:1], v[60:61] op_sel_hi:[0,1]
	v_pk_mul_f32 v[72:73], s[0:1], v[76:77] op_sel_hi:[0,1]
	;; [unrolled: 1-line block ×5, first 2 shown]
	v_and_b32_e32 v50, 0xc0, v0
	v_add_u32_e32 v50, s9, v50
	v_lshl_or_b32 v50, v88, 2, v50
	v_or_b32_e32 v51, 1, v50
	v_pk_mul_f32 v[68:69], s[0:1], v[52:53] op_sel_hi:[0,1]
	v_subrev_u32_e32 v52, s33, v51
	v_add_u32_e32 v54, 1, v52
	v_add_u32_e32 v55, 2, v52
	v_cvt_f32_i32_e32 v53, v52
	v_cvt_f32_i32_e32 v54, v54
	;; [unrolled: 1-line block ×3, first 2 shown]
	v_add_u32_e32 v56, 3, v52
	s_waitcnt vmcnt(12)
	v_fma_f32 v60, v89, v53, v84
	v_fmac_f32_e32 v85, v89, v54
	v_fma_f32 v74, v89, v55, v82
	v_add_u32_e32 v53, 16, v52
	v_add_u32_e32 v54, 17, v52
	v_add_u32_e32 v55, 18, v52
	v_cvt_f32_i32_e32 v56, v56
	v_cvt_f32_i32_e32 v53, v53
	;; [unrolled: 1-line block ×4, first 2 shown]
	v_fmac_f32_e32 v83, v89, v56
	v_add_u32_e32 v56, 19, v52
	v_fma_f32 v75, v89, v53, v80
	v_fmac_f32_e32 v81, v89, v54
	v_fma_f32 v78, v89, v55, v78
	v_add_u32_e32 v53, 32, v52
	v_add_u32_e32 v54, 33, v52
	;; [unrolled: 1-line block ×3, first 2 shown]
	v_cvt_f32_i32_e32 v56, v56
	v_cvt_f32_i32_e32 v53, v53
	;; [unrolled: 1-line block ×4, first 2 shown]
	v_fmac_f32_e32 v79, v89, v56
	v_add_u32_e32 v56, 35, v52
	v_fma_f32 v76, v89, v53, v76
	v_fmac_f32_e32 v77, v89, v54
	v_fma_f32 v72, v89, v55, v72
	v_add_u32_e32 v53, 48, v52
	v_add_u32_e32 v54, 49, v52
	;; [unrolled: 1-line block ×4, first 2 shown]
	v_cvt_f32_i32_e32 v52, v52
	v_cvt_f32_i32_e32 v53, v53
	;; [unrolled: 1-line block ×3, first 2 shown]
	v_cmp_gt_i32_e64 s[28:29], s33, v50
	v_fmac_f32_e32 v69, v89, v52
	v_mov_b32_e32 v52, 0xff7fffff
	v_cmp_gt_i32_e64 s[30:31], s33, v51
	v_fma_f32 v70, v89, v53, v70
	v_cndmask_b32_e64 v53, v52, v60, s[28:29]
	v_cndmask_b32_e64 v51, v52, v85, s[30:31]
	v_fmac_f32_e32 v71, v89, v54
	v_max3_f32 v51, v53, s41, v51
	v_or_b32_e32 v53, 2, v50
	v_or_b32_e32 v54, 3, v50
	v_cmp_gt_i32_e64 s[34:35], s33, v53
	v_cmp_gt_i32_e64 s[36:37], s33, v54
	v_cndmask_b32_e64 v53, v52, v74, s[34:35]
	v_cndmask_b32_e64 v54, v52, v83, s[36:37]
	v_max3_f32 v51, v51, v53, v54
	v_or_b32_e32 v53, 16, v50
	v_or_b32_e32 v54, 17, v50
	v_cmp_gt_i32_e64 s[22:23], s33, v53
	v_cmp_gt_i32_e64 s[24:25], s33, v54
	v_cndmask_b32_e64 v53, v52, v75, s[22:23]
	v_cndmask_b32_e64 v54, v52, v81, s[24:25]
	;; [unrolled: 7-line block ×3, first 2 shown]
	v_cvt_f32_i32_e32 v56, v56
	v_max3_f32 v51, v51, v53, v54
	v_or_b32_e32 v53, 32, v50
	v_or_b32_e32 v54, 33, v50
	v_cmp_gt_i32_e64 s[14:15], s33, v53
	v_cmp_gt_i32_e64 s[16:17], s33, v54
	v_cndmask_b32_e64 v53, v52, v76, s[14:15]
	v_cndmask_b32_e64 v54, v52, v77, s[16:17]
	v_max3_f32 v51, v51, v53, v54
	v_or_b32_e32 v53, 34, v50
	v_or_b32_e32 v54, 35, v50
	v_fmac_f32_e32 v73, v89, v56
	v_cmp_gt_i32_e64 s[10:11], s33, v53
	v_cmp_gt_i32_e64 s[12:13], s33, v54
	v_cndmask_b32_e64 v53, v52, v72, s[10:11]
	v_cndmask_b32_e64 v54, v52, v73, s[12:13]
	v_cvt_f32_i32_e32 v55, v55
	v_max3_f32 v51, v51, v53, v54
	v_or_b32_e32 v53, 48, v50
	v_or_b32_e32 v54, 49, v50
	v_cmp_gt_i32_e64 s[2:3], s33, v53
	v_cmp_gt_i32_e64 s[8:9], s33, v54
	v_cndmask_b32_e64 v53, v52, v70, s[2:3]
	v_cndmask_b32_e64 v54, v52, v71, s[8:9]
	v_max3_f32 v51, v51, v53, v54
	v_or_b32_e32 v53, 50, v50
	v_or_b32_e32 v50, 51, v50
	v_fma_f32 v68, v89, v55, v68
	v_cmp_gt_i32_e32 vcc, s33, v53
	v_cmp_gt_i32_e64 s[0:1], s33, v50
	v_cndmask_b32_e32 v53, v52, v68, vcc
	v_cndmask_b32_e64 v50, v52, v69, s[0:1]
	v_max3_f32 v58, v51, v53, v50
	v_mbcnt_lo_u32_b32 v50, -1, 0
	v_mbcnt_hi_u32_b32 v59, -1, v50
	v_and_b32_e32 v50, 64, v59
	v_add_u32_e32 v61, 64, v50
	v_xor_b32_e32 v50, 32, v59
	v_cmp_lt_i32_e64 s[38:39], v50, v61
	v_cndmask_b32_e64 v50, v59, v50, s[38:39]
	v_lshlrev_b32_e32 v89, 2, v50
	ds_bpermute_b32 v80, v89, v58
	v_add_co_u32_e64 v50, s[38:39], v86, v64
	v_addc_co_u32_e64 v51, s[38:39], v94, v65, s[38:39]
	s_waitcnt lgkmcnt(0)
	v_max_f32_e32 v64, v80, v80
	v_max_f32_e32 v64, v58, v64
	v_xor_b32_e32 v58, 16, v59
	v_cmp_lt_i32_e64 s[38:39], v58, v61
	v_cndmask_b32_e64 v58, v59, v58, s[38:39]
	v_lshlrev_b32_e32 v92, 2, v58
	ds_bpermute_b32 v61, v92, v64
	v_add_co_u32_e64 v58, s[38:39], v86, v62
	v_addc_co_u32_e64 v59, s[38:39], v94, v63, s[38:39]
	s_waitcnt lgkmcnt(0)
	v_max_f32_e32 v61, v61, v61
	v_max_f32_e32 v90, v64, v61
	v_sub_f32_e32 v60, v60, v90
	v_mul_f32_e32 v60, 0x3fb8aa3b, v60
	v_exp_f32_e32 v80, v60
	v_sub_f32_e32 v60, v85, v90
	v_mul_f32_e32 v60, 0x3fb8aa3b, v60
	global_load_dwordx4 v[54:57], v[50:51], off
	s_nop 0
	global_load_dwordx4 v[50:53], v[50:51], off offset:16
	v_exp_f32_e32 v82, v60
	global_load_dwordx4 v[62:65], v[58:59], off
	s_nop 0
	global_load_dwordx4 v[58:61], v[58:59], off offset:16
	v_sub_f32_e32 v74, v74, v90
	v_mul_f32_e32 v74, 0x3fb8aa3b, v74
	v_exp_f32_e32 v74, v74
	v_sub_f32_e32 v75, v75, v90
	v_cndmask_b32_e64 v84, 0, v80, s[28:29]
	v_cndmask_b32_e64 v85, 0, v82, s[30:31]
	v_sub_f32_e32 v82, v83, v90
	v_mul_f32_e32 v75, 0x3fb8aa3b, v75
	v_add_f32_e32 v80, 0, v84
	v_mul_f32_e32 v82, 0x3fb8aa3b, v82
	v_exp_f32_e32 v75, v75
	v_exp_f32_e32 v83, v82
	v_add_f32_e32 v80, v80, v85
	v_cndmask_b32_e64 v82, 0, v74, s[34:35]
	v_add_f32_e32 v74, v80, v82
	v_sub_f32_e32 v80, v81, v90
	v_mul_f32_e32 v80, 0x3fb8aa3b, v80
	v_exp_f32_e32 v81, v80
	v_cndmask_b32_e64 v80, 0, v75, s[22:23]
	v_sub_f32_e32 v75, v78, v90
	v_mul_f32_e32 v75, 0x3fb8aa3b, v75
	v_exp_f32_e32 v75, v75
	v_sub_f32_e32 v78, v79, v90
	v_mul_f32_e32 v78, 0x3fb8aa3b, v78
	v_exp_f32_e32 v79, v78
	v_cndmask_b32_e64 v78, 0, v75, s[18:19]
	v_sub_f32_e32 v75, v76, v90
	v_cndmask_b32_e64 v83, 0, v83, s[36:37]
	v_mul_f32_e32 v75, 0x3fb8aa3b, v75
	v_sub_f32_e32 v76, v77, v90
	v_add_f32_e32 v74, v74, v83
	v_exp_f32_e32 v75, v75
	v_mul_f32_e32 v76, 0x3fb8aa3b, v76
	v_sub_f32_e32 v72, v72, v90
	v_add_f32_e32 v74, v74, v80
	v_cndmask_b32_e64 v81, 0, v81, s[24:25]
	v_exp_f32_e32 v77, v76
	v_mul_f32_e32 v72, 0x3fb8aa3b, v72
	v_sub_f32_e32 v73, v73, v90
	v_add_f32_e32 v74, v74, v81
	v_exp_f32_e32 v72, v72
	v_mul_f32_e32 v73, 0x3fb8aa3b, v73
	v_sub_f32_e32 v70, v70, v90
	v_add_f32_e32 v74, v74, v78
	v_cndmask_b32_e64 v79, 0, v79, s[20:21]
	v_exp_f32_e32 v73, v73
	v_mul_f32_e32 v70, 0x3fb8aa3b, v70
	v_sub_f32_e32 v71, v71, v90
	v_add_f32_e32 v74, v74, v79
	v_cndmask_b32_e64 v76, 0, v75, s[14:15]
	;; [unrolled: 5-line block ×4, first 2 shown]
	v_exp_f32_e32 v68, v68
	v_mul_f32_e32 v69, 0x3fb8aa3b, v69
	v_add_f32_e32 v74, v74, v72
	v_cndmask_b32_e64 v73, 0, v73, s[12:13]
	v_exp_f32_e32 v69, v69
	v_add_f32_e32 v74, v74, v73
	v_cndmask_b32_e64 v70, 0, v70, s[2:3]
	v_add_f32_e32 v74, v74, v70
	v_cndmask_b32_e64 v71, 0, v71, s[8:9]
	v_add_f32_e32 v74, v74, v71
	v_cndmask_b32_e32 v68, 0, v68, vcc
	v_add_f32_e32 v74, v74, v68
	v_cndmask_b32_e64 v69, 0, v69, s[0:1]
	v_add_f32_e32 v74, v74, v69
	ds_bpermute_b32 v75, v89, v74
	v_cmp_gt_u32_e32 vcc, 16, v95
	s_waitcnt lgkmcnt(0)
	s_barrier
	v_add_f32_e32 v91, v74, v75
	ds_bpermute_b32 v92, v92, v91
	s_and_saveexec_b64 s[0:1], vcc
	s_cbranch_execz .LBB359_15
; %bb.14:
	s_waitcnt lgkmcnt(0)
	v_add_f32_e32 v74, v91, v92
	v_lshlrev_b32_e32 v67, 2, v67
	ds_write2st64_b32 v67, v90, v74 offset1:1
.LBB359_15:
	s_or_b64 exec, exec, s[0:1]
	v_lshlrev_b32_e32 v67, 2, v1
	s_load_dword s2, s[4:5], 0x94
	s_waitcnt lgkmcnt(0)
	s_barrier
	ds_read2_b32 v[74:75], v67 offset1:16
	ds_read2_b32 v[90:91], v67 offset0:32 offset1:48
	ds_read2_b32 v[92:93], v67 offset0:64 offset1:80
	s_movk_i32 s8, 0x7fff
	s_mov_b32 s9, 0x7060302
	s_waitcnt lgkmcnt(2)
	v_max3_f32 v86, v74, s41, v75
	s_waitcnt lgkmcnt(1)
	v_max3_f32 v89, v86, v90, v91
	v_sub_f32_e32 v74, v74, v89
	v_mul_f32_e32 v74, 0x3fb8aa3b, v74
	v_exp_f32_e32 v86, v74
	v_sub_f32_e32 v74, v75, v89
	v_mul_f32_e32 v74, 0x3fb8aa3b, v74
	v_exp_f32_e32 v94, v74
	;; [unrolled: 3-line block ×3, first 2 shown]
	ds_read2_b32 v[74:75], v67 offset0:96 offset1:112
	v_sub_f32_e32 v67, v91, v89
	v_mul_f32_e32 v67, 0x3fb8aa3b, v67
	v_exp_f32_e32 v67, v67
	s_waitcnt lgkmcnt(1)
	v_fma_f32 v90, v86, v92, 0
	v_fmac_f32_e32 v90, v94, v93
	s_waitcnt lgkmcnt(0)
	v_fmac_f32_e32 v90, v95, v74
	v_fmac_f32_e32 v90, v67, v75
	v_add_f32_e32 v74, 0x358637bd, v90
	v_div_scale_f32 v75, s[0:1], v74, v74, 1.0
	v_rcp_f32_e32 v91, v75
	s_lshl_b32 s3, s40, 4
	s_barrier
	v_fma_f32 v92, -v75, v91, 1.0
	v_fmac_f32_e32 v91, v92, v91
	v_div_scale_f32 v92, vcc, 1.0, v74, 1.0
	v_mul_f32_e32 v93, v92, v91
	v_fma_f32 v88, -v75, v93, v92
	v_fmac_f32_e32 v93, v88, v91
	v_fma_f32 v75, -v75, v93, v92
	v_lshrrev_b32_e32 v88, 6, v0
	v_div_fmas_f32 v75, v75, v91, v93
	v_cmp_eq_u32_e32 vcc, 1, v88
	v_div_fixup_f32 v74, v75, v74, 1.0
	v_cndmask_b32_e32 v75, v86, v94, vcc
	v_cmp_eq_u32_e32 vcc, 2, v88
	v_cndmask_b32_e32 v75, v75, v95, vcc
	v_cmp_eq_u32_e32 vcc, 3, v88
	v_cndmask_b32_e32 v67, v75, v67, vcc
	v_mul_f32_e32 v74, v67, v74
	v_pk_mul_f32 v[84:85], v[74:75], v[84:85] op_sel_hi:[0,1]
	v_pk_mul_f32 v[82:83], v[74:75], v[82:83] op_sel_hi:[0,1]
	v_bfe_u32 v67, v85, 16, 1
	v_bfe_u32 v75, v84, 16, 1
	v_add3_u32 v75, v84, v75, s8
	v_add3_u32 v67, v85, v67, s8
	v_perm_b32 v84, v67, v75, s9
	v_bfe_u32 v67, v83, 16, 1
	v_bfe_u32 v75, v82, 16, 1
	v_add3_u32 v75, v82, v75, s8
	v_add3_u32 v67, v83, v67, s8
	v_perm_b32 v85, v67, v75, s9
	v_bfe_u32 v83, v0, 4, 2
	v_lshlrev_b32_e32 v75, 5, v1
	v_lshlrev_b32_e32 v67, 3, v83
	;; [unrolled: 1-line block ×3, first 2 shown]
	v_pk_mul_f32 v[80:81], v[74:75], v[80:81] op_sel_hi:[0,1]
	v_or3_b32 v82, v82, v75, v67
	v_pk_mul_f32 v[78:79], v[74:75], v[78:79] op_sel_hi:[0,1]
	v_bfe_u32 v67, v81, 16, 1
	v_bfe_u32 v75, v80, 16, 1
	v_add3_u32 v75, v80, v75, s8
	v_add3_u32 v67, v81, v67, s8
	v_perm_b32 v80, v67, v75, s9
	v_bfe_u32 v75, v78, 16, 1
	v_bfe_u32 v67, v79, 16, 1
	v_add3_u32 v75, v78, v75, s8
	v_add3_u32 v67, v79, v67, s8
	v_pk_mul_f32 v[76:77], v[74:75], v[76:77] op_sel_hi:[0,1]
	v_perm_b32 v81, v67, v75, s9
	v_pk_mul_f32 v[72:73], v[74:75], v[72:73] op_sel_hi:[0,1]
	v_bfe_u32 v67, v77, 16, 1
	v_bfe_u32 v75, v76, 16, 1
	v_add3_u32 v75, v76, v75, s8
	v_add3_u32 v67, v77, v67, s8
	v_perm_b32 v76, v67, v75, s9
	v_bfe_u32 v67, v73, 16, 1
	v_bfe_u32 v75, v72, 16, 1
	v_add3_u32 v72, v72, v75, s8
	v_add3_u32 v67, v73, v67, s8
	v_pk_mul_f32 v[70:71], v[74:75], v[70:71] op_sel_hi:[0,1]
	v_perm_b32 v77, v67, v72, s9
	v_bfe_u32 v67, v71, 16, 1
	v_bfe_u32 v72, v70, 16, 1
	v_pk_mul_f32 v[68:69], v[74:75], v[68:69] op_sel_hi:[0,1]
	v_add3_u32 v70, v70, v72, s8
	v_add3_u32 v67, v71, v67, s8
	v_perm_b32 v70, v67, v70, s9
	v_bfe_u32 v67, v69, 16, 1
	v_bfe_u32 v71, v68, 16, 1
	v_add3_u32 v68, v68, v71, s8
	v_add3_u32 v67, v69, v67, s8
	v_perm_b32 v71, v67, v68, s9
	v_cmp_gt_u32_e32 vcc, 16, v0
	ds_write2st64_b64 v82, v[84:85], v[80:81] offset1:1
	ds_write2st64_b64 v82, v[76:77], v[70:71] offset0:2 offset1:3
	s_and_saveexec_b64 s[0:1], vcc
	s_cbranch_execz .LBB359_17
; %bb.16:
	v_mov_b32_e32 v67, 0
	v_mov_b32_e32 v68, s3
	v_mad_u64_u32 v[68:69], s[10:11], s6, v68, v[66:67]
	v_mov_b32_e32 v66, s26
	s_load_dwordx4 s[12:15], s[4:5], 0x58
	s_mul_i32 s7, s7, s3
	v_mad_u64_u32 v[66:67], s[10:11], v68, s2, v[66:67]
	v_add_u32_e32 v69, s7, v69
	v_mov_b32_e32 v68, v67
	v_mad_u64_u32 v[68:69], s[10:11], v69, s2, v[68:69]
	v_mov_b32_e32 v67, v68
	v_lshlrev_b64 v[66:67], 2, v[66:67]
	s_waitcnt lgkmcnt(0)
	v_mov_b32_e32 v69, s15
	v_add_co_u32_e32 v68, vcc, s14, v66
	v_addc_co_u32_e32 v69, vcc, v69, v67, vcc
	global_store_dword v[68:69], v89, off
	v_mov_b32_e32 v68, s13
	v_add_co_u32_e32 v66, vcc, s12, v66
	v_addc_co_u32_e32 v67, vcc, v68, v67, vcc
	global_store_dword v[66:67], v90, off
.LBB359_17:
	s_or_b64 exec, exec, s[0:1]
	s_waitcnt lgkmcnt(0)
	s_barrier
	ds_read_b128 v[70:73], v87
	ds_read_b128 v[66:69], v87 offset:16
	s_waitcnt vmcnt(15) lgkmcnt(1)
	v_mfma_f32_16x16x16bf16_1k v[74:77], v[46:47], v[70:71], 0
	s_mov_b32 s1, 0
	v_cmp_gt_u32_e32 vcc, 64, v0
	v_mfma_f32_16x16x16bf16_1k v[46:49], v[48:49], v[72:73], v[74:77]
	s_waitcnt vmcnt(14) lgkmcnt(0)
	v_mfma_f32_16x16x16bf16_1k v[46:49], v[42:43], v[66:67], v[46:49]
	v_mfma_f32_16x16x16bf16_1k v[42:45], v[44:45], v[68:69], v[46:49]
	s_nop 7
	s_nop 1
	ds_read_b128 v[46:49], v87 offset:2048
	ds_read_b128 v[74:77], v87 offset:2064
	s_waitcnt vmcnt(13) lgkmcnt(1)
	v_mfma_f32_16x16x16bf16_1k v[42:45], v[38:39], v[46:47], v[42:45]
	v_mfma_f32_16x16x16bf16_1k v[38:41], v[40:41], v[48:49], v[42:45]
	s_waitcnt vmcnt(12) lgkmcnt(0)
	v_mfma_f32_16x16x16bf16_1k v[38:41], v[34:35], v[74:75], v[38:41]
	v_mfma_f32_16x16x16bf16_1k v[34:37], v[36:37], v[76:77], v[38:41]
	s_nop 7
	s_nop 1
	ds_read_b128 v[38:41], v87 offset:4096
	ds_read_b128 v[42:45], v87 offset:4112
	s_waitcnt vmcnt(11) lgkmcnt(1)
	v_mfma_f32_16x16x16bf16_1k v[34:37], v[30:31], v[38:39], v[34:37]
	v_mfma_f32_16x16x16bf16_1k v[30:33], v[32:33], v[40:41], v[34:37]
	s_waitcnt vmcnt(10) lgkmcnt(0)
	v_mfma_f32_16x16x16bf16_1k v[30:33], v[26:27], v[42:43], v[30:33]
	v_mfma_f32_16x16x16bf16_1k v[26:29], v[28:29], v[44:45], v[30:33]
	s_nop 7
	s_nop 1
	ds_read_b128 v[30:33], v87 offset:6144
	ds_read_b128 v[34:37], v87 offset:6160
	s_waitcnt lgkmcnt(0)
	s_barrier
	s_waitcnt vmcnt(9)
	v_mfma_f32_16x16x16bf16_1k v[26:29], v[22:23], v[30:31], v[26:29]
	v_mfma_f32_16x16x16bf16_1k v[22:25], v[24:25], v[32:33], v[26:29]
	s_waitcnt vmcnt(8)
	v_mfma_f32_16x16x16bf16_1k v[22:25], v[18:19], v[34:35], v[22:25]
	v_mfma_f32_16x16x16bf16_1k v[18:21], v[20:21], v[36:37], v[22:25]
	;; [unrolled: 3-line block ×4, first 2 shown]
	s_waitcnt vmcnt(5)
	v_mfma_f32_16x16x16bf16_1k v[2:5], v[14:15], v[46:47], v[2:5]
	s_nop 7
	v_bfe_u32 v6, v19, 16, 1
	v_bfe_u32 v7, v18, 16, 1
	v_add3_u32 v7, v18, v7, s8
	v_add3_u32 v6, v19, v6, s8
	v_perm_b32 v6, v6, v7, s9
	v_bfe_u32 v7, v21, 16, 1
	v_bfe_u32 v8, v20, 16, 1
	v_mfma_f32_16x16x16bf16_1k v[2:5], v[16:17], v[48:49], v[2:5]
	v_add3_u32 v8, v20, v8, s8
	v_add3_u32 v7, v21, v7, s8
	v_perm_b32 v7, v7, v8, s9
	s_waitcnt vmcnt(4)
	v_mfma_f32_16x16x16bf16_1k v[2:5], v[10:11], v[74:75], v[2:5]
	v_mfma_f32_16x16x16bf16_1k v[2:5], v[12:13], v[76:77], v[2:5]
	s_waitcnt vmcnt(3)
	v_mfma_f32_16x16x16bf16_1k v[2:5], v[54:55], v[38:39], v[2:5]
	v_mfma_f32_16x16x16bf16_1k v[2:5], v[56:57], v[40:41], v[2:5]
	;; [unrolled: 3-line block ×5, first 2 shown]
	s_nop 7
	s_nop 2
	v_bfe_u32 v8, v3, 16, 1
	v_bfe_u32 v9, v2, 16, 1
	v_add3_u32 v2, v2, v9, s8
	v_add3_u32 v3, v3, v8, s8
	v_perm_b32 v2, v3, v2, s9
	v_bfe_u32 v3, v5, 16, 1
	v_bfe_u32 v8, v4, 16, 1
	v_add3_u32 v4, v4, v8, s8
	v_add3_u32 v3, v5, v3, s8
	v_perm_b32 v3, v3, v4, s9
	ds_write2st64_b64 v82, v[6:7], v[2:3] offset1:1
	s_waitcnt lgkmcnt(0)
	s_barrier
	s_and_saveexec_b64 s[8:9], vcc
	s_cbranch_execz .LBB359_19
; %bb.18:
	v_lshlrev_b32_e32 v1, 6, v1
	v_lshlrev_b32_e32 v3, 4, v0
	v_lshl_or_b32 v0, v0, 10, v1
	v_lshlrev_b32_e32 v2, 5, v83
	v_and_b32_e32 v3, 16, v3
	v_and_b32_e32 v0, 0x1a00, v0
	v_or3_b32 v12, v0, v2, v3
	ds_read_b128 v[0:3], v12
	ds_read_b128 v[4:7], v12 offset:128
	ds_read_b128 v[8:11], v12 offset:256
	;; [unrolled: 1-line block ×3, first 2 shown]
	buffer_load_dword v18, off, s[44:47], 0 ; 4-byte Folded Reload
	buffer_load_dword v19, off, s[44:47], 0 offset:4 ; 4-byte Folded Reload
	s_load_dwordx2 s[4:5], s[4:5], 0x68
	s_lshl_b32 s7, s2, 7
	s_mul_i32 s0, s3, s6
	s_mul_hi_u32 s3, s0, s7
	s_mul_i32 s2, s0, s7
	s_lshl_b64 s[2:3], s[2:3], 1
	s_waitcnt lgkmcnt(0)
	s_add_u32 s2, s4, s2
	s_addc_u32 s3, s5, s3
	s_lshl_b32 s0, s26, 7
	s_lshl_b64 s[0:1], s[0:1], 1
	s_add_u32 s0, s2, s0
	s_addc_u32 s1, s3, s1
	v_mov_b32_e32 v16, s1
	v_or_b32_e32 v20, s27, v83
	s_waitcnt vmcnt(1)
	v_add_co_u32_e32 v18, vcc, s0, v18
	s_waitcnt vmcnt(0)
	v_addc_co_u32_e32 v19, vcc, v16, v19, vcc
	v_mad_u64_u32 v[16:17], s[0:1], v20, s7, 0
	v_lshlrev_b64 v[16:17], 1, v[16:17]
	v_add_co_u32_e32 v16, vcc, v18, v16
	v_addc_co_u32_e32 v17, vcc, v19, v17, vcc
	global_store_dwordx4 v[16:17], v[0:3], off
	s_nop 0
	v_or_b32_e32 v0, 4, v20
	v_mad_u64_u32 v[0:1], s[0:1], v0, s7, 0
	v_lshlrev_b64 v[0:1], 1, v[0:1]
	v_add_co_u32_e32 v0, vcc, v18, v0
	v_addc_co_u32_e32 v1, vcc, v19, v1, vcc
	global_store_dwordx4 v[0:1], v[4:7], off
	v_or_b32_e32 v0, 8, v20
	v_mad_u64_u32 v[0:1], s[0:1], v0, s7, 0
	v_lshlrev_b64 v[0:1], 1, v[0:1]
	v_add_co_u32_e32 v0, vcc, v18, v0
	v_addc_co_u32_e32 v1, vcc, v19, v1, vcc
	global_store_dwordx4 v[0:1], v[8:11], off
	v_or_b32_e32 v0, 12, v20
	v_mad_u64_u32 v[0:1], s[0:1], v0, s7, 0
	v_lshlrev_b64 v[0:1], 1, v[0:1]
	v_add_co_u32_e32 v0, vcc, v18, v0
	v_addc_co_u32_e32 v1, vcc, v19, v1, vcc
	global_store_dwordx4 v[0:1], v[12:15], off
.LBB359_19:
	s_endpgm
	.section	.rodata,"a",@progbits
	.p2align	6, 0x0
	.amdhsa_kernel _Z39paged_attention_ll4mi_QKV_mfma16_kernelI14__hip_bfloat16S0_LN4vllm18Fp8KVCacheDataTypeE0ES0_Li32ELi128ELi256ELb1ELi16EL8MFMAType0EEvPKT_PKT0_S9_ifPKiSB_SB_iPKfiiiPfSE_PS4_PT2_iSD_SD_
		.amdhsa_group_segment_fixed_size 8192
		.amdhsa_private_segment_fixed_size 12
		.amdhsa_kernarg_size 400
		.amdhsa_user_sgpr_count 6
		.amdhsa_user_sgpr_private_segment_buffer 1
		.amdhsa_user_sgpr_dispatch_ptr 0
		.amdhsa_user_sgpr_queue_ptr 0
		.amdhsa_user_sgpr_kernarg_segment_ptr 1
		.amdhsa_user_sgpr_dispatch_id 0
		.amdhsa_user_sgpr_flat_scratch_init 0
		.amdhsa_user_sgpr_kernarg_preload_length 0
		.amdhsa_user_sgpr_kernarg_preload_offset 0
		.amdhsa_user_sgpr_private_segment_size 0
		.amdhsa_uses_dynamic_stack 0
		.amdhsa_system_sgpr_private_segment_wavefront_offset 1
		.amdhsa_system_sgpr_workgroup_id_x 1
		.amdhsa_system_sgpr_workgroup_id_y 1
		.amdhsa_system_sgpr_workgroup_id_z 1
		.amdhsa_system_sgpr_workgroup_info 0
		.amdhsa_system_vgpr_workitem_id 0
		.amdhsa_next_free_vgpr 96
		.amdhsa_next_free_sgpr 48
		.amdhsa_accum_offset 96
		.amdhsa_reserve_vcc 1
		.amdhsa_reserve_flat_scratch 0
		.amdhsa_float_round_mode_32 0
		.amdhsa_float_round_mode_16_64 0
		.amdhsa_float_denorm_mode_32 3
		.amdhsa_float_denorm_mode_16_64 3
		.amdhsa_dx10_clamp 1
		.amdhsa_ieee_mode 1
		.amdhsa_fp16_overflow 0
		.amdhsa_tg_split 0
		.amdhsa_exception_fp_ieee_invalid_op 0
		.amdhsa_exception_fp_denorm_src 0
		.amdhsa_exception_fp_ieee_div_zero 0
		.amdhsa_exception_fp_ieee_overflow 0
		.amdhsa_exception_fp_ieee_underflow 0
		.amdhsa_exception_fp_ieee_inexact 0
		.amdhsa_exception_int_div_zero 0
	.end_amdhsa_kernel
	.section	.text._Z39paged_attention_ll4mi_QKV_mfma16_kernelI14__hip_bfloat16S0_LN4vllm18Fp8KVCacheDataTypeE0ES0_Li32ELi128ELi256ELb1ELi16EL8MFMAType0EEvPKT_PKT0_S9_ifPKiSB_SB_iPKfiiiPfSE_PS4_PT2_iSD_SD_,"axG",@progbits,_Z39paged_attention_ll4mi_QKV_mfma16_kernelI14__hip_bfloat16S0_LN4vllm18Fp8KVCacheDataTypeE0ES0_Li32ELi128ELi256ELb1ELi16EL8MFMAType0EEvPKT_PKT0_S9_ifPKiSB_SB_iPKfiiiPfSE_PS4_PT2_iSD_SD_,comdat
.Lfunc_end359:
	.size	_Z39paged_attention_ll4mi_QKV_mfma16_kernelI14__hip_bfloat16S0_LN4vllm18Fp8KVCacheDataTypeE0ES0_Li32ELi128ELi256ELb1ELi16EL8MFMAType0EEvPKT_PKT0_S9_ifPKiSB_SB_iPKfiiiPfSE_PS4_PT2_iSD_SD_, .Lfunc_end359-_Z39paged_attention_ll4mi_QKV_mfma16_kernelI14__hip_bfloat16S0_LN4vllm18Fp8KVCacheDataTypeE0ES0_Li32ELi128ELi256ELb1ELi16EL8MFMAType0EEvPKT_PKT0_S9_ifPKiSB_SB_iPKfiiiPfSE_PS4_PT2_iSD_SD_
                                        ; -- End function
	.section	.AMDGPU.csdata,"",@progbits
; Kernel info:
; codeLenInByte = 5396
; NumSgprs: 52
; NumVgprs: 96
; NumAgprs: 0
; TotalNumVgprs: 96
; ScratchSize: 12
; MemoryBound: 0
; FloatMode: 240
; IeeeMode: 1
; LDSByteSize: 8192 bytes/workgroup (compile time only)
; SGPRBlocks: 6
; VGPRBlocks: 11
; NumSGPRsForWavesPerEU: 52
; NumVGPRsForWavesPerEU: 96
; AccumOffset: 96
; Occupancy: 5
; WaveLimiterHint : 1
; COMPUTE_PGM_RSRC2:SCRATCH_EN: 1
; COMPUTE_PGM_RSRC2:USER_SGPR: 6
; COMPUTE_PGM_RSRC2:TRAP_HANDLER: 0
; COMPUTE_PGM_RSRC2:TGID_X_EN: 1
; COMPUTE_PGM_RSRC2:TGID_Y_EN: 1
; COMPUTE_PGM_RSRC2:TGID_Z_EN: 1
; COMPUTE_PGM_RSRC2:TIDIG_COMP_CNT: 0
; COMPUTE_PGM_RSRC3_GFX90A:ACCUM_OFFSET: 23
; COMPUTE_PGM_RSRC3_GFX90A:TG_SPLIT: 0
	.section	.text._Z39paged_attention_ll4mi_QKV_mfma16_kernelI14__hip_bfloat16S0_LN4vllm18Fp8KVCacheDataTypeE0ES0_Li32ELi128ELi256ELb1ELi1EL8MFMAType0EEvPKT_PKT0_S9_ifPKiSB_SB_iPKfiiiPfSE_PS4_PT2_iSD_SD_,"axG",@progbits,_Z39paged_attention_ll4mi_QKV_mfma16_kernelI14__hip_bfloat16S0_LN4vllm18Fp8KVCacheDataTypeE0ES0_Li32ELi128ELi256ELb1ELi1EL8MFMAType0EEvPKT_PKT0_S9_ifPKiSB_SB_iPKfiiiPfSE_PS4_PT2_iSD_SD_,comdat
	.protected	_Z39paged_attention_ll4mi_QKV_mfma16_kernelI14__hip_bfloat16S0_LN4vllm18Fp8KVCacheDataTypeE0ES0_Li32ELi128ELi256ELb1ELi1EL8MFMAType0EEvPKT_PKT0_S9_ifPKiSB_SB_iPKfiiiPfSE_PS4_PT2_iSD_SD_ ; -- Begin function _Z39paged_attention_ll4mi_QKV_mfma16_kernelI14__hip_bfloat16S0_LN4vllm18Fp8KVCacheDataTypeE0ES0_Li32ELi128ELi256ELb1ELi1EL8MFMAType0EEvPKT_PKT0_S9_ifPKiSB_SB_iPKfiiiPfSE_PS4_PT2_iSD_SD_
	.globl	_Z39paged_attention_ll4mi_QKV_mfma16_kernelI14__hip_bfloat16S0_LN4vllm18Fp8KVCacheDataTypeE0ES0_Li32ELi128ELi256ELb1ELi1EL8MFMAType0EEvPKT_PKT0_S9_ifPKiSB_SB_iPKfiiiPfSE_PS4_PT2_iSD_SD_
	.p2align	8
	.type	_Z39paged_attention_ll4mi_QKV_mfma16_kernelI14__hip_bfloat16S0_LN4vllm18Fp8KVCacheDataTypeE0ES0_Li32ELi128ELi256ELb1ELi1EL8MFMAType0EEvPKT_PKT0_S9_ifPKiSB_SB_iPKfiiiPfSE_PS4_PT2_iSD_SD_,@function
_Z39paged_attention_ll4mi_QKV_mfma16_kernelI14__hip_bfloat16S0_LN4vllm18Fp8KVCacheDataTypeE0ES0_Li32ELi128ELi256ELb1ELi1EL8MFMAType0EEvPKT_PKT0_S9_ifPKiSB_SB_iPKfiiiPfSE_PS4_PT2_iSD_SD_: ; @_Z39paged_attention_ll4mi_QKV_mfma16_kernelI14__hip_bfloat16S0_LN4vllm18Fp8KVCacheDataTypeE0ES0_Li32ELi128ELi256ELb1ELi1EL8MFMAType0EEvPKT_PKT0_S9_ifPKiSB_SB_iPKfiiiPfSE_PS4_PT2_iSD_SD_
; %bb.0:
	s_mov_b64 s[46:47], s[2:3]
	s_mov_b64 s[44:45], s[0:1]
	s_load_dwordx2 s[0:1], s[4:5], 0x30
	s_add_u32 s44, s44, s9
	s_addc_u32 s45, s45, 0
	s_mov_b32 s28, s7
	s_mov_b64 s[10:11], 0
	s_waitcnt lgkmcnt(0)
	s_cmp_lg_u64 s[0:1], 0
	s_cselect_b64 s[2:3], -1, 0
	s_and_b64 vcc, exec, s[2:3]
	s_cbranch_vccz .LBB360_7
; %bb.1:
	s_add_i32 s12, s6, 1
	s_mov_b32 s13, 0
	s_lshl_b64 s[14:15], s[12:13], 2
	s_add_u32 s14, s0, s14
	s_mov_b32 s7, s13
	s_addc_u32 s15, s1, s15
	s_lshl_b64 s[12:13], s[6:7], 2
	s_add_u32 s12, s0, s12
	s_addc_u32 s13, s1, s13
	s_load_dword s9, s[14:15], 0x0
	s_load_dword s16, s[12:13], 0x0
	s_waitcnt lgkmcnt(0)
	s_sub_i32 s9, s9, s16
	s_cmp_eq_u32 s9, 1
	s_cselect_b64 s[12:13], -1, 0
	s_andn2_b64 vcc, exec, s[10:11]
	s_cbranch_vccnz .LBB360_3
.LBB360_2:
	s_mov_b32 s7, 0
	s_mov_b64 s[12:13], -1
.LBB360_3:
	s_andn2_b64 vcc, exec, s[12:13]
	s_cbranch_vccnz .LBB360_21
; %bb.4:
	s_load_dwordx2 s[12:13], s[4:5], 0x28
	s_lshl_b64 s[10:11], s[6:7], 2
	s_waitcnt lgkmcnt(0)
	s_add_u32 s12, s12, s10
	s_addc_u32 s13, s13, s11
	s_load_dword s29, s[12:13], 0x0
	s_lshl_b32 s16, s28, 8
	s_waitcnt lgkmcnt(0)
	s_cmp_ge_i32 s16, s29
	s_cbranch_scc1 .LBB360_21
; %bb.5:
	s_add_i32 s14, s29, 31
	s_load_dwordx2 s[12:13], s[4:5], 0x20
	s_load_dword s9, s[4:5], 0x38
	s_ashr_i32 s15, s14, 31
	v_and_b32_e32 v1, 0xcf, v0
	s_lshr_b32 s15, s15, 27
	v_add_u32_e32 v1, s16, v1
	s_add_i32 s14, s14, s15
	v_ashrrev_i32_e32 v2, 31, v1
	s_ashr_i32 s19, s14, 5
	v_lshrrev_b32_e32 v6, 27, v2
	s_add_i32 s19, s19, -1
	v_add_u32_e32 v2, v1, v6
	s_waitcnt lgkmcnt(0)
	s_mul_i32 s14, s6, s9
	s_mov_b32 s15, 0
	v_ashrrev_i32_e32 v2, 5, v2
	v_mov_b32_e32 v7, s19
	v_cmp_gt_i32_e32 vcc, s29, v1
	s_lshl_b64 s[14:15], s[14:15], 2
	v_cndmask_b32_e32 v2, v7, v2, vcc
	s_add_u32 s17, s12, s14
	v_ashrrev_i32_e32 v3, 31, v2
	s_addc_u32 s18, s13, s15
	v_lshlrev_b64 v[2:3], 2, v[2:3]
	v_mov_b32_e32 v4, s18
	v_add_co_u32_e32 v2, vcc, s17, v2
	v_addc_co_u32_e32 v3, vcc, v4, v3, vcc
	v_or_b32_e32 v4, 16, v1
	v_add_u32_e32 v5, v4, v6
	v_ashrrev_i32_e32 v5, 5, v5
	v_cmp_gt_i32_e32 vcc, s29, v4
	v_cndmask_b32_e32 v4, v7, v5, vcc
	v_ashrrev_i32_e32 v5, 31, v4
	v_lshlrev_b64 v[4:5], 2, v[4:5]
	v_mov_b32_e32 v9, s18
	v_add_co_u32_e32 v8, vcc, s17, v4
	v_or_b32_e32 v4, 32, v1
	v_addc_co_u32_e32 v9, vcc, v9, v5, vcc
	v_add_u32_e32 v5, v4, v6
	v_ashrrev_i32_e32 v5, 5, v5
	v_cmp_gt_i32_e32 vcc, s29, v4
	v_cndmask_b32_e32 v4, v7, v5, vcc
	v_ashrrev_i32_e32 v5, 31, v4
	v_lshlrev_b64 v[4:5], 2, v[4:5]
	v_mov_b32_e32 v11, s18
	v_add_co_u32_e32 v10, vcc, s17, v4
	v_or_b32_e32 v1, 48, v1
	v_addc_co_u32_e32 v11, vcc, v11, v5, vcc
	v_add_u32_e32 v4, v1, v6
	v_ashrrev_i32_e32 v4, 5, v4
	v_cmp_gt_i32_e32 vcc, s29, v1
	v_cndmask_b32_e32 v4, v7, v4, vcc
	v_ashrrev_i32_e32 v5, 31, v4
	v_lshlrev_b64 v[4:5], 2, v[4:5]
	v_mov_b32_e32 v1, s18
	v_add_co_u32_e32 v12, vcc, s17, v4
	v_addc_co_u32_e32 v13, vcc, v1, v5, vcc
	global_load_dword v7, v[2:3], off
	global_load_dword v6, v[8:9], off
	;; [unrolled: 1-line block ×4, first 2 shown]
	s_andn2_b64 vcc, exec, s[2:3]
	s_cbranch_vccnz .LBB360_8
; %bb.6:
	s_add_u32 s0, s0, s10
	s_addc_u32 s1, s1, s11
	s_load_dword s9, s[0:1], 0x0
	s_branch .LBB360_9
.LBB360_7:
	s_mov_b64 s[12:13], 0
	s_branch .LBB360_2
.LBB360_8:
	s_mov_b32 s9, s6
.LBB360_9:
	s_load_dwordx2 s[12:13], s[4:5], 0x8
	s_load_dwordx4 s[0:3], s[4:5], 0x48
	v_lshrrev_b32_e32 v85, 6, v0
	v_bfe_u32 v1, v0, 4, 2
	v_lshl_or_b32 v3, v85, 2, v1
	v_and_b32_e32 v84, 15, v0
	v_lshlrev_b32_e32 v2, 3, v84
	v_cmp_ne_u32_e32 vcc, 0, v3
	s_and_saveexec_b64 s[10:11], vcc
	s_xor_b64 s[10:11], exec, s[10:11]
; %bb.10:
	v_mov_b32_e32 v3, 0
; %bb.11:
	s_or_saveexec_b64 s[14:15], s[10:11]
	s_load_dwordx2 s[10:11], s[4:5], 0x10
	s_xor_b64 exec, exec, s[14:15]
	s_cbranch_execz .LBB360_13
; %bb.12:
	s_load_dwordx2 s[20:21], s[4:5], 0x0
	s_waitcnt lgkmcnt(0)
	s_ashr_i32 s3, s0, 31
	s_mul_hi_u32 s22, s9, s0
	s_mul_i32 s3, s9, s3
	s_add_i32 s23, s22, s3
	s_mul_i32 s22, s9, s0
	s_lshl_b64 s[22:23], s[22:23], 1
	s_add_u32 s0, s20, s22
	s_addc_u32 s3, s21, s23
	s_lshl_b32 s20, s8, 7
	s_ashr_i32 s21, s20, 31
	s_lshl_b64 s[20:21], s[20:21], 1
	s_add_u32 s20, s0, s20
	s_addc_u32 s21, s3, s21
	v_lshlrev_b32_e32 v3, 1, v2
	global_load_dwordx4 v[8:11], v3, s[20:21]
	v_and_b32_e32 v12, 3, v0
	v_lshlrev_b32_e32 v13, 9, v84
	v_lshlrev_b32_e32 v12, 9, v12
	s_movk_i32 s0, 0x1800
	v_mov_b32_e32 v3, 0
	v_and_or_b32 v12, v13, s0, v12
	s_waitcnt vmcnt(0)
	ds_write_b128 v12, v[8:11]
.LBB360_13:
	s_or_b64 exec, exec, s[14:15]
	s_waitcnt lgkmcnt(0)
	s_mul_i32 s2, s8, s2
	s_mov_b32 s3, 0
	s_lshl_b64 s[2:3], s[2:3], 1
	s_add_u32 s0, s12, s2
	s_addc_u32 s9, s13, s3
	s_waitcnt vmcnt(3)
	v_mad_i64_i32 v[8:9], s[12:13], v7, s1, 0
	v_lshlrev_b64 v[8:9], 1, v[8:9]
	v_mov_b32_e32 v7, s9
	v_add_co_u32_e32 v8, vcc, s0, v8
	v_addc_co_u32_e32 v7, vcc, v7, v9, vcc
	v_lshlrev_b64 v[12:13], 1, v[2:3]
	v_add_co_u32_e32 v8, vcc, v8, v12
	v_lshlrev_b32_e32 v54, 9, v1
	v_addc_co_u32_e32 v7, vcc, v7, v13, vcc
	v_add_co_u32_e32 v2, vcc, v8, v54
	v_addc_co_u32_e32 v3, vcc, 0, v7, vcc
	v_or_b32_e32 v10, 0x1000, v54
	s_barrier
	global_load_dwordx4 v[38:41], v[2:3], off
	global_load_dwordx4 v[34:37], v[2:3], off offset:2048
	v_add_co_u32_e32 v2, vcc, v8, v10
	v_addc_co_u32_e32 v3, vcc, 0, v7, vcc
	v_or_b32_e32 v11, 0x1800, v54
	v_add_co_u32_e32 v8, vcc, v8, v11
	v_addc_co_u32_e32 v9, vcc, 0, v7, vcc
	global_load_dwordx4 v[46:49], v[2:3], off
	global_load_dwordx4 v[58:61], v[8:9], off
	s_waitcnt vmcnt(6)
	v_mad_i64_i32 v[2:3], s[12:13], v6, s1, 0
	v_lshlrev_b64 v[2:3], 1, v[2:3]
	v_mov_b32_e32 v6, s9
	v_add_co_u32_e32 v2, vcc, s0, v2
	v_addc_co_u32_e32 v3, vcc, v6, v3, vcc
	v_mov_b32_e32 v6, 0x100
	v_lshl_or_b32 v8, v84, 4, v6
	v_add_co_u32_e32 v6, vcc, v2, v8
	v_addc_co_u32_e32 v7, vcc, 0, v3, vcc
	v_add_co_u32_e32 v2, vcc, v6, v54
	v_addc_co_u32_e32 v3, vcc, 0, v7, vcc
	global_load_dwordx4 v[74:77], v[2:3], off
	global_load_dwordx4 v[70:73], v[2:3], off offset:2048
	v_add_co_u32_e32 v2, vcc, v6, v10
	v_addc_co_u32_e32 v3, vcc, 0, v7, vcc
	v_add_co_u32_e32 v6, vcc, v6, v11
	v_addc_co_u32_e32 v7, vcc, 0, v7, vcc
	global_load_dwordx4 v[78:81], v[2:3], off
	global_load_dwordx4 v[66:69], v[6:7], off
	s_waitcnt vmcnt(9)
	v_mad_i64_i32 v[2:3], s[12:13], v5, s1, 0
	v_lshlrev_b64 v[2:3], 1, v[2:3]
	v_mov_b32_e32 v5, s9
	v_add_co_u32_e32 v2, vcc, s0, v2
	v_addc_co_u32_e32 v3, vcc, v5, v3, vcc
	v_add_co_u32_e32 v5, vcc, v2, v12
	buffer_store_dword v12, off, s[44:47], 0 ; 4-byte Folded Spill
	s_nop 0
	buffer_store_dword v13, off, s[44:47], 0 offset:4 ; 4-byte Folded Spill
	v_and_b32_e32 v94, 63, v0
	v_mov_b32_e32 v87, 0
	v_addc_co_u32_e32 v7, vcc, v3, v13, vcc
	v_add_co_u32_e32 v2, vcc, v5, v54
	v_addc_co_u32_e32 v3, vcc, 0, v7, vcc
	global_load_dwordx4 v[62:65], v[2:3], off
	global_load_dwordx4 v[42:45], v[2:3], off offset:2048
	v_add_co_u32_e32 v2, vcc, v5, v10
	v_addc_co_u32_e32 v3, vcc, 0, v7, vcc
	v_add_co_u32_e32 v6, vcc, v5, v11
	v_addc_co_u32_e32 v7, vcc, 0, v7, vcc
	global_load_dwordx4 v[30:33], v[2:3], off
	global_load_dwordx4 v[22:25], v[6:7], off
	s_waitcnt vmcnt(14)
	v_mad_i64_i32 v[2:3], s[12:13], v4, s1, 0
	v_lshlrev_b64 v[2:3], 1, v[2:3]
	v_mov_b32_e32 v4, s9
	v_add_co_u32_e32 v2, vcc, s0, v2
	v_addc_co_u32_e32 v3, vcc, v4, v3, vcc
	v_add_co_u32_e32 v4, vcc, v2, v8
	v_addc_co_u32_e32 v5, vcc, 0, v3, vcc
	;; [unrolled: 2-line block ×3, first 2 shown]
	global_load_dwordx4 v[14:17], v[2:3], off
	global_load_dwordx4 v[6:9], v[2:3], off offset:2048
	v_add_co_u32_e32 v2, vcc, v4, v10
	v_addc_co_u32_e32 v3, vcc, 0, v5, vcc
	v_add_co_u32_e32 v10, vcc, v4, v11
	v_addc_co_u32_e32 v11, vcc, 0, v5, vcc
	global_load_dwordx4 v[2:5], v[2:3], off
	s_nop 0
	global_load_dwordx4 v[50:53], v[10:11], off
	ds_read_b128 v[26:29], v54
	ds_read_b128 v[18:21], v54 offset:2048
	ds_read_b128 v[10:13], v54 offset:4096
	;; [unrolled: 1-line block ×3, first 2 shown]
	v_cmp_eq_u32_e32 vcc, 0, v84
	s_and_saveexec_b64 s[12:13], vcc
	s_cbranch_execz .LBB360_15
; %bb.14:
	s_load_dwordx2 s[14:15], s[4:5], 0x40
	s_ashr_i32 s9, s8, 31
	s_lshl_b64 s[20:21], s[8:9], 2
	s_waitcnt lgkmcnt(0)
	s_add_u32 s14, s14, s20
	s_addc_u32 s15, s15, s21
	s_load_dword s0, s[14:15], 0x0
	s_waitcnt lgkmcnt(0)
	v_mov_b32_e32 v87, s0
.LBB360_15:
	s_or_b64 exec, exec, s[12:13]
	s_waitcnt vmcnt(17) lgkmcnt(3)
	v_mfma_f32_16x16x16bf16_1k v[88:91], v[38:39], v[26:27], 0
	s_ashr_i32 s0, s16, 31
	s_lshr_b32 s0, s0, 27
	s_add_u32 s2, s10, s2
	s_addc_u32 s3, s11, s3
	s_mov_b32 s9, 0xff7fffff
	v_mfma_f32_16x16x16bf16_1k v[38:41], v[40:41], v[28:29], v[88:91]
	s_waitcnt vmcnt(16) lgkmcnt(2)
	v_mfma_f32_16x16x16bf16_1k v[38:41], v[34:35], v[18:19], v[38:41]
	s_nop 4
	v_lshl_or_b32 v88, v85, 4, v84
	v_mfma_f32_16x16x16bf16_1k v[34:37], v[36:37], v[20:21], v[38:41]
	s_waitcnt vmcnt(15) lgkmcnt(1)
	v_mfma_f32_16x16x16bf16_1k v[34:37], v[46:47], v[10:11], v[34:37]
	v_and_or_b32 v46, v0, 48, s16
	s_nop 3
	v_add_u32_e32 v38, s0, v46
	v_ashrrev_i32_e32 v38, 5, v38
	v_mov_b32_e32 v47, s19
	v_cmp_gt_i32_e32 vcc, s29, v46
	v_cndmask_b32_e32 v38, v47, v38, vcc
	v_ashrrev_i32_e32 v39, 31, v38
	v_mfma_f32_16x16x16bf16_1k v[34:37], v[48:49], v[12:13], v[34:37]
	v_or_b32_e32 v40, 64, v46
	v_add_u32_e32 v41, s0, v40
	v_ashrrev_i32_e32 v41, 5, v41
	v_mov_b32_e32 v48, s18
	s_waitcnt vmcnt(14) lgkmcnt(0)
	v_mfma_f32_16x16x16bf16_1k v[34:37], v[58:59], v[54:55], v[34:37]
	v_mfma_f32_16x16x16bf16_1k v[58:61], v[60:61], v[56:57], v[34:37]
	s_waitcnt vmcnt(13)
	v_mfma_f32_16x16x16bf16_1k v[34:37], v[74:75], v[26:27], 0
	v_mfma_f32_16x16x16bf16_1k v[34:37], v[76:77], v[28:29], v[34:37]
	v_lshlrev_b32_e32 v76, 6, v88
	s_waitcnt vmcnt(12)
	v_mfma_f32_16x16x16bf16_1k v[34:37], v[70:71], v[18:19], v[34:37]
	v_mfma_f32_16x16x16bf16_1k v[34:37], v[72:73], v[20:21], v[34:37]
	s_waitcnt vmcnt(11)
	v_mfma_f32_16x16x16bf16_1k v[34:37], v[78:79], v[10:11], v[34:37]
	v_mfma_f32_16x16x16bf16_1k v[34:37], v[80:81], v[12:13], v[34:37]
	;; [unrolled: 3-line block ×3, first 2 shown]
	s_nop 7
	s_nop 1
	v_lshlrev_b64 v[34:35], 2, v[38:39]
	v_mov_b32_e32 v36, s18
	v_add_co_u32_e32 v38, vcc, s17, v34
	v_addc_co_u32_e32 v39, vcc, v36, v35, vcc
	v_cmp_gt_i32_e32 vcc, s29, v40
	v_cndmask_b32_e32 v40, v47, v41, vcc
	v_ashrrev_i32_e32 v41, 31, v40
	v_lshlrev_b64 v[40:41], 2, v[40:41]
	v_add_co_u32_e32 v40, vcc, s17, v40
	v_addc_co_u32_e32 v41, vcc, v48, v41, vcc
	global_load_dword v48, v[38:39], off
	s_nop 0
	global_load_dword v40, v[40:41], off
	v_or_b32_e32 v38, 0x80, v46
	v_add_u32_e32 v39, s0, v38
	v_ashrrev_i32_e32 v39, 5, v39
	v_cmp_gt_i32_e32 vcc, s29, v38
	v_cndmask_b32_e32 v38, v47, v39, vcc
	v_ashrrev_i32_e32 v39, 31, v38
	v_lshlrev_b64 v[38:39], 2, v[38:39]
	v_mov_b32_e32 v41, s18
	v_add_co_u32_e32 v38, vcc, s17, v38
	v_addc_co_u32_e32 v39, vcc, v41, v39, vcc
	s_waitcnt vmcnt(9)
	v_mfma_f32_16x16x16bf16_1k v[34:37], v[62:63], v[26:27], 0
	global_load_dword v62, v[38:39], off
	v_or_b32_e32 v38, 0xc0, v46
	v_add_u32_e32 v39, s0, v38
	v_ashrrev_i32_e32 v39, 5, v39
	v_cmp_gt_i32_e32 vcc, s29, v38
	v_cndmask_b32_e32 v38, v47, v39, vcc
	v_ashrrev_i32_e32 v39, 31, v38
	v_mfma_f32_16x16x16bf16_1k v[34:37], v[64:65], v[28:29], v[34:37]
	s_load_dword s0, s[4:5], 0x1c
	s_waitcnt lgkmcnt(0)
	v_pk_mul_f32 v[58:59], s[0:1], v[58:59] op_sel_hi:[0,1]
	s_waitcnt vmcnt(9)
	v_mfma_f32_16x16x16bf16_1k v[34:37], v[42:43], v[18:19], v[34:37]
	v_mfma_f32_16x16x16bf16_1k v[34:37], v[44:45], v[20:21], v[34:37]
	s_waitcnt vmcnt(8)
	v_mfma_f32_16x16x16bf16_1k v[34:37], v[30:31], v[10:11], v[34:37]
	v_lshlrev_b64 v[30:31], 2, v[38:39]
	v_mov_b32_e32 v39, s18
	v_add_co_u32_e32 v38, vcc, s17, v30
	v_addc_co_u32_e32 v39, vcc, v39, v31, vcc
	global_load_dword v63, v[38:39], off
	v_mfma_f32_16x16x16bf16_1k v[30:33], v[32:33], v[12:13], v[34:37]
	s_waitcnt vmcnt(8)
	v_mfma_f32_16x16x16bf16_1k v[30:33], v[22:23], v[54:55], v[30:33]
	s_nop 4
	v_and_b32_e32 v34, 16, v0
	v_lshlrev_b32_e32 v34, 1, v34
	v_mov_b32_e32 v22, s3
	v_add_co_u32_e32 v74, vcc, s2, v34
	v_addc_co_u32_e32 v75, vcc, 0, v22, vcc
	v_mfma_f32_16x16x16bf16_1k v[90:93], v[24:25], v[56:57], v[30:33]
	v_add_co_u32_e32 v77, vcc, v74, v76
	v_addc_co_u32_e32 v78, vcc, 0, v75, vcc
	s_waitcnt vmcnt(3)
	v_mad_i64_i32 v[22:23], s[2:3], v48, s1, 0
	v_lshlrev_b64 v[70:71], 1, v[22:23]
	v_mfma_f32_16x16x16bf16_1k v[22:25], v[14:15], v[26:27], 0
	v_add_co_u32_e32 v14, vcc, v77, v70
	v_addc_co_u32_e32 v15, vcc, v78, v71, vcc
	global_load_dwordx4 v[46:49], v[14:15], off
	global_load_dwordx4 v[42:45], v[14:15], off offset:16
	s_waitcnt vmcnt(4)
	v_mad_i64_i32 v[14:15], s[2:3], v40, s1, 0
	v_lshlrev_b64 v[72:73], 1, v[14:15]
	v_mfma_f32_16x16x16bf16_1k v[14:17], v[16:17], v[28:29], v[22:25]
	v_mfma_f32_16x16x16bf16_1k v[14:17], v[6:7], v[18:19], v[14:17]
	s_nop 5
	v_add_co_u32_e32 v22, vcc, v77, v72
	v_addc_co_u32_e32 v23, vcc, v78, v73, vcc
	global_load_dwordx4 v[38:41], v[22:23], off
	global_load_dwordx4 v[34:37], v[22:23], off offset:16
	s_waitcnt vmcnt(5)
	v_mad_i64_i32 v[22:23], s[2:3], v62, s1, 0
	v_lshlrev_b64 v[64:65], 1, v[22:23]
	v_add_co_u32_e32 v6, vcc, v77, v64
	v_addc_co_u32_e32 v7, vcc, v78, v65, vcc
	global_load_dwordx4 v[30:33], v[6:7], off
	global_load_dwordx4 v[26:29], v[6:7], off offset:16
	v_mfma_f32_16x16x16bf16_1k v[6:9], v[8:9], v[20:21], v[14:17]
	v_mfma_f32_16x16x16bf16_1k v[6:9], v[2:3], v[10:11], v[6:9]
	v_or_b32_e32 v2, 0x1000, v76
	s_waitcnt vmcnt(6)
	s_nop 3
	v_mad_i64_i32 v[14:15], s[2:3], v63, s1, 0
	v_mfma_f32_16x16x16bf16_1k v[10:13], v[4:5], v[12:13], v[6:9]
	v_lshlrev_b64 v[62:63], 1, v[14:15]
	v_add_co_u32_e32 v14, vcc, v77, v62
	v_addc_co_u32_e32 v15, vcc, v78, v63, vcc
	v_add_co_u32_e32 v89, vcc, v74, v2
	v_mfma_f32_16x16x16bf16_1k v[80:83], v[50:51], v[54:55], v[10:13]
	v_addc_co_u32_e32 v86, vcc, 0, v75, vcc
	v_pk_mul_f32 v[74:75], s[0:1], v[68:69] op_sel_hi:[0,1]
	v_pk_mul_f32 v[76:77], s[0:1], v[66:67] op_sel_hi:[0,1]
	;; [unrolled: 1-line block ×3, first 2 shown]
	v_add_co_u32_e32 v2, vcc, v89, v70
	v_mfma_f32_16x16x16bf16_1k v[50:53], v[52:53], v[56:57], v[80:83]
	v_addc_co_u32_e32 v3, vcc, v86, v71, vcc
	v_add_co_u32_e32 v70, vcc, v89, v72
	v_addc_co_u32_e32 v71, vcc, v86, v73, vcc
	global_load_dwordx4 v[22:25], v[14:15], off
	global_load_dwordx4 v[18:21], v[14:15], off offset:16
	s_nop 5
	v_pk_mul_f32 v[68:69], s[0:1], v[50:51] op_sel_hi:[0,1]
	v_and_b32_e32 v50, 0xc0, v0
	v_add_u32_e32 v50, s16, v50
	v_lshl_or_b32 v50, v1, 2, v50
	v_or_b32_e32 v51, 1, v50
	v_pk_mul_f32 v[66:67], s[0:1], v[52:53] op_sel_hi:[0,1]
	v_subrev_u32_e32 v52, s29, v51
	v_add_u32_e32 v54, 1, v52
	v_add_u32_e32 v55, 2, v52
	v_cvt_f32_i32_e32 v53, v52
	v_cvt_f32_i32_e32 v54, v54
	;; [unrolled: 1-line block ×3, first 2 shown]
	v_add_u32_e32 v56, 3, v52
	v_fma_f32 v58, v87, v53, v58
	v_fmac_f32_e32 v59, v87, v54
	v_fma_f32 v78, v87, v55, v78
	v_add_u32_e32 v53, 16, v52
	v_add_u32_e32 v54, 17, v52
	;; [unrolled: 1-line block ×3, first 2 shown]
	v_cvt_f32_i32_e32 v56, v56
	v_cvt_f32_i32_e32 v53, v53
	;; [unrolled: 1-line block ×4, first 2 shown]
	v_fmac_f32_e32 v79, v87, v56
	v_add_u32_e32 v56, 19, v52
	v_fma_f32 v76, v87, v53, v76
	v_fmac_f32_e32 v77, v87, v54
	v_fma_f32 v74, v87, v55, v74
	v_add_u32_e32 v53, 32, v52
	v_add_u32_e32 v54, 33, v52
	;; [unrolled: 1-line block ×3, first 2 shown]
	v_cvt_f32_i32_e32 v56, v56
	v_cvt_f32_i32_e32 v53, v53
	;; [unrolled: 1-line block ×4, first 2 shown]
	global_load_dwordx4 v[6:9], v[2:3], off
	s_nop 0
	global_load_dwordx4 v[2:5], v[2:3], off offset:16
	s_nop 0
	global_load_dwordx4 v[14:17], v[70:71], off
	global_load_dwordx4 v[10:13], v[70:71], off offset:16
	v_pk_mul_f32 v[70:71], s[0:1], v[92:93] op_sel_hi:[0,1]
	v_pk_mul_f32 v[72:73], s[0:1], v[90:91] op_sel_hi:[0,1]
	v_fmac_f32_e32 v75, v87, v56
	v_add_u32_e32 v56, 35, v52
	v_fma_f32 v72, v87, v53, v72
	v_fmac_f32_e32 v73, v87, v54
	v_fma_f32 v70, v87, v55, v70
	v_add_u32_e32 v53, 48, v52
	v_add_u32_e32 v54, 49, v52
	;; [unrolled: 1-line block ×4, first 2 shown]
	v_cvt_f32_i32_e32 v52, v52
	v_cvt_f32_i32_e32 v53, v53
	;; [unrolled: 1-line block ×3, first 2 shown]
	v_cmp_gt_i32_e64 s[30:31], s29, v50
	v_fmac_f32_e32 v67, v87, v52
	v_mov_b32_e32 v52, 0xff7fffff
	v_cmp_gt_i32_e64 s[34:35], s29, v51
	v_fma_f32 v68, v87, v53, v68
	v_cndmask_b32_e64 v53, v52, v58, s[30:31]
	v_cndmask_b32_e64 v51, v52, v59, s[34:35]
	v_fmac_f32_e32 v69, v87, v54
	v_max3_f32 v51, v53, s9, v51
	v_or_b32_e32 v53, 2, v50
	v_or_b32_e32 v54, 3, v50
	v_cmp_gt_i32_e64 s[36:37], s29, v53
	v_cmp_gt_i32_e64 s[38:39], s29, v54
	v_cndmask_b32_e64 v53, v52, v78, s[36:37]
	v_cndmask_b32_e64 v54, v52, v79, s[38:39]
	v_max3_f32 v51, v51, v53, v54
	v_or_b32_e32 v53, 16, v50
	v_or_b32_e32 v54, 17, v50
	v_cmp_gt_i32_e64 s[24:25], s29, v53
	v_cmp_gt_i32_e64 s[26:27], s29, v54
	v_cndmask_b32_e64 v53, v52, v76, s[24:25]
	v_cndmask_b32_e64 v54, v52, v77, s[26:27]
	;; [unrolled: 7-line block ×3, first 2 shown]
	v_cvt_f32_i32_e32 v56, v56
	v_max3_f32 v51, v51, v53, v54
	v_or_b32_e32 v53, 32, v50
	v_or_b32_e32 v54, 33, v50
	v_cmp_gt_i32_e64 s[16:17], s29, v53
	v_cmp_gt_i32_e64 s[18:19], s29, v54
	v_cndmask_b32_e64 v53, v52, v72, s[16:17]
	v_cndmask_b32_e64 v54, v52, v73, s[18:19]
	v_max3_f32 v51, v51, v53, v54
	v_or_b32_e32 v53, 34, v50
	v_or_b32_e32 v54, 35, v50
	v_fmac_f32_e32 v71, v87, v56
	v_cmp_gt_i32_e64 s[12:13], s29, v53
	v_cmp_gt_i32_e64 s[14:15], s29, v54
	v_cndmask_b32_e64 v53, v52, v70, s[12:13]
	v_cndmask_b32_e64 v54, v52, v71, s[14:15]
	v_cvt_f32_i32_e32 v55, v55
	v_max3_f32 v51, v51, v53, v54
	v_or_b32_e32 v53, 48, v50
	v_or_b32_e32 v54, 49, v50
	v_cmp_gt_i32_e64 s[2:3], s29, v53
	v_cmp_gt_i32_e64 s[10:11], s29, v54
	v_cndmask_b32_e64 v53, v52, v68, s[2:3]
	v_cndmask_b32_e64 v54, v52, v69, s[10:11]
	v_max3_f32 v51, v51, v53, v54
	v_or_b32_e32 v53, 50, v50
	v_or_b32_e32 v50, 51, v50
	v_fma_f32 v66, v87, v55, v66
	v_cmp_gt_i32_e32 vcc, s29, v53
	v_cmp_gt_i32_e64 s[0:1], s29, v50
	v_cndmask_b32_e32 v53, v52, v66, vcc
	v_cndmask_b32_e64 v50, v52, v67, s[0:1]
	v_max3_f32 v60, v51, v53, v50
	v_mbcnt_lo_u32_b32 v50, -1, 0
	v_mbcnt_hi_u32_b32 v61, -1, v50
	v_and_b32_e32 v50, 64, v61
	v_add_u32_e32 v80, 64, v50
	v_xor_b32_e32 v50, 32, v61
	v_cmp_lt_i32_e64 s[40:41], v50, v80
	v_cndmask_b32_e64 v50, v61, v50, s[40:41]
	v_lshlrev_b32_e32 v82, 2, v50
	ds_bpermute_b32 v81, v82, v60
	v_add_co_u32_e64 v50, s[40:41], v89, v64
	v_addc_co_u32_e64 v51, s[40:41], v86, v65, s[40:41]
	s_waitcnt lgkmcnt(0)
	v_max_f32_e32 v64, v81, v81
	v_max_f32_e32 v64, v60, v64
	v_xor_b32_e32 v60, 16, v61
	v_cmp_lt_i32_e64 s[40:41], v60, v80
	v_cndmask_b32_e64 v60, v61, v60, s[40:41]
	v_lshlrev_b32_e32 v83, 2, v60
	ds_bpermute_b32 v65, v83, v64
	v_add_co_u32_e64 v60, s[40:41], v89, v62
	v_addc_co_u32_e64 v61, s[40:41], v86, v63, s[40:41]
	s_waitcnt lgkmcnt(0)
	v_max_f32_e32 v62, v65, v65
	v_max_f32_e32 v87, v64, v62
	v_sub_f32_e32 v58, v58, v87
	v_mul_f32_e32 v58, 0x3fb8aa3b, v58
	v_exp_f32_e32 v80, v58
	v_sub_f32_e32 v58, v59, v87
	v_mul_f32_e32 v58, 0x3fb8aa3b, v58
	global_load_dwordx4 v[54:57], v[50:51], off
	s_nop 0
	global_load_dwordx4 v[50:53], v[50:51], off offset:16
	v_exp_f32_e32 v81, v58
	global_load_dwordx4 v[62:65], v[60:61], off
	s_nop 0
	global_load_dwordx4 v[58:61], v[60:61], off offset:16
	v_sub_f32_e32 v78, v78, v87
	v_mul_f32_e32 v78, 0x3fb8aa3b, v78
	v_sub_f32_e32 v79, v79, v87
	v_exp_f32_e32 v78, v78
	v_mul_f32_e32 v79, 0x3fb8aa3b, v79
	v_sub_f32_e32 v76, v76, v87
	v_exp_f32_e32 v79, v79
	v_mul_f32_e32 v76, 0x3fb8aa3b, v76
	v_sub_f32_e32 v77, v77, v87
	v_cndmask_b32_e64 v80, 0, v80, s[30:31]
	v_exp_f32_e32 v76, v76
	v_mul_f32_e32 v77, 0x3fb8aa3b, v77
	v_sub_f32_e32 v74, v74, v87
	v_add_f32_e32 v86, 0, v80
	v_cndmask_b32_e64 v81, 0, v81, s[34:35]
	v_exp_f32_e32 v77, v77
	v_mul_f32_e32 v74, 0x3fb8aa3b, v74
	v_sub_f32_e32 v75, v75, v87
	v_add_f32_e32 v86, v86, v81
	;; [unrolled: 5-line block ×10, first 2 shown]
	v_cndmask_b32_e64 v70, 0, v70, s[12:13]
	v_exp_f32_e32 v66, v66
	v_mul_f32_e32 v67, 0x3fb8aa3b, v67
	v_add_f32_e32 v86, v86, v70
	v_cndmask_b32_e64 v71, 0, v71, s[14:15]
	v_exp_f32_e32 v67, v67
	v_add_f32_e32 v86, v86, v71
	v_cndmask_b32_e64 v68, 0, v68, s[2:3]
	v_add_f32_e32 v86, v86, v68
	v_cndmask_b32_e64 v69, 0, v69, s[10:11]
	v_add_f32_e32 v86, v86, v69
	v_cndmask_b32_e32 v66, 0, v66, vcc
	v_add_f32_e32 v86, v86, v66
	v_cndmask_b32_e64 v67, 0, v67, s[0:1]
	v_add_f32_e32 v86, v86, v67
	ds_bpermute_b32 v82, v82, v86
	v_cmp_lt_u32_e64 s[0:1], 15, v94
	v_cmp_gt_u32_e32 vcc, 16, v94
	s_waitcnt lgkmcnt(0)
	s_barrier
	v_add_f32_e32 v89, v86, v82
	ds_bpermute_b32 v90, v83, v89
	s_waitcnt lgkmcnt(0)
	s_and_saveexec_b64 s[2:3], vcc
	s_cbranch_execz .LBB360_17
; %bb.16:
	v_add_f32_e32 v82, v89, v90
	v_lshlrev_b32_e32 v83, 2, v88
	ds_write2st64_b32 v83, v87, v82 offset1:1
.LBB360_17:
	s_or_b64 exec, exec, s[2:3]
	v_lshlrev_b32_e32 v87, 2, v84
	s_load_dwordx2 s[2:3], s[4:5], 0x94
	s_waitcnt lgkmcnt(0)
	s_barrier
	ds_read2_b32 v[82:83], v87 offset1:16
	ds_read2_b32 v[88:89], v87 offset0:32 offset1:48
	ds_read2_b32 v[90:91], v87 offset0:64 offset1:80
	s_mov_b32 s12, 0x7060302
	s_waitcnt lgkmcnt(2)
	v_max3_f32 v86, v82, s9, v83
	s_waitcnt lgkmcnt(1)
	v_max3_f32 v86, v86, v88, v89
	v_sub_f32_e32 v82, v82, v86
	v_mul_f32_e32 v82, 0x3fb8aa3b, v82
	v_exp_f32_e32 v92, v82
	v_sub_f32_e32 v82, v83, v86
	v_mul_f32_e32 v82, 0x3fb8aa3b, v82
	v_exp_f32_e32 v93, v82
	;; [unrolled: 3-line block ×3, first 2 shown]
	ds_read2_b32 v[82:83], v87 offset0:96 offset1:112
	v_sub_f32_e32 v87, v89, v86
	v_mul_f32_e32 v87, 0x3fb8aa3b, v87
	v_exp_f32_e32 v89, v87
	s_waitcnt lgkmcnt(1)
	v_fma_f32 v87, v92, v90, 0
	v_fmac_f32_e32 v87, v93, v91
	s_waitcnt lgkmcnt(0)
	v_fmac_f32_e32 v87, v94, v82
	v_fmac_f32_e32 v87, v89, v83
	v_add_f32_e32 v82, 0x358637bd, v87
	v_div_scale_f32 v83, s[10:11], v82, v82, 1.0
	v_rcp_f32_e32 v90, v83
	s_movk_i32 s9, 0x7fff
	v_mov_b32_e32 v88, 0
	v_fma_f32 v91, -v83, v90, 1.0
	v_fmac_f32_e32 v90, v91, v90
	v_div_scale_f32 v91, vcc, 1.0, v82, 1.0
	v_mul_f32_e32 v95, v91, v90
	v_fma_f32 v1, -v83, v95, v91
	v_fmac_f32_e32 v95, v1, v90
	v_fma_f32 v1, -v83, v95, v91
	v_div_fmas_f32 v1, v1, v90, v95
	v_cmp_eq_u32_e32 vcc, 1, v85
	v_div_fixup_f32 v1, v1, v82, 1.0
	v_cndmask_b32_e32 v82, v92, v93, vcc
	v_cmp_eq_u32_e32 vcc, 2, v85
	v_cndmask_b32_e32 v82, v82, v94, vcc
	v_cmp_eq_u32_e32 vcc, 3, v85
	v_cndmask_b32_e32 v82, v82, v89, vcc
	v_mul_f32_e32 v82, v82, v1
	v_pk_mul_f32 v[80:81], v[82:83], v[80:81] op_sel_hi:[0,1]
	v_pk_mul_f32 v[78:79], v[82:83], v[78:79] op_sel_hi:[0,1]
	v_bfe_u32 v1, v81, 16, 1
	v_bfe_u32 v83, v80, 16, 1
	v_add3_u32 v80, v80, v83, s9
	v_add3_u32 v1, v81, v1, s9
	v_perm_b32 v80, v1, v80, s12
	v_bfe_u32 v1, v79, 16, 1
	v_bfe_u32 v81, v78, 16, 1
	v_add3_u32 v78, v78, v81, s9
	v_add3_u32 v1, v79, v1, s9
	v_bfe_u32 v89, v0, 4, 2
	v_perm_b32 v81, v1, v78, s12
	v_lshlrev_b32_e32 v1, 3, v89
	v_lshlrev_b32_e32 v79, 5, v84
	;; [unrolled: 1-line block ×3, first 2 shown]
	v_pk_mul_f32 v[76:77], v[82:83], v[76:77] op_sel_hi:[0,1]
	v_or3_b32 v78, v78, v79, v1
	v_pk_mul_f32 v[74:75], v[82:83], v[74:75] op_sel_hi:[0,1]
	v_bfe_u32 v1, v77, 16, 1
	v_bfe_u32 v83, v76, 16, 1
	v_add3_u32 v76, v76, v83, s9
	v_add3_u32 v1, v77, v1, s9
	v_perm_b32 v76, v1, v76, s12
	v_bfe_u32 v1, v75, 16, 1
	v_bfe_u32 v77, v74, 16, 1
	v_add3_u32 v74, v74, v77, s9
	v_add3_u32 v1, v75, v1, s9
	v_pk_mul_f32 v[72:73], v[82:83], v[72:73] op_sel_hi:[0,1]
	v_perm_b32 v77, v1, v74, s12
	v_bfe_u32 v1, v73, 16, 1
	v_bfe_u32 v74, v72, 16, 1
	v_pk_mul_f32 v[70:71], v[82:83], v[70:71] op_sel_hi:[0,1]
	v_add3_u32 v72, v72, v74, s9
	v_add3_u32 v1, v73, v1, s9
	v_perm_b32 v72, v1, v72, s12
	v_bfe_u32 v1, v71, 16, 1
	v_bfe_u32 v73, v70, 16, 1
	v_add3_u32 v70, v70, v73, s9
	v_add3_u32 v1, v71, v1, s9
	v_pk_mul_f32 v[68:69], v[82:83], v[68:69] op_sel_hi:[0,1]
	v_perm_b32 v73, v1, v70, s12
	v_bfe_u32 v1, v69, 16, 1
	v_bfe_u32 v70, v68, 16, 1
	v_pk_mul_f32 v[66:67], v[82:83], v[66:67] op_sel_hi:[0,1]
	v_add3_u32 v68, v68, v70, s9
	v_add3_u32 v1, v69, v1, s9
	v_perm_b32 v68, v1, v68, s12
	v_bfe_u32 v1, v67, 16, 1
	v_bfe_u32 v69, v66, 16, 1
	v_add3_u32 v66, v66, v69, s9
	v_add3_u32 v1, v67, v1, s9
	v_perm_b32 v69, v1, v66, s12
	v_cmp_eq_u32_e32 vcc, 0, v0
	s_barrier
	ds_write2st64_b64 v78, v[80:81], v[76:77] offset1:1
	ds_write2st64_b64 v78, v[72:73], v[68:69] offset0:2 offset1:3
	s_and_saveexec_b64 s[10:11], vcc
	s_cbranch_execz .LBB360_19
; %bb.18:
	s_mul_i32 s7, s7, s3
	s_mul_hi_u32 s13, s6, s3
	s_add_i32 s13, s13, s7
	s_mul_i32 s7, s6, s3
	s_add_u32 s7, s7, s8
	s_addc_u32 s13, s13, 0
	s_load_dwordx4 s[16:19], s[4:5], 0x58
	s_mul_i32 s13, s13, s2
	s_mul_hi_u32 s14, s7, s2
	s_add_i32 s13, s14, s13
	s_mul_i32 s7, s7, s2
	s_add_u32 s14, s7, s28
	s_addc_u32 s15, s13, 0
	s_lshl_b64 s[14:15], s[14:15], 2
	s_waitcnt lgkmcnt(0)
	s_add_u32 s18, s18, s14
	s_addc_u32 s19, s19, s15
	s_add_u32 s14, s16, s14
	s_addc_u32 s15, s17, s15
	global_store_dword v88, v86, s[18:19]
	global_store_dword v88, v87, s[14:15]
.LBB360_19:
	s_or_b64 exec, exec, s[10:11]
	v_lshl_or_b32 v1, v89, 9, v79
	s_waitcnt lgkmcnt(0)
	s_barrier
	ds_read_b128 v[70:73], v1
	ds_read_b128 v[66:69], v1 offset:16
	s_waitcnt vmcnt(15) lgkmcnt(1)
	v_mfma_f32_16x16x16bf16_1k v[74:77], v[46:47], v[70:71], 0
	v_cmp_gt_u32_e32 vcc, 64, v0
	s_xor_b64 s[0:1], s[0:1], -1
	s_mov_b32 s7, 0
	s_and_b64 s[0:1], vcc, s[0:1]
	v_mfma_f32_16x16x16bf16_1k v[46:49], v[48:49], v[72:73], v[74:77]
	s_waitcnt vmcnt(14) lgkmcnt(0)
	v_mfma_f32_16x16x16bf16_1k v[46:49], v[42:43], v[66:67], v[46:49]
	v_mfma_f32_16x16x16bf16_1k v[42:45], v[44:45], v[68:69], v[46:49]
	s_nop 7
	s_nop 1
	ds_read_b128 v[46:49], v1 offset:2048
	ds_read_b128 v[74:77], v1 offset:2064
	s_waitcnt vmcnt(13) lgkmcnt(1)
	v_mfma_f32_16x16x16bf16_1k v[42:45], v[38:39], v[46:47], v[42:45]
	v_mfma_f32_16x16x16bf16_1k v[38:41], v[40:41], v[48:49], v[42:45]
	s_waitcnt vmcnt(12) lgkmcnt(0)
	v_mfma_f32_16x16x16bf16_1k v[38:41], v[34:35], v[74:75], v[38:41]
	v_mfma_f32_16x16x16bf16_1k v[34:37], v[36:37], v[76:77], v[38:41]
	s_nop 7
	s_nop 1
	ds_read_b128 v[38:41], v1 offset:4096
	ds_read_b128 v[42:45], v1 offset:4112
	s_waitcnt vmcnt(11) lgkmcnt(1)
	v_mfma_f32_16x16x16bf16_1k v[34:37], v[30:31], v[38:39], v[34:37]
	v_mfma_f32_16x16x16bf16_1k v[30:33], v[32:33], v[40:41], v[34:37]
	s_waitcnt vmcnt(10) lgkmcnt(0)
	v_mfma_f32_16x16x16bf16_1k v[30:33], v[26:27], v[42:43], v[30:33]
	v_mfma_f32_16x16x16bf16_1k v[26:29], v[28:29], v[44:45], v[30:33]
	s_nop 7
	s_nop 1
	ds_read_b128 v[30:33], v1 offset:6144
	ds_read_b128 v[34:37], v1 offset:6160
	s_waitcnt lgkmcnt(0)
	s_barrier
	s_waitcnt vmcnt(9)
	v_mfma_f32_16x16x16bf16_1k v[26:29], v[22:23], v[30:31], v[26:29]
	v_mfma_f32_16x16x16bf16_1k v[22:25], v[24:25], v[32:33], v[26:29]
	s_waitcnt vmcnt(8)
	v_mfma_f32_16x16x16bf16_1k v[22:25], v[18:19], v[34:35], v[22:25]
	v_mfma_f32_16x16x16bf16_1k v[18:21], v[20:21], v[36:37], v[22:25]
	s_waitcnt vmcnt(7)
	v_mfma_f32_16x16x16bf16_1k v[22:25], v[6:7], v[70:71], 0
	s_nop 7
	s_nop 0
	v_bfe_u32 v1, v19, 16, 1
	v_add3_u32 v1, v19, v1, s9
	v_mfma_f32_16x16x16bf16_1k v[6:9], v[8:9], v[72:73], v[22:25]
	s_waitcnt vmcnt(6)
	v_mfma_f32_16x16x16bf16_1k v[6:9], v[2:3], v[66:67], v[6:9]
	v_mfma_f32_16x16x16bf16_1k v[2:5], v[4:5], v[68:69], v[6:9]
	s_waitcnt vmcnt(5)
	v_mfma_f32_16x16x16bf16_1k v[2:5], v[14:15], v[46:47], v[2:5]
	s_nop 7
	v_bfe_u32 v6, v18, 16, 1
	v_add3_u32 v6, v18, v6, s9
	v_perm_b32 v6, v1, v6, s12
	v_bfe_u32 v1, v21, 16, 1
	v_bfe_u32 v7, v20, 16, 1
	v_add3_u32 v7, v20, v7, s9
	v_add3_u32 v1, v21, v1, s9
	v_mfma_f32_16x16x16bf16_1k v[2:5], v[16:17], v[48:49], v[2:5]
	v_perm_b32 v7, v1, v7, s12
	s_waitcnt vmcnt(4)
	v_mfma_f32_16x16x16bf16_1k v[2:5], v[10:11], v[74:75], v[2:5]
	v_mfma_f32_16x16x16bf16_1k v[2:5], v[12:13], v[76:77], v[2:5]
	s_waitcnt vmcnt(3)
	v_mfma_f32_16x16x16bf16_1k v[2:5], v[54:55], v[38:39], v[2:5]
	v_mfma_f32_16x16x16bf16_1k v[2:5], v[56:57], v[40:41], v[2:5]
	;; [unrolled: 3-line block ×5, first 2 shown]
	s_nop 7
	s_nop 2
	v_bfe_u32 v1, v3, 16, 1
	v_bfe_u32 v8, v2, 16, 1
	v_add3_u32 v2, v2, v8, s9
	v_add3_u32 v1, v3, v1, s9
	v_perm_b32 v2, v1, v2, s12
	v_bfe_u32 v1, v5, 16, 1
	v_bfe_u32 v3, v4, 16, 1
	v_add3_u32 v3, v4, v3, s9
	v_add3_u32 v1, v5, v1, s9
	v_perm_b32 v3, v1, v3, s12
	ds_write2st64_b64 v78, v[6:7], v[2:3] offset1:1
	s_waitcnt lgkmcnt(0)
	s_barrier
	s_and_saveexec_b64 s[10:11], s[0:1]
	s_cbranch_execz .LBB360_21
; %bb.20:
	v_lshlrev_b32_e32 v3, 6, v84
	v_lshlrev_b32_e32 v2, 4, v0
	v_lshl_or_b32 v0, v0, 10, v3
	v_lshlrev_b32_e32 v1, 5, v89
	v_and_b32_e32 v2, 16, v2
	v_and_b32_e32 v0, 0x1a00, v0
	v_or3_b32 v0, v0, v1, v2
	ds_read_b128 v[0:3], v0
	buffer_load_dword v6, off, s[44:47], 0  ; 4-byte Folded Reload
	buffer_load_dword v7, off, s[44:47], 0 offset:4 ; 4-byte Folded Reload
	s_load_dwordx2 s[0:1], s[4:5], 0x68
	s_mul_i32 s4, s3, s6
	s_lshl_b32 s5, s2, 7
	s_mul_hi_u32 s3, s4, s5
	s_mul_i32 s2, s4, s5
	s_lshl_b64 s[2:3], s[2:3], 1
	s_waitcnt lgkmcnt(0)
	s_add_u32 s2, s0, s2
	s_addc_u32 s3, s1, s3
	s_lshl_b32 s6, s28, 7
	s_lshl_b64 s[0:1], s[6:7], 1
	s_add_u32 s2, s2, s0
	s_addc_u32 s3, s3, s1
	s_mul_hi_u32 s1, s5, s8
	s_mul_i32 s0, s5, s8
	s_lshl_b64 s[0:1], s[0:1], 1
	s_add_u32 s0, s2, s0
	s_addc_u32 s1, s3, s1
	v_mov_b32_e32 v5, s1
	s_waitcnt vmcnt(1)
	v_add_co_u32_e32 v4, vcc, s0, v6
	s_waitcnt vmcnt(0)
	v_addc_co_u32_e32 v5, vcc, v5, v7, vcc
	global_store_dwordx4 v[4:5], v[0:3], off
.LBB360_21:
	s_endpgm
	.section	.rodata,"a",@progbits
	.p2align	6, 0x0
	.amdhsa_kernel _Z39paged_attention_ll4mi_QKV_mfma16_kernelI14__hip_bfloat16S0_LN4vllm18Fp8KVCacheDataTypeE0ES0_Li32ELi128ELi256ELb1ELi1EL8MFMAType0EEvPKT_PKT0_S9_ifPKiSB_SB_iPKfiiiPfSE_PS4_PT2_iSD_SD_
		.amdhsa_group_segment_fixed_size 8192
		.amdhsa_private_segment_fixed_size 12
		.amdhsa_kernarg_size 400
		.amdhsa_user_sgpr_count 6
		.amdhsa_user_sgpr_private_segment_buffer 1
		.amdhsa_user_sgpr_dispatch_ptr 0
		.amdhsa_user_sgpr_queue_ptr 0
		.amdhsa_user_sgpr_kernarg_segment_ptr 1
		.amdhsa_user_sgpr_dispatch_id 0
		.amdhsa_user_sgpr_flat_scratch_init 0
		.amdhsa_user_sgpr_kernarg_preload_length 0
		.amdhsa_user_sgpr_kernarg_preload_offset 0
		.amdhsa_user_sgpr_private_segment_size 0
		.amdhsa_uses_dynamic_stack 0
		.amdhsa_system_sgpr_private_segment_wavefront_offset 1
		.amdhsa_system_sgpr_workgroup_id_x 1
		.amdhsa_system_sgpr_workgroup_id_y 1
		.amdhsa_system_sgpr_workgroup_id_z 1
		.amdhsa_system_sgpr_workgroup_info 0
		.amdhsa_system_vgpr_workitem_id 0
		.amdhsa_next_free_vgpr 96
		.amdhsa_next_free_sgpr 48
		.amdhsa_accum_offset 96
		.amdhsa_reserve_vcc 1
		.amdhsa_reserve_flat_scratch 0
		.amdhsa_float_round_mode_32 0
		.amdhsa_float_round_mode_16_64 0
		.amdhsa_float_denorm_mode_32 3
		.amdhsa_float_denorm_mode_16_64 3
		.amdhsa_dx10_clamp 1
		.amdhsa_ieee_mode 1
		.amdhsa_fp16_overflow 0
		.amdhsa_tg_split 0
		.amdhsa_exception_fp_ieee_invalid_op 0
		.amdhsa_exception_fp_denorm_src 0
		.amdhsa_exception_fp_ieee_div_zero 0
		.amdhsa_exception_fp_ieee_overflow 0
		.amdhsa_exception_fp_ieee_underflow 0
		.amdhsa_exception_fp_ieee_inexact 0
		.amdhsa_exception_int_div_zero 0
	.end_amdhsa_kernel
	.section	.text._Z39paged_attention_ll4mi_QKV_mfma16_kernelI14__hip_bfloat16S0_LN4vllm18Fp8KVCacheDataTypeE0ES0_Li32ELi128ELi256ELb1ELi1EL8MFMAType0EEvPKT_PKT0_S9_ifPKiSB_SB_iPKfiiiPfSE_PS4_PT2_iSD_SD_,"axG",@progbits,_Z39paged_attention_ll4mi_QKV_mfma16_kernelI14__hip_bfloat16S0_LN4vllm18Fp8KVCacheDataTypeE0ES0_Li32ELi128ELi256ELb1ELi1EL8MFMAType0EEvPKT_PKT0_S9_ifPKiSB_SB_iPKfiiiPfSE_PS4_PT2_iSD_SD_,comdat
.Lfunc_end360:
	.size	_Z39paged_attention_ll4mi_QKV_mfma16_kernelI14__hip_bfloat16S0_LN4vllm18Fp8KVCacheDataTypeE0ES0_Li32ELi128ELi256ELb1ELi1EL8MFMAType0EEvPKT_PKT0_S9_ifPKiSB_SB_iPKfiiiPfSE_PS4_PT2_iSD_SD_, .Lfunc_end360-_Z39paged_attention_ll4mi_QKV_mfma16_kernelI14__hip_bfloat16S0_LN4vllm18Fp8KVCacheDataTypeE0ES0_Li32ELi128ELi256ELb1ELi1EL8MFMAType0EEvPKT_PKT0_S9_ifPKiSB_SB_iPKfiiiPfSE_PS4_PT2_iSD_SD_
                                        ; -- End function
	.section	.AMDGPU.csdata,"",@progbits
; Kernel info:
; codeLenInByte = 5240
; NumSgprs: 52
; NumVgprs: 96
; NumAgprs: 0
; TotalNumVgprs: 96
; ScratchSize: 12
; MemoryBound: 0
; FloatMode: 240
; IeeeMode: 1
; LDSByteSize: 8192 bytes/workgroup (compile time only)
; SGPRBlocks: 6
; VGPRBlocks: 11
; NumSGPRsForWavesPerEU: 52
; NumVGPRsForWavesPerEU: 96
; AccumOffset: 96
; Occupancy: 5
; WaveLimiterHint : 1
; COMPUTE_PGM_RSRC2:SCRATCH_EN: 1
; COMPUTE_PGM_RSRC2:USER_SGPR: 6
; COMPUTE_PGM_RSRC2:TRAP_HANDLER: 0
; COMPUTE_PGM_RSRC2:TGID_X_EN: 1
; COMPUTE_PGM_RSRC2:TGID_Y_EN: 1
; COMPUTE_PGM_RSRC2:TGID_Z_EN: 1
; COMPUTE_PGM_RSRC2:TIDIG_COMP_CNT: 0
; COMPUTE_PGM_RSRC3_GFX90A:ACCUM_OFFSET: 23
; COMPUTE_PGM_RSRC3_GFX90A:TG_SPLIT: 0
	.section	.text._Z39paged_attention_ll4mi_QKV_mfma16_kernelI14__hip_bfloat16S0_LN4vllm18Fp8KVCacheDataTypeE0ES0_Li32ELi128ELi256ELb1ELi2EL8MFMAType0EEvPKT_PKT0_S9_ifPKiSB_SB_iPKfiiiPfSE_PS4_PT2_iSD_SD_,"axG",@progbits,_Z39paged_attention_ll4mi_QKV_mfma16_kernelI14__hip_bfloat16S0_LN4vllm18Fp8KVCacheDataTypeE0ES0_Li32ELi128ELi256ELb1ELi2EL8MFMAType0EEvPKT_PKT0_S9_ifPKiSB_SB_iPKfiiiPfSE_PS4_PT2_iSD_SD_,comdat
	.protected	_Z39paged_attention_ll4mi_QKV_mfma16_kernelI14__hip_bfloat16S0_LN4vllm18Fp8KVCacheDataTypeE0ES0_Li32ELi128ELi256ELb1ELi2EL8MFMAType0EEvPKT_PKT0_S9_ifPKiSB_SB_iPKfiiiPfSE_PS4_PT2_iSD_SD_ ; -- Begin function _Z39paged_attention_ll4mi_QKV_mfma16_kernelI14__hip_bfloat16S0_LN4vllm18Fp8KVCacheDataTypeE0ES0_Li32ELi128ELi256ELb1ELi2EL8MFMAType0EEvPKT_PKT0_S9_ifPKiSB_SB_iPKfiiiPfSE_PS4_PT2_iSD_SD_
	.globl	_Z39paged_attention_ll4mi_QKV_mfma16_kernelI14__hip_bfloat16S0_LN4vllm18Fp8KVCacheDataTypeE0ES0_Li32ELi128ELi256ELb1ELi2EL8MFMAType0EEvPKT_PKT0_S9_ifPKiSB_SB_iPKfiiiPfSE_PS4_PT2_iSD_SD_
	.p2align	8
	.type	_Z39paged_attention_ll4mi_QKV_mfma16_kernelI14__hip_bfloat16S0_LN4vllm18Fp8KVCacheDataTypeE0ES0_Li32ELi128ELi256ELb1ELi2EL8MFMAType0EEvPKT_PKT0_S9_ifPKiSB_SB_iPKfiiiPfSE_PS4_PT2_iSD_SD_,@function
_Z39paged_attention_ll4mi_QKV_mfma16_kernelI14__hip_bfloat16S0_LN4vllm18Fp8KVCacheDataTypeE0ES0_Li32ELi128ELi256ELb1ELi2EL8MFMAType0EEvPKT_PKT0_S9_ifPKiSB_SB_iPKfiiiPfSE_PS4_PT2_iSD_SD_: ; @_Z39paged_attention_ll4mi_QKV_mfma16_kernelI14__hip_bfloat16S0_LN4vllm18Fp8KVCacheDataTypeE0ES0_Li32ELi128ELi256ELb1ELi2EL8MFMAType0EEvPKT_PKT0_S9_ifPKiSB_SB_iPKfiiiPfSE_PS4_PT2_iSD_SD_
; %bb.0:
	s_mov_b64 s[46:47], s[2:3]
	s_mov_b64 s[44:45], s[0:1]
	s_load_dwordx2 s[0:1], s[4:5], 0x30
	s_add_u32 s44, s44, s9
	s_addc_u32 s45, s45, 0
	s_mov_b32 s26, s7
	s_mov_b64 s[10:11], 0
	s_waitcnt lgkmcnt(0)
	s_cmp_lg_u64 s[0:1], 0
	s_cselect_b64 s[2:3], -1, 0
	s_and_b64 vcc, exec, s[2:3]
	s_cbranch_vccz .LBB361_7
; %bb.1:
	s_add_i32 s12, s6, 1
	s_mov_b32 s13, 0
	s_lshl_b64 s[14:15], s[12:13], 2
	s_add_u32 s14, s0, s14
	s_mov_b32 s7, s13
	s_addc_u32 s15, s1, s15
	s_lshl_b64 s[12:13], s[6:7], 2
	s_add_u32 s12, s0, s12
	s_addc_u32 s13, s1, s13
	s_load_dword s9, s[14:15], 0x0
	s_load_dword s16, s[12:13], 0x0
	s_waitcnt lgkmcnt(0)
	s_sub_i32 s9, s9, s16
	s_cmp_eq_u32 s9, 1
	s_cselect_b64 s[12:13], -1, 0
	s_andn2_b64 vcc, exec, s[10:11]
	s_cbranch_vccnz .LBB361_3
.LBB361_2:
	s_mov_b32 s7, 0
	s_mov_b64 s[12:13], -1
.LBB361_3:
	s_andn2_b64 vcc, exec, s[12:13]
	s_cbranch_vccnz .LBB361_21
; %bb.4:
	s_load_dwordx2 s[12:13], s[4:5], 0x28
	s_lshl_b64 s[10:11], s[6:7], 2
	s_waitcnt lgkmcnt(0)
	s_add_u32 s12, s12, s10
	s_addc_u32 s13, s13, s11
	s_load_dword s33, s[12:13], 0x0
	s_lshl_b32 s16, s26, 8
	s_waitcnt lgkmcnt(0)
	s_cmp_ge_i32 s16, s33
	s_cbranch_scc1 .LBB361_21
; %bb.5:
	s_add_i32 s14, s33, 31
	s_load_dwordx2 s[12:13], s[4:5], 0x20
	s_load_dword s9, s[4:5], 0x38
	s_ashr_i32 s15, s14, 31
	v_and_b32_e32 v1, 0xcf, v0
	s_lshr_b32 s15, s15, 27
	v_add_u32_e32 v1, s16, v1
	s_add_i32 s14, s14, s15
	v_ashrrev_i32_e32 v2, 31, v1
	s_ashr_i32 s19, s14, 5
	v_lshrrev_b32_e32 v6, 27, v2
	s_add_i32 s19, s19, -1
	v_add_u32_e32 v2, v1, v6
	s_waitcnt lgkmcnt(0)
	s_mul_i32 s14, s6, s9
	s_mov_b32 s15, 0
	v_ashrrev_i32_e32 v2, 5, v2
	v_mov_b32_e32 v7, s19
	v_cmp_gt_i32_e32 vcc, s33, v1
	s_lshl_b64 s[14:15], s[14:15], 2
	v_cndmask_b32_e32 v2, v7, v2, vcc
	s_add_u32 s17, s12, s14
	v_ashrrev_i32_e32 v3, 31, v2
	s_addc_u32 s18, s13, s15
	v_lshlrev_b64 v[2:3], 2, v[2:3]
	v_mov_b32_e32 v4, s18
	v_add_co_u32_e32 v2, vcc, s17, v2
	v_addc_co_u32_e32 v3, vcc, v4, v3, vcc
	v_or_b32_e32 v4, 16, v1
	v_add_u32_e32 v5, v4, v6
	v_ashrrev_i32_e32 v5, 5, v5
	v_cmp_gt_i32_e32 vcc, s33, v4
	v_cndmask_b32_e32 v4, v7, v5, vcc
	v_ashrrev_i32_e32 v5, 31, v4
	v_lshlrev_b64 v[4:5], 2, v[4:5]
	v_mov_b32_e32 v9, s18
	v_add_co_u32_e32 v8, vcc, s17, v4
	v_or_b32_e32 v4, 32, v1
	v_addc_co_u32_e32 v9, vcc, v9, v5, vcc
	v_add_u32_e32 v5, v4, v6
	v_ashrrev_i32_e32 v5, 5, v5
	v_cmp_gt_i32_e32 vcc, s33, v4
	v_cndmask_b32_e32 v4, v7, v5, vcc
	v_ashrrev_i32_e32 v5, 31, v4
	v_lshlrev_b64 v[4:5], 2, v[4:5]
	v_mov_b32_e32 v11, s18
	v_add_co_u32_e32 v10, vcc, s17, v4
	v_or_b32_e32 v1, 48, v1
	v_addc_co_u32_e32 v11, vcc, v11, v5, vcc
	v_add_u32_e32 v4, v1, v6
	v_ashrrev_i32_e32 v4, 5, v4
	v_cmp_gt_i32_e32 vcc, s33, v1
	v_cndmask_b32_e32 v4, v7, v4, vcc
	v_ashrrev_i32_e32 v5, 31, v4
	v_lshlrev_b64 v[4:5], 2, v[4:5]
	v_mov_b32_e32 v1, s18
	v_add_co_u32_e32 v12, vcc, s17, v4
	v_addc_co_u32_e32 v13, vcc, v1, v5, vcc
	global_load_dword v7, v[2:3], off
	global_load_dword v6, v[8:9], off
	;; [unrolled: 1-line block ×4, first 2 shown]
	s_andn2_b64 vcc, exec, s[2:3]
	s_cbranch_vccnz .LBB361_8
; %bb.6:
	s_add_u32 s0, s0, s10
	s_addc_u32 s1, s1, s11
	s_load_dword s9, s[0:1], 0x0
	s_branch .LBB361_9
.LBB361_7:
	s_mov_b64 s[12:13], 0
	s_branch .LBB361_2
.LBB361_8:
	s_mov_b32 s9, s6
.LBB361_9:
	s_load_dwordx2 s[12:13], s[4:5], 0x8
	s_load_dwordx4 s[0:3], s[4:5], 0x48
	v_lshrrev_b32_e32 v86, 6, v0
	v_bfe_u32 v1, v0, 4, 2
	v_lshl_or_b32 v8, v86, 2, v1
	v_and_b32_e32 v84, 15, v0
	v_lshlrev_b32_e32 v2, 3, v84
	v_cmp_lt_u32_e32 vcc, 1, v8
	s_and_saveexec_b64 s[10:11], vcc
	s_xor_b64 s[10:11], exec, s[10:11]
; %bb.10:
	v_mov_b32_e32 v3, 0
                                        ; implicit-def: $vgpr8
; %bb.11:
	s_or_saveexec_b64 s[14:15], s[10:11]
	s_load_dwordx2 s[10:11], s[4:5], 0x10
	s_lshl_b32 s27, s8, 1
	s_xor_b64 exec, exec, s[14:15]
	s_cbranch_execz .LBB361_13
; %bb.12:
	s_load_dwordx2 s[20:21], s[4:5], 0x0
	s_waitcnt lgkmcnt(0)
	s_ashr_i32 s3, s0, 31
	s_mul_hi_u32 s22, s9, s0
	s_mul_i32 s3, s9, s3
	s_add_i32 s23, s22, s3
	s_mul_i32 s22, s9, s0
	s_lshl_b64 s[22:23], s[22:23], 1
	v_add_lshl_u32 v10, v1, s27, 7
	s_add_u32 s0, s20, s22
	v_ashrrev_i32_e32 v11, 31, v10
	s_addc_u32 s3, s21, s23
	v_lshlrev_b64 v[10:11], 1, v[10:11]
	v_mov_b32_e32 v3, s3
	v_add_co_u32_e32 v9, vcc, s0, v10
	v_addc_co_u32_e32 v3, vcc, v3, v11, vcc
	v_lshlrev_b32_e32 v10, 1, v2
	v_add_co_u32_e32 v10, vcc, v9, v10
	v_addc_co_u32_e32 v11, vcc, 0, v3, vcc
	global_load_dwordx4 v[10:13], v[10:11], off
	v_and_b32_e32 v9, 3, v0
	v_lshlrev_b32_e32 v14, 9, v84
	v_lshlrev_b32_e32 v8, 5, v8
	;; [unrolled: 1-line block ×3, first 2 shown]
	v_and_b32_e32 v14, 0x1800, v14
	v_mov_b32_e32 v3, 0
	v_or3_b32 v8, v14, v9, v8
	s_waitcnt vmcnt(0)
	ds_write_b128 v8, v[10:13]
.LBB361_13:
	s_or_b64 exec, exec, s[14:15]
	s_waitcnt lgkmcnt(0)
	s_mul_i32 s2, s8, s2
	s_mov_b32 s3, 0
	s_lshl_b64 s[2:3], s[2:3], 1
	s_add_u32 s0, s12, s2
	s_waitcnt vmcnt(3)
	v_mad_i64_i32 v[8:9], s[8:9], v7, s1, 0
	s_addc_u32 s12, s13, s3
	v_lshlrev_b64 v[8:9], 1, v[8:9]
	v_mov_b32_e32 v7, s12
	v_add_co_u32_e32 v8, vcc, s0, v8
	v_addc_co_u32_e32 v7, vcc, v7, v9, vcc
	v_lshlrev_b64 v[14:15], 1, v[2:3]
	v_add_co_u32_e32 v8, vcc, v8, v14
	v_lshlrev_b32_e32 v12, 9, v1
	v_addc_co_u32_e32 v7, vcc, v7, v15, vcc
	v_add_co_u32_e32 v2, vcc, v8, v12
	v_addc_co_u32_e32 v3, vcc, 0, v7, vcc
	v_or_b32_e32 v10, 0x1000, v12
	s_barrier
	global_load_dwordx4 v[38:41], v[2:3], off
	global_load_dwordx4 v[34:37], v[2:3], off offset:2048
	v_add_co_u32_e32 v2, vcc, v8, v10
	v_addc_co_u32_e32 v3, vcc, 0, v7, vcc
	v_or_b32_e32 v11, 0x1800, v12
	v_add_co_u32_e32 v8, vcc, v8, v11
	v_addc_co_u32_e32 v9, vcc, 0, v7, vcc
	global_load_dwordx4 v[46:49], v[2:3], off
	global_load_dwordx4 v[58:61], v[8:9], off
	s_waitcnt vmcnt(6)
	v_mad_i64_i32 v[2:3], s[8:9], v6, s1, 0
	v_lshlrev_b64 v[2:3], 1, v[2:3]
	v_mov_b32_e32 v6, s12
	v_add_co_u32_e32 v2, vcc, s0, v2
	v_addc_co_u32_e32 v3, vcc, v6, v3, vcc
	v_mov_b32_e32 v6, 0x100
	v_lshl_or_b32 v8, v84, 4, v6
	v_add_co_u32_e32 v6, vcc, v2, v8
	v_addc_co_u32_e32 v7, vcc, 0, v3, vcc
	v_add_co_u32_e32 v2, vcc, v6, v12
	v_addc_co_u32_e32 v3, vcc, 0, v7, vcc
	global_load_dwordx4 v[74:77], v[2:3], off
	global_load_dwordx4 v[70:73], v[2:3], off offset:2048
	v_add_co_u32_e32 v2, vcc, v6, v10
	v_addc_co_u32_e32 v3, vcc, 0, v7, vcc
	v_add_co_u32_e32 v6, vcc, v6, v11
	v_addc_co_u32_e32 v7, vcc, 0, v7, vcc
	global_load_dwordx4 v[78:81], v[2:3], off
	global_load_dwordx4 v[66:69], v[6:7], off
	s_waitcnt vmcnt(9)
	v_mad_i64_i32 v[2:3], s[8:9], v5, s1, 0
	v_lshlrev_b64 v[2:3], 1, v[2:3]
	v_mov_b32_e32 v5, s12
	v_add_co_u32_e32 v2, vcc, s0, v2
	v_addc_co_u32_e32 v3, vcc, v5, v3, vcc
	v_add_co_u32_e32 v5, vcc, v2, v14
	buffer_store_dword v14, off, s[44:47], 0 ; 4-byte Folded Spill
	s_nop 0
	buffer_store_dword v15, off, s[44:47], 0 offset:4 ; 4-byte Folded Spill
	v_mov_b32_e32 v87, 0
	v_addc_co_u32_e32 v7, vcc, v3, v15, vcc
	v_add_co_u32_e32 v2, vcc, v5, v12
	v_addc_co_u32_e32 v3, vcc, 0, v7, vcc
	global_load_dwordx4 v[62:65], v[2:3], off
	global_load_dwordx4 v[42:45], v[2:3], off offset:2048
	v_add_co_u32_e32 v2, vcc, v5, v10
	v_addc_co_u32_e32 v3, vcc, 0, v7, vcc
	v_add_co_u32_e32 v6, vcc, v5, v11
	v_addc_co_u32_e32 v7, vcc, 0, v7, vcc
	global_load_dwordx4 v[26:29], v[2:3], off
	global_load_dwordx4 v[18:21], v[6:7], off
	s_waitcnt vmcnt(14)
	v_mad_i64_i32 v[2:3], s[8:9], v4, s1, 0
	v_lshlrev_b64 v[2:3], 1, v[2:3]
	v_mov_b32_e32 v4, s12
	v_add_co_u32_e32 v2, vcc, s0, v2
	v_addc_co_u32_e32 v3, vcc, v4, v3, vcc
	v_add_co_u32_e32 v4, vcc, v2, v8
	v_addc_co_u32_e32 v5, vcc, 0, v3, vcc
	;; [unrolled: 2-line block ×3, first 2 shown]
	global_load_dwordx4 v[14:17], v[2:3], off
	global_load_dwordx4 v[6:9], v[2:3], off offset:2048
	v_add_co_u32_e32 v2, vcc, v4, v10
	v_addc_co_u32_e32 v3, vcc, 0, v5, vcc
	v_add_co_u32_e32 v10, vcc, v4, v11
	v_addc_co_u32_e32 v11, vcc, 0, v5, vcc
	global_load_dwordx4 v[2:5], v[2:3], off
	s_nop 0
	global_load_dwordx4 v[50:53], v[10:11], off
	v_and_b32_e32 v10, 1, v0
	v_lshl_or_b32 v54, v10, 5, v12
	ds_read_b128 v[30:33], v54
	ds_read_b128 v[22:25], v54 offset:2048
	ds_read_b128 v[10:13], v54 offset:4096
	;; [unrolled: 1-line block ×3, first 2 shown]
	v_cmp_gt_u32_e32 vcc, 2, v84
	s_and_saveexec_b64 s[8:9], vcc
	s_cbranch_execz .LBB361_15
; %bb.14:
	s_load_dwordx2 s[12:13], s[4:5], 0x40
	v_or_b32_e32 v82, s27, v84
	v_ashrrev_i32_e32 v83, 31, v82
	v_lshlrev_b64 v[82:83], 2, v[82:83]
	s_waitcnt lgkmcnt(0)
	v_mov_b32_e32 v87, s13
	v_add_co_u32_e32 v82, vcc, s12, v82
	v_addc_co_u32_e32 v83, vcc, v87, v83, vcc
	global_load_dword v87, v[82:83], off
.LBB361_15:
	s_or_b64 exec, exec, s[8:9]
	s_waitcnt vmcnt(17) lgkmcnt(3)
	v_mfma_f32_16x16x16bf16_1k v[88:91], v[38:39], v[30:31], 0
	s_ashr_i32 s0, s16, 31
	s_lshr_b32 s0, s0, 27
	s_add_u32 s2, s10, s2
	s_addc_u32 s3, s11, s3
	s_mov_b32 s40, 0xff7fffff
	v_mfma_f32_16x16x16bf16_1k v[38:41], v[40:41], v[32:33], v[88:91]
	s_waitcnt vmcnt(16) lgkmcnt(2)
	v_mfma_f32_16x16x16bf16_1k v[38:41], v[34:35], v[22:23], v[38:41]
	s_nop 4
	v_lshl_or_b32 v88, v86, 4, v84
	v_mfma_f32_16x16x16bf16_1k v[34:37], v[36:37], v[24:25], v[38:41]
	s_waitcnt vmcnt(15) lgkmcnt(1)
	v_mfma_f32_16x16x16bf16_1k v[34:37], v[46:47], v[10:11], v[34:37]
	v_and_or_b32 v46, v0, 48, s16
	s_nop 3
	v_add_u32_e32 v38, s0, v46
	v_ashrrev_i32_e32 v38, 5, v38
	v_mov_b32_e32 v47, s19
	v_cmp_gt_i32_e32 vcc, s33, v46
	v_cndmask_b32_e32 v38, v47, v38, vcc
	v_ashrrev_i32_e32 v39, 31, v38
	v_mfma_f32_16x16x16bf16_1k v[34:37], v[48:49], v[12:13], v[34:37]
	v_or_b32_e32 v40, 64, v46
	v_add_u32_e32 v41, s0, v40
	v_ashrrev_i32_e32 v41, 5, v41
	v_mov_b32_e32 v48, s18
	s_waitcnt vmcnt(14) lgkmcnt(0)
	v_mfma_f32_16x16x16bf16_1k v[34:37], v[58:59], v[54:55], v[34:37]
	v_mfma_f32_16x16x16bf16_1k v[58:61], v[60:61], v[56:57], v[34:37]
	s_waitcnt vmcnt(13)
	v_mfma_f32_16x16x16bf16_1k v[34:37], v[74:75], v[30:31], 0
	v_mfma_f32_16x16x16bf16_1k v[34:37], v[76:77], v[32:33], v[34:37]
	v_lshlrev_b32_e32 v76, 6, v88
	s_waitcnt vmcnt(12)
	v_mfma_f32_16x16x16bf16_1k v[34:37], v[70:71], v[22:23], v[34:37]
	v_mfma_f32_16x16x16bf16_1k v[34:37], v[72:73], v[24:25], v[34:37]
	s_waitcnt vmcnt(11)
	v_mfma_f32_16x16x16bf16_1k v[34:37], v[78:79], v[10:11], v[34:37]
	v_mfma_f32_16x16x16bf16_1k v[34:37], v[80:81], v[12:13], v[34:37]
	;; [unrolled: 3-line block ×3, first 2 shown]
	s_nop 7
	s_nop 1
	v_lshlrev_b64 v[34:35], 2, v[38:39]
	v_mov_b32_e32 v36, s18
	v_add_co_u32_e32 v38, vcc, s17, v34
	v_addc_co_u32_e32 v39, vcc, v36, v35, vcc
	v_cmp_gt_i32_e32 vcc, s33, v40
	v_cndmask_b32_e32 v40, v47, v41, vcc
	v_ashrrev_i32_e32 v41, 31, v40
	v_lshlrev_b64 v[40:41], 2, v[40:41]
	v_add_co_u32_e32 v40, vcc, s17, v40
	v_addc_co_u32_e32 v41, vcc, v48, v41, vcc
	global_load_dword v48, v[38:39], off
	s_nop 0
	global_load_dword v40, v[40:41], off
	v_or_b32_e32 v38, 0x80, v46
	v_add_u32_e32 v39, s0, v38
	v_ashrrev_i32_e32 v39, 5, v39
	v_cmp_gt_i32_e32 vcc, s33, v38
	v_cndmask_b32_e32 v38, v47, v39, vcc
	v_ashrrev_i32_e32 v39, 31, v38
	v_lshlrev_b64 v[38:39], 2, v[38:39]
	v_mov_b32_e32 v41, s18
	v_add_co_u32_e32 v38, vcc, s17, v38
	v_addc_co_u32_e32 v39, vcc, v41, v39, vcc
	s_waitcnt vmcnt(9)
	v_mfma_f32_16x16x16bf16_1k v[34:37], v[62:63], v[30:31], 0
	global_load_dword v62, v[38:39], off
	v_or_b32_e32 v38, 0xc0, v46
	v_add_u32_e32 v39, s0, v38
	v_ashrrev_i32_e32 v39, 5, v39
	v_cmp_gt_i32_e32 vcc, s33, v38
	v_cndmask_b32_e32 v38, v47, v39, vcc
	v_ashrrev_i32_e32 v39, 31, v38
	v_mfma_f32_16x16x16bf16_1k v[34:37], v[64:65], v[32:33], v[34:37]
	s_load_dword s0, s[4:5], 0x1c
	s_waitcnt lgkmcnt(0)
	v_pk_mul_f32 v[58:59], s[0:1], v[58:59] op_sel_hi:[0,1]
	s_waitcnt vmcnt(9)
	v_mfma_f32_16x16x16bf16_1k v[34:37], v[42:43], v[22:23], v[34:37]
	v_mfma_f32_16x16x16bf16_1k v[34:37], v[44:45], v[24:25], v[34:37]
	s_waitcnt vmcnt(8)
	v_mfma_f32_16x16x16bf16_1k v[34:37], v[26:27], v[10:11], v[34:37]
	v_lshlrev_b64 v[26:27], 2, v[38:39]
	v_mov_b32_e32 v39, s18
	v_add_co_u32_e32 v38, vcc, s17, v26
	v_addc_co_u32_e32 v39, vcc, v39, v27, vcc
	global_load_dword v63, v[38:39], off
	v_mfma_f32_16x16x16bf16_1k v[26:29], v[28:29], v[12:13], v[34:37]
	s_waitcnt vmcnt(8)
	v_mfma_f32_16x16x16bf16_1k v[26:29], v[18:19], v[54:55], v[26:29]
	s_nop 4
	v_and_b32_e32 v34, 16, v0
	v_lshlrev_b32_e32 v34, 1, v34
	v_mov_b32_e32 v18, s3
	v_add_co_u32_e32 v74, vcc, s2, v34
	v_addc_co_u32_e32 v75, vcc, 0, v18, vcc
	v_mfma_f32_16x16x16bf16_1k v[90:93], v[20:21], v[56:57], v[26:29]
	v_add_co_u32_e32 v77, vcc, v74, v76
	v_addc_co_u32_e32 v78, vcc, 0, v75, vcc
	s_waitcnt vmcnt(3)
	v_mad_i64_i32 v[18:19], s[2:3], v48, s1, 0
	v_lshlrev_b64 v[70:71], 1, v[18:19]
	v_mfma_f32_16x16x16bf16_1k v[18:21], v[14:15], v[30:31], 0
	v_add_co_u32_e32 v14, vcc, v77, v70
	v_addc_co_u32_e32 v15, vcc, v78, v71, vcc
	global_load_dwordx4 v[46:49], v[14:15], off
	global_load_dwordx4 v[42:45], v[14:15], off offset:16
	s_waitcnt vmcnt(4)
	v_mad_i64_i32 v[14:15], s[2:3], v40, s1, 0
	v_lshlrev_b64 v[72:73], 1, v[14:15]
	v_mfma_f32_16x16x16bf16_1k v[14:17], v[16:17], v[32:33], v[18:21]
	v_mfma_f32_16x16x16bf16_1k v[14:17], v[6:7], v[22:23], v[14:17]
	s_nop 5
	v_add_co_u32_e32 v18, vcc, v77, v72
	v_addc_co_u32_e32 v19, vcc, v78, v73, vcc
	global_load_dwordx4 v[38:41], v[18:19], off
	global_load_dwordx4 v[34:37], v[18:19], off offset:16
	s_waitcnt vmcnt(5)
	v_mad_i64_i32 v[18:19], s[2:3], v62, s1, 0
	v_lshlrev_b64 v[64:65], 1, v[18:19]
	v_add_co_u32_e32 v6, vcc, v77, v64
	v_addc_co_u32_e32 v7, vcc, v78, v65, vcc
	global_load_dwordx4 v[30:33], v[6:7], off
	global_load_dwordx4 v[26:29], v[6:7], off offset:16
	v_mfma_f32_16x16x16bf16_1k v[6:9], v[8:9], v[24:25], v[14:17]
	v_mfma_f32_16x16x16bf16_1k v[6:9], v[2:3], v[10:11], v[6:9]
	v_or_b32_e32 v2, 0x1000, v76
	s_waitcnt vmcnt(6)
	s_nop 3
	v_mad_i64_i32 v[14:15], s[2:3], v63, s1, 0
	v_mfma_f32_16x16x16bf16_1k v[10:13], v[4:5], v[12:13], v[6:9]
	v_lshlrev_b64 v[62:63], 1, v[14:15]
	v_add_co_u32_e32 v14, vcc, v77, v62
	v_addc_co_u32_e32 v15, vcc, v78, v63, vcc
	v_add_co_u32_e32 v89, vcc, v74, v2
	v_mfma_f32_16x16x16bf16_1k v[80:83], v[50:51], v[54:55], v[10:13]
	v_addc_co_u32_e32 v85, vcc, 0, v75, vcc
	v_pk_mul_f32 v[74:75], s[0:1], v[68:69] op_sel_hi:[0,1]
	v_pk_mul_f32 v[76:77], s[0:1], v[66:67] op_sel_hi:[0,1]
	;; [unrolled: 1-line block ×3, first 2 shown]
	v_add_co_u32_e32 v2, vcc, v89, v70
	v_mfma_f32_16x16x16bf16_1k v[50:53], v[52:53], v[56:57], v[80:83]
	v_addc_co_u32_e32 v3, vcc, v85, v71, vcc
	v_add_co_u32_e32 v70, vcc, v89, v72
	v_addc_co_u32_e32 v71, vcc, v85, v73, vcc
	global_load_dwordx4 v[22:25], v[14:15], off
	global_load_dwordx4 v[18:21], v[14:15], off offset:16
	s_nop 5
	v_pk_mul_f32 v[68:69], s[0:1], v[50:51] op_sel_hi:[0,1]
	v_and_b32_e32 v50, 0xc0, v0
	v_add_u32_e32 v50, s16, v50
	v_lshl_or_b32 v50, v1, 2, v50
	v_or_b32_e32 v51, 1, v50
	v_pk_mul_f32 v[66:67], s[0:1], v[52:53] op_sel_hi:[0,1]
	v_subrev_u32_e32 v52, s33, v51
	v_add_u32_e32 v54, 1, v52
	v_add_u32_e32 v55, 2, v52
	v_cvt_f32_i32_e32 v53, v52
	v_cvt_f32_i32_e32 v54, v54
	v_cvt_f32_i32_e32 v55, v55
	v_add_u32_e32 v56, 3, v52
	v_fma_f32 v58, v87, v53, v58
	v_fmac_f32_e32 v59, v87, v54
	v_fma_f32 v78, v87, v55, v78
	v_add_u32_e32 v53, 16, v52
	v_add_u32_e32 v54, 17, v52
	;; [unrolled: 1-line block ×3, first 2 shown]
	v_cvt_f32_i32_e32 v56, v56
	v_cvt_f32_i32_e32 v53, v53
	v_cvt_f32_i32_e32 v54, v54
	v_cvt_f32_i32_e32 v55, v55
	v_fmac_f32_e32 v79, v87, v56
	v_add_u32_e32 v56, 19, v52
	v_fma_f32 v76, v87, v53, v76
	v_fmac_f32_e32 v77, v87, v54
	v_fma_f32 v74, v87, v55, v74
	v_add_u32_e32 v53, 32, v52
	v_add_u32_e32 v54, 33, v52
	v_add_u32_e32 v55, 34, v52
	v_cvt_f32_i32_e32 v56, v56
	v_cvt_f32_i32_e32 v53, v53
	;; [unrolled: 1-line block ×4, first 2 shown]
	global_load_dwordx4 v[6:9], v[2:3], off
	s_nop 0
	global_load_dwordx4 v[2:5], v[2:3], off offset:16
	s_nop 0
	global_load_dwordx4 v[14:17], v[70:71], off
	global_load_dwordx4 v[10:13], v[70:71], off offset:16
	v_pk_mul_f32 v[70:71], s[0:1], v[92:93] op_sel_hi:[0,1]
	v_pk_mul_f32 v[72:73], s[0:1], v[90:91] op_sel_hi:[0,1]
	v_fmac_f32_e32 v75, v87, v56
	v_add_u32_e32 v56, 35, v52
	v_fma_f32 v72, v87, v53, v72
	v_fmac_f32_e32 v73, v87, v54
	v_fma_f32 v70, v87, v55, v70
	v_add_u32_e32 v53, 48, v52
	v_add_u32_e32 v54, 49, v52
	;; [unrolled: 1-line block ×4, first 2 shown]
	v_cvt_f32_i32_e32 v52, v52
	v_cvt_f32_i32_e32 v53, v53
	;; [unrolled: 1-line block ×3, first 2 shown]
	v_cmp_gt_i32_e64 s[28:29], s33, v50
	v_fmac_f32_e32 v67, v87, v52
	v_mov_b32_e32 v52, 0xff7fffff
	v_cmp_gt_i32_e64 s[30:31], s33, v51
	v_fma_f32 v68, v87, v53, v68
	v_cndmask_b32_e64 v53, v52, v58, s[28:29]
	v_cndmask_b32_e64 v51, v52, v59, s[30:31]
	v_fmac_f32_e32 v69, v87, v54
	v_max3_f32 v51, v53, s40, v51
	v_or_b32_e32 v53, 2, v50
	v_or_b32_e32 v54, 3, v50
	v_cmp_gt_i32_e64 s[34:35], s33, v53
	v_cmp_gt_i32_e64 s[36:37], s33, v54
	v_cndmask_b32_e64 v53, v52, v78, s[34:35]
	v_cndmask_b32_e64 v54, v52, v79, s[36:37]
	v_max3_f32 v51, v51, v53, v54
	v_or_b32_e32 v53, 16, v50
	v_or_b32_e32 v54, 17, v50
	v_cmp_gt_i32_e64 s[22:23], s33, v53
	v_cmp_gt_i32_e64 s[24:25], s33, v54
	v_cndmask_b32_e64 v53, v52, v76, s[22:23]
	v_cndmask_b32_e64 v54, v52, v77, s[24:25]
	;; [unrolled: 7-line block ×3, first 2 shown]
	v_cvt_f32_i32_e32 v56, v56
	v_max3_f32 v51, v51, v53, v54
	v_or_b32_e32 v53, 32, v50
	v_or_b32_e32 v54, 33, v50
	v_cmp_gt_i32_e64 s[14:15], s33, v53
	v_cmp_gt_i32_e64 s[16:17], s33, v54
	v_cndmask_b32_e64 v53, v52, v72, s[14:15]
	v_cndmask_b32_e64 v54, v52, v73, s[16:17]
	v_max3_f32 v51, v51, v53, v54
	v_or_b32_e32 v53, 34, v50
	v_or_b32_e32 v54, 35, v50
	v_fmac_f32_e32 v71, v87, v56
	v_cmp_gt_i32_e64 s[10:11], s33, v53
	v_cmp_gt_i32_e64 s[12:13], s33, v54
	v_cndmask_b32_e64 v53, v52, v70, s[10:11]
	v_cndmask_b32_e64 v54, v52, v71, s[12:13]
	v_cvt_f32_i32_e32 v55, v55
	v_max3_f32 v51, v51, v53, v54
	v_or_b32_e32 v53, 48, v50
	v_or_b32_e32 v54, 49, v50
	v_cmp_gt_i32_e64 s[2:3], s33, v53
	v_cmp_gt_i32_e64 s[8:9], s33, v54
	v_cndmask_b32_e64 v53, v52, v68, s[2:3]
	v_cndmask_b32_e64 v54, v52, v69, s[8:9]
	v_max3_f32 v51, v51, v53, v54
	v_or_b32_e32 v53, 50, v50
	v_or_b32_e32 v50, 51, v50
	v_fma_f32 v66, v87, v55, v66
	v_cmp_gt_i32_e32 vcc, s33, v53
	v_cmp_gt_i32_e64 s[0:1], s33, v50
	v_cndmask_b32_e32 v53, v52, v66, vcc
	v_cndmask_b32_e64 v50, v52, v67, s[0:1]
	v_max3_f32 v60, v51, v53, v50
	v_mbcnt_lo_u32_b32 v50, -1, 0
	v_mbcnt_hi_u32_b32 v61, -1, v50
	v_and_b32_e32 v50, 64, v61
	v_add_u32_e32 v80, 64, v50
	v_xor_b32_e32 v50, 32, v61
	v_cmp_lt_i32_e64 s[38:39], v50, v80
	v_cndmask_b32_e64 v50, v61, v50, s[38:39]
	v_lshlrev_b32_e32 v82, 2, v50
	ds_bpermute_b32 v81, v82, v60
	v_add_co_u32_e64 v50, s[38:39], v89, v64
	v_addc_co_u32_e64 v51, s[38:39], v85, v65, s[38:39]
	s_waitcnt lgkmcnt(0)
	v_max_f32_e32 v64, v81, v81
	v_max_f32_e32 v64, v60, v64
	v_xor_b32_e32 v60, 16, v61
	v_cmp_lt_i32_e64 s[38:39], v60, v80
	v_cndmask_b32_e64 v60, v61, v60, s[38:39]
	v_lshlrev_b32_e32 v83, 2, v60
	ds_bpermute_b32 v65, v83, v64
	v_add_co_u32_e64 v60, s[38:39], v89, v62
	v_addc_co_u32_e64 v61, s[38:39], v85, v63, s[38:39]
	s_waitcnt lgkmcnt(0)
	v_max_f32_e32 v62, v65, v65
	v_max_f32_e32 v87, v64, v62
	v_sub_f32_e32 v58, v58, v87
	v_mul_f32_e32 v58, 0x3fb8aa3b, v58
	v_exp_f32_e32 v80, v58
	v_sub_f32_e32 v58, v59, v87
	v_mul_f32_e32 v58, 0x3fb8aa3b, v58
	global_load_dwordx4 v[54:57], v[50:51], off
	s_nop 0
	global_load_dwordx4 v[50:53], v[50:51], off offset:16
	v_exp_f32_e32 v81, v58
	global_load_dwordx4 v[62:65], v[60:61], off
	s_nop 0
	global_load_dwordx4 v[58:61], v[60:61], off offset:16
	v_sub_f32_e32 v78, v78, v87
	v_mul_f32_e32 v78, 0x3fb8aa3b, v78
	v_sub_f32_e32 v79, v79, v87
	v_exp_f32_e32 v78, v78
	v_mul_f32_e32 v79, 0x3fb8aa3b, v79
	v_sub_f32_e32 v76, v76, v87
	v_exp_f32_e32 v79, v79
	v_mul_f32_e32 v76, 0x3fb8aa3b, v76
	v_sub_f32_e32 v77, v77, v87
	v_cndmask_b32_e64 v80, 0, v80, s[28:29]
	v_exp_f32_e32 v76, v76
	v_mul_f32_e32 v77, 0x3fb8aa3b, v77
	v_sub_f32_e32 v74, v74, v87
	v_add_f32_e32 v85, 0, v80
	v_cndmask_b32_e64 v81, 0, v81, s[30:31]
	v_exp_f32_e32 v77, v77
	v_mul_f32_e32 v74, 0x3fb8aa3b, v74
	v_sub_f32_e32 v75, v75, v87
	v_add_f32_e32 v85, v85, v81
	;; [unrolled: 5-line block ×10, first 2 shown]
	v_cndmask_b32_e64 v70, 0, v70, s[10:11]
	v_exp_f32_e32 v66, v66
	v_mul_f32_e32 v67, 0x3fb8aa3b, v67
	v_add_f32_e32 v85, v85, v70
	v_cndmask_b32_e64 v71, 0, v71, s[12:13]
	v_exp_f32_e32 v67, v67
	v_add_f32_e32 v85, v85, v71
	v_cndmask_b32_e64 v68, 0, v68, s[2:3]
	v_add_f32_e32 v85, v85, v68
	v_cndmask_b32_e64 v69, 0, v69, s[8:9]
	v_add_f32_e32 v85, v85, v69
	v_cndmask_b32_e32 v66, 0, v66, vcc
	v_add_f32_e32 v85, v85, v66
	v_cndmask_b32_e64 v67, 0, v67, s[0:1]
	v_add_f32_e32 v85, v85, v67
	ds_bpermute_b32 v82, v82, v85
	s_load_dword s3, s[4:5], 0x98
	s_waitcnt lgkmcnt(0)
	s_barrier
	v_add_f32_e32 v89, v85, v82
	ds_bpermute_b32 v90, v83, v89
	v_and_b32_e32 v82, 63, v0
	v_cmp_gt_u32_e32 vcc, 16, v82
	s_and_saveexec_b64 s[0:1], vcc
	s_cbranch_execz .LBB361_17
; %bb.16:
	s_waitcnt lgkmcnt(0)
	v_add_f32_e32 v82, v89, v90
	v_lshlrev_b32_e32 v83, 2, v88
	ds_write2st64_b32 v83, v87, v82 offset1:1
.LBB361_17:
	s_or_b64 exec, exec, s[0:1]
	v_lshlrev_b32_e32 v85, 2, v84
	s_load_dword s2, s[4:5], 0x94
	s_waitcnt lgkmcnt(0)
	s_barrier
	ds_read2_b32 v[82:83], v85 offset1:16
	ds_read2_b32 v[88:89], v85 offset0:32 offset1:48
	ds_read2_b32 v[90:91], v85 offset0:64 offset1:80
	s_movk_i32 s9, 0x7fff
	s_mov_b32 s10, 0x7060302
	s_waitcnt lgkmcnt(2)
	v_max3_f32 v87, v82, s40, v83
	s_waitcnt lgkmcnt(1)
	v_max3_f32 v87, v87, v88, v89
	v_sub_f32_e32 v82, v82, v87
	v_mul_f32_e32 v82, 0x3fb8aa3b, v82
	v_exp_f32_e32 v92, v82
	v_sub_f32_e32 v82, v83, v87
	v_mul_f32_e32 v82, 0x3fb8aa3b, v82
	v_exp_f32_e32 v93, v82
	v_sub_f32_e32 v82, v88, v87
	v_mul_f32_e32 v82, 0x3fb8aa3b, v82
	v_exp_f32_e32 v94, v82
	ds_read2_b32 v[82:83], v85 offset0:96 offset1:112
	v_sub_f32_e32 v85, v89, v87
	v_mul_f32_e32 v85, 0x3fb8aa3b, v85
	v_exp_f32_e32 v85, v85
	s_waitcnt lgkmcnt(1)
	v_fma_f32 v88, v92, v90, 0
	v_fmac_f32_e32 v88, v93, v91
	s_waitcnt lgkmcnt(0)
	v_fmac_f32_e32 v88, v94, v82
	v_fmac_f32_e32 v88, v85, v83
	v_add_f32_e32 v82, 0x358637bd, v88
	v_div_scale_f32 v83, s[0:1], v82, v82, 1.0
	v_rcp_f32_e32 v89, v83
	s_lshl_b32 s8, s3, 1
	s_barrier
	v_fma_f32 v90, -v83, v89, 1.0
	v_fmac_f32_e32 v89, v90, v89
	v_div_scale_f32 v90, vcc, 1.0, v82, 1.0
	v_mul_f32_e32 v91, v90, v89
	v_fma_f32 v95, -v83, v91, v90
	v_fmac_f32_e32 v91, v95, v89
	v_fma_f32 v83, -v83, v91, v90
	v_div_fmas_f32 v83, v83, v89, v91
	v_cmp_eq_u32_e32 vcc, 1, v86
	v_div_fixup_f32 v82, v83, v82, 1.0
	v_cndmask_b32_e32 v83, v92, v93, vcc
	v_cmp_eq_u32_e32 vcc, 2, v86
	v_cndmask_b32_e32 v83, v83, v94, vcc
	v_cmp_eq_u32_e32 vcc, 3, v86
	v_cndmask_b32_e32 v83, v83, v85, vcc
	v_mul_f32_e32 v82, v83, v82
	v_pk_mul_f32 v[80:81], v[82:83], v[80:81] op_sel_hi:[0,1]
	v_pk_mul_f32 v[78:79], v[82:83], v[78:79] op_sel_hi:[0,1]
	v_bfe_u32 v83, v81, 16, 1
	v_bfe_u32 v85, v80, 16, 1
	v_add3_u32 v80, v80, v85, s9
	v_add3_u32 v81, v81, v83, s9
	v_perm_b32 v80, v81, v80, s10
	v_bfe_u32 v81, v79, 16, 1
	v_bfe_u32 v83, v78, 16, 1
	v_add3_u32 v78, v78, v83, s9
	v_add3_u32 v79, v79, v81, s9
	v_lshlrev_b32_e32 v83, 11, v86
	v_perm_b32 v81, v79, v78, s10
	v_lshlrev_b32_e32 v78, 3, v1
	v_lshlrev_b32_e32 v79, 5, v84
	v_pk_mul_f32 v[76:77], v[82:83], v[76:77] op_sel_hi:[0,1]
	v_or3_b32 v78, v83, v79, v78
	v_pk_mul_f32 v[74:75], v[82:83], v[74:75] op_sel_hi:[0,1]
	v_bfe_u32 v83, v77, 16, 1
	v_bfe_u32 v85, v76, 16, 1
	v_add3_u32 v76, v76, v85, s9
	v_add3_u32 v77, v77, v83, s9
	v_perm_b32 v76, v77, v76, s10
	v_bfe_u32 v77, v75, 16, 1
	v_bfe_u32 v83, v74, 16, 1
	v_add3_u32 v74, v74, v83, s9
	v_add3_u32 v75, v75, v77, s9
	v_pk_mul_f32 v[72:73], v[82:83], v[72:73] op_sel_hi:[0,1]
	v_perm_b32 v77, v75, v74, s10
	v_bfe_u32 v74, v73, 16, 1
	v_bfe_u32 v75, v72, 16, 1
	v_pk_mul_f32 v[70:71], v[82:83], v[70:71] op_sel_hi:[0,1]
	v_add3_u32 v72, v72, v75, s9
	v_add3_u32 v73, v73, v74, s9
	v_perm_b32 v72, v73, v72, s10
	v_bfe_u32 v73, v71, 16, 1
	v_bfe_u32 v74, v70, 16, 1
	v_add3_u32 v70, v70, v74, s9
	v_add3_u32 v71, v71, v73, s9
	v_pk_mul_f32 v[68:69], v[82:83], v[68:69] op_sel_hi:[0,1]
	v_perm_b32 v73, v71, v70, s10
	v_bfe_u32 v70, v69, 16, 1
	v_bfe_u32 v71, v68, 16, 1
	v_pk_mul_f32 v[66:67], v[82:83], v[66:67] op_sel_hi:[0,1]
	v_add3_u32 v68, v68, v71, s9
	v_add3_u32 v69, v69, v70, s9
	v_perm_b32 v68, v69, v68, s10
	v_bfe_u32 v69, v67, 16, 1
	v_bfe_u32 v70, v66, 16, 1
	v_add3_u32 v66, v66, v70, s9
	v_add3_u32 v67, v67, v69, s9
	v_perm_b32 v69, v67, v66, s10
	v_cmp_gt_u32_e32 vcc, 2, v0
	ds_write2st64_b64 v78, v[80:81], v[76:77] offset1:1
	ds_write2st64_b64 v78, v[72:73], v[68:69] offset0:2 offset1:3
	s_and_saveexec_b64 s[0:1], vcc
	s_cbranch_execz .LBB361_19
; %bb.18:
	v_or_b32_e32 v66, s27, v0
	v_mov_b32_e32 v67, 0
	v_mov_b32_e32 v68, s8
	v_mad_u64_u32 v[68:69], s[16:17], s6, v68, v[66:67]
	v_mov_b32_e32 v66, s26
	s_load_dwordx4 s[12:15], s[4:5], 0x58
	s_mul_i32 s3, s7, s8
	v_mad_u64_u32 v[66:67], s[16:17], v68, s2, v[66:67]
	v_add_u32_e32 v69, s3, v69
	v_mov_b32_e32 v68, v67
	v_mad_u64_u32 v[68:69], s[16:17], v69, s2, v[68:69]
	v_mov_b32_e32 v67, v68
	v_lshlrev_b64 v[66:67], 2, v[66:67]
	s_waitcnt lgkmcnt(0)
	v_mov_b32_e32 v69, s15
	v_add_co_u32_e32 v68, vcc, s14, v66
	v_addc_co_u32_e32 v69, vcc, v69, v67, vcc
	global_store_dword v[68:69], v87, off
	v_mov_b32_e32 v68, s13
	v_add_co_u32_e32 v66, vcc, s12, v66
	v_addc_co_u32_e32 v67, vcc, v68, v67, vcc
	global_store_dword v[66:67], v88, off
.LBB361_19:
	s_or_b64 exec, exec, s[0:1]
	v_lshl_or_b32 v79, v1, 9, v79
	s_waitcnt lgkmcnt(0)
	s_barrier
	ds_read_b128 v[70:73], v79
	ds_read_b128 v[66:69], v79 offset:16
	s_waitcnt vmcnt(15) lgkmcnt(1)
	v_mfma_f32_16x16x16bf16_1k v[74:77], v[46:47], v[70:71], 0
	v_cmp_gt_u32_e32 vcc, 64, v0
	s_mov_b32 s3, 0
	v_mfma_f32_16x16x16bf16_1k v[46:49], v[48:49], v[72:73], v[74:77]
	s_waitcnt vmcnt(14) lgkmcnt(0)
	v_mfma_f32_16x16x16bf16_1k v[46:49], v[42:43], v[66:67], v[46:49]
	v_mfma_f32_16x16x16bf16_1k v[42:45], v[44:45], v[68:69], v[46:49]
	s_nop 7
	s_nop 1
	ds_read_b128 v[46:49], v79 offset:2048
	ds_read_b128 v[74:77], v79 offset:2064
	s_waitcnt vmcnt(13) lgkmcnt(1)
	v_mfma_f32_16x16x16bf16_1k v[42:45], v[38:39], v[46:47], v[42:45]
	v_mfma_f32_16x16x16bf16_1k v[38:41], v[40:41], v[48:49], v[42:45]
	s_waitcnt vmcnt(12) lgkmcnt(0)
	v_mfma_f32_16x16x16bf16_1k v[38:41], v[34:35], v[74:75], v[38:41]
	v_mfma_f32_16x16x16bf16_1k v[34:37], v[36:37], v[76:77], v[38:41]
	s_nop 7
	s_nop 1
	ds_read_b128 v[38:41], v79 offset:4096
	ds_read_b128 v[42:45], v79 offset:4112
	s_waitcnt vmcnt(11) lgkmcnt(1)
	v_mfma_f32_16x16x16bf16_1k v[34:37], v[30:31], v[38:39], v[34:37]
	v_mfma_f32_16x16x16bf16_1k v[30:33], v[32:33], v[40:41], v[34:37]
	s_waitcnt vmcnt(10) lgkmcnt(0)
	v_mfma_f32_16x16x16bf16_1k v[30:33], v[26:27], v[42:43], v[30:33]
	v_mfma_f32_16x16x16bf16_1k v[26:29], v[28:29], v[44:45], v[30:33]
	s_nop 7
	s_nop 1
	ds_read_b128 v[30:33], v79 offset:6144
	ds_read_b128 v[34:37], v79 offset:6160
	s_waitcnt lgkmcnt(0)
	s_barrier
	s_waitcnt vmcnt(9)
	v_mfma_f32_16x16x16bf16_1k v[26:29], v[22:23], v[30:31], v[26:29]
	v_mfma_f32_16x16x16bf16_1k v[22:25], v[24:25], v[32:33], v[26:29]
	s_waitcnt vmcnt(8)
	v_mfma_f32_16x16x16bf16_1k v[22:25], v[18:19], v[34:35], v[22:25]
	v_mfma_f32_16x16x16bf16_1k v[18:21], v[20:21], v[36:37], v[22:25]
	;; [unrolled: 3-line block ×4, first 2 shown]
	s_waitcnt vmcnt(5)
	v_mfma_f32_16x16x16bf16_1k v[2:5], v[14:15], v[46:47], v[2:5]
	s_nop 7
	v_bfe_u32 v6, v19, 16, 1
	v_bfe_u32 v7, v18, 16, 1
	v_add3_u32 v7, v18, v7, s9
	v_add3_u32 v6, v19, v6, s9
	v_perm_b32 v6, v6, v7, s10
	v_bfe_u32 v7, v21, 16, 1
	v_bfe_u32 v8, v20, 16, 1
	v_mfma_f32_16x16x16bf16_1k v[2:5], v[16:17], v[48:49], v[2:5]
	v_add3_u32 v8, v20, v8, s9
	v_add3_u32 v7, v21, v7, s9
	v_perm_b32 v7, v7, v8, s10
	s_waitcnt vmcnt(4)
	v_mfma_f32_16x16x16bf16_1k v[2:5], v[10:11], v[74:75], v[2:5]
	v_mfma_f32_16x16x16bf16_1k v[2:5], v[12:13], v[76:77], v[2:5]
	s_waitcnt vmcnt(3)
	v_mfma_f32_16x16x16bf16_1k v[2:5], v[54:55], v[38:39], v[2:5]
	v_mfma_f32_16x16x16bf16_1k v[2:5], v[56:57], v[40:41], v[2:5]
	;; [unrolled: 3-line block ×5, first 2 shown]
	s_nop 7
	s_nop 2
	v_bfe_u32 v8, v3, 16, 1
	v_bfe_u32 v9, v2, 16, 1
	v_add3_u32 v2, v2, v9, s9
	v_add3_u32 v3, v3, v8, s9
	v_perm_b32 v2, v3, v2, s10
	v_bfe_u32 v3, v5, 16, 1
	v_bfe_u32 v8, v4, 16, 1
	v_add3_u32 v4, v4, v8, s9
	v_add3_u32 v3, v5, v3, s9
	v_perm_b32 v3, v3, v4, s10
	ds_write2st64_b64 v78, v[6:7], v[2:3] offset1:1
	v_and_b32_e32 v2, 63, v0
	v_cmp_gt_u32_e64 s[0:1], 32, v2
	s_and_b64 s[0:1], vcc, s[0:1]
	s_waitcnt lgkmcnt(0)
	s_barrier
	s_and_saveexec_b64 s[10:11], s[0:1]
	s_cbranch_execz .LBB361_21
; %bb.20:
	s_load_dwordx2 s[0:1], s[4:5], 0x68
	s_mul_i32 s4, s8, s6
	s_lshl_b32 s6, s2, 7
	s_mul_hi_u32 s5, s4, s6
	s_mul_i32 s4, s4, s6
	v_lshlrev_b32_e32 v4, 6, v84
	s_lshl_b64 s[4:5], s[4:5], 1
	v_lshlrev_b32_e32 v3, 4, v0
	v_lshl_or_b32 v0, v0, 10, v4
	s_waitcnt lgkmcnt(0)
	s_add_u32 s4, s0, s4
	v_lshlrev_b32_e32 v2, 5, v1
	v_and_b32_e32 v3, 16, v3
	v_and_b32_e32 v0, 0x1a00, v0
	s_addc_u32 s5, s1, s5
	s_lshl_b32 s2, s26, 7
	v_or3_b32 v0, v0, v2, v3
	s_lshl_b64 s[0:1], s[2:3], 1
	ds_read_b128 v[2:5], v0
	s_add_u32 s2, s4, s0
	v_or_b32_e32 v0, s27, v1
	s_addc_u32 s3, s5, s1
	v_mad_u64_u32 v[0:1], s[0:1], s6, v0, 0
	v_lshlrev_b64 v[0:1], 1, v[0:1]
	v_mov_b32_e32 v6, s3
	v_add_co_u32_e32 v0, vcc, s2, v0
	v_addc_co_u32_e32 v1, vcc, v6, v1, vcc
	buffer_load_dword v6, off, s[44:47], 0  ; 4-byte Folded Reload
	buffer_load_dword v7, off, s[44:47], 0 offset:4 ; 4-byte Folded Reload
	s_waitcnt vmcnt(1)
	v_add_co_u32_e32 v0, vcc, v0, v6
	s_waitcnt vmcnt(0)
	v_addc_co_u32_e32 v1, vcc, v1, v7, vcc
	s_waitcnt lgkmcnt(0)
	global_store_dwordx4 v[0:1], v[2:5], off
.LBB361_21:
	s_endpgm
	.section	.rodata,"a",@progbits
	.p2align	6, 0x0
	.amdhsa_kernel _Z39paged_attention_ll4mi_QKV_mfma16_kernelI14__hip_bfloat16S0_LN4vllm18Fp8KVCacheDataTypeE0ES0_Li32ELi128ELi256ELb1ELi2EL8MFMAType0EEvPKT_PKT0_S9_ifPKiSB_SB_iPKfiiiPfSE_PS4_PT2_iSD_SD_
		.amdhsa_group_segment_fixed_size 8192
		.amdhsa_private_segment_fixed_size 12
		.amdhsa_kernarg_size 400
		.amdhsa_user_sgpr_count 6
		.amdhsa_user_sgpr_private_segment_buffer 1
		.amdhsa_user_sgpr_dispatch_ptr 0
		.amdhsa_user_sgpr_queue_ptr 0
		.amdhsa_user_sgpr_kernarg_segment_ptr 1
		.amdhsa_user_sgpr_dispatch_id 0
		.amdhsa_user_sgpr_flat_scratch_init 0
		.amdhsa_user_sgpr_kernarg_preload_length 0
		.amdhsa_user_sgpr_kernarg_preload_offset 0
		.amdhsa_user_sgpr_private_segment_size 0
		.amdhsa_uses_dynamic_stack 0
		.amdhsa_system_sgpr_private_segment_wavefront_offset 1
		.amdhsa_system_sgpr_workgroup_id_x 1
		.amdhsa_system_sgpr_workgroup_id_y 1
		.amdhsa_system_sgpr_workgroup_id_z 1
		.amdhsa_system_sgpr_workgroup_info 0
		.amdhsa_system_vgpr_workitem_id 0
		.amdhsa_next_free_vgpr 96
		.amdhsa_next_free_sgpr 48
		.amdhsa_accum_offset 96
		.amdhsa_reserve_vcc 1
		.amdhsa_reserve_flat_scratch 0
		.amdhsa_float_round_mode_32 0
		.amdhsa_float_round_mode_16_64 0
		.amdhsa_float_denorm_mode_32 3
		.amdhsa_float_denorm_mode_16_64 3
		.amdhsa_dx10_clamp 1
		.amdhsa_ieee_mode 1
		.amdhsa_fp16_overflow 0
		.amdhsa_tg_split 0
		.amdhsa_exception_fp_ieee_invalid_op 0
		.amdhsa_exception_fp_denorm_src 0
		.amdhsa_exception_fp_ieee_div_zero 0
		.amdhsa_exception_fp_ieee_overflow 0
		.amdhsa_exception_fp_ieee_underflow 0
		.amdhsa_exception_fp_ieee_inexact 0
		.amdhsa_exception_int_div_zero 0
	.end_amdhsa_kernel
	.section	.text._Z39paged_attention_ll4mi_QKV_mfma16_kernelI14__hip_bfloat16S0_LN4vllm18Fp8KVCacheDataTypeE0ES0_Li32ELi128ELi256ELb1ELi2EL8MFMAType0EEvPKT_PKT0_S9_ifPKiSB_SB_iPKfiiiPfSE_PS4_PT2_iSD_SD_,"axG",@progbits,_Z39paged_attention_ll4mi_QKV_mfma16_kernelI14__hip_bfloat16S0_LN4vllm18Fp8KVCacheDataTypeE0ES0_Li32ELi128ELi256ELb1ELi2EL8MFMAType0EEvPKT_PKT0_S9_ifPKiSB_SB_iPKfiiiPfSE_PS4_PT2_iSD_SD_,comdat
.Lfunc_end361:
	.size	_Z39paged_attention_ll4mi_QKV_mfma16_kernelI14__hip_bfloat16S0_LN4vllm18Fp8KVCacheDataTypeE0ES0_Li32ELi128ELi256ELb1ELi2EL8MFMAType0EEvPKT_PKT0_S9_ifPKiSB_SB_iPKfiiiPfSE_PS4_PT2_iSD_SD_, .Lfunc_end361-_Z39paged_attention_ll4mi_QKV_mfma16_kernelI14__hip_bfloat16S0_LN4vllm18Fp8KVCacheDataTypeE0ES0_Li32ELi128ELi256ELb1ELi2EL8MFMAType0EEvPKT_PKT0_S9_ifPKiSB_SB_iPKfiiiPfSE_PS4_PT2_iSD_SD_
                                        ; -- End function
	.section	.AMDGPU.csdata,"",@progbits
; Kernel info:
; codeLenInByte = 5312
; NumSgprs: 52
; NumVgprs: 96
; NumAgprs: 0
; TotalNumVgprs: 96
; ScratchSize: 12
; MemoryBound: 0
; FloatMode: 240
; IeeeMode: 1
; LDSByteSize: 8192 bytes/workgroup (compile time only)
; SGPRBlocks: 6
; VGPRBlocks: 11
; NumSGPRsForWavesPerEU: 52
; NumVGPRsForWavesPerEU: 96
; AccumOffset: 96
; Occupancy: 5
; WaveLimiterHint : 1
; COMPUTE_PGM_RSRC2:SCRATCH_EN: 1
; COMPUTE_PGM_RSRC2:USER_SGPR: 6
; COMPUTE_PGM_RSRC2:TRAP_HANDLER: 0
; COMPUTE_PGM_RSRC2:TGID_X_EN: 1
; COMPUTE_PGM_RSRC2:TGID_Y_EN: 1
; COMPUTE_PGM_RSRC2:TGID_Z_EN: 1
; COMPUTE_PGM_RSRC2:TIDIG_COMP_CNT: 0
; COMPUTE_PGM_RSRC3_GFX90A:ACCUM_OFFSET: 23
; COMPUTE_PGM_RSRC3_GFX90A:TG_SPLIT: 0
	.section	.text._Z39paged_attention_ll4mi_QKV_mfma16_kernelI14__hip_bfloat16S0_LN4vllm18Fp8KVCacheDataTypeE0ES0_Li32ELi128ELi256ELb1ELi3EL8MFMAType0EEvPKT_PKT0_S9_ifPKiSB_SB_iPKfiiiPfSE_PS4_PT2_iSD_SD_,"axG",@progbits,_Z39paged_attention_ll4mi_QKV_mfma16_kernelI14__hip_bfloat16S0_LN4vllm18Fp8KVCacheDataTypeE0ES0_Li32ELi128ELi256ELb1ELi3EL8MFMAType0EEvPKT_PKT0_S9_ifPKiSB_SB_iPKfiiiPfSE_PS4_PT2_iSD_SD_,comdat
	.protected	_Z39paged_attention_ll4mi_QKV_mfma16_kernelI14__hip_bfloat16S0_LN4vllm18Fp8KVCacheDataTypeE0ES0_Li32ELi128ELi256ELb1ELi3EL8MFMAType0EEvPKT_PKT0_S9_ifPKiSB_SB_iPKfiiiPfSE_PS4_PT2_iSD_SD_ ; -- Begin function _Z39paged_attention_ll4mi_QKV_mfma16_kernelI14__hip_bfloat16S0_LN4vllm18Fp8KVCacheDataTypeE0ES0_Li32ELi128ELi256ELb1ELi3EL8MFMAType0EEvPKT_PKT0_S9_ifPKiSB_SB_iPKfiiiPfSE_PS4_PT2_iSD_SD_
	.globl	_Z39paged_attention_ll4mi_QKV_mfma16_kernelI14__hip_bfloat16S0_LN4vllm18Fp8KVCacheDataTypeE0ES0_Li32ELi128ELi256ELb1ELi3EL8MFMAType0EEvPKT_PKT0_S9_ifPKiSB_SB_iPKfiiiPfSE_PS4_PT2_iSD_SD_
	.p2align	8
	.type	_Z39paged_attention_ll4mi_QKV_mfma16_kernelI14__hip_bfloat16S0_LN4vllm18Fp8KVCacheDataTypeE0ES0_Li32ELi128ELi256ELb1ELi3EL8MFMAType0EEvPKT_PKT0_S9_ifPKiSB_SB_iPKfiiiPfSE_PS4_PT2_iSD_SD_,@function
_Z39paged_attention_ll4mi_QKV_mfma16_kernelI14__hip_bfloat16S0_LN4vllm18Fp8KVCacheDataTypeE0ES0_Li32ELi128ELi256ELb1ELi3EL8MFMAType0EEvPKT_PKT0_S9_ifPKiSB_SB_iPKfiiiPfSE_PS4_PT2_iSD_SD_: ; @_Z39paged_attention_ll4mi_QKV_mfma16_kernelI14__hip_bfloat16S0_LN4vllm18Fp8KVCacheDataTypeE0ES0_Li32ELi128ELi256ELb1ELi3EL8MFMAType0EEvPKT_PKT0_S9_ifPKiSB_SB_iPKfiiiPfSE_PS4_PT2_iSD_SD_
; %bb.0:
	s_mov_b64 s[46:47], s[2:3]
	s_mov_b64 s[44:45], s[0:1]
	s_load_dwordx2 s[0:1], s[4:5], 0x30
	s_add_u32 s44, s44, s9
	s_addc_u32 s45, s45, 0
	s_mov_b32 s26, s7
	s_mov_b64 s[10:11], 0
	s_waitcnt lgkmcnt(0)
	s_cmp_lg_u64 s[0:1], 0
	s_cselect_b64 s[2:3], -1, 0
	s_and_b64 vcc, exec, s[2:3]
	s_cbranch_vccz .LBB362_7
; %bb.1:
	s_add_i32 s12, s6, 1
	s_mov_b32 s13, 0
	s_lshl_b64 s[14:15], s[12:13], 2
	s_add_u32 s14, s0, s14
	s_mov_b32 s7, s13
	s_addc_u32 s15, s1, s15
	s_lshl_b64 s[12:13], s[6:7], 2
	s_add_u32 s12, s0, s12
	s_addc_u32 s13, s1, s13
	s_load_dword s9, s[14:15], 0x0
	s_load_dword s16, s[12:13], 0x0
	s_waitcnt lgkmcnt(0)
	s_sub_i32 s9, s9, s16
	s_cmp_eq_u32 s9, 1
	s_cselect_b64 s[12:13], -1, 0
	s_andn2_b64 vcc, exec, s[10:11]
	s_cbranch_vccnz .LBB362_3
.LBB362_2:
	s_mov_b32 s7, 0
	s_mov_b64 s[12:13], -1
.LBB362_3:
	s_andn2_b64 vcc, exec, s[12:13]
	s_cbranch_vccnz .LBB362_21
; %bb.4:
	s_load_dwordx2 s[12:13], s[4:5], 0x28
	s_lshl_b64 s[10:11], s[6:7], 2
	s_waitcnt lgkmcnt(0)
	s_add_u32 s12, s12, s10
	s_addc_u32 s13, s13, s11
	s_load_dword s33, s[12:13], 0x0
	s_lshl_b32 s16, s26, 8
	s_waitcnt lgkmcnt(0)
	s_cmp_ge_i32 s16, s33
	s_cbranch_scc1 .LBB362_21
; %bb.5:
	s_add_i32 s14, s33, 31
	s_load_dwordx2 s[12:13], s[4:5], 0x20
	s_load_dword s9, s[4:5], 0x38
	s_ashr_i32 s15, s14, 31
	v_and_b32_e32 v1, 0xcf, v0
	s_lshr_b32 s15, s15, 27
	v_add_u32_e32 v1, s16, v1
	s_add_i32 s14, s14, s15
	v_ashrrev_i32_e32 v2, 31, v1
	s_ashr_i32 s19, s14, 5
	v_lshrrev_b32_e32 v6, 27, v2
	s_add_i32 s19, s19, -1
	v_add_u32_e32 v2, v1, v6
	s_waitcnt lgkmcnt(0)
	s_mul_i32 s14, s6, s9
	s_mov_b32 s15, 0
	v_ashrrev_i32_e32 v2, 5, v2
	v_mov_b32_e32 v7, s19
	v_cmp_gt_i32_e32 vcc, s33, v1
	s_lshl_b64 s[14:15], s[14:15], 2
	v_cndmask_b32_e32 v2, v7, v2, vcc
	s_add_u32 s17, s12, s14
	v_ashrrev_i32_e32 v3, 31, v2
	s_addc_u32 s18, s13, s15
	v_lshlrev_b64 v[2:3], 2, v[2:3]
	v_mov_b32_e32 v4, s18
	v_add_co_u32_e32 v2, vcc, s17, v2
	v_addc_co_u32_e32 v3, vcc, v4, v3, vcc
	v_or_b32_e32 v4, 16, v1
	v_add_u32_e32 v5, v4, v6
	v_ashrrev_i32_e32 v5, 5, v5
	v_cmp_gt_i32_e32 vcc, s33, v4
	v_cndmask_b32_e32 v4, v7, v5, vcc
	v_ashrrev_i32_e32 v5, 31, v4
	v_lshlrev_b64 v[4:5], 2, v[4:5]
	v_mov_b32_e32 v9, s18
	v_add_co_u32_e32 v8, vcc, s17, v4
	v_or_b32_e32 v4, 32, v1
	v_addc_co_u32_e32 v9, vcc, v9, v5, vcc
	v_add_u32_e32 v5, v4, v6
	v_ashrrev_i32_e32 v5, 5, v5
	v_cmp_gt_i32_e32 vcc, s33, v4
	v_cndmask_b32_e32 v4, v7, v5, vcc
	v_ashrrev_i32_e32 v5, 31, v4
	v_lshlrev_b64 v[4:5], 2, v[4:5]
	v_mov_b32_e32 v11, s18
	v_add_co_u32_e32 v10, vcc, s17, v4
	v_or_b32_e32 v1, 48, v1
	v_addc_co_u32_e32 v11, vcc, v11, v5, vcc
	v_add_u32_e32 v4, v1, v6
	v_ashrrev_i32_e32 v4, 5, v4
	v_cmp_gt_i32_e32 vcc, s33, v1
	v_cndmask_b32_e32 v4, v7, v4, vcc
	v_ashrrev_i32_e32 v5, 31, v4
	v_lshlrev_b64 v[4:5], 2, v[4:5]
	v_mov_b32_e32 v1, s18
	v_add_co_u32_e32 v12, vcc, s17, v4
	v_addc_co_u32_e32 v13, vcc, v1, v5, vcc
	global_load_dword v7, v[2:3], off
	global_load_dword v6, v[8:9], off
	;; [unrolled: 1-line block ×4, first 2 shown]
	s_andn2_b64 vcc, exec, s[2:3]
	s_cbranch_vccnz .LBB362_8
; %bb.6:
	s_add_u32 s0, s0, s10
	s_addc_u32 s1, s1, s11
	s_load_dword s9, s[0:1], 0x0
	s_branch .LBB362_9
.LBB362_7:
	s_mov_b64 s[12:13], 0
	s_branch .LBB362_2
.LBB362_8:
	s_mov_b32 s9, s6
.LBB362_9:
	s_load_dwordx2 s[12:13], s[4:5], 0x8
	s_load_dwordx4 s[0:3], s[4:5], 0x48
	v_lshrrev_b32_e32 v86, 6, v0
	v_bfe_u32 v1, v0, 4, 2
	v_lshl_or_b32 v8, v86, 2, v1
	v_and_b32_e32 v84, 15, v0
	s_mul_i32 s27, s8, 3
	v_lshlrev_b32_e32 v2, 3, v84
	v_cmp_lt_u32_e32 vcc, 2, v8
	s_and_saveexec_b64 s[10:11], vcc
	s_xor_b64 s[10:11], exec, s[10:11]
; %bb.10:
	v_mov_b32_e32 v3, 0
                                        ; implicit-def: $vgpr8
; %bb.11:
	s_or_saveexec_b64 s[14:15], s[10:11]
	s_load_dwordx2 s[10:11], s[4:5], 0x10
	v_add_u32_e32 v9, s27, v1
	buffer_store_dword v9, off, s[44:47], 0 ; 4-byte Folded Spill
	s_xor_b64 exec, exec, s[14:15]
	s_cbranch_execz .LBB362_13
; %bb.12:
	buffer_load_dword v3, off, s[44:47], 0  ; 4-byte Folded Reload
	s_load_dwordx2 s[20:21], s[4:5], 0x0
	s_waitcnt lgkmcnt(0)
	s_ashr_i32 s3, s0, 31
	s_mul_hi_u32 s22, s9, s0
	s_mul_i32 s3, s9, s3
	s_add_i32 s23, s22, s3
	s_mul_i32 s22, s9, s0
	s_lshl_b64 s[22:23], s[22:23], 1
	s_add_u32 s0, s20, s22
	s_addc_u32 s3, s21, s23
	v_lshlrev_b32_e32 v14, 9, v84
	v_lshlrev_b32_e32 v8, 5, v8
	v_and_b32_e32 v14, 0x1800, v14
	s_waitcnt vmcnt(0)
	v_lshlrev_b32_e32 v10, 7, v3
	v_ashrrev_i32_e32 v11, 31, v10
	v_lshlrev_b64 v[10:11], 1, v[10:11]
	v_mov_b32_e32 v3, s3
	v_add_co_u32_e32 v9, vcc, s0, v10
	v_addc_co_u32_e32 v3, vcc, v3, v11, vcc
	v_lshlrev_b32_e32 v10, 1, v2
	v_add_co_u32_e32 v10, vcc, v9, v10
	v_addc_co_u32_e32 v11, vcc, 0, v3, vcc
	global_load_dwordx4 v[10:13], v[10:11], off
	v_and_b32_e32 v9, 3, v0
	v_lshlrev_b32_e32 v9, 9, v9
	v_mov_b32_e32 v3, 0
	v_or3_b32 v8, v14, v9, v8
	s_waitcnt vmcnt(0)
	ds_write_b128 v8, v[10:13]
.LBB362_13:
	s_or_b64 exec, exec, s[14:15]
	s_waitcnt lgkmcnt(0)
	s_mul_i32 s2, s8, s2
	s_mov_b32 s3, 0
	s_lshl_b64 s[2:3], s[2:3], 1
	s_add_u32 s0, s12, s2
	s_waitcnt vmcnt(4)
	v_mad_i64_i32 v[8:9], s[8:9], v7, s1, 0
	s_addc_u32 s12, s13, s3
	v_lshlrev_b64 v[8:9], 1, v[8:9]
	v_mov_b32_e32 v7, s12
	v_add_co_u32_e32 v8, vcc, s0, v8
	v_addc_co_u32_e32 v7, vcc, v7, v9, vcc
	v_lshlrev_b64 v[14:15], 1, v[2:3]
	v_add_co_u32_e32 v8, vcc, v8, v14
	v_lshlrev_b32_e32 v12, 9, v1
	v_addc_co_u32_e32 v7, vcc, v7, v15, vcc
	v_add_co_u32_e32 v2, vcc, v8, v12
	v_addc_co_u32_e32 v3, vcc, 0, v7, vcc
	v_or_b32_e32 v10, 0x1000, v12
	s_barrier
	global_load_dwordx4 v[42:45], v[2:3], off
	global_load_dwordx4 v[34:37], v[2:3], off offset:2048
	v_add_co_u32_e32 v2, vcc, v8, v10
	v_addc_co_u32_e32 v3, vcc, 0, v7, vcc
	v_or_b32_e32 v11, 0x1800, v12
	v_add_co_u32_e32 v8, vcc, v8, v11
	v_addc_co_u32_e32 v9, vcc, 0, v7, vcc
	global_load_dwordx4 v[46:49], v[2:3], off
	global_load_dwordx4 v[58:61], v[8:9], off
	s_waitcnt vmcnt(7)
	v_mad_i64_i32 v[2:3], s[8:9], v6, s1, 0
	v_lshlrev_b64 v[2:3], 1, v[2:3]
	v_mov_b32_e32 v6, s12
	v_add_co_u32_e32 v2, vcc, s0, v2
	v_addc_co_u32_e32 v3, vcc, v6, v3, vcc
	v_mov_b32_e32 v6, 0x100
	v_lshl_or_b32 v8, v84, 4, v6
	v_add_co_u32_e32 v6, vcc, v2, v8
	v_addc_co_u32_e32 v7, vcc, 0, v3, vcc
	v_add_co_u32_e32 v2, vcc, v6, v12
	v_addc_co_u32_e32 v3, vcc, 0, v7, vcc
	global_load_dwordx4 v[74:77], v[2:3], off
	global_load_dwordx4 v[70:73], v[2:3], off offset:2048
	v_add_co_u32_e32 v2, vcc, v6, v10
	v_addc_co_u32_e32 v3, vcc, 0, v7, vcc
	v_add_co_u32_e32 v6, vcc, v6, v11
	v_addc_co_u32_e32 v7, vcc, 0, v7, vcc
	global_load_dwordx4 v[78:81], v[2:3], off
	global_load_dwordx4 v[66:69], v[6:7], off
	s_waitcnt vmcnt(10)
	v_mad_i64_i32 v[2:3], s[8:9], v5, s1, 0
	v_lshlrev_b64 v[2:3], 1, v[2:3]
	v_mov_b32_e32 v5, s12
	v_add_co_u32_e32 v2, vcc, s0, v2
	v_addc_co_u32_e32 v3, vcc, v5, v3, vcc
	v_add_co_u32_e32 v5, vcc, v2, v14
	buffer_store_dword v14, off, s[44:47], 0 offset:4 ; 4-byte Folded Spill
	s_nop 0
	buffer_store_dword v15, off, s[44:47], 0 offset:8 ; 4-byte Folded Spill
	v_and_b32_e32 v94, 63, v0
	v_mov_b32_e32 v88, 0
	v_addc_co_u32_e32 v7, vcc, v3, v15, vcc
	v_add_co_u32_e32 v2, vcc, v5, v12
	v_addc_co_u32_e32 v3, vcc, 0, v7, vcc
	global_load_dwordx4 v[62:65], v[2:3], off
	global_load_dwordx4 v[38:41], v[2:3], off offset:2048
	v_add_co_u32_e32 v2, vcc, v5, v10
	v_addc_co_u32_e32 v3, vcc, 0, v7, vcc
	v_add_co_u32_e32 v6, vcc, v5, v11
	v_addc_co_u32_e32 v7, vcc, 0, v7, vcc
	global_load_dwordx4 v[26:29], v[2:3], off
	global_load_dwordx4 v[18:21], v[6:7], off
	s_waitcnt vmcnt(15)
	v_mad_i64_i32 v[2:3], s[8:9], v4, s1, 0
	v_lshlrev_b64 v[2:3], 1, v[2:3]
	v_mov_b32_e32 v4, s12
	v_add_co_u32_e32 v2, vcc, s0, v2
	v_addc_co_u32_e32 v3, vcc, v4, v3, vcc
	v_add_co_u32_e32 v4, vcc, v2, v8
	v_addc_co_u32_e32 v5, vcc, 0, v3, vcc
	;; [unrolled: 2-line block ×3, first 2 shown]
	global_load_dwordx4 v[14:17], v[2:3], off
	global_load_dwordx4 v[6:9], v[2:3], off offset:2048
	v_add_co_u32_e32 v2, vcc, v4, v10
	v_addc_co_u32_e32 v3, vcc, 0, v5, vcc
	v_add_co_u32_e32 v10, vcc, v4, v11
	v_addc_co_u32_e32 v11, vcc, 0, v5, vcc
	global_load_dwordx4 v[2:5], v[2:3], off
	s_nop 0
	global_load_dwordx4 v[50:53], v[10:11], off
	v_mul_lo_u16_e32 v10, 0x56, v84
	v_mov_b32_e32 v11, 3
	v_mul_lo_u16_sdwa v10, v10, v11 dst_sel:DWORD dst_unused:UNUSED_PAD src0_sel:BYTE_1 src1_sel:DWORD
	v_sub_u16_e32 v10, v84, v10
	v_and_b32_e32 v10, 0xff, v10
	v_lshl_add_u32 v54, v10, 5, v12
	ds_read_b128 v[30:33], v54
	ds_read_b128 v[22:25], v54 offset:2048
	ds_read_b128 v[10:13], v54 offset:4096
	;; [unrolled: 1-line block ×3, first 2 shown]
	v_cmp_gt_u32_e32 vcc, 3, v84
	s_and_saveexec_b64 s[8:9], vcc
	s_cbranch_execz .LBB362_15
; %bb.14:
	s_load_dwordx2 s[12:13], s[4:5], 0x40
	v_add_u32_e32 v82, s27, v84
	v_ashrrev_i32_e32 v83, 31, v82
	v_lshlrev_b64 v[82:83], 2, v[82:83]
	s_waitcnt lgkmcnt(0)
	v_mov_b32_e32 v88, s13
	v_add_co_u32_e32 v82, vcc, s12, v82
	v_addc_co_u32_e32 v83, vcc, v88, v83, vcc
	global_load_dword v88, v[82:83], off
.LBB362_15:
	s_or_b64 exec, exec, s[8:9]
	s_waitcnt vmcnt(17) lgkmcnt(3)
	v_mfma_f32_16x16x16bf16_1k v[90:93], v[42:43], v[30:31], 0
	s_ashr_i32 s0, s16, 31
	s_lshr_b32 s0, s0, 27
	s_add_u32 s2, s10, s2
	s_addc_u32 s3, s11, s3
	v_lshl_or_b32 v89, v86, 4, v84
	s_mov_b32 s40, 0xff7fffff
	v_mfma_f32_16x16x16bf16_1k v[42:45], v[44:45], v[32:33], v[90:93]
	s_waitcnt vmcnt(16) lgkmcnt(2)
	v_mfma_f32_16x16x16bf16_1k v[42:45], v[34:35], v[22:23], v[42:45]
	v_mfma_f32_16x16x16bf16_1k v[34:37], v[36:37], v[24:25], v[42:45]
	s_waitcnt vmcnt(15) lgkmcnt(1)
	v_mfma_f32_16x16x16bf16_1k v[34:37], v[46:47], v[10:11], v[34:37]
	v_and_or_b32 v46, v0, 48, s16
	s_nop 6
	v_add_u32_e32 v42, s0, v46
	v_ashrrev_i32_e32 v42, 5, v42
	v_mov_b32_e32 v47, s19
	v_cmp_gt_i32_e32 vcc, s33, v46
	v_cndmask_b32_e32 v42, v47, v42, vcc
	v_ashrrev_i32_e32 v43, 31, v42
	v_mfma_f32_16x16x16bf16_1k v[34:37], v[48:49], v[12:13], v[34:37]
	v_or_b32_e32 v44, 64, v46
	v_add_u32_e32 v45, s0, v44
	v_ashrrev_i32_e32 v45, 5, v45
	v_mov_b32_e32 v48, s18
	s_waitcnt vmcnt(14) lgkmcnt(0)
	v_mfma_f32_16x16x16bf16_1k v[34:37], v[58:59], v[54:55], v[34:37]
	v_mfma_f32_16x16x16bf16_1k v[58:61], v[60:61], v[56:57], v[34:37]
	s_waitcnt vmcnt(13)
	v_mfma_f32_16x16x16bf16_1k v[34:37], v[74:75], v[30:31], 0
	v_mfma_f32_16x16x16bf16_1k v[34:37], v[76:77], v[32:33], v[34:37]
	v_lshlrev_b32_e32 v77, 6, v89
	s_waitcnt vmcnt(12)
	v_mfma_f32_16x16x16bf16_1k v[34:37], v[70:71], v[22:23], v[34:37]
	v_mfma_f32_16x16x16bf16_1k v[34:37], v[72:73], v[24:25], v[34:37]
	s_waitcnt vmcnt(11)
	v_mfma_f32_16x16x16bf16_1k v[34:37], v[78:79], v[10:11], v[34:37]
	v_mfma_f32_16x16x16bf16_1k v[34:37], v[80:81], v[12:13], v[34:37]
	;; [unrolled: 3-line block ×3, first 2 shown]
	s_nop 7
	s_nop 1
	v_lshlrev_b64 v[34:35], 2, v[42:43]
	v_mov_b32_e32 v36, s18
	v_add_co_u32_e32 v42, vcc, s17, v34
	v_addc_co_u32_e32 v43, vcc, v36, v35, vcc
	v_cmp_gt_i32_e32 vcc, s33, v44
	v_cndmask_b32_e32 v44, v47, v45, vcc
	s_waitcnt vmcnt(7)
	v_mfma_f32_16x16x16bf16_1k v[34:37], v[62:63], v[30:31], 0
	v_ashrrev_i32_e32 v45, 31, v44
	v_lshlrev_b64 v[44:45], 2, v[44:45]
	v_add_co_u32_e32 v44, vcc, s17, v44
	v_addc_co_u32_e32 v45, vcc, v48, v45, vcc
	global_load_dword v42, v[42:43], off
	s_nop 0
	global_load_dword v62, v[44:45], off
	v_mfma_f32_16x16x16bf16_1k v[34:37], v[64:65], v[32:33], v[34:37]
	v_or_b32_e32 v43, 0x80, v46
	v_cmp_gt_i32_e32 vcc, s33, v43
	s_waitcnt vmcnt(8)
	v_mfma_f32_16x16x16bf16_1k v[34:37], v[38:39], v[22:23], v[34:37]
	v_add_u32_e32 v38, s0, v43
	v_ashrrev_i32_e32 v38, 5, v38
	v_cndmask_b32_e32 v38, v47, v38, vcc
	v_ashrrev_i32_e32 v39, 31, v38
	v_lshlrev_b64 v[38:39], 2, v[38:39]
	v_mov_b32_e32 v43, s18
	v_add_co_u32_e32 v38, vcc, s17, v38
	v_addc_co_u32_e32 v39, vcc, v43, v39, vcc
	global_load_dword v63, v[38:39], off
	v_mfma_f32_16x16x16bf16_1k v[34:37], v[40:41], v[24:25], v[34:37]
	v_or_b32_e32 v38, 0xc0, v46
	v_add_u32_e32 v39, s0, v38
	v_ashrrev_i32_e32 v39, 5, v39
	v_cmp_gt_i32_e32 vcc, s33, v38
	v_cndmask_b32_e32 v38, v47, v39, vcc
	v_ashrrev_i32_e32 v39, 31, v38
	s_load_dword s0, s[4:5], 0x1c
	s_waitcnt vmcnt(8)
	v_mfma_f32_16x16x16bf16_1k v[34:37], v[26:27], v[10:11], v[34:37]
	v_lshlrev_b64 v[26:27], 2, v[38:39]
	v_mov_b32_e32 v39, s18
	v_add_co_u32_e32 v38, vcc, s17, v26
	v_addc_co_u32_e32 v39, vcc, v39, v27, vcc
	global_load_dword v74, v[38:39], off
	v_mfma_f32_16x16x16bf16_1k v[26:29], v[28:29], v[12:13], v[34:37]
	s_waitcnt lgkmcnt(0)
	v_pk_mul_f32 v[58:59], s[0:1], v[58:59] op_sel_hi:[0,1]
	s_waitcnt vmcnt(8)
	v_mfma_f32_16x16x16bf16_1k v[26:29], v[18:19], v[54:55], v[26:29]
	s_nop 2
	v_and_b32_e32 v34, 16, v0
	v_lshlrev_b32_e32 v34, 1, v34
	v_mov_b32_e32 v18, s3
	v_add_co_u32_e32 v75, vcc, s2, v34
	v_addc_co_u32_e32 v76, vcc, 0, v18, vcc
	v_mfma_f32_16x16x16bf16_1k v[90:93], v[20:21], v[56:57], v[26:29]
	v_add_co_u32_e32 v78, vcc, v75, v77
	v_addc_co_u32_e32 v79, vcc, 0, v76, vcc
	s_waitcnt vmcnt(3)
	v_mad_i64_i32 v[18:19], s[2:3], v42, s1, 0
	v_lshlrev_b64 v[70:71], 1, v[18:19]
	v_mfma_f32_16x16x16bf16_1k v[18:21], v[14:15], v[30:31], 0
	v_add_co_u32_e32 v14, vcc, v78, v70
	v_addc_co_u32_e32 v15, vcc, v79, v71, vcc
	global_load_dwordx4 v[46:49], v[14:15], off
	global_load_dwordx4 v[42:45], v[14:15], off offset:16
	s_waitcnt vmcnt(4)
	v_mad_i64_i32 v[14:15], s[2:3], v62, s1, 0
	v_lshlrev_b64 v[72:73], 1, v[14:15]
	v_mfma_f32_16x16x16bf16_1k v[14:17], v[16:17], v[32:33], v[18:21]
	v_mfma_f32_16x16x16bf16_1k v[14:17], v[6:7], v[22:23], v[14:17]
	s_nop 5
	v_add_co_u32_e32 v18, vcc, v78, v72
	v_addc_co_u32_e32 v19, vcc, v79, v73, vcc
	global_load_dwordx4 v[38:41], v[18:19], off
	global_load_dwordx4 v[34:37], v[18:19], off offset:16
	s_waitcnt vmcnt(5)
	v_mad_i64_i32 v[18:19], s[2:3], v63, s1, 0
	v_lshlrev_b64 v[64:65], 1, v[18:19]
	v_add_co_u32_e32 v6, vcc, v78, v64
	v_addc_co_u32_e32 v7, vcc, v79, v65, vcc
	global_load_dwordx4 v[30:33], v[6:7], off
	global_load_dwordx4 v[26:29], v[6:7], off offset:16
	v_mfma_f32_16x16x16bf16_1k v[6:9], v[8:9], v[24:25], v[14:17]
	v_mfma_f32_16x16x16bf16_1k v[6:9], v[2:3], v[10:11], v[6:9]
	s_waitcnt vmcnt(6)
	s_nop 4
	v_mad_i64_i32 v[14:15], s[2:3], v74, s1, 0
	v_lshlrev_b64 v[62:63], 1, v[14:15]
	v_add_co_u32_e32 v14, vcc, v78, v62
	v_addc_co_u32_e32 v15, vcc, v79, v63, vcc
	v_mfma_f32_16x16x16bf16_1k v[10:13], v[4:5], v[12:13], v[6:9]
	v_or_b32_e32 v2, 0x1000, v77
	v_add_co_u32_e32 v85, vcc, v75, v2
	v_pk_mul_f32 v[74:75], s[0:1], v[68:69] op_sel_hi:[0,1]
	v_addc_co_u32_e32 v87, vcc, 0, v76, vcc
	v_pk_mul_f32 v[76:77], s[0:1], v[66:67] op_sel_hi:[0,1]
	v_mfma_f32_16x16x16bf16_1k v[80:83], v[50:51], v[54:55], v[10:13]
	v_pk_mul_f32 v[78:79], s[0:1], v[60:61] op_sel_hi:[0,1]
	v_add_co_u32_e32 v2, vcc, v85, v70
	v_addc_co_u32_e32 v3, vcc, v87, v71, vcc
	v_add_co_u32_e32 v70, vcc, v85, v72
	v_mfma_f32_16x16x16bf16_1k v[50:53], v[52:53], v[56:57], v[80:83]
	v_addc_co_u32_e32 v71, vcc, v87, v73, vcc
	global_load_dwordx4 v[22:25], v[14:15], off
	global_load_dwordx4 v[18:21], v[14:15], off offset:16
	global_load_dwordx4 v[6:9], v[2:3], off
	s_nop 0
	global_load_dwordx4 v[2:5], v[2:3], off offset:16
	s_nop 0
	global_load_dwordx4 v[14:17], v[70:71], off
	global_load_dwordx4 v[10:13], v[70:71], off offset:16
	v_pk_mul_f32 v[70:71], s[0:1], v[92:93] op_sel_hi:[0,1]
	v_pk_mul_f32 v[72:73], s[0:1], v[90:91] op_sel_hi:[0,1]
	;; [unrolled: 1-line block ×3, first 2 shown]
	v_and_b32_e32 v50, 0xc0, v0
	v_add_u32_e32 v50, s16, v50
	v_lshl_or_b32 v50, v1, 2, v50
	v_or_b32_e32 v51, 1, v50
	v_pk_mul_f32 v[66:67], s[0:1], v[52:53] op_sel_hi:[0,1]
	v_subrev_u32_e32 v52, s33, v51
	v_add_u32_e32 v54, 1, v52
	v_add_u32_e32 v55, 2, v52
	v_cvt_f32_i32_e32 v53, v52
	v_cvt_f32_i32_e32 v54, v54
	;; [unrolled: 1-line block ×3, first 2 shown]
	v_add_u32_e32 v56, 3, v52
	v_fma_f32 v58, v88, v53, v58
	v_fmac_f32_e32 v59, v88, v54
	v_fma_f32 v78, v88, v55, v78
	v_add_u32_e32 v53, 16, v52
	v_add_u32_e32 v54, 17, v52
	;; [unrolled: 1-line block ×3, first 2 shown]
	v_cvt_f32_i32_e32 v56, v56
	v_cvt_f32_i32_e32 v53, v53
	v_cvt_f32_i32_e32 v54, v54
	v_cvt_f32_i32_e32 v55, v55
	v_fmac_f32_e32 v79, v88, v56
	v_add_u32_e32 v56, 19, v52
	v_fma_f32 v76, v88, v53, v76
	v_fmac_f32_e32 v77, v88, v54
	v_fma_f32 v74, v88, v55, v74
	v_add_u32_e32 v53, 32, v52
	v_add_u32_e32 v54, 33, v52
	;; [unrolled: 1-line block ×3, first 2 shown]
	v_cvt_f32_i32_e32 v56, v56
	v_cvt_f32_i32_e32 v53, v53
	;; [unrolled: 1-line block ×4, first 2 shown]
	v_fmac_f32_e32 v75, v88, v56
	v_add_u32_e32 v56, 35, v52
	v_fma_f32 v72, v88, v53, v72
	v_fmac_f32_e32 v73, v88, v54
	v_fma_f32 v70, v88, v55, v70
	v_add_u32_e32 v53, 48, v52
	v_add_u32_e32 v54, 49, v52
	;; [unrolled: 1-line block ×4, first 2 shown]
	v_cvt_f32_i32_e32 v52, v52
	v_cvt_f32_i32_e32 v53, v53
	;; [unrolled: 1-line block ×3, first 2 shown]
	v_cmp_gt_i32_e64 s[28:29], s33, v50
	v_fmac_f32_e32 v67, v88, v52
	v_mov_b32_e32 v52, 0xff7fffff
	v_cmp_gt_i32_e64 s[30:31], s33, v51
	v_fma_f32 v68, v88, v53, v68
	v_cndmask_b32_e64 v53, v52, v58, s[28:29]
	v_cndmask_b32_e64 v51, v52, v59, s[30:31]
	v_fmac_f32_e32 v69, v88, v54
	v_max3_f32 v51, v53, s40, v51
	v_or_b32_e32 v53, 2, v50
	v_or_b32_e32 v54, 3, v50
	v_cmp_gt_i32_e64 s[34:35], s33, v53
	v_cmp_gt_i32_e64 s[36:37], s33, v54
	v_cndmask_b32_e64 v53, v52, v78, s[34:35]
	v_cndmask_b32_e64 v54, v52, v79, s[36:37]
	v_max3_f32 v51, v51, v53, v54
	v_or_b32_e32 v53, 16, v50
	v_or_b32_e32 v54, 17, v50
	v_cmp_gt_i32_e64 s[22:23], s33, v53
	v_cmp_gt_i32_e64 s[24:25], s33, v54
	v_cndmask_b32_e64 v53, v52, v76, s[22:23]
	v_cndmask_b32_e64 v54, v52, v77, s[24:25]
	;; [unrolled: 7-line block ×3, first 2 shown]
	v_cvt_f32_i32_e32 v56, v56
	v_max3_f32 v51, v51, v53, v54
	v_or_b32_e32 v53, 32, v50
	v_or_b32_e32 v54, 33, v50
	v_cmp_gt_i32_e64 s[14:15], s33, v53
	v_cmp_gt_i32_e64 s[16:17], s33, v54
	v_cndmask_b32_e64 v53, v52, v72, s[14:15]
	v_cndmask_b32_e64 v54, v52, v73, s[16:17]
	v_max3_f32 v51, v51, v53, v54
	v_or_b32_e32 v53, 34, v50
	v_or_b32_e32 v54, 35, v50
	v_fmac_f32_e32 v71, v88, v56
	v_cmp_gt_i32_e64 s[10:11], s33, v53
	v_cmp_gt_i32_e64 s[12:13], s33, v54
	v_cndmask_b32_e64 v53, v52, v70, s[10:11]
	v_cndmask_b32_e64 v54, v52, v71, s[12:13]
	v_cvt_f32_i32_e32 v55, v55
	v_max3_f32 v51, v51, v53, v54
	v_or_b32_e32 v53, 48, v50
	v_or_b32_e32 v54, 49, v50
	v_cmp_gt_i32_e64 s[2:3], s33, v53
	v_cmp_gt_i32_e64 s[8:9], s33, v54
	v_cndmask_b32_e64 v53, v52, v68, s[2:3]
	v_cndmask_b32_e64 v54, v52, v69, s[8:9]
	v_max3_f32 v51, v51, v53, v54
	v_or_b32_e32 v53, 50, v50
	v_or_b32_e32 v50, 51, v50
	v_fma_f32 v66, v88, v55, v66
	v_cmp_gt_i32_e32 vcc, s33, v53
	v_cmp_gt_i32_e64 s[0:1], s33, v50
	v_cndmask_b32_e32 v53, v52, v66, vcc
	v_cndmask_b32_e64 v50, v52, v67, s[0:1]
	v_max3_f32 v60, v51, v53, v50
	v_mbcnt_lo_u32_b32 v50, -1, 0
	v_mbcnt_hi_u32_b32 v61, -1, v50
	v_and_b32_e32 v50, 64, v61
	v_add_u32_e32 v80, 64, v50
	v_xor_b32_e32 v50, 32, v61
	v_cmp_lt_i32_e64 s[38:39], v50, v80
	v_cndmask_b32_e64 v50, v61, v50, s[38:39]
	v_lshlrev_b32_e32 v82, 2, v50
	ds_bpermute_b32 v81, v82, v60
	v_add_co_u32_e64 v50, s[38:39], v85, v64
	v_addc_co_u32_e64 v51, s[38:39], v87, v65, s[38:39]
	s_waitcnt lgkmcnt(0)
	v_max_f32_e32 v64, v81, v81
	v_max_f32_e32 v64, v60, v64
	v_xor_b32_e32 v60, 16, v61
	v_cmp_lt_i32_e64 s[38:39], v60, v80
	v_cndmask_b32_e64 v60, v61, v60, s[38:39]
	v_lshlrev_b32_e32 v83, 2, v60
	ds_bpermute_b32 v65, v83, v64
	v_add_co_u32_e64 v60, s[38:39], v85, v62
	v_addc_co_u32_e64 v61, s[38:39], v87, v63, s[38:39]
	s_waitcnt lgkmcnt(0)
	v_max_f32_e32 v62, v65, v65
	v_max_f32_e32 v88, v64, v62
	v_sub_f32_e32 v58, v58, v88
	v_mul_f32_e32 v58, 0x3fb8aa3b, v58
	v_exp_f32_e32 v80, v58
	v_sub_f32_e32 v58, v59, v88
	v_mul_f32_e32 v58, 0x3fb8aa3b, v58
	global_load_dwordx4 v[54:57], v[50:51], off
	s_nop 0
	global_load_dwordx4 v[50:53], v[50:51], off offset:16
	v_exp_f32_e32 v81, v58
	global_load_dwordx4 v[62:65], v[60:61], off
	s_nop 0
	global_load_dwordx4 v[58:61], v[60:61], off offset:16
	v_sub_f32_e32 v78, v78, v88
	v_mul_f32_e32 v78, 0x3fb8aa3b, v78
	v_sub_f32_e32 v79, v79, v88
	v_exp_f32_e32 v78, v78
	v_mul_f32_e32 v79, 0x3fb8aa3b, v79
	v_sub_f32_e32 v76, v76, v88
	v_exp_f32_e32 v79, v79
	v_mul_f32_e32 v76, 0x3fb8aa3b, v76
	v_sub_f32_e32 v77, v77, v88
	v_cndmask_b32_e64 v80, 0, v80, s[28:29]
	v_exp_f32_e32 v76, v76
	v_mul_f32_e32 v77, 0x3fb8aa3b, v77
	v_sub_f32_e32 v74, v74, v88
	v_add_f32_e32 v85, 0, v80
	v_cndmask_b32_e64 v81, 0, v81, s[30:31]
	v_exp_f32_e32 v77, v77
	v_mul_f32_e32 v74, 0x3fb8aa3b, v74
	v_sub_f32_e32 v75, v75, v88
	v_add_f32_e32 v85, v85, v81
	;; [unrolled: 5-line block ×10, first 2 shown]
	v_cndmask_b32_e64 v70, 0, v70, s[10:11]
	v_exp_f32_e32 v66, v66
	v_mul_f32_e32 v67, 0x3fb8aa3b, v67
	v_add_f32_e32 v85, v85, v70
	v_cndmask_b32_e64 v71, 0, v71, s[12:13]
	v_exp_f32_e32 v67, v67
	v_add_f32_e32 v85, v85, v71
	v_cndmask_b32_e64 v68, 0, v68, s[2:3]
	v_add_f32_e32 v85, v85, v68
	v_cndmask_b32_e64 v69, 0, v69, s[8:9]
	v_add_f32_e32 v85, v85, v69
	v_cndmask_b32_e32 v66, 0, v66, vcc
	v_add_f32_e32 v85, v85, v66
	v_cndmask_b32_e64 v67, 0, v67, s[0:1]
	v_add_f32_e32 v85, v85, v67
	ds_bpermute_b32 v82, v82, v85
	s_load_dword s8, s[4:5], 0x98
	v_cmp_gt_u32_e32 vcc, 16, v94
	s_waitcnt lgkmcnt(0)
	s_barrier
	v_add_f32_e32 v90, v85, v82
	ds_bpermute_b32 v91, v83, v90
	s_waitcnt lgkmcnt(0)
	s_and_saveexec_b64 s[0:1], vcc
	s_cbranch_execz .LBB362_17
; %bb.16:
	v_add_f32_e32 v82, v90, v91
	v_lshlrev_b32_e32 v83, 2, v89
	ds_write2st64_b32 v83, v88, v82 offset1:1
.LBB362_17:
	s_or_b64 exec, exec, s[0:1]
	v_lshlrev_b32_e32 v85, 2, v84
	s_load_dword s2, s[4:5], 0x94
	s_waitcnt lgkmcnt(0)
	s_barrier
	ds_read2_b32 v[82:83], v85 offset1:16
	ds_read2_b32 v[88:89], v85 offset0:32 offset1:48
	ds_read2_b32 v[90:91], v85 offset0:64 offset1:80
	s_movk_i32 s9, 0x7fff
	s_mov_b32 s10, 0x7060302
	s_waitcnt lgkmcnt(2)
	v_max3_f32 v87, v82, s40, v83
	s_waitcnt lgkmcnt(1)
	v_max3_f32 v87, v87, v88, v89
	v_sub_f32_e32 v82, v82, v87
	v_mul_f32_e32 v82, 0x3fb8aa3b, v82
	v_exp_f32_e32 v92, v82
	v_sub_f32_e32 v82, v83, v87
	v_mul_f32_e32 v82, 0x3fb8aa3b, v82
	v_exp_f32_e32 v93, v82
	;; [unrolled: 3-line block ×3, first 2 shown]
	ds_read2_b32 v[82:83], v85 offset0:96 offset1:112
	v_sub_f32_e32 v85, v89, v87
	v_mul_f32_e32 v85, 0x3fb8aa3b, v85
	v_exp_f32_e32 v85, v85
	s_waitcnt lgkmcnt(1)
	v_fma_f32 v88, v92, v90, 0
	v_fmac_f32_e32 v88, v93, v91
	s_waitcnt lgkmcnt(0)
	v_fmac_f32_e32 v88, v94, v82
	v_fmac_f32_e32 v88, v85, v83
	v_add_f32_e32 v82, 0x358637bd, v88
	v_div_scale_f32 v83, s[0:1], v82, v82, 1.0
	v_rcp_f32_e32 v89, v83
	s_mul_i32 s8, s8, 3
	s_barrier
	v_fma_f32 v90, -v83, v89, 1.0
	v_fmac_f32_e32 v89, v90, v89
	v_div_scale_f32 v90, vcc, 1.0, v82, 1.0
	v_mul_f32_e32 v91, v90, v89
	v_fma_f32 v95, -v83, v91, v90
	v_fmac_f32_e32 v91, v95, v89
	v_fma_f32 v83, -v83, v91, v90
	v_div_fmas_f32 v83, v83, v89, v91
	v_cmp_eq_u32_e32 vcc, 1, v86
	v_div_fixup_f32 v82, v83, v82, 1.0
	v_cndmask_b32_e32 v83, v92, v93, vcc
	v_cmp_eq_u32_e32 vcc, 2, v86
	v_cndmask_b32_e32 v83, v83, v94, vcc
	v_cmp_eq_u32_e32 vcc, 3, v86
	v_cndmask_b32_e32 v83, v83, v85, vcc
	v_mul_f32_e32 v82, v83, v82
	v_pk_mul_f32 v[80:81], v[82:83], v[80:81] op_sel_hi:[0,1]
	v_pk_mul_f32 v[78:79], v[82:83], v[78:79] op_sel_hi:[0,1]
	v_bfe_u32 v83, v81, 16, 1
	v_bfe_u32 v85, v80, 16, 1
	v_add3_u32 v80, v80, v85, s9
	v_add3_u32 v81, v81, v83, s9
	v_perm_b32 v80, v81, v80, s10
	v_bfe_u32 v81, v79, 16, 1
	v_bfe_u32 v83, v78, 16, 1
	v_add3_u32 v78, v78, v83, s9
	v_add3_u32 v79, v79, v81, s9
	v_lshlrev_b32_e32 v83, 11, v86
	v_perm_b32 v81, v79, v78, s10
	v_lshlrev_b32_e32 v78, 3, v1
	v_lshlrev_b32_e32 v79, 5, v84
	v_pk_mul_f32 v[76:77], v[82:83], v[76:77] op_sel_hi:[0,1]
	v_or3_b32 v78, v83, v79, v78
	v_pk_mul_f32 v[74:75], v[82:83], v[74:75] op_sel_hi:[0,1]
	v_bfe_u32 v83, v77, 16, 1
	v_bfe_u32 v85, v76, 16, 1
	v_add3_u32 v76, v76, v85, s9
	v_add3_u32 v77, v77, v83, s9
	v_perm_b32 v76, v77, v76, s10
	v_bfe_u32 v77, v75, 16, 1
	v_bfe_u32 v83, v74, 16, 1
	v_add3_u32 v74, v74, v83, s9
	v_add3_u32 v75, v75, v77, s9
	v_pk_mul_f32 v[72:73], v[82:83], v[72:73] op_sel_hi:[0,1]
	v_perm_b32 v77, v75, v74, s10
	v_bfe_u32 v74, v73, 16, 1
	v_bfe_u32 v75, v72, 16, 1
	v_pk_mul_f32 v[70:71], v[82:83], v[70:71] op_sel_hi:[0,1]
	v_add3_u32 v72, v72, v75, s9
	v_add3_u32 v73, v73, v74, s9
	v_perm_b32 v72, v73, v72, s10
	v_bfe_u32 v73, v71, 16, 1
	v_bfe_u32 v74, v70, 16, 1
	v_add3_u32 v70, v70, v74, s9
	v_add3_u32 v71, v71, v73, s9
	v_pk_mul_f32 v[68:69], v[82:83], v[68:69] op_sel_hi:[0,1]
	v_perm_b32 v73, v71, v70, s10
	v_bfe_u32 v70, v69, 16, 1
	v_bfe_u32 v71, v68, 16, 1
	v_pk_mul_f32 v[66:67], v[82:83], v[66:67] op_sel_hi:[0,1]
	v_add3_u32 v68, v68, v71, s9
	v_add3_u32 v69, v69, v70, s9
	v_perm_b32 v68, v69, v68, s10
	v_bfe_u32 v69, v67, 16, 1
	v_bfe_u32 v70, v66, 16, 1
	v_add3_u32 v66, v66, v70, s9
	v_add3_u32 v67, v67, v69, s9
	v_perm_b32 v69, v67, v66, s10
	v_cmp_gt_u32_e32 vcc, 3, v0
	ds_write2st64_b64 v78, v[80:81], v[76:77] offset1:1
	ds_write2st64_b64 v78, v[72:73], v[68:69] offset0:2 offset1:3
	s_and_saveexec_b64 s[0:1], vcc
	s_cbranch_execz .LBB362_19
; %bb.18:
	v_add_co_u32_e32 v68, vcc, s27, v84
	v_addc_co_u32_e64 v69, s[16:17], 0, 0, vcc
	v_mov_b32_e32 v66, s8
	v_mov_b32_e32 v67, 0
	v_mad_u64_u32 v[68:69], s[16:17], s6, v66, v[68:69]
	v_mov_b32_e32 v66, s26
	s_load_dwordx4 s[12:15], s[4:5], 0x58
	s_mul_i32 s3, s7, s8
	v_mad_u64_u32 v[66:67], s[16:17], v68, s2, v[66:67]
	v_add_u32_e32 v69, s3, v69
	v_mov_b32_e32 v68, v67
	v_mad_u64_u32 v[68:69], s[16:17], v69, s2, v[68:69]
	v_mov_b32_e32 v67, v68
	v_lshlrev_b64 v[66:67], 2, v[66:67]
	s_waitcnt lgkmcnt(0)
	v_mov_b32_e32 v69, s15
	v_add_co_u32_e32 v68, vcc, s14, v66
	v_addc_co_u32_e32 v69, vcc, v69, v67, vcc
	global_store_dword v[68:69], v87, off
	v_mov_b32_e32 v68, s13
	v_add_co_u32_e32 v66, vcc, s12, v66
	v_addc_co_u32_e32 v67, vcc, v68, v67, vcc
	global_store_dword v[66:67], v88, off
.LBB362_19:
	s_or_b64 exec, exec, s[0:1]
	v_lshl_or_b32 v79, v1, 9, v79
	s_waitcnt lgkmcnt(0)
	s_barrier
	ds_read_b128 v[70:73], v79
	ds_read_b128 v[66:69], v79 offset:16
	s_waitcnt vmcnt(15) lgkmcnt(1)
	v_mfma_f32_16x16x16bf16_1k v[74:77], v[46:47], v[70:71], 0
	v_cmp_gt_u32_e32 vcc, 64, v0
	v_cmp_ne_u32_e64 s[0:1], 3, v1
	s_mov_b32 s3, 0
	s_and_b64 s[0:1], vcc, s[0:1]
	v_mfma_f32_16x16x16bf16_1k v[46:49], v[48:49], v[72:73], v[74:77]
	s_waitcnt vmcnt(14) lgkmcnt(0)
	v_mfma_f32_16x16x16bf16_1k v[46:49], v[42:43], v[66:67], v[46:49]
	v_mfma_f32_16x16x16bf16_1k v[42:45], v[44:45], v[68:69], v[46:49]
	s_nop 7
	s_nop 1
	ds_read_b128 v[46:49], v79 offset:2048
	ds_read_b128 v[74:77], v79 offset:2064
	s_waitcnt vmcnt(13) lgkmcnt(1)
	v_mfma_f32_16x16x16bf16_1k v[42:45], v[38:39], v[46:47], v[42:45]
	v_mfma_f32_16x16x16bf16_1k v[38:41], v[40:41], v[48:49], v[42:45]
	s_waitcnt vmcnt(12) lgkmcnt(0)
	v_mfma_f32_16x16x16bf16_1k v[38:41], v[34:35], v[74:75], v[38:41]
	v_mfma_f32_16x16x16bf16_1k v[34:37], v[36:37], v[76:77], v[38:41]
	s_nop 7
	s_nop 1
	ds_read_b128 v[38:41], v79 offset:4096
	ds_read_b128 v[42:45], v79 offset:4112
	s_waitcnt vmcnt(11) lgkmcnt(1)
	v_mfma_f32_16x16x16bf16_1k v[34:37], v[30:31], v[38:39], v[34:37]
	v_mfma_f32_16x16x16bf16_1k v[30:33], v[32:33], v[40:41], v[34:37]
	s_waitcnt vmcnt(10) lgkmcnt(0)
	v_mfma_f32_16x16x16bf16_1k v[30:33], v[26:27], v[42:43], v[30:33]
	v_mfma_f32_16x16x16bf16_1k v[26:29], v[28:29], v[44:45], v[30:33]
	s_nop 7
	s_nop 1
	ds_read_b128 v[30:33], v79 offset:6144
	ds_read_b128 v[34:37], v79 offset:6160
	s_waitcnt lgkmcnt(0)
	s_barrier
	s_waitcnt vmcnt(9)
	v_mfma_f32_16x16x16bf16_1k v[26:29], v[22:23], v[30:31], v[26:29]
	v_mfma_f32_16x16x16bf16_1k v[22:25], v[24:25], v[32:33], v[26:29]
	s_waitcnt vmcnt(8)
	v_mfma_f32_16x16x16bf16_1k v[22:25], v[18:19], v[34:35], v[22:25]
	v_mfma_f32_16x16x16bf16_1k v[18:21], v[20:21], v[36:37], v[22:25]
	s_waitcnt vmcnt(7)
	v_mfma_f32_16x16x16bf16_1k v[22:25], v[6:7], v[70:71], 0
	v_mfma_f32_16x16x16bf16_1k v[6:9], v[8:9], v[72:73], v[22:25]
	s_waitcnt vmcnt(6)
	v_mfma_f32_16x16x16bf16_1k v[6:9], v[2:3], v[66:67], v[6:9]
	v_mfma_f32_16x16x16bf16_1k v[2:5], v[4:5], v[68:69], v[6:9]
	s_waitcnt vmcnt(5)
	v_mfma_f32_16x16x16bf16_1k v[2:5], v[14:15], v[46:47], v[2:5]
	s_nop 7
	v_bfe_u32 v6, v19, 16, 1
	v_bfe_u32 v7, v18, 16, 1
	v_add3_u32 v7, v18, v7, s9
	v_add3_u32 v6, v19, v6, s9
	v_perm_b32 v6, v6, v7, s10
	v_bfe_u32 v7, v21, 16, 1
	v_bfe_u32 v8, v20, 16, 1
	v_mfma_f32_16x16x16bf16_1k v[2:5], v[16:17], v[48:49], v[2:5]
	v_add3_u32 v8, v20, v8, s9
	v_add3_u32 v7, v21, v7, s9
	v_perm_b32 v7, v7, v8, s10
	s_waitcnt vmcnt(4)
	v_mfma_f32_16x16x16bf16_1k v[2:5], v[10:11], v[74:75], v[2:5]
	v_mfma_f32_16x16x16bf16_1k v[2:5], v[12:13], v[76:77], v[2:5]
	s_waitcnt vmcnt(3)
	v_mfma_f32_16x16x16bf16_1k v[2:5], v[54:55], v[38:39], v[2:5]
	v_mfma_f32_16x16x16bf16_1k v[2:5], v[56:57], v[40:41], v[2:5]
	;; [unrolled: 3-line block ×5, first 2 shown]
	s_nop 7
	s_nop 2
	v_bfe_u32 v8, v3, 16, 1
	v_bfe_u32 v9, v2, 16, 1
	v_add3_u32 v2, v2, v9, s9
	v_add3_u32 v3, v3, v8, s9
	v_perm_b32 v2, v3, v2, s10
	v_bfe_u32 v3, v5, 16, 1
	v_bfe_u32 v8, v4, 16, 1
	v_add3_u32 v4, v4, v8, s9
	v_add3_u32 v3, v5, v3, s9
	v_perm_b32 v3, v3, v4, s10
	ds_write2st64_b64 v78, v[6:7], v[2:3] offset1:1
	s_waitcnt lgkmcnt(0)
	s_barrier
	s_and_saveexec_b64 s[10:11], s[0:1]
	s_cbranch_execz .LBB362_21
; %bb.20:
	buffer_load_dword v4, off, s[44:47], 0  ; 4-byte Folded Reload
	s_load_dwordx2 s[0:1], s[4:5], 0x68
	s_mul_i32 s4, s8, s6
	s_lshl_b32 s6, s2, 7
	s_mul_hi_u32 s5, s4, s6
	s_mul_i32 s4, s4, s6
	s_lshl_b64 s[4:5], s[4:5], 1
	s_waitcnt lgkmcnt(0)
	s_add_u32 s4, s0, s4
	s_addc_u32 s5, s1, s5
	s_lshl_b32 s2, s26, 7
	s_lshl_b64 s[0:1], s[2:3], 1
	v_lshlrev_b32_e32 v3, 6, v84
	s_add_u32 s2, s4, s0
	v_lshlrev_b32_e32 v2, 4, v0
	v_lshl_or_b32 v0, v0, 10, v3
	s_addc_u32 s3, s5, s1
	v_lshlrev_b32_e32 v1, 5, v1
	v_and_b32_e32 v2, 16, v2
	v_and_b32_e32 v0, 0x1a00, v0
	v_or3_b32 v0, v0, v1, v2
	v_mov_b32_e32 v6, s3
	ds_read_b128 v[0:3], v0
	s_waitcnt vmcnt(0)
	v_mad_u64_u32 v[4:5], s[0:1], s6, v4, 0
	v_lshlrev_b64 v[4:5], 1, v[4:5]
	v_add_co_u32_e32 v4, vcc, s2, v4
	v_addc_co_u32_e32 v5, vcc, v6, v5, vcc
	buffer_load_dword v6, off, s[44:47], 0 offset:4 ; 4-byte Folded Reload
	buffer_load_dword v7, off, s[44:47], 0 offset:8 ; 4-byte Folded Reload
	s_waitcnt vmcnt(1)
	v_add_co_u32_e32 v4, vcc, v4, v6
	s_waitcnt vmcnt(0)
	v_addc_co_u32_e32 v5, vcc, v5, v7, vcc
	s_waitcnt lgkmcnt(0)
	global_store_dwordx4 v[4:5], v[0:3], off
.LBB362_21:
	s_endpgm
	.section	.rodata,"a",@progbits
	.p2align	6, 0x0
	.amdhsa_kernel _Z39paged_attention_ll4mi_QKV_mfma16_kernelI14__hip_bfloat16S0_LN4vllm18Fp8KVCacheDataTypeE0ES0_Li32ELi128ELi256ELb1ELi3EL8MFMAType0EEvPKT_PKT0_S9_ifPKiSB_SB_iPKfiiiPfSE_PS4_PT2_iSD_SD_
		.amdhsa_group_segment_fixed_size 8192
		.amdhsa_private_segment_fixed_size 16
		.amdhsa_kernarg_size 400
		.amdhsa_user_sgpr_count 6
		.amdhsa_user_sgpr_private_segment_buffer 1
		.amdhsa_user_sgpr_dispatch_ptr 0
		.amdhsa_user_sgpr_queue_ptr 0
		.amdhsa_user_sgpr_kernarg_segment_ptr 1
		.amdhsa_user_sgpr_dispatch_id 0
		.amdhsa_user_sgpr_flat_scratch_init 0
		.amdhsa_user_sgpr_kernarg_preload_length 0
		.amdhsa_user_sgpr_kernarg_preload_offset 0
		.amdhsa_user_sgpr_private_segment_size 0
		.amdhsa_uses_dynamic_stack 0
		.amdhsa_system_sgpr_private_segment_wavefront_offset 1
		.amdhsa_system_sgpr_workgroup_id_x 1
		.amdhsa_system_sgpr_workgroup_id_y 1
		.amdhsa_system_sgpr_workgroup_id_z 1
		.amdhsa_system_sgpr_workgroup_info 0
		.amdhsa_system_vgpr_workitem_id 0
		.amdhsa_next_free_vgpr 96
		.amdhsa_next_free_sgpr 48
		.amdhsa_accum_offset 96
		.amdhsa_reserve_vcc 1
		.amdhsa_reserve_flat_scratch 0
		.amdhsa_float_round_mode_32 0
		.amdhsa_float_round_mode_16_64 0
		.amdhsa_float_denorm_mode_32 3
		.amdhsa_float_denorm_mode_16_64 3
		.amdhsa_dx10_clamp 1
		.amdhsa_ieee_mode 1
		.amdhsa_fp16_overflow 0
		.amdhsa_tg_split 0
		.amdhsa_exception_fp_ieee_invalid_op 0
		.amdhsa_exception_fp_denorm_src 0
		.amdhsa_exception_fp_ieee_div_zero 0
		.amdhsa_exception_fp_ieee_overflow 0
		.amdhsa_exception_fp_ieee_underflow 0
		.amdhsa_exception_fp_ieee_inexact 0
		.amdhsa_exception_int_div_zero 0
	.end_amdhsa_kernel
	.section	.text._Z39paged_attention_ll4mi_QKV_mfma16_kernelI14__hip_bfloat16S0_LN4vllm18Fp8KVCacheDataTypeE0ES0_Li32ELi128ELi256ELb1ELi3EL8MFMAType0EEvPKT_PKT0_S9_ifPKiSB_SB_iPKfiiiPfSE_PS4_PT2_iSD_SD_,"axG",@progbits,_Z39paged_attention_ll4mi_QKV_mfma16_kernelI14__hip_bfloat16S0_LN4vllm18Fp8KVCacheDataTypeE0ES0_Li32ELi128ELi256ELb1ELi3EL8MFMAType0EEvPKT_PKT0_S9_ifPKiSB_SB_iPKfiiiPfSE_PS4_PT2_iSD_SD_,comdat
.Lfunc_end362:
	.size	_Z39paged_attention_ll4mi_QKV_mfma16_kernelI14__hip_bfloat16S0_LN4vllm18Fp8KVCacheDataTypeE0ES0_Li32ELi128ELi256ELb1ELi3EL8MFMAType0EEvPKT_PKT0_S9_ifPKiSB_SB_iPKfiiiPfSE_PS4_PT2_iSD_SD_, .Lfunc_end362-_Z39paged_attention_ll4mi_QKV_mfma16_kernelI14__hip_bfloat16S0_LN4vllm18Fp8KVCacheDataTypeE0ES0_Li32ELi128ELi256ELb1ELi3EL8MFMAType0EEvPKT_PKT0_S9_ifPKiSB_SB_iPKfiiiPfSE_PS4_PT2_iSD_SD_
                                        ; -- End function
	.section	.AMDGPU.csdata,"",@progbits
; Kernel info:
; codeLenInByte = 5364
; NumSgprs: 52
; NumVgprs: 96
; NumAgprs: 0
; TotalNumVgprs: 96
; ScratchSize: 16
; MemoryBound: 0
; FloatMode: 240
; IeeeMode: 1
; LDSByteSize: 8192 bytes/workgroup (compile time only)
; SGPRBlocks: 6
; VGPRBlocks: 11
; NumSGPRsForWavesPerEU: 52
; NumVGPRsForWavesPerEU: 96
; AccumOffset: 96
; Occupancy: 5
; WaveLimiterHint : 1
; COMPUTE_PGM_RSRC2:SCRATCH_EN: 1
; COMPUTE_PGM_RSRC2:USER_SGPR: 6
; COMPUTE_PGM_RSRC2:TRAP_HANDLER: 0
; COMPUTE_PGM_RSRC2:TGID_X_EN: 1
; COMPUTE_PGM_RSRC2:TGID_Y_EN: 1
; COMPUTE_PGM_RSRC2:TGID_Z_EN: 1
; COMPUTE_PGM_RSRC2:TIDIG_COMP_CNT: 0
; COMPUTE_PGM_RSRC3_GFX90A:ACCUM_OFFSET: 23
; COMPUTE_PGM_RSRC3_GFX90A:TG_SPLIT: 0
	.section	.text._Z39paged_attention_ll4mi_QKV_mfma16_kernelI14__hip_bfloat16S0_LN4vllm18Fp8KVCacheDataTypeE0ES0_Li32ELi128ELi256ELb1ELi4EL8MFMAType0EEvPKT_PKT0_S9_ifPKiSB_SB_iPKfiiiPfSE_PS4_PT2_iSD_SD_,"axG",@progbits,_Z39paged_attention_ll4mi_QKV_mfma16_kernelI14__hip_bfloat16S0_LN4vllm18Fp8KVCacheDataTypeE0ES0_Li32ELi128ELi256ELb1ELi4EL8MFMAType0EEvPKT_PKT0_S9_ifPKiSB_SB_iPKfiiiPfSE_PS4_PT2_iSD_SD_,comdat
	.protected	_Z39paged_attention_ll4mi_QKV_mfma16_kernelI14__hip_bfloat16S0_LN4vllm18Fp8KVCacheDataTypeE0ES0_Li32ELi128ELi256ELb1ELi4EL8MFMAType0EEvPKT_PKT0_S9_ifPKiSB_SB_iPKfiiiPfSE_PS4_PT2_iSD_SD_ ; -- Begin function _Z39paged_attention_ll4mi_QKV_mfma16_kernelI14__hip_bfloat16S0_LN4vllm18Fp8KVCacheDataTypeE0ES0_Li32ELi128ELi256ELb1ELi4EL8MFMAType0EEvPKT_PKT0_S9_ifPKiSB_SB_iPKfiiiPfSE_PS4_PT2_iSD_SD_
	.globl	_Z39paged_attention_ll4mi_QKV_mfma16_kernelI14__hip_bfloat16S0_LN4vllm18Fp8KVCacheDataTypeE0ES0_Li32ELi128ELi256ELb1ELi4EL8MFMAType0EEvPKT_PKT0_S9_ifPKiSB_SB_iPKfiiiPfSE_PS4_PT2_iSD_SD_
	.p2align	8
	.type	_Z39paged_attention_ll4mi_QKV_mfma16_kernelI14__hip_bfloat16S0_LN4vllm18Fp8KVCacheDataTypeE0ES0_Li32ELi128ELi256ELb1ELi4EL8MFMAType0EEvPKT_PKT0_S9_ifPKiSB_SB_iPKfiiiPfSE_PS4_PT2_iSD_SD_,@function
_Z39paged_attention_ll4mi_QKV_mfma16_kernelI14__hip_bfloat16S0_LN4vllm18Fp8KVCacheDataTypeE0ES0_Li32ELi128ELi256ELb1ELi4EL8MFMAType0EEvPKT_PKT0_S9_ifPKiSB_SB_iPKfiiiPfSE_PS4_PT2_iSD_SD_: ; @_Z39paged_attention_ll4mi_QKV_mfma16_kernelI14__hip_bfloat16S0_LN4vllm18Fp8KVCacheDataTypeE0ES0_Li32ELi128ELi256ELb1ELi4EL8MFMAType0EEvPKT_PKT0_S9_ifPKiSB_SB_iPKfiiiPfSE_PS4_PT2_iSD_SD_
; %bb.0:
	s_mov_b64 s[46:47], s[2:3]
	s_mov_b64 s[44:45], s[0:1]
	s_load_dwordx2 s[0:1], s[4:5], 0x30
	s_add_u32 s44, s44, s9
	s_addc_u32 s45, s45, 0
	s_mov_b32 s28, s7
	s_mov_b64 s[10:11], 0
	s_waitcnt lgkmcnt(0)
	s_cmp_lg_u64 s[0:1], 0
	s_cselect_b64 s[2:3], -1, 0
	s_and_b64 vcc, exec, s[2:3]
	s_cbranch_vccz .LBB363_7
; %bb.1:
	s_add_i32 s12, s6, 1
	s_mov_b32 s13, 0
	s_lshl_b64 s[14:15], s[12:13], 2
	s_add_u32 s14, s0, s14
	s_mov_b32 s7, s13
	s_addc_u32 s15, s1, s15
	s_lshl_b64 s[12:13], s[6:7], 2
	s_add_u32 s12, s0, s12
	s_addc_u32 s13, s1, s13
	s_load_dword s9, s[14:15], 0x0
	s_load_dword s16, s[12:13], 0x0
	s_waitcnt lgkmcnt(0)
	s_sub_i32 s9, s9, s16
	s_cmp_eq_u32 s9, 1
	s_cselect_b64 s[12:13], -1, 0
	s_andn2_b64 vcc, exec, s[10:11]
	s_cbranch_vccnz .LBB363_3
.LBB363_2:
	s_mov_b32 s7, 0
	s_mov_b64 s[12:13], -1
.LBB363_3:
	s_andn2_b64 vcc, exec, s[12:13]
	s_cbranch_vccnz .LBB363_21
; %bb.4:
	s_load_dwordx2 s[12:13], s[4:5], 0x28
	s_lshl_b64 s[10:11], s[6:7], 2
	s_waitcnt lgkmcnt(0)
	s_add_u32 s12, s12, s10
	s_addc_u32 s13, s13, s11
	s_load_dword s33, s[12:13], 0x0
	s_lshl_b32 s18, s28, 8
	s_waitcnt lgkmcnt(0)
	s_cmp_ge_i32 s18, s33
	s_cbranch_scc1 .LBB363_21
; %bb.5:
	s_add_i32 s14, s33, 31
	s_load_dwordx2 s[12:13], s[4:5], 0x20
	s_load_dword s9, s[4:5], 0x38
	s_ashr_i32 s15, s14, 31
	v_and_b32_e32 v1, 0xcf, v0
	s_lshr_b32 s15, s15, 27
	v_add_u32_e32 v1, s18, v1
	s_add_i32 s14, s14, s15
	v_ashrrev_i32_e32 v2, 31, v1
	s_ashr_i32 s21, s14, 5
	v_lshrrev_b32_e32 v6, 27, v2
	s_add_i32 s21, s21, -1
	v_add_u32_e32 v2, v1, v6
	s_waitcnt lgkmcnt(0)
	s_mul_i32 s14, s6, s9
	s_mov_b32 s15, 0
	v_ashrrev_i32_e32 v2, 5, v2
	v_mov_b32_e32 v7, s21
	v_cmp_gt_i32_e32 vcc, s33, v1
	s_lshl_b64 s[14:15], s[14:15], 2
	v_cndmask_b32_e32 v2, v7, v2, vcc
	s_add_u32 s19, s12, s14
	v_ashrrev_i32_e32 v3, 31, v2
	s_addc_u32 s20, s13, s15
	v_lshlrev_b64 v[2:3], 2, v[2:3]
	v_mov_b32_e32 v4, s20
	v_add_co_u32_e32 v2, vcc, s19, v2
	v_addc_co_u32_e32 v3, vcc, v4, v3, vcc
	v_or_b32_e32 v4, 16, v1
	v_add_u32_e32 v5, v4, v6
	v_ashrrev_i32_e32 v5, 5, v5
	v_cmp_gt_i32_e32 vcc, s33, v4
	v_cndmask_b32_e32 v4, v7, v5, vcc
	v_ashrrev_i32_e32 v5, 31, v4
	v_lshlrev_b64 v[4:5], 2, v[4:5]
	v_mov_b32_e32 v9, s20
	v_add_co_u32_e32 v8, vcc, s19, v4
	v_or_b32_e32 v4, 32, v1
	v_addc_co_u32_e32 v9, vcc, v9, v5, vcc
	v_add_u32_e32 v5, v4, v6
	v_ashrrev_i32_e32 v5, 5, v5
	v_cmp_gt_i32_e32 vcc, s33, v4
	v_cndmask_b32_e32 v4, v7, v5, vcc
	v_ashrrev_i32_e32 v5, 31, v4
	v_lshlrev_b64 v[4:5], 2, v[4:5]
	v_mov_b32_e32 v11, s20
	v_add_co_u32_e32 v10, vcc, s19, v4
	v_or_b32_e32 v1, 48, v1
	v_addc_co_u32_e32 v11, vcc, v11, v5, vcc
	v_add_u32_e32 v4, v1, v6
	v_ashrrev_i32_e32 v4, 5, v4
	v_cmp_gt_i32_e32 vcc, s33, v1
	v_cndmask_b32_e32 v4, v7, v4, vcc
	v_ashrrev_i32_e32 v5, 31, v4
	v_lshlrev_b64 v[4:5], 2, v[4:5]
	v_mov_b32_e32 v1, s20
	v_add_co_u32_e32 v12, vcc, s19, v4
	v_addc_co_u32_e32 v13, vcc, v1, v5, vcc
	global_load_dword v7, v[2:3], off
	global_load_dword v6, v[8:9], off
	;; [unrolled: 1-line block ×4, first 2 shown]
	s_andn2_b64 vcc, exec, s[2:3]
	s_cbranch_vccnz .LBB363_8
; %bb.6:
	s_add_u32 s0, s0, s10
	s_addc_u32 s1, s1, s11
	s_load_dword s9, s[0:1], 0x0
	s_branch .LBB363_9
.LBB363_7:
	s_mov_b64 s[12:13], 0
	s_branch .LBB363_2
.LBB363_8:
	s_mov_b32 s9, s6
.LBB363_9:
	s_load_dwordx2 s[10:11], s[4:5], 0x8
	s_load_dwordx4 s[12:15], s[4:5], 0x48
	v_and_b32_e32 v1, 15, v0
	v_bfe_u32 v86, v0, 4, 2
	s_lshl_b32 s29, s8, 2
	v_lshlrev_b32_e32 v2, 3, v1
	v_cmp_gt_u32_e64 s[0:1], 64, v0
	v_cmp_lt_u32_e32 vcc, 63, v0
	s_and_saveexec_b64 s[2:3], vcc
	s_xor_b64 s[2:3], exec, s[2:3]
; %bb.10:
	v_mov_b32_e32 v3, 0
; %bb.11:
	s_or_saveexec_b64 s[16:17], s[2:3]
	s_load_dwordx2 s[2:3], s[4:5], 0x10
	v_or_b32_e32 v8, s29, v86
	v_lshrrev_b32_e32 v87, 6, v0
	buffer_store_dword v8, off, s[44:47], 0 ; 4-byte Folded Spill
	v_and_b32_e32 v10, 3, v0
	v_lshlrev_b32_e32 v8, 5, v86
	buffer_store_dword v8, off, s[44:47], 0 offset:4 ; 4-byte Folded Spill
	s_xor_b64 exec, exec, s[16:17]
	s_cbranch_execz .LBB363_13
; %bb.12:
	buffer_load_dword v3, off, s[44:47], 0  ; 4-byte Folded Reload
	s_load_dwordx2 s[22:23], s[4:5], 0x0
	s_waitcnt lgkmcnt(0)
	s_ashr_i32 s15, s12, 31
	s_mul_hi_u32 s24, s9, s12
	s_mul_i32 s15, s9, s15
	s_add_i32 s25, s24, s15
	s_mul_i32 s24, s9, s12
	s_lshl_b64 s[24:25], s[24:25], 1
	s_add_u32 s9, s22, s24
	s_addc_u32 s12, s23, s25
	v_lshlrev_b32_e32 v11, 9, v1
	v_and_b32_e32 v11, 0x1800, v11
	s_waitcnt vmcnt(0)
	v_lshlrev_b32_e32 v8, 7, v3
	v_ashrrev_i32_e32 v9, 31, v8
	v_lshlrev_b64 v[8:9], 1, v[8:9]
	v_mov_b32_e32 v3, s12
	v_add_co_u32_e32 v8, vcc, s9, v8
	v_addc_co_u32_e32 v3, vcc, v3, v9, vcc
	v_lshlrev_b32_e32 v9, 1, v2
	v_add_co_u32_e32 v8, vcc, v8, v9
	v_addc_co_u32_e32 v9, vcc, 0, v3, vcc
	global_load_dwordx4 v[12:15], v[8:9], off
	v_lshlrev_b32_e32 v8, 5, v86
	v_lshl_or_b32 v8, v87, 7, v8
	v_lshlrev_b32_e32 v9, 9, v10
	v_mov_b32_e32 v3, 0
	v_or3_b32 v8, v11, v9, v8
	s_waitcnt vmcnt(0)
	ds_write_b128 v8, v[12:15]
.LBB363_13:
	s_or_b64 exec, exec, s[16:17]
	s_waitcnt lgkmcnt(0)
	s_mul_i32 s8, s8, s14
	s_mov_b32 s9, 0
	s_lshl_b64 s[8:9], s[8:9], 1
	s_add_u32 s12, s10, s8
	s_addc_u32 s14, s11, s9
	s_waitcnt vmcnt(5)
	v_mad_i64_i32 v[8:9], s[10:11], v7, s13, 0
	v_lshlrev_b64 v[8:9], 1, v[8:9]
	v_mov_b32_e32 v7, s14
	v_add_co_u32_e32 v8, vcc, s12, v8
	v_addc_co_u32_e32 v7, vcc, v7, v9, vcc
	v_lshlrev_b64 v[14:15], 1, v[2:3]
	v_add_co_u32_e32 v8, vcc, v8, v14
	v_lshlrev_b32_e32 v11, 9, v86
	v_addc_co_u32_e32 v7, vcc, v7, v15, vcc
	v_add_co_u32_e32 v2, vcc, v8, v11
	v_addc_co_u32_e32 v3, vcc, 0, v7, vcc
	v_or_b32_e32 v12, 0x1000, v11
	s_barrier
	global_load_dwordx4 v[42:45], v[2:3], off
	global_load_dwordx4 v[34:37], v[2:3], off offset:2048
	v_add_co_u32_e32 v2, vcc, v8, v12
	v_addc_co_u32_e32 v3, vcc, 0, v7, vcc
	v_or_b32_e32 v13, 0x1800, v11
	v_add_co_u32_e32 v8, vcc, v8, v13
	v_addc_co_u32_e32 v9, vcc, 0, v7, vcc
	global_load_dwordx4 v[46:49], v[2:3], off
	global_load_dwordx4 v[58:61], v[8:9], off
	s_waitcnt vmcnt(8)
	v_mad_i64_i32 v[2:3], s[10:11], v6, s13, 0
	v_lshlrev_b64 v[2:3], 1, v[2:3]
	v_mov_b32_e32 v6, s14
	v_add_co_u32_e32 v2, vcc, s12, v2
	v_addc_co_u32_e32 v3, vcc, v6, v3, vcc
	v_mov_b32_e32 v6, 0x100
	v_lshl_or_b32 v8, v1, 4, v6
	v_add_co_u32_e32 v6, vcc, v2, v8
	v_addc_co_u32_e32 v7, vcc, 0, v3, vcc
	v_add_co_u32_e32 v2, vcc, v6, v11
	v_addc_co_u32_e32 v3, vcc, 0, v7, vcc
	global_load_dwordx4 v[74:77], v[2:3], off
	global_load_dwordx4 v[70:73], v[2:3], off offset:2048
	v_add_co_u32_e32 v2, vcc, v6, v12
	v_addc_co_u32_e32 v3, vcc, 0, v7, vcc
	v_add_co_u32_e32 v6, vcc, v6, v13
	v_addc_co_u32_e32 v7, vcc, 0, v7, vcc
	global_load_dwordx4 v[78:81], v[2:3], off
	global_load_dwordx4 v[66:69], v[6:7], off
	s_waitcnt vmcnt(11)
	v_mad_i64_i32 v[2:3], s[10:11], v5, s13, 0
	v_lshlrev_b64 v[2:3], 1, v[2:3]
	v_mov_b32_e32 v5, s14
	v_add_co_u32_e32 v2, vcc, s12, v2
	v_addc_co_u32_e32 v3, vcc, v5, v3, vcc
	v_add_co_u32_e32 v5, vcc, v2, v14
	buffer_store_dword v14, off, s[44:47], 0 offset:8 ; 4-byte Folded Spill
	s_nop 0
	buffer_store_dword v15, off, s[44:47], 0 offset:12 ; 4-byte Folded Spill
	v_lshl_or_b32 v54, v10, 5, v11
	v_and_b32_e32 v84, 63, v0
	v_mov_b32_e32 v89, 0
	v_addc_co_u32_e32 v7, vcc, v3, v15, vcc
	v_add_co_u32_e32 v2, vcc, v5, v11
	v_addc_co_u32_e32 v3, vcc, 0, v7, vcc
	global_load_dwordx4 v[62:65], v[2:3], off
	global_load_dwordx4 v[38:41], v[2:3], off offset:2048
	v_add_co_u32_e32 v2, vcc, v5, v12
	v_addc_co_u32_e32 v3, vcc, 0, v7, vcc
	v_add_co_u32_e32 v6, vcc, v5, v13
	v_addc_co_u32_e32 v7, vcc, 0, v7, vcc
	global_load_dwordx4 v[26:29], v[2:3], off
	global_load_dwordx4 v[22:25], v[6:7], off
	s_waitcnt vmcnt(16)
	v_mad_i64_i32 v[2:3], s[10:11], v4, s13, 0
	v_lshlrev_b64 v[2:3], 1, v[2:3]
	v_mov_b32_e32 v4, s14
	v_add_co_u32_e32 v2, vcc, s12, v2
	v_addc_co_u32_e32 v3, vcc, v4, v3, vcc
	v_add_co_u32_e32 v4, vcc, v2, v8
	v_addc_co_u32_e32 v5, vcc, 0, v3, vcc
	;; [unrolled: 2-line block ×3, first 2 shown]
	global_load_dwordx4 v[14:17], v[2:3], off
	global_load_dwordx4 v[6:9], v[2:3], off offset:2048
	v_add_co_u32_e32 v2, vcc, v4, v12
	v_addc_co_u32_e32 v3, vcc, 0, v5, vcc
	v_add_co_u32_e32 v12, vcc, v4, v13
	v_addc_co_u32_e32 v13, vcc, 0, v5, vcc
	global_load_dwordx4 v[2:5], v[2:3], off
	s_nop 0
	global_load_dwordx4 v[50:53], v[12:13], off
	ds_read_b128 v[30:33], v54
	ds_read_b128 v[18:21], v54 offset:2048
	ds_read_b128 v[10:13], v54 offset:4096
	;; [unrolled: 1-line block ×3, first 2 shown]
	v_cmp_gt_u32_e32 vcc, 4, v1
	s_and_saveexec_b64 s[10:11], vcc
	s_cbranch_execz .LBB363_15
; %bb.14:
	s_load_dwordx2 s[14:15], s[4:5], 0x40
	v_or_b32_e32 v82, s29, v1
	v_ashrrev_i32_e32 v83, 31, v82
	v_lshlrev_b64 v[82:83], 2, v[82:83]
	s_waitcnt lgkmcnt(0)
	v_mov_b32_e32 v89, s15
	v_add_co_u32_e32 v82, vcc, s14, v82
	v_addc_co_u32_e32 v83, vcc, v89, v83, vcc
	global_load_dword v89, v[82:83], off
.LBB363_15:
	s_or_b64 exec, exec, s[10:11]
	s_waitcnt vmcnt(17) lgkmcnt(3)
	v_mfma_f32_16x16x16bf16_1k v[90:93], v[42:43], v[30:31], 0
	s_ashr_i32 s10, s18, 31
	s_lshr_b32 s10, s10, 27
	s_add_u32 s2, s2, s8
	s_addc_u32 s3, s3, s9
	s_mov_b32 s42, 0xff7fffff
	v_mfma_f32_16x16x16bf16_1k v[42:45], v[44:45], v[32:33], v[90:93]
	s_waitcnt vmcnt(16) lgkmcnt(2)
	v_mfma_f32_16x16x16bf16_1k v[42:45], v[34:35], v[18:19], v[42:45]
	s_nop 4
	v_lshl_or_b32 v90, v87, 4, v1
	v_mfma_f32_16x16x16bf16_1k v[34:37], v[36:37], v[20:21], v[42:45]
	s_waitcnt vmcnt(15) lgkmcnt(1)
	v_mfma_f32_16x16x16bf16_1k v[34:37], v[46:47], v[10:11], v[34:37]
	v_and_or_b32 v46, v0, 48, s18
	s_nop 3
	v_add_u32_e32 v42, s10, v46
	v_ashrrev_i32_e32 v42, 5, v42
	v_mov_b32_e32 v47, s21
	v_cmp_gt_i32_e32 vcc, s33, v46
	v_cndmask_b32_e32 v42, v47, v42, vcc
	v_ashrrev_i32_e32 v43, 31, v42
	v_mfma_f32_16x16x16bf16_1k v[34:37], v[48:49], v[12:13], v[34:37]
	v_or_b32_e32 v44, 64, v46
	v_add_u32_e32 v45, s10, v44
	v_ashrrev_i32_e32 v45, 5, v45
	v_mov_b32_e32 v48, s20
	s_waitcnt vmcnt(14) lgkmcnt(0)
	v_mfma_f32_16x16x16bf16_1k v[34:37], v[58:59], v[54:55], v[34:37]
	v_mfma_f32_16x16x16bf16_1k v[58:61], v[60:61], v[56:57], v[34:37]
	s_waitcnt vmcnt(13)
	v_mfma_f32_16x16x16bf16_1k v[34:37], v[74:75], v[30:31], 0
	v_mfma_f32_16x16x16bf16_1k v[34:37], v[76:77], v[32:33], v[34:37]
	v_lshlrev_b32_e32 v77, 6, v90
	s_waitcnt vmcnt(12)
	v_mfma_f32_16x16x16bf16_1k v[34:37], v[70:71], v[18:19], v[34:37]
	v_mfma_f32_16x16x16bf16_1k v[34:37], v[72:73], v[20:21], v[34:37]
	s_waitcnt vmcnt(11)
	v_mfma_f32_16x16x16bf16_1k v[34:37], v[78:79], v[10:11], v[34:37]
	v_mfma_f32_16x16x16bf16_1k v[34:37], v[80:81], v[12:13], v[34:37]
	;; [unrolled: 3-line block ×3, first 2 shown]
	s_nop 7
	s_nop 1
	v_lshlrev_b64 v[34:35], 2, v[42:43]
	v_mov_b32_e32 v36, s20
	v_add_co_u32_e32 v42, vcc, s19, v34
	v_addc_co_u32_e32 v43, vcc, v36, v35, vcc
	v_cmp_gt_i32_e32 vcc, s33, v44
	v_cndmask_b32_e32 v44, v47, v45, vcc
	s_waitcnt vmcnt(7)
	v_mfma_f32_16x16x16bf16_1k v[34:37], v[62:63], v[30:31], 0
	v_ashrrev_i32_e32 v45, 31, v44
	v_lshlrev_b64 v[44:45], 2, v[44:45]
	v_add_co_u32_e32 v44, vcc, s19, v44
	v_addc_co_u32_e32 v45, vcc, v48, v45, vcc
	global_load_dword v42, v[42:43], off
	s_nop 0
	global_load_dword v62, v[44:45], off
	v_mfma_f32_16x16x16bf16_1k v[34:37], v[64:65], v[32:33], v[34:37]
	v_or_b32_e32 v43, 0x80, v46
	v_cmp_gt_i32_e32 vcc, s33, v43
	s_waitcnt vmcnt(8)
	v_mfma_f32_16x16x16bf16_1k v[34:37], v[38:39], v[18:19], v[34:37]
	v_add_u32_e32 v38, s10, v43
	v_ashrrev_i32_e32 v38, 5, v38
	v_cndmask_b32_e32 v38, v47, v38, vcc
	v_ashrrev_i32_e32 v39, 31, v38
	v_lshlrev_b64 v[38:39], 2, v[38:39]
	v_mov_b32_e32 v43, s20
	v_add_co_u32_e32 v38, vcc, s19, v38
	v_addc_co_u32_e32 v39, vcc, v43, v39, vcc
	global_load_dword v63, v[38:39], off
	v_mfma_f32_16x16x16bf16_1k v[34:37], v[40:41], v[20:21], v[34:37]
	v_or_b32_e32 v38, 0xc0, v46
	v_add_u32_e32 v39, s10, v38
	v_ashrrev_i32_e32 v39, 5, v39
	v_cmp_gt_i32_e32 vcc, s33, v38
	v_cndmask_b32_e32 v38, v47, v39, vcc
	v_ashrrev_i32_e32 v39, 31, v38
	s_load_dword s10, s[4:5], 0x1c
	s_waitcnt vmcnt(8)
	v_mfma_f32_16x16x16bf16_1k v[34:37], v[26:27], v[10:11], v[34:37]
	v_lshlrev_b64 v[26:27], 2, v[38:39]
	v_mov_b32_e32 v39, s20
	v_add_co_u32_e32 v38, vcc, s19, v26
	v_addc_co_u32_e32 v39, vcc, v39, v27, vcc
	global_load_dword v74, v[38:39], off
	v_mfma_f32_16x16x16bf16_1k v[26:29], v[28:29], v[12:13], v[34:37]
	s_waitcnt lgkmcnt(0)
	v_pk_mul_f32 v[58:59], s[10:11], v[58:59] op_sel_hi:[0,1]
	s_waitcnt vmcnt(8)
	v_mfma_f32_16x16x16bf16_1k v[26:29], v[22:23], v[54:55], v[26:29]
	s_nop 2
	v_and_b32_e32 v34, 16, v0
	v_lshlrev_b32_e32 v34, 1, v34
	v_mov_b32_e32 v22, s3
	v_add_co_u32_e32 v75, vcc, s2, v34
	v_addc_co_u32_e32 v76, vcc, 0, v22, vcc
	v_mfma_f32_16x16x16bf16_1k v[92:95], v[24:25], v[56:57], v[26:29]
	v_add_co_u32_e32 v78, vcc, v75, v77
	v_addc_co_u32_e32 v79, vcc, 0, v76, vcc
	s_waitcnt vmcnt(3)
	v_mad_i64_i32 v[22:23], s[2:3], v42, s13, 0
	v_lshlrev_b64 v[70:71], 1, v[22:23]
	v_mfma_f32_16x16x16bf16_1k v[22:25], v[14:15], v[30:31], 0
	v_add_co_u32_e32 v14, vcc, v78, v70
	v_addc_co_u32_e32 v15, vcc, v79, v71, vcc
	global_load_dwordx4 v[46:49], v[14:15], off
	global_load_dwordx4 v[42:45], v[14:15], off offset:16
	s_waitcnt vmcnt(4)
	v_mad_i64_i32 v[14:15], s[2:3], v62, s13, 0
	v_lshlrev_b64 v[72:73], 1, v[14:15]
	v_mfma_f32_16x16x16bf16_1k v[14:17], v[16:17], v[32:33], v[22:25]
	v_mfma_f32_16x16x16bf16_1k v[14:17], v[6:7], v[18:19], v[14:17]
	s_nop 5
	v_add_co_u32_e32 v22, vcc, v78, v72
	v_addc_co_u32_e32 v23, vcc, v79, v73, vcc
	global_load_dwordx4 v[38:41], v[22:23], off
	global_load_dwordx4 v[34:37], v[22:23], off offset:16
	s_waitcnt vmcnt(5)
	v_mad_i64_i32 v[22:23], s[2:3], v63, s13, 0
	v_lshlrev_b64 v[64:65], 1, v[22:23]
	v_add_co_u32_e32 v6, vcc, v78, v64
	v_addc_co_u32_e32 v7, vcc, v79, v65, vcc
	global_load_dwordx4 v[30:33], v[6:7], off
	global_load_dwordx4 v[26:29], v[6:7], off offset:16
	v_mfma_f32_16x16x16bf16_1k v[6:9], v[8:9], v[20:21], v[14:17]
	v_mfma_f32_16x16x16bf16_1k v[6:9], v[2:3], v[10:11], v[6:9]
	s_waitcnt vmcnt(6)
	s_nop 4
	v_mad_i64_i32 v[14:15], s[2:3], v74, s13, 0
	v_lshlrev_b64 v[62:63], 1, v[14:15]
	v_add_co_u32_e32 v14, vcc, v78, v62
	v_addc_co_u32_e32 v15, vcc, v79, v63, vcc
	v_mfma_f32_16x16x16bf16_1k v[10:13], v[4:5], v[12:13], v[6:9]
	v_or_b32_e32 v2, 0x1000, v77
	v_add_co_u32_e32 v91, vcc, v75, v2
	v_pk_mul_f32 v[74:75], s[10:11], v[68:69] op_sel_hi:[0,1]
	v_addc_co_u32_e32 v88, vcc, 0, v76, vcc
	v_pk_mul_f32 v[76:77], s[10:11], v[66:67] op_sel_hi:[0,1]
	v_mfma_f32_16x16x16bf16_1k v[80:83], v[50:51], v[54:55], v[10:13]
	v_pk_mul_f32 v[78:79], s[10:11], v[60:61] op_sel_hi:[0,1]
	v_add_co_u32_e32 v2, vcc, v91, v70
	v_addc_co_u32_e32 v3, vcc, v88, v71, vcc
	v_add_co_u32_e32 v70, vcc, v91, v72
	v_mfma_f32_16x16x16bf16_1k v[50:53], v[52:53], v[56:57], v[80:83]
	v_addc_co_u32_e32 v71, vcc, v88, v73, vcc
	global_load_dwordx4 v[22:25], v[14:15], off
	global_load_dwordx4 v[18:21], v[14:15], off offset:16
	global_load_dwordx4 v[6:9], v[2:3], off
	s_nop 0
	global_load_dwordx4 v[2:5], v[2:3], off offset:16
	s_nop 0
	global_load_dwordx4 v[14:17], v[70:71], off
	global_load_dwordx4 v[10:13], v[70:71], off offset:16
	v_pk_mul_f32 v[70:71], s[10:11], v[94:95] op_sel_hi:[0,1]
	v_pk_mul_f32 v[72:73], s[10:11], v[92:93] op_sel_hi:[0,1]
	v_pk_mul_f32 v[68:69], s[10:11], v[50:51] op_sel_hi:[0,1]
	v_and_b32_e32 v50, 0xc0, v0
	v_add_u32_e32 v50, s18, v50
	v_lshl_or_b32 v50, v86, 2, v50
	v_or_b32_e32 v51, 1, v50
	v_pk_mul_f32 v[66:67], s[10:11], v[52:53] op_sel_hi:[0,1]
	v_subrev_u32_e32 v52, s33, v51
	v_add_u32_e32 v54, 1, v52
	v_add_u32_e32 v55, 2, v52
	v_cvt_f32_i32_e32 v53, v52
	v_cvt_f32_i32_e32 v54, v54
	;; [unrolled: 1-line block ×3, first 2 shown]
	v_add_u32_e32 v56, 3, v52
	v_fma_f32 v58, v89, v53, v58
	v_fmac_f32_e32 v59, v89, v54
	v_fma_f32 v78, v89, v55, v78
	v_add_u32_e32 v53, 16, v52
	v_add_u32_e32 v54, 17, v52
	;; [unrolled: 1-line block ×3, first 2 shown]
	v_cvt_f32_i32_e32 v56, v56
	v_cvt_f32_i32_e32 v53, v53
	;; [unrolled: 1-line block ×4, first 2 shown]
	v_fmac_f32_e32 v79, v89, v56
	v_add_u32_e32 v56, 19, v52
	v_fma_f32 v76, v89, v53, v76
	v_fmac_f32_e32 v77, v89, v54
	v_fma_f32 v74, v89, v55, v74
	v_add_u32_e32 v53, 32, v52
	v_add_u32_e32 v54, 33, v52
	;; [unrolled: 1-line block ×3, first 2 shown]
	v_cvt_f32_i32_e32 v56, v56
	v_cvt_f32_i32_e32 v53, v53
	;; [unrolled: 1-line block ×4, first 2 shown]
	v_fmac_f32_e32 v75, v89, v56
	v_add_u32_e32 v56, 35, v52
	v_fma_f32 v72, v89, v53, v72
	v_fmac_f32_e32 v73, v89, v54
	v_fma_f32 v70, v89, v55, v70
	v_add_u32_e32 v53, 48, v52
	v_add_u32_e32 v54, 49, v52
	;; [unrolled: 1-line block ×4, first 2 shown]
	v_cvt_f32_i32_e32 v52, v52
	v_cvt_f32_i32_e32 v53, v53
	;; [unrolled: 1-line block ×3, first 2 shown]
	v_cmp_gt_i32_e64 s[30:31], s33, v50
	v_fmac_f32_e32 v67, v89, v52
	v_mov_b32_e32 v52, 0xff7fffff
	v_cmp_gt_i32_e64 s[34:35], s33, v51
	v_fma_f32 v68, v89, v53, v68
	v_cndmask_b32_e64 v53, v52, v58, s[30:31]
	v_cndmask_b32_e64 v51, v52, v59, s[34:35]
	v_fmac_f32_e32 v69, v89, v54
	v_max3_f32 v51, v53, s42, v51
	v_or_b32_e32 v53, 2, v50
	v_or_b32_e32 v54, 3, v50
	v_cmp_gt_i32_e64 s[36:37], s33, v53
	v_cmp_gt_i32_e64 s[38:39], s33, v54
	v_cndmask_b32_e64 v53, v52, v78, s[36:37]
	v_cndmask_b32_e64 v54, v52, v79, s[38:39]
	v_max3_f32 v51, v51, v53, v54
	v_or_b32_e32 v53, 16, v50
	v_or_b32_e32 v54, 17, v50
	v_cmp_gt_i32_e64 s[24:25], s33, v53
	v_cmp_gt_i32_e64 s[26:27], s33, v54
	v_cndmask_b32_e64 v53, v52, v76, s[24:25]
	v_cndmask_b32_e64 v54, v52, v77, s[26:27]
	;; [unrolled: 7-line block ×3, first 2 shown]
	v_cvt_f32_i32_e32 v56, v56
	v_max3_f32 v51, v51, v53, v54
	v_or_b32_e32 v53, 32, v50
	v_or_b32_e32 v54, 33, v50
	v_cmp_gt_i32_e64 s[16:17], s33, v53
	v_cmp_gt_i32_e64 s[18:19], s33, v54
	v_cndmask_b32_e64 v53, v52, v72, s[16:17]
	v_cndmask_b32_e64 v54, v52, v73, s[18:19]
	v_max3_f32 v51, v51, v53, v54
	v_or_b32_e32 v53, 34, v50
	v_or_b32_e32 v54, 35, v50
	v_fmac_f32_e32 v71, v89, v56
	v_cmp_gt_i32_e64 s[12:13], s33, v53
	v_cmp_gt_i32_e64 s[14:15], s33, v54
	v_cndmask_b32_e64 v53, v52, v70, s[12:13]
	v_cndmask_b32_e64 v54, v52, v71, s[14:15]
	v_cvt_f32_i32_e32 v55, v55
	v_max3_f32 v51, v51, v53, v54
	v_or_b32_e32 v53, 48, v50
	v_or_b32_e32 v54, 49, v50
	v_cmp_gt_i32_e64 s[8:9], s33, v53
	v_cmp_gt_i32_e64 s[10:11], s33, v54
	v_cndmask_b32_e64 v53, v52, v68, s[8:9]
	v_cndmask_b32_e64 v54, v52, v69, s[10:11]
	v_max3_f32 v51, v51, v53, v54
	v_or_b32_e32 v53, 50, v50
	v_or_b32_e32 v50, 51, v50
	v_fma_f32 v66, v89, v55, v66
	v_cmp_gt_i32_e32 vcc, s33, v53
	v_cmp_gt_i32_e64 s[2:3], s33, v50
	v_cndmask_b32_e32 v53, v52, v66, vcc
	v_cndmask_b32_e64 v50, v52, v67, s[2:3]
	v_max3_f32 v60, v51, v53, v50
	v_mbcnt_lo_u32_b32 v50, -1, 0
	v_mbcnt_hi_u32_b32 v61, -1, v50
	v_and_b32_e32 v50, 64, v61
	v_add_u32_e32 v80, 64, v50
	v_xor_b32_e32 v50, 32, v61
	v_cmp_lt_i32_e64 s[40:41], v50, v80
	v_cndmask_b32_e64 v50, v61, v50, s[40:41]
	v_lshlrev_b32_e32 v82, 2, v50
	ds_bpermute_b32 v81, v82, v60
	v_add_co_u32_e64 v50, s[40:41], v91, v64
	v_addc_co_u32_e64 v51, s[40:41], v88, v65, s[40:41]
	s_waitcnt lgkmcnt(0)
	v_max_f32_e32 v64, v81, v81
	v_max_f32_e32 v64, v60, v64
	v_xor_b32_e32 v60, 16, v61
	v_cmp_lt_i32_e64 s[40:41], v60, v80
	v_cndmask_b32_e64 v60, v61, v60, s[40:41]
	v_lshlrev_b32_e32 v83, 2, v60
	ds_bpermute_b32 v65, v83, v64
	v_add_co_u32_e64 v60, s[40:41], v91, v62
	v_addc_co_u32_e64 v61, s[40:41], v88, v63, s[40:41]
	s_waitcnt lgkmcnt(0)
	v_max_f32_e32 v62, v65, v65
	v_max_f32_e32 v89, v64, v62
	v_sub_f32_e32 v58, v58, v89
	v_mul_f32_e32 v58, 0x3fb8aa3b, v58
	v_exp_f32_e32 v80, v58
	v_sub_f32_e32 v58, v59, v89
	v_mul_f32_e32 v58, 0x3fb8aa3b, v58
	global_load_dwordx4 v[54:57], v[50:51], off
	s_nop 0
	global_load_dwordx4 v[50:53], v[50:51], off offset:16
	v_exp_f32_e32 v81, v58
	global_load_dwordx4 v[62:65], v[60:61], off
	s_nop 0
	global_load_dwordx4 v[58:61], v[60:61], off offset:16
	v_sub_f32_e32 v78, v78, v89
	v_mul_f32_e32 v78, 0x3fb8aa3b, v78
	v_sub_f32_e32 v79, v79, v89
	v_exp_f32_e32 v78, v78
	v_mul_f32_e32 v79, 0x3fb8aa3b, v79
	v_sub_f32_e32 v76, v76, v89
	v_exp_f32_e32 v79, v79
	v_mul_f32_e32 v76, 0x3fb8aa3b, v76
	v_sub_f32_e32 v77, v77, v89
	v_cndmask_b32_e64 v80, 0, v80, s[30:31]
	v_exp_f32_e32 v76, v76
	v_mul_f32_e32 v77, 0x3fb8aa3b, v77
	v_sub_f32_e32 v74, v74, v89
	v_add_f32_e32 v88, 0, v80
	v_cndmask_b32_e64 v81, 0, v81, s[34:35]
	v_exp_f32_e32 v77, v77
	v_mul_f32_e32 v74, 0x3fb8aa3b, v74
	v_sub_f32_e32 v75, v75, v89
	v_add_f32_e32 v88, v88, v81
	v_cndmask_b32_e64 v78, 0, v78, s[36:37]
	v_exp_f32_e32 v74, v74
	v_mul_f32_e32 v75, 0x3fb8aa3b, v75
	v_sub_f32_e32 v72, v72, v89
	v_add_f32_e32 v88, v88, v78
	v_cndmask_b32_e64 v79, 0, v79, s[38:39]
	v_exp_f32_e32 v75, v75
	v_mul_f32_e32 v72, 0x3fb8aa3b, v72
	v_sub_f32_e32 v73, v73, v89
	v_add_f32_e32 v88, v88, v79
	v_cndmask_b32_e64 v76, 0, v76, s[24:25]
	v_exp_f32_e32 v72, v72
	v_mul_f32_e32 v73, 0x3fb8aa3b, v73
	v_sub_f32_e32 v70, v70, v89
	v_add_f32_e32 v88, v88, v76
	v_cndmask_b32_e64 v77, 0, v77, s[26:27]
	v_exp_f32_e32 v73, v73
	v_mul_f32_e32 v70, 0x3fb8aa3b, v70
	v_sub_f32_e32 v71, v71, v89
	v_add_f32_e32 v88, v88, v77
	v_cndmask_b32_e64 v74, 0, v74, s[20:21]
	v_exp_f32_e32 v70, v70
	v_mul_f32_e32 v71, 0x3fb8aa3b, v71
	v_sub_f32_e32 v68, v68, v89
	v_add_f32_e32 v88, v88, v74
	v_cndmask_b32_e64 v75, 0, v75, s[22:23]
	v_exp_f32_e32 v71, v71
	v_mul_f32_e32 v68, 0x3fb8aa3b, v68
	v_sub_f32_e32 v69, v69, v89
	v_add_f32_e32 v88, v88, v75
	v_cndmask_b32_e64 v72, 0, v72, s[16:17]
	v_exp_f32_e32 v68, v68
	v_mul_f32_e32 v69, 0x3fb8aa3b, v69
	v_sub_f32_e32 v66, v66, v89
	v_add_f32_e32 v88, v88, v72
	v_cndmask_b32_e64 v73, 0, v73, s[18:19]
	v_exp_f32_e32 v69, v69
	v_mul_f32_e32 v66, 0x3fb8aa3b, v66
	v_sub_f32_e32 v67, v67, v89
	v_add_f32_e32 v88, v88, v73
	v_cndmask_b32_e64 v70, 0, v70, s[12:13]
	v_exp_f32_e32 v66, v66
	v_mul_f32_e32 v67, 0x3fb8aa3b, v67
	v_add_f32_e32 v88, v88, v70
	v_cndmask_b32_e64 v71, 0, v71, s[14:15]
	v_exp_f32_e32 v67, v67
	v_add_f32_e32 v88, v88, v71
	v_cndmask_b32_e64 v68, 0, v68, s[8:9]
	v_add_f32_e32 v88, v88, v68
	v_cndmask_b32_e64 v69, 0, v69, s[10:11]
	v_add_f32_e32 v88, v88, v69
	v_cndmask_b32_e32 v66, 0, v66, vcc
	v_add_f32_e32 v88, v88, v66
	v_cndmask_b32_e64 v67, 0, v67, s[2:3]
	v_add_f32_e32 v88, v88, v67
	ds_bpermute_b32 v82, v82, v88
	s_load_dword s9, s[4:5], 0x98
	v_cmp_gt_u32_e32 vcc, 16, v84
	s_waitcnt lgkmcnt(0)
	s_barrier
	v_add_f32_e32 v91, v88, v82
	ds_bpermute_b32 v92, v83, v91
	s_waitcnt lgkmcnt(0)
	s_and_saveexec_b64 s[2:3], vcc
	s_cbranch_execz .LBB363_17
; %bb.16:
	v_add_f32_e32 v82, v91, v92
	v_lshlrev_b32_e32 v83, 2, v90
	ds_write2st64_b32 v83, v89, v82 offset1:1
.LBB363_17:
	s_or_b64 exec, exec, s[2:3]
	v_lshlrev_b32_e32 v89, 2, v1
	s_load_dword s8, s[4:5], 0x94
	s_waitcnt lgkmcnt(0)
	s_barrier
	ds_read2_b32 v[82:83], v89 offset1:16
	ds_read2_b32 v[90:91], v89 offset0:32 offset1:48
	ds_read2_b32 v[92:93], v89 offset0:64 offset1:80
	s_movk_i32 s10, 0x7fff
	s_mov_b32 s11, 0x7060302
	s_waitcnt lgkmcnt(2)
	v_max3_f32 v88, v82, s42, v83
	s_waitcnt lgkmcnt(1)
	v_max3_f32 v88, v88, v90, v91
	v_sub_f32_e32 v82, v82, v88
	v_mul_f32_e32 v82, 0x3fb8aa3b, v82
	v_exp_f32_e32 v94, v82
	v_sub_f32_e32 v82, v83, v88
	v_mul_f32_e32 v82, 0x3fb8aa3b, v82
	v_exp_f32_e32 v95, v82
	;; [unrolled: 3-line block ×3, first 2 shown]
	ds_read2_b32 v[82:83], v89 offset0:96 offset1:112
	v_sub_f32_e32 v89, v91, v88
	v_mul_f32_e32 v89, 0x3fb8aa3b, v89
	v_exp_f32_e32 v91, v89
	s_waitcnt lgkmcnt(1)
	v_fma_f32 v89, v94, v92, 0
	v_fmac_f32_e32 v89, v95, v93
	s_waitcnt lgkmcnt(0)
	v_fmac_f32_e32 v89, v90, v82
	v_fmac_f32_e32 v89, v91, v83
	v_add_f32_e32 v82, 0x358637bd, v89
	v_div_scale_f32 v83, s[2:3], v82, v82, 1.0
	v_rcp_f32_e32 v92, v83
	s_lshl_b32 s9, s9, 2
	s_barrier
	v_fma_f32 v93, -v83, v92, 1.0
	v_fmac_f32_e32 v92, v93, v92
	v_div_scale_f32 v93, vcc, 1.0, v82, 1.0
	v_mul_f32_e32 v84, v93, v92
	v_fma_f32 v85, -v83, v84, v93
	v_fmac_f32_e32 v84, v85, v92
	v_fma_f32 v83, -v83, v84, v93
	v_div_fmas_f32 v83, v83, v92, v84
	v_cmp_eq_u32_e32 vcc, 1, v87
	v_div_fixup_f32 v82, v83, v82, 1.0
	v_cndmask_b32_e32 v83, v94, v95, vcc
	v_cmp_eq_u32_e32 vcc, 2, v87
	v_cndmask_b32_e32 v83, v83, v90, vcc
	v_cmp_eq_u32_e32 vcc, 3, v87
	v_cndmask_b32_e32 v83, v83, v91, vcc
	v_mul_f32_e32 v82, v83, v82
	v_pk_mul_f32 v[80:81], v[82:83], v[80:81] op_sel_hi:[0,1]
	v_pk_mul_f32 v[78:79], v[82:83], v[78:79] op_sel_hi:[0,1]
	v_bfe_u32 v83, v81, 16, 1
	v_bfe_u32 v84, v80, 16, 1
	v_add3_u32 v80, v80, v84, s10
	v_add3_u32 v81, v81, v83, s10
	v_perm_b32 v80, v81, v80, s11
	v_bfe_u32 v81, v79, 16, 1
	v_bfe_u32 v83, v78, 16, 1
	v_add3_u32 v78, v78, v83, s10
	v_add3_u32 v79, v79, v81, s10
	v_lshlrev_b32_e32 v83, 11, v87
	v_perm_b32 v81, v79, v78, s11
	v_lshlrev_b32_e32 v78, 3, v86
	v_lshlrev_b32_e32 v79, 5, v1
	v_pk_mul_f32 v[76:77], v[82:83], v[76:77] op_sel_hi:[0,1]
	v_or3_b32 v78, v83, v79, v78
	v_pk_mul_f32 v[74:75], v[82:83], v[74:75] op_sel_hi:[0,1]
	v_bfe_u32 v83, v77, 16, 1
	v_bfe_u32 v84, v76, 16, 1
	v_add3_u32 v76, v76, v84, s10
	v_add3_u32 v77, v77, v83, s10
	v_perm_b32 v76, v77, v76, s11
	v_bfe_u32 v77, v75, 16, 1
	v_bfe_u32 v83, v74, 16, 1
	v_add3_u32 v74, v74, v83, s10
	v_add3_u32 v75, v75, v77, s10
	v_pk_mul_f32 v[72:73], v[82:83], v[72:73] op_sel_hi:[0,1]
	v_perm_b32 v77, v75, v74, s11
	v_bfe_u32 v74, v73, 16, 1
	v_bfe_u32 v75, v72, 16, 1
	v_pk_mul_f32 v[70:71], v[82:83], v[70:71] op_sel_hi:[0,1]
	v_add3_u32 v72, v72, v75, s10
	v_add3_u32 v73, v73, v74, s10
	v_perm_b32 v72, v73, v72, s11
	v_bfe_u32 v73, v71, 16, 1
	v_bfe_u32 v74, v70, 16, 1
	v_add3_u32 v70, v70, v74, s10
	v_add3_u32 v71, v71, v73, s10
	v_pk_mul_f32 v[68:69], v[82:83], v[68:69] op_sel_hi:[0,1]
	v_perm_b32 v73, v71, v70, s11
	v_bfe_u32 v70, v69, 16, 1
	v_bfe_u32 v71, v68, 16, 1
	v_pk_mul_f32 v[66:67], v[82:83], v[66:67] op_sel_hi:[0,1]
	v_add3_u32 v68, v68, v71, s10
	v_add3_u32 v69, v69, v70, s10
	v_perm_b32 v68, v69, v68, s11
	v_bfe_u32 v69, v67, 16, 1
	v_bfe_u32 v70, v66, 16, 1
	v_add3_u32 v66, v66, v70, s10
	v_add3_u32 v67, v67, v69, s10
	v_perm_b32 v69, v67, v66, s11
	v_cmp_gt_u32_e32 vcc, 4, v0
	ds_write2st64_b64 v78, v[80:81], v[76:77] offset1:1
	ds_write2st64_b64 v78, v[72:73], v[68:69] offset0:2 offset1:3
	s_and_saveexec_b64 s[2:3], vcc
	s_cbranch_execz .LBB363_19
; %bb.18:
	v_or_b32_e32 v66, s29, v0
	v_mov_b32_e32 v67, 0
	v_mov_b32_e32 v68, s9
	v_mad_u64_u32 v[68:69], s[16:17], s6, v68, v[66:67]
	v_mov_b32_e32 v66, s28
	s_load_dwordx4 s[12:15], s[4:5], 0x58
	s_mul_i32 s7, s7, s9
	v_mad_u64_u32 v[66:67], s[16:17], v68, s8, v[66:67]
	v_add_u32_e32 v69, s7, v69
	v_mov_b32_e32 v68, v67
	v_mad_u64_u32 v[68:69], s[16:17], v69, s8, v[68:69]
	v_mov_b32_e32 v67, v68
	v_lshlrev_b64 v[66:67], 2, v[66:67]
	s_waitcnt lgkmcnt(0)
	v_mov_b32_e32 v69, s15
	v_add_co_u32_e32 v68, vcc, s14, v66
	v_addc_co_u32_e32 v69, vcc, v69, v67, vcc
	global_store_dword v[68:69], v88, off
	v_mov_b32_e32 v68, s13
	v_add_co_u32_e32 v66, vcc, s12, v66
	v_addc_co_u32_e32 v67, vcc, v68, v67, vcc
	global_store_dword v[66:67], v89, off
.LBB363_19:
	s_or_b64 exec, exec, s[2:3]
	v_lshl_or_b32 v79, v86, 9, v79
	s_waitcnt lgkmcnt(0)
	s_barrier
	ds_read_b128 v[70:73], v79
	ds_read_b128 v[66:69], v79 offset:16
	s_waitcnt vmcnt(15) lgkmcnt(1)
	v_mfma_f32_16x16x16bf16_1k v[74:77], v[46:47], v[70:71], 0
	s_mov_b32 s3, 0
	v_mfma_f32_16x16x16bf16_1k v[46:49], v[48:49], v[72:73], v[74:77]
	s_waitcnt vmcnt(14) lgkmcnt(0)
	v_mfma_f32_16x16x16bf16_1k v[46:49], v[42:43], v[66:67], v[46:49]
	v_mfma_f32_16x16x16bf16_1k v[42:45], v[44:45], v[68:69], v[46:49]
	s_nop 7
	s_nop 1
	ds_read_b128 v[46:49], v79 offset:2048
	ds_read_b128 v[74:77], v79 offset:2064
	s_waitcnt vmcnt(13) lgkmcnt(1)
	v_mfma_f32_16x16x16bf16_1k v[42:45], v[38:39], v[46:47], v[42:45]
	v_mfma_f32_16x16x16bf16_1k v[38:41], v[40:41], v[48:49], v[42:45]
	s_waitcnt vmcnt(12) lgkmcnt(0)
	v_mfma_f32_16x16x16bf16_1k v[38:41], v[34:35], v[74:75], v[38:41]
	v_mfma_f32_16x16x16bf16_1k v[34:37], v[36:37], v[76:77], v[38:41]
	s_nop 7
	s_nop 1
	ds_read_b128 v[38:41], v79 offset:4096
	ds_read_b128 v[42:45], v79 offset:4112
	s_waitcnt vmcnt(11) lgkmcnt(1)
	v_mfma_f32_16x16x16bf16_1k v[34:37], v[30:31], v[38:39], v[34:37]
	v_mfma_f32_16x16x16bf16_1k v[30:33], v[32:33], v[40:41], v[34:37]
	s_waitcnt vmcnt(10) lgkmcnt(0)
	v_mfma_f32_16x16x16bf16_1k v[30:33], v[26:27], v[42:43], v[30:33]
	v_mfma_f32_16x16x16bf16_1k v[26:29], v[28:29], v[44:45], v[30:33]
	s_nop 7
	s_nop 1
	ds_read_b128 v[30:33], v79 offset:6144
	ds_read_b128 v[34:37], v79 offset:6160
	s_waitcnt lgkmcnt(0)
	s_barrier
	s_waitcnt vmcnt(9)
	v_mfma_f32_16x16x16bf16_1k v[26:29], v[22:23], v[30:31], v[26:29]
	v_mfma_f32_16x16x16bf16_1k v[22:25], v[24:25], v[32:33], v[26:29]
	s_waitcnt vmcnt(8)
	v_mfma_f32_16x16x16bf16_1k v[22:25], v[18:19], v[34:35], v[22:25]
	v_mfma_f32_16x16x16bf16_1k v[18:21], v[20:21], v[36:37], v[22:25]
	;; [unrolled: 3-line block ×4, first 2 shown]
	s_waitcnt vmcnt(5)
	v_mfma_f32_16x16x16bf16_1k v[2:5], v[14:15], v[46:47], v[2:5]
	s_nop 7
	v_bfe_u32 v6, v19, 16, 1
	v_bfe_u32 v7, v18, 16, 1
	v_add3_u32 v7, v18, v7, s10
	v_add3_u32 v6, v19, v6, s10
	v_perm_b32 v6, v6, v7, s11
	v_bfe_u32 v7, v21, 16, 1
	v_bfe_u32 v8, v20, 16, 1
	v_mfma_f32_16x16x16bf16_1k v[2:5], v[16:17], v[48:49], v[2:5]
	v_add3_u32 v8, v20, v8, s10
	v_add3_u32 v7, v21, v7, s10
	v_perm_b32 v7, v7, v8, s11
	s_waitcnt vmcnt(4)
	v_mfma_f32_16x16x16bf16_1k v[2:5], v[10:11], v[74:75], v[2:5]
	v_mfma_f32_16x16x16bf16_1k v[2:5], v[12:13], v[76:77], v[2:5]
	s_waitcnt vmcnt(3)
	v_mfma_f32_16x16x16bf16_1k v[2:5], v[54:55], v[38:39], v[2:5]
	v_mfma_f32_16x16x16bf16_1k v[2:5], v[56:57], v[40:41], v[2:5]
	;; [unrolled: 3-line block ×5, first 2 shown]
	s_nop 7
	s_nop 2
	v_bfe_u32 v8, v3, 16, 1
	v_bfe_u32 v9, v2, 16, 1
	v_add3_u32 v2, v2, v9, s10
	v_add3_u32 v3, v3, v8, s10
	v_perm_b32 v2, v3, v2, s11
	v_bfe_u32 v3, v5, 16, 1
	v_bfe_u32 v8, v4, 16, 1
	v_add3_u32 v4, v4, v8, s10
	v_add3_u32 v3, v5, v3, s10
	v_perm_b32 v3, v3, v4, s11
	ds_write2st64_b64 v78, v[6:7], v[2:3] offset1:1
	s_waitcnt lgkmcnt(0)
	s_barrier
	s_and_saveexec_b64 s[10:11], s[0:1]
	s_cbranch_execz .LBB363_21
; %bb.20:
	v_lshlrev_b32_e32 v1, 6, v1
	v_lshlrev_b32_e32 v2, 4, v0
	v_lshl_or_b32 v0, v0, 10, v1
	buffer_load_dword v1, off, s[44:47], 0 offset:4 ; 4-byte Folded Reload
	buffer_load_dword v4, off, s[44:47], 0  ; 4-byte Folded Reload
	s_load_dwordx2 s[0:1], s[4:5], 0x68
	s_lshl_b32 s7, s8, 7
	s_mul_i32 s2, s9, s6
	s_mul_hi_u32 s5, s2, s7
	s_mul_i32 s4, s2, s7
	s_lshl_b64 s[4:5], s[4:5], 1
	s_waitcnt lgkmcnt(0)
	s_add_u32 s4, s0, s4
	s_addc_u32 s5, s1, s5
	s_lshl_b32 s2, s28, 7
	s_lshl_b64 s[0:1], s[2:3], 1
	s_add_u32 s2, s4, s0
	s_addc_u32 s3, s5, s1
	v_and_b32_e32 v2, 16, v2
	v_and_b32_e32 v0, 0x1a00, v0
	v_mov_b32_e32 v6, s3
	s_waitcnt vmcnt(1)
	v_or3_b32 v0, v0, v1, v2
	s_waitcnt vmcnt(0)
	v_mad_u64_u32 v[4:5], s[0:1], s7, v4, 0
	v_lshlrev_b64 v[4:5], 1, v[4:5]
	v_add_co_u32_e32 v4, vcc, s2, v4
	ds_read_b128 v[0:3], v0
	v_addc_co_u32_e32 v5, vcc, v6, v5, vcc
	buffer_load_dword v6, off, s[44:47], 0 offset:8 ; 4-byte Folded Reload
	buffer_load_dword v7, off, s[44:47], 0 offset:12 ; 4-byte Folded Reload
	s_waitcnt vmcnt(1)
	v_add_co_u32_e32 v4, vcc, v4, v6
	s_waitcnt vmcnt(0)
	v_addc_co_u32_e32 v5, vcc, v5, v7, vcc
	s_waitcnt lgkmcnt(0)
	global_store_dwordx4 v[4:5], v[0:3], off
.LBB363_21:
	s_endpgm
	.section	.rodata,"a",@progbits
	.p2align	6, 0x0
	.amdhsa_kernel _Z39paged_attention_ll4mi_QKV_mfma16_kernelI14__hip_bfloat16S0_LN4vllm18Fp8KVCacheDataTypeE0ES0_Li32ELi128ELi256ELb1ELi4EL8MFMAType0EEvPKT_PKT0_S9_ifPKiSB_SB_iPKfiiiPfSE_PS4_PT2_iSD_SD_
		.amdhsa_group_segment_fixed_size 8192
		.amdhsa_private_segment_fixed_size 20
		.amdhsa_kernarg_size 400
		.amdhsa_user_sgpr_count 6
		.amdhsa_user_sgpr_private_segment_buffer 1
		.amdhsa_user_sgpr_dispatch_ptr 0
		.amdhsa_user_sgpr_queue_ptr 0
		.amdhsa_user_sgpr_kernarg_segment_ptr 1
		.amdhsa_user_sgpr_dispatch_id 0
		.amdhsa_user_sgpr_flat_scratch_init 0
		.amdhsa_user_sgpr_kernarg_preload_length 0
		.amdhsa_user_sgpr_kernarg_preload_offset 0
		.amdhsa_user_sgpr_private_segment_size 0
		.amdhsa_uses_dynamic_stack 0
		.amdhsa_system_sgpr_private_segment_wavefront_offset 1
		.amdhsa_system_sgpr_workgroup_id_x 1
		.amdhsa_system_sgpr_workgroup_id_y 1
		.amdhsa_system_sgpr_workgroup_id_z 1
		.amdhsa_system_sgpr_workgroup_info 0
		.amdhsa_system_vgpr_workitem_id 0
		.amdhsa_next_free_vgpr 96
		.amdhsa_next_free_sgpr 48
		.amdhsa_accum_offset 96
		.amdhsa_reserve_vcc 1
		.amdhsa_reserve_flat_scratch 0
		.amdhsa_float_round_mode_32 0
		.amdhsa_float_round_mode_16_64 0
		.amdhsa_float_denorm_mode_32 3
		.amdhsa_float_denorm_mode_16_64 3
		.amdhsa_dx10_clamp 1
		.amdhsa_ieee_mode 1
		.amdhsa_fp16_overflow 0
		.amdhsa_tg_split 0
		.amdhsa_exception_fp_ieee_invalid_op 0
		.amdhsa_exception_fp_denorm_src 0
		.amdhsa_exception_fp_ieee_div_zero 0
		.amdhsa_exception_fp_ieee_overflow 0
		.amdhsa_exception_fp_ieee_underflow 0
		.amdhsa_exception_fp_ieee_inexact 0
		.amdhsa_exception_int_div_zero 0
	.end_amdhsa_kernel
	.section	.text._Z39paged_attention_ll4mi_QKV_mfma16_kernelI14__hip_bfloat16S0_LN4vllm18Fp8KVCacheDataTypeE0ES0_Li32ELi128ELi256ELb1ELi4EL8MFMAType0EEvPKT_PKT0_S9_ifPKiSB_SB_iPKfiiiPfSE_PS4_PT2_iSD_SD_,"axG",@progbits,_Z39paged_attention_ll4mi_QKV_mfma16_kernelI14__hip_bfloat16S0_LN4vllm18Fp8KVCacheDataTypeE0ES0_Li32ELi128ELi256ELb1ELi4EL8MFMAType0EEvPKT_PKT0_S9_ifPKiSB_SB_iPKfiiiPfSE_PS4_PT2_iSD_SD_,comdat
.Lfunc_end363:
	.size	_Z39paged_attention_ll4mi_QKV_mfma16_kernelI14__hip_bfloat16S0_LN4vllm18Fp8KVCacheDataTypeE0ES0_Li32ELi128ELi256ELb1ELi4EL8MFMAType0EEvPKT_PKT0_S9_ifPKiSB_SB_iPKfiiiPfSE_PS4_PT2_iSD_SD_, .Lfunc_end363-_Z39paged_attention_ll4mi_QKV_mfma16_kernelI14__hip_bfloat16S0_LN4vllm18Fp8KVCacheDataTypeE0ES0_Li32ELi128ELi256ELb1ELi4EL8MFMAType0EEvPKT_PKT0_S9_ifPKiSB_SB_iPKfiiiPfSE_PS4_PT2_iSD_SD_
                                        ; -- End function
	.section	.AMDGPU.csdata,"",@progbits
; Kernel info:
; codeLenInByte = 5340
; NumSgprs: 52
; NumVgprs: 96
; NumAgprs: 0
; TotalNumVgprs: 96
; ScratchSize: 20
; MemoryBound: 0
; FloatMode: 240
; IeeeMode: 1
; LDSByteSize: 8192 bytes/workgroup (compile time only)
; SGPRBlocks: 6
; VGPRBlocks: 11
; NumSGPRsForWavesPerEU: 52
; NumVGPRsForWavesPerEU: 96
; AccumOffset: 96
; Occupancy: 5
; WaveLimiterHint : 1
; COMPUTE_PGM_RSRC2:SCRATCH_EN: 1
; COMPUTE_PGM_RSRC2:USER_SGPR: 6
; COMPUTE_PGM_RSRC2:TRAP_HANDLER: 0
; COMPUTE_PGM_RSRC2:TGID_X_EN: 1
; COMPUTE_PGM_RSRC2:TGID_Y_EN: 1
; COMPUTE_PGM_RSRC2:TGID_Z_EN: 1
; COMPUTE_PGM_RSRC2:TIDIG_COMP_CNT: 0
; COMPUTE_PGM_RSRC3_GFX90A:ACCUM_OFFSET: 23
; COMPUTE_PGM_RSRC3_GFX90A:TG_SPLIT: 0
	.section	.text._Z38paged_attention_ll4mi_QKV_mfma4_kernelI14__hip_bfloat16S0_LN4vllm18Fp8KVCacheDataTypeE0ES0_Li32ELi128ELi256ELb0ELi1EEvPKT_PKT0_S8_ifPKiSA_SA_iPKfiiiPfSD_PS3_PT2_iSC_SC_,"axG",@progbits,_Z38paged_attention_ll4mi_QKV_mfma4_kernelI14__hip_bfloat16S0_LN4vllm18Fp8KVCacheDataTypeE0ES0_Li32ELi128ELi256ELb0ELi1EEvPKT_PKT0_S8_ifPKiSA_SA_iPKfiiiPfSD_PS3_PT2_iSC_SC_,comdat
	.protected	_Z38paged_attention_ll4mi_QKV_mfma4_kernelI14__hip_bfloat16S0_LN4vllm18Fp8KVCacheDataTypeE0ES0_Li32ELi128ELi256ELb0ELi1EEvPKT_PKT0_S8_ifPKiSA_SA_iPKfiiiPfSD_PS3_PT2_iSC_SC_ ; -- Begin function _Z38paged_attention_ll4mi_QKV_mfma4_kernelI14__hip_bfloat16S0_LN4vllm18Fp8KVCacheDataTypeE0ES0_Li32ELi128ELi256ELb0ELi1EEvPKT_PKT0_S8_ifPKiSA_SA_iPKfiiiPfSD_PS3_PT2_iSC_SC_
	.globl	_Z38paged_attention_ll4mi_QKV_mfma4_kernelI14__hip_bfloat16S0_LN4vllm18Fp8KVCacheDataTypeE0ES0_Li32ELi128ELi256ELb0ELi1EEvPKT_PKT0_S8_ifPKiSA_SA_iPKfiiiPfSD_PS3_PT2_iSC_SC_
	.p2align	8
	.type	_Z38paged_attention_ll4mi_QKV_mfma4_kernelI14__hip_bfloat16S0_LN4vllm18Fp8KVCacheDataTypeE0ES0_Li32ELi128ELi256ELb0ELi1EEvPKT_PKT0_S8_ifPKiSA_SA_iPKfiiiPfSD_PS3_PT2_iSC_SC_,@function
_Z38paged_attention_ll4mi_QKV_mfma4_kernelI14__hip_bfloat16S0_LN4vllm18Fp8KVCacheDataTypeE0ES0_Li32ELi128ELi256ELb0ELi1EEvPKT_PKT0_S8_ifPKiSA_SA_iPKfiiiPfSD_PS3_PT2_iSC_SC_: ; @_Z38paged_attention_ll4mi_QKV_mfma4_kernelI14__hip_bfloat16S0_LN4vllm18Fp8KVCacheDataTypeE0ES0_Li32ELi128ELi256ELb0ELi1EEvPKT_PKT0_S8_ifPKiSA_SA_iPKfiiiPfSD_PS3_PT2_iSC_SC_
; %bb.0:
	s_load_dwordx2 s[2:3], s[4:5], 0x30
	s_mov_b32 s24, s7
	s_mov_b64 s[0:1], 0
	s_waitcnt lgkmcnt(0)
	s_cmp_lg_u64 s[2:3], 0
	s_cselect_b64 s[10:11], -1, 0
	s_and_b64 vcc, exec, s[10:11]
	s_cbranch_vccz .LBB364_10
; %bb.1:
	s_add_i32 s12, s6, 1
	s_mov_b32 s13, 0
	s_lshl_b64 s[14:15], s[12:13], 2
	s_add_u32 s14, s2, s14
	s_mov_b32 s7, s13
	s_addc_u32 s15, s3, s15
	s_lshl_b64 s[12:13], s[6:7], 2
	s_add_u32 s12, s2, s12
	s_addc_u32 s13, s3, s13
	s_load_dword s9, s[14:15], 0x0
	s_load_dword s16, s[12:13], 0x0
	s_waitcnt lgkmcnt(0)
	s_sub_i32 s9, s9, s16
	s_cmp_eq_u32 s9, 1
	s_cselect_b64 s[12:13], -1, 0
	s_andn2_b64 vcc, exec, s[0:1]
	s_cbranch_vccnz .LBB364_3
.LBB364_2:
	s_mov_b32 s7, 0
	s_mov_b64 s[12:13], -1
.LBB364_3:
	s_andn2_b64 vcc, exec, s[12:13]
	s_cbranch_vccnz .LBB364_25
; %bb.4:
	s_load_dword s9, s[4:5], 0x9c
	s_load_dwordx2 s[0:1], s[4:5], 0x28
	s_add_u32 s28, s4, 0x90
	s_addc_u32 s29, s5, 0
	s_lshl_b64 s[16:17], s[6:7], 2
	s_waitcnt lgkmcnt(0)
	s_and_b32 s12, s9, 0xffff
	s_add_u32 s0, s0, s16
	s_addc_u32 s1, s1, s17
	s_load_dword s9, s[0:1], 0x0
	s_mul_i32 s18, s24, s12
	s_waitcnt lgkmcnt(0)
	s_cmp_ge_i32 s18, s9
	s_cbranch_scc1 .LBB364_25
; %bb.5:
	v_and_b32_e32 v1, 0xc0, v0
	v_add_u32_e32 v2, s18, v1
	v_lshrrev_b32_e32 v70, 6, v0
	v_cmp_le_i32_e64 s[0:1], s9, v2
                                        ; implicit-def: $sgpr20
                                        ; implicit-def: $sgpr19
	s_and_saveexec_b64 s[12:13], s[0:1]
	s_xor_b64 s[12:13], exec, s[12:13]
	s_cbranch_execz .LBB364_7
; %bb.6:
	v_mul_u32_u24_e32 v1, 20, v70
	v_or_b32_e32 v1, 0x1400, v1
	v_mov_b32_e32 v2, 0x1450
	v_mov_b32_e32 v3, 0xff7fffff
	v_mad_u32_u24 v2, v70, 20, v2
	ds_write2_b32 v1, v3, v3 offset1:1
	v_mov_b32_e32 v1, 0
	ds_write2_b32 v2, v1, v1 offset1:1
	v_mov_b32_e32 v2, 0x1408
	s_mov_b32 s19, 0xff7fffff
	s_mov_b32 s20, 0
	v_mad_u32_u24 v2, v70, 20, v2
	v_mov_b32_e32 v4, 0x1458
	v_mad_u32_u24 v4, v70, 20, v4
	ds_write2_b32 v2, v3, v3 offset1:1
	ds_write2_b32 v4, v1, v1 offset1:1
                                        ; implicit-def: $vgpr2
.LBB364_7:
	s_or_saveexec_b64 s[30:31], s[12:13]
	s_load_dwordx2 s[26:27], s[4:5], 0x68
	s_load_dwordx4 s[12:15], s[4:5], 0x58
	s_load_dword s7, s[28:29], 0x4
	v_and_b32_e32 v1, 63, v0
	v_and_b32_e32 v71, 3, v0
	v_mov_b32_e32 v69, s20
	v_mov_b32_e32 v72, s19
	;; [unrolled: 1-line block ×5, first 2 shown]
                                        ; implicit-def: $vgpr3
                                        ; implicit-def: $vgpr7
                                        ; implicit-def: $vgpr11
                                        ; implicit-def: $vgpr19
                                        ; implicit-def: $vgpr47
                                        ; implicit-def: $vgpr35
                                        ; implicit-def: $vgpr39
                                        ; implicit-def: $vgpr43
                                        ; implicit-def: $vgpr27
                                        ; implicit-def: $vgpr15
                                        ; implicit-def: $vgpr23
                                        ; implicit-def: $vgpr31
                                        ; implicit-def: $vgpr51
                                        ; implicit-def: $vgpr55
                                        ; implicit-def: $vgpr59
                                        ; implicit-def: $vgpr63
	s_xor_b64 exec, exec, s[30:31]
	s_cbranch_execz .LBB364_17
; %bb.8:
	s_add_i32 s22, s9, 31
	s_load_dwordx2 s[20:21], s[4:5], 0x20
	s_load_dword s19, s[4:5], 0x38
	s_ashr_i32 s23, s22, 31
	s_lshr_b32 s23, s23, 27
	v_add_u32_e32 v66, s18, v0
	s_add_i32 s22, s22, s23
	v_ashrrev_i32_e32 v3, 31, v66
	s_ashr_i32 s22, s22, 5
	v_lshrrev_b32_e32 v3, 27, v3
	s_add_i32 s25, s22, -1
	v_add_u32_e32 v3, v66, v3
	s_waitcnt lgkmcnt(0)
	s_mul_i32 s22, s6, s19
	s_mov_b32 s23, 0
	v_ashrrev_i32_e32 v3, 5, v3
	v_mov_b32_e32 v4, s25
	v_cmp_gt_i32_e32 vcc, s9, v66
	s_lshl_b64 s[22:23], s[22:23], 2
	v_cndmask_b32_e32 v4, v4, v3, vcc
	s_add_u32 s19, s20, s22
	v_ashrrev_i32_e32 v5, 31, v4
	s_addc_u32 s20, s21, s23
	v_lshlrev_b64 v[4:5], 2, v[4:5]
	v_mov_b32_e32 v3, s20
	v_add_co_u32_e32 v4, vcc, s19, v4
	v_addc_co_u32_e32 v5, vcc, v3, v5, vcc
	v_ashrrev_i32_e32 v3, 31, v2
	v_lshrrev_b32_e32 v3, 27, v3
	v_add_u32_e32 v2, v2, v3
	v_ashrrev_i32_e32 v8, 5, v2
	v_min_i32_e32 v2, s25, v8
	v_ashrrev_i32_e32 v3, 31, v2
	v_lshlrev_b64 v[2:3], 2, v[2:3]
	v_add_co_u32_e32 v6, vcc, s19, v2
	v_add_u32_e32 v2, 1, v8
	v_mov_b32_e32 v7, s20
	v_min_i32_e32 v2, s25, v2
	v_addc_co_u32_e32 v7, vcc, v7, v3, vcc
	v_ashrrev_i32_e32 v3, 31, v2
	v_lshlrev_b64 v[2:3], 2, v[2:3]
	v_mov_b32_e32 v9, s20
	v_add_co_u32_e32 v8, vcc, s19, v2
	v_addc_co_u32_e32 v9, vcc, v9, v3, vcc
	global_load_dword v3, v[4:5], off
	global_load_dword v2, v[6:7], off
	;; [unrolled: 1-line block ×3, first 2 shown]
	s_load_dwordx4 s[20:23], s[4:5], 0x8
	s_andn2_b64 vcc, exec, s[10:11]
	s_cbranch_vccnz .LBB364_11
; %bb.9:
	s_add_u32 s2, s2, s16
	s_addc_u32 s3, s3, s17
	s_load_dword s2, s[2:3], 0x0
	s_branch .LBB364_12
.LBB364_10:
	s_mov_b64 s[12:13], 0
	s_branch .LBB364_2
.LBB364_11:
	s_mov_b32 s2, s6
.LBB364_12:
	s_load_dwordx4 s[16:19], s[4:5], 0x48
	v_cmp_eq_u32_e32 vcc, 0, v71
	s_mov_b32 s3, 0
	v_mov_b32_e32 v67, 0
	v_mov_b32_e32 v35, 0
	;; [unrolled: 1-line block ×6, first 2 shown]
	s_and_saveexec_b64 s[10:11], vcc
	s_cbranch_execz .LBB364_14
; %bb.13:
	s_load_dwordx2 s[34:35], s[4:5], 0x0
	s_waitcnt lgkmcnt(0)
	s_ashr_i32 s19, s16, 31
	s_mul_hi_u32 s25, s2, s16
	s_mul_i32 s19, s2, s19
	s_add_i32 s37, s25, s19
	s_mul_i32 s36, s2, s16
	s_lshl_b64 s[36:37], s[36:37], 1
	s_add_u32 s16, s34, s36
	s_addc_u32 s19, s35, s37
	s_lshl_b32 s2, s8, 7
	s_lshl_b64 s[34:35], s[2:3], 1
	s_add_u32 s34, s16, s34
	s_addc_u32 s35, s19, s35
	v_lshlrev_b32_e32 v4, 2, v1
	global_load_dwordx4 v[56:59], v4, s[34:35]
	v_mov_b32_e32 v67, 1.0
.LBB364_14:
	s_or_b64 exec, exec, s[10:11]
	s_waitcnt vmcnt(2) lgkmcnt(0)
	v_mad_i64_i32 v[4:5], s[10:11], v3, s17, 0
	s_mul_i32 s2, s8, s18
	s_lshl_b64 s[10:11], s[2:3], 1
	s_add_u32 s2, s10, s20
	v_lshlrev_b64 v[4:5], 1, v[4:5]
	s_addc_u32 s3, s11, s21
	v_mov_b32_e32 v3, s3
	v_add_co_u32_e32 v34, vcc, s2, v4
	v_and_b32_e32 v4, 31, v0
	v_addc_co_u32_e32 v3, vcc, v3, v5, vcc
	v_lshlrev_b32_e32 v37, 4, v4
	v_add_co_u32_e32 v32, vcc, v34, v37
	v_addc_co_u32_e32 v33, vcc, 0, v3, vcc
	global_load_dwordx4 v[4:7], v[32:33], off
	global_load_dwordx4 v[8:11], v[32:33], off offset:512
	global_load_dwordx4 v[12:15], v[32:33], off offset:1024
	;; [unrolled: 1-line block ×7, first 2 shown]
	v_or_b32_e32 v42, 0x1000, v37
	v_add_co_u32_e32 v32, vcc, v34, v42
	v_addc_co_u32_e32 v33, vcc, 0, v3, vcc
	global_load_dwordx4 v[42:45], v[32:33], off
	v_or_b32_e32 v46, 0x1200, v37
	v_add_co_u32_e32 v32, vcc, v34, v46
	v_addc_co_u32_e32 v33, vcc, 0, v3, vcc
	global_load_dwordx4 v[46:49], v[32:33], off
	;; [unrolled: 4-line block ×6, first 2 shown]
	v_or_b32_e32 v32, 0x1c00, v37
	v_add_co_u32_e32 v32, vcc, v34, v32
	v_addc_co_u32_e32 v33, vcc, 0, v3, vcc
	v_mov_b32_e32 v54, 0x1e00
	global_load_dwordx4 v[80:83], v[32:33], off
	v_lshl_or_b32 v54, v0, 4, v54
	s_waitcnt vmcnt(16)
	v_mul_hi_i32 v55, v2, s17
	v_ashrrev_i32_e32 v55, 31, v55
	s_load_dword s2, s[4:5], 0x1c
	s_add_u32 s3, s22, s10
	s_addc_u32 s10, s23, s11
	v_lshlrev_b32_e32 v64, 6, v1
	s_waitcnt vmcnt(14)
	v_mfma_f32_4x4x4bf16_1k a[0:3], v[56:57], v[4:5], 0 cbsz:4
	v_add_co_u32_e32 v4, vcc, v34, v54
	v_addc_co_u32_e32 v5, vcc, 0, v3, vcc
	global_load_dwordx4 v[84:87], v[4:5], off
	v_mfma_f32_4x4x4bf16_1k a[0:3], v[58:59], v[6:7], a[0:3] cbsz:4
	v_lshrrev_b32_e32 v34, 29, v55
	s_waitcnt vmcnt(14)
	v_mfma_f32_4x4x4bf16_1k a[0:3], v[56:57], v[8:9], a[0:3] cbsz:4 abid:1
	v_mad_i64_i32 v[2:3], s[4:5], v2, s17, v[34:35]
	v_mfma_f32_4x4x4bf16_1k a[0:3], v[58:59], v[10:11], a[0:3] cbsz:4 abid:1
	v_lshlrev_b64 v[2:3], 1, v[2:3]
	s_waitcnt vmcnt(13)
	v_mfma_f32_4x4x4bf16_1k a[0:3], v[56:57], v[12:13], a[0:3] cbsz:4 abid:2
	v_and_b32_e32 v2, -16, v2
	v_mfma_f32_4x4x4bf16_1k a[0:3], v[58:59], v[14:15], a[0:3] cbsz:4 abid:2
	v_mov_b32_e32 v4, s10
	s_waitcnt vmcnt(12)
	v_mfma_f32_4x4x4bf16_1k a[0:3], v[56:57], v[16:17], a[0:3] cbsz:4 abid:3
	v_add_co_u32_e32 v16, vcc, s3, v2
	v_mfma_f32_4x4x4bf16_1k a[0:3], v[58:59], v[18:19], a[0:3] cbsz:4 abid:3
	v_mul_hi_i32 v34, v36, s17
	s_waitcnt vmcnt(11)
	v_mfma_f32_4x4x4bf16_1k a[0:3], v[56:57], v[20:21], a[0:3] cbsz:4 abid:4
	v_addc_co_u32_e32 v17, vcc, v4, v3, vcc
	v_mfma_f32_4x4x4bf16_1k a[0:3], v[58:59], v[22:23], a[0:3] cbsz:4 abid:4
	v_ashrrev_i32_e32 v34, 31, v34
	s_waitcnt vmcnt(10)
	v_mfma_f32_4x4x4bf16_1k a[0:3], v[56:57], v[24:25], a[0:3] cbsz:4 abid:5
	v_add_co_u32_e32 v14, vcc, v16, v64
	v_mfma_f32_4x4x4bf16_1k a[0:3], v[58:59], v[26:27], a[0:3] cbsz:4 abid:5
	v_lshrrev_b32_e32 v34, 29, v34
	s_waitcnt vmcnt(9)
	v_mfma_f32_4x4x4bf16_1k a[0:3], v[56:57], v[28:29], a[0:3] cbsz:4 abid:6
	v_or_b32_e32 v54, 0x1000, v64
	v_mfma_f32_4x4x4bf16_1k a[0:3], v[58:59], v[30:31], a[0:3] cbsz:4 abid:6
	v_addc_co_u32_e32 v15, vcc, 0, v17, vcc
	s_waitcnt vmcnt(8)
	v_mfma_f32_4x4x4bf16_1k a[0:3], v[56:57], v[38:39], a[0:3] cbsz:4 abid:7
	v_mad_i64_i32 v[34:35], s[4:5], v36, s17, v[34:35]
	v_mfma_f32_4x4x4bf16_1k a[0:3], v[58:59], v[40:41], a[0:3] cbsz:4 abid:7
	v_add_co_u32_e32 v38, vcc, v16, v54
	s_waitcnt vmcnt(7)
	v_mfma_f32_4x4x4bf16_1k a[0:3], v[56:57], v[42:43], a[0:3] cbsz:4 abid:8
	v_lshlrev_b64 v[34:35], 1, v[34:35]
	v_mfma_f32_4x4x4bf16_1k a[0:3], v[58:59], v[44:45], a[0:3] cbsz:4 abid:8
	v_addc_co_u32_e32 v39, vcc, 0, v17, vcc
	s_waitcnt vmcnt(6)
	v_mfma_f32_4x4x4bf16_1k a[0:3], v[56:57], v[46:47], a[0:3] cbsz:4 abid:9
	v_and_b32_e32 v34, -16, v34
	v_mfma_f32_4x4x4bf16_1k a[0:3], v[58:59], v[48:49], a[0:3] cbsz:4 abid:9
	v_mov_b32_e32 v36, s10
	s_waitcnt vmcnt(5)
	v_mfma_f32_4x4x4bf16_1k a[0:3], v[56:57], v[50:51], a[0:3] cbsz:4 abid:10
	global_load_dwordx4 v[2:5], v[14:15], off
	global_load_dwordx4 v[6:9], v[14:15], off offset:16
	v_mfma_f32_4x4x4bf16_1k a[0:3], v[58:59], v[52:53], a[0:3] cbsz:4 abid:10
	v_add_co_u32_e32 v52, vcc, s3, v34
	s_waitcnt vmcnt(6)
	v_mfma_f32_4x4x4bf16_1k a[0:3], v[56:57], v[60:61], a[0:3] cbsz:4 abid:11
	v_addc_co_u32_e32 v53, vcc, v36, v35, vcc
	v_mfma_f32_4x4x4bf16_1k a[0:3], v[58:59], v[62:63], a[0:3] cbsz:4 abid:11
	v_add_co_u32_e32 v50, vcc, v52, v64
	s_waitcnt vmcnt(5)
	v_mfma_f32_4x4x4bf16_1k a[0:3], v[56:57], v[72:73], a[0:3] cbsz:4 abid:12
	v_addc_co_u32_e32 v51, vcc, 0, v53, vcc
	;; [unrolled: 5-line block ×3, first 2 shown]
	v_mfma_f32_4x4x4bf16_1k a[0:3], v[58:59], v[78:79], a[0:3] cbsz:4 abid:13
	global_load_dwordx4 v[10:13], v[14:15], off offset:32
	global_load_dwordx4 v[18:21], v[14:15], off offset:48
	s_waitcnt vmcnt(5)
	v_mfma_f32_4x4x4bf16_1k a[0:3], v[56:57], v[80:81], a[0:3] cbsz:4 abid:14
	global_load_dwordx4 v[26:29], v[38:39], off
	global_load_dwordx4 v[14:17], v[38:39], off offset:16
	v_mfma_f32_4x4x4bf16_1k a[0:3], v[58:59], v[82:83], a[0:3] cbsz:4 abid:14
	global_load_dwordx4 v[22:25], v[38:39], off offset:32
	global_load_dwordx4 v[30:33], v[38:39], off offset:48
	s_waitcnt vmcnt(8)
	v_mfma_f32_4x4x4bf16_1k a[0:3], v[56:57], v[84:85], a[0:3] cbsz:4 abid:15
	global_load_dwordx4 v[46:49], v[50:51], off
	global_load_dwordx4 v[34:37], v[50:51], off offset:16
	v_mfma_f32_4x4x4bf16_1k a[0:3], v[58:59], v[86:87], a[0:3] cbsz:4 abid:15
	global_load_dwordx4 v[38:41], v[50:51], off offset:32
	global_load_dwordx4 v[42:45], v[50:51], off offset:48
	s_nop 0
	global_load_dwordx4 v[50:53], v[68:69], off
	global_load_dwordx4 v[54:57], v[68:69], off offset:16
	v_accvgpr_read_b32 v59, a1
	v_accvgpr_read_b32 v58, a0
	s_waitcnt lgkmcnt(0)
	v_pk_mul_f32 v[72:73], s[2:3], v[58:59] op_sel_hi:[0,1]
	global_load_dwordx4 v[58:61], v[68:69], off offset:32
	global_load_dwordx4 v[62:65], v[68:69], off offset:48
	v_accvgpr_read_b32 v69, a3
	v_accvgpr_read_b32 v68, a2
	v_pk_mul_f32 v[68:69], s[2:3], v[68:69] op_sel_hi:[0,1]
	v_mfma_f32_4x4x1f32 a[0:3], v72, v67, 0
	v_cmp_eq_u32_e32 vcc, 1, v71
	v_cndmask_b32_e64 v67, 0, 1.0, vcc
	v_cmp_eq_u32_e32 vcc, 2, v71
	s_nop 0
	v_mfma_f32_4x4x1f32 a[0:3], v73, v67, a[0:3]
	v_cndmask_b32_e64 v67, 0, 1.0, vcc
	v_cmp_eq_u32_e32 vcc, 3, v71
	v_mov_b32_e32 v73, 0xff7fffff
	v_mfma_f32_4x4x1f32 a[0:3], v68, v67, a[0:3]
	v_cndmask_b32_e64 v67, 0, 1.0, vcc
	v_lshlrev_b32_e32 v68, 2, v0
	v_and_or_b32 v68, v68, 48, v71
	v_mfma_f32_4x4x1f32 a[0:3], v69, v67, a[0:3]
	v_and_b32_e32 v67, -4, v66
	v_cmp_gt_i32_e32 vcc, s9, v67
	v_or_b32_e32 v66, 3, v66
	v_cmp_gt_i32_e64 s[10:11], s9, v66
	v_lshlrev_b32_e32 v76, 2, v68
	v_accvgpr_read_b32 v69, a0
	v_max_f32_e32 v72, v69, v69
	v_max_f32_e32 v72, 0xff7fffff, v72
	v_accvgpr_read_b32 v74, a1
	v_cndmask_b32_e32 v72, v73, v72, vcc
	v_or_b32_e32 v73, 1, v67
	v_max_f32_e32 v75, v74, v74
	v_max_f32_e32 v75, v72, v75
	v_cmp_gt_i32_e64 s[2:3], s9, v73
	v_accvgpr_read_b32 v73, a2
	v_cndmask_b32_e64 v72, v72, v75, s[2:3]
	v_or_b32_e32 v67, 2, v67
	v_max_f32_e32 v75, v73, v73
	v_max_f32_e32 v75, v72, v75
	v_cmp_gt_i32_e64 s[4:5], s9, v67
	v_cndmask_b32_e64 v67, v72, v75, s[4:5]
	v_accvgpr_read_b32 v75, a3
	v_max_f32_e32 v72, v75, v75
	v_max_f32_e32 v72, v67, v72
	v_cndmask_b32_e64 v66, v67, v72, s[10:11]
	;;#ASMSTART
	v_nop
 v_nop
 v_max_f32_dpp v66, v66, v66 row_ror:4
	;;#ASMEND
	;;#ASMSTART
	v_nop
 v_nop
 v_max_f32_dpp v66, v66, v66 row_ror:8
	;;#ASMEND
	ds_bpermute_b32 v66, v76, v66
	s_waitcnt lgkmcnt(0)
	;;#ASMSTART
	v_nop
 v_nop
 v_max_f32_dpp v66, v66, v66 row_ror:4
	;;#ASMEND
	;;#ASMSTART
	v_nop
 v_nop
 v_max_f32_dpp v72, v66, v66 row_ror:8
	;;#ASMEND
	v_sub_f32_e32 v66, v69, v72
	v_mul_f32_e32 v66, 0x3fb8aa3b, v66
	v_sub_f32_e32 v67, v74, v72
	v_exp_f32_e32 v66, v66
	v_mul_f32_e32 v67, 0x3fb8aa3b, v67
	v_sub_f32_e32 v69, v73, v72
	v_exp_f32_e32 v67, v67
	;; [unrolled: 3-line block ×3, first 2 shown]
	v_mul_f32_e32 v73, 0x3fb8aa3b, v73
	v_exp_f32_e32 v73, v73
	v_cndmask_b32_e32 v66, 0, v66, vcc
	v_add_f32_e32 v68, 0, v66
	v_cndmask_b32_e64 v67, 0, v67, s[2:3]
	v_add_f32_e32 v74, v68, v67
	v_cndmask_b32_e64 v68, 0, v69, s[4:5]
	;; [unrolled: 2-line block ×3, first 2 shown]
	v_add_f32_e32 v73, v74, v69
	;;#ASMSTART
	v_nop
 v_nop
 v_add_f32_dpp v73, v73, v73 row_ror:4
	;;#ASMEND
	;;#ASMSTART
	v_nop
 v_nop
 v_add_f32_dpp v73, v73, v73 row_ror:8
	;;#ASMEND
	ds_bpermute_b32 v73, v76, v73
	s_waitcnt lgkmcnt(0)
	;;#ASMSTART
	v_nop
 v_nop
 v_add_f32_dpp v73, v73, v73 row_ror:4
	;;#ASMEND
	v_cmp_gt_u32_e32 vcc, 4, v1
	;;#ASMSTART
	v_nop
 v_nop
 v_add_f32_dpp v73, v73, v73 row_ror:8
	;;#ASMEND
	s_and_saveexec_b64 s[2:3], vcc
	s_cbranch_execz .LBB364_16
; %bb.15:
	v_mul_u32_u24_e32 v74, 20, v70
	v_lshl_add_u32 v74, v71, 2, v74
	v_add_u32_e32 v74, 0x1400, v74
	ds_write2_b32 v74, v72, v73 offset1:20
.LBB364_16:
	s_or_b64 exec, exec, s[2:3]
.LBB364_17:
	s_or_b64 exec, exec, s[30:31]
	s_waitcnt lgkmcnt(0)
	s_barrier
	s_load_dword s2, s[28:29], 0x8
	v_lshlrev_b32_e32 v73, 2, v71
	v_add_u32_e32 v75, 0x1400, v73
	ds_read2_b32 v[76:77], v75 offset1:5
	ds_read2_b32 v[78:79], v75 offset0:10 offset1:15
	s_mul_i32 s3, s7, s6
	s_waitcnt lgkmcnt(0)
	s_mul_i32 s2, s3, s2
	s_mov_b32 s3, 0xff7fffff
	v_max3_f32 v73, v76, s3, v77
	v_max3_f32 v74, v73, v78, v79
	v_sub_f32_e32 v73, v76, v74
	v_sub_f32_e32 v76, v77, v74
	v_mul_f32_e32 v76, 0x3fb8aa3b, v76
	ds_read2_b32 v[80:81], v75 offset0:20 offset1:25
	v_mul_f32_e32 v73, 0x3fb8aa3b, v73
	v_exp_f32_e32 v83, v76
	ds_read2_b32 v[76:77], v75 offset0:30 offset1:35
	v_sub_f32_e32 v75, v78, v74
	v_exp_f32_e32 v82, v73
	v_mul_f32_e32 v75, 0x3fb8aa3b, v75
	v_exp_f32_e32 v78, v75
	v_sub_f32_e32 v75, v79, v74
	v_mul_f32_e32 v75, 0x3fb8aa3b, v75
	v_exp_f32_e32 v79, v75
	s_waitcnt lgkmcnt(1)
	v_fma_f32 v75, v82, v80, 0
	v_fmac_f32_e32 v75, v83, v81
	s_waitcnt lgkmcnt(0)
	v_fmac_f32_e32 v75, v78, v76
	v_mov_b32_e32 v73, 0
	v_fmac_f32_e32 v75, v79, v77
	s_mov_b32 s3, 0
	v_cmp_eq_u32_e32 vcc, 0, v71
	s_and_saveexec_b64 s[4:5], vcc
	s_cbranch_execz .LBB364_19
; %bb.18:
	s_lshl_b64 s[10:11], s[2:3], 2
	s_add_u32 s6, s12, s10
	s_mov_b32 s25, s3
	s_addc_u32 s9, s13, s11
	s_lshl_b64 s[12:13], s[24:25], 2
	s_add_u32 s6, s6, s12
	s_addc_u32 s9, s9, s13
	s_add_u32 s10, s14, s10
	s_addc_u32 s11, s15, s11
	;; [unrolled: 2-line block ×3, first 2 shown]
	s_mul_i32 s10, s7, s8
	s_mov_b32 s11, s3
	s_lshl_b64 s[10:11], s[10:11], 2
	s_add_u32 s12, s6, s10
	s_addc_u32 s13, s9, s11
	s_add_u32 s10, s14, s10
	s_addc_u32 s11, s15, s11
	global_store_dword v73, v74, s[10:11]
	global_store_dword v73, v75, s[12:13]
.LBB364_19:
	s_or_b64 exec, exec, s[4:5]
	v_lshlrev_b32_e32 v73, 3, v70
                                        ; implicit-def: $sgpr3
	s_and_saveexec_b64 s[4:5], s[0:1]
	s_xor_b64 s[0:1], exec, s[4:5]
	s_cbranch_execz .LBB364_21
; %bb.20:
	s_waitcnt vmcnt(15)
	v_mov_b32_e32 v2, 0
	v_mad_u32_u24 v4, v1, 40, v73
	s_mov_b32 s3, 0
	v_mov_b32_e32 v3, v2
	ds_write_b64 v4, v[2:3]
                                        ; implicit-def: $vgpr69
                                        ; implicit-def: $vgpr67
                                        ; implicit-def: $vgpr3
                                        ; implicit-def: $vgpr7
                                        ; implicit-def: $vgpr11
                                        ; implicit-def: $vgpr19
                                        ; implicit-def: $vgpr47
                                        ; implicit-def: $vgpr35
                                        ; implicit-def: $vgpr39
                                        ; implicit-def: $vgpr43
                                        ; implicit-def: $vgpr27
                                        ; implicit-def: $vgpr15
                                        ; implicit-def: $vgpr23
                                        ; implicit-def: $vgpr31
                                        ; implicit-def: $vgpr51
                                        ; implicit-def: $vgpr55
                                        ; implicit-def: $vgpr59
                                        ; implicit-def: $vgpr63
                                        ; implicit-def: $vgpr72
                                        ; implicit-def: $vgpr74
                                        ; implicit-def: $vgpr75
.LBB364_21:
	s_or_saveexec_b64 s[0:1], s[0:1]
	v_mov_b32_e32 v70, s3
	v_mov_b32_e32 v71, s3
	s_xor_b64 exec, exec, s[0:1]
	s_cbranch_execz .LBB364_23
; %bb.22:
	v_add_f32_e32 v70, 0x358637bd, v75
	v_div_scale_f32 v71, s[4:5], v70, v70, 1.0
	v_rcp_f32_e32 v75, v71
	v_sub_f32_e32 v72, v72, v74
	v_mul_f32_e32 v72, 0x3fb8aa3b, v72
	v_exp_f32_e32 v72, v72
	v_fma_f32 v74, -v71, v75, 1.0
	v_fmac_f32_e32 v75, v74, v75
	v_div_scale_f32 v74, vcc, 1.0, v70, 1.0
	v_mul_f32_e32 v76, v74, v75
	v_fma_f32 v77, -v71, v76, v74
	v_fmac_f32_e32 v76, v77, v75
	v_fma_f32 v71, -v71, v76, v74
	v_div_fmas_f32 v71, v71, v75, v76
	v_div_fixup_f32 v70, v71, v70, 1.0
	v_mul_f32_e32 v70, v72, v70
	v_pk_mul_f32 v[66:67], v[66:67], v[70:71] op_sel_hi:[1,0]
	v_pk_mul_f32 v[68:69], v[68:69], v[70:71] op_sel_hi:[1,0]
	v_bfe_u32 v70, v67, 16, 1
	v_bfe_u32 v71, v66, 16, 1
	s_movk_i32 s3, 0x7fff
	v_add3_u32 v66, v66, v71, s3
	v_add3_u32 v67, v67, v70, s3
	s_mov_b32 s4, 0x7060302
	v_perm_b32 v66, v67, v66, s4
	v_bfe_u32 v67, v69, 16, 1
	v_bfe_u32 v70, v68, 16, 1
	v_add3_u32 v68, v68, v70, s3
	v_add3_u32 v67, v69, v67, s3
	v_perm_b32 v67, v67, v68, s4
	s_waitcnt vmcnt(15)
	s_nop 0
	v_mfma_f32_4x4x4bf16_1k a[0:3], v[66:67], v[2:3], 0 cbsz:4
	v_mfma_f32_4x4x4bf16_1k a[0:3], v[66:67], v[4:5], a[0:3] cbsz:4 abid:1
	s_waitcnt vmcnt(14)
	v_mfma_f32_4x4x4bf16_1k a[0:3], v[66:67], v[6:7], a[0:3] cbsz:4 abid:2
	v_mfma_f32_4x4x4bf16_1k a[0:3], v[66:67], v[8:9], a[0:3] cbsz:4 abid:3
	s_waitcnt vmcnt(13)
	v_mfma_f32_4x4x4bf16_1k a[0:3], v[66:67], v[10:11], a[0:3] cbsz:4 abid:4
	;; [unrolled: 3-line block ×6, first 2 shown]
	v_mfma_f32_4x4x4bf16_1k a[4:7], v[66:67], v[26:27], 0 cbsz:4
	v_mfma_f32_4x4x4bf16_1k a[0:3], v[66:67], v[40:41], a[0:3] cbsz:4 abid:13
	v_mfma_f32_4x4x4bf16_1k a[4:7], v[66:67], v[28:29], a[4:7] cbsz:4 abid:1
	s_waitcnt vmcnt(4)
	v_mfma_f32_4x4x4bf16_1k a[0:3], v[66:67], v[42:43], a[0:3] cbsz:4 abid:14
	v_mfma_f32_4x4x4bf16_1k a[4:7], v[66:67], v[14:15], a[4:7] cbsz:4 abid:2
	;; [unrolled: 1-line block ×3, first 2 shown]
	s_nop 4
	v_accvgpr_read_b32 v3, a2
	v_accvgpr_read_b32 v4, a3
	;; [unrolled: 1-line block ×4, first 2 shown]
	v_mfma_f32_4x4x4bf16_1k a[0:3], v[66:67], v[16:17], a[4:7] cbsz:4 abid:3
	v_bfe_u32 v6, v5, 16, 1
	v_mfma_f32_4x4x4bf16_1k a[0:3], v[66:67], v[22:23], a[0:3] cbsz:4 abid:4
	v_bfe_u32 v7, v2, 16, 1
	v_mfma_f32_4x4x4bf16_1k a[0:3], v[66:67], v[24:25], a[0:3] cbsz:4 abid:5
	v_add3_u32 v2, v2, v7, s3
	v_mfma_f32_4x4x4bf16_1k a[0:3], v[66:67], v[30:31], a[0:3] cbsz:4 abid:6
	v_add3_u32 v5, v5, v6, s3
	v_mfma_f32_4x4x4bf16_1k a[0:3], v[66:67], v[32:33], a[0:3] cbsz:4 abid:7
	v_perm_b32 v2, v5, v2, s4
	s_waitcnt vmcnt(3)
	v_mfma_f32_4x4x4bf16_1k a[0:3], v[66:67], v[50:51], a[0:3] cbsz:4 abid:8
	v_bfe_u32 v5, v4, 16, 1
	v_mfma_f32_4x4x4bf16_1k a[0:3], v[66:67], v[52:53], a[0:3] cbsz:4 abid:9
	v_bfe_u32 v6, v3, 16, 1
	s_waitcnt vmcnt(2)
	v_mfma_f32_4x4x4bf16_1k a[0:3], v[66:67], v[54:55], a[0:3] cbsz:4 abid:10
	v_add3_u32 v3, v3, v6, s3
	v_mfma_f32_4x4x4bf16_1k a[0:3], v[66:67], v[56:57], a[0:3] cbsz:4 abid:11
	v_add3_u32 v4, v4, v5, s3
	s_waitcnt vmcnt(1)
	v_mfma_f32_4x4x4bf16_1k a[0:3], v[66:67], v[58:59], a[0:3] cbsz:4 abid:12
	v_perm_b32 v3, v4, v3, s4
	v_mfma_f32_4x4x4bf16_1k a[0:3], v[66:67], v[60:61], a[0:3] cbsz:4 abid:13
	v_mad_u32_u24 v4, v1, 40, v73
	s_waitcnt vmcnt(0)
	v_mfma_f32_4x4x4bf16_1k a[0:3], v[66:67], v[62:63], a[0:3] cbsz:4 abid:14
	ds_write_b64 v4, v[2:3]
	v_mfma_f32_4x4x4bf16_1k a[0:3], v[66:67], v[64:65], a[0:3] cbsz:4 abid:15
	s_nop 4
	v_accvgpr_read_b32 v4, a0
	v_accvgpr_read_b32 v5, a1
	;; [unrolled: 1-line block ×4, first 2 shown]
	v_bfe_u32 v6, v5, 16, 1
	v_bfe_u32 v7, v4, 16, 1
	v_add3_u32 v4, v4, v7, s3
	v_add3_u32 v5, v5, v6, s3
	v_bfe_u32 v6, v3, 16, 1
	v_bfe_u32 v7, v2, 16, 1
	v_add3_u32 v2, v2, v7, s3
	v_add3_u32 v3, v3, v6, s3
	v_perm_b32 v71, v3, v2, s4
	v_perm_b32 v70, v5, v4, s4
.LBB364_23:
	s_or_b64 exec, exec, s[0:1]
	s_waitcnt vmcnt(15)
	v_mad_u32_u24 v2, v1, 40, v73
	v_cmp_gt_u32_e32 vcc, 64, v0
	ds_write_b64 v2, v[70:71] offset:2560
	s_waitcnt lgkmcnt(0)
	s_barrier
	s_and_saveexec_b64 s[0:1], vcc
	s_cbranch_execz .LBB364_25
; %bb.24:
	v_mov_b32_e32 v2, 0xa00
	v_mad_u32_u24 v2, v1, 40, v2
	ds_read2_b64 v[2:5], v2 offset1:1
	s_waitcnt lgkmcnt(0)
	v_mov_b32_e32 v3, 0xa10
	s_waitcnt vmcnt(13)
	v_mul_u32_u24_e32 v10, 40, v1
	v_mad_u32_u24 v1, v1, 40, v3
	ds_read2_b64 v[6:9], v1 offset1:1
	v_lshlrev_b32_e32 v1, 16, v2
	v_add_f32_e32 v1, 0, v1
	v_and_b32_e32 v1, 0xffff0000, v1
	v_lshlrev_b32_e32 v2, 16, v4
	v_add_f32_e32 v1, v1, v2
	s_mov_b32 s1, 0
	v_and_b32_e32 v1, 0xffff0000, v1
	s_waitcnt lgkmcnt(0)
	v_lshlrev_b32_e32 v2, 16, v6
	s_lshl_b32 s0, s2, 7
	v_add_f32_e32 v1, v1, v2
	s_lshl_b64 s[2:3], s[0:1], 1
	v_and_b32_e32 v1, 0xffff0000, v1
	v_lshlrev_b32_e32 v2, 16, v8
	s_add_u32 s2, s26, s2
	s_mul_i32 s8, s8, s7
	v_add_f32_e32 v11, v1, v2
	s_addc_u32 s3, s27, s3
	s_lshl_b32 s0, s24, 7
	v_lshl_or_b32 v0, s8, 7, v0
	v_mov_b32_e32 v1, 0
	s_lshl_b64 s[0:1], s[0:1], 1
	v_lshlrev_b64 v[4:5], 1, v[0:1]
	ds_read2_b64 v[0:3], v10 offset1:1
	s_add_u32 s0, s2, s0
	s_addc_u32 s1, s3, s1
	v_mov_b32_e32 v6, s1
	v_add_co_u32_e32 v8, vcc, s0, v4
	v_addc_co_u32_e32 v9, vcc, v6, v5, vcc
	ds_read2_b64 v[4:7], v10 offset0:2 offset1:3
	s_waitcnt lgkmcnt(1)
	v_lshlrev_b32_e32 v0, 16, v0
	v_add_f32_e32 v0, 0, v0
	v_and_b32_e32 v0, 0xffff0000, v0
	v_lshlrev_b32_e32 v1, 16, v2
	v_add_f32_e32 v0, v0, v1
	v_and_b32_e32 v0, 0xffff0000, v0
	s_waitcnt lgkmcnt(0)
	v_lshlrev_b32_e32 v1, 16, v4
	v_add_f32_e32 v0, v0, v1
	v_and_b32_e32 v0, 0xffff0000, v0
	v_lshlrev_b32_e32 v1, 16, v6
	v_add_f32_e32 v0, v0, v1
	global_store_short_d16_hi v[8:9], v0, off
	global_store_short_d16_hi v[8:9], v11, off offset:128
.LBB364_25:
	s_endpgm
	.section	.rodata,"a",@progbits
	.p2align	6, 0x0
	.amdhsa_kernel _Z38paged_attention_ll4mi_QKV_mfma4_kernelI14__hip_bfloat16S0_LN4vllm18Fp8KVCacheDataTypeE0ES0_Li32ELi128ELi256ELb0ELi1EEvPKT_PKT0_S8_ifPKiSA_SA_iPKfiiiPfSD_PS3_PT2_iSC_SC_
		.amdhsa_group_segment_fixed_size 5280
		.amdhsa_private_segment_fixed_size 0
		.amdhsa_kernarg_size 400
		.amdhsa_user_sgpr_count 6
		.amdhsa_user_sgpr_private_segment_buffer 1
		.amdhsa_user_sgpr_dispatch_ptr 0
		.amdhsa_user_sgpr_queue_ptr 0
		.amdhsa_user_sgpr_kernarg_segment_ptr 1
		.amdhsa_user_sgpr_dispatch_id 0
		.amdhsa_user_sgpr_flat_scratch_init 0
		.amdhsa_user_sgpr_kernarg_preload_length 0
		.amdhsa_user_sgpr_kernarg_preload_offset 0
		.amdhsa_user_sgpr_private_segment_size 0
		.amdhsa_uses_dynamic_stack 0
		.amdhsa_system_sgpr_private_segment_wavefront_offset 0
		.amdhsa_system_sgpr_workgroup_id_x 1
		.amdhsa_system_sgpr_workgroup_id_y 1
		.amdhsa_system_sgpr_workgroup_id_z 1
		.amdhsa_system_sgpr_workgroup_info 0
		.amdhsa_system_vgpr_workitem_id 0
		.amdhsa_next_free_vgpr 96
		.amdhsa_next_free_sgpr 38
		.amdhsa_accum_offset 88
		.amdhsa_reserve_vcc 1
		.amdhsa_reserve_flat_scratch 0
		.amdhsa_float_round_mode_32 0
		.amdhsa_float_round_mode_16_64 0
		.amdhsa_float_denorm_mode_32 3
		.amdhsa_float_denorm_mode_16_64 3
		.amdhsa_dx10_clamp 1
		.amdhsa_ieee_mode 1
		.amdhsa_fp16_overflow 0
		.amdhsa_tg_split 0
		.amdhsa_exception_fp_ieee_invalid_op 0
		.amdhsa_exception_fp_denorm_src 0
		.amdhsa_exception_fp_ieee_div_zero 0
		.amdhsa_exception_fp_ieee_overflow 0
		.amdhsa_exception_fp_ieee_underflow 0
		.amdhsa_exception_fp_ieee_inexact 0
		.amdhsa_exception_int_div_zero 0
	.end_amdhsa_kernel
	.section	.text._Z38paged_attention_ll4mi_QKV_mfma4_kernelI14__hip_bfloat16S0_LN4vllm18Fp8KVCacheDataTypeE0ES0_Li32ELi128ELi256ELb0ELi1EEvPKT_PKT0_S8_ifPKiSA_SA_iPKfiiiPfSD_PS3_PT2_iSC_SC_,"axG",@progbits,_Z38paged_attention_ll4mi_QKV_mfma4_kernelI14__hip_bfloat16S0_LN4vllm18Fp8KVCacheDataTypeE0ES0_Li32ELi128ELi256ELb0ELi1EEvPKT_PKT0_S8_ifPKiSA_SA_iPKfiiiPfSD_PS3_PT2_iSC_SC_,comdat
.Lfunc_end364:
	.size	_Z38paged_attention_ll4mi_QKV_mfma4_kernelI14__hip_bfloat16S0_LN4vllm18Fp8KVCacheDataTypeE0ES0_Li32ELi128ELi256ELb0ELi1EEvPKT_PKT0_S8_ifPKiSA_SA_iPKfiiiPfSD_PS3_PT2_iSC_SC_, .Lfunc_end364-_Z38paged_attention_ll4mi_QKV_mfma4_kernelI14__hip_bfloat16S0_LN4vllm18Fp8KVCacheDataTypeE0ES0_Li32ELi128ELi256ELb0ELi1EEvPKT_PKT0_S8_ifPKiSA_SA_iPKfiiiPfSD_PS3_PT2_iSC_SC_
                                        ; -- End function
	.section	.AMDGPU.csdata,"",@progbits
; Kernel info:
; codeLenInByte = 3884
; NumSgprs: 42
; NumVgprs: 88
; NumAgprs: 8
; TotalNumVgprs: 96
; ScratchSize: 0
; MemoryBound: 0
; FloatMode: 240
; IeeeMode: 1
; LDSByteSize: 5280 bytes/workgroup (compile time only)
; SGPRBlocks: 5
; VGPRBlocks: 11
; NumSGPRsForWavesPerEU: 42
; NumVGPRsForWavesPerEU: 96
; AccumOffset: 88
; Occupancy: 5
; WaveLimiterHint : 1
; COMPUTE_PGM_RSRC2:SCRATCH_EN: 0
; COMPUTE_PGM_RSRC2:USER_SGPR: 6
; COMPUTE_PGM_RSRC2:TRAP_HANDLER: 0
; COMPUTE_PGM_RSRC2:TGID_X_EN: 1
; COMPUTE_PGM_RSRC2:TGID_Y_EN: 1
; COMPUTE_PGM_RSRC2:TGID_Z_EN: 1
; COMPUTE_PGM_RSRC2:TIDIG_COMP_CNT: 0
; COMPUTE_PGM_RSRC3_GFX90A:ACCUM_OFFSET: 21
; COMPUTE_PGM_RSRC3_GFX90A:TG_SPLIT: 0
	.section	.text._Z38paged_attention_ll4mi_QKV_mfma4_kernelI14__hip_bfloat16S0_LN4vllm18Fp8KVCacheDataTypeE0ES0_Li32ELi128ELi256ELb0ELi2EEvPKT_PKT0_S8_ifPKiSA_SA_iPKfiiiPfSD_PS3_PT2_iSC_SC_,"axG",@progbits,_Z38paged_attention_ll4mi_QKV_mfma4_kernelI14__hip_bfloat16S0_LN4vllm18Fp8KVCacheDataTypeE0ES0_Li32ELi128ELi256ELb0ELi2EEvPKT_PKT0_S8_ifPKiSA_SA_iPKfiiiPfSD_PS3_PT2_iSC_SC_,comdat
	.protected	_Z38paged_attention_ll4mi_QKV_mfma4_kernelI14__hip_bfloat16S0_LN4vllm18Fp8KVCacheDataTypeE0ES0_Li32ELi128ELi256ELb0ELi2EEvPKT_PKT0_S8_ifPKiSA_SA_iPKfiiiPfSD_PS3_PT2_iSC_SC_ ; -- Begin function _Z38paged_attention_ll4mi_QKV_mfma4_kernelI14__hip_bfloat16S0_LN4vllm18Fp8KVCacheDataTypeE0ES0_Li32ELi128ELi256ELb0ELi2EEvPKT_PKT0_S8_ifPKiSA_SA_iPKfiiiPfSD_PS3_PT2_iSC_SC_
	.globl	_Z38paged_attention_ll4mi_QKV_mfma4_kernelI14__hip_bfloat16S0_LN4vllm18Fp8KVCacheDataTypeE0ES0_Li32ELi128ELi256ELb0ELi2EEvPKT_PKT0_S8_ifPKiSA_SA_iPKfiiiPfSD_PS3_PT2_iSC_SC_
	.p2align	8
	.type	_Z38paged_attention_ll4mi_QKV_mfma4_kernelI14__hip_bfloat16S0_LN4vllm18Fp8KVCacheDataTypeE0ES0_Li32ELi128ELi256ELb0ELi2EEvPKT_PKT0_S8_ifPKiSA_SA_iPKfiiiPfSD_PS3_PT2_iSC_SC_,@function
_Z38paged_attention_ll4mi_QKV_mfma4_kernelI14__hip_bfloat16S0_LN4vllm18Fp8KVCacheDataTypeE0ES0_Li32ELi128ELi256ELb0ELi2EEvPKT_PKT0_S8_ifPKiSA_SA_iPKfiiiPfSD_PS3_PT2_iSC_SC_: ; @_Z38paged_attention_ll4mi_QKV_mfma4_kernelI14__hip_bfloat16S0_LN4vllm18Fp8KVCacheDataTypeE0ES0_Li32ELi128ELi256ELb0ELi2EEvPKT_PKT0_S8_ifPKiSA_SA_iPKfiiiPfSD_PS3_PT2_iSC_SC_
; %bb.0:
	s_load_dwordx2 s[2:3], s[4:5], 0x30
	s_mov_b32 s24, s7
	s_mov_b64 s[0:1], 0
	s_waitcnt lgkmcnt(0)
	s_cmp_lg_u64 s[2:3], 0
	s_cselect_b64 s[10:11], -1, 0
	s_and_b64 vcc, exec, s[10:11]
	s_cbranch_vccz .LBB365_10
; %bb.1:
	s_add_i32 s12, s6, 1
	s_mov_b32 s13, 0
	s_lshl_b64 s[14:15], s[12:13], 2
	s_add_u32 s14, s2, s14
	s_mov_b32 s7, s13
	s_addc_u32 s15, s3, s15
	s_lshl_b64 s[12:13], s[6:7], 2
	s_add_u32 s12, s2, s12
	s_addc_u32 s13, s3, s13
	s_load_dword s9, s[14:15], 0x0
	s_load_dword s16, s[12:13], 0x0
	s_waitcnt lgkmcnt(0)
	s_sub_i32 s9, s9, s16
	s_cmp_eq_u32 s9, 1
	s_cselect_b64 s[12:13], -1, 0
	s_andn2_b64 vcc, exec, s[0:1]
	s_cbranch_vccnz .LBB365_3
.LBB365_2:
	s_mov_b32 s7, 0
	s_mov_b64 s[12:13], -1
.LBB365_3:
	s_andn2_b64 vcc, exec, s[12:13]
	s_cbranch_vccnz .LBB365_25
; %bb.4:
	s_load_dword s9, s[4:5], 0x9c
	s_load_dwordx2 s[0:1], s[4:5], 0x28
	s_add_u32 s28, s4, 0x90
	s_addc_u32 s29, s5, 0
	s_lshl_b64 s[16:17], s[6:7], 2
	s_waitcnt lgkmcnt(0)
	s_and_b32 s12, s9, 0xffff
	s_add_u32 s0, s0, s16
	s_addc_u32 s1, s1, s17
	s_load_dword s9, s[0:1], 0x0
	s_mul_i32 s18, s24, s12
	s_waitcnt lgkmcnt(0)
	s_cmp_ge_i32 s18, s9
	s_cbranch_scc1 .LBB365_25
; %bb.5:
	v_and_b32_e32 v1, 0xc0, v0
	v_add_u32_e32 v2, s18, v1
	v_lshrrev_b32_e32 v70, 6, v0
	v_cmp_le_i32_e64 s[0:1], s9, v2
                                        ; implicit-def: $sgpr20
                                        ; implicit-def: $sgpr19
	s_and_saveexec_b64 s[12:13], s[0:1]
	s_xor_b64 s[12:13], exec, s[12:13]
	s_cbranch_execz .LBB365_7
; %bb.6:
	v_mul_u32_u24_e32 v1, 20, v70
	v_or_b32_e32 v1, 0x1400, v1
	v_mov_b32_e32 v2, 0x1450
	v_mov_b32_e32 v3, 0xff7fffff
	v_mad_u32_u24 v2, v70, 20, v2
	ds_write2_b32 v1, v3, v3 offset1:1
	v_mov_b32_e32 v1, 0
	ds_write2_b32 v2, v1, v1 offset1:1
	v_mov_b32_e32 v2, 0x1408
	s_mov_b32 s19, 0xff7fffff
	s_mov_b32 s20, 0
	v_mad_u32_u24 v2, v70, 20, v2
	v_mov_b32_e32 v4, 0x1458
	v_mad_u32_u24 v4, v70, 20, v4
	ds_write2_b32 v2, v3, v3 offset1:1
	ds_write2_b32 v4, v1, v1 offset1:1
                                        ; implicit-def: $vgpr2
.LBB365_7:
	s_or_saveexec_b64 s[30:31], s[12:13]
	s_load_dwordx2 s[26:27], s[4:5], 0x68
	s_load_dwordx4 s[12:15], s[4:5], 0x58
	s_load_dword s7, s[28:29], 0x4
	v_and_b32_e32 v1, 63, v0
	v_and_b32_e32 v71, 3, v0
	v_mov_b32_e32 v69, s20
	v_mov_b32_e32 v72, s19
	v_mov_b32_e32 v68, s20
	v_mov_b32_e32 v67, s20
	v_mov_b32_e32 v66, s20
                                        ; implicit-def: $vgpr3
                                        ; implicit-def: $vgpr7
                                        ; implicit-def: $vgpr11
                                        ; implicit-def: $vgpr19
                                        ; implicit-def: $vgpr47
                                        ; implicit-def: $vgpr35
                                        ; implicit-def: $vgpr39
                                        ; implicit-def: $vgpr43
                                        ; implicit-def: $vgpr27
                                        ; implicit-def: $vgpr15
                                        ; implicit-def: $vgpr23
                                        ; implicit-def: $vgpr31
                                        ; implicit-def: $vgpr51
                                        ; implicit-def: $vgpr55
                                        ; implicit-def: $vgpr59
                                        ; implicit-def: $vgpr63
	s_xor_b64 exec, exec, s[30:31]
	s_cbranch_execz .LBB365_17
; %bb.8:
	s_add_i32 s22, s9, 31
	s_load_dwordx2 s[20:21], s[4:5], 0x20
	s_load_dword s19, s[4:5], 0x38
	s_ashr_i32 s23, s22, 31
	s_lshr_b32 s23, s23, 27
	v_add_u32_e32 v68, s18, v0
	s_add_i32 s22, s22, s23
	v_ashrrev_i32_e32 v3, 31, v68
	s_ashr_i32 s22, s22, 5
	v_lshrrev_b32_e32 v3, 27, v3
	s_add_i32 s25, s22, -1
	v_add_u32_e32 v3, v68, v3
	s_waitcnt lgkmcnt(0)
	s_mul_i32 s22, s6, s19
	s_mov_b32 s23, 0
	v_ashrrev_i32_e32 v3, 5, v3
	v_mov_b32_e32 v4, s25
	v_cmp_gt_i32_e32 vcc, s9, v68
	s_lshl_b64 s[22:23], s[22:23], 2
	v_cndmask_b32_e32 v4, v4, v3, vcc
	s_add_u32 s19, s20, s22
	v_ashrrev_i32_e32 v5, 31, v4
	s_addc_u32 s20, s21, s23
	v_lshlrev_b64 v[4:5], 2, v[4:5]
	v_mov_b32_e32 v3, s20
	v_add_co_u32_e32 v4, vcc, s19, v4
	v_addc_co_u32_e32 v5, vcc, v3, v5, vcc
	v_ashrrev_i32_e32 v3, 31, v2
	v_lshrrev_b32_e32 v3, 27, v3
	v_add_u32_e32 v2, v2, v3
	v_ashrrev_i32_e32 v8, 5, v2
	v_min_i32_e32 v2, s25, v8
	v_ashrrev_i32_e32 v3, 31, v2
	v_lshlrev_b64 v[2:3], 2, v[2:3]
	v_add_co_u32_e32 v6, vcc, s19, v2
	v_add_u32_e32 v2, 1, v8
	v_mov_b32_e32 v7, s20
	v_min_i32_e32 v2, s25, v2
	v_addc_co_u32_e32 v7, vcc, v7, v3, vcc
	v_ashrrev_i32_e32 v3, 31, v2
	v_lshlrev_b64 v[2:3], 2, v[2:3]
	v_mov_b32_e32 v9, s20
	v_add_co_u32_e32 v8, vcc, s19, v2
	v_addc_co_u32_e32 v9, vcc, v9, v3, vcc
	global_load_dword v3, v[4:5], off
	global_load_dword v2, v[6:7], off
	;; [unrolled: 1-line block ×3, first 2 shown]
	s_load_dwordx4 s[20:23], s[4:5], 0x8
	s_andn2_b64 vcc, exec, s[10:11]
	s_cbranch_vccnz .LBB365_11
; %bb.9:
	s_add_u32 s2, s2, s16
	s_addc_u32 s3, s3, s17
	s_load_dword s2, s[2:3], 0x0
	s_branch .LBB365_12
.LBB365_10:
	s_mov_b64 s[12:13], 0
	s_branch .LBB365_2
.LBB365_11:
	s_mov_b32 s2, s6
.LBB365_12:
	s_load_dwordx4 s[16:19], s[4:5], 0x48
	v_cmp_gt_u32_e32 vcc, 2, v71
	s_mov_b32 s3, 0
	v_mov_b32_e32 v35, 0
	v_mov_b32_e32 v64, 0
	;; [unrolled: 1-line block ×5, first 2 shown]
	s_and_saveexec_b64 s[10:11], vcc
	s_cbranch_execz .LBB365_14
; %bb.13:
	s_load_dwordx2 s[34:35], s[4:5], 0x0
	s_waitcnt lgkmcnt(0)
	s_ashr_i32 s19, s16, 31
	s_mul_hi_u32 s25, s2, s16
	s_mul_i32 s19, s2, s19
	s_add_i32 s37, s25, s19
	s_mul_i32 s36, s2, s16
	s_lshl_b64 s[36:37], s[36:37], 1
	s_add_u32 s16, s34, s36
	s_addc_u32 s19, s35, s37
	s_lshl_b32 s2, s8, 8
	s_lshl_b64 s[34:35], s[2:3], 1
	v_lshlrev_b32_e32 v4, 2, v1
	s_add_u32 s34, s16, s34
	v_and_b32_e32 v4, 0xf0, v4
	s_addc_u32 s35, s19, s35
	v_lshl_or_b32 v4, v71, 8, v4
	global_load_dwordx4 v[64:67], v4, s[34:35]
.LBB365_14:
	s_or_b64 exec, exec, s[10:11]
	s_waitcnt vmcnt(2) lgkmcnt(0)
	v_mad_i64_i32 v[4:5], s[10:11], v3, s17, 0
	s_mul_i32 s2, s8, s18
	s_lshl_b64 s[10:11], s[2:3], 1
	s_add_u32 s2, s10, s20
	v_lshlrev_b64 v[4:5], 1, v[4:5]
	s_addc_u32 s3, s11, s21
	v_mov_b32_e32 v3, s3
	v_add_co_u32_e32 v37, vcc, s2, v4
	v_and_b32_e32 v4, 31, v0
	v_addc_co_u32_e32 v3, vcc, v3, v5, vcc
	v_lshlrev_b32_e32 v34, 4, v4
	v_add_co_u32_e32 v32, vcc, v37, v34
	v_addc_co_u32_e32 v33, vcc, 0, v3, vcc
	global_load_dwordx4 v[4:7], v[32:33], off
	global_load_dwordx4 v[8:11], v[32:33], off offset:512
	global_load_dwordx4 v[12:15], v[32:33], off offset:1024
	global_load_dwordx4 v[16:19], v[32:33], off offset:1536
	global_load_dwordx4 v[20:23], v[32:33], off offset:2048
	global_load_dwordx4 v[24:27], v[32:33], off offset:2560
	global_load_dwordx4 v[28:31], v[32:33], off offset:3072
	v_mov_b32_e32 v38, 0x1e00
	v_lshl_or_b32 v69, v0, 4, v38
	global_load_dwordx4 v[38:41], v[32:33], off offset:3584
	v_or_b32_e32 v42, 0x1000, v34
	v_add_co_u32_e32 v32, vcc, v37, v42
	v_addc_co_u32_e32 v33, vcc, 0, v3, vcc
	global_load_dwordx4 v[42:45], v[32:33], off
	v_or_b32_e32 v46, 0x1200, v34
	v_add_co_u32_e32 v32, vcc, v37, v46
	v_addc_co_u32_e32 v33, vcc, 0, v3, vcc
	global_load_dwordx4 v[46:49], v[32:33], off
	;; [unrolled: 4-line block ×7, first 2 shown]
	s_waitcnt vmcnt(16)
	v_mul_hi_i32 v62, v2, s17
	v_ashrrev_i32_e32 v62, 31, v62
	v_lshrrev_b32_e32 v34, 29, v62
	s_load_dword s2, s[4:5], 0x1c
	s_add_u32 s3, s22, s10
	s_addc_u32 s10, s23, s11
	v_lshlrev_b32_e32 v63, 6, v1
	v_or_b32_e32 v84, 0x1000, v63
	s_waitcnt vmcnt(14)
	v_mfma_f32_4x4x4bf16_1k a[0:3], v[64:65], v[4:5], 0 cbsz:4
	v_add_co_u32_e32 v4, vcc, v37, v69
	v_addc_co_u32_e32 v5, vcc, 0, v3, vcc
	global_load_dwordx4 v[80:83], v[4:5], off
	v_mfma_f32_4x4x4bf16_1k a[0:3], v[66:67], v[6:7], a[0:3] cbsz:4
	v_mad_i64_i32 v[2:3], s[4:5], v2, s17, v[34:35]
	s_waitcnt vmcnt(14)
	v_mfma_f32_4x4x4bf16_1k a[0:3], v[64:65], v[8:9], a[0:3] cbsz:4 abid:1
	v_lshlrev_b64 v[2:3], 1, v[2:3]
	v_mfma_f32_4x4x4bf16_1k a[0:3], v[66:67], v[10:11], a[0:3] cbsz:4 abid:1
	v_and_b32_e32 v2, -16, v2
	s_waitcnt vmcnt(13)
	v_mfma_f32_4x4x4bf16_1k a[0:3], v[64:65], v[12:13], a[0:3] cbsz:4 abid:2
	v_mov_b32_e32 v4, s10
	v_mfma_f32_4x4x4bf16_1k a[0:3], v[66:67], v[14:15], a[0:3] cbsz:4 abid:2
	v_mul_hi_i32 v34, v36, s17
	s_waitcnt vmcnt(12)
	v_mfma_f32_4x4x4bf16_1k a[0:3], v[64:65], v[16:17], a[0:3] cbsz:4 abid:3
	v_add_co_u32_e32 v16, vcc, s3, v2
	v_mfma_f32_4x4x4bf16_1k a[0:3], v[66:67], v[18:19], a[0:3] cbsz:4 abid:3
	v_addc_co_u32_e32 v17, vcc, v4, v3, vcc
	s_waitcnt vmcnt(11)
	v_mfma_f32_4x4x4bf16_1k a[0:3], v[64:65], v[20:21], a[0:3] cbsz:4 abid:4
	v_ashrrev_i32_e32 v34, 31, v34
	v_mfma_f32_4x4x4bf16_1k a[0:3], v[66:67], v[22:23], a[0:3] cbsz:4 abid:4
	v_add_co_u32_e32 v14, vcc, v16, v63
	s_waitcnt vmcnt(10)
	v_mfma_f32_4x4x4bf16_1k a[0:3], v[64:65], v[24:25], a[0:3] cbsz:4 abid:5
	v_lshrrev_b32_e32 v34, 29, v34
	v_mfma_f32_4x4x4bf16_1k a[0:3], v[66:67], v[26:27], a[0:3] cbsz:4 abid:5
	v_addc_co_u32_e32 v15, vcc, 0, v17, vcc
	s_waitcnt vmcnt(9)
	v_mfma_f32_4x4x4bf16_1k a[0:3], v[64:65], v[28:29], a[0:3] cbsz:4 abid:6
	v_mad_i64_i32 v[34:35], s[4:5], v36, s17, v[34:35]
	v_mfma_f32_4x4x4bf16_1k a[0:3], v[66:67], v[30:31], a[0:3] cbsz:4 abid:6
	v_lshlrev_b64 v[34:35], 1, v[34:35]
	s_waitcnt vmcnt(8)
	v_mfma_f32_4x4x4bf16_1k a[0:3], v[64:65], v[38:39], a[0:3] cbsz:4 abid:7
	v_add_co_u32_e32 v38, vcc, v16, v84
	v_mfma_f32_4x4x4bf16_1k a[0:3], v[66:67], v[40:41], a[0:3] cbsz:4 abid:7
	v_addc_co_u32_e32 v39, vcc, 0, v17, vcc
	s_waitcnt vmcnt(7)
	v_mfma_f32_4x4x4bf16_1k a[0:3], v[64:65], v[42:43], a[0:3] cbsz:4 abid:8
	v_and_b32_e32 v34, -16, v34
	v_mfma_f32_4x4x4bf16_1k a[0:3], v[66:67], v[44:45], a[0:3] cbsz:4 abid:8
	v_mov_b32_e32 v36, s10
	s_waitcnt vmcnt(6)
	v_mfma_f32_4x4x4bf16_1k a[0:3], v[64:65], v[46:47], a[0:3] cbsz:4 abid:9
	global_load_dwordx4 v[2:5], v[14:15], off
	global_load_dwordx4 v[6:9], v[14:15], off offset:16
	v_mfma_f32_4x4x4bf16_1k a[0:3], v[66:67], v[48:49], a[0:3] cbsz:4 abid:9
	global_load_dwordx4 v[10:13], v[14:15], off offset:32
	global_load_dwordx4 v[18:21], v[14:15], off offset:48
	s_waitcnt vmcnt(9)
	v_mfma_f32_4x4x4bf16_1k a[0:3], v[64:65], v[50:51], a[0:3] cbsz:4 abid:10
	global_load_dwordx4 v[26:29], v[38:39], off
	global_load_dwordx4 v[14:17], v[38:39], off offset:16
	v_mfma_f32_4x4x4bf16_1k a[0:3], v[66:67], v[52:53], a[0:3] cbsz:4 abid:10
	v_add_co_u32_e32 v52, vcc, s3, v34
	s_waitcnt vmcnt(10)
	v_mfma_f32_4x4x4bf16_1k a[0:3], v[64:65], v[54:55], a[0:3] cbsz:4 abid:11
	v_addc_co_u32_e32 v53, vcc, v36, v35, vcc
	v_mfma_f32_4x4x4bf16_1k a[0:3], v[66:67], v[56:57], a[0:3] cbsz:4 abid:11
	v_add_co_u32_e32 v50, vcc, v52, v63
	s_waitcnt vmcnt(9)
	v_mfma_f32_4x4x4bf16_1k a[0:3], v[64:65], v[58:59], a[0:3] cbsz:4 abid:12
	v_addc_co_u32_e32 v51, vcc, 0, v53, vcc
	v_mfma_f32_4x4x4bf16_1k a[0:3], v[66:67], v[60:61], a[0:3] cbsz:4 abid:12
	global_load_dwordx4 v[22:25], v[38:39], off offset:32
	global_load_dwordx4 v[30:33], v[38:39], off offset:48
	s_waitcnt vmcnt(10)
	v_mfma_f32_4x4x4bf16_1k a[0:3], v[64:65], v[72:73], a[0:3] cbsz:4 abid:13
	v_add_co_u32_e32 v72, vcc, v52, v84
	v_mfma_f32_4x4x4bf16_1k a[0:3], v[66:67], v[74:75], a[0:3] cbsz:4 abid:13
	v_addc_co_u32_e32 v73, vcc, 0, v53, vcc
	s_waitcnt vmcnt(9)
	v_mfma_f32_4x4x4bf16_1k a[0:3], v[64:65], v[76:77], a[0:3] cbsz:4 abid:14
	global_load_dwordx4 v[46:49], v[50:51], off
	global_load_dwordx4 v[34:37], v[50:51], off offset:16
	v_mfma_f32_4x4x4bf16_1k a[0:3], v[66:67], v[78:79], a[0:3] cbsz:4 abid:14
	global_load_dwordx4 v[38:41], v[50:51], off offset:32
	global_load_dwordx4 v[42:45], v[50:51], off offset:48
	s_nop 0
	global_load_dwordx4 v[50:53], v[72:73], off
	global_load_dwordx4 v[54:57], v[72:73], off offset:16
	s_waitcnt vmcnt(14)
	v_mfma_f32_4x4x4bf16_1k a[0:3], v[64:65], v[80:81], a[0:3] cbsz:4 abid:15
	global_load_dwordx4 v[58:61], v[72:73], off offset:32
	global_load_dwordx4 v[62:65], v[72:73], off offset:48
	v_mfma_f32_4x4x4bf16_1k a[0:3], v[66:67], v[82:83], a[0:3] cbsz:4 abid:15
	v_cmp_eq_u32_e32 vcc, 0, v71
	v_cndmask_b32_e64 v69, 0, 1.0, vcc
	v_cmp_eq_u32_e32 vcc, 1, v71
	s_nop 1
	v_accvgpr_read_b32 v73, a1
	v_accvgpr_read_b32 v72, a0
	s_waitcnt lgkmcnt(0)
	v_pk_mul_f32 v[72:73], s[2:3], v[72:73] op_sel_hi:[0,1]
	v_accvgpr_read_b32 v67, a3
	v_accvgpr_read_b32 v66, a2
	v_pk_mul_f32 v[66:67], s[2:3], v[66:67] op_sel_hi:[0,1]
	v_mfma_f32_4x4x1f32 a[0:3], v72, v69, 0
	v_cndmask_b32_e64 v69, 0, 1.0, vcc
	v_cmp_eq_u32_e32 vcc, 2, v71
	s_nop 0
	v_mfma_f32_4x4x1f32 a[0:3], v73, v69, a[0:3]
	v_cndmask_b32_e64 v69, 0, 1.0, vcc
	v_cmp_eq_u32_e32 vcc, 3, v71
	v_mov_b32_e32 v73, 0xff7fffff
	v_mfma_f32_4x4x1f32 a[0:3], v66, v69, a[0:3]
	v_cndmask_b32_e64 v66, 0, 1.0, vcc
	s_nop 1
	v_mfma_f32_4x4x1f32 a[0:3], v67, v66, a[0:3]
	v_and_b32_e32 v66, -4, v68
	v_cmp_gt_i32_e32 vcc, s9, v66
	v_or_b32_e32 v68, 3, v68
	v_cmp_gt_i32_e64 s[10:11], s9, v68
	v_lshlrev_b32_e32 v67, 2, v0
	v_accvgpr_read_b32 v69, a0
	v_max_f32_e32 v72, v69, v69
	v_max_f32_e32 v72, 0xff7fffff, v72
	v_accvgpr_read_b32 v74, a1
	v_cndmask_b32_e32 v72, v73, v72, vcc
	v_or_b32_e32 v73, 1, v66
	v_max_f32_e32 v75, v74, v74
	v_max_f32_e32 v75, v72, v75
	v_cmp_gt_i32_e64 s[2:3], s9, v73
	v_accvgpr_read_b32 v73, a2
	v_cndmask_b32_e64 v72, v72, v75, s[2:3]
	v_or_b32_e32 v66, 2, v66
	v_max_f32_e32 v75, v73, v73
	v_max_f32_e32 v75, v72, v75
	v_cmp_gt_i32_e64 s[4:5], s9, v66
	v_cndmask_b32_e64 v66, v72, v75, s[4:5]
	v_accvgpr_read_b32 v75, a3
	v_max_f32_e32 v72, v75, v75
	v_max_f32_e32 v72, v66, v72
	v_cndmask_b32_e64 v66, v66, v72, s[10:11]
	v_and_or_b32 v67, v67, 48, v71
	;;#ASMSTART
	v_nop
 v_nop
 v_max_f32_dpp v66, v66, v66 row_ror:4
	;;#ASMEND
	v_lshlrev_b32_e32 v76, 2, v67
	;;#ASMSTART
	v_nop
 v_nop
 v_max_f32_dpp v66, v66, v66 row_ror:8
	;;#ASMEND
	ds_bpermute_b32 v66, v76, v66
	s_waitcnt lgkmcnt(0)
	;;#ASMSTART
	v_nop
 v_nop
 v_max_f32_dpp v66, v66, v66 row_ror:4
	;;#ASMEND
	;;#ASMSTART
	v_nop
 v_nop
 v_max_f32_dpp v72, v66, v66 row_ror:8
	;;#ASMEND
	v_sub_f32_e32 v66, v69, v72
	v_mul_f32_e32 v66, 0x3fb8aa3b, v66
	v_sub_f32_e32 v67, v74, v72
	v_exp_f32_e32 v66, v66
	v_mul_f32_e32 v67, 0x3fb8aa3b, v67
	v_sub_f32_e32 v69, v73, v72
	v_exp_f32_e32 v67, v67
	;; [unrolled: 3-line block ×3, first 2 shown]
	v_mul_f32_e32 v73, 0x3fb8aa3b, v73
	v_exp_f32_e32 v73, v73
	v_cndmask_b32_e32 v66, 0, v66, vcc
	v_add_f32_e32 v68, 0, v66
	v_cndmask_b32_e64 v67, 0, v67, s[2:3]
	v_add_f32_e32 v74, v68, v67
	v_cndmask_b32_e64 v68, 0, v69, s[4:5]
	;; [unrolled: 2-line block ×3, first 2 shown]
	v_add_f32_e32 v73, v74, v69
	;;#ASMSTART
	v_nop
 v_nop
 v_add_f32_dpp v73, v73, v73 row_ror:4
	;;#ASMEND
	;;#ASMSTART
	v_nop
 v_nop
 v_add_f32_dpp v73, v73, v73 row_ror:8
	;;#ASMEND
	ds_bpermute_b32 v73, v76, v73
	s_waitcnt lgkmcnt(0)
	;;#ASMSTART
	v_nop
 v_nop
 v_add_f32_dpp v73, v73, v73 row_ror:4
	;;#ASMEND
	v_cmp_gt_u32_e32 vcc, 4, v1
	;;#ASMSTART
	v_nop
 v_nop
 v_add_f32_dpp v73, v73, v73 row_ror:8
	;;#ASMEND
	s_and_saveexec_b64 s[2:3], vcc
	s_cbranch_execz .LBB365_16
; %bb.15:
	v_mul_u32_u24_e32 v74, 20, v70
	v_lshl_add_u32 v74, v71, 2, v74
	v_add_u32_e32 v74, 0x1400, v74
	ds_write2_b32 v74, v72, v73 offset1:20
.LBB365_16:
	s_or_b64 exec, exec, s[2:3]
.LBB365_17:
	s_or_b64 exec, exec, s[30:31]
	s_waitcnt lgkmcnt(0)
	s_barrier
	s_load_dword s2, s[28:29], 0x8
	v_lshlrev_b32_e32 v73, 2, v71
	v_add_u32_e32 v73, 0x1400, v73
	ds_read2_b32 v[76:77], v73 offset1:5
	ds_read2_b32 v[78:79], v73 offset0:10 offset1:15
	s_mul_i32 s3, s6, s7
	s_waitcnt lgkmcnt(0)
	s_mul_i32 s3, s3, s2
	s_lshl_b32 s2, s3, 1
	s_mov_b32 s3, 0xff7fffff
	v_max3_f32 v74, v76, s3, v77
	v_max3_f32 v74, v74, v78, v79
	v_sub_f32_e32 v75, v76, v74
	v_sub_f32_e32 v76, v77, v74
	ds_read2_b32 v[80:81], v73 offset0:20 offset1:25
	v_mul_f32_e32 v75, 0x3fb8aa3b, v75
	v_mul_f32_e32 v76, 0x3fb8aa3b, v76
	v_exp_f32_e32 v75, v75
	v_exp_f32_e32 v82, v76
	ds_read2_b32 v[76:77], v73 offset0:30 offset1:35
	v_sub_f32_e32 v73, v78, v74
	v_mul_f32_e32 v73, 0x3fb8aa3b, v73
	v_sub_f32_e32 v78, v79, v74
	v_exp_f32_e32 v73, v73
	v_mul_f32_e32 v78, 0x3fb8aa3b, v78
	v_exp_f32_e32 v78, v78
	s_waitcnt lgkmcnt(1)
	v_fma_f32 v75, v75, v80, 0
	v_fmac_f32_e32 v75, v82, v81
	s_waitcnt lgkmcnt(0)
	v_fmac_f32_e32 v75, v73, v76
	s_lshl_b32 s8, s8, 1
	v_fmac_f32_e32 v75, v78, v77
	v_cmp_gt_u32_e32 vcc, 2, v71
	s_and_saveexec_b64 s[4:5], vcc
	s_cbranch_execz .LBB365_19
; %bb.18:
	s_mov_b32 s3, 0
	s_lshl_b64 s[10:11], s[2:3], 2
	s_add_u32 s6, s12, s10
	s_mov_b32 s25, s3
	s_addc_u32 s9, s13, s11
	s_lshl_b64 s[12:13], s[24:25], 2
	s_add_u32 s3, s6, s12
	s_addc_u32 s6, s9, s13
	v_or_b32_e32 v71, s8, v71
	s_add_u32 s9, s14, s10
	v_mul_lo_u32 v76, s7, v71
	v_mov_b32_e32 v77, 0
	s_addc_u32 s10, s15, s11
	v_lshlrev_b64 v[76:77], 2, v[76:77]
	s_add_u32 s9, s9, s12
	v_mov_b32_e32 v71, s6
	v_add_co_u32_e32 v78, vcc, s3, v76
	s_addc_u32 s10, s10, s13
	v_addc_co_u32_e32 v79, vcc, v71, v77, vcc
	v_mov_b32_e32 v71, s10
	v_add_co_u32_e32 v76, vcc, s9, v76
	v_addc_co_u32_e32 v77, vcc, v71, v77, vcc
	global_store_dword v[76:77], v74, off
	global_store_dword v[78:79], v75, off
.LBB365_19:
	s_or_b64 exec, exec, s[4:5]
	v_lshlrev_b32_e32 v73, 3, v70
                                        ; implicit-def: $sgpr3
	s_and_saveexec_b64 s[4:5], s[0:1]
	s_xor_b64 s[0:1], exec, s[4:5]
	s_cbranch_execz .LBB365_21
; %bb.20:
	s_waitcnt vmcnt(15)
	v_mov_b32_e32 v2, 0
	v_mad_u32_u24 v4, v1, 40, v73
	s_mov_b32 s3, 0
	v_mov_b32_e32 v3, v2
	ds_write_b64 v4, v[2:3]
                                        ; implicit-def: $vgpr69
                                        ; implicit-def: $vgpr67
                                        ; implicit-def: $vgpr3
                                        ; implicit-def: $vgpr7
                                        ; implicit-def: $vgpr11
                                        ; implicit-def: $vgpr19
                                        ; implicit-def: $vgpr47
                                        ; implicit-def: $vgpr35
                                        ; implicit-def: $vgpr39
                                        ; implicit-def: $vgpr43
                                        ; implicit-def: $vgpr27
                                        ; implicit-def: $vgpr15
                                        ; implicit-def: $vgpr23
                                        ; implicit-def: $vgpr31
                                        ; implicit-def: $vgpr51
                                        ; implicit-def: $vgpr55
                                        ; implicit-def: $vgpr59
                                        ; implicit-def: $vgpr63
                                        ; implicit-def: $vgpr72
                                        ; implicit-def: $vgpr74
                                        ; implicit-def: $vgpr75
.LBB365_21:
	s_or_saveexec_b64 s[0:1], s[0:1]
	v_mov_b32_e32 v70, s3
	v_mov_b32_e32 v71, s3
	s_xor_b64 exec, exec, s[0:1]
	s_cbranch_execz .LBB365_23
; %bb.22:
	v_add_f32_e32 v70, 0x358637bd, v75
	v_div_scale_f32 v71, s[4:5], v70, v70, 1.0
	v_rcp_f32_e32 v75, v71
	v_sub_f32_e32 v72, v72, v74
	v_mul_f32_e32 v72, 0x3fb8aa3b, v72
	v_exp_f32_e32 v72, v72
	v_fma_f32 v74, -v71, v75, 1.0
	v_fmac_f32_e32 v75, v74, v75
	v_div_scale_f32 v74, vcc, 1.0, v70, 1.0
	v_mul_f32_e32 v76, v74, v75
	v_fma_f32 v77, -v71, v76, v74
	v_fmac_f32_e32 v76, v77, v75
	v_fma_f32 v71, -v71, v76, v74
	v_div_fmas_f32 v71, v71, v75, v76
	v_div_fixup_f32 v70, v71, v70, 1.0
	v_mul_f32_e32 v70, v72, v70
	v_pk_mul_f32 v[66:67], v[66:67], v[70:71] op_sel_hi:[1,0]
	v_pk_mul_f32 v[68:69], v[68:69], v[70:71] op_sel_hi:[1,0]
	v_bfe_u32 v70, v67, 16, 1
	v_bfe_u32 v71, v66, 16, 1
	s_movk_i32 s3, 0x7fff
	v_add3_u32 v66, v66, v71, s3
	v_add3_u32 v67, v67, v70, s3
	s_mov_b32 s4, 0x7060302
	v_perm_b32 v66, v67, v66, s4
	v_bfe_u32 v67, v69, 16, 1
	v_bfe_u32 v70, v68, 16, 1
	v_add3_u32 v68, v68, v70, s3
	v_add3_u32 v67, v69, v67, s3
	v_perm_b32 v67, v67, v68, s4
	s_waitcnt vmcnt(15)
	s_nop 0
	v_mfma_f32_4x4x4bf16_1k a[0:3], v[66:67], v[2:3], 0 cbsz:4
	v_mfma_f32_4x4x4bf16_1k a[0:3], v[66:67], v[4:5], a[0:3] cbsz:4 abid:1
	s_waitcnt vmcnt(14)
	v_mfma_f32_4x4x4bf16_1k a[0:3], v[66:67], v[6:7], a[0:3] cbsz:4 abid:2
	v_mfma_f32_4x4x4bf16_1k a[0:3], v[66:67], v[8:9], a[0:3] cbsz:4 abid:3
	s_waitcnt vmcnt(13)
	v_mfma_f32_4x4x4bf16_1k a[0:3], v[66:67], v[10:11], a[0:3] cbsz:4 abid:4
	;; [unrolled: 3-line block ×6, first 2 shown]
	v_mfma_f32_4x4x4bf16_1k a[4:7], v[66:67], v[26:27], 0 cbsz:4
	v_mfma_f32_4x4x4bf16_1k a[0:3], v[66:67], v[40:41], a[0:3] cbsz:4 abid:13
	v_mfma_f32_4x4x4bf16_1k a[4:7], v[66:67], v[28:29], a[4:7] cbsz:4 abid:1
	s_waitcnt vmcnt(4)
	v_mfma_f32_4x4x4bf16_1k a[0:3], v[66:67], v[42:43], a[0:3] cbsz:4 abid:14
	v_mfma_f32_4x4x4bf16_1k a[4:7], v[66:67], v[14:15], a[4:7] cbsz:4 abid:2
	;; [unrolled: 1-line block ×3, first 2 shown]
	s_nop 4
	v_accvgpr_read_b32 v3, a2
	v_accvgpr_read_b32 v4, a3
	;; [unrolled: 1-line block ×4, first 2 shown]
	v_mfma_f32_4x4x4bf16_1k a[0:3], v[66:67], v[16:17], a[4:7] cbsz:4 abid:3
	v_bfe_u32 v6, v5, 16, 1
	v_mfma_f32_4x4x4bf16_1k a[0:3], v[66:67], v[22:23], a[0:3] cbsz:4 abid:4
	v_bfe_u32 v7, v2, 16, 1
	v_mfma_f32_4x4x4bf16_1k a[0:3], v[66:67], v[24:25], a[0:3] cbsz:4 abid:5
	v_add3_u32 v2, v2, v7, s3
	v_mfma_f32_4x4x4bf16_1k a[0:3], v[66:67], v[30:31], a[0:3] cbsz:4 abid:6
	v_add3_u32 v5, v5, v6, s3
	v_mfma_f32_4x4x4bf16_1k a[0:3], v[66:67], v[32:33], a[0:3] cbsz:4 abid:7
	v_perm_b32 v2, v5, v2, s4
	s_waitcnt vmcnt(3)
	v_mfma_f32_4x4x4bf16_1k a[0:3], v[66:67], v[50:51], a[0:3] cbsz:4 abid:8
	v_bfe_u32 v5, v4, 16, 1
	v_mfma_f32_4x4x4bf16_1k a[0:3], v[66:67], v[52:53], a[0:3] cbsz:4 abid:9
	v_bfe_u32 v6, v3, 16, 1
	s_waitcnt vmcnt(2)
	v_mfma_f32_4x4x4bf16_1k a[0:3], v[66:67], v[54:55], a[0:3] cbsz:4 abid:10
	v_add3_u32 v3, v3, v6, s3
	v_mfma_f32_4x4x4bf16_1k a[0:3], v[66:67], v[56:57], a[0:3] cbsz:4 abid:11
	v_add3_u32 v4, v4, v5, s3
	s_waitcnt vmcnt(1)
	v_mfma_f32_4x4x4bf16_1k a[0:3], v[66:67], v[58:59], a[0:3] cbsz:4 abid:12
	v_perm_b32 v3, v4, v3, s4
	v_mfma_f32_4x4x4bf16_1k a[0:3], v[66:67], v[60:61], a[0:3] cbsz:4 abid:13
	v_mad_u32_u24 v4, v1, 40, v73
	s_waitcnt vmcnt(0)
	v_mfma_f32_4x4x4bf16_1k a[0:3], v[66:67], v[62:63], a[0:3] cbsz:4 abid:14
	ds_write_b64 v4, v[2:3]
	v_mfma_f32_4x4x4bf16_1k a[0:3], v[66:67], v[64:65], a[0:3] cbsz:4 abid:15
	s_nop 4
	v_accvgpr_read_b32 v4, a0
	v_accvgpr_read_b32 v5, a1
	;; [unrolled: 1-line block ×4, first 2 shown]
	v_bfe_u32 v6, v5, 16, 1
	v_bfe_u32 v7, v4, 16, 1
	v_add3_u32 v4, v4, v7, s3
	v_add3_u32 v5, v5, v6, s3
	v_bfe_u32 v6, v3, 16, 1
	v_bfe_u32 v7, v2, 16, 1
	v_add3_u32 v2, v2, v7, s3
	v_add3_u32 v3, v3, v6, s3
	v_perm_b32 v71, v3, v2, s4
	v_perm_b32 v70, v5, v4, s4
.LBB365_23:
	s_or_b64 exec, exec, s[0:1]
	s_waitcnt vmcnt(15)
	v_mad_u32_u24 v2, v1, 40, v73
	v_cmp_gt_u32_e32 vcc, 64, v0
	ds_write_b64 v2, v[70:71] offset:2560
	s_waitcnt lgkmcnt(0)
	s_barrier
	s_and_saveexec_b64 s[0:1], vcc
	s_cbranch_execz .LBB365_25
; %bb.24:
	s_waitcnt vmcnt(14)
	v_mul_u32_u24_e32 v6, 40, v1
	ds_read2_b64 v[2:5], v6 offset1:1
	ds_read2_b64 v[6:9], v6 offset0:2 offset1:3
	s_mov_b32 s1, 0
	s_lshl_b32 s0, s2, 7
	s_lshl_b64 s[2:3], s[0:1], 1
	s_waitcnt lgkmcnt(1)
	v_and_b32_e32 v3, 0xffff0000, v2
	v_add_f32_e32 v3, 0, v3
	v_and_b32_e32 v5, 0xffff0000, v4
	v_and_b32_e32 v3, 0xffff0000, v3
	v_add_f32_e32 v3, v3, v5
	s_waitcnt lgkmcnt(0)
	v_and_b32_e32 v7, 0xffff0000, v6
	v_and_b32_e32 v3, 0xffff0000, v3
	v_add_f32_e32 v3, v3, v7
	v_mov_b32_e32 v7, 0xa00
	v_mad_u32_u24 v7, v1, 40, v7
	s_waitcnt vmcnt(13)
	ds_read2_b64 v[10:13], v7 offset1:1
	v_and_b32_e32 v3, 0xffff0000, v3
	v_and_b32_e32 v5, 0xffff0000, v8
	v_add_f32_e32 v7, v3, v5
	v_mov_b32_e32 v3, 0xa10
	v_mad_u32_u24 v1, v1, 40, v3
	s_waitcnt vmcnt(10)
	ds_read2_b64 v[14:17], v1 offset1:1
	s_waitcnt lgkmcnt(1)
	v_lshlrev_b32_e32 v1, 16, v10
	v_add_f32_e32 v1, 0, v1
	v_and_b32_e32 v3, 0xffff0000, v10
	v_and_b32_e32 v1, 0xffff0000, v1
	v_add_f32_e32 v3, 0, v3
	v_lshlrev_b32_e32 v5, 16, v12
	v_and_b32_e32 v3, 0xffff0000, v3
	v_add_f32_e32 v1, v1, v5
	v_and_b32_e32 v5, 0xffff0000, v12
	v_and_b32_e32 v1, 0xffff0000, v1
	v_add_f32_e32 v3, v3, v5
	s_waitcnt lgkmcnt(0)
	v_lshlrev_b32_e32 v5, 16, v14
	v_and_b32_e32 v3, 0xffff0000, v3
	v_add_f32_e32 v1, v1, v5
	v_and_b32_e32 v5, 0xffff0000, v14
	v_and_b32_e32 v1, 0xffff0000, v1
	v_add_f32_e32 v3, v3, v5
	v_lshlrev_b32_e32 v5, 16, v16
	v_and_b32_e32 v3, 0xffff0000, v3
	v_add_f32_e32 v9, v1, v5
	v_and_b32_e32 v1, 0xffff0000, v16
	v_add_f32_e32 v10, v3, v1
	v_lshlrev_b32_e32 v1, 16, v2
	s_add_u32 s2, s26, s2
	v_add_f32_e32 v1, 0, v1
	s_addc_u32 s3, s27, s3
	s_lshl_b32 s0, s24, 7
	v_and_b32_e32 v1, 0xffff0000, v1
	v_lshlrev_b32_e32 v2, 16, v4
	s_lshl_b64 s[0:1], s[0:1], 1
	v_add_f32_e32 v1, v1, v2
	s_add_u32 s0, s2, s0
	v_and_b32_e32 v1, 0xffff0000, v1
	v_lshlrev_b32_e32 v2, 16, v6
	s_addc_u32 s1, s3, s1
	s_lshl_b32 s2, s7, 7
	v_add_f32_e32 v1, v1, v2
	v_and_b32_e32 v1, 0xffff0000, v1
	v_lshlrev_b32_e32 v2, 16, v8
	s_mul_i32 s3, s2, s8
	v_add_f32_e32 v1, v1, v2
	v_or_b32_e32 v2, s3, v0
	v_mov_b32_e32 v3, 0
	v_lshlrev_b64 v[4:5], 1, v[2:3]
	v_mov_b32_e32 v2, s1
	v_add_co_u32_e32 v4, vcc, s0, v4
	s_add_i32 s3, s3, s2
	v_addc_co_u32_e32 v5, vcc, v2, v5, vcc
	v_or_b32_e32 v2, s3, v0
	global_store_short_d16_hi v[4:5], v1, off
	v_lshlrev_b64 v[0:1], 1, v[2:3]
	v_mov_b32_e32 v2, s1
	v_add_co_u32_e32 v0, vcc, s0, v0
	v_addc_co_u32_e32 v1, vcc, v2, v1, vcc
	global_store_short_d16_hi v[0:1], v7, off
	global_store_short_d16_hi v[4:5], v9, off offset:128
	global_store_short_d16_hi v[0:1], v10, off offset:128
.LBB365_25:
	s_endpgm
	.section	.rodata,"a",@progbits
	.p2align	6, 0x0
	.amdhsa_kernel _Z38paged_attention_ll4mi_QKV_mfma4_kernelI14__hip_bfloat16S0_LN4vllm18Fp8KVCacheDataTypeE0ES0_Li32ELi128ELi256ELb0ELi2EEvPKT_PKT0_S8_ifPKiSA_SA_iPKfiiiPfSD_PS3_PT2_iSC_SC_
		.amdhsa_group_segment_fixed_size 5280
		.amdhsa_private_segment_fixed_size 0
		.amdhsa_kernarg_size 400
		.amdhsa_user_sgpr_count 6
		.amdhsa_user_sgpr_private_segment_buffer 1
		.amdhsa_user_sgpr_dispatch_ptr 0
		.amdhsa_user_sgpr_queue_ptr 0
		.amdhsa_user_sgpr_kernarg_segment_ptr 1
		.amdhsa_user_sgpr_dispatch_id 0
		.amdhsa_user_sgpr_flat_scratch_init 0
		.amdhsa_user_sgpr_kernarg_preload_length 0
		.amdhsa_user_sgpr_kernarg_preload_offset 0
		.amdhsa_user_sgpr_private_segment_size 0
		.amdhsa_uses_dynamic_stack 0
		.amdhsa_system_sgpr_private_segment_wavefront_offset 0
		.amdhsa_system_sgpr_workgroup_id_x 1
		.amdhsa_system_sgpr_workgroup_id_y 1
		.amdhsa_system_sgpr_workgroup_id_z 1
		.amdhsa_system_sgpr_workgroup_info 0
		.amdhsa_system_vgpr_workitem_id 0
		.amdhsa_next_free_vgpr 96
		.amdhsa_next_free_sgpr 38
		.amdhsa_accum_offset 88
		.amdhsa_reserve_vcc 1
		.amdhsa_reserve_flat_scratch 0
		.amdhsa_float_round_mode_32 0
		.amdhsa_float_round_mode_16_64 0
		.amdhsa_float_denorm_mode_32 3
		.amdhsa_float_denorm_mode_16_64 3
		.amdhsa_dx10_clamp 1
		.amdhsa_ieee_mode 1
		.amdhsa_fp16_overflow 0
		.amdhsa_tg_split 0
		.amdhsa_exception_fp_ieee_invalid_op 0
		.amdhsa_exception_fp_denorm_src 0
		.amdhsa_exception_fp_ieee_div_zero 0
		.amdhsa_exception_fp_ieee_overflow 0
		.amdhsa_exception_fp_ieee_underflow 0
		.amdhsa_exception_fp_ieee_inexact 0
		.amdhsa_exception_int_div_zero 0
	.end_amdhsa_kernel
	.section	.text._Z38paged_attention_ll4mi_QKV_mfma4_kernelI14__hip_bfloat16S0_LN4vllm18Fp8KVCacheDataTypeE0ES0_Li32ELi128ELi256ELb0ELi2EEvPKT_PKT0_S8_ifPKiSA_SA_iPKfiiiPfSD_PS3_PT2_iSC_SC_,"axG",@progbits,_Z38paged_attention_ll4mi_QKV_mfma4_kernelI14__hip_bfloat16S0_LN4vllm18Fp8KVCacheDataTypeE0ES0_Li32ELi128ELi256ELb0ELi2EEvPKT_PKT0_S8_ifPKiSA_SA_iPKfiiiPfSD_PS3_PT2_iSC_SC_,comdat
.Lfunc_end365:
	.size	_Z38paged_attention_ll4mi_QKV_mfma4_kernelI14__hip_bfloat16S0_LN4vllm18Fp8KVCacheDataTypeE0ES0_Li32ELi128ELi256ELb0ELi2EEvPKT_PKT0_S8_ifPKiSA_SA_iPKfiiiPfSD_PS3_PT2_iSC_SC_, .Lfunc_end365-_Z38paged_attention_ll4mi_QKV_mfma4_kernelI14__hip_bfloat16S0_LN4vllm18Fp8KVCacheDataTypeE0ES0_Li32ELi128ELi256ELb0ELi2EEvPKT_PKT0_S8_ifPKiSA_SA_iPKfiiiPfSD_PS3_PT2_iSC_SC_
                                        ; -- End function
	.section	.AMDGPU.csdata,"",@progbits
; Kernel info:
; codeLenInByte = 4132
; NumSgprs: 42
; NumVgprs: 85
; NumAgprs: 8
; TotalNumVgprs: 96
; ScratchSize: 0
; MemoryBound: 0
; FloatMode: 240
; IeeeMode: 1
; LDSByteSize: 5280 bytes/workgroup (compile time only)
; SGPRBlocks: 5
; VGPRBlocks: 11
; NumSGPRsForWavesPerEU: 42
; NumVGPRsForWavesPerEU: 96
; AccumOffset: 88
; Occupancy: 5
; WaveLimiterHint : 1
; COMPUTE_PGM_RSRC2:SCRATCH_EN: 0
; COMPUTE_PGM_RSRC2:USER_SGPR: 6
; COMPUTE_PGM_RSRC2:TRAP_HANDLER: 0
; COMPUTE_PGM_RSRC2:TGID_X_EN: 1
; COMPUTE_PGM_RSRC2:TGID_Y_EN: 1
; COMPUTE_PGM_RSRC2:TGID_Z_EN: 1
; COMPUTE_PGM_RSRC2:TIDIG_COMP_CNT: 0
; COMPUTE_PGM_RSRC3_GFX90A:ACCUM_OFFSET: 21
; COMPUTE_PGM_RSRC3_GFX90A:TG_SPLIT: 0
	.section	.text._Z38paged_attention_ll4mi_QKV_mfma4_kernelI14__hip_bfloat16S0_LN4vllm18Fp8KVCacheDataTypeE0ES0_Li32ELi128ELi256ELb0ELi3EEvPKT_PKT0_S8_ifPKiSA_SA_iPKfiiiPfSD_PS3_PT2_iSC_SC_,"axG",@progbits,_Z38paged_attention_ll4mi_QKV_mfma4_kernelI14__hip_bfloat16S0_LN4vllm18Fp8KVCacheDataTypeE0ES0_Li32ELi128ELi256ELb0ELi3EEvPKT_PKT0_S8_ifPKiSA_SA_iPKfiiiPfSD_PS3_PT2_iSC_SC_,comdat
	.protected	_Z38paged_attention_ll4mi_QKV_mfma4_kernelI14__hip_bfloat16S0_LN4vllm18Fp8KVCacheDataTypeE0ES0_Li32ELi128ELi256ELb0ELi3EEvPKT_PKT0_S8_ifPKiSA_SA_iPKfiiiPfSD_PS3_PT2_iSC_SC_ ; -- Begin function _Z38paged_attention_ll4mi_QKV_mfma4_kernelI14__hip_bfloat16S0_LN4vllm18Fp8KVCacheDataTypeE0ES0_Li32ELi128ELi256ELb0ELi3EEvPKT_PKT0_S8_ifPKiSA_SA_iPKfiiiPfSD_PS3_PT2_iSC_SC_
	.globl	_Z38paged_attention_ll4mi_QKV_mfma4_kernelI14__hip_bfloat16S0_LN4vllm18Fp8KVCacheDataTypeE0ES0_Li32ELi128ELi256ELb0ELi3EEvPKT_PKT0_S8_ifPKiSA_SA_iPKfiiiPfSD_PS3_PT2_iSC_SC_
	.p2align	8
	.type	_Z38paged_attention_ll4mi_QKV_mfma4_kernelI14__hip_bfloat16S0_LN4vllm18Fp8KVCacheDataTypeE0ES0_Li32ELi128ELi256ELb0ELi3EEvPKT_PKT0_S8_ifPKiSA_SA_iPKfiiiPfSD_PS3_PT2_iSC_SC_,@function
_Z38paged_attention_ll4mi_QKV_mfma4_kernelI14__hip_bfloat16S0_LN4vllm18Fp8KVCacheDataTypeE0ES0_Li32ELi128ELi256ELb0ELi3EEvPKT_PKT0_S8_ifPKiSA_SA_iPKfiiiPfSD_PS3_PT2_iSC_SC_: ; @_Z38paged_attention_ll4mi_QKV_mfma4_kernelI14__hip_bfloat16S0_LN4vllm18Fp8KVCacheDataTypeE0ES0_Li32ELi128ELi256ELb0ELi3EEvPKT_PKT0_S8_ifPKiSA_SA_iPKfiiiPfSD_PS3_PT2_iSC_SC_
; %bb.0:
	s_load_dwordx2 s[2:3], s[4:5], 0x30
	s_mov_b32 s24, s7
	s_mov_b64 s[0:1], 0
	s_waitcnt lgkmcnt(0)
	s_cmp_lg_u64 s[2:3], 0
	s_cselect_b64 s[10:11], -1, 0
	s_and_b64 vcc, exec, s[10:11]
	s_cbranch_vccz .LBB366_10
; %bb.1:
	s_add_i32 s12, s6, 1
	s_mov_b32 s13, 0
	s_lshl_b64 s[14:15], s[12:13], 2
	s_add_u32 s14, s2, s14
	s_mov_b32 s7, s13
	s_addc_u32 s15, s3, s15
	s_lshl_b64 s[12:13], s[6:7], 2
	s_add_u32 s12, s2, s12
	s_addc_u32 s13, s3, s13
	s_load_dword s9, s[14:15], 0x0
	s_load_dword s16, s[12:13], 0x0
	s_waitcnt lgkmcnt(0)
	s_sub_i32 s9, s9, s16
	s_cmp_eq_u32 s9, 1
	s_cselect_b64 s[12:13], -1, 0
	s_andn2_b64 vcc, exec, s[0:1]
	s_cbranch_vccnz .LBB366_3
.LBB366_2:
	s_mov_b32 s7, 0
	s_mov_b64 s[12:13], -1
.LBB366_3:
	s_andn2_b64 vcc, exec, s[12:13]
	s_cbranch_vccnz .LBB366_25
; %bb.4:
	s_load_dword s9, s[4:5], 0x9c
	s_load_dwordx2 s[0:1], s[4:5], 0x28
	s_add_u32 s28, s4, 0x90
	s_addc_u32 s29, s5, 0
	s_lshl_b64 s[16:17], s[6:7], 2
	s_waitcnt lgkmcnt(0)
	s_and_b32 s12, s9, 0xffff
	s_add_u32 s0, s0, s16
	s_addc_u32 s1, s1, s17
	s_load_dword s9, s[0:1], 0x0
	s_mul_i32 s18, s24, s12
	s_waitcnt lgkmcnt(0)
	s_cmp_ge_i32 s18, s9
	s_cbranch_scc1 .LBB366_25
; %bb.5:
	v_and_b32_e32 v1, 0xc0, v0
	v_add_u32_e32 v2, s18, v1
	v_lshrrev_b32_e32 v70, 6, v0
	v_cmp_le_i32_e64 s[0:1], s9, v2
                                        ; implicit-def: $sgpr20
                                        ; implicit-def: $sgpr19
	s_and_saveexec_b64 s[12:13], s[0:1]
	s_xor_b64 s[12:13], exec, s[12:13]
	s_cbranch_execz .LBB366_7
; %bb.6:
	v_mul_u32_u24_e32 v1, 20, v70
	v_or_b32_e32 v1, 0x1400, v1
	v_mov_b32_e32 v2, 0x1450
	v_mov_b32_e32 v3, 0xff7fffff
	v_mad_u32_u24 v2, v70, 20, v2
	ds_write2_b32 v1, v3, v3 offset1:1
	v_mov_b32_e32 v1, 0
	ds_write2_b32 v2, v1, v1 offset1:1
	v_mov_b32_e32 v2, 0x1408
	s_mov_b32 s19, 0xff7fffff
	s_mov_b32 s20, 0
	v_mad_u32_u24 v2, v70, 20, v2
	v_mov_b32_e32 v4, 0x1458
	v_mad_u32_u24 v4, v70, 20, v4
	ds_write2_b32 v2, v3, v3 offset1:1
	ds_write2_b32 v4, v1, v1 offset1:1
                                        ; implicit-def: $vgpr2
.LBB366_7:
	s_or_saveexec_b64 s[30:31], s[12:13]
	s_load_dwordx2 s[26:27], s[4:5], 0x68
	s_load_dwordx4 s[12:15], s[4:5], 0x58
	s_load_dword s7, s[28:29], 0x4
	v_and_b32_e32 v1, 63, v0
	v_and_b32_e32 v71, 3, v0
	v_mov_b32_e32 v69, s20
	v_mov_b32_e32 v72, s19
	;; [unrolled: 1-line block ×5, first 2 shown]
                                        ; implicit-def: $vgpr3
                                        ; implicit-def: $vgpr7
                                        ; implicit-def: $vgpr11
                                        ; implicit-def: $vgpr19
                                        ; implicit-def: $vgpr47
                                        ; implicit-def: $vgpr35
                                        ; implicit-def: $vgpr39
                                        ; implicit-def: $vgpr43
                                        ; implicit-def: $vgpr27
                                        ; implicit-def: $vgpr15
                                        ; implicit-def: $vgpr23
                                        ; implicit-def: $vgpr31
                                        ; implicit-def: $vgpr51
                                        ; implicit-def: $vgpr55
                                        ; implicit-def: $vgpr59
                                        ; implicit-def: $vgpr63
	s_xor_b64 exec, exec, s[30:31]
	s_cbranch_execz .LBB366_17
; %bb.8:
	s_add_i32 s22, s9, 31
	s_load_dwordx2 s[20:21], s[4:5], 0x20
	s_load_dword s19, s[4:5], 0x38
	s_ashr_i32 s23, s22, 31
	s_lshr_b32 s23, s23, 27
	v_add_u32_e32 v66, s18, v0
	s_add_i32 s22, s22, s23
	v_ashrrev_i32_e32 v3, 31, v66
	s_ashr_i32 s22, s22, 5
	v_lshrrev_b32_e32 v3, 27, v3
	s_add_i32 s25, s22, -1
	v_add_u32_e32 v3, v66, v3
	s_waitcnt lgkmcnt(0)
	s_mul_i32 s22, s6, s19
	s_mov_b32 s23, 0
	v_ashrrev_i32_e32 v3, 5, v3
	v_mov_b32_e32 v4, s25
	v_cmp_gt_i32_e32 vcc, s9, v66
	s_lshl_b64 s[22:23], s[22:23], 2
	v_cndmask_b32_e32 v4, v4, v3, vcc
	s_add_u32 s19, s20, s22
	v_ashrrev_i32_e32 v5, 31, v4
	s_addc_u32 s20, s21, s23
	v_lshlrev_b64 v[4:5], 2, v[4:5]
	v_mov_b32_e32 v3, s20
	v_add_co_u32_e32 v4, vcc, s19, v4
	v_addc_co_u32_e32 v5, vcc, v3, v5, vcc
	v_ashrrev_i32_e32 v3, 31, v2
	v_lshrrev_b32_e32 v3, 27, v3
	v_add_u32_e32 v2, v2, v3
	v_ashrrev_i32_e32 v8, 5, v2
	v_min_i32_e32 v2, s25, v8
	v_ashrrev_i32_e32 v3, 31, v2
	v_lshlrev_b64 v[2:3], 2, v[2:3]
	v_add_co_u32_e32 v6, vcc, s19, v2
	v_add_u32_e32 v2, 1, v8
	v_mov_b32_e32 v7, s20
	v_min_i32_e32 v2, s25, v2
	v_addc_co_u32_e32 v7, vcc, v7, v3, vcc
	v_ashrrev_i32_e32 v3, 31, v2
	v_lshlrev_b64 v[2:3], 2, v[2:3]
	v_mov_b32_e32 v9, s20
	v_add_co_u32_e32 v8, vcc, s19, v2
	v_addc_co_u32_e32 v9, vcc, v9, v3, vcc
	global_load_dword v3, v[4:5], off
	global_load_dword v2, v[6:7], off
	;; [unrolled: 1-line block ×3, first 2 shown]
	s_load_dwordx4 s[20:23], s[4:5], 0x8
	s_andn2_b64 vcc, exec, s[10:11]
	s_cbranch_vccnz .LBB366_11
; %bb.9:
	s_add_u32 s2, s2, s16
	s_addc_u32 s3, s3, s17
	s_load_dword s2, s[2:3], 0x0
	s_branch .LBB366_12
.LBB366_10:
	s_mov_b64 s[12:13], 0
	s_branch .LBB366_2
.LBB366_11:
	s_mov_b32 s2, s6
.LBB366_12:
	s_load_dwordx4 s[16:19], s[4:5], 0x48
	v_cmp_ne_u32_e32 vcc, 3, v71
	s_mov_b32 s3, 0
	v_mov_b32_e32 v67, 1.0
	v_mov_b32_e32 v35, 0
	v_mov_b32_e32 v56, 0
	;; [unrolled: 1-line block ×5, first 2 shown]
	s_and_saveexec_b64 s[10:11], vcc
	s_cbranch_execz .LBB366_14
; %bb.13:
	s_load_dwordx2 s[34:35], s[4:5], 0x0
	s_waitcnt lgkmcnt(0)
	s_ashr_i32 s19, s16, 31
	s_mul_hi_u32 s25, s2, s16
	s_mul_i32 s19, s2, s19
	s_add_i32 s37, s25, s19
	s_mul_i32 s36, s2, s16
	s_lshl_b64 s[36:37], s[36:37], 1
	s_add_u32 s16, s34, s36
	s_mul_i32 s2, s8, 0x180
	s_addc_u32 s19, s35, s37
	s_lshl_b64 s[34:35], s[2:3], 1
	v_lshlrev_b32_e32 v4, 2, v1
	s_add_u32 s34, s16, s34
	v_and_b32_e32 v4, 0xf0, v4
	s_addc_u32 s35, s19, s35
	v_lshl_or_b32 v4, v71, 8, v4
	global_load_dwordx4 v[56:59], v4, s[34:35]
	v_mov_b32_e32 v67, 0
.LBB366_14:
	s_or_b64 exec, exec, s[10:11]
	s_waitcnt vmcnt(2) lgkmcnt(0)
	v_mad_i64_i32 v[4:5], s[10:11], v3, s17, 0
	s_mul_i32 s2, s8, s18
	s_lshl_b64 s[10:11], s[2:3], 1
	s_add_u32 s2, s10, s20
	v_lshlrev_b64 v[4:5], 1, v[4:5]
	s_addc_u32 s3, s11, s21
	v_mov_b32_e32 v3, s3
	v_add_co_u32_e32 v34, vcc, s2, v4
	v_and_b32_e32 v4, 31, v0
	v_addc_co_u32_e32 v3, vcc, v3, v5, vcc
	v_lshlrev_b32_e32 v37, 4, v4
	v_add_co_u32_e32 v32, vcc, v34, v37
	v_addc_co_u32_e32 v33, vcc, 0, v3, vcc
	global_load_dwordx4 v[4:7], v[32:33], off
	global_load_dwordx4 v[8:11], v[32:33], off offset:512
	global_load_dwordx4 v[12:15], v[32:33], off offset:1024
	;; [unrolled: 1-line block ×7, first 2 shown]
	v_or_b32_e32 v42, 0x1000, v37
	v_add_co_u32_e32 v32, vcc, v34, v42
	v_addc_co_u32_e32 v33, vcc, 0, v3, vcc
	global_load_dwordx4 v[42:45], v[32:33], off
	v_or_b32_e32 v46, 0x1200, v37
	v_add_co_u32_e32 v32, vcc, v34, v46
	v_addc_co_u32_e32 v33, vcc, 0, v3, vcc
	global_load_dwordx4 v[46:49], v[32:33], off
	;; [unrolled: 4-line block ×6, first 2 shown]
	v_or_b32_e32 v32, 0x1c00, v37
	v_add_co_u32_e32 v32, vcc, v34, v32
	v_addc_co_u32_e32 v33, vcc, 0, v3, vcc
	v_mov_b32_e32 v54, 0x1e00
	global_load_dwordx4 v[80:83], v[32:33], off
	v_lshl_or_b32 v54, v0, 4, v54
	s_waitcnt vmcnt(16)
	v_mul_hi_i32 v55, v2, s17
	v_ashrrev_i32_e32 v55, 31, v55
	s_load_dword s2, s[4:5], 0x1c
	s_add_u32 s3, s22, s10
	s_addc_u32 s10, s23, s11
	v_lshlrev_b32_e32 v64, 6, v1
	s_waitcnt vmcnt(14)
	v_mfma_f32_4x4x4bf16_1k a[0:3], v[56:57], v[4:5], 0 cbsz:4
	v_add_co_u32_e32 v4, vcc, v34, v54
	v_addc_co_u32_e32 v5, vcc, 0, v3, vcc
	global_load_dwordx4 v[84:87], v[4:5], off
	v_mfma_f32_4x4x4bf16_1k a[0:3], v[58:59], v[6:7], a[0:3] cbsz:4
	v_lshrrev_b32_e32 v34, 29, v55
	s_waitcnt vmcnt(14)
	v_mfma_f32_4x4x4bf16_1k a[0:3], v[56:57], v[8:9], a[0:3] cbsz:4 abid:1
	v_mad_i64_i32 v[2:3], s[4:5], v2, s17, v[34:35]
	v_mfma_f32_4x4x4bf16_1k a[0:3], v[58:59], v[10:11], a[0:3] cbsz:4 abid:1
	v_lshlrev_b64 v[2:3], 1, v[2:3]
	s_waitcnt vmcnt(13)
	v_mfma_f32_4x4x4bf16_1k a[0:3], v[56:57], v[12:13], a[0:3] cbsz:4 abid:2
	v_and_b32_e32 v2, -16, v2
	v_mfma_f32_4x4x4bf16_1k a[0:3], v[58:59], v[14:15], a[0:3] cbsz:4 abid:2
	v_mov_b32_e32 v4, s10
	s_waitcnt vmcnt(12)
	v_mfma_f32_4x4x4bf16_1k a[0:3], v[56:57], v[16:17], a[0:3] cbsz:4 abid:3
	v_add_co_u32_e32 v16, vcc, s3, v2
	v_mfma_f32_4x4x4bf16_1k a[0:3], v[58:59], v[18:19], a[0:3] cbsz:4 abid:3
	v_mul_hi_i32 v34, v36, s17
	s_waitcnt vmcnt(11)
	v_mfma_f32_4x4x4bf16_1k a[0:3], v[56:57], v[20:21], a[0:3] cbsz:4 abid:4
	v_addc_co_u32_e32 v17, vcc, v4, v3, vcc
	v_mfma_f32_4x4x4bf16_1k a[0:3], v[58:59], v[22:23], a[0:3] cbsz:4 abid:4
	v_ashrrev_i32_e32 v34, 31, v34
	s_waitcnt vmcnt(10)
	v_mfma_f32_4x4x4bf16_1k a[0:3], v[56:57], v[24:25], a[0:3] cbsz:4 abid:5
	v_add_co_u32_e32 v14, vcc, v16, v64
	v_mfma_f32_4x4x4bf16_1k a[0:3], v[58:59], v[26:27], a[0:3] cbsz:4 abid:5
	v_lshrrev_b32_e32 v34, 29, v34
	s_waitcnt vmcnt(9)
	v_mfma_f32_4x4x4bf16_1k a[0:3], v[56:57], v[28:29], a[0:3] cbsz:4 abid:6
	v_or_b32_e32 v54, 0x1000, v64
	v_mfma_f32_4x4x4bf16_1k a[0:3], v[58:59], v[30:31], a[0:3] cbsz:4 abid:6
	v_addc_co_u32_e32 v15, vcc, 0, v17, vcc
	s_waitcnt vmcnt(8)
	v_mfma_f32_4x4x4bf16_1k a[0:3], v[56:57], v[38:39], a[0:3] cbsz:4 abid:7
	v_mad_i64_i32 v[34:35], s[4:5], v36, s17, v[34:35]
	v_mfma_f32_4x4x4bf16_1k a[0:3], v[58:59], v[40:41], a[0:3] cbsz:4 abid:7
	v_add_co_u32_e32 v38, vcc, v16, v54
	s_waitcnt vmcnt(7)
	v_mfma_f32_4x4x4bf16_1k a[0:3], v[56:57], v[42:43], a[0:3] cbsz:4 abid:8
	v_lshlrev_b64 v[34:35], 1, v[34:35]
	v_mfma_f32_4x4x4bf16_1k a[0:3], v[58:59], v[44:45], a[0:3] cbsz:4 abid:8
	v_addc_co_u32_e32 v39, vcc, 0, v17, vcc
	s_waitcnt vmcnt(6)
	v_mfma_f32_4x4x4bf16_1k a[0:3], v[56:57], v[46:47], a[0:3] cbsz:4 abid:9
	v_and_b32_e32 v34, -16, v34
	v_mfma_f32_4x4x4bf16_1k a[0:3], v[58:59], v[48:49], a[0:3] cbsz:4 abid:9
	v_mov_b32_e32 v36, s10
	s_waitcnt vmcnt(5)
	v_mfma_f32_4x4x4bf16_1k a[0:3], v[56:57], v[50:51], a[0:3] cbsz:4 abid:10
	global_load_dwordx4 v[2:5], v[14:15], off
	global_load_dwordx4 v[6:9], v[14:15], off offset:16
	v_mfma_f32_4x4x4bf16_1k a[0:3], v[58:59], v[52:53], a[0:3] cbsz:4 abid:10
	v_add_co_u32_e32 v52, vcc, s3, v34
	s_waitcnt vmcnt(6)
	v_mfma_f32_4x4x4bf16_1k a[0:3], v[56:57], v[60:61], a[0:3] cbsz:4 abid:11
	v_addc_co_u32_e32 v53, vcc, v36, v35, vcc
	v_mfma_f32_4x4x4bf16_1k a[0:3], v[58:59], v[62:63], a[0:3] cbsz:4 abid:11
	v_add_co_u32_e32 v50, vcc, v52, v64
	s_waitcnt vmcnt(5)
	v_mfma_f32_4x4x4bf16_1k a[0:3], v[56:57], v[72:73], a[0:3] cbsz:4 abid:12
	v_addc_co_u32_e32 v51, vcc, 0, v53, vcc
	;; [unrolled: 5-line block ×3, first 2 shown]
	v_mfma_f32_4x4x4bf16_1k a[0:3], v[58:59], v[78:79], a[0:3] cbsz:4 abid:13
	v_cmp_eq_u32_e32 vcc, 0, v71
	s_waitcnt vmcnt(3)
	v_mfma_f32_4x4x4bf16_1k a[0:3], v[56:57], v[80:81], a[0:3] cbsz:4 abid:14
	global_load_dwordx4 v[10:13], v[14:15], off offset:32
	global_load_dwordx4 v[18:21], v[14:15], off offset:48
	v_mfma_f32_4x4x4bf16_1k a[0:3], v[58:59], v[82:83], a[0:3] cbsz:4 abid:14
	global_load_dwordx4 v[26:29], v[38:39], off
	global_load_dwordx4 v[14:17], v[38:39], off offset:16
	s_waitcnt vmcnt(6)
	v_mfma_f32_4x4x4bf16_1k a[0:3], v[56:57], v[84:85], a[0:3] cbsz:4 abid:15
	global_load_dwordx4 v[22:25], v[38:39], off offset:32
	global_load_dwordx4 v[30:33], v[38:39], off offset:48
	v_mfma_f32_4x4x4bf16_1k a[0:3], v[58:59], v[86:87], a[0:3] cbsz:4 abid:15
	global_load_dwordx4 v[46:49], v[50:51], off
	global_load_dwordx4 v[34:37], v[50:51], off offset:16
	global_load_dwordx4 v[38:41], v[50:51], off offset:32
	global_load_dwordx4 v[42:45], v[50:51], off offset:48
	s_nop 0
	global_load_dwordx4 v[50:53], v[68:69], off
	global_load_dwordx4 v[54:57], v[68:69], off offset:16
	v_accvgpr_read_b32 v61, a1
	v_accvgpr_read_b32 v60, a0
	s_waitcnt lgkmcnt(0)
	v_pk_mul_f32 v[60:61], s[2:3], v[60:61] op_sel_hi:[0,1]
	v_accvgpr_read_b32 v59, a3
	v_accvgpr_read_b32 v58, a2
	v_pk_mul_f32 v[72:73], s[2:3], v[58:59] op_sel_hi:[0,1]
	v_cndmask_b32_e64 v58, 0, 1.0, vcc
	v_cmp_eq_u32_e32 vcc, 1, v71
	s_nop 0
	v_mfma_f32_4x4x1f32 a[0:3], v60, v58, 0
	v_cndmask_b32_e64 v58, 0, 1.0, vcc
	v_cmp_eq_u32_e32 vcc, 2, v71
	s_nop 0
	v_mfma_f32_4x4x1f32 a[0:3], v61, v58, a[0:3]
	v_cndmask_b32_e64 v58, 0, 1.0, vcc
	s_nop 1
	v_mfma_f32_4x4x1f32 a[0:3], v72, v58, a[0:3]
	global_load_dwordx4 v[58:61], v[68:69], off offset:32
	global_load_dwordx4 v[62:65], v[68:69], off offset:48
	v_mfma_f32_4x4x1f32 a[0:3], v73, v67, a[0:3]
	v_and_b32_e32 v67, -4, v66
	v_mov_b32_e32 v73, 0xff7fffff
	v_cmp_gt_i32_e32 vcc, s9, v67
	v_or_b32_e32 v66, 3, v66
	v_cmp_gt_i32_e64 s[10:11], s9, v66
	v_accvgpr_read_b32 v69, a0
	v_max_f32_e32 v72, v69, v69
	v_max_f32_e32 v72, 0xff7fffff, v72
	v_accvgpr_read_b32 v74, a1
	v_cndmask_b32_e32 v72, v73, v72, vcc
	v_or_b32_e32 v73, 1, v67
	v_max_f32_e32 v75, v74, v74
	v_max_f32_e32 v75, v72, v75
	v_cmp_gt_i32_e64 s[2:3], s9, v73
	v_accvgpr_read_b32 v73, a2
	v_cndmask_b32_e64 v72, v72, v75, s[2:3]
	v_or_b32_e32 v67, 2, v67
	v_max_f32_e32 v75, v73, v73
	v_max_f32_e32 v75, v72, v75
	v_cmp_gt_i32_e64 s[4:5], s9, v67
	v_cndmask_b32_e64 v67, v72, v75, s[4:5]
	v_accvgpr_read_b32 v75, a3
	v_max_f32_e32 v72, v75, v75
	v_max_f32_e32 v72, v67, v72
	v_lshlrev_b32_e32 v68, 2, v0
	v_cndmask_b32_e64 v66, v67, v72, s[10:11]
	v_and_or_b32 v68, v68, 48, v71
	;;#ASMSTART
	v_nop
 v_nop
 v_max_f32_dpp v66, v66, v66 row_ror:4
	;;#ASMEND
	v_lshlrev_b32_e32 v76, 2, v68
	;;#ASMSTART
	v_nop
 v_nop
 v_max_f32_dpp v66, v66, v66 row_ror:8
	;;#ASMEND
	ds_bpermute_b32 v66, v76, v66
	s_waitcnt lgkmcnt(0)
	;;#ASMSTART
	v_nop
 v_nop
 v_max_f32_dpp v66, v66, v66 row_ror:4
	;;#ASMEND
	;;#ASMSTART
	v_nop
 v_nop
 v_max_f32_dpp v72, v66, v66 row_ror:8
	;;#ASMEND
	v_sub_f32_e32 v66, v69, v72
	v_mul_f32_e32 v66, 0x3fb8aa3b, v66
	v_sub_f32_e32 v67, v74, v72
	v_exp_f32_e32 v66, v66
	v_mul_f32_e32 v67, 0x3fb8aa3b, v67
	v_sub_f32_e32 v69, v73, v72
	v_exp_f32_e32 v67, v67
	;; [unrolled: 3-line block ×3, first 2 shown]
	v_mul_f32_e32 v73, 0x3fb8aa3b, v73
	v_exp_f32_e32 v73, v73
	v_cndmask_b32_e32 v66, 0, v66, vcc
	v_add_f32_e32 v68, 0, v66
	v_cndmask_b32_e64 v67, 0, v67, s[2:3]
	v_add_f32_e32 v74, v68, v67
	v_cndmask_b32_e64 v68, 0, v69, s[4:5]
	;; [unrolled: 2-line block ×3, first 2 shown]
	v_add_f32_e32 v73, v74, v69
	;;#ASMSTART
	v_nop
 v_nop
 v_add_f32_dpp v73, v73, v73 row_ror:4
	;;#ASMEND
	;;#ASMSTART
	v_nop
 v_nop
 v_add_f32_dpp v73, v73, v73 row_ror:8
	;;#ASMEND
	ds_bpermute_b32 v73, v76, v73
	s_waitcnt lgkmcnt(0)
	;;#ASMSTART
	v_nop
 v_nop
 v_add_f32_dpp v73, v73, v73 row_ror:4
	;;#ASMEND
	v_cmp_gt_u32_e32 vcc, 4, v1
	;;#ASMSTART
	v_nop
 v_nop
 v_add_f32_dpp v73, v73, v73 row_ror:8
	;;#ASMEND
	s_and_saveexec_b64 s[2:3], vcc
	s_cbranch_execz .LBB366_16
; %bb.15:
	v_mul_u32_u24_e32 v74, 20, v70
	v_lshl_add_u32 v74, v71, 2, v74
	v_add_u32_e32 v74, 0x1400, v74
	ds_write2_b32 v74, v72, v73 offset1:20
.LBB366_16:
	s_or_b64 exec, exec, s[2:3]
.LBB366_17:
	s_or_b64 exec, exec, s[30:31]
	s_waitcnt lgkmcnt(0)
	s_barrier
	s_load_dword s2, s[28:29], 0x8
	v_lshlrev_b32_e32 v73, 2, v71
	v_add_u32_e32 v73, 0x1400, v73
	ds_read2_b32 v[76:77], v73 offset1:5
	ds_read2_b32 v[78:79], v73 offset0:10 offset1:15
	s_mul_i32 s3, s6, s7
	s_waitcnt lgkmcnt(0)
	s_mul_i32 s2, s3, s2
	s_mov_b32 s3, 0xff7fffff
	v_max3_f32 v74, v76, s3, v77
	v_max3_f32 v74, v74, v78, v79
	v_sub_f32_e32 v75, v76, v74
	v_sub_f32_e32 v76, v77, v74
	ds_read2_b32 v[80:81], v73 offset0:20 offset1:25
	v_mul_f32_e32 v75, 0x3fb8aa3b, v75
	v_mul_f32_e32 v76, 0x3fb8aa3b, v76
	v_exp_f32_e32 v75, v75
	v_exp_f32_e32 v82, v76
	ds_read2_b32 v[76:77], v73 offset0:30 offset1:35
	v_sub_f32_e32 v73, v78, v74
	v_mul_f32_e32 v73, 0x3fb8aa3b, v73
	v_sub_f32_e32 v78, v79, v74
	v_exp_f32_e32 v73, v73
	v_mul_f32_e32 v78, 0x3fb8aa3b, v78
	v_exp_f32_e32 v78, v78
	s_waitcnt lgkmcnt(1)
	v_fma_f32 v75, v75, v80, 0
	v_fmac_f32_e32 v75, v82, v81
	s_waitcnt lgkmcnt(0)
	v_fmac_f32_e32 v75, v73, v76
	s_mul_i32 s8, s8, 3
	s_mul_i32 s2, s2, 3
	v_fmac_f32_e32 v75, v78, v77
	v_cmp_ne_u32_e32 vcc, 3, v71
	s_and_saveexec_b64 s[4:5], vcc
	s_cbranch_execz .LBB366_19
; %bb.18:
	s_mov_b32 s3, 0
	s_lshl_b64 s[10:11], s[2:3], 2
	s_add_u32 s6, s12, s10
	s_mov_b32 s25, s3
	s_addc_u32 s9, s13, s11
	s_lshl_b64 s[12:13], s[24:25], 2
	s_add_u32 s3, s6, s12
	s_addc_u32 s6, s9, s13
	v_add_u32_e32 v71, s8, v71
	s_add_u32 s9, s14, s10
	v_mul_lo_u32 v76, s7, v71
	v_mov_b32_e32 v77, 0
	s_addc_u32 s10, s15, s11
	v_lshlrev_b64 v[76:77], 2, v[76:77]
	s_add_u32 s9, s9, s12
	v_mov_b32_e32 v71, s6
	v_add_co_u32_e32 v78, vcc, s3, v76
	s_addc_u32 s10, s10, s13
	v_addc_co_u32_e32 v79, vcc, v71, v77, vcc
	v_mov_b32_e32 v71, s10
	v_add_co_u32_e32 v76, vcc, s9, v76
	v_addc_co_u32_e32 v77, vcc, v71, v77, vcc
	global_store_dword v[76:77], v74, off
	global_store_dword v[78:79], v75, off
.LBB366_19:
	s_or_b64 exec, exec, s[4:5]
	v_lshlrev_b32_e32 v73, 3, v70
                                        ; implicit-def: $sgpr3
	s_and_saveexec_b64 s[4:5], s[0:1]
	s_xor_b64 s[0:1], exec, s[4:5]
	s_cbranch_execz .LBB366_21
; %bb.20:
	s_waitcnt vmcnt(15)
	v_mov_b32_e32 v2, 0
	v_mad_u32_u24 v4, v1, 40, v73
	s_mov_b32 s3, 0
	v_mov_b32_e32 v3, v2
	ds_write_b64 v4, v[2:3]
                                        ; implicit-def: $vgpr69
                                        ; implicit-def: $vgpr67
                                        ; implicit-def: $vgpr3
                                        ; implicit-def: $vgpr7
                                        ; implicit-def: $vgpr11
                                        ; implicit-def: $vgpr19
                                        ; implicit-def: $vgpr47
                                        ; implicit-def: $vgpr35
                                        ; implicit-def: $vgpr39
                                        ; implicit-def: $vgpr43
                                        ; implicit-def: $vgpr27
                                        ; implicit-def: $vgpr15
                                        ; implicit-def: $vgpr23
                                        ; implicit-def: $vgpr31
                                        ; implicit-def: $vgpr51
                                        ; implicit-def: $vgpr55
                                        ; implicit-def: $vgpr59
                                        ; implicit-def: $vgpr63
                                        ; implicit-def: $vgpr72
                                        ; implicit-def: $vgpr74
                                        ; implicit-def: $vgpr75
.LBB366_21:
	s_or_saveexec_b64 s[0:1], s[0:1]
	v_mov_b32_e32 v70, s3
	v_mov_b32_e32 v71, s3
	s_xor_b64 exec, exec, s[0:1]
	s_cbranch_execz .LBB366_23
; %bb.22:
	v_add_f32_e32 v70, 0x358637bd, v75
	v_div_scale_f32 v71, s[4:5], v70, v70, 1.0
	v_rcp_f32_e32 v75, v71
	v_sub_f32_e32 v72, v72, v74
	v_mul_f32_e32 v72, 0x3fb8aa3b, v72
	v_exp_f32_e32 v72, v72
	v_fma_f32 v74, -v71, v75, 1.0
	v_fmac_f32_e32 v75, v74, v75
	v_div_scale_f32 v74, vcc, 1.0, v70, 1.0
	v_mul_f32_e32 v76, v74, v75
	v_fma_f32 v77, -v71, v76, v74
	v_fmac_f32_e32 v76, v77, v75
	v_fma_f32 v71, -v71, v76, v74
	v_div_fmas_f32 v71, v71, v75, v76
	v_div_fixup_f32 v70, v71, v70, 1.0
	v_mul_f32_e32 v70, v72, v70
	v_pk_mul_f32 v[66:67], v[66:67], v[70:71] op_sel_hi:[1,0]
	v_pk_mul_f32 v[68:69], v[68:69], v[70:71] op_sel_hi:[1,0]
	v_bfe_u32 v70, v67, 16, 1
	v_bfe_u32 v71, v66, 16, 1
	s_movk_i32 s3, 0x7fff
	v_add3_u32 v66, v66, v71, s3
	v_add3_u32 v67, v67, v70, s3
	s_mov_b32 s4, 0x7060302
	v_perm_b32 v66, v67, v66, s4
	v_bfe_u32 v67, v69, 16, 1
	v_bfe_u32 v70, v68, 16, 1
	v_add3_u32 v68, v68, v70, s3
	v_add3_u32 v67, v69, v67, s3
	v_perm_b32 v67, v67, v68, s4
	s_waitcnt vmcnt(15)
	s_nop 0
	v_mfma_f32_4x4x4bf16_1k a[0:3], v[66:67], v[2:3], 0 cbsz:4
	v_mfma_f32_4x4x4bf16_1k a[0:3], v[66:67], v[4:5], a[0:3] cbsz:4 abid:1
	s_waitcnt vmcnt(14)
	v_mfma_f32_4x4x4bf16_1k a[0:3], v[66:67], v[6:7], a[0:3] cbsz:4 abid:2
	v_mfma_f32_4x4x4bf16_1k a[0:3], v[66:67], v[8:9], a[0:3] cbsz:4 abid:3
	s_waitcnt vmcnt(13)
	v_mfma_f32_4x4x4bf16_1k a[0:3], v[66:67], v[10:11], a[0:3] cbsz:4 abid:4
	;; [unrolled: 3-line block ×6, first 2 shown]
	v_mfma_f32_4x4x4bf16_1k a[4:7], v[66:67], v[26:27], 0 cbsz:4
	v_mfma_f32_4x4x4bf16_1k a[0:3], v[66:67], v[40:41], a[0:3] cbsz:4 abid:13
	v_mfma_f32_4x4x4bf16_1k a[4:7], v[66:67], v[28:29], a[4:7] cbsz:4 abid:1
	s_waitcnt vmcnt(4)
	v_mfma_f32_4x4x4bf16_1k a[0:3], v[66:67], v[42:43], a[0:3] cbsz:4 abid:14
	v_mfma_f32_4x4x4bf16_1k a[4:7], v[66:67], v[14:15], a[4:7] cbsz:4 abid:2
	;; [unrolled: 1-line block ×3, first 2 shown]
	s_nop 4
	v_accvgpr_read_b32 v3, a2
	v_accvgpr_read_b32 v4, a3
	;; [unrolled: 1-line block ×4, first 2 shown]
	v_mfma_f32_4x4x4bf16_1k a[0:3], v[66:67], v[16:17], a[4:7] cbsz:4 abid:3
	v_bfe_u32 v6, v5, 16, 1
	v_mfma_f32_4x4x4bf16_1k a[0:3], v[66:67], v[22:23], a[0:3] cbsz:4 abid:4
	v_bfe_u32 v7, v2, 16, 1
	v_mfma_f32_4x4x4bf16_1k a[0:3], v[66:67], v[24:25], a[0:3] cbsz:4 abid:5
	v_add3_u32 v2, v2, v7, s3
	v_mfma_f32_4x4x4bf16_1k a[0:3], v[66:67], v[30:31], a[0:3] cbsz:4 abid:6
	v_add3_u32 v5, v5, v6, s3
	v_mfma_f32_4x4x4bf16_1k a[0:3], v[66:67], v[32:33], a[0:3] cbsz:4 abid:7
	v_perm_b32 v2, v5, v2, s4
	s_waitcnt vmcnt(3)
	v_mfma_f32_4x4x4bf16_1k a[0:3], v[66:67], v[50:51], a[0:3] cbsz:4 abid:8
	v_bfe_u32 v5, v4, 16, 1
	v_mfma_f32_4x4x4bf16_1k a[0:3], v[66:67], v[52:53], a[0:3] cbsz:4 abid:9
	v_bfe_u32 v6, v3, 16, 1
	s_waitcnt vmcnt(2)
	v_mfma_f32_4x4x4bf16_1k a[0:3], v[66:67], v[54:55], a[0:3] cbsz:4 abid:10
	v_add3_u32 v3, v3, v6, s3
	v_mfma_f32_4x4x4bf16_1k a[0:3], v[66:67], v[56:57], a[0:3] cbsz:4 abid:11
	v_add3_u32 v4, v4, v5, s3
	s_waitcnt vmcnt(1)
	v_mfma_f32_4x4x4bf16_1k a[0:3], v[66:67], v[58:59], a[0:3] cbsz:4 abid:12
	v_perm_b32 v3, v4, v3, s4
	v_mfma_f32_4x4x4bf16_1k a[0:3], v[66:67], v[60:61], a[0:3] cbsz:4 abid:13
	v_mad_u32_u24 v4, v1, 40, v73
	s_waitcnt vmcnt(0)
	v_mfma_f32_4x4x4bf16_1k a[0:3], v[66:67], v[62:63], a[0:3] cbsz:4 abid:14
	ds_write_b64 v4, v[2:3]
	v_mfma_f32_4x4x4bf16_1k a[0:3], v[66:67], v[64:65], a[0:3] cbsz:4 abid:15
	s_nop 4
	v_accvgpr_read_b32 v4, a0
	v_accvgpr_read_b32 v5, a1
	;; [unrolled: 1-line block ×4, first 2 shown]
	v_bfe_u32 v6, v5, 16, 1
	v_bfe_u32 v7, v4, 16, 1
	v_add3_u32 v4, v4, v7, s3
	v_add3_u32 v5, v5, v6, s3
	v_bfe_u32 v6, v3, 16, 1
	v_bfe_u32 v7, v2, 16, 1
	v_add3_u32 v2, v2, v7, s3
	v_add3_u32 v3, v3, v6, s3
	v_perm_b32 v71, v3, v2, s4
	v_perm_b32 v70, v5, v4, s4
.LBB366_23:
	s_or_b64 exec, exec, s[0:1]
	s_waitcnt vmcnt(15)
	v_mad_u32_u24 v2, v1, 40, v73
	v_cmp_gt_u32_e32 vcc, 64, v0
	ds_write_b64 v2, v[70:71] offset:2560
	s_waitcnt lgkmcnt(0)
	s_barrier
	s_and_saveexec_b64 s[0:1], vcc
	s_cbranch_execz .LBB366_25
; %bb.24:
	s_waitcnt vmcnt(14)
	v_mul_u32_u24_e32 v6, 40, v1
	ds_read2_b64 v[2:5], v6 offset1:1
	ds_read2_b64 v[6:9], v6 offset0:2 offset1:3
	s_mov_b32 s1, 0
	s_lshl_b32 s0, s2, 7
	s_lshl_b64 s[2:3], s[0:1], 1
	s_waitcnt vmcnt(13) lgkmcnt(1)
	v_and_b32_e32 v10, 0xffff0000, v2
	v_lshlrev_b32_e32 v3, 16, v3
	v_add_f32_e32 v10, 0, v10
	v_add_f32_e32 v3, 0, v3
	v_and_b32_e32 v10, 0xffff0000, v10
	v_and_b32_e32 v11, 0xffff0000, v4
	;; [unrolled: 1-line block ×3, first 2 shown]
	v_add_f32_e32 v10, v10, v11
	v_lshlrev_b32_e32 v5, 16, v5
	v_and_b32_e32 v10, 0xffff0000, v10
	v_add_f32_e32 v3, v3, v5
	s_waitcnt lgkmcnt(0)
	v_and_b32_e32 v5, 0xffff0000, v6
	v_and_b32_e32 v3, 0xffff0000, v3
	v_add_f32_e32 v5, v10, v5
	v_lshlrev_b32_e32 v7, 16, v7
	v_and_b32_e32 v5, 0xffff0000, v5
	v_add_f32_e32 v3, v3, v7
	v_and_b32_e32 v7, 0xffff0000, v8
	s_waitcnt vmcnt(12)
	v_add_f32_e32 v18, v5, v7
	v_mov_b32_e32 v7, 0xa00
	v_mad_u32_u24 v7, v1, 40, v7
	ds_read2_b64 v[10:13], v7 offset1:1
	v_and_b32_e32 v3, 0xffff0000, v3
	v_lshlrev_b32_e32 v5, 16, v9
	v_add_f32_e32 v9, v3, v5
	v_mov_b32_e32 v3, 0xa10
	v_mad_u32_u24 v1, v1, 40, v3
	s_waitcnt vmcnt(10)
	ds_read2_b64 v[14:17], v1 offset1:1
	s_waitcnt lgkmcnt(1)
	v_lshlrev_b32_e32 v1, 16, v10
	v_add_f32_e32 v1, 0, v1
	v_and_b32_e32 v3, 0xffff0000, v10
	v_and_b32_e32 v1, 0xffff0000, v1
	v_add_f32_e32 v3, 0, v3
	v_lshlrev_b32_e32 v5, 16, v11
	v_lshlrev_b32_e32 v7, 16, v12
	v_and_b32_e32 v3, 0xffff0000, v3
	v_add_f32_e32 v5, 0, v5
	v_add_f32_e32 v1, v1, v7
	v_and_b32_e32 v7, 0xffff0000, v12
	v_and_b32_e32 v5, 0xffff0000, v5
	v_add_f32_e32 v3, v3, v7
	v_lshlrev_b32_e32 v7, 16, v13
	v_and_b32_e32 v1, 0xffff0000, v1
	v_add_f32_e32 v5, v5, v7
	s_waitcnt lgkmcnt(0)
	v_lshlrev_b32_e32 v7, 16, v14
	v_and_b32_e32 v3, 0xffff0000, v3
	v_add_f32_e32 v1, v1, v7
	v_and_b32_e32 v7, 0xffff0000, v14
	v_and_b32_e32 v5, 0xffff0000, v5
	v_add_f32_e32 v3, v3, v7
	v_lshlrev_b32_e32 v7, 16, v15
	v_and_b32_e32 v1, 0xffff0000, v1
	v_add_f32_e32 v5, v5, v7
	v_lshlrev_b32_e32 v7, 16, v16
	v_and_b32_e32 v3, 0xffff0000, v3
	v_add_f32_e32 v10, v1, v7
	v_and_b32_e32 v1, 0xffff0000, v16
	v_and_b32_e32 v5, 0xffff0000, v5
	v_add_f32_e32 v11, v3, v1
	v_lshlrev_b32_e32 v1, 16, v17
	v_add_f32_e32 v12, v5, v1
	v_lshlrev_b32_e32 v1, 16, v2
	s_add_u32 s2, s26, s2
	v_add_f32_e32 v1, 0, v1
	s_addc_u32 s3, s27, s3
	s_lshl_b32 s0, s24, 7
	v_and_b32_e32 v1, 0xffff0000, v1
	v_lshlrev_b32_e32 v2, 16, v4
	s_lshl_b64 s[0:1], s[0:1], 1
	v_add_f32_e32 v1, v1, v2
	s_add_u32 s0, s2, s0
	v_and_b32_e32 v1, 0xffff0000, v1
	v_lshlrev_b32_e32 v2, 16, v6
	s_addc_u32 s1, s3, s1
	s_lshl_b32 s2, s7, 7
	v_add_f32_e32 v1, v1, v2
	v_and_b32_e32 v1, 0xffff0000, v1
	v_lshlrev_b32_e32 v2, 16, v8
	s_mul_i32 s3, s2, s8
	v_add_f32_e32 v1, v1, v2
	v_or_b32_e32 v2, s3, v0
	v_mov_b32_e32 v3, 0
	v_lshlrev_b64 v[4:5], 1, v[2:3]
	v_mov_b32_e32 v2, s1
	v_add_co_u32_e32 v4, vcc, s0, v4
	s_add_i32 s3, s3, s2
	v_addc_co_u32_e32 v5, vcc, v2, v5, vcc
	v_or_b32_e32 v2, s3, v0
	v_lshlrev_b64 v[6:7], 1, v[2:3]
	s_add_i32 s3, s3, s2
	global_store_short_d16_hi v[4:5], v1, off
	v_mov_b32_e32 v1, s1
	v_add_co_u32_e32 v6, vcc, s0, v6
	v_or_b32_e32 v2, s3, v0
	v_addc_co_u32_e32 v7, vcc, v1, v7, vcc
	v_lshlrev_b64 v[0:1], 1, v[2:3]
	v_mov_b32_e32 v2, s1
	v_add_co_u32_e32 v0, vcc, s0, v0
	v_addc_co_u32_e32 v1, vcc, v2, v1, vcc
	global_store_short_d16_hi v[6:7], v18, off
	global_store_short_d16_hi v[0:1], v9, off
	global_store_short_d16_hi v[4:5], v10, off offset:128
	global_store_short_d16_hi v[6:7], v11, off offset:128
	global_store_short_d16_hi v[0:1], v12, off offset:128
.LBB366_25:
	s_endpgm
	.section	.rodata,"a",@progbits
	.p2align	6, 0x0
	.amdhsa_kernel _Z38paged_attention_ll4mi_QKV_mfma4_kernelI14__hip_bfloat16S0_LN4vllm18Fp8KVCacheDataTypeE0ES0_Li32ELi128ELi256ELb0ELi3EEvPKT_PKT0_S8_ifPKiSA_SA_iPKfiiiPfSD_PS3_PT2_iSC_SC_
		.amdhsa_group_segment_fixed_size 5280
		.amdhsa_private_segment_fixed_size 0
		.amdhsa_kernarg_size 400
		.amdhsa_user_sgpr_count 6
		.amdhsa_user_sgpr_private_segment_buffer 1
		.amdhsa_user_sgpr_dispatch_ptr 0
		.amdhsa_user_sgpr_queue_ptr 0
		.amdhsa_user_sgpr_kernarg_segment_ptr 1
		.amdhsa_user_sgpr_dispatch_id 0
		.amdhsa_user_sgpr_flat_scratch_init 0
		.amdhsa_user_sgpr_kernarg_preload_length 0
		.amdhsa_user_sgpr_kernarg_preload_offset 0
		.amdhsa_user_sgpr_private_segment_size 0
		.amdhsa_uses_dynamic_stack 0
		.amdhsa_system_sgpr_private_segment_wavefront_offset 0
		.amdhsa_system_sgpr_workgroup_id_x 1
		.amdhsa_system_sgpr_workgroup_id_y 1
		.amdhsa_system_sgpr_workgroup_id_z 1
		.amdhsa_system_sgpr_workgroup_info 0
		.amdhsa_system_vgpr_workitem_id 0
		.amdhsa_next_free_vgpr 96
		.amdhsa_next_free_sgpr 38
		.amdhsa_accum_offset 88
		.amdhsa_reserve_vcc 1
		.amdhsa_reserve_flat_scratch 0
		.amdhsa_float_round_mode_32 0
		.amdhsa_float_round_mode_16_64 0
		.amdhsa_float_denorm_mode_32 3
		.amdhsa_float_denorm_mode_16_64 3
		.amdhsa_dx10_clamp 1
		.amdhsa_ieee_mode 1
		.amdhsa_fp16_overflow 0
		.amdhsa_tg_split 0
		.amdhsa_exception_fp_ieee_invalid_op 0
		.amdhsa_exception_fp_denorm_src 0
		.amdhsa_exception_fp_ieee_div_zero 0
		.amdhsa_exception_fp_ieee_overflow 0
		.amdhsa_exception_fp_ieee_underflow 0
		.amdhsa_exception_fp_ieee_inexact 0
		.amdhsa_exception_int_div_zero 0
	.end_amdhsa_kernel
	.section	.text._Z38paged_attention_ll4mi_QKV_mfma4_kernelI14__hip_bfloat16S0_LN4vllm18Fp8KVCacheDataTypeE0ES0_Li32ELi128ELi256ELb0ELi3EEvPKT_PKT0_S8_ifPKiSA_SA_iPKfiiiPfSD_PS3_PT2_iSC_SC_,"axG",@progbits,_Z38paged_attention_ll4mi_QKV_mfma4_kernelI14__hip_bfloat16S0_LN4vllm18Fp8KVCacheDataTypeE0ES0_Li32ELi128ELi256ELb0ELi3EEvPKT_PKT0_S8_ifPKiSA_SA_iPKfiiiPfSD_PS3_PT2_iSC_SC_,comdat
.Lfunc_end366:
	.size	_Z38paged_attention_ll4mi_QKV_mfma4_kernelI14__hip_bfloat16S0_LN4vllm18Fp8KVCacheDataTypeE0ES0_Li32ELi128ELi256ELb0ELi3EEvPKT_PKT0_S8_ifPKiSA_SA_iPKfiiiPfSD_PS3_PT2_iSC_SC_, .Lfunc_end366-_Z38paged_attention_ll4mi_QKV_mfma4_kernelI14__hip_bfloat16S0_LN4vllm18Fp8KVCacheDataTypeE0ES0_Li32ELi128ELi256ELb0ELi3EEvPKT_PKT0_S8_ifPKiSA_SA_iPKfiiiPfSD_PS3_PT2_iSC_SC_
                                        ; -- End function
	.section	.AMDGPU.csdata,"",@progbits
; Kernel info:
; codeLenInByte = 4288
; NumSgprs: 42
; NumVgprs: 88
; NumAgprs: 8
; TotalNumVgprs: 96
; ScratchSize: 0
; MemoryBound: 0
; FloatMode: 240
; IeeeMode: 1
; LDSByteSize: 5280 bytes/workgroup (compile time only)
; SGPRBlocks: 5
; VGPRBlocks: 11
; NumSGPRsForWavesPerEU: 42
; NumVGPRsForWavesPerEU: 96
; AccumOffset: 88
; Occupancy: 5
; WaveLimiterHint : 1
; COMPUTE_PGM_RSRC2:SCRATCH_EN: 0
; COMPUTE_PGM_RSRC2:USER_SGPR: 6
; COMPUTE_PGM_RSRC2:TRAP_HANDLER: 0
; COMPUTE_PGM_RSRC2:TGID_X_EN: 1
; COMPUTE_PGM_RSRC2:TGID_Y_EN: 1
; COMPUTE_PGM_RSRC2:TGID_Z_EN: 1
; COMPUTE_PGM_RSRC2:TIDIG_COMP_CNT: 0
; COMPUTE_PGM_RSRC3_GFX90A:ACCUM_OFFSET: 21
; COMPUTE_PGM_RSRC3_GFX90A:TG_SPLIT: 0
	.section	.text._Z38paged_attention_ll4mi_QKV_mfma4_kernelI14__hip_bfloat16S0_LN4vllm18Fp8KVCacheDataTypeE0ES0_Li32ELi128ELi256ELb0ELi4EEvPKT_PKT0_S8_ifPKiSA_SA_iPKfiiiPfSD_PS3_PT2_iSC_SC_,"axG",@progbits,_Z38paged_attention_ll4mi_QKV_mfma4_kernelI14__hip_bfloat16S0_LN4vllm18Fp8KVCacheDataTypeE0ES0_Li32ELi128ELi256ELb0ELi4EEvPKT_PKT0_S8_ifPKiSA_SA_iPKfiiiPfSD_PS3_PT2_iSC_SC_,comdat
	.protected	_Z38paged_attention_ll4mi_QKV_mfma4_kernelI14__hip_bfloat16S0_LN4vllm18Fp8KVCacheDataTypeE0ES0_Li32ELi128ELi256ELb0ELi4EEvPKT_PKT0_S8_ifPKiSA_SA_iPKfiiiPfSD_PS3_PT2_iSC_SC_ ; -- Begin function _Z38paged_attention_ll4mi_QKV_mfma4_kernelI14__hip_bfloat16S0_LN4vllm18Fp8KVCacheDataTypeE0ES0_Li32ELi128ELi256ELb0ELi4EEvPKT_PKT0_S8_ifPKiSA_SA_iPKfiiiPfSD_PS3_PT2_iSC_SC_
	.globl	_Z38paged_attention_ll4mi_QKV_mfma4_kernelI14__hip_bfloat16S0_LN4vllm18Fp8KVCacheDataTypeE0ES0_Li32ELi128ELi256ELb0ELi4EEvPKT_PKT0_S8_ifPKiSA_SA_iPKfiiiPfSD_PS3_PT2_iSC_SC_
	.p2align	8
	.type	_Z38paged_attention_ll4mi_QKV_mfma4_kernelI14__hip_bfloat16S0_LN4vllm18Fp8KVCacheDataTypeE0ES0_Li32ELi128ELi256ELb0ELi4EEvPKT_PKT0_S8_ifPKiSA_SA_iPKfiiiPfSD_PS3_PT2_iSC_SC_,@function
_Z38paged_attention_ll4mi_QKV_mfma4_kernelI14__hip_bfloat16S0_LN4vllm18Fp8KVCacheDataTypeE0ES0_Li32ELi128ELi256ELb0ELi4EEvPKT_PKT0_S8_ifPKiSA_SA_iPKfiiiPfSD_PS3_PT2_iSC_SC_: ; @_Z38paged_attention_ll4mi_QKV_mfma4_kernelI14__hip_bfloat16S0_LN4vllm18Fp8KVCacheDataTypeE0ES0_Li32ELi128ELi256ELb0ELi4EEvPKT_PKT0_S8_ifPKiSA_SA_iPKfiiiPfSD_PS3_PT2_iSC_SC_
; %bb.0:
	s_load_dwordx2 s[10:11], s[4:5], 0x30
	s_mov_b32 s24, s7
	s_mov_b64 s[0:1], 0
	s_waitcnt lgkmcnt(0)
	s_cmp_lg_u64 s[10:11], 0
	s_cselect_b64 s[16:17], -1, 0
	s_and_b64 vcc, exec, s[16:17]
	s_cbranch_vccz .LBB367_20
; %bb.1:
	s_add_i32 s2, s6, 1
	s_mov_b32 s3, 0
	s_lshl_b64 s[12:13], s[2:3], 2
	s_add_u32 s12, s10, s12
	s_mov_b32 s7, s3
	s_addc_u32 s13, s11, s13
	s_lshl_b64 s[2:3], s[6:7], 2
	s_add_u32 s2, s10, s2
	s_addc_u32 s3, s11, s3
	s_load_dword s9, s[12:13], 0x0
	s_load_dword s14, s[2:3], 0x0
	s_mov_b64 s[34:35], s[6:7]
	s_waitcnt lgkmcnt(0)
	s_sub_i32 s2, s9, s14
	s_cmp_eq_u32 s2, 1
	s_cselect_b64 s[2:3], -1, 0
	s_andn2_b64 vcc, exec, s[0:1]
	s_cbranch_vccnz .LBB367_3
.LBB367_2:
	s_mov_b32 s7, 0
	s_mov_b64 s[2:3], -1
	s_mov_b64 s[34:35], s[6:7]
.LBB367_3:
	s_andn2_b64 vcc, exec, s[2:3]
	s_cbranch_vccnz .LBB367_19
; %bb.4:
	s_load_dword s2, s[4:5], 0x9c
	s_load_dwordx2 s[0:1], s[4:5], 0x28
	s_add_u32 s28, s4, 0x90
	s_addc_u32 s29, s5, 0
	s_lshl_b64 s[18:19], s[34:35], 2
	s_waitcnt lgkmcnt(0)
	s_and_b32 s2, s2, 0xffff
	s_add_u32 s0, s0, s18
	s_addc_u32 s1, s1, s19
	s_load_dword s9, s[0:1], 0x0
	s_mul_i32 s20, s24, s2
	s_waitcnt lgkmcnt(0)
	s_cmp_ge_i32 s20, s9
	s_cbranch_scc1 .LBB367_19
; %bb.5:
	v_and_b32_e32 v1, 0xc0, v0
	v_add_u32_e32 v2, s20, v1
	v_lshrrev_b32_e32 v72, 6, v0
	v_cmp_le_i32_e64 s[0:1], s9, v2
                                        ; implicit-def: $sgpr22
                                        ; implicit-def: $sgpr21
	s_and_saveexec_b64 s[2:3], s[0:1]
	s_xor_b64 s[2:3], exec, s[2:3]
	s_cbranch_execz .LBB367_7
; %bb.6:
	v_mul_u32_u24_e32 v1, 20, v72
	v_or_b32_e32 v1, 0x1400, v1
	v_mov_b32_e32 v2, 0x1450
	v_mov_b32_e32 v3, 0xff7fffff
	v_mad_u32_u24 v2, v72, 20, v2
	ds_write2_b32 v1, v3, v3 offset1:1
	v_mov_b32_e32 v1, 0
	ds_write2_b32 v2, v1, v1 offset1:1
	v_mov_b32_e32 v2, 0x1408
	s_mov_b32 s21, 0xff7fffff
	s_mov_b32 s22, 0
	v_mad_u32_u24 v2, v72, 20, v2
	v_mov_b32_e32 v4, 0x1458
	v_mad_u32_u24 v4, v72, 20, v4
	ds_write2_b32 v2, v3, v3 offset1:1
	ds_write2_b32 v4, v1, v1 offset1:1
                                        ; implicit-def: $vgpr2
.LBB367_7:
	s_or_saveexec_b64 s[30:31], s[2:3]
	s_load_dwordx2 s[26:27], s[4:5], 0x68
	s_load_dwordx4 s[12:15], s[4:5], 0x58
	s_load_dword s7, s[28:29], 0x4
	v_and_b32_e32 v1, 63, v0
	v_and_b32_e32 v70, 3, v0
	v_mov_b32_e32 v69, s22
	v_mov_b32_e32 v73, s21
	;; [unrolled: 1-line block ×5, first 2 shown]
                                        ; implicit-def: $vgpr3
                                        ; implicit-def: $vgpr7
                                        ; implicit-def: $vgpr11
                                        ; implicit-def: $vgpr15
                                        ; implicit-def: $vgpr47
                                        ; implicit-def: $vgpr35
                                        ; implicit-def: $vgpr39
                                        ; implicit-def: $vgpr43
                                        ; implicit-def: $vgpr27
                                        ; implicit-def: $vgpr19
                                        ; implicit-def: $vgpr23
                                        ; implicit-def: $vgpr31
                                        ; implicit-def: $vgpr51
                                        ; implicit-def: $vgpr55
                                        ; implicit-def: $vgpr59
                                        ; implicit-def: $vgpr63
	s_xor_b64 exec, exec, s[30:31]
	s_cbranch_execz .LBB367_13
; %bb.8:
	s_add_i32 s22, s9, 31
	s_load_dwordx2 s[2:3], s[4:5], 0x20
	s_load_dword s21, s[4:5], 0x38
	s_ashr_i32 s23, s22, 31
	s_lshr_b32 s23, s23, 27
	v_add_u32_e32 v66, s20, v0
	s_add_i32 s22, s22, s23
	v_ashrrev_i32_e32 v3, 31, v66
	s_ashr_i32 s22, s22, 5
	v_lshrrev_b32_e32 v3, 27, v3
	s_add_i32 s25, s22, -1
	v_add_u32_e32 v3, v66, v3
	s_waitcnt lgkmcnt(0)
	s_mul_i32 s36, s6, s21
	s_mov_b32 s37, 0
	v_ashrrev_i32_e32 v3, 5, v3
	v_mov_b32_e32 v4, s25
	v_cmp_gt_i32_e32 vcc, s9, v66
	s_lshl_b64 s[22:23], s[36:37], 2
	v_cndmask_b32_e32 v4, v4, v3, vcc
	s_add_u32 s2, s2, s22
	v_ashrrev_i32_e32 v5, 31, v4
	s_addc_u32 s3, s3, s23
	v_lshlrev_b64 v[4:5], 2, v[4:5]
	v_mov_b32_e32 v3, s3
	v_add_co_u32_e32 v4, vcc, s2, v4
	v_addc_co_u32_e32 v5, vcc, v3, v5, vcc
	v_ashrrev_i32_e32 v3, 31, v2
	v_lshrrev_b32_e32 v3, 27, v3
	v_add_u32_e32 v2, v2, v3
	v_ashrrev_i32_e32 v8, 5, v2
	v_min_i32_e32 v2, s25, v8
	v_ashrrev_i32_e32 v3, 31, v2
	v_lshlrev_b64 v[2:3], 2, v[2:3]
	v_add_co_u32_e32 v6, vcc, s2, v2
	v_add_u32_e32 v2, 1, v8
	v_mov_b32_e32 v7, s3
	v_min_i32_e32 v2, s25, v2
	v_addc_co_u32_e32 v7, vcc, v7, v3, vcc
	v_ashrrev_i32_e32 v3, 31, v2
	v_lshlrev_b64 v[2:3], 2, v[2:3]
	v_mov_b32_e32 v9, s3
	v_add_co_u32_e32 v8, vcc, s2, v2
	v_addc_co_u32_e32 v9, vcc, v9, v3, vcc
	global_load_dword v3, v[4:5], off
	global_load_dword v2, v[6:7], off
	;; [unrolled: 1-line block ×3, first 2 shown]
	s_load_dwordx4 s[20:23], s[4:5], 0x0
	s_load_dwordx2 s[2:3], s[4:5], 0x10
	s_andn2_b64 vcc, exec, s[16:17]
	s_cbranch_vccnz .LBB367_10
; %bb.9:
	s_add_u32 s10, s10, s18
	s_addc_u32 s11, s11, s19
	s_load_dword s36, s[10:11], 0x0
	s_waitcnt lgkmcnt(0)
	s_mov_b64 s[34:35], s[36:37]
.LBB367_10:
	s_load_dwordx4 s[16:19], s[4:5], 0x48
	v_lshlrev_b32_e32 v4, 2, v1
	v_and_b32_e32 v4, 0xf0, v4
	v_lshl_or_b32 v4, v70, 8, v4
	v_mov_b32_e32 v28, 0x1e00
	s_waitcnt lgkmcnt(0)
	s_ashr_i32 s11, s16, 31
	s_mul_hi_u32 s19, s34, s16
	s_mul_i32 s11, s34, s11
	s_mul_i32 s25, s35, s16
	s_add_i32 s11, s19, s11
	s_mul_i32 s10, s34, s16
	s_add_i32 s11, s11, s25
	s_lshl_b64 s[10:11], s[10:11], 1
	s_add_u32 s16, s20, s10
	s_addc_u32 s19, s21, s11
	s_lshl_b32 s36, s8, 9
	s_lshl_b64 s[10:11], s[36:37], 1
	s_add_u32 s10, s16, s10
	s_addc_u32 s11, s19, s11
	global_load_dwordx4 v[74:77], v4, s[10:11]
	s_waitcnt vmcnt(3)
	v_mad_i64_i32 v[4:5], s[10:11], v3, s17, 0
	s_mul_i32 s36, s8, s18
	s_lshl_b64 s[10:11], s[36:37], 1
	s_add_u32 s16, s10, s22
	v_lshlrev_b64 v[4:5], 1, v[4:5]
	s_addc_u32 s18, s11, s23
	v_mov_b32_e32 v3, s18
	v_add_co_u32_e32 v37, vcc, s16, v4
	v_addc_co_u32_e32 v67, vcc, v3, v5, vcc
	v_and_b32_e32 v3, 31, v0
	v_lshlrev_b32_e32 v3, 4, v3
	v_add_co_u32_e32 v32, vcc, v37, v3
	v_addc_co_u32_e32 v33, vcc, 0, v67, vcc
	global_load_dwordx4 v[4:7], v[32:33], off
	global_load_dwordx4 v[8:11], v[32:33], off offset:512
	global_load_dwordx4 v[12:15], v[32:33], off offset:1024
	;; [unrolled: 1-line block ×5, first 2 shown]
	v_lshl_or_b32 v68, v0, 4, v28
	global_load_dwordx4 v[28:31], v[32:33], off offset:3072
	global_load_dwordx4 v[38:41], v[32:33], off offset:3584
	v_or_b32_e32 v34, 0x1000, v3
	v_add_co_u32_e32 v32, vcc, v37, v34
	v_addc_co_u32_e32 v33, vcc, 0, v67, vcc
	global_load_dwordx4 v[42:45], v[32:33], off
	v_or_b32_e32 v46, 0x1200, v3
	v_add_co_u32_e32 v32, vcc, v37, v46
	v_addc_co_u32_e32 v33, vcc, 0, v67, vcc
	global_load_dwordx4 v[46:49], v[32:33], off
	;; [unrolled: 4-line block ×7, first 2 shown]
	s_waitcnt vmcnt(17)
	v_mul_hi_i32 v3, v2, s17
	v_ashrrev_i32_e32 v3, 31, v3
	v_mov_b32_e32 v35, 0
	v_lshrrev_b32_e32 v34, 29, v3
	v_mad_i64_i32 v[2:3], s[18:19], v2, s17, v[34:35]
	s_load_dword s4, s[4:5], 0x1c
	v_lshlrev_b64 v[2:3], 1, v[2:3]
	s_add_u32 s5, s2, s10
	v_and_b32_e32 v2, -16, v2
	s_addc_u32 s10, s3, s11
	s_waitcnt vmcnt(16)
	v_mul_hi_i32 v34, v36, s17
	v_ashrrev_i32_e32 v34, 31, v34
	v_lshrrev_b32_e32 v34, 29, v34
	v_mad_i64_i32 v[34:35], s[2:3], v36, s17, v[34:35]
	s_waitcnt vmcnt(14)
	v_mfma_f32_4x4x4bf16_1k a[0:3], v[74:75], v[4:5], 0 cbsz:4
	v_add_co_u32_e32 v4, vcc, v37, v68
	v_mfma_f32_4x4x4bf16_1k a[0:3], v[76:77], v[6:7], a[0:3] cbsz:4
	v_addc_co_u32_e32 v5, vcc, 0, v67, vcc
	global_load_dwordx4 v[82:85], v[4:5], off
	s_waitcnt vmcnt(14)
	v_mfma_f32_4x4x4bf16_1k a[0:3], v[74:75], v[8:9], a[0:3] cbsz:4 abid:1
	v_mov_b32_e32 v4, s10
	v_mfma_f32_4x4x4bf16_1k a[0:3], v[76:77], v[10:11], a[0:3] cbsz:4 abid:1
	v_lshlrev_b32_e32 v37, 6, v1
	s_waitcnt vmcnt(13)
	v_mfma_f32_4x4x4bf16_1k a[0:3], v[74:75], v[12:13], a[0:3] cbsz:4 abid:2
	v_or_b32_e32 v67, 0x1000, v37
	v_mfma_f32_4x4x4bf16_1k a[0:3], v[76:77], v[14:15], a[0:3] cbsz:4 abid:2
	v_lshlrev_b64 v[34:35], 1, v[34:35]
	s_waitcnt vmcnt(12)
	v_mfma_f32_4x4x4bf16_1k a[0:3], v[74:75], v[16:17], a[0:3] cbsz:4 abid:3
	v_and_b32_e32 v34, -16, v34
	v_mfma_f32_4x4x4bf16_1k a[0:3], v[76:77], v[18:19], a[0:3] cbsz:4 abid:3
	v_mov_b32_e32 v36, s10
	s_waitcnt vmcnt(11)
	v_mfma_f32_4x4x4bf16_1k a[0:3], v[74:75], v[20:21], a[0:3] cbsz:4 abid:4
	v_add_co_u32_e32 v20, vcc, s5, v2
	v_mfma_f32_4x4x4bf16_1k a[0:3], v[76:77], v[22:23], a[0:3] cbsz:4 abid:4
	v_addc_co_u32_e32 v21, vcc, v4, v3, vcc
	s_waitcnt vmcnt(10)
	v_mfma_f32_4x4x4bf16_1k a[0:3], v[74:75], v[24:25], a[0:3] cbsz:4 abid:5
	v_add_co_u32_e32 v18, vcc, v20, v37
	v_mfma_f32_4x4x4bf16_1k a[0:3], v[76:77], v[26:27], a[0:3] cbsz:4 abid:5
	v_addc_co_u32_e32 v19, vcc, 0, v21, vcc
	s_waitcnt vmcnt(9)
	v_mfma_f32_4x4x4bf16_1k a[0:3], v[74:75], v[28:29], a[0:3] cbsz:4 abid:6
	global_load_dwordx4 v[2:5], v[18:19], off
	global_load_dwordx4 v[6:9], v[18:19], off offset:16
	v_mfma_f32_4x4x4bf16_1k a[0:3], v[76:77], v[30:31], a[0:3] cbsz:4 abid:6
	global_load_dwordx4 v[10:13], v[18:19], off offset:32
	global_load_dwordx4 v[14:17], v[18:19], off offset:48
	s_waitcnt vmcnt(12)
	v_mfma_f32_4x4x4bf16_1k a[0:3], v[74:75], v[38:39], a[0:3] cbsz:4 abid:7
	v_add_co_u32_e32 v38, vcc, v20, v67
	v_mfma_f32_4x4x4bf16_1k a[0:3], v[76:77], v[40:41], a[0:3] cbsz:4 abid:7
	v_addc_co_u32_e32 v39, vcc, 0, v21, vcc
	s_waitcnt vmcnt(11)
	v_mfma_f32_4x4x4bf16_1k a[0:3], v[74:75], v[42:43], a[0:3] cbsz:4 abid:8
	global_load_dwordx4 v[26:29], v[38:39], off
	global_load_dwordx4 v[18:21], v[38:39], off offset:16
	v_mfma_f32_4x4x4bf16_1k a[0:3], v[76:77], v[44:45], a[0:3] cbsz:4 abid:8
	global_load_dwordx4 v[22:25], v[38:39], off offset:32
	global_load_dwordx4 v[30:33], v[38:39], off offset:48
	s_waitcnt vmcnt(14)
	v_mfma_f32_4x4x4bf16_1k a[0:3], v[74:75], v[46:47], a[0:3] cbsz:4 abid:9
	v_mov_b32_e32 v73, 0xff7fffff
	v_mfma_f32_4x4x4bf16_1k a[0:3], v[76:77], v[48:49], a[0:3] cbsz:4 abid:9
	s_waitcnt vmcnt(13)
	v_mfma_f32_4x4x4bf16_1k a[0:3], v[74:75], v[50:51], a[0:3] cbsz:4 abid:10
	v_mfma_f32_4x4x4bf16_1k a[0:3], v[76:77], v[52:53], a[0:3] cbsz:4 abid:10
	v_add_co_u32_e32 v52, vcc, s5, v34
	s_waitcnt vmcnt(12)
	v_mfma_f32_4x4x4bf16_1k a[0:3], v[74:75], v[54:55], a[0:3] cbsz:4 abid:11
	v_addc_co_u32_e32 v53, vcc, v36, v35, vcc
	v_mfma_f32_4x4x4bf16_1k a[0:3], v[76:77], v[56:57], a[0:3] cbsz:4 abid:11
	v_add_co_u32_e32 v50, vcc, v52, v37
	s_waitcnt vmcnt(11)
	v_mfma_f32_4x4x4bf16_1k a[0:3], v[74:75], v[58:59], a[0:3] cbsz:4 abid:12
	v_addc_co_u32_e32 v51, vcc, 0, v53, vcc
	;; [unrolled: 5-line block ×3, first 2 shown]
	global_load_dwordx4 v[46:49], v[50:51], off
	global_load_dwordx4 v[34:37], v[50:51], off offset:16
	v_mfma_f32_4x4x4bf16_1k a[0:3], v[76:77], v[64:65], a[0:3] cbsz:4 abid:13
	global_load_dwordx4 v[38:41], v[50:51], off offset:32
	global_load_dwordx4 v[42:45], v[50:51], off offset:48
	s_nop 0
	global_load_dwordx4 v[50:53], v[68:69], off
	global_load_dwordx4 v[54:57], v[68:69], off offset:16
	global_load_dwordx4 v[58:61], v[68:69], off offset:32
	;; [unrolled: 1-line block ×3, first 2 shown]
	s_waitcnt vmcnt(17)
	v_mfma_f32_4x4x4bf16_1k a[0:3], v[74:75], v[78:79], a[0:3] cbsz:4 abid:14
	v_cmp_eq_u32_e32 vcc, 0, v70
	v_mfma_f32_4x4x4bf16_1k a[0:3], v[76:77], v[80:81], a[0:3] cbsz:4 abid:14
	v_cndmask_b32_e64 v67, 0, 1.0, vcc
	s_waitcnt vmcnt(16)
	v_mfma_f32_4x4x4bf16_1k a[0:3], v[74:75], v[82:83], a[0:3] cbsz:4 abid:15
	v_cmp_eq_u32_e32 vcc, 1, v70
	v_mfma_f32_4x4x4bf16_1k a[0:3], v[76:77], v[84:85], a[0:3] cbsz:4 abid:15
	s_nop 4
	v_accvgpr_read_b32 v75, a1
	v_accvgpr_read_b32 v74, a0
	s_waitcnt lgkmcnt(0)
	v_pk_mul_f32 v[74:75], s[4:5], v[74:75] op_sel_hi:[0,1]
	v_accvgpr_read_b32 v69, a3
	v_accvgpr_read_b32 v68, a2
	v_pk_mul_f32 v[68:69], s[4:5], v[68:69] op_sel_hi:[0,1]
	v_mfma_f32_4x4x1f32 a[0:3], v74, v67, 0
	v_cndmask_b32_e64 v67, 0, 1.0, vcc
	v_cmp_eq_u32_e32 vcc, 2, v70
	s_nop 0
	v_mfma_f32_4x4x1f32 a[0:3], v75, v67, a[0:3]
	v_cndmask_b32_e64 v67, 0, 1.0, vcc
	v_cmp_eq_u32_e32 vcc, 3, v70
	s_nop 0
	v_mfma_f32_4x4x1f32 a[0:3], v68, v67, a[0:3]
	v_cndmask_b32_e64 v67, 0, 1.0, vcc
	v_lshlrev_b32_e32 v68, 2, v0
	v_and_or_b32 v68, v68, 48, v70
	v_mfma_f32_4x4x1f32 a[0:3], v69, v67, a[0:3]
	v_and_b32_e32 v67, -4, v66
	v_cmp_gt_i32_e32 vcc, s9, v67
	v_or_b32_e32 v66, 3, v66
	v_cmp_gt_i32_e64 s[10:11], s9, v66
	v_lshlrev_b32_e32 v76, 2, v68
	v_accvgpr_read_b32 v69, a0
	v_max_f32_e32 v71, v69, v69
	v_max_f32_e32 v71, 0xff7fffff, v71
	v_accvgpr_read_b32 v74, a1
	v_cndmask_b32_e32 v71, v73, v71, vcc
	v_or_b32_e32 v73, 1, v67
	v_max_f32_e32 v75, v74, v74
	v_max_f32_e32 v75, v71, v75
	v_cmp_gt_i32_e64 s[2:3], s9, v73
	v_cndmask_b32_e64 v71, v71, v75, s[2:3]
	v_accvgpr_read_b32 v75, a2
	v_or_b32_e32 v67, 2, v67
	v_max_f32_e32 v73, v75, v75
	v_max_f32_e32 v73, v71, v73
	v_cmp_gt_i32_e64 s[4:5], s9, v67
	v_cndmask_b32_e64 v67, v71, v73, s[4:5]
	v_accvgpr_read_b32 v71, a3
	v_max_f32_e32 v73, v71, v71
	v_max_f32_e32 v73, v67, v73
	v_cndmask_b32_e64 v66, v67, v73, s[10:11]
	;;#ASMSTART
	v_nop
 v_nop
 v_max_f32_dpp v66, v66, v66 row_ror:4
	;;#ASMEND
	;;#ASMSTART
	v_nop
 v_nop
 v_max_f32_dpp v66, v66, v66 row_ror:8
	;;#ASMEND
	ds_bpermute_b32 v66, v76, v66
	s_waitcnt lgkmcnt(0)
	;;#ASMSTART
	v_nop
 v_nop
 v_max_f32_dpp v66, v66, v66 row_ror:4
	;;#ASMEND
	;;#ASMSTART
	v_nop
 v_nop
 v_max_f32_dpp v73, v66, v66 row_ror:8
	;;#ASMEND
	v_sub_f32_e32 v66, v69, v73
	v_mul_f32_e32 v66, 0x3fb8aa3b, v66
	v_sub_f32_e32 v67, v74, v73
	v_exp_f32_e32 v66, v66
	v_mul_f32_e32 v67, 0x3fb8aa3b, v67
	v_sub_f32_e32 v69, v75, v73
	v_exp_f32_e32 v67, v67
	;; [unrolled: 3-line block ×3, first 2 shown]
	v_mul_f32_e32 v71, 0x3fb8aa3b, v71
	v_exp_f32_e32 v71, v71
	v_cndmask_b32_e32 v66, 0, v66, vcc
	v_add_f32_e32 v68, 0, v66
	v_cndmask_b32_e64 v67, 0, v67, s[2:3]
	v_add_f32_e32 v74, v68, v67
	v_cndmask_b32_e64 v68, 0, v69, s[4:5]
	;; [unrolled: 2-line block ×3, first 2 shown]
	v_add_f32_e32 v71, v74, v69
	;;#ASMSTART
	v_nop
 v_nop
 v_add_f32_dpp v71, v71, v71 row_ror:4
	;;#ASMEND
	;;#ASMSTART
	v_nop
 v_nop
 v_add_f32_dpp v71, v71, v71 row_ror:8
	;;#ASMEND
	ds_bpermute_b32 v71, v76, v71
	s_waitcnt lgkmcnt(0)
	;;#ASMSTART
	v_nop
 v_nop
 v_add_f32_dpp v71, v71, v71 row_ror:4
	;;#ASMEND
	v_cmp_gt_u32_e32 vcc, 4, v1
	;;#ASMSTART
	v_nop
 v_nop
 v_add_f32_dpp v71, v71, v71 row_ror:8
	;;#ASMEND
	s_and_saveexec_b64 s[2:3], vcc
	s_cbranch_execz .LBB367_12
; %bb.11:
	v_mul_u32_u24_e32 v74, 20, v72
	v_lshl_add_u32 v74, v70, 2, v74
	v_add_u32_e32 v74, 0x1400, v74
	ds_write2_b32 v74, v73, v71 offset1:20
.LBB367_12:
	s_or_b64 exec, exec, s[2:3]
.LBB367_13:
	s_or_b64 exec, exec, s[30:31]
	v_lshlrev_b32_e32 v71, 2, v70
	v_add_u32_e32 v71, 0x1400, v71
	s_waitcnt lgkmcnt(0)
	s_barrier
	s_load_dword s2, s[28:29], 0x8
	ds_read2_b32 v[76:77], v71 offset1:5
	ds_read2_b32 v[78:79], v71 offset0:10 offset1:15
	s_mov_b32 s10, 0xff7fffff
	s_mul_i32 s3, s6, s7
	ds_read2_b32 v[80:81], v71 offset0:20 offset1:25
	s_waitcnt lgkmcnt(0)
	v_max3_f32 v74, v76, s10, v77
	v_max3_f32 v74, v74, v78, v79
	v_sub_f32_e32 v75, v76, v74
	v_sub_f32_e32 v76, v77, v74
	s_mul_i32 s3, s3, s2
	v_mul_f32_e32 v75, 0x3fb8aa3b, v75
	v_mul_f32_e32 v76, 0x3fb8aa3b, v76
	s_lshl_b32 s2, s3, 2
	s_mov_b32 s3, 0
	v_exp_f32_e32 v75, v75
	v_exp_f32_e32 v82, v76
	ds_read2_b32 v[76:77], v71 offset0:30 offset1:35
	v_sub_f32_e32 v71, v78, v74
	s_lshl_b32 s4, s8, 2
	s_lshl_b64 s[8:9], s[2:3], 2
	v_mul_f32_e32 v71, 0x3fb8aa3b, v71
	v_sub_f32_e32 v78, v79, v74
	s_add_u32 s5, s12, s8
	v_exp_f32_e32 v71, v71
	v_mul_f32_e32 v78, 0x3fb8aa3b, v78
	s_addc_u32 s6, s13, s9
	v_exp_f32_e32 v78, v78
	s_mov_b32 s25, s3
	s_add_u32 s10, s14, s8
	v_fma_f32 v75, v75, v80, 0
	s_addc_u32 s11, s15, s9
	s_lshl_b64 s[8:9], s[24:25], 2
	v_fmac_f32_e32 v75, v82, v81
	v_or_b32_e32 v70, s4, v70
	s_add_u32 s10, s10, s8
	s_waitcnt lgkmcnt(0)
	v_fmac_f32_e32 v75, v71, v76
	v_mul_lo_u32 v70, s7, v70
	v_mov_b32_e32 v71, 0
	s_addc_u32 s11, s11, s9
	v_fmac_f32_e32 v75, v78, v77
	v_lshlrev_b64 v[76:77], 2, v[70:71]
	s_add_u32 s5, s5, s8
	v_mov_b32_e32 v70, s11
	v_add_co_u32_e32 v78, vcc, s10, v76
	s_addc_u32 s6, s6, s9
	v_addc_co_u32_e32 v79, vcc, v70, v77, vcc
	v_mov_b32_e32 v70, s6
	v_add_co_u32_e32 v76, vcc, s5, v76
	v_addc_co_u32_e32 v77, vcc, v70, v77, vcc
	v_lshlrev_b32_e32 v72, 3, v72
	global_store_dword v[78:79], v74, off
	global_store_dword v[76:77], v75, off
	s_and_saveexec_b64 s[8:9], s[0:1]
	s_xor_b64 s[0:1], exec, s[8:9]
	s_cbranch_execz .LBB367_15
; %bb.14:
	s_waitcnt vmcnt(17)
	v_mad_u32_u24 v2, v1, 40, v72
	v_mov_b32_e32 v70, v71
	ds_write_b64 v2, v[70:71]
                                        ; implicit-def: $vgpr69
                                        ; implicit-def: $vgpr67
                                        ; implicit-def: $vgpr3
                                        ; implicit-def: $vgpr7
                                        ; implicit-def: $vgpr11
                                        ; implicit-def: $vgpr15
                                        ; implicit-def: $vgpr47
                                        ; implicit-def: $vgpr35
                                        ; implicit-def: $vgpr39
                                        ; implicit-def: $vgpr43
                                        ; implicit-def: $vgpr27
                                        ; implicit-def: $vgpr19
                                        ; implicit-def: $vgpr23
                                        ; implicit-def: $vgpr31
                                        ; implicit-def: $vgpr51
                                        ; implicit-def: $vgpr55
                                        ; implicit-def: $vgpr59
                                        ; implicit-def: $vgpr63
                                        ; implicit-def: $vgpr73
                                        ; implicit-def: $vgpr74
                                        ; implicit-def: $vgpr75
.LBB367_15:
	s_or_saveexec_b64 s[0:1], s[0:1]
	v_mov_b32_e32 v70, s3
	v_mov_b32_e32 v71, s3
	s_xor_b64 exec, exec, s[0:1]
	s_cbranch_execz .LBB367_17
; %bb.16:
	v_add_f32_e32 v70, 0x358637bd, v75
	v_div_scale_f32 v71, s[8:9], v70, v70, 1.0
	v_rcp_f32_e32 v75, v71
	v_sub_f32_e32 v73, v73, v74
	v_mul_f32_e32 v73, 0x3fb8aa3b, v73
	v_exp_f32_e32 v73, v73
	v_fma_f32 v74, -v71, v75, 1.0
	v_fmac_f32_e32 v75, v74, v75
	v_div_scale_f32 v74, vcc, 1.0, v70, 1.0
	v_mul_f32_e32 v76, v74, v75
	v_fma_f32 v77, -v71, v76, v74
	v_fmac_f32_e32 v76, v77, v75
	v_fma_f32 v71, -v71, v76, v74
	v_div_fmas_f32 v71, v71, v75, v76
	v_div_fixup_f32 v70, v71, v70, 1.0
	v_mul_f32_e32 v70, v73, v70
	v_pk_mul_f32 v[66:67], v[66:67], v[70:71] op_sel_hi:[1,0]
	v_pk_mul_f32 v[68:69], v[68:69], v[70:71] op_sel_hi:[1,0]
	v_bfe_u32 v70, v67, 16, 1
	v_bfe_u32 v71, v66, 16, 1
	s_movk_i32 s3, 0x7fff
	v_add3_u32 v66, v66, v71, s3
	v_add3_u32 v67, v67, v70, s3
	s_mov_b32 s5, 0x7060302
	v_perm_b32 v66, v67, v66, s5
	v_bfe_u32 v67, v69, 16, 1
	v_bfe_u32 v70, v68, 16, 1
	v_add3_u32 v68, v68, v70, s3
	v_add3_u32 v67, v69, v67, s3
	v_perm_b32 v67, v67, v68, s5
	s_waitcnt vmcnt(17)
	s_nop 0
	v_mfma_f32_4x4x4bf16_1k a[0:3], v[66:67], v[2:3], 0 cbsz:4
	v_mfma_f32_4x4x4bf16_1k a[0:3], v[66:67], v[4:5], a[0:3] cbsz:4 abid:1
	s_waitcnt vmcnt(16)
	v_mfma_f32_4x4x4bf16_1k a[0:3], v[66:67], v[6:7], a[0:3] cbsz:4 abid:2
	v_mfma_f32_4x4x4bf16_1k a[0:3], v[66:67], v[8:9], a[0:3] cbsz:4 abid:3
	s_waitcnt vmcnt(15)
	v_mfma_f32_4x4x4bf16_1k a[0:3], v[66:67], v[10:11], a[0:3] cbsz:4 abid:4
	;; [unrolled: 3-line block ×6, first 2 shown]
	v_mfma_f32_4x4x4bf16_1k a[4:7], v[66:67], v[26:27], 0 cbsz:4
	v_mfma_f32_4x4x4bf16_1k a[0:3], v[66:67], v[40:41], a[0:3] cbsz:4 abid:13
	v_mfma_f32_4x4x4bf16_1k a[4:7], v[66:67], v[28:29], a[4:7] cbsz:4 abid:1
	s_waitcnt vmcnt(6)
	v_mfma_f32_4x4x4bf16_1k a[0:3], v[66:67], v[42:43], a[0:3] cbsz:4 abid:14
	v_mfma_f32_4x4x4bf16_1k a[4:7], v[66:67], v[18:19], a[4:7] cbsz:4 abid:2
	v_mfma_f32_4x4x4bf16_1k a[0:3], v[66:67], v[44:45], a[0:3] cbsz:4 abid:15
	s_nop 4
	v_accvgpr_read_b32 v3, a2
	v_accvgpr_read_b32 v4, a3
	;; [unrolled: 1-line block ×4, first 2 shown]
	v_mfma_f32_4x4x4bf16_1k a[0:3], v[66:67], v[20:21], a[4:7] cbsz:4 abid:3
	v_bfe_u32 v6, v5, 16, 1
	v_mfma_f32_4x4x4bf16_1k a[0:3], v[66:67], v[22:23], a[0:3] cbsz:4 abid:4
	v_bfe_u32 v7, v2, 16, 1
	v_mfma_f32_4x4x4bf16_1k a[0:3], v[66:67], v[24:25], a[0:3] cbsz:4 abid:5
	v_add3_u32 v2, v2, v7, s3
	v_mfma_f32_4x4x4bf16_1k a[0:3], v[66:67], v[30:31], a[0:3] cbsz:4 abid:6
	v_add3_u32 v5, v5, v6, s3
	v_mfma_f32_4x4x4bf16_1k a[0:3], v[66:67], v[32:33], a[0:3] cbsz:4 abid:7
	v_perm_b32 v2, v5, v2, s5
	s_waitcnt vmcnt(5)
	v_mfma_f32_4x4x4bf16_1k a[0:3], v[66:67], v[50:51], a[0:3] cbsz:4 abid:8
	v_bfe_u32 v5, v4, 16, 1
	v_mfma_f32_4x4x4bf16_1k a[0:3], v[66:67], v[52:53], a[0:3] cbsz:4 abid:9
	v_bfe_u32 v6, v3, 16, 1
	s_waitcnt vmcnt(4)
	v_mfma_f32_4x4x4bf16_1k a[0:3], v[66:67], v[54:55], a[0:3] cbsz:4 abid:10
	v_add3_u32 v3, v3, v6, s3
	v_mfma_f32_4x4x4bf16_1k a[0:3], v[66:67], v[56:57], a[0:3] cbsz:4 abid:11
	v_add3_u32 v4, v4, v5, s3
	s_waitcnt vmcnt(3)
	v_mfma_f32_4x4x4bf16_1k a[0:3], v[66:67], v[58:59], a[0:3] cbsz:4 abid:12
	v_perm_b32 v3, v4, v3, s5
	v_mfma_f32_4x4x4bf16_1k a[0:3], v[66:67], v[60:61], a[0:3] cbsz:4 abid:13
	v_mad_u32_u24 v4, v1, 40, v72
	s_waitcnt vmcnt(2)
	v_mfma_f32_4x4x4bf16_1k a[0:3], v[66:67], v[62:63], a[0:3] cbsz:4 abid:14
	ds_write_b64 v4, v[2:3]
	v_mfma_f32_4x4x4bf16_1k a[0:3], v[66:67], v[64:65], a[0:3] cbsz:4 abid:15
	s_nop 4
	v_accvgpr_read_b32 v4, a0
	v_accvgpr_read_b32 v5, a1
	;; [unrolled: 1-line block ×4, first 2 shown]
	v_bfe_u32 v6, v5, 16, 1
	v_bfe_u32 v7, v4, 16, 1
	v_add3_u32 v4, v4, v7, s3
	v_add3_u32 v5, v5, v6, s3
	v_bfe_u32 v6, v3, 16, 1
	v_bfe_u32 v7, v2, 16, 1
	v_add3_u32 v2, v2, v7, s3
	v_add3_u32 v3, v3, v6, s3
	v_perm_b32 v71, v3, v2, s5
	v_perm_b32 v70, v5, v4, s5
.LBB367_17:
	s_or_b64 exec, exec, s[0:1]
	s_waitcnt vmcnt(17)
	v_mad_u32_u24 v2, v1, 40, v72
	v_cmp_gt_u32_e32 vcc, 64, v0
	ds_write_b64 v2, v[70:71] offset:2560
	s_waitcnt lgkmcnt(0)
	s_barrier
	s_and_saveexec_b64 s[0:1], vcc
	s_cbranch_execz .LBB367_19
; %bb.18:
	s_waitcnt vmcnt(16)
	v_mul_u32_u24_e32 v6, 40, v1
	ds_read2_b64 v[2:5], v6 offset1:1
	ds_read2_b64 v[6:9], v6 offset0:2 offset1:3
	s_mov_b32 s1, 0
	s_lshl_b32 s0, s2, 7
	s_lshl_b64 s[2:3], s[0:1], 1
	s_waitcnt vmcnt(15) lgkmcnt(1)
	v_lshlrev_b32_e32 v10, 16, v2
	v_and_b32_e32 v2, 0xffff0000, v2
	v_add_f32_e32 v2, 0, v2
	v_lshlrev_b32_e32 v11, 16, v3
	v_and_b32_e32 v3, 0xffff0000, v3
	v_and_b32_e32 v2, 0xffff0000, v2
	v_add_f32_e32 v11, 0, v11
	v_add_f32_e32 v3, 0, v3
	v_lshlrev_b32_e32 v12, 16, v4
	v_and_b32_e32 v4, 0xffff0000, v4
	v_add_f32_e32 v10, 0, v10
	v_and_b32_e32 v11, 0xffff0000, v11
	v_and_b32_e32 v3, 0xffff0000, v3
	v_add_f32_e32 v2, v2, v4
	v_lshlrev_b32_e32 v4, 16, v5
	v_and_b32_e32 v5, 0xffff0000, v5
	v_and_b32_e32 v10, 0xffff0000, v10
	;; [unrolled: 1-line block ×3, first 2 shown]
	v_add_f32_e32 v4, v11, v4
	v_add_f32_e32 v3, v3, v5
	s_waitcnt lgkmcnt(0)
	v_lshlrev_b32_e32 v5, 16, v6
	v_and_b32_e32 v6, 0xffff0000, v6
	v_add_f32_e32 v10, v10, v12
	v_and_b32_e32 v4, 0xffff0000, v4
	v_add_f32_e32 v2, v2, v6
	v_lshlrev_b32_e32 v6, 16, v7
	v_and_b32_e32 v10, 0xffff0000, v10
	v_and_b32_e32 v3, 0xffff0000, v3
	v_add_f32_e32 v4, v4, v6
	v_and_b32_e32 v6, 0xffff0000, v7
	v_add_f32_e32 v5, v10, v5
	v_add_f32_e32 v3, v3, v6
	v_and_b32_e32 v5, 0xffff0000, v5
	v_and_b32_e32 v6, 0xffff0000, v3
	v_lshlrev_b32_e32 v3, 16, v8
	v_and_b32_e32 v2, 0xffff0000, v2
	v_add_f32_e32 v10, v5, v3
	v_and_b32_e32 v3, 0xffff0000, v8
	v_and_b32_e32 v4, 0xffff0000, v4
	v_add_f32_e32 v11, v2, v3
	v_lshlrev_b32_e32 v2, 16, v9
	v_add_f32_e32 v12, v4, v2
	v_mov_b32_e32 v2, 0xa00
	v_mad_u32_u24 v2, v1, 40, v2
	ds_read2_b64 v[2:5], v2 offset1:1
	v_and_b32_e32 v7, 0xffff0000, v9
	v_add_f32_e32 v13, v6, v7
	v_mov_b32_e32 v6, 0xa10
	v_mad_u32_u24 v1, v1, 40, v6
	ds_read2_b64 v[6:9], v1 offset1:1
	s_waitcnt lgkmcnt(1)
	v_lshlrev_b32_e32 v1, 16, v2
	v_and_b32_e32 v2, 0xffff0000, v2
	v_add_f32_e32 v1, 0, v1
	v_add_f32_e32 v2, 0, v2
	s_waitcnt vmcnt(14)
	v_lshlrev_b32_e32 v14, 16, v3
	v_and_b32_e32 v3, 0xffff0000, v3
	v_and_b32_e32 v1, 0xffff0000, v1
	;; [unrolled: 1-line block ×3, first 2 shown]
	v_add_f32_e32 v3, 0, v3
	v_lshlrev_b32_e32 v15, 16, v4
	v_and_b32_e32 v4, 0xffff0000, v4
	v_add_f32_e32 v14, 0, v14
	v_and_b32_e32 v3, 0xffff0000, v3
	v_add_f32_e32 v1, v1, v15
	v_add_f32_e32 v2, v2, v4
	v_lshlrev_b32_e32 v4, 16, v5
	v_and_b32_e32 v5, 0xffff0000, v5
	v_and_b32_e32 v14, 0xffff0000, v14
	;; [unrolled: 1-line block ×3, first 2 shown]
	v_add_f32_e32 v3, v3, v5
	s_waitcnt lgkmcnt(0)
	v_lshlrev_b32_e32 v5, 16, v6
	v_and_b32_e32 v2, 0xffff0000, v2
	v_add_f32_e32 v4, v14, v4
	v_add_f32_e32 v1, v1, v5
	v_and_b32_e32 v5, 0xffff0000, v6
	v_and_b32_e32 v4, 0xffff0000, v4
	v_add_f32_e32 v2, v2, v5
	v_lshlrev_b32_e32 v5, 16, v7
	s_add_u32 s2, s26, s2
	v_and_b32_e32 v3, 0xffff0000, v3
	v_add_f32_e32 v4, v4, v5
	v_and_b32_e32 v5, 0xffff0000, v7
	s_addc_u32 s3, s27, s3
	s_lshl_b32 s0, s24, 7
	v_and_b32_e32 v1, 0xffff0000, v1
	v_add_f32_e32 v3, v3, v5
	v_lshlrev_b32_e32 v5, 16, v8
	s_lshl_b64 s[0:1], s[0:1], 1
	v_and_b32_e32 v2, 0xffff0000, v2
	v_add_f32_e32 v14, v1, v5
	v_and_b32_e32 v1, 0xffff0000, v8
	s_add_u32 s0, s2, s0
	v_and_b32_e32 v4, 0xffff0000, v4
	v_add_f32_e32 v15, v2, v1
	v_lshlrev_b32_e32 v1, 16, v9
	s_addc_u32 s1, s3, s1
	s_lshl_b32 s2, s7, 7
	v_and_b32_e32 v3, 0xffff0000, v3
	v_add_f32_e32 v16, v4, v1
	v_and_b32_e32 v1, 0xffff0000, v9
	s_mul_i32 s3, s2, s4
	v_add_f32_e32 v17, v3, v1
	v_or_b32_e32 v2, s3, v0
	v_mov_b32_e32 v3, 0
	v_lshlrev_b64 v[4:5], 1, v[2:3]
	s_add_i32 s3, s3, s2
	v_mov_b32_e32 v1, s1
	v_add_co_u32_e32 v4, vcc, s0, v4
	v_or_b32_e32 v2, s3, v0
	v_addc_co_u32_e32 v5, vcc, v1, v5, vcc
	v_lshlrev_b64 v[6:7], 1, v[2:3]
	s_add_i32 s3, s3, s2
	v_add_co_u32_e32 v6, vcc, s0, v6
	v_or_b32_e32 v2, s3, v0
	v_addc_co_u32_e32 v7, vcc, v1, v7, vcc
	v_lshlrev_b64 v[8:9], 1, v[2:3]
	s_add_i32 s3, s3, s2
	v_add_co_u32_e32 v8, vcc, s0, v8
	v_or_b32_e32 v2, s3, v0
	v_addc_co_u32_e32 v9, vcc, v1, v9, vcc
	v_lshlrev_b64 v[0:1], 1, v[2:3]
	v_mov_b32_e32 v2, s1
	v_add_co_u32_e32 v0, vcc, s0, v0
	v_addc_co_u32_e32 v1, vcc, v2, v1, vcc
	global_store_short_d16_hi v[4:5], v10, off
	global_store_short_d16_hi v[6:7], v11, off
	global_store_short_d16_hi v[8:9], v12, off
	global_store_short_d16_hi v[0:1], v13, off
	global_store_short_d16_hi v[4:5], v14, off offset:128
	global_store_short_d16_hi v[6:7], v15, off offset:128
	global_store_short_d16_hi v[8:9], v16, off offset:128
	global_store_short_d16_hi v[0:1], v17, off offset:128
.LBB367_19:
	s_endpgm
.LBB367_20:
	s_mov_b64 s[2:3], 0
                                        ; implicit-def: $sgpr34_sgpr35
	s_branch .LBB367_2
	.section	.rodata,"a",@progbits
	.p2align	6, 0x0
	.amdhsa_kernel _Z38paged_attention_ll4mi_QKV_mfma4_kernelI14__hip_bfloat16S0_LN4vllm18Fp8KVCacheDataTypeE0ES0_Li32ELi128ELi256ELb0ELi4EEvPKT_PKT0_S8_ifPKiSA_SA_iPKfiiiPfSD_PS3_PT2_iSC_SC_
		.amdhsa_group_segment_fixed_size 5280
		.amdhsa_private_segment_fixed_size 0
		.amdhsa_kernarg_size 400
		.amdhsa_user_sgpr_count 6
		.amdhsa_user_sgpr_private_segment_buffer 1
		.amdhsa_user_sgpr_dispatch_ptr 0
		.amdhsa_user_sgpr_queue_ptr 0
		.amdhsa_user_sgpr_kernarg_segment_ptr 1
		.amdhsa_user_sgpr_dispatch_id 0
		.amdhsa_user_sgpr_flat_scratch_init 0
		.amdhsa_user_sgpr_kernarg_preload_length 0
		.amdhsa_user_sgpr_kernarg_preload_offset 0
		.amdhsa_user_sgpr_private_segment_size 0
		.amdhsa_uses_dynamic_stack 0
		.amdhsa_system_sgpr_private_segment_wavefront_offset 0
		.amdhsa_system_sgpr_workgroup_id_x 1
		.amdhsa_system_sgpr_workgroup_id_y 1
		.amdhsa_system_sgpr_workgroup_id_z 1
		.amdhsa_system_sgpr_workgroup_info 0
		.amdhsa_system_vgpr_workitem_id 0
		.amdhsa_next_free_vgpr 96
		.amdhsa_next_free_sgpr 38
		.amdhsa_accum_offset 88
		.amdhsa_reserve_vcc 1
		.amdhsa_reserve_flat_scratch 0
		.amdhsa_float_round_mode_32 0
		.amdhsa_float_round_mode_16_64 0
		.amdhsa_float_denorm_mode_32 3
		.amdhsa_float_denorm_mode_16_64 3
		.amdhsa_dx10_clamp 1
		.amdhsa_ieee_mode 1
		.amdhsa_fp16_overflow 0
		.amdhsa_tg_split 0
		.amdhsa_exception_fp_ieee_invalid_op 0
		.amdhsa_exception_fp_denorm_src 0
		.amdhsa_exception_fp_ieee_div_zero 0
		.amdhsa_exception_fp_ieee_overflow 0
		.amdhsa_exception_fp_ieee_underflow 0
		.amdhsa_exception_fp_ieee_inexact 0
		.amdhsa_exception_int_div_zero 0
	.end_amdhsa_kernel
	.section	.text._Z38paged_attention_ll4mi_QKV_mfma4_kernelI14__hip_bfloat16S0_LN4vllm18Fp8KVCacheDataTypeE0ES0_Li32ELi128ELi256ELb0ELi4EEvPKT_PKT0_S8_ifPKiSA_SA_iPKfiiiPfSD_PS3_PT2_iSC_SC_,"axG",@progbits,_Z38paged_attention_ll4mi_QKV_mfma4_kernelI14__hip_bfloat16S0_LN4vllm18Fp8KVCacheDataTypeE0ES0_Li32ELi128ELi256ELb0ELi4EEvPKT_PKT0_S8_ifPKiSA_SA_iPKfiiiPfSD_PS3_PT2_iSC_SC_,comdat
.Lfunc_end367:
	.size	_Z38paged_attention_ll4mi_QKV_mfma4_kernelI14__hip_bfloat16S0_LN4vllm18Fp8KVCacheDataTypeE0ES0_Li32ELi128ELi256ELb0ELi4EEvPKT_PKT0_S8_ifPKiSA_SA_iPKfiiiPfSD_PS3_PT2_iSC_SC_, .Lfunc_end367-_Z38paged_attention_ll4mi_QKV_mfma4_kernelI14__hip_bfloat16S0_LN4vllm18Fp8KVCacheDataTypeE0ES0_Li32ELi128ELi256ELb0ELi4EEvPKT_PKT0_S8_ifPKiSA_SA_iPKfiiiPfSD_PS3_PT2_iSC_SC_
                                        ; -- End function
	.section	.AMDGPU.csdata,"",@progbits
; Kernel info:
; codeLenInByte = 4420
; NumSgprs: 42
; NumVgprs: 86
; NumAgprs: 8
; TotalNumVgprs: 96
; ScratchSize: 0
; MemoryBound: 0
; FloatMode: 240
; IeeeMode: 1
; LDSByteSize: 5280 bytes/workgroup (compile time only)
; SGPRBlocks: 5
; VGPRBlocks: 11
; NumSGPRsForWavesPerEU: 42
; NumVGPRsForWavesPerEU: 96
; AccumOffset: 88
; Occupancy: 5
; WaveLimiterHint : 1
; COMPUTE_PGM_RSRC2:SCRATCH_EN: 0
; COMPUTE_PGM_RSRC2:USER_SGPR: 6
; COMPUTE_PGM_RSRC2:TRAP_HANDLER: 0
; COMPUTE_PGM_RSRC2:TGID_X_EN: 1
; COMPUTE_PGM_RSRC2:TGID_Y_EN: 1
; COMPUTE_PGM_RSRC2:TGID_Z_EN: 1
; COMPUTE_PGM_RSRC2:TIDIG_COMP_CNT: 0
; COMPUTE_PGM_RSRC3_GFX90A:ACCUM_OFFSET: 21
; COMPUTE_PGM_RSRC3_GFX90A:TG_SPLIT: 0
	.section	.text._Z39paged_attention_ll4mi_QKV_mfma16_kernelI14__hip_bfloat16S0_LN4vllm18Fp8KVCacheDataTypeE0ES0_Li32ELi128ELi256ELb0ELi5EL8MFMAType0EEvPKT_PKT0_S9_ifPKiSB_SB_iPKfiiiPfSE_PS4_PT2_iSD_SD_,"axG",@progbits,_Z39paged_attention_ll4mi_QKV_mfma16_kernelI14__hip_bfloat16S0_LN4vllm18Fp8KVCacheDataTypeE0ES0_Li32ELi128ELi256ELb0ELi5EL8MFMAType0EEvPKT_PKT0_S9_ifPKiSB_SB_iPKfiiiPfSE_PS4_PT2_iSD_SD_,comdat
	.protected	_Z39paged_attention_ll4mi_QKV_mfma16_kernelI14__hip_bfloat16S0_LN4vllm18Fp8KVCacheDataTypeE0ES0_Li32ELi128ELi256ELb0ELi5EL8MFMAType0EEvPKT_PKT0_S9_ifPKiSB_SB_iPKfiiiPfSE_PS4_PT2_iSD_SD_ ; -- Begin function _Z39paged_attention_ll4mi_QKV_mfma16_kernelI14__hip_bfloat16S0_LN4vllm18Fp8KVCacheDataTypeE0ES0_Li32ELi128ELi256ELb0ELi5EL8MFMAType0EEvPKT_PKT0_S9_ifPKiSB_SB_iPKfiiiPfSE_PS4_PT2_iSD_SD_
	.globl	_Z39paged_attention_ll4mi_QKV_mfma16_kernelI14__hip_bfloat16S0_LN4vllm18Fp8KVCacheDataTypeE0ES0_Li32ELi128ELi256ELb0ELi5EL8MFMAType0EEvPKT_PKT0_S9_ifPKiSB_SB_iPKfiiiPfSE_PS4_PT2_iSD_SD_
	.p2align	8
	.type	_Z39paged_attention_ll4mi_QKV_mfma16_kernelI14__hip_bfloat16S0_LN4vllm18Fp8KVCacheDataTypeE0ES0_Li32ELi128ELi256ELb0ELi5EL8MFMAType0EEvPKT_PKT0_S9_ifPKiSB_SB_iPKfiiiPfSE_PS4_PT2_iSD_SD_,@function
_Z39paged_attention_ll4mi_QKV_mfma16_kernelI14__hip_bfloat16S0_LN4vllm18Fp8KVCacheDataTypeE0ES0_Li32ELi128ELi256ELb0ELi5EL8MFMAType0EEvPKT_PKT0_S9_ifPKiSB_SB_iPKfiiiPfSE_PS4_PT2_iSD_SD_: ; @_Z39paged_attention_ll4mi_QKV_mfma16_kernelI14__hip_bfloat16S0_LN4vllm18Fp8KVCacheDataTypeE0ES0_Li32ELi128ELi256ELb0ELi5EL8MFMAType0EEvPKT_PKT0_S9_ifPKiSB_SB_iPKfiiiPfSE_PS4_PT2_iSD_SD_
; %bb.0:
	s_mov_b64 s[46:47], s[2:3]
	s_mov_b64 s[44:45], s[0:1]
	s_load_dwordx2 s[0:1], s[4:5], 0x30
	s_add_u32 s44, s44, s9
	s_addc_u32 s45, s45, 0
	s_mov_b32 s26, s7
	s_mov_b64 s[10:11], 0
	s_waitcnt lgkmcnt(0)
	s_cmp_lg_u64 s[0:1], 0
	s_cselect_b64 s[2:3], -1, 0
	s_and_b64 vcc, exec, s[2:3]
	s_cbranch_vccz .LBB368_7
; %bb.1:
	s_add_i32 s12, s6, 1
	s_mov_b32 s13, 0
	s_lshl_b64 s[14:15], s[12:13], 2
	s_add_u32 s14, s0, s14
	s_mov_b32 s7, s13
	s_addc_u32 s15, s1, s15
	s_lshl_b64 s[12:13], s[6:7], 2
	s_add_u32 s12, s0, s12
	s_addc_u32 s13, s1, s13
	s_load_dword s9, s[14:15], 0x0
	s_load_dword s16, s[12:13], 0x0
	s_waitcnt lgkmcnt(0)
	s_sub_i32 s9, s9, s16
	s_cmp_eq_u32 s9, 1
	s_cselect_b64 s[12:13], -1, 0
	s_andn2_b64 vcc, exec, s[10:11]
	s_cbranch_vccnz .LBB368_3
.LBB368_2:
	s_mov_b32 s7, 0
	s_mov_b64 s[12:13], -1
.LBB368_3:
	s_andn2_b64 vcc, exec, s[12:13]
	s_cbranch_vccnz .LBB368_20
; %bb.4:
	s_load_dwordx2 s[12:13], s[4:5], 0x28
	s_lshl_b64 s[10:11], s[6:7], 2
	s_waitcnt lgkmcnt(0)
	s_add_u32 s12, s12, s10
	s_addc_u32 s13, s13, s11
	s_load_dword s33, s[12:13], 0x0
	s_lshl_b32 s9, s26, 8
	s_waitcnt lgkmcnt(0)
	s_cmp_ge_i32 s9, s33
	s_cbranch_scc1 .LBB368_20
; %bb.5:
	s_add_i32 s15, s33, 31
	s_load_dwordx2 s[12:13], s[4:5], 0x20
	s_load_dword s14, s[4:5], 0x38
	s_ashr_i32 s16, s15, 31
	v_and_b32_e32 v1, 0xcf, v0
	s_lshr_b32 s16, s16, 27
	v_add_u32_e32 v1, s9, v1
	s_add_i32 s15, s15, s16
	v_ashrrev_i32_e32 v2, 31, v1
	s_ashr_i32 s18, s15, 5
	v_lshrrev_b32_e32 v10, 27, v2
	s_add_i32 s18, s18, -1
	v_add_u32_e32 v2, v1, v10
	s_waitcnt lgkmcnt(0)
	s_mul_i32 s14, s6, s14
	s_mov_b32 s15, 0
	v_ashrrev_i32_e32 v2, 5, v2
	v_mov_b32_e32 v11, s18
	v_cmp_gt_i32_e32 vcc, s33, v1
	s_lshl_b64 s[14:15], s[14:15], 2
	v_cndmask_b32_e32 v2, v11, v2, vcc
	s_add_u32 s16, s12, s14
	v_ashrrev_i32_e32 v3, 31, v2
	s_addc_u32 s17, s13, s15
	v_lshlrev_b64 v[2:3], 2, v[2:3]
	v_mov_b32_e32 v4, s17
	v_add_co_u32_e32 v2, vcc, s16, v2
	v_addc_co_u32_e32 v3, vcc, v4, v3, vcc
	v_or_b32_e32 v4, 16, v1
	v_add_u32_e32 v5, v4, v10
	v_ashrrev_i32_e32 v5, 5, v5
	v_cmp_gt_i32_e32 vcc, s33, v4
	v_cndmask_b32_e32 v4, v11, v5, vcc
	v_ashrrev_i32_e32 v5, 31, v4
	v_lshlrev_b64 v[4:5], 2, v[4:5]
	v_mov_b32_e32 v7, s17
	v_add_co_u32_e32 v6, vcc, s16, v4
	v_or_b32_e32 v4, 32, v1
	v_addc_co_u32_e32 v7, vcc, v7, v5, vcc
	v_add_u32_e32 v5, v4, v10
	v_ashrrev_i32_e32 v5, 5, v5
	v_cmp_gt_i32_e32 vcc, s33, v4
	v_cndmask_b32_e32 v4, v11, v5, vcc
	v_ashrrev_i32_e32 v5, 31, v4
	v_lshlrev_b64 v[4:5], 2, v[4:5]
	v_mov_b32_e32 v9, s17
	v_add_co_u32_e32 v8, vcc, s16, v4
	v_or_b32_e32 v1, 48, v1
	v_addc_co_u32_e32 v9, vcc, v9, v5, vcc
	v_add_u32_e32 v4, v1, v10
	v_ashrrev_i32_e32 v4, 5, v4
	v_cmp_gt_i32_e32 vcc, s33, v1
	v_cndmask_b32_e32 v4, v11, v4, vcc
	v_ashrrev_i32_e32 v5, 31, v4
	v_lshlrev_b64 v[4:5], 2, v[4:5]
	v_mov_b32_e32 v1, s17
	v_add_co_u32_e32 v10, vcc, s16, v4
	v_addc_co_u32_e32 v11, vcc, v1, v5, vcc
	global_load_dword v5, v[2:3], off
	global_load_dword v4, v[6:7], off
	;; [unrolled: 1-line block ×4, first 2 shown]
	s_andn2_b64 vcc, exec, s[2:3]
	s_cbranch_vccnz .LBB368_8
; %bb.6:
	s_add_u32 s0, s0, s10
	s_addc_u32 s1, s1, s11
	s_load_dword s19, s[0:1], 0x0
	s_branch .LBB368_9
.LBB368_7:
	s_mov_b64 s[12:13], 0
	s_branch .LBB368_2
.LBB368_8:
	s_mov_b32 s19, s6
.LBB368_9:
	s_load_dwordx4 s[12:15], s[4:5], 0x8
	s_load_dwordx4 s[0:3], s[4:5], 0x48
	v_lshrrev_b32_e32 v85, 6, v0
	v_bfe_u32 v1, v0, 4, 2
	v_lshl_or_b32 v6, v85, 2, v1
	v_and_b32_e32 v84, 15, v0
	v_lshlrev_b32_e32 v2, 3, v84
	v_cmp_lt_u32_e32 vcc, 4, v6
	s_and_saveexec_b64 s[10:11], vcc
	s_xor_b64 s[10:11], exec, s[10:11]
; %bb.10:
	v_mov_b32_e32 v3, 0
                                        ; implicit-def: $vgpr6
; %bb.11:
	s_or_saveexec_b64 s[10:11], s[10:11]
	s_mul_i32 s27, s8, 5
	s_xor_b64 exec, exec, s[10:11]
	s_cbranch_execz .LBB368_13
; %bb.12:
	s_load_dwordx2 s[20:21], s[4:5], 0x0
	s_waitcnt lgkmcnt(0)
	s_ashr_i32 s3, s0, 31
	s_mul_hi_u32 s22, s19, s0
	s_mul_i32 s3, s19, s3
	s_add_i32 s23, s22, s3
	s_mul_i32 s22, s19, s0
	s_lshl_b64 s[22:23], s[22:23], 1
	v_add_lshl_u32 v8, v6, s27, 7
	s_add_u32 s0, s20, s22
	v_ashrrev_i32_e32 v9, 31, v8
	s_addc_u32 s3, s21, s23
	v_lshlrev_b64 v[8:9], 1, v[8:9]
	v_mov_b32_e32 v3, s3
	v_add_co_u32_e32 v7, vcc, s0, v8
	v_addc_co_u32_e32 v3, vcc, v3, v9, vcc
	v_lshlrev_b32_e32 v8, 1, v2
	v_add_co_u32_e32 v8, vcc, v7, v8
	v_addc_co_u32_e32 v9, vcc, 0, v3, vcc
	global_load_dwordx4 v[8:11], v[8:9], off
	v_and_b32_e32 v7, 3, v0
	v_lshlrev_b32_e32 v12, 9, v84
	v_lshlrev_b32_e32 v6, 5, v6
	;; [unrolled: 1-line block ×3, first 2 shown]
	v_and_b32_e32 v12, 0x1800, v12
	v_mov_b32_e32 v3, 0
	v_or3_b32 v6, v12, v7, v6
	s_waitcnt vmcnt(0)
	ds_write_b128 v6, v[8:11]
.LBB368_13:
	s_or_b64 exec, exec, s[10:11]
	s_waitcnt lgkmcnt(0)
	s_mul_i32 s2, s8, s2
	s_mov_b32 s3, 0
	s_lshl_b64 s[2:3], s[2:3], 1
	s_add_u32 s8, s12, s2
	s_addc_u32 s10, s13, s3
	s_waitcnt vmcnt(3)
	v_mad_i64_i32 v[6:7], s[12:13], v5, s1, 0
	v_lshlrev_b64 v[6:7], 1, v[6:7]
	v_mov_b32_e32 v5, s10
	v_add_co_u32_e32 v6, vcc, s8, v6
	v_addc_co_u32_e32 v5, vcc, v5, v7, vcc
	v_lshlrev_b64 v[50:51], 1, v[2:3]
	v_add_co_u32_e32 v27, vcc, v6, v50
	v_lshlrev_b32_e32 v26, 9, v1
	v_addc_co_u32_e32 v28, vcc, v5, v51, vcc
	v_add_co_u32_e32 v2, vcc, v27, v26
	s_waitcnt vmcnt(2)
	v_mad_i64_i32 v[4:5], s[12:13], v4, s1, 0
	v_addc_co_u32_e32 v3, vcc, 0, v28, vcc
	v_lshlrev_b64 v[4:5], 1, v[4:5]
	v_mov_b32_e32 v6, s10
	v_add_co_u32_e32 v4, vcc, s8, v4
	s_load_dword s40, s[4:5], 0x98
	s_load_dword s0, s[4:5], 0x1c
	s_waitcnt lgkmcnt(0)
	s_barrier
	global_load_dwordx4 v[10:13], v[2:3], off
	global_load_dwordx4 v[14:17], v[2:3], off offset:2048
	v_addc_co_u32_e32 v5, vcc, v6, v5, vcc
	v_mov_b32_e32 v6, 0x100
	v_lshl_or_b32 v29, v84, 4, v6
	v_add_co_u32_e32 v31, vcc, v4, v29
	v_addc_co_u32_e32 v32, vcc, 0, v5, vcc
	v_add_co_u32_e32 v22, vcc, v31, v26
	v_addc_co_u32_e32 v23, vcc, 0, v32, vcc
	global_load_dwordx4 v[18:21], v[22:23], off
	v_mul_lo_u16_e32 v4, 52, v84
	v_mov_b32_e32 v2, 5
	v_mul_lo_u16_sdwa v2, v4, v2 dst_sel:DWORD dst_unused:UNUSED_PAD src0_sel:BYTE_1 src1_sel:DWORD
	v_sub_u16_e32 v2, v84, v2
	v_and_b32_e32 v2, 0xff, v2
	v_lshl_add_u32 v30, v2, 5, v26
	ds_read_b128 v[6:9], v30
	ds_read_b128 v[2:5], v30 offset:2048
	v_or_b32_e32 v54, 0x1000, v26
	global_load_dwordx4 v[38:41], v[22:23], off offset:2048
	v_or_b32_e32 v70, 0x1800, v26
	s_ashr_i32 s11, s9, 31
	v_and_or_b32 v66, v0, 48, s9
	v_lshl_or_b32 v87, v85, 4, v84
	v_lshlrev_b32_e32 v83, 6, v87
	s_mov_b32 s41, 0xff7fffff
	s_waitcnt vmcnt(3) lgkmcnt(1)
	v_mfma_f32_16x16x16bf16_1k v[34:37], v[10:11], v[6:7], 0
	s_waitcnt vmcnt(1)
	v_mfma_f32_16x16x16bf16_1k v[42:45], v[18:19], v[6:7], 0
	v_add_co_u32_e32 v18, vcc, v27, v54
	v_addc_co_u32_e32 v19, vcc, 0, v28, vcc
	v_mfma_f32_16x16x16bf16_1k v[10:13], v[12:13], v[8:9], v[34:37]
	s_nop 6
	global_load_dwordx4 v[34:37], v[18:19], off
	v_add_co_u32_e32 v22, vcc, v31, v54
	v_addc_co_u32_e32 v23, vcc, 0, v32, vcc
	v_mfma_f32_16x16x16bf16_1k v[18:21], v[20:21], v[8:9], v[42:45]
	s_nop 6
	global_load_dwordx4 v[42:45], v[22:23], off
	v_add_co_u32_e32 v22, vcc, v27, v70
	v_addc_co_u32_e32 v23, vcc, 0, v28, vcc
	s_waitcnt lgkmcnt(0)
	v_mfma_f32_16x16x16bf16_1k v[10:13], v[14:15], v[2:3], v[10:13]
	global_load_dwordx4 v[46:49], v[22:23], off
	v_mad_i64_i32 v[14:15], s[12:13], v25, s1, 0
	v_add_co_u32_e32 v22, vcc, v31, v70
	v_lshlrev_b64 v[14:15], 1, v[14:15]
	v_addc_co_u32_e32 v23, vcc, 0, v32, vcc
	global_load_dwordx4 v[58:61], v[22:23], off
	v_mov_b32_e32 v22, s10
	v_add_co_u32_e32 v23, vcc, s8, v14
	v_addc_co_u32_e32 v22, vcc, v22, v15, vcc
	v_add_co_u32_e32 v27, vcc, v23, v50
	buffer_store_dword v50, off, s[44:47], 0 ; 4-byte Folded Spill
	s_nop 0
	buffer_store_dword v51, off, s[44:47], 0 offset:4 ; 4-byte Folded Spill
	s_waitcnt vmcnt(6)
	v_mfma_f32_16x16x16bf16_1k v[18:21], v[38:39], v[2:3], v[18:21]
	v_addc_co_u32_e32 v28, vcc, v22, v51, vcc
	v_add_co_u32_e32 v22, vcc, v27, v26
	v_addc_co_u32_e32 v23, vcc, 0, v28, vcc
	v_mfma_f32_16x16x16bf16_1k v[18:21], v[40:41], v[4:5], v[18:21]
	global_load_dwordx4 v[38:41], v[22:23], off
	v_mfma_f32_16x16x16bf16_1k v[14:17], v[16:17], v[4:5], v[10:13]
	s_nop 6
	ds_read_b128 v[10:13], v30 offset:4096
	ds_read_b128 v[50:53], v30 offset:6144
	global_load_dwordx4 v[30:33], v[22:23], off offset:2048
	v_mad_i64_i32 v[22:23], s[12:13], v24, s1, 0
	s_waitcnt vmcnt(7) lgkmcnt(1)
	v_mfma_f32_16x16x16bf16_1k v[14:17], v[34:35], v[10:11], v[14:17]
	v_lshlrev_b64 v[34:35], 1, v[22:23]
	v_add_co_u32_e32 v22, vcc, v27, v54
	v_addc_co_u32_e32 v23, vcc, 0, v28, vcc
	global_load_dwordx4 v[22:25], v[22:23], off
	v_add_co_u32_e32 v34, vcc, s8, v34
	s_waitcnt vmcnt(7)
	v_mfma_f32_16x16x16bf16_1k v[18:21], v[42:43], v[10:11], v[18:21]
	v_mov_b32_e32 v42, s10
	v_addc_co_u32_e32 v35, vcc, v42, v35, vcc
	v_add_co_u32_e32 v71, vcc, v34, v29
	v_addc_co_u32_e32 v72, vcc, 0, v35, vcc
	v_mfma_f32_16x16x16bf16_1k v[14:17], v[36:37], v[12:13], v[14:17]
	v_add_co_u32_e32 v34, vcc, v27, v70
	v_addc_co_u32_e32 v35, vcc, 0, v28, vcc
	v_add_co_u32_e32 v42, vcc, v71, v26
	v_addc_co_u32_e32 v43, vcc, 0, v72, vcc
	v_mfma_f32_16x16x16bf16_1k v[18:21], v[44:45], v[12:13], v[18:21]
	s_lshr_b32 s10, s11, 27
	v_add_co_u32_e32 v44, vcc, v71, v54
	v_addc_co_u32_e32 v45, vcc, 0, v72, vcc
	v_cmp_gt_i32_e32 vcc, s33, v66
	s_add_u32 s2, s14, s2
	s_waitcnt vmcnt(6) lgkmcnt(0)
	v_mfma_f32_16x16x16bf16_1k v[26:29], v[46:47], v[50:51], v[14:17]
	global_load_dwordx4 v[34:37], v[34:35], off
	s_nop 0
	global_load_dwordx4 v[62:65], v[42:43], off
	s_nop 3
	global_load_dwordx4 v[14:17], v[42:43], off offset:2048
	v_mov_b32_e32 v42, s17
	s_addc_u32 s3, s15, s3
	v_mfma_f32_16x16x16bf16_1k v[54:57], v[48:49], v[52:53], v[26:29]
	s_nop 6
	v_add_u32_e32 v26, s10, v66
	s_waitcnt vmcnt(8)
	v_mfma_f32_16x16x16bf16_1k v[18:21], v[58:59], v[50:51], v[18:21]
	v_ashrrev_i32_e32 v26, 5, v26
	v_mov_b32_e32 v28, s18
	v_cndmask_b32_e32 v26, v28, v26, vcc
	v_ashrrev_i32_e32 v27, 31, v26
	v_lshlrev_b64 v[26:27], 2, v[26:27]
	v_mov_b32_e32 v29, s17
	v_add_co_u32_e32 v26, vcc, s16, v26
	v_addc_co_u32_e32 v27, vcc, v29, v27, vcc
	global_load_dword v29, v[26:27], off
	v_or_b32_e32 v26, 64, v66
	v_mfma_f32_16x16x16bf16_1k v[58:61], v[60:61], v[52:53], v[18:21]
	v_cmp_gt_i32_e32 vcc, s33, v26
	s_nop 5
	v_add_u32_e32 v18, s10, v26
	v_ashrrev_i32_e32 v18, 5, v18
	v_cndmask_b32_e32 v18, v28, v18, vcc
	v_ashrrev_i32_e32 v19, 31, v18
	v_lshlrev_b64 v[26:27], 2, v[18:19]
	s_waitcnt vmcnt(6)
	v_mfma_f32_16x16x16bf16_1k v[18:21], v[38:39], v[6:7], 0
	v_add_co_u32_e32 v26, vcc, s16, v26
	v_addc_co_u32_e32 v27, vcc, v42, v27, vcc
	global_load_dword v38, v[26:27], off
	v_or_b32_e32 v26, 0x80, v66
	v_add_u32_e32 v27, s10, v26
	v_mfma_f32_16x16x16bf16_1k v[18:21], v[40:41], v[8:9], v[18:21]
	v_ashrrev_i32_e32 v27, 5, v27
	v_cmp_gt_i32_e32 vcc, s33, v26
	v_cndmask_b32_e32 v26, v28, v27, vcc
	v_ashrrev_i32_e32 v27, 31, v26
	v_lshlrev_b64 v[26:27], 2, v[26:27]
	v_mov_b32_e32 v39, s17
	v_add_co_u32_e32 v26, vcc, s16, v26
	v_addc_co_u32_e32 v27, vcc, v39, v27, vcc
	s_waitcnt vmcnt(6)
	v_mfma_f32_16x16x16bf16_1k v[18:21], v[30:31], v[2:3], v[18:21]
	global_load_dword v30, v[26:27], off
	v_or_b32_e32 v26, 0xc0, v66
	global_load_dwordx4 v[66:69], v[44:45], off
	v_add_u32_e32 v27, s10, v26
	v_ashrrev_i32_e32 v27, 5, v27
	v_cmp_gt_i32_e32 vcc, s33, v26
	v_cndmask_b32_e32 v26, v28, v27, vcc
	v_mfma_f32_16x16x16bf16_1k v[18:21], v[32:33], v[4:5], v[18:21]
	v_ashrrev_i32_e32 v27, 31, v26
	v_lshlrev_b64 v[26:27], 2, v[26:27]
	v_mov_b32_e32 v28, s17
	v_add_co_u32_e32 v26, vcc, s16, v26
	v_addc_co_u32_e32 v27, vcc, v28, v27, vcc
	s_waitcnt vmcnt(7)
	v_mfma_f32_16x16x16bf16_1k v[18:21], v[22:23], v[10:11], v[18:21]
	v_add_co_u32_e32 v22, vcc, v71, v70
	v_addc_co_u32_e32 v23, vcc, 0, v72, vcc
	global_load_dwordx4 v[88:91], v[22:23], off
	global_load_dword v80, v[26:27], off
	v_and_b32_e32 v22, 16, v0
	v_mfma_f32_16x16x16bf16_1k v[18:21], v[24:25], v[12:13], v[18:21]
	v_lshlrev_b32_e32 v22, 1, v22
	v_mov_b32_e32 v23, s3
	v_add_co_u32_e32 v81, vcc, s2, v22
	v_addc_co_u32_e32 v82, vcc, 0, v23, vcc
	v_add_co_u32_e32 v22, vcc, v81, v83
	s_waitcnt vmcnt(8)
	v_mfma_f32_16x16x16bf16_1k v[18:21], v[34:35], v[50:51], v[18:21]
	v_addc_co_u32_e32 v23, vcc, 0, v82, vcc
	v_mfma_f32_16x16x16bf16_1k v[76:79], v[36:37], v[52:53], v[18:21]
	s_waitcnt vmcnt(5)
	s_nop 7
	v_mad_i64_i32 v[18:19], s[2:3], v29, s1, 0
	v_lshlrev_b64 v[70:71], 1, v[18:19]
	v_mfma_f32_16x16x16bf16_1k v[18:21], v[62:63], v[6:7], 0
	v_add_co_u32_e32 v6, vcc, v22, v70
	v_addc_co_u32_e32 v7, vcc, v23, v71, vcc
	global_load_dwordx4 v[46:49], v[6:7], off
	global_load_dwordx4 v[42:45], v[6:7], off offset:16
	v_pk_mul_f32 v[78:79], s[0:1], v[78:79] op_sel_hi:[0,1]
	s_waitcnt vmcnt(6)
	v_mad_i64_i32 v[6:7], s[2:3], v38, s1, 0
	v_lshlrev_b64 v[72:73], 1, v[6:7]
	v_mfma_f32_16x16x16bf16_1k v[6:9], v[64:65], v[8:9], v[18:21]
	v_mfma_f32_16x16x16bf16_1k v[6:9], v[14:15], v[2:3], v[6:9]
	s_nop 5
	v_add_co_u32_e32 v18, vcc, v22, v72
	v_addc_co_u32_e32 v19, vcc, v23, v73, vcc
	global_load_dwordx4 v[38:41], v[18:19], off
	global_load_dwordx4 v[34:37], v[18:19], off offset:16
	s_waitcnt vmcnt(7)
	v_mad_i64_i32 v[18:19], s[2:3], v30, s1, 0
	v_lshlrev_b64 v[64:65], 1, v[18:19]
	v_add_co_u32_e32 v2, vcc, v22, v64
	v_addc_co_u32_e32 v3, vcc, v23, v65, vcc
	global_load_dwordx4 v[30:33], v[2:3], off
	global_load_dwordx4 v[26:29], v[2:3], off offset:16
	v_mfma_f32_16x16x16bf16_1k v[2:5], v[16:17], v[4:5], v[6:9]
	s_waitcnt vmcnt(8)
	v_mfma_f32_16x16x16bf16_1k v[2:5], v[66:67], v[10:11], v[2:5]
	s_waitcnt vmcnt(6)
	s_nop 3
	v_mad_i64_i32 v[6:7], s[2:3], v80, s1, 0
	v_lshlrev_b64 v[62:63], 1, v[6:7]
	v_add_co_u32_e32 v6, vcc, v22, v62
	v_mfma_f32_16x16x16bf16_1k v[10:13], v[68:69], v[12:13], v[2:5]
	v_addc_co_u32_e32 v7, vcc, v23, v63, vcc
	global_load_dwordx4 v[22:25], v[6:7], off
	global_load_dwordx4 v[18:21], v[6:7], off offset:16
	v_or_b32_e32 v6, 0x1000, v83
	v_add_co_u32_e32 v86, vcc, v81, v6
	v_addc_co_u32_e32 v74, vcc, 0, v82, vcc
	v_mfma_f32_16x16x16bf16_1k v[92:95], v[88:89], v[50:51], v[10:13]
	v_add_co_u32_e32 v2, vcc, v86, v70
	v_addc_co_u32_e32 v3, vcc, v74, v71, vcc
	v_add_co_u32_e32 v66, vcc, v86, v72
	v_addc_co_u32_e32 v67, vcc, v74, v73, vcc
	v_mfma_f32_16x16x16bf16_1k v[50:53], v[90:91], v[52:53], v[92:95]
	v_pk_mul_f32 v[72:73], s[0:1], v[76:77] op_sel_hi:[0,1]
	global_load_dwordx4 v[6:9], v[2:3], off
	s_nop 0
	global_load_dwordx4 v[2:5], v[2:3], off offset:16
	s_nop 0
	global_load_dwordx4 v[14:17], v[66:67], off
	global_load_dwordx4 v[10:13], v[66:67], off offset:16
	v_pk_mul_f32 v[68:69], s[0:1], v[54:55] op_sel_hi:[0,1]
	v_pk_mul_f32 v[80:81], s[0:1], v[56:57] op_sel_hi:[0,1]
	;; [unrolled: 1-line block ×5, first 2 shown]
	v_and_b32_e32 v50, 0xc0, v0
	v_add_u32_e32 v50, s9, v50
	v_lshl_or_b32 v50, v1, 2, v50
	v_pk_mul_f32 v[66:67], s[0:1], v[52:53] op_sel_hi:[0,1]
	v_or_b32_e32 v53, 1, v50
	v_mov_b32_e32 v51, 0xff7fffff
	v_cmp_gt_i32_e64 s[28:29], s33, v50
	v_cmp_gt_i32_e64 s[30:31], s33, v53
	v_cndmask_b32_e64 v52, v51, v68, s[28:29]
	v_cndmask_b32_e64 v53, v51, v69, s[30:31]
	v_max3_f32 v52, v52, s41, v53
	v_or_b32_e32 v53, 2, v50
	v_or_b32_e32 v54, 3, v50
	v_cmp_gt_i32_e64 s[34:35], s33, v53
	v_cmp_gt_i32_e64 s[36:37], s33, v54
	v_cndmask_b32_e64 v53, v51, v80, s[34:35]
	v_cndmask_b32_e64 v54, v51, v81, s[36:37]
	v_max3_f32 v52, v52, v53, v54
	v_or_b32_e32 v53, 16, v50
	v_or_b32_e32 v54, 17, v50
	;; [unrolled: 7-line block ×7, first 2 shown]
	v_cmp_gt_i32_e32 vcc, s33, v53
	v_cmp_gt_i32_e64 s[0:1], s33, v50
	v_cndmask_b32_e32 v53, v51, v66, vcc
	v_cndmask_b32_e64 v50, v51, v67, s[0:1]
	v_max3_f32 v58, v52, v53, v50
	v_mbcnt_lo_u32_b32 v50, -1, 0
	v_mbcnt_hi_u32_b32 v59, -1, v50
	v_and_b32_e32 v50, 64, v59
	v_add_u32_e32 v60, 64, v50
	v_xor_b32_e32 v50, 32, v59
	v_cmp_lt_i32_e64 s[38:39], v50, v60
	v_cndmask_b32_e64 v50, v59, v50, s[38:39]
	v_lshlrev_b32_e32 v75, 2, v50
	ds_bpermute_b32 v61, v75, v58
	v_add_co_u32_e64 v50, s[38:39], v86, v64
	v_addc_co_u32_e64 v51, s[38:39], v74, v65, s[38:39]
	s_waitcnt lgkmcnt(0)
	v_max_f32_e32 v61, v61, v61
	v_max_f32_e32 v61, v58, v61
	v_xor_b32_e32 v58, 16, v59
	v_cmp_lt_i32_e64 s[38:39], v58, v60
	v_cndmask_b32_e64 v58, v59, v58, s[38:39]
	v_lshlrev_b32_e32 v90, 2, v58
	ds_bpermute_b32 v60, v90, v61
	v_add_co_u32_e64 v58, s[38:39], v86, v62
	v_addc_co_u32_e64 v59, s[38:39], v74, v63, s[38:39]
	s_waitcnt lgkmcnt(0)
	v_max_f32_e32 v60, v60, v60
	v_max_f32_e32 v88, v61, v60
	v_sub_f32_e32 v60, v68, v88
	v_mul_f32_e32 v60, 0x3fb8aa3b, v60
	v_exp_f32_e32 v68, v60
	v_sub_f32_e32 v60, v69, v88
	v_mul_f32_e32 v60, 0x3fb8aa3b, v60
	global_load_dwordx4 v[54:57], v[50:51], off
	s_nop 0
	global_load_dwordx4 v[50:53], v[50:51], off offset:16
	v_exp_f32_e32 v69, v60
	global_load_dwordx4 v[62:65], v[58:59], off
	s_nop 0
	global_load_dwordx4 v[58:61], v[58:59], off offset:16
	v_sub_f32_e32 v80, v80, v88
	v_mul_f32_e32 v80, 0x3fb8aa3b, v80
	v_sub_f32_e32 v81, v81, v88
	v_exp_f32_e32 v80, v80
	v_mul_f32_e32 v81, 0x3fb8aa3b, v81
	v_sub_f32_e32 v70, v70, v88
	v_exp_f32_e32 v81, v81
	v_mul_f32_e32 v70, 0x3fb8aa3b, v70
	v_sub_f32_e32 v71, v71, v88
	v_cndmask_b32_e64 v68, 0, v68, s[28:29]
	v_exp_f32_e32 v70, v70
	v_mul_f32_e32 v71, 0x3fb8aa3b, v71
	v_sub_f32_e32 v82, v82, v88
	v_add_f32_e32 v74, 0, v68
	v_cndmask_b32_e64 v69, 0, v69, s[30:31]
	v_exp_f32_e32 v71, v71
	v_mul_f32_e32 v82, 0x3fb8aa3b, v82
	v_sub_f32_e32 v83, v83, v88
	v_add_f32_e32 v74, v74, v69
	;; [unrolled: 5-line block ×10, first 2 shown]
	v_cndmask_b32_e64 v78, 0, v78, s[10:11]
	v_exp_f32_e32 v66, v66
	v_mul_f32_e32 v67, 0x3fb8aa3b, v67
	v_add_f32_e32 v74, v74, v78
	v_cndmask_b32_e64 v79, 0, v79, s[12:13]
	v_exp_f32_e32 v67, v67
	v_add_f32_e32 v74, v74, v79
	v_cndmask_b32_e64 v76, 0, v76, s[2:3]
	v_add_f32_e32 v74, v74, v76
	v_cndmask_b32_e64 v77, 0, v77, s[8:9]
	v_add_f32_e32 v74, v74, v77
	v_cndmask_b32_e32 v66, 0, v66, vcc
	v_add_f32_e32 v74, v74, v66
	v_cndmask_b32_e64 v67, 0, v67, s[0:1]
	v_add_f32_e32 v74, v74, v67
	ds_bpermute_b32 v75, v75, v74
	s_waitcnt lgkmcnt(0)
	s_barrier
	v_add_f32_e32 v89, v74, v75
	ds_bpermute_b32 v90, v90, v89
	v_and_b32_e32 v74, 63, v0
	v_cmp_gt_u32_e64 s[0:1], 16, v74
	s_and_saveexec_b64 s[2:3], s[0:1]
	s_cbranch_execz .LBB368_15
; %bb.14:
	s_waitcnt lgkmcnt(0)
	v_add_f32_e32 v74, v89, v90
	v_lshlrev_b32_e32 v75, 2, v87
	ds_write2st64_b32 v75, v88, v74 offset1:1
.LBB368_15:
	s_or_b64 exec, exec, s[2:3]
	v_lshlrev_b32_e32 v74, 2, v84
	s_load_dword s8, s[4:5], 0x94
	s_waitcnt lgkmcnt(0)
	s_barrier
	ds_read2_b32 v[88:89], v74 offset1:16
	ds_read2_b32 v[90:91], v74 offset0:32 offset1:48
	ds_read2_b32 v[92:93], v74 offset0:64 offset1:80
	s_movk_i32 s10, 0x7fff
	s_mov_b32 s11, 0x7060302
	s_waitcnt lgkmcnt(2)
	v_max3_f32 v75, v88, s41, v89
	s_waitcnt lgkmcnt(1)
	v_max3_f32 v86, v75, v90, v91
	v_sub_f32_e32 v75, v88, v86
	v_sub_f32_e32 v87, v89, v86
	v_mul_f32_e32 v75, 0x3fb8aa3b, v75
	v_mul_f32_e32 v87, 0x3fb8aa3b, v87
	v_exp_f32_e32 v75, v75
	v_exp_f32_e32 v94, v87
	v_sub_f32_e32 v87, v90, v86
	v_mul_f32_e32 v87, 0x3fb8aa3b, v87
	ds_read2_b32 v[88:89], v74 offset0:96 offset1:112
	v_sub_f32_e32 v74, v91, v86
	v_exp_f32_e32 v90, v87
	v_mul_f32_e32 v74, 0x3fb8aa3b, v74
	v_exp_f32_e32 v74, v74
	s_waitcnt lgkmcnt(1)
	v_fma_f32 v87, v75, v92, 0
	v_fmac_f32_e32 v87, v94, v93
	s_waitcnt lgkmcnt(0)
	v_fmac_f32_e32 v87, v90, v88
	v_fmac_f32_e32 v87, v74, v89
	v_add_f32_e32 v88, 0x358637bd, v87
	v_div_scale_f32 v89, s[2:3], v88, v88, 1.0
	v_rcp_f32_e32 v91, v89
	s_barrier
	v_fma_f32 v92, -v89, v91, 1.0
	v_fmac_f32_e32 v91, v92, v91
	v_div_scale_f32 v92, vcc, 1.0, v88, 1.0
	v_mul_f32_e32 v93, v92, v91
	v_fma_f32 v95, -v89, v93, v92
	v_fmac_f32_e32 v93, v95, v91
	v_fma_f32 v89, -v89, v93, v92
	v_div_fmas_f32 v89, v89, v91, v93
	v_cmp_eq_u32_e32 vcc, 1, v85
	v_cndmask_b32_e32 v75, v75, v94, vcc
	v_cmp_eq_u32_e32 vcc, 2, v85
	v_cndmask_b32_e32 v75, v75, v90, vcc
	v_cmp_eq_u32_e32 vcc, 3, v85
	v_div_fixup_f32 v88, v89, v88, 1.0
	v_cndmask_b32_e32 v74, v75, v74, vcc
	v_mul_f32_e32 v88, v74, v88
	v_pk_mul_f32 v[68:69], v[88:89], v[68:69] op_sel_hi:[0,1]
	v_bfe_u32 v74, v69, 16, 1
	v_bfe_u32 v75, v68, 16, 1
	v_pk_mul_f32 v[80:81], v[88:89], v[80:81] op_sel_hi:[0,1]
	v_add3_u32 v68, v68, v75, s10
	v_add3_u32 v69, v69, v74, s10
	v_perm_b32 v90, v69, v68, s11
	v_bfe_u32 v68, v81, 16, 1
	v_bfe_u32 v69, v80, 16, 1
	v_add3_u32 v69, v80, v69, s10
	v_add3_u32 v68, v81, v68, s10
	v_perm_b32 v91, v68, v69, s11
	v_lshlrev_b32_e32 v69, 3, v1
	v_lshlrev_b32_e32 v68, 5, v84
	v_lshlrev_b32_e32 v74, 11, v85
	v_pk_mul_f32 v[70:71], v[88:89], v[70:71] op_sel_hi:[0,1]
	v_or3_b32 v80, v74, v68, v69
	v_bfe_u32 v69, v71, 16, 1
	v_bfe_u32 v74, v70, 16, 1
	v_pk_mul_f32 v[82:83], v[88:89], v[82:83] op_sel_hi:[0,1]
	v_add3_u32 v70, v70, v74, s10
	v_add3_u32 v69, v71, v69, s10
	v_perm_b32 v70, v69, v70, s11
	v_bfe_u32 v69, v83, 16, 1
	v_bfe_u32 v71, v82, 16, 1
	v_add3_u32 v71, v82, v71, s10
	v_add3_u32 v69, v83, v69, s10
	v_pk_mul_f32 v[72:73], v[88:89], v[72:73] op_sel_hi:[0,1]
	v_perm_b32 v71, v69, v71, s11
	v_bfe_u32 v69, v73, 16, 1
	v_bfe_u32 v74, v72, 16, 1
	ds_write2st64_b64 v80, v[90:91], v[70:71] offset1:1
	v_pk_mul_f32 v[70:71], v[88:89], v[78:79] op_sel_hi:[0,1]
	v_add3_u32 v72, v72, v74, s10
	v_add3_u32 v69, v73, v69, s10
	v_perm_b32 v72, v69, v72, s11
	v_bfe_u32 v69, v71, 16, 1
	v_bfe_u32 v73, v70, 16, 1
	v_add3_u32 v70, v70, v73, s10
	v_add3_u32 v69, v71, v69, s10
	v_perm_b32 v73, v69, v70, s11
	v_pk_mul_f32 v[70:71], v[88:89], v[76:77] op_sel_hi:[0,1]
	v_bfe_u32 v69, v71, 16, 1
	v_bfe_u32 v74, v70, 16, 1
	v_pk_mul_f32 v[66:67], v[88:89], v[66:67] op_sel_hi:[0,1]
	v_add3_u32 v70, v70, v74, s10
	v_add3_u32 v69, v71, v69, s10
	v_perm_b32 v70, v69, v70, s11
	v_bfe_u32 v69, v67, 16, 1
	v_bfe_u32 v71, v66, 16, 1
	v_add3_u32 v66, v66, v71, s10
	v_add3_u32 v67, v67, v69, s10
	s_mul_i32 s9, s40, 5
	v_perm_b32 v71, v67, v66, s11
	v_cmp_gt_u32_e32 vcc, 5, v0
	ds_write2st64_b64 v80, v[72:73], v[70:71] offset0:2 offset1:3
	s_and_saveexec_b64 s[2:3], vcc
	s_cbranch_execz .LBB368_17
; %bb.16:
	v_add_co_u32_e32 v70, vcc, s27, v84
	v_addc_co_u32_e64 v71, s[16:17], 0, 0, vcc
	v_mov_b32_e32 v66, s9
	v_mov_b32_e32 v67, 0
	v_mad_u64_u32 v[70:71], s[16:17], s6, v66, v[70:71]
	v_mov_b32_e32 v66, s26
	s_load_dwordx4 s[12:15], s[4:5], 0x58
	s_mul_i32 s7, s7, s9
	v_mad_u64_u32 v[66:67], s[16:17], v70, s8, v[66:67]
	v_add_u32_e32 v69, s7, v71
	v_mov_b32_e32 v70, v67
	v_mad_u64_u32 v[70:71], s[16:17], v69, s8, v[70:71]
	v_mov_b32_e32 v67, v70
	v_lshlrev_b64 v[66:67], 2, v[66:67]
	s_waitcnt lgkmcnt(0)
	v_mov_b32_e32 v69, s15
	v_add_co_u32_e32 v70, vcc, s14, v66
	v_addc_co_u32_e32 v71, vcc, v69, v67, vcc
	v_mov_b32_e32 v69, s13
	v_add_co_u32_e32 v66, vcc, s12, v66
	v_addc_co_u32_e32 v67, vcc, v69, v67, vcc
	global_store_dword v[70:71], v86, off
	global_store_dword v[66:67], v87, off
.LBB368_17:
	s_or_b64 exec, exec, s[2:3]
	v_lshl_or_b32 v74, v1, 9, v68
	s_waitcnt lgkmcnt(0)
	s_barrier
	ds_read_b128 v[70:73], v74
	ds_read_b128 v[66:69], v74 offset:16
	s_waitcnt vmcnt(15) lgkmcnt(1)
	v_mfma_f32_16x16x16bf16_1k v[76:79], v[46:47], v[70:71], 0
	s_mov_b32 s3, 0
	v_cmp_gt_u32_e32 vcc, 64, v0
	v_mfma_f32_16x16x16bf16_1k v[46:49], v[48:49], v[72:73], v[76:79]
	s_waitcnt vmcnt(14) lgkmcnt(0)
	v_mfma_f32_16x16x16bf16_1k v[46:49], v[42:43], v[66:67], v[46:49]
	v_mfma_f32_16x16x16bf16_1k v[42:45], v[44:45], v[68:69], v[46:49]
	s_nop 7
	s_nop 1
	ds_read_b128 v[46:49], v74 offset:2048
	ds_read_b128 v[76:79], v74 offset:2064
	s_waitcnt vmcnt(13) lgkmcnt(1)
	v_mfma_f32_16x16x16bf16_1k v[42:45], v[38:39], v[46:47], v[42:45]
	v_mfma_f32_16x16x16bf16_1k v[38:41], v[40:41], v[48:49], v[42:45]
	s_waitcnt vmcnt(12) lgkmcnt(0)
	v_mfma_f32_16x16x16bf16_1k v[38:41], v[34:35], v[76:77], v[38:41]
	v_mfma_f32_16x16x16bf16_1k v[34:37], v[36:37], v[78:79], v[38:41]
	s_nop 7
	s_nop 1
	ds_read_b128 v[38:41], v74 offset:4096
	ds_read_b128 v[42:45], v74 offset:4112
	s_waitcnt vmcnt(11) lgkmcnt(1)
	v_mfma_f32_16x16x16bf16_1k v[34:37], v[30:31], v[38:39], v[34:37]
	v_mfma_f32_16x16x16bf16_1k v[30:33], v[32:33], v[40:41], v[34:37]
	s_waitcnt vmcnt(10) lgkmcnt(0)
	v_mfma_f32_16x16x16bf16_1k v[30:33], v[26:27], v[42:43], v[30:33]
	v_mfma_f32_16x16x16bf16_1k v[26:29], v[28:29], v[44:45], v[30:33]
	s_nop 7
	s_nop 1
	ds_read_b128 v[30:33], v74 offset:6144
	ds_read_b128 v[34:37], v74 offset:6160
	s_waitcnt lgkmcnt(0)
	s_barrier
	s_waitcnt vmcnt(9)
	v_mfma_f32_16x16x16bf16_1k v[26:29], v[22:23], v[30:31], v[26:29]
	v_mfma_f32_16x16x16bf16_1k v[22:25], v[24:25], v[32:33], v[26:29]
	s_waitcnt vmcnt(8)
	v_mfma_f32_16x16x16bf16_1k v[22:25], v[18:19], v[34:35], v[22:25]
	v_mfma_f32_16x16x16bf16_1k v[18:21], v[20:21], v[36:37], v[22:25]
	;; [unrolled: 3-line block ×4, first 2 shown]
	s_waitcnt vmcnt(5)
	v_mfma_f32_16x16x16bf16_1k v[2:5], v[14:15], v[46:47], v[2:5]
	s_nop 7
	v_bfe_u32 v6, v19, 16, 1
	v_bfe_u32 v7, v18, 16, 1
	v_add3_u32 v7, v18, v7, s10
	v_add3_u32 v6, v19, v6, s10
	v_perm_b32 v6, v6, v7, s11
	v_bfe_u32 v7, v21, 16, 1
	v_bfe_u32 v8, v20, 16, 1
	v_mfma_f32_16x16x16bf16_1k v[2:5], v[16:17], v[48:49], v[2:5]
	v_add3_u32 v8, v20, v8, s10
	v_add3_u32 v7, v21, v7, s10
	v_perm_b32 v7, v7, v8, s11
	s_waitcnt vmcnt(4)
	v_mfma_f32_16x16x16bf16_1k v[2:5], v[10:11], v[76:77], v[2:5]
	v_mfma_f32_16x16x16bf16_1k v[2:5], v[12:13], v[78:79], v[2:5]
	s_waitcnt vmcnt(3)
	v_mfma_f32_16x16x16bf16_1k v[2:5], v[54:55], v[38:39], v[2:5]
	v_mfma_f32_16x16x16bf16_1k v[2:5], v[56:57], v[40:41], v[2:5]
	;; [unrolled: 3-line block ×5, first 2 shown]
	s_nop 7
	s_nop 2
	v_bfe_u32 v8, v3, 16, 1
	v_bfe_u32 v9, v2, 16, 1
	v_add3_u32 v2, v2, v9, s10
	v_add3_u32 v3, v3, v8, s10
	v_perm_b32 v2, v3, v2, s11
	v_bfe_u32 v3, v5, 16, 1
	v_bfe_u32 v8, v4, 16, 1
	v_add3_u32 v4, v4, v8, s10
	v_add3_u32 v3, v5, v3, s10
	v_perm_b32 v3, v3, v4, s11
	ds_write2st64_b64 v80, v[6:7], v[2:3] offset1:1
	s_waitcnt lgkmcnt(0)
	s_barrier
	s_and_saveexec_b64 s[10:11], vcc
	s_cbranch_execz .LBB368_20
; %bb.18:
	v_lshlrev_b32_e32 v4, 6, v84
	v_lshlrev_b32_e32 v3, 4, v0
	v_lshl_or_b32 v0, v0, 10, v4
	buffer_load_dword v4, off, s[44:47], 0  ; 4-byte Folded Reload
	buffer_load_dword v5, off, s[44:47], 0 offset:4 ; 4-byte Folded Reload
	s_load_dwordx2 s[10:11], s[4:5], 0x68
	s_lshl_b32 s4, s8, 7
	s_mul_i32 s2, s9, s6
	s_mul_hi_u32 s7, s2, s4
	s_mul_i32 s6, s2, s4
	s_lshl_b64 s[6:7], s[6:7], 1
	s_waitcnt lgkmcnt(0)
	s_add_u32 s5, s10, s6
	s_addc_u32 s6, s11, s7
	s_lshl_b32 s2, s26, 7
	s_lshl_b64 s[2:3], s[2:3], 1
	s_add_u32 s2, s5, s2
	v_lshlrev_b32_e32 v2, 5, v1
	v_and_b32_e32 v3, 16, v3
	v_and_b32_e32 v0, 0x1a00, v0
	s_addc_u32 s3, s6, s3
	v_or3_b32 v0, v0, v2, v3
	v_mov_b32_e32 v3, s3
	v_add_u32_e32 v8, s27, v1
	s_waitcnt vmcnt(1)
	v_add_co_u32_e32 v2, vcc, s2, v4
	s_waitcnt vmcnt(0)
	v_addc_co_u32_e32 v3, vcc, v3, v5, vcc
	ds_read_b128 v[4:7], v0
	v_mad_u64_u32 v[8:9], s[2:3], v8, s4, 0
	v_lshlrev_b64 v[8:9], 1, v[8:9]
	v_add_co_u32_e32 v8, vcc, v2, v8
	v_addc_co_u32_e32 v9, vcc, v3, v9, vcc
	s_waitcnt lgkmcnt(0)
	global_store_dwordx4 v[8:9], v[4:7], off
	s_and_b64 exec, exec, s[0:1]
	s_cbranch_execz .LBB368_20
; %bb.19:
	ds_read_b128 v[4:7], v0 offset:128
	v_add3_u32 v0, s27, v1, 4
	v_mad_u64_u32 v[0:1], s[0:1], v0, s4, 0
	v_lshlrev_b64 v[0:1], 1, v[0:1]
	v_add_co_u32_e32 v0, vcc, v2, v0
	v_addc_co_u32_e32 v1, vcc, v3, v1, vcc
	s_waitcnt lgkmcnt(0)
	global_store_dwordx4 v[0:1], v[4:7], off
.LBB368_20:
	s_endpgm
	.section	.rodata,"a",@progbits
	.p2align	6, 0x0
	.amdhsa_kernel _Z39paged_attention_ll4mi_QKV_mfma16_kernelI14__hip_bfloat16S0_LN4vllm18Fp8KVCacheDataTypeE0ES0_Li32ELi128ELi256ELb0ELi5EL8MFMAType0EEvPKT_PKT0_S9_ifPKiSB_SB_iPKfiiiPfSE_PS4_PT2_iSD_SD_
		.amdhsa_group_segment_fixed_size 8192
		.amdhsa_private_segment_fixed_size 12
		.amdhsa_kernarg_size 400
		.amdhsa_user_sgpr_count 6
		.amdhsa_user_sgpr_private_segment_buffer 1
		.amdhsa_user_sgpr_dispatch_ptr 0
		.amdhsa_user_sgpr_queue_ptr 0
		.amdhsa_user_sgpr_kernarg_segment_ptr 1
		.amdhsa_user_sgpr_dispatch_id 0
		.amdhsa_user_sgpr_flat_scratch_init 0
		.amdhsa_user_sgpr_kernarg_preload_length 0
		.amdhsa_user_sgpr_kernarg_preload_offset 0
		.amdhsa_user_sgpr_private_segment_size 0
		.amdhsa_uses_dynamic_stack 0
		.amdhsa_system_sgpr_private_segment_wavefront_offset 1
		.amdhsa_system_sgpr_workgroup_id_x 1
		.amdhsa_system_sgpr_workgroup_id_y 1
		.amdhsa_system_sgpr_workgroup_id_z 1
		.amdhsa_system_sgpr_workgroup_info 0
		.amdhsa_system_vgpr_workitem_id 0
		.amdhsa_next_free_vgpr 96
		.amdhsa_next_free_sgpr 48
		.amdhsa_accum_offset 96
		.amdhsa_reserve_vcc 1
		.amdhsa_reserve_flat_scratch 0
		.amdhsa_float_round_mode_32 0
		.amdhsa_float_round_mode_16_64 0
		.amdhsa_float_denorm_mode_32 3
		.amdhsa_float_denorm_mode_16_64 3
		.amdhsa_dx10_clamp 1
		.amdhsa_ieee_mode 1
		.amdhsa_fp16_overflow 0
		.amdhsa_tg_split 0
		.amdhsa_exception_fp_ieee_invalid_op 0
		.amdhsa_exception_fp_denorm_src 0
		.amdhsa_exception_fp_ieee_div_zero 0
		.amdhsa_exception_fp_ieee_overflow 0
		.amdhsa_exception_fp_ieee_underflow 0
		.amdhsa_exception_fp_ieee_inexact 0
		.amdhsa_exception_int_div_zero 0
	.end_amdhsa_kernel
	.section	.text._Z39paged_attention_ll4mi_QKV_mfma16_kernelI14__hip_bfloat16S0_LN4vllm18Fp8KVCacheDataTypeE0ES0_Li32ELi128ELi256ELb0ELi5EL8MFMAType0EEvPKT_PKT0_S9_ifPKiSB_SB_iPKfiiiPfSE_PS4_PT2_iSD_SD_,"axG",@progbits,_Z39paged_attention_ll4mi_QKV_mfma16_kernelI14__hip_bfloat16S0_LN4vllm18Fp8KVCacheDataTypeE0ES0_Li32ELi128ELi256ELb0ELi5EL8MFMAType0EEvPKT_PKT0_S9_ifPKiSB_SB_iPKfiiiPfSE_PS4_PT2_iSD_SD_,comdat
.Lfunc_end368:
	.size	_Z39paged_attention_ll4mi_QKV_mfma16_kernelI14__hip_bfloat16S0_LN4vllm18Fp8KVCacheDataTypeE0ES0_Li32ELi128ELi256ELb0ELi5EL8MFMAType0EEvPKT_PKT0_S9_ifPKiSB_SB_iPKfiiiPfSE_PS4_PT2_iSD_SD_, .Lfunc_end368-_Z39paged_attention_ll4mi_QKV_mfma16_kernelI14__hip_bfloat16S0_LN4vllm18Fp8KVCacheDataTypeE0ES0_Li32ELi128ELi256ELb0ELi5EL8MFMAType0EEvPKT_PKT0_S9_ifPKiSB_SB_iPKfiiiPfSE_PS4_PT2_iSD_SD_
                                        ; -- End function
	.section	.AMDGPU.csdata,"",@progbits
; Kernel info:
; codeLenInByte = 5088
; NumSgprs: 52
; NumVgprs: 96
; NumAgprs: 0
; TotalNumVgprs: 96
; ScratchSize: 12
; MemoryBound: 0
; FloatMode: 240
; IeeeMode: 1
; LDSByteSize: 8192 bytes/workgroup (compile time only)
; SGPRBlocks: 6
; VGPRBlocks: 11
; NumSGPRsForWavesPerEU: 52
; NumVGPRsForWavesPerEU: 96
; AccumOffset: 96
; Occupancy: 5
; WaveLimiterHint : 1
; COMPUTE_PGM_RSRC2:SCRATCH_EN: 1
; COMPUTE_PGM_RSRC2:USER_SGPR: 6
; COMPUTE_PGM_RSRC2:TRAP_HANDLER: 0
; COMPUTE_PGM_RSRC2:TGID_X_EN: 1
; COMPUTE_PGM_RSRC2:TGID_Y_EN: 1
; COMPUTE_PGM_RSRC2:TGID_Z_EN: 1
; COMPUTE_PGM_RSRC2:TIDIG_COMP_CNT: 0
; COMPUTE_PGM_RSRC3_GFX90A:ACCUM_OFFSET: 23
; COMPUTE_PGM_RSRC3_GFX90A:TG_SPLIT: 0
	.section	.text._Z39paged_attention_ll4mi_QKV_mfma16_kernelI14__hip_bfloat16S0_LN4vllm18Fp8KVCacheDataTypeE0ES0_Li32ELi128ELi256ELb0ELi6EL8MFMAType0EEvPKT_PKT0_S9_ifPKiSB_SB_iPKfiiiPfSE_PS4_PT2_iSD_SD_,"axG",@progbits,_Z39paged_attention_ll4mi_QKV_mfma16_kernelI14__hip_bfloat16S0_LN4vllm18Fp8KVCacheDataTypeE0ES0_Li32ELi128ELi256ELb0ELi6EL8MFMAType0EEvPKT_PKT0_S9_ifPKiSB_SB_iPKfiiiPfSE_PS4_PT2_iSD_SD_,comdat
	.protected	_Z39paged_attention_ll4mi_QKV_mfma16_kernelI14__hip_bfloat16S0_LN4vllm18Fp8KVCacheDataTypeE0ES0_Li32ELi128ELi256ELb0ELi6EL8MFMAType0EEvPKT_PKT0_S9_ifPKiSB_SB_iPKfiiiPfSE_PS4_PT2_iSD_SD_ ; -- Begin function _Z39paged_attention_ll4mi_QKV_mfma16_kernelI14__hip_bfloat16S0_LN4vllm18Fp8KVCacheDataTypeE0ES0_Li32ELi128ELi256ELb0ELi6EL8MFMAType0EEvPKT_PKT0_S9_ifPKiSB_SB_iPKfiiiPfSE_PS4_PT2_iSD_SD_
	.globl	_Z39paged_attention_ll4mi_QKV_mfma16_kernelI14__hip_bfloat16S0_LN4vllm18Fp8KVCacheDataTypeE0ES0_Li32ELi128ELi256ELb0ELi6EL8MFMAType0EEvPKT_PKT0_S9_ifPKiSB_SB_iPKfiiiPfSE_PS4_PT2_iSD_SD_
	.p2align	8
	.type	_Z39paged_attention_ll4mi_QKV_mfma16_kernelI14__hip_bfloat16S0_LN4vllm18Fp8KVCacheDataTypeE0ES0_Li32ELi128ELi256ELb0ELi6EL8MFMAType0EEvPKT_PKT0_S9_ifPKiSB_SB_iPKfiiiPfSE_PS4_PT2_iSD_SD_,@function
_Z39paged_attention_ll4mi_QKV_mfma16_kernelI14__hip_bfloat16S0_LN4vllm18Fp8KVCacheDataTypeE0ES0_Li32ELi128ELi256ELb0ELi6EL8MFMAType0EEvPKT_PKT0_S9_ifPKiSB_SB_iPKfiiiPfSE_PS4_PT2_iSD_SD_: ; @_Z39paged_attention_ll4mi_QKV_mfma16_kernelI14__hip_bfloat16S0_LN4vllm18Fp8KVCacheDataTypeE0ES0_Li32ELi128ELi256ELb0ELi6EL8MFMAType0EEvPKT_PKT0_S9_ifPKiSB_SB_iPKfiiiPfSE_PS4_PT2_iSD_SD_
; %bb.0:
	s_mov_b64 s[46:47], s[2:3]
	s_mov_b64 s[44:45], s[0:1]
	s_load_dwordx2 s[0:1], s[4:5], 0x30
	s_add_u32 s44, s44, s9
	s_addc_u32 s45, s45, 0
	s_mov_b32 s26, s7
	s_mov_b64 s[10:11], 0
	s_waitcnt lgkmcnt(0)
	s_cmp_lg_u64 s[0:1], 0
	s_cselect_b64 s[2:3], -1, 0
	s_and_b64 vcc, exec, s[2:3]
	s_cbranch_vccz .LBB369_7
; %bb.1:
	s_add_i32 s12, s6, 1
	s_mov_b32 s13, 0
	s_lshl_b64 s[14:15], s[12:13], 2
	s_add_u32 s14, s0, s14
	s_mov_b32 s7, s13
	s_addc_u32 s15, s1, s15
	s_lshl_b64 s[12:13], s[6:7], 2
	s_add_u32 s12, s0, s12
	s_addc_u32 s13, s1, s13
	s_load_dword s9, s[14:15], 0x0
	s_load_dword s16, s[12:13], 0x0
	s_waitcnt lgkmcnt(0)
	s_sub_i32 s9, s9, s16
	s_cmp_eq_u32 s9, 1
	s_cselect_b64 s[12:13], -1, 0
	s_andn2_b64 vcc, exec, s[10:11]
	s_cbranch_vccnz .LBB369_3
.LBB369_2:
	s_mov_b32 s7, 0
	s_mov_b64 s[12:13], -1
.LBB369_3:
	s_andn2_b64 vcc, exec, s[12:13]
	s_cbranch_vccnz .LBB369_20
; %bb.4:
	s_load_dwordx2 s[12:13], s[4:5], 0x28
	s_lshl_b64 s[10:11], s[6:7], 2
	s_waitcnt lgkmcnt(0)
	s_add_u32 s12, s12, s10
	s_addc_u32 s13, s13, s11
	s_load_dword s33, s[12:13], 0x0
	s_lshl_b32 s9, s26, 8
	s_waitcnt lgkmcnt(0)
	s_cmp_ge_i32 s9, s33
	s_cbranch_scc1 .LBB369_20
; %bb.5:
	s_add_i32 s15, s33, 31
	s_load_dwordx2 s[12:13], s[4:5], 0x20
	s_load_dword s14, s[4:5], 0x38
	s_ashr_i32 s16, s15, 31
	v_and_b32_e32 v1, 0xcf, v0
	s_lshr_b32 s16, s16, 27
	v_add_u32_e32 v1, s9, v1
	s_add_i32 s15, s15, s16
	v_ashrrev_i32_e32 v2, 31, v1
	s_ashr_i32 s18, s15, 5
	v_lshrrev_b32_e32 v10, 27, v2
	s_add_i32 s18, s18, -1
	v_add_u32_e32 v2, v1, v10
	s_waitcnt lgkmcnt(0)
	s_mul_i32 s14, s6, s14
	s_mov_b32 s15, 0
	v_ashrrev_i32_e32 v2, 5, v2
	v_mov_b32_e32 v11, s18
	v_cmp_gt_i32_e32 vcc, s33, v1
	s_lshl_b64 s[14:15], s[14:15], 2
	v_cndmask_b32_e32 v2, v11, v2, vcc
	s_add_u32 s16, s12, s14
	v_ashrrev_i32_e32 v3, 31, v2
	s_addc_u32 s17, s13, s15
	v_lshlrev_b64 v[2:3], 2, v[2:3]
	v_mov_b32_e32 v4, s17
	v_add_co_u32_e32 v2, vcc, s16, v2
	v_addc_co_u32_e32 v3, vcc, v4, v3, vcc
	v_or_b32_e32 v4, 16, v1
	v_add_u32_e32 v5, v4, v10
	v_ashrrev_i32_e32 v5, 5, v5
	v_cmp_gt_i32_e32 vcc, s33, v4
	v_cndmask_b32_e32 v4, v11, v5, vcc
	v_ashrrev_i32_e32 v5, 31, v4
	v_lshlrev_b64 v[4:5], 2, v[4:5]
	v_mov_b32_e32 v7, s17
	v_add_co_u32_e32 v6, vcc, s16, v4
	v_or_b32_e32 v4, 32, v1
	v_addc_co_u32_e32 v7, vcc, v7, v5, vcc
	v_add_u32_e32 v5, v4, v10
	v_ashrrev_i32_e32 v5, 5, v5
	v_cmp_gt_i32_e32 vcc, s33, v4
	v_cndmask_b32_e32 v4, v11, v5, vcc
	v_ashrrev_i32_e32 v5, 31, v4
	v_lshlrev_b64 v[4:5], 2, v[4:5]
	v_mov_b32_e32 v9, s17
	v_add_co_u32_e32 v8, vcc, s16, v4
	v_or_b32_e32 v1, 48, v1
	v_addc_co_u32_e32 v9, vcc, v9, v5, vcc
	v_add_u32_e32 v4, v1, v10
	v_ashrrev_i32_e32 v4, 5, v4
	v_cmp_gt_i32_e32 vcc, s33, v1
	v_cndmask_b32_e32 v4, v11, v4, vcc
	v_ashrrev_i32_e32 v5, 31, v4
	v_lshlrev_b64 v[4:5], 2, v[4:5]
	v_mov_b32_e32 v1, s17
	v_add_co_u32_e32 v10, vcc, s16, v4
	v_addc_co_u32_e32 v11, vcc, v1, v5, vcc
	global_load_dword v5, v[2:3], off
	global_load_dword v4, v[6:7], off
	;; [unrolled: 1-line block ×4, first 2 shown]
	s_andn2_b64 vcc, exec, s[2:3]
	s_cbranch_vccnz .LBB369_8
; %bb.6:
	s_add_u32 s0, s0, s10
	s_addc_u32 s1, s1, s11
	s_load_dword s19, s[0:1], 0x0
	s_branch .LBB369_9
.LBB369_7:
	s_mov_b64 s[12:13], 0
	s_branch .LBB369_2
.LBB369_8:
	s_mov_b32 s19, s6
.LBB369_9:
	s_load_dwordx4 s[12:15], s[4:5], 0x8
	s_load_dwordx4 s[0:3], s[4:5], 0x48
	v_lshrrev_b32_e32 v85, 6, v0
	v_bfe_u32 v1, v0, 4, 2
	v_lshl_or_b32 v6, v85, 2, v1
	v_and_b32_e32 v84, 15, v0
	v_lshlrev_b32_e32 v2, 3, v84
	v_cmp_lt_u32_e32 vcc, 5, v6
	s_and_saveexec_b64 s[10:11], vcc
	s_xor_b64 s[10:11], exec, s[10:11]
; %bb.10:
	v_mov_b32_e32 v3, 0
                                        ; implicit-def: $vgpr6
; %bb.11:
	s_or_saveexec_b64 s[10:11], s[10:11]
	s_mul_i32 s27, s8, 6
	s_xor_b64 exec, exec, s[10:11]
	s_cbranch_execz .LBB369_13
; %bb.12:
	s_load_dwordx2 s[20:21], s[4:5], 0x0
	s_waitcnt lgkmcnt(0)
	s_ashr_i32 s3, s0, 31
	s_mul_hi_u32 s22, s19, s0
	s_mul_i32 s3, s19, s3
	s_add_i32 s23, s22, s3
	s_mul_i32 s22, s19, s0
	s_lshl_b64 s[22:23], s[22:23], 1
	v_add_lshl_u32 v8, v6, s27, 7
	s_add_u32 s0, s20, s22
	v_ashrrev_i32_e32 v9, 31, v8
	s_addc_u32 s3, s21, s23
	v_lshlrev_b64 v[8:9], 1, v[8:9]
	v_mov_b32_e32 v3, s3
	v_add_co_u32_e32 v7, vcc, s0, v8
	v_addc_co_u32_e32 v3, vcc, v3, v9, vcc
	v_lshlrev_b32_e32 v8, 1, v2
	v_add_co_u32_e32 v8, vcc, v7, v8
	v_addc_co_u32_e32 v9, vcc, 0, v3, vcc
	global_load_dwordx4 v[8:11], v[8:9], off
	v_and_b32_e32 v7, 3, v0
	v_lshlrev_b32_e32 v12, 9, v84
	v_lshlrev_b32_e32 v6, 5, v6
	;; [unrolled: 1-line block ×3, first 2 shown]
	v_and_b32_e32 v12, 0x1800, v12
	v_mov_b32_e32 v3, 0
	v_or3_b32 v6, v12, v7, v6
	s_waitcnt vmcnt(0)
	ds_write_b128 v6, v[8:11]
.LBB369_13:
	s_or_b64 exec, exec, s[10:11]
	s_waitcnt lgkmcnt(0)
	s_mul_i32 s2, s8, s2
	s_mov_b32 s3, 0
	s_lshl_b64 s[2:3], s[2:3], 1
	s_add_u32 s8, s12, s2
	s_addc_u32 s10, s13, s3
	s_waitcnt vmcnt(3)
	v_mad_i64_i32 v[6:7], s[12:13], v5, s1, 0
	v_lshlrev_b64 v[6:7], 1, v[6:7]
	v_mov_b32_e32 v5, s10
	v_add_co_u32_e32 v6, vcc, s8, v6
	v_addc_co_u32_e32 v5, vcc, v5, v7, vcc
	v_lshlrev_b64 v[50:51], 1, v[2:3]
	v_add_co_u32_e32 v27, vcc, v6, v50
	v_lshlrev_b32_e32 v26, 9, v1
	v_addc_co_u32_e32 v28, vcc, v5, v51, vcc
	v_add_co_u32_e32 v2, vcc, v27, v26
	s_waitcnt vmcnt(2)
	v_mad_i64_i32 v[4:5], s[12:13], v4, s1, 0
	v_addc_co_u32_e32 v3, vcc, 0, v28, vcc
	v_lshlrev_b64 v[4:5], 1, v[4:5]
	v_mov_b32_e32 v6, s10
	v_add_co_u32_e32 v4, vcc, s8, v4
	s_load_dword s40, s[4:5], 0x98
	s_load_dword s0, s[4:5], 0x1c
	s_waitcnt lgkmcnt(0)
	s_barrier
	global_load_dwordx4 v[10:13], v[2:3], off
	global_load_dwordx4 v[14:17], v[2:3], off offset:2048
	v_addc_co_u32_e32 v5, vcc, v6, v5, vcc
	v_mov_b32_e32 v6, 0x100
	v_lshl_or_b32 v29, v84, 4, v6
	v_add_co_u32_e32 v31, vcc, v4, v29
	v_addc_co_u32_e32 v32, vcc, 0, v5, vcc
	v_add_co_u32_e32 v22, vcc, v31, v26
	v_addc_co_u32_e32 v23, vcc, 0, v32, vcc
	global_load_dwordx4 v[18:21], v[22:23], off
	v_mul_lo_u16_e32 v4, 43, v84
	v_mov_b32_e32 v2, 6
	v_mul_lo_u16_sdwa v2, v4, v2 dst_sel:DWORD dst_unused:UNUSED_PAD src0_sel:BYTE_1 src1_sel:DWORD
	v_sub_u16_e32 v2, v84, v2
	v_and_b32_e32 v2, 0xff, v2
	v_lshl_add_u32 v30, v2, 5, v26
	ds_read_b128 v[6:9], v30
	ds_read_b128 v[2:5], v30 offset:2048
	v_or_b32_e32 v54, 0x1000, v26
	global_load_dwordx4 v[38:41], v[22:23], off offset:2048
	v_or_b32_e32 v70, 0x1800, v26
	s_ashr_i32 s11, s9, 31
	v_and_or_b32 v66, v0, 48, s9
	v_lshl_or_b32 v87, v85, 4, v84
	v_lshlrev_b32_e32 v83, 6, v87
	s_mov_b32 s41, 0xff7fffff
	s_waitcnt vmcnt(3) lgkmcnt(1)
	v_mfma_f32_16x16x16bf16_1k v[34:37], v[10:11], v[6:7], 0
	s_waitcnt vmcnt(1)
	v_mfma_f32_16x16x16bf16_1k v[42:45], v[18:19], v[6:7], 0
	v_add_co_u32_e32 v18, vcc, v27, v54
	v_addc_co_u32_e32 v19, vcc, 0, v28, vcc
	v_mfma_f32_16x16x16bf16_1k v[10:13], v[12:13], v[8:9], v[34:37]
	s_nop 6
	global_load_dwordx4 v[34:37], v[18:19], off
	v_add_co_u32_e32 v22, vcc, v31, v54
	v_addc_co_u32_e32 v23, vcc, 0, v32, vcc
	v_mfma_f32_16x16x16bf16_1k v[18:21], v[20:21], v[8:9], v[42:45]
	s_nop 6
	global_load_dwordx4 v[42:45], v[22:23], off
	v_add_co_u32_e32 v22, vcc, v27, v70
	v_addc_co_u32_e32 v23, vcc, 0, v28, vcc
	s_waitcnt lgkmcnt(0)
	v_mfma_f32_16x16x16bf16_1k v[10:13], v[14:15], v[2:3], v[10:13]
	global_load_dwordx4 v[46:49], v[22:23], off
	v_mad_i64_i32 v[14:15], s[12:13], v25, s1, 0
	v_add_co_u32_e32 v22, vcc, v31, v70
	v_lshlrev_b64 v[14:15], 1, v[14:15]
	v_addc_co_u32_e32 v23, vcc, 0, v32, vcc
	global_load_dwordx4 v[58:61], v[22:23], off
	v_mov_b32_e32 v22, s10
	v_add_co_u32_e32 v23, vcc, s8, v14
	v_addc_co_u32_e32 v22, vcc, v22, v15, vcc
	v_add_co_u32_e32 v27, vcc, v23, v50
	buffer_store_dword v50, off, s[44:47], 0 ; 4-byte Folded Spill
	s_nop 0
	buffer_store_dword v51, off, s[44:47], 0 offset:4 ; 4-byte Folded Spill
	s_waitcnt vmcnt(6)
	v_mfma_f32_16x16x16bf16_1k v[18:21], v[38:39], v[2:3], v[18:21]
	v_addc_co_u32_e32 v28, vcc, v22, v51, vcc
	v_add_co_u32_e32 v22, vcc, v27, v26
	v_addc_co_u32_e32 v23, vcc, 0, v28, vcc
	v_mfma_f32_16x16x16bf16_1k v[18:21], v[40:41], v[4:5], v[18:21]
	global_load_dwordx4 v[38:41], v[22:23], off
	v_mfma_f32_16x16x16bf16_1k v[14:17], v[16:17], v[4:5], v[10:13]
	s_nop 6
	ds_read_b128 v[10:13], v30 offset:4096
	ds_read_b128 v[50:53], v30 offset:6144
	global_load_dwordx4 v[30:33], v[22:23], off offset:2048
	v_mad_i64_i32 v[22:23], s[12:13], v24, s1, 0
	s_waitcnt vmcnt(7) lgkmcnt(1)
	v_mfma_f32_16x16x16bf16_1k v[14:17], v[34:35], v[10:11], v[14:17]
	v_lshlrev_b64 v[34:35], 1, v[22:23]
	v_add_co_u32_e32 v22, vcc, v27, v54
	v_addc_co_u32_e32 v23, vcc, 0, v28, vcc
	global_load_dwordx4 v[22:25], v[22:23], off
	v_add_co_u32_e32 v34, vcc, s8, v34
	s_waitcnt vmcnt(7)
	v_mfma_f32_16x16x16bf16_1k v[18:21], v[42:43], v[10:11], v[18:21]
	v_mov_b32_e32 v42, s10
	v_addc_co_u32_e32 v35, vcc, v42, v35, vcc
	v_add_co_u32_e32 v71, vcc, v34, v29
	v_addc_co_u32_e32 v72, vcc, 0, v35, vcc
	v_mfma_f32_16x16x16bf16_1k v[14:17], v[36:37], v[12:13], v[14:17]
	v_add_co_u32_e32 v34, vcc, v27, v70
	v_addc_co_u32_e32 v35, vcc, 0, v28, vcc
	v_add_co_u32_e32 v42, vcc, v71, v26
	v_addc_co_u32_e32 v43, vcc, 0, v72, vcc
	v_mfma_f32_16x16x16bf16_1k v[18:21], v[44:45], v[12:13], v[18:21]
	s_lshr_b32 s10, s11, 27
	v_add_co_u32_e32 v44, vcc, v71, v54
	v_addc_co_u32_e32 v45, vcc, 0, v72, vcc
	v_cmp_gt_i32_e32 vcc, s33, v66
	s_add_u32 s2, s14, s2
	s_waitcnt vmcnt(6) lgkmcnt(0)
	v_mfma_f32_16x16x16bf16_1k v[26:29], v[46:47], v[50:51], v[14:17]
	global_load_dwordx4 v[34:37], v[34:35], off
	s_nop 0
	global_load_dwordx4 v[62:65], v[42:43], off
	s_nop 3
	global_load_dwordx4 v[14:17], v[42:43], off offset:2048
	v_mov_b32_e32 v42, s17
	s_addc_u32 s3, s15, s3
	v_mfma_f32_16x16x16bf16_1k v[54:57], v[48:49], v[52:53], v[26:29]
	s_nop 6
	v_add_u32_e32 v26, s10, v66
	s_waitcnt vmcnt(8)
	v_mfma_f32_16x16x16bf16_1k v[18:21], v[58:59], v[50:51], v[18:21]
	v_ashrrev_i32_e32 v26, 5, v26
	v_mov_b32_e32 v28, s18
	v_cndmask_b32_e32 v26, v28, v26, vcc
	v_ashrrev_i32_e32 v27, 31, v26
	v_lshlrev_b64 v[26:27], 2, v[26:27]
	v_mov_b32_e32 v29, s17
	v_add_co_u32_e32 v26, vcc, s16, v26
	v_addc_co_u32_e32 v27, vcc, v29, v27, vcc
	global_load_dword v29, v[26:27], off
	v_or_b32_e32 v26, 64, v66
	v_mfma_f32_16x16x16bf16_1k v[58:61], v[60:61], v[52:53], v[18:21]
	v_cmp_gt_i32_e32 vcc, s33, v26
	s_nop 5
	v_add_u32_e32 v18, s10, v26
	v_ashrrev_i32_e32 v18, 5, v18
	v_cndmask_b32_e32 v18, v28, v18, vcc
	v_ashrrev_i32_e32 v19, 31, v18
	v_lshlrev_b64 v[26:27], 2, v[18:19]
	s_waitcnt vmcnt(6)
	v_mfma_f32_16x16x16bf16_1k v[18:21], v[38:39], v[6:7], 0
	v_add_co_u32_e32 v26, vcc, s16, v26
	v_addc_co_u32_e32 v27, vcc, v42, v27, vcc
	global_load_dword v38, v[26:27], off
	v_or_b32_e32 v26, 0x80, v66
	v_add_u32_e32 v27, s10, v26
	v_mfma_f32_16x16x16bf16_1k v[18:21], v[40:41], v[8:9], v[18:21]
	v_ashrrev_i32_e32 v27, 5, v27
	v_cmp_gt_i32_e32 vcc, s33, v26
	v_cndmask_b32_e32 v26, v28, v27, vcc
	v_ashrrev_i32_e32 v27, 31, v26
	v_lshlrev_b64 v[26:27], 2, v[26:27]
	v_mov_b32_e32 v39, s17
	v_add_co_u32_e32 v26, vcc, s16, v26
	v_addc_co_u32_e32 v27, vcc, v39, v27, vcc
	s_waitcnt vmcnt(6)
	v_mfma_f32_16x16x16bf16_1k v[18:21], v[30:31], v[2:3], v[18:21]
	global_load_dword v30, v[26:27], off
	v_or_b32_e32 v26, 0xc0, v66
	global_load_dwordx4 v[66:69], v[44:45], off
	v_add_u32_e32 v27, s10, v26
	v_ashrrev_i32_e32 v27, 5, v27
	v_cmp_gt_i32_e32 vcc, s33, v26
	v_cndmask_b32_e32 v26, v28, v27, vcc
	v_mfma_f32_16x16x16bf16_1k v[18:21], v[32:33], v[4:5], v[18:21]
	v_ashrrev_i32_e32 v27, 31, v26
	v_lshlrev_b64 v[26:27], 2, v[26:27]
	v_mov_b32_e32 v28, s17
	v_add_co_u32_e32 v26, vcc, s16, v26
	v_addc_co_u32_e32 v27, vcc, v28, v27, vcc
	s_waitcnt vmcnt(7)
	v_mfma_f32_16x16x16bf16_1k v[18:21], v[22:23], v[10:11], v[18:21]
	v_add_co_u32_e32 v22, vcc, v71, v70
	v_addc_co_u32_e32 v23, vcc, 0, v72, vcc
	global_load_dwordx4 v[88:91], v[22:23], off
	global_load_dword v80, v[26:27], off
	v_and_b32_e32 v22, 16, v0
	v_mfma_f32_16x16x16bf16_1k v[18:21], v[24:25], v[12:13], v[18:21]
	v_lshlrev_b32_e32 v22, 1, v22
	v_mov_b32_e32 v23, s3
	v_add_co_u32_e32 v81, vcc, s2, v22
	v_addc_co_u32_e32 v82, vcc, 0, v23, vcc
	v_add_co_u32_e32 v22, vcc, v81, v83
	s_waitcnt vmcnt(8)
	v_mfma_f32_16x16x16bf16_1k v[18:21], v[34:35], v[50:51], v[18:21]
	v_addc_co_u32_e32 v23, vcc, 0, v82, vcc
	v_mfma_f32_16x16x16bf16_1k v[76:79], v[36:37], v[52:53], v[18:21]
	s_waitcnt vmcnt(5)
	s_nop 7
	v_mad_i64_i32 v[18:19], s[2:3], v29, s1, 0
	v_lshlrev_b64 v[70:71], 1, v[18:19]
	v_mfma_f32_16x16x16bf16_1k v[18:21], v[62:63], v[6:7], 0
	v_add_co_u32_e32 v6, vcc, v22, v70
	v_addc_co_u32_e32 v7, vcc, v23, v71, vcc
	global_load_dwordx4 v[46:49], v[6:7], off
	global_load_dwordx4 v[42:45], v[6:7], off offset:16
	v_pk_mul_f32 v[78:79], s[0:1], v[78:79] op_sel_hi:[0,1]
	s_waitcnt vmcnt(6)
	v_mad_i64_i32 v[6:7], s[2:3], v38, s1, 0
	v_lshlrev_b64 v[72:73], 1, v[6:7]
	v_mfma_f32_16x16x16bf16_1k v[6:9], v[64:65], v[8:9], v[18:21]
	v_mfma_f32_16x16x16bf16_1k v[6:9], v[14:15], v[2:3], v[6:9]
	s_nop 5
	v_add_co_u32_e32 v18, vcc, v22, v72
	v_addc_co_u32_e32 v19, vcc, v23, v73, vcc
	global_load_dwordx4 v[38:41], v[18:19], off
	global_load_dwordx4 v[34:37], v[18:19], off offset:16
	s_waitcnt vmcnt(7)
	v_mad_i64_i32 v[18:19], s[2:3], v30, s1, 0
	v_lshlrev_b64 v[64:65], 1, v[18:19]
	v_add_co_u32_e32 v2, vcc, v22, v64
	v_addc_co_u32_e32 v3, vcc, v23, v65, vcc
	global_load_dwordx4 v[30:33], v[2:3], off
	global_load_dwordx4 v[26:29], v[2:3], off offset:16
	v_mfma_f32_16x16x16bf16_1k v[2:5], v[16:17], v[4:5], v[6:9]
	s_waitcnt vmcnt(8)
	v_mfma_f32_16x16x16bf16_1k v[2:5], v[66:67], v[10:11], v[2:5]
	s_waitcnt vmcnt(6)
	s_nop 3
	v_mad_i64_i32 v[6:7], s[2:3], v80, s1, 0
	v_lshlrev_b64 v[62:63], 1, v[6:7]
	v_add_co_u32_e32 v6, vcc, v22, v62
	v_mfma_f32_16x16x16bf16_1k v[10:13], v[68:69], v[12:13], v[2:5]
	v_addc_co_u32_e32 v7, vcc, v23, v63, vcc
	global_load_dwordx4 v[22:25], v[6:7], off
	global_load_dwordx4 v[18:21], v[6:7], off offset:16
	v_or_b32_e32 v6, 0x1000, v83
	v_add_co_u32_e32 v86, vcc, v81, v6
	v_addc_co_u32_e32 v74, vcc, 0, v82, vcc
	v_mfma_f32_16x16x16bf16_1k v[92:95], v[88:89], v[50:51], v[10:13]
	v_add_co_u32_e32 v2, vcc, v86, v70
	v_addc_co_u32_e32 v3, vcc, v74, v71, vcc
	v_add_co_u32_e32 v66, vcc, v86, v72
	v_addc_co_u32_e32 v67, vcc, v74, v73, vcc
	v_mfma_f32_16x16x16bf16_1k v[50:53], v[90:91], v[52:53], v[92:95]
	v_pk_mul_f32 v[72:73], s[0:1], v[76:77] op_sel_hi:[0,1]
	global_load_dwordx4 v[6:9], v[2:3], off
	s_nop 0
	global_load_dwordx4 v[2:5], v[2:3], off offset:16
	s_nop 0
	global_load_dwordx4 v[14:17], v[66:67], off
	global_load_dwordx4 v[10:13], v[66:67], off offset:16
	v_pk_mul_f32 v[68:69], s[0:1], v[54:55] op_sel_hi:[0,1]
	v_pk_mul_f32 v[80:81], s[0:1], v[56:57] op_sel_hi:[0,1]
	;; [unrolled: 1-line block ×5, first 2 shown]
	v_and_b32_e32 v50, 0xc0, v0
	v_add_u32_e32 v50, s9, v50
	v_lshl_or_b32 v50, v1, 2, v50
	v_pk_mul_f32 v[66:67], s[0:1], v[52:53] op_sel_hi:[0,1]
	v_or_b32_e32 v53, 1, v50
	v_mov_b32_e32 v51, 0xff7fffff
	v_cmp_gt_i32_e64 s[28:29], s33, v50
	v_cmp_gt_i32_e64 s[30:31], s33, v53
	v_cndmask_b32_e64 v52, v51, v68, s[28:29]
	v_cndmask_b32_e64 v53, v51, v69, s[30:31]
	v_max3_f32 v52, v52, s41, v53
	v_or_b32_e32 v53, 2, v50
	v_or_b32_e32 v54, 3, v50
	v_cmp_gt_i32_e64 s[34:35], s33, v53
	v_cmp_gt_i32_e64 s[36:37], s33, v54
	v_cndmask_b32_e64 v53, v51, v80, s[34:35]
	v_cndmask_b32_e64 v54, v51, v81, s[36:37]
	v_max3_f32 v52, v52, v53, v54
	v_or_b32_e32 v53, 16, v50
	v_or_b32_e32 v54, 17, v50
	v_cmp_gt_i32_e64 s[22:23], s33, v53
	v_cmp_gt_i32_e64 s[24:25], s33, v54
	v_cndmask_b32_e64 v53, v51, v70, s[22:23]
	v_cndmask_b32_e64 v54, v51, v71, s[24:25]
	v_max3_f32 v52, v52, v53, v54
	v_or_b32_e32 v53, 18, v50
	v_or_b32_e32 v54, 19, v50
	v_cmp_gt_i32_e64 s[18:19], s33, v53
	v_cmp_gt_i32_e64 s[20:21], s33, v54
	v_cndmask_b32_e64 v53, v51, v82, s[18:19]
	v_cndmask_b32_e64 v54, v51, v83, s[20:21]
	v_max3_f32 v52, v52, v53, v54
	v_or_b32_e32 v53, 32, v50
	v_or_b32_e32 v54, 33, v50
	v_cmp_gt_i32_e64 s[14:15], s33, v53
	v_cmp_gt_i32_e64 s[16:17], s33, v54
	v_cndmask_b32_e64 v53, v51, v72, s[14:15]
	v_cndmask_b32_e64 v54, v51, v73, s[16:17]
	v_max3_f32 v52, v52, v53, v54
	v_or_b32_e32 v53, 34, v50
	v_or_b32_e32 v54, 35, v50
	v_cmp_gt_i32_e64 s[10:11], s33, v53
	v_cmp_gt_i32_e64 s[12:13], s33, v54
	v_cndmask_b32_e64 v53, v51, v78, s[10:11]
	v_cndmask_b32_e64 v54, v51, v79, s[12:13]
	v_max3_f32 v52, v52, v53, v54
	v_or_b32_e32 v53, 48, v50
	v_or_b32_e32 v54, 49, v50
	v_cmp_gt_i32_e64 s[2:3], s33, v53
	v_cmp_gt_i32_e64 s[8:9], s33, v54
	v_cndmask_b32_e64 v53, v51, v76, s[2:3]
	v_cndmask_b32_e64 v54, v51, v77, s[8:9]
	v_max3_f32 v52, v52, v53, v54
	v_or_b32_e32 v53, 50, v50
	v_or_b32_e32 v50, 51, v50
	v_cmp_gt_i32_e32 vcc, s33, v53
	v_cmp_gt_i32_e64 s[0:1], s33, v50
	v_cndmask_b32_e32 v53, v51, v66, vcc
	v_cndmask_b32_e64 v50, v51, v67, s[0:1]
	v_max3_f32 v58, v52, v53, v50
	v_mbcnt_lo_u32_b32 v50, -1, 0
	v_mbcnt_hi_u32_b32 v59, -1, v50
	v_and_b32_e32 v50, 64, v59
	v_add_u32_e32 v60, 64, v50
	v_xor_b32_e32 v50, 32, v59
	v_cmp_lt_i32_e64 s[38:39], v50, v60
	v_cndmask_b32_e64 v50, v59, v50, s[38:39]
	v_lshlrev_b32_e32 v75, 2, v50
	ds_bpermute_b32 v61, v75, v58
	v_add_co_u32_e64 v50, s[38:39], v86, v64
	v_addc_co_u32_e64 v51, s[38:39], v74, v65, s[38:39]
	s_waitcnt lgkmcnt(0)
	v_max_f32_e32 v61, v61, v61
	v_max_f32_e32 v61, v58, v61
	v_xor_b32_e32 v58, 16, v59
	v_cmp_lt_i32_e64 s[38:39], v58, v60
	v_cndmask_b32_e64 v58, v59, v58, s[38:39]
	v_lshlrev_b32_e32 v90, 2, v58
	ds_bpermute_b32 v60, v90, v61
	v_add_co_u32_e64 v58, s[38:39], v86, v62
	v_addc_co_u32_e64 v59, s[38:39], v74, v63, s[38:39]
	s_waitcnt lgkmcnt(0)
	v_max_f32_e32 v60, v60, v60
	v_max_f32_e32 v88, v61, v60
	v_sub_f32_e32 v60, v68, v88
	v_mul_f32_e32 v60, 0x3fb8aa3b, v60
	v_exp_f32_e32 v68, v60
	v_sub_f32_e32 v60, v69, v88
	v_mul_f32_e32 v60, 0x3fb8aa3b, v60
	global_load_dwordx4 v[54:57], v[50:51], off
	s_nop 0
	global_load_dwordx4 v[50:53], v[50:51], off offset:16
	v_exp_f32_e32 v69, v60
	global_load_dwordx4 v[62:65], v[58:59], off
	s_nop 0
	global_load_dwordx4 v[58:61], v[58:59], off offset:16
	v_sub_f32_e32 v80, v80, v88
	v_mul_f32_e32 v80, 0x3fb8aa3b, v80
	v_sub_f32_e32 v81, v81, v88
	v_exp_f32_e32 v80, v80
	v_mul_f32_e32 v81, 0x3fb8aa3b, v81
	v_sub_f32_e32 v70, v70, v88
	v_exp_f32_e32 v81, v81
	v_mul_f32_e32 v70, 0x3fb8aa3b, v70
	v_sub_f32_e32 v71, v71, v88
	v_cndmask_b32_e64 v68, 0, v68, s[28:29]
	v_exp_f32_e32 v70, v70
	v_mul_f32_e32 v71, 0x3fb8aa3b, v71
	v_sub_f32_e32 v82, v82, v88
	v_add_f32_e32 v74, 0, v68
	v_cndmask_b32_e64 v69, 0, v69, s[30:31]
	v_exp_f32_e32 v71, v71
	v_mul_f32_e32 v82, 0x3fb8aa3b, v82
	v_sub_f32_e32 v83, v83, v88
	v_add_f32_e32 v74, v74, v69
	;; [unrolled: 5-line block ×10, first 2 shown]
	v_cndmask_b32_e64 v78, 0, v78, s[10:11]
	v_exp_f32_e32 v66, v66
	v_mul_f32_e32 v67, 0x3fb8aa3b, v67
	v_add_f32_e32 v74, v74, v78
	v_cndmask_b32_e64 v79, 0, v79, s[12:13]
	v_exp_f32_e32 v67, v67
	v_add_f32_e32 v74, v74, v79
	v_cndmask_b32_e64 v76, 0, v76, s[2:3]
	v_add_f32_e32 v74, v74, v76
	v_cndmask_b32_e64 v77, 0, v77, s[8:9]
	v_add_f32_e32 v74, v74, v77
	v_cndmask_b32_e32 v66, 0, v66, vcc
	v_add_f32_e32 v74, v74, v66
	v_cndmask_b32_e64 v67, 0, v67, s[0:1]
	v_add_f32_e32 v74, v74, v67
	ds_bpermute_b32 v75, v75, v74
	s_waitcnt lgkmcnt(0)
	s_barrier
	v_add_f32_e32 v89, v74, v75
	ds_bpermute_b32 v90, v90, v89
	v_and_b32_e32 v74, 63, v0
	v_cmp_gt_u32_e32 vcc, 16, v74
	s_and_saveexec_b64 s[0:1], vcc
	s_cbranch_execz .LBB369_15
; %bb.14:
	s_waitcnt lgkmcnt(0)
	v_add_f32_e32 v74, v89, v90
	v_lshlrev_b32_e32 v75, 2, v87
	ds_write2st64_b32 v75, v88, v74 offset1:1
.LBB369_15:
	s_or_b64 exec, exec, s[0:1]
	v_lshlrev_b32_e32 v74, 2, v84
	s_load_dword s2, s[4:5], 0x94
	s_waitcnt lgkmcnt(0)
	s_barrier
	ds_read2_b32 v[88:89], v74 offset1:16
	ds_read2_b32 v[90:91], v74 offset0:32 offset1:48
	ds_read2_b32 v[92:93], v74 offset0:64 offset1:80
	s_movk_i32 s8, 0x7fff
	s_mov_b32 s9, 0x7060302
	s_waitcnt lgkmcnt(2)
	v_max3_f32 v75, v88, s41, v89
	s_waitcnt lgkmcnt(1)
	v_max3_f32 v86, v75, v90, v91
	v_sub_f32_e32 v75, v88, v86
	v_sub_f32_e32 v87, v89, v86
	v_mul_f32_e32 v75, 0x3fb8aa3b, v75
	v_mul_f32_e32 v87, 0x3fb8aa3b, v87
	v_exp_f32_e32 v75, v75
	v_exp_f32_e32 v94, v87
	v_sub_f32_e32 v87, v90, v86
	v_mul_f32_e32 v87, 0x3fb8aa3b, v87
	ds_read2_b32 v[88:89], v74 offset0:96 offset1:112
	v_sub_f32_e32 v74, v91, v86
	v_exp_f32_e32 v90, v87
	v_mul_f32_e32 v74, 0x3fb8aa3b, v74
	v_exp_f32_e32 v74, v74
	s_waitcnt lgkmcnt(1)
	v_fma_f32 v87, v75, v92, 0
	v_fmac_f32_e32 v87, v94, v93
	s_waitcnt lgkmcnt(0)
	v_fmac_f32_e32 v87, v90, v88
	v_fmac_f32_e32 v87, v74, v89
	v_add_f32_e32 v88, 0x358637bd, v87
	v_div_scale_f32 v89, s[0:1], v88, v88, 1.0
	v_rcp_f32_e32 v91, v89
	s_barrier
	v_fma_f32 v92, -v89, v91, 1.0
	v_fmac_f32_e32 v91, v92, v91
	v_div_scale_f32 v92, vcc, 1.0, v88, 1.0
	v_mul_f32_e32 v93, v92, v91
	v_fma_f32 v95, -v89, v93, v92
	v_fmac_f32_e32 v93, v95, v91
	v_fma_f32 v89, -v89, v93, v92
	v_div_fmas_f32 v89, v89, v91, v93
	v_cmp_eq_u32_e32 vcc, 1, v85
	v_cndmask_b32_e32 v75, v75, v94, vcc
	v_cmp_eq_u32_e32 vcc, 2, v85
	v_cndmask_b32_e32 v75, v75, v90, vcc
	v_cmp_eq_u32_e32 vcc, 3, v85
	v_div_fixup_f32 v88, v89, v88, 1.0
	v_cndmask_b32_e32 v74, v75, v74, vcc
	v_mul_f32_e32 v88, v74, v88
	v_pk_mul_f32 v[68:69], v[88:89], v[68:69] op_sel_hi:[0,1]
	v_bfe_u32 v74, v69, 16, 1
	v_bfe_u32 v75, v68, 16, 1
	v_pk_mul_f32 v[80:81], v[88:89], v[80:81] op_sel_hi:[0,1]
	v_add3_u32 v68, v68, v75, s8
	v_add3_u32 v69, v69, v74, s8
	v_perm_b32 v90, v69, v68, s9
	v_bfe_u32 v68, v81, 16, 1
	v_bfe_u32 v69, v80, 16, 1
	v_add3_u32 v69, v80, v69, s8
	v_add3_u32 v68, v81, v68, s8
	v_perm_b32 v91, v68, v69, s9
	v_lshlrev_b32_e32 v69, 3, v1
	v_lshlrev_b32_e32 v68, 5, v84
	;; [unrolled: 1-line block ×3, first 2 shown]
	v_pk_mul_f32 v[70:71], v[88:89], v[70:71] op_sel_hi:[0,1]
	v_or3_b32 v80, v74, v68, v69
	v_bfe_u32 v69, v71, 16, 1
	v_bfe_u32 v74, v70, 16, 1
	v_pk_mul_f32 v[82:83], v[88:89], v[82:83] op_sel_hi:[0,1]
	v_add3_u32 v70, v70, v74, s8
	v_add3_u32 v69, v71, v69, s8
	v_perm_b32 v70, v69, v70, s9
	v_bfe_u32 v69, v83, 16, 1
	v_bfe_u32 v71, v82, 16, 1
	v_add3_u32 v71, v82, v71, s8
	v_add3_u32 v69, v83, v69, s8
	v_pk_mul_f32 v[72:73], v[88:89], v[72:73] op_sel_hi:[0,1]
	v_perm_b32 v71, v69, v71, s9
	v_bfe_u32 v69, v73, 16, 1
	v_bfe_u32 v74, v72, 16, 1
	ds_write2st64_b64 v80, v[90:91], v[70:71] offset1:1
	v_pk_mul_f32 v[70:71], v[88:89], v[78:79] op_sel_hi:[0,1]
	v_add3_u32 v72, v72, v74, s8
	v_add3_u32 v69, v73, v69, s8
	v_perm_b32 v72, v69, v72, s9
	v_bfe_u32 v69, v71, 16, 1
	v_bfe_u32 v73, v70, 16, 1
	v_add3_u32 v70, v70, v73, s8
	v_add3_u32 v69, v71, v69, s8
	v_perm_b32 v73, v69, v70, s9
	v_pk_mul_f32 v[70:71], v[88:89], v[76:77] op_sel_hi:[0,1]
	v_bfe_u32 v69, v71, 16, 1
	v_bfe_u32 v74, v70, 16, 1
	v_pk_mul_f32 v[66:67], v[88:89], v[66:67] op_sel_hi:[0,1]
	v_add3_u32 v70, v70, v74, s8
	v_add3_u32 v69, v71, v69, s8
	v_perm_b32 v70, v69, v70, s9
	v_bfe_u32 v69, v67, 16, 1
	v_bfe_u32 v71, v66, 16, 1
	v_add3_u32 v66, v66, v71, s8
	v_add3_u32 v67, v67, v69, s8
	s_mul_i32 s3, s40, 6
	v_perm_b32 v71, v67, v66, s9
	v_cmp_gt_u32_e32 vcc, 6, v0
	ds_write2st64_b64 v80, v[72:73], v[70:71] offset0:2 offset1:3
	s_and_saveexec_b64 s[0:1], vcc
	s_cbranch_execz .LBB369_17
; %bb.16:
	v_add_co_u32_e32 v70, vcc, s27, v84
	v_addc_co_u32_e64 v71, s[10:11], 0, 0, vcc
	v_mov_b32_e32 v66, s3
	v_mov_b32_e32 v67, 0
	v_mad_u64_u32 v[70:71], s[10:11], s6, v66, v[70:71]
	v_mov_b32_e32 v66, s26
	s_load_dwordx4 s[12:15], s[4:5], 0x58
	s_mul_i32 s7, s7, s3
	v_mad_u64_u32 v[66:67], s[10:11], v70, s2, v[66:67]
	v_add_u32_e32 v69, s7, v71
	v_mov_b32_e32 v70, v67
	v_mad_u64_u32 v[70:71], s[10:11], v69, s2, v[70:71]
	v_mov_b32_e32 v67, v70
	v_lshlrev_b64 v[66:67], 2, v[66:67]
	s_waitcnt lgkmcnt(0)
	v_mov_b32_e32 v69, s15
	v_add_co_u32_e32 v70, vcc, s14, v66
	v_addc_co_u32_e32 v71, vcc, v69, v67, vcc
	v_mov_b32_e32 v69, s13
	v_add_co_u32_e32 v66, vcc, s12, v66
	v_addc_co_u32_e32 v67, vcc, v69, v67, vcc
	global_store_dword v[70:71], v86, off
	global_store_dword v[66:67], v87, off
.LBB369_17:
	s_or_b64 exec, exec, s[0:1]
	v_lshl_or_b32 v74, v1, 9, v68
	s_waitcnt lgkmcnt(0)
	s_barrier
	ds_read_b128 v[70:73], v74
	ds_read_b128 v[66:69], v74 offset:16
	s_waitcnt vmcnt(15) lgkmcnt(1)
	v_mfma_f32_16x16x16bf16_1k v[76:79], v[46:47], v[70:71], 0
	s_mov_b32 s1, 0
	v_cmp_gt_u32_e32 vcc, 64, v0
	v_mfma_f32_16x16x16bf16_1k v[46:49], v[48:49], v[72:73], v[76:79]
	s_waitcnt vmcnt(14) lgkmcnt(0)
	v_mfma_f32_16x16x16bf16_1k v[46:49], v[42:43], v[66:67], v[46:49]
	v_mfma_f32_16x16x16bf16_1k v[42:45], v[44:45], v[68:69], v[46:49]
	s_nop 7
	s_nop 1
	ds_read_b128 v[46:49], v74 offset:2048
	ds_read_b128 v[76:79], v74 offset:2064
	s_waitcnt vmcnt(13) lgkmcnt(1)
	v_mfma_f32_16x16x16bf16_1k v[42:45], v[38:39], v[46:47], v[42:45]
	v_mfma_f32_16x16x16bf16_1k v[38:41], v[40:41], v[48:49], v[42:45]
	s_waitcnt vmcnt(12) lgkmcnt(0)
	v_mfma_f32_16x16x16bf16_1k v[38:41], v[34:35], v[76:77], v[38:41]
	v_mfma_f32_16x16x16bf16_1k v[34:37], v[36:37], v[78:79], v[38:41]
	s_nop 7
	s_nop 1
	ds_read_b128 v[38:41], v74 offset:4096
	ds_read_b128 v[42:45], v74 offset:4112
	s_waitcnt vmcnt(11) lgkmcnt(1)
	v_mfma_f32_16x16x16bf16_1k v[34:37], v[30:31], v[38:39], v[34:37]
	v_mfma_f32_16x16x16bf16_1k v[30:33], v[32:33], v[40:41], v[34:37]
	s_waitcnt vmcnt(10) lgkmcnt(0)
	v_mfma_f32_16x16x16bf16_1k v[30:33], v[26:27], v[42:43], v[30:33]
	v_mfma_f32_16x16x16bf16_1k v[26:29], v[28:29], v[44:45], v[30:33]
	s_nop 7
	s_nop 1
	ds_read_b128 v[30:33], v74 offset:6144
	ds_read_b128 v[34:37], v74 offset:6160
	s_waitcnt lgkmcnt(0)
	s_barrier
	s_waitcnt vmcnt(9)
	v_mfma_f32_16x16x16bf16_1k v[26:29], v[22:23], v[30:31], v[26:29]
	v_mfma_f32_16x16x16bf16_1k v[22:25], v[24:25], v[32:33], v[26:29]
	s_waitcnt vmcnt(8)
	v_mfma_f32_16x16x16bf16_1k v[22:25], v[18:19], v[34:35], v[22:25]
	v_mfma_f32_16x16x16bf16_1k v[18:21], v[20:21], v[36:37], v[22:25]
	;; [unrolled: 3-line block ×4, first 2 shown]
	s_waitcnt vmcnt(5)
	v_mfma_f32_16x16x16bf16_1k v[2:5], v[14:15], v[46:47], v[2:5]
	s_nop 7
	v_bfe_u32 v6, v19, 16, 1
	v_bfe_u32 v7, v18, 16, 1
	v_add3_u32 v7, v18, v7, s8
	v_add3_u32 v6, v19, v6, s8
	v_perm_b32 v6, v6, v7, s9
	v_bfe_u32 v7, v21, 16, 1
	v_bfe_u32 v8, v20, 16, 1
	v_mfma_f32_16x16x16bf16_1k v[2:5], v[16:17], v[48:49], v[2:5]
	v_add3_u32 v8, v20, v8, s8
	v_add3_u32 v7, v21, v7, s8
	v_perm_b32 v7, v7, v8, s9
	s_waitcnt vmcnt(4)
	v_mfma_f32_16x16x16bf16_1k v[2:5], v[10:11], v[76:77], v[2:5]
	v_mfma_f32_16x16x16bf16_1k v[2:5], v[12:13], v[78:79], v[2:5]
	s_waitcnt vmcnt(3)
	v_mfma_f32_16x16x16bf16_1k v[2:5], v[54:55], v[38:39], v[2:5]
	v_mfma_f32_16x16x16bf16_1k v[2:5], v[56:57], v[40:41], v[2:5]
	s_waitcnt vmcnt(2)
	v_mfma_f32_16x16x16bf16_1k v[2:5], v[50:51], v[42:43], v[2:5]
	v_mfma_f32_16x16x16bf16_1k v[2:5], v[52:53], v[44:45], v[2:5]
	s_waitcnt vmcnt(1)
	v_mfma_f32_16x16x16bf16_1k v[2:5], v[62:63], v[30:31], v[2:5]
	v_mfma_f32_16x16x16bf16_1k v[2:5], v[64:65], v[32:33], v[2:5]
	s_waitcnt vmcnt(0)
	v_mfma_f32_16x16x16bf16_1k v[2:5], v[58:59], v[34:35], v[2:5]
	v_mfma_f32_16x16x16bf16_1k v[2:5], v[60:61], v[36:37], v[2:5]
	s_nop 7
	s_nop 2
	v_bfe_u32 v8, v3, 16, 1
	v_bfe_u32 v9, v2, 16, 1
	v_add3_u32 v2, v2, v9, s8
	v_add3_u32 v3, v3, v8, s8
	v_perm_b32 v2, v3, v2, s9
	v_bfe_u32 v3, v5, 16, 1
	v_bfe_u32 v8, v4, 16, 1
	v_add3_u32 v4, v4, v8, s8
	v_add3_u32 v3, v5, v3, s8
	v_perm_b32 v3, v3, v4, s9
	ds_write2st64_b64 v80, v[6:7], v[2:3] offset1:1
	s_waitcnt lgkmcnt(0)
	s_barrier
	s_and_saveexec_b64 s[8:9], vcc
	s_cbranch_execz .LBB369_20
; %bb.18:
	buffer_load_dword v6, off, s[44:47], 0  ; 4-byte Folded Reload
	buffer_load_dword v7, off, s[44:47], 0 offset:4 ; 4-byte Folded Reload
	s_load_dwordx2 s[4:5], s[4:5], 0x68
	s_lshl_b32 s2, s2, 7
	s_mul_i32 s0, s3, s6
	s_mul_hi_u32 s7, s0, s2
	s_mul_i32 s6, s0, s2
	s_lshl_b64 s[6:7], s[6:7], 1
	s_waitcnt lgkmcnt(0)
	s_add_u32 s3, s4, s6
	s_addc_u32 s4, s5, s7
	s_lshl_b32 s0, s26, 7
	v_lshlrev_b32_e32 v5, 6, v84
	s_lshl_b64 s[0:1], s[0:1], 1
	v_lshlrev_b32_e32 v4, 4, v0
	v_lshl_or_b32 v0, v0, 10, v5
	s_add_u32 s0, s3, s0
	v_lshlrev_b32_e32 v3, 5, v1
	v_and_b32_e32 v4, 16, v4
	v_and_b32_e32 v0, 0x1a00, v0
	s_addc_u32 s1, s4, s1
	v_or_b32_e32 v2, 4, v1
	v_or3_b32 v0, v0, v3, v4
	v_mov_b32_e32 v4, s1
	v_add_u32_e32 v1, s27, v1
	s_waitcnt vmcnt(1)
	v_add_co_u32_e32 v3, vcc, s0, v6
	s_waitcnt vmcnt(0)
	v_addc_co_u32_e32 v4, vcc, v4, v7, vcc
	ds_read_b128 v[6:9], v0
	v_mad_u64_u32 v[10:11], s[0:1], v1, s2, 0
	v_lshlrev_b64 v[10:11], 1, v[10:11]
	v_add_co_u32_e32 v10, vcc, v3, v10
	v_addc_co_u32_e32 v11, vcc, v4, v11, vcc
	v_cmp_gt_u32_e32 vcc, 6, v2
	s_waitcnt lgkmcnt(0)
	global_store_dwordx4 v[10:11], v[6:9], off
	s_and_b64 exec, exec, vcc
	s_cbranch_execz .LBB369_20
; %bb.19:
	ds_read_b128 v[6:9], v0 offset:128
	v_add_u32_e32 v0, s27, v2
	v_mad_u64_u32 v[0:1], s[0:1], v0, s2, 0
	v_lshlrev_b64 v[0:1], 1, v[0:1]
	v_add_co_u32_e32 v0, vcc, v3, v0
	v_addc_co_u32_e32 v1, vcc, v4, v1, vcc
	s_waitcnt lgkmcnt(0)
	global_store_dwordx4 v[0:1], v[6:9], off
.LBB369_20:
	s_endpgm
	.section	.rodata,"a",@progbits
	.p2align	6, 0x0
	.amdhsa_kernel _Z39paged_attention_ll4mi_QKV_mfma16_kernelI14__hip_bfloat16S0_LN4vllm18Fp8KVCacheDataTypeE0ES0_Li32ELi128ELi256ELb0ELi6EL8MFMAType0EEvPKT_PKT0_S9_ifPKiSB_SB_iPKfiiiPfSE_PS4_PT2_iSD_SD_
		.amdhsa_group_segment_fixed_size 8192
		.amdhsa_private_segment_fixed_size 12
		.amdhsa_kernarg_size 400
		.amdhsa_user_sgpr_count 6
		.amdhsa_user_sgpr_private_segment_buffer 1
		.amdhsa_user_sgpr_dispatch_ptr 0
		.amdhsa_user_sgpr_queue_ptr 0
		.amdhsa_user_sgpr_kernarg_segment_ptr 1
		.amdhsa_user_sgpr_dispatch_id 0
		.amdhsa_user_sgpr_flat_scratch_init 0
		.amdhsa_user_sgpr_kernarg_preload_length 0
		.amdhsa_user_sgpr_kernarg_preload_offset 0
		.amdhsa_user_sgpr_private_segment_size 0
		.amdhsa_uses_dynamic_stack 0
		.amdhsa_system_sgpr_private_segment_wavefront_offset 1
		.amdhsa_system_sgpr_workgroup_id_x 1
		.amdhsa_system_sgpr_workgroup_id_y 1
		.amdhsa_system_sgpr_workgroup_id_z 1
		.amdhsa_system_sgpr_workgroup_info 0
		.amdhsa_system_vgpr_workitem_id 0
		.amdhsa_next_free_vgpr 96
		.amdhsa_next_free_sgpr 48
		.amdhsa_accum_offset 96
		.amdhsa_reserve_vcc 1
		.amdhsa_reserve_flat_scratch 0
		.amdhsa_float_round_mode_32 0
		.amdhsa_float_round_mode_16_64 0
		.amdhsa_float_denorm_mode_32 3
		.amdhsa_float_denorm_mode_16_64 3
		.amdhsa_dx10_clamp 1
		.amdhsa_ieee_mode 1
		.amdhsa_fp16_overflow 0
		.amdhsa_tg_split 0
		.amdhsa_exception_fp_ieee_invalid_op 0
		.amdhsa_exception_fp_denorm_src 0
		.amdhsa_exception_fp_ieee_div_zero 0
		.amdhsa_exception_fp_ieee_overflow 0
		.amdhsa_exception_fp_ieee_underflow 0
		.amdhsa_exception_fp_ieee_inexact 0
		.amdhsa_exception_int_div_zero 0
	.end_amdhsa_kernel
	.section	.text._Z39paged_attention_ll4mi_QKV_mfma16_kernelI14__hip_bfloat16S0_LN4vllm18Fp8KVCacheDataTypeE0ES0_Li32ELi128ELi256ELb0ELi6EL8MFMAType0EEvPKT_PKT0_S9_ifPKiSB_SB_iPKfiiiPfSE_PS4_PT2_iSD_SD_,"axG",@progbits,_Z39paged_attention_ll4mi_QKV_mfma16_kernelI14__hip_bfloat16S0_LN4vllm18Fp8KVCacheDataTypeE0ES0_Li32ELi128ELi256ELb0ELi6EL8MFMAType0EEvPKT_PKT0_S9_ifPKiSB_SB_iPKfiiiPfSE_PS4_PT2_iSD_SD_,comdat
.Lfunc_end369:
	.size	_Z39paged_attention_ll4mi_QKV_mfma16_kernelI14__hip_bfloat16S0_LN4vllm18Fp8KVCacheDataTypeE0ES0_Li32ELi128ELi256ELb0ELi6EL8MFMAType0EEvPKT_PKT0_S9_ifPKiSB_SB_iPKfiiiPfSE_PS4_PT2_iSD_SD_, .Lfunc_end369-_Z39paged_attention_ll4mi_QKV_mfma16_kernelI14__hip_bfloat16S0_LN4vllm18Fp8KVCacheDataTypeE0ES0_Li32ELi128ELi256ELb0ELi6EL8MFMAType0EEvPKT_PKT0_S9_ifPKiSB_SB_iPKfiiiPfSE_PS4_PT2_iSD_SD_
                                        ; -- End function
	.section	.AMDGPU.csdata,"",@progbits
; Kernel info:
; codeLenInByte = 5088
; NumSgprs: 52
; NumVgprs: 96
; NumAgprs: 0
; TotalNumVgprs: 96
; ScratchSize: 12
; MemoryBound: 0
; FloatMode: 240
; IeeeMode: 1
; LDSByteSize: 8192 bytes/workgroup (compile time only)
; SGPRBlocks: 6
; VGPRBlocks: 11
; NumSGPRsForWavesPerEU: 52
; NumVGPRsForWavesPerEU: 96
; AccumOffset: 96
; Occupancy: 5
; WaveLimiterHint : 1
; COMPUTE_PGM_RSRC2:SCRATCH_EN: 1
; COMPUTE_PGM_RSRC2:USER_SGPR: 6
; COMPUTE_PGM_RSRC2:TRAP_HANDLER: 0
; COMPUTE_PGM_RSRC2:TGID_X_EN: 1
; COMPUTE_PGM_RSRC2:TGID_Y_EN: 1
; COMPUTE_PGM_RSRC2:TGID_Z_EN: 1
; COMPUTE_PGM_RSRC2:TIDIG_COMP_CNT: 0
; COMPUTE_PGM_RSRC3_GFX90A:ACCUM_OFFSET: 23
; COMPUTE_PGM_RSRC3_GFX90A:TG_SPLIT: 0
	.section	.text._Z39paged_attention_ll4mi_QKV_mfma16_kernelI14__hip_bfloat16S0_LN4vllm18Fp8KVCacheDataTypeE0ES0_Li32ELi128ELi256ELb0ELi7EL8MFMAType0EEvPKT_PKT0_S9_ifPKiSB_SB_iPKfiiiPfSE_PS4_PT2_iSD_SD_,"axG",@progbits,_Z39paged_attention_ll4mi_QKV_mfma16_kernelI14__hip_bfloat16S0_LN4vllm18Fp8KVCacheDataTypeE0ES0_Li32ELi128ELi256ELb0ELi7EL8MFMAType0EEvPKT_PKT0_S9_ifPKiSB_SB_iPKfiiiPfSE_PS4_PT2_iSD_SD_,comdat
	.protected	_Z39paged_attention_ll4mi_QKV_mfma16_kernelI14__hip_bfloat16S0_LN4vllm18Fp8KVCacheDataTypeE0ES0_Li32ELi128ELi256ELb0ELi7EL8MFMAType0EEvPKT_PKT0_S9_ifPKiSB_SB_iPKfiiiPfSE_PS4_PT2_iSD_SD_ ; -- Begin function _Z39paged_attention_ll4mi_QKV_mfma16_kernelI14__hip_bfloat16S0_LN4vllm18Fp8KVCacheDataTypeE0ES0_Li32ELi128ELi256ELb0ELi7EL8MFMAType0EEvPKT_PKT0_S9_ifPKiSB_SB_iPKfiiiPfSE_PS4_PT2_iSD_SD_
	.globl	_Z39paged_attention_ll4mi_QKV_mfma16_kernelI14__hip_bfloat16S0_LN4vllm18Fp8KVCacheDataTypeE0ES0_Li32ELi128ELi256ELb0ELi7EL8MFMAType0EEvPKT_PKT0_S9_ifPKiSB_SB_iPKfiiiPfSE_PS4_PT2_iSD_SD_
	.p2align	8
	.type	_Z39paged_attention_ll4mi_QKV_mfma16_kernelI14__hip_bfloat16S0_LN4vllm18Fp8KVCacheDataTypeE0ES0_Li32ELi128ELi256ELb0ELi7EL8MFMAType0EEvPKT_PKT0_S9_ifPKiSB_SB_iPKfiiiPfSE_PS4_PT2_iSD_SD_,@function
_Z39paged_attention_ll4mi_QKV_mfma16_kernelI14__hip_bfloat16S0_LN4vllm18Fp8KVCacheDataTypeE0ES0_Li32ELi128ELi256ELb0ELi7EL8MFMAType0EEvPKT_PKT0_S9_ifPKiSB_SB_iPKfiiiPfSE_PS4_PT2_iSD_SD_: ; @_Z39paged_attention_ll4mi_QKV_mfma16_kernelI14__hip_bfloat16S0_LN4vllm18Fp8KVCacheDataTypeE0ES0_Li32ELi128ELi256ELb0ELi7EL8MFMAType0EEvPKT_PKT0_S9_ifPKiSB_SB_iPKfiiiPfSE_PS4_PT2_iSD_SD_
; %bb.0:
	s_mov_b64 s[46:47], s[2:3]
	s_mov_b64 s[44:45], s[0:1]
	s_load_dwordx2 s[0:1], s[4:5], 0x30
	s_add_u32 s44, s44, s9
	s_addc_u32 s45, s45, 0
	s_mov_b32 s26, s7
	s_mov_b64 s[10:11], 0
	s_waitcnt lgkmcnt(0)
	s_cmp_lg_u64 s[0:1], 0
	s_cselect_b64 s[2:3], -1, 0
	s_and_b64 vcc, exec, s[2:3]
	s_cbranch_vccz .LBB370_7
; %bb.1:
	s_add_i32 s12, s6, 1
	s_mov_b32 s13, 0
	s_lshl_b64 s[14:15], s[12:13], 2
	s_add_u32 s14, s0, s14
	s_mov_b32 s7, s13
	s_addc_u32 s15, s1, s15
	s_lshl_b64 s[12:13], s[6:7], 2
	s_add_u32 s12, s0, s12
	s_addc_u32 s13, s1, s13
	s_load_dword s9, s[14:15], 0x0
	s_load_dword s16, s[12:13], 0x0
	s_waitcnt lgkmcnt(0)
	s_sub_i32 s9, s9, s16
	s_cmp_eq_u32 s9, 1
	s_cselect_b64 s[12:13], -1, 0
	s_andn2_b64 vcc, exec, s[10:11]
	s_cbranch_vccnz .LBB370_3
.LBB370_2:
	s_mov_b32 s7, 0
	s_mov_b64 s[12:13], -1
.LBB370_3:
	s_andn2_b64 vcc, exec, s[12:13]
	s_cbranch_vccnz .LBB370_20
; %bb.4:
	s_load_dwordx2 s[12:13], s[4:5], 0x28
	s_lshl_b64 s[10:11], s[6:7], 2
	s_waitcnt lgkmcnt(0)
	s_add_u32 s12, s12, s10
	s_addc_u32 s13, s13, s11
	s_load_dword s33, s[12:13], 0x0
	s_lshl_b32 s9, s26, 8
	s_waitcnt lgkmcnt(0)
	s_cmp_ge_i32 s9, s33
	s_cbranch_scc1 .LBB370_20
; %bb.5:
	s_add_i32 s15, s33, 31
	s_load_dwordx2 s[12:13], s[4:5], 0x20
	s_load_dword s14, s[4:5], 0x38
	s_ashr_i32 s16, s15, 31
	v_and_b32_e32 v1, 0xcf, v0
	s_lshr_b32 s16, s16, 27
	v_add_u32_e32 v1, s9, v1
	s_add_i32 s15, s15, s16
	v_ashrrev_i32_e32 v2, 31, v1
	s_ashr_i32 s18, s15, 5
	v_lshrrev_b32_e32 v10, 27, v2
	s_add_i32 s18, s18, -1
	v_add_u32_e32 v2, v1, v10
	s_waitcnt lgkmcnt(0)
	s_mul_i32 s14, s6, s14
	s_mov_b32 s15, 0
	v_ashrrev_i32_e32 v2, 5, v2
	v_mov_b32_e32 v11, s18
	v_cmp_gt_i32_e32 vcc, s33, v1
	s_lshl_b64 s[14:15], s[14:15], 2
	v_cndmask_b32_e32 v2, v11, v2, vcc
	s_add_u32 s16, s12, s14
	v_ashrrev_i32_e32 v3, 31, v2
	s_addc_u32 s17, s13, s15
	v_lshlrev_b64 v[2:3], 2, v[2:3]
	v_mov_b32_e32 v4, s17
	v_add_co_u32_e32 v2, vcc, s16, v2
	v_addc_co_u32_e32 v3, vcc, v4, v3, vcc
	v_or_b32_e32 v4, 16, v1
	v_add_u32_e32 v5, v4, v10
	v_ashrrev_i32_e32 v5, 5, v5
	v_cmp_gt_i32_e32 vcc, s33, v4
	v_cndmask_b32_e32 v4, v11, v5, vcc
	v_ashrrev_i32_e32 v5, 31, v4
	v_lshlrev_b64 v[4:5], 2, v[4:5]
	v_mov_b32_e32 v7, s17
	v_add_co_u32_e32 v6, vcc, s16, v4
	v_or_b32_e32 v4, 32, v1
	v_addc_co_u32_e32 v7, vcc, v7, v5, vcc
	v_add_u32_e32 v5, v4, v10
	v_ashrrev_i32_e32 v5, 5, v5
	v_cmp_gt_i32_e32 vcc, s33, v4
	v_cndmask_b32_e32 v4, v11, v5, vcc
	v_ashrrev_i32_e32 v5, 31, v4
	v_lshlrev_b64 v[4:5], 2, v[4:5]
	v_mov_b32_e32 v9, s17
	v_add_co_u32_e32 v8, vcc, s16, v4
	v_or_b32_e32 v1, 48, v1
	v_addc_co_u32_e32 v9, vcc, v9, v5, vcc
	v_add_u32_e32 v4, v1, v10
	v_ashrrev_i32_e32 v4, 5, v4
	v_cmp_gt_i32_e32 vcc, s33, v1
	v_cndmask_b32_e32 v4, v11, v4, vcc
	v_ashrrev_i32_e32 v5, 31, v4
	v_lshlrev_b64 v[4:5], 2, v[4:5]
	v_mov_b32_e32 v1, s17
	v_add_co_u32_e32 v10, vcc, s16, v4
	v_addc_co_u32_e32 v11, vcc, v1, v5, vcc
	global_load_dword v5, v[2:3], off
	global_load_dword v4, v[6:7], off
	;; [unrolled: 1-line block ×4, first 2 shown]
	s_andn2_b64 vcc, exec, s[2:3]
	s_cbranch_vccnz .LBB370_8
; %bb.6:
	s_add_u32 s0, s0, s10
	s_addc_u32 s1, s1, s11
	s_load_dword s19, s[0:1], 0x0
	s_branch .LBB370_9
.LBB370_7:
	s_mov_b64 s[12:13], 0
	s_branch .LBB370_2
.LBB370_8:
	s_mov_b32 s19, s6
.LBB370_9:
	s_load_dwordx4 s[12:15], s[4:5], 0x8
	s_load_dwordx4 s[0:3], s[4:5], 0x48
	v_lshrrev_b32_e32 v85, 6, v0
	v_bfe_u32 v1, v0, 4, 2
	v_lshl_or_b32 v6, v85, 2, v1
	v_and_b32_e32 v84, 15, v0
	v_lshlrev_b32_e32 v2, 3, v84
	v_cmp_lt_u32_e32 vcc, 6, v6
	s_and_saveexec_b64 s[10:11], vcc
	s_xor_b64 s[10:11], exec, s[10:11]
; %bb.10:
	v_mov_b32_e32 v3, 0
                                        ; implicit-def: $vgpr6
; %bb.11:
	s_or_saveexec_b64 s[10:11], s[10:11]
	s_mul_i32 s27, s8, 7
	s_xor_b64 exec, exec, s[10:11]
	s_cbranch_execz .LBB370_13
; %bb.12:
	s_load_dwordx2 s[20:21], s[4:5], 0x0
	s_waitcnt lgkmcnt(0)
	s_ashr_i32 s3, s0, 31
	s_mul_hi_u32 s22, s19, s0
	s_mul_i32 s3, s19, s3
	s_add_i32 s23, s22, s3
	s_mul_i32 s22, s19, s0
	s_lshl_b64 s[22:23], s[22:23], 1
	v_add_lshl_u32 v8, v6, s27, 7
	s_add_u32 s0, s20, s22
	v_ashrrev_i32_e32 v9, 31, v8
	s_addc_u32 s3, s21, s23
	v_lshlrev_b64 v[8:9], 1, v[8:9]
	v_mov_b32_e32 v3, s3
	v_add_co_u32_e32 v7, vcc, s0, v8
	v_addc_co_u32_e32 v3, vcc, v3, v9, vcc
	v_lshlrev_b32_e32 v8, 1, v2
	v_add_co_u32_e32 v8, vcc, v7, v8
	v_addc_co_u32_e32 v9, vcc, 0, v3, vcc
	global_load_dwordx4 v[8:11], v[8:9], off
	v_and_b32_e32 v7, 3, v0
	v_lshlrev_b32_e32 v12, 9, v84
	v_lshlrev_b32_e32 v6, 5, v6
	;; [unrolled: 1-line block ×3, first 2 shown]
	v_and_b32_e32 v12, 0x1800, v12
	v_mov_b32_e32 v3, 0
	v_or3_b32 v6, v12, v7, v6
	s_waitcnt vmcnt(0)
	ds_write_b128 v6, v[8:11]
.LBB370_13:
	s_or_b64 exec, exec, s[10:11]
	s_waitcnt lgkmcnt(0)
	s_mul_i32 s2, s8, s2
	s_mov_b32 s3, 0
	s_lshl_b64 s[2:3], s[2:3], 1
	s_add_u32 s8, s12, s2
	s_addc_u32 s10, s13, s3
	s_waitcnt vmcnt(3)
	v_mad_i64_i32 v[6:7], s[12:13], v5, s1, 0
	v_lshlrev_b64 v[6:7], 1, v[6:7]
	v_mov_b32_e32 v5, s10
	v_add_co_u32_e32 v6, vcc, s8, v6
	v_addc_co_u32_e32 v5, vcc, v5, v7, vcc
	v_lshlrev_b64 v[50:51], 1, v[2:3]
	v_add_co_u32_e32 v27, vcc, v6, v50
	v_lshlrev_b32_e32 v26, 9, v1
	v_addc_co_u32_e32 v28, vcc, v5, v51, vcc
	v_add_co_u32_e32 v2, vcc, v27, v26
	s_waitcnt vmcnt(2)
	v_mad_i64_i32 v[4:5], s[12:13], v4, s1, 0
	v_addc_co_u32_e32 v3, vcc, 0, v28, vcc
	v_lshlrev_b64 v[4:5], 1, v[4:5]
	v_mov_b32_e32 v6, s10
	v_add_co_u32_e32 v4, vcc, s8, v4
	s_load_dword s40, s[4:5], 0x98
	s_load_dword s0, s[4:5], 0x1c
	s_waitcnt lgkmcnt(0)
	s_barrier
	global_load_dwordx4 v[10:13], v[2:3], off
	global_load_dwordx4 v[14:17], v[2:3], off offset:2048
	v_addc_co_u32_e32 v5, vcc, v6, v5, vcc
	v_mov_b32_e32 v6, 0x100
	v_lshl_or_b32 v29, v84, 4, v6
	v_add_co_u32_e32 v31, vcc, v4, v29
	v_addc_co_u32_e32 v32, vcc, 0, v5, vcc
	v_add_co_u32_e32 v22, vcc, v31, v26
	v_addc_co_u32_e32 v23, vcc, 0, v32, vcc
	global_load_dwordx4 v[18:21], v[22:23], off
	v_mul_lo_u16_e32 v4, 37, v84
	v_mov_b32_e32 v2, 7
	v_mul_lo_u16_sdwa v2, v4, v2 dst_sel:DWORD dst_unused:UNUSED_PAD src0_sel:BYTE_1 src1_sel:DWORD
	v_sub_u16_e32 v2, v84, v2
	v_and_b32_e32 v2, 0xff, v2
	v_lshl_add_u32 v30, v2, 5, v26
	ds_read_b128 v[6:9], v30
	ds_read_b128 v[2:5], v30 offset:2048
	v_or_b32_e32 v54, 0x1000, v26
	global_load_dwordx4 v[38:41], v[22:23], off offset:2048
	v_or_b32_e32 v70, 0x1800, v26
	s_ashr_i32 s11, s9, 31
	v_and_or_b32 v66, v0, 48, s9
	v_lshl_or_b32 v87, v85, 4, v84
	v_lshlrev_b32_e32 v83, 6, v87
	s_mov_b32 s41, 0xff7fffff
	s_waitcnt vmcnt(3) lgkmcnt(1)
	v_mfma_f32_16x16x16bf16_1k v[34:37], v[10:11], v[6:7], 0
	s_waitcnt vmcnt(1)
	v_mfma_f32_16x16x16bf16_1k v[42:45], v[18:19], v[6:7], 0
	v_add_co_u32_e32 v18, vcc, v27, v54
	v_addc_co_u32_e32 v19, vcc, 0, v28, vcc
	v_mfma_f32_16x16x16bf16_1k v[10:13], v[12:13], v[8:9], v[34:37]
	s_nop 6
	global_load_dwordx4 v[34:37], v[18:19], off
	v_add_co_u32_e32 v22, vcc, v31, v54
	v_addc_co_u32_e32 v23, vcc, 0, v32, vcc
	v_mfma_f32_16x16x16bf16_1k v[18:21], v[20:21], v[8:9], v[42:45]
	s_nop 6
	global_load_dwordx4 v[42:45], v[22:23], off
	v_add_co_u32_e32 v22, vcc, v27, v70
	v_addc_co_u32_e32 v23, vcc, 0, v28, vcc
	s_waitcnt lgkmcnt(0)
	v_mfma_f32_16x16x16bf16_1k v[10:13], v[14:15], v[2:3], v[10:13]
	global_load_dwordx4 v[46:49], v[22:23], off
	v_mad_i64_i32 v[14:15], s[12:13], v25, s1, 0
	v_add_co_u32_e32 v22, vcc, v31, v70
	v_lshlrev_b64 v[14:15], 1, v[14:15]
	v_addc_co_u32_e32 v23, vcc, 0, v32, vcc
	global_load_dwordx4 v[58:61], v[22:23], off
	v_mov_b32_e32 v22, s10
	v_add_co_u32_e32 v23, vcc, s8, v14
	v_addc_co_u32_e32 v22, vcc, v22, v15, vcc
	v_add_co_u32_e32 v27, vcc, v23, v50
	buffer_store_dword v50, off, s[44:47], 0 ; 4-byte Folded Spill
	s_nop 0
	buffer_store_dword v51, off, s[44:47], 0 offset:4 ; 4-byte Folded Spill
	s_waitcnt vmcnt(6)
	v_mfma_f32_16x16x16bf16_1k v[18:21], v[38:39], v[2:3], v[18:21]
	v_addc_co_u32_e32 v28, vcc, v22, v51, vcc
	v_add_co_u32_e32 v22, vcc, v27, v26
	v_addc_co_u32_e32 v23, vcc, 0, v28, vcc
	v_mfma_f32_16x16x16bf16_1k v[18:21], v[40:41], v[4:5], v[18:21]
	global_load_dwordx4 v[38:41], v[22:23], off
	v_mfma_f32_16x16x16bf16_1k v[14:17], v[16:17], v[4:5], v[10:13]
	s_nop 6
	ds_read_b128 v[10:13], v30 offset:4096
	ds_read_b128 v[50:53], v30 offset:6144
	global_load_dwordx4 v[30:33], v[22:23], off offset:2048
	v_mad_i64_i32 v[22:23], s[12:13], v24, s1, 0
	s_waitcnt vmcnt(7) lgkmcnt(1)
	v_mfma_f32_16x16x16bf16_1k v[14:17], v[34:35], v[10:11], v[14:17]
	v_lshlrev_b64 v[34:35], 1, v[22:23]
	v_add_co_u32_e32 v22, vcc, v27, v54
	v_addc_co_u32_e32 v23, vcc, 0, v28, vcc
	global_load_dwordx4 v[22:25], v[22:23], off
	v_add_co_u32_e32 v34, vcc, s8, v34
	s_waitcnt vmcnt(7)
	v_mfma_f32_16x16x16bf16_1k v[18:21], v[42:43], v[10:11], v[18:21]
	v_mov_b32_e32 v42, s10
	v_addc_co_u32_e32 v35, vcc, v42, v35, vcc
	v_add_co_u32_e32 v71, vcc, v34, v29
	v_addc_co_u32_e32 v72, vcc, 0, v35, vcc
	v_mfma_f32_16x16x16bf16_1k v[14:17], v[36:37], v[12:13], v[14:17]
	v_add_co_u32_e32 v34, vcc, v27, v70
	v_addc_co_u32_e32 v35, vcc, 0, v28, vcc
	v_add_co_u32_e32 v42, vcc, v71, v26
	v_addc_co_u32_e32 v43, vcc, 0, v72, vcc
	v_mfma_f32_16x16x16bf16_1k v[18:21], v[44:45], v[12:13], v[18:21]
	s_lshr_b32 s10, s11, 27
	v_add_co_u32_e32 v44, vcc, v71, v54
	v_addc_co_u32_e32 v45, vcc, 0, v72, vcc
	v_cmp_gt_i32_e32 vcc, s33, v66
	s_add_u32 s2, s14, s2
	s_waitcnt vmcnt(6) lgkmcnt(0)
	v_mfma_f32_16x16x16bf16_1k v[26:29], v[46:47], v[50:51], v[14:17]
	global_load_dwordx4 v[34:37], v[34:35], off
	s_nop 0
	global_load_dwordx4 v[62:65], v[42:43], off
	s_nop 3
	global_load_dwordx4 v[14:17], v[42:43], off offset:2048
	v_mov_b32_e32 v42, s17
	s_addc_u32 s3, s15, s3
	v_mfma_f32_16x16x16bf16_1k v[54:57], v[48:49], v[52:53], v[26:29]
	s_nop 6
	v_add_u32_e32 v26, s10, v66
	s_waitcnt vmcnt(8)
	v_mfma_f32_16x16x16bf16_1k v[18:21], v[58:59], v[50:51], v[18:21]
	v_ashrrev_i32_e32 v26, 5, v26
	v_mov_b32_e32 v28, s18
	v_cndmask_b32_e32 v26, v28, v26, vcc
	v_ashrrev_i32_e32 v27, 31, v26
	v_lshlrev_b64 v[26:27], 2, v[26:27]
	v_mov_b32_e32 v29, s17
	v_add_co_u32_e32 v26, vcc, s16, v26
	v_addc_co_u32_e32 v27, vcc, v29, v27, vcc
	global_load_dword v29, v[26:27], off
	v_or_b32_e32 v26, 64, v66
	v_mfma_f32_16x16x16bf16_1k v[58:61], v[60:61], v[52:53], v[18:21]
	v_cmp_gt_i32_e32 vcc, s33, v26
	s_nop 5
	v_add_u32_e32 v18, s10, v26
	v_ashrrev_i32_e32 v18, 5, v18
	v_cndmask_b32_e32 v18, v28, v18, vcc
	v_ashrrev_i32_e32 v19, 31, v18
	v_lshlrev_b64 v[26:27], 2, v[18:19]
	s_waitcnt vmcnt(6)
	v_mfma_f32_16x16x16bf16_1k v[18:21], v[38:39], v[6:7], 0
	v_add_co_u32_e32 v26, vcc, s16, v26
	v_addc_co_u32_e32 v27, vcc, v42, v27, vcc
	global_load_dword v38, v[26:27], off
	v_or_b32_e32 v26, 0x80, v66
	v_add_u32_e32 v27, s10, v26
	v_mfma_f32_16x16x16bf16_1k v[18:21], v[40:41], v[8:9], v[18:21]
	v_ashrrev_i32_e32 v27, 5, v27
	v_cmp_gt_i32_e32 vcc, s33, v26
	v_cndmask_b32_e32 v26, v28, v27, vcc
	v_ashrrev_i32_e32 v27, 31, v26
	v_lshlrev_b64 v[26:27], 2, v[26:27]
	v_mov_b32_e32 v39, s17
	v_add_co_u32_e32 v26, vcc, s16, v26
	v_addc_co_u32_e32 v27, vcc, v39, v27, vcc
	s_waitcnt vmcnt(6)
	v_mfma_f32_16x16x16bf16_1k v[18:21], v[30:31], v[2:3], v[18:21]
	global_load_dword v30, v[26:27], off
	v_or_b32_e32 v26, 0xc0, v66
	global_load_dwordx4 v[66:69], v[44:45], off
	v_add_u32_e32 v27, s10, v26
	v_ashrrev_i32_e32 v27, 5, v27
	v_cmp_gt_i32_e32 vcc, s33, v26
	v_cndmask_b32_e32 v26, v28, v27, vcc
	v_mfma_f32_16x16x16bf16_1k v[18:21], v[32:33], v[4:5], v[18:21]
	v_ashrrev_i32_e32 v27, 31, v26
	v_lshlrev_b64 v[26:27], 2, v[26:27]
	v_mov_b32_e32 v28, s17
	v_add_co_u32_e32 v26, vcc, s16, v26
	v_addc_co_u32_e32 v27, vcc, v28, v27, vcc
	s_waitcnt vmcnt(7)
	v_mfma_f32_16x16x16bf16_1k v[18:21], v[22:23], v[10:11], v[18:21]
	v_add_co_u32_e32 v22, vcc, v71, v70
	v_addc_co_u32_e32 v23, vcc, 0, v72, vcc
	global_load_dwordx4 v[88:91], v[22:23], off
	global_load_dword v80, v[26:27], off
	v_and_b32_e32 v22, 16, v0
	v_mfma_f32_16x16x16bf16_1k v[18:21], v[24:25], v[12:13], v[18:21]
	v_lshlrev_b32_e32 v22, 1, v22
	v_mov_b32_e32 v23, s3
	v_add_co_u32_e32 v81, vcc, s2, v22
	v_addc_co_u32_e32 v82, vcc, 0, v23, vcc
	v_add_co_u32_e32 v22, vcc, v81, v83
	s_waitcnt vmcnt(8)
	v_mfma_f32_16x16x16bf16_1k v[18:21], v[34:35], v[50:51], v[18:21]
	v_addc_co_u32_e32 v23, vcc, 0, v82, vcc
	v_mfma_f32_16x16x16bf16_1k v[76:79], v[36:37], v[52:53], v[18:21]
	s_waitcnt vmcnt(5)
	s_nop 7
	v_mad_i64_i32 v[18:19], s[2:3], v29, s1, 0
	v_lshlrev_b64 v[70:71], 1, v[18:19]
	v_mfma_f32_16x16x16bf16_1k v[18:21], v[62:63], v[6:7], 0
	v_add_co_u32_e32 v6, vcc, v22, v70
	v_addc_co_u32_e32 v7, vcc, v23, v71, vcc
	global_load_dwordx4 v[46:49], v[6:7], off
	global_load_dwordx4 v[42:45], v[6:7], off offset:16
	v_pk_mul_f32 v[78:79], s[0:1], v[78:79] op_sel_hi:[0,1]
	s_waitcnt vmcnt(6)
	v_mad_i64_i32 v[6:7], s[2:3], v38, s1, 0
	v_lshlrev_b64 v[72:73], 1, v[6:7]
	v_mfma_f32_16x16x16bf16_1k v[6:9], v[64:65], v[8:9], v[18:21]
	v_mfma_f32_16x16x16bf16_1k v[6:9], v[14:15], v[2:3], v[6:9]
	s_nop 5
	v_add_co_u32_e32 v18, vcc, v22, v72
	v_addc_co_u32_e32 v19, vcc, v23, v73, vcc
	global_load_dwordx4 v[38:41], v[18:19], off
	global_load_dwordx4 v[34:37], v[18:19], off offset:16
	s_waitcnt vmcnt(7)
	v_mad_i64_i32 v[18:19], s[2:3], v30, s1, 0
	v_lshlrev_b64 v[64:65], 1, v[18:19]
	v_add_co_u32_e32 v2, vcc, v22, v64
	v_addc_co_u32_e32 v3, vcc, v23, v65, vcc
	global_load_dwordx4 v[30:33], v[2:3], off
	global_load_dwordx4 v[26:29], v[2:3], off offset:16
	v_mfma_f32_16x16x16bf16_1k v[2:5], v[16:17], v[4:5], v[6:9]
	s_waitcnt vmcnt(8)
	v_mfma_f32_16x16x16bf16_1k v[2:5], v[66:67], v[10:11], v[2:5]
	s_waitcnt vmcnt(6)
	s_nop 3
	v_mad_i64_i32 v[6:7], s[2:3], v80, s1, 0
	v_lshlrev_b64 v[62:63], 1, v[6:7]
	v_add_co_u32_e32 v6, vcc, v22, v62
	v_mfma_f32_16x16x16bf16_1k v[10:13], v[68:69], v[12:13], v[2:5]
	v_addc_co_u32_e32 v7, vcc, v23, v63, vcc
	global_load_dwordx4 v[22:25], v[6:7], off
	global_load_dwordx4 v[18:21], v[6:7], off offset:16
	v_or_b32_e32 v6, 0x1000, v83
	v_add_co_u32_e32 v86, vcc, v81, v6
	v_addc_co_u32_e32 v74, vcc, 0, v82, vcc
	v_mfma_f32_16x16x16bf16_1k v[92:95], v[88:89], v[50:51], v[10:13]
	v_add_co_u32_e32 v2, vcc, v86, v70
	v_addc_co_u32_e32 v3, vcc, v74, v71, vcc
	v_add_co_u32_e32 v66, vcc, v86, v72
	v_addc_co_u32_e32 v67, vcc, v74, v73, vcc
	v_mfma_f32_16x16x16bf16_1k v[50:53], v[90:91], v[52:53], v[92:95]
	v_pk_mul_f32 v[72:73], s[0:1], v[76:77] op_sel_hi:[0,1]
	global_load_dwordx4 v[6:9], v[2:3], off
	s_nop 0
	global_load_dwordx4 v[2:5], v[2:3], off offset:16
	s_nop 0
	global_load_dwordx4 v[14:17], v[66:67], off
	global_load_dwordx4 v[10:13], v[66:67], off offset:16
	v_pk_mul_f32 v[68:69], s[0:1], v[54:55] op_sel_hi:[0,1]
	v_pk_mul_f32 v[80:81], s[0:1], v[56:57] op_sel_hi:[0,1]
	v_pk_mul_f32 v[70:71], s[0:1], v[58:59] op_sel_hi:[0,1]
	v_pk_mul_f32 v[82:83], s[0:1], v[60:61] op_sel_hi:[0,1]
	v_pk_mul_f32 v[76:77], s[0:1], v[50:51] op_sel_hi:[0,1]
	v_and_b32_e32 v50, 0xc0, v0
	v_add_u32_e32 v50, s9, v50
	v_lshl_or_b32 v50, v1, 2, v50
	v_pk_mul_f32 v[66:67], s[0:1], v[52:53] op_sel_hi:[0,1]
	v_or_b32_e32 v53, 1, v50
	v_mov_b32_e32 v51, 0xff7fffff
	v_cmp_gt_i32_e64 s[28:29], s33, v50
	v_cmp_gt_i32_e64 s[30:31], s33, v53
	v_cndmask_b32_e64 v52, v51, v68, s[28:29]
	v_cndmask_b32_e64 v53, v51, v69, s[30:31]
	v_max3_f32 v52, v52, s41, v53
	v_or_b32_e32 v53, 2, v50
	v_or_b32_e32 v54, 3, v50
	v_cmp_gt_i32_e64 s[34:35], s33, v53
	v_cmp_gt_i32_e64 s[36:37], s33, v54
	v_cndmask_b32_e64 v53, v51, v80, s[34:35]
	v_cndmask_b32_e64 v54, v51, v81, s[36:37]
	v_max3_f32 v52, v52, v53, v54
	v_or_b32_e32 v53, 16, v50
	v_or_b32_e32 v54, 17, v50
	;; [unrolled: 7-line block ×7, first 2 shown]
	v_cmp_gt_i32_e32 vcc, s33, v53
	v_cmp_gt_i32_e64 s[0:1], s33, v50
	v_cndmask_b32_e32 v53, v51, v66, vcc
	v_cndmask_b32_e64 v50, v51, v67, s[0:1]
	v_max3_f32 v58, v52, v53, v50
	v_mbcnt_lo_u32_b32 v50, -1, 0
	v_mbcnt_hi_u32_b32 v59, -1, v50
	v_and_b32_e32 v50, 64, v59
	v_add_u32_e32 v60, 64, v50
	v_xor_b32_e32 v50, 32, v59
	v_cmp_lt_i32_e64 s[38:39], v50, v60
	v_cndmask_b32_e64 v50, v59, v50, s[38:39]
	v_lshlrev_b32_e32 v75, 2, v50
	ds_bpermute_b32 v61, v75, v58
	v_add_co_u32_e64 v50, s[38:39], v86, v64
	v_addc_co_u32_e64 v51, s[38:39], v74, v65, s[38:39]
	s_waitcnt lgkmcnt(0)
	v_max_f32_e32 v61, v61, v61
	v_max_f32_e32 v61, v58, v61
	v_xor_b32_e32 v58, 16, v59
	v_cmp_lt_i32_e64 s[38:39], v58, v60
	v_cndmask_b32_e64 v58, v59, v58, s[38:39]
	v_lshlrev_b32_e32 v90, 2, v58
	ds_bpermute_b32 v60, v90, v61
	v_add_co_u32_e64 v58, s[38:39], v86, v62
	v_addc_co_u32_e64 v59, s[38:39], v74, v63, s[38:39]
	s_waitcnt lgkmcnt(0)
	v_max_f32_e32 v60, v60, v60
	v_max_f32_e32 v88, v61, v60
	v_sub_f32_e32 v60, v68, v88
	v_mul_f32_e32 v60, 0x3fb8aa3b, v60
	v_exp_f32_e32 v68, v60
	v_sub_f32_e32 v60, v69, v88
	v_mul_f32_e32 v60, 0x3fb8aa3b, v60
	global_load_dwordx4 v[54:57], v[50:51], off
	s_nop 0
	global_load_dwordx4 v[50:53], v[50:51], off offset:16
	v_exp_f32_e32 v69, v60
	global_load_dwordx4 v[62:65], v[58:59], off
	s_nop 0
	global_load_dwordx4 v[58:61], v[58:59], off offset:16
	v_sub_f32_e32 v80, v80, v88
	v_mul_f32_e32 v80, 0x3fb8aa3b, v80
	v_sub_f32_e32 v81, v81, v88
	v_exp_f32_e32 v80, v80
	v_mul_f32_e32 v81, 0x3fb8aa3b, v81
	v_sub_f32_e32 v70, v70, v88
	v_exp_f32_e32 v81, v81
	v_mul_f32_e32 v70, 0x3fb8aa3b, v70
	v_sub_f32_e32 v71, v71, v88
	v_cndmask_b32_e64 v68, 0, v68, s[28:29]
	v_exp_f32_e32 v70, v70
	v_mul_f32_e32 v71, 0x3fb8aa3b, v71
	v_sub_f32_e32 v82, v82, v88
	v_add_f32_e32 v74, 0, v68
	v_cndmask_b32_e64 v69, 0, v69, s[30:31]
	v_exp_f32_e32 v71, v71
	v_mul_f32_e32 v82, 0x3fb8aa3b, v82
	v_sub_f32_e32 v83, v83, v88
	v_add_f32_e32 v74, v74, v69
	;; [unrolled: 5-line block ×10, first 2 shown]
	v_cndmask_b32_e64 v78, 0, v78, s[10:11]
	v_exp_f32_e32 v66, v66
	v_mul_f32_e32 v67, 0x3fb8aa3b, v67
	v_add_f32_e32 v74, v74, v78
	v_cndmask_b32_e64 v79, 0, v79, s[12:13]
	v_exp_f32_e32 v67, v67
	v_add_f32_e32 v74, v74, v79
	v_cndmask_b32_e64 v76, 0, v76, s[2:3]
	v_add_f32_e32 v74, v74, v76
	v_cndmask_b32_e64 v77, 0, v77, s[8:9]
	v_add_f32_e32 v74, v74, v77
	v_cndmask_b32_e32 v66, 0, v66, vcc
	v_add_f32_e32 v74, v74, v66
	v_cndmask_b32_e64 v67, 0, v67, s[0:1]
	v_add_f32_e32 v74, v74, v67
	ds_bpermute_b32 v75, v75, v74
	s_waitcnt lgkmcnt(0)
	s_barrier
	v_add_f32_e32 v89, v74, v75
	ds_bpermute_b32 v90, v90, v89
	v_and_b32_e32 v74, 63, v0
	v_cmp_gt_u32_e32 vcc, 16, v74
	s_and_saveexec_b64 s[0:1], vcc
	s_cbranch_execz .LBB370_15
; %bb.14:
	s_waitcnt lgkmcnt(0)
	v_add_f32_e32 v74, v89, v90
	v_lshlrev_b32_e32 v75, 2, v87
	ds_write2st64_b32 v75, v88, v74 offset1:1
.LBB370_15:
	s_or_b64 exec, exec, s[0:1]
	v_lshlrev_b32_e32 v74, 2, v84
	s_load_dword s2, s[4:5], 0x94
	s_waitcnt lgkmcnt(0)
	s_barrier
	ds_read2_b32 v[88:89], v74 offset1:16
	ds_read2_b32 v[90:91], v74 offset0:32 offset1:48
	ds_read2_b32 v[92:93], v74 offset0:64 offset1:80
	s_movk_i32 s8, 0x7fff
	s_mov_b32 s9, 0x7060302
	s_waitcnt lgkmcnt(2)
	v_max3_f32 v75, v88, s41, v89
	s_waitcnt lgkmcnt(1)
	v_max3_f32 v86, v75, v90, v91
	v_sub_f32_e32 v75, v88, v86
	v_sub_f32_e32 v87, v89, v86
	v_mul_f32_e32 v75, 0x3fb8aa3b, v75
	v_mul_f32_e32 v87, 0x3fb8aa3b, v87
	v_exp_f32_e32 v75, v75
	v_exp_f32_e32 v94, v87
	v_sub_f32_e32 v87, v90, v86
	v_mul_f32_e32 v87, 0x3fb8aa3b, v87
	ds_read2_b32 v[88:89], v74 offset0:96 offset1:112
	v_sub_f32_e32 v74, v91, v86
	v_exp_f32_e32 v90, v87
	v_mul_f32_e32 v74, 0x3fb8aa3b, v74
	v_exp_f32_e32 v74, v74
	s_waitcnt lgkmcnt(1)
	v_fma_f32 v87, v75, v92, 0
	v_fmac_f32_e32 v87, v94, v93
	s_waitcnt lgkmcnt(0)
	v_fmac_f32_e32 v87, v90, v88
	v_fmac_f32_e32 v87, v74, v89
	v_add_f32_e32 v88, 0x358637bd, v87
	v_div_scale_f32 v89, s[0:1], v88, v88, 1.0
	v_rcp_f32_e32 v91, v89
	s_barrier
	v_fma_f32 v92, -v89, v91, 1.0
	v_fmac_f32_e32 v91, v92, v91
	v_div_scale_f32 v92, vcc, 1.0, v88, 1.0
	v_mul_f32_e32 v93, v92, v91
	v_fma_f32 v95, -v89, v93, v92
	v_fmac_f32_e32 v93, v95, v91
	v_fma_f32 v89, -v89, v93, v92
	v_div_fmas_f32 v89, v89, v91, v93
	v_cmp_eq_u32_e32 vcc, 1, v85
	v_cndmask_b32_e32 v75, v75, v94, vcc
	v_cmp_eq_u32_e32 vcc, 2, v85
	v_cndmask_b32_e32 v75, v75, v90, vcc
	v_cmp_eq_u32_e32 vcc, 3, v85
	v_div_fixup_f32 v88, v89, v88, 1.0
	v_cndmask_b32_e32 v74, v75, v74, vcc
	v_mul_f32_e32 v88, v74, v88
	v_pk_mul_f32 v[68:69], v[88:89], v[68:69] op_sel_hi:[0,1]
	v_bfe_u32 v74, v69, 16, 1
	v_bfe_u32 v75, v68, 16, 1
	v_pk_mul_f32 v[80:81], v[88:89], v[80:81] op_sel_hi:[0,1]
	v_add3_u32 v68, v68, v75, s8
	v_add3_u32 v69, v69, v74, s8
	v_perm_b32 v90, v69, v68, s9
	v_bfe_u32 v68, v81, 16, 1
	v_bfe_u32 v69, v80, 16, 1
	v_add3_u32 v69, v80, v69, s8
	v_add3_u32 v68, v81, v68, s8
	v_perm_b32 v91, v68, v69, s9
	v_lshlrev_b32_e32 v69, 3, v1
	v_lshlrev_b32_e32 v68, 5, v84
	;; [unrolled: 1-line block ×3, first 2 shown]
	v_pk_mul_f32 v[70:71], v[88:89], v[70:71] op_sel_hi:[0,1]
	v_or3_b32 v80, v74, v68, v69
	v_bfe_u32 v69, v71, 16, 1
	v_bfe_u32 v74, v70, 16, 1
	v_pk_mul_f32 v[82:83], v[88:89], v[82:83] op_sel_hi:[0,1]
	v_add3_u32 v70, v70, v74, s8
	v_add3_u32 v69, v71, v69, s8
	v_perm_b32 v70, v69, v70, s9
	v_bfe_u32 v69, v83, 16, 1
	v_bfe_u32 v71, v82, 16, 1
	v_add3_u32 v71, v82, v71, s8
	v_add3_u32 v69, v83, v69, s8
	v_pk_mul_f32 v[72:73], v[88:89], v[72:73] op_sel_hi:[0,1]
	v_perm_b32 v71, v69, v71, s9
	v_bfe_u32 v69, v73, 16, 1
	v_bfe_u32 v74, v72, 16, 1
	ds_write2st64_b64 v80, v[90:91], v[70:71] offset1:1
	v_pk_mul_f32 v[70:71], v[88:89], v[78:79] op_sel_hi:[0,1]
	v_add3_u32 v72, v72, v74, s8
	v_add3_u32 v69, v73, v69, s8
	v_perm_b32 v72, v69, v72, s9
	v_bfe_u32 v69, v71, 16, 1
	v_bfe_u32 v73, v70, 16, 1
	v_add3_u32 v70, v70, v73, s8
	v_add3_u32 v69, v71, v69, s8
	v_perm_b32 v73, v69, v70, s9
	v_pk_mul_f32 v[70:71], v[88:89], v[76:77] op_sel_hi:[0,1]
	v_bfe_u32 v69, v71, 16, 1
	v_bfe_u32 v74, v70, 16, 1
	v_pk_mul_f32 v[66:67], v[88:89], v[66:67] op_sel_hi:[0,1]
	v_add3_u32 v70, v70, v74, s8
	v_add3_u32 v69, v71, v69, s8
	v_perm_b32 v70, v69, v70, s9
	v_bfe_u32 v69, v67, 16, 1
	v_bfe_u32 v71, v66, 16, 1
	v_add3_u32 v66, v66, v71, s8
	v_add3_u32 v67, v67, v69, s8
	s_mul_i32 s3, s40, 7
	v_perm_b32 v71, v67, v66, s9
	v_cmp_gt_u32_e32 vcc, 7, v0
	ds_write2st64_b64 v80, v[72:73], v[70:71] offset0:2 offset1:3
	s_and_saveexec_b64 s[0:1], vcc
	s_cbranch_execz .LBB370_17
; %bb.16:
	v_add_co_u32_e32 v70, vcc, s27, v84
	v_addc_co_u32_e64 v71, s[10:11], 0, 0, vcc
	v_mov_b32_e32 v66, s3
	v_mov_b32_e32 v67, 0
	v_mad_u64_u32 v[70:71], s[10:11], s6, v66, v[70:71]
	v_mov_b32_e32 v66, s26
	s_load_dwordx4 s[12:15], s[4:5], 0x58
	s_mul_i32 s7, s7, s3
	v_mad_u64_u32 v[66:67], s[10:11], v70, s2, v[66:67]
	v_add_u32_e32 v69, s7, v71
	v_mov_b32_e32 v70, v67
	v_mad_u64_u32 v[70:71], s[10:11], v69, s2, v[70:71]
	v_mov_b32_e32 v67, v70
	v_lshlrev_b64 v[66:67], 2, v[66:67]
	s_waitcnt lgkmcnt(0)
	v_mov_b32_e32 v69, s15
	v_add_co_u32_e32 v70, vcc, s14, v66
	v_addc_co_u32_e32 v71, vcc, v69, v67, vcc
	v_mov_b32_e32 v69, s13
	v_add_co_u32_e32 v66, vcc, s12, v66
	v_addc_co_u32_e32 v67, vcc, v69, v67, vcc
	global_store_dword v[70:71], v86, off
	global_store_dword v[66:67], v87, off
.LBB370_17:
	s_or_b64 exec, exec, s[0:1]
	v_lshl_or_b32 v74, v1, 9, v68
	s_waitcnt lgkmcnt(0)
	s_barrier
	ds_read_b128 v[70:73], v74
	ds_read_b128 v[66:69], v74 offset:16
	s_waitcnt vmcnt(15) lgkmcnt(1)
	v_mfma_f32_16x16x16bf16_1k v[76:79], v[46:47], v[70:71], 0
	s_mov_b32 s1, 0
	v_cmp_gt_u32_e32 vcc, 64, v0
	v_mfma_f32_16x16x16bf16_1k v[46:49], v[48:49], v[72:73], v[76:79]
	s_waitcnt vmcnt(14) lgkmcnt(0)
	v_mfma_f32_16x16x16bf16_1k v[46:49], v[42:43], v[66:67], v[46:49]
	v_mfma_f32_16x16x16bf16_1k v[42:45], v[44:45], v[68:69], v[46:49]
	s_nop 7
	s_nop 1
	ds_read_b128 v[46:49], v74 offset:2048
	ds_read_b128 v[76:79], v74 offset:2064
	s_waitcnt vmcnt(13) lgkmcnt(1)
	v_mfma_f32_16x16x16bf16_1k v[42:45], v[38:39], v[46:47], v[42:45]
	v_mfma_f32_16x16x16bf16_1k v[38:41], v[40:41], v[48:49], v[42:45]
	s_waitcnt vmcnt(12) lgkmcnt(0)
	v_mfma_f32_16x16x16bf16_1k v[38:41], v[34:35], v[76:77], v[38:41]
	v_mfma_f32_16x16x16bf16_1k v[34:37], v[36:37], v[78:79], v[38:41]
	s_nop 7
	s_nop 1
	ds_read_b128 v[38:41], v74 offset:4096
	ds_read_b128 v[42:45], v74 offset:4112
	s_waitcnt vmcnt(11) lgkmcnt(1)
	v_mfma_f32_16x16x16bf16_1k v[34:37], v[30:31], v[38:39], v[34:37]
	v_mfma_f32_16x16x16bf16_1k v[30:33], v[32:33], v[40:41], v[34:37]
	s_waitcnt vmcnt(10) lgkmcnt(0)
	v_mfma_f32_16x16x16bf16_1k v[30:33], v[26:27], v[42:43], v[30:33]
	v_mfma_f32_16x16x16bf16_1k v[26:29], v[28:29], v[44:45], v[30:33]
	s_nop 7
	s_nop 1
	ds_read_b128 v[30:33], v74 offset:6144
	ds_read_b128 v[34:37], v74 offset:6160
	s_waitcnt lgkmcnt(0)
	s_barrier
	s_waitcnt vmcnt(9)
	v_mfma_f32_16x16x16bf16_1k v[26:29], v[22:23], v[30:31], v[26:29]
	v_mfma_f32_16x16x16bf16_1k v[22:25], v[24:25], v[32:33], v[26:29]
	s_waitcnt vmcnt(8)
	v_mfma_f32_16x16x16bf16_1k v[22:25], v[18:19], v[34:35], v[22:25]
	v_mfma_f32_16x16x16bf16_1k v[18:21], v[20:21], v[36:37], v[22:25]
	;; [unrolled: 3-line block ×4, first 2 shown]
	s_waitcnt vmcnt(5)
	v_mfma_f32_16x16x16bf16_1k v[2:5], v[14:15], v[46:47], v[2:5]
	s_nop 7
	v_bfe_u32 v6, v19, 16, 1
	v_bfe_u32 v7, v18, 16, 1
	v_add3_u32 v7, v18, v7, s8
	v_add3_u32 v6, v19, v6, s8
	v_perm_b32 v6, v6, v7, s9
	v_bfe_u32 v7, v21, 16, 1
	v_bfe_u32 v8, v20, 16, 1
	v_mfma_f32_16x16x16bf16_1k v[2:5], v[16:17], v[48:49], v[2:5]
	v_add3_u32 v8, v20, v8, s8
	v_add3_u32 v7, v21, v7, s8
	v_perm_b32 v7, v7, v8, s9
	s_waitcnt vmcnt(4)
	v_mfma_f32_16x16x16bf16_1k v[2:5], v[10:11], v[76:77], v[2:5]
	v_mfma_f32_16x16x16bf16_1k v[2:5], v[12:13], v[78:79], v[2:5]
	s_waitcnt vmcnt(3)
	v_mfma_f32_16x16x16bf16_1k v[2:5], v[54:55], v[38:39], v[2:5]
	v_mfma_f32_16x16x16bf16_1k v[2:5], v[56:57], v[40:41], v[2:5]
	;; [unrolled: 3-line block ×5, first 2 shown]
	s_nop 7
	s_nop 2
	v_bfe_u32 v8, v3, 16, 1
	v_bfe_u32 v9, v2, 16, 1
	v_add3_u32 v2, v2, v9, s8
	v_add3_u32 v3, v3, v8, s8
	v_perm_b32 v2, v3, v2, s9
	v_bfe_u32 v3, v5, 16, 1
	v_bfe_u32 v8, v4, 16, 1
	v_add3_u32 v4, v4, v8, s8
	v_add3_u32 v3, v5, v3, s8
	v_perm_b32 v3, v3, v4, s9
	ds_write2st64_b64 v80, v[6:7], v[2:3] offset1:1
	s_waitcnt lgkmcnt(0)
	s_barrier
	s_and_saveexec_b64 s[8:9], vcc
	s_cbranch_execz .LBB370_20
; %bb.18:
	v_lshlrev_b32_e32 v4, 6, v84
	v_lshlrev_b32_e32 v3, 4, v0
	v_lshl_or_b32 v0, v0, 10, v4
	buffer_load_dword v4, off, s[44:47], 0  ; 4-byte Folded Reload
	buffer_load_dword v5, off, s[44:47], 0 offset:4 ; 4-byte Folded Reload
	s_load_dwordx2 s[4:5], s[4:5], 0x68
	s_lshl_b32 s2, s2, 7
	s_mul_i32 s0, s3, s6
	s_mul_hi_u32 s7, s0, s2
	s_mul_i32 s6, s0, s2
	s_lshl_b64 s[6:7], s[6:7], 1
	s_waitcnt lgkmcnt(0)
	s_add_u32 s3, s4, s6
	s_addc_u32 s4, s5, s7
	s_lshl_b32 s0, s26, 7
	s_lshl_b64 s[0:1], s[0:1], 1
	s_add_u32 s0, s3, s0
	v_lshlrev_b32_e32 v2, 5, v1
	v_and_b32_e32 v3, 16, v3
	v_and_b32_e32 v0, 0x1a00, v0
	s_addc_u32 s1, s4, s1
	v_or3_b32 v0, v0, v2, v3
	v_mov_b32_e32 v3, s1
	v_add_u32_e32 v8, s27, v1
	s_waitcnt vmcnt(1)
	v_add_co_u32_e32 v2, vcc, s0, v4
	s_waitcnt vmcnt(0)
	v_addc_co_u32_e32 v3, vcc, v3, v5, vcc
	ds_read_b128 v[4:7], v0
	v_mad_u64_u32 v[8:9], s[0:1], v8, s2, 0
	v_lshlrev_b64 v[8:9], 1, v[8:9]
	v_add_co_u32_e32 v8, vcc, v2, v8
	v_addc_co_u32_e32 v9, vcc, v3, v9, vcc
	v_cmp_ne_u32_e32 vcc, 3, v1
	s_waitcnt lgkmcnt(0)
	global_store_dwordx4 v[8:9], v[4:7], off
	s_and_b64 exec, exec, vcc
	s_cbranch_execz .LBB370_20
; %bb.19:
	ds_read_b128 v[4:7], v0 offset:128
	v_add3_u32 v0, s27, v1, 4
	v_mad_u64_u32 v[0:1], s[0:1], v0, s2, 0
	v_lshlrev_b64 v[0:1], 1, v[0:1]
	v_add_co_u32_e32 v0, vcc, v2, v0
	v_addc_co_u32_e32 v1, vcc, v3, v1, vcc
	s_waitcnt lgkmcnt(0)
	global_store_dwordx4 v[0:1], v[4:7], off
.LBB370_20:
	s_endpgm
	.section	.rodata,"a",@progbits
	.p2align	6, 0x0
	.amdhsa_kernel _Z39paged_attention_ll4mi_QKV_mfma16_kernelI14__hip_bfloat16S0_LN4vllm18Fp8KVCacheDataTypeE0ES0_Li32ELi128ELi256ELb0ELi7EL8MFMAType0EEvPKT_PKT0_S9_ifPKiSB_SB_iPKfiiiPfSE_PS4_PT2_iSD_SD_
		.amdhsa_group_segment_fixed_size 8192
		.amdhsa_private_segment_fixed_size 12
		.amdhsa_kernarg_size 400
		.amdhsa_user_sgpr_count 6
		.amdhsa_user_sgpr_private_segment_buffer 1
		.amdhsa_user_sgpr_dispatch_ptr 0
		.amdhsa_user_sgpr_queue_ptr 0
		.amdhsa_user_sgpr_kernarg_segment_ptr 1
		.amdhsa_user_sgpr_dispatch_id 0
		.amdhsa_user_sgpr_flat_scratch_init 0
		.amdhsa_user_sgpr_kernarg_preload_length 0
		.amdhsa_user_sgpr_kernarg_preload_offset 0
		.amdhsa_user_sgpr_private_segment_size 0
		.amdhsa_uses_dynamic_stack 0
		.amdhsa_system_sgpr_private_segment_wavefront_offset 1
		.amdhsa_system_sgpr_workgroup_id_x 1
		.amdhsa_system_sgpr_workgroup_id_y 1
		.amdhsa_system_sgpr_workgroup_id_z 1
		.amdhsa_system_sgpr_workgroup_info 0
		.amdhsa_system_vgpr_workitem_id 0
		.amdhsa_next_free_vgpr 96
		.amdhsa_next_free_sgpr 48
		.amdhsa_accum_offset 96
		.amdhsa_reserve_vcc 1
		.amdhsa_reserve_flat_scratch 0
		.amdhsa_float_round_mode_32 0
		.amdhsa_float_round_mode_16_64 0
		.amdhsa_float_denorm_mode_32 3
		.amdhsa_float_denorm_mode_16_64 3
		.amdhsa_dx10_clamp 1
		.amdhsa_ieee_mode 1
		.amdhsa_fp16_overflow 0
		.amdhsa_tg_split 0
		.amdhsa_exception_fp_ieee_invalid_op 0
		.amdhsa_exception_fp_denorm_src 0
		.amdhsa_exception_fp_ieee_div_zero 0
		.amdhsa_exception_fp_ieee_overflow 0
		.amdhsa_exception_fp_ieee_underflow 0
		.amdhsa_exception_fp_ieee_inexact 0
		.amdhsa_exception_int_div_zero 0
	.end_amdhsa_kernel
	.section	.text._Z39paged_attention_ll4mi_QKV_mfma16_kernelI14__hip_bfloat16S0_LN4vllm18Fp8KVCacheDataTypeE0ES0_Li32ELi128ELi256ELb0ELi7EL8MFMAType0EEvPKT_PKT0_S9_ifPKiSB_SB_iPKfiiiPfSE_PS4_PT2_iSD_SD_,"axG",@progbits,_Z39paged_attention_ll4mi_QKV_mfma16_kernelI14__hip_bfloat16S0_LN4vllm18Fp8KVCacheDataTypeE0ES0_Li32ELi128ELi256ELb0ELi7EL8MFMAType0EEvPKT_PKT0_S9_ifPKiSB_SB_iPKfiiiPfSE_PS4_PT2_iSD_SD_,comdat
.Lfunc_end370:
	.size	_Z39paged_attention_ll4mi_QKV_mfma16_kernelI14__hip_bfloat16S0_LN4vllm18Fp8KVCacheDataTypeE0ES0_Li32ELi128ELi256ELb0ELi7EL8MFMAType0EEvPKT_PKT0_S9_ifPKiSB_SB_iPKfiiiPfSE_PS4_PT2_iSD_SD_, .Lfunc_end370-_Z39paged_attention_ll4mi_QKV_mfma16_kernelI14__hip_bfloat16S0_LN4vllm18Fp8KVCacheDataTypeE0ES0_Li32ELi128ELi256ELb0ELi7EL8MFMAType0EEvPKT_PKT0_S9_ifPKiSB_SB_iPKfiiiPfSE_PS4_PT2_iSD_SD_
                                        ; -- End function
	.section	.AMDGPU.csdata,"",@progbits
; Kernel info:
; codeLenInByte = 5088
; NumSgprs: 52
; NumVgprs: 96
; NumAgprs: 0
; TotalNumVgprs: 96
; ScratchSize: 12
; MemoryBound: 0
; FloatMode: 240
; IeeeMode: 1
; LDSByteSize: 8192 bytes/workgroup (compile time only)
; SGPRBlocks: 6
; VGPRBlocks: 11
; NumSGPRsForWavesPerEU: 52
; NumVGPRsForWavesPerEU: 96
; AccumOffset: 96
; Occupancy: 5
; WaveLimiterHint : 1
; COMPUTE_PGM_RSRC2:SCRATCH_EN: 1
; COMPUTE_PGM_RSRC2:USER_SGPR: 6
; COMPUTE_PGM_RSRC2:TRAP_HANDLER: 0
; COMPUTE_PGM_RSRC2:TGID_X_EN: 1
; COMPUTE_PGM_RSRC2:TGID_Y_EN: 1
; COMPUTE_PGM_RSRC2:TGID_Z_EN: 1
; COMPUTE_PGM_RSRC2:TIDIG_COMP_CNT: 0
; COMPUTE_PGM_RSRC3_GFX90A:ACCUM_OFFSET: 23
; COMPUTE_PGM_RSRC3_GFX90A:TG_SPLIT: 0
	.section	.text._Z39paged_attention_ll4mi_QKV_mfma16_kernelI14__hip_bfloat16S0_LN4vllm18Fp8KVCacheDataTypeE0ES0_Li32ELi128ELi256ELb0ELi8EL8MFMAType0EEvPKT_PKT0_S9_ifPKiSB_SB_iPKfiiiPfSE_PS4_PT2_iSD_SD_,"axG",@progbits,_Z39paged_attention_ll4mi_QKV_mfma16_kernelI14__hip_bfloat16S0_LN4vllm18Fp8KVCacheDataTypeE0ES0_Li32ELi128ELi256ELb0ELi8EL8MFMAType0EEvPKT_PKT0_S9_ifPKiSB_SB_iPKfiiiPfSE_PS4_PT2_iSD_SD_,comdat
	.protected	_Z39paged_attention_ll4mi_QKV_mfma16_kernelI14__hip_bfloat16S0_LN4vllm18Fp8KVCacheDataTypeE0ES0_Li32ELi128ELi256ELb0ELi8EL8MFMAType0EEvPKT_PKT0_S9_ifPKiSB_SB_iPKfiiiPfSE_PS4_PT2_iSD_SD_ ; -- Begin function _Z39paged_attention_ll4mi_QKV_mfma16_kernelI14__hip_bfloat16S0_LN4vllm18Fp8KVCacheDataTypeE0ES0_Li32ELi128ELi256ELb0ELi8EL8MFMAType0EEvPKT_PKT0_S9_ifPKiSB_SB_iPKfiiiPfSE_PS4_PT2_iSD_SD_
	.globl	_Z39paged_attention_ll4mi_QKV_mfma16_kernelI14__hip_bfloat16S0_LN4vllm18Fp8KVCacheDataTypeE0ES0_Li32ELi128ELi256ELb0ELi8EL8MFMAType0EEvPKT_PKT0_S9_ifPKiSB_SB_iPKfiiiPfSE_PS4_PT2_iSD_SD_
	.p2align	8
	.type	_Z39paged_attention_ll4mi_QKV_mfma16_kernelI14__hip_bfloat16S0_LN4vllm18Fp8KVCacheDataTypeE0ES0_Li32ELi128ELi256ELb0ELi8EL8MFMAType0EEvPKT_PKT0_S9_ifPKiSB_SB_iPKfiiiPfSE_PS4_PT2_iSD_SD_,@function
_Z39paged_attention_ll4mi_QKV_mfma16_kernelI14__hip_bfloat16S0_LN4vllm18Fp8KVCacheDataTypeE0ES0_Li32ELi128ELi256ELb0ELi8EL8MFMAType0EEvPKT_PKT0_S9_ifPKiSB_SB_iPKfiiiPfSE_PS4_PT2_iSD_SD_: ; @_Z39paged_attention_ll4mi_QKV_mfma16_kernelI14__hip_bfloat16S0_LN4vllm18Fp8KVCacheDataTypeE0ES0_Li32ELi128ELi256ELb0ELi8EL8MFMAType0EEvPKT_PKT0_S9_ifPKiSB_SB_iPKfiiiPfSE_PS4_PT2_iSD_SD_
; %bb.0:
	s_mov_b64 s[46:47], s[2:3]
	s_mov_b64 s[44:45], s[0:1]
	s_load_dwordx2 s[0:1], s[4:5], 0x30
	s_add_u32 s44, s44, s9
	s_addc_u32 s45, s45, 0
	s_mov_b32 s26, s7
	s_mov_b64 s[10:11], 0
	s_waitcnt lgkmcnt(0)
	s_cmp_lg_u64 s[0:1], 0
	s_cselect_b64 s[2:3], -1, 0
	s_and_b64 vcc, exec, s[2:3]
	s_cbranch_vccz .LBB371_7
; %bb.1:
	s_add_i32 s12, s6, 1
	s_mov_b32 s13, 0
	s_lshl_b64 s[14:15], s[12:13], 2
	s_add_u32 s14, s0, s14
	s_mov_b32 s7, s13
	s_addc_u32 s15, s1, s15
	s_lshl_b64 s[12:13], s[6:7], 2
	s_add_u32 s12, s0, s12
	s_addc_u32 s13, s1, s13
	s_load_dword s9, s[14:15], 0x0
	s_load_dword s16, s[12:13], 0x0
	s_waitcnt lgkmcnt(0)
	s_sub_i32 s9, s9, s16
	s_cmp_eq_u32 s9, 1
	s_cselect_b64 s[12:13], -1, 0
	s_andn2_b64 vcc, exec, s[10:11]
	s_cbranch_vccnz .LBB371_3
.LBB371_2:
	s_mov_b32 s7, 0
	s_mov_b64 s[12:13], -1
.LBB371_3:
	s_andn2_b64 vcc, exec, s[12:13]
	s_cbranch_vccnz .LBB371_19
; %bb.4:
	s_load_dwordx2 s[12:13], s[4:5], 0x28
	s_lshl_b64 s[10:11], s[6:7], 2
	s_waitcnt lgkmcnt(0)
	s_add_u32 s12, s12, s10
	s_addc_u32 s13, s13, s11
	s_load_dword s33, s[12:13], 0x0
	s_lshl_b32 s9, s26, 8
	s_waitcnt lgkmcnt(0)
	s_cmp_ge_i32 s9, s33
	s_cbranch_scc1 .LBB371_19
; %bb.5:
	s_add_i32 s15, s33, 31
	s_load_dwordx2 s[12:13], s[4:5], 0x20
	s_load_dword s14, s[4:5], 0x38
	s_ashr_i32 s16, s15, 31
	v_and_b32_e32 v1, 0xcf, v0
	s_lshr_b32 s16, s16, 27
	v_add_u32_e32 v1, s9, v1
	s_add_i32 s15, s15, s16
	v_ashrrev_i32_e32 v2, 31, v1
	s_ashr_i32 s18, s15, 5
	v_lshrrev_b32_e32 v10, 27, v2
	s_add_i32 s18, s18, -1
	v_add_u32_e32 v2, v1, v10
	s_waitcnt lgkmcnt(0)
	s_mul_i32 s14, s6, s14
	s_mov_b32 s15, 0
	v_ashrrev_i32_e32 v2, 5, v2
	v_mov_b32_e32 v11, s18
	v_cmp_gt_i32_e32 vcc, s33, v1
	s_lshl_b64 s[14:15], s[14:15], 2
	v_cndmask_b32_e32 v2, v11, v2, vcc
	s_add_u32 s16, s12, s14
	v_ashrrev_i32_e32 v3, 31, v2
	s_addc_u32 s17, s13, s15
	v_lshlrev_b64 v[2:3], 2, v[2:3]
	v_mov_b32_e32 v4, s17
	v_add_co_u32_e32 v2, vcc, s16, v2
	v_addc_co_u32_e32 v3, vcc, v4, v3, vcc
	v_or_b32_e32 v4, 16, v1
	v_add_u32_e32 v5, v4, v10
	v_ashrrev_i32_e32 v5, 5, v5
	v_cmp_gt_i32_e32 vcc, s33, v4
	v_cndmask_b32_e32 v4, v11, v5, vcc
	v_ashrrev_i32_e32 v5, 31, v4
	v_lshlrev_b64 v[4:5], 2, v[4:5]
	v_mov_b32_e32 v7, s17
	v_add_co_u32_e32 v6, vcc, s16, v4
	v_or_b32_e32 v4, 32, v1
	v_addc_co_u32_e32 v7, vcc, v7, v5, vcc
	v_add_u32_e32 v5, v4, v10
	v_ashrrev_i32_e32 v5, 5, v5
	v_cmp_gt_i32_e32 vcc, s33, v4
	v_cndmask_b32_e32 v4, v11, v5, vcc
	v_ashrrev_i32_e32 v5, 31, v4
	v_lshlrev_b64 v[4:5], 2, v[4:5]
	v_mov_b32_e32 v9, s17
	v_add_co_u32_e32 v8, vcc, s16, v4
	v_or_b32_e32 v1, 48, v1
	v_addc_co_u32_e32 v9, vcc, v9, v5, vcc
	v_add_u32_e32 v4, v1, v10
	v_ashrrev_i32_e32 v4, 5, v4
	v_cmp_gt_i32_e32 vcc, s33, v1
	v_cndmask_b32_e32 v4, v11, v4, vcc
	v_ashrrev_i32_e32 v5, 31, v4
	v_lshlrev_b64 v[4:5], 2, v[4:5]
	v_mov_b32_e32 v1, s17
	v_add_co_u32_e32 v10, vcc, s16, v4
	v_addc_co_u32_e32 v11, vcc, v1, v5, vcc
	global_load_dword v5, v[2:3], off
	global_load_dword v4, v[6:7], off
	;; [unrolled: 1-line block ×4, first 2 shown]
	s_andn2_b64 vcc, exec, s[2:3]
	s_cbranch_vccnz .LBB371_8
; %bb.6:
	s_add_u32 s0, s0, s10
	s_addc_u32 s1, s1, s11
	s_load_dword s19, s[0:1], 0x0
	s_branch .LBB371_9
.LBB371_7:
	s_mov_b64 s[12:13], 0
	s_branch .LBB371_2
.LBB371_8:
	s_mov_b32 s19, s6
.LBB371_9:
	s_load_dwordx4 s[12:15], s[4:5], 0x8
	s_load_dwordx4 s[0:3], s[4:5], 0x48
	v_and_b32_e32 v1, 15, v0
	s_waitcnt lgkmcnt(0)
	s_movk_i32 s3, 0x7f
	v_lshlrev_b32_e32 v2, 3, v1
	v_cmp_lt_u32_e32 vcc, s3, v0
	s_and_saveexec_b64 s[10:11], vcc
	s_xor_b64 s[10:11], exec, s[10:11]
; %bb.10:
	v_mov_b32_e32 v3, 0
; %bb.11:
	s_or_saveexec_b64 s[10:11], s[10:11]
	v_lshrrev_b32_e32 v85, 6, v0
	s_lshl_b32 s27, s8, 3
	v_bfe_u32 v84, v0, 4, 2
	s_xor_b64 exec, exec, s[10:11]
	s_cbranch_execz .LBB371_13
; %bb.12:
	s_load_dwordx2 s[20:21], s[4:5], 0x0
	s_ashr_i32 s3, s0, 31
	s_mul_hi_u32 s22, s19, s0
	s_mul_i32 s3, s19, s3
	v_lshl_or_b32 v10, v85, 2, v84
	s_add_i32 s23, s22, s3
	s_mul_i32 s22, s19, s0
	s_lshl_b64 s[22:23], s[22:23], 1
	v_add_lshl_u32 v6, v10, s27, 7
	s_waitcnt lgkmcnt(0)
	s_add_u32 s0, s20, s22
	v_ashrrev_i32_e32 v7, 31, v6
	s_addc_u32 s3, s21, s23
	v_lshlrev_b64 v[6:7], 1, v[6:7]
	v_mov_b32_e32 v3, s3
	v_add_co_u32_e32 v6, vcc, s0, v6
	v_addc_co_u32_e32 v3, vcc, v3, v7, vcc
	v_lshlrev_b32_e32 v7, 1, v2
	v_add_co_u32_e32 v6, vcc, v6, v7
	v_addc_co_u32_e32 v7, vcc, 0, v3, vcc
	global_load_dwordx4 v[6:9], v[6:7], off
	v_and_b32_e32 v11, 3, v0
	v_lshlrev_b32_e32 v12, 9, v1
	v_lshlrev_b32_e32 v10, 5, v10
	;; [unrolled: 1-line block ×3, first 2 shown]
	v_and_b32_e32 v12, 0x1800, v12
	v_mov_b32_e32 v3, 0
	v_or3_b32 v10, v12, v11, v10
	s_waitcnt vmcnt(0)
	ds_write_b128 v10, v[6:9]
.LBB371_13:
	s_or_b64 exec, exec, s[10:11]
	s_mul_i32 s2, s8, s2
	s_mov_b32 s3, 0
	s_lshl_b64 s[2:3], s[2:3], 1
	s_add_u32 s8, s12, s2
	s_addc_u32 s10, s13, s3
	s_waitcnt vmcnt(3)
	v_mad_i64_i32 v[6:7], s[12:13], v5, s1, 0
	v_lshlrev_b64 v[6:7], 1, v[6:7]
	v_mov_b32_e32 v5, s10
	v_add_co_u32_e32 v6, vcc, s8, v6
	v_addc_co_u32_e32 v5, vcc, v5, v7, vcc
	v_lshlrev_b64 v[60:61], 1, v[2:3]
	v_add_co_u32_e32 v27, vcc, v6, v60
	v_lshlrev_b32_e32 v26, 9, v84
	v_addc_co_u32_e32 v28, vcc, v5, v61, vcc
	v_add_co_u32_e32 v2, vcc, v27, v26
	v_addc_co_u32_e32 v3, vcc, 0, v28, vcc
	s_load_dword s40, s[4:5], 0x98
	s_load_dword s0, s[4:5], 0x1c
	s_waitcnt lgkmcnt(0)
	s_barrier
	global_load_dwordx4 v[10:13], v[2:3], off
	s_waitcnt vmcnt(3)
	v_mad_i64_i32 v[4:5], s[12:13], v4, s1, 0
	v_lshlrev_b64 v[4:5], 1, v[4:5]
	v_mov_b32_e32 v6, s10
	v_add_co_u32_e32 v4, vcc, s8, v4
	v_addc_co_u32_e32 v5, vcc, v6, v5, vcc
	v_mov_b32_e32 v6, 0x100
	v_lshl_or_b32 v29, v1, 4, v6
	v_add_co_u32_e32 v30, vcc, v4, v29
	v_addc_co_u32_e32 v31, vcc, 0, v5, vcc
	v_add_co_u32_e32 v22, vcc, v30, v26
	v_addc_co_u32_e32 v23, vcc, 0, v31, vcc
	global_load_dwordx4 v[18:21], v[22:23], off
	global_load_dwordx4 v[14:17], v[2:3], off offset:2048
	v_and_b32_e32 v2, 7, v0
	v_lshl_or_b32 v32, v2, 5, v26
	ds_read_b128 v[6:9], v32
	ds_read_b128 v[2:5], v32 offset:2048
	v_or_b32_e32 v58, 0x1000, v26
	global_load_dwordx4 v[38:41], v[22:23], off offset:2048
	v_add_co_u32_e32 v22, vcc, v27, v58
	v_addc_co_u32_e32 v23, vcc, 0, v28, vcc
	v_or_b32_e32 v62, 0x1800, v26
	s_ashr_i32 s11, s9, 31
	v_and_or_b32 v63, v0, 48, s9
	v_mov_b32_e32 v64, s18
	v_lshl_or_b32 v87, v85, 4, v1
	v_lshlrev_b32_e32 v82, 6, v87
	s_mov_b32 s41, 0xff7fffff
	s_waitcnt vmcnt(3) lgkmcnt(1)
	v_mfma_f32_16x16x16bf16_1k v[34:37], v[10:11], v[6:7], 0
	s_waitcnt vmcnt(2)
	v_mfma_f32_16x16x16bf16_1k v[42:45], v[18:19], v[6:7], 0
	v_mfma_f32_16x16x16bf16_1k v[10:13], v[12:13], v[8:9], v[34:37]
	s_nop 7
	global_load_dwordx4 v[34:37], v[22:23], off
	v_add_co_u32_e32 v22, vcc, v30, v58
	v_addc_co_u32_e32 v23, vcc, 0, v31, vcc
	v_mfma_f32_16x16x16bf16_1k v[18:21], v[20:21], v[8:9], v[42:45]
	global_load_dwordx4 v[46:49], v[22:23], off
	s_waitcnt vmcnt(3) lgkmcnt(0)
	v_mfma_f32_16x16x16bf16_1k v[42:45], v[14:15], v[2:3], v[10:13]
	s_nop 6
	v_add_co_u32_e32 v10, vcc, v27, v62
	v_addc_co_u32_e32 v11, vcc, 0, v28, vcc
	global_load_dwordx4 v[54:57], v[10:11], off
	v_mad_i64_i32 v[10:11], s[12:13], v25, s1, 0
	v_add_co_u32_e32 v30, vcc, v30, v62
	v_lshlrev_b64 v[22:23], 1, v[10:11]
	v_addc_co_u32_e32 v31, vcc, 0, v31, vcc
	v_mov_b32_e32 v25, s10
	v_add_co_u32_e32 v22, vcc, s8, v22
	v_addc_co_u32_e32 v23, vcc, v25, v23, vcc
	ds_read_b128 v[10:13], v32 offset:4096
	ds_read_b128 v[50:53], v32 offset:6144
	global_load_dwordx4 v[30:33], v[30:31], off
	v_add_co_u32_e32 v27, vcc, v22, v60
	buffer_store_dword v60, off, s[44:47], 0 ; 4-byte Folded Spill
	s_nop 0
	buffer_store_dword v61, off, s[44:47], 0 offset:4 ; 4-byte Folded Spill
	s_waitcnt vmcnt(6)
	v_mfma_f32_16x16x16bf16_1k v[18:21], v[38:39], v[2:3], v[18:21]
	v_mov_b32_e32 v28, s10
	s_lshr_b32 s10, s11, 27
	s_add_u32 s2, s14, s2
	s_addc_u32 s3, s15, s3
	v_addc_co_u32_e32 v59, vcc, v23, v61, vcc
	v_add_co_u32_e32 v22, vcc, v27, v26
	v_addc_co_u32_e32 v23, vcc, 0, v59, vcc
	v_mfma_f32_16x16x16bf16_1k v[14:17], v[16:17], v[4:5], v[42:45]
	v_mfma_f32_16x16x16bf16_1k v[18:21], v[40:41], v[4:5], v[18:21]
	global_load_dwordx4 v[38:41], v[22:23], off
	s_nop 4
	global_load_dwordx4 v[42:45], v[22:23], off offset:2048
	v_mad_i64_i32 v[22:23], s[12:13], v24, s1, 0
	s_waitcnt vmcnt(7) lgkmcnt(1)
	v_mfma_f32_16x16x16bf16_1k v[14:17], v[34:35], v[10:11], v[14:17]
	v_lshlrev_b64 v[34:35], 1, v[22:23]
	v_add_co_u32_e32 v22, vcc, v27, v58
	v_addc_co_u32_e32 v23, vcc, 0, v59, vcc
	global_load_dwordx4 v[22:25], v[22:23], off
	v_add_co_u32_e32 v34, vcc, s8, v34
	s_waitcnt vmcnt(7)
	v_mfma_f32_16x16x16bf16_1k v[18:21], v[46:47], v[10:11], v[18:21]
	v_addc_co_u32_e32 v28, vcc, v28, v35, vcc
	v_add_co_u32_e32 v65, vcc, v34, v29
	v_addc_co_u32_e32 v70, vcc, 0, v28, vcc
	v_add_co_u32_e32 v28, vcc, v27, v62
	v_mfma_f32_16x16x16bf16_1k v[14:17], v[36:37], v[12:13], v[14:17]
	v_addc_co_u32_e32 v29, vcc, 0, v59, vcc
	v_add_co_u32_e32 v46, vcc, v65, v26
	v_addc_co_u32_e32 v47, vcc, 0, v70, vcc
	v_add_u32_e32 v35, s10, v63
	v_mfma_f32_16x16x16bf16_1k v[18:21], v[48:49], v[12:13], v[18:21]
	v_add_co_u32_e32 v48, vcc, v65, v58
	v_addc_co_u32_e32 v49, vcc, 0, v70, vcc
	v_ashrrev_i32_e32 v60, 5, v35
	v_cmp_gt_i32_e32 vcc, s33, v63
	s_waitcnt vmcnt(6) lgkmcnt(0)
	v_mfma_f32_16x16x16bf16_1k v[14:17], v[54:55], v[50:51], v[14:17]
	s_waitcnt vmcnt(5)
	v_mfma_f32_16x16x16bf16_1k v[18:21], v[30:31], v[50:51], v[18:21]
	v_mov_b32_e32 v31, s17
	v_mfma_f32_16x16x16bf16_1k v[54:57], v[56:57], v[52:53], v[14:17]
	global_load_dwordx4 v[26:29], v[28:29], off
	s_nop 0
	global_load_dwordx4 v[34:37], v[46:47], off
	s_nop 3
	global_load_dwordx4 v[14:17], v[46:47], off offset:2048
	v_cndmask_b32_e32 v46, v64, v60, vcc
	v_ashrrev_i32_e32 v47, 31, v46
	v_lshlrev_b64 v[46:47], 2, v[46:47]
	v_add_co_u32_e32 v30, vcc, s16, v46
	v_addc_co_u32_e32 v31, vcc, v31, v47, vcc
	global_load_dword v46, v[30:31], off
	v_or_b32_e32 v30, 64, v63
	v_mfma_f32_16x16x16bf16_1k v[58:61], v[32:33], v[52:53], v[18:21]
	v_cmp_gt_i32_e32 vcc, s33, v30
	v_mov_b32_e32 v32, s17
	v_mov_b32_e32 v33, s17
	global_load_dwordx4 v[66:69], v[48:49], off
	s_nop 2
	v_add_u32_e32 v18, s10, v30
	v_ashrrev_i32_e32 v18, 5, v18
	v_cndmask_b32_e32 v18, v64, v18, vcc
	v_ashrrev_i32_e32 v19, 31, v18
	v_lshlrev_b64 v[30:31], 2, v[18:19]
	v_add_co_u32_e32 v30, vcc, s16, v30
	v_addc_co_u32_e32 v31, vcc, v32, v31, vcc
	global_load_dword v32, v[30:31], off
	s_waitcnt vmcnt(8)
	v_mfma_f32_16x16x16bf16_1k v[18:21], v[38:39], v[6:7], 0
	v_or_b32_e32 v30, 0x80, v63
	v_add_u32_e32 v31, s10, v30
	v_ashrrev_i32_e32 v31, 5, v31
	v_cmp_gt_i32_e32 vcc, s33, v30
	v_cndmask_b32_e32 v30, v64, v31, vcc
	v_ashrrev_i32_e32 v31, 31, v30
	v_lshlrev_b64 v[30:31], 2, v[30:31]
	v_mfma_f32_16x16x16bf16_1k v[18:21], v[40:41], v[8:9], v[18:21]
	v_add_co_u32_e32 v30, vcc, s16, v30
	v_addc_co_u32_e32 v31, vcc, v33, v31, vcc
	global_load_dword v33, v[30:31], off
	v_or_b32_e32 v30, 0xc0, v63
	v_add_u32_e32 v31, s10, v30
	s_waitcnt vmcnt(8)
	v_mfma_f32_16x16x16bf16_1k v[18:21], v[42:43], v[2:3], v[18:21]
	v_ashrrev_i32_e32 v31, 5, v31
	v_cmp_gt_i32_e32 vcc, s33, v30
	v_cndmask_b32_e32 v30, v64, v31, vcc
	v_ashrrev_i32_e32 v31, 31, v30
	v_lshlrev_b64 v[30:31], 2, v[30:31]
	v_mov_b32_e32 v38, s17
	v_add_co_u32_e32 v30, vcc, s16, v30
	v_mfma_f32_16x16x16bf16_1k v[18:21], v[44:45], v[4:5], v[18:21]
	v_addc_co_u32_e32 v31, vcc, v38, v31, vcc
	global_load_dword v63, v[30:31], off
	s_waitcnt vmcnt(8)
	v_mfma_f32_16x16x16bf16_1k v[18:21], v[22:23], v[10:11], v[18:21]
	v_add_co_u32_e32 v22, vcc, v65, v62
	v_addc_co_u32_e32 v23, vcc, 0, v70, vcc
	global_load_dwordx4 v[88:91], v[22:23], off
	v_and_b32_e32 v22, 16, v0
	v_lshlrev_b32_e32 v22, 1, v22
	v_mfma_f32_16x16x16bf16_1k v[18:21], v[24:25], v[12:13], v[18:21]
	v_mov_b32_e32 v23, s3
	v_add_co_u32_e32 v80, vcc, s2, v22
	v_addc_co_u32_e32 v81, vcc, 0, v23, vcc
	v_add_co_u32_e32 v22, vcc, v80, v82
	s_waitcnt vmcnt(8)
	v_mfma_f32_16x16x16bf16_1k v[18:21], v[26:27], v[50:51], v[18:21]
	v_addc_co_u32_e32 v23, vcc, 0, v81, vcc
	v_mfma_f32_16x16x16bf16_1k v[76:79], v[28:29], v[52:53], v[18:21]
	s_waitcnt vmcnt(5)
	s_nop 7
	v_mad_i64_i32 v[18:19], s[2:3], v46, s1, 0
	v_lshlrev_b64 v[70:71], 1, v[18:19]
	v_mfma_f32_16x16x16bf16_1k v[18:21], v[34:35], v[6:7], 0
	v_add_co_u32_e32 v6, vcc, v22, v70
	v_addc_co_u32_e32 v7, vcc, v23, v71, vcc
	global_load_dwordx4 v[46:49], v[6:7], off
	global_load_dwordx4 v[42:45], v[6:7], off offset:16
	v_pk_mul_f32 v[78:79], s[0:1], v[78:79] op_sel_hi:[0,1]
	s_waitcnt vmcnt(5)
	v_mad_i64_i32 v[6:7], s[2:3], v32, s1, 0
	v_lshlrev_b64 v[72:73], 1, v[6:7]
	v_mfma_f32_16x16x16bf16_1k v[6:9], v[36:37], v[8:9], v[18:21]
	v_mfma_f32_16x16x16bf16_1k v[6:9], v[14:15], v[2:3], v[6:9]
	s_nop 5
	v_add_co_u32_e32 v18, vcc, v22, v72
	v_addc_co_u32_e32 v19, vcc, v23, v73, vcc
	global_load_dwordx4 v[38:41], v[18:19], off
	global_load_dwordx4 v[34:37], v[18:19], off offset:16
	s_waitcnt vmcnt(6)
	v_mad_i64_i32 v[18:19], s[2:3], v33, s1, 0
	v_lshlrev_b64 v[64:65], 1, v[18:19]
	v_add_co_u32_e32 v2, vcc, v22, v64
	v_addc_co_u32_e32 v3, vcc, v23, v65, vcc
	global_load_dwordx4 v[30:33], v[2:3], off
	global_load_dwordx4 v[26:29], v[2:3], off offset:16
	v_mfma_f32_16x16x16bf16_1k v[2:5], v[16:17], v[4:5], v[6:9]
	v_mfma_f32_16x16x16bf16_1k v[2:5], v[66:67], v[10:11], v[2:5]
	s_waitcnt vmcnt(7)
	s_nop 4
	v_mad_i64_i32 v[6:7], s[2:3], v63, s1, 0
	v_lshlrev_b64 v[62:63], 1, v[6:7]
	v_add_co_u32_e32 v6, vcc, v22, v62
	v_addc_co_u32_e32 v7, vcc, v23, v63, vcc
	v_mfma_f32_16x16x16bf16_1k v[10:13], v[68:69], v[12:13], v[2:5]
	global_load_dwordx4 v[22:25], v[6:7], off
	global_load_dwordx4 v[18:21], v[6:7], off offset:16
	v_or_b32_e32 v6, 0x1000, v82
	v_add_co_u32_e32 v86, vcc, v80, v6
	v_addc_co_u32_e32 v74, vcc, 0, v81, vcc
	s_nop 1
	v_add_co_u32_e32 v2, vcc, v86, v70
	s_waitcnt vmcnt(8)
	v_mfma_f32_16x16x16bf16_1k v[92:95], v[88:89], v[50:51], v[10:13]
	v_addc_co_u32_e32 v3, vcc, v74, v71, vcc
	v_add_co_u32_e32 v66, vcc, v86, v72
	v_addc_co_u32_e32 v67, vcc, v74, v73, vcc
	v_pk_mul_f32 v[72:73], s[0:1], v[76:77] op_sel_hi:[0,1]
	v_mfma_f32_16x16x16bf16_1k v[50:53], v[90:91], v[52:53], v[92:95]
	global_load_dwordx4 v[6:9], v[2:3], off
	s_nop 0
	global_load_dwordx4 v[2:5], v[2:3], off offset:16
	s_nop 0
	global_load_dwordx4 v[14:17], v[66:67], off
	global_load_dwordx4 v[10:13], v[66:67], off offset:16
	v_pk_mul_f32 v[68:69], s[0:1], v[54:55] op_sel_hi:[0,1]
	v_pk_mul_f32 v[80:81], s[0:1], v[56:57] op_sel_hi:[0,1]
	;; [unrolled: 1-line block ×4, first 2 shown]
	s_nop 0
	v_pk_mul_f32 v[76:77], s[0:1], v[50:51] op_sel_hi:[0,1]
	v_and_b32_e32 v50, 0xc0, v0
	v_add_u32_e32 v50, s9, v50
	v_lshl_or_b32 v50, v84, 2, v50
	v_pk_mul_f32 v[66:67], s[0:1], v[52:53] op_sel_hi:[0,1]
	v_or_b32_e32 v53, 1, v50
	v_mov_b32_e32 v51, 0xff7fffff
	v_cmp_gt_i32_e64 s[28:29], s33, v50
	v_cmp_gt_i32_e64 s[30:31], s33, v53
	v_cndmask_b32_e64 v52, v51, v68, s[28:29]
	v_cndmask_b32_e64 v53, v51, v69, s[30:31]
	v_max3_f32 v52, v52, s41, v53
	v_or_b32_e32 v53, 2, v50
	v_or_b32_e32 v54, 3, v50
	v_cmp_gt_i32_e64 s[34:35], s33, v53
	v_cmp_gt_i32_e64 s[36:37], s33, v54
	v_cndmask_b32_e64 v53, v51, v80, s[34:35]
	v_cndmask_b32_e64 v54, v51, v81, s[36:37]
	v_max3_f32 v52, v52, v53, v54
	v_or_b32_e32 v53, 16, v50
	v_or_b32_e32 v54, 17, v50
	;; [unrolled: 7-line block ×7, first 2 shown]
	v_cmp_gt_i32_e32 vcc, s33, v53
	v_cmp_gt_i32_e64 s[0:1], s33, v50
	v_cndmask_b32_e32 v53, v51, v66, vcc
	v_cndmask_b32_e64 v50, v51, v67, s[0:1]
	v_max3_f32 v58, v52, v53, v50
	v_mbcnt_lo_u32_b32 v50, -1, 0
	v_mbcnt_hi_u32_b32 v59, -1, v50
	v_and_b32_e32 v50, 64, v59
	v_add_u32_e32 v60, 64, v50
	v_xor_b32_e32 v50, 32, v59
	v_cmp_lt_i32_e64 s[38:39], v50, v60
	v_cndmask_b32_e64 v50, v59, v50, s[38:39]
	v_lshlrev_b32_e32 v75, 2, v50
	ds_bpermute_b32 v61, v75, v58
	v_add_co_u32_e64 v50, s[38:39], v86, v64
	v_addc_co_u32_e64 v51, s[38:39], v74, v65, s[38:39]
	s_waitcnt lgkmcnt(0)
	v_max_f32_e32 v61, v61, v61
	v_max_f32_e32 v61, v58, v61
	v_xor_b32_e32 v58, 16, v59
	v_cmp_lt_i32_e64 s[38:39], v58, v60
	v_cndmask_b32_e64 v58, v59, v58, s[38:39]
	v_lshlrev_b32_e32 v90, 2, v58
	ds_bpermute_b32 v60, v90, v61
	v_add_co_u32_e64 v58, s[38:39], v86, v62
	v_addc_co_u32_e64 v59, s[38:39], v74, v63, s[38:39]
	s_waitcnt lgkmcnt(0)
	v_max_f32_e32 v60, v60, v60
	v_max_f32_e32 v88, v61, v60
	v_sub_f32_e32 v60, v68, v88
	v_mul_f32_e32 v60, 0x3fb8aa3b, v60
	v_exp_f32_e32 v68, v60
	v_sub_f32_e32 v60, v69, v88
	v_mul_f32_e32 v60, 0x3fb8aa3b, v60
	global_load_dwordx4 v[54:57], v[50:51], off
	s_nop 0
	global_load_dwordx4 v[50:53], v[50:51], off offset:16
	v_exp_f32_e32 v69, v60
	global_load_dwordx4 v[62:65], v[58:59], off
	s_nop 0
	global_load_dwordx4 v[58:61], v[58:59], off offset:16
	v_sub_f32_e32 v80, v80, v88
	v_mul_f32_e32 v80, 0x3fb8aa3b, v80
	v_sub_f32_e32 v81, v81, v88
	v_exp_f32_e32 v80, v80
	v_mul_f32_e32 v81, 0x3fb8aa3b, v81
	v_sub_f32_e32 v70, v70, v88
	v_exp_f32_e32 v81, v81
	v_mul_f32_e32 v70, 0x3fb8aa3b, v70
	v_sub_f32_e32 v71, v71, v88
	v_cndmask_b32_e64 v68, 0, v68, s[28:29]
	v_exp_f32_e32 v70, v70
	v_mul_f32_e32 v71, 0x3fb8aa3b, v71
	v_sub_f32_e32 v82, v82, v88
	v_add_f32_e32 v74, 0, v68
	v_cndmask_b32_e64 v69, 0, v69, s[30:31]
	v_exp_f32_e32 v71, v71
	v_mul_f32_e32 v82, 0x3fb8aa3b, v82
	v_sub_f32_e32 v83, v83, v88
	v_add_f32_e32 v74, v74, v69
	;; [unrolled: 5-line block ×10, first 2 shown]
	v_cndmask_b32_e64 v78, 0, v78, s[10:11]
	v_exp_f32_e32 v66, v66
	v_mul_f32_e32 v67, 0x3fb8aa3b, v67
	v_add_f32_e32 v74, v74, v78
	v_cndmask_b32_e64 v79, 0, v79, s[12:13]
	v_exp_f32_e32 v67, v67
	v_add_f32_e32 v74, v74, v79
	v_cndmask_b32_e64 v76, 0, v76, s[2:3]
	v_add_f32_e32 v74, v74, v76
	v_cndmask_b32_e64 v77, 0, v77, s[8:9]
	v_add_f32_e32 v74, v74, v77
	v_cndmask_b32_e32 v66, 0, v66, vcc
	v_add_f32_e32 v74, v74, v66
	v_cndmask_b32_e64 v67, 0, v67, s[0:1]
	v_add_f32_e32 v74, v74, v67
	ds_bpermute_b32 v75, v75, v74
	s_waitcnt lgkmcnt(0)
	s_barrier
	v_add_f32_e32 v89, v74, v75
	ds_bpermute_b32 v90, v90, v89
	v_and_b32_e32 v74, 63, v0
	v_cmp_gt_u32_e32 vcc, 16, v74
	s_and_saveexec_b64 s[0:1], vcc
	s_cbranch_execz .LBB371_15
; %bb.14:
	s_waitcnt lgkmcnt(0)
	v_add_f32_e32 v74, v89, v90
	v_lshlrev_b32_e32 v75, 2, v87
	ds_write2st64_b32 v75, v88, v74 offset1:1
.LBB371_15:
	s_or_b64 exec, exec, s[0:1]
	v_lshlrev_b32_e32 v74, 2, v1
	s_load_dword s2, s[4:5], 0x94
	s_waitcnt lgkmcnt(0)
	s_barrier
	ds_read2_b32 v[88:89], v74 offset1:16
	ds_read2_b32 v[90:91], v74 offset0:32 offset1:48
	ds_read2_b32 v[92:93], v74 offset0:64 offset1:80
	s_movk_i32 s8, 0x7fff
	s_mov_b32 s9, 0x7060302
	s_waitcnt lgkmcnt(2)
	v_max3_f32 v75, v88, s41, v89
	s_waitcnt lgkmcnt(1)
	v_max3_f32 v86, v75, v90, v91
	v_sub_f32_e32 v75, v88, v86
	v_sub_f32_e32 v87, v89, v86
	v_mul_f32_e32 v75, 0x3fb8aa3b, v75
	v_mul_f32_e32 v87, 0x3fb8aa3b, v87
	v_exp_f32_e32 v75, v75
	v_exp_f32_e32 v94, v87
	v_sub_f32_e32 v87, v90, v86
	v_mul_f32_e32 v87, 0x3fb8aa3b, v87
	ds_read2_b32 v[88:89], v74 offset0:96 offset1:112
	v_sub_f32_e32 v74, v91, v86
	v_exp_f32_e32 v90, v87
	v_mul_f32_e32 v74, 0x3fb8aa3b, v74
	v_exp_f32_e32 v74, v74
	s_waitcnt lgkmcnt(1)
	v_fma_f32 v87, v75, v92, 0
	v_fmac_f32_e32 v87, v94, v93
	s_waitcnt lgkmcnt(0)
	v_fmac_f32_e32 v87, v90, v88
	v_fmac_f32_e32 v87, v74, v89
	v_add_f32_e32 v88, 0x358637bd, v87
	v_div_scale_f32 v89, s[0:1], v88, v88, 1.0
	v_rcp_f32_e32 v91, v89
	s_barrier
	v_fma_f32 v92, -v89, v91, 1.0
	v_fmac_f32_e32 v91, v92, v91
	v_div_scale_f32 v92, vcc, 1.0, v88, 1.0
	v_mul_f32_e32 v93, v92, v91
	v_fma_f32 v95, -v89, v93, v92
	v_fmac_f32_e32 v93, v95, v91
	v_fma_f32 v89, -v89, v93, v92
	v_div_fmas_f32 v89, v89, v91, v93
	v_cmp_eq_u32_e32 vcc, 1, v85
	v_cndmask_b32_e32 v75, v75, v94, vcc
	v_cmp_eq_u32_e32 vcc, 2, v85
	v_cndmask_b32_e32 v75, v75, v90, vcc
	v_cmp_eq_u32_e32 vcc, 3, v85
	v_div_fixup_f32 v88, v89, v88, 1.0
	v_cndmask_b32_e32 v74, v75, v74, vcc
	v_mul_f32_e32 v88, v74, v88
	v_pk_mul_f32 v[68:69], v[88:89], v[68:69] op_sel_hi:[0,1]
	v_bfe_u32 v74, v69, 16, 1
	v_bfe_u32 v75, v68, 16, 1
	v_pk_mul_f32 v[80:81], v[88:89], v[80:81] op_sel_hi:[0,1]
	v_add3_u32 v68, v68, v75, s8
	v_add3_u32 v69, v69, v74, s8
	v_perm_b32 v90, v69, v68, s9
	v_bfe_u32 v68, v81, 16, 1
	v_bfe_u32 v69, v80, 16, 1
	v_add3_u32 v69, v80, v69, s8
	v_add3_u32 v68, v81, v68, s8
	v_perm_b32 v91, v68, v69, s9
	v_lshlrev_b32_e32 v69, 3, v84
	v_lshlrev_b32_e32 v68, 5, v1
	;; [unrolled: 1-line block ×3, first 2 shown]
	v_pk_mul_f32 v[70:71], v[88:89], v[70:71] op_sel_hi:[0,1]
	v_or3_b32 v80, v74, v68, v69
	v_bfe_u32 v69, v71, 16, 1
	v_bfe_u32 v74, v70, 16, 1
	v_pk_mul_f32 v[82:83], v[88:89], v[82:83] op_sel_hi:[0,1]
	v_add3_u32 v70, v70, v74, s8
	v_add3_u32 v69, v71, v69, s8
	v_perm_b32 v70, v69, v70, s9
	v_bfe_u32 v69, v83, 16, 1
	v_bfe_u32 v71, v82, 16, 1
	v_add3_u32 v71, v82, v71, s8
	v_add3_u32 v69, v83, v69, s8
	v_pk_mul_f32 v[72:73], v[88:89], v[72:73] op_sel_hi:[0,1]
	v_perm_b32 v71, v69, v71, s9
	v_bfe_u32 v69, v73, 16, 1
	v_bfe_u32 v74, v72, 16, 1
	ds_write2st64_b64 v80, v[90:91], v[70:71] offset1:1
	v_pk_mul_f32 v[70:71], v[88:89], v[78:79] op_sel_hi:[0,1]
	v_add3_u32 v72, v72, v74, s8
	v_add3_u32 v69, v73, v69, s8
	v_perm_b32 v72, v69, v72, s9
	v_bfe_u32 v69, v71, 16, 1
	v_bfe_u32 v73, v70, 16, 1
	v_add3_u32 v70, v70, v73, s8
	v_add3_u32 v69, v71, v69, s8
	v_perm_b32 v73, v69, v70, s9
	v_pk_mul_f32 v[70:71], v[88:89], v[76:77] op_sel_hi:[0,1]
	v_bfe_u32 v69, v71, 16, 1
	v_bfe_u32 v74, v70, 16, 1
	v_pk_mul_f32 v[66:67], v[88:89], v[66:67] op_sel_hi:[0,1]
	v_add3_u32 v70, v70, v74, s8
	v_add3_u32 v69, v71, v69, s8
	v_perm_b32 v70, v69, v70, s9
	v_bfe_u32 v69, v67, 16, 1
	v_bfe_u32 v71, v66, 16, 1
	v_add3_u32 v66, v66, v71, s8
	v_add3_u32 v67, v67, v69, s8
	s_lshl_b32 s3, s40, 3
	v_perm_b32 v71, v67, v66, s9
	v_cmp_gt_u32_e32 vcc, 8, v0
	ds_write2st64_b64 v80, v[72:73], v[70:71] offset0:2 offset1:3
	s_and_saveexec_b64 s[0:1], vcc
	s_cbranch_execz .LBB371_17
; %bb.16:
	v_or_b32_e32 v66, s27, v0
	v_mov_b32_e32 v67, 0
	v_mov_b32_e32 v69, s3
	v_mad_u64_u32 v[70:71], s[10:11], s6, v69, v[66:67]
	v_mov_b32_e32 v66, s26
	s_load_dwordx4 s[12:15], s[4:5], 0x58
	s_mul_i32 s7, s7, s3
	v_mad_u64_u32 v[66:67], s[10:11], v70, s2, v[66:67]
	v_add_u32_e32 v69, s7, v71
	v_mov_b32_e32 v70, v67
	v_mad_u64_u32 v[70:71], s[10:11], v69, s2, v[70:71]
	v_mov_b32_e32 v67, v70
	v_lshlrev_b64 v[66:67], 2, v[66:67]
	s_waitcnt lgkmcnt(0)
	v_mov_b32_e32 v69, s15
	v_add_co_u32_e32 v70, vcc, s14, v66
	v_addc_co_u32_e32 v71, vcc, v69, v67, vcc
	v_mov_b32_e32 v69, s13
	v_add_co_u32_e32 v66, vcc, s12, v66
	v_addc_co_u32_e32 v67, vcc, v69, v67, vcc
	global_store_dword v[70:71], v86, off
	global_store_dword v[66:67], v87, off
.LBB371_17:
	s_or_b64 exec, exec, s[0:1]
	v_lshl_or_b32 v74, v84, 9, v68
	s_waitcnt lgkmcnt(0)
	s_barrier
	ds_read_b128 v[70:73], v74
	ds_read_b128 v[66:69], v74 offset:16
	s_waitcnt vmcnt(15) lgkmcnt(1)
	v_mfma_f32_16x16x16bf16_1k v[76:79], v[46:47], v[70:71], 0
	s_mov_b32 s1, 0
	v_cmp_gt_u32_e32 vcc, 64, v0
	v_mfma_f32_16x16x16bf16_1k v[46:49], v[48:49], v[72:73], v[76:79]
	s_waitcnt vmcnt(14) lgkmcnt(0)
	v_mfma_f32_16x16x16bf16_1k v[46:49], v[42:43], v[66:67], v[46:49]
	v_mfma_f32_16x16x16bf16_1k v[42:45], v[44:45], v[68:69], v[46:49]
	s_nop 7
	s_nop 1
	ds_read_b128 v[46:49], v74 offset:2048
	ds_read_b128 v[76:79], v74 offset:2064
	s_waitcnt vmcnt(13) lgkmcnt(1)
	v_mfma_f32_16x16x16bf16_1k v[42:45], v[38:39], v[46:47], v[42:45]
	v_mfma_f32_16x16x16bf16_1k v[38:41], v[40:41], v[48:49], v[42:45]
	s_waitcnt vmcnt(12) lgkmcnt(0)
	v_mfma_f32_16x16x16bf16_1k v[38:41], v[34:35], v[76:77], v[38:41]
	v_mfma_f32_16x16x16bf16_1k v[34:37], v[36:37], v[78:79], v[38:41]
	s_nop 7
	s_nop 1
	ds_read_b128 v[38:41], v74 offset:4096
	ds_read_b128 v[42:45], v74 offset:4112
	s_waitcnt vmcnt(11) lgkmcnt(1)
	v_mfma_f32_16x16x16bf16_1k v[34:37], v[30:31], v[38:39], v[34:37]
	v_mfma_f32_16x16x16bf16_1k v[30:33], v[32:33], v[40:41], v[34:37]
	s_waitcnt vmcnt(10) lgkmcnt(0)
	v_mfma_f32_16x16x16bf16_1k v[30:33], v[26:27], v[42:43], v[30:33]
	v_mfma_f32_16x16x16bf16_1k v[26:29], v[28:29], v[44:45], v[30:33]
	s_nop 7
	s_nop 1
	ds_read_b128 v[30:33], v74 offset:6144
	ds_read_b128 v[34:37], v74 offset:6160
	s_waitcnt lgkmcnt(0)
	s_barrier
	s_waitcnt vmcnt(9)
	v_mfma_f32_16x16x16bf16_1k v[26:29], v[22:23], v[30:31], v[26:29]
	v_mfma_f32_16x16x16bf16_1k v[22:25], v[24:25], v[32:33], v[26:29]
	s_waitcnt vmcnt(8)
	v_mfma_f32_16x16x16bf16_1k v[22:25], v[18:19], v[34:35], v[22:25]
	v_mfma_f32_16x16x16bf16_1k v[18:21], v[20:21], v[36:37], v[22:25]
	;; [unrolled: 3-line block ×4, first 2 shown]
	s_waitcnt vmcnt(5)
	v_mfma_f32_16x16x16bf16_1k v[2:5], v[14:15], v[46:47], v[2:5]
	s_nop 7
	v_bfe_u32 v6, v19, 16, 1
	v_bfe_u32 v7, v18, 16, 1
	v_add3_u32 v7, v18, v7, s8
	v_add3_u32 v6, v19, v6, s8
	v_perm_b32 v6, v6, v7, s9
	v_bfe_u32 v7, v21, 16, 1
	v_bfe_u32 v8, v20, 16, 1
	v_mfma_f32_16x16x16bf16_1k v[2:5], v[16:17], v[48:49], v[2:5]
	v_add3_u32 v8, v20, v8, s8
	v_add3_u32 v7, v21, v7, s8
	v_perm_b32 v7, v7, v8, s9
	s_waitcnt vmcnt(4)
	v_mfma_f32_16x16x16bf16_1k v[2:5], v[10:11], v[76:77], v[2:5]
	v_mfma_f32_16x16x16bf16_1k v[2:5], v[12:13], v[78:79], v[2:5]
	s_waitcnt vmcnt(3)
	v_mfma_f32_16x16x16bf16_1k v[2:5], v[54:55], v[38:39], v[2:5]
	v_mfma_f32_16x16x16bf16_1k v[2:5], v[56:57], v[40:41], v[2:5]
	;; [unrolled: 3-line block ×5, first 2 shown]
	s_nop 7
	s_nop 2
	v_bfe_u32 v8, v3, 16, 1
	v_bfe_u32 v9, v2, 16, 1
	v_add3_u32 v2, v2, v9, s8
	v_add3_u32 v3, v3, v8, s8
	v_perm_b32 v2, v3, v2, s9
	v_bfe_u32 v3, v5, 16, 1
	v_bfe_u32 v8, v4, 16, 1
	v_add3_u32 v4, v4, v8, s8
	v_add3_u32 v3, v5, v3, s8
	v_perm_b32 v3, v3, v4, s9
	ds_write2st64_b64 v80, v[6:7], v[2:3] offset1:1
	s_waitcnt lgkmcnt(0)
	s_barrier
	s_and_saveexec_b64 s[8:9], vcc
	s_cbranch_execz .LBB371_19
; %bb.18:
	v_lshlrev_b32_e32 v1, 6, v1
	v_lshlrev_b32_e32 v3, 4, v0
	v_lshl_or_b32 v0, v0, 10, v1
	v_lshlrev_b32_e32 v2, 5, v84
	v_and_b32_e32 v3, 16, v3
	v_and_b32_e32 v0, 0x1a00, v0
	v_or3_b32 v4, v0, v2, v3
	ds_read_b128 v[0:3], v4
	ds_read_b128 v[4:7], v4 offset:128
	buffer_load_dword v10, off, s[44:47], 0 ; 4-byte Folded Reload
	buffer_load_dword v11, off, s[44:47], 0 offset:4 ; 4-byte Folded Reload
	s_load_dwordx2 s[4:5], s[4:5], 0x68
	s_lshl_b32 s7, s2, 7
	s_mul_i32 s0, s3, s6
	s_mul_hi_u32 s3, s0, s7
	s_mul_i32 s2, s0, s7
	s_lshl_b64 s[2:3], s[2:3], 1
	s_waitcnt lgkmcnt(0)
	s_add_u32 s2, s4, s2
	s_addc_u32 s3, s5, s3
	s_lshl_b32 s0, s26, 7
	s_lshl_b64 s[0:1], s[0:1], 1
	s_add_u32 s0, s2, s0
	s_addc_u32 s1, s3, s1
	v_mov_b32_e32 v8, s1
	v_or_b32_e32 v12, s27, v84
	s_waitcnt vmcnt(1)
	v_add_co_u32_e32 v10, vcc, s0, v10
	s_waitcnt vmcnt(0)
	v_addc_co_u32_e32 v11, vcc, v8, v11, vcc
	v_mad_u64_u32 v[8:9], s[0:1], v12, s7, 0
	v_lshlrev_b64 v[8:9], 1, v[8:9]
	v_add_co_u32_e32 v8, vcc, v10, v8
	v_addc_co_u32_e32 v9, vcc, v11, v9, vcc
	global_store_dwordx4 v[8:9], v[0:3], off
	s_nop 0
	v_or_b32_e32 v0, 4, v12
	v_mad_u64_u32 v[0:1], s[0:1], v0, s7, 0
	v_lshlrev_b64 v[0:1], 1, v[0:1]
	v_add_co_u32_e32 v0, vcc, v10, v0
	v_addc_co_u32_e32 v1, vcc, v11, v1, vcc
	global_store_dwordx4 v[0:1], v[4:7], off
.LBB371_19:
	s_endpgm
	.section	.rodata,"a",@progbits
	.p2align	6, 0x0
	.amdhsa_kernel _Z39paged_attention_ll4mi_QKV_mfma16_kernelI14__hip_bfloat16S0_LN4vllm18Fp8KVCacheDataTypeE0ES0_Li32ELi128ELi256ELb0ELi8EL8MFMAType0EEvPKT_PKT0_S9_ifPKiSB_SB_iPKfiiiPfSE_PS4_PT2_iSD_SD_
		.amdhsa_group_segment_fixed_size 8192
		.amdhsa_private_segment_fixed_size 12
		.amdhsa_kernarg_size 400
		.amdhsa_user_sgpr_count 6
		.amdhsa_user_sgpr_private_segment_buffer 1
		.amdhsa_user_sgpr_dispatch_ptr 0
		.amdhsa_user_sgpr_queue_ptr 0
		.amdhsa_user_sgpr_kernarg_segment_ptr 1
		.amdhsa_user_sgpr_dispatch_id 0
		.amdhsa_user_sgpr_flat_scratch_init 0
		.amdhsa_user_sgpr_kernarg_preload_length 0
		.amdhsa_user_sgpr_kernarg_preload_offset 0
		.amdhsa_user_sgpr_private_segment_size 0
		.amdhsa_uses_dynamic_stack 0
		.amdhsa_system_sgpr_private_segment_wavefront_offset 1
		.amdhsa_system_sgpr_workgroup_id_x 1
		.amdhsa_system_sgpr_workgroup_id_y 1
		.amdhsa_system_sgpr_workgroup_id_z 1
		.amdhsa_system_sgpr_workgroup_info 0
		.amdhsa_system_vgpr_workitem_id 0
		.amdhsa_next_free_vgpr 96
		.amdhsa_next_free_sgpr 48
		.amdhsa_accum_offset 96
		.amdhsa_reserve_vcc 1
		.amdhsa_reserve_flat_scratch 0
		.amdhsa_float_round_mode_32 0
		.amdhsa_float_round_mode_16_64 0
		.amdhsa_float_denorm_mode_32 3
		.amdhsa_float_denorm_mode_16_64 3
		.amdhsa_dx10_clamp 1
		.amdhsa_ieee_mode 1
		.amdhsa_fp16_overflow 0
		.amdhsa_tg_split 0
		.amdhsa_exception_fp_ieee_invalid_op 0
		.amdhsa_exception_fp_denorm_src 0
		.amdhsa_exception_fp_ieee_div_zero 0
		.amdhsa_exception_fp_ieee_overflow 0
		.amdhsa_exception_fp_ieee_underflow 0
		.amdhsa_exception_fp_ieee_inexact 0
		.amdhsa_exception_int_div_zero 0
	.end_amdhsa_kernel
	.section	.text._Z39paged_attention_ll4mi_QKV_mfma16_kernelI14__hip_bfloat16S0_LN4vllm18Fp8KVCacheDataTypeE0ES0_Li32ELi128ELi256ELb0ELi8EL8MFMAType0EEvPKT_PKT0_S9_ifPKiSB_SB_iPKfiiiPfSE_PS4_PT2_iSD_SD_,"axG",@progbits,_Z39paged_attention_ll4mi_QKV_mfma16_kernelI14__hip_bfloat16S0_LN4vllm18Fp8KVCacheDataTypeE0ES0_Li32ELi128ELi256ELb0ELi8EL8MFMAType0EEvPKT_PKT0_S9_ifPKiSB_SB_iPKfiiiPfSE_PS4_PT2_iSD_SD_,comdat
.Lfunc_end371:
	.size	_Z39paged_attention_ll4mi_QKV_mfma16_kernelI14__hip_bfloat16S0_LN4vllm18Fp8KVCacheDataTypeE0ES0_Li32ELi128ELi256ELb0ELi8EL8MFMAType0EEvPKT_PKT0_S9_ifPKiSB_SB_iPKfiiiPfSE_PS4_PT2_iSD_SD_, .Lfunc_end371-_Z39paged_attention_ll4mi_QKV_mfma16_kernelI14__hip_bfloat16S0_LN4vllm18Fp8KVCacheDataTypeE0ES0_Li32ELi128ELi256ELb0ELi8EL8MFMAType0EEvPKT_PKT0_S9_ifPKiSB_SB_iPKfiiiPfSE_PS4_PT2_iSD_SD_
                                        ; -- End function
	.section	.AMDGPU.csdata,"",@progbits
; Kernel info:
; codeLenInByte = 5044
; NumSgprs: 52
; NumVgprs: 96
; NumAgprs: 0
; TotalNumVgprs: 96
; ScratchSize: 12
; MemoryBound: 0
; FloatMode: 240
; IeeeMode: 1
; LDSByteSize: 8192 bytes/workgroup (compile time only)
; SGPRBlocks: 6
; VGPRBlocks: 11
; NumSGPRsForWavesPerEU: 52
; NumVGPRsForWavesPerEU: 96
; AccumOffset: 96
; Occupancy: 5
; WaveLimiterHint : 1
; COMPUTE_PGM_RSRC2:SCRATCH_EN: 1
; COMPUTE_PGM_RSRC2:USER_SGPR: 6
; COMPUTE_PGM_RSRC2:TRAP_HANDLER: 0
; COMPUTE_PGM_RSRC2:TGID_X_EN: 1
; COMPUTE_PGM_RSRC2:TGID_Y_EN: 1
; COMPUTE_PGM_RSRC2:TGID_Z_EN: 1
; COMPUTE_PGM_RSRC2:TIDIG_COMP_CNT: 0
; COMPUTE_PGM_RSRC3_GFX90A:ACCUM_OFFSET: 23
; COMPUTE_PGM_RSRC3_GFX90A:TG_SPLIT: 0
	.section	.text._Z39paged_attention_ll4mi_QKV_mfma16_kernelI14__hip_bfloat16S0_LN4vllm18Fp8KVCacheDataTypeE0ES0_Li32ELi128ELi256ELb0ELi9EL8MFMAType0EEvPKT_PKT0_S9_ifPKiSB_SB_iPKfiiiPfSE_PS4_PT2_iSD_SD_,"axG",@progbits,_Z39paged_attention_ll4mi_QKV_mfma16_kernelI14__hip_bfloat16S0_LN4vllm18Fp8KVCacheDataTypeE0ES0_Li32ELi128ELi256ELb0ELi9EL8MFMAType0EEvPKT_PKT0_S9_ifPKiSB_SB_iPKfiiiPfSE_PS4_PT2_iSD_SD_,comdat
	.protected	_Z39paged_attention_ll4mi_QKV_mfma16_kernelI14__hip_bfloat16S0_LN4vllm18Fp8KVCacheDataTypeE0ES0_Li32ELi128ELi256ELb0ELi9EL8MFMAType0EEvPKT_PKT0_S9_ifPKiSB_SB_iPKfiiiPfSE_PS4_PT2_iSD_SD_ ; -- Begin function _Z39paged_attention_ll4mi_QKV_mfma16_kernelI14__hip_bfloat16S0_LN4vllm18Fp8KVCacheDataTypeE0ES0_Li32ELi128ELi256ELb0ELi9EL8MFMAType0EEvPKT_PKT0_S9_ifPKiSB_SB_iPKfiiiPfSE_PS4_PT2_iSD_SD_
	.globl	_Z39paged_attention_ll4mi_QKV_mfma16_kernelI14__hip_bfloat16S0_LN4vllm18Fp8KVCacheDataTypeE0ES0_Li32ELi128ELi256ELb0ELi9EL8MFMAType0EEvPKT_PKT0_S9_ifPKiSB_SB_iPKfiiiPfSE_PS4_PT2_iSD_SD_
	.p2align	8
	.type	_Z39paged_attention_ll4mi_QKV_mfma16_kernelI14__hip_bfloat16S0_LN4vllm18Fp8KVCacheDataTypeE0ES0_Li32ELi128ELi256ELb0ELi9EL8MFMAType0EEvPKT_PKT0_S9_ifPKiSB_SB_iPKfiiiPfSE_PS4_PT2_iSD_SD_,@function
_Z39paged_attention_ll4mi_QKV_mfma16_kernelI14__hip_bfloat16S0_LN4vllm18Fp8KVCacheDataTypeE0ES0_Li32ELi128ELi256ELb0ELi9EL8MFMAType0EEvPKT_PKT0_S9_ifPKiSB_SB_iPKfiiiPfSE_PS4_PT2_iSD_SD_: ; @_Z39paged_attention_ll4mi_QKV_mfma16_kernelI14__hip_bfloat16S0_LN4vllm18Fp8KVCacheDataTypeE0ES0_Li32ELi128ELi256ELb0ELi9EL8MFMAType0EEvPKT_PKT0_S9_ifPKiSB_SB_iPKfiiiPfSE_PS4_PT2_iSD_SD_
; %bb.0:
	s_mov_b64 s[46:47], s[2:3]
	s_mov_b64 s[44:45], s[0:1]
	s_load_dwordx2 s[0:1], s[4:5], 0x30
	s_add_u32 s44, s44, s9
	s_addc_u32 s45, s45, 0
	s_mov_b32 s26, s7
	s_mov_b64 s[10:11], 0
	s_waitcnt lgkmcnt(0)
	s_cmp_lg_u64 s[0:1], 0
	s_cselect_b64 s[2:3], -1, 0
	s_and_b64 vcc, exec, s[2:3]
	s_cbranch_vccz .LBB372_7
; %bb.1:
	s_add_i32 s12, s6, 1
	s_mov_b32 s13, 0
	s_lshl_b64 s[14:15], s[12:13], 2
	s_add_u32 s14, s0, s14
	s_mov_b32 s7, s13
	s_addc_u32 s15, s1, s15
	s_lshl_b64 s[12:13], s[6:7], 2
	s_add_u32 s12, s0, s12
	s_addc_u32 s13, s1, s13
	s_load_dword s9, s[14:15], 0x0
	s_load_dword s16, s[12:13], 0x0
	s_waitcnt lgkmcnt(0)
	s_sub_i32 s9, s9, s16
	s_cmp_eq_u32 s9, 1
	s_cselect_b64 s[12:13], -1, 0
	s_andn2_b64 vcc, exec, s[10:11]
	s_cbranch_vccnz .LBB372_3
.LBB372_2:
	s_mov_b32 s7, 0
	s_mov_b64 s[12:13], -1
.LBB372_3:
	s_andn2_b64 vcc, exec, s[12:13]
	s_cbranch_vccnz .LBB372_20
; %bb.4:
	s_load_dwordx2 s[12:13], s[4:5], 0x28
	s_lshl_b64 s[10:11], s[6:7], 2
	s_waitcnt lgkmcnt(0)
	s_add_u32 s12, s12, s10
	s_addc_u32 s13, s13, s11
	s_load_dword s33, s[12:13], 0x0
	s_lshl_b32 s9, s26, 8
	s_waitcnt lgkmcnt(0)
	s_cmp_ge_i32 s9, s33
	s_cbranch_scc1 .LBB372_20
; %bb.5:
	s_add_i32 s15, s33, 31
	s_load_dwordx2 s[12:13], s[4:5], 0x20
	s_load_dword s14, s[4:5], 0x38
	s_ashr_i32 s16, s15, 31
	v_and_b32_e32 v1, 0xcf, v0
	s_lshr_b32 s16, s16, 27
	v_add_u32_e32 v1, s9, v1
	s_add_i32 s15, s15, s16
	v_ashrrev_i32_e32 v2, 31, v1
	s_ashr_i32 s18, s15, 5
	v_lshrrev_b32_e32 v10, 27, v2
	s_add_i32 s18, s18, -1
	v_add_u32_e32 v2, v1, v10
	s_waitcnt lgkmcnt(0)
	s_mul_i32 s14, s6, s14
	s_mov_b32 s15, 0
	v_ashrrev_i32_e32 v2, 5, v2
	v_mov_b32_e32 v11, s18
	v_cmp_gt_i32_e32 vcc, s33, v1
	s_lshl_b64 s[14:15], s[14:15], 2
	v_cndmask_b32_e32 v2, v11, v2, vcc
	s_add_u32 s16, s12, s14
	v_ashrrev_i32_e32 v3, 31, v2
	s_addc_u32 s17, s13, s15
	v_lshlrev_b64 v[2:3], 2, v[2:3]
	v_mov_b32_e32 v4, s17
	v_add_co_u32_e32 v2, vcc, s16, v2
	v_addc_co_u32_e32 v3, vcc, v4, v3, vcc
	v_or_b32_e32 v4, 16, v1
	v_add_u32_e32 v5, v4, v10
	v_ashrrev_i32_e32 v5, 5, v5
	v_cmp_gt_i32_e32 vcc, s33, v4
	v_cndmask_b32_e32 v4, v11, v5, vcc
	v_ashrrev_i32_e32 v5, 31, v4
	v_lshlrev_b64 v[4:5], 2, v[4:5]
	v_mov_b32_e32 v7, s17
	v_add_co_u32_e32 v6, vcc, s16, v4
	v_or_b32_e32 v4, 32, v1
	v_addc_co_u32_e32 v7, vcc, v7, v5, vcc
	v_add_u32_e32 v5, v4, v10
	v_ashrrev_i32_e32 v5, 5, v5
	v_cmp_gt_i32_e32 vcc, s33, v4
	v_cndmask_b32_e32 v4, v11, v5, vcc
	v_ashrrev_i32_e32 v5, 31, v4
	v_lshlrev_b64 v[4:5], 2, v[4:5]
	v_mov_b32_e32 v9, s17
	v_add_co_u32_e32 v8, vcc, s16, v4
	v_or_b32_e32 v1, 48, v1
	v_addc_co_u32_e32 v9, vcc, v9, v5, vcc
	v_add_u32_e32 v4, v1, v10
	v_ashrrev_i32_e32 v4, 5, v4
	v_cmp_gt_i32_e32 vcc, s33, v1
	v_cndmask_b32_e32 v4, v11, v4, vcc
	v_ashrrev_i32_e32 v5, 31, v4
	v_lshlrev_b64 v[4:5], 2, v[4:5]
	v_mov_b32_e32 v1, s17
	v_add_co_u32_e32 v10, vcc, s16, v4
	v_addc_co_u32_e32 v11, vcc, v1, v5, vcc
	global_load_dword v5, v[2:3], off
	global_load_dword v4, v[6:7], off
	;; [unrolled: 1-line block ×4, first 2 shown]
	s_andn2_b64 vcc, exec, s[2:3]
	s_cbranch_vccnz .LBB372_8
; %bb.6:
	s_add_u32 s0, s0, s10
	s_addc_u32 s1, s1, s11
	s_load_dword s19, s[0:1], 0x0
	s_branch .LBB372_9
.LBB372_7:
	s_mov_b64 s[12:13], 0
	s_branch .LBB372_2
.LBB372_8:
	s_mov_b32 s19, s6
.LBB372_9:
	s_load_dwordx4 s[12:15], s[4:5], 0x8
	s_load_dwordx4 s[0:3], s[4:5], 0x48
	v_lshrrev_b32_e32 v85, 6, v0
	v_bfe_u32 v1, v0, 4, 2
	v_lshl_or_b32 v6, v85, 2, v1
	v_and_b32_e32 v84, 15, v0
	v_lshlrev_b32_e32 v2, 3, v84
	v_cmp_lt_u32_e32 vcc, 8, v6
	s_and_saveexec_b64 s[10:11], vcc
	s_xor_b64 s[10:11], exec, s[10:11]
; %bb.10:
	v_mov_b32_e32 v3, 0
                                        ; implicit-def: $vgpr6
; %bb.11:
	s_or_saveexec_b64 s[10:11], s[10:11]
	s_mul_i32 s27, s8, 9
	s_xor_b64 exec, exec, s[10:11]
	s_cbranch_execz .LBB372_13
; %bb.12:
	s_load_dwordx2 s[20:21], s[4:5], 0x0
	s_waitcnt lgkmcnt(0)
	s_ashr_i32 s3, s0, 31
	s_mul_hi_u32 s22, s19, s0
	s_mul_i32 s3, s19, s3
	s_add_i32 s23, s22, s3
	s_mul_i32 s22, s19, s0
	s_lshl_b64 s[22:23], s[22:23], 1
	v_add_lshl_u32 v8, v6, s27, 7
	s_add_u32 s0, s20, s22
	v_ashrrev_i32_e32 v9, 31, v8
	s_addc_u32 s3, s21, s23
	v_lshlrev_b64 v[8:9], 1, v[8:9]
	v_mov_b32_e32 v3, s3
	v_add_co_u32_e32 v7, vcc, s0, v8
	v_addc_co_u32_e32 v3, vcc, v3, v9, vcc
	v_lshlrev_b32_e32 v8, 1, v2
	v_add_co_u32_e32 v8, vcc, v7, v8
	v_addc_co_u32_e32 v9, vcc, 0, v3, vcc
	global_load_dwordx4 v[8:11], v[8:9], off
	v_and_b32_e32 v7, 3, v0
	v_lshlrev_b32_e32 v12, 9, v84
	v_lshlrev_b32_e32 v6, 5, v6
	;; [unrolled: 1-line block ×3, first 2 shown]
	v_and_b32_e32 v12, 0x1800, v12
	v_mov_b32_e32 v3, 0
	v_or3_b32 v6, v12, v7, v6
	s_waitcnt vmcnt(0)
	ds_write_b128 v6, v[8:11]
.LBB372_13:
	s_or_b64 exec, exec, s[10:11]
	s_waitcnt lgkmcnt(0)
	s_mul_i32 s2, s8, s2
	s_mov_b32 s3, 0
	s_lshl_b64 s[2:3], s[2:3], 1
	s_add_u32 s8, s12, s2
	s_addc_u32 s10, s13, s3
	s_waitcnt vmcnt(3)
	v_mad_i64_i32 v[6:7], s[12:13], v5, s1, 0
	v_lshlrev_b64 v[6:7], 1, v[6:7]
	v_mov_b32_e32 v5, s10
	v_add_co_u32_e32 v6, vcc, s8, v6
	v_addc_co_u32_e32 v5, vcc, v5, v7, vcc
	v_lshlrev_b64 v[60:61], 1, v[2:3]
	v_add_co_u32_e32 v27, vcc, v6, v60
	v_lshlrev_b32_e32 v26, 9, v1
	v_addc_co_u32_e32 v28, vcc, v5, v61, vcc
	v_add_co_u32_e32 v2, vcc, v27, v26
	v_addc_co_u32_e32 v3, vcc, 0, v28, vcc
	s_load_dword s40, s[4:5], 0x98
	s_load_dword s0, s[4:5], 0x1c
	s_waitcnt lgkmcnt(0)
	s_barrier
	global_load_dwordx4 v[10:13], v[2:3], off
	s_waitcnt vmcnt(3)
	v_mad_i64_i32 v[4:5], s[12:13], v4, s1, 0
	v_lshlrev_b64 v[4:5], 1, v[4:5]
	v_mov_b32_e32 v6, s10
	v_add_co_u32_e32 v4, vcc, s8, v4
	v_addc_co_u32_e32 v5, vcc, v6, v5, vcc
	v_mov_b32_e32 v6, 0x100
	v_lshl_or_b32 v29, v84, 4, v6
	v_add_co_u32_e32 v30, vcc, v4, v29
	v_addc_co_u32_e32 v31, vcc, 0, v5, vcc
	v_add_co_u32_e32 v22, vcc, v30, v26
	v_addc_co_u32_e32 v23, vcc, 0, v31, vcc
	global_load_dwordx4 v[18:21], v[22:23], off
	global_load_dwordx4 v[14:17], v[2:3], off offset:2048
	v_add_u32_e32 v2, -9, v84
	v_cmp_gt_u32_e32 vcc, 9, v84
	v_cndmask_b32_e32 v2, v2, v84, vcc
	v_lshl_add_u32 v32, v2, 5, v26
	ds_read_b128 v[6:9], v32
	ds_read_b128 v[2:5], v32 offset:2048
	v_or_b32_e32 v58, 0x1000, v26
	global_load_dwordx4 v[38:41], v[22:23], off offset:2048
	v_add_co_u32_e32 v22, vcc, v27, v58
	v_addc_co_u32_e32 v23, vcc, 0, v28, vcc
	v_or_b32_e32 v62, 0x1800, v26
	s_ashr_i32 s11, s9, 31
	v_and_or_b32 v63, v0, 48, s9
	v_mov_b32_e32 v66, s18
	v_lshl_or_b32 v87, v85, 4, v84
	v_lshlrev_b32_e32 v82, 6, v87
	s_mov_b32 s41, 0xff7fffff
	s_waitcnt vmcnt(3) lgkmcnt(1)
	v_mfma_f32_16x16x16bf16_1k v[34:37], v[10:11], v[6:7], 0
	s_waitcnt vmcnt(2)
	v_mfma_f32_16x16x16bf16_1k v[42:45], v[18:19], v[6:7], 0
	v_mfma_f32_16x16x16bf16_1k v[10:13], v[12:13], v[8:9], v[34:37]
	s_nop 7
	global_load_dwordx4 v[34:37], v[22:23], off
	v_add_co_u32_e32 v22, vcc, v30, v58
	v_addc_co_u32_e32 v23, vcc, 0, v31, vcc
	v_mfma_f32_16x16x16bf16_1k v[18:21], v[20:21], v[8:9], v[42:45]
	global_load_dwordx4 v[46:49], v[22:23], off
	s_waitcnt vmcnt(3) lgkmcnt(0)
	v_mfma_f32_16x16x16bf16_1k v[42:45], v[14:15], v[2:3], v[10:13]
	s_nop 6
	v_add_co_u32_e32 v10, vcc, v27, v62
	v_addc_co_u32_e32 v11, vcc, 0, v28, vcc
	global_load_dwordx4 v[54:57], v[10:11], off
	v_mad_i64_i32 v[10:11], s[12:13], v25, s1, 0
	v_add_co_u32_e32 v30, vcc, v30, v62
	v_lshlrev_b64 v[22:23], 1, v[10:11]
	v_addc_co_u32_e32 v31, vcc, 0, v31, vcc
	v_mov_b32_e32 v25, s10
	v_add_co_u32_e32 v22, vcc, s8, v22
	v_addc_co_u32_e32 v23, vcc, v25, v23, vcc
	ds_read_b128 v[10:13], v32 offset:4096
	ds_read_b128 v[50:53], v32 offset:6144
	global_load_dwordx4 v[30:33], v[30:31], off
	v_add_co_u32_e32 v27, vcc, v22, v60
	buffer_store_dword v60, off, s[44:47], 0 ; 4-byte Folded Spill
	s_nop 0
	buffer_store_dword v61, off, s[44:47], 0 offset:4 ; 4-byte Folded Spill
	s_waitcnt vmcnt(6)
	v_mfma_f32_16x16x16bf16_1k v[18:21], v[38:39], v[2:3], v[18:21]
	v_mov_b32_e32 v28, s10
	s_lshr_b32 s10, s11, 27
	s_add_u32 s2, s14, s2
	s_addc_u32 s3, s15, s3
	v_addc_co_u32_e32 v59, vcc, v23, v61, vcc
	v_add_co_u32_e32 v22, vcc, v27, v26
	v_addc_co_u32_e32 v23, vcc, 0, v59, vcc
	v_mfma_f32_16x16x16bf16_1k v[14:17], v[16:17], v[4:5], v[42:45]
	v_mfma_f32_16x16x16bf16_1k v[18:21], v[40:41], v[4:5], v[18:21]
	global_load_dwordx4 v[38:41], v[22:23], off
	s_nop 4
	global_load_dwordx4 v[42:45], v[22:23], off offset:2048
	v_mad_i64_i32 v[22:23], s[12:13], v24, s1, 0
	s_waitcnt vmcnt(7) lgkmcnt(1)
	v_mfma_f32_16x16x16bf16_1k v[14:17], v[34:35], v[10:11], v[14:17]
	v_lshlrev_b64 v[34:35], 1, v[22:23]
	v_add_co_u32_e32 v22, vcc, v27, v58
	v_addc_co_u32_e32 v23, vcc, 0, v59, vcc
	global_load_dwordx4 v[22:25], v[22:23], off
	v_add_co_u32_e32 v34, vcc, s8, v34
	s_waitcnt vmcnt(7)
	v_mfma_f32_16x16x16bf16_1k v[18:21], v[46:47], v[10:11], v[18:21]
	v_addc_co_u32_e32 v28, vcc, v28, v35, vcc
	v_add_co_u32_e32 v64, vcc, v34, v29
	v_addc_co_u32_e32 v65, vcc, 0, v28, vcc
	v_add_co_u32_e32 v28, vcc, v27, v62
	v_mfma_f32_16x16x16bf16_1k v[14:17], v[36:37], v[12:13], v[14:17]
	v_addc_co_u32_e32 v29, vcc, 0, v59, vcc
	v_add_co_u32_e32 v46, vcc, v64, v26
	global_load_dwordx4 v[26:29], v[28:29], off
	v_addc_co_u32_e32 v47, vcc, 0, v65, vcc
	v_mfma_f32_16x16x16bf16_1k v[18:21], v[48:49], v[12:13], v[18:21]
	v_add_co_u32_e32 v48, vcc, v64, v58
	v_add_u32_e32 v35, s10, v63
	v_addc_co_u32_e32 v49, vcc, 0, v65, vcc
	v_ashrrev_i32_e32 v60, 5, v35
	v_cmp_gt_i32_e32 vcc, s33, v63
	s_waitcnt vmcnt(7) lgkmcnt(0)
	v_mfma_f32_16x16x16bf16_1k v[14:17], v[54:55], v[50:51], v[14:17]
	s_waitcnt vmcnt(6)
	v_mfma_f32_16x16x16bf16_1k v[18:21], v[30:31], v[50:51], v[18:21]
	v_mov_b32_e32 v31, s17
	v_mfma_f32_16x16x16bf16_1k v[54:57], v[56:57], v[52:53], v[14:17]
	global_load_dwordx4 v[34:37], v[46:47], off
	s_nop 5
	global_load_dwordx4 v[14:17], v[46:47], off offset:2048
	v_cndmask_b32_e32 v46, v66, v60, vcc
	v_ashrrev_i32_e32 v47, 31, v46
	v_lshlrev_b64 v[46:47], 2, v[46:47]
	v_add_co_u32_e32 v30, vcc, s16, v46
	v_addc_co_u32_e32 v31, vcc, v31, v47, vcc
	global_load_dword v46, v[30:31], off
	v_or_b32_e32 v30, 64, v63
	v_mfma_f32_16x16x16bf16_1k v[58:61], v[32:33], v[52:53], v[18:21]
	v_cmp_gt_i32_e32 vcc, s33, v30
	v_mov_b32_e32 v32, s17
	v_mov_b32_e32 v33, s17
	s_nop 3
	v_add_u32_e32 v18, s10, v30
	v_ashrrev_i32_e32 v18, 5, v18
	v_cndmask_b32_e32 v18, v66, v18, vcc
	v_ashrrev_i32_e32 v19, 31, v18
	v_lshlrev_b64 v[30:31], 2, v[18:19]
	v_add_co_u32_e32 v30, vcc, s16, v30
	v_addc_co_u32_e32 v31, vcc, v32, v31, vcc
	global_load_dword v32, v[30:31], off
	s_waitcnt vmcnt(7)
	v_mfma_f32_16x16x16bf16_1k v[18:21], v[38:39], v[6:7], 0
	v_or_b32_e32 v30, 0x80, v63
	v_add_u32_e32 v31, s10, v30
	v_ashrrev_i32_e32 v31, 5, v31
	v_cmp_gt_i32_e32 vcc, s33, v30
	v_cndmask_b32_e32 v30, v66, v31, vcc
	v_ashrrev_i32_e32 v31, 31, v30
	v_lshlrev_b64 v[30:31], 2, v[30:31]
	v_mfma_f32_16x16x16bf16_1k v[18:21], v[40:41], v[8:9], v[18:21]
	v_add_co_u32_e32 v30, vcc, s16, v30
	v_addc_co_u32_e32 v31, vcc, v33, v31, vcc
	global_load_dword v33, v[30:31], off
	v_or_b32_e32 v30, 0xc0, v63
	v_add_u32_e32 v31, s10, v30
	s_waitcnt vmcnt(7)
	v_mfma_f32_16x16x16bf16_1k v[18:21], v[42:43], v[2:3], v[18:21]
	v_ashrrev_i32_e32 v31, 5, v31
	v_cmp_gt_i32_e32 vcc, s33, v30
	v_cndmask_b32_e32 v30, v66, v31, vcc
	global_load_dwordx4 v[66:69], v[48:49], off
	v_ashrrev_i32_e32 v31, 31, v30
	v_lshlrev_b64 v[30:31], 2, v[30:31]
	v_mov_b32_e32 v38, s17
	v_mfma_f32_16x16x16bf16_1k v[18:21], v[44:45], v[4:5], v[18:21]
	v_add_co_u32_e32 v30, vcc, s16, v30
	v_addc_co_u32_e32 v31, vcc, v38, v31, vcc
	global_load_dword v63, v[30:31], off
	s_waitcnt vmcnt(8)
	v_mfma_f32_16x16x16bf16_1k v[18:21], v[22:23], v[10:11], v[18:21]
	v_add_co_u32_e32 v22, vcc, v64, v62
	v_addc_co_u32_e32 v23, vcc, 0, v65, vcc
	global_load_dwordx4 v[88:91], v[22:23], off
	v_and_b32_e32 v22, 16, v0
	v_lshlrev_b32_e32 v22, 1, v22
	v_mfma_f32_16x16x16bf16_1k v[18:21], v[24:25], v[12:13], v[18:21]
	v_mov_b32_e32 v23, s3
	v_add_co_u32_e32 v80, vcc, s2, v22
	v_addc_co_u32_e32 v81, vcc, 0, v23, vcc
	v_add_co_u32_e32 v22, vcc, v80, v82
	s_waitcnt vmcnt(8)
	v_mfma_f32_16x16x16bf16_1k v[18:21], v[26:27], v[50:51], v[18:21]
	v_addc_co_u32_e32 v23, vcc, 0, v81, vcc
	v_mfma_f32_16x16x16bf16_1k v[76:79], v[28:29], v[52:53], v[18:21]
	s_waitcnt vmcnt(5)
	s_nop 7
	v_mad_i64_i32 v[18:19], s[2:3], v46, s1, 0
	v_lshlrev_b64 v[70:71], 1, v[18:19]
	v_mfma_f32_16x16x16bf16_1k v[18:21], v[34:35], v[6:7], 0
	v_add_co_u32_e32 v6, vcc, v22, v70
	v_addc_co_u32_e32 v7, vcc, v23, v71, vcc
	global_load_dwordx4 v[46:49], v[6:7], off
	global_load_dwordx4 v[42:45], v[6:7], off offset:16
	v_pk_mul_f32 v[78:79], s[0:1], v[78:79] op_sel_hi:[0,1]
	s_waitcnt vmcnt(6)
	v_mad_i64_i32 v[6:7], s[2:3], v32, s1, 0
	v_lshlrev_b64 v[72:73], 1, v[6:7]
	v_mfma_f32_16x16x16bf16_1k v[6:9], v[36:37], v[8:9], v[18:21]
	v_mfma_f32_16x16x16bf16_1k v[6:9], v[14:15], v[2:3], v[6:9]
	s_nop 5
	v_add_co_u32_e32 v18, vcc, v22, v72
	v_addc_co_u32_e32 v19, vcc, v23, v73, vcc
	global_load_dwordx4 v[38:41], v[18:19], off
	global_load_dwordx4 v[34:37], v[18:19], off offset:16
	s_waitcnt vmcnt(7)
	v_mad_i64_i32 v[18:19], s[2:3], v33, s1, 0
	v_lshlrev_b64 v[64:65], 1, v[18:19]
	v_add_co_u32_e32 v2, vcc, v22, v64
	v_addc_co_u32_e32 v3, vcc, v23, v65, vcc
	global_load_dwordx4 v[30:33], v[2:3], off
	global_load_dwordx4 v[26:29], v[2:3], off offset:16
	v_mfma_f32_16x16x16bf16_1k v[2:5], v[16:17], v[4:5], v[6:9]
	s_waitcnt vmcnt(8)
	v_mfma_f32_16x16x16bf16_1k v[2:5], v[66:67], v[10:11], v[2:5]
	s_waitcnt vmcnt(7)
	s_nop 3
	v_mad_i64_i32 v[6:7], s[2:3], v63, s1, 0
	v_lshlrev_b64 v[62:63], 1, v[6:7]
	v_add_co_u32_e32 v6, vcc, v22, v62
	v_addc_co_u32_e32 v7, vcc, v23, v63, vcc
	v_mfma_f32_16x16x16bf16_1k v[10:13], v[68:69], v[12:13], v[2:5]
	global_load_dwordx4 v[22:25], v[6:7], off
	global_load_dwordx4 v[18:21], v[6:7], off offset:16
	v_or_b32_e32 v6, 0x1000, v82
	v_add_co_u32_e32 v86, vcc, v80, v6
	v_addc_co_u32_e32 v74, vcc, 0, v81, vcc
	s_nop 1
	v_add_co_u32_e32 v2, vcc, v86, v70
	s_waitcnt vmcnt(8)
	v_mfma_f32_16x16x16bf16_1k v[92:95], v[88:89], v[50:51], v[10:13]
	v_addc_co_u32_e32 v3, vcc, v74, v71, vcc
	v_add_co_u32_e32 v66, vcc, v86, v72
	v_addc_co_u32_e32 v67, vcc, v74, v73, vcc
	v_pk_mul_f32 v[72:73], s[0:1], v[76:77] op_sel_hi:[0,1]
	v_mfma_f32_16x16x16bf16_1k v[50:53], v[90:91], v[52:53], v[92:95]
	global_load_dwordx4 v[6:9], v[2:3], off
	s_nop 0
	global_load_dwordx4 v[2:5], v[2:3], off offset:16
	s_nop 0
	global_load_dwordx4 v[14:17], v[66:67], off
	global_load_dwordx4 v[10:13], v[66:67], off offset:16
	v_pk_mul_f32 v[68:69], s[0:1], v[54:55] op_sel_hi:[0,1]
	v_pk_mul_f32 v[80:81], s[0:1], v[56:57] op_sel_hi:[0,1]
	;; [unrolled: 1-line block ×4, first 2 shown]
	s_nop 0
	v_pk_mul_f32 v[76:77], s[0:1], v[50:51] op_sel_hi:[0,1]
	v_and_b32_e32 v50, 0xc0, v0
	v_add_u32_e32 v50, s9, v50
	v_lshl_or_b32 v50, v1, 2, v50
	v_pk_mul_f32 v[66:67], s[0:1], v[52:53] op_sel_hi:[0,1]
	v_or_b32_e32 v53, 1, v50
	v_mov_b32_e32 v51, 0xff7fffff
	v_cmp_gt_i32_e64 s[28:29], s33, v50
	v_cmp_gt_i32_e64 s[30:31], s33, v53
	v_cndmask_b32_e64 v52, v51, v68, s[28:29]
	v_cndmask_b32_e64 v53, v51, v69, s[30:31]
	v_max3_f32 v52, v52, s41, v53
	v_or_b32_e32 v53, 2, v50
	v_or_b32_e32 v54, 3, v50
	v_cmp_gt_i32_e64 s[34:35], s33, v53
	v_cmp_gt_i32_e64 s[36:37], s33, v54
	v_cndmask_b32_e64 v53, v51, v80, s[34:35]
	v_cndmask_b32_e64 v54, v51, v81, s[36:37]
	v_max3_f32 v52, v52, v53, v54
	v_or_b32_e32 v53, 16, v50
	v_or_b32_e32 v54, 17, v50
	;; [unrolled: 7-line block ×7, first 2 shown]
	v_cmp_gt_i32_e32 vcc, s33, v53
	v_cmp_gt_i32_e64 s[0:1], s33, v50
	v_cndmask_b32_e32 v53, v51, v66, vcc
	v_cndmask_b32_e64 v50, v51, v67, s[0:1]
	v_max3_f32 v58, v52, v53, v50
	v_mbcnt_lo_u32_b32 v50, -1, 0
	v_mbcnt_hi_u32_b32 v59, -1, v50
	v_and_b32_e32 v50, 64, v59
	v_add_u32_e32 v60, 64, v50
	v_xor_b32_e32 v50, 32, v59
	v_cmp_lt_i32_e64 s[38:39], v50, v60
	v_cndmask_b32_e64 v50, v59, v50, s[38:39]
	v_lshlrev_b32_e32 v75, 2, v50
	ds_bpermute_b32 v61, v75, v58
	v_add_co_u32_e64 v50, s[38:39], v86, v64
	v_addc_co_u32_e64 v51, s[38:39], v74, v65, s[38:39]
	s_waitcnt lgkmcnt(0)
	v_max_f32_e32 v61, v61, v61
	v_max_f32_e32 v61, v58, v61
	v_xor_b32_e32 v58, 16, v59
	v_cmp_lt_i32_e64 s[38:39], v58, v60
	v_cndmask_b32_e64 v58, v59, v58, s[38:39]
	v_lshlrev_b32_e32 v90, 2, v58
	ds_bpermute_b32 v60, v90, v61
	v_add_co_u32_e64 v58, s[38:39], v86, v62
	v_addc_co_u32_e64 v59, s[38:39], v74, v63, s[38:39]
	s_waitcnt lgkmcnt(0)
	v_max_f32_e32 v60, v60, v60
	v_max_f32_e32 v88, v61, v60
	v_sub_f32_e32 v60, v68, v88
	v_mul_f32_e32 v60, 0x3fb8aa3b, v60
	v_exp_f32_e32 v68, v60
	v_sub_f32_e32 v60, v69, v88
	v_mul_f32_e32 v60, 0x3fb8aa3b, v60
	global_load_dwordx4 v[54:57], v[50:51], off
	s_nop 0
	global_load_dwordx4 v[50:53], v[50:51], off offset:16
	v_exp_f32_e32 v69, v60
	global_load_dwordx4 v[62:65], v[58:59], off
	s_nop 0
	global_load_dwordx4 v[58:61], v[58:59], off offset:16
	v_sub_f32_e32 v80, v80, v88
	v_mul_f32_e32 v80, 0x3fb8aa3b, v80
	v_sub_f32_e32 v81, v81, v88
	v_exp_f32_e32 v80, v80
	v_mul_f32_e32 v81, 0x3fb8aa3b, v81
	v_sub_f32_e32 v70, v70, v88
	v_exp_f32_e32 v81, v81
	v_mul_f32_e32 v70, 0x3fb8aa3b, v70
	v_sub_f32_e32 v71, v71, v88
	v_cndmask_b32_e64 v68, 0, v68, s[28:29]
	v_exp_f32_e32 v70, v70
	v_mul_f32_e32 v71, 0x3fb8aa3b, v71
	v_sub_f32_e32 v82, v82, v88
	v_add_f32_e32 v74, 0, v68
	v_cndmask_b32_e64 v69, 0, v69, s[30:31]
	v_exp_f32_e32 v71, v71
	v_mul_f32_e32 v82, 0x3fb8aa3b, v82
	v_sub_f32_e32 v83, v83, v88
	v_add_f32_e32 v74, v74, v69
	;; [unrolled: 5-line block ×10, first 2 shown]
	v_cndmask_b32_e64 v78, 0, v78, s[10:11]
	v_exp_f32_e32 v66, v66
	v_mul_f32_e32 v67, 0x3fb8aa3b, v67
	v_add_f32_e32 v74, v74, v78
	v_cndmask_b32_e64 v79, 0, v79, s[12:13]
	v_exp_f32_e32 v67, v67
	v_add_f32_e32 v74, v74, v79
	v_cndmask_b32_e64 v76, 0, v76, s[2:3]
	v_add_f32_e32 v74, v74, v76
	v_cndmask_b32_e64 v77, 0, v77, s[8:9]
	v_add_f32_e32 v74, v74, v77
	v_cndmask_b32_e32 v66, 0, v66, vcc
	v_add_f32_e32 v74, v74, v66
	v_cndmask_b32_e64 v67, 0, v67, s[0:1]
	v_add_f32_e32 v74, v74, v67
	ds_bpermute_b32 v75, v75, v74
	s_waitcnt lgkmcnt(0)
	s_barrier
	v_add_f32_e32 v89, v74, v75
	ds_bpermute_b32 v90, v90, v89
	v_and_b32_e32 v74, 63, v0
	v_cmp_gt_u32_e64 s[0:1], 16, v74
	s_and_saveexec_b64 s[2:3], s[0:1]
	s_cbranch_execz .LBB372_15
; %bb.14:
	s_waitcnt lgkmcnt(0)
	v_add_f32_e32 v74, v89, v90
	v_lshlrev_b32_e32 v75, 2, v87
	ds_write2st64_b32 v75, v88, v74 offset1:1
.LBB372_15:
	s_or_b64 exec, exec, s[2:3]
	v_lshlrev_b32_e32 v74, 2, v84
	s_load_dword s8, s[4:5], 0x94
	s_waitcnt lgkmcnt(0)
	s_barrier
	ds_read2_b32 v[88:89], v74 offset1:16
	ds_read2_b32 v[90:91], v74 offset0:32 offset1:48
	ds_read2_b32 v[92:93], v74 offset0:64 offset1:80
	s_movk_i32 s10, 0x7fff
	s_mov_b32 s11, 0x7060302
	s_waitcnt lgkmcnt(2)
	v_max3_f32 v75, v88, s41, v89
	s_waitcnt lgkmcnt(1)
	v_max3_f32 v86, v75, v90, v91
	v_sub_f32_e32 v75, v88, v86
	v_sub_f32_e32 v87, v89, v86
	v_mul_f32_e32 v75, 0x3fb8aa3b, v75
	v_mul_f32_e32 v87, 0x3fb8aa3b, v87
	v_exp_f32_e32 v75, v75
	v_exp_f32_e32 v94, v87
	v_sub_f32_e32 v87, v90, v86
	v_mul_f32_e32 v87, 0x3fb8aa3b, v87
	ds_read2_b32 v[88:89], v74 offset0:96 offset1:112
	v_sub_f32_e32 v74, v91, v86
	v_exp_f32_e32 v90, v87
	v_mul_f32_e32 v74, 0x3fb8aa3b, v74
	v_exp_f32_e32 v74, v74
	s_waitcnt lgkmcnt(1)
	v_fma_f32 v87, v75, v92, 0
	v_fmac_f32_e32 v87, v94, v93
	s_waitcnt lgkmcnt(0)
	v_fmac_f32_e32 v87, v90, v88
	v_fmac_f32_e32 v87, v74, v89
	v_add_f32_e32 v88, 0x358637bd, v87
	v_div_scale_f32 v89, s[2:3], v88, v88, 1.0
	v_rcp_f32_e32 v91, v89
	s_barrier
	v_fma_f32 v92, -v89, v91, 1.0
	v_fmac_f32_e32 v91, v92, v91
	v_div_scale_f32 v92, vcc, 1.0, v88, 1.0
	v_mul_f32_e32 v93, v92, v91
	v_fma_f32 v95, -v89, v93, v92
	v_fmac_f32_e32 v93, v95, v91
	v_fma_f32 v89, -v89, v93, v92
	v_div_fmas_f32 v89, v89, v91, v93
	v_cmp_eq_u32_e32 vcc, 1, v85
	v_cndmask_b32_e32 v75, v75, v94, vcc
	v_cmp_eq_u32_e32 vcc, 2, v85
	v_cndmask_b32_e32 v75, v75, v90, vcc
	v_cmp_eq_u32_e32 vcc, 3, v85
	v_div_fixup_f32 v88, v89, v88, 1.0
	v_cndmask_b32_e32 v74, v75, v74, vcc
	v_mul_f32_e32 v88, v74, v88
	v_pk_mul_f32 v[68:69], v[88:89], v[68:69] op_sel_hi:[0,1]
	v_bfe_u32 v74, v69, 16, 1
	v_bfe_u32 v75, v68, 16, 1
	v_pk_mul_f32 v[80:81], v[88:89], v[80:81] op_sel_hi:[0,1]
	v_add3_u32 v68, v68, v75, s10
	v_add3_u32 v69, v69, v74, s10
	v_perm_b32 v90, v69, v68, s11
	v_bfe_u32 v68, v81, 16, 1
	v_bfe_u32 v69, v80, 16, 1
	v_add3_u32 v69, v80, v69, s10
	v_add3_u32 v68, v81, v68, s10
	v_perm_b32 v91, v68, v69, s11
	v_lshlrev_b32_e32 v69, 3, v1
	v_lshlrev_b32_e32 v68, 5, v84
	;; [unrolled: 1-line block ×3, first 2 shown]
	v_pk_mul_f32 v[70:71], v[88:89], v[70:71] op_sel_hi:[0,1]
	v_or3_b32 v80, v74, v68, v69
	v_bfe_u32 v69, v71, 16, 1
	v_bfe_u32 v74, v70, 16, 1
	v_pk_mul_f32 v[82:83], v[88:89], v[82:83] op_sel_hi:[0,1]
	v_add3_u32 v70, v70, v74, s10
	v_add3_u32 v69, v71, v69, s10
	v_perm_b32 v70, v69, v70, s11
	v_bfe_u32 v69, v83, 16, 1
	v_bfe_u32 v71, v82, 16, 1
	v_add3_u32 v71, v82, v71, s10
	v_add3_u32 v69, v83, v69, s10
	v_pk_mul_f32 v[72:73], v[88:89], v[72:73] op_sel_hi:[0,1]
	v_perm_b32 v71, v69, v71, s11
	v_bfe_u32 v69, v73, 16, 1
	v_bfe_u32 v74, v72, 16, 1
	ds_write2st64_b64 v80, v[90:91], v[70:71] offset1:1
	v_pk_mul_f32 v[70:71], v[88:89], v[78:79] op_sel_hi:[0,1]
	v_add3_u32 v72, v72, v74, s10
	v_add3_u32 v69, v73, v69, s10
	v_perm_b32 v72, v69, v72, s11
	v_bfe_u32 v69, v71, 16, 1
	v_bfe_u32 v73, v70, 16, 1
	v_add3_u32 v70, v70, v73, s10
	v_add3_u32 v69, v71, v69, s10
	v_perm_b32 v73, v69, v70, s11
	v_pk_mul_f32 v[70:71], v[88:89], v[76:77] op_sel_hi:[0,1]
	v_bfe_u32 v69, v71, 16, 1
	v_bfe_u32 v74, v70, 16, 1
	v_pk_mul_f32 v[66:67], v[88:89], v[66:67] op_sel_hi:[0,1]
	v_add3_u32 v70, v70, v74, s10
	v_add3_u32 v69, v71, v69, s10
	v_perm_b32 v70, v69, v70, s11
	v_bfe_u32 v69, v67, 16, 1
	v_bfe_u32 v71, v66, 16, 1
	v_add3_u32 v66, v66, v71, s10
	v_add3_u32 v67, v67, v69, s10
	s_mul_i32 s9, s40, 9
	v_perm_b32 v71, v67, v66, s11
	v_cmp_gt_u32_e32 vcc, 9, v0
	ds_write2st64_b64 v80, v[72:73], v[70:71] offset0:2 offset1:3
	s_and_saveexec_b64 s[2:3], vcc
	s_cbranch_execz .LBB372_17
; %bb.16:
	v_add_co_u32_e32 v70, vcc, s27, v84
	v_addc_co_u32_e64 v71, s[16:17], 0, 0, vcc
	v_mov_b32_e32 v66, s9
	v_mov_b32_e32 v67, 0
	v_mad_u64_u32 v[70:71], s[16:17], s6, v66, v[70:71]
	v_mov_b32_e32 v66, s26
	s_load_dwordx4 s[12:15], s[4:5], 0x58
	s_mul_i32 s7, s7, s9
	v_mad_u64_u32 v[66:67], s[16:17], v70, s8, v[66:67]
	v_add_u32_e32 v69, s7, v71
	v_mov_b32_e32 v70, v67
	v_mad_u64_u32 v[70:71], s[16:17], v69, s8, v[70:71]
	v_mov_b32_e32 v67, v70
	v_lshlrev_b64 v[66:67], 2, v[66:67]
	s_waitcnt lgkmcnt(0)
	v_mov_b32_e32 v69, s15
	v_add_co_u32_e32 v70, vcc, s14, v66
	v_addc_co_u32_e32 v71, vcc, v69, v67, vcc
	v_mov_b32_e32 v69, s13
	v_add_co_u32_e32 v66, vcc, s12, v66
	v_addc_co_u32_e32 v67, vcc, v69, v67, vcc
	global_store_dword v[70:71], v86, off
	global_store_dword v[66:67], v87, off
.LBB372_17:
	s_or_b64 exec, exec, s[2:3]
	v_lshl_or_b32 v74, v1, 9, v68
	s_waitcnt lgkmcnt(0)
	s_barrier
	ds_read_b128 v[70:73], v74
	ds_read_b128 v[66:69], v74 offset:16
	s_waitcnt vmcnt(15) lgkmcnt(1)
	v_mfma_f32_16x16x16bf16_1k v[76:79], v[46:47], v[70:71], 0
	s_mov_b32 s3, 0
	v_cmp_gt_u32_e32 vcc, 64, v0
	v_mfma_f32_16x16x16bf16_1k v[46:49], v[48:49], v[72:73], v[76:79]
	s_waitcnt vmcnt(14) lgkmcnt(0)
	v_mfma_f32_16x16x16bf16_1k v[46:49], v[42:43], v[66:67], v[46:49]
	v_mfma_f32_16x16x16bf16_1k v[42:45], v[44:45], v[68:69], v[46:49]
	s_nop 7
	s_nop 1
	ds_read_b128 v[46:49], v74 offset:2048
	ds_read_b128 v[76:79], v74 offset:2064
	s_waitcnt vmcnt(13) lgkmcnt(1)
	v_mfma_f32_16x16x16bf16_1k v[42:45], v[38:39], v[46:47], v[42:45]
	v_mfma_f32_16x16x16bf16_1k v[38:41], v[40:41], v[48:49], v[42:45]
	s_waitcnt vmcnt(12) lgkmcnt(0)
	v_mfma_f32_16x16x16bf16_1k v[38:41], v[34:35], v[76:77], v[38:41]
	v_mfma_f32_16x16x16bf16_1k v[34:37], v[36:37], v[78:79], v[38:41]
	s_nop 7
	s_nop 1
	ds_read_b128 v[38:41], v74 offset:4096
	ds_read_b128 v[42:45], v74 offset:4112
	s_waitcnt vmcnt(11) lgkmcnt(1)
	v_mfma_f32_16x16x16bf16_1k v[34:37], v[30:31], v[38:39], v[34:37]
	v_mfma_f32_16x16x16bf16_1k v[30:33], v[32:33], v[40:41], v[34:37]
	s_waitcnt vmcnt(10) lgkmcnt(0)
	v_mfma_f32_16x16x16bf16_1k v[30:33], v[26:27], v[42:43], v[30:33]
	v_mfma_f32_16x16x16bf16_1k v[26:29], v[28:29], v[44:45], v[30:33]
	s_nop 7
	s_nop 1
	ds_read_b128 v[30:33], v74 offset:6144
	ds_read_b128 v[34:37], v74 offset:6160
	s_waitcnt lgkmcnt(0)
	s_barrier
	s_waitcnt vmcnt(9)
	v_mfma_f32_16x16x16bf16_1k v[26:29], v[22:23], v[30:31], v[26:29]
	v_mfma_f32_16x16x16bf16_1k v[22:25], v[24:25], v[32:33], v[26:29]
	s_waitcnt vmcnt(8)
	v_mfma_f32_16x16x16bf16_1k v[22:25], v[18:19], v[34:35], v[22:25]
	v_mfma_f32_16x16x16bf16_1k v[18:21], v[20:21], v[36:37], v[22:25]
	s_waitcnt vmcnt(7)
	v_mfma_f32_16x16x16bf16_1k v[22:25], v[6:7], v[70:71], 0
	v_mfma_f32_16x16x16bf16_1k v[6:9], v[8:9], v[72:73], v[22:25]
	s_waitcnt vmcnt(6)
	v_mfma_f32_16x16x16bf16_1k v[6:9], v[2:3], v[66:67], v[6:9]
	v_mfma_f32_16x16x16bf16_1k v[2:5], v[4:5], v[68:69], v[6:9]
	s_waitcnt vmcnt(5)
	v_mfma_f32_16x16x16bf16_1k v[2:5], v[14:15], v[46:47], v[2:5]
	s_nop 7
	v_bfe_u32 v6, v19, 16, 1
	v_bfe_u32 v7, v18, 16, 1
	v_add3_u32 v7, v18, v7, s10
	v_add3_u32 v6, v19, v6, s10
	v_perm_b32 v6, v6, v7, s11
	v_bfe_u32 v7, v21, 16, 1
	v_bfe_u32 v8, v20, 16, 1
	v_mfma_f32_16x16x16bf16_1k v[2:5], v[16:17], v[48:49], v[2:5]
	v_add3_u32 v8, v20, v8, s10
	v_add3_u32 v7, v21, v7, s10
	v_perm_b32 v7, v7, v8, s11
	s_waitcnt vmcnt(4)
	v_mfma_f32_16x16x16bf16_1k v[2:5], v[10:11], v[76:77], v[2:5]
	v_mfma_f32_16x16x16bf16_1k v[2:5], v[12:13], v[78:79], v[2:5]
	s_waitcnt vmcnt(3)
	v_mfma_f32_16x16x16bf16_1k v[2:5], v[54:55], v[38:39], v[2:5]
	v_mfma_f32_16x16x16bf16_1k v[2:5], v[56:57], v[40:41], v[2:5]
	;; [unrolled: 3-line block ×5, first 2 shown]
	s_nop 7
	s_nop 2
	v_bfe_u32 v8, v3, 16, 1
	v_bfe_u32 v9, v2, 16, 1
	v_add3_u32 v2, v2, v9, s10
	v_add3_u32 v3, v3, v8, s10
	v_perm_b32 v2, v3, v2, s11
	v_bfe_u32 v3, v5, 16, 1
	v_bfe_u32 v8, v4, 16, 1
	v_add3_u32 v4, v4, v8, s10
	v_add3_u32 v3, v5, v3, s10
	v_perm_b32 v3, v3, v4, s11
	ds_write2st64_b64 v80, v[6:7], v[2:3] offset1:1
	s_waitcnt lgkmcnt(0)
	s_barrier
	s_and_saveexec_b64 s[10:11], vcc
	s_cbranch_execz .LBB372_20
; %bb.18:
	v_lshlrev_b32_e32 v4, 6, v84
	v_lshlrev_b32_e32 v3, 4, v0
	v_lshl_or_b32 v0, v0, 10, v4
	buffer_load_dword v4, off, s[44:47], 0  ; 4-byte Folded Reload
	buffer_load_dword v5, off, s[44:47], 0 offset:4 ; 4-byte Folded Reload
	s_load_dwordx2 s[10:11], s[4:5], 0x68
	s_lshl_b32 s4, s8, 7
	s_mul_i32 s2, s9, s6
	s_mul_hi_u32 s7, s2, s4
	s_mul_i32 s6, s2, s4
	s_lshl_b64 s[6:7], s[6:7], 1
	s_waitcnt lgkmcnt(0)
	s_add_u32 s5, s10, s6
	s_addc_u32 s6, s11, s7
	s_lshl_b32 s2, s26, 7
	s_lshl_b64 s[2:3], s[2:3], 1
	s_add_u32 s2, s5, s2
	v_lshlrev_b32_e32 v2, 5, v1
	v_and_b32_e32 v3, 16, v3
	v_and_b32_e32 v0, 0x1a00, v0
	s_addc_u32 s3, s6, s3
	v_or3_b32 v0, v0, v2, v3
	v_mov_b32_e32 v3, s3
	v_add_u32_e32 v14, s27, v1
	s_waitcnt vmcnt(1)
	v_add_co_u32_e32 v2, vcc, s2, v4
	s_waitcnt vmcnt(0)
	v_addc_co_u32_e32 v3, vcc, v3, v5, vcc
	ds_read_b128 v[4:7], v0 offset:128
	ds_read_b128 v[8:11], v0
	v_mad_u64_u32 v[12:13], s[2:3], v14, s4, 0
	v_lshlrev_b64 v[12:13], 1, v[12:13]
	v_add_co_u32_e32 v12, vcc, v2, v12
	v_addc_co_u32_e32 v13, vcc, v3, v13, vcc
	s_waitcnt lgkmcnt(0)
	global_store_dwordx4 v[12:13], v[8:11], off
	s_nop 0
	v_add_u32_e32 v8, 4, v14
	v_mad_u64_u32 v[8:9], s[2:3], v8, s4, 0
	v_lshlrev_b64 v[8:9], 1, v[8:9]
	v_add_co_u32_e32 v8, vcc, v2, v8
	v_addc_co_u32_e32 v9, vcc, v3, v9, vcc
	global_store_dwordx4 v[8:9], v[4:7], off
	s_and_b64 exec, exec, s[0:1]
	s_cbranch_execz .LBB372_20
; %bb.19:
	ds_read_b128 v[4:7], v0 offset:256
	v_add3_u32 v0, s27, v1, 8
	v_mad_u64_u32 v[0:1], s[0:1], v0, s4, 0
	v_lshlrev_b64 v[0:1], 1, v[0:1]
	v_add_co_u32_e32 v0, vcc, v2, v0
	v_addc_co_u32_e32 v1, vcc, v3, v1, vcc
	s_waitcnt lgkmcnt(0)
	global_store_dwordx4 v[0:1], v[4:7], off
.LBB372_20:
	s_endpgm
	.section	.rodata,"a",@progbits
	.p2align	6, 0x0
	.amdhsa_kernel _Z39paged_attention_ll4mi_QKV_mfma16_kernelI14__hip_bfloat16S0_LN4vllm18Fp8KVCacheDataTypeE0ES0_Li32ELi128ELi256ELb0ELi9EL8MFMAType0EEvPKT_PKT0_S9_ifPKiSB_SB_iPKfiiiPfSE_PS4_PT2_iSD_SD_
		.amdhsa_group_segment_fixed_size 8192
		.amdhsa_private_segment_fixed_size 12
		.amdhsa_kernarg_size 400
		.amdhsa_user_sgpr_count 6
		.amdhsa_user_sgpr_private_segment_buffer 1
		.amdhsa_user_sgpr_dispatch_ptr 0
		.amdhsa_user_sgpr_queue_ptr 0
		.amdhsa_user_sgpr_kernarg_segment_ptr 1
		.amdhsa_user_sgpr_dispatch_id 0
		.amdhsa_user_sgpr_flat_scratch_init 0
		.amdhsa_user_sgpr_kernarg_preload_length 0
		.amdhsa_user_sgpr_kernarg_preload_offset 0
		.amdhsa_user_sgpr_private_segment_size 0
		.amdhsa_uses_dynamic_stack 0
		.amdhsa_system_sgpr_private_segment_wavefront_offset 1
		.amdhsa_system_sgpr_workgroup_id_x 1
		.amdhsa_system_sgpr_workgroup_id_y 1
		.amdhsa_system_sgpr_workgroup_id_z 1
		.amdhsa_system_sgpr_workgroup_info 0
		.amdhsa_system_vgpr_workitem_id 0
		.amdhsa_next_free_vgpr 96
		.amdhsa_next_free_sgpr 48
		.amdhsa_accum_offset 96
		.amdhsa_reserve_vcc 1
		.amdhsa_reserve_flat_scratch 0
		.amdhsa_float_round_mode_32 0
		.amdhsa_float_round_mode_16_64 0
		.amdhsa_float_denorm_mode_32 3
		.amdhsa_float_denorm_mode_16_64 3
		.amdhsa_dx10_clamp 1
		.amdhsa_ieee_mode 1
		.amdhsa_fp16_overflow 0
		.amdhsa_tg_split 0
		.amdhsa_exception_fp_ieee_invalid_op 0
		.amdhsa_exception_fp_denorm_src 0
		.amdhsa_exception_fp_ieee_div_zero 0
		.amdhsa_exception_fp_ieee_overflow 0
		.amdhsa_exception_fp_ieee_underflow 0
		.amdhsa_exception_fp_ieee_inexact 0
		.amdhsa_exception_int_div_zero 0
	.end_amdhsa_kernel
	.section	.text._Z39paged_attention_ll4mi_QKV_mfma16_kernelI14__hip_bfloat16S0_LN4vllm18Fp8KVCacheDataTypeE0ES0_Li32ELi128ELi256ELb0ELi9EL8MFMAType0EEvPKT_PKT0_S9_ifPKiSB_SB_iPKfiiiPfSE_PS4_PT2_iSD_SD_,"axG",@progbits,_Z39paged_attention_ll4mi_QKV_mfma16_kernelI14__hip_bfloat16S0_LN4vllm18Fp8KVCacheDataTypeE0ES0_Li32ELi128ELi256ELb0ELi9EL8MFMAType0EEvPKT_PKT0_S9_ifPKiSB_SB_iPKfiiiPfSE_PS4_PT2_iSD_SD_,comdat
.Lfunc_end372:
	.size	_Z39paged_attention_ll4mi_QKV_mfma16_kernelI14__hip_bfloat16S0_LN4vllm18Fp8KVCacheDataTypeE0ES0_Li32ELi128ELi256ELb0ELi9EL8MFMAType0EEvPKT_PKT0_S9_ifPKiSB_SB_iPKfiiiPfSE_PS4_PT2_iSD_SD_, .Lfunc_end372-_Z39paged_attention_ll4mi_QKV_mfma16_kernelI14__hip_bfloat16S0_LN4vllm18Fp8KVCacheDataTypeE0ES0_Li32ELi128ELi256ELb0ELi9EL8MFMAType0EEvPKT_PKT0_S9_ifPKiSB_SB_iPKfiiiPfSE_PS4_PT2_iSD_SD_
                                        ; -- End function
	.section	.AMDGPU.csdata,"",@progbits
; Kernel info:
; codeLenInByte = 5124
; NumSgprs: 52
; NumVgprs: 96
; NumAgprs: 0
; TotalNumVgprs: 96
; ScratchSize: 12
; MemoryBound: 0
; FloatMode: 240
; IeeeMode: 1
; LDSByteSize: 8192 bytes/workgroup (compile time only)
; SGPRBlocks: 6
; VGPRBlocks: 11
; NumSGPRsForWavesPerEU: 52
; NumVGPRsForWavesPerEU: 96
; AccumOffset: 96
; Occupancy: 5
; WaveLimiterHint : 1
; COMPUTE_PGM_RSRC2:SCRATCH_EN: 1
; COMPUTE_PGM_RSRC2:USER_SGPR: 6
; COMPUTE_PGM_RSRC2:TRAP_HANDLER: 0
; COMPUTE_PGM_RSRC2:TGID_X_EN: 1
; COMPUTE_PGM_RSRC2:TGID_Y_EN: 1
; COMPUTE_PGM_RSRC2:TGID_Z_EN: 1
; COMPUTE_PGM_RSRC2:TIDIG_COMP_CNT: 0
; COMPUTE_PGM_RSRC3_GFX90A:ACCUM_OFFSET: 23
; COMPUTE_PGM_RSRC3_GFX90A:TG_SPLIT: 0
	.section	.text._Z39paged_attention_ll4mi_QKV_mfma16_kernelI14__hip_bfloat16S0_LN4vllm18Fp8KVCacheDataTypeE0ES0_Li32ELi128ELi256ELb0ELi10EL8MFMAType0EEvPKT_PKT0_S9_ifPKiSB_SB_iPKfiiiPfSE_PS4_PT2_iSD_SD_,"axG",@progbits,_Z39paged_attention_ll4mi_QKV_mfma16_kernelI14__hip_bfloat16S0_LN4vllm18Fp8KVCacheDataTypeE0ES0_Li32ELi128ELi256ELb0ELi10EL8MFMAType0EEvPKT_PKT0_S9_ifPKiSB_SB_iPKfiiiPfSE_PS4_PT2_iSD_SD_,comdat
	.protected	_Z39paged_attention_ll4mi_QKV_mfma16_kernelI14__hip_bfloat16S0_LN4vllm18Fp8KVCacheDataTypeE0ES0_Li32ELi128ELi256ELb0ELi10EL8MFMAType0EEvPKT_PKT0_S9_ifPKiSB_SB_iPKfiiiPfSE_PS4_PT2_iSD_SD_ ; -- Begin function _Z39paged_attention_ll4mi_QKV_mfma16_kernelI14__hip_bfloat16S0_LN4vllm18Fp8KVCacheDataTypeE0ES0_Li32ELi128ELi256ELb0ELi10EL8MFMAType0EEvPKT_PKT0_S9_ifPKiSB_SB_iPKfiiiPfSE_PS4_PT2_iSD_SD_
	.globl	_Z39paged_attention_ll4mi_QKV_mfma16_kernelI14__hip_bfloat16S0_LN4vllm18Fp8KVCacheDataTypeE0ES0_Li32ELi128ELi256ELb0ELi10EL8MFMAType0EEvPKT_PKT0_S9_ifPKiSB_SB_iPKfiiiPfSE_PS4_PT2_iSD_SD_
	.p2align	8
	.type	_Z39paged_attention_ll4mi_QKV_mfma16_kernelI14__hip_bfloat16S0_LN4vllm18Fp8KVCacheDataTypeE0ES0_Li32ELi128ELi256ELb0ELi10EL8MFMAType0EEvPKT_PKT0_S9_ifPKiSB_SB_iPKfiiiPfSE_PS4_PT2_iSD_SD_,@function
_Z39paged_attention_ll4mi_QKV_mfma16_kernelI14__hip_bfloat16S0_LN4vllm18Fp8KVCacheDataTypeE0ES0_Li32ELi128ELi256ELb0ELi10EL8MFMAType0EEvPKT_PKT0_S9_ifPKiSB_SB_iPKfiiiPfSE_PS4_PT2_iSD_SD_: ; @_Z39paged_attention_ll4mi_QKV_mfma16_kernelI14__hip_bfloat16S0_LN4vllm18Fp8KVCacheDataTypeE0ES0_Li32ELi128ELi256ELb0ELi10EL8MFMAType0EEvPKT_PKT0_S9_ifPKiSB_SB_iPKfiiiPfSE_PS4_PT2_iSD_SD_
; %bb.0:
	s_mov_b64 s[46:47], s[2:3]
	s_mov_b64 s[44:45], s[0:1]
	s_load_dwordx2 s[0:1], s[4:5], 0x30
	s_add_u32 s44, s44, s9
	s_addc_u32 s45, s45, 0
	s_mov_b32 s26, s7
	s_mov_b64 s[10:11], 0
	s_waitcnt lgkmcnt(0)
	s_cmp_lg_u64 s[0:1], 0
	s_cselect_b64 s[2:3], -1, 0
	s_and_b64 vcc, exec, s[2:3]
	s_cbranch_vccz .LBB373_7
; %bb.1:
	s_add_i32 s12, s6, 1
	s_mov_b32 s13, 0
	s_lshl_b64 s[14:15], s[12:13], 2
	s_add_u32 s14, s0, s14
	s_mov_b32 s7, s13
	s_addc_u32 s15, s1, s15
	s_lshl_b64 s[12:13], s[6:7], 2
	s_add_u32 s12, s0, s12
	s_addc_u32 s13, s1, s13
	s_load_dword s9, s[14:15], 0x0
	s_load_dword s16, s[12:13], 0x0
	s_waitcnt lgkmcnt(0)
	s_sub_i32 s9, s9, s16
	s_cmp_eq_u32 s9, 1
	s_cselect_b64 s[12:13], -1, 0
	s_andn2_b64 vcc, exec, s[10:11]
	s_cbranch_vccnz .LBB373_3
.LBB373_2:
	s_mov_b32 s7, 0
	s_mov_b64 s[12:13], -1
.LBB373_3:
	s_andn2_b64 vcc, exec, s[12:13]
	s_cbranch_vccnz .LBB373_20
; %bb.4:
	s_load_dwordx2 s[12:13], s[4:5], 0x28
	s_lshl_b64 s[10:11], s[6:7], 2
	s_waitcnt lgkmcnt(0)
	s_add_u32 s12, s12, s10
	s_addc_u32 s13, s13, s11
	s_load_dword s33, s[12:13], 0x0
	s_lshl_b32 s9, s26, 8
	s_waitcnt lgkmcnt(0)
	s_cmp_ge_i32 s9, s33
	s_cbranch_scc1 .LBB373_20
; %bb.5:
	s_add_i32 s15, s33, 31
	s_load_dwordx2 s[12:13], s[4:5], 0x20
	s_load_dword s14, s[4:5], 0x38
	s_ashr_i32 s16, s15, 31
	v_and_b32_e32 v1, 0xcf, v0
	s_lshr_b32 s16, s16, 27
	v_add_u32_e32 v1, s9, v1
	s_add_i32 s15, s15, s16
	v_ashrrev_i32_e32 v2, 31, v1
	s_ashr_i32 s18, s15, 5
	v_lshrrev_b32_e32 v10, 27, v2
	s_add_i32 s18, s18, -1
	v_add_u32_e32 v2, v1, v10
	s_waitcnt lgkmcnt(0)
	s_mul_i32 s14, s6, s14
	s_mov_b32 s15, 0
	v_ashrrev_i32_e32 v2, 5, v2
	v_mov_b32_e32 v11, s18
	v_cmp_gt_i32_e32 vcc, s33, v1
	s_lshl_b64 s[14:15], s[14:15], 2
	v_cndmask_b32_e32 v2, v11, v2, vcc
	s_add_u32 s16, s12, s14
	v_ashrrev_i32_e32 v3, 31, v2
	s_addc_u32 s17, s13, s15
	v_lshlrev_b64 v[2:3], 2, v[2:3]
	v_mov_b32_e32 v4, s17
	v_add_co_u32_e32 v2, vcc, s16, v2
	v_addc_co_u32_e32 v3, vcc, v4, v3, vcc
	v_or_b32_e32 v4, 16, v1
	v_add_u32_e32 v5, v4, v10
	v_ashrrev_i32_e32 v5, 5, v5
	v_cmp_gt_i32_e32 vcc, s33, v4
	v_cndmask_b32_e32 v4, v11, v5, vcc
	v_ashrrev_i32_e32 v5, 31, v4
	v_lshlrev_b64 v[4:5], 2, v[4:5]
	v_mov_b32_e32 v7, s17
	v_add_co_u32_e32 v6, vcc, s16, v4
	v_or_b32_e32 v4, 32, v1
	v_addc_co_u32_e32 v7, vcc, v7, v5, vcc
	v_add_u32_e32 v5, v4, v10
	v_ashrrev_i32_e32 v5, 5, v5
	v_cmp_gt_i32_e32 vcc, s33, v4
	v_cndmask_b32_e32 v4, v11, v5, vcc
	v_ashrrev_i32_e32 v5, 31, v4
	v_lshlrev_b64 v[4:5], 2, v[4:5]
	v_mov_b32_e32 v9, s17
	v_add_co_u32_e32 v8, vcc, s16, v4
	v_or_b32_e32 v1, 48, v1
	v_addc_co_u32_e32 v9, vcc, v9, v5, vcc
	v_add_u32_e32 v4, v1, v10
	v_ashrrev_i32_e32 v4, 5, v4
	v_cmp_gt_i32_e32 vcc, s33, v1
	v_cndmask_b32_e32 v4, v11, v4, vcc
	v_ashrrev_i32_e32 v5, 31, v4
	v_lshlrev_b64 v[4:5], 2, v[4:5]
	v_mov_b32_e32 v1, s17
	v_add_co_u32_e32 v10, vcc, s16, v4
	v_addc_co_u32_e32 v11, vcc, v1, v5, vcc
	global_load_dword v5, v[2:3], off
	global_load_dword v4, v[6:7], off
	global_load_dword v25, v[8:9], off
	global_load_dword v24, v[10:11], off
	s_andn2_b64 vcc, exec, s[2:3]
	s_cbranch_vccnz .LBB373_8
; %bb.6:
	s_add_u32 s0, s0, s10
	s_addc_u32 s1, s1, s11
	s_load_dword s19, s[0:1], 0x0
	s_branch .LBB373_9
.LBB373_7:
	s_mov_b64 s[12:13], 0
	s_branch .LBB373_2
.LBB373_8:
	s_mov_b32 s19, s6
.LBB373_9:
	s_load_dwordx4 s[12:15], s[4:5], 0x8
	s_load_dwordx4 s[0:3], s[4:5], 0x48
	v_lshrrev_b32_e32 v85, 6, v0
	v_bfe_u32 v1, v0, 4, 2
	v_lshl_or_b32 v6, v85, 2, v1
	v_and_b32_e32 v84, 15, v0
	v_lshlrev_b32_e32 v2, 3, v84
	v_cmp_lt_u32_e32 vcc, 9, v6
	s_and_saveexec_b64 s[10:11], vcc
	s_xor_b64 s[10:11], exec, s[10:11]
; %bb.10:
	v_mov_b32_e32 v3, 0
                                        ; implicit-def: $vgpr6
; %bb.11:
	s_or_saveexec_b64 s[10:11], s[10:11]
	s_mul_i32 s27, s8, 10
	s_xor_b64 exec, exec, s[10:11]
	s_cbranch_execz .LBB373_13
; %bb.12:
	s_load_dwordx2 s[20:21], s[4:5], 0x0
	s_waitcnt lgkmcnt(0)
	s_ashr_i32 s3, s0, 31
	s_mul_hi_u32 s22, s19, s0
	s_mul_i32 s3, s19, s3
	s_add_i32 s23, s22, s3
	s_mul_i32 s22, s19, s0
	s_lshl_b64 s[22:23], s[22:23], 1
	v_add_lshl_u32 v8, v6, s27, 7
	s_add_u32 s0, s20, s22
	v_ashrrev_i32_e32 v9, 31, v8
	s_addc_u32 s3, s21, s23
	v_lshlrev_b64 v[8:9], 1, v[8:9]
	v_mov_b32_e32 v3, s3
	v_add_co_u32_e32 v7, vcc, s0, v8
	v_addc_co_u32_e32 v3, vcc, v3, v9, vcc
	v_lshlrev_b32_e32 v8, 1, v2
	v_add_co_u32_e32 v8, vcc, v7, v8
	v_addc_co_u32_e32 v9, vcc, 0, v3, vcc
	global_load_dwordx4 v[8:11], v[8:9], off
	v_and_b32_e32 v7, 3, v0
	v_lshlrev_b32_e32 v12, 9, v84
	v_lshlrev_b32_e32 v6, 5, v6
	;; [unrolled: 1-line block ×3, first 2 shown]
	v_and_b32_e32 v12, 0x1800, v12
	v_mov_b32_e32 v3, 0
	v_or3_b32 v6, v12, v7, v6
	s_waitcnt vmcnt(0)
	ds_write_b128 v6, v[8:11]
.LBB373_13:
	s_or_b64 exec, exec, s[10:11]
	s_waitcnt lgkmcnt(0)
	s_mul_i32 s2, s8, s2
	s_mov_b32 s3, 0
	s_lshl_b64 s[2:3], s[2:3], 1
	s_add_u32 s8, s12, s2
	s_addc_u32 s10, s13, s3
	s_waitcnt vmcnt(3)
	v_mad_i64_i32 v[6:7], s[12:13], v5, s1, 0
	v_lshlrev_b64 v[6:7], 1, v[6:7]
	v_mov_b32_e32 v5, s10
	v_add_co_u32_e32 v6, vcc, s8, v6
	v_addc_co_u32_e32 v5, vcc, v5, v7, vcc
	v_lshlrev_b64 v[60:61], 1, v[2:3]
	v_add_co_u32_e32 v27, vcc, v6, v60
	v_lshlrev_b32_e32 v26, 9, v1
	v_addc_co_u32_e32 v28, vcc, v5, v61, vcc
	v_add_co_u32_e32 v2, vcc, v27, v26
	v_addc_co_u32_e32 v3, vcc, 0, v28, vcc
	s_load_dword s40, s[4:5], 0x98
	s_load_dword s0, s[4:5], 0x1c
	s_waitcnt lgkmcnt(0)
	s_barrier
	global_load_dwordx4 v[10:13], v[2:3], off
	s_waitcnt vmcnt(3)
	v_mad_i64_i32 v[4:5], s[12:13], v4, s1, 0
	v_lshlrev_b64 v[4:5], 1, v[4:5]
	v_mov_b32_e32 v6, s10
	v_add_co_u32_e32 v4, vcc, s8, v4
	v_addc_co_u32_e32 v5, vcc, v6, v5, vcc
	v_mov_b32_e32 v6, 0x100
	v_lshl_or_b32 v29, v84, 4, v6
	v_add_co_u32_e32 v30, vcc, v4, v29
	v_addc_co_u32_e32 v31, vcc, 0, v5, vcc
	v_add_co_u32_e32 v22, vcc, v30, v26
	v_addc_co_u32_e32 v23, vcc, 0, v31, vcc
	global_load_dwordx4 v[18:21], v[22:23], off
	global_load_dwordx4 v[14:17], v[2:3], off offset:2048
	v_add_u32_e32 v2, -10, v84
	v_cmp_gt_u32_e32 vcc, 10, v84
	v_cndmask_b32_e32 v2, v2, v84, vcc
	v_lshl_add_u32 v32, v2, 5, v26
	ds_read_b128 v[6:9], v32
	ds_read_b128 v[2:5], v32 offset:2048
	v_or_b32_e32 v58, 0x1000, v26
	global_load_dwordx4 v[38:41], v[22:23], off offset:2048
	v_add_co_u32_e32 v22, vcc, v27, v58
	v_addc_co_u32_e32 v23, vcc, 0, v28, vcc
	v_or_b32_e32 v62, 0x1800, v26
	s_ashr_i32 s11, s9, 31
	v_and_or_b32 v63, v0, 48, s9
	v_mov_b32_e32 v66, s18
	v_lshl_or_b32 v87, v85, 4, v84
	v_lshlrev_b32_e32 v82, 6, v87
	s_mov_b32 s41, 0xff7fffff
	s_waitcnt vmcnt(3) lgkmcnt(1)
	v_mfma_f32_16x16x16bf16_1k v[34:37], v[10:11], v[6:7], 0
	s_waitcnt vmcnt(2)
	v_mfma_f32_16x16x16bf16_1k v[42:45], v[18:19], v[6:7], 0
	v_mfma_f32_16x16x16bf16_1k v[10:13], v[12:13], v[8:9], v[34:37]
	s_nop 7
	global_load_dwordx4 v[34:37], v[22:23], off
	v_add_co_u32_e32 v22, vcc, v30, v58
	v_addc_co_u32_e32 v23, vcc, 0, v31, vcc
	v_mfma_f32_16x16x16bf16_1k v[18:21], v[20:21], v[8:9], v[42:45]
	global_load_dwordx4 v[46:49], v[22:23], off
	s_waitcnt vmcnt(3) lgkmcnt(0)
	v_mfma_f32_16x16x16bf16_1k v[42:45], v[14:15], v[2:3], v[10:13]
	s_nop 6
	v_add_co_u32_e32 v10, vcc, v27, v62
	v_addc_co_u32_e32 v11, vcc, 0, v28, vcc
	global_load_dwordx4 v[54:57], v[10:11], off
	v_mad_i64_i32 v[10:11], s[12:13], v25, s1, 0
	v_add_co_u32_e32 v30, vcc, v30, v62
	v_lshlrev_b64 v[22:23], 1, v[10:11]
	v_addc_co_u32_e32 v31, vcc, 0, v31, vcc
	v_mov_b32_e32 v25, s10
	v_add_co_u32_e32 v22, vcc, s8, v22
	v_addc_co_u32_e32 v23, vcc, v25, v23, vcc
	ds_read_b128 v[10:13], v32 offset:4096
	ds_read_b128 v[50:53], v32 offset:6144
	global_load_dwordx4 v[30:33], v[30:31], off
	v_add_co_u32_e32 v27, vcc, v22, v60
	buffer_store_dword v60, off, s[44:47], 0 ; 4-byte Folded Spill
	s_nop 0
	buffer_store_dword v61, off, s[44:47], 0 offset:4 ; 4-byte Folded Spill
	s_waitcnt vmcnt(6)
	v_mfma_f32_16x16x16bf16_1k v[18:21], v[38:39], v[2:3], v[18:21]
	v_mov_b32_e32 v28, s10
	s_lshr_b32 s10, s11, 27
	s_add_u32 s2, s14, s2
	s_addc_u32 s3, s15, s3
	v_addc_co_u32_e32 v59, vcc, v23, v61, vcc
	v_add_co_u32_e32 v22, vcc, v27, v26
	v_addc_co_u32_e32 v23, vcc, 0, v59, vcc
	v_mfma_f32_16x16x16bf16_1k v[14:17], v[16:17], v[4:5], v[42:45]
	v_mfma_f32_16x16x16bf16_1k v[18:21], v[40:41], v[4:5], v[18:21]
	global_load_dwordx4 v[38:41], v[22:23], off
	s_nop 4
	global_load_dwordx4 v[42:45], v[22:23], off offset:2048
	v_mad_i64_i32 v[22:23], s[12:13], v24, s1, 0
	s_waitcnt vmcnt(7) lgkmcnt(1)
	v_mfma_f32_16x16x16bf16_1k v[14:17], v[34:35], v[10:11], v[14:17]
	v_lshlrev_b64 v[34:35], 1, v[22:23]
	v_add_co_u32_e32 v22, vcc, v27, v58
	v_addc_co_u32_e32 v23, vcc, 0, v59, vcc
	global_load_dwordx4 v[22:25], v[22:23], off
	v_add_co_u32_e32 v34, vcc, s8, v34
	s_waitcnt vmcnt(7)
	v_mfma_f32_16x16x16bf16_1k v[18:21], v[46:47], v[10:11], v[18:21]
	v_addc_co_u32_e32 v28, vcc, v28, v35, vcc
	v_add_co_u32_e32 v64, vcc, v34, v29
	v_addc_co_u32_e32 v65, vcc, 0, v28, vcc
	v_add_co_u32_e32 v28, vcc, v27, v62
	v_mfma_f32_16x16x16bf16_1k v[14:17], v[36:37], v[12:13], v[14:17]
	v_addc_co_u32_e32 v29, vcc, 0, v59, vcc
	v_add_co_u32_e32 v46, vcc, v64, v26
	global_load_dwordx4 v[26:29], v[28:29], off
	v_addc_co_u32_e32 v47, vcc, 0, v65, vcc
	v_mfma_f32_16x16x16bf16_1k v[18:21], v[48:49], v[12:13], v[18:21]
	v_add_co_u32_e32 v48, vcc, v64, v58
	v_add_u32_e32 v35, s10, v63
	v_addc_co_u32_e32 v49, vcc, 0, v65, vcc
	v_ashrrev_i32_e32 v60, 5, v35
	v_cmp_gt_i32_e32 vcc, s33, v63
	s_waitcnt vmcnt(7) lgkmcnt(0)
	v_mfma_f32_16x16x16bf16_1k v[14:17], v[54:55], v[50:51], v[14:17]
	s_waitcnt vmcnt(6)
	v_mfma_f32_16x16x16bf16_1k v[18:21], v[30:31], v[50:51], v[18:21]
	v_mov_b32_e32 v31, s17
	v_mfma_f32_16x16x16bf16_1k v[54:57], v[56:57], v[52:53], v[14:17]
	global_load_dwordx4 v[34:37], v[46:47], off
	s_nop 5
	global_load_dwordx4 v[14:17], v[46:47], off offset:2048
	v_cndmask_b32_e32 v46, v66, v60, vcc
	v_ashrrev_i32_e32 v47, 31, v46
	v_lshlrev_b64 v[46:47], 2, v[46:47]
	v_add_co_u32_e32 v30, vcc, s16, v46
	v_addc_co_u32_e32 v31, vcc, v31, v47, vcc
	global_load_dword v46, v[30:31], off
	v_or_b32_e32 v30, 64, v63
	v_mfma_f32_16x16x16bf16_1k v[58:61], v[32:33], v[52:53], v[18:21]
	v_cmp_gt_i32_e32 vcc, s33, v30
	v_mov_b32_e32 v32, s17
	v_mov_b32_e32 v33, s17
	s_nop 3
	v_add_u32_e32 v18, s10, v30
	v_ashrrev_i32_e32 v18, 5, v18
	v_cndmask_b32_e32 v18, v66, v18, vcc
	v_ashrrev_i32_e32 v19, 31, v18
	v_lshlrev_b64 v[30:31], 2, v[18:19]
	v_add_co_u32_e32 v30, vcc, s16, v30
	v_addc_co_u32_e32 v31, vcc, v32, v31, vcc
	global_load_dword v32, v[30:31], off
	s_waitcnt vmcnt(7)
	v_mfma_f32_16x16x16bf16_1k v[18:21], v[38:39], v[6:7], 0
	v_or_b32_e32 v30, 0x80, v63
	v_add_u32_e32 v31, s10, v30
	v_ashrrev_i32_e32 v31, 5, v31
	v_cmp_gt_i32_e32 vcc, s33, v30
	v_cndmask_b32_e32 v30, v66, v31, vcc
	v_ashrrev_i32_e32 v31, 31, v30
	v_lshlrev_b64 v[30:31], 2, v[30:31]
	v_mfma_f32_16x16x16bf16_1k v[18:21], v[40:41], v[8:9], v[18:21]
	v_add_co_u32_e32 v30, vcc, s16, v30
	v_addc_co_u32_e32 v31, vcc, v33, v31, vcc
	global_load_dword v33, v[30:31], off
	v_or_b32_e32 v30, 0xc0, v63
	v_add_u32_e32 v31, s10, v30
	s_waitcnt vmcnt(7)
	v_mfma_f32_16x16x16bf16_1k v[18:21], v[42:43], v[2:3], v[18:21]
	v_ashrrev_i32_e32 v31, 5, v31
	v_cmp_gt_i32_e32 vcc, s33, v30
	v_cndmask_b32_e32 v30, v66, v31, vcc
	global_load_dwordx4 v[66:69], v[48:49], off
	v_ashrrev_i32_e32 v31, 31, v30
	v_lshlrev_b64 v[30:31], 2, v[30:31]
	v_mov_b32_e32 v38, s17
	v_mfma_f32_16x16x16bf16_1k v[18:21], v[44:45], v[4:5], v[18:21]
	v_add_co_u32_e32 v30, vcc, s16, v30
	v_addc_co_u32_e32 v31, vcc, v38, v31, vcc
	global_load_dword v63, v[30:31], off
	s_waitcnt vmcnt(8)
	v_mfma_f32_16x16x16bf16_1k v[18:21], v[22:23], v[10:11], v[18:21]
	v_add_co_u32_e32 v22, vcc, v64, v62
	v_addc_co_u32_e32 v23, vcc, 0, v65, vcc
	global_load_dwordx4 v[88:91], v[22:23], off
	v_and_b32_e32 v22, 16, v0
	v_lshlrev_b32_e32 v22, 1, v22
	v_mfma_f32_16x16x16bf16_1k v[18:21], v[24:25], v[12:13], v[18:21]
	v_mov_b32_e32 v23, s3
	v_add_co_u32_e32 v80, vcc, s2, v22
	v_addc_co_u32_e32 v81, vcc, 0, v23, vcc
	v_add_co_u32_e32 v22, vcc, v80, v82
	s_waitcnt vmcnt(8)
	v_mfma_f32_16x16x16bf16_1k v[18:21], v[26:27], v[50:51], v[18:21]
	v_addc_co_u32_e32 v23, vcc, 0, v81, vcc
	v_mfma_f32_16x16x16bf16_1k v[76:79], v[28:29], v[52:53], v[18:21]
	s_waitcnt vmcnt(5)
	s_nop 7
	v_mad_i64_i32 v[18:19], s[2:3], v46, s1, 0
	v_lshlrev_b64 v[70:71], 1, v[18:19]
	v_mfma_f32_16x16x16bf16_1k v[18:21], v[34:35], v[6:7], 0
	v_add_co_u32_e32 v6, vcc, v22, v70
	v_addc_co_u32_e32 v7, vcc, v23, v71, vcc
	global_load_dwordx4 v[46:49], v[6:7], off
	global_load_dwordx4 v[42:45], v[6:7], off offset:16
	v_pk_mul_f32 v[78:79], s[0:1], v[78:79] op_sel_hi:[0,1]
	s_waitcnt vmcnt(6)
	v_mad_i64_i32 v[6:7], s[2:3], v32, s1, 0
	v_lshlrev_b64 v[72:73], 1, v[6:7]
	v_mfma_f32_16x16x16bf16_1k v[6:9], v[36:37], v[8:9], v[18:21]
	v_mfma_f32_16x16x16bf16_1k v[6:9], v[14:15], v[2:3], v[6:9]
	s_nop 5
	v_add_co_u32_e32 v18, vcc, v22, v72
	v_addc_co_u32_e32 v19, vcc, v23, v73, vcc
	global_load_dwordx4 v[38:41], v[18:19], off
	global_load_dwordx4 v[34:37], v[18:19], off offset:16
	s_waitcnt vmcnt(7)
	v_mad_i64_i32 v[18:19], s[2:3], v33, s1, 0
	v_lshlrev_b64 v[64:65], 1, v[18:19]
	v_add_co_u32_e32 v2, vcc, v22, v64
	v_addc_co_u32_e32 v3, vcc, v23, v65, vcc
	global_load_dwordx4 v[30:33], v[2:3], off
	global_load_dwordx4 v[26:29], v[2:3], off offset:16
	v_mfma_f32_16x16x16bf16_1k v[2:5], v[16:17], v[4:5], v[6:9]
	s_waitcnt vmcnt(8)
	v_mfma_f32_16x16x16bf16_1k v[2:5], v[66:67], v[10:11], v[2:5]
	s_waitcnt vmcnt(7)
	s_nop 3
	v_mad_i64_i32 v[6:7], s[2:3], v63, s1, 0
	v_lshlrev_b64 v[62:63], 1, v[6:7]
	v_add_co_u32_e32 v6, vcc, v22, v62
	v_addc_co_u32_e32 v7, vcc, v23, v63, vcc
	v_mfma_f32_16x16x16bf16_1k v[10:13], v[68:69], v[12:13], v[2:5]
	global_load_dwordx4 v[22:25], v[6:7], off
	global_load_dwordx4 v[18:21], v[6:7], off offset:16
	v_or_b32_e32 v6, 0x1000, v82
	v_add_co_u32_e32 v86, vcc, v80, v6
	v_addc_co_u32_e32 v74, vcc, 0, v81, vcc
	s_nop 1
	v_add_co_u32_e32 v2, vcc, v86, v70
	s_waitcnt vmcnt(8)
	v_mfma_f32_16x16x16bf16_1k v[92:95], v[88:89], v[50:51], v[10:13]
	v_addc_co_u32_e32 v3, vcc, v74, v71, vcc
	v_add_co_u32_e32 v66, vcc, v86, v72
	v_addc_co_u32_e32 v67, vcc, v74, v73, vcc
	v_pk_mul_f32 v[72:73], s[0:1], v[76:77] op_sel_hi:[0,1]
	v_mfma_f32_16x16x16bf16_1k v[50:53], v[90:91], v[52:53], v[92:95]
	global_load_dwordx4 v[6:9], v[2:3], off
	s_nop 0
	global_load_dwordx4 v[2:5], v[2:3], off offset:16
	s_nop 0
	global_load_dwordx4 v[14:17], v[66:67], off
	global_load_dwordx4 v[10:13], v[66:67], off offset:16
	v_pk_mul_f32 v[68:69], s[0:1], v[54:55] op_sel_hi:[0,1]
	v_pk_mul_f32 v[80:81], s[0:1], v[56:57] op_sel_hi:[0,1]
	v_pk_mul_f32 v[70:71], s[0:1], v[58:59] op_sel_hi:[0,1]
	v_pk_mul_f32 v[82:83], s[0:1], v[60:61] op_sel_hi:[0,1]
	s_nop 0
	v_pk_mul_f32 v[76:77], s[0:1], v[50:51] op_sel_hi:[0,1]
	v_and_b32_e32 v50, 0xc0, v0
	v_add_u32_e32 v50, s9, v50
	v_lshl_or_b32 v50, v1, 2, v50
	v_pk_mul_f32 v[66:67], s[0:1], v[52:53] op_sel_hi:[0,1]
	v_or_b32_e32 v53, 1, v50
	v_mov_b32_e32 v51, 0xff7fffff
	v_cmp_gt_i32_e64 s[28:29], s33, v50
	v_cmp_gt_i32_e64 s[30:31], s33, v53
	v_cndmask_b32_e64 v52, v51, v68, s[28:29]
	v_cndmask_b32_e64 v53, v51, v69, s[30:31]
	v_max3_f32 v52, v52, s41, v53
	v_or_b32_e32 v53, 2, v50
	v_or_b32_e32 v54, 3, v50
	v_cmp_gt_i32_e64 s[34:35], s33, v53
	v_cmp_gt_i32_e64 s[36:37], s33, v54
	v_cndmask_b32_e64 v53, v51, v80, s[34:35]
	v_cndmask_b32_e64 v54, v51, v81, s[36:37]
	v_max3_f32 v52, v52, v53, v54
	v_or_b32_e32 v53, 16, v50
	v_or_b32_e32 v54, 17, v50
	;; [unrolled: 7-line block ×7, first 2 shown]
	v_cmp_gt_i32_e32 vcc, s33, v53
	v_cmp_gt_i32_e64 s[0:1], s33, v50
	v_cndmask_b32_e32 v53, v51, v66, vcc
	v_cndmask_b32_e64 v50, v51, v67, s[0:1]
	v_max3_f32 v58, v52, v53, v50
	v_mbcnt_lo_u32_b32 v50, -1, 0
	v_mbcnt_hi_u32_b32 v59, -1, v50
	v_and_b32_e32 v50, 64, v59
	v_add_u32_e32 v60, 64, v50
	v_xor_b32_e32 v50, 32, v59
	v_cmp_lt_i32_e64 s[38:39], v50, v60
	v_cndmask_b32_e64 v50, v59, v50, s[38:39]
	v_lshlrev_b32_e32 v75, 2, v50
	ds_bpermute_b32 v61, v75, v58
	v_add_co_u32_e64 v50, s[38:39], v86, v64
	v_addc_co_u32_e64 v51, s[38:39], v74, v65, s[38:39]
	s_waitcnt lgkmcnt(0)
	v_max_f32_e32 v61, v61, v61
	v_max_f32_e32 v61, v58, v61
	v_xor_b32_e32 v58, 16, v59
	v_cmp_lt_i32_e64 s[38:39], v58, v60
	v_cndmask_b32_e64 v58, v59, v58, s[38:39]
	v_lshlrev_b32_e32 v90, 2, v58
	ds_bpermute_b32 v60, v90, v61
	v_add_co_u32_e64 v58, s[38:39], v86, v62
	v_addc_co_u32_e64 v59, s[38:39], v74, v63, s[38:39]
	s_waitcnt lgkmcnt(0)
	v_max_f32_e32 v60, v60, v60
	v_max_f32_e32 v88, v61, v60
	v_sub_f32_e32 v60, v68, v88
	v_mul_f32_e32 v60, 0x3fb8aa3b, v60
	v_exp_f32_e32 v68, v60
	v_sub_f32_e32 v60, v69, v88
	v_mul_f32_e32 v60, 0x3fb8aa3b, v60
	global_load_dwordx4 v[54:57], v[50:51], off
	s_nop 0
	global_load_dwordx4 v[50:53], v[50:51], off offset:16
	v_exp_f32_e32 v69, v60
	global_load_dwordx4 v[62:65], v[58:59], off
	s_nop 0
	global_load_dwordx4 v[58:61], v[58:59], off offset:16
	v_sub_f32_e32 v80, v80, v88
	v_mul_f32_e32 v80, 0x3fb8aa3b, v80
	v_sub_f32_e32 v81, v81, v88
	v_exp_f32_e32 v80, v80
	v_mul_f32_e32 v81, 0x3fb8aa3b, v81
	v_sub_f32_e32 v70, v70, v88
	v_exp_f32_e32 v81, v81
	v_mul_f32_e32 v70, 0x3fb8aa3b, v70
	v_sub_f32_e32 v71, v71, v88
	v_cndmask_b32_e64 v68, 0, v68, s[28:29]
	v_exp_f32_e32 v70, v70
	v_mul_f32_e32 v71, 0x3fb8aa3b, v71
	v_sub_f32_e32 v82, v82, v88
	v_add_f32_e32 v74, 0, v68
	v_cndmask_b32_e64 v69, 0, v69, s[30:31]
	v_exp_f32_e32 v71, v71
	v_mul_f32_e32 v82, 0x3fb8aa3b, v82
	v_sub_f32_e32 v83, v83, v88
	v_add_f32_e32 v74, v74, v69
	;; [unrolled: 5-line block ×10, first 2 shown]
	v_cndmask_b32_e64 v78, 0, v78, s[10:11]
	v_exp_f32_e32 v66, v66
	v_mul_f32_e32 v67, 0x3fb8aa3b, v67
	v_add_f32_e32 v74, v74, v78
	v_cndmask_b32_e64 v79, 0, v79, s[12:13]
	v_exp_f32_e32 v67, v67
	v_add_f32_e32 v74, v74, v79
	v_cndmask_b32_e64 v76, 0, v76, s[2:3]
	v_add_f32_e32 v74, v74, v76
	v_cndmask_b32_e64 v77, 0, v77, s[8:9]
	v_add_f32_e32 v74, v74, v77
	v_cndmask_b32_e32 v66, 0, v66, vcc
	v_add_f32_e32 v74, v74, v66
	v_cndmask_b32_e64 v67, 0, v67, s[0:1]
	v_add_f32_e32 v74, v74, v67
	ds_bpermute_b32 v75, v75, v74
	s_waitcnt lgkmcnt(0)
	s_barrier
	v_add_f32_e32 v89, v74, v75
	ds_bpermute_b32 v90, v90, v89
	v_and_b32_e32 v74, 63, v0
	v_cmp_gt_u32_e32 vcc, 16, v74
	s_and_saveexec_b64 s[0:1], vcc
	s_cbranch_execz .LBB373_15
; %bb.14:
	s_waitcnt lgkmcnt(0)
	v_add_f32_e32 v74, v89, v90
	v_lshlrev_b32_e32 v75, 2, v87
	ds_write2st64_b32 v75, v88, v74 offset1:1
.LBB373_15:
	s_or_b64 exec, exec, s[0:1]
	v_lshlrev_b32_e32 v74, 2, v84
	s_load_dword s2, s[4:5], 0x94
	s_waitcnt lgkmcnt(0)
	s_barrier
	ds_read2_b32 v[88:89], v74 offset1:16
	ds_read2_b32 v[90:91], v74 offset0:32 offset1:48
	ds_read2_b32 v[92:93], v74 offset0:64 offset1:80
	s_movk_i32 s8, 0x7fff
	s_mov_b32 s9, 0x7060302
	s_waitcnt lgkmcnt(2)
	v_max3_f32 v75, v88, s41, v89
	s_waitcnt lgkmcnt(1)
	v_max3_f32 v86, v75, v90, v91
	v_sub_f32_e32 v75, v88, v86
	v_sub_f32_e32 v87, v89, v86
	v_mul_f32_e32 v75, 0x3fb8aa3b, v75
	v_mul_f32_e32 v87, 0x3fb8aa3b, v87
	v_exp_f32_e32 v75, v75
	v_exp_f32_e32 v94, v87
	v_sub_f32_e32 v87, v90, v86
	v_mul_f32_e32 v87, 0x3fb8aa3b, v87
	ds_read2_b32 v[88:89], v74 offset0:96 offset1:112
	v_sub_f32_e32 v74, v91, v86
	v_exp_f32_e32 v90, v87
	v_mul_f32_e32 v74, 0x3fb8aa3b, v74
	v_exp_f32_e32 v74, v74
	s_waitcnt lgkmcnt(1)
	v_fma_f32 v87, v75, v92, 0
	v_fmac_f32_e32 v87, v94, v93
	s_waitcnt lgkmcnt(0)
	v_fmac_f32_e32 v87, v90, v88
	v_fmac_f32_e32 v87, v74, v89
	v_add_f32_e32 v88, 0x358637bd, v87
	v_div_scale_f32 v89, s[0:1], v88, v88, 1.0
	v_rcp_f32_e32 v91, v89
	s_barrier
	v_fma_f32 v92, -v89, v91, 1.0
	v_fmac_f32_e32 v91, v92, v91
	v_div_scale_f32 v92, vcc, 1.0, v88, 1.0
	v_mul_f32_e32 v93, v92, v91
	v_fma_f32 v95, -v89, v93, v92
	v_fmac_f32_e32 v93, v95, v91
	v_fma_f32 v89, -v89, v93, v92
	v_div_fmas_f32 v89, v89, v91, v93
	v_cmp_eq_u32_e32 vcc, 1, v85
	v_cndmask_b32_e32 v75, v75, v94, vcc
	v_cmp_eq_u32_e32 vcc, 2, v85
	v_cndmask_b32_e32 v75, v75, v90, vcc
	v_cmp_eq_u32_e32 vcc, 3, v85
	v_div_fixup_f32 v88, v89, v88, 1.0
	v_cndmask_b32_e32 v74, v75, v74, vcc
	v_mul_f32_e32 v88, v74, v88
	v_pk_mul_f32 v[68:69], v[88:89], v[68:69] op_sel_hi:[0,1]
	v_bfe_u32 v74, v69, 16, 1
	v_bfe_u32 v75, v68, 16, 1
	v_pk_mul_f32 v[80:81], v[88:89], v[80:81] op_sel_hi:[0,1]
	v_add3_u32 v68, v68, v75, s8
	v_add3_u32 v69, v69, v74, s8
	v_perm_b32 v90, v69, v68, s9
	v_bfe_u32 v68, v81, 16, 1
	v_bfe_u32 v69, v80, 16, 1
	v_add3_u32 v69, v80, v69, s8
	v_add3_u32 v68, v81, v68, s8
	v_perm_b32 v91, v68, v69, s9
	v_lshlrev_b32_e32 v69, 3, v1
	v_lshlrev_b32_e32 v68, 5, v84
	;; [unrolled: 1-line block ×3, first 2 shown]
	v_pk_mul_f32 v[70:71], v[88:89], v[70:71] op_sel_hi:[0,1]
	v_or3_b32 v80, v74, v68, v69
	v_bfe_u32 v69, v71, 16, 1
	v_bfe_u32 v74, v70, 16, 1
	v_pk_mul_f32 v[82:83], v[88:89], v[82:83] op_sel_hi:[0,1]
	v_add3_u32 v70, v70, v74, s8
	v_add3_u32 v69, v71, v69, s8
	v_perm_b32 v70, v69, v70, s9
	v_bfe_u32 v69, v83, 16, 1
	v_bfe_u32 v71, v82, 16, 1
	v_add3_u32 v71, v82, v71, s8
	v_add3_u32 v69, v83, v69, s8
	v_pk_mul_f32 v[72:73], v[88:89], v[72:73] op_sel_hi:[0,1]
	v_perm_b32 v71, v69, v71, s9
	v_bfe_u32 v69, v73, 16, 1
	v_bfe_u32 v74, v72, 16, 1
	ds_write2st64_b64 v80, v[90:91], v[70:71] offset1:1
	v_pk_mul_f32 v[70:71], v[88:89], v[78:79] op_sel_hi:[0,1]
	v_add3_u32 v72, v72, v74, s8
	v_add3_u32 v69, v73, v69, s8
	v_perm_b32 v72, v69, v72, s9
	v_bfe_u32 v69, v71, 16, 1
	v_bfe_u32 v73, v70, 16, 1
	v_add3_u32 v70, v70, v73, s8
	v_add3_u32 v69, v71, v69, s8
	v_perm_b32 v73, v69, v70, s9
	v_pk_mul_f32 v[70:71], v[88:89], v[76:77] op_sel_hi:[0,1]
	v_bfe_u32 v69, v71, 16, 1
	v_bfe_u32 v74, v70, 16, 1
	v_pk_mul_f32 v[66:67], v[88:89], v[66:67] op_sel_hi:[0,1]
	v_add3_u32 v70, v70, v74, s8
	v_add3_u32 v69, v71, v69, s8
	v_perm_b32 v70, v69, v70, s9
	v_bfe_u32 v69, v67, 16, 1
	v_bfe_u32 v71, v66, 16, 1
	v_add3_u32 v66, v66, v71, s8
	v_add3_u32 v67, v67, v69, s8
	s_mul_i32 s3, s40, 10
	v_perm_b32 v71, v67, v66, s9
	v_cmp_gt_u32_e32 vcc, 10, v0
	ds_write2st64_b64 v80, v[72:73], v[70:71] offset0:2 offset1:3
	s_and_saveexec_b64 s[0:1], vcc
	s_cbranch_execz .LBB373_17
; %bb.16:
	v_add_co_u32_e32 v70, vcc, s27, v84
	v_addc_co_u32_e64 v71, s[10:11], 0, 0, vcc
	v_mov_b32_e32 v66, s3
	v_mov_b32_e32 v67, 0
	v_mad_u64_u32 v[70:71], s[10:11], s6, v66, v[70:71]
	v_mov_b32_e32 v66, s26
	s_load_dwordx4 s[12:15], s[4:5], 0x58
	s_mul_i32 s7, s7, s3
	v_mad_u64_u32 v[66:67], s[10:11], v70, s2, v[66:67]
	v_add_u32_e32 v69, s7, v71
	v_mov_b32_e32 v70, v67
	v_mad_u64_u32 v[70:71], s[10:11], v69, s2, v[70:71]
	v_mov_b32_e32 v67, v70
	v_lshlrev_b64 v[66:67], 2, v[66:67]
	s_waitcnt lgkmcnt(0)
	v_mov_b32_e32 v69, s15
	v_add_co_u32_e32 v70, vcc, s14, v66
	v_addc_co_u32_e32 v71, vcc, v69, v67, vcc
	v_mov_b32_e32 v69, s13
	v_add_co_u32_e32 v66, vcc, s12, v66
	v_addc_co_u32_e32 v67, vcc, v69, v67, vcc
	global_store_dword v[70:71], v86, off
	global_store_dword v[66:67], v87, off
.LBB373_17:
	s_or_b64 exec, exec, s[0:1]
	v_lshl_or_b32 v74, v1, 9, v68
	s_waitcnt lgkmcnt(0)
	s_barrier
	ds_read_b128 v[70:73], v74
	ds_read_b128 v[66:69], v74 offset:16
	s_waitcnt vmcnt(15) lgkmcnt(1)
	v_mfma_f32_16x16x16bf16_1k v[76:79], v[46:47], v[70:71], 0
	s_mov_b32 s1, 0
	v_cmp_gt_u32_e32 vcc, 64, v0
	v_mfma_f32_16x16x16bf16_1k v[46:49], v[48:49], v[72:73], v[76:79]
	s_waitcnt vmcnt(14) lgkmcnt(0)
	v_mfma_f32_16x16x16bf16_1k v[46:49], v[42:43], v[66:67], v[46:49]
	v_mfma_f32_16x16x16bf16_1k v[42:45], v[44:45], v[68:69], v[46:49]
	s_nop 7
	s_nop 1
	ds_read_b128 v[46:49], v74 offset:2048
	ds_read_b128 v[76:79], v74 offset:2064
	s_waitcnt vmcnt(13) lgkmcnt(1)
	v_mfma_f32_16x16x16bf16_1k v[42:45], v[38:39], v[46:47], v[42:45]
	v_mfma_f32_16x16x16bf16_1k v[38:41], v[40:41], v[48:49], v[42:45]
	s_waitcnt vmcnt(12) lgkmcnt(0)
	v_mfma_f32_16x16x16bf16_1k v[38:41], v[34:35], v[76:77], v[38:41]
	v_mfma_f32_16x16x16bf16_1k v[34:37], v[36:37], v[78:79], v[38:41]
	s_nop 7
	s_nop 1
	ds_read_b128 v[38:41], v74 offset:4096
	ds_read_b128 v[42:45], v74 offset:4112
	s_waitcnt vmcnt(11) lgkmcnt(1)
	v_mfma_f32_16x16x16bf16_1k v[34:37], v[30:31], v[38:39], v[34:37]
	v_mfma_f32_16x16x16bf16_1k v[30:33], v[32:33], v[40:41], v[34:37]
	s_waitcnt vmcnt(10) lgkmcnt(0)
	v_mfma_f32_16x16x16bf16_1k v[30:33], v[26:27], v[42:43], v[30:33]
	v_mfma_f32_16x16x16bf16_1k v[26:29], v[28:29], v[44:45], v[30:33]
	s_nop 7
	s_nop 1
	ds_read_b128 v[30:33], v74 offset:6144
	ds_read_b128 v[34:37], v74 offset:6160
	s_waitcnt lgkmcnt(0)
	s_barrier
	s_waitcnt vmcnt(9)
	v_mfma_f32_16x16x16bf16_1k v[26:29], v[22:23], v[30:31], v[26:29]
	v_mfma_f32_16x16x16bf16_1k v[22:25], v[24:25], v[32:33], v[26:29]
	s_waitcnt vmcnt(8)
	v_mfma_f32_16x16x16bf16_1k v[22:25], v[18:19], v[34:35], v[22:25]
	v_mfma_f32_16x16x16bf16_1k v[18:21], v[20:21], v[36:37], v[22:25]
	;; [unrolled: 3-line block ×4, first 2 shown]
	s_waitcnt vmcnt(5)
	v_mfma_f32_16x16x16bf16_1k v[2:5], v[14:15], v[46:47], v[2:5]
	s_nop 7
	v_bfe_u32 v6, v19, 16, 1
	v_bfe_u32 v7, v18, 16, 1
	v_add3_u32 v7, v18, v7, s8
	v_add3_u32 v6, v19, v6, s8
	v_perm_b32 v6, v6, v7, s9
	v_bfe_u32 v7, v21, 16, 1
	v_bfe_u32 v8, v20, 16, 1
	v_mfma_f32_16x16x16bf16_1k v[2:5], v[16:17], v[48:49], v[2:5]
	v_add3_u32 v8, v20, v8, s8
	v_add3_u32 v7, v21, v7, s8
	v_perm_b32 v7, v7, v8, s9
	s_waitcnt vmcnt(4)
	v_mfma_f32_16x16x16bf16_1k v[2:5], v[10:11], v[76:77], v[2:5]
	v_mfma_f32_16x16x16bf16_1k v[2:5], v[12:13], v[78:79], v[2:5]
	s_waitcnt vmcnt(3)
	v_mfma_f32_16x16x16bf16_1k v[2:5], v[54:55], v[38:39], v[2:5]
	v_mfma_f32_16x16x16bf16_1k v[2:5], v[56:57], v[40:41], v[2:5]
	;; [unrolled: 3-line block ×5, first 2 shown]
	s_nop 7
	s_nop 2
	v_bfe_u32 v8, v3, 16, 1
	v_bfe_u32 v9, v2, 16, 1
	v_add3_u32 v2, v2, v9, s8
	v_add3_u32 v3, v3, v8, s8
	v_perm_b32 v2, v3, v2, s9
	v_bfe_u32 v3, v5, 16, 1
	v_bfe_u32 v8, v4, 16, 1
	v_add3_u32 v4, v4, v8, s8
	v_add3_u32 v3, v5, v3, s8
	v_perm_b32 v3, v3, v4, s9
	ds_write2st64_b64 v80, v[6:7], v[2:3] offset1:1
	s_waitcnt lgkmcnt(0)
	s_barrier
	s_and_saveexec_b64 s[8:9], vcc
	s_cbranch_execz .LBB373_20
; %bb.18:
	buffer_load_dword v6, off, s[44:47], 0  ; 4-byte Folded Reload
	buffer_load_dword v7, off, s[44:47], 0 offset:4 ; 4-byte Folded Reload
	s_load_dwordx2 s[4:5], s[4:5], 0x68
	s_lshl_b32 s2, s2, 7
	s_mul_i32 s0, s3, s6
	s_mul_hi_u32 s7, s0, s2
	s_mul_i32 s6, s0, s2
	s_lshl_b64 s[6:7], s[6:7], 1
	s_waitcnt lgkmcnt(0)
	s_add_u32 s3, s4, s6
	s_addc_u32 s4, s5, s7
	s_lshl_b32 s0, s26, 7
	v_lshlrev_b32_e32 v4, 6, v84
	s_lshl_b64 s[0:1], s[0:1], 1
	v_lshlrev_b32_e32 v3, 4, v0
	v_lshl_or_b32 v0, v0, 10, v4
	s_add_u32 s0, s3, s0
	v_lshlrev_b32_e32 v2, 5, v1
	v_and_b32_e32 v3, 16, v3
	v_and_b32_e32 v0, 0x1a00, v0
	s_addc_u32 s1, s4, s1
	v_or3_b32 v0, v0, v2, v3
	v_mov_b32_e32 v4, s1
	v_or_b32_e32 v2, 8, v1
	v_add_u32_e32 v1, s27, v1
	s_waitcnt vmcnt(1)
	v_add_co_u32_e32 v3, vcc, s0, v6
	s_waitcnt vmcnt(0)
	v_addc_co_u32_e32 v4, vcc, v4, v7, vcc
	ds_read_b128 v[6:9], v0 offset:128
	ds_read_b128 v[10:13], v0
	v_mad_u64_u32 v[14:15], s[0:1], v1, s2, 0
	v_lshlrev_b64 v[14:15], 1, v[14:15]
	v_add_co_u32_e32 v14, vcc, v3, v14
	v_addc_co_u32_e32 v15, vcc, v4, v15, vcc
	v_add_u32_e32 v1, 4, v1
	s_waitcnt lgkmcnt(0)
	global_store_dwordx4 v[14:15], v[10:13], off
	s_nop 0
	v_mad_u64_u32 v[10:11], s[0:1], v1, s2, 0
	v_lshlrev_b64 v[10:11], 1, v[10:11]
	v_add_co_u32_e32 v10, vcc, v3, v10
	v_addc_co_u32_e32 v11, vcc, v4, v11, vcc
	v_cmp_gt_u32_e32 vcc, 10, v2
	global_store_dwordx4 v[10:11], v[6:9], off
	s_and_b64 exec, exec, vcc
	s_cbranch_execz .LBB373_20
; %bb.19:
	ds_read_b128 v[6:9], v0 offset:256
	v_add_u32_e32 v0, s27, v2
	v_mad_u64_u32 v[0:1], s[0:1], v0, s2, 0
	v_lshlrev_b64 v[0:1], 1, v[0:1]
	v_add_co_u32_e32 v0, vcc, v3, v0
	v_addc_co_u32_e32 v1, vcc, v4, v1, vcc
	s_waitcnt lgkmcnt(0)
	global_store_dwordx4 v[0:1], v[6:9], off
.LBB373_20:
	s_endpgm
	.section	.rodata,"a",@progbits
	.p2align	6, 0x0
	.amdhsa_kernel _Z39paged_attention_ll4mi_QKV_mfma16_kernelI14__hip_bfloat16S0_LN4vllm18Fp8KVCacheDataTypeE0ES0_Li32ELi128ELi256ELb0ELi10EL8MFMAType0EEvPKT_PKT0_S9_ifPKiSB_SB_iPKfiiiPfSE_PS4_PT2_iSD_SD_
		.amdhsa_group_segment_fixed_size 8192
		.amdhsa_private_segment_fixed_size 12
		.amdhsa_kernarg_size 400
		.amdhsa_user_sgpr_count 6
		.amdhsa_user_sgpr_private_segment_buffer 1
		.amdhsa_user_sgpr_dispatch_ptr 0
		.amdhsa_user_sgpr_queue_ptr 0
		.amdhsa_user_sgpr_kernarg_segment_ptr 1
		.amdhsa_user_sgpr_dispatch_id 0
		.amdhsa_user_sgpr_flat_scratch_init 0
		.amdhsa_user_sgpr_kernarg_preload_length 0
		.amdhsa_user_sgpr_kernarg_preload_offset 0
		.amdhsa_user_sgpr_private_segment_size 0
		.amdhsa_uses_dynamic_stack 0
		.amdhsa_system_sgpr_private_segment_wavefront_offset 1
		.amdhsa_system_sgpr_workgroup_id_x 1
		.amdhsa_system_sgpr_workgroup_id_y 1
		.amdhsa_system_sgpr_workgroup_id_z 1
		.amdhsa_system_sgpr_workgroup_info 0
		.amdhsa_system_vgpr_workitem_id 0
		.amdhsa_next_free_vgpr 96
		.amdhsa_next_free_sgpr 48
		.amdhsa_accum_offset 96
		.amdhsa_reserve_vcc 1
		.amdhsa_reserve_flat_scratch 0
		.amdhsa_float_round_mode_32 0
		.amdhsa_float_round_mode_16_64 0
		.amdhsa_float_denorm_mode_32 3
		.amdhsa_float_denorm_mode_16_64 3
		.amdhsa_dx10_clamp 1
		.amdhsa_ieee_mode 1
		.amdhsa_fp16_overflow 0
		.amdhsa_tg_split 0
		.amdhsa_exception_fp_ieee_invalid_op 0
		.amdhsa_exception_fp_denorm_src 0
		.amdhsa_exception_fp_ieee_div_zero 0
		.amdhsa_exception_fp_ieee_overflow 0
		.amdhsa_exception_fp_ieee_underflow 0
		.amdhsa_exception_fp_ieee_inexact 0
		.amdhsa_exception_int_div_zero 0
	.end_amdhsa_kernel
	.section	.text._Z39paged_attention_ll4mi_QKV_mfma16_kernelI14__hip_bfloat16S0_LN4vllm18Fp8KVCacheDataTypeE0ES0_Li32ELi128ELi256ELb0ELi10EL8MFMAType0EEvPKT_PKT0_S9_ifPKiSB_SB_iPKfiiiPfSE_PS4_PT2_iSD_SD_,"axG",@progbits,_Z39paged_attention_ll4mi_QKV_mfma16_kernelI14__hip_bfloat16S0_LN4vllm18Fp8KVCacheDataTypeE0ES0_Li32ELi128ELi256ELb0ELi10EL8MFMAType0EEvPKT_PKT0_S9_ifPKiSB_SB_iPKfiiiPfSE_PS4_PT2_iSD_SD_,comdat
.Lfunc_end373:
	.size	_Z39paged_attention_ll4mi_QKV_mfma16_kernelI14__hip_bfloat16S0_LN4vllm18Fp8KVCacheDataTypeE0ES0_Li32ELi128ELi256ELb0ELi10EL8MFMAType0EEvPKT_PKT0_S9_ifPKiSB_SB_iPKfiiiPfSE_PS4_PT2_iSD_SD_, .Lfunc_end373-_Z39paged_attention_ll4mi_QKV_mfma16_kernelI14__hip_bfloat16S0_LN4vllm18Fp8KVCacheDataTypeE0ES0_Li32ELi128ELi256ELb0ELi10EL8MFMAType0EEvPKT_PKT0_S9_ifPKiSB_SB_iPKfiiiPfSE_PS4_PT2_iSD_SD_
                                        ; -- End function
	.section	.AMDGPU.csdata,"",@progbits
; Kernel info:
; codeLenInByte = 5124
; NumSgprs: 52
; NumVgprs: 96
; NumAgprs: 0
; TotalNumVgprs: 96
; ScratchSize: 12
; MemoryBound: 0
; FloatMode: 240
; IeeeMode: 1
; LDSByteSize: 8192 bytes/workgroup (compile time only)
; SGPRBlocks: 6
; VGPRBlocks: 11
; NumSGPRsForWavesPerEU: 52
; NumVGPRsForWavesPerEU: 96
; AccumOffset: 96
; Occupancy: 5
; WaveLimiterHint : 1
; COMPUTE_PGM_RSRC2:SCRATCH_EN: 1
; COMPUTE_PGM_RSRC2:USER_SGPR: 6
; COMPUTE_PGM_RSRC2:TRAP_HANDLER: 0
; COMPUTE_PGM_RSRC2:TGID_X_EN: 1
; COMPUTE_PGM_RSRC2:TGID_Y_EN: 1
; COMPUTE_PGM_RSRC2:TGID_Z_EN: 1
; COMPUTE_PGM_RSRC2:TIDIG_COMP_CNT: 0
; COMPUTE_PGM_RSRC3_GFX90A:ACCUM_OFFSET: 23
; COMPUTE_PGM_RSRC3_GFX90A:TG_SPLIT: 0
	.section	.text._Z39paged_attention_ll4mi_QKV_mfma16_kernelI14__hip_bfloat16S0_LN4vllm18Fp8KVCacheDataTypeE0ES0_Li32ELi128ELi256ELb0ELi11EL8MFMAType0EEvPKT_PKT0_S9_ifPKiSB_SB_iPKfiiiPfSE_PS4_PT2_iSD_SD_,"axG",@progbits,_Z39paged_attention_ll4mi_QKV_mfma16_kernelI14__hip_bfloat16S0_LN4vllm18Fp8KVCacheDataTypeE0ES0_Li32ELi128ELi256ELb0ELi11EL8MFMAType0EEvPKT_PKT0_S9_ifPKiSB_SB_iPKfiiiPfSE_PS4_PT2_iSD_SD_,comdat
	.protected	_Z39paged_attention_ll4mi_QKV_mfma16_kernelI14__hip_bfloat16S0_LN4vllm18Fp8KVCacheDataTypeE0ES0_Li32ELi128ELi256ELb0ELi11EL8MFMAType0EEvPKT_PKT0_S9_ifPKiSB_SB_iPKfiiiPfSE_PS4_PT2_iSD_SD_ ; -- Begin function _Z39paged_attention_ll4mi_QKV_mfma16_kernelI14__hip_bfloat16S0_LN4vllm18Fp8KVCacheDataTypeE0ES0_Li32ELi128ELi256ELb0ELi11EL8MFMAType0EEvPKT_PKT0_S9_ifPKiSB_SB_iPKfiiiPfSE_PS4_PT2_iSD_SD_
	.globl	_Z39paged_attention_ll4mi_QKV_mfma16_kernelI14__hip_bfloat16S0_LN4vllm18Fp8KVCacheDataTypeE0ES0_Li32ELi128ELi256ELb0ELi11EL8MFMAType0EEvPKT_PKT0_S9_ifPKiSB_SB_iPKfiiiPfSE_PS4_PT2_iSD_SD_
	.p2align	8
	.type	_Z39paged_attention_ll4mi_QKV_mfma16_kernelI14__hip_bfloat16S0_LN4vllm18Fp8KVCacheDataTypeE0ES0_Li32ELi128ELi256ELb0ELi11EL8MFMAType0EEvPKT_PKT0_S9_ifPKiSB_SB_iPKfiiiPfSE_PS4_PT2_iSD_SD_,@function
_Z39paged_attention_ll4mi_QKV_mfma16_kernelI14__hip_bfloat16S0_LN4vllm18Fp8KVCacheDataTypeE0ES0_Li32ELi128ELi256ELb0ELi11EL8MFMAType0EEvPKT_PKT0_S9_ifPKiSB_SB_iPKfiiiPfSE_PS4_PT2_iSD_SD_: ; @_Z39paged_attention_ll4mi_QKV_mfma16_kernelI14__hip_bfloat16S0_LN4vllm18Fp8KVCacheDataTypeE0ES0_Li32ELi128ELi256ELb0ELi11EL8MFMAType0EEvPKT_PKT0_S9_ifPKiSB_SB_iPKfiiiPfSE_PS4_PT2_iSD_SD_
; %bb.0:
	s_mov_b64 s[46:47], s[2:3]
	s_mov_b64 s[44:45], s[0:1]
	s_load_dwordx2 s[0:1], s[4:5], 0x30
	s_add_u32 s44, s44, s9
	s_addc_u32 s45, s45, 0
	s_mov_b32 s26, s7
	s_mov_b64 s[10:11], 0
	s_waitcnt lgkmcnt(0)
	s_cmp_lg_u64 s[0:1], 0
	s_cselect_b64 s[2:3], -1, 0
	s_and_b64 vcc, exec, s[2:3]
	s_cbranch_vccz .LBB374_7
; %bb.1:
	s_add_i32 s12, s6, 1
	s_mov_b32 s13, 0
	s_lshl_b64 s[14:15], s[12:13], 2
	s_add_u32 s14, s0, s14
	s_mov_b32 s7, s13
	s_addc_u32 s15, s1, s15
	s_lshl_b64 s[12:13], s[6:7], 2
	s_add_u32 s12, s0, s12
	s_addc_u32 s13, s1, s13
	s_load_dword s9, s[14:15], 0x0
	s_load_dword s16, s[12:13], 0x0
	s_waitcnt lgkmcnt(0)
	s_sub_i32 s9, s9, s16
	s_cmp_eq_u32 s9, 1
	s_cselect_b64 s[12:13], -1, 0
	s_andn2_b64 vcc, exec, s[10:11]
	s_cbranch_vccnz .LBB374_3
.LBB374_2:
	s_mov_b32 s7, 0
	s_mov_b64 s[12:13], -1
.LBB374_3:
	s_andn2_b64 vcc, exec, s[12:13]
	s_cbranch_vccnz .LBB374_20
; %bb.4:
	s_load_dwordx2 s[12:13], s[4:5], 0x28
	s_lshl_b64 s[10:11], s[6:7], 2
	s_waitcnt lgkmcnt(0)
	s_add_u32 s12, s12, s10
	s_addc_u32 s13, s13, s11
	s_load_dword s33, s[12:13], 0x0
	s_lshl_b32 s9, s26, 8
	s_waitcnt lgkmcnt(0)
	s_cmp_ge_i32 s9, s33
	s_cbranch_scc1 .LBB374_20
; %bb.5:
	s_add_i32 s15, s33, 31
	s_load_dwordx2 s[12:13], s[4:5], 0x20
	s_load_dword s14, s[4:5], 0x38
	s_ashr_i32 s16, s15, 31
	v_and_b32_e32 v1, 0xcf, v0
	s_lshr_b32 s16, s16, 27
	v_add_u32_e32 v1, s9, v1
	s_add_i32 s15, s15, s16
	v_ashrrev_i32_e32 v2, 31, v1
	s_ashr_i32 s18, s15, 5
	v_lshrrev_b32_e32 v10, 27, v2
	s_add_i32 s18, s18, -1
	v_add_u32_e32 v2, v1, v10
	s_waitcnt lgkmcnt(0)
	s_mul_i32 s14, s6, s14
	s_mov_b32 s15, 0
	v_ashrrev_i32_e32 v2, 5, v2
	v_mov_b32_e32 v11, s18
	v_cmp_gt_i32_e32 vcc, s33, v1
	s_lshl_b64 s[14:15], s[14:15], 2
	v_cndmask_b32_e32 v2, v11, v2, vcc
	s_add_u32 s16, s12, s14
	v_ashrrev_i32_e32 v3, 31, v2
	s_addc_u32 s17, s13, s15
	v_lshlrev_b64 v[2:3], 2, v[2:3]
	v_mov_b32_e32 v4, s17
	v_add_co_u32_e32 v2, vcc, s16, v2
	v_addc_co_u32_e32 v3, vcc, v4, v3, vcc
	v_or_b32_e32 v4, 16, v1
	v_add_u32_e32 v5, v4, v10
	v_ashrrev_i32_e32 v5, 5, v5
	v_cmp_gt_i32_e32 vcc, s33, v4
	v_cndmask_b32_e32 v4, v11, v5, vcc
	v_ashrrev_i32_e32 v5, 31, v4
	v_lshlrev_b64 v[4:5], 2, v[4:5]
	v_mov_b32_e32 v7, s17
	v_add_co_u32_e32 v6, vcc, s16, v4
	v_or_b32_e32 v4, 32, v1
	v_addc_co_u32_e32 v7, vcc, v7, v5, vcc
	v_add_u32_e32 v5, v4, v10
	v_ashrrev_i32_e32 v5, 5, v5
	v_cmp_gt_i32_e32 vcc, s33, v4
	v_cndmask_b32_e32 v4, v11, v5, vcc
	v_ashrrev_i32_e32 v5, 31, v4
	v_lshlrev_b64 v[4:5], 2, v[4:5]
	v_mov_b32_e32 v9, s17
	v_add_co_u32_e32 v8, vcc, s16, v4
	v_or_b32_e32 v1, 48, v1
	v_addc_co_u32_e32 v9, vcc, v9, v5, vcc
	v_add_u32_e32 v4, v1, v10
	v_ashrrev_i32_e32 v4, 5, v4
	v_cmp_gt_i32_e32 vcc, s33, v1
	v_cndmask_b32_e32 v4, v11, v4, vcc
	v_ashrrev_i32_e32 v5, 31, v4
	v_lshlrev_b64 v[4:5], 2, v[4:5]
	v_mov_b32_e32 v1, s17
	v_add_co_u32_e32 v10, vcc, s16, v4
	v_addc_co_u32_e32 v11, vcc, v1, v5, vcc
	global_load_dword v5, v[2:3], off
	global_load_dword v4, v[6:7], off
	;; [unrolled: 1-line block ×4, first 2 shown]
	s_andn2_b64 vcc, exec, s[2:3]
	s_cbranch_vccnz .LBB374_8
; %bb.6:
	s_add_u32 s0, s0, s10
	s_addc_u32 s1, s1, s11
	s_load_dword s19, s[0:1], 0x0
	s_branch .LBB374_9
.LBB374_7:
	s_mov_b64 s[12:13], 0
	s_branch .LBB374_2
.LBB374_8:
	s_mov_b32 s19, s6
.LBB374_9:
	s_load_dwordx4 s[12:15], s[4:5], 0x8
	s_load_dwordx4 s[0:3], s[4:5], 0x48
	v_lshrrev_b32_e32 v85, 6, v0
	v_bfe_u32 v1, v0, 4, 2
	v_lshl_or_b32 v6, v85, 2, v1
	v_and_b32_e32 v84, 15, v0
	v_lshlrev_b32_e32 v2, 3, v84
	v_cmp_lt_u32_e32 vcc, 10, v6
	s_and_saveexec_b64 s[10:11], vcc
	s_xor_b64 s[10:11], exec, s[10:11]
; %bb.10:
	v_mov_b32_e32 v3, 0
                                        ; implicit-def: $vgpr6
; %bb.11:
	s_or_saveexec_b64 s[10:11], s[10:11]
	s_mul_i32 s27, s8, 11
	s_xor_b64 exec, exec, s[10:11]
	s_cbranch_execz .LBB374_13
; %bb.12:
	s_load_dwordx2 s[20:21], s[4:5], 0x0
	s_waitcnt lgkmcnt(0)
	s_ashr_i32 s3, s0, 31
	s_mul_hi_u32 s22, s19, s0
	s_mul_i32 s3, s19, s3
	s_add_i32 s23, s22, s3
	s_mul_i32 s22, s19, s0
	s_lshl_b64 s[22:23], s[22:23], 1
	v_add_lshl_u32 v8, v6, s27, 7
	s_add_u32 s0, s20, s22
	v_ashrrev_i32_e32 v9, 31, v8
	s_addc_u32 s3, s21, s23
	v_lshlrev_b64 v[8:9], 1, v[8:9]
	v_mov_b32_e32 v3, s3
	v_add_co_u32_e32 v7, vcc, s0, v8
	v_addc_co_u32_e32 v3, vcc, v3, v9, vcc
	v_lshlrev_b32_e32 v8, 1, v2
	v_add_co_u32_e32 v8, vcc, v7, v8
	v_addc_co_u32_e32 v9, vcc, 0, v3, vcc
	global_load_dwordx4 v[8:11], v[8:9], off
	v_and_b32_e32 v7, 3, v0
	v_lshlrev_b32_e32 v12, 9, v84
	v_lshlrev_b32_e32 v6, 5, v6
	;; [unrolled: 1-line block ×3, first 2 shown]
	v_and_b32_e32 v12, 0x1800, v12
	v_mov_b32_e32 v3, 0
	v_or3_b32 v6, v12, v7, v6
	s_waitcnt vmcnt(0)
	ds_write_b128 v6, v[8:11]
.LBB374_13:
	s_or_b64 exec, exec, s[10:11]
	s_waitcnt lgkmcnt(0)
	s_mul_i32 s2, s8, s2
	s_mov_b32 s3, 0
	s_lshl_b64 s[2:3], s[2:3], 1
	s_add_u32 s8, s12, s2
	s_addc_u32 s10, s13, s3
	s_waitcnt vmcnt(3)
	v_mad_i64_i32 v[6:7], s[12:13], v5, s1, 0
	v_lshlrev_b64 v[6:7], 1, v[6:7]
	v_mov_b32_e32 v5, s10
	v_add_co_u32_e32 v6, vcc, s8, v6
	v_addc_co_u32_e32 v5, vcc, v5, v7, vcc
	v_lshlrev_b64 v[60:61], 1, v[2:3]
	v_add_co_u32_e32 v27, vcc, v6, v60
	v_lshlrev_b32_e32 v26, 9, v1
	v_addc_co_u32_e32 v28, vcc, v5, v61, vcc
	v_add_co_u32_e32 v2, vcc, v27, v26
	v_addc_co_u32_e32 v3, vcc, 0, v28, vcc
	s_load_dword s40, s[4:5], 0x98
	s_load_dword s0, s[4:5], 0x1c
	s_waitcnt lgkmcnt(0)
	s_barrier
	global_load_dwordx4 v[10:13], v[2:3], off
	s_waitcnt vmcnt(3)
	v_mad_i64_i32 v[4:5], s[12:13], v4, s1, 0
	v_lshlrev_b64 v[4:5], 1, v[4:5]
	v_mov_b32_e32 v6, s10
	v_add_co_u32_e32 v4, vcc, s8, v4
	v_addc_co_u32_e32 v5, vcc, v6, v5, vcc
	v_mov_b32_e32 v6, 0x100
	v_lshl_or_b32 v29, v84, 4, v6
	v_add_co_u32_e32 v30, vcc, v4, v29
	v_addc_co_u32_e32 v31, vcc, 0, v5, vcc
	v_add_co_u32_e32 v22, vcc, v30, v26
	v_addc_co_u32_e32 v23, vcc, 0, v31, vcc
	global_load_dwordx4 v[18:21], v[22:23], off
	global_load_dwordx4 v[14:17], v[2:3], off offset:2048
	v_add_u32_e32 v2, -11, v84
	v_cmp_gt_u32_e32 vcc, 11, v84
	v_cndmask_b32_e32 v2, v2, v84, vcc
	v_lshl_add_u32 v32, v2, 5, v26
	ds_read_b128 v[6:9], v32
	ds_read_b128 v[2:5], v32 offset:2048
	v_or_b32_e32 v58, 0x1000, v26
	global_load_dwordx4 v[38:41], v[22:23], off offset:2048
	v_add_co_u32_e32 v22, vcc, v27, v58
	v_addc_co_u32_e32 v23, vcc, 0, v28, vcc
	v_or_b32_e32 v62, 0x1800, v26
	s_ashr_i32 s11, s9, 31
	v_and_or_b32 v63, v0, 48, s9
	v_mov_b32_e32 v66, s18
	v_lshl_or_b32 v87, v85, 4, v84
	v_lshlrev_b32_e32 v82, 6, v87
	s_mov_b32 s41, 0xff7fffff
	s_waitcnt vmcnt(3) lgkmcnt(1)
	v_mfma_f32_16x16x16bf16_1k v[34:37], v[10:11], v[6:7], 0
	s_waitcnt vmcnt(2)
	v_mfma_f32_16x16x16bf16_1k v[42:45], v[18:19], v[6:7], 0
	v_mfma_f32_16x16x16bf16_1k v[10:13], v[12:13], v[8:9], v[34:37]
	s_nop 7
	global_load_dwordx4 v[34:37], v[22:23], off
	v_add_co_u32_e32 v22, vcc, v30, v58
	v_addc_co_u32_e32 v23, vcc, 0, v31, vcc
	v_mfma_f32_16x16x16bf16_1k v[18:21], v[20:21], v[8:9], v[42:45]
	global_load_dwordx4 v[46:49], v[22:23], off
	s_waitcnt vmcnt(3) lgkmcnt(0)
	v_mfma_f32_16x16x16bf16_1k v[42:45], v[14:15], v[2:3], v[10:13]
	s_nop 6
	v_add_co_u32_e32 v10, vcc, v27, v62
	v_addc_co_u32_e32 v11, vcc, 0, v28, vcc
	global_load_dwordx4 v[54:57], v[10:11], off
	v_mad_i64_i32 v[10:11], s[12:13], v25, s1, 0
	v_add_co_u32_e32 v30, vcc, v30, v62
	v_lshlrev_b64 v[22:23], 1, v[10:11]
	v_addc_co_u32_e32 v31, vcc, 0, v31, vcc
	v_mov_b32_e32 v25, s10
	v_add_co_u32_e32 v22, vcc, s8, v22
	v_addc_co_u32_e32 v23, vcc, v25, v23, vcc
	ds_read_b128 v[10:13], v32 offset:4096
	ds_read_b128 v[50:53], v32 offset:6144
	global_load_dwordx4 v[30:33], v[30:31], off
	v_add_co_u32_e32 v27, vcc, v22, v60
	buffer_store_dword v60, off, s[44:47], 0 ; 4-byte Folded Spill
	s_nop 0
	buffer_store_dword v61, off, s[44:47], 0 offset:4 ; 4-byte Folded Spill
	s_waitcnt vmcnt(6)
	v_mfma_f32_16x16x16bf16_1k v[18:21], v[38:39], v[2:3], v[18:21]
	v_mov_b32_e32 v28, s10
	s_lshr_b32 s10, s11, 27
	s_add_u32 s2, s14, s2
	s_addc_u32 s3, s15, s3
	v_addc_co_u32_e32 v59, vcc, v23, v61, vcc
	v_add_co_u32_e32 v22, vcc, v27, v26
	v_addc_co_u32_e32 v23, vcc, 0, v59, vcc
	v_mfma_f32_16x16x16bf16_1k v[14:17], v[16:17], v[4:5], v[42:45]
	v_mfma_f32_16x16x16bf16_1k v[18:21], v[40:41], v[4:5], v[18:21]
	global_load_dwordx4 v[38:41], v[22:23], off
	s_nop 4
	global_load_dwordx4 v[42:45], v[22:23], off offset:2048
	v_mad_i64_i32 v[22:23], s[12:13], v24, s1, 0
	s_waitcnt vmcnt(7) lgkmcnt(1)
	v_mfma_f32_16x16x16bf16_1k v[14:17], v[34:35], v[10:11], v[14:17]
	v_lshlrev_b64 v[34:35], 1, v[22:23]
	v_add_co_u32_e32 v22, vcc, v27, v58
	v_addc_co_u32_e32 v23, vcc, 0, v59, vcc
	global_load_dwordx4 v[22:25], v[22:23], off
	v_add_co_u32_e32 v34, vcc, s8, v34
	s_waitcnt vmcnt(7)
	v_mfma_f32_16x16x16bf16_1k v[18:21], v[46:47], v[10:11], v[18:21]
	v_addc_co_u32_e32 v28, vcc, v28, v35, vcc
	v_add_co_u32_e32 v64, vcc, v34, v29
	v_addc_co_u32_e32 v65, vcc, 0, v28, vcc
	v_add_co_u32_e32 v28, vcc, v27, v62
	v_mfma_f32_16x16x16bf16_1k v[14:17], v[36:37], v[12:13], v[14:17]
	v_addc_co_u32_e32 v29, vcc, 0, v59, vcc
	v_add_co_u32_e32 v46, vcc, v64, v26
	global_load_dwordx4 v[26:29], v[28:29], off
	v_addc_co_u32_e32 v47, vcc, 0, v65, vcc
	v_mfma_f32_16x16x16bf16_1k v[18:21], v[48:49], v[12:13], v[18:21]
	v_add_co_u32_e32 v48, vcc, v64, v58
	v_add_u32_e32 v35, s10, v63
	v_addc_co_u32_e32 v49, vcc, 0, v65, vcc
	v_ashrrev_i32_e32 v60, 5, v35
	v_cmp_gt_i32_e32 vcc, s33, v63
	s_waitcnt vmcnt(7) lgkmcnt(0)
	v_mfma_f32_16x16x16bf16_1k v[14:17], v[54:55], v[50:51], v[14:17]
	s_waitcnt vmcnt(6)
	v_mfma_f32_16x16x16bf16_1k v[18:21], v[30:31], v[50:51], v[18:21]
	v_mov_b32_e32 v31, s17
	v_mfma_f32_16x16x16bf16_1k v[54:57], v[56:57], v[52:53], v[14:17]
	global_load_dwordx4 v[34:37], v[46:47], off
	s_nop 5
	global_load_dwordx4 v[14:17], v[46:47], off offset:2048
	v_cndmask_b32_e32 v46, v66, v60, vcc
	v_ashrrev_i32_e32 v47, 31, v46
	v_lshlrev_b64 v[46:47], 2, v[46:47]
	v_add_co_u32_e32 v30, vcc, s16, v46
	v_addc_co_u32_e32 v31, vcc, v31, v47, vcc
	global_load_dword v46, v[30:31], off
	v_or_b32_e32 v30, 64, v63
	v_mfma_f32_16x16x16bf16_1k v[58:61], v[32:33], v[52:53], v[18:21]
	v_cmp_gt_i32_e32 vcc, s33, v30
	v_mov_b32_e32 v32, s17
	v_mov_b32_e32 v33, s17
	s_nop 3
	v_add_u32_e32 v18, s10, v30
	v_ashrrev_i32_e32 v18, 5, v18
	v_cndmask_b32_e32 v18, v66, v18, vcc
	v_ashrrev_i32_e32 v19, 31, v18
	v_lshlrev_b64 v[30:31], 2, v[18:19]
	v_add_co_u32_e32 v30, vcc, s16, v30
	v_addc_co_u32_e32 v31, vcc, v32, v31, vcc
	global_load_dword v32, v[30:31], off
	s_waitcnt vmcnt(7)
	v_mfma_f32_16x16x16bf16_1k v[18:21], v[38:39], v[6:7], 0
	v_or_b32_e32 v30, 0x80, v63
	v_add_u32_e32 v31, s10, v30
	v_ashrrev_i32_e32 v31, 5, v31
	v_cmp_gt_i32_e32 vcc, s33, v30
	v_cndmask_b32_e32 v30, v66, v31, vcc
	v_ashrrev_i32_e32 v31, 31, v30
	v_lshlrev_b64 v[30:31], 2, v[30:31]
	v_mfma_f32_16x16x16bf16_1k v[18:21], v[40:41], v[8:9], v[18:21]
	v_add_co_u32_e32 v30, vcc, s16, v30
	v_addc_co_u32_e32 v31, vcc, v33, v31, vcc
	global_load_dword v33, v[30:31], off
	v_or_b32_e32 v30, 0xc0, v63
	v_add_u32_e32 v31, s10, v30
	s_waitcnt vmcnt(7)
	v_mfma_f32_16x16x16bf16_1k v[18:21], v[42:43], v[2:3], v[18:21]
	v_ashrrev_i32_e32 v31, 5, v31
	v_cmp_gt_i32_e32 vcc, s33, v30
	v_cndmask_b32_e32 v30, v66, v31, vcc
	global_load_dwordx4 v[66:69], v[48:49], off
	v_ashrrev_i32_e32 v31, 31, v30
	v_lshlrev_b64 v[30:31], 2, v[30:31]
	v_mov_b32_e32 v38, s17
	v_mfma_f32_16x16x16bf16_1k v[18:21], v[44:45], v[4:5], v[18:21]
	v_add_co_u32_e32 v30, vcc, s16, v30
	v_addc_co_u32_e32 v31, vcc, v38, v31, vcc
	global_load_dword v63, v[30:31], off
	s_waitcnt vmcnt(8)
	v_mfma_f32_16x16x16bf16_1k v[18:21], v[22:23], v[10:11], v[18:21]
	v_add_co_u32_e32 v22, vcc, v64, v62
	v_addc_co_u32_e32 v23, vcc, 0, v65, vcc
	global_load_dwordx4 v[88:91], v[22:23], off
	v_and_b32_e32 v22, 16, v0
	v_lshlrev_b32_e32 v22, 1, v22
	v_mfma_f32_16x16x16bf16_1k v[18:21], v[24:25], v[12:13], v[18:21]
	v_mov_b32_e32 v23, s3
	v_add_co_u32_e32 v80, vcc, s2, v22
	v_addc_co_u32_e32 v81, vcc, 0, v23, vcc
	v_add_co_u32_e32 v22, vcc, v80, v82
	s_waitcnt vmcnt(8)
	v_mfma_f32_16x16x16bf16_1k v[18:21], v[26:27], v[50:51], v[18:21]
	v_addc_co_u32_e32 v23, vcc, 0, v81, vcc
	v_mfma_f32_16x16x16bf16_1k v[76:79], v[28:29], v[52:53], v[18:21]
	s_waitcnt vmcnt(5)
	s_nop 7
	v_mad_i64_i32 v[18:19], s[2:3], v46, s1, 0
	v_lshlrev_b64 v[70:71], 1, v[18:19]
	v_mfma_f32_16x16x16bf16_1k v[18:21], v[34:35], v[6:7], 0
	v_add_co_u32_e32 v6, vcc, v22, v70
	v_addc_co_u32_e32 v7, vcc, v23, v71, vcc
	global_load_dwordx4 v[46:49], v[6:7], off
	global_load_dwordx4 v[42:45], v[6:7], off offset:16
	v_pk_mul_f32 v[78:79], s[0:1], v[78:79] op_sel_hi:[0,1]
	s_waitcnt vmcnt(6)
	v_mad_i64_i32 v[6:7], s[2:3], v32, s1, 0
	v_lshlrev_b64 v[72:73], 1, v[6:7]
	v_mfma_f32_16x16x16bf16_1k v[6:9], v[36:37], v[8:9], v[18:21]
	v_mfma_f32_16x16x16bf16_1k v[6:9], v[14:15], v[2:3], v[6:9]
	s_nop 5
	v_add_co_u32_e32 v18, vcc, v22, v72
	v_addc_co_u32_e32 v19, vcc, v23, v73, vcc
	global_load_dwordx4 v[38:41], v[18:19], off
	global_load_dwordx4 v[34:37], v[18:19], off offset:16
	s_waitcnt vmcnt(7)
	v_mad_i64_i32 v[18:19], s[2:3], v33, s1, 0
	v_lshlrev_b64 v[64:65], 1, v[18:19]
	v_add_co_u32_e32 v2, vcc, v22, v64
	v_addc_co_u32_e32 v3, vcc, v23, v65, vcc
	global_load_dwordx4 v[30:33], v[2:3], off
	global_load_dwordx4 v[26:29], v[2:3], off offset:16
	v_mfma_f32_16x16x16bf16_1k v[2:5], v[16:17], v[4:5], v[6:9]
	s_waitcnt vmcnt(8)
	v_mfma_f32_16x16x16bf16_1k v[2:5], v[66:67], v[10:11], v[2:5]
	s_waitcnt vmcnt(7)
	s_nop 3
	v_mad_i64_i32 v[6:7], s[2:3], v63, s1, 0
	v_lshlrev_b64 v[62:63], 1, v[6:7]
	v_add_co_u32_e32 v6, vcc, v22, v62
	v_addc_co_u32_e32 v7, vcc, v23, v63, vcc
	v_mfma_f32_16x16x16bf16_1k v[10:13], v[68:69], v[12:13], v[2:5]
	global_load_dwordx4 v[22:25], v[6:7], off
	global_load_dwordx4 v[18:21], v[6:7], off offset:16
	v_or_b32_e32 v6, 0x1000, v82
	v_add_co_u32_e32 v86, vcc, v80, v6
	v_addc_co_u32_e32 v74, vcc, 0, v81, vcc
	s_nop 1
	v_add_co_u32_e32 v2, vcc, v86, v70
	s_waitcnt vmcnt(8)
	v_mfma_f32_16x16x16bf16_1k v[92:95], v[88:89], v[50:51], v[10:13]
	v_addc_co_u32_e32 v3, vcc, v74, v71, vcc
	v_add_co_u32_e32 v66, vcc, v86, v72
	v_addc_co_u32_e32 v67, vcc, v74, v73, vcc
	v_pk_mul_f32 v[72:73], s[0:1], v[76:77] op_sel_hi:[0,1]
	v_mfma_f32_16x16x16bf16_1k v[50:53], v[90:91], v[52:53], v[92:95]
	global_load_dwordx4 v[6:9], v[2:3], off
	s_nop 0
	global_load_dwordx4 v[2:5], v[2:3], off offset:16
	s_nop 0
	global_load_dwordx4 v[14:17], v[66:67], off
	global_load_dwordx4 v[10:13], v[66:67], off offset:16
	v_pk_mul_f32 v[68:69], s[0:1], v[54:55] op_sel_hi:[0,1]
	v_pk_mul_f32 v[80:81], s[0:1], v[56:57] op_sel_hi:[0,1]
	;; [unrolled: 1-line block ×4, first 2 shown]
	s_nop 0
	v_pk_mul_f32 v[76:77], s[0:1], v[50:51] op_sel_hi:[0,1]
	v_and_b32_e32 v50, 0xc0, v0
	v_add_u32_e32 v50, s9, v50
	v_lshl_or_b32 v50, v1, 2, v50
	v_pk_mul_f32 v[66:67], s[0:1], v[52:53] op_sel_hi:[0,1]
	v_or_b32_e32 v53, 1, v50
	v_mov_b32_e32 v51, 0xff7fffff
	v_cmp_gt_i32_e64 s[28:29], s33, v50
	v_cmp_gt_i32_e64 s[30:31], s33, v53
	v_cndmask_b32_e64 v52, v51, v68, s[28:29]
	v_cndmask_b32_e64 v53, v51, v69, s[30:31]
	v_max3_f32 v52, v52, s41, v53
	v_or_b32_e32 v53, 2, v50
	v_or_b32_e32 v54, 3, v50
	v_cmp_gt_i32_e64 s[34:35], s33, v53
	v_cmp_gt_i32_e64 s[36:37], s33, v54
	v_cndmask_b32_e64 v53, v51, v80, s[34:35]
	v_cndmask_b32_e64 v54, v51, v81, s[36:37]
	v_max3_f32 v52, v52, v53, v54
	v_or_b32_e32 v53, 16, v50
	v_or_b32_e32 v54, 17, v50
	;; [unrolled: 7-line block ×7, first 2 shown]
	v_cmp_gt_i32_e32 vcc, s33, v53
	v_cmp_gt_i32_e64 s[0:1], s33, v50
	v_cndmask_b32_e32 v53, v51, v66, vcc
	v_cndmask_b32_e64 v50, v51, v67, s[0:1]
	v_max3_f32 v58, v52, v53, v50
	v_mbcnt_lo_u32_b32 v50, -1, 0
	v_mbcnt_hi_u32_b32 v59, -1, v50
	v_and_b32_e32 v50, 64, v59
	v_add_u32_e32 v60, 64, v50
	v_xor_b32_e32 v50, 32, v59
	v_cmp_lt_i32_e64 s[38:39], v50, v60
	v_cndmask_b32_e64 v50, v59, v50, s[38:39]
	v_lshlrev_b32_e32 v75, 2, v50
	ds_bpermute_b32 v61, v75, v58
	v_add_co_u32_e64 v50, s[38:39], v86, v64
	v_addc_co_u32_e64 v51, s[38:39], v74, v65, s[38:39]
	s_waitcnt lgkmcnt(0)
	v_max_f32_e32 v61, v61, v61
	v_max_f32_e32 v61, v58, v61
	v_xor_b32_e32 v58, 16, v59
	v_cmp_lt_i32_e64 s[38:39], v58, v60
	v_cndmask_b32_e64 v58, v59, v58, s[38:39]
	v_lshlrev_b32_e32 v90, 2, v58
	ds_bpermute_b32 v60, v90, v61
	v_add_co_u32_e64 v58, s[38:39], v86, v62
	v_addc_co_u32_e64 v59, s[38:39], v74, v63, s[38:39]
	s_waitcnt lgkmcnt(0)
	v_max_f32_e32 v60, v60, v60
	v_max_f32_e32 v88, v61, v60
	v_sub_f32_e32 v60, v68, v88
	v_mul_f32_e32 v60, 0x3fb8aa3b, v60
	v_exp_f32_e32 v68, v60
	v_sub_f32_e32 v60, v69, v88
	v_mul_f32_e32 v60, 0x3fb8aa3b, v60
	global_load_dwordx4 v[54:57], v[50:51], off
	s_nop 0
	global_load_dwordx4 v[50:53], v[50:51], off offset:16
	v_exp_f32_e32 v69, v60
	global_load_dwordx4 v[62:65], v[58:59], off
	s_nop 0
	global_load_dwordx4 v[58:61], v[58:59], off offset:16
	v_sub_f32_e32 v80, v80, v88
	v_mul_f32_e32 v80, 0x3fb8aa3b, v80
	v_sub_f32_e32 v81, v81, v88
	v_exp_f32_e32 v80, v80
	v_mul_f32_e32 v81, 0x3fb8aa3b, v81
	v_sub_f32_e32 v70, v70, v88
	v_exp_f32_e32 v81, v81
	v_mul_f32_e32 v70, 0x3fb8aa3b, v70
	v_sub_f32_e32 v71, v71, v88
	v_cndmask_b32_e64 v68, 0, v68, s[28:29]
	v_exp_f32_e32 v70, v70
	v_mul_f32_e32 v71, 0x3fb8aa3b, v71
	v_sub_f32_e32 v82, v82, v88
	v_add_f32_e32 v74, 0, v68
	v_cndmask_b32_e64 v69, 0, v69, s[30:31]
	v_exp_f32_e32 v71, v71
	v_mul_f32_e32 v82, 0x3fb8aa3b, v82
	v_sub_f32_e32 v83, v83, v88
	v_add_f32_e32 v74, v74, v69
	;; [unrolled: 5-line block ×10, first 2 shown]
	v_cndmask_b32_e64 v78, 0, v78, s[10:11]
	v_exp_f32_e32 v66, v66
	v_mul_f32_e32 v67, 0x3fb8aa3b, v67
	v_add_f32_e32 v74, v74, v78
	v_cndmask_b32_e64 v79, 0, v79, s[12:13]
	v_exp_f32_e32 v67, v67
	v_add_f32_e32 v74, v74, v79
	v_cndmask_b32_e64 v76, 0, v76, s[2:3]
	v_add_f32_e32 v74, v74, v76
	v_cndmask_b32_e64 v77, 0, v77, s[8:9]
	v_add_f32_e32 v74, v74, v77
	v_cndmask_b32_e32 v66, 0, v66, vcc
	v_add_f32_e32 v74, v74, v66
	v_cndmask_b32_e64 v67, 0, v67, s[0:1]
	v_add_f32_e32 v74, v74, v67
	ds_bpermute_b32 v75, v75, v74
	s_waitcnt lgkmcnt(0)
	s_barrier
	v_add_f32_e32 v89, v74, v75
	ds_bpermute_b32 v90, v90, v89
	v_and_b32_e32 v74, 63, v0
	v_cmp_gt_u32_e32 vcc, 16, v74
	s_and_saveexec_b64 s[0:1], vcc
	s_cbranch_execz .LBB374_15
; %bb.14:
	s_waitcnt lgkmcnt(0)
	v_add_f32_e32 v74, v89, v90
	v_lshlrev_b32_e32 v75, 2, v87
	ds_write2st64_b32 v75, v88, v74 offset1:1
.LBB374_15:
	s_or_b64 exec, exec, s[0:1]
	v_lshlrev_b32_e32 v74, 2, v84
	s_load_dword s2, s[4:5], 0x94
	s_waitcnt lgkmcnt(0)
	s_barrier
	ds_read2_b32 v[88:89], v74 offset1:16
	ds_read2_b32 v[90:91], v74 offset0:32 offset1:48
	ds_read2_b32 v[92:93], v74 offset0:64 offset1:80
	s_movk_i32 s8, 0x7fff
	s_mov_b32 s9, 0x7060302
	s_waitcnt lgkmcnt(2)
	v_max3_f32 v75, v88, s41, v89
	s_waitcnt lgkmcnt(1)
	v_max3_f32 v86, v75, v90, v91
	v_sub_f32_e32 v75, v88, v86
	v_sub_f32_e32 v87, v89, v86
	v_mul_f32_e32 v75, 0x3fb8aa3b, v75
	v_mul_f32_e32 v87, 0x3fb8aa3b, v87
	v_exp_f32_e32 v75, v75
	v_exp_f32_e32 v94, v87
	v_sub_f32_e32 v87, v90, v86
	v_mul_f32_e32 v87, 0x3fb8aa3b, v87
	ds_read2_b32 v[88:89], v74 offset0:96 offset1:112
	v_sub_f32_e32 v74, v91, v86
	v_exp_f32_e32 v90, v87
	v_mul_f32_e32 v74, 0x3fb8aa3b, v74
	v_exp_f32_e32 v74, v74
	s_waitcnt lgkmcnt(1)
	v_fma_f32 v87, v75, v92, 0
	v_fmac_f32_e32 v87, v94, v93
	s_waitcnt lgkmcnt(0)
	v_fmac_f32_e32 v87, v90, v88
	v_fmac_f32_e32 v87, v74, v89
	v_add_f32_e32 v88, 0x358637bd, v87
	v_div_scale_f32 v89, s[0:1], v88, v88, 1.0
	v_rcp_f32_e32 v91, v89
	s_barrier
	v_fma_f32 v92, -v89, v91, 1.0
	v_fmac_f32_e32 v91, v92, v91
	v_div_scale_f32 v92, vcc, 1.0, v88, 1.0
	v_mul_f32_e32 v93, v92, v91
	v_fma_f32 v95, -v89, v93, v92
	v_fmac_f32_e32 v93, v95, v91
	v_fma_f32 v89, -v89, v93, v92
	v_div_fmas_f32 v89, v89, v91, v93
	v_cmp_eq_u32_e32 vcc, 1, v85
	v_cndmask_b32_e32 v75, v75, v94, vcc
	v_cmp_eq_u32_e32 vcc, 2, v85
	v_cndmask_b32_e32 v75, v75, v90, vcc
	v_cmp_eq_u32_e32 vcc, 3, v85
	v_div_fixup_f32 v88, v89, v88, 1.0
	v_cndmask_b32_e32 v74, v75, v74, vcc
	v_mul_f32_e32 v88, v74, v88
	v_pk_mul_f32 v[68:69], v[88:89], v[68:69] op_sel_hi:[0,1]
	v_bfe_u32 v74, v69, 16, 1
	v_bfe_u32 v75, v68, 16, 1
	v_pk_mul_f32 v[80:81], v[88:89], v[80:81] op_sel_hi:[0,1]
	v_add3_u32 v68, v68, v75, s8
	v_add3_u32 v69, v69, v74, s8
	v_perm_b32 v90, v69, v68, s9
	v_bfe_u32 v68, v81, 16, 1
	v_bfe_u32 v69, v80, 16, 1
	v_add3_u32 v69, v80, v69, s8
	v_add3_u32 v68, v81, v68, s8
	v_perm_b32 v91, v68, v69, s9
	v_lshlrev_b32_e32 v69, 3, v1
	v_lshlrev_b32_e32 v68, 5, v84
	v_lshlrev_b32_e32 v74, 11, v85
	v_pk_mul_f32 v[70:71], v[88:89], v[70:71] op_sel_hi:[0,1]
	v_or3_b32 v80, v74, v68, v69
	v_bfe_u32 v69, v71, 16, 1
	v_bfe_u32 v74, v70, 16, 1
	v_pk_mul_f32 v[82:83], v[88:89], v[82:83] op_sel_hi:[0,1]
	v_add3_u32 v70, v70, v74, s8
	v_add3_u32 v69, v71, v69, s8
	v_perm_b32 v70, v69, v70, s9
	v_bfe_u32 v69, v83, 16, 1
	v_bfe_u32 v71, v82, 16, 1
	v_add3_u32 v71, v82, v71, s8
	v_add3_u32 v69, v83, v69, s8
	v_pk_mul_f32 v[72:73], v[88:89], v[72:73] op_sel_hi:[0,1]
	v_perm_b32 v71, v69, v71, s9
	v_bfe_u32 v69, v73, 16, 1
	v_bfe_u32 v74, v72, 16, 1
	ds_write2st64_b64 v80, v[90:91], v[70:71] offset1:1
	v_pk_mul_f32 v[70:71], v[88:89], v[78:79] op_sel_hi:[0,1]
	v_add3_u32 v72, v72, v74, s8
	v_add3_u32 v69, v73, v69, s8
	v_perm_b32 v72, v69, v72, s9
	v_bfe_u32 v69, v71, 16, 1
	v_bfe_u32 v73, v70, 16, 1
	v_add3_u32 v70, v70, v73, s8
	v_add3_u32 v69, v71, v69, s8
	v_perm_b32 v73, v69, v70, s9
	v_pk_mul_f32 v[70:71], v[88:89], v[76:77] op_sel_hi:[0,1]
	v_bfe_u32 v69, v71, 16, 1
	v_bfe_u32 v74, v70, 16, 1
	v_pk_mul_f32 v[66:67], v[88:89], v[66:67] op_sel_hi:[0,1]
	v_add3_u32 v70, v70, v74, s8
	v_add3_u32 v69, v71, v69, s8
	v_perm_b32 v70, v69, v70, s9
	v_bfe_u32 v69, v67, 16, 1
	v_bfe_u32 v71, v66, 16, 1
	v_add3_u32 v66, v66, v71, s8
	v_add3_u32 v67, v67, v69, s8
	s_mul_i32 s3, s40, 11
	v_perm_b32 v71, v67, v66, s9
	v_cmp_gt_u32_e32 vcc, 11, v0
	ds_write2st64_b64 v80, v[72:73], v[70:71] offset0:2 offset1:3
	s_and_saveexec_b64 s[0:1], vcc
	s_cbranch_execz .LBB374_17
; %bb.16:
	v_add_co_u32_e32 v70, vcc, s27, v84
	v_addc_co_u32_e64 v71, s[10:11], 0, 0, vcc
	v_mov_b32_e32 v66, s3
	v_mov_b32_e32 v67, 0
	v_mad_u64_u32 v[70:71], s[10:11], s6, v66, v[70:71]
	v_mov_b32_e32 v66, s26
	s_load_dwordx4 s[12:15], s[4:5], 0x58
	s_mul_i32 s7, s7, s3
	v_mad_u64_u32 v[66:67], s[10:11], v70, s2, v[66:67]
	v_add_u32_e32 v69, s7, v71
	v_mov_b32_e32 v70, v67
	v_mad_u64_u32 v[70:71], s[10:11], v69, s2, v[70:71]
	v_mov_b32_e32 v67, v70
	v_lshlrev_b64 v[66:67], 2, v[66:67]
	s_waitcnt lgkmcnt(0)
	v_mov_b32_e32 v69, s15
	v_add_co_u32_e32 v70, vcc, s14, v66
	v_addc_co_u32_e32 v71, vcc, v69, v67, vcc
	v_mov_b32_e32 v69, s13
	v_add_co_u32_e32 v66, vcc, s12, v66
	v_addc_co_u32_e32 v67, vcc, v69, v67, vcc
	global_store_dword v[70:71], v86, off
	global_store_dword v[66:67], v87, off
.LBB374_17:
	s_or_b64 exec, exec, s[0:1]
	v_lshl_or_b32 v74, v1, 9, v68
	s_waitcnt lgkmcnt(0)
	s_barrier
	ds_read_b128 v[70:73], v74
	ds_read_b128 v[66:69], v74 offset:16
	s_waitcnt vmcnt(15) lgkmcnt(1)
	v_mfma_f32_16x16x16bf16_1k v[76:79], v[46:47], v[70:71], 0
	s_mov_b32 s1, 0
	v_cmp_gt_u32_e32 vcc, 64, v0
	v_mfma_f32_16x16x16bf16_1k v[46:49], v[48:49], v[72:73], v[76:79]
	s_waitcnt vmcnt(14) lgkmcnt(0)
	v_mfma_f32_16x16x16bf16_1k v[46:49], v[42:43], v[66:67], v[46:49]
	v_mfma_f32_16x16x16bf16_1k v[42:45], v[44:45], v[68:69], v[46:49]
	s_nop 7
	s_nop 1
	ds_read_b128 v[46:49], v74 offset:2048
	ds_read_b128 v[76:79], v74 offset:2064
	s_waitcnt vmcnt(13) lgkmcnt(1)
	v_mfma_f32_16x16x16bf16_1k v[42:45], v[38:39], v[46:47], v[42:45]
	v_mfma_f32_16x16x16bf16_1k v[38:41], v[40:41], v[48:49], v[42:45]
	s_waitcnt vmcnt(12) lgkmcnt(0)
	v_mfma_f32_16x16x16bf16_1k v[38:41], v[34:35], v[76:77], v[38:41]
	v_mfma_f32_16x16x16bf16_1k v[34:37], v[36:37], v[78:79], v[38:41]
	s_nop 7
	s_nop 1
	ds_read_b128 v[38:41], v74 offset:4096
	ds_read_b128 v[42:45], v74 offset:4112
	s_waitcnt vmcnt(11) lgkmcnt(1)
	v_mfma_f32_16x16x16bf16_1k v[34:37], v[30:31], v[38:39], v[34:37]
	v_mfma_f32_16x16x16bf16_1k v[30:33], v[32:33], v[40:41], v[34:37]
	s_waitcnt vmcnt(10) lgkmcnt(0)
	v_mfma_f32_16x16x16bf16_1k v[30:33], v[26:27], v[42:43], v[30:33]
	v_mfma_f32_16x16x16bf16_1k v[26:29], v[28:29], v[44:45], v[30:33]
	s_nop 7
	s_nop 1
	ds_read_b128 v[30:33], v74 offset:6144
	ds_read_b128 v[34:37], v74 offset:6160
	s_waitcnt lgkmcnt(0)
	s_barrier
	s_waitcnt vmcnt(9)
	v_mfma_f32_16x16x16bf16_1k v[26:29], v[22:23], v[30:31], v[26:29]
	v_mfma_f32_16x16x16bf16_1k v[22:25], v[24:25], v[32:33], v[26:29]
	s_waitcnt vmcnt(8)
	v_mfma_f32_16x16x16bf16_1k v[22:25], v[18:19], v[34:35], v[22:25]
	v_mfma_f32_16x16x16bf16_1k v[18:21], v[20:21], v[36:37], v[22:25]
	;; [unrolled: 3-line block ×4, first 2 shown]
	s_waitcnt vmcnt(5)
	v_mfma_f32_16x16x16bf16_1k v[2:5], v[14:15], v[46:47], v[2:5]
	s_nop 7
	v_bfe_u32 v6, v19, 16, 1
	v_bfe_u32 v7, v18, 16, 1
	v_add3_u32 v7, v18, v7, s8
	v_add3_u32 v6, v19, v6, s8
	v_perm_b32 v6, v6, v7, s9
	v_bfe_u32 v7, v21, 16, 1
	v_bfe_u32 v8, v20, 16, 1
	v_mfma_f32_16x16x16bf16_1k v[2:5], v[16:17], v[48:49], v[2:5]
	v_add3_u32 v8, v20, v8, s8
	v_add3_u32 v7, v21, v7, s8
	v_perm_b32 v7, v7, v8, s9
	s_waitcnt vmcnt(4)
	v_mfma_f32_16x16x16bf16_1k v[2:5], v[10:11], v[76:77], v[2:5]
	v_mfma_f32_16x16x16bf16_1k v[2:5], v[12:13], v[78:79], v[2:5]
	s_waitcnt vmcnt(3)
	v_mfma_f32_16x16x16bf16_1k v[2:5], v[54:55], v[38:39], v[2:5]
	v_mfma_f32_16x16x16bf16_1k v[2:5], v[56:57], v[40:41], v[2:5]
	;; [unrolled: 3-line block ×5, first 2 shown]
	s_nop 7
	s_nop 2
	v_bfe_u32 v8, v3, 16, 1
	v_bfe_u32 v9, v2, 16, 1
	v_add3_u32 v2, v2, v9, s8
	v_add3_u32 v3, v3, v8, s8
	v_perm_b32 v2, v3, v2, s9
	v_bfe_u32 v3, v5, 16, 1
	v_bfe_u32 v8, v4, 16, 1
	v_add3_u32 v4, v4, v8, s8
	v_add3_u32 v3, v5, v3, s8
	v_perm_b32 v3, v3, v4, s9
	ds_write2st64_b64 v80, v[6:7], v[2:3] offset1:1
	s_waitcnt lgkmcnt(0)
	s_barrier
	s_and_saveexec_b64 s[8:9], vcc
	s_cbranch_execz .LBB374_20
; %bb.18:
	v_lshlrev_b32_e32 v4, 6, v84
	v_lshlrev_b32_e32 v3, 4, v0
	v_lshl_or_b32 v0, v0, 10, v4
	buffer_load_dword v4, off, s[44:47], 0  ; 4-byte Folded Reload
	buffer_load_dword v5, off, s[44:47], 0 offset:4 ; 4-byte Folded Reload
	s_load_dwordx2 s[4:5], s[4:5], 0x68
	s_lshl_b32 s2, s2, 7
	s_mul_i32 s0, s3, s6
	s_mul_hi_u32 s7, s0, s2
	s_mul_i32 s6, s0, s2
	s_lshl_b64 s[6:7], s[6:7], 1
	s_waitcnt lgkmcnt(0)
	s_add_u32 s3, s4, s6
	s_addc_u32 s4, s5, s7
	s_lshl_b32 s0, s26, 7
	s_lshl_b64 s[0:1], s[0:1], 1
	s_add_u32 s0, s3, s0
	v_lshlrev_b32_e32 v2, 5, v1
	v_and_b32_e32 v3, 16, v3
	v_and_b32_e32 v0, 0x1a00, v0
	s_addc_u32 s1, s4, s1
	v_or3_b32 v0, v0, v2, v3
	v_mov_b32_e32 v3, s1
	v_add_u32_e32 v14, s27, v1
	s_waitcnt vmcnt(1)
	v_add_co_u32_e32 v2, vcc, s0, v4
	s_waitcnt vmcnt(0)
	v_addc_co_u32_e32 v3, vcc, v3, v5, vcc
	ds_read_b128 v[4:7], v0 offset:128
	ds_read_b128 v[8:11], v0
	v_mad_u64_u32 v[12:13], s[0:1], v14, s2, 0
	v_lshlrev_b64 v[12:13], 1, v[12:13]
	v_add_co_u32_e32 v12, vcc, v2, v12
	v_addc_co_u32_e32 v13, vcc, v3, v13, vcc
	s_waitcnt lgkmcnt(0)
	global_store_dwordx4 v[12:13], v[8:11], off
	s_nop 0
	v_add_u32_e32 v8, 4, v14
	v_mad_u64_u32 v[8:9], s[0:1], v8, s2, 0
	v_lshlrev_b64 v[8:9], 1, v[8:9]
	v_add_co_u32_e32 v8, vcc, v2, v8
	v_addc_co_u32_e32 v9, vcc, v3, v9, vcc
	v_cmp_ne_u32_e32 vcc, 3, v1
	global_store_dwordx4 v[8:9], v[4:7], off
	s_and_b64 exec, exec, vcc
	s_cbranch_execz .LBB374_20
; %bb.19:
	ds_read_b128 v[4:7], v0 offset:256
	v_add3_u32 v0, s27, v1, 8
	v_mad_u64_u32 v[0:1], s[0:1], v0, s2, 0
	v_lshlrev_b64 v[0:1], 1, v[0:1]
	v_add_co_u32_e32 v0, vcc, v2, v0
	v_addc_co_u32_e32 v1, vcc, v3, v1, vcc
	s_waitcnt lgkmcnt(0)
	global_store_dwordx4 v[0:1], v[4:7], off
.LBB374_20:
	s_endpgm
	.section	.rodata,"a",@progbits
	.p2align	6, 0x0
	.amdhsa_kernel _Z39paged_attention_ll4mi_QKV_mfma16_kernelI14__hip_bfloat16S0_LN4vllm18Fp8KVCacheDataTypeE0ES0_Li32ELi128ELi256ELb0ELi11EL8MFMAType0EEvPKT_PKT0_S9_ifPKiSB_SB_iPKfiiiPfSE_PS4_PT2_iSD_SD_
		.amdhsa_group_segment_fixed_size 8192
		.amdhsa_private_segment_fixed_size 12
		.amdhsa_kernarg_size 400
		.amdhsa_user_sgpr_count 6
		.amdhsa_user_sgpr_private_segment_buffer 1
		.amdhsa_user_sgpr_dispatch_ptr 0
		.amdhsa_user_sgpr_queue_ptr 0
		.amdhsa_user_sgpr_kernarg_segment_ptr 1
		.amdhsa_user_sgpr_dispatch_id 0
		.amdhsa_user_sgpr_flat_scratch_init 0
		.amdhsa_user_sgpr_kernarg_preload_length 0
		.amdhsa_user_sgpr_kernarg_preload_offset 0
		.amdhsa_user_sgpr_private_segment_size 0
		.amdhsa_uses_dynamic_stack 0
		.amdhsa_system_sgpr_private_segment_wavefront_offset 1
		.amdhsa_system_sgpr_workgroup_id_x 1
		.amdhsa_system_sgpr_workgroup_id_y 1
		.amdhsa_system_sgpr_workgroup_id_z 1
		.amdhsa_system_sgpr_workgroup_info 0
		.amdhsa_system_vgpr_workitem_id 0
		.amdhsa_next_free_vgpr 96
		.amdhsa_next_free_sgpr 48
		.amdhsa_accum_offset 96
		.amdhsa_reserve_vcc 1
		.amdhsa_reserve_flat_scratch 0
		.amdhsa_float_round_mode_32 0
		.amdhsa_float_round_mode_16_64 0
		.amdhsa_float_denorm_mode_32 3
		.amdhsa_float_denorm_mode_16_64 3
		.amdhsa_dx10_clamp 1
		.amdhsa_ieee_mode 1
		.amdhsa_fp16_overflow 0
		.amdhsa_tg_split 0
		.amdhsa_exception_fp_ieee_invalid_op 0
		.amdhsa_exception_fp_denorm_src 0
		.amdhsa_exception_fp_ieee_div_zero 0
		.amdhsa_exception_fp_ieee_overflow 0
		.amdhsa_exception_fp_ieee_underflow 0
		.amdhsa_exception_fp_ieee_inexact 0
		.amdhsa_exception_int_div_zero 0
	.end_amdhsa_kernel
	.section	.text._Z39paged_attention_ll4mi_QKV_mfma16_kernelI14__hip_bfloat16S0_LN4vllm18Fp8KVCacheDataTypeE0ES0_Li32ELi128ELi256ELb0ELi11EL8MFMAType0EEvPKT_PKT0_S9_ifPKiSB_SB_iPKfiiiPfSE_PS4_PT2_iSD_SD_,"axG",@progbits,_Z39paged_attention_ll4mi_QKV_mfma16_kernelI14__hip_bfloat16S0_LN4vllm18Fp8KVCacheDataTypeE0ES0_Li32ELi128ELi256ELb0ELi11EL8MFMAType0EEvPKT_PKT0_S9_ifPKiSB_SB_iPKfiiiPfSE_PS4_PT2_iSD_SD_,comdat
.Lfunc_end374:
	.size	_Z39paged_attention_ll4mi_QKV_mfma16_kernelI14__hip_bfloat16S0_LN4vllm18Fp8KVCacheDataTypeE0ES0_Li32ELi128ELi256ELb0ELi11EL8MFMAType0EEvPKT_PKT0_S9_ifPKiSB_SB_iPKfiiiPfSE_PS4_PT2_iSD_SD_, .Lfunc_end374-_Z39paged_attention_ll4mi_QKV_mfma16_kernelI14__hip_bfloat16S0_LN4vllm18Fp8KVCacheDataTypeE0ES0_Li32ELi128ELi256ELb0ELi11EL8MFMAType0EEvPKT_PKT0_S9_ifPKiSB_SB_iPKfiiiPfSE_PS4_PT2_iSD_SD_
                                        ; -- End function
	.section	.AMDGPU.csdata,"",@progbits
; Kernel info:
; codeLenInByte = 5124
; NumSgprs: 52
; NumVgprs: 96
; NumAgprs: 0
; TotalNumVgprs: 96
; ScratchSize: 12
; MemoryBound: 0
; FloatMode: 240
; IeeeMode: 1
; LDSByteSize: 8192 bytes/workgroup (compile time only)
; SGPRBlocks: 6
; VGPRBlocks: 11
; NumSGPRsForWavesPerEU: 52
; NumVGPRsForWavesPerEU: 96
; AccumOffset: 96
; Occupancy: 5
; WaveLimiterHint : 1
; COMPUTE_PGM_RSRC2:SCRATCH_EN: 1
; COMPUTE_PGM_RSRC2:USER_SGPR: 6
; COMPUTE_PGM_RSRC2:TRAP_HANDLER: 0
; COMPUTE_PGM_RSRC2:TGID_X_EN: 1
; COMPUTE_PGM_RSRC2:TGID_Y_EN: 1
; COMPUTE_PGM_RSRC2:TGID_Z_EN: 1
; COMPUTE_PGM_RSRC2:TIDIG_COMP_CNT: 0
; COMPUTE_PGM_RSRC3_GFX90A:ACCUM_OFFSET: 23
; COMPUTE_PGM_RSRC3_GFX90A:TG_SPLIT: 0
	.section	.text._Z39paged_attention_ll4mi_QKV_mfma16_kernelI14__hip_bfloat16S0_LN4vllm18Fp8KVCacheDataTypeE0ES0_Li32ELi128ELi256ELb0ELi12EL8MFMAType0EEvPKT_PKT0_S9_ifPKiSB_SB_iPKfiiiPfSE_PS4_PT2_iSD_SD_,"axG",@progbits,_Z39paged_attention_ll4mi_QKV_mfma16_kernelI14__hip_bfloat16S0_LN4vllm18Fp8KVCacheDataTypeE0ES0_Li32ELi128ELi256ELb0ELi12EL8MFMAType0EEvPKT_PKT0_S9_ifPKiSB_SB_iPKfiiiPfSE_PS4_PT2_iSD_SD_,comdat
	.protected	_Z39paged_attention_ll4mi_QKV_mfma16_kernelI14__hip_bfloat16S0_LN4vllm18Fp8KVCacheDataTypeE0ES0_Li32ELi128ELi256ELb0ELi12EL8MFMAType0EEvPKT_PKT0_S9_ifPKiSB_SB_iPKfiiiPfSE_PS4_PT2_iSD_SD_ ; -- Begin function _Z39paged_attention_ll4mi_QKV_mfma16_kernelI14__hip_bfloat16S0_LN4vllm18Fp8KVCacheDataTypeE0ES0_Li32ELi128ELi256ELb0ELi12EL8MFMAType0EEvPKT_PKT0_S9_ifPKiSB_SB_iPKfiiiPfSE_PS4_PT2_iSD_SD_
	.globl	_Z39paged_attention_ll4mi_QKV_mfma16_kernelI14__hip_bfloat16S0_LN4vllm18Fp8KVCacheDataTypeE0ES0_Li32ELi128ELi256ELb0ELi12EL8MFMAType0EEvPKT_PKT0_S9_ifPKiSB_SB_iPKfiiiPfSE_PS4_PT2_iSD_SD_
	.p2align	8
	.type	_Z39paged_attention_ll4mi_QKV_mfma16_kernelI14__hip_bfloat16S0_LN4vllm18Fp8KVCacheDataTypeE0ES0_Li32ELi128ELi256ELb0ELi12EL8MFMAType0EEvPKT_PKT0_S9_ifPKiSB_SB_iPKfiiiPfSE_PS4_PT2_iSD_SD_,@function
_Z39paged_attention_ll4mi_QKV_mfma16_kernelI14__hip_bfloat16S0_LN4vllm18Fp8KVCacheDataTypeE0ES0_Li32ELi128ELi256ELb0ELi12EL8MFMAType0EEvPKT_PKT0_S9_ifPKiSB_SB_iPKfiiiPfSE_PS4_PT2_iSD_SD_: ; @_Z39paged_attention_ll4mi_QKV_mfma16_kernelI14__hip_bfloat16S0_LN4vllm18Fp8KVCacheDataTypeE0ES0_Li32ELi128ELi256ELb0ELi12EL8MFMAType0EEvPKT_PKT0_S9_ifPKiSB_SB_iPKfiiiPfSE_PS4_PT2_iSD_SD_
; %bb.0:
	s_mov_b64 s[46:47], s[2:3]
	s_mov_b64 s[44:45], s[0:1]
	s_load_dwordx2 s[0:1], s[4:5], 0x30
	s_add_u32 s44, s44, s9
	s_addc_u32 s45, s45, 0
	s_mov_b32 s26, s7
	s_mov_b64 s[10:11], 0
	s_waitcnt lgkmcnt(0)
	s_cmp_lg_u64 s[0:1], 0
	s_cselect_b64 s[2:3], -1, 0
	s_and_b64 vcc, exec, s[2:3]
	s_cbranch_vccz .LBB375_7
; %bb.1:
	s_add_i32 s12, s6, 1
	s_mov_b32 s13, 0
	s_lshl_b64 s[14:15], s[12:13], 2
	s_add_u32 s14, s0, s14
	s_mov_b32 s7, s13
	s_addc_u32 s15, s1, s15
	s_lshl_b64 s[12:13], s[6:7], 2
	s_add_u32 s12, s0, s12
	s_addc_u32 s13, s1, s13
	s_load_dword s9, s[14:15], 0x0
	s_load_dword s16, s[12:13], 0x0
	s_waitcnt lgkmcnt(0)
	s_sub_i32 s9, s9, s16
	s_cmp_eq_u32 s9, 1
	s_cselect_b64 s[12:13], -1, 0
	s_andn2_b64 vcc, exec, s[10:11]
	s_cbranch_vccnz .LBB375_3
.LBB375_2:
	s_mov_b32 s7, 0
	s_mov_b64 s[12:13], -1
.LBB375_3:
	s_andn2_b64 vcc, exec, s[12:13]
	s_cbranch_vccnz .LBB375_19
; %bb.4:
	s_load_dwordx2 s[12:13], s[4:5], 0x28
	s_lshl_b64 s[10:11], s[6:7], 2
	s_waitcnt lgkmcnt(0)
	s_add_u32 s12, s12, s10
	s_addc_u32 s13, s13, s11
	s_load_dword s33, s[12:13], 0x0
	s_lshl_b32 s9, s26, 8
	s_waitcnt lgkmcnt(0)
	s_cmp_ge_i32 s9, s33
	s_cbranch_scc1 .LBB375_19
; %bb.5:
	s_add_i32 s15, s33, 31
	s_load_dwordx2 s[12:13], s[4:5], 0x20
	s_load_dword s14, s[4:5], 0x38
	s_ashr_i32 s16, s15, 31
	v_and_b32_e32 v1, 0xcf, v0
	s_lshr_b32 s16, s16, 27
	v_add_u32_e32 v1, s9, v1
	s_add_i32 s15, s15, s16
	v_ashrrev_i32_e32 v2, 31, v1
	s_ashr_i32 s18, s15, 5
	v_lshrrev_b32_e32 v10, 27, v2
	s_add_i32 s18, s18, -1
	v_add_u32_e32 v2, v1, v10
	s_waitcnt lgkmcnt(0)
	s_mul_i32 s14, s6, s14
	s_mov_b32 s15, 0
	v_ashrrev_i32_e32 v2, 5, v2
	v_mov_b32_e32 v11, s18
	v_cmp_gt_i32_e32 vcc, s33, v1
	s_lshl_b64 s[14:15], s[14:15], 2
	v_cndmask_b32_e32 v2, v11, v2, vcc
	s_add_u32 s16, s12, s14
	v_ashrrev_i32_e32 v3, 31, v2
	s_addc_u32 s17, s13, s15
	v_lshlrev_b64 v[2:3], 2, v[2:3]
	v_mov_b32_e32 v4, s17
	v_add_co_u32_e32 v2, vcc, s16, v2
	v_addc_co_u32_e32 v3, vcc, v4, v3, vcc
	v_or_b32_e32 v4, 16, v1
	v_add_u32_e32 v5, v4, v10
	v_ashrrev_i32_e32 v5, 5, v5
	v_cmp_gt_i32_e32 vcc, s33, v4
	v_cndmask_b32_e32 v4, v11, v5, vcc
	v_ashrrev_i32_e32 v5, 31, v4
	v_lshlrev_b64 v[4:5], 2, v[4:5]
	v_mov_b32_e32 v7, s17
	v_add_co_u32_e32 v6, vcc, s16, v4
	v_or_b32_e32 v4, 32, v1
	v_addc_co_u32_e32 v7, vcc, v7, v5, vcc
	v_add_u32_e32 v5, v4, v10
	v_ashrrev_i32_e32 v5, 5, v5
	v_cmp_gt_i32_e32 vcc, s33, v4
	v_cndmask_b32_e32 v4, v11, v5, vcc
	v_ashrrev_i32_e32 v5, 31, v4
	v_lshlrev_b64 v[4:5], 2, v[4:5]
	v_mov_b32_e32 v9, s17
	v_add_co_u32_e32 v8, vcc, s16, v4
	v_or_b32_e32 v1, 48, v1
	v_addc_co_u32_e32 v9, vcc, v9, v5, vcc
	v_add_u32_e32 v4, v1, v10
	v_ashrrev_i32_e32 v4, 5, v4
	v_cmp_gt_i32_e32 vcc, s33, v1
	v_cndmask_b32_e32 v4, v11, v4, vcc
	v_ashrrev_i32_e32 v5, 31, v4
	v_lshlrev_b64 v[4:5], 2, v[4:5]
	v_mov_b32_e32 v1, s17
	v_add_co_u32_e32 v10, vcc, s16, v4
	v_addc_co_u32_e32 v11, vcc, v1, v5, vcc
	global_load_dword v5, v[2:3], off
	global_load_dword v4, v[6:7], off
	;; [unrolled: 1-line block ×4, first 2 shown]
	s_andn2_b64 vcc, exec, s[2:3]
	s_cbranch_vccnz .LBB375_8
; %bb.6:
	s_add_u32 s0, s0, s10
	s_addc_u32 s1, s1, s11
	s_load_dword s19, s[0:1], 0x0
	s_branch .LBB375_9
.LBB375_7:
	s_mov_b64 s[12:13], 0
	s_branch .LBB375_2
.LBB375_8:
	s_mov_b32 s19, s6
.LBB375_9:
	s_load_dwordx4 s[12:15], s[4:5], 0x8
	s_load_dwordx4 s[0:3], s[4:5], 0x48
	v_and_b32_e32 v1, 15, v0
	s_waitcnt lgkmcnt(0)
	s_movk_i32 s3, 0xbf
	v_lshlrev_b32_e32 v2, 3, v1
	v_cmp_lt_u32_e32 vcc, s3, v0
	s_and_saveexec_b64 s[10:11], vcc
	s_xor_b64 s[10:11], exec, s[10:11]
; %bb.10:
	v_mov_b32_e32 v3, 0
; %bb.11:
	s_or_saveexec_b64 s[10:11], s[10:11]
	v_lshrrev_b32_e32 v85, 6, v0
	v_bfe_u32 v84, v0, 4, 2
	s_mul_i32 s27, s8, 12
	s_xor_b64 exec, exec, s[10:11]
	s_cbranch_execz .LBB375_13
; %bb.12:
	s_load_dwordx2 s[20:21], s[4:5], 0x0
	s_ashr_i32 s3, s0, 31
	s_mul_hi_u32 s22, s19, s0
	s_mul_i32 s3, s19, s3
	v_lshl_or_b32 v10, v85, 2, v84
	s_add_i32 s23, s22, s3
	s_mul_i32 s22, s19, s0
	s_lshl_b64 s[22:23], s[22:23], 1
	v_add_lshl_u32 v6, v10, s27, 7
	s_waitcnt lgkmcnt(0)
	s_add_u32 s0, s20, s22
	v_ashrrev_i32_e32 v7, 31, v6
	s_addc_u32 s3, s21, s23
	v_lshlrev_b64 v[6:7], 1, v[6:7]
	v_mov_b32_e32 v3, s3
	v_add_co_u32_e32 v6, vcc, s0, v6
	v_addc_co_u32_e32 v3, vcc, v3, v7, vcc
	v_lshlrev_b32_e32 v7, 1, v2
	v_add_co_u32_e32 v6, vcc, v6, v7
	v_addc_co_u32_e32 v7, vcc, 0, v3, vcc
	global_load_dwordx4 v[6:9], v[6:7], off
	v_and_b32_e32 v11, 3, v0
	v_lshlrev_b32_e32 v12, 9, v1
	v_lshlrev_b32_e32 v10, 5, v10
	;; [unrolled: 1-line block ×3, first 2 shown]
	v_and_b32_e32 v12, 0x1800, v12
	v_mov_b32_e32 v3, 0
	v_or3_b32 v10, v12, v11, v10
	s_waitcnt vmcnt(0)
	ds_write_b128 v10, v[6:9]
.LBB375_13:
	s_or_b64 exec, exec, s[10:11]
	s_mul_i32 s2, s8, s2
	s_mov_b32 s3, 0
	s_lshl_b64 s[2:3], s[2:3], 1
	s_add_u32 s8, s12, s2
	s_addc_u32 s10, s13, s3
	s_waitcnt vmcnt(3)
	v_mad_i64_i32 v[6:7], s[12:13], v5, s1, 0
	v_lshlrev_b64 v[6:7], 1, v[6:7]
	v_mov_b32_e32 v5, s10
	v_add_co_u32_e32 v6, vcc, s8, v6
	v_addc_co_u32_e32 v5, vcc, v5, v7, vcc
	v_lshlrev_b64 v[60:61], 1, v[2:3]
	v_add_co_u32_e32 v27, vcc, v6, v60
	v_lshlrev_b32_e32 v26, 9, v84
	v_addc_co_u32_e32 v28, vcc, v5, v61, vcc
	v_add_co_u32_e32 v2, vcc, v27, v26
	v_addc_co_u32_e32 v3, vcc, 0, v28, vcc
	s_load_dword s40, s[4:5], 0x98
	s_load_dword s0, s[4:5], 0x1c
	s_waitcnt lgkmcnt(0)
	s_barrier
	global_load_dwordx4 v[10:13], v[2:3], off
	s_waitcnt vmcnt(3)
	v_mad_i64_i32 v[4:5], s[12:13], v4, s1, 0
	v_lshlrev_b64 v[4:5], 1, v[4:5]
	v_mov_b32_e32 v6, s10
	v_add_co_u32_e32 v4, vcc, s8, v4
	v_addc_co_u32_e32 v5, vcc, v6, v5, vcc
	v_mov_b32_e32 v6, 0x100
	v_lshl_or_b32 v29, v1, 4, v6
	v_add_co_u32_e32 v30, vcc, v4, v29
	v_addc_co_u32_e32 v31, vcc, 0, v5, vcc
	v_add_co_u32_e32 v22, vcc, v30, v26
	v_addc_co_u32_e32 v23, vcc, 0, v31, vcc
	global_load_dwordx4 v[18:21], v[22:23], off
	global_load_dwordx4 v[14:17], v[2:3], off offset:2048
	v_add_u32_e32 v2, -12, v1
	v_cmp_gt_u32_e32 vcc, 12, v1
	v_cndmask_b32_e32 v2, v2, v1, vcc
	v_lshl_add_u32 v32, v2, 5, v26
	ds_read_b128 v[6:9], v32
	ds_read_b128 v[2:5], v32 offset:2048
	v_or_b32_e32 v58, 0x1000, v26
	global_load_dwordx4 v[38:41], v[22:23], off offset:2048
	v_add_co_u32_e32 v22, vcc, v27, v58
	v_addc_co_u32_e32 v23, vcc, 0, v28, vcc
	v_or_b32_e32 v62, 0x1800, v26
	s_ashr_i32 s11, s9, 31
	v_and_or_b32 v63, v0, 48, s9
	v_mov_b32_e32 v66, s18
	v_lshl_or_b32 v87, v85, 4, v1
	v_lshlrev_b32_e32 v82, 6, v87
	s_mov_b32 s41, 0xff7fffff
	s_waitcnt vmcnt(3) lgkmcnt(1)
	v_mfma_f32_16x16x16bf16_1k v[34:37], v[10:11], v[6:7], 0
	s_waitcnt vmcnt(2)
	v_mfma_f32_16x16x16bf16_1k v[42:45], v[18:19], v[6:7], 0
	v_mfma_f32_16x16x16bf16_1k v[10:13], v[12:13], v[8:9], v[34:37]
	s_nop 7
	global_load_dwordx4 v[34:37], v[22:23], off
	v_add_co_u32_e32 v22, vcc, v30, v58
	v_addc_co_u32_e32 v23, vcc, 0, v31, vcc
	v_mfma_f32_16x16x16bf16_1k v[18:21], v[20:21], v[8:9], v[42:45]
	global_load_dwordx4 v[46:49], v[22:23], off
	s_waitcnt vmcnt(3) lgkmcnt(0)
	v_mfma_f32_16x16x16bf16_1k v[42:45], v[14:15], v[2:3], v[10:13]
	s_nop 6
	v_add_co_u32_e32 v10, vcc, v27, v62
	v_addc_co_u32_e32 v11, vcc, 0, v28, vcc
	global_load_dwordx4 v[54:57], v[10:11], off
	v_mad_i64_i32 v[10:11], s[12:13], v25, s1, 0
	v_add_co_u32_e32 v30, vcc, v30, v62
	v_lshlrev_b64 v[22:23], 1, v[10:11]
	v_addc_co_u32_e32 v31, vcc, 0, v31, vcc
	v_mov_b32_e32 v25, s10
	v_add_co_u32_e32 v22, vcc, s8, v22
	v_addc_co_u32_e32 v23, vcc, v25, v23, vcc
	ds_read_b128 v[10:13], v32 offset:4096
	ds_read_b128 v[50:53], v32 offset:6144
	global_load_dwordx4 v[30:33], v[30:31], off
	v_add_co_u32_e32 v27, vcc, v22, v60
	buffer_store_dword v60, off, s[44:47], 0 ; 4-byte Folded Spill
	s_nop 0
	buffer_store_dword v61, off, s[44:47], 0 offset:4 ; 4-byte Folded Spill
	s_waitcnt vmcnt(6)
	v_mfma_f32_16x16x16bf16_1k v[18:21], v[38:39], v[2:3], v[18:21]
	v_mov_b32_e32 v28, s10
	s_lshr_b32 s10, s11, 27
	s_add_u32 s2, s14, s2
	s_addc_u32 s3, s15, s3
	v_addc_co_u32_e32 v59, vcc, v23, v61, vcc
	v_add_co_u32_e32 v22, vcc, v27, v26
	v_addc_co_u32_e32 v23, vcc, 0, v59, vcc
	v_mfma_f32_16x16x16bf16_1k v[14:17], v[16:17], v[4:5], v[42:45]
	v_mfma_f32_16x16x16bf16_1k v[18:21], v[40:41], v[4:5], v[18:21]
	global_load_dwordx4 v[38:41], v[22:23], off
	s_nop 4
	global_load_dwordx4 v[42:45], v[22:23], off offset:2048
	v_mad_i64_i32 v[22:23], s[12:13], v24, s1, 0
	s_waitcnt vmcnt(7) lgkmcnt(1)
	v_mfma_f32_16x16x16bf16_1k v[14:17], v[34:35], v[10:11], v[14:17]
	v_lshlrev_b64 v[34:35], 1, v[22:23]
	v_add_co_u32_e32 v22, vcc, v27, v58
	v_addc_co_u32_e32 v23, vcc, 0, v59, vcc
	global_load_dwordx4 v[22:25], v[22:23], off
	v_add_co_u32_e32 v34, vcc, s8, v34
	s_waitcnt vmcnt(7)
	v_mfma_f32_16x16x16bf16_1k v[18:21], v[46:47], v[10:11], v[18:21]
	v_addc_co_u32_e32 v28, vcc, v28, v35, vcc
	v_add_co_u32_e32 v64, vcc, v34, v29
	v_addc_co_u32_e32 v65, vcc, 0, v28, vcc
	v_add_co_u32_e32 v28, vcc, v27, v62
	v_mfma_f32_16x16x16bf16_1k v[14:17], v[36:37], v[12:13], v[14:17]
	v_addc_co_u32_e32 v29, vcc, 0, v59, vcc
	v_add_co_u32_e32 v46, vcc, v64, v26
	global_load_dwordx4 v[26:29], v[28:29], off
	v_addc_co_u32_e32 v47, vcc, 0, v65, vcc
	v_mfma_f32_16x16x16bf16_1k v[18:21], v[48:49], v[12:13], v[18:21]
	v_add_co_u32_e32 v48, vcc, v64, v58
	v_add_u32_e32 v35, s10, v63
	v_addc_co_u32_e32 v49, vcc, 0, v65, vcc
	v_ashrrev_i32_e32 v60, 5, v35
	v_cmp_gt_i32_e32 vcc, s33, v63
	s_waitcnt vmcnt(7) lgkmcnt(0)
	v_mfma_f32_16x16x16bf16_1k v[14:17], v[54:55], v[50:51], v[14:17]
	s_waitcnt vmcnt(6)
	v_mfma_f32_16x16x16bf16_1k v[18:21], v[30:31], v[50:51], v[18:21]
	v_mov_b32_e32 v31, s17
	v_mfma_f32_16x16x16bf16_1k v[54:57], v[56:57], v[52:53], v[14:17]
	global_load_dwordx4 v[34:37], v[46:47], off
	s_nop 5
	global_load_dwordx4 v[14:17], v[46:47], off offset:2048
	v_cndmask_b32_e32 v46, v66, v60, vcc
	v_ashrrev_i32_e32 v47, 31, v46
	v_lshlrev_b64 v[46:47], 2, v[46:47]
	v_add_co_u32_e32 v30, vcc, s16, v46
	v_addc_co_u32_e32 v31, vcc, v31, v47, vcc
	global_load_dword v46, v[30:31], off
	v_or_b32_e32 v30, 64, v63
	v_mfma_f32_16x16x16bf16_1k v[58:61], v[32:33], v[52:53], v[18:21]
	v_cmp_gt_i32_e32 vcc, s33, v30
	v_mov_b32_e32 v32, s17
	v_mov_b32_e32 v33, s17
	s_nop 3
	v_add_u32_e32 v18, s10, v30
	v_ashrrev_i32_e32 v18, 5, v18
	v_cndmask_b32_e32 v18, v66, v18, vcc
	v_ashrrev_i32_e32 v19, 31, v18
	v_lshlrev_b64 v[30:31], 2, v[18:19]
	v_add_co_u32_e32 v30, vcc, s16, v30
	v_addc_co_u32_e32 v31, vcc, v32, v31, vcc
	global_load_dword v32, v[30:31], off
	s_waitcnt vmcnt(7)
	v_mfma_f32_16x16x16bf16_1k v[18:21], v[38:39], v[6:7], 0
	v_or_b32_e32 v30, 0x80, v63
	v_add_u32_e32 v31, s10, v30
	v_ashrrev_i32_e32 v31, 5, v31
	v_cmp_gt_i32_e32 vcc, s33, v30
	v_cndmask_b32_e32 v30, v66, v31, vcc
	v_ashrrev_i32_e32 v31, 31, v30
	v_lshlrev_b64 v[30:31], 2, v[30:31]
	v_mfma_f32_16x16x16bf16_1k v[18:21], v[40:41], v[8:9], v[18:21]
	v_add_co_u32_e32 v30, vcc, s16, v30
	v_addc_co_u32_e32 v31, vcc, v33, v31, vcc
	global_load_dword v33, v[30:31], off
	v_or_b32_e32 v30, 0xc0, v63
	v_add_u32_e32 v31, s10, v30
	s_waitcnt vmcnt(7)
	v_mfma_f32_16x16x16bf16_1k v[18:21], v[42:43], v[2:3], v[18:21]
	v_ashrrev_i32_e32 v31, 5, v31
	v_cmp_gt_i32_e32 vcc, s33, v30
	v_cndmask_b32_e32 v30, v66, v31, vcc
	global_load_dwordx4 v[66:69], v[48:49], off
	v_ashrrev_i32_e32 v31, 31, v30
	v_lshlrev_b64 v[30:31], 2, v[30:31]
	v_mov_b32_e32 v38, s17
	v_mfma_f32_16x16x16bf16_1k v[18:21], v[44:45], v[4:5], v[18:21]
	v_add_co_u32_e32 v30, vcc, s16, v30
	v_addc_co_u32_e32 v31, vcc, v38, v31, vcc
	global_load_dword v63, v[30:31], off
	s_waitcnt vmcnt(8)
	v_mfma_f32_16x16x16bf16_1k v[18:21], v[22:23], v[10:11], v[18:21]
	v_add_co_u32_e32 v22, vcc, v64, v62
	v_addc_co_u32_e32 v23, vcc, 0, v65, vcc
	global_load_dwordx4 v[88:91], v[22:23], off
	v_and_b32_e32 v22, 16, v0
	v_lshlrev_b32_e32 v22, 1, v22
	v_mfma_f32_16x16x16bf16_1k v[18:21], v[24:25], v[12:13], v[18:21]
	v_mov_b32_e32 v23, s3
	v_add_co_u32_e32 v80, vcc, s2, v22
	v_addc_co_u32_e32 v81, vcc, 0, v23, vcc
	v_add_co_u32_e32 v22, vcc, v80, v82
	s_waitcnt vmcnt(8)
	v_mfma_f32_16x16x16bf16_1k v[18:21], v[26:27], v[50:51], v[18:21]
	v_addc_co_u32_e32 v23, vcc, 0, v81, vcc
	v_mfma_f32_16x16x16bf16_1k v[76:79], v[28:29], v[52:53], v[18:21]
	s_waitcnt vmcnt(5)
	s_nop 7
	v_mad_i64_i32 v[18:19], s[2:3], v46, s1, 0
	v_lshlrev_b64 v[70:71], 1, v[18:19]
	v_mfma_f32_16x16x16bf16_1k v[18:21], v[34:35], v[6:7], 0
	v_add_co_u32_e32 v6, vcc, v22, v70
	v_addc_co_u32_e32 v7, vcc, v23, v71, vcc
	global_load_dwordx4 v[46:49], v[6:7], off
	global_load_dwordx4 v[42:45], v[6:7], off offset:16
	v_pk_mul_f32 v[78:79], s[0:1], v[78:79] op_sel_hi:[0,1]
	s_waitcnt vmcnt(6)
	v_mad_i64_i32 v[6:7], s[2:3], v32, s1, 0
	v_lshlrev_b64 v[72:73], 1, v[6:7]
	v_mfma_f32_16x16x16bf16_1k v[6:9], v[36:37], v[8:9], v[18:21]
	v_mfma_f32_16x16x16bf16_1k v[6:9], v[14:15], v[2:3], v[6:9]
	s_nop 5
	v_add_co_u32_e32 v18, vcc, v22, v72
	v_addc_co_u32_e32 v19, vcc, v23, v73, vcc
	global_load_dwordx4 v[38:41], v[18:19], off
	global_load_dwordx4 v[34:37], v[18:19], off offset:16
	s_waitcnt vmcnt(7)
	v_mad_i64_i32 v[18:19], s[2:3], v33, s1, 0
	v_lshlrev_b64 v[64:65], 1, v[18:19]
	v_add_co_u32_e32 v2, vcc, v22, v64
	v_addc_co_u32_e32 v3, vcc, v23, v65, vcc
	global_load_dwordx4 v[30:33], v[2:3], off
	global_load_dwordx4 v[26:29], v[2:3], off offset:16
	v_mfma_f32_16x16x16bf16_1k v[2:5], v[16:17], v[4:5], v[6:9]
	s_waitcnt vmcnt(8)
	v_mfma_f32_16x16x16bf16_1k v[2:5], v[66:67], v[10:11], v[2:5]
	s_waitcnt vmcnt(7)
	s_nop 3
	v_mad_i64_i32 v[6:7], s[2:3], v63, s1, 0
	v_lshlrev_b64 v[62:63], 1, v[6:7]
	v_add_co_u32_e32 v6, vcc, v22, v62
	v_addc_co_u32_e32 v7, vcc, v23, v63, vcc
	v_mfma_f32_16x16x16bf16_1k v[10:13], v[68:69], v[12:13], v[2:5]
	global_load_dwordx4 v[22:25], v[6:7], off
	global_load_dwordx4 v[18:21], v[6:7], off offset:16
	v_or_b32_e32 v6, 0x1000, v82
	v_add_co_u32_e32 v86, vcc, v80, v6
	v_addc_co_u32_e32 v74, vcc, 0, v81, vcc
	s_nop 1
	v_add_co_u32_e32 v2, vcc, v86, v70
	s_waitcnt vmcnt(8)
	v_mfma_f32_16x16x16bf16_1k v[92:95], v[88:89], v[50:51], v[10:13]
	v_addc_co_u32_e32 v3, vcc, v74, v71, vcc
	v_add_co_u32_e32 v66, vcc, v86, v72
	v_addc_co_u32_e32 v67, vcc, v74, v73, vcc
	v_pk_mul_f32 v[72:73], s[0:1], v[76:77] op_sel_hi:[0,1]
	v_mfma_f32_16x16x16bf16_1k v[50:53], v[90:91], v[52:53], v[92:95]
	global_load_dwordx4 v[6:9], v[2:3], off
	s_nop 0
	global_load_dwordx4 v[2:5], v[2:3], off offset:16
	s_nop 0
	global_load_dwordx4 v[14:17], v[66:67], off
	global_load_dwordx4 v[10:13], v[66:67], off offset:16
	v_pk_mul_f32 v[68:69], s[0:1], v[54:55] op_sel_hi:[0,1]
	v_pk_mul_f32 v[80:81], s[0:1], v[56:57] op_sel_hi:[0,1]
	;; [unrolled: 1-line block ×4, first 2 shown]
	s_nop 0
	v_pk_mul_f32 v[76:77], s[0:1], v[50:51] op_sel_hi:[0,1]
	v_and_b32_e32 v50, 0xc0, v0
	v_add_u32_e32 v50, s9, v50
	v_lshl_or_b32 v50, v84, 2, v50
	v_pk_mul_f32 v[66:67], s[0:1], v[52:53] op_sel_hi:[0,1]
	v_or_b32_e32 v53, 1, v50
	v_mov_b32_e32 v51, 0xff7fffff
	v_cmp_gt_i32_e64 s[28:29], s33, v50
	v_cmp_gt_i32_e64 s[30:31], s33, v53
	v_cndmask_b32_e64 v52, v51, v68, s[28:29]
	v_cndmask_b32_e64 v53, v51, v69, s[30:31]
	v_max3_f32 v52, v52, s41, v53
	v_or_b32_e32 v53, 2, v50
	v_or_b32_e32 v54, 3, v50
	v_cmp_gt_i32_e64 s[34:35], s33, v53
	v_cmp_gt_i32_e64 s[36:37], s33, v54
	v_cndmask_b32_e64 v53, v51, v80, s[34:35]
	v_cndmask_b32_e64 v54, v51, v81, s[36:37]
	v_max3_f32 v52, v52, v53, v54
	v_or_b32_e32 v53, 16, v50
	v_or_b32_e32 v54, 17, v50
	v_cmp_gt_i32_e64 s[22:23], s33, v53
	v_cmp_gt_i32_e64 s[24:25], s33, v54
	v_cndmask_b32_e64 v53, v51, v70, s[22:23]
	v_cndmask_b32_e64 v54, v51, v71, s[24:25]
	v_max3_f32 v52, v52, v53, v54
	v_or_b32_e32 v53, 18, v50
	v_or_b32_e32 v54, 19, v50
	v_cmp_gt_i32_e64 s[18:19], s33, v53
	v_cmp_gt_i32_e64 s[20:21], s33, v54
	v_cndmask_b32_e64 v53, v51, v82, s[18:19]
	v_cndmask_b32_e64 v54, v51, v83, s[20:21]
	v_max3_f32 v52, v52, v53, v54
	v_or_b32_e32 v53, 32, v50
	v_or_b32_e32 v54, 33, v50
	v_cmp_gt_i32_e64 s[14:15], s33, v53
	v_cmp_gt_i32_e64 s[16:17], s33, v54
	v_cndmask_b32_e64 v53, v51, v72, s[14:15]
	v_cndmask_b32_e64 v54, v51, v73, s[16:17]
	v_max3_f32 v52, v52, v53, v54
	v_or_b32_e32 v53, 34, v50
	v_or_b32_e32 v54, 35, v50
	v_cmp_gt_i32_e64 s[10:11], s33, v53
	v_cmp_gt_i32_e64 s[12:13], s33, v54
	v_cndmask_b32_e64 v53, v51, v78, s[10:11]
	v_cndmask_b32_e64 v54, v51, v79, s[12:13]
	v_max3_f32 v52, v52, v53, v54
	v_or_b32_e32 v53, 48, v50
	v_or_b32_e32 v54, 49, v50
	v_cmp_gt_i32_e64 s[2:3], s33, v53
	v_cmp_gt_i32_e64 s[8:9], s33, v54
	v_cndmask_b32_e64 v53, v51, v76, s[2:3]
	v_cndmask_b32_e64 v54, v51, v77, s[8:9]
	v_max3_f32 v52, v52, v53, v54
	v_or_b32_e32 v53, 50, v50
	v_or_b32_e32 v50, 51, v50
	v_cmp_gt_i32_e32 vcc, s33, v53
	v_cmp_gt_i32_e64 s[0:1], s33, v50
	v_cndmask_b32_e32 v53, v51, v66, vcc
	v_cndmask_b32_e64 v50, v51, v67, s[0:1]
	v_max3_f32 v58, v52, v53, v50
	v_mbcnt_lo_u32_b32 v50, -1, 0
	v_mbcnt_hi_u32_b32 v59, -1, v50
	v_and_b32_e32 v50, 64, v59
	v_add_u32_e32 v60, 64, v50
	v_xor_b32_e32 v50, 32, v59
	v_cmp_lt_i32_e64 s[38:39], v50, v60
	v_cndmask_b32_e64 v50, v59, v50, s[38:39]
	v_lshlrev_b32_e32 v75, 2, v50
	ds_bpermute_b32 v61, v75, v58
	v_add_co_u32_e64 v50, s[38:39], v86, v64
	v_addc_co_u32_e64 v51, s[38:39], v74, v65, s[38:39]
	s_waitcnt lgkmcnt(0)
	v_max_f32_e32 v61, v61, v61
	v_max_f32_e32 v61, v58, v61
	v_xor_b32_e32 v58, 16, v59
	v_cmp_lt_i32_e64 s[38:39], v58, v60
	v_cndmask_b32_e64 v58, v59, v58, s[38:39]
	v_lshlrev_b32_e32 v90, 2, v58
	ds_bpermute_b32 v60, v90, v61
	v_add_co_u32_e64 v58, s[38:39], v86, v62
	v_addc_co_u32_e64 v59, s[38:39], v74, v63, s[38:39]
	s_waitcnt lgkmcnt(0)
	v_max_f32_e32 v60, v60, v60
	v_max_f32_e32 v88, v61, v60
	v_sub_f32_e32 v60, v68, v88
	v_mul_f32_e32 v60, 0x3fb8aa3b, v60
	v_exp_f32_e32 v68, v60
	v_sub_f32_e32 v60, v69, v88
	v_mul_f32_e32 v60, 0x3fb8aa3b, v60
	global_load_dwordx4 v[54:57], v[50:51], off
	s_nop 0
	global_load_dwordx4 v[50:53], v[50:51], off offset:16
	v_exp_f32_e32 v69, v60
	global_load_dwordx4 v[62:65], v[58:59], off
	s_nop 0
	global_load_dwordx4 v[58:61], v[58:59], off offset:16
	v_sub_f32_e32 v80, v80, v88
	v_mul_f32_e32 v80, 0x3fb8aa3b, v80
	v_sub_f32_e32 v81, v81, v88
	v_exp_f32_e32 v80, v80
	v_mul_f32_e32 v81, 0x3fb8aa3b, v81
	v_sub_f32_e32 v70, v70, v88
	v_exp_f32_e32 v81, v81
	v_mul_f32_e32 v70, 0x3fb8aa3b, v70
	v_sub_f32_e32 v71, v71, v88
	v_cndmask_b32_e64 v68, 0, v68, s[28:29]
	v_exp_f32_e32 v70, v70
	v_mul_f32_e32 v71, 0x3fb8aa3b, v71
	v_sub_f32_e32 v82, v82, v88
	v_add_f32_e32 v74, 0, v68
	v_cndmask_b32_e64 v69, 0, v69, s[30:31]
	v_exp_f32_e32 v71, v71
	v_mul_f32_e32 v82, 0x3fb8aa3b, v82
	v_sub_f32_e32 v83, v83, v88
	v_add_f32_e32 v74, v74, v69
	;; [unrolled: 5-line block ×10, first 2 shown]
	v_cndmask_b32_e64 v78, 0, v78, s[10:11]
	v_exp_f32_e32 v66, v66
	v_mul_f32_e32 v67, 0x3fb8aa3b, v67
	v_add_f32_e32 v74, v74, v78
	v_cndmask_b32_e64 v79, 0, v79, s[12:13]
	v_exp_f32_e32 v67, v67
	v_add_f32_e32 v74, v74, v79
	v_cndmask_b32_e64 v76, 0, v76, s[2:3]
	v_add_f32_e32 v74, v74, v76
	v_cndmask_b32_e64 v77, 0, v77, s[8:9]
	v_add_f32_e32 v74, v74, v77
	v_cndmask_b32_e32 v66, 0, v66, vcc
	v_add_f32_e32 v74, v74, v66
	v_cndmask_b32_e64 v67, 0, v67, s[0:1]
	v_add_f32_e32 v74, v74, v67
	ds_bpermute_b32 v75, v75, v74
	s_waitcnt lgkmcnt(0)
	s_barrier
	v_add_f32_e32 v89, v74, v75
	ds_bpermute_b32 v90, v90, v89
	v_and_b32_e32 v74, 63, v0
	v_cmp_gt_u32_e32 vcc, 16, v74
	s_and_saveexec_b64 s[0:1], vcc
	s_cbranch_execz .LBB375_15
; %bb.14:
	s_waitcnt lgkmcnt(0)
	v_add_f32_e32 v74, v89, v90
	v_lshlrev_b32_e32 v75, 2, v87
	ds_write2st64_b32 v75, v88, v74 offset1:1
.LBB375_15:
	s_or_b64 exec, exec, s[0:1]
	v_lshlrev_b32_e32 v74, 2, v1
	s_load_dword s2, s[4:5], 0x94
	s_waitcnt lgkmcnt(0)
	s_barrier
	ds_read2_b32 v[88:89], v74 offset1:16
	ds_read2_b32 v[90:91], v74 offset0:32 offset1:48
	ds_read2_b32 v[92:93], v74 offset0:64 offset1:80
	s_movk_i32 s8, 0x7fff
	s_mov_b32 s9, 0x7060302
	s_waitcnt lgkmcnt(2)
	v_max3_f32 v75, v88, s41, v89
	s_waitcnt lgkmcnt(1)
	v_max3_f32 v86, v75, v90, v91
	v_sub_f32_e32 v75, v88, v86
	v_sub_f32_e32 v87, v89, v86
	v_mul_f32_e32 v75, 0x3fb8aa3b, v75
	v_mul_f32_e32 v87, 0x3fb8aa3b, v87
	v_exp_f32_e32 v75, v75
	v_exp_f32_e32 v94, v87
	v_sub_f32_e32 v87, v90, v86
	v_mul_f32_e32 v87, 0x3fb8aa3b, v87
	ds_read2_b32 v[88:89], v74 offset0:96 offset1:112
	v_sub_f32_e32 v74, v91, v86
	v_exp_f32_e32 v90, v87
	v_mul_f32_e32 v74, 0x3fb8aa3b, v74
	v_exp_f32_e32 v74, v74
	s_waitcnt lgkmcnt(1)
	v_fma_f32 v87, v75, v92, 0
	v_fmac_f32_e32 v87, v94, v93
	s_waitcnt lgkmcnt(0)
	v_fmac_f32_e32 v87, v90, v88
	v_fmac_f32_e32 v87, v74, v89
	v_add_f32_e32 v88, 0x358637bd, v87
	v_div_scale_f32 v89, s[0:1], v88, v88, 1.0
	v_rcp_f32_e32 v91, v89
	s_barrier
	v_fma_f32 v92, -v89, v91, 1.0
	v_fmac_f32_e32 v91, v92, v91
	v_div_scale_f32 v92, vcc, 1.0, v88, 1.0
	v_mul_f32_e32 v93, v92, v91
	v_fma_f32 v95, -v89, v93, v92
	v_fmac_f32_e32 v93, v95, v91
	v_fma_f32 v89, -v89, v93, v92
	v_div_fmas_f32 v89, v89, v91, v93
	v_cmp_eq_u32_e32 vcc, 1, v85
	v_cndmask_b32_e32 v75, v75, v94, vcc
	v_cmp_eq_u32_e32 vcc, 2, v85
	v_cndmask_b32_e32 v75, v75, v90, vcc
	v_cmp_eq_u32_e32 vcc, 3, v85
	v_div_fixup_f32 v88, v89, v88, 1.0
	v_cndmask_b32_e32 v74, v75, v74, vcc
	v_mul_f32_e32 v88, v74, v88
	v_pk_mul_f32 v[68:69], v[88:89], v[68:69] op_sel_hi:[0,1]
	v_bfe_u32 v74, v69, 16, 1
	v_bfe_u32 v75, v68, 16, 1
	v_pk_mul_f32 v[80:81], v[88:89], v[80:81] op_sel_hi:[0,1]
	v_add3_u32 v68, v68, v75, s8
	v_add3_u32 v69, v69, v74, s8
	v_perm_b32 v90, v69, v68, s9
	v_bfe_u32 v68, v81, 16, 1
	v_bfe_u32 v69, v80, 16, 1
	v_add3_u32 v69, v80, v69, s8
	v_add3_u32 v68, v81, v68, s8
	v_perm_b32 v91, v68, v69, s9
	v_lshlrev_b32_e32 v69, 3, v84
	v_lshlrev_b32_e32 v68, 5, v1
	v_lshlrev_b32_e32 v74, 11, v85
	v_pk_mul_f32 v[70:71], v[88:89], v[70:71] op_sel_hi:[0,1]
	v_or3_b32 v80, v74, v68, v69
	v_bfe_u32 v69, v71, 16, 1
	v_bfe_u32 v74, v70, 16, 1
	v_pk_mul_f32 v[82:83], v[88:89], v[82:83] op_sel_hi:[0,1]
	v_add3_u32 v70, v70, v74, s8
	v_add3_u32 v69, v71, v69, s8
	v_perm_b32 v70, v69, v70, s9
	v_bfe_u32 v69, v83, 16, 1
	v_bfe_u32 v71, v82, 16, 1
	v_add3_u32 v71, v82, v71, s8
	v_add3_u32 v69, v83, v69, s8
	v_pk_mul_f32 v[72:73], v[88:89], v[72:73] op_sel_hi:[0,1]
	v_perm_b32 v71, v69, v71, s9
	v_bfe_u32 v69, v73, 16, 1
	v_bfe_u32 v74, v72, 16, 1
	ds_write2st64_b64 v80, v[90:91], v[70:71] offset1:1
	v_pk_mul_f32 v[70:71], v[88:89], v[78:79] op_sel_hi:[0,1]
	v_add3_u32 v72, v72, v74, s8
	v_add3_u32 v69, v73, v69, s8
	v_perm_b32 v72, v69, v72, s9
	v_bfe_u32 v69, v71, 16, 1
	v_bfe_u32 v73, v70, 16, 1
	v_add3_u32 v70, v70, v73, s8
	v_add3_u32 v69, v71, v69, s8
	v_perm_b32 v73, v69, v70, s9
	v_pk_mul_f32 v[70:71], v[88:89], v[76:77] op_sel_hi:[0,1]
	v_bfe_u32 v69, v71, 16, 1
	v_bfe_u32 v74, v70, 16, 1
	v_pk_mul_f32 v[66:67], v[88:89], v[66:67] op_sel_hi:[0,1]
	v_add3_u32 v70, v70, v74, s8
	v_add3_u32 v69, v71, v69, s8
	v_perm_b32 v70, v69, v70, s9
	v_bfe_u32 v69, v67, 16, 1
	v_bfe_u32 v71, v66, 16, 1
	v_add3_u32 v66, v66, v71, s8
	v_add3_u32 v67, v67, v69, s8
	s_mul_i32 s3, s40, 12
	v_perm_b32 v71, v67, v66, s9
	v_cmp_gt_u32_e32 vcc, 12, v0
	ds_write2st64_b64 v80, v[72:73], v[70:71] offset0:2 offset1:3
	s_and_saveexec_b64 s[0:1], vcc
	s_cbranch_execz .LBB375_17
; %bb.16:
	v_add_co_u32_e32 v70, vcc, s27, v1
	v_addc_co_u32_e64 v71, s[10:11], 0, 0, vcc
	v_mov_b32_e32 v66, s3
	v_mov_b32_e32 v67, 0
	v_mad_u64_u32 v[70:71], s[10:11], s6, v66, v[70:71]
	v_mov_b32_e32 v66, s26
	s_load_dwordx4 s[12:15], s[4:5], 0x58
	s_mul_i32 s7, s7, s3
	v_mad_u64_u32 v[66:67], s[10:11], v70, s2, v[66:67]
	v_add_u32_e32 v69, s7, v71
	v_mov_b32_e32 v70, v67
	v_mad_u64_u32 v[70:71], s[10:11], v69, s2, v[70:71]
	v_mov_b32_e32 v67, v70
	v_lshlrev_b64 v[66:67], 2, v[66:67]
	s_waitcnt lgkmcnt(0)
	v_mov_b32_e32 v69, s15
	v_add_co_u32_e32 v70, vcc, s14, v66
	v_addc_co_u32_e32 v71, vcc, v69, v67, vcc
	v_mov_b32_e32 v69, s13
	v_add_co_u32_e32 v66, vcc, s12, v66
	v_addc_co_u32_e32 v67, vcc, v69, v67, vcc
	global_store_dword v[70:71], v86, off
	global_store_dword v[66:67], v87, off
.LBB375_17:
	s_or_b64 exec, exec, s[0:1]
	v_lshl_or_b32 v74, v84, 9, v68
	s_waitcnt lgkmcnt(0)
	s_barrier
	ds_read_b128 v[70:73], v74
	ds_read_b128 v[66:69], v74 offset:16
	s_waitcnt vmcnt(15) lgkmcnt(1)
	v_mfma_f32_16x16x16bf16_1k v[76:79], v[46:47], v[70:71], 0
	s_mov_b32 s1, 0
	v_cmp_gt_u32_e32 vcc, 64, v0
	v_mfma_f32_16x16x16bf16_1k v[46:49], v[48:49], v[72:73], v[76:79]
	s_waitcnt vmcnt(14) lgkmcnt(0)
	v_mfma_f32_16x16x16bf16_1k v[46:49], v[42:43], v[66:67], v[46:49]
	v_mfma_f32_16x16x16bf16_1k v[42:45], v[44:45], v[68:69], v[46:49]
	s_nop 7
	s_nop 1
	ds_read_b128 v[46:49], v74 offset:2048
	ds_read_b128 v[76:79], v74 offset:2064
	s_waitcnt vmcnt(13) lgkmcnt(1)
	v_mfma_f32_16x16x16bf16_1k v[42:45], v[38:39], v[46:47], v[42:45]
	v_mfma_f32_16x16x16bf16_1k v[38:41], v[40:41], v[48:49], v[42:45]
	s_waitcnt vmcnt(12) lgkmcnt(0)
	v_mfma_f32_16x16x16bf16_1k v[38:41], v[34:35], v[76:77], v[38:41]
	v_mfma_f32_16x16x16bf16_1k v[34:37], v[36:37], v[78:79], v[38:41]
	s_nop 7
	s_nop 1
	ds_read_b128 v[38:41], v74 offset:4096
	ds_read_b128 v[42:45], v74 offset:4112
	s_waitcnt vmcnt(11) lgkmcnt(1)
	v_mfma_f32_16x16x16bf16_1k v[34:37], v[30:31], v[38:39], v[34:37]
	v_mfma_f32_16x16x16bf16_1k v[30:33], v[32:33], v[40:41], v[34:37]
	s_waitcnt vmcnt(10) lgkmcnt(0)
	v_mfma_f32_16x16x16bf16_1k v[30:33], v[26:27], v[42:43], v[30:33]
	v_mfma_f32_16x16x16bf16_1k v[26:29], v[28:29], v[44:45], v[30:33]
	s_nop 7
	s_nop 1
	ds_read_b128 v[30:33], v74 offset:6144
	ds_read_b128 v[34:37], v74 offset:6160
	s_waitcnt lgkmcnt(0)
	s_barrier
	s_waitcnt vmcnt(9)
	v_mfma_f32_16x16x16bf16_1k v[26:29], v[22:23], v[30:31], v[26:29]
	v_mfma_f32_16x16x16bf16_1k v[22:25], v[24:25], v[32:33], v[26:29]
	s_waitcnt vmcnt(8)
	v_mfma_f32_16x16x16bf16_1k v[22:25], v[18:19], v[34:35], v[22:25]
	v_mfma_f32_16x16x16bf16_1k v[18:21], v[20:21], v[36:37], v[22:25]
	;; [unrolled: 3-line block ×4, first 2 shown]
	s_waitcnt vmcnt(5)
	v_mfma_f32_16x16x16bf16_1k v[2:5], v[14:15], v[46:47], v[2:5]
	s_nop 7
	v_bfe_u32 v6, v19, 16, 1
	v_bfe_u32 v7, v18, 16, 1
	v_add3_u32 v7, v18, v7, s8
	v_add3_u32 v6, v19, v6, s8
	v_perm_b32 v6, v6, v7, s9
	v_bfe_u32 v7, v21, 16, 1
	v_bfe_u32 v8, v20, 16, 1
	v_mfma_f32_16x16x16bf16_1k v[2:5], v[16:17], v[48:49], v[2:5]
	v_add3_u32 v8, v20, v8, s8
	v_add3_u32 v7, v21, v7, s8
	v_perm_b32 v7, v7, v8, s9
	s_waitcnt vmcnt(4)
	v_mfma_f32_16x16x16bf16_1k v[2:5], v[10:11], v[76:77], v[2:5]
	v_mfma_f32_16x16x16bf16_1k v[2:5], v[12:13], v[78:79], v[2:5]
	s_waitcnt vmcnt(3)
	v_mfma_f32_16x16x16bf16_1k v[2:5], v[54:55], v[38:39], v[2:5]
	v_mfma_f32_16x16x16bf16_1k v[2:5], v[56:57], v[40:41], v[2:5]
	;; [unrolled: 3-line block ×5, first 2 shown]
	s_nop 7
	s_nop 2
	v_bfe_u32 v8, v3, 16, 1
	v_bfe_u32 v9, v2, 16, 1
	v_add3_u32 v2, v2, v9, s8
	v_add3_u32 v3, v3, v8, s8
	v_perm_b32 v2, v3, v2, s9
	v_bfe_u32 v3, v5, 16, 1
	v_bfe_u32 v8, v4, 16, 1
	v_add3_u32 v4, v4, v8, s8
	v_add3_u32 v3, v5, v3, s8
	v_perm_b32 v3, v3, v4, s9
	ds_write2st64_b64 v80, v[6:7], v[2:3] offset1:1
	s_waitcnt lgkmcnt(0)
	s_barrier
	s_and_saveexec_b64 s[8:9], vcc
	s_cbranch_execz .LBB375_19
; %bb.18:
	v_lshlrev_b32_e32 v1, 6, v1
	v_lshlrev_b32_e32 v3, 4, v0
	v_lshl_or_b32 v0, v0, 10, v1
	v_lshlrev_b32_e32 v2, 5, v84
	v_and_b32_e32 v3, 16, v3
	v_and_b32_e32 v0, 0x1a00, v0
	v_or3_b32 v8, v0, v2, v3
	ds_read_b128 v[0:3], v8
	ds_read_b128 v[4:7], v8 offset:128
	ds_read_b128 v[8:11], v8 offset:256
	buffer_load_dword v16, off, s[44:47], 0 ; 4-byte Folded Reload
	buffer_load_dword v17, off, s[44:47], 0 offset:4 ; 4-byte Folded Reload
	s_load_dwordx2 s[4:5], s[4:5], 0x68
	s_lshl_b32 s7, s2, 7
	s_mul_i32 s0, s3, s6
	s_mul_hi_u32 s3, s0, s7
	s_mul_i32 s2, s0, s7
	s_lshl_b64 s[2:3], s[2:3], 1
	s_waitcnt lgkmcnt(0)
	s_add_u32 s2, s4, s2
	s_addc_u32 s3, s5, s3
	s_lshl_b32 s0, s26, 7
	s_lshl_b64 s[0:1], s[0:1], 1
	s_add_u32 s0, s2, s0
	s_addc_u32 s1, s3, s1
	v_or_b32_e32 v14, s27, v84
	v_mov_b32_e32 v12, s1
	s_waitcnt vmcnt(1)
	v_add_co_u32_e32 v15, vcc, s0, v16
	s_waitcnt vmcnt(0)
	v_addc_co_u32_e32 v16, vcc, v12, v17, vcc
	v_mad_u64_u32 v[12:13], s[0:1], v14, s7, 0
	v_lshlrev_b64 v[12:13], 1, v[12:13]
	v_add_co_u32_e32 v12, vcc, v15, v12
	v_addc_co_u32_e32 v13, vcc, v16, v13, vcc
	global_store_dwordx4 v[12:13], v[0:3], off
	s_nop 0
	v_add_u32_e32 v0, 4, v14
	v_mad_u64_u32 v[0:1], s[0:1], v0, s7, 0
	v_lshlrev_b64 v[0:1], 1, v[0:1]
	v_add_co_u32_e32 v0, vcc, v15, v0
	v_addc_co_u32_e32 v1, vcc, v16, v1, vcc
	global_store_dwordx4 v[0:1], v[4:7], off
	v_add_u32_e32 v0, 8, v14
	v_mad_u64_u32 v[0:1], s[0:1], v0, s7, 0
	v_lshlrev_b64 v[0:1], 1, v[0:1]
	v_add_co_u32_e32 v0, vcc, v15, v0
	v_addc_co_u32_e32 v1, vcc, v16, v1, vcc
	global_store_dwordx4 v[0:1], v[8:11], off
.LBB375_19:
	s_endpgm
	.section	.rodata,"a",@progbits
	.p2align	6, 0x0
	.amdhsa_kernel _Z39paged_attention_ll4mi_QKV_mfma16_kernelI14__hip_bfloat16S0_LN4vllm18Fp8KVCacheDataTypeE0ES0_Li32ELi128ELi256ELb0ELi12EL8MFMAType0EEvPKT_PKT0_S9_ifPKiSB_SB_iPKfiiiPfSE_PS4_PT2_iSD_SD_
		.amdhsa_group_segment_fixed_size 8192
		.amdhsa_private_segment_fixed_size 12
		.amdhsa_kernarg_size 400
		.amdhsa_user_sgpr_count 6
		.amdhsa_user_sgpr_private_segment_buffer 1
		.amdhsa_user_sgpr_dispatch_ptr 0
		.amdhsa_user_sgpr_queue_ptr 0
		.amdhsa_user_sgpr_kernarg_segment_ptr 1
		.amdhsa_user_sgpr_dispatch_id 0
		.amdhsa_user_sgpr_flat_scratch_init 0
		.amdhsa_user_sgpr_kernarg_preload_length 0
		.amdhsa_user_sgpr_kernarg_preload_offset 0
		.amdhsa_user_sgpr_private_segment_size 0
		.amdhsa_uses_dynamic_stack 0
		.amdhsa_system_sgpr_private_segment_wavefront_offset 1
		.amdhsa_system_sgpr_workgroup_id_x 1
		.amdhsa_system_sgpr_workgroup_id_y 1
		.amdhsa_system_sgpr_workgroup_id_z 1
		.amdhsa_system_sgpr_workgroup_info 0
		.amdhsa_system_vgpr_workitem_id 0
		.amdhsa_next_free_vgpr 96
		.amdhsa_next_free_sgpr 48
		.amdhsa_accum_offset 96
		.amdhsa_reserve_vcc 1
		.amdhsa_reserve_flat_scratch 0
		.amdhsa_float_round_mode_32 0
		.amdhsa_float_round_mode_16_64 0
		.amdhsa_float_denorm_mode_32 3
		.amdhsa_float_denorm_mode_16_64 3
		.amdhsa_dx10_clamp 1
		.amdhsa_ieee_mode 1
		.amdhsa_fp16_overflow 0
		.amdhsa_tg_split 0
		.amdhsa_exception_fp_ieee_invalid_op 0
		.amdhsa_exception_fp_denorm_src 0
		.amdhsa_exception_fp_ieee_div_zero 0
		.amdhsa_exception_fp_ieee_overflow 0
		.amdhsa_exception_fp_ieee_underflow 0
		.amdhsa_exception_fp_ieee_inexact 0
		.amdhsa_exception_int_div_zero 0
	.end_amdhsa_kernel
	.section	.text._Z39paged_attention_ll4mi_QKV_mfma16_kernelI14__hip_bfloat16S0_LN4vllm18Fp8KVCacheDataTypeE0ES0_Li32ELi128ELi256ELb0ELi12EL8MFMAType0EEvPKT_PKT0_S9_ifPKiSB_SB_iPKfiiiPfSE_PS4_PT2_iSD_SD_,"axG",@progbits,_Z39paged_attention_ll4mi_QKV_mfma16_kernelI14__hip_bfloat16S0_LN4vllm18Fp8KVCacheDataTypeE0ES0_Li32ELi128ELi256ELb0ELi12EL8MFMAType0EEvPKT_PKT0_S9_ifPKiSB_SB_iPKfiiiPfSE_PS4_PT2_iSD_SD_,comdat
.Lfunc_end375:
	.size	_Z39paged_attention_ll4mi_QKV_mfma16_kernelI14__hip_bfloat16S0_LN4vllm18Fp8KVCacheDataTypeE0ES0_Li32ELi128ELi256ELb0ELi12EL8MFMAType0EEvPKT_PKT0_S9_ifPKiSB_SB_iPKfiiiPfSE_PS4_PT2_iSD_SD_, .Lfunc_end375-_Z39paged_attention_ll4mi_QKV_mfma16_kernelI14__hip_bfloat16S0_LN4vllm18Fp8KVCacheDataTypeE0ES0_Li32ELi128ELi256ELb0ELi12EL8MFMAType0EEvPKT_PKT0_S9_ifPKiSB_SB_iPKfiiiPfSE_PS4_PT2_iSD_SD_
                                        ; -- End function
	.section	.AMDGPU.csdata,"",@progbits
; Kernel info:
; codeLenInByte = 5104
; NumSgprs: 52
; NumVgprs: 96
; NumAgprs: 0
; TotalNumVgprs: 96
; ScratchSize: 12
; MemoryBound: 0
; FloatMode: 240
; IeeeMode: 1
; LDSByteSize: 8192 bytes/workgroup (compile time only)
; SGPRBlocks: 6
; VGPRBlocks: 11
; NumSGPRsForWavesPerEU: 52
; NumVGPRsForWavesPerEU: 96
; AccumOffset: 96
; Occupancy: 5
; WaveLimiterHint : 1
; COMPUTE_PGM_RSRC2:SCRATCH_EN: 1
; COMPUTE_PGM_RSRC2:USER_SGPR: 6
; COMPUTE_PGM_RSRC2:TRAP_HANDLER: 0
; COMPUTE_PGM_RSRC2:TGID_X_EN: 1
; COMPUTE_PGM_RSRC2:TGID_Y_EN: 1
; COMPUTE_PGM_RSRC2:TGID_Z_EN: 1
; COMPUTE_PGM_RSRC2:TIDIG_COMP_CNT: 0
; COMPUTE_PGM_RSRC3_GFX90A:ACCUM_OFFSET: 23
; COMPUTE_PGM_RSRC3_GFX90A:TG_SPLIT: 0
	.section	.text._Z39paged_attention_ll4mi_QKV_mfma16_kernelI14__hip_bfloat16S0_LN4vllm18Fp8KVCacheDataTypeE0ES0_Li32ELi128ELi256ELb0ELi13EL8MFMAType0EEvPKT_PKT0_S9_ifPKiSB_SB_iPKfiiiPfSE_PS4_PT2_iSD_SD_,"axG",@progbits,_Z39paged_attention_ll4mi_QKV_mfma16_kernelI14__hip_bfloat16S0_LN4vllm18Fp8KVCacheDataTypeE0ES0_Li32ELi128ELi256ELb0ELi13EL8MFMAType0EEvPKT_PKT0_S9_ifPKiSB_SB_iPKfiiiPfSE_PS4_PT2_iSD_SD_,comdat
	.protected	_Z39paged_attention_ll4mi_QKV_mfma16_kernelI14__hip_bfloat16S0_LN4vllm18Fp8KVCacheDataTypeE0ES0_Li32ELi128ELi256ELb0ELi13EL8MFMAType0EEvPKT_PKT0_S9_ifPKiSB_SB_iPKfiiiPfSE_PS4_PT2_iSD_SD_ ; -- Begin function _Z39paged_attention_ll4mi_QKV_mfma16_kernelI14__hip_bfloat16S0_LN4vllm18Fp8KVCacheDataTypeE0ES0_Li32ELi128ELi256ELb0ELi13EL8MFMAType0EEvPKT_PKT0_S9_ifPKiSB_SB_iPKfiiiPfSE_PS4_PT2_iSD_SD_
	.globl	_Z39paged_attention_ll4mi_QKV_mfma16_kernelI14__hip_bfloat16S0_LN4vllm18Fp8KVCacheDataTypeE0ES0_Li32ELi128ELi256ELb0ELi13EL8MFMAType0EEvPKT_PKT0_S9_ifPKiSB_SB_iPKfiiiPfSE_PS4_PT2_iSD_SD_
	.p2align	8
	.type	_Z39paged_attention_ll4mi_QKV_mfma16_kernelI14__hip_bfloat16S0_LN4vllm18Fp8KVCacheDataTypeE0ES0_Li32ELi128ELi256ELb0ELi13EL8MFMAType0EEvPKT_PKT0_S9_ifPKiSB_SB_iPKfiiiPfSE_PS4_PT2_iSD_SD_,@function
_Z39paged_attention_ll4mi_QKV_mfma16_kernelI14__hip_bfloat16S0_LN4vllm18Fp8KVCacheDataTypeE0ES0_Li32ELi128ELi256ELb0ELi13EL8MFMAType0EEvPKT_PKT0_S9_ifPKiSB_SB_iPKfiiiPfSE_PS4_PT2_iSD_SD_: ; @_Z39paged_attention_ll4mi_QKV_mfma16_kernelI14__hip_bfloat16S0_LN4vllm18Fp8KVCacheDataTypeE0ES0_Li32ELi128ELi256ELb0ELi13EL8MFMAType0EEvPKT_PKT0_S9_ifPKiSB_SB_iPKfiiiPfSE_PS4_PT2_iSD_SD_
; %bb.0:
	s_mov_b64 s[46:47], s[2:3]
	s_mov_b64 s[44:45], s[0:1]
	s_load_dwordx2 s[0:1], s[4:5], 0x30
	s_add_u32 s44, s44, s9
	s_addc_u32 s45, s45, 0
	s_mov_b32 s26, s7
	s_mov_b64 s[10:11], 0
	s_waitcnt lgkmcnt(0)
	s_cmp_lg_u64 s[0:1], 0
	s_cselect_b64 s[2:3], -1, 0
	s_and_b64 vcc, exec, s[2:3]
	s_cbranch_vccz .LBB376_7
; %bb.1:
	s_add_i32 s12, s6, 1
	s_mov_b32 s13, 0
	s_lshl_b64 s[14:15], s[12:13], 2
	s_add_u32 s14, s0, s14
	s_mov_b32 s7, s13
	s_addc_u32 s15, s1, s15
	s_lshl_b64 s[12:13], s[6:7], 2
	s_add_u32 s12, s0, s12
	s_addc_u32 s13, s1, s13
	s_load_dword s9, s[14:15], 0x0
	s_load_dword s16, s[12:13], 0x0
	s_waitcnt lgkmcnt(0)
	s_sub_i32 s9, s9, s16
	s_cmp_eq_u32 s9, 1
	s_cselect_b64 s[12:13], -1, 0
	s_andn2_b64 vcc, exec, s[10:11]
	s_cbranch_vccnz .LBB376_3
.LBB376_2:
	s_mov_b32 s7, 0
	s_mov_b64 s[12:13], -1
.LBB376_3:
	s_andn2_b64 vcc, exec, s[12:13]
	s_cbranch_vccnz .LBB376_20
; %bb.4:
	s_load_dwordx2 s[12:13], s[4:5], 0x28
	s_lshl_b64 s[10:11], s[6:7], 2
	s_waitcnt lgkmcnt(0)
	s_add_u32 s12, s12, s10
	s_addc_u32 s13, s13, s11
	s_load_dword s33, s[12:13], 0x0
	s_lshl_b32 s9, s26, 8
	s_waitcnt lgkmcnt(0)
	s_cmp_ge_i32 s9, s33
	s_cbranch_scc1 .LBB376_20
; %bb.5:
	s_add_i32 s15, s33, 31
	s_load_dwordx2 s[12:13], s[4:5], 0x20
	s_load_dword s14, s[4:5], 0x38
	s_ashr_i32 s16, s15, 31
	v_and_b32_e32 v1, 0xcf, v0
	s_lshr_b32 s16, s16, 27
	v_add_u32_e32 v1, s9, v1
	s_add_i32 s15, s15, s16
	v_ashrrev_i32_e32 v2, 31, v1
	s_ashr_i32 s18, s15, 5
	v_lshrrev_b32_e32 v10, 27, v2
	s_add_i32 s18, s18, -1
	v_add_u32_e32 v2, v1, v10
	s_waitcnt lgkmcnt(0)
	s_mul_i32 s14, s6, s14
	s_mov_b32 s15, 0
	v_ashrrev_i32_e32 v2, 5, v2
	v_mov_b32_e32 v11, s18
	v_cmp_gt_i32_e32 vcc, s33, v1
	s_lshl_b64 s[14:15], s[14:15], 2
	v_cndmask_b32_e32 v2, v11, v2, vcc
	s_add_u32 s16, s12, s14
	v_ashrrev_i32_e32 v3, 31, v2
	s_addc_u32 s17, s13, s15
	v_lshlrev_b64 v[2:3], 2, v[2:3]
	v_mov_b32_e32 v4, s17
	v_add_co_u32_e32 v2, vcc, s16, v2
	v_addc_co_u32_e32 v3, vcc, v4, v3, vcc
	v_or_b32_e32 v4, 16, v1
	v_add_u32_e32 v5, v4, v10
	v_ashrrev_i32_e32 v5, 5, v5
	v_cmp_gt_i32_e32 vcc, s33, v4
	v_cndmask_b32_e32 v4, v11, v5, vcc
	v_ashrrev_i32_e32 v5, 31, v4
	v_lshlrev_b64 v[4:5], 2, v[4:5]
	v_mov_b32_e32 v7, s17
	v_add_co_u32_e32 v6, vcc, s16, v4
	v_or_b32_e32 v4, 32, v1
	v_addc_co_u32_e32 v7, vcc, v7, v5, vcc
	v_add_u32_e32 v5, v4, v10
	v_ashrrev_i32_e32 v5, 5, v5
	v_cmp_gt_i32_e32 vcc, s33, v4
	v_cndmask_b32_e32 v4, v11, v5, vcc
	v_ashrrev_i32_e32 v5, 31, v4
	v_lshlrev_b64 v[4:5], 2, v[4:5]
	v_mov_b32_e32 v9, s17
	v_add_co_u32_e32 v8, vcc, s16, v4
	v_or_b32_e32 v1, 48, v1
	v_addc_co_u32_e32 v9, vcc, v9, v5, vcc
	v_add_u32_e32 v4, v1, v10
	v_ashrrev_i32_e32 v4, 5, v4
	v_cmp_gt_i32_e32 vcc, s33, v1
	v_cndmask_b32_e32 v4, v11, v4, vcc
	v_ashrrev_i32_e32 v5, 31, v4
	v_lshlrev_b64 v[4:5], 2, v[4:5]
	v_mov_b32_e32 v1, s17
	v_add_co_u32_e32 v10, vcc, s16, v4
	v_addc_co_u32_e32 v11, vcc, v1, v5, vcc
	global_load_dword v5, v[2:3], off
	global_load_dword v4, v[6:7], off
	;; [unrolled: 1-line block ×4, first 2 shown]
	s_andn2_b64 vcc, exec, s[2:3]
	s_cbranch_vccnz .LBB376_8
; %bb.6:
	s_add_u32 s0, s0, s10
	s_addc_u32 s1, s1, s11
	s_load_dword s19, s[0:1], 0x0
	s_branch .LBB376_9
.LBB376_7:
	s_mov_b64 s[12:13], 0
	s_branch .LBB376_2
.LBB376_8:
	s_mov_b32 s19, s6
.LBB376_9:
	s_load_dwordx4 s[12:15], s[4:5], 0x8
	s_load_dwordx4 s[0:3], s[4:5], 0x48
	v_lshrrev_b32_e32 v85, 6, v0
	v_bfe_u32 v1, v0, 4, 2
	v_lshl_or_b32 v6, v85, 2, v1
	v_and_b32_e32 v84, 15, v0
	v_lshlrev_b32_e32 v2, 3, v84
	v_cmp_lt_u32_e32 vcc, 12, v6
	s_and_saveexec_b64 s[10:11], vcc
	s_xor_b64 s[10:11], exec, s[10:11]
; %bb.10:
	v_mov_b32_e32 v3, 0
                                        ; implicit-def: $vgpr6
; %bb.11:
	s_or_saveexec_b64 s[10:11], s[10:11]
	s_mul_i32 s27, s8, 13
	s_xor_b64 exec, exec, s[10:11]
	s_cbranch_execz .LBB376_13
; %bb.12:
	s_load_dwordx2 s[20:21], s[4:5], 0x0
	s_waitcnt lgkmcnt(0)
	s_ashr_i32 s3, s0, 31
	s_mul_hi_u32 s22, s19, s0
	s_mul_i32 s3, s19, s3
	s_add_i32 s23, s22, s3
	s_mul_i32 s22, s19, s0
	s_lshl_b64 s[22:23], s[22:23], 1
	v_add_lshl_u32 v8, v6, s27, 7
	s_add_u32 s0, s20, s22
	v_ashrrev_i32_e32 v9, 31, v8
	s_addc_u32 s3, s21, s23
	v_lshlrev_b64 v[8:9], 1, v[8:9]
	v_mov_b32_e32 v3, s3
	v_add_co_u32_e32 v7, vcc, s0, v8
	v_addc_co_u32_e32 v3, vcc, v3, v9, vcc
	v_lshlrev_b32_e32 v8, 1, v2
	v_add_co_u32_e32 v8, vcc, v7, v8
	v_addc_co_u32_e32 v9, vcc, 0, v3, vcc
	global_load_dwordx4 v[8:11], v[8:9], off
	v_and_b32_e32 v7, 3, v0
	v_lshlrev_b32_e32 v12, 9, v84
	v_lshlrev_b32_e32 v6, 5, v6
	;; [unrolled: 1-line block ×3, first 2 shown]
	v_and_b32_e32 v12, 0x1800, v12
	v_mov_b32_e32 v3, 0
	v_or3_b32 v6, v12, v7, v6
	s_waitcnt vmcnt(0)
	ds_write_b128 v6, v[8:11]
.LBB376_13:
	s_or_b64 exec, exec, s[10:11]
	s_waitcnt lgkmcnt(0)
	s_mul_i32 s2, s8, s2
	s_mov_b32 s3, 0
	s_lshl_b64 s[2:3], s[2:3], 1
	s_add_u32 s8, s12, s2
	s_addc_u32 s10, s13, s3
	s_waitcnt vmcnt(3)
	v_mad_i64_i32 v[6:7], s[12:13], v5, s1, 0
	v_lshlrev_b64 v[6:7], 1, v[6:7]
	v_mov_b32_e32 v5, s10
	v_add_co_u32_e32 v6, vcc, s8, v6
	v_addc_co_u32_e32 v5, vcc, v5, v7, vcc
	v_lshlrev_b64 v[60:61], 1, v[2:3]
	v_add_co_u32_e32 v27, vcc, v6, v60
	v_lshlrev_b32_e32 v26, 9, v1
	v_addc_co_u32_e32 v28, vcc, v5, v61, vcc
	v_add_co_u32_e32 v2, vcc, v27, v26
	v_addc_co_u32_e32 v3, vcc, 0, v28, vcc
	s_load_dword s40, s[4:5], 0x98
	s_load_dword s0, s[4:5], 0x1c
	s_waitcnt lgkmcnt(0)
	s_barrier
	global_load_dwordx4 v[10:13], v[2:3], off
	s_waitcnt vmcnt(3)
	v_mad_i64_i32 v[4:5], s[12:13], v4, s1, 0
	v_lshlrev_b64 v[4:5], 1, v[4:5]
	v_mov_b32_e32 v6, s10
	v_add_co_u32_e32 v4, vcc, s8, v4
	v_addc_co_u32_e32 v5, vcc, v6, v5, vcc
	v_mov_b32_e32 v6, 0x100
	v_lshl_or_b32 v29, v84, 4, v6
	v_add_co_u32_e32 v30, vcc, v4, v29
	v_addc_co_u32_e32 v31, vcc, 0, v5, vcc
	v_add_co_u32_e32 v22, vcc, v30, v26
	v_addc_co_u32_e32 v23, vcc, 0, v31, vcc
	global_load_dwordx4 v[18:21], v[22:23], off
	global_load_dwordx4 v[14:17], v[2:3], off offset:2048
	v_add_u32_e32 v2, -13, v84
	v_cmp_gt_u32_e32 vcc, 13, v84
	v_cndmask_b32_e32 v2, v2, v84, vcc
	v_lshl_add_u32 v32, v2, 5, v26
	ds_read_b128 v[6:9], v32
	ds_read_b128 v[2:5], v32 offset:2048
	v_or_b32_e32 v58, 0x1000, v26
	global_load_dwordx4 v[38:41], v[22:23], off offset:2048
	v_add_co_u32_e32 v22, vcc, v27, v58
	v_addc_co_u32_e32 v23, vcc, 0, v28, vcc
	v_or_b32_e32 v62, 0x1800, v26
	s_ashr_i32 s11, s9, 31
	v_and_or_b32 v63, v0, 48, s9
	v_mov_b32_e32 v66, s18
	v_lshl_or_b32 v87, v85, 4, v84
	v_lshlrev_b32_e32 v82, 6, v87
	s_mov_b32 s41, 0xff7fffff
	s_waitcnt vmcnt(3) lgkmcnt(1)
	v_mfma_f32_16x16x16bf16_1k v[34:37], v[10:11], v[6:7], 0
	s_waitcnt vmcnt(2)
	v_mfma_f32_16x16x16bf16_1k v[42:45], v[18:19], v[6:7], 0
	v_mfma_f32_16x16x16bf16_1k v[10:13], v[12:13], v[8:9], v[34:37]
	s_nop 7
	global_load_dwordx4 v[34:37], v[22:23], off
	v_add_co_u32_e32 v22, vcc, v30, v58
	v_addc_co_u32_e32 v23, vcc, 0, v31, vcc
	v_mfma_f32_16x16x16bf16_1k v[18:21], v[20:21], v[8:9], v[42:45]
	global_load_dwordx4 v[46:49], v[22:23], off
	s_waitcnt vmcnt(3) lgkmcnt(0)
	v_mfma_f32_16x16x16bf16_1k v[42:45], v[14:15], v[2:3], v[10:13]
	s_nop 6
	v_add_co_u32_e32 v10, vcc, v27, v62
	v_addc_co_u32_e32 v11, vcc, 0, v28, vcc
	global_load_dwordx4 v[54:57], v[10:11], off
	v_mad_i64_i32 v[10:11], s[12:13], v25, s1, 0
	v_add_co_u32_e32 v30, vcc, v30, v62
	v_lshlrev_b64 v[22:23], 1, v[10:11]
	v_addc_co_u32_e32 v31, vcc, 0, v31, vcc
	v_mov_b32_e32 v25, s10
	v_add_co_u32_e32 v22, vcc, s8, v22
	v_addc_co_u32_e32 v23, vcc, v25, v23, vcc
	ds_read_b128 v[10:13], v32 offset:4096
	ds_read_b128 v[50:53], v32 offset:6144
	global_load_dwordx4 v[30:33], v[30:31], off
	v_add_co_u32_e32 v27, vcc, v22, v60
	buffer_store_dword v60, off, s[44:47], 0 ; 4-byte Folded Spill
	s_nop 0
	buffer_store_dword v61, off, s[44:47], 0 offset:4 ; 4-byte Folded Spill
	s_waitcnt vmcnt(6)
	v_mfma_f32_16x16x16bf16_1k v[18:21], v[38:39], v[2:3], v[18:21]
	v_mov_b32_e32 v28, s10
	s_lshr_b32 s10, s11, 27
	s_add_u32 s2, s14, s2
	s_addc_u32 s3, s15, s3
	v_addc_co_u32_e32 v59, vcc, v23, v61, vcc
	v_add_co_u32_e32 v22, vcc, v27, v26
	v_addc_co_u32_e32 v23, vcc, 0, v59, vcc
	v_mfma_f32_16x16x16bf16_1k v[14:17], v[16:17], v[4:5], v[42:45]
	v_mfma_f32_16x16x16bf16_1k v[18:21], v[40:41], v[4:5], v[18:21]
	global_load_dwordx4 v[38:41], v[22:23], off
	s_nop 4
	global_load_dwordx4 v[42:45], v[22:23], off offset:2048
	v_mad_i64_i32 v[22:23], s[12:13], v24, s1, 0
	s_waitcnt vmcnt(7) lgkmcnt(1)
	v_mfma_f32_16x16x16bf16_1k v[14:17], v[34:35], v[10:11], v[14:17]
	v_lshlrev_b64 v[34:35], 1, v[22:23]
	v_add_co_u32_e32 v22, vcc, v27, v58
	v_addc_co_u32_e32 v23, vcc, 0, v59, vcc
	global_load_dwordx4 v[22:25], v[22:23], off
	v_add_co_u32_e32 v34, vcc, s8, v34
	s_waitcnt vmcnt(7)
	v_mfma_f32_16x16x16bf16_1k v[18:21], v[46:47], v[10:11], v[18:21]
	v_addc_co_u32_e32 v28, vcc, v28, v35, vcc
	v_add_co_u32_e32 v64, vcc, v34, v29
	v_addc_co_u32_e32 v65, vcc, 0, v28, vcc
	v_add_co_u32_e32 v28, vcc, v27, v62
	v_mfma_f32_16x16x16bf16_1k v[14:17], v[36:37], v[12:13], v[14:17]
	v_addc_co_u32_e32 v29, vcc, 0, v59, vcc
	v_add_co_u32_e32 v46, vcc, v64, v26
	global_load_dwordx4 v[26:29], v[28:29], off
	v_addc_co_u32_e32 v47, vcc, 0, v65, vcc
	v_mfma_f32_16x16x16bf16_1k v[18:21], v[48:49], v[12:13], v[18:21]
	v_add_co_u32_e32 v48, vcc, v64, v58
	v_add_u32_e32 v35, s10, v63
	v_addc_co_u32_e32 v49, vcc, 0, v65, vcc
	v_ashrrev_i32_e32 v60, 5, v35
	v_cmp_gt_i32_e32 vcc, s33, v63
	s_waitcnt vmcnt(7) lgkmcnt(0)
	v_mfma_f32_16x16x16bf16_1k v[14:17], v[54:55], v[50:51], v[14:17]
	s_waitcnt vmcnt(6)
	v_mfma_f32_16x16x16bf16_1k v[18:21], v[30:31], v[50:51], v[18:21]
	v_mov_b32_e32 v31, s17
	v_mfma_f32_16x16x16bf16_1k v[54:57], v[56:57], v[52:53], v[14:17]
	global_load_dwordx4 v[34:37], v[46:47], off
	s_nop 5
	global_load_dwordx4 v[14:17], v[46:47], off offset:2048
	v_cndmask_b32_e32 v46, v66, v60, vcc
	v_ashrrev_i32_e32 v47, 31, v46
	v_lshlrev_b64 v[46:47], 2, v[46:47]
	v_add_co_u32_e32 v30, vcc, s16, v46
	v_addc_co_u32_e32 v31, vcc, v31, v47, vcc
	global_load_dword v46, v[30:31], off
	v_or_b32_e32 v30, 64, v63
	v_mfma_f32_16x16x16bf16_1k v[58:61], v[32:33], v[52:53], v[18:21]
	v_cmp_gt_i32_e32 vcc, s33, v30
	v_mov_b32_e32 v32, s17
	v_mov_b32_e32 v33, s17
	s_nop 3
	v_add_u32_e32 v18, s10, v30
	v_ashrrev_i32_e32 v18, 5, v18
	v_cndmask_b32_e32 v18, v66, v18, vcc
	v_ashrrev_i32_e32 v19, 31, v18
	v_lshlrev_b64 v[30:31], 2, v[18:19]
	v_add_co_u32_e32 v30, vcc, s16, v30
	v_addc_co_u32_e32 v31, vcc, v32, v31, vcc
	global_load_dword v32, v[30:31], off
	s_waitcnt vmcnt(7)
	v_mfma_f32_16x16x16bf16_1k v[18:21], v[38:39], v[6:7], 0
	v_or_b32_e32 v30, 0x80, v63
	v_add_u32_e32 v31, s10, v30
	v_ashrrev_i32_e32 v31, 5, v31
	v_cmp_gt_i32_e32 vcc, s33, v30
	v_cndmask_b32_e32 v30, v66, v31, vcc
	v_ashrrev_i32_e32 v31, 31, v30
	v_lshlrev_b64 v[30:31], 2, v[30:31]
	v_mfma_f32_16x16x16bf16_1k v[18:21], v[40:41], v[8:9], v[18:21]
	v_add_co_u32_e32 v30, vcc, s16, v30
	v_addc_co_u32_e32 v31, vcc, v33, v31, vcc
	global_load_dword v33, v[30:31], off
	v_or_b32_e32 v30, 0xc0, v63
	v_add_u32_e32 v31, s10, v30
	s_waitcnt vmcnt(7)
	v_mfma_f32_16x16x16bf16_1k v[18:21], v[42:43], v[2:3], v[18:21]
	v_ashrrev_i32_e32 v31, 5, v31
	v_cmp_gt_i32_e32 vcc, s33, v30
	v_cndmask_b32_e32 v30, v66, v31, vcc
	global_load_dwordx4 v[66:69], v[48:49], off
	v_ashrrev_i32_e32 v31, 31, v30
	v_lshlrev_b64 v[30:31], 2, v[30:31]
	v_mov_b32_e32 v38, s17
	v_mfma_f32_16x16x16bf16_1k v[18:21], v[44:45], v[4:5], v[18:21]
	v_add_co_u32_e32 v30, vcc, s16, v30
	v_addc_co_u32_e32 v31, vcc, v38, v31, vcc
	global_load_dword v63, v[30:31], off
	s_waitcnt vmcnt(8)
	v_mfma_f32_16x16x16bf16_1k v[18:21], v[22:23], v[10:11], v[18:21]
	v_add_co_u32_e32 v22, vcc, v64, v62
	v_addc_co_u32_e32 v23, vcc, 0, v65, vcc
	global_load_dwordx4 v[88:91], v[22:23], off
	v_and_b32_e32 v22, 16, v0
	v_lshlrev_b32_e32 v22, 1, v22
	v_mfma_f32_16x16x16bf16_1k v[18:21], v[24:25], v[12:13], v[18:21]
	v_mov_b32_e32 v23, s3
	v_add_co_u32_e32 v80, vcc, s2, v22
	v_addc_co_u32_e32 v81, vcc, 0, v23, vcc
	v_add_co_u32_e32 v22, vcc, v80, v82
	s_waitcnt vmcnt(8)
	v_mfma_f32_16x16x16bf16_1k v[18:21], v[26:27], v[50:51], v[18:21]
	v_addc_co_u32_e32 v23, vcc, 0, v81, vcc
	v_mfma_f32_16x16x16bf16_1k v[76:79], v[28:29], v[52:53], v[18:21]
	s_waitcnt vmcnt(5)
	s_nop 7
	v_mad_i64_i32 v[18:19], s[2:3], v46, s1, 0
	v_lshlrev_b64 v[70:71], 1, v[18:19]
	v_mfma_f32_16x16x16bf16_1k v[18:21], v[34:35], v[6:7], 0
	v_add_co_u32_e32 v6, vcc, v22, v70
	v_addc_co_u32_e32 v7, vcc, v23, v71, vcc
	global_load_dwordx4 v[46:49], v[6:7], off
	global_load_dwordx4 v[42:45], v[6:7], off offset:16
	v_pk_mul_f32 v[78:79], s[0:1], v[78:79] op_sel_hi:[0,1]
	s_waitcnt vmcnt(6)
	v_mad_i64_i32 v[6:7], s[2:3], v32, s1, 0
	v_lshlrev_b64 v[72:73], 1, v[6:7]
	v_mfma_f32_16x16x16bf16_1k v[6:9], v[36:37], v[8:9], v[18:21]
	v_mfma_f32_16x16x16bf16_1k v[6:9], v[14:15], v[2:3], v[6:9]
	s_nop 5
	v_add_co_u32_e32 v18, vcc, v22, v72
	v_addc_co_u32_e32 v19, vcc, v23, v73, vcc
	global_load_dwordx4 v[38:41], v[18:19], off
	global_load_dwordx4 v[34:37], v[18:19], off offset:16
	s_waitcnt vmcnt(7)
	v_mad_i64_i32 v[18:19], s[2:3], v33, s1, 0
	v_lshlrev_b64 v[64:65], 1, v[18:19]
	v_add_co_u32_e32 v2, vcc, v22, v64
	v_addc_co_u32_e32 v3, vcc, v23, v65, vcc
	global_load_dwordx4 v[30:33], v[2:3], off
	global_load_dwordx4 v[26:29], v[2:3], off offset:16
	v_mfma_f32_16x16x16bf16_1k v[2:5], v[16:17], v[4:5], v[6:9]
	s_waitcnt vmcnt(8)
	v_mfma_f32_16x16x16bf16_1k v[2:5], v[66:67], v[10:11], v[2:5]
	s_waitcnt vmcnt(7)
	s_nop 3
	v_mad_i64_i32 v[6:7], s[2:3], v63, s1, 0
	v_lshlrev_b64 v[62:63], 1, v[6:7]
	v_add_co_u32_e32 v6, vcc, v22, v62
	v_addc_co_u32_e32 v7, vcc, v23, v63, vcc
	v_mfma_f32_16x16x16bf16_1k v[10:13], v[68:69], v[12:13], v[2:5]
	global_load_dwordx4 v[22:25], v[6:7], off
	global_load_dwordx4 v[18:21], v[6:7], off offset:16
	v_or_b32_e32 v6, 0x1000, v82
	v_add_co_u32_e32 v86, vcc, v80, v6
	v_addc_co_u32_e32 v74, vcc, 0, v81, vcc
	s_nop 1
	v_add_co_u32_e32 v2, vcc, v86, v70
	s_waitcnt vmcnt(8)
	v_mfma_f32_16x16x16bf16_1k v[92:95], v[88:89], v[50:51], v[10:13]
	v_addc_co_u32_e32 v3, vcc, v74, v71, vcc
	v_add_co_u32_e32 v66, vcc, v86, v72
	v_addc_co_u32_e32 v67, vcc, v74, v73, vcc
	v_pk_mul_f32 v[72:73], s[0:1], v[76:77] op_sel_hi:[0,1]
	v_mfma_f32_16x16x16bf16_1k v[50:53], v[90:91], v[52:53], v[92:95]
	global_load_dwordx4 v[6:9], v[2:3], off
	s_nop 0
	global_load_dwordx4 v[2:5], v[2:3], off offset:16
	s_nop 0
	global_load_dwordx4 v[14:17], v[66:67], off
	global_load_dwordx4 v[10:13], v[66:67], off offset:16
	v_pk_mul_f32 v[68:69], s[0:1], v[54:55] op_sel_hi:[0,1]
	v_pk_mul_f32 v[80:81], s[0:1], v[56:57] op_sel_hi:[0,1]
	;; [unrolled: 1-line block ×4, first 2 shown]
	s_nop 0
	v_pk_mul_f32 v[76:77], s[0:1], v[50:51] op_sel_hi:[0,1]
	v_and_b32_e32 v50, 0xc0, v0
	v_add_u32_e32 v50, s9, v50
	v_lshl_or_b32 v50, v1, 2, v50
	v_pk_mul_f32 v[66:67], s[0:1], v[52:53] op_sel_hi:[0,1]
	v_or_b32_e32 v53, 1, v50
	v_mov_b32_e32 v51, 0xff7fffff
	v_cmp_gt_i32_e64 s[28:29], s33, v50
	v_cmp_gt_i32_e64 s[30:31], s33, v53
	v_cndmask_b32_e64 v52, v51, v68, s[28:29]
	v_cndmask_b32_e64 v53, v51, v69, s[30:31]
	v_max3_f32 v52, v52, s41, v53
	v_or_b32_e32 v53, 2, v50
	v_or_b32_e32 v54, 3, v50
	v_cmp_gt_i32_e64 s[34:35], s33, v53
	v_cmp_gt_i32_e64 s[36:37], s33, v54
	v_cndmask_b32_e64 v53, v51, v80, s[34:35]
	v_cndmask_b32_e64 v54, v51, v81, s[36:37]
	v_max3_f32 v52, v52, v53, v54
	v_or_b32_e32 v53, 16, v50
	v_or_b32_e32 v54, 17, v50
	;; [unrolled: 7-line block ×7, first 2 shown]
	v_cmp_gt_i32_e32 vcc, s33, v53
	v_cmp_gt_i32_e64 s[0:1], s33, v50
	v_cndmask_b32_e32 v53, v51, v66, vcc
	v_cndmask_b32_e64 v50, v51, v67, s[0:1]
	v_max3_f32 v58, v52, v53, v50
	v_mbcnt_lo_u32_b32 v50, -1, 0
	v_mbcnt_hi_u32_b32 v59, -1, v50
	v_and_b32_e32 v50, 64, v59
	v_add_u32_e32 v60, 64, v50
	v_xor_b32_e32 v50, 32, v59
	v_cmp_lt_i32_e64 s[38:39], v50, v60
	v_cndmask_b32_e64 v50, v59, v50, s[38:39]
	v_lshlrev_b32_e32 v75, 2, v50
	ds_bpermute_b32 v61, v75, v58
	v_add_co_u32_e64 v50, s[38:39], v86, v64
	v_addc_co_u32_e64 v51, s[38:39], v74, v65, s[38:39]
	s_waitcnt lgkmcnt(0)
	v_max_f32_e32 v61, v61, v61
	v_max_f32_e32 v61, v58, v61
	v_xor_b32_e32 v58, 16, v59
	v_cmp_lt_i32_e64 s[38:39], v58, v60
	v_cndmask_b32_e64 v58, v59, v58, s[38:39]
	v_lshlrev_b32_e32 v90, 2, v58
	ds_bpermute_b32 v60, v90, v61
	v_add_co_u32_e64 v58, s[38:39], v86, v62
	v_addc_co_u32_e64 v59, s[38:39], v74, v63, s[38:39]
	s_waitcnt lgkmcnt(0)
	v_max_f32_e32 v60, v60, v60
	v_max_f32_e32 v88, v61, v60
	v_sub_f32_e32 v60, v68, v88
	v_mul_f32_e32 v60, 0x3fb8aa3b, v60
	v_exp_f32_e32 v68, v60
	v_sub_f32_e32 v60, v69, v88
	v_mul_f32_e32 v60, 0x3fb8aa3b, v60
	global_load_dwordx4 v[54:57], v[50:51], off
	s_nop 0
	global_load_dwordx4 v[50:53], v[50:51], off offset:16
	v_exp_f32_e32 v69, v60
	global_load_dwordx4 v[62:65], v[58:59], off
	s_nop 0
	global_load_dwordx4 v[58:61], v[58:59], off offset:16
	v_sub_f32_e32 v80, v80, v88
	v_mul_f32_e32 v80, 0x3fb8aa3b, v80
	v_sub_f32_e32 v81, v81, v88
	v_exp_f32_e32 v80, v80
	v_mul_f32_e32 v81, 0x3fb8aa3b, v81
	v_sub_f32_e32 v70, v70, v88
	v_exp_f32_e32 v81, v81
	v_mul_f32_e32 v70, 0x3fb8aa3b, v70
	v_sub_f32_e32 v71, v71, v88
	v_cndmask_b32_e64 v68, 0, v68, s[28:29]
	v_exp_f32_e32 v70, v70
	v_mul_f32_e32 v71, 0x3fb8aa3b, v71
	v_sub_f32_e32 v82, v82, v88
	v_add_f32_e32 v74, 0, v68
	v_cndmask_b32_e64 v69, 0, v69, s[30:31]
	v_exp_f32_e32 v71, v71
	v_mul_f32_e32 v82, 0x3fb8aa3b, v82
	v_sub_f32_e32 v83, v83, v88
	v_add_f32_e32 v74, v74, v69
	;; [unrolled: 5-line block ×10, first 2 shown]
	v_cndmask_b32_e64 v78, 0, v78, s[10:11]
	v_exp_f32_e32 v66, v66
	v_mul_f32_e32 v67, 0x3fb8aa3b, v67
	v_add_f32_e32 v74, v74, v78
	v_cndmask_b32_e64 v79, 0, v79, s[12:13]
	v_exp_f32_e32 v67, v67
	v_add_f32_e32 v74, v74, v79
	v_cndmask_b32_e64 v76, 0, v76, s[2:3]
	v_add_f32_e32 v74, v74, v76
	v_cndmask_b32_e64 v77, 0, v77, s[8:9]
	v_add_f32_e32 v74, v74, v77
	v_cndmask_b32_e32 v66, 0, v66, vcc
	v_add_f32_e32 v74, v74, v66
	v_cndmask_b32_e64 v67, 0, v67, s[0:1]
	v_add_f32_e32 v74, v74, v67
	ds_bpermute_b32 v75, v75, v74
	s_waitcnt lgkmcnt(0)
	s_barrier
	v_add_f32_e32 v89, v74, v75
	ds_bpermute_b32 v90, v90, v89
	v_and_b32_e32 v74, 63, v0
	v_cmp_gt_u32_e64 s[0:1], 16, v74
	s_and_saveexec_b64 s[2:3], s[0:1]
	s_cbranch_execz .LBB376_15
; %bb.14:
	s_waitcnt lgkmcnt(0)
	v_add_f32_e32 v74, v89, v90
	v_lshlrev_b32_e32 v75, 2, v87
	ds_write2st64_b32 v75, v88, v74 offset1:1
.LBB376_15:
	s_or_b64 exec, exec, s[2:3]
	v_lshlrev_b32_e32 v74, 2, v84
	s_load_dword s8, s[4:5], 0x94
	s_waitcnt lgkmcnt(0)
	s_barrier
	ds_read2_b32 v[88:89], v74 offset1:16
	ds_read2_b32 v[90:91], v74 offset0:32 offset1:48
	ds_read2_b32 v[92:93], v74 offset0:64 offset1:80
	s_movk_i32 s10, 0x7fff
	s_mov_b32 s11, 0x7060302
	s_waitcnt lgkmcnt(2)
	v_max3_f32 v75, v88, s41, v89
	s_waitcnt lgkmcnt(1)
	v_max3_f32 v86, v75, v90, v91
	v_sub_f32_e32 v75, v88, v86
	v_sub_f32_e32 v87, v89, v86
	v_mul_f32_e32 v75, 0x3fb8aa3b, v75
	v_mul_f32_e32 v87, 0x3fb8aa3b, v87
	v_exp_f32_e32 v75, v75
	v_exp_f32_e32 v94, v87
	v_sub_f32_e32 v87, v90, v86
	v_mul_f32_e32 v87, 0x3fb8aa3b, v87
	ds_read2_b32 v[88:89], v74 offset0:96 offset1:112
	v_sub_f32_e32 v74, v91, v86
	v_exp_f32_e32 v90, v87
	v_mul_f32_e32 v74, 0x3fb8aa3b, v74
	v_exp_f32_e32 v74, v74
	s_waitcnt lgkmcnt(1)
	v_fma_f32 v87, v75, v92, 0
	v_fmac_f32_e32 v87, v94, v93
	s_waitcnt lgkmcnt(0)
	v_fmac_f32_e32 v87, v90, v88
	v_fmac_f32_e32 v87, v74, v89
	v_add_f32_e32 v88, 0x358637bd, v87
	v_div_scale_f32 v89, s[2:3], v88, v88, 1.0
	v_rcp_f32_e32 v91, v89
	s_barrier
	v_fma_f32 v92, -v89, v91, 1.0
	v_fmac_f32_e32 v91, v92, v91
	v_div_scale_f32 v92, vcc, 1.0, v88, 1.0
	v_mul_f32_e32 v93, v92, v91
	v_fma_f32 v95, -v89, v93, v92
	v_fmac_f32_e32 v93, v95, v91
	v_fma_f32 v89, -v89, v93, v92
	v_div_fmas_f32 v89, v89, v91, v93
	v_cmp_eq_u32_e32 vcc, 1, v85
	v_cndmask_b32_e32 v75, v75, v94, vcc
	v_cmp_eq_u32_e32 vcc, 2, v85
	v_cndmask_b32_e32 v75, v75, v90, vcc
	v_cmp_eq_u32_e32 vcc, 3, v85
	v_div_fixup_f32 v88, v89, v88, 1.0
	v_cndmask_b32_e32 v74, v75, v74, vcc
	v_mul_f32_e32 v88, v74, v88
	v_pk_mul_f32 v[68:69], v[88:89], v[68:69] op_sel_hi:[0,1]
	v_bfe_u32 v74, v69, 16, 1
	v_bfe_u32 v75, v68, 16, 1
	v_pk_mul_f32 v[80:81], v[88:89], v[80:81] op_sel_hi:[0,1]
	v_add3_u32 v68, v68, v75, s10
	v_add3_u32 v69, v69, v74, s10
	v_perm_b32 v90, v69, v68, s11
	v_bfe_u32 v68, v81, 16, 1
	v_bfe_u32 v69, v80, 16, 1
	v_add3_u32 v69, v80, v69, s10
	v_add3_u32 v68, v81, v68, s10
	v_perm_b32 v91, v68, v69, s11
	v_lshlrev_b32_e32 v69, 3, v1
	v_lshlrev_b32_e32 v68, 5, v84
	;; [unrolled: 1-line block ×3, first 2 shown]
	v_pk_mul_f32 v[70:71], v[88:89], v[70:71] op_sel_hi:[0,1]
	v_or3_b32 v80, v74, v68, v69
	v_bfe_u32 v69, v71, 16, 1
	v_bfe_u32 v74, v70, 16, 1
	v_pk_mul_f32 v[82:83], v[88:89], v[82:83] op_sel_hi:[0,1]
	v_add3_u32 v70, v70, v74, s10
	v_add3_u32 v69, v71, v69, s10
	v_perm_b32 v70, v69, v70, s11
	v_bfe_u32 v69, v83, 16, 1
	v_bfe_u32 v71, v82, 16, 1
	v_add3_u32 v71, v82, v71, s10
	v_add3_u32 v69, v83, v69, s10
	v_pk_mul_f32 v[72:73], v[88:89], v[72:73] op_sel_hi:[0,1]
	v_perm_b32 v71, v69, v71, s11
	v_bfe_u32 v69, v73, 16, 1
	v_bfe_u32 v74, v72, 16, 1
	ds_write2st64_b64 v80, v[90:91], v[70:71] offset1:1
	v_pk_mul_f32 v[70:71], v[88:89], v[78:79] op_sel_hi:[0,1]
	v_add3_u32 v72, v72, v74, s10
	v_add3_u32 v69, v73, v69, s10
	v_perm_b32 v72, v69, v72, s11
	v_bfe_u32 v69, v71, 16, 1
	v_bfe_u32 v73, v70, 16, 1
	v_add3_u32 v70, v70, v73, s10
	v_add3_u32 v69, v71, v69, s10
	v_perm_b32 v73, v69, v70, s11
	v_pk_mul_f32 v[70:71], v[88:89], v[76:77] op_sel_hi:[0,1]
	v_bfe_u32 v69, v71, 16, 1
	v_bfe_u32 v74, v70, 16, 1
	v_pk_mul_f32 v[66:67], v[88:89], v[66:67] op_sel_hi:[0,1]
	v_add3_u32 v70, v70, v74, s10
	v_add3_u32 v69, v71, v69, s10
	v_perm_b32 v70, v69, v70, s11
	v_bfe_u32 v69, v67, 16, 1
	v_bfe_u32 v71, v66, 16, 1
	v_add3_u32 v66, v66, v71, s10
	v_add3_u32 v67, v67, v69, s10
	s_mul_i32 s9, s40, 13
	v_perm_b32 v71, v67, v66, s11
	v_cmp_gt_u32_e32 vcc, 13, v0
	ds_write2st64_b64 v80, v[72:73], v[70:71] offset0:2 offset1:3
	s_and_saveexec_b64 s[2:3], vcc
	s_cbranch_execz .LBB376_17
; %bb.16:
	v_add_co_u32_e32 v70, vcc, s27, v84
	v_addc_co_u32_e64 v71, s[16:17], 0, 0, vcc
	v_mov_b32_e32 v66, s9
	v_mov_b32_e32 v67, 0
	v_mad_u64_u32 v[70:71], s[16:17], s6, v66, v[70:71]
	v_mov_b32_e32 v66, s26
	s_load_dwordx4 s[12:15], s[4:5], 0x58
	s_mul_i32 s7, s7, s9
	v_mad_u64_u32 v[66:67], s[16:17], v70, s8, v[66:67]
	v_add_u32_e32 v69, s7, v71
	v_mov_b32_e32 v70, v67
	v_mad_u64_u32 v[70:71], s[16:17], v69, s8, v[70:71]
	v_mov_b32_e32 v67, v70
	v_lshlrev_b64 v[66:67], 2, v[66:67]
	s_waitcnt lgkmcnt(0)
	v_mov_b32_e32 v69, s15
	v_add_co_u32_e32 v70, vcc, s14, v66
	v_addc_co_u32_e32 v71, vcc, v69, v67, vcc
	v_mov_b32_e32 v69, s13
	v_add_co_u32_e32 v66, vcc, s12, v66
	v_addc_co_u32_e32 v67, vcc, v69, v67, vcc
	global_store_dword v[70:71], v86, off
	global_store_dword v[66:67], v87, off
.LBB376_17:
	s_or_b64 exec, exec, s[2:3]
	v_lshl_or_b32 v74, v1, 9, v68
	s_waitcnt lgkmcnt(0)
	s_barrier
	ds_read_b128 v[70:73], v74
	ds_read_b128 v[66:69], v74 offset:16
	s_waitcnt vmcnt(15) lgkmcnt(1)
	v_mfma_f32_16x16x16bf16_1k v[76:79], v[46:47], v[70:71], 0
	s_mov_b32 s3, 0
	v_cmp_gt_u32_e32 vcc, 64, v0
	v_mfma_f32_16x16x16bf16_1k v[46:49], v[48:49], v[72:73], v[76:79]
	s_waitcnt vmcnt(14) lgkmcnt(0)
	v_mfma_f32_16x16x16bf16_1k v[46:49], v[42:43], v[66:67], v[46:49]
	v_mfma_f32_16x16x16bf16_1k v[42:45], v[44:45], v[68:69], v[46:49]
	s_nop 7
	s_nop 1
	ds_read_b128 v[46:49], v74 offset:2048
	ds_read_b128 v[76:79], v74 offset:2064
	s_waitcnt vmcnt(13) lgkmcnt(1)
	v_mfma_f32_16x16x16bf16_1k v[42:45], v[38:39], v[46:47], v[42:45]
	v_mfma_f32_16x16x16bf16_1k v[38:41], v[40:41], v[48:49], v[42:45]
	s_waitcnt vmcnt(12) lgkmcnt(0)
	v_mfma_f32_16x16x16bf16_1k v[38:41], v[34:35], v[76:77], v[38:41]
	v_mfma_f32_16x16x16bf16_1k v[34:37], v[36:37], v[78:79], v[38:41]
	s_nop 7
	s_nop 1
	ds_read_b128 v[38:41], v74 offset:4096
	ds_read_b128 v[42:45], v74 offset:4112
	s_waitcnt vmcnt(11) lgkmcnt(1)
	v_mfma_f32_16x16x16bf16_1k v[34:37], v[30:31], v[38:39], v[34:37]
	v_mfma_f32_16x16x16bf16_1k v[30:33], v[32:33], v[40:41], v[34:37]
	s_waitcnt vmcnt(10) lgkmcnt(0)
	v_mfma_f32_16x16x16bf16_1k v[30:33], v[26:27], v[42:43], v[30:33]
	v_mfma_f32_16x16x16bf16_1k v[26:29], v[28:29], v[44:45], v[30:33]
	s_nop 7
	s_nop 1
	ds_read_b128 v[30:33], v74 offset:6144
	ds_read_b128 v[34:37], v74 offset:6160
	s_waitcnt lgkmcnt(0)
	s_barrier
	s_waitcnt vmcnt(9)
	v_mfma_f32_16x16x16bf16_1k v[26:29], v[22:23], v[30:31], v[26:29]
	v_mfma_f32_16x16x16bf16_1k v[22:25], v[24:25], v[32:33], v[26:29]
	s_waitcnt vmcnt(8)
	v_mfma_f32_16x16x16bf16_1k v[22:25], v[18:19], v[34:35], v[22:25]
	v_mfma_f32_16x16x16bf16_1k v[18:21], v[20:21], v[36:37], v[22:25]
	;; [unrolled: 3-line block ×4, first 2 shown]
	s_waitcnt vmcnt(5)
	v_mfma_f32_16x16x16bf16_1k v[2:5], v[14:15], v[46:47], v[2:5]
	s_nop 7
	v_bfe_u32 v6, v19, 16, 1
	v_bfe_u32 v7, v18, 16, 1
	v_add3_u32 v7, v18, v7, s10
	v_add3_u32 v6, v19, v6, s10
	v_perm_b32 v6, v6, v7, s11
	v_bfe_u32 v7, v21, 16, 1
	v_bfe_u32 v8, v20, 16, 1
	v_mfma_f32_16x16x16bf16_1k v[2:5], v[16:17], v[48:49], v[2:5]
	v_add3_u32 v8, v20, v8, s10
	v_add3_u32 v7, v21, v7, s10
	v_perm_b32 v7, v7, v8, s11
	s_waitcnt vmcnt(4)
	v_mfma_f32_16x16x16bf16_1k v[2:5], v[10:11], v[76:77], v[2:5]
	v_mfma_f32_16x16x16bf16_1k v[2:5], v[12:13], v[78:79], v[2:5]
	s_waitcnt vmcnt(3)
	v_mfma_f32_16x16x16bf16_1k v[2:5], v[54:55], v[38:39], v[2:5]
	v_mfma_f32_16x16x16bf16_1k v[2:5], v[56:57], v[40:41], v[2:5]
	;; [unrolled: 3-line block ×5, first 2 shown]
	s_nop 7
	s_nop 2
	v_bfe_u32 v8, v3, 16, 1
	v_bfe_u32 v9, v2, 16, 1
	v_add3_u32 v2, v2, v9, s10
	v_add3_u32 v3, v3, v8, s10
	v_perm_b32 v2, v3, v2, s11
	v_bfe_u32 v3, v5, 16, 1
	v_bfe_u32 v8, v4, 16, 1
	v_add3_u32 v4, v4, v8, s10
	v_add3_u32 v3, v5, v3, s10
	v_perm_b32 v3, v3, v4, s11
	ds_write2st64_b64 v80, v[6:7], v[2:3] offset1:1
	s_waitcnt lgkmcnt(0)
	s_barrier
	s_and_saveexec_b64 s[10:11], vcc
	s_cbranch_execz .LBB376_20
; %bb.18:
	v_lshlrev_b32_e32 v4, 6, v84
	v_lshlrev_b32_e32 v3, 4, v0
	v_lshl_or_b32 v0, v0, 10, v4
	v_lshlrev_b32_e32 v2, 5, v1
	v_and_b32_e32 v3, 16, v3
	v_and_b32_e32 v0, 0x1a00, v0
	v_or3_b32 v0, v0, v2, v3
	ds_read_b128 v[4:7], v0 offset:256
	buffer_load_dword v8, off, s[44:47], 0  ; 4-byte Folded Reload
	buffer_load_dword v9, off, s[44:47], 0 offset:4 ; 4-byte Folded Reload
	s_load_dwordx2 s[10:11], s[4:5], 0x68
	s_lshl_b32 s4, s8, 7
	s_mul_i32 s2, s9, s6
	s_mul_hi_u32 s7, s2, s4
	s_mul_i32 s6, s2, s4
	s_lshl_b64 s[6:7], s[6:7], 1
	s_waitcnt lgkmcnt(0)
	s_add_u32 s5, s10, s6
	s_addc_u32 s6, s11, s7
	s_lshl_b32 s2, s26, 7
	s_lshl_b64 s[2:3], s[2:3], 1
	s_add_u32 s2, s5, s2
	s_addc_u32 s3, s6, s3
	v_mov_b32_e32 v3, s3
	v_add_u32_e32 v18, s27, v1
	s_waitcnt vmcnt(1)
	v_add_co_u32_e32 v2, vcc, s2, v8
	s_waitcnt vmcnt(0)
	v_addc_co_u32_e32 v3, vcc, v3, v9, vcc
	ds_read_b128 v[8:11], v0 offset:128
	ds_read_b128 v[12:15], v0
	v_mad_u64_u32 v[16:17], s[2:3], v18, s4, 0
	v_lshlrev_b64 v[16:17], 1, v[16:17]
	v_add_co_u32_e32 v16, vcc, v2, v16
	v_addc_co_u32_e32 v17, vcc, v3, v17, vcc
	s_waitcnt lgkmcnt(0)
	global_store_dwordx4 v[16:17], v[12:15], off
	s_nop 0
	v_add_u32_e32 v12, 4, v18
	v_mad_u64_u32 v[12:13], s[2:3], v12, s4, 0
	v_lshlrev_b64 v[12:13], 1, v[12:13]
	v_add_co_u32_e32 v12, vcc, v2, v12
	v_addc_co_u32_e32 v13, vcc, v3, v13, vcc
	global_store_dwordx4 v[12:13], v[8:11], off
	s_nop 0
	v_add_u32_e32 v8, 8, v18
	v_mad_u64_u32 v[8:9], s[2:3], v8, s4, 0
	v_lshlrev_b64 v[8:9], 1, v[8:9]
	v_add_co_u32_e32 v8, vcc, v2, v8
	v_addc_co_u32_e32 v9, vcc, v3, v9, vcc
	global_store_dwordx4 v[8:9], v[4:7], off
	s_and_b64 exec, exec, s[0:1]
	s_cbranch_execz .LBB376_20
; %bb.19:
	ds_read_b128 v[4:7], v0 offset:384
	v_add3_u32 v0, s27, v1, 12
	v_mad_u64_u32 v[0:1], s[0:1], v0, s4, 0
	v_lshlrev_b64 v[0:1], 1, v[0:1]
	v_add_co_u32_e32 v0, vcc, v2, v0
	v_addc_co_u32_e32 v1, vcc, v3, v1, vcc
	s_waitcnt lgkmcnt(0)
	global_store_dwordx4 v[0:1], v[4:7], off
.LBB376_20:
	s_endpgm
	.section	.rodata,"a",@progbits
	.p2align	6, 0x0
	.amdhsa_kernel _Z39paged_attention_ll4mi_QKV_mfma16_kernelI14__hip_bfloat16S0_LN4vllm18Fp8KVCacheDataTypeE0ES0_Li32ELi128ELi256ELb0ELi13EL8MFMAType0EEvPKT_PKT0_S9_ifPKiSB_SB_iPKfiiiPfSE_PS4_PT2_iSD_SD_
		.amdhsa_group_segment_fixed_size 8192
		.amdhsa_private_segment_fixed_size 12
		.amdhsa_kernarg_size 400
		.amdhsa_user_sgpr_count 6
		.amdhsa_user_sgpr_private_segment_buffer 1
		.amdhsa_user_sgpr_dispatch_ptr 0
		.amdhsa_user_sgpr_queue_ptr 0
		.amdhsa_user_sgpr_kernarg_segment_ptr 1
		.amdhsa_user_sgpr_dispatch_id 0
		.amdhsa_user_sgpr_flat_scratch_init 0
		.amdhsa_user_sgpr_kernarg_preload_length 0
		.amdhsa_user_sgpr_kernarg_preload_offset 0
		.amdhsa_user_sgpr_private_segment_size 0
		.amdhsa_uses_dynamic_stack 0
		.amdhsa_system_sgpr_private_segment_wavefront_offset 1
		.amdhsa_system_sgpr_workgroup_id_x 1
		.amdhsa_system_sgpr_workgroup_id_y 1
		.amdhsa_system_sgpr_workgroup_id_z 1
		.amdhsa_system_sgpr_workgroup_info 0
		.amdhsa_system_vgpr_workitem_id 0
		.amdhsa_next_free_vgpr 96
		.amdhsa_next_free_sgpr 48
		.amdhsa_accum_offset 96
		.amdhsa_reserve_vcc 1
		.amdhsa_reserve_flat_scratch 0
		.amdhsa_float_round_mode_32 0
		.amdhsa_float_round_mode_16_64 0
		.amdhsa_float_denorm_mode_32 3
		.amdhsa_float_denorm_mode_16_64 3
		.amdhsa_dx10_clamp 1
		.amdhsa_ieee_mode 1
		.amdhsa_fp16_overflow 0
		.amdhsa_tg_split 0
		.amdhsa_exception_fp_ieee_invalid_op 0
		.amdhsa_exception_fp_denorm_src 0
		.amdhsa_exception_fp_ieee_div_zero 0
		.amdhsa_exception_fp_ieee_overflow 0
		.amdhsa_exception_fp_ieee_underflow 0
		.amdhsa_exception_fp_ieee_inexact 0
		.amdhsa_exception_int_div_zero 0
	.end_amdhsa_kernel
	.section	.text._Z39paged_attention_ll4mi_QKV_mfma16_kernelI14__hip_bfloat16S0_LN4vllm18Fp8KVCacheDataTypeE0ES0_Li32ELi128ELi256ELb0ELi13EL8MFMAType0EEvPKT_PKT0_S9_ifPKiSB_SB_iPKfiiiPfSE_PS4_PT2_iSD_SD_,"axG",@progbits,_Z39paged_attention_ll4mi_QKV_mfma16_kernelI14__hip_bfloat16S0_LN4vllm18Fp8KVCacheDataTypeE0ES0_Li32ELi128ELi256ELb0ELi13EL8MFMAType0EEvPKT_PKT0_S9_ifPKiSB_SB_iPKfiiiPfSE_PS4_PT2_iSD_SD_,comdat
.Lfunc_end376:
	.size	_Z39paged_attention_ll4mi_QKV_mfma16_kernelI14__hip_bfloat16S0_LN4vllm18Fp8KVCacheDataTypeE0ES0_Li32ELi128ELi256ELb0ELi13EL8MFMAType0EEvPKT_PKT0_S9_ifPKiSB_SB_iPKfiiiPfSE_PS4_PT2_iSD_SD_, .Lfunc_end376-_Z39paged_attention_ll4mi_QKV_mfma16_kernelI14__hip_bfloat16S0_LN4vllm18Fp8KVCacheDataTypeE0ES0_Li32ELi128ELi256ELb0ELi13EL8MFMAType0EEvPKT_PKT0_S9_ifPKiSB_SB_iPKfiiiPfSE_PS4_PT2_iSD_SD_
                                        ; -- End function
	.section	.AMDGPU.csdata,"",@progbits
; Kernel info:
; codeLenInByte = 5172
; NumSgprs: 52
; NumVgprs: 96
; NumAgprs: 0
; TotalNumVgprs: 96
; ScratchSize: 12
; MemoryBound: 0
; FloatMode: 240
; IeeeMode: 1
; LDSByteSize: 8192 bytes/workgroup (compile time only)
; SGPRBlocks: 6
; VGPRBlocks: 11
; NumSGPRsForWavesPerEU: 52
; NumVGPRsForWavesPerEU: 96
; AccumOffset: 96
; Occupancy: 5
; WaveLimiterHint : 1
; COMPUTE_PGM_RSRC2:SCRATCH_EN: 1
; COMPUTE_PGM_RSRC2:USER_SGPR: 6
; COMPUTE_PGM_RSRC2:TRAP_HANDLER: 0
; COMPUTE_PGM_RSRC2:TGID_X_EN: 1
; COMPUTE_PGM_RSRC2:TGID_Y_EN: 1
; COMPUTE_PGM_RSRC2:TGID_Z_EN: 1
; COMPUTE_PGM_RSRC2:TIDIG_COMP_CNT: 0
; COMPUTE_PGM_RSRC3_GFX90A:ACCUM_OFFSET: 23
; COMPUTE_PGM_RSRC3_GFX90A:TG_SPLIT: 0
	.section	.text._Z39paged_attention_ll4mi_QKV_mfma16_kernelI14__hip_bfloat16S0_LN4vllm18Fp8KVCacheDataTypeE0ES0_Li32ELi128ELi256ELb0ELi14EL8MFMAType0EEvPKT_PKT0_S9_ifPKiSB_SB_iPKfiiiPfSE_PS4_PT2_iSD_SD_,"axG",@progbits,_Z39paged_attention_ll4mi_QKV_mfma16_kernelI14__hip_bfloat16S0_LN4vllm18Fp8KVCacheDataTypeE0ES0_Li32ELi128ELi256ELb0ELi14EL8MFMAType0EEvPKT_PKT0_S9_ifPKiSB_SB_iPKfiiiPfSE_PS4_PT2_iSD_SD_,comdat
	.protected	_Z39paged_attention_ll4mi_QKV_mfma16_kernelI14__hip_bfloat16S0_LN4vllm18Fp8KVCacheDataTypeE0ES0_Li32ELi128ELi256ELb0ELi14EL8MFMAType0EEvPKT_PKT0_S9_ifPKiSB_SB_iPKfiiiPfSE_PS4_PT2_iSD_SD_ ; -- Begin function _Z39paged_attention_ll4mi_QKV_mfma16_kernelI14__hip_bfloat16S0_LN4vllm18Fp8KVCacheDataTypeE0ES0_Li32ELi128ELi256ELb0ELi14EL8MFMAType0EEvPKT_PKT0_S9_ifPKiSB_SB_iPKfiiiPfSE_PS4_PT2_iSD_SD_
	.globl	_Z39paged_attention_ll4mi_QKV_mfma16_kernelI14__hip_bfloat16S0_LN4vllm18Fp8KVCacheDataTypeE0ES0_Li32ELi128ELi256ELb0ELi14EL8MFMAType0EEvPKT_PKT0_S9_ifPKiSB_SB_iPKfiiiPfSE_PS4_PT2_iSD_SD_
	.p2align	8
	.type	_Z39paged_attention_ll4mi_QKV_mfma16_kernelI14__hip_bfloat16S0_LN4vllm18Fp8KVCacheDataTypeE0ES0_Li32ELi128ELi256ELb0ELi14EL8MFMAType0EEvPKT_PKT0_S9_ifPKiSB_SB_iPKfiiiPfSE_PS4_PT2_iSD_SD_,@function
_Z39paged_attention_ll4mi_QKV_mfma16_kernelI14__hip_bfloat16S0_LN4vllm18Fp8KVCacheDataTypeE0ES0_Li32ELi128ELi256ELb0ELi14EL8MFMAType0EEvPKT_PKT0_S9_ifPKiSB_SB_iPKfiiiPfSE_PS4_PT2_iSD_SD_: ; @_Z39paged_attention_ll4mi_QKV_mfma16_kernelI14__hip_bfloat16S0_LN4vllm18Fp8KVCacheDataTypeE0ES0_Li32ELi128ELi256ELb0ELi14EL8MFMAType0EEvPKT_PKT0_S9_ifPKiSB_SB_iPKfiiiPfSE_PS4_PT2_iSD_SD_
; %bb.0:
	s_mov_b64 s[46:47], s[2:3]
	s_mov_b64 s[44:45], s[0:1]
	s_load_dwordx2 s[0:1], s[4:5], 0x30
	s_add_u32 s44, s44, s9
	s_addc_u32 s45, s45, 0
	s_mov_b32 s26, s7
	s_mov_b64 s[10:11], 0
	s_waitcnt lgkmcnt(0)
	s_cmp_lg_u64 s[0:1], 0
	s_cselect_b64 s[2:3], -1, 0
	s_and_b64 vcc, exec, s[2:3]
	s_cbranch_vccz .LBB377_7
; %bb.1:
	s_add_i32 s12, s6, 1
	s_mov_b32 s13, 0
	s_lshl_b64 s[14:15], s[12:13], 2
	s_add_u32 s14, s0, s14
	s_mov_b32 s7, s13
	s_addc_u32 s15, s1, s15
	s_lshl_b64 s[12:13], s[6:7], 2
	s_add_u32 s12, s0, s12
	s_addc_u32 s13, s1, s13
	s_load_dword s9, s[14:15], 0x0
	s_load_dword s16, s[12:13], 0x0
	s_waitcnt lgkmcnt(0)
	s_sub_i32 s9, s9, s16
	s_cmp_eq_u32 s9, 1
	s_cselect_b64 s[12:13], -1, 0
	s_andn2_b64 vcc, exec, s[10:11]
	s_cbranch_vccnz .LBB377_3
.LBB377_2:
	s_mov_b32 s7, 0
	s_mov_b64 s[12:13], -1
.LBB377_3:
	s_andn2_b64 vcc, exec, s[12:13]
	s_cbranch_vccnz .LBB377_20
; %bb.4:
	s_load_dwordx2 s[12:13], s[4:5], 0x28
	s_lshl_b64 s[10:11], s[6:7], 2
	s_waitcnt lgkmcnt(0)
	s_add_u32 s12, s12, s10
	s_addc_u32 s13, s13, s11
	s_load_dword s33, s[12:13], 0x0
	s_lshl_b32 s9, s26, 8
	s_waitcnt lgkmcnt(0)
	s_cmp_ge_i32 s9, s33
	s_cbranch_scc1 .LBB377_20
; %bb.5:
	s_add_i32 s15, s33, 31
	s_load_dwordx2 s[12:13], s[4:5], 0x20
	s_load_dword s14, s[4:5], 0x38
	s_ashr_i32 s16, s15, 31
	v_and_b32_e32 v1, 0xcf, v0
	s_lshr_b32 s16, s16, 27
	v_add_u32_e32 v1, s9, v1
	s_add_i32 s15, s15, s16
	v_ashrrev_i32_e32 v2, 31, v1
	s_ashr_i32 s18, s15, 5
	v_lshrrev_b32_e32 v10, 27, v2
	s_add_i32 s18, s18, -1
	v_add_u32_e32 v2, v1, v10
	s_waitcnt lgkmcnt(0)
	s_mul_i32 s14, s6, s14
	s_mov_b32 s15, 0
	v_ashrrev_i32_e32 v2, 5, v2
	v_mov_b32_e32 v11, s18
	v_cmp_gt_i32_e32 vcc, s33, v1
	s_lshl_b64 s[14:15], s[14:15], 2
	v_cndmask_b32_e32 v2, v11, v2, vcc
	s_add_u32 s16, s12, s14
	v_ashrrev_i32_e32 v3, 31, v2
	s_addc_u32 s17, s13, s15
	v_lshlrev_b64 v[2:3], 2, v[2:3]
	v_mov_b32_e32 v4, s17
	v_add_co_u32_e32 v2, vcc, s16, v2
	v_addc_co_u32_e32 v3, vcc, v4, v3, vcc
	v_or_b32_e32 v4, 16, v1
	v_add_u32_e32 v5, v4, v10
	v_ashrrev_i32_e32 v5, 5, v5
	v_cmp_gt_i32_e32 vcc, s33, v4
	v_cndmask_b32_e32 v4, v11, v5, vcc
	v_ashrrev_i32_e32 v5, 31, v4
	v_lshlrev_b64 v[4:5], 2, v[4:5]
	v_mov_b32_e32 v7, s17
	v_add_co_u32_e32 v6, vcc, s16, v4
	v_or_b32_e32 v4, 32, v1
	v_addc_co_u32_e32 v7, vcc, v7, v5, vcc
	v_add_u32_e32 v5, v4, v10
	v_ashrrev_i32_e32 v5, 5, v5
	v_cmp_gt_i32_e32 vcc, s33, v4
	v_cndmask_b32_e32 v4, v11, v5, vcc
	v_ashrrev_i32_e32 v5, 31, v4
	v_lshlrev_b64 v[4:5], 2, v[4:5]
	v_mov_b32_e32 v9, s17
	v_add_co_u32_e32 v8, vcc, s16, v4
	v_or_b32_e32 v1, 48, v1
	v_addc_co_u32_e32 v9, vcc, v9, v5, vcc
	v_add_u32_e32 v4, v1, v10
	v_ashrrev_i32_e32 v4, 5, v4
	v_cmp_gt_i32_e32 vcc, s33, v1
	v_cndmask_b32_e32 v4, v11, v4, vcc
	v_ashrrev_i32_e32 v5, 31, v4
	v_lshlrev_b64 v[4:5], 2, v[4:5]
	v_mov_b32_e32 v1, s17
	v_add_co_u32_e32 v10, vcc, s16, v4
	v_addc_co_u32_e32 v11, vcc, v1, v5, vcc
	global_load_dword v5, v[2:3], off
	global_load_dword v4, v[6:7], off
	;; [unrolled: 1-line block ×4, first 2 shown]
	s_andn2_b64 vcc, exec, s[2:3]
	s_cbranch_vccnz .LBB377_8
; %bb.6:
	s_add_u32 s0, s0, s10
	s_addc_u32 s1, s1, s11
	s_load_dword s19, s[0:1], 0x0
	s_branch .LBB377_9
.LBB377_7:
	s_mov_b64 s[12:13], 0
	s_branch .LBB377_2
.LBB377_8:
	s_mov_b32 s19, s6
.LBB377_9:
	s_load_dwordx4 s[12:15], s[4:5], 0x8
	s_load_dwordx4 s[0:3], s[4:5], 0x48
	v_lshrrev_b32_e32 v85, 6, v0
	v_bfe_u32 v1, v0, 4, 2
	v_lshl_or_b32 v6, v85, 2, v1
	v_and_b32_e32 v84, 15, v0
	v_lshlrev_b32_e32 v2, 3, v84
	v_cmp_lt_u32_e32 vcc, 13, v6
	s_and_saveexec_b64 s[10:11], vcc
	s_xor_b64 s[10:11], exec, s[10:11]
; %bb.10:
	v_mov_b32_e32 v3, 0
                                        ; implicit-def: $vgpr6
; %bb.11:
	s_or_saveexec_b64 s[10:11], s[10:11]
	s_mul_i32 s27, s8, 14
	s_xor_b64 exec, exec, s[10:11]
	s_cbranch_execz .LBB377_13
; %bb.12:
	s_load_dwordx2 s[20:21], s[4:5], 0x0
	s_waitcnt lgkmcnt(0)
	s_ashr_i32 s3, s0, 31
	s_mul_hi_u32 s22, s19, s0
	s_mul_i32 s3, s19, s3
	s_add_i32 s23, s22, s3
	s_mul_i32 s22, s19, s0
	s_lshl_b64 s[22:23], s[22:23], 1
	v_add_lshl_u32 v8, v6, s27, 7
	s_add_u32 s0, s20, s22
	v_ashrrev_i32_e32 v9, 31, v8
	s_addc_u32 s3, s21, s23
	v_lshlrev_b64 v[8:9], 1, v[8:9]
	v_mov_b32_e32 v3, s3
	v_add_co_u32_e32 v7, vcc, s0, v8
	v_addc_co_u32_e32 v3, vcc, v3, v9, vcc
	v_lshlrev_b32_e32 v8, 1, v2
	v_add_co_u32_e32 v8, vcc, v7, v8
	v_addc_co_u32_e32 v9, vcc, 0, v3, vcc
	global_load_dwordx4 v[8:11], v[8:9], off
	v_and_b32_e32 v7, 3, v0
	v_lshlrev_b32_e32 v12, 9, v84
	v_lshlrev_b32_e32 v6, 5, v6
	;; [unrolled: 1-line block ×3, first 2 shown]
	v_and_b32_e32 v12, 0x1800, v12
	v_mov_b32_e32 v3, 0
	v_or3_b32 v6, v12, v7, v6
	s_waitcnt vmcnt(0)
	ds_write_b128 v6, v[8:11]
.LBB377_13:
	s_or_b64 exec, exec, s[10:11]
	s_waitcnt lgkmcnt(0)
	s_mul_i32 s2, s8, s2
	s_mov_b32 s3, 0
	s_lshl_b64 s[2:3], s[2:3], 1
	s_add_u32 s8, s12, s2
	s_addc_u32 s10, s13, s3
	s_waitcnt vmcnt(3)
	v_mad_i64_i32 v[6:7], s[12:13], v5, s1, 0
	v_lshlrev_b64 v[6:7], 1, v[6:7]
	v_mov_b32_e32 v5, s10
	v_add_co_u32_e32 v6, vcc, s8, v6
	v_addc_co_u32_e32 v5, vcc, v5, v7, vcc
	v_lshlrev_b64 v[60:61], 1, v[2:3]
	v_add_co_u32_e32 v27, vcc, v6, v60
	v_lshlrev_b32_e32 v26, 9, v1
	v_addc_co_u32_e32 v28, vcc, v5, v61, vcc
	v_add_co_u32_e32 v2, vcc, v27, v26
	v_addc_co_u32_e32 v3, vcc, 0, v28, vcc
	s_load_dword s40, s[4:5], 0x98
	s_load_dword s0, s[4:5], 0x1c
	s_waitcnt lgkmcnt(0)
	s_barrier
	global_load_dwordx4 v[10:13], v[2:3], off
	s_waitcnt vmcnt(3)
	v_mad_i64_i32 v[4:5], s[12:13], v4, s1, 0
	v_lshlrev_b64 v[4:5], 1, v[4:5]
	v_mov_b32_e32 v6, s10
	v_add_co_u32_e32 v4, vcc, s8, v4
	v_addc_co_u32_e32 v5, vcc, v6, v5, vcc
	v_mov_b32_e32 v6, 0x100
	v_lshl_or_b32 v29, v84, 4, v6
	v_add_co_u32_e32 v30, vcc, v4, v29
	v_addc_co_u32_e32 v31, vcc, 0, v5, vcc
	v_add_co_u32_e32 v22, vcc, v30, v26
	v_addc_co_u32_e32 v23, vcc, 0, v31, vcc
	global_load_dwordx4 v[18:21], v[22:23], off
	global_load_dwordx4 v[14:17], v[2:3], off offset:2048
	v_add_u32_e32 v2, -14, v84
	v_cmp_gt_u32_e32 vcc, 14, v84
	v_cndmask_b32_e32 v2, v2, v84, vcc
	v_lshl_add_u32 v32, v2, 5, v26
	ds_read_b128 v[6:9], v32
	ds_read_b128 v[2:5], v32 offset:2048
	v_or_b32_e32 v58, 0x1000, v26
	global_load_dwordx4 v[38:41], v[22:23], off offset:2048
	v_add_co_u32_e32 v22, vcc, v27, v58
	v_addc_co_u32_e32 v23, vcc, 0, v28, vcc
	v_or_b32_e32 v62, 0x1800, v26
	s_ashr_i32 s11, s9, 31
	v_and_or_b32 v63, v0, 48, s9
	v_mov_b32_e32 v66, s18
	v_lshl_or_b32 v87, v85, 4, v84
	v_lshlrev_b32_e32 v82, 6, v87
	s_mov_b32 s41, 0xff7fffff
	s_waitcnt vmcnt(3) lgkmcnt(1)
	v_mfma_f32_16x16x16bf16_1k v[34:37], v[10:11], v[6:7], 0
	s_waitcnt vmcnt(2)
	v_mfma_f32_16x16x16bf16_1k v[42:45], v[18:19], v[6:7], 0
	v_mfma_f32_16x16x16bf16_1k v[10:13], v[12:13], v[8:9], v[34:37]
	s_nop 7
	global_load_dwordx4 v[34:37], v[22:23], off
	v_add_co_u32_e32 v22, vcc, v30, v58
	v_addc_co_u32_e32 v23, vcc, 0, v31, vcc
	v_mfma_f32_16x16x16bf16_1k v[18:21], v[20:21], v[8:9], v[42:45]
	global_load_dwordx4 v[46:49], v[22:23], off
	s_waitcnt vmcnt(3) lgkmcnt(0)
	v_mfma_f32_16x16x16bf16_1k v[42:45], v[14:15], v[2:3], v[10:13]
	s_nop 6
	v_add_co_u32_e32 v10, vcc, v27, v62
	v_addc_co_u32_e32 v11, vcc, 0, v28, vcc
	global_load_dwordx4 v[54:57], v[10:11], off
	v_mad_i64_i32 v[10:11], s[12:13], v25, s1, 0
	v_add_co_u32_e32 v30, vcc, v30, v62
	v_lshlrev_b64 v[22:23], 1, v[10:11]
	v_addc_co_u32_e32 v31, vcc, 0, v31, vcc
	v_mov_b32_e32 v25, s10
	v_add_co_u32_e32 v22, vcc, s8, v22
	v_addc_co_u32_e32 v23, vcc, v25, v23, vcc
	ds_read_b128 v[10:13], v32 offset:4096
	ds_read_b128 v[50:53], v32 offset:6144
	global_load_dwordx4 v[30:33], v[30:31], off
	v_add_co_u32_e32 v27, vcc, v22, v60
	buffer_store_dword v60, off, s[44:47], 0 ; 4-byte Folded Spill
	s_nop 0
	buffer_store_dword v61, off, s[44:47], 0 offset:4 ; 4-byte Folded Spill
	s_waitcnt vmcnt(6)
	v_mfma_f32_16x16x16bf16_1k v[18:21], v[38:39], v[2:3], v[18:21]
	v_mov_b32_e32 v28, s10
	s_lshr_b32 s10, s11, 27
	s_add_u32 s2, s14, s2
	s_addc_u32 s3, s15, s3
	v_addc_co_u32_e32 v59, vcc, v23, v61, vcc
	v_add_co_u32_e32 v22, vcc, v27, v26
	v_addc_co_u32_e32 v23, vcc, 0, v59, vcc
	v_mfma_f32_16x16x16bf16_1k v[14:17], v[16:17], v[4:5], v[42:45]
	v_mfma_f32_16x16x16bf16_1k v[18:21], v[40:41], v[4:5], v[18:21]
	global_load_dwordx4 v[38:41], v[22:23], off
	s_nop 4
	global_load_dwordx4 v[42:45], v[22:23], off offset:2048
	v_mad_i64_i32 v[22:23], s[12:13], v24, s1, 0
	s_waitcnt vmcnt(7) lgkmcnt(1)
	v_mfma_f32_16x16x16bf16_1k v[14:17], v[34:35], v[10:11], v[14:17]
	v_lshlrev_b64 v[34:35], 1, v[22:23]
	v_add_co_u32_e32 v22, vcc, v27, v58
	v_addc_co_u32_e32 v23, vcc, 0, v59, vcc
	global_load_dwordx4 v[22:25], v[22:23], off
	v_add_co_u32_e32 v34, vcc, s8, v34
	s_waitcnt vmcnt(7)
	v_mfma_f32_16x16x16bf16_1k v[18:21], v[46:47], v[10:11], v[18:21]
	v_addc_co_u32_e32 v28, vcc, v28, v35, vcc
	v_add_co_u32_e32 v64, vcc, v34, v29
	v_addc_co_u32_e32 v65, vcc, 0, v28, vcc
	v_add_co_u32_e32 v28, vcc, v27, v62
	v_mfma_f32_16x16x16bf16_1k v[14:17], v[36:37], v[12:13], v[14:17]
	v_addc_co_u32_e32 v29, vcc, 0, v59, vcc
	v_add_co_u32_e32 v46, vcc, v64, v26
	global_load_dwordx4 v[26:29], v[28:29], off
	v_addc_co_u32_e32 v47, vcc, 0, v65, vcc
	v_mfma_f32_16x16x16bf16_1k v[18:21], v[48:49], v[12:13], v[18:21]
	v_add_co_u32_e32 v48, vcc, v64, v58
	v_add_u32_e32 v35, s10, v63
	v_addc_co_u32_e32 v49, vcc, 0, v65, vcc
	v_ashrrev_i32_e32 v60, 5, v35
	v_cmp_gt_i32_e32 vcc, s33, v63
	s_waitcnt vmcnt(7) lgkmcnt(0)
	v_mfma_f32_16x16x16bf16_1k v[14:17], v[54:55], v[50:51], v[14:17]
	s_waitcnt vmcnt(6)
	v_mfma_f32_16x16x16bf16_1k v[18:21], v[30:31], v[50:51], v[18:21]
	v_mov_b32_e32 v31, s17
	v_mfma_f32_16x16x16bf16_1k v[54:57], v[56:57], v[52:53], v[14:17]
	global_load_dwordx4 v[34:37], v[46:47], off
	s_nop 5
	global_load_dwordx4 v[14:17], v[46:47], off offset:2048
	v_cndmask_b32_e32 v46, v66, v60, vcc
	v_ashrrev_i32_e32 v47, 31, v46
	v_lshlrev_b64 v[46:47], 2, v[46:47]
	v_add_co_u32_e32 v30, vcc, s16, v46
	v_addc_co_u32_e32 v31, vcc, v31, v47, vcc
	global_load_dword v46, v[30:31], off
	v_or_b32_e32 v30, 64, v63
	v_mfma_f32_16x16x16bf16_1k v[58:61], v[32:33], v[52:53], v[18:21]
	v_cmp_gt_i32_e32 vcc, s33, v30
	v_mov_b32_e32 v32, s17
	v_mov_b32_e32 v33, s17
	s_nop 3
	v_add_u32_e32 v18, s10, v30
	v_ashrrev_i32_e32 v18, 5, v18
	v_cndmask_b32_e32 v18, v66, v18, vcc
	v_ashrrev_i32_e32 v19, 31, v18
	v_lshlrev_b64 v[30:31], 2, v[18:19]
	v_add_co_u32_e32 v30, vcc, s16, v30
	v_addc_co_u32_e32 v31, vcc, v32, v31, vcc
	global_load_dword v32, v[30:31], off
	s_waitcnt vmcnt(7)
	v_mfma_f32_16x16x16bf16_1k v[18:21], v[38:39], v[6:7], 0
	v_or_b32_e32 v30, 0x80, v63
	v_add_u32_e32 v31, s10, v30
	v_ashrrev_i32_e32 v31, 5, v31
	v_cmp_gt_i32_e32 vcc, s33, v30
	v_cndmask_b32_e32 v30, v66, v31, vcc
	v_ashrrev_i32_e32 v31, 31, v30
	v_lshlrev_b64 v[30:31], 2, v[30:31]
	v_mfma_f32_16x16x16bf16_1k v[18:21], v[40:41], v[8:9], v[18:21]
	v_add_co_u32_e32 v30, vcc, s16, v30
	v_addc_co_u32_e32 v31, vcc, v33, v31, vcc
	global_load_dword v33, v[30:31], off
	v_or_b32_e32 v30, 0xc0, v63
	v_add_u32_e32 v31, s10, v30
	s_waitcnt vmcnt(7)
	v_mfma_f32_16x16x16bf16_1k v[18:21], v[42:43], v[2:3], v[18:21]
	v_ashrrev_i32_e32 v31, 5, v31
	v_cmp_gt_i32_e32 vcc, s33, v30
	v_cndmask_b32_e32 v30, v66, v31, vcc
	global_load_dwordx4 v[66:69], v[48:49], off
	v_ashrrev_i32_e32 v31, 31, v30
	v_lshlrev_b64 v[30:31], 2, v[30:31]
	v_mov_b32_e32 v38, s17
	v_mfma_f32_16x16x16bf16_1k v[18:21], v[44:45], v[4:5], v[18:21]
	v_add_co_u32_e32 v30, vcc, s16, v30
	v_addc_co_u32_e32 v31, vcc, v38, v31, vcc
	global_load_dword v63, v[30:31], off
	s_waitcnt vmcnt(8)
	v_mfma_f32_16x16x16bf16_1k v[18:21], v[22:23], v[10:11], v[18:21]
	v_add_co_u32_e32 v22, vcc, v64, v62
	v_addc_co_u32_e32 v23, vcc, 0, v65, vcc
	global_load_dwordx4 v[88:91], v[22:23], off
	v_and_b32_e32 v22, 16, v0
	v_lshlrev_b32_e32 v22, 1, v22
	v_mfma_f32_16x16x16bf16_1k v[18:21], v[24:25], v[12:13], v[18:21]
	v_mov_b32_e32 v23, s3
	v_add_co_u32_e32 v80, vcc, s2, v22
	v_addc_co_u32_e32 v81, vcc, 0, v23, vcc
	v_add_co_u32_e32 v22, vcc, v80, v82
	s_waitcnt vmcnt(8)
	v_mfma_f32_16x16x16bf16_1k v[18:21], v[26:27], v[50:51], v[18:21]
	v_addc_co_u32_e32 v23, vcc, 0, v81, vcc
	v_mfma_f32_16x16x16bf16_1k v[76:79], v[28:29], v[52:53], v[18:21]
	s_waitcnt vmcnt(5)
	s_nop 7
	v_mad_i64_i32 v[18:19], s[2:3], v46, s1, 0
	v_lshlrev_b64 v[70:71], 1, v[18:19]
	v_mfma_f32_16x16x16bf16_1k v[18:21], v[34:35], v[6:7], 0
	v_add_co_u32_e32 v6, vcc, v22, v70
	v_addc_co_u32_e32 v7, vcc, v23, v71, vcc
	global_load_dwordx4 v[46:49], v[6:7], off
	global_load_dwordx4 v[42:45], v[6:7], off offset:16
	v_pk_mul_f32 v[78:79], s[0:1], v[78:79] op_sel_hi:[0,1]
	s_waitcnt vmcnt(6)
	v_mad_i64_i32 v[6:7], s[2:3], v32, s1, 0
	v_lshlrev_b64 v[72:73], 1, v[6:7]
	v_mfma_f32_16x16x16bf16_1k v[6:9], v[36:37], v[8:9], v[18:21]
	v_mfma_f32_16x16x16bf16_1k v[6:9], v[14:15], v[2:3], v[6:9]
	s_nop 5
	v_add_co_u32_e32 v18, vcc, v22, v72
	v_addc_co_u32_e32 v19, vcc, v23, v73, vcc
	global_load_dwordx4 v[38:41], v[18:19], off
	global_load_dwordx4 v[34:37], v[18:19], off offset:16
	s_waitcnt vmcnt(7)
	v_mad_i64_i32 v[18:19], s[2:3], v33, s1, 0
	v_lshlrev_b64 v[64:65], 1, v[18:19]
	v_add_co_u32_e32 v2, vcc, v22, v64
	v_addc_co_u32_e32 v3, vcc, v23, v65, vcc
	global_load_dwordx4 v[30:33], v[2:3], off
	global_load_dwordx4 v[26:29], v[2:3], off offset:16
	v_mfma_f32_16x16x16bf16_1k v[2:5], v[16:17], v[4:5], v[6:9]
	s_waitcnt vmcnt(8)
	v_mfma_f32_16x16x16bf16_1k v[2:5], v[66:67], v[10:11], v[2:5]
	s_waitcnt vmcnt(7)
	s_nop 3
	v_mad_i64_i32 v[6:7], s[2:3], v63, s1, 0
	v_lshlrev_b64 v[62:63], 1, v[6:7]
	v_add_co_u32_e32 v6, vcc, v22, v62
	v_addc_co_u32_e32 v7, vcc, v23, v63, vcc
	v_mfma_f32_16x16x16bf16_1k v[10:13], v[68:69], v[12:13], v[2:5]
	global_load_dwordx4 v[22:25], v[6:7], off
	global_load_dwordx4 v[18:21], v[6:7], off offset:16
	v_or_b32_e32 v6, 0x1000, v82
	v_add_co_u32_e32 v86, vcc, v80, v6
	v_addc_co_u32_e32 v74, vcc, 0, v81, vcc
	s_nop 1
	v_add_co_u32_e32 v2, vcc, v86, v70
	s_waitcnt vmcnt(8)
	v_mfma_f32_16x16x16bf16_1k v[92:95], v[88:89], v[50:51], v[10:13]
	v_addc_co_u32_e32 v3, vcc, v74, v71, vcc
	v_add_co_u32_e32 v66, vcc, v86, v72
	v_addc_co_u32_e32 v67, vcc, v74, v73, vcc
	v_pk_mul_f32 v[72:73], s[0:1], v[76:77] op_sel_hi:[0,1]
	v_mfma_f32_16x16x16bf16_1k v[50:53], v[90:91], v[52:53], v[92:95]
	global_load_dwordx4 v[6:9], v[2:3], off
	s_nop 0
	global_load_dwordx4 v[2:5], v[2:3], off offset:16
	s_nop 0
	global_load_dwordx4 v[14:17], v[66:67], off
	global_load_dwordx4 v[10:13], v[66:67], off offset:16
	v_pk_mul_f32 v[68:69], s[0:1], v[54:55] op_sel_hi:[0,1]
	v_pk_mul_f32 v[80:81], s[0:1], v[56:57] op_sel_hi:[0,1]
	v_pk_mul_f32 v[70:71], s[0:1], v[58:59] op_sel_hi:[0,1]
	v_pk_mul_f32 v[82:83], s[0:1], v[60:61] op_sel_hi:[0,1]
	s_nop 0
	v_pk_mul_f32 v[76:77], s[0:1], v[50:51] op_sel_hi:[0,1]
	v_and_b32_e32 v50, 0xc0, v0
	v_add_u32_e32 v50, s9, v50
	v_lshl_or_b32 v50, v1, 2, v50
	v_pk_mul_f32 v[66:67], s[0:1], v[52:53] op_sel_hi:[0,1]
	v_or_b32_e32 v53, 1, v50
	v_mov_b32_e32 v51, 0xff7fffff
	v_cmp_gt_i32_e64 s[28:29], s33, v50
	v_cmp_gt_i32_e64 s[30:31], s33, v53
	v_cndmask_b32_e64 v52, v51, v68, s[28:29]
	v_cndmask_b32_e64 v53, v51, v69, s[30:31]
	v_max3_f32 v52, v52, s41, v53
	v_or_b32_e32 v53, 2, v50
	v_or_b32_e32 v54, 3, v50
	v_cmp_gt_i32_e64 s[34:35], s33, v53
	v_cmp_gt_i32_e64 s[36:37], s33, v54
	v_cndmask_b32_e64 v53, v51, v80, s[34:35]
	v_cndmask_b32_e64 v54, v51, v81, s[36:37]
	v_max3_f32 v52, v52, v53, v54
	v_or_b32_e32 v53, 16, v50
	v_or_b32_e32 v54, 17, v50
	;; [unrolled: 7-line block ×7, first 2 shown]
	v_cmp_gt_i32_e32 vcc, s33, v53
	v_cmp_gt_i32_e64 s[0:1], s33, v50
	v_cndmask_b32_e32 v53, v51, v66, vcc
	v_cndmask_b32_e64 v50, v51, v67, s[0:1]
	v_max3_f32 v58, v52, v53, v50
	v_mbcnt_lo_u32_b32 v50, -1, 0
	v_mbcnt_hi_u32_b32 v59, -1, v50
	v_and_b32_e32 v50, 64, v59
	v_add_u32_e32 v60, 64, v50
	v_xor_b32_e32 v50, 32, v59
	v_cmp_lt_i32_e64 s[38:39], v50, v60
	v_cndmask_b32_e64 v50, v59, v50, s[38:39]
	v_lshlrev_b32_e32 v75, 2, v50
	ds_bpermute_b32 v61, v75, v58
	v_add_co_u32_e64 v50, s[38:39], v86, v64
	v_addc_co_u32_e64 v51, s[38:39], v74, v65, s[38:39]
	s_waitcnt lgkmcnt(0)
	v_max_f32_e32 v61, v61, v61
	v_max_f32_e32 v61, v58, v61
	v_xor_b32_e32 v58, 16, v59
	v_cmp_lt_i32_e64 s[38:39], v58, v60
	v_cndmask_b32_e64 v58, v59, v58, s[38:39]
	v_lshlrev_b32_e32 v90, 2, v58
	ds_bpermute_b32 v60, v90, v61
	v_add_co_u32_e64 v58, s[38:39], v86, v62
	v_addc_co_u32_e64 v59, s[38:39], v74, v63, s[38:39]
	s_waitcnt lgkmcnt(0)
	v_max_f32_e32 v60, v60, v60
	v_max_f32_e32 v88, v61, v60
	v_sub_f32_e32 v60, v68, v88
	v_mul_f32_e32 v60, 0x3fb8aa3b, v60
	v_exp_f32_e32 v68, v60
	v_sub_f32_e32 v60, v69, v88
	v_mul_f32_e32 v60, 0x3fb8aa3b, v60
	global_load_dwordx4 v[54:57], v[50:51], off
	s_nop 0
	global_load_dwordx4 v[50:53], v[50:51], off offset:16
	v_exp_f32_e32 v69, v60
	global_load_dwordx4 v[62:65], v[58:59], off
	s_nop 0
	global_load_dwordx4 v[58:61], v[58:59], off offset:16
	v_sub_f32_e32 v80, v80, v88
	v_mul_f32_e32 v80, 0x3fb8aa3b, v80
	v_sub_f32_e32 v81, v81, v88
	v_exp_f32_e32 v80, v80
	v_mul_f32_e32 v81, 0x3fb8aa3b, v81
	v_sub_f32_e32 v70, v70, v88
	v_exp_f32_e32 v81, v81
	v_mul_f32_e32 v70, 0x3fb8aa3b, v70
	v_sub_f32_e32 v71, v71, v88
	v_cndmask_b32_e64 v68, 0, v68, s[28:29]
	v_exp_f32_e32 v70, v70
	v_mul_f32_e32 v71, 0x3fb8aa3b, v71
	v_sub_f32_e32 v82, v82, v88
	v_add_f32_e32 v74, 0, v68
	v_cndmask_b32_e64 v69, 0, v69, s[30:31]
	v_exp_f32_e32 v71, v71
	v_mul_f32_e32 v82, 0x3fb8aa3b, v82
	v_sub_f32_e32 v83, v83, v88
	v_add_f32_e32 v74, v74, v69
	;; [unrolled: 5-line block ×10, first 2 shown]
	v_cndmask_b32_e64 v78, 0, v78, s[10:11]
	v_exp_f32_e32 v66, v66
	v_mul_f32_e32 v67, 0x3fb8aa3b, v67
	v_add_f32_e32 v74, v74, v78
	v_cndmask_b32_e64 v79, 0, v79, s[12:13]
	v_exp_f32_e32 v67, v67
	v_add_f32_e32 v74, v74, v79
	v_cndmask_b32_e64 v76, 0, v76, s[2:3]
	v_add_f32_e32 v74, v74, v76
	v_cndmask_b32_e64 v77, 0, v77, s[8:9]
	v_add_f32_e32 v74, v74, v77
	v_cndmask_b32_e32 v66, 0, v66, vcc
	v_add_f32_e32 v74, v74, v66
	v_cndmask_b32_e64 v67, 0, v67, s[0:1]
	v_add_f32_e32 v74, v74, v67
	ds_bpermute_b32 v75, v75, v74
	s_waitcnt lgkmcnt(0)
	s_barrier
	v_add_f32_e32 v89, v74, v75
	ds_bpermute_b32 v90, v90, v89
	v_and_b32_e32 v74, 63, v0
	v_cmp_gt_u32_e32 vcc, 16, v74
	s_and_saveexec_b64 s[0:1], vcc
	s_cbranch_execz .LBB377_15
; %bb.14:
	s_waitcnt lgkmcnt(0)
	v_add_f32_e32 v74, v89, v90
	v_lshlrev_b32_e32 v75, 2, v87
	ds_write2st64_b32 v75, v88, v74 offset1:1
.LBB377_15:
	s_or_b64 exec, exec, s[0:1]
	v_lshlrev_b32_e32 v74, 2, v84
	s_load_dword s2, s[4:5], 0x94
	s_waitcnt lgkmcnt(0)
	s_barrier
	ds_read2_b32 v[88:89], v74 offset1:16
	ds_read2_b32 v[90:91], v74 offset0:32 offset1:48
	ds_read2_b32 v[92:93], v74 offset0:64 offset1:80
	s_movk_i32 s8, 0x7fff
	s_mov_b32 s9, 0x7060302
	s_waitcnt lgkmcnt(2)
	v_max3_f32 v75, v88, s41, v89
	s_waitcnt lgkmcnt(1)
	v_max3_f32 v86, v75, v90, v91
	v_sub_f32_e32 v75, v88, v86
	v_sub_f32_e32 v87, v89, v86
	v_mul_f32_e32 v75, 0x3fb8aa3b, v75
	v_mul_f32_e32 v87, 0x3fb8aa3b, v87
	v_exp_f32_e32 v75, v75
	v_exp_f32_e32 v94, v87
	v_sub_f32_e32 v87, v90, v86
	v_mul_f32_e32 v87, 0x3fb8aa3b, v87
	ds_read2_b32 v[88:89], v74 offset0:96 offset1:112
	v_sub_f32_e32 v74, v91, v86
	v_exp_f32_e32 v90, v87
	v_mul_f32_e32 v74, 0x3fb8aa3b, v74
	v_exp_f32_e32 v74, v74
	s_waitcnt lgkmcnt(1)
	v_fma_f32 v87, v75, v92, 0
	v_fmac_f32_e32 v87, v94, v93
	s_waitcnt lgkmcnt(0)
	v_fmac_f32_e32 v87, v90, v88
	v_fmac_f32_e32 v87, v74, v89
	v_add_f32_e32 v88, 0x358637bd, v87
	v_div_scale_f32 v89, s[0:1], v88, v88, 1.0
	v_rcp_f32_e32 v91, v89
	s_barrier
	v_fma_f32 v92, -v89, v91, 1.0
	v_fmac_f32_e32 v91, v92, v91
	v_div_scale_f32 v92, vcc, 1.0, v88, 1.0
	v_mul_f32_e32 v93, v92, v91
	v_fma_f32 v95, -v89, v93, v92
	v_fmac_f32_e32 v93, v95, v91
	v_fma_f32 v89, -v89, v93, v92
	v_div_fmas_f32 v89, v89, v91, v93
	v_cmp_eq_u32_e32 vcc, 1, v85
	v_cndmask_b32_e32 v75, v75, v94, vcc
	v_cmp_eq_u32_e32 vcc, 2, v85
	v_cndmask_b32_e32 v75, v75, v90, vcc
	v_cmp_eq_u32_e32 vcc, 3, v85
	v_div_fixup_f32 v88, v89, v88, 1.0
	v_cndmask_b32_e32 v74, v75, v74, vcc
	v_mul_f32_e32 v88, v74, v88
	v_pk_mul_f32 v[68:69], v[88:89], v[68:69] op_sel_hi:[0,1]
	v_bfe_u32 v74, v69, 16, 1
	v_bfe_u32 v75, v68, 16, 1
	v_pk_mul_f32 v[80:81], v[88:89], v[80:81] op_sel_hi:[0,1]
	v_add3_u32 v68, v68, v75, s8
	v_add3_u32 v69, v69, v74, s8
	v_perm_b32 v90, v69, v68, s9
	v_bfe_u32 v68, v81, 16, 1
	v_bfe_u32 v69, v80, 16, 1
	v_add3_u32 v69, v80, v69, s8
	v_add3_u32 v68, v81, v68, s8
	v_perm_b32 v91, v68, v69, s9
	v_lshlrev_b32_e32 v69, 3, v1
	v_lshlrev_b32_e32 v68, 5, v84
	;; [unrolled: 1-line block ×3, first 2 shown]
	v_pk_mul_f32 v[70:71], v[88:89], v[70:71] op_sel_hi:[0,1]
	v_or3_b32 v80, v74, v68, v69
	v_bfe_u32 v69, v71, 16, 1
	v_bfe_u32 v74, v70, 16, 1
	v_pk_mul_f32 v[82:83], v[88:89], v[82:83] op_sel_hi:[0,1]
	v_add3_u32 v70, v70, v74, s8
	v_add3_u32 v69, v71, v69, s8
	v_perm_b32 v70, v69, v70, s9
	v_bfe_u32 v69, v83, 16, 1
	v_bfe_u32 v71, v82, 16, 1
	v_add3_u32 v71, v82, v71, s8
	v_add3_u32 v69, v83, v69, s8
	v_pk_mul_f32 v[72:73], v[88:89], v[72:73] op_sel_hi:[0,1]
	v_perm_b32 v71, v69, v71, s9
	v_bfe_u32 v69, v73, 16, 1
	v_bfe_u32 v74, v72, 16, 1
	ds_write2st64_b64 v80, v[90:91], v[70:71] offset1:1
	v_pk_mul_f32 v[70:71], v[88:89], v[78:79] op_sel_hi:[0,1]
	v_add3_u32 v72, v72, v74, s8
	v_add3_u32 v69, v73, v69, s8
	v_perm_b32 v72, v69, v72, s9
	v_bfe_u32 v69, v71, 16, 1
	v_bfe_u32 v73, v70, 16, 1
	v_add3_u32 v70, v70, v73, s8
	v_add3_u32 v69, v71, v69, s8
	v_perm_b32 v73, v69, v70, s9
	v_pk_mul_f32 v[70:71], v[88:89], v[76:77] op_sel_hi:[0,1]
	v_bfe_u32 v69, v71, 16, 1
	v_bfe_u32 v74, v70, 16, 1
	v_pk_mul_f32 v[66:67], v[88:89], v[66:67] op_sel_hi:[0,1]
	v_add3_u32 v70, v70, v74, s8
	v_add3_u32 v69, v71, v69, s8
	v_perm_b32 v70, v69, v70, s9
	v_bfe_u32 v69, v67, 16, 1
	v_bfe_u32 v71, v66, 16, 1
	v_add3_u32 v66, v66, v71, s8
	v_add3_u32 v67, v67, v69, s8
	s_mul_i32 s3, s40, 14
	v_perm_b32 v71, v67, v66, s9
	v_cmp_gt_u32_e32 vcc, 14, v0
	ds_write2st64_b64 v80, v[72:73], v[70:71] offset0:2 offset1:3
	s_and_saveexec_b64 s[0:1], vcc
	s_cbranch_execz .LBB377_17
; %bb.16:
	v_add_co_u32_e32 v70, vcc, s27, v84
	v_addc_co_u32_e64 v71, s[10:11], 0, 0, vcc
	v_mov_b32_e32 v66, s3
	v_mov_b32_e32 v67, 0
	v_mad_u64_u32 v[70:71], s[10:11], s6, v66, v[70:71]
	v_mov_b32_e32 v66, s26
	s_load_dwordx4 s[12:15], s[4:5], 0x58
	s_mul_i32 s7, s7, s3
	v_mad_u64_u32 v[66:67], s[10:11], v70, s2, v[66:67]
	v_add_u32_e32 v69, s7, v71
	v_mov_b32_e32 v70, v67
	v_mad_u64_u32 v[70:71], s[10:11], v69, s2, v[70:71]
	v_mov_b32_e32 v67, v70
	v_lshlrev_b64 v[66:67], 2, v[66:67]
	s_waitcnt lgkmcnt(0)
	v_mov_b32_e32 v69, s15
	v_add_co_u32_e32 v70, vcc, s14, v66
	v_addc_co_u32_e32 v71, vcc, v69, v67, vcc
	v_mov_b32_e32 v69, s13
	v_add_co_u32_e32 v66, vcc, s12, v66
	v_addc_co_u32_e32 v67, vcc, v69, v67, vcc
	global_store_dword v[70:71], v86, off
	global_store_dword v[66:67], v87, off
.LBB377_17:
	s_or_b64 exec, exec, s[0:1]
	v_lshl_or_b32 v74, v1, 9, v68
	s_waitcnt lgkmcnt(0)
	s_barrier
	ds_read_b128 v[70:73], v74
	ds_read_b128 v[66:69], v74 offset:16
	s_waitcnt vmcnt(15) lgkmcnt(1)
	v_mfma_f32_16x16x16bf16_1k v[76:79], v[46:47], v[70:71], 0
	s_mov_b32 s1, 0
	v_cmp_gt_u32_e32 vcc, 64, v0
	v_mfma_f32_16x16x16bf16_1k v[46:49], v[48:49], v[72:73], v[76:79]
	s_waitcnt vmcnt(14) lgkmcnt(0)
	v_mfma_f32_16x16x16bf16_1k v[46:49], v[42:43], v[66:67], v[46:49]
	v_mfma_f32_16x16x16bf16_1k v[42:45], v[44:45], v[68:69], v[46:49]
	s_nop 7
	s_nop 1
	ds_read_b128 v[46:49], v74 offset:2048
	ds_read_b128 v[76:79], v74 offset:2064
	s_waitcnt vmcnt(13) lgkmcnt(1)
	v_mfma_f32_16x16x16bf16_1k v[42:45], v[38:39], v[46:47], v[42:45]
	v_mfma_f32_16x16x16bf16_1k v[38:41], v[40:41], v[48:49], v[42:45]
	s_waitcnt vmcnt(12) lgkmcnt(0)
	v_mfma_f32_16x16x16bf16_1k v[38:41], v[34:35], v[76:77], v[38:41]
	v_mfma_f32_16x16x16bf16_1k v[34:37], v[36:37], v[78:79], v[38:41]
	s_nop 7
	s_nop 1
	ds_read_b128 v[38:41], v74 offset:4096
	ds_read_b128 v[42:45], v74 offset:4112
	s_waitcnt vmcnt(11) lgkmcnt(1)
	v_mfma_f32_16x16x16bf16_1k v[34:37], v[30:31], v[38:39], v[34:37]
	v_mfma_f32_16x16x16bf16_1k v[30:33], v[32:33], v[40:41], v[34:37]
	s_waitcnt vmcnt(10) lgkmcnt(0)
	v_mfma_f32_16x16x16bf16_1k v[30:33], v[26:27], v[42:43], v[30:33]
	v_mfma_f32_16x16x16bf16_1k v[26:29], v[28:29], v[44:45], v[30:33]
	s_nop 7
	s_nop 1
	ds_read_b128 v[30:33], v74 offset:6144
	ds_read_b128 v[34:37], v74 offset:6160
	s_waitcnt lgkmcnt(0)
	s_barrier
	s_waitcnt vmcnt(9)
	v_mfma_f32_16x16x16bf16_1k v[26:29], v[22:23], v[30:31], v[26:29]
	v_mfma_f32_16x16x16bf16_1k v[22:25], v[24:25], v[32:33], v[26:29]
	s_waitcnt vmcnt(8)
	v_mfma_f32_16x16x16bf16_1k v[22:25], v[18:19], v[34:35], v[22:25]
	v_mfma_f32_16x16x16bf16_1k v[18:21], v[20:21], v[36:37], v[22:25]
	;; [unrolled: 3-line block ×4, first 2 shown]
	s_waitcnt vmcnt(5)
	v_mfma_f32_16x16x16bf16_1k v[2:5], v[14:15], v[46:47], v[2:5]
	s_nop 7
	v_bfe_u32 v6, v19, 16, 1
	v_bfe_u32 v7, v18, 16, 1
	v_add3_u32 v7, v18, v7, s8
	v_add3_u32 v6, v19, v6, s8
	v_perm_b32 v6, v6, v7, s9
	v_bfe_u32 v7, v21, 16, 1
	v_bfe_u32 v8, v20, 16, 1
	v_mfma_f32_16x16x16bf16_1k v[2:5], v[16:17], v[48:49], v[2:5]
	v_add3_u32 v8, v20, v8, s8
	v_add3_u32 v7, v21, v7, s8
	v_perm_b32 v7, v7, v8, s9
	s_waitcnt vmcnt(4)
	v_mfma_f32_16x16x16bf16_1k v[2:5], v[10:11], v[76:77], v[2:5]
	v_mfma_f32_16x16x16bf16_1k v[2:5], v[12:13], v[78:79], v[2:5]
	s_waitcnt vmcnt(3)
	v_mfma_f32_16x16x16bf16_1k v[2:5], v[54:55], v[38:39], v[2:5]
	v_mfma_f32_16x16x16bf16_1k v[2:5], v[56:57], v[40:41], v[2:5]
	;; [unrolled: 3-line block ×5, first 2 shown]
	s_nop 7
	s_nop 2
	v_bfe_u32 v8, v3, 16, 1
	v_bfe_u32 v9, v2, 16, 1
	v_add3_u32 v2, v2, v9, s8
	v_add3_u32 v3, v3, v8, s8
	v_perm_b32 v2, v3, v2, s9
	v_bfe_u32 v3, v5, 16, 1
	v_bfe_u32 v8, v4, 16, 1
	v_add3_u32 v4, v4, v8, s8
	v_add3_u32 v3, v5, v3, s8
	v_perm_b32 v3, v3, v4, s9
	ds_write2st64_b64 v80, v[6:7], v[2:3] offset1:1
	s_waitcnt lgkmcnt(0)
	s_barrier
	s_and_saveexec_b64 s[8:9], vcc
	s_cbranch_execz .LBB377_20
; %bb.18:
	v_lshlrev_b32_e32 v4, 6, v84
	v_lshlrev_b32_e32 v3, 4, v0
	v_lshl_or_b32 v0, v0, 10, v4
	v_lshlrev_b32_e32 v2, 5, v1
	v_and_b32_e32 v3, 16, v3
	v_and_b32_e32 v0, 0x1a00, v0
	v_or3_b32 v0, v0, v2, v3
	ds_read_b128 v[6:9], v0 offset:256
	buffer_load_dword v10, off, s[44:47], 0 ; 4-byte Folded Reload
	buffer_load_dword v11, off, s[44:47], 0 offset:4 ; 4-byte Folded Reload
	s_load_dwordx2 s[4:5], s[4:5], 0x68
	s_lshl_b32 s2, s2, 7
	s_mul_i32 s0, s3, s6
	s_mul_hi_u32 s7, s0, s2
	s_mul_i32 s6, s0, s2
	s_lshl_b64 s[6:7], s[6:7], 1
	s_waitcnt lgkmcnt(0)
	s_add_u32 s3, s4, s6
	s_addc_u32 s4, s5, s7
	s_lshl_b32 s0, s26, 7
	s_lshl_b64 s[0:1], s[0:1], 1
	s_add_u32 s0, s3, s0
	s_addc_u32 s1, s4, s1
	v_mov_b32_e32 v4, s1
	v_or_b32_e32 v2, 12, v1
	v_add_u32_e32 v1, s27, v1
	v_add_u32_e32 v5, 4, v1
	s_waitcnt vmcnt(1)
	v_add_co_u32_e32 v3, vcc, s0, v10
	s_waitcnt vmcnt(0)
	v_addc_co_u32_e32 v4, vcc, v4, v11, vcc
	ds_read_b128 v[10:13], v0 offset:128
	ds_read_b128 v[14:17], v0
	v_mad_u64_u32 v[18:19], s[0:1], v1, s2, 0
	v_lshlrev_b64 v[18:19], 1, v[18:19]
	v_add_co_u32_e32 v18, vcc, v3, v18
	v_addc_co_u32_e32 v19, vcc, v4, v19, vcc
	s_waitcnt lgkmcnt(0)
	global_store_dwordx4 v[18:19], v[14:17], off
	v_add_u32_e32 v1, 8, v1
	v_mad_u64_u32 v[14:15], s[0:1], v5, s2, 0
	v_lshlrev_b64 v[14:15], 1, v[14:15]
	v_add_co_u32_e32 v14, vcc, v3, v14
	v_addc_co_u32_e32 v15, vcc, v4, v15, vcc
	global_store_dwordx4 v[14:15], v[10:13], off
	s_nop 0
	v_mad_u64_u32 v[10:11], s[0:1], v1, s2, 0
	v_lshlrev_b64 v[10:11], 1, v[10:11]
	v_add_co_u32_e32 v10, vcc, v3, v10
	v_addc_co_u32_e32 v11, vcc, v4, v11, vcc
	v_cmp_gt_u32_e32 vcc, 14, v2
	global_store_dwordx4 v[10:11], v[6:9], off
	s_and_b64 exec, exec, vcc
	s_cbranch_execz .LBB377_20
; %bb.19:
	ds_read_b128 v[6:9], v0 offset:384
	v_add_u32_e32 v0, s27, v2
	v_mad_u64_u32 v[0:1], s[0:1], v0, s2, 0
	v_lshlrev_b64 v[0:1], 1, v[0:1]
	v_add_co_u32_e32 v0, vcc, v3, v0
	v_addc_co_u32_e32 v1, vcc, v4, v1, vcc
	s_waitcnt lgkmcnt(0)
	global_store_dwordx4 v[0:1], v[6:9], off
.LBB377_20:
	s_endpgm
	.section	.rodata,"a",@progbits
	.p2align	6, 0x0
	.amdhsa_kernel _Z39paged_attention_ll4mi_QKV_mfma16_kernelI14__hip_bfloat16S0_LN4vllm18Fp8KVCacheDataTypeE0ES0_Li32ELi128ELi256ELb0ELi14EL8MFMAType0EEvPKT_PKT0_S9_ifPKiSB_SB_iPKfiiiPfSE_PS4_PT2_iSD_SD_
		.amdhsa_group_segment_fixed_size 8192
		.amdhsa_private_segment_fixed_size 12
		.amdhsa_kernarg_size 400
		.amdhsa_user_sgpr_count 6
		.amdhsa_user_sgpr_private_segment_buffer 1
		.amdhsa_user_sgpr_dispatch_ptr 0
		.amdhsa_user_sgpr_queue_ptr 0
		.amdhsa_user_sgpr_kernarg_segment_ptr 1
		.amdhsa_user_sgpr_dispatch_id 0
		.amdhsa_user_sgpr_flat_scratch_init 0
		.amdhsa_user_sgpr_kernarg_preload_length 0
		.amdhsa_user_sgpr_kernarg_preload_offset 0
		.amdhsa_user_sgpr_private_segment_size 0
		.amdhsa_uses_dynamic_stack 0
		.amdhsa_system_sgpr_private_segment_wavefront_offset 1
		.amdhsa_system_sgpr_workgroup_id_x 1
		.amdhsa_system_sgpr_workgroup_id_y 1
		.amdhsa_system_sgpr_workgroup_id_z 1
		.amdhsa_system_sgpr_workgroup_info 0
		.amdhsa_system_vgpr_workitem_id 0
		.amdhsa_next_free_vgpr 96
		.amdhsa_next_free_sgpr 48
		.amdhsa_accum_offset 96
		.amdhsa_reserve_vcc 1
		.amdhsa_reserve_flat_scratch 0
		.amdhsa_float_round_mode_32 0
		.amdhsa_float_round_mode_16_64 0
		.amdhsa_float_denorm_mode_32 3
		.amdhsa_float_denorm_mode_16_64 3
		.amdhsa_dx10_clamp 1
		.amdhsa_ieee_mode 1
		.amdhsa_fp16_overflow 0
		.amdhsa_tg_split 0
		.amdhsa_exception_fp_ieee_invalid_op 0
		.amdhsa_exception_fp_denorm_src 0
		.amdhsa_exception_fp_ieee_div_zero 0
		.amdhsa_exception_fp_ieee_overflow 0
		.amdhsa_exception_fp_ieee_underflow 0
		.amdhsa_exception_fp_ieee_inexact 0
		.amdhsa_exception_int_div_zero 0
	.end_amdhsa_kernel
	.section	.text._Z39paged_attention_ll4mi_QKV_mfma16_kernelI14__hip_bfloat16S0_LN4vllm18Fp8KVCacheDataTypeE0ES0_Li32ELi128ELi256ELb0ELi14EL8MFMAType0EEvPKT_PKT0_S9_ifPKiSB_SB_iPKfiiiPfSE_PS4_PT2_iSD_SD_,"axG",@progbits,_Z39paged_attention_ll4mi_QKV_mfma16_kernelI14__hip_bfloat16S0_LN4vllm18Fp8KVCacheDataTypeE0ES0_Li32ELi128ELi256ELb0ELi14EL8MFMAType0EEvPKT_PKT0_S9_ifPKiSB_SB_iPKfiiiPfSE_PS4_PT2_iSD_SD_,comdat
.Lfunc_end377:
	.size	_Z39paged_attention_ll4mi_QKV_mfma16_kernelI14__hip_bfloat16S0_LN4vllm18Fp8KVCacheDataTypeE0ES0_Li32ELi128ELi256ELb0ELi14EL8MFMAType0EEvPKT_PKT0_S9_ifPKiSB_SB_iPKfiiiPfSE_PS4_PT2_iSD_SD_, .Lfunc_end377-_Z39paged_attention_ll4mi_QKV_mfma16_kernelI14__hip_bfloat16S0_LN4vllm18Fp8KVCacheDataTypeE0ES0_Li32ELi128ELi256ELb0ELi14EL8MFMAType0EEvPKT_PKT0_S9_ifPKiSB_SB_iPKfiiiPfSE_PS4_PT2_iSD_SD_
                                        ; -- End function
	.section	.AMDGPU.csdata,"",@progbits
; Kernel info:
; codeLenInByte = 5168
; NumSgprs: 52
; NumVgprs: 96
; NumAgprs: 0
; TotalNumVgprs: 96
; ScratchSize: 12
; MemoryBound: 0
; FloatMode: 240
; IeeeMode: 1
; LDSByteSize: 8192 bytes/workgroup (compile time only)
; SGPRBlocks: 6
; VGPRBlocks: 11
; NumSGPRsForWavesPerEU: 52
; NumVGPRsForWavesPerEU: 96
; AccumOffset: 96
; Occupancy: 5
; WaveLimiterHint : 1
; COMPUTE_PGM_RSRC2:SCRATCH_EN: 1
; COMPUTE_PGM_RSRC2:USER_SGPR: 6
; COMPUTE_PGM_RSRC2:TRAP_HANDLER: 0
; COMPUTE_PGM_RSRC2:TGID_X_EN: 1
; COMPUTE_PGM_RSRC2:TGID_Y_EN: 1
; COMPUTE_PGM_RSRC2:TGID_Z_EN: 1
; COMPUTE_PGM_RSRC2:TIDIG_COMP_CNT: 0
; COMPUTE_PGM_RSRC3_GFX90A:ACCUM_OFFSET: 23
; COMPUTE_PGM_RSRC3_GFX90A:TG_SPLIT: 0
	.section	.text._Z39paged_attention_ll4mi_QKV_mfma16_kernelI14__hip_bfloat16S0_LN4vllm18Fp8KVCacheDataTypeE0ES0_Li32ELi128ELi256ELb0ELi15EL8MFMAType0EEvPKT_PKT0_S9_ifPKiSB_SB_iPKfiiiPfSE_PS4_PT2_iSD_SD_,"axG",@progbits,_Z39paged_attention_ll4mi_QKV_mfma16_kernelI14__hip_bfloat16S0_LN4vllm18Fp8KVCacheDataTypeE0ES0_Li32ELi128ELi256ELb0ELi15EL8MFMAType0EEvPKT_PKT0_S9_ifPKiSB_SB_iPKfiiiPfSE_PS4_PT2_iSD_SD_,comdat
	.protected	_Z39paged_attention_ll4mi_QKV_mfma16_kernelI14__hip_bfloat16S0_LN4vllm18Fp8KVCacheDataTypeE0ES0_Li32ELi128ELi256ELb0ELi15EL8MFMAType0EEvPKT_PKT0_S9_ifPKiSB_SB_iPKfiiiPfSE_PS4_PT2_iSD_SD_ ; -- Begin function _Z39paged_attention_ll4mi_QKV_mfma16_kernelI14__hip_bfloat16S0_LN4vllm18Fp8KVCacheDataTypeE0ES0_Li32ELi128ELi256ELb0ELi15EL8MFMAType0EEvPKT_PKT0_S9_ifPKiSB_SB_iPKfiiiPfSE_PS4_PT2_iSD_SD_
	.globl	_Z39paged_attention_ll4mi_QKV_mfma16_kernelI14__hip_bfloat16S0_LN4vllm18Fp8KVCacheDataTypeE0ES0_Li32ELi128ELi256ELb0ELi15EL8MFMAType0EEvPKT_PKT0_S9_ifPKiSB_SB_iPKfiiiPfSE_PS4_PT2_iSD_SD_
	.p2align	8
	.type	_Z39paged_attention_ll4mi_QKV_mfma16_kernelI14__hip_bfloat16S0_LN4vllm18Fp8KVCacheDataTypeE0ES0_Li32ELi128ELi256ELb0ELi15EL8MFMAType0EEvPKT_PKT0_S9_ifPKiSB_SB_iPKfiiiPfSE_PS4_PT2_iSD_SD_,@function
_Z39paged_attention_ll4mi_QKV_mfma16_kernelI14__hip_bfloat16S0_LN4vllm18Fp8KVCacheDataTypeE0ES0_Li32ELi128ELi256ELb0ELi15EL8MFMAType0EEvPKT_PKT0_S9_ifPKiSB_SB_iPKfiiiPfSE_PS4_PT2_iSD_SD_: ; @_Z39paged_attention_ll4mi_QKV_mfma16_kernelI14__hip_bfloat16S0_LN4vllm18Fp8KVCacheDataTypeE0ES0_Li32ELi128ELi256ELb0ELi15EL8MFMAType0EEvPKT_PKT0_S9_ifPKiSB_SB_iPKfiiiPfSE_PS4_PT2_iSD_SD_
; %bb.0:
	s_mov_b64 s[46:47], s[2:3]
	s_mov_b64 s[44:45], s[0:1]
	s_load_dwordx2 s[0:1], s[4:5], 0x30
	s_add_u32 s44, s44, s9
	s_addc_u32 s45, s45, 0
	s_mov_b32 s26, s7
	s_mov_b64 s[10:11], 0
	s_waitcnt lgkmcnt(0)
	s_cmp_lg_u64 s[0:1], 0
	s_cselect_b64 s[2:3], -1, 0
	s_and_b64 vcc, exec, s[2:3]
	s_cbranch_vccz .LBB378_7
; %bb.1:
	s_add_i32 s12, s6, 1
	s_mov_b32 s13, 0
	s_lshl_b64 s[14:15], s[12:13], 2
	s_add_u32 s14, s0, s14
	s_mov_b32 s7, s13
	s_addc_u32 s15, s1, s15
	s_lshl_b64 s[12:13], s[6:7], 2
	s_add_u32 s12, s0, s12
	s_addc_u32 s13, s1, s13
	s_load_dword s9, s[14:15], 0x0
	s_load_dword s16, s[12:13], 0x0
	s_waitcnt lgkmcnt(0)
	s_sub_i32 s9, s9, s16
	s_cmp_eq_u32 s9, 1
	s_cselect_b64 s[12:13], -1, 0
	s_andn2_b64 vcc, exec, s[10:11]
	s_cbranch_vccnz .LBB378_3
.LBB378_2:
	s_mov_b32 s7, 0
	s_mov_b64 s[12:13], -1
.LBB378_3:
	s_andn2_b64 vcc, exec, s[12:13]
	s_cbranch_vccnz .LBB378_20
; %bb.4:
	s_load_dwordx2 s[12:13], s[4:5], 0x28
	s_lshl_b64 s[10:11], s[6:7], 2
	s_waitcnt lgkmcnt(0)
	s_add_u32 s12, s12, s10
	s_addc_u32 s13, s13, s11
	s_load_dword s33, s[12:13], 0x0
	s_lshl_b32 s9, s26, 8
	s_waitcnt lgkmcnt(0)
	s_cmp_ge_i32 s9, s33
	s_cbranch_scc1 .LBB378_20
; %bb.5:
	s_add_i32 s15, s33, 31
	s_load_dwordx2 s[12:13], s[4:5], 0x20
	s_load_dword s14, s[4:5], 0x38
	s_ashr_i32 s16, s15, 31
	v_and_b32_e32 v1, 0xcf, v0
	s_lshr_b32 s16, s16, 27
	v_add_u32_e32 v1, s9, v1
	s_add_i32 s15, s15, s16
	v_ashrrev_i32_e32 v2, 31, v1
	s_ashr_i32 s18, s15, 5
	v_lshrrev_b32_e32 v10, 27, v2
	s_add_i32 s18, s18, -1
	v_add_u32_e32 v2, v1, v10
	s_waitcnt lgkmcnt(0)
	s_mul_i32 s14, s6, s14
	s_mov_b32 s15, 0
	v_ashrrev_i32_e32 v2, 5, v2
	v_mov_b32_e32 v11, s18
	v_cmp_gt_i32_e32 vcc, s33, v1
	s_lshl_b64 s[14:15], s[14:15], 2
	v_cndmask_b32_e32 v2, v11, v2, vcc
	s_add_u32 s16, s12, s14
	v_ashrrev_i32_e32 v3, 31, v2
	s_addc_u32 s17, s13, s15
	v_lshlrev_b64 v[2:3], 2, v[2:3]
	v_mov_b32_e32 v4, s17
	v_add_co_u32_e32 v2, vcc, s16, v2
	v_addc_co_u32_e32 v3, vcc, v4, v3, vcc
	v_or_b32_e32 v4, 16, v1
	v_add_u32_e32 v5, v4, v10
	v_ashrrev_i32_e32 v5, 5, v5
	v_cmp_gt_i32_e32 vcc, s33, v4
	v_cndmask_b32_e32 v4, v11, v5, vcc
	v_ashrrev_i32_e32 v5, 31, v4
	v_lshlrev_b64 v[4:5], 2, v[4:5]
	v_mov_b32_e32 v7, s17
	v_add_co_u32_e32 v6, vcc, s16, v4
	v_or_b32_e32 v4, 32, v1
	v_addc_co_u32_e32 v7, vcc, v7, v5, vcc
	v_add_u32_e32 v5, v4, v10
	v_ashrrev_i32_e32 v5, 5, v5
	v_cmp_gt_i32_e32 vcc, s33, v4
	v_cndmask_b32_e32 v4, v11, v5, vcc
	v_ashrrev_i32_e32 v5, 31, v4
	v_lshlrev_b64 v[4:5], 2, v[4:5]
	v_mov_b32_e32 v9, s17
	v_add_co_u32_e32 v8, vcc, s16, v4
	v_or_b32_e32 v1, 48, v1
	v_addc_co_u32_e32 v9, vcc, v9, v5, vcc
	v_add_u32_e32 v4, v1, v10
	v_ashrrev_i32_e32 v4, 5, v4
	v_cmp_gt_i32_e32 vcc, s33, v1
	v_cndmask_b32_e32 v4, v11, v4, vcc
	v_ashrrev_i32_e32 v5, 31, v4
	v_lshlrev_b64 v[4:5], 2, v[4:5]
	v_mov_b32_e32 v1, s17
	v_add_co_u32_e32 v10, vcc, s16, v4
	v_addc_co_u32_e32 v11, vcc, v1, v5, vcc
	global_load_dword v5, v[2:3], off
	global_load_dword v4, v[6:7], off
	;; [unrolled: 1-line block ×4, first 2 shown]
	s_andn2_b64 vcc, exec, s[2:3]
	s_cbranch_vccnz .LBB378_8
; %bb.6:
	s_add_u32 s0, s0, s10
	s_addc_u32 s1, s1, s11
	s_load_dword s19, s[0:1], 0x0
	s_branch .LBB378_9
.LBB378_7:
	s_mov_b64 s[12:13], 0
	s_branch .LBB378_2
.LBB378_8:
	s_mov_b32 s19, s6
.LBB378_9:
	s_load_dwordx4 s[12:15], s[4:5], 0x8
	s_load_dwordx4 s[0:3], s[4:5], 0x48
	v_lshrrev_b32_e32 v85, 6, v0
	v_bfe_u32 v1, v0, 4, 2
	v_lshl_or_b32 v6, v85, 2, v1
	v_and_b32_e32 v84, 15, v0
	v_lshlrev_b32_e32 v2, 3, v84
	v_cmp_lt_u32_e32 vcc, 14, v6
	s_and_saveexec_b64 s[10:11], vcc
	s_xor_b64 s[10:11], exec, s[10:11]
; %bb.10:
	v_mov_b32_e32 v3, 0
                                        ; implicit-def: $vgpr6
; %bb.11:
	s_or_saveexec_b64 s[10:11], s[10:11]
	s_mul_i32 s27, s8, 15
	s_xor_b64 exec, exec, s[10:11]
	s_cbranch_execz .LBB378_13
; %bb.12:
	s_load_dwordx2 s[20:21], s[4:5], 0x0
	s_waitcnt lgkmcnt(0)
	s_ashr_i32 s3, s0, 31
	s_mul_hi_u32 s22, s19, s0
	s_mul_i32 s3, s19, s3
	s_add_i32 s23, s22, s3
	s_mul_i32 s22, s19, s0
	s_lshl_b64 s[22:23], s[22:23], 1
	v_add_lshl_u32 v8, v6, s27, 7
	s_add_u32 s0, s20, s22
	v_ashrrev_i32_e32 v9, 31, v8
	s_addc_u32 s3, s21, s23
	v_lshlrev_b64 v[8:9], 1, v[8:9]
	v_mov_b32_e32 v3, s3
	v_add_co_u32_e32 v7, vcc, s0, v8
	v_addc_co_u32_e32 v3, vcc, v3, v9, vcc
	v_lshlrev_b32_e32 v8, 1, v2
	v_add_co_u32_e32 v8, vcc, v7, v8
	v_addc_co_u32_e32 v9, vcc, 0, v3, vcc
	global_load_dwordx4 v[8:11], v[8:9], off
	v_and_b32_e32 v7, 3, v0
	v_lshlrev_b32_e32 v12, 9, v84
	v_lshlrev_b32_e32 v6, 5, v6
	v_lshlrev_b32_e32 v7, 9, v7
	v_and_b32_e32 v12, 0x1800, v12
	v_mov_b32_e32 v3, 0
	v_or3_b32 v6, v12, v7, v6
	s_waitcnt vmcnt(0)
	ds_write_b128 v6, v[8:11]
.LBB378_13:
	s_or_b64 exec, exec, s[10:11]
	s_waitcnt lgkmcnt(0)
	s_mov_b32 s3, 0
	s_mul_i32 s2, s8, s2
	s_lshl_b64 s[2:3], s[2:3], 1
	s_add_u32 s8, s12, s2
	s_addc_u32 s10, s13, s3
	s_waitcnt vmcnt(3)
	v_mad_i64_i32 v[6:7], s[12:13], v5, s1, 0
	v_lshlrev_b64 v[6:7], 1, v[6:7]
	v_mov_b32_e32 v5, s10
	v_add_co_u32_e32 v6, vcc, s8, v6
	v_addc_co_u32_e32 v5, vcc, v5, v7, vcc
	v_lshlrev_b64 v[60:61], 1, v[2:3]
	v_add_co_u32_e32 v27, vcc, v6, v60
	v_lshlrev_b32_e32 v26, 9, v1
	v_addc_co_u32_e32 v28, vcc, v5, v61, vcc
	v_add_co_u32_e32 v2, vcc, v27, v26
	v_addc_co_u32_e32 v3, vcc, 0, v28, vcc
	s_load_dword s40, s[4:5], 0x98
	s_load_dword s0, s[4:5], 0x1c
	s_waitcnt lgkmcnt(0)
	s_barrier
	global_load_dwordx4 v[10:13], v[2:3], off
	s_waitcnt vmcnt(3)
	v_mad_i64_i32 v[4:5], s[12:13], v4, s1, 0
	v_lshlrev_b64 v[4:5], 1, v[4:5]
	v_mov_b32_e32 v6, s10
	v_add_co_u32_e32 v4, vcc, s8, v4
	v_addc_co_u32_e32 v5, vcc, v6, v5, vcc
	v_mov_b32_e32 v6, 0x100
	v_lshl_or_b32 v29, v84, 4, v6
	v_add_co_u32_e32 v30, vcc, v4, v29
	v_addc_co_u32_e32 v31, vcc, 0, v5, vcc
	v_add_co_u32_e32 v22, vcc, v30, v26
	v_addc_co_u32_e32 v23, vcc, 0, v31, vcc
	global_load_dwordx4 v[18:21], v[22:23], off
	global_load_dwordx4 v[14:17], v[2:3], off offset:2048
	v_cmp_ne_u32_e32 vcc, 15, v84
	v_cndmask_b32_e32 v2, 0, v84, vcc
	v_lshl_or_b32 v32, v2, 5, v26
	ds_read_b128 v[6:9], v32
	ds_read_b128 v[2:5], v32 offset:2048
	v_or_b32_e32 v58, 0x1000, v26
	global_load_dwordx4 v[38:41], v[22:23], off offset:2048
	v_add_co_u32_e32 v22, vcc, v27, v58
	v_addc_co_u32_e32 v23, vcc, 0, v28, vcc
	v_or_b32_e32 v62, 0x1800, v26
	s_ashr_i32 s11, s9, 31
	v_and_or_b32 v63, v0, 48, s9
	v_mov_b32_e32 v64, s18
	v_lshl_or_b32 v87, v85, 4, v84
	v_lshlrev_b32_e32 v82, 6, v87
	s_mov_b32 s41, 0xff7fffff
	s_waitcnt vmcnt(3) lgkmcnt(1)
	v_mfma_f32_16x16x16bf16_1k v[34:37], v[10:11], v[6:7], 0
	s_waitcnt vmcnt(2)
	v_mfma_f32_16x16x16bf16_1k v[42:45], v[18:19], v[6:7], 0
	v_mfma_f32_16x16x16bf16_1k v[10:13], v[12:13], v[8:9], v[34:37]
	s_nop 7
	global_load_dwordx4 v[34:37], v[22:23], off
	v_add_co_u32_e32 v22, vcc, v30, v58
	v_addc_co_u32_e32 v23, vcc, 0, v31, vcc
	v_mfma_f32_16x16x16bf16_1k v[18:21], v[20:21], v[8:9], v[42:45]
	global_load_dwordx4 v[46:49], v[22:23], off
	s_waitcnt vmcnt(3) lgkmcnt(0)
	v_mfma_f32_16x16x16bf16_1k v[42:45], v[14:15], v[2:3], v[10:13]
	s_nop 6
	v_add_co_u32_e32 v10, vcc, v27, v62
	v_addc_co_u32_e32 v11, vcc, 0, v28, vcc
	global_load_dwordx4 v[54:57], v[10:11], off
	v_mad_i64_i32 v[10:11], s[12:13], v25, s1, 0
	v_add_co_u32_e32 v30, vcc, v30, v62
	v_lshlrev_b64 v[22:23], 1, v[10:11]
	v_addc_co_u32_e32 v31, vcc, 0, v31, vcc
	v_mov_b32_e32 v25, s10
	v_add_co_u32_e32 v22, vcc, s8, v22
	v_addc_co_u32_e32 v23, vcc, v25, v23, vcc
	ds_read_b128 v[10:13], v32 offset:4096
	ds_read_b128 v[50:53], v32 offset:6144
	global_load_dwordx4 v[30:33], v[30:31], off
	v_add_co_u32_e32 v27, vcc, v22, v60
	buffer_store_dword v60, off, s[44:47], 0 ; 4-byte Folded Spill
	s_nop 0
	buffer_store_dword v61, off, s[44:47], 0 offset:4 ; 4-byte Folded Spill
	s_waitcnt vmcnt(6)
	v_mfma_f32_16x16x16bf16_1k v[18:21], v[38:39], v[2:3], v[18:21]
	v_mov_b32_e32 v28, s10
	s_lshr_b32 s10, s11, 27
	s_add_u32 s2, s14, s2
	s_addc_u32 s3, s15, s3
	v_addc_co_u32_e32 v59, vcc, v23, v61, vcc
	v_add_co_u32_e32 v22, vcc, v27, v26
	v_addc_co_u32_e32 v23, vcc, 0, v59, vcc
	v_mfma_f32_16x16x16bf16_1k v[14:17], v[16:17], v[4:5], v[42:45]
	v_mfma_f32_16x16x16bf16_1k v[18:21], v[40:41], v[4:5], v[18:21]
	global_load_dwordx4 v[38:41], v[22:23], off
	s_nop 4
	global_load_dwordx4 v[42:45], v[22:23], off offset:2048
	v_mad_i64_i32 v[22:23], s[12:13], v24, s1, 0
	s_waitcnt vmcnt(7) lgkmcnt(1)
	v_mfma_f32_16x16x16bf16_1k v[14:17], v[34:35], v[10:11], v[14:17]
	v_lshlrev_b64 v[34:35], 1, v[22:23]
	v_add_co_u32_e32 v22, vcc, v27, v58
	v_addc_co_u32_e32 v23, vcc, 0, v59, vcc
	global_load_dwordx4 v[22:25], v[22:23], off
	v_add_co_u32_e32 v34, vcc, s8, v34
	s_waitcnt vmcnt(7)
	v_mfma_f32_16x16x16bf16_1k v[18:21], v[46:47], v[10:11], v[18:21]
	v_addc_co_u32_e32 v28, vcc, v28, v35, vcc
	v_add_co_u32_e32 v65, vcc, v34, v29
	v_addc_co_u32_e32 v70, vcc, 0, v28, vcc
	v_add_co_u32_e32 v28, vcc, v27, v62
	v_mfma_f32_16x16x16bf16_1k v[14:17], v[36:37], v[12:13], v[14:17]
	v_addc_co_u32_e32 v29, vcc, 0, v59, vcc
	v_add_co_u32_e32 v46, vcc, v65, v26
	v_addc_co_u32_e32 v47, vcc, 0, v70, vcc
	v_add_u32_e32 v35, s10, v63
	v_mfma_f32_16x16x16bf16_1k v[18:21], v[48:49], v[12:13], v[18:21]
	v_add_co_u32_e32 v48, vcc, v65, v58
	v_addc_co_u32_e32 v49, vcc, 0, v70, vcc
	v_ashrrev_i32_e32 v60, 5, v35
	v_cmp_gt_i32_e32 vcc, s33, v63
	s_waitcnt vmcnt(6) lgkmcnt(0)
	v_mfma_f32_16x16x16bf16_1k v[14:17], v[54:55], v[50:51], v[14:17]
	s_waitcnt vmcnt(5)
	v_mfma_f32_16x16x16bf16_1k v[18:21], v[30:31], v[50:51], v[18:21]
	v_mov_b32_e32 v31, s17
	v_mfma_f32_16x16x16bf16_1k v[54:57], v[56:57], v[52:53], v[14:17]
	global_load_dwordx4 v[26:29], v[28:29], off
	s_nop 0
	global_load_dwordx4 v[34:37], v[46:47], off
	s_nop 3
	global_load_dwordx4 v[14:17], v[46:47], off offset:2048
	v_cndmask_b32_e32 v46, v64, v60, vcc
	v_ashrrev_i32_e32 v47, 31, v46
	v_lshlrev_b64 v[46:47], 2, v[46:47]
	v_add_co_u32_e32 v30, vcc, s16, v46
	v_addc_co_u32_e32 v31, vcc, v31, v47, vcc
	global_load_dword v46, v[30:31], off
	v_or_b32_e32 v30, 64, v63
	v_mfma_f32_16x16x16bf16_1k v[58:61], v[32:33], v[52:53], v[18:21]
	v_cmp_gt_i32_e32 vcc, s33, v30
	v_mov_b32_e32 v32, s17
	v_mov_b32_e32 v33, s17
	global_load_dwordx4 v[66:69], v[48:49], off
	s_nop 2
	v_add_u32_e32 v18, s10, v30
	v_ashrrev_i32_e32 v18, 5, v18
	v_cndmask_b32_e32 v18, v64, v18, vcc
	v_ashrrev_i32_e32 v19, 31, v18
	v_lshlrev_b64 v[30:31], 2, v[18:19]
	v_add_co_u32_e32 v30, vcc, s16, v30
	v_addc_co_u32_e32 v31, vcc, v32, v31, vcc
	global_load_dword v32, v[30:31], off
	s_waitcnt vmcnt(8)
	v_mfma_f32_16x16x16bf16_1k v[18:21], v[38:39], v[6:7], 0
	v_or_b32_e32 v30, 0x80, v63
	v_add_u32_e32 v31, s10, v30
	v_ashrrev_i32_e32 v31, 5, v31
	v_cmp_gt_i32_e32 vcc, s33, v30
	v_cndmask_b32_e32 v30, v64, v31, vcc
	v_ashrrev_i32_e32 v31, 31, v30
	v_lshlrev_b64 v[30:31], 2, v[30:31]
	v_mfma_f32_16x16x16bf16_1k v[18:21], v[40:41], v[8:9], v[18:21]
	v_add_co_u32_e32 v30, vcc, s16, v30
	v_addc_co_u32_e32 v31, vcc, v33, v31, vcc
	global_load_dword v33, v[30:31], off
	v_or_b32_e32 v30, 0xc0, v63
	v_add_u32_e32 v31, s10, v30
	s_waitcnt vmcnt(8)
	v_mfma_f32_16x16x16bf16_1k v[18:21], v[42:43], v[2:3], v[18:21]
	v_ashrrev_i32_e32 v31, 5, v31
	v_cmp_gt_i32_e32 vcc, s33, v30
	v_cndmask_b32_e32 v30, v64, v31, vcc
	v_ashrrev_i32_e32 v31, 31, v30
	v_lshlrev_b64 v[30:31], 2, v[30:31]
	v_mov_b32_e32 v38, s17
	v_add_co_u32_e32 v30, vcc, s16, v30
	v_mfma_f32_16x16x16bf16_1k v[18:21], v[44:45], v[4:5], v[18:21]
	v_addc_co_u32_e32 v31, vcc, v38, v31, vcc
	global_load_dword v63, v[30:31], off
	s_waitcnt vmcnt(8)
	v_mfma_f32_16x16x16bf16_1k v[18:21], v[22:23], v[10:11], v[18:21]
	v_add_co_u32_e32 v22, vcc, v65, v62
	v_addc_co_u32_e32 v23, vcc, 0, v70, vcc
	global_load_dwordx4 v[88:91], v[22:23], off
	v_and_b32_e32 v22, 16, v0
	v_lshlrev_b32_e32 v22, 1, v22
	v_mfma_f32_16x16x16bf16_1k v[18:21], v[24:25], v[12:13], v[18:21]
	v_mov_b32_e32 v23, s3
	v_add_co_u32_e32 v80, vcc, s2, v22
	v_addc_co_u32_e32 v81, vcc, 0, v23, vcc
	v_add_co_u32_e32 v22, vcc, v80, v82
	s_waitcnt vmcnt(8)
	v_mfma_f32_16x16x16bf16_1k v[18:21], v[26:27], v[50:51], v[18:21]
	v_addc_co_u32_e32 v23, vcc, 0, v81, vcc
	v_mfma_f32_16x16x16bf16_1k v[76:79], v[28:29], v[52:53], v[18:21]
	s_waitcnt vmcnt(5)
	s_nop 7
	v_mad_i64_i32 v[18:19], s[2:3], v46, s1, 0
	v_lshlrev_b64 v[70:71], 1, v[18:19]
	v_mfma_f32_16x16x16bf16_1k v[18:21], v[34:35], v[6:7], 0
	v_add_co_u32_e32 v6, vcc, v22, v70
	v_addc_co_u32_e32 v7, vcc, v23, v71, vcc
	global_load_dwordx4 v[46:49], v[6:7], off
	global_load_dwordx4 v[42:45], v[6:7], off offset:16
	v_pk_mul_f32 v[78:79], s[0:1], v[78:79] op_sel_hi:[0,1]
	s_waitcnt vmcnt(5)
	v_mad_i64_i32 v[6:7], s[2:3], v32, s1, 0
	v_lshlrev_b64 v[72:73], 1, v[6:7]
	v_mfma_f32_16x16x16bf16_1k v[6:9], v[36:37], v[8:9], v[18:21]
	v_mfma_f32_16x16x16bf16_1k v[6:9], v[14:15], v[2:3], v[6:9]
	s_nop 5
	v_add_co_u32_e32 v18, vcc, v22, v72
	v_addc_co_u32_e32 v19, vcc, v23, v73, vcc
	global_load_dwordx4 v[38:41], v[18:19], off
	global_load_dwordx4 v[34:37], v[18:19], off offset:16
	s_waitcnt vmcnt(6)
	v_mad_i64_i32 v[18:19], s[2:3], v33, s1, 0
	v_lshlrev_b64 v[64:65], 1, v[18:19]
	v_add_co_u32_e32 v2, vcc, v22, v64
	v_addc_co_u32_e32 v3, vcc, v23, v65, vcc
	global_load_dwordx4 v[30:33], v[2:3], off
	global_load_dwordx4 v[26:29], v[2:3], off offset:16
	v_mfma_f32_16x16x16bf16_1k v[2:5], v[16:17], v[4:5], v[6:9]
	v_mfma_f32_16x16x16bf16_1k v[2:5], v[66:67], v[10:11], v[2:5]
	s_waitcnt vmcnt(7)
	s_nop 4
	v_mad_i64_i32 v[6:7], s[2:3], v63, s1, 0
	v_lshlrev_b64 v[62:63], 1, v[6:7]
	v_add_co_u32_e32 v6, vcc, v22, v62
	v_addc_co_u32_e32 v7, vcc, v23, v63, vcc
	v_mfma_f32_16x16x16bf16_1k v[10:13], v[68:69], v[12:13], v[2:5]
	global_load_dwordx4 v[22:25], v[6:7], off
	global_load_dwordx4 v[18:21], v[6:7], off offset:16
	v_or_b32_e32 v6, 0x1000, v82
	v_add_co_u32_e32 v86, vcc, v80, v6
	v_addc_co_u32_e32 v74, vcc, 0, v81, vcc
	s_nop 1
	v_add_co_u32_e32 v2, vcc, v86, v70
	s_waitcnt vmcnt(8)
	v_mfma_f32_16x16x16bf16_1k v[92:95], v[88:89], v[50:51], v[10:13]
	v_addc_co_u32_e32 v3, vcc, v74, v71, vcc
	v_add_co_u32_e32 v66, vcc, v86, v72
	v_addc_co_u32_e32 v67, vcc, v74, v73, vcc
	v_pk_mul_f32 v[72:73], s[0:1], v[76:77] op_sel_hi:[0,1]
	v_mfma_f32_16x16x16bf16_1k v[50:53], v[90:91], v[52:53], v[92:95]
	global_load_dwordx4 v[6:9], v[2:3], off
	s_nop 0
	global_load_dwordx4 v[2:5], v[2:3], off offset:16
	s_nop 0
	global_load_dwordx4 v[14:17], v[66:67], off
	global_load_dwordx4 v[10:13], v[66:67], off offset:16
	v_pk_mul_f32 v[68:69], s[0:1], v[54:55] op_sel_hi:[0,1]
	v_pk_mul_f32 v[80:81], s[0:1], v[56:57] op_sel_hi:[0,1]
	v_pk_mul_f32 v[70:71], s[0:1], v[58:59] op_sel_hi:[0,1]
	v_pk_mul_f32 v[82:83], s[0:1], v[60:61] op_sel_hi:[0,1]
	s_nop 0
	v_pk_mul_f32 v[76:77], s[0:1], v[50:51] op_sel_hi:[0,1]
	v_and_b32_e32 v50, 0xc0, v0
	v_add_u32_e32 v50, s9, v50
	v_lshl_or_b32 v50, v1, 2, v50
	v_pk_mul_f32 v[66:67], s[0:1], v[52:53] op_sel_hi:[0,1]
	v_or_b32_e32 v53, 1, v50
	v_mov_b32_e32 v51, 0xff7fffff
	v_cmp_gt_i32_e64 s[28:29], s33, v50
	v_cmp_gt_i32_e64 s[30:31], s33, v53
	v_cndmask_b32_e64 v52, v51, v68, s[28:29]
	v_cndmask_b32_e64 v53, v51, v69, s[30:31]
	v_max3_f32 v52, v52, s41, v53
	v_or_b32_e32 v53, 2, v50
	v_or_b32_e32 v54, 3, v50
	v_cmp_gt_i32_e64 s[34:35], s33, v53
	v_cmp_gt_i32_e64 s[36:37], s33, v54
	v_cndmask_b32_e64 v53, v51, v80, s[34:35]
	v_cndmask_b32_e64 v54, v51, v81, s[36:37]
	v_max3_f32 v52, v52, v53, v54
	v_or_b32_e32 v53, 16, v50
	v_or_b32_e32 v54, 17, v50
	;; [unrolled: 7-line block ×7, first 2 shown]
	v_cmp_gt_i32_e32 vcc, s33, v53
	v_cmp_gt_i32_e64 s[0:1], s33, v50
	v_cndmask_b32_e32 v53, v51, v66, vcc
	v_cndmask_b32_e64 v50, v51, v67, s[0:1]
	v_max3_f32 v58, v52, v53, v50
	v_mbcnt_lo_u32_b32 v50, -1, 0
	v_mbcnt_hi_u32_b32 v59, -1, v50
	v_and_b32_e32 v50, 64, v59
	v_add_u32_e32 v60, 64, v50
	v_xor_b32_e32 v50, 32, v59
	v_cmp_lt_i32_e64 s[38:39], v50, v60
	v_cndmask_b32_e64 v50, v59, v50, s[38:39]
	v_lshlrev_b32_e32 v75, 2, v50
	ds_bpermute_b32 v61, v75, v58
	v_add_co_u32_e64 v50, s[38:39], v86, v64
	v_addc_co_u32_e64 v51, s[38:39], v74, v65, s[38:39]
	s_waitcnt lgkmcnt(0)
	v_max_f32_e32 v61, v61, v61
	v_max_f32_e32 v61, v58, v61
	v_xor_b32_e32 v58, 16, v59
	v_cmp_lt_i32_e64 s[38:39], v58, v60
	v_cndmask_b32_e64 v58, v59, v58, s[38:39]
	v_lshlrev_b32_e32 v90, 2, v58
	ds_bpermute_b32 v60, v90, v61
	v_add_co_u32_e64 v58, s[38:39], v86, v62
	v_addc_co_u32_e64 v59, s[38:39], v74, v63, s[38:39]
	s_waitcnt lgkmcnt(0)
	v_max_f32_e32 v60, v60, v60
	v_max_f32_e32 v88, v61, v60
	v_sub_f32_e32 v60, v68, v88
	v_mul_f32_e32 v60, 0x3fb8aa3b, v60
	v_exp_f32_e32 v68, v60
	v_sub_f32_e32 v60, v69, v88
	v_mul_f32_e32 v60, 0x3fb8aa3b, v60
	global_load_dwordx4 v[54:57], v[50:51], off
	s_nop 0
	global_load_dwordx4 v[50:53], v[50:51], off offset:16
	v_exp_f32_e32 v69, v60
	global_load_dwordx4 v[62:65], v[58:59], off
	s_nop 0
	global_load_dwordx4 v[58:61], v[58:59], off offset:16
	v_sub_f32_e32 v80, v80, v88
	v_mul_f32_e32 v80, 0x3fb8aa3b, v80
	v_sub_f32_e32 v81, v81, v88
	v_exp_f32_e32 v80, v80
	v_mul_f32_e32 v81, 0x3fb8aa3b, v81
	v_sub_f32_e32 v70, v70, v88
	v_exp_f32_e32 v81, v81
	v_mul_f32_e32 v70, 0x3fb8aa3b, v70
	v_sub_f32_e32 v71, v71, v88
	v_cndmask_b32_e64 v68, 0, v68, s[28:29]
	v_exp_f32_e32 v70, v70
	v_mul_f32_e32 v71, 0x3fb8aa3b, v71
	v_sub_f32_e32 v82, v82, v88
	v_add_f32_e32 v74, 0, v68
	v_cndmask_b32_e64 v69, 0, v69, s[30:31]
	v_exp_f32_e32 v71, v71
	v_mul_f32_e32 v82, 0x3fb8aa3b, v82
	v_sub_f32_e32 v83, v83, v88
	v_add_f32_e32 v74, v74, v69
	;; [unrolled: 5-line block ×10, first 2 shown]
	v_cndmask_b32_e64 v78, 0, v78, s[10:11]
	v_exp_f32_e32 v66, v66
	v_mul_f32_e32 v67, 0x3fb8aa3b, v67
	v_add_f32_e32 v74, v74, v78
	v_cndmask_b32_e64 v79, 0, v79, s[12:13]
	v_exp_f32_e32 v67, v67
	v_add_f32_e32 v74, v74, v79
	v_cndmask_b32_e64 v76, 0, v76, s[2:3]
	v_add_f32_e32 v74, v74, v76
	v_cndmask_b32_e64 v77, 0, v77, s[8:9]
	v_add_f32_e32 v74, v74, v77
	v_cndmask_b32_e32 v66, 0, v66, vcc
	v_add_f32_e32 v74, v74, v66
	v_cndmask_b32_e64 v67, 0, v67, s[0:1]
	v_add_f32_e32 v74, v74, v67
	ds_bpermute_b32 v75, v75, v74
	s_waitcnt lgkmcnt(0)
	s_barrier
	v_add_f32_e32 v89, v74, v75
	ds_bpermute_b32 v90, v90, v89
	v_and_b32_e32 v74, 63, v0
	v_cmp_gt_u32_e32 vcc, 16, v74
	s_and_saveexec_b64 s[0:1], vcc
	s_cbranch_execz .LBB378_15
; %bb.14:
	s_waitcnt lgkmcnt(0)
	v_add_f32_e32 v74, v89, v90
	v_lshlrev_b32_e32 v75, 2, v87
	ds_write2st64_b32 v75, v88, v74 offset1:1
.LBB378_15:
	s_or_b64 exec, exec, s[0:1]
	v_lshlrev_b32_e32 v74, 2, v84
	s_load_dword s2, s[4:5], 0x94
	s_waitcnt lgkmcnt(0)
	s_barrier
	ds_read2_b32 v[88:89], v74 offset1:16
	ds_read2_b32 v[90:91], v74 offset0:32 offset1:48
	ds_read2_b32 v[92:93], v74 offset0:64 offset1:80
	s_movk_i32 s8, 0x7fff
	s_mov_b32 s9, 0x7060302
	s_waitcnt lgkmcnt(2)
	v_max3_f32 v75, v88, s41, v89
	s_waitcnt lgkmcnt(1)
	v_max3_f32 v86, v75, v90, v91
	v_sub_f32_e32 v75, v88, v86
	v_sub_f32_e32 v87, v89, v86
	v_mul_f32_e32 v75, 0x3fb8aa3b, v75
	v_mul_f32_e32 v87, 0x3fb8aa3b, v87
	v_exp_f32_e32 v75, v75
	v_exp_f32_e32 v94, v87
	v_sub_f32_e32 v87, v90, v86
	v_mul_f32_e32 v87, 0x3fb8aa3b, v87
	ds_read2_b32 v[88:89], v74 offset0:96 offset1:112
	v_sub_f32_e32 v74, v91, v86
	v_exp_f32_e32 v90, v87
	v_mul_f32_e32 v74, 0x3fb8aa3b, v74
	v_exp_f32_e32 v74, v74
	s_waitcnt lgkmcnt(1)
	v_fma_f32 v87, v75, v92, 0
	v_fmac_f32_e32 v87, v94, v93
	s_waitcnt lgkmcnt(0)
	v_fmac_f32_e32 v87, v90, v88
	v_fmac_f32_e32 v87, v74, v89
	v_add_f32_e32 v88, 0x358637bd, v87
	v_div_scale_f32 v89, s[0:1], v88, v88, 1.0
	v_rcp_f32_e32 v91, v89
	s_barrier
	v_fma_f32 v92, -v89, v91, 1.0
	v_fmac_f32_e32 v91, v92, v91
	v_div_scale_f32 v92, vcc, 1.0, v88, 1.0
	v_mul_f32_e32 v93, v92, v91
	v_fma_f32 v95, -v89, v93, v92
	v_fmac_f32_e32 v93, v95, v91
	v_fma_f32 v89, -v89, v93, v92
	v_div_fmas_f32 v89, v89, v91, v93
	v_cmp_eq_u32_e32 vcc, 1, v85
	v_cndmask_b32_e32 v75, v75, v94, vcc
	v_cmp_eq_u32_e32 vcc, 2, v85
	v_cndmask_b32_e32 v75, v75, v90, vcc
	v_cmp_eq_u32_e32 vcc, 3, v85
	v_div_fixup_f32 v88, v89, v88, 1.0
	v_cndmask_b32_e32 v74, v75, v74, vcc
	v_mul_f32_e32 v88, v74, v88
	v_pk_mul_f32 v[68:69], v[88:89], v[68:69] op_sel_hi:[0,1]
	v_bfe_u32 v74, v69, 16, 1
	v_bfe_u32 v75, v68, 16, 1
	v_pk_mul_f32 v[80:81], v[88:89], v[80:81] op_sel_hi:[0,1]
	v_add3_u32 v68, v68, v75, s8
	v_add3_u32 v69, v69, v74, s8
	v_perm_b32 v90, v69, v68, s9
	v_bfe_u32 v68, v81, 16, 1
	v_bfe_u32 v69, v80, 16, 1
	v_add3_u32 v69, v80, v69, s8
	v_add3_u32 v68, v81, v68, s8
	v_perm_b32 v91, v68, v69, s9
	v_lshlrev_b32_e32 v69, 3, v1
	v_lshlrev_b32_e32 v68, 5, v84
	;; [unrolled: 1-line block ×3, first 2 shown]
	v_pk_mul_f32 v[70:71], v[88:89], v[70:71] op_sel_hi:[0,1]
	v_or3_b32 v80, v74, v68, v69
	v_bfe_u32 v69, v71, 16, 1
	v_bfe_u32 v74, v70, 16, 1
	v_pk_mul_f32 v[82:83], v[88:89], v[82:83] op_sel_hi:[0,1]
	v_add3_u32 v70, v70, v74, s8
	v_add3_u32 v69, v71, v69, s8
	v_perm_b32 v70, v69, v70, s9
	v_bfe_u32 v69, v83, 16, 1
	v_bfe_u32 v71, v82, 16, 1
	v_add3_u32 v71, v82, v71, s8
	v_add3_u32 v69, v83, v69, s8
	v_pk_mul_f32 v[72:73], v[88:89], v[72:73] op_sel_hi:[0,1]
	v_perm_b32 v71, v69, v71, s9
	v_bfe_u32 v69, v73, 16, 1
	v_bfe_u32 v74, v72, 16, 1
	ds_write2st64_b64 v80, v[90:91], v[70:71] offset1:1
	v_pk_mul_f32 v[70:71], v[88:89], v[78:79] op_sel_hi:[0,1]
	v_add3_u32 v72, v72, v74, s8
	v_add3_u32 v69, v73, v69, s8
	v_perm_b32 v72, v69, v72, s9
	v_bfe_u32 v69, v71, 16, 1
	v_bfe_u32 v73, v70, 16, 1
	v_add3_u32 v70, v70, v73, s8
	v_add3_u32 v69, v71, v69, s8
	v_perm_b32 v73, v69, v70, s9
	v_pk_mul_f32 v[70:71], v[88:89], v[76:77] op_sel_hi:[0,1]
	v_bfe_u32 v69, v71, 16, 1
	v_bfe_u32 v74, v70, 16, 1
	v_pk_mul_f32 v[66:67], v[88:89], v[66:67] op_sel_hi:[0,1]
	v_add3_u32 v70, v70, v74, s8
	v_add3_u32 v69, v71, v69, s8
	v_perm_b32 v70, v69, v70, s9
	v_bfe_u32 v69, v67, 16, 1
	v_bfe_u32 v71, v66, 16, 1
	v_add3_u32 v66, v66, v71, s8
	v_add3_u32 v67, v67, v69, s8
	s_mul_i32 s3, s40, 15
	v_perm_b32 v71, v67, v66, s9
	v_cmp_gt_u32_e32 vcc, 15, v0
	ds_write2st64_b64 v80, v[72:73], v[70:71] offset0:2 offset1:3
	s_and_saveexec_b64 s[0:1], vcc
	s_cbranch_execz .LBB378_17
; %bb.16:
	v_add_co_u32_e32 v70, vcc, s27, v84
	v_addc_co_u32_e64 v71, s[10:11], 0, 0, vcc
	v_mov_b32_e32 v66, s3
	v_mov_b32_e32 v67, 0
	v_mad_u64_u32 v[70:71], s[10:11], s6, v66, v[70:71]
	v_mov_b32_e32 v66, s26
	s_load_dwordx4 s[12:15], s[4:5], 0x58
	s_mul_i32 s7, s7, s3
	v_mad_u64_u32 v[66:67], s[10:11], v70, s2, v[66:67]
	v_add_u32_e32 v69, s7, v71
	v_mov_b32_e32 v70, v67
	v_mad_u64_u32 v[70:71], s[10:11], v69, s2, v[70:71]
	v_mov_b32_e32 v67, v70
	v_lshlrev_b64 v[66:67], 2, v[66:67]
	s_waitcnt lgkmcnt(0)
	v_mov_b32_e32 v69, s15
	v_add_co_u32_e32 v70, vcc, s14, v66
	v_addc_co_u32_e32 v71, vcc, v69, v67, vcc
	v_mov_b32_e32 v69, s13
	v_add_co_u32_e32 v66, vcc, s12, v66
	v_addc_co_u32_e32 v67, vcc, v69, v67, vcc
	global_store_dword v[70:71], v86, off
	global_store_dword v[66:67], v87, off
.LBB378_17:
	s_or_b64 exec, exec, s[0:1]
	v_lshl_or_b32 v74, v1, 9, v68
	s_waitcnt lgkmcnt(0)
	s_barrier
	ds_read_b128 v[70:73], v74
	ds_read_b128 v[66:69], v74 offset:16
	s_waitcnt vmcnt(15) lgkmcnt(1)
	v_mfma_f32_16x16x16bf16_1k v[76:79], v[46:47], v[70:71], 0
	s_mov_b32 s1, 0
	v_cmp_gt_u32_e32 vcc, 64, v0
	v_mfma_f32_16x16x16bf16_1k v[46:49], v[48:49], v[72:73], v[76:79]
	s_waitcnt vmcnt(14) lgkmcnt(0)
	v_mfma_f32_16x16x16bf16_1k v[46:49], v[42:43], v[66:67], v[46:49]
	v_mfma_f32_16x16x16bf16_1k v[42:45], v[44:45], v[68:69], v[46:49]
	s_nop 7
	s_nop 1
	ds_read_b128 v[46:49], v74 offset:2048
	ds_read_b128 v[76:79], v74 offset:2064
	s_waitcnt vmcnt(13) lgkmcnt(1)
	v_mfma_f32_16x16x16bf16_1k v[42:45], v[38:39], v[46:47], v[42:45]
	v_mfma_f32_16x16x16bf16_1k v[38:41], v[40:41], v[48:49], v[42:45]
	s_waitcnt vmcnt(12) lgkmcnt(0)
	v_mfma_f32_16x16x16bf16_1k v[38:41], v[34:35], v[76:77], v[38:41]
	v_mfma_f32_16x16x16bf16_1k v[34:37], v[36:37], v[78:79], v[38:41]
	s_nop 7
	s_nop 1
	ds_read_b128 v[38:41], v74 offset:4096
	ds_read_b128 v[42:45], v74 offset:4112
	s_waitcnt vmcnt(11) lgkmcnt(1)
	v_mfma_f32_16x16x16bf16_1k v[34:37], v[30:31], v[38:39], v[34:37]
	v_mfma_f32_16x16x16bf16_1k v[30:33], v[32:33], v[40:41], v[34:37]
	s_waitcnt vmcnt(10) lgkmcnt(0)
	v_mfma_f32_16x16x16bf16_1k v[30:33], v[26:27], v[42:43], v[30:33]
	v_mfma_f32_16x16x16bf16_1k v[26:29], v[28:29], v[44:45], v[30:33]
	s_nop 7
	s_nop 1
	ds_read_b128 v[30:33], v74 offset:6144
	ds_read_b128 v[34:37], v74 offset:6160
	s_waitcnt lgkmcnt(0)
	s_barrier
	s_waitcnt vmcnt(9)
	v_mfma_f32_16x16x16bf16_1k v[26:29], v[22:23], v[30:31], v[26:29]
	v_mfma_f32_16x16x16bf16_1k v[22:25], v[24:25], v[32:33], v[26:29]
	s_waitcnt vmcnt(8)
	v_mfma_f32_16x16x16bf16_1k v[22:25], v[18:19], v[34:35], v[22:25]
	v_mfma_f32_16x16x16bf16_1k v[18:21], v[20:21], v[36:37], v[22:25]
	;; [unrolled: 3-line block ×4, first 2 shown]
	s_waitcnt vmcnt(5)
	v_mfma_f32_16x16x16bf16_1k v[2:5], v[14:15], v[46:47], v[2:5]
	s_nop 7
	v_bfe_u32 v6, v19, 16, 1
	v_bfe_u32 v7, v18, 16, 1
	v_add3_u32 v7, v18, v7, s8
	v_add3_u32 v6, v19, v6, s8
	v_perm_b32 v6, v6, v7, s9
	v_bfe_u32 v7, v21, 16, 1
	v_bfe_u32 v8, v20, 16, 1
	v_mfma_f32_16x16x16bf16_1k v[2:5], v[16:17], v[48:49], v[2:5]
	v_add3_u32 v8, v20, v8, s8
	v_add3_u32 v7, v21, v7, s8
	v_perm_b32 v7, v7, v8, s9
	s_waitcnt vmcnt(4)
	v_mfma_f32_16x16x16bf16_1k v[2:5], v[10:11], v[76:77], v[2:5]
	v_mfma_f32_16x16x16bf16_1k v[2:5], v[12:13], v[78:79], v[2:5]
	s_waitcnt vmcnt(3)
	v_mfma_f32_16x16x16bf16_1k v[2:5], v[54:55], v[38:39], v[2:5]
	v_mfma_f32_16x16x16bf16_1k v[2:5], v[56:57], v[40:41], v[2:5]
	s_waitcnt vmcnt(2)
	v_mfma_f32_16x16x16bf16_1k v[2:5], v[50:51], v[42:43], v[2:5]
	v_mfma_f32_16x16x16bf16_1k v[2:5], v[52:53], v[44:45], v[2:5]
	s_waitcnt vmcnt(1)
	v_mfma_f32_16x16x16bf16_1k v[2:5], v[62:63], v[30:31], v[2:5]
	v_mfma_f32_16x16x16bf16_1k v[2:5], v[64:65], v[32:33], v[2:5]
	s_waitcnt vmcnt(0)
	v_mfma_f32_16x16x16bf16_1k v[2:5], v[58:59], v[34:35], v[2:5]
	v_mfma_f32_16x16x16bf16_1k v[2:5], v[60:61], v[36:37], v[2:5]
	s_nop 7
	s_nop 2
	v_bfe_u32 v8, v3, 16, 1
	v_bfe_u32 v9, v2, 16, 1
	v_add3_u32 v2, v2, v9, s8
	v_add3_u32 v3, v3, v8, s8
	v_perm_b32 v2, v3, v2, s9
	v_bfe_u32 v3, v5, 16, 1
	v_bfe_u32 v8, v4, 16, 1
	v_add3_u32 v4, v4, v8, s8
	v_add3_u32 v3, v5, v3, s8
	v_perm_b32 v3, v3, v4, s9
	ds_write2st64_b64 v80, v[6:7], v[2:3] offset1:1
	s_waitcnt lgkmcnt(0)
	s_barrier
	s_and_saveexec_b64 s[8:9], vcc
	s_cbranch_execz .LBB378_20
; %bb.18:
	v_lshlrev_b32_e32 v4, 6, v84
	v_lshlrev_b32_e32 v3, 4, v0
	v_lshl_or_b32 v0, v0, 10, v4
	v_lshlrev_b32_e32 v2, 5, v1
	v_and_b32_e32 v3, 16, v3
	v_and_b32_e32 v0, 0x1a00, v0
	v_or3_b32 v0, v0, v2, v3
	ds_read_b128 v[4:7], v0 offset:256
	buffer_load_dword v8, off, s[44:47], 0  ; 4-byte Folded Reload
	buffer_load_dword v9, off, s[44:47], 0 offset:4 ; 4-byte Folded Reload
	s_load_dwordx2 s[4:5], s[4:5], 0x68
	s_lshl_b32 s2, s2, 7
	s_mul_i32 s0, s3, s6
	s_mul_hi_u32 s7, s0, s2
	s_mul_i32 s6, s0, s2
	s_lshl_b64 s[6:7], s[6:7], 1
	s_waitcnt lgkmcnt(0)
	s_add_u32 s3, s4, s6
	s_addc_u32 s4, s5, s7
	s_lshl_b32 s0, s26, 7
	s_lshl_b64 s[0:1], s[0:1], 1
	s_add_u32 s0, s3, s0
	s_addc_u32 s1, s4, s1
	v_mov_b32_e32 v3, s1
	v_add_u32_e32 v18, s27, v1
	s_waitcnt vmcnt(1)
	v_add_co_u32_e32 v2, vcc, s0, v8
	s_waitcnt vmcnt(0)
	v_addc_co_u32_e32 v3, vcc, v3, v9, vcc
	ds_read_b128 v[8:11], v0 offset:128
	ds_read_b128 v[12:15], v0
	v_mad_u64_u32 v[16:17], s[0:1], v18, s2, 0
	v_lshlrev_b64 v[16:17], 1, v[16:17]
	v_add_co_u32_e32 v16, vcc, v2, v16
	v_addc_co_u32_e32 v17, vcc, v3, v17, vcc
	s_waitcnt lgkmcnt(0)
	global_store_dwordx4 v[16:17], v[12:15], off
	s_nop 0
	v_add_u32_e32 v12, 4, v18
	v_mad_u64_u32 v[12:13], s[0:1], v12, s2, 0
	v_lshlrev_b64 v[12:13], 1, v[12:13]
	v_add_co_u32_e32 v12, vcc, v2, v12
	v_addc_co_u32_e32 v13, vcc, v3, v13, vcc
	global_store_dwordx4 v[12:13], v[8:11], off
	s_nop 0
	v_add_u32_e32 v8, 8, v18
	v_mad_u64_u32 v[8:9], s[0:1], v8, s2, 0
	v_lshlrev_b64 v[8:9], 1, v[8:9]
	v_add_co_u32_e32 v8, vcc, v2, v8
	v_addc_co_u32_e32 v9, vcc, v3, v9, vcc
	v_cmp_ne_u32_e32 vcc, 3, v1
	global_store_dwordx4 v[8:9], v[4:7], off
	s_and_b64 exec, exec, vcc
	s_cbranch_execz .LBB378_20
; %bb.19:
	ds_read_b128 v[4:7], v0 offset:384
	v_add3_u32 v0, s27, v1, 12
	v_mad_u64_u32 v[0:1], s[0:1], v0, s2, 0
	v_lshlrev_b64 v[0:1], 1, v[0:1]
	v_add_co_u32_e32 v0, vcc, v2, v0
	v_addc_co_u32_e32 v1, vcc, v3, v1, vcc
	s_waitcnt lgkmcnt(0)
	global_store_dwordx4 v[0:1], v[4:7], off
.LBB378_20:
	s_endpgm
	.section	.rodata,"a",@progbits
	.p2align	6, 0x0
	.amdhsa_kernel _Z39paged_attention_ll4mi_QKV_mfma16_kernelI14__hip_bfloat16S0_LN4vllm18Fp8KVCacheDataTypeE0ES0_Li32ELi128ELi256ELb0ELi15EL8MFMAType0EEvPKT_PKT0_S9_ifPKiSB_SB_iPKfiiiPfSE_PS4_PT2_iSD_SD_
		.amdhsa_group_segment_fixed_size 8192
		.amdhsa_private_segment_fixed_size 12
		.amdhsa_kernarg_size 400
		.amdhsa_user_sgpr_count 6
		.amdhsa_user_sgpr_private_segment_buffer 1
		.amdhsa_user_sgpr_dispatch_ptr 0
		.amdhsa_user_sgpr_queue_ptr 0
		.amdhsa_user_sgpr_kernarg_segment_ptr 1
		.amdhsa_user_sgpr_dispatch_id 0
		.amdhsa_user_sgpr_flat_scratch_init 0
		.amdhsa_user_sgpr_kernarg_preload_length 0
		.amdhsa_user_sgpr_kernarg_preload_offset 0
		.amdhsa_user_sgpr_private_segment_size 0
		.amdhsa_uses_dynamic_stack 0
		.amdhsa_system_sgpr_private_segment_wavefront_offset 1
		.amdhsa_system_sgpr_workgroup_id_x 1
		.amdhsa_system_sgpr_workgroup_id_y 1
		.amdhsa_system_sgpr_workgroup_id_z 1
		.amdhsa_system_sgpr_workgroup_info 0
		.amdhsa_system_vgpr_workitem_id 0
		.amdhsa_next_free_vgpr 96
		.amdhsa_next_free_sgpr 48
		.amdhsa_accum_offset 96
		.amdhsa_reserve_vcc 1
		.amdhsa_reserve_flat_scratch 0
		.amdhsa_float_round_mode_32 0
		.amdhsa_float_round_mode_16_64 0
		.amdhsa_float_denorm_mode_32 3
		.amdhsa_float_denorm_mode_16_64 3
		.amdhsa_dx10_clamp 1
		.amdhsa_ieee_mode 1
		.amdhsa_fp16_overflow 0
		.amdhsa_tg_split 0
		.amdhsa_exception_fp_ieee_invalid_op 0
		.amdhsa_exception_fp_denorm_src 0
		.amdhsa_exception_fp_ieee_div_zero 0
		.amdhsa_exception_fp_ieee_overflow 0
		.amdhsa_exception_fp_ieee_underflow 0
		.amdhsa_exception_fp_ieee_inexact 0
		.amdhsa_exception_int_div_zero 0
	.end_amdhsa_kernel
	.section	.text._Z39paged_attention_ll4mi_QKV_mfma16_kernelI14__hip_bfloat16S0_LN4vllm18Fp8KVCacheDataTypeE0ES0_Li32ELi128ELi256ELb0ELi15EL8MFMAType0EEvPKT_PKT0_S9_ifPKiSB_SB_iPKfiiiPfSE_PS4_PT2_iSD_SD_,"axG",@progbits,_Z39paged_attention_ll4mi_QKV_mfma16_kernelI14__hip_bfloat16S0_LN4vllm18Fp8KVCacheDataTypeE0ES0_Li32ELi128ELi256ELb0ELi15EL8MFMAType0EEvPKT_PKT0_S9_ifPKiSB_SB_iPKfiiiPfSE_PS4_PT2_iSD_SD_,comdat
.Lfunc_end378:
	.size	_Z39paged_attention_ll4mi_QKV_mfma16_kernelI14__hip_bfloat16S0_LN4vllm18Fp8KVCacheDataTypeE0ES0_Li32ELi128ELi256ELb0ELi15EL8MFMAType0EEvPKT_PKT0_S9_ifPKiSB_SB_iPKfiiiPfSE_PS4_PT2_iSD_SD_, .Lfunc_end378-_Z39paged_attention_ll4mi_QKV_mfma16_kernelI14__hip_bfloat16S0_LN4vllm18Fp8KVCacheDataTypeE0ES0_Li32ELi128ELi256ELb0ELi15EL8MFMAType0EEvPKT_PKT0_S9_ifPKiSB_SB_iPKfiiiPfSE_PS4_PT2_iSD_SD_
                                        ; -- End function
	.section	.AMDGPU.csdata,"",@progbits
; Kernel info:
; codeLenInByte = 5168
; NumSgprs: 52
; NumVgprs: 96
; NumAgprs: 0
; TotalNumVgprs: 96
; ScratchSize: 12
; MemoryBound: 0
; FloatMode: 240
; IeeeMode: 1
; LDSByteSize: 8192 bytes/workgroup (compile time only)
; SGPRBlocks: 6
; VGPRBlocks: 11
; NumSGPRsForWavesPerEU: 52
; NumVGPRsForWavesPerEU: 96
; AccumOffset: 96
; Occupancy: 5
; WaveLimiterHint : 1
; COMPUTE_PGM_RSRC2:SCRATCH_EN: 1
; COMPUTE_PGM_RSRC2:USER_SGPR: 6
; COMPUTE_PGM_RSRC2:TRAP_HANDLER: 0
; COMPUTE_PGM_RSRC2:TGID_X_EN: 1
; COMPUTE_PGM_RSRC2:TGID_Y_EN: 1
; COMPUTE_PGM_RSRC2:TGID_Z_EN: 1
; COMPUTE_PGM_RSRC2:TIDIG_COMP_CNT: 0
; COMPUTE_PGM_RSRC3_GFX90A:ACCUM_OFFSET: 23
; COMPUTE_PGM_RSRC3_GFX90A:TG_SPLIT: 0
	.section	.text._Z39paged_attention_ll4mi_QKV_mfma16_kernelI14__hip_bfloat16S0_LN4vllm18Fp8KVCacheDataTypeE0ES0_Li32ELi128ELi256ELb0ELi16EL8MFMAType0EEvPKT_PKT0_S9_ifPKiSB_SB_iPKfiiiPfSE_PS4_PT2_iSD_SD_,"axG",@progbits,_Z39paged_attention_ll4mi_QKV_mfma16_kernelI14__hip_bfloat16S0_LN4vllm18Fp8KVCacheDataTypeE0ES0_Li32ELi128ELi256ELb0ELi16EL8MFMAType0EEvPKT_PKT0_S9_ifPKiSB_SB_iPKfiiiPfSE_PS4_PT2_iSD_SD_,comdat
	.protected	_Z39paged_attention_ll4mi_QKV_mfma16_kernelI14__hip_bfloat16S0_LN4vllm18Fp8KVCacheDataTypeE0ES0_Li32ELi128ELi256ELb0ELi16EL8MFMAType0EEvPKT_PKT0_S9_ifPKiSB_SB_iPKfiiiPfSE_PS4_PT2_iSD_SD_ ; -- Begin function _Z39paged_attention_ll4mi_QKV_mfma16_kernelI14__hip_bfloat16S0_LN4vllm18Fp8KVCacheDataTypeE0ES0_Li32ELi128ELi256ELb0ELi16EL8MFMAType0EEvPKT_PKT0_S9_ifPKiSB_SB_iPKfiiiPfSE_PS4_PT2_iSD_SD_
	.globl	_Z39paged_attention_ll4mi_QKV_mfma16_kernelI14__hip_bfloat16S0_LN4vllm18Fp8KVCacheDataTypeE0ES0_Li32ELi128ELi256ELb0ELi16EL8MFMAType0EEvPKT_PKT0_S9_ifPKiSB_SB_iPKfiiiPfSE_PS4_PT2_iSD_SD_
	.p2align	8
	.type	_Z39paged_attention_ll4mi_QKV_mfma16_kernelI14__hip_bfloat16S0_LN4vllm18Fp8KVCacheDataTypeE0ES0_Li32ELi128ELi256ELb0ELi16EL8MFMAType0EEvPKT_PKT0_S9_ifPKiSB_SB_iPKfiiiPfSE_PS4_PT2_iSD_SD_,@function
_Z39paged_attention_ll4mi_QKV_mfma16_kernelI14__hip_bfloat16S0_LN4vllm18Fp8KVCacheDataTypeE0ES0_Li32ELi128ELi256ELb0ELi16EL8MFMAType0EEvPKT_PKT0_S9_ifPKiSB_SB_iPKfiiiPfSE_PS4_PT2_iSD_SD_: ; @_Z39paged_attention_ll4mi_QKV_mfma16_kernelI14__hip_bfloat16S0_LN4vllm18Fp8KVCacheDataTypeE0ES0_Li32ELi128ELi256ELb0ELi16EL8MFMAType0EEvPKT_PKT0_S9_ifPKiSB_SB_iPKfiiiPfSE_PS4_PT2_iSD_SD_
; %bb.0:
	s_mov_b64 s[46:47], s[2:3]
	s_mov_b64 s[44:45], s[0:1]
	s_load_dwordx2 s[0:1], s[4:5], 0x30
	s_add_u32 s44, s44, s9
	s_addc_u32 s45, s45, 0
	s_mov_b32 s26, s7
	s_mov_b64 s[10:11], 0
	s_waitcnt lgkmcnt(0)
	s_cmp_lg_u64 s[0:1], 0
	s_cselect_b64 s[2:3], -1, 0
	s_and_b64 vcc, exec, s[2:3]
	s_cbranch_vccz .LBB379_7
; %bb.1:
	s_add_i32 s12, s6, 1
	s_mov_b32 s13, 0
	s_lshl_b64 s[14:15], s[12:13], 2
	s_add_u32 s14, s0, s14
	s_mov_b32 s7, s13
	s_addc_u32 s15, s1, s15
	s_lshl_b64 s[12:13], s[6:7], 2
	s_add_u32 s12, s0, s12
	s_addc_u32 s13, s1, s13
	s_load_dword s9, s[14:15], 0x0
	s_load_dword s16, s[12:13], 0x0
	s_waitcnt lgkmcnt(0)
	s_sub_i32 s9, s9, s16
	s_cmp_eq_u32 s9, 1
	s_cselect_b64 s[12:13], -1, 0
	s_andn2_b64 vcc, exec, s[10:11]
	s_cbranch_vccnz .LBB379_3
.LBB379_2:
	s_mov_b32 s7, 0
	s_mov_b64 s[12:13], -1
.LBB379_3:
	s_andn2_b64 vcc, exec, s[12:13]
	s_cbranch_vccnz .LBB379_19
; %bb.4:
	s_load_dwordx2 s[12:13], s[4:5], 0x28
	s_lshl_b64 s[10:11], s[6:7], 2
	s_waitcnt lgkmcnt(0)
	s_add_u32 s12, s12, s10
	s_addc_u32 s13, s13, s11
	s_load_dword s33, s[12:13], 0x0
	s_lshl_b32 s9, s26, 8
	s_waitcnt lgkmcnt(0)
	s_cmp_ge_i32 s9, s33
	s_cbranch_scc1 .LBB379_19
; %bb.5:
	s_add_i32 s15, s33, 31
	s_load_dwordx2 s[12:13], s[4:5], 0x20
	s_load_dword s14, s[4:5], 0x38
	s_ashr_i32 s16, s15, 31
	v_and_b32_e32 v1, 0xcf, v0
	s_lshr_b32 s16, s16, 27
	v_add_u32_e32 v1, s9, v1
	s_add_i32 s15, s15, s16
	v_ashrrev_i32_e32 v2, 31, v1
	s_ashr_i32 s18, s15, 5
	v_lshrrev_b32_e32 v10, 27, v2
	s_add_i32 s18, s18, -1
	v_add_u32_e32 v2, v1, v10
	s_waitcnt lgkmcnt(0)
	s_mul_i32 s14, s6, s14
	s_mov_b32 s15, 0
	v_ashrrev_i32_e32 v2, 5, v2
	v_mov_b32_e32 v11, s18
	v_cmp_gt_i32_e32 vcc, s33, v1
	s_lshl_b64 s[14:15], s[14:15], 2
	v_cndmask_b32_e32 v2, v11, v2, vcc
	s_add_u32 s16, s12, s14
	v_ashrrev_i32_e32 v3, 31, v2
	s_addc_u32 s17, s13, s15
	v_lshlrev_b64 v[2:3], 2, v[2:3]
	v_mov_b32_e32 v4, s17
	v_add_co_u32_e32 v2, vcc, s16, v2
	v_addc_co_u32_e32 v3, vcc, v4, v3, vcc
	v_or_b32_e32 v4, 16, v1
	v_add_u32_e32 v5, v4, v10
	v_ashrrev_i32_e32 v5, 5, v5
	v_cmp_gt_i32_e32 vcc, s33, v4
	v_cndmask_b32_e32 v4, v11, v5, vcc
	v_ashrrev_i32_e32 v5, 31, v4
	v_lshlrev_b64 v[4:5], 2, v[4:5]
	v_mov_b32_e32 v7, s17
	v_add_co_u32_e32 v6, vcc, s16, v4
	v_or_b32_e32 v4, 32, v1
	v_addc_co_u32_e32 v7, vcc, v7, v5, vcc
	v_add_u32_e32 v5, v4, v10
	v_ashrrev_i32_e32 v5, 5, v5
	v_cmp_gt_i32_e32 vcc, s33, v4
	v_cndmask_b32_e32 v4, v11, v5, vcc
	v_ashrrev_i32_e32 v5, 31, v4
	v_lshlrev_b64 v[4:5], 2, v[4:5]
	v_mov_b32_e32 v9, s17
	v_add_co_u32_e32 v8, vcc, s16, v4
	v_or_b32_e32 v1, 48, v1
	v_addc_co_u32_e32 v9, vcc, v9, v5, vcc
	v_add_u32_e32 v4, v1, v10
	v_ashrrev_i32_e32 v4, 5, v4
	v_cmp_gt_i32_e32 vcc, s33, v1
	v_cndmask_b32_e32 v4, v11, v4, vcc
	v_ashrrev_i32_e32 v5, 31, v4
	v_lshlrev_b64 v[4:5], 2, v[4:5]
	v_mov_b32_e32 v1, s17
	v_add_co_u32_e32 v10, vcc, s16, v4
	v_addc_co_u32_e32 v11, vcc, v1, v5, vcc
	global_load_dword v5, v[2:3], off
	global_load_dword v4, v[6:7], off
	;; [unrolled: 1-line block ×4, first 2 shown]
	s_andn2_b64 vcc, exec, s[2:3]
	s_cbranch_vccnz .LBB379_8
; %bb.6:
	s_add_u32 s0, s0, s10
	s_addc_u32 s1, s1, s11
	s_load_dword s19, s[0:1], 0x0
	s_branch .LBB379_9
.LBB379_7:
	s_mov_b64 s[12:13], 0
	s_branch .LBB379_2
.LBB379_8:
	s_mov_b32 s19, s6
.LBB379_9:
	s_load_dwordx4 s[12:15], s[4:5], 0x8
	s_load_dwordx4 s[0:3], s[4:5], 0x48
	v_and_b32_e32 v1, 15, v0
	s_waitcnt lgkmcnt(0)
	s_movk_i32 s3, 0xff
	v_lshlrev_b32_e32 v2, 3, v1
	v_cmp_lt_u32_e32 vcc, s3, v0
	s_and_saveexec_b64 s[10:11], vcc
	s_xor_b64 s[10:11], exec, s[10:11]
; %bb.10:
	v_mov_b32_e32 v3, 0
; %bb.11:
	s_or_saveexec_b64 s[10:11], s[10:11]
	v_lshrrev_b32_e32 v73, 6, v0
	s_lshl_b32 s27, s8, 4
	v_bfe_u32 v72, v0, 4, 2
	s_xor_b64 exec, exec, s[10:11]
	s_cbranch_execz .LBB379_13
; %bb.12:
	s_load_dwordx2 s[20:21], s[4:5], 0x0
	s_ashr_i32 s3, s0, 31
	s_mul_hi_u32 s22, s19, s0
	s_mul_i32 s3, s19, s3
	v_lshl_or_b32 v10, v73, 2, v72
	s_add_i32 s23, s22, s3
	s_mul_i32 s22, s19, s0
	s_lshl_b64 s[22:23], s[22:23], 1
	v_add_lshl_u32 v6, v10, s27, 7
	s_waitcnt lgkmcnt(0)
	s_add_u32 s0, s20, s22
	v_ashrrev_i32_e32 v7, 31, v6
	s_addc_u32 s3, s21, s23
	v_lshlrev_b64 v[6:7], 1, v[6:7]
	v_mov_b32_e32 v3, s3
	v_add_co_u32_e32 v6, vcc, s0, v6
	v_addc_co_u32_e32 v3, vcc, v3, v7, vcc
	v_lshlrev_b32_e32 v7, 1, v2
	v_add_co_u32_e32 v6, vcc, v6, v7
	v_addc_co_u32_e32 v7, vcc, 0, v3, vcc
	global_load_dwordx4 v[6:9], v[6:7], off
	v_and_b32_e32 v11, 3, v0
	v_lshlrev_b32_e32 v12, 9, v1
	v_lshlrev_b32_e32 v10, 5, v10
	v_lshlrev_b32_e32 v11, 9, v11
	v_and_b32_e32 v12, 0x1800, v12
	v_mov_b32_e32 v3, 0
	v_or3_b32 v10, v12, v11, v10
	s_waitcnt vmcnt(0)
	ds_write_b128 v10, v[6:9]
.LBB379_13:
	s_or_b64 exec, exec, s[10:11]
	s_mul_i32 s2, s8, s2
	s_mov_b32 s3, 0
	s_lshl_b64 s[2:3], s[2:3], 1
	s_add_u32 s8, s12, s2
	s_addc_u32 s10, s13, s3
	s_waitcnt vmcnt(3)
	v_mad_i64_i32 v[6:7], s[12:13], v5, s1, 0
	v_lshlrev_b64 v[6:7], 1, v[6:7]
	v_mov_b32_e32 v5, s10
	v_add_co_u32_e32 v6, vcc, s8, v6
	v_addc_co_u32_e32 v5, vcc, v5, v7, vcc
	v_lshlrev_b64 v[58:59], 1, v[2:3]
	v_add_co_u32_e32 v27, vcc, v6, v58
	v_lshlrev_b32_e32 v26, 9, v72
	v_addc_co_u32_e32 v28, vcc, v5, v59, vcc
	v_add_co_u32_e32 v2, vcc, v27, v26
	v_addc_co_u32_e32 v3, vcc, 0, v28, vcc
	s_load_dword s40, s[4:5], 0x98
	s_load_dword s0, s[4:5], 0x1c
	s_waitcnt lgkmcnt(0)
	s_barrier
	global_load_dwordx4 v[10:13], v[2:3], off
	s_waitcnt vmcnt(3)
	v_mad_i64_i32 v[4:5], s[12:13], v4, s1, 0
	v_lshlrev_b64 v[4:5], 1, v[4:5]
	v_mov_b32_e32 v6, s10
	v_add_co_u32_e32 v4, vcc, s8, v4
	v_addc_co_u32_e32 v5, vcc, v6, v5, vcc
	v_mov_b32_e32 v6, 0x100
	v_lshl_or_b32 v29, v1, 4, v6
	v_add_co_u32_e32 v30, vcc, v4, v29
	v_addc_co_u32_e32 v31, vcc, 0, v5, vcc
	v_add_co_u32_e32 v22, vcc, v30, v26
	v_addc_co_u32_e32 v23, vcc, 0, v31, vcc
	global_load_dwordx4 v[18:21], v[22:23], off
	global_load_dwordx4 v[14:17], v[2:3], off offset:2048
	v_lshl_or_b32 v85, v1, 5, v26
	ds_read_b128 v[6:9], v85
	ds_read_b128 v[2:5], v85 offset:2048
	v_or_b32_e32 v48, 0x1000, v26
	global_load_dwordx4 v[36:39], v[22:23], off offset:2048
	v_add_co_u32_e32 v22, vcc, v27, v48
	v_addc_co_u32_e32 v23, vcc, 0, v28, vcc
	v_or_b32_e32 v49, 0x1800, v26
	s_ashr_i32 s11, s9, 31
	v_and_or_b32 v66, v0, 48, s9
	v_mov_b32_e32 v67, s18
	s_mov_b32 s41, 0xff7fffff
	s_waitcnt vmcnt(3) lgkmcnt(1)
	v_mfma_f32_16x16x16bf16_1k v[32:35], v[10:11], v[6:7], 0
	s_waitcnt vmcnt(2)
	v_mfma_f32_16x16x16bf16_1k v[40:43], v[18:19], v[6:7], 0
	v_mfma_f32_16x16x16bf16_1k v[10:13], v[12:13], v[8:9], v[32:35]
	;; [unrolled: 1-line block ×3, first 2 shown]
	s_nop 6
	global_load_dwordx4 v[32:35], v[22:23], off
	v_add_co_u32_e32 v22, vcc, v30, v48
	v_addc_co_u32_e32 v23, vcc, 0, v31, vcc
	global_load_dwordx4 v[44:47], v[22:23], off
	s_waitcnt vmcnt(3) lgkmcnt(0)
	v_mfma_f32_16x16x16bf16_1k v[40:43], v[14:15], v[2:3], v[10:13]
	s_nop 6
	v_add_co_u32_e32 v10, vcc, v27, v49
	v_addc_co_u32_e32 v11, vcc, 0, v28, vcc
	global_load_dwordx4 v[54:57], v[10:11], off
	v_mad_i64_i32 v[10:11], s[12:13], v25, s1, 0
	v_add_co_u32_e32 v30, vcc, v30, v49
	v_lshlrev_b64 v[22:23], 1, v[10:11]
	v_addc_co_u32_e32 v31, vcc, 0, v31, vcc
	v_mov_b32_e32 v25, s10
	v_add_co_u32_e32 v22, vcc, s8, v22
	v_addc_co_u32_e32 v23, vcc, v25, v23, vcc
	ds_read_b128 v[10:13], v85 offset:4096
	ds_read_b128 v[50:53], v85 offset:6144
	v_mfma_f32_16x16x16bf16_1k v[14:17], v[16:17], v[4:5], v[40:43]
	v_add_co_u32_e32 v27, vcc, v22, v58
	v_mov_b32_e32 v28, s10
	s_lshr_b32 s10, s11, 27
	s_add_u32 s2, s14, s2
	s_nop 2
	global_load_dwordx4 v[40:43], v[30:31], off
	s_nop 0
	buffer_store_dword v58, off, s[44:47], 0 ; 4-byte Folded Spill
	s_nop 0
	buffer_store_dword v59, off, s[44:47], 0 offset:4 ; 4-byte Folded Spill
	s_waitcnt vmcnt(6)
	v_mfma_f32_16x16x16bf16_1k v[18:21], v[36:37], v[2:3], v[18:21]
	s_addc_u32 s3, s15, s3
	v_addc_co_u32_e32 v58, vcc, v23, v59, vcc
	v_add_co_u32_e32 v22, vcc, v27, v26
	v_addc_co_u32_e32 v23, vcc, 0, v58, vcc
	v_mfma_f32_16x16x16bf16_1k v[18:21], v[38:39], v[4:5], v[18:21]
	s_waitcnt vmcnt(5) lgkmcnt(1)
	v_mfma_f32_16x16x16bf16_1k v[14:17], v[32:33], v[10:11], v[14:17]
	global_load_dwordx4 v[30:33], v[22:23], off
	global_load_dwordx4 v[36:39], v[22:23], off offset:2048
	v_mad_i64_i32 v[22:23], s[12:13], v24, s1, 0
	s_waitcnt vmcnt(6)
	v_mfma_f32_16x16x16bf16_1k v[18:21], v[44:45], v[10:11], v[18:21]
	v_lshlrev_b64 v[44:45], 1, v[22:23]
	v_add_co_u32_e32 v22, vcc, v27, v48
	v_addc_co_u32_e32 v23, vcc, 0, v58, vcc
	global_load_dwordx4 v[22:25], v[22:23], off
	v_mfma_f32_16x16x16bf16_1k v[14:17], v[34:35], v[12:13], v[14:17]
	v_add_co_u32_e32 v34, vcc, s8, v44
	v_addc_co_u32_e32 v28, vcc, v28, v45, vcc
	v_add_co_u32_e32 v70, vcc, v34, v29
	v_addc_co_u32_e32 v71, vcc, 0, v28, vcc
	v_mfma_f32_16x16x16bf16_1k v[18:21], v[46:47], v[12:13], v[18:21]
	v_add_co_u32_e32 v28, vcc, v27, v49
	v_addc_co_u32_e32 v29, vcc, 0, v58, vcc
	v_add_u32_e32 v35, s10, v66
	v_add_co_u32_e32 v34, vcc, v70, v26
	s_waitcnt vmcnt(6) lgkmcnt(0)
	v_mfma_f32_16x16x16bf16_1k v[14:17], v[54:55], v[50:51], v[14:17]
	v_ashrrev_i32_e32 v46, 5, v35
	v_addc_co_u32_e32 v35, vcc, 0, v71, vcc
	v_add_co_u32_e32 v44, vcc, v70, v48
	v_addc_co_u32_e32 v45, vcc, 0, v71, vcc
	s_waitcnt vmcnt(5)
	v_mfma_f32_16x16x16bf16_1k v[18:21], v[40:41], v[50:51], v[18:21]
	v_cmp_gt_i32_e32 vcc, s33, v66
	v_cndmask_b32_e32 v46, v67, v46, vcc
	v_ashrrev_i32_e32 v47, 31, v46
	v_mov_b32_e32 v40, s17
	v_mov_b32_e32 v41, s17
	v_mfma_f32_16x16x16bf16_1k v[54:57], v[56:57], v[52:53], v[14:17]
	global_load_dwordx4 v[26:29], v[28:29], off
	s_nop 0
	global_load_dwordx4 v[62:65], v[34:35], off
	s_nop 3
	global_load_dwordx4 v[14:17], v[34:35], off offset:2048
	v_lshlrev_b64 v[34:35], 2, v[46:47]
	v_add_co_u32_e32 v34, vcc, s16, v34
	v_addc_co_u32_e32 v35, vcc, v40, v35, vcc
	global_load_dword v40, v[34:35], off
	v_or_b32_e32 v34, 64, v66
	v_mfma_f32_16x16x16bf16_1k v[58:61], v[42:43], v[52:53], v[18:21]
	v_cmp_gt_i32_e32 vcc, s33, v34
	s_nop 5
	v_add_u32_e32 v18, s10, v34
	v_ashrrev_i32_e32 v18, 5, v18
	v_cndmask_b32_e32 v18, v67, v18, vcc
	v_ashrrev_i32_e32 v19, 31, v18
	v_lshlrev_b64 v[34:35], 2, v[18:19]
	s_waitcnt vmcnt(6)
	v_mfma_f32_16x16x16bf16_1k v[18:21], v[30:31], v[6:7], 0
	v_add_co_u32_e32 v30, vcc, s16, v34
	v_addc_co_u32_e32 v31, vcc, v41, v35, vcc
	global_load_dword v34, v[30:31], off
	v_or_b32_e32 v30, 0x80, v66
	v_add_u32_e32 v31, s10, v30
	v_ashrrev_i32_e32 v31, 5, v31
	v_cmp_gt_i32_e32 vcc, s33, v30
	v_cndmask_b32_e32 v30, v67, v31, vcc
	v_ashrrev_i32_e32 v31, 31, v30
	v_lshlrev_b64 v[30:31], 2, v[30:31]
	v_mfma_f32_16x16x16bf16_1k v[18:21], v[32:33], v[8:9], v[18:21]
	v_mov_b32_e32 v32, s17
	v_add_co_u32_e32 v30, vcc, s16, v30
	v_addc_co_u32_e32 v31, vcc, v32, v31, vcc
	global_load_dword v32, v[30:31], off
	v_or_b32_e32 v30, 0xc0, v66
	s_waitcnt vmcnt(7)
	v_mfma_f32_16x16x16bf16_1k v[18:21], v[36:37], v[2:3], v[18:21]
	v_add_u32_e32 v31, s10, v30
	v_ashrrev_i32_e32 v31, 5, v31
	v_cmp_gt_i32_e32 vcc, s33, v30
	v_cndmask_b32_e32 v30, v67, v31, vcc
	global_load_dwordx4 v[66:69], v[44:45], off
	v_ashrrev_i32_e32 v31, 31, v30
	v_lshlrev_b64 v[30:31], 2, v[30:31]
	v_mfma_f32_16x16x16bf16_1k v[18:21], v[38:39], v[4:5], v[18:21]
	v_mov_b32_e32 v33, s17
	v_add_co_u32_e32 v30, vcc, s16, v30
	v_addc_co_u32_e32 v31, vcc, v33, v31, vcc
	global_load_dword v74, v[30:31], off
	v_pk_mul_f32 v[82:83], s[0:1], v[60:61] op_sel_hi:[0,1]
	s_waitcnt vmcnt(8)
	v_mfma_f32_16x16x16bf16_1k v[18:21], v[22:23], v[10:11], v[18:21]
	v_add_co_u32_e32 v22, vcc, v70, v49
	v_addc_co_u32_e32 v23, vcc, 0, v71, vcc
	global_load_dwordx4 v[90:93], v[22:23], off
	v_and_b32_e32 v22, 16, v0
	v_lshlrev_b32_e32 v22, 1, v22
	v_mfma_f32_16x16x16bf16_1k v[18:21], v[24:25], v[12:13], v[18:21]
	v_mov_b32_e32 v23, s3
	v_add_co_u32_e32 v75, vcc, s2, v22
	v_mov_b32_e32 v22, v1
	v_lshl_or_b32 v84, v73, 4, v22
	v_addc_co_u32_e32 v80, vcc, 0, v23, vcc
	s_waitcnt vmcnt(8)
	v_mfma_f32_16x16x16bf16_1k v[18:21], v[26:27], v[50:51], v[18:21]
	v_lshlrev_b32_e32 v81, 6, v84
	v_mov_b32_e32 v95, v22
	v_add_co_u32_e32 v22, vcc, v75, v81
	v_addc_co_u32_e32 v23, vcc, 0, v80, vcc
	v_mov_b32_e32 v1, v72
	v_mfma_f32_16x16x16bf16_1k v[76:79], v[28:29], v[52:53], v[18:21]
	v_mov_b32_e32 v94, v1
	s_waitcnt vmcnt(5)
	s_nop 4
	v_mad_i64_i32 v[18:19], s[2:3], v40, s1, 0
	v_lshlrev_b64 v[70:71], 1, v[18:19]
	v_mfma_f32_16x16x16bf16_1k v[18:21], v[62:63], v[6:7], 0
	v_add_co_u32_e32 v6, vcc, v22, v70
	v_addc_co_u32_e32 v7, vcc, v23, v71, vcc
	global_load_dwordx4 v[46:49], v[6:7], off
	global_load_dwordx4 v[42:45], v[6:7], off offset:16
	v_pk_mul_f32 v[78:79], s[0:1], v[78:79] op_sel_hi:[0,1]
	s_waitcnt vmcnt(6)
	v_mad_i64_i32 v[6:7], s[2:3], v34, s1, 0
	v_lshlrev_b64 v[72:73], 1, v[6:7]
	v_mfma_f32_16x16x16bf16_1k v[6:9], v[64:65], v[8:9], v[18:21]
	v_mfma_f32_16x16x16bf16_1k v[6:9], v[14:15], v[2:3], v[6:9]
	s_nop 5
	v_add_co_u32_e32 v18, vcc, v22, v72
	v_addc_co_u32_e32 v19, vcc, v23, v73, vcc
	global_load_dwordx4 v[38:41], v[18:19], off
	global_load_dwordx4 v[34:37], v[18:19], off offset:16
	s_waitcnt vmcnt(7)
	v_mad_i64_i32 v[18:19], s[2:3], v32, s1, 0
	v_lshlrev_b64 v[64:65], 1, v[18:19]
	v_add_co_u32_e32 v2, vcc, v22, v64
	v_addc_co_u32_e32 v3, vcc, v23, v65, vcc
	global_load_dwordx4 v[30:33], v[2:3], off
	global_load_dwordx4 v[26:29], v[2:3], off offset:16
	v_mfma_f32_16x16x16bf16_1k v[2:5], v[16:17], v[4:5], v[6:9]
	s_waitcnt vmcnt(8)
	v_mfma_f32_16x16x16bf16_1k v[2:5], v[66:67], v[10:11], v[2:5]
	s_waitcnt vmcnt(7)
	s_nop 3
	v_mad_i64_i32 v[6:7], s[2:3], v74, s1, 0
	v_lshlrev_b64 v[62:63], 1, v[6:7]
	v_add_co_u32_e32 v6, vcc, v22, v62
	v_addc_co_u32_e32 v7, vcc, v23, v63, vcc
	v_mfma_f32_16x16x16bf16_1k v[10:13], v[68:69], v[12:13], v[2:5]
	global_load_dwordx4 v[22:25], v[6:7], off
	global_load_dwordx4 v[18:21], v[6:7], off offset:16
	v_or_b32_e32 v6, 0x1000, v81
	v_add_co_u32_e32 v74, vcc, v75, v6
	v_addc_co_u32_e32 v75, vcc, 0, v80, vcc
	s_nop 1
	v_add_co_u32_e32 v2, vcc, v74, v70
	s_waitcnt vmcnt(8)
	v_mfma_f32_16x16x16bf16_1k v[86:89], v[90:91], v[50:51], v[10:13]
	v_addc_co_u32_e32 v3, vcc, v75, v71, vcc
	v_add_co_u32_e32 v66, vcc, v74, v72
	v_addc_co_u32_e32 v67, vcc, v75, v73, vcc
	v_pk_mul_f32 v[72:73], s[0:1], v[76:77] op_sel_hi:[0,1]
	v_mfma_f32_16x16x16bf16_1k v[50:53], v[92:93], v[52:53], v[86:89]
	global_load_dwordx4 v[6:9], v[2:3], off
	s_nop 0
	global_load_dwordx4 v[2:5], v[2:3], off offset:16
	s_nop 0
	global_load_dwordx4 v[14:17], v[66:67], off
	global_load_dwordx4 v[10:13], v[66:67], off offset:16
	v_pk_mul_f32 v[68:69], s[0:1], v[54:55] op_sel_hi:[0,1]
	v_pk_mul_f32 v[80:81], s[0:1], v[56:57] op_sel_hi:[0,1]
	;; [unrolled: 1-line block ×3, first 2 shown]
	s_nop 1
	v_pk_mul_f32 v[76:77], s[0:1], v[50:51] op_sel_hi:[0,1]
	v_and_b32_e32 v50, 0xc0, v0
	v_add_u32_e32 v50, s9, v50
	v_lshl_or_b32 v50, v1, 2, v50
	v_pk_mul_f32 v[66:67], s[0:1], v[52:53] op_sel_hi:[0,1]
	v_or_b32_e32 v53, 1, v50
	v_mov_b32_e32 v51, 0xff7fffff
	v_cmp_gt_i32_e64 s[28:29], s33, v50
	v_cmp_gt_i32_e64 s[30:31], s33, v53
	v_cndmask_b32_e64 v52, v51, v68, s[28:29]
	v_cndmask_b32_e64 v53, v51, v69, s[30:31]
	v_max3_f32 v52, v52, s41, v53
	v_or_b32_e32 v53, 2, v50
	v_or_b32_e32 v54, 3, v50
	v_cmp_gt_i32_e64 s[34:35], s33, v53
	v_cmp_gt_i32_e64 s[36:37], s33, v54
	v_cndmask_b32_e64 v53, v51, v80, s[34:35]
	v_cndmask_b32_e64 v54, v51, v81, s[36:37]
	v_max3_f32 v52, v52, v53, v54
	v_or_b32_e32 v53, 16, v50
	v_or_b32_e32 v54, 17, v50
	;; [unrolled: 7-line block ×7, first 2 shown]
	v_cmp_gt_i32_e32 vcc, s33, v53
	v_cmp_gt_i32_e64 s[0:1], s33, v50
	v_cndmask_b32_e32 v53, v51, v66, vcc
	v_cndmask_b32_e64 v50, v51, v67, s[0:1]
	v_max3_f32 v58, v52, v53, v50
	v_mbcnt_lo_u32_b32 v50, -1, 0
	v_mbcnt_hi_u32_b32 v59, -1, v50
	v_and_b32_e32 v50, 64, v59
	v_add_u32_e32 v60, 64, v50
	v_xor_b32_e32 v50, 32, v59
	v_cmp_lt_i32_e64 s[38:39], v50, v60
	v_cndmask_b32_e64 v50, v59, v50, s[38:39]
	v_lshlrev_b32_e32 v86, 2, v50
	ds_bpermute_b32 v61, v86, v58
	v_add_co_u32_e64 v50, s[38:39], v74, v64
	v_addc_co_u32_e64 v51, s[38:39], v75, v65, s[38:39]
	s_waitcnt lgkmcnt(0)
	v_max_f32_e32 v61, v61, v61
	v_max_f32_e32 v61, v58, v61
	v_xor_b32_e32 v58, 16, v59
	v_cmp_lt_i32_e64 s[38:39], v58, v60
	v_cndmask_b32_e64 v58, v59, v58, s[38:39]
	v_lshlrev_b32_e32 v87, 2, v58
	ds_bpermute_b32 v60, v87, v61
	v_add_co_u32_e64 v58, s[38:39], v74, v62
	v_addc_co_u32_e64 v59, s[38:39], v75, v63, s[38:39]
	s_waitcnt lgkmcnt(0)
	v_max_f32_e32 v60, v60, v60
	v_max_f32_e32 v89, v61, v60
	v_sub_f32_e32 v60, v68, v89
	v_mul_f32_e32 v60, 0x3fb8aa3b, v60
	v_exp_f32_e32 v68, v60
	v_sub_f32_e32 v60, v69, v89
	v_mul_f32_e32 v60, 0x3fb8aa3b, v60
	global_load_dwordx4 v[54:57], v[50:51], off
	s_nop 0
	global_load_dwordx4 v[50:53], v[50:51], off offset:16
	v_exp_f32_e32 v69, v60
	global_load_dwordx4 v[62:65], v[58:59], off
	s_nop 0
	global_load_dwordx4 v[58:61], v[58:59], off offset:16
	v_sub_f32_e32 v75, v80, v89
	v_mul_f32_e32 v75, 0x3fb8aa3b, v75
	v_exp_f32_e32 v75, v75
	v_sub_f32_e32 v80, v81, v89
	v_mul_f32_e32 v80, 0x3fb8aa3b, v80
	v_exp_f32_e32 v81, v80
	v_cndmask_b32_e64 v80, 0, v75, s[34:35]
	v_sub_f32_e32 v75, v82, v89
	v_mul_f32_e32 v75, 0x3fb8aa3b, v75
	v_exp_f32_e32 v75, v75
	v_sub_f32_e32 v70, v70, v89
	v_sub_f32_e32 v82, v83, v89
	v_mul_f32_e32 v70, 0x3fb8aa3b, v70
	v_sub_f32_e32 v71, v71, v89
	v_mul_f32_e32 v82, 0x3fb8aa3b, v82
	v_cndmask_b32_e64 v68, 0, v68, s[28:29]
	v_exp_f32_e32 v70, v70
	v_mul_f32_e32 v71, 0x3fb8aa3b, v71
	v_exp_f32_e32 v83, v82
	v_cndmask_b32_e64 v82, 0, v75, s[18:19]
	v_sub_f32_e32 v75, v78, v89
	v_add_f32_e32 v74, 0, v68
	v_cndmask_b32_e64 v69, 0, v69, s[30:31]
	v_exp_f32_e32 v71, v71
	v_mul_f32_e32 v75, 0x3fb8aa3b, v75
	v_add_f32_e32 v74, v74, v69
	v_sub_f32_e32 v72, v72, v89
	v_exp_f32_e32 v75, v75
	v_add_f32_e32 v74, v74, v80
	v_cndmask_b32_e64 v81, 0, v81, s[36:37]
	v_mul_f32_e32 v72, 0x3fb8aa3b, v72
	v_sub_f32_e32 v73, v73, v89
	v_add_f32_e32 v74, v74, v81
	v_cndmask_b32_e64 v70, 0, v70, s[22:23]
	v_exp_f32_e32 v72, v72
	v_mul_f32_e32 v73, 0x3fb8aa3b, v73
	v_sub_f32_e32 v78, v79, v89
	v_add_f32_e32 v74, v74, v70
	v_cndmask_b32_e64 v71, 0, v71, s[24:25]
	v_exp_f32_e32 v73, v73
	v_mul_f32_e32 v78, 0x3fb8aa3b, v78
	v_add_f32_e32 v74, v74, v71
	v_exp_f32_e32 v79, v78
	v_cndmask_b32_e64 v78, 0, v75, s[10:11]
	v_sub_f32_e32 v75, v76, v89
	v_add_f32_e32 v74, v74, v82
	v_cndmask_b32_e64 v83, 0, v83, s[20:21]
	v_mul_f32_e32 v75, 0x3fb8aa3b, v75
	v_sub_f32_e32 v76, v77, v89
	v_add_f32_e32 v74, v74, v83
	v_cndmask_b32_e64 v72, 0, v72, s[14:15]
	v_exp_f32_e32 v75, v75
	v_mul_f32_e32 v76, 0x3fb8aa3b, v76
	v_sub_f32_e32 v66, v66, v89
	v_add_f32_e32 v74, v74, v72
	v_cndmask_b32_e64 v73, 0, v73, s[16:17]
	v_exp_f32_e32 v77, v76
	v_mul_f32_e32 v66, 0x3fb8aa3b, v66
	v_sub_f32_e32 v67, v67, v89
	v_add_f32_e32 v74, v74, v73
	v_exp_f32_e32 v66, v66
	v_mul_f32_e32 v67, 0x3fb8aa3b, v67
	v_add_f32_e32 v74, v74, v78
	v_cndmask_b32_e64 v79, 0, v79, s[12:13]
	v_exp_f32_e32 v67, v67
	v_add_f32_e32 v74, v74, v79
	v_cndmask_b32_e64 v76, 0, v75, s[2:3]
	v_add_f32_e32 v74, v74, v76
	v_cndmask_b32_e64 v77, 0, v77, s[8:9]
	v_add_f32_e32 v74, v74, v77
	v_cndmask_b32_e32 v66, 0, v66, vcc
	v_add_f32_e32 v74, v74, v66
	v_cndmask_b32_e64 v67, 0, v67, s[0:1]
	v_add_f32_e32 v74, v74, v67
	ds_bpermute_b32 v75, v86, v74
	v_and_b32_e32 v1, 63, v0
	v_cmp_gt_u32_e32 vcc, 16, v1
	s_waitcnt lgkmcnt(0)
	s_barrier
	v_add_f32_e32 v90, v74, v75
	ds_bpermute_b32 v91, v87, v90
	s_waitcnt lgkmcnt(0)
	s_and_saveexec_b64 s[0:1], vcc
	s_cbranch_execz .LBB379_15
; %bb.14:
	v_add_f32_e32 v74, v90, v91
	v_lshlrev_b32_e32 v75, 2, v84
	ds_write2st64_b32 v75, v89, v74 offset1:1
.LBB379_15:
	s_or_b64 exec, exec, s[0:1]
	v_mov_b32_e32 v1, v95
	v_lshlrev_b32_e32 v74, 2, v1
	s_load_dword s2, s[4:5], 0x94
	s_waitcnt lgkmcnt(0)
	s_barrier
	ds_read2_b32 v[88:89], v74 offset1:16
	ds_read2_b32 v[90:91], v74 offset0:32 offset1:48
	ds_read2_b32 v[92:93], v74 offset0:64 offset1:80
	s_movk_i32 s8, 0x7fff
	s_mov_b32 s9, 0x7060302
	s_waitcnt lgkmcnt(2)
	v_max3_f32 v75, v88, s41, v89
	s_waitcnt lgkmcnt(1)
	v_max3_f32 v87, v75, v90, v91
	v_sub_f32_e32 v75, v88, v87
	v_mul_f32_e32 v75, 0x3fb8aa3b, v75
	v_exp_f32_e32 v84, v75
	v_sub_f32_e32 v75, v89, v87
	v_mul_f32_e32 v75, 0x3fb8aa3b, v75
	v_exp_f32_e32 v86, v75
	;; [unrolled: 3-line block ×3, first 2 shown]
	ds_read2_b32 v[74:75], v74 offset0:96 offset1:112
	v_sub_f32_e32 v88, v91, v87
	v_mul_f32_e32 v88, 0x3fb8aa3b, v88
	v_exp_f32_e32 v90, v88
	s_waitcnt lgkmcnt(1)
	v_fma_f32 v88, v84, v92, 0
	v_fmac_f32_e32 v88, v86, v93
	s_waitcnt lgkmcnt(0)
	v_fmac_f32_e32 v88, v89, v74
	v_fmac_f32_e32 v88, v90, v75
	v_add_f32_e32 v74, 0x358637bd, v88
	v_div_scale_f32 v75, s[0:1], v74, v74, 1.0
	v_rcp_f32_e32 v91, v75
	s_barrier
	v_fma_f32 v92, -v75, v91, 1.0
	v_fmac_f32_e32 v91, v92, v91
	v_div_scale_f32 v92, vcc, 1.0, v74, 1.0
	v_mul_f32_e32 v93, v92, v91
	v_fma_f32 v95, -v75, v93, v92
	v_fmac_f32_e32 v93, v95, v91
	v_fma_f32 v75, -v75, v93, v92
	v_div_fmas_f32 v75, v75, v91, v93
	v_lshrrev_b32_e32 v91, 6, v0
	v_cmp_eq_u32_e32 vcc, 1, v91
	v_div_fixup_f32 v74, v75, v74, 1.0
	v_cndmask_b32_e32 v75, v84, v86, vcc
	v_cmp_eq_u32_e32 vcc, 2, v91
	v_cndmask_b32_e32 v75, v75, v89, vcc
	v_cmp_eq_u32_e32 vcc, 3, v91
	v_cndmask_b32_e32 v75, v75, v90, vcc
	v_mul_f32_e32 v74, v75, v74
	v_pk_mul_f32 v[68:69], v[74:75], v[68:69] op_sel_hi:[0,1]
	v_pk_mul_f32 v[80:81], v[74:75], v[80:81] op_sel_hi:[0,1]
	v_bfe_u32 v75, v69, 16, 1
	v_bfe_u32 v84, v68, 16, 1
	v_add3_u32 v68, v68, v84, s8
	v_add3_u32 v69, v69, v75, s8
	v_perm_b32 v68, v69, v68, s9
	v_bfe_u32 v69, v81, 16, 1
	v_bfe_u32 v75, v80, 16, 1
	v_add3_u32 v75, v80, v75, s8
	v_add3_u32 v69, v81, v69, s8
	v_perm_b32 v69, v69, v75, s9
	v_lshlrev_b32_e32 v75, 3, v94
	v_lshlrev_b32_e32 v80, 5, v1
	;; [unrolled: 1-line block ×3, first 2 shown]
	v_pk_mul_f32 v[70:71], v[74:75], v[70:71] op_sel_hi:[0,1]
	v_or3_b32 v80, v81, v80, v75
	v_pk_mul_f32 v[82:83], v[74:75], v[82:83] op_sel_hi:[0,1]
	v_bfe_u32 v75, v71, 16, 1
	v_bfe_u32 v81, v70, 16, 1
	v_add3_u32 v70, v70, v81, s8
	v_add3_u32 v71, v71, v75, s8
	v_perm_b32 v70, v71, v70, s9
	v_bfe_u32 v71, v83, 16, 1
	v_bfe_u32 v75, v82, 16, 1
	v_add3_u32 v75, v82, v75, s8
	v_add3_u32 v71, v83, v71, s8
	v_perm_b32 v71, v71, v75, s9
	ds_write2st64_b64 v80, v[68:69], v[70:71] offset1:1
	v_pk_mul_f32 v[70:71], v[74:75], v[72:73] op_sel_hi:[0,1]
	v_bfe_u32 v72, v71, 16, 1
	v_bfe_u32 v73, v70, 16, 1
	v_pk_mul_f32 v[68:69], v[74:75], v[78:79] op_sel_hi:[0,1]
	v_add3_u32 v70, v70, v73, s8
	v_add3_u32 v71, v71, v72, s8
	v_perm_b32 v70, v71, v70, s9
	v_bfe_u32 v71, v69, 16, 1
	v_bfe_u32 v72, v68, 16, 1
	v_add3_u32 v68, v68, v72, s8
	v_add3_u32 v69, v69, v71, s8
	v_perm_b32 v71, v69, v68, s9
	v_pk_mul_f32 v[68:69], v[74:75], v[76:77] op_sel_hi:[0,1]
	v_bfe_u32 v72, v69, 16, 1
	v_bfe_u32 v73, v68, 16, 1
	v_pk_mul_f32 v[66:67], v[74:75], v[66:67] op_sel_hi:[0,1]
	v_add3_u32 v68, v68, v73, s8
	v_add3_u32 v69, v69, v72, s8
	v_perm_b32 v68, v69, v68, s9
	v_bfe_u32 v69, v67, 16, 1
	v_bfe_u32 v72, v66, 16, 1
	v_add3_u32 v66, v66, v72, s8
	v_add3_u32 v67, v67, v69, s8
	s_lshl_b32 s3, s40, 4
	v_perm_b32 v69, v67, v66, s9
	v_cmp_gt_u32_e32 vcc, 16, v0
	ds_write2st64_b64 v80, v[70:71], v[68:69] offset0:2 offset1:3
	s_and_saveexec_b64 s[0:1], vcc
	s_cbranch_execz .LBB379_17
; %bb.16:
	v_or_b32_e32 v66, s27, v0
	v_mov_b32_e32 v67, 0
	v_mov_b32_e32 v68, s3
	v_mad_u64_u32 v[68:69], s[10:11], s6, v68, v[66:67]
	v_mov_b32_e32 v66, s26
	s_load_dwordx4 s[12:15], s[4:5], 0x58
	s_mul_i32 s7, s7, s3
	v_mad_u64_u32 v[66:67], s[10:11], v68, s2, v[66:67]
	v_add_u32_e32 v69, s7, v69
	v_mov_b32_e32 v68, v67
	v_mad_u64_u32 v[68:69], s[10:11], v69, s2, v[68:69]
	v_mov_b32_e32 v67, v68
	v_lshlrev_b64 v[66:67], 2, v[66:67]
	s_waitcnt lgkmcnt(0)
	v_mov_b32_e32 v69, s15
	v_add_co_u32_e32 v68, vcc, s14, v66
	v_addc_co_u32_e32 v69, vcc, v69, v67, vcc
	global_store_dword v[68:69], v87, off
	v_mov_b32_e32 v68, s13
	v_add_co_u32_e32 v66, vcc, s12, v66
	v_addc_co_u32_e32 v67, vcc, v68, v67, vcc
	global_store_dword v[66:67], v88, off
.LBB379_17:
	s_or_b64 exec, exec, s[0:1]
	s_waitcnt lgkmcnt(0)
	s_barrier
	ds_read_b128 v[70:73], v85
	ds_read_b128 v[66:69], v85 offset:16
	s_waitcnt vmcnt(15) lgkmcnt(1)
	v_mfma_f32_16x16x16bf16_1k v[76:79], v[46:47], v[70:71], 0
	s_mov_b32 s1, 0
	v_cmp_gt_u32_e32 vcc, 64, v0
	v_mfma_f32_16x16x16bf16_1k v[46:49], v[48:49], v[72:73], v[76:79]
	s_waitcnt vmcnt(14) lgkmcnt(0)
	v_mfma_f32_16x16x16bf16_1k v[46:49], v[42:43], v[66:67], v[46:49]
	v_mfma_f32_16x16x16bf16_1k v[42:45], v[44:45], v[68:69], v[46:49]
	s_nop 7
	s_nop 1
	ds_read_b128 v[46:49], v85 offset:2048
	ds_read_b128 v[76:79], v85 offset:2064
	s_waitcnt vmcnt(13) lgkmcnt(1)
	v_mfma_f32_16x16x16bf16_1k v[42:45], v[38:39], v[46:47], v[42:45]
	v_mfma_f32_16x16x16bf16_1k v[38:41], v[40:41], v[48:49], v[42:45]
	s_waitcnt vmcnt(12) lgkmcnt(0)
	v_mfma_f32_16x16x16bf16_1k v[38:41], v[34:35], v[76:77], v[38:41]
	v_mfma_f32_16x16x16bf16_1k v[34:37], v[36:37], v[78:79], v[38:41]
	s_nop 7
	s_nop 1
	ds_read_b128 v[38:41], v85 offset:4096
	ds_read_b128 v[42:45], v85 offset:4112
	s_waitcnt vmcnt(11) lgkmcnt(1)
	v_mfma_f32_16x16x16bf16_1k v[34:37], v[30:31], v[38:39], v[34:37]
	v_mfma_f32_16x16x16bf16_1k v[30:33], v[32:33], v[40:41], v[34:37]
	s_waitcnt vmcnt(10) lgkmcnt(0)
	v_mfma_f32_16x16x16bf16_1k v[30:33], v[26:27], v[42:43], v[30:33]
	v_mfma_f32_16x16x16bf16_1k v[26:29], v[28:29], v[44:45], v[30:33]
	s_nop 7
	s_nop 1
	ds_read_b128 v[30:33], v85 offset:6144
	ds_read_b128 v[34:37], v85 offset:6160
	s_waitcnt lgkmcnt(0)
	s_barrier
	s_waitcnt vmcnt(9)
	v_mfma_f32_16x16x16bf16_1k v[26:29], v[22:23], v[30:31], v[26:29]
	v_mfma_f32_16x16x16bf16_1k v[22:25], v[24:25], v[32:33], v[26:29]
	s_waitcnt vmcnt(8)
	v_mfma_f32_16x16x16bf16_1k v[22:25], v[18:19], v[34:35], v[22:25]
	v_mfma_f32_16x16x16bf16_1k v[18:21], v[20:21], v[36:37], v[22:25]
	;; [unrolled: 3-line block ×4, first 2 shown]
	s_waitcnt vmcnt(5)
	v_mfma_f32_16x16x16bf16_1k v[2:5], v[14:15], v[46:47], v[2:5]
	s_nop 7
	v_bfe_u32 v6, v19, 16, 1
	v_bfe_u32 v7, v18, 16, 1
	v_add3_u32 v7, v18, v7, s8
	v_add3_u32 v6, v19, v6, s8
	v_perm_b32 v6, v6, v7, s9
	v_bfe_u32 v7, v21, 16, 1
	v_bfe_u32 v8, v20, 16, 1
	v_mfma_f32_16x16x16bf16_1k v[2:5], v[16:17], v[48:49], v[2:5]
	v_add3_u32 v8, v20, v8, s8
	v_add3_u32 v7, v21, v7, s8
	v_perm_b32 v7, v7, v8, s9
	s_waitcnt vmcnt(4)
	v_mfma_f32_16x16x16bf16_1k v[2:5], v[10:11], v[76:77], v[2:5]
	v_mfma_f32_16x16x16bf16_1k v[2:5], v[12:13], v[78:79], v[2:5]
	s_waitcnt vmcnt(3)
	v_mfma_f32_16x16x16bf16_1k v[2:5], v[54:55], v[38:39], v[2:5]
	v_mfma_f32_16x16x16bf16_1k v[2:5], v[56:57], v[40:41], v[2:5]
	;; [unrolled: 3-line block ×5, first 2 shown]
	s_nop 7
	s_nop 2
	v_bfe_u32 v8, v3, 16, 1
	v_bfe_u32 v9, v2, 16, 1
	v_add3_u32 v2, v2, v9, s8
	v_add3_u32 v3, v3, v8, s8
	v_perm_b32 v2, v3, v2, s9
	v_bfe_u32 v3, v5, 16, 1
	v_bfe_u32 v8, v4, 16, 1
	v_add3_u32 v4, v4, v8, s8
	v_add3_u32 v3, v5, v3, s8
	v_perm_b32 v3, v3, v4, s9
	ds_write2st64_b64 v80, v[6:7], v[2:3] offset1:1
	s_waitcnt lgkmcnt(0)
	s_barrier
	s_and_saveexec_b64 s[8:9], vcc
	s_cbranch_execz .LBB379_19
; %bb.18:
	v_lshlrev_b32_e32 v1, 6, v1
	v_lshlrev_b32_e32 v3, 4, v0
	v_lshl_or_b32 v0, v0, 10, v1
	v_lshlrev_b32_e32 v2, 5, v94
	v_and_b32_e32 v3, 16, v3
	v_and_b32_e32 v0, 0x1a00, v0
	v_or3_b32 v12, v0, v2, v3
	ds_read_b128 v[0:3], v12
	ds_read_b128 v[4:7], v12 offset:128
	ds_read_b128 v[8:11], v12 offset:256
	;; [unrolled: 1-line block ×3, first 2 shown]
	buffer_load_dword v18, off, s[44:47], 0 ; 4-byte Folded Reload
	buffer_load_dword v19, off, s[44:47], 0 offset:4 ; 4-byte Folded Reload
	s_load_dwordx2 s[4:5], s[4:5], 0x68
	s_lshl_b32 s7, s2, 7
	s_mul_i32 s0, s3, s6
	s_mul_hi_u32 s3, s0, s7
	s_mul_i32 s2, s0, s7
	s_lshl_b64 s[2:3], s[2:3], 1
	s_waitcnt lgkmcnt(0)
	s_add_u32 s2, s4, s2
	s_addc_u32 s3, s5, s3
	s_lshl_b32 s0, s26, 7
	s_lshl_b64 s[0:1], s[0:1], 1
	s_add_u32 s0, s2, s0
	s_addc_u32 s1, s3, s1
	v_mov_b32_e32 v16, s1
	v_or_b32_e32 v20, s27, v94
	s_waitcnt vmcnt(1)
	v_add_co_u32_e32 v18, vcc, s0, v18
	s_waitcnt vmcnt(0)
	v_addc_co_u32_e32 v19, vcc, v16, v19, vcc
	v_mad_u64_u32 v[16:17], s[0:1], v20, s7, 0
	v_lshlrev_b64 v[16:17], 1, v[16:17]
	v_add_co_u32_e32 v16, vcc, v18, v16
	v_addc_co_u32_e32 v17, vcc, v19, v17, vcc
	global_store_dwordx4 v[16:17], v[0:3], off
	s_nop 0
	v_or_b32_e32 v0, 4, v20
	v_mad_u64_u32 v[0:1], s[0:1], v0, s7, 0
	v_lshlrev_b64 v[0:1], 1, v[0:1]
	v_add_co_u32_e32 v0, vcc, v18, v0
	v_addc_co_u32_e32 v1, vcc, v19, v1, vcc
	global_store_dwordx4 v[0:1], v[4:7], off
	v_or_b32_e32 v0, 8, v20
	v_mad_u64_u32 v[0:1], s[0:1], v0, s7, 0
	v_lshlrev_b64 v[0:1], 1, v[0:1]
	v_add_co_u32_e32 v0, vcc, v18, v0
	v_addc_co_u32_e32 v1, vcc, v19, v1, vcc
	global_store_dwordx4 v[0:1], v[8:11], off
	;; [unrolled: 6-line block ×3, first 2 shown]
.LBB379_19:
	s_endpgm
	.section	.rodata,"a",@progbits
	.p2align	6, 0x0
	.amdhsa_kernel _Z39paged_attention_ll4mi_QKV_mfma16_kernelI14__hip_bfloat16S0_LN4vllm18Fp8KVCacheDataTypeE0ES0_Li32ELi128ELi256ELb0ELi16EL8MFMAType0EEvPKT_PKT0_S9_ifPKiSB_SB_iPKfiiiPfSE_PS4_PT2_iSD_SD_
		.amdhsa_group_segment_fixed_size 8192
		.amdhsa_private_segment_fixed_size 12
		.amdhsa_kernarg_size 400
		.amdhsa_user_sgpr_count 6
		.amdhsa_user_sgpr_private_segment_buffer 1
		.amdhsa_user_sgpr_dispatch_ptr 0
		.amdhsa_user_sgpr_queue_ptr 0
		.amdhsa_user_sgpr_kernarg_segment_ptr 1
		.amdhsa_user_sgpr_dispatch_id 0
		.amdhsa_user_sgpr_flat_scratch_init 0
		.amdhsa_user_sgpr_kernarg_preload_length 0
		.amdhsa_user_sgpr_kernarg_preload_offset 0
		.amdhsa_user_sgpr_private_segment_size 0
		.amdhsa_uses_dynamic_stack 0
		.amdhsa_system_sgpr_private_segment_wavefront_offset 1
		.amdhsa_system_sgpr_workgroup_id_x 1
		.amdhsa_system_sgpr_workgroup_id_y 1
		.amdhsa_system_sgpr_workgroup_id_z 1
		.amdhsa_system_sgpr_workgroup_info 0
		.amdhsa_system_vgpr_workitem_id 0
		.amdhsa_next_free_vgpr 96
		.amdhsa_next_free_sgpr 48
		.amdhsa_accum_offset 96
		.amdhsa_reserve_vcc 1
		.amdhsa_reserve_flat_scratch 0
		.amdhsa_float_round_mode_32 0
		.amdhsa_float_round_mode_16_64 0
		.amdhsa_float_denorm_mode_32 3
		.amdhsa_float_denorm_mode_16_64 3
		.amdhsa_dx10_clamp 1
		.amdhsa_ieee_mode 1
		.amdhsa_fp16_overflow 0
		.amdhsa_tg_split 0
		.amdhsa_exception_fp_ieee_invalid_op 0
		.amdhsa_exception_fp_denorm_src 0
		.amdhsa_exception_fp_ieee_div_zero 0
		.amdhsa_exception_fp_ieee_overflow 0
		.amdhsa_exception_fp_ieee_underflow 0
		.amdhsa_exception_fp_ieee_inexact 0
		.amdhsa_exception_int_div_zero 0
	.end_amdhsa_kernel
	.section	.text._Z39paged_attention_ll4mi_QKV_mfma16_kernelI14__hip_bfloat16S0_LN4vllm18Fp8KVCacheDataTypeE0ES0_Li32ELi128ELi256ELb0ELi16EL8MFMAType0EEvPKT_PKT0_S9_ifPKiSB_SB_iPKfiiiPfSE_PS4_PT2_iSD_SD_,"axG",@progbits,_Z39paged_attention_ll4mi_QKV_mfma16_kernelI14__hip_bfloat16S0_LN4vllm18Fp8KVCacheDataTypeE0ES0_Li32ELi128ELi256ELb0ELi16EL8MFMAType0EEvPKT_PKT0_S9_ifPKiSB_SB_iPKfiiiPfSE_PS4_PT2_iSD_SD_,comdat
.Lfunc_end379:
	.size	_Z39paged_attention_ll4mi_QKV_mfma16_kernelI14__hip_bfloat16S0_LN4vllm18Fp8KVCacheDataTypeE0ES0_Li32ELi128ELi256ELb0ELi16EL8MFMAType0EEvPKT_PKT0_S9_ifPKiSB_SB_iPKfiiiPfSE_PS4_PT2_iSD_SD_, .Lfunc_end379-_Z39paged_attention_ll4mi_QKV_mfma16_kernelI14__hip_bfloat16S0_LN4vllm18Fp8KVCacheDataTypeE0ES0_Li32ELi128ELi256ELb0ELi16EL8MFMAType0EEvPKT_PKT0_S9_ifPKiSB_SB_iPKfiiiPfSE_PS4_PT2_iSD_SD_
                                        ; -- End function
	.section	.AMDGPU.csdata,"",@progbits
; Kernel info:
; codeLenInByte = 5152
; NumSgprs: 52
; NumVgprs: 96
; NumAgprs: 0
; TotalNumVgprs: 96
; ScratchSize: 12
; MemoryBound: 0
; FloatMode: 240
; IeeeMode: 1
; LDSByteSize: 8192 bytes/workgroup (compile time only)
; SGPRBlocks: 6
; VGPRBlocks: 11
; NumSGPRsForWavesPerEU: 52
; NumVGPRsForWavesPerEU: 96
; AccumOffset: 96
; Occupancy: 5
; WaveLimiterHint : 1
; COMPUTE_PGM_RSRC2:SCRATCH_EN: 1
; COMPUTE_PGM_RSRC2:USER_SGPR: 6
; COMPUTE_PGM_RSRC2:TRAP_HANDLER: 0
; COMPUTE_PGM_RSRC2:TGID_X_EN: 1
; COMPUTE_PGM_RSRC2:TGID_Y_EN: 1
; COMPUTE_PGM_RSRC2:TGID_Z_EN: 1
; COMPUTE_PGM_RSRC2:TIDIG_COMP_CNT: 0
; COMPUTE_PGM_RSRC3_GFX90A:ACCUM_OFFSET: 23
; COMPUTE_PGM_RSRC3_GFX90A:TG_SPLIT: 0
	.section	.text._Z39paged_attention_ll4mi_QKV_mfma16_kernelI14__hip_bfloat16S0_LN4vllm18Fp8KVCacheDataTypeE0ES0_Li32ELi128ELi256ELb0ELi1EL8MFMAType0EEvPKT_PKT0_S9_ifPKiSB_SB_iPKfiiiPfSE_PS4_PT2_iSD_SD_,"axG",@progbits,_Z39paged_attention_ll4mi_QKV_mfma16_kernelI14__hip_bfloat16S0_LN4vllm18Fp8KVCacheDataTypeE0ES0_Li32ELi128ELi256ELb0ELi1EL8MFMAType0EEvPKT_PKT0_S9_ifPKiSB_SB_iPKfiiiPfSE_PS4_PT2_iSD_SD_,comdat
	.protected	_Z39paged_attention_ll4mi_QKV_mfma16_kernelI14__hip_bfloat16S0_LN4vllm18Fp8KVCacheDataTypeE0ES0_Li32ELi128ELi256ELb0ELi1EL8MFMAType0EEvPKT_PKT0_S9_ifPKiSB_SB_iPKfiiiPfSE_PS4_PT2_iSD_SD_ ; -- Begin function _Z39paged_attention_ll4mi_QKV_mfma16_kernelI14__hip_bfloat16S0_LN4vllm18Fp8KVCacheDataTypeE0ES0_Li32ELi128ELi256ELb0ELi1EL8MFMAType0EEvPKT_PKT0_S9_ifPKiSB_SB_iPKfiiiPfSE_PS4_PT2_iSD_SD_
	.globl	_Z39paged_attention_ll4mi_QKV_mfma16_kernelI14__hip_bfloat16S0_LN4vllm18Fp8KVCacheDataTypeE0ES0_Li32ELi128ELi256ELb0ELi1EL8MFMAType0EEvPKT_PKT0_S9_ifPKiSB_SB_iPKfiiiPfSE_PS4_PT2_iSD_SD_
	.p2align	8
	.type	_Z39paged_attention_ll4mi_QKV_mfma16_kernelI14__hip_bfloat16S0_LN4vllm18Fp8KVCacheDataTypeE0ES0_Li32ELi128ELi256ELb0ELi1EL8MFMAType0EEvPKT_PKT0_S9_ifPKiSB_SB_iPKfiiiPfSE_PS4_PT2_iSD_SD_,@function
_Z39paged_attention_ll4mi_QKV_mfma16_kernelI14__hip_bfloat16S0_LN4vllm18Fp8KVCacheDataTypeE0ES0_Li32ELi128ELi256ELb0ELi1EL8MFMAType0EEvPKT_PKT0_S9_ifPKiSB_SB_iPKfiiiPfSE_PS4_PT2_iSD_SD_: ; @_Z39paged_attention_ll4mi_QKV_mfma16_kernelI14__hip_bfloat16S0_LN4vllm18Fp8KVCacheDataTypeE0ES0_Li32ELi128ELi256ELb0ELi1EL8MFMAType0EEvPKT_PKT0_S9_ifPKiSB_SB_iPKfiiiPfSE_PS4_PT2_iSD_SD_
; %bb.0:
	s_mov_b64 s[46:47], s[2:3]
	s_mov_b64 s[44:45], s[0:1]
	s_load_dwordx2 s[0:1], s[4:5], 0x30
	s_add_u32 s44, s44, s9
	s_addc_u32 s45, s45, 0
	s_mov_b32 s9, s7
	s_mov_b64 s[10:11], 0
	s_waitcnt lgkmcnt(0)
	s_cmp_lg_u64 s[0:1], 0
	s_cselect_b64 s[2:3], -1, 0
	s_and_b64 vcc, exec, s[2:3]
	s_cbranch_vccz .LBB380_7
; %bb.1:
	s_add_i32 s12, s6, 1
	s_mov_b32 s13, 0
	s_lshl_b64 s[14:15], s[12:13], 2
	s_add_u32 s14, s0, s14
	s_mov_b32 s7, s13
	s_addc_u32 s15, s1, s15
	s_lshl_b64 s[12:13], s[6:7], 2
	s_add_u32 s12, s0, s12
	s_addc_u32 s13, s1, s13
	s_load_dword s16, s[14:15], 0x0
	s_load_dword s17, s[12:13], 0x0
	s_waitcnt lgkmcnt(0)
	s_sub_i32 s12, s16, s17
	s_cmp_eq_u32 s12, 1
	s_cselect_b64 s[12:13], -1, 0
	s_andn2_b64 vcc, exec, s[10:11]
	s_cbranch_vccnz .LBB380_3
.LBB380_2:
	s_mov_b32 s7, 0
	s_mov_b64 s[12:13], -1
.LBB380_3:
	s_andn2_b64 vcc, exec, s[12:13]
	s_cbranch_vccnz .LBB380_19
; %bb.4:
	s_load_dwordx2 s[12:13], s[4:5], 0x28
	s_lshl_b64 s[10:11], s[6:7], 2
	s_waitcnt lgkmcnt(0)
	s_add_u32 s12, s12, s10
	s_addc_u32 s13, s13, s11
	s_load_dword s33, s[12:13], 0x0
	s_lshl_b32 s16, s9, 8
	s_waitcnt lgkmcnt(0)
	s_cmp_ge_i32 s16, s33
	s_cbranch_scc1 .LBB380_19
; %bb.5:
	s_add_i32 s15, s33, 31
	s_load_dwordx2 s[12:13], s[4:5], 0x20
	s_load_dword s14, s[4:5], 0x38
	s_ashr_i32 s17, s15, 31
	v_and_b32_e32 v1, 0xcf, v0
	s_lshr_b32 s17, s17, 27
	v_add_u32_e32 v1, s16, v1
	s_add_i32 s15, s15, s17
	v_ashrrev_i32_e32 v2, 31, v1
	s_ashr_i32 s19, s15, 5
	v_lshrrev_b32_e32 v10, 27, v2
	s_add_i32 s19, s19, -1
	v_add_u32_e32 v2, v1, v10
	s_waitcnt lgkmcnt(0)
	s_mul_i32 s14, s6, s14
	s_mov_b32 s15, 0
	v_ashrrev_i32_e32 v2, 5, v2
	v_mov_b32_e32 v11, s19
	v_cmp_gt_i32_e32 vcc, s33, v1
	s_lshl_b64 s[14:15], s[14:15], 2
	v_cndmask_b32_e32 v2, v11, v2, vcc
	s_add_u32 s17, s12, s14
	v_ashrrev_i32_e32 v3, 31, v2
	s_addc_u32 s18, s13, s15
	v_lshlrev_b64 v[2:3], 2, v[2:3]
	v_mov_b32_e32 v4, s18
	v_add_co_u32_e32 v2, vcc, s17, v2
	v_addc_co_u32_e32 v3, vcc, v4, v3, vcc
	v_or_b32_e32 v4, 16, v1
	v_add_u32_e32 v5, v4, v10
	v_ashrrev_i32_e32 v5, 5, v5
	v_cmp_gt_i32_e32 vcc, s33, v4
	v_cndmask_b32_e32 v4, v11, v5, vcc
	v_ashrrev_i32_e32 v5, 31, v4
	v_lshlrev_b64 v[4:5], 2, v[4:5]
	v_mov_b32_e32 v7, s18
	v_add_co_u32_e32 v6, vcc, s17, v4
	v_or_b32_e32 v4, 32, v1
	v_addc_co_u32_e32 v7, vcc, v7, v5, vcc
	v_add_u32_e32 v5, v4, v10
	v_ashrrev_i32_e32 v5, 5, v5
	v_cmp_gt_i32_e32 vcc, s33, v4
	v_cndmask_b32_e32 v4, v11, v5, vcc
	v_ashrrev_i32_e32 v5, 31, v4
	v_lshlrev_b64 v[4:5], 2, v[4:5]
	v_mov_b32_e32 v9, s18
	v_add_co_u32_e32 v8, vcc, s17, v4
	v_or_b32_e32 v1, 48, v1
	v_addc_co_u32_e32 v9, vcc, v9, v5, vcc
	v_add_u32_e32 v4, v1, v10
	v_ashrrev_i32_e32 v4, 5, v4
	v_cmp_gt_i32_e32 vcc, s33, v1
	v_cndmask_b32_e32 v4, v11, v4, vcc
	v_ashrrev_i32_e32 v5, 31, v4
	v_lshlrev_b64 v[4:5], 2, v[4:5]
	v_mov_b32_e32 v1, s18
	v_add_co_u32_e32 v10, vcc, s17, v4
	v_addc_co_u32_e32 v11, vcc, v1, v5, vcc
	global_load_dword v5, v[2:3], off
	global_load_dword v4, v[6:7], off
	;; [unrolled: 1-line block ×4, first 2 shown]
	s_andn2_b64 vcc, exec, s[2:3]
	s_cbranch_vccnz .LBB380_8
; %bb.6:
	s_add_u32 s0, s0, s10
	s_addc_u32 s1, s1, s11
	s_load_dword s20, s[0:1], 0x0
	s_branch .LBB380_9
.LBB380_7:
	s_mov_b64 s[12:13], 0
	s_branch .LBB380_2
.LBB380_8:
	s_mov_b32 s20, s6
.LBB380_9:
	s_load_dwordx4 s[12:15], s[4:5], 0x8
	s_load_dwordx4 s[0:3], s[4:5], 0x48
	v_lshrrev_b32_e32 v85, 6, v0
	v_bfe_u32 v1, v0, 4, 2
	v_lshl_or_b32 v3, v85, 2, v1
	v_and_b32_e32 v72, 15, v0
	v_lshlrev_b32_e32 v2, 3, v72
	v_cmp_ne_u32_e32 vcc, 0, v3
	s_and_saveexec_b64 s[10:11], vcc
	s_xor_b64 s[10:11], exec, s[10:11]
; %bb.10:
	v_mov_b32_e32 v3, 0
; %bb.11:
	s_andn2_saveexec_b64 s[10:11], s[10:11]
	s_cbranch_execz .LBB380_13
; %bb.12:
	s_load_dwordx2 s[22:23], s[4:5], 0x0
	s_waitcnt lgkmcnt(0)
	s_ashr_i32 s3, s0, 31
	s_mul_hi_u32 s21, s20, s0
	s_mul_i32 s3, s20, s3
	s_add_i32 s21, s21, s3
	s_mul_i32 s20, s20, s0
	s_lshl_b64 s[20:21], s[20:21], 1
	s_add_u32 s0, s22, s20
	s_addc_u32 s3, s23, s21
	s_lshl_b32 s20, s8, 7
	s_ashr_i32 s21, s20, 31
	s_lshl_b64 s[20:21], s[20:21], 1
	s_add_u32 s20, s0, s20
	s_addc_u32 s21, s3, s21
	v_lshlrev_b32_e32 v3, 1, v2
	global_load_dwordx4 v[6:9], v3, s[20:21]
	v_and_b32_e32 v10, 3, v0
	v_lshlrev_b32_e32 v11, 9, v72
	v_lshlrev_b32_e32 v10, 9, v10
	s_movk_i32 s0, 0x1800
	v_mov_b32_e32 v3, 0
	v_and_or_b32 v10, v11, s0, v10
	s_waitcnt vmcnt(0)
	ds_write_b128 v10, v[6:9]
.LBB380_13:
	s_or_b64 exec, exec, s[10:11]
	s_waitcnt lgkmcnt(0)
	s_mul_i32 s2, s8, s2
	s_mov_b32 s3, 0
	s_lshl_b64 s[2:3], s[2:3], 1
	s_add_u32 s0, s12, s2
	s_addc_u32 s10, s13, s3
	s_waitcnt vmcnt(3)
	v_mad_i64_i32 v[6:7], s[12:13], v5, s1, 0
	v_lshlrev_b64 v[6:7], 1, v[6:7]
	v_mov_b32_e32 v5, s10
	v_add_co_u32_e32 v6, vcc, s0, v6
	v_addc_co_u32_e32 v5, vcc, v5, v7, vcc
	v_lshlrev_b64 v[54:55], 1, v[2:3]
	v_add_co_u32_e32 v27, vcc, v6, v54
	v_lshlrev_b32_e32 v26, 9, v1
	v_addc_co_u32_e32 v28, vcc, v5, v55, vcc
	v_add_co_u32_e32 v2, vcc, v27, v26
	v_addc_co_u32_e32 v3, vcc, 0, v28, vcc
	s_barrier
	global_load_dwordx4 v[10:13], v[2:3], off
	s_waitcnt vmcnt(3)
	v_mad_i64_i32 v[4:5], s[12:13], v4, s1, 0
	v_lshlrev_b64 v[4:5], 1, v[4:5]
	v_mov_b32_e32 v6, s10
	v_add_co_u32_e32 v4, vcc, s0, v4
	v_addc_co_u32_e32 v5, vcc, v6, v5, vcc
	v_mov_b32_e32 v6, 0x100
	v_lshl_or_b32 v29, v72, 4, v6
	v_add_co_u32_e32 v30, vcc, v4, v29
	v_addc_co_u32_e32 v31, vcc, 0, v5, vcc
	v_add_co_u32_e32 v22, vcc, v30, v26
	v_addc_co_u32_e32 v23, vcc, 0, v31, vcc
	global_load_dwordx4 v[18:21], v[22:23], off
	global_load_dwordx4 v[14:17], v[2:3], off offset:2048
	ds_read_b128 v[6:9], v26
	ds_read_b128 v[2:5], v26 offset:2048
	v_or_b32_e32 v48, 0x1000, v26
	global_load_dwordx4 v[36:39], v[22:23], off offset:2048
	v_or_b32_e32 v49, 0x1800, v26
	s_ashr_i32 s11, s16, 31
	v_and_or_b32 v66, v0, 48, s16
	v_mov_b32_e32 v67, s19
	v_lshl_or_b32 v87, v85, 4, v72
	v_lshlrev_b32_e32 v83, 6, v87
	v_mov_b32_e32 v84, v72
	s_mov_b32 s40, 0xff7fffff
	s_waitcnt vmcnt(3) lgkmcnt(1)
	v_mfma_f32_16x16x16bf16_1k v[32:35], v[10:11], v[6:7], 0
	v_mfma_f32_16x16x16bf16_1k v[10:13], v[12:13], v[8:9], v[32:35]
	s_waitcnt vmcnt(2)
	v_mfma_f32_16x16x16bf16_1k v[40:43], v[18:19], v[6:7], 0
	v_add_co_u32_e32 v18, vcc, v27, v48
	v_addc_co_u32_e32 v19, vcc, 0, v28, vcc
	v_add_co_u32_e32 v22, vcc, v30, v48
	v_addc_co_u32_e32 v23, vcc, 0, v31, vcc
	s_waitcnt vmcnt(1) lgkmcnt(0)
	v_mfma_f32_16x16x16bf16_1k v[10:13], v[14:15], v[2:3], v[10:13]
	v_add_co_u32_e32 v14, vcc, v27, v49
	v_addc_co_u32_e32 v15, vcc, 0, v28, vcc
	global_load_dwordx4 v[32:35], v[18:19], off
	global_load_dwordx4 v[44:47], v[14:15], off
	v_add_co_u32_e32 v14, vcc, v30, v49
	v_addc_co_u32_e32 v15, vcc, 0, v31, vcc
	v_mfma_f32_16x16x16bf16_1k v[18:21], v[20:21], v[8:9], v[40:43]
	global_load_dwordx4 v[56:59], v[14:15], off
	v_mov_b32_e32 v28, s10
	s_nop 4
	global_load_dwordx4 v[40:43], v[22:23], off
	v_mad_i64_i32 v[22:23], s[12:13], v25, s1, 0
	v_lshlrev_b64 v[22:23], 1, v[22:23]
	v_mov_b32_e32 v25, s10
	v_add_co_u32_e32 v22, vcc, s0, v22
	v_addc_co_u32_e32 v23, vcc, v25, v23, vcc
	v_mfma_f32_16x16x16bf16_1k v[14:17], v[16:17], v[4:5], v[10:13]
	s_nop 6
	ds_read_b128 v[10:13], v26 offset:4096
	ds_read_b128 v[50:53], v26 offset:6144
	v_add_co_u32_e32 v27, vcc, v22, v54
	buffer_store_dword v54, off, s[44:47], 0 ; 4-byte Folded Spill
	s_nop 0
	buffer_store_dword v55, off, s[44:47], 0 offset:4 ; 4-byte Folded Spill
	s_lshr_b32 s10, s11, 27
	s_add_u32 s2, s14, s2
	s_addc_u32 s3, s15, s3
	s_waitcnt vmcnt(6)
	v_mfma_f32_16x16x16bf16_1k v[18:21], v[36:37], v[2:3], v[18:21]
	v_addc_co_u32_e32 v54, vcc, v23, v55, vcc
	v_add_co_u32_e32 v22, vcc, v27, v26
	v_addc_co_u32_e32 v23, vcc, 0, v54, vcc
	v_mfma_f32_16x16x16bf16_1k v[18:21], v[38:39], v[4:5], v[18:21]
	s_waitcnt vmcnt(5) lgkmcnt(1)
	v_mfma_f32_16x16x16bf16_1k v[14:17], v[32:33], v[10:11], v[14:17]
	global_load_dwordx4 v[30:33], v[22:23], off
	global_load_dwordx4 v[36:39], v[22:23], off offset:2048
	v_mad_i64_i32 v[22:23], s[12:13], v24, s1, 0
	s_waitcnt vmcnt(4)
	v_mfma_f32_16x16x16bf16_1k v[18:21], v[40:41], v[10:11], v[18:21]
	v_lshlrev_b64 v[40:41], 1, v[22:23]
	v_add_co_u32_e32 v22, vcc, v27, v48
	v_addc_co_u32_e32 v23, vcc, 0, v54, vcc
	global_load_dwordx4 v[22:25], v[22:23], off
	v_mfma_f32_16x16x16bf16_1k v[14:17], v[34:35], v[12:13], v[14:17]
	v_add_co_u32_e32 v34, vcc, s0, v40
	v_addc_co_u32_e32 v28, vcc, v28, v41, vcc
	v_add_co_u32_e32 v70, vcc, v34, v29
	v_addc_co_u32_e32 v71, vcc, 0, v28, vcc
	v_mfma_f32_16x16x16bf16_1k v[18:21], v[42:43], v[12:13], v[18:21]
	v_add_co_u32_e32 v28, vcc, v27, v49
	v_addc_co_u32_e32 v29, vcc, 0, v54, vcc
	v_add_u32_e32 v35, s10, v66
	v_ashrrev_i32_e32 v55, 5, v35
	s_load_dword s0, s[4:5], 0x1c
	s_waitcnt lgkmcnt(0)
	v_mfma_f32_16x16x16bf16_1k v[40:43], v[44:45], v[50:51], v[14:17]
	s_nop 6
	v_add_co_u32_e32 v14, vcc, v70, v26
	v_addc_co_u32_e32 v15, vcc, 0, v71, vcc
	v_add_co_u32_e32 v34, vcc, v70, v48
	v_addc_co_u32_e32 v35, vcc, 0, v71, vcc
	v_mfma_f32_16x16x16bf16_1k v[18:21], v[56:57], v[50:51], v[18:21]
	v_cmp_gt_i32_e32 vcc, s33, v66
	global_load_dwordx4 v[26:29], v[28:29], off
	s_nop 0
	global_load_dwordx4 v[62:65], v[14:15], off
	s_nop 0
	global_load_dwordx4 v[14:17], v[14:15], off offset:2048
	v_cndmask_b32_e32 v44, v67, v55, vcc
	v_ashrrev_i32_e32 v45, 31, v44
	v_lshlrev_b64 v[44:45], 2, v[44:45]
	v_mfma_f32_16x16x16bf16_1k v[54:57], v[46:47], v[52:53], v[40:43]
	s_nop 6
	v_mov_b32_e32 v41, s18
	v_add_co_u32_e32 v40, vcc, s17, v44
	v_addc_co_u32_e32 v41, vcc, v41, v45, vcc
	global_load_dword v42, v[40:41], off
	v_or_b32_e32 v40, 64, v66
	v_mfma_f32_16x16x16bf16_1k v[58:61], v[58:59], v[52:53], v[18:21]
	v_cmp_gt_i32_e32 vcc, s33, v40
	v_mov_b32_e32 v43, s18
	s_nop 4
	v_add_u32_e32 v18, s10, v40
	v_ashrrev_i32_e32 v18, 5, v18
	v_cndmask_b32_e32 v18, v67, v18, vcc
	v_ashrrev_i32_e32 v19, 31, v18
	v_lshlrev_b64 v[40:41], 2, v[18:19]
	s_waitcnt vmcnt(6)
	v_mfma_f32_16x16x16bf16_1k v[18:21], v[30:31], v[6:7], 0
	v_add_co_u32_e32 v30, vcc, s17, v40
	v_addc_co_u32_e32 v31, vcc, v43, v41, vcc
	global_load_dword v40, v[30:31], off
	v_or_b32_e32 v30, 0x80, v66
	v_add_u32_e32 v31, s10, v30
	v_ashrrev_i32_e32 v31, 5, v31
	v_cmp_gt_i32_e32 vcc, s33, v30
	v_cndmask_b32_e32 v30, v67, v31, vcc
	v_ashrrev_i32_e32 v31, 31, v30
	v_lshlrev_b64 v[30:31], 2, v[30:31]
	v_mfma_f32_16x16x16bf16_1k v[18:21], v[32:33], v[8:9], v[18:21]
	v_mov_b32_e32 v32, s18
	v_add_co_u32_e32 v30, vcc, s17, v30
	v_addc_co_u32_e32 v31, vcc, v32, v31, vcc
	global_load_dword v32, v[30:31], off
	v_or_b32_e32 v30, 0xc0, v66
	s_waitcnt vmcnt(7)
	v_mfma_f32_16x16x16bf16_1k v[18:21], v[36:37], v[2:3], v[18:21]
	v_add_u32_e32 v31, s10, v30
	v_ashrrev_i32_e32 v31, 5, v31
	v_cmp_gt_i32_e32 vcc, s33, v30
	v_cndmask_b32_e32 v30, v67, v31, vcc
	global_load_dwordx4 v[66:69], v[34:35], off
	v_ashrrev_i32_e32 v31, 31, v30
	v_lshlrev_b64 v[30:31], 2, v[30:31]
	v_mfma_f32_16x16x16bf16_1k v[18:21], v[38:39], v[4:5], v[18:21]
	v_mov_b32_e32 v33, s18
	v_add_co_u32_e32 v30, vcc, s17, v30
	v_addc_co_u32_e32 v31, vcc, v33, v31, vcc
	global_load_dword v80, v[30:31], off
	s_waitcnt vmcnt(8)
	v_mfma_f32_16x16x16bf16_1k v[18:21], v[22:23], v[10:11], v[18:21]
	v_add_co_u32_e32 v22, vcc, v70, v49
	v_addc_co_u32_e32 v23, vcc, 0, v71, vcc
	global_load_dwordx4 v[88:91], v[22:23], off
	v_and_b32_e32 v22, 16, v0
	v_lshlrev_b32_e32 v22, 1, v22
	v_mfma_f32_16x16x16bf16_1k v[18:21], v[24:25], v[12:13], v[18:21]
	v_mov_b32_e32 v23, s3
	v_add_co_u32_e32 v81, vcc, s2, v22
	v_addc_co_u32_e32 v82, vcc, 0, v23, vcc
	v_add_co_u32_e32 v22, vcc, v81, v83
	s_waitcnt vmcnt(8)
	v_mfma_f32_16x16x16bf16_1k v[18:21], v[26:27], v[50:51], v[18:21]
	v_addc_co_u32_e32 v23, vcc, 0, v82, vcc
	v_mfma_f32_16x16x16bf16_1k v[76:79], v[28:29], v[52:53], v[18:21]
	s_waitcnt vmcnt(5)
	s_nop 7
	v_mad_i64_i32 v[18:19], s[2:3], v42, s1, 0
	v_lshlrev_b64 v[70:71], 1, v[18:19]
	v_mfma_f32_16x16x16bf16_1k v[18:21], v[62:63], v[6:7], 0
	v_add_co_u32_e32 v6, vcc, v22, v70
	v_addc_co_u32_e32 v7, vcc, v23, v71, vcc
	global_load_dwordx4 v[46:49], v[6:7], off
	global_load_dwordx4 v[42:45], v[6:7], off offset:16
	v_pk_mul_f32 v[78:79], s[0:1], v[78:79] op_sel_hi:[0,1]
	s_waitcnt vmcnt(6)
	v_mad_i64_i32 v[6:7], s[2:3], v40, s1, 0
	v_lshlrev_b64 v[72:73], 1, v[6:7]
	v_mfma_f32_16x16x16bf16_1k v[6:9], v[64:65], v[8:9], v[18:21]
	v_mfma_f32_16x16x16bf16_1k v[6:9], v[14:15], v[2:3], v[6:9]
	s_nop 5
	v_add_co_u32_e32 v18, vcc, v22, v72
	v_addc_co_u32_e32 v19, vcc, v23, v73, vcc
	global_load_dwordx4 v[38:41], v[18:19], off
	global_load_dwordx4 v[34:37], v[18:19], off offset:16
	s_waitcnt vmcnt(7)
	v_mad_i64_i32 v[18:19], s[2:3], v32, s1, 0
	v_lshlrev_b64 v[64:65], 1, v[18:19]
	v_add_co_u32_e32 v2, vcc, v22, v64
	v_addc_co_u32_e32 v3, vcc, v23, v65, vcc
	global_load_dwordx4 v[30:33], v[2:3], off
	global_load_dwordx4 v[26:29], v[2:3], off offset:16
	v_mfma_f32_16x16x16bf16_1k v[2:5], v[16:17], v[4:5], v[6:9]
	s_waitcnt vmcnt(8)
	v_mfma_f32_16x16x16bf16_1k v[2:5], v[66:67], v[10:11], v[2:5]
	s_waitcnt vmcnt(7)
	s_nop 3
	v_mad_i64_i32 v[6:7], s[2:3], v80, s1, 0
	v_lshlrev_b64 v[62:63], 1, v[6:7]
	v_add_co_u32_e32 v6, vcc, v22, v62
	v_addc_co_u32_e32 v7, vcc, v23, v63, vcc
	v_mfma_f32_16x16x16bf16_1k v[10:13], v[68:69], v[12:13], v[2:5]
	global_load_dwordx4 v[22:25], v[6:7], off
	global_load_dwordx4 v[18:21], v[6:7], off offset:16
	v_or_b32_e32 v6, 0x1000, v83
	v_add_co_u32_e32 v86, vcc, v81, v6
	v_addc_co_u32_e32 v74, vcc, 0, v82, vcc
	s_nop 1
	v_add_co_u32_e32 v2, vcc, v86, v70
	s_waitcnt vmcnt(8)
	v_mfma_f32_16x16x16bf16_1k v[92:95], v[88:89], v[50:51], v[10:13]
	v_addc_co_u32_e32 v3, vcc, v74, v71, vcc
	v_add_co_u32_e32 v66, vcc, v86, v72
	v_addc_co_u32_e32 v67, vcc, v74, v73, vcc
	v_pk_mul_f32 v[72:73], s[0:1], v[76:77] op_sel_hi:[0,1]
	v_mfma_f32_16x16x16bf16_1k v[50:53], v[90:91], v[52:53], v[92:95]
	global_load_dwordx4 v[6:9], v[2:3], off
	s_nop 0
	global_load_dwordx4 v[2:5], v[2:3], off offset:16
	s_nop 0
	global_load_dwordx4 v[14:17], v[66:67], off
	global_load_dwordx4 v[10:13], v[66:67], off offset:16
	v_pk_mul_f32 v[68:69], s[0:1], v[54:55] op_sel_hi:[0,1]
	v_pk_mul_f32 v[80:81], s[0:1], v[56:57] op_sel_hi:[0,1]
	;; [unrolled: 1-line block ×4, first 2 shown]
	s_nop 0
	v_pk_mul_f32 v[76:77], s[0:1], v[50:51] op_sel_hi:[0,1]
	v_and_b32_e32 v50, 0xc0, v0
	v_add_u32_e32 v50, s16, v50
	v_lshl_or_b32 v50, v1, 2, v50
	v_pk_mul_f32 v[66:67], s[0:1], v[52:53] op_sel_hi:[0,1]
	v_or_b32_e32 v53, 1, v50
	v_mov_b32_e32 v51, 0xff7fffff
	v_cmp_gt_i32_e64 s[28:29], s33, v50
	v_cmp_gt_i32_e64 s[30:31], s33, v53
	v_cndmask_b32_e64 v52, v51, v68, s[28:29]
	v_cndmask_b32_e64 v53, v51, v69, s[30:31]
	v_max3_f32 v52, v52, s40, v53
	v_or_b32_e32 v53, 2, v50
	v_or_b32_e32 v54, 3, v50
	v_cmp_gt_i32_e64 s[34:35], s33, v53
	v_cmp_gt_i32_e64 s[36:37], s33, v54
	v_cndmask_b32_e64 v53, v51, v80, s[34:35]
	v_cndmask_b32_e64 v54, v51, v81, s[36:37]
	v_max3_f32 v52, v52, v53, v54
	v_or_b32_e32 v53, 16, v50
	v_or_b32_e32 v54, 17, v50
	;; [unrolled: 7-line block ×7, first 2 shown]
	v_cmp_gt_i32_e32 vcc, s33, v53
	v_cmp_gt_i32_e64 s[0:1], s33, v50
	v_cndmask_b32_e32 v53, v51, v66, vcc
	v_cndmask_b32_e64 v50, v51, v67, s[0:1]
	v_max3_f32 v58, v52, v53, v50
	v_mbcnt_lo_u32_b32 v50, -1, 0
	v_mbcnt_hi_u32_b32 v59, -1, v50
	v_and_b32_e32 v50, 64, v59
	v_add_u32_e32 v60, 64, v50
	v_xor_b32_e32 v50, 32, v59
	v_cmp_lt_i32_e64 s[38:39], v50, v60
	v_cndmask_b32_e64 v50, v59, v50, s[38:39]
	v_lshlrev_b32_e32 v75, 2, v50
	ds_bpermute_b32 v61, v75, v58
	v_add_co_u32_e64 v50, s[38:39], v86, v64
	v_addc_co_u32_e64 v51, s[38:39], v74, v65, s[38:39]
	s_waitcnt lgkmcnt(0)
	v_max_f32_e32 v61, v61, v61
	v_max_f32_e32 v61, v58, v61
	v_xor_b32_e32 v58, 16, v59
	v_cmp_lt_i32_e64 s[38:39], v58, v60
	v_cndmask_b32_e64 v58, v59, v58, s[38:39]
	v_lshlrev_b32_e32 v90, 2, v58
	ds_bpermute_b32 v60, v90, v61
	v_add_co_u32_e64 v58, s[38:39], v86, v62
	v_addc_co_u32_e64 v59, s[38:39], v74, v63, s[38:39]
	s_waitcnt lgkmcnt(0)
	v_max_f32_e32 v60, v60, v60
	v_max_f32_e32 v88, v61, v60
	v_sub_f32_e32 v60, v68, v88
	v_mul_f32_e32 v60, 0x3fb8aa3b, v60
	v_exp_f32_e32 v68, v60
	v_sub_f32_e32 v60, v69, v88
	v_mul_f32_e32 v60, 0x3fb8aa3b, v60
	global_load_dwordx4 v[54:57], v[50:51], off
	s_nop 0
	global_load_dwordx4 v[50:53], v[50:51], off offset:16
	v_exp_f32_e32 v69, v60
	global_load_dwordx4 v[62:65], v[58:59], off
	s_nop 0
	global_load_dwordx4 v[58:61], v[58:59], off offset:16
	v_sub_f32_e32 v80, v80, v88
	v_mul_f32_e32 v80, 0x3fb8aa3b, v80
	v_sub_f32_e32 v81, v81, v88
	v_exp_f32_e32 v80, v80
	v_mul_f32_e32 v81, 0x3fb8aa3b, v81
	v_sub_f32_e32 v70, v70, v88
	v_exp_f32_e32 v81, v81
	v_mul_f32_e32 v70, 0x3fb8aa3b, v70
	v_sub_f32_e32 v71, v71, v88
	v_cndmask_b32_e64 v68, 0, v68, s[28:29]
	v_exp_f32_e32 v70, v70
	v_mul_f32_e32 v71, 0x3fb8aa3b, v71
	v_sub_f32_e32 v82, v82, v88
	v_add_f32_e32 v74, 0, v68
	v_cndmask_b32_e64 v69, 0, v69, s[30:31]
	v_exp_f32_e32 v71, v71
	v_mul_f32_e32 v82, 0x3fb8aa3b, v82
	v_sub_f32_e32 v83, v83, v88
	v_add_f32_e32 v74, v74, v69
	;; [unrolled: 5-line block ×10, first 2 shown]
	v_cndmask_b32_e64 v78, 0, v78, s[10:11]
	v_exp_f32_e32 v66, v66
	v_mul_f32_e32 v67, 0x3fb8aa3b, v67
	v_add_f32_e32 v74, v74, v78
	v_cndmask_b32_e64 v79, 0, v79, s[12:13]
	v_exp_f32_e32 v67, v67
	v_add_f32_e32 v74, v74, v79
	v_cndmask_b32_e64 v76, 0, v76, s[2:3]
	v_add_f32_e32 v74, v74, v76
	v_cndmask_b32_e64 v77, 0, v77, s[26:27]
	v_add_f32_e32 v74, v74, v77
	v_cndmask_b32_e32 v66, 0, v66, vcc
	v_add_f32_e32 v74, v74, v66
	v_cndmask_b32_e64 v67, 0, v67, s[0:1]
	v_add_f32_e32 v74, v74, v67
	ds_bpermute_b32 v75, v75, v74
	v_and_b32_e32 v1, 63, v0
	v_cmp_lt_u32_e64 s[0:1], 15, v1
	v_cmp_gt_u32_e32 vcc, 16, v1
	s_waitcnt lgkmcnt(0)
	v_add_f32_e32 v89, v74, v75
	ds_bpermute_b32 v90, v90, v89
	s_barrier
	s_waitcnt lgkmcnt(0)
	s_and_saveexec_b64 s[2:3], vcc
	s_cbranch_execz .LBB380_15
; %bb.14:
	v_add_f32_e32 v74, v89, v90
	v_lshlrev_b32_e32 v75, 2, v87
	ds_write2st64_b32 v75, v88, v74 offset1:1
.LBB380_15:
	s_or_b64 exec, exec, s[2:3]
	v_lshlrev_b32_e32 v74, 2, v84
	s_load_dwordx2 s[2:3], s[4:5], 0x94
	s_waitcnt lgkmcnt(0)
	s_barrier
	ds_read2_b32 v[88:89], v74 offset1:16
	ds_read2_b32 v[90:91], v74 offset0:32 offset1:48
	ds_read2_b32 v[92:93], v74 offset0:64 offset1:80
	s_movk_i32 s12, 0x7fff
	s_mov_b32 s13, 0x7060302
	s_waitcnt lgkmcnt(2)
	v_max3_f32 v75, v88, s40, v89
	s_waitcnt lgkmcnt(1)
	v_max3_f32 v86, v75, v90, v91
	v_sub_f32_e32 v75, v88, v86
	v_sub_f32_e32 v87, v89, v86
	v_mul_f32_e32 v75, 0x3fb8aa3b, v75
	v_mul_f32_e32 v87, 0x3fb8aa3b, v87
	v_exp_f32_e32 v75, v75
	v_exp_f32_e32 v94, v87
	v_sub_f32_e32 v87, v90, v86
	v_mul_f32_e32 v87, 0x3fb8aa3b, v87
	ds_read2_b32 v[88:89], v74 offset0:96 offset1:112
	v_sub_f32_e32 v74, v91, v86
	v_exp_f32_e32 v90, v87
	v_mul_f32_e32 v74, 0x3fb8aa3b, v74
	v_exp_f32_e32 v74, v74
	s_waitcnt lgkmcnt(1)
	v_fma_f32 v87, v75, v92, 0
	v_fmac_f32_e32 v87, v94, v93
	s_waitcnt lgkmcnt(0)
	v_fmac_f32_e32 v87, v90, v88
	v_fmac_f32_e32 v87, v74, v89
	v_add_f32_e32 v89, 0x358637bd, v87
	v_div_scale_f32 v91, s[10:11], v89, v89, 1.0
	v_rcp_f32_e32 v92, v91
	s_barrier
	v_fma_f32 v93, -v91, v92, 1.0
	v_fmac_f32_e32 v92, v93, v92
	v_div_scale_f32 v93, vcc, 1.0, v89, 1.0
	v_mul_f32_e32 v95, v93, v92
	v_fma_f32 v1, -v91, v95, v93
	v_fmac_f32_e32 v95, v1, v92
	v_fma_f32 v1, -v91, v95, v93
	v_div_fmas_f32 v1, v1, v92, v95
	v_cmp_eq_u32_e32 vcc, 1, v85
	v_cndmask_b32_e32 v75, v75, v94, vcc
	v_cmp_eq_u32_e32 vcc, 2, v85
	v_cndmask_b32_e32 v75, v75, v90, vcc
	v_cmp_eq_u32_e32 vcc, 3, v85
	v_div_fixup_f32 v1, v1, v89, 1.0
	v_cndmask_b32_e32 v74, v75, v74, vcc
	v_mul_f32_e32 v90, v74, v1
	v_pk_mul_f32 v[68:69], v[90:91], v[68:69] op_sel_hi:[0,1]
	v_bfe_u32 v1, v69, 16, 1
	v_bfe_u32 v74, v68, 16, 1
	v_pk_mul_f32 v[80:81], v[90:91], v[80:81] op_sel_hi:[0,1]
	v_add3_u32 v68, v68, v74, s12
	v_add3_u32 v1, v69, v1, s12
	v_perm_b32 v92, v1, v68, s13
	v_bfe_u32 v1, v81, 16, 1
	v_bfe_u32 v68, v80, 16, 1
	v_add3_u32 v68, v80, v68, s12
	v_add3_u32 v1, v81, v1, s12
	v_bfe_u32 v74, v0, 4, 2
	v_perm_b32 v93, v1, v68, s13
	v_lshlrev_b32_e32 v1, 3, v74
	v_lshlrev_b32_e32 v68, 5, v84
	v_lshlrev_b32_e32 v69, 11, v85
	v_pk_mul_f32 v[70:71], v[90:91], v[70:71] op_sel_hi:[0,1]
	v_or3_b32 v80, v69, v68, v1
	v_bfe_u32 v1, v71, 16, 1
	v_bfe_u32 v69, v70, 16, 1
	v_pk_mul_f32 v[82:83], v[90:91], v[82:83] op_sel_hi:[0,1]
	v_add3_u32 v69, v70, v69, s12
	v_add3_u32 v1, v71, v1, s12
	v_perm_b32 v70, v1, v69, s13
	v_bfe_u32 v1, v83, 16, 1
	v_bfe_u32 v69, v82, 16, 1
	v_add3_u32 v69, v82, v69, s12
	v_add3_u32 v1, v83, v1, s12
	v_pk_mul_f32 v[72:73], v[90:91], v[72:73] op_sel_hi:[0,1]
	v_perm_b32 v71, v1, v69, s13
	v_bfe_u32 v1, v73, 16, 1
	v_bfe_u32 v69, v72, 16, 1
	ds_write2st64_b64 v80, v[92:93], v[70:71] offset1:1
	v_pk_mul_f32 v[70:71], v[90:91], v[78:79] op_sel_hi:[0,1]
	v_add3_u32 v69, v72, v69, s12
	v_add3_u32 v1, v73, v1, s12
	v_perm_b32 v72, v1, v69, s13
	v_bfe_u32 v1, v71, 16, 1
	v_bfe_u32 v69, v70, 16, 1
	v_add3_u32 v69, v70, v69, s12
	v_add3_u32 v1, v71, v1, s12
	v_pk_mul_f32 v[70:71], v[90:91], v[76:77] op_sel_hi:[0,1]
	v_perm_b32 v73, v1, v69, s13
	v_bfe_u32 v1, v71, 16, 1
	v_bfe_u32 v69, v70, 16, 1
	v_pk_mul_f32 v[66:67], v[90:91], v[66:67] op_sel_hi:[0,1]
	v_add3_u32 v69, v70, v69, s12
	v_add3_u32 v1, v71, v1, s12
	v_perm_b32 v70, v1, v69, s13
	v_bfe_u32 v1, v67, 16, 1
	v_bfe_u32 v69, v66, 16, 1
	v_add3_u32 v66, v66, v69, s12
	v_add3_u32 v1, v67, v1, s12
	v_mov_b32_e32 v88, 0
	v_perm_b32 v71, v1, v66, s13
	v_cmp_eq_u32_e32 vcc, 0, v0
	ds_write2st64_b64 v80, v[72:73], v[70:71] offset0:2 offset1:3
	s_and_saveexec_b64 s[10:11], vcc
	s_cbranch_execz .LBB380_17
; %bb.16:
	s_mul_i32 s7, s7, s3
	s_mul_hi_u32 s14, s6, s3
	s_add_i32 s14, s14, s7
	s_mul_i32 s7, s6, s3
	s_add_u32 s7, s7, s8
	s_addc_u32 s14, s14, 0
	s_load_dwordx4 s[16:19], s[4:5], 0x58
	s_mul_i32 s14, s14, s2
	s_mul_hi_u32 s15, s7, s2
	s_add_i32 s15, s15, s14
	s_mul_i32 s7, s7, s2
	s_add_u32 s14, s7, s9
	s_addc_u32 s15, s15, 0
	s_lshl_b64 s[14:15], s[14:15], 2
	s_waitcnt lgkmcnt(0)
	s_add_u32 s18, s18, s14
	s_addc_u32 s19, s19, s15
	s_add_u32 s14, s16, s14
	s_addc_u32 s15, s17, s15
	global_store_dword v88, v86, s[18:19]
	global_store_dword v88, v87, s[14:15]
.LBB380_17:
	s_or_b64 exec, exec, s[10:11]
	v_lshl_or_b32 v1, v74, 9, v68
	s_waitcnt lgkmcnt(0)
	s_barrier
	ds_read_b128 v[70:73], v1
	ds_read_b128 v[66:69], v1 offset:16
	s_waitcnt vmcnt(15) lgkmcnt(1)
	v_mfma_f32_16x16x16bf16_1k v[76:79], v[46:47], v[70:71], 0
	v_cmp_gt_u32_e32 vcc, 64, v0
	s_xor_b64 s[0:1], s[0:1], -1
	s_mov_b32 s7, 0
	s_and_b64 s[0:1], vcc, s[0:1]
	v_mfma_f32_16x16x16bf16_1k v[46:49], v[48:49], v[72:73], v[76:79]
	s_waitcnt vmcnt(14) lgkmcnt(0)
	v_mfma_f32_16x16x16bf16_1k v[46:49], v[42:43], v[66:67], v[46:49]
	v_mfma_f32_16x16x16bf16_1k v[42:45], v[44:45], v[68:69], v[46:49]
	s_nop 7
	s_nop 1
	ds_read_b128 v[46:49], v1 offset:2048
	ds_read_b128 v[76:79], v1 offset:2064
	s_waitcnt vmcnt(13) lgkmcnt(1)
	v_mfma_f32_16x16x16bf16_1k v[42:45], v[38:39], v[46:47], v[42:45]
	v_mfma_f32_16x16x16bf16_1k v[38:41], v[40:41], v[48:49], v[42:45]
	s_waitcnt vmcnt(12) lgkmcnt(0)
	v_mfma_f32_16x16x16bf16_1k v[38:41], v[34:35], v[76:77], v[38:41]
	v_mfma_f32_16x16x16bf16_1k v[34:37], v[36:37], v[78:79], v[38:41]
	s_nop 7
	s_nop 1
	ds_read_b128 v[38:41], v1 offset:4096
	ds_read_b128 v[42:45], v1 offset:4112
	s_waitcnt vmcnt(11) lgkmcnt(1)
	v_mfma_f32_16x16x16bf16_1k v[34:37], v[30:31], v[38:39], v[34:37]
	v_mfma_f32_16x16x16bf16_1k v[30:33], v[32:33], v[40:41], v[34:37]
	s_waitcnt vmcnt(10) lgkmcnt(0)
	v_mfma_f32_16x16x16bf16_1k v[30:33], v[26:27], v[42:43], v[30:33]
	v_mfma_f32_16x16x16bf16_1k v[26:29], v[28:29], v[44:45], v[30:33]
	s_nop 7
	s_nop 1
	ds_read_b128 v[30:33], v1 offset:6144
	ds_read_b128 v[34:37], v1 offset:6160
	s_waitcnt lgkmcnt(0)
	s_barrier
	s_waitcnt vmcnt(9)
	v_mfma_f32_16x16x16bf16_1k v[26:29], v[22:23], v[30:31], v[26:29]
	v_mfma_f32_16x16x16bf16_1k v[22:25], v[24:25], v[32:33], v[26:29]
	s_waitcnt vmcnt(8)
	v_mfma_f32_16x16x16bf16_1k v[22:25], v[18:19], v[34:35], v[22:25]
	v_mfma_f32_16x16x16bf16_1k v[18:21], v[20:21], v[36:37], v[22:25]
	s_waitcnt vmcnt(7)
	v_mfma_f32_16x16x16bf16_1k v[22:25], v[6:7], v[70:71], 0
	s_nop 7
	s_nop 0
	v_bfe_u32 v1, v19, 16, 1
	v_add3_u32 v1, v19, v1, s12
	v_mfma_f32_16x16x16bf16_1k v[6:9], v[8:9], v[72:73], v[22:25]
	s_waitcnt vmcnt(6)
	v_mfma_f32_16x16x16bf16_1k v[6:9], v[2:3], v[66:67], v[6:9]
	v_mfma_f32_16x16x16bf16_1k v[2:5], v[4:5], v[68:69], v[6:9]
	s_waitcnt vmcnt(5)
	v_mfma_f32_16x16x16bf16_1k v[2:5], v[14:15], v[46:47], v[2:5]
	s_nop 7
	v_bfe_u32 v6, v18, 16, 1
	v_add3_u32 v6, v18, v6, s12
	v_perm_b32 v6, v1, v6, s13
	v_bfe_u32 v1, v21, 16, 1
	v_bfe_u32 v7, v20, 16, 1
	v_add3_u32 v7, v20, v7, s12
	v_add3_u32 v1, v21, v1, s12
	v_mfma_f32_16x16x16bf16_1k v[2:5], v[16:17], v[48:49], v[2:5]
	v_perm_b32 v7, v1, v7, s13
	s_waitcnt vmcnt(4)
	v_mfma_f32_16x16x16bf16_1k v[2:5], v[10:11], v[76:77], v[2:5]
	v_mfma_f32_16x16x16bf16_1k v[2:5], v[12:13], v[78:79], v[2:5]
	s_waitcnt vmcnt(3)
	v_mfma_f32_16x16x16bf16_1k v[2:5], v[54:55], v[38:39], v[2:5]
	v_mfma_f32_16x16x16bf16_1k v[2:5], v[56:57], v[40:41], v[2:5]
	;; [unrolled: 3-line block ×5, first 2 shown]
	s_nop 7
	s_nop 2
	v_bfe_u32 v1, v3, 16, 1
	v_bfe_u32 v8, v2, 16, 1
	v_add3_u32 v2, v2, v8, s12
	v_add3_u32 v1, v3, v1, s12
	v_perm_b32 v2, v1, v2, s13
	v_bfe_u32 v1, v5, 16, 1
	v_bfe_u32 v3, v4, 16, 1
	v_add3_u32 v3, v4, v3, s12
	v_add3_u32 v1, v5, v1, s12
	v_perm_b32 v3, v1, v3, s13
	ds_write2st64_b64 v80, v[6:7], v[2:3] offset1:1
	s_waitcnt lgkmcnt(0)
	s_barrier
	s_and_saveexec_b64 s[10:11], s[0:1]
	s_cbranch_execz .LBB380_19
; %bb.18:
	v_lshlrev_b32_e32 v3, 6, v84
	v_lshlrev_b32_e32 v2, 4, v0
	v_lshl_or_b32 v0, v0, 10, v3
	v_lshlrev_b32_e32 v1, 5, v74
	v_and_b32_e32 v2, 16, v2
	v_and_b32_e32 v0, 0x1a00, v0
	v_or3_b32 v0, v0, v1, v2
	ds_read_b128 v[0:3], v0
	buffer_load_dword v6, off, s[44:47], 0  ; 4-byte Folded Reload
	buffer_load_dword v7, off, s[44:47], 0 offset:4 ; 4-byte Folded Reload
	s_load_dwordx2 s[0:1], s[4:5], 0x68
	s_mul_i32 s4, s3, s6
	s_lshl_b32 s5, s2, 7
	s_mul_hi_u32 s3, s4, s5
	s_mul_i32 s2, s4, s5
	s_lshl_b64 s[2:3], s[2:3], 1
	s_waitcnt lgkmcnt(0)
	s_add_u32 s2, s0, s2
	s_addc_u32 s3, s1, s3
	s_lshl_b32 s6, s9, 7
	s_lshl_b64 s[0:1], s[6:7], 1
	s_add_u32 s2, s2, s0
	s_addc_u32 s3, s3, s1
	s_mul_hi_u32 s1, s5, s8
	s_mul_i32 s0, s5, s8
	s_lshl_b64 s[0:1], s[0:1], 1
	s_add_u32 s0, s2, s0
	s_addc_u32 s1, s3, s1
	v_mov_b32_e32 v5, s1
	s_waitcnt vmcnt(1)
	v_add_co_u32_e32 v4, vcc, s0, v6
	s_waitcnt vmcnt(0)
	v_addc_co_u32_e32 v5, vcc, v5, v7, vcc
	global_store_dwordx4 v[4:5], v[0:3], off
.LBB380_19:
	s_endpgm
	.section	.rodata,"a",@progbits
	.p2align	6, 0x0
	.amdhsa_kernel _Z39paged_attention_ll4mi_QKV_mfma16_kernelI14__hip_bfloat16S0_LN4vllm18Fp8KVCacheDataTypeE0ES0_Li32ELi128ELi256ELb0ELi1EL8MFMAType0EEvPKT_PKT0_S9_ifPKiSB_SB_iPKfiiiPfSE_PS4_PT2_iSD_SD_
		.amdhsa_group_segment_fixed_size 8192
		.amdhsa_private_segment_fixed_size 12
		.amdhsa_kernarg_size 400
		.amdhsa_user_sgpr_count 6
		.amdhsa_user_sgpr_private_segment_buffer 1
		.amdhsa_user_sgpr_dispatch_ptr 0
		.amdhsa_user_sgpr_queue_ptr 0
		.amdhsa_user_sgpr_kernarg_segment_ptr 1
		.amdhsa_user_sgpr_dispatch_id 0
		.amdhsa_user_sgpr_flat_scratch_init 0
		.amdhsa_user_sgpr_kernarg_preload_length 0
		.amdhsa_user_sgpr_kernarg_preload_offset 0
		.amdhsa_user_sgpr_private_segment_size 0
		.amdhsa_uses_dynamic_stack 0
		.amdhsa_system_sgpr_private_segment_wavefront_offset 1
		.amdhsa_system_sgpr_workgroup_id_x 1
		.amdhsa_system_sgpr_workgroup_id_y 1
		.amdhsa_system_sgpr_workgroup_id_z 1
		.amdhsa_system_sgpr_workgroup_info 0
		.amdhsa_system_vgpr_workitem_id 0
		.amdhsa_next_free_vgpr 96
		.amdhsa_next_free_sgpr 48
		.amdhsa_accum_offset 96
		.amdhsa_reserve_vcc 1
		.amdhsa_reserve_flat_scratch 0
		.amdhsa_float_round_mode_32 0
		.amdhsa_float_round_mode_16_64 0
		.amdhsa_float_denorm_mode_32 3
		.amdhsa_float_denorm_mode_16_64 3
		.amdhsa_dx10_clamp 1
		.amdhsa_ieee_mode 1
		.amdhsa_fp16_overflow 0
		.amdhsa_tg_split 0
		.amdhsa_exception_fp_ieee_invalid_op 0
		.amdhsa_exception_fp_denorm_src 0
		.amdhsa_exception_fp_ieee_div_zero 0
		.amdhsa_exception_fp_ieee_overflow 0
		.amdhsa_exception_fp_ieee_underflow 0
		.amdhsa_exception_fp_ieee_inexact 0
		.amdhsa_exception_int_div_zero 0
	.end_amdhsa_kernel
	.section	.text._Z39paged_attention_ll4mi_QKV_mfma16_kernelI14__hip_bfloat16S0_LN4vllm18Fp8KVCacheDataTypeE0ES0_Li32ELi128ELi256ELb0ELi1EL8MFMAType0EEvPKT_PKT0_S9_ifPKiSB_SB_iPKfiiiPfSE_PS4_PT2_iSD_SD_,"axG",@progbits,_Z39paged_attention_ll4mi_QKV_mfma16_kernelI14__hip_bfloat16S0_LN4vllm18Fp8KVCacheDataTypeE0ES0_Li32ELi128ELi256ELb0ELi1EL8MFMAType0EEvPKT_PKT0_S9_ifPKiSB_SB_iPKfiiiPfSE_PS4_PT2_iSD_SD_,comdat
.Lfunc_end380:
	.size	_Z39paged_attention_ll4mi_QKV_mfma16_kernelI14__hip_bfloat16S0_LN4vllm18Fp8KVCacheDataTypeE0ES0_Li32ELi128ELi256ELb0ELi1EL8MFMAType0EEvPKT_PKT0_S9_ifPKiSB_SB_iPKfiiiPfSE_PS4_PT2_iSD_SD_, .Lfunc_end380-_Z39paged_attention_ll4mi_QKV_mfma16_kernelI14__hip_bfloat16S0_LN4vllm18Fp8KVCacheDataTypeE0ES0_Li32ELi128ELi256ELb0ELi1EL8MFMAType0EEvPKT_PKT0_S9_ifPKiSB_SB_iPKfiiiPfSE_PS4_PT2_iSD_SD_
                                        ; -- End function
	.section	.AMDGPU.csdata,"",@progbits
; Kernel info:
; codeLenInByte = 4944
; NumSgprs: 52
; NumVgprs: 96
; NumAgprs: 0
; TotalNumVgprs: 96
; ScratchSize: 12
; MemoryBound: 0
; FloatMode: 240
; IeeeMode: 1
; LDSByteSize: 8192 bytes/workgroup (compile time only)
; SGPRBlocks: 6
; VGPRBlocks: 11
; NumSGPRsForWavesPerEU: 52
; NumVGPRsForWavesPerEU: 96
; AccumOffset: 96
; Occupancy: 5
; WaveLimiterHint : 1
; COMPUTE_PGM_RSRC2:SCRATCH_EN: 1
; COMPUTE_PGM_RSRC2:USER_SGPR: 6
; COMPUTE_PGM_RSRC2:TRAP_HANDLER: 0
; COMPUTE_PGM_RSRC2:TGID_X_EN: 1
; COMPUTE_PGM_RSRC2:TGID_Y_EN: 1
; COMPUTE_PGM_RSRC2:TGID_Z_EN: 1
; COMPUTE_PGM_RSRC2:TIDIG_COMP_CNT: 0
; COMPUTE_PGM_RSRC3_GFX90A:ACCUM_OFFSET: 23
; COMPUTE_PGM_RSRC3_GFX90A:TG_SPLIT: 0
	.section	.text._Z39paged_attention_ll4mi_QKV_mfma16_kernelI14__hip_bfloat16S0_LN4vllm18Fp8KVCacheDataTypeE0ES0_Li32ELi128ELi256ELb0ELi2EL8MFMAType0EEvPKT_PKT0_S9_ifPKiSB_SB_iPKfiiiPfSE_PS4_PT2_iSD_SD_,"axG",@progbits,_Z39paged_attention_ll4mi_QKV_mfma16_kernelI14__hip_bfloat16S0_LN4vllm18Fp8KVCacheDataTypeE0ES0_Li32ELi128ELi256ELb0ELi2EL8MFMAType0EEvPKT_PKT0_S9_ifPKiSB_SB_iPKfiiiPfSE_PS4_PT2_iSD_SD_,comdat
	.protected	_Z39paged_attention_ll4mi_QKV_mfma16_kernelI14__hip_bfloat16S0_LN4vllm18Fp8KVCacheDataTypeE0ES0_Li32ELi128ELi256ELb0ELi2EL8MFMAType0EEvPKT_PKT0_S9_ifPKiSB_SB_iPKfiiiPfSE_PS4_PT2_iSD_SD_ ; -- Begin function _Z39paged_attention_ll4mi_QKV_mfma16_kernelI14__hip_bfloat16S0_LN4vllm18Fp8KVCacheDataTypeE0ES0_Li32ELi128ELi256ELb0ELi2EL8MFMAType0EEvPKT_PKT0_S9_ifPKiSB_SB_iPKfiiiPfSE_PS4_PT2_iSD_SD_
	.globl	_Z39paged_attention_ll4mi_QKV_mfma16_kernelI14__hip_bfloat16S0_LN4vllm18Fp8KVCacheDataTypeE0ES0_Li32ELi128ELi256ELb0ELi2EL8MFMAType0EEvPKT_PKT0_S9_ifPKiSB_SB_iPKfiiiPfSE_PS4_PT2_iSD_SD_
	.p2align	8
	.type	_Z39paged_attention_ll4mi_QKV_mfma16_kernelI14__hip_bfloat16S0_LN4vllm18Fp8KVCacheDataTypeE0ES0_Li32ELi128ELi256ELb0ELi2EL8MFMAType0EEvPKT_PKT0_S9_ifPKiSB_SB_iPKfiiiPfSE_PS4_PT2_iSD_SD_,@function
_Z39paged_attention_ll4mi_QKV_mfma16_kernelI14__hip_bfloat16S0_LN4vllm18Fp8KVCacheDataTypeE0ES0_Li32ELi128ELi256ELb0ELi2EL8MFMAType0EEvPKT_PKT0_S9_ifPKiSB_SB_iPKfiiiPfSE_PS4_PT2_iSD_SD_: ; @_Z39paged_attention_ll4mi_QKV_mfma16_kernelI14__hip_bfloat16S0_LN4vllm18Fp8KVCacheDataTypeE0ES0_Li32ELi128ELi256ELb0ELi2EL8MFMAType0EEvPKT_PKT0_S9_ifPKiSB_SB_iPKfiiiPfSE_PS4_PT2_iSD_SD_
; %bb.0:
	s_mov_b64 s[46:47], s[2:3]
	s_mov_b64 s[44:45], s[0:1]
	s_load_dwordx2 s[0:1], s[4:5], 0x30
	s_add_u32 s44, s44, s9
	s_addc_u32 s45, s45, 0
	s_mov_b32 s26, s7
	s_mov_b64 s[10:11], 0
	s_waitcnt lgkmcnt(0)
	s_cmp_lg_u64 s[0:1], 0
	s_cselect_b64 s[2:3], -1, 0
	s_and_b64 vcc, exec, s[2:3]
	s_cbranch_vccz .LBB381_7
; %bb.1:
	s_add_i32 s12, s6, 1
	s_mov_b32 s13, 0
	s_lshl_b64 s[14:15], s[12:13], 2
	s_add_u32 s14, s0, s14
	s_mov_b32 s7, s13
	s_addc_u32 s15, s1, s15
	s_lshl_b64 s[12:13], s[6:7], 2
	s_add_u32 s12, s0, s12
	s_addc_u32 s13, s1, s13
	s_load_dword s9, s[14:15], 0x0
	s_load_dword s16, s[12:13], 0x0
	s_waitcnt lgkmcnt(0)
	s_sub_i32 s9, s9, s16
	s_cmp_eq_u32 s9, 1
	s_cselect_b64 s[12:13], -1, 0
	s_andn2_b64 vcc, exec, s[10:11]
	s_cbranch_vccnz .LBB381_3
.LBB381_2:
	s_mov_b32 s7, 0
	s_mov_b64 s[12:13], -1
.LBB381_3:
	s_andn2_b64 vcc, exec, s[12:13]
	s_cbranch_vccnz .LBB381_19
; %bb.4:
	s_load_dwordx2 s[12:13], s[4:5], 0x28
	s_lshl_b64 s[10:11], s[6:7], 2
	s_waitcnt lgkmcnt(0)
	s_add_u32 s12, s12, s10
	s_addc_u32 s13, s13, s11
	s_load_dword s33, s[12:13], 0x0
	s_lshl_b32 s9, s26, 8
	s_waitcnt lgkmcnt(0)
	s_cmp_ge_i32 s9, s33
	s_cbranch_scc1 .LBB381_19
; %bb.5:
	s_add_i32 s15, s33, 31
	s_load_dwordx2 s[12:13], s[4:5], 0x20
	s_load_dword s14, s[4:5], 0x38
	s_ashr_i32 s16, s15, 31
	v_and_b32_e32 v1, 0xcf, v0
	s_lshr_b32 s16, s16, 27
	v_add_u32_e32 v1, s9, v1
	s_add_i32 s15, s15, s16
	v_ashrrev_i32_e32 v2, 31, v1
	s_ashr_i32 s18, s15, 5
	v_lshrrev_b32_e32 v10, 27, v2
	s_add_i32 s18, s18, -1
	v_add_u32_e32 v2, v1, v10
	s_waitcnt lgkmcnt(0)
	s_mul_i32 s14, s6, s14
	s_mov_b32 s15, 0
	v_ashrrev_i32_e32 v2, 5, v2
	v_mov_b32_e32 v11, s18
	v_cmp_gt_i32_e32 vcc, s33, v1
	s_lshl_b64 s[14:15], s[14:15], 2
	v_cndmask_b32_e32 v2, v11, v2, vcc
	s_add_u32 s16, s12, s14
	v_ashrrev_i32_e32 v3, 31, v2
	s_addc_u32 s17, s13, s15
	v_lshlrev_b64 v[2:3], 2, v[2:3]
	v_mov_b32_e32 v4, s17
	v_add_co_u32_e32 v2, vcc, s16, v2
	v_addc_co_u32_e32 v3, vcc, v4, v3, vcc
	v_or_b32_e32 v4, 16, v1
	v_add_u32_e32 v5, v4, v10
	v_ashrrev_i32_e32 v5, 5, v5
	v_cmp_gt_i32_e32 vcc, s33, v4
	v_cndmask_b32_e32 v4, v11, v5, vcc
	v_ashrrev_i32_e32 v5, 31, v4
	v_lshlrev_b64 v[4:5], 2, v[4:5]
	v_mov_b32_e32 v7, s17
	v_add_co_u32_e32 v6, vcc, s16, v4
	v_or_b32_e32 v4, 32, v1
	v_addc_co_u32_e32 v7, vcc, v7, v5, vcc
	v_add_u32_e32 v5, v4, v10
	v_ashrrev_i32_e32 v5, 5, v5
	v_cmp_gt_i32_e32 vcc, s33, v4
	v_cndmask_b32_e32 v4, v11, v5, vcc
	v_ashrrev_i32_e32 v5, 31, v4
	v_lshlrev_b64 v[4:5], 2, v[4:5]
	v_mov_b32_e32 v9, s17
	v_add_co_u32_e32 v8, vcc, s16, v4
	v_or_b32_e32 v1, 48, v1
	v_addc_co_u32_e32 v9, vcc, v9, v5, vcc
	v_add_u32_e32 v4, v1, v10
	v_ashrrev_i32_e32 v4, 5, v4
	v_cmp_gt_i32_e32 vcc, s33, v1
	v_cndmask_b32_e32 v4, v11, v4, vcc
	v_ashrrev_i32_e32 v5, 31, v4
	v_lshlrev_b64 v[4:5], 2, v[4:5]
	v_mov_b32_e32 v1, s17
	v_add_co_u32_e32 v10, vcc, s16, v4
	v_addc_co_u32_e32 v11, vcc, v1, v5, vcc
	global_load_dword v5, v[2:3], off
	global_load_dword v4, v[6:7], off
	;; [unrolled: 1-line block ×4, first 2 shown]
	s_andn2_b64 vcc, exec, s[2:3]
	s_cbranch_vccnz .LBB381_8
; %bb.6:
	s_add_u32 s0, s0, s10
	s_addc_u32 s1, s1, s11
	s_load_dword s19, s[0:1], 0x0
	s_branch .LBB381_9
.LBB381_7:
	s_mov_b64 s[12:13], 0
	s_branch .LBB381_2
.LBB381_8:
	s_mov_b32 s19, s6
.LBB381_9:
	s_load_dwordx4 s[12:15], s[4:5], 0x8
	s_load_dwordx4 s[0:3], s[4:5], 0x48
	v_lshrrev_b32_e32 v86, 6, v0
	v_bfe_u32 v1, v0, 4, 2
	v_lshl_or_b32 v6, v86, 2, v1
	v_and_b32_e32 v84, 15, v0
	v_lshlrev_b32_e32 v2, 3, v84
	v_cmp_lt_u32_e32 vcc, 1, v6
	s_and_saveexec_b64 s[10:11], vcc
	s_xor_b64 s[10:11], exec, s[10:11]
; %bb.10:
	v_mov_b32_e32 v3, 0
                                        ; implicit-def: $vgpr6
; %bb.11:
	s_or_saveexec_b64 s[10:11], s[10:11]
	s_lshl_b32 s27, s8, 1
	s_xor_b64 exec, exec, s[10:11]
	s_cbranch_execz .LBB381_13
; %bb.12:
	s_load_dwordx2 s[20:21], s[4:5], 0x0
	s_waitcnt lgkmcnt(0)
	s_ashr_i32 s3, s0, 31
	s_mul_hi_u32 s22, s19, s0
	s_mul_i32 s3, s19, s3
	s_add_i32 s23, s22, s3
	s_mul_i32 s22, s19, s0
	s_lshl_b64 s[22:23], s[22:23], 1
	v_add_lshl_u32 v8, v1, s27, 7
	s_add_u32 s0, s20, s22
	v_ashrrev_i32_e32 v9, 31, v8
	s_addc_u32 s3, s21, s23
	v_lshlrev_b64 v[8:9], 1, v[8:9]
	v_mov_b32_e32 v3, s3
	v_add_co_u32_e32 v7, vcc, s0, v8
	v_addc_co_u32_e32 v3, vcc, v3, v9, vcc
	v_lshlrev_b32_e32 v8, 1, v2
	v_add_co_u32_e32 v8, vcc, v7, v8
	v_addc_co_u32_e32 v9, vcc, 0, v3, vcc
	global_load_dwordx4 v[8:11], v[8:9], off
	v_and_b32_e32 v7, 3, v0
	v_lshlrev_b32_e32 v12, 9, v84
	v_lshlrev_b32_e32 v6, 5, v6
	;; [unrolled: 1-line block ×3, first 2 shown]
	v_and_b32_e32 v12, 0x1800, v12
	v_mov_b32_e32 v3, 0
	v_or3_b32 v6, v12, v7, v6
	s_waitcnt vmcnt(0)
	ds_write_b128 v6, v[8:11]
.LBB381_13:
	s_or_b64 exec, exec, s[10:11]
	s_waitcnt lgkmcnt(0)
	s_mul_i32 s2, s8, s2
	s_mov_b32 s3, 0
	s_lshl_b64 s[2:3], s[2:3], 1
	s_add_u32 s8, s12, s2
	s_addc_u32 s10, s13, s3
	s_waitcnt vmcnt(3)
	v_mad_i64_i32 v[6:7], s[12:13], v5, s1, 0
	v_lshlrev_b64 v[6:7], 1, v[6:7]
	v_mov_b32_e32 v5, s10
	v_add_co_u32_e32 v6, vcc, s8, v6
	v_addc_co_u32_e32 v5, vcc, v5, v7, vcc
	v_lshlrev_b64 v[60:61], 1, v[2:3]
	v_add_co_u32_e32 v27, vcc, v6, v60
	v_lshlrev_b32_e32 v26, 9, v1
	v_addc_co_u32_e32 v28, vcc, v5, v61, vcc
	v_add_co_u32_e32 v2, vcc, v27, v26
	v_addc_co_u32_e32 v3, vcc, 0, v28, vcc
	s_load_dword s40, s[4:5], 0x98
	s_load_dword s0, s[4:5], 0x1c
	s_waitcnt lgkmcnt(0)
	s_barrier
	global_load_dwordx4 v[10:13], v[2:3], off
	s_waitcnt vmcnt(3)
	v_mad_i64_i32 v[4:5], s[12:13], v4, s1, 0
	v_lshlrev_b64 v[4:5], 1, v[4:5]
	v_mov_b32_e32 v6, s10
	v_add_co_u32_e32 v4, vcc, s8, v4
	v_addc_co_u32_e32 v5, vcc, v6, v5, vcc
	v_mov_b32_e32 v6, 0x100
	v_lshl_or_b32 v29, v84, 4, v6
	v_add_co_u32_e32 v30, vcc, v4, v29
	v_addc_co_u32_e32 v31, vcc, 0, v5, vcc
	v_add_co_u32_e32 v22, vcc, v30, v26
	v_addc_co_u32_e32 v23, vcc, 0, v31, vcc
	global_load_dwordx4 v[18:21], v[22:23], off
	global_load_dwordx4 v[14:17], v[2:3], off offset:2048
	v_and_b32_e32 v2, 1, v0
	v_lshl_or_b32 v32, v2, 5, v26
	ds_read_b128 v[6:9], v32
	ds_read_b128 v[2:5], v32 offset:2048
	v_or_b32_e32 v58, 0x1000, v26
	global_load_dwordx4 v[38:41], v[22:23], off offset:2048
	v_add_co_u32_e32 v22, vcc, v27, v58
	v_addc_co_u32_e32 v23, vcc, 0, v28, vcc
	v_or_b32_e32 v62, 0x1800, v26
	s_ashr_i32 s11, s9, 31
	v_and_or_b32 v63, v0, 48, s9
	v_mov_b32_e32 v64, s18
	v_lshl_or_b32 v87, v86, 4, v84
	v_lshlrev_b32_e32 v82, 6, v87
	s_mov_b32 s41, 0xff7fffff
	s_waitcnt vmcnt(3) lgkmcnt(1)
	v_mfma_f32_16x16x16bf16_1k v[34:37], v[10:11], v[6:7], 0
	s_waitcnt vmcnt(2)
	v_mfma_f32_16x16x16bf16_1k v[42:45], v[18:19], v[6:7], 0
	v_mfma_f32_16x16x16bf16_1k v[10:13], v[12:13], v[8:9], v[34:37]
	s_nop 7
	global_load_dwordx4 v[34:37], v[22:23], off
	v_add_co_u32_e32 v22, vcc, v30, v58
	v_addc_co_u32_e32 v23, vcc, 0, v31, vcc
	v_mfma_f32_16x16x16bf16_1k v[18:21], v[20:21], v[8:9], v[42:45]
	global_load_dwordx4 v[46:49], v[22:23], off
	s_waitcnt vmcnt(3) lgkmcnt(0)
	v_mfma_f32_16x16x16bf16_1k v[42:45], v[14:15], v[2:3], v[10:13]
	s_nop 6
	v_add_co_u32_e32 v10, vcc, v27, v62
	v_addc_co_u32_e32 v11, vcc, 0, v28, vcc
	global_load_dwordx4 v[54:57], v[10:11], off
	v_mad_i64_i32 v[10:11], s[12:13], v25, s1, 0
	v_add_co_u32_e32 v30, vcc, v30, v62
	v_lshlrev_b64 v[22:23], 1, v[10:11]
	v_addc_co_u32_e32 v31, vcc, 0, v31, vcc
	v_mov_b32_e32 v25, s10
	v_add_co_u32_e32 v22, vcc, s8, v22
	v_addc_co_u32_e32 v23, vcc, v25, v23, vcc
	ds_read_b128 v[10:13], v32 offset:4096
	ds_read_b128 v[50:53], v32 offset:6144
	global_load_dwordx4 v[30:33], v[30:31], off
	v_add_co_u32_e32 v27, vcc, v22, v60
	buffer_store_dword v60, off, s[44:47], 0 ; 4-byte Folded Spill
	s_nop 0
	buffer_store_dword v61, off, s[44:47], 0 offset:4 ; 4-byte Folded Spill
	s_waitcnt vmcnt(6)
	v_mfma_f32_16x16x16bf16_1k v[18:21], v[38:39], v[2:3], v[18:21]
	v_mov_b32_e32 v28, s10
	s_lshr_b32 s10, s11, 27
	s_add_u32 s2, s14, s2
	s_addc_u32 s3, s15, s3
	v_addc_co_u32_e32 v59, vcc, v23, v61, vcc
	v_add_co_u32_e32 v22, vcc, v27, v26
	v_addc_co_u32_e32 v23, vcc, 0, v59, vcc
	v_mfma_f32_16x16x16bf16_1k v[14:17], v[16:17], v[4:5], v[42:45]
	v_mfma_f32_16x16x16bf16_1k v[18:21], v[40:41], v[4:5], v[18:21]
	global_load_dwordx4 v[38:41], v[22:23], off
	s_nop 4
	global_load_dwordx4 v[42:45], v[22:23], off offset:2048
	v_mad_i64_i32 v[22:23], s[12:13], v24, s1, 0
	s_waitcnt vmcnt(7) lgkmcnt(1)
	v_mfma_f32_16x16x16bf16_1k v[14:17], v[34:35], v[10:11], v[14:17]
	v_lshlrev_b64 v[34:35], 1, v[22:23]
	v_add_co_u32_e32 v22, vcc, v27, v58
	v_addc_co_u32_e32 v23, vcc, 0, v59, vcc
	global_load_dwordx4 v[22:25], v[22:23], off
	v_add_co_u32_e32 v34, vcc, s8, v34
	s_waitcnt vmcnt(7)
	v_mfma_f32_16x16x16bf16_1k v[18:21], v[46:47], v[10:11], v[18:21]
	v_addc_co_u32_e32 v28, vcc, v28, v35, vcc
	v_add_co_u32_e32 v65, vcc, v34, v29
	v_addc_co_u32_e32 v70, vcc, 0, v28, vcc
	v_add_co_u32_e32 v28, vcc, v27, v62
	v_mfma_f32_16x16x16bf16_1k v[14:17], v[36:37], v[12:13], v[14:17]
	v_addc_co_u32_e32 v29, vcc, 0, v59, vcc
	v_add_co_u32_e32 v46, vcc, v65, v26
	v_addc_co_u32_e32 v47, vcc, 0, v70, vcc
	v_add_u32_e32 v35, s10, v63
	v_mfma_f32_16x16x16bf16_1k v[18:21], v[48:49], v[12:13], v[18:21]
	v_add_co_u32_e32 v48, vcc, v65, v58
	v_addc_co_u32_e32 v49, vcc, 0, v70, vcc
	v_ashrrev_i32_e32 v60, 5, v35
	v_cmp_gt_i32_e32 vcc, s33, v63
	s_waitcnt vmcnt(6) lgkmcnt(0)
	v_mfma_f32_16x16x16bf16_1k v[14:17], v[54:55], v[50:51], v[14:17]
	s_waitcnt vmcnt(5)
	v_mfma_f32_16x16x16bf16_1k v[18:21], v[30:31], v[50:51], v[18:21]
	v_mov_b32_e32 v31, s17
	v_mfma_f32_16x16x16bf16_1k v[54:57], v[56:57], v[52:53], v[14:17]
	global_load_dwordx4 v[26:29], v[28:29], off
	s_nop 0
	global_load_dwordx4 v[34:37], v[46:47], off
	s_nop 3
	global_load_dwordx4 v[14:17], v[46:47], off offset:2048
	v_cndmask_b32_e32 v46, v64, v60, vcc
	v_ashrrev_i32_e32 v47, 31, v46
	v_lshlrev_b64 v[46:47], 2, v[46:47]
	v_add_co_u32_e32 v30, vcc, s16, v46
	v_addc_co_u32_e32 v31, vcc, v31, v47, vcc
	global_load_dword v46, v[30:31], off
	v_or_b32_e32 v30, 64, v63
	v_mfma_f32_16x16x16bf16_1k v[58:61], v[32:33], v[52:53], v[18:21]
	v_cmp_gt_i32_e32 vcc, s33, v30
	v_mov_b32_e32 v32, s17
	v_mov_b32_e32 v33, s17
	global_load_dwordx4 v[66:69], v[48:49], off
	s_nop 2
	v_add_u32_e32 v18, s10, v30
	v_ashrrev_i32_e32 v18, 5, v18
	v_cndmask_b32_e32 v18, v64, v18, vcc
	v_ashrrev_i32_e32 v19, 31, v18
	v_lshlrev_b64 v[30:31], 2, v[18:19]
	v_add_co_u32_e32 v30, vcc, s16, v30
	v_addc_co_u32_e32 v31, vcc, v32, v31, vcc
	global_load_dword v32, v[30:31], off
	s_waitcnt vmcnt(8)
	v_mfma_f32_16x16x16bf16_1k v[18:21], v[38:39], v[6:7], 0
	v_or_b32_e32 v30, 0x80, v63
	v_add_u32_e32 v31, s10, v30
	v_ashrrev_i32_e32 v31, 5, v31
	v_cmp_gt_i32_e32 vcc, s33, v30
	v_cndmask_b32_e32 v30, v64, v31, vcc
	v_ashrrev_i32_e32 v31, 31, v30
	v_lshlrev_b64 v[30:31], 2, v[30:31]
	v_mfma_f32_16x16x16bf16_1k v[18:21], v[40:41], v[8:9], v[18:21]
	v_add_co_u32_e32 v30, vcc, s16, v30
	v_addc_co_u32_e32 v31, vcc, v33, v31, vcc
	global_load_dword v33, v[30:31], off
	v_or_b32_e32 v30, 0xc0, v63
	v_add_u32_e32 v31, s10, v30
	s_waitcnt vmcnt(8)
	v_mfma_f32_16x16x16bf16_1k v[18:21], v[42:43], v[2:3], v[18:21]
	v_ashrrev_i32_e32 v31, 5, v31
	v_cmp_gt_i32_e32 vcc, s33, v30
	v_cndmask_b32_e32 v30, v64, v31, vcc
	v_ashrrev_i32_e32 v31, 31, v30
	v_lshlrev_b64 v[30:31], 2, v[30:31]
	v_mov_b32_e32 v38, s17
	v_add_co_u32_e32 v30, vcc, s16, v30
	v_mfma_f32_16x16x16bf16_1k v[18:21], v[44:45], v[4:5], v[18:21]
	v_addc_co_u32_e32 v31, vcc, v38, v31, vcc
	global_load_dword v63, v[30:31], off
	s_waitcnt vmcnt(8)
	v_mfma_f32_16x16x16bf16_1k v[18:21], v[22:23], v[10:11], v[18:21]
	v_add_co_u32_e32 v22, vcc, v65, v62
	v_addc_co_u32_e32 v23, vcc, 0, v70, vcc
	global_load_dwordx4 v[88:91], v[22:23], off
	v_and_b32_e32 v22, 16, v0
	v_lshlrev_b32_e32 v22, 1, v22
	v_mfma_f32_16x16x16bf16_1k v[18:21], v[24:25], v[12:13], v[18:21]
	v_mov_b32_e32 v23, s3
	v_add_co_u32_e32 v80, vcc, s2, v22
	v_addc_co_u32_e32 v81, vcc, 0, v23, vcc
	v_add_co_u32_e32 v22, vcc, v80, v82
	s_waitcnt vmcnt(8)
	v_mfma_f32_16x16x16bf16_1k v[18:21], v[26:27], v[50:51], v[18:21]
	v_addc_co_u32_e32 v23, vcc, 0, v81, vcc
	v_mfma_f32_16x16x16bf16_1k v[76:79], v[28:29], v[52:53], v[18:21]
	s_waitcnt vmcnt(5)
	s_nop 7
	v_mad_i64_i32 v[18:19], s[2:3], v46, s1, 0
	v_lshlrev_b64 v[70:71], 1, v[18:19]
	v_mfma_f32_16x16x16bf16_1k v[18:21], v[34:35], v[6:7], 0
	v_add_co_u32_e32 v6, vcc, v22, v70
	v_addc_co_u32_e32 v7, vcc, v23, v71, vcc
	global_load_dwordx4 v[46:49], v[6:7], off
	global_load_dwordx4 v[42:45], v[6:7], off offset:16
	v_pk_mul_f32 v[78:79], s[0:1], v[78:79] op_sel_hi:[0,1]
	s_waitcnt vmcnt(5)
	v_mad_i64_i32 v[6:7], s[2:3], v32, s1, 0
	v_lshlrev_b64 v[72:73], 1, v[6:7]
	v_mfma_f32_16x16x16bf16_1k v[6:9], v[36:37], v[8:9], v[18:21]
	v_mfma_f32_16x16x16bf16_1k v[6:9], v[14:15], v[2:3], v[6:9]
	s_nop 5
	v_add_co_u32_e32 v18, vcc, v22, v72
	v_addc_co_u32_e32 v19, vcc, v23, v73, vcc
	global_load_dwordx4 v[38:41], v[18:19], off
	global_load_dwordx4 v[34:37], v[18:19], off offset:16
	s_waitcnt vmcnt(6)
	v_mad_i64_i32 v[18:19], s[2:3], v33, s1, 0
	v_lshlrev_b64 v[64:65], 1, v[18:19]
	v_add_co_u32_e32 v2, vcc, v22, v64
	v_addc_co_u32_e32 v3, vcc, v23, v65, vcc
	global_load_dwordx4 v[30:33], v[2:3], off
	global_load_dwordx4 v[26:29], v[2:3], off offset:16
	v_mfma_f32_16x16x16bf16_1k v[2:5], v[16:17], v[4:5], v[6:9]
	v_mfma_f32_16x16x16bf16_1k v[2:5], v[66:67], v[10:11], v[2:5]
	s_waitcnt vmcnt(7)
	s_nop 4
	v_mad_i64_i32 v[6:7], s[2:3], v63, s1, 0
	v_lshlrev_b64 v[62:63], 1, v[6:7]
	v_add_co_u32_e32 v6, vcc, v22, v62
	v_addc_co_u32_e32 v7, vcc, v23, v63, vcc
	v_mfma_f32_16x16x16bf16_1k v[10:13], v[68:69], v[12:13], v[2:5]
	global_load_dwordx4 v[22:25], v[6:7], off
	global_load_dwordx4 v[18:21], v[6:7], off offset:16
	v_or_b32_e32 v6, 0x1000, v82
	v_add_co_u32_e32 v85, vcc, v80, v6
	v_addc_co_u32_e32 v74, vcc, 0, v81, vcc
	s_nop 1
	v_add_co_u32_e32 v2, vcc, v85, v70
	s_waitcnt vmcnt(8)
	v_mfma_f32_16x16x16bf16_1k v[92:95], v[88:89], v[50:51], v[10:13]
	v_addc_co_u32_e32 v3, vcc, v74, v71, vcc
	v_add_co_u32_e32 v66, vcc, v85, v72
	v_addc_co_u32_e32 v67, vcc, v74, v73, vcc
	v_pk_mul_f32 v[72:73], s[0:1], v[76:77] op_sel_hi:[0,1]
	v_mfma_f32_16x16x16bf16_1k v[50:53], v[90:91], v[52:53], v[92:95]
	global_load_dwordx4 v[6:9], v[2:3], off
	s_nop 0
	global_load_dwordx4 v[2:5], v[2:3], off offset:16
	s_nop 0
	global_load_dwordx4 v[14:17], v[66:67], off
	global_load_dwordx4 v[10:13], v[66:67], off offset:16
	v_pk_mul_f32 v[68:69], s[0:1], v[54:55] op_sel_hi:[0,1]
	v_pk_mul_f32 v[80:81], s[0:1], v[56:57] op_sel_hi:[0,1]
	;; [unrolled: 1-line block ×4, first 2 shown]
	s_nop 0
	v_pk_mul_f32 v[76:77], s[0:1], v[50:51] op_sel_hi:[0,1]
	v_and_b32_e32 v50, 0xc0, v0
	v_add_u32_e32 v50, s9, v50
	v_lshl_or_b32 v50, v1, 2, v50
	v_pk_mul_f32 v[66:67], s[0:1], v[52:53] op_sel_hi:[0,1]
	v_or_b32_e32 v53, 1, v50
	v_mov_b32_e32 v51, 0xff7fffff
	v_cmp_gt_i32_e64 s[28:29], s33, v50
	v_cmp_gt_i32_e64 s[30:31], s33, v53
	v_cndmask_b32_e64 v52, v51, v68, s[28:29]
	v_cndmask_b32_e64 v53, v51, v69, s[30:31]
	v_max3_f32 v52, v52, s41, v53
	v_or_b32_e32 v53, 2, v50
	v_or_b32_e32 v54, 3, v50
	v_cmp_gt_i32_e64 s[34:35], s33, v53
	v_cmp_gt_i32_e64 s[36:37], s33, v54
	v_cndmask_b32_e64 v53, v51, v80, s[34:35]
	v_cndmask_b32_e64 v54, v51, v81, s[36:37]
	v_max3_f32 v52, v52, v53, v54
	v_or_b32_e32 v53, 16, v50
	v_or_b32_e32 v54, 17, v50
	;; [unrolled: 7-line block ×7, first 2 shown]
	v_cmp_gt_i32_e32 vcc, s33, v53
	v_cmp_gt_i32_e64 s[0:1], s33, v50
	v_cndmask_b32_e32 v53, v51, v66, vcc
	v_cndmask_b32_e64 v50, v51, v67, s[0:1]
	v_max3_f32 v58, v52, v53, v50
	v_mbcnt_lo_u32_b32 v50, -1, 0
	v_mbcnt_hi_u32_b32 v59, -1, v50
	v_and_b32_e32 v50, 64, v59
	v_add_u32_e32 v60, 64, v50
	v_xor_b32_e32 v50, 32, v59
	v_cmp_lt_i32_e64 s[38:39], v50, v60
	v_cndmask_b32_e64 v50, v59, v50, s[38:39]
	v_lshlrev_b32_e32 v75, 2, v50
	ds_bpermute_b32 v61, v75, v58
	v_add_co_u32_e64 v50, s[38:39], v85, v64
	v_addc_co_u32_e64 v51, s[38:39], v74, v65, s[38:39]
	s_waitcnt lgkmcnt(0)
	v_max_f32_e32 v61, v61, v61
	v_max_f32_e32 v61, v58, v61
	v_xor_b32_e32 v58, 16, v59
	v_cmp_lt_i32_e64 s[38:39], v58, v60
	v_cndmask_b32_e64 v58, v59, v58, s[38:39]
	v_lshlrev_b32_e32 v90, 2, v58
	ds_bpermute_b32 v60, v90, v61
	v_add_co_u32_e64 v58, s[38:39], v85, v62
	v_addc_co_u32_e64 v59, s[38:39], v74, v63, s[38:39]
	s_waitcnt lgkmcnt(0)
	v_max_f32_e32 v60, v60, v60
	v_max_f32_e32 v88, v61, v60
	v_sub_f32_e32 v60, v68, v88
	v_mul_f32_e32 v60, 0x3fb8aa3b, v60
	v_exp_f32_e32 v68, v60
	v_sub_f32_e32 v60, v69, v88
	v_mul_f32_e32 v60, 0x3fb8aa3b, v60
	global_load_dwordx4 v[54:57], v[50:51], off
	s_nop 0
	global_load_dwordx4 v[50:53], v[50:51], off offset:16
	v_exp_f32_e32 v69, v60
	global_load_dwordx4 v[62:65], v[58:59], off
	s_nop 0
	global_load_dwordx4 v[58:61], v[58:59], off offset:16
	v_sub_f32_e32 v80, v80, v88
	v_mul_f32_e32 v80, 0x3fb8aa3b, v80
	v_sub_f32_e32 v81, v81, v88
	v_exp_f32_e32 v80, v80
	v_mul_f32_e32 v81, 0x3fb8aa3b, v81
	v_sub_f32_e32 v70, v70, v88
	v_exp_f32_e32 v81, v81
	v_mul_f32_e32 v70, 0x3fb8aa3b, v70
	v_sub_f32_e32 v71, v71, v88
	v_cndmask_b32_e64 v68, 0, v68, s[28:29]
	v_exp_f32_e32 v70, v70
	v_mul_f32_e32 v71, 0x3fb8aa3b, v71
	v_sub_f32_e32 v82, v82, v88
	v_add_f32_e32 v74, 0, v68
	v_cndmask_b32_e64 v69, 0, v69, s[30:31]
	v_exp_f32_e32 v71, v71
	v_mul_f32_e32 v82, 0x3fb8aa3b, v82
	v_sub_f32_e32 v83, v83, v88
	v_add_f32_e32 v74, v74, v69
	;; [unrolled: 5-line block ×10, first 2 shown]
	v_cndmask_b32_e64 v78, 0, v78, s[10:11]
	v_exp_f32_e32 v66, v66
	v_mul_f32_e32 v67, 0x3fb8aa3b, v67
	v_add_f32_e32 v74, v74, v78
	v_cndmask_b32_e64 v79, 0, v79, s[12:13]
	v_exp_f32_e32 v67, v67
	v_add_f32_e32 v74, v74, v79
	v_cndmask_b32_e64 v76, 0, v76, s[2:3]
	v_add_f32_e32 v74, v74, v76
	v_cndmask_b32_e64 v77, 0, v77, s[8:9]
	v_add_f32_e32 v74, v74, v77
	v_cndmask_b32_e32 v66, 0, v66, vcc
	v_add_f32_e32 v74, v74, v66
	v_cndmask_b32_e64 v67, 0, v67, s[0:1]
	v_add_f32_e32 v74, v74, v67
	ds_bpermute_b32 v75, v75, v74
	s_waitcnt lgkmcnt(0)
	s_barrier
	v_add_f32_e32 v89, v74, v75
	ds_bpermute_b32 v90, v90, v89
	v_and_b32_e32 v74, 63, v0
	v_cmp_gt_u32_e32 vcc, 16, v74
	s_and_saveexec_b64 s[0:1], vcc
	s_cbranch_execz .LBB381_15
; %bb.14:
	s_waitcnt lgkmcnt(0)
	v_add_f32_e32 v74, v89, v90
	v_lshlrev_b32_e32 v75, 2, v87
	ds_write2st64_b32 v75, v88, v74 offset1:1
.LBB381_15:
	s_or_b64 exec, exec, s[0:1]
	v_lshlrev_b32_e32 v74, 2, v84
	s_load_dword s2, s[4:5], 0x94
	s_waitcnt lgkmcnt(0)
	s_barrier
	ds_read2_b32 v[88:89], v74 offset1:16
	ds_read2_b32 v[90:91], v74 offset0:32 offset1:48
	ds_read2_b32 v[92:93], v74 offset0:64 offset1:80
	;; [unrolled: 1-line block ×3, first 2 shown]
	s_movk_i32 s9, 0x7fff
	s_waitcnt lgkmcnt(3)
	v_max3_f32 v75, v88, s41, v89
	s_waitcnt lgkmcnt(2)
	v_max3_f32 v87, v75, v90, v91
	v_sub_f32_e32 v75, v88, v87
	v_mul_f32_e32 v75, 0x3fb8aa3b, v75
	v_sub_f32_e32 v85, v89, v87
	v_exp_f32_e32 v75, v75
	v_mul_f32_e32 v85, 0x3fb8aa3b, v85
	v_sub_f32_e32 v88, v90, v87
	v_exp_f32_e32 v85, v85
	;; [unrolled: 3-line block ×3, first 2 shown]
	v_mul_f32_e32 v74, 0x3fb8aa3b, v74
	v_exp_f32_e32 v74, v74
	s_waitcnt lgkmcnt(1)
	v_fma_f32 v88, v75, v92, 0
	v_fmac_f32_e32 v88, v85, v93
	s_waitcnt lgkmcnt(0)
	v_fmac_f32_e32 v88, v89, v94
	v_fmac_f32_e32 v88, v74, v95
	v_add_f32_e32 v90, 0x358637bd, v88
	v_div_scale_f32 v91, s[0:1], v90, v90, 1.0
	v_rcp_f32_e32 v92, v91
	s_mov_b32 s10, 0x7060302
	s_barrier
	v_fma_f32 v93, -v91, v92, 1.0
	v_fmac_f32_e32 v92, v93, v92
	v_div_scale_f32 v93, vcc, 1.0, v90, 1.0
	v_mul_f32_e32 v94, v93, v92
	v_fma_f32 v95, -v91, v94, v93
	v_fmac_f32_e32 v94, v95, v92
	v_fma_f32 v91, -v91, v94, v93
	v_div_fmas_f32 v91, v91, v92, v94
	v_cmp_eq_u32_e32 vcc, 1, v86
	v_cndmask_b32_e32 v75, v75, v85, vcc
	v_cmp_eq_u32_e32 vcc, 2, v86
	v_cndmask_b32_e32 v75, v75, v89, vcc
	v_cmp_eq_u32_e32 vcc, 3, v86
	v_div_fixup_f32 v90, v91, v90, 1.0
	v_cndmask_b32_e32 v74, v75, v74, vcc
	v_mul_f32_e32 v90, v74, v90
	v_pk_mul_f32 v[68:69], v[90:91], v[68:69] op_sel_hi:[0,1]
	v_bfe_u32 v74, v69, 16, 1
	v_bfe_u32 v75, v68, 16, 1
	v_pk_mul_f32 v[80:81], v[90:91], v[80:81] op_sel_hi:[0,1]
	v_add3_u32 v68, v68, v75, s9
	v_add3_u32 v69, v69, v74, s9
	v_perm_b32 v92, v69, v68, s10
	v_bfe_u32 v68, v81, 16, 1
	v_bfe_u32 v69, v80, 16, 1
	v_add3_u32 v69, v80, v69, s9
	v_add3_u32 v68, v81, v68, s9
	v_perm_b32 v93, v68, v69, s10
	v_lshlrev_b32_e32 v69, 3, v1
	v_lshlrev_b32_e32 v68, 5, v84
	;; [unrolled: 1-line block ×3, first 2 shown]
	v_pk_mul_f32 v[70:71], v[90:91], v[70:71] op_sel_hi:[0,1]
	v_or3_b32 v80, v74, v68, v69
	v_bfe_u32 v69, v71, 16, 1
	v_bfe_u32 v74, v70, 16, 1
	v_pk_mul_f32 v[82:83], v[90:91], v[82:83] op_sel_hi:[0,1]
	v_add3_u32 v70, v70, v74, s9
	v_add3_u32 v69, v71, v69, s9
	v_perm_b32 v70, v69, v70, s10
	v_bfe_u32 v69, v83, 16, 1
	v_bfe_u32 v71, v82, 16, 1
	v_add3_u32 v71, v82, v71, s9
	v_add3_u32 v69, v83, v69, s9
	v_pk_mul_f32 v[72:73], v[90:91], v[72:73] op_sel_hi:[0,1]
	v_perm_b32 v71, v69, v71, s10
	v_bfe_u32 v69, v73, 16, 1
	v_bfe_u32 v74, v72, 16, 1
	ds_write2st64_b64 v80, v[92:93], v[70:71] offset1:1
	v_pk_mul_f32 v[70:71], v[90:91], v[78:79] op_sel_hi:[0,1]
	v_add3_u32 v72, v72, v74, s9
	v_add3_u32 v69, v73, v69, s9
	v_perm_b32 v72, v69, v72, s10
	v_bfe_u32 v69, v71, 16, 1
	v_bfe_u32 v73, v70, 16, 1
	v_add3_u32 v70, v70, v73, s9
	v_add3_u32 v69, v71, v69, s9
	v_perm_b32 v73, v69, v70, s10
	v_pk_mul_f32 v[70:71], v[90:91], v[76:77] op_sel_hi:[0,1]
	v_bfe_u32 v69, v71, 16, 1
	v_bfe_u32 v74, v70, 16, 1
	v_pk_mul_f32 v[66:67], v[90:91], v[66:67] op_sel_hi:[0,1]
	v_add3_u32 v70, v70, v74, s9
	v_add3_u32 v69, v71, v69, s9
	v_perm_b32 v70, v69, v70, s10
	v_bfe_u32 v69, v67, 16, 1
	v_bfe_u32 v71, v66, 16, 1
	v_add3_u32 v66, v66, v71, s9
	v_add3_u32 v67, v67, v69, s9
	s_lshl_b32 s8, s40, 1
	v_perm_b32 v71, v67, v66, s10
	v_cmp_gt_u32_e32 vcc, 2, v0
	ds_write2st64_b64 v80, v[72:73], v[70:71] offset0:2 offset1:3
	s_and_saveexec_b64 s[0:1], vcc
	s_cbranch_execz .LBB381_17
; %bb.16:
	v_or_b32_e32 v66, s27, v0
	v_mov_b32_e32 v67, 0
	v_mov_b32_e32 v69, s8
	v_mad_u64_u32 v[70:71], s[16:17], s6, v69, v[66:67]
	v_mov_b32_e32 v66, s26
	s_load_dwordx4 s[12:15], s[4:5], 0x58
	s_mul_i32 s3, s7, s8
	v_mad_u64_u32 v[66:67], s[16:17], v70, s2, v[66:67]
	v_add_u32_e32 v69, s3, v71
	v_mov_b32_e32 v70, v67
	v_mad_u64_u32 v[70:71], s[16:17], v69, s2, v[70:71]
	v_mov_b32_e32 v67, v70
	v_lshlrev_b64 v[66:67], 2, v[66:67]
	s_waitcnt lgkmcnt(0)
	v_mov_b32_e32 v69, s15
	v_add_co_u32_e32 v70, vcc, s14, v66
	v_addc_co_u32_e32 v71, vcc, v69, v67, vcc
	v_mov_b32_e32 v69, s13
	v_add_co_u32_e32 v66, vcc, s12, v66
	v_addc_co_u32_e32 v67, vcc, v69, v67, vcc
	global_store_dword v[70:71], v87, off
	global_store_dword v[66:67], v88, off
.LBB381_17:
	s_or_b64 exec, exec, s[0:1]
	v_lshl_or_b32 v74, v1, 9, v68
	s_waitcnt lgkmcnt(0)
	s_barrier
	ds_read_b128 v[70:73], v74
	ds_read_b128 v[66:69], v74 offset:16
	s_waitcnt vmcnt(15) lgkmcnt(1)
	v_mfma_f32_16x16x16bf16_1k v[76:79], v[46:47], v[70:71], 0
	v_cmp_gt_u32_e32 vcc, 64, v0
	s_mov_b32 s3, 0
	v_mfma_f32_16x16x16bf16_1k v[46:49], v[48:49], v[72:73], v[76:79]
	s_waitcnt vmcnt(14) lgkmcnt(0)
	v_mfma_f32_16x16x16bf16_1k v[46:49], v[42:43], v[66:67], v[46:49]
	v_mfma_f32_16x16x16bf16_1k v[42:45], v[44:45], v[68:69], v[46:49]
	s_nop 7
	s_nop 1
	ds_read_b128 v[46:49], v74 offset:2048
	ds_read_b128 v[76:79], v74 offset:2064
	s_waitcnt vmcnt(13) lgkmcnt(1)
	v_mfma_f32_16x16x16bf16_1k v[42:45], v[38:39], v[46:47], v[42:45]
	v_mfma_f32_16x16x16bf16_1k v[38:41], v[40:41], v[48:49], v[42:45]
	s_waitcnt vmcnt(12) lgkmcnt(0)
	v_mfma_f32_16x16x16bf16_1k v[38:41], v[34:35], v[76:77], v[38:41]
	v_mfma_f32_16x16x16bf16_1k v[34:37], v[36:37], v[78:79], v[38:41]
	s_nop 7
	s_nop 1
	ds_read_b128 v[38:41], v74 offset:4096
	ds_read_b128 v[42:45], v74 offset:4112
	s_waitcnt vmcnt(11) lgkmcnt(1)
	v_mfma_f32_16x16x16bf16_1k v[34:37], v[30:31], v[38:39], v[34:37]
	v_mfma_f32_16x16x16bf16_1k v[30:33], v[32:33], v[40:41], v[34:37]
	s_waitcnt vmcnt(10) lgkmcnt(0)
	v_mfma_f32_16x16x16bf16_1k v[30:33], v[26:27], v[42:43], v[30:33]
	v_mfma_f32_16x16x16bf16_1k v[26:29], v[28:29], v[44:45], v[30:33]
	s_nop 7
	s_nop 1
	ds_read_b128 v[30:33], v74 offset:6144
	ds_read_b128 v[34:37], v74 offset:6160
	s_waitcnt lgkmcnt(0)
	s_barrier
	s_waitcnt vmcnt(9)
	v_mfma_f32_16x16x16bf16_1k v[26:29], v[22:23], v[30:31], v[26:29]
	v_mfma_f32_16x16x16bf16_1k v[22:25], v[24:25], v[32:33], v[26:29]
	s_waitcnt vmcnt(8)
	v_mfma_f32_16x16x16bf16_1k v[22:25], v[18:19], v[34:35], v[22:25]
	v_mfma_f32_16x16x16bf16_1k v[18:21], v[20:21], v[36:37], v[22:25]
	;; [unrolled: 3-line block ×4, first 2 shown]
	s_waitcnt vmcnt(5)
	v_mfma_f32_16x16x16bf16_1k v[2:5], v[14:15], v[46:47], v[2:5]
	s_nop 7
	v_bfe_u32 v6, v19, 16, 1
	v_bfe_u32 v7, v18, 16, 1
	v_add3_u32 v7, v18, v7, s9
	v_add3_u32 v6, v19, v6, s9
	v_perm_b32 v6, v6, v7, s10
	v_bfe_u32 v7, v21, 16, 1
	v_bfe_u32 v8, v20, 16, 1
	v_mfma_f32_16x16x16bf16_1k v[2:5], v[16:17], v[48:49], v[2:5]
	v_add3_u32 v8, v20, v8, s9
	v_add3_u32 v7, v21, v7, s9
	v_perm_b32 v7, v7, v8, s10
	s_waitcnt vmcnt(4)
	v_mfma_f32_16x16x16bf16_1k v[2:5], v[10:11], v[76:77], v[2:5]
	v_mfma_f32_16x16x16bf16_1k v[2:5], v[12:13], v[78:79], v[2:5]
	s_waitcnt vmcnt(3)
	v_mfma_f32_16x16x16bf16_1k v[2:5], v[54:55], v[38:39], v[2:5]
	v_mfma_f32_16x16x16bf16_1k v[2:5], v[56:57], v[40:41], v[2:5]
	s_waitcnt vmcnt(2)
	v_mfma_f32_16x16x16bf16_1k v[2:5], v[50:51], v[42:43], v[2:5]
	v_mfma_f32_16x16x16bf16_1k v[2:5], v[52:53], v[44:45], v[2:5]
	s_waitcnt vmcnt(1)
	v_mfma_f32_16x16x16bf16_1k v[2:5], v[62:63], v[30:31], v[2:5]
	v_mfma_f32_16x16x16bf16_1k v[2:5], v[64:65], v[32:33], v[2:5]
	s_waitcnt vmcnt(0)
	v_mfma_f32_16x16x16bf16_1k v[2:5], v[58:59], v[34:35], v[2:5]
	v_mfma_f32_16x16x16bf16_1k v[2:5], v[60:61], v[36:37], v[2:5]
	s_nop 7
	s_nop 2
	v_bfe_u32 v8, v3, 16, 1
	v_bfe_u32 v9, v2, 16, 1
	v_add3_u32 v2, v2, v9, s9
	v_add3_u32 v3, v3, v8, s9
	v_perm_b32 v2, v3, v2, s10
	v_bfe_u32 v3, v5, 16, 1
	v_bfe_u32 v8, v4, 16, 1
	v_add3_u32 v4, v4, v8, s9
	v_add3_u32 v3, v5, v3, s9
	v_perm_b32 v3, v3, v4, s10
	ds_write2st64_b64 v80, v[6:7], v[2:3] offset1:1
	v_and_b32_e32 v2, 63, v0
	v_cmp_gt_u32_e64 s[0:1], 32, v2
	s_and_b64 s[0:1], vcc, s[0:1]
	s_waitcnt lgkmcnt(0)
	s_barrier
	s_and_saveexec_b64 s[10:11], s[0:1]
	s_cbranch_execz .LBB381_19
; %bb.18:
	s_load_dwordx2 s[0:1], s[4:5], 0x68
	s_mul_i32 s4, s8, s6
	s_lshl_b32 s6, s2, 7
	s_mul_hi_u32 s5, s4, s6
	s_mul_i32 s4, s4, s6
	v_lshlrev_b32_e32 v4, 6, v84
	s_lshl_b64 s[4:5], s[4:5], 1
	v_lshlrev_b32_e32 v3, 4, v0
	v_lshl_or_b32 v0, v0, 10, v4
	s_waitcnt lgkmcnt(0)
	s_add_u32 s4, s0, s4
	v_lshlrev_b32_e32 v2, 5, v1
	v_and_b32_e32 v3, 16, v3
	v_and_b32_e32 v0, 0x1a00, v0
	s_addc_u32 s5, s1, s5
	s_lshl_b32 s2, s26, 7
	v_or3_b32 v0, v0, v2, v3
	s_lshl_b64 s[0:1], s[2:3], 1
	ds_read_b128 v[2:5], v0
	s_add_u32 s2, s4, s0
	v_or_b32_e32 v0, s27, v1
	s_addc_u32 s3, s5, s1
	v_mad_u64_u32 v[0:1], s[0:1], s6, v0, 0
	v_lshlrev_b64 v[0:1], 1, v[0:1]
	v_mov_b32_e32 v6, s3
	v_add_co_u32_e32 v0, vcc, s2, v0
	v_addc_co_u32_e32 v1, vcc, v6, v1, vcc
	buffer_load_dword v6, off, s[44:47], 0  ; 4-byte Folded Reload
	buffer_load_dword v7, off, s[44:47], 0 offset:4 ; 4-byte Folded Reload
	s_waitcnt vmcnt(1)
	v_add_co_u32_e32 v0, vcc, v0, v6
	s_waitcnt vmcnt(0)
	v_addc_co_u32_e32 v1, vcc, v1, v7, vcc
	s_waitcnt lgkmcnt(0)
	global_store_dwordx4 v[0:1], v[2:5], off
.LBB381_19:
	s_endpgm
	.section	.rodata,"a",@progbits
	.p2align	6, 0x0
	.amdhsa_kernel _Z39paged_attention_ll4mi_QKV_mfma16_kernelI14__hip_bfloat16S0_LN4vllm18Fp8KVCacheDataTypeE0ES0_Li32ELi128ELi256ELb0ELi2EL8MFMAType0EEvPKT_PKT0_S9_ifPKiSB_SB_iPKfiiiPfSE_PS4_PT2_iSD_SD_
		.amdhsa_group_segment_fixed_size 8192
		.amdhsa_private_segment_fixed_size 12
		.amdhsa_kernarg_size 400
		.amdhsa_user_sgpr_count 6
		.amdhsa_user_sgpr_private_segment_buffer 1
		.amdhsa_user_sgpr_dispatch_ptr 0
		.amdhsa_user_sgpr_queue_ptr 0
		.amdhsa_user_sgpr_kernarg_segment_ptr 1
		.amdhsa_user_sgpr_dispatch_id 0
		.amdhsa_user_sgpr_flat_scratch_init 0
		.amdhsa_user_sgpr_kernarg_preload_length 0
		.amdhsa_user_sgpr_kernarg_preload_offset 0
		.amdhsa_user_sgpr_private_segment_size 0
		.amdhsa_uses_dynamic_stack 0
		.amdhsa_system_sgpr_private_segment_wavefront_offset 1
		.amdhsa_system_sgpr_workgroup_id_x 1
		.amdhsa_system_sgpr_workgroup_id_y 1
		.amdhsa_system_sgpr_workgroup_id_z 1
		.amdhsa_system_sgpr_workgroup_info 0
		.amdhsa_system_vgpr_workitem_id 0
		.amdhsa_next_free_vgpr 96
		.amdhsa_next_free_sgpr 48
		.amdhsa_accum_offset 96
		.amdhsa_reserve_vcc 1
		.amdhsa_reserve_flat_scratch 0
		.amdhsa_float_round_mode_32 0
		.amdhsa_float_round_mode_16_64 0
		.amdhsa_float_denorm_mode_32 3
		.amdhsa_float_denorm_mode_16_64 3
		.amdhsa_dx10_clamp 1
		.amdhsa_ieee_mode 1
		.amdhsa_fp16_overflow 0
		.amdhsa_tg_split 0
		.amdhsa_exception_fp_ieee_invalid_op 0
		.amdhsa_exception_fp_denorm_src 0
		.amdhsa_exception_fp_ieee_div_zero 0
		.amdhsa_exception_fp_ieee_overflow 0
		.amdhsa_exception_fp_ieee_underflow 0
		.amdhsa_exception_fp_ieee_inexact 0
		.amdhsa_exception_int_div_zero 0
	.end_amdhsa_kernel
	.section	.text._Z39paged_attention_ll4mi_QKV_mfma16_kernelI14__hip_bfloat16S0_LN4vllm18Fp8KVCacheDataTypeE0ES0_Li32ELi128ELi256ELb0ELi2EL8MFMAType0EEvPKT_PKT0_S9_ifPKiSB_SB_iPKfiiiPfSE_PS4_PT2_iSD_SD_,"axG",@progbits,_Z39paged_attention_ll4mi_QKV_mfma16_kernelI14__hip_bfloat16S0_LN4vllm18Fp8KVCacheDataTypeE0ES0_Li32ELi128ELi256ELb0ELi2EL8MFMAType0EEvPKT_PKT0_S9_ifPKiSB_SB_iPKfiiiPfSE_PS4_PT2_iSD_SD_,comdat
.Lfunc_end381:
	.size	_Z39paged_attention_ll4mi_QKV_mfma16_kernelI14__hip_bfloat16S0_LN4vllm18Fp8KVCacheDataTypeE0ES0_Li32ELi128ELi256ELb0ELi2EL8MFMAType0EEvPKT_PKT0_S9_ifPKiSB_SB_iPKfiiiPfSE_PS4_PT2_iSD_SD_, .Lfunc_end381-_Z39paged_attention_ll4mi_QKV_mfma16_kernelI14__hip_bfloat16S0_LN4vllm18Fp8KVCacheDataTypeE0ES0_Li32ELi128ELi256ELb0ELi2EL8MFMAType0EEvPKT_PKT0_S9_ifPKiSB_SB_iPKfiiiPfSE_PS4_PT2_iSD_SD_
                                        ; -- End function
	.section	.AMDGPU.csdata,"",@progbits
; Kernel info:
; codeLenInByte = 5012
; NumSgprs: 52
; NumVgprs: 96
; NumAgprs: 0
; TotalNumVgprs: 96
; ScratchSize: 12
; MemoryBound: 0
; FloatMode: 240
; IeeeMode: 1
; LDSByteSize: 8192 bytes/workgroup (compile time only)
; SGPRBlocks: 6
; VGPRBlocks: 11
; NumSGPRsForWavesPerEU: 52
; NumVGPRsForWavesPerEU: 96
; AccumOffset: 96
; Occupancy: 5
; WaveLimiterHint : 1
; COMPUTE_PGM_RSRC2:SCRATCH_EN: 1
; COMPUTE_PGM_RSRC2:USER_SGPR: 6
; COMPUTE_PGM_RSRC2:TRAP_HANDLER: 0
; COMPUTE_PGM_RSRC2:TGID_X_EN: 1
; COMPUTE_PGM_RSRC2:TGID_Y_EN: 1
; COMPUTE_PGM_RSRC2:TGID_Z_EN: 1
; COMPUTE_PGM_RSRC2:TIDIG_COMP_CNT: 0
; COMPUTE_PGM_RSRC3_GFX90A:ACCUM_OFFSET: 23
; COMPUTE_PGM_RSRC3_GFX90A:TG_SPLIT: 0
	.section	.text._Z39paged_attention_ll4mi_QKV_mfma16_kernelI14__hip_bfloat16S0_LN4vllm18Fp8KVCacheDataTypeE0ES0_Li32ELi128ELi256ELb0ELi3EL8MFMAType0EEvPKT_PKT0_S9_ifPKiSB_SB_iPKfiiiPfSE_PS4_PT2_iSD_SD_,"axG",@progbits,_Z39paged_attention_ll4mi_QKV_mfma16_kernelI14__hip_bfloat16S0_LN4vllm18Fp8KVCacheDataTypeE0ES0_Li32ELi128ELi256ELb0ELi3EL8MFMAType0EEvPKT_PKT0_S9_ifPKiSB_SB_iPKfiiiPfSE_PS4_PT2_iSD_SD_,comdat
	.protected	_Z39paged_attention_ll4mi_QKV_mfma16_kernelI14__hip_bfloat16S0_LN4vllm18Fp8KVCacheDataTypeE0ES0_Li32ELi128ELi256ELb0ELi3EL8MFMAType0EEvPKT_PKT0_S9_ifPKiSB_SB_iPKfiiiPfSE_PS4_PT2_iSD_SD_ ; -- Begin function _Z39paged_attention_ll4mi_QKV_mfma16_kernelI14__hip_bfloat16S0_LN4vllm18Fp8KVCacheDataTypeE0ES0_Li32ELi128ELi256ELb0ELi3EL8MFMAType0EEvPKT_PKT0_S9_ifPKiSB_SB_iPKfiiiPfSE_PS4_PT2_iSD_SD_
	.globl	_Z39paged_attention_ll4mi_QKV_mfma16_kernelI14__hip_bfloat16S0_LN4vllm18Fp8KVCacheDataTypeE0ES0_Li32ELi128ELi256ELb0ELi3EL8MFMAType0EEvPKT_PKT0_S9_ifPKiSB_SB_iPKfiiiPfSE_PS4_PT2_iSD_SD_
	.p2align	8
	.type	_Z39paged_attention_ll4mi_QKV_mfma16_kernelI14__hip_bfloat16S0_LN4vllm18Fp8KVCacheDataTypeE0ES0_Li32ELi128ELi256ELb0ELi3EL8MFMAType0EEvPKT_PKT0_S9_ifPKiSB_SB_iPKfiiiPfSE_PS4_PT2_iSD_SD_,@function
_Z39paged_attention_ll4mi_QKV_mfma16_kernelI14__hip_bfloat16S0_LN4vllm18Fp8KVCacheDataTypeE0ES0_Li32ELi128ELi256ELb0ELi3EL8MFMAType0EEvPKT_PKT0_S9_ifPKiSB_SB_iPKfiiiPfSE_PS4_PT2_iSD_SD_: ; @_Z39paged_attention_ll4mi_QKV_mfma16_kernelI14__hip_bfloat16S0_LN4vllm18Fp8KVCacheDataTypeE0ES0_Li32ELi128ELi256ELb0ELi3EL8MFMAType0EEvPKT_PKT0_S9_ifPKiSB_SB_iPKfiiiPfSE_PS4_PT2_iSD_SD_
; %bb.0:
	s_mov_b64 s[46:47], s[2:3]
	s_mov_b64 s[44:45], s[0:1]
	s_load_dwordx2 s[0:1], s[4:5], 0x30
	s_add_u32 s44, s44, s9
	s_addc_u32 s45, s45, 0
	s_mov_b32 s26, s7
	s_mov_b64 s[10:11], 0
	s_waitcnt lgkmcnt(0)
	s_cmp_lg_u64 s[0:1], 0
	s_cselect_b64 s[2:3], -1, 0
	s_and_b64 vcc, exec, s[2:3]
	s_cbranch_vccz .LBB382_7
; %bb.1:
	s_add_i32 s12, s6, 1
	s_mov_b32 s13, 0
	s_lshl_b64 s[14:15], s[12:13], 2
	s_add_u32 s14, s0, s14
	s_mov_b32 s7, s13
	s_addc_u32 s15, s1, s15
	s_lshl_b64 s[12:13], s[6:7], 2
	s_add_u32 s12, s0, s12
	s_addc_u32 s13, s1, s13
	s_load_dword s9, s[14:15], 0x0
	s_load_dword s16, s[12:13], 0x0
	s_waitcnt lgkmcnt(0)
	s_sub_i32 s9, s9, s16
	s_cmp_eq_u32 s9, 1
	s_cselect_b64 s[12:13], -1, 0
	s_andn2_b64 vcc, exec, s[10:11]
	s_cbranch_vccnz .LBB382_3
.LBB382_2:
	s_mov_b32 s7, 0
	s_mov_b64 s[12:13], -1
.LBB382_3:
	s_andn2_b64 vcc, exec, s[12:13]
	s_cbranch_vccnz .LBB382_19
; %bb.4:
	s_load_dwordx2 s[12:13], s[4:5], 0x28
	s_lshl_b64 s[10:11], s[6:7], 2
	s_waitcnt lgkmcnt(0)
	s_add_u32 s12, s12, s10
	s_addc_u32 s13, s13, s11
	s_load_dword s33, s[12:13], 0x0
	s_lshl_b32 s9, s26, 8
	s_waitcnt lgkmcnt(0)
	s_cmp_ge_i32 s9, s33
	s_cbranch_scc1 .LBB382_19
; %bb.5:
	s_add_i32 s15, s33, 31
	s_load_dwordx2 s[12:13], s[4:5], 0x20
	s_load_dword s14, s[4:5], 0x38
	s_ashr_i32 s16, s15, 31
	v_and_b32_e32 v1, 0xcf, v0
	s_lshr_b32 s16, s16, 27
	v_add_u32_e32 v1, s9, v1
	s_add_i32 s15, s15, s16
	v_ashrrev_i32_e32 v2, 31, v1
	s_ashr_i32 s18, s15, 5
	v_lshrrev_b32_e32 v10, 27, v2
	s_add_i32 s18, s18, -1
	v_add_u32_e32 v2, v1, v10
	s_waitcnt lgkmcnt(0)
	s_mul_i32 s14, s6, s14
	s_mov_b32 s15, 0
	v_ashrrev_i32_e32 v2, 5, v2
	v_mov_b32_e32 v11, s18
	v_cmp_gt_i32_e32 vcc, s33, v1
	s_lshl_b64 s[14:15], s[14:15], 2
	v_cndmask_b32_e32 v2, v11, v2, vcc
	s_add_u32 s16, s12, s14
	v_ashrrev_i32_e32 v3, 31, v2
	s_addc_u32 s17, s13, s15
	v_lshlrev_b64 v[2:3], 2, v[2:3]
	v_mov_b32_e32 v4, s17
	v_add_co_u32_e32 v2, vcc, s16, v2
	v_addc_co_u32_e32 v3, vcc, v4, v3, vcc
	v_or_b32_e32 v4, 16, v1
	v_add_u32_e32 v5, v4, v10
	v_ashrrev_i32_e32 v5, 5, v5
	v_cmp_gt_i32_e32 vcc, s33, v4
	v_cndmask_b32_e32 v4, v11, v5, vcc
	v_ashrrev_i32_e32 v5, 31, v4
	v_lshlrev_b64 v[4:5], 2, v[4:5]
	v_mov_b32_e32 v7, s17
	v_add_co_u32_e32 v6, vcc, s16, v4
	v_or_b32_e32 v4, 32, v1
	v_addc_co_u32_e32 v7, vcc, v7, v5, vcc
	v_add_u32_e32 v5, v4, v10
	v_ashrrev_i32_e32 v5, 5, v5
	v_cmp_gt_i32_e32 vcc, s33, v4
	v_cndmask_b32_e32 v4, v11, v5, vcc
	v_ashrrev_i32_e32 v5, 31, v4
	v_lshlrev_b64 v[4:5], 2, v[4:5]
	v_mov_b32_e32 v9, s17
	v_add_co_u32_e32 v8, vcc, s16, v4
	v_or_b32_e32 v1, 48, v1
	v_addc_co_u32_e32 v9, vcc, v9, v5, vcc
	v_add_u32_e32 v4, v1, v10
	v_ashrrev_i32_e32 v4, 5, v4
	v_cmp_gt_i32_e32 vcc, s33, v1
	v_cndmask_b32_e32 v4, v11, v4, vcc
	v_ashrrev_i32_e32 v5, 31, v4
	v_lshlrev_b64 v[4:5], 2, v[4:5]
	v_mov_b32_e32 v1, s17
	v_add_co_u32_e32 v10, vcc, s16, v4
	v_addc_co_u32_e32 v11, vcc, v1, v5, vcc
	global_load_dword v5, v[2:3], off
	global_load_dword v4, v[6:7], off
	;; [unrolled: 1-line block ×4, first 2 shown]
	s_andn2_b64 vcc, exec, s[2:3]
	s_cbranch_vccnz .LBB382_8
; %bb.6:
	s_add_u32 s0, s0, s10
	s_addc_u32 s1, s1, s11
	s_load_dword s19, s[0:1], 0x0
	s_branch .LBB382_9
.LBB382_7:
	s_mov_b64 s[12:13], 0
	s_branch .LBB382_2
.LBB382_8:
	s_mov_b32 s19, s6
.LBB382_9:
	s_load_dwordx4 s[12:15], s[4:5], 0x8
	s_load_dwordx4 s[0:3], s[4:5], 0x48
	v_lshrrev_b32_e32 v74, 6, v0
	v_bfe_u32 v1, v0, 4, 2
	v_lshl_or_b32 v6, v74, 2, v1
	v_and_b32_e32 v94, 15, v0
	s_mul_i32 s27, s8, 3
	v_lshlrev_b32_e32 v2, 3, v94
	v_cmp_lt_u32_e32 vcc, 2, v6
	s_and_saveexec_b64 s[10:11], vcc
	s_xor_b64 s[10:11], exec, s[10:11]
; %bb.10:
	v_mov_b32_e32 v3, 0
                                        ; implicit-def: $vgpr6
; %bb.11:
	s_or_saveexec_b64 s[10:11], s[10:11]
	v_and_b32_e32 v75, 63, v0
	v_add_u32_e32 v7, s27, v1
	buffer_store_dword v7, off, s[44:47], 0 ; 4-byte Folded Spill
	s_xor_b64 exec, exec, s[10:11]
	s_cbranch_execz .LBB382_13
; %bb.12:
	buffer_load_dword v3, off, s[44:47], 0  ; 4-byte Folded Reload
	s_load_dwordx2 s[20:21], s[4:5], 0x0
	s_waitcnt lgkmcnt(0)
	s_ashr_i32 s3, s0, 31
	s_mul_hi_u32 s22, s19, s0
	s_mul_i32 s3, s19, s3
	s_add_i32 s23, s22, s3
	s_mul_i32 s22, s19, s0
	s_lshl_b64 s[22:23], s[22:23], 1
	s_add_u32 s0, s20, s22
	s_addc_u32 s3, s21, s23
	v_lshlrev_b32_e32 v12, 9, v94
	v_lshlrev_b32_e32 v6, 5, v6
	v_and_b32_e32 v12, 0x1800, v12
	s_waitcnt vmcnt(0)
	v_lshlrev_b32_e32 v8, 7, v3
	v_ashrrev_i32_e32 v9, 31, v8
	v_lshlrev_b64 v[8:9], 1, v[8:9]
	v_mov_b32_e32 v3, s3
	v_add_co_u32_e32 v7, vcc, s0, v8
	v_addc_co_u32_e32 v3, vcc, v3, v9, vcc
	v_lshlrev_b32_e32 v8, 1, v2
	v_add_co_u32_e32 v8, vcc, v7, v8
	v_addc_co_u32_e32 v9, vcc, 0, v3, vcc
	global_load_dwordx4 v[8:11], v[8:9], off
	v_and_b32_e32 v7, 3, v0
	v_lshlrev_b32_e32 v7, 9, v7
	v_mov_b32_e32 v3, 0
	v_or3_b32 v6, v12, v7, v6
	s_waitcnt vmcnt(0)
	ds_write_b128 v6, v[8:11]
.LBB382_13:
	s_or_b64 exec, exec, s[10:11]
	s_waitcnt lgkmcnt(0)
	s_mul_i32 s2, s8, s2
	s_mov_b32 s3, 0
	s_lshl_b64 s[2:3], s[2:3], 1
	s_add_u32 s8, s12, s2
	s_addc_u32 s10, s13, s3
	s_waitcnt vmcnt(4)
	v_mad_i64_i32 v[6:7], s[12:13], v5, s1, 0
	v_lshlrev_b64 v[6:7], 1, v[6:7]
	v_mov_b32_e32 v5, s10
	v_add_co_u32_e32 v6, vcc, s8, v6
	v_addc_co_u32_e32 v5, vcc, v5, v7, vcc
	v_lshlrev_b64 v[50:51], 1, v[2:3]
	v_add_co_u32_e32 v27, vcc, v6, v50
	v_lshlrev_b32_e32 v26, 9, v1
	v_addc_co_u32_e32 v28, vcc, v5, v51, vcc
	v_add_co_u32_e32 v2, vcc, v27, v26
	s_waitcnt vmcnt(3)
	v_mad_i64_i32 v[4:5], s[12:13], v4, s1, 0
	v_addc_co_u32_e32 v3, vcc, 0, v28, vcc
	v_lshlrev_b64 v[4:5], 1, v[4:5]
	v_mov_b32_e32 v6, s10
	v_add_co_u32_e32 v4, vcc, s8, v4
	s_load_dword s40, s[4:5], 0x98
	s_load_dword s0, s[4:5], 0x1c
	s_waitcnt lgkmcnt(0)
	s_barrier
	global_load_dwordx4 v[10:13], v[2:3], off
	global_load_dwordx4 v[14:17], v[2:3], off offset:2048
	v_addc_co_u32_e32 v5, vcc, v6, v5, vcc
	v_mov_b32_e32 v6, 0x100
	v_lshl_or_b32 v29, v94, 4, v6
	v_add_co_u32_e32 v31, vcc, v4, v29
	v_addc_co_u32_e32 v32, vcc, 0, v5, vcc
	v_add_co_u32_e32 v22, vcc, v31, v26
	v_addc_co_u32_e32 v23, vcc, 0, v32, vcc
	global_load_dwordx4 v[18:21], v[22:23], off
	v_mul_lo_u16_e32 v4, 0x56, v94
	v_mov_b32_e32 v2, 3
	v_mul_lo_u16_sdwa v2, v4, v2 dst_sel:DWORD dst_unused:UNUSED_PAD src0_sel:BYTE_1 src1_sel:DWORD
	v_sub_u16_e32 v2, v94, v2
	v_and_b32_e32 v2, 0xff, v2
	v_lshl_add_u32 v30, v2, 5, v26
	ds_read_b128 v[6:9], v30
	ds_read_b128 v[2:5], v30 offset:2048
	v_or_b32_e32 v54, 0x1000, v26
	global_load_dwordx4 v[38:41], v[22:23], off offset:2048
	v_or_b32_e32 v70, 0x1800, v26
	s_ashr_i32 s11, s9, 31
	v_and_or_b32 v66, v0, 48, s9
	v_lshl_or_b32 v88, v74, 4, v94
	v_lshlrev_b32_e32 v83, 6, v88
	s_mov_b32 s41, 0xff7fffff
	s_waitcnt vmcnt(3) lgkmcnt(1)
	v_mfma_f32_16x16x16bf16_1k v[34:37], v[10:11], v[6:7], 0
	s_waitcnt vmcnt(1)
	v_mfma_f32_16x16x16bf16_1k v[42:45], v[18:19], v[6:7], 0
	v_add_co_u32_e32 v18, vcc, v27, v54
	v_addc_co_u32_e32 v19, vcc, 0, v28, vcc
	v_mfma_f32_16x16x16bf16_1k v[10:13], v[12:13], v[8:9], v[34:37]
	s_nop 6
	global_load_dwordx4 v[34:37], v[18:19], off
	v_add_co_u32_e32 v22, vcc, v31, v54
	v_addc_co_u32_e32 v23, vcc, 0, v32, vcc
	v_mfma_f32_16x16x16bf16_1k v[18:21], v[20:21], v[8:9], v[42:45]
	s_nop 6
	global_load_dwordx4 v[42:45], v[22:23], off
	v_add_co_u32_e32 v22, vcc, v27, v70
	v_addc_co_u32_e32 v23, vcc, 0, v28, vcc
	s_waitcnt lgkmcnt(0)
	v_mfma_f32_16x16x16bf16_1k v[10:13], v[14:15], v[2:3], v[10:13]
	global_load_dwordx4 v[46:49], v[22:23], off
	v_mad_i64_i32 v[14:15], s[12:13], v25, s1, 0
	v_add_co_u32_e32 v22, vcc, v31, v70
	v_lshlrev_b64 v[14:15], 1, v[14:15]
	v_addc_co_u32_e32 v23, vcc, 0, v32, vcc
	global_load_dwordx4 v[58:61], v[22:23], off
	v_mov_b32_e32 v22, s10
	v_add_co_u32_e32 v23, vcc, s8, v14
	v_addc_co_u32_e32 v22, vcc, v22, v15, vcc
	v_add_co_u32_e32 v27, vcc, v23, v50
	buffer_store_dword v50, off, s[44:47], 0 offset:4 ; 4-byte Folded Spill
	s_nop 0
	buffer_store_dword v51, off, s[44:47], 0 offset:8 ; 4-byte Folded Spill
	s_waitcnt vmcnt(6)
	v_mfma_f32_16x16x16bf16_1k v[18:21], v[38:39], v[2:3], v[18:21]
	v_addc_co_u32_e32 v28, vcc, v22, v51, vcc
	v_add_co_u32_e32 v22, vcc, v27, v26
	v_addc_co_u32_e32 v23, vcc, 0, v28, vcc
	v_mfma_f32_16x16x16bf16_1k v[18:21], v[40:41], v[4:5], v[18:21]
	global_load_dwordx4 v[38:41], v[22:23], off
	v_mfma_f32_16x16x16bf16_1k v[14:17], v[16:17], v[4:5], v[10:13]
	s_nop 6
	ds_read_b128 v[10:13], v30 offset:4096
	ds_read_b128 v[50:53], v30 offset:6144
	global_load_dwordx4 v[30:33], v[22:23], off offset:2048
	v_mad_i64_i32 v[22:23], s[12:13], v24, s1, 0
	s_waitcnt vmcnt(7) lgkmcnt(1)
	v_mfma_f32_16x16x16bf16_1k v[14:17], v[34:35], v[10:11], v[14:17]
	v_lshlrev_b64 v[34:35], 1, v[22:23]
	v_add_co_u32_e32 v22, vcc, v27, v54
	v_addc_co_u32_e32 v23, vcc, 0, v28, vcc
	global_load_dwordx4 v[22:25], v[22:23], off
	v_add_co_u32_e32 v34, vcc, s8, v34
	s_waitcnt vmcnt(7)
	v_mfma_f32_16x16x16bf16_1k v[18:21], v[42:43], v[10:11], v[18:21]
	v_mov_b32_e32 v42, s10
	v_addc_co_u32_e32 v35, vcc, v42, v35, vcc
	v_add_co_u32_e32 v71, vcc, v34, v29
	v_addc_co_u32_e32 v72, vcc, 0, v35, vcc
	v_mfma_f32_16x16x16bf16_1k v[14:17], v[36:37], v[12:13], v[14:17]
	v_add_co_u32_e32 v34, vcc, v27, v70
	v_addc_co_u32_e32 v35, vcc, 0, v28, vcc
	v_add_co_u32_e32 v42, vcc, v71, v26
	v_addc_co_u32_e32 v43, vcc, 0, v72, vcc
	v_mfma_f32_16x16x16bf16_1k v[18:21], v[44:45], v[12:13], v[18:21]
	s_lshr_b32 s10, s11, 27
	v_add_co_u32_e32 v44, vcc, v71, v54
	v_addc_co_u32_e32 v45, vcc, 0, v72, vcc
	v_cmp_gt_i32_e32 vcc, s33, v66
	s_add_u32 s2, s14, s2
	s_waitcnt vmcnt(6) lgkmcnt(0)
	v_mfma_f32_16x16x16bf16_1k v[26:29], v[46:47], v[50:51], v[14:17]
	global_load_dwordx4 v[34:37], v[34:35], off
	s_nop 0
	global_load_dwordx4 v[62:65], v[42:43], off
	s_nop 3
	global_load_dwordx4 v[14:17], v[42:43], off offset:2048
	v_mov_b32_e32 v42, s17
	s_addc_u32 s3, s15, s3
	v_mfma_f32_16x16x16bf16_1k v[54:57], v[48:49], v[52:53], v[26:29]
	s_nop 6
	v_add_u32_e32 v26, s10, v66
	s_waitcnt vmcnt(8)
	v_mfma_f32_16x16x16bf16_1k v[18:21], v[58:59], v[50:51], v[18:21]
	v_ashrrev_i32_e32 v26, 5, v26
	v_mov_b32_e32 v28, s18
	v_cndmask_b32_e32 v26, v28, v26, vcc
	v_ashrrev_i32_e32 v27, 31, v26
	v_lshlrev_b64 v[26:27], 2, v[26:27]
	v_mov_b32_e32 v29, s17
	v_add_co_u32_e32 v26, vcc, s16, v26
	v_addc_co_u32_e32 v27, vcc, v29, v27, vcc
	global_load_dword v29, v[26:27], off
	v_or_b32_e32 v26, 64, v66
	v_mfma_f32_16x16x16bf16_1k v[58:61], v[60:61], v[52:53], v[18:21]
	v_cmp_gt_i32_e32 vcc, s33, v26
	s_nop 5
	v_add_u32_e32 v18, s10, v26
	v_ashrrev_i32_e32 v18, 5, v18
	v_cndmask_b32_e32 v18, v28, v18, vcc
	v_ashrrev_i32_e32 v19, 31, v18
	v_lshlrev_b64 v[26:27], 2, v[18:19]
	s_waitcnt vmcnt(6)
	v_mfma_f32_16x16x16bf16_1k v[18:21], v[38:39], v[6:7], 0
	v_add_co_u32_e32 v26, vcc, s16, v26
	v_addc_co_u32_e32 v27, vcc, v42, v27, vcc
	global_load_dword v38, v[26:27], off
	v_or_b32_e32 v26, 0x80, v66
	v_add_u32_e32 v27, s10, v26
	v_mfma_f32_16x16x16bf16_1k v[18:21], v[40:41], v[8:9], v[18:21]
	v_ashrrev_i32_e32 v27, 5, v27
	v_cmp_gt_i32_e32 vcc, s33, v26
	v_cndmask_b32_e32 v26, v28, v27, vcc
	v_ashrrev_i32_e32 v27, 31, v26
	v_lshlrev_b64 v[26:27], 2, v[26:27]
	v_mov_b32_e32 v39, s17
	v_add_co_u32_e32 v26, vcc, s16, v26
	v_addc_co_u32_e32 v27, vcc, v39, v27, vcc
	s_waitcnt vmcnt(6)
	v_mfma_f32_16x16x16bf16_1k v[18:21], v[30:31], v[2:3], v[18:21]
	global_load_dword v30, v[26:27], off
	v_or_b32_e32 v26, 0xc0, v66
	global_load_dwordx4 v[66:69], v[44:45], off
	v_add_u32_e32 v27, s10, v26
	v_ashrrev_i32_e32 v27, 5, v27
	v_cmp_gt_i32_e32 vcc, s33, v26
	v_cndmask_b32_e32 v26, v28, v27, vcc
	v_mfma_f32_16x16x16bf16_1k v[18:21], v[32:33], v[4:5], v[18:21]
	v_ashrrev_i32_e32 v27, 31, v26
	v_lshlrev_b64 v[26:27], 2, v[26:27]
	v_mov_b32_e32 v28, s17
	v_add_co_u32_e32 v26, vcc, s16, v26
	v_addc_co_u32_e32 v27, vcc, v28, v27, vcc
	s_waitcnt vmcnt(7)
	v_mfma_f32_16x16x16bf16_1k v[18:21], v[22:23], v[10:11], v[18:21]
	v_add_co_u32_e32 v22, vcc, v71, v70
	v_addc_co_u32_e32 v23, vcc, 0, v72, vcc
	global_load_dwordx4 v[90:93], v[22:23], off
	global_load_dword v80, v[26:27], off
	v_and_b32_e32 v22, 16, v0
	v_mfma_f32_16x16x16bf16_1k v[18:21], v[24:25], v[12:13], v[18:21]
	v_lshlrev_b32_e32 v22, 1, v22
	v_mov_b32_e32 v23, s3
	v_add_co_u32_e32 v81, vcc, s2, v22
	v_addc_co_u32_e32 v82, vcc, 0, v23, vcc
	v_add_co_u32_e32 v22, vcc, v81, v83
	s_waitcnt vmcnt(8)
	v_mfma_f32_16x16x16bf16_1k v[18:21], v[34:35], v[50:51], v[18:21]
	v_addc_co_u32_e32 v23, vcc, 0, v82, vcc
	v_mfma_f32_16x16x16bf16_1k v[76:79], v[36:37], v[52:53], v[18:21]
	s_waitcnt vmcnt(5)
	s_nop 7
	v_mad_i64_i32 v[18:19], s[2:3], v29, s1, 0
	v_lshlrev_b64 v[70:71], 1, v[18:19]
	v_mfma_f32_16x16x16bf16_1k v[18:21], v[62:63], v[6:7], 0
	v_add_co_u32_e32 v6, vcc, v22, v70
	v_addc_co_u32_e32 v7, vcc, v23, v71, vcc
	global_load_dwordx4 v[46:49], v[6:7], off
	global_load_dwordx4 v[42:45], v[6:7], off offset:16
	v_pk_mul_f32 v[78:79], s[0:1], v[78:79] op_sel_hi:[0,1]
	s_waitcnt vmcnt(6)
	v_mad_i64_i32 v[6:7], s[2:3], v38, s1, 0
	v_lshlrev_b64 v[72:73], 1, v[6:7]
	v_mfma_f32_16x16x16bf16_1k v[6:9], v[64:65], v[8:9], v[18:21]
	v_mfma_f32_16x16x16bf16_1k v[6:9], v[14:15], v[2:3], v[6:9]
	s_nop 5
	v_add_co_u32_e32 v18, vcc, v22, v72
	v_addc_co_u32_e32 v19, vcc, v23, v73, vcc
	global_load_dwordx4 v[38:41], v[18:19], off
	global_load_dwordx4 v[34:37], v[18:19], off offset:16
	s_waitcnt vmcnt(7)
	v_mad_i64_i32 v[18:19], s[2:3], v30, s1, 0
	v_lshlrev_b64 v[64:65], 1, v[18:19]
	v_add_co_u32_e32 v2, vcc, v22, v64
	v_addc_co_u32_e32 v3, vcc, v23, v65, vcc
	global_load_dwordx4 v[30:33], v[2:3], off
	global_load_dwordx4 v[26:29], v[2:3], off offset:16
	v_mfma_f32_16x16x16bf16_1k v[2:5], v[16:17], v[4:5], v[6:9]
	s_waitcnt vmcnt(8)
	v_mfma_f32_16x16x16bf16_1k v[2:5], v[66:67], v[10:11], v[2:5]
	s_waitcnt vmcnt(6)
	s_nop 3
	v_mad_i64_i32 v[6:7], s[2:3], v80, s1, 0
	v_lshlrev_b64 v[62:63], 1, v[6:7]
	v_add_co_u32_e32 v6, vcc, v22, v62
	v_mfma_f32_16x16x16bf16_1k v[10:13], v[68:69], v[12:13], v[2:5]
	v_addc_co_u32_e32 v7, vcc, v23, v63, vcc
	global_load_dwordx4 v[22:25], v[6:7], off
	global_load_dwordx4 v[18:21], v[6:7], off offset:16
	v_or_b32_e32 v6, 0x1000, v83
	v_add_co_u32_e32 v89, vcc, v81, v6
	v_addc_co_u32_e32 v95, vcc, 0, v82, vcc
	v_mfma_f32_16x16x16bf16_1k v[84:87], v[90:91], v[50:51], v[10:13]
	v_add_co_u32_e32 v2, vcc, v89, v70
	v_addc_co_u32_e32 v3, vcc, v95, v71, vcc
	v_add_co_u32_e32 v66, vcc, v89, v72
	v_addc_co_u32_e32 v67, vcc, v95, v73, vcc
	v_mfma_f32_16x16x16bf16_1k v[50:53], v[92:93], v[52:53], v[84:87]
	v_pk_mul_f32 v[72:73], s[0:1], v[76:77] op_sel_hi:[0,1]
	global_load_dwordx4 v[6:9], v[2:3], off
	s_nop 0
	global_load_dwordx4 v[2:5], v[2:3], off offset:16
	s_nop 0
	global_load_dwordx4 v[14:17], v[66:67], off
	global_load_dwordx4 v[10:13], v[66:67], off offset:16
	v_pk_mul_f32 v[68:69], s[0:1], v[54:55] op_sel_hi:[0,1]
	v_pk_mul_f32 v[80:81], s[0:1], v[56:57] op_sel_hi:[0,1]
	;; [unrolled: 1-line block ×5, first 2 shown]
	v_and_b32_e32 v50, 0xc0, v0
	v_add_u32_e32 v50, s9, v50
	v_lshl_or_b32 v50, v1, 2, v50
	v_pk_mul_f32 v[66:67], s[0:1], v[52:53] op_sel_hi:[0,1]
	v_or_b32_e32 v53, 1, v50
	v_mov_b32_e32 v51, 0xff7fffff
	v_cmp_gt_i32_e64 s[28:29], s33, v50
	v_cmp_gt_i32_e64 s[30:31], s33, v53
	v_cndmask_b32_e64 v52, v51, v68, s[28:29]
	v_cndmask_b32_e64 v53, v51, v69, s[30:31]
	v_max3_f32 v52, v52, s41, v53
	v_or_b32_e32 v53, 2, v50
	v_or_b32_e32 v54, 3, v50
	v_cmp_gt_i32_e64 s[34:35], s33, v53
	v_cmp_gt_i32_e64 s[36:37], s33, v54
	v_cndmask_b32_e64 v53, v51, v80, s[34:35]
	v_cndmask_b32_e64 v54, v51, v81, s[36:37]
	v_max3_f32 v52, v52, v53, v54
	v_or_b32_e32 v53, 16, v50
	v_or_b32_e32 v54, 17, v50
	;; [unrolled: 7-line block ×7, first 2 shown]
	v_cmp_gt_i32_e32 vcc, s33, v53
	v_cmp_gt_i32_e64 s[0:1], s33, v50
	v_cndmask_b32_e32 v53, v51, v66, vcc
	v_cndmask_b32_e64 v50, v51, v67, s[0:1]
	v_max3_f32 v58, v52, v53, v50
	v_mbcnt_lo_u32_b32 v50, -1, 0
	v_mbcnt_hi_u32_b32 v59, -1, v50
	v_and_b32_e32 v50, 64, v59
	v_add_u32_e32 v60, 64, v50
	v_xor_b32_e32 v50, 32, v59
	v_cmp_lt_i32_e64 s[38:39], v50, v60
	v_cndmask_b32_e64 v50, v59, v50, s[38:39]
	v_lshlrev_b32_e32 v84, 2, v50
	ds_bpermute_b32 v61, v84, v58
	v_add_co_u32_e64 v50, s[38:39], v89, v64
	v_addc_co_u32_e64 v51, s[38:39], v95, v65, s[38:39]
	s_waitcnt lgkmcnt(0)
	v_max_f32_e32 v61, v61, v61
	v_max_f32_e32 v61, v58, v61
	v_xor_b32_e32 v58, 16, v59
	v_cmp_lt_i32_e64 s[38:39], v58, v60
	v_cndmask_b32_e64 v58, v59, v58, s[38:39]
	v_lshlrev_b32_e32 v85, 2, v58
	ds_bpermute_b32 v60, v85, v61
	v_add_co_u32_e64 v58, s[38:39], v89, v62
	v_addc_co_u32_e64 v59, s[38:39], v95, v63, s[38:39]
	s_waitcnt lgkmcnt(0)
	v_max_f32_e32 v60, v60, v60
	v_max_f32_e32 v89, v61, v60
	v_sub_f32_e32 v60, v68, v89
	v_mul_f32_e32 v60, 0x3fb8aa3b, v60
	v_exp_f32_e32 v68, v60
	v_sub_f32_e32 v60, v69, v89
	v_mul_f32_e32 v60, 0x3fb8aa3b, v60
	global_load_dwordx4 v[54:57], v[50:51], off
	s_nop 0
	global_load_dwordx4 v[50:53], v[50:51], off offset:16
	v_exp_f32_e32 v69, v60
	global_load_dwordx4 v[62:65], v[58:59], off
	s_nop 0
	global_load_dwordx4 v[58:61], v[58:59], off offset:16
	v_sub_f32_e32 v80, v80, v89
	v_mul_f32_e32 v80, 0x3fb8aa3b, v80
	v_sub_f32_e32 v81, v81, v89
	v_exp_f32_e32 v80, v80
	v_mul_f32_e32 v81, 0x3fb8aa3b, v81
	v_sub_f32_e32 v70, v70, v89
	v_exp_f32_e32 v81, v81
	v_mul_f32_e32 v70, 0x3fb8aa3b, v70
	v_sub_f32_e32 v71, v71, v89
	v_cndmask_b32_e64 v68, 0, v68, s[28:29]
	v_exp_f32_e32 v70, v70
	v_mul_f32_e32 v71, 0x3fb8aa3b, v71
	v_sub_f32_e32 v82, v82, v89
	v_add_f32_e32 v86, 0, v68
	v_cndmask_b32_e64 v69, 0, v69, s[30:31]
	v_exp_f32_e32 v71, v71
	v_mul_f32_e32 v82, 0x3fb8aa3b, v82
	v_sub_f32_e32 v83, v83, v89
	v_add_f32_e32 v86, v86, v69
	;; [unrolled: 5-line block ×10, first 2 shown]
	v_cndmask_b32_e64 v78, 0, v78, s[10:11]
	v_exp_f32_e32 v66, v66
	v_mul_f32_e32 v67, 0x3fb8aa3b, v67
	v_add_f32_e32 v86, v86, v78
	v_cndmask_b32_e64 v79, 0, v79, s[12:13]
	v_exp_f32_e32 v67, v67
	v_add_f32_e32 v86, v86, v79
	v_cndmask_b32_e64 v76, 0, v76, s[2:3]
	v_add_f32_e32 v86, v86, v76
	v_cndmask_b32_e64 v77, 0, v77, s[8:9]
	v_add_f32_e32 v86, v86, v77
	v_cndmask_b32_e32 v66, 0, v66, vcc
	v_add_f32_e32 v86, v86, v66
	v_cndmask_b32_e64 v67, 0, v67, s[0:1]
	v_add_f32_e32 v86, v86, v67
	ds_bpermute_b32 v84, v84, v86
	v_cmp_gt_u32_e32 vcc, 16, v75
	s_waitcnt lgkmcnt(0)
	s_barrier
	v_add_f32_e32 v90, v86, v84
	ds_bpermute_b32 v91, v85, v90
	s_and_saveexec_b64 s[0:1], vcc
	s_cbranch_execz .LBB382_15
; %bb.14:
	s_waitcnt lgkmcnt(0)
	v_add_f32_e32 v75, v90, v91
	v_lshlrev_b32_e32 v84, 2, v88
	ds_write2st64_b32 v84, v89, v75 offset1:1
.LBB382_15:
	s_or_b64 exec, exec, s[0:1]
	v_lshlrev_b32_e32 v75, 2, v94
	s_load_dword s2, s[4:5], 0x94
	s_waitcnt lgkmcnt(0)
	s_barrier
	ds_read2_b32 v[84:85], v75 offset1:16
	ds_read2_b32 v[88:89], v75 offset0:32 offset1:48
	ds_read2_b32 v[90:91], v75 offset0:64 offset1:80
	s_movk_i32 s9, 0x7fff
	s_mov_b32 s10, 0x7060302
	s_waitcnt lgkmcnt(2)
	v_max3_f32 v86, v84, s41, v85
	s_waitcnt lgkmcnt(1)
	v_max3_f32 v87, v86, v88, v89
	v_sub_f32_e32 v84, v84, v87
	v_mul_f32_e32 v84, 0x3fb8aa3b, v84
	v_exp_f32_e32 v86, v84
	v_sub_f32_e32 v84, v85, v87
	v_mul_f32_e32 v84, 0x3fb8aa3b, v84
	v_exp_f32_e32 v92, v84
	;; [unrolled: 3-line block ×3, first 2 shown]
	ds_read2_b32 v[84:85], v75 offset0:96 offset1:112
	v_sub_f32_e32 v75, v89, v87
	v_mul_f32_e32 v75, 0x3fb8aa3b, v75
	v_exp_f32_e32 v75, v75
	s_waitcnt lgkmcnt(1)
	v_fma_f32 v88, v86, v90, 0
	v_fmac_f32_e32 v88, v92, v91
	s_waitcnt lgkmcnt(0)
	v_fmac_f32_e32 v88, v93, v84
	v_fmac_f32_e32 v88, v75, v85
	v_add_f32_e32 v84, 0x358637bd, v88
	v_div_scale_f32 v85, s[0:1], v84, v84, 1.0
	v_rcp_f32_e32 v89, v85
	s_barrier
	v_fma_f32 v90, -v85, v89, 1.0
	v_fmac_f32_e32 v89, v90, v89
	v_div_scale_f32 v90, vcc, 1.0, v84, 1.0
	v_mul_f32_e32 v91, v90, v89
	v_fma_f32 v95, -v85, v91, v90
	v_fmac_f32_e32 v91, v95, v89
	v_fma_f32 v85, -v85, v91, v90
	v_div_fmas_f32 v85, v85, v89, v91
	v_cmp_eq_u32_e32 vcc, 1, v74
	v_div_fixup_f32 v84, v85, v84, 1.0
	v_cndmask_b32_e32 v85, v86, v92, vcc
	v_cmp_eq_u32_e32 vcc, 2, v74
	v_cndmask_b32_e32 v85, v85, v93, vcc
	v_cmp_eq_u32_e32 vcc, 3, v74
	v_cndmask_b32_e32 v75, v85, v75, vcc
	v_mul_f32_e32 v84, v75, v84
	v_pk_mul_f32 v[68:69], v[84:85], v[68:69] op_sel_hi:[0,1]
	v_pk_mul_f32 v[80:81], v[84:85], v[80:81] op_sel_hi:[0,1]
	v_bfe_u32 v75, v69, 16, 1
	v_bfe_u32 v85, v68, 16, 1
	v_add3_u32 v68, v68, v85, s9
	v_add3_u32 v69, v69, v75, s9
	v_perm_b32 v90, v69, v68, s10
	v_bfe_u32 v68, v81, 16, 1
	v_bfe_u32 v69, v80, 16, 1
	v_add3_u32 v69, v80, v69, s9
	v_add3_u32 v68, v81, v68, s9
	v_perm_b32 v91, v68, v69, s10
	v_lshlrev_b32_e32 v69, 3, v1
	v_lshlrev_b32_e32 v68, 5, v94
	v_lshlrev_b32_e32 v74, 11, v74
	v_pk_mul_f32 v[70:71], v[84:85], v[70:71] op_sel_hi:[0,1]
	v_or3_b32 v80, v74, v68, v69
	v_bfe_u32 v69, v71, 16, 1
	v_bfe_u32 v81, v70, 16, 1
	v_pk_mul_f32 v[74:75], v[84:85], v[82:83] op_sel_hi:[0,1]
	v_add3_u32 v70, v70, v81, s9
	v_add3_u32 v69, v71, v69, s9
	v_perm_b32 v70, v69, v70, s10
	v_bfe_u32 v69, v75, 16, 1
	v_bfe_u32 v71, v74, 16, 1
	v_add3_u32 v71, v74, v71, s9
	v_add3_u32 v69, v75, v69, s9
	v_pk_mul_f32 v[72:73], v[84:85], v[72:73] op_sel_hi:[0,1]
	v_perm_b32 v71, v69, v71, s10
	v_bfe_u32 v69, v73, 16, 1
	v_bfe_u32 v74, v72, 16, 1
	ds_write2st64_b64 v80, v[90:91], v[70:71] offset1:1
	v_pk_mul_f32 v[70:71], v[84:85], v[78:79] op_sel_hi:[0,1]
	v_add3_u32 v72, v72, v74, s9
	v_add3_u32 v69, v73, v69, s9
	v_perm_b32 v72, v69, v72, s10
	v_bfe_u32 v69, v71, 16, 1
	v_bfe_u32 v73, v70, 16, 1
	v_add3_u32 v70, v70, v73, s9
	v_add3_u32 v69, v71, v69, s9
	v_perm_b32 v73, v69, v70, s10
	v_pk_mul_f32 v[70:71], v[84:85], v[76:77] op_sel_hi:[0,1]
	v_bfe_u32 v69, v71, 16, 1
	v_bfe_u32 v74, v70, 16, 1
	v_pk_mul_f32 v[66:67], v[84:85], v[66:67] op_sel_hi:[0,1]
	v_add3_u32 v70, v70, v74, s9
	v_add3_u32 v69, v71, v69, s9
	v_perm_b32 v70, v69, v70, s10
	v_bfe_u32 v69, v67, 16, 1
	v_bfe_u32 v71, v66, 16, 1
	v_add3_u32 v66, v66, v71, s9
	v_add3_u32 v67, v67, v69, s9
	s_mul_i32 s8, s40, 3
	v_perm_b32 v71, v67, v66, s10
	v_cmp_gt_u32_e32 vcc, 3, v0
	ds_write2st64_b64 v80, v[72:73], v[70:71] offset0:2 offset1:3
	s_and_saveexec_b64 s[0:1], vcc
	s_cbranch_execz .LBB382_17
; %bb.16:
	v_add_co_u32_e32 v70, vcc, s27, v94
	v_addc_co_u32_e64 v71, s[16:17], 0, 0, vcc
	v_mov_b32_e32 v66, s8
	v_mov_b32_e32 v67, 0
	v_mad_u64_u32 v[70:71], s[16:17], s6, v66, v[70:71]
	v_mov_b32_e32 v66, s26
	s_load_dwordx4 s[12:15], s[4:5], 0x58
	s_mul_i32 s3, s7, s8
	v_mad_u64_u32 v[66:67], s[16:17], v70, s2, v[66:67]
	v_add_u32_e32 v69, s3, v71
	v_mov_b32_e32 v70, v67
	v_mad_u64_u32 v[70:71], s[16:17], v69, s2, v[70:71]
	v_mov_b32_e32 v67, v70
	v_lshlrev_b64 v[66:67], 2, v[66:67]
	s_waitcnt lgkmcnt(0)
	v_mov_b32_e32 v69, s15
	v_add_co_u32_e32 v70, vcc, s14, v66
	v_addc_co_u32_e32 v71, vcc, v69, v67, vcc
	v_mov_b32_e32 v69, s13
	v_add_co_u32_e32 v66, vcc, s12, v66
	v_addc_co_u32_e32 v67, vcc, v69, v67, vcc
	global_store_dword v[70:71], v87, off
	global_store_dword v[66:67], v88, off
.LBB382_17:
	s_or_b64 exec, exec, s[0:1]
	v_lshl_or_b32 v78, v1, 9, v68
	s_waitcnt lgkmcnt(0)
	s_barrier
	ds_read_b128 v[70:73], v78
	ds_read_b128 v[66:69], v78 offset:16
	s_waitcnt vmcnt(15) lgkmcnt(1)
	v_mfma_f32_16x16x16bf16_1k v[74:77], v[46:47], v[70:71], 0
	v_cmp_gt_u32_e32 vcc, 64, v0
	v_cmp_ne_u32_e64 s[0:1], 3, v1
	s_mov_b32 s3, 0
	s_and_b64 s[0:1], vcc, s[0:1]
	v_mfma_f32_16x16x16bf16_1k v[46:49], v[48:49], v[72:73], v[74:77]
	s_waitcnt vmcnt(14) lgkmcnt(0)
	v_mfma_f32_16x16x16bf16_1k v[46:49], v[42:43], v[66:67], v[46:49]
	v_mfma_f32_16x16x16bf16_1k v[42:45], v[44:45], v[68:69], v[46:49]
	s_nop 7
	s_nop 1
	ds_read_b128 v[46:49], v78 offset:2048
	ds_read_b128 v[74:77], v78 offset:2064
	s_waitcnt vmcnt(13) lgkmcnt(1)
	v_mfma_f32_16x16x16bf16_1k v[42:45], v[38:39], v[46:47], v[42:45]
	v_mfma_f32_16x16x16bf16_1k v[38:41], v[40:41], v[48:49], v[42:45]
	s_waitcnt vmcnt(12) lgkmcnt(0)
	v_mfma_f32_16x16x16bf16_1k v[38:41], v[34:35], v[74:75], v[38:41]
	v_mfma_f32_16x16x16bf16_1k v[34:37], v[36:37], v[76:77], v[38:41]
	s_nop 7
	s_nop 1
	ds_read_b128 v[38:41], v78 offset:4096
	ds_read_b128 v[42:45], v78 offset:4112
	s_waitcnt vmcnt(11) lgkmcnt(1)
	v_mfma_f32_16x16x16bf16_1k v[34:37], v[30:31], v[38:39], v[34:37]
	v_mfma_f32_16x16x16bf16_1k v[30:33], v[32:33], v[40:41], v[34:37]
	s_waitcnt vmcnt(10) lgkmcnt(0)
	v_mfma_f32_16x16x16bf16_1k v[30:33], v[26:27], v[42:43], v[30:33]
	v_mfma_f32_16x16x16bf16_1k v[26:29], v[28:29], v[44:45], v[30:33]
	s_nop 7
	s_nop 1
	ds_read_b128 v[30:33], v78 offset:6144
	ds_read_b128 v[34:37], v78 offset:6160
	s_waitcnt lgkmcnt(0)
	s_barrier
	s_waitcnt vmcnt(9)
	v_mfma_f32_16x16x16bf16_1k v[26:29], v[22:23], v[30:31], v[26:29]
	v_mfma_f32_16x16x16bf16_1k v[22:25], v[24:25], v[32:33], v[26:29]
	s_waitcnt vmcnt(8)
	v_mfma_f32_16x16x16bf16_1k v[22:25], v[18:19], v[34:35], v[22:25]
	v_mfma_f32_16x16x16bf16_1k v[18:21], v[20:21], v[36:37], v[22:25]
	;; [unrolled: 3-line block ×4, first 2 shown]
	s_waitcnt vmcnt(5)
	v_mfma_f32_16x16x16bf16_1k v[2:5], v[14:15], v[46:47], v[2:5]
	s_nop 7
	v_bfe_u32 v6, v19, 16, 1
	v_bfe_u32 v7, v18, 16, 1
	v_add3_u32 v7, v18, v7, s9
	v_add3_u32 v6, v19, v6, s9
	v_perm_b32 v6, v6, v7, s10
	v_bfe_u32 v7, v21, 16, 1
	v_bfe_u32 v8, v20, 16, 1
	v_mfma_f32_16x16x16bf16_1k v[2:5], v[16:17], v[48:49], v[2:5]
	v_add3_u32 v8, v20, v8, s9
	v_add3_u32 v7, v21, v7, s9
	v_perm_b32 v7, v7, v8, s10
	s_waitcnt vmcnt(4)
	v_mfma_f32_16x16x16bf16_1k v[2:5], v[10:11], v[74:75], v[2:5]
	v_mfma_f32_16x16x16bf16_1k v[2:5], v[12:13], v[76:77], v[2:5]
	s_waitcnt vmcnt(3)
	v_mfma_f32_16x16x16bf16_1k v[2:5], v[54:55], v[38:39], v[2:5]
	v_mfma_f32_16x16x16bf16_1k v[2:5], v[56:57], v[40:41], v[2:5]
	s_waitcnt vmcnt(2)
	v_mfma_f32_16x16x16bf16_1k v[2:5], v[50:51], v[42:43], v[2:5]
	v_mfma_f32_16x16x16bf16_1k v[2:5], v[52:53], v[44:45], v[2:5]
	s_waitcnt vmcnt(1)
	v_mfma_f32_16x16x16bf16_1k v[2:5], v[62:63], v[30:31], v[2:5]
	v_mfma_f32_16x16x16bf16_1k v[2:5], v[64:65], v[32:33], v[2:5]
	s_waitcnt vmcnt(0)
	v_mfma_f32_16x16x16bf16_1k v[2:5], v[58:59], v[34:35], v[2:5]
	v_mfma_f32_16x16x16bf16_1k v[2:5], v[60:61], v[36:37], v[2:5]
	s_nop 7
	s_nop 2
	v_bfe_u32 v8, v3, 16, 1
	v_bfe_u32 v9, v2, 16, 1
	v_add3_u32 v2, v2, v9, s9
	v_add3_u32 v3, v3, v8, s9
	v_perm_b32 v2, v3, v2, s10
	v_bfe_u32 v3, v5, 16, 1
	v_bfe_u32 v8, v4, 16, 1
	v_add3_u32 v4, v4, v8, s9
	v_add3_u32 v3, v5, v3, s9
	v_perm_b32 v3, v3, v4, s10
	ds_write2st64_b64 v80, v[6:7], v[2:3] offset1:1
	s_waitcnt lgkmcnt(0)
	s_barrier
	s_and_saveexec_b64 s[10:11], s[0:1]
	s_cbranch_execz .LBB382_19
; %bb.18:
	buffer_load_dword v4, off, s[44:47], 0  ; 4-byte Folded Reload
	s_load_dwordx2 s[0:1], s[4:5], 0x68
	s_mul_i32 s4, s8, s6
	s_lshl_b32 s6, s2, 7
	s_mul_hi_u32 s5, s4, s6
	s_mul_i32 s4, s4, s6
	s_lshl_b64 s[4:5], s[4:5], 1
	s_waitcnt lgkmcnt(0)
	s_add_u32 s4, s0, s4
	s_addc_u32 s5, s1, s5
	s_lshl_b32 s2, s26, 7
	s_lshl_b64 s[0:1], s[2:3], 1
	v_lshlrev_b32_e32 v3, 6, v94
	s_add_u32 s2, s4, s0
	v_lshlrev_b32_e32 v2, 4, v0
	v_lshl_or_b32 v0, v0, 10, v3
	s_addc_u32 s3, s5, s1
	v_lshlrev_b32_e32 v1, 5, v1
	v_and_b32_e32 v2, 16, v2
	v_and_b32_e32 v0, 0x1a00, v0
	v_or3_b32 v0, v0, v1, v2
	v_mov_b32_e32 v6, s3
	ds_read_b128 v[0:3], v0
	s_waitcnt vmcnt(0)
	v_mad_u64_u32 v[4:5], s[0:1], s6, v4, 0
	v_lshlrev_b64 v[4:5], 1, v[4:5]
	v_add_co_u32_e32 v4, vcc, s2, v4
	v_addc_co_u32_e32 v5, vcc, v6, v5, vcc
	buffer_load_dword v6, off, s[44:47], 0 offset:4 ; 4-byte Folded Reload
	buffer_load_dword v7, off, s[44:47], 0 offset:8 ; 4-byte Folded Reload
	s_waitcnt vmcnt(1)
	v_add_co_u32_e32 v4, vcc, v4, v6
	s_waitcnt vmcnt(0)
	v_addc_co_u32_e32 v5, vcc, v5, v7, vcc
	s_waitcnt lgkmcnt(0)
	global_store_dwordx4 v[4:5], v[0:3], off
.LBB382_19:
	s_endpgm
	.section	.rodata,"a",@progbits
	.p2align	6, 0x0
	.amdhsa_kernel _Z39paged_attention_ll4mi_QKV_mfma16_kernelI14__hip_bfloat16S0_LN4vllm18Fp8KVCacheDataTypeE0ES0_Li32ELi128ELi256ELb0ELi3EL8MFMAType0EEvPKT_PKT0_S9_ifPKiSB_SB_iPKfiiiPfSE_PS4_PT2_iSD_SD_
		.amdhsa_group_segment_fixed_size 8192
		.amdhsa_private_segment_fixed_size 16
		.amdhsa_kernarg_size 400
		.amdhsa_user_sgpr_count 6
		.amdhsa_user_sgpr_private_segment_buffer 1
		.amdhsa_user_sgpr_dispatch_ptr 0
		.amdhsa_user_sgpr_queue_ptr 0
		.amdhsa_user_sgpr_kernarg_segment_ptr 1
		.amdhsa_user_sgpr_dispatch_id 0
		.amdhsa_user_sgpr_flat_scratch_init 0
		.amdhsa_user_sgpr_kernarg_preload_length 0
		.amdhsa_user_sgpr_kernarg_preload_offset 0
		.amdhsa_user_sgpr_private_segment_size 0
		.amdhsa_uses_dynamic_stack 0
		.amdhsa_system_sgpr_private_segment_wavefront_offset 1
		.amdhsa_system_sgpr_workgroup_id_x 1
		.amdhsa_system_sgpr_workgroup_id_y 1
		.amdhsa_system_sgpr_workgroup_id_z 1
		.amdhsa_system_sgpr_workgroup_info 0
		.amdhsa_system_vgpr_workitem_id 0
		.amdhsa_next_free_vgpr 96
		.amdhsa_next_free_sgpr 48
		.amdhsa_accum_offset 96
		.amdhsa_reserve_vcc 1
		.amdhsa_reserve_flat_scratch 0
		.amdhsa_float_round_mode_32 0
		.amdhsa_float_round_mode_16_64 0
		.amdhsa_float_denorm_mode_32 3
		.amdhsa_float_denorm_mode_16_64 3
		.amdhsa_dx10_clamp 1
		.amdhsa_ieee_mode 1
		.amdhsa_fp16_overflow 0
		.amdhsa_tg_split 0
		.amdhsa_exception_fp_ieee_invalid_op 0
		.amdhsa_exception_fp_denorm_src 0
		.amdhsa_exception_fp_ieee_div_zero 0
		.amdhsa_exception_fp_ieee_overflow 0
		.amdhsa_exception_fp_ieee_underflow 0
		.amdhsa_exception_fp_ieee_inexact 0
		.amdhsa_exception_int_div_zero 0
	.end_amdhsa_kernel
	.section	.text._Z39paged_attention_ll4mi_QKV_mfma16_kernelI14__hip_bfloat16S0_LN4vllm18Fp8KVCacheDataTypeE0ES0_Li32ELi128ELi256ELb0ELi3EL8MFMAType0EEvPKT_PKT0_S9_ifPKiSB_SB_iPKfiiiPfSE_PS4_PT2_iSD_SD_,"axG",@progbits,_Z39paged_attention_ll4mi_QKV_mfma16_kernelI14__hip_bfloat16S0_LN4vllm18Fp8KVCacheDataTypeE0ES0_Li32ELi128ELi256ELb0ELi3EL8MFMAType0EEvPKT_PKT0_S9_ifPKiSB_SB_iPKfiiiPfSE_PS4_PT2_iSD_SD_,comdat
.Lfunc_end382:
	.size	_Z39paged_attention_ll4mi_QKV_mfma16_kernelI14__hip_bfloat16S0_LN4vllm18Fp8KVCacheDataTypeE0ES0_Li32ELi128ELi256ELb0ELi3EL8MFMAType0EEvPKT_PKT0_S9_ifPKiSB_SB_iPKfiiiPfSE_PS4_PT2_iSD_SD_, .Lfunc_end382-_Z39paged_attention_ll4mi_QKV_mfma16_kernelI14__hip_bfloat16S0_LN4vllm18Fp8KVCacheDataTypeE0ES0_Li32ELi128ELi256ELb0ELi3EL8MFMAType0EEvPKT_PKT0_S9_ifPKiSB_SB_iPKfiiiPfSE_PS4_PT2_iSD_SD_
                                        ; -- End function
	.section	.AMDGPU.csdata,"",@progbits
; Kernel info:
; codeLenInByte = 5068
; NumSgprs: 52
; NumVgprs: 96
; NumAgprs: 0
; TotalNumVgprs: 96
; ScratchSize: 16
; MemoryBound: 0
; FloatMode: 240
; IeeeMode: 1
; LDSByteSize: 8192 bytes/workgroup (compile time only)
; SGPRBlocks: 6
; VGPRBlocks: 11
; NumSGPRsForWavesPerEU: 52
; NumVGPRsForWavesPerEU: 96
; AccumOffset: 96
; Occupancy: 5
; WaveLimiterHint : 1
; COMPUTE_PGM_RSRC2:SCRATCH_EN: 1
; COMPUTE_PGM_RSRC2:USER_SGPR: 6
; COMPUTE_PGM_RSRC2:TRAP_HANDLER: 0
; COMPUTE_PGM_RSRC2:TGID_X_EN: 1
; COMPUTE_PGM_RSRC2:TGID_Y_EN: 1
; COMPUTE_PGM_RSRC2:TGID_Z_EN: 1
; COMPUTE_PGM_RSRC2:TIDIG_COMP_CNT: 0
; COMPUTE_PGM_RSRC3_GFX90A:ACCUM_OFFSET: 23
; COMPUTE_PGM_RSRC3_GFX90A:TG_SPLIT: 0
	.section	.text._Z39paged_attention_ll4mi_QKV_mfma16_kernelI14__hip_bfloat16S0_LN4vllm18Fp8KVCacheDataTypeE0ES0_Li32ELi128ELi256ELb0ELi4EL8MFMAType0EEvPKT_PKT0_S9_ifPKiSB_SB_iPKfiiiPfSE_PS4_PT2_iSD_SD_,"axG",@progbits,_Z39paged_attention_ll4mi_QKV_mfma16_kernelI14__hip_bfloat16S0_LN4vllm18Fp8KVCacheDataTypeE0ES0_Li32ELi128ELi256ELb0ELi4EL8MFMAType0EEvPKT_PKT0_S9_ifPKiSB_SB_iPKfiiiPfSE_PS4_PT2_iSD_SD_,comdat
	.protected	_Z39paged_attention_ll4mi_QKV_mfma16_kernelI14__hip_bfloat16S0_LN4vllm18Fp8KVCacheDataTypeE0ES0_Li32ELi128ELi256ELb0ELi4EL8MFMAType0EEvPKT_PKT0_S9_ifPKiSB_SB_iPKfiiiPfSE_PS4_PT2_iSD_SD_ ; -- Begin function _Z39paged_attention_ll4mi_QKV_mfma16_kernelI14__hip_bfloat16S0_LN4vllm18Fp8KVCacheDataTypeE0ES0_Li32ELi128ELi256ELb0ELi4EL8MFMAType0EEvPKT_PKT0_S9_ifPKiSB_SB_iPKfiiiPfSE_PS4_PT2_iSD_SD_
	.globl	_Z39paged_attention_ll4mi_QKV_mfma16_kernelI14__hip_bfloat16S0_LN4vllm18Fp8KVCacheDataTypeE0ES0_Li32ELi128ELi256ELb0ELi4EL8MFMAType0EEvPKT_PKT0_S9_ifPKiSB_SB_iPKfiiiPfSE_PS4_PT2_iSD_SD_
	.p2align	8
	.type	_Z39paged_attention_ll4mi_QKV_mfma16_kernelI14__hip_bfloat16S0_LN4vllm18Fp8KVCacheDataTypeE0ES0_Li32ELi128ELi256ELb0ELi4EL8MFMAType0EEvPKT_PKT0_S9_ifPKiSB_SB_iPKfiiiPfSE_PS4_PT2_iSD_SD_,@function
_Z39paged_attention_ll4mi_QKV_mfma16_kernelI14__hip_bfloat16S0_LN4vllm18Fp8KVCacheDataTypeE0ES0_Li32ELi128ELi256ELb0ELi4EL8MFMAType0EEvPKT_PKT0_S9_ifPKiSB_SB_iPKfiiiPfSE_PS4_PT2_iSD_SD_: ; @_Z39paged_attention_ll4mi_QKV_mfma16_kernelI14__hip_bfloat16S0_LN4vllm18Fp8KVCacheDataTypeE0ES0_Li32ELi128ELi256ELb0ELi4EL8MFMAType0EEvPKT_PKT0_S9_ifPKiSB_SB_iPKfiiiPfSE_PS4_PT2_iSD_SD_
; %bb.0:
	s_mov_b64 s[46:47], s[2:3]
	s_mov_b64 s[44:45], s[0:1]
	s_load_dwordx2 s[0:1], s[4:5], 0x30
	s_add_u32 s44, s44, s9
	s_addc_u32 s45, s45, 0
	s_mov_b32 s28, s7
	s_mov_b64 s[10:11], 0
	s_waitcnt lgkmcnt(0)
	s_cmp_lg_u64 s[0:1], 0
	s_cselect_b64 s[2:3], -1, 0
	s_and_b64 vcc, exec, s[2:3]
	s_cbranch_vccz .LBB383_7
; %bb.1:
	s_add_i32 s12, s6, 1
	s_mov_b32 s13, 0
	s_lshl_b64 s[14:15], s[12:13], 2
	s_add_u32 s14, s0, s14
	s_mov_b32 s7, s13
	s_addc_u32 s15, s1, s15
	s_lshl_b64 s[12:13], s[6:7], 2
	s_add_u32 s12, s0, s12
	s_addc_u32 s13, s1, s13
	s_load_dword s9, s[14:15], 0x0
	s_load_dword s16, s[12:13], 0x0
	s_waitcnt lgkmcnt(0)
	s_sub_i32 s9, s9, s16
	s_cmp_eq_u32 s9, 1
	s_cselect_b64 s[12:13], -1, 0
	s_andn2_b64 vcc, exec, s[10:11]
	s_cbranch_vccnz .LBB383_3
.LBB383_2:
	s_mov_b32 s7, 0
	s_mov_b64 s[12:13], -1
.LBB383_3:
	s_andn2_b64 vcc, exec, s[12:13]
	s_cbranch_vccnz .LBB383_19
; %bb.4:
	s_load_dwordx2 s[12:13], s[4:5], 0x28
	s_lshl_b64 s[10:11], s[6:7], 2
	s_waitcnt lgkmcnt(0)
	s_add_u32 s12, s12, s10
	s_addc_u32 s13, s13, s11
	s_load_dword s33, s[12:13], 0x0
	s_lshl_b32 s20, s28, 8
	s_waitcnt lgkmcnt(0)
	s_cmp_ge_i32 s20, s33
	s_cbranch_scc1 .LBB383_19
; %bb.5:
	s_add_i32 s14, s33, 31
	s_load_dwordx2 s[12:13], s[4:5], 0x20
	s_load_dword s9, s[4:5], 0x38
	s_ashr_i32 s15, s14, 31
	v_and_b32_e32 v1, 0xcf, v0
	s_lshr_b32 s15, s15, 27
	v_add_u32_e32 v1, s20, v1
	s_add_i32 s14, s14, s15
	v_ashrrev_i32_e32 v2, 31, v1
	s_ashr_i32 s23, s14, 5
	v_lshrrev_b32_e32 v6, 27, v2
	s_add_i32 s23, s23, -1
	v_add_u32_e32 v2, v1, v6
	s_waitcnt lgkmcnt(0)
	s_mul_i32 s14, s6, s9
	s_mov_b32 s15, 0
	v_ashrrev_i32_e32 v2, 5, v2
	v_mov_b32_e32 v7, s23
	v_cmp_gt_i32_e32 vcc, s33, v1
	s_lshl_b64 s[14:15], s[14:15], 2
	v_cndmask_b32_e32 v2, v7, v2, vcc
	s_add_u32 s21, s12, s14
	v_ashrrev_i32_e32 v3, 31, v2
	s_addc_u32 s22, s13, s15
	v_lshlrev_b64 v[2:3], 2, v[2:3]
	v_mov_b32_e32 v4, s22
	v_add_co_u32_e32 v2, vcc, s21, v2
	v_addc_co_u32_e32 v3, vcc, v4, v3, vcc
	v_or_b32_e32 v4, 16, v1
	v_add_u32_e32 v5, v4, v6
	v_ashrrev_i32_e32 v5, 5, v5
	v_cmp_gt_i32_e32 vcc, s33, v4
	v_cndmask_b32_e32 v4, v7, v5, vcc
	v_ashrrev_i32_e32 v5, 31, v4
	v_lshlrev_b64 v[4:5], 2, v[4:5]
	v_mov_b32_e32 v9, s22
	v_add_co_u32_e32 v8, vcc, s21, v4
	v_or_b32_e32 v4, 32, v1
	v_addc_co_u32_e32 v9, vcc, v9, v5, vcc
	v_add_u32_e32 v5, v4, v6
	v_ashrrev_i32_e32 v5, 5, v5
	v_cmp_gt_i32_e32 vcc, s33, v4
	v_cndmask_b32_e32 v4, v7, v5, vcc
	v_ashrrev_i32_e32 v5, 31, v4
	v_lshlrev_b64 v[4:5], 2, v[4:5]
	v_mov_b32_e32 v11, s22
	v_add_co_u32_e32 v10, vcc, s21, v4
	v_or_b32_e32 v1, 48, v1
	v_addc_co_u32_e32 v11, vcc, v11, v5, vcc
	v_add_u32_e32 v4, v1, v6
	v_ashrrev_i32_e32 v4, 5, v4
	v_cmp_gt_i32_e32 vcc, s33, v1
	v_cndmask_b32_e32 v4, v7, v4, vcc
	v_ashrrev_i32_e32 v5, 31, v4
	v_lshlrev_b64 v[4:5], 2, v[4:5]
	v_mov_b32_e32 v1, s22
	v_add_co_u32_e32 v12, vcc, s21, v4
	v_addc_co_u32_e32 v13, vcc, v1, v5, vcc
	global_load_dword v6, v[2:3], off
	global_load_dword v4, v[8:9], off
	;; [unrolled: 1-line block ×4, first 2 shown]
	s_andn2_b64 vcc, exec, s[2:3]
	s_cbranch_vccnz .LBB383_8
; %bb.6:
	s_add_u32 s0, s0, s10
	s_addc_u32 s1, s1, s11
	s_load_dword s9, s[0:1], 0x0
	s_branch .LBB383_9
.LBB383_7:
	s_mov_b64 s[12:13], 0
	s_branch .LBB383_2
.LBB383_8:
	s_mov_b32 s9, s6
.LBB383_9:
	s_load_dwordx4 s[16:19], s[4:5], 0x8
	s_load_dwordx4 s[12:15], s[4:5], 0x48
	v_and_b32_e32 v1, 15, v0
	v_bfe_u32 v74, v0, 4, 2
	s_lshl_b32 s29, s8, 2
	v_lshlrev_b32_e32 v2, 3, v1
	v_cmp_gt_u32_e64 s[0:1], 64, v0
	v_cmp_lt_u32_e32 vcc, 63, v0
	s_and_saveexec_b64 s[2:3], vcc
	s_xor_b64 s[2:3], exec, s[2:3]
; %bb.10:
	v_mov_b32_e32 v3, 0
; %bb.11:
	s_or_saveexec_b64 s[2:3], s[2:3]
	v_or_b32_e32 v5, s29, v74
	v_lshrrev_b32_e32 v75, 6, v0
	v_and_b32_e32 v88, 63, v0
	buffer_store_dword v5, off, s[44:47], 0 ; 4-byte Folded Spill
	v_and_b32_e32 v5, 3, v0
	v_lshlrev_b32_e32 v7, 5, v74
	buffer_store_dword v7, off, s[44:47], 0 offset:4 ; 4-byte Folded Spill
	s_xor_b64 exec, exec, s[2:3]
	s_cbranch_execz .LBB383_13
; %bb.12:
	buffer_load_dword v3, off, s[44:47], 0  ; 4-byte Folded Reload
	s_load_dwordx2 s[10:11], s[4:5], 0x0
	s_waitcnt lgkmcnt(0)
	s_ashr_i32 s15, s12, 31
	s_mul_hi_u32 s24, s9, s12
	s_mul_i32 s15, s9, s15
	s_add_i32 s25, s24, s15
	s_mul_i32 s24, s9, s12
	s_lshl_b64 s[24:25], s[24:25], 1
	s_add_u32 s9, s10, s24
	s_addc_u32 s10, s11, s25
	v_lshlrev_b32_e32 v13, 9, v1
	v_lshlrev_b32_e32 v12, 9, v5
	v_and_b32_e32 v13, 0x1800, v13
	s_waitcnt vmcnt(0)
	v_lshlrev_b32_e32 v8, 7, v3
	v_ashrrev_i32_e32 v9, 31, v8
	v_lshlrev_b64 v[8:9], 1, v[8:9]
	v_mov_b32_e32 v3, s10
	v_add_co_u32_e32 v7, vcc, s9, v8
	v_addc_co_u32_e32 v3, vcc, v3, v9, vcc
	v_lshlrev_b32_e32 v8, 1, v2
	v_add_co_u32_e32 v8, vcc, v7, v8
	v_addc_co_u32_e32 v9, vcc, 0, v3, vcc
	global_load_dwordx4 v[8:11], v[8:9], off
	v_lshlrev_b32_e32 v7, 5, v74
	v_lshl_or_b32 v7, v75, 7, v7
	v_mov_b32_e32 v3, 0
	v_or3_b32 v7, v13, v12, v7
	s_waitcnt vmcnt(0)
	ds_write_b128 v7, v[8:11]
.LBB383_13:
	s_or_b64 exec, exec, s[2:3]
	s_waitcnt lgkmcnt(0)
	s_mul_i32 s8, s8, s14
	s_mov_b32 s9, 0
	s_lshl_b64 s[8:9], s[8:9], 1
	s_add_u32 s3, s16, s8
	s_waitcnt vmcnt(5)
	v_mad_i64_i32 v[6:7], s[14:15], v6, s13, 0
	s_addc_u32 s10, s17, s9
	v_lshlrev_b64 v[6:7], 1, v[6:7]
	v_mov_b32_e32 v8, s10
	v_add_co_u32_e32 v6, vcc, s3, v6
	v_addc_co_u32_e32 v7, vcc, v8, v7, vcc
	v_lshlrev_b64 v[60:61], 1, v[2:3]
	v_add_co_u32_e32 v27, vcc, v6, v60
	v_lshlrev_b32_e32 v26, 9, v74
	v_addc_co_u32_e32 v28, vcc, v7, v61, vcc
	v_add_co_u32_e32 v2, vcc, v27, v26
	v_addc_co_u32_e32 v3, vcc, 0, v28, vcc
	s_load_dword s42, s[4:5], 0x98
	s_load_dword s2, s[4:5], 0x1c
	s_waitcnt lgkmcnt(0)
	s_barrier
	global_load_dwordx4 v[10:13], v[2:3], off
	s_waitcnt vmcnt(5)
	v_mad_i64_i32 v[6:7], s[14:15], v4, s13, 0
	v_lshlrev_b64 v[6:7], 1, v[6:7]
	v_mov_b32_e32 v4, s10
	v_add_co_u32_e32 v6, vcc, s3, v6
	v_addc_co_u32_e32 v4, vcc, v4, v7, vcc
	v_mov_b32_e32 v7, 0x100
	v_lshl_or_b32 v29, v1, 4, v7
	v_add_co_u32_e32 v30, vcc, v6, v29
	v_addc_co_u32_e32 v31, vcc, 0, v4, vcc
	v_add_co_u32_e32 v22, vcc, v30, v26
	v_addc_co_u32_e32 v23, vcc, 0, v31, vcc
	global_load_dwordx4 v[18:21], v[22:23], off
	global_load_dwordx4 v[14:17], v[2:3], off offset:2048
	v_lshl_or_b32 v32, v5, 5, v26
	ds_read_b128 v[6:9], v32
	ds_read_b128 v[2:5], v32 offset:2048
	v_or_b32_e32 v58, 0x1000, v26
	global_load_dwordx4 v[38:41], v[22:23], off offset:2048
	v_add_co_u32_e32 v22, vcc, v27, v58
	v_addc_co_u32_e32 v23, vcc, 0, v28, vcc
	v_or_b32_e32 v62, 0x1800, v26
	s_ashr_i32 s11, s20, 31
	v_and_or_b32 v63, v0, 48, s20
	v_mov_b32_e32 v64, s23
	v_lshl_or_b32 v89, v75, 4, v1
	v_lshlrev_b32_e32 v82, 6, v89
	s_mov_b32 s43, 0xff7fffff
	s_waitcnt vmcnt(3) lgkmcnt(1)
	v_mfma_f32_16x16x16bf16_1k v[34:37], v[10:11], v[6:7], 0
	s_waitcnt vmcnt(2)
	v_mfma_f32_16x16x16bf16_1k v[42:45], v[18:19], v[6:7], 0
	v_mfma_f32_16x16x16bf16_1k v[10:13], v[12:13], v[8:9], v[34:37]
	s_nop 7
	global_load_dwordx4 v[34:37], v[22:23], off
	v_add_co_u32_e32 v22, vcc, v30, v58
	v_addc_co_u32_e32 v23, vcc, 0, v31, vcc
	v_mfma_f32_16x16x16bf16_1k v[18:21], v[20:21], v[8:9], v[42:45]
	global_load_dwordx4 v[46:49], v[22:23], off
	s_waitcnt vmcnt(3) lgkmcnt(0)
	v_mfma_f32_16x16x16bf16_1k v[42:45], v[14:15], v[2:3], v[10:13]
	s_nop 6
	v_add_co_u32_e32 v10, vcc, v27, v62
	v_addc_co_u32_e32 v11, vcc, 0, v28, vcc
	global_load_dwordx4 v[54:57], v[10:11], off
	v_mad_i64_i32 v[10:11], s[14:15], v25, s13, 0
	v_add_co_u32_e32 v30, vcc, v30, v62
	v_lshlrev_b64 v[22:23], 1, v[10:11]
	v_addc_co_u32_e32 v31, vcc, 0, v31, vcc
	v_mov_b32_e32 v25, s10
	v_add_co_u32_e32 v22, vcc, s3, v22
	v_addc_co_u32_e32 v23, vcc, v25, v23, vcc
	ds_read_b128 v[10:13], v32 offset:4096
	ds_read_b128 v[50:53], v32 offset:6144
	global_load_dwordx4 v[30:33], v[30:31], off
	v_add_co_u32_e32 v27, vcc, v22, v60
	buffer_store_dword v60, off, s[44:47], 0 offset:8 ; 4-byte Folded Spill
	s_nop 0
	buffer_store_dword v61, off, s[44:47], 0 offset:12 ; 4-byte Folded Spill
	s_waitcnt vmcnt(6)
	v_mfma_f32_16x16x16bf16_1k v[18:21], v[38:39], v[2:3], v[18:21]
	v_mov_b32_e32 v28, s10
	s_lshr_b32 s10, s11, 27
	v_addc_co_u32_e32 v59, vcc, v23, v61, vcc
	v_add_co_u32_e32 v22, vcc, v27, v26
	v_addc_co_u32_e32 v23, vcc, 0, v59, vcc
	v_mfma_f32_16x16x16bf16_1k v[14:17], v[16:17], v[4:5], v[42:45]
	v_mfma_f32_16x16x16bf16_1k v[18:21], v[40:41], v[4:5], v[18:21]
	global_load_dwordx4 v[38:41], v[22:23], off
	s_nop 4
	global_load_dwordx4 v[42:45], v[22:23], off offset:2048
	v_mad_i64_i32 v[22:23], s[14:15], v24, s13, 0
	s_waitcnt vmcnt(7) lgkmcnt(1)
	v_mfma_f32_16x16x16bf16_1k v[14:17], v[34:35], v[10:11], v[14:17]
	v_lshlrev_b64 v[34:35], 1, v[22:23]
	v_add_co_u32_e32 v22, vcc, v27, v58
	v_addc_co_u32_e32 v23, vcc, 0, v59, vcc
	global_load_dwordx4 v[22:25], v[22:23], off
	v_add_co_u32_e32 v34, vcc, s3, v34
	s_waitcnt vmcnt(7)
	v_mfma_f32_16x16x16bf16_1k v[18:21], v[46:47], v[10:11], v[18:21]
	v_addc_co_u32_e32 v28, vcc, v28, v35, vcc
	v_add_co_u32_e32 v65, vcc, v34, v29
	v_addc_co_u32_e32 v70, vcc, 0, v28, vcc
	v_add_co_u32_e32 v28, vcc, v27, v62
	v_mfma_f32_16x16x16bf16_1k v[14:17], v[36:37], v[12:13], v[14:17]
	v_addc_co_u32_e32 v29, vcc, 0, v59, vcc
	v_add_co_u32_e32 v46, vcc, v65, v26
	v_addc_co_u32_e32 v47, vcc, 0, v70, vcc
	v_add_u32_e32 v35, s10, v63
	v_mfma_f32_16x16x16bf16_1k v[18:21], v[48:49], v[12:13], v[18:21]
	v_add_co_u32_e32 v48, vcc, v65, v58
	v_addc_co_u32_e32 v49, vcc, 0, v70, vcc
	v_ashrrev_i32_e32 v34, 5, v35
	v_cmp_gt_i32_e32 vcc, s33, v63
	v_cndmask_b32_e32 v58, v64, v34, vcc
	s_waitcnt vmcnt(6) lgkmcnt(0)
	v_mfma_f32_16x16x16bf16_1k v[14:17], v[54:55], v[50:51], v[14:17]
	v_ashrrev_i32_e32 v59, 31, v58
	s_add_u32 s3, s18, s8
	s_addc_u32 s8, s19, s9
	s_waitcnt vmcnt(5)
	v_mfma_f32_16x16x16bf16_1k v[18:21], v[30:31], v[50:51], v[18:21]
	v_mov_b32_e32 v31, s22
	v_mfma_f32_16x16x16bf16_1k v[54:57], v[56:57], v[52:53], v[14:17]
	global_load_dwordx4 v[26:29], v[28:29], off
	s_nop 0
	global_load_dwordx4 v[34:37], v[46:47], off
	s_nop 3
	global_load_dwordx4 v[14:17], v[46:47], off offset:2048
	v_lshlrev_b64 v[46:47], 2, v[58:59]
	v_add_co_u32_e32 v30, vcc, s21, v46
	v_addc_co_u32_e32 v31, vcc, v31, v47, vcc
	global_load_dword v46, v[30:31], off
	v_or_b32_e32 v30, 64, v63
	v_mfma_f32_16x16x16bf16_1k v[58:61], v[32:33], v[52:53], v[18:21]
	v_cmp_gt_i32_e32 vcc, s33, v30
	v_mov_b32_e32 v32, s22
	v_mov_b32_e32 v33, s22
	global_load_dwordx4 v[66:69], v[48:49], off
	s_nop 2
	v_add_u32_e32 v18, s10, v30
	v_ashrrev_i32_e32 v18, 5, v18
	v_cndmask_b32_e32 v18, v64, v18, vcc
	v_ashrrev_i32_e32 v19, 31, v18
	v_lshlrev_b64 v[30:31], 2, v[18:19]
	v_add_co_u32_e32 v30, vcc, s21, v30
	v_addc_co_u32_e32 v31, vcc, v32, v31, vcc
	global_load_dword v32, v[30:31], off
	s_waitcnt vmcnt(8)
	v_mfma_f32_16x16x16bf16_1k v[18:21], v[38:39], v[6:7], 0
	v_or_b32_e32 v30, 0x80, v63
	v_add_u32_e32 v31, s10, v30
	v_ashrrev_i32_e32 v31, 5, v31
	v_cmp_gt_i32_e32 vcc, s33, v30
	v_cndmask_b32_e32 v30, v64, v31, vcc
	v_ashrrev_i32_e32 v31, 31, v30
	v_lshlrev_b64 v[30:31], 2, v[30:31]
	v_mfma_f32_16x16x16bf16_1k v[18:21], v[40:41], v[8:9], v[18:21]
	v_add_co_u32_e32 v30, vcc, s21, v30
	v_addc_co_u32_e32 v31, vcc, v33, v31, vcc
	global_load_dword v33, v[30:31], off
	v_or_b32_e32 v30, 0xc0, v63
	v_add_u32_e32 v31, s10, v30
	s_waitcnt vmcnt(8)
	v_mfma_f32_16x16x16bf16_1k v[18:21], v[42:43], v[2:3], v[18:21]
	v_ashrrev_i32_e32 v31, 5, v31
	v_cmp_gt_i32_e32 vcc, s33, v30
	v_cndmask_b32_e32 v30, v64, v31, vcc
	v_ashrrev_i32_e32 v31, 31, v30
	v_lshlrev_b64 v[30:31], 2, v[30:31]
	v_mov_b32_e32 v38, s22
	v_add_co_u32_e32 v30, vcc, s21, v30
	v_mfma_f32_16x16x16bf16_1k v[18:21], v[44:45], v[4:5], v[18:21]
	v_addc_co_u32_e32 v31, vcc, v38, v31, vcc
	global_load_dword v63, v[30:31], off
	s_waitcnt vmcnt(8)
	v_mfma_f32_16x16x16bf16_1k v[18:21], v[22:23], v[10:11], v[18:21]
	v_add_co_u32_e32 v22, vcc, v65, v62
	v_addc_co_u32_e32 v23, vcc, 0, v70, vcc
	global_load_dwordx4 v[90:93], v[22:23], off
	v_and_b32_e32 v22, 16, v0
	v_mov_b32_e32 v23, s8
	v_mfma_f32_16x16x16bf16_1k v[18:21], v[24:25], v[12:13], v[18:21]
	v_lshlrev_b32_e32 v22, 1, v22
	v_add_co_u32_e32 v80, vcc, s3, v22
	v_addc_co_u32_e32 v81, vcc, 0, v23, vcc
	v_add_co_u32_e32 v22, vcc, v80, v82
	s_waitcnt vmcnt(8)
	v_mfma_f32_16x16x16bf16_1k v[18:21], v[26:27], v[50:51], v[18:21]
	v_addc_co_u32_e32 v23, vcc, 0, v81, vcc
	v_mfma_f32_16x16x16bf16_1k v[76:79], v[28:29], v[52:53], v[18:21]
	s_waitcnt vmcnt(5)
	s_nop 7
	v_mad_i64_i32 v[18:19], s[8:9], v46, s13, 0
	v_lshlrev_b64 v[70:71], 1, v[18:19]
	v_mfma_f32_16x16x16bf16_1k v[18:21], v[34:35], v[6:7], 0
	v_add_co_u32_e32 v6, vcc, v22, v70
	v_addc_co_u32_e32 v7, vcc, v23, v71, vcc
	global_load_dwordx4 v[46:49], v[6:7], off
	global_load_dwordx4 v[42:45], v[6:7], off offset:16
	v_pk_mul_f32 v[78:79], s[2:3], v[78:79] op_sel_hi:[0,1]
	s_waitcnt vmcnt(5)
	v_mad_i64_i32 v[6:7], s[8:9], v32, s13, 0
	v_lshlrev_b64 v[72:73], 1, v[6:7]
	v_mfma_f32_16x16x16bf16_1k v[6:9], v[36:37], v[8:9], v[18:21]
	v_mfma_f32_16x16x16bf16_1k v[6:9], v[14:15], v[2:3], v[6:9]
	s_nop 5
	v_add_co_u32_e32 v18, vcc, v22, v72
	v_addc_co_u32_e32 v19, vcc, v23, v73, vcc
	global_load_dwordx4 v[38:41], v[18:19], off
	global_load_dwordx4 v[34:37], v[18:19], off offset:16
	s_waitcnt vmcnt(6)
	v_mad_i64_i32 v[18:19], s[8:9], v33, s13, 0
	v_lshlrev_b64 v[64:65], 1, v[18:19]
	v_add_co_u32_e32 v2, vcc, v22, v64
	v_addc_co_u32_e32 v3, vcc, v23, v65, vcc
	global_load_dwordx4 v[30:33], v[2:3], off
	global_load_dwordx4 v[26:29], v[2:3], off offset:16
	v_mfma_f32_16x16x16bf16_1k v[2:5], v[16:17], v[4:5], v[6:9]
	v_mfma_f32_16x16x16bf16_1k v[2:5], v[66:67], v[10:11], v[2:5]
	s_waitcnt vmcnt(7)
	s_nop 4
	v_mad_i64_i32 v[6:7], s[8:9], v63, s13, 0
	v_lshlrev_b64 v[62:63], 1, v[6:7]
	v_add_co_u32_e32 v6, vcc, v22, v62
	v_addc_co_u32_e32 v7, vcc, v23, v63, vcc
	v_mfma_f32_16x16x16bf16_1k v[10:13], v[68:69], v[12:13], v[2:5]
	global_load_dwordx4 v[22:25], v[6:7], off
	global_load_dwordx4 v[18:21], v[6:7], off offset:16
	v_or_b32_e32 v6, 0x1000, v82
	v_add_co_u32_e32 v94, vcc, v80, v6
	v_addc_co_u32_e32 v95, vcc, 0, v81, vcc
	s_nop 1
	v_add_co_u32_e32 v2, vcc, v94, v70
	s_waitcnt vmcnt(8)
	v_mfma_f32_16x16x16bf16_1k v[84:87], v[90:91], v[50:51], v[10:13]
	v_addc_co_u32_e32 v3, vcc, v95, v71, vcc
	v_add_co_u32_e32 v66, vcc, v94, v72
	v_addc_co_u32_e32 v67, vcc, v95, v73, vcc
	v_pk_mul_f32 v[72:73], s[2:3], v[76:77] op_sel_hi:[0,1]
	v_mfma_f32_16x16x16bf16_1k v[50:53], v[92:93], v[52:53], v[84:87]
	global_load_dwordx4 v[6:9], v[2:3], off
	s_nop 0
	global_load_dwordx4 v[2:5], v[2:3], off offset:16
	s_nop 0
	global_load_dwordx4 v[14:17], v[66:67], off
	global_load_dwordx4 v[10:13], v[66:67], off offset:16
	v_pk_mul_f32 v[68:69], s[2:3], v[54:55] op_sel_hi:[0,1]
	v_pk_mul_f32 v[80:81], s[2:3], v[56:57] op_sel_hi:[0,1]
	;; [unrolled: 1-line block ×4, first 2 shown]
	s_nop 0
	v_pk_mul_f32 v[76:77], s[2:3], v[50:51] op_sel_hi:[0,1]
	v_and_b32_e32 v50, 0xc0, v0
	v_add_u32_e32 v50, s20, v50
	v_lshl_or_b32 v50, v74, 2, v50
	v_pk_mul_f32 v[66:67], s[2:3], v[52:53] op_sel_hi:[0,1]
	v_or_b32_e32 v53, 1, v50
	v_mov_b32_e32 v51, 0xff7fffff
	v_cmp_gt_i32_e64 s[30:31], s33, v50
	v_cmp_gt_i32_e64 s[34:35], s33, v53
	v_cndmask_b32_e64 v52, v51, v68, s[30:31]
	v_cndmask_b32_e64 v53, v51, v69, s[34:35]
	v_max3_f32 v52, v52, s43, v53
	v_or_b32_e32 v53, 2, v50
	v_or_b32_e32 v54, 3, v50
	v_cmp_gt_i32_e64 s[36:37], s33, v53
	v_cmp_gt_i32_e64 s[38:39], s33, v54
	v_cndmask_b32_e64 v53, v51, v80, s[36:37]
	v_cndmask_b32_e64 v54, v51, v81, s[38:39]
	v_max3_f32 v52, v52, v53, v54
	v_or_b32_e32 v53, 16, v50
	v_or_b32_e32 v54, 17, v50
	;; [unrolled: 7-line block ×7, first 2 shown]
	v_cmp_gt_i32_e32 vcc, s33, v53
	v_cmp_gt_i32_e64 s[2:3], s33, v50
	v_cndmask_b32_e32 v53, v51, v66, vcc
	v_cndmask_b32_e64 v50, v51, v67, s[2:3]
	v_max3_f32 v58, v52, v53, v50
	v_mbcnt_lo_u32_b32 v50, -1, 0
	v_mbcnt_hi_u32_b32 v59, -1, v50
	v_and_b32_e32 v50, 64, v59
	v_add_u32_e32 v60, 64, v50
	v_xor_b32_e32 v50, 32, v59
	v_cmp_lt_i32_e64 s[40:41], v50, v60
	v_cndmask_b32_e64 v50, v59, v50, s[40:41]
	v_lshlrev_b32_e32 v84, 2, v50
	ds_bpermute_b32 v61, v84, v58
	v_add_co_u32_e64 v50, s[40:41], v94, v64
	v_addc_co_u32_e64 v51, s[40:41], v95, v65, s[40:41]
	s_waitcnt lgkmcnt(0)
	v_max_f32_e32 v61, v61, v61
	v_max_f32_e32 v61, v58, v61
	v_xor_b32_e32 v58, 16, v59
	v_cmp_lt_i32_e64 s[40:41], v58, v60
	v_cndmask_b32_e64 v58, v59, v58, s[40:41]
	v_lshlrev_b32_e32 v85, 2, v58
	ds_bpermute_b32 v60, v85, v61
	v_add_co_u32_e64 v58, s[40:41], v94, v62
	v_addc_co_u32_e64 v59, s[40:41], v95, v63, s[40:41]
	s_waitcnt lgkmcnt(0)
	v_max_f32_e32 v60, v60, v60
	v_max_f32_e32 v90, v61, v60
	v_sub_f32_e32 v60, v68, v90
	v_mul_f32_e32 v60, 0x3fb8aa3b, v60
	v_exp_f32_e32 v68, v60
	v_sub_f32_e32 v60, v69, v90
	v_mul_f32_e32 v60, 0x3fb8aa3b, v60
	global_load_dwordx4 v[54:57], v[50:51], off
	s_nop 0
	global_load_dwordx4 v[50:53], v[50:51], off offset:16
	v_exp_f32_e32 v69, v60
	global_load_dwordx4 v[62:65], v[58:59], off
	s_nop 0
	global_load_dwordx4 v[58:61], v[58:59], off offset:16
	v_sub_f32_e32 v80, v80, v90
	v_mul_f32_e32 v80, 0x3fb8aa3b, v80
	v_sub_f32_e32 v81, v81, v90
	v_exp_f32_e32 v80, v80
	v_mul_f32_e32 v81, 0x3fb8aa3b, v81
	v_sub_f32_e32 v70, v70, v90
	v_exp_f32_e32 v81, v81
	v_mul_f32_e32 v70, 0x3fb8aa3b, v70
	v_sub_f32_e32 v71, v71, v90
	v_cndmask_b32_e64 v68, 0, v68, s[30:31]
	v_exp_f32_e32 v70, v70
	v_mul_f32_e32 v71, 0x3fb8aa3b, v71
	v_sub_f32_e32 v82, v82, v90
	v_add_f32_e32 v86, 0, v68
	v_cndmask_b32_e64 v69, 0, v69, s[34:35]
	v_exp_f32_e32 v71, v71
	v_mul_f32_e32 v82, 0x3fb8aa3b, v82
	v_sub_f32_e32 v83, v83, v90
	v_add_f32_e32 v86, v86, v69
	;; [unrolled: 5-line block ×10, first 2 shown]
	v_cndmask_b32_e64 v78, 0, v78, s[12:13]
	v_exp_f32_e32 v66, v66
	v_mul_f32_e32 v67, 0x3fb8aa3b, v67
	v_add_f32_e32 v86, v86, v78
	v_cndmask_b32_e64 v79, 0, v79, s[14:15]
	v_exp_f32_e32 v67, v67
	v_add_f32_e32 v86, v86, v79
	v_cndmask_b32_e64 v76, 0, v76, s[8:9]
	v_add_f32_e32 v86, v86, v76
	v_cndmask_b32_e64 v77, 0, v77, s[10:11]
	v_add_f32_e32 v86, v86, v77
	v_cndmask_b32_e32 v66, 0, v66, vcc
	v_add_f32_e32 v86, v86, v66
	v_cndmask_b32_e64 v67, 0, v67, s[2:3]
	v_add_f32_e32 v86, v86, v67
	ds_bpermute_b32 v84, v84, v86
	v_cmp_gt_u32_e32 vcc, 16, v88
	s_waitcnt lgkmcnt(0)
	s_barrier
	v_add_f32_e32 v91, v86, v84
	ds_bpermute_b32 v92, v85, v91
	s_and_saveexec_b64 s[2:3], vcc
	s_cbranch_execz .LBB383_15
; %bb.14:
	s_waitcnt lgkmcnt(0)
	v_add_f32_e32 v84, v91, v92
	v_lshlrev_b32_e32 v85, 2, v89
	ds_write2st64_b32 v85, v90, v84 offset1:1
.LBB383_15:
	s_or_b64 exec, exec, s[2:3]
	v_lshlrev_b32_e32 v89, 2, v1
	s_load_dword s8, s[4:5], 0x94
	s_waitcnt lgkmcnt(0)
	s_barrier
	ds_read2_b32 v[84:85], v89 offset1:16
	ds_read2_b32 v[86:87], v89 offset0:32 offset1:48
	ds_read2_b32 v[90:91], v89 offset0:64 offset1:80
	s_movk_i32 s10, 0x7fff
	s_mov_b32 s11, 0x7060302
	s_waitcnt lgkmcnt(2)
	v_max3_f32 v88, v84, s43, v85
	s_waitcnt lgkmcnt(1)
	v_max3_f32 v88, v88, v86, v87
	v_sub_f32_e32 v84, v84, v88
	v_mul_f32_e32 v84, 0x3fb8aa3b, v84
	v_exp_f32_e32 v92, v84
	v_sub_f32_e32 v84, v85, v88
	v_mul_f32_e32 v84, 0x3fb8aa3b, v84
	v_exp_f32_e32 v93, v84
	;; [unrolled: 3-line block ×3, first 2 shown]
	ds_read2_b32 v[84:85], v89 offset0:96 offset1:112
	v_sub_f32_e32 v87, v87, v88
	v_mul_f32_e32 v87, 0x3fb8aa3b, v87
	v_exp_f32_e32 v87, v87
	s_waitcnt lgkmcnt(1)
	v_fma_f32 v89, v92, v90, 0
	v_fmac_f32_e32 v89, v93, v91
	s_waitcnt lgkmcnt(0)
	v_fmac_f32_e32 v89, v86, v84
	v_fmac_f32_e32 v89, v87, v85
	v_add_f32_e32 v84, 0x358637bd, v89
	v_div_scale_f32 v85, s[2:3], v84, v84, 1.0
	v_rcp_f32_e32 v90, v85
	s_barrier
	v_fma_f32 v91, -v85, v90, 1.0
	v_fmac_f32_e32 v90, v91, v90
	v_div_scale_f32 v91, vcc, 1.0, v84, 1.0
	v_mul_f32_e32 v94, v91, v90
	v_fma_f32 v95, -v85, v94, v91
	v_fmac_f32_e32 v94, v95, v90
	v_fma_f32 v85, -v85, v94, v91
	v_div_fmas_f32 v85, v85, v90, v94
	v_cmp_eq_u32_e32 vcc, 1, v75
	v_div_fixup_f32 v84, v85, v84, 1.0
	v_cndmask_b32_e32 v85, v92, v93, vcc
	v_cmp_eq_u32_e32 vcc, 2, v75
	v_cndmask_b32_e32 v85, v85, v86, vcc
	v_cmp_eq_u32_e32 vcc, 3, v75
	v_cndmask_b32_e32 v85, v85, v87, vcc
	v_mul_f32_e32 v84, v85, v84
	v_pk_mul_f32 v[68:69], v[84:85], v[68:69] op_sel_hi:[0,1]
	v_pk_mul_f32 v[80:81], v[84:85], v[80:81] op_sel_hi:[0,1]
	v_bfe_u32 v85, v69, 16, 1
	v_bfe_u32 v86, v68, 16, 1
	v_add3_u32 v68, v68, v86, s10
	v_add3_u32 v69, v69, v85, s10
	v_perm_b32 v86, v69, v68, s11
	v_bfe_u32 v68, v81, 16, 1
	v_bfe_u32 v69, v80, 16, 1
	v_add3_u32 v69, v80, v69, s10
	v_add3_u32 v68, v81, v68, s10
	v_perm_b32 v87, v68, v69, s11
	v_lshlrev_b32_e32 v69, 3, v74
	v_lshlrev_b32_e32 v68, 5, v1
	v_lshlrev_b32_e32 v75, 11, v75
	v_pk_mul_f32 v[70:71], v[84:85], v[70:71] op_sel_hi:[0,1]
	v_or3_b32 v80, v75, v68, v69
	v_bfe_u32 v69, v71, 16, 1
	v_bfe_u32 v75, v70, 16, 1
	v_pk_mul_f32 v[82:83], v[84:85], v[82:83] op_sel_hi:[0,1]
	v_add3_u32 v70, v70, v75, s10
	v_add3_u32 v69, v71, v69, s10
	v_perm_b32 v70, v69, v70, s11
	v_bfe_u32 v69, v83, 16, 1
	v_bfe_u32 v71, v82, 16, 1
	v_add3_u32 v71, v82, v71, s10
	v_add3_u32 v69, v83, v69, s10
	v_pk_mul_f32 v[72:73], v[84:85], v[72:73] op_sel_hi:[0,1]
	v_perm_b32 v71, v69, v71, s11
	v_bfe_u32 v69, v73, 16, 1
	v_bfe_u32 v75, v72, 16, 1
	ds_write2st64_b64 v80, v[86:87], v[70:71] offset1:1
	v_pk_mul_f32 v[70:71], v[84:85], v[78:79] op_sel_hi:[0,1]
	v_add3_u32 v72, v72, v75, s10
	v_add3_u32 v69, v73, v69, s10
	v_perm_b32 v72, v69, v72, s11
	v_bfe_u32 v69, v71, 16, 1
	v_bfe_u32 v73, v70, 16, 1
	v_add3_u32 v70, v70, v73, s10
	v_add3_u32 v69, v71, v69, s10
	v_perm_b32 v73, v69, v70, s11
	v_pk_mul_f32 v[70:71], v[84:85], v[76:77] op_sel_hi:[0,1]
	v_bfe_u32 v69, v71, 16, 1
	v_bfe_u32 v75, v70, 16, 1
	v_pk_mul_f32 v[66:67], v[84:85], v[66:67] op_sel_hi:[0,1]
	v_add3_u32 v70, v70, v75, s10
	v_add3_u32 v69, v71, v69, s10
	v_perm_b32 v70, v69, v70, s11
	v_bfe_u32 v69, v67, 16, 1
	v_bfe_u32 v71, v66, 16, 1
	v_add3_u32 v66, v66, v71, s10
	v_add3_u32 v67, v67, v69, s10
	s_lshl_b32 s9, s42, 2
	v_perm_b32 v71, v67, v66, s11
	v_cmp_gt_u32_e32 vcc, 4, v0
	ds_write2st64_b64 v80, v[72:73], v[70:71] offset0:2 offset1:3
	s_and_saveexec_b64 s[2:3], vcc
	s_cbranch_execz .LBB383_17
; %bb.16:
	v_or_b32_e32 v66, s29, v0
	v_mov_b32_e32 v67, 0
	v_mov_b32_e32 v69, s9
	v_mad_u64_u32 v[70:71], s[16:17], s6, v69, v[66:67]
	v_mov_b32_e32 v66, s28
	s_load_dwordx4 s[12:15], s[4:5], 0x58
	s_mul_i32 s7, s7, s9
	v_mad_u64_u32 v[66:67], s[16:17], v70, s8, v[66:67]
	v_add_u32_e32 v69, s7, v71
	v_mov_b32_e32 v70, v67
	v_mad_u64_u32 v[70:71], s[16:17], v69, s8, v[70:71]
	v_mov_b32_e32 v67, v70
	v_lshlrev_b64 v[66:67], 2, v[66:67]
	s_waitcnt lgkmcnt(0)
	v_mov_b32_e32 v69, s15
	v_add_co_u32_e32 v70, vcc, s14, v66
	v_addc_co_u32_e32 v71, vcc, v69, v67, vcc
	v_mov_b32_e32 v69, s13
	v_add_co_u32_e32 v66, vcc, s12, v66
	v_addc_co_u32_e32 v67, vcc, v69, v67, vcc
	global_store_dword v[70:71], v88, off
	global_store_dword v[66:67], v89, off
.LBB383_17:
	s_or_b64 exec, exec, s[2:3]
	v_lshl_or_b32 v78, v74, 9, v68
	s_waitcnt lgkmcnt(0)
	s_barrier
	ds_read_b128 v[70:73], v78
	ds_read_b128 v[66:69], v78 offset:16
	s_waitcnt vmcnt(15) lgkmcnt(1)
	v_mfma_f32_16x16x16bf16_1k v[74:77], v[46:47], v[70:71], 0
	s_mov_b32 s3, 0
	v_mfma_f32_16x16x16bf16_1k v[46:49], v[48:49], v[72:73], v[74:77]
	s_waitcnt vmcnt(14) lgkmcnt(0)
	v_mfma_f32_16x16x16bf16_1k v[46:49], v[42:43], v[66:67], v[46:49]
	v_mfma_f32_16x16x16bf16_1k v[42:45], v[44:45], v[68:69], v[46:49]
	s_nop 7
	s_nop 1
	ds_read_b128 v[46:49], v78 offset:2048
	ds_read_b128 v[74:77], v78 offset:2064
	s_waitcnt vmcnt(13) lgkmcnt(1)
	v_mfma_f32_16x16x16bf16_1k v[42:45], v[38:39], v[46:47], v[42:45]
	v_mfma_f32_16x16x16bf16_1k v[38:41], v[40:41], v[48:49], v[42:45]
	s_waitcnt vmcnt(12) lgkmcnt(0)
	v_mfma_f32_16x16x16bf16_1k v[38:41], v[34:35], v[74:75], v[38:41]
	v_mfma_f32_16x16x16bf16_1k v[34:37], v[36:37], v[76:77], v[38:41]
	s_nop 7
	s_nop 1
	ds_read_b128 v[38:41], v78 offset:4096
	ds_read_b128 v[42:45], v78 offset:4112
	s_waitcnt vmcnt(11) lgkmcnt(1)
	v_mfma_f32_16x16x16bf16_1k v[34:37], v[30:31], v[38:39], v[34:37]
	v_mfma_f32_16x16x16bf16_1k v[30:33], v[32:33], v[40:41], v[34:37]
	s_waitcnt vmcnt(10) lgkmcnt(0)
	v_mfma_f32_16x16x16bf16_1k v[30:33], v[26:27], v[42:43], v[30:33]
	v_mfma_f32_16x16x16bf16_1k v[26:29], v[28:29], v[44:45], v[30:33]
	s_nop 7
	s_nop 1
	ds_read_b128 v[30:33], v78 offset:6144
	ds_read_b128 v[34:37], v78 offset:6160
	s_waitcnt lgkmcnt(0)
	s_barrier
	s_waitcnt vmcnt(9)
	v_mfma_f32_16x16x16bf16_1k v[26:29], v[22:23], v[30:31], v[26:29]
	v_mfma_f32_16x16x16bf16_1k v[22:25], v[24:25], v[32:33], v[26:29]
	s_waitcnt vmcnt(8)
	v_mfma_f32_16x16x16bf16_1k v[22:25], v[18:19], v[34:35], v[22:25]
	v_mfma_f32_16x16x16bf16_1k v[18:21], v[20:21], v[36:37], v[22:25]
	s_waitcnt vmcnt(7)
	v_mfma_f32_16x16x16bf16_1k v[22:25], v[6:7], v[70:71], 0
	v_mfma_f32_16x16x16bf16_1k v[6:9], v[8:9], v[72:73], v[22:25]
	s_waitcnt vmcnt(6)
	v_mfma_f32_16x16x16bf16_1k v[6:9], v[2:3], v[66:67], v[6:9]
	v_mfma_f32_16x16x16bf16_1k v[2:5], v[4:5], v[68:69], v[6:9]
	s_waitcnt vmcnt(5)
	v_mfma_f32_16x16x16bf16_1k v[2:5], v[14:15], v[46:47], v[2:5]
	s_nop 7
	v_bfe_u32 v6, v19, 16, 1
	v_bfe_u32 v7, v18, 16, 1
	v_add3_u32 v7, v18, v7, s10
	v_add3_u32 v6, v19, v6, s10
	v_perm_b32 v6, v6, v7, s11
	v_bfe_u32 v7, v21, 16, 1
	v_bfe_u32 v8, v20, 16, 1
	v_mfma_f32_16x16x16bf16_1k v[2:5], v[16:17], v[48:49], v[2:5]
	v_add3_u32 v8, v20, v8, s10
	v_add3_u32 v7, v21, v7, s10
	v_perm_b32 v7, v7, v8, s11
	s_waitcnt vmcnt(4)
	v_mfma_f32_16x16x16bf16_1k v[2:5], v[10:11], v[74:75], v[2:5]
	v_mfma_f32_16x16x16bf16_1k v[2:5], v[12:13], v[76:77], v[2:5]
	s_waitcnt vmcnt(3)
	v_mfma_f32_16x16x16bf16_1k v[2:5], v[54:55], v[38:39], v[2:5]
	v_mfma_f32_16x16x16bf16_1k v[2:5], v[56:57], v[40:41], v[2:5]
	;; [unrolled: 3-line block ×5, first 2 shown]
	s_nop 7
	s_nop 2
	v_bfe_u32 v8, v3, 16, 1
	v_bfe_u32 v9, v2, 16, 1
	v_add3_u32 v2, v2, v9, s10
	v_add3_u32 v3, v3, v8, s10
	v_perm_b32 v2, v3, v2, s11
	v_bfe_u32 v3, v5, 16, 1
	v_bfe_u32 v8, v4, 16, 1
	v_add3_u32 v4, v4, v8, s10
	v_add3_u32 v3, v5, v3, s10
	v_perm_b32 v3, v3, v4, s11
	ds_write2st64_b64 v80, v[6:7], v[2:3] offset1:1
	s_waitcnt lgkmcnt(0)
	s_barrier
	s_and_saveexec_b64 s[10:11], s[0:1]
	s_cbranch_execz .LBB383_19
; %bb.18:
	v_lshlrev_b32_e32 v1, 6, v1
	v_lshlrev_b32_e32 v2, 4, v0
	v_lshl_or_b32 v0, v0, 10, v1
	buffer_load_dword v1, off, s[44:47], 0 offset:4 ; 4-byte Folded Reload
	buffer_load_dword v4, off, s[44:47], 0  ; 4-byte Folded Reload
	s_load_dwordx2 s[0:1], s[4:5], 0x68
	s_lshl_b32 s7, s8, 7
	s_mul_i32 s2, s9, s6
	s_mul_hi_u32 s5, s2, s7
	s_mul_i32 s4, s2, s7
	s_lshl_b64 s[4:5], s[4:5], 1
	s_waitcnt lgkmcnt(0)
	s_add_u32 s4, s0, s4
	s_addc_u32 s5, s1, s5
	s_lshl_b32 s2, s28, 7
	s_lshl_b64 s[0:1], s[2:3], 1
	s_add_u32 s2, s4, s0
	s_addc_u32 s3, s5, s1
	v_and_b32_e32 v2, 16, v2
	v_and_b32_e32 v0, 0x1a00, v0
	v_mov_b32_e32 v6, s3
	s_waitcnt vmcnt(1)
	v_or3_b32 v0, v0, v1, v2
	s_waitcnt vmcnt(0)
	v_mad_u64_u32 v[4:5], s[0:1], s7, v4, 0
	v_lshlrev_b64 v[4:5], 1, v[4:5]
	v_add_co_u32_e32 v4, vcc, s2, v4
	ds_read_b128 v[0:3], v0
	v_addc_co_u32_e32 v5, vcc, v6, v5, vcc
	buffer_load_dword v6, off, s[44:47], 0 offset:8 ; 4-byte Folded Reload
	buffer_load_dword v7, off, s[44:47], 0 offset:12 ; 4-byte Folded Reload
	s_waitcnt vmcnt(1)
	v_add_co_u32_e32 v4, vcc, v4, v6
	s_waitcnt vmcnt(0)
	v_addc_co_u32_e32 v5, vcc, v5, v7, vcc
	s_waitcnt lgkmcnt(0)
	global_store_dwordx4 v[4:5], v[0:3], off
.LBB383_19:
	s_endpgm
	.section	.rodata,"a",@progbits
	.p2align	6, 0x0
	.amdhsa_kernel _Z39paged_attention_ll4mi_QKV_mfma16_kernelI14__hip_bfloat16S0_LN4vllm18Fp8KVCacheDataTypeE0ES0_Li32ELi128ELi256ELb0ELi4EL8MFMAType0EEvPKT_PKT0_S9_ifPKiSB_SB_iPKfiiiPfSE_PS4_PT2_iSD_SD_
		.amdhsa_group_segment_fixed_size 8192
		.amdhsa_private_segment_fixed_size 20
		.amdhsa_kernarg_size 400
		.amdhsa_user_sgpr_count 6
		.amdhsa_user_sgpr_private_segment_buffer 1
		.amdhsa_user_sgpr_dispatch_ptr 0
		.amdhsa_user_sgpr_queue_ptr 0
		.amdhsa_user_sgpr_kernarg_segment_ptr 1
		.amdhsa_user_sgpr_dispatch_id 0
		.amdhsa_user_sgpr_flat_scratch_init 0
		.amdhsa_user_sgpr_kernarg_preload_length 0
		.amdhsa_user_sgpr_kernarg_preload_offset 0
		.amdhsa_user_sgpr_private_segment_size 0
		.amdhsa_uses_dynamic_stack 0
		.amdhsa_system_sgpr_private_segment_wavefront_offset 1
		.amdhsa_system_sgpr_workgroup_id_x 1
		.amdhsa_system_sgpr_workgroup_id_y 1
		.amdhsa_system_sgpr_workgroup_id_z 1
		.amdhsa_system_sgpr_workgroup_info 0
		.amdhsa_system_vgpr_workitem_id 0
		.amdhsa_next_free_vgpr 96
		.amdhsa_next_free_sgpr 48
		.amdhsa_accum_offset 96
		.amdhsa_reserve_vcc 1
		.amdhsa_reserve_flat_scratch 0
		.amdhsa_float_round_mode_32 0
		.amdhsa_float_round_mode_16_64 0
		.amdhsa_float_denorm_mode_32 3
		.amdhsa_float_denorm_mode_16_64 3
		.amdhsa_dx10_clamp 1
		.amdhsa_ieee_mode 1
		.amdhsa_fp16_overflow 0
		.amdhsa_tg_split 0
		.amdhsa_exception_fp_ieee_invalid_op 0
		.amdhsa_exception_fp_denorm_src 0
		.amdhsa_exception_fp_ieee_div_zero 0
		.amdhsa_exception_fp_ieee_overflow 0
		.amdhsa_exception_fp_ieee_underflow 0
		.amdhsa_exception_fp_ieee_inexact 0
		.amdhsa_exception_int_div_zero 0
	.end_amdhsa_kernel
	.section	.text._Z39paged_attention_ll4mi_QKV_mfma16_kernelI14__hip_bfloat16S0_LN4vllm18Fp8KVCacheDataTypeE0ES0_Li32ELi128ELi256ELb0ELi4EL8MFMAType0EEvPKT_PKT0_S9_ifPKiSB_SB_iPKfiiiPfSE_PS4_PT2_iSD_SD_,"axG",@progbits,_Z39paged_attention_ll4mi_QKV_mfma16_kernelI14__hip_bfloat16S0_LN4vllm18Fp8KVCacheDataTypeE0ES0_Li32ELi128ELi256ELb0ELi4EL8MFMAType0EEvPKT_PKT0_S9_ifPKiSB_SB_iPKfiiiPfSE_PS4_PT2_iSD_SD_,comdat
.Lfunc_end383:
	.size	_Z39paged_attention_ll4mi_QKV_mfma16_kernelI14__hip_bfloat16S0_LN4vllm18Fp8KVCacheDataTypeE0ES0_Li32ELi128ELi256ELb0ELi4EL8MFMAType0EEvPKT_PKT0_S9_ifPKiSB_SB_iPKfiiiPfSE_PS4_PT2_iSD_SD_, .Lfunc_end383-_Z39paged_attention_ll4mi_QKV_mfma16_kernelI14__hip_bfloat16S0_LN4vllm18Fp8KVCacheDataTypeE0ES0_Li32ELi128ELi256ELb0ELi4EL8MFMAType0EEvPKT_PKT0_S9_ifPKiSB_SB_iPKfiiiPfSE_PS4_PT2_iSD_SD_
                                        ; -- End function
	.section	.AMDGPU.csdata,"",@progbits
; Kernel info:
; codeLenInByte = 5044
; NumSgprs: 52
; NumVgprs: 96
; NumAgprs: 0
; TotalNumVgprs: 96
; ScratchSize: 20
; MemoryBound: 0
; FloatMode: 240
; IeeeMode: 1
; LDSByteSize: 8192 bytes/workgroup (compile time only)
; SGPRBlocks: 6
; VGPRBlocks: 11
; NumSGPRsForWavesPerEU: 52
; NumVGPRsForWavesPerEU: 96
; AccumOffset: 96
; Occupancy: 5
; WaveLimiterHint : 1
; COMPUTE_PGM_RSRC2:SCRATCH_EN: 1
; COMPUTE_PGM_RSRC2:USER_SGPR: 6
; COMPUTE_PGM_RSRC2:TRAP_HANDLER: 0
; COMPUTE_PGM_RSRC2:TGID_X_EN: 1
; COMPUTE_PGM_RSRC2:TGID_Y_EN: 1
; COMPUTE_PGM_RSRC2:TGID_Z_EN: 1
; COMPUTE_PGM_RSRC2:TIDIG_COMP_CNT: 0
; COMPUTE_PGM_RSRC3_GFX90A:ACCUM_OFFSET: 23
; COMPUTE_PGM_RSRC3_GFX90A:TG_SPLIT: 0
	.section	.text._Z38paged_attention_ll4mi_QKV_mfma4_kernelIDF16_hLN4vllm18Fp8KVCacheDataTypeE1EDF16_Li16ELi64ELi256ELb1ELi1EEvPKT_PKT0_S7_ifPKiS9_S9_iPKfiiiPfSC_PS2_PT2_iSB_SB_,"axG",@progbits,_Z38paged_attention_ll4mi_QKV_mfma4_kernelIDF16_hLN4vllm18Fp8KVCacheDataTypeE1EDF16_Li16ELi64ELi256ELb1ELi1EEvPKT_PKT0_S7_ifPKiS9_S9_iPKfiiiPfSC_PS2_PT2_iSB_SB_,comdat
	.protected	_Z38paged_attention_ll4mi_QKV_mfma4_kernelIDF16_hLN4vllm18Fp8KVCacheDataTypeE1EDF16_Li16ELi64ELi256ELb1ELi1EEvPKT_PKT0_S7_ifPKiS9_S9_iPKfiiiPfSC_PS2_PT2_iSB_SB_ ; -- Begin function _Z38paged_attention_ll4mi_QKV_mfma4_kernelIDF16_hLN4vllm18Fp8KVCacheDataTypeE1EDF16_Li16ELi64ELi256ELb1ELi1EEvPKT_PKT0_S7_ifPKiS9_S9_iPKfiiiPfSC_PS2_PT2_iSB_SB_
	.globl	_Z38paged_attention_ll4mi_QKV_mfma4_kernelIDF16_hLN4vllm18Fp8KVCacheDataTypeE1EDF16_Li16ELi64ELi256ELb1ELi1EEvPKT_PKT0_S7_ifPKiS9_S9_iPKfiiiPfSC_PS2_PT2_iSB_SB_
	.p2align	8
	.type	_Z38paged_attention_ll4mi_QKV_mfma4_kernelIDF16_hLN4vllm18Fp8KVCacheDataTypeE1EDF16_Li16ELi64ELi256ELb1ELi1EEvPKT_PKT0_S7_ifPKiS9_S9_iPKfiiiPfSC_PS2_PT2_iSB_SB_,@function
_Z38paged_attention_ll4mi_QKV_mfma4_kernelIDF16_hLN4vllm18Fp8KVCacheDataTypeE1EDF16_Li16ELi64ELi256ELb1ELi1EEvPKT_PKT0_S7_ifPKiS9_S9_iPKfiiiPfSC_PS2_PT2_iSB_SB_: ; @_Z38paged_attention_ll4mi_QKV_mfma4_kernelIDF16_hLN4vllm18Fp8KVCacheDataTypeE1EDF16_Li16ELi64ELi256ELb1ELi1EEvPKT_PKT0_S7_ifPKiS9_S9_iPKfiiiPfSC_PS2_PT2_iSB_SB_
; %bb.0:
	s_load_dwordx2 s[2:3], s[4:5], 0x30
	s_mov_b32 s24, s7
	s_mov_b64 s[0:1], 0
	s_waitcnt lgkmcnt(0)
	s_cmp_lg_u64 s[2:3], 0
	s_cselect_b64 s[10:11], -1, 0
	s_and_b64 vcc, exec, s[10:11]
	s_cbranch_vccz .LBB384_10
; %bb.1:
	s_add_i32 s12, s6, 1
	s_mov_b32 s13, 0
	s_lshl_b64 s[14:15], s[12:13], 2
	s_add_u32 s14, s2, s14
	s_mov_b32 s7, s13
	s_addc_u32 s15, s3, s15
	s_lshl_b64 s[12:13], s[6:7], 2
	s_add_u32 s12, s2, s12
	s_addc_u32 s13, s3, s13
	s_load_dword s9, s[14:15], 0x0
	s_load_dword s16, s[12:13], 0x0
	s_waitcnt lgkmcnt(0)
	s_sub_i32 s9, s9, s16
	s_cmp_eq_u32 s9, 1
	s_cselect_b64 s[12:13], -1, 0
	s_andn2_b64 vcc, exec, s[0:1]
	s_cbranch_vccnz .LBB384_3
.LBB384_2:
	s_mov_b32 s7, 0
	s_mov_b64 s[12:13], -1
.LBB384_3:
	s_andn2_b64 vcc, exec, s[12:13]
	s_cbranch_vccnz .LBB384_795
; %bb.4:
	s_load_dword s9, s[4:5], 0x9c
	s_load_dwordx2 s[0:1], s[4:5], 0x28
	s_add_u32 s28, s4, 0x90
	s_addc_u32 s29, s5, 0
	s_lshl_b64 s[20:21], s[6:7], 2
	s_waitcnt lgkmcnt(0)
	s_and_b32 s9, s9, 0xffff
	s_add_u32 s0, s0, s20
	s_addc_u32 s1, s1, s21
	s_load_dword s7, s[0:1], 0x0
	s_mul_i32 s9, s24, s9
	s_waitcnt lgkmcnt(0)
	s_cmp_ge_i32 s9, s7
	s_cbranch_scc1 .LBB384_795
; %bb.5:
	v_and_b32_e32 v1, 0xc0, v0
	v_add_u32_e32 v4, s9, v1
	v_lshrrev_b32_e32 v42, 6, v0
	v_cmp_le_i32_e64 s[0:1], s7, v4
                                        ; implicit-def: $sgpr23
                                        ; implicit-def: $sgpr22
	s_and_saveexec_b64 s[12:13], s[0:1]
	s_xor_b64 s[12:13], exec, s[12:13]
	s_cbranch_execz .LBB384_7
; %bb.6:
	v_mul_u32_u24_e32 v1, 20, v42
	v_or_b32_e32 v1, 0xa00, v1
	v_mov_b32_e32 v2, 0xa50
	v_mov_b32_e32 v3, 0xff7fffff
	v_mad_u32_u24 v2, v42, 20, v2
	ds_write2_b32 v1, v3, v3 offset1:1
	v_mov_b32_e32 v1, 0
	ds_write2_b32 v2, v1, v1 offset1:1
	v_mov_b32_e32 v2, 0xa08
	v_mov_b32_e32 v4, 0xa58
	s_mov_b32 s22, 0xff7fffff
	s_mov_b32 s23, 0
	v_mad_u32_u24 v2, v42, 20, v2
	v_mad_u32_u24 v4, v42, 20, v4
	ds_write2_b32 v2, v3, v3 offset1:1
	ds_write2_b32 v4, v1, v1 offset1:1
                                        ; implicit-def: $vgpr4
.LBB384_7:
	s_or_saveexec_b64 s[30:31], s[12:13]
	s_load_dwordx2 s[26:27], s[4:5], 0x68
	s_load_dwordx4 s[16:19], s[4:5], 0x58
	s_load_dword s33, s[28:29], 0x4
	s_load_dwordx4 s[12:15], s[4:5], 0x80
	v_and_b32_e32 v1, 63, v0
	v_and_b32_e32 v43, 3, v0
	v_mov_b32_e32 v21, s23
	v_mov_b32_e32 v26, s22
	;; [unrolled: 1-line block ×5, first 2 shown]
                                        ; implicit-def: $vgpr14_vgpr15
                                        ; implicit-def: $vgpr10_vgpr11
                                        ; implicit-def: $vgpr6_vgpr7
                                        ; implicit-def: $vgpr2_vgpr3
	s_xor_b64 exec, exec, s[30:31]
	s_cbranch_execz .LBB384_403
; %bb.8:
	s_add_i32 s34, s7, 15
	s_ashr_i32 s35, s34, 31
	s_load_dwordx2 s[22:23], s[4:5], 0x20
	s_load_dword s25, s[4:5], 0x38
	s_lshr_b32 s35, s35, 28
	v_add_u32_e32 v44, s9, v0
	s_add_i32 s34, s34, s35
	v_ashrrev_i32_e32 v2, 31, v44
	s_ashr_i32 s34, s34, 4
	v_lshrrev_b32_e32 v2, 28, v2
	s_add_i32 s36, s34, -1
	v_add_u32_e32 v2, v44, v2
	v_ashrrev_i32_e32 v2, 4, v2
	v_mov_b32_e32 v3, s36
	v_cmp_gt_i32_e32 vcc, s7, v44
	s_waitcnt lgkmcnt(0)
	s_mul_i32 s34, s6, s25
	s_mov_b32 s35, 0
	v_cndmask_b32_e32 v2, v3, v2, vcc
	s_lshl_b64 s[34:35], s[34:35], 2
	v_ashrrev_i32_e32 v3, 31, v2
	s_add_u32 s22, s22, s34
	v_lshlrev_b64 v[2:3], 2, v[2:3]
	v_add_co_u32_e32 v8, vcc, s22, v2
	v_ashrrev_i32_e32 v2, 31, v4
	v_lshrrev_b32_e32 v2, 28, v2
	v_add_u32_e32 v2, v4, v2
	s_addc_u32 s23, s23, s35
	v_ashrrev_i32_e32 v4, 4, v2
	v_mov_b32_e32 v5, s23
	v_min_i32_e32 v2, s36, v4
	v_addc_co_u32_e32 v9, vcc, v5, v3, vcc
	v_ashrrev_i32_e32 v3, 31, v2
	v_lshlrev_b64 v[2:3], 2, v[2:3]
	v_add_co_u32_e32 v10, vcc, s22, v2
	v_add_u32_e32 v2, 1, v4
	v_min_i32_e32 v2, s36, v2
	v_addc_co_u32_e32 v11, vcc, v5, v3, vcc
	v_ashrrev_i32_e32 v3, 31, v2
	v_lshlrev_b64 v[2:3], 2, v[2:3]
	v_add_co_u32_e32 v12, vcc, s22, v2
	v_add_u32_e32 v2, 2, v4
	;; [unrolled: 6-line block ×3, first 2 shown]
	v_min_i32_e32 v2, s36, v2
	v_addc_co_u32_e32 v15, vcc, v5, v3, vcc
	v_ashrrev_i32_e32 v3, 31, v2
	v_lshlrev_b64 v[2:3], 2, v[2:3]
	v_mov_b32_e32 v4, s23
	v_add_co_u32_e32 v16, vcc, s22, v2
	v_addc_co_u32_e32 v17, vcc, v4, v3, vcc
	global_load_dword v6, v[8:9], off
	global_load_dword v5, v[10:11], off
	;; [unrolled: 1-line block ×5, first 2 shown]
	s_load_dwordx2 s[34:35], s[4:5], 0x8
	s_andn2_b64 vcc, exec, s[10:11]
	s_cbranch_vccnz .LBB384_11
; %bb.9:
	s_add_u32 s2, s2, s20
	s_addc_u32 s3, s3, s21
	s_load_dword s9, s[2:3], 0x0
	s_branch .LBB384_12
.LBB384_10:
	s_mov_b64 s[12:13], 0
	s_branch .LBB384_2
.LBB384_11:
	s_mov_b32 s9, s6
.LBB384_12:
	s_load_dwordx2 s[10:11], s[4:5], 0x10
	s_load_dwordx4 s[20:23], s[4:5], 0x48
	v_cmp_eq_u32_e32 vcc, 0, v43
	s_mov_b32 s37, 0
	v_mov_b32_e32 v46, 0
	v_mov_b32_e32 v18, 0
	;; [unrolled: 1-line block ×5, first 2 shown]
	s_and_saveexec_b64 s[2:3], vcc
	s_cbranch_execz .LBB384_14
; %bb.13:
	s_load_dwordx2 s[38:39], s[4:5], 0x0
	s_waitcnt lgkmcnt(0)
	s_ashr_i32 s23, s20, 31
	s_mul_hi_u32 s25, s9, s20
	s_mul_i32 s23, s9, s23
	s_add_i32 s41, s25, s23
	s_mul_i32 s40, s9, s20
	s_lshl_b64 s[40:41], s[40:41], 1
	s_add_u32 s9, s38, s40
	s_addc_u32 s20, s39, s41
	s_lshl_b32 s36, s8, 6
	s_lshl_b64 s[36:37], s[36:37], 1
	s_add_u32 s36, s9, s36
	s_addc_u32 s37, s20, s37
	v_lshlrev_b32_e32 v7, 2, v1
	global_load_dwordx4 v[18:21], v7, s[36:37]
.LBB384_14:
	s_or_b64 exec, exec, s[2:3]
	s_waitcnt lgkmcnt(0)
	s_mul_i32 s20, s8, s22
	s_add_u32 s2, s20, s34
	s_addc_u32 s3, 0, s35
	v_pk_mov_b32 v[8:9], s[2:3], s[2:3] op_sel:[0,1]
	s_waitcnt vmcnt(4)
	v_mad_i64_i32 v[6:7], s[2:3], v6, s21, v[8:9]
	v_lshlrev_b32_e32 v8, 4, v0
	v_and_b32_e32 v8, 0xf0, v8
	v_add_co_u32_e64 v6, s[2:3], v6, v8
	v_addc_co_u32_e64 v7, s[2:3], 0, v7, s[2:3]
	global_load_dwordx4 v[34:37], v[6:7], off
	global_load_dwordx4 v[30:33], v[6:7], off offset:256
	global_load_dwordx4 v[26:29], v[6:7], off offset:512
	;; [unrolled: 1-line block ×3, first 2 shown]
	v_mov_b32_e32 v45, 0
	s_and_saveexec_b64 s[2:3], vcc
	s_cbranch_execz .LBB384_16
; %bb.15:
	s_load_dwordx2 s[22:23], s[4:5], 0x40
	s_mov_b32 s9, 0
	s_lshl_b64 s[34:35], s[8:9], 2
	s_waitcnt lgkmcnt(0)
	s_add_u32 s22, s22, s34
	s_addc_u32 s23, s23, s35
	s_load_dword s9, s[22:23], 0x0
	s_waitcnt lgkmcnt(0)
	v_mov_b32_e32 v45, s9
.LBB384_16:
	s_or_b64 exec, exec, s[2:3]
	s_add_u32 s2, s10, s20
	s_addc_u32 s3, s11, 0
	v_lshlrev_b32_e32 v6, 4, v1
	v_mov_b32_e32 v7, s3
	v_add_co_u32_e64 v8, s[2:3], s2, v6
	s_waitcnt vmcnt(7)
	v_mul_hi_i32 v6, v5, s21
	v_ashrrev_i32_e32 v6, 31, v6
	v_lshrrev_b32_e32 v38, 29, v6
	v_mov_b32_e32 v39, 0
	v_addc_co_u32_e64 v9, s[2:3], 0, v7, s[2:3]
	v_mad_i64_i32 v[6:7], s[2:3], v5, s21, v[38:39]
	v_and_b32_e32 v5, -8, v6
	v_add_co_u32_e64 v6, s[2:3], v8, v5
	s_waitcnt vmcnt(6)
	v_mul_hi_i32 v5, v4, s21
	v_ashrrev_i32_e32 v5, 31, v5
	v_lshrrev_b32_e32 v38, 29, v5
	v_addc_co_u32_e64 v7, s[2:3], v9, v7, s[2:3]
	v_mad_i64_i32 v[4:5], s[2:3], v4, s21, v[38:39]
	v_and_b32_e32 v4, -8, v4
	v_add_co_u32_e64 v4, s[2:3], v8, v4
	v_addc_co_u32_e64 v5, s[2:3], v9, v5, s[2:3]
	global_load_dwordx4 v[14:17], v[6:7], off
	global_load_dwordx4 v[10:13], v[4:5], off
	s_waitcnt vmcnt(7)
	v_mul_hi_i32 v4, v3, s21
	v_ashrrev_i32_e32 v4, 31, v4
	v_lshrrev_b32_e32 v38, 29, v4
	v_mad_i64_i32 v[4:5], s[2:3], v3, s21, v[38:39]
	v_and_b32_e32 v3, -8, v4
	v_add_co_u32_e64 v40, s[2:3], v8, v3
	s_waitcnt vmcnt(6)
	v_mul_hi_i32 v3, v2, s21
	v_ashrrev_i32_e32 v3, 31, v3
	v_lshrrev_b32_e32 v38, 29, v3
	v_addc_co_u32_e64 v41, s[2:3], v9, v5, s[2:3]
	v_mad_i64_i32 v[2:3], s[2:3], v2, s21, v[38:39]
	v_and_b32_e32 v2, -8, v2
	v_add_co_u32_e64 v48, s[2:3], v8, v2
	v_addc_co_u32_e64 v49, s[2:3], v9, v3, s[2:3]
	global_load_dwordx4 v[6:9], v[40:41], off
	global_load_dwordx4 v[2:5], v[48:49], off
	s_waitcnt vmcnt(7)
	v_cmp_ne_u16_sdwa s[2:3], v34, v39 src0_sel:BYTE_0 src1_sel:DWORD
	s_and_saveexec_b64 s[10:11], s[2:3]
	s_cbranch_execz .LBB384_22
; %bb.17:
	s_movk_i32 s2, 0x80
	v_cmp_ne_u16_sdwa s[2:3], v34, s2 src0_sel:BYTE_0 src1_sel:DWORD
	v_bfrev_b32_e32 v46, 1
	s_and_saveexec_b64 s[20:21], s[2:3]
	s_cbranch_execz .LBB384_21
; %bb.18:
	s_movk_i32 s2, 0x7f
	v_and_b32_e32 v38, 0x7f, v34
	v_cmp_ne_u32_e64 s[2:3], s2, v38
	v_mov_b32_e32 v46, 0x7f800001
	s_and_saveexec_b64 s[22:23], s[2:3]
	s_cbranch_execz .LBB384_20
; %bb.19:
	v_and_b32_e32 v40, 7, v34
	v_ffbh_u32_e32 v40, v40
	v_min_u32_e32 v40, 32, v40
	v_lshrrev_b32_e32 v41, 3, v38
	v_subrev_u32_e32 v46, 28, v40
	v_sub_u32_e32 v40, 29, v40
	v_cmp_gt_u32_e64 s[2:3], 8, v38
	v_cndmask_b32_e64 v38, v41, v40, s[2:3]
	v_cndmask_b32_e64 v40, 0, v46, s[2:3]
	v_lshlrev_b64 v[40:41], v40, v[34:35]
	v_lshlrev_b32_e32 v40, 20, v40
	v_lshlrev_b32_e32 v41, 24, v34
	v_bfrev_b32_e32 v46, 60
	v_and_b32_e32 v40, 0x700000, v40
	v_and_b32_e32 v41, 0x80000000, v41
	v_lshl_add_u32 v38, v38, 23, v46
	v_or3_b32 v46, v41, v38, v40
.LBB384_20:
	s_or_b64 exec, exec, s[22:23]
.LBB384_21:
	s_or_b64 exec, exec, s[20:21]
.LBB384_22:
	s_or_b64 exec, exec, s[10:11]
	v_lshrrev_b16_e32 v38, 8, v34
	v_cmp_ne_u16_e64 s[2:3], 0, v38
	v_mov_b32_e32 v47, 0
	s_and_saveexec_b64 s[10:11], s[2:3]
	s_cbranch_execz .LBB384_28
; %bb.23:
	s_movk_i32 s2, 0x80
	v_cmp_ne_u16_e64 s[2:3], s2, v38
	v_bfrev_b32_e32 v47, 1
	s_and_saveexec_b64 s[20:21], s[2:3]
	s_cbranch_execz .LBB384_27
; %bb.24:
	s_movk_i32 s2, 0x7f
	v_and_b32_e32 v40, 0x7f, v38
	v_cmp_ne_u32_e64 s[2:3], s2, v40
	v_mov_b32_e32 v47, 0x7f800001
	s_and_saveexec_b64 s[22:23], s[2:3]
	s_cbranch_execz .LBB384_26
; %bb.25:
	v_and_b32_e32 v41, 7, v38
	v_ffbh_u32_e32 v48, v41
	v_min_u32_e32 v50, 32, v48
	v_subrev_u32_e32 v48, 28, v50
	v_lshlrev_b64 v[48:49], v48, v[38:39]
	v_lshrrev_b32_e32 v47, 3, v40
	v_sub_u32_e32 v38, 29, v50
	v_and_b32_e32 v48, 7, v48
	v_cmp_gt_u32_e64 s[2:3], 8, v40
	v_cndmask_b32_e64 v38, v47, v38, s[2:3]
	v_cndmask_b32_e64 v40, v41, v48, s[2:3]
	v_lshlrev_b32_e32 v41, 16, v34
	v_bfrev_b32_e32 v47, 60
	v_lshlrev_b32_e32 v40, 20, v40
	v_and_b32_e32 v41, 0x80000000, v41
	v_lshl_add_u32 v38, v38, 23, v47
	v_or3_b32 v47, v41, v38, v40
.LBB384_26:
	s_or_b64 exec, exec, s[22:23]
.LBB384_27:
	s_or_b64 exec, exec, s[20:21]
.LBB384_28:
	s_or_b64 exec, exec, s[10:11]
	s_movk_i32 s2, 0xff
	v_and_b32_sdwa v40, v34, s2 dst_sel:DWORD dst_unused:UNUSED_PAD src0_sel:WORD_1 src1_sel:DWORD
	v_lshrrev_b32_e32 v38, 16, v34
	v_cmp_ne_u16_e64 s[2:3], 0, v40
	s_and_saveexec_b64 s[10:11], s[2:3]
	s_cbranch_execz .LBB384_34
; %bb.29:
	s_movk_i32 s2, 0x80
	v_cmp_ne_u16_e64 s[2:3], s2, v40
	v_bfrev_b32_e32 v39, 1
	s_and_saveexec_b64 s[20:21], s[2:3]
	s_cbranch_execz .LBB384_33
; %bb.30:
	v_bfe_u32 v40, v34, 16, 7
	s_movk_i32 s2, 0x7f
	v_cmp_ne_u32_e64 s[2:3], s2, v40
	v_mov_b32_e32 v39, 0x7f800001
	s_and_saveexec_b64 s[22:23], s[2:3]
	s_cbranch_execz .LBB384_32
; %bb.31:
	v_and_b32_e32 v41, 7, v38
	v_ffbh_u32_e32 v39, v41
	v_min_u32_e32 v49, 32, v39
	v_subrev_u32_e32 v39, 28, v49
	v_lshlrev_b64 v[38:39], v39, v[38:39]
	v_lshrrev_b32_e32 v48, 3, v40
	v_sub_u32_e32 v39, 29, v49
	v_and_b32_e32 v38, 7, v38
	v_cmp_gt_u32_e64 s[2:3], 8, v40
	v_mov_b32_e32 v40, 24
	v_cndmask_b32_e64 v39, v48, v39, s[2:3]
	v_cndmask_b32_e64 v38, v41, v38, s[2:3]
	v_lshlrev_b32_sdwa v40, v40, v34 dst_sel:DWORD dst_unused:UNUSED_PAD src0_sel:DWORD src1_sel:WORD_1
	v_bfrev_b32_e32 v41, 60
	v_lshlrev_b32_e32 v38, 20, v38
	v_and_b32_e32 v40, 0x80000000, v40
	v_lshl_add_u32 v39, v39, 23, v41
	v_or3_b32 v39, v40, v39, v38
.LBB384_32:
	s_or_b64 exec, exec, s[22:23]
.LBB384_33:
	s_or_b64 exec, exec, s[20:21]
.LBB384_34:
	s_or_b64 exec, exec, s[10:11]
	s_mov_b32 s2, 0xffffff
	v_cmp_lt_u32_e64 s[2:3], s2, v34
	v_mov_b32_e32 v41, 0
	v_mov_b32_e32 v48, 0
	s_and_saveexec_b64 s[10:11], s[2:3]
	s_cbranch_execz .LBB384_40
; %bb.35:
	v_lshrrev_b32_e32 v38, 24, v34
	s_movk_i32 s2, 0x80
	v_cmp_ne_u32_e64 s[2:3], s2, v38
	v_bfrev_b32_e32 v48, 1
	s_and_saveexec_b64 s[20:21], s[2:3]
	s_cbranch_execz .LBB384_39
; %bb.36:
	v_bfe_u32 v40, v34, 24, 7
	s_movk_i32 s2, 0x7f
	v_cmp_ne_u32_e64 s[2:3], s2, v40
	v_mov_b32_e32 v48, 0x7f800001
	s_and_saveexec_b64 s[22:23], s[2:3]
	s_cbranch_execz .LBB384_38
; %bb.37:
	v_and_b32_e32 v50, 7, v38
	v_ffbh_u32_e32 v48, v50
	v_min_u32_e32 v52, 32, v48
	v_subrev_u32_e32 v48, 28, v52
	v_lshlrev_b64 v[48:49], v48, v[38:39]
	v_lshrrev_b32_e32 v51, 3, v40
	v_sub_u32_e32 v49, 29, v52
	v_and_b32_e32 v48, 7, v48
	v_cmp_gt_u32_e64 s[2:3], 8, v40
	v_cndmask_b32_e64 v40, v51, v49, s[2:3]
	v_cndmask_b32_e64 v48, v50, v48, s[2:3]
	v_lshlrev_b32_e32 v38, 24, v38
	v_bfrev_b32_e32 v49, 60
	v_lshlrev_b32_e32 v48, 20, v48
	v_and_b32_e32 v38, 0x80000000, v38
	v_lshl_add_u32 v40, v40, 23, v49
	v_or3_b32 v48, v38, v40, v48
.LBB384_38:
	s_or_b64 exec, exec, s[22:23]
.LBB384_39:
	s_or_b64 exec, exec, s[20:21]
.LBB384_40:
	s_or_b64 exec, exec, s[10:11]
	v_mov_b32_e32 v40, v35
	v_cmp_ne_u16_sdwa s[2:3], v35, v41 src0_sel:BYTE_0 src1_sel:DWORD
	s_and_saveexec_b64 s[10:11], s[2:3]
	s_cbranch_execz .LBB384_46
; %bb.41:
	s_movk_i32 s2, 0x80
	v_cmp_ne_u16_sdwa s[2:3], v35, s2 src0_sel:BYTE_0 src1_sel:DWORD
	v_bfrev_b32_e32 v38, 1
	s_and_saveexec_b64 s[20:21], s[2:3]
	s_cbranch_execz .LBB384_45
; %bb.42:
	s_movk_i32 s2, 0x7f
	v_and_b32_e32 v49, 0x7f, v35
	v_cmp_ne_u32_e64 s[2:3], s2, v49
	v_mov_b32_e32 v38, 0x7f800001
	s_and_saveexec_b64 s[22:23], s[2:3]
	s_cbranch_execz .LBB384_44
; %bb.43:
	v_and_b32_e32 v38, 7, v35
	v_ffbh_u32_e32 v38, v38
	v_min_u32_e32 v38, 32, v38
	v_subrev_u32_e32 v51, 28, v38
	v_cmp_gt_u32_e64 s[2:3], 8, v49
	v_lshrrev_b32_e32 v50, 3, v49
	v_sub_u32_e32 v38, 29, v38
	v_cndmask_b32_e64 v49, 0, v51, s[2:3]
	v_cndmask_b32_e64 v38, v50, v38, s[2:3]
	v_lshlrev_b64 v[50:51], v49, v[40:41]
	v_lshlrev_b32_e32 v41, 20, v50
	v_lshlrev_b32_e32 v49, 24, v40
	v_bfrev_b32_e32 v50, 60
	v_and_b32_e32 v41, 0x700000, v41
	v_and_b32_e32 v49, 0x80000000, v49
	v_lshl_add_u32 v38, v38, 23, v50
	v_or3_b32 v38, v49, v38, v41
.LBB384_44:
	s_or_b64 exec, exec, s[22:23]
.LBB384_45:
	s_or_b64 exec, exec, s[20:21]
	v_mov_b32_e32 v41, v38
.LBB384_46:
	s_or_b64 exec, exec, s[10:11]
	v_lshrrev_b16_e32 v38, 8, v40
	v_cmp_ne_u16_e64 s[2:3], 0, v38
	v_mov_b32_e32 v49, 0
	v_mov_b32_e32 v50, 0
	s_and_saveexec_b64 s[10:11], s[2:3]
	s_cbranch_execz .LBB384_52
; %bb.47:
	s_movk_i32 s2, 0x80
	v_cmp_ne_u16_e64 s[2:3], s2, v38
	v_bfrev_b32_e32 v50, 1
	s_and_saveexec_b64 s[20:21], s[2:3]
	s_cbranch_execz .LBB384_51
; %bb.48:
	s_movk_i32 s2, 0x7f
	v_and_b32_e32 v51, 0x7f, v38
	v_cmp_ne_u32_e64 s[2:3], s2, v51
	v_mov_b32_e32 v50, 0x7f800001
	s_and_saveexec_b64 s[22:23], s[2:3]
	s_cbranch_execz .LBB384_50
; %bb.49:
	v_and_b32_e32 v50, 7, v38
	v_ffbh_u32_e32 v52, v50
	v_min_u32_e32 v55, 32, v52
	v_subrev_u32_e32 v52, 28, v55
	v_lshlrev_b64 v[52:53], v52, v[38:39]
	v_lshrrev_b32_e32 v54, 3, v51
	v_sub_u32_e32 v38, 29, v55
	v_and_b32_e32 v52, 7, v52
	v_cmp_gt_u32_e64 s[2:3], 8, v51
	v_cndmask_b32_e64 v38, v54, v38, s[2:3]
	v_cndmask_b32_e64 v50, v50, v52, s[2:3]
	v_lshlrev_b32_e32 v40, 16, v40
	v_bfrev_b32_e32 v51, 60
	v_lshlrev_b32_e32 v50, 20, v50
	v_and_b32_e32 v40, 0x80000000, v40
	v_lshl_add_u32 v38, v38, 23, v51
	v_or3_b32 v50, v40, v38, v50
.LBB384_50:
	s_or_b64 exec, exec, s[22:23]
.LBB384_51:
	s_or_b64 exec, exec, s[20:21]
.LBB384_52:
	s_or_b64 exec, exec, s[10:11]
	s_movk_i32 s2, 0xff
	v_and_b32_sdwa v40, v35, s2 dst_sel:DWORD dst_unused:UNUSED_PAD src0_sel:WORD_1 src1_sel:DWORD
	v_lshrrev_b32_e32 v38, 16, v35
	v_cmp_ne_u16_e64 s[2:3], 0, v40
	s_and_saveexec_b64 s[10:11], s[2:3]
	s_cbranch_execz .LBB384_58
; %bb.53:
	s_movk_i32 s2, 0x80
	v_cmp_ne_u16_e64 s[2:3], s2, v40
	v_bfrev_b32_e32 v49, 1
	s_and_saveexec_b64 s[20:21], s[2:3]
	s_cbranch_execz .LBB384_57
; %bb.54:
	v_bfe_u32 v40, v35, 16, 7
	s_movk_i32 s2, 0x7f
	v_cmp_ne_u32_e64 s[2:3], s2, v40
	v_mov_b32_e32 v49, 0x7f800001
	s_and_saveexec_b64 s[22:23], s[2:3]
	s_cbranch_execz .LBB384_56
; %bb.55:
	v_and_b32_e32 v49, 7, v38
	v_ffbh_u32_e32 v52, v49
	v_min_u32_e32 v54, 32, v52
	v_subrev_u32_e32 v52, 28, v54
	v_lshlrev_b64 v[52:53], v52, v[38:39]
	v_and_b32_e32 v52, 7, v52
	v_cmp_gt_u32_e64 s[2:3], 8, v40
	v_lshrrev_b32_e32 v51, 3, v40
	v_sub_u32_e32 v38, 29, v54
	v_cndmask_b32_e64 v40, v49, v52, s[2:3]
	v_mov_b32_e32 v49, 24
	v_cndmask_b32_e64 v38, v51, v38, s[2:3]
	v_lshlrev_b32_sdwa v49, v49, v35 dst_sel:DWORD dst_unused:UNUSED_PAD src0_sel:DWORD src1_sel:WORD_1
	v_bfrev_b32_e32 v51, 60
	v_lshlrev_b32_e32 v40, 20, v40
	v_and_b32_e32 v49, 0x80000000, v49
	v_lshl_add_u32 v38, v38, 23, v51
	v_or3_b32 v49, v49, v38, v40
.LBB384_56:
	s_or_b64 exec, exec, s[22:23]
.LBB384_57:
	s_or_b64 exec, exec, s[20:21]
.LBB384_58:
	s_or_b64 exec, exec, s[10:11]
	s_mov_b32 s2, -1
	s_mov_b32 s3, 0xffffff
	v_cmp_lt_u64_e64 s[2:3], s[2:3], v[34:35]
	v_mov_b32_e32 v40, 0
	v_mov_b32_e32 v38, 0
	s_and_saveexec_b64 s[10:11], s[2:3]
	s_cbranch_execz .LBB384_64
; %bb.59:
	v_lshrrev_b32_e32 v34, 24, v35
	s_movk_i32 s2, 0x80
	v_cmp_ne_u32_e64 s[2:3], s2, v34
	v_bfrev_b32_e32 v38, 1
	s_and_saveexec_b64 s[20:21], s[2:3]
	s_cbranch_execz .LBB384_63
; %bb.60:
	v_bfe_u32 v35, v35, 24, 7
	s_movk_i32 s2, 0x7f
	v_cmp_ne_u32_e64 s[2:3], s2, v35
	v_mov_b32_e32 v38, 0x7f800001
	s_and_saveexec_b64 s[22:23], s[2:3]
	s_cbranch_execz .LBB384_62
; %bb.61:
	v_and_b32_e32 v38, 7, v34
	v_ffbh_u32_e32 v52, v38
	v_min_u32_e32 v54, 32, v52
	v_subrev_u32_e32 v52, 28, v54
	v_lshlrev_b64 v[52:53], v52, v[34:35]
	v_lshrrev_b32_e32 v51, 3, v35
	v_sub_u32_e32 v53, 29, v54
	v_and_b32_e32 v52, 7, v52
	v_cmp_gt_u32_e64 s[2:3], 8, v35
	v_cndmask_b32_e64 v35, v51, v53, s[2:3]
	v_cndmask_b32_e64 v38, v38, v52, s[2:3]
	v_lshlrev_b32_e32 v34, 24, v34
	v_bfrev_b32_e32 v51, 60
	v_lshlrev_b32_e32 v38, 20, v38
	v_and_b32_e32 v34, 0x80000000, v34
	v_lshl_add_u32 v35, v35, 23, v51
	v_or3_b32 v38, v34, v35, v38
.LBB384_62:
	s_or_b64 exec, exec, s[22:23]
.LBB384_63:
	s_or_b64 exec, exec, s[20:21]
.LBB384_64:
	s_or_b64 exec, exec, s[10:11]
	v_cvt_pkrtz_f16_f32 v34, v46, v47
	v_cvt_pkrtz_f16_f32 v35, v39, v48
	;; [unrolled: 1-line block ×4, first 2 shown]
	v_mfma_f32_4x4x4f16 a[0:3], v[18:19], v[34:35], 0 cbsz:4
	v_cmp_ne_u16_sdwa s[2:3], v36, v40 src0_sel:BYTE_0 src1_sel:DWORD
	v_mfma_f32_4x4x4f16 a[0:3], v[20:21], v[46:47], a[0:3] cbsz:4
	s_and_saveexec_b64 s[10:11], s[2:3]
	s_cbranch_execz .LBB384_70
; %bb.65:
	s_movk_i32 s2, 0x80
	v_cmp_ne_u16_sdwa s[2:3], v36, s2 src0_sel:BYTE_0 src1_sel:DWORD
	v_bfrev_b32_e32 v40, 1
	s_and_saveexec_b64 s[20:21], s[2:3]
	s_cbranch_execz .LBB384_69
; %bb.66:
	s_movk_i32 s2, 0x7f
	v_and_b32_e32 v34, 0x7f, v36
	v_cmp_ne_u32_e64 s[2:3], s2, v34
	v_mov_b32_e32 v40, 0x7f800001
	s_and_saveexec_b64 s[22:23], s[2:3]
	s_cbranch_execz .LBB384_68
; %bb.67:
	v_and_b32_e32 v35, 7, v36
	v_ffbh_u32_e32 v35, v35
	v_min_u32_e32 v35, 32, v35
	v_subrev_u32_e32 v39, 28, v35
	v_cmp_gt_u32_e64 s[2:3], 8, v34
	v_lshrrev_b32_e32 v38, 3, v34
	v_sub_u32_e32 v35, 29, v35
	v_cndmask_b32_e64 v34, 0, v39, s[2:3]
	v_cndmask_b32_e64 v38, v38, v35, s[2:3]
	v_lshlrev_b64 v[34:35], v34, v[36:37]
	v_lshlrev_b32_e32 v34, 20, v34
	v_lshlrev_b32_e32 v35, 24, v36
	v_bfrev_b32_e32 v39, 60
	v_and_b32_e32 v34, 0x700000, v34
	v_and_b32_e32 v35, 0x80000000, v35
	v_lshl_add_u32 v38, v38, 23, v39
	v_or3_b32 v40, v35, v38, v34
.LBB384_68:
	s_or_b64 exec, exec, s[22:23]
.LBB384_69:
	s_or_b64 exec, exec, s[20:21]
.LBB384_70:
	s_or_b64 exec, exec, s[10:11]
	v_lshrrev_b16_e32 v34, 8, v36
	v_cmp_ne_u16_e64 s[2:3], 0, v34
	v_mov_b32_e32 v39, 0
	v_mov_b32_e32 v41, 0
	s_and_saveexec_b64 s[10:11], s[2:3]
	s_cbranch_execz .LBB384_76
; %bb.71:
	s_movk_i32 s2, 0x80
	v_cmp_ne_u16_e64 s[2:3], s2, v34
	v_bfrev_b32_e32 v41, 1
	s_and_saveexec_b64 s[20:21], s[2:3]
	s_cbranch_execz .LBB384_75
; %bb.72:
	s_movk_i32 s2, 0x7f
	v_and_b32_e32 v35, 0x7f, v34
	v_cmp_ne_u32_e64 s[2:3], s2, v35
	v_mov_b32_e32 v41, 0x7f800001
	s_and_saveexec_b64 s[22:23], s[2:3]
	s_cbranch_execz .LBB384_74
; %bb.73:
	v_and_b32_e32 v38, 7, v34
	v_ffbh_u32_e32 v46, v38
	v_min_u32_e32 v48, 32, v46
	v_subrev_u32_e32 v46, 28, v48
	v_lshlrev_b64 v[46:47], v46, v[34:35]
	v_lshrrev_b32_e32 v41, 3, v35
	v_sub_u32_e32 v34, 29, v48
	v_and_b32_e32 v46, 7, v46
	v_cmp_gt_u32_e64 s[2:3], 8, v35
	v_cndmask_b32_e64 v34, v41, v34, s[2:3]
	v_cndmask_b32_e64 v35, v38, v46, s[2:3]
	v_lshlrev_b32_e32 v38, 16, v36
	v_bfrev_b32_e32 v41, 60
	v_lshlrev_b32_e32 v35, 20, v35
	v_and_b32_e32 v38, 0x80000000, v38
	v_lshl_add_u32 v34, v34, 23, v41
	v_or3_b32 v41, v38, v34, v35
.LBB384_74:
	s_or_b64 exec, exec, s[22:23]
.LBB384_75:
	s_or_b64 exec, exec, s[20:21]
.LBB384_76:
	s_or_b64 exec, exec, s[10:11]
	s_movk_i32 s2, 0xff
	v_and_b32_sdwa v35, v36, s2 dst_sel:DWORD dst_unused:UNUSED_PAD src0_sel:WORD_1 src1_sel:DWORD
	v_lshrrev_b32_e32 v34, 16, v36
	v_cmp_ne_u16_e64 s[2:3], 0, v35
	s_and_saveexec_b64 s[10:11], s[2:3]
	s_cbranch_execz .LBB384_82
; %bb.77:
	s_movk_i32 s2, 0x80
	v_cmp_ne_u16_e64 s[2:3], s2, v35
	v_bfrev_b32_e32 v39, 1
	s_and_saveexec_b64 s[20:21], s[2:3]
	s_cbranch_execz .LBB384_81
; %bb.78:
	v_bfe_u32 v35, v36, 16, 7
	s_movk_i32 s2, 0x7f
	v_cmp_ne_u32_e64 s[2:3], s2, v35
	v_mov_b32_e32 v39, 0x7f800001
	s_and_saveexec_b64 s[22:23], s[2:3]
	s_cbranch_execz .LBB384_80
; %bb.79:
	v_and_b32_e32 v46, 7, v34
	v_ffbh_u32_e32 v38, v46
	v_min_u32_e32 v48, 32, v38
	v_subrev_u32_e32 v38, 28, v48
	v_lshlrev_b64 v[38:39], v38, v[34:35]
	v_and_b32_e32 v38, 7, v38
	v_cmp_gt_u32_e64 s[2:3], 8, v35
	v_lshrrev_b32_e32 v47, 3, v35
	v_sub_u32_e32 v34, 29, v48
	v_cndmask_b32_e64 v35, v46, v38, s[2:3]
	v_mov_b32_e32 v38, 24
	v_cndmask_b32_e64 v34, v47, v34, s[2:3]
	v_lshlrev_b32_sdwa v38, v38, v36 dst_sel:DWORD dst_unused:UNUSED_PAD src0_sel:DWORD src1_sel:WORD_1
	v_bfrev_b32_e32 v39, 60
	v_lshlrev_b32_e32 v35, 20, v35
	v_and_b32_e32 v38, 0x80000000, v38
	v_lshl_add_u32 v34, v34, 23, v39
	v_or3_b32 v39, v38, v34, v35
.LBB384_80:
	s_or_b64 exec, exec, s[22:23]
.LBB384_81:
	s_or_b64 exec, exec, s[20:21]
.LBB384_82:
	s_or_b64 exec, exec, s[10:11]
	s_mov_b32 s2, 0xffffff
	v_cmp_lt_u32_e64 s[2:3], s2, v36
	v_mov_b32_e32 v35, 0
	v_mov_b32_e32 v46, 0
	s_and_saveexec_b64 s[10:11], s[2:3]
	s_cbranch_execz .LBB384_88
; %bb.83:
	v_lshrrev_b32_e32 v34, 24, v36
	s_movk_i32 s2, 0x80
	v_cmp_ne_u32_e64 s[2:3], s2, v34
	v_bfrev_b32_e32 v46, 1
	s_and_saveexec_b64 s[20:21], s[2:3]
	s_cbranch_execz .LBB384_87
; %bb.84:
	v_bfe_u32 v38, v36, 24, 7
	s_movk_i32 s2, 0x7f
	v_cmp_ne_u32_e64 s[2:3], s2, v38
	v_mov_b32_e32 v46, 0x7f800001
	s_and_saveexec_b64 s[22:23], s[2:3]
	s_cbranch_execz .LBB384_86
; %bb.85:
	v_and_b32_e32 v48, 7, v34
	v_ffbh_u32_e32 v46, v48
	v_min_u32_e32 v50, 32, v46
	v_subrev_u32_e32 v46, 28, v50
	v_lshlrev_b64 v[46:47], v46, v[34:35]
	v_lshrrev_b32_e32 v49, 3, v38
	v_sub_u32_e32 v47, 29, v50
	v_and_b32_e32 v46, 7, v46
	v_cmp_gt_u32_e64 s[2:3], 8, v38
	v_cndmask_b32_e64 v38, v49, v47, s[2:3]
	v_cndmask_b32_e64 v46, v48, v46, s[2:3]
	v_lshlrev_b32_e32 v34, 24, v34
	v_bfrev_b32_e32 v47, 60
	v_lshlrev_b32_e32 v46, 20, v46
	v_and_b32_e32 v34, 0x80000000, v34
	v_lshl_add_u32 v38, v38, 23, v47
	v_or3_b32 v46, v34, v38, v46
.LBB384_86:
	s_or_b64 exec, exec, s[22:23]
.LBB384_87:
	s_or_b64 exec, exec, s[20:21]
.LBB384_88:
	s_or_b64 exec, exec, s[10:11]
	v_mov_b32_e32 v34, v37
	v_cmp_ne_u16_sdwa s[2:3], v37, v35 src0_sel:BYTE_0 src1_sel:DWORD
	s_and_saveexec_b64 s[10:11], s[2:3]
	s_cbranch_execz .LBB384_94
; %bb.89:
	s_movk_i32 s2, 0x80
	v_cmp_ne_u16_sdwa s[2:3], v37, s2 src0_sel:BYTE_0 src1_sel:DWORD
	v_bfrev_b32_e32 v38, 1
	s_and_saveexec_b64 s[20:21], s[2:3]
	s_cbranch_execz .LBB384_93
; %bb.90:
	s_movk_i32 s2, 0x7f
	v_and_b32_e32 v47, 0x7f, v37
	v_cmp_ne_u32_e64 s[2:3], s2, v47
	v_mov_b32_e32 v38, 0x7f800001
	s_and_saveexec_b64 s[22:23], s[2:3]
	s_cbranch_execz .LBB384_92
; %bb.91:
	v_and_b32_e32 v38, 7, v37
	v_ffbh_u32_e32 v38, v38
	v_min_u32_e32 v38, 32, v38
	v_subrev_u32_e32 v49, 28, v38
	v_cmp_gt_u32_e64 s[2:3], 8, v47
	v_lshrrev_b32_e32 v48, 3, v47
	v_sub_u32_e32 v38, 29, v38
	v_cndmask_b32_e64 v47, 0, v49, s[2:3]
	v_cndmask_b32_e64 v38, v48, v38, s[2:3]
	v_lshlrev_b64 v[48:49], v47, v[34:35]
	v_lshlrev_b32_e32 v35, 20, v48
	v_lshlrev_b32_e32 v47, 24, v34
	v_bfrev_b32_e32 v48, 60
	v_and_b32_e32 v35, 0x700000, v35
	v_and_b32_e32 v47, 0x80000000, v47
	v_lshl_add_u32 v38, v38, 23, v48
	v_or3_b32 v38, v47, v38, v35
.LBB384_92:
	s_or_b64 exec, exec, s[22:23]
.LBB384_93:
	s_or_b64 exec, exec, s[20:21]
	v_mov_b32_e32 v35, v38
.LBB384_94:
	s_or_b64 exec, exec, s[10:11]
	v_lshrrev_b16_e32 v38, 8, v34
	v_cmp_ne_u16_e64 s[2:3], 0, v38
	v_mov_b32_e32 v47, 0
	v_mov_b32_e32 v48, 0
	s_and_saveexec_b64 s[10:11], s[2:3]
	s_cbranch_execz .LBB384_100
; %bb.95:
	s_movk_i32 s2, 0x80
	v_cmp_ne_u16_e64 s[2:3], s2, v38
	v_bfrev_b32_e32 v48, 1
	s_and_saveexec_b64 s[20:21], s[2:3]
	s_cbranch_execz .LBB384_99
; %bb.96:
	s_movk_i32 s2, 0x7f
	v_and_b32_e32 v49, 0x7f, v38
	v_cmp_ne_u32_e64 s[2:3], s2, v49
	v_mov_b32_e32 v48, 0x7f800001
	s_and_saveexec_b64 s[22:23], s[2:3]
	s_cbranch_execz .LBB384_98
; %bb.97:
	v_and_b32_e32 v48, 7, v38
	v_ffbh_u32_e32 v50, v48
	v_min_u32_e32 v53, 32, v50
	v_subrev_u32_e32 v50, 28, v53
	v_lshlrev_b64 v[50:51], v50, v[38:39]
	v_lshrrev_b32_e32 v52, 3, v49
	v_sub_u32_e32 v38, 29, v53
	v_and_b32_e32 v50, 7, v50
	v_cmp_gt_u32_e64 s[2:3], 8, v49
	v_cndmask_b32_e64 v38, v52, v38, s[2:3]
	v_cndmask_b32_e64 v48, v48, v50, s[2:3]
	v_lshlrev_b32_e32 v34, 16, v34
	v_bfrev_b32_e32 v49, 60
	v_lshlrev_b32_e32 v48, 20, v48
	v_and_b32_e32 v34, 0x80000000, v34
	v_lshl_add_u32 v38, v38, 23, v49
	v_or3_b32 v48, v34, v38, v48
.LBB384_98:
	s_or_b64 exec, exec, s[22:23]
.LBB384_99:
	s_or_b64 exec, exec, s[20:21]
.LBB384_100:
	s_or_b64 exec, exec, s[10:11]
	s_movk_i32 s2, 0xff
	v_and_b32_sdwa v38, v37, s2 dst_sel:DWORD dst_unused:UNUSED_PAD src0_sel:WORD_1 src1_sel:DWORD
	v_lshrrev_b32_e32 v34, 16, v37
	v_cmp_ne_u16_e64 s[2:3], 0, v38
	s_and_saveexec_b64 s[10:11], s[2:3]
	s_cbranch_execz .LBB384_106
; %bb.101:
	s_movk_i32 s2, 0x80
	v_cmp_ne_u16_e64 s[2:3], s2, v38
	v_bfrev_b32_e32 v47, 1
	s_and_saveexec_b64 s[20:21], s[2:3]
	s_cbranch_execz .LBB384_105
; %bb.102:
	v_bfe_u32 v38, v37, 16, 7
	s_movk_i32 s2, 0x7f
	v_cmp_ne_u32_e64 s[2:3], s2, v38
	v_mov_b32_e32 v47, 0x7f800001
	s_and_saveexec_b64 s[22:23], s[2:3]
	s_cbranch_execz .LBB384_104
; %bb.103:
	v_and_b32_e32 v47, 7, v34
	v_ffbh_u32_e32 v50, v47
	v_min_u32_e32 v52, 32, v50
	v_subrev_u32_e32 v50, 28, v52
	v_lshlrev_b64 v[50:51], v50, v[34:35]
	v_and_b32_e32 v50, 7, v50
	v_cmp_gt_u32_e64 s[2:3], 8, v38
	v_lshrrev_b32_e32 v49, 3, v38
	v_sub_u32_e32 v34, 29, v52
	v_cndmask_b32_e64 v38, v47, v50, s[2:3]
	v_mov_b32_e32 v47, 24
	v_cndmask_b32_e64 v34, v49, v34, s[2:3]
	v_lshlrev_b32_sdwa v47, v47, v37 dst_sel:DWORD dst_unused:UNUSED_PAD src0_sel:DWORD src1_sel:WORD_1
	v_bfrev_b32_e32 v49, 60
	v_lshlrev_b32_e32 v38, 20, v38
	v_and_b32_e32 v47, 0x80000000, v47
	v_lshl_add_u32 v34, v34, 23, v49
	v_or3_b32 v47, v47, v34, v38
.LBB384_104:
	s_or_b64 exec, exec, s[22:23]
.LBB384_105:
	s_or_b64 exec, exec, s[20:21]
.LBB384_106:
	s_or_b64 exec, exec, s[10:11]
	s_mov_b32 s2, -1
	s_mov_b32 s3, 0xffffff
	v_cmp_lt_u64_e64 s[2:3], s[2:3], v[36:37]
	v_mov_b32_e32 v38, 0
	v_mov_b32_e32 v36, 0
	s_and_saveexec_b64 s[10:11], s[2:3]
	s_cbranch_execz .LBB384_112
; %bb.107:
	v_lshrrev_b32_e32 v34, 24, v37
	s_movk_i32 s2, 0x80
	v_cmp_ne_u32_e64 s[2:3], s2, v34
	v_bfrev_b32_e32 v36, 1
	s_and_saveexec_b64 s[20:21], s[2:3]
	s_cbranch_execz .LBB384_111
; %bb.108:
	v_bfe_u32 v37, v37, 24, 7
	s_movk_i32 s2, 0x7f
	v_cmp_ne_u32_e64 s[2:3], s2, v37
	v_mov_b32_e32 v36, 0x7f800001
	s_and_saveexec_b64 s[22:23], s[2:3]
	s_cbranch_execz .LBB384_110
; %bb.109:
	v_and_b32_e32 v36, 7, v34
	v_ffbh_u32_e32 v50, v36
	v_min_u32_e32 v52, 32, v50
	v_subrev_u32_e32 v50, 28, v52
	v_lshlrev_b64 v[50:51], v50, v[34:35]
	v_lshrrev_b32_e32 v49, 3, v37
	v_sub_u32_e32 v51, 29, v52
	v_and_b32_e32 v50, 7, v50
	v_cmp_gt_u32_e64 s[2:3], 8, v37
	v_cndmask_b32_e64 v37, v49, v51, s[2:3]
	v_cndmask_b32_e64 v36, v36, v50, s[2:3]
	v_lshlrev_b32_e32 v34, 24, v34
	v_bfrev_b32_e32 v49, 60
	v_lshlrev_b32_e32 v36, 20, v36
	v_and_b32_e32 v34, 0x80000000, v34
	v_lshl_add_u32 v37, v37, 23, v49
	v_or3_b32 v36, v34, v37, v36
.LBB384_110:
	s_or_b64 exec, exec, s[22:23]
.LBB384_111:
	s_or_b64 exec, exec, s[20:21]
.LBB384_112:
	s_or_b64 exec, exec, s[10:11]
	v_cvt_pkrtz_f16_f32 v40, v40, v41
	v_cvt_pkrtz_f16_f32 v41, v39, v46
	;; [unrolled: 1-line block ×4, first 2 shown]
	v_mfma_f32_4x4x4f16 a[0:3], v[18:19], v[40:41], a[0:3] cbsz:4 abid:1
	s_waitcnt vmcnt(6)
	v_cmp_ne_u16_sdwa s[2:3], v30, v38 src0_sel:BYTE_0 src1_sel:DWORD
	v_mfma_f32_4x4x4f16 a[0:3], v[20:21], v[34:35], a[0:3] cbsz:4 abid:1
	s_and_saveexec_b64 s[10:11], s[2:3]
	s_cbranch_execz .LBB384_118
; %bb.113:
	s_movk_i32 s2, 0x80
	v_cmp_ne_u16_sdwa s[2:3], v30, s2 src0_sel:BYTE_0 src1_sel:DWORD
	v_bfrev_b32_e32 v38, 1
	s_and_saveexec_b64 s[20:21], s[2:3]
	s_cbranch_execz .LBB384_117
; %bb.114:
	s_movk_i32 s2, 0x7f
	v_and_b32_e32 v34, 0x7f, v30
	v_cmp_ne_u32_e64 s[2:3], s2, v34
	v_mov_b32_e32 v38, 0x7f800001
	s_and_saveexec_b64 s[22:23], s[2:3]
	s_cbranch_execz .LBB384_116
; %bb.115:
	v_and_b32_e32 v35, 7, v30
	v_ffbh_u32_e32 v35, v35
	v_min_u32_e32 v35, 32, v35
	v_subrev_u32_e32 v37, 28, v35
	v_cmp_gt_u32_e64 s[2:3], 8, v34
	v_lshrrev_b32_e32 v36, 3, v34
	v_sub_u32_e32 v35, 29, v35
	v_cndmask_b32_e64 v34, 0, v37, s[2:3]
	v_cndmask_b32_e64 v36, v36, v35, s[2:3]
	v_lshlrev_b64 v[34:35], v34, v[30:31]
	v_lshlrev_b32_e32 v34, 20, v34
	v_lshlrev_b32_e32 v35, 24, v30
	v_bfrev_b32_e32 v37, 60
	v_and_b32_e32 v34, 0x700000, v34
	v_and_b32_e32 v35, 0x80000000, v35
	v_lshl_add_u32 v36, v36, 23, v37
	v_or3_b32 v38, v35, v36, v34
.LBB384_116:
	s_or_b64 exec, exec, s[22:23]
.LBB384_117:
	s_or_b64 exec, exec, s[20:21]
.LBB384_118:
	s_or_b64 exec, exec, s[10:11]
	v_lshrrev_b16_e32 v34, 8, v30
	v_cmp_ne_u16_e64 s[2:3], 0, v34
	v_mov_b32_e32 v37, 0
	v_mov_b32_e32 v39, 0
	s_and_saveexec_b64 s[10:11], s[2:3]
	s_cbranch_execz .LBB384_124
; %bb.119:
	s_movk_i32 s2, 0x80
	v_cmp_ne_u16_e64 s[2:3], s2, v34
	v_bfrev_b32_e32 v39, 1
	s_and_saveexec_b64 s[20:21], s[2:3]
	s_cbranch_execz .LBB384_123
; %bb.120:
	s_movk_i32 s2, 0x7f
	v_and_b32_e32 v35, 0x7f, v34
	v_cmp_ne_u32_e64 s[2:3], s2, v35
	v_mov_b32_e32 v39, 0x7f800001
	s_and_saveexec_b64 s[22:23], s[2:3]
	s_cbranch_execz .LBB384_122
; %bb.121:
	v_and_b32_e32 v36, 7, v34
	v_ffbh_u32_e32 v40, v36
	v_min_u32_e32 v46, 32, v40
	v_subrev_u32_e32 v40, 28, v46
	v_lshlrev_b64 v[40:41], v40, v[34:35]
	v_lshrrev_b32_e32 v39, 3, v35
	v_sub_u32_e32 v34, 29, v46
	v_and_b32_e32 v40, 7, v40
	v_cmp_gt_u32_e64 s[2:3], 8, v35
	v_cndmask_b32_e64 v34, v39, v34, s[2:3]
	v_cndmask_b32_e64 v35, v36, v40, s[2:3]
	v_lshlrev_b32_e32 v36, 16, v30
	v_bfrev_b32_e32 v39, 60
	v_lshlrev_b32_e32 v35, 20, v35
	v_and_b32_e32 v36, 0x80000000, v36
	v_lshl_add_u32 v34, v34, 23, v39
	v_or3_b32 v39, v36, v34, v35
.LBB384_122:
	s_or_b64 exec, exec, s[22:23]
.LBB384_123:
	s_or_b64 exec, exec, s[20:21]
.LBB384_124:
	s_or_b64 exec, exec, s[10:11]
	s_movk_i32 s2, 0xff
	v_and_b32_sdwa v35, v30, s2 dst_sel:DWORD dst_unused:UNUSED_PAD src0_sel:WORD_1 src1_sel:DWORD
	v_lshrrev_b32_e32 v34, 16, v30
	v_cmp_ne_u16_e64 s[2:3], 0, v35
	s_and_saveexec_b64 s[10:11], s[2:3]
	s_cbranch_execz .LBB384_130
; %bb.125:
	s_movk_i32 s2, 0x80
	v_cmp_ne_u16_e64 s[2:3], s2, v35
	v_bfrev_b32_e32 v37, 1
	s_and_saveexec_b64 s[20:21], s[2:3]
	s_cbranch_execz .LBB384_129
; %bb.126:
	v_bfe_u32 v35, v30, 16, 7
	s_movk_i32 s2, 0x7f
	v_cmp_ne_u32_e64 s[2:3], s2, v35
	v_mov_b32_e32 v37, 0x7f800001
	s_and_saveexec_b64 s[22:23], s[2:3]
	s_cbranch_execz .LBB384_128
; %bb.127:
	v_and_b32_e32 v40, 7, v34
	v_ffbh_u32_e32 v36, v40
	v_min_u32_e32 v46, 32, v36
	v_subrev_u32_e32 v36, 28, v46
	v_lshlrev_b64 v[36:37], v36, v[34:35]
	v_and_b32_e32 v36, 7, v36
	v_cmp_gt_u32_e64 s[2:3], 8, v35
	v_lshrrev_b32_e32 v41, 3, v35
	v_sub_u32_e32 v34, 29, v46
	v_cndmask_b32_e64 v35, v40, v36, s[2:3]
	v_mov_b32_e32 v36, 24
	v_cndmask_b32_e64 v34, v41, v34, s[2:3]
	v_lshlrev_b32_sdwa v36, v36, v30 dst_sel:DWORD dst_unused:UNUSED_PAD src0_sel:DWORD src1_sel:WORD_1
	v_bfrev_b32_e32 v37, 60
	v_lshlrev_b32_e32 v35, 20, v35
	v_and_b32_e32 v36, 0x80000000, v36
	v_lshl_add_u32 v34, v34, 23, v37
	v_or3_b32 v37, v36, v34, v35
.LBB384_128:
	s_or_b64 exec, exec, s[22:23]
.LBB384_129:
	s_or_b64 exec, exec, s[20:21]
.LBB384_130:
	s_or_b64 exec, exec, s[10:11]
	s_mov_b32 s2, 0xffffff
	v_cmp_lt_u32_e64 s[2:3], s2, v30
	v_mov_b32_e32 v35, 0
	v_mov_b32_e32 v40, 0
	s_and_saveexec_b64 s[10:11], s[2:3]
	s_cbranch_execz .LBB384_136
; %bb.131:
	v_lshrrev_b32_e32 v34, 24, v30
	s_movk_i32 s2, 0x80
	v_cmp_ne_u32_e64 s[2:3], s2, v34
	v_bfrev_b32_e32 v40, 1
	s_and_saveexec_b64 s[20:21], s[2:3]
	s_cbranch_execz .LBB384_135
; %bb.132:
	v_bfe_u32 v36, v30, 24, 7
	s_movk_i32 s2, 0x7f
	v_cmp_ne_u32_e64 s[2:3], s2, v36
	v_mov_b32_e32 v40, 0x7f800001
	s_and_saveexec_b64 s[22:23], s[2:3]
	s_cbranch_execz .LBB384_134
; %bb.133:
	v_and_b32_e32 v46, 7, v34
	v_ffbh_u32_e32 v40, v46
	v_min_u32_e32 v48, 32, v40
	v_subrev_u32_e32 v40, 28, v48
	v_lshlrev_b64 v[40:41], v40, v[34:35]
	v_lshrrev_b32_e32 v47, 3, v36
	v_sub_u32_e32 v41, 29, v48
	v_and_b32_e32 v40, 7, v40
	v_cmp_gt_u32_e64 s[2:3], 8, v36
	v_cndmask_b32_e64 v36, v47, v41, s[2:3]
	v_cndmask_b32_e64 v40, v46, v40, s[2:3]
	v_lshlrev_b32_e32 v34, 24, v34
	v_bfrev_b32_e32 v41, 60
	v_lshlrev_b32_e32 v40, 20, v40
	v_and_b32_e32 v34, 0x80000000, v34
	v_lshl_add_u32 v36, v36, 23, v41
	v_or3_b32 v40, v34, v36, v40
.LBB384_134:
	s_or_b64 exec, exec, s[22:23]
.LBB384_135:
	s_or_b64 exec, exec, s[20:21]
.LBB384_136:
	s_or_b64 exec, exec, s[10:11]
	v_mov_b32_e32 v34, v31
	v_cmp_ne_u16_sdwa s[2:3], v31, v35 src0_sel:BYTE_0 src1_sel:DWORD
	s_and_saveexec_b64 s[10:11], s[2:3]
	s_cbranch_execz .LBB384_142
; %bb.137:
	s_movk_i32 s2, 0x80
	v_cmp_ne_u16_sdwa s[2:3], v31, s2 src0_sel:BYTE_0 src1_sel:DWORD
	v_bfrev_b32_e32 v36, 1
	s_and_saveexec_b64 s[20:21], s[2:3]
	s_cbranch_execz .LBB384_141
; %bb.138:
	s_movk_i32 s2, 0x7f
	v_and_b32_e32 v41, 0x7f, v31
	v_cmp_ne_u32_e64 s[2:3], s2, v41
	v_mov_b32_e32 v36, 0x7f800001
	s_and_saveexec_b64 s[22:23], s[2:3]
	s_cbranch_execz .LBB384_140
; %bb.139:
	v_and_b32_e32 v36, 7, v31
	v_ffbh_u32_e32 v36, v36
	v_min_u32_e32 v36, 32, v36
	v_subrev_u32_e32 v47, 28, v36
	v_cmp_gt_u32_e64 s[2:3], 8, v41
	v_lshrrev_b32_e32 v46, 3, v41
	v_sub_u32_e32 v36, 29, v36
	v_cndmask_b32_e64 v41, 0, v47, s[2:3]
	v_cndmask_b32_e64 v36, v46, v36, s[2:3]
	v_lshlrev_b64 v[46:47], v41, v[34:35]
	v_lshlrev_b32_e32 v35, 20, v46
	v_lshlrev_b32_e32 v41, 24, v34
	v_bfrev_b32_e32 v46, 60
	v_and_b32_e32 v35, 0x700000, v35
	v_and_b32_e32 v41, 0x80000000, v41
	v_lshl_add_u32 v36, v36, 23, v46
	v_or3_b32 v36, v41, v36, v35
.LBB384_140:
	s_or_b64 exec, exec, s[22:23]
.LBB384_141:
	s_or_b64 exec, exec, s[20:21]
	v_mov_b32_e32 v35, v36
.LBB384_142:
	s_or_b64 exec, exec, s[10:11]
	v_lshrrev_b16_e32 v36, 8, v34
	v_cmp_ne_u16_e64 s[2:3], 0, v36
	v_mov_b32_e32 v41, 0
	v_mov_b32_e32 v46, 0
	s_and_saveexec_b64 s[10:11], s[2:3]
	s_cbranch_execz .LBB384_148
; %bb.143:
	s_movk_i32 s2, 0x80
	v_cmp_ne_u16_e64 s[2:3], s2, v36
	v_bfrev_b32_e32 v46, 1
	s_and_saveexec_b64 s[20:21], s[2:3]
	s_cbranch_execz .LBB384_147
; %bb.144:
	s_movk_i32 s2, 0x7f
	v_and_b32_e32 v47, 0x7f, v36
	v_cmp_ne_u32_e64 s[2:3], s2, v47
	v_mov_b32_e32 v46, 0x7f800001
	s_and_saveexec_b64 s[22:23], s[2:3]
	s_cbranch_execz .LBB384_146
; %bb.145:
	v_and_b32_e32 v46, 7, v36
	v_ffbh_u32_e32 v48, v46
	v_min_u32_e32 v51, 32, v48
	v_subrev_u32_e32 v48, 28, v51
	v_lshlrev_b64 v[48:49], v48, v[36:37]
	v_lshrrev_b32_e32 v50, 3, v47
	v_sub_u32_e32 v36, 29, v51
	v_and_b32_e32 v48, 7, v48
	v_cmp_gt_u32_e64 s[2:3], 8, v47
	v_cndmask_b32_e64 v36, v50, v36, s[2:3]
	v_cndmask_b32_e64 v46, v46, v48, s[2:3]
	v_lshlrev_b32_e32 v34, 16, v34
	v_bfrev_b32_e32 v47, 60
	v_lshlrev_b32_e32 v46, 20, v46
	v_and_b32_e32 v34, 0x80000000, v34
	v_lshl_add_u32 v36, v36, 23, v47
	v_or3_b32 v46, v34, v36, v46
.LBB384_146:
	s_or_b64 exec, exec, s[22:23]
.LBB384_147:
	s_or_b64 exec, exec, s[20:21]
.LBB384_148:
	s_or_b64 exec, exec, s[10:11]
	s_movk_i32 s2, 0xff
	v_and_b32_sdwa v36, v31, s2 dst_sel:DWORD dst_unused:UNUSED_PAD src0_sel:WORD_1 src1_sel:DWORD
	v_lshrrev_b32_e32 v34, 16, v31
	v_cmp_ne_u16_e64 s[2:3], 0, v36
	s_and_saveexec_b64 s[10:11], s[2:3]
	s_cbranch_execz .LBB384_154
; %bb.149:
	s_movk_i32 s2, 0x80
	v_cmp_ne_u16_e64 s[2:3], s2, v36
	v_bfrev_b32_e32 v41, 1
	s_and_saveexec_b64 s[20:21], s[2:3]
	s_cbranch_execz .LBB384_153
; %bb.150:
	v_bfe_u32 v36, v31, 16, 7
	s_movk_i32 s2, 0x7f
	v_cmp_ne_u32_e64 s[2:3], s2, v36
	v_mov_b32_e32 v41, 0x7f800001
	s_and_saveexec_b64 s[22:23], s[2:3]
	s_cbranch_execz .LBB384_152
; %bb.151:
	v_and_b32_e32 v41, 7, v34
	v_ffbh_u32_e32 v48, v41
	v_min_u32_e32 v50, 32, v48
	v_subrev_u32_e32 v48, 28, v50
	v_lshlrev_b64 v[48:49], v48, v[34:35]
	v_and_b32_e32 v48, 7, v48
	v_cmp_gt_u32_e64 s[2:3], 8, v36
	v_lshrrev_b32_e32 v47, 3, v36
	v_sub_u32_e32 v34, 29, v50
	v_cndmask_b32_e64 v36, v41, v48, s[2:3]
	v_mov_b32_e32 v41, 24
	v_cndmask_b32_e64 v34, v47, v34, s[2:3]
	v_lshlrev_b32_sdwa v41, v41, v31 dst_sel:DWORD dst_unused:UNUSED_PAD src0_sel:DWORD src1_sel:WORD_1
	v_bfrev_b32_e32 v47, 60
	v_lshlrev_b32_e32 v36, 20, v36
	v_and_b32_e32 v41, 0x80000000, v41
	v_lshl_add_u32 v34, v34, 23, v47
	v_or3_b32 v41, v41, v34, v36
.LBB384_152:
	s_or_b64 exec, exec, s[22:23]
.LBB384_153:
	s_or_b64 exec, exec, s[20:21]
.LBB384_154:
	s_or_b64 exec, exec, s[10:11]
	s_mov_b32 s2, -1
	s_mov_b32 s3, 0xffffff
	v_cmp_lt_u64_e64 s[2:3], s[2:3], v[30:31]
	v_mov_b32_e32 v36, 0
	v_mov_b32_e32 v34, 0
	s_and_saveexec_b64 s[10:11], s[2:3]
	s_cbranch_execz .LBB384_160
; %bb.155:
	v_lshrrev_b32_e32 v30, 24, v31
	s_movk_i32 s2, 0x80
	v_cmp_ne_u32_e64 s[2:3], s2, v30
	v_bfrev_b32_e32 v34, 1
	s_and_saveexec_b64 s[20:21], s[2:3]
	s_cbranch_execz .LBB384_159
; %bb.156:
	v_bfe_u32 v31, v31, 24, 7
	s_movk_i32 s2, 0x7f
	v_cmp_ne_u32_e64 s[2:3], s2, v31
	v_mov_b32_e32 v34, 0x7f800001
	s_and_saveexec_b64 s[22:23], s[2:3]
	s_cbranch_execz .LBB384_158
; %bb.157:
	v_and_b32_e32 v34, 7, v30
	v_ffbh_u32_e32 v48, v34
	v_min_u32_e32 v50, 32, v48
	v_subrev_u32_e32 v48, 28, v50
	v_lshlrev_b64 v[48:49], v48, v[30:31]
	v_lshrrev_b32_e32 v47, 3, v31
	v_sub_u32_e32 v49, 29, v50
	v_and_b32_e32 v48, 7, v48
	v_cmp_gt_u32_e64 s[2:3], 8, v31
	v_cndmask_b32_e64 v31, v47, v49, s[2:3]
	v_cndmask_b32_e64 v34, v34, v48, s[2:3]
	v_lshlrev_b32_e32 v30, 24, v30
	v_bfrev_b32_e32 v47, 60
	v_lshlrev_b32_e32 v34, 20, v34
	v_and_b32_e32 v30, 0x80000000, v30
	v_lshl_add_u32 v31, v31, 23, v47
	v_or3_b32 v34, v30, v31, v34
.LBB384_158:
	s_or_b64 exec, exec, s[22:23]
.LBB384_159:
	s_or_b64 exec, exec, s[20:21]
.LBB384_160:
	s_or_b64 exec, exec, s[10:11]
	v_cvt_pkrtz_f16_f32 v30, v38, v39
	v_cvt_pkrtz_f16_f32 v31, v37, v40
	;; [unrolled: 1-line block ×4, first 2 shown]
	v_mfma_f32_4x4x4f16 a[0:3], v[18:19], v[30:31], a[0:3] cbsz:4 abid:2
	v_cmp_ne_u16_sdwa s[2:3], v32, v36 src0_sel:BYTE_0 src1_sel:DWORD
	v_mfma_f32_4x4x4f16 a[0:3], v[20:21], v[38:39], a[0:3] cbsz:4 abid:2
	s_and_saveexec_b64 s[10:11], s[2:3]
	s_cbranch_execz .LBB384_166
; %bb.161:
	s_movk_i32 s2, 0x80
	v_cmp_ne_u16_sdwa s[2:3], v32, s2 src0_sel:BYTE_0 src1_sel:DWORD
	v_bfrev_b32_e32 v36, 1
	s_and_saveexec_b64 s[20:21], s[2:3]
	s_cbranch_execz .LBB384_165
; %bb.162:
	s_movk_i32 s2, 0x7f
	v_and_b32_e32 v30, 0x7f, v32
	v_cmp_ne_u32_e64 s[2:3], s2, v30
	v_mov_b32_e32 v36, 0x7f800001
	s_and_saveexec_b64 s[22:23], s[2:3]
	s_cbranch_execz .LBB384_164
; %bb.163:
	v_and_b32_e32 v31, 7, v32
	v_ffbh_u32_e32 v31, v31
	v_min_u32_e32 v31, 32, v31
	v_subrev_u32_e32 v35, 28, v31
	v_cmp_gt_u32_e64 s[2:3], 8, v30
	v_lshrrev_b32_e32 v34, 3, v30
	v_sub_u32_e32 v31, 29, v31
	v_cndmask_b32_e64 v30, 0, v35, s[2:3]
	v_cndmask_b32_e64 v34, v34, v31, s[2:3]
	v_lshlrev_b64 v[30:31], v30, v[32:33]
	v_lshlrev_b32_e32 v30, 20, v30
	v_lshlrev_b32_e32 v31, 24, v32
	v_bfrev_b32_e32 v35, 60
	v_and_b32_e32 v30, 0x700000, v30
	v_and_b32_e32 v31, 0x80000000, v31
	v_lshl_add_u32 v34, v34, 23, v35
	v_or3_b32 v36, v31, v34, v30
.LBB384_164:
	s_or_b64 exec, exec, s[22:23]
.LBB384_165:
	s_or_b64 exec, exec, s[20:21]
.LBB384_166:
	s_or_b64 exec, exec, s[10:11]
	v_lshrrev_b16_e32 v30, 8, v32
	v_cmp_ne_u16_e64 s[2:3], 0, v30
	v_mov_b32_e32 v35, 0
	v_mov_b32_e32 v37, 0
	s_and_saveexec_b64 s[10:11], s[2:3]
	s_cbranch_execz .LBB384_172
; %bb.167:
	s_movk_i32 s2, 0x80
	v_cmp_ne_u16_e64 s[2:3], s2, v30
	v_bfrev_b32_e32 v37, 1
	s_and_saveexec_b64 s[20:21], s[2:3]
	s_cbranch_execz .LBB384_171
; %bb.168:
	s_movk_i32 s2, 0x7f
	v_and_b32_e32 v31, 0x7f, v30
	v_cmp_ne_u32_e64 s[2:3], s2, v31
	v_mov_b32_e32 v37, 0x7f800001
	s_and_saveexec_b64 s[22:23], s[2:3]
	s_cbranch_execz .LBB384_170
; %bb.169:
	v_and_b32_e32 v34, 7, v30
	v_ffbh_u32_e32 v38, v34
	v_min_u32_e32 v40, 32, v38
	v_subrev_u32_e32 v38, 28, v40
	v_lshlrev_b64 v[38:39], v38, v[30:31]
	v_lshrrev_b32_e32 v37, 3, v31
	v_sub_u32_e32 v30, 29, v40
	v_and_b32_e32 v38, 7, v38
	v_cmp_gt_u32_e64 s[2:3], 8, v31
	v_cndmask_b32_e64 v30, v37, v30, s[2:3]
	v_cndmask_b32_e64 v31, v34, v38, s[2:3]
	v_lshlrev_b32_e32 v34, 16, v32
	v_bfrev_b32_e32 v37, 60
	v_lshlrev_b32_e32 v31, 20, v31
	v_and_b32_e32 v34, 0x80000000, v34
	v_lshl_add_u32 v30, v30, 23, v37
	v_or3_b32 v37, v34, v30, v31
.LBB384_170:
	s_or_b64 exec, exec, s[22:23]
.LBB384_171:
	s_or_b64 exec, exec, s[20:21]
.LBB384_172:
	s_or_b64 exec, exec, s[10:11]
	s_movk_i32 s2, 0xff
	v_and_b32_sdwa v31, v32, s2 dst_sel:DWORD dst_unused:UNUSED_PAD src0_sel:WORD_1 src1_sel:DWORD
	v_lshrrev_b32_e32 v30, 16, v32
	v_cmp_ne_u16_e64 s[2:3], 0, v31
	s_and_saveexec_b64 s[10:11], s[2:3]
	s_cbranch_execz .LBB384_178
; %bb.173:
	s_movk_i32 s2, 0x80
	v_cmp_ne_u16_e64 s[2:3], s2, v31
	v_bfrev_b32_e32 v35, 1
	s_and_saveexec_b64 s[20:21], s[2:3]
	s_cbranch_execz .LBB384_177
; %bb.174:
	v_bfe_u32 v31, v32, 16, 7
	s_movk_i32 s2, 0x7f
	v_cmp_ne_u32_e64 s[2:3], s2, v31
	v_mov_b32_e32 v35, 0x7f800001
	s_and_saveexec_b64 s[22:23], s[2:3]
	s_cbranch_execz .LBB384_176
; %bb.175:
	v_and_b32_e32 v38, 7, v30
	v_ffbh_u32_e32 v34, v38
	v_min_u32_e32 v40, 32, v34
	v_subrev_u32_e32 v34, 28, v40
	v_lshlrev_b64 v[34:35], v34, v[30:31]
	v_and_b32_e32 v34, 7, v34
	v_cmp_gt_u32_e64 s[2:3], 8, v31
	v_lshrrev_b32_e32 v39, 3, v31
	v_sub_u32_e32 v30, 29, v40
	v_cndmask_b32_e64 v31, v38, v34, s[2:3]
	v_mov_b32_e32 v34, 24
	v_cndmask_b32_e64 v30, v39, v30, s[2:3]
	v_lshlrev_b32_sdwa v34, v34, v32 dst_sel:DWORD dst_unused:UNUSED_PAD src0_sel:DWORD src1_sel:WORD_1
	v_bfrev_b32_e32 v35, 60
	v_lshlrev_b32_e32 v31, 20, v31
	v_and_b32_e32 v34, 0x80000000, v34
	v_lshl_add_u32 v30, v30, 23, v35
	v_or3_b32 v35, v34, v30, v31
.LBB384_176:
	s_or_b64 exec, exec, s[22:23]
.LBB384_177:
	s_or_b64 exec, exec, s[20:21]
.LBB384_178:
	s_or_b64 exec, exec, s[10:11]
	s_mov_b32 s2, 0xffffff
	v_cmp_lt_u32_e64 s[2:3], s2, v32
	v_mov_b32_e32 v31, 0
	v_mov_b32_e32 v38, 0
	s_and_saveexec_b64 s[10:11], s[2:3]
	s_cbranch_execz .LBB384_184
; %bb.179:
	v_lshrrev_b32_e32 v30, 24, v32
	s_movk_i32 s2, 0x80
	v_cmp_ne_u32_e64 s[2:3], s2, v30
	v_bfrev_b32_e32 v38, 1
	s_and_saveexec_b64 s[20:21], s[2:3]
	s_cbranch_execz .LBB384_183
; %bb.180:
	v_bfe_u32 v34, v32, 24, 7
	s_movk_i32 s2, 0x7f
	v_cmp_ne_u32_e64 s[2:3], s2, v34
	v_mov_b32_e32 v38, 0x7f800001
	s_and_saveexec_b64 s[22:23], s[2:3]
	s_cbranch_execz .LBB384_182
; %bb.181:
	v_and_b32_e32 v40, 7, v30
	v_ffbh_u32_e32 v38, v40
	v_min_u32_e32 v46, 32, v38
	v_subrev_u32_e32 v38, 28, v46
	v_lshlrev_b64 v[38:39], v38, v[30:31]
	v_lshrrev_b32_e32 v41, 3, v34
	v_sub_u32_e32 v39, 29, v46
	v_and_b32_e32 v38, 7, v38
	v_cmp_gt_u32_e64 s[2:3], 8, v34
	v_cndmask_b32_e64 v34, v41, v39, s[2:3]
	v_cndmask_b32_e64 v38, v40, v38, s[2:3]
	v_lshlrev_b32_e32 v30, 24, v30
	v_bfrev_b32_e32 v39, 60
	v_lshlrev_b32_e32 v38, 20, v38
	v_and_b32_e32 v30, 0x80000000, v30
	v_lshl_add_u32 v34, v34, 23, v39
	v_or3_b32 v38, v30, v34, v38
.LBB384_182:
	s_or_b64 exec, exec, s[22:23]
.LBB384_183:
	s_or_b64 exec, exec, s[20:21]
.LBB384_184:
	s_or_b64 exec, exec, s[10:11]
	v_mov_b32_e32 v30, v33
	v_cmp_ne_u16_sdwa s[2:3], v33, v31 src0_sel:BYTE_0 src1_sel:DWORD
	s_and_saveexec_b64 s[10:11], s[2:3]
	s_cbranch_execz .LBB384_190
; %bb.185:
	s_movk_i32 s2, 0x80
	v_cmp_ne_u16_sdwa s[2:3], v33, s2 src0_sel:BYTE_0 src1_sel:DWORD
	v_bfrev_b32_e32 v34, 1
	s_and_saveexec_b64 s[20:21], s[2:3]
	s_cbranch_execz .LBB384_189
; %bb.186:
	s_movk_i32 s2, 0x7f
	v_and_b32_e32 v39, 0x7f, v33
	v_cmp_ne_u32_e64 s[2:3], s2, v39
	v_mov_b32_e32 v34, 0x7f800001
	s_and_saveexec_b64 s[22:23], s[2:3]
	s_cbranch_execz .LBB384_188
; %bb.187:
	v_and_b32_e32 v34, 7, v33
	v_ffbh_u32_e32 v34, v34
	v_min_u32_e32 v34, 32, v34
	v_subrev_u32_e32 v41, 28, v34
	v_cmp_gt_u32_e64 s[2:3], 8, v39
	v_lshrrev_b32_e32 v40, 3, v39
	v_sub_u32_e32 v34, 29, v34
	v_cndmask_b32_e64 v39, 0, v41, s[2:3]
	v_cndmask_b32_e64 v34, v40, v34, s[2:3]
	v_lshlrev_b64 v[40:41], v39, v[30:31]
	v_lshlrev_b32_e32 v31, 20, v40
	v_lshlrev_b32_e32 v39, 24, v30
	v_bfrev_b32_e32 v40, 60
	v_and_b32_e32 v31, 0x700000, v31
	v_and_b32_e32 v39, 0x80000000, v39
	v_lshl_add_u32 v34, v34, 23, v40
	v_or3_b32 v34, v39, v34, v31
.LBB384_188:
	s_or_b64 exec, exec, s[22:23]
.LBB384_189:
	s_or_b64 exec, exec, s[20:21]
	v_mov_b32_e32 v31, v34
.LBB384_190:
	s_or_b64 exec, exec, s[10:11]
	v_lshrrev_b16_e32 v34, 8, v30
	v_cmp_ne_u16_e64 s[2:3], 0, v34
	v_mov_b32_e32 v39, 0
	v_mov_b32_e32 v40, 0
	s_and_saveexec_b64 s[10:11], s[2:3]
	s_cbranch_execz .LBB384_196
; %bb.191:
	s_movk_i32 s2, 0x80
	v_cmp_ne_u16_e64 s[2:3], s2, v34
	v_bfrev_b32_e32 v40, 1
	s_and_saveexec_b64 s[20:21], s[2:3]
	s_cbranch_execz .LBB384_195
; %bb.192:
	s_movk_i32 s2, 0x7f
	v_and_b32_e32 v41, 0x7f, v34
	v_cmp_ne_u32_e64 s[2:3], s2, v41
	v_mov_b32_e32 v40, 0x7f800001
	s_and_saveexec_b64 s[22:23], s[2:3]
	s_cbranch_execz .LBB384_194
; %bb.193:
	v_and_b32_e32 v40, 7, v34
	v_ffbh_u32_e32 v46, v40
	v_min_u32_e32 v49, 32, v46
	v_subrev_u32_e32 v46, 28, v49
	v_lshlrev_b64 v[46:47], v46, v[34:35]
	v_lshrrev_b32_e32 v48, 3, v41
	v_sub_u32_e32 v34, 29, v49
	v_and_b32_e32 v46, 7, v46
	v_cmp_gt_u32_e64 s[2:3], 8, v41
	v_cndmask_b32_e64 v34, v48, v34, s[2:3]
	v_cndmask_b32_e64 v40, v40, v46, s[2:3]
	v_lshlrev_b32_e32 v30, 16, v30
	v_bfrev_b32_e32 v41, 60
	v_lshlrev_b32_e32 v40, 20, v40
	v_and_b32_e32 v30, 0x80000000, v30
	v_lshl_add_u32 v34, v34, 23, v41
	v_or3_b32 v40, v30, v34, v40
.LBB384_194:
	s_or_b64 exec, exec, s[22:23]
.LBB384_195:
	s_or_b64 exec, exec, s[20:21]
.LBB384_196:
	s_or_b64 exec, exec, s[10:11]
	s_movk_i32 s2, 0xff
	v_and_b32_sdwa v34, v33, s2 dst_sel:DWORD dst_unused:UNUSED_PAD src0_sel:WORD_1 src1_sel:DWORD
	v_lshrrev_b32_e32 v30, 16, v33
	v_cmp_ne_u16_e64 s[2:3], 0, v34
	s_and_saveexec_b64 s[10:11], s[2:3]
	s_cbranch_execz .LBB384_202
; %bb.197:
	s_movk_i32 s2, 0x80
	v_cmp_ne_u16_e64 s[2:3], s2, v34
	v_bfrev_b32_e32 v39, 1
	s_and_saveexec_b64 s[20:21], s[2:3]
	s_cbranch_execz .LBB384_201
; %bb.198:
	v_bfe_u32 v34, v33, 16, 7
	s_movk_i32 s2, 0x7f
	v_cmp_ne_u32_e64 s[2:3], s2, v34
	v_mov_b32_e32 v39, 0x7f800001
	s_and_saveexec_b64 s[22:23], s[2:3]
	s_cbranch_execz .LBB384_200
; %bb.199:
	v_and_b32_e32 v39, 7, v30
	v_ffbh_u32_e32 v46, v39
	v_min_u32_e32 v48, 32, v46
	v_subrev_u32_e32 v46, 28, v48
	v_lshlrev_b64 v[46:47], v46, v[30:31]
	v_and_b32_e32 v46, 7, v46
	v_cmp_gt_u32_e64 s[2:3], 8, v34
	v_lshrrev_b32_e32 v41, 3, v34
	v_sub_u32_e32 v30, 29, v48
	v_cndmask_b32_e64 v34, v39, v46, s[2:3]
	v_mov_b32_e32 v39, 24
	v_cndmask_b32_e64 v30, v41, v30, s[2:3]
	v_lshlrev_b32_sdwa v39, v39, v33 dst_sel:DWORD dst_unused:UNUSED_PAD src0_sel:DWORD src1_sel:WORD_1
	v_bfrev_b32_e32 v41, 60
	v_lshlrev_b32_e32 v34, 20, v34
	v_and_b32_e32 v39, 0x80000000, v39
	v_lshl_add_u32 v30, v30, 23, v41
	v_or3_b32 v39, v39, v30, v34
.LBB384_200:
	s_or_b64 exec, exec, s[22:23]
.LBB384_201:
	s_or_b64 exec, exec, s[20:21]
.LBB384_202:
	s_or_b64 exec, exec, s[10:11]
	s_mov_b32 s2, -1
	s_mov_b32 s3, 0xffffff
	v_cmp_lt_u64_e64 s[2:3], s[2:3], v[32:33]
	v_mov_b32_e32 v34, 0
	v_mov_b32_e32 v32, 0
	s_and_saveexec_b64 s[10:11], s[2:3]
	s_cbranch_execz .LBB384_208
; %bb.203:
	v_lshrrev_b32_e32 v30, 24, v33
	s_movk_i32 s2, 0x80
	v_cmp_ne_u32_e64 s[2:3], s2, v30
	v_bfrev_b32_e32 v32, 1
	s_and_saveexec_b64 s[20:21], s[2:3]
	s_cbranch_execz .LBB384_207
; %bb.204:
	v_bfe_u32 v33, v33, 24, 7
	s_movk_i32 s2, 0x7f
	v_cmp_ne_u32_e64 s[2:3], s2, v33
	v_mov_b32_e32 v32, 0x7f800001
	s_and_saveexec_b64 s[22:23], s[2:3]
	s_cbranch_execz .LBB384_206
; %bb.205:
	v_and_b32_e32 v32, 7, v30
	v_ffbh_u32_e32 v46, v32
	v_min_u32_e32 v48, 32, v46
	v_subrev_u32_e32 v46, 28, v48
	v_lshlrev_b64 v[46:47], v46, v[30:31]
	v_lshrrev_b32_e32 v41, 3, v33
	v_sub_u32_e32 v47, 29, v48
	v_and_b32_e32 v46, 7, v46
	v_cmp_gt_u32_e64 s[2:3], 8, v33
	v_cndmask_b32_e64 v33, v41, v47, s[2:3]
	v_cndmask_b32_e64 v32, v32, v46, s[2:3]
	v_lshlrev_b32_e32 v30, 24, v30
	v_bfrev_b32_e32 v41, 60
	v_lshlrev_b32_e32 v32, 20, v32
	v_and_b32_e32 v30, 0x80000000, v30
	v_lshl_add_u32 v33, v33, 23, v41
	v_or3_b32 v32, v30, v33, v32
.LBB384_206:
	s_or_b64 exec, exec, s[22:23]
.LBB384_207:
	s_or_b64 exec, exec, s[20:21]
.LBB384_208:
	s_or_b64 exec, exec, s[10:11]
	v_cvt_pkrtz_f16_f32 v36, v36, v37
	v_cvt_pkrtz_f16_f32 v37, v35, v38
	;; [unrolled: 1-line block ×4, first 2 shown]
	v_mfma_f32_4x4x4f16 a[0:3], v[18:19], v[36:37], a[0:3] cbsz:4 abid:3
	s_waitcnt vmcnt(5)
	v_cmp_ne_u16_sdwa s[2:3], v26, v34 src0_sel:BYTE_0 src1_sel:DWORD
	v_mfma_f32_4x4x4f16 a[0:3], v[20:21], v[30:31], a[0:3] cbsz:4 abid:3
	s_and_saveexec_b64 s[10:11], s[2:3]
	s_cbranch_execz .LBB384_214
; %bb.209:
	s_movk_i32 s2, 0x80
	v_cmp_ne_u16_sdwa s[2:3], v26, s2 src0_sel:BYTE_0 src1_sel:DWORD
	v_bfrev_b32_e32 v34, 1
	s_and_saveexec_b64 s[20:21], s[2:3]
	s_cbranch_execz .LBB384_213
; %bb.210:
	s_movk_i32 s2, 0x7f
	v_and_b32_e32 v30, 0x7f, v26
	v_cmp_ne_u32_e64 s[2:3], s2, v30
	v_mov_b32_e32 v34, 0x7f800001
	s_and_saveexec_b64 s[22:23], s[2:3]
	s_cbranch_execz .LBB384_212
; %bb.211:
	v_and_b32_e32 v31, 7, v26
	v_ffbh_u32_e32 v31, v31
	v_min_u32_e32 v31, 32, v31
	v_subrev_u32_e32 v33, 28, v31
	v_cmp_gt_u32_e64 s[2:3], 8, v30
	v_lshrrev_b32_e32 v32, 3, v30
	v_sub_u32_e32 v31, 29, v31
	v_cndmask_b32_e64 v30, 0, v33, s[2:3]
	v_cndmask_b32_e64 v32, v32, v31, s[2:3]
	v_lshlrev_b64 v[30:31], v30, v[26:27]
	v_lshlrev_b32_e32 v30, 20, v30
	v_lshlrev_b32_e32 v31, 24, v26
	v_bfrev_b32_e32 v33, 60
	v_and_b32_e32 v30, 0x700000, v30
	v_and_b32_e32 v31, 0x80000000, v31
	v_lshl_add_u32 v32, v32, 23, v33
	v_or3_b32 v34, v31, v32, v30
.LBB384_212:
	s_or_b64 exec, exec, s[22:23]
.LBB384_213:
	s_or_b64 exec, exec, s[20:21]
.LBB384_214:
	s_or_b64 exec, exec, s[10:11]
	v_lshrrev_b16_e32 v30, 8, v26
	v_cmp_ne_u16_e64 s[2:3], 0, v30
	v_mov_b32_e32 v33, 0
	v_mov_b32_e32 v35, 0
	s_and_saveexec_b64 s[10:11], s[2:3]
	s_cbranch_execz .LBB384_220
; %bb.215:
	s_movk_i32 s2, 0x80
	v_cmp_ne_u16_e64 s[2:3], s2, v30
	v_bfrev_b32_e32 v35, 1
	s_and_saveexec_b64 s[20:21], s[2:3]
	s_cbranch_execz .LBB384_219
; %bb.216:
	s_movk_i32 s2, 0x7f
	v_and_b32_e32 v31, 0x7f, v30
	v_cmp_ne_u32_e64 s[2:3], s2, v31
	v_mov_b32_e32 v35, 0x7f800001
	s_and_saveexec_b64 s[22:23], s[2:3]
	s_cbranch_execz .LBB384_218
; %bb.217:
	v_and_b32_e32 v32, 7, v30
	v_ffbh_u32_e32 v36, v32
	v_min_u32_e32 v38, 32, v36
	v_subrev_u32_e32 v36, 28, v38
	v_lshlrev_b64 v[36:37], v36, v[30:31]
	v_lshrrev_b32_e32 v35, 3, v31
	v_sub_u32_e32 v30, 29, v38
	v_and_b32_e32 v36, 7, v36
	v_cmp_gt_u32_e64 s[2:3], 8, v31
	v_cndmask_b32_e64 v30, v35, v30, s[2:3]
	v_cndmask_b32_e64 v31, v32, v36, s[2:3]
	v_lshlrev_b32_e32 v32, 16, v26
	v_bfrev_b32_e32 v35, 60
	v_lshlrev_b32_e32 v31, 20, v31
	v_and_b32_e32 v32, 0x80000000, v32
	v_lshl_add_u32 v30, v30, 23, v35
	v_or3_b32 v35, v32, v30, v31
.LBB384_218:
	s_or_b64 exec, exec, s[22:23]
.LBB384_219:
	s_or_b64 exec, exec, s[20:21]
.LBB384_220:
	s_or_b64 exec, exec, s[10:11]
	s_movk_i32 s2, 0xff
	v_and_b32_sdwa v31, v26, s2 dst_sel:DWORD dst_unused:UNUSED_PAD src0_sel:WORD_1 src1_sel:DWORD
	v_lshrrev_b32_e32 v30, 16, v26
	v_cmp_ne_u16_e64 s[2:3], 0, v31
	s_and_saveexec_b64 s[10:11], s[2:3]
	s_cbranch_execz .LBB384_226
; %bb.221:
	s_movk_i32 s2, 0x80
	v_cmp_ne_u16_e64 s[2:3], s2, v31
	v_bfrev_b32_e32 v33, 1
	s_and_saveexec_b64 s[20:21], s[2:3]
	s_cbranch_execz .LBB384_225
; %bb.222:
	v_bfe_u32 v31, v26, 16, 7
	s_movk_i32 s2, 0x7f
	v_cmp_ne_u32_e64 s[2:3], s2, v31
	v_mov_b32_e32 v33, 0x7f800001
	s_and_saveexec_b64 s[22:23], s[2:3]
	s_cbranch_execz .LBB384_224
; %bb.223:
	v_and_b32_e32 v36, 7, v30
	v_ffbh_u32_e32 v32, v36
	v_min_u32_e32 v38, 32, v32
	v_subrev_u32_e32 v32, 28, v38
	v_lshlrev_b64 v[32:33], v32, v[30:31]
	v_and_b32_e32 v32, 7, v32
	v_cmp_gt_u32_e64 s[2:3], 8, v31
	v_lshrrev_b32_e32 v37, 3, v31
	v_sub_u32_e32 v30, 29, v38
	v_cndmask_b32_e64 v31, v36, v32, s[2:3]
	v_mov_b32_e32 v32, 24
	v_cndmask_b32_e64 v30, v37, v30, s[2:3]
	v_lshlrev_b32_sdwa v32, v32, v26 dst_sel:DWORD dst_unused:UNUSED_PAD src0_sel:DWORD src1_sel:WORD_1
	v_bfrev_b32_e32 v33, 60
	v_lshlrev_b32_e32 v31, 20, v31
	v_and_b32_e32 v32, 0x80000000, v32
	v_lshl_add_u32 v30, v30, 23, v33
	v_or3_b32 v33, v32, v30, v31
.LBB384_224:
	s_or_b64 exec, exec, s[22:23]
.LBB384_225:
	s_or_b64 exec, exec, s[20:21]
.LBB384_226:
	s_or_b64 exec, exec, s[10:11]
	s_mov_b32 s2, 0xffffff
	v_cmp_lt_u32_e64 s[2:3], s2, v26
	v_mov_b32_e32 v31, 0
	v_mov_b32_e32 v36, 0
	s_and_saveexec_b64 s[10:11], s[2:3]
	s_cbranch_execz .LBB384_232
; %bb.227:
	v_lshrrev_b32_e32 v30, 24, v26
	s_movk_i32 s2, 0x80
	v_cmp_ne_u32_e64 s[2:3], s2, v30
	v_bfrev_b32_e32 v36, 1
	s_and_saveexec_b64 s[20:21], s[2:3]
	s_cbranch_execz .LBB384_231
; %bb.228:
	v_bfe_u32 v32, v26, 24, 7
	s_movk_i32 s2, 0x7f
	v_cmp_ne_u32_e64 s[2:3], s2, v32
	v_mov_b32_e32 v36, 0x7f800001
	s_and_saveexec_b64 s[22:23], s[2:3]
	s_cbranch_execz .LBB384_230
; %bb.229:
	v_and_b32_e32 v38, 7, v30
	v_ffbh_u32_e32 v36, v38
	v_min_u32_e32 v40, 32, v36
	v_subrev_u32_e32 v36, 28, v40
	v_lshlrev_b64 v[36:37], v36, v[30:31]
	v_lshrrev_b32_e32 v39, 3, v32
	v_sub_u32_e32 v37, 29, v40
	v_and_b32_e32 v36, 7, v36
	v_cmp_gt_u32_e64 s[2:3], 8, v32
	v_cndmask_b32_e64 v32, v39, v37, s[2:3]
	v_cndmask_b32_e64 v36, v38, v36, s[2:3]
	v_lshlrev_b32_e32 v30, 24, v30
	v_bfrev_b32_e32 v37, 60
	v_lshlrev_b32_e32 v36, 20, v36
	v_and_b32_e32 v30, 0x80000000, v30
	v_lshl_add_u32 v32, v32, 23, v37
	v_or3_b32 v36, v30, v32, v36
.LBB384_230:
	s_or_b64 exec, exec, s[22:23]
.LBB384_231:
	s_or_b64 exec, exec, s[20:21]
.LBB384_232:
	s_or_b64 exec, exec, s[10:11]
	v_mov_b32_e32 v30, v27
	v_cmp_ne_u16_sdwa s[2:3], v27, v31 src0_sel:BYTE_0 src1_sel:DWORD
	s_and_saveexec_b64 s[10:11], s[2:3]
	s_cbranch_execz .LBB384_238
; %bb.233:
	s_movk_i32 s2, 0x80
	v_cmp_ne_u16_sdwa s[2:3], v27, s2 src0_sel:BYTE_0 src1_sel:DWORD
	v_bfrev_b32_e32 v32, 1
	s_and_saveexec_b64 s[20:21], s[2:3]
	s_cbranch_execz .LBB384_237
; %bb.234:
	s_movk_i32 s2, 0x7f
	v_and_b32_e32 v37, 0x7f, v27
	v_cmp_ne_u32_e64 s[2:3], s2, v37
	v_mov_b32_e32 v32, 0x7f800001
	s_and_saveexec_b64 s[22:23], s[2:3]
	s_cbranch_execz .LBB384_236
; %bb.235:
	v_and_b32_e32 v32, 7, v27
	v_ffbh_u32_e32 v32, v32
	v_min_u32_e32 v32, 32, v32
	v_subrev_u32_e32 v39, 28, v32
	v_cmp_gt_u32_e64 s[2:3], 8, v37
	v_lshrrev_b32_e32 v38, 3, v37
	v_sub_u32_e32 v32, 29, v32
	v_cndmask_b32_e64 v37, 0, v39, s[2:3]
	v_cndmask_b32_e64 v32, v38, v32, s[2:3]
	v_lshlrev_b64 v[38:39], v37, v[30:31]
	v_lshlrev_b32_e32 v31, 20, v38
	v_lshlrev_b32_e32 v37, 24, v30
	v_bfrev_b32_e32 v38, 60
	v_and_b32_e32 v31, 0x700000, v31
	v_and_b32_e32 v37, 0x80000000, v37
	v_lshl_add_u32 v32, v32, 23, v38
	v_or3_b32 v32, v37, v32, v31
.LBB384_236:
	s_or_b64 exec, exec, s[22:23]
.LBB384_237:
	s_or_b64 exec, exec, s[20:21]
	v_mov_b32_e32 v31, v32
.LBB384_238:
	s_or_b64 exec, exec, s[10:11]
	v_lshrrev_b16_e32 v32, 8, v30
	v_cmp_ne_u16_e64 s[2:3], 0, v32
	v_mov_b32_e32 v37, 0
	v_mov_b32_e32 v38, 0
	s_and_saveexec_b64 s[10:11], s[2:3]
	s_cbranch_execz .LBB384_244
; %bb.239:
	s_movk_i32 s2, 0x80
	v_cmp_ne_u16_e64 s[2:3], s2, v32
	v_bfrev_b32_e32 v38, 1
	s_and_saveexec_b64 s[20:21], s[2:3]
	s_cbranch_execz .LBB384_243
; %bb.240:
	s_movk_i32 s2, 0x7f
	v_and_b32_e32 v39, 0x7f, v32
	v_cmp_ne_u32_e64 s[2:3], s2, v39
	v_mov_b32_e32 v38, 0x7f800001
	s_and_saveexec_b64 s[22:23], s[2:3]
	s_cbranch_execz .LBB384_242
; %bb.241:
	v_and_b32_e32 v38, 7, v32
	v_ffbh_u32_e32 v40, v38
	v_min_u32_e32 v47, 32, v40
	v_subrev_u32_e32 v40, 28, v47
	v_lshlrev_b64 v[40:41], v40, v[32:33]
	v_lshrrev_b32_e32 v46, 3, v39
	v_sub_u32_e32 v32, 29, v47
	v_and_b32_e32 v40, 7, v40
	v_cmp_gt_u32_e64 s[2:3], 8, v39
	v_cndmask_b32_e64 v32, v46, v32, s[2:3]
	v_cndmask_b32_e64 v38, v38, v40, s[2:3]
	v_lshlrev_b32_e32 v30, 16, v30
	v_bfrev_b32_e32 v39, 60
	v_lshlrev_b32_e32 v38, 20, v38
	v_and_b32_e32 v30, 0x80000000, v30
	v_lshl_add_u32 v32, v32, 23, v39
	v_or3_b32 v38, v30, v32, v38
.LBB384_242:
	s_or_b64 exec, exec, s[22:23]
.LBB384_243:
	s_or_b64 exec, exec, s[20:21]
.LBB384_244:
	s_or_b64 exec, exec, s[10:11]
	s_movk_i32 s2, 0xff
	v_and_b32_sdwa v32, v27, s2 dst_sel:DWORD dst_unused:UNUSED_PAD src0_sel:WORD_1 src1_sel:DWORD
	v_lshrrev_b32_e32 v30, 16, v27
	v_cmp_ne_u16_e64 s[2:3], 0, v32
	s_and_saveexec_b64 s[10:11], s[2:3]
	s_cbranch_execz .LBB384_250
; %bb.245:
	s_movk_i32 s2, 0x80
	v_cmp_ne_u16_e64 s[2:3], s2, v32
	v_bfrev_b32_e32 v37, 1
	s_and_saveexec_b64 s[20:21], s[2:3]
	s_cbranch_execz .LBB384_249
; %bb.246:
	v_bfe_u32 v32, v27, 16, 7
	s_movk_i32 s2, 0x7f
	v_cmp_ne_u32_e64 s[2:3], s2, v32
	v_mov_b32_e32 v37, 0x7f800001
	s_and_saveexec_b64 s[22:23], s[2:3]
	s_cbranch_execz .LBB384_248
; %bb.247:
	v_and_b32_e32 v37, 7, v30
	v_ffbh_u32_e32 v40, v37
	v_min_u32_e32 v46, 32, v40
	v_subrev_u32_e32 v40, 28, v46
	v_lshlrev_b64 v[40:41], v40, v[30:31]
	v_and_b32_e32 v40, 7, v40
	v_cmp_gt_u32_e64 s[2:3], 8, v32
	v_lshrrev_b32_e32 v39, 3, v32
	v_sub_u32_e32 v30, 29, v46
	v_cndmask_b32_e64 v32, v37, v40, s[2:3]
	v_mov_b32_e32 v37, 24
	v_cndmask_b32_e64 v30, v39, v30, s[2:3]
	v_lshlrev_b32_sdwa v37, v37, v27 dst_sel:DWORD dst_unused:UNUSED_PAD src0_sel:DWORD src1_sel:WORD_1
	v_bfrev_b32_e32 v39, 60
	v_lshlrev_b32_e32 v32, 20, v32
	v_and_b32_e32 v37, 0x80000000, v37
	v_lshl_add_u32 v30, v30, 23, v39
	v_or3_b32 v37, v37, v30, v32
.LBB384_248:
	s_or_b64 exec, exec, s[22:23]
.LBB384_249:
	s_or_b64 exec, exec, s[20:21]
.LBB384_250:
	s_or_b64 exec, exec, s[10:11]
	s_mov_b32 s2, -1
	s_mov_b32 s3, 0xffffff
	v_cmp_lt_u64_e64 s[2:3], s[2:3], v[26:27]
	v_mov_b32_e32 v32, 0
	v_mov_b32_e32 v30, 0
	s_and_saveexec_b64 s[10:11], s[2:3]
	s_cbranch_execz .LBB384_256
; %bb.251:
	v_lshrrev_b32_e32 v26, 24, v27
	s_movk_i32 s2, 0x80
	v_cmp_ne_u32_e64 s[2:3], s2, v26
	v_bfrev_b32_e32 v30, 1
	s_and_saveexec_b64 s[20:21], s[2:3]
	s_cbranch_execz .LBB384_255
; %bb.252:
	v_bfe_u32 v27, v27, 24, 7
	s_movk_i32 s2, 0x7f
	v_cmp_ne_u32_e64 s[2:3], s2, v27
	v_mov_b32_e32 v30, 0x7f800001
	s_and_saveexec_b64 s[22:23], s[2:3]
	s_cbranch_execz .LBB384_254
; %bb.253:
	v_and_b32_e32 v30, 7, v26
	v_ffbh_u32_e32 v40, v30
	v_min_u32_e32 v46, 32, v40
	v_subrev_u32_e32 v40, 28, v46
	v_lshlrev_b64 v[40:41], v40, v[26:27]
	v_lshrrev_b32_e32 v39, 3, v27
	v_sub_u32_e32 v41, 29, v46
	v_and_b32_e32 v40, 7, v40
	v_cmp_gt_u32_e64 s[2:3], 8, v27
	v_cndmask_b32_e64 v27, v39, v41, s[2:3]
	v_cndmask_b32_e64 v30, v30, v40, s[2:3]
	v_lshlrev_b32_e32 v26, 24, v26
	v_bfrev_b32_e32 v39, 60
	v_lshlrev_b32_e32 v30, 20, v30
	v_and_b32_e32 v26, 0x80000000, v26
	v_lshl_add_u32 v27, v27, 23, v39
	v_or3_b32 v30, v26, v27, v30
.LBB384_254:
	s_or_b64 exec, exec, s[22:23]
.LBB384_255:
	s_or_b64 exec, exec, s[20:21]
.LBB384_256:
	s_or_b64 exec, exec, s[10:11]
	v_cvt_pkrtz_f16_f32 v26, v34, v35
	v_cvt_pkrtz_f16_f32 v27, v33, v36
	;; [unrolled: 1-line block ×4, first 2 shown]
	v_mfma_f32_4x4x4f16 a[0:3], v[18:19], v[26:27], a[0:3] cbsz:4 abid:4
	v_cmp_ne_u16_sdwa s[2:3], v28, v32 src0_sel:BYTE_0 src1_sel:DWORD
	v_mfma_f32_4x4x4f16 a[0:3], v[20:21], v[34:35], a[0:3] cbsz:4 abid:4
	s_and_saveexec_b64 s[10:11], s[2:3]
	s_cbranch_execz .LBB384_262
; %bb.257:
	s_movk_i32 s2, 0x80
	v_cmp_ne_u16_sdwa s[2:3], v28, s2 src0_sel:BYTE_0 src1_sel:DWORD
	v_bfrev_b32_e32 v32, 1
	s_and_saveexec_b64 s[20:21], s[2:3]
	s_cbranch_execz .LBB384_261
; %bb.258:
	s_movk_i32 s2, 0x7f
	v_and_b32_e32 v26, 0x7f, v28
	v_cmp_ne_u32_e64 s[2:3], s2, v26
	v_mov_b32_e32 v32, 0x7f800001
	s_and_saveexec_b64 s[22:23], s[2:3]
	s_cbranch_execz .LBB384_260
; %bb.259:
	v_and_b32_e32 v27, 7, v28
	v_ffbh_u32_e32 v27, v27
	v_min_u32_e32 v27, 32, v27
	v_subrev_u32_e32 v31, 28, v27
	v_cmp_gt_u32_e64 s[2:3], 8, v26
	v_lshrrev_b32_e32 v30, 3, v26
	v_sub_u32_e32 v27, 29, v27
	v_cndmask_b32_e64 v26, 0, v31, s[2:3]
	v_cndmask_b32_e64 v30, v30, v27, s[2:3]
	v_lshlrev_b64 v[26:27], v26, v[28:29]
	v_lshlrev_b32_e32 v26, 20, v26
	v_lshlrev_b32_e32 v27, 24, v28
	v_bfrev_b32_e32 v31, 60
	v_and_b32_e32 v26, 0x700000, v26
	v_and_b32_e32 v27, 0x80000000, v27
	v_lshl_add_u32 v30, v30, 23, v31
	v_or3_b32 v32, v27, v30, v26
.LBB384_260:
	s_or_b64 exec, exec, s[22:23]
.LBB384_261:
	s_or_b64 exec, exec, s[20:21]
.LBB384_262:
	s_or_b64 exec, exec, s[10:11]
	v_lshrrev_b16_e32 v26, 8, v28
	v_cmp_ne_u16_e64 s[2:3], 0, v26
	v_mov_b32_e32 v31, 0
	v_mov_b32_e32 v33, 0
	s_and_saveexec_b64 s[10:11], s[2:3]
	s_cbranch_execz .LBB384_268
; %bb.263:
	s_movk_i32 s2, 0x80
	v_cmp_ne_u16_e64 s[2:3], s2, v26
	v_bfrev_b32_e32 v33, 1
	s_and_saveexec_b64 s[20:21], s[2:3]
	s_cbranch_execz .LBB384_267
; %bb.264:
	s_movk_i32 s2, 0x7f
	v_and_b32_e32 v27, 0x7f, v26
	v_cmp_ne_u32_e64 s[2:3], s2, v27
	v_mov_b32_e32 v33, 0x7f800001
	s_and_saveexec_b64 s[22:23], s[2:3]
	s_cbranch_execz .LBB384_266
; %bb.265:
	v_and_b32_e32 v30, 7, v26
	v_ffbh_u32_e32 v34, v30
	v_min_u32_e32 v36, 32, v34
	v_subrev_u32_e32 v34, 28, v36
	v_lshlrev_b64 v[34:35], v34, v[26:27]
	v_lshrrev_b32_e32 v33, 3, v27
	v_sub_u32_e32 v26, 29, v36
	v_and_b32_e32 v34, 7, v34
	v_cmp_gt_u32_e64 s[2:3], 8, v27
	v_cndmask_b32_e64 v26, v33, v26, s[2:3]
	v_cndmask_b32_e64 v27, v30, v34, s[2:3]
	v_lshlrev_b32_e32 v30, 16, v28
	v_bfrev_b32_e32 v33, 60
	v_lshlrev_b32_e32 v27, 20, v27
	v_and_b32_e32 v30, 0x80000000, v30
	v_lshl_add_u32 v26, v26, 23, v33
	v_or3_b32 v33, v30, v26, v27
.LBB384_266:
	s_or_b64 exec, exec, s[22:23]
.LBB384_267:
	s_or_b64 exec, exec, s[20:21]
.LBB384_268:
	s_or_b64 exec, exec, s[10:11]
	s_movk_i32 s2, 0xff
	v_and_b32_sdwa v27, v28, s2 dst_sel:DWORD dst_unused:UNUSED_PAD src0_sel:WORD_1 src1_sel:DWORD
	v_lshrrev_b32_e32 v26, 16, v28
	v_cmp_ne_u16_e64 s[2:3], 0, v27
	s_and_saveexec_b64 s[10:11], s[2:3]
	s_cbranch_execz .LBB384_274
; %bb.269:
	s_movk_i32 s2, 0x80
	v_cmp_ne_u16_e64 s[2:3], s2, v27
	v_bfrev_b32_e32 v31, 1
	s_and_saveexec_b64 s[20:21], s[2:3]
	s_cbranch_execz .LBB384_273
; %bb.270:
	v_bfe_u32 v27, v28, 16, 7
	s_movk_i32 s2, 0x7f
	v_cmp_ne_u32_e64 s[2:3], s2, v27
	v_mov_b32_e32 v31, 0x7f800001
	s_and_saveexec_b64 s[22:23], s[2:3]
	s_cbranch_execz .LBB384_272
; %bb.271:
	v_and_b32_e32 v34, 7, v26
	v_ffbh_u32_e32 v30, v34
	v_min_u32_e32 v36, 32, v30
	v_subrev_u32_e32 v30, 28, v36
	v_lshlrev_b64 v[30:31], v30, v[26:27]
	v_and_b32_e32 v30, 7, v30
	v_cmp_gt_u32_e64 s[2:3], 8, v27
	v_lshrrev_b32_e32 v35, 3, v27
	v_sub_u32_e32 v26, 29, v36
	v_cndmask_b32_e64 v27, v34, v30, s[2:3]
	v_mov_b32_e32 v30, 24
	v_cndmask_b32_e64 v26, v35, v26, s[2:3]
	v_lshlrev_b32_sdwa v30, v30, v28 dst_sel:DWORD dst_unused:UNUSED_PAD src0_sel:DWORD src1_sel:WORD_1
	v_bfrev_b32_e32 v31, 60
	v_lshlrev_b32_e32 v27, 20, v27
	v_and_b32_e32 v30, 0x80000000, v30
	v_lshl_add_u32 v26, v26, 23, v31
	v_or3_b32 v31, v30, v26, v27
.LBB384_272:
	s_or_b64 exec, exec, s[22:23]
.LBB384_273:
	s_or_b64 exec, exec, s[20:21]
.LBB384_274:
	s_or_b64 exec, exec, s[10:11]
	s_mov_b32 s2, 0xffffff
	v_cmp_lt_u32_e64 s[2:3], s2, v28
	v_mov_b32_e32 v27, 0
	v_mov_b32_e32 v34, 0
	s_and_saveexec_b64 s[10:11], s[2:3]
	s_cbranch_execz .LBB384_280
; %bb.275:
	v_lshrrev_b32_e32 v26, 24, v28
	s_movk_i32 s2, 0x80
	v_cmp_ne_u32_e64 s[2:3], s2, v26
	v_bfrev_b32_e32 v34, 1
	s_and_saveexec_b64 s[20:21], s[2:3]
	s_cbranch_execz .LBB384_279
; %bb.276:
	v_bfe_u32 v30, v28, 24, 7
	s_movk_i32 s2, 0x7f
	v_cmp_ne_u32_e64 s[2:3], s2, v30
	v_mov_b32_e32 v34, 0x7f800001
	s_and_saveexec_b64 s[22:23], s[2:3]
	s_cbranch_execz .LBB384_278
; %bb.277:
	v_and_b32_e32 v36, 7, v26
	v_ffbh_u32_e32 v34, v36
	v_min_u32_e32 v38, 32, v34
	v_subrev_u32_e32 v34, 28, v38
	v_lshlrev_b64 v[34:35], v34, v[26:27]
	v_lshrrev_b32_e32 v37, 3, v30
	v_sub_u32_e32 v35, 29, v38
	v_and_b32_e32 v34, 7, v34
	v_cmp_gt_u32_e64 s[2:3], 8, v30
	v_cndmask_b32_e64 v30, v37, v35, s[2:3]
	v_cndmask_b32_e64 v34, v36, v34, s[2:3]
	v_lshlrev_b32_e32 v26, 24, v26
	v_bfrev_b32_e32 v35, 60
	v_lshlrev_b32_e32 v34, 20, v34
	v_and_b32_e32 v26, 0x80000000, v26
	v_lshl_add_u32 v30, v30, 23, v35
	v_or3_b32 v34, v26, v30, v34
.LBB384_278:
	s_or_b64 exec, exec, s[22:23]
.LBB384_279:
	s_or_b64 exec, exec, s[20:21]
.LBB384_280:
	s_or_b64 exec, exec, s[10:11]
	v_mov_b32_e32 v26, v29
	v_cmp_ne_u16_sdwa s[2:3], v29, v27 src0_sel:BYTE_0 src1_sel:DWORD
	s_and_saveexec_b64 s[10:11], s[2:3]
	s_cbranch_execz .LBB384_286
; %bb.281:
	s_movk_i32 s2, 0x80
	v_cmp_ne_u16_sdwa s[2:3], v29, s2 src0_sel:BYTE_0 src1_sel:DWORD
	v_bfrev_b32_e32 v30, 1
	s_and_saveexec_b64 s[20:21], s[2:3]
	s_cbranch_execz .LBB384_285
; %bb.282:
	s_movk_i32 s2, 0x7f
	v_and_b32_e32 v35, 0x7f, v29
	v_cmp_ne_u32_e64 s[2:3], s2, v35
	v_mov_b32_e32 v30, 0x7f800001
	s_and_saveexec_b64 s[22:23], s[2:3]
	s_cbranch_execz .LBB384_284
; %bb.283:
	v_and_b32_e32 v30, 7, v29
	v_ffbh_u32_e32 v30, v30
	v_min_u32_e32 v30, 32, v30
	v_subrev_u32_e32 v37, 28, v30
	v_cmp_gt_u32_e64 s[2:3], 8, v35
	v_lshrrev_b32_e32 v36, 3, v35
	v_sub_u32_e32 v30, 29, v30
	v_cndmask_b32_e64 v35, 0, v37, s[2:3]
	v_cndmask_b32_e64 v30, v36, v30, s[2:3]
	v_lshlrev_b64 v[36:37], v35, v[26:27]
	v_lshlrev_b32_e32 v27, 20, v36
	v_lshlrev_b32_e32 v35, 24, v26
	v_bfrev_b32_e32 v36, 60
	v_and_b32_e32 v27, 0x700000, v27
	v_and_b32_e32 v35, 0x80000000, v35
	v_lshl_add_u32 v30, v30, 23, v36
	v_or3_b32 v30, v35, v30, v27
.LBB384_284:
	s_or_b64 exec, exec, s[22:23]
.LBB384_285:
	s_or_b64 exec, exec, s[20:21]
	v_mov_b32_e32 v27, v30
.LBB384_286:
	s_or_b64 exec, exec, s[10:11]
	v_lshrrev_b16_e32 v30, 8, v26
	v_cmp_ne_u16_e64 s[2:3], 0, v30
	v_mov_b32_e32 v35, 0
	v_mov_b32_e32 v36, 0
	s_and_saveexec_b64 s[10:11], s[2:3]
	s_cbranch_execz .LBB384_292
; %bb.287:
	s_movk_i32 s2, 0x80
	v_cmp_ne_u16_e64 s[2:3], s2, v30
	v_bfrev_b32_e32 v36, 1
	s_and_saveexec_b64 s[20:21], s[2:3]
	s_cbranch_execz .LBB384_291
; %bb.288:
	s_movk_i32 s2, 0x7f
	v_and_b32_e32 v37, 0x7f, v30
	v_cmp_ne_u32_e64 s[2:3], s2, v37
	v_mov_b32_e32 v36, 0x7f800001
	s_and_saveexec_b64 s[22:23], s[2:3]
	s_cbranch_execz .LBB384_290
; %bb.289:
	v_and_b32_e32 v36, 7, v30
	v_ffbh_u32_e32 v38, v36
	v_min_u32_e32 v41, 32, v38
	v_subrev_u32_e32 v38, 28, v41
	v_lshlrev_b64 v[38:39], v38, v[30:31]
	v_lshrrev_b32_e32 v40, 3, v37
	v_sub_u32_e32 v30, 29, v41
	v_and_b32_e32 v38, 7, v38
	v_cmp_gt_u32_e64 s[2:3], 8, v37
	v_cndmask_b32_e64 v30, v40, v30, s[2:3]
	v_cndmask_b32_e64 v36, v36, v38, s[2:3]
	v_lshlrev_b32_e32 v26, 16, v26
	v_bfrev_b32_e32 v37, 60
	v_lshlrev_b32_e32 v36, 20, v36
	v_and_b32_e32 v26, 0x80000000, v26
	v_lshl_add_u32 v30, v30, 23, v37
	v_or3_b32 v36, v26, v30, v36
.LBB384_290:
	s_or_b64 exec, exec, s[22:23]
.LBB384_291:
	s_or_b64 exec, exec, s[20:21]
.LBB384_292:
	s_or_b64 exec, exec, s[10:11]
	s_movk_i32 s2, 0xff
	v_and_b32_sdwa v30, v29, s2 dst_sel:DWORD dst_unused:UNUSED_PAD src0_sel:WORD_1 src1_sel:DWORD
	v_lshrrev_b32_e32 v26, 16, v29
	v_cmp_ne_u16_e64 s[2:3], 0, v30
	s_and_saveexec_b64 s[10:11], s[2:3]
	s_cbranch_execz .LBB384_298
; %bb.293:
	s_movk_i32 s2, 0x80
	v_cmp_ne_u16_e64 s[2:3], s2, v30
	v_bfrev_b32_e32 v35, 1
	s_and_saveexec_b64 s[20:21], s[2:3]
	s_cbranch_execz .LBB384_297
; %bb.294:
	v_bfe_u32 v30, v29, 16, 7
	s_movk_i32 s2, 0x7f
	v_cmp_ne_u32_e64 s[2:3], s2, v30
	v_mov_b32_e32 v35, 0x7f800001
	s_and_saveexec_b64 s[22:23], s[2:3]
	s_cbranch_execz .LBB384_296
; %bb.295:
	v_and_b32_e32 v35, 7, v26
	v_ffbh_u32_e32 v38, v35
	v_min_u32_e32 v40, 32, v38
	v_subrev_u32_e32 v38, 28, v40
	v_lshlrev_b64 v[38:39], v38, v[26:27]
	v_and_b32_e32 v38, 7, v38
	v_cmp_gt_u32_e64 s[2:3], 8, v30
	v_lshrrev_b32_e32 v37, 3, v30
	v_sub_u32_e32 v26, 29, v40
	v_cndmask_b32_e64 v30, v35, v38, s[2:3]
	v_mov_b32_e32 v35, 24
	v_cndmask_b32_e64 v26, v37, v26, s[2:3]
	v_lshlrev_b32_sdwa v35, v35, v29 dst_sel:DWORD dst_unused:UNUSED_PAD src0_sel:DWORD src1_sel:WORD_1
	v_bfrev_b32_e32 v37, 60
	v_lshlrev_b32_e32 v30, 20, v30
	v_and_b32_e32 v35, 0x80000000, v35
	v_lshl_add_u32 v26, v26, 23, v37
	v_or3_b32 v35, v35, v26, v30
.LBB384_296:
	s_or_b64 exec, exec, s[22:23]
.LBB384_297:
	s_or_b64 exec, exec, s[20:21]
.LBB384_298:
	s_or_b64 exec, exec, s[10:11]
	s_mov_b32 s2, -1
	s_mov_b32 s3, 0xffffff
	v_cmp_lt_u64_e64 s[2:3], s[2:3], v[28:29]
	v_mov_b32_e32 v30, 0
	v_mov_b32_e32 v28, 0
	s_and_saveexec_b64 s[10:11], s[2:3]
	s_cbranch_execz .LBB384_304
; %bb.299:
	v_lshrrev_b32_e32 v26, 24, v29
	s_movk_i32 s2, 0x80
	v_cmp_ne_u32_e64 s[2:3], s2, v26
	v_bfrev_b32_e32 v28, 1
	s_and_saveexec_b64 s[20:21], s[2:3]
	s_cbranch_execz .LBB384_303
; %bb.300:
	v_bfe_u32 v29, v29, 24, 7
	s_movk_i32 s2, 0x7f
	v_cmp_ne_u32_e64 s[2:3], s2, v29
	v_mov_b32_e32 v28, 0x7f800001
	s_and_saveexec_b64 s[22:23], s[2:3]
	s_cbranch_execz .LBB384_302
; %bb.301:
	v_and_b32_e32 v28, 7, v26
	v_ffbh_u32_e32 v38, v28
	v_min_u32_e32 v40, 32, v38
	v_subrev_u32_e32 v38, 28, v40
	v_lshlrev_b64 v[38:39], v38, v[26:27]
	v_lshrrev_b32_e32 v37, 3, v29
	v_sub_u32_e32 v39, 29, v40
	v_and_b32_e32 v38, 7, v38
	v_cmp_gt_u32_e64 s[2:3], 8, v29
	v_cndmask_b32_e64 v29, v37, v39, s[2:3]
	v_cndmask_b32_e64 v28, v28, v38, s[2:3]
	v_lshlrev_b32_e32 v26, 24, v26
	v_bfrev_b32_e32 v37, 60
	v_lshlrev_b32_e32 v28, 20, v28
	v_and_b32_e32 v26, 0x80000000, v26
	v_lshl_add_u32 v29, v29, 23, v37
	v_or3_b32 v28, v26, v29, v28
.LBB384_302:
	s_or_b64 exec, exec, s[22:23]
.LBB384_303:
	s_or_b64 exec, exec, s[20:21]
.LBB384_304:
	s_or_b64 exec, exec, s[10:11]
	v_cvt_pkrtz_f16_f32 v32, v32, v33
	v_cvt_pkrtz_f16_f32 v33, v31, v34
	;; [unrolled: 1-line block ×4, first 2 shown]
	v_mfma_f32_4x4x4f16 a[0:3], v[18:19], v[32:33], a[0:3] cbsz:4 abid:5
	s_waitcnt vmcnt(4)
	v_cmp_ne_u16_sdwa s[2:3], v22, v30 src0_sel:BYTE_0 src1_sel:DWORD
	v_mfma_f32_4x4x4f16 a[0:3], v[20:21], v[26:27], a[0:3] cbsz:4 abid:5
	s_and_saveexec_b64 s[10:11], s[2:3]
	s_cbranch_execz .LBB384_310
; %bb.305:
	s_movk_i32 s2, 0x80
	v_cmp_ne_u16_sdwa s[2:3], v22, s2 src0_sel:BYTE_0 src1_sel:DWORD
	v_bfrev_b32_e32 v30, 1
	s_and_saveexec_b64 s[20:21], s[2:3]
	s_cbranch_execz .LBB384_309
; %bb.306:
	s_movk_i32 s2, 0x7f
	v_and_b32_e32 v26, 0x7f, v22
	v_cmp_ne_u32_e64 s[2:3], s2, v26
	v_mov_b32_e32 v30, 0x7f800001
	s_and_saveexec_b64 s[22:23], s[2:3]
	s_cbranch_execz .LBB384_308
; %bb.307:
	v_and_b32_e32 v27, 7, v22
	v_ffbh_u32_e32 v27, v27
	v_min_u32_e32 v27, 32, v27
	v_subrev_u32_e32 v29, 28, v27
	v_cmp_gt_u32_e64 s[2:3], 8, v26
	v_lshrrev_b32_e32 v28, 3, v26
	v_sub_u32_e32 v27, 29, v27
	v_cndmask_b32_e64 v26, 0, v29, s[2:3]
	v_cndmask_b32_e64 v28, v28, v27, s[2:3]
	v_lshlrev_b64 v[26:27], v26, v[22:23]
	v_lshlrev_b32_e32 v26, 20, v26
	v_lshlrev_b32_e32 v27, 24, v22
	v_bfrev_b32_e32 v29, 60
	v_and_b32_e32 v26, 0x700000, v26
	v_and_b32_e32 v27, 0x80000000, v27
	v_lshl_add_u32 v28, v28, 23, v29
	v_or3_b32 v30, v27, v28, v26
.LBB384_308:
	s_or_b64 exec, exec, s[22:23]
.LBB384_309:
	s_or_b64 exec, exec, s[20:21]
.LBB384_310:
	s_or_b64 exec, exec, s[10:11]
	v_lshrrev_b16_e32 v26, 8, v22
	v_cmp_ne_u16_e64 s[2:3], 0, v26
	v_mov_b32_e32 v29, 0
	v_mov_b32_e32 v31, 0
	s_and_saveexec_b64 s[10:11], s[2:3]
	s_cbranch_execz .LBB384_316
; %bb.311:
	s_movk_i32 s2, 0x80
	v_cmp_ne_u16_e64 s[2:3], s2, v26
	v_bfrev_b32_e32 v31, 1
	s_and_saveexec_b64 s[20:21], s[2:3]
	s_cbranch_execz .LBB384_315
; %bb.312:
	s_movk_i32 s2, 0x7f
	v_and_b32_e32 v27, 0x7f, v26
	v_cmp_ne_u32_e64 s[2:3], s2, v27
	v_mov_b32_e32 v31, 0x7f800001
	s_and_saveexec_b64 s[22:23], s[2:3]
	s_cbranch_execz .LBB384_314
; %bb.313:
	v_and_b32_e32 v28, 7, v26
	v_ffbh_u32_e32 v32, v28
	v_min_u32_e32 v34, 32, v32
	v_subrev_u32_e32 v32, 28, v34
	v_lshlrev_b64 v[32:33], v32, v[26:27]
	v_lshrrev_b32_e32 v31, 3, v27
	v_sub_u32_e32 v26, 29, v34
	v_and_b32_e32 v32, 7, v32
	v_cmp_gt_u32_e64 s[2:3], 8, v27
	v_cndmask_b32_e64 v26, v31, v26, s[2:3]
	v_cndmask_b32_e64 v27, v28, v32, s[2:3]
	v_lshlrev_b32_e32 v28, 16, v22
	v_bfrev_b32_e32 v31, 60
	v_lshlrev_b32_e32 v27, 20, v27
	v_and_b32_e32 v28, 0x80000000, v28
	v_lshl_add_u32 v26, v26, 23, v31
	v_or3_b32 v31, v28, v26, v27
.LBB384_314:
	s_or_b64 exec, exec, s[22:23]
.LBB384_315:
	s_or_b64 exec, exec, s[20:21]
.LBB384_316:
	s_or_b64 exec, exec, s[10:11]
	s_movk_i32 s2, 0xff
	v_and_b32_sdwa v27, v22, s2 dst_sel:DWORD dst_unused:UNUSED_PAD src0_sel:WORD_1 src1_sel:DWORD
	v_lshrrev_b32_e32 v26, 16, v22
	v_cmp_ne_u16_e64 s[2:3], 0, v27
	s_and_saveexec_b64 s[10:11], s[2:3]
	s_cbranch_execz .LBB384_322
; %bb.317:
	s_movk_i32 s2, 0x80
	v_cmp_ne_u16_e64 s[2:3], s2, v27
	v_bfrev_b32_e32 v29, 1
	s_and_saveexec_b64 s[20:21], s[2:3]
	s_cbranch_execz .LBB384_321
; %bb.318:
	v_bfe_u32 v27, v22, 16, 7
	s_movk_i32 s2, 0x7f
	v_cmp_ne_u32_e64 s[2:3], s2, v27
	v_mov_b32_e32 v29, 0x7f800001
	s_and_saveexec_b64 s[22:23], s[2:3]
	s_cbranch_execz .LBB384_320
; %bb.319:
	v_and_b32_e32 v32, 7, v26
	v_ffbh_u32_e32 v28, v32
	v_min_u32_e32 v34, 32, v28
	v_subrev_u32_e32 v28, 28, v34
	v_lshlrev_b64 v[28:29], v28, v[26:27]
	v_and_b32_e32 v28, 7, v28
	v_cmp_gt_u32_e64 s[2:3], 8, v27
	v_lshrrev_b32_e32 v33, 3, v27
	v_sub_u32_e32 v26, 29, v34
	v_cndmask_b32_e64 v27, v32, v28, s[2:3]
	v_mov_b32_e32 v28, 24
	v_cndmask_b32_e64 v26, v33, v26, s[2:3]
	v_lshlrev_b32_sdwa v28, v28, v22 dst_sel:DWORD dst_unused:UNUSED_PAD src0_sel:DWORD src1_sel:WORD_1
	v_bfrev_b32_e32 v29, 60
	v_lshlrev_b32_e32 v27, 20, v27
	v_and_b32_e32 v28, 0x80000000, v28
	v_lshl_add_u32 v26, v26, 23, v29
	v_or3_b32 v29, v28, v26, v27
.LBB384_320:
	s_or_b64 exec, exec, s[22:23]
.LBB384_321:
	s_or_b64 exec, exec, s[20:21]
.LBB384_322:
	s_or_b64 exec, exec, s[10:11]
	s_mov_b32 s2, 0xffffff
	v_cmp_lt_u32_e64 s[2:3], s2, v22
	v_mov_b32_e32 v27, 0
	v_mov_b32_e32 v32, 0
	s_and_saveexec_b64 s[10:11], s[2:3]
	s_cbranch_execz .LBB384_328
; %bb.323:
	v_lshrrev_b32_e32 v26, 24, v22
	s_movk_i32 s2, 0x80
	v_cmp_ne_u32_e64 s[2:3], s2, v26
	v_bfrev_b32_e32 v32, 1
	s_and_saveexec_b64 s[20:21], s[2:3]
	s_cbranch_execz .LBB384_327
; %bb.324:
	v_bfe_u32 v28, v22, 24, 7
	s_movk_i32 s2, 0x7f
	v_cmp_ne_u32_e64 s[2:3], s2, v28
	v_mov_b32_e32 v32, 0x7f800001
	s_and_saveexec_b64 s[22:23], s[2:3]
	s_cbranch_execz .LBB384_326
; %bb.325:
	v_and_b32_e32 v34, 7, v26
	v_ffbh_u32_e32 v32, v34
	v_min_u32_e32 v36, 32, v32
	v_subrev_u32_e32 v32, 28, v36
	v_lshlrev_b64 v[32:33], v32, v[26:27]
	v_lshrrev_b32_e32 v35, 3, v28
	v_sub_u32_e32 v33, 29, v36
	v_and_b32_e32 v32, 7, v32
	v_cmp_gt_u32_e64 s[2:3], 8, v28
	v_cndmask_b32_e64 v28, v35, v33, s[2:3]
	v_cndmask_b32_e64 v32, v34, v32, s[2:3]
	v_lshlrev_b32_e32 v26, 24, v26
	v_bfrev_b32_e32 v33, 60
	v_lshlrev_b32_e32 v32, 20, v32
	v_and_b32_e32 v26, 0x80000000, v26
	v_lshl_add_u32 v28, v28, 23, v33
	v_or3_b32 v32, v26, v28, v32
.LBB384_326:
	s_or_b64 exec, exec, s[22:23]
.LBB384_327:
	s_or_b64 exec, exec, s[20:21]
.LBB384_328:
	s_or_b64 exec, exec, s[10:11]
	v_mov_b32_e32 v26, v23
	v_cmp_ne_u16_sdwa s[2:3], v23, v27 src0_sel:BYTE_0 src1_sel:DWORD
	s_and_saveexec_b64 s[10:11], s[2:3]
	s_cbranch_execz .LBB384_334
; %bb.329:
	s_movk_i32 s2, 0x80
	v_cmp_ne_u16_sdwa s[2:3], v23, s2 src0_sel:BYTE_0 src1_sel:DWORD
	v_bfrev_b32_e32 v28, 1
	s_and_saveexec_b64 s[20:21], s[2:3]
	s_cbranch_execz .LBB384_333
; %bb.330:
	s_movk_i32 s2, 0x7f
	v_and_b32_e32 v33, 0x7f, v23
	v_cmp_ne_u32_e64 s[2:3], s2, v33
	v_mov_b32_e32 v28, 0x7f800001
	s_and_saveexec_b64 s[22:23], s[2:3]
	s_cbranch_execz .LBB384_332
; %bb.331:
	v_and_b32_e32 v28, 7, v23
	v_ffbh_u32_e32 v28, v28
	v_min_u32_e32 v28, 32, v28
	v_subrev_u32_e32 v35, 28, v28
	v_cmp_gt_u32_e64 s[2:3], 8, v33
	v_lshrrev_b32_e32 v34, 3, v33
	v_sub_u32_e32 v28, 29, v28
	v_cndmask_b32_e64 v33, 0, v35, s[2:3]
	v_cndmask_b32_e64 v28, v34, v28, s[2:3]
	v_lshlrev_b64 v[34:35], v33, v[26:27]
	v_lshlrev_b32_e32 v27, 20, v34
	v_lshlrev_b32_e32 v33, 24, v26
	v_bfrev_b32_e32 v34, 60
	v_and_b32_e32 v27, 0x700000, v27
	v_and_b32_e32 v33, 0x80000000, v33
	v_lshl_add_u32 v28, v28, 23, v34
	v_or3_b32 v28, v33, v28, v27
.LBB384_332:
	s_or_b64 exec, exec, s[22:23]
.LBB384_333:
	s_or_b64 exec, exec, s[20:21]
	v_mov_b32_e32 v27, v28
.LBB384_334:
	s_or_b64 exec, exec, s[10:11]
	v_lshrrev_b16_e32 v28, 8, v26
	v_cmp_ne_u16_e64 s[2:3], 0, v28
	v_mov_b32_e32 v33, 0
	v_mov_b32_e32 v34, 0
	s_and_saveexec_b64 s[10:11], s[2:3]
	s_cbranch_execz .LBB384_340
; %bb.335:
	s_movk_i32 s2, 0x80
	v_cmp_ne_u16_e64 s[2:3], s2, v28
	v_bfrev_b32_e32 v34, 1
	s_and_saveexec_b64 s[20:21], s[2:3]
	s_cbranch_execz .LBB384_339
; %bb.336:
	s_movk_i32 s2, 0x7f
	v_and_b32_e32 v35, 0x7f, v28
	v_cmp_ne_u32_e64 s[2:3], s2, v35
	v_mov_b32_e32 v34, 0x7f800001
	s_and_saveexec_b64 s[22:23], s[2:3]
	s_cbranch_execz .LBB384_338
; %bb.337:
	v_and_b32_e32 v34, 7, v28
	v_ffbh_u32_e32 v36, v34
	v_min_u32_e32 v39, 32, v36
	v_subrev_u32_e32 v36, 28, v39
	v_lshlrev_b64 v[36:37], v36, v[28:29]
	v_lshrrev_b32_e32 v38, 3, v35
	v_sub_u32_e32 v28, 29, v39
	v_and_b32_e32 v36, 7, v36
	v_cmp_gt_u32_e64 s[2:3], 8, v35
	v_cndmask_b32_e64 v28, v38, v28, s[2:3]
	v_cndmask_b32_e64 v34, v34, v36, s[2:3]
	v_lshlrev_b32_e32 v26, 16, v26
	v_bfrev_b32_e32 v35, 60
	v_lshlrev_b32_e32 v34, 20, v34
	v_and_b32_e32 v26, 0x80000000, v26
	v_lshl_add_u32 v28, v28, 23, v35
	v_or3_b32 v34, v26, v28, v34
.LBB384_338:
	s_or_b64 exec, exec, s[22:23]
.LBB384_339:
	s_or_b64 exec, exec, s[20:21]
.LBB384_340:
	s_or_b64 exec, exec, s[10:11]
	s_movk_i32 s2, 0xff
	v_and_b32_sdwa v28, v23, s2 dst_sel:DWORD dst_unused:UNUSED_PAD src0_sel:WORD_1 src1_sel:DWORD
	v_lshrrev_b32_e32 v26, 16, v23
	v_cmp_ne_u16_e64 s[2:3], 0, v28
	s_and_saveexec_b64 s[10:11], s[2:3]
	s_cbranch_execz .LBB384_346
; %bb.341:
	s_movk_i32 s2, 0x80
	v_cmp_ne_u16_e64 s[2:3], s2, v28
	v_bfrev_b32_e32 v33, 1
	s_and_saveexec_b64 s[20:21], s[2:3]
	s_cbranch_execz .LBB384_345
; %bb.342:
	v_bfe_u32 v28, v23, 16, 7
	s_movk_i32 s2, 0x7f
	v_cmp_ne_u32_e64 s[2:3], s2, v28
	v_mov_b32_e32 v33, 0x7f800001
	s_and_saveexec_b64 s[22:23], s[2:3]
	s_cbranch_execz .LBB384_344
; %bb.343:
	v_and_b32_e32 v33, 7, v26
	v_ffbh_u32_e32 v36, v33
	v_min_u32_e32 v38, 32, v36
	v_subrev_u32_e32 v36, 28, v38
	v_lshlrev_b64 v[36:37], v36, v[26:27]
	v_and_b32_e32 v36, 7, v36
	v_cmp_gt_u32_e64 s[2:3], 8, v28
	v_lshrrev_b32_e32 v35, 3, v28
	v_sub_u32_e32 v26, 29, v38
	v_cndmask_b32_e64 v28, v33, v36, s[2:3]
	v_mov_b32_e32 v33, 24
	v_cndmask_b32_e64 v26, v35, v26, s[2:3]
	v_lshlrev_b32_sdwa v33, v33, v23 dst_sel:DWORD dst_unused:UNUSED_PAD src0_sel:DWORD src1_sel:WORD_1
	v_bfrev_b32_e32 v35, 60
	v_lshlrev_b32_e32 v28, 20, v28
	v_and_b32_e32 v33, 0x80000000, v33
	v_lshl_add_u32 v26, v26, 23, v35
	v_or3_b32 v33, v33, v26, v28
.LBB384_344:
	s_or_b64 exec, exec, s[22:23]
.LBB384_345:
	s_or_b64 exec, exec, s[20:21]
.LBB384_346:
	s_or_b64 exec, exec, s[10:11]
	s_mov_b32 s2, -1
	s_mov_b32 s3, 0xffffff
	v_cmp_lt_u64_e64 s[2:3], s[2:3], v[22:23]
	v_mov_b32_e32 v28, 0
	v_mov_b32_e32 v26, 0
	s_and_saveexec_b64 s[10:11], s[2:3]
	s_cbranch_execz .LBB384_352
; %bb.347:
	v_lshrrev_b32_e32 v22, 24, v23
	s_movk_i32 s2, 0x80
	v_cmp_ne_u32_e64 s[2:3], s2, v22
	v_bfrev_b32_e32 v26, 1
	s_and_saveexec_b64 s[20:21], s[2:3]
	s_cbranch_execz .LBB384_351
; %bb.348:
	v_bfe_u32 v23, v23, 24, 7
	s_movk_i32 s2, 0x7f
	v_cmp_ne_u32_e64 s[2:3], s2, v23
	v_mov_b32_e32 v26, 0x7f800001
	s_and_saveexec_b64 s[22:23], s[2:3]
	s_cbranch_execz .LBB384_350
; %bb.349:
	v_and_b32_e32 v26, 7, v22
	v_ffbh_u32_e32 v36, v26
	v_min_u32_e32 v38, 32, v36
	v_subrev_u32_e32 v36, 28, v38
	v_lshlrev_b64 v[36:37], v36, v[22:23]
	v_lshrrev_b32_e32 v35, 3, v23
	v_sub_u32_e32 v37, 29, v38
	v_and_b32_e32 v36, 7, v36
	v_cmp_gt_u32_e64 s[2:3], 8, v23
	v_cndmask_b32_e64 v23, v35, v37, s[2:3]
	v_cndmask_b32_e64 v26, v26, v36, s[2:3]
	v_lshlrev_b32_e32 v22, 24, v22
	v_bfrev_b32_e32 v35, 60
	v_lshlrev_b32_e32 v26, 20, v26
	v_and_b32_e32 v22, 0x80000000, v22
	v_lshl_add_u32 v23, v23, 23, v35
	v_or3_b32 v26, v22, v23, v26
.LBB384_350:
	s_or_b64 exec, exec, s[22:23]
.LBB384_351:
	s_or_b64 exec, exec, s[20:21]
.LBB384_352:
	s_or_b64 exec, exec, s[10:11]
	v_cvt_pkrtz_f16_f32 v22, v30, v31
	v_cvt_pkrtz_f16_f32 v23, v29, v32
	;; [unrolled: 1-line block ×4, first 2 shown]
	v_mfma_f32_4x4x4f16 a[0:3], v[18:19], v[22:23], a[0:3] cbsz:4 abid:6
	v_cmp_ne_u16_sdwa s[2:3], v24, v28 src0_sel:BYTE_0 src1_sel:DWORD
	v_mfma_f32_4x4x4f16 a[0:3], v[20:21], v[30:31], a[0:3] cbsz:4 abid:6
	s_and_saveexec_b64 s[10:11], s[2:3]
	s_cbranch_execz .LBB384_358
; %bb.353:
	s_movk_i32 s2, 0x80
	v_cmp_ne_u16_sdwa s[2:3], v24, s2 src0_sel:BYTE_0 src1_sel:DWORD
	v_bfrev_b32_e32 v28, 1
	s_and_saveexec_b64 s[20:21], s[2:3]
	s_cbranch_execz .LBB384_357
; %bb.354:
	s_movk_i32 s2, 0x7f
	v_and_b32_e32 v22, 0x7f, v24
	v_cmp_ne_u32_e64 s[2:3], s2, v22
	v_mov_b32_e32 v28, 0x7f800001
	s_and_saveexec_b64 s[22:23], s[2:3]
	s_cbranch_execz .LBB384_356
; %bb.355:
	v_and_b32_e32 v23, 7, v24
	v_ffbh_u32_e32 v23, v23
	v_min_u32_e32 v23, 32, v23
	v_subrev_u32_e32 v27, 28, v23
	v_cmp_gt_u32_e64 s[2:3], 8, v22
	v_lshrrev_b32_e32 v26, 3, v22
	v_sub_u32_e32 v23, 29, v23
	v_cndmask_b32_e64 v22, 0, v27, s[2:3]
	v_cndmask_b32_e64 v26, v26, v23, s[2:3]
	v_lshlrev_b64 v[22:23], v22, v[24:25]
	v_lshlrev_b32_e32 v22, 20, v22
	v_lshlrev_b32_e32 v23, 24, v24
	v_bfrev_b32_e32 v27, 60
	v_and_b32_e32 v22, 0x700000, v22
	v_and_b32_e32 v23, 0x80000000, v23
	v_lshl_add_u32 v26, v26, 23, v27
	v_or3_b32 v28, v23, v26, v22
.LBB384_356:
	s_or_b64 exec, exec, s[22:23]
.LBB384_357:
	s_or_b64 exec, exec, s[20:21]
.LBB384_358:
	s_or_b64 exec, exec, s[10:11]
	v_lshrrev_b16_e32 v22, 8, v24
	v_cmp_ne_u16_e64 s[2:3], 0, v22
	v_mov_b32_e32 v27, 0
	v_mov_b32_e32 v29, 0
	s_and_saveexec_b64 s[10:11], s[2:3]
	s_cbranch_execz .LBB384_364
; %bb.359:
	s_movk_i32 s2, 0x80
	v_cmp_ne_u16_e64 s[2:3], s2, v22
	v_bfrev_b32_e32 v29, 1
	s_and_saveexec_b64 s[20:21], s[2:3]
	s_cbranch_execz .LBB384_363
; %bb.360:
	s_movk_i32 s2, 0x7f
	v_and_b32_e32 v23, 0x7f, v22
	v_cmp_ne_u32_e64 s[2:3], s2, v23
	v_mov_b32_e32 v29, 0x7f800001
	s_and_saveexec_b64 s[22:23], s[2:3]
	s_cbranch_execz .LBB384_362
; %bb.361:
	v_and_b32_e32 v26, 7, v22
	v_ffbh_u32_e32 v30, v26
	v_min_u32_e32 v32, 32, v30
	v_subrev_u32_e32 v30, 28, v32
	v_lshlrev_b64 v[30:31], v30, v[22:23]
	v_lshrrev_b32_e32 v29, 3, v23
	v_sub_u32_e32 v22, 29, v32
	v_and_b32_e32 v30, 7, v30
	v_cmp_gt_u32_e64 s[2:3], 8, v23
	v_cndmask_b32_e64 v22, v29, v22, s[2:3]
	v_cndmask_b32_e64 v23, v26, v30, s[2:3]
	v_lshlrev_b32_e32 v26, 16, v24
	v_bfrev_b32_e32 v29, 60
	v_lshlrev_b32_e32 v23, 20, v23
	v_and_b32_e32 v26, 0x80000000, v26
	v_lshl_add_u32 v22, v22, 23, v29
	v_or3_b32 v29, v26, v22, v23
.LBB384_362:
	s_or_b64 exec, exec, s[22:23]
.LBB384_363:
	s_or_b64 exec, exec, s[20:21]
.LBB384_364:
	s_or_b64 exec, exec, s[10:11]
	s_movk_i32 s2, 0xff
	v_and_b32_sdwa v23, v24, s2 dst_sel:DWORD dst_unused:UNUSED_PAD src0_sel:WORD_1 src1_sel:DWORD
	v_lshrrev_b32_e32 v22, 16, v24
	v_cmp_ne_u16_e64 s[2:3], 0, v23
	s_and_saveexec_b64 s[10:11], s[2:3]
	s_cbranch_execz .LBB384_370
; %bb.365:
	s_movk_i32 s2, 0x80
	v_cmp_ne_u16_e64 s[2:3], s2, v23
	v_bfrev_b32_e32 v27, 1
	s_and_saveexec_b64 s[20:21], s[2:3]
	s_cbranch_execz .LBB384_369
; %bb.366:
	v_bfe_u32 v23, v24, 16, 7
	s_movk_i32 s2, 0x7f
	v_cmp_ne_u32_e64 s[2:3], s2, v23
	v_mov_b32_e32 v27, 0x7f800001
	s_and_saveexec_b64 s[22:23], s[2:3]
	s_cbranch_execz .LBB384_368
; %bb.367:
	v_and_b32_e32 v30, 7, v22
	v_ffbh_u32_e32 v26, v30
	v_min_u32_e32 v32, 32, v26
	v_subrev_u32_e32 v26, 28, v32
	v_lshlrev_b64 v[26:27], v26, v[22:23]
	v_and_b32_e32 v26, 7, v26
	v_cmp_gt_u32_e64 s[2:3], 8, v23
	v_lshrrev_b32_e32 v31, 3, v23
	v_sub_u32_e32 v22, 29, v32
	v_cndmask_b32_e64 v23, v30, v26, s[2:3]
	v_mov_b32_e32 v26, 24
	v_cndmask_b32_e64 v22, v31, v22, s[2:3]
	v_lshlrev_b32_sdwa v26, v26, v24 dst_sel:DWORD dst_unused:UNUSED_PAD src0_sel:DWORD src1_sel:WORD_1
	v_bfrev_b32_e32 v27, 60
	v_lshlrev_b32_e32 v23, 20, v23
	v_and_b32_e32 v26, 0x80000000, v26
	v_lshl_add_u32 v22, v22, 23, v27
	v_or3_b32 v27, v26, v22, v23
.LBB384_368:
	s_or_b64 exec, exec, s[22:23]
.LBB384_369:
	s_or_b64 exec, exec, s[20:21]
.LBB384_370:
	s_or_b64 exec, exec, s[10:11]
	s_mov_b32 s2, 0xffffff
	v_cmp_lt_u32_e64 s[2:3], s2, v24
	v_mov_b32_e32 v23, 0
	v_mov_b32_e32 v30, 0
	s_and_saveexec_b64 s[10:11], s[2:3]
	s_cbranch_execz .LBB384_376
; %bb.371:
	v_lshrrev_b32_e32 v22, 24, v24
	s_movk_i32 s2, 0x80
	v_cmp_ne_u32_e64 s[2:3], s2, v22
	v_bfrev_b32_e32 v30, 1
	s_and_saveexec_b64 s[20:21], s[2:3]
	s_cbranch_execz .LBB384_375
; %bb.372:
	v_bfe_u32 v26, v24, 24, 7
	s_movk_i32 s2, 0x7f
	v_cmp_ne_u32_e64 s[2:3], s2, v26
	v_mov_b32_e32 v30, 0x7f800001
	s_and_saveexec_b64 s[22:23], s[2:3]
	s_cbranch_execz .LBB384_374
; %bb.373:
	v_and_b32_e32 v32, 7, v22
	v_ffbh_u32_e32 v30, v32
	v_min_u32_e32 v34, 32, v30
	v_subrev_u32_e32 v30, 28, v34
	v_lshlrev_b64 v[30:31], v30, v[22:23]
	v_lshrrev_b32_e32 v33, 3, v26
	v_sub_u32_e32 v31, 29, v34
	v_and_b32_e32 v30, 7, v30
	v_cmp_gt_u32_e64 s[2:3], 8, v26
	v_cndmask_b32_e64 v26, v33, v31, s[2:3]
	v_cndmask_b32_e64 v30, v32, v30, s[2:3]
	v_lshlrev_b32_e32 v22, 24, v22
	v_bfrev_b32_e32 v31, 60
	v_lshlrev_b32_e32 v30, 20, v30
	v_and_b32_e32 v22, 0x80000000, v22
	v_lshl_add_u32 v26, v26, 23, v31
	v_or3_b32 v30, v22, v26, v30
.LBB384_374:
	s_or_b64 exec, exec, s[22:23]
.LBB384_375:
	s_or_b64 exec, exec, s[20:21]
.LBB384_376:
	s_or_b64 exec, exec, s[10:11]
	v_mov_b32_e32 v22, v25
	v_cmp_ne_u16_sdwa s[2:3], v25, v23 src0_sel:BYTE_0 src1_sel:DWORD
	s_and_saveexec_b64 s[10:11], s[2:3]
	s_cbranch_execz .LBB384_382
; %bb.377:
	s_movk_i32 s2, 0x80
	v_cmp_ne_u16_sdwa s[2:3], v25, s2 src0_sel:BYTE_0 src1_sel:DWORD
	v_bfrev_b32_e32 v26, 1
	s_and_saveexec_b64 s[20:21], s[2:3]
	s_cbranch_execz .LBB384_381
; %bb.378:
	s_movk_i32 s2, 0x7f
	v_and_b32_e32 v31, 0x7f, v25
	v_cmp_ne_u32_e64 s[2:3], s2, v31
	v_mov_b32_e32 v26, 0x7f800001
	s_and_saveexec_b64 s[22:23], s[2:3]
	s_cbranch_execz .LBB384_380
; %bb.379:
	v_and_b32_e32 v26, 7, v25
	v_ffbh_u32_e32 v26, v26
	v_min_u32_e32 v26, 32, v26
	v_subrev_u32_e32 v33, 28, v26
	v_cmp_gt_u32_e64 s[2:3], 8, v31
	v_lshrrev_b32_e32 v32, 3, v31
	v_sub_u32_e32 v26, 29, v26
	v_cndmask_b32_e64 v31, 0, v33, s[2:3]
	v_cndmask_b32_e64 v26, v32, v26, s[2:3]
	v_lshlrev_b64 v[32:33], v31, v[22:23]
	v_lshlrev_b32_e32 v23, 20, v32
	v_lshlrev_b32_e32 v31, 24, v22
	v_bfrev_b32_e32 v32, 60
	v_and_b32_e32 v23, 0x700000, v23
	v_and_b32_e32 v31, 0x80000000, v31
	v_lshl_add_u32 v26, v26, 23, v32
	v_or3_b32 v26, v31, v26, v23
.LBB384_380:
	s_or_b64 exec, exec, s[22:23]
.LBB384_381:
	s_or_b64 exec, exec, s[20:21]
	v_mov_b32_e32 v23, v26
.LBB384_382:
	s_or_b64 exec, exec, s[10:11]
	v_lshrrev_b16_e32 v26, 8, v22
	v_cmp_ne_u16_e64 s[2:3], 0, v26
	v_mov_b32_e32 v31, 0
	v_mov_b32_e32 v32, 0
	s_and_saveexec_b64 s[10:11], s[2:3]
	s_cbranch_execz .LBB384_388
; %bb.383:
	s_movk_i32 s2, 0x80
	v_cmp_ne_u16_e64 s[2:3], s2, v26
	v_bfrev_b32_e32 v32, 1
	s_and_saveexec_b64 s[20:21], s[2:3]
	s_cbranch_execz .LBB384_387
; %bb.384:
	s_movk_i32 s2, 0x7f
	v_and_b32_e32 v33, 0x7f, v26
	v_cmp_ne_u32_e64 s[2:3], s2, v33
	v_mov_b32_e32 v32, 0x7f800001
	s_and_saveexec_b64 s[22:23], s[2:3]
	s_cbranch_execz .LBB384_386
; %bb.385:
	v_and_b32_e32 v32, 7, v26
	v_ffbh_u32_e32 v34, v32
	v_min_u32_e32 v37, 32, v34
	v_subrev_u32_e32 v34, 28, v37
	v_lshlrev_b64 v[34:35], v34, v[26:27]
	v_lshrrev_b32_e32 v36, 3, v33
	v_sub_u32_e32 v26, 29, v37
	v_and_b32_e32 v34, 7, v34
	v_cmp_gt_u32_e64 s[2:3], 8, v33
	v_cndmask_b32_e64 v26, v36, v26, s[2:3]
	v_cndmask_b32_e64 v32, v32, v34, s[2:3]
	v_lshlrev_b32_e32 v22, 16, v22
	v_bfrev_b32_e32 v33, 60
	v_lshlrev_b32_e32 v32, 20, v32
	v_and_b32_e32 v22, 0x80000000, v22
	v_lshl_add_u32 v26, v26, 23, v33
	v_or3_b32 v32, v22, v26, v32
.LBB384_386:
	s_or_b64 exec, exec, s[22:23]
.LBB384_387:
	s_or_b64 exec, exec, s[20:21]
.LBB384_388:
	s_or_b64 exec, exec, s[10:11]
	s_movk_i32 s2, 0xff
	v_and_b32_sdwa v26, v25, s2 dst_sel:DWORD dst_unused:UNUSED_PAD src0_sel:WORD_1 src1_sel:DWORD
	v_lshrrev_b32_e32 v22, 16, v25
	v_cmp_ne_u16_e64 s[2:3], 0, v26
	s_and_saveexec_b64 s[10:11], s[2:3]
	s_cbranch_execz .LBB384_394
; %bb.389:
	s_movk_i32 s2, 0x80
	v_cmp_ne_u16_e64 s[2:3], s2, v26
	v_bfrev_b32_e32 v31, 1
	s_and_saveexec_b64 s[20:21], s[2:3]
	s_cbranch_execz .LBB384_393
; %bb.390:
	v_bfe_u32 v26, v25, 16, 7
	s_movk_i32 s2, 0x7f
	v_cmp_ne_u32_e64 s[2:3], s2, v26
	v_mov_b32_e32 v31, 0x7f800001
	s_and_saveexec_b64 s[22:23], s[2:3]
	s_cbranch_execz .LBB384_392
; %bb.391:
	v_and_b32_e32 v31, 7, v22
	v_ffbh_u32_e32 v34, v31
	v_min_u32_e32 v36, 32, v34
	v_subrev_u32_e32 v34, 28, v36
	v_lshlrev_b64 v[34:35], v34, v[22:23]
	v_and_b32_e32 v34, 7, v34
	v_cmp_gt_u32_e64 s[2:3], 8, v26
	v_lshrrev_b32_e32 v33, 3, v26
	v_sub_u32_e32 v22, 29, v36
	v_cndmask_b32_e64 v26, v31, v34, s[2:3]
	v_mov_b32_e32 v31, 24
	v_cndmask_b32_e64 v22, v33, v22, s[2:3]
	v_lshlrev_b32_sdwa v31, v31, v25 dst_sel:DWORD dst_unused:UNUSED_PAD src0_sel:DWORD src1_sel:WORD_1
	v_bfrev_b32_e32 v33, 60
	v_lshlrev_b32_e32 v26, 20, v26
	v_and_b32_e32 v31, 0x80000000, v31
	v_lshl_add_u32 v22, v22, 23, v33
	v_or3_b32 v31, v31, v22, v26
.LBB384_392:
	s_or_b64 exec, exec, s[22:23]
.LBB384_393:
	s_or_b64 exec, exec, s[20:21]
.LBB384_394:
	s_or_b64 exec, exec, s[10:11]
	s_mov_b32 s2, -1
	s_mov_b32 s3, 0xffffff
	v_cmp_lt_u64_e64 s[2:3], s[2:3], v[24:25]
	v_mov_b32_e32 v24, 0
	s_and_saveexec_b64 s[10:11], s[2:3]
	s_cbranch_execz .LBB384_400
; %bb.395:
	v_lshrrev_b32_e32 v22, 24, v25
	s_movk_i32 s2, 0x80
	v_cmp_ne_u32_e64 s[2:3], s2, v22
	v_bfrev_b32_e32 v24, 1
	s_and_saveexec_b64 s[20:21], s[2:3]
	s_cbranch_execz .LBB384_399
; %bb.396:
	v_bfe_u32 v25, v25, 24, 7
	s_movk_i32 s2, 0x7f
	v_cmp_ne_u32_e64 s[2:3], s2, v25
	v_mov_b32_e32 v24, 0x7f800001
	s_and_saveexec_b64 s[22:23], s[2:3]
	s_cbranch_execz .LBB384_398
; %bb.397:
	v_and_b32_e32 v24, 7, v22
	v_ffbh_u32_e32 v33, v24
	v_min_u32_e32 v33, 32, v33
	v_subrev_u32_e32 v34, 28, v33
	v_lshlrev_b64 v[34:35], v34, v[22:23]
	v_lshrrev_b32_e32 v26, 3, v25
	v_sub_u32_e32 v33, 29, v33
	v_and_b32_e32 v34, 7, v34
	v_cmp_gt_u32_e64 s[2:3], 8, v25
	v_cndmask_b32_e64 v25, v26, v33, s[2:3]
	v_cndmask_b32_e64 v24, v24, v34, s[2:3]
	v_lshlrev_b32_e32 v22, 24, v22
	v_bfrev_b32_e32 v26, 60
	v_lshlrev_b32_e32 v24, 20, v24
	v_and_b32_e32 v22, 0x80000000, v22
	v_lshl_add_u32 v25, v25, 23, v26
	v_or3_b32 v24, v22, v25, v24
.LBB384_398:
	s_or_b64 exec, exec, s[22:23]
.LBB384_399:
	s_or_b64 exec, exec, s[20:21]
.LBB384_400:
	s_or_b64 exec, exec, s[10:11]
	s_load_dword s2, s[4:5], 0x1c
	v_cvt_pkrtz_f16_f32 v26, v28, v29
	v_cvt_pkrtz_f16_f32 v27, v27, v30
	s_load_dword s3, s[12:13], 0x0
	v_cvt_pkrtz_f16_f32 v22, v23, v32
	v_mfma_f32_4x4x4f16 a[0:3], v[18:19], v[26:27], a[0:3] cbsz:4 abid:7
	v_cvt_pkrtz_f16_f32 v23, v31, v24
	s_waitcnt lgkmcnt(0)
	v_mov_b32_e32 v18, s2
	v_mul_f32_e32 v18, s3, v18
	v_mfma_f32_4x4x4f16 a[0:3], v[20:21], v[22:23], a[0:3] cbsz:4 abid:7
	v_mov_b32_e32 v25, 0xff7fffff
	s_nop 3
	v_accvgpr_read_b32 v21, a1
	v_accvgpr_read_b32 v20, a0
	v_pk_mul_f32 v[20:21], v[20:21], v[18:19] op_sel_hi:[1,0]
	v_accvgpr_read_b32 v23, a3
	v_accvgpr_read_b32 v22, a2
	v_pk_mul_f32 v[18:19], v[22:23], v[18:19] op_sel_hi:[1,0]
	v_cndmask_b32_e64 v22, 0, 1.0, vcc
	v_cmp_eq_u32_e32 vcc, 1, v43
	s_nop 0
	v_mfma_f32_4x4x1f32 a[0:3], v20, v22, 0
	v_cndmask_b32_e64 v20, 0, 1.0, vcc
	v_cmp_eq_u32_e32 vcc, 2, v43
	s_nop 0
	v_mfma_f32_4x4x1f32 a[0:3], v21, v20, a[0:3]
	;; [unrolled: 4-line block ×3, first 2 shown]
	v_cndmask_b32_e64 v18, 0, 1.0, vcc
	s_nop 1
	v_mfma_f32_4x4x1f32 a[0:3], v19, v18, a[0:3]
	v_and_b32_e32 v18, -4, v44
	v_subrev_u32_e32 v19, s7, v18
	v_add_u32_e32 v20, 1, v19
	v_cvt_f32_i32_e32 v20, v20
	v_add_u32_e32 v21, 2, v19
	v_cvt_f32_i32_e32 v21, v21
	v_accvgpr_read_b32 v22, a0
	v_fma_f32 v20, v45, v20, v22
	v_accvgpr_read_b32 v22, a1
	v_fma_f32 v21, v45, v21, v22
	v_add_u32_e32 v22, 3, v19
	v_cvt_f32_i32_e32 v22, v22
	v_add_u32_e32 v19, 4, v19
	v_max_f32_e32 v24, 0xff7fffff, v20
	v_cmp_gt_i32_e32 vcc, s7, v18
	v_cvt_f32_i32_e32 v19, v19
	v_cndmask_b32_e32 v24, v25, v24, vcc
	v_or_b32_e32 v25, 1, v18
	v_accvgpr_read_b32 v23, a2
	v_max_f32_e32 v26, v24, v21
	v_cmp_gt_i32_e64 s[2:3], s7, v25
	v_fma_f32 v22, v45, v22, v23
	v_cndmask_b32_e64 v24, v24, v26, s[2:3]
	v_or_b32_e32 v18, 2, v18
	v_accvgpr_read_b32 v23, a3
	v_max_f32_e32 v25, v24, v22
	v_cmp_gt_i32_e64 s[4:5], s7, v18
	v_fmac_f32_e32 v23, v45, v19
	v_cndmask_b32_e64 v18, v24, v25, s[4:5]
	v_or_b32_e32 v24, 3, v44
	v_max_f32_e32 v25, v18, v23
	v_cmp_gt_i32_e64 s[10:11], s7, v24
	v_lshlrev_b32_e32 v19, 2, v0
	v_cndmask_b32_e64 v18, v18, v25, s[10:11]
	v_and_or_b32 v19, v19, 48, v43
	;;#ASMSTART
	v_nop
 v_nop
 v_max_f32_dpp v18, v18, v18 row_ror:4
	;;#ASMEND
	v_lshlrev_b32_e32 v24, 2, v19
	;;#ASMSTART
	v_nop
 v_nop
 v_max_f32_dpp v18, v18, v18 row_ror:8
	;;#ASMEND
	ds_bpermute_b32 v18, v24, v18
	s_waitcnt lgkmcnt(0)
	;;#ASMSTART
	v_nop
 v_nop
 v_max_f32_dpp v18, v18, v18 row_ror:4
	;;#ASMEND
	;;#ASMSTART
	v_nop
 v_nop
 v_max_f32_dpp v26, v18, v18 row_ror:8
	;;#ASMEND
	v_sub_f32_e32 v18, v20, v26
	v_mul_f32_e32 v18, 0x3fb8aa3b, v18
	v_sub_f32_e32 v19, v21, v26
	v_exp_f32_e32 v18, v18
	v_mul_f32_e32 v19, 0x3fb8aa3b, v19
	v_sub_f32_e32 v21, v22, v26
	v_exp_f32_e32 v19, v19
	;; [unrolled: 3-line block ×3, first 2 shown]
	v_mul_f32_e32 v22, 0x3fb8aa3b, v22
	v_exp_f32_e32 v22, v22
	v_cndmask_b32_e32 v18, 0, v18, vcc
	v_add_f32_e32 v20, 0, v18
	v_cndmask_b32_e64 v19, 0, v19, s[2:3]
	v_add_f32_e32 v23, v20, v19
	v_cndmask_b32_e64 v20, 0, v21, s[4:5]
	;; [unrolled: 2-line block ×3, first 2 shown]
	v_add_f32_e32 v22, v23, v21
	;;#ASMSTART
	v_nop
 v_nop
 v_add_f32_dpp v22, v22, v22 row_ror:4
	;;#ASMEND
	;;#ASMSTART
	v_nop
 v_nop
 v_add_f32_dpp v22, v22, v22 row_ror:8
	;;#ASMEND
	ds_bpermute_b32 v22, v24, v22
	s_waitcnt lgkmcnt(0)
	;;#ASMSTART
	v_nop
 v_nop
 v_add_f32_dpp v22, v22, v22 row_ror:4
	;;#ASMEND
	v_cmp_gt_u32_e32 vcc, 4, v1
	;;#ASMSTART
	v_nop
 v_nop
 v_add_f32_dpp v22, v22, v22 row_ror:8
	;;#ASMEND
	s_and_saveexec_b64 s[2:3], vcc
	s_cbranch_execz .LBB384_402
; %bb.401:
	v_mul_u32_u24_e32 v23, 20, v42
	v_lshl_add_u32 v23, v43, 2, v23
	v_add_u32_e32 v23, 0x800, v23
	ds_write2_b32 v23, v26, v22 offset0:128 offset1:148
.LBB384_402:
	s_or_b64 exec, exec, s[2:3]
.LBB384_403:
	s_or_b64 exec, exec, s[30:31]
	s_waitcnt lgkmcnt(0)
	s_barrier
	s_load_dword s2, s[28:29], 0x8
	v_lshlrev_b32_e32 v22, 2, v43
	v_add_u32_e32 v30, 0x800, v22
	ds_read2_b32 v[22:23], v30 offset0:128 offset1:133
	ds_read2_b32 v[24:25], v30 offset0:138 offset1:143
	s_mul_i32 s3, s33, s6
	s_waitcnt lgkmcnt(0)
	s_mul_i32 s2, s3, s2
	s_mov_b32 s3, 0xff7fffff
	v_max3_f32 v27, v22, s3, v23
	v_max3_f32 v27, v27, v24, v25
	v_sub_f32_e32 v22, v22, v27
	ds_read2_b32 v[28:29], v30 offset0:148 offset1:153
	v_mul_f32_e32 v22, 0x3fb8aa3b, v22
	v_sub_f32_e32 v23, v23, v27
	v_exp_f32_e32 v32, v22
	v_mul_f32_e32 v23, 0x3fb8aa3b, v23
	v_sub_f32_e32 v24, v24, v27
	v_exp_f32_e32 v23, v23
	ds_read2_b32 v[30:31], v30 offset0:158 offset1:163
	v_mul_f32_e32 v24, 0x3fb8aa3b, v24
	v_sub_f32_e32 v25, v25, v27
	v_exp_f32_e32 v24, v24
	v_mul_f32_e32 v25, 0x3fb8aa3b, v25
	v_exp_f32_e32 v25, v25
	s_waitcnt lgkmcnt(1)
	v_fma_f32 v28, v32, v28, 0
	v_fmac_f32_e32 v28, v23, v29
	s_waitcnt lgkmcnt(0)
	v_fmac_f32_e32 v28, v24, v30
	v_mov_b32_e32 v22, 0
	v_fmac_f32_e32 v28, v25, v31
	s_mov_b32 s3, 0
	v_cmp_eq_u32_e32 vcc, 0, v43
	s_and_saveexec_b64 s[4:5], vcc
	s_cbranch_execz .LBB384_405
; %bb.404:
	s_lshl_b64 s[6:7], s[2:3], 2
	s_add_u32 s9, s16, s6
	s_mov_b32 s25, s3
	s_addc_u32 s12, s17, s7
	s_lshl_b64 s[10:11], s[24:25], 2
	s_add_u32 s9, s9, s10
	s_addc_u32 s12, s12, s11
	s_add_u32 s6, s18, s6
	s_addc_u32 s7, s19, s7
	;; [unrolled: 2-line block ×3, first 2 shown]
	s_mul_i32 s6, s33, s8
	s_mov_b32 s7, s3
	s_lshl_b64 s[6:7], s[6:7], 2
	s_add_u32 s10, s9, s6
	s_addc_u32 s11, s12, s7
	s_add_u32 s6, s13, s6
	s_addc_u32 s7, s16, s7
	global_store_dword v22, v27, s[6:7]
	global_store_dword v22, v28, s[10:11]
.LBB384_405:
	s_or_b64 exec, exec, s[4:5]
	v_lshlrev_b32_e32 v25, 3, v42
	s_and_saveexec_b64 s[4:5], s[0:1]
	s_xor_b64 s[0:1], exec, s[4:5]
	s_cbranch_execz .LBB384_407
; %bb.406:
	s_waitcnt vmcnt(0)
	v_mov_b32_e32 v2, 0
	v_mad_u32_u24 v4, v1, 40, v25
	v_mov_b32_e32 v3, v2
	ds_write_b64 v4, v[2:3]
                                        ; implicit-def: $vgpr21
                                        ; implicit-def: $vgpr19
                                        ; implicit-def: $vgpr26
                                        ; implicit-def: $vgpr14_vgpr15
                                        ; implicit-def: $vgpr10_vgpr11
                                        ; implicit-def: $vgpr6_vgpr7
                                        ; implicit-def: $vgpr2_vgpr3
                                        ; implicit-def: $vgpr27
                                        ; implicit-def: $vgpr28
                                        ; implicit-def: $vgpr25
.LBB384_407:
	s_andn2_saveexec_b64 s[0:1], s[0:1]
	s_cbranch_execz .LBB384_793
; %bb.408:
	v_mov_b32_e32 v29, 0
	s_waitcnt vmcnt(3)
	v_cmp_ne_u16_sdwa s[6:7], v14, v29 src0_sel:BYTE_0 src1_sel:DWORD
	v_mov_b32_e32 v30, 0
	s_and_saveexec_b64 s[4:5], s[6:7]
	s_cbranch_execz .LBB384_414
; %bb.409:
	s_movk_i32 s3, 0x80
	v_cmp_ne_u16_sdwa s[10:11], v14, s3 src0_sel:BYTE_0 src1_sel:DWORD
	v_bfrev_b32_e32 v30, 1
	s_and_saveexec_b64 s[6:7], s[10:11]
	s_cbranch_execz .LBB384_413
; %bb.410:
	s_movk_i32 s3, 0x7f
	v_and_b32_e32 v22, 0x7f, v14
	v_cmp_ne_u32_e32 vcc, s3, v22
	v_mov_b32_e32 v30, 0x7f800001
	s_and_saveexec_b64 s[10:11], vcc
	s_cbranch_execz .LBB384_412
; %bb.411:
	v_and_b32_e32 v23, 7, v14
	v_ffbh_u32_e32 v23, v23
	v_min_u32_e32 v23, 32, v23
	v_subrev_u32_e32 v30, 28, v23
	v_cmp_gt_u32_e32 vcc, 8, v22
	v_lshrrev_b32_e32 v24, 3, v22
	v_sub_u32_e32 v23, 29, v23
	v_cndmask_b32_e32 v22, 0, v30, vcc
	v_cndmask_b32_e32 v24, v24, v23, vcc
	v_lshlrev_b64 v[22:23], v22, v[14:15]
	v_lshlrev_b32_e32 v22, 20, v22
	v_lshlrev_b32_e32 v23, 24, v14
	v_bfrev_b32_e32 v30, 60
	v_and_b32_e32 v22, 0x700000, v22
	v_and_b32_e32 v23, 0x80000000, v23
	v_lshl_add_u32 v24, v24, 23, v30
	v_or3_b32 v30, v23, v24, v22
.LBB384_412:
	s_or_b64 exec, exec, s[10:11]
.LBB384_413:
	s_or_b64 exec, exec, s[6:7]
.LBB384_414:
	s_or_b64 exec, exec, s[4:5]
	v_lshrrev_b16_e32 v22, 8, v14
	v_cmp_ne_u16_e32 vcc, 0, v22
	s_and_saveexec_b64 s[4:5], vcc
	s_cbranch_execz .LBB384_420
; %bb.415:
	s_movk_i32 s3, 0x80
	v_cmp_ne_u16_e32 vcc, s3, v22
	v_bfrev_b32_e32 v29, 1
	s_and_saveexec_b64 s[6:7], vcc
	s_cbranch_execz .LBB384_419
; %bb.416:
	s_movk_i32 s3, 0x7f
	v_and_b32_e32 v23, 0x7f, v22
	v_cmp_ne_u32_e32 vcc, s3, v23
	v_mov_b32_e32 v29, 0x7f800001
	s_and_saveexec_b64 s[10:11], vcc
	s_cbranch_execz .LBB384_418
; %bb.417:
	v_and_b32_e32 v24, 7, v22
	v_ffbh_u32_e32 v31, v24
	v_min_u32_e32 v31, 32, v31
	v_subrev_u32_e32 v32, 28, v31
	v_lshlrev_b64 v[32:33], v32, v[22:23]
	v_lshrrev_b32_e32 v29, 3, v23
	v_sub_u32_e32 v22, 29, v31
	v_and_b32_e32 v31, 7, v32
	v_cmp_gt_u32_e32 vcc, 8, v23
	v_cndmask_b32_e32 v22, v29, v22, vcc
	v_cndmask_b32_e32 v23, v24, v31, vcc
	v_lshlrev_b32_e32 v24, 16, v14
	v_bfrev_b32_e32 v29, 60
	v_lshlrev_b32_e32 v23, 20, v23
	v_and_b32_e32 v24, 0x80000000, v24
	v_lshl_add_u32 v22, v22, 23, v29
	v_or3_b32 v29, v24, v22, v23
.LBB384_418:
	s_or_b64 exec, exec, s[10:11]
.LBB384_419:
	s_or_b64 exec, exec, s[6:7]
.LBB384_420:
	s_or_b64 exec, exec, s[4:5]
	s_movk_i32 s3, 0xff
	v_and_b32_sdwa v23, v14, s3 dst_sel:DWORD dst_unused:UNUSED_PAD src0_sel:WORD_1 src1_sel:DWORD
	v_lshrrev_b32_e32 v22, 16, v14
	v_cmp_ne_u16_e32 vcc, 0, v23
	v_mov_b32_e32 v31, 0
	v_mov_b32_e32 v32, 0
	s_and_saveexec_b64 s[4:5], vcc
	s_cbranch_execz .LBB384_426
; %bb.421:
	s_movk_i32 s3, 0x80
	v_cmp_ne_u16_e32 vcc, s3, v23
	v_bfrev_b32_e32 v32, 1
	s_and_saveexec_b64 s[6:7], vcc
	s_cbranch_execz .LBB384_425
; %bb.422:
	v_bfe_u32 v23, v14, 16, 7
	s_movk_i32 s3, 0x7f
	v_cmp_ne_u32_e32 vcc, s3, v23
	v_mov_b32_e32 v32, 0x7f800001
	s_and_saveexec_b64 s[10:11], vcc
	s_cbranch_execz .LBB384_424
; %bb.423:
	v_and_b32_e32 v24, 7, v22
	v_ffbh_u32_e32 v32, v24
	v_min_u32_e32 v35, 32, v32
	v_subrev_u32_e32 v32, 28, v35
	v_lshlrev_b64 v[32:33], v32, v[22:23]
	v_and_b32_e32 v32, 7, v32
	v_cmp_gt_u32_e32 vcc, 8, v23
	v_lshrrev_b32_e32 v34, 3, v23
	v_sub_u32_e32 v22, 29, v35
	v_cndmask_b32_e32 v23, v24, v32, vcc
	v_mov_b32_e32 v24, 24
	v_cndmask_b32_e32 v22, v34, v22, vcc
	v_lshlrev_b32_sdwa v24, v24, v14 dst_sel:DWORD dst_unused:UNUSED_PAD src0_sel:DWORD src1_sel:WORD_1
	v_bfrev_b32_e32 v32, 60
	v_lshlrev_b32_e32 v23, 20, v23
	v_and_b32_e32 v24, 0x80000000, v24
	v_lshl_add_u32 v22, v22, 23, v32
	v_or3_b32 v32, v24, v22, v23
.LBB384_424:
	s_or_b64 exec, exec, s[10:11]
.LBB384_425:
	s_or_b64 exec, exec, s[6:7]
.LBB384_426:
	s_or_b64 exec, exec, s[4:5]
	s_mov_b32 s3, 0xffffff
	v_cmp_lt_u32_e32 vcc, s3, v14
	s_and_saveexec_b64 s[4:5], vcc
	s_cbranch_execz .LBB384_432
; %bb.427:
	v_lshrrev_b32_e32 v22, 24, v14
	s_movk_i32 s3, 0x80
	v_cmp_ne_u32_e32 vcc, s3, v22
	v_bfrev_b32_e32 v31, 1
	s_and_saveexec_b64 s[6:7], vcc
	s_cbranch_execz .LBB384_431
; %bb.428:
	v_bfe_u32 v23, v14, 24, 7
	s_movk_i32 s3, 0x7f
	v_cmp_ne_u32_e32 vcc, s3, v23
	v_mov_b32_e32 v31, 0x7f800001
	s_and_saveexec_b64 s[10:11], vcc
	s_cbranch_execz .LBB384_430
; %bb.429:
	v_and_b32_e32 v24, 7, v22
	v_ffbh_u32_e32 v33, v24
	v_min_u32_e32 v33, 32, v33
	v_subrev_u32_e32 v34, 28, v33
	v_lshlrev_b64 v[34:35], v34, v[22:23]
	v_lshrrev_b32_e32 v31, 3, v23
	v_sub_u32_e32 v33, 29, v33
	v_and_b32_e32 v34, 7, v34
	v_cmp_gt_u32_e32 vcc, 8, v23
	v_cndmask_b32_e32 v23, v31, v33, vcc
	v_cndmask_b32_e32 v24, v24, v34, vcc
	v_lshlrev_b32_e32 v22, 24, v22
	v_bfrev_b32_e32 v31, 60
	v_lshlrev_b32_e32 v24, 20, v24
	v_and_b32_e32 v22, 0x80000000, v22
	v_lshl_add_u32 v23, v23, 23, v31
	v_or3_b32 v31, v22, v23, v24
.LBB384_430:
	s_or_b64 exec, exec, s[10:11]
.LBB384_431:
	s_or_b64 exec, exec, s[6:7]
.LBB384_432:
	s_or_b64 exec, exec, s[4:5]
	v_mov_b32_e32 v23, 0
	v_mov_b32_e32 v22, v15
	v_cmp_ne_u16_sdwa s[6:7], v15, v23 src0_sel:BYTE_0 src1_sel:DWORD
	v_mov_b32_e32 v33, v23
	s_and_saveexec_b64 s[4:5], s[6:7]
	s_cbranch_execz .LBB384_438
; %bb.433:
	s_movk_i32 s3, 0x80
	v_cmp_ne_u16_sdwa s[10:11], v15, s3 src0_sel:BYTE_0 src1_sel:DWORD
	v_bfrev_b32_e32 v33, 1
	s_and_saveexec_b64 s[6:7], s[10:11]
	s_cbranch_execz .LBB384_437
; %bb.434:
	s_movk_i32 s3, 0x7f
	v_and_b32_e32 v24, 0x7f, v15
	v_cmp_ne_u32_e32 vcc, s3, v24
	v_mov_b32_e32 v33, 0x7f800001
	s_and_saveexec_b64 s[10:11], vcc
	s_cbranch_execz .LBB384_436
; %bb.435:
	v_and_b32_e32 v33, 7, v15
	v_ffbh_u32_e32 v33, v33
	v_min_u32_e32 v33, 32, v33
	v_lshrrev_b32_e32 v34, 3, v24
	v_subrev_u32_e32 v35, 28, v33
	v_sub_u32_e32 v33, 29, v33
	v_cmp_gt_u32_e32 vcc, 8, v24
	v_cndmask_b32_e32 v24, v34, v33, vcc
	v_cndmask_b32_e32 v33, 0, v35, vcc
	v_lshlrev_b64 v[34:35], v33, v[22:23]
	v_lshlrev_b32_e32 v33, 20, v34
	v_lshlrev_b32_e32 v34, 24, v22
	v_bfrev_b32_e32 v35, 60
	v_and_b32_e32 v33, 0x700000, v33
	v_and_b32_e32 v34, 0x80000000, v34
	v_lshl_add_u32 v24, v24, 23, v35
	v_or3_b32 v33, v34, v24, v33
.LBB384_436:
	s_or_b64 exec, exec, s[10:11]
.LBB384_437:
	s_or_b64 exec, exec, s[6:7]
.LBB384_438:
	s_or_b64 exec, exec, s[4:5]
	v_lshrrev_b16_e32 v24, 8, v22
	v_cmp_ne_u16_e32 vcc, 0, v24
	s_and_saveexec_b64 s[4:5], vcc
	s_cbranch_execz .LBB384_444
; %bb.439:
	s_movk_i32 s3, 0x80
	v_cmp_ne_u16_e32 vcc, s3, v24
	v_bfrev_b32_e32 v23, 1
	s_and_saveexec_b64 s[6:7], vcc
	s_cbranch_execz .LBB384_443
; %bb.440:
	s_movk_i32 s3, 0x7f
	v_and_b32_e32 v34, 0x7f, v24
	v_cmp_ne_u32_e32 vcc, s3, v34
	v_mov_b32_e32 v23, 0x7f800001
	s_and_saveexec_b64 s[10:11], vcc
	s_cbranch_execz .LBB384_442
; %bb.441:
	v_and_b32_e32 v23, 7, v24
	v_ffbh_u32_e32 v36, v23
	v_min_u32_e32 v38, 32, v36
	v_subrev_u32_e32 v36, 28, v38
	v_lshlrev_b64 v[36:37], v36, v[24:25]
	v_lshrrev_b32_e32 v35, 3, v34
	v_sub_u32_e32 v24, 29, v38
	v_and_b32_e32 v36, 7, v36
	v_cmp_gt_u32_e32 vcc, 8, v34
	v_cndmask_b32_e32 v24, v35, v24, vcc
	v_cndmask_b32_e32 v23, v23, v36, vcc
	v_lshlrev_b32_e32 v22, 16, v22
	v_bfrev_b32_e32 v34, 60
	v_lshlrev_b32_e32 v23, 20, v23
	v_and_b32_e32 v22, 0x80000000, v22
	v_lshl_add_u32 v24, v24, 23, v34
	v_or3_b32 v23, v22, v24, v23
.LBB384_442:
	s_or_b64 exec, exec, s[10:11]
.LBB384_443:
	s_or_b64 exec, exec, s[6:7]
.LBB384_444:
	s_or_b64 exec, exec, s[4:5]
	s_movk_i32 s3, 0xff
	v_and_b32_sdwa v35, v15, s3 dst_sel:DWORD dst_unused:UNUSED_PAD src0_sel:WORD_1 src1_sel:DWORD
	v_lshrrev_b32_e32 v22, 16, v15
	v_cmp_ne_u16_e32 vcc, 0, v35
	v_mov_b32_e32 v24, 0
	v_mov_b32_e32 v34, 0
	s_and_saveexec_b64 s[4:5], vcc
	s_cbranch_execz .LBB384_450
; %bb.445:
	s_movk_i32 s3, 0x80
	v_cmp_ne_u16_e32 vcc, s3, v35
	v_bfrev_b32_e32 v34, 1
	s_and_saveexec_b64 s[6:7], vcc
	s_cbranch_execz .LBB384_449
; %bb.446:
	v_bfe_u32 v35, v15, 16, 7
	s_movk_i32 s3, 0x7f
	v_cmp_ne_u32_e32 vcc, s3, v35
	v_mov_b32_e32 v34, 0x7f800001
	s_and_saveexec_b64 s[10:11], vcc
	s_cbranch_execz .LBB384_448
; %bb.447:
	v_and_b32_e32 v34, 7, v22
	v_ffbh_u32_e32 v36, v34
	v_min_u32_e32 v39, 32, v36
	v_subrev_u32_e32 v36, 28, v39
	v_lshlrev_b64 v[36:37], v36, v[22:23]
	v_lshrrev_b32_e32 v38, 3, v35
	v_sub_u32_e32 v22, 29, v39
	v_and_b32_e32 v36, 7, v36
	v_cmp_gt_u32_e32 vcc, 8, v35
	v_mov_b32_e32 v35, 24
	v_cndmask_b32_e32 v22, v38, v22, vcc
	v_cndmask_b32_e32 v34, v34, v36, vcc
	v_lshlrev_b32_sdwa v35, v35, v15 dst_sel:DWORD dst_unused:UNUSED_PAD src0_sel:DWORD src1_sel:WORD_1
	v_bfrev_b32_e32 v36, 60
	v_lshlrev_b32_e32 v34, 20, v34
	v_and_b32_e32 v35, 0x80000000, v35
	v_lshl_add_u32 v22, v22, 23, v36
	v_or3_b32 v34, v35, v22, v34
.LBB384_448:
	s_or_b64 exec, exec, s[10:11]
.LBB384_449:
	s_or_b64 exec, exec, s[6:7]
.LBB384_450:
	s_or_b64 exec, exec, s[4:5]
	s_mov_b32 s4, -1
	s_mov_b32 s5, 0xffffff
	v_cmp_lt_u64_e32 vcc, s[4:5], v[14:15]
	s_and_saveexec_b64 s[4:5], vcc
	s_cbranch_execz .LBB384_456
; %bb.451:
	v_lshrrev_b32_e32 v14, 24, v15
	s_movk_i32 s3, 0x80
	v_cmp_ne_u32_e32 vcc, s3, v14
	v_bfrev_b32_e32 v24, 1
	s_and_saveexec_b64 s[6:7], vcc
	s_cbranch_execz .LBB384_455
; %bb.452:
	v_bfe_u32 v15, v15, 24, 7
	s_movk_i32 s3, 0x7f
	v_cmp_ne_u32_e32 vcc, s3, v15
	v_mov_b32_e32 v24, 0x7f800001
	s_and_saveexec_b64 s[10:11], vcc
	s_cbranch_execz .LBB384_454
; %bb.453:
	v_and_b32_e32 v22, 7, v14
	v_ffbh_u32_e32 v35, v22
	v_min_u32_e32 v35, 32, v35
	v_subrev_u32_e32 v36, 28, v35
	v_lshlrev_b64 v[36:37], v36, v[14:15]
	v_lshrrev_b32_e32 v24, 3, v15
	v_sub_u32_e32 v35, 29, v35
	v_and_b32_e32 v36, 7, v36
	v_cmp_gt_u32_e32 vcc, 8, v15
	v_cndmask_b32_e32 v15, v24, v35, vcc
	v_cndmask_b32_e32 v22, v22, v36, vcc
	v_lshlrev_b32_e32 v14, 24, v14
	v_bfrev_b32_e32 v24, 60
	v_lshlrev_b32_e32 v22, 20, v22
	v_and_b32_e32 v14, 0x80000000, v14
	v_lshl_add_u32 v15, v15, 23, v24
	v_or3_b32 v24, v14, v15, v22
.LBB384_454:
	s_or_b64 exec, exec, s[10:11]
.LBB384_455:
	s_or_b64 exec, exec, s[6:7]
.LBB384_456:
	s_or_b64 exec, exec, s[4:5]
	v_add_f32_e32 v14, 0x358637bd, v28
	v_div_scale_f32 v15, s[4:5], v14, v14, 1.0
	v_rcp_f32_e32 v22, v15
	v_div_scale_f32 v28, vcc, 1.0, v14, 1.0
	v_sub_f32_e32 v26, v26, v27
	v_fma_f32 v35, -v15, v22, 1.0
	v_fmac_f32_e32 v22, v35, v22
	v_mul_f32_e32 v35, v28, v22
	v_fma_f32 v36, -v15, v35, v28
	v_mul_f32_e32 v26, 0x3fb8aa3b, v26
	v_fmac_f32_e32 v35, v36, v22
	v_exp_f32_e32 v26, v26
	v_fma_f32 v15, -v15, v35, v28
	v_div_fmas_f32 v15, v15, v22, v35
	v_div_fixup_f32 v14, v15, v14, 1.0
	v_mul_f32_e32 v14, v26, v14
	v_pk_mul_f32 v[20:21], v[20:21], v[14:15] op_sel_hi:[1,0]
	v_pk_mul_f32 v[14:15], v[18:19], v[14:15] op_sel_hi:[1,0]
	v_cvt_f16_f32_e32 v14, v14
	v_cvt_f16_f32_e32 v15, v15
	;; [unrolled: 1-line block ×4, first 2 shown]
	v_cvt_pkrtz_f16_f32 v22, v33, v23
	v_pack_b32_f16 v14, v14, v15
	v_cvt_pkrtz_f16_f32 v23, v34, v24
	v_pack_b32_f16 v15, v18, v19
	v_cvt_pkrtz_f16_f32 v18, v30, v29
	v_cvt_pkrtz_f16_f32 v19, v32, v31
	v_mov_b32_e32 v21, 0
	s_nop 0
	v_mfma_f32_4x4x4f16 a[0:3], v[14:15], v[18:19], 0 cbsz:4
	v_mfma_f32_4x4x4f16 a[0:3], v[14:15], v[22:23], a[0:3] cbsz:4 abid:1
	v_mov_b32_e32 v22, 0
	v_cmp_ne_u16_sdwa s[6:7], v16, v22 src0_sel:BYTE_0 src1_sel:DWORD
	s_and_saveexec_b64 s[4:5], s[6:7]
	s_cbranch_execz .LBB384_462
; %bb.457:
	s_movk_i32 s3, 0x80
	v_cmp_ne_u16_sdwa s[10:11], v16, s3 src0_sel:BYTE_0 src1_sel:DWORD
	v_bfrev_b32_e32 v21, 1
	s_and_saveexec_b64 s[6:7], s[10:11]
	s_cbranch_execz .LBB384_461
; %bb.458:
	s_movk_i32 s3, 0x7f
	v_and_b32_e32 v18, 0x7f, v16
	v_cmp_ne_u32_e32 vcc, s3, v18
	v_mov_b32_e32 v21, 0x7f800001
	s_and_saveexec_b64 s[10:11], vcc
	s_cbranch_execz .LBB384_460
; %bb.459:
	v_and_b32_e32 v19, 7, v16
	v_ffbh_u32_e32 v19, v19
	v_min_u32_e32 v19, 32, v19
	v_subrev_u32_e32 v21, 28, v19
	v_cmp_gt_u32_e32 vcc, 8, v18
	v_lshrrev_b32_e32 v20, 3, v18
	v_sub_u32_e32 v19, 29, v19
	v_cndmask_b32_e32 v18, 0, v21, vcc
	v_cndmask_b32_e32 v20, v20, v19, vcc
	v_lshlrev_b64 v[18:19], v18, v[16:17]
	v_lshlrev_b32_e32 v18, 20, v18
	v_lshlrev_b32_e32 v19, 24, v16
	v_bfrev_b32_e32 v21, 60
	v_and_b32_e32 v18, 0x700000, v18
	v_and_b32_e32 v19, 0x80000000, v19
	v_lshl_add_u32 v20, v20, 23, v21
	v_or3_b32 v21, v19, v20, v18
.LBB384_460:
	s_or_b64 exec, exec, s[10:11]
.LBB384_461:
	s_or_b64 exec, exec, s[6:7]
.LBB384_462:
	s_or_b64 exec, exec, s[4:5]
	v_lshrrev_b16_e32 v18, 8, v16
	v_cmp_ne_u16_e32 vcc, 0, v18
	v_mov_b32_e32 v23, 0
	s_and_saveexec_b64 s[4:5], vcc
	s_cbranch_execz .LBB384_468
; %bb.463:
	s_movk_i32 s3, 0x80
	v_cmp_ne_u16_e32 vcc, s3, v18
	v_bfrev_b32_e32 v23, 1
	s_and_saveexec_b64 s[6:7], vcc
	s_cbranch_execz .LBB384_467
; %bb.464:
	s_movk_i32 s3, 0x7f
	v_and_b32_e32 v19, 0x7f, v18
	v_cmp_ne_u32_e32 vcc, s3, v19
	v_mov_b32_e32 v23, 0x7f800001
	s_and_saveexec_b64 s[10:11], vcc
	s_cbranch_execz .LBB384_466
; %bb.465:
	v_and_b32_e32 v20, 7, v18
	v_ffbh_u32_e32 v24, v20
	v_min_u32_e32 v24, 32, v24
	v_subrev_u32_e32 v26, 28, v24
	v_lshlrev_b64 v[26:27], v26, v[18:19]
	v_lshrrev_b32_e32 v23, 3, v19
	v_sub_u32_e32 v18, 29, v24
	v_and_b32_e32 v24, 7, v26
	v_cmp_gt_u32_e32 vcc, 8, v19
	v_cndmask_b32_e32 v18, v23, v18, vcc
	v_cndmask_b32_e32 v19, v20, v24, vcc
	v_lshlrev_b32_e32 v20, 16, v16
	v_bfrev_b32_e32 v23, 60
	v_lshlrev_b32_e32 v19, 20, v19
	v_and_b32_e32 v20, 0x80000000, v20
	v_lshl_add_u32 v18, v18, 23, v23
	v_or3_b32 v23, v20, v18, v19
.LBB384_466:
	s_or_b64 exec, exec, s[10:11]
.LBB384_467:
	s_or_b64 exec, exec, s[6:7]
.LBB384_468:
	s_or_b64 exec, exec, s[4:5]
	s_movk_i32 s3, 0xff
	v_and_b32_sdwa v19, v16, s3 dst_sel:DWORD dst_unused:UNUSED_PAD src0_sel:WORD_1 src1_sel:DWORD
	v_lshrrev_b32_e32 v18, 16, v16
	v_cmp_ne_u16_e32 vcc, 0, v19
	s_and_saveexec_b64 s[4:5], vcc
	s_cbranch_execz .LBB384_474
; %bb.469:
	s_movk_i32 s3, 0x80
	v_cmp_ne_u16_e32 vcc, s3, v19
	v_bfrev_b32_e32 v22, 1
	s_and_saveexec_b64 s[6:7], vcc
	s_cbranch_execz .LBB384_473
; %bb.470:
	v_bfe_u32 v19, v16, 16, 7
	s_movk_i32 s3, 0x7f
	v_cmp_ne_u32_e32 vcc, s3, v19
	v_mov_b32_e32 v22, 0x7f800001
	s_and_saveexec_b64 s[10:11], vcc
	s_cbranch_execz .LBB384_472
; %bb.471:
	v_and_b32_e32 v20, 7, v18
	v_ffbh_u32_e32 v24, v20
	v_min_u32_e32 v24, 32, v24
	v_subrev_u32_e32 v26, 28, v24
	v_lshlrev_b64 v[26:27], v26, v[18:19]
	v_sub_u32_e32 v18, 29, v24
	v_and_b32_e32 v24, 7, v26
	v_cmp_gt_u32_e32 vcc, 8, v19
	v_lshrrev_b32_e32 v22, 3, v19
	v_cndmask_b32_e32 v19, v20, v24, vcc
	v_mov_b32_e32 v20, 24
	v_cndmask_b32_e32 v18, v22, v18, vcc
	v_lshlrev_b32_sdwa v20, v20, v16 dst_sel:DWORD dst_unused:UNUSED_PAD src0_sel:DWORD src1_sel:WORD_1
	v_bfrev_b32_e32 v22, 60
	v_lshlrev_b32_e32 v19, 20, v19
	v_and_b32_e32 v20, 0x80000000, v20
	v_lshl_add_u32 v18, v18, 23, v22
	v_or3_b32 v22, v20, v18, v19
.LBB384_472:
	s_or_b64 exec, exec, s[10:11]
.LBB384_473:
	s_or_b64 exec, exec, s[6:7]
.LBB384_474:
	s_or_b64 exec, exec, s[4:5]
	s_mov_b32 s3, 0xffffff
	v_cmp_lt_u32_e32 vcc, s3, v16
	v_mov_b32_e32 v19, 0
	v_mov_b32_e32 v24, 0
	s_and_saveexec_b64 s[4:5], vcc
	s_cbranch_execz .LBB384_480
; %bb.475:
	v_lshrrev_b32_e32 v18, 24, v16
	s_movk_i32 s3, 0x80
	v_cmp_ne_u32_e32 vcc, s3, v18
	v_bfrev_b32_e32 v24, 1
	s_and_saveexec_b64 s[6:7], vcc
	s_cbranch_execz .LBB384_479
; %bb.476:
	v_bfe_u32 v20, v16, 24, 7
	s_movk_i32 s3, 0x7f
	v_cmp_ne_u32_e32 vcc, s3, v20
	v_mov_b32_e32 v24, 0x7f800001
	s_and_saveexec_b64 s[10:11], vcc
	s_cbranch_execz .LBB384_478
; %bb.477:
	v_and_b32_e32 v24, 7, v18
	v_ffbh_u32_e32 v26, v24
	v_min_u32_e32 v29, 32, v26
	v_subrev_u32_e32 v26, 28, v29
	v_lshlrev_b64 v[26:27], v26, v[18:19]
	v_lshrrev_b32_e32 v28, 3, v20
	v_sub_u32_e32 v27, 29, v29
	v_and_b32_e32 v26, 7, v26
	v_cmp_gt_u32_e32 vcc, 8, v20
	v_cndmask_b32_e32 v20, v28, v27, vcc
	v_cndmask_b32_e32 v24, v24, v26, vcc
	v_lshlrev_b32_e32 v18, 24, v18
	v_bfrev_b32_e32 v26, 60
	v_lshlrev_b32_e32 v24, 20, v24
	v_and_b32_e32 v18, 0x80000000, v18
	v_lshl_add_u32 v20, v20, 23, v26
	v_or3_b32 v24, v18, v20, v24
.LBB384_478:
	s_or_b64 exec, exec, s[10:11]
.LBB384_479:
	s_or_b64 exec, exec, s[6:7]
.LBB384_480:
	s_or_b64 exec, exec, s[4:5]
	v_mov_b32_e32 v18, v17
	v_cmp_ne_u16_sdwa s[6:7], v17, v19 src0_sel:BYTE_0 src1_sel:DWORD
	s_and_saveexec_b64 s[4:5], s[6:7]
	s_cbranch_execz .LBB384_486
; %bb.481:
	s_movk_i32 s3, 0x80
	v_cmp_ne_u16_sdwa s[10:11], v17, s3 src0_sel:BYTE_0 src1_sel:DWORD
	v_bfrev_b32_e32 v20, 1
	s_and_saveexec_b64 s[6:7], s[10:11]
	s_cbranch_execz .LBB384_485
; %bb.482:
	s_movk_i32 s3, 0x7f
	v_and_b32_e32 v26, 0x7f, v17
	v_cmp_ne_u32_e32 vcc, s3, v26
	v_mov_b32_e32 v20, 0x7f800001
	s_and_saveexec_b64 s[10:11], vcc
	s_cbranch_execz .LBB384_484
; %bb.483:
	v_and_b32_e32 v20, 7, v17
	v_ffbh_u32_e32 v20, v20
	v_min_u32_e32 v20, 32, v20
	v_subrev_u32_e32 v28, 28, v20
	v_cmp_gt_u32_e32 vcc, 8, v26
	v_lshrrev_b32_e32 v27, 3, v26
	v_sub_u32_e32 v20, 29, v20
	v_cndmask_b32_e32 v26, 0, v28, vcc
	v_cndmask_b32_e32 v20, v27, v20, vcc
	v_lshlrev_b64 v[26:27], v26, v[18:19]
	v_lshlrev_b32_e32 v19, 20, v26
	v_lshlrev_b32_e32 v26, 24, v18
	v_bfrev_b32_e32 v27, 60
	v_and_b32_e32 v19, 0x700000, v19
	v_and_b32_e32 v26, 0x80000000, v26
	v_lshl_add_u32 v20, v20, 23, v27
	v_or3_b32 v20, v26, v20, v19
.LBB384_484:
	s_or_b64 exec, exec, s[10:11]
.LBB384_485:
	s_or_b64 exec, exec, s[6:7]
	v_mov_b32_e32 v19, v20
.LBB384_486:
	s_or_b64 exec, exec, s[4:5]
	v_lshrrev_b16_e32 v20, 8, v18
	v_cmp_ne_u16_e32 vcc, 0, v20
	v_mov_b32_e32 v26, 0
	v_mov_b32_e32 v27, 0
	s_and_saveexec_b64 s[4:5], vcc
	s_cbranch_execz .LBB384_492
; %bb.487:
	s_movk_i32 s3, 0x80
	v_cmp_ne_u16_e32 vcc, s3, v20
	v_bfrev_b32_e32 v27, 1
	s_and_saveexec_b64 s[6:7], vcc
	s_cbranch_execz .LBB384_491
; %bb.488:
	s_movk_i32 s3, 0x7f
	v_and_b32_e32 v28, 0x7f, v20
	v_cmp_ne_u32_e32 vcc, s3, v28
	v_mov_b32_e32 v27, 0x7f800001
	s_and_saveexec_b64 s[10:11], vcc
	s_cbranch_execz .LBB384_490
; %bb.489:
	v_and_b32_e32 v27, 7, v20
	v_ffbh_u32_e32 v30, v27
	v_min_u32_e32 v32, 32, v30
	v_subrev_u32_e32 v30, 28, v32
	v_lshlrev_b64 v[30:31], v30, v[20:21]
	v_lshrrev_b32_e32 v29, 3, v28
	v_sub_u32_e32 v20, 29, v32
	v_and_b32_e32 v30, 7, v30
	v_cmp_gt_u32_e32 vcc, 8, v28
	v_cndmask_b32_e32 v20, v29, v20, vcc
	v_cndmask_b32_e32 v27, v27, v30, vcc
	v_lshlrev_b32_e32 v18, 16, v18
	v_bfrev_b32_e32 v28, 60
	v_lshlrev_b32_e32 v27, 20, v27
	v_and_b32_e32 v18, 0x80000000, v18
	v_lshl_add_u32 v20, v20, 23, v28
	v_or3_b32 v27, v18, v20, v27
.LBB384_490:
	s_or_b64 exec, exec, s[10:11]
.LBB384_491:
	s_or_b64 exec, exec, s[6:7]
.LBB384_492:
	s_or_b64 exec, exec, s[4:5]
	s_movk_i32 s3, 0xff
	v_and_b32_sdwa v20, v17, s3 dst_sel:DWORD dst_unused:UNUSED_PAD src0_sel:WORD_1 src1_sel:DWORD
	v_lshrrev_b32_e32 v18, 16, v17
	v_cmp_ne_u16_e32 vcc, 0, v20
	s_and_saveexec_b64 s[4:5], vcc
	s_cbranch_execz .LBB384_498
; %bb.493:
	s_movk_i32 s3, 0x80
	v_cmp_ne_u16_e32 vcc, s3, v20
	v_bfrev_b32_e32 v26, 1
	s_and_saveexec_b64 s[6:7], vcc
	s_cbranch_execz .LBB384_497
; %bb.494:
	v_bfe_u32 v20, v17, 16, 7
	s_movk_i32 s3, 0x7f
	v_cmp_ne_u32_e32 vcc, s3, v20
	v_mov_b32_e32 v26, 0x7f800001
	s_and_saveexec_b64 s[10:11], vcc
	s_cbranch_execz .LBB384_496
; %bb.495:
	v_and_b32_e32 v26, 7, v18
	v_ffbh_u32_e32 v28, v26
	v_min_u32_e32 v31, 32, v28
	v_subrev_u32_e32 v28, 28, v31
	v_lshlrev_b64 v[28:29], v28, v[18:19]
	v_and_b32_e32 v28, 7, v28
	v_cmp_gt_u32_e32 vcc, 8, v20
	v_lshrrev_b32_e32 v30, 3, v20
	v_sub_u32_e32 v18, 29, v31
	v_cndmask_b32_e32 v20, v26, v28, vcc
	v_mov_b32_e32 v26, 24
	v_cndmask_b32_e32 v18, v30, v18, vcc
	v_lshlrev_b32_sdwa v26, v26, v17 dst_sel:DWORD dst_unused:UNUSED_PAD src0_sel:DWORD src1_sel:WORD_1
	v_bfrev_b32_e32 v28, 60
	v_lshlrev_b32_e32 v20, 20, v20
	v_and_b32_e32 v26, 0x80000000, v26
	v_lshl_add_u32 v18, v18, 23, v28
	v_or3_b32 v26, v26, v18, v20
.LBB384_496:
	s_or_b64 exec, exec, s[10:11]
.LBB384_497:
	s_or_b64 exec, exec, s[6:7]
.LBB384_498:
	s_or_b64 exec, exec, s[4:5]
	s_mov_b32 s4, -1
	s_mov_b32 s5, 0xffffff
	v_cmp_lt_u64_e32 vcc, s[4:5], v[16:17]
	v_mov_b32_e32 v20, 0
	v_mov_b32_e32 v18, 0
	s_and_saveexec_b64 s[4:5], vcc
	s_cbranch_execz .LBB384_504
; %bb.499:
	v_lshrrev_b32_e32 v16, 24, v17
	s_movk_i32 s3, 0x80
	v_cmp_ne_u32_e32 vcc, s3, v16
	v_bfrev_b32_e32 v18, 1
	s_and_saveexec_b64 s[6:7], vcc
	s_cbranch_execz .LBB384_503
; %bb.500:
	v_bfe_u32 v17, v17, 24, 7
	s_movk_i32 s3, 0x7f
	v_cmp_ne_u32_e32 vcc, s3, v17
	v_mov_b32_e32 v18, 0x7f800001
	s_and_saveexec_b64 s[10:11], vcc
	s_cbranch_execz .LBB384_502
; %bb.501:
	v_and_b32_e32 v18, 7, v16
	v_ffbh_u32_e32 v28, v18
	v_min_u32_e32 v31, 32, v28
	v_subrev_u32_e32 v28, 28, v31
	v_lshlrev_b64 v[28:29], v28, v[16:17]
	v_lshrrev_b32_e32 v30, 3, v17
	v_sub_u32_e32 v29, 29, v31
	v_and_b32_e32 v28, 7, v28
	v_cmp_gt_u32_e32 vcc, 8, v17
	v_cndmask_b32_e32 v17, v30, v29, vcc
	v_cndmask_b32_e32 v18, v18, v28, vcc
	v_lshlrev_b32_e32 v16, 24, v16
	v_bfrev_b32_e32 v28, 60
	v_lshlrev_b32_e32 v18, 20, v18
	v_and_b32_e32 v16, 0x80000000, v16
	v_lshl_add_u32 v17, v17, 23, v28
	v_or3_b32 v18, v16, v17, v18
.LBB384_502:
	s_or_b64 exec, exec, s[10:11]
.LBB384_503:
	s_or_b64 exec, exec, s[6:7]
.LBB384_504:
	s_or_b64 exec, exec, s[4:5]
	v_cvt_pkrtz_f16_f32 v16, v21, v23
	v_cvt_pkrtz_f16_f32 v17, v22, v24
	;; [unrolled: 1-line block ×4, first 2 shown]
	v_mfma_f32_4x4x4f16 a[0:3], v[14:15], v[16:17], a[0:3] cbsz:4 abid:2
	s_waitcnt vmcnt(2)
	v_cmp_ne_u16_sdwa s[6:7], v10, v20 src0_sel:BYTE_0 src1_sel:DWORD
	v_mfma_f32_4x4x4f16 a[0:3], v[14:15], v[22:23], a[0:3] cbsz:4 abid:3
	s_and_saveexec_b64 s[4:5], s[6:7]
	s_cbranch_execz .LBB384_510
; %bb.505:
	s_movk_i32 s3, 0x80
	v_cmp_ne_u16_sdwa s[10:11], v10, s3 src0_sel:BYTE_0 src1_sel:DWORD
	v_bfrev_b32_e32 v20, 1
	s_and_saveexec_b64 s[6:7], s[10:11]
	s_cbranch_execz .LBB384_509
; %bb.506:
	s_movk_i32 s3, 0x7f
	v_and_b32_e32 v16, 0x7f, v10
	v_cmp_ne_u32_e32 vcc, s3, v16
	v_mov_b32_e32 v20, 0x7f800001
	s_and_saveexec_b64 s[10:11], vcc
	s_cbranch_execz .LBB384_508
; %bb.507:
	v_and_b32_e32 v17, 7, v10
	v_ffbh_u32_e32 v17, v17
	v_min_u32_e32 v17, 32, v17
	v_subrev_u32_e32 v19, 28, v17
	v_cmp_gt_u32_e32 vcc, 8, v16
	v_lshrrev_b32_e32 v18, 3, v16
	v_sub_u32_e32 v17, 29, v17
	v_cndmask_b32_e32 v16, 0, v19, vcc
	v_cndmask_b32_e32 v18, v18, v17, vcc
	v_lshlrev_b64 v[16:17], v16, v[10:11]
	v_lshlrev_b32_e32 v16, 20, v16
	v_lshlrev_b32_e32 v17, 24, v10
	v_bfrev_b32_e32 v19, 60
	v_and_b32_e32 v16, 0x700000, v16
	v_and_b32_e32 v17, 0x80000000, v17
	v_lshl_add_u32 v18, v18, 23, v19
	v_or3_b32 v20, v17, v18, v16
.LBB384_508:
	s_or_b64 exec, exec, s[10:11]
.LBB384_509:
	s_or_b64 exec, exec, s[6:7]
.LBB384_510:
	s_or_b64 exec, exec, s[4:5]
	v_lshrrev_b16_e32 v16, 8, v10
	v_cmp_ne_u16_e32 vcc, 0, v16
	v_mov_b32_e32 v19, 0
	v_mov_b32_e32 v21, 0
	s_and_saveexec_b64 s[4:5], vcc
	s_cbranch_execz .LBB384_516
; %bb.511:
	s_movk_i32 s3, 0x80
	v_cmp_ne_u16_e32 vcc, s3, v16
	v_bfrev_b32_e32 v21, 1
	s_and_saveexec_b64 s[6:7], vcc
	s_cbranch_execz .LBB384_515
; %bb.512:
	s_movk_i32 s3, 0x7f
	v_and_b32_e32 v17, 0x7f, v16
	v_cmp_ne_u32_e32 vcc, s3, v17
	v_mov_b32_e32 v21, 0x7f800001
	s_and_saveexec_b64 s[10:11], vcc
	s_cbranch_execz .LBB384_514
; %bb.513:
	v_and_b32_e32 v18, 7, v16
	v_ffbh_u32_e32 v22, v18
	v_min_u32_e32 v24, 32, v22
	v_subrev_u32_e32 v22, 28, v24
	v_lshlrev_b64 v[22:23], v22, v[16:17]
	v_lshrrev_b32_e32 v21, 3, v17
	v_sub_u32_e32 v16, 29, v24
	v_and_b32_e32 v22, 7, v22
	v_cmp_gt_u32_e32 vcc, 8, v17
	v_cndmask_b32_e32 v16, v21, v16, vcc
	v_cndmask_b32_e32 v17, v18, v22, vcc
	v_lshlrev_b32_e32 v18, 16, v10
	v_bfrev_b32_e32 v21, 60
	v_lshlrev_b32_e32 v17, 20, v17
	v_and_b32_e32 v18, 0x80000000, v18
	v_lshl_add_u32 v16, v16, 23, v21
	v_or3_b32 v21, v18, v16, v17
.LBB384_514:
	s_or_b64 exec, exec, s[10:11]
.LBB384_515:
	s_or_b64 exec, exec, s[6:7]
.LBB384_516:
	s_or_b64 exec, exec, s[4:5]
	s_movk_i32 s3, 0xff
	v_and_b32_sdwa v17, v10, s3 dst_sel:DWORD dst_unused:UNUSED_PAD src0_sel:WORD_1 src1_sel:DWORD
	v_lshrrev_b32_e32 v16, 16, v10
	v_cmp_ne_u16_e32 vcc, 0, v17
	s_and_saveexec_b64 s[4:5], vcc
	s_cbranch_execz .LBB384_522
; %bb.517:
	s_movk_i32 s3, 0x80
	v_cmp_ne_u16_e32 vcc, s3, v17
	v_bfrev_b32_e32 v19, 1
	s_and_saveexec_b64 s[6:7], vcc
	s_cbranch_execz .LBB384_521
; %bb.518:
	v_bfe_u32 v17, v10, 16, 7
	s_movk_i32 s3, 0x7f
	v_cmp_ne_u32_e32 vcc, s3, v17
	v_mov_b32_e32 v19, 0x7f800001
	s_and_saveexec_b64 s[10:11], vcc
	s_cbranch_execz .LBB384_520
; %bb.519:
	v_and_b32_e32 v22, 7, v16
	v_ffbh_u32_e32 v18, v22
	v_min_u32_e32 v24, 32, v18
	v_subrev_u32_e32 v18, 28, v24
	v_lshlrev_b64 v[18:19], v18, v[16:17]
	v_and_b32_e32 v18, 7, v18
	v_cmp_gt_u32_e32 vcc, 8, v17
	v_lshrrev_b32_e32 v23, 3, v17
	v_sub_u32_e32 v16, 29, v24
	v_cndmask_b32_e32 v17, v22, v18, vcc
	v_mov_b32_e32 v18, 24
	v_cndmask_b32_e32 v16, v23, v16, vcc
	v_lshlrev_b32_sdwa v18, v18, v10 dst_sel:DWORD dst_unused:UNUSED_PAD src0_sel:DWORD src1_sel:WORD_1
	v_bfrev_b32_e32 v19, 60
	v_lshlrev_b32_e32 v17, 20, v17
	v_and_b32_e32 v18, 0x80000000, v18
	v_lshl_add_u32 v16, v16, 23, v19
	v_or3_b32 v19, v18, v16, v17
.LBB384_520:
	s_or_b64 exec, exec, s[10:11]
.LBB384_521:
	s_or_b64 exec, exec, s[6:7]
.LBB384_522:
	s_or_b64 exec, exec, s[4:5]
	s_mov_b32 s3, 0xffffff
	v_cmp_lt_u32_e32 vcc, s3, v10
	v_mov_b32_e32 v17, 0
	v_mov_b32_e32 v22, 0
	s_and_saveexec_b64 s[4:5], vcc
	s_cbranch_execz .LBB384_528
; %bb.523:
	v_lshrrev_b32_e32 v16, 24, v10
	s_movk_i32 s3, 0x80
	v_cmp_ne_u32_e32 vcc, s3, v16
	v_bfrev_b32_e32 v22, 1
	s_and_saveexec_b64 s[6:7], vcc
	s_cbranch_execz .LBB384_527
; %bb.524:
	v_bfe_u32 v18, v10, 24, 7
	s_movk_i32 s3, 0x7f
	v_cmp_ne_u32_e32 vcc, s3, v18
	v_mov_b32_e32 v22, 0x7f800001
	s_and_saveexec_b64 s[10:11], vcc
	s_cbranch_execz .LBB384_526
; %bb.525:
	v_and_b32_e32 v24, 7, v16
	v_ffbh_u32_e32 v22, v24
	v_min_u32_e32 v27, 32, v22
	v_subrev_u32_e32 v22, 28, v27
	v_lshlrev_b64 v[22:23], v22, v[16:17]
	v_lshrrev_b32_e32 v26, 3, v18
	v_sub_u32_e32 v23, 29, v27
	v_and_b32_e32 v22, 7, v22
	v_cmp_gt_u32_e32 vcc, 8, v18
	v_cndmask_b32_e32 v18, v26, v23, vcc
	v_cndmask_b32_e32 v22, v24, v22, vcc
	v_lshlrev_b32_e32 v16, 24, v16
	v_bfrev_b32_e32 v23, 60
	v_lshlrev_b32_e32 v22, 20, v22
	v_and_b32_e32 v16, 0x80000000, v16
	v_lshl_add_u32 v18, v18, 23, v23
	v_or3_b32 v22, v16, v18, v22
.LBB384_526:
	s_or_b64 exec, exec, s[10:11]
.LBB384_527:
	s_or_b64 exec, exec, s[6:7]
.LBB384_528:
	s_or_b64 exec, exec, s[4:5]
	v_mov_b32_e32 v16, v11
	v_cmp_ne_u16_sdwa s[6:7], v11, v17 src0_sel:BYTE_0 src1_sel:DWORD
	s_and_saveexec_b64 s[4:5], s[6:7]
	s_cbranch_execz .LBB384_534
; %bb.529:
	s_movk_i32 s3, 0x80
	v_cmp_ne_u16_sdwa s[10:11], v11, s3 src0_sel:BYTE_0 src1_sel:DWORD
	v_bfrev_b32_e32 v18, 1
	s_and_saveexec_b64 s[6:7], s[10:11]
	s_cbranch_execz .LBB384_533
; %bb.530:
	s_movk_i32 s3, 0x7f
	v_and_b32_e32 v23, 0x7f, v11
	v_cmp_ne_u32_e32 vcc, s3, v23
	v_mov_b32_e32 v18, 0x7f800001
	s_and_saveexec_b64 s[10:11], vcc
	s_cbranch_execz .LBB384_532
; %bb.531:
	v_and_b32_e32 v18, 7, v11
	v_ffbh_u32_e32 v18, v18
	v_min_u32_e32 v18, 32, v18
	v_subrev_u32_e32 v26, 28, v18
	v_cmp_gt_u32_e32 vcc, 8, v23
	v_lshrrev_b32_e32 v24, 3, v23
	v_cndmask_b32_e32 v23, 0, v26, vcc
	v_sub_u32_e32 v18, 29, v18
	v_lshlrev_b64 v[26:27], v23, v[16:17]
	v_cndmask_b32_e32 v18, v24, v18, vcc
	v_lshlrev_b32_e32 v17, 20, v26
	v_lshlrev_b32_e32 v23, 24, v16
	v_bfrev_b32_e32 v24, 60
	v_and_b32_e32 v17, 0x700000, v17
	v_and_b32_e32 v23, 0x80000000, v23
	v_lshl_add_u32 v18, v18, 23, v24
	v_or3_b32 v18, v23, v18, v17
.LBB384_532:
	s_or_b64 exec, exec, s[10:11]
.LBB384_533:
	s_or_b64 exec, exec, s[6:7]
	v_mov_b32_e32 v17, v18
.LBB384_534:
	s_or_b64 exec, exec, s[4:5]
	v_lshrrev_b16_e32 v18, 8, v16
	v_cmp_ne_u16_e32 vcc, 0, v18
	v_mov_b32_e32 v23, 0
	v_mov_b32_e32 v24, 0
	s_and_saveexec_b64 s[4:5], vcc
	s_cbranch_execz .LBB384_540
; %bb.535:
	s_movk_i32 s3, 0x80
	v_cmp_ne_u16_e32 vcc, s3, v18
	v_bfrev_b32_e32 v24, 1
	s_and_saveexec_b64 s[6:7], vcc
	s_cbranch_execz .LBB384_539
; %bb.536:
	s_movk_i32 s3, 0x7f
	v_and_b32_e32 v26, 0x7f, v18
	v_cmp_ne_u32_e32 vcc, s3, v26
	v_mov_b32_e32 v24, 0x7f800001
	s_and_saveexec_b64 s[10:11], vcc
	s_cbranch_execz .LBB384_538
; %bb.537:
	v_and_b32_e32 v24, 7, v18
	v_ffbh_u32_e32 v28, v24
	v_min_u32_e32 v30, 32, v28
	v_subrev_u32_e32 v28, 28, v30
	v_lshlrev_b64 v[28:29], v28, v[18:19]
	v_lshrrev_b32_e32 v27, 3, v26
	v_sub_u32_e32 v18, 29, v30
	v_and_b32_e32 v28, 7, v28
	v_cmp_gt_u32_e32 vcc, 8, v26
	v_cndmask_b32_e32 v18, v27, v18, vcc
	v_cndmask_b32_e32 v24, v24, v28, vcc
	v_lshlrev_b32_e32 v16, 16, v16
	v_bfrev_b32_e32 v26, 60
	v_lshlrev_b32_e32 v24, 20, v24
	v_and_b32_e32 v16, 0x80000000, v16
	v_lshl_add_u32 v18, v18, 23, v26
	v_or3_b32 v24, v16, v18, v24
.LBB384_538:
	s_or_b64 exec, exec, s[10:11]
.LBB384_539:
	s_or_b64 exec, exec, s[6:7]
.LBB384_540:
	s_or_b64 exec, exec, s[4:5]
	s_movk_i32 s3, 0xff
	v_and_b32_sdwa v18, v11, s3 dst_sel:DWORD dst_unused:UNUSED_PAD src0_sel:WORD_1 src1_sel:DWORD
	v_lshrrev_b32_e32 v16, 16, v11
	v_cmp_ne_u16_e32 vcc, 0, v18
	s_and_saveexec_b64 s[4:5], vcc
	s_cbranch_execz .LBB384_546
; %bb.541:
	s_movk_i32 s3, 0x80
	v_cmp_ne_u16_e32 vcc, s3, v18
	v_bfrev_b32_e32 v23, 1
	s_and_saveexec_b64 s[6:7], vcc
	s_cbranch_execz .LBB384_545
; %bb.542:
	v_bfe_u32 v18, v11, 16, 7
	s_movk_i32 s3, 0x7f
	v_cmp_ne_u32_e32 vcc, s3, v18
	v_mov_b32_e32 v23, 0x7f800001
	s_and_saveexec_b64 s[10:11], vcc
	s_cbranch_execz .LBB384_544
; %bb.543:
	v_and_b32_e32 v23, 7, v16
	v_ffbh_u32_e32 v26, v23
	v_min_u32_e32 v29, 32, v26
	v_subrev_u32_e32 v26, 28, v29
	v_lshlrev_b64 v[26:27], v26, v[16:17]
	v_and_b32_e32 v26, 7, v26
	v_cmp_gt_u32_e32 vcc, 8, v18
	v_lshrrev_b32_e32 v28, 3, v18
	v_sub_u32_e32 v16, 29, v29
	v_cndmask_b32_e32 v18, v23, v26, vcc
	v_mov_b32_e32 v23, 24
	v_cndmask_b32_e32 v16, v28, v16, vcc
	v_lshlrev_b32_sdwa v23, v23, v11 dst_sel:DWORD dst_unused:UNUSED_PAD src0_sel:DWORD src1_sel:WORD_1
	v_bfrev_b32_e32 v26, 60
	v_lshlrev_b32_e32 v18, 20, v18
	v_and_b32_e32 v23, 0x80000000, v23
	v_lshl_add_u32 v16, v16, 23, v26
	v_or3_b32 v23, v23, v16, v18
.LBB384_544:
	s_or_b64 exec, exec, s[10:11]
.LBB384_545:
	s_or_b64 exec, exec, s[6:7]
.LBB384_546:
	s_or_b64 exec, exec, s[4:5]
	s_mov_b32 s4, -1
	s_mov_b32 s5, 0xffffff
	v_cmp_lt_u64_e32 vcc, s[4:5], v[10:11]
	v_mov_b32_e32 v18, 0
	v_mov_b32_e32 v16, 0
	s_and_saveexec_b64 s[4:5], vcc
	s_cbranch_execz .LBB384_552
; %bb.547:
	v_lshrrev_b32_e32 v10, 24, v11
	s_movk_i32 s3, 0x80
	v_cmp_ne_u32_e32 vcc, s3, v10
	v_bfrev_b32_e32 v16, 1
	s_and_saveexec_b64 s[6:7], vcc
	s_cbranch_execz .LBB384_551
; %bb.548:
	v_bfe_u32 v11, v11, 24, 7
	s_movk_i32 s3, 0x7f
	v_cmp_ne_u32_e32 vcc, s3, v11
	v_mov_b32_e32 v16, 0x7f800001
	s_and_saveexec_b64 s[10:11], vcc
	s_cbranch_execz .LBB384_550
; %bb.549:
	v_and_b32_e32 v16, 7, v10
	v_ffbh_u32_e32 v26, v16
	v_min_u32_e32 v29, 32, v26
	v_subrev_u32_e32 v26, 28, v29
	v_lshlrev_b64 v[26:27], v26, v[10:11]
	v_lshrrev_b32_e32 v28, 3, v11
	v_sub_u32_e32 v27, 29, v29
	v_and_b32_e32 v26, 7, v26
	v_cmp_gt_u32_e32 vcc, 8, v11
	v_cndmask_b32_e32 v11, v28, v27, vcc
	v_cndmask_b32_e32 v16, v16, v26, vcc
	v_lshlrev_b32_e32 v10, 24, v10
	v_bfrev_b32_e32 v26, 60
	v_lshlrev_b32_e32 v16, 20, v16
	v_and_b32_e32 v10, 0x80000000, v10
	v_lshl_add_u32 v11, v11, 23, v26
	v_or3_b32 v16, v10, v11, v16
.LBB384_550:
	s_or_b64 exec, exec, s[10:11]
.LBB384_551:
	s_or_b64 exec, exec, s[6:7]
.LBB384_552:
	s_or_b64 exec, exec, s[4:5]
	v_cvt_pkrtz_f16_f32 v10, v20, v21
	v_cvt_pkrtz_f16_f32 v11, v19, v22
	;; [unrolled: 1-line block ×4, first 2 shown]
	v_mfma_f32_4x4x4f16 a[0:3], v[14:15], v[10:11], a[0:3] cbsz:4 abid:4
	v_cmp_ne_u16_sdwa s[6:7], v12, v18 src0_sel:BYTE_0 src1_sel:DWORD
	v_mfma_f32_4x4x4f16 a[0:3], v[14:15], v[20:21], a[0:3] cbsz:4 abid:5
	s_and_saveexec_b64 s[4:5], s[6:7]
	s_cbranch_execz .LBB384_558
; %bb.553:
	s_movk_i32 s3, 0x80
	v_cmp_ne_u16_sdwa s[10:11], v12, s3 src0_sel:BYTE_0 src1_sel:DWORD
	v_bfrev_b32_e32 v18, 1
	s_and_saveexec_b64 s[6:7], s[10:11]
	s_cbranch_execz .LBB384_557
; %bb.554:
	s_movk_i32 s3, 0x7f
	v_and_b32_e32 v10, 0x7f, v12
	v_cmp_ne_u32_e32 vcc, s3, v10
	v_mov_b32_e32 v18, 0x7f800001
	s_and_saveexec_b64 s[10:11], vcc
	s_cbranch_execz .LBB384_556
; %bb.555:
	v_and_b32_e32 v11, 7, v12
	v_ffbh_u32_e32 v11, v11
	v_min_u32_e32 v11, 32, v11
	v_subrev_u32_e32 v17, 28, v11
	v_cmp_gt_u32_e32 vcc, 8, v10
	v_lshrrev_b32_e32 v16, 3, v10
	v_sub_u32_e32 v11, 29, v11
	v_cndmask_b32_e32 v10, 0, v17, vcc
	v_cndmask_b32_e32 v16, v16, v11, vcc
	v_lshlrev_b64 v[10:11], v10, v[12:13]
	v_lshlrev_b32_e32 v10, 20, v10
	v_lshlrev_b32_e32 v11, 24, v12
	v_bfrev_b32_e32 v17, 60
	v_and_b32_e32 v10, 0x700000, v10
	v_and_b32_e32 v11, 0x80000000, v11
	v_lshl_add_u32 v16, v16, 23, v17
	v_or3_b32 v18, v11, v16, v10
.LBB384_556:
	s_or_b64 exec, exec, s[10:11]
.LBB384_557:
	s_or_b64 exec, exec, s[6:7]
.LBB384_558:
	s_or_b64 exec, exec, s[4:5]
	v_lshrrev_b16_e32 v10, 8, v12
	v_cmp_ne_u16_e32 vcc, 0, v10
	v_mov_b32_e32 v17, 0
	v_mov_b32_e32 v19, 0
	s_and_saveexec_b64 s[4:5], vcc
	s_cbranch_execz .LBB384_564
; %bb.559:
	s_movk_i32 s3, 0x80
	v_cmp_ne_u16_e32 vcc, s3, v10
	v_bfrev_b32_e32 v19, 1
	s_and_saveexec_b64 s[6:7], vcc
	s_cbranch_execz .LBB384_563
; %bb.560:
	s_movk_i32 s3, 0x7f
	v_and_b32_e32 v11, 0x7f, v10
	v_cmp_ne_u32_e32 vcc, s3, v11
	v_mov_b32_e32 v19, 0x7f800001
	s_and_saveexec_b64 s[10:11], vcc
	s_cbranch_execz .LBB384_562
; %bb.561:
	v_and_b32_e32 v16, 7, v10
	v_ffbh_u32_e32 v20, v16
	v_min_u32_e32 v22, 32, v20
	v_subrev_u32_e32 v20, 28, v22
	v_lshlrev_b64 v[20:21], v20, v[10:11]
	v_lshrrev_b32_e32 v19, 3, v11
	v_sub_u32_e32 v10, 29, v22
	v_and_b32_e32 v20, 7, v20
	v_cmp_gt_u32_e32 vcc, 8, v11
	v_cndmask_b32_e32 v10, v19, v10, vcc
	v_cndmask_b32_e32 v11, v16, v20, vcc
	v_lshlrev_b32_e32 v16, 16, v12
	v_bfrev_b32_e32 v19, 60
	v_lshlrev_b32_e32 v11, 20, v11
	v_and_b32_e32 v16, 0x80000000, v16
	v_lshl_add_u32 v10, v10, 23, v19
	v_or3_b32 v19, v16, v10, v11
.LBB384_562:
	s_or_b64 exec, exec, s[10:11]
.LBB384_563:
	s_or_b64 exec, exec, s[6:7]
.LBB384_564:
	s_or_b64 exec, exec, s[4:5]
	s_movk_i32 s3, 0xff
	v_and_b32_sdwa v11, v12, s3 dst_sel:DWORD dst_unused:UNUSED_PAD src0_sel:WORD_1 src1_sel:DWORD
	v_lshrrev_b32_e32 v10, 16, v12
	v_cmp_ne_u16_e32 vcc, 0, v11
	s_and_saveexec_b64 s[4:5], vcc
	s_cbranch_execz .LBB384_570
; %bb.565:
	s_movk_i32 s3, 0x80
	v_cmp_ne_u16_e32 vcc, s3, v11
	v_bfrev_b32_e32 v17, 1
	s_and_saveexec_b64 s[6:7], vcc
	s_cbranch_execz .LBB384_569
; %bb.566:
	v_bfe_u32 v11, v12, 16, 7
	s_movk_i32 s3, 0x7f
	v_cmp_ne_u32_e32 vcc, s3, v11
	v_mov_b32_e32 v17, 0x7f800001
	s_and_saveexec_b64 s[10:11], vcc
	s_cbranch_execz .LBB384_568
; %bb.567:
	v_and_b32_e32 v20, 7, v10
	v_ffbh_u32_e32 v16, v20
	v_min_u32_e32 v22, 32, v16
	v_subrev_u32_e32 v16, 28, v22
	v_lshlrev_b64 v[16:17], v16, v[10:11]
	v_and_b32_e32 v16, 7, v16
	v_cmp_gt_u32_e32 vcc, 8, v11
	v_lshrrev_b32_e32 v21, 3, v11
	v_sub_u32_e32 v10, 29, v22
	v_cndmask_b32_e32 v11, v20, v16, vcc
	v_mov_b32_e32 v16, 24
	v_cndmask_b32_e32 v10, v21, v10, vcc
	v_lshlrev_b32_sdwa v16, v16, v12 dst_sel:DWORD dst_unused:UNUSED_PAD src0_sel:DWORD src1_sel:WORD_1
	v_bfrev_b32_e32 v17, 60
	v_lshlrev_b32_e32 v11, 20, v11
	v_and_b32_e32 v16, 0x80000000, v16
	v_lshl_add_u32 v10, v10, 23, v17
	v_or3_b32 v17, v16, v10, v11
.LBB384_568:
	s_or_b64 exec, exec, s[10:11]
.LBB384_569:
	s_or_b64 exec, exec, s[6:7]
.LBB384_570:
	s_or_b64 exec, exec, s[4:5]
	s_mov_b32 s3, 0xffffff
	v_cmp_lt_u32_e32 vcc, s3, v12
	v_mov_b32_e32 v11, 0
	v_mov_b32_e32 v20, 0
	s_and_saveexec_b64 s[4:5], vcc
	s_cbranch_execz .LBB384_576
; %bb.571:
	v_lshrrev_b32_e32 v10, 24, v12
	s_movk_i32 s3, 0x80
	v_cmp_ne_u32_e32 vcc, s3, v10
	v_bfrev_b32_e32 v20, 1
	s_and_saveexec_b64 s[6:7], vcc
	s_cbranch_execz .LBB384_575
; %bb.572:
	v_bfe_u32 v16, v12, 24, 7
	s_movk_i32 s3, 0x7f
	v_cmp_ne_u32_e32 vcc, s3, v16
	v_mov_b32_e32 v20, 0x7f800001
	s_and_saveexec_b64 s[10:11], vcc
	s_cbranch_execz .LBB384_574
; %bb.573:
	v_and_b32_e32 v22, 7, v10
	v_ffbh_u32_e32 v20, v22
	v_min_u32_e32 v24, 32, v20
	v_subrev_u32_e32 v20, 28, v24
	v_lshlrev_b64 v[20:21], v20, v[10:11]
	v_lshrrev_b32_e32 v23, 3, v16
	v_sub_u32_e32 v21, 29, v24
	v_and_b32_e32 v20, 7, v20
	v_cmp_gt_u32_e32 vcc, 8, v16
	v_cndmask_b32_e32 v16, v23, v21, vcc
	v_cndmask_b32_e32 v20, v22, v20, vcc
	v_lshlrev_b32_e32 v10, 24, v10
	v_bfrev_b32_e32 v21, 60
	v_lshlrev_b32_e32 v20, 20, v20
	v_and_b32_e32 v10, 0x80000000, v10
	v_lshl_add_u32 v16, v16, 23, v21
	v_or3_b32 v20, v10, v16, v20
.LBB384_574:
	s_or_b64 exec, exec, s[10:11]
.LBB384_575:
	s_or_b64 exec, exec, s[6:7]
.LBB384_576:
	s_or_b64 exec, exec, s[4:5]
	v_mov_b32_e32 v10, v13
	v_cmp_ne_u16_sdwa s[6:7], v13, v11 src0_sel:BYTE_0 src1_sel:DWORD
	s_and_saveexec_b64 s[4:5], s[6:7]
	s_cbranch_execz .LBB384_582
; %bb.577:
	s_movk_i32 s3, 0x80
	v_cmp_ne_u16_sdwa s[10:11], v13, s3 src0_sel:BYTE_0 src1_sel:DWORD
	v_bfrev_b32_e32 v16, 1
	s_and_saveexec_b64 s[6:7], s[10:11]
	s_cbranch_execz .LBB384_581
; %bb.578:
	s_movk_i32 s3, 0x7f
	v_and_b32_e32 v21, 0x7f, v13
	v_cmp_ne_u32_e32 vcc, s3, v21
	v_mov_b32_e32 v16, 0x7f800001
	s_and_saveexec_b64 s[10:11], vcc
	s_cbranch_execz .LBB384_580
; %bb.579:
	v_and_b32_e32 v16, 7, v13
	v_ffbh_u32_e32 v16, v16
	v_min_u32_e32 v16, 32, v16
	v_subrev_u32_e32 v23, 28, v16
	v_cmp_gt_u32_e32 vcc, 8, v21
	v_lshrrev_b32_e32 v22, 3, v21
	v_sub_u32_e32 v16, 29, v16
	v_cndmask_b32_e32 v21, 0, v23, vcc
	v_cndmask_b32_e32 v16, v22, v16, vcc
	v_lshlrev_b64 v[22:23], v21, v[10:11]
	v_lshlrev_b32_e32 v11, 20, v22
	v_lshlrev_b32_e32 v21, 24, v10
	v_bfrev_b32_e32 v22, 60
	v_and_b32_e32 v11, 0x700000, v11
	v_and_b32_e32 v21, 0x80000000, v21
	v_lshl_add_u32 v16, v16, 23, v22
	v_or3_b32 v16, v21, v16, v11
.LBB384_580:
	s_or_b64 exec, exec, s[10:11]
.LBB384_581:
	s_or_b64 exec, exec, s[6:7]
	v_mov_b32_e32 v11, v16
.LBB384_582:
	s_or_b64 exec, exec, s[4:5]
	v_lshrrev_b16_e32 v16, 8, v10
	v_cmp_ne_u16_e32 vcc, 0, v16
	v_mov_b32_e32 v21, 0
	v_mov_b32_e32 v22, 0
	s_and_saveexec_b64 s[4:5], vcc
	s_cbranch_execz .LBB384_588
; %bb.583:
	s_movk_i32 s3, 0x80
	v_cmp_ne_u16_e32 vcc, s3, v16
	v_bfrev_b32_e32 v22, 1
	s_and_saveexec_b64 s[6:7], vcc
	s_cbranch_execz .LBB384_587
; %bb.584:
	s_movk_i32 s3, 0x7f
	v_and_b32_e32 v23, 0x7f, v16
	v_cmp_ne_u32_e32 vcc, s3, v23
	v_mov_b32_e32 v22, 0x7f800001
	s_and_saveexec_b64 s[10:11], vcc
	s_cbranch_execz .LBB384_586
; %bb.585:
	v_and_b32_e32 v22, 7, v16
	v_ffbh_u32_e32 v26, v22
	v_min_u32_e32 v28, 32, v26
	v_subrev_u32_e32 v26, 28, v28
	v_lshlrev_b64 v[26:27], v26, v[16:17]
	v_lshrrev_b32_e32 v24, 3, v23
	v_sub_u32_e32 v16, 29, v28
	v_and_b32_e32 v26, 7, v26
	v_cmp_gt_u32_e32 vcc, 8, v23
	v_cndmask_b32_e32 v16, v24, v16, vcc
	v_cndmask_b32_e32 v22, v22, v26, vcc
	v_lshlrev_b32_e32 v10, 16, v10
	v_bfrev_b32_e32 v23, 60
	v_lshlrev_b32_e32 v22, 20, v22
	v_and_b32_e32 v10, 0x80000000, v10
	v_lshl_add_u32 v16, v16, 23, v23
	v_or3_b32 v22, v10, v16, v22
.LBB384_586:
	s_or_b64 exec, exec, s[10:11]
.LBB384_587:
	s_or_b64 exec, exec, s[6:7]
.LBB384_588:
	s_or_b64 exec, exec, s[4:5]
	s_movk_i32 s3, 0xff
	v_and_b32_sdwa v16, v13, s3 dst_sel:DWORD dst_unused:UNUSED_PAD src0_sel:WORD_1 src1_sel:DWORD
	v_lshrrev_b32_e32 v10, 16, v13
	v_cmp_ne_u16_e32 vcc, 0, v16
	s_and_saveexec_b64 s[4:5], vcc
	s_cbranch_execz .LBB384_594
; %bb.589:
	s_movk_i32 s3, 0x80
	v_cmp_ne_u16_e32 vcc, s3, v16
	v_bfrev_b32_e32 v21, 1
	s_and_saveexec_b64 s[6:7], vcc
	s_cbranch_execz .LBB384_593
; %bb.590:
	v_bfe_u32 v16, v13, 16, 7
	s_movk_i32 s3, 0x7f
	v_cmp_ne_u32_e32 vcc, s3, v16
	v_mov_b32_e32 v21, 0x7f800001
	s_and_saveexec_b64 s[10:11], vcc
	s_cbranch_execz .LBB384_592
; %bb.591:
	v_and_b32_e32 v21, 7, v10
	v_ffbh_u32_e32 v24, v21
	v_min_u32_e32 v24, 32, v24
	v_subrev_u32_e32 v26, 28, v24
	v_lshlrev_b64 v[26:27], v26, v[10:11]
	v_sub_u32_e32 v10, 29, v24
	v_and_b32_e32 v24, 7, v26
	v_cmp_gt_u32_e32 vcc, 8, v16
	v_lshrrev_b32_e32 v23, 3, v16
	v_cndmask_b32_e32 v16, v21, v24, vcc
	v_mov_b32_e32 v21, 24
	v_cndmask_b32_e32 v10, v23, v10, vcc
	v_lshlrev_b32_sdwa v21, v21, v13 dst_sel:DWORD dst_unused:UNUSED_PAD src0_sel:DWORD src1_sel:WORD_1
	v_bfrev_b32_e32 v23, 60
	v_lshlrev_b32_e32 v16, 20, v16
	v_and_b32_e32 v21, 0x80000000, v21
	v_lshl_add_u32 v10, v10, 23, v23
	v_or3_b32 v21, v21, v10, v16
.LBB384_592:
	s_or_b64 exec, exec, s[10:11]
.LBB384_593:
	s_or_b64 exec, exec, s[6:7]
.LBB384_594:
	s_or_b64 exec, exec, s[4:5]
	s_mov_b32 s4, -1
	s_mov_b32 s5, 0xffffff
	v_cmp_lt_u64_e32 vcc, s[4:5], v[12:13]
	v_mov_b32_e32 v16, 0
	v_mov_b32_e32 v12, 0
	s_and_saveexec_b64 s[4:5], vcc
	s_cbranch_execz .LBB384_600
; %bb.595:
	v_lshrrev_b32_e32 v10, 24, v13
	s_movk_i32 s3, 0x80
	v_cmp_ne_u32_e32 vcc, s3, v10
	v_bfrev_b32_e32 v12, 1
	s_and_saveexec_b64 s[6:7], vcc
	s_cbranch_execz .LBB384_599
; %bb.596:
	v_bfe_u32 v13, v13, 24, 7
	s_movk_i32 s3, 0x7f
	v_cmp_ne_u32_e32 vcc, s3, v13
	v_mov_b32_e32 v12, 0x7f800001
	s_and_saveexec_b64 s[10:11], vcc
	s_cbranch_execz .LBB384_598
; %bb.597:
	v_and_b32_e32 v12, 7, v10
	v_ffbh_u32_e32 v24, v12
	v_min_u32_e32 v24, 32, v24
	v_subrev_u32_e32 v26, 28, v24
	v_lshlrev_b64 v[26:27], v26, v[10:11]
	v_lshrrev_b32_e32 v23, 3, v13
	v_sub_u32_e32 v24, 29, v24
	v_and_b32_e32 v26, 7, v26
	v_cmp_gt_u32_e32 vcc, 8, v13
	v_cndmask_b32_e32 v13, v23, v24, vcc
	v_cndmask_b32_e32 v12, v12, v26, vcc
	v_lshlrev_b32_e32 v10, 24, v10
	v_bfrev_b32_e32 v23, 60
	v_lshlrev_b32_e32 v12, 20, v12
	v_and_b32_e32 v10, 0x80000000, v10
	v_lshl_add_u32 v13, v13, 23, v23
	v_or3_b32 v12, v10, v13, v12
.LBB384_598:
	s_or_b64 exec, exec, s[10:11]
.LBB384_599:
	s_or_b64 exec, exec, s[6:7]
.LBB384_600:
	s_or_b64 exec, exec, s[4:5]
	v_cvt_pkrtz_f16_f32 v18, v18, v19
	v_cvt_pkrtz_f16_f32 v19, v17, v20
	v_cvt_pkrtz_f16_f32 v10, v11, v22
	v_cvt_pkrtz_f16_f32 v11, v21, v12
	v_mfma_f32_4x4x4f16 a[0:3], v[14:15], v[18:19], a[0:3] cbsz:4 abid:6
	s_waitcnt vmcnt(1)
	v_cmp_ne_u16_sdwa s[6:7], v6, v16 src0_sel:BYTE_0 src1_sel:DWORD
	v_mfma_f32_4x4x4f16 a[0:3], v[14:15], v[10:11], a[0:3] cbsz:4 abid:7
	s_and_saveexec_b64 s[4:5], s[6:7]
	s_cbranch_execz .LBB384_606
; %bb.601:
	s_movk_i32 s3, 0x80
	v_cmp_ne_u16_sdwa s[10:11], v6, s3 src0_sel:BYTE_0 src1_sel:DWORD
	v_bfrev_b32_e32 v16, 1
	s_and_saveexec_b64 s[6:7], s[10:11]
	s_cbranch_execz .LBB384_605
; %bb.602:
	s_movk_i32 s3, 0x7f
	v_and_b32_e32 v10, 0x7f, v6
	v_cmp_ne_u32_e32 vcc, s3, v10
	v_mov_b32_e32 v16, 0x7f800001
	s_and_saveexec_b64 s[10:11], vcc
	s_cbranch_execz .LBB384_604
; %bb.603:
	v_and_b32_e32 v11, 7, v6
	v_ffbh_u32_e32 v11, v11
	v_min_u32_e32 v11, 32, v11
	v_subrev_u32_e32 v13, 28, v11
	v_cmp_gt_u32_e32 vcc, 8, v10
	v_lshrrev_b32_e32 v12, 3, v10
	v_sub_u32_e32 v11, 29, v11
	v_cndmask_b32_e32 v10, 0, v13, vcc
	v_cndmask_b32_e32 v12, v12, v11, vcc
	v_lshlrev_b64 v[10:11], v10, v[6:7]
	v_lshlrev_b32_e32 v10, 20, v10
	v_lshlrev_b32_e32 v11, 24, v6
	v_bfrev_b32_e32 v13, 60
	v_and_b32_e32 v10, 0x700000, v10
	v_and_b32_e32 v11, 0x80000000, v11
	v_lshl_add_u32 v12, v12, 23, v13
	v_or3_b32 v16, v11, v12, v10
.LBB384_604:
	s_or_b64 exec, exec, s[10:11]
.LBB384_605:
	s_or_b64 exec, exec, s[6:7]
.LBB384_606:
	s_or_b64 exec, exec, s[4:5]
	v_lshrrev_b16_e32 v10, 8, v6
	v_cmp_ne_u16_e32 vcc, 0, v10
	v_mov_b32_e32 v13, 0
	v_mov_b32_e32 v17, 0
	s_and_saveexec_b64 s[4:5], vcc
	s_cbranch_execz .LBB384_612
; %bb.607:
	s_movk_i32 s3, 0x80
	v_cmp_ne_u16_e32 vcc, s3, v10
	v_bfrev_b32_e32 v17, 1
	s_and_saveexec_b64 s[6:7], vcc
	s_cbranch_execz .LBB384_611
; %bb.608:
	s_movk_i32 s3, 0x7f
	v_and_b32_e32 v11, 0x7f, v10
	v_cmp_ne_u32_e32 vcc, s3, v11
	v_mov_b32_e32 v17, 0x7f800001
	s_and_saveexec_b64 s[10:11], vcc
	s_cbranch_execz .LBB384_610
; %bb.609:
	v_and_b32_e32 v12, 7, v10
	v_ffbh_u32_e32 v18, v12
	v_min_u32_e32 v20, 32, v18
	v_subrev_u32_e32 v18, 28, v20
	v_lshlrev_b64 v[18:19], v18, v[10:11]
	v_lshrrev_b32_e32 v17, 3, v11
	v_sub_u32_e32 v10, 29, v20
	v_and_b32_e32 v18, 7, v18
	v_cmp_gt_u32_e32 vcc, 8, v11
	v_cndmask_b32_e32 v10, v17, v10, vcc
	v_cndmask_b32_e32 v11, v12, v18, vcc
	v_lshlrev_b32_e32 v12, 16, v6
	v_bfrev_b32_e32 v17, 60
	v_lshlrev_b32_e32 v11, 20, v11
	v_and_b32_e32 v12, 0x80000000, v12
	v_lshl_add_u32 v10, v10, 23, v17
	v_or3_b32 v17, v12, v10, v11
.LBB384_610:
	s_or_b64 exec, exec, s[10:11]
.LBB384_611:
	s_or_b64 exec, exec, s[6:7]
.LBB384_612:
	s_or_b64 exec, exec, s[4:5]
	s_movk_i32 s3, 0xff
	v_and_b32_sdwa v11, v6, s3 dst_sel:DWORD dst_unused:UNUSED_PAD src0_sel:WORD_1 src1_sel:DWORD
	v_lshrrev_b32_e32 v10, 16, v6
	v_cmp_ne_u16_e32 vcc, 0, v11
	s_and_saveexec_b64 s[4:5], vcc
	s_cbranch_execz .LBB384_618
; %bb.613:
	s_movk_i32 s3, 0x80
	v_cmp_ne_u16_e32 vcc, s3, v11
	v_bfrev_b32_e32 v13, 1
	s_and_saveexec_b64 s[6:7], vcc
	s_cbranch_execz .LBB384_617
; %bb.614:
	v_bfe_u32 v11, v6, 16, 7
	s_movk_i32 s3, 0x7f
	v_cmp_ne_u32_e32 vcc, s3, v11
	v_mov_b32_e32 v13, 0x7f800001
	s_and_saveexec_b64 s[10:11], vcc
	s_cbranch_execz .LBB384_616
; %bb.615:
	v_and_b32_e32 v18, 7, v10
	v_ffbh_u32_e32 v12, v18
	v_min_u32_e32 v20, 32, v12
	v_subrev_u32_e32 v12, 28, v20
	v_lshlrev_b64 v[12:13], v12, v[10:11]
	v_and_b32_e32 v12, 7, v12
	v_cmp_gt_u32_e32 vcc, 8, v11
	v_lshrrev_b32_e32 v19, 3, v11
	v_sub_u32_e32 v10, 29, v20
	v_cndmask_b32_e32 v11, v18, v12, vcc
	v_mov_b32_e32 v12, 24
	v_cndmask_b32_e32 v10, v19, v10, vcc
	v_lshlrev_b32_sdwa v12, v12, v6 dst_sel:DWORD dst_unused:UNUSED_PAD src0_sel:DWORD src1_sel:WORD_1
	v_bfrev_b32_e32 v13, 60
	v_lshlrev_b32_e32 v11, 20, v11
	v_and_b32_e32 v12, 0x80000000, v12
	v_lshl_add_u32 v10, v10, 23, v13
	v_or3_b32 v13, v12, v10, v11
.LBB384_616:
	s_or_b64 exec, exec, s[10:11]
.LBB384_617:
	s_or_b64 exec, exec, s[6:7]
.LBB384_618:
	s_or_b64 exec, exec, s[4:5]
	s_mov_b32 s3, 0xffffff
	v_cmp_lt_u32_e32 vcc, s3, v6
	v_mov_b32_e32 v11, 0
	v_mov_b32_e32 v18, 0
	s_and_saveexec_b64 s[4:5], vcc
	s_cbranch_execz .LBB384_624
; %bb.619:
	v_lshrrev_b32_e32 v10, 24, v6
	s_movk_i32 s3, 0x80
	v_cmp_ne_u32_e32 vcc, s3, v10
	v_bfrev_b32_e32 v18, 1
	s_and_saveexec_b64 s[6:7], vcc
	s_cbranch_execz .LBB384_623
; %bb.620:
	v_bfe_u32 v12, v6, 24, 7
	s_movk_i32 s3, 0x7f
	v_cmp_ne_u32_e32 vcc, s3, v12
	v_mov_b32_e32 v18, 0x7f800001
	s_and_saveexec_b64 s[10:11], vcc
	s_cbranch_execz .LBB384_622
; %bb.621:
	v_and_b32_e32 v20, 7, v10
	v_ffbh_u32_e32 v18, v20
	v_min_u32_e32 v22, 32, v18
	v_subrev_u32_e32 v18, 28, v22
	v_lshlrev_b64 v[18:19], v18, v[10:11]
	v_lshrrev_b32_e32 v21, 3, v12
	v_sub_u32_e32 v19, 29, v22
	v_and_b32_e32 v18, 7, v18
	v_cmp_gt_u32_e32 vcc, 8, v12
	v_cndmask_b32_e32 v12, v21, v19, vcc
	v_cndmask_b32_e32 v18, v20, v18, vcc
	v_lshlrev_b32_e32 v10, 24, v10
	v_bfrev_b32_e32 v19, 60
	v_lshlrev_b32_e32 v18, 20, v18
	v_and_b32_e32 v10, 0x80000000, v10
	v_lshl_add_u32 v12, v12, 23, v19
	v_or3_b32 v18, v10, v12, v18
.LBB384_622:
	s_or_b64 exec, exec, s[10:11]
.LBB384_623:
	s_or_b64 exec, exec, s[6:7]
.LBB384_624:
	s_or_b64 exec, exec, s[4:5]
	v_mov_b32_e32 v10, v7
	v_cmp_ne_u16_sdwa s[6:7], v7, v11 src0_sel:BYTE_0 src1_sel:DWORD
	s_and_saveexec_b64 s[4:5], s[6:7]
	s_cbranch_execz .LBB384_630
; %bb.625:
	s_movk_i32 s3, 0x80
	v_cmp_ne_u16_sdwa s[10:11], v7, s3 src0_sel:BYTE_0 src1_sel:DWORD
	v_bfrev_b32_e32 v12, 1
	s_and_saveexec_b64 s[6:7], s[10:11]
	s_cbranch_execz .LBB384_629
; %bb.626:
	s_movk_i32 s3, 0x7f
	v_and_b32_e32 v19, 0x7f, v7
	v_cmp_ne_u32_e32 vcc, s3, v19
	v_mov_b32_e32 v12, 0x7f800001
	s_and_saveexec_b64 s[10:11], vcc
	s_cbranch_execz .LBB384_628
; %bb.627:
	v_and_b32_e32 v12, 7, v7
	v_ffbh_u32_e32 v12, v12
	v_min_u32_e32 v12, 32, v12
	v_subrev_u32_e32 v21, 28, v12
	v_cmp_gt_u32_e32 vcc, 8, v19
	v_lshrrev_b32_e32 v20, 3, v19
	v_sub_u32_e32 v12, 29, v12
	v_cndmask_b32_e32 v19, 0, v21, vcc
	v_cndmask_b32_e32 v12, v20, v12, vcc
	v_lshlrev_b64 v[20:21], v19, v[10:11]
	v_lshlrev_b32_e32 v11, 20, v20
	v_lshlrev_b32_e32 v19, 24, v10
	v_bfrev_b32_e32 v20, 60
	v_and_b32_e32 v11, 0x700000, v11
	v_and_b32_e32 v19, 0x80000000, v19
	v_lshl_add_u32 v12, v12, 23, v20
	v_or3_b32 v12, v19, v12, v11
.LBB384_628:
	s_or_b64 exec, exec, s[10:11]
.LBB384_629:
	s_or_b64 exec, exec, s[6:7]
	v_mov_b32_e32 v11, v12
.LBB384_630:
	s_or_b64 exec, exec, s[4:5]
	v_lshrrev_b16_e32 v12, 8, v10
	v_cmp_ne_u16_e32 vcc, 0, v12
	v_mov_b32_e32 v19, 0
	v_mov_b32_e32 v20, 0
	s_and_saveexec_b64 s[4:5], vcc
	s_cbranch_execz .LBB384_636
; %bb.631:
	s_movk_i32 s3, 0x80
	v_cmp_ne_u16_e32 vcc, s3, v12
	v_bfrev_b32_e32 v20, 1
	s_and_saveexec_b64 s[6:7], vcc
	s_cbranch_execz .LBB384_635
; %bb.632:
	s_movk_i32 s3, 0x7f
	v_and_b32_e32 v21, 0x7f, v12
	v_cmp_ne_u32_e32 vcc, s3, v21
	v_mov_b32_e32 v20, 0x7f800001
	s_and_saveexec_b64 s[10:11], vcc
	s_cbranch_execz .LBB384_634
; %bb.633:
	v_and_b32_e32 v20, 7, v12
	v_ffbh_u32_e32 v22, v20
	v_min_u32_e32 v26, 32, v22
	v_subrev_u32_e32 v22, 28, v26
	v_lshlrev_b64 v[22:23], v22, v[12:13]
	v_lshrrev_b32_e32 v24, 3, v21
	v_sub_u32_e32 v12, 29, v26
	v_and_b32_e32 v22, 7, v22
	v_cmp_gt_u32_e32 vcc, 8, v21
	v_cndmask_b32_e32 v12, v24, v12, vcc
	v_cndmask_b32_e32 v20, v20, v22, vcc
	v_lshlrev_b32_e32 v10, 16, v10
	v_bfrev_b32_e32 v21, 60
	v_lshlrev_b32_e32 v20, 20, v20
	v_and_b32_e32 v10, 0x80000000, v10
	v_lshl_add_u32 v12, v12, 23, v21
	v_or3_b32 v20, v10, v12, v20
.LBB384_634:
	s_or_b64 exec, exec, s[10:11]
.LBB384_635:
	s_or_b64 exec, exec, s[6:7]
.LBB384_636:
	s_or_b64 exec, exec, s[4:5]
	s_movk_i32 s3, 0xff
	v_and_b32_sdwa v12, v7, s3 dst_sel:DWORD dst_unused:UNUSED_PAD src0_sel:WORD_1 src1_sel:DWORD
	v_lshrrev_b32_e32 v10, 16, v7
	v_cmp_ne_u16_e32 vcc, 0, v12
	s_and_saveexec_b64 s[4:5], vcc
	s_cbranch_execz .LBB384_642
; %bb.637:
	s_movk_i32 s3, 0x80
	v_cmp_ne_u16_e32 vcc, s3, v12
	v_bfrev_b32_e32 v19, 1
	s_and_saveexec_b64 s[6:7], vcc
	s_cbranch_execz .LBB384_641
; %bb.638:
	v_bfe_u32 v12, v7, 16, 7
	s_movk_i32 s3, 0x7f
	v_cmp_ne_u32_e32 vcc, s3, v12
	v_mov_b32_e32 v19, 0x7f800001
	s_and_saveexec_b64 s[10:11], vcc
	s_cbranch_execz .LBB384_640
; %bb.639:
	v_and_b32_e32 v19, 7, v10
	v_ffbh_u32_e32 v22, v19
	v_min_u32_e32 v24, 32, v22
	v_subrev_u32_e32 v22, 28, v24
	v_lshlrev_b64 v[22:23], v22, v[10:11]
	v_and_b32_e32 v22, 7, v22
	v_cmp_gt_u32_e32 vcc, 8, v12
	v_lshrrev_b32_e32 v21, 3, v12
	v_sub_u32_e32 v10, 29, v24
	v_cndmask_b32_e32 v12, v19, v22, vcc
	v_mov_b32_e32 v19, 24
	v_cndmask_b32_e32 v10, v21, v10, vcc
	v_lshlrev_b32_sdwa v19, v19, v7 dst_sel:DWORD dst_unused:UNUSED_PAD src0_sel:DWORD src1_sel:WORD_1
	v_bfrev_b32_e32 v21, 60
	v_lshlrev_b32_e32 v12, 20, v12
	v_and_b32_e32 v19, 0x80000000, v19
	v_lshl_add_u32 v10, v10, 23, v21
	v_or3_b32 v19, v19, v10, v12
.LBB384_640:
	s_or_b64 exec, exec, s[10:11]
.LBB384_641:
	s_or_b64 exec, exec, s[6:7]
.LBB384_642:
	s_or_b64 exec, exec, s[4:5]
	s_mov_b32 s4, -1
	s_mov_b32 s5, 0xffffff
	v_cmp_lt_u64_e32 vcc, s[4:5], v[6:7]
	v_mov_b32_e32 v12, 0
	v_mov_b32_e32 v10, 0
	s_and_saveexec_b64 s[4:5], vcc
	s_cbranch_execz .LBB384_648
; %bb.643:
	v_lshrrev_b32_e32 v6, 24, v7
	s_movk_i32 s3, 0x80
	v_cmp_ne_u32_e32 vcc, s3, v6
	v_bfrev_b32_e32 v10, 1
	s_and_saveexec_b64 s[6:7], vcc
	s_cbranch_execz .LBB384_647
; %bb.644:
	v_bfe_u32 v7, v7, 24, 7
	s_movk_i32 s3, 0x7f
	v_cmp_ne_u32_e32 vcc, s3, v7
	v_mov_b32_e32 v10, 0x7f800001
	s_and_saveexec_b64 s[10:11], vcc
	s_cbranch_execz .LBB384_646
; %bb.645:
	v_and_b32_e32 v10, 7, v6
	v_ffbh_u32_e32 v22, v10
	v_min_u32_e32 v24, 32, v22
	v_subrev_u32_e32 v22, 28, v24
	v_lshlrev_b64 v[22:23], v22, v[6:7]
	v_lshrrev_b32_e32 v21, 3, v7
	v_sub_u32_e32 v23, 29, v24
	v_and_b32_e32 v22, 7, v22
	v_cmp_gt_u32_e32 vcc, 8, v7
	v_cndmask_b32_e32 v7, v21, v23, vcc
	v_cndmask_b32_e32 v10, v10, v22, vcc
	v_lshlrev_b32_e32 v6, 24, v6
	v_bfrev_b32_e32 v21, 60
	v_lshlrev_b32_e32 v10, 20, v10
	v_and_b32_e32 v6, 0x80000000, v6
	v_lshl_add_u32 v7, v7, 23, v21
	v_or3_b32 v10, v6, v7, v10
.LBB384_646:
	s_or_b64 exec, exec, s[10:11]
.LBB384_647:
	s_or_b64 exec, exec, s[6:7]
.LBB384_648:
	s_or_b64 exec, exec, s[4:5]
	v_cvt_pkrtz_f16_f32 v6, v16, v17
	v_cvt_pkrtz_f16_f32 v7, v13, v18
	;; [unrolled: 1-line block ×4, first 2 shown]
	v_mfma_f32_4x4x4f16 a[0:3], v[14:15], v[6:7], a[0:3] cbsz:4 abid:8
	v_cmp_ne_u16_sdwa s[6:7], v8, v12 src0_sel:BYTE_0 src1_sel:DWORD
	v_mfma_f32_4x4x4f16 a[0:3], v[14:15], v[16:17], a[0:3] cbsz:4 abid:9
	s_and_saveexec_b64 s[4:5], s[6:7]
	s_cbranch_execz .LBB384_654
; %bb.649:
	s_movk_i32 s3, 0x80
	v_cmp_ne_u16_sdwa s[10:11], v8, s3 src0_sel:BYTE_0 src1_sel:DWORD
	v_bfrev_b32_e32 v12, 1
	s_and_saveexec_b64 s[6:7], s[10:11]
	s_cbranch_execz .LBB384_653
; %bb.650:
	s_movk_i32 s3, 0x7f
	v_and_b32_e32 v6, 0x7f, v8
	v_cmp_ne_u32_e32 vcc, s3, v6
	v_mov_b32_e32 v12, 0x7f800001
	s_and_saveexec_b64 s[10:11], vcc
	s_cbranch_execz .LBB384_652
; %bb.651:
	v_and_b32_e32 v7, 7, v8
	v_ffbh_u32_e32 v7, v7
	v_min_u32_e32 v7, 32, v7
	v_subrev_u32_e32 v11, 28, v7
	v_cmp_gt_u32_e32 vcc, 8, v6
	v_lshrrev_b32_e32 v10, 3, v6
	v_sub_u32_e32 v7, 29, v7
	v_cndmask_b32_e32 v6, 0, v11, vcc
	v_cndmask_b32_e32 v10, v10, v7, vcc
	v_lshlrev_b64 v[6:7], v6, v[8:9]
	v_lshlrev_b32_e32 v6, 20, v6
	v_lshlrev_b32_e32 v7, 24, v8
	v_bfrev_b32_e32 v11, 60
	v_and_b32_e32 v6, 0x700000, v6
	v_and_b32_e32 v7, 0x80000000, v7
	v_lshl_add_u32 v10, v10, 23, v11
	v_or3_b32 v12, v7, v10, v6
.LBB384_652:
	s_or_b64 exec, exec, s[10:11]
.LBB384_653:
	s_or_b64 exec, exec, s[6:7]
.LBB384_654:
	s_or_b64 exec, exec, s[4:5]
	v_lshrrev_b16_e32 v6, 8, v8
	v_cmp_ne_u16_e32 vcc, 0, v6
	v_mov_b32_e32 v11, 0
	v_mov_b32_e32 v13, 0
	s_and_saveexec_b64 s[4:5], vcc
	s_cbranch_execz .LBB384_660
; %bb.655:
	s_movk_i32 s3, 0x80
	v_cmp_ne_u16_e32 vcc, s3, v6
	v_bfrev_b32_e32 v13, 1
	s_and_saveexec_b64 s[6:7], vcc
	s_cbranch_execz .LBB384_659
; %bb.656:
	s_movk_i32 s3, 0x7f
	v_and_b32_e32 v7, 0x7f, v6
	v_cmp_ne_u32_e32 vcc, s3, v7
	v_mov_b32_e32 v13, 0x7f800001
	s_and_saveexec_b64 s[10:11], vcc
	s_cbranch_execz .LBB384_658
; %bb.657:
	v_and_b32_e32 v10, 7, v6
	v_ffbh_u32_e32 v16, v10
	v_min_u32_e32 v18, 32, v16
	v_subrev_u32_e32 v16, 28, v18
	v_lshlrev_b64 v[16:17], v16, v[6:7]
	v_lshrrev_b32_e32 v13, 3, v7
	v_sub_u32_e32 v6, 29, v18
	v_and_b32_e32 v16, 7, v16
	v_cmp_gt_u32_e32 vcc, 8, v7
	v_cndmask_b32_e32 v6, v13, v6, vcc
	v_cndmask_b32_e32 v7, v10, v16, vcc
	v_lshlrev_b32_e32 v10, 16, v8
	v_bfrev_b32_e32 v13, 60
	v_lshlrev_b32_e32 v7, 20, v7
	v_and_b32_e32 v10, 0x80000000, v10
	v_lshl_add_u32 v6, v6, 23, v13
	v_or3_b32 v13, v10, v6, v7
.LBB384_658:
	s_or_b64 exec, exec, s[10:11]
.LBB384_659:
	s_or_b64 exec, exec, s[6:7]
.LBB384_660:
	s_or_b64 exec, exec, s[4:5]
	s_movk_i32 s3, 0xff
	v_and_b32_sdwa v7, v8, s3 dst_sel:DWORD dst_unused:UNUSED_PAD src0_sel:WORD_1 src1_sel:DWORD
	v_lshrrev_b32_e32 v6, 16, v8
	v_cmp_ne_u16_e32 vcc, 0, v7
	s_and_saveexec_b64 s[4:5], vcc
	s_cbranch_execz .LBB384_666
; %bb.661:
	s_movk_i32 s3, 0x80
	v_cmp_ne_u16_e32 vcc, s3, v7
	v_bfrev_b32_e32 v11, 1
	s_and_saveexec_b64 s[6:7], vcc
	s_cbranch_execz .LBB384_665
; %bb.662:
	v_bfe_u32 v7, v8, 16, 7
	s_movk_i32 s3, 0x7f
	v_cmp_ne_u32_e32 vcc, s3, v7
	v_mov_b32_e32 v11, 0x7f800001
	s_and_saveexec_b64 s[10:11], vcc
	s_cbranch_execz .LBB384_664
; %bb.663:
	v_and_b32_e32 v16, 7, v6
	v_ffbh_u32_e32 v10, v16
	v_min_u32_e32 v18, 32, v10
	v_subrev_u32_e32 v10, 28, v18
	v_lshlrev_b64 v[10:11], v10, v[6:7]
	v_and_b32_e32 v10, 7, v10
	v_cmp_gt_u32_e32 vcc, 8, v7
	v_lshrrev_b32_e32 v17, 3, v7
	v_sub_u32_e32 v6, 29, v18
	v_cndmask_b32_e32 v7, v16, v10, vcc
	v_mov_b32_e32 v10, 24
	v_cndmask_b32_e32 v6, v17, v6, vcc
	v_lshlrev_b32_sdwa v10, v10, v8 dst_sel:DWORD dst_unused:UNUSED_PAD src0_sel:DWORD src1_sel:WORD_1
	v_bfrev_b32_e32 v11, 60
	v_lshlrev_b32_e32 v7, 20, v7
	v_and_b32_e32 v10, 0x80000000, v10
	v_lshl_add_u32 v6, v6, 23, v11
	v_or3_b32 v11, v10, v6, v7
.LBB384_664:
	s_or_b64 exec, exec, s[10:11]
.LBB384_665:
	s_or_b64 exec, exec, s[6:7]
.LBB384_666:
	s_or_b64 exec, exec, s[4:5]
	s_mov_b32 s3, 0xffffff
	v_cmp_lt_u32_e32 vcc, s3, v8
	v_mov_b32_e32 v7, 0
	v_mov_b32_e32 v16, 0
	s_and_saveexec_b64 s[4:5], vcc
	s_cbranch_execz .LBB384_672
; %bb.667:
	v_lshrrev_b32_e32 v6, 24, v8
	s_movk_i32 s3, 0x80
	v_cmp_ne_u32_e32 vcc, s3, v6
	v_bfrev_b32_e32 v16, 1
	s_and_saveexec_b64 s[6:7], vcc
	s_cbranch_execz .LBB384_671
; %bb.668:
	v_bfe_u32 v10, v8, 24, 7
	s_movk_i32 s3, 0x7f
	v_cmp_ne_u32_e32 vcc, s3, v10
	v_mov_b32_e32 v16, 0x7f800001
	s_and_saveexec_b64 s[10:11], vcc
	s_cbranch_execz .LBB384_670
; %bb.669:
	v_and_b32_e32 v18, 7, v6
	v_ffbh_u32_e32 v16, v18
	v_min_u32_e32 v20, 32, v16
	v_subrev_u32_e32 v16, 28, v20
	v_lshlrev_b64 v[16:17], v16, v[6:7]
	v_lshrrev_b32_e32 v19, 3, v10
	v_sub_u32_e32 v17, 29, v20
	v_and_b32_e32 v16, 7, v16
	v_cmp_gt_u32_e32 vcc, 8, v10
	v_cndmask_b32_e32 v10, v19, v17, vcc
	v_cndmask_b32_e32 v16, v18, v16, vcc
	v_lshlrev_b32_e32 v6, 24, v6
	v_bfrev_b32_e32 v17, 60
	v_lshlrev_b32_e32 v16, 20, v16
	v_and_b32_e32 v6, 0x80000000, v6
	v_lshl_add_u32 v10, v10, 23, v17
	v_or3_b32 v16, v6, v10, v16
.LBB384_670:
	s_or_b64 exec, exec, s[10:11]
.LBB384_671:
	s_or_b64 exec, exec, s[6:7]
.LBB384_672:
	s_or_b64 exec, exec, s[4:5]
	v_mov_b32_e32 v6, v9
	v_cmp_ne_u16_sdwa s[6:7], v9, v7 src0_sel:BYTE_0 src1_sel:DWORD
	s_and_saveexec_b64 s[4:5], s[6:7]
	s_cbranch_execz .LBB384_678
; %bb.673:
	s_movk_i32 s3, 0x80
	v_cmp_ne_u16_sdwa s[10:11], v9, s3 src0_sel:BYTE_0 src1_sel:DWORD
	v_bfrev_b32_e32 v10, 1
	s_and_saveexec_b64 s[6:7], s[10:11]
	s_cbranch_execz .LBB384_677
; %bb.674:
	s_movk_i32 s3, 0x7f
	v_and_b32_e32 v17, 0x7f, v9
	v_cmp_ne_u32_e32 vcc, s3, v17
	v_mov_b32_e32 v10, 0x7f800001
	s_and_saveexec_b64 s[10:11], vcc
	s_cbranch_execz .LBB384_676
; %bb.675:
	v_and_b32_e32 v10, 7, v9
	v_ffbh_u32_e32 v10, v10
	v_min_u32_e32 v10, 32, v10
	v_subrev_u32_e32 v19, 28, v10
	v_cmp_gt_u32_e32 vcc, 8, v17
	v_lshrrev_b32_e32 v18, 3, v17
	v_sub_u32_e32 v10, 29, v10
	v_cndmask_b32_e32 v17, 0, v19, vcc
	v_cndmask_b32_e32 v10, v18, v10, vcc
	v_lshlrev_b64 v[18:19], v17, v[6:7]
	v_lshlrev_b32_e32 v7, 20, v18
	v_lshlrev_b32_e32 v17, 24, v6
	v_bfrev_b32_e32 v18, 60
	v_and_b32_e32 v7, 0x700000, v7
	v_and_b32_e32 v17, 0x80000000, v17
	v_lshl_add_u32 v10, v10, 23, v18
	v_or3_b32 v10, v17, v10, v7
.LBB384_676:
	s_or_b64 exec, exec, s[10:11]
.LBB384_677:
	s_or_b64 exec, exec, s[6:7]
	v_mov_b32_e32 v7, v10
.LBB384_678:
	s_or_b64 exec, exec, s[4:5]
	v_lshrrev_b16_e32 v10, 8, v6
	v_cmp_ne_u16_e32 vcc, 0, v10
	v_mov_b32_e32 v17, 0
	v_mov_b32_e32 v18, 0
	s_and_saveexec_b64 s[4:5], vcc
	s_cbranch_execz .LBB384_684
; %bb.679:
	s_movk_i32 s3, 0x80
	v_cmp_ne_u16_e32 vcc, s3, v10
	v_bfrev_b32_e32 v18, 1
	s_and_saveexec_b64 s[6:7], vcc
	s_cbranch_execz .LBB384_683
; %bb.680:
	s_movk_i32 s3, 0x7f
	v_and_b32_e32 v19, 0x7f, v10
	v_cmp_ne_u32_e32 vcc, s3, v19
	v_mov_b32_e32 v18, 0x7f800001
	s_and_saveexec_b64 s[10:11], vcc
	s_cbranch_execz .LBB384_682
; %bb.681:
	v_and_b32_e32 v18, 7, v10
	v_ffbh_u32_e32 v20, v18
	v_min_u32_e32 v23, 32, v20
	v_subrev_u32_e32 v20, 28, v23
	v_lshlrev_b64 v[20:21], v20, v[10:11]
	v_lshrrev_b32_e32 v22, 3, v19
	v_sub_u32_e32 v10, 29, v23
	v_and_b32_e32 v20, 7, v20
	v_cmp_gt_u32_e32 vcc, 8, v19
	v_cndmask_b32_e32 v10, v22, v10, vcc
	v_cndmask_b32_e32 v18, v18, v20, vcc
	v_lshlrev_b32_e32 v6, 16, v6
	v_bfrev_b32_e32 v19, 60
	v_lshlrev_b32_e32 v18, 20, v18
	v_and_b32_e32 v6, 0x80000000, v6
	v_lshl_add_u32 v10, v10, 23, v19
	v_or3_b32 v18, v6, v10, v18
.LBB384_682:
	s_or_b64 exec, exec, s[10:11]
.LBB384_683:
	s_or_b64 exec, exec, s[6:7]
.LBB384_684:
	s_or_b64 exec, exec, s[4:5]
	s_movk_i32 s3, 0xff
	v_and_b32_sdwa v10, v9, s3 dst_sel:DWORD dst_unused:UNUSED_PAD src0_sel:WORD_1 src1_sel:DWORD
	v_lshrrev_b32_e32 v6, 16, v9
	v_cmp_ne_u16_e32 vcc, 0, v10
	s_and_saveexec_b64 s[4:5], vcc
	s_cbranch_execz .LBB384_690
; %bb.685:
	s_movk_i32 s3, 0x80
	v_cmp_ne_u16_e32 vcc, s3, v10
	v_bfrev_b32_e32 v17, 1
	s_and_saveexec_b64 s[6:7], vcc
	s_cbranch_execz .LBB384_689
; %bb.686:
	v_bfe_u32 v10, v9, 16, 7
	s_movk_i32 s3, 0x7f
	v_cmp_ne_u32_e32 vcc, s3, v10
	v_mov_b32_e32 v17, 0x7f800001
	s_and_saveexec_b64 s[10:11], vcc
	s_cbranch_execz .LBB384_688
; %bb.687:
	v_and_b32_e32 v17, 7, v6
	v_ffbh_u32_e32 v20, v17
	v_min_u32_e32 v22, 32, v20
	v_subrev_u32_e32 v20, 28, v22
	v_lshlrev_b64 v[20:21], v20, v[6:7]
	v_and_b32_e32 v20, 7, v20
	v_cmp_gt_u32_e32 vcc, 8, v10
	v_lshrrev_b32_e32 v19, 3, v10
	v_sub_u32_e32 v6, 29, v22
	v_cndmask_b32_e32 v10, v17, v20, vcc
	v_mov_b32_e32 v17, 24
	v_cndmask_b32_e32 v6, v19, v6, vcc
	v_lshlrev_b32_sdwa v17, v17, v9 dst_sel:DWORD dst_unused:UNUSED_PAD src0_sel:DWORD src1_sel:WORD_1
	v_bfrev_b32_e32 v19, 60
	v_lshlrev_b32_e32 v10, 20, v10
	v_and_b32_e32 v17, 0x80000000, v17
	v_lshl_add_u32 v6, v6, 23, v19
	v_or3_b32 v17, v17, v6, v10
.LBB384_688:
	s_or_b64 exec, exec, s[10:11]
.LBB384_689:
	s_or_b64 exec, exec, s[6:7]
.LBB384_690:
	s_or_b64 exec, exec, s[4:5]
	s_mov_b32 s4, -1
	s_mov_b32 s5, 0xffffff
	v_cmp_lt_u64_e32 vcc, s[4:5], v[8:9]
	v_mov_b32_e32 v10, 0
	v_mov_b32_e32 v8, 0
	s_and_saveexec_b64 s[4:5], vcc
	s_cbranch_execz .LBB384_696
; %bb.691:
	v_lshrrev_b32_e32 v6, 24, v9
	s_movk_i32 s3, 0x80
	v_cmp_ne_u32_e32 vcc, s3, v6
	v_bfrev_b32_e32 v8, 1
	s_and_saveexec_b64 s[6:7], vcc
	s_cbranch_execz .LBB384_695
; %bb.692:
	v_bfe_u32 v9, v9, 24, 7
	s_movk_i32 s3, 0x7f
	v_cmp_ne_u32_e32 vcc, s3, v9
	v_mov_b32_e32 v8, 0x7f800001
	s_and_saveexec_b64 s[10:11], vcc
	s_cbranch_execz .LBB384_694
; %bb.693:
	v_and_b32_e32 v8, 7, v6
	v_ffbh_u32_e32 v20, v8
	v_min_u32_e32 v22, 32, v20
	v_subrev_u32_e32 v20, 28, v22
	v_lshlrev_b64 v[20:21], v20, v[6:7]
	v_lshrrev_b32_e32 v19, 3, v9
	v_sub_u32_e32 v21, 29, v22
	v_and_b32_e32 v20, 7, v20
	v_cmp_gt_u32_e32 vcc, 8, v9
	v_cndmask_b32_e32 v9, v19, v21, vcc
	v_cndmask_b32_e32 v8, v8, v20, vcc
	v_lshlrev_b32_e32 v6, 24, v6
	v_bfrev_b32_e32 v19, 60
	v_lshlrev_b32_e32 v8, 20, v8
	v_and_b32_e32 v6, 0x80000000, v6
	v_lshl_add_u32 v9, v9, 23, v19
	v_or3_b32 v8, v6, v9, v8
.LBB384_694:
	s_or_b64 exec, exec, s[10:11]
.LBB384_695:
	s_or_b64 exec, exec, s[6:7]
.LBB384_696:
	s_or_b64 exec, exec, s[4:5]
	v_cvt_pkrtz_f16_f32 v12, v12, v13
	v_cvt_pkrtz_f16_f32 v13, v11, v16
	;; [unrolled: 1-line block ×4, first 2 shown]
	v_mfma_f32_4x4x4f16 a[0:3], v[14:15], v[12:13], a[0:3] cbsz:4 abid:10
	s_waitcnt vmcnt(0)
	v_cmp_ne_u16_sdwa s[6:7], v2, v10 src0_sel:BYTE_0 src1_sel:DWORD
	v_mfma_f32_4x4x4f16 a[0:3], v[14:15], v[6:7], a[0:3] cbsz:4 abid:11
	s_and_saveexec_b64 s[4:5], s[6:7]
	s_cbranch_execz .LBB384_702
; %bb.697:
	s_movk_i32 s3, 0x80
	v_cmp_ne_u16_sdwa s[10:11], v2, s3 src0_sel:BYTE_0 src1_sel:DWORD
	v_bfrev_b32_e32 v10, 1
	s_and_saveexec_b64 s[6:7], s[10:11]
	s_cbranch_execz .LBB384_701
; %bb.698:
	s_movk_i32 s3, 0x7f
	v_and_b32_e32 v6, 0x7f, v2
	v_cmp_ne_u32_e32 vcc, s3, v6
	v_mov_b32_e32 v10, 0x7f800001
	s_and_saveexec_b64 s[10:11], vcc
	s_cbranch_execz .LBB384_700
; %bb.699:
	v_and_b32_e32 v7, 7, v2
	v_ffbh_u32_e32 v7, v7
	v_min_u32_e32 v7, 32, v7
	v_subrev_u32_e32 v9, 28, v7
	v_cmp_gt_u32_e32 vcc, 8, v6
	v_lshrrev_b32_e32 v8, 3, v6
	v_sub_u32_e32 v7, 29, v7
	v_cndmask_b32_e32 v6, 0, v9, vcc
	v_cndmask_b32_e32 v8, v8, v7, vcc
	v_lshlrev_b64 v[6:7], v6, v[2:3]
	v_lshlrev_b32_e32 v6, 20, v6
	v_lshlrev_b32_e32 v7, 24, v2
	v_bfrev_b32_e32 v9, 60
	v_and_b32_e32 v6, 0x700000, v6
	v_and_b32_e32 v7, 0x80000000, v7
	v_lshl_add_u32 v8, v8, 23, v9
	v_or3_b32 v10, v7, v8, v6
.LBB384_700:
	s_or_b64 exec, exec, s[10:11]
.LBB384_701:
	s_or_b64 exec, exec, s[6:7]
.LBB384_702:
	s_or_b64 exec, exec, s[4:5]
	v_lshrrev_b16_e32 v6, 8, v2
	v_cmp_ne_u16_e32 vcc, 0, v6
	v_mov_b32_e32 v9, 0
	v_mov_b32_e32 v11, 0
	s_and_saveexec_b64 s[4:5], vcc
	s_cbranch_execz .LBB384_708
; %bb.703:
	s_movk_i32 s3, 0x80
	v_cmp_ne_u16_e32 vcc, s3, v6
	v_bfrev_b32_e32 v11, 1
	s_and_saveexec_b64 s[6:7], vcc
	s_cbranch_execz .LBB384_707
; %bb.704:
	s_movk_i32 s3, 0x7f
	v_and_b32_e32 v7, 0x7f, v6
	v_cmp_ne_u32_e32 vcc, s3, v7
	v_mov_b32_e32 v11, 0x7f800001
	s_and_saveexec_b64 s[10:11], vcc
	s_cbranch_execz .LBB384_706
; %bb.705:
	v_and_b32_e32 v8, 7, v6
	v_ffbh_u32_e32 v12, v8
	v_min_u32_e32 v16, 32, v12
	v_subrev_u32_e32 v12, 28, v16
	v_lshlrev_b64 v[12:13], v12, v[6:7]
	v_lshrrev_b32_e32 v11, 3, v7
	v_sub_u32_e32 v6, 29, v16
	v_and_b32_e32 v12, 7, v12
	v_cmp_gt_u32_e32 vcc, 8, v7
	v_cndmask_b32_e32 v6, v11, v6, vcc
	v_cndmask_b32_e32 v7, v8, v12, vcc
	v_lshlrev_b32_e32 v8, 16, v2
	v_bfrev_b32_e32 v11, 60
	v_lshlrev_b32_e32 v7, 20, v7
	v_and_b32_e32 v8, 0x80000000, v8
	v_lshl_add_u32 v6, v6, 23, v11
	v_or3_b32 v11, v8, v6, v7
.LBB384_706:
	s_or_b64 exec, exec, s[10:11]
.LBB384_707:
	s_or_b64 exec, exec, s[6:7]
.LBB384_708:
	s_or_b64 exec, exec, s[4:5]
	s_movk_i32 s3, 0xff
	v_and_b32_sdwa v7, v2, s3 dst_sel:DWORD dst_unused:UNUSED_PAD src0_sel:WORD_1 src1_sel:DWORD
	v_lshrrev_b32_e32 v6, 16, v2
	v_cmp_ne_u16_e32 vcc, 0, v7
	s_and_saveexec_b64 s[4:5], vcc
	s_cbranch_execz .LBB384_714
; %bb.709:
	s_movk_i32 s3, 0x80
	v_cmp_ne_u16_e32 vcc, s3, v7
	v_bfrev_b32_e32 v9, 1
	s_and_saveexec_b64 s[6:7], vcc
	s_cbranch_execz .LBB384_713
; %bb.710:
	v_bfe_u32 v7, v2, 16, 7
	s_movk_i32 s3, 0x7f
	v_cmp_ne_u32_e32 vcc, s3, v7
	v_mov_b32_e32 v9, 0x7f800001
	s_and_saveexec_b64 s[10:11], vcc
	s_cbranch_execz .LBB384_712
; %bb.711:
	v_and_b32_e32 v12, 7, v6
	v_ffbh_u32_e32 v8, v12
	v_min_u32_e32 v16, 32, v8
	v_subrev_u32_e32 v8, 28, v16
	v_lshlrev_b64 v[8:9], v8, v[6:7]
	v_and_b32_e32 v8, 7, v8
	v_cmp_gt_u32_e32 vcc, 8, v7
	v_lshrrev_b32_e32 v13, 3, v7
	v_sub_u32_e32 v6, 29, v16
	v_cndmask_b32_e32 v7, v12, v8, vcc
	v_mov_b32_e32 v8, 24
	v_cndmask_b32_e32 v6, v13, v6, vcc
	v_lshlrev_b32_sdwa v8, v8, v2 dst_sel:DWORD dst_unused:UNUSED_PAD src0_sel:DWORD src1_sel:WORD_1
	v_bfrev_b32_e32 v9, 60
	v_lshlrev_b32_e32 v7, 20, v7
	v_and_b32_e32 v8, 0x80000000, v8
	v_lshl_add_u32 v6, v6, 23, v9
	v_or3_b32 v9, v8, v6, v7
.LBB384_712:
	s_or_b64 exec, exec, s[10:11]
.LBB384_713:
	s_or_b64 exec, exec, s[6:7]
.LBB384_714:
	s_or_b64 exec, exec, s[4:5]
	s_mov_b32 s3, 0xffffff
	v_cmp_lt_u32_e32 vcc, s3, v2
	v_mov_b32_e32 v7, 0
	v_mov_b32_e32 v12, 0
	s_and_saveexec_b64 s[4:5], vcc
	s_cbranch_execz .LBB384_720
; %bb.715:
	v_lshrrev_b32_e32 v6, 24, v2
	s_movk_i32 s3, 0x80
	v_cmp_ne_u32_e32 vcc, s3, v6
	v_bfrev_b32_e32 v12, 1
	s_and_saveexec_b64 s[6:7], vcc
	s_cbranch_execz .LBB384_719
; %bb.716:
	v_bfe_u32 v8, v2, 24, 7
	s_movk_i32 s3, 0x7f
	v_cmp_ne_u32_e32 vcc, s3, v8
	v_mov_b32_e32 v12, 0x7f800001
	s_and_saveexec_b64 s[10:11], vcc
	s_cbranch_execz .LBB384_718
; %bb.717:
	v_and_b32_e32 v16, 7, v6
	v_ffbh_u32_e32 v12, v16
	v_min_u32_e32 v18, 32, v12
	v_subrev_u32_e32 v12, 28, v18
	v_lshlrev_b64 v[12:13], v12, v[6:7]
	v_lshrrev_b32_e32 v17, 3, v8
	v_sub_u32_e32 v13, 29, v18
	v_and_b32_e32 v12, 7, v12
	v_cmp_gt_u32_e32 vcc, 8, v8
	v_cndmask_b32_e32 v8, v17, v13, vcc
	v_cndmask_b32_e32 v12, v16, v12, vcc
	v_lshlrev_b32_e32 v6, 24, v6
	v_bfrev_b32_e32 v13, 60
	v_lshlrev_b32_e32 v12, 20, v12
	v_and_b32_e32 v6, 0x80000000, v6
	v_lshl_add_u32 v8, v8, 23, v13
	v_or3_b32 v12, v6, v8, v12
.LBB384_718:
	s_or_b64 exec, exec, s[10:11]
.LBB384_719:
	s_or_b64 exec, exec, s[6:7]
.LBB384_720:
	s_or_b64 exec, exec, s[4:5]
	v_mov_b32_e32 v6, v3
	v_cmp_ne_u16_sdwa s[6:7], v3, v7 src0_sel:BYTE_0 src1_sel:DWORD
	s_and_saveexec_b64 s[4:5], s[6:7]
	s_cbranch_execz .LBB384_726
; %bb.721:
	s_movk_i32 s3, 0x80
	v_cmp_ne_u16_sdwa s[10:11], v3, s3 src0_sel:BYTE_0 src1_sel:DWORD
	v_bfrev_b32_e32 v8, 1
	s_and_saveexec_b64 s[6:7], s[10:11]
	s_cbranch_execz .LBB384_725
; %bb.722:
	s_movk_i32 s3, 0x7f
	v_and_b32_e32 v13, 0x7f, v3
	v_cmp_ne_u32_e32 vcc, s3, v13
	v_mov_b32_e32 v8, 0x7f800001
	s_and_saveexec_b64 s[10:11], vcc
	s_cbranch_execz .LBB384_724
; %bb.723:
	v_and_b32_e32 v8, 7, v3
	v_ffbh_u32_e32 v8, v8
	v_min_u32_e32 v8, 32, v8
	v_subrev_u32_e32 v17, 28, v8
	v_cmp_gt_u32_e32 vcc, 8, v13
	v_lshrrev_b32_e32 v16, 3, v13
	v_sub_u32_e32 v8, 29, v8
	v_cndmask_b32_e32 v13, 0, v17, vcc
	v_cndmask_b32_e32 v8, v16, v8, vcc
	v_lshlrev_b64 v[16:17], v13, v[6:7]
	v_lshlrev_b32_e32 v7, 20, v16
	v_lshlrev_b32_e32 v13, 24, v6
	v_bfrev_b32_e32 v16, 60
	v_and_b32_e32 v7, 0x700000, v7
	v_and_b32_e32 v13, 0x80000000, v13
	v_lshl_add_u32 v8, v8, 23, v16
	v_or3_b32 v8, v13, v8, v7
.LBB384_724:
	s_or_b64 exec, exec, s[10:11]
.LBB384_725:
	s_or_b64 exec, exec, s[6:7]
	v_mov_b32_e32 v7, v8
.LBB384_726:
	s_or_b64 exec, exec, s[4:5]
	v_lshrrev_b16_e32 v8, 8, v6
	v_cmp_ne_u16_e32 vcc, 0, v8
	v_mov_b32_e32 v13, 0
	v_mov_b32_e32 v16, 0
	s_and_saveexec_b64 s[4:5], vcc
	s_cbranch_execz .LBB384_732
; %bb.727:
	s_movk_i32 s3, 0x80
	v_cmp_ne_u16_e32 vcc, s3, v8
	v_bfrev_b32_e32 v16, 1
	s_and_saveexec_b64 s[6:7], vcc
	s_cbranch_execz .LBB384_731
; %bb.728:
	s_movk_i32 s3, 0x7f
	v_and_b32_e32 v17, 0x7f, v8
	v_cmp_ne_u32_e32 vcc, s3, v17
	v_mov_b32_e32 v16, 0x7f800001
	s_and_saveexec_b64 s[10:11], vcc
	s_cbranch_execz .LBB384_730
; %bb.729:
	v_and_b32_e32 v16, 7, v8
	v_ffbh_u32_e32 v18, v16
	v_min_u32_e32 v21, 32, v18
	v_subrev_u32_e32 v18, 28, v21
	v_lshlrev_b64 v[18:19], v18, v[8:9]
	v_lshrrev_b32_e32 v20, 3, v17
	v_sub_u32_e32 v8, 29, v21
	v_and_b32_e32 v18, 7, v18
	v_cmp_gt_u32_e32 vcc, 8, v17
	v_cndmask_b32_e32 v8, v20, v8, vcc
	v_cndmask_b32_e32 v16, v16, v18, vcc
	v_lshlrev_b32_e32 v6, 16, v6
	v_bfrev_b32_e32 v17, 60
	v_lshlrev_b32_e32 v16, 20, v16
	v_and_b32_e32 v6, 0x80000000, v6
	v_lshl_add_u32 v8, v8, 23, v17
	v_or3_b32 v16, v6, v8, v16
.LBB384_730:
	s_or_b64 exec, exec, s[10:11]
.LBB384_731:
	s_or_b64 exec, exec, s[6:7]
.LBB384_732:
	s_or_b64 exec, exec, s[4:5]
	s_movk_i32 s3, 0xff
	v_and_b32_sdwa v8, v3, s3 dst_sel:DWORD dst_unused:UNUSED_PAD src0_sel:WORD_1 src1_sel:DWORD
	v_lshrrev_b32_e32 v6, 16, v3
	v_cmp_ne_u16_e32 vcc, 0, v8
	s_and_saveexec_b64 s[4:5], vcc
	s_cbranch_execz .LBB384_738
; %bb.733:
	s_movk_i32 s3, 0x80
	v_cmp_ne_u16_e32 vcc, s3, v8
	v_bfrev_b32_e32 v13, 1
	s_and_saveexec_b64 s[6:7], vcc
	s_cbranch_execz .LBB384_737
; %bb.734:
	v_bfe_u32 v8, v3, 16, 7
	s_movk_i32 s3, 0x7f
	v_cmp_ne_u32_e32 vcc, s3, v8
	v_mov_b32_e32 v13, 0x7f800001
	s_and_saveexec_b64 s[10:11], vcc
	s_cbranch_execz .LBB384_736
; %bb.735:
	v_and_b32_e32 v13, 7, v6
	v_ffbh_u32_e32 v18, v13
	v_min_u32_e32 v20, 32, v18
	v_subrev_u32_e32 v18, 28, v20
	v_lshlrev_b64 v[18:19], v18, v[6:7]
	v_and_b32_e32 v18, 7, v18
	v_cmp_gt_u32_e32 vcc, 8, v8
	v_lshrrev_b32_e32 v17, 3, v8
	v_sub_u32_e32 v6, 29, v20
	v_cndmask_b32_e32 v8, v13, v18, vcc
	v_mov_b32_e32 v13, 24
	v_cndmask_b32_e32 v6, v17, v6, vcc
	v_lshlrev_b32_sdwa v13, v13, v3 dst_sel:DWORD dst_unused:UNUSED_PAD src0_sel:DWORD src1_sel:WORD_1
	v_bfrev_b32_e32 v17, 60
	v_lshlrev_b32_e32 v8, 20, v8
	v_and_b32_e32 v13, 0x80000000, v13
	v_lshl_add_u32 v6, v6, 23, v17
	v_or3_b32 v13, v13, v6, v8
.LBB384_736:
	s_or_b64 exec, exec, s[10:11]
.LBB384_737:
	s_or_b64 exec, exec, s[6:7]
.LBB384_738:
	s_or_b64 exec, exec, s[4:5]
	s_mov_b32 s4, -1
	s_mov_b32 s5, 0xffffff
	v_cmp_lt_u64_e32 vcc, s[4:5], v[2:3]
	v_mov_b32_e32 v8, 0
	v_mov_b32_e32 v6, 0
	s_and_saveexec_b64 s[4:5], vcc
	s_cbranch_execz .LBB384_744
; %bb.739:
	v_lshrrev_b32_e32 v2, 24, v3
	s_movk_i32 s3, 0x80
	v_cmp_ne_u32_e32 vcc, s3, v2
	v_bfrev_b32_e32 v6, 1
	s_and_saveexec_b64 s[6:7], vcc
	s_cbranch_execz .LBB384_743
; %bb.740:
	v_bfe_u32 v3, v3, 24, 7
	s_movk_i32 s3, 0x7f
	v_cmp_ne_u32_e32 vcc, s3, v3
	v_mov_b32_e32 v6, 0x7f800001
	s_and_saveexec_b64 s[10:11], vcc
	s_cbranch_execz .LBB384_742
; %bb.741:
	v_and_b32_e32 v6, 7, v2
	v_ffbh_u32_e32 v18, v6
	v_min_u32_e32 v20, 32, v18
	v_subrev_u32_e32 v18, 28, v20
	v_lshlrev_b64 v[18:19], v18, v[2:3]
	v_lshrrev_b32_e32 v17, 3, v3
	v_sub_u32_e32 v19, 29, v20
	v_and_b32_e32 v18, 7, v18
	v_cmp_gt_u32_e32 vcc, 8, v3
	v_cndmask_b32_e32 v3, v17, v19, vcc
	v_cndmask_b32_e32 v6, v6, v18, vcc
	v_lshlrev_b32_e32 v2, 24, v2
	v_bfrev_b32_e32 v17, 60
	v_lshlrev_b32_e32 v6, 20, v6
	v_and_b32_e32 v2, 0x80000000, v2
	v_lshl_add_u32 v3, v3, 23, v17
	v_or3_b32 v6, v2, v3, v6
.LBB384_742:
	s_or_b64 exec, exec, s[10:11]
.LBB384_743:
	s_or_b64 exec, exec, s[6:7]
.LBB384_744:
	s_or_b64 exec, exec, s[4:5]
	v_cvt_pkrtz_f16_f32 v2, v10, v11
	v_cvt_pkrtz_f16_f32 v3, v9, v12
	;; [unrolled: 1-line block ×4, first 2 shown]
	v_mfma_f32_4x4x4f16 a[0:3], v[14:15], v[2:3], a[0:3] cbsz:4 abid:12
	v_cmp_ne_u16_sdwa s[6:7], v4, v8 src0_sel:BYTE_0 src1_sel:DWORD
	v_mfma_f32_4x4x4f16 a[0:3], v[14:15], v[10:11], a[0:3] cbsz:4 abid:13
	s_and_saveexec_b64 s[4:5], s[6:7]
	s_cbranch_execz .LBB384_750
; %bb.745:
	s_movk_i32 s3, 0x80
	v_cmp_ne_u16_sdwa s[10:11], v4, s3 src0_sel:BYTE_0 src1_sel:DWORD
	v_bfrev_b32_e32 v8, 1
	s_and_saveexec_b64 s[6:7], s[10:11]
	s_cbranch_execz .LBB384_749
; %bb.746:
	s_movk_i32 s3, 0x7f
	v_and_b32_e32 v2, 0x7f, v4
	v_cmp_ne_u32_e32 vcc, s3, v2
	v_mov_b32_e32 v8, 0x7f800001
	s_and_saveexec_b64 s[10:11], vcc
	s_cbranch_execz .LBB384_748
; %bb.747:
	v_and_b32_e32 v3, 7, v4
	v_ffbh_u32_e32 v3, v3
	v_min_u32_e32 v3, 32, v3
	v_subrev_u32_e32 v7, 28, v3
	v_cmp_gt_u32_e32 vcc, 8, v2
	v_lshrrev_b32_e32 v6, 3, v2
	v_sub_u32_e32 v3, 29, v3
	v_cndmask_b32_e32 v2, 0, v7, vcc
	v_cndmask_b32_e32 v6, v6, v3, vcc
	v_lshlrev_b64 v[2:3], v2, v[4:5]
	v_lshlrev_b32_e32 v2, 20, v2
	v_lshlrev_b32_e32 v3, 24, v4
	v_bfrev_b32_e32 v7, 60
	v_and_b32_e32 v2, 0x700000, v2
	v_and_b32_e32 v3, 0x80000000, v3
	v_lshl_add_u32 v6, v6, 23, v7
	v_or3_b32 v8, v3, v6, v2
.LBB384_748:
	s_or_b64 exec, exec, s[10:11]
.LBB384_749:
	s_or_b64 exec, exec, s[6:7]
.LBB384_750:
	s_or_b64 exec, exec, s[4:5]
	v_lshrrev_b16_e32 v2, 8, v4
	v_cmp_ne_u16_e32 vcc, 0, v2
	v_mov_b32_e32 v7, 0
	v_mov_b32_e32 v9, 0
	s_and_saveexec_b64 s[4:5], vcc
	s_cbranch_execz .LBB384_756
; %bb.751:
	s_movk_i32 s3, 0x80
	v_cmp_ne_u16_e32 vcc, s3, v2
	v_bfrev_b32_e32 v9, 1
	s_and_saveexec_b64 s[6:7], vcc
	s_cbranch_execz .LBB384_755
; %bb.752:
	s_movk_i32 s3, 0x7f
	v_and_b32_e32 v3, 0x7f, v2
	v_cmp_ne_u32_e32 vcc, s3, v3
	v_mov_b32_e32 v9, 0x7f800001
	s_and_saveexec_b64 s[10:11], vcc
	s_cbranch_execz .LBB384_754
; %bb.753:
	v_and_b32_e32 v6, 7, v2
	v_ffbh_u32_e32 v10, v6
	v_min_u32_e32 v12, 32, v10
	v_subrev_u32_e32 v10, 28, v12
	v_lshlrev_b64 v[10:11], v10, v[2:3]
	v_lshrrev_b32_e32 v9, 3, v3
	v_sub_u32_e32 v2, 29, v12
	v_and_b32_e32 v10, 7, v10
	v_cmp_gt_u32_e32 vcc, 8, v3
	v_cndmask_b32_e32 v2, v9, v2, vcc
	v_cndmask_b32_e32 v3, v6, v10, vcc
	v_lshlrev_b32_e32 v6, 16, v4
	v_bfrev_b32_e32 v9, 60
	v_lshlrev_b32_e32 v3, 20, v3
	v_and_b32_e32 v6, 0x80000000, v6
	v_lshl_add_u32 v2, v2, 23, v9
	v_or3_b32 v9, v6, v2, v3
.LBB384_754:
	s_or_b64 exec, exec, s[10:11]
.LBB384_755:
	s_or_b64 exec, exec, s[6:7]
.LBB384_756:
	s_or_b64 exec, exec, s[4:5]
	s_movk_i32 s3, 0xff
	v_and_b32_sdwa v3, v4, s3 dst_sel:DWORD dst_unused:UNUSED_PAD src0_sel:WORD_1 src1_sel:DWORD
	v_lshrrev_b32_e32 v2, 16, v4
	v_cmp_ne_u16_e32 vcc, 0, v3
	s_and_saveexec_b64 s[4:5], vcc
	s_cbranch_execz .LBB384_762
; %bb.757:
	s_movk_i32 s3, 0x80
	v_cmp_ne_u16_e32 vcc, s3, v3
	v_bfrev_b32_e32 v7, 1
	s_and_saveexec_b64 s[6:7], vcc
	s_cbranch_execz .LBB384_761
; %bb.758:
	v_bfe_u32 v3, v4, 16, 7
	s_movk_i32 s3, 0x7f
	v_cmp_ne_u32_e32 vcc, s3, v3
	v_mov_b32_e32 v7, 0x7f800001
	s_and_saveexec_b64 s[10:11], vcc
	s_cbranch_execz .LBB384_760
; %bb.759:
	v_and_b32_e32 v10, 7, v2
	v_ffbh_u32_e32 v6, v10
	v_min_u32_e32 v12, 32, v6
	v_subrev_u32_e32 v6, 28, v12
	v_lshlrev_b64 v[6:7], v6, v[2:3]
	v_and_b32_e32 v6, 7, v6
	v_cmp_gt_u32_e32 vcc, 8, v3
	v_lshrrev_b32_e32 v11, 3, v3
	v_sub_u32_e32 v2, 29, v12
	v_cndmask_b32_e32 v3, v10, v6, vcc
	v_mov_b32_e32 v6, 24
	v_cndmask_b32_e32 v2, v11, v2, vcc
	v_lshlrev_b32_sdwa v6, v6, v4 dst_sel:DWORD dst_unused:UNUSED_PAD src0_sel:DWORD src1_sel:WORD_1
	v_bfrev_b32_e32 v7, 60
	v_lshlrev_b32_e32 v3, 20, v3
	v_and_b32_e32 v6, 0x80000000, v6
	v_lshl_add_u32 v2, v2, 23, v7
	v_or3_b32 v7, v6, v2, v3
.LBB384_760:
	s_or_b64 exec, exec, s[10:11]
.LBB384_761:
	s_or_b64 exec, exec, s[6:7]
.LBB384_762:
	s_or_b64 exec, exec, s[4:5]
	s_mov_b32 s3, 0xffffff
	v_cmp_lt_u32_e32 vcc, s3, v4
	v_mov_b32_e32 v3, 0
	v_mov_b32_e32 v10, 0
	s_and_saveexec_b64 s[4:5], vcc
	s_cbranch_execz .LBB384_768
; %bb.763:
	v_lshrrev_b32_e32 v2, 24, v4
	s_movk_i32 s3, 0x80
	v_cmp_ne_u32_e32 vcc, s3, v2
	v_bfrev_b32_e32 v10, 1
	s_and_saveexec_b64 s[6:7], vcc
	s_cbranch_execz .LBB384_767
; %bb.764:
	v_bfe_u32 v6, v4, 24, 7
	s_movk_i32 s3, 0x7f
	v_cmp_ne_u32_e32 vcc, s3, v6
	v_mov_b32_e32 v10, 0x7f800001
	s_and_saveexec_b64 s[10:11], vcc
	s_cbranch_execz .LBB384_766
; %bb.765:
	v_and_b32_e32 v12, 7, v2
	v_ffbh_u32_e32 v10, v12
	v_min_u32_e32 v16, 32, v10
	v_subrev_u32_e32 v10, 28, v16
	v_lshlrev_b64 v[10:11], v10, v[2:3]
	v_lshrrev_b32_e32 v13, 3, v6
	v_sub_u32_e32 v11, 29, v16
	v_and_b32_e32 v10, 7, v10
	v_cmp_gt_u32_e32 vcc, 8, v6
	v_cndmask_b32_e32 v6, v13, v11, vcc
	v_cndmask_b32_e32 v10, v12, v10, vcc
	v_lshlrev_b32_e32 v2, 24, v2
	v_bfrev_b32_e32 v11, 60
	v_lshlrev_b32_e32 v10, 20, v10
	v_and_b32_e32 v2, 0x80000000, v2
	v_lshl_add_u32 v6, v6, 23, v11
	v_or3_b32 v10, v2, v6, v10
.LBB384_766:
	s_or_b64 exec, exec, s[10:11]
.LBB384_767:
	s_or_b64 exec, exec, s[6:7]
.LBB384_768:
	s_or_b64 exec, exec, s[4:5]
	v_mov_b32_e32 v2, v5
	v_cmp_ne_u16_sdwa s[6:7], v5, v3 src0_sel:BYTE_0 src1_sel:DWORD
	s_and_saveexec_b64 s[4:5], s[6:7]
	s_cbranch_execz .LBB384_774
; %bb.769:
	s_movk_i32 s3, 0x80
	v_cmp_ne_u16_sdwa s[10:11], v5, s3 src0_sel:BYTE_0 src1_sel:DWORD
	v_bfrev_b32_e32 v6, 1
	s_and_saveexec_b64 s[6:7], s[10:11]
	s_cbranch_execz .LBB384_773
; %bb.770:
	s_movk_i32 s3, 0x7f
	v_and_b32_e32 v11, 0x7f, v5
	v_cmp_ne_u32_e32 vcc, s3, v11
	v_mov_b32_e32 v6, 0x7f800001
	s_and_saveexec_b64 s[10:11], vcc
	s_cbranch_execz .LBB384_772
; %bb.771:
	v_and_b32_e32 v6, 7, v5
	v_ffbh_u32_e32 v6, v6
	v_min_u32_e32 v6, 32, v6
	v_subrev_u32_e32 v13, 28, v6
	v_cmp_gt_u32_e32 vcc, 8, v11
	v_lshrrev_b32_e32 v12, 3, v11
	v_sub_u32_e32 v6, 29, v6
	v_cndmask_b32_e32 v11, 0, v13, vcc
	v_cndmask_b32_e32 v6, v12, v6, vcc
	v_lshlrev_b64 v[12:13], v11, v[2:3]
	v_lshlrev_b32_e32 v3, 20, v12
	v_lshlrev_b32_e32 v11, 24, v2
	v_bfrev_b32_e32 v12, 60
	v_and_b32_e32 v3, 0x700000, v3
	v_and_b32_e32 v11, 0x80000000, v11
	v_lshl_add_u32 v6, v6, 23, v12
	v_or3_b32 v6, v11, v6, v3
.LBB384_772:
	s_or_b64 exec, exec, s[10:11]
.LBB384_773:
	s_or_b64 exec, exec, s[6:7]
	v_mov_b32_e32 v3, v6
.LBB384_774:
	s_or_b64 exec, exec, s[4:5]
	v_lshrrev_b16_e32 v6, 8, v2
	v_cmp_ne_u16_e32 vcc, 0, v6
	v_mov_b32_e32 v11, 0
	v_mov_b32_e32 v12, 0
	s_and_saveexec_b64 s[4:5], vcc
	s_cbranch_execz .LBB384_780
; %bb.775:
	s_movk_i32 s3, 0x80
	v_cmp_ne_u16_e32 vcc, s3, v6
	v_bfrev_b32_e32 v12, 1
	s_and_saveexec_b64 s[6:7], vcc
	s_cbranch_execz .LBB384_779
; %bb.776:
	s_movk_i32 s3, 0x7f
	v_and_b32_e32 v13, 0x7f, v6
	v_cmp_ne_u32_e32 vcc, s3, v13
	v_mov_b32_e32 v12, 0x7f800001
	s_and_saveexec_b64 s[10:11], vcc
	s_cbranch_execz .LBB384_778
; %bb.777:
	v_and_b32_e32 v12, 7, v6
	v_ffbh_u32_e32 v16, v12
	v_min_u32_e32 v19, 32, v16
	v_subrev_u32_e32 v16, 28, v19
	v_lshlrev_b64 v[16:17], v16, v[6:7]
	v_lshrrev_b32_e32 v18, 3, v13
	v_sub_u32_e32 v6, 29, v19
	v_and_b32_e32 v16, 7, v16
	v_cmp_gt_u32_e32 vcc, 8, v13
	v_cndmask_b32_e32 v6, v18, v6, vcc
	v_cndmask_b32_e32 v12, v12, v16, vcc
	v_lshlrev_b32_e32 v2, 16, v2
	v_bfrev_b32_e32 v13, 60
	v_lshlrev_b32_e32 v12, 20, v12
	v_and_b32_e32 v2, 0x80000000, v2
	v_lshl_add_u32 v6, v6, 23, v13
	v_or3_b32 v12, v2, v6, v12
.LBB384_778:
	s_or_b64 exec, exec, s[10:11]
.LBB384_779:
	s_or_b64 exec, exec, s[6:7]
.LBB384_780:
	s_or_b64 exec, exec, s[4:5]
	s_movk_i32 s3, 0xff
	v_and_b32_sdwa v6, v5, s3 dst_sel:DWORD dst_unused:UNUSED_PAD src0_sel:WORD_1 src1_sel:DWORD
	v_lshrrev_b32_e32 v2, 16, v5
	v_cmp_ne_u16_e32 vcc, 0, v6
	s_and_saveexec_b64 s[4:5], vcc
	s_cbranch_execz .LBB384_786
; %bb.781:
	s_movk_i32 s3, 0x80
	v_cmp_ne_u16_e32 vcc, s3, v6
	v_bfrev_b32_e32 v11, 1
	s_and_saveexec_b64 s[6:7], vcc
	s_cbranch_execz .LBB384_785
; %bb.782:
	v_bfe_u32 v6, v5, 16, 7
	s_movk_i32 s3, 0x7f
	v_cmp_ne_u32_e32 vcc, s3, v6
	v_mov_b32_e32 v11, 0x7f800001
	s_and_saveexec_b64 s[10:11], vcc
	s_cbranch_execz .LBB384_784
; %bb.783:
	v_and_b32_e32 v11, 7, v2
	v_ffbh_u32_e32 v16, v11
	v_min_u32_e32 v18, 32, v16
	v_subrev_u32_e32 v16, 28, v18
	v_lshlrev_b64 v[16:17], v16, v[2:3]
	v_and_b32_e32 v16, 7, v16
	v_cmp_gt_u32_e32 vcc, 8, v6
	v_lshrrev_b32_e32 v13, 3, v6
	v_sub_u32_e32 v2, 29, v18
	v_cndmask_b32_e32 v6, v11, v16, vcc
	v_mov_b32_e32 v11, 24
	v_cndmask_b32_e32 v2, v13, v2, vcc
	v_lshlrev_b32_sdwa v11, v11, v5 dst_sel:DWORD dst_unused:UNUSED_PAD src0_sel:DWORD src1_sel:WORD_1
	v_bfrev_b32_e32 v13, 60
	v_lshlrev_b32_e32 v6, 20, v6
	v_and_b32_e32 v11, 0x80000000, v11
	v_lshl_add_u32 v2, v2, 23, v13
	v_or3_b32 v11, v11, v2, v6
.LBB384_784:
	s_or_b64 exec, exec, s[10:11]
.LBB384_785:
	s_or_b64 exec, exec, s[6:7]
.LBB384_786:
	s_or_b64 exec, exec, s[4:5]
	s_mov_b32 s4, -1
	s_mov_b32 s5, 0xffffff
	v_cmp_lt_u64_e32 vcc, s[4:5], v[4:5]
	v_mov_b32_e32 v4, 0
	s_and_saveexec_b64 s[4:5], vcc
	s_cbranch_execz .LBB384_792
; %bb.787:
	v_lshrrev_b32_e32 v2, 24, v5
	s_movk_i32 s3, 0x80
	v_cmp_ne_u32_e32 vcc, s3, v2
	v_bfrev_b32_e32 v4, 1
	s_and_saveexec_b64 s[6:7], vcc
	s_cbranch_execz .LBB384_791
; %bb.788:
	v_bfe_u32 v5, v5, 24, 7
	s_movk_i32 s3, 0x7f
	v_cmp_ne_u32_e32 vcc, s3, v5
	v_mov_b32_e32 v4, 0x7f800001
	s_and_saveexec_b64 s[10:11], vcc
	s_cbranch_execz .LBB384_790
; %bb.789:
	v_and_b32_e32 v4, 7, v2
	v_ffbh_u32_e32 v13, v4
	v_min_u32_e32 v13, 32, v13
	v_subrev_u32_e32 v16, 28, v13
	v_lshlrev_b64 v[16:17], v16, v[2:3]
	v_lshrrev_b32_e32 v6, 3, v5
	v_sub_u32_e32 v13, 29, v13
	v_and_b32_e32 v16, 7, v16
	v_cmp_gt_u32_e32 vcc, 8, v5
	v_cndmask_b32_e32 v5, v6, v13, vcc
	v_cndmask_b32_e32 v4, v4, v16, vcc
	v_lshlrev_b32_e32 v2, 24, v2
	v_bfrev_b32_e32 v6, 60
	v_lshlrev_b32_e32 v4, 20, v4
	v_and_b32_e32 v2, 0x80000000, v2
	v_lshl_add_u32 v5, v5, 23, v6
	v_or3_b32 v4, v2, v5, v4
.LBB384_790:
	s_or_b64 exec, exec, s[10:11]
.LBB384_791:
	s_or_b64 exec, exec, s[6:7]
.LBB384_792:
	s_or_b64 exec, exec, s[4:5]
	v_cvt_pkrtz_f16_f32 v6, v8, v9
	v_cvt_pkrtz_f16_f32 v7, v7, v10
	;; [unrolled: 1-line block ×4, first 2 shown]
	v_mfma_f32_4x4x4f16 a[0:3], v[14:15], v[6:7], a[0:3] cbsz:4 abid:14
	s_load_dword s4, s[14:15], 0x0
	v_mfma_f32_4x4x4f16 a[0:3], v[14:15], v[2:3], a[0:3] cbsz:4 abid:15
	s_nop 4
	v_accvgpr_read_b32 v5, a1
	v_accvgpr_read_b32 v3, a3
	;; [unrolled: 1-line block ×4, first 2 shown]
	s_waitcnt lgkmcnt(0)
	v_pk_mul_f32 v[2:3], v[2:3], s[4:5] op_sel_hi:[1,0]
	v_pk_mul_f32 v[4:5], v[4:5], s[4:5] op_sel_hi:[1,0]
	v_cvt_f16_f32_e32 v4, v4
	v_cvt_f16_f32_e32 v5, v5
	;; [unrolled: 1-line block ×4, first 2 shown]
	v_pack_b32_f16 v2, v4, v5
	v_mad_u32_u24 v4, v1, 40, v25
	v_pack_b32_f16 v3, v6, v3
	ds_write_b64 v4, v[2:3]
.LBB384_793:
	s_or_b64 exec, exec, s[0:1]
	v_cmp_gt_u32_e32 vcc, 64, v0
	s_waitcnt lgkmcnt(0)
	s_barrier
	s_and_saveexec_b64 s[0:1], vcc
	s_cbranch_execz .LBB384_795
; %bb.794:
	s_lshl_b32 s0, s2, 6
	s_mov_b32 s1, 0
	s_lshl_b64 s[2:3], s[0:1], 1
	s_add_u32 s2, s26, s2
	s_addc_u32 s3, s27, s3
	s_lshl_b32 s0, s24, 6
	s_lshl_b64 s[0:1], s[0:1], 1
	s_add_u32 s0, s2, s0
	s_mul_i32 s2, s8, s33
	s_waitcnt vmcnt(0)
	v_lshl_or_b32 v2, s2, 6, v0
	v_mov_b32_e32 v3, 0
	v_mul_u32_u24_e32 v4, 40, v1
	v_lshlrev_b64 v[8:9], 1, v[2:3]
	ds_read2_b64 v[0:3], v4 offset1:1
	ds_read2_b64 v[4:7], v4 offset0:2 offset1:3
	s_addc_u32 s1, s3, s1
	v_mov_b32_e32 v10, s1
	v_add_co_u32_e32 v8, vcc, s0, v8
	s_waitcnt lgkmcnt(1)
	v_pk_add_f16 v0, v0, 0
	v_pk_add_f16 v0, v0, v2
	s_waitcnt lgkmcnt(0)
	v_pk_add_f16 v0, v0, v4
	v_addc_co_u32_e32 v9, vcc, v10, v9, vcc
	v_pk_add_f16 v0, v0, v6
	global_store_short v[8:9], v0, off
.LBB384_795:
	s_endpgm
	.section	.rodata,"a",@progbits
	.p2align	6, 0x0
	.amdhsa_kernel _Z38paged_attention_ll4mi_QKV_mfma4_kernelIDF16_hLN4vllm18Fp8KVCacheDataTypeE1EDF16_Li16ELi64ELi256ELb1ELi1EEvPKT_PKT0_S7_ifPKiS9_S9_iPKfiiiPfSC_PS2_PT2_iSB_SB_
		.amdhsa_group_segment_fixed_size 2720
		.amdhsa_private_segment_fixed_size 0
		.amdhsa_kernarg_size 400
		.amdhsa_user_sgpr_count 6
		.amdhsa_user_sgpr_private_segment_buffer 1
		.amdhsa_user_sgpr_dispatch_ptr 0
		.amdhsa_user_sgpr_queue_ptr 0
		.amdhsa_user_sgpr_kernarg_segment_ptr 1
		.amdhsa_user_sgpr_dispatch_id 0
		.amdhsa_user_sgpr_flat_scratch_init 0
		.amdhsa_user_sgpr_kernarg_preload_length 0
		.amdhsa_user_sgpr_kernarg_preload_offset 0
		.amdhsa_user_sgpr_private_segment_size 0
		.amdhsa_uses_dynamic_stack 0
		.amdhsa_system_sgpr_private_segment_wavefront_offset 0
		.amdhsa_system_sgpr_workgroup_id_x 1
		.amdhsa_system_sgpr_workgroup_id_y 1
		.amdhsa_system_sgpr_workgroup_id_z 1
		.amdhsa_system_sgpr_workgroup_info 0
		.amdhsa_system_vgpr_workitem_id 0
		.amdhsa_next_free_vgpr 60
		.amdhsa_next_free_sgpr 42
		.amdhsa_accum_offset 56
		.amdhsa_reserve_vcc 1
		.amdhsa_reserve_flat_scratch 0
		.amdhsa_float_round_mode_32 0
		.amdhsa_float_round_mode_16_64 0
		.amdhsa_float_denorm_mode_32 3
		.amdhsa_float_denorm_mode_16_64 3
		.amdhsa_dx10_clamp 1
		.amdhsa_ieee_mode 1
		.amdhsa_fp16_overflow 0
		.amdhsa_tg_split 0
		.amdhsa_exception_fp_ieee_invalid_op 0
		.amdhsa_exception_fp_denorm_src 0
		.amdhsa_exception_fp_ieee_div_zero 0
		.amdhsa_exception_fp_ieee_overflow 0
		.amdhsa_exception_fp_ieee_underflow 0
		.amdhsa_exception_fp_ieee_inexact 0
		.amdhsa_exception_int_div_zero 0
	.end_amdhsa_kernel
	.section	.text._Z38paged_attention_ll4mi_QKV_mfma4_kernelIDF16_hLN4vllm18Fp8KVCacheDataTypeE1EDF16_Li16ELi64ELi256ELb1ELi1EEvPKT_PKT0_S7_ifPKiS9_S9_iPKfiiiPfSC_PS2_PT2_iSB_SB_,"axG",@progbits,_Z38paged_attention_ll4mi_QKV_mfma4_kernelIDF16_hLN4vllm18Fp8KVCacheDataTypeE1EDF16_Li16ELi64ELi256ELb1ELi1EEvPKT_PKT0_S7_ifPKiS9_S9_iPKfiiiPfSC_PS2_PT2_iSB_SB_,comdat
.Lfunc_end384:
	.size	_Z38paged_attention_ll4mi_QKV_mfma4_kernelIDF16_hLN4vllm18Fp8KVCacheDataTypeE1EDF16_Li16ELi64ELi256ELb1ELi1EEvPKT_PKT0_S7_ifPKiS9_S9_iPKfiiiPfSC_PS2_PT2_iSB_SB_, .Lfunc_end384-_Z38paged_attention_ll4mi_QKV_mfma4_kernelIDF16_hLN4vllm18Fp8KVCacheDataTypeE1EDF16_Li16ELi64ELi256ELb1ELi1EEvPKT_PKT0_S7_ifPKiS9_S9_iPKfiiiPfSC_PS2_PT2_iSB_SB_
                                        ; -- End function
	.section	.AMDGPU.csdata,"",@progbits
; Kernel info:
; codeLenInByte = 27896
; NumSgprs: 46
; NumVgprs: 56
; NumAgprs: 4
; TotalNumVgprs: 60
; ScratchSize: 0
; MemoryBound: 0
; FloatMode: 240
; IeeeMode: 1
; LDSByteSize: 2720 bytes/workgroup (compile time only)
; SGPRBlocks: 5
; VGPRBlocks: 7
; NumSGPRsForWavesPerEU: 46
; NumVGPRsForWavesPerEU: 60
; AccumOffset: 56
; Occupancy: 8
; WaveLimiterHint : 1
; COMPUTE_PGM_RSRC2:SCRATCH_EN: 0
; COMPUTE_PGM_RSRC2:USER_SGPR: 6
; COMPUTE_PGM_RSRC2:TRAP_HANDLER: 0
; COMPUTE_PGM_RSRC2:TGID_X_EN: 1
; COMPUTE_PGM_RSRC2:TGID_Y_EN: 1
; COMPUTE_PGM_RSRC2:TGID_Z_EN: 1
; COMPUTE_PGM_RSRC2:TIDIG_COMP_CNT: 0
; COMPUTE_PGM_RSRC3_GFX90A:ACCUM_OFFSET: 13
; COMPUTE_PGM_RSRC3_GFX90A:TG_SPLIT: 0
	.section	.text._Z38paged_attention_ll4mi_QKV_mfma4_kernelIDF16_hLN4vllm18Fp8KVCacheDataTypeE1EDF16_Li16ELi64ELi256ELb1ELi2EEvPKT_PKT0_S7_ifPKiS9_S9_iPKfiiiPfSC_PS2_PT2_iSB_SB_,"axG",@progbits,_Z38paged_attention_ll4mi_QKV_mfma4_kernelIDF16_hLN4vllm18Fp8KVCacheDataTypeE1EDF16_Li16ELi64ELi256ELb1ELi2EEvPKT_PKT0_S7_ifPKiS9_S9_iPKfiiiPfSC_PS2_PT2_iSB_SB_,comdat
	.protected	_Z38paged_attention_ll4mi_QKV_mfma4_kernelIDF16_hLN4vllm18Fp8KVCacheDataTypeE1EDF16_Li16ELi64ELi256ELb1ELi2EEvPKT_PKT0_S7_ifPKiS9_S9_iPKfiiiPfSC_PS2_PT2_iSB_SB_ ; -- Begin function _Z38paged_attention_ll4mi_QKV_mfma4_kernelIDF16_hLN4vllm18Fp8KVCacheDataTypeE1EDF16_Li16ELi64ELi256ELb1ELi2EEvPKT_PKT0_S7_ifPKiS9_S9_iPKfiiiPfSC_PS2_PT2_iSB_SB_
	.globl	_Z38paged_attention_ll4mi_QKV_mfma4_kernelIDF16_hLN4vllm18Fp8KVCacheDataTypeE1EDF16_Li16ELi64ELi256ELb1ELi2EEvPKT_PKT0_S7_ifPKiS9_S9_iPKfiiiPfSC_PS2_PT2_iSB_SB_
	.p2align	8
	.type	_Z38paged_attention_ll4mi_QKV_mfma4_kernelIDF16_hLN4vllm18Fp8KVCacheDataTypeE1EDF16_Li16ELi64ELi256ELb1ELi2EEvPKT_PKT0_S7_ifPKiS9_S9_iPKfiiiPfSC_PS2_PT2_iSB_SB_,@function
_Z38paged_attention_ll4mi_QKV_mfma4_kernelIDF16_hLN4vllm18Fp8KVCacheDataTypeE1EDF16_Li16ELi64ELi256ELb1ELi2EEvPKT_PKT0_S7_ifPKiS9_S9_iPKfiiiPfSC_PS2_PT2_iSB_SB_: ; @_Z38paged_attention_ll4mi_QKV_mfma4_kernelIDF16_hLN4vllm18Fp8KVCacheDataTypeE1EDF16_Li16ELi64ELi256ELb1ELi2EEvPKT_PKT0_S7_ifPKiS9_S9_iPKfiiiPfSC_PS2_PT2_iSB_SB_
; %bb.0:
	s_load_dwordx2 s[2:3], s[4:5], 0x30
	s_mov_b32 s10, s7
	s_mov_b64 s[0:1], 0
	s_waitcnt lgkmcnt(0)
	s_cmp_lg_u64 s[2:3], 0
	s_cselect_b64 s[20:21], -1, 0
	s_and_b64 vcc, exec, s[20:21]
	s_cbranch_vccz .LBB385_10
; %bb.1:
	s_add_i32 s12, s6, 1
	s_mov_b32 s13, 0
	s_lshl_b64 s[14:15], s[12:13], 2
	s_add_u32 s14, s2, s14
	s_mov_b32 s7, s13
	s_addc_u32 s15, s3, s15
	s_lshl_b64 s[12:13], s[6:7], 2
	s_add_u32 s12, s2, s12
	s_addc_u32 s13, s3, s13
	s_load_dword s9, s[14:15], 0x0
	s_load_dword s11, s[12:13], 0x0
	s_waitcnt lgkmcnt(0)
	s_sub_i32 s9, s9, s11
	s_cmp_eq_u32 s9, 1
	s_cselect_b64 s[12:13], -1, 0
	s_andn2_b64 vcc, exec, s[0:1]
	s_cbranch_vccnz .LBB385_3
.LBB385_2:
	s_mov_b32 s7, 0
	s_mov_b64 s[12:13], -1
.LBB385_3:
	s_andn2_b64 vcc, exec, s[12:13]
	s_cbranch_vccnz .LBB385_795
; %bb.4:
	s_load_dword s9, s[4:5], 0x9c
	s_load_dwordx2 s[0:1], s[4:5], 0x28
	s_add_u32 s26, s4, 0x90
	s_addc_u32 s27, s5, 0
	s_lshl_b64 s[22:23], s[6:7], 2
	s_waitcnt lgkmcnt(0)
	s_and_b32 s9, s9, 0xffff
	s_add_u32 s0, s0, s22
	s_addc_u32 s1, s1, s23
	s_load_dword s7, s[0:1], 0x0
	s_mul_i32 s9, s10, s9
	s_waitcnt lgkmcnt(0)
	s_cmp_ge_i32 s9, s7
	s_cbranch_scc1 .LBB385_795
; %bb.5:
	v_and_b32_e32 v1, 0xc0, v0
	v_add_u32_e32 v4, s9, v1
	v_lshrrev_b32_e32 v42, 6, v0
	v_cmp_le_i32_e64 s[0:1], s7, v4
                                        ; implicit-def: $sgpr30
                                        ; implicit-def: $sgpr11
	s_and_saveexec_b64 s[12:13], s[0:1]
	s_xor_b64 s[12:13], exec, s[12:13]
	s_cbranch_execz .LBB385_7
; %bb.6:
	v_mul_u32_u24_e32 v1, 20, v42
	v_or_b32_e32 v1, 0xa00, v1
	v_mov_b32_e32 v2, 0xa50
	v_mov_b32_e32 v3, 0xff7fffff
	v_mad_u32_u24 v2, v42, 20, v2
	ds_write2_b32 v1, v3, v3 offset1:1
	v_mov_b32_e32 v1, 0
	ds_write2_b32 v2, v1, v1 offset1:1
	v_mov_b32_e32 v2, 0xa08
	v_mov_b32_e32 v4, 0xa58
	s_mov_b32 s11, 0xff7fffff
	s_mov_b32 s30, 0
	v_mad_u32_u24 v2, v42, 20, v2
	v_mad_u32_u24 v4, v42, 20, v4
	ds_write2_b32 v2, v3, v3 offset1:1
	ds_write2_b32 v4, v1, v1 offset1:1
                                        ; implicit-def: $vgpr4
.LBB385_7:
	s_or_saveexec_b64 s[28:29], s[12:13]
	s_load_dwordx2 s[24:25], s[4:5], 0x68
	s_load_dwordx4 s[16:19], s[4:5], 0x58
	s_load_dword s33, s[26:27], 0x4
	s_load_dwordx4 s[12:15], s[4:5], 0x80
	v_and_b32_e32 v1, 63, v0
	v_and_b32_e32 v43, 3, v0
	s_lshl_b32 s38, s8, 1
	v_mov_b32_e32 v21, s30
	v_mov_b32_e32 v26, s11
	;; [unrolled: 1-line block ×5, first 2 shown]
                                        ; implicit-def: $vgpr14_vgpr15
                                        ; implicit-def: $vgpr10_vgpr11
                                        ; implicit-def: $vgpr6_vgpr7
                                        ; implicit-def: $vgpr2_vgpr3
	s_xor_b64 exec, exec, s[28:29]
	s_cbranch_execz .LBB385_403
; %bb.8:
	s_add_i32 s34, s7, 15
	s_ashr_i32 s35, s34, 31
	s_load_dwordx2 s[30:31], s[4:5], 0x20
	s_load_dword s11, s[4:5], 0x38
	s_lshr_b32 s35, s35, 28
	v_add_u32_e32 v44, s9, v0
	s_add_i32 s34, s34, s35
	v_ashrrev_i32_e32 v2, 31, v44
	s_ashr_i32 s34, s34, 4
	v_lshrrev_b32_e32 v2, 28, v2
	s_add_i32 s36, s34, -1
	v_add_u32_e32 v2, v44, v2
	v_ashrrev_i32_e32 v2, 4, v2
	v_mov_b32_e32 v3, s36
	v_cmp_gt_i32_e32 vcc, s7, v44
	s_waitcnt lgkmcnt(0)
	s_mul_i32 s34, s6, s11
	s_mov_b32 s35, 0
	v_cndmask_b32_e32 v2, v3, v2, vcc
	s_lshl_b64 s[34:35], s[34:35], 2
	v_ashrrev_i32_e32 v3, 31, v2
	s_add_u32 s11, s30, s34
	v_lshlrev_b64 v[2:3], 2, v[2:3]
	v_add_co_u32_e32 v8, vcc, s11, v2
	v_ashrrev_i32_e32 v2, 31, v4
	v_lshrrev_b32_e32 v2, 28, v2
	v_add_u32_e32 v2, v4, v2
	s_addc_u32 s30, s31, s35
	v_ashrrev_i32_e32 v4, 4, v2
	v_mov_b32_e32 v5, s30
	v_min_i32_e32 v2, s36, v4
	v_addc_co_u32_e32 v9, vcc, v5, v3, vcc
	v_ashrrev_i32_e32 v3, 31, v2
	v_lshlrev_b64 v[2:3], 2, v[2:3]
	v_add_co_u32_e32 v10, vcc, s11, v2
	v_add_u32_e32 v2, 1, v4
	v_min_i32_e32 v2, s36, v2
	v_addc_co_u32_e32 v11, vcc, v5, v3, vcc
	v_ashrrev_i32_e32 v3, 31, v2
	v_lshlrev_b64 v[2:3], 2, v[2:3]
	v_add_co_u32_e32 v12, vcc, s11, v2
	v_add_u32_e32 v2, 2, v4
	;; [unrolled: 6-line block ×3, first 2 shown]
	v_min_i32_e32 v2, s36, v2
	v_addc_co_u32_e32 v15, vcc, v5, v3, vcc
	v_ashrrev_i32_e32 v3, 31, v2
	v_lshlrev_b64 v[2:3], 2, v[2:3]
	v_mov_b32_e32 v4, s30
	v_add_co_u32_e32 v16, vcc, s11, v2
	v_addc_co_u32_e32 v17, vcc, v4, v3, vcc
	global_load_dword v6, v[8:9], off
	global_load_dword v5, v[10:11], off
	;; [unrolled: 1-line block ×5, first 2 shown]
	s_load_dwordx2 s[34:35], s[4:5], 0x8
	s_andn2_b64 vcc, exec, s[20:21]
	s_cbranch_vccnz .LBB385_11
; %bb.9:
	s_add_u32 s2, s2, s22
	s_addc_u32 s3, s3, s23
	s_load_dword s9, s[2:3], 0x0
	s_branch .LBB385_12
.LBB385_10:
	s_mov_b64 s[12:13], 0
	s_branch .LBB385_2
.LBB385_11:
	s_mov_b32 s9, s6
.LBB385_12:
	s_load_dwordx2 s[30:31], s[4:5], 0x10
	s_load_dwordx4 s[20:23], s[4:5], 0x48
	v_cmp_gt_u32_e32 vcc, 2, v43
	s_mov_b32 s37, 0
	v_mov_b32_e32 v46, 0
	v_mov_b32_e32 v18, 0
	;; [unrolled: 1-line block ×5, first 2 shown]
	s_and_saveexec_b64 s[2:3], vcc
	s_cbranch_execz .LBB385_14
; %bb.13:
	s_load_dwordx2 s[40:41], s[4:5], 0x0
	s_waitcnt lgkmcnt(0)
	s_ashr_i32 s11, s20, 31
	s_mul_hi_u32 s23, s9, s20
	s_mul_i32 s11, s9, s11
	s_add_i32 s43, s23, s11
	s_mul_i32 s42, s9, s20
	s_lshl_b64 s[42:43], s[42:43], 1
	s_add_u32 s9, s40, s42
	s_addc_u32 s11, s41, s43
	s_lshl_b32 s36, s8, 7
	s_lshl_b64 s[36:37], s[36:37], 1
	s_add_u32 s36, s9, s36
	v_lshlrev_b32_e32 v7, 3, v43
	v_lshrrev_b32_e32 v8, 2, v1
	s_addc_u32 s37, s11, s37
	v_add_lshl_u32 v7, v7, v8, 4
	global_load_dwordx4 v[18:21], v7, s[36:37]
.LBB385_14:
	s_or_b64 exec, exec, s[2:3]
	s_waitcnt lgkmcnt(0)
	s_mul_i32 s8, s8, s22
	s_add_u32 s2, s8, s34
	s_addc_u32 s3, 0, s35
	v_pk_mov_b32 v[8:9], s[2:3], s[2:3] op_sel:[0,1]
	s_waitcnt vmcnt(4)
	v_mad_i64_i32 v[6:7], s[2:3], v6, s21, v[8:9]
	v_lshlrev_b32_e32 v8, 4, v0
	v_and_b32_e32 v8, 0xf0, v8
	v_add_co_u32_e64 v6, s[2:3], v6, v8
	v_addc_co_u32_e64 v7, s[2:3], 0, v7, s[2:3]
	global_load_dwordx4 v[34:37], v[6:7], off
	global_load_dwordx4 v[30:33], v[6:7], off offset:256
	global_load_dwordx4 v[26:29], v[6:7], off offset:512
	;; [unrolled: 1-line block ×3, first 2 shown]
	v_mov_b32_e32 v45, 0
	s_and_saveexec_b64 s[2:3], vcc
	s_cbranch_execz .LBB385_16
; %bb.15:
	s_load_dwordx2 s[22:23], s[4:5], 0x40
	v_or_b32_e32 v6, s38, v43
	v_mov_b32_e32 v7, 0
	v_lshlrev_b64 v[6:7], 2, v[6:7]
	s_waitcnt lgkmcnt(0)
	v_mov_b32_e32 v8, s23
	v_add_co_u32_e32 v6, vcc, s22, v6
	v_addc_co_u32_e32 v7, vcc, v8, v7, vcc
	global_load_dword v45, v[6:7], off
.LBB385_16:
	s_or_b64 exec, exec, s[2:3]
	s_add_u32 s2, s30, s8
	v_lshlrev_b32_e32 v6, 4, v1
	v_add_co_u32_e32 v8, vcc, s2, v6
	s_waitcnt vmcnt(7)
	v_mul_hi_i32 v6, v5, s21
	s_addc_u32 s3, s31, 0
	v_ashrrev_i32_e32 v6, 31, v6
	v_mov_b32_e32 v7, s3
	v_lshrrev_b32_e32 v38, 29, v6
	v_mov_b32_e32 v39, 0
	v_addc_co_u32_e32 v9, vcc, 0, v7, vcc
	v_mad_i64_i32 v[6:7], s[2:3], v5, s21, v[38:39]
	v_and_b32_e32 v5, -8, v6
	v_add_co_u32_e32 v6, vcc, v8, v5
	s_waitcnt vmcnt(6)
	v_mul_hi_i32 v5, v4, s21
	v_ashrrev_i32_e32 v5, 31, v5
	v_lshrrev_b32_e32 v38, 29, v5
	v_mad_i64_i32 v[4:5], s[2:3], v4, s21, v[38:39]
	v_addc_co_u32_e32 v7, vcc, v9, v7, vcc
	v_and_b32_e32 v4, -8, v4
	v_add_co_u32_e32 v4, vcc, v8, v4
	v_addc_co_u32_e32 v5, vcc, v9, v5, vcc
	global_load_dwordx4 v[14:17], v[6:7], off
	global_load_dwordx4 v[10:13], v[4:5], off
	s_waitcnt vmcnt(7)
	v_mul_hi_i32 v4, v3, s21
	v_ashrrev_i32_e32 v4, 31, v4
	v_lshrrev_b32_e32 v38, 29, v4
	v_mad_i64_i32 v[4:5], s[2:3], v3, s21, v[38:39]
	v_and_b32_e32 v3, -8, v4
	v_add_co_u32_e32 v40, vcc, v8, v3
	s_waitcnt vmcnt(6)
	v_mul_hi_i32 v3, v2, s21
	v_ashrrev_i32_e32 v3, 31, v3
	v_lshrrev_b32_e32 v38, 29, v3
	v_mad_i64_i32 v[2:3], s[2:3], v2, s21, v[38:39]
	v_addc_co_u32_e32 v41, vcc, v9, v5, vcc
	v_and_b32_e32 v2, -8, v2
	v_add_co_u32_e32 v48, vcc, v8, v2
	v_addc_co_u32_e32 v49, vcc, v9, v3, vcc
	global_load_dwordx4 v[6:9], v[40:41], off
	global_load_dwordx4 v[2:5], v[48:49], off
	s_waitcnt vmcnt(7)
	v_cmp_ne_u16_sdwa s[8:9], v34, v39 src0_sel:BYTE_0 src1_sel:DWORD
	s_and_saveexec_b64 s[2:3], s[8:9]
	s_cbranch_execz .LBB385_22
; %bb.17:
	s_movk_i32 s8, 0x80
	v_cmp_ne_u16_sdwa s[20:21], v34, s8 src0_sel:BYTE_0 src1_sel:DWORD
	v_bfrev_b32_e32 v46, 1
	s_and_saveexec_b64 s[8:9], s[20:21]
	s_cbranch_execz .LBB385_21
; %bb.18:
	s_movk_i32 s11, 0x7f
	v_and_b32_e32 v38, 0x7f, v34
	v_cmp_ne_u32_e32 vcc, s11, v38
	v_mov_b32_e32 v46, 0x7f800001
	s_and_saveexec_b64 s[20:21], vcc
	s_cbranch_execz .LBB385_20
; %bb.19:
	v_and_b32_e32 v40, 7, v34
	v_ffbh_u32_e32 v40, v40
	v_min_u32_e32 v40, 32, v40
	v_lshrrev_b32_e32 v41, 3, v38
	v_subrev_u32_e32 v46, 28, v40
	v_sub_u32_e32 v40, 29, v40
	v_cmp_gt_u32_e32 vcc, 8, v38
	v_cndmask_b32_e32 v38, v41, v40, vcc
	v_cndmask_b32_e32 v40, 0, v46, vcc
	v_lshlrev_b64 v[40:41], v40, v[34:35]
	v_lshlrev_b32_e32 v40, 20, v40
	v_lshlrev_b32_e32 v41, 24, v34
	v_bfrev_b32_e32 v46, 60
	v_and_b32_e32 v40, 0x700000, v40
	v_and_b32_e32 v41, 0x80000000, v41
	v_lshl_add_u32 v38, v38, 23, v46
	v_or3_b32 v46, v41, v38, v40
.LBB385_20:
	s_or_b64 exec, exec, s[20:21]
.LBB385_21:
	s_or_b64 exec, exec, s[8:9]
.LBB385_22:
	s_or_b64 exec, exec, s[2:3]
	v_lshrrev_b16_e32 v38, 8, v34
	v_cmp_ne_u16_e32 vcc, 0, v38
	v_mov_b32_e32 v47, 0
	s_and_saveexec_b64 s[2:3], vcc
	s_cbranch_execz .LBB385_28
; %bb.23:
	s_movk_i32 s8, 0x80
	v_cmp_ne_u16_e32 vcc, s8, v38
	v_bfrev_b32_e32 v47, 1
	s_and_saveexec_b64 s[8:9], vcc
	s_cbranch_execz .LBB385_27
; %bb.24:
	s_movk_i32 s11, 0x7f
	v_and_b32_e32 v40, 0x7f, v38
	v_cmp_ne_u32_e32 vcc, s11, v40
	v_mov_b32_e32 v47, 0x7f800001
	s_and_saveexec_b64 s[20:21], vcc
	s_cbranch_execz .LBB385_26
; %bb.25:
	v_and_b32_e32 v41, 7, v38
	v_ffbh_u32_e32 v48, v41
	v_min_u32_e32 v50, 32, v48
	v_subrev_u32_e32 v48, 28, v50
	v_lshlrev_b64 v[48:49], v48, v[38:39]
	v_lshrrev_b32_e32 v47, 3, v40
	v_sub_u32_e32 v38, 29, v50
	v_and_b32_e32 v48, 7, v48
	v_cmp_gt_u32_e32 vcc, 8, v40
	v_cndmask_b32_e32 v38, v47, v38, vcc
	v_cndmask_b32_e32 v40, v41, v48, vcc
	v_lshlrev_b32_e32 v41, 16, v34
	v_bfrev_b32_e32 v47, 60
	v_lshlrev_b32_e32 v40, 20, v40
	v_and_b32_e32 v41, 0x80000000, v41
	v_lshl_add_u32 v38, v38, 23, v47
	v_or3_b32 v47, v41, v38, v40
.LBB385_26:
	s_or_b64 exec, exec, s[20:21]
.LBB385_27:
	s_or_b64 exec, exec, s[8:9]
.LBB385_28:
	s_or_b64 exec, exec, s[2:3]
	s_movk_i32 s2, 0xff
	v_and_b32_sdwa v40, v34, s2 dst_sel:DWORD dst_unused:UNUSED_PAD src0_sel:WORD_1 src1_sel:DWORD
	v_lshrrev_b32_e32 v38, 16, v34
	v_cmp_ne_u16_e32 vcc, 0, v40
	s_and_saveexec_b64 s[2:3], vcc
	s_cbranch_execz .LBB385_34
; %bb.29:
	s_movk_i32 s8, 0x80
	v_cmp_ne_u16_e32 vcc, s8, v40
	v_bfrev_b32_e32 v39, 1
	s_and_saveexec_b64 s[8:9], vcc
	s_cbranch_execz .LBB385_33
; %bb.30:
	v_bfe_u32 v40, v34, 16, 7
	s_movk_i32 s11, 0x7f
	v_cmp_ne_u32_e32 vcc, s11, v40
	v_mov_b32_e32 v39, 0x7f800001
	s_and_saveexec_b64 s[20:21], vcc
	s_cbranch_execz .LBB385_32
; %bb.31:
	v_and_b32_e32 v41, 7, v38
	v_ffbh_u32_e32 v39, v41
	v_min_u32_e32 v49, 32, v39
	v_subrev_u32_e32 v39, 28, v49
	v_lshlrev_b64 v[38:39], v39, v[38:39]
	v_lshrrev_b32_e32 v48, 3, v40
	v_sub_u32_e32 v39, 29, v49
	v_and_b32_e32 v38, 7, v38
	v_cmp_gt_u32_e32 vcc, 8, v40
	v_mov_b32_e32 v40, 24
	v_cndmask_b32_e32 v39, v48, v39, vcc
	v_cndmask_b32_e32 v38, v41, v38, vcc
	v_lshlrev_b32_sdwa v40, v40, v34 dst_sel:DWORD dst_unused:UNUSED_PAD src0_sel:DWORD src1_sel:WORD_1
	v_bfrev_b32_e32 v41, 60
	v_lshlrev_b32_e32 v38, 20, v38
	v_and_b32_e32 v40, 0x80000000, v40
	v_lshl_add_u32 v39, v39, 23, v41
	v_or3_b32 v39, v40, v39, v38
.LBB385_32:
	s_or_b64 exec, exec, s[20:21]
.LBB385_33:
	s_or_b64 exec, exec, s[8:9]
.LBB385_34:
	s_or_b64 exec, exec, s[2:3]
	s_mov_b32 s2, 0xffffff
	v_cmp_lt_u32_e32 vcc, s2, v34
	v_mov_b32_e32 v41, 0
	v_mov_b32_e32 v48, 0
	s_and_saveexec_b64 s[2:3], vcc
	s_cbranch_execz .LBB385_40
; %bb.35:
	v_lshrrev_b32_e32 v38, 24, v34
	s_movk_i32 s8, 0x80
	v_cmp_ne_u32_e32 vcc, s8, v38
	v_bfrev_b32_e32 v48, 1
	s_and_saveexec_b64 s[8:9], vcc
	s_cbranch_execz .LBB385_39
; %bb.36:
	v_bfe_u32 v40, v34, 24, 7
	s_movk_i32 s11, 0x7f
	v_cmp_ne_u32_e32 vcc, s11, v40
	v_mov_b32_e32 v48, 0x7f800001
	s_and_saveexec_b64 s[20:21], vcc
	s_cbranch_execz .LBB385_38
; %bb.37:
	v_and_b32_e32 v50, 7, v38
	v_ffbh_u32_e32 v48, v50
	v_min_u32_e32 v52, 32, v48
	v_subrev_u32_e32 v48, 28, v52
	v_lshlrev_b64 v[48:49], v48, v[38:39]
	v_lshrrev_b32_e32 v51, 3, v40
	v_sub_u32_e32 v49, 29, v52
	v_and_b32_e32 v48, 7, v48
	v_cmp_gt_u32_e32 vcc, 8, v40
	v_cndmask_b32_e32 v40, v51, v49, vcc
	v_cndmask_b32_e32 v48, v50, v48, vcc
	v_lshlrev_b32_e32 v38, 24, v38
	v_bfrev_b32_e32 v49, 60
	v_lshlrev_b32_e32 v48, 20, v48
	v_and_b32_e32 v38, 0x80000000, v38
	v_lshl_add_u32 v40, v40, 23, v49
	v_or3_b32 v48, v38, v40, v48
.LBB385_38:
	s_or_b64 exec, exec, s[20:21]
.LBB385_39:
	s_or_b64 exec, exec, s[8:9]
.LBB385_40:
	s_or_b64 exec, exec, s[2:3]
	v_mov_b32_e32 v40, v35
	v_cmp_ne_u16_sdwa s[8:9], v35, v41 src0_sel:BYTE_0 src1_sel:DWORD
	s_and_saveexec_b64 s[2:3], s[8:9]
	s_cbranch_execz .LBB385_46
; %bb.41:
	s_movk_i32 s8, 0x80
	v_cmp_ne_u16_sdwa s[20:21], v35, s8 src0_sel:BYTE_0 src1_sel:DWORD
	v_bfrev_b32_e32 v38, 1
	s_and_saveexec_b64 s[8:9], s[20:21]
	s_cbranch_execz .LBB385_45
; %bb.42:
	s_movk_i32 s11, 0x7f
	v_and_b32_e32 v49, 0x7f, v35
	v_cmp_ne_u32_e32 vcc, s11, v49
	v_mov_b32_e32 v38, 0x7f800001
	s_and_saveexec_b64 s[20:21], vcc
	s_cbranch_execz .LBB385_44
; %bb.43:
	v_and_b32_e32 v38, 7, v35
	v_ffbh_u32_e32 v38, v38
	v_min_u32_e32 v38, 32, v38
	v_subrev_u32_e32 v51, 28, v38
	v_cmp_gt_u32_e32 vcc, 8, v49
	v_lshrrev_b32_e32 v50, 3, v49
	v_sub_u32_e32 v38, 29, v38
	v_cndmask_b32_e32 v49, 0, v51, vcc
	v_cndmask_b32_e32 v38, v50, v38, vcc
	v_lshlrev_b64 v[50:51], v49, v[40:41]
	v_lshlrev_b32_e32 v41, 20, v50
	v_lshlrev_b32_e32 v49, 24, v40
	v_bfrev_b32_e32 v50, 60
	v_and_b32_e32 v41, 0x700000, v41
	v_and_b32_e32 v49, 0x80000000, v49
	v_lshl_add_u32 v38, v38, 23, v50
	v_or3_b32 v38, v49, v38, v41
.LBB385_44:
	s_or_b64 exec, exec, s[20:21]
.LBB385_45:
	s_or_b64 exec, exec, s[8:9]
	v_mov_b32_e32 v41, v38
.LBB385_46:
	s_or_b64 exec, exec, s[2:3]
	v_lshrrev_b16_e32 v38, 8, v40
	v_cmp_ne_u16_e32 vcc, 0, v38
	v_mov_b32_e32 v49, 0
	v_mov_b32_e32 v50, 0
	s_and_saveexec_b64 s[2:3], vcc
	s_cbranch_execz .LBB385_52
; %bb.47:
	s_movk_i32 s8, 0x80
	v_cmp_ne_u16_e32 vcc, s8, v38
	v_bfrev_b32_e32 v50, 1
	s_and_saveexec_b64 s[8:9], vcc
	s_cbranch_execz .LBB385_51
; %bb.48:
	s_movk_i32 s11, 0x7f
	v_and_b32_e32 v51, 0x7f, v38
	v_cmp_ne_u32_e32 vcc, s11, v51
	v_mov_b32_e32 v50, 0x7f800001
	s_and_saveexec_b64 s[20:21], vcc
	s_cbranch_execz .LBB385_50
; %bb.49:
	v_and_b32_e32 v50, 7, v38
	v_ffbh_u32_e32 v52, v50
	v_min_u32_e32 v55, 32, v52
	v_subrev_u32_e32 v52, 28, v55
	v_lshlrev_b64 v[52:53], v52, v[38:39]
	v_lshrrev_b32_e32 v54, 3, v51
	v_sub_u32_e32 v38, 29, v55
	v_and_b32_e32 v52, 7, v52
	v_cmp_gt_u32_e32 vcc, 8, v51
	v_cndmask_b32_e32 v38, v54, v38, vcc
	v_cndmask_b32_e32 v50, v50, v52, vcc
	v_lshlrev_b32_e32 v40, 16, v40
	v_bfrev_b32_e32 v51, 60
	v_lshlrev_b32_e32 v50, 20, v50
	v_and_b32_e32 v40, 0x80000000, v40
	v_lshl_add_u32 v38, v38, 23, v51
	v_or3_b32 v50, v40, v38, v50
.LBB385_50:
	s_or_b64 exec, exec, s[20:21]
.LBB385_51:
	s_or_b64 exec, exec, s[8:9]
.LBB385_52:
	s_or_b64 exec, exec, s[2:3]
	s_movk_i32 s2, 0xff
	v_and_b32_sdwa v40, v35, s2 dst_sel:DWORD dst_unused:UNUSED_PAD src0_sel:WORD_1 src1_sel:DWORD
	v_lshrrev_b32_e32 v38, 16, v35
	v_cmp_ne_u16_e32 vcc, 0, v40
	s_and_saveexec_b64 s[2:3], vcc
	s_cbranch_execz .LBB385_58
; %bb.53:
	s_movk_i32 s8, 0x80
	v_cmp_ne_u16_e32 vcc, s8, v40
	v_bfrev_b32_e32 v49, 1
	s_and_saveexec_b64 s[8:9], vcc
	s_cbranch_execz .LBB385_57
; %bb.54:
	v_bfe_u32 v40, v35, 16, 7
	s_movk_i32 s11, 0x7f
	v_cmp_ne_u32_e32 vcc, s11, v40
	v_mov_b32_e32 v49, 0x7f800001
	s_and_saveexec_b64 s[20:21], vcc
	s_cbranch_execz .LBB385_56
; %bb.55:
	v_and_b32_e32 v49, 7, v38
	v_ffbh_u32_e32 v52, v49
	v_min_u32_e32 v54, 32, v52
	v_subrev_u32_e32 v52, 28, v54
	v_lshlrev_b64 v[52:53], v52, v[38:39]
	v_and_b32_e32 v52, 7, v52
	v_cmp_gt_u32_e32 vcc, 8, v40
	v_lshrrev_b32_e32 v51, 3, v40
	v_sub_u32_e32 v38, 29, v54
	v_cndmask_b32_e32 v40, v49, v52, vcc
	v_mov_b32_e32 v49, 24
	v_cndmask_b32_e32 v38, v51, v38, vcc
	v_lshlrev_b32_sdwa v49, v49, v35 dst_sel:DWORD dst_unused:UNUSED_PAD src0_sel:DWORD src1_sel:WORD_1
	v_bfrev_b32_e32 v51, 60
	v_lshlrev_b32_e32 v40, 20, v40
	v_and_b32_e32 v49, 0x80000000, v49
	v_lshl_add_u32 v38, v38, 23, v51
	v_or3_b32 v49, v49, v38, v40
.LBB385_56:
	s_or_b64 exec, exec, s[20:21]
.LBB385_57:
	s_or_b64 exec, exec, s[8:9]
.LBB385_58:
	s_or_b64 exec, exec, s[2:3]
	s_mov_b32 s2, -1
	s_mov_b32 s3, 0xffffff
	v_cmp_lt_u64_e32 vcc, s[2:3], v[34:35]
	v_mov_b32_e32 v40, 0
	v_mov_b32_e32 v38, 0
	s_and_saveexec_b64 s[2:3], vcc
	s_cbranch_execz .LBB385_64
; %bb.59:
	v_lshrrev_b32_e32 v34, 24, v35
	s_movk_i32 s8, 0x80
	v_cmp_ne_u32_e32 vcc, s8, v34
	v_bfrev_b32_e32 v38, 1
	s_and_saveexec_b64 s[8:9], vcc
	s_cbranch_execz .LBB385_63
; %bb.60:
	v_bfe_u32 v35, v35, 24, 7
	s_movk_i32 s11, 0x7f
	v_cmp_ne_u32_e32 vcc, s11, v35
	v_mov_b32_e32 v38, 0x7f800001
	s_and_saveexec_b64 s[20:21], vcc
	s_cbranch_execz .LBB385_62
; %bb.61:
	v_and_b32_e32 v38, 7, v34
	v_ffbh_u32_e32 v52, v38
	v_min_u32_e32 v54, 32, v52
	v_subrev_u32_e32 v52, 28, v54
	v_lshlrev_b64 v[52:53], v52, v[34:35]
	v_lshrrev_b32_e32 v51, 3, v35
	v_sub_u32_e32 v53, 29, v54
	v_and_b32_e32 v52, 7, v52
	v_cmp_gt_u32_e32 vcc, 8, v35
	v_cndmask_b32_e32 v35, v51, v53, vcc
	v_cndmask_b32_e32 v38, v38, v52, vcc
	v_lshlrev_b32_e32 v34, 24, v34
	v_bfrev_b32_e32 v51, 60
	v_lshlrev_b32_e32 v38, 20, v38
	v_and_b32_e32 v34, 0x80000000, v34
	v_lshl_add_u32 v35, v35, 23, v51
	v_or3_b32 v38, v34, v35, v38
.LBB385_62:
	s_or_b64 exec, exec, s[20:21]
.LBB385_63:
	s_or_b64 exec, exec, s[8:9]
.LBB385_64:
	s_or_b64 exec, exec, s[2:3]
	v_cvt_pkrtz_f16_f32 v34, v46, v47
	v_cvt_pkrtz_f16_f32 v35, v39, v48
	;; [unrolled: 1-line block ×4, first 2 shown]
	v_mfma_f32_4x4x4f16 a[0:3], v[18:19], v[34:35], 0 cbsz:4
	v_cmp_ne_u16_sdwa s[8:9], v36, v40 src0_sel:BYTE_0 src1_sel:DWORD
	v_mfma_f32_4x4x4f16 a[0:3], v[20:21], v[46:47], a[0:3] cbsz:4
	s_and_saveexec_b64 s[2:3], s[8:9]
	s_cbranch_execz .LBB385_70
; %bb.65:
	s_movk_i32 s8, 0x80
	v_cmp_ne_u16_sdwa s[20:21], v36, s8 src0_sel:BYTE_0 src1_sel:DWORD
	v_bfrev_b32_e32 v40, 1
	s_and_saveexec_b64 s[8:9], s[20:21]
	s_cbranch_execz .LBB385_69
; %bb.66:
	s_movk_i32 s11, 0x7f
	v_and_b32_e32 v34, 0x7f, v36
	v_cmp_ne_u32_e32 vcc, s11, v34
	v_mov_b32_e32 v40, 0x7f800001
	s_and_saveexec_b64 s[20:21], vcc
	s_cbranch_execz .LBB385_68
; %bb.67:
	v_and_b32_e32 v35, 7, v36
	v_ffbh_u32_e32 v35, v35
	v_min_u32_e32 v35, 32, v35
	v_subrev_u32_e32 v39, 28, v35
	v_cmp_gt_u32_e32 vcc, 8, v34
	v_lshrrev_b32_e32 v38, 3, v34
	v_sub_u32_e32 v35, 29, v35
	v_cndmask_b32_e32 v34, 0, v39, vcc
	v_cndmask_b32_e32 v38, v38, v35, vcc
	v_lshlrev_b64 v[34:35], v34, v[36:37]
	v_lshlrev_b32_e32 v34, 20, v34
	v_lshlrev_b32_e32 v35, 24, v36
	v_bfrev_b32_e32 v39, 60
	v_and_b32_e32 v34, 0x700000, v34
	v_and_b32_e32 v35, 0x80000000, v35
	v_lshl_add_u32 v38, v38, 23, v39
	v_or3_b32 v40, v35, v38, v34
.LBB385_68:
	s_or_b64 exec, exec, s[20:21]
.LBB385_69:
	s_or_b64 exec, exec, s[8:9]
.LBB385_70:
	s_or_b64 exec, exec, s[2:3]
	v_lshrrev_b16_e32 v34, 8, v36
	v_cmp_ne_u16_e32 vcc, 0, v34
	v_mov_b32_e32 v39, 0
	v_mov_b32_e32 v41, 0
	s_and_saveexec_b64 s[2:3], vcc
	s_cbranch_execz .LBB385_76
; %bb.71:
	s_movk_i32 s8, 0x80
	v_cmp_ne_u16_e32 vcc, s8, v34
	v_bfrev_b32_e32 v41, 1
	s_and_saveexec_b64 s[8:9], vcc
	s_cbranch_execz .LBB385_75
; %bb.72:
	s_movk_i32 s11, 0x7f
	v_and_b32_e32 v35, 0x7f, v34
	v_cmp_ne_u32_e32 vcc, s11, v35
	v_mov_b32_e32 v41, 0x7f800001
	s_and_saveexec_b64 s[20:21], vcc
	s_cbranch_execz .LBB385_74
; %bb.73:
	v_and_b32_e32 v38, 7, v34
	v_ffbh_u32_e32 v46, v38
	v_min_u32_e32 v48, 32, v46
	v_subrev_u32_e32 v46, 28, v48
	v_lshlrev_b64 v[46:47], v46, v[34:35]
	v_lshrrev_b32_e32 v41, 3, v35
	v_sub_u32_e32 v34, 29, v48
	v_and_b32_e32 v46, 7, v46
	v_cmp_gt_u32_e32 vcc, 8, v35
	v_cndmask_b32_e32 v34, v41, v34, vcc
	v_cndmask_b32_e32 v35, v38, v46, vcc
	v_lshlrev_b32_e32 v38, 16, v36
	v_bfrev_b32_e32 v41, 60
	v_lshlrev_b32_e32 v35, 20, v35
	v_and_b32_e32 v38, 0x80000000, v38
	v_lshl_add_u32 v34, v34, 23, v41
	v_or3_b32 v41, v38, v34, v35
.LBB385_74:
	s_or_b64 exec, exec, s[20:21]
.LBB385_75:
	s_or_b64 exec, exec, s[8:9]
.LBB385_76:
	s_or_b64 exec, exec, s[2:3]
	s_movk_i32 s2, 0xff
	v_and_b32_sdwa v35, v36, s2 dst_sel:DWORD dst_unused:UNUSED_PAD src0_sel:WORD_1 src1_sel:DWORD
	v_lshrrev_b32_e32 v34, 16, v36
	v_cmp_ne_u16_e32 vcc, 0, v35
	s_and_saveexec_b64 s[2:3], vcc
	s_cbranch_execz .LBB385_82
; %bb.77:
	s_movk_i32 s8, 0x80
	v_cmp_ne_u16_e32 vcc, s8, v35
	v_bfrev_b32_e32 v39, 1
	s_and_saveexec_b64 s[8:9], vcc
	s_cbranch_execz .LBB385_81
; %bb.78:
	v_bfe_u32 v35, v36, 16, 7
	s_movk_i32 s11, 0x7f
	v_cmp_ne_u32_e32 vcc, s11, v35
	v_mov_b32_e32 v39, 0x7f800001
	s_and_saveexec_b64 s[20:21], vcc
	s_cbranch_execz .LBB385_80
; %bb.79:
	v_and_b32_e32 v46, 7, v34
	v_ffbh_u32_e32 v38, v46
	v_min_u32_e32 v48, 32, v38
	v_subrev_u32_e32 v38, 28, v48
	v_lshlrev_b64 v[38:39], v38, v[34:35]
	v_and_b32_e32 v38, 7, v38
	v_cmp_gt_u32_e32 vcc, 8, v35
	v_lshrrev_b32_e32 v47, 3, v35
	v_sub_u32_e32 v34, 29, v48
	v_cndmask_b32_e32 v35, v46, v38, vcc
	v_mov_b32_e32 v38, 24
	v_cndmask_b32_e32 v34, v47, v34, vcc
	v_lshlrev_b32_sdwa v38, v38, v36 dst_sel:DWORD dst_unused:UNUSED_PAD src0_sel:DWORD src1_sel:WORD_1
	v_bfrev_b32_e32 v39, 60
	v_lshlrev_b32_e32 v35, 20, v35
	v_and_b32_e32 v38, 0x80000000, v38
	v_lshl_add_u32 v34, v34, 23, v39
	v_or3_b32 v39, v38, v34, v35
.LBB385_80:
	s_or_b64 exec, exec, s[20:21]
.LBB385_81:
	s_or_b64 exec, exec, s[8:9]
.LBB385_82:
	s_or_b64 exec, exec, s[2:3]
	s_mov_b32 s2, 0xffffff
	v_cmp_lt_u32_e32 vcc, s2, v36
	v_mov_b32_e32 v35, 0
	v_mov_b32_e32 v46, 0
	s_and_saveexec_b64 s[2:3], vcc
	s_cbranch_execz .LBB385_88
; %bb.83:
	v_lshrrev_b32_e32 v34, 24, v36
	s_movk_i32 s8, 0x80
	v_cmp_ne_u32_e32 vcc, s8, v34
	v_bfrev_b32_e32 v46, 1
	s_and_saveexec_b64 s[8:9], vcc
	s_cbranch_execz .LBB385_87
; %bb.84:
	v_bfe_u32 v38, v36, 24, 7
	s_movk_i32 s11, 0x7f
	v_cmp_ne_u32_e32 vcc, s11, v38
	v_mov_b32_e32 v46, 0x7f800001
	s_and_saveexec_b64 s[20:21], vcc
	s_cbranch_execz .LBB385_86
; %bb.85:
	v_and_b32_e32 v48, 7, v34
	v_ffbh_u32_e32 v46, v48
	v_min_u32_e32 v50, 32, v46
	v_subrev_u32_e32 v46, 28, v50
	v_lshlrev_b64 v[46:47], v46, v[34:35]
	v_lshrrev_b32_e32 v49, 3, v38
	v_sub_u32_e32 v47, 29, v50
	v_and_b32_e32 v46, 7, v46
	v_cmp_gt_u32_e32 vcc, 8, v38
	v_cndmask_b32_e32 v38, v49, v47, vcc
	v_cndmask_b32_e32 v46, v48, v46, vcc
	v_lshlrev_b32_e32 v34, 24, v34
	v_bfrev_b32_e32 v47, 60
	v_lshlrev_b32_e32 v46, 20, v46
	v_and_b32_e32 v34, 0x80000000, v34
	v_lshl_add_u32 v38, v38, 23, v47
	v_or3_b32 v46, v34, v38, v46
.LBB385_86:
	s_or_b64 exec, exec, s[20:21]
.LBB385_87:
	s_or_b64 exec, exec, s[8:9]
.LBB385_88:
	s_or_b64 exec, exec, s[2:3]
	v_mov_b32_e32 v34, v37
	v_cmp_ne_u16_sdwa s[8:9], v37, v35 src0_sel:BYTE_0 src1_sel:DWORD
	s_and_saveexec_b64 s[2:3], s[8:9]
	s_cbranch_execz .LBB385_94
; %bb.89:
	s_movk_i32 s8, 0x80
	v_cmp_ne_u16_sdwa s[20:21], v37, s8 src0_sel:BYTE_0 src1_sel:DWORD
	v_bfrev_b32_e32 v38, 1
	s_and_saveexec_b64 s[8:9], s[20:21]
	s_cbranch_execz .LBB385_93
; %bb.90:
	s_movk_i32 s11, 0x7f
	v_and_b32_e32 v47, 0x7f, v37
	v_cmp_ne_u32_e32 vcc, s11, v47
	v_mov_b32_e32 v38, 0x7f800001
	s_and_saveexec_b64 s[20:21], vcc
	s_cbranch_execz .LBB385_92
; %bb.91:
	v_and_b32_e32 v38, 7, v37
	v_ffbh_u32_e32 v38, v38
	v_min_u32_e32 v38, 32, v38
	v_subrev_u32_e32 v49, 28, v38
	v_cmp_gt_u32_e32 vcc, 8, v47
	v_lshrrev_b32_e32 v48, 3, v47
	v_sub_u32_e32 v38, 29, v38
	v_cndmask_b32_e32 v47, 0, v49, vcc
	v_cndmask_b32_e32 v38, v48, v38, vcc
	v_lshlrev_b64 v[48:49], v47, v[34:35]
	v_lshlrev_b32_e32 v35, 20, v48
	v_lshlrev_b32_e32 v47, 24, v34
	v_bfrev_b32_e32 v48, 60
	v_and_b32_e32 v35, 0x700000, v35
	v_and_b32_e32 v47, 0x80000000, v47
	v_lshl_add_u32 v38, v38, 23, v48
	v_or3_b32 v38, v47, v38, v35
.LBB385_92:
	s_or_b64 exec, exec, s[20:21]
.LBB385_93:
	s_or_b64 exec, exec, s[8:9]
	v_mov_b32_e32 v35, v38
.LBB385_94:
	s_or_b64 exec, exec, s[2:3]
	v_lshrrev_b16_e32 v38, 8, v34
	v_cmp_ne_u16_e32 vcc, 0, v38
	v_mov_b32_e32 v47, 0
	v_mov_b32_e32 v48, 0
	s_and_saveexec_b64 s[2:3], vcc
	s_cbranch_execz .LBB385_100
; %bb.95:
	s_movk_i32 s8, 0x80
	v_cmp_ne_u16_e32 vcc, s8, v38
	v_bfrev_b32_e32 v48, 1
	s_and_saveexec_b64 s[8:9], vcc
	s_cbranch_execz .LBB385_99
; %bb.96:
	s_movk_i32 s11, 0x7f
	v_and_b32_e32 v49, 0x7f, v38
	v_cmp_ne_u32_e32 vcc, s11, v49
	v_mov_b32_e32 v48, 0x7f800001
	s_and_saveexec_b64 s[20:21], vcc
	s_cbranch_execz .LBB385_98
; %bb.97:
	v_and_b32_e32 v48, 7, v38
	v_ffbh_u32_e32 v50, v48
	v_min_u32_e32 v53, 32, v50
	v_subrev_u32_e32 v50, 28, v53
	v_lshlrev_b64 v[50:51], v50, v[38:39]
	v_lshrrev_b32_e32 v52, 3, v49
	v_sub_u32_e32 v38, 29, v53
	v_and_b32_e32 v50, 7, v50
	v_cmp_gt_u32_e32 vcc, 8, v49
	v_cndmask_b32_e32 v38, v52, v38, vcc
	v_cndmask_b32_e32 v48, v48, v50, vcc
	v_lshlrev_b32_e32 v34, 16, v34
	v_bfrev_b32_e32 v49, 60
	v_lshlrev_b32_e32 v48, 20, v48
	v_and_b32_e32 v34, 0x80000000, v34
	v_lshl_add_u32 v38, v38, 23, v49
	v_or3_b32 v48, v34, v38, v48
.LBB385_98:
	s_or_b64 exec, exec, s[20:21]
.LBB385_99:
	s_or_b64 exec, exec, s[8:9]
.LBB385_100:
	s_or_b64 exec, exec, s[2:3]
	s_movk_i32 s2, 0xff
	v_and_b32_sdwa v38, v37, s2 dst_sel:DWORD dst_unused:UNUSED_PAD src0_sel:WORD_1 src1_sel:DWORD
	v_lshrrev_b32_e32 v34, 16, v37
	v_cmp_ne_u16_e32 vcc, 0, v38
	s_and_saveexec_b64 s[2:3], vcc
	s_cbranch_execz .LBB385_106
; %bb.101:
	s_movk_i32 s8, 0x80
	v_cmp_ne_u16_e32 vcc, s8, v38
	v_bfrev_b32_e32 v47, 1
	s_and_saveexec_b64 s[8:9], vcc
	s_cbranch_execz .LBB385_105
; %bb.102:
	v_bfe_u32 v38, v37, 16, 7
	s_movk_i32 s11, 0x7f
	v_cmp_ne_u32_e32 vcc, s11, v38
	v_mov_b32_e32 v47, 0x7f800001
	s_and_saveexec_b64 s[20:21], vcc
	s_cbranch_execz .LBB385_104
; %bb.103:
	v_and_b32_e32 v47, 7, v34
	v_ffbh_u32_e32 v50, v47
	v_min_u32_e32 v52, 32, v50
	v_subrev_u32_e32 v50, 28, v52
	v_lshlrev_b64 v[50:51], v50, v[34:35]
	v_and_b32_e32 v50, 7, v50
	v_cmp_gt_u32_e32 vcc, 8, v38
	v_lshrrev_b32_e32 v49, 3, v38
	v_sub_u32_e32 v34, 29, v52
	v_cndmask_b32_e32 v38, v47, v50, vcc
	v_mov_b32_e32 v47, 24
	v_cndmask_b32_e32 v34, v49, v34, vcc
	v_lshlrev_b32_sdwa v47, v47, v37 dst_sel:DWORD dst_unused:UNUSED_PAD src0_sel:DWORD src1_sel:WORD_1
	v_bfrev_b32_e32 v49, 60
	v_lshlrev_b32_e32 v38, 20, v38
	v_and_b32_e32 v47, 0x80000000, v47
	v_lshl_add_u32 v34, v34, 23, v49
	v_or3_b32 v47, v47, v34, v38
.LBB385_104:
	s_or_b64 exec, exec, s[20:21]
.LBB385_105:
	s_or_b64 exec, exec, s[8:9]
.LBB385_106:
	s_or_b64 exec, exec, s[2:3]
	s_mov_b32 s2, -1
	s_mov_b32 s3, 0xffffff
	v_cmp_lt_u64_e32 vcc, s[2:3], v[36:37]
	v_mov_b32_e32 v38, 0
	v_mov_b32_e32 v36, 0
	s_and_saveexec_b64 s[2:3], vcc
	s_cbranch_execz .LBB385_112
; %bb.107:
	v_lshrrev_b32_e32 v34, 24, v37
	s_movk_i32 s8, 0x80
	v_cmp_ne_u32_e32 vcc, s8, v34
	v_bfrev_b32_e32 v36, 1
	s_and_saveexec_b64 s[8:9], vcc
	s_cbranch_execz .LBB385_111
; %bb.108:
	v_bfe_u32 v37, v37, 24, 7
	s_movk_i32 s11, 0x7f
	v_cmp_ne_u32_e32 vcc, s11, v37
	v_mov_b32_e32 v36, 0x7f800001
	s_and_saveexec_b64 s[20:21], vcc
	s_cbranch_execz .LBB385_110
; %bb.109:
	v_and_b32_e32 v36, 7, v34
	v_ffbh_u32_e32 v50, v36
	v_min_u32_e32 v52, 32, v50
	v_subrev_u32_e32 v50, 28, v52
	v_lshlrev_b64 v[50:51], v50, v[34:35]
	v_lshrrev_b32_e32 v49, 3, v37
	v_sub_u32_e32 v51, 29, v52
	v_and_b32_e32 v50, 7, v50
	v_cmp_gt_u32_e32 vcc, 8, v37
	v_cndmask_b32_e32 v37, v49, v51, vcc
	v_cndmask_b32_e32 v36, v36, v50, vcc
	v_lshlrev_b32_e32 v34, 24, v34
	v_bfrev_b32_e32 v49, 60
	v_lshlrev_b32_e32 v36, 20, v36
	v_and_b32_e32 v34, 0x80000000, v34
	v_lshl_add_u32 v37, v37, 23, v49
	v_or3_b32 v36, v34, v37, v36
.LBB385_110:
	s_or_b64 exec, exec, s[20:21]
.LBB385_111:
	s_or_b64 exec, exec, s[8:9]
.LBB385_112:
	s_or_b64 exec, exec, s[2:3]
	v_cvt_pkrtz_f16_f32 v40, v40, v41
	v_cvt_pkrtz_f16_f32 v41, v39, v46
	;; [unrolled: 1-line block ×4, first 2 shown]
	v_mfma_f32_4x4x4f16 a[0:3], v[18:19], v[40:41], a[0:3] cbsz:4 abid:1
	s_waitcnt vmcnt(6)
	v_cmp_ne_u16_sdwa s[8:9], v30, v38 src0_sel:BYTE_0 src1_sel:DWORD
	v_mfma_f32_4x4x4f16 a[0:3], v[20:21], v[34:35], a[0:3] cbsz:4 abid:1
	s_and_saveexec_b64 s[2:3], s[8:9]
	s_cbranch_execz .LBB385_118
; %bb.113:
	s_movk_i32 s8, 0x80
	v_cmp_ne_u16_sdwa s[20:21], v30, s8 src0_sel:BYTE_0 src1_sel:DWORD
	v_bfrev_b32_e32 v38, 1
	s_and_saveexec_b64 s[8:9], s[20:21]
	s_cbranch_execz .LBB385_117
; %bb.114:
	s_movk_i32 s11, 0x7f
	v_and_b32_e32 v34, 0x7f, v30
	v_cmp_ne_u32_e32 vcc, s11, v34
	v_mov_b32_e32 v38, 0x7f800001
	s_and_saveexec_b64 s[20:21], vcc
	s_cbranch_execz .LBB385_116
; %bb.115:
	v_and_b32_e32 v35, 7, v30
	v_ffbh_u32_e32 v35, v35
	v_min_u32_e32 v35, 32, v35
	v_subrev_u32_e32 v37, 28, v35
	v_cmp_gt_u32_e32 vcc, 8, v34
	v_lshrrev_b32_e32 v36, 3, v34
	v_sub_u32_e32 v35, 29, v35
	v_cndmask_b32_e32 v34, 0, v37, vcc
	v_cndmask_b32_e32 v36, v36, v35, vcc
	v_lshlrev_b64 v[34:35], v34, v[30:31]
	v_lshlrev_b32_e32 v34, 20, v34
	v_lshlrev_b32_e32 v35, 24, v30
	v_bfrev_b32_e32 v37, 60
	v_and_b32_e32 v34, 0x700000, v34
	v_and_b32_e32 v35, 0x80000000, v35
	v_lshl_add_u32 v36, v36, 23, v37
	v_or3_b32 v38, v35, v36, v34
.LBB385_116:
	s_or_b64 exec, exec, s[20:21]
.LBB385_117:
	s_or_b64 exec, exec, s[8:9]
.LBB385_118:
	s_or_b64 exec, exec, s[2:3]
	v_lshrrev_b16_e32 v34, 8, v30
	v_cmp_ne_u16_e32 vcc, 0, v34
	v_mov_b32_e32 v37, 0
	v_mov_b32_e32 v39, 0
	s_and_saveexec_b64 s[2:3], vcc
	s_cbranch_execz .LBB385_124
; %bb.119:
	s_movk_i32 s8, 0x80
	v_cmp_ne_u16_e32 vcc, s8, v34
	v_bfrev_b32_e32 v39, 1
	s_and_saveexec_b64 s[8:9], vcc
	s_cbranch_execz .LBB385_123
; %bb.120:
	s_movk_i32 s11, 0x7f
	v_and_b32_e32 v35, 0x7f, v34
	v_cmp_ne_u32_e32 vcc, s11, v35
	v_mov_b32_e32 v39, 0x7f800001
	s_and_saveexec_b64 s[20:21], vcc
	s_cbranch_execz .LBB385_122
; %bb.121:
	v_and_b32_e32 v36, 7, v34
	v_ffbh_u32_e32 v40, v36
	v_min_u32_e32 v46, 32, v40
	v_subrev_u32_e32 v40, 28, v46
	v_lshlrev_b64 v[40:41], v40, v[34:35]
	v_lshrrev_b32_e32 v39, 3, v35
	v_sub_u32_e32 v34, 29, v46
	v_and_b32_e32 v40, 7, v40
	v_cmp_gt_u32_e32 vcc, 8, v35
	v_cndmask_b32_e32 v34, v39, v34, vcc
	v_cndmask_b32_e32 v35, v36, v40, vcc
	v_lshlrev_b32_e32 v36, 16, v30
	v_bfrev_b32_e32 v39, 60
	v_lshlrev_b32_e32 v35, 20, v35
	v_and_b32_e32 v36, 0x80000000, v36
	v_lshl_add_u32 v34, v34, 23, v39
	v_or3_b32 v39, v36, v34, v35
.LBB385_122:
	s_or_b64 exec, exec, s[20:21]
.LBB385_123:
	s_or_b64 exec, exec, s[8:9]
.LBB385_124:
	s_or_b64 exec, exec, s[2:3]
	s_movk_i32 s2, 0xff
	v_and_b32_sdwa v35, v30, s2 dst_sel:DWORD dst_unused:UNUSED_PAD src0_sel:WORD_1 src1_sel:DWORD
	v_lshrrev_b32_e32 v34, 16, v30
	v_cmp_ne_u16_e32 vcc, 0, v35
	s_and_saveexec_b64 s[2:3], vcc
	s_cbranch_execz .LBB385_130
; %bb.125:
	s_movk_i32 s8, 0x80
	v_cmp_ne_u16_e32 vcc, s8, v35
	v_bfrev_b32_e32 v37, 1
	s_and_saveexec_b64 s[8:9], vcc
	s_cbranch_execz .LBB385_129
; %bb.126:
	v_bfe_u32 v35, v30, 16, 7
	s_movk_i32 s11, 0x7f
	v_cmp_ne_u32_e32 vcc, s11, v35
	v_mov_b32_e32 v37, 0x7f800001
	s_and_saveexec_b64 s[20:21], vcc
	s_cbranch_execz .LBB385_128
; %bb.127:
	v_and_b32_e32 v40, 7, v34
	v_ffbh_u32_e32 v36, v40
	v_min_u32_e32 v46, 32, v36
	v_subrev_u32_e32 v36, 28, v46
	v_lshlrev_b64 v[36:37], v36, v[34:35]
	v_and_b32_e32 v36, 7, v36
	v_cmp_gt_u32_e32 vcc, 8, v35
	v_lshrrev_b32_e32 v41, 3, v35
	v_sub_u32_e32 v34, 29, v46
	v_cndmask_b32_e32 v35, v40, v36, vcc
	v_mov_b32_e32 v36, 24
	v_cndmask_b32_e32 v34, v41, v34, vcc
	v_lshlrev_b32_sdwa v36, v36, v30 dst_sel:DWORD dst_unused:UNUSED_PAD src0_sel:DWORD src1_sel:WORD_1
	v_bfrev_b32_e32 v37, 60
	v_lshlrev_b32_e32 v35, 20, v35
	v_and_b32_e32 v36, 0x80000000, v36
	v_lshl_add_u32 v34, v34, 23, v37
	v_or3_b32 v37, v36, v34, v35
.LBB385_128:
	s_or_b64 exec, exec, s[20:21]
.LBB385_129:
	s_or_b64 exec, exec, s[8:9]
.LBB385_130:
	s_or_b64 exec, exec, s[2:3]
	s_mov_b32 s2, 0xffffff
	v_cmp_lt_u32_e32 vcc, s2, v30
	v_mov_b32_e32 v35, 0
	v_mov_b32_e32 v40, 0
	s_and_saveexec_b64 s[2:3], vcc
	s_cbranch_execz .LBB385_136
; %bb.131:
	v_lshrrev_b32_e32 v34, 24, v30
	s_movk_i32 s8, 0x80
	v_cmp_ne_u32_e32 vcc, s8, v34
	v_bfrev_b32_e32 v40, 1
	s_and_saveexec_b64 s[8:9], vcc
	s_cbranch_execz .LBB385_135
; %bb.132:
	v_bfe_u32 v36, v30, 24, 7
	s_movk_i32 s11, 0x7f
	v_cmp_ne_u32_e32 vcc, s11, v36
	v_mov_b32_e32 v40, 0x7f800001
	s_and_saveexec_b64 s[20:21], vcc
	s_cbranch_execz .LBB385_134
; %bb.133:
	v_and_b32_e32 v46, 7, v34
	v_ffbh_u32_e32 v40, v46
	v_min_u32_e32 v48, 32, v40
	v_subrev_u32_e32 v40, 28, v48
	v_lshlrev_b64 v[40:41], v40, v[34:35]
	v_lshrrev_b32_e32 v47, 3, v36
	v_sub_u32_e32 v41, 29, v48
	v_and_b32_e32 v40, 7, v40
	v_cmp_gt_u32_e32 vcc, 8, v36
	v_cndmask_b32_e32 v36, v47, v41, vcc
	v_cndmask_b32_e32 v40, v46, v40, vcc
	v_lshlrev_b32_e32 v34, 24, v34
	v_bfrev_b32_e32 v41, 60
	v_lshlrev_b32_e32 v40, 20, v40
	v_and_b32_e32 v34, 0x80000000, v34
	v_lshl_add_u32 v36, v36, 23, v41
	v_or3_b32 v40, v34, v36, v40
.LBB385_134:
	s_or_b64 exec, exec, s[20:21]
.LBB385_135:
	s_or_b64 exec, exec, s[8:9]
.LBB385_136:
	s_or_b64 exec, exec, s[2:3]
	v_mov_b32_e32 v34, v31
	v_cmp_ne_u16_sdwa s[8:9], v31, v35 src0_sel:BYTE_0 src1_sel:DWORD
	s_and_saveexec_b64 s[2:3], s[8:9]
	s_cbranch_execz .LBB385_142
; %bb.137:
	s_movk_i32 s8, 0x80
	v_cmp_ne_u16_sdwa s[20:21], v31, s8 src0_sel:BYTE_0 src1_sel:DWORD
	v_bfrev_b32_e32 v36, 1
	s_and_saveexec_b64 s[8:9], s[20:21]
	s_cbranch_execz .LBB385_141
; %bb.138:
	s_movk_i32 s11, 0x7f
	v_and_b32_e32 v41, 0x7f, v31
	v_cmp_ne_u32_e32 vcc, s11, v41
	v_mov_b32_e32 v36, 0x7f800001
	s_and_saveexec_b64 s[20:21], vcc
	s_cbranch_execz .LBB385_140
; %bb.139:
	v_and_b32_e32 v36, 7, v31
	v_ffbh_u32_e32 v36, v36
	v_min_u32_e32 v36, 32, v36
	v_subrev_u32_e32 v47, 28, v36
	v_cmp_gt_u32_e32 vcc, 8, v41
	v_lshrrev_b32_e32 v46, 3, v41
	v_sub_u32_e32 v36, 29, v36
	v_cndmask_b32_e32 v41, 0, v47, vcc
	v_cndmask_b32_e32 v36, v46, v36, vcc
	v_lshlrev_b64 v[46:47], v41, v[34:35]
	v_lshlrev_b32_e32 v35, 20, v46
	v_lshlrev_b32_e32 v41, 24, v34
	v_bfrev_b32_e32 v46, 60
	v_and_b32_e32 v35, 0x700000, v35
	v_and_b32_e32 v41, 0x80000000, v41
	v_lshl_add_u32 v36, v36, 23, v46
	v_or3_b32 v36, v41, v36, v35
.LBB385_140:
	s_or_b64 exec, exec, s[20:21]
.LBB385_141:
	s_or_b64 exec, exec, s[8:9]
	v_mov_b32_e32 v35, v36
.LBB385_142:
	s_or_b64 exec, exec, s[2:3]
	v_lshrrev_b16_e32 v36, 8, v34
	v_cmp_ne_u16_e32 vcc, 0, v36
	v_mov_b32_e32 v41, 0
	v_mov_b32_e32 v46, 0
	s_and_saveexec_b64 s[2:3], vcc
	s_cbranch_execz .LBB385_148
; %bb.143:
	s_movk_i32 s8, 0x80
	v_cmp_ne_u16_e32 vcc, s8, v36
	v_bfrev_b32_e32 v46, 1
	s_and_saveexec_b64 s[8:9], vcc
	s_cbranch_execz .LBB385_147
; %bb.144:
	s_movk_i32 s11, 0x7f
	v_and_b32_e32 v47, 0x7f, v36
	v_cmp_ne_u32_e32 vcc, s11, v47
	v_mov_b32_e32 v46, 0x7f800001
	s_and_saveexec_b64 s[20:21], vcc
	s_cbranch_execz .LBB385_146
; %bb.145:
	v_and_b32_e32 v46, 7, v36
	v_ffbh_u32_e32 v48, v46
	v_min_u32_e32 v51, 32, v48
	v_subrev_u32_e32 v48, 28, v51
	v_lshlrev_b64 v[48:49], v48, v[36:37]
	v_lshrrev_b32_e32 v50, 3, v47
	v_sub_u32_e32 v36, 29, v51
	v_and_b32_e32 v48, 7, v48
	v_cmp_gt_u32_e32 vcc, 8, v47
	v_cndmask_b32_e32 v36, v50, v36, vcc
	v_cndmask_b32_e32 v46, v46, v48, vcc
	v_lshlrev_b32_e32 v34, 16, v34
	v_bfrev_b32_e32 v47, 60
	v_lshlrev_b32_e32 v46, 20, v46
	v_and_b32_e32 v34, 0x80000000, v34
	v_lshl_add_u32 v36, v36, 23, v47
	v_or3_b32 v46, v34, v36, v46
.LBB385_146:
	s_or_b64 exec, exec, s[20:21]
.LBB385_147:
	s_or_b64 exec, exec, s[8:9]
.LBB385_148:
	s_or_b64 exec, exec, s[2:3]
	s_movk_i32 s2, 0xff
	v_and_b32_sdwa v36, v31, s2 dst_sel:DWORD dst_unused:UNUSED_PAD src0_sel:WORD_1 src1_sel:DWORD
	v_lshrrev_b32_e32 v34, 16, v31
	v_cmp_ne_u16_e32 vcc, 0, v36
	s_and_saveexec_b64 s[2:3], vcc
	s_cbranch_execz .LBB385_154
; %bb.149:
	s_movk_i32 s8, 0x80
	v_cmp_ne_u16_e32 vcc, s8, v36
	v_bfrev_b32_e32 v41, 1
	s_and_saveexec_b64 s[8:9], vcc
	s_cbranch_execz .LBB385_153
; %bb.150:
	v_bfe_u32 v36, v31, 16, 7
	s_movk_i32 s11, 0x7f
	v_cmp_ne_u32_e32 vcc, s11, v36
	v_mov_b32_e32 v41, 0x7f800001
	s_and_saveexec_b64 s[20:21], vcc
	s_cbranch_execz .LBB385_152
; %bb.151:
	v_and_b32_e32 v41, 7, v34
	v_ffbh_u32_e32 v48, v41
	v_min_u32_e32 v50, 32, v48
	v_subrev_u32_e32 v48, 28, v50
	v_lshlrev_b64 v[48:49], v48, v[34:35]
	v_and_b32_e32 v48, 7, v48
	v_cmp_gt_u32_e32 vcc, 8, v36
	v_lshrrev_b32_e32 v47, 3, v36
	v_sub_u32_e32 v34, 29, v50
	v_cndmask_b32_e32 v36, v41, v48, vcc
	v_mov_b32_e32 v41, 24
	v_cndmask_b32_e32 v34, v47, v34, vcc
	v_lshlrev_b32_sdwa v41, v41, v31 dst_sel:DWORD dst_unused:UNUSED_PAD src0_sel:DWORD src1_sel:WORD_1
	v_bfrev_b32_e32 v47, 60
	v_lshlrev_b32_e32 v36, 20, v36
	v_and_b32_e32 v41, 0x80000000, v41
	v_lshl_add_u32 v34, v34, 23, v47
	v_or3_b32 v41, v41, v34, v36
.LBB385_152:
	s_or_b64 exec, exec, s[20:21]
.LBB385_153:
	s_or_b64 exec, exec, s[8:9]
.LBB385_154:
	s_or_b64 exec, exec, s[2:3]
	s_mov_b32 s2, -1
	s_mov_b32 s3, 0xffffff
	v_cmp_lt_u64_e32 vcc, s[2:3], v[30:31]
	v_mov_b32_e32 v36, 0
	v_mov_b32_e32 v34, 0
	s_and_saveexec_b64 s[2:3], vcc
	s_cbranch_execz .LBB385_160
; %bb.155:
	v_lshrrev_b32_e32 v30, 24, v31
	s_movk_i32 s8, 0x80
	v_cmp_ne_u32_e32 vcc, s8, v30
	v_bfrev_b32_e32 v34, 1
	s_and_saveexec_b64 s[8:9], vcc
	s_cbranch_execz .LBB385_159
; %bb.156:
	v_bfe_u32 v31, v31, 24, 7
	s_movk_i32 s11, 0x7f
	v_cmp_ne_u32_e32 vcc, s11, v31
	v_mov_b32_e32 v34, 0x7f800001
	s_and_saveexec_b64 s[20:21], vcc
	s_cbranch_execz .LBB385_158
; %bb.157:
	v_and_b32_e32 v34, 7, v30
	v_ffbh_u32_e32 v48, v34
	v_min_u32_e32 v50, 32, v48
	v_subrev_u32_e32 v48, 28, v50
	v_lshlrev_b64 v[48:49], v48, v[30:31]
	v_lshrrev_b32_e32 v47, 3, v31
	v_sub_u32_e32 v49, 29, v50
	v_and_b32_e32 v48, 7, v48
	v_cmp_gt_u32_e32 vcc, 8, v31
	v_cndmask_b32_e32 v31, v47, v49, vcc
	v_cndmask_b32_e32 v34, v34, v48, vcc
	v_lshlrev_b32_e32 v30, 24, v30
	v_bfrev_b32_e32 v47, 60
	v_lshlrev_b32_e32 v34, 20, v34
	v_and_b32_e32 v30, 0x80000000, v30
	v_lshl_add_u32 v31, v31, 23, v47
	v_or3_b32 v34, v30, v31, v34
.LBB385_158:
	s_or_b64 exec, exec, s[20:21]
.LBB385_159:
	s_or_b64 exec, exec, s[8:9]
.LBB385_160:
	s_or_b64 exec, exec, s[2:3]
	v_cvt_pkrtz_f16_f32 v30, v38, v39
	v_cvt_pkrtz_f16_f32 v31, v37, v40
	;; [unrolled: 1-line block ×4, first 2 shown]
	v_mfma_f32_4x4x4f16 a[0:3], v[18:19], v[30:31], a[0:3] cbsz:4 abid:2
	v_cmp_ne_u16_sdwa s[8:9], v32, v36 src0_sel:BYTE_0 src1_sel:DWORD
	v_mfma_f32_4x4x4f16 a[0:3], v[20:21], v[38:39], a[0:3] cbsz:4 abid:2
	s_and_saveexec_b64 s[2:3], s[8:9]
	s_cbranch_execz .LBB385_166
; %bb.161:
	s_movk_i32 s8, 0x80
	v_cmp_ne_u16_sdwa s[20:21], v32, s8 src0_sel:BYTE_0 src1_sel:DWORD
	v_bfrev_b32_e32 v36, 1
	s_and_saveexec_b64 s[8:9], s[20:21]
	s_cbranch_execz .LBB385_165
; %bb.162:
	s_movk_i32 s11, 0x7f
	v_and_b32_e32 v30, 0x7f, v32
	v_cmp_ne_u32_e32 vcc, s11, v30
	v_mov_b32_e32 v36, 0x7f800001
	s_and_saveexec_b64 s[20:21], vcc
	s_cbranch_execz .LBB385_164
; %bb.163:
	v_and_b32_e32 v31, 7, v32
	v_ffbh_u32_e32 v31, v31
	v_min_u32_e32 v31, 32, v31
	v_subrev_u32_e32 v35, 28, v31
	v_cmp_gt_u32_e32 vcc, 8, v30
	v_lshrrev_b32_e32 v34, 3, v30
	v_sub_u32_e32 v31, 29, v31
	v_cndmask_b32_e32 v30, 0, v35, vcc
	v_cndmask_b32_e32 v34, v34, v31, vcc
	v_lshlrev_b64 v[30:31], v30, v[32:33]
	v_lshlrev_b32_e32 v30, 20, v30
	v_lshlrev_b32_e32 v31, 24, v32
	v_bfrev_b32_e32 v35, 60
	v_and_b32_e32 v30, 0x700000, v30
	v_and_b32_e32 v31, 0x80000000, v31
	v_lshl_add_u32 v34, v34, 23, v35
	v_or3_b32 v36, v31, v34, v30
.LBB385_164:
	s_or_b64 exec, exec, s[20:21]
.LBB385_165:
	s_or_b64 exec, exec, s[8:9]
.LBB385_166:
	s_or_b64 exec, exec, s[2:3]
	v_lshrrev_b16_e32 v30, 8, v32
	v_cmp_ne_u16_e32 vcc, 0, v30
	v_mov_b32_e32 v35, 0
	v_mov_b32_e32 v37, 0
	s_and_saveexec_b64 s[2:3], vcc
	s_cbranch_execz .LBB385_172
; %bb.167:
	s_movk_i32 s8, 0x80
	v_cmp_ne_u16_e32 vcc, s8, v30
	v_bfrev_b32_e32 v37, 1
	s_and_saveexec_b64 s[8:9], vcc
	s_cbranch_execz .LBB385_171
; %bb.168:
	s_movk_i32 s11, 0x7f
	v_and_b32_e32 v31, 0x7f, v30
	v_cmp_ne_u32_e32 vcc, s11, v31
	v_mov_b32_e32 v37, 0x7f800001
	s_and_saveexec_b64 s[20:21], vcc
	s_cbranch_execz .LBB385_170
; %bb.169:
	v_and_b32_e32 v34, 7, v30
	v_ffbh_u32_e32 v38, v34
	v_min_u32_e32 v40, 32, v38
	v_subrev_u32_e32 v38, 28, v40
	v_lshlrev_b64 v[38:39], v38, v[30:31]
	v_lshrrev_b32_e32 v37, 3, v31
	v_sub_u32_e32 v30, 29, v40
	v_and_b32_e32 v38, 7, v38
	v_cmp_gt_u32_e32 vcc, 8, v31
	v_cndmask_b32_e32 v30, v37, v30, vcc
	v_cndmask_b32_e32 v31, v34, v38, vcc
	v_lshlrev_b32_e32 v34, 16, v32
	v_bfrev_b32_e32 v37, 60
	v_lshlrev_b32_e32 v31, 20, v31
	v_and_b32_e32 v34, 0x80000000, v34
	v_lshl_add_u32 v30, v30, 23, v37
	v_or3_b32 v37, v34, v30, v31
.LBB385_170:
	s_or_b64 exec, exec, s[20:21]
.LBB385_171:
	s_or_b64 exec, exec, s[8:9]
.LBB385_172:
	s_or_b64 exec, exec, s[2:3]
	s_movk_i32 s2, 0xff
	v_and_b32_sdwa v31, v32, s2 dst_sel:DWORD dst_unused:UNUSED_PAD src0_sel:WORD_1 src1_sel:DWORD
	v_lshrrev_b32_e32 v30, 16, v32
	v_cmp_ne_u16_e32 vcc, 0, v31
	s_and_saveexec_b64 s[2:3], vcc
	s_cbranch_execz .LBB385_178
; %bb.173:
	s_movk_i32 s8, 0x80
	v_cmp_ne_u16_e32 vcc, s8, v31
	v_bfrev_b32_e32 v35, 1
	s_and_saveexec_b64 s[8:9], vcc
	s_cbranch_execz .LBB385_177
; %bb.174:
	v_bfe_u32 v31, v32, 16, 7
	s_movk_i32 s11, 0x7f
	v_cmp_ne_u32_e32 vcc, s11, v31
	v_mov_b32_e32 v35, 0x7f800001
	s_and_saveexec_b64 s[20:21], vcc
	s_cbranch_execz .LBB385_176
; %bb.175:
	v_and_b32_e32 v38, 7, v30
	v_ffbh_u32_e32 v34, v38
	v_min_u32_e32 v40, 32, v34
	v_subrev_u32_e32 v34, 28, v40
	v_lshlrev_b64 v[34:35], v34, v[30:31]
	v_and_b32_e32 v34, 7, v34
	v_cmp_gt_u32_e32 vcc, 8, v31
	v_lshrrev_b32_e32 v39, 3, v31
	v_sub_u32_e32 v30, 29, v40
	v_cndmask_b32_e32 v31, v38, v34, vcc
	v_mov_b32_e32 v34, 24
	v_cndmask_b32_e32 v30, v39, v30, vcc
	v_lshlrev_b32_sdwa v34, v34, v32 dst_sel:DWORD dst_unused:UNUSED_PAD src0_sel:DWORD src1_sel:WORD_1
	v_bfrev_b32_e32 v35, 60
	v_lshlrev_b32_e32 v31, 20, v31
	v_and_b32_e32 v34, 0x80000000, v34
	v_lshl_add_u32 v30, v30, 23, v35
	v_or3_b32 v35, v34, v30, v31
.LBB385_176:
	s_or_b64 exec, exec, s[20:21]
.LBB385_177:
	s_or_b64 exec, exec, s[8:9]
.LBB385_178:
	s_or_b64 exec, exec, s[2:3]
	s_mov_b32 s2, 0xffffff
	v_cmp_lt_u32_e32 vcc, s2, v32
	v_mov_b32_e32 v31, 0
	v_mov_b32_e32 v38, 0
	s_and_saveexec_b64 s[2:3], vcc
	s_cbranch_execz .LBB385_184
; %bb.179:
	v_lshrrev_b32_e32 v30, 24, v32
	s_movk_i32 s8, 0x80
	v_cmp_ne_u32_e32 vcc, s8, v30
	v_bfrev_b32_e32 v38, 1
	s_and_saveexec_b64 s[8:9], vcc
	s_cbranch_execz .LBB385_183
; %bb.180:
	v_bfe_u32 v34, v32, 24, 7
	s_movk_i32 s11, 0x7f
	v_cmp_ne_u32_e32 vcc, s11, v34
	v_mov_b32_e32 v38, 0x7f800001
	s_and_saveexec_b64 s[20:21], vcc
	s_cbranch_execz .LBB385_182
; %bb.181:
	v_and_b32_e32 v40, 7, v30
	v_ffbh_u32_e32 v38, v40
	v_min_u32_e32 v46, 32, v38
	v_subrev_u32_e32 v38, 28, v46
	v_lshlrev_b64 v[38:39], v38, v[30:31]
	v_lshrrev_b32_e32 v41, 3, v34
	v_sub_u32_e32 v39, 29, v46
	v_and_b32_e32 v38, 7, v38
	v_cmp_gt_u32_e32 vcc, 8, v34
	v_cndmask_b32_e32 v34, v41, v39, vcc
	v_cndmask_b32_e32 v38, v40, v38, vcc
	v_lshlrev_b32_e32 v30, 24, v30
	v_bfrev_b32_e32 v39, 60
	v_lshlrev_b32_e32 v38, 20, v38
	v_and_b32_e32 v30, 0x80000000, v30
	v_lshl_add_u32 v34, v34, 23, v39
	v_or3_b32 v38, v30, v34, v38
.LBB385_182:
	s_or_b64 exec, exec, s[20:21]
.LBB385_183:
	s_or_b64 exec, exec, s[8:9]
.LBB385_184:
	s_or_b64 exec, exec, s[2:3]
	v_mov_b32_e32 v30, v33
	v_cmp_ne_u16_sdwa s[8:9], v33, v31 src0_sel:BYTE_0 src1_sel:DWORD
	s_and_saveexec_b64 s[2:3], s[8:9]
	s_cbranch_execz .LBB385_190
; %bb.185:
	s_movk_i32 s8, 0x80
	v_cmp_ne_u16_sdwa s[20:21], v33, s8 src0_sel:BYTE_0 src1_sel:DWORD
	v_bfrev_b32_e32 v34, 1
	s_and_saveexec_b64 s[8:9], s[20:21]
	s_cbranch_execz .LBB385_189
; %bb.186:
	s_movk_i32 s11, 0x7f
	v_and_b32_e32 v39, 0x7f, v33
	v_cmp_ne_u32_e32 vcc, s11, v39
	v_mov_b32_e32 v34, 0x7f800001
	s_and_saveexec_b64 s[20:21], vcc
	s_cbranch_execz .LBB385_188
; %bb.187:
	v_and_b32_e32 v34, 7, v33
	v_ffbh_u32_e32 v34, v34
	v_min_u32_e32 v34, 32, v34
	v_subrev_u32_e32 v41, 28, v34
	v_cmp_gt_u32_e32 vcc, 8, v39
	v_lshrrev_b32_e32 v40, 3, v39
	v_sub_u32_e32 v34, 29, v34
	v_cndmask_b32_e32 v39, 0, v41, vcc
	v_cndmask_b32_e32 v34, v40, v34, vcc
	v_lshlrev_b64 v[40:41], v39, v[30:31]
	v_lshlrev_b32_e32 v31, 20, v40
	v_lshlrev_b32_e32 v39, 24, v30
	v_bfrev_b32_e32 v40, 60
	v_and_b32_e32 v31, 0x700000, v31
	v_and_b32_e32 v39, 0x80000000, v39
	v_lshl_add_u32 v34, v34, 23, v40
	v_or3_b32 v34, v39, v34, v31
.LBB385_188:
	s_or_b64 exec, exec, s[20:21]
.LBB385_189:
	s_or_b64 exec, exec, s[8:9]
	v_mov_b32_e32 v31, v34
.LBB385_190:
	s_or_b64 exec, exec, s[2:3]
	v_lshrrev_b16_e32 v34, 8, v30
	v_cmp_ne_u16_e32 vcc, 0, v34
	v_mov_b32_e32 v39, 0
	v_mov_b32_e32 v40, 0
	s_and_saveexec_b64 s[2:3], vcc
	s_cbranch_execz .LBB385_196
; %bb.191:
	s_movk_i32 s8, 0x80
	v_cmp_ne_u16_e32 vcc, s8, v34
	v_bfrev_b32_e32 v40, 1
	s_and_saveexec_b64 s[8:9], vcc
	s_cbranch_execz .LBB385_195
; %bb.192:
	s_movk_i32 s11, 0x7f
	v_and_b32_e32 v41, 0x7f, v34
	v_cmp_ne_u32_e32 vcc, s11, v41
	v_mov_b32_e32 v40, 0x7f800001
	s_and_saveexec_b64 s[20:21], vcc
	s_cbranch_execz .LBB385_194
; %bb.193:
	v_and_b32_e32 v40, 7, v34
	v_ffbh_u32_e32 v46, v40
	v_min_u32_e32 v49, 32, v46
	v_subrev_u32_e32 v46, 28, v49
	v_lshlrev_b64 v[46:47], v46, v[34:35]
	v_lshrrev_b32_e32 v48, 3, v41
	v_sub_u32_e32 v34, 29, v49
	v_and_b32_e32 v46, 7, v46
	v_cmp_gt_u32_e32 vcc, 8, v41
	v_cndmask_b32_e32 v34, v48, v34, vcc
	v_cndmask_b32_e32 v40, v40, v46, vcc
	v_lshlrev_b32_e32 v30, 16, v30
	v_bfrev_b32_e32 v41, 60
	v_lshlrev_b32_e32 v40, 20, v40
	v_and_b32_e32 v30, 0x80000000, v30
	v_lshl_add_u32 v34, v34, 23, v41
	v_or3_b32 v40, v30, v34, v40
.LBB385_194:
	s_or_b64 exec, exec, s[20:21]
.LBB385_195:
	s_or_b64 exec, exec, s[8:9]
.LBB385_196:
	s_or_b64 exec, exec, s[2:3]
	s_movk_i32 s2, 0xff
	v_and_b32_sdwa v34, v33, s2 dst_sel:DWORD dst_unused:UNUSED_PAD src0_sel:WORD_1 src1_sel:DWORD
	v_lshrrev_b32_e32 v30, 16, v33
	v_cmp_ne_u16_e32 vcc, 0, v34
	s_and_saveexec_b64 s[2:3], vcc
	s_cbranch_execz .LBB385_202
; %bb.197:
	s_movk_i32 s8, 0x80
	v_cmp_ne_u16_e32 vcc, s8, v34
	v_bfrev_b32_e32 v39, 1
	s_and_saveexec_b64 s[8:9], vcc
	s_cbranch_execz .LBB385_201
; %bb.198:
	v_bfe_u32 v34, v33, 16, 7
	s_movk_i32 s11, 0x7f
	v_cmp_ne_u32_e32 vcc, s11, v34
	v_mov_b32_e32 v39, 0x7f800001
	s_and_saveexec_b64 s[20:21], vcc
	s_cbranch_execz .LBB385_200
; %bb.199:
	v_and_b32_e32 v39, 7, v30
	v_ffbh_u32_e32 v46, v39
	v_min_u32_e32 v48, 32, v46
	v_subrev_u32_e32 v46, 28, v48
	v_lshlrev_b64 v[46:47], v46, v[30:31]
	v_and_b32_e32 v46, 7, v46
	v_cmp_gt_u32_e32 vcc, 8, v34
	v_lshrrev_b32_e32 v41, 3, v34
	v_sub_u32_e32 v30, 29, v48
	v_cndmask_b32_e32 v34, v39, v46, vcc
	v_mov_b32_e32 v39, 24
	v_cndmask_b32_e32 v30, v41, v30, vcc
	v_lshlrev_b32_sdwa v39, v39, v33 dst_sel:DWORD dst_unused:UNUSED_PAD src0_sel:DWORD src1_sel:WORD_1
	v_bfrev_b32_e32 v41, 60
	v_lshlrev_b32_e32 v34, 20, v34
	v_and_b32_e32 v39, 0x80000000, v39
	v_lshl_add_u32 v30, v30, 23, v41
	v_or3_b32 v39, v39, v30, v34
.LBB385_200:
	s_or_b64 exec, exec, s[20:21]
.LBB385_201:
	s_or_b64 exec, exec, s[8:9]
.LBB385_202:
	s_or_b64 exec, exec, s[2:3]
	s_mov_b32 s2, -1
	s_mov_b32 s3, 0xffffff
	v_cmp_lt_u64_e32 vcc, s[2:3], v[32:33]
	v_mov_b32_e32 v34, 0
	v_mov_b32_e32 v32, 0
	s_and_saveexec_b64 s[2:3], vcc
	s_cbranch_execz .LBB385_208
; %bb.203:
	v_lshrrev_b32_e32 v30, 24, v33
	s_movk_i32 s8, 0x80
	v_cmp_ne_u32_e32 vcc, s8, v30
	v_bfrev_b32_e32 v32, 1
	s_and_saveexec_b64 s[8:9], vcc
	s_cbranch_execz .LBB385_207
; %bb.204:
	v_bfe_u32 v33, v33, 24, 7
	s_movk_i32 s11, 0x7f
	v_cmp_ne_u32_e32 vcc, s11, v33
	v_mov_b32_e32 v32, 0x7f800001
	s_and_saveexec_b64 s[20:21], vcc
	s_cbranch_execz .LBB385_206
; %bb.205:
	v_and_b32_e32 v32, 7, v30
	v_ffbh_u32_e32 v46, v32
	v_min_u32_e32 v48, 32, v46
	v_subrev_u32_e32 v46, 28, v48
	v_lshlrev_b64 v[46:47], v46, v[30:31]
	v_lshrrev_b32_e32 v41, 3, v33
	v_sub_u32_e32 v47, 29, v48
	v_and_b32_e32 v46, 7, v46
	v_cmp_gt_u32_e32 vcc, 8, v33
	v_cndmask_b32_e32 v33, v41, v47, vcc
	v_cndmask_b32_e32 v32, v32, v46, vcc
	v_lshlrev_b32_e32 v30, 24, v30
	v_bfrev_b32_e32 v41, 60
	v_lshlrev_b32_e32 v32, 20, v32
	v_and_b32_e32 v30, 0x80000000, v30
	v_lshl_add_u32 v33, v33, 23, v41
	v_or3_b32 v32, v30, v33, v32
.LBB385_206:
	s_or_b64 exec, exec, s[20:21]
.LBB385_207:
	s_or_b64 exec, exec, s[8:9]
.LBB385_208:
	s_or_b64 exec, exec, s[2:3]
	v_cvt_pkrtz_f16_f32 v36, v36, v37
	v_cvt_pkrtz_f16_f32 v37, v35, v38
	;; [unrolled: 1-line block ×4, first 2 shown]
	v_mfma_f32_4x4x4f16 a[0:3], v[18:19], v[36:37], a[0:3] cbsz:4 abid:3
	s_waitcnt vmcnt(5)
	v_cmp_ne_u16_sdwa s[8:9], v26, v34 src0_sel:BYTE_0 src1_sel:DWORD
	v_mfma_f32_4x4x4f16 a[0:3], v[20:21], v[30:31], a[0:3] cbsz:4 abid:3
	s_and_saveexec_b64 s[2:3], s[8:9]
	s_cbranch_execz .LBB385_214
; %bb.209:
	s_movk_i32 s8, 0x80
	v_cmp_ne_u16_sdwa s[20:21], v26, s8 src0_sel:BYTE_0 src1_sel:DWORD
	v_bfrev_b32_e32 v34, 1
	s_and_saveexec_b64 s[8:9], s[20:21]
	s_cbranch_execz .LBB385_213
; %bb.210:
	s_movk_i32 s11, 0x7f
	v_and_b32_e32 v30, 0x7f, v26
	v_cmp_ne_u32_e32 vcc, s11, v30
	v_mov_b32_e32 v34, 0x7f800001
	s_and_saveexec_b64 s[20:21], vcc
	s_cbranch_execz .LBB385_212
; %bb.211:
	v_and_b32_e32 v31, 7, v26
	v_ffbh_u32_e32 v31, v31
	v_min_u32_e32 v31, 32, v31
	v_subrev_u32_e32 v33, 28, v31
	v_cmp_gt_u32_e32 vcc, 8, v30
	v_lshrrev_b32_e32 v32, 3, v30
	v_sub_u32_e32 v31, 29, v31
	v_cndmask_b32_e32 v30, 0, v33, vcc
	v_cndmask_b32_e32 v32, v32, v31, vcc
	v_lshlrev_b64 v[30:31], v30, v[26:27]
	v_lshlrev_b32_e32 v30, 20, v30
	v_lshlrev_b32_e32 v31, 24, v26
	v_bfrev_b32_e32 v33, 60
	v_and_b32_e32 v30, 0x700000, v30
	v_and_b32_e32 v31, 0x80000000, v31
	v_lshl_add_u32 v32, v32, 23, v33
	v_or3_b32 v34, v31, v32, v30
.LBB385_212:
	s_or_b64 exec, exec, s[20:21]
.LBB385_213:
	s_or_b64 exec, exec, s[8:9]
.LBB385_214:
	s_or_b64 exec, exec, s[2:3]
	v_lshrrev_b16_e32 v30, 8, v26
	v_cmp_ne_u16_e32 vcc, 0, v30
	v_mov_b32_e32 v33, 0
	v_mov_b32_e32 v35, 0
	s_and_saveexec_b64 s[2:3], vcc
	s_cbranch_execz .LBB385_220
; %bb.215:
	s_movk_i32 s8, 0x80
	v_cmp_ne_u16_e32 vcc, s8, v30
	v_bfrev_b32_e32 v35, 1
	s_and_saveexec_b64 s[8:9], vcc
	s_cbranch_execz .LBB385_219
; %bb.216:
	s_movk_i32 s11, 0x7f
	v_and_b32_e32 v31, 0x7f, v30
	v_cmp_ne_u32_e32 vcc, s11, v31
	v_mov_b32_e32 v35, 0x7f800001
	s_and_saveexec_b64 s[20:21], vcc
	s_cbranch_execz .LBB385_218
; %bb.217:
	v_and_b32_e32 v32, 7, v30
	v_ffbh_u32_e32 v36, v32
	v_min_u32_e32 v38, 32, v36
	v_subrev_u32_e32 v36, 28, v38
	v_lshlrev_b64 v[36:37], v36, v[30:31]
	v_lshrrev_b32_e32 v35, 3, v31
	v_sub_u32_e32 v30, 29, v38
	v_and_b32_e32 v36, 7, v36
	v_cmp_gt_u32_e32 vcc, 8, v31
	v_cndmask_b32_e32 v30, v35, v30, vcc
	v_cndmask_b32_e32 v31, v32, v36, vcc
	v_lshlrev_b32_e32 v32, 16, v26
	v_bfrev_b32_e32 v35, 60
	v_lshlrev_b32_e32 v31, 20, v31
	v_and_b32_e32 v32, 0x80000000, v32
	v_lshl_add_u32 v30, v30, 23, v35
	v_or3_b32 v35, v32, v30, v31
.LBB385_218:
	s_or_b64 exec, exec, s[20:21]
.LBB385_219:
	s_or_b64 exec, exec, s[8:9]
.LBB385_220:
	s_or_b64 exec, exec, s[2:3]
	s_movk_i32 s2, 0xff
	v_and_b32_sdwa v31, v26, s2 dst_sel:DWORD dst_unused:UNUSED_PAD src0_sel:WORD_1 src1_sel:DWORD
	v_lshrrev_b32_e32 v30, 16, v26
	v_cmp_ne_u16_e32 vcc, 0, v31
	s_and_saveexec_b64 s[2:3], vcc
	s_cbranch_execz .LBB385_226
; %bb.221:
	s_movk_i32 s8, 0x80
	v_cmp_ne_u16_e32 vcc, s8, v31
	v_bfrev_b32_e32 v33, 1
	s_and_saveexec_b64 s[8:9], vcc
	s_cbranch_execz .LBB385_225
; %bb.222:
	v_bfe_u32 v31, v26, 16, 7
	s_movk_i32 s11, 0x7f
	v_cmp_ne_u32_e32 vcc, s11, v31
	v_mov_b32_e32 v33, 0x7f800001
	s_and_saveexec_b64 s[20:21], vcc
	s_cbranch_execz .LBB385_224
; %bb.223:
	v_and_b32_e32 v36, 7, v30
	v_ffbh_u32_e32 v32, v36
	v_min_u32_e32 v38, 32, v32
	v_subrev_u32_e32 v32, 28, v38
	v_lshlrev_b64 v[32:33], v32, v[30:31]
	v_and_b32_e32 v32, 7, v32
	v_cmp_gt_u32_e32 vcc, 8, v31
	v_lshrrev_b32_e32 v37, 3, v31
	v_sub_u32_e32 v30, 29, v38
	v_cndmask_b32_e32 v31, v36, v32, vcc
	v_mov_b32_e32 v32, 24
	v_cndmask_b32_e32 v30, v37, v30, vcc
	v_lshlrev_b32_sdwa v32, v32, v26 dst_sel:DWORD dst_unused:UNUSED_PAD src0_sel:DWORD src1_sel:WORD_1
	v_bfrev_b32_e32 v33, 60
	v_lshlrev_b32_e32 v31, 20, v31
	v_and_b32_e32 v32, 0x80000000, v32
	v_lshl_add_u32 v30, v30, 23, v33
	v_or3_b32 v33, v32, v30, v31
.LBB385_224:
	s_or_b64 exec, exec, s[20:21]
.LBB385_225:
	s_or_b64 exec, exec, s[8:9]
.LBB385_226:
	s_or_b64 exec, exec, s[2:3]
	s_mov_b32 s2, 0xffffff
	v_cmp_lt_u32_e32 vcc, s2, v26
	v_mov_b32_e32 v31, 0
	v_mov_b32_e32 v36, 0
	s_and_saveexec_b64 s[2:3], vcc
	s_cbranch_execz .LBB385_232
; %bb.227:
	v_lshrrev_b32_e32 v30, 24, v26
	s_movk_i32 s8, 0x80
	v_cmp_ne_u32_e32 vcc, s8, v30
	v_bfrev_b32_e32 v36, 1
	s_and_saveexec_b64 s[8:9], vcc
	s_cbranch_execz .LBB385_231
; %bb.228:
	v_bfe_u32 v32, v26, 24, 7
	s_movk_i32 s11, 0x7f
	v_cmp_ne_u32_e32 vcc, s11, v32
	v_mov_b32_e32 v36, 0x7f800001
	s_and_saveexec_b64 s[20:21], vcc
	s_cbranch_execz .LBB385_230
; %bb.229:
	v_and_b32_e32 v38, 7, v30
	v_ffbh_u32_e32 v36, v38
	v_min_u32_e32 v40, 32, v36
	v_subrev_u32_e32 v36, 28, v40
	v_lshlrev_b64 v[36:37], v36, v[30:31]
	v_lshrrev_b32_e32 v39, 3, v32
	v_sub_u32_e32 v37, 29, v40
	v_and_b32_e32 v36, 7, v36
	v_cmp_gt_u32_e32 vcc, 8, v32
	v_cndmask_b32_e32 v32, v39, v37, vcc
	v_cndmask_b32_e32 v36, v38, v36, vcc
	v_lshlrev_b32_e32 v30, 24, v30
	v_bfrev_b32_e32 v37, 60
	v_lshlrev_b32_e32 v36, 20, v36
	v_and_b32_e32 v30, 0x80000000, v30
	v_lshl_add_u32 v32, v32, 23, v37
	v_or3_b32 v36, v30, v32, v36
.LBB385_230:
	s_or_b64 exec, exec, s[20:21]
.LBB385_231:
	s_or_b64 exec, exec, s[8:9]
.LBB385_232:
	s_or_b64 exec, exec, s[2:3]
	v_mov_b32_e32 v30, v27
	v_cmp_ne_u16_sdwa s[8:9], v27, v31 src0_sel:BYTE_0 src1_sel:DWORD
	s_and_saveexec_b64 s[2:3], s[8:9]
	s_cbranch_execz .LBB385_238
; %bb.233:
	s_movk_i32 s8, 0x80
	v_cmp_ne_u16_sdwa s[20:21], v27, s8 src0_sel:BYTE_0 src1_sel:DWORD
	v_bfrev_b32_e32 v32, 1
	s_and_saveexec_b64 s[8:9], s[20:21]
	s_cbranch_execz .LBB385_237
; %bb.234:
	s_movk_i32 s11, 0x7f
	v_and_b32_e32 v37, 0x7f, v27
	v_cmp_ne_u32_e32 vcc, s11, v37
	v_mov_b32_e32 v32, 0x7f800001
	s_and_saveexec_b64 s[20:21], vcc
	s_cbranch_execz .LBB385_236
; %bb.235:
	v_and_b32_e32 v32, 7, v27
	v_ffbh_u32_e32 v32, v32
	v_min_u32_e32 v32, 32, v32
	v_subrev_u32_e32 v39, 28, v32
	v_cmp_gt_u32_e32 vcc, 8, v37
	v_lshrrev_b32_e32 v38, 3, v37
	v_sub_u32_e32 v32, 29, v32
	v_cndmask_b32_e32 v37, 0, v39, vcc
	v_cndmask_b32_e32 v32, v38, v32, vcc
	v_lshlrev_b64 v[38:39], v37, v[30:31]
	v_lshlrev_b32_e32 v31, 20, v38
	v_lshlrev_b32_e32 v37, 24, v30
	v_bfrev_b32_e32 v38, 60
	v_and_b32_e32 v31, 0x700000, v31
	v_and_b32_e32 v37, 0x80000000, v37
	v_lshl_add_u32 v32, v32, 23, v38
	v_or3_b32 v32, v37, v32, v31
.LBB385_236:
	s_or_b64 exec, exec, s[20:21]
.LBB385_237:
	s_or_b64 exec, exec, s[8:9]
	v_mov_b32_e32 v31, v32
.LBB385_238:
	s_or_b64 exec, exec, s[2:3]
	v_lshrrev_b16_e32 v32, 8, v30
	v_cmp_ne_u16_e32 vcc, 0, v32
	v_mov_b32_e32 v37, 0
	v_mov_b32_e32 v38, 0
	s_and_saveexec_b64 s[2:3], vcc
	s_cbranch_execz .LBB385_244
; %bb.239:
	s_movk_i32 s8, 0x80
	v_cmp_ne_u16_e32 vcc, s8, v32
	v_bfrev_b32_e32 v38, 1
	s_and_saveexec_b64 s[8:9], vcc
	s_cbranch_execz .LBB385_243
; %bb.240:
	s_movk_i32 s11, 0x7f
	v_and_b32_e32 v39, 0x7f, v32
	v_cmp_ne_u32_e32 vcc, s11, v39
	v_mov_b32_e32 v38, 0x7f800001
	s_and_saveexec_b64 s[20:21], vcc
	s_cbranch_execz .LBB385_242
; %bb.241:
	v_and_b32_e32 v38, 7, v32
	v_ffbh_u32_e32 v40, v38
	v_min_u32_e32 v47, 32, v40
	v_subrev_u32_e32 v40, 28, v47
	v_lshlrev_b64 v[40:41], v40, v[32:33]
	v_lshrrev_b32_e32 v46, 3, v39
	v_sub_u32_e32 v32, 29, v47
	v_and_b32_e32 v40, 7, v40
	v_cmp_gt_u32_e32 vcc, 8, v39
	v_cndmask_b32_e32 v32, v46, v32, vcc
	v_cndmask_b32_e32 v38, v38, v40, vcc
	v_lshlrev_b32_e32 v30, 16, v30
	v_bfrev_b32_e32 v39, 60
	v_lshlrev_b32_e32 v38, 20, v38
	v_and_b32_e32 v30, 0x80000000, v30
	v_lshl_add_u32 v32, v32, 23, v39
	v_or3_b32 v38, v30, v32, v38
.LBB385_242:
	s_or_b64 exec, exec, s[20:21]
.LBB385_243:
	s_or_b64 exec, exec, s[8:9]
.LBB385_244:
	s_or_b64 exec, exec, s[2:3]
	s_movk_i32 s2, 0xff
	v_and_b32_sdwa v32, v27, s2 dst_sel:DWORD dst_unused:UNUSED_PAD src0_sel:WORD_1 src1_sel:DWORD
	v_lshrrev_b32_e32 v30, 16, v27
	v_cmp_ne_u16_e32 vcc, 0, v32
	s_and_saveexec_b64 s[2:3], vcc
	s_cbranch_execz .LBB385_250
; %bb.245:
	s_movk_i32 s8, 0x80
	v_cmp_ne_u16_e32 vcc, s8, v32
	v_bfrev_b32_e32 v37, 1
	s_and_saveexec_b64 s[8:9], vcc
	s_cbranch_execz .LBB385_249
; %bb.246:
	v_bfe_u32 v32, v27, 16, 7
	s_movk_i32 s11, 0x7f
	v_cmp_ne_u32_e32 vcc, s11, v32
	v_mov_b32_e32 v37, 0x7f800001
	s_and_saveexec_b64 s[20:21], vcc
	s_cbranch_execz .LBB385_248
; %bb.247:
	v_and_b32_e32 v37, 7, v30
	v_ffbh_u32_e32 v40, v37
	v_min_u32_e32 v46, 32, v40
	v_subrev_u32_e32 v40, 28, v46
	v_lshlrev_b64 v[40:41], v40, v[30:31]
	v_and_b32_e32 v40, 7, v40
	v_cmp_gt_u32_e32 vcc, 8, v32
	v_lshrrev_b32_e32 v39, 3, v32
	v_sub_u32_e32 v30, 29, v46
	v_cndmask_b32_e32 v32, v37, v40, vcc
	v_mov_b32_e32 v37, 24
	v_cndmask_b32_e32 v30, v39, v30, vcc
	v_lshlrev_b32_sdwa v37, v37, v27 dst_sel:DWORD dst_unused:UNUSED_PAD src0_sel:DWORD src1_sel:WORD_1
	v_bfrev_b32_e32 v39, 60
	v_lshlrev_b32_e32 v32, 20, v32
	v_and_b32_e32 v37, 0x80000000, v37
	v_lshl_add_u32 v30, v30, 23, v39
	v_or3_b32 v37, v37, v30, v32
.LBB385_248:
	s_or_b64 exec, exec, s[20:21]
.LBB385_249:
	s_or_b64 exec, exec, s[8:9]
.LBB385_250:
	s_or_b64 exec, exec, s[2:3]
	s_mov_b32 s2, -1
	s_mov_b32 s3, 0xffffff
	v_cmp_lt_u64_e32 vcc, s[2:3], v[26:27]
	v_mov_b32_e32 v32, 0
	v_mov_b32_e32 v30, 0
	s_and_saveexec_b64 s[2:3], vcc
	s_cbranch_execz .LBB385_256
; %bb.251:
	v_lshrrev_b32_e32 v26, 24, v27
	s_movk_i32 s8, 0x80
	v_cmp_ne_u32_e32 vcc, s8, v26
	v_bfrev_b32_e32 v30, 1
	s_and_saveexec_b64 s[8:9], vcc
	s_cbranch_execz .LBB385_255
; %bb.252:
	v_bfe_u32 v27, v27, 24, 7
	s_movk_i32 s11, 0x7f
	v_cmp_ne_u32_e32 vcc, s11, v27
	v_mov_b32_e32 v30, 0x7f800001
	s_and_saveexec_b64 s[20:21], vcc
	s_cbranch_execz .LBB385_254
; %bb.253:
	v_and_b32_e32 v30, 7, v26
	v_ffbh_u32_e32 v40, v30
	v_min_u32_e32 v46, 32, v40
	v_subrev_u32_e32 v40, 28, v46
	v_lshlrev_b64 v[40:41], v40, v[26:27]
	v_lshrrev_b32_e32 v39, 3, v27
	v_sub_u32_e32 v41, 29, v46
	v_and_b32_e32 v40, 7, v40
	v_cmp_gt_u32_e32 vcc, 8, v27
	v_cndmask_b32_e32 v27, v39, v41, vcc
	v_cndmask_b32_e32 v30, v30, v40, vcc
	v_lshlrev_b32_e32 v26, 24, v26
	v_bfrev_b32_e32 v39, 60
	v_lshlrev_b32_e32 v30, 20, v30
	v_and_b32_e32 v26, 0x80000000, v26
	v_lshl_add_u32 v27, v27, 23, v39
	v_or3_b32 v30, v26, v27, v30
.LBB385_254:
	s_or_b64 exec, exec, s[20:21]
.LBB385_255:
	s_or_b64 exec, exec, s[8:9]
.LBB385_256:
	s_or_b64 exec, exec, s[2:3]
	v_cvt_pkrtz_f16_f32 v26, v34, v35
	v_cvt_pkrtz_f16_f32 v27, v33, v36
	;; [unrolled: 1-line block ×4, first 2 shown]
	v_mfma_f32_4x4x4f16 a[0:3], v[18:19], v[26:27], a[0:3] cbsz:4 abid:4
	v_cmp_ne_u16_sdwa s[8:9], v28, v32 src0_sel:BYTE_0 src1_sel:DWORD
	v_mfma_f32_4x4x4f16 a[0:3], v[20:21], v[34:35], a[0:3] cbsz:4 abid:4
	s_and_saveexec_b64 s[2:3], s[8:9]
	s_cbranch_execz .LBB385_262
; %bb.257:
	s_movk_i32 s8, 0x80
	v_cmp_ne_u16_sdwa s[20:21], v28, s8 src0_sel:BYTE_0 src1_sel:DWORD
	v_bfrev_b32_e32 v32, 1
	s_and_saveexec_b64 s[8:9], s[20:21]
	s_cbranch_execz .LBB385_261
; %bb.258:
	s_movk_i32 s11, 0x7f
	v_and_b32_e32 v26, 0x7f, v28
	v_cmp_ne_u32_e32 vcc, s11, v26
	v_mov_b32_e32 v32, 0x7f800001
	s_and_saveexec_b64 s[20:21], vcc
	s_cbranch_execz .LBB385_260
; %bb.259:
	v_and_b32_e32 v27, 7, v28
	v_ffbh_u32_e32 v27, v27
	v_min_u32_e32 v27, 32, v27
	v_subrev_u32_e32 v31, 28, v27
	v_cmp_gt_u32_e32 vcc, 8, v26
	v_lshrrev_b32_e32 v30, 3, v26
	v_sub_u32_e32 v27, 29, v27
	v_cndmask_b32_e32 v26, 0, v31, vcc
	v_cndmask_b32_e32 v30, v30, v27, vcc
	v_lshlrev_b64 v[26:27], v26, v[28:29]
	v_lshlrev_b32_e32 v26, 20, v26
	v_lshlrev_b32_e32 v27, 24, v28
	v_bfrev_b32_e32 v31, 60
	v_and_b32_e32 v26, 0x700000, v26
	v_and_b32_e32 v27, 0x80000000, v27
	v_lshl_add_u32 v30, v30, 23, v31
	v_or3_b32 v32, v27, v30, v26
.LBB385_260:
	s_or_b64 exec, exec, s[20:21]
.LBB385_261:
	s_or_b64 exec, exec, s[8:9]
.LBB385_262:
	s_or_b64 exec, exec, s[2:3]
	v_lshrrev_b16_e32 v26, 8, v28
	v_cmp_ne_u16_e32 vcc, 0, v26
	v_mov_b32_e32 v31, 0
	v_mov_b32_e32 v33, 0
	s_and_saveexec_b64 s[2:3], vcc
	s_cbranch_execz .LBB385_268
; %bb.263:
	s_movk_i32 s8, 0x80
	v_cmp_ne_u16_e32 vcc, s8, v26
	v_bfrev_b32_e32 v33, 1
	s_and_saveexec_b64 s[8:9], vcc
	s_cbranch_execz .LBB385_267
; %bb.264:
	s_movk_i32 s11, 0x7f
	v_and_b32_e32 v27, 0x7f, v26
	v_cmp_ne_u32_e32 vcc, s11, v27
	v_mov_b32_e32 v33, 0x7f800001
	s_and_saveexec_b64 s[20:21], vcc
	s_cbranch_execz .LBB385_266
; %bb.265:
	v_and_b32_e32 v30, 7, v26
	v_ffbh_u32_e32 v34, v30
	v_min_u32_e32 v36, 32, v34
	v_subrev_u32_e32 v34, 28, v36
	v_lshlrev_b64 v[34:35], v34, v[26:27]
	v_lshrrev_b32_e32 v33, 3, v27
	v_sub_u32_e32 v26, 29, v36
	v_and_b32_e32 v34, 7, v34
	v_cmp_gt_u32_e32 vcc, 8, v27
	v_cndmask_b32_e32 v26, v33, v26, vcc
	v_cndmask_b32_e32 v27, v30, v34, vcc
	v_lshlrev_b32_e32 v30, 16, v28
	v_bfrev_b32_e32 v33, 60
	v_lshlrev_b32_e32 v27, 20, v27
	v_and_b32_e32 v30, 0x80000000, v30
	v_lshl_add_u32 v26, v26, 23, v33
	v_or3_b32 v33, v30, v26, v27
.LBB385_266:
	s_or_b64 exec, exec, s[20:21]
.LBB385_267:
	s_or_b64 exec, exec, s[8:9]
.LBB385_268:
	s_or_b64 exec, exec, s[2:3]
	s_movk_i32 s2, 0xff
	v_and_b32_sdwa v27, v28, s2 dst_sel:DWORD dst_unused:UNUSED_PAD src0_sel:WORD_1 src1_sel:DWORD
	v_lshrrev_b32_e32 v26, 16, v28
	v_cmp_ne_u16_e32 vcc, 0, v27
	s_and_saveexec_b64 s[2:3], vcc
	s_cbranch_execz .LBB385_274
; %bb.269:
	s_movk_i32 s8, 0x80
	v_cmp_ne_u16_e32 vcc, s8, v27
	v_bfrev_b32_e32 v31, 1
	s_and_saveexec_b64 s[8:9], vcc
	s_cbranch_execz .LBB385_273
; %bb.270:
	v_bfe_u32 v27, v28, 16, 7
	s_movk_i32 s11, 0x7f
	v_cmp_ne_u32_e32 vcc, s11, v27
	v_mov_b32_e32 v31, 0x7f800001
	s_and_saveexec_b64 s[20:21], vcc
	s_cbranch_execz .LBB385_272
; %bb.271:
	v_and_b32_e32 v34, 7, v26
	v_ffbh_u32_e32 v30, v34
	v_min_u32_e32 v36, 32, v30
	v_subrev_u32_e32 v30, 28, v36
	v_lshlrev_b64 v[30:31], v30, v[26:27]
	v_and_b32_e32 v30, 7, v30
	v_cmp_gt_u32_e32 vcc, 8, v27
	v_lshrrev_b32_e32 v35, 3, v27
	v_sub_u32_e32 v26, 29, v36
	v_cndmask_b32_e32 v27, v34, v30, vcc
	v_mov_b32_e32 v30, 24
	v_cndmask_b32_e32 v26, v35, v26, vcc
	v_lshlrev_b32_sdwa v30, v30, v28 dst_sel:DWORD dst_unused:UNUSED_PAD src0_sel:DWORD src1_sel:WORD_1
	v_bfrev_b32_e32 v31, 60
	v_lshlrev_b32_e32 v27, 20, v27
	v_and_b32_e32 v30, 0x80000000, v30
	v_lshl_add_u32 v26, v26, 23, v31
	v_or3_b32 v31, v30, v26, v27
.LBB385_272:
	s_or_b64 exec, exec, s[20:21]
.LBB385_273:
	s_or_b64 exec, exec, s[8:9]
.LBB385_274:
	s_or_b64 exec, exec, s[2:3]
	s_mov_b32 s2, 0xffffff
	v_cmp_lt_u32_e32 vcc, s2, v28
	v_mov_b32_e32 v27, 0
	v_mov_b32_e32 v34, 0
	s_and_saveexec_b64 s[2:3], vcc
	s_cbranch_execz .LBB385_280
; %bb.275:
	v_lshrrev_b32_e32 v26, 24, v28
	s_movk_i32 s8, 0x80
	v_cmp_ne_u32_e32 vcc, s8, v26
	v_bfrev_b32_e32 v34, 1
	s_and_saveexec_b64 s[8:9], vcc
	s_cbranch_execz .LBB385_279
; %bb.276:
	v_bfe_u32 v30, v28, 24, 7
	s_movk_i32 s11, 0x7f
	v_cmp_ne_u32_e32 vcc, s11, v30
	v_mov_b32_e32 v34, 0x7f800001
	s_and_saveexec_b64 s[20:21], vcc
	s_cbranch_execz .LBB385_278
; %bb.277:
	v_and_b32_e32 v36, 7, v26
	v_ffbh_u32_e32 v34, v36
	v_min_u32_e32 v38, 32, v34
	v_subrev_u32_e32 v34, 28, v38
	v_lshlrev_b64 v[34:35], v34, v[26:27]
	v_lshrrev_b32_e32 v37, 3, v30
	v_sub_u32_e32 v35, 29, v38
	v_and_b32_e32 v34, 7, v34
	v_cmp_gt_u32_e32 vcc, 8, v30
	v_cndmask_b32_e32 v30, v37, v35, vcc
	v_cndmask_b32_e32 v34, v36, v34, vcc
	v_lshlrev_b32_e32 v26, 24, v26
	v_bfrev_b32_e32 v35, 60
	v_lshlrev_b32_e32 v34, 20, v34
	v_and_b32_e32 v26, 0x80000000, v26
	v_lshl_add_u32 v30, v30, 23, v35
	v_or3_b32 v34, v26, v30, v34
.LBB385_278:
	s_or_b64 exec, exec, s[20:21]
.LBB385_279:
	s_or_b64 exec, exec, s[8:9]
.LBB385_280:
	s_or_b64 exec, exec, s[2:3]
	v_mov_b32_e32 v26, v29
	v_cmp_ne_u16_sdwa s[8:9], v29, v27 src0_sel:BYTE_0 src1_sel:DWORD
	s_and_saveexec_b64 s[2:3], s[8:9]
	s_cbranch_execz .LBB385_286
; %bb.281:
	s_movk_i32 s8, 0x80
	v_cmp_ne_u16_sdwa s[20:21], v29, s8 src0_sel:BYTE_0 src1_sel:DWORD
	v_bfrev_b32_e32 v30, 1
	s_and_saveexec_b64 s[8:9], s[20:21]
	s_cbranch_execz .LBB385_285
; %bb.282:
	s_movk_i32 s11, 0x7f
	v_and_b32_e32 v35, 0x7f, v29
	v_cmp_ne_u32_e32 vcc, s11, v35
	v_mov_b32_e32 v30, 0x7f800001
	s_and_saveexec_b64 s[20:21], vcc
	s_cbranch_execz .LBB385_284
; %bb.283:
	v_and_b32_e32 v30, 7, v29
	v_ffbh_u32_e32 v30, v30
	v_min_u32_e32 v30, 32, v30
	v_subrev_u32_e32 v37, 28, v30
	v_cmp_gt_u32_e32 vcc, 8, v35
	v_lshrrev_b32_e32 v36, 3, v35
	v_sub_u32_e32 v30, 29, v30
	v_cndmask_b32_e32 v35, 0, v37, vcc
	v_cndmask_b32_e32 v30, v36, v30, vcc
	v_lshlrev_b64 v[36:37], v35, v[26:27]
	v_lshlrev_b32_e32 v27, 20, v36
	v_lshlrev_b32_e32 v35, 24, v26
	v_bfrev_b32_e32 v36, 60
	v_and_b32_e32 v27, 0x700000, v27
	v_and_b32_e32 v35, 0x80000000, v35
	v_lshl_add_u32 v30, v30, 23, v36
	v_or3_b32 v30, v35, v30, v27
.LBB385_284:
	s_or_b64 exec, exec, s[20:21]
.LBB385_285:
	s_or_b64 exec, exec, s[8:9]
	v_mov_b32_e32 v27, v30
.LBB385_286:
	s_or_b64 exec, exec, s[2:3]
	v_lshrrev_b16_e32 v30, 8, v26
	v_cmp_ne_u16_e32 vcc, 0, v30
	v_mov_b32_e32 v35, 0
	v_mov_b32_e32 v36, 0
	s_and_saveexec_b64 s[2:3], vcc
	s_cbranch_execz .LBB385_292
; %bb.287:
	s_movk_i32 s8, 0x80
	v_cmp_ne_u16_e32 vcc, s8, v30
	v_bfrev_b32_e32 v36, 1
	s_and_saveexec_b64 s[8:9], vcc
	s_cbranch_execz .LBB385_291
; %bb.288:
	s_movk_i32 s11, 0x7f
	v_and_b32_e32 v37, 0x7f, v30
	v_cmp_ne_u32_e32 vcc, s11, v37
	v_mov_b32_e32 v36, 0x7f800001
	s_and_saveexec_b64 s[20:21], vcc
	s_cbranch_execz .LBB385_290
; %bb.289:
	v_and_b32_e32 v36, 7, v30
	v_ffbh_u32_e32 v38, v36
	v_min_u32_e32 v41, 32, v38
	v_subrev_u32_e32 v38, 28, v41
	v_lshlrev_b64 v[38:39], v38, v[30:31]
	v_lshrrev_b32_e32 v40, 3, v37
	v_sub_u32_e32 v30, 29, v41
	v_and_b32_e32 v38, 7, v38
	v_cmp_gt_u32_e32 vcc, 8, v37
	v_cndmask_b32_e32 v30, v40, v30, vcc
	v_cndmask_b32_e32 v36, v36, v38, vcc
	v_lshlrev_b32_e32 v26, 16, v26
	v_bfrev_b32_e32 v37, 60
	v_lshlrev_b32_e32 v36, 20, v36
	v_and_b32_e32 v26, 0x80000000, v26
	v_lshl_add_u32 v30, v30, 23, v37
	v_or3_b32 v36, v26, v30, v36
.LBB385_290:
	s_or_b64 exec, exec, s[20:21]
.LBB385_291:
	s_or_b64 exec, exec, s[8:9]
.LBB385_292:
	s_or_b64 exec, exec, s[2:3]
	s_movk_i32 s2, 0xff
	v_and_b32_sdwa v30, v29, s2 dst_sel:DWORD dst_unused:UNUSED_PAD src0_sel:WORD_1 src1_sel:DWORD
	v_lshrrev_b32_e32 v26, 16, v29
	v_cmp_ne_u16_e32 vcc, 0, v30
	s_and_saveexec_b64 s[2:3], vcc
	s_cbranch_execz .LBB385_298
; %bb.293:
	s_movk_i32 s8, 0x80
	v_cmp_ne_u16_e32 vcc, s8, v30
	v_bfrev_b32_e32 v35, 1
	s_and_saveexec_b64 s[8:9], vcc
	s_cbranch_execz .LBB385_297
; %bb.294:
	v_bfe_u32 v30, v29, 16, 7
	s_movk_i32 s11, 0x7f
	v_cmp_ne_u32_e32 vcc, s11, v30
	v_mov_b32_e32 v35, 0x7f800001
	s_and_saveexec_b64 s[20:21], vcc
	s_cbranch_execz .LBB385_296
; %bb.295:
	v_and_b32_e32 v35, 7, v26
	v_ffbh_u32_e32 v38, v35
	v_min_u32_e32 v40, 32, v38
	v_subrev_u32_e32 v38, 28, v40
	v_lshlrev_b64 v[38:39], v38, v[26:27]
	v_and_b32_e32 v38, 7, v38
	v_cmp_gt_u32_e32 vcc, 8, v30
	v_lshrrev_b32_e32 v37, 3, v30
	v_sub_u32_e32 v26, 29, v40
	v_cndmask_b32_e32 v30, v35, v38, vcc
	v_mov_b32_e32 v35, 24
	v_cndmask_b32_e32 v26, v37, v26, vcc
	v_lshlrev_b32_sdwa v35, v35, v29 dst_sel:DWORD dst_unused:UNUSED_PAD src0_sel:DWORD src1_sel:WORD_1
	v_bfrev_b32_e32 v37, 60
	v_lshlrev_b32_e32 v30, 20, v30
	v_and_b32_e32 v35, 0x80000000, v35
	v_lshl_add_u32 v26, v26, 23, v37
	v_or3_b32 v35, v35, v26, v30
.LBB385_296:
	s_or_b64 exec, exec, s[20:21]
.LBB385_297:
	s_or_b64 exec, exec, s[8:9]
.LBB385_298:
	s_or_b64 exec, exec, s[2:3]
	s_mov_b32 s2, -1
	s_mov_b32 s3, 0xffffff
	v_cmp_lt_u64_e32 vcc, s[2:3], v[28:29]
	v_mov_b32_e32 v30, 0
	v_mov_b32_e32 v28, 0
	s_and_saveexec_b64 s[2:3], vcc
	s_cbranch_execz .LBB385_304
; %bb.299:
	v_lshrrev_b32_e32 v26, 24, v29
	s_movk_i32 s8, 0x80
	v_cmp_ne_u32_e32 vcc, s8, v26
	v_bfrev_b32_e32 v28, 1
	s_and_saveexec_b64 s[8:9], vcc
	s_cbranch_execz .LBB385_303
; %bb.300:
	v_bfe_u32 v29, v29, 24, 7
	s_movk_i32 s11, 0x7f
	v_cmp_ne_u32_e32 vcc, s11, v29
	v_mov_b32_e32 v28, 0x7f800001
	s_and_saveexec_b64 s[20:21], vcc
	s_cbranch_execz .LBB385_302
; %bb.301:
	v_and_b32_e32 v28, 7, v26
	v_ffbh_u32_e32 v38, v28
	v_min_u32_e32 v40, 32, v38
	v_subrev_u32_e32 v38, 28, v40
	v_lshlrev_b64 v[38:39], v38, v[26:27]
	v_lshrrev_b32_e32 v37, 3, v29
	v_sub_u32_e32 v39, 29, v40
	v_and_b32_e32 v38, 7, v38
	v_cmp_gt_u32_e32 vcc, 8, v29
	v_cndmask_b32_e32 v29, v37, v39, vcc
	v_cndmask_b32_e32 v28, v28, v38, vcc
	v_lshlrev_b32_e32 v26, 24, v26
	v_bfrev_b32_e32 v37, 60
	v_lshlrev_b32_e32 v28, 20, v28
	v_and_b32_e32 v26, 0x80000000, v26
	v_lshl_add_u32 v29, v29, 23, v37
	v_or3_b32 v28, v26, v29, v28
.LBB385_302:
	s_or_b64 exec, exec, s[20:21]
.LBB385_303:
	s_or_b64 exec, exec, s[8:9]
.LBB385_304:
	s_or_b64 exec, exec, s[2:3]
	v_cvt_pkrtz_f16_f32 v32, v32, v33
	v_cvt_pkrtz_f16_f32 v33, v31, v34
	;; [unrolled: 1-line block ×4, first 2 shown]
	v_mfma_f32_4x4x4f16 a[0:3], v[18:19], v[32:33], a[0:3] cbsz:4 abid:5
	s_waitcnt vmcnt(4)
	v_cmp_ne_u16_sdwa s[8:9], v22, v30 src0_sel:BYTE_0 src1_sel:DWORD
	v_mfma_f32_4x4x4f16 a[0:3], v[20:21], v[26:27], a[0:3] cbsz:4 abid:5
	s_and_saveexec_b64 s[2:3], s[8:9]
	s_cbranch_execz .LBB385_310
; %bb.305:
	s_movk_i32 s8, 0x80
	v_cmp_ne_u16_sdwa s[20:21], v22, s8 src0_sel:BYTE_0 src1_sel:DWORD
	v_bfrev_b32_e32 v30, 1
	s_and_saveexec_b64 s[8:9], s[20:21]
	s_cbranch_execz .LBB385_309
; %bb.306:
	s_movk_i32 s11, 0x7f
	v_and_b32_e32 v26, 0x7f, v22
	v_cmp_ne_u32_e32 vcc, s11, v26
	v_mov_b32_e32 v30, 0x7f800001
	s_and_saveexec_b64 s[20:21], vcc
	s_cbranch_execz .LBB385_308
; %bb.307:
	v_and_b32_e32 v27, 7, v22
	v_ffbh_u32_e32 v27, v27
	v_min_u32_e32 v27, 32, v27
	v_subrev_u32_e32 v29, 28, v27
	v_cmp_gt_u32_e32 vcc, 8, v26
	v_lshrrev_b32_e32 v28, 3, v26
	v_sub_u32_e32 v27, 29, v27
	v_cndmask_b32_e32 v26, 0, v29, vcc
	v_cndmask_b32_e32 v28, v28, v27, vcc
	v_lshlrev_b64 v[26:27], v26, v[22:23]
	v_lshlrev_b32_e32 v26, 20, v26
	v_lshlrev_b32_e32 v27, 24, v22
	v_bfrev_b32_e32 v29, 60
	v_and_b32_e32 v26, 0x700000, v26
	v_and_b32_e32 v27, 0x80000000, v27
	v_lshl_add_u32 v28, v28, 23, v29
	v_or3_b32 v30, v27, v28, v26
.LBB385_308:
	s_or_b64 exec, exec, s[20:21]
.LBB385_309:
	s_or_b64 exec, exec, s[8:9]
.LBB385_310:
	s_or_b64 exec, exec, s[2:3]
	v_lshrrev_b16_e32 v26, 8, v22
	v_cmp_ne_u16_e32 vcc, 0, v26
	v_mov_b32_e32 v29, 0
	v_mov_b32_e32 v31, 0
	s_and_saveexec_b64 s[2:3], vcc
	s_cbranch_execz .LBB385_316
; %bb.311:
	s_movk_i32 s8, 0x80
	v_cmp_ne_u16_e32 vcc, s8, v26
	v_bfrev_b32_e32 v31, 1
	s_and_saveexec_b64 s[8:9], vcc
	s_cbranch_execz .LBB385_315
; %bb.312:
	s_movk_i32 s11, 0x7f
	v_and_b32_e32 v27, 0x7f, v26
	v_cmp_ne_u32_e32 vcc, s11, v27
	v_mov_b32_e32 v31, 0x7f800001
	s_and_saveexec_b64 s[20:21], vcc
	s_cbranch_execz .LBB385_314
; %bb.313:
	v_and_b32_e32 v28, 7, v26
	v_ffbh_u32_e32 v32, v28
	v_min_u32_e32 v34, 32, v32
	v_subrev_u32_e32 v32, 28, v34
	v_lshlrev_b64 v[32:33], v32, v[26:27]
	v_lshrrev_b32_e32 v31, 3, v27
	v_sub_u32_e32 v26, 29, v34
	v_and_b32_e32 v32, 7, v32
	v_cmp_gt_u32_e32 vcc, 8, v27
	v_cndmask_b32_e32 v26, v31, v26, vcc
	v_cndmask_b32_e32 v27, v28, v32, vcc
	v_lshlrev_b32_e32 v28, 16, v22
	v_bfrev_b32_e32 v31, 60
	v_lshlrev_b32_e32 v27, 20, v27
	v_and_b32_e32 v28, 0x80000000, v28
	v_lshl_add_u32 v26, v26, 23, v31
	v_or3_b32 v31, v28, v26, v27
.LBB385_314:
	s_or_b64 exec, exec, s[20:21]
.LBB385_315:
	s_or_b64 exec, exec, s[8:9]
.LBB385_316:
	s_or_b64 exec, exec, s[2:3]
	s_movk_i32 s2, 0xff
	v_and_b32_sdwa v27, v22, s2 dst_sel:DWORD dst_unused:UNUSED_PAD src0_sel:WORD_1 src1_sel:DWORD
	v_lshrrev_b32_e32 v26, 16, v22
	v_cmp_ne_u16_e32 vcc, 0, v27
	s_and_saveexec_b64 s[2:3], vcc
	s_cbranch_execz .LBB385_322
; %bb.317:
	s_movk_i32 s8, 0x80
	v_cmp_ne_u16_e32 vcc, s8, v27
	v_bfrev_b32_e32 v29, 1
	s_and_saveexec_b64 s[8:9], vcc
	s_cbranch_execz .LBB385_321
; %bb.318:
	v_bfe_u32 v27, v22, 16, 7
	s_movk_i32 s11, 0x7f
	v_cmp_ne_u32_e32 vcc, s11, v27
	v_mov_b32_e32 v29, 0x7f800001
	s_and_saveexec_b64 s[20:21], vcc
	s_cbranch_execz .LBB385_320
; %bb.319:
	v_and_b32_e32 v32, 7, v26
	v_ffbh_u32_e32 v28, v32
	v_min_u32_e32 v34, 32, v28
	v_subrev_u32_e32 v28, 28, v34
	v_lshlrev_b64 v[28:29], v28, v[26:27]
	v_and_b32_e32 v28, 7, v28
	v_cmp_gt_u32_e32 vcc, 8, v27
	v_lshrrev_b32_e32 v33, 3, v27
	v_sub_u32_e32 v26, 29, v34
	v_cndmask_b32_e32 v27, v32, v28, vcc
	v_mov_b32_e32 v28, 24
	v_cndmask_b32_e32 v26, v33, v26, vcc
	v_lshlrev_b32_sdwa v28, v28, v22 dst_sel:DWORD dst_unused:UNUSED_PAD src0_sel:DWORD src1_sel:WORD_1
	v_bfrev_b32_e32 v29, 60
	v_lshlrev_b32_e32 v27, 20, v27
	v_and_b32_e32 v28, 0x80000000, v28
	v_lshl_add_u32 v26, v26, 23, v29
	v_or3_b32 v29, v28, v26, v27
.LBB385_320:
	s_or_b64 exec, exec, s[20:21]
.LBB385_321:
	s_or_b64 exec, exec, s[8:9]
.LBB385_322:
	s_or_b64 exec, exec, s[2:3]
	s_mov_b32 s2, 0xffffff
	v_cmp_lt_u32_e32 vcc, s2, v22
	v_mov_b32_e32 v27, 0
	v_mov_b32_e32 v32, 0
	s_and_saveexec_b64 s[2:3], vcc
	s_cbranch_execz .LBB385_328
; %bb.323:
	v_lshrrev_b32_e32 v26, 24, v22
	s_movk_i32 s8, 0x80
	v_cmp_ne_u32_e32 vcc, s8, v26
	v_bfrev_b32_e32 v32, 1
	s_and_saveexec_b64 s[8:9], vcc
	s_cbranch_execz .LBB385_327
; %bb.324:
	v_bfe_u32 v28, v22, 24, 7
	s_movk_i32 s11, 0x7f
	v_cmp_ne_u32_e32 vcc, s11, v28
	v_mov_b32_e32 v32, 0x7f800001
	s_and_saveexec_b64 s[20:21], vcc
	s_cbranch_execz .LBB385_326
; %bb.325:
	v_and_b32_e32 v34, 7, v26
	v_ffbh_u32_e32 v32, v34
	v_min_u32_e32 v36, 32, v32
	v_subrev_u32_e32 v32, 28, v36
	v_lshlrev_b64 v[32:33], v32, v[26:27]
	v_lshrrev_b32_e32 v35, 3, v28
	v_sub_u32_e32 v33, 29, v36
	v_and_b32_e32 v32, 7, v32
	v_cmp_gt_u32_e32 vcc, 8, v28
	v_cndmask_b32_e32 v28, v35, v33, vcc
	v_cndmask_b32_e32 v32, v34, v32, vcc
	v_lshlrev_b32_e32 v26, 24, v26
	v_bfrev_b32_e32 v33, 60
	v_lshlrev_b32_e32 v32, 20, v32
	v_and_b32_e32 v26, 0x80000000, v26
	v_lshl_add_u32 v28, v28, 23, v33
	v_or3_b32 v32, v26, v28, v32
.LBB385_326:
	s_or_b64 exec, exec, s[20:21]
.LBB385_327:
	s_or_b64 exec, exec, s[8:9]
.LBB385_328:
	s_or_b64 exec, exec, s[2:3]
	v_mov_b32_e32 v26, v23
	v_cmp_ne_u16_sdwa s[8:9], v23, v27 src0_sel:BYTE_0 src1_sel:DWORD
	s_and_saveexec_b64 s[2:3], s[8:9]
	s_cbranch_execz .LBB385_334
; %bb.329:
	s_movk_i32 s8, 0x80
	v_cmp_ne_u16_sdwa s[20:21], v23, s8 src0_sel:BYTE_0 src1_sel:DWORD
	v_bfrev_b32_e32 v28, 1
	s_and_saveexec_b64 s[8:9], s[20:21]
	s_cbranch_execz .LBB385_333
; %bb.330:
	s_movk_i32 s11, 0x7f
	v_and_b32_e32 v33, 0x7f, v23
	v_cmp_ne_u32_e32 vcc, s11, v33
	v_mov_b32_e32 v28, 0x7f800001
	s_and_saveexec_b64 s[20:21], vcc
	s_cbranch_execz .LBB385_332
; %bb.331:
	v_and_b32_e32 v28, 7, v23
	v_ffbh_u32_e32 v28, v28
	v_min_u32_e32 v28, 32, v28
	v_subrev_u32_e32 v35, 28, v28
	v_cmp_gt_u32_e32 vcc, 8, v33
	v_lshrrev_b32_e32 v34, 3, v33
	v_sub_u32_e32 v28, 29, v28
	v_cndmask_b32_e32 v33, 0, v35, vcc
	v_cndmask_b32_e32 v28, v34, v28, vcc
	v_lshlrev_b64 v[34:35], v33, v[26:27]
	v_lshlrev_b32_e32 v27, 20, v34
	v_lshlrev_b32_e32 v33, 24, v26
	v_bfrev_b32_e32 v34, 60
	v_and_b32_e32 v27, 0x700000, v27
	v_and_b32_e32 v33, 0x80000000, v33
	v_lshl_add_u32 v28, v28, 23, v34
	v_or3_b32 v28, v33, v28, v27
.LBB385_332:
	s_or_b64 exec, exec, s[20:21]
.LBB385_333:
	s_or_b64 exec, exec, s[8:9]
	v_mov_b32_e32 v27, v28
.LBB385_334:
	s_or_b64 exec, exec, s[2:3]
	v_lshrrev_b16_e32 v28, 8, v26
	v_cmp_ne_u16_e32 vcc, 0, v28
	v_mov_b32_e32 v33, 0
	v_mov_b32_e32 v34, 0
	s_and_saveexec_b64 s[2:3], vcc
	s_cbranch_execz .LBB385_340
; %bb.335:
	s_movk_i32 s8, 0x80
	v_cmp_ne_u16_e32 vcc, s8, v28
	v_bfrev_b32_e32 v34, 1
	s_and_saveexec_b64 s[8:9], vcc
	s_cbranch_execz .LBB385_339
; %bb.336:
	s_movk_i32 s11, 0x7f
	v_and_b32_e32 v35, 0x7f, v28
	v_cmp_ne_u32_e32 vcc, s11, v35
	v_mov_b32_e32 v34, 0x7f800001
	s_and_saveexec_b64 s[20:21], vcc
	s_cbranch_execz .LBB385_338
; %bb.337:
	v_and_b32_e32 v34, 7, v28
	v_ffbh_u32_e32 v36, v34
	v_min_u32_e32 v39, 32, v36
	v_subrev_u32_e32 v36, 28, v39
	v_lshlrev_b64 v[36:37], v36, v[28:29]
	v_lshrrev_b32_e32 v38, 3, v35
	v_sub_u32_e32 v28, 29, v39
	v_and_b32_e32 v36, 7, v36
	v_cmp_gt_u32_e32 vcc, 8, v35
	v_cndmask_b32_e32 v28, v38, v28, vcc
	v_cndmask_b32_e32 v34, v34, v36, vcc
	v_lshlrev_b32_e32 v26, 16, v26
	v_bfrev_b32_e32 v35, 60
	v_lshlrev_b32_e32 v34, 20, v34
	v_and_b32_e32 v26, 0x80000000, v26
	v_lshl_add_u32 v28, v28, 23, v35
	v_or3_b32 v34, v26, v28, v34
.LBB385_338:
	s_or_b64 exec, exec, s[20:21]
.LBB385_339:
	s_or_b64 exec, exec, s[8:9]
.LBB385_340:
	s_or_b64 exec, exec, s[2:3]
	s_movk_i32 s2, 0xff
	v_and_b32_sdwa v28, v23, s2 dst_sel:DWORD dst_unused:UNUSED_PAD src0_sel:WORD_1 src1_sel:DWORD
	v_lshrrev_b32_e32 v26, 16, v23
	v_cmp_ne_u16_e32 vcc, 0, v28
	s_and_saveexec_b64 s[2:3], vcc
	s_cbranch_execz .LBB385_346
; %bb.341:
	s_movk_i32 s8, 0x80
	v_cmp_ne_u16_e32 vcc, s8, v28
	v_bfrev_b32_e32 v33, 1
	s_and_saveexec_b64 s[8:9], vcc
	s_cbranch_execz .LBB385_345
; %bb.342:
	v_bfe_u32 v28, v23, 16, 7
	s_movk_i32 s11, 0x7f
	v_cmp_ne_u32_e32 vcc, s11, v28
	v_mov_b32_e32 v33, 0x7f800001
	s_and_saveexec_b64 s[20:21], vcc
	s_cbranch_execz .LBB385_344
; %bb.343:
	v_and_b32_e32 v33, 7, v26
	v_ffbh_u32_e32 v36, v33
	v_min_u32_e32 v38, 32, v36
	v_subrev_u32_e32 v36, 28, v38
	v_lshlrev_b64 v[36:37], v36, v[26:27]
	v_and_b32_e32 v36, 7, v36
	v_cmp_gt_u32_e32 vcc, 8, v28
	v_lshrrev_b32_e32 v35, 3, v28
	v_sub_u32_e32 v26, 29, v38
	v_cndmask_b32_e32 v28, v33, v36, vcc
	v_mov_b32_e32 v33, 24
	v_cndmask_b32_e32 v26, v35, v26, vcc
	v_lshlrev_b32_sdwa v33, v33, v23 dst_sel:DWORD dst_unused:UNUSED_PAD src0_sel:DWORD src1_sel:WORD_1
	v_bfrev_b32_e32 v35, 60
	v_lshlrev_b32_e32 v28, 20, v28
	v_and_b32_e32 v33, 0x80000000, v33
	v_lshl_add_u32 v26, v26, 23, v35
	v_or3_b32 v33, v33, v26, v28
.LBB385_344:
	s_or_b64 exec, exec, s[20:21]
.LBB385_345:
	s_or_b64 exec, exec, s[8:9]
.LBB385_346:
	s_or_b64 exec, exec, s[2:3]
	s_mov_b32 s2, -1
	s_mov_b32 s3, 0xffffff
	v_cmp_lt_u64_e32 vcc, s[2:3], v[22:23]
	v_mov_b32_e32 v28, 0
	v_mov_b32_e32 v26, 0
	s_and_saveexec_b64 s[2:3], vcc
	s_cbranch_execz .LBB385_352
; %bb.347:
	v_lshrrev_b32_e32 v22, 24, v23
	s_movk_i32 s8, 0x80
	v_cmp_ne_u32_e32 vcc, s8, v22
	v_bfrev_b32_e32 v26, 1
	s_and_saveexec_b64 s[8:9], vcc
	s_cbranch_execz .LBB385_351
; %bb.348:
	v_bfe_u32 v23, v23, 24, 7
	s_movk_i32 s11, 0x7f
	v_cmp_ne_u32_e32 vcc, s11, v23
	v_mov_b32_e32 v26, 0x7f800001
	s_and_saveexec_b64 s[20:21], vcc
	s_cbranch_execz .LBB385_350
; %bb.349:
	v_and_b32_e32 v26, 7, v22
	v_ffbh_u32_e32 v36, v26
	v_min_u32_e32 v38, 32, v36
	v_subrev_u32_e32 v36, 28, v38
	v_lshlrev_b64 v[36:37], v36, v[22:23]
	v_lshrrev_b32_e32 v35, 3, v23
	v_sub_u32_e32 v37, 29, v38
	v_and_b32_e32 v36, 7, v36
	v_cmp_gt_u32_e32 vcc, 8, v23
	v_cndmask_b32_e32 v23, v35, v37, vcc
	v_cndmask_b32_e32 v26, v26, v36, vcc
	v_lshlrev_b32_e32 v22, 24, v22
	v_bfrev_b32_e32 v35, 60
	v_lshlrev_b32_e32 v26, 20, v26
	v_and_b32_e32 v22, 0x80000000, v22
	v_lshl_add_u32 v23, v23, 23, v35
	v_or3_b32 v26, v22, v23, v26
.LBB385_350:
	s_or_b64 exec, exec, s[20:21]
.LBB385_351:
	s_or_b64 exec, exec, s[8:9]
.LBB385_352:
	s_or_b64 exec, exec, s[2:3]
	v_cvt_pkrtz_f16_f32 v22, v30, v31
	v_cvt_pkrtz_f16_f32 v23, v29, v32
	;; [unrolled: 1-line block ×4, first 2 shown]
	v_mfma_f32_4x4x4f16 a[0:3], v[18:19], v[22:23], a[0:3] cbsz:4 abid:6
	v_cmp_ne_u16_sdwa s[8:9], v24, v28 src0_sel:BYTE_0 src1_sel:DWORD
	v_mfma_f32_4x4x4f16 a[0:3], v[20:21], v[30:31], a[0:3] cbsz:4 abid:6
	s_and_saveexec_b64 s[2:3], s[8:9]
	s_cbranch_execz .LBB385_358
; %bb.353:
	s_movk_i32 s8, 0x80
	v_cmp_ne_u16_sdwa s[20:21], v24, s8 src0_sel:BYTE_0 src1_sel:DWORD
	v_bfrev_b32_e32 v28, 1
	s_and_saveexec_b64 s[8:9], s[20:21]
	s_cbranch_execz .LBB385_357
; %bb.354:
	s_movk_i32 s11, 0x7f
	v_and_b32_e32 v22, 0x7f, v24
	v_cmp_ne_u32_e32 vcc, s11, v22
	v_mov_b32_e32 v28, 0x7f800001
	s_and_saveexec_b64 s[20:21], vcc
	s_cbranch_execz .LBB385_356
; %bb.355:
	v_and_b32_e32 v23, 7, v24
	v_ffbh_u32_e32 v23, v23
	v_min_u32_e32 v23, 32, v23
	v_subrev_u32_e32 v27, 28, v23
	v_cmp_gt_u32_e32 vcc, 8, v22
	v_lshrrev_b32_e32 v26, 3, v22
	v_sub_u32_e32 v23, 29, v23
	v_cndmask_b32_e32 v22, 0, v27, vcc
	v_cndmask_b32_e32 v26, v26, v23, vcc
	v_lshlrev_b64 v[22:23], v22, v[24:25]
	v_lshlrev_b32_e32 v22, 20, v22
	v_lshlrev_b32_e32 v23, 24, v24
	v_bfrev_b32_e32 v27, 60
	v_and_b32_e32 v22, 0x700000, v22
	v_and_b32_e32 v23, 0x80000000, v23
	v_lshl_add_u32 v26, v26, 23, v27
	v_or3_b32 v28, v23, v26, v22
.LBB385_356:
	s_or_b64 exec, exec, s[20:21]
.LBB385_357:
	s_or_b64 exec, exec, s[8:9]
.LBB385_358:
	s_or_b64 exec, exec, s[2:3]
	v_lshrrev_b16_e32 v22, 8, v24
	v_cmp_ne_u16_e32 vcc, 0, v22
	v_mov_b32_e32 v27, 0
	v_mov_b32_e32 v29, 0
	s_and_saveexec_b64 s[2:3], vcc
	s_cbranch_execz .LBB385_364
; %bb.359:
	s_movk_i32 s8, 0x80
	v_cmp_ne_u16_e32 vcc, s8, v22
	v_bfrev_b32_e32 v29, 1
	s_and_saveexec_b64 s[8:9], vcc
	s_cbranch_execz .LBB385_363
; %bb.360:
	s_movk_i32 s11, 0x7f
	v_and_b32_e32 v23, 0x7f, v22
	v_cmp_ne_u32_e32 vcc, s11, v23
	v_mov_b32_e32 v29, 0x7f800001
	s_and_saveexec_b64 s[20:21], vcc
	s_cbranch_execz .LBB385_362
; %bb.361:
	v_and_b32_e32 v26, 7, v22
	v_ffbh_u32_e32 v30, v26
	v_min_u32_e32 v32, 32, v30
	v_subrev_u32_e32 v30, 28, v32
	v_lshlrev_b64 v[30:31], v30, v[22:23]
	v_lshrrev_b32_e32 v29, 3, v23
	v_sub_u32_e32 v22, 29, v32
	v_and_b32_e32 v30, 7, v30
	v_cmp_gt_u32_e32 vcc, 8, v23
	v_cndmask_b32_e32 v22, v29, v22, vcc
	v_cndmask_b32_e32 v23, v26, v30, vcc
	v_lshlrev_b32_e32 v26, 16, v24
	v_bfrev_b32_e32 v29, 60
	v_lshlrev_b32_e32 v23, 20, v23
	v_and_b32_e32 v26, 0x80000000, v26
	v_lshl_add_u32 v22, v22, 23, v29
	v_or3_b32 v29, v26, v22, v23
.LBB385_362:
	s_or_b64 exec, exec, s[20:21]
.LBB385_363:
	s_or_b64 exec, exec, s[8:9]
.LBB385_364:
	s_or_b64 exec, exec, s[2:3]
	s_movk_i32 s2, 0xff
	v_and_b32_sdwa v23, v24, s2 dst_sel:DWORD dst_unused:UNUSED_PAD src0_sel:WORD_1 src1_sel:DWORD
	v_lshrrev_b32_e32 v22, 16, v24
	v_cmp_ne_u16_e32 vcc, 0, v23
	s_and_saveexec_b64 s[2:3], vcc
	s_cbranch_execz .LBB385_370
; %bb.365:
	s_movk_i32 s8, 0x80
	v_cmp_ne_u16_e32 vcc, s8, v23
	v_bfrev_b32_e32 v27, 1
	s_and_saveexec_b64 s[8:9], vcc
	s_cbranch_execz .LBB385_369
; %bb.366:
	v_bfe_u32 v23, v24, 16, 7
	s_movk_i32 s11, 0x7f
	v_cmp_ne_u32_e32 vcc, s11, v23
	v_mov_b32_e32 v27, 0x7f800001
	s_and_saveexec_b64 s[20:21], vcc
	s_cbranch_execz .LBB385_368
; %bb.367:
	v_and_b32_e32 v30, 7, v22
	v_ffbh_u32_e32 v26, v30
	v_min_u32_e32 v32, 32, v26
	v_subrev_u32_e32 v26, 28, v32
	v_lshlrev_b64 v[26:27], v26, v[22:23]
	v_and_b32_e32 v26, 7, v26
	v_cmp_gt_u32_e32 vcc, 8, v23
	v_lshrrev_b32_e32 v31, 3, v23
	v_sub_u32_e32 v22, 29, v32
	v_cndmask_b32_e32 v23, v30, v26, vcc
	v_mov_b32_e32 v26, 24
	v_cndmask_b32_e32 v22, v31, v22, vcc
	v_lshlrev_b32_sdwa v26, v26, v24 dst_sel:DWORD dst_unused:UNUSED_PAD src0_sel:DWORD src1_sel:WORD_1
	v_bfrev_b32_e32 v27, 60
	v_lshlrev_b32_e32 v23, 20, v23
	v_and_b32_e32 v26, 0x80000000, v26
	v_lshl_add_u32 v22, v22, 23, v27
	v_or3_b32 v27, v26, v22, v23
.LBB385_368:
	s_or_b64 exec, exec, s[20:21]
.LBB385_369:
	s_or_b64 exec, exec, s[8:9]
.LBB385_370:
	s_or_b64 exec, exec, s[2:3]
	s_mov_b32 s2, 0xffffff
	v_cmp_lt_u32_e32 vcc, s2, v24
	v_mov_b32_e32 v23, 0
	v_mov_b32_e32 v30, 0
	s_and_saveexec_b64 s[2:3], vcc
	s_cbranch_execz .LBB385_376
; %bb.371:
	v_lshrrev_b32_e32 v22, 24, v24
	s_movk_i32 s8, 0x80
	v_cmp_ne_u32_e32 vcc, s8, v22
	v_bfrev_b32_e32 v30, 1
	s_and_saveexec_b64 s[8:9], vcc
	s_cbranch_execz .LBB385_375
; %bb.372:
	v_bfe_u32 v26, v24, 24, 7
	s_movk_i32 s11, 0x7f
	v_cmp_ne_u32_e32 vcc, s11, v26
	v_mov_b32_e32 v30, 0x7f800001
	s_and_saveexec_b64 s[20:21], vcc
	s_cbranch_execz .LBB385_374
; %bb.373:
	v_and_b32_e32 v32, 7, v22
	v_ffbh_u32_e32 v30, v32
	v_min_u32_e32 v34, 32, v30
	v_subrev_u32_e32 v30, 28, v34
	v_lshlrev_b64 v[30:31], v30, v[22:23]
	v_lshrrev_b32_e32 v33, 3, v26
	v_sub_u32_e32 v31, 29, v34
	v_and_b32_e32 v30, 7, v30
	v_cmp_gt_u32_e32 vcc, 8, v26
	v_cndmask_b32_e32 v26, v33, v31, vcc
	v_cndmask_b32_e32 v30, v32, v30, vcc
	v_lshlrev_b32_e32 v22, 24, v22
	v_bfrev_b32_e32 v31, 60
	v_lshlrev_b32_e32 v30, 20, v30
	v_and_b32_e32 v22, 0x80000000, v22
	v_lshl_add_u32 v26, v26, 23, v31
	v_or3_b32 v30, v22, v26, v30
.LBB385_374:
	s_or_b64 exec, exec, s[20:21]
.LBB385_375:
	s_or_b64 exec, exec, s[8:9]
.LBB385_376:
	s_or_b64 exec, exec, s[2:3]
	v_mov_b32_e32 v22, v25
	v_cmp_ne_u16_sdwa s[8:9], v25, v23 src0_sel:BYTE_0 src1_sel:DWORD
	s_and_saveexec_b64 s[2:3], s[8:9]
	s_cbranch_execz .LBB385_382
; %bb.377:
	s_movk_i32 s8, 0x80
	v_cmp_ne_u16_sdwa s[20:21], v25, s8 src0_sel:BYTE_0 src1_sel:DWORD
	v_bfrev_b32_e32 v26, 1
	s_and_saveexec_b64 s[8:9], s[20:21]
	s_cbranch_execz .LBB385_381
; %bb.378:
	s_movk_i32 s11, 0x7f
	v_and_b32_e32 v31, 0x7f, v25
	v_cmp_ne_u32_e32 vcc, s11, v31
	v_mov_b32_e32 v26, 0x7f800001
	s_and_saveexec_b64 s[20:21], vcc
	s_cbranch_execz .LBB385_380
; %bb.379:
	v_and_b32_e32 v26, 7, v25
	v_ffbh_u32_e32 v26, v26
	v_min_u32_e32 v26, 32, v26
	v_subrev_u32_e32 v33, 28, v26
	v_cmp_gt_u32_e32 vcc, 8, v31
	v_lshrrev_b32_e32 v32, 3, v31
	v_sub_u32_e32 v26, 29, v26
	v_cndmask_b32_e32 v31, 0, v33, vcc
	v_cndmask_b32_e32 v26, v32, v26, vcc
	v_lshlrev_b64 v[32:33], v31, v[22:23]
	v_lshlrev_b32_e32 v23, 20, v32
	v_lshlrev_b32_e32 v31, 24, v22
	v_bfrev_b32_e32 v32, 60
	v_and_b32_e32 v23, 0x700000, v23
	v_and_b32_e32 v31, 0x80000000, v31
	v_lshl_add_u32 v26, v26, 23, v32
	v_or3_b32 v26, v31, v26, v23
.LBB385_380:
	s_or_b64 exec, exec, s[20:21]
.LBB385_381:
	s_or_b64 exec, exec, s[8:9]
	v_mov_b32_e32 v23, v26
.LBB385_382:
	s_or_b64 exec, exec, s[2:3]
	v_lshrrev_b16_e32 v26, 8, v22
	v_cmp_ne_u16_e32 vcc, 0, v26
	v_mov_b32_e32 v31, 0
	v_mov_b32_e32 v32, 0
	s_and_saveexec_b64 s[2:3], vcc
	s_cbranch_execz .LBB385_388
; %bb.383:
	s_movk_i32 s8, 0x80
	v_cmp_ne_u16_e32 vcc, s8, v26
	v_bfrev_b32_e32 v32, 1
	s_and_saveexec_b64 s[8:9], vcc
	s_cbranch_execz .LBB385_387
; %bb.384:
	s_movk_i32 s11, 0x7f
	v_and_b32_e32 v33, 0x7f, v26
	v_cmp_ne_u32_e32 vcc, s11, v33
	v_mov_b32_e32 v32, 0x7f800001
	s_and_saveexec_b64 s[20:21], vcc
	s_cbranch_execz .LBB385_386
; %bb.385:
	v_and_b32_e32 v32, 7, v26
	v_ffbh_u32_e32 v34, v32
	v_min_u32_e32 v37, 32, v34
	v_subrev_u32_e32 v34, 28, v37
	v_lshlrev_b64 v[34:35], v34, v[26:27]
	v_lshrrev_b32_e32 v36, 3, v33
	v_sub_u32_e32 v26, 29, v37
	v_and_b32_e32 v34, 7, v34
	v_cmp_gt_u32_e32 vcc, 8, v33
	v_cndmask_b32_e32 v26, v36, v26, vcc
	v_cndmask_b32_e32 v32, v32, v34, vcc
	v_lshlrev_b32_e32 v22, 16, v22
	v_bfrev_b32_e32 v33, 60
	v_lshlrev_b32_e32 v32, 20, v32
	v_and_b32_e32 v22, 0x80000000, v22
	v_lshl_add_u32 v26, v26, 23, v33
	v_or3_b32 v32, v22, v26, v32
.LBB385_386:
	s_or_b64 exec, exec, s[20:21]
.LBB385_387:
	s_or_b64 exec, exec, s[8:9]
.LBB385_388:
	s_or_b64 exec, exec, s[2:3]
	s_movk_i32 s2, 0xff
	v_and_b32_sdwa v26, v25, s2 dst_sel:DWORD dst_unused:UNUSED_PAD src0_sel:WORD_1 src1_sel:DWORD
	v_lshrrev_b32_e32 v22, 16, v25
	v_cmp_ne_u16_e32 vcc, 0, v26
	s_and_saveexec_b64 s[2:3], vcc
	s_cbranch_execz .LBB385_394
; %bb.389:
	s_movk_i32 s8, 0x80
	v_cmp_ne_u16_e32 vcc, s8, v26
	v_bfrev_b32_e32 v31, 1
	s_and_saveexec_b64 s[8:9], vcc
	s_cbranch_execz .LBB385_393
; %bb.390:
	v_bfe_u32 v26, v25, 16, 7
	s_movk_i32 s11, 0x7f
	v_cmp_ne_u32_e32 vcc, s11, v26
	v_mov_b32_e32 v31, 0x7f800001
	s_and_saveexec_b64 s[20:21], vcc
	s_cbranch_execz .LBB385_392
; %bb.391:
	v_and_b32_e32 v31, 7, v22
	v_ffbh_u32_e32 v34, v31
	v_min_u32_e32 v36, 32, v34
	v_subrev_u32_e32 v34, 28, v36
	v_lshlrev_b64 v[34:35], v34, v[22:23]
	v_and_b32_e32 v34, 7, v34
	v_cmp_gt_u32_e32 vcc, 8, v26
	v_lshrrev_b32_e32 v33, 3, v26
	v_sub_u32_e32 v22, 29, v36
	v_cndmask_b32_e32 v26, v31, v34, vcc
	v_mov_b32_e32 v31, 24
	v_cndmask_b32_e32 v22, v33, v22, vcc
	v_lshlrev_b32_sdwa v31, v31, v25 dst_sel:DWORD dst_unused:UNUSED_PAD src0_sel:DWORD src1_sel:WORD_1
	v_bfrev_b32_e32 v33, 60
	v_lshlrev_b32_e32 v26, 20, v26
	v_and_b32_e32 v31, 0x80000000, v31
	v_lshl_add_u32 v22, v22, 23, v33
	v_or3_b32 v31, v31, v22, v26
.LBB385_392:
	s_or_b64 exec, exec, s[20:21]
.LBB385_393:
	s_or_b64 exec, exec, s[8:9]
.LBB385_394:
	s_or_b64 exec, exec, s[2:3]
	s_mov_b32 s2, -1
	s_mov_b32 s3, 0xffffff
	v_cmp_lt_u64_e32 vcc, s[2:3], v[24:25]
	v_mov_b32_e32 v24, 0
	s_and_saveexec_b64 s[2:3], vcc
	s_cbranch_execz .LBB385_400
; %bb.395:
	v_lshrrev_b32_e32 v22, 24, v25
	s_movk_i32 s8, 0x80
	v_cmp_ne_u32_e32 vcc, s8, v22
	v_bfrev_b32_e32 v24, 1
	s_and_saveexec_b64 s[8:9], vcc
	s_cbranch_execz .LBB385_399
; %bb.396:
	v_bfe_u32 v25, v25, 24, 7
	s_movk_i32 s11, 0x7f
	v_cmp_ne_u32_e32 vcc, s11, v25
	v_mov_b32_e32 v24, 0x7f800001
	s_and_saveexec_b64 s[20:21], vcc
	s_cbranch_execz .LBB385_398
; %bb.397:
	v_and_b32_e32 v24, 7, v22
	v_ffbh_u32_e32 v33, v24
	v_min_u32_e32 v33, 32, v33
	v_subrev_u32_e32 v34, 28, v33
	v_lshlrev_b64 v[34:35], v34, v[22:23]
	v_lshrrev_b32_e32 v26, 3, v25
	v_sub_u32_e32 v33, 29, v33
	v_and_b32_e32 v34, 7, v34
	v_cmp_gt_u32_e32 vcc, 8, v25
	v_cndmask_b32_e32 v25, v26, v33, vcc
	v_cndmask_b32_e32 v24, v24, v34, vcc
	v_lshlrev_b32_e32 v22, 24, v22
	v_bfrev_b32_e32 v26, 60
	v_lshlrev_b32_e32 v24, 20, v24
	v_and_b32_e32 v22, 0x80000000, v22
	v_lshl_add_u32 v25, v25, 23, v26
	v_or3_b32 v24, v22, v25, v24
.LBB385_398:
	s_or_b64 exec, exec, s[20:21]
.LBB385_399:
	s_or_b64 exec, exec, s[8:9]
.LBB385_400:
	s_or_b64 exec, exec, s[2:3]
	s_load_dword s2, s[4:5], 0x1c
	v_cvt_pkrtz_f16_f32 v26, v28, v29
	v_cvt_pkrtz_f16_f32 v27, v27, v30
	s_load_dword s3, s[12:13], 0x0
	v_cvt_pkrtz_f16_f32 v22, v23, v32
	v_mfma_f32_4x4x4f16 a[0:3], v[18:19], v[26:27], a[0:3] cbsz:4 abid:7
	v_cvt_pkrtz_f16_f32 v23, v31, v24
	s_waitcnt lgkmcnt(0)
	v_mov_b32_e32 v18, s2
	v_cmp_eq_u32_e32 vcc, 0, v43
	v_mfma_f32_4x4x4f16 a[0:3], v[20:21], v[22:23], a[0:3] cbsz:4 abid:7
	v_mul_f32_e32 v20, s3, v18
	v_mov_b32_e32 v25, 0xff7fffff
	s_nop 2
	v_accvgpr_read_b32 v23, a1
	v_accvgpr_read_b32 v22, a0
	v_pk_mul_f32 v[22:23], v[22:23], v[20:21] op_sel_hi:[1,0]
	v_accvgpr_read_b32 v19, a3
	v_accvgpr_read_b32 v18, a2
	v_pk_mul_f32 v[18:19], v[18:19], v[20:21] op_sel_hi:[1,0]
	v_cndmask_b32_e64 v20, 0, 1.0, vcc
	v_cmp_eq_u32_e32 vcc, 1, v43
	s_nop 0
	v_mfma_f32_4x4x1f32 a[0:3], v22, v20, 0
	v_cndmask_b32_e64 v20, 0, 1.0, vcc
	v_cmp_eq_u32_e32 vcc, 2, v43
	s_nop 0
	v_mfma_f32_4x4x1f32 a[0:3], v23, v20, a[0:3]
	;; [unrolled: 4-line block ×3, first 2 shown]
	v_cndmask_b32_e64 v18, 0, 1.0, vcc
	s_nop 1
	v_mfma_f32_4x4x1f32 a[0:3], v19, v18, a[0:3]
	v_and_b32_e32 v18, -4, v44
	v_subrev_u32_e32 v19, s7, v18
	v_add_u32_e32 v20, 1, v19
	v_cvt_f32_i32_e32 v20, v20
	v_add_u32_e32 v21, 2, v19
	v_cvt_f32_i32_e32 v21, v21
	v_accvgpr_read_b32 v22, a0
	v_fma_f32 v20, v45, v20, v22
	v_accvgpr_read_b32 v22, a1
	v_fma_f32 v21, v45, v21, v22
	v_add_u32_e32 v22, 3, v19
	v_cvt_f32_i32_e32 v22, v22
	v_add_u32_e32 v19, 4, v19
	v_max_f32_e32 v24, 0xff7fffff, v20
	v_cmp_gt_i32_e32 vcc, s7, v18
	v_cvt_f32_i32_e32 v19, v19
	v_cndmask_b32_e32 v24, v25, v24, vcc
	v_or_b32_e32 v25, 1, v18
	v_accvgpr_read_b32 v23, a2
	v_max_f32_e32 v26, v24, v21
	v_cmp_gt_i32_e64 s[2:3], s7, v25
	v_fma_f32 v22, v45, v22, v23
	v_cndmask_b32_e64 v24, v24, v26, s[2:3]
	v_or_b32_e32 v18, 2, v18
	v_accvgpr_read_b32 v23, a3
	v_max_f32_e32 v25, v24, v22
	v_cmp_gt_i32_e64 s[4:5], s7, v18
	v_fmac_f32_e32 v23, v45, v19
	v_cndmask_b32_e64 v18, v24, v25, s[4:5]
	v_or_b32_e32 v24, 3, v44
	v_max_f32_e32 v25, v18, v23
	v_cmp_gt_i32_e64 s[8:9], s7, v24
	v_lshlrev_b32_e32 v19, 2, v0
	v_cndmask_b32_e64 v18, v18, v25, s[8:9]
	v_and_or_b32 v19, v19, 48, v43
	;;#ASMSTART
	v_nop
 v_nop
 v_max_f32_dpp v18, v18, v18 row_ror:4
	;;#ASMEND
	v_lshlrev_b32_e32 v24, 2, v19
	;;#ASMSTART
	v_nop
 v_nop
 v_max_f32_dpp v18, v18, v18 row_ror:8
	;;#ASMEND
	ds_bpermute_b32 v18, v24, v18
	s_waitcnt lgkmcnt(0)
	;;#ASMSTART
	v_nop
 v_nop
 v_max_f32_dpp v18, v18, v18 row_ror:4
	;;#ASMEND
	;;#ASMSTART
	v_nop
 v_nop
 v_max_f32_dpp v26, v18, v18 row_ror:8
	;;#ASMEND
	v_sub_f32_e32 v18, v20, v26
	v_mul_f32_e32 v18, 0x3fb8aa3b, v18
	v_sub_f32_e32 v19, v21, v26
	v_exp_f32_e32 v18, v18
	v_mul_f32_e32 v19, 0x3fb8aa3b, v19
	v_sub_f32_e32 v21, v22, v26
	v_exp_f32_e32 v19, v19
	;; [unrolled: 3-line block ×3, first 2 shown]
	v_mul_f32_e32 v22, 0x3fb8aa3b, v22
	v_exp_f32_e32 v22, v22
	v_cndmask_b32_e32 v18, 0, v18, vcc
	v_add_f32_e32 v20, 0, v18
	v_cndmask_b32_e64 v19, 0, v19, s[2:3]
	v_add_f32_e32 v23, v20, v19
	v_cndmask_b32_e64 v20, 0, v21, s[4:5]
	;; [unrolled: 2-line block ×3, first 2 shown]
	v_add_f32_e32 v22, v23, v21
	;;#ASMSTART
	v_nop
 v_nop
 v_add_f32_dpp v22, v22, v22 row_ror:4
	;;#ASMEND
	;;#ASMSTART
	v_nop
 v_nop
 v_add_f32_dpp v22, v22, v22 row_ror:8
	;;#ASMEND
	ds_bpermute_b32 v22, v24, v22
	s_waitcnt lgkmcnt(0)
	;;#ASMSTART
	v_nop
 v_nop
 v_add_f32_dpp v22, v22, v22 row_ror:4
	;;#ASMEND
	v_cmp_gt_u32_e32 vcc, 4, v1
	;;#ASMSTART
	v_nop
 v_nop
 v_add_f32_dpp v22, v22, v22 row_ror:8
	;;#ASMEND
	s_and_saveexec_b64 s[2:3], vcc
	s_cbranch_execz .LBB385_402
; %bb.401:
	v_mul_u32_u24_e32 v23, 20, v42
	v_lshl_add_u32 v23, v43, 2, v23
	v_add_u32_e32 v23, 0x800, v23
	ds_write2_b32 v23, v26, v22 offset0:128 offset1:148
.LBB385_402:
	s_or_b64 exec, exec, s[2:3]
.LBB385_403:
	s_or_b64 exec, exec, s[28:29]
	s_waitcnt lgkmcnt(0)
	s_barrier
	s_load_dword s2, s[26:27], 0x8
	v_lshlrev_b32_e32 v22, 2, v43
	v_add_u32_e32 v30, 0x800, v22
	ds_read2_b32 v[22:23], v30 offset0:128 offset1:133
	ds_read2_b32 v[24:25], v30 offset0:138 offset1:143
	s_mul_i32 s3, s6, s33
	s_waitcnt lgkmcnt(0)
	s_mul_i32 s3, s3, s2
	s_lshl_b32 s2, s3, 1
	s_mov_b32 s3, 0xff7fffff
	v_max3_f32 v27, v22, s3, v23
	v_max3_f32 v27, v27, v24, v25
	v_sub_f32_e32 v22, v22, v27
	v_mul_f32_e32 v22, 0x3fb8aa3b, v22
	ds_read2_b32 v[28:29], v30 offset0:148 offset1:153
	v_exp_f32_e32 v31, v22
	v_sub_f32_e32 v22, v23, v27
	v_mul_f32_e32 v22, 0x3fb8aa3b, v22
	v_sub_f32_e32 v24, v24, v27
	v_exp_f32_e32 v32, v22
	ds_read2_b32 v[22:23], v30 offset0:158 offset1:163
	v_mul_f32_e32 v24, 0x3fb8aa3b, v24
	v_sub_f32_e32 v25, v25, v27
	v_exp_f32_e32 v24, v24
	v_mul_f32_e32 v25, 0x3fb8aa3b, v25
	v_exp_f32_e32 v25, v25
	s_waitcnt lgkmcnt(1)
	v_fma_f32 v28, v31, v28, 0
	v_fmac_f32_e32 v28, v32, v29
	s_waitcnt lgkmcnt(0)
	v_fmac_f32_e32 v28, v24, v22
	v_fmac_f32_e32 v28, v25, v23
	v_cmp_gt_u32_e32 vcc, 2, v43
	s_and_saveexec_b64 s[4:5], vcc
	s_cbranch_execz .LBB385_405
; %bb.404:
	s_mov_b32 s3, 0
	s_lshl_b64 s[6:7], s[2:3], 2
	s_add_u32 s12, s16, s6
	s_mov_b32 s11, s3
	s_addc_u32 s13, s17, s7
	s_lshl_b64 s[8:9], s[10:11], 2
	s_add_u32 s3, s12, s8
	s_addc_u32 s11, s13, s9
	v_or_b32_e32 v22, s38, v43
	s_add_u32 s6, s18, s6
	v_mul_lo_u32 v22, s33, v22
	v_mov_b32_e32 v23, 0
	s_addc_u32 s7, s19, s7
	v_lshlrev_b64 v[22:23], 2, v[22:23]
	s_add_u32 s6, s6, s8
	v_mov_b32_e32 v25, s11
	v_add_co_u32_e32 v24, vcc, s3, v22
	s_addc_u32 s7, s7, s9
	v_addc_co_u32_e32 v25, vcc, v25, v23, vcc
	v_mov_b32_e32 v29, s7
	v_add_co_u32_e32 v22, vcc, s6, v22
	v_addc_co_u32_e32 v23, vcc, v29, v23, vcc
	global_store_dword v[22:23], v27, off
	global_store_dword v[24:25], v28, off
.LBB385_405:
	s_or_b64 exec, exec, s[4:5]
	v_lshlrev_b32_e32 v25, 3, v42
	s_and_saveexec_b64 s[4:5], s[0:1]
	s_xor_b64 s[0:1], exec, s[4:5]
	s_cbranch_execz .LBB385_407
; %bb.406:
	s_waitcnt vmcnt(0)
	v_mov_b32_e32 v2, 0
	v_mad_u32_u24 v4, v1, 40, v25
	v_mov_b32_e32 v3, v2
	ds_write_b64 v4, v[2:3]
                                        ; implicit-def: $vgpr21
                                        ; implicit-def: $vgpr19
                                        ; implicit-def: $vgpr26
                                        ; implicit-def: $vgpr14_vgpr15
                                        ; implicit-def: $vgpr10_vgpr11
                                        ; implicit-def: $vgpr6_vgpr7
                                        ; implicit-def: $vgpr2_vgpr3
                                        ; implicit-def: $vgpr27
                                        ; implicit-def: $vgpr28
                                        ; implicit-def: $vgpr25
.LBB385_407:
	s_andn2_saveexec_b64 s[0:1], s[0:1]
	s_cbranch_execz .LBB385_793
; %bb.408:
	v_mov_b32_e32 v29, 0
	s_waitcnt vmcnt(3)
	v_cmp_ne_u16_sdwa s[6:7], v14, v29 src0_sel:BYTE_0 src1_sel:DWORD
	v_mov_b32_e32 v30, 0
	s_and_saveexec_b64 s[4:5], s[6:7]
	s_cbranch_execz .LBB385_414
; %bb.409:
	s_movk_i32 s3, 0x80
	v_cmp_ne_u16_sdwa s[8:9], v14, s3 src0_sel:BYTE_0 src1_sel:DWORD
	v_bfrev_b32_e32 v30, 1
	s_and_saveexec_b64 s[6:7], s[8:9]
	s_cbranch_execz .LBB385_413
; %bb.410:
	s_movk_i32 s3, 0x7f
	v_and_b32_e32 v22, 0x7f, v14
	v_cmp_ne_u32_e32 vcc, s3, v22
	v_mov_b32_e32 v30, 0x7f800001
	s_and_saveexec_b64 s[8:9], vcc
	s_cbranch_execz .LBB385_412
; %bb.411:
	v_and_b32_e32 v23, 7, v14
	v_ffbh_u32_e32 v23, v23
	v_min_u32_e32 v23, 32, v23
	v_subrev_u32_e32 v30, 28, v23
	v_cmp_gt_u32_e32 vcc, 8, v22
	v_lshrrev_b32_e32 v24, 3, v22
	v_sub_u32_e32 v23, 29, v23
	v_cndmask_b32_e32 v22, 0, v30, vcc
	v_cndmask_b32_e32 v24, v24, v23, vcc
	v_lshlrev_b64 v[22:23], v22, v[14:15]
	v_lshlrev_b32_e32 v22, 20, v22
	v_lshlrev_b32_e32 v23, 24, v14
	v_bfrev_b32_e32 v30, 60
	v_and_b32_e32 v22, 0x700000, v22
	v_and_b32_e32 v23, 0x80000000, v23
	v_lshl_add_u32 v24, v24, 23, v30
	v_or3_b32 v30, v23, v24, v22
.LBB385_412:
	s_or_b64 exec, exec, s[8:9]
.LBB385_413:
	s_or_b64 exec, exec, s[6:7]
.LBB385_414:
	s_or_b64 exec, exec, s[4:5]
	v_lshrrev_b16_e32 v22, 8, v14
	v_cmp_ne_u16_e32 vcc, 0, v22
	s_and_saveexec_b64 s[4:5], vcc
	s_cbranch_execz .LBB385_420
; %bb.415:
	s_movk_i32 s3, 0x80
	v_cmp_ne_u16_e32 vcc, s3, v22
	v_bfrev_b32_e32 v29, 1
	s_and_saveexec_b64 s[6:7], vcc
	s_cbranch_execz .LBB385_419
; %bb.416:
	s_movk_i32 s3, 0x7f
	v_and_b32_e32 v23, 0x7f, v22
	v_cmp_ne_u32_e32 vcc, s3, v23
	v_mov_b32_e32 v29, 0x7f800001
	s_and_saveexec_b64 s[8:9], vcc
	s_cbranch_execz .LBB385_418
; %bb.417:
	v_and_b32_e32 v24, 7, v22
	v_ffbh_u32_e32 v31, v24
	v_min_u32_e32 v31, 32, v31
	v_subrev_u32_e32 v32, 28, v31
	v_lshlrev_b64 v[32:33], v32, v[22:23]
	v_lshrrev_b32_e32 v29, 3, v23
	v_sub_u32_e32 v22, 29, v31
	v_and_b32_e32 v31, 7, v32
	v_cmp_gt_u32_e32 vcc, 8, v23
	v_cndmask_b32_e32 v22, v29, v22, vcc
	v_cndmask_b32_e32 v23, v24, v31, vcc
	v_lshlrev_b32_e32 v24, 16, v14
	v_bfrev_b32_e32 v29, 60
	v_lshlrev_b32_e32 v23, 20, v23
	v_and_b32_e32 v24, 0x80000000, v24
	v_lshl_add_u32 v22, v22, 23, v29
	v_or3_b32 v29, v24, v22, v23
.LBB385_418:
	s_or_b64 exec, exec, s[8:9]
.LBB385_419:
	s_or_b64 exec, exec, s[6:7]
.LBB385_420:
	s_or_b64 exec, exec, s[4:5]
	s_movk_i32 s3, 0xff
	v_and_b32_sdwa v23, v14, s3 dst_sel:DWORD dst_unused:UNUSED_PAD src0_sel:WORD_1 src1_sel:DWORD
	v_lshrrev_b32_e32 v22, 16, v14
	v_cmp_ne_u16_e32 vcc, 0, v23
	v_mov_b32_e32 v31, 0
	v_mov_b32_e32 v32, 0
	s_and_saveexec_b64 s[4:5], vcc
	s_cbranch_execz .LBB385_426
; %bb.421:
	s_movk_i32 s3, 0x80
	v_cmp_ne_u16_e32 vcc, s3, v23
	v_bfrev_b32_e32 v32, 1
	s_and_saveexec_b64 s[6:7], vcc
	s_cbranch_execz .LBB385_425
; %bb.422:
	v_bfe_u32 v23, v14, 16, 7
	s_movk_i32 s3, 0x7f
	v_cmp_ne_u32_e32 vcc, s3, v23
	v_mov_b32_e32 v32, 0x7f800001
	s_and_saveexec_b64 s[8:9], vcc
	s_cbranch_execz .LBB385_424
; %bb.423:
	v_and_b32_e32 v24, 7, v22
	v_ffbh_u32_e32 v32, v24
	v_min_u32_e32 v35, 32, v32
	v_subrev_u32_e32 v32, 28, v35
	v_lshlrev_b64 v[32:33], v32, v[22:23]
	v_and_b32_e32 v32, 7, v32
	v_cmp_gt_u32_e32 vcc, 8, v23
	v_lshrrev_b32_e32 v34, 3, v23
	v_sub_u32_e32 v22, 29, v35
	v_cndmask_b32_e32 v23, v24, v32, vcc
	v_mov_b32_e32 v24, 24
	v_cndmask_b32_e32 v22, v34, v22, vcc
	v_lshlrev_b32_sdwa v24, v24, v14 dst_sel:DWORD dst_unused:UNUSED_PAD src0_sel:DWORD src1_sel:WORD_1
	v_bfrev_b32_e32 v32, 60
	v_lshlrev_b32_e32 v23, 20, v23
	v_and_b32_e32 v24, 0x80000000, v24
	v_lshl_add_u32 v22, v22, 23, v32
	v_or3_b32 v32, v24, v22, v23
.LBB385_424:
	s_or_b64 exec, exec, s[8:9]
.LBB385_425:
	s_or_b64 exec, exec, s[6:7]
.LBB385_426:
	s_or_b64 exec, exec, s[4:5]
	s_mov_b32 s3, 0xffffff
	v_cmp_lt_u32_e32 vcc, s3, v14
	s_and_saveexec_b64 s[4:5], vcc
	s_cbranch_execz .LBB385_432
; %bb.427:
	v_lshrrev_b32_e32 v22, 24, v14
	s_movk_i32 s3, 0x80
	v_cmp_ne_u32_e32 vcc, s3, v22
	v_bfrev_b32_e32 v31, 1
	s_and_saveexec_b64 s[6:7], vcc
	s_cbranch_execz .LBB385_431
; %bb.428:
	v_bfe_u32 v23, v14, 24, 7
	s_movk_i32 s3, 0x7f
	v_cmp_ne_u32_e32 vcc, s3, v23
	v_mov_b32_e32 v31, 0x7f800001
	s_and_saveexec_b64 s[8:9], vcc
	s_cbranch_execz .LBB385_430
; %bb.429:
	v_and_b32_e32 v24, 7, v22
	v_ffbh_u32_e32 v33, v24
	v_min_u32_e32 v33, 32, v33
	v_subrev_u32_e32 v34, 28, v33
	v_lshlrev_b64 v[34:35], v34, v[22:23]
	v_lshrrev_b32_e32 v31, 3, v23
	v_sub_u32_e32 v33, 29, v33
	v_and_b32_e32 v34, 7, v34
	v_cmp_gt_u32_e32 vcc, 8, v23
	v_cndmask_b32_e32 v23, v31, v33, vcc
	v_cndmask_b32_e32 v24, v24, v34, vcc
	v_lshlrev_b32_e32 v22, 24, v22
	v_bfrev_b32_e32 v31, 60
	v_lshlrev_b32_e32 v24, 20, v24
	v_and_b32_e32 v22, 0x80000000, v22
	v_lshl_add_u32 v23, v23, 23, v31
	v_or3_b32 v31, v22, v23, v24
.LBB385_430:
	s_or_b64 exec, exec, s[8:9]
.LBB385_431:
	s_or_b64 exec, exec, s[6:7]
.LBB385_432:
	s_or_b64 exec, exec, s[4:5]
	v_mov_b32_e32 v23, 0
	v_mov_b32_e32 v22, v15
	v_cmp_ne_u16_sdwa s[6:7], v15, v23 src0_sel:BYTE_0 src1_sel:DWORD
	v_mov_b32_e32 v33, v23
	s_and_saveexec_b64 s[4:5], s[6:7]
	s_cbranch_execz .LBB385_438
; %bb.433:
	s_movk_i32 s3, 0x80
	v_cmp_ne_u16_sdwa s[8:9], v15, s3 src0_sel:BYTE_0 src1_sel:DWORD
	v_bfrev_b32_e32 v33, 1
	s_and_saveexec_b64 s[6:7], s[8:9]
	s_cbranch_execz .LBB385_437
; %bb.434:
	s_movk_i32 s3, 0x7f
	v_and_b32_e32 v24, 0x7f, v15
	v_cmp_ne_u32_e32 vcc, s3, v24
	v_mov_b32_e32 v33, 0x7f800001
	s_and_saveexec_b64 s[8:9], vcc
	s_cbranch_execz .LBB385_436
; %bb.435:
	v_and_b32_e32 v33, 7, v15
	v_ffbh_u32_e32 v33, v33
	v_min_u32_e32 v33, 32, v33
	v_lshrrev_b32_e32 v34, 3, v24
	v_subrev_u32_e32 v35, 28, v33
	v_sub_u32_e32 v33, 29, v33
	v_cmp_gt_u32_e32 vcc, 8, v24
	v_cndmask_b32_e32 v24, v34, v33, vcc
	v_cndmask_b32_e32 v33, 0, v35, vcc
	v_lshlrev_b64 v[34:35], v33, v[22:23]
	v_lshlrev_b32_e32 v33, 20, v34
	v_lshlrev_b32_e32 v34, 24, v22
	v_bfrev_b32_e32 v35, 60
	v_and_b32_e32 v33, 0x700000, v33
	v_and_b32_e32 v34, 0x80000000, v34
	v_lshl_add_u32 v24, v24, 23, v35
	v_or3_b32 v33, v34, v24, v33
.LBB385_436:
	s_or_b64 exec, exec, s[8:9]
.LBB385_437:
	s_or_b64 exec, exec, s[6:7]
.LBB385_438:
	s_or_b64 exec, exec, s[4:5]
	v_lshrrev_b16_e32 v24, 8, v22
	v_cmp_ne_u16_e32 vcc, 0, v24
	s_and_saveexec_b64 s[4:5], vcc
	s_cbranch_execz .LBB385_444
; %bb.439:
	s_movk_i32 s3, 0x80
	v_cmp_ne_u16_e32 vcc, s3, v24
	v_bfrev_b32_e32 v23, 1
	s_and_saveexec_b64 s[6:7], vcc
	s_cbranch_execz .LBB385_443
; %bb.440:
	s_movk_i32 s3, 0x7f
	v_and_b32_e32 v34, 0x7f, v24
	v_cmp_ne_u32_e32 vcc, s3, v34
	v_mov_b32_e32 v23, 0x7f800001
	s_and_saveexec_b64 s[8:9], vcc
	s_cbranch_execz .LBB385_442
; %bb.441:
	v_and_b32_e32 v23, 7, v24
	v_ffbh_u32_e32 v36, v23
	v_min_u32_e32 v38, 32, v36
	v_subrev_u32_e32 v36, 28, v38
	v_lshlrev_b64 v[36:37], v36, v[24:25]
	v_lshrrev_b32_e32 v35, 3, v34
	v_sub_u32_e32 v24, 29, v38
	v_and_b32_e32 v36, 7, v36
	v_cmp_gt_u32_e32 vcc, 8, v34
	v_cndmask_b32_e32 v24, v35, v24, vcc
	v_cndmask_b32_e32 v23, v23, v36, vcc
	v_lshlrev_b32_e32 v22, 16, v22
	v_bfrev_b32_e32 v34, 60
	v_lshlrev_b32_e32 v23, 20, v23
	v_and_b32_e32 v22, 0x80000000, v22
	v_lshl_add_u32 v24, v24, 23, v34
	v_or3_b32 v23, v22, v24, v23
.LBB385_442:
	s_or_b64 exec, exec, s[8:9]
.LBB385_443:
	s_or_b64 exec, exec, s[6:7]
.LBB385_444:
	s_or_b64 exec, exec, s[4:5]
	s_movk_i32 s3, 0xff
	v_and_b32_sdwa v35, v15, s3 dst_sel:DWORD dst_unused:UNUSED_PAD src0_sel:WORD_1 src1_sel:DWORD
	v_lshrrev_b32_e32 v22, 16, v15
	v_cmp_ne_u16_e32 vcc, 0, v35
	v_mov_b32_e32 v24, 0
	v_mov_b32_e32 v34, 0
	s_and_saveexec_b64 s[4:5], vcc
	s_cbranch_execz .LBB385_450
; %bb.445:
	s_movk_i32 s3, 0x80
	v_cmp_ne_u16_e32 vcc, s3, v35
	v_bfrev_b32_e32 v34, 1
	s_and_saveexec_b64 s[6:7], vcc
	s_cbranch_execz .LBB385_449
; %bb.446:
	v_bfe_u32 v35, v15, 16, 7
	s_movk_i32 s3, 0x7f
	v_cmp_ne_u32_e32 vcc, s3, v35
	v_mov_b32_e32 v34, 0x7f800001
	s_and_saveexec_b64 s[8:9], vcc
	s_cbranch_execz .LBB385_448
; %bb.447:
	v_and_b32_e32 v34, 7, v22
	v_ffbh_u32_e32 v36, v34
	v_min_u32_e32 v39, 32, v36
	v_subrev_u32_e32 v36, 28, v39
	v_lshlrev_b64 v[36:37], v36, v[22:23]
	v_lshrrev_b32_e32 v38, 3, v35
	v_sub_u32_e32 v22, 29, v39
	v_and_b32_e32 v36, 7, v36
	v_cmp_gt_u32_e32 vcc, 8, v35
	v_mov_b32_e32 v35, 24
	v_cndmask_b32_e32 v22, v38, v22, vcc
	v_cndmask_b32_e32 v34, v34, v36, vcc
	v_lshlrev_b32_sdwa v35, v35, v15 dst_sel:DWORD dst_unused:UNUSED_PAD src0_sel:DWORD src1_sel:WORD_1
	v_bfrev_b32_e32 v36, 60
	v_lshlrev_b32_e32 v34, 20, v34
	v_and_b32_e32 v35, 0x80000000, v35
	v_lshl_add_u32 v22, v22, 23, v36
	v_or3_b32 v34, v35, v22, v34
.LBB385_448:
	s_or_b64 exec, exec, s[8:9]
.LBB385_449:
	s_or_b64 exec, exec, s[6:7]
.LBB385_450:
	s_or_b64 exec, exec, s[4:5]
	s_mov_b32 s4, -1
	s_mov_b32 s5, 0xffffff
	v_cmp_lt_u64_e32 vcc, s[4:5], v[14:15]
	s_and_saveexec_b64 s[4:5], vcc
	s_cbranch_execz .LBB385_456
; %bb.451:
	v_lshrrev_b32_e32 v14, 24, v15
	s_movk_i32 s3, 0x80
	v_cmp_ne_u32_e32 vcc, s3, v14
	v_bfrev_b32_e32 v24, 1
	s_and_saveexec_b64 s[6:7], vcc
	s_cbranch_execz .LBB385_455
; %bb.452:
	v_bfe_u32 v15, v15, 24, 7
	s_movk_i32 s3, 0x7f
	v_cmp_ne_u32_e32 vcc, s3, v15
	v_mov_b32_e32 v24, 0x7f800001
	s_and_saveexec_b64 s[8:9], vcc
	s_cbranch_execz .LBB385_454
; %bb.453:
	v_and_b32_e32 v22, 7, v14
	v_ffbh_u32_e32 v35, v22
	v_min_u32_e32 v35, 32, v35
	v_subrev_u32_e32 v36, 28, v35
	v_lshlrev_b64 v[36:37], v36, v[14:15]
	v_lshrrev_b32_e32 v24, 3, v15
	v_sub_u32_e32 v35, 29, v35
	v_and_b32_e32 v36, 7, v36
	v_cmp_gt_u32_e32 vcc, 8, v15
	v_cndmask_b32_e32 v15, v24, v35, vcc
	v_cndmask_b32_e32 v22, v22, v36, vcc
	v_lshlrev_b32_e32 v14, 24, v14
	v_bfrev_b32_e32 v24, 60
	v_lshlrev_b32_e32 v22, 20, v22
	v_and_b32_e32 v14, 0x80000000, v14
	v_lshl_add_u32 v15, v15, 23, v24
	v_or3_b32 v24, v14, v15, v22
.LBB385_454:
	s_or_b64 exec, exec, s[8:9]
.LBB385_455:
	s_or_b64 exec, exec, s[6:7]
.LBB385_456:
	s_or_b64 exec, exec, s[4:5]
	v_add_f32_e32 v14, 0x358637bd, v28
	v_div_scale_f32 v15, s[4:5], v14, v14, 1.0
	v_rcp_f32_e32 v22, v15
	v_div_scale_f32 v28, vcc, 1.0, v14, 1.0
	v_sub_f32_e32 v26, v26, v27
	v_fma_f32 v35, -v15, v22, 1.0
	v_fmac_f32_e32 v22, v35, v22
	v_mul_f32_e32 v35, v28, v22
	v_fma_f32 v36, -v15, v35, v28
	v_mul_f32_e32 v26, 0x3fb8aa3b, v26
	v_fmac_f32_e32 v35, v36, v22
	v_exp_f32_e32 v26, v26
	v_fma_f32 v15, -v15, v35, v28
	v_div_fmas_f32 v15, v15, v22, v35
	v_div_fixup_f32 v14, v15, v14, 1.0
	v_mul_f32_e32 v14, v26, v14
	v_pk_mul_f32 v[20:21], v[20:21], v[14:15] op_sel_hi:[1,0]
	v_pk_mul_f32 v[14:15], v[18:19], v[14:15] op_sel_hi:[1,0]
	v_cvt_f16_f32_e32 v14, v14
	v_cvt_f16_f32_e32 v15, v15
	;; [unrolled: 1-line block ×4, first 2 shown]
	v_cvt_pkrtz_f16_f32 v22, v33, v23
	v_pack_b32_f16 v14, v14, v15
	v_cvt_pkrtz_f16_f32 v23, v34, v24
	v_pack_b32_f16 v15, v18, v19
	v_cvt_pkrtz_f16_f32 v18, v30, v29
	v_cvt_pkrtz_f16_f32 v19, v32, v31
	v_mov_b32_e32 v21, 0
	s_nop 0
	v_mfma_f32_4x4x4f16 a[0:3], v[14:15], v[18:19], 0 cbsz:4
	v_mfma_f32_4x4x4f16 a[0:3], v[14:15], v[22:23], a[0:3] cbsz:4 abid:1
	v_mov_b32_e32 v22, 0
	v_cmp_ne_u16_sdwa s[6:7], v16, v22 src0_sel:BYTE_0 src1_sel:DWORD
	s_and_saveexec_b64 s[4:5], s[6:7]
	s_cbranch_execz .LBB385_462
; %bb.457:
	s_movk_i32 s3, 0x80
	v_cmp_ne_u16_sdwa s[8:9], v16, s3 src0_sel:BYTE_0 src1_sel:DWORD
	v_bfrev_b32_e32 v21, 1
	s_and_saveexec_b64 s[6:7], s[8:9]
	s_cbranch_execz .LBB385_461
; %bb.458:
	s_movk_i32 s3, 0x7f
	v_and_b32_e32 v18, 0x7f, v16
	v_cmp_ne_u32_e32 vcc, s3, v18
	v_mov_b32_e32 v21, 0x7f800001
	s_and_saveexec_b64 s[8:9], vcc
	s_cbranch_execz .LBB385_460
; %bb.459:
	v_and_b32_e32 v19, 7, v16
	v_ffbh_u32_e32 v19, v19
	v_min_u32_e32 v19, 32, v19
	v_subrev_u32_e32 v21, 28, v19
	v_cmp_gt_u32_e32 vcc, 8, v18
	v_lshrrev_b32_e32 v20, 3, v18
	v_sub_u32_e32 v19, 29, v19
	v_cndmask_b32_e32 v18, 0, v21, vcc
	v_cndmask_b32_e32 v20, v20, v19, vcc
	v_lshlrev_b64 v[18:19], v18, v[16:17]
	v_lshlrev_b32_e32 v18, 20, v18
	v_lshlrev_b32_e32 v19, 24, v16
	v_bfrev_b32_e32 v21, 60
	v_and_b32_e32 v18, 0x700000, v18
	v_and_b32_e32 v19, 0x80000000, v19
	v_lshl_add_u32 v20, v20, 23, v21
	v_or3_b32 v21, v19, v20, v18
.LBB385_460:
	s_or_b64 exec, exec, s[8:9]
.LBB385_461:
	s_or_b64 exec, exec, s[6:7]
.LBB385_462:
	s_or_b64 exec, exec, s[4:5]
	v_lshrrev_b16_e32 v18, 8, v16
	v_cmp_ne_u16_e32 vcc, 0, v18
	v_mov_b32_e32 v23, 0
	s_and_saveexec_b64 s[4:5], vcc
	s_cbranch_execz .LBB385_468
; %bb.463:
	s_movk_i32 s3, 0x80
	v_cmp_ne_u16_e32 vcc, s3, v18
	v_bfrev_b32_e32 v23, 1
	s_and_saveexec_b64 s[6:7], vcc
	s_cbranch_execz .LBB385_467
; %bb.464:
	s_movk_i32 s3, 0x7f
	v_and_b32_e32 v19, 0x7f, v18
	v_cmp_ne_u32_e32 vcc, s3, v19
	v_mov_b32_e32 v23, 0x7f800001
	s_and_saveexec_b64 s[8:9], vcc
	s_cbranch_execz .LBB385_466
; %bb.465:
	v_and_b32_e32 v20, 7, v18
	v_ffbh_u32_e32 v24, v20
	v_min_u32_e32 v24, 32, v24
	v_subrev_u32_e32 v26, 28, v24
	v_lshlrev_b64 v[26:27], v26, v[18:19]
	v_lshrrev_b32_e32 v23, 3, v19
	v_sub_u32_e32 v18, 29, v24
	v_and_b32_e32 v24, 7, v26
	v_cmp_gt_u32_e32 vcc, 8, v19
	v_cndmask_b32_e32 v18, v23, v18, vcc
	v_cndmask_b32_e32 v19, v20, v24, vcc
	v_lshlrev_b32_e32 v20, 16, v16
	v_bfrev_b32_e32 v23, 60
	v_lshlrev_b32_e32 v19, 20, v19
	v_and_b32_e32 v20, 0x80000000, v20
	v_lshl_add_u32 v18, v18, 23, v23
	v_or3_b32 v23, v20, v18, v19
.LBB385_466:
	s_or_b64 exec, exec, s[8:9]
.LBB385_467:
	s_or_b64 exec, exec, s[6:7]
.LBB385_468:
	s_or_b64 exec, exec, s[4:5]
	s_movk_i32 s3, 0xff
	v_and_b32_sdwa v19, v16, s3 dst_sel:DWORD dst_unused:UNUSED_PAD src0_sel:WORD_1 src1_sel:DWORD
	v_lshrrev_b32_e32 v18, 16, v16
	v_cmp_ne_u16_e32 vcc, 0, v19
	s_and_saveexec_b64 s[4:5], vcc
	s_cbranch_execz .LBB385_474
; %bb.469:
	s_movk_i32 s3, 0x80
	v_cmp_ne_u16_e32 vcc, s3, v19
	v_bfrev_b32_e32 v22, 1
	s_and_saveexec_b64 s[6:7], vcc
	s_cbranch_execz .LBB385_473
; %bb.470:
	v_bfe_u32 v19, v16, 16, 7
	s_movk_i32 s3, 0x7f
	v_cmp_ne_u32_e32 vcc, s3, v19
	v_mov_b32_e32 v22, 0x7f800001
	s_and_saveexec_b64 s[8:9], vcc
	s_cbranch_execz .LBB385_472
; %bb.471:
	v_and_b32_e32 v20, 7, v18
	v_ffbh_u32_e32 v24, v20
	v_min_u32_e32 v24, 32, v24
	v_subrev_u32_e32 v26, 28, v24
	v_lshlrev_b64 v[26:27], v26, v[18:19]
	v_sub_u32_e32 v18, 29, v24
	v_and_b32_e32 v24, 7, v26
	v_cmp_gt_u32_e32 vcc, 8, v19
	v_lshrrev_b32_e32 v22, 3, v19
	v_cndmask_b32_e32 v19, v20, v24, vcc
	v_mov_b32_e32 v20, 24
	v_cndmask_b32_e32 v18, v22, v18, vcc
	v_lshlrev_b32_sdwa v20, v20, v16 dst_sel:DWORD dst_unused:UNUSED_PAD src0_sel:DWORD src1_sel:WORD_1
	v_bfrev_b32_e32 v22, 60
	v_lshlrev_b32_e32 v19, 20, v19
	v_and_b32_e32 v20, 0x80000000, v20
	v_lshl_add_u32 v18, v18, 23, v22
	v_or3_b32 v22, v20, v18, v19
.LBB385_472:
	s_or_b64 exec, exec, s[8:9]
.LBB385_473:
	s_or_b64 exec, exec, s[6:7]
.LBB385_474:
	s_or_b64 exec, exec, s[4:5]
	s_mov_b32 s3, 0xffffff
	v_cmp_lt_u32_e32 vcc, s3, v16
	v_mov_b32_e32 v19, 0
	v_mov_b32_e32 v24, 0
	s_and_saveexec_b64 s[4:5], vcc
	s_cbranch_execz .LBB385_480
; %bb.475:
	v_lshrrev_b32_e32 v18, 24, v16
	s_movk_i32 s3, 0x80
	v_cmp_ne_u32_e32 vcc, s3, v18
	v_bfrev_b32_e32 v24, 1
	s_and_saveexec_b64 s[6:7], vcc
	s_cbranch_execz .LBB385_479
; %bb.476:
	v_bfe_u32 v20, v16, 24, 7
	s_movk_i32 s3, 0x7f
	v_cmp_ne_u32_e32 vcc, s3, v20
	v_mov_b32_e32 v24, 0x7f800001
	s_and_saveexec_b64 s[8:9], vcc
	s_cbranch_execz .LBB385_478
; %bb.477:
	v_and_b32_e32 v24, 7, v18
	v_ffbh_u32_e32 v26, v24
	v_min_u32_e32 v29, 32, v26
	v_subrev_u32_e32 v26, 28, v29
	v_lshlrev_b64 v[26:27], v26, v[18:19]
	v_lshrrev_b32_e32 v28, 3, v20
	v_sub_u32_e32 v27, 29, v29
	v_and_b32_e32 v26, 7, v26
	v_cmp_gt_u32_e32 vcc, 8, v20
	v_cndmask_b32_e32 v20, v28, v27, vcc
	v_cndmask_b32_e32 v24, v24, v26, vcc
	v_lshlrev_b32_e32 v18, 24, v18
	v_bfrev_b32_e32 v26, 60
	v_lshlrev_b32_e32 v24, 20, v24
	v_and_b32_e32 v18, 0x80000000, v18
	v_lshl_add_u32 v20, v20, 23, v26
	v_or3_b32 v24, v18, v20, v24
.LBB385_478:
	s_or_b64 exec, exec, s[8:9]
.LBB385_479:
	s_or_b64 exec, exec, s[6:7]
.LBB385_480:
	s_or_b64 exec, exec, s[4:5]
	v_mov_b32_e32 v18, v17
	v_cmp_ne_u16_sdwa s[6:7], v17, v19 src0_sel:BYTE_0 src1_sel:DWORD
	s_and_saveexec_b64 s[4:5], s[6:7]
	s_cbranch_execz .LBB385_486
; %bb.481:
	s_movk_i32 s3, 0x80
	v_cmp_ne_u16_sdwa s[8:9], v17, s3 src0_sel:BYTE_0 src1_sel:DWORD
	v_bfrev_b32_e32 v20, 1
	s_and_saveexec_b64 s[6:7], s[8:9]
	s_cbranch_execz .LBB385_485
; %bb.482:
	s_movk_i32 s3, 0x7f
	v_and_b32_e32 v26, 0x7f, v17
	v_cmp_ne_u32_e32 vcc, s3, v26
	v_mov_b32_e32 v20, 0x7f800001
	s_and_saveexec_b64 s[8:9], vcc
	s_cbranch_execz .LBB385_484
; %bb.483:
	v_and_b32_e32 v20, 7, v17
	v_ffbh_u32_e32 v20, v20
	v_min_u32_e32 v20, 32, v20
	v_subrev_u32_e32 v28, 28, v20
	v_cmp_gt_u32_e32 vcc, 8, v26
	v_lshrrev_b32_e32 v27, 3, v26
	v_sub_u32_e32 v20, 29, v20
	v_cndmask_b32_e32 v26, 0, v28, vcc
	v_cndmask_b32_e32 v20, v27, v20, vcc
	v_lshlrev_b64 v[26:27], v26, v[18:19]
	v_lshlrev_b32_e32 v19, 20, v26
	v_lshlrev_b32_e32 v26, 24, v18
	v_bfrev_b32_e32 v27, 60
	v_and_b32_e32 v19, 0x700000, v19
	v_and_b32_e32 v26, 0x80000000, v26
	v_lshl_add_u32 v20, v20, 23, v27
	v_or3_b32 v20, v26, v20, v19
.LBB385_484:
	s_or_b64 exec, exec, s[8:9]
.LBB385_485:
	s_or_b64 exec, exec, s[6:7]
	v_mov_b32_e32 v19, v20
.LBB385_486:
	s_or_b64 exec, exec, s[4:5]
	v_lshrrev_b16_e32 v20, 8, v18
	v_cmp_ne_u16_e32 vcc, 0, v20
	v_mov_b32_e32 v26, 0
	v_mov_b32_e32 v27, 0
	s_and_saveexec_b64 s[4:5], vcc
	s_cbranch_execz .LBB385_492
; %bb.487:
	s_movk_i32 s3, 0x80
	v_cmp_ne_u16_e32 vcc, s3, v20
	v_bfrev_b32_e32 v27, 1
	s_and_saveexec_b64 s[6:7], vcc
	s_cbranch_execz .LBB385_491
; %bb.488:
	s_movk_i32 s3, 0x7f
	v_and_b32_e32 v28, 0x7f, v20
	v_cmp_ne_u32_e32 vcc, s3, v28
	v_mov_b32_e32 v27, 0x7f800001
	s_and_saveexec_b64 s[8:9], vcc
	s_cbranch_execz .LBB385_490
; %bb.489:
	v_and_b32_e32 v27, 7, v20
	v_ffbh_u32_e32 v30, v27
	v_min_u32_e32 v32, 32, v30
	v_subrev_u32_e32 v30, 28, v32
	v_lshlrev_b64 v[30:31], v30, v[20:21]
	v_lshrrev_b32_e32 v29, 3, v28
	v_sub_u32_e32 v20, 29, v32
	v_and_b32_e32 v30, 7, v30
	v_cmp_gt_u32_e32 vcc, 8, v28
	v_cndmask_b32_e32 v20, v29, v20, vcc
	v_cndmask_b32_e32 v27, v27, v30, vcc
	v_lshlrev_b32_e32 v18, 16, v18
	v_bfrev_b32_e32 v28, 60
	v_lshlrev_b32_e32 v27, 20, v27
	v_and_b32_e32 v18, 0x80000000, v18
	v_lshl_add_u32 v20, v20, 23, v28
	v_or3_b32 v27, v18, v20, v27
.LBB385_490:
	s_or_b64 exec, exec, s[8:9]
.LBB385_491:
	s_or_b64 exec, exec, s[6:7]
.LBB385_492:
	s_or_b64 exec, exec, s[4:5]
	s_movk_i32 s3, 0xff
	v_and_b32_sdwa v20, v17, s3 dst_sel:DWORD dst_unused:UNUSED_PAD src0_sel:WORD_1 src1_sel:DWORD
	v_lshrrev_b32_e32 v18, 16, v17
	v_cmp_ne_u16_e32 vcc, 0, v20
	s_and_saveexec_b64 s[4:5], vcc
	s_cbranch_execz .LBB385_498
; %bb.493:
	s_movk_i32 s3, 0x80
	v_cmp_ne_u16_e32 vcc, s3, v20
	v_bfrev_b32_e32 v26, 1
	s_and_saveexec_b64 s[6:7], vcc
	s_cbranch_execz .LBB385_497
; %bb.494:
	v_bfe_u32 v20, v17, 16, 7
	s_movk_i32 s3, 0x7f
	v_cmp_ne_u32_e32 vcc, s3, v20
	v_mov_b32_e32 v26, 0x7f800001
	s_and_saveexec_b64 s[8:9], vcc
	s_cbranch_execz .LBB385_496
; %bb.495:
	v_and_b32_e32 v26, 7, v18
	v_ffbh_u32_e32 v28, v26
	v_min_u32_e32 v31, 32, v28
	v_subrev_u32_e32 v28, 28, v31
	v_lshlrev_b64 v[28:29], v28, v[18:19]
	v_and_b32_e32 v28, 7, v28
	v_cmp_gt_u32_e32 vcc, 8, v20
	v_lshrrev_b32_e32 v30, 3, v20
	v_sub_u32_e32 v18, 29, v31
	v_cndmask_b32_e32 v20, v26, v28, vcc
	v_mov_b32_e32 v26, 24
	v_cndmask_b32_e32 v18, v30, v18, vcc
	v_lshlrev_b32_sdwa v26, v26, v17 dst_sel:DWORD dst_unused:UNUSED_PAD src0_sel:DWORD src1_sel:WORD_1
	v_bfrev_b32_e32 v28, 60
	v_lshlrev_b32_e32 v20, 20, v20
	v_and_b32_e32 v26, 0x80000000, v26
	v_lshl_add_u32 v18, v18, 23, v28
	v_or3_b32 v26, v26, v18, v20
.LBB385_496:
	s_or_b64 exec, exec, s[8:9]
.LBB385_497:
	s_or_b64 exec, exec, s[6:7]
.LBB385_498:
	s_or_b64 exec, exec, s[4:5]
	s_mov_b32 s4, -1
	s_mov_b32 s5, 0xffffff
	v_cmp_lt_u64_e32 vcc, s[4:5], v[16:17]
	v_mov_b32_e32 v20, 0
	v_mov_b32_e32 v18, 0
	s_and_saveexec_b64 s[4:5], vcc
	s_cbranch_execz .LBB385_504
; %bb.499:
	v_lshrrev_b32_e32 v16, 24, v17
	s_movk_i32 s3, 0x80
	v_cmp_ne_u32_e32 vcc, s3, v16
	v_bfrev_b32_e32 v18, 1
	s_and_saveexec_b64 s[6:7], vcc
	s_cbranch_execz .LBB385_503
; %bb.500:
	v_bfe_u32 v17, v17, 24, 7
	s_movk_i32 s3, 0x7f
	v_cmp_ne_u32_e32 vcc, s3, v17
	v_mov_b32_e32 v18, 0x7f800001
	s_and_saveexec_b64 s[8:9], vcc
	s_cbranch_execz .LBB385_502
; %bb.501:
	v_and_b32_e32 v18, 7, v16
	v_ffbh_u32_e32 v28, v18
	v_min_u32_e32 v31, 32, v28
	v_subrev_u32_e32 v28, 28, v31
	v_lshlrev_b64 v[28:29], v28, v[16:17]
	v_lshrrev_b32_e32 v30, 3, v17
	v_sub_u32_e32 v29, 29, v31
	v_and_b32_e32 v28, 7, v28
	v_cmp_gt_u32_e32 vcc, 8, v17
	v_cndmask_b32_e32 v17, v30, v29, vcc
	v_cndmask_b32_e32 v18, v18, v28, vcc
	v_lshlrev_b32_e32 v16, 24, v16
	v_bfrev_b32_e32 v28, 60
	v_lshlrev_b32_e32 v18, 20, v18
	v_and_b32_e32 v16, 0x80000000, v16
	v_lshl_add_u32 v17, v17, 23, v28
	v_or3_b32 v18, v16, v17, v18
.LBB385_502:
	s_or_b64 exec, exec, s[8:9]
.LBB385_503:
	s_or_b64 exec, exec, s[6:7]
.LBB385_504:
	s_or_b64 exec, exec, s[4:5]
	v_cvt_pkrtz_f16_f32 v16, v21, v23
	v_cvt_pkrtz_f16_f32 v17, v22, v24
	;; [unrolled: 1-line block ×4, first 2 shown]
	v_mfma_f32_4x4x4f16 a[0:3], v[14:15], v[16:17], a[0:3] cbsz:4 abid:2
	s_waitcnt vmcnt(2)
	v_cmp_ne_u16_sdwa s[6:7], v10, v20 src0_sel:BYTE_0 src1_sel:DWORD
	v_mfma_f32_4x4x4f16 a[0:3], v[14:15], v[22:23], a[0:3] cbsz:4 abid:3
	s_and_saveexec_b64 s[4:5], s[6:7]
	s_cbranch_execz .LBB385_510
; %bb.505:
	s_movk_i32 s3, 0x80
	v_cmp_ne_u16_sdwa s[8:9], v10, s3 src0_sel:BYTE_0 src1_sel:DWORD
	v_bfrev_b32_e32 v20, 1
	s_and_saveexec_b64 s[6:7], s[8:9]
	s_cbranch_execz .LBB385_509
; %bb.506:
	s_movk_i32 s3, 0x7f
	v_and_b32_e32 v16, 0x7f, v10
	v_cmp_ne_u32_e32 vcc, s3, v16
	v_mov_b32_e32 v20, 0x7f800001
	s_and_saveexec_b64 s[8:9], vcc
	s_cbranch_execz .LBB385_508
; %bb.507:
	v_and_b32_e32 v17, 7, v10
	v_ffbh_u32_e32 v17, v17
	v_min_u32_e32 v17, 32, v17
	v_subrev_u32_e32 v19, 28, v17
	v_cmp_gt_u32_e32 vcc, 8, v16
	v_lshrrev_b32_e32 v18, 3, v16
	v_sub_u32_e32 v17, 29, v17
	v_cndmask_b32_e32 v16, 0, v19, vcc
	v_cndmask_b32_e32 v18, v18, v17, vcc
	v_lshlrev_b64 v[16:17], v16, v[10:11]
	v_lshlrev_b32_e32 v16, 20, v16
	v_lshlrev_b32_e32 v17, 24, v10
	v_bfrev_b32_e32 v19, 60
	v_and_b32_e32 v16, 0x700000, v16
	v_and_b32_e32 v17, 0x80000000, v17
	v_lshl_add_u32 v18, v18, 23, v19
	v_or3_b32 v20, v17, v18, v16
.LBB385_508:
	s_or_b64 exec, exec, s[8:9]
.LBB385_509:
	s_or_b64 exec, exec, s[6:7]
.LBB385_510:
	s_or_b64 exec, exec, s[4:5]
	v_lshrrev_b16_e32 v16, 8, v10
	v_cmp_ne_u16_e32 vcc, 0, v16
	v_mov_b32_e32 v19, 0
	v_mov_b32_e32 v21, 0
	s_and_saveexec_b64 s[4:5], vcc
	s_cbranch_execz .LBB385_516
; %bb.511:
	s_movk_i32 s3, 0x80
	v_cmp_ne_u16_e32 vcc, s3, v16
	v_bfrev_b32_e32 v21, 1
	s_and_saveexec_b64 s[6:7], vcc
	s_cbranch_execz .LBB385_515
; %bb.512:
	s_movk_i32 s3, 0x7f
	v_and_b32_e32 v17, 0x7f, v16
	v_cmp_ne_u32_e32 vcc, s3, v17
	v_mov_b32_e32 v21, 0x7f800001
	s_and_saveexec_b64 s[8:9], vcc
	s_cbranch_execz .LBB385_514
; %bb.513:
	v_and_b32_e32 v18, 7, v16
	v_ffbh_u32_e32 v22, v18
	v_min_u32_e32 v24, 32, v22
	v_subrev_u32_e32 v22, 28, v24
	v_lshlrev_b64 v[22:23], v22, v[16:17]
	v_lshrrev_b32_e32 v21, 3, v17
	v_sub_u32_e32 v16, 29, v24
	v_and_b32_e32 v22, 7, v22
	v_cmp_gt_u32_e32 vcc, 8, v17
	v_cndmask_b32_e32 v16, v21, v16, vcc
	v_cndmask_b32_e32 v17, v18, v22, vcc
	v_lshlrev_b32_e32 v18, 16, v10
	v_bfrev_b32_e32 v21, 60
	v_lshlrev_b32_e32 v17, 20, v17
	v_and_b32_e32 v18, 0x80000000, v18
	v_lshl_add_u32 v16, v16, 23, v21
	v_or3_b32 v21, v18, v16, v17
.LBB385_514:
	s_or_b64 exec, exec, s[8:9]
.LBB385_515:
	s_or_b64 exec, exec, s[6:7]
.LBB385_516:
	s_or_b64 exec, exec, s[4:5]
	s_movk_i32 s3, 0xff
	v_and_b32_sdwa v17, v10, s3 dst_sel:DWORD dst_unused:UNUSED_PAD src0_sel:WORD_1 src1_sel:DWORD
	v_lshrrev_b32_e32 v16, 16, v10
	v_cmp_ne_u16_e32 vcc, 0, v17
	s_and_saveexec_b64 s[4:5], vcc
	s_cbranch_execz .LBB385_522
; %bb.517:
	s_movk_i32 s3, 0x80
	v_cmp_ne_u16_e32 vcc, s3, v17
	v_bfrev_b32_e32 v19, 1
	s_and_saveexec_b64 s[6:7], vcc
	s_cbranch_execz .LBB385_521
; %bb.518:
	v_bfe_u32 v17, v10, 16, 7
	s_movk_i32 s3, 0x7f
	v_cmp_ne_u32_e32 vcc, s3, v17
	v_mov_b32_e32 v19, 0x7f800001
	s_and_saveexec_b64 s[8:9], vcc
	s_cbranch_execz .LBB385_520
; %bb.519:
	v_and_b32_e32 v22, 7, v16
	v_ffbh_u32_e32 v18, v22
	v_min_u32_e32 v24, 32, v18
	v_subrev_u32_e32 v18, 28, v24
	v_lshlrev_b64 v[18:19], v18, v[16:17]
	v_and_b32_e32 v18, 7, v18
	v_cmp_gt_u32_e32 vcc, 8, v17
	v_lshrrev_b32_e32 v23, 3, v17
	v_sub_u32_e32 v16, 29, v24
	v_cndmask_b32_e32 v17, v22, v18, vcc
	v_mov_b32_e32 v18, 24
	v_cndmask_b32_e32 v16, v23, v16, vcc
	v_lshlrev_b32_sdwa v18, v18, v10 dst_sel:DWORD dst_unused:UNUSED_PAD src0_sel:DWORD src1_sel:WORD_1
	v_bfrev_b32_e32 v19, 60
	v_lshlrev_b32_e32 v17, 20, v17
	v_and_b32_e32 v18, 0x80000000, v18
	v_lshl_add_u32 v16, v16, 23, v19
	v_or3_b32 v19, v18, v16, v17
.LBB385_520:
	s_or_b64 exec, exec, s[8:9]
.LBB385_521:
	s_or_b64 exec, exec, s[6:7]
.LBB385_522:
	s_or_b64 exec, exec, s[4:5]
	s_mov_b32 s3, 0xffffff
	v_cmp_lt_u32_e32 vcc, s3, v10
	v_mov_b32_e32 v17, 0
	v_mov_b32_e32 v22, 0
	s_and_saveexec_b64 s[4:5], vcc
	s_cbranch_execz .LBB385_528
; %bb.523:
	v_lshrrev_b32_e32 v16, 24, v10
	s_movk_i32 s3, 0x80
	v_cmp_ne_u32_e32 vcc, s3, v16
	v_bfrev_b32_e32 v22, 1
	s_and_saveexec_b64 s[6:7], vcc
	s_cbranch_execz .LBB385_527
; %bb.524:
	v_bfe_u32 v18, v10, 24, 7
	s_movk_i32 s3, 0x7f
	v_cmp_ne_u32_e32 vcc, s3, v18
	v_mov_b32_e32 v22, 0x7f800001
	s_and_saveexec_b64 s[8:9], vcc
	s_cbranch_execz .LBB385_526
; %bb.525:
	v_and_b32_e32 v24, 7, v16
	v_ffbh_u32_e32 v22, v24
	v_min_u32_e32 v27, 32, v22
	v_subrev_u32_e32 v22, 28, v27
	v_lshlrev_b64 v[22:23], v22, v[16:17]
	v_lshrrev_b32_e32 v26, 3, v18
	v_sub_u32_e32 v23, 29, v27
	v_and_b32_e32 v22, 7, v22
	v_cmp_gt_u32_e32 vcc, 8, v18
	v_cndmask_b32_e32 v18, v26, v23, vcc
	v_cndmask_b32_e32 v22, v24, v22, vcc
	v_lshlrev_b32_e32 v16, 24, v16
	v_bfrev_b32_e32 v23, 60
	v_lshlrev_b32_e32 v22, 20, v22
	v_and_b32_e32 v16, 0x80000000, v16
	v_lshl_add_u32 v18, v18, 23, v23
	v_or3_b32 v22, v16, v18, v22
.LBB385_526:
	s_or_b64 exec, exec, s[8:9]
.LBB385_527:
	s_or_b64 exec, exec, s[6:7]
.LBB385_528:
	s_or_b64 exec, exec, s[4:5]
	v_mov_b32_e32 v16, v11
	v_cmp_ne_u16_sdwa s[6:7], v11, v17 src0_sel:BYTE_0 src1_sel:DWORD
	s_and_saveexec_b64 s[4:5], s[6:7]
	s_cbranch_execz .LBB385_534
; %bb.529:
	s_movk_i32 s3, 0x80
	v_cmp_ne_u16_sdwa s[8:9], v11, s3 src0_sel:BYTE_0 src1_sel:DWORD
	v_bfrev_b32_e32 v18, 1
	s_and_saveexec_b64 s[6:7], s[8:9]
	s_cbranch_execz .LBB385_533
; %bb.530:
	s_movk_i32 s3, 0x7f
	v_and_b32_e32 v23, 0x7f, v11
	v_cmp_ne_u32_e32 vcc, s3, v23
	v_mov_b32_e32 v18, 0x7f800001
	s_and_saveexec_b64 s[8:9], vcc
	s_cbranch_execz .LBB385_532
; %bb.531:
	v_and_b32_e32 v18, 7, v11
	v_ffbh_u32_e32 v18, v18
	v_min_u32_e32 v18, 32, v18
	v_subrev_u32_e32 v26, 28, v18
	v_cmp_gt_u32_e32 vcc, 8, v23
	v_lshrrev_b32_e32 v24, 3, v23
	v_cndmask_b32_e32 v23, 0, v26, vcc
	v_sub_u32_e32 v18, 29, v18
	v_lshlrev_b64 v[26:27], v23, v[16:17]
	v_cndmask_b32_e32 v18, v24, v18, vcc
	v_lshlrev_b32_e32 v17, 20, v26
	v_lshlrev_b32_e32 v23, 24, v16
	v_bfrev_b32_e32 v24, 60
	v_and_b32_e32 v17, 0x700000, v17
	v_and_b32_e32 v23, 0x80000000, v23
	v_lshl_add_u32 v18, v18, 23, v24
	v_or3_b32 v18, v23, v18, v17
.LBB385_532:
	s_or_b64 exec, exec, s[8:9]
.LBB385_533:
	s_or_b64 exec, exec, s[6:7]
	v_mov_b32_e32 v17, v18
.LBB385_534:
	s_or_b64 exec, exec, s[4:5]
	v_lshrrev_b16_e32 v18, 8, v16
	v_cmp_ne_u16_e32 vcc, 0, v18
	v_mov_b32_e32 v23, 0
	v_mov_b32_e32 v24, 0
	s_and_saveexec_b64 s[4:5], vcc
	s_cbranch_execz .LBB385_540
; %bb.535:
	s_movk_i32 s3, 0x80
	v_cmp_ne_u16_e32 vcc, s3, v18
	v_bfrev_b32_e32 v24, 1
	s_and_saveexec_b64 s[6:7], vcc
	s_cbranch_execz .LBB385_539
; %bb.536:
	s_movk_i32 s3, 0x7f
	v_and_b32_e32 v26, 0x7f, v18
	v_cmp_ne_u32_e32 vcc, s3, v26
	v_mov_b32_e32 v24, 0x7f800001
	s_and_saveexec_b64 s[8:9], vcc
	s_cbranch_execz .LBB385_538
; %bb.537:
	v_and_b32_e32 v24, 7, v18
	v_ffbh_u32_e32 v28, v24
	v_min_u32_e32 v30, 32, v28
	v_subrev_u32_e32 v28, 28, v30
	v_lshlrev_b64 v[28:29], v28, v[18:19]
	v_lshrrev_b32_e32 v27, 3, v26
	v_sub_u32_e32 v18, 29, v30
	v_and_b32_e32 v28, 7, v28
	v_cmp_gt_u32_e32 vcc, 8, v26
	v_cndmask_b32_e32 v18, v27, v18, vcc
	v_cndmask_b32_e32 v24, v24, v28, vcc
	v_lshlrev_b32_e32 v16, 16, v16
	v_bfrev_b32_e32 v26, 60
	v_lshlrev_b32_e32 v24, 20, v24
	v_and_b32_e32 v16, 0x80000000, v16
	v_lshl_add_u32 v18, v18, 23, v26
	v_or3_b32 v24, v16, v18, v24
.LBB385_538:
	s_or_b64 exec, exec, s[8:9]
.LBB385_539:
	s_or_b64 exec, exec, s[6:7]
.LBB385_540:
	s_or_b64 exec, exec, s[4:5]
	s_movk_i32 s3, 0xff
	v_and_b32_sdwa v18, v11, s3 dst_sel:DWORD dst_unused:UNUSED_PAD src0_sel:WORD_1 src1_sel:DWORD
	v_lshrrev_b32_e32 v16, 16, v11
	v_cmp_ne_u16_e32 vcc, 0, v18
	s_and_saveexec_b64 s[4:5], vcc
	s_cbranch_execz .LBB385_546
; %bb.541:
	s_movk_i32 s3, 0x80
	v_cmp_ne_u16_e32 vcc, s3, v18
	v_bfrev_b32_e32 v23, 1
	s_and_saveexec_b64 s[6:7], vcc
	s_cbranch_execz .LBB385_545
; %bb.542:
	v_bfe_u32 v18, v11, 16, 7
	s_movk_i32 s3, 0x7f
	v_cmp_ne_u32_e32 vcc, s3, v18
	v_mov_b32_e32 v23, 0x7f800001
	s_and_saveexec_b64 s[8:9], vcc
	s_cbranch_execz .LBB385_544
; %bb.543:
	v_and_b32_e32 v23, 7, v16
	v_ffbh_u32_e32 v26, v23
	v_min_u32_e32 v29, 32, v26
	v_subrev_u32_e32 v26, 28, v29
	v_lshlrev_b64 v[26:27], v26, v[16:17]
	v_and_b32_e32 v26, 7, v26
	v_cmp_gt_u32_e32 vcc, 8, v18
	v_lshrrev_b32_e32 v28, 3, v18
	v_sub_u32_e32 v16, 29, v29
	v_cndmask_b32_e32 v18, v23, v26, vcc
	v_mov_b32_e32 v23, 24
	v_cndmask_b32_e32 v16, v28, v16, vcc
	v_lshlrev_b32_sdwa v23, v23, v11 dst_sel:DWORD dst_unused:UNUSED_PAD src0_sel:DWORD src1_sel:WORD_1
	v_bfrev_b32_e32 v26, 60
	v_lshlrev_b32_e32 v18, 20, v18
	v_and_b32_e32 v23, 0x80000000, v23
	v_lshl_add_u32 v16, v16, 23, v26
	v_or3_b32 v23, v23, v16, v18
.LBB385_544:
	s_or_b64 exec, exec, s[8:9]
.LBB385_545:
	s_or_b64 exec, exec, s[6:7]
.LBB385_546:
	s_or_b64 exec, exec, s[4:5]
	s_mov_b32 s4, -1
	s_mov_b32 s5, 0xffffff
	v_cmp_lt_u64_e32 vcc, s[4:5], v[10:11]
	v_mov_b32_e32 v18, 0
	v_mov_b32_e32 v16, 0
	s_and_saveexec_b64 s[4:5], vcc
	s_cbranch_execz .LBB385_552
; %bb.547:
	v_lshrrev_b32_e32 v10, 24, v11
	s_movk_i32 s3, 0x80
	v_cmp_ne_u32_e32 vcc, s3, v10
	v_bfrev_b32_e32 v16, 1
	s_and_saveexec_b64 s[6:7], vcc
	s_cbranch_execz .LBB385_551
; %bb.548:
	v_bfe_u32 v11, v11, 24, 7
	s_movk_i32 s3, 0x7f
	v_cmp_ne_u32_e32 vcc, s3, v11
	v_mov_b32_e32 v16, 0x7f800001
	s_and_saveexec_b64 s[8:9], vcc
	s_cbranch_execz .LBB385_550
; %bb.549:
	v_and_b32_e32 v16, 7, v10
	v_ffbh_u32_e32 v26, v16
	v_min_u32_e32 v29, 32, v26
	v_subrev_u32_e32 v26, 28, v29
	v_lshlrev_b64 v[26:27], v26, v[10:11]
	v_lshrrev_b32_e32 v28, 3, v11
	v_sub_u32_e32 v27, 29, v29
	v_and_b32_e32 v26, 7, v26
	v_cmp_gt_u32_e32 vcc, 8, v11
	v_cndmask_b32_e32 v11, v28, v27, vcc
	v_cndmask_b32_e32 v16, v16, v26, vcc
	v_lshlrev_b32_e32 v10, 24, v10
	v_bfrev_b32_e32 v26, 60
	v_lshlrev_b32_e32 v16, 20, v16
	v_and_b32_e32 v10, 0x80000000, v10
	v_lshl_add_u32 v11, v11, 23, v26
	v_or3_b32 v16, v10, v11, v16
.LBB385_550:
	s_or_b64 exec, exec, s[8:9]
.LBB385_551:
	s_or_b64 exec, exec, s[6:7]
.LBB385_552:
	s_or_b64 exec, exec, s[4:5]
	v_cvt_pkrtz_f16_f32 v10, v20, v21
	v_cvt_pkrtz_f16_f32 v11, v19, v22
	;; [unrolled: 1-line block ×4, first 2 shown]
	v_mfma_f32_4x4x4f16 a[0:3], v[14:15], v[10:11], a[0:3] cbsz:4 abid:4
	v_cmp_ne_u16_sdwa s[6:7], v12, v18 src0_sel:BYTE_0 src1_sel:DWORD
	v_mfma_f32_4x4x4f16 a[0:3], v[14:15], v[20:21], a[0:3] cbsz:4 abid:5
	s_and_saveexec_b64 s[4:5], s[6:7]
	s_cbranch_execz .LBB385_558
; %bb.553:
	s_movk_i32 s3, 0x80
	v_cmp_ne_u16_sdwa s[8:9], v12, s3 src0_sel:BYTE_0 src1_sel:DWORD
	v_bfrev_b32_e32 v18, 1
	s_and_saveexec_b64 s[6:7], s[8:9]
	s_cbranch_execz .LBB385_557
; %bb.554:
	s_movk_i32 s3, 0x7f
	v_and_b32_e32 v10, 0x7f, v12
	v_cmp_ne_u32_e32 vcc, s3, v10
	v_mov_b32_e32 v18, 0x7f800001
	s_and_saveexec_b64 s[8:9], vcc
	s_cbranch_execz .LBB385_556
; %bb.555:
	v_and_b32_e32 v11, 7, v12
	v_ffbh_u32_e32 v11, v11
	v_min_u32_e32 v11, 32, v11
	v_subrev_u32_e32 v17, 28, v11
	v_cmp_gt_u32_e32 vcc, 8, v10
	v_lshrrev_b32_e32 v16, 3, v10
	v_sub_u32_e32 v11, 29, v11
	v_cndmask_b32_e32 v10, 0, v17, vcc
	v_cndmask_b32_e32 v16, v16, v11, vcc
	v_lshlrev_b64 v[10:11], v10, v[12:13]
	v_lshlrev_b32_e32 v10, 20, v10
	v_lshlrev_b32_e32 v11, 24, v12
	v_bfrev_b32_e32 v17, 60
	v_and_b32_e32 v10, 0x700000, v10
	v_and_b32_e32 v11, 0x80000000, v11
	v_lshl_add_u32 v16, v16, 23, v17
	v_or3_b32 v18, v11, v16, v10
.LBB385_556:
	s_or_b64 exec, exec, s[8:9]
.LBB385_557:
	s_or_b64 exec, exec, s[6:7]
.LBB385_558:
	s_or_b64 exec, exec, s[4:5]
	v_lshrrev_b16_e32 v10, 8, v12
	v_cmp_ne_u16_e32 vcc, 0, v10
	v_mov_b32_e32 v17, 0
	v_mov_b32_e32 v19, 0
	s_and_saveexec_b64 s[4:5], vcc
	s_cbranch_execz .LBB385_564
; %bb.559:
	s_movk_i32 s3, 0x80
	v_cmp_ne_u16_e32 vcc, s3, v10
	v_bfrev_b32_e32 v19, 1
	s_and_saveexec_b64 s[6:7], vcc
	s_cbranch_execz .LBB385_563
; %bb.560:
	s_movk_i32 s3, 0x7f
	v_and_b32_e32 v11, 0x7f, v10
	v_cmp_ne_u32_e32 vcc, s3, v11
	v_mov_b32_e32 v19, 0x7f800001
	s_and_saveexec_b64 s[8:9], vcc
	s_cbranch_execz .LBB385_562
; %bb.561:
	v_and_b32_e32 v16, 7, v10
	v_ffbh_u32_e32 v20, v16
	v_min_u32_e32 v22, 32, v20
	v_subrev_u32_e32 v20, 28, v22
	v_lshlrev_b64 v[20:21], v20, v[10:11]
	v_lshrrev_b32_e32 v19, 3, v11
	v_sub_u32_e32 v10, 29, v22
	v_and_b32_e32 v20, 7, v20
	v_cmp_gt_u32_e32 vcc, 8, v11
	v_cndmask_b32_e32 v10, v19, v10, vcc
	v_cndmask_b32_e32 v11, v16, v20, vcc
	v_lshlrev_b32_e32 v16, 16, v12
	v_bfrev_b32_e32 v19, 60
	v_lshlrev_b32_e32 v11, 20, v11
	v_and_b32_e32 v16, 0x80000000, v16
	v_lshl_add_u32 v10, v10, 23, v19
	v_or3_b32 v19, v16, v10, v11
.LBB385_562:
	s_or_b64 exec, exec, s[8:9]
.LBB385_563:
	s_or_b64 exec, exec, s[6:7]
.LBB385_564:
	s_or_b64 exec, exec, s[4:5]
	s_movk_i32 s3, 0xff
	v_and_b32_sdwa v11, v12, s3 dst_sel:DWORD dst_unused:UNUSED_PAD src0_sel:WORD_1 src1_sel:DWORD
	v_lshrrev_b32_e32 v10, 16, v12
	v_cmp_ne_u16_e32 vcc, 0, v11
	s_and_saveexec_b64 s[4:5], vcc
	s_cbranch_execz .LBB385_570
; %bb.565:
	s_movk_i32 s3, 0x80
	v_cmp_ne_u16_e32 vcc, s3, v11
	v_bfrev_b32_e32 v17, 1
	s_and_saveexec_b64 s[6:7], vcc
	s_cbranch_execz .LBB385_569
; %bb.566:
	v_bfe_u32 v11, v12, 16, 7
	s_movk_i32 s3, 0x7f
	v_cmp_ne_u32_e32 vcc, s3, v11
	v_mov_b32_e32 v17, 0x7f800001
	s_and_saveexec_b64 s[8:9], vcc
	s_cbranch_execz .LBB385_568
; %bb.567:
	v_and_b32_e32 v20, 7, v10
	v_ffbh_u32_e32 v16, v20
	v_min_u32_e32 v22, 32, v16
	v_subrev_u32_e32 v16, 28, v22
	v_lshlrev_b64 v[16:17], v16, v[10:11]
	v_and_b32_e32 v16, 7, v16
	v_cmp_gt_u32_e32 vcc, 8, v11
	v_lshrrev_b32_e32 v21, 3, v11
	v_sub_u32_e32 v10, 29, v22
	v_cndmask_b32_e32 v11, v20, v16, vcc
	v_mov_b32_e32 v16, 24
	v_cndmask_b32_e32 v10, v21, v10, vcc
	v_lshlrev_b32_sdwa v16, v16, v12 dst_sel:DWORD dst_unused:UNUSED_PAD src0_sel:DWORD src1_sel:WORD_1
	v_bfrev_b32_e32 v17, 60
	v_lshlrev_b32_e32 v11, 20, v11
	v_and_b32_e32 v16, 0x80000000, v16
	v_lshl_add_u32 v10, v10, 23, v17
	v_or3_b32 v17, v16, v10, v11
.LBB385_568:
	s_or_b64 exec, exec, s[8:9]
.LBB385_569:
	s_or_b64 exec, exec, s[6:7]
.LBB385_570:
	s_or_b64 exec, exec, s[4:5]
	s_mov_b32 s3, 0xffffff
	v_cmp_lt_u32_e32 vcc, s3, v12
	v_mov_b32_e32 v11, 0
	v_mov_b32_e32 v20, 0
	s_and_saveexec_b64 s[4:5], vcc
	s_cbranch_execz .LBB385_576
; %bb.571:
	v_lshrrev_b32_e32 v10, 24, v12
	s_movk_i32 s3, 0x80
	v_cmp_ne_u32_e32 vcc, s3, v10
	v_bfrev_b32_e32 v20, 1
	s_and_saveexec_b64 s[6:7], vcc
	s_cbranch_execz .LBB385_575
; %bb.572:
	v_bfe_u32 v16, v12, 24, 7
	s_movk_i32 s3, 0x7f
	v_cmp_ne_u32_e32 vcc, s3, v16
	v_mov_b32_e32 v20, 0x7f800001
	s_and_saveexec_b64 s[8:9], vcc
	s_cbranch_execz .LBB385_574
; %bb.573:
	v_and_b32_e32 v22, 7, v10
	v_ffbh_u32_e32 v20, v22
	v_min_u32_e32 v24, 32, v20
	v_subrev_u32_e32 v20, 28, v24
	v_lshlrev_b64 v[20:21], v20, v[10:11]
	v_lshrrev_b32_e32 v23, 3, v16
	v_sub_u32_e32 v21, 29, v24
	v_and_b32_e32 v20, 7, v20
	v_cmp_gt_u32_e32 vcc, 8, v16
	v_cndmask_b32_e32 v16, v23, v21, vcc
	v_cndmask_b32_e32 v20, v22, v20, vcc
	v_lshlrev_b32_e32 v10, 24, v10
	v_bfrev_b32_e32 v21, 60
	v_lshlrev_b32_e32 v20, 20, v20
	v_and_b32_e32 v10, 0x80000000, v10
	v_lshl_add_u32 v16, v16, 23, v21
	v_or3_b32 v20, v10, v16, v20
.LBB385_574:
	s_or_b64 exec, exec, s[8:9]
.LBB385_575:
	s_or_b64 exec, exec, s[6:7]
.LBB385_576:
	s_or_b64 exec, exec, s[4:5]
	v_mov_b32_e32 v10, v13
	v_cmp_ne_u16_sdwa s[6:7], v13, v11 src0_sel:BYTE_0 src1_sel:DWORD
	s_and_saveexec_b64 s[4:5], s[6:7]
	s_cbranch_execz .LBB385_582
; %bb.577:
	s_movk_i32 s3, 0x80
	v_cmp_ne_u16_sdwa s[8:9], v13, s3 src0_sel:BYTE_0 src1_sel:DWORD
	v_bfrev_b32_e32 v16, 1
	s_and_saveexec_b64 s[6:7], s[8:9]
	s_cbranch_execz .LBB385_581
; %bb.578:
	s_movk_i32 s3, 0x7f
	v_and_b32_e32 v21, 0x7f, v13
	v_cmp_ne_u32_e32 vcc, s3, v21
	v_mov_b32_e32 v16, 0x7f800001
	s_and_saveexec_b64 s[8:9], vcc
	s_cbranch_execz .LBB385_580
; %bb.579:
	v_and_b32_e32 v16, 7, v13
	v_ffbh_u32_e32 v16, v16
	v_min_u32_e32 v16, 32, v16
	v_subrev_u32_e32 v23, 28, v16
	v_cmp_gt_u32_e32 vcc, 8, v21
	v_lshrrev_b32_e32 v22, 3, v21
	v_sub_u32_e32 v16, 29, v16
	v_cndmask_b32_e32 v21, 0, v23, vcc
	v_cndmask_b32_e32 v16, v22, v16, vcc
	v_lshlrev_b64 v[22:23], v21, v[10:11]
	v_lshlrev_b32_e32 v11, 20, v22
	v_lshlrev_b32_e32 v21, 24, v10
	v_bfrev_b32_e32 v22, 60
	v_and_b32_e32 v11, 0x700000, v11
	v_and_b32_e32 v21, 0x80000000, v21
	v_lshl_add_u32 v16, v16, 23, v22
	v_or3_b32 v16, v21, v16, v11
.LBB385_580:
	s_or_b64 exec, exec, s[8:9]
.LBB385_581:
	s_or_b64 exec, exec, s[6:7]
	v_mov_b32_e32 v11, v16
.LBB385_582:
	s_or_b64 exec, exec, s[4:5]
	v_lshrrev_b16_e32 v16, 8, v10
	v_cmp_ne_u16_e32 vcc, 0, v16
	v_mov_b32_e32 v21, 0
	v_mov_b32_e32 v22, 0
	s_and_saveexec_b64 s[4:5], vcc
	s_cbranch_execz .LBB385_588
; %bb.583:
	s_movk_i32 s3, 0x80
	v_cmp_ne_u16_e32 vcc, s3, v16
	v_bfrev_b32_e32 v22, 1
	s_and_saveexec_b64 s[6:7], vcc
	s_cbranch_execz .LBB385_587
; %bb.584:
	s_movk_i32 s3, 0x7f
	v_and_b32_e32 v23, 0x7f, v16
	v_cmp_ne_u32_e32 vcc, s3, v23
	v_mov_b32_e32 v22, 0x7f800001
	s_and_saveexec_b64 s[8:9], vcc
	s_cbranch_execz .LBB385_586
; %bb.585:
	v_and_b32_e32 v22, 7, v16
	v_ffbh_u32_e32 v26, v22
	v_min_u32_e32 v28, 32, v26
	v_subrev_u32_e32 v26, 28, v28
	v_lshlrev_b64 v[26:27], v26, v[16:17]
	v_lshrrev_b32_e32 v24, 3, v23
	v_sub_u32_e32 v16, 29, v28
	v_and_b32_e32 v26, 7, v26
	v_cmp_gt_u32_e32 vcc, 8, v23
	v_cndmask_b32_e32 v16, v24, v16, vcc
	v_cndmask_b32_e32 v22, v22, v26, vcc
	v_lshlrev_b32_e32 v10, 16, v10
	v_bfrev_b32_e32 v23, 60
	v_lshlrev_b32_e32 v22, 20, v22
	v_and_b32_e32 v10, 0x80000000, v10
	v_lshl_add_u32 v16, v16, 23, v23
	v_or3_b32 v22, v10, v16, v22
.LBB385_586:
	s_or_b64 exec, exec, s[8:9]
.LBB385_587:
	s_or_b64 exec, exec, s[6:7]
.LBB385_588:
	s_or_b64 exec, exec, s[4:5]
	s_movk_i32 s3, 0xff
	v_and_b32_sdwa v16, v13, s3 dst_sel:DWORD dst_unused:UNUSED_PAD src0_sel:WORD_1 src1_sel:DWORD
	v_lshrrev_b32_e32 v10, 16, v13
	v_cmp_ne_u16_e32 vcc, 0, v16
	s_and_saveexec_b64 s[4:5], vcc
	s_cbranch_execz .LBB385_594
; %bb.589:
	s_movk_i32 s3, 0x80
	v_cmp_ne_u16_e32 vcc, s3, v16
	v_bfrev_b32_e32 v21, 1
	s_and_saveexec_b64 s[6:7], vcc
	s_cbranch_execz .LBB385_593
; %bb.590:
	v_bfe_u32 v16, v13, 16, 7
	s_movk_i32 s3, 0x7f
	v_cmp_ne_u32_e32 vcc, s3, v16
	v_mov_b32_e32 v21, 0x7f800001
	s_and_saveexec_b64 s[8:9], vcc
	s_cbranch_execz .LBB385_592
; %bb.591:
	v_and_b32_e32 v21, 7, v10
	v_ffbh_u32_e32 v24, v21
	v_min_u32_e32 v24, 32, v24
	v_subrev_u32_e32 v26, 28, v24
	v_lshlrev_b64 v[26:27], v26, v[10:11]
	v_sub_u32_e32 v10, 29, v24
	v_and_b32_e32 v24, 7, v26
	v_cmp_gt_u32_e32 vcc, 8, v16
	v_lshrrev_b32_e32 v23, 3, v16
	v_cndmask_b32_e32 v16, v21, v24, vcc
	v_mov_b32_e32 v21, 24
	v_cndmask_b32_e32 v10, v23, v10, vcc
	v_lshlrev_b32_sdwa v21, v21, v13 dst_sel:DWORD dst_unused:UNUSED_PAD src0_sel:DWORD src1_sel:WORD_1
	v_bfrev_b32_e32 v23, 60
	v_lshlrev_b32_e32 v16, 20, v16
	v_and_b32_e32 v21, 0x80000000, v21
	v_lshl_add_u32 v10, v10, 23, v23
	v_or3_b32 v21, v21, v10, v16
.LBB385_592:
	s_or_b64 exec, exec, s[8:9]
.LBB385_593:
	s_or_b64 exec, exec, s[6:7]
.LBB385_594:
	s_or_b64 exec, exec, s[4:5]
	s_mov_b32 s4, -1
	s_mov_b32 s5, 0xffffff
	v_cmp_lt_u64_e32 vcc, s[4:5], v[12:13]
	v_mov_b32_e32 v16, 0
	v_mov_b32_e32 v12, 0
	s_and_saveexec_b64 s[4:5], vcc
	s_cbranch_execz .LBB385_600
; %bb.595:
	v_lshrrev_b32_e32 v10, 24, v13
	s_movk_i32 s3, 0x80
	v_cmp_ne_u32_e32 vcc, s3, v10
	v_bfrev_b32_e32 v12, 1
	s_and_saveexec_b64 s[6:7], vcc
	s_cbranch_execz .LBB385_599
; %bb.596:
	v_bfe_u32 v13, v13, 24, 7
	s_movk_i32 s3, 0x7f
	v_cmp_ne_u32_e32 vcc, s3, v13
	v_mov_b32_e32 v12, 0x7f800001
	s_and_saveexec_b64 s[8:9], vcc
	s_cbranch_execz .LBB385_598
; %bb.597:
	v_and_b32_e32 v12, 7, v10
	v_ffbh_u32_e32 v24, v12
	v_min_u32_e32 v24, 32, v24
	v_subrev_u32_e32 v26, 28, v24
	v_lshlrev_b64 v[26:27], v26, v[10:11]
	v_lshrrev_b32_e32 v23, 3, v13
	v_sub_u32_e32 v24, 29, v24
	v_and_b32_e32 v26, 7, v26
	v_cmp_gt_u32_e32 vcc, 8, v13
	v_cndmask_b32_e32 v13, v23, v24, vcc
	v_cndmask_b32_e32 v12, v12, v26, vcc
	v_lshlrev_b32_e32 v10, 24, v10
	v_bfrev_b32_e32 v23, 60
	v_lshlrev_b32_e32 v12, 20, v12
	v_and_b32_e32 v10, 0x80000000, v10
	v_lshl_add_u32 v13, v13, 23, v23
	v_or3_b32 v12, v10, v13, v12
.LBB385_598:
	s_or_b64 exec, exec, s[8:9]
.LBB385_599:
	s_or_b64 exec, exec, s[6:7]
.LBB385_600:
	s_or_b64 exec, exec, s[4:5]
	v_cvt_pkrtz_f16_f32 v18, v18, v19
	v_cvt_pkrtz_f16_f32 v19, v17, v20
	;; [unrolled: 1-line block ×4, first 2 shown]
	v_mfma_f32_4x4x4f16 a[0:3], v[14:15], v[18:19], a[0:3] cbsz:4 abid:6
	s_waitcnt vmcnt(1)
	v_cmp_ne_u16_sdwa s[6:7], v6, v16 src0_sel:BYTE_0 src1_sel:DWORD
	v_mfma_f32_4x4x4f16 a[0:3], v[14:15], v[10:11], a[0:3] cbsz:4 abid:7
	s_and_saveexec_b64 s[4:5], s[6:7]
	s_cbranch_execz .LBB385_606
; %bb.601:
	s_movk_i32 s3, 0x80
	v_cmp_ne_u16_sdwa s[8:9], v6, s3 src0_sel:BYTE_0 src1_sel:DWORD
	v_bfrev_b32_e32 v16, 1
	s_and_saveexec_b64 s[6:7], s[8:9]
	s_cbranch_execz .LBB385_605
; %bb.602:
	s_movk_i32 s3, 0x7f
	v_and_b32_e32 v10, 0x7f, v6
	v_cmp_ne_u32_e32 vcc, s3, v10
	v_mov_b32_e32 v16, 0x7f800001
	s_and_saveexec_b64 s[8:9], vcc
	s_cbranch_execz .LBB385_604
; %bb.603:
	v_and_b32_e32 v11, 7, v6
	v_ffbh_u32_e32 v11, v11
	v_min_u32_e32 v11, 32, v11
	v_subrev_u32_e32 v13, 28, v11
	v_cmp_gt_u32_e32 vcc, 8, v10
	v_lshrrev_b32_e32 v12, 3, v10
	v_sub_u32_e32 v11, 29, v11
	v_cndmask_b32_e32 v10, 0, v13, vcc
	v_cndmask_b32_e32 v12, v12, v11, vcc
	v_lshlrev_b64 v[10:11], v10, v[6:7]
	v_lshlrev_b32_e32 v10, 20, v10
	v_lshlrev_b32_e32 v11, 24, v6
	v_bfrev_b32_e32 v13, 60
	v_and_b32_e32 v10, 0x700000, v10
	v_and_b32_e32 v11, 0x80000000, v11
	v_lshl_add_u32 v12, v12, 23, v13
	v_or3_b32 v16, v11, v12, v10
.LBB385_604:
	s_or_b64 exec, exec, s[8:9]
.LBB385_605:
	s_or_b64 exec, exec, s[6:7]
.LBB385_606:
	s_or_b64 exec, exec, s[4:5]
	v_lshrrev_b16_e32 v10, 8, v6
	v_cmp_ne_u16_e32 vcc, 0, v10
	v_mov_b32_e32 v13, 0
	v_mov_b32_e32 v17, 0
	s_and_saveexec_b64 s[4:5], vcc
	s_cbranch_execz .LBB385_612
; %bb.607:
	s_movk_i32 s3, 0x80
	v_cmp_ne_u16_e32 vcc, s3, v10
	v_bfrev_b32_e32 v17, 1
	s_and_saveexec_b64 s[6:7], vcc
	s_cbranch_execz .LBB385_611
; %bb.608:
	s_movk_i32 s3, 0x7f
	v_and_b32_e32 v11, 0x7f, v10
	v_cmp_ne_u32_e32 vcc, s3, v11
	v_mov_b32_e32 v17, 0x7f800001
	s_and_saveexec_b64 s[8:9], vcc
	s_cbranch_execz .LBB385_610
; %bb.609:
	v_and_b32_e32 v12, 7, v10
	v_ffbh_u32_e32 v18, v12
	v_min_u32_e32 v20, 32, v18
	v_subrev_u32_e32 v18, 28, v20
	v_lshlrev_b64 v[18:19], v18, v[10:11]
	v_lshrrev_b32_e32 v17, 3, v11
	v_sub_u32_e32 v10, 29, v20
	v_and_b32_e32 v18, 7, v18
	v_cmp_gt_u32_e32 vcc, 8, v11
	v_cndmask_b32_e32 v10, v17, v10, vcc
	v_cndmask_b32_e32 v11, v12, v18, vcc
	v_lshlrev_b32_e32 v12, 16, v6
	v_bfrev_b32_e32 v17, 60
	v_lshlrev_b32_e32 v11, 20, v11
	v_and_b32_e32 v12, 0x80000000, v12
	v_lshl_add_u32 v10, v10, 23, v17
	v_or3_b32 v17, v12, v10, v11
.LBB385_610:
	s_or_b64 exec, exec, s[8:9]
.LBB385_611:
	s_or_b64 exec, exec, s[6:7]
.LBB385_612:
	s_or_b64 exec, exec, s[4:5]
	s_movk_i32 s3, 0xff
	v_and_b32_sdwa v11, v6, s3 dst_sel:DWORD dst_unused:UNUSED_PAD src0_sel:WORD_1 src1_sel:DWORD
	v_lshrrev_b32_e32 v10, 16, v6
	v_cmp_ne_u16_e32 vcc, 0, v11
	s_and_saveexec_b64 s[4:5], vcc
	s_cbranch_execz .LBB385_618
; %bb.613:
	s_movk_i32 s3, 0x80
	v_cmp_ne_u16_e32 vcc, s3, v11
	v_bfrev_b32_e32 v13, 1
	s_and_saveexec_b64 s[6:7], vcc
	s_cbranch_execz .LBB385_617
; %bb.614:
	v_bfe_u32 v11, v6, 16, 7
	s_movk_i32 s3, 0x7f
	v_cmp_ne_u32_e32 vcc, s3, v11
	v_mov_b32_e32 v13, 0x7f800001
	s_and_saveexec_b64 s[8:9], vcc
	s_cbranch_execz .LBB385_616
; %bb.615:
	v_and_b32_e32 v18, 7, v10
	v_ffbh_u32_e32 v12, v18
	v_min_u32_e32 v20, 32, v12
	v_subrev_u32_e32 v12, 28, v20
	v_lshlrev_b64 v[12:13], v12, v[10:11]
	v_and_b32_e32 v12, 7, v12
	v_cmp_gt_u32_e32 vcc, 8, v11
	v_lshrrev_b32_e32 v19, 3, v11
	v_sub_u32_e32 v10, 29, v20
	v_cndmask_b32_e32 v11, v18, v12, vcc
	v_mov_b32_e32 v12, 24
	v_cndmask_b32_e32 v10, v19, v10, vcc
	v_lshlrev_b32_sdwa v12, v12, v6 dst_sel:DWORD dst_unused:UNUSED_PAD src0_sel:DWORD src1_sel:WORD_1
	v_bfrev_b32_e32 v13, 60
	v_lshlrev_b32_e32 v11, 20, v11
	v_and_b32_e32 v12, 0x80000000, v12
	v_lshl_add_u32 v10, v10, 23, v13
	v_or3_b32 v13, v12, v10, v11
.LBB385_616:
	s_or_b64 exec, exec, s[8:9]
.LBB385_617:
	s_or_b64 exec, exec, s[6:7]
.LBB385_618:
	s_or_b64 exec, exec, s[4:5]
	s_mov_b32 s3, 0xffffff
	v_cmp_lt_u32_e32 vcc, s3, v6
	v_mov_b32_e32 v11, 0
	v_mov_b32_e32 v18, 0
	s_and_saveexec_b64 s[4:5], vcc
	s_cbranch_execz .LBB385_624
; %bb.619:
	v_lshrrev_b32_e32 v10, 24, v6
	s_movk_i32 s3, 0x80
	v_cmp_ne_u32_e32 vcc, s3, v10
	v_bfrev_b32_e32 v18, 1
	s_and_saveexec_b64 s[6:7], vcc
	s_cbranch_execz .LBB385_623
; %bb.620:
	v_bfe_u32 v12, v6, 24, 7
	s_movk_i32 s3, 0x7f
	v_cmp_ne_u32_e32 vcc, s3, v12
	v_mov_b32_e32 v18, 0x7f800001
	s_and_saveexec_b64 s[8:9], vcc
	s_cbranch_execz .LBB385_622
; %bb.621:
	v_and_b32_e32 v20, 7, v10
	v_ffbh_u32_e32 v18, v20
	v_min_u32_e32 v22, 32, v18
	v_subrev_u32_e32 v18, 28, v22
	v_lshlrev_b64 v[18:19], v18, v[10:11]
	v_lshrrev_b32_e32 v21, 3, v12
	v_sub_u32_e32 v19, 29, v22
	v_and_b32_e32 v18, 7, v18
	v_cmp_gt_u32_e32 vcc, 8, v12
	v_cndmask_b32_e32 v12, v21, v19, vcc
	v_cndmask_b32_e32 v18, v20, v18, vcc
	v_lshlrev_b32_e32 v10, 24, v10
	v_bfrev_b32_e32 v19, 60
	v_lshlrev_b32_e32 v18, 20, v18
	v_and_b32_e32 v10, 0x80000000, v10
	v_lshl_add_u32 v12, v12, 23, v19
	v_or3_b32 v18, v10, v12, v18
.LBB385_622:
	s_or_b64 exec, exec, s[8:9]
.LBB385_623:
	s_or_b64 exec, exec, s[6:7]
.LBB385_624:
	s_or_b64 exec, exec, s[4:5]
	v_mov_b32_e32 v10, v7
	v_cmp_ne_u16_sdwa s[6:7], v7, v11 src0_sel:BYTE_0 src1_sel:DWORD
	s_and_saveexec_b64 s[4:5], s[6:7]
	s_cbranch_execz .LBB385_630
; %bb.625:
	s_movk_i32 s3, 0x80
	v_cmp_ne_u16_sdwa s[8:9], v7, s3 src0_sel:BYTE_0 src1_sel:DWORD
	v_bfrev_b32_e32 v12, 1
	s_and_saveexec_b64 s[6:7], s[8:9]
	s_cbranch_execz .LBB385_629
; %bb.626:
	s_movk_i32 s3, 0x7f
	v_and_b32_e32 v19, 0x7f, v7
	v_cmp_ne_u32_e32 vcc, s3, v19
	v_mov_b32_e32 v12, 0x7f800001
	s_and_saveexec_b64 s[8:9], vcc
	s_cbranch_execz .LBB385_628
; %bb.627:
	v_and_b32_e32 v12, 7, v7
	v_ffbh_u32_e32 v12, v12
	v_min_u32_e32 v12, 32, v12
	v_subrev_u32_e32 v21, 28, v12
	v_cmp_gt_u32_e32 vcc, 8, v19
	v_lshrrev_b32_e32 v20, 3, v19
	v_sub_u32_e32 v12, 29, v12
	v_cndmask_b32_e32 v19, 0, v21, vcc
	v_cndmask_b32_e32 v12, v20, v12, vcc
	v_lshlrev_b64 v[20:21], v19, v[10:11]
	v_lshlrev_b32_e32 v11, 20, v20
	v_lshlrev_b32_e32 v19, 24, v10
	v_bfrev_b32_e32 v20, 60
	v_and_b32_e32 v11, 0x700000, v11
	v_and_b32_e32 v19, 0x80000000, v19
	v_lshl_add_u32 v12, v12, 23, v20
	v_or3_b32 v12, v19, v12, v11
.LBB385_628:
	s_or_b64 exec, exec, s[8:9]
.LBB385_629:
	s_or_b64 exec, exec, s[6:7]
	v_mov_b32_e32 v11, v12
.LBB385_630:
	s_or_b64 exec, exec, s[4:5]
	v_lshrrev_b16_e32 v12, 8, v10
	v_cmp_ne_u16_e32 vcc, 0, v12
	v_mov_b32_e32 v19, 0
	v_mov_b32_e32 v20, 0
	s_and_saveexec_b64 s[4:5], vcc
	s_cbranch_execz .LBB385_636
; %bb.631:
	s_movk_i32 s3, 0x80
	v_cmp_ne_u16_e32 vcc, s3, v12
	v_bfrev_b32_e32 v20, 1
	s_and_saveexec_b64 s[6:7], vcc
	s_cbranch_execz .LBB385_635
; %bb.632:
	s_movk_i32 s3, 0x7f
	v_and_b32_e32 v21, 0x7f, v12
	v_cmp_ne_u32_e32 vcc, s3, v21
	v_mov_b32_e32 v20, 0x7f800001
	s_and_saveexec_b64 s[8:9], vcc
	s_cbranch_execz .LBB385_634
; %bb.633:
	v_and_b32_e32 v20, 7, v12
	v_ffbh_u32_e32 v22, v20
	v_min_u32_e32 v26, 32, v22
	v_subrev_u32_e32 v22, 28, v26
	v_lshlrev_b64 v[22:23], v22, v[12:13]
	v_lshrrev_b32_e32 v24, 3, v21
	v_sub_u32_e32 v12, 29, v26
	v_and_b32_e32 v22, 7, v22
	v_cmp_gt_u32_e32 vcc, 8, v21
	v_cndmask_b32_e32 v12, v24, v12, vcc
	v_cndmask_b32_e32 v20, v20, v22, vcc
	v_lshlrev_b32_e32 v10, 16, v10
	v_bfrev_b32_e32 v21, 60
	v_lshlrev_b32_e32 v20, 20, v20
	v_and_b32_e32 v10, 0x80000000, v10
	v_lshl_add_u32 v12, v12, 23, v21
	v_or3_b32 v20, v10, v12, v20
.LBB385_634:
	s_or_b64 exec, exec, s[8:9]
.LBB385_635:
	s_or_b64 exec, exec, s[6:7]
.LBB385_636:
	s_or_b64 exec, exec, s[4:5]
	s_movk_i32 s3, 0xff
	v_and_b32_sdwa v12, v7, s3 dst_sel:DWORD dst_unused:UNUSED_PAD src0_sel:WORD_1 src1_sel:DWORD
	v_lshrrev_b32_e32 v10, 16, v7
	v_cmp_ne_u16_e32 vcc, 0, v12
	s_and_saveexec_b64 s[4:5], vcc
	s_cbranch_execz .LBB385_642
; %bb.637:
	s_movk_i32 s3, 0x80
	v_cmp_ne_u16_e32 vcc, s3, v12
	v_bfrev_b32_e32 v19, 1
	s_and_saveexec_b64 s[6:7], vcc
	s_cbranch_execz .LBB385_641
; %bb.638:
	v_bfe_u32 v12, v7, 16, 7
	s_movk_i32 s3, 0x7f
	v_cmp_ne_u32_e32 vcc, s3, v12
	v_mov_b32_e32 v19, 0x7f800001
	s_and_saveexec_b64 s[8:9], vcc
	s_cbranch_execz .LBB385_640
; %bb.639:
	v_and_b32_e32 v19, 7, v10
	v_ffbh_u32_e32 v22, v19
	v_min_u32_e32 v24, 32, v22
	v_subrev_u32_e32 v22, 28, v24
	v_lshlrev_b64 v[22:23], v22, v[10:11]
	v_and_b32_e32 v22, 7, v22
	v_cmp_gt_u32_e32 vcc, 8, v12
	v_lshrrev_b32_e32 v21, 3, v12
	v_sub_u32_e32 v10, 29, v24
	v_cndmask_b32_e32 v12, v19, v22, vcc
	v_mov_b32_e32 v19, 24
	v_cndmask_b32_e32 v10, v21, v10, vcc
	v_lshlrev_b32_sdwa v19, v19, v7 dst_sel:DWORD dst_unused:UNUSED_PAD src0_sel:DWORD src1_sel:WORD_1
	v_bfrev_b32_e32 v21, 60
	v_lshlrev_b32_e32 v12, 20, v12
	v_and_b32_e32 v19, 0x80000000, v19
	v_lshl_add_u32 v10, v10, 23, v21
	v_or3_b32 v19, v19, v10, v12
.LBB385_640:
	s_or_b64 exec, exec, s[8:9]
.LBB385_641:
	s_or_b64 exec, exec, s[6:7]
.LBB385_642:
	s_or_b64 exec, exec, s[4:5]
	s_mov_b32 s4, -1
	s_mov_b32 s5, 0xffffff
	v_cmp_lt_u64_e32 vcc, s[4:5], v[6:7]
	v_mov_b32_e32 v12, 0
	v_mov_b32_e32 v10, 0
	s_and_saveexec_b64 s[4:5], vcc
	s_cbranch_execz .LBB385_648
; %bb.643:
	v_lshrrev_b32_e32 v6, 24, v7
	s_movk_i32 s3, 0x80
	v_cmp_ne_u32_e32 vcc, s3, v6
	v_bfrev_b32_e32 v10, 1
	s_and_saveexec_b64 s[6:7], vcc
	s_cbranch_execz .LBB385_647
; %bb.644:
	v_bfe_u32 v7, v7, 24, 7
	s_movk_i32 s3, 0x7f
	v_cmp_ne_u32_e32 vcc, s3, v7
	v_mov_b32_e32 v10, 0x7f800001
	s_and_saveexec_b64 s[8:9], vcc
	s_cbranch_execz .LBB385_646
; %bb.645:
	v_and_b32_e32 v10, 7, v6
	v_ffbh_u32_e32 v22, v10
	v_min_u32_e32 v24, 32, v22
	v_subrev_u32_e32 v22, 28, v24
	v_lshlrev_b64 v[22:23], v22, v[6:7]
	v_lshrrev_b32_e32 v21, 3, v7
	v_sub_u32_e32 v23, 29, v24
	v_and_b32_e32 v22, 7, v22
	v_cmp_gt_u32_e32 vcc, 8, v7
	v_cndmask_b32_e32 v7, v21, v23, vcc
	v_cndmask_b32_e32 v10, v10, v22, vcc
	v_lshlrev_b32_e32 v6, 24, v6
	v_bfrev_b32_e32 v21, 60
	v_lshlrev_b32_e32 v10, 20, v10
	v_and_b32_e32 v6, 0x80000000, v6
	v_lshl_add_u32 v7, v7, 23, v21
	v_or3_b32 v10, v6, v7, v10
.LBB385_646:
	s_or_b64 exec, exec, s[8:9]
.LBB385_647:
	s_or_b64 exec, exec, s[6:7]
.LBB385_648:
	s_or_b64 exec, exec, s[4:5]
	v_cvt_pkrtz_f16_f32 v6, v16, v17
	v_cvt_pkrtz_f16_f32 v7, v13, v18
	;; [unrolled: 1-line block ×4, first 2 shown]
	v_mfma_f32_4x4x4f16 a[0:3], v[14:15], v[6:7], a[0:3] cbsz:4 abid:8
	v_cmp_ne_u16_sdwa s[6:7], v8, v12 src0_sel:BYTE_0 src1_sel:DWORD
	v_mfma_f32_4x4x4f16 a[0:3], v[14:15], v[16:17], a[0:3] cbsz:4 abid:9
	s_and_saveexec_b64 s[4:5], s[6:7]
	s_cbranch_execz .LBB385_654
; %bb.649:
	s_movk_i32 s3, 0x80
	v_cmp_ne_u16_sdwa s[8:9], v8, s3 src0_sel:BYTE_0 src1_sel:DWORD
	v_bfrev_b32_e32 v12, 1
	s_and_saveexec_b64 s[6:7], s[8:9]
	s_cbranch_execz .LBB385_653
; %bb.650:
	s_movk_i32 s3, 0x7f
	v_and_b32_e32 v6, 0x7f, v8
	v_cmp_ne_u32_e32 vcc, s3, v6
	v_mov_b32_e32 v12, 0x7f800001
	s_and_saveexec_b64 s[8:9], vcc
	s_cbranch_execz .LBB385_652
; %bb.651:
	v_and_b32_e32 v7, 7, v8
	v_ffbh_u32_e32 v7, v7
	v_min_u32_e32 v7, 32, v7
	v_subrev_u32_e32 v11, 28, v7
	v_cmp_gt_u32_e32 vcc, 8, v6
	v_lshrrev_b32_e32 v10, 3, v6
	v_sub_u32_e32 v7, 29, v7
	v_cndmask_b32_e32 v6, 0, v11, vcc
	v_cndmask_b32_e32 v10, v10, v7, vcc
	v_lshlrev_b64 v[6:7], v6, v[8:9]
	v_lshlrev_b32_e32 v6, 20, v6
	v_lshlrev_b32_e32 v7, 24, v8
	v_bfrev_b32_e32 v11, 60
	v_and_b32_e32 v6, 0x700000, v6
	v_and_b32_e32 v7, 0x80000000, v7
	v_lshl_add_u32 v10, v10, 23, v11
	v_or3_b32 v12, v7, v10, v6
.LBB385_652:
	s_or_b64 exec, exec, s[8:9]
.LBB385_653:
	s_or_b64 exec, exec, s[6:7]
.LBB385_654:
	s_or_b64 exec, exec, s[4:5]
	v_lshrrev_b16_e32 v6, 8, v8
	v_cmp_ne_u16_e32 vcc, 0, v6
	v_mov_b32_e32 v11, 0
	v_mov_b32_e32 v13, 0
	s_and_saveexec_b64 s[4:5], vcc
	s_cbranch_execz .LBB385_660
; %bb.655:
	s_movk_i32 s3, 0x80
	v_cmp_ne_u16_e32 vcc, s3, v6
	v_bfrev_b32_e32 v13, 1
	s_and_saveexec_b64 s[6:7], vcc
	s_cbranch_execz .LBB385_659
; %bb.656:
	s_movk_i32 s3, 0x7f
	v_and_b32_e32 v7, 0x7f, v6
	v_cmp_ne_u32_e32 vcc, s3, v7
	v_mov_b32_e32 v13, 0x7f800001
	s_and_saveexec_b64 s[8:9], vcc
	s_cbranch_execz .LBB385_658
; %bb.657:
	v_and_b32_e32 v10, 7, v6
	v_ffbh_u32_e32 v16, v10
	v_min_u32_e32 v18, 32, v16
	v_subrev_u32_e32 v16, 28, v18
	v_lshlrev_b64 v[16:17], v16, v[6:7]
	v_lshrrev_b32_e32 v13, 3, v7
	v_sub_u32_e32 v6, 29, v18
	v_and_b32_e32 v16, 7, v16
	v_cmp_gt_u32_e32 vcc, 8, v7
	v_cndmask_b32_e32 v6, v13, v6, vcc
	v_cndmask_b32_e32 v7, v10, v16, vcc
	v_lshlrev_b32_e32 v10, 16, v8
	v_bfrev_b32_e32 v13, 60
	v_lshlrev_b32_e32 v7, 20, v7
	v_and_b32_e32 v10, 0x80000000, v10
	v_lshl_add_u32 v6, v6, 23, v13
	v_or3_b32 v13, v10, v6, v7
.LBB385_658:
	s_or_b64 exec, exec, s[8:9]
.LBB385_659:
	s_or_b64 exec, exec, s[6:7]
.LBB385_660:
	s_or_b64 exec, exec, s[4:5]
	s_movk_i32 s3, 0xff
	v_and_b32_sdwa v7, v8, s3 dst_sel:DWORD dst_unused:UNUSED_PAD src0_sel:WORD_1 src1_sel:DWORD
	v_lshrrev_b32_e32 v6, 16, v8
	v_cmp_ne_u16_e32 vcc, 0, v7
	s_and_saveexec_b64 s[4:5], vcc
	s_cbranch_execz .LBB385_666
; %bb.661:
	s_movk_i32 s3, 0x80
	v_cmp_ne_u16_e32 vcc, s3, v7
	v_bfrev_b32_e32 v11, 1
	s_and_saveexec_b64 s[6:7], vcc
	s_cbranch_execz .LBB385_665
; %bb.662:
	v_bfe_u32 v7, v8, 16, 7
	s_movk_i32 s3, 0x7f
	v_cmp_ne_u32_e32 vcc, s3, v7
	v_mov_b32_e32 v11, 0x7f800001
	s_and_saveexec_b64 s[8:9], vcc
	s_cbranch_execz .LBB385_664
; %bb.663:
	v_and_b32_e32 v16, 7, v6
	v_ffbh_u32_e32 v10, v16
	v_min_u32_e32 v18, 32, v10
	v_subrev_u32_e32 v10, 28, v18
	v_lshlrev_b64 v[10:11], v10, v[6:7]
	v_and_b32_e32 v10, 7, v10
	v_cmp_gt_u32_e32 vcc, 8, v7
	v_lshrrev_b32_e32 v17, 3, v7
	v_sub_u32_e32 v6, 29, v18
	v_cndmask_b32_e32 v7, v16, v10, vcc
	v_mov_b32_e32 v10, 24
	v_cndmask_b32_e32 v6, v17, v6, vcc
	v_lshlrev_b32_sdwa v10, v10, v8 dst_sel:DWORD dst_unused:UNUSED_PAD src0_sel:DWORD src1_sel:WORD_1
	v_bfrev_b32_e32 v11, 60
	v_lshlrev_b32_e32 v7, 20, v7
	v_and_b32_e32 v10, 0x80000000, v10
	v_lshl_add_u32 v6, v6, 23, v11
	v_or3_b32 v11, v10, v6, v7
.LBB385_664:
	s_or_b64 exec, exec, s[8:9]
.LBB385_665:
	s_or_b64 exec, exec, s[6:7]
.LBB385_666:
	s_or_b64 exec, exec, s[4:5]
	s_mov_b32 s3, 0xffffff
	v_cmp_lt_u32_e32 vcc, s3, v8
	v_mov_b32_e32 v7, 0
	v_mov_b32_e32 v16, 0
	s_and_saveexec_b64 s[4:5], vcc
	s_cbranch_execz .LBB385_672
; %bb.667:
	v_lshrrev_b32_e32 v6, 24, v8
	s_movk_i32 s3, 0x80
	v_cmp_ne_u32_e32 vcc, s3, v6
	v_bfrev_b32_e32 v16, 1
	s_and_saveexec_b64 s[6:7], vcc
	s_cbranch_execz .LBB385_671
; %bb.668:
	v_bfe_u32 v10, v8, 24, 7
	s_movk_i32 s3, 0x7f
	v_cmp_ne_u32_e32 vcc, s3, v10
	v_mov_b32_e32 v16, 0x7f800001
	s_and_saveexec_b64 s[8:9], vcc
	s_cbranch_execz .LBB385_670
; %bb.669:
	v_and_b32_e32 v18, 7, v6
	v_ffbh_u32_e32 v16, v18
	v_min_u32_e32 v20, 32, v16
	v_subrev_u32_e32 v16, 28, v20
	v_lshlrev_b64 v[16:17], v16, v[6:7]
	v_lshrrev_b32_e32 v19, 3, v10
	v_sub_u32_e32 v17, 29, v20
	v_and_b32_e32 v16, 7, v16
	v_cmp_gt_u32_e32 vcc, 8, v10
	v_cndmask_b32_e32 v10, v19, v17, vcc
	v_cndmask_b32_e32 v16, v18, v16, vcc
	v_lshlrev_b32_e32 v6, 24, v6
	v_bfrev_b32_e32 v17, 60
	v_lshlrev_b32_e32 v16, 20, v16
	v_and_b32_e32 v6, 0x80000000, v6
	v_lshl_add_u32 v10, v10, 23, v17
	v_or3_b32 v16, v6, v10, v16
.LBB385_670:
	s_or_b64 exec, exec, s[8:9]
.LBB385_671:
	s_or_b64 exec, exec, s[6:7]
.LBB385_672:
	s_or_b64 exec, exec, s[4:5]
	v_mov_b32_e32 v6, v9
	v_cmp_ne_u16_sdwa s[6:7], v9, v7 src0_sel:BYTE_0 src1_sel:DWORD
	s_and_saveexec_b64 s[4:5], s[6:7]
	s_cbranch_execz .LBB385_678
; %bb.673:
	s_movk_i32 s3, 0x80
	v_cmp_ne_u16_sdwa s[8:9], v9, s3 src0_sel:BYTE_0 src1_sel:DWORD
	v_bfrev_b32_e32 v10, 1
	s_and_saveexec_b64 s[6:7], s[8:9]
	s_cbranch_execz .LBB385_677
; %bb.674:
	s_movk_i32 s3, 0x7f
	v_and_b32_e32 v17, 0x7f, v9
	v_cmp_ne_u32_e32 vcc, s3, v17
	v_mov_b32_e32 v10, 0x7f800001
	s_and_saveexec_b64 s[8:9], vcc
	s_cbranch_execz .LBB385_676
; %bb.675:
	v_and_b32_e32 v10, 7, v9
	v_ffbh_u32_e32 v10, v10
	v_min_u32_e32 v10, 32, v10
	v_subrev_u32_e32 v19, 28, v10
	v_cmp_gt_u32_e32 vcc, 8, v17
	v_lshrrev_b32_e32 v18, 3, v17
	v_sub_u32_e32 v10, 29, v10
	v_cndmask_b32_e32 v17, 0, v19, vcc
	v_cndmask_b32_e32 v10, v18, v10, vcc
	v_lshlrev_b64 v[18:19], v17, v[6:7]
	v_lshlrev_b32_e32 v7, 20, v18
	v_lshlrev_b32_e32 v17, 24, v6
	v_bfrev_b32_e32 v18, 60
	v_and_b32_e32 v7, 0x700000, v7
	v_and_b32_e32 v17, 0x80000000, v17
	v_lshl_add_u32 v10, v10, 23, v18
	v_or3_b32 v10, v17, v10, v7
.LBB385_676:
	s_or_b64 exec, exec, s[8:9]
.LBB385_677:
	s_or_b64 exec, exec, s[6:7]
	v_mov_b32_e32 v7, v10
.LBB385_678:
	s_or_b64 exec, exec, s[4:5]
	v_lshrrev_b16_e32 v10, 8, v6
	v_cmp_ne_u16_e32 vcc, 0, v10
	v_mov_b32_e32 v17, 0
	v_mov_b32_e32 v18, 0
	s_and_saveexec_b64 s[4:5], vcc
	s_cbranch_execz .LBB385_684
; %bb.679:
	s_movk_i32 s3, 0x80
	v_cmp_ne_u16_e32 vcc, s3, v10
	v_bfrev_b32_e32 v18, 1
	s_and_saveexec_b64 s[6:7], vcc
	s_cbranch_execz .LBB385_683
; %bb.680:
	s_movk_i32 s3, 0x7f
	v_and_b32_e32 v19, 0x7f, v10
	v_cmp_ne_u32_e32 vcc, s3, v19
	v_mov_b32_e32 v18, 0x7f800001
	s_and_saveexec_b64 s[8:9], vcc
	s_cbranch_execz .LBB385_682
; %bb.681:
	v_and_b32_e32 v18, 7, v10
	v_ffbh_u32_e32 v20, v18
	v_min_u32_e32 v23, 32, v20
	v_subrev_u32_e32 v20, 28, v23
	v_lshlrev_b64 v[20:21], v20, v[10:11]
	v_lshrrev_b32_e32 v22, 3, v19
	v_sub_u32_e32 v10, 29, v23
	v_and_b32_e32 v20, 7, v20
	v_cmp_gt_u32_e32 vcc, 8, v19
	v_cndmask_b32_e32 v10, v22, v10, vcc
	v_cndmask_b32_e32 v18, v18, v20, vcc
	v_lshlrev_b32_e32 v6, 16, v6
	v_bfrev_b32_e32 v19, 60
	v_lshlrev_b32_e32 v18, 20, v18
	v_and_b32_e32 v6, 0x80000000, v6
	v_lshl_add_u32 v10, v10, 23, v19
	v_or3_b32 v18, v6, v10, v18
.LBB385_682:
	s_or_b64 exec, exec, s[8:9]
.LBB385_683:
	s_or_b64 exec, exec, s[6:7]
.LBB385_684:
	s_or_b64 exec, exec, s[4:5]
	s_movk_i32 s3, 0xff
	v_and_b32_sdwa v10, v9, s3 dst_sel:DWORD dst_unused:UNUSED_PAD src0_sel:WORD_1 src1_sel:DWORD
	v_lshrrev_b32_e32 v6, 16, v9
	v_cmp_ne_u16_e32 vcc, 0, v10
	s_and_saveexec_b64 s[4:5], vcc
	s_cbranch_execz .LBB385_690
; %bb.685:
	s_movk_i32 s3, 0x80
	v_cmp_ne_u16_e32 vcc, s3, v10
	v_bfrev_b32_e32 v17, 1
	s_and_saveexec_b64 s[6:7], vcc
	s_cbranch_execz .LBB385_689
; %bb.686:
	v_bfe_u32 v10, v9, 16, 7
	s_movk_i32 s3, 0x7f
	v_cmp_ne_u32_e32 vcc, s3, v10
	v_mov_b32_e32 v17, 0x7f800001
	s_and_saveexec_b64 s[8:9], vcc
	s_cbranch_execz .LBB385_688
; %bb.687:
	v_and_b32_e32 v17, 7, v6
	v_ffbh_u32_e32 v20, v17
	v_min_u32_e32 v22, 32, v20
	v_subrev_u32_e32 v20, 28, v22
	v_lshlrev_b64 v[20:21], v20, v[6:7]
	v_and_b32_e32 v20, 7, v20
	v_cmp_gt_u32_e32 vcc, 8, v10
	v_lshrrev_b32_e32 v19, 3, v10
	v_sub_u32_e32 v6, 29, v22
	v_cndmask_b32_e32 v10, v17, v20, vcc
	v_mov_b32_e32 v17, 24
	v_cndmask_b32_e32 v6, v19, v6, vcc
	v_lshlrev_b32_sdwa v17, v17, v9 dst_sel:DWORD dst_unused:UNUSED_PAD src0_sel:DWORD src1_sel:WORD_1
	v_bfrev_b32_e32 v19, 60
	v_lshlrev_b32_e32 v10, 20, v10
	v_and_b32_e32 v17, 0x80000000, v17
	v_lshl_add_u32 v6, v6, 23, v19
	v_or3_b32 v17, v17, v6, v10
.LBB385_688:
	s_or_b64 exec, exec, s[8:9]
.LBB385_689:
	s_or_b64 exec, exec, s[6:7]
.LBB385_690:
	s_or_b64 exec, exec, s[4:5]
	s_mov_b32 s4, -1
	s_mov_b32 s5, 0xffffff
	v_cmp_lt_u64_e32 vcc, s[4:5], v[8:9]
	v_mov_b32_e32 v10, 0
	v_mov_b32_e32 v8, 0
	s_and_saveexec_b64 s[4:5], vcc
	s_cbranch_execz .LBB385_696
; %bb.691:
	v_lshrrev_b32_e32 v6, 24, v9
	s_movk_i32 s3, 0x80
	v_cmp_ne_u32_e32 vcc, s3, v6
	v_bfrev_b32_e32 v8, 1
	s_and_saveexec_b64 s[6:7], vcc
	s_cbranch_execz .LBB385_695
; %bb.692:
	v_bfe_u32 v9, v9, 24, 7
	s_movk_i32 s3, 0x7f
	v_cmp_ne_u32_e32 vcc, s3, v9
	v_mov_b32_e32 v8, 0x7f800001
	s_and_saveexec_b64 s[8:9], vcc
	s_cbranch_execz .LBB385_694
; %bb.693:
	v_and_b32_e32 v8, 7, v6
	v_ffbh_u32_e32 v20, v8
	v_min_u32_e32 v22, 32, v20
	v_subrev_u32_e32 v20, 28, v22
	v_lshlrev_b64 v[20:21], v20, v[6:7]
	v_lshrrev_b32_e32 v19, 3, v9
	v_sub_u32_e32 v21, 29, v22
	v_and_b32_e32 v20, 7, v20
	v_cmp_gt_u32_e32 vcc, 8, v9
	v_cndmask_b32_e32 v9, v19, v21, vcc
	v_cndmask_b32_e32 v8, v8, v20, vcc
	v_lshlrev_b32_e32 v6, 24, v6
	v_bfrev_b32_e32 v19, 60
	v_lshlrev_b32_e32 v8, 20, v8
	v_and_b32_e32 v6, 0x80000000, v6
	v_lshl_add_u32 v9, v9, 23, v19
	v_or3_b32 v8, v6, v9, v8
.LBB385_694:
	s_or_b64 exec, exec, s[8:9]
.LBB385_695:
	s_or_b64 exec, exec, s[6:7]
.LBB385_696:
	s_or_b64 exec, exec, s[4:5]
	v_cvt_pkrtz_f16_f32 v12, v12, v13
	v_cvt_pkrtz_f16_f32 v13, v11, v16
	;; [unrolled: 1-line block ×4, first 2 shown]
	v_mfma_f32_4x4x4f16 a[0:3], v[14:15], v[12:13], a[0:3] cbsz:4 abid:10
	s_waitcnt vmcnt(0)
	v_cmp_ne_u16_sdwa s[6:7], v2, v10 src0_sel:BYTE_0 src1_sel:DWORD
	v_mfma_f32_4x4x4f16 a[0:3], v[14:15], v[6:7], a[0:3] cbsz:4 abid:11
	s_and_saveexec_b64 s[4:5], s[6:7]
	s_cbranch_execz .LBB385_702
; %bb.697:
	s_movk_i32 s3, 0x80
	v_cmp_ne_u16_sdwa s[8:9], v2, s3 src0_sel:BYTE_0 src1_sel:DWORD
	v_bfrev_b32_e32 v10, 1
	s_and_saveexec_b64 s[6:7], s[8:9]
	s_cbranch_execz .LBB385_701
; %bb.698:
	s_movk_i32 s3, 0x7f
	v_and_b32_e32 v6, 0x7f, v2
	v_cmp_ne_u32_e32 vcc, s3, v6
	v_mov_b32_e32 v10, 0x7f800001
	s_and_saveexec_b64 s[8:9], vcc
	s_cbranch_execz .LBB385_700
; %bb.699:
	v_and_b32_e32 v7, 7, v2
	v_ffbh_u32_e32 v7, v7
	v_min_u32_e32 v7, 32, v7
	v_subrev_u32_e32 v9, 28, v7
	v_cmp_gt_u32_e32 vcc, 8, v6
	v_lshrrev_b32_e32 v8, 3, v6
	v_sub_u32_e32 v7, 29, v7
	v_cndmask_b32_e32 v6, 0, v9, vcc
	v_cndmask_b32_e32 v8, v8, v7, vcc
	v_lshlrev_b64 v[6:7], v6, v[2:3]
	v_lshlrev_b32_e32 v6, 20, v6
	v_lshlrev_b32_e32 v7, 24, v2
	v_bfrev_b32_e32 v9, 60
	v_and_b32_e32 v6, 0x700000, v6
	v_and_b32_e32 v7, 0x80000000, v7
	v_lshl_add_u32 v8, v8, 23, v9
	v_or3_b32 v10, v7, v8, v6
.LBB385_700:
	s_or_b64 exec, exec, s[8:9]
.LBB385_701:
	s_or_b64 exec, exec, s[6:7]
.LBB385_702:
	s_or_b64 exec, exec, s[4:5]
	v_lshrrev_b16_e32 v6, 8, v2
	v_cmp_ne_u16_e32 vcc, 0, v6
	v_mov_b32_e32 v9, 0
	v_mov_b32_e32 v11, 0
	s_and_saveexec_b64 s[4:5], vcc
	s_cbranch_execz .LBB385_708
; %bb.703:
	s_movk_i32 s3, 0x80
	v_cmp_ne_u16_e32 vcc, s3, v6
	v_bfrev_b32_e32 v11, 1
	s_and_saveexec_b64 s[6:7], vcc
	s_cbranch_execz .LBB385_707
; %bb.704:
	s_movk_i32 s3, 0x7f
	v_and_b32_e32 v7, 0x7f, v6
	v_cmp_ne_u32_e32 vcc, s3, v7
	v_mov_b32_e32 v11, 0x7f800001
	s_and_saveexec_b64 s[8:9], vcc
	s_cbranch_execz .LBB385_706
; %bb.705:
	v_and_b32_e32 v8, 7, v6
	v_ffbh_u32_e32 v12, v8
	v_min_u32_e32 v16, 32, v12
	v_subrev_u32_e32 v12, 28, v16
	v_lshlrev_b64 v[12:13], v12, v[6:7]
	v_lshrrev_b32_e32 v11, 3, v7
	v_sub_u32_e32 v6, 29, v16
	v_and_b32_e32 v12, 7, v12
	v_cmp_gt_u32_e32 vcc, 8, v7
	v_cndmask_b32_e32 v6, v11, v6, vcc
	v_cndmask_b32_e32 v7, v8, v12, vcc
	v_lshlrev_b32_e32 v8, 16, v2
	v_bfrev_b32_e32 v11, 60
	v_lshlrev_b32_e32 v7, 20, v7
	v_and_b32_e32 v8, 0x80000000, v8
	v_lshl_add_u32 v6, v6, 23, v11
	v_or3_b32 v11, v8, v6, v7
.LBB385_706:
	s_or_b64 exec, exec, s[8:9]
.LBB385_707:
	s_or_b64 exec, exec, s[6:7]
.LBB385_708:
	s_or_b64 exec, exec, s[4:5]
	s_movk_i32 s3, 0xff
	v_and_b32_sdwa v7, v2, s3 dst_sel:DWORD dst_unused:UNUSED_PAD src0_sel:WORD_1 src1_sel:DWORD
	v_lshrrev_b32_e32 v6, 16, v2
	v_cmp_ne_u16_e32 vcc, 0, v7
	s_and_saveexec_b64 s[4:5], vcc
	s_cbranch_execz .LBB385_714
; %bb.709:
	s_movk_i32 s3, 0x80
	v_cmp_ne_u16_e32 vcc, s3, v7
	v_bfrev_b32_e32 v9, 1
	s_and_saveexec_b64 s[6:7], vcc
	s_cbranch_execz .LBB385_713
; %bb.710:
	v_bfe_u32 v7, v2, 16, 7
	s_movk_i32 s3, 0x7f
	v_cmp_ne_u32_e32 vcc, s3, v7
	v_mov_b32_e32 v9, 0x7f800001
	s_and_saveexec_b64 s[8:9], vcc
	s_cbranch_execz .LBB385_712
; %bb.711:
	v_and_b32_e32 v12, 7, v6
	v_ffbh_u32_e32 v8, v12
	v_min_u32_e32 v16, 32, v8
	v_subrev_u32_e32 v8, 28, v16
	v_lshlrev_b64 v[8:9], v8, v[6:7]
	v_and_b32_e32 v8, 7, v8
	v_cmp_gt_u32_e32 vcc, 8, v7
	v_lshrrev_b32_e32 v13, 3, v7
	v_sub_u32_e32 v6, 29, v16
	v_cndmask_b32_e32 v7, v12, v8, vcc
	v_mov_b32_e32 v8, 24
	v_cndmask_b32_e32 v6, v13, v6, vcc
	v_lshlrev_b32_sdwa v8, v8, v2 dst_sel:DWORD dst_unused:UNUSED_PAD src0_sel:DWORD src1_sel:WORD_1
	v_bfrev_b32_e32 v9, 60
	v_lshlrev_b32_e32 v7, 20, v7
	v_and_b32_e32 v8, 0x80000000, v8
	v_lshl_add_u32 v6, v6, 23, v9
	v_or3_b32 v9, v8, v6, v7
.LBB385_712:
	s_or_b64 exec, exec, s[8:9]
.LBB385_713:
	s_or_b64 exec, exec, s[6:7]
.LBB385_714:
	s_or_b64 exec, exec, s[4:5]
	s_mov_b32 s3, 0xffffff
	v_cmp_lt_u32_e32 vcc, s3, v2
	v_mov_b32_e32 v7, 0
	v_mov_b32_e32 v12, 0
	s_and_saveexec_b64 s[4:5], vcc
	s_cbranch_execz .LBB385_720
; %bb.715:
	v_lshrrev_b32_e32 v6, 24, v2
	s_movk_i32 s3, 0x80
	v_cmp_ne_u32_e32 vcc, s3, v6
	v_bfrev_b32_e32 v12, 1
	s_and_saveexec_b64 s[6:7], vcc
	s_cbranch_execz .LBB385_719
; %bb.716:
	v_bfe_u32 v8, v2, 24, 7
	s_movk_i32 s3, 0x7f
	v_cmp_ne_u32_e32 vcc, s3, v8
	v_mov_b32_e32 v12, 0x7f800001
	s_and_saveexec_b64 s[8:9], vcc
	s_cbranch_execz .LBB385_718
; %bb.717:
	v_and_b32_e32 v16, 7, v6
	v_ffbh_u32_e32 v12, v16
	v_min_u32_e32 v18, 32, v12
	v_subrev_u32_e32 v12, 28, v18
	v_lshlrev_b64 v[12:13], v12, v[6:7]
	v_lshrrev_b32_e32 v17, 3, v8
	v_sub_u32_e32 v13, 29, v18
	v_and_b32_e32 v12, 7, v12
	v_cmp_gt_u32_e32 vcc, 8, v8
	v_cndmask_b32_e32 v8, v17, v13, vcc
	v_cndmask_b32_e32 v12, v16, v12, vcc
	v_lshlrev_b32_e32 v6, 24, v6
	v_bfrev_b32_e32 v13, 60
	v_lshlrev_b32_e32 v12, 20, v12
	v_and_b32_e32 v6, 0x80000000, v6
	v_lshl_add_u32 v8, v8, 23, v13
	v_or3_b32 v12, v6, v8, v12
.LBB385_718:
	s_or_b64 exec, exec, s[8:9]
.LBB385_719:
	s_or_b64 exec, exec, s[6:7]
.LBB385_720:
	s_or_b64 exec, exec, s[4:5]
	v_mov_b32_e32 v6, v3
	v_cmp_ne_u16_sdwa s[6:7], v3, v7 src0_sel:BYTE_0 src1_sel:DWORD
	s_and_saveexec_b64 s[4:5], s[6:7]
	s_cbranch_execz .LBB385_726
; %bb.721:
	s_movk_i32 s3, 0x80
	v_cmp_ne_u16_sdwa s[8:9], v3, s3 src0_sel:BYTE_0 src1_sel:DWORD
	v_bfrev_b32_e32 v8, 1
	s_and_saveexec_b64 s[6:7], s[8:9]
	s_cbranch_execz .LBB385_725
; %bb.722:
	s_movk_i32 s3, 0x7f
	v_and_b32_e32 v13, 0x7f, v3
	v_cmp_ne_u32_e32 vcc, s3, v13
	v_mov_b32_e32 v8, 0x7f800001
	s_and_saveexec_b64 s[8:9], vcc
	s_cbranch_execz .LBB385_724
; %bb.723:
	v_and_b32_e32 v8, 7, v3
	v_ffbh_u32_e32 v8, v8
	v_min_u32_e32 v8, 32, v8
	v_subrev_u32_e32 v17, 28, v8
	v_cmp_gt_u32_e32 vcc, 8, v13
	v_lshrrev_b32_e32 v16, 3, v13
	v_sub_u32_e32 v8, 29, v8
	v_cndmask_b32_e32 v13, 0, v17, vcc
	v_cndmask_b32_e32 v8, v16, v8, vcc
	v_lshlrev_b64 v[16:17], v13, v[6:7]
	v_lshlrev_b32_e32 v7, 20, v16
	v_lshlrev_b32_e32 v13, 24, v6
	v_bfrev_b32_e32 v16, 60
	v_and_b32_e32 v7, 0x700000, v7
	v_and_b32_e32 v13, 0x80000000, v13
	v_lshl_add_u32 v8, v8, 23, v16
	v_or3_b32 v8, v13, v8, v7
.LBB385_724:
	s_or_b64 exec, exec, s[8:9]
.LBB385_725:
	s_or_b64 exec, exec, s[6:7]
	v_mov_b32_e32 v7, v8
.LBB385_726:
	s_or_b64 exec, exec, s[4:5]
	v_lshrrev_b16_e32 v8, 8, v6
	v_cmp_ne_u16_e32 vcc, 0, v8
	v_mov_b32_e32 v13, 0
	v_mov_b32_e32 v16, 0
	s_and_saveexec_b64 s[4:5], vcc
	s_cbranch_execz .LBB385_732
; %bb.727:
	s_movk_i32 s3, 0x80
	v_cmp_ne_u16_e32 vcc, s3, v8
	v_bfrev_b32_e32 v16, 1
	s_and_saveexec_b64 s[6:7], vcc
	s_cbranch_execz .LBB385_731
; %bb.728:
	s_movk_i32 s3, 0x7f
	v_and_b32_e32 v17, 0x7f, v8
	v_cmp_ne_u32_e32 vcc, s3, v17
	v_mov_b32_e32 v16, 0x7f800001
	s_and_saveexec_b64 s[8:9], vcc
	s_cbranch_execz .LBB385_730
; %bb.729:
	v_and_b32_e32 v16, 7, v8
	v_ffbh_u32_e32 v18, v16
	v_min_u32_e32 v21, 32, v18
	v_subrev_u32_e32 v18, 28, v21
	v_lshlrev_b64 v[18:19], v18, v[8:9]
	v_lshrrev_b32_e32 v20, 3, v17
	v_sub_u32_e32 v8, 29, v21
	v_and_b32_e32 v18, 7, v18
	v_cmp_gt_u32_e32 vcc, 8, v17
	v_cndmask_b32_e32 v8, v20, v8, vcc
	v_cndmask_b32_e32 v16, v16, v18, vcc
	v_lshlrev_b32_e32 v6, 16, v6
	v_bfrev_b32_e32 v17, 60
	v_lshlrev_b32_e32 v16, 20, v16
	v_and_b32_e32 v6, 0x80000000, v6
	v_lshl_add_u32 v8, v8, 23, v17
	v_or3_b32 v16, v6, v8, v16
.LBB385_730:
	s_or_b64 exec, exec, s[8:9]
.LBB385_731:
	s_or_b64 exec, exec, s[6:7]
.LBB385_732:
	s_or_b64 exec, exec, s[4:5]
	s_movk_i32 s3, 0xff
	v_and_b32_sdwa v8, v3, s3 dst_sel:DWORD dst_unused:UNUSED_PAD src0_sel:WORD_1 src1_sel:DWORD
	v_lshrrev_b32_e32 v6, 16, v3
	v_cmp_ne_u16_e32 vcc, 0, v8
	s_and_saveexec_b64 s[4:5], vcc
	s_cbranch_execz .LBB385_738
; %bb.733:
	s_movk_i32 s3, 0x80
	v_cmp_ne_u16_e32 vcc, s3, v8
	v_bfrev_b32_e32 v13, 1
	s_and_saveexec_b64 s[6:7], vcc
	s_cbranch_execz .LBB385_737
; %bb.734:
	v_bfe_u32 v8, v3, 16, 7
	s_movk_i32 s3, 0x7f
	v_cmp_ne_u32_e32 vcc, s3, v8
	v_mov_b32_e32 v13, 0x7f800001
	s_and_saveexec_b64 s[8:9], vcc
	s_cbranch_execz .LBB385_736
; %bb.735:
	v_and_b32_e32 v13, 7, v6
	v_ffbh_u32_e32 v18, v13
	v_min_u32_e32 v20, 32, v18
	v_subrev_u32_e32 v18, 28, v20
	v_lshlrev_b64 v[18:19], v18, v[6:7]
	v_and_b32_e32 v18, 7, v18
	v_cmp_gt_u32_e32 vcc, 8, v8
	v_lshrrev_b32_e32 v17, 3, v8
	v_sub_u32_e32 v6, 29, v20
	v_cndmask_b32_e32 v8, v13, v18, vcc
	v_mov_b32_e32 v13, 24
	v_cndmask_b32_e32 v6, v17, v6, vcc
	v_lshlrev_b32_sdwa v13, v13, v3 dst_sel:DWORD dst_unused:UNUSED_PAD src0_sel:DWORD src1_sel:WORD_1
	v_bfrev_b32_e32 v17, 60
	v_lshlrev_b32_e32 v8, 20, v8
	v_and_b32_e32 v13, 0x80000000, v13
	v_lshl_add_u32 v6, v6, 23, v17
	v_or3_b32 v13, v13, v6, v8
.LBB385_736:
	s_or_b64 exec, exec, s[8:9]
.LBB385_737:
	s_or_b64 exec, exec, s[6:7]
.LBB385_738:
	s_or_b64 exec, exec, s[4:5]
	s_mov_b32 s4, -1
	s_mov_b32 s5, 0xffffff
	v_cmp_lt_u64_e32 vcc, s[4:5], v[2:3]
	v_mov_b32_e32 v8, 0
	v_mov_b32_e32 v6, 0
	s_and_saveexec_b64 s[4:5], vcc
	s_cbranch_execz .LBB385_744
; %bb.739:
	v_lshrrev_b32_e32 v2, 24, v3
	s_movk_i32 s3, 0x80
	v_cmp_ne_u32_e32 vcc, s3, v2
	v_bfrev_b32_e32 v6, 1
	s_and_saveexec_b64 s[6:7], vcc
	s_cbranch_execz .LBB385_743
; %bb.740:
	v_bfe_u32 v3, v3, 24, 7
	s_movk_i32 s3, 0x7f
	v_cmp_ne_u32_e32 vcc, s3, v3
	v_mov_b32_e32 v6, 0x7f800001
	s_and_saveexec_b64 s[8:9], vcc
	s_cbranch_execz .LBB385_742
; %bb.741:
	v_and_b32_e32 v6, 7, v2
	v_ffbh_u32_e32 v18, v6
	v_min_u32_e32 v20, 32, v18
	v_subrev_u32_e32 v18, 28, v20
	v_lshlrev_b64 v[18:19], v18, v[2:3]
	v_lshrrev_b32_e32 v17, 3, v3
	v_sub_u32_e32 v19, 29, v20
	v_and_b32_e32 v18, 7, v18
	v_cmp_gt_u32_e32 vcc, 8, v3
	v_cndmask_b32_e32 v3, v17, v19, vcc
	v_cndmask_b32_e32 v6, v6, v18, vcc
	v_lshlrev_b32_e32 v2, 24, v2
	v_bfrev_b32_e32 v17, 60
	v_lshlrev_b32_e32 v6, 20, v6
	v_and_b32_e32 v2, 0x80000000, v2
	v_lshl_add_u32 v3, v3, 23, v17
	v_or3_b32 v6, v2, v3, v6
.LBB385_742:
	s_or_b64 exec, exec, s[8:9]
.LBB385_743:
	s_or_b64 exec, exec, s[6:7]
.LBB385_744:
	s_or_b64 exec, exec, s[4:5]
	v_cvt_pkrtz_f16_f32 v2, v10, v11
	v_cvt_pkrtz_f16_f32 v3, v9, v12
	;; [unrolled: 1-line block ×4, first 2 shown]
	v_mfma_f32_4x4x4f16 a[0:3], v[14:15], v[2:3], a[0:3] cbsz:4 abid:12
	v_cmp_ne_u16_sdwa s[6:7], v4, v8 src0_sel:BYTE_0 src1_sel:DWORD
	v_mfma_f32_4x4x4f16 a[0:3], v[14:15], v[10:11], a[0:3] cbsz:4 abid:13
	s_and_saveexec_b64 s[4:5], s[6:7]
	s_cbranch_execz .LBB385_750
; %bb.745:
	s_movk_i32 s3, 0x80
	v_cmp_ne_u16_sdwa s[8:9], v4, s3 src0_sel:BYTE_0 src1_sel:DWORD
	v_bfrev_b32_e32 v8, 1
	s_and_saveexec_b64 s[6:7], s[8:9]
	s_cbranch_execz .LBB385_749
; %bb.746:
	s_movk_i32 s3, 0x7f
	v_and_b32_e32 v2, 0x7f, v4
	v_cmp_ne_u32_e32 vcc, s3, v2
	v_mov_b32_e32 v8, 0x7f800001
	s_and_saveexec_b64 s[8:9], vcc
	s_cbranch_execz .LBB385_748
; %bb.747:
	v_and_b32_e32 v3, 7, v4
	v_ffbh_u32_e32 v3, v3
	v_min_u32_e32 v3, 32, v3
	v_subrev_u32_e32 v7, 28, v3
	v_cmp_gt_u32_e32 vcc, 8, v2
	v_lshrrev_b32_e32 v6, 3, v2
	v_sub_u32_e32 v3, 29, v3
	v_cndmask_b32_e32 v2, 0, v7, vcc
	v_cndmask_b32_e32 v6, v6, v3, vcc
	v_lshlrev_b64 v[2:3], v2, v[4:5]
	v_lshlrev_b32_e32 v2, 20, v2
	v_lshlrev_b32_e32 v3, 24, v4
	v_bfrev_b32_e32 v7, 60
	v_and_b32_e32 v2, 0x700000, v2
	v_and_b32_e32 v3, 0x80000000, v3
	v_lshl_add_u32 v6, v6, 23, v7
	v_or3_b32 v8, v3, v6, v2
.LBB385_748:
	s_or_b64 exec, exec, s[8:9]
.LBB385_749:
	s_or_b64 exec, exec, s[6:7]
.LBB385_750:
	s_or_b64 exec, exec, s[4:5]
	v_lshrrev_b16_e32 v2, 8, v4
	v_cmp_ne_u16_e32 vcc, 0, v2
	v_mov_b32_e32 v7, 0
	v_mov_b32_e32 v9, 0
	s_and_saveexec_b64 s[4:5], vcc
	s_cbranch_execz .LBB385_756
; %bb.751:
	s_movk_i32 s3, 0x80
	v_cmp_ne_u16_e32 vcc, s3, v2
	v_bfrev_b32_e32 v9, 1
	s_and_saveexec_b64 s[6:7], vcc
	s_cbranch_execz .LBB385_755
; %bb.752:
	s_movk_i32 s3, 0x7f
	v_and_b32_e32 v3, 0x7f, v2
	v_cmp_ne_u32_e32 vcc, s3, v3
	v_mov_b32_e32 v9, 0x7f800001
	s_and_saveexec_b64 s[8:9], vcc
	s_cbranch_execz .LBB385_754
; %bb.753:
	v_and_b32_e32 v6, 7, v2
	v_ffbh_u32_e32 v10, v6
	v_min_u32_e32 v12, 32, v10
	v_subrev_u32_e32 v10, 28, v12
	v_lshlrev_b64 v[10:11], v10, v[2:3]
	v_lshrrev_b32_e32 v9, 3, v3
	v_sub_u32_e32 v2, 29, v12
	v_and_b32_e32 v10, 7, v10
	v_cmp_gt_u32_e32 vcc, 8, v3
	v_cndmask_b32_e32 v2, v9, v2, vcc
	v_cndmask_b32_e32 v3, v6, v10, vcc
	v_lshlrev_b32_e32 v6, 16, v4
	v_bfrev_b32_e32 v9, 60
	v_lshlrev_b32_e32 v3, 20, v3
	v_and_b32_e32 v6, 0x80000000, v6
	v_lshl_add_u32 v2, v2, 23, v9
	v_or3_b32 v9, v6, v2, v3
.LBB385_754:
	s_or_b64 exec, exec, s[8:9]
.LBB385_755:
	s_or_b64 exec, exec, s[6:7]
.LBB385_756:
	s_or_b64 exec, exec, s[4:5]
	s_movk_i32 s3, 0xff
	v_and_b32_sdwa v3, v4, s3 dst_sel:DWORD dst_unused:UNUSED_PAD src0_sel:WORD_1 src1_sel:DWORD
	v_lshrrev_b32_e32 v2, 16, v4
	v_cmp_ne_u16_e32 vcc, 0, v3
	s_and_saveexec_b64 s[4:5], vcc
	s_cbranch_execz .LBB385_762
; %bb.757:
	s_movk_i32 s3, 0x80
	v_cmp_ne_u16_e32 vcc, s3, v3
	v_bfrev_b32_e32 v7, 1
	s_and_saveexec_b64 s[6:7], vcc
	s_cbranch_execz .LBB385_761
; %bb.758:
	v_bfe_u32 v3, v4, 16, 7
	s_movk_i32 s3, 0x7f
	v_cmp_ne_u32_e32 vcc, s3, v3
	v_mov_b32_e32 v7, 0x7f800001
	s_and_saveexec_b64 s[8:9], vcc
	s_cbranch_execz .LBB385_760
; %bb.759:
	v_and_b32_e32 v10, 7, v2
	v_ffbh_u32_e32 v6, v10
	v_min_u32_e32 v12, 32, v6
	v_subrev_u32_e32 v6, 28, v12
	v_lshlrev_b64 v[6:7], v6, v[2:3]
	v_and_b32_e32 v6, 7, v6
	v_cmp_gt_u32_e32 vcc, 8, v3
	v_lshrrev_b32_e32 v11, 3, v3
	v_sub_u32_e32 v2, 29, v12
	v_cndmask_b32_e32 v3, v10, v6, vcc
	v_mov_b32_e32 v6, 24
	v_cndmask_b32_e32 v2, v11, v2, vcc
	v_lshlrev_b32_sdwa v6, v6, v4 dst_sel:DWORD dst_unused:UNUSED_PAD src0_sel:DWORD src1_sel:WORD_1
	v_bfrev_b32_e32 v7, 60
	v_lshlrev_b32_e32 v3, 20, v3
	v_and_b32_e32 v6, 0x80000000, v6
	v_lshl_add_u32 v2, v2, 23, v7
	v_or3_b32 v7, v6, v2, v3
.LBB385_760:
	s_or_b64 exec, exec, s[8:9]
.LBB385_761:
	s_or_b64 exec, exec, s[6:7]
.LBB385_762:
	s_or_b64 exec, exec, s[4:5]
	s_mov_b32 s3, 0xffffff
	v_cmp_lt_u32_e32 vcc, s3, v4
	v_mov_b32_e32 v3, 0
	v_mov_b32_e32 v10, 0
	s_and_saveexec_b64 s[4:5], vcc
	s_cbranch_execz .LBB385_768
; %bb.763:
	v_lshrrev_b32_e32 v2, 24, v4
	s_movk_i32 s3, 0x80
	v_cmp_ne_u32_e32 vcc, s3, v2
	v_bfrev_b32_e32 v10, 1
	s_and_saveexec_b64 s[6:7], vcc
	s_cbranch_execz .LBB385_767
; %bb.764:
	v_bfe_u32 v6, v4, 24, 7
	s_movk_i32 s3, 0x7f
	v_cmp_ne_u32_e32 vcc, s3, v6
	v_mov_b32_e32 v10, 0x7f800001
	s_and_saveexec_b64 s[8:9], vcc
	s_cbranch_execz .LBB385_766
; %bb.765:
	v_and_b32_e32 v12, 7, v2
	v_ffbh_u32_e32 v10, v12
	v_min_u32_e32 v16, 32, v10
	v_subrev_u32_e32 v10, 28, v16
	v_lshlrev_b64 v[10:11], v10, v[2:3]
	v_lshrrev_b32_e32 v13, 3, v6
	v_sub_u32_e32 v11, 29, v16
	v_and_b32_e32 v10, 7, v10
	v_cmp_gt_u32_e32 vcc, 8, v6
	v_cndmask_b32_e32 v6, v13, v11, vcc
	v_cndmask_b32_e32 v10, v12, v10, vcc
	v_lshlrev_b32_e32 v2, 24, v2
	v_bfrev_b32_e32 v11, 60
	v_lshlrev_b32_e32 v10, 20, v10
	v_and_b32_e32 v2, 0x80000000, v2
	v_lshl_add_u32 v6, v6, 23, v11
	v_or3_b32 v10, v2, v6, v10
.LBB385_766:
	s_or_b64 exec, exec, s[8:9]
.LBB385_767:
	s_or_b64 exec, exec, s[6:7]
.LBB385_768:
	s_or_b64 exec, exec, s[4:5]
	v_mov_b32_e32 v2, v5
	v_cmp_ne_u16_sdwa s[6:7], v5, v3 src0_sel:BYTE_0 src1_sel:DWORD
	s_and_saveexec_b64 s[4:5], s[6:7]
	s_cbranch_execz .LBB385_774
; %bb.769:
	s_movk_i32 s3, 0x80
	v_cmp_ne_u16_sdwa s[8:9], v5, s3 src0_sel:BYTE_0 src1_sel:DWORD
	v_bfrev_b32_e32 v6, 1
	s_and_saveexec_b64 s[6:7], s[8:9]
	s_cbranch_execz .LBB385_773
; %bb.770:
	s_movk_i32 s3, 0x7f
	v_and_b32_e32 v11, 0x7f, v5
	v_cmp_ne_u32_e32 vcc, s3, v11
	v_mov_b32_e32 v6, 0x7f800001
	s_and_saveexec_b64 s[8:9], vcc
	s_cbranch_execz .LBB385_772
; %bb.771:
	v_and_b32_e32 v6, 7, v5
	v_ffbh_u32_e32 v6, v6
	v_min_u32_e32 v6, 32, v6
	v_subrev_u32_e32 v13, 28, v6
	v_cmp_gt_u32_e32 vcc, 8, v11
	v_lshrrev_b32_e32 v12, 3, v11
	v_sub_u32_e32 v6, 29, v6
	v_cndmask_b32_e32 v11, 0, v13, vcc
	v_cndmask_b32_e32 v6, v12, v6, vcc
	v_lshlrev_b64 v[12:13], v11, v[2:3]
	v_lshlrev_b32_e32 v3, 20, v12
	v_lshlrev_b32_e32 v11, 24, v2
	v_bfrev_b32_e32 v12, 60
	v_and_b32_e32 v3, 0x700000, v3
	v_and_b32_e32 v11, 0x80000000, v11
	v_lshl_add_u32 v6, v6, 23, v12
	v_or3_b32 v6, v11, v6, v3
.LBB385_772:
	s_or_b64 exec, exec, s[8:9]
.LBB385_773:
	s_or_b64 exec, exec, s[6:7]
	v_mov_b32_e32 v3, v6
.LBB385_774:
	s_or_b64 exec, exec, s[4:5]
	v_lshrrev_b16_e32 v6, 8, v2
	v_cmp_ne_u16_e32 vcc, 0, v6
	v_mov_b32_e32 v11, 0
	v_mov_b32_e32 v12, 0
	s_and_saveexec_b64 s[4:5], vcc
	s_cbranch_execz .LBB385_780
; %bb.775:
	s_movk_i32 s3, 0x80
	v_cmp_ne_u16_e32 vcc, s3, v6
	v_bfrev_b32_e32 v12, 1
	s_and_saveexec_b64 s[6:7], vcc
	s_cbranch_execz .LBB385_779
; %bb.776:
	s_movk_i32 s3, 0x7f
	v_and_b32_e32 v13, 0x7f, v6
	v_cmp_ne_u32_e32 vcc, s3, v13
	v_mov_b32_e32 v12, 0x7f800001
	s_and_saveexec_b64 s[8:9], vcc
	s_cbranch_execz .LBB385_778
; %bb.777:
	v_and_b32_e32 v12, 7, v6
	v_ffbh_u32_e32 v16, v12
	v_min_u32_e32 v19, 32, v16
	v_subrev_u32_e32 v16, 28, v19
	v_lshlrev_b64 v[16:17], v16, v[6:7]
	v_lshrrev_b32_e32 v18, 3, v13
	v_sub_u32_e32 v6, 29, v19
	v_and_b32_e32 v16, 7, v16
	v_cmp_gt_u32_e32 vcc, 8, v13
	v_cndmask_b32_e32 v6, v18, v6, vcc
	v_cndmask_b32_e32 v12, v12, v16, vcc
	v_lshlrev_b32_e32 v2, 16, v2
	v_bfrev_b32_e32 v13, 60
	v_lshlrev_b32_e32 v12, 20, v12
	v_and_b32_e32 v2, 0x80000000, v2
	v_lshl_add_u32 v6, v6, 23, v13
	v_or3_b32 v12, v2, v6, v12
.LBB385_778:
	s_or_b64 exec, exec, s[8:9]
.LBB385_779:
	s_or_b64 exec, exec, s[6:7]
.LBB385_780:
	s_or_b64 exec, exec, s[4:5]
	s_movk_i32 s3, 0xff
	v_and_b32_sdwa v6, v5, s3 dst_sel:DWORD dst_unused:UNUSED_PAD src0_sel:WORD_1 src1_sel:DWORD
	v_lshrrev_b32_e32 v2, 16, v5
	v_cmp_ne_u16_e32 vcc, 0, v6
	s_and_saveexec_b64 s[4:5], vcc
	s_cbranch_execz .LBB385_786
; %bb.781:
	s_movk_i32 s3, 0x80
	v_cmp_ne_u16_e32 vcc, s3, v6
	v_bfrev_b32_e32 v11, 1
	s_and_saveexec_b64 s[6:7], vcc
	s_cbranch_execz .LBB385_785
; %bb.782:
	v_bfe_u32 v6, v5, 16, 7
	s_movk_i32 s3, 0x7f
	v_cmp_ne_u32_e32 vcc, s3, v6
	v_mov_b32_e32 v11, 0x7f800001
	s_and_saveexec_b64 s[8:9], vcc
	s_cbranch_execz .LBB385_784
; %bb.783:
	v_and_b32_e32 v11, 7, v2
	v_ffbh_u32_e32 v16, v11
	v_min_u32_e32 v18, 32, v16
	v_subrev_u32_e32 v16, 28, v18
	v_lshlrev_b64 v[16:17], v16, v[2:3]
	v_and_b32_e32 v16, 7, v16
	v_cmp_gt_u32_e32 vcc, 8, v6
	v_lshrrev_b32_e32 v13, 3, v6
	v_sub_u32_e32 v2, 29, v18
	v_cndmask_b32_e32 v6, v11, v16, vcc
	v_mov_b32_e32 v11, 24
	v_cndmask_b32_e32 v2, v13, v2, vcc
	v_lshlrev_b32_sdwa v11, v11, v5 dst_sel:DWORD dst_unused:UNUSED_PAD src0_sel:DWORD src1_sel:WORD_1
	v_bfrev_b32_e32 v13, 60
	v_lshlrev_b32_e32 v6, 20, v6
	v_and_b32_e32 v11, 0x80000000, v11
	v_lshl_add_u32 v2, v2, 23, v13
	v_or3_b32 v11, v11, v2, v6
.LBB385_784:
	s_or_b64 exec, exec, s[8:9]
.LBB385_785:
	s_or_b64 exec, exec, s[6:7]
.LBB385_786:
	s_or_b64 exec, exec, s[4:5]
	s_mov_b32 s4, -1
	s_mov_b32 s5, 0xffffff
	v_cmp_lt_u64_e32 vcc, s[4:5], v[4:5]
	v_mov_b32_e32 v4, 0
	s_and_saveexec_b64 s[4:5], vcc
	s_cbranch_execz .LBB385_792
; %bb.787:
	v_lshrrev_b32_e32 v2, 24, v5
	s_movk_i32 s3, 0x80
	v_cmp_ne_u32_e32 vcc, s3, v2
	v_bfrev_b32_e32 v4, 1
	s_and_saveexec_b64 s[6:7], vcc
	s_cbranch_execz .LBB385_791
; %bb.788:
	v_bfe_u32 v5, v5, 24, 7
	s_movk_i32 s3, 0x7f
	v_cmp_ne_u32_e32 vcc, s3, v5
	v_mov_b32_e32 v4, 0x7f800001
	s_and_saveexec_b64 s[8:9], vcc
	s_cbranch_execz .LBB385_790
; %bb.789:
	v_and_b32_e32 v4, 7, v2
	v_ffbh_u32_e32 v13, v4
	v_min_u32_e32 v13, 32, v13
	v_subrev_u32_e32 v16, 28, v13
	v_lshlrev_b64 v[16:17], v16, v[2:3]
	v_lshrrev_b32_e32 v6, 3, v5
	v_sub_u32_e32 v13, 29, v13
	v_and_b32_e32 v16, 7, v16
	v_cmp_gt_u32_e32 vcc, 8, v5
	v_cndmask_b32_e32 v5, v6, v13, vcc
	v_cndmask_b32_e32 v4, v4, v16, vcc
	v_lshlrev_b32_e32 v2, 24, v2
	v_bfrev_b32_e32 v6, 60
	v_lshlrev_b32_e32 v4, 20, v4
	v_and_b32_e32 v2, 0x80000000, v2
	v_lshl_add_u32 v5, v5, 23, v6
	v_or3_b32 v4, v2, v5, v4
.LBB385_790:
	s_or_b64 exec, exec, s[8:9]
.LBB385_791:
	s_or_b64 exec, exec, s[6:7]
.LBB385_792:
	s_or_b64 exec, exec, s[4:5]
	v_cvt_pkrtz_f16_f32 v6, v8, v9
	v_cvt_pkrtz_f16_f32 v7, v7, v10
	;; [unrolled: 1-line block ×4, first 2 shown]
	v_mfma_f32_4x4x4f16 a[0:3], v[14:15], v[6:7], a[0:3] cbsz:4 abid:14
	s_load_dword s4, s[14:15], 0x0
	v_mfma_f32_4x4x4f16 a[0:3], v[14:15], v[2:3], a[0:3] cbsz:4 abid:15
	s_nop 4
	v_accvgpr_read_b32 v5, a1
	v_accvgpr_read_b32 v3, a3
	;; [unrolled: 1-line block ×4, first 2 shown]
	s_waitcnt lgkmcnt(0)
	v_pk_mul_f32 v[2:3], v[2:3], s[4:5] op_sel_hi:[1,0]
	v_pk_mul_f32 v[4:5], v[4:5], s[4:5] op_sel_hi:[1,0]
	v_cvt_f16_f32_e32 v4, v4
	v_cvt_f16_f32_e32 v5, v5
	;; [unrolled: 1-line block ×4, first 2 shown]
	v_pack_b32_f16 v2, v4, v5
	v_mad_u32_u24 v4, v1, 40, v25
	v_pack_b32_f16 v3, v6, v3
	ds_write_b64 v4, v[2:3]
.LBB385_793:
	s_or_b64 exec, exec, s[0:1]
	v_cmp_gt_u32_e32 vcc, 64, v0
	s_waitcnt lgkmcnt(0)
	s_barrier
	s_and_saveexec_b64 s[0:1], vcc
	s_cbranch_execz .LBB385_795
; %bb.794:
	s_mov_b32 s1, 0
	s_lshl_b32 s0, s2, 6
	v_mul_u32_u24_e32 v1, 40, v1
	s_lshl_b64 s[2:3], s[0:1], 1
	s_waitcnt vmcnt(0)
	ds_read2_b64 v[2:5], v1 offset1:1
	ds_read2_b64 v[6:9], v1 offset0:2 offset1:3
	s_add_u32 s2, s24, s2
	s_addc_u32 s3, s25, s3
	s_lshl_b32 s0, s10, 6
	s_lshl_b64 s[0:1], s[0:1], 1
	s_add_u32 s0, s2, s0
	s_addc_u32 s1, s3, s1
	s_lshl_b32 s2, s33, 6
	s_waitcnt lgkmcnt(1)
	v_pk_add_f16 v1, v2, 0
	s_mul_i32 s3, s2, s38
	v_pk_add_f16 v1, v1, v4
	v_or_b32_e32 v2, s3, v0
	v_mov_b32_e32 v3, 0
	s_waitcnt lgkmcnt(0)
	v_pk_add_f16 v1, v1, v6
	v_lshlrev_b64 v[4:5], 1, v[2:3]
	s_add_i32 s3, s3, s2
	v_pk_add_f16 v6, v1, v8
	v_mov_b32_e32 v1, s1
	v_add_co_u32_e32 v4, vcc, s0, v4
	v_or_b32_e32 v2, s3, v0
	v_addc_co_u32_e32 v5, vcc, v1, v5, vcc
	v_lshlrev_b64 v[0:1], 1, v[2:3]
	v_mov_b32_e32 v2, s1
	v_add_co_u32_e32 v0, vcc, s0, v0
	v_addc_co_u32_e32 v1, vcc, v2, v1, vcc
	global_store_short v[4:5], v6, off
	global_store_short_d16_hi v[0:1], v6, off
.LBB385_795:
	s_endpgm
	.section	.rodata,"a",@progbits
	.p2align	6, 0x0
	.amdhsa_kernel _Z38paged_attention_ll4mi_QKV_mfma4_kernelIDF16_hLN4vllm18Fp8KVCacheDataTypeE1EDF16_Li16ELi64ELi256ELb1ELi2EEvPKT_PKT0_S7_ifPKiS9_S9_iPKfiiiPfSC_PS2_PT2_iSB_SB_
		.amdhsa_group_segment_fixed_size 2720
		.amdhsa_private_segment_fixed_size 0
		.amdhsa_kernarg_size 400
		.amdhsa_user_sgpr_count 6
		.amdhsa_user_sgpr_private_segment_buffer 1
		.amdhsa_user_sgpr_dispatch_ptr 0
		.amdhsa_user_sgpr_queue_ptr 0
		.amdhsa_user_sgpr_kernarg_segment_ptr 1
		.amdhsa_user_sgpr_dispatch_id 0
		.amdhsa_user_sgpr_flat_scratch_init 0
		.amdhsa_user_sgpr_kernarg_preload_length 0
		.amdhsa_user_sgpr_kernarg_preload_offset 0
		.amdhsa_user_sgpr_private_segment_size 0
		.amdhsa_uses_dynamic_stack 0
		.amdhsa_system_sgpr_private_segment_wavefront_offset 0
		.amdhsa_system_sgpr_workgroup_id_x 1
		.amdhsa_system_sgpr_workgroup_id_y 1
		.amdhsa_system_sgpr_workgroup_id_z 1
		.amdhsa_system_sgpr_workgroup_info 0
		.amdhsa_system_vgpr_workitem_id 0
		.amdhsa_next_free_vgpr 60
		.amdhsa_next_free_sgpr 44
		.amdhsa_accum_offset 56
		.amdhsa_reserve_vcc 1
		.amdhsa_reserve_flat_scratch 0
		.amdhsa_float_round_mode_32 0
		.amdhsa_float_round_mode_16_64 0
		.amdhsa_float_denorm_mode_32 3
		.amdhsa_float_denorm_mode_16_64 3
		.amdhsa_dx10_clamp 1
		.amdhsa_ieee_mode 1
		.amdhsa_fp16_overflow 0
		.amdhsa_tg_split 0
		.amdhsa_exception_fp_ieee_invalid_op 0
		.amdhsa_exception_fp_denorm_src 0
		.amdhsa_exception_fp_ieee_div_zero 0
		.amdhsa_exception_fp_ieee_overflow 0
		.amdhsa_exception_fp_ieee_underflow 0
		.amdhsa_exception_fp_ieee_inexact 0
		.amdhsa_exception_int_div_zero 0
	.end_amdhsa_kernel
	.section	.text._Z38paged_attention_ll4mi_QKV_mfma4_kernelIDF16_hLN4vllm18Fp8KVCacheDataTypeE1EDF16_Li16ELi64ELi256ELb1ELi2EEvPKT_PKT0_S7_ifPKiS9_S9_iPKfiiiPfSC_PS2_PT2_iSB_SB_,"axG",@progbits,_Z38paged_attention_ll4mi_QKV_mfma4_kernelIDF16_hLN4vllm18Fp8KVCacheDataTypeE1EDF16_Li16ELi64ELi256ELb1ELi2EEvPKT_PKT0_S7_ifPKiS9_S9_iPKfiiiPfSC_PS2_PT2_iSB_SB_,comdat
.Lfunc_end385:
	.size	_Z38paged_attention_ll4mi_QKV_mfma4_kernelIDF16_hLN4vllm18Fp8KVCacheDataTypeE1EDF16_Li16ELi64ELi256ELb1ELi2EEvPKT_PKT0_S7_ifPKiS9_S9_iPKfiiiPfSC_PS2_PT2_iSB_SB_, .Lfunc_end385-_Z38paged_attention_ll4mi_QKV_mfma4_kernelIDF16_hLN4vllm18Fp8KVCacheDataTypeE1EDF16_Li16ELi64ELi256ELb1ELi2EEvPKT_PKT0_S7_ifPKiS9_S9_iPKfiiiPfSC_PS2_PT2_iSB_SB_
                                        ; -- End function
	.section	.AMDGPU.csdata,"",@progbits
; Kernel info:
; codeLenInByte = 26528
; NumSgprs: 48
; NumVgprs: 56
; NumAgprs: 4
; TotalNumVgprs: 60
; ScratchSize: 0
; MemoryBound: 0
; FloatMode: 240
; IeeeMode: 1
; LDSByteSize: 2720 bytes/workgroup (compile time only)
; SGPRBlocks: 5
; VGPRBlocks: 7
; NumSGPRsForWavesPerEU: 48
; NumVGPRsForWavesPerEU: 60
; AccumOffset: 56
; Occupancy: 8
; WaveLimiterHint : 1
; COMPUTE_PGM_RSRC2:SCRATCH_EN: 0
; COMPUTE_PGM_RSRC2:USER_SGPR: 6
; COMPUTE_PGM_RSRC2:TRAP_HANDLER: 0
; COMPUTE_PGM_RSRC2:TGID_X_EN: 1
; COMPUTE_PGM_RSRC2:TGID_Y_EN: 1
; COMPUTE_PGM_RSRC2:TGID_Z_EN: 1
; COMPUTE_PGM_RSRC2:TIDIG_COMP_CNT: 0
; COMPUTE_PGM_RSRC3_GFX90A:ACCUM_OFFSET: 13
; COMPUTE_PGM_RSRC3_GFX90A:TG_SPLIT: 0
	.section	.text._Z38paged_attention_ll4mi_QKV_mfma4_kernelIDF16_hLN4vllm18Fp8KVCacheDataTypeE1EDF16_Li16ELi64ELi256ELb1ELi3EEvPKT_PKT0_S7_ifPKiS9_S9_iPKfiiiPfSC_PS2_PT2_iSB_SB_,"axG",@progbits,_Z38paged_attention_ll4mi_QKV_mfma4_kernelIDF16_hLN4vllm18Fp8KVCacheDataTypeE1EDF16_Li16ELi64ELi256ELb1ELi3EEvPKT_PKT0_S7_ifPKiS9_S9_iPKfiiiPfSC_PS2_PT2_iSB_SB_,comdat
	.protected	_Z38paged_attention_ll4mi_QKV_mfma4_kernelIDF16_hLN4vllm18Fp8KVCacheDataTypeE1EDF16_Li16ELi64ELi256ELb1ELi3EEvPKT_PKT0_S7_ifPKiS9_S9_iPKfiiiPfSC_PS2_PT2_iSB_SB_ ; -- Begin function _Z38paged_attention_ll4mi_QKV_mfma4_kernelIDF16_hLN4vllm18Fp8KVCacheDataTypeE1EDF16_Li16ELi64ELi256ELb1ELi3EEvPKT_PKT0_S7_ifPKiS9_S9_iPKfiiiPfSC_PS2_PT2_iSB_SB_
	.globl	_Z38paged_attention_ll4mi_QKV_mfma4_kernelIDF16_hLN4vllm18Fp8KVCacheDataTypeE1EDF16_Li16ELi64ELi256ELb1ELi3EEvPKT_PKT0_S7_ifPKiS9_S9_iPKfiiiPfSC_PS2_PT2_iSB_SB_
	.p2align	8
	.type	_Z38paged_attention_ll4mi_QKV_mfma4_kernelIDF16_hLN4vllm18Fp8KVCacheDataTypeE1EDF16_Li16ELi64ELi256ELb1ELi3EEvPKT_PKT0_S7_ifPKiS9_S9_iPKfiiiPfSC_PS2_PT2_iSB_SB_,@function
_Z38paged_attention_ll4mi_QKV_mfma4_kernelIDF16_hLN4vllm18Fp8KVCacheDataTypeE1EDF16_Li16ELi64ELi256ELb1ELi3EEvPKT_PKT0_S7_ifPKiS9_S9_iPKfiiiPfSC_PS2_PT2_iSB_SB_: ; @_Z38paged_attention_ll4mi_QKV_mfma4_kernelIDF16_hLN4vllm18Fp8KVCacheDataTypeE1EDF16_Li16ELi64ELi256ELb1ELi3EEvPKT_PKT0_S7_ifPKiS9_S9_iPKfiiiPfSC_PS2_PT2_iSB_SB_
; %bb.0:
	s_load_dwordx2 s[2:3], s[4:5], 0x30
	s_mov_b32 s10, s7
	s_mov_b64 s[0:1], 0
	s_waitcnt lgkmcnt(0)
	s_cmp_lg_u64 s[2:3], 0
	s_cselect_b64 s[20:21], -1, 0
	s_and_b64 vcc, exec, s[20:21]
	s_cbranch_vccz .LBB386_10
; %bb.1:
	s_add_i32 s12, s6, 1
	s_mov_b32 s13, 0
	s_lshl_b64 s[14:15], s[12:13], 2
	s_add_u32 s14, s2, s14
	s_mov_b32 s7, s13
	s_addc_u32 s15, s3, s15
	s_lshl_b64 s[12:13], s[6:7], 2
	s_add_u32 s12, s2, s12
	s_addc_u32 s13, s3, s13
	s_load_dword s9, s[14:15], 0x0
	s_load_dword s11, s[12:13], 0x0
	s_waitcnt lgkmcnt(0)
	s_sub_i32 s9, s9, s11
	s_cmp_eq_u32 s9, 1
	s_cselect_b64 s[12:13], -1, 0
	s_andn2_b64 vcc, exec, s[0:1]
	s_cbranch_vccnz .LBB386_3
.LBB386_2:
	s_mov_b32 s7, 0
	s_mov_b64 s[12:13], -1
.LBB386_3:
	s_andn2_b64 vcc, exec, s[12:13]
	s_cbranch_vccnz .LBB386_795
; %bb.4:
	s_load_dword s9, s[4:5], 0x9c
	s_load_dwordx2 s[0:1], s[4:5], 0x28
	s_add_u32 s26, s4, 0x90
	s_addc_u32 s27, s5, 0
	s_lshl_b64 s[22:23], s[6:7], 2
	s_waitcnt lgkmcnt(0)
	s_and_b32 s9, s9, 0xffff
	s_add_u32 s0, s0, s22
	s_addc_u32 s1, s1, s23
	s_load_dword s7, s[0:1], 0x0
	s_mul_i32 s9, s10, s9
	s_waitcnt lgkmcnt(0)
	s_cmp_ge_i32 s9, s7
	s_cbranch_scc1 .LBB386_795
; %bb.5:
	v_and_b32_e32 v1, 0xc0, v0
	v_add_u32_e32 v4, s9, v1
	v_lshrrev_b32_e32 v42, 6, v0
	v_cmp_le_i32_e64 s[0:1], s7, v4
                                        ; implicit-def: $sgpr30
                                        ; implicit-def: $sgpr11
	s_and_saveexec_b64 s[12:13], s[0:1]
	s_xor_b64 s[12:13], exec, s[12:13]
	s_cbranch_execz .LBB386_7
; %bb.6:
	v_mul_u32_u24_e32 v1, 20, v42
	v_or_b32_e32 v1, 0xa00, v1
	v_mov_b32_e32 v2, 0xa50
	v_mov_b32_e32 v3, 0xff7fffff
	v_mad_u32_u24 v2, v42, 20, v2
	ds_write2_b32 v1, v3, v3 offset1:1
	v_mov_b32_e32 v1, 0
	ds_write2_b32 v2, v1, v1 offset1:1
	v_mov_b32_e32 v2, 0xa08
	v_mov_b32_e32 v4, 0xa58
	s_mov_b32 s11, 0xff7fffff
	s_mov_b32 s30, 0
	v_mad_u32_u24 v2, v42, 20, v2
	v_mad_u32_u24 v4, v42, 20, v4
	ds_write2_b32 v2, v3, v3 offset1:1
	ds_write2_b32 v4, v1, v1 offset1:1
                                        ; implicit-def: $vgpr4
.LBB386_7:
	s_or_saveexec_b64 s[28:29], s[12:13]
	s_load_dwordx2 s[24:25], s[4:5], 0x68
	s_load_dwordx4 s[16:19], s[4:5], 0x58
	s_load_dword s33, s[26:27], 0x4
	s_load_dwordx4 s[12:15], s[4:5], 0x80
	v_and_b32_e32 v1, 63, v0
	v_and_b32_e32 v43, 3, v0
	s_mul_i32 s40, s8, 3
	v_mov_b32_e32 v21, s30
	v_mov_b32_e32 v26, s11
	;; [unrolled: 1-line block ×5, first 2 shown]
                                        ; implicit-def: $vgpr14_vgpr15
                                        ; implicit-def: $vgpr10_vgpr11
                                        ; implicit-def: $vgpr6_vgpr7
                                        ; implicit-def: $vgpr2_vgpr3
	s_xor_b64 exec, exec, s[28:29]
	s_cbranch_execz .LBB386_403
; %bb.8:
	s_add_i32 s34, s7, 15
	s_ashr_i32 s35, s34, 31
	s_load_dwordx2 s[30:31], s[4:5], 0x20
	s_load_dword s11, s[4:5], 0x38
	s_lshr_b32 s35, s35, 28
	v_add_u32_e32 v44, s9, v0
	s_add_i32 s34, s34, s35
	v_ashrrev_i32_e32 v2, 31, v44
	s_ashr_i32 s34, s34, 4
	v_lshrrev_b32_e32 v2, 28, v2
	s_add_i32 s36, s34, -1
	v_add_u32_e32 v2, v44, v2
	v_ashrrev_i32_e32 v2, 4, v2
	v_mov_b32_e32 v3, s36
	v_cmp_gt_i32_e32 vcc, s7, v44
	s_waitcnt lgkmcnt(0)
	s_mul_i32 s34, s6, s11
	s_mov_b32 s35, 0
	v_cndmask_b32_e32 v2, v3, v2, vcc
	s_lshl_b64 s[34:35], s[34:35], 2
	v_ashrrev_i32_e32 v3, 31, v2
	s_add_u32 s11, s30, s34
	v_lshlrev_b64 v[2:3], 2, v[2:3]
	v_add_co_u32_e32 v8, vcc, s11, v2
	v_ashrrev_i32_e32 v2, 31, v4
	v_lshrrev_b32_e32 v2, 28, v2
	v_add_u32_e32 v2, v4, v2
	s_addc_u32 s30, s31, s35
	v_ashrrev_i32_e32 v4, 4, v2
	v_mov_b32_e32 v5, s30
	v_min_i32_e32 v2, s36, v4
	v_addc_co_u32_e32 v9, vcc, v5, v3, vcc
	v_ashrrev_i32_e32 v3, 31, v2
	v_lshlrev_b64 v[2:3], 2, v[2:3]
	v_add_co_u32_e32 v10, vcc, s11, v2
	v_add_u32_e32 v2, 1, v4
	v_min_i32_e32 v2, s36, v2
	v_addc_co_u32_e32 v11, vcc, v5, v3, vcc
	v_ashrrev_i32_e32 v3, 31, v2
	v_lshlrev_b64 v[2:3], 2, v[2:3]
	v_add_co_u32_e32 v12, vcc, s11, v2
	v_add_u32_e32 v2, 2, v4
	;; [unrolled: 6-line block ×3, first 2 shown]
	v_min_i32_e32 v2, s36, v2
	v_addc_co_u32_e32 v15, vcc, v5, v3, vcc
	v_ashrrev_i32_e32 v3, 31, v2
	v_lshlrev_b64 v[2:3], 2, v[2:3]
	v_mov_b32_e32 v4, s30
	v_add_co_u32_e32 v16, vcc, s11, v2
	v_addc_co_u32_e32 v17, vcc, v4, v3, vcc
	global_load_dword v6, v[8:9], off
	global_load_dword v5, v[10:11], off
	;; [unrolled: 1-line block ×5, first 2 shown]
	s_load_dwordx2 s[34:35], s[4:5], 0x8
	s_andn2_b64 vcc, exec, s[20:21]
	s_cbranch_vccnz .LBB386_11
; %bb.9:
	s_add_u32 s2, s2, s22
	s_addc_u32 s3, s3, s23
	s_load_dword s9, s[2:3], 0x0
	s_branch .LBB386_12
.LBB386_10:
	s_mov_b64 s[12:13], 0
	s_branch .LBB386_2
.LBB386_11:
	s_mov_b32 s9, s6
.LBB386_12:
	s_load_dwordx2 s[30:31], s[4:5], 0x10
	s_load_dwordx4 s[20:23], s[4:5], 0x48
	v_cmp_eq_u32_e32 vcc, 3, v43
	v_cmp_ne_u32_e64 s[2:3], 3, v43
	s_mov_b32 s39, 0
	v_mov_b32_e32 v46, 0
	v_mov_b32_e32 v18, 0
	;; [unrolled: 1-line block ×5, first 2 shown]
	s_and_saveexec_b64 s[36:37], s[2:3]
	s_cbranch_execz .LBB386_14
; %bb.13:
	s_load_dwordx2 s[42:43], s[4:5], 0x0
	s_waitcnt lgkmcnt(0)
	s_ashr_i32 s11, s20, 31
	s_mul_hi_u32 s23, s9, s20
	s_mul_i32 s11, s9, s11
	s_add_i32 s45, s23, s11
	s_mul_i32 s44, s9, s20
	s_lshl_b64 s[44:45], s[44:45], 1
	s_add_u32 s9, s42, s44
	s_mul_i32 s38, s8, 0xc0
	s_addc_u32 s11, s43, s45
	s_lshl_b64 s[38:39], s[38:39], 1
	s_add_u32 s38, s9, s38
	v_lshlrev_b32_e32 v7, 3, v43
	v_lshrrev_b32_e32 v8, 2, v1
	s_addc_u32 s39, s11, s39
	v_add_lshl_u32 v7, v7, v8, 4
	global_load_dwordx4 v[18:21], v7, s[38:39]
.LBB386_14:
	s_or_b64 exec, exec, s[36:37]
	s_waitcnt lgkmcnt(0)
	s_mul_i32 s11, s8, s22
	s_add_u32 s8, s11, s34
	s_addc_u32 s9, 0, s35
	v_pk_mov_b32 v[8:9], s[8:9], s[8:9] op_sel:[0,1]
	s_waitcnt vmcnt(4)
	v_mad_i64_i32 v[6:7], s[8:9], v6, s21, v[8:9]
	v_lshlrev_b32_e32 v8, 4, v0
	v_and_b32_e32 v8, 0xf0, v8
	v_add_co_u32_e64 v6, s[8:9], v6, v8
	v_addc_co_u32_e64 v7, s[8:9], 0, v7, s[8:9]
	global_load_dwordx4 v[34:37], v[6:7], off
	global_load_dwordx4 v[30:33], v[6:7], off offset:256
	global_load_dwordx4 v[26:29], v[6:7], off offset:512
	;; [unrolled: 1-line block ×3, first 2 shown]
	v_mov_b32_e32 v45, 0
	s_and_saveexec_b64 s[8:9], s[2:3]
	s_cbranch_execz .LBB386_16
; %bb.15:
	s_load_dwordx2 s[2:3], s[4:5], 0x40
	v_add_u32_e32 v6, s40, v43
	v_mov_b32_e32 v7, 0
	v_lshlrev_b64 v[6:7], 2, v[6:7]
	s_waitcnt lgkmcnt(0)
	v_mov_b32_e32 v8, s3
	v_add_co_u32_e64 v6, s[2:3], s2, v6
	v_addc_co_u32_e64 v7, s[2:3], v8, v7, s[2:3]
	global_load_dword v45, v[6:7], off
.LBB386_16:
	s_or_b64 exec, exec, s[8:9]
	s_add_u32 s2, s30, s11
	s_addc_u32 s3, s31, 0
	v_lshlrev_b32_e32 v6, 4, v1
	v_mov_b32_e32 v7, s3
	v_add_co_u32_e64 v8, s[2:3], s2, v6
	s_waitcnt vmcnt(7)
	v_mul_hi_i32 v6, v5, s21
	v_ashrrev_i32_e32 v6, 31, v6
	v_lshrrev_b32_e32 v38, 29, v6
	v_mov_b32_e32 v39, 0
	v_addc_co_u32_e64 v9, s[2:3], 0, v7, s[2:3]
	v_mad_i64_i32 v[6:7], s[2:3], v5, s21, v[38:39]
	v_and_b32_e32 v5, -8, v6
	v_add_co_u32_e64 v6, s[2:3], v8, v5
	s_waitcnt vmcnt(6)
	v_mul_hi_i32 v5, v4, s21
	v_ashrrev_i32_e32 v5, 31, v5
	v_lshrrev_b32_e32 v38, 29, v5
	v_addc_co_u32_e64 v7, s[2:3], v9, v7, s[2:3]
	v_mad_i64_i32 v[4:5], s[2:3], v4, s21, v[38:39]
	v_and_b32_e32 v4, -8, v4
	v_add_co_u32_e64 v4, s[2:3], v8, v4
	v_addc_co_u32_e64 v5, s[2:3], v9, v5, s[2:3]
	global_load_dwordx4 v[14:17], v[6:7], off
	global_load_dwordx4 v[10:13], v[4:5], off
	s_waitcnt vmcnt(7)
	v_mul_hi_i32 v4, v3, s21
	v_ashrrev_i32_e32 v4, 31, v4
	v_lshrrev_b32_e32 v38, 29, v4
	v_mad_i64_i32 v[4:5], s[2:3], v3, s21, v[38:39]
	v_and_b32_e32 v3, -8, v4
	v_add_co_u32_e64 v40, s[2:3], v8, v3
	s_waitcnt vmcnt(6)
	v_mul_hi_i32 v3, v2, s21
	v_ashrrev_i32_e32 v3, 31, v3
	v_lshrrev_b32_e32 v38, 29, v3
	v_addc_co_u32_e64 v41, s[2:3], v9, v5, s[2:3]
	v_mad_i64_i32 v[2:3], s[2:3], v2, s21, v[38:39]
	v_and_b32_e32 v2, -8, v2
	v_add_co_u32_e64 v48, s[2:3], v8, v2
	v_addc_co_u32_e64 v49, s[2:3], v9, v3, s[2:3]
	global_load_dwordx4 v[6:9], v[40:41], off
	global_load_dwordx4 v[2:5], v[48:49], off
	s_waitcnt vmcnt(7)
	v_cmp_ne_u16_sdwa s[2:3], v34, v39 src0_sel:BYTE_0 src1_sel:DWORD
	s_and_saveexec_b64 s[8:9], s[2:3]
	s_cbranch_execz .LBB386_22
; %bb.17:
	s_movk_i32 s2, 0x80
	v_cmp_ne_u16_sdwa s[2:3], v34, s2 src0_sel:BYTE_0 src1_sel:DWORD
	v_bfrev_b32_e32 v46, 1
	s_and_saveexec_b64 s[20:21], s[2:3]
	s_cbranch_execz .LBB386_21
; %bb.18:
	s_movk_i32 s2, 0x7f
	v_and_b32_e32 v38, 0x7f, v34
	v_cmp_ne_u32_e64 s[2:3], s2, v38
	v_mov_b32_e32 v46, 0x7f800001
	s_and_saveexec_b64 s[22:23], s[2:3]
	s_cbranch_execz .LBB386_20
; %bb.19:
	v_and_b32_e32 v40, 7, v34
	v_ffbh_u32_e32 v40, v40
	v_min_u32_e32 v40, 32, v40
	v_lshrrev_b32_e32 v41, 3, v38
	v_subrev_u32_e32 v46, 28, v40
	v_sub_u32_e32 v40, 29, v40
	v_cmp_gt_u32_e64 s[2:3], 8, v38
	v_cndmask_b32_e64 v38, v41, v40, s[2:3]
	v_cndmask_b32_e64 v40, 0, v46, s[2:3]
	v_lshlrev_b64 v[40:41], v40, v[34:35]
	v_lshlrev_b32_e32 v40, 20, v40
	v_lshlrev_b32_e32 v41, 24, v34
	v_bfrev_b32_e32 v46, 60
	v_and_b32_e32 v40, 0x700000, v40
	v_and_b32_e32 v41, 0x80000000, v41
	v_lshl_add_u32 v38, v38, 23, v46
	v_or3_b32 v46, v41, v38, v40
.LBB386_20:
	s_or_b64 exec, exec, s[22:23]
.LBB386_21:
	s_or_b64 exec, exec, s[20:21]
.LBB386_22:
	s_or_b64 exec, exec, s[8:9]
	v_lshrrev_b16_e32 v38, 8, v34
	v_cmp_ne_u16_e64 s[2:3], 0, v38
	v_mov_b32_e32 v47, 0
	s_and_saveexec_b64 s[8:9], s[2:3]
	s_cbranch_execz .LBB386_28
; %bb.23:
	s_movk_i32 s2, 0x80
	v_cmp_ne_u16_e64 s[2:3], s2, v38
	v_bfrev_b32_e32 v47, 1
	s_and_saveexec_b64 s[20:21], s[2:3]
	s_cbranch_execz .LBB386_27
; %bb.24:
	s_movk_i32 s2, 0x7f
	v_and_b32_e32 v40, 0x7f, v38
	v_cmp_ne_u32_e64 s[2:3], s2, v40
	v_mov_b32_e32 v47, 0x7f800001
	s_and_saveexec_b64 s[22:23], s[2:3]
	s_cbranch_execz .LBB386_26
; %bb.25:
	v_and_b32_e32 v41, 7, v38
	v_ffbh_u32_e32 v48, v41
	v_min_u32_e32 v50, 32, v48
	v_subrev_u32_e32 v48, 28, v50
	v_lshlrev_b64 v[48:49], v48, v[38:39]
	v_lshrrev_b32_e32 v47, 3, v40
	v_sub_u32_e32 v38, 29, v50
	v_and_b32_e32 v48, 7, v48
	v_cmp_gt_u32_e64 s[2:3], 8, v40
	v_cndmask_b32_e64 v38, v47, v38, s[2:3]
	v_cndmask_b32_e64 v40, v41, v48, s[2:3]
	v_lshlrev_b32_e32 v41, 16, v34
	v_bfrev_b32_e32 v47, 60
	v_lshlrev_b32_e32 v40, 20, v40
	v_and_b32_e32 v41, 0x80000000, v41
	v_lshl_add_u32 v38, v38, 23, v47
	v_or3_b32 v47, v41, v38, v40
.LBB386_26:
	s_or_b64 exec, exec, s[22:23]
.LBB386_27:
	s_or_b64 exec, exec, s[20:21]
.LBB386_28:
	s_or_b64 exec, exec, s[8:9]
	s_movk_i32 s2, 0xff
	v_and_b32_sdwa v40, v34, s2 dst_sel:DWORD dst_unused:UNUSED_PAD src0_sel:WORD_1 src1_sel:DWORD
	v_lshrrev_b32_e32 v38, 16, v34
	v_cmp_ne_u16_e64 s[2:3], 0, v40
	s_and_saveexec_b64 s[8:9], s[2:3]
	s_cbranch_execz .LBB386_34
; %bb.29:
	s_movk_i32 s2, 0x80
	v_cmp_ne_u16_e64 s[2:3], s2, v40
	v_bfrev_b32_e32 v39, 1
	s_and_saveexec_b64 s[20:21], s[2:3]
	s_cbranch_execz .LBB386_33
; %bb.30:
	v_bfe_u32 v40, v34, 16, 7
	s_movk_i32 s2, 0x7f
	v_cmp_ne_u32_e64 s[2:3], s2, v40
	v_mov_b32_e32 v39, 0x7f800001
	s_and_saveexec_b64 s[22:23], s[2:3]
	s_cbranch_execz .LBB386_32
; %bb.31:
	v_and_b32_e32 v41, 7, v38
	v_ffbh_u32_e32 v39, v41
	v_min_u32_e32 v49, 32, v39
	v_subrev_u32_e32 v39, 28, v49
	v_lshlrev_b64 v[38:39], v39, v[38:39]
	v_lshrrev_b32_e32 v48, 3, v40
	v_sub_u32_e32 v39, 29, v49
	v_and_b32_e32 v38, 7, v38
	v_cmp_gt_u32_e64 s[2:3], 8, v40
	v_mov_b32_e32 v40, 24
	v_cndmask_b32_e64 v39, v48, v39, s[2:3]
	v_cndmask_b32_e64 v38, v41, v38, s[2:3]
	v_lshlrev_b32_sdwa v40, v40, v34 dst_sel:DWORD dst_unused:UNUSED_PAD src0_sel:DWORD src1_sel:WORD_1
	v_bfrev_b32_e32 v41, 60
	v_lshlrev_b32_e32 v38, 20, v38
	v_and_b32_e32 v40, 0x80000000, v40
	v_lshl_add_u32 v39, v39, 23, v41
	v_or3_b32 v39, v40, v39, v38
.LBB386_32:
	s_or_b64 exec, exec, s[22:23]
.LBB386_33:
	s_or_b64 exec, exec, s[20:21]
.LBB386_34:
	s_or_b64 exec, exec, s[8:9]
	s_mov_b32 s2, 0xffffff
	v_cmp_lt_u32_e64 s[2:3], s2, v34
	v_mov_b32_e32 v41, 0
	v_mov_b32_e32 v48, 0
	s_and_saveexec_b64 s[8:9], s[2:3]
	s_cbranch_execz .LBB386_40
; %bb.35:
	v_lshrrev_b32_e32 v38, 24, v34
	s_movk_i32 s2, 0x80
	v_cmp_ne_u32_e64 s[2:3], s2, v38
	v_bfrev_b32_e32 v48, 1
	s_and_saveexec_b64 s[20:21], s[2:3]
	s_cbranch_execz .LBB386_39
; %bb.36:
	v_bfe_u32 v40, v34, 24, 7
	s_movk_i32 s2, 0x7f
	v_cmp_ne_u32_e64 s[2:3], s2, v40
	v_mov_b32_e32 v48, 0x7f800001
	s_and_saveexec_b64 s[22:23], s[2:3]
	s_cbranch_execz .LBB386_38
; %bb.37:
	v_and_b32_e32 v50, 7, v38
	v_ffbh_u32_e32 v48, v50
	v_min_u32_e32 v52, 32, v48
	v_subrev_u32_e32 v48, 28, v52
	v_lshlrev_b64 v[48:49], v48, v[38:39]
	v_lshrrev_b32_e32 v51, 3, v40
	v_sub_u32_e32 v49, 29, v52
	v_and_b32_e32 v48, 7, v48
	v_cmp_gt_u32_e64 s[2:3], 8, v40
	v_cndmask_b32_e64 v40, v51, v49, s[2:3]
	v_cndmask_b32_e64 v48, v50, v48, s[2:3]
	v_lshlrev_b32_e32 v38, 24, v38
	v_bfrev_b32_e32 v49, 60
	v_lshlrev_b32_e32 v48, 20, v48
	v_and_b32_e32 v38, 0x80000000, v38
	v_lshl_add_u32 v40, v40, 23, v49
	v_or3_b32 v48, v38, v40, v48
.LBB386_38:
	s_or_b64 exec, exec, s[22:23]
.LBB386_39:
	s_or_b64 exec, exec, s[20:21]
.LBB386_40:
	s_or_b64 exec, exec, s[8:9]
	v_mov_b32_e32 v40, v35
	v_cmp_ne_u16_sdwa s[2:3], v35, v41 src0_sel:BYTE_0 src1_sel:DWORD
	s_and_saveexec_b64 s[8:9], s[2:3]
	s_cbranch_execz .LBB386_46
; %bb.41:
	s_movk_i32 s2, 0x80
	v_cmp_ne_u16_sdwa s[2:3], v35, s2 src0_sel:BYTE_0 src1_sel:DWORD
	v_bfrev_b32_e32 v38, 1
	s_and_saveexec_b64 s[20:21], s[2:3]
	s_cbranch_execz .LBB386_45
; %bb.42:
	s_movk_i32 s2, 0x7f
	v_and_b32_e32 v49, 0x7f, v35
	v_cmp_ne_u32_e64 s[2:3], s2, v49
	v_mov_b32_e32 v38, 0x7f800001
	s_and_saveexec_b64 s[22:23], s[2:3]
	s_cbranch_execz .LBB386_44
; %bb.43:
	v_and_b32_e32 v38, 7, v35
	v_ffbh_u32_e32 v38, v38
	v_min_u32_e32 v38, 32, v38
	v_subrev_u32_e32 v51, 28, v38
	v_cmp_gt_u32_e64 s[2:3], 8, v49
	v_lshrrev_b32_e32 v50, 3, v49
	v_sub_u32_e32 v38, 29, v38
	v_cndmask_b32_e64 v49, 0, v51, s[2:3]
	v_cndmask_b32_e64 v38, v50, v38, s[2:3]
	v_lshlrev_b64 v[50:51], v49, v[40:41]
	v_lshlrev_b32_e32 v41, 20, v50
	v_lshlrev_b32_e32 v49, 24, v40
	v_bfrev_b32_e32 v50, 60
	v_and_b32_e32 v41, 0x700000, v41
	v_and_b32_e32 v49, 0x80000000, v49
	v_lshl_add_u32 v38, v38, 23, v50
	v_or3_b32 v38, v49, v38, v41
.LBB386_44:
	s_or_b64 exec, exec, s[22:23]
.LBB386_45:
	s_or_b64 exec, exec, s[20:21]
	v_mov_b32_e32 v41, v38
.LBB386_46:
	s_or_b64 exec, exec, s[8:9]
	v_lshrrev_b16_e32 v38, 8, v40
	v_cmp_ne_u16_e64 s[2:3], 0, v38
	v_mov_b32_e32 v49, 0
	v_mov_b32_e32 v50, 0
	s_and_saveexec_b64 s[8:9], s[2:3]
	s_cbranch_execz .LBB386_52
; %bb.47:
	s_movk_i32 s2, 0x80
	v_cmp_ne_u16_e64 s[2:3], s2, v38
	v_bfrev_b32_e32 v50, 1
	s_and_saveexec_b64 s[20:21], s[2:3]
	s_cbranch_execz .LBB386_51
; %bb.48:
	s_movk_i32 s2, 0x7f
	v_and_b32_e32 v51, 0x7f, v38
	v_cmp_ne_u32_e64 s[2:3], s2, v51
	v_mov_b32_e32 v50, 0x7f800001
	s_and_saveexec_b64 s[22:23], s[2:3]
	s_cbranch_execz .LBB386_50
; %bb.49:
	v_and_b32_e32 v50, 7, v38
	v_ffbh_u32_e32 v52, v50
	v_min_u32_e32 v55, 32, v52
	v_subrev_u32_e32 v52, 28, v55
	v_lshlrev_b64 v[52:53], v52, v[38:39]
	v_lshrrev_b32_e32 v54, 3, v51
	v_sub_u32_e32 v38, 29, v55
	v_and_b32_e32 v52, 7, v52
	v_cmp_gt_u32_e64 s[2:3], 8, v51
	v_cndmask_b32_e64 v38, v54, v38, s[2:3]
	v_cndmask_b32_e64 v50, v50, v52, s[2:3]
	v_lshlrev_b32_e32 v40, 16, v40
	v_bfrev_b32_e32 v51, 60
	v_lshlrev_b32_e32 v50, 20, v50
	v_and_b32_e32 v40, 0x80000000, v40
	v_lshl_add_u32 v38, v38, 23, v51
	v_or3_b32 v50, v40, v38, v50
.LBB386_50:
	s_or_b64 exec, exec, s[22:23]
.LBB386_51:
	s_or_b64 exec, exec, s[20:21]
.LBB386_52:
	s_or_b64 exec, exec, s[8:9]
	s_movk_i32 s2, 0xff
	v_and_b32_sdwa v40, v35, s2 dst_sel:DWORD dst_unused:UNUSED_PAD src0_sel:WORD_1 src1_sel:DWORD
	v_lshrrev_b32_e32 v38, 16, v35
	v_cmp_ne_u16_e64 s[2:3], 0, v40
	s_and_saveexec_b64 s[8:9], s[2:3]
	s_cbranch_execz .LBB386_58
; %bb.53:
	s_movk_i32 s2, 0x80
	v_cmp_ne_u16_e64 s[2:3], s2, v40
	v_bfrev_b32_e32 v49, 1
	s_and_saveexec_b64 s[20:21], s[2:3]
	s_cbranch_execz .LBB386_57
; %bb.54:
	v_bfe_u32 v40, v35, 16, 7
	s_movk_i32 s2, 0x7f
	v_cmp_ne_u32_e64 s[2:3], s2, v40
	v_mov_b32_e32 v49, 0x7f800001
	s_and_saveexec_b64 s[22:23], s[2:3]
	s_cbranch_execz .LBB386_56
; %bb.55:
	v_and_b32_e32 v49, 7, v38
	v_ffbh_u32_e32 v52, v49
	v_min_u32_e32 v54, 32, v52
	v_subrev_u32_e32 v52, 28, v54
	v_lshlrev_b64 v[52:53], v52, v[38:39]
	v_and_b32_e32 v52, 7, v52
	v_cmp_gt_u32_e64 s[2:3], 8, v40
	v_lshrrev_b32_e32 v51, 3, v40
	v_sub_u32_e32 v38, 29, v54
	v_cndmask_b32_e64 v40, v49, v52, s[2:3]
	v_mov_b32_e32 v49, 24
	v_cndmask_b32_e64 v38, v51, v38, s[2:3]
	v_lshlrev_b32_sdwa v49, v49, v35 dst_sel:DWORD dst_unused:UNUSED_PAD src0_sel:DWORD src1_sel:WORD_1
	v_bfrev_b32_e32 v51, 60
	v_lshlrev_b32_e32 v40, 20, v40
	v_and_b32_e32 v49, 0x80000000, v49
	v_lshl_add_u32 v38, v38, 23, v51
	v_or3_b32 v49, v49, v38, v40
.LBB386_56:
	s_or_b64 exec, exec, s[22:23]
.LBB386_57:
	s_or_b64 exec, exec, s[20:21]
.LBB386_58:
	s_or_b64 exec, exec, s[8:9]
	s_mov_b32 s2, -1
	s_mov_b32 s3, 0xffffff
	v_cmp_lt_u64_e64 s[2:3], s[2:3], v[34:35]
	v_mov_b32_e32 v40, 0
	v_mov_b32_e32 v38, 0
	s_and_saveexec_b64 s[8:9], s[2:3]
	s_cbranch_execz .LBB386_64
; %bb.59:
	v_lshrrev_b32_e32 v34, 24, v35
	s_movk_i32 s2, 0x80
	v_cmp_ne_u32_e64 s[2:3], s2, v34
	v_bfrev_b32_e32 v38, 1
	s_and_saveexec_b64 s[20:21], s[2:3]
	s_cbranch_execz .LBB386_63
; %bb.60:
	v_bfe_u32 v35, v35, 24, 7
	s_movk_i32 s2, 0x7f
	v_cmp_ne_u32_e64 s[2:3], s2, v35
	v_mov_b32_e32 v38, 0x7f800001
	s_and_saveexec_b64 s[22:23], s[2:3]
	s_cbranch_execz .LBB386_62
; %bb.61:
	v_and_b32_e32 v38, 7, v34
	v_ffbh_u32_e32 v52, v38
	v_min_u32_e32 v54, 32, v52
	v_subrev_u32_e32 v52, 28, v54
	v_lshlrev_b64 v[52:53], v52, v[34:35]
	v_lshrrev_b32_e32 v51, 3, v35
	v_sub_u32_e32 v53, 29, v54
	v_and_b32_e32 v52, 7, v52
	v_cmp_gt_u32_e64 s[2:3], 8, v35
	v_cndmask_b32_e64 v35, v51, v53, s[2:3]
	v_cndmask_b32_e64 v38, v38, v52, s[2:3]
	v_lshlrev_b32_e32 v34, 24, v34
	v_bfrev_b32_e32 v51, 60
	v_lshlrev_b32_e32 v38, 20, v38
	v_and_b32_e32 v34, 0x80000000, v34
	v_lshl_add_u32 v35, v35, 23, v51
	v_or3_b32 v38, v34, v35, v38
.LBB386_62:
	s_or_b64 exec, exec, s[22:23]
.LBB386_63:
	s_or_b64 exec, exec, s[20:21]
.LBB386_64:
	s_or_b64 exec, exec, s[8:9]
	v_cvt_pkrtz_f16_f32 v34, v46, v47
	v_cvt_pkrtz_f16_f32 v35, v39, v48
	;; [unrolled: 1-line block ×4, first 2 shown]
	v_mfma_f32_4x4x4f16 a[0:3], v[18:19], v[34:35], 0 cbsz:4
	v_cmp_ne_u16_sdwa s[2:3], v36, v40 src0_sel:BYTE_0 src1_sel:DWORD
	v_mfma_f32_4x4x4f16 a[0:3], v[20:21], v[46:47], a[0:3] cbsz:4
	s_and_saveexec_b64 s[8:9], s[2:3]
	s_cbranch_execz .LBB386_70
; %bb.65:
	s_movk_i32 s2, 0x80
	v_cmp_ne_u16_sdwa s[2:3], v36, s2 src0_sel:BYTE_0 src1_sel:DWORD
	v_bfrev_b32_e32 v40, 1
	s_and_saveexec_b64 s[20:21], s[2:3]
	s_cbranch_execz .LBB386_69
; %bb.66:
	s_movk_i32 s2, 0x7f
	v_and_b32_e32 v34, 0x7f, v36
	v_cmp_ne_u32_e64 s[2:3], s2, v34
	v_mov_b32_e32 v40, 0x7f800001
	s_and_saveexec_b64 s[22:23], s[2:3]
	s_cbranch_execz .LBB386_68
; %bb.67:
	v_and_b32_e32 v35, 7, v36
	v_ffbh_u32_e32 v35, v35
	v_min_u32_e32 v35, 32, v35
	v_subrev_u32_e32 v39, 28, v35
	v_cmp_gt_u32_e64 s[2:3], 8, v34
	v_lshrrev_b32_e32 v38, 3, v34
	v_sub_u32_e32 v35, 29, v35
	v_cndmask_b32_e64 v34, 0, v39, s[2:3]
	v_cndmask_b32_e64 v38, v38, v35, s[2:3]
	v_lshlrev_b64 v[34:35], v34, v[36:37]
	v_lshlrev_b32_e32 v34, 20, v34
	v_lshlrev_b32_e32 v35, 24, v36
	v_bfrev_b32_e32 v39, 60
	v_and_b32_e32 v34, 0x700000, v34
	v_and_b32_e32 v35, 0x80000000, v35
	v_lshl_add_u32 v38, v38, 23, v39
	v_or3_b32 v40, v35, v38, v34
.LBB386_68:
	s_or_b64 exec, exec, s[22:23]
.LBB386_69:
	s_or_b64 exec, exec, s[20:21]
.LBB386_70:
	s_or_b64 exec, exec, s[8:9]
	v_lshrrev_b16_e32 v34, 8, v36
	v_cmp_ne_u16_e64 s[2:3], 0, v34
	v_mov_b32_e32 v39, 0
	v_mov_b32_e32 v41, 0
	s_and_saveexec_b64 s[8:9], s[2:3]
	s_cbranch_execz .LBB386_76
; %bb.71:
	s_movk_i32 s2, 0x80
	v_cmp_ne_u16_e64 s[2:3], s2, v34
	v_bfrev_b32_e32 v41, 1
	s_and_saveexec_b64 s[20:21], s[2:3]
	s_cbranch_execz .LBB386_75
; %bb.72:
	s_movk_i32 s2, 0x7f
	v_and_b32_e32 v35, 0x7f, v34
	v_cmp_ne_u32_e64 s[2:3], s2, v35
	v_mov_b32_e32 v41, 0x7f800001
	s_and_saveexec_b64 s[22:23], s[2:3]
	s_cbranch_execz .LBB386_74
; %bb.73:
	v_and_b32_e32 v38, 7, v34
	v_ffbh_u32_e32 v46, v38
	v_min_u32_e32 v48, 32, v46
	v_subrev_u32_e32 v46, 28, v48
	v_lshlrev_b64 v[46:47], v46, v[34:35]
	v_lshrrev_b32_e32 v41, 3, v35
	v_sub_u32_e32 v34, 29, v48
	v_and_b32_e32 v46, 7, v46
	v_cmp_gt_u32_e64 s[2:3], 8, v35
	v_cndmask_b32_e64 v34, v41, v34, s[2:3]
	v_cndmask_b32_e64 v35, v38, v46, s[2:3]
	v_lshlrev_b32_e32 v38, 16, v36
	v_bfrev_b32_e32 v41, 60
	v_lshlrev_b32_e32 v35, 20, v35
	v_and_b32_e32 v38, 0x80000000, v38
	v_lshl_add_u32 v34, v34, 23, v41
	v_or3_b32 v41, v38, v34, v35
.LBB386_74:
	s_or_b64 exec, exec, s[22:23]
.LBB386_75:
	s_or_b64 exec, exec, s[20:21]
.LBB386_76:
	s_or_b64 exec, exec, s[8:9]
	s_movk_i32 s2, 0xff
	v_and_b32_sdwa v35, v36, s2 dst_sel:DWORD dst_unused:UNUSED_PAD src0_sel:WORD_1 src1_sel:DWORD
	v_lshrrev_b32_e32 v34, 16, v36
	v_cmp_ne_u16_e64 s[2:3], 0, v35
	s_and_saveexec_b64 s[8:9], s[2:3]
	s_cbranch_execz .LBB386_82
; %bb.77:
	s_movk_i32 s2, 0x80
	v_cmp_ne_u16_e64 s[2:3], s2, v35
	v_bfrev_b32_e32 v39, 1
	s_and_saveexec_b64 s[20:21], s[2:3]
	s_cbranch_execz .LBB386_81
; %bb.78:
	v_bfe_u32 v35, v36, 16, 7
	s_movk_i32 s2, 0x7f
	v_cmp_ne_u32_e64 s[2:3], s2, v35
	v_mov_b32_e32 v39, 0x7f800001
	s_and_saveexec_b64 s[22:23], s[2:3]
	s_cbranch_execz .LBB386_80
; %bb.79:
	v_and_b32_e32 v46, 7, v34
	v_ffbh_u32_e32 v38, v46
	v_min_u32_e32 v48, 32, v38
	v_subrev_u32_e32 v38, 28, v48
	v_lshlrev_b64 v[38:39], v38, v[34:35]
	v_and_b32_e32 v38, 7, v38
	v_cmp_gt_u32_e64 s[2:3], 8, v35
	v_lshrrev_b32_e32 v47, 3, v35
	v_sub_u32_e32 v34, 29, v48
	v_cndmask_b32_e64 v35, v46, v38, s[2:3]
	v_mov_b32_e32 v38, 24
	v_cndmask_b32_e64 v34, v47, v34, s[2:3]
	v_lshlrev_b32_sdwa v38, v38, v36 dst_sel:DWORD dst_unused:UNUSED_PAD src0_sel:DWORD src1_sel:WORD_1
	v_bfrev_b32_e32 v39, 60
	v_lshlrev_b32_e32 v35, 20, v35
	v_and_b32_e32 v38, 0x80000000, v38
	v_lshl_add_u32 v34, v34, 23, v39
	v_or3_b32 v39, v38, v34, v35
.LBB386_80:
	s_or_b64 exec, exec, s[22:23]
.LBB386_81:
	s_or_b64 exec, exec, s[20:21]
.LBB386_82:
	s_or_b64 exec, exec, s[8:9]
	s_mov_b32 s2, 0xffffff
	v_cmp_lt_u32_e64 s[2:3], s2, v36
	v_mov_b32_e32 v35, 0
	v_mov_b32_e32 v46, 0
	s_and_saveexec_b64 s[8:9], s[2:3]
	s_cbranch_execz .LBB386_88
; %bb.83:
	v_lshrrev_b32_e32 v34, 24, v36
	s_movk_i32 s2, 0x80
	v_cmp_ne_u32_e64 s[2:3], s2, v34
	v_bfrev_b32_e32 v46, 1
	s_and_saveexec_b64 s[20:21], s[2:3]
	s_cbranch_execz .LBB386_87
; %bb.84:
	v_bfe_u32 v38, v36, 24, 7
	s_movk_i32 s2, 0x7f
	v_cmp_ne_u32_e64 s[2:3], s2, v38
	v_mov_b32_e32 v46, 0x7f800001
	s_and_saveexec_b64 s[22:23], s[2:3]
	s_cbranch_execz .LBB386_86
; %bb.85:
	v_and_b32_e32 v48, 7, v34
	v_ffbh_u32_e32 v46, v48
	v_min_u32_e32 v50, 32, v46
	v_subrev_u32_e32 v46, 28, v50
	v_lshlrev_b64 v[46:47], v46, v[34:35]
	v_lshrrev_b32_e32 v49, 3, v38
	v_sub_u32_e32 v47, 29, v50
	v_and_b32_e32 v46, 7, v46
	v_cmp_gt_u32_e64 s[2:3], 8, v38
	v_cndmask_b32_e64 v38, v49, v47, s[2:3]
	v_cndmask_b32_e64 v46, v48, v46, s[2:3]
	v_lshlrev_b32_e32 v34, 24, v34
	v_bfrev_b32_e32 v47, 60
	v_lshlrev_b32_e32 v46, 20, v46
	v_and_b32_e32 v34, 0x80000000, v34
	v_lshl_add_u32 v38, v38, 23, v47
	v_or3_b32 v46, v34, v38, v46
.LBB386_86:
	s_or_b64 exec, exec, s[22:23]
.LBB386_87:
	s_or_b64 exec, exec, s[20:21]
.LBB386_88:
	s_or_b64 exec, exec, s[8:9]
	v_mov_b32_e32 v34, v37
	v_cmp_ne_u16_sdwa s[2:3], v37, v35 src0_sel:BYTE_0 src1_sel:DWORD
	s_and_saveexec_b64 s[8:9], s[2:3]
	s_cbranch_execz .LBB386_94
; %bb.89:
	s_movk_i32 s2, 0x80
	v_cmp_ne_u16_sdwa s[2:3], v37, s2 src0_sel:BYTE_0 src1_sel:DWORD
	v_bfrev_b32_e32 v38, 1
	s_and_saveexec_b64 s[20:21], s[2:3]
	s_cbranch_execz .LBB386_93
; %bb.90:
	s_movk_i32 s2, 0x7f
	v_and_b32_e32 v47, 0x7f, v37
	v_cmp_ne_u32_e64 s[2:3], s2, v47
	v_mov_b32_e32 v38, 0x7f800001
	s_and_saveexec_b64 s[22:23], s[2:3]
	s_cbranch_execz .LBB386_92
; %bb.91:
	v_and_b32_e32 v38, 7, v37
	v_ffbh_u32_e32 v38, v38
	v_min_u32_e32 v38, 32, v38
	v_subrev_u32_e32 v49, 28, v38
	v_cmp_gt_u32_e64 s[2:3], 8, v47
	v_lshrrev_b32_e32 v48, 3, v47
	v_sub_u32_e32 v38, 29, v38
	v_cndmask_b32_e64 v47, 0, v49, s[2:3]
	v_cndmask_b32_e64 v38, v48, v38, s[2:3]
	v_lshlrev_b64 v[48:49], v47, v[34:35]
	v_lshlrev_b32_e32 v35, 20, v48
	v_lshlrev_b32_e32 v47, 24, v34
	v_bfrev_b32_e32 v48, 60
	v_and_b32_e32 v35, 0x700000, v35
	v_and_b32_e32 v47, 0x80000000, v47
	v_lshl_add_u32 v38, v38, 23, v48
	v_or3_b32 v38, v47, v38, v35
.LBB386_92:
	s_or_b64 exec, exec, s[22:23]
.LBB386_93:
	s_or_b64 exec, exec, s[20:21]
	v_mov_b32_e32 v35, v38
.LBB386_94:
	s_or_b64 exec, exec, s[8:9]
	v_lshrrev_b16_e32 v38, 8, v34
	v_cmp_ne_u16_e64 s[2:3], 0, v38
	v_mov_b32_e32 v47, 0
	v_mov_b32_e32 v48, 0
	s_and_saveexec_b64 s[8:9], s[2:3]
	s_cbranch_execz .LBB386_100
; %bb.95:
	s_movk_i32 s2, 0x80
	v_cmp_ne_u16_e64 s[2:3], s2, v38
	v_bfrev_b32_e32 v48, 1
	s_and_saveexec_b64 s[20:21], s[2:3]
	s_cbranch_execz .LBB386_99
; %bb.96:
	s_movk_i32 s2, 0x7f
	v_and_b32_e32 v49, 0x7f, v38
	v_cmp_ne_u32_e64 s[2:3], s2, v49
	v_mov_b32_e32 v48, 0x7f800001
	s_and_saveexec_b64 s[22:23], s[2:3]
	s_cbranch_execz .LBB386_98
; %bb.97:
	v_and_b32_e32 v48, 7, v38
	v_ffbh_u32_e32 v50, v48
	v_min_u32_e32 v53, 32, v50
	v_subrev_u32_e32 v50, 28, v53
	v_lshlrev_b64 v[50:51], v50, v[38:39]
	v_lshrrev_b32_e32 v52, 3, v49
	v_sub_u32_e32 v38, 29, v53
	v_and_b32_e32 v50, 7, v50
	v_cmp_gt_u32_e64 s[2:3], 8, v49
	v_cndmask_b32_e64 v38, v52, v38, s[2:3]
	v_cndmask_b32_e64 v48, v48, v50, s[2:3]
	v_lshlrev_b32_e32 v34, 16, v34
	v_bfrev_b32_e32 v49, 60
	v_lshlrev_b32_e32 v48, 20, v48
	v_and_b32_e32 v34, 0x80000000, v34
	v_lshl_add_u32 v38, v38, 23, v49
	v_or3_b32 v48, v34, v38, v48
.LBB386_98:
	s_or_b64 exec, exec, s[22:23]
.LBB386_99:
	s_or_b64 exec, exec, s[20:21]
.LBB386_100:
	s_or_b64 exec, exec, s[8:9]
	s_movk_i32 s2, 0xff
	v_and_b32_sdwa v38, v37, s2 dst_sel:DWORD dst_unused:UNUSED_PAD src0_sel:WORD_1 src1_sel:DWORD
	v_lshrrev_b32_e32 v34, 16, v37
	v_cmp_ne_u16_e64 s[2:3], 0, v38
	s_and_saveexec_b64 s[8:9], s[2:3]
	s_cbranch_execz .LBB386_106
; %bb.101:
	s_movk_i32 s2, 0x80
	v_cmp_ne_u16_e64 s[2:3], s2, v38
	v_bfrev_b32_e32 v47, 1
	s_and_saveexec_b64 s[20:21], s[2:3]
	s_cbranch_execz .LBB386_105
; %bb.102:
	v_bfe_u32 v38, v37, 16, 7
	s_movk_i32 s2, 0x7f
	v_cmp_ne_u32_e64 s[2:3], s2, v38
	v_mov_b32_e32 v47, 0x7f800001
	s_and_saveexec_b64 s[22:23], s[2:3]
	s_cbranch_execz .LBB386_104
; %bb.103:
	v_and_b32_e32 v47, 7, v34
	v_ffbh_u32_e32 v50, v47
	v_min_u32_e32 v52, 32, v50
	v_subrev_u32_e32 v50, 28, v52
	v_lshlrev_b64 v[50:51], v50, v[34:35]
	v_and_b32_e32 v50, 7, v50
	v_cmp_gt_u32_e64 s[2:3], 8, v38
	v_lshrrev_b32_e32 v49, 3, v38
	v_sub_u32_e32 v34, 29, v52
	v_cndmask_b32_e64 v38, v47, v50, s[2:3]
	v_mov_b32_e32 v47, 24
	v_cndmask_b32_e64 v34, v49, v34, s[2:3]
	v_lshlrev_b32_sdwa v47, v47, v37 dst_sel:DWORD dst_unused:UNUSED_PAD src0_sel:DWORD src1_sel:WORD_1
	v_bfrev_b32_e32 v49, 60
	v_lshlrev_b32_e32 v38, 20, v38
	v_and_b32_e32 v47, 0x80000000, v47
	v_lshl_add_u32 v34, v34, 23, v49
	v_or3_b32 v47, v47, v34, v38
.LBB386_104:
	s_or_b64 exec, exec, s[22:23]
.LBB386_105:
	s_or_b64 exec, exec, s[20:21]
.LBB386_106:
	s_or_b64 exec, exec, s[8:9]
	s_mov_b32 s2, -1
	s_mov_b32 s3, 0xffffff
	v_cmp_lt_u64_e64 s[2:3], s[2:3], v[36:37]
	v_mov_b32_e32 v38, 0
	v_mov_b32_e32 v36, 0
	s_and_saveexec_b64 s[8:9], s[2:3]
	s_cbranch_execz .LBB386_112
; %bb.107:
	v_lshrrev_b32_e32 v34, 24, v37
	s_movk_i32 s2, 0x80
	v_cmp_ne_u32_e64 s[2:3], s2, v34
	v_bfrev_b32_e32 v36, 1
	s_and_saveexec_b64 s[20:21], s[2:3]
	s_cbranch_execz .LBB386_111
; %bb.108:
	v_bfe_u32 v37, v37, 24, 7
	s_movk_i32 s2, 0x7f
	v_cmp_ne_u32_e64 s[2:3], s2, v37
	v_mov_b32_e32 v36, 0x7f800001
	s_and_saveexec_b64 s[22:23], s[2:3]
	s_cbranch_execz .LBB386_110
; %bb.109:
	v_and_b32_e32 v36, 7, v34
	v_ffbh_u32_e32 v50, v36
	v_min_u32_e32 v52, 32, v50
	v_subrev_u32_e32 v50, 28, v52
	v_lshlrev_b64 v[50:51], v50, v[34:35]
	v_lshrrev_b32_e32 v49, 3, v37
	v_sub_u32_e32 v51, 29, v52
	v_and_b32_e32 v50, 7, v50
	v_cmp_gt_u32_e64 s[2:3], 8, v37
	v_cndmask_b32_e64 v37, v49, v51, s[2:3]
	v_cndmask_b32_e64 v36, v36, v50, s[2:3]
	v_lshlrev_b32_e32 v34, 24, v34
	v_bfrev_b32_e32 v49, 60
	v_lshlrev_b32_e32 v36, 20, v36
	v_and_b32_e32 v34, 0x80000000, v34
	v_lshl_add_u32 v37, v37, 23, v49
	v_or3_b32 v36, v34, v37, v36
.LBB386_110:
	s_or_b64 exec, exec, s[22:23]
.LBB386_111:
	s_or_b64 exec, exec, s[20:21]
.LBB386_112:
	s_or_b64 exec, exec, s[8:9]
	v_cvt_pkrtz_f16_f32 v40, v40, v41
	v_cvt_pkrtz_f16_f32 v41, v39, v46
	;; [unrolled: 1-line block ×4, first 2 shown]
	v_mfma_f32_4x4x4f16 a[0:3], v[18:19], v[40:41], a[0:3] cbsz:4 abid:1
	s_waitcnt vmcnt(6)
	v_cmp_ne_u16_sdwa s[2:3], v30, v38 src0_sel:BYTE_0 src1_sel:DWORD
	v_mfma_f32_4x4x4f16 a[0:3], v[20:21], v[34:35], a[0:3] cbsz:4 abid:1
	s_and_saveexec_b64 s[8:9], s[2:3]
	s_cbranch_execz .LBB386_118
; %bb.113:
	s_movk_i32 s2, 0x80
	v_cmp_ne_u16_sdwa s[2:3], v30, s2 src0_sel:BYTE_0 src1_sel:DWORD
	v_bfrev_b32_e32 v38, 1
	s_and_saveexec_b64 s[20:21], s[2:3]
	s_cbranch_execz .LBB386_117
; %bb.114:
	s_movk_i32 s2, 0x7f
	v_and_b32_e32 v34, 0x7f, v30
	v_cmp_ne_u32_e64 s[2:3], s2, v34
	v_mov_b32_e32 v38, 0x7f800001
	s_and_saveexec_b64 s[22:23], s[2:3]
	s_cbranch_execz .LBB386_116
; %bb.115:
	v_and_b32_e32 v35, 7, v30
	v_ffbh_u32_e32 v35, v35
	v_min_u32_e32 v35, 32, v35
	v_subrev_u32_e32 v37, 28, v35
	v_cmp_gt_u32_e64 s[2:3], 8, v34
	v_lshrrev_b32_e32 v36, 3, v34
	v_sub_u32_e32 v35, 29, v35
	v_cndmask_b32_e64 v34, 0, v37, s[2:3]
	v_cndmask_b32_e64 v36, v36, v35, s[2:3]
	v_lshlrev_b64 v[34:35], v34, v[30:31]
	v_lshlrev_b32_e32 v34, 20, v34
	v_lshlrev_b32_e32 v35, 24, v30
	v_bfrev_b32_e32 v37, 60
	v_and_b32_e32 v34, 0x700000, v34
	v_and_b32_e32 v35, 0x80000000, v35
	v_lshl_add_u32 v36, v36, 23, v37
	v_or3_b32 v38, v35, v36, v34
.LBB386_116:
	s_or_b64 exec, exec, s[22:23]
.LBB386_117:
	s_or_b64 exec, exec, s[20:21]
.LBB386_118:
	s_or_b64 exec, exec, s[8:9]
	v_lshrrev_b16_e32 v34, 8, v30
	v_cmp_ne_u16_e64 s[2:3], 0, v34
	v_mov_b32_e32 v37, 0
	v_mov_b32_e32 v39, 0
	s_and_saveexec_b64 s[8:9], s[2:3]
	s_cbranch_execz .LBB386_124
; %bb.119:
	s_movk_i32 s2, 0x80
	v_cmp_ne_u16_e64 s[2:3], s2, v34
	v_bfrev_b32_e32 v39, 1
	s_and_saveexec_b64 s[20:21], s[2:3]
	s_cbranch_execz .LBB386_123
; %bb.120:
	s_movk_i32 s2, 0x7f
	v_and_b32_e32 v35, 0x7f, v34
	v_cmp_ne_u32_e64 s[2:3], s2, v35
	v_mov_b32_e32 v39, 0x7f800001
	s_and_saveexec_b64 s[22:23], s[2:3]
	s_cbranch_execz .LBB386_122
; %bb.121:
	v_and_b32_e32 v36, 7, v34
	v_ffbh_u32_e32 v40, v36
	v_min_u32_e32 v46, 32, v40
	v_subrev_u32_e32 v40, 28, v46
	v_lshlrev_b64 v[40:41], v40, v[34:35]
	v_lshrrev_b32_e32 v39, 3, v35
	v_sub_u32_e32 v34, 29, v46
	v_and_b32_e32 v40, 7, v40
	v_cmp_gt_u32_e64 s[2:3], 8, v35
	v_cndmask_b32_e64 v34, v39, v34, s[2:3]
	v_cndmask_b32_e64 v35, v36, v40, s[2:3]
	v_lshlrev_b32_e32 v36, 16, v30
	v_bfrev_b32_e32 v39, 60
	v_lshlrev_b32_e32 v35, 20, v35
	v_and_b32_e32 v36, 0x80000000, v36
	v_lshl_add_u32 v34, v34, 23, v39
	v_or3_b32 v39, v36, v34, v35
.LBB386_122:
	s_or_b64 exec, exec, s[22:23]
.LBB386_123:
	s_or_b64 exec, exec, s[20:21]
.LBB386_124:
	s_or_b64 exec, exec, s[8:9]
	s_movk_i32 s2, 0xff
	v_and_b32_sdwa v35, v30, s2 dst_sel:DWORD dst_unused:UNUSED_PAD src0_sel:WORD_1 src1_sel:DWORD
	v_lshrrev_b32_e32 v34, 16, v30
	v_cmp_ne_u16_e64 s[2:3], 0, v35
	s_and_saveexec_b64 s[8:9], s[2:3]
	s_cbranch_execz .LBB386_130
; %bb.125:
	s_movk_i32 s2, 0x80
	v_cmp_ne_u16_e64 s[2:3], s2, v35
	v_bfrev_b32_e32 v37, 1
	s_and_saveexec_b64 s[20:21], s[2:3]
	s_cbranch_execz .LBB386_129
; %bb.126:
	v_bfe_u32 v35, v30, 16, 7
	s_movk_i32 s2, 0x7f
	v_cmp_ne_u32_e64 s[2:3], s2, v35
	v_mov_b32_e32 v37, 0x7f800001
	s_and_saveexec_b64 s[22:23], s[2:3]
	s_cbranch_execz .LBB386_128
; %bb.127:
	v_and_b32_e32 v40, 7, v34
	v_ffbh_u32_e32 v36, v40
	v_min_u32_e32 v46, 32, v36
	v_subrev_u32_e32 v36, 28, v46
	v_lshlrev_b64 v[36:37], v36, v[34:35]
	v_and_b32_e32 v36, 7, v36
	v_cmp_gt_u32_e64 s[2:3], 8, v35
	v_lshrrev_b32_e32 v41, 3, v35
	v_sub_u32_e32 v34, 29, v46
	v_cndmask_b32_e64 v35, v40, v36, s[2:3]
	v_mov_b32_e32 v36, 24
	v_cndmask_b32_e64 v34, v41, v34, s[2:3]
	v_lshlrev_b32_sdwa v36, v36, v30 dst_sel:DWORD dst_unused:UNUSED_PAD src0_sel:DWORD src1_sel:WORD_1
	v_bfrev_b32_e32 v37, 60
	v_lshlrev_b32_e32 v35, 20, v35
	v_and_b32_e32 v36, 0x80000000, v36
	v_lshl_add_u32 v34, v34, 23, v37
	v_or3_b32 v37, v36, v34, v35
.LBB386_128:
	s_or_b64 exec, exec, s[22:23]
.LBB386_129:
	s_or_b64 exec, exec, s[20:21]
.LBB386_130:
	s_or_b64 exec, exec, s[8:9]
	s_mov_b32 s2, 0xffffff
	v_cmp_lt_u32_e64 s[2:3], s2, v30
	v_mov_b32_e32 v35, 0
	v_mov_b32_e32 v40, 0
	s_and_saveexec_b64 s[8:9], s[2:3]
	s_cbranch_execz .LBB386_136
; %bb.131:
	v_lshrrev_b32_e32 v34, 24, v30
	s_movk_i32 s2, 0x80
	v_cmp_ne_u32_e64 s[2:3], s2, v34
	v_bfrev_b32_e32 v40, 1
	s_and_saveexec_b64 s[20:21], s[2:3]
	s_cbranch_execz .LBB386_135
; %bb.132:
	v_bfe_u32 v36, v30, 24, 7
	s_movk_i32 s2, 0x7f
	v_cmp_ne_u32_e64 s[2:3], s2, v36
	v_mov_b32_e32 v40, 0x7f800001
	s_and_saveexec_b64 s[22:23], s[2:3]
	s_cbranch_execz .LBB386_134
; %bb.133:
	v_and_b32_e32 v46, 7, v34
	v_ffbh_u32_e32 v40, v46
	v_min_u32_e32 v48, 32, v40
	v_subrev_u32_e32 v40, 28, v48
	v_lshlrev_b64 v[40:41], v40, v[34:35]
	v_lshrrev_b32_e32 v47, 3, v36
	v_sub_u32_e32 v41, 29, v48
	v_and_b32_e32 v40, 7, v40
	v_cmp_gt_u32_e64 s[2:3], 8, v36
	v_cndmask_b32_e64 v36, v47, v41, s[2:3]
	v_cndmask_b32_e64 v40, v46, v40, s[2:3]
	v_lshlrev_b32_e32 v34, 24, v34
	v_bfrev_b32_e32 v41, 60
	v_lshlrev_b32_e32 v40, 20, v40
	v_and_b32_e32 v34, 0x80000000, v34
	v_lshl_add_u32 v36, v36, 23, v41
	v_or3_b32 v40, v34, v36, v40
.LBB386_134:
	s_or_b64 exec, exec, s[22:23]
.LBB386_135:
	s_or_b64 exec, exec, s[20:21]
.LBB386_136:
	s_or_b64 exec, exec, s[8:9]
	v_mov_b32_e32 v34, v31
	v_cmp_ne_u16_sdwa s[2:3], v31, v35 src0_sel:BYTE_0 src1_sel:DWORD
	s_and_saveexec_b64 s[8:9], s[2:3]
	s_cbranch_execz .LBB386_142
; %bb.137:
	s_movk_i32 s2, 0x80
	v_cmp_ne_u16_sdwa s[2:3], v31, s2 src0_sel:BYTE_0 src1_sel:DWORD
	v_bfrev_b32_e32 v36, 1
	s_and_saveexec_b64 s[20:21], s[2:3]
	s_cbranch_execz .LBB386_141
; %bb.138:
	s_movk_i32 s2, 0x7f
	v_and_b32_e32 v41, 0x7f, v31
	v_cmp_ne_u32_e64 s[2:3], s2, v41
	v_mov_b32_e32 v36, 0x7f800001
	s_and_saveexec_b64 s[22:23], s[2:3]
	s_cbranch_execz .LBB386_140
; %bb.139:
	v_and_b32_e32 v36, 7, v31
	v_ffbh_u32_e32 v36, v36
	v_min_u32_e32 v36, 32, v36
	v_subrev_u32_e32 v47, 28, v36
	v_cmp_gt_u32_e64 s[2:3], 8, v41
	v_lshrrev_b32_e32 v46, 3, v41
	v_sub_u32_e32 v36, 29, v36
	v_cndmask_b32_e64 v41, 0, v47, s[2:3]
	v_cndmask_b32_e64 v36, v46, v36, s[2:3]
	v_lshlrev_b64 v[46:47], v41, v[34:35]
	v_lshlrev_b32_e32 v35, 20, v46
	v_lshlrev_b32_e32 v41, 24, v34
	v_bfrev_b32_e32 v46, 60
	v_and_b32_e32 v35, 0x700000, v35
	v_and_b32_e32 v41, 0x80000000, v41
	v_lshl_add_u32 v36, v36, 23, v46
	v_or3_b32 v36, v41, v36, v35
.LBB386_140:
	s_or_b64 exec, exec, s[22:23]
.LBB386_141:
	s_or_b64 exec, exec, s[20:21]
	v_mov_b32_e32 v35, v36
.LBB386_142:
	s_or_b64 exec, exec, s[8:9]
	v_lshrrev_b16_e32 v36, 8, v34
	v_cmp_ne_u16_e64 s[2:3], 0, v36
	v_mov_b32_e32 v41, 0
	v_mov_b32_e32 v46, 0
	s_and_saveexec_b64 s[8:9], s[2:3]
	s_cbranch_execz .LBB386_148
; %bb.143:
	s_movk_i32 s2, 0x80
	v_cmp_ne_u16_e64 s[2:3], s2, v36
	v_bfrev_b32_e32 v46, 1
	s_and_saveexec_b64 s[20:21], s[2:3]
	s_cbranch_execz .LBB386_147
; %bb.144:
	s_movk_i32 s2, 0x7f
	v_and_b32_e32 v47, 0x7f, v36
	v_cmp_ne_u32_e64 s[2:3], s2, v47
	v_mov_b32_e32 v46, 0x7f800001
	s_and_saveexec_b64 s[22:23], s[2:3]
	s_cbranch_execz .LBB386_146
; %bb.145:
	v_and_b32_e32 v46, 7, v36
	v_ffbh_u32_e32 v48, v46
	v_min_u32_e32 v51, 32, v48
	v_subrev_u32_e32 v48, 28, v51
	v_lshlrev_b64 v[48:49], v48, v[36:37]
	v_lshrrev_b32_e32 v50, 3, v47
	v_sub_u32_e32 v36, 29, v51
	v_and_b32_e32 v48, 7, v48
	v_cmp_gt_u32_e64 s[2:3], 8, v47
	v_cndmask_b32_e64 v36, v50, v36, s[2:3]
	v_cndmask_b32_e64 v46, v46, v48, s[2:3]
	v_lshlrev_b32_e32 v34, 16, v34
	v_bfrev_b32_e32 v47, 60
	v_lshlrev_b32_e32 v46, 20, v46
	v_and_b32_e32 v34, 0x80000000, v34
	v_lshl_add_u32 v36, v36, 23, v47
	v_or3_b32 v46, v34, v36, v46
.LBB386_146:
	s_or_b64 exec, exec, s[22:23]
.LBB386_147:
	s_or_b64 exec, exec, s[20:21]
.LBB386_148:
	s_or_b64 exec, exec, s[8:9]
	s_movk_i32 s2, 0xff
	v_and_b32_sdwa v36, v31, s2 dst_sel:DWORD dst_unused:UNUSED_PAD src0_sel:WORD_1 src1_sel:DWORD
	v_lshrrev_b32_e32 v34, 16, v31
	v_cmp_ne_u16_e64 s[2:3], 0, v36
	s_and_saveexec_b64 s[8:9], s[2:3]
	s_cbranch_execz .LBB386_154
; %bb.149:
	s_movk_i32 s2, 0x80
	v_cmp_ne_u16_e64 s[2:3], s2, v36
	v_bfrev_b32_e32 v41, 1
	s_and_saveexec_b64 s[20:21], s[2:3]
	s_cbranch_execz .LBB386_153
; %bb.150:
	v_bfe_u32 v36, v31, 16, 7
	s_movk_i32 s2, 0x7f
	v_cmp_ne_u32_e64 s[2:3], s2, v36
	v_mov_b32_e32 v41, 0x7f800001
	s_and_saveexec_b64 s[22:23], s[2:3]
	s_cbranch_execz .LBB386_152
; %bb.151:
	v_and_b32_e32 v41, 7, v34
	v_ffbh_u32_e32 v48, v41
	v_min_u32_e32 v50, 32, v48
	v_subrev_u32_e32 v48, 28, v50
	v_lshlrev_b64 v[48:49], v48, v[34:35]
	v_and_b32_e32 v48, 7, v48
	v_cmp_gt_u32_e64 s[2:3], 8, v36
	v_lshrrev_b32_e32 v47, 3, v36
	v_sub_u32_e32 v34, 29, v50
	v_cndmask_b32_e64 v36, v41, v48, s[2:3]
	v_mov_b32_e32 v41, 24
	v_cndmask_b32_e64 v34, v47, v34, s[2:3]
	v_lshlrev_b32_sdwa v41, v41, v31 dst_sel:DWORD dst_unused:UNUSED_PAD src0_sel:DWORD src1_sel:WORD_1
	v_bfrev_b32_e32 v47, 60
	v_lshlrev_b32_e32 v36, 20, v36
	v_and_b32_e32 v41, 0x80000000, v41
	v_lshl_add_u32 v34, v34, 23, v47
	v_or3_b32 v41, v41, v34, v36
.LBB386_152:
	s_or_b64 exec, exec, s[22:23]
.LBB386_153:
	s_or_b64 exec, exec, s[20:21]
.LBB386_154:
	s_or_b64 exec, exec, s[8:9]
	s_mov_b32 s2, -1
	s_mov_b32 s3, 0xffffff
	v_cmp_lt_u64_e64 s[2:3], s[2:3], v[30:31]
	v_mov_b32_e32 v36, 0
	v_mov_b32_e32 v34, 0
	s_and_saveexec_b64 s[8:9], s[2:3]
	s_cbranch_execz .LBB386_160
; %bb.155:
	v_lshrrev_b32_e32 v30, 24, v31
	s_movk_i32 s2, 0x80
	v_cmp_ne_u32_e64 s[2:3], s2, v30
	v_bfrev_b32_e32 v34, 1
	s_and_saveexec_b64 s[20:21], s[2:3]
	s_cbranch_execz .LBB386_159
; %bb.156:
	v_bfe_u32 v31, v31, 24, 7
	s_movk_i32 s2, 0x7f
	v_cmp_ne_u32_e64 s[2:3], s2, v31
	v_mov_b32_e32 v34, 0x7f800001
	s_and_saveexec_b64 s[22:23], s[2:3]
	s_cbranch_execz .LBB386_158
; %bb.157:
	v_and_b32_e32 v34, 7, v30
	v_ffbh_u32_e32 v48, v34
	v_min_u32_e32 v50, 32, v48
	v_subrev_u32_e32 v48, 28, v50
	v_lshlrev_b64 v[48:49], v48, v[30:31]
	v_lshrrev_b32_e32 v47, 3, v31
	v_sub_u32_e32 v49, 29, v50
	v_and_b32_e32 v48, 7, v48
	v_cmp_gt_u32_e64 s[2:3], 8, v31
	v_cndmask_b32_e64 v31, v47, v49, s[2:3]
	v_cndmask_b32_e64 v34, v34, v48, s[2:3]
	v_lshlrev_b32_e32 v30, 24, v30
	v_bfrev_b32_e32 v47, 60
	v_lshlrev_b32_e32 v34, 20, v34
	v_and_b32_e32 v30, 0x80000000, v30
	v_lshl_add_u32 v31, v31, 23, v47
	v_or3_b32 v34, v30, v31, v34
.LBB386_158:
	s_or_b64 exec, exec, s[22:23]
.LBB386_159:
	s_or_b64 exec, exec, s[20:21]
.LBB386_160:
	s_or_b64 exec, exec, s[8:9]
	v_cvt_pkrtz_f16_f32 v30, v38, v39
	v_cvt_pkrtz_f16_f32 v31, v37, v40
	;; [unrolled: 1-line block ×4, first 2 shown]
	v_mfma_f32_4x4x4f16 a[0:3], v[18:19], v[30:31], a[0:3] cbsz:4 abid:2
	v_cmp_ne_u16_sdwa s[2:3], v32, v36 src0_sel:BYTE_0 src1_sel:DWORD
	v_mfma_f32_4x4x4f16 a[0:3], v[20:21], v[38:39], a[0:3] cbsz:4 abid:2
	s_and_saveexec_b64 s[8:9], s[2:3]
	s_cbranch_execz .LBB386_166
; %bb.161:
	s_movk_i32 s2, 0x80
	v_cmp_ne_u16_sdwa s[2:3], v32, s2 src0_sel:BYTE_0 src1_sel:DWORD
	v_bfrev_b32_e32 v36, 1
	s_and_saveexec_b64 s[20:21], s[2:3]
	s_cbranch_execz .LBB386_165
; %bb.162:
	s_movk_i32 s2, 0x7f
	v_and_b32_e32 v30, 0x7f, v32
	v_cmp_ne_u32_e64 s[2:3], s2, v30
	v_mov_b32_e32 v36, 0x7f800001
	s_and_saveexec_b64 s[22:23], s[2:3]
	s_cbranch_execz .LBB386_164
; %bb.163:
	v_and_b32_e32 v31, 7, v32
	v_ffbh_u32_e32 v31, v31
	v_min_u32_e32 v31, 32, v31
	v_subrev_u32_e32 v35, 28, v31
	v_cmp_gt_u32_e64 s[2:3], 8, v30
	v_lshrrev_b32_e32 v34, 3, v30
	v_sub_u32_e32 v31, 29, v31
	v_cndmask_b32_e64 v30, 0, v35, s[2:3]
	v_cndmask_b32_e64 v34, v34, v31, s[2:3]
	v_lshlrev_b64 v[30:31], v30, v[32:33]
	v_lshlrev_b32_e32 v30, 20, v30
	v_lshlrev_b32_e32 v31, 24, v32
	v_bfrev_b32_e32 v35, 60
	v_and_b32_e32 v30, 0x700000, v30
	v_and_b32_e32 v31, 0x80000000, v31
	v_lshl_add_u32 v34, v34, 23, v35
	v_or3_b32 v36, v31, v34, v30
.LBB386_164:
	s_or_b64 exec, exec, s[22:23]
.LBB386_165:
	s_or_b64 exec, exec, s[20:21]
.LBB386_166:
	s_or_b64 exec, exec, s[8:9]
	v_lshrrev_b16_e32 v30, 8, v32
	v_cmp_ne_u16_e64 s[2:3], 0, v30
	v_mov_b32_e32 v35, 0
	v_mov_b32_e32 v37, 0
	s_and_saveexec_b64 s[8:9], s[2:3]
	s_cbranch_execz .LBB386_172
; %bb.167:
	s_movk_i32 s2, 0x80
	v_cmp_ne_u16_e64 s[2:3], s2, v30
	v_bfrev_b32_e32 v37, 1
	s_and_saveexec_b64 s[20:21], s[2:3]
	s_cbranch_execz .LBB386_171
; %bb.168:
	s_movk_i32 s2, 0x7f
	v_and_b32_e32 v31, 0x7f, v30
	v_cmp_ne_u32_e64 s[2:3], s2, v31
	v_mov_b32_e32 v37, 0x7f800001
	s_and_saveexec_b64 s[22:23], s[2:3]
	s_cbranch_execz .LBB386_170
; %bb.169:
	v_and_b32_e32 v34, 7, v30
	v_ffbh_u32_e32 v38, v34
	v_min_u32_e32 v40, 32, v38
	v_subrev_u32_e32 v38, 28, v40
	v_lshlrev_b64 v[38:39], v38, v[30:31]
	v_lshrrev_b32_e32 v37, 3, v31
	v_sub_u32_e32 v30, 29, v40
	v_and_b32_e32 v38, 7, v38
	v_cmp_gt_u32_e64 s[2:3], 8, v31
	v_cndmask_b32_e64 v30, v37, v30, s[2:3]
	v_cndmask_b32_e64 v31, v34, v38, s[2:3]
	v_lshlrev_b32_e32 v34, 16, v32
	v_bfrev_b32_e32 v37, 60
	v_lshlrev_b32_e32 v31, 20, v31
	v_and_b32_e32 v34, 0x80000000, v34
	v_lshl_add_u32 v30, v30, 23, v37
	v_or3_b32 v37, v34, v30, v31
.LBB386_170:
	s_or_b64 exec, exec, s[22:23]
.LBB386_171:
	s_or_b64 exec, exec, s[20:21]
.LBB386_172:
	s_or_b64 exec, exec, s[8:9]
	s_movk_i32 s2, 0xff
	v_and_b32_sdwa v31, v32, s2 dst_sel:DWORD dst_unused:UNUSED_PAD src0_sel:WORD_1 src1_sel:DWORD
	v_lshrrev_b32_e32 v30, 16, v32
	v_cmp_ne_u16_e64 s[2:3], 0, v31
	s_and_saveexec_b64 s[8:9], s[2:3]
	s_cbranch_execz .LBB386_178
; %bb.173:
	s_movk_i32 s2, 0x80
	v_cmp_ne_u16_e64 s[2:3], s2, v31
	v_bfrev_b32_e32 v35, 1
	s_and_saveexec_b64 s[20:21], s[2:3]
	s_cbranch_execz .LBB386_177
; %bb.174:
	v_bfe_u32 v31, v32, 16, 7
	s_movk_i32 s2, 0x7f
	v_cmp_ne_u32_e64 s[2:3], s2, v31
	v_mov_b32_e32 v35, 0x7f800001
	s_and_saveexec_b64 s[22:23], s[2:3]
	s_cbranch_execz .LBB386_176
; %bb.175:
	v_and_b32_e32 v38, 7, v30
	v_ffbh_u32_e32 v34, v38
	v_min_u32_e32 v40, 32, v34
	v_subrev_u32_e32 v34, 28, v40
	v_lshlrev_b64 v[34:35], v34, v[30:31]
	v_and_b32_e32 v34, 7, v34
	v_cmp_gt_u32_e64 s[2:3], 8, v31
	v_lshrrev_b32_e32 v39, 3, v31
	v_sub_u32_e32 v30, 29, v40
	v_cndmask_b32_e64 v31, v38, v34, s[2:3]
	v_mov_b32_e32 v34, 24
	v_cndmask_b32_e64 v30, v39, v30, s[2:3]
	v_lshlrev_b32_sdwa v34, v34, v32 dst_sel:DWORD dst_unused:UNUSED_PAD src0_sel:DWORD src1_sel:WORD_1
	v_bfrev_b32_e32 v35, 60
	v_lshlrev_b32_e32 v31, 20, v31
	v_and_b32_e32 v34, 0x80000000, v34
	v_lshl_add_u32 v30, v30, 23, v35
	v_or3_b32 v35, v34, v30, v31
.LBB386_176:
	s_or_b64 exec, exec, s[22:23]
.LBB386_177:
	s_or_b64 exec, exec, s[20:21]
.LBB386_178:
	s_or_b64 exec, exec, s[8:9]
	s_mov_b32 s2, 0xffffff
	v_cmp_lt_u32_e64 s[2:3], s2, v32
	v_mov_b32_e32 v31, 0
	v_mov_b32_e32 v38, 0
	s_and_saveexec_b64 s[8:9], s[2:3]
	s_cbranch_execz .LBB386_184
; %bb.179:
	v_lshrrev_b32_e32 v30, 24, v32
	s_movk_i32 s2, 0x80
	v_cmp_ne_u32_e64 s[2:3], s2, v30
	v_bfrev_b32_e32 v38, 1
	s_and_saveexec_b64 s[20:21], s[2:3]
	s_cbranch_execz .LBB386_183
; %bb.180:
	v_bfe_u32 v34, v32, 24, 7
	s_movk_i32 s2, 0x7f
	v_cmp_ne_u32_e64 s[2:3], s2, v34
	v_mov_b32_e32 v38, 0x7f800001
	s_and_saveexec_b64 s[22:23], s[2:3]
	s_cbranch_execz .LBB386_182
; %bb.181:
	v_and_b32_e32 v40, 7, v30
	v_ffbh_u32_e32 v38, v40
	v_min_u32_e32 v46, 32, v38
	v_subrev_u32_e32 v38, 28, v46
	v_lshlrev_b64 v[38:39], v38, v[30:31]
	v_lshrrev_b32_e32 v41, 3, v34
	v_sub_u32_e32 v39, 29, v46
	v_and_b32_e32 v38, 7, v38
	v_cmp_gt_u32_e64 s[2:3], 8, v34
	v_cndmask_b32_e64 v34, v41, v39, s[2:3]
	v_cndmask_b32_e64 v38, v40, v38, s[2:3]
	v_lshlrev_b32_e32 v30, 24, v30
	v_bfrev_b32_e32 v39, 60
	v_lshlrev_b32_e32 v38, 20, v38
	v_and_b32_e32 v30, 0x80000000, v30
	v_lshl_add_u32 v34, v34, 23, v39
	v_or3_b32 v38, v30, v34, v38
.LBB386_182:
	s_or_b64 exec, exec, s[22:23]
.LBB386_183:
	s_or_b64 exec, exec, s[20:21]
.LBB386_184:
	s_or_b64 exec, exec, s[8:9]
	v_mov_b32_e32 v30, v33
	v_cmp_ne_u16_sdwa s[2:3], v33, v31 src0_sel:BYTE_0 src1_sel:DWORD
	s_and_saveexec_b64 s[8:9], s[2:3]
	s_cbranch_execz .LBB386_190
; %bb.185:
	s_movk_i32 s2, 0x80
	v_cmp_ne_u16_sdwa s[2:3], v33, s2 src0_sel:BYTE_0 src1_sel:DWORD
	v_bfrev_b32_e32 v34, 1
	s_and_saveexec_b64 s[20:21], s[2:3]
	s_cbranch_execz .LBB386_189
; %bb.186:
	s_movk_i32 s2, 0x7f
	v_and_b32_e32 v39, 0x7f, v33
	v_cmp_ne_u32_e64 s[2:3], s2, v39
	v_mov_b32_e32 v34, 0x7f800001
	s_and_saveexec_b64 s[22:23], s[2:3]
	s_cbranch_execz .LBB386_188
; %bb.187:
	v_and_b32_e32 v34, 7, v33
	v_ffbh_u32_e32 v34, v34
	v_min_u32_e32 v34, 32, v34
	v_subrev_u32_e32 v41, 28, v34
	v_cmp_gt_u32_e64 s[2:3], 8, v39
	v_lshrrev_b32_e32 v40, 3, v39
	v_sub_u32_e32 v34, 29, v34
	v_cndmask_b32_e64 v39, 0, v41, s[2:3]
	v_cndmask_b32_e64 v34, v40, v34, s[2:3]
	v_lshlrev_b64 v[40:41], v39, v[30:31]
	v_lshlrev_b32_e32 v31, 20, v40
	v_lshlrev_b32_e32 v39, 24, v30
	v_bfrev_b32_e32 v40, 60
	v_and_b32_e32 v31, 0x700000, v31
	v_and_b32_e32 v39, 0x80000000, v39
	v_lshl_add_u32 v34, v34, 23, v40
	v_or3_b32 v34, v39, v34, v31
.LBB386_188:
	s_or_b64 exec, exec, s[22:23]
.LBB386_189:
	s_or_b64 exec, exec, s[20:21]
	v_mov_b32_e32 v31, v34
.LBB386_190:
	s_or_b64 exec, exec, s[8:9]
	v_lshrrev_b16_e32 v34, 8, v30
	v_cmp_ne_u16_e64 s[2:3], 0, v34
	v_mov_b32_e32 v39, 0
	v_mov_b32_e32 v40, 0
	s_and_saveexec_b64 s[8:9], s[2:3]
	s_cbranch_execz .LBB386_196
; %bb.191:
	s_movk_i32 s2, 0x80
	v_cmp_ne_u16_e64 s[2:3], s2, v34
	v_bfrev_b32_e32 v40, 1
	s_and_saveexec_b64 s[20:21], s[2:3]
	s_cbranch_execz .LBB386_195
; %bb.192:
	s_movk_i32 s2, 0x7f
	v_and_b32_e32 v41, 0x7f, v34
	v_cmp_ne_u32_e64 s[2:3], s2, v41
	v_mov_b32_e32 v40, 0x7f800001
	s_and_saveexec_b64 s[22:23], s[2:3]
	s_cbranch_execz .LBB386_194
; %bb.193:
	v_and_b32_e32 v40, 7, v34
	v_ffbh_u32_e32 v46, v40
	v_min_u32_e32 v49, 32, v46
	v_subrev_u32_e32 v46, 28, v49
	v_lshlrev_b64 v[46:47], v46, v[34:35]
	v_lshrrev_b32_e32 v48, 3, v41
	v_sub_u32_e32 v34, 29, v49
	v_and_b32_e32 v46, 7, v46
	v_cmp_gt_u32_e64 s[2:3], 8, v41
	v_cndmask_b32_e64 v34, v48, v34, s[2:3]
	v_cndmask_b32_e64 v40, v40, v46, s[2:3]
	v_lshlrev_b32_e32 v30, 16, v30
	v_bfrev_b32_e32 v41, 60
	v_lshlrev_b32_e32 v40, 20, v40
	v_and_b32_e32 v30, 0x80000000, v30
	v_lshl_add_u32 v34, v34, 23, v41
	v_or3_b32 v40, v30, v34, v40
.LBB386_194:
	s_or_b64 exec, exec, s[22:23]
.LBB386_195:
	s_or_b64 exec, exec, s[20:21]
.LBB386_196:
	s_or_b64 exec, exec, s[8:9]
	s_movk_i32 s2, 0xff
	v_and_b32_sdwa v34, v33, s2 dst_sel:DWORD dst_unused:UNUSED_PAD src0_sel:WORD_1 src1_sel:DWORD
	v_lshrrev_b32_e32 v30, 16, v33
	v_cmp_ne_u16_e64 s[2:3], 0, v34
	s_and_saveexec_b64 s[8:9], s[2:3]
	s_cbranch_execz .LBB386_202
; %bb.197:
	s_movk_i32 s2, 0x80
	v_cmp_ne_u16_e64 s[2:3], s2, v34
	v_bfrev_b32_e32 v39, 1
	s_and_saveexec_b64 s[20:21], s[2:3]
	s_cbranch_execz .LBB386_201
; %bb.198:
	v_bfe_u32 v34, v33, 16, 7
	s_movk_i32 s2, 0x7f
	v_cmp_ne_u32_e64 s[2:3], s2, v34
	v_mov_b32_e32 v39, 0x7f800001
	s_and_saveexec_b64 s[22:23], s[2:3]
	s_cbranch_execz .LBB386_200
; %bb.199:
	v_and_b32_e32 v39, 7, v30
	v_ffbh_u32_e32 v46, v39
	v_min_u32_e32 v48, 32, v46
	v_subrev_u32_e32 v46, 28, v48
	v_lshlrev_b64 v[46:47], v46, v[30:31]
	v_and_b32_e32 v46, 7, v46
	v_cmp_gt_u32_e64 s[2:3], 8, v34
	v_lshrrev_b32_e32 v41, 3, v34
	v_sub_u32_e32 v30, 29, v48
	v_cndmask_b32_e64 v34, v39, v46, s[2:3]
	v_mov_b32_e32 v39, 24
	v_cndmask_b32_e64 v30, v41, v30, s[2:3]
	v_lshlrev_b32_sdwa v39, v39, v33 dst_sel:DWORD dst_unused:UNUSED_PAD src0_sel:DWORD src1_sel:WORD_1
	v_bfrev_b32_e32 v41, 60
	v_lshlrev_b32_e32 v34, 20, v34
	v_and_b32_e32 v39, 0x80000000, v39
	v_lshl_add_u32 v30, v30, 23, v41
	v_or3_b32 v39, v39, v30, v34
.LBB386_200:
	s_or_b64 exec, exec, s[22:23]
.LBB386_201:
	s_or_b64 exec, exec, s[20:21]
.LBB386_202:
	s_or_b64 exec, exec, s[8:9]
	s_mov_b32 s2, -1
	s_mov_b32 s3, 0xffffff
	v_cmp_lt_u64_e64 s[2:3], s[2:3], v[32:33]
	v_mov_b32_e32 v34, 0
	v_mov_b32_e32 v32, 0
	s_and_saveexec_b64 s[8:9], s[2:3]
	s_cbranch_execz .LBB386_208
; %bb.203:
	v_lshrrev_b32_e32 v30, 24, v33
	s_movk_i32 s2, 0x80
	v_cmp_ne_u32_e64 s[2:3], s2, v30
	v_bfrev_b32_e32 v32, 1
	s_and_saveexec_b64 s[20:21], s[2:3]
	s_cbranch_execz .LBB386_207
; %bb.204:
	v_bfe_u32 v33, v33, 24, 7
	s_movk_i32 s2, 0x7f
	v_cmp_ne_u32_e64 s[2:3], s2, v33
	v_mov_b32_e32 v32, 0x7f800001
	s_and_saveexec_b64 s[22:23], s[2:3]
	s_cbranch_execz .LBB386_206
; %bb.205:
	v_and_b32_e32 v32, 7, v30
	v_ffbh_u32_e32 v46, v32
	v_min_u32_e32 v48, 32, v46
	v_subrev_u32_e32 v46, 28, v48
	v_lshlrev_b64 v[46:47], v46, v[30:31]
	v_lshrrev_b32_e32 v41, 3, v33
	v_sub_u32_e32 v47, 29, v48
	v_and_b32_e32 v46, 7, v46
	v_cmp_gt_u32_e64 s[2:3], 8, v33
	v_cndmask_b32_e64 v33, v41, v47, s[2:3]
	v_cndmask_b32_e64 v32, v32, v46, s[2:3]
	v_lshlrev_b32_e32 v30, 24, v30
	v_bfrev_b32_e32 v41, 60
	v_lshlrev_b32_e32 v32, 20, v32
	v_and_b32_e32 v30, 0x80000000, v30
	v_lshl_add_u32 v33, v33, 23, v41
	v_or3_b32 v32, v30, v33, v32
.LBB386_206:
	s_or_b64 exec, exec, s[22:23]
.LBB386_207:
	s_or_b64 exec, exec, s[20:21]
.LBB386_208:
	s_or_b64 exec, exec, s[8:9]
	v_cvt_pkrtz_f16_f32 v36, v36, v37
	v_cvt_pkrtz_f16_f32 v37, v35, v38
	;; [unrolled: 1-line block ×4, first 2 shown]
	v_mfma_f32_4x4x4f16 a[0:3], v[18:19], v[36:37], a[0:3] cbsz:4 abid:3
	s_waitcnt vmcnt(5)
	v_cmp_ne_u16_sdwa s[2:3], v26, v34 src0_sel:BYTE_0 src1_sel:DWORD
	v_mfma_f32_4x4x4f16 a[0:3], v[20:21], v[30:31], a[0:3] cbsz:4 abid:3
	s_and_saveexec_b64 s[8:9], s[2:3]
	s_cbranch_execz .LBB386_214
; %bb.209:
	s_movk_i32 s2, 0x80
	v_cmp_ne_u16_sdwa s[2:3], v26, s2 src0_sel:BYTE_0 src1_sel:DWORD
	v_bfrev_b32_e32 v34, 1
	s_and_saveexec_b64 s[20:21], s[2:3]
	s_cbranch_execz .LBB386_213
; %bb.210:
	s_movk_i32 s2, 0x7f
	v_and_b32_e32 v30, 0x7f, v26
	v_cmp_ne_u32_e64 s[2:3], s2, v30
	v_mov_b32_e32 v34, 0x7f800001
	s_and_saveexec_b64 s[22:23], s[2:3]
	s_cbranch_execz .LBB386_212
; %bb.211:
	v_and_b32_e32 v31, 7, v26
	v_ffbh_u32_e32 v31, v31
	v_min_u32_e32 v31, 32, v31
	v_subrev_u32_e32 v33, 28, v31
	v_cmp_gt_u32_e64 s[2:3], 8, v30
	v_lshrrev_b32_e32 v32, 3, v30
	v_sub_u32_e32 v31, 29, v31
	v_cndmask_b32_e64 v30, 0, v33, s[2:3]
	v_cndmask_b32_e64 v32, v32, v31, s[2:3]
	v_lshlrev_b64 v[30:31], v30, v[26:27]
	v_lshlrev_b32_e32 v30, 20, v30
	v_lshlrev_b32_e32 v31, 24, v26
	v_bfrev_b32_e32 v33, 60
	v_and_b32_e32 v30, 0x700000, v30
	v_and_b32_e32 v31, 0x80000000, v31
	v_lshl_add_u32 v32, v32, 23, v33
	v_or3_b32 v34, v31, v32, v30
.LBB386_212:
	s_or_b64 exec, exec, s[22:23]
.LBB386_213:
	s_or_b64 exec, exec, s[20:21]
.LBB386_214:
	s_or_b64 exec, exec, s[8:9]
	v_lshrrev_b16_e32 v30, 8, v26
	v_cmp_ne_u16_e64 s[2:3], 0, v30
	v_mov_b32_e32 v33, 0
	v_mov_b32_e32 v35, 0
	s_and_saveexec_b64 s[8:9], s[2:3]
	s_cbranch_execz .LBB386_220
; %bb.215:
	s_movk_i32 s2, 0x80
	v_cmp_ne_u16_e64 s[2:3], s2, v30
	v_bfrev_b32_e32 v35, 1
	s_and_saveexec_b64 s[20:21], s[2:3]
	s_cbranch_execz .LBB386_219
; %bb.216:
	s_movk_i32 s2, 0x7f
	v_and_b32_e32 v31, 0x7f, v30
	v_cmp_ne_u32_e64 s[2:3], s2, v31
	v_mov_b32_e32 v35, 0x7f800001
	s_and_saveexec_b64 s[22:23], s[2:3]
	s_cbranch_execz .LBB386_218
; %bb.217:
	v_and_b32_e32 v32, 7, v30
	v_ffbh_u32_e32 v36, v32
	v_min_u32_e32 v38, 32, v36
	v_subrev_u32_e32 v36, 28, v38
	v_lshlrev_b64 v[36:37], v36, v[30:31]
	v_lshrrev_b32_e32 v35, 3, v31
	v_sub_u32_e32 v30, 29, v38
	v_and_b32_e32 v36, 7, v36
	v_cmp_gt_u32_e64 s[2:3], 8, v31
	v_cndmask_b32_e64 v30, v35, v30, s[2:3]
	v_cndmask_b32_e64 v31, v32, v36, s[2:3]
	v_lshlrev_b32_e32 v32, 16, v26
	v_bfrev_b32_e32 v35, 60
	v_lshlrev_b32_e32 v31, 20, v31
	v_and_b32_e32 v32, 0x80000000, v32
	v_lshl_add_u32 v30, v30, 23, v35
	v_or3_b32 v35, v32, v30, v31
.LBB386_218:
	s_or_b64 exec, exec, s[22:23]
.LBB386_219:
	s_or_b64 exec, exec, s[20:21]
.LBB386_220:
	s_or_b64 exec, exec, s[8:9]
	s_movk_i32 s2, 0xff
	v_and_b32_sdwa v31, v26, s2 dst_sel:DWORD dst_unused:UNUSED_PAD src0_sel:WORD_1 src1_sel:DWORD
	v_lshrrev_b32_e32 v30, 16, v26
	v_cmp_ne_u16_e64 s[2:3], 0, v31
	s_and_saveexec_b64 s[8:9], s[2:3]
	s_cbranch_execz .LBB386_226
; %bb.221:
	s_movk_i32 s2, 0x80
	v_cmp_ne_u16_e64 s[2:3], s2, v31
	v_bfrev_b32_e32 v33, 1
	s_and_saveexec_b64 s[20:21], s[2:3]
	s_cbranch_execz .LBB386_225
; %bb.222:
	v_bfe_u32 v31, v26, 16, 7
	s_movk_i32 s2, 0x7f
	v_cmp_ne_u32_e64 s[2:3], s2, v31
	v_mov_b32_e32 v33, 0x7f800001
	s_and_saveexec_b64 s[22:23], s[2:3]
	s_cbranch_execz .LBB386_224
; %bb.223:
	v_and_b32_e32 v36, 7, v30
	v_ffbh_u32_e32 v32, v36
	v_min_u32_e32 v38, 32, v32
	v_subrev_u32_e32 v32, 28, v38
	v_lshlrev_b64 v[32:33], v32, v[30:31]
	v_and_b32_e32 v32, 7, v32
	v_cmp_gt_u32_e64 s[2:3], 8, v31
	v_lshrrev_b32_e32 v37, 3, v31
	v_sub_u32_e32 v30, 29, v38
	v_cndmask_b32_e64 v31, v36, v32, s[2:3]
	v_mov_b32_e32 v32, 24
	v_cndmask_b32_e64 v30, v37, v30, s[2:3]
	v_lshlrev_b32_sdwa v32, v32, v26 dst_sel:DWORD dst_unused:UNUSED_PAD src0_sel:DWORD src1_sel:WORD_1
	v_bfrev_b32_e32 v33, 60
	v_lshlrev_b32_e32 v31, 20, v31
	v_and_b32_e32 v32, 0x80000000, v32
	v_lshl_add_u32 v30, v30, 23, v33
	v_or3_b32 v33, v32, v30, v31
.LBB386_224:
	s_or_b64 exec, exec, s[22:23]
.LBB386_225:
	s_or_b64 exec, exec, s[20:21]
.LBB386_226:
	s_or_b64 exec, exec, s[8:9]
	s_mov_b32 s2, 0xffffff
	v_cmp_lt_u32_e64 s[2:3], s2, v26
	v_mov_b32_e32 v31, 0
	v_mov_b32_e32 v36, 0
	s_and_saveexec_b64 s[8:9], s[2:3]
	s_cbranch_execz .LBB386_232
; %bb.227:
	v_lshrrev_b32_e32 v30, 24, v26
	s_movk_i32 s2, 0x80
	v_cmp_ne_u32_e64 s[2:3], s2, v30
	v_bfrev_b32_e32 v36, 1
	s_and_saveexec_b64 s[20:21], s[2:3]
	s_cbranch_execz .LBB386_231
; %bb.228:
	v_bfe_u32 v32, v26, 24, 7
	s_movk_i32 s2, 0x7f
	v_cmp_ne_u32_e64 s[2:3], s2, v32
	v_mov_b32_e32 v36, 0x7f800001
	s_and_saveexec_b64 s[22:23], s[2:3]
	s_cbranch_execz .LBB386_230
; %bb.229:
	v_and_b32_e32 v38, 7, v30
	v_ffbh_u32_e32 v36, v38
	v_min_u32_e32 v40, 32, v36
	v_subrev_u32_e32 v36, 28, v40
	v_lshlrev_b64 v[36:37], v36, v[30:31]
	v_lshrrev_b32_e32 v39, 3, v32
	v_sub_u32_e32 v37, 29, v40
	v_and_b32_e32 v36, 7, v36
	v_cmp_gt_u32_e64 s[2:3], 8, v32
	v_cndmask_b32_e64 v32, v39, v37, s[2:3]
	v_cndmask_b32_e64 v36, v38, v36, s[2:3]
	v_lshlrev_b32_e32 v30, 24, v30
	v_bfrev_b32_e32 v37, 60
	v_lshlrev_b32_e32 v36, 20, v36
	v_and_b32_e32 v30, 0x80000000, v30
	v_lshl_add_u32 v32, v32, 23, v37
	v_or3_b32 v36, v30, v32, v36
.LBB386_230:
	s_or_b64 exec, exec, s[22:23]
.LBB386_231:
	s_or_b64 exec, exec, s[20:21]
.LBB386_232:
	s_or_b64 exec, exec, s[8:9]
	v_mov_b32_e32 v30, v27
	v_cmp_ne_u16_sdwa s[2:3], v27, v31 src0_sel:BYTE_0 src1_sel:DWORD
	s_and_saveexec_b64 s[8:9], s[2:3]
	s_cbranch_execz .LBB386_238
; %bb.233:
	s_movk_i32 s2, 0x80
	v_cmp_ne_u16_sdwa s[2:3], v27, s2 src0_sel:BYTE_0 src1_sel:DWORD
	v_bfrev_b32_e32 v32, 1
	s_and_saveexec_b64 s[20:21], s[2:3]
	s_cbranch_execz .LBB386_237
; %bb.234:
	s_movk_i32 s2, 0x7f
	v_and_b32_e32 v37, 0x7f, v27
	v_cmp_ne_u32_e64 s[2:3], s2, v37
	v_mov_b32_e32 v32, 0x7f800001
	s_and_saveexec_b64 s[22:23], s[2:3]
	s_cbranch_execz .LBB386_236
; %bb.235:
	v_and_b32_e32 v32, 7, v27
	v_ffbh_u32_e32 v32, v32
	v_min_u32_e32 v32, 32, v32
	v_subrev_u32_e32 v39, 28, v32
	v_cmp_gt_u32_e64 s[2:3], 8, v37
	v_lshrrev_b32_e32 v38, 3, v37
	v_sub_u32_e32 v32, 29, v32
	v_cndmask_b32_e64 v37, 0, v39, s[2:3]
	v_cndmask_b32_e64 v32, v38, v32, s[2:3]
	v_lshlrev_b64 v[38:39], v37, v[30:31]
	v_lshlrev_b32_e32 v31, 20, v38
	v_lshlrev_b32_e32 v37, 24, v30
	v_bfrev_b32_e32 v38, 60
	v_and_b32_e32 v31, 0x700000, v31
	v_and_b32_e32 v37, 0x80000000, v37
	v_lshl_add_u32 v32, v32, 23, v38
	v_or3_b32 v32, v37, v32, v31
.LBB386_236:
	s_or_b64 exec, exec, s[22:23]
.LBB386_237:
	s_or_b64 exec, exec, s[20:21]
	v_mov_b32_e32 v31, v32
.LBB386_238:
	s_or_b64 exec, exec, s[8:9]
	v_lshrrev_b16_e32 v32, 8, v30
	v_cmp_ne_u16_e64 s[2:3], 0, v32
	v_mov_b32_e32 v37, 0
	v_mov_b32_e32 v38, 0
	s_and_saveexec_b64 s[8:9], s[2:3]
	s_cbranch_execz .LBB386_244
; %bb.239:
	s_movk_i32 s2, 0x80
	v_cmp_ne_u16_e64 s[2:3], s2, v32
	v_bfrev_b32_e32 v38, 1
	s_and_saveexec_b64 s[20:21], s[2:3]
	s_cbranch_execz .LBB386_243
; %bb.240:
	s_movk_i32 s2, 0x7f
	v_and_b32_e32 v39, 0x7f, v32
	v_cmp_ne_u32_e64 s[2:3], s2, v39
	v_mov_b32_e32 v38, 0x7f800001
	s_and_saveexec_b64 s[22:23], s[2:3]
	s_cbranch_execz .LBB386_242
; %bb.241:
	v_and_b32_e32 v38, 7, v32
	v_ffbh_u32_e32 v40, v38
	v_min_u32_e32 v47, 32, v40
	v_subrev_u32_e32 v40, 28, v47
	v_lshlrev_b64 v[40:41], v40, v[32:33]
	v_lshrrev_b32_e32 v46, 3, v39
	v_sub_u32_e32 v32, 29, v47
	v_and_b32_e32 v40, 7, v40
	v_cmp_gt_u32_e64 s[2:3], 8, v39
	v_cndmask_b32_e64 v32, v46, v32, s[2:3]
	v_cndmask_b32_e64 v38, v38, v40, s[2:3]
	v_lshlrev_b32_e32 v30, 16, v30
	v_bfrev_b32_e32 v39, 60
	v_lshlrev_b32_e32 v38, 20, v38
	v_and_b32_e32 v30, 0x80000000, v30
	v_lshl_add_u32 v32, v32, 23, v39
	v_or3_b32 v38, v30, v32, v38
.LBB386_242:
	s_or_b64 exec, exec, s[22:23]
.LBB386_243:
	s_or_b64 exec, exec, s[20:21]
.LBB386_244:
	s_or_b64 exec, exec, s[8:9]
	s_movk_i32 s2, 0xff
	v_and_b32_sdwa v32, v27, s2 dst_sel:DWORD dst_unused:UNUSED_PAD src0_sel:WORD_1 src1_sel:DWORD
	v_lshrrev_b32_e32 v30, 16, v27
	v_cmp_ne_u16_e64 s[2:3], 0, v32
	s_and_saveexec_b64 s[8:9], s[2:3]
	s_cbranch_execz .LBB386_250
; %bb.245:
	s_movk_i32 s2, 0x80
	v_cmp_ne_u16_e64 s[2:3], s2, v32
	v_bfrev_b32_e32 v37, 1
	s_and_saveexec_b64 s[20:21], s[2:3]
	s_cbranch_execz .LBB386_249
; %bb.246:
	v_bfe_u32 v32, v27, 16, 7
	s_movk_i32 s2, 0x7f
	v_cmp_ne_u32_e64 s[2:3], s2, v32
	v_mov_b32_e32 v37, 0x7f800001
	s_and_saveexec_b64 s[22:23], s[2:3]
	s_cbranch_execz .LBB386_248
; %bb.247:
	v_and_b32_e32 v37, 7, v30
	v_ffbh_u32_e32 v40, v37
	v_min_u32_e32 v46, 32, v40
	v_subrev_u32_e32 v40, 28, v46
	v_lshlrev_b64 v[40:41], v40, v[30:31]
	v_and_b32_e32 v40, 7, v40
	v_cmp_gt_u32_e64 s[2:3], 8, v32
	v_lshrrev_b32_e32 v39, 3, v32
	v_sub_u32_e32 v30, 29, v46
	v_cndmask_b32_e64 v32, v37, v40, s[2:3]
	v_mov_b32_e32 v37, 24
	v_cndmask_b32_e64 v30, v39, v30, s[2:3]
	v_lshlrev_b32_sdwa v37, v37, v27 dst_sel:DWORD dst_unused:UNUSED_PAD src0_sel:DWORD src1_sel:WORD_1
	v_bfrev_b32_e32 v39, 60
	v_lshlrev_b32_e32 v32, 20, v32
	v_and_b32_e32 v37, 0x80000000, v37
	v_lshl_add_u32 v30, v30, 23, v39
	v_or3_b32 v37, v37, v30, v32
.LBB386_248:
	s_or_b64 exec, exec, s[22:23]
.LBB386_249:
	s_or_b64 exec, exec, s[20:21]
.LBB386_250:
	s_or_b64 exec, exec, s[8:9]
	s_mov_b32 s2, -1
	s_mov_b32 s3, 0xffffff
	v_cmp_lt_u64_e64 s[2:3], s[2:3], v[26:27]
	v_mov_b32_e32 v32, 0
	v_mov_b32_e32 v30, 0
	s_and_saveexec_b64 s[8:9], s[2:3]
	s_cbranch_execz .LBB386_256
; %bb.251:
	v_lshrrev_b32_e32 v26, 24, v27
	s_movk_i32 s2, 0x80
	v_cmp_ne_u32_e64 s[2:3], s2, v26
	v_bfrev_b32_e32 v30, 1
	s_and_saveexec_b64 s[20:21], s[2:3]
	s_cbranch_execz .LBB386_255
; %bb.252:
	v_bfe_u32 v27, v27, 24, 7
	s_movk_i32 s2, 0x7f
	v_cmp_ne_u32_e64 s[2:3], s2, v27
	v_mov_b32_e32 v30, 0x7f800001
	s_and_saveexec_b64 s[22:23], s[2:3]
	s_cbranch_execz .LBB386_254
; %bb.253:
	v_and_b32_e32 v30, 7, v26
	v_ffbh_u32_e32 v40, v30
	v_min_u32_e32 v46, 32, v40
	v_subrev_u32_e32 v40, 28, v46
	v_lshlrev_b64 v[40:41], v40, v[26:27]
	v_lshrrev_b32_e32 v39, 3, v27
	v_sub_u32_e32 v41, 29, v46
	v_and_b32_e32 v40, 7, v40
	v_cmp_gt_u32_e64 s[2:3], 8, v27
	v_cndmask_b32_e64 v27, v39, v41, s[2:3]
	v_cndmask_b32_e64 v30, v30, v40, s[2:3]
	v_lshlrev_b32_e32 v26, 24, v26
	v_bfrev_b32_e32 v39, 60
	v_lshlrev_b32_e32 v30, 20, v30
	v_and_b32_e32 v26, 0x80000000, v26
	v_lshl_add_u32 v27, v27, 23, v39
	v_or3_b32 v30, v26, v27, v30
.LBB386_254:
	s_or_b64 exec, exec, s[22:23]
.LBB386_255:
	s_or_b64 exec, exec, s[20:21]
.LBB386_256:
	s_or_b64 exec, exec, s[8:9]
	v_cvt_pkrtz_f16_f32 v26, v34, v35
	v_cvt_pkrtz_f16_f32 v27, v33, v36
	;; [unrolled: 1-line block ×4, first 2 shown]
	v_mfma_f32_4x4x4f16 a[0:3], v[18:19], v[26:27], a[0:3] cbsz:4 abid:4
	v_cmp_ne_u16_sdwa s[2:3], v28, v32 src0_sel:BYTE_0 src1_sel:DWORD
	v_mfma_f32_4x4x4f16 a[0:3], v[20:21], v[34:35], a[0:3] cbsz:4 abid:4
	s_and_saveexec_b64 s[8:9], s[2:3]
	s_cbranch_execz .LBB386_262
; %bb.257:
	s_movk_i32 s2, 0x80
	v_cmp_ne_u16_sdwa s[2:3], v28, s2 src0_sel:BYTE_0 src1_sel:DWORD
	v_bfrev_b32_e32 v32, 1
	s_and_saveexec_b64 s[20:21], s[2:3]
	s_cbranch_execz .LBB386_261
; %bb.258:
	s_movk_i32 s2, 0x7f
	v_and_b32_e32 v26, 0x7f, v28
	v_cmp_ne_u32_e64 s[2:3], s2, v26
	v_mov_b32_e32 v32, 0x7f800001
	s_and_saveexec_b64 s[22:23], s[2:3]
	s_cbranch_execz .LBB386_260
; %bb.259:
	v_and_b32_e32 v27, 7, v28
	v_ffbh_u32_e32 v27, v27
	v_min_u32_e32 v27, 32, v27
	v_subrev_u32_e32 v31, 28, v27
	v_cmp_gt_u32_e64 s[2:3], 8, v26
	v_lshrrev_b32_e32 v30, 3, v26
	v_sub_u32_e32 v27, 29, v27
	v_cndmask_b32_e64 v26, 0, v31, s[2:3]
	v_cndmask_b32_e64 v30, v30, v27, s[2:3]
	v_lshlrev_b64 v[26:27], v26, v[28:29]
	v_lshlrev_b32_e32 v26, 20, v26
	v_lshlrev_b32_e32 v27, 24, v28
	v_bfrev_b32_e32 v31, 60
	v_and_b32_e32 v26, 0x700000, v26
	v_and_b32_e32 v27, 0x80000000, v27
	v_lshl_add_u32 v30, v30, 23, v31
	v_or3_b32 v32, v27, v30, v26
.LBB386_260:
	s_or_b64 exec, exec, s[22:23]
.LBB386_261:
	s_or_b64 exec, exec, s[20:21]
.LBB386_262:
	s_or_b64 exec, exec, s[8:9]
	v_lshrrev_b16_e32 v26, 8, v28
	v_cmp_ne_u16_e64 s[2:3], 0, v26
	v_mov_b32_e32 v31, 0
	v_mov_b32_e32 v33, 0
	s_and_saveexec_b64 s[8:9], s[2:3]
	s_cbranch_execz .LBB386_268
; %bb.263:
	s_movk_i32 s2, 0x80
	v_cmp_ne_u16_e64 s[2:3], s2, v26
	v_bfrev_b32_e32 v33, 1
	s_and_saveexec_b64 s[20:21], s[2:3]
	s_cbranch_execz .LBB386_267
; %bb.264:
	s_movk_i32 s2, 0x7f
	v_and_b32_e32 v27, 0x7f, v26
	v_cmp_ne_u32_e64 s[2:3], s2, v27
	v_mov_b32_e32 v33, 0x7f800001
	s_and_saveexec_b64 s[22:23], s[2:3]
	s_cbranch_execz .LBB386_266
; %bb.265:
	v_and_b32_e32 v30, 7, v26
	v_ffbh_u32_e32 v34, v30
	v_min_u32_e32 v36, 32, v34
	v_subrev_u32_e32 v34, 28, v36
	v_lshlrev_b64 v[34:35], v34, v[26:27]
	v_lshrrev_b32_e32 v33, 3, v27
	v_sub_u32_e32 v26, 29, v36
	v_and_b32_e32 v34, 7, v34
	v_cmp_gt_u32_e64 s[2:3], 8, v27
	v_cndmask_b32_e64 v26, v33, v26, s[2:3]
	v_cndmask_b32_e64 v27, v30, v34, s[2:3]
	v_lshlrev_b32_e32 v30, 16, v28
	v_bfrev_b32_e32 v33, 60
	v_lshlrev_b32_e32 v27, 20, v27
	v_and_b32_e32 v30, 0x80000000, v30
	v_lshl_add_u32 v26, v26, 23, v33
	v_or3_b32 v33, v30, v26, v27
.LBB386_266:
	s_or_b64 exec, exec, s[22:23]
.LBB386_267:
	s_or_b64 exec, exec, s[20:21]
.LBB386_268:
	s_or_b64 exec, exec, s[8:9]
	s_movk_i32 s2, 0xff
	v_and_b32_sdwa v27, v28, s2 dst_sel:DWORD dst_unused:UNUSED_PAD src0_sel:WORD_1 src1_sel:DWORD
	v_lshrrev_b32_e32 v26, 16, v28
	v_cmp_ne_u16_e64 s[2:3], 0, v27
	s_and_saveexec_b64 s[8:9], s[2:3]
	s_cbranch_execz .LBB386_274
; %bb.269:
	s_movk_i32 s2, 0x80
	v_cmp_ne_u16_e64 s[2:3], s2, v27
	v_bfrev_b32_e32 v31, 1
	s_and_saveexec_b64 s[20:21], s[2:3]
	s_cbranch_execz .LBB386_273
; %bb.270:
	v_bfe_u32 v27, v28, 16, 7
	s_movk_i32 s2, 0x7f
	v_cmp_ne_u32_e64 s[2:3], s2, v27
	v_mov_b32_e32 v31, 0x7f800001
	s_and_saveexec_b64 s[22:23], s[2:3]
	s_cbranch_execz .LBB386_272
; %bb.271:
	v_and_b32_e32 v34, 7, v26
	v_ffbh_u32_e32 v30, v34
	v_min_u32_e32 v36, 32, v30
	v_subrev_u32_e32 v30, 28, v36
	v_lshlrev_b64 v[30:31], v30, v[26:27]
	v_and_b32_e32 v30, 7, v30
	v_cmp_gt_u32_e64 s[2:3], 8, v27
	v_lshrrev_b32_e32 v35, 3, v27
	v_sub_u32_e32 v26, 29, v36
	v_cndmask_b32_e64 v27, v34, v30, s[2:3]
	v_mov_b32_e32 v30, 24
	v_cndmask_b32_e64 v26, v35, v26, s[2:3]
	v_lshlrev_b32_sdwa v30, v30, v28 dst_sel:DWORD dst_unused:UNUSED_PAD src0_sel:DWORD src1_sel:WORD_1
	v_bfrev_b32_e32 v31, 60
	v_lshlrev_b32_e32 v27, 20, v27
	v_and_b32_e32 v30, 0x80000000, v30
	v_lshl_add_u32 v26, v26, 23, v31
	v_or3_b32 v31, v30, v26, v27
.LBB386_272:
	s_or_b64 exec, exec, s[22:23]
.LBB386_273:
	s_or_b64 exec, exec, s[20:21]
.LBB386_274:
	s_or_b64 exec, exec, s[8:9]
	s_mov_b32 s2, 0xffffff
	v_cmp_lt_u32_e64 s[2:3], s2, v28
	v_mov_b32_e32 v27, 0
	v_mov_b32_e32 v34, 0
	s_and_saveexec_b64 s[8:9], s[2:3]
	s_cbranch_execz .LBB386_280
; %bb.275:
	v_lshrrev_b32_e32 v26, 24, v28
	s_movk_i32 s2, 0x80
	v_cmp_ne_u32_e64 s[2:3], s2, v26
	v_bfrev_b32_e32 v34, 1
	s_and_saveexec_b64 s[20:21], s[2:3]
	s_cbranch_execz .LBB386_279
; %bb.276:
	v_bfe_u32 v30, v28, 24, 7
	s_movk_i32 s2, 0x7f
	v_cmp_ne_u32_e64 s[2:3], s2, v30
	v_mov_b32_e32 v34, 0x7f800001
	s_and_saveexec_b64 s[22:23], s[2:3]
	s_cbranch_execz .LBB386_278
; %bb.277:
	v_and_b32_e32 v36, 7, v26
	v_ffbh_u32_e32 v34, v36
	v_min_u32_e32 v38, 32, v34
	v_subrev_u32_e32 v34, 28, v38
	v_lshlrev_b64 v[34:35], v34, v[26:27]
	v_lshrrev_b32_e32 v37, 3, v30
	v_sub_u32_e32 v35, 29, v38
	v_and_b32_e32 v34, 7, v34
	v_cmp_gt_u32_e64 s[2:3], 8, v30
	v_cndmask_b32_e64 v30, v37, v35, s[2:3]
	v_cndmask_b32_e64 v34, v36, v34, s[2:3]
	v_lshlrev_b32_e32 v26, 24, v26
	v_bfrev_b32_e32 v35, 60
	v_lshlrev_b32_e32 v34, 20, v34
	v_and_b32_e32 v26, 0x80000000, v26
	v_lshl_add_u32 v30, v30, 23, v35
	v_or3_b32 v34, v26, v30, v34
.LBB386_278:
	s_or_b64 exec, exec, s[22:23]
.LBB386_279:
	s_or_b64 exec, exec, s[20:21]
.LBB386_280:
	s_or_b64 exec, exec, s[8:9]
	v_mov_b32_e32 v26, v29
	v_cmp_ne_u16_sdwa s[2:3], v29, v27 src0_sel:BYTE_0 src1_sel:DWORD
	s_and_saveexec_b64 s[8:9], s[2:3]
	s_cbranch_execz .LBB386_286
; %bb.281:
	s_movk_i32 s2, 0x80
	v_cmp_ne_u16_sdwa s[2:3], v29, s2 src0_sel:BYTE_0 src1_sel:DWORD
	v_bfrev_b32_e32 v30, 1
	s_and_saveexec_b64 s[20:21], s[2:3]
	s_cbranch_execz .LBB386_285
; %bb.282:
	s_movk_i32 s2, 0x7f
	v_and_b32_e32 v35, 0x7f, v29
	v_cmp_ne_u32_e64 s[2:3], s2, v35
	v_mov_b32_e32 v30, 0x7f800001
	s_and_saveexec_b64 s[22:23], s[2:3]
	s_cbranch_execz .LBB386_284
; %bb.283:
	v_and_b32_e32 v30, 7, v29
	v_ffbh_u32_e32 v30, v30
	v_min_u32_e32 v30, 32, v30
	v_subrev_u32_e32 v37, 28, v30
	v_cmp_gt_u32_e64 s[2:3], 8, v35
	v_lshrrev_b32_e32 v36, 3, v35
	v_sub_u32_e32 v30, 29, v30
	v_cndmask_b32_e64 v35, 0, v37, s[2:3]
	v_cndmask_b32_e64 v30, v36, v30, s[2:3]
	v_lshlrev_b64 v[36:37], v35, v[26:27]
	v_lshlrev_b32_e32 v27, 20, v36
	v_lshlrev_b32_e32 v35, 24, v26
	v_bfrev_b32_e32 v36, 60
	v_and_b32_e32 v27, 0x700000, v27
	v_and_b32_e32 v35, 0x80000000, v35
	v_lshl_add_u32 v30, v30, 23, v36
	v_or3_b32 v30, v35, v30, v27
.LBB386_284:
	s_or_b64 exec, exec, s[22:23]
.LBB386_285:
	s_or_b64 exec, exec, s[20:21]
	v_mov_b32_e32 v27, v30
.LBB386_286:
	s_or_b64 exec, exec, s[8:9]
	v_lshrrev_b16_e32 v30, 8, v26
	v_cmp_ne_u16_e64 s[2:3], 0, v30
	v_mov_b32_e32 v35, 0
	v_mov_b32_e32 v36, 0
	s_and_saveexec_b64 s[8:9], s[2:3]
	s_cbranch_execz .LBB386_292
; %bb.287:
	s_movk_i32 s2, 0x80
	v_cmp_ne_u16_e64 s[2:3], s2, v30
	v_bfrev_b32_e32 v36, 1
	s_and_saveexec_b64 s[20:21], s[2:3]
	s_cbranch_execz .LBB386_291
; %bb.288:
	s_movk_i32 s2, 0x7f
	v_and_b32_e32 v37, 0x7f, v30
	v_cmp_ne_u32_e64 s[2:3], s2, v37
	v_mov_b32_e32 v36, 0x7f800001
	s_and_saveexec_b64 s[22:23], s[2:3]
	s_cbranch_execz .LBB386_290
; %bb.289:
	v_and_b32_e32 v36, 7, v30
	v_ffbh_u32_e32 v38, v36
	v_min_u32_e32 v41, 32, v38
	v_subrev_u32_e32 v38, 28, v41
	v_lshlrev_b64 v[38:39], v38, v[30:31]
	v_lshrrev_b32_e32 v40, 3, v37
	v_sub_u32_e32 v30, 29, v41
	v_and_b32_e32 v38, 7, v38
	v_cmp_gt_u32_e64 s[2:3], 8, v37
	v_cndmask_b32_e64 v30, v40, v30, s[2:3]
	v_cndmask_b32_e64 v36, v36, v38, s[2:3]
	v_lshlrev_b32_e32 v26, 16, v26
	v_bfrev_b32_e32 v37, 60
	v_lshlrev_b32_e32 v36, 20, v36
	v_and_b32_e32 v26, 0x80000000, v26
	v_lshl_add_u32 v30, v30, 23, v37
	v_or3_b32 v36, v26, v30, v36
.LBB386_290:
	s_or_b64 exec, exec, s[22:23]
.LBB386_291:
	s_or_b64 exec, exec, s[20:21]
.LBB386_292:
	s_or_b64 exec, exec, s[8:9]
	s_movk_i32 s2, 0xff
	v_and_b32_sdwa v30, v29, s2 dst_sel:DWORD dst_unused:UNUSED_PAD src0_sel:WORD_1 src1_sel:DWORD
	v_lshrrev_b32_e32 v26, 16, v29
	v_cmp_ne_u16_e64 s[2:3], 0, v30
	s_and_saveexec_b64 s[8:9], s[2:3]
	s_cbranch_execz .LBB386_298
; %bb.293:
	s_movk_i32 s2, 0x80
	v_cmp_ne_u16_e64 s[2:3], s2, v30
	v_bfrev_b32_e32 v35, 1
	s_and_saveexec_b64 s[20:21], s[2:3]
	s_cbranch_execz .LBB386_297
; %bb.294:
	v_bfe_u32 v30, v29, 16, 7
	s_movk_i32 s2, 0x7f
	v_cmp_ne_u32_e64 s[2:3], s2, v30
	v_mov_b32_e32 v35, 0x7f800001
	s_and_saveexec_b64 s[22:23], s[2:3]
	s_cbranch_execz .LBB386_296
; %bb.295:
	v_and_b32_e32 v35, 7, v26
	v_ffbh_u32_e32 v38, v35
	v_min_u32_e32 v40, 32, v38
	v_subrev_u32_e32 v38, 28, v40
	v_lshlrev_b64 v[38:39], v38, v[26:27]
	v_and_b32_e32 v38, 7, v38
	v_cmp_gt_u32_e64 s[2:3], 8, v30
	v_lshrrev_b32_e32 v37, 3, v30
	v_sub_u32_e32 v26, 29, v40
	v_cndmask_b32_e64 v30, v35, v38, s[2:3]
	v_mov_b32_e32 v35, 24
	v_cndmask_b32_e64 v26, v37, v26, s[2:3]
	v_lshlrev_b32_sdwa v35, v35, v29 dst_sel:DWORD dst_unused:UNUSED_PAD src0_sel:DWORD src1_sel:WORD_1
	v_bfrev_b32_e32 v37, 60
	v_lshlrev_b32_e32 v30, 20, v30
	v_and_b32_e32 v35, 0x80000000, v35
	v_lshl_add_u32 v26, v26, 23, v37
	v_or3_b32 v35, v35, v26, v30
.LBB386_296:
	s_or_b64 exec, exec, s[22:23]
.LBB386_297:
	s_or_b64 exec, exec, s[20:21]
.LBB386_298:
	s_or_b64 exec, exec, s[8:9]
	s_mov_b32 s2, -1
	s_mov_b32 s3, 0xffffff
	v_cmp_lt_u64_e64 s[2:3], s[2:3], v[28:29]
	v_mov_b32_e32 v30, 0
	v_mov_b32_e32 v28, 0
	s_and_saveexec_b64 s[8:9], s[2:3]
	s_cbranch_execz .LBB386_304
; %bb.299:
	v_lshrrev_b32_e32 v26, 24, v29
	s_movk_i32 s2, 0x80
	v_cmp_ne_u32_e64 s[2:3], s2, v26
	v_bfrev_b32_e32 v28, 1
	s_and_saveexec_b64 s[20:21], s[2:3]
	s_cbranch_execz .LBB386_303
; %bb.300:
	v_bfe_u32 v29, v29, 24, 7
	s_movk_i32 s2, 0x7f
	v_cmp_ne_u32_e64 s[2:3], s2, v29
	v_mov_b32_e32 v28, 0x7f800001
	s_and_saveexec_b64 s[22:23], s[2:3]
	s_cbranch_execz .LBB386_302
; %bb.301:
	v_and_b32_e32 v28, 7, v26
	v_ffbh_u32_e32 v38, v28
	v_min_u32_e32 v40, 32, v38
	v_subrev_u32_e32 v38, 28, v40
	v_lshlrev_b64 v[38:39], v38, v[26:27]
	v_lshrrev_b32_e32 v37, 3, v29
	v_sub_u32_e32 v39, 29, v40
	v_and_b32_e32 v38, 7, v38
	v_cmp_gt_u32_e64 s[2:3], 8, v29
	v_cndmask_b32_e64 v29, v37, v39, s[2:3]
	v_cndmask_b32_e64 v28, v28, v38, s[2:3]
	v_lshlrev_b32_e32 v26, 24, v26
	v_bfrev_b32_e32 v37, 60
	v_lshlrev_b32_e32 v28, 20, v28
	v_and_b32_e32 v26, 0x80000000, v26
	v_lshl_add_u32 v29, v29, 23, v37
	v_or3_b32 v28, v26, v29, v28
.LBB386_302:
	s_or_b64 exec, exec, s[22:23]
.LBB386_303:
	s_or_b64 exec, exec, s[20:21]
.LBB386_304:
	s_or_b64 exec, exec, s[8:9]
	v_cvt_pkrtz_f16_f32 v32, v32, v33
	v_cvt_pkrtz_f16_f32 v33, v31, v34
	;; [unrolled: 1-line block ×4, first 2 shown]
	v_mfma_f32_4x4x4f16 a[0:3], v[18:19], v[32:33], a[0:3] cbsz:4 abid:5
	s_waitcnt vmcnt(4)
	v_cmp_ne_u16_sdwa s[2:3], v22, v30 src0_sel:BYTE_0 src1_sel:DWORD
	v_mfma_f32_4x4x4f16 a[0:3], v[20:21], v[26:27], a[0:3] cbsz:4 abid:5
	s_and_saveexec_b64 s[8:9], s[2:3]
	s_cbranch_execz .LBB386_310
; %bb.305:
	s_movk_i32 s2, 0x80
	v_cmp_ne_u16_sdwa s[2:3], v22, s2 src0_sel:BYTE_0 src1_sel:DWORD
	v_bfrev_b32_e32 v30, 1
	s_and_saveexec_b64 s[20:21], s[2:3]
	s_cbranch_execz .LBB386_309
; %bb.306:
	s_movk_i32 s2, 0x7f
	v_and_b32_e32 v26, 0x7f, v22
	v_cmp_ne_u32_e64 s[2:3], s2, v26
	v_mov_b32_e32 v30, 0x7f800001
	s_and_saveexec_b64 s[22:23], s[2:3]
	s_cbranch_execz .LBB386_308
; %bb.307:
	v_and_b32_e32 v27, 7, v22
	v_ffbh_u32_e32 v27, v27
	v_min_u32_e32 v27, 32, v27
	v_subrev_u32_e32 v29, 28, v27
	v_cmp_gt_u32_e64 s[2:3], 8, v26
	v_lshrrev_b32_e32 v28, 3, v26
	v_sub_u32_e32 v27, 29, v27
	v_cndmask_b32_e64 v26, 0, v29, s[2:3]
	v_cndmask_b32_e64 v28, v28, v27, s[2:3]
	v_lshlrev_b64 v[26:27], v26, v[22:23]
	v_lshlrev_b32_e32 v26, 20, v26
	v_lshlrev_b32_e32 v27, 24, v22
	v_bfrev_b32_e32 v29, 60
	v_and_b32_e32 v26, 0x700000, v26
	v_and_b32_e32 v27, 0x80000000, v27
	v_lshl_add_u32 v28, v28, 23, v29
	v_or3_b32 v30, v27, v28, v26
.LBB386_308:
	s_or_b64 exec, exec, s[22:23]
.LBB386_309:
	s_or_b64 exec, exec, s[20:21]
.LBB386_310:
	s_or_b64 exec, exec, s[8:9]
	v_lshrrev_b16_e32 v26, 8, v22
	v_cmp_ne_u16_e64 s[2:3], 0, v26
	v_mov_b32_e32 v29, 0
	v_mov_b32_e32 v31, 0
	s_and_saveexec_b64 s[8:9], s[2:3]
	s_cbranch_execz .LBB386_316
; %bb.311:
	s_movk_i32 s2, 0x80
	v_cmp_ne_u16_e64 s[2:3], s2, v26
	v_bfrev_b32_e32 v31, 1
	s_and_saveexec_b64 s[20:21], s[2:3]
	s_cbranch_execz .LBB386_315
; %bb.312:
	s_movk_i32 s2, 0x7f
	v_and_b32_e32 v27, 0x7f, v26
	v_cmp_ne_u32_e64 s[2:3], s2, v27
	v_mov_b32_e32 v31, 0x7f800001
	s_and_saveexec_b64 s[22:23], s[2:3]
	s_cbranch_execz .LBB386_314
; %bb.313:
	v_and_b32_e32 v28, 7, v26
	v_ffbh_u32_e32 v32, v28
	v_min_u32_e32 v34, 32, v32
	v_subrev_u32_e32 v32, 28, v34
	v_lshlrev_b64 v[32:33], v32, v[26:27]
	v_lshrrev_b32_e32 v31, 3, v27
	v_sub_u32_e32 v26, 29, v34
	v_and_b32_e32 v32, 7, v32
	v_cmp_gt_u32_e64 s[2:3], 8, v27
	v_cndmask_b32_e64 v26, v31, v26, s[2:3]
	v_cndmask_b32_e64 v27, v28, v32, s[2:3]
	v_lshlrev_b32_e32 v28, 16, v22
	v_bfrev_b32_e32 v31, 60
	v_lshlrev_b32_e32 v27, 20, v27
	v_and_b32_e32 v28, 0x80000000, v28
	v_lshl_add_u32 v26, v26, 23, v31
	v_or3_b32 v31, v28, v26, v27
.LBB386_314:
	s_or_b64 exec, exec, s[22:23]
.LBB386_315:
	s_or_b64 exec, exec, s[20:21]
.LBB386_316:
	s_or_b64 exec, exec, s[8:9]
	s_movk_i32 s2, 0xff
	v_and_b32_sdwa v27, v22, s2 dst_sel:DWORD dst_unused:UNUSED_PAD src0_sel:WORD_1 src1_sel:DWORD
	v_lshrrev_b32_e32 v26, 16, v22
	v_cmp_ne_u16_e64 s[2:3], 0, v27
	s_and_saveexec_b64 s[8:9], s[2:3]
	s_cbranch_execz .LBB386_322
; %bb.317:
	s_movk_i32 s2, 0x80
	v_cmp_ne_u16_e64 s[2:3], s2, v27
	v_bfrev_b32_e32 v29, 1
	s_and_saveexec_b64 s[20:21], s[2:3]
	s_cbranch_execz .LBB386_321
; %bb.318:
	v_bfe_u32 v27, v22, 16, 7
	s_movk_i32 s2, 0x7f
	v_cmp_ne_u32_e64 s[2:3], s2, v27
	v_mov_b32_e32 v29, 0x7f800001
	s_and_saveexec_b64 s[22:23], s[2:3]
	s_cbranch_execz .LBB386_320
; %bb.319:
	v_and_b32_e32 v32, 7, v26
	v_ffbh_u32_e32 v28, v32
	v_min_u32_e32 v34, 32, v28
	v_subrev_u32_e32 v28, 28, v34
	v_lshlrev_b64 v[28:29], v28, v[26:27]
	v_and_b32_e32 v28, 7, v28
	v_cmp_gt_u32_e64 s[2:3], 8, v27
	v_lshrrev_b32_e32 v33, 3, v27
	v_sub_u32_e32 v26, 29, v34
	v_cndmask_b32_e64 v27, v32, v28, s[2:3]
	v_mov_b32_e32 v28, 24
	v_cndmask_b32_e64 v26, v33, v26, s[2:3]
	v_lshlrev_b32_sdwa v28, v28, v22 dst_sel:DWORD dst_unused:UNUSED_PAD src0_sel:DWORD src1_sel:WORD_1
	v_bfrev_b32_e32 v29, 60
	v_lshlrev_b32_e32 v27, 20, v27
	v_and_b32_e32 v28, 0x80000000, v28
	v_lshl_add_u32 v26, v26, 23, v29
	v_or3_b32 v29, v28, v26, v27
.LBB386_320:
	s_or_b64 exec, exec, s[22:23]
.LBB386_321:
	s_or_b64 exec, exec, s[20:21]
.LBB386_322:
	s_or_b64 exec, exec, s[8:9]
	s_mov_b32 s2, 0xffffff
	v_cmp_lt_u32_e64 s[2:3], s2, v22
	v_mov_b32_e32 v27, 0
	v_mov_b32_e32 v32, 0
	s_and_saveexec_b64 s[8:9], s[2:3]
	s_cbranch_execz .LBB386_328
; %bb.323:
	v_lshrrev_b32_e32 v26, 24, v22
	s_movk_i32 s2, 0x80
	v_cmp_ne_u32_e64 s[2:3], s2, v26
	v_bfrev_b32_e32 v32, 1
	s_and_saveexec_b64 s[20:21], s[2:3]
	s_cbranch_execz .LBB386_327
; %bb.324:
	v_bfe_u32 v28, v22, 24, 7
	s_movk_i32 s2, 0x7f
	v_cmp_ne_u32_e64 s[2:3], s2, v28
	v_mov_b32_e32 v32, 0x7f800001
	s_and_saveexec_b64 s[22:23], s[2:3]
	s_cbranch_execz .LBB386_326
; %bb.325:
	v_and_b32_e32 v34, 7, v26
	v_ffbh_u32_e32 v32, v34
	v_min_u32_e32 v36, 32, v32
	v_subrev_u32_e32 v32, 28, v36
	v_lshlrev_b64 v[32:33], v32, v[26:27]
	v_lshrrev_b32_e32 v35, 3, v28
	v_sub_u32_e32 v33, 29, v36
	v_and_b32_e32 v32, 7, v32
	v_cmp_gt_u32_e64 s[2:3], 8, v28
	v_cndmask_b32_e64 v28, v35, v33, s[2:3]
	v_cndmask_b32_e64 v32, v34, v32, s[2:3]
	v_lshlrev_b32_e32 v26, 24, v26
	v_bfrev_b32_e32 v33, 60
	v_lshlrev_b32_e32 v32, 20, v32
	v_and_b32_e32 v26, 0x80000000, v26
	v_lshl_add_u32 v28, v28, 23, v33
	v_or3_b32 v32, v26, v28, v32
.LBB386_326:
	s_or_b64 exec, exec, s[22:23]
.LBB386_327:
	s_or_b64 exec, exec, s[20:21]
.LBB386_328:
	s_or_b64 exec, exec, s[8:9]
	v_mov_b32_e32 v26, v23
	v_cmp_ne_u16_sdwa s[2:3], v23, v27 src0_sel:BYTE_0 src1_sel:DWORD
	s_and_saveexec_b64 s[8:9], s[2:3]
	s_cbranch_execz .LBB386_334
; %bb.329:
	s_movk_i32 s2, 0x80
	v_cmp_ne_u16_sdwa s[2:3], v23, s2 src0_sel:BYTE_0 src1_sel:DWORD
	v_bfrev_b32_e32 v28, 1
	s_and_saveexec_b64 s[20:21], s[2:3]
	s_cbranch_execz .LBB386_333
; %bb.330:
	s_movk_i32 s2, 0x7f
	v_and_b32_e32 v33, 0x7f, v23
	v_cmp_ne_u32_e64 s[2:3], s2, v33
	v_mov_b32_e32 v28, 0x7f800001
	s_and_saveexec_b64 s[22:23], s[2:3]
	s_cbranch_execz .LBB386_332
; %bb.331:
	v_and_b32_e32 v28, 7, v23
	v_ffbh_u32_e32 v28, v28
	v_min_u32_e32 v28, 32, v28
	v_subrev_u32_e32 v35, 28, v28
	v_cmp_gt_u32_e64 s[2:3], 8, v33
	v_lshrrev_b32_e32 v34, 3, v33
	v_sub_u32_e32 v28, 29, v28
	v_cndmask_b32_e64 v33, 0, v35, s[2:3]
	v_cndmask_b32_e64 v28, v34, v28, s[2:3]
	v_lshlrev_b64 v[34:35], v33, v[26:27]
	v_lshlrev_b32_e32 v27, 20, v34
	v_lshlrev_b32_e32 v33, 24, v26
	v_bfrev_b32_e32 v34, 60
	v_and_b32_e32 v27, 0x700000, v27
	v_and_b32_e32 v33, 0x80000000, v33
	v_lshl_add_u32 v28, v28, 23, v34
	v_or3_b32 v28, v33, v28, v27
.LBB386_332:
	s_or_b64 exec, exec, s[22:23]
.LBB386_333:
	s_or_b64 exec, exec, s[20:21]
	v_mov_b32_e32 v27, v28
.LBB386_334:
	s_or_b64 exec, exec, s[8:9]
	v_lshrrev_b16_e32 v28, 8, v26
	v_cmp_ne_u16_e64 s[2:3], 0, v28
	v_mov_b32_e32 v33, 0
	v_mov_b32_e32 v34, 0
	s_and_saveexec_b64 s[8:9], s[2:3]
	s_cbranch_execz .LBB386_340
; %bb.335:
	s_movk_i32 s2, 0x80
	v_cmp_ne_u16_e64 s[2:3], s2, v28
	v_bfrev_b32_e32 v34, 1
	s_and_saveexec_b64 s[20:21], s[2:3]
	s_cbranch_execz .LBB386_339
; %bb.336:
	s_movk_i32 s2, 0x7f
	v_and_b32_e32 v35, 0x7f, v28
	v_cmp_ne_u32_e64 s[2:3], s2, v35
	v_mov_b32_e32 v34, 0x7f800001
	s_and_saveexec_b64 s[22:23], s[2:3]
	s_cbranch_execz .LBB386_338
; %bb.337:
	v_and_b32_e32 v34, 7, v28
	v_ffbh_u32_e32 v36, v34
	v_min_u32_e32 v39, 32, v36
	v_subrev_u32_e32 v36, 28, v39
	v_lshlrev_b64 v[36:37], v36, v[28:29]
	v_lshrrev_b32_e32 v38, 3, v35
	v_sub_u32_e32 v28, 29, v39
	v_and_b32_e32 v36, 7, v36
	v_cmp_gt_u32_e64 s[2:3], 8, v35
	v_cndmask_b32_e64 v28, v38, v28, s[2:3]
	v_cndmask_b32_e64 v34, v34, v36, s[2:3]
	v_lshlrev_b32_e32 v26, 16, v26
	v_bfrev_b32_e32 v35, 60
	v_lshlrev_b32_e32 v34, 20, v34
	v_and_b32_e32 v26, 0x80000000, v26
	v_lshl_add_u32 v28, v28, 23, v35
	v_or3_b32 v34, v26, v28, v34
.LBB386_338:
	s_or_b64 exec, exec, s[22:23]
.LBB386_339:
	s_or_b64 exec, exec, s[20:21]
.LBB386_340:
	s_or_b64 exec, exec, s[8:9]
	s_movk_i32 s2, 0xff
	v_and_b32_sdwa v28, v23, s2 dst_sel:DWORD dst_unused:UNUSED_PAD src0_sel:WORD_1 src1_sel:DWORD
	v_lshrrev_b32_e32 v26, 16, v23
	v_cmp_ne_u16_e64 s[2:3], 0, v28
	s_and_saveexec_b64 s[8:9], s[2:3]
	s_cbranch_execz .LBB386_346
; %bb.341:
	s_movk_i32 s2, 0x80
	v_cmp_ne_u16_e64 s[2:3], s2, v28
	v_bfrev_b32_e32 v33, 1
	s_and_saveexec_b64 s[20:21], s[2:3]
	s_cbranch_execz .LBB386_345
; %bb.342:
	v_bfe_u32 v28, v23, 16, 7
	s_movk_i32 s2, 0x7f
	v_cmp_ne_u32_e64 s[2:3], s2, v28
	v_mov_b32_e32 v33, 0x7f800001
	s_and_saveexec_b64 s[22:23], s[2:3]
	s_cbranch_execz .LBB386_344
; %bb.343:
	v_and_b32_e32 v33, 7, v26
	v_ffbh_u32_e32 v36, v33
	v_min_u32_e32 v38, 32, v36
	v_subrev_u32_e32 v36, 28, v38
	v_lshlrev_b64 v[36:37], v36, v[26:27]
	v_and_b32_e32 v36, 7, v36
	v_cmp_gt_u32_e64 s[2:3], 8, v28
	v_lshrrev_b32_e32 v35, 3, v28
	v_sub_u32_e32 v26, 29, v38
	v_cndmask_b32_e64 v28, v33, v36, s[2:3]
	v_mov_b32_e32 v33, 24
	v_cndmask_b32_e64 v26, v35, v26, s[2:3]
	v_lshlrev_b32_sdwa v33, v33, v23 dst_sel:DWORD dst_unused:UNUSED_PAD src0_sel:DWORD src1_sel:WORD_1
	v_bfrev_b32_e32 v35, 60
	v_lshlrev_b32_e32 v28, 20, v28
	v_and_b32_e32 v33, 0x80000000, v33
	v_lshl_add_u32 v26, v26, 23, v35
	v_or3_b32 v33, v33, v26, v28
.LBB386_344:
	s_or_b64 exec, exec, s[22:23]
.LBB386_345:
	s_or_b64 exec, exec, s[20:21]
.LBB386_346:
	s_or_b64 exec, exec, s[8:9]
	s_mov_b32 s2, -1
	s_mov_b32 s3, 0xffffff
	v_cmp_lt_u64_e64 s[2:3], s[2:3], v[22:23]
	v_mov_b32_e32 v28, 0
	v_mov_b32_e32 v26, 0
	s_and_saveexec_b64 s[8:9], s[2:3]
	s_cbranch_execz .LBB386_352
; %bb.347:
	v_lshrrev_b32_e32 v22, 24, v23
	s_movk_i32 s2, 0x80
	v_cmp_ne_u32_e64 s[2:3], s2, v22
	v_bfrev_b32_e32 v26, 1
	s_and_saveexec_b64 s[20:21], s[2:3]
	s_cbranch_execz .LBB386_351
; %bb.348:
	v_bfe_u32 v23, v23, 24, 7
	s_movk_i32 s2, 0x7f
	v_cmp_ne_u32_e64 s[2:3], s2, v23
	v_mov_b32_e32 v26, 0x7f800001
	s_and_saveexec_b64 s[22:23], s[2:3]
	s_cbranch_execz .LBB386_350
; %bb.349:
	v_and_b32_e32 v26, 7, v22
	v_ffbh_u32_e32 v36, v26
	v_min_u32_e32 v38, 32, v36
	v_subrev_u32_e32 v36, 28, v38
	v_lshlrev_b64 v[36:37], v36, v[22:23]
	v_lshrrev_b32_e32 v35, 3, v23
	v_sub_u32_e32 v37, 29, v38
	v_and_b32_e32 v36, 7, v36
	v_cmp_gt_u32_e64 s[2:3], 8, v23
	v_cndmask_b32_e64 v23, v35, v37, s[2:3]
	v_cndmask_b32_e64 v26, v26, v36, s[2:3]
	v_lshlrev_b32_e32 v22, 24, v22
	v_bfrev_b32_e32 v35, 60
	v_lshlrev_b32_e32 v26, 20, v26
	v_and_b32_e32 v22, 0x80000000, v22
	v_lshl_add_u32 v23, v23, 23, v35
	v_or3_b32 v26, v22, v23, v26
.LBB386_350:
	s_or_b64 exec, exec, s[22:23]
.LBB386_351:
	s_or_b64 exec, exec, s[20:21]
.LBB386_352:
	s_or_b64 exec, exec, s[8:9]
	v_cvt_pkrtz_f16_f32 v22, v30, v31
	v_cvt_pkrtz_f16_f32 v23, v29, v32
	;; [unrolled: 1-line block ×4, first 2 shown]
	v_mfma_f32_4x4x4f16 a[0:3], v[18:19], v[22:23], a[0:3] cbsz:4 abid:6
	v_cmp_ne_u16_sdwa s[2:3], v24, v28 src0_sel:BYTE_0 src1_sel:DWORD
	v_mfma_f32_4x4x4f16 a[0:3], v[20:21], v[30:31], a[0:3] cbsz:4 abid:6
	s_and_saveexec_b64 s[8:9], s[2:3]
	s_cbranch_execz .LBB386_358
; %bb.353:
	s_movk_i32 s2, 0x80
	v_cmp_ne_u16_sdwa s[2:3], v24, s2 src0_sel:BYTE_0 src1_sel:DWORD
	v_bfrev_b32_e32 v28, 1
	s_and_saveexec_b64 s[20:21], s[2:3]
	s_cbranch_execz .LBB386_357
; %bb.354:
	s_movk_i32 s2, 0x7f
	v_and_b32_e32 v22, 0x7f, v24
	v_cmp_ne_u32_e64 s[2:3], s2, v22
	v_mov_b32_e32 v28, 0x7f800001
	s_and_saveexec_b64 s[22:23], s[2:3]
	s_cbranch_execz .LBB386_356
; %bb.355:
	v_and_b32_e32 v23, 7, v24
	v_ffbh_u32_e32 v23, v23
	v_min_u32_e32 v23, 32, v23
	v_subrev_u32_e32 v27, 28, v23
	v_cmp_gt_u32_e64 s[2:3], 8, v22
	v_lshrrev_b32_e32 v26, 3, v22
	v_sub_u32_e32 v23, 29, v23
	v_cndmask_b32_e64 v22, 0, v27, s[2:3]
	v_cndmask_b32_e64 v26, v26, v23, s[2:3]
	v_lshlrev_b64 v[22:23], v22, v[24:25]
	v_lshlrev_b32_e32 v22, 20, v22
	v_lshlrev_b32_e32 v23, 24, v24
	v_bfrev_b32_e32 v27, 60
	v_and_b32_e32 v22, 0x700000, v22
	v_and_b32_e32 v23, 0x80000000, v23
	v_lshl_add_u32 v26, v26, 23, v27
	v_or3_b32 v28, v23, v26, v22
.LBB386_356:
	s_or_b64 exec, exec, s[22:23]
.LBB386_357:
	s_or_b64 exec, exec, s[20:21]
.LBB386_358:
	s_or_b64 exec, exec, s[8:9]
	v_lshrrev_b16_e32 v22, 8, v24
	v_cmp_ne_u16_e64 s[2:3], 0, v22
	v_mov_b32_e32 v27, 0
	v_mov_b32_e32 v29, 0
	s_and_saveexec_b64 s[8:9], s[2:3]
	s_cbranch_execz .LBB386_364
; %bb.359:
	s_movk_i32 s2, 0x80
	v_cmp_ne_u16_e64 s[2:3], s2, v22
	v_bfrev_b32_e32 v29, 1
	s_and_saveexec_b64 s[20:21], s[2:3]
	s_cbranch_execz .LBB386_363
; %bb.360:
	s_movk_i32 s2, 0x7f
	v_and_b32_e32 v23, 0x7f, v22
	v_cmp_ne_u32_e64 s[2:3], s2, v23
	v_mov_b32_e32 v29, 0x7f800001
	s_and_saveexec_b64 s[22:23], s[2:3]
	s_cbranch_execz .LBB386_362
; %bb.361:
	v_and_b32_e32 v26, 7, v22
	v_ffbh_u32_e32 v30, v26
	v_min_u32_e32 v32, 32, v30
	v_subrev_u32_e32 v30, 28, v32
	v_lshlrev_b64 v[30:31], v30, v[22:23]
	v_lshrrev_b32_e32 v29, 3, v23
	v_sub_u32_e32 v22, 29, v32
	v_and_b32_e32 v30, 7, v30
	v_cmp_gt_u32_e64 s[2:3], 8, v23
	v_cndmask_b32_e64 v22, v29, v22, s[2:3]
	v_cndmask_b32_e64 v23, v26, v30, s[2:3]
	v_lshlrev_b32_e32 v26, 16, v24
	v_bfrev_b32_e32 v29, 60
	v_lshlrev_b32_e32 v23, 20, v23
	v_and_b32_e32 v26, 0x80000000, v26
	v_lshl_add_u32 v22, v22, 23, v29
	v_or3_b32 v29, v26, v22, v23
.LBB386_362:
	s_or_b64 exec, exec, s[22:23]
.LBB386_363:
	s_or_b64 exec, exec, s[20:21]
.LBB386_364:
	s_or_b64 exec, exec, s[8:9]
	s_movk_i32 s2, 0xff
	v_and_b32_sdwa v23, v24, s2 dst_sel:DWORD dst_unused:UNUSED_PAD src0_sel:WORD_1 src1_sel:DWORD
	v_lshrrev_b32_e32 v22, 16, v24
	v_cmp_ne_u16_e64 s[2:3], 0, v23
	s_and_saveexec_b64 s[8:9], s[2:3]
	s_cbranch_execz .LBB386_370
; %bb.365:
	s_movk_i32 s2, 0x80
	v_cmp_ne_u16_e64 s[2:3], s2, v23
	v_bfrev_b32_e32 v27, 1
	s_and_saveexec_b64 s[20:21], s[2:3]
	s_cbranch_execz .LBB386_369
; %bb.366:
	v_bfe_u32 v23, v24, 16, 7
	s_movk_i32 s2, 0x7f
	v_cmp_ne_u32_e64 s[2:3], s2, v23
	v_mov_b32_e32 v27, 0x7f800001
	s_and_saveexec_b64 s[22:23], s[2:3]
	s_cbranch_execz .LBB386_368
; %bb.367:
	v_and_b32_e32 v30, 7, v22
	v_ffbh_u32_e32 v26, v30
	v_min_u32_e32 v32, 32, v26
	v_subrev_u32_e32 v26, 28, v32
	v_lshlrev_b64 v[26:27], v26, v[22:23]
	v_and_b32_e32 v26, 7, v26
	v_cmp_gt_u32_e64 s[2:3], 8, v23
	v_lshrrev_b32_e32 v31, 3, v23
	v_sub_u32_e32 v22, 29, v32
	v_cndmask_b32_e64 v23, v30, v26, s[2:3]
	v_mov_b32_e32 v26, 24
	v_cndmask_b32_e64 v22, v31, v22, s[2:3]
	v_lshlrev_b32_sdwa v26, v26, v24 dst_sel:DWORD dst_unused:UNUSED_PAD src0_sel:DWORD src1_sel:WORD_1
	v_bfrev_b32_e32 v27, 60
	v_lshlrev_b32_e32 v23, 20, v23
	v_and_b32_e32 v26, 0x80000000, v26
	v_lshl_add_u32 v22, v22, 23, v27
	v_or3_b32 v27, v26, v22, v23
.LBB386_368:
	s_or_b64 exec, exec, s[22:23]
.LBB386_369:
	s_or_b64 exec, exec, s[20:21]
.LBB386_370:
	s_or_b64 exec, exec, s[8:9]
	s_mov_b32 s2, 0xffffff
	v_cmp_lt_u32_e64 s[2:3], s2, v24
	v_mov_b32_e32 v23, 0
	v_mov_b32_e32 v30, 0
	s_and_saveexec_b64 s[8:9], s[2:3]
	s_cbranch_execz .LBB386_376
; %bb.371:
	v_lshrrev_b32_e32 v22, 24, v24
	s_movk_i32 s2, 0x80
	v_cmp_ne_u32_e64 s[2:3], s2, v22
	v_bfrev_b32_e32 v30, 1
	s_and_saveexec_b64 s[20:21], s[2:3]
	s_cbranch_execz .LBB386_375
; %bb.372:
	v_bfe_u32 v26, v24, 24, 7
	s_movk_i32 s2, 0x7f
	v_cmp_ne_u32_e64 s[2:3], s2, v26
	v_mov_b32_e32 v30, 0x7f800001
	s_and_saveexec_b64 s[22:23], s[2:3]
	s_cbranch_execz .LBB386_374
; %bb.373:
	v_and_b32_e32 v32, 7, v22
	v_ffbh_u32_e32 v30, v32
	v_min_u32_e32 v34, 32, v30
	v_subrev_u32_e32 v30, 28, v34
	v_lshlrev_b64 v[30:31], v30, v[22:23]
	v_lshrrev_b32_e32 v33, 3, v26
	v_sub_u32_e32 v31, 29, v34
	v_and_b32_e32 v30, 7, v30
	v_cmp_gt_u32_e64 s[2:3], 8, v26
	v_cndmask_b32_e64 v26, v33, v31, s[2:3]
	v_cndmask_b32_e64 v30, v32, v30, s[2:3]
	v_lshlrev_b32_e32 v22, 24, v22
	v_bfrev_b32_e32 v31, 60
	v_lshlrev_b32_e32 v30, 20, v30
	v_and_b32_e32 v22, 0x80000000, v22
	v_lshl_add_u32 v26, v26, 23, v31
	v_or3_b32 v30, v22, v26, v30
.LBB386_374:
	s_or_b64 exec, exec, s[22:23]
.LBB386_375:
	s_or_b64 exec, exec, s[20:21]
.LBB386_376:
	s_or_b64 exec, exec, s[8:9]
	v_mov_b32_e32 v22, v25
	v_cmp_ne_u16_sdwa s[2:3], v25, v23 src0_sel:BYTE_0 src1_sel:DWORD
	s_and_saveexec_b64 s[8:9], s[2:3]
	s_cbranch_execz .LBB386_382
; %bb.377:
	s_movk_i32 s2, 0x80
	v_cmp_ne_u16_sdwa s[2:3], v25, s2 src0_sel:BYTE_0 src1_sel:DWORD
	v_bfrev_b32_e32 v26, 1
	s_and_saveexec_b64 s[20:21], s[2:3]
	s_cbranch_execz .LBB386_381
; %bb.378:
	s_movk_i32 s2, 0x7f
	v_and_b32_e32 v31, 0x7f, v25
	v_cmp_ne_u32_e64 s[2:3], s2, v31
	v_mov_b32_e32 v26, 0x7f800001
	s_and_saveexec_b64 s[22:23], s[2:3]
	s_cbranch_execz .LBB386_380
; %bb.379:
	v_and_b32_e32 v26, 7, v25
	v_ffbh_u32_e32 v26, v26
	v_min_u32_e32 v26, 32, v26
	v_subrev_u32_e32 v33, 28, v26
	v_cmp_gt_u32_e64 s[2:3], 8, v31
	v_lshrrev_b32_e32 v32, 3, v31
	v_sub_u32_e32 v26, 29, v26
	v_cndmask_b32_e64 v31, 0, v33, s[2:3]
	v_cndmask_b32_e64 v26, v32, v26, s[2:3]
	v_lshlrev_b64 v[32:33], v31, v[22:23]
	v_lshlrev_b32_e32 v23, 20, v32
	v_lshlrev_b32_e32 v31, 24, v22
	v_bfrev_b32_e32 v32, 60
	v_and_b32_e32 v23, 0x700000, v23
	v_and_b32_e32 v31, 0x80000000, v31
	v_lshl_add_u32 v26, v26, 23, v32
	v_or3_b32 v26, v31, v26, v23
.LBB386_380:
	s_or_b64 exec, exec, s[22:23]
.LBB386_381:
	s_or_b64 exec, exec, s[20:21]
	v_mov_b32_e32 v23, v26
.LBB386_382:
	s_or_b64 exec, exec, s[8:9]
	v_lshrrev_b16_e32 v26, 8, v22
	v_cmp_ne_u16_e64 s[2:3], 0, v26
	v_mov_b32_e32 v31, 0
	v_mov_b32_e32 v32, 0
	s_and_saveexec_b64 s[8:9], s[2:3]
	s_cbranch_execz .LBB386_388
; %bb.383:
	s_movk_i32 s2, 0x80
	v_cmp_ne_u16_e64 s[2:3], s2, v26
	v_bfrev_b32_e32 v32, 1
	s_and_saveexec_b64 s[20:21], s[2:3]
	s_cbranch_execz .LBB386_387
; %bb.384:
	s_movk_i32 s2, 0x7f
	v_and_b32_e32 v33, 0x7f, v26
	v_cmp_ne_u32_e64 s[2:3], s2, v33
	v_mov_b32_e32 v32, 0x7f800001
	s_and_saveexec_b64 s[22:23], s[2:3]
	s_cbranch_execz .LBB386_386
; %bb.385:
	v_and_b32_e32 v32, 7, v26
	v_ffbh_u32_e32 v34, v32
	v_min_u32_e32 v37, 32, v34
	v_subrev_u32_e32 v34, 28, v37
	v_lshlrev_b64 v[34:35], v34, v[26:27]
	v_lshrrev_b32_e32 v36, 3, v33
	v_sub_u32_e32 v26, 29, v37
	v_and_b32_e32 v34, 7, v34
	v_cmp_gt_u32_e64 s[2:3], 8, v33
	v_cndmask_b32_e64 v26, v36, v26, s[2:3]
	v_cndmask_b32_e64 v32, v32, v34, s[2:3]
	v_lshlrev_b32_e32 v22, 16, v22
	v_bfrev_b32_e32 v33, 60
	v_lshlrev_b32_e32 v32, 20, v32
	v_and_b32_e32 v22, 0x80000000, v22
	v_lshl_add_u32 v26, v26, 23, v33
	v_or3_b32 v32, v22, v26, v32
.LBB386_386:
	s_or_b64 exec, exec, s[22:23]
.LBB386_387:
	s_or_b64 exec, exec, s[20:21]
.LBB386_388:
	s_or_b64 exec, exec, s[8:9]
	s_movk_i32 s2, 0xff
	v_and_b32_sdwa v26, v25, s2 dst_sel:DWORD dst_unused:UNUSED_PAD src0_sel:WORD_1 src1_sel:DWORD
	v_lshrrev_b32_e32 v22, 16, v25
	v_cmp_ne_u16_e64 s[2:3], 0, v26
	s_and_saveexec_b64 s[8:9], s[2:3]
	s_cbranch_execz .LBB386_394
; %bb.389:
	s_movk_i32 s2, 0x80
	v_cmp_ne_u16_e64 s[2:3], s2, v26
	v_bfrev_b32_e32 v31, 1
	s_and_saveexec_b64 s[20:21], s[2:3]
	s_cbranch_execz .LBB386_393
; %bb.390:
	v_bfe_u32 v26, v25, 16, 7
	s_movk_i32 s2, 0x7f
	v_cmp_ne_u32_e64 s[2:3], s2, v26
	v_mov_b32_e32 v31, 0x7f800001
	s_and_saveexec_b64 s[22:23], s[2:3]
	s_cbranch_execz .LBB386_392
; %bb.391:
	v_and_b32_e32 v31, 7, v22
	v_ffbh_u32_e32 v34, v31
	v_min_u32_e32 v36, 32, v34
	v_subrev_u32_e32 v34, 28, v36
	v_lshlrev_b64 v[34:35], v34, v[22:23]
	v_and_b32_e32 v34, 7, v34
	v_cmp_gt_u32_e64 s[2:3], 8, v26
	v_lshrrev_b32_e32 v33, 3, v26
	v_sub_u32_e32 v22, 29, v36
	v_cndmask_b32_e64 v26, v31, v34, s[2:3]
	v_mov_b32_e32 v31, 24
	v_cndmask_b32_e64 v22, v33, v22, s[2:3]
	v_lshlrev_b32_sdwa v31, v31, v25 dst_sel:DWORD dst_unused:UNUSED_PAD src0_sel:DWORD src1_sel:WORD_1
	v_bfrev_b32_e32 v33, 60
	v_lshlrev_b32_e32 v26, 20, v26
	v_and_b32_e32 v31, 0x80000000, v31
	v_lshl_add_u32 v22, v22, 23, v33
	v_or3_b32 v31, v31, v22, v26
.LBB386_392:
	s_or_b64 exec, exec, s[22:23]
.LBB386_393:
	s_or_b64 exec, exec, s[20:21]
.LBB386_394:
	s_or_b64 exec, exec, s[8:9]
	s_mov_b32 s2, -1
	s_mov_b32 s3, 0xffffff
	v_cmp_lt_u64_e64 s[2:3], s[2:3], v[24:25]
	v_mov_b32_e32 v24, 0
	s_and_saveexec_b64 s[8:9], s[2:3]
	s_cbranch_execz .LBB386_400
; %bb.395:
	v_lshrrev_b32_e32 v22, 24, v25
	s_movk_i32 s2, 0x80
	v_cmp_ne_u32_e64 s[2:3], s2, v22
	v_bfrev_b32_e32 v24, 1
	s_and_saveexec_b64 s[20:21], s[2:3]
	s_cbranch_execz .LBB386_399
; %bb.396:
	v_bfe_u32 v25, v25, 24, 7
	s_movk_i32 s2, 0x7f
	v_cmp_ne_u32_e64 s[2:3], s2, v25
	v_mov_b32_e32 v24, 0x7f800001
	s_and_saveexec_b64 s[22:23], s[2:3]
	s_cbranch_execz .LBB386_398
; %bb.397:
	v_and_b32_e32 v24, 7, v22
	v_ffbh_u32_e32 v33, v24
	v_min_u32_e32 v33, 32, v33
	v_subrev_u32_e32 v34, 28, v33
	v_lshlrev_b64 v[34:35], v34, v[22:23]
	v_lshrrev_b32_e32 v26, 3, v25
	v_sub_u32_e32 v33, 29, v33
	v_and_b32_e32 v34, 7, v34
	v_cmp_gt_u32_e64 s[2:3], 8, v25
	v_cndmask_b32_e64 v25, v26, v33, s[2:3]
	v_cndmask_b32_e64 v24, v24, v34, s[2:3]
	v_lshlrev_b32_e32 v22, 24, v22
	v_bfrev_b32_e32 v26, 60
	v_lshlrev_b32_e32 v24, 20, v24
	v_and_b32_e32 v22, 0x80000000, v22
	v_lshl_add_u32 v25, v25, 23, v26
	v_or3_b32 v24, v22, v25, v24
.LBB386_398:
	s_or_b64 exec, exec, s[22:23]
.LBB386_399:
	s_or_b64 exec, exec, s[20:21]
.LBB386_400:
	s_or_b64 exec, exec, s[8:9]
	s_load_dword s2, s[4:5], 0x1c
	v_cvt_pkrtz_f16_f32 v26, v28, v29
	v_cvt_pkrtz_f16_f32 v27, v27, v30
	s_load_dword s3, s[12:13], 0x0
	v_cvt_pkrtz_f16_f32 v22, v23, v32
	v_mfma_f32_4x4x4f16 a[0:3], v[18:19], v[26:27], a[0:3] cbsz:4 abid:7
	v_cvt_pkrtz_f16_f32 v23, v31, v24
	s_waitcnt lgkmcnt(0)
	v_mov_b32_e32 v18, s2
	v_mov_b32_e32 v25, 0xff7fffff
	v_mfma_f32_4x4x4f16 a[0:3], v[20:21], v[22:23], a[0:3] cbsz:4 abid:7
	v_mul_f32_e32 v20, s3, v18
	v_cmp_eq_u32_e64 s[2:3], 0, v43
	s_nop 2
	v_accvgpr_read_b32 v23, a1
	v_accvgpr_read_b32 v22, a0
	v_pk_mul_f32 v[22:23], v[22:23], v[20:21] op_sel_hi:[1,0]
	v_accvgpr_read_b32 v19, a3
	v_accvgpr_read_b32 v18, a2
	v_pk_mul_f32 v[18:19], v[18:19], v[20:21] op_sel_hi:[1,0]
	v_cndmask_b32_e64 v20, 0, 1.0, s[2:3]
	v_cmp_eq_u32_e64 s[2:3], 1, v43
	s_nop 0
	v_mfma_f32_4x4x1f32 a[0:3], v22, v20, 0
	v_cndmask_b32_e64 v20, 0, 1.0, s[2:3]
	v_cmp_eq_u32_e64 s[2:3], 2, v43
	s_nop 0
	v_mfma_f32_4x4x1f32 a[0:3], v23, v20, a[0:3]
	v_cndmask_b32_e64 v20, 0, 1.0, s[2:3]
	s_nop 1
	v_mfma_f32_4x4x1f32 a[0:3], v18, v20, a[0:3]
	v_cndmask_b32_e64 v18, 0, 1.0, vcc
	s_nop 1
	v_mfma_f32_4x4x1f32 a[0:3], v19, v18, a[0:3]
	v_and_b32_e32 v18, -4, v44
	v_subrev_u32_e32 v19, s7, v18
	v_add_u32_e32 v20, 1, v19
	v_cvt_f32_i32_e32 v20, v20
	v_add_u32_e32 v21, 2, v19
	v_cvt_f32_i32_e32 v21, v21
	v_accvgpr_read_b32 v22, a0
	v_fma_f32 v20, v45, v20, v22
	v_accvgpr_read_b32 v22, a1
	v_fma_f32 v21, v45, v21, v22
	v_add_u32_e32 v22, 3, v19
	v_cvt_f32_i32_e32 v22, v22
	v_add_u32_e32 v19, 4, v19
	v_max_f32_e32 v24, 0xff7fffff, v20
	v_cmp_gt_i32_e32 vcc, s7, v18
	v_cvt_f32_i32_e32 v19, v19
	v_cndmask_b32_e32 v24, v25, v24, vcc
	v_or_b32_e32 v25, 1, v18
	v_accvgpr_read_b32 v23, a2
	v_max_f32_e32 v26, v24, v21
	v_cmp_gt_i32_e64 s[2:3], s7, v25
	v_fma_f32 v22, v45, v22, v23
	v_cndmask_b32_e64 v24, v24, v26, s[2:3]
	v_or_b32_e32 v18, 2, v18
	v_accvgpr_read_b32 v23, a3
	v_max_f32_e32 v25, v24, v22
	v_cmp_gt_i32_e64 s[4:5], s7, v18
	v_fmac_f32_e32 v23, v45, v19
	v_cndmask_b32_e64 v18, v24, v25, s[4:5]
	v_or_b32_e32 v24, 3, v44
	v_max_f32_e32 v25, v18, v23
	v_cmp_gt_i32_e64 s[8:9], s7, v24
	v_lshlrev_b32_e32 v19, 2, v0
	v_cndmask_b32_e64 v18, v18, v25, s[8:9]
	v_and_or_b32 v19, v19, 48, v43
	;;#ASMSTART
	v_nop
 v_nop
 v_max_f32_dpp v18, v18, v18 row_ror:4
	;;#ASMEND
	v_lshlrev_b32_e32 v24, 2, v19
	;;#ASMSTART
	v_nop
 v_nop
 v_max_f32_dpp v18, v18, v18 row_ror:8
	;;#ASMEND
	ds_bpermute_b32 v18, v24, v18
	s_waitcnt lgkmcnt(0)
	;;#ASMSTART
	v_nop
 v_nop
 v_max_f32_dpp v18, v18, v18 row_ror:4
	;;#ASMEND
	;;#ASMSTART
	v_nop
 v_nop
 v_max_f32_dpp v26, v18, v18 row_ror:8
	;;#ASMEND
	v_sub_f32_e32 v18, v20, v26
	v_mul_f32_e32 v18, 0x3fb8aa3b, v18
	v_sub_f32_e32 v19, v21, v26
	v_exp_f32_e32 v18, v18
	v_mul_f32_e32 v19, 0x3fb8aa3b, v19
	v_sub_f32_e32 v21, v22, v26
	v_exp_f32_e32 v19, v19
	;; [unrolled: 3-line block ×3, first 2 shown]
	v_mul_f32_e32 v22, 0x3fb8aa3b, v22
	v_exp_f32_e32 v22, v22
	v_cndmask_b32_e32 v18, 0, v18, vcc
	v_add_f32_e32 v20, 0, v18
	v_cndmask_b32_e64 v19, 0, v19, s[2:3]
	v_add_f32_e32 v23, v20, v19
	v_cndmask_b32_e64 v20, 0, v21, s[4:5]
	;; [unrolled: 2-line block ×3, first 2 shown]
	v_add_f32_e32 v22, v23, v21
	;;#ASMSTART
	v_nop
 v_nop
 v_add_f32_dpp v22, v22, v22 row_ror:4
	;;#ASMEND
	;;#ASMSTART
	v_nop
 v_nop
 v_add_f32_dpp v22, v22, v22 row_ror:8
	;;#ASMEND
	ds_bpermute_b32 v22, v24, v22
	s_waitcnt lgkmcnt(0)
	;;#ASMSTART
	v_nop
 v_nop
 v_add_f32_dpp v22, v22, v22 row_ror:4
	;;#ASMEND
	v_cmp_gt_u32_e32 vcc, 4, v1
	;;#ASMSTART
	v_nop
 v_nop
 v_add_f32_dpp v22, v22, v22 row_ror:8
	;;#ASMEND
	s_and_saveexec_b64 s[2:3], vcc
	s_cbranch_execz .LBB386_402
; %bb.401:
	v_mul_u32_u24_e32 v23, 20, v42
	v_lshl_add_u32 v23, v43, 2, v23
	v_add_u32_e32 v23, 0x800, v23
	ds_write2_b32 v23, v26, v22 offset0:128 offset1:148
.LBB386_402:
	s_or_b64 exec, exec, s[2:3]
.LBB386_403:
	s_or_b64 exec, exec, s[28:29]
	s_waitcnt lgkmcnt(0)
	s_barrier
	s_load_dword s2, s[26:27], 0x8
	v_lshlrev_b32_e32 v22, 2, v43
	v_add_u32_e32 v30, 0x800, v22
	ds_read2_b32 v[22:23], v30 offset0:128 offset1:133
	ds_read2_b32 v[24:25], v30 offset0:138 offset1:143
	s_mul_i32 s3, s6, s33
	s_waitcnt lgkmcnt(0)
	s_mul_i32 s2, s3, s2
	s_mov_b32 s3, 0xff7fffff
	v_max3_f32 v27, v22, s3, v23
	v_max3_f32 v27, v27, v24, v25
	v_sub_f32_e32 v22, v22, v27
	v_mul_f32_e32 v22, 0x3fb8aa3b, v22
	ds_read2_b32 v[28:29], v30 offset0:148 offset1:153
	v_exp_f32_e32 v31, v22
	v_sub_f32_e32 v22, v23, v27
	v_mul_f32_e32 v22, 0x3fb8aa3b, v22
	v_sub_f32_e32 v24, v24, v27
	v_exp_f32_e32 v32, v22
	ds_read2_b32 v[22:23], v30 offset0:158 offset1:163
	v_mul_f32_e32 v24, 0x3fb8aa3b, v24
	v_sub_f32_e32 v25, v25, v27
	v_exp_f32_e32 v24, v24
	v_mul_f32_e32 v25, 0x3fb8aa3b, v25
	v_exp_f32_e32 v25, v25
	s_waitcnt lgkmcnt(1)
	v_fma_f32 v28, v31, v28, 0
	v_fmac_f32_e32 v28, v32, v29
	s_waitcnt lgkmcnt(0)
	v_fmac_f32_e32 v28, v24, v22
	s_mul_i32 s2, s2, 3
	v_fmac_f32_e32 v28, v25, v23
	v_cmp_ne_u32_e32 vcc, 3, v43
	s_and_saveexec_b64 s[4:5], vcc
	s_cbranch_execz .LBB386_405
; %bb.404:
	s_mov_b32 s3, 0
	s_lshl_b64 s[6:7], s[2:3], 2
	s_add_u32 s12, s16, s6
	s_mov_b32 s11, s3
	s_addc_u32 s13, s17, s7
	s_lshl_b64 s[8:9], s[10:11], 2
	s_add_u32 s3, s12, s8
	s_addc_u32 s11, s13, s9
	v_add_u32_e32 v22, s40, v43
	s_add_u32 s6, s18, s6
	v_mul_lo_u32 v22, s33, v22
	v_mov_b32_e32 v23, 0
	s_addc_u32 s7, s19, s7
	v_lshlrev_b64 v[22:23], 2, v[22:23]
	s_add_u32 s6, s6, s8
	v_mov_b32_e32 v25, s11
	v_add_co_u32_e32 v24, vcc, s3, v22
	s_addc_u32 s7, s7, s9
	v_addc_co_u32_e32 v25, vcc, v25, v23, vcc
	v_mov_b32_e32 v29, s7
	v_add_co_u32_e32 v22, vcc, s6, v22
	v_addc_co_u32_e32 v23, vcc, v29, v23, vcc
	global_store_dword v[22:23], v27, off
	global_store_dword v[24:25], v28, off
.LBB386_405:
	s_or_b64 exec, exec, s[4:5]
	v_lshlrev_b32_e32 v25, 3, v42
	s_and_saveexec_b64 s[4:5], s[0:1]
	s_xor_b64 s[0:1], exec, s[4:5]
	s_cbranch_execz .LBB386_407
; %bb.406:
	s_waitcnt vmcnt(0)
	v_mov_b32_e32 v2, 0
	v_mad_u32_u24 v4, v1, 40, v25
	v_mov_b32_e32 v3, v2
	ds_write_b64 v4, v[2:3]
                                        ; implicit-def: $vgpr21
                                        ; implicit-def: $vgpr19
                                        ; implicit-def: $vgpr26
                                        ; implicit-def: $vgpr14_vgpr15
                                        ; implicit-def: $vgpr10_vgpr11
                                        ; implicit-def: $vgpr6_vgpr7
                                        ; implicit-def: $vgpr2_vgpr3
                                        ; implicit-def: $vgpr27
                                        ; implicit-def: $vgpr28
                                        ; implicit-def: $vgpr25
.LBB386_407:
	s_andn2_saveexec_b64 s[0:1], s[0:1]
	s_cbranch_execz .LBB386_793
; %bb.408:
	v_mov_b32_e32 v29, 0
	s_waitcnt vmcnt(3)
	v_cmp_ne_u16_sdwa s[6:7], v14, v29 src0_sel:BYTE_0 src1_sel:DWORD
	v_mov_b32_e32 v30, 0
	s_and_saveexec_b64 s[4:5], s[6:7]
	s_cbranch_execz .LBB386_414
; %bb.409:
	s_movk_i32 s3, 0x80
	v_cmp_ne_u16_sdwa s[8:9], v14, s3 src0_sel:BYTE_0 src1_sel:DWORD
	v_bfrev_b32_e32 v30, 1
	s_and_saveexec_b64 s[6:7], s[8:9]
	s_cbranch_execz .LBB386_413
; %bb.410:
	s_movk_i32 s3, 0x7f
	v_and_b32_e32 v22, 0x7f, v14
	v_cmp_ne_u32_e32 vcc, s3, v22
	v_mov_b32_e32 v30, 0x7f800001
	s_and_saveexec_b64 s[8:9], vcc
	s_cbranch_execz .LBB386_412
; %bb.411:
	v_and_b32_e32 v23, 7, v14
	v_ffbh_u32_e32 v23, v23
	v_min_u32_e32 v23, 32, v23
	v_subrev_u32_e32 v30, 28, v23
	v_cmp_gt_u32_e32 vcc, 8, v22
	v_lshrrev_b32_e32 v24, 3, v22
	v_sub_u32_e32 v23, 29, v23
	v_cndmask_b32_e32 v22, 0, v30, vcc
	v_cndmask_b32_e32 v24, v24, v23, vcc
	v_lshlrev_b64 v[22:23], v22, v[14:15]
	v_lshlrev_b32_e32 v22, 20, v22
	v_lshlrev_b32_e32 v23, 24, v14
	v_bfrev_b32_e32 v30, 60
	v_and_b32_e32 v22, 0x700000, v22
	v_and_b32_e32 v23, 0x80000000, v23
	v_lshl_add_u32 v24, v24, 23, v30
	v_or3_b32 v30, v23, v24, v22
.LBB386_412:
	s_or_b64 exec, exec, s[8:9]
.LBB386_413:
	s_or_b64 exec, exec, s[6:7]
.LBB386_414:
	s_or_b64 exec, exec, s[4:5]
	v_lshrrev_b16_e32 v22, 8, v14
	v_cmp_ne_u16_e32 vcc, 0, v22
	s_and_saveexec_b64 s[4:5], vcc
	s_cbranch_execz .LBB386_420
; %bb.415:
	s_movk_i32 s3, 0x80
	v_cmp_ne_u16_e32 vcc, s3, v22
	v_bfrev_b32_e32 v29, 1
	s_and_saveexec_b64 s[6:7], vcc
	s_cbranch_execz .LBB386_419
; %bb.416:
	s_movk_i32 s3, 0x7f
	v_and_b32_e32 v23, 0x7f, v22
	v_cmp_ne_u32_e32 vcc, s3, v23
	v_mov_b32_e32 v29, 0x7f800001
	s_and_saveexec_b64 s[8:9], vcc
	s_cbranch_execz .LBB386_418
; %bb.417:
	v_and_b32_e32 v24, 7, v22
	v_ffbh_u32_e32 v31, v24
	v_min_u32_e32 v31, 32, v31
	v_subrev_u32_e32 v32, 28, v31
	v_lshlrev_b64 v[32:33], v32, v[22:23]
	v_lshrrev_b32_e32 v29, 3, v23
	v_sub_u32_e32 v22, 29, v31
	v_and_b32_e32 v31, 7, v32
	v_cmp_gt_u32_e32 vcc, 8, v23
	v_cndmask_b32_e32 v22, v29, v22, vcc
	v_cndmask_b32_e32 v23, v24, v31, vcc
	v_lshlrev_b32_e32 v24, 16, v14
	v_bfrev_b32_e32 v29, 60
	v_lshlrev_b32_e32 v23, 20, v23
	v_and_b32_e32 v24, 0x80000000, v24
	v_lshl_add_u32 v22, v22, 23, v29
	v_or3_b32 v29, v24, v22, v23
.LBB386_418:
	s_or_b64 exec, exec, s[8:9]
.LBB386_419:
	s_or_b64 exec, exec, s[6:7]
.LBB386_420:
	s_or_b64 exec, exec, s[4:5]
	s_movk_i32 s3, 0xff
	v_and_b32_sdwa v23, v14, s3 dst_sel:DWORD dst_unused:UNUSED_PAD src0_sel:WORD_1 src1_sel:DWORD
	v_lshrrev_b32_e32 v22, 16, v14
	v_cmp_ne_u16_e32 vcc, 0, v23
	v_mov_b32_e32 v31, 0
	v_mov_b32_e32 v32, 0
	s_and_saveexec_b64 s[4:5], vcc
	s_cbranch_execz .LBB386_426
; %bb.421:
	s_movk_i32 s3, 0x80
	v_cmp_ne_u16_e32 vcc, s3, v23
	v_bfrev_b32_e32 v32, 1
	s_and_saveexec_b64 s[6:7], vcc
	s_cbranch_execz .LBB386_425
; %bb.422:
	v_bfe_u32 v23, v14, 16, 7
	s_movk_i32 s3, 0x7f
	v_cmp_ne_u32_e32 vcc, s3, v23
	v_mov_b32_e32 v32, 0x7f800001
	s_and_saveexec_b64 s[8:9], vcc
	s_cbranch_execz .LBB386_424
; %bb.423:
	v_and_b32_e32 v24, 7, v22
	v_ffbh_u32_e32 v32, v24
	v_min_u32_e32 v35, 32, v32
	v_subrev_u32_e32 v32, 28, v35
	v_lshlrev_b64 v[32:33], v32, v[22:23]
	v_and_b32_e32 v32, 7, v32
	v_cmp_gt_u32_e32 vcc, 8, v23
	v_lshrrev_b32_e32 v34, 3, v23
	v_sub_u32_e32 v22, 29, v35
	v_cndmask_b32_e32 v23, v24, v32, vcc
	v_mov_b32_e32 v24, 24
	v_cndmask_b32_e32 v22, v34, v22, vcc
	v_lshlrev_b32_sdwa v24, v24, v14 dst_sel:DWORD dst_unused:UNUSED_PAD src0_sel:DWORD src1_sel:WORD_1
	v_bfrev_b32_e32 v32, 60
	v_lshlrev_b32_e32 v23, 20, v23
	v_and_b32_e32 v24, 0x80000000, v24
	v_lshl_add_u32 v22, v22, 23, v32
	v_or3_b32 v32, v24, v22, v23
.LBB386_424:
	s_or_b64 exec, exec, s[8:9]
.LBB386_425:
	s_or_b64 exec, exec, s[6:7]
.LBB386_426:
	s_or_b64 exec, exec, s[4:5]
	s_mov_b32 s3, 0xffffff
	v_cmp_lt_u32_e32 vcc, s3, v14
	s_and_saveexec_b64 s[4:5], vcc
	s_cbranch_execz .LBB386_432
; %bb.427:
	v_lshrrev_b32_e32 v22, 24, v14
	s_movk_i32 s3, 0x80
	v_cmp_ne_u32_e32 vcc, s3, v22
	v_bfrev_b32_e32 v31, 1
	s_and_saveexec_b64 s[6:7], vcc
	s_cbranch_execz .LBB386_431
; %bb.428:
	v_bfe_u32 v23, v14, 24, 7
	s_movk_i32 s3, 0x7f
	v_cmp_ne_u32_e32 vcc, s3, v23
	v_mov_b32_e32 v31, 0x7f800001
	s_and_saveexec_b64 s[8:9], vcc
	s_cbranch_execz .LBB386_430
; %bb.429:
	v_and_b32_e32 v24, 7, v22
	v_ffbh_u32_e32 v33, v24
	v_min_u32_e32 v33, 32, v33
	v_subrev_u32_e32 v34, 28, v33
	v_lshlrev_b64 v[34:35], v34, v[22:23]
	v_lshrrev_b32_e32 v31, 3, v23
	v_sub_u32_e32 v33, 29, v33
	v_and_b32_e32 v34, 7, v34
	v_cmp_gt_u32_e32 vcc, 8, v23
	v_cndmask_b32_e32 v23, v31, v33, vcc
	v_cndmask_b32_e32 v24, v24, v34, vcc
	v_lshlrev_b32_e32 v22, 24, v22
	v_bfrev_b32_e32 v31, 60
	v_lshlrev_b32_e32 v24, 20, v24
	v_and_b32_e32 v22, 0x80000000, v22
	v_lshl_add_u32 v23, v23, 23, v31
	v_or3_b32 v31, v22, v23, v24
.LBB386_430:
	s_or_b64 exec, exec, s[8:9]
.LBB386_431:
	s_or_b64 exec, exec, s[6:7]
.LBB386_432:
	s_or_b64 exec, exec, s[4:5]
	v_mov_b32_e32 v23, 0
	v_mov_b32_e32 v22, v15
	v_cmp_ne_u16_sdwa s[6:7], v15, v23 src0_sel:BYTE_0 src1_sel:DWORD
	v_mov_b32_e32 v33, v23
	s_and_saveexec_b64 s[4:5], s[6:7]
	s_cbranch_execz .LBB386_438
; %bb.433:
	s_movk_i32 s3, 0x80
	v_cmp_ne_u16_sdwa s[8:9], v15, s3 src0_sel:BYTE_0 src1_sel:DWORD
	v_bfrev_b32_e32 v33, 1
	s_and_saveexec_b64 s[6:7], s[8:9]
	s_cbranch_execz .LBB386_437
; %bb.434:
	s_movk_i32 s3, 0x7f
	v_and_b32_e32 v24, 0x7f, v15
	v_cmp_ne_u32_e32 vcc, s3, v24
	v_mov_b32_e32 v33, 0x7f800001
	s_and_saveexec_b64 s[8:9], vcc
	s_cbranch_execz .LBB386_436
; %bb.435:
	v_and_b32_e32 v33, 7, v15
	v_ffbh_u32_e32 v33, v33
	v_min_u32_e32 v33, 32, v33
	v_lshrrev_b32_e32 v34, 3, v24
	v_subrev_u32_e32 v35, 28, v33
	v_sub_u32_e32 v33, 29, v33
	v_cmp_gt_u32_e32 vcc, 8, v24
	v_cndmask_b32_e32 v24, v34, v33, vcc
	v_cndmask_b32_e32 v33, 0, v35, vcc
	v_lshlrev_b64 v[34:35], v33, v[22:23]
	v_lshlrev_b32_e32 v33, 20, v34
	v_lshlrev_b32_e32 v34, 24, v22
	v_bfrev_b32_e32 v35, 60
	v_and_b32_e32 v33, 0x700000, v33
	v_and_b32_e32 v34, 0x80000000, v34
	v_lshl_add_u32 v24, v24, 23, v35
	v_or3_b32 v33, v34, v24, v33
.LBB386_436:
	s_or_b64 exec, exec, s[8:9]
.LBB386_437:
	s_or_b64 exec, exec, s[6:7]
.LBB386_438:
	s_or_b64 exec, exec, s[4:5]
	v_lshrrev_b16_e32 v24, 8, v22
	v_cmp_ne_u16_e32 vcc, 0, v24
	s_and_saveexec_b64 s[4:5], vcc
	s_cbranch_execz .LBB386_444
; %bb.439:
	s_movk_i32 s3, 0x80
	v_cmp_ne_u16_e32 vcc, s3, v24
	v_bfrev_b32_e32 v23, 1
	s_and_saveexec_b64 s[6:7], vcc
	s_cbranch_execz .LBB386_443
; %bb.440:
	s_movk_i32 s3, 0x7f
	v_and_b32_e32 v34, 0x7f, v24
	v_cmp_ne_u32_e32 vcc, s3, v34
	v_mov_b32_e32 v23, 0x7f800001
	s_and_saveexec_b64 s[8:9], vcc
	s_cbranch_execz .LBB386_442
; %bb.441:
	v_and_b32_e32 v23, 7, v24
	v_ffbh_u32_e32 v36, v23
	v_min_u32_e32 v38, 32, v36
	v_subrev_u32_e32 v36, 28, v38
	v_lshlrev_b64 v[36:37], v36, v[24:25]
	v_lshrrev_b32_e32 v35, 3, v34
	v_sub_u32_e32 v24, 29, v38
	v_and_b32_e32 v36, 7, v36
	v_cmp_gt_u32_e32 vcc, 8, v34
	v_cndmask_b32_e32 v24, v35, v24, vcc
	v_cndmask_b32_e32 v23, v23, v36, vcc
	v_lshlrev_b32_e32 v22, 16, v22
	v_bfrev_b32_e32 v34, 60
	v_lshlrev_b32_e32 v23, 20, v23
	v_and_b32_e32 v22, 0x80000000, v22
	v_lshl_add_u32 v24, v24, 23, v34
	v_or3_b32 v23, v22, v24, v23
.LBB386_442:
	s_or_b64 exec, exec, s[8:9]
.LBB386_443:
	s_or_b64 exec, exec, s[6:7]
.LBB386_444:
	s_or_b64 exec, exec, s[4:5]
	s_movk_i32 s3, 0xff
	v_and_b32_sdwa v35, v15, s3 dst_sel:DWORD dst_unused:UNUSED_PAD src0_sel:WORD_1 src1_sel:DWORD
	v_lshrrev_b32_e32 v22, 16, v15
	v_cmp_ne_u16_e32 vcc, 0, v35
	v_mov_b32_e32 v24, 0
	v_mov_b32_e32 v34, 0
	s_and_saveexec_b64 s[4:5], vcc
	s_cbranch_execz .LBB386_450
; %bb.445:
	s_movk_i32 s3, 0x80
	v_cmp_ne_u16_e32 vcc, s3, v35
	v_bfrev_b32_e32 v34, 1
	s_and_saveexec_b64 s[6:7], vcc
	s_cbranch_execz .LBB386_449
; %bb.446:
	v_bfe_u32 v35, v15, 16, 7
	s_movk_i32 s3, 0x7f
	v_cmp_ne_u32_e32 vcc, s3, v35
	v_mov_b32_e32 v34, 0x7f800001
	s_and_saveexec_b64 s[8:9], vcc
	s_cbranch_execz .LBB386_448
; %bb.447:
	v_and_b32_e32 v34, 7, v22
	v_ffbh_u32_e32 v36, v34
	v_min_u32_e32 v39, 32, v36
	v_subrev_u32_e32 v36, 28, v39
	v_lshlrev_b64 v[36:37], v36, v[22:23]
	v_lshrrev_b32_e32 v38, 3, v35
	v_sub_u32_e32 v22, 29, v39
	v_and_b32_e32 v36, 7, v36
	v_cmp_gt_u32_e32 vcc, 8, v35
	v_mov_b32_e32 v35, 24
	v_cndmask_b32_e32 v22, v38, v22, vcc
	v_cndmask_b32_e32 v34, v34, v36, vcc
	v_lshlrev_b32_sdwa v35, v35, v15 dst_sel:DWORD dst_unused:UNUSED_PAD src0_sel:DWORD src1_sel:WORD_1
	v_bfrev_b32_e32 v36, 60
	v_lshlrev_b32_e32 v34, 20, v34
	v_and_b32_e32 v35, 0x80000000, v35
	v_lshl_add_u32 v22, v22, 23, v36
	v_or3_b32 v34, v35, v22, v34
.LBB386_448:
	s_or_b64 exec, exec, s[8:9]
.LBB386_449:
	s_or_b64 exec, exec, s[6:7]
.LBB386_450:
	s_or_b64 exec, exec, s[4:5]
	s_mov_b32 s4, -1
	s_mov_b32 s5, 0xffffff
	v_cmp_lt_u64_e32 vcc, s[4:5], v[14:15]
	s_and_saveexec_b64 s[4:5], vcc
	s_cbranch_execz .LBB386_456
; %bb.451:
	v_lshrrev_b32_e32 v14, 24, v15
	s_movk_i32 s3, 0x80
	v_cmp_ne_u32_e32 vcc, s3, v14
	v_bfrev_b32_e32 v24, 1
	s_and_saveexec_b64 s[6:7], vcc
	s_cbranch_execz .LBB386_455
; %bb.452:
	v_bfe_u32 v15, v15, 24, 7
	s_movk_i32 s3, 0x7f
	v_cmp_ne_u32_e32 vcc, s3, v15
	v_mov_b32_e32 v24, 0x7f800001
	s_and_saveexec_b64 s[8:9], vcc
	s_cbranch_execz .LBB386_454
; %bb.453:
	v_and_b32_e32 v22, 7, v14
	v_ffbh_u32_e32 v35, v22
	v_min_u32_e32 v35, 32, v35
	v_subrev_u32_e32 v36, 28, v35
	v_lshlrev_b64 v[36:37], v36, v[14:15]
	v_lshrrev_b32_e32 v24, 3, v15
	v_sub_u32_e32 v35, 29, v35
	v_and_b32_e32 v36, 7, v36
	v_cmp_gt_u32_e32 vcc, 8, v15
	v_cndmask_b32_e32 v15, v24, v35, vcc
	v_cndmask_b32_e32 v22, v22, v36, vcc
	v_lshlrev_b32_e32 v14, 24, v14
	v_bfrev_b32_e32 v24, 60
	v_lshlrev_b32_e32 v22, 20, v22
	v_and_b32_e32 v14, 0x80000000, v14
	v_lshl_add_u32 v15, v15, 23, v24
	v_or3_b32 v24, v14, v15, v22
.LBB386_454:
	s_or_b64 exec, exec, s[8:9]
.LBB386_455:
	s_or_b64 exec, exec, s[6:7]
.LBB386_456:
	s_or_b64 exec, exec, s[4:5]
	v_add_f32_e32 v14, 0x358637bd, v28
	v_div_scale_f32 v15, s[4:5], v14, v14, 1.0
	v_rcp_f32_e32 v22, v15
	v_div_scale_f32 v28, vcc, 1.0, v14, 1.0
	v_sub_f32_e32 v26, v26, v27
	v_fma_f32 v35, -v15, v22, 1.0
	v_fmac_f32_e32 v22, v35, v22
	v_mul_f32_e32 v35, v28, v22
	v_fma_f32 v36, -v15, v35, v28
	v_mul_f32_e32 v26, 0x3fb8aa3b, v26
	v_fmac_f32_e32 v35, v36, v22
	v_exp_f32_e32 v26, v26
	v_fma_f32 v15, -v15, v35, v28
	v_div_fmas_f32 v15, v15, v22, v35
	v_div_fixup_f32 v14, v15, v14, 1.0
	v_mul_f32_e32 v14, v26, v14
	v_pk_mul_f32 v[20:21], v[20:21], v[14:15] op_sel_hi:[1,0]
	v_pk_mul_f32 v[14:15], v[18:19], v[14:15] op_sel_hi:[1,0]
	v_cvt_f16_f32_e32 v14, v14
	v_cvt_f16_f32_e32 v15, v15
	;; [unrolled: 1-line block ×4, first 2 shown]
	v_cvt_pkrtz_f16_f32 v22, v33, v23
	v_pack_b32_f16 v14, v14, v15
	v_cvt_pkrtz_f16_f32 v23, v34, v24
	v_pack_b32_f16 v15, v18, v19
	v_cvt_pkrtz_f16_f32 v18, v30, v29
	v_cvt_pkrtz_f16_f32 v19, v32, v31
	v_mov_b32_e32 v21, 0
	s_nop 0
	v_mfma_f32_4x4x4f16 a[0:3], v[14:15], v[18:19], 0 cbsz:4
	v_mfma_f32_4x4x4f16 a[0:3], v[14:15], v[22:23], a[0:3] cbsz:4 abid:1
	v_mov_b32_e32 v22, 0
	v_cmp_ne_u16_sdwa s[6:7], v16, v22 src0_sel:BYTE_0 src1_sel:DWORD
	s_and_saveexec_b64 s[4:5], s[6:7]
	s_cbranch_execz .LBB386_462
; %bb.457:
	s_movk_i32 s3, 0x80
	v_cmp_ne_u16_sdwa s[8:9], v16, s3 src0_sel:BYTE_0 src1_sel:DWORD
	v_bfrev_b32_e32 v21, 1
	s_and_saveexec_b64 s[6:7], s[8:9]
	s_cbranch_execz .LBB386_461
; %bb.458:
	s_movk_i32 s3, 0x7f
	v_and_b32_e32 v18, 0x7f, v16
	v_cmp_ne_u32_e32 vcc, s3, v18
	v_mov_b32_e32 v21, 0x7f800001
	s_and_saveexec_b64 s[8:9], vcc
	s_cbranch_execz .LBB386_460
; %bb.459:
	v_and_b32_e32 v19, 7, v16
	v_ffbh_u32_e32 v19, v19
	v_min_u32_e32 v19, 32, v19
	v_subrev_u32_e32 v21, 28, v19
	v_cmp_gt_u32_e32 vcc, 8, v18
	v_lshrrev_b32_e32 v20, 3, v18
	v_sub_u32_e32 v19, 29, v19
	v_cndmask_b32_e32 v18, 0, v21, vcc
	v_cndmask_b32_e32 v20, v20, v19, vcc
	v_lshlrev_b64 v[18:19], v18, v[16:17]
	v_lshlrev_b32_e32 v18, 20, v18
	v_lshlrev_b32_e32 v19, 24, v16
	v_bfrev_b32_e32 v21, 60
	v_and_b32_e32 v18, 0x700000, v18
	v_and_b32_e32 v19, 0x80000000, v19
	v_lshl_add_u32 v20, v20, 23, v21
	v_or3_b32 v21, v19, v20, v18
.LBB386_460:
	s_or_b64 exec, exec, s[8:9]
.LBB386_461:
	s_or_b64 exec, exec, s[6:7]
.LBB386_462:
	s_or_b64 exec, exec, s[4:5]
	v_lshrrev_b16_e32 v18, 8, v16
	v_cmp_ne_u16_e32 vcc, 0, v18
	v_mov_b32_e32 v23, 0
	s_and_saveexec_b64 s[4:5], vcc
	s_cbranch_execz .LBB386_468
; %bb.463:
	s_movk_i32 s3, 0x80
	v_cmp_ne_u16_e32 vcc, s3, v18
	v_bfrev_b32_e32 v23, 1
	s_and_saveexec_b64 s[6:7], vcc
	s_cbranch_execz .LBB386_467
; %bb.464:
	s_movk_i32 s3, 0x7f
	v_and_b32_e32 v19, 0x7f, v18
	v_cmp_ne_u32_e32 vcc, s3, v19
	v_mov_b32_e32 v23, 0x7f800001
	s_and_saveexec_b64 s[8:9], vcc
	s_cbranch_execz .LBB386_466
; %bb.465:
	v_and_b32_e32 v20, 7, v18
	v_ffbh_u32_e32 v24, v20
	v_min_u32_e32 v24, 32, v24
	v_subrev_u32_e32 v26, 28, v24
	v_lshlrev_b64 v[26:27], v26, v[18:19]
	v_lshrrev_b32_e32 v23, 3, v19
	v_sub_u32_e32 v18, 29, v24
	v_and_b32_e32 v24, 7, v26
	v_cmp_gt_u32_e32 vcc, 8, v19
	v_cndmask_b32_e32 v18, v23, v18, vcc
	v_cndmask_b32_e32 v19, v20, v24, vcc
	v_lshlrev_b32_e32 v20, 16, v16
	v_bfrev_b32_e32 v23, 60
	v_lshlrev_b32_e32 v19, 20, v19
	v_and_b32_e32 v20, 0x80000000, v20
	v_lshl_add_u32 v18, v18, 23, v23
	v_or3_b32 v23, v20, v18, v19
.LBB386_466:
	s_or_b64 exec, exec, s[8:9]
.LBB386_467:
	s_or_b64 exec, exec, s[6:7]
.LBB386_468:
	s_or_b64 exec, exec, s[4:5]
	s_movk_i32 s3, 0xff
	v_and_b32_sdwa v19, v16, s3 dst_sel:DWORD dst_unused:UNUSED_PAD src0_sel:WORD_1 src1_sel:DWORD
	v_lshrrev_b32_e32 v18, 16, v16
	v_cmp_ne_u16_e32 vcc, 0, v19
	s_and_saveexec_b64 s[4:5], vcc
	s_cbranch_execz .LBB386_474
; %bb.469:
	s_movk_i32 s3, 0x80
	v_cmp_ne_u16_e32 vcc, s3, v19
	v_bfrev_b32_e32 v22, 1
	s_and_saveexec_b64 s[6:7], vcc
	s_cbranch_execz .LBB386_473
; %bb.470:
	v_bfe_u32 v19, v16, 16, 7
	s_movk_i32 s3, 0x7f
	v_cmp_ne_u32_e32 vcc, s3, v19
	v_mov_b32_e32 v22, 0x7f800001
	s_and_saveexec_b64 s[8:9], vcc
	s_cbranch_execz .LBB386_472
; %bb.471:
	v_and_b32_e32 v20, 7, v18
	v_ffbh_u32_e32 v24, v20
	v_min_u32_e32 v24, 32, v24
	v_subrev_u32_e32 v26, 28, v24
	v_lshlrev_b64 v[26:27], v26, v[18:19]
	v_sub_u32_e32 v18, 29, v24
	v_and_b32_e32 v24, 7, v26
	v_cmp_gt_u32_e32 vcc, 8, v19
	v_lshrrev_b32_e32 v22, 3, v19
	v_cndmask_b32_e32 v19, v20, v24, vcc
	v_mov_b32_e32 v20, 24
	v_cndmask_b32_e32 v18, v22, v18, vcc
	v_lshlrev_b32_sdwa v20, v20, v16 dst_sel:DWORD dst_unused:UNUSED_PAD src0_sel:DWORD src1_sel:WORD_1
	v_bfrev_b32_e32 v22, 60
	v_lshlrev_b32_e32 v19, 20, v19
	v_and_b32_e32 v20, 0x80000000, v20
	v_lshl_add_u32 v18, v18, 23, v22
	v_or3_b32 v22, v20, v18, v19
.LBB386_472:
	s_or_b64 exec, exec, s[8:9]
.LBB386_473:
	s_or_b64 exec, exec, s[6:7]
.LBB386_474:
	s_or_b64 exec, exec, s[4:5]
	s_mov_b32 s3, 0xffffff
	v_cmp_lt_u32_e32 vcc, s3, v16
	v_mov_b32_e32 v19, 0
	v_mov_b32_e32 v24, 0
	s_and_saveexec_b64 s[4:5], vcc
	s_cbranch_execz .LBB386_480
; %bb.475:
	v_lshrrev_b32_e32 v18, 24, v16
	s_movk_i32 s3, 0x80
	v_cmp_ne_u32_e32 vcc, s3, v18
	v_bfrev_b32_e32 v24, 1
	s_and_saveexec_b64 s[6:7], vcc
	s_cbranch_execz .LBB386_479
; %bb.476:
	v_bfe_u32 v20, v16, 24, 7
	s_movk_i32 s3, 0x7f
	v_cmp_ne_u32_e32 vcc, s3, v20
	v_mov_b32_e32 v24, 0x7f800001
	s_and_saveexec_b64 s[8:9], vcc
	s_cbranch_execz .LBB386_478
; %bb.477:
	v_and_b32_e32 v24, 7, v18
	v_ffbh_u32_e32 v26, v24
	v_min_u32_e32 v29, 32, v26
	v_subrev_u32_e32 v26, 28, v29
	v_lshlrev_b64 v[26:27], v26, v[18:19]
	v_lshrrev_b32_e32 v28, 3, v20
	v_sub_u32_e32 v27, 29, v29
	v_and_b32_e32 v26, 7, v26
	v_cmp_gt_u32_e32 vcc, 8, v20
	v_cndmask_b32_e32 v20, v28, v27, vcc
	v_cndmask_b32_e32 v24, v24, v26, vcc
	v_lshlrev_b32_e32 v18, 24, v18
	v_bfrev_b32_e32 v26, 60
	v_lshlrev_b32_e32 v24, 20, v24
	v_and_b32_e32 v18, 0x80000000, v18
	v_lshl_add_u32 v20, v20, 23, v26
	v_or3_b32 v24, v18, v20, v24
.LBB386_478:
	s_or_b64 exec, exec, s[8:9]
.LBB386_479:
	s_or_b64 exec, exec, s[6:7]
.LBB386_480:
	s_or_b64 exec, exec, s[4:5]
	v_mov_b32_e32 v18, v17
	v_cmp_ne_u16_sdwa s[6:7], v17, v19 src0_sel:BYTE_0 src1_sel:DWORD
	s_and_saveexec_b64 s[4:5], s[6:7]
	s_cbranch_execz .LBB386_486
; %bb.481:
	s_movk_i32 s3, 0x80
	v_cmp_ne_u16_sdwa s[8:9], v17, s3 src0_sel:BYTE_0 src1_sel:DWORD
	v_bfrev_b32_e32 v20, 1
	s_and_saveexec_b64 s[6:7], s[8:9]
	s_cbranch_execz .LBB386_485
; %bb.482:
	s_movk_i32 s3, 0x7f
	v_and_b32_e32 v26, 0x7f, v17
	v_cmp_ne_u32_e32 vcc, s3, v26
	v_mov_b32_e32 v20, 0x7f800001
	s_and_saveexec_b64 s[8:9], vcc
	s_cbranch_execz .LBB386_484
; %bb.483:
	v_and_b32_e32 v20, 7, v17
	v_ffbh_u32_e32 v20, v20
	v_min_u32_e32 v20, 32, v20
	v_subrev_u32_e32 v28, 28, v20
	v_cmp_gt_u32_e32 vcc, 8, v26
	v_lshrrev_b32_e32 v27, 3, v26
	v_sub_u32_e32 v20, 29, v20
	v_cndmask_b32_e32 v26, 0, v28, vcc
	v_cndmask_b32_e32 v20, v27, v20, vcc
	v_lshlrev_b64 v[26:27], v26, v[18:19]
	v_lshlrev_b32_e32 v19, 20, v26
	v_lshlrev_b32_e32 v26, 24, v18
	v_bfrev_b32_e32 v27, 60
	v_and_b32_e32 v19, 0x700000, v19
	v_and_b32_e32 v26, 0x80000000, v26
	v_lshl_add_u32 v20, v20, 23, v27
	v_or3_b32 v20, v26, v20, v19
.LBB386_484:
	s_or_b64 exec, exec, s[8:9]
.LBB386_485:
	s_or_b64 exec, exec, s[6:7]
	v_mov_b32_e32 v19, v20
.LBB386_486:
	s_or_b64 exec, exec, s[4:5]
	v_lshrrev_b16_e32 v20, 8, v18
	v_cmp_ne_u16_e32 vcc, 0, v20
	v_mov_b32_e32 v26, 0
	v_mov_b32_e32 v27, 0
	s_and_saveexec_b64 s[4:5], vcc
	s_cbranch_execz .LBB386_492
; %bb.487:
	s_movk_i32 s3, 0x80
	v_cmp_ne_u16_e32 vcc, s3, v20
	v_bfrev_b32_e32 v27, 1
	s_and_saveexec_b64 s[6:7], vcc
	s_cbranch_execz .LBB386_491
; %bb.488:
	s_movk_i32 s3, 0x7f
	v_and_b32_e32 v28, 0x7f, v20
	v_cmp_ne_u32_e32 vcc, s3, v28
	v_mov_b32_e32 v27, 0x7f800001
	s_and_saveexec_b64 s[8:9], vcc
	s_cbranch_execz .LBB386_490
; %bb.489:
	v_and_b32_e32 v27, 7, v20
	v_ffbh_u32_e32 v30, v27
	v_min_u32_e32 v32, 32, v30
	v_subrev_u32_e32 v30, 28, v32
	v_lshlrev_b64 v[30:31], v30, v[20:21]
	v_lshrrev_b32_e32 v29, 3, v28
	v_sub_u32_e32 v20, 29, v32
	v_and_b32_e32 v30, 7, v30
	v_cmp_gt_u32_e32 vcc, 8, v28
	v_cndmask_b32_e32 v20, v29, v20, vcc
	v_cndmask_b32_e32 v27, v27, v30, vcc
	v_lshlrev_b32_e32 v18, 16, v18
	v_bfrev_b32_e32 v28, 60
	v_lshlrev_b32_e32 v27, 20, v27
	v_and_b32_e32 v18, 0x80000000, v18
	v_lshl_add_u32 v20, v20, 23, v28
	v_or3_b32 v27, v18, v20, v27
.LBB386_490:
	s_or_b64 exec, exec, s[8:9]
.LBB386_491:
	s_or_b64 exec, exec, s[6:7]
.LBB386_492:
	s_or_b64 exec, exec, s[4:5]
	s_movk_i32 s3, 0xff
	v_and_b32_sdwa v20, v17, s3 dst_sel:DWORD dst_unused:UNUSED_PAD src0_sel:WORD_1 src1_sel:DWORD
	v_lshrrev_b32_e32 v18, 16, v17
	v_cmp_ne_u16_e32 vcc, 0, v20
	s_and_saveexec_b64 s[4:5], vcc
	s_cbranch_execz .LBB386_498
; %bb.493:
	s_movk_i32 s3, 0x80
	v_cmp_ne_u16_e32 vcc, s3, v20
	v_bfrev_b32_e32 v26, 1
	s_and_saveexec_b64 s[6:7], vcc
	s_cbranch_execz .LBB386_497
; %bb.494:
	v_bfe_u32 v20, v17, 16, 7
	s_movk_i32 s3, 0x7f
	v_cmp_ne_u32_e32 vcc, s3, v20
	v_mov_b32_e32 v26, 0x7f800001
	s_and_saveexec_b64 s[8:9], vcc
	s_cbranch_execz .LBB386_496
; %bb.495:
	v_and_b32_e32 v26, 7, v18
	v_ffbh_u32_e32 v28, v26
	v_min_u32_e32 v31, 32, v28
	v_subrev_u32_e32 v28, 28, v31
	v_lshlrev_b64 v[28:29], v28, v[18:19]
	v_and_b32_e32 v28, 7, v28
	v_cmp_gt_u32_e32 vcc, 8, v20
	v_lshrrev_b32_e32 v30, 3, v20
	v_sub_u32_e32 v18, 29, v31
	v_cndmask_b32_e32 v20, v26, v28, vcc
	v_mov_b32_e32 v26, 24
	v_cndmask_b32_e32 v18, v30, v18, vcc
	v_lshlrev_b32_sdwa v26, v26, v17 dst_sel:DWORD dst_unused:UNUSED_PAD src0_sel:DWORD src1_sel:WORD_1
	v_bfrev_b32_e32 v28, 60
	v_lshlrev_b32_e32 v20, 20, v20
	v_and_b32_e32 v26, 0x80000000, v26
	v_lshl_add_u32 v18, v18, 23, v28
	v_or3_b32 v26, v26, v18, v20
.LBB386_496:
	s_or_b64 exec, exec, s[8:9]
.LBB386_497:
	s_or_b64 exec, exec, s[6:7]
.LBB386_498:
	s_or_b64 exec, exec, s[4:5]
	s_mov_b32 s4, -1
	s_mov_b32 s5, 0xffffff
	v_cmp_lt_u64_e32 vcc, s[4:5], v[16:17]
	v_mov_b32_e32 v20, 0
	v_mov_b32_e32 v18, 0
	s_and_saveexec_b64 s[4:5], vcc
	s_cbranch_execz .LBB386_504
; %bb.499:
	v_lshrrev_b32_e32 v16, 24, v17
	s_movk_i32 s3, 0x80
	v_cmp_ne_u32_e32 vcc, s3, v16
	v_bfrev_b32_e32 v18, 1
	s_and_saveexec_b64 s[6:7], vcc
	s_cbranch_execz .LBB386_503
; %bb.500:
	v_bfe_u32 v17, v17, 24, 7
	s_movk_i32 s3, 0x7f
	v_cmp_ne_u32_e32 vcc, s3, v17
	v_mov_b32_e32 v18, 0x7f800001
	s_and_saveexec_b64 s[8:9], vcc
	s_cbranch_execz .LBB386_502
; %bb.501:
	v_and_b32_e32 v18, 7, v16
	v_ffbh_u32_e32 v28, v18
	v_min_u32_e32 v31, 32, v28
	v_subrev_u32_e32 v28, 28, v31
	v_lshlrev_b64 v[28:29], v28, v[16:17]
	v_lshrrev_b32_e32 v30, 3, v17
	v_sub_u32_e32 v29, 29, v31
	v_and_b32_e32 v28, 7, v28
	v_cmp_gt_u32_e32 vcc, 8, v17
	v_cndmask_b32_e32 v17, v30, v29, vcc
	v_cndmask_b32_e32 v18, v18, v28, vcc
	v_lshlrev_b32_e32 v16, 24, v16
	v_bfrev_b32_e32 v28, 60
	v_lshlrev_b32_e32 v18, 20, v18
	v_and_b32_e32 v16, 0x80000000, v16
	v_lshl_add_u32 v17, v17, 23, v28
	v_or3_b32 v18, v16, v17, v18
.LBB386_502:
	s_or_b64 exec, exec, s[8:9]
.LBB386_503:
	s_or_b64 exec, exec, s[6:7]
.LBB386_504:
	s_or_b64 exec, exec, s[4:5]
	v_cvt_pkrtz_f16_f32 v16, v21, v23
	v_cvt_pkrtz_f16_f32 v17, v22, v24
	;; [unrolled: 1-line block ×4, first 2 shown]
	v_mfma_f32_4x4x4f16 a[0:3], v[14:15], v[16:17], a[0:3] cbsz:4 abid:2
	s_waitcnt vmcnt(2)
	v_cmp_ne_u16_sdwa s[6:7], v10, v20 src0_sel:BYTE_0 src1_sel:DWORD
	v_mfma_f32_4x4x4f16 a[0:3], v[14:15], v[22:23], a[0:3] cbsz:4 abid:3
	s_and_saveexec_b64 s[4:5], s[6:7]
	s_cbranch_execz .LBB386_510
; %bb.505:
	s_movk_i32 s3, 0x80
	v_cmp_ne_u16_sdwa s[8:9], v10, s3 src0_sel:BYTE_0 src1_sel:DWORD
	v_bfrev_b32_e32 v20, 1
	s_and_saveexec_b64 s[6:7], s[8:9]
	s_cbranch_execz .LBB386_509
; %bb.506:
	s_movk_i32 s3, 0x7f
	v_and_b32_e32 v16, 0x7f, v10
	v_cmp_ne_u32_e32 vcc, s3, v16
	v_mov_b32_e32 v20, 0x7f800001
	s_and_saveexec_b64 s[8:9], vcc
	s_cbranch_execz .LBB386_508
; %bb.507:
	v_and_b32_e32 v17, 7, v10
	v_ffbh_u32_e32 v17, v17
	v_min_u32_e32 v17, 32, v17
	v_subrev_u32_e32 v19, 28, v17
	v_cmp_gt_u32_e32 vcc, 8, v16
	v_lshrrev_b32_e32 v18, 3, v16
	v_sub_u32_e32 v17, 29, v17
	v_cndmask_b32_e32 v16, 0, v19, vcc
	v_cndmask_b32_e32 v18, v18, v17, vcc
	v_lshlrev_b64 v[16:17], v16, v[10:11]
	v_lshlrev_b32_e32 v16, 20, v16
	v_lshlrev_b32_e32 v17, 24, v10
	v_bfrev_b32_e32 v19, 60
	v_and_b32_e32 v16, 0x700000, v16
	v_and_b32_e32 v17, 0x80000000, v17
	v_lshl_add_u32 v18, v18, 23, v19
	v_or3_b32 v20, v17, v18, v16
.LBB386_508:
	s_or_b64 exec, exec, s[8:9]
.LBB386_509:
	s_or_b64 exec, exec, s[6:7]
.LBB386_510:
	s_or_b64 exec, exec, s[4:5]
	v_lshrrev_b16_e32 v16, 8, v10
	v_cmp_ne_u16_e32 vcc, 0, v16
	v_mov_b32_e32 v19, 0
	v_mov_b32_e32 v21, 0
	s_and_saveexec_b64 s[4:5], vcc
	s_cbranch_execz .LBB386_516
; %bb.511:
	s_movk_i32 s3, 0x80
	v_cmp_ne_u16_e32 vcc, s3, v16
	v_bfrev_b32_e32 v21, 1
	s_and_saveexec_b64 s[6:7], vcc
	s_cbranch_execz .LBB386_515
; %bb.512:
	s_movk_i32 s3, 0x7f
	v_and_b32_e32 v17, 0x7f, v16
	v_cmp_ne_u32_e32 vcc, s3, v17
	v_mov_b32_e32 v21, 0x7f800001
	s_and_saveexec_b64 s[8:9], vcc
	s_cbranch_execz .LBB386_514
; %bb.513:
	v_and_b32_e32 v18, 7, v16
	v_ffbh_u32_e32 v22, v18
	v_min_u32_e32 v24, 32, v22
	v_subrev_u32_e32 v22, 28, v24
	v_lshlrev_b64 v[22:23], v22, v[16:17]
	v_lshrrev_b32_e32 v21, 3, v17
	v_sub_u32_e32 v16, 29, v24
	v_and_b32_e32 v22, 7, v22
	v_cmp_gt_u32_e32 vcc, 8, v17
	v_cndmask_b32_e32 v16, v21, v16, vcc
	v_cndmask_b32_e32 v17, v18, v22, vcc
	v_lshlrev_b32_e32 v18, 16, v10
	v_bfrev_b32_e32 v21, 60
	v_lshlrev_b32_e32 v17, 20, v17
	v_and_b32_e32 v18, 0x80000000, v18
	v_lshl_add_u32 v16, v16, 23, v21
	v_or3_b32 v21, v18, v16, v17
.LBB386_514:
	s_or_b64 exec, exec, s[8:9]
.LBB386_515:
	s_or_b64 exec, exec, s[6:7]
.LBB386_516:
	s_or_b64 exec, exec, s[4:5]
	s_movk_i32 s3, 0xff
	v_and_b32_sdwa v17, v10, s3 dst_sel:DWORD dst_unused:UNUSED_PAD src0_sel:WORD_1 src1_sel:DWORD
	v_lshrrev_b32_e32 v16, 16, v10
	v_cmp_ne_u16_e32 vcc, 0, v17
	s_and_saveexec_b64 s[4:5], vcc
	s_cbranch_execz .LBB386_522
; %bb.517:
	s_movk_i32 s3, 0x80
	v_cmp_ne_u16_e32 vcc, s3, v17
	v_bfrev_b32_e32 v19, 1
	s_and_saveexec_b64 s[6:7], vcc
	s_cbranch_execz .LBB386_521
; %bb.518:
	v_bfe_u32 v17, v10, 16, 7
	s_movk_i32 s3, 0x7f
	v_cmp_ne_u32_e32 vcc, s3, v17
	v_mov_b32_e32 v19, 0x7f800001
	s_and_saveexec_b64 s[8:9], vcc
	s_cbranch_execz .LBB386_520
; %bb.519:
	v_and_b32_e32 v22, 7, v16
	v_ffbh_u32_e32 v18, v22
	v_min_u32_e32 v24, 32, v18
	v_subrev_u32_e32 v18, 28, v24
	v_lshlrev_b64 v[18:19], v18, v[16:17]
	v_and_b32_e32 v18, 7, v18
	v_cmp_gt_u32_e32 vcc, 8, v17
	v_lshrrev_b32_e32 v23, 3, v17
	v_sub_u32_e32 v16, 29, v24
	v_cndmask_b32_e32 v17, v22, v18, vcc
	v_mov_b32_e32 v18, 24
	v_cndmask_b32_e32 v16, v23, v16, vcc
	v_lshlrev_b32_sdwa v18, v18, v10 dst_sel:DWORD dst_unused:UNUSED_PAD src0_sel:DWORD src1_sel:WORD_1
	v_bfrev_b32_e32 v19, 60
	v_lshlrev_b32_e32 v17, 20, v17
	v_and_b32_e32 v18, 0x80000000, v18
	v_lshl_add_u32 v16, v16, 23, v19
	v_or3_b32 v19, v18, v16, v17
.LBB386_520:
	s_or_b64 exec, exec, s[8:9]
.LBB386_521:
	s_or_b64 exec, exec, s[6:7]
.LBB386_522:
	s_or_b64 exec, exec, s[4:5]
	s_mov_b32 s3, 0xffffff
	v_cmp_lt_u32_e32 vcc, s3, v10
	v_mov_b32_e32 v17, 0
	v_mov_b32_e32 v22, 0
	s_and_saveexec_b64 s[4:5], vcc
	s_cbranch_execz .LBB386_528
; %bb.523:
	v_lshrrev_b32_e32 v16, 24, v10
	s_movk_i32 s3, 0x80
	v_cmp_ne_u32_e32 vcc, s3, v16
	v_bfrev_b32_e32 v22, 1
	s_and_saveexec_b64 s[6:7], vcc
	s_cbranch_execz .LBB386_527
; %bb.524:
	v_bfe_u32 v18, v10, 24, 7
	s_movk_i32 s3, 0x7f
	v_cmp_ne_u32_e32 vcc, s3, v18
	v_mov_b32_e32 v22, 0x7f800001
	s_and_saveexec_b64 s[8:9], vcc
	s_cbranch_execz .LBB386_526
; %bb.525:
	v_and_b32_e32 v24, 7, v16
	v_ffbh_u32_e32 v22, v24
	v_min_u32_e32 v27, 32, v22
	v_subrev_u32_e32 v22, 28, v27
	v_lshlrev_b64 v[22:23], v22, v[16:17]
	v_lshrrev_b32_e32 v26, 3, v18
	v_sub_u32_e32 v23, 29, v27
	v_and_b32_e32 v22, 7, v22
	v_cmp_gt_u32_e32 vcc, 8, v18
	v_cndmask_b32_e32 v18, v26, v23, vcc
	v_cndmask_b32_e32 v22, v24, v22, vcc
	v_lshlrev_b32_e32 v16, 24, v16
	v_bfrev_b32_e32 v23, 60
	v_lshlrev_b32_e32 v22, 20, v22
	v_and_b32_e32 v16, 0x80000000, v16
	v_lshl_add_u32 v18, v18, 23, v23
	v_or3_b32 v22, v16, v18, v22
.LBB386_526:
	s_or_b64 exec, exec, s[8:9]
.LBB386_527:
	s_or_b64 exec, exec, s[6:7]
.LBB386_528:
	s_or_b64 exec, exec, s[4:5]
	v_mov_b32_e32 v16, v11
	v_cmp_ne_u16_sdwa s[6:7], v11, v17 src0_sel:BYTE_0 src1_sel:DWORD
	s_and_saveexec_b64 s[4:5], s[6:7]
	s_cbranch_execz .LBB386_534
; %bb.529:
	s_movk_i32 s3, 0x80
	v_cmp_ne_u16_sdwa s[8:9], v11, s3 src0_sel:BYTE_0 src1_sel:DWORD
	v_bfrev_b32_e32 v18, 1
	s_and_saveexec_b64 s[6:7], s[8:9]
	s_cbranch_execz .LBB386_533
; %bb.530:
	s_movk_i32 s3, 0x7f
	v_and_b32_e32 v23, 0x7f, v11
	v_cmp_ne_u32_e32 vcc, s3, v23
	v_mov_b32_e32 v18, 0x7f800001
	s_and_saveexec_b64 s[8:9], vcc
	s_cbranch_execz .LBB386_532
; %bb.531:
	v_and_b32_e32 v18, 7, v11
	v_ffbh_u32_e32 v18, v18
	v_min_u32_e32 v18, 32, v18
	v_subrev_u32_e32 v26, 28, v18
	v_cmp_gt_u32_e32 vcc, 8, v23
	v_lshrrev_b32_e32 v24, 3, v23
	v_cndmask_b32_e32 v23, 0, v26, vcc
	v_sub_u32_e32 v18, 29, v18
	v_lshlrev_b64 v[26:27], v23, v[16:17]
	v_cndmask_b32_e32 v18, v24, v18, vcc
	v_lshlrev_b32_e32 v17, 20, v26
	v_lshlrev_b32_e32 v23, 24, v16
	v_bfrev_b32_e32 v24, 60
	v_and_b32_e32 v17, 0x700000, v17
	v_and_b32_e32 v23, 0x80000000, v23
	v_lshl_add_u32 v18, v18, 23, v24
	v_or3_b32 v18, v23, v18, v17
.LBB386_532:
	s_or_b64 exec, exec, s[8:9]
.LBB386_533:
	s_or_b64 exec, exec, s[6:7]
	v_mov_b32_e32 v17, v18
.LBB386_534:
	s_or_b64 exec, exec, s[4:5]
	v_lshrrev_b16_e32 v18, 8, v16
	v_cmp_ne_u16_e32 vcc, 0, v18
	v_mov_b32_e32 v23, 0
	v_mov_b32_e32 v24, 0
	s_and_saveexec_b64 s[4:5], vcc
	s_cbranch_execz .LBB386_540
; %bb.535:
	s_movk_i32 s3, 0x80
	v_cmp_ne_u16_e32 vcc, s3, v18
	v_bfrev_b32_e32 v24, 1
	s_and_saveexec_b64 s[6:7], vcc
	s_cbranch_execz .LBB386_539
; %bb.536:
	s_movk_i32 s3, 0x7f
	v_and_b32_e32 v26, 0x7f, v18
	v_cmp_ne_u32_e32 vcc, s3, v26
	v_mov_b32_e32 v24, 0x7f800001
	s_and_saveexec_b64 s[8:9], vcc
	s_cbranch_execz .LBB386_538
; %bb.537:
	v_and_b32_e32 v24, 7, v18
	v_ffbh_u32_e32 v28, v24
	v_min_u32_e32 v30, 32, v28
	v_subrev_u32_e32 v28, 28, v30
	v_lshlrev_b64 v[28:29], v28, v[18:19]
	v_lshrrev_b32_e32 v27, 3, v26
	v_sub_u32_e32 v18, 29, v30
	v_and_b32_e32 v28, 7, v28
	v_cmp_gt_u32_e32 vcc, 8, v26
	v_cndmask_b32_e32 v18, v27, v18, vcc
	v_cndmask_b32_e32 v24, v24, v28, vcc
	v_lshlrev_b32_e32 v16, 16, v16
	v_bfrev_b32_e32 v26, 60
	v_lshlrev_b32_e32 v24, 20, v24
	v_and_b32_e32 v16, 0x80000000, v16
	v_lshl_add_u32 v18, v18, 23, v26
	v_or3_b32 v24, v16, v18, v24
.LBB386_538:
	s_or_b64 exec, exec, s[8:9]
.LBB386_539:
	s_or_b64 exec, exec, s[6:7]
.LBB386_540:
	s_or_b64 exec, exec, s[4:5]
	s_movk_i32 s3, 0xff
	v_and_b32_sdwa v18, v11, s3 dst_sel:DWORD dst_unused:UNUSED_PAD src0_sel:WORD_1 src1_sel:DWORD
	v_lshrrev_b32_e32 v16, 16, v11
	v_cmp_ne_u16_e32 vcc, 0, v18
	s_and_saveexec_b64 s[4:5], vcc
	s_cbranch_execz .LBB386_546
; %bb.541:
	s_movk_i32 s3, 0x80
	v_cmp_ne_u16_e32 vcc, s3, v18
	v_bfrev_b32_e32 v23, 1
	s_and_saveexec_b64 s[6:7], vcc
	s_cbranch_execz .LBB386_545
; %bb.542:
	v_bfe_u32 v18, v11, 16, 7
	s_movk_i32 s3, 0x7f
	v_cmp_ne_u32_e32 vcc, s3, v18
	v_mov_b32_e32 v23, 0x7f800001
	s_and_saveexec_b64 s[8:9], vcc
	s_cbranch_execz .LBB386_544
; %bb.543:
	v_and_b32_e32 v23, 7, v16
	v_ffbh_u32_e32 v26, v23
	v_min_u32_e32 v29, 32, v26
	v_subrev_u32_e32 v26, 28, v29
	v_lshlrev_b64 v[26:27], v26, v[16:17]
	v_and_b32_e32 v26, 7, v26
	v_cmp_gt_u32_e32 vcc, 8, v18
	v_lshrrev_b32_e32 v28, 3, v18
	v_sub_u32_e32 v16, 29, v29
	v_cndmask_b32_e32 v18, v23, v26, vcc
	v_mov_b32_e32 v23, 24
	v_cndmask_b32_e32 v16, v28, v16, vcc
	v_lshlrev_b32_sdwa v23, v23, v11 dst_sel:DWORD dst_unused:UNUSED_PAD src0_sel:DWORD src1_sel:WORD_1
	v_bfrev_b32_e32 v26, 60
	v_lshlrev_b32_e32 v18, 20, v18
	v_and_b32_e32 v23, 0x80000000, v23
	v_lshl_add_u32 v16, v16, 23, v26
	v_or3_b32 v23, v23, v16, v18
.LBB386_544:
	s_or_b64 exec, exec, s[8:9]
.LBB386_545:
	s_or_b64 exec, exec, s[6:7]
.LBB386_546:
	s_or_b64 exec, exec, s[4:5]
	s_mov_b32 s4, -1
	s_mov_b32 s5, 0xffffff
	v_cmp_lt_u64_e32 vcc, s[4:5], v[10:11]
	v_mov_b32_e32 v18, 0
	v_mov_b32_e32 v16, 0
	s_and_saveexec_b64 s[4:5], vcc
	s_cbranch_execz .LBB386_552
; %bb.547:
	v_lshrrev_b32_e32 v10, 24, v11
	s_movk_i32 s3, 0x80
	v_cmp_ne_u32_e32 vcc, s3, v10
	v_bfrev_b32_e32 v16, 1
	s_and_saveexec_b64 s[6:7], vcc
	s_cbranch_execz .LBB386_551
; %bb.548:
	v_bfe_u32 v11, v11, 24, 7
	s_movk_i32 s3, 0x7f
	v_cmp_ne_u32_e32 vcc, s3, v11
	v_mov_b32_e32 v16, 0x7f800001
	s_and_saveexec_b64 s[8:9], vcc
	s_cbranch_execz .LBB386_550
; %bb.549:
	v_and_b32_e32 v16, 7, v10
	v_ffbh_u32_e32 v26, v16
	v_min_u32_e32 v29, 32, v26
	v_subrev_u32_e32 v26, 28, v29
	v_lshlrev_b64 v[26:27], v26, v[10:11]
	v_lshrrev_b32_e32 v28, 3, v11
	v_sub_u32_e32 v27, 29, v29
	v_and_b32_e32 v26, 7, v26
	v_cmp_gt_u32_e32 vcc, 8, v11
	v_cndmask_b32_e32 v11, v28, v27, vcc
	v_cndmask_b32_e32 v16, v16, v26, vcc
	v_lshlrev_b32_e32 v10, 24, v10
	v_bfrev_b32_e32 v26, 60
	v_lshlrev_b32_e32 v16, 20, v16
	v_and_b32_e32 v10, 0x80000000, v10
	v_lshl_add_u32 v11, v11, 23, v26
	v_or3_b32 v16, v10, v11, v16
.LBB386_550:
	s_or_b64 exec, exec, s[8:9]
.LBB386_551:
	s_or_b64 exec, exec, s[6:7]
.LBB386_552:
	s_or_b64 exec, exec, s[4:5]
	v_cvt_pkrtz_f16_f32 v10, v20, v21
	v_cvt_pkrtz_f16_f32 v11, v19, v22
	v_cvt_pkrtz_f16_f32 v20, v17, v24
	v_cvt_pkrtz_f16_f32 v21, v23, v16
	v_mfma_f32_4x4x4f16 a[0:3], v[14:15], v[10:11], a[0:3] cbsz:4 abid:4
	v_cmp_ne_u16_sdwa s[6:7], v12, v18 src0_sel:BYTE_0 src1_sel:DWORD
	v_mfma_f32_4x4x4f16 a[0:3], v[14:15], v[20:21], a[0:3] cbsz:4 abid:5
	s_and_saveexec_b64 s[4:5], s[6:7]
	s_cbranch_execz .LBB386_558
; %bb.553:
	s_movk_i32 s3, 0x80
	v_cmp_ne_u16_sdwa s[8:9], v12, s3 src0_sel:BYTE_0 src1_sel:DWORD
	v_bfrev_b32_e32 v18, 1
	s_and_saveexec_b64 s[6:7], s[8:9]
	s_cbranch_execz .LBB386_557
; %bb.554:
	s_movk_i32 s3, 0x7f
	v_and_b32_e32 v10, 0x7f, v12
	v_cmp_ne_u32_e32 vcc, s3, v10
	v_mov_b32_e32 v18, 0x7f800001
	s_and_saveexec_b64 s[8:9], vcc
	s_cbranch_execz .LBB386_556
; %bb.555:
	v_and_b32_e32 v11, 7, v12
	v_ffbh_u32_e32 v11, v11
	v_min_u32_e32 v11, 32, v11
	v_subrev_u32_e32 v17, 28, v11
	v_cmp_gt_u32_e32 vcc, 8, v10
	v_lshrrev_b32_e32 v16, 3, v10
	v_sub_u32_e32 v11, 29, v11
	v_cndmask_b32_e32 v10, 0, v17, vcc
	v_cndmask_b32_e32 v16, v16, v11, vcc
	v_lshlrev_b64 v[10:11], v10, v[12:13]
	v_lshlrev_b32_e32 v10, 20, v10
	v_lshlrev_b32_e32 v11, 24, v12
	v_bfrev_b32_e32 v17, 60
	v_and_b32_e32 v10, 0x700000, v10
	v_and_b32_e32 v11, 0x80000000, v11
	v_lshl_add_u32 v16, v16, 23, v17
	v_or3_b32 v18, v11, v16, v10
.LBB386_556:
	s_or_b64 exec, exec, s[8:9]
.LBB386_557:
	s_or_b64 exec, exec, s[6:7]
.LBB386_558:
	s_or_b64 exec, exec, s[4:5]
	v_lshrrev_b16_e32 v10, 8, v12
	v_cmp_ne_u16_e32 vcc, 0, v10
	v_mov_b32_e32 v17, 0
	v_mov_b32_e32 v19, 0
	s_and_saveexec_b64 s[4:5], vcc
	s_cbranch_execz .LBB386_564
; %bb.559:
	s_movk_i32 s3, 0x80
	v_cmp_ne_u16_e32 vcc, s3, v10
	v_bfrev_b32_e32 v19, 1
	s_and_saveexec_b64 s[6:7], vcc
	s_cbranch_execz .LBB386_563
; %bb.560:
	s_movk_i32 s3, 0x7f
	v_and_b32_e32 v11, 0x7f, v10
	v_cmp_ne_u32_e32 vcc, s3, v11
	v_mov_b32_e32 v19, 0x7f800001
	s_and_saveexec_b64 s[8:9], vcc
	s_cbranch_execz .LBB386_562
; %bb.561:
	v_and_b32_e32 v16, 7, v10
	v_ffbh_u32_e32 v20, v16
	v_min_u32_e32 v22, 32, v20
	v_subrev_u32_e32 v20, 28, v22
	v_lshlrev_b64 v[20:21], v20, v[10:11]
	v_lshrrev_b32_e32 v19, 3, v11
	v_sub_u32_e32 v10, 29, v22
	v_and_b32_e32 v20, 7, v20
	v_cmp_gt_u32_e32 vcc, 8, v11
	v_cndmask_b32_e32 v10, v19, v10, vcc
	v_cndmask_b32_e32 v11, v16, v20, vcc
	v_lshlrev_b32_e32 v16, 16, v12
	v_bfrev_b32_e32 v19, 60
	v_lshlrev_b32_e32 v11, 20, v11
	v_and_b32_e32 v16, 0x80000000, v16
	v_lshl_add_u32 v10, v10, 23, v19
	v_or3_b32 v19, v16, v10, v11
.LBB386_562:
	s_or_b64 exec, exec, s[8:9]
.LBB386_563:
	s_or_b64 exec, exec, s[6:7]
.LBB386_564:
	s_or_b64 exec, exec, s[4:5]
	s_movk_i32 s3, 0xff
	v_and_b32_sdwa v11, v12, s3 dst_sel:DWORD dst_unused:UNUSED_PAD src0_sel:WORD_1 src1_sel:DWORD
	v_lshrrev_b32_e32 v10, 16, v12
	v_cmp_ne_u16_e32 vcc, 0, v11
	s_and_saveexec_b64 s[4:5], vcc
	s_cbranch_execz .LBB386_570
; %bb.565:
	s_movk_i32 s3, 0x80
	v_cmp_ne_u16_e32 vcc, s3, v11
	v_bfrev_b32_e32 v17, 1
	s_and_saveexec_b64 s[6:7], vcc
	s_cbranch_execz .LBB386_569
; %bb.566:
	v_bfe_u32 v11, v12, 16, 7
	s_movk_i32 s3, 0x7f
	v_cmp_ne_u32_e32 vcc, s3, v11
	v_mov_b32_e32 v17, 0x7f800001
	s_and_saveexec_b64 s[8:9], vcc
	s_cbranch_execz .LBB386_568
; %bb.567:
	v_and_b32_e32 v20, 7, v10
	v_ffbh_u32_e32 v16, v20
	v_min_u32_e32 v22, 32, v16
	v_subrev_u32_e32 v16, 28, v22
	v_lshlrev_b64 v[16:17], v16, v[10:11]
	v_and_b32_e32 v16, 7, v16
	v_cmp_gt_u32_e32 vcc, 8, v11
	v_lshrrev_b32_e32 v21, 3, v11
	v_sub_u32_e32 v10, 29, v22
	v_cndmask_b32_e32 v11, v20, v16, vcc
	v_mov_b32_e32 v16, 24
	v_cndmask_b32_e32 v10, v21, v10, vcc
	v_lshlrev_b32_sdwa v16, v16, v12 dst_sel:DWORD dst_unused:UNUSED_PAD src0_sel:DWORD src1_sel:WORD_1
	v_bfrev_b32_e32 v17, 60
	v_lshlrev_b32_e32 v11, 20, v11
	v_and_b32_e32 v16, 0x80000000, v16
	v_lshl_add_u32 v10, v10, 23, v17
	v_or3_b32 v17, v16, v10, v11
.LBB386_568:
	s_or_b64 exec, exec, s[8:9]
.LBB386_569:
	s_or_b64 exec, exec, s[6:7]
.LBB386_570:
	s_or_b64 exec, exec, s[4:5]
	s_mov_b32 s3, 0xffffff
	v_cmp_lt_u32_e32 vcc, s3, v12
	v_mov_b32_e32 v11, 0
	v_mov_b32_e32 v20, 0
	s_and_saveexec_b64 s[4:5], vcc
	s_cbranch_execz .LBB386_576
; %bb.571:
	v_lshrrev_b32_e32 v10, 24, v12
	s_movk_i32 s3, 0x80
	v_cmp_ne_u32_e32 vcc, s3, v10
	v_bfrev_b32_e32 v20, 1
	s_and_saveexec_b64 s[6:7], vcc
	s_cbranch_execz .LBB386_575
; %bb.572:
	v_bfe_u32 v16, v12, 24, 7
	s_movk_i32 s3, 0x7f
	v_cmp_ne_u32_e32 vcc, s3, v16
	v_mov_b32_e32 v20, 0x7f800001
	s_and_saveexec_b64 s[8:9], vcc
	s_cbranch_execz .LBB386_574
; %bb.573:
	v_and_b32_e32 v22, 7, v10
	v_ffbh_u32_e32 v20, v22
	v_min_u32_e32 v24, 32, v20
	v_subrev_u32_e32 v20, 28, v24
	v_lshlrev_b64 v[20:21], v20, v[10:11]
	v_lshrrev_b32_e32 v23, 3, v16
	v_sub_u32_e32 v21, 29, v24
	v_and_b32_e32 v20, 7, v20
	v_cmp_gt_u32_e32 vcc, 8, v16
	v_cndmask_b32_e32 v16, v23, v21, vcc
	v_cndmask_b32_e32 v20, v22, v20, vcc
	v_lshlrev_b32_e32 v10, 24, v10
	v_bfrev_b32_e32 v21, 60
	v_lshlrev_b32_e32 v20, 20, v20
	v_and_b32_e32 v10, 0x80000000, v10
	v_lshl_add_u32 v16, v16, 23, v21
	v_or3_b32 v20, v10, v16, v20
.LBB386_574:
	s_or_b64 exec, exec, s[8:9]
.LBB386_575:
	s_or_b64 exec, exec, s[6:7]
.LBB386_576:
	s_or_b64 exec, exec, s[4:5]
	v_mov_b32_e32 v10, v13
	v_cmp_ne_u16_sdwa s[6:7], v13, v11 src0_sel:BYTE_0 src1_sel:DWORD
	s_and_saveexec_b64 s[4:5], s[6:7]
	s_cbranch_execz .LBB386_582
; %bb.577:
	s_movk_i32 s3, 0x80
	v_cmp_ne_u16_sdwa s[8:9], v13, s3 src0_sel:BYTE_0 src1_sel:DWORD
	v_bfrev_b32_e32 v16, 1
	s_and_saveexec_b64 s[6:7], s[8:9]
	s_cbranch_execz .LBB386_581
; %bb.578:
	s_movk_i32 s3, 0x7f
	v_and_b32_e32 v21, 0x7f, v13
	v_cmp_ne_u32_e32 vcc, s3, v21
	v_mov_b32_e32 v16, 0x7f800001
	s_and_saveexec_b64 s[8:9], vcc
	s_cbranch_execz .LBB386_580
; %bb.579:
	v_and_b32_e32 v16, 7, v13
	v_ffbh_u32_e32 v16, v16
	v_min_u32_e32 v16, 32, v16
	v_subrev_u32_e32 v23, 28, v16
	v_cmp_gt_u32_e32 vcc, 8, v21
	v_lshrrev_b32_e32 v22, 3, v21
	v_sub_u32_e32 v16, 29, v16
	v_cndmask_b32_e32 v21, 0, v23, vcc
	v_cndmask_b32_e32 v16, v22, v16, vcc
	v_lshlrev_b64 v[22:23], v21, v[10:11]
	v_lshlrev_b32_e32 v11, 20, v22
	v_lshlrev_b32_e32 v21, 24, v10
	v_bfrev_b32_e32 v22, 60
	v_and_b32_e32 v11, 0x700000, v11
	v_and_b32_e32 v21, 0x80000000, v21
	v_lshl_add_u32 v16, v16, 23, v22
	v_or3_b32 v16, v21, v16, v11
.LBB386_580:
	s_or_b64 exec, exec, s[8:9]
.LBB386_581:
	s_or_b64 exec, exec, s[6:7]
	v_mov_b32_e32 v11, v16
.LBB386_582:
	s_or_b64 exec, exec, s[4:5]
	v_lshrrev_b16_e32 v16, 8, v10
	v_cmp_ne_u16_e32 vcc, 0, v16
	v_mov_b32_e32 v21, 0
	v_mov_b32_e32 v22, 0
	s_and_saveexec_b64 s[4:5], vcc
	s_cbranch_execz .LBB386_588
; %bb.583:
	s_movk_i32 s3, 0x80
	v_cmp_ne_u16_e32 vcc, s3, v16
	v_bfrev_b32_e32 v22, 1
	s_and_saveexec_b64 s[6:7], vcc
	s_cbranch_execz .LBB386_587
; %bb.584:
	s_movk_i32 s3, 0x7f
	v_and_b32_e32 v23, 0x7f, v16
	v_cmp_ne_u32_e32 vcc, s3, v23
	v_mov_b32_e32 v22, 0x7f800001
	s_and_saveexec_b64 s[8:9], vcc
	s_cbranch_execz .LBB386_586
; %bb.585:
	v_and_b32_e32 v22, 7, v16
	v_ffbh_u32_e32 v26, v22
	v_min_u32_e32 v28, 32, v26
	v_subrev_u32_e32 v26, 28, v28
	v_lshlrev_b64 v[26:27], v26, v[16:17]
	v_lshrrev_b32_e32 v24, 3, v23
	v_sub_u32_e32 v16, 29, v28
	v_and_b32_e32 v26, 7, v26
	v_cmp_gt_u32_e32 vcc, 8, v23
	v_cndmask_b32_e32 v16, v24, v16, vcc
	v_cndmask_b32_e32 v22, v22, v26, vcc
	v_lshlrev_b32_e32 v10, 16, v10
	v_bfrev_b32_e32 v23, 60
	v_lshlrev_b32_e32 v22, 20, v22
	v_and_b32_e32 v10, 0x80000000, v10
	v_lshl_add_u32 v16, v16, 23, v23
	v_or3_b32 v22, v10, v16, v22
.LBB386_586:
	s_or_b64 exec, exec, s[8:9]
.LBB386_587:
	s_or_b64 exec, exec, s[6:7]
.LBB386_588:
	s_or_b64 exec, exec, s[4:5]
	s_movk_i32 s3, 0xff
	v_and_b32_sdwa v16, v13, s3 dst_sel:DWORD dst_unused:UNUSED_PAD src0_sel:WORD_1 src1_sel:DWORD
	v_lshrrev_b32_e32 v10, 16, v13
	v_cmp_ne_u16_e32 vcc, 0, v16
	s_and_saveexec_b64 s[4:5], vcc
	s_cbranch_execz .LBB386_594
; %bb.589:
	s_movk_i32 s3, 0x80
	v_cmp_ne_u16_e32 vcc, s3, v16
	v_bfrev_b32_e32 v21, 1
	s_and_saveexec_b64 s[6:7], vcc
	s_cbranch_execz .LBB386_593
; %bb.590:
	v_bfe_u32 v16, v13, 16, 7
	s_movk_i32 s3, 0x7f
	v_cmp_ne_u32_e32 vcc, s3, v16
	v_mov_b32_e32 v21, 0x7f800001
	s_and_saveexec_b64 s[8:9], vcc
	s_cbranch_execz .LBB386_592
; %bb.591:
	v_and_b32_e32 v21, 7, v10
	v_ffbh_u32_e32 v24, v21
	v_min_u32_e32 v24, 32, v24
	v_subrev_u32_e32 v26, 28, v24
	v_lshlrev_b64 v[26:27], v26, v[10:11]
	v_sub_u32_e32 v10, 29, v24
	v_and_b32_e32 v24, 7, v26
	v_cmp_gt_u32_e32 vcc, 8, v16
	v_lshrrev_b32_e32 v23, 3, v16
	v_cndmask_b32_e32 v16, v21, v24, vcc
	v_mov_b32_e32 v21, 24
	v_cndmask_b32_e32 v10, v23, v10, vcc
	v_lshlrev_b32_sdwa v21, v21, v13 dst_sel:DWORD dst_unused:UNUSED_PAD src0_sel:DWORD src1_sel:WORD_1
	v_bfrev_b32_e32 v23, 60
	v_lshlrev_b32_e32 v16, 20, v16
	v_and_b32_e32 v21, 0x80000000, v21
	v_lshl_add_u32 v10, v10, 23, v23
	v_or3_b32 v21, v21, v10, v16
.LBB386_592:
	s_or_b64 exec, exec, s[8:9]
.LBB386_593:
	s_or_b64 exec, exec, s[6:7]
.LBB386_594:
	s_or_b64 exec, exec, s[4:5]
	s_mov_b32 s4, -1
	s_mov_b32 s5, 0xffffff
	v_cmp_lt_u64_e32 vcc, s[4:5], v[12:13]
	v_mov_b32_e32 v16, 0
	v_mov_b32_e32 v12, 0
	s_and_saveexec_b64 s[4:5], vcc
	s_cbranch_execz .LBB386_600
; %bb.595:
	v_lshrrev_b32_e32 v10, 24, v13
	s_movk_i32 s3, 0x80
	v_cmp_ne_u32_e32 vcc, s3, v10
	v_bfrev_b32_e32 v12, 1
	s_and_saveexec_b64 s[6:7], vcc
	s_cbranch_execz .LBB386_599
; %bb.596:
	v_bfe_u32 v13, v13, 24, 7
	s_movk_i32 s3, 0x7f
	v_cmp_ne_u32_e32 vcc, s3, v13
	v_mov_b32_e32 v12, 0x7f800001
	s_and_saveexec_b64 s[8:9], vcc
	s_cbranch_execz .LBB386_598
; %bb.597:
	v_and_b32_e32 v12, 7, v10
	v_ffbh_u32_e32 v24, v12
	v_min_u32_e32 v24, 32, v24
	v_subrev_u32_e32 v26, 28, v24
	v_lshlrev_b64 v[26:27], v26, v[10:11]
	v_lshrrev_b32_e32 v23, 3, v13
	v_sub_u32_e32 v24, 29, v24
	v_and_b32_e32 v26, 7, v26
	v_cmp_gt_u32_e32 vcc, 8, v13
	v_cndmask_b32_e32 v13, v23, v24, vcc
	v_cndmask_b32_e32 v12, v12, v26, vcc
	v_lshlrev_b32_e32 v10, 24, v10
	v_bfrev_b32_e32 v23, 60
	v_lshlrev_b32_e32 v12, 20, v12
	v_and_b32_e32 v10, 0x80000000, v10
	v_lshl_add_u32 v13, v13, 23, v23
	v_or3_b32 v12, v10, v13, v12
.LBB386_598:
	s_or_b64 exec, exec, s[8:9]
.LBB386_599:
	s_or_b64 exec, exec, s[6:7]
.LBB386_600:
	s_or_b64 exec, exec, s[4:5]
	v_cvt_pkrtz_f16_f32 v18, v18, v19
	v_cvt_pkrtz_f16_f32 v19, v17, v20
	;; [unrolled: 1-line block ×4, first 2 shown]
	v_mfma_f32_4x4x4f16 a[0:3], v[14:15], v[18:19], a[0:3] cbsz:4 abid:6
	s_waitcnt vmcnt(1)
	v_cmp_ne_u16_sdwa s[6:7], v6, v16 src0_sel:BYTE_0 src1_sel:DWORD
	v_mfma_f32_4x4x4f16 a[0:3], v[14:15], v[10:11], a[0:3] cbsz:4 abid:7
	s_and_saveexec_b64 s[4:5], s[6:7]
	s_cbranch_execz .LBB386_606
; %bb.601:
	s_movk_i32 s3, 0x80
	v_cmp_ne_u16_sdwa s[8:9], v6, s3 src0_sel:BYTE_0 src1_sel:DWORD
	v_bfrev_b32_e32 v16, 1
	s_and_saveexec_b64 s[6:7], s[8:9]
	s_cbranch_execz .LBB386_605
; %bb.602:
	s_movk_i32 s3, 0x7f
	v_and_b32_e32 v10, 0x7f, v6
	v_cmp_ne_u32_e32 vcc, s3, v10
	v_mov_b32_e32 v16, 0x7f800001
	s_and_saveexec_b64 s[8:9], vcc
	s_cbranch_execz .LBB386_604
; %bb.603:
	v_and_b32_e32 v11, 7, v6
	v_ffbh_u32_e32 v11, v11
	v_min_u32_e32 v11, 32, v11
	v_subrev_u32_e32 v13, 28, v11
	v_cmp_gt_u32_e32 vcc, 8, v10
	v_lshrrev_b32_e32 v12, 3, v10
	v_sub_u32_e32 v11, 29, v11
	v_cndmask_b32_e32 v10, 0, v13, vcc
	v_cndmask_b32_e32 v12, v12, v11, vcc
	v_lshlrev_b64 v[10:11], v10, v[6:7]
	v_lshlrev_b32_e32 v10, 20, v10
	v_lshlrev_b32_e32 v11, 24, v6
	v_bfrev_b32_e32 v13, 60
	v_and_b32_e32 v10, 0x700000, v10
	v_and_b32_e32 v11, 0x80000000, v11
	v_lshl_add_u32 v12, v12, 23, v13
	v_or3_b32 v16, v11, v12, v10
.LBB386_604:
	s_or_b64 exec, exec, s[8:9]
.LBB386_605:
	s_or_b64 exec, exec, s[6:7]
.LBB386_606:
	s_or_b64 exec, exec, s[4:5]
	v_lshrrev_b16_e32 v10, 8, v6
	v_cmp_ne_u16_e32 vcc, 0, v10
	v_mov_b32_e32 v13, 0
	v_mov_b32_e32 v17, 0
	s_and_saveexec_b64 s[4:5], vcc
	s_cbranch_execz .LBB386_612
; %bb.607:
	s_movk_i32 s3, 0x80
	v_cmp_ne_u16_e32 vcc, s3, v10
	v_bfrev_b32_e32 v17, 1
	s_and_saveexec_b64 s[6:7], vcc
	s_cbranch_execz .LBB386_611
; %bb.608:
	s_movk_i32 s3, 0x7f
	v_and_b32_e32 v11, 0x7f, v10
	v_cmp_ne_u32_e32 vcc, s3, v11
	v_mov_b32_e32 v17, 0x7f800001
	s_and_saveexec_b64 s[8:9], vcc
	s_cbranch_execz .LBB386_610
; %bb.609:
	v_and_b32_e32 v12, 7, v10
	v_ffbh_u32_e32 v18, v12
	v_min_u32_e32 v20, 32, v18
	v_subrev_u32_e32 v18, 28, v20
	v_lshlrev_b64 v[18:19], v18, v[10:11]
	v_lshrrev_b32_e32 v17, 3, v11
	v_sub_u32_e32 v10, 29, v20
	v_and_b32_e32 v18, 7, v18
	v_cmp_gt_u32_e32 vcc, 8, v11
	v_cndmask_b32_e32 v10, v17, v10, vcc
	v_cndmask_b32_e32 v11, v12, v18, vcc
	v_lshlrev_b32_e32 v12, 16, v6
	v_bfrev_b32_e32 v17, 60
	v_lshlrev_b32_e32 v11, 20, v11
	v_and_b32_e32 v12, 0x80000000, v12
	v_lshl_add_u32 v10, v10, 23, v17
	v_or3_b32 v17, v12, v10, v11
.LBB386_610:
	s_or_b64 exec, exec, s[8:9]
.LBB386_611:
	s_or_b64 exec, exec, s[6:7]
.LBB386_612:
	s_or_b64 exec, exec, s[4:5]
	s_movk_i32 s3, 0xff
	v_and_b32_sdwa v11, v6, s3 dst_sel:DWORD dst_unused:UNUSED_PAD src0_sel:WORD_1 src1_sel:DWORD
	v_lshrrev_b32_e32 v10, 16, v6
	v_cmp_ne_u16_e32 vcc, 0, v11
	s_and_saveexec_b64 s[4:5], vcc
	s_cbranch_execz .LBB386_618
; %bb.613:
	s_movk_i32 s3, 0x80
	v_cmp_ne_u16_e32 vcc, s3, v11
	v_bfrev_b32_e32 v13, 1
	s_and_saveexec_b64 s[6:7], vcc
	s_cbranch_execz .LBB386_617
; %bb.614:
	v_bfe_u32 v11, v6, 16, 7
	s_movk_i32 s3, 0x7f
	v_cmp_ne_u32_e32 vcc, s3, v11
	v_mov_b32_e32 v13, 0x7f800001
	s_and_saveexec_b64 s[8:9], vcc
	s_cbranch_execz .LBB386_616
; %bb.615:
	v_and_b32_e32 v18, 7, v10
	v_ffbh_u32_e32 v12, v18
	v_min_u32_e32 v20, 32, v12
	v_subrev_u32_e32 v12, 28, v20
	v_lshlrev_b64 v[12:13], v12, v[10:11]
	v_and_b32_e32 v12, 7, v12
	v_cmp_gt_u32_e32 vcc, 8, v11
	v_lshrrev_b32_e32 v19, 3, v11
	v_sub_u32_e32 v10, 29, v20
	v_cndmask_b32_e32 v11, v18, v12, vcc
	v_mov_b32_e32 v12, 24
	v_cndmask_b32_e32 v10, v19, v10, vcc
	v_lshlrev_b32_sdwa v12, v12, v6 dst_sel:DWORD dst_unused:UNUSED_PAD src0_sel:DWORD src1_sel:WORD_1
	v_bfrev_b32_e32 v13, 60
	v_lshlrev_b32_e32 v11, 20, v11
	v_and_b32_e32 v12, 0x80000000, v12
	v_lshl_add_u32 v10, v10, 23, v13
	v_or3_b32 v13, v12, v10, v11
.LBB386_616:
	s_or_b64 exec, exec, s[8:9]
.LBB386_617:
	s_or_b64 exec, exec, s[6:7]
.LBB386_618:
	s_or_b64 exec, exec, s[4:5]
	s_mov_b32 s3, 0xffffff
	v_cmp_lt_u32_e32 vcc, s3, v6
	v_mov_b32_e32 v11, 0
	v_mov_b32_e32 v18, 0
	s_and_saveexec_b64 s[4:5], vcc
	s_cbranch_execz .LBB386_624
; %bb.619:
	v_lshrrev_b32_e32 v10, 24, v6
	s_movk_i32 s3, 0x80
	v_cmp_ne_u32_e32 vcc, s3, v10
	v_bfrev_b32_e32 v18, 1
	s_and_saveexec_b64 s[6:7], vcc
	s_cbranch_execz .LBB386_623
; %bb.620:
	v_bfe_u32 v12, v6, 24, 7
	s_movk_i32 s3, 0x7f
	v_cmp_ne_u32_e32 vcc, s3, v12
	v_mov_b32_e32 v18, 0x7f800001
	s_and_saveexec_b64 s[8:9], vcc
	s_cbranch_execz .LBB386_622
; %bb.621:
	v_and_b32_e32 v20, 7, v10
	v_ffbh_u32_e32 v18, v20
	v_min_u32_e32 v22, 32, v18
	v_subrev_u32_e32 v18, 28, v22
	v_lshlrev_b64 v[18:19], v18, v[10:11]
	v_lshrrev_b32_e32 v21, 3, v12
	v_sub_u32_e32 v19, 29, v22
	v_and_b32_e32 v18, 7, v18
	v_cmp_gt_u32_e32 vcc, 8, v12
	v_cndmask_b32_e32 v12, v21, v19, vcc
	v_cndmask_b32_e32 v18, v20, v18, vcc
	v_lshlrev_b32_e32 v10, 24, v10
	v_bfrev_b32_e32 v19, 60
	v_lshlrev_b32_e32 v18, 20, v18
	v_and_b32_e32 v10, 0x80000000, v10
	v_lshl_add_u32 v12, v12, 23, v19
	v_or3_b32 v18, v10, v12, v18
.LBB386_622:
	s_or_b64 exec, exec, s[8:9]
.LBB386_623:
	s_or_b64 exec, exec, s[6:7]
.LBB386_624:
	s_or_b64 exec, exec, s[4:5]
	v_mov_b32_e32 v10, v7
	v_cmp_ne_u16_sdwa s[6:7], v7, v11 src0_sel:BYTE_0 src1_sel:DWORD
	s_and_saveexec_b64 s[4:5], s[6:7]
	s_cbranch_execz .LBB386_630
; %bb.625:
	s_movk_i32 s3, 0x80
	v_cmp_ne_u16_sdwa s[8:9], v7, s3 src0_sel:BYTE_0 src1_sel:DWORD
	v_bfrev_b32_e32 v12, 1
	s_and_saveexec_b64 s[6:7], s[8:9]
	s_cbranch_execz .LBB386_629
; %bb.626:
	s_movk_i32 s3, 0x7f
	v_and_b32_e32 v19, 0x7f, v7
	v_cmp_ne_u32_e32 vcc, s3, v19
	v_mov_b32_e32 v12, 0x7f800001
	s_and_saveexec_b64 s[8:9], vcc
	s_cbranch_execz .LBB386_628
; %bb.627:
	v_and_b32_e32 v12, 7, v7
	v_ffbh_u32_e32 v12, v12
	v_min_u32_e32 v12, 32, v12
	v_subrev_u32_e32 v21, 28, v12
	v_cmp_gt_u32_e32 vcc, 8, v19
	v_lshrrev_b32_e32 v20, 3, v19
	v_sub_u32_e32 v12, 29, v12
	v_cndmask_b32_e32 v19, 0, v21, vcc
	v_cndmask_b32_e32 v12, v20, v12, vcc
	v_lshlrev_b64 v[20:21], v19, v[10:11]
	v_lshlrev_b32_e32 v11, 20, v20
	v_lshlrev_b32_e32 v19, 24, v10
	v_bfrev_b32_e32 v20, 60
	v_and_b32_e32 v11, 0x700000, v11
	v_and_b32_e32 v19, 0x80000000, v19
	v_lshl_add_u32 v12, v12, 23, v20
	v_or3_b32 v12, v19, v12, v11
.LBB386_628:
	s_or_b64 exec, exec, s[8:9]
.LBB386_629:
	s_or_b64 exec, exec, s[6:7]
	v_mov_b32_e32 v11, v12
.LBB386_630:
	s_or_b64 exec, exec, s[4:5]
	v_lshrrev_b16_e32 v12, 8, v10
	v_cmp_ne_u16_e32 vcc, 0, v12
	v_mov_b32_e32 v19, 0
	v_mov_b32_e32 v20, 0
	s_and_saveexec_b64 s[4:5], vcc
	s_cbranch_execz .LBB386_636
; %bb.631:
	s_movk_i32 s3, 0x80
	v_cmp_ne_u16_e32 vcc, s3, v12
	v_bfrev_b32_e32 v20, 1
	s_and_saveexec_b64 s[6:7], vcc
	s_cbranch_execz .LBB386_635
; %bb.632:
	s_movk_i32 s3, 0x7f
	v_and_b32_e32 v21, 0x7f, v12
	v_cmp_ne_u32_e32 vcc, s3, v21
	v_mov_b32_e32 v20, 0x7f800001
	s_and_saveexec_b64 s[8:9], vcc
	s_cbranch_execz .LBB386_634
; %bb.633:
	v_and_b32_e32 v20, 7, v12
	v_ffbh_u32_e32 v22, v20
	v_min_u32_e32 v26, 32, v22
	v_subrev_u32_e32 v22, 28, v26
	v_lshlrev_b64 v[22:23], v22, v[12:13]
	v_lshrrev_b32_e32 v24, 3, v21
	v_sub_u32_e32 v12, 29, v26
	v_and_b32_e32 v22, 7, v22
	v_cmp_gt_u32_e32 vcc, 8, v21
	v_cndmask_b32_e32 v12, v24, v12, vcc
	v_cndmask_b32_e32 v20, v20, v22, vcc
	v_lshlrev_b32_e32 v10, 16, v10
	v_bfrev_b32_e32 v21, 60
	v_lshlrev_b32_e32 v20, 20, v20
	v_and_b32_e32 v10, 0x80000000, v10
	v_lshl_add_u32 v12, v12, 23, v21
	v_or3_b32 v20, v10, v12, v20
.LBB386_634:
	s_or_b64 exec, exec, s[8:9]
.LBB386_635:
	s_or_b64 exec, exec, s[6:7]
.LBB386_636:
	s_or_b64 exec, exec, s[4:5]
	s_movk_i32 s3, 0xff
	v_and_b32_sdwa v12, v7, s3 dst_sel:DWORD dst_unused:UNUSED_PAD src0_sel:WORD_1 src1_sel:DWORD
	v_lshrrev_b32_e32 v10, 16, v7
	v_cmp_ne_u16_e32 vcc, 0, v12
	s_and_saveexec_b64 s[4:5], vcc
	s_cbranch_execz .LBB386_642
; %bb.637:
	s_movk_i32 s3, 0x80
	v_cmp_ne_u16_e32 vcc, s3, v12
	v_bfrev_b32_e32 v19, 1
	s_and_saveexec_b64 s[6:7], vcc
	s_cbranch_execz .LBB386_641
; %bb.638:
	v_bfe_u32 v12, v7, 16, 7
	s_movk_i32 s3, 0x7f
	v_cmp_ne_u32_e32 vcc, s3, v12
	v_mov_b32_e32 v19, 0x7f800001
	s_and_saveexec_b64 s[8:9], vcc
	s_cbranch_execz .LBB386_640
; %bb.639:
	v_and_b32_e32 v19, 7, v10
	v_ffbh_u32_e32 v22, v19
	v_min_u32_e32 v24, 32, v22
	v_subrev_u32_e32 v22, 28, v24
	v_lshlrev_b64 v[22:23], v22, v[10:11]
	v_and_b32_e32 v22, 7, v22
	v_cmp_gt_u32_e32 vcc, 8, v12
	v_lshrrev_b32_e32 v21, 3, v12
	v_sub_u32_e32 v10, 29, v24
	v_cndmask_b32_e32 v12, v19, v22, vcc
	v_mov_b32_e32 v19, 24
	v_cndmask_b32_e32 v10, v21, v10, vcc
	v_lshlrev_b32_sdwa v19, v19, v7 dst_sel:DWORD dst_unused:UNUSED_PAD src0_sel:DWORD src1_sel:WORD_1
	v_bfrev_b32_e32 v21, 60
	v_lshlrev_b32_e32 v12, 20, v12
	v_and_b32_e32 v19, 0x80000000, v19
	v_lshl_add_u32 v10, v10, 23, v21
	v_or3_b32 v19, v19, v10, v12
.LBB386_640:
	s_or_b64 exec, exec, s[8:9]
.LBB386_641:
	s_or_b64 exec, exec, s[6:7]
.LBB386_642:
	s_or_b64 exec, exec, s[4:5]
	s_mov_b32 s4, -1
	s_mov_b32 s5, 0xffffff
	v_cmp_lt_u64_e32 vcc, s[4:5], v[6:7]
	v_mov_b32_e32 v12, 0
	v_mov_b32_e32 v10, 0
	s_and_saveexec_b64 s[4:5], vcc
	s_cbranch_execz .LBB386_648
; %bb.643:
	v_lshrrev_b32_e32 v6, 24, v7
	s_movk_i32 s3, 0x80
	v_cmp_ne_u32_e32 vcc, s3, v6
	v_bfrev_b32_e32 v10, 1
	s_and_saveexec_b64 s[6:7], vcc
	s_cbranch_execz .LBB386_647
; %bb.644:
	v_bfe_u32 v7, v7, 24, 7
	s_movk_i32 s3, 0x7f
	v_cmp_ne_u32_e32 vcc, s3, v7
	v_mov_b32_e32 v10, 0x7f800001
	s_and_saveexec_b64 s[8:9], vcc
	s_cbranch_execz .LBB386_646
; %bb.645:
	v_and_b32_e32 v10, 7, v6
	v_ffbh_u32_e32 v22, v10
	v_min_u32_e32 v24, 32, v22
	v_subrev_u32_e32 v22, 28, v24
	v_lshlrev_b64 v[22:23], v22, v[6:7]
	v_lshrrev_b32_e32 v21, 3, v7
	v_sub_u32_e32 v23, 29, v24
	v_and_b32_e32 v22, 7, v22
	v_cmp_gt_u32_e32 vcc, 8, v7
	v_cndmask_b32_e32 v7, v21, v23, vcc
	v_cndmask_b32_e32 v10, v10, v22, vcc
	v_lshlrev_b32_e32 v6, 24, v6
	v_bfrev_b32_e32 v21, 60
	v_lshlrev_b32_e32 v10, 20, v10
	v_and_b32_e32 v6, 0x80000000, v6
	v_lshl_add_u32 v7, v7, 23, v21
	v_or3_b32 v10, v6, v7, v10
.LBB386_646:
	s_or_b64 exec, exec, s[8:9]
.LBB386_647:
	s_or_b64 exec, exec, s[6:7]
.LBB386_648:
	s_or_b64 exec, exec, s[4:5]
	v_cvt_pkrtz_f16_f32 v6, v16, v17
	v_cvt_pkrtz_f16_f32 v7, v13, v18
	;; [unrolled: 1-line block ×4, first 2 shown]
	v_mfma_f32_4x4x4f16 a[0:3], v[14:15], v[6:7], a[0:3] cbsz:4 abid:8
	v_cmp_ne_u16_sdwa s[6:7], v8, v12 src0_sel:BYTE_0 src1_sel:DWORD
	v_mfma_f32_4x4x4f16 a[0:3], v[14:15], v[16:17], a[0:3] cbsz:4 abid:9
	s_and_saveexec_b64 s[4:5], s[6:7]
	s_cbranch_execz .LBB386_654
; %bb.649:
	s_movk_i32 s3, 0x80
	v_cmp_ne_u16_sdwa s[8:9], v8, s3 src0_sel:BYTE_0 src1_sel:DWORD
	v_bfrev_b32_e32 v12, 1
	s_and_saveexec_b64 s[6:7], s[8:9]
	s_cbranch_execz .LBB386_653
; %bb.650:
	s_movk_i32 s3, 0x7f
	v_and_b32_e32 v6, 0x7f, v8
	v_cmp_ne_u32_e32 vcc, s3, v6
	v_mov_b32_e32 v12, 0x7f800001
	s_and_saveexec_b64 s[8:9], vcc
	s_cbranch_execz .LBB386_652
; %bb.651:
	v_and_b32_e32 v7, 7, v8
	v_ffbh_u32_e32 v7, v7
	v_min_u32_e32 v7, 32, v7
	v_subrev_u32_e32 v11, 28, v7
	v_cmp_gt_u32_e32 vcc, 8, v6
	v_lshrrev_b32_e32 v10, 3, v6
	v_sub_u32_e32 v7, 29, v7
	v_cndmask_b32_e32 v6, 0, v11, vcc
	v_cndmask_b32_e32 v10, v10, v7, vcc
	v_lshlrev_b64 v[6:7], v6, v[8:9]
	v_lshlrev_b32_e32 v6, 20, v6
	v_lshlrev_b32_e32 v7, 24, v8
	v_bfrev_b32_e32 v11, 60
	v_and_b32_e32 v6, 0x700000, v6
	v_and_b32_e32 v7, 0x80000000, v7
	v_lshl_add_u32 v10, v10, 23, v11
	v_or3_b32 v12, v7, v10, v6
.LBB386_652:
	s_or_b64 exec, exec, s[8:9]
.LBB386_653:
	s_or_b64 exec, exec, s[6:7]
.LBB386_654:
	s_or_b64 exec, exec, s[4:5]
	v_lshrrev_b16_e32 v6, 8, v8
	v_cmp_ne_u16_e32 vcc, 0, v6
	v_mov_b32_e32 v11, 0
	v_mov_b32_e32 v13, 0
	s_and_saveexec_b64 s[4:5], vcc
	s_cbranch_execz .LBB386_660
; %bb.655:
	s_movk_i32 s3, 0x80
	v_cmp_ne_u16_e32 vcc, s3, v6
	v_bfrev_b32_e32 v13, 1
	s_and_saveexec_b64 s[6:7], vcc
	s_cbranch_execz .LBB386_659
; %bb.656:
	s_movk_i32 s3, 0x7f
	v_and_b32_e32 v7, 0x7f, v6
	v_cmp_ne_u32_e32 vcc, s3, v7
	v_mov_b32_e32 v13, 0x7f800001
	s_and_saveexec_b64 s[8:9], vcc
	s_cbranch_execz .LBB386_658
; %bb.657:
	v_and_b32_e32 v10, 7, v6
	v_ffbh_u32_e32 v16, v10
	v_min_u32_e32 v18, 32, v16
	v_subrev_u32_e32 v16, 28, v18
	v_lshlrev_b64 v[16:17], v16, v[6:7]
	v_lshrrev_b32_e32 v13, 3, v7
	v_sub_u32_e32 v6, 29, v18
	v_and_b32_e32 v16, 7, v16
	v_cmp_gt_u32_e32 vcc, 8, v7
	v_cndmask_b32_e32 v6, v13, v6, vcc
	v_cndmask_b32_e32 v7, v10, v16, vcc
	v_lshlrev_b32_e32 v10, 16, v8
	v_bfrev_b32_e32 v13, 60
	v_lshlrev_b32_e32 v7, 20, v7
	v_and_b32_e32 v10, 0x80000000, v10
	v_lshl_add_u32 v6, v6, 23, v13
	v_or3_b32 v13, v10, v6, v7
.LBB386_658:
	s_or_b64 exec, exec, s[8:9]
.LBB386_659:
	s_or_b64 exec, exec, s[6:7]
.LBB386_660:
	s_or_b64 exec, exec, s[4:5]
	s_movk_i32 s3, 0xff
	v_and_b32_sdwa v7, v8, s3 dst_sel:DWORD dst_unused:UNUSED_PAD src0_sel:WORD_1 src1_sel:DWORD
	v_lshrrev_b32_e32 v6, 16, v8
	v_cmp_ne_u16_e32 vcc, 0, v7
	s_and_saveexec_b64 s[4:5], vcc
	s_cbranch_execz .LBB386_666
; %bb.661:
	s_movk_i32 s3, 0x80
	v_cmp_ne_u16_e32 vcc, s3, v7
	v_bfrev_b32_e32 v11, 1
	s_and_saveexec_b64 s[6:7], vcc
	s_cbranch_execz .LBB386_665
; %bb.662:
	v_bfe_u32 v7, v8, 16, 7
	s_movk_i32 s3, 0x7f
	v_cmp_ne_u32_e32 vcc, s3, v7
	v_mov_b32_e32 v11, 0x7f800001
	s_and_saveexec_b64 s[8:9], vcc
	s_cbranch_execz .LBB386_664
; %bb.663:
	v_and_b32_e32 v16, 7, v6
	v_ffbh_u32_e32 v10, v16
	v_min_u32_e32 v18, 32, v10
	v_subrev_u32_e32 v10, 28, v18
	v_lshlrev_b64 v[10:11], v10, v[6:7]
	v_and_b32_e32 v10, 7, v10
	v_cmp_gt_u32_e32 vcc, 8, v7
	v_lshrrev_b32_e32 v17, 3, v7
	v_sub_u32_e32 v6, 29, v18
	v_cndmask_b32_e32 v7, v16, v10, vcc
	v_mov_b32_e32 v10, 24
	v_cndmask_b32_e32 v6, v17, v6, vcc
	v_lshlrev_b32_sdwa v10, v10, v8 dst_sel:DWORD dst_unused:UNUSED_PAD src0_sel:DWORD src1_sel:WORD_1
	v_bfrev_b32_e32 v11, 60
	v_lshlrev_b32_e32 v7, 20, v7
	v_and_b32_e32 v10, 0x80000000, v10
	v_lshl_add_u32 v6, v6, 23, v11
	v_or3_b32 v11, v10, v6, v7
.LBB386_664:
	s_or_b64 exec, exec, s[8:9]
.LBB386_665:
	s_or_b64 exec, exec, s[6:7]
.LBB386_666:
	s_or_b64 exec, exec, s[4:5]
	s_mov_b32 s3, 0xffffff
	v_cmp_lt_u32_e32 vcc, s3, v8
	v_mov_b32_e32 v7, 0
	v_mov_b32_e32 v16, 0
	s_and_saveexec_b64 s[4:5], vcc
	s_cbranch_execz .LBB386_672
; %bb.667:
	v_lshrrev_b32_e32 v6, 24, v8
	s_movk_i32 s3, 0x80
	v_cmp_ne_u32_e32 vcc, s3, v6
	v_bfrev_b32_e32 v16, 1
	s_and_saveexec_b64 s[6:7], vcc
	s_cbranch_execz .LBB386_671
; %bb.668:
	v_bfe_u32 v10, v8, 24, 7
	s_movk_i32 s3, 0x7f
	v_cmp_ne_u32_e32 vcc, s3, v10
	v_mov_b32_e32 v16, 0x7f800001
	s_and_saveexec_b64 s[8:9], vcc
	s_cbranch_execz .LBB386_670
; %bb.669:
	v_and_b32_e32 v18, 7, v6
	v_ffbh_u32_e32 v16, v18
	v_min_u32_e32 v20, 32, v16
	v_subrev_u32_e32 v16, 28, v20
	v_lshlrev_b64 v[16:17], v16, v[6:7]
	v_lshrrev_b32_e32 v19, 3, v10
	v_sub_u32_e32 v17, 29, v20
	v_and_b32_e32 v16, 7, v16
	v_cmp_gt_u32_e32 vcc, 8, v10
	v_cndmask_b32_e32 v10, v19, v17, vcc
	v_cndmask_b32_e32 v16, v18, v16, vcc
	v_lshlrev_b32_e32 v6, 24, v6
	v_bfrev_b32_e32 v17, 60
	v_lshlrev_b32_e32 v16, 20, v16
	v_and_b32_e32 v6, 0x80000000, v6
	v_lshl_add_u32 v10, v10, 23, v17
	v_or3_b32 v16, v6, v10, v16
.LBB386_670:
	s_or_b64 exec, exec, s[8:9]
.LBB386_671:
	s_or_b64 exec, exec, s[6:7]
.LBB386_672:
	s_or_b64 exec, exec, s[4:5]
	v_mov_b32_e32 v6, v9
	v_cmp_ne_u16_sdwa s[6:7], v9, v7 src0_sel:BYTE_0 src1_sel:DWORD
	s_and_saveexec_b64 s[4:5], s[6:7]
	s_cbranch_execz .LBB386_678
; %bb.673:
	s_movk_i32 s3, 0x80
	v_cmp_ne_u16_sdwa s[8:9], v9, s3 src0_sel:BYTE_0 src1_sel:DWORD
	v_bfrev_b32_e32 v10, 1
	s_and_saveexec_b64 s[6:7], s[8:9]
	s_cbranch_execz .LBB386_677
; %bb.674:
	s_movk_i32 s3, 0x7f
	v_and_b32_e32 v17, 0x7f, v9
	v_cmp_ne_u32_e32 vcc, s3, v17
	v_mov_b32_e32 v10, 0x7f800001
	s_and_saveexec_b64 s[8:9], vcc
	s_cbranch_execz .LBB386_676
; %bb.675:
	v_and_b32_e32 v10, 7, v9
	v_ffbh_u32_e32 v10, v10
	v_min_u32_e32 v10, 32, v10
	v_subrev_u32_e32 v19, 28, v10
	v_cmp_gt_u32_e32 vcc, 8, v17
	v_lshrrev_b32_e32 v18, 3, v17
	v_sub_u32_e32 v10, 29, v10
	v_cndmask_b32_e32 v17, 0, v19, vcc
	v_cndmask_b32_e32 v10, v18, v10, vcc
	v_lshlrev_b64 v[18:19], v17, v[6:7]
	v_lshlrev_b32_e32 v7, 20, v18
	v_lshlrev_b32_e32 v17, 24, v6
	v_bfrev_b32_e32 v18, 60
	v_and_b32_e32 v7, 0x700000, v7
	v_and_b32_e32 v17, 0x80000000, v17
	v_lshl_add_u32 v10, v10, 23, v18
	v_or3_b32 v10, v17, v10, v7
.LBB386_676:
	s_or_b64 exec, exec, s[8:9]
.LBB386_677:
	s_or_b64 exec, exec, s[6:7]
	v_mov_b32_e32 v7, v10
.LBB386_678:
	s_or_b64 exec, exec, s[4:5]
	v_lshrrev_b16_e32 v10, 8, v6
	v_cmp_ne_u16_e32 vcc, 0, v10
	v_mov_b32_e32 v17, 0
	v_mov_b32_e32 v18, 0
	s_and_saveexec_b64 s[4:5], vcc
	s_cbranch_execz .LBB386_684
; %bb.679:
	s_movk_i32 s3, 0x80
	v_cmp_ne_u16_e32 vcc, s3, v10
	v_bfrev_b32_e32 v18, 1
	s_and_saveexec_b64 s[6:7], vcc
	s_cbranch_execz .LBB386_683
; %bb.680:
	s_movk_i32 s3, 0x7f
	v_and_b32_e32 v19, 0x7f, v10
	v_cmp_ne_u32_e32 vcc, s3, v19
	v_mov_b32_e32 v18, 0x7f800001
	s_and_saveexec_b64 s[8:9], vcc
	s_cbranch_execz .LBB386_682
; %bb.681:
	v_and_b32_e32 v18, 7, v10
	v_ffbh_u32_e32 v20, v18
	v_min_u32_e32 v23, 32, v20
	v_subrev_u32_e32 v20, 28, v23
	v_lshlrev_b64 v[20:21], v20, v[10:11]
	v_lshrrev_b32_e32 v22, 3, v19
	v_sub_u32_e32 v10, 29, v23
	v_and_b32_e32 v20, 7, v20
	v_cmp_gt_u32_e32 vcc, 8, v19
	v_cndmask_b32_e32 v10, v22, v10, vcc
	v_cndmask_b32_e32 v18, v18, v20, vcc
	v_lshlrev_b32_e32 v6, 16, v6
	v_bfrev_b32_e32 v19, 60
	v_lshlrev_b32_e32 v18, 20, v18
	v_and_b32_e32 v6, 0x80000000, v6
	v_lshl_add_u32 v10, v10, 23, v19
	v_or3_b32 v18, v6, v10, v18
.LBB386_682:
	s_or_b64 exec, exec, s[8:9]
.LBB386_683:
	s_or_b64 exec, exec, s[6:7]
.LBB386_684:
	s_or_b64 exec, exec, s[4:5]
	s_movk_i32 s3, 0xff
	v_and_b32_sdwa v10, v9, s3 dst_sel:DWORD dst_unused:UNUSED_PAD src0_sel:WORD_1 src1_sel:DWORD
	v_lshrrev_b32_e32 v6, 16, v9
	v_cmp_ne_u16_e32 vcc, 0, v10
	s_and_saveexec_b64 s[4:5], vcc
	s_cbranch_execz .LBB386_690
; %bb.685:
	s_movk_i32 s3, 0x80
	v_cmp_ne_u16_e32 vcc, s3, v10
	v_bfrev_b32_e32 v17, 1
	s_and_saveexec_b64 s[6:7], vcc
	s_cbranch_execz .LBB386_689
; %bb.686:
	v_bfe_u32 v10, v9, 16, 7
	s_movk_i32 s3, 0x7f
	v_cmp_ne_u32_e32 vcc, s3, v10
	v_mov_b32_e32 v17, 0x7f800001
	s_and_saveexec_b64 s[8:9], vcc
	s_cbranch_execz .LBB386_688
; %bb.687:
	v_and_b32_e32 v17, 7, v6
	v_ffbh_u32_e32 v20, v17
	v_min_u32_e32 v22, 32, v20
	v_subrev_u32_e32 v20, 28, v22
	v_lshlrev_b64 v[20:21], v20, v[6:7]
	v_and_b32_e32 v20, 7, v20
	v_cmp_gt_u32_e32 vcc, 8, v10
	v_lshrrev_b32_e32 v19, 3, v10
	v_sub_u32_e32 v6, 29, v22
	v_cndmask_b32_e32 v10, v17, v20, vcc
	v_mov_b32_e32 v17, 24
	v_cndmask_b32_e32 v6, v19, v6, vcc
	v_lshlrev_b32_sdwa v17, v17, v9 dst_sel:DWORD dst_unused:UNUSED_PAD src0_sel:DWORD src1_sel:WORD_1
	v_bfrev_b32_e32 v19, 60
	v_lshlrev_b32_e32 v10, 20, v10
	v_and_b32_e32 v17, 0x80000000, v17
	v_lshl_add_u32 v6, v6, 23, v19
	v_or3_b32 v17, v17, v6, v10
.LBB386_688:
	s_or_b64 exec, exec, s[8:9]
.LBB386_689:
	s_or_b64 exec, exec, s[6:7]
.LBB386_690:
	s_or_b64 exec, exec, s[4:5]
	s_mov_b32 s4, -1
	s_mov_b32 s5, 0xffffff
	v_cmp_lt_u64_e32 vcc, s[4:5], v[8:9]
	v_mov_b32_e32 v10, 0
	v_mov_b32_e32 v8, 0
	s_and_saveexec_b64 s[4:5], vcc
	s_cbranch_execz .LBB386_696
; %bb.691:
	v_lshrrev_b32_e32 v6, 24, v9
	s_movk_i32 s3, 0x80
	v_cmp_ne_u32_e32 vcc, s3, v6
	v_bfrev_b32_e32 v8, 1
	s_and_saveexec_b64 s[6:7], vcc
	s_cbranch_execz .LBB386_695
; %bb.692:
	v_bfe_u32 v9, v9, 24, 7
	s_movk_i32 s3, 0x7f
	v_cmp_ne_u32_e32 vcc, s3, v9
	v_mov_b32_e32 v8, 0x7f800001
	s_and_saveexec_b64 s[8:9], vcc
	s_cbranch_execz .LBB386_694
; %bb.693:
	v_and_b32_e32 v8, 7, v6
	v_ffbh_u32_e32 v20, v8
	v_min_u32_e32 v22, 32, v20
	v_subrev_u32_e32 v20, 28, v22
	v_lshlrev_b64 v[20:21], v20, v[6:7]
	v_lshrrev_b32_e32 v19, 3, v9
	v_sub_u32_e32 v21, 29, v22
	v_and_b32_e32 v20, 7, v20
	v_cmp_gt_u32_e32 vcc, 8, v9
	v_cndmask_b32_e32 v9, v19, v21, vcc
	v_cndmask_b32_e32 v8, v8, v20, vcc
	v_lshlrev_b32_e32 v6, 24, v6
	v_bfrev_b32_e32 v19, 60
	v_lshlrev_b32_e32 v8, 20, v8
	v_and_b32_e32 v6, 0x80000000, v6
	v_lshl_add_u32 v9, v9, 23, v19
	v_or3_b32 v8, v6, v9, v8
.LBB386_694:
	s_or_b64 exec, exec, s[8:9]
.LBB386_695:
	s_or_b64 exec, exec, s[6:7]
.LBB386_696:
	s_or_b64 exec, exec, s[4:5]
	v_cvt_pkrtz_f16_f32 v12, v12, v13
	v_cvt_pkrtz_f16_f32 v13, v11, v16
	;; [unrolled: 1-line block ×4, first 2 shown]
	v_mfma_f32_4x4x4f16 a[0:3], v[14:15], v[12:13], a[0:3] cbsz:4 abid:10
	s_waitcnt vmcnt(0)
	v_cmp_ne_u16_sdwa s[6:7], v2, v10 src0_sel:BYTE_0 src1_sel:DWORD
	v_mfma_f32_4x4x4f16 a[0:3], v[14:15], v[6:7], a[0:3] cbsz:4 abid:11
	s_and_saveexec_b64 s[4:5], s[6:7]
	s_cbranch_execz .LBB386_702
; %bb.697:
	s_movk_i32 s3, 0x80
	v_cmp_ne_u16_sdwa s[8:9], v2, s3 src0_sel:BYTE_0 src1_sel:DWORD
	v_bfrev_b32_e32 v10, 1
	s_and_saveexec_b64 s[6:7], s[8:9]
	s_cbranch_execz .LBB386_701
; %bb.698:
	s_movk_i32 s3, 0x7f
	v_and_b32_e32 v6, 0x7f, v2
	v_cmp_ne_u32_e32 vcc, s3, v6
	v_mov_b32_e32 v10, 0x7f800001
	s_and_saveexec_b64 s[8:9], vcc
	s_cbranch_execz .LBB386_700
; %bb.699:
	v_and_b32_e32 v7, 7, v2
	v_ffbh_u32_e32 v7, v7
	v_min_u32_e32 v7, 32, v7
	v_subrev_u32_e32 v9, 28, v7
	v_cmp_gt_u32_e32 vcc, 8, v6
	v_lshrrev_b32_e32 v8, 3, v6
	v_sub_u32_e32 v7, 29, v7
	v_cndmask_b32_e32 v6, 0, v9, vcc
	v_cndmask_b32_e32 v8, v8, v7, vcc
	v_lshlrev_b64 v[6:7], v6, v[2:3]
	v_lshlrev_b32_e32 v6, 20, v6
	v_lshlrev_b32_e32 v7, 24, v2
	v_bfrev_b32_e32 v9, 60
	v_and_b32_e32 v6, 0x700000, v6
	v_and_b32_e32 v7, 0x80000000, v7
	v_lshl_add_u32 v8, v8, 23, v9
	v_or3_b32 v10, v7, v8, v6
.LBB386_700:
	s_or_b64 exec, exec, s[8:9]
.LBB386_701:
	s_or_b64 exec, exec, s[6:7]
.LBB386_702:
	s_or_b64 exec, exec, s[4:5]
	v_lshrrev_b16_e32 v6, 8, v2
	v_cmp_ne_u16_e32 vcc, 0, v6
	v_mov_b32_e32 v9, 0
	v_mov_b32_e32 v11, 0
	s_and_saveexec_b64 s[4:5], vcc
	s_cbranch_execz .LBB386_708
; %bb.703:
	s_movk_i32 s3, 0x80
	v_cmp_ne_u16_e32 vcc, s3, v6
	v_bfrev_b32_e32 v11, 1
	s_and_saveexec_b64 s[6:7], vcc
	s_cbranch_execz .LBB386_707
; %bb.704:
	s_movk_i32 s3, 0x7f
	v_and_b32_e32 v7, 0x7f, v6
	v_cmp_ne_u32_e32 vcc, s3, v7
	v_mov_b32_e32 v11, 0x7f800001
	s_and_saveexec_b64 s[8:9], vcc
	s_cbranch_execz .LBB386_706
; %bb.705:
	v_and_b32_e32 v8, 7, v6
	v_ffbh_u32_e32 v12, v8
	v_min_u32_e32 v16, 32, v12
	v_subrev_u32_e32 v12, 28, v16
	v_lshlrev_b64 v[12:13], v12, v[6:7]
	v_lshrrev_b32_e32 v11, 3, v7
	v_sub_u32_e32 v6, 29, v16
	v_and_b32_e32 v12, 7, v12
	v_cmp_gt_u32_e32 vcc, 8, v7
	v_cndmask_b32_e32 v6, v11, v6, vcc
	v_cndmask_b32_e32 v7, v8, v12, vcc
	v_lshlrev_b32_e32 v8, 16, v2
	v_bfrev_b32_e32 v11, 60
	v_lshlrev_b32_e32 v7, 20, v7
	v_and_b32_e32 v8, 0x80000000, v8
	v_lshl_add_u32 v6, v6, 23, v11
	v_or3_b32 v11, v8, v6, v7
.LBB386_706:
	s_or_b64 exec, exec, s[8:9]
.LBB386_707:
	s_or_b64 exec, exec, s[6:7]
.LBB386_708:
	s_or_b64 exec, exec, s[4:5]
	s_movk_i32 s3, 0xff
	v_and_b32_sdwa v7, v2, s3 dst_sel:DWORD dst_unused:UNUSED_PAD src0_sel:WORD_1 src1_sel:DWORD
	v_lshrrev_b32_e32 v6, 16, v2
	v_cmp_ne_u16_e32 vcc, 0, v7
	s_and_saveexec_b64 s[4:5], vcc
	s_cbranch_execz .LBB386_714
; %bb.709:
	s_movk_i32 s3, 0x80
	v_cmp_ne_u16_e32 vcc, s3, v7
	v_bfrev_b32_e32 v9, 1
	s_and_saveexec_b64 s[6:7], vcc
	s_cbranch_execz .LBB386_713
; %bb.710:
	v_bfe_u32 v7, v2, 16, 7
	s_movk_i32 s3, 0x7f
	v_cmp_ne_u32_e32 vcc, s3, v7
	v_mov_b32_e32 v9, 0x7f800001
	s_and_saveexec_b64 s[8:9], vcc
	s_cbranch_execz .LBB386_712
; %bb.711:
	v_and_b32_e32 v12, 7, v6
	v_ffbh_u32_e32 v8, v12
	v_min_u32_e32 v16, 32, v8
	v_subrev_u32_e32 v8, 28, v16
	v_lshlrev_b64 v[8:9], v8, v[6:7]
	v_and_b32_e32 v8, 7, v8
	v_cmp_gt_u32_e32 vcc, 8, v7
	v_lshrrev_b32_e32 v13, 3, v7
	v_sub_u32_e32 v6, 29, v16
	v_cndmask_b32_e32 v7, v12, v8, vcc
	v_mov_b32_e32 v8, 24
	v_cndmask_b32_e32 v6, v13, v6, vcc
	v_lshlrev_b32_sdwa v8, v8, v2 dst_sel:DWORD dst_unused:UNUSED_PAD src0_sel:DWORD src1_sel:WORD_1
	v_bfrev_b32_e32 v9, 60
	v_lshlrev_b32_e32 v7, 20, v7
	v_and_b32_e32 v8, 0x80000000, v8
	v_lshl_add_u32 v6, v6, 23, v9
	v_or3_b32 v9, v8, v6, v7
.LBB386_712:
	s_or_b64 exec, exec, s[8:9]
.LBB386_713:
	s_or_b64 exec, exec, s[6:7]
.LBB386_714:
	s_or_b64 exec, exec, s[4:5]
	s_mov_b32 s3, 0xffffff
	v_cmp_lt_u32_e32 vcc, s3, v2
	v_mov_b32_e32 v7, 0
	v_mov_b32_e32 v12, 0
	s_and_saveexec_b64 s[4:5], vcc
	s_cbranch_execz .LBB386_720
; %bb.715:
	v_lshrrev_b32_e32 v6, 24, v2
	s_movk_i32 s3, 0x80
	v_cmp_ne_u32_e32 vcc, s3, v6
	v_bfrev_b32_e32 v12, 1
	s_and_saveexec_b64 s[6:7], vcc
	s_cbranch_execz .LBB386_719
; %bb.716:
	v_bfe_u32 v8, v2, 24, 7
	s_movk_i32 s3, 0x7f
	v_cmp_ne_u32_e32 vcc, s3, v8
	v_mov_b32_e32 v12, 0x7f800001
	s_and_saveexec_b64 s[8:9], vcc
	s_cbranch_execz .LBB386_718
; %bb.717:
	v_and_b32_e32 v16, 7, v6
	v_ffbh_u32_e32 v12, v16
	v_min_u32_e32 v18, 32, v12
	v_subrev_u32_e32 v12, 28, v18
	v_lshlrev_b64 v[12:13], v12, v[6:7]
	v_lshrrev_b32_e32 v17, 3, v8
	v_sub_u32_e32 v13, 29, v18
	v_and_b32_e32 v12, 7, v12
	v_cmp_gt_u32_e32 vcc, 8, v8
	v_cndmask_b32_e32 v8, v17, v13, vcc
	v_cndmask_b32_e32 v12, v16, v12, vcc
	v_lshlrev_b32_e32 v6, 24, v6
	v_bfrev_b32_e32 v13, 60
	v_lshlrev_b32_e32 v12, 20, v12
	v_and_b32_e32 v6, 0x80000000, v6
	v_lshl_add_u32 v8, v8, 23, v13
	v_or3_b32 v12, v6, v8, v12
.LBB386_718:
	s_or_b64 exec, exec, s[8:9]
.LBB386_719:
	s_or_b64 exec, exec, s[6:7]
.LBB386_720:
	s_or_b64 exec, exec, s[4:5]
	v_mov_b32_e32 v6, v3
	v_cmp_ne_u16_sdwa s[6:7], v3, v7 src0_sel:BYTE_0 src1_sel:DWORD
	s_and_saveexec_b64 s[4:5], s[6:7]
	s_cbranch_execz .LBB386_726
; %bb.721:
	s_movk_i32 s3, 0x80
	v_cmp_ne_u16_sdwa s[8:9], v3, s3 src0_sel:BYTE_0 src1_sel:DWORD
	v_bfrev_b32_e32 v8, 1
	s_and_saveexec_b64 s[6:7], s[8:9]
	s_cbranch_execz .LBB386_725
; %bb.722:
	s_movk_i32 s3, 0x7f
	v_and_b32_e32 v13, 0x7f, v3
	v_cmp_ne_u32_e32 vcc, s3, v13
	v_mov_b32_e32 v8, 0x7f800001
	s_and_saveexec_b64 s[8:9], vcc
	s_cbranch_execz .LBB386_724
; %bb.723:
	v_and_b32_e32 v8, 7, v3
	v_ffbh_u32_e32 v8, v8
	v_min_u32_e32 v8, 32, v8
	v_subrev_u32_e32 v17, 28, v8
	v_cmp_gt_u32_e32 vcc, 8, v13
	v_lshrrev_b32_e32 v16, 3, v13
	v_sub_u32_e32 v8, 29, v8
	v_cndmask_b32_e32 v13, 0, v17, vcc
	v_cndmask_b32_e32 v8, v16, v8, vcc
	v_lshlrev_b64 v[16:17], v13, v[6:7]
	v_lshlrev_b32_e32 v7, 20, v16
	v_lshlrev_b32_e32 v13, 24, v6
	v_bfrev_b32_e32 v16, 60
	v_and_b32_e32 v7, 0x700000, v7
	v_and_b32_e32 v13, 0x80000000, v13
	v_lshl_add_u32 v8, v8, 23, v16
	v_or3_b32 v8, v13, v8, v7
.LBB386_724:
	s_or_b64 exec, exec, s[8:9]
.LBB386_725:
	s_or_b64 exec, exec, s[6:7]
	v_mov_b32_e32 v7, v8
.LBB386_726:
	s_or_b64 exec, exec, s[4:5]
	v_lshrrev_b16_e32 v8, 8, v6
	v_cmp_ne_u16_e32 vcc, 0, v8
	v_mov_b32_e32 v13, 0
	v_mov_b32_e32 v16, 0
	s_and_saveexec_b64 s[4:5], vcc
	s_cbranch_execz .LBB386_732
; %bb.727:
	s_movk_i32 s3, 0x80
	v_cmp_ne_u16_e32 vcc, s3, v8
	v_bfrev_b32_e32 v16, 1
	s_and_saveexec_b64 s[6:7], vcc
	s_cbranch_execz .LBB386_731
; %bb.728:
	s_movk_i32 s3, 0x7f
	v_and_b32_e32 v17, 0x7f, v8
	v_cmp_ne_u32_e32 vcc, s3, v17
	v_mov_b32_e32 v16, 0x7f800001
	s_and_saveexec_b64 s[8:9], vcc
	s_cbranch_execz .LBB386_730
; %bb.729:
	v_and_b32_e32 v16, 7, v8
	v_ffbh_u32_e32 v18, v16
	v_min_u32_e32 v21, 32, v18
	v_subrev_u32_e32 v18, 28, v21
	v_lshlrev_b64 v[18:19], v18, v[8:9]
	v_lshrrev_b32_e32 v20, 3, v17
	v_sub_u32_e32 v8, 29, v21
	v_and_b32_e32 v18, 7, v18
	v_cmp_gt_u32_e32 vcc, 8, v17
	v_cndmask_b32_e32 v8, v20, v8, vcc
	v_cndmask_b32_e32 v16, v16, v18, vcc
	v_lshlrev_b32_e32 v6, 16, v6
	v_bfrev_b32_e32 v17, 60
	v_lshlrev_b32_e32 v16, 20, v16
	v_and_b32_e32 v6, 0x80000000, v6
	v_lshl_add_u32 v8, v8, 23, v17
	v_or3_b32 v16, v6, v8, v16
.LBB386_730:
	s_or_b64 exec, exec, s[8:9]
.LBB386_731:
	s_or_b64 exec, exec, s[6:7]
.LBB386_732:
	s_or_b64 exec, exec, s[4:5]
	s_movk_i32 s3, 0xff
	v_and_b32_sdwa v8, v3, s3 dst_sel:DWORD dst_unused:UNUSED_PAD src0_sel:WORD_1 src1_sel:DWORD
	v_lshrrev_b32_e32 v6, 16, v3
	v_cmp_ne_u16_e32 vcc, 0, v8
	s_and_saveexec_b64 s[4:5], vcc
	s_cbranch_execz .LBB386_738
; %bb.733:
	s_movk_i32 s3, 0x80
	v_cmp_ne_u16_e32 vcc, s3, v8
	v_bfrev_b32_e32 v13, 1
	s_and_saveexec_b64 s[6:7], vcc
	s_cbranch_execz .LBB386_737
; %bb.734:
	v_bfe_u32 v8, v3, 16, 7
	s_movk_i32 s3, 0x7f
	v_cmp_ne_u32_e32 vcc, s3, v8
	v_mov_b32_e32 v13, 0x7f800001
	s_and_saveexec_b64 s[8:9], vcc
	s_cbranch_execz .LBB386_736
; %bb.735:
	v_and_b32_e32 v13, 7, v6
	v_ffbh_u32_e32 v18, v13
	v_min_u32_e32 v20, 32, v18
	v_subrev_u32_e32 v18, 28, v20
	v_lshlrev_b64 v[18:19], v18, v[6:7]
	v_and_b32_e32 v18, 7, v18
	v_cmp_gt_u32_e32 vcc, 8, v8
	v_lshrrev_b32_e32 v17, 3, v8
	v_sub_u32_e32 v6, 29, v20
	v_cndmask_b32_e32 v8, v13, v18, vcc
	v_mov_b32_e32 v13, 24
	v_cndmask_b32_e32 v6, v17, v6, vcc
	v_lshlrev_b32_sdwa v13, v13, v3 dst_sel:DWORD dst_unused:UNUSED_PAD src0_sel:DWORD src1_sel:WORD_1
	v_bfrev_b32_e32 v17, 60
	v_lshlrev_b32_e32 v8, 20, v8
	v_and_b32_e32 v13, 0x80000000, v13
	v_lshl_add_u32 v6, v6, 23, v17
	v_or3_b32 v13, v13, v6, v8
.LBB386_736:
	s_or_b64 exec, exec, s[8:9]
.LBB386_737:
	s_or_b64 exec, exec, s[6:7]
.LBB386_738:
	s_or_b64 exec, exec, s[4:5]
	s_mov_b32 s4, -1
	s_mov_b32 s5, 0xffffff
	v_cmp_lt_u64_e32 vcc, s[4:5], v[2:3]
	v_mov_b32_e32 v8, 0
	v_mov_b32_e32 v6, 0
	s_and_saveexec_b64 s[4:5], vcc
	s_cbranch_execz .LBB386_744
; %bb.739:
	v_lshrrev_b32_e32 v2, 24, v3
	s_movk_i32 s3, 0x80
	v_cmp_ne_u32_e32 vcc, s3, v2
	v_bfrev_b32_e32 v6, 1
	s_and_saveexec_b64 s[6:7], vcc
	s_cbranch_execz .LBB386_743
; %bb.740:
	v_bfe_u32 v3, v3, 24, 7
	s_movk_i32 s3, 0x7f
	v_cmp_ne_u32_e32 vcc, s3, v3
	v_mov_b32_e32 v6, 0x7f800001
	s_and_saveexec_b64 s[8:9], vcc
	s_cbranch_execz .LBB386_742
; %bb.741:
	v_and_b32_e32 v6, 7, v2
	v_ffbh_u32_e32 v18, v6
	v_min_u32_e32 v20, 32, v18
	v_subrev_u32_e32 v18, 28, v20
	v_lshlrev_b64 v[18:19], v18, v[2:3]
	v_lshrrev_b32_e32 v17, 3, v3
	v_sub_u32_e32 v19, 29, v20
	v_and_b32_e32 v18, 7, v18
	v_cmp_gt_u32_e32 vcc, 8, v3
	v_cndmask_b32_e32 v3, v17, v19, vcc
	v_cndmask_b32_e32 v6, v6, v18, vcc
	v_lshlrev_b32_e32 v2, 24, v2
	v_bfrev_b32_e32 v17, 60
	v_lshlrev_b32_e32 v6, 20, v6
	v_and_b32_e32 v2, 0x80000000, v2
	v_lshl_add_u32 v3, v3, 23, v17
	v_or3_b32 v6, v2, v3, v6
.LBB386_742:
	s_or_b64 exec, exec, s[8:9]
.LBB386_743:
	s_or_b64 exec, exec, s[6:7]
.LBB386_744:
	s_or_b64 exec, exec, s[4:5]
	v_cvt_pkrtz_f16_f32 v2, v10, v11
	v_cvt_pkrtz_f16_f32 v3, v9, v12
	;; [unrolled: 1-line block ×4, first 2 shown]
	v_mfma_f32_4x4x4f16 a[0:3], v[14:15], v[2:3], a[0:3] cbsz:4 abid:12
	v_cmp_ne_u16_sdwa s[6:7], v4, v8 src0_sel:BYTE_0 src1_sel:DWORD
	v_mfma_f32_4x4x4f16 a[0:3], v[14:15], v[10:11], a[0:3] cbsz:4 abid:13
	s_and_saveexec_b64 s[4:5], s[6:7]
	s_cbranch_execz .LBB386_750
; %bb.745:
	s_movk_i32 s3, 0x80
	v_cmp_ne_u16_sdwa s[8:9], v4, s3 src0_sel:BYTE_0 src1_sel:DWORD
	v_bfrev_b32_e32 v8, 1
	s_and_saveexec_b64 s[6:7], s[8:9]
	s_cbranch_execz .LBB386_749
; %bb.746:
	s_movk_i32 s3, 0x7f
	v_and_b32_e32 v2, 0x7f, v4
	v_cmp_ne_u32_e32 vcc, s3, v2
	v_mov_b32_e32 v8, 0x7f800001
	s_and_saveexec_b64 s[8:9], vcc
	s_cbranch_execz .LBB386_748
; %bb.747:
	v_and_b32_e32 v3, 7, v4
	v_ffbh_u32_e32 v3, v3
	v_min_u32_e32 v3, 32, v3
	v_subrev_u32_e32 v7, 28, v3
	v_cmp_gt_u32_e32 vcc, 8, v2
	v_lshrrev_b32_e32 v6, 3, v2
	v_sub_u32_e32 v3, 29, v3
	v_cndmask_b32_e32 v2, 0, v7, vcc
	v_cndmask_b32_e32 v6, v6, v3, vcc
	v_lshlrev_b64 v[2:3], v2, v[4:5]
	v_lshlrev_b32_e32 v2, 20, v2
	v_lshlrev_b32_e32 v3, 24, v4
	v_bfrev_b32_e32 v7, 60
	v_and_b32_e32 v2, 0x700000, v2
	v_and_b32_e32 v3, 0x80000000, v3
	v_lshl_add_u32 v6, v6, 23, v7
	v_or3_b32 v8, v3, v6, v2
.LBB386_748:
	s_or_b64 exec, exec, s[8:9]
.LBB386_749:
	s_or_b64 exec, exec, s[6:7]
.LBB386_750:
	s_or_b64 exec, exec, s[4:5]
	v_lshrrev_b16_e32 v2, 8, v4
	v_cmp_ne_u16_e32 vcc, 0, v2
	v_mov_b32_e32 v7, 0
	v_mov_b32_e32 v9, 0
	s_and_saveexec_b64 s[4:5], vcc
	s_cbranch_execz .LBB386_756
; %bb.751:
	s_movk_i32 s3, 0x80
	v_cmp_ne_u16_e32 vcc, s3, v2
	v_bfrev_b32_e32 v9, 1
	s_and_saveexec_b64 s[6:7], vcc
	s_cbranch_execz .LBB386_755
; %bb.752:
	s_movk_i32 s3, 0x7f
	v_and_b32_e32 v3, 0x7f, v2
	v_cmp_ne_u32_e32 vcc, s3, v3
	v_mov_b32_e32 v9, 0x7f800001
	s_and_saveexec_b64 s[8:9], vcc
	s_cbranch_execz .LBB386_754
; %bb.753:
	v_and_b32_e32 v6, 7, v2
	v_ffbh_u32_e32 v10, v6
	v_min_u32_e32 v12, 32, v10
	v_subrev_u32_e32 v10, 28, v12
	v_lshlrev_b64 v[10:11], v10, v[2:3]
	v_lshrrev_b32_e32 v9, 3, v3
	v_sub_u32_e32 v2, 29, v12
	v_and_b32_e32 v10, 7, v10
	v_cmp_gt_u32_e32 vcc, 8, v3
	v_cndmask_b32_e32 v2, v9, v2, vcc
	v_cndmask_b32_e32 v3, v6, v10, vcc
	v_lshlrev_b32_e32 v6, 16, v4
	v_bfrev_b32_e32 v9, 60
	v_lshlrev_b32_e32 v3, 20, v3
	v_and_b32_e32 v6, 0x80000000, v6
	v_lshl_add_u32 v2, v2, 23, v9
	v_or3_b32 v9, v6, v2, v3
.LBB386_754:
	s_or_b64 exec, exec, s[8:9]
.LBB386_755:
	s_or_b64 exec, exec, s[6:7]
.LBB386_756:
	s_or_b64 exec, exec, s[4:5]
	s_movk_i32 s3, 0xff
	v_and_b32_sdwa v3, v4, s3 dst_sel:DWORD dst_unused:UNUSED_PAD src0_sel:WORD_1 src1_sel:DWORD
	v_lshrrev_b32_e32 v2, 16, v4
	v_cmp_ne_u16_e32 vcc, 0, v3
	s_and_saveexec_b64 s[4:5], vcc
	s_cbranch_execz .LBB386_762
; %bb.757:
	s_movk_i32 s3, 0x80
	v_cmp_ne_u16_e32 vcc, s3, v3
	v_bfrev_b32_e32 v7, 1
	s_and_saveexec_b64 s[6:7], vcc
	s_cbranch_execz .LBB386_761
; %bb.758:
	v_bfe_u32 v3, v4, 16, 7
	s_movk_i32 s3, 0x7f
	v_cmp_ne_u32_e32 vcc, s3, v3
	v_mov_b32_e32 v7, 0x7f800001
	s_and_saveexec_b64 s[8:9], vcc
	s_cbranch_execz .LBB386_760
; %bb.759:
	v_and_b32_e32 v10, 7, v2
	v_ffbh_u32_e32 v6, v10
	v_min_u32_e32 v12, 32, v6
	v_subrev_u32_e32 v6, 28, v12
	v_lshlrev_b64 v[6:7], v6, v[2:3]
	v_and_b32_e32 v6, 7, v6
	v_cmp_gt_u32_e32 vcc, 8, v3
	v_lshrrev_b32_e32 v11, 3, v3
	v_sub_u32_e32 v2, 29, v12
	v_cndmask_b32_e32 v3, v10, v6, vcc
	v_mov_b32_e32 v6, 24
	v_cndmask_b32_e32 v2, v11, v2, vcc
	v_lshlrev_b32_sdwa v6, v6, v4 dst_sel:DWORD dst_unused:UNUSED_PAD src0_sel:DWORD src1_sel:WORD_1
	v_bfrev_b32_e32 v7, 60
	v_lshlrev_b32_e32 v3, 20, v3
	v_and_b32_e32 v6, 0x80000000, v6
	v_lshl_add_u32 v2, v2, 23, v7
	v_or3_b32 v7, v6, v2, v3
.LBB386_760:
	s_or_b64 exec, exec, s[8:9]
.LBB386_761:
	s_or_b64 exec, exec, s[6:7]
.LBB386_762:
	s_or_b64 exec, exec, s[4:5]
	s_mov_b32 s3, 0xffffff
	v_cmp_lt_u32_e32 vcc, s3, v4
	v_mov_b32_e32 v3, 0
	v_mov_b32_e32 v10, 0
	s_and_saveexec_b64 s[4:5], vcc
	s_cbranch_execz .LBB386_768
; %bb.763:
	v_lshrrev_b32_e32 v2, 24, v4
	s_movk_i32 s3, 0x80
	v_cmp_ne_u32_e32 vcc, s3, v2
	v_bfrev_b32_e32 v10, 1
	s_and_saveexec_b64 s[6:7], vcc
	s_cbranch_execz .LBB386_767
; %bb.764:
	v_bfe_u32 v6, v4, 24, 7
	s_movk_i32 s3, 0x7f
	v_cmp_ne_u32_e32 vcc, s3, v6
	v_mov_b32_e32 v10, 0x7f800001
	s_and_saveexec_b64 s[8:9], vcc
	s_cbranch_execz .LBB386_766
; %bb.765:
	v_and_b32_e32 v12, 7, v2
	v_ffbh_u32_e32 v10, v12
	v_min_u32_e32 v16, 32, v10
	v_subrev_u32_e32 v10, 28, v16
	v_lshlrev_b64 v[10:11], v10, v[2:3]
	v_lshrrev_b32_e32 v13, 3, v6
	v_sub_u32_e32 v11, 29, v16
	v_and_b32_e32 v10, 7, v10
	v_cmp_gt_u32_e32 vcc, 8, v6
	v_cndmask_b32_e32 v6, v13, v11, vcc
	v_cndmask_b32_e32 v10, v12, v10, vcc
	v_lshlrev_b32_e32 v2, 24, v2
	v_bfrev_b32_e32 v11, 60
	v_lshlrev_b32_e32 v10, 20, v10
	v_and_b32_e32 v2, 0x80000000, v2
	v_lshl_add_u32 v6, v6, 23, v11
	v_or3_b32 v10, v2, v6, v10
.LBB386_766:
	s_or_b64 exec, exec, s[8:9]
.LBB386_767:
	s_or_b64 exec, exec, s[6:7]
.LBB386_768:
	s_or_b64 exec, exec, s[4:5]
	v_mov_b32_e32 v2, v5
	v_cmp_ne_u16_sdwa s[6:7], v5, v3 src0_sel:BYTE_0 src1_sel:DWORD
	s_and_saveexec_b64 s[4:5], s[6:7]
	s_cbranch_execz .LBB386_774
; %bb.769:
	s_movk_i32 s3, 0x80
	v_cmp_ne_u16_sdwa s[8:9], v5, s3 src0_sel:BYTE_0 src1_sel:DWORD
	v_bfrev_b32_e32 v6, 1
	s_and_saveexec_b64 s[6:7], s[8:9]
	s_cbranch_execz .LBB386_773
; %bb.770:
	s_movk_i32 s3, 0x7f
	v_and_b32_e32 v11, 0x7f, v5
	v_cmp_ne_u32_e32 vcc, s3, v11
	v_mov_b32_e32 v6, 0x7f800001
	s_and_saveexec_b64 s[8:9], vcc
	s_cbranch_execz .LBB386_772
; %bb.771:
	v_and_b32_e32 v6, 7, v5
	v_ffbh_u32_e32 v6, v6
	v_min_u32_e32 v6, 32, v6
	v_subrev_u32_e32 v13, 28, v6
	v_cmp_gt_u32_e32 vcc, 8, v11
	v_lshrrev_b32_e32 v12, 3, v11
	v_sub_u32_e32 v6, 29, v6
	v_cndmask_b32_e32 v11, 0, v13, vcc
	v_cndmask_b32_e32 v6, v12, v6, vcc
	v_lshlrev_b64 v[12:13], v11, v[2:3]
	v_lshlrev_b32_e32 v3, 20, v12
	v_lshlrev_b32_e32 v11, 24, v2
	v_bfrev_b32_e32 v12, 60
	v_and_b32_e32 v3, 0x700000, v3
	v_and_b32_e32 v11, 0x80000000, v11
	v_lshl_add_u32 v6, v6, 23, v12
	v_or3_b32 v6, v11, v6, v3
.LBB386_772:
	s_or_b64 exec, exec, s[8:9]
.LBB386_773:
	s_or_b64 exec, exec, s[6:7]
	v_mov_b32_e32 v3, v6
.LBB386_774:
	s_or_b64 exec, exec, s[4:5]
	v_lshrrev_b16_e32 v6, 8, v2
	v_cmp_ne_u16_e32 vcc, 0, v6
	v_mov_b32_e32 v11, 0
	v_mov_b32_e32 v12, 0
	s_and_saveexec_b64 s[4:5], vcc
	s_cbranch_execz .LBB386_780
; %bb.775:
	s_movk_i32 s3, 0x80
	v_cmp_ne_u16_e32 vcc, s3, v6
	v_bfrev_b32_e32 v12, 1
	s_and_saveexec_b64 s[6:7], vcc
	s_cbranch_execz .LBB386_779
; %bb.776:
	s_movk_i32 s3, 0x7f
	v_and_b32_e32 v13, 0x7f, v6
	v_cmp_ne_u32_e32 vcc, s3, v13
	v_mov_b32_e32 v12, 0x7f800001
	s_and_saveexec_b64 s[8:9], vcc
	s_cbranch_execz .LBB386_778
; %bb.777:
	v_and_b32_e32 v12, 7, v6
	v_ffbh_u32_e32 v16, v12
	v_min_u32_e32 v19, 32, v16
	v_subrev_u32_e32 v16, 28, v19
	v_lshlrev_b64 v[16:17], v16, v[6:7]
	v_lshrrev_b32_e32 v18, 3, v13
	v_sub_u32_e32 v6, 29, v19
	v_and_b32_e32 v16, 7, v16
	v_cmp_gt_u32_e32 vcc, 8, v13
	v_cndmask_b32_e32 v6, v18, v6, vcc
	v_cndmask_b32_e32 v12, v12, v16, vcc
	v_lshlrev_b32_e32 v2, 16, v2
	v_bfrev_b32_e32 v13, 60
	v_lshlrev_b32_e32 v12, 20, v12
	v_and_b32_e32 v2, 0x80000000, v2
	v_lshl_add_u32 v6, v6, 23, v13
	v_or3_b32 v12, v2, v6, v12
.LBB386_778:
	s_or_b64 exec, exec, s[8:9]
.LBB386_779:
	s_or_b64 exec, exec, s[6:7]
.LBB386_780:
	s_or_b64 exec, exec, s[4:5]
	s_movk_i32 s3, 0xff
	v_and_b32_sdwa v6, v5, s3 dst_sel:DWORD dst_unused:UNUSED_PAD src0_sel:WORD_1 src1_sel:DWORD
	v_lshrrev_b32_e32 v2, 16, v5
	v_cmp_ne_u16_e32 vcc, 0, v6
	s_and_saveexec_b64 s[4:5], vcc
	s_cbranch_execz .LBB386_786
; %bb.781:
	s_movk_i32 s3, 0x80
	v_cmp_ne_u16_e32 vcc, s3, v6
	v_bfrev_b32_e32 v11, 1
	s_and_saveexec_b64 s[6:7], vcc
	s_cbranch_execz .LBB386_785
; %bb.782:
	v_bfe_u32 v6, v5, 16, 7
	s_movk_i32 s3, 0x7f
	v_cmp_ne_u32_e32 vcc, s3, v6
	v_mov_b32_e32 v11, 0x7f800001
	s_and_saveexec_b64 s[8:9], vcc
	s_cbranch_execz .LBB386_784
; %bb.783:
	v_and_b32_e32 v11, 7, v2
	v_ffbh_u32_e32 v16, v11
	v_min_u32_e32 v18, 32, v16
	v_subrev_u32_e32 v16, 28, v18
	v_lshlrev_b64 v[16:17], v16, v[2:3]
	v_and_b32_e32 v16, 7, v16
	v_cmp_gt_u32_e32 vcc, 8, v6
	v_lshrrev_b32_e32 v13, 3, v6
	v_sub_u32_e32 v2, 29, v18
	v_cndmask_b32_e32 v6, v11, v16, vcc
	v_mov_b32_e32 v11, 24
	v_cndmask_b32_e32 v2, v13, v2, vcc
	v_lshlrev_b32_sdwa v11, v11, v5 dst_sel:DWORD dst_unused:UNUSED_PAD src0_sel:DWORD src1_sel:WORD_1
	v_bfrev_b32_e32 v13, 60
	v_lshlrev_b32_e32 v6, 20, v6
	v_and_b32_e32 v11, 0x80000000, v11
	v_lshl_add_u32 v2, v2, 23, v13
	v_or3_b32 v11, v11, v2, v6
.LBB386_784:
	s_or_b64 exec, exec, s[8:9]
.LBB386_785:
	s_or_b64 exec, exec, s[6:7]
.LBB386_786:
	s_or_b64 exec, exec, s[4:5]
	s_mov_b32 s4, -1
	s_mov_b32 s5, 0xffffff
	v_cmp_lt_u64_e32 vcc, s[4:5], v[4:5]
	v_mov_b32_e32 v4, 0
	s_and_saveexec_b64 s[4:5], vcc
	s_cbranch_execz .LBB386_792
; %bb.787:
	v_lshrrev_b32_e32 v2, 24, v5
	s_movk_i32 s3, 0x80
	v_cmp_ne_u32_e32 vcc, s3, v2
	v_bfrev_b32_e32 v4, 1
	s_and_saveexec_b64 s[6:7], vcc
	s_cbranch_execz .LBB386_791
; %bb.788:
	v_bfe_u32 v5, v5, 24, 7
	s_movk_i32 s3, 0x7f
	v_cmp_ne_u32_e32 vcc, s3, v5
	v_mov_b32_e32 v4, 0x7f800001
	s_and_saveexec_b64 s[8:9], vcc
	s_cbranch_execz .LBB386_790
; %bb.789:
	v_and_b32_e32 v4, 7, v2
	v_ffbh_u32_e32 v13, v4
	v_min_u32_e32 v13, 32, v13
	v_subrev_u32_e32 v16, 28, v13
	v_lshlrev_b64 v[16:17], v16, v[2:3]
	v_lshrrev_b32_e32 v6, 3, v5
	v_sub_u32_e32 v13, 29, v13
	v_and_b32_e32 v16, 7, v16
	v_cmp_gt_u32_e32 vcc, 8, v5
	v_cndmask_b32_e32 v5, v6, v13, vcc
	v_cndmask_b32_e32 v4, v4, v16, vcc
	v_lshlrev_b32_e32 v2, 24, v2
	v_bfrev_b32_e32 v6, 60
	v_lshlrev_b32_e32 v4, 20, v4
	v_and_b32_e32 v2, 0x80000000, v2
	v_lshl_add_u32 v5, v5, 23, v6
	v_or3_b32 v4, v2, v5, v4
.LBB386_790:
	s_or_b64 exec, exec, s[8:9]
.LBB386_791:
	s_or_b64 exec, exec, s[6:7]
.LBB386_792:
	s_or_b64 exec, exec, s[4:5]
	v_cvt_pkrtz_f16_f32 v6, v8, v9
	v_cvt_pkrtz_f16_f32 v7, v7, v10
	;; [unrolled: 1-line block ×4, first 2 shown]
	v_mfma_f32_4x4x4f16 a[0:3], v[14:15], v[6:7], a[0:3] cbsz:4 abid:14
	s_load_dword s4, s[14:15], 0x0
	v_mfma_f32_4x4x4f16 a[0:3], v[14:15], v[2:3], a[0:3] cbsz:4 abid:15
	s_nop 4
	v_accvgpr_read_b32 v5, a1
	v_accvgpr_read_b32 v3, a3
	;; [unrolled: 1-line block ×4, first 2 shown]
	s_waitcnt lgkmcnt(0)
	v_pk_mul_f32 v[2:3], v[2:3], s[4:5] op_sel_hi:[1,0]
	v_pk_mul_f32 v[4:5], v[4:5], s[4:5] op_sel_hi:[1,0]
	v_cvt_f16_f32_e32 v4, v4
	v_cvt_f16_f32_e32 v5, v5
	;; [unrolled: 1-line block ×4, first 2 shown]
	v_pack_b32_f16 v2, v4, v5
	v_mad_u32_u24 v4, v1, 40, v25
	v_pack_b32_f16 v3, v6, v3
	ds_write_b64 v4, v[2:3]
.LBB386_793:
	s_or_b64 exec, exec, s[0:1]
	v_cmp_gt_u32_e32 vcc, 64, v0
	s_waitcnt lgkmcnt(0)
	s_barrier
	s_and_saveexec_b64 s[0:1], vcc
	s_cbranch_execz .LBB386_795
; %bb.794:
	v_mul_u32_u24_e32 v1, 40, v1
	s_waitcnt vmcnt(0)
	ds_read2_b64 v[2:5], v1 offset1:1
	ds_read2_b64 v[6:9], v1 offset0:2 offset1:3
	s_mov_b32 s1, 0
	s_lshl_b32 s0, s2, 6
	s_lshl_b64 s[2:3], s[0:1], 1
	s_add_u32 s2, s24, s2
	s_addc_u32 s3, s25, s3
	s_lshl_b32 s0, s10, 6
	s_lshl_b64 s[0:1], s[0:1], 1
	s_waitcnt lgkmcnt(1)
	v_pk_add_f16 v1, v2, 0
	v_pk_add_f16 v2, v3, 0
	s_add_u32 s0, s2, s0
	v_pk_add_f16 v2, v2, v5
	s_addc_u32 s1, s3, s1
	s_lshl_b32 s2, s33, 6
	v_pk_add_f16 v1, v1, v4
	s_waitcnt lgkmcnt(0)
	v_pk_add_f16 v2, v2, v7
	s_mul_i32 s3, s2, s40
	v_pk_add_f16 v1, v1, v6
	v_pk_add_f16 v6, v2, v9
	v_or_b32_e32 v2, s3, v0
	v_mov_b32_e32 v3, 0
	v_lshlrev_b64 v[4:5], 1, v[2:3]
	v_mov_b32_e32 v2, s1
	v_add_co_u32_e32 v4, vcc, s0, v4
	s_add_i32 s3, s3, s2
	v_pk_add_f16 v1, v1, v8
	v_addc_co_u32_e32 v5, vcc, v2, v5, vcc
	v_or_b32_e32 v2, s3, v0
	global_store_short v[4:5], v1, off
	v_lshlrev_b64 v[4:5], 1, v[2:3]
	v_mov_b32_e32 v2, s1
	v_add_co_u32_e32 v4, vcc, s0, v4
	s_add_i32 s3, s3, s2
	v_addc_co_u32_e32 v5, vcc, v2, v5, vcc
	v_or_b32_e32 v2, s3, v0
	global_store_short_d16_hi v[4:5], v1, off
	v_lshlrev_b64 v[0:1], 1, v[2:3]
	v_mov_b32_e32 v2, s1
	v_add_co_u32_e32 v0, vcc, s0, v0
	v_addc_co_u32_e32 v1, vcc, v2, v1, vcc
	global_store_short v[0:1], v6, off
.LBB386_795:
	s_endpgm
	.section	.rodata,"a",@progbits
	.p2align	6, 0x0
	.amdhsa_kernel _Z38paged_attention_ll4mi_QKV_mfma4_kernelIDF16_hLN4vllm18Fp8KVCacheDataTypeE1EDF16_Li16ELi64ELi256ELb1ELi3EEvPKT_PKT0_S7_ifPKiS9_S9_iPKfiiiPfSC_PS2_PT2_iSB_SB_
		.amdhsa_group_segment_fixed_size 2720
		.amdhsa_private_segment_fixed_size 0
		.amdhsa_kernarg_size 400
		.amdhsa_user_sgpr_count 6
		.amdhsa_user_sgpr_private_segment_buffer 1
		.amdhsa_user_sgpr_dispatch_ptr 0
		.amdhsa_user_sgpr_queue_ptr 0
		.amdhsa_user_sgpr_kernarg_segment_ptr 1
		.amdhsa_user_sgpr_dispatch_id 0
		.amdhsa_user_sgpr_flat_scratch_init 0
		.amdhsa_user_sgpr_kernarg_preload_length 0
		.amdhsa_user_sgpr_kernarg_preload_offset 0
		.amdhsa_user_sgpr_private_segment_size 0
		.amdhsa_uses_dynamic_stack 0
		.amdhsa_system_sgpr_private_segment_wavefront_offset 0
		.amdhsa_system_sgpr_workgroup_id_x 1
		.amdhsa_system_sgpr_workgroup_id_y 1
		.amdhsa_system_sgpr_workgroup_id_z 1
		.amdhsa_system_sgpr_workgroup_info 0
		.amdhsa_system_vgpr_workitem_id 0
		.amdhsa_next_free_vgpr 60
		.amdhsa_next_free_sgpr 46
		.amdhsa_accum_offset 56
		.amdhsa_reserve_vcc 1
		.amdhsa_reserve_flat_scratch 0
		.amdhsa_float_round_mode_32 0
		.amdhsa_float_round_mode_16_64 0
		.amdhsa_float_denorm_mode_32 3
		.amdhsa_float_denorm_mode_16_64 3
		.amdhsa_dx10_clamp 1
		.amdhsa_ieee_mode 1
		.amdhsa_fp16_overflow 0
		.amdhsa_tg_split 0
		.amdhsa_exception_fp_ieee_invalid_op 0
		.amdhsa_exception_fp_denorm_src 0
		.amdhsa_exception_fp_ieee_div_zero 0
		.amdhsa_exception_fp_ieee_overflow 0
		.amdhsa_exception_fp_ieee_underflow 0
		.amdhsa_exception_fp_ieee_inexact 0
		.amdhsa_exception_int_div_zero 0
	.end_amdhsa_kernel
	.section	.text._Z38paged_attention_ll4mi_QKV_mfma4_kernelIDF16_hLN4vllm18Fp8KVCacheDataTypeE1EDF16_Li16ELi64ELi256ELb1ELi3EEvPKT_PKT0_S7_ifPKiS9_S9_iPKfiiiPfSC_PS2_PT2_iSB_SB_,"axG",@progbits,_Z38paged_attention_ll4mi_QKV_mfma4_kernelIDF16_hLN4vllm18Fp8KVCacheDataTypeE1EDF16_Li16ELi64ELi256ELb1ELi3EEvPKT_PKT0_S7_ifPKiS9_S9_iPKfiiiPfSC_PS2_PT2_iSB_SB_,comdat
.Lfunc_end386:
	.size	_Z38paged_attention_ll4mi_QKV_mfma4_kernelIDF16_hLN4vllm18Fp8KVCacheDataTypeE1EDF16_Li16ELi64ELi256ELb1ELi3EEvPKT_PKT0_S7_ifPKiS9_S9_iPKfiiiPfSC_PS2_PT2_iSB_SB_, .Lfunc_end386-_Z38paged_attention_ll4mi_QKV_mfma4_kernelIDF16_hLN4vllm18Fp8KVCacheDataTypeE1EDF16_Li16ELi64ELi256ELb1ELi3EEvPKT_PKT0_S7_ifPKiS9_S9_iPKfiiiPfSC_PS2_PT2_iSB_SB_
                                        ; -- End function
	.section	.AMDGPU.csdata,"",@progbits
; Kernel info:
; codeLenInByte = 28072
; NumSgprs: 50
; NumVgprs: 56
; NumAgprs: 4
; TotalNumVgprs: 60
; ScratchSize: 0
; MemoryBound: 0
; FloatMode: 240
; IeeeMode: 1
; LDSByteSize: 2720 bytes/workgroup (compile time only)
; SGPRBlocks: 6
; VGPRBlocks: 7
; NumSGPRsForWavesPerEU: 50
; NumVGPRsForWavesPerEU: 60
; AccumOffset: 56
; Occupancy: 8
; WaveLimiterHint : 1
; COMPUTE_PGM_RSRC2:SCRATCH_EN: 0
; COMPUTE_PGM_RSRC2:USER_SGPR: 6
; COMPUTE_PGM_RSRC2:TRAP_HANDLER: 0
; COMPUTE_PGM_RSRC2:TGID_X_EN: 1
; COMPUTE_PGM_RSRC2:TGID_Y_EN: 1
; COMPUTE_PGM_RSRC2:TGID_Z_EN: 1
; COMPUTE_PGM_RSRC2:TIDIG_COMP_CNT: 0
; COMPUTE_PGM_RSRC3_GFX90A:ACCUM_OFFSET: 13
; COMPUTE_PGM_RSRC3_GFX90A:TG_SPLIT: 0
	.section	.text._Z38paged_attention_ll4mi_QKV_mfma4_kernelIDF16_hLN4vllm18Fp8KVCacheDataTypeE1EDF16_Li16ELi64ELi256ELb1ELi4EEvPKT_PKT0_S7_ifPKiS9_S9_iPKfiiiPfSC_PS2_PT2_iSB_SB_,"axG",@progbits,_Z38paged_attention_ll4mi_QKV_mfma4_kernelIDF16_hLN4vllm18Fp8KVCacheDataTypeE1EDF16_Li16ELi64ELi256ELb1ELi4EEvPKT_PKT0_S7_ifPKiS9_S9_iPKfiiiPfSC_PS2_PT2_iSB_SB_,comdat
	.protected	_Z38paged_attention_ll4mi_QKV_mfma4_kernelIDF16_hLN4vllm18Fp8KVCacheDataTypeE1EDF16_Li16ELi64ELi256ELb1ELi4EEvPKT_PKT0_S7_ifPKiS9_S9_iPKfiiiPfSC_PS2_PT2_iSB_SB_ ; -- Begin function _Z38paged_attention_ll4mi_QKV_mfma4_kernelIDF16_hLN4vllm18Fp8KVCacheDataTypeE1EDF16_Li16ELi64ELi256ELb1ELi4EEvPKT_PKT0_S7_ifPKiS9_S9_iPKfiiiPfSC_PS2_PT2_iSB_SB_
	.globl	_Z38paged_attention_ll4mi_QKV_mfma4_kernelIDF16_hLN4vllm18Fp8KVCacheDataTypeE1EDF16_Li16ELi64ELi256ELb1ELi4EEvPKT_PKT0_S7_ifPKiS9_S9_iPKfiiiPfSC_PS2_PT2_iSB_SB_
	.p2align	8
	.type	_Z38paged_attention_ll4mi_QKV_mfma4_kernelIDF16_hLN4vllm18Fp8KVCacheDataTypeE1EDF16_Li16ELi64ELi256ELb1ELi4EEvPKT_PKT0_S7_ifPKiS9_S9_iPKfiiiPfSC_PS2_PT2_iSB_SB_,@function
_Z38paged_attention_ll4mi_QKV_mfma4_kernelIDF16_hLN4vllm18Fp8KVCacheDataTypeE1EDF16_Li16ELi64ELi256ELb1ELi4EEvPKT_PKT0_S7_ifPKiS9_S9_iPKfiiiPfSC_PS2_PT2_iSB_SB_: ; @_Z38paged_attention_ll4mi_QKV_mfma4_kernelIDF16_hLN4vllm18Fp8KVCacheDataTypeE1EDF16_Li16ELi64ELi256ELb1ELi4EEvPKT_PKT0_S7_ifPKiS9_S9_iPKfiiiPfSC_PS2_PT2_iSB_SB_
; %bb.0:
	s_load_dwordx2 s[2:3], s[4:5], 0x30
	s_mov_b32 s10, s7
	s_mov_b64 s[0:1], 0
	s_waitcnt lgkmcnt(0)
	s_cmp_lg_u64 s[2:3], 0
	s_cselect_b64 s[20:21], -1, 0
	s_and_b64 vcc, exec, s[20:21]
	s_cbranch_vccz .LBB387_788
; %bb.1:
	s_add_i32 s12, s6, 1
	s_mov_b32 s13, 0
	s_lshl_b64 s[14:15], s[12:13], 2
	s_add_u32 s14, s2, s14
	s_mov_b32 s7, s13
	s_addc_u32 s15, s3, s15
	s_lshl_b64 s[12:13], s[6:7], 2
	s_add_u32 s12, s2, s12
	s_addc_u32 s13, s3, s13
	s_load_dword s9, s[14:15], 0x0
	s_load_dword s11, s[12:13], 0x0
	s_mov_b64 s[36:37], s[6:7]
	s_waitcnt lgkmcnt(0)
	s_sub_i32 s9, s9, s11
	s_cmp_eq_u32 s9, 1
	s_cselect_b64 s[12:13], -1, 0
	s_andn2_b64 vcc, exec, s[0:1]
	s_cbranch_vccnz .LBB387_3
.LBB387_2:
	s_mov_b32 s7, 0
	s_mov_b64 s[12:13], -1
	s_mov_b64 s[36:37], s[6:7]
.LBB387_3:
	s_andn2_b64 vcc, exec, s[12:13]
	s_cbranch_vccnz .LBB387_787
; %bb.4:
	s_load_dword s7, s[4:5], 0x9c
	s_load_dwordx2 s[0:1], s[4:5], 0x28
	s_add_u32 s30, s4, 0x90
	s_addc_u32 s31, s5, 0
	s_lshl_b64 s[22:23], s[36:37], 2
	s_waitcnt lgkmcnt(0)
	s_and_b32 s9, s7, 0xffff
	s_add_u32 s0, s0, s22
	s_addc_u32 s1, s1, s23
	s_load_dword s7, s[0:1], 0x0
	s_mul_i32 s9, s10, s9
	s_waitcnt lgkmcnt(0)
	s_cmp_ge_i32 s9, s7
	s_cbranch_scc1 .LBB387_787
; %bb.5:
	v_and_b32_e32 v1, 0xc0, v0
	v_and_b32_e32 v44, 3, v0
	s_lshl_b32 s33, s8, 2
	v_add_u32_e32 v4, s9, v1
	v_lshrrev_b32_e32 v43, 6, v0
	v_cmp_le_i32_e64 s[0:1], s7, v4
	v_or_b32_e32 v38, s33, v44
                                        ; implicit-def: $sgpr24
                                        ; implicit-def: $sgpr11
	s_and_saveexec_b64 s[12:13], s[0:1]
	s_xor_b64 s[12:13], exec, s[12:13]
	s_cbranch_execz .LBB387_7
; %bb.6:
	v_mul_u32_u24_e32 v1, 20, v43
	v_or_b32_e32 v1, 0xa00, v1
	v_mov_b32_e32 v2, 0xa50
	v_mov_b32_e32 v3, 0xff7fffff
	v_mad_u32_u24 v2, v43, 20, v2
	ds_write2_b32 v1, v3, v3 offset1:1
	v_mov_b32_e32 v1, 0
	ds_write2_b32 v2, v1, v1 offset1:1
	v_mov_b32_e32 v2, 0xa08
	v_mov_b32_e32 v4, 0xa58
	s_mov_b32 s11, 0xff7fffff
	s_mov_b32 s24, 0
	v_mad_u32_u24 v2, v43, 20, v2
	v_mad_u32_u24 v4, v43, 20, v4
	v_or_b32_e32 v38, s33, v44
	ds_write2_b32 v2, v3, v3 offset1:1
	ds_write2_b32 v4, v1, v1 offset1:1
                                        ; implicit-def: $vgpr4
.LBB387_7:
	s_or_saveexec_b64 s[34:35], s[12:13]
	s_load_dwordx2 s[28:29], s[4:5], 0x68
	s_load_dwordx4 s[16:19], s[4:5], 0x58
	s_load_dword s44, s[30:31], 0x4
	s_load_dwordx4 s[12:15], s[4:5], 0x80
	v_and_b32_e32 v1, 63, v0
	v_mov_b32_e32 v21, s24
	v_mov_b32_e32 v26, s11
	;; [unrolled: 1-line block ×5, first 2 shown]
                                        ; implicit-def: $vgpr14_vgpr15
                                        ; implicit-def: $vgpr10_vgpr11
                                        ; implicit-def: $vgpr6_vgpr7
                                        ; implicit-def: $vgpr2_vgpr3
	s_xor_b64 exec, exec, s[34:35]
	s_cbranch_execz .LBB387_397
; %bb.8:
	s_add_i32 s26, s7, 15
	s_ashr_i32 s27, s26, 31
	s_load_dwordx2 s[24:25], s[4:5], 0x20
	s_load_dword s11, s[4:5], 0x38
	s_lshr_b32 s27, s27, 28
	v_add_u32_e32 v45, s9, v0
	s_add_i32 s26, s26, s27
	v_ashrrev_i32_e32 v2, 31, v45
	s_ashr_i32 s26, s26, 4
	v_lshrrev_b32_e32 v2, 28, v2
	s_add_i32 s40, s26, -1
	v_add_u32_e32 v2, v45, v2
	v_ashrrev_i32_e32 v2, 4, v2
	v_mov_b32_e32 v3, s40
	v_cmp_gt_i32_e32 vcc, s7, v45
	s_waitcnt lgkmcnt(0)
	s_mul_i32 s38, s6, s11
	s_mov_b32 s39, 0
	v_cndmask_b32_e32 v2, v3, v2, vcc
	s_lshl_b64 s[26:27], s[38:39], 2
	v_ashrrev_i32_e32 v3, 31, v2
	s_add_u32 s11, s24, s26
	v_lshlrev_b64 v[2:3], 2, v[2:3]
	v_add_co_u32_e32 v8, vcc, s11, v2
	v_ashrrev_i32_e32 v2, 31, v4
	v_lshrrev_b32_e32 v2, 28, v2
	v_add_u32_e32 v2, v4, v2
	s_addc_u32 s24, s25, s27
	v_ashrrev_i32_e32 v4, 4, v2
	v_mov_b32_e32 v5, s24
	v_min_i32_e32 v2, s40, v4
	v_addc_co_u32_e32 v9, vcc, v5, v3, vcc
	v_ashrrev_i32_e32 v3, 31, v2
	v_lshlrev_b64 v[2:3], 2, v[2:3]
	v_add_co_u32_e32 v10, vcc, s11, v2
	v_add_u32_e32 v2, 1, v4
	v_min_i32_e32 v2, s40, v2
	v_addc_co_u32_e32 v11, vcc, v5, v3, vcc
	v_ashrrev_i32_e32 v3, 31, v2
	v_lshlrev_b64 v[2:3], 2, v[2:3]
	v_add_co_u32_e32 v12, vcc, s11, v2
	v_add_u32_e32 v2, 2, v4
	;; [unrolled: 6-line block ×3, first 2 shown]
	v_min_i32_e32 v2, s40, v2
	v_addc_co_u32_e32 v15, vcc, v5, v3, vcc
	v_ashrrev_i32_e32 v3, 31, v2
	v_lshlrev_b64 v[2:3], 2, v[2:3]
	v_mov_b32_e32 v4, s24
	v_add_co_u32_e32 v16, vcc, s11, v2
	v_addc_co_u32_e32 v17, vcc, v4, v3, vcc
	global_load_dword v6, v[8:9], off
	global_load_dword v5, v[10:11], off
	;; [unrolled: 1-line block ×5, first 2 shown]
	s_load_dwordx2 s[42:43], s[4:5], 0x40
	s_load_dwordx4 s[24:27], s[4:5], 0x0
	s_load_dwordx2 s[40:41], s[4:5], 0x10
	s_andn2_b64 vcc, exec, s[20:21]
	s_cbranch_vccnz .LBB387_10
; %bb.9:
	s_add_u32 s2, s2, s22
	s_addc_u32 s3, s3, s23
	s_load_dword s38, s[2:3], 0x0
	s_waitcnt lgkmcnt(0)
	s_mov_b64 s[36:37], s[38:39]
.LBB387_10:
	s_load_dwordx4 s[20:23], s[4:5], 0x48
	v_lshrrev_b32_e32 v7, 2, v1
	v_lshlrev_b32_e32 v8, 3, v44
	v_add_lshl_u32 v7, v8, v7, 4
	v_mov_b32_e32 v39, 0
	s_waitcnt lgkmcnt(0)
	s_ashr_i32 s3, s20, 31
	s_mul_hi_u32 s9, s36, s20
	s_mul_i32 s3, s36, s3
	s_mul_i32 s11, s37, s20
	s_add_i32 s3, s9, s3
	s_mul_i32 s2, s36, s20
	s_add_i32 s3, s3, s11
	s_lshl_b64 s[2:3], s[2:3], 1
	s_add_u32 s9, s24, s2
	s_addc_u32 s11, s25, s3
	s_lshl_b32 s38, s8, 8
	s_lshl_b64 s[2:3], s[38:39], 1
	s_add_u32 s2, s9, s2
	s_addc_u32 s3, s11, s3
	s_mul_i32 s8, s8, s22
	global_load_dwordx4 v[18:21], v7, s[2:3]
	s_add_u32 s2, s8, s26
	s_addc_u32 s3, 0, s27
	v_pk_mov_b32 v[8:9], s[2:3], s[2:3] op_sel:[0,1]
	s_waitcnt vmcnt(5)
	v_mad_i64_i32 v[6:7], s[2:3], v6, s21, v[8:9]
	v_lshlrev_b32_e32 v8, 4, v0
	v_and_b32_e32 v8, 0xf0, v8
	v_add_co_u32_e32 v6, vcc, v6, v8
	v_addc_co_u32_e32 v7, vcc, 0, v7, vcc
	global_load_dwordx4 v[34:37], v[6:7], off
	global_load_dwordx4 v[30:33], v[6:7], off offset:256
	global_load_dwordx4 v[26:29], v[6:7], off offset:512
	;; [unrolled: 1-line block ×3, first 2 shown]
	v_lshlrev_b64 v[6:7], 2, v[38:39]
	v_mov_b32_e32 v8, s43
	v_add_co_u32_e32 v6, vcc, s42, v6
	v_addc_co_u32_e32 v7, vcc, v8, v7, vcc
	global_load_dword v46, v[6:7], off
	s_add_u32 s2, s40, s8
	v_lshlrev_b32_e32 v6, 4, v1
	s_addc_u32 s3, s41, 0
	v_add_co_u32_e32 v42, vcc, s2, v6
	s_waitcnt vmcnt(9)
	v_mul_hi_i32 v6, v5, s21
	v_mov_b32_e32 v7, s3
	v_ashrrev_i32_e32 v6, 31, v6
	v_addc_co_u32_e32 v47, vcc, 0, v7, vcc
	v_lshrrev_b32_e32 v6, 29, v6
	v_mov_b32_e32 v7, v39
	v_mad_i64_i32 v[6:7], s[2:3], v5, s21, v[6:7]
	v_and_b32_e32 v5, -8, v6
	v_add_co_u32_e32 v6, vcc, v42, v5
	s_waitcnt vmcnt(8)
	v_mul_hi_i32 v5, v4, s21
	v_ashrrev_i32_e32 v5, 31, v5
	v_lshrrev_b32_e32 v8, 29, v5
	v_mov_b32_e32 v9, v39
	v_mad_i64_i32 v[4:5], s[2:3], v4, s21, v[8:9]
	v_addc_co_u32_e32 v7, vcc, v47, v7, vcc
	v_and_b32_e32 v4, -8, v4
	v_add_co_u32_e32 v4, vcc, v42, v4
	v_addc_co_u32_e32 v5, vcc, v47, v5, vcc
	global_load_dwordx4 v[14:17], v[6:7], off
	global_load_dwordx4 v[10:13], v[4:5], off
	s_waitcnt vmcnt(9)
	v_mul_hi_i32 v4, v3, s21
	v_ashrrev_i32_e32 v4, 31, v4
	v_lshrrev_b32_e32 v4, 29, v4
	v_mov_b32_e32 v5, v39
	v_mad_i64_i32 v[4:5], s[2:3], v3, s21, v[4:5]
	v_and_b32_e32 v3, -8, v4
	v_add_co_u32_e32 v40, vcc, v42, v3
	s_waitcnt vmcnt(8)
	v_mul_hi_i32 v3, v2, s21
	v_ashrrev_i32_e32 v3, 31, v3
	v_addc_co_u32_e32 v41, vcc, v47, v5, vcc
	v_lshrrev_b32_e32 v4, 29, v3
	v_mov_b32_e32 v5, v39
	v_mad_i64_i32 v[2:3], s[2:3], v2, s21, v[4:5]
	v_and_b32_e32 v2, -8, v2
	v_add_co_u32_e32 v48, vcc, v42, v2
	v_addc_co_u32_e32 v49, vcc, v47, v3, vcc
	global_load_dwordx4 v[6:9], v[40:41], off
	global_load_dwordx4 v[2:5], v[48:49], off
	v_mov_b32_e32 v47, 0
	s_waitcnt vmcnt(8)
	v_cmp_ne_u16_sdwa s[8:9], v34, v39 src0_sel:BYTE_0 src1_sel:DWORD
	s_and_saveexec_b64 s[2:3], s[8:9]
	s_cbranch_execz .LBB387_16
; %bb.11:
	s_movk_i32 s8, 0x80
	v_cmp_ne_u16_sdwa s[20:21], v34, s8 src0_sel:BYTE_0 src1_sel:DWORD
	v_bfrev_b32_e32 v47, 1
	s_and_saveexec_b64 s[8:9], s[20:21]
	s_cbranch_execz .LBB387_15
; %bb.12:
	s_movk_i32 s11, 0x7f
	v_and_b32_e32 v40, 0x7f, v34
	v_cmp_ne_u32_e32 vcc, s11, v40
	v_mov_b32_e32 v47, 0x7f800001
	s_and_saveexec_b64 s[20:21], vcc
	s_cbranch_execz .LBB387_14
; %bb.13:
	v_and_b32_e32 v41, 7, v34
	v_ffbh_u32_e32 v41, v41
	v_min_u32_e32 v41, 32, v41
	v_subrev_u32_e32 v47, 28, v41
	v_cmp_gt_u32_e32 vcc, 8, v40
	v_lshrrev_b32_e32 v42, 3, v40
	v_sub_u32_e32 v41, 29, v41
	v_cndmask_b32_e32 v40, 0, v47, vcc
	v_cndmask_b32_e32 v42, v42, v41, vcc
	v_lshlrev_b64 v[40:41], v40, v[34:35]
	v_lshlrev_b32_e32 v40, 20, v40
	v_lshlrev_b32_e32 v41, 24, v34
	v_bfrev_b32_e32 v47, 60
	v_and_b32_e32 v40, 0x700000, v40
	v_and_b32_e32 v41, 0x80000000, v41
	v_lshl_add_u32 v42, v42, 23, v47
	v_or3_b32 v47, v41, v42, v40
.LBB387_14:
	s_or_b64 exec, exec, s[20:21]
.LBB387_15:
	s_or_b64 exec, exec, s[8:9]
.LBB387_16:
	s_or_b64 exec, exec, s[2:3]
	v_lshrrev_b16_e32 v40, 8, v34
	v_cmp_ne_u16_e32 vcc, 0, v40
	s_and_saveexec_b64 s[2:3], vcc
	s_cbranch_execz .LBB387_22
; %bb.17:
	s_movk_i32 s8, 0x80
	v_cmp_ne_u16_sdwa s[20:21], v34, s8 src0_sel:BYTE_1 src1_sel:DWORD
	v_bfrev_b32_e32 v39, 1
	s_and_saveexec_b64 s[8:9], s[20:21]
	s_cbranch_execz .LBB387_21
; %bb.18:
	s_movk_i32 s11, 0x7f
	v_and_b32_e32 v41, 0x7f, v40
	v_cmp_ne_u32_e32 vcc, s11, v41
	v_mov_b32_e32 v39, 0x7f800001
	s_and_saveexec_b64 s[20:21], vcc
	s_cbranch_execz .LBB387_20
; %bb.19:
	v_and_b32_e32 v39, 7, v40
	v_ffbh_u32_e32 v48, v39
	v_min_u32_e32 v50, 32, v48
	v_subrev_u32_e32 v48, 28, v50
	v_lshlrev_b64 v[48:49], v48, v[40:41]
	v_lshrrev_b32_e32 v42, 3, v41
	v_sub_u32_e32 v40, 29, v50
	v_and_b32_e32 v48, 7, v48
	v_cmp_gt_u32_e32 vcc, 8, v41
	v_cndmask_b32_e32 v40, v42, v40, vcc
	v_cndmask_b32_e32 v39, v39, v48, vcc
	v_lshlrev_b32_e32 v41, 16, v34
	v_bfrev_b32_e32 v42, 60
	v_lshlrev_b32_e32 v39, 20, v39
	v_and_b32_e32 v41, 0x80000000, v41
	v_lshl_add_u32 v40, v40, 23, v42
	v_or3_b32 v39, v41, v40, v39
.LBB387_20:
	s_or_b64 exec, exec, s[20:21]
.LBB387_21:
	s_or_b64 exec, exec, s[8:9]
.LBB387_22:
	s_or_b64 exec, exec, s[2:3]
	s_movk_i32 s2, 0xff
	v_and_b32_sdwa v41, v34, s2 dst_sel:DWORD dst_unused:UNUSED_PAD src0_sel:WORD_1 src1_sel:DWORD
	v_lshrrev_b32_e32 v40, 16, v34
	v_cmp_ne_u16_e32 vcc, 0, v41
	v_mov_b32_e32 v48, 0
	v_mov_b32_e32 v49, 0
	s_and_saveexec_b64 s[2:3], vcc
	s_cbranch_execz .LBB387_28
; %bb.23:
	s_movk_i32 s8, 0x80
	v_cmp_ne_u16_e32 vcc, s8, v41
	v_bfrev_b32_e32 v49, 1
	s_and_saveexec_b64 s[8:9], vcc
	s_cbranch_execz .LBB387_27
; %bb.24:
	v_bfe_u32 v41, v34, 16, 7
	s_movk_i32 s11, 0x7f
	v_cmp_ne_u32_e32 vcc, s11, v41
	v_mov_b32_e32 v49, 0x7f800001
	s_and_saveexec_b64 s[20:21], vcc
	s_cbranch_execz .LBB387_26
; %bb.25:
	v_and_b32_e32 v42, 7, v40
	v_ffbh_u32_e32 v50, v42
	v_min_u32_e32 v52, 32, v50
	v_subrev_u32_e32 v50, 28, v52
	v_lshlrev_b64 v[50:51], v50, v[40:41]
	v_and_b32_e32 v50, 7, v50
	v_cmp_gt_u32_e32 vcc, 8, v41
	v_lshrrev_b32_e32 v49, 3, v41
	v_sub_u32_e32 v40, 29, v52
	v_cndmask_b32_e32 v41, v42, v50, vcc
	v_mov_b32_e32 v42, 24
	v_cndmask_b32_e32 v40, v49, v40, vcc
	v_lshlrev_b32_sdwa v42, v42, v34 dst_sel:DWORD dst_unused:UNUSED_PAD src0_sel:DWORD src1_sel:WORD_1
	v_bfrev_b32_e32 v49, 60
	v_lshlrev_b32_e32 v41, 20, v41
	v_and_b32_e32 v42, 0x80000000, v42
	v_lshl_add_u32 v40, v40, 23, v49
	v_or3_b32 v49, v42, v40, v41
.LBB387_26:
	s_or_b64 exec, exec, s[20:21]
.LBB387_27:
	s_or_b64 exec, exec, s[8:9]
.LBB387_28:
	s_or_b64 exec, exec, s[2:3]
	s_mov_b32 s2, 0xffffff
	v_cmp_lt_u32_e32 vcc, s2, v34
	s_and_saveexec_b64 s[2:3], vcc
	s_cbranch_execz .LBB387_34
; %bb.29:
	v_lshrrev_b32_e32 v40, 24, v34
	s_movk_i32 s8, 0x80
	v_cmp_ne_u32_e32 vcc, s8, v40
	v_bfrev_b32_e32 v48, 1
	s_and_saveexec_b64 s[8:9], vcc
	s_cbranch_execz .LBB387_33
; %bb.30:
	v_bfe_u32 v41, v34, 24, 7
	s_movk_i32 s11, 0x7f
	v_cmp_ne_u32_e32 vcc, s11, v41
	v_mov_b32_e32 v48, 0x7f800001
	s_and_saveexec_b64 s[20:21], vcc
	s_cbranch_execz .LBB387_32
; %bb.31:
	v_and_b32_e32 v42, 7, v40
	v_ffbh_u32_e32 v50, v42
	v_min_u32_e32 v52, 32, v50
	v_subrev_u32_e32 v50, 28, v52
	v_lshlrev_b64 v[50:51], v50, v[40:41]
	v_lshrrev_b32_e32 v48, 3, v41
	v_sub_u32_e32 v51, 29, v52
	v_and_b32_e32 v50, 7, v50
	v_cmp_gt_u32_e32 vcc, 8, v41
	v_cndmask_b32_e32 v41, v48, v51, vcc
	v_cndmask_b32_e32 v42, v42, v50, vcc
	v_lshlrev_b32_e32 v40, 24, v40
	v_bfrev_b32_e32 v48, 60
	v_lshlrev_b32_e32 v42, 20, v42
	v_and_b32_e32 v40, 0x80000000, v40
	v_lshl_add_u32 v41, v41, 23, v48
	v_or3_b32 v48, v40, v41, v42
.LBB387_32:
	s_or_b64 exec, exec, s[20:21]
.LBB387_33:
	s_or_b64 exec, exec, s[8:9]
.LBB387_34:
	s_or_b64 exec, exec, s[2:3]
	v_mov_b32_e32 v41, 0
	v_mov_b32_e32 v40, v35
	v_cmp_ne_u16_sdwa s[8:9], v35, v41 src0_sel:BYTE_0 src1_sel:DWORD
	v_mov_b32_e32 v50, v41
	s_and_saveexec_b64 s[2:3], s[8:9]
	s_cbranch_execz .LBB387_40
; %bb.35:
	s_movk_i32 s8, 0x80
	v_cmp_ne_u16_sdwa s[20:21], v35, s8 src0_sel:BYTE_0 src1_sel:DWORD
	v_bfrev_b32_e32 v50, 1
	s_and_saveexec_b64 s[8:9], s[20:21]
	s_cbranch_execz .LBB387_39
; %bb.36:
	s_movk_i32 s11, 0x7f
	v_and_b32_e32 v42, 0x7f, v35
	v_cmp_ne_u32_e32 vcc, s11, v42
	v_mov_b32_e32 v50, 0x7f800001
	s_and_saveexec_b64 s[20:21], vcc
	s_cbranch_execz .LBB387_38
; %bb.37:
	v_and_b32_e32 v50, 7, v35
	v_ffbh_u32_e32 v50, v50
	v_min_u32_e32 v50, 32, v50
	v_lshrrev_b32_e32 v51, 3, v42
	v_subrev_u32_e32 v52, 28, v50
	v_sub_u32_e32 v50, 29, v50
	v_cmp_gt_u32_e32 vcc, 8, v42
	v_cndmask_b32_e32 v42, v51, v50, vcc
	v_cndmask_b32_e32 v50, 0, v52, vcc
	v_lshlrev_b64 v[50:51], v50, v[40:41]
	v_lshlrev_b32_e32 v50, 20, v50
	v_lshlrev_b32_e32 v51, 24, v40
	v_bfrev_b32_e32 v52, 60
	v_and_b32_e32 v50, 0x700000, v50
	v_and_b32_e32 v51, 0x80000000, v51
	v_lshl_add_u32 v42, v42, 23, v52
	v_or3_b32 v50, v51, v42, v50
.LBB387_38:
	s_or_b64 exec, exec, s[20:21]
.LBB387_39:
	s_or_b64 exec, exec, s[8:9]
.LBB387_40:
	s_or_b64 exec, exec, s[2:3]
	v_lshrrev_b16_e32 v42, 8, v40
	v_cmp_ne_u16_e32 vcc, 0, v42
	s_and_saveexec_b64 s[2:3], vcc
	s_cbranch_execz .LBB387_46
; %bb.41:
	s_movk_i32 s8, 0x80
	v_cmp_ne_u16_e32 vcc, s8, v42
	v_bfrev_b32_e32 v41, 1
	s_and_saveexec_b64 s[8:9], vcc
	s_cbranch_execz .LBB387_45
; %bb.42:
	s_movk_i32 s11, 0x7f
	v_and_b32_e32 v51, 0x7f, v42
	v_cmp_ne_u32_e32 vcc, s11, v51
	v_mov_b32_e32 v41, 0x7f800001
	s_and_saveexec_b64 s[20:21], vcc
	s_cbranch_execz .LBB387_44
; %bb.43:
	v_and_b32_e32 v41, 7, v42
	v_ffbh_u32_e32 v52, v41
	v_min_u32_e32 v55, 32, v52
	v_subrev_u32_e32 v52, 28, v55
	v_lshlrev_b64 v[52:53], v52, v[42:43]
	v_lshrrev_b32_e32 v54, 3, v51
	v_sub_u32_e32 v42, 29, v55
	v_and_b32_e32 v52, 7, v52
	v_cmp_gt_u32_e32 vcc, 8, v51
	v_cndmask_b32_e32 v42, v54, v42, vcc
	v_cndmask_b32_e32 v41, v41, v52, vcc
	v_lshlrev_b32_e32 v40, 16, v40
	v_bfrev_b32_e32 v51, 60
	v_lshlrev_b32_e32 v41, 20, v41
	v_and_b32_e32 v40, 0x80000000, v40
	v_lshl_add_u32 v42, v42, 23, v51
	v_or3_b32 v41, v40, v42, v41
.LBB387_44:
	s_or_b64 exec, exec, s[20:21]
.LBB387_45:
	s_or_b64 exec, exec, s[8:9]
.LBB387_46:
	s_or_b64 exec, exec, s[2:3]
	s_movk_i32 s2, 0xff
	v_and_b32_sdwa v52, v35, s2 dst_sel:DWORD dst_unused:UNUSED_PAD src0_sel:WORD_1 src1_sel:DWORD
	v_lshrrev_b32_e32 v40, 16, v35
	v_cmp_ne_u16_e32 vcc, 0, v52
	v_mov_b32_e32 v42, 0
	v_mov_b32_e32 v51, 0
	s_and_saveexec_b64 s[2:3], vcc
	s_cbranch_execz .LBB387_52
; %bb.47:
	s_movk_i32 s8, 0x80
	v_cmp_ne_u16_e32 vcc, s8, v52
	v_bfrev_b32_e32 v51, 1
	s_and_saveexec_b64 s[8:9], vcc
	s_cbranch_execz .LBB387_51
; %bb.48:
	v_bfe_u32 v52, v35, 16, 7
	s_movk_i32 s11, 0x7f
	v_cmp_ne_u32_e32 vcc, s11, v52
	v_mov_b32_e32 v51, 0x7f800001
	s_and_saveexec_b64 s[20:21], vcc
	s_cbranch_execz .LBB387_50
; %bb.49:
	v_and_b32_e32 v51, 7, v40
	v_ffbh_u32_e32 v54, v51
	v_min_u32_e32 v56, 32, v54
	v_subrev_u32_e32 v54, 28, v56
	v_lshlrev_b64 v[54:55], v54, v[40:41]
	v_lshrrev_b32_e32 v53, 3, v52
	v_sub_u32_e32 v40, 29, v56
	v_and_b32_e32 v54, 7, v54
	v_cmp_gt_u32_e32 vcc, 8, v52
	v_mov_b32_e32 v52, 24
	v_cndmask_b32_e32 v40, v53, v40, vcc
	v_cndmask_b32_e32 v51, v51, v54, vcc
	v_lshlrev_b32_sdwa v52, v52, v35 dst_sel:DWORD dst_unused:UNUSED_PAD src0_sel:DWORD src1_sel:WORD_1
	v_bfrev_b32_e32 v53, 60
	v_lshlrev_b32_e32 v51, 20, v51
	v_and_b32_e32 v52, 0x80000000, v52
	v_lshl_add_u32 v40, v40, 23, v53
	v_or3_b32 v51, v52, v40, v51
.LBB387_50:
	s_or_b64 exec, exec, s[20:21]
.LBB387_51:
	s_or_b64 exec, exec, s[8:9]
.LBB387_52:
	s_or_b64 exec, exec, s[2:3]
	s_mov_b32 s2, -1
	s_mov_b32 s3, 0xffffff
	v_cmp_lt_u64_e32 vcc, s[2:3], v[34:35]
	s_and_saveexec_b64 s[2:3], vcc
	s_cbranch_execz .LBB387_58
; %bb.53:
	v_lshrrev_b32_e32 v34, 24, v35
	s_movk_i32 s8, 0x80
	v_cmp_ne_u32_e32 vcc, s8, v34
	v_bfrev_b32_e32 v42, 1
	s_and_saveexec_b64 s[8:9], vcc
	s_cbranch_execz .LBB387_57
; %bb.54:
	v_bfe_u32 v35, v35, 24, 7
	s_movk_i32 s11, 0x7f
	v_cmp_ne_u32_e32 vcc, s11, v35
	v_mov_b32_e32 v42, 0x7f800001
	s_and_saveexec_b64 s[20:21], vcc
	s_cbranch_execz .LBB387_56
; %bb.55:
	v_and_b32_e32 v40, 7, v34
	v_ffbh_u32_e32 v52, v40
	v_min_u32_e32 v54, 32, v52
	v_subrev_u32_e32 v52, 28, v54
	v_lshlrev_b64 v[52:53], v52, v[34:35]
	v_lshrrev_b32_e32 v42, 3, v35
	v_sub_u32_e32 v53, 29, v54
	v_and_b32_e32 v52, 7, v52
	v_cmp_gt_u32_e32 vcc, 8, v35
	v_cndmask_b32_e32 v35, v42, v53, vcc
	v_cndmask_b32_e32 v40, v40, v52, vcc
	v_lshlrev_b32_e32 v34, 24, v34
	v_bfrev_b32_e32 v42, 60
	v_lshlrev_b32_e32 v40, 20, v40
	v_and_b32_e32 v34, 0x80000000, v34
	v_lshl_add_u32 v35, v35, 23, v42
	v_or3_b32 v42, v34, v35, v40
.LBB387_56:
	s_or_b64 exec, exec, s[20:21]
.LBB387_57:
	s_or_b64 exec, exec, s[8:9]
.LBB387_58:
	s_or_b64 exec, exec, s[2:3]
	v_cvt_pkrtz_f16_f32 v34, v47, v39
	v_cvt_pkrtz_f16_f32 v35, v49, v48
	;; [unrolled: 1-line block ×4, first 2 shown]
	v_mfma_f32_4x4x4f16 a[0:3], v[18:19], v[34:35], 0 cbsz:4
	v_mov_b32_e32 v42, 0
	v_mfma_f32_4x4x4f16 a[0:3], v[20:21], v[48:49], a[0:3] cbsz:4
	v_mov_b32_e32 v41, 0
	v_cmp_ne_u16_sdwa s[8:9], v36, v42 src0_sel:BYTE_0 src1_sel:DWORD
	s_and_saveexec_b64 s[2:3], s[8:9]
	s_cbranch_execz .LBB387_64
; %bb.59:
	s_movk_i32 s8, 0x80
	v_cmp_ne_u16_sdwa s[20:21], v36, s8 src0_sel:BYTE_0 src1_sel:DWORD
	v_bfrev_b32_e32 v41, 1
	s_and_saveexec_b64 s[8:9], s[20:21]
	s_cbranch_execz .LBB387_63
; %bb.60:
	s_movk_i32 s11, 0x7f
	v_and_b32_e32 v34, 0x7f, v36
	v_cmp_ne_u32_e32 vcc, s11, v34
	v_mov_b32_e32 v41, 0x7f800001
	s_and_saveexec_b64 s[20:21], vcc
	s_cbranch_execz .LBB387_62
; %bb.61:
	v_and_b32_e32 v35, 7, v36
	v_ffbh_u32_e32 v35, v35
	v_min_u32_e32 v35, 32, v35
	v_subrev_u32_e32 v40, 28, v35
	v_cmp_gt_u32_e32 vcc, 8, v34
	v_lshrrev_b32_e32 v39, 3, v34
	v_sub_u32_e32 v35, 29, v35
	v_cndmask_b32_e32 v34, 0, v40, vcc
	v_cndmask_b32_e32 v39, v39, v35, vcc
	v_lshlrev_b64 v[34:35], v34, v[36:37]
	v_lshlrev_b32_e32 v34, 20, v34
	v_lshlrev_b32_e32 v35, 24, v36
	v_bfrev_b32_e32 v40, 60
	v_and_b32_e32 v34, 0x700000, v34
	v_and_b32_e32 v35, 0x80000000, v35
	v_lshl_add_u32 v39, v39, 23, v40
	v_or3_b32 v41, v35, v39, v34
.LBB387_62:
	s_or_b64 exec, exec, s[20:21]
.LBB387_63:
	s_or_b64 exec, exec, s[8:9]
.LBB387_64:
	s_or_b64 exec, exec, s[2:3]
	v_lshrrev_b16_e32 v34, 8, v36
	v_cmp_ne_u16_e32 vcc, 0, v34
	v_mov_b32_e32 v47, 0
	s_and_saveexec_b64 s[2:3], vcc
	s_cbranch_execz .LBB387_70
; %bb.65:
	s_movk_i32 s8, 0x80
	v_cmp_ne_u16_e32 vcc, s8, v34
	v_bfrev_b32_e32 v47, 1
	s_and_saveexec_b64 s[8:9], vcc
	s_cbranch_execz .LBB387_69
; %bb.66:
	s_movk_i32 s11, 0x7f
	v_and_b32_e32 v35, 0x7f, v34
	v_cmp_ne_u32_e32 vcc, s11, v35
	v_mov_b32_e32 v47, 0x7f800001
	s_and_saveexec_b64 s[20:21], vcc
	s_cbranch_execz .LBB387_68
; %bb.67:
	v_and_b32_e32 v39, 7, v34
	v_ffbh_u32_e32 v47, v39
	v_min_u32_e32 v47, 32, v47
	v_subrev_u32_e32 v48, 28, v47
	v_lshlrev_b64 v[48:49], v48, v[34:35]
	v_lshrrev_b32_e32 v40, 3, v35
	v_sub_u32_e32 v34, 29, v47
	v_and_b32_e32 v47, 7, v48
	v_cmp_gt_u32_e32 vcc, 8, v35
	v_cndmask_b32_e32 v34, v40, v34, vcc
	v_cndmask_b32_e32 v35, v39, v47, vcc
	v_lshlrev_b32_e32 v39, 16, v36
	v_bfrev_b32_e32 v40, 60
	v_lshlrev_b32_e32 v35, 20, v35
	v_and_b32_e32 v39, 0x80000000, v39
	v_lshl_add_u32 v34, v34, 23, v40
	v_or3_b32 v47, v39, v34, v35
.LBB387_68:
	s_or_b64 exec, exec, s[20:21]
.LBB387_69:
	s_or_b64 exec, exec, s[8:9]
.LBB387_70:
	s_or_b64 exec, exec, s[2:3]
	s_movk_i32 s2, 0xff
	v_and_b32_sdwa v35, v36, s2 dst_sel:DWORD dst_unused:UNUSED_PAD src0_sel:WORD_1 src1_sel:DWORD
	v_lshrrev_b32_e32 v34, 16, v36
	v_cmp_ne_u16_e32 vcc, 0, v35
	s_and_saveexec_b64 s[2:3], vcc
	s_cbranch_execz .LBB387_76
; %bb.71:
	s_movk_i32 s8, 0x80
	v_cmp_ne_u16_e32 vcc, s8, v35
	v_bfrev_b32_e32 v42, 1
	s_and_saveexec_b64 s[8:9], vcc
	s_cbranch_execz .LBB387_75
; %bb.72:
	v_bfe_u32 v35, v36, 16, 7
	s_movk_i32 s11, 0x7f
	v_cmp_ne_u32_e32 vcc, s11, v35
	v_mov_b32_e32 v42, 0x7f800001
	s_and_saveexec_b64 s[20:21], vcc
	s_cbranch_execz .LBB387_74
; %bb.73:
	v_and_b32_e32 v39, 7, v34
	v_ffbh_u32_e32 v42, v39
	v_min_u32_e32 v42, 32, v42
	v_subrev_u32_e32 v48, 28, v42
	v_lshlrev_b64 v[48:49], v48, v[34:35]
	v_sub_u32_e32 v34, 29, v42
	v_and_b32_e32 v42, 7, v48
	v_cmp_gt_u32_e32 vcc, 8, v35
	v_lshrrev_b32_e32 v40, 3, v35
	v_cndmask_b32_e32 v35, v39, v42, vcc
	v_mov_b32_e32 v39, 24
	v_cndmask_b32_e32 v34, v40, v34, vcc
	v_lshlrev_b32_sdwa v39, v39, v36 dst_sel:DWORD dst_unused:UNUSED_PAD src0_sel:DWORD src1_sel:WORD_1
	v_bfrev_b32_e32 v40, 60
	v_lshlrev_b32_e32 v35, 20, v35
	v_and_b32_e32 v39, 0x80000000, v39
	v_lshl_add_u32 v34, v34, 23, v40
	v_or3_b32 v42, v39, v34, v35
.LBB387_74:
	s_or_b64 exec, exec, s[20:21]
.LBB387_75:
	s_or_b64 exec, exec, s[8:9]
.LBB387_76:
	s_or_b64 exec, exec, s[2:3]
	s_mov_b32 s2, 0xffffff
	v_cmp_lt_u32_e32 vcc, s2, v36
	v_mov_b32_e32 v35, 0
	v_mov_b32_e32 v48, 0
	s_and_saveexec_b64 s[2:3], vcc
	s_cbranch_execz .LBB387_82
; %bb.77:
	v_lshrrev_b32_e32 v34, 24, v36
	s_movk_i32 s8, 0x80
	v_cmp_ne_u32_e32 vcc, s8, v34
	v_bfrev_b32_e32 v48, 1
	s_and_saveexec_b64 s[8:9], vcc
	s_cbranch_execz .LBB387_81
; %bb.78:
	v_bfe_u32 v39, v36, 24, 7
	s_movk_i32 s11, 0x7f
	v_cmp_ne_u32_e32 vcc, s11, v39
	v_mov_b32_e32 v48, 0x7f800001
	s_and_saveexec_b64 s[20:21], vcc
	s_cbranch_execz .LBB387_80
; %bb.79:
	v_and_b32_e32 v40, 7, v34
	v_ffbh_u32_e32 v48, v40
	v_min_u32_e32 v51, 32, v48
	v_subrev_u32_e32 v48, 28, v51
	v_lshlrev_b64 v[48:49], v48, v[34:35]
	v_lshrrev_b32_e32 v50, 3, v39
	v_sub_u32_e32 v49, 29, v51
	v_and_b32_e32 v48, 7, v48
	v_cmp_gt_u32_e32 vcc, 8, v39
	v_cndmask_b32_e32 v39, v50, v49, vcc
	v_cndmask_b32_e32 v40, v40, v48, vcc
	v_lshlrev_b32_e32 v34, 24, v34
	v_bfrev_b32_e32 v48, 60
	v_lshlrev_b32_e32 v40, 20, v40
	v_and_b32_e32 v34, 0x80000000, v34
	v_lshl_add_u32 v39, v39, 23, v48
	v_or3_b32 v48, v34, v39, v40
.LBB387_80:
	s_or_b64 exec, exec, s[20:21]
.LBB387_81:
	s_or_b64 exec, exec, s[8:9]
.LBB387_82:
	s_or_b64 exec, exec, s[2:3]
	v_mov_b32_e32 v34, v37
	v_cmp_ne_u16_sdwa s[8:9], v37, v35 src0_sel:BYTE_0 src1_sel:DWORD
	s_and_saveexec_b64 s[2:3], s[8:9]
	s_cbranch_execz .LBB387_88
; %bb.83:
	s_movk_i32 s8, 0x80
	v_cmp_ne_u16_sdwa s[20:21], v37, s8 src0_sel:BYTE_0 src1_sel:DWORD
	v_bfrev_b32_e32 v39, 1
	s_and_saveexec_b64 s[8:9], s[20:21]
	s_cbranch_execz .LBB387_87
; %bb.84:
	s_movk_i32 s11, 0x7f
	v_and_b32_e32 v40, 0x7f, v37
	v_cmp_ne_u32_e32 vcc, s11, v40
	v_mov_b32_e32 v39, 0x7f800001
	s_and_saveexec_b64 s[20:21], vcc
	s_cbranch_execz .LBB387_86
; %bb.85:
	v_and_b32_e32 v39, 7, v37
	v_ffbh_u32_e32 v39, v39
	v_min_u32_e32 v39, 32, v39
	v_subrev_u32_e32 v50, 28, v39
	v_cmp_gt_u32_e32 vcc, 8, v40
	v_lshrrev_b32_e32 v49, 3, v40
	v_cndmask_b32_e32 v40, 0, v50, vcc
	v_sub_u32_e32 v39, 29, v39
	v_lshlrev_b64 v[50:51], v40, v[34:35]
	v_cndmask_b32_e32 v39, v49, v39, vcc
	v_lshlrev_b32_e32 v35, 20, v50
	v_lshlrev_b32_e32 v40, 24, v34
	v_bfrev_b32_e32 v49, 60
	v_and_b32_e32 v35, 0x700000, v35
	v_and_b32_e32 v40, 0x80000000, v40
	v_lshl_add_u32 v39, v39, 23, v49
	v_or3_b32 v39, v40, v39, v35
.LBB387_86:
	s_or_b64 exec, exec, s[20:21]
.LBB387_87:
	s_or_b64 exec, exec, s[8:9]
	v_mov_b32_e32 v35, v39
.LBB387_88:
	s_or_b64 exec, exec, s[2:3]
	v_lshrrev_b16_e32 v40, 8, v34
	v_cmp_ne_u16_e32 vcc, 0, v40
	v_mov_b32_e32 v49, 0
	v_mov_b32_e32 v50, 0
	s_and_saveexec_b64 s[2:3], vcc
	s_cbranch_execz .LBB387_94
; %bb.89:
	s_movk_i32 s8, 0x80
	v_cmp_ne_u16_e32 vcc, s8, v40
	v_bfrev_b32_e32 v50, 1
	s_and_saveexec_b64 s[8:9], vcc
	s_cbranch_execz .LBB387_93
; %bb.90:
	s_movk_i32 s11, 0x7f
	v_and_b32_e32 v39, 0x7f, v40
	v_cmp_ne_u32_e32 vcc, s11, v39
	v_mov_b32_e32 v50, 0x7f800001
	s_and_saveexec_b64 s[20:21], vcc
	s_cbranch_execz .LBB387_92
; %bb.91:
	v_and_b32_e32 v52, 7, v40
	v_ffbh_u32_e32 v50, v52
	v_min_u32_e32 v54, 32, v50
	v_subrev_u32_e32 v50, 28, v54
	v_lshlrev_b64 v[50:51], v50, v[40:41]
	v_lshrrev_b32_e32 v53, 3, v39
	v_sub_u32_e32 v40, 29, v54
	v_and_b32_e32 v50, 7, v50
	v_cmp_gt_u32_e32 vcc, 8, v39
	v_cndmask_b32_e32 v39, v53, v40, vcc
	v_cndmask_b32_e32 v40, v52, v50, vcc
	v_lshlrev_b32_e32 v34, 16, v34
	v_bfrev_b32_e32 v50, 60
	v_lshlrev_b32_e32 v40, 20, v40
	v_and_b32_e32 v34, 0x80000000, v34
	v_lshl_add_u32 v39, v39, 23, v50
	v_or3_b32 v50, v34, v39, v40
.LBB387_92:
	s_or_b64 exec, exec, s[20:21]
.LBB387_93:
	s_or_b64 exec, exec, s[8:9]
.LBB387_94:
	s_or_b64 exec, exec, s[2:3]
	s_movk_i32 s2, 0xff
	v_and_b32_sdwa v39, v37, s2 dst_sel:DWORD dst_unused:UNUSED_PAD src0_sel:WORD_1 src1_sel:DWORD
	v_lshrrev_b32_e32 v34, 16, v37
	v_cmp_ne_u16_e32 vcc, 0, v39
	s_and_saveexec_b64 s[2:3], vcc
	s_cbranch_execz .LBB387_100
; %bb.95:
	s_movk_i32 s8, 0x80
	v_cmp_ne_u16_e32 vcc, s8, v39
	v_bfrev_b32_e32 v49, 1
	s_and_saveexec_b64 s[8:9], vcc
	s_cbranch_execz .LBB387_99
; %bb.96:
	v_bfe_u32 v39, v37, 16, 7
	s_movk_i32 s11, 0x7f
	v_cmp_ne_u32_e32 vcc, s11, v39
	v_mov_b32_e32 v49, 0x7f800001
	s_and_saveexec_b64 s[20:21], vcc
	s_cbranch_execz .LBB387_98
; %bb.97:
	v_and_b32_e32 v40, 7, v34
	v_ffbh_u32_e32 v51, v40
	v_min_u32_e32 v51, 32, v51
	v_subrev_u32_e32 v52, 28, v51
	v_lshlrev_b64 v[52:53], v52, v[34:35]
	v_sub_u32_e32 v34, 29, v51
	v_and_b32_e32 v51, 7, v52
	v_cmp_gt_u32_e32 vcc, 8, v39
	v_lshrrev_b32_e32 v49, 3, v39
	v_cndmask_b32_e32 v39, v40, v51, vcc
	v_mov_b32_e32 v40, 24
	v_cndmask_b32_e32 v34, v49, v34, vcc
	v_lshlrev_b32_sdwa v40, v40, v37 dst_sel:DWORD dst_unused:UNUSED_PAD src0_sel:DWORD src1_sel:WORD_1
	v_bfrev_b32_e32 v49, 60
	v_lshlrev_b32_e32 v39, 20, v39
	v_and_b32_e32 v40, 0x80000000, v40
	v_lshl_add_u32 v34, v34, 23, v49
	v_or3_b32 v49, v40, v34, v39
.LBB387_98:
	s_or_b64 exec, exec, s[20:21]
.LBB387_99:
	s_or_b64 exec, exec, s[8:9]
.LBB387_100:
	s_or_b64 exec, exec, s[2:3]
	s_mov_b32 s2, -1
	s_mov_b32 s3, 0xffffff
	v_cmp_lt_u64_e32 vcc, s[2:3], v[36:37]
	v_mov_b32_e32 v39, 0
	v_mov_b32_e32 v36, 0
	s_and_saveexec_b64 s[2:3], vcc
	s_cbranch_execz .LBB387_106
; %bb.101:
	v_lshrrev_b32_e32 v34, 24, v37
	s_movk_i32 s8, 0x80
	v_cmp_ne_u32_e32 vcc, s8, v34
	v_bfrev_b32_e32 v36, 1
	s_and_saveexec_b64 s[8:9], vcc
	s_cbranch_execz .LBB387_105
; %bb.102:
	v_bfe_u32 v37, v37, 24, 7
	s_movk_i32 s11, 0x7f
	v_cmp_ne_u32_e32 vcc, s11, v37
	v_mov_b32_e32 v36, 0x7f800001
	s_and_saveexec_b64 s[20:21], vcc
	s_cbranch_execz .LBB387_104
; %bb.103:
	v_and_b32_e32 v36, 7, v34
	v_ffbh_u32_e32 v51, v36
	v_min_u32_e32 v51, 32, v51
	v_subrev_u32_e32 v52, 28, v51
	v_lshlrev_b64 v[52:53], v52, v[34:35]
	v_lshrrev_b32_e32 v40, 3, v37
	v_sub_u32_e32 v51, 29, v51
	v_and_b32_e32 v52, 7, v52
	v_cmp_gt_u32_e32 vcc, 8, v37
	v_cndmask_b32_e32 v37, v40, v51, vcc
	v_cndmask_b32_e32 v36, v36, v52, vcc
	v_lshlrev_b32_e32 v34, 24, v34
	v_bfrev_b32_e32 v40, 60
	v_lshlrev_b32_e32 v36, 20, v36
	v_and_b32_e32 v34, 0x80000000, v34
	v_lshl_add_u32 v37, v37, 23, v40
	v_or3_b32 v36, v34, v37, v36
.LBB387_104:
	s_or_b64 exec, exec, s[20:21]
.LBB387_105:
	s_or_b64 exec, exec, s[8:9]
.LBB387_106:
	s_or_b64 exec, exec, s[2:3]
	v_cvt_pkrtz_f16_f32 v40, v41, v47
	v_cvt_pkrtz_f16_f32 v41, v42, v48
	;; [unrolled: 1-line block ×4, first 2 shown]
	v_mfma_f32_4x4x4f16 a[0:3], v[18:19], v[40:41], a[0:3] cbsz:4 abid:1
	s_waitcnt vmcnt(7)
	v_cmp_ne_u16_sdwa s[8:9], v30, v39 src0_sel:BYTE_0 src1_sel:DWORD
	v_mfma_f32_4x4x4f16 a[0:3], v[20:21], v[34:35], a[0:3] cbsz:4 abid:1
	s_and_saveexec_b64 s[2:3], s[8:9]
	s_cbranch_execz .LBB387_112
; %bb.107:
	s_movk_i32 s8, 0x80
	v_cmp_ne_u16_sdwa s[20:21], v30, s8 src0_sel:BYTE_0 src1_sel:DWORD
	v_bfrev_b32_e32 v39, 1
	s_and_saveexec_b64 s[8:9], s[20:21]
	s_cbranch_execz .LBB387_111
; %bb.108:
	s_movk_i32 s11, 0x7f
	v_and_b32_e32 v34, 0x7f, v30
	v_cmp_ne_u32_e32 vcc, s11, v34
	v_mov_b32_e32 v39, 0x7f800001
	s_and_saveexec_b64 s[20:21], vcc
	s_cbranch_execz .LBB387_110
; %bb.109:
	v_and_b32_e32 v35, 7, v30
	v_ffbh_u32_e32 v35, v35
	v_min_u32_e32 v35, 32, v35
	v_subrev_u32_e32 v37, 28, v35
	v_cmp_gt_u32_e32 vcc, 8, v34
	v_lshrrev_b32_e32 v36, 3, v34
	v_sub_u32_e32 v35, 29, v35
	v_cndmask_b32_e32 v34, 0, v37, vcc
	v_cndmask_b32_e32 v36, v36, v35, vcc
	v_lshlrev_b64 v[34:35], v34, v[30:31]
	v_lshlrev_b32_e32 v34, 20, v34
	v_lshlrev_b32_e32 v35, 24, v30
	v_bfrev_b32_e32 v37, 60
	v_and_b32_e32 v34, 0x700000, v34
	v_and_b32_e32 v35, 0x80000000, v35
	v_lshl_add_u32 v36, v36, 23, v37
	v_or3_b32 v39, v35, v36, v34
.LBB387_110:
	s_or_b64 exec, exec, s[20:21]
.LBB387_111:
	s_or_b64 exec, exec, s[8:9]
.LBB387_112:
	s_or_b64 exec, exec, s[2:3]
	v_lshrrev_b16_e32 v34, 8, v30
	v_cmp_ne_u16_e32 vcc, 0, v34
	v_mov_b32_e32 v37, 0
	v_mov_b32_e32 v40, 0
	s_and_saveexec_b64 s[2:3], vcc
	s_cbranch_execz .LBB387_118
; %bb.113:
	s_movk_i32 s8, 0x80
	v_cmp_ne_u16_e32 vcc, s8, v34
	v_bfrev_b32_e32 v40, 1
	s_and_saveexec_b64 s[8:9], vcc
	s_cbranch_execz .LBB387_117
; %bb.114:
	s_movk_i32 s11, 0x7f
	v_and_b32_e32 v35, 0x7f, v34
	v_cmp_ne_u32_e32 vcc, s11, v35
	v_mov_b32_e32 v40, 0x7f800001
	s_and_saveexec_b64 s[20:21], vcc
	s_cbranch_execz .LBB387_116
; %bb.115:
	v_and_b32_e32 v36, 7, v34
	v_ffbh_u32_e32 v40, v36
	v_min_u32_e32 v47, 32, v40
	v_subrev_u32_e32 v40, 28, v47
	v_lshlrev_b64 v[40:41], v40, v[34:35]
	v_lshrrev_b32_e32 v42, 3, v35
	v_sub_u32_e32 v34, 29, v47
	v_and_b32_e32 v40, 7, v40
	v_cmp_gt_u32_e32 vcc, 8, v35
	v_cndmask_b32_e32 v34, v42, v34, vcc
	v_cndmask_b32_e32 v35, v36, v40, vcc
	v_lshlrev_b32_e32 v36, 16, v30
	v_bfrev_b32_e32 v40, 60
	v_lshlrev_b32_e32 v35, 20, v35
	v_and_b32_e32 v36, 0x80000000, v36
	v_lshl_add_u32 v34, v34, 23, v40
	v_or3_b32 v40, v36, v34, v35
.LBB387_116:
	s_or_b64 exec, exec, s[20:21]
.LBB387_117:
	s_or_b64 exec, exec, s[8:9]
.LBB387_118:
	s_or_b64 exec, exec, s[2:3]
	s_movk_i32 s2, 0xff
	v_and_b32_sdwa v35, v30, s2 dst_sel:DWORD dst_unused:UNUSED_PAD src0_sel:WORD_1 src1_sel:DWORD
	v_lshrrev_b32_e32 v34, 16, v30
	v_cmp_ne_u16_e32 vcc, 0, v35
	s_and_saveexec_b64 s[2:3], vcc
	s_cbranch_execz .LBB387_124
; %bb.119:
	s_movk_i32 s8, 0x80
	v_cmp_ne_u16_e32 vcc, s8, v35
	v_bfrev_b32_e32 v37, 1
	s_and_saveexec_b64 s[8:9], vcc
	s_cbranch_execz .LBB387_123
; %bb.120:
	v_bfe_u32 v35, v30, 16, 7
	s_movk_i32 s11, 0x7f
	v_cmp_ne_u32_e32 vcc, s11, v35
	v_mov_b32_e32 v37, 0x7f800001
	s_and_saveexec_b64 s[20:21], vcc
	s_cbranch_execz .LBB387_122
; %bb.121:
	v_and_b32_e32 v41, 7, v34
	v_ffbh_u32_e32 v36, v41
	v_min_u32_e32 v47, 32, v36
	v_subrev_u32_e32 v36, 28, v47
	v_lshlrev_b64 v[36:37], v36, v[34:35]
	v_and_b32_e32 v36, 7, v36
	v_cmp_gt_u32_e32 vcc, 8, v35
	v_lshrrev_b32_e32 v42, 3, v35
	v_sub_u32_e32 v34, 29, v47
	v_cndmask_b32_e32 v35, v41, v36, vcc
	v_mov_b32_e32 v36, 24
	v_cndmask_b32_e32 v34, v42, v34, vcc
	v_lshlrev_b32_sdwa v36, v36, v30 dst_sel:DWORD dst_unused:UNUSED_PAD src0_sel:DWORD src1_sel:WORD_1
	v_bfrev_b32_e32 v37, 60
	v_lshlrev_b32_e32 v35, 20, v35
	v_and_b32_e32 v36, 0x80000000, v36
	v_lshl_add_u32 v34, v34, 23, v37
	v_or3_b32 v37, v36, v34, v35
.LBB387_122:
	s_or_b64 exec, exec, s[20:21]
.LBB387_123:
	s_or_b64 exec, exec, s[8:9]
.LBB387_124:
	s_or_b64 exec, exec, s[2:3]
	s_mov_b32 s2, 0xffffff
	v_cmp_lt_u32_e32 vcc, s2, v30
	v_mov_b32_e32 v35, 0
	v_mov_b32_e32 v41, 0
	s_and_saveexec_b64 s[2:3], vcc
	s_cbranch_execz .LBB387_130
; %bb.125:
	v_lshrrev_b32_e32 v34, 24, v30
	s_movk_i32 s8, 0x80
	v_cmp_ne_u32_e32 vcc, s8, v34
	v_bfrev_b32_e32 v41, 1
	s_and_saveexec_b64 s[8:9], vcc
	s_cbranch_execz .LBB387_129
; %bb.126:
	v_bfe_u32 v36, v30, 24, 7
	s_movk_i32 s11, 0x7f
	v_cmp_ne_u32_e32 vcc, s11, v36
	v_mov_b32_e32 v41, 0x7f800001
	s_and_saveexec_b64 s[20:21], vcc
	s_cbranch_execz .LBB387_128
; %bb.127:
	v_and_b32_e32 v41, 7, v34
	v_ffbh_u32_e32 v47, v41
	v_min_u32_e32 v47, 32, v47
	v_subrev_u32_e32 v48, 28, v47
	v_lshlrev_b64 v[48:49], v48, v[34:35]
	v_lshrrev_b32_e32 v42, 3, v36
	v_sub_u32_e32 v47, 29, v47
	v_and_b32_e32 v48, 7, v48
	v_cmp_gt_u32_e32 vcc, 8, v36
	v_cndmask_b32_e32 v36, v42, v47, vcc
	v_cndmask_b32_e32 v41, v41, v48, vcc
	v_lshlrev_b32_e32 v34, 24, v34
	v_bfrev_b32_e32 v42, 60
	v_lshlrev_b32_e32 v41, 20, v41
	v_and_b32_e32 v34, 0x80000000, v34
	v_lshl_add_u32 v36, v36, 23, v42
	v_or3_b32 v41, v34, v36, v41
.LBB387_128:
	s_or_b64 exec, exec, s[20:21]
.LBB387_129:
	s_or_b64 exec, exec, s[8:9]
.LBB387_130:
	s_or_b64 exec, exec, s[2:3]
	v_mov_b32_e32 v34, v31
	v_cmp_ne_u16_sdwa s[8:9], v31, v35 src0_sel:BYTE_0 src1_sel:DWORD
	s_and_saveexec_b64 s[2:3], s[8:9]
	s_cbranch_execz .LBB387_136
; %bb.131:
	s_movk_i32 s8, 0x80
	v_cmp_ne_u16_sdwa s[20:21], v31, s8 src0_sel:BYTE_0 src1_sel:DWORD
	v_bfrev_b32_e32 v36, 1
	s_and_saveexec_b64 s[8:9], s[20:21]
	s_cbranch_execz .LBB387_135
; %bb.132:
	s_movk_i32 s11, 0x7f
	v_and_b32_e32 v42, 0x7f, v31
	v_cmp_ne_u32_e32 vcc, s11, v42
	v_mov_b32_e32 v36, 0x7f800001
	s_and_saveexec_b64 s[20:21], vcc
	s_cbranch_execz .LBB387_134
; %bb.133:
	v_and_b32_e32 v36, 7, v31
	v_ffbh_u32_e32 v36, v36
	v_min_u32_e32 v36, 32, v36
	v_subrev_u32_e32 v48, 28, v36
	v_cmp_gt_u32_e32 vcc, 8, v42
	v_lshrrev_b32_e32 v47, 3, v42
	v_cndmask_b32_e32 v42, 0, v48, vcc
	v_sub_u32_e32 v36, 29, v36
	v_lshlrev_b64 v[48:49], v42, v[34:35]
	v_cndmask_b32_e32 v36, v47, v36, vcc
	v_lshlrev_b32_e32 v35, 20, v48
	v_lshlrev_b32_e32 v42, 24, v34
	v_bfrev_b32_e32 v47, 60
	v_and_b32_e32 v35, 0x700000, v35
	v_and_b32_e32 v42, 0x80000000, v42
	v_lshl_add_u32 v36, v36, 23, v47
	v_or3_b32 v36, v42, v36, v35
.LBB387_134:
	s_or_b64 exec, exec, s[20:21]
.LBB387_135:
	s_or_b64 exec, exec, s[8:9]
	v_mov_b32_e32 v35, v36
.LBB387_136:
	s_or_b64 exec, exec, s[2:3]
	v_lshrrev_b16_e32 v36, 8, v34
	v_cmp_ne_u16_e32 vcc, 0, v36
	v_mov_b32_e32 v42, 0
	v_mov_b32_e32 v47, 0
	s_and_saveexec_b64 s[2:3], vcc
	s_cbranch_execz .LBB387_142
; %bb.137:
	s_movk_i32 s8, 0x80
	v_cmp_ne_u16_e32 vcc, s8, v36
	v_bfrev_b32_e32 v47, 1
	s_and_saveexec_b64 s[8:9], vcc
	s_cbranch_execz .LBB387_141
; %bb.138:
	s_movk_i32 s11, 0x7f
	v_and_b32_e32 v48, 0x7f, v36
	v_cmp_ne_u32_e32 vcc, s11, v48
	v_mov_b32_e32 v47, 0x7f800001
	s_and_saveexec_b64 s[20:21], vcc
	s_cbranch_execz .LBB387_140
; %bb.139:
	v_and_b32_e32 v47, 7, v36
	v_ffbh_u32_e32 v50, v47
	v_min_u32_e32 v52, 32, v50
	v_subrev_u32_e32 v50, 28, v52
	v_lshlrev_b64 v[50:51], v50, v[36:37]
	v_lshrrev_b32_e32 v49, 3, v48
	v_sub_u32_e32 v36, 29, v52
	v_and_b32_e32 v50, 7, v50
	v_cmp_gt_u32_e32 vcc, 8, v48
	v_cndmask_b32_e32 v36, v49, v36, vcc
	v_cndmask_b32_e32 v47, v47, v50, vcc
	v_lshlrev_b32_e32 v34, 16, v34
	v_bfrev_b32_e32 v48, 60
	v_lshlrev_b32_e32 v47, 20, v47
	v_and_b32_e32 v34, 0x80000000, v34
	v_lshl_add_u32 v36, v36, 23, v48
	v_or3_b32 v47, v34, v36, v47
.LBB387_140:
	s_or_b64 exec, exec, s[20:21]
.LBB387_141:
	s_or_b64 exec, exec, s[8:9]
.LBB387_142:
	s_or_b64 exec, exec, s[2:3]
	s_movk_i32 s2, 0xff
	v_and_b32_sdwa v36, v31, s2 dst_sel:DWORD dst_unused:UNUSED_PAD src0_sel:WORD_1 src1_sel:DWORD
	v_lshrrev_b32_e32 v34, 16, v31
	v_cmp_ne_u16_e32 vcc, 0, v36
	s_and_saveexec_b64 s[2:3], vcc
	s_cbranch_execz .LBB387_148
; %bb.143:
	s_movk_i32 s8, 0x80
	v_cmp_ne_u16_e32 vcc, s8, v36
	v_bfrev_b32_e32 v42, 1
	s_and_saveexec_b64 s[8:9], vcc
	s_cbranch_execz .LBB387_147
; %bb.144:
	v_bfe_u32 v36, v31, 16, 7
	s_movk_i32 s11, 0x7f
	v_cmp_ne_u32_e32 vcc, s11, v36
	v_mov_b32_e32 v42, 0x7f800001
	s_and_saveexec_b64 s[20:21], vcc
	s_cbranch_execz .LBB387_146
; %bb.145:
	v_and_b32_e32 v42, 7, v34
	v_ffbh_u32_e32 v48, v42
	v_min_u32_e32 v51, 32, v48
	v_subrev_u32_e32 v48, 28, v51
	v_lshlrev_b64 v[48:49], v48, v[34:35]
	v_and_b32_e32 v48, 7, v48
	v_cmp_gt_u32_e32 vcc, 8, v36
	v_lshrrev_b32_e32 v50, 3, v36
	v_sub_u32_e32 v34, 29, v51
	v_cndmask_b32_e32 v36, v42, v48, vcc
	v_mov_b32_e32 v42, 24
	v_cndmask_b32_e32 v34, v50, v34, vcc
	v_lshlrev_b32_sdwa v42, v42, v31 dst_sel:DWORD dst_unused:UNUSED_PAD src0_sel:DWORD src1_sel:WORD_1
	v_bfrev_b32_e32 v48, 60
	v_lshlrev_b32_e32 v36, 20, v36
	v_and_b32_e32 v42, 0x80000000, v42
	v_lshl_add_u32 v34, v34, 23, v48
	v_or3_b32 v42, v42, v34, v36
.LBB387_146:
	s_or_b64 exec, exec, s[20:21]
.LBB387_147:
	s_or_b64 exec, exec, s[8:9]
.LBB387_148:
	s_or_b64 exec, exec, s[2:3]
	s_mov_b32 s2, -1
	s_mov_b32 s3, 0xffffff
	v_cmp_lt_u64_e32 vcc, s[2:3], v[30:31]
	v_mov_b32_e32 v36, 0
	v_mov_b32_e32 v34, 0
	s_and_saveexec_b64 s[2:3], vcc
	s_cbranch_execz .LBB387_154
; %bb.149:
	v_lshrrev_b32_e32 v30, 24, v31
	s_movk_i32 s8, 0x80
	v_cmp_ne_u32_e32 vcc, s8, v30
	v_bfrev_b32_e32 v34, 1
	s_and_saveexec_b64 s[8:9], vcc
	s_cbranch_execz .LBB387_153
; %bb.150:
	v_bfe_u32 v31, v31, 24, 7
	s_movk_i32 s11, 0x7f
	v_cmp_ne_u32_e32 vcc, s11, v31
	v_mov_b32_e32 v34, 0x7f800001
	s_and_saveexec_b64 s[20:21], vcc
	s_cbranch_execz .LBB387_152
; %bb.151:
	v_and_b32_e32 v34, 7, v30
	v_ffbh_u32_e32 v48, v34
	v_min_u32_e32 v51, 32, v48
	v_subrev_u32_e32 v48, 28, v51
	v_lshlrev_b64 v[48:49], v48, v[30:31]
	v_lshrrev_b32_e32 v50, 3, v31
	v_sub_u32_e32 v49, 29, v51
	v_and_b32_e32 v48, 7, v48
	v_cmp_gt_u32_e32 vcc, 8, v31
	v_cndmask_b32_e32 v31, v50, v49, vcc
	v_cndmask_b32_e32 v34, v34, v48, vcc
	v_lshlrev_b32_e32 v30, 24, v30
	v_bfrev_b32_e32 v48, 60
	v_lshlrev_b32_e32 v34, 20, v34
	v_and_b32_e32 v30, 0x80000000, v30
	v_lshl_add_u32 v31, v31, 23, v48
	v_or3_b32 v34, v30, v31, v34
.LBB387_152:
	s_or_b64 exec, exec, s[20:21]
.LBB387_153:
	s_or_b64 exec, exec, s[8:9]
.LBB387_154:
	s_or_b64 exec, exec, s[2:3]
	v_cvt_pkrtz_f16_f32 v30, v39, v40
	v_cvt_pkrtz_f16_f32 v31, v37, v41
	;; [unrolled: 1-line block ×4, first 2 shown]
	v_mfma_f32_4x4x4f16 a[0:3], v[18:19], v[30:31], a[0:3] cbsz:4 abid:2
	v_cmp_ne_u16_sdwa s[8:9], v32, v36 src0_sel:BYTE_0 src1_sel:DWORD
	v_mfma_f32_4x4x4f16 a[0:3], v[20:21], v[40:41], a[0:3] cbsz:4 abid:2
	s_and_saveexec_b64 s[2:3], s[8:9]
	s_cbranch_execz .LBB387_160
; %bb.155:
	s_movk_i32 s8, 0x80
	v_cmp_ne_u16_sdwa s[20:21], v32, s8 src0_sel:BYTE_0 src1_sel:DWORD
	v_bfrev_b32_e32 v36, 1
	s_and_saveexec_b64 s[8:9], s[20:21]
	s_cbranch_execz .LBB387_159
; %bb.156:
	s_movk_i32 s11, 0x7f
	v_and_b32_e32 v30, 0x7f, v32
	v_cmp_ne_u32_e32 vcc, s11, v30
	v_mov_b32_e32 v36, 0x7f800001
	s_and_saveexec_b64 s[20:21], vcc
	s_cbranch_execz .LBB387_158
; %bb.157:
	v_and_b32_e32 v31, 7, v32
	v_ffbh_u32_e32 v31, v31
	v_min_u32_e32 v31, 32, v31
	v_subrev_u32_e32 v35, 28, v31
	v_cmp_gt_u32_e32 vcc, 8, v30
	v_lshrrev_b32_e32 v34, 3, v30
	v_sub_u32_e32 v31, 29, v31
	v_cndmask_b32_e32 v30, 0, v35, vcc
	v_cndmask_b32_e32 v34, v34, v31, vcc
	v_lshlrev_b64 v[30:31], v30, v[32:33]
	v_lshlrev_b32_e32 v30, 20, v30
	v_lshlrev_b32_e32 v31, 24, v32
	v_bfrev_b32_e32 v35, 60
	v_and_b32_e32 v30, 0x700000, v30
	v_and_b32_e32 v31, 0x80000000, v31
	v_lshl_add_u32 v34, v34, 23, v35
	v_or3_b32 v36, v31, v34, v30
.LBB387_158:
	s_or_b64 exec, exec, s[20:21]
.LBB387_159:
	s_or_b64 exec, exec, s[8:9]
.LBB387_160:
	s_or_b64 exec, exec, s[2:3]
	v_lshrrev_b16_e32 v30, 8, v32
	v_cmp_ne_u16_e32 vcc, 0, v30
	v_mov_b32_e32 v35, 0
	v_mov_b32_e32 v37, 0
	s_and_saveexec_b64 s[2:3], vcc
	s_cbranch_execz .LBB387_166
; %bb.161:
	s_movk_i32 s8, 0x80
	v_cmp_ne_u16_e32 vcc, s8, v30
	v_bfrev_b32_e32 v37, 1
	s_and_saveexec_b64 s[8:9], vcc
	s_cbranch_execz .LBB387_165
; %bb.162:
	s_movk_i32 s11, 0x7f
	v_and_b32_e32 v31, 0x7f, v30
	v_cmp_ne_u32_e32 vcc, s11, v31
	v_mov_b32_e32 v37, 0x7f800001
	s_and_saveexec_b64 s[20:21], vcc
	s_cbranch_execz .LBB387_164
; %bb.163:
	v_and_b32_e32 v34, 7, v30
	v_ffbh_u32_e32 v39, v34
	v_min_u32_e32 v39, 32, v39
	v_subrev_u32_e32 v40, 28, v39
	v_lshlrev_b64 v[40:41], v40, v[30:31]
	v_lshrrev_b32_e32 v37, 3, v31
	v_sub_u32_e32 v30, 29, v39
	v_and_b32_e32 v39, 7, v40
	v_cmp_gt_u32_e32 vcc, 8, v31
	v_cndmask_b32_e32 v30, v37, v30, vcc
	v_cndmask_b32_e32 v31, v34, v39, vcc
	v_lshlrev_b32_e32 v34, 16, v32
	v_bfrev_b32_e32 v37, 60
	v_lshlrev_b32_e32 v31, 20, v31
	v_and_b32_e32 v34, 0x80000000, v34
	v_lshl_add_u32 v30, v30, 23, v37
	v_or3_b32 v37, v34, v30, v31
.LBB387_164:
	s_or_b64 exec, exec, s[20:21]
.LBB387_165:
	s_or_b64 exec, exec, s[8:9]
.LBB387_166:
	s_or_b64 exec, exec, s[2:3]
	s_movk_i32 s2, 0xff
	v_and_b32_sdwa v31, v32, s2 dst_sel:DWORD dst_unused:UNUSED_PAD src0_sel:WORD_1 src1_sel:DWORD
	v_lshrrev_b32_e32 v30, 16, v32
	v_cmp_ne_u16_e32 vcc, 0, v31
	s_and_saveexec_b64 s[2:3], vcc
	s_cbranch_execz .LBB387_172
; %bb.167:
	s_movk_i32 s8, 0x80
	v_cmp_ne_u16_e32 vcc, s8, v31
	v_bfrev_b32_e32 v35, 1
	s_and_saveexec_b64 s[8:9], vcc
	s_cbranch_execz .LBB387_171
; %bb.168:
	v_bfe_u32 v31, v32, 16, 7
	s_movk_i32 s11, 0x7f
	v_cmp_ne_u32_e32 vcc, s11, v31
	v_mov_b32_e32 v35, 0x7f800001
	s_and_saveexec_b64 s[20:21], vcc
	s_cbranch_execz .LBB387_170
; %bb.169:
	v_and_b32_e32 v39, 7, v30
	v_ffbh_u32_e32 v34, v39
	v_min_u32_e32 v41, 32, v34
	v_subrev_u32_e32 v34, 28, v41
	v_lshlrev_b64 v[34:35], v34, v[30:31]
	v_and_b32_e32 v34, 7, v34
	v_cmp_gt_u32_e32 vcc, 8, v31
	v_lshrrev_b32_e32 v40, 3, v31
	v_sub_u32_e32 v30, 29, v41
	v_cndmask_b32_e32 v31, v39, v34, vcc
	v_mov_b32_e32 v34, 24
	v_cndmask_b32_e32 v30, v40, v30, vcc
	v_lshlrev_b32_sdwa v34, v34, v32 dst_sel:DWORD dst_unused:UNUSED_PAD src0_sel:DWORD src1_sel:WORD_1
	v_bfrev_b32_e32 v35, 60
	v_lshlrev_b32_e32 v31, 20, v31
	v_and_b32_e32 v34, 0x80000000, v34
	v_lshl_add_u32 v30, v30, 23, v35
	v_or3_b32 v35, v34, v30, v31
.LBB387_170:
	s_or_b64 exec, exec, s[20:21]
.LBB387_171:
	s_or_b64 exec, exec, s[8:9]
.LBB387_172:
	s_or_b64 exec, exec, s[2:3]
	s_mov_b32 s2, 0xffffff
	v_cmp_lt_u32_e32 vcc, s2, v32
	v_mov_b32_e32 v31, 0
	v_mov_b32_e32 v39, 0
	s_and_saveexec_b64 s[2:3], vcc
	s_cbranch_execz .LBB387_178
; %bb.173:
	v_lshrrev_b32_e32 v30, 24, v32
	s_movk_i32 s8, 0x80
	v_cmp_ne_u32_e32 vcc, s8, v30
	v_bfrev_b32_e32 v39, 1
	s_and_saveexec_b64 s[8:9], vcc
	s_cbranch_execz .LBB387_177
; %bb.174:
	v_bfe_u32 v34, v32, 24, 7
	s_movk_i32 s11, 0x7f
	v_cmp_ne_u32_e32 vcc, s11, v34
	v_mov_b32_e32 v39, 0x7f800001
	s_and_saveexec_b64 s[20:21], vcc
	s_cbranch_execz .LBB387_176
; %bb.175:
	v_and_b32_e32 v39, 7, v30
	v_ffbh_u32_e32 v40, v39
	v_min_u32_e32 v47, 32, v40
	v_subrev_u32_e32 v40, 28, v47
	v_lshlrev_b64 v[40:41], v40, v[30:31]
	v_lshrrev_b32_e32 v42, 3, v34
	v_sub_u32_e32 v41, 29, v47
	v_and_b32_e32 v40, 7, v40
	v_cmp_gt_u32_e32 vcc, 8, v34
	v_cndmask_b32_e32 v34, v42, v41, vcc
	v_cndmask_b32_e32 v39, v39, v40, vcc
	v_lshlrev_b32_e32 v30, 24, v30
	v_bfrev_b32_e32 v40, 60
	v_lshlrev_b32_e32 v39, 20, v39
	v_and_b32_e32 v30, 0x80000000, v30
	v_lshl_add_u32 v34, v34, 23, v40
	v_or3_b32 v39, v30, v34, v39
.LBB387_176:
	s_or_b64 exec, exec, s[20:21]
.LBB387_177:
	s_or_b64 exec, exec, s[8:9]
.LBB387_178:
	s_or_b64 exec, exec, s[2:3]
	v_mov_b32_e32 v30, v33
	v_cmp_ne_u16_sdwa s[8:9], v33, v31 src0_sel:BYTE_0 src1_sel:DWORD
	s_and_saveexec_b64 s[2:3], s[8:9]
	s_cbranch_execz .LBB387_184
; %bb.179:
	s_movk_i32 s8, 0x80
	v_cmp_ne_u16_sdwa s[20:21], v33, s8 src0_sel:BYTE_0 src1_sel:DWORD
	v_bfrev_b32_e32 v34, 1
	s_and_saveexec_b64 s[8:9], s[20:21]
	s_cbranch_execz .LBB387_183
; %bb.180:
	s_movk_i32 s11, 0x7f
	v_and_b32_e32 v40, 0x7f, v33
	v_cmp_ne_u32_e32 vcc, s11, v40
	v_mov_b32_e32 v34, 0x7f800001
	s_and_saveexec_b64 s[20:21], vcc
	s_cbranch_execz .LBB387_182
; %bb.181:
	v_and_b32_e32 v34, 7, v33
	v_ffbh_u32_e32 v34, v34
	v_min_u32_e32 v34, 32, v34
	v_subrev_u32_e32 v42, 28, v34
	v_cmp_gt_u32_e32 vcc, 8, v40
	v_lshrrev_b32_e32 v41, 3, v40
	v_sub_u32_e32 v34, 29, v34
	v_cndmask_b32_e32 v40, 0, v42, vcc
	v_cndmask_b32_e32 v34, v41, v34, vcc
	v_lshlrev_b64 v[40:41], v40, v[30:31]
	v_lshlrev_b32_e32 v31, 20, v40
	v_lshlrev_b32_e32 v40, 24, v30
	v_bfrev_b32_e32 v41, 60
	v_and_b32_e32 v31, 0x700000, v31
	v_and_b32_e32 v40, 0x80000000, v40
	v_lshl_add_u32 v34, v34, 23, v41
	v_or3_b32 v34, v40, v34, v31
.LBB387_182:
	s_or_b64 exec, exec, s[20:21]
.LBB387_183:
	s_or_b64 exec, exec, s[8:9]
	v_mov_b32_e32 v31, v34
.LBB387_184:
	s_or_b64 exec, exec, s[2:3]
	v_lshrrev_b16_e32 v34, 8, v30
	v_cmp_ne_u16_e32 vcc, 0, v34
	v_mov_b32_e32 v40, 0
	v_mov_b32_e32 v41, 0
	s_and_saveexec_b64 s[2:3], vcc
	s_cbranch_execz .LBB387_190
; %bb.185:
	s_movk_i32 s8, 0x80
	v_cmp_ne_u16_e32 vcc, s8, v34
	v_bfrev_b32_e32 v41, 1
	s_and_saveexec_b64 s[8:9], vcc
	s_cbranch_execz .LBB387_189
; %bb.186:
	s_movk_i32 s11, 0x7f
	v_and_b32_e32 v42, 0x7f, v34
	v_cmp_ne_u32_e32 vcc, s11, v42
	v_mov_b32_e32 v41, 0x7f800001
	s_and_saveexec_b64 s[20:21], vcc
	s_cbranch_execz .LBB387_188
; %bb.187:
	v_and_b32_e32 v41, 7, v34
	v_ffbh_u32_e32 v48, v41
	v_min_u32_e32 v50, 32, v48
	v_subrev_u32_e32 v48, 28, v50
	v_lshlrev_b64 v[48:49], v48, v[34:35]
	v_lshrrev_b32_e32 v47, 3, v42
	v_sub_u32_e32 v34, 29, v50
	v_and_b32_e32 v48, 7, v48
	v_cmp_gt_u32_e32 vcc, 8, v42
	v_cndmask_b32_e32 v34, v47, v34, vcc
	v_cndmask_b32_e32 v41, v41, v48, vcc
	v_lshlrev_b32_e32 v30, 16, v30
	v_bfrev_b32_e32 v42, 60
	v_lshlrev_b32_e32 v41, 20, v41
	v_and_b32_e32 v30, 0x80000000, v30
	v_lshl_add_u32 v34, v34, 23, v42
	v_or3_b32 v41, v30, v34, v41
.LBB387_188:
	s_or_b64 exec, exec, s[20:21]
.LBB387_189:
	s_or_b64 exec, exec, s[8:9]
.LBB387_190:
	s_or_b64 exec, exec, s[2:3]
	s_movk_i32 s2, 0xff
	v_and_b32_sdwa v34, v33, s2 dst_sel:DWORD dst_unused:UNUSED_PAD src0_sel:WORD_1 src1_sel:DWORD
	v_lshrrev_b32_e32 v30, 16, v33
	v_cmp_ne_u16_e32 vcc, 0, v34
	s_and_saveexec_b64 s[2:3], vcc
	s_cbranch_execz .LBB387_196
; %bb.191:
	s_movk_i32 s8, 0x80
	v_cmp_ne_u16_e32 vcc, s8, v34
	v_bfrev_b32_e32 v40, 1
	s_and_saveexec_b64 s[8:9], vcc
	s_cbranch_execz .LBB387_195
; %bb.192:
	v_bfe_u32 v34, v33, 16, 7
	s_movk_i32 s11, 0x7f
	v_cmp_ne_u32_e32 vcc, s11, v34
	v_mov_b32_e32 v40, 0x7f800001
	s_and_saveexec_b64 s[20:21], vcc
	s_cbranch_execz .LBB387_194
; %bb.193:
	v_and_b32_e32 v40, 7, v30
	v_ffbh_u32_e32 v47, v40
	v_min_u32_e32 v47, 32, v47
	v_subrev_u32_e32 v48, 28, v47
	v_lshlrev_b64 v[48:49], v48, v[30:31]
	v_sub_u32_e32 v30, 29, v47
	v_and_b32_e32 v47, 7, v48
	v_cmp_gt_u32_e32 vcc, 8, v34
	v_lshrrev_b32_e32 v42, 3, v34
	v_cndmask_b32_e32 v34, v40, v47, vcc
	v_mov_b32_e32 v40, 24
	v_cndmask_b32_e32 v30, v42, v30, vcc
	v_lshlrev_b32_sdwa v40, v40, v33 dst_sel:DWORD dst_unused:UNUSED_PAD src0_sel:DWORD src1_sel:WORD_1
	v_bfrev_b32_e32 v42, 60
	v_lshlrev_b32_e32 v34, 20, v34
	v_and_b32_e32 v40, 0x80000000, v40
	v_lshl_add_u32 v30, v30, 23, v42
	v_or3_b32 v40, v40, v30, v34
.LBB387_194:
	s_or_b64 exec, exec, s[20:21]
.LBB387_195:
	s_or_b64 exec, exec, s[8:9]
.LBB387_196:
	s_or_b64 exec, exec, s[2:3]
	s_mov_b32 s2, -1
	s_mov_b32 s3, 0xffffff
	v_cmp_lt_u64_e32 vcc, s[2:3], v[32:33]
	v_mov_b32_e32 v34, 0
	v_mov_b32_e32 v32, 0
	s_and_saveexec_b64 s[2:3], vcc
	s_cbranch_execz .LBB387_202
; %bb.197:
	v_lshrrev_b32_e32 v30, 24, v33
	s_movk_i32 s8, 0x80
	v_cmp_ne_u32_e32 vcc, s8, v30
	v_bfrev_b32_e32 v32, 1
	s_and_saveexec_b64 s[8:9], vcc
	s_cbranch_execz .LBB387_201
; %bb.198:
	v_bfe_u32 v33, v33, 24, 7
	s_movk_i32 s11, 0x7f
	v_cmp_ne_u32_e32 vcc, s11, v33
	v_mov_b32_e32 v32, 0x7f800001
	s_and_saveexec_b64 s[20:21], vcc
	s_cbranch_execz .LBB387_200
; %bb.199:
	v_and_b32_e32 v32, 7, v30
	v_ffbh_u32_e32 v47, v32
	v_min_u32_e32 v47, 32, v47
	v_subrev_u32_e32 v48, 28, v47
	v_lshlrev_b64 v[48:49], v48, v[30:31]
	v_lshrrev_b32_e32 v42, 3, v33
	v_sub_u32_e32 v47, 29, v47
	v_and_b32_e32 v48, 7, v48
	v_cmp_gt_u32_e32 vcc, 8, v33
	v_cndmask_b32_e32 v33, v42, v47, vcc
	v_cndmask_b32_e32 v32, v32, v48, vcc
	v_lshlrev_b32_e32 v30, 24, v30
	v_bfrev_b32_e32 v42, 60
	v_lshlrev_b32_e32 v32, 20, v32
	v_and_b32_e32 v30, 0x80000000, v30
	v_lshl_add_u32 v33, v33, 23, v42
	v_or3_b32 v32, v30, v33, v32
.LBB387_200:
	s_or_b64 exec, exec, s[20:21]
.LBB387_201:
	s_or_b64 exec, exec, s[8:9]
.LBB387_202:
	s_or_b64 exec, exec, s[2:3]
	v_cvt_pkrtz_f16_f32 v36, v36, v37
	v_cvt_pkrtz_f16_f32 v37, v35, v39
	;; [unrolled: 1-line block ×4, first 2 shown]
	v_mfma_f32_4x4x4f16 a[0:3], v[18:19], v[36:37], a[0:3] cbsz:4 abid:3
	s_waitcnt vmcnt(6)
	v_cmp_ne_u16_sdwa s[8:9], v26, v34 src0_sel:BYTE_0 src1_sel:DWORD
	v_mfma_f32_4x4x4f16 a[0:3], v[20:21], v[30:31], a[0:3] cbsz:4 abid:3
	s_and_saveexec_b64 s[2:3], s[8:9]
	s_cbranch_execz .LBB387_208
; %bb.203:
	s_movk_i32 s8, 0x80
	v_cmp_ne_u16_sdwa s[20:21], v26, s8 src0_sel:BYTE_0 src1_sel:DWORD
	v_bfrev_b32_e32 v34, 1
	s_and_saveexec_b64 s[8:9], s[20:21]
	s_cbranch_execz .LBB387_207
; %bb.204:
	s_movk_i32 s11, 0x7f
	v_and_b32_e32 v30, 0x7f, v26
	v_cmp_ne_u32_e32 vcc, s11, v30
	v_mov_b32_e32 v34, 0x7f800001
	s_and_saveexec_b64 s[20:21], vcc
	s_cbranch_execz .LBB387_206
; %bb.205:
	v_and_b32_e32 v31, 7, v26
	v_ffbh_u32_e32 v31, v31
	v_min_u32_e32 v31, 32, v31
	v_subrev_u32_e32 v33, 28, v31
	v_cmp_gt_u32_e32 vcc, 8, v30
	v_lshrrev_b32_e32 v32, 3, v30
	v_sub_u32_e32 v31, 29, v31
	v_cndmask_b32_e32 v30, 0, v33, vcc
	v_cndmask_b32_e32 v32, v32, v31, vcc
	v_lshlrev_b64 v[30:31], v30, v[26:27]
	v_lshlrev_b32_e32 v30, 20, v30
	v_lshlrev_b32_e32 v31, 24, v26
	v_bfrev_b32_e32 v33, 60
	v_and_b32_e32 v30, 0x700000, v30
	v_and_b32_e32 v31, 0x80000000, v31
	v_lshl_add_u32 v32, v32, 23, v33
	v_or3_b32 v34, v31, v32, v30
.LBB387_206:
	s_or_b64 exec, exec, s[20:21]
.LBB387_207:
	s_or_b64 exec, exec, s[8:9]
.LBB387_208:
	s_or_b64 exec, exec, s[2:3]
	v_lshrrev_b16_e32 v30, 8, v26
	v_cmp_ne_u16_e32 vcc, 0, v30
	v_mov_b32_e32 v33, 0
	v_mov_b32_e32 v35, 0
	s_and_saveexec_b64 s[2:3], vcc
	s_cbranch_execz .LBB387_214
; %bb.209:
	s_movk_i32 s8, 0x80
	v_cmp_ne_u16_e32 vcc, s8, v30
	v_bfrev_b32_e32 v35, 1
	s_and_saveexec_b64 s[8:9], vcc
	s_cbranch_execz .LBB387_213
; %bb.210:
	s_movk_i32 s11, 0x7f
	v_and_b32_e32 v31, 0x7f, v30
	v_cmp_ne_u32_e32 vcc, s11, v31
	v_mov_b32_e32 v35, 0x7f800001
	s_and_saveexec_b64 s[20:21], vcc
	s_cbranch_execz .LBB387_212
; %bb.211:
	v_and_b32_e32 v32, 7, v30
	v_ffbh_u32_e32 v36, v32
	v_min_u32_e32 v39, 32, v36
	v_subrev_u32_e32 v36, 28, v39
	v_lshlrev_b64 v[36:37], v36, v[30:31]
	v_lshrrev_b32_e32 v35, 3, v31
	v_sub_u32_e32 v30, 29, v39
	v_and_b32_e32 v36, 7, v36
	v_cmp_gt_u32_e32 vcc, 8, v31
	v_cndmask_b32_e32 v30, v35, v30, vcc
	v_cndmask_b32_e32 v31, v32, v36, vcc
	v_lshlrev_b32_e32 v32, 16, v26
	v_bfrev_b32_e32 v35, 60
	v_lshlrev_b32_e32 v31, 20, v31
	v_and_b32_e32 v32, 0x80000000, v32
	v_lshl_add_u32 v30, v30, 23, v35
	v_or3_b32 v35, v32, v30, v31
.LBB387_212:
	s_or_b64 exec, exec, s[20:21]
.LBB387_213:
	s_or_b64 exec, exec, s[8:9]
.LBB387_214:
	s_or_b64 exec, exec, s[2:3]
	s_movk_i32 s2, 0xff
	v_and_b32_sdwa v31, v26, s2 dst_sel:DWORD dst_unused:UNUSED_PAD src0_sel:WORD_1 src1_sel:DWORD
	v_lshrrev_b32_e32 v30, 16, v26
	v_cmp_ne_u16_e32 vcc, 0, v31
	s_and_saveexec_b64 s[2:3], vcc
	s_cbranch_execz .LBB387_220
; %bb.215:
	s_movk_i32 s8, 0x80
	v_cmp_ne_u16_e32 vcc, s8, v31
	v_bfrev_b32_e32 v33, 1
	s_and_saveexec_b64 s[8:9], vcc
	s_cbranch_execz .LBB387_219
; %bb.216:
	v_bfe_u32 v31, v26, 16, 7
	s_movk_i32 s11, 0x7f
	v_cmp_ne_u32_e32 vcc, s11, v31
	v_mov_b32_e32 v33, 0x7f800001
	s_and_saveexec_b64 s[20:21], vcc
	s_cbranch_execz .LBB387_218
; %bb.217:
	v_and_b32_e32 v36, 7, v30
	v_ffbh_u32_e32 v32, v36
	v_min_u32_e32 v39, 32, v32
	v_subrev_u32_e32 v32, 28, v39
	v_lshlrev_b64 v[32:33], v32, v[30:31]
	v_and_b32_e32 v32, 7, v32
	v_cmp_gt_u32_e32 vcc, 8, v31
	v_lshrrev_b32_e32 v37, 3, v31
	v_sub_u32_e32 v30, 29, v39
	v_cndmask_b32_e32 v31, v36, v32, vcc
	v_mov_b32_e32 v32, 24
	v_cndmask_b32_e32 v30, v37, v30, vcc
	v_lshlrev_b32_sdwa v32, v32, v26 dst_sel:DWORD dst_unused:UNUSED_PAD src0_sel:DWORD src1_sel:WORD_1
	v_bfrev_b32_e32 v33, 60
	v_lshlrev_b32_e32 v31, 20, v31
	v_and_b32_e32 v32, 0x80000000, v32
	v_lshl_add_u32 v30, v30, 23, v33
	v_or3_b32 v33, v32, v30, v31
.LBB387_218:
	s_or_b64 exec, exec, s[20:21]
.LBB387_219:
	s_or_b64 exec, exec, s[8:9]
.LBB387_220:
	s_or_b64 exec, exec, s[2:3]
	s_mov_b32 s2, 0xffffff
	v_cmp_lt_u32_e32 vcc, s2, v26
	v_mov_b32_e32 v31, 0
	v_mov_b32_e32 v36, 0
	s_and_saveexec_b64 s[2:3], vcc
	s_cbranch_execz .LBB387_226
; %bb.221:
	v_lshrrev_b32_e32 v30, 24, v26
	s_movk_i32 s8, 0x80
	v_cmp_ne_u32_e32 vcc, s8, v30
	v_bfrev_b32_e32 v36, 1
	s_and_saveexec_b64 s[8:9], vcc
	s_cbranch_execz .LBB387_225
; %bb.222:
	v_bfe_u32 v32, v26, 24, 7
	s_movk_i32 s11, 0x7f
	v_cmp_ne_u32_e32 vcc, s11, v32
	v_mov_b32_e32 v36, 0x7f800001
	s_and_saveexec_b64 s[20:21], vcc
	s_cbranch_execz .LBB387_224
; %bb.223:
	v_and_b32_e32 v39, 7, v30
	v_ffbh_u32_e32 v36, v39
	v_min_u32_e32 v41, 32, v36
	v_subrev_u32_e32 v36, 28, v41
	v_lshlrev_b64 v[36:37], v36, v[30:31]
	v_lshrrev_b32_e32 v40, 3, v32
	v_sub_u32_e32 v37, 29, v41
	v_and_b32_e32 v36, 7, v36
	v_cmp_gt_u32_e32 vcc, 8, v32
	v_cndmask_b32_e32 v32, v40, v37, vcc
	v_cndmask_b32_e32 v36, v39, v36, vcc
	v_lshlrev_b32_e32 v30, 24, v30
	v_bfrev_b32_e32 v37, 60
	v_lshlrev_b32_e32 v36, 20, v36
	v_and_b32_e32 v30, 0x80000000, v30
	v_lshl_add_u32 v32, v32, 23, v37
	v_or3_b32 v36, v30, v32, v36
.LBB387_224:
	s_or_b64 exec, exec, s[20:21]
.LBB387_225:
	s_or_b64 exec, exec, s[8:9]
.LBB387_226:
	s_or_b64 exec, exec, s[2:3]
	v_mov_b32_e32 v30, v27
	v_cmp_ne_u16_sdwa s[8:9], v27, v31 src0_sel:BYTE_0 src1_sel:DWORD
	s_and_saveexec_b64 s[2:3], s[8:9]
	s_cbranch_execz .LBB387_232
; %bb.227:
	s_movk_i32 s8, 0x80
	v_cmp_ne_u16_sdwa s[20:21], v27, s8 src0_sel:BYTE_0 src1_sel:DWORD
	v_bfrev_b32_e32 v32, 1
	s_and_saveexec_b64 s[8:9], s[20:21]
	s_cbranch_execz .LBB387_231
; %bb.228:
	s_movk_i32 s11, 0x7f
	v_and_b32_e32 v37, 0x7f, v27
	v_cmp_ne_u32_e32 vcc, s11, v37
	v_mov_b32_e32 v32, 0x7f800001
	s_and_saveexec_b64 s[20:21], vcc
	s_cbranch_execz .LBB387_230
; %bb.229:
	v_and_b32_e32 v32, 7, v27
	v_ffbh_u32_e32 v32, v32
	v_min_u32_e32 v32, 32, v32
	v_subrev_u32_e32 v40, 28, v32
	v_cmp_gt_u32_e32 vcc, 8, v37
	v_lshrrev_b32_e32 v39, 3, v37
	v_cndmask_b32_e32 v37, 0, v40, vcc
	v_sub_u32_e32 v32, 29, v32
	v_lshlrev_b64 v[40:41], v37, v[30:31]
	v_cndmask_b32_e32 v32, v39, v32, vcc
	v_lshlrev_b32_e32 v31, 20, v40
	v_lshlrev_b32_e32 v37, 24, v30
	v_bfrev_b32_e32 v39, 60
	v_and_b32_e32 v31, 0x700000, v31
	v_and_b32_e32 v37, 0x80000000, v37
	v_lshl_add_u32 v32, v32, 23, v39
	v_or3_b32 v32, v37, v32, v31
.LBB387_230:
	s_or_b64 exec, exec, s[20:21]
.LBB387_231:
	s_or_b64 exec, exec, s[8:9]
	v_mov_b32_e32 v31, v32
.LBB387_232:
	s_or_b64 exec, exec, s[2:3]
	v_lshrrev_b16_e32 v32, 8, v30
	v_cmp_ne_u16_e32 vcc, 0, v32
	v_mov_b32_e32 v37, 0
	v_mov_b32_e32 v39, 0
	s_and_saveexec_b64 s[2:3], vcc
	s_cbranch_execz .LBB387_238
; %bb.233:
	s_movk_i32 s8, 0x80
	v_cmp_ne_u16_e32 vcc, s8, v32
	v_bfrev_b32_e32 v39, 1
	s_and_saveexec_b64 s[8:9], vcc
	s_cbranch_execz .LBB387_237
; %bb.234:
	s_movk_i32 s11, 0x7f
	v_and_b32_e32 v40, 0x7f, v32
	v_cmp_ne_u32_e32 vcc, s11, v40
	v_mov_b32_e32 v39, 0x7f800001
	s_and_saveexec_b64 s[20:21], vcc
	s_cbranch_execz .LBB387_236
; %bb.235:
	v_and_b32_e32 v39, 7, v32
	v_ffbh_u32_e32 v42, v39
	v_min_u32_e32 v42, 32, v42
	v_subrev_u32_e32 v47, 28, v42
	v_lshlrev_b64 v[48:49], v47, v[32:33]
	v_lshrrev_b32_e32 v41, 3, v40
	v_sub_u32_e32 v32, 29, v42
	v_and_b32_e32 v42, 7, v48
	v_cmp_gt_u32_e32 vcc, 8, v40
	v_cndmask_b32_e32 v32, v41, v32, vcc
	v_cndmask_b32_e32 v39, v39, v42, vcc
	v_lshlrev_b32_e32 v30, 16, v30
	v_bfrev_b32_e32 v40, 60
	v_lshlrev_b32_e32 v39, 20, v39
	v_and_b32_e32 v30, 0x80000000, v30
	v_lshl_add_u32 v32, v32, 23, v40
	v_or3_b32 v39, v30, v32, v39
.LBB387_236:
	s_or_b64 exec, exec, s[20:21]
.LBB387_237:
	s_or_b64 exec, exec, s[8:9]
.LBB387_238:
	s_or_b64 exec, exec, s[2:3]
	s_movk_i32 s2, 0xff
	v_and_b32_sdwa v32, v27, s2 dst_sel:DWORD dst_unused:UNUSED_PAD src0_sel:WORD_1 src1_sel:DWORD
	v_lshrrev_b32_e32 v30, 16, v27
	v_cmp_ne_u16_e32 vcc, 0, v32
	s_and_saveexec_b64 s[2:3], vcc
	s_cbranch_execz .LBB387_244
; %bb.239:
	s_movk_i32 s8, 0x80
	v_cmp_ne_u16_e32 vcc, s8, v32
	v_bfrev_b32_e32 v37, 1
	s_and_saveexec_b64 s[8:9], vcc
	s_cbranch_execz .LBB387_243
; %bb.240:
	v_bfe_u32 v32, v27, 16, 7
	s_movk_i32 s11, 0x7f
	v_cmp_ne_u32_e32 vcc, s11, v32
	v_mov_b32_e32 v37, 0x7f800001
	s_and_saveexec_b64 s[20:21], vcc
	s_cbranch_execz .LBB387_242
; %bb.241:
	v_and_b32_e32 v37, 7, v30
	v_ffbh_u32_e32 v40, v37
	v_min_u32_e32 v47, 32, v40
	v_subrev_u32_e32 v40, 28, v47
	v_lshlrev_b64 v[40:41], v40, v[30:31]
	v_and_b32_e32 v40, 7, v40
	v_cmp_gt_u32_e32 vcc, 8, v32
	v_lshrrev_b32_e32 v42, 3, v32
	v_sub_u32_e32 v30, 29, v47
	v_cndmask_b32_e32 v32, v37, v40, vcc
	v_mov_b32_e32 v37, 24
	v_cndmask_b32_e32 v30, v42, v30, vcc
	v_lshlrev_b32_sdwa v37, v37, v27 dst_sel:DWORD dst_unused:UNUSED_PAD src0_sel:DWORD src1_sel:WORD_1
	v_bfrev_b32_e32 v40, 60
	v_lshlrev_b32_e32 v32, 20, v32
	v_and_b32_e32 v37, 0x80000000, v37
	v_lshl_add_u32 v30, v30, 23, v40
	v_or3_b32 v37, v37, v30, v32
.LBB387_242:
	s_or_b64 exec, exec, s[20:21]
.LBB387_243:
	s_or_b64 exec, exec, s[8:9]
.LBB387_244:
	s_or_b64 exec, exec, s[2:3]
	s_mov_b32 s2, -1
	s_mov_b32 s3, 0xffffff
	v_cmp_lt_u64_e32 vcc, s[2:3], v[26:27]
	v_mov_b32_e32 v32, 0
	v_mov_b32_e32 v30, 0
	s_and_saveexec_b64 s[2:3], vcc
	s_cbranch_execz .LBB387_250
; %bb.245:
	v_lshrrev_b32_e32 v26, 24, v27
	s_movk_i32 s8, 0x80
	v_cmp_ne_u32_e32 vcc, s8, v26
	v_bfrev_b32_e32 v30, 1
	s_and_saveexec_b64 s[8:9], vcc
	s_cbranch_execz .LBB387_249
; %bb.246:
	v_bfe_u32 v27, v27, 24, 7
	s_movk_i32 s11, 0x7f
	v_cmp_ne_u32_e32 vcc, s11, v27
	v_mov_b32_e32 v30, 0x7f800001
	s_and_saveexec_b64 s[20:21], vcc
	s_cbranch_execz .LBB387_248
; %bb.247:
	v_and_b32_e32 v30, 7, v26
	v_ffbh_u32_e32 v40, v30
	v_min_u32_e32 v47, 32, v40
	v_subrev_u32_e32 v40, 28, v47
	v_lshlrev_b64 v[40:41], v40, v[26:27]
	v_lshrrev_b32_e32 v42, 3, v27
	v_sub_u32_e32 v41, 29, v47
	v_and_b32_e32 v40, 7, v40
	v_cmp_gt_u32_e32 vcc, 8, v27
	v_cndmask_b32_e32 v27, v42, v41, vcc
	v_cndmask_b32_e32 v30, v30, v40, vcc
	v_lshlrev_b32_e32 v26, 24, v26
	v_bfrev_b32_e32 v40, 60
	v_lshlrev_b32_e32 v30, 20, v30
	v_and_b32_e32 v26, 0x80000000, v26
	v_lshl_add_u32 v27, v27, 23, v40
	v_or3_b32 v30, v26, v27, v30
.LBB387_248:
	s_or_b64 exec, exec, s[20:21]
.LBB387_249:
	s_or_b64 exec, exec, s[8:9]
.LBB387_250:
	s_or_b64 exec, exec, s[2:3]
	v_cvt_pkrtz_f16_f32 v26, v34, v35
	v_cvt_pkrtz_f16_f32 v27, v33, v36
	;; [unrolled: 1-line block ×4, first 2 shown]
	v_mfma_f32_4x4x4f16 a[0:3], v[18:19], v[26:27], a[0:3] cbsz:4 abid:4
	v_cmp_ne_u16_sdwa s[8:9], v28, v32 src0_sel:BYTE_0 src1_sel:DWORD
	v_mfma_f32_4x4x4f16 a[0:3], v[20:21], v[34:35], a[0:3] cbsz:4 abid:4
	s_and_saveexec_b64 s[2:3], s[8:9]
	s_cbranch_execz .LBB387_256
; %bb.251:
	s_movk_i32 s8, 0x80
	v_cmp_ne_u16_sdwa s[20:21], v28, s8 src0_sel:BYTE_0 src1_sel:DWORD
	v_bfrev_b32_e32 v32, 1
	s_and_saveexec_b64 s[8:9], s[20:21]
	s_cbranch_execz .LBB387_255
; %bb.252:
	s_movk_i32 s11, 0x7f
	v_and_b32_e32 v26, 0x7f, v28
	v_cmp_ne_u32_e32 vcc, s11, v26
	v_mov_b32_e32 v32, 0x7f800001
	s_and_saveexec_b64 s[20:21], vcc
	s_cbranch_execz .LBB387_254
; %bb.253:
	v_and_b32_e32 v27, 7, v28
	v_ffbh_u32_e32 v27, v27
	v_min_u32_e32 v27, 32, v27
	v_subrev_u32_e32 v31, 28, v27
	v_cmp_gt_u32_e32 vcc, 8, v26
	v_lshrrev_b32_e32 v30, 3, v26
	v_sub_u32_e32 v27, 29, v27
	v_cndmask_b32_e32 v26, 0, v31, vcc
	v_cndmask_b32_e32 v30, v30, v27, vcc
	v_lshlrev_b64 v[26:27], v26, v[28:29]
	v_lshlrev_b32_e32 v26, 20, v26
	v_lshlrev_b32_e32 v27, 24, v28
	v_bfrev_b32_e32 v31, 60
	v_and_b32_e32 v26, 0x700000, v26
	v_and_b32_e32 v27, 0x80000000, v27
	v_lshl_add_u32 v30, v30, 23, v31
	v_or3_b32 v32, v27, v30, v26
.LBB387_254:
	s_or_b64 exec, exec, s[20:21]
.LBB387_255:
	s_or_b64 exec, exec, s[8:9]
.LBB387_256:
	s_or_b64 exec, exec, s[2:3]
	v_lshrrev_b16_e32 v26, 8, v28
	v_cmp_ne_u16_e32 vcc, 0, v26
	v_mov_b32_e32 v31, 0
	v_mov_b32_e32 v33, 0
	s_and_saveexec_b64 s[2:3], vcc
	s_cbranch_execz .LBB387_262
; %bb.257:
	s_movk_i32 s8, 0x80
	v_cmp_ne_u16_e32 vcc, s8, v26
	v_bfrev_b32_e32 v33, 1
	s_and_saveexec_b64 s[8:9], vcc
	s_cbranch_execz .LBB387_261
; %bb.258:
	s_movk_i32 s11, 0x7f
	v_and_b32_e32 v27, 0x7f, v26
	v_cmp_ne_u32_e32 vcc, s11, v27
	v_mov_b32_e32 v33, 0x7f800001
	s_and_saveexec_b64 s[20:21], vcc
	s_cbranch_execz .LBB387_260
; %bb.259:
	v_and_b32_e32 v30, 7, v26
	v_ffbh_u32_e32 v34, v30
	v_min_u32_e32 v36, 32, v34
	v_subrev_u32_e32 v34, 28, v36
	v_lshlrev_b64 v[34:35], v34, v[26:27]
	v_lshrrev_b32_e32 v33, 3, v27
	v_sub_u32_e32 v26, 29, v36
	v_and_b32_e32 v34, 7, v34
	v_cmp_gt_u32_e32 vcc, 8, v27
	v_cndmask_b32_e32 v26, v33, v26, vcc
	v_cndmask_b32_e32 v27, v30, v34, vcc
	v_lshlrev_b32_e32 v30, 16, v28
	v_bfrev_b32_e32 v33, 60
	v_lshlrev_b32_e32 v27, 20, v27
	v_and_b32_e32 v30, 0x80000000, v30
	v_lshl_add_u32 v26, v26, 23, v33
	v_or3_b32 v33, v30, v26, v27
.LBB387_260:
	s_or_b64 exec, exec, s[20:21]
.LBB387_261:
	s_or_b64 exec, exec, s[8:9]
.LBB387_262:
	s_or_b64 exec, exec, s[2:3]
	s_movk_i32 s2, 0xff
	v_and_b32_sdwa v27, v28, s2 dst_sel:DWORD dst_unused:UNUSED_PAD src0_sel:WORD_1 src1_sel:DWORD
	v_lshrrev_b32_e32 v26, 16, v28
	v_cmp_ne_u16_e32 vcc, 0, v27
	s_and_saveexec_b64 s[2:3], vcc
	s_cbranch_execz .LBB387_268
; %bb.263:
	s_movk_i32 s8, 0x80
	v_cmp_ne_u16_e32 vcc, s8, v27
	v_bfrev_b32_e32 v31, 1
	s_and_saveexec_b64 s[8:9], vcc
	s_cbranch_execz .LBB387_267
; %bb.264:
	v_bfe_u32 v27, v28, 16, 7
	s_movk_i32 s11, 0x7f
	v_cmp_ne_u32_e32 vcc, s11, v27
	v_mov_b32_e32 v31, 0x7f800001
	s_and_saveexec_b64 s[20:21], vcc
	s_cbranch_execz .LBB387_266
; %bb.265:
	v_and_b32_e32 v34, 7, v26
	v_ffbh_u32_e32 v30, v34
	v_min_u32_e32 v36, 32, v30
	v_subrev_u32_e32 v30, 28, v36
	v_lshlrev_b64 v[30:31], v30, v[26:27]
	v_and_b32_e32 v30, 7, v30
	v_cmp_gt_u32_e32 vcc, 8, v27
	v_lshrrev_b32_e32 v35, 3, v27
	v_sub_u32_e32 v26, 29, v36
	v_cndmask_b32_e32 v27, v34, v30, vcc
	v_mov_b32_e32 v30, 24
	v_cndmask_b32_e32 v26, v35, v26, vcc
	v_lshlrev_b32_sdwa v30, v30, v28 dst_sel:DWORD dst_unused:UNUSED_PAD src0_sel:DWORD src1_sel:WORD_1
	v_bfrev_b32_e32 v31, 60
	v_lshlrev_b32_e32 v27, 20, v27
	v_and_b32_e32 v30, 0x80000000, v30
	v_lshl_add_u32 v26, v26, 23, v31
	v_or3_b32 v31, v30, v26, v27
.LBB387_266:
	s_or_b64 exec, exec, s[20:21]
.LBB387_267:
	s_or_b64 exec, exec, s[8:9]
.LBB387_268:
	s_or_b64 exec, exec, s[2:3]
	s_mov_b32 s2, 0xffffff
	v_cmp_lt_u32_e32 vcc, s2, v28
	v_mov_b32_e32 v27, 0
	v_mov_b32_e32 v34, 0
	s_and_saveexec_b64 s[2:3], vcc
	s_cbranch_execz .LBB387_274
; %bb.269:
	v_lshrrev_b32_e32 v26, 24, v28
	s_movk_i32 s8, 0x80
	v_cmp_ne_u32_e32 vcc, s8, v26
	v_bfrev_b32_e32 v34, 1
	s_and_saveexec_b64 s[8:9], vcc
	s_cbranch_execz .LBB387_273
; %bb.270:
	v_bfe_u32 v30, v28, 24, 7
	s_movk_i32 s11, 0x7f
	v_cmp_ne_u32_e32 vcc, s11, v30
	v_mov_b32_e32 v34, 0x7f800001
	s_and_saveexec_b64 s[20:21], vcc
	s_cbranch_execz .LBB387_272
; %bb.271:
	v_and_b32_e32 v36, 7, v26
	v_ffbh_u32_e32 v34, v36
	v_min_u32_e32 v39, 32, v34
	v_subrev_u32_e32 v34, 28, v39
	v_lshlrev_b64 v[34:35], v34, v[26:27]
	v_lshrrev_b32_e32 v37, 3, v30
	v_sub_u32_e32 v35, 29, v39
	v_and_b32_e32 v34, 7, v34
	v_cmp_gt_u32_e32 vcc, 8, v30
	v_cndmask_b32_e32 v30, v37, v35, vcc
	v_cndmask_b32_e32 v34, v36, v34, vcc
	v_lshlrev_b32_e32 v26, 24, v26
	v_bfrev_b32_e32 v35, 60
	v_lshlrev_b32_e32 v34, 20, v34
	v_and_b32_e32 v26, 0x80000000, v26
	v_lshl_add_u32 v30, v30, 23, v35
	v_or3_b32 v34, v26, v30, v34
.LBB387_272:
	s_or_b64 exec, exec, s[20:21]
.LBB387_273:
	s_or_b64 exec, exec, s[8:9]
.LBB387_274:
	s_or_b64 exec, exec, s[2:3]
	v_mov_b32_e32 v26, v29
	v_cmp_ne_u16_sdwa s[8:9], v29, v27 src0_sel:BYTE_0 src1_sel:DWORD
	s_and_saveexec_b64 s[2:3], s[8:9]
	s_cbranch_execz .LBB387_280
; %bb.275:
	s_movk_i32 s8, 0x80
	v_cmp_ne_u16_sdwa s[20:21], v29, s8 src0_sel:BYTE_0 src1_sel:DWORD
	v_bfrev_b32_e32 v30, 1
	s_and_saveexec_b64 s[8:9], s[20:21]
	s_cbranch_execz .LBB387_279
; %bb.276:
	s_movk_i32 s11, 0x7f
	v_and_b32_e32 v35, 0x7f, v29
	v_cmp_ne_u32_e32 vcc, s11, v35
	v_mov_b32_e32 v30, 0x7f800001
	s_and_saveexec_b64 s[20:21], vcc
	s_cbranch_execz .LBB387_278
; %bb.277:
	v_and_b32_e32 v30, 7, v29
	v_ffbh_u32_e32 v30, v30
	v_min_u32_e32 v30, 32, v30
	v_subrev_u32_e32 v37, 28, v30
	v_cmp_gt_u32_e32 vcc, 8, v35
	v_lshrrev_b32_e32 v36, 3, v35
	v_sub_u32_e32 v30, 29, v30
	v_cndmask_b32_e32 v35, 0, v37, vcc
	v_cndmask_b32_e32 v30, v36, v30, vcc
	v_lshlrev_b64 v[36:37], v35, v[26:27]
	v_lshlrev_b32_e32 v27, 20, v36
	v_lshlrev_b32_e32 v35, 24, v26
	v_bfrev_b32_e32 v36, 60
	v_and_b32_e32 v27, 0x700000, v27
	v_and_b32_e32 v35, 0x80000000, v35
	v_lshl_add_u32 v30, v30, 23, v36
	v_or3_b32 v30, v35, v30, v27
.LBB387_278:
	s_or_b64 exec, exec, s[20:21]
.LBB387_279:
	s_or_b64 exec, exec, s[8:9]
	v_mov_b32_e32 v27, v30
.LBB387_280:
	s_or_b64 exec, exec, s[2:3]
	v_lshrrev_b16_e32 v30, 8, v26
	v_cmp_ne_u16_e32 vcc, 0, v30
	v_mov_b32_e32 v35, 0
	v_mov_b32_e32 v36, 0
	s_and_saveexec_b64 s[2:3], vcc
	s_cbranch_execz .LBB387_286
; %bb.281:
	s_movk_i32 s8, 0x80
	v_cmp_ne_u16_e32 vcc, s8, v30
	v_bfrev_b32_e32 v36, 1
	s_and_saveexec_b64 s[8:9], vcc
	s_cbranch_execz .LBB387_285
; %bb.282:
	s_movk_i32 s11, 0x7f
	v_and_b32_e32 v37, 0x7f, v30
	v_cmp_ne_u32_e32 vcc, s11, v37
	v_mov_b32_e32 v36, 0x7f800001
	s_and_saveexec_b64 s[20:21], vcc
	s_cbranch_execz .LBB387_284
; %bb.283:
	v_and_b32_e32 v36, 7, v30
	v_ffbh_u32_e32 v40, v36
	v_min_u32_e32 v42, 32, v40
	v_subrev_u32_e32 v40, 28, v42
	v_lshlrev_b64 v[40:41], v40, v[30:31]
	v_lshrrev_b32_e32 v39, 3, v37
	v_sub_u32_e32 v30, 29, v42
	v_and_b32_e32 v40, 7, v40
	v_cmp_gt_u32_e32 vcc, 8, v37
	v_cndmask_b32_e32 v30, v39, v30, vcc
	v_cndmask_b32_e32 v36, v36, v40, vcc
	v_lshlrev_b32_e32 v26, 16, v26
	v_bfrev_b32_e32 v37, 60
	v_lshlrev_b32_e32 v36, 20, v36
	v_and_b32_e32 v26, 0x80000000, v26
	v_lshl_add_u32 v30, v30, 23, v37
	v_or3_b32 v36, v26, v30, v36
.LBB387_284:
	s_or_b64 exec, exec, s[20:21]
.LBB387_285:
	s_or_b64 exec, exec, s[8:9]
.LBB387_286:
	s_or_b64 exec, exec, s[2:3]
	s_movk_i32 s2, 0xff
	v_and_b32_sdwa v30, v29, s2 dst_sel:DWORD dst_unused:UNUSED_PAD src0_sel:WORD_1 src1_sel:DWORD
	v_lshrrev_b32_e32 v26, 16, v29
	v_cmp_ne_u16_e32 vcc, 0, v30
	s_and_saveexec_b64 s[2:3], vcc
	s_cbranch_execz .LBB387_292
; %bb.287:
	s_movk_i32 s8, 0x80
	v_cmp_ne_u16_e32 vcc, s8, v30
	v_bfrev_b32_e32 v35, 1
	s_and_saveexec_b64 s[8:9], vcc
	s_cbranch_execz .LBB387_291
; %bb.288:
	v_bfe_u32 v30, v29, 16, 7
	s_movk_i32 s11, 0x7f
	v_cmp_ne_u32_e32 vcc, s11, v30
	v_mov_b32_e32 v35, 0x7f800001
	s_and_saveexec_b64 s[20:21], vcc
	s_cbranch_execz .LBB387_290
; %bb.289:
	v_and_b32_e32 v35, 7, v26
	v_ffbh_u32_e32 v39, v35
	v_min_u32_e32 v39, 32, v39
	v_subrev_u32_e32 v40, 28, v39
	v_lshlrev_b64 v[40:41], v40, v[26:27]
	v_sub_u32_e32 v26, 29, v39
	v_and_b32_e32 v39, 7, v40
	v_cmp_gt_u32_e32 vcc, 8, v30
	v_lshrrev_b32_e32 v37, 3, v30
	v_cndmask_b32_e32 v30, v35, v39, vcc
	v_mov_b32_e32 v35, 24
	v_cndmask_b32_e32 v26, v37, v26, vcc
	v_lshlrev_b32_sdwa v35, v35, v29 dst_sel:DWORD dst_unused:UNUSED_PAD src0_sel:DWORD src1_sel:WORD_1
	v_bfrev_b32_e32 v37, 60
	v_lshlrev_b32_e32 v30, 20, v30
	v_and_b32_e32 v35, 0x80000000, v35
	v_lshl_add_u32 v26, v26, 23, v37
	v_or3_b32 v35, v35, v26, v30
.LBB387_290:
	s_or_b64 exec, exec, s[20:21]
.LBB387_291:
	s_or_b64 exec, exec, s[8:9]
.LBB387_292:
	s_or_b64 exec, exec, s[2:3]
	s_mov_b32 s2, -1
	s_mov_b32 s3, 0xffffff
	v_cmp_lt_u64_e32 vcc, s[2:3], v[28:29]
	v_mov_b32_e32 v30, 0
	v_mov_b32_e32 v28, 0
	s_and_saveexec_b64 s[2:3], vcc
	s_cbranch_execz .LBB387_298
; %bb.293:
	v_lshrrev_b32_e32 v26, 24, v29
	s_movk_i32 s8, 0x80
	v_cmp_ne_u32_e32 vcc, s8, v26
	v_bfrev_b32_e32 v28, 1
	s_and_saveexec_b64 s[8:9], vcc
	s_cbranch_execz .LBB387_297
; %bb.294:
	v_bfe_u32 v29, v29, 24, 7
	s_movk_i32 s11, 0x7f
	v_cmp_ne_u32_e32 vcc, s11, v29
	v_mov_b32_e32 v28, 0x7f800001
	s_and_saveexec_b64 s[20:21], vcc
	s_cbranch_execz .LBB387_296
; %bb.295:
	v_and_b32_e32 v28, 7, v26
	v_ffbh_u32_e32 v39, v28
	v_min_u32_e32 v39, 32, v39
	v_subrev_u32_e32 v40, 28, v39
	v_lshlrev_b64 v[40:41], v40, v[26:27]
	v_lshrrev_b32_e32 v37, 3, v29
	v_sub_u32_e32 v39, 29, v39
	v_and_b32_e32 v40, 7, v40
	v_cmp_gt_u32_e32 vcc, 8, v29
	v_cndmask_b32_e32 v29, v37, v39, vcc
	v_cndmask_b32_e32 v28, v28, v40, vcc
	v_lshlrev_b32_e32 v26, 24, v26
	v_bfrev_b32_e32 v37, 60
	v_lshlrev_b32_e32 v28, 20, v28
	v_and_b32_e32 v26, 0x80000000, v26
	v_lshl_add_u32 v29, v29, 23, v37
	v_or3_b32 v28, v26, v29, v28
.LBB387_296:
	s_or_b64 exec, exec, s[20:21]
.LBB387_297:
	s_or_b64 exec, exec, s[8:9]
.LBB387_298:
	s_or_b64 exec, exec, s[2:3]
	v_cvt_pkrtz_f16_f32 v32, v32, v33
	v_cvt_pkrtz_f16_f32 v33, v31, v34
	;; [unrolled: 1-line block ×4, first 2 shown]
	v_mfma_f32_4x4x4f16 a[0:3], v[18:19], v[32:33], a[0:3] cbsz:4 abid:5
	s_waitcnt vmcnt(5)
	v_cmp_ne_u16_sdwa s[8:9], v22, v30 src0_sel:BYTE_0 src1_sel:DWORD
	v_mfma_f32_4x4x4f16 a[0:3], v[20:21], v[26:27], a[0:3] cbsz:4 abid:5
	s_and_saveexec_b64 s[2:3], s[8:9]
	s_cbranch_execz .LBB387_304
; %bb.299:
	s_movk_i32 s8, 0x80
	v_cmp_ne_u16_sdwa s[20:21], v22, s8 src0_sel:BYTE_0 src1_sel:DWORD
	v_bfrev_b32_e32 v30, 1
	s_and_saveexec_b64 s[8:9], s[20:21]
	s_cbranch_execz .LBB387_303
; %bb.300:
	s_movk_i32 s11, 0x7f
	v_and_b32_e32 v26, 0x7f, v22
	v_cmp_ne_u32_e32 vcc, s11, v26
	v_mov_b32_e32 v30, 0x7f800001
	s_and_saveexec_b64 s[20:21], vcc
	s_cbranch_execz .LBB387_302
; %bb.301:
	v_and_b32_e32 v27, 7, v22
	v_ffbh_u32_e32 v27, v27
	v_min_u32_e32 v27, 32, v27
	v_subrev_u32_e32 v29, 28, v27
	v_cmp_gt_u32_e32 vcc, 8, v26
	v_lshrrev_b32_e32 v28, 3, v26
	v_sub_u32_e32 v27, 29, v27
	v_cndmask_b32_e32 v26, 0, v29, vcc
	v_cndmask_b32_e32 v28, v28, v27, vcc
	v_lshlrev_b64 v[26:27], v26, v[22:23]
	v_lshlrev_b32_e32 v26, 20, v26
	v_lshlrev_b32_e32 v27, 24, v22
	v_bfrev_b32_e32 v29, 60
	v_and_b32_e32 v26, 0x700000, v26
	v_and_b32_e32 v27, 0x80000000, v27
	v_lshl_add_u32 v28, v28, 23, v29
	v_or3_b32 v30, v27, v28, v26
.LBB387_302:
	s_or_b64 exec, exec, s[20:21]
.LBB387_303:
	s_or_b64 exec, exec, s[8:9]
.LBB387_304:
	s_or_b64 exec, exec, s[2:3]
	v_lshrrev_b16_e32 v26, 8, v22
	v_cmp_ne_u16_e32 vcc, 0, v26
	v_mov_b32_e32 v29, 0
	v_mov_b32_e32 v31, 0
	s_and_saveexec_b64 s[2:3], vcc
	s_cbranch_execz .LBB387_310
; %bb.305:
	s_movk_i32 s8, 0x80
	v_cmp_ne_u16_e32 vcc, s8, v26
	v_bfrev_b32_e32 v31, 1
	s_and_saveexec_b64 s[8:9], vcc
	s_cbranch_execz .LBB387_309
; %bb.306:
	s_movk_i32 s11, 0x7f
	v_and_b32_e32 v27, 0x7f, v26
	v_cmp_ne_u32_e32 vcc, s11, v27
	v_mov_b32_e32 v31, 0x7f800001
	s_and_saveexec_b64 s[20:21], vcc
	s_cbranch_execz .LBB387_308
; %bb.307:
	v_and_b32_e32 v28, 7, v26
	v_ffbh_u32_e32 v32, v28
	v_min_u32_e32 v34, 32, v32
	v_subrev_u32_e32 v32, 28, v34
	v_lshlrev_b64 v[32:33], v32, v[26:27]
	v_lshrrev_b32_e32 v31, 3, v27
	v_sub_u32_e32 v26, 29, v34
	v_and_b32_e32 v32, 7, v32
	v_cmp_gt_u32_e32 vcc, 8, v27
	v_cndmask_b32_e32 v26, v31, v26, vcc
	v_cndmask_b32_e32 v27, v28, v32, vcc
	v_lshlrev_b32_e32 v28, 16, v22
	v_bfrev_b32_e32 v31, 60
	v_lshlrev_b32_e32 v27, 20, v27
	v_and_b32_e32 v28, 0x80000000, v28
	v_lshl_add_u32 v26, v26, 23, v31
	v_or3_b32 v31, v28, v26, v27
.LBB387_308:
	s_or_b64 exec, exec, s[20:21]
.LBB387_309:
	s_or_b64 exec, exec, s[8:9]
.LBB387_310:
	s_or_b64 exec, exec, s[2:3]
	s_movk_i32 s2, 0xff
	v_and_b32_sdwa v27, v22, s2 dst_sel:DWORD dst_unused:UNUSED_PAD src0_sel:WORD_1 src1_sel:DWORD
	v_lshrrev_b32_e32 v26, 16, v22
	v_cmp_ne_u16_e32 vcc, 0, v27
	s_and_saveexec_b64 s[2:3], vcc
	s_cbranch_execz .LBB387_316
; %bb.311:
	s_movk_i32 s8, 0x80
	v_cmp_ne_u16_e32 vcc, s8, v27
	v_bfrev_b32_e32 v29, 1
	s_and_saveexec_b64 s[8:9], vcc
	s_cbranch_execz .LBB387_315
; %bb.312:
	v_bfe_u32 v27, v22, 16, 7
	s_movk_i32 s11, 0x7f
	v_cmp_ne_u32_e32 vcc, s11, v27
	v_mov_b32_e32 v29, 0x7f800001
	s_and_saveexec_b64 s[20:21], vcc
	s_cbranch_execz .LBB387_314
; %bb.313:
	v_and_b32_e32 v32, 7, v26
	v_ffbh_u32_e32 v28, v32
	v_min_u32_e32 v34, 32, v28
	v_subrev_u32_e32 v28, 28, v34
	v_lshlrev_b64 v[28:29], v28, v[26:27]
	v_and_b32_e32 v28, 7, v28
	v_cmp_gt_u32_e32 vcc, 8, v27
	v_lshrrev_b32_e32 v33, 3, v27
	v_sub_u32_e32 v26, 29, v34
	v_cndmask_b32_e32 v27, v32, v28, vcc
	v_mov_b32_e32 v28, 24
	v_cndmask_b32_e32 v26, v33, v26, vcc
	v_lshlrev_b32_sdwa v28, v28, v22 dst_sel:DWORD dst_unused:UNUSED_PAD src0_sel:DWORD src1_sel:WORD_1
	v_bfrev_b32_e32 v29, 60
	v_lshlrev_b32_e32 v27, 20, v27
	v_and_b32_e32 v28, 0x80000000, v28
	v_lshl_add_u32 v26, v26, 23, v29
	v_or3_b32 v29, v28, v26, v27
.LBB387_314:
	s_or_b64 exec, exec, s[20:21]
.LBB387_315:
	s_or_b64 exec, exec, s[8:9]
.LBB387_316:
	s_or_b64 exec, exec, s[2:3]
	s_mov_b32 s2, 0xffffff
	v_cmp_lt_u32_e32 vcc, s2, v22
	v_mov_b32_e32 v27, 0
	v_mov_b32_e32 v32, 0
	s_and_saveexec_b64 s[2:3], vcc
	s_cbranch_execz .LBB387_322
; %bb.317:
	v_lshrrev_b32_e32 v26, 24, v22
	s_movk_i32 s8, 0x80
	v_cmp_ne_u32_e32 vcc, s8, v26
	v_bfrev_b32_e32 v32, 1
	s_and_saveexec_b64 s[8:9], vcc
	s_cbranch_execz .LBB387_321
; %bb.318:
	v_bfe_u32 v28, v22, 24, 7
	s_movk_i32 s11, 0x7f
	v_cmp_ne_u32_e32 vcc, s11, v28
	v_mov_b32_e32 v32, 0x7f800001
	s_and_saveexec_b64 s[20:21], vcc
	s_cbranch_execz .LBB387_320
; %bb.319:
	v_and_b32_e32 v34, 7, v26
	v_ffbh_u32_e32 v32, v34
	v_min_u32_e32 v36, 32, v32
	v_subrev_u32_e32 v32, 28, v36
	v_lshlrev_b64 v[32:33], v32, v[26:27]
	v_lshrrev_b32_e32 v35, 3, v28
	v_sub_u32_e32 v33, 29, v36
	v_and_b32_e32 v32, 7, v32
	v_cmp_gt_u32_e32 vcc, 8, v28
	v_cndmask_b32_e32 v28, v35, v33, vcc
	v_cndmask_b32_e32 v32, v34, v32, vcc
	v_lshlrev_b32_e32 v26, 24, v26
	v_bfrev_b32_e32 v33, 60
	v_lshlrev_b32_e32 v32, 20, v32
	v_and_b32_e32 v26, 0x80000000, v26
	v_lshl_add_u32 v28, v28, 23, v33
	v_or3_b32 v32, v26, v28, v32
.LBB387_320:
	s_or_b64 exec, exec, s[20:21]
.LBB387_321:
	s_or_b64 exec, exec, s[8:9]
.LBB387_322:
	s_or_b64 exec, exec, s[2:3]
	v_mov_b32_e32 v26, v23
	v_cmp_ne_u16_sdwa s[8:9], v23, v27 src0_sel:BYTE_0 src1_sel:DWORD
	s_and_saveexec_b64 s[2:3], s[8:9]
	s_cbranch_execz .LBB387_328
; %bb.323:
	s_movk_i32 s8, 0x80
	v_cmp_ne_u16_sdwa s[20:21], v23, s8 src0_sel:BYTE_0 src1_sel:DWORD
	v_bfrev_b32_e32 v28, 1
	s_and_saveexec_b64 s[8:9], s[20:21]
	s_cbranch_execz .LBB387_327
; %bb.324:
	s_movk_i32 s11, 0x7f
	v_and_b32_e32 v33, 0x7f, v23
	v_cmp_ne_u32_e32 vcc, s11, v33
	v_mov_b32_e32 v28, 0x7f800001
	s_and_saveexec_b64 s[20:21], vcc
	s_cbranch_execz .LBB387_326
; %bb.325:
	v_and_b32_e32 v28, 7, v23
	v_ffbh_u32_e32 v28, v28
	v_min_u32_e32 v28, 32, v28
	v_subrev_u32_e32 v35, 28, v28
	v_cmp_gt_u32_e32 vcc, 8, v33
	v_lshrrev_b32_e32 v34, 3, v33
	v_sub_u32_e32 v28, 29, v28
	v_cndmask_b32_e32 v33, 0, v35, vcc
	v_cndmask_b32_e32 v28, v34, v28, vcc
	v_lshlrev_b64 v[34:35], v33, v[26:27]
	v_lshlrev_b32_e32 v27, 20, v34
	v_lshlrev_b32_e32 v33, 24, v26
	v_bfrev_b32_e32 v34, 60
	v_and_b32_e32 v27, 0x700000, v27
	v_and_b32_e32 v33, 0x80000000, v33
	v_lshl_add_u32 v28, v28, 23, v34
	v_or3_b32 v28, v33, v28, v27
.LBB387_326:
	s_or_b64 exec, exec, s[20:21]
.LBB387_327:
	s_or_b64 exec, exec, s[8:9]
	v_mov_b32_e32 v27, v28
.LBB387_328:
	s_or_b64 exec, exec, s[2:3]
	v_lshrrev_b16_e32 v28, 8, v26
	v_cmp_ne_u16_e32 vcc, 0, v28
	v_mov_b32_e32 v33, 0
	v_mov_b32_e32 v34, 0
	s_and_saveexec_b64 s[2:3], vcc
	s_cbranch_execz .LBB387_334
; %bb.329:
	s_movk_i32 s8, 0x80
	v_cmp_ne_u16_e32 vcc, s8, v28
	v_bfrev_b32_e32 v34, 1
	s_and_saveexec_b64 s[8:9], vcc
	s_cbranch_execz .LBB387_333
; %bb.330:
	s_movk_i32 s11, 0x7f
	v_and_b32_e32 v35, 0x7f, v28
	v_cmp_ne_u32_e32 vcc, s11, v35
	v_mov_b32_e32 v34, 0x7f800001
	s_and_saveexec_b64 s[20:21], vcc
	s_cbranch_execz .LBB387_332
; %bb.331:
	v_and_b32_e32 v34, 7, v28
	v_ffbh_u32_e32 v36, v34
	v_min_u32_e32 v40, 32, v36
	v_subrev_u32_e32 v36, 28, v40
	v_lshlrev_b64 v[36:37], v36, v[28:29]
	v_lshrrev_b32_e32 v39, 3, v35
	v_sub_u32_e32 v28, 29, v40
	v_and_b32_e32 v36, 7, v36
	v_cmp_gt_u32_e32 vcc, 8, v35
	v_cndmask_b32_e32 v28, v39, v28, vcc
	v_cndmask_b32_e32 v34, v34, v36, vcc
	v_lshlrev_b32_e32 v26, 16, v26
	v_bfrev_b32_e32 v35, 60
	v_lshlrev_b32_e32 v34, 20, v34
	v_and_b32_e32 v26, 0x80000000, v26
	v_lshl_add_u32 v28, v28, 23, v35
	v_or3_b32 v34, v26, v28, v34
.LBB387_332:
	s_or_b64 exec, exec, s[20:21]
.LBB387_333:
	s_or_b64 exec, exec, s[8:9]
.LBB387_334:
	s_or_b64 exec, exec, s[2:3]
	s_movk_i32 s2, 0xff
	v_and_b32_sdwa v28, v23, s2 dst_sel:DWORD dst_unused:UNUSED_PAD src0_sel:WORD_1 src1_sel:DWORD
	v_lshrrev_b32_e32 v26, 16, v23
	v_cmp_ne_u16_e32 vcc, 0, v28
	s_and_saveexec_b64 s[2:3], vcc
	s_cbranch_execz .LBB387_340
; %bb.335:
	s_movk_i32 s8, 0x80
	v_cmp_ne_u16_e32 vcc, s8, v28
	v_bfrev_b32_e32 v33, 1
	s_and_saveexec_b64 s[8:9], vcc
	s_cbranch_execz .LBB387_339
; %bb.336:
	v_bfe_u32 v28, v23, 16, 7
	s_movk_i32 s11, 0x7f
	v_cmp_ne_u32_e32 vcc, s11, v28
	v_mov_b32_e32 v33, 0x7f800001
	s_and_saveexec_b64 s[20:21], vcc
	s_cbranch_execz .LBB387_338
; %bb.337:
	v_and_b32_e32 v33, 7, v26
	v_ffbh_u32_e32 v36, v33
	v_min_u32_e32 v39, 32, v36
	v_subrev_u32_e32 v36, 28, v39
	v_lshlrev_b64 v[36:37], v36, v[26:27]
	v_and_b32_e32 v36, 7, v36
	v_cmp_gt_u32_e32 vcc, 8, v28
	v_lshrrev_b32_e32 v35, 3, v28
	v_sub_u32_e32 v26, 29, v39
	v_cndmask_b32_e32 v28, v33, v36, vcc
	v_mov_b32_e32 v33, 24
	v_cndmask_b32_e32 v26, v35, v26, vcc
	v_lshlrev_b32_sdwa v33, v33, v23 dst_sel:DWORD dst_unused:UNUSED_PAD src0_sel:DWORD src1_sel:WORD_1
	v_bfrev_b32_e32 v35, 60
	v_lshlrev_b32_e32 v28, 20, v28
	v_and_b32_e32 v33, 0x80000000, v33
	v_lshl_add_u32 v26, v26, 23, v35
	v_or3_b32 v33, v33, v26, v28
.LBB387_338:
	s_or_b64 exec, exec, s[20:21]
.LBB387_339:
	s_or_b64 exec, exec, s[8:9]
.LBB387_340:
	s_or_b64 exec, exec, s[2:3]
	s_mov_b32 s2, -1
	s_mov_b32 s3, 0xffffff
	v_cmp_lt_u64_e32 vcc, s[2:3], v[22:23]
	v_mov_b32_e32 v28, 0
	v_mov_b32_e32 v26, 0
	s_and_saveexec_b64 s[2:3], vcc
	s_cbranch_execz .LBB387_346
; %bb.341:
	v_lshrrev_b32_e32 v22, 24, v23
	s_movk_i32 s8, 0x80
	v_cmp_ne_u32_e32 vcc, s8, v22
	v_bfrev_b32_e32 v26, 1
	s_and_saveexec_b64 s[8:9], vcc
	s_cbranch_execz .LBB387_345
; %bb.342:
	v_bfe_u32 v23, v23, 24, 7
	s_movk_i32 s11, 0x7f
	v_cmp_ne_u32_e32 vcc, s11, v23
	v_mov_b32_e32 v26, 0x7f800001
	s_and_saveexec_b64 s[20:21], vcc
	s_cbranch_execz .LBB387_344
; %bb.343:
	v_and_b32_e32 v26, 7, v22
	v_ffbh_u32_e32 v36, v26
	v_min_u32_e32 v39, 32, v36
	v_subrev_u32_e32 v36, 28, v39
	v_lshlrev_b64 v[36:37], v36, v[22:23]
	v_lshrrev_b32_e32 v35, 3, v23
	v_sub_u32_e32 v37, 29, v39
	v_and_b32_e32 v36, 7, v36
	v_cmp_gt_u32_e32 vcc, 8, v23
	v_cndmask_b32_e32 v23, v35, v37, vcc
	v_cndmask_b32_e32 v26, v26, v36, vcc
	v_lshlrev_b32_e32 v22, 24, v22
	v_bfrev_b32_e32 v35, 60
	v_lshlrev_b32_e32 v26, 20, v26
	v_and_b32_e32 v22, 0x80000000, v22
	v_lshl_add_u32 v23, v23, 23, v35
	v_or3_b32 v26, v22, v23, v26
.LBB387_344:
	s_or_b64 exec, exec, s[20:21]
.LBB387_345:
	s_or_b64 exec, exec, s[8:9]
.LBB387_346:
	s_or_b64 exec, exec, s[2:3]
	v_cvt_pkrtz_f16_f32 v22, v30, v31
	v_cvt_pkrtz_f16_f32 v23, v29, v32
	;; [unrolled: 1-line block ×4, first 2 shown]
	v_mfma_f32_4x4x4f16 a[0:3], v[18:19], v[22:23], a[0:3] cbsz:4 abid:6
	v_cmp_ne_u16_sdwa s[8:9], v24, v28 src0_sel:BYTE_0 src1_sel:DWORD
	v_mfma_f32_4x4x4f16 a[0:3], v[20:21], v[30:31], a[0:3] cbsz:4 abid:6
	s_and_saveexec_b64 s[2:3], s[8:9]
	s_cbranch_execz .LBB387_352
; %bb.347:
	s_movk_i32 s8, 0x80
	v_cmp_ne_u16_sdwa s[20:21], v24, s8 src0_sel:BYTE_0 src1_sel:DWORD
	v_bfrev_b32_e32 v28, 1
	s_and_saveexec_b64 s[8:9], s[20:21]
	s_cbranch_execz .LBB387_351
; %bb.348:
	s_movk_i32 s11, 0x7f
	v_and_b32_e32 v22, 0x7f, v24
	v_cmp_ne_u32_e32 vcc, s11, v22
	v_mov_b32_e32 v28, 0x7f800001
	s_and_saveexec_b64 s[20:21], vcc
	s_cbranch_execz .LBB387_350
; %bb.349:
	v_and_b32_e32 v23, 7, v24
	v_ffbh_u32_e32 v23, v23
	v_min_u32_e32 v23, 32, v23
	v_subrev_u32_e32 v27, 28, v23
	v_cmp_gt_u32_e32 vcc, 8, v22
	v_lshrrev_b32_e32 v26, 3, v22
	v_sub_u32_e32 v23, 29, v23
	v_cndmask_b32_e32 v22, 0, v27, vcc
	v_cndmask_b32_e32 v26, v26, v23, vcc
	v_lshlrev_b64 v[22:23], v22, v[24:25]
	v_lshlrev_b32_e32 v22, 20, v22
	v_lshlrev_b32_e32 v23, 24, v24
	v_bfrev_b32_e32 v27, 60
	v_and_b32_e32 v22, 0x700000, v22
	v_and_b32_e32 v23, 0x80000000, v23
	v_lshl_add_u32 v26, v26, 23, v27
	v_or3_b32 v28, v23, v26, v22
.LBB387_350:
	s_or_b64 exec, exec, s[20:21]
.LBB387_351:
	s_or_b64 exec, exec, s[8:9]
.LBB387_352:
	s_or_b64 exec, exec, s[2:3]
	v_lshrrev_b16_e32 v22, 8, v24
	v_cmp_ne_u16_e32 vcc, 0, v22
	v_mov_b32_e32 v27, 0
	v_mov_b32_e32 v29, 0
	s_and_saveexec_b64 s[2:3], vcc
	s_cbranch_execz .LBB387_358
; %bb.353:
	s_movk_i32 s8, 0x80
	v_cmp_ne_u16_e32 vcc, s8, v22
	v_bfrev_b32_e32 v29, 1
	s_and_saveexec_b64 s[8:9], vcc
	s_cbranch_execz .LBB387_357
; %bb.354:
	s_movk_i32 s11, 0x7f
	v_and_b32_e32 v23, 0x7f, v22
	v_cmp_ne_u32_e32 vcc, s11, v23
	v_mov_b32_e32 v29, 0x7f800001
	s_and_saveexec_b64 s[20:21], vcc
	s_cbranch_execz .LBB387_356
; %bb.355:
	v_and_b32_e32 v26, 7, v22
	v_ffbh_u32_e32 v30, v26
	v_min_u32_e32 v32, 32, v30
	v_subrev_u32_e32 v30, 28, v32
	v_lshlrev_b64 v[30:31], v30, v[22:23]
	v_lshrrev_b32_e32 v29, 3, v23
	v_sub_u32_e32 v22, 29, v32
	v_and_b32_e32 v30, 7, v30
	v_cmp_gt_u32_e32 vcc, 8, v23
	v_cndmask_b32_e32 v22, v29, v22, vcc
	v_cndmask_b32_e32 v23, v26, v30, vcc
	v_lshlrev_b32_e32 v26, 16, v24
	v_bfrev_b32_e32 v29, 60
	v_lshlrev_b32_e32 v23, 20, v23
	v_and_b32_e32 v26, 0x80000000, v26
	v_lshl_add_u32 v22, v22, 23, v29
	v_or3_b32 v29, v26, v22, v23
.LBB387_356:
	s_or_b64 exec, exec, s[20:21]
.LBB387_357:
	s_or_b64 exec, exec, s[8:9]
.LBB387_358:
	s_or_b64 exec, exec, s[2:3]
	s_movk_i32 s2, 0xff
	v_and_b32_sdwa v23, v24, s2 dst_sel:DWORD dst_unused:UNUSED_PAD src0_sel:WORD_1 src1_sel:DWORD
	v_lshrrev_b32_e32 v22, 16, v24
	v_cmp_ne_u16_e32 vcc, 0, v23
	s_and_saveexec_b64 s[2:3], vcc
	s_cbranch_execz .LBB387_364
; %bb.359:
	s_movk_i32 s8, 0x80
	v_cmp_ne_u16_e32 vcc, s8, v23
	v_bfrev_b32_e32 v27, 1
	s_and_saveexec_b64 s[8:9], vcc
	s_cbranch_execz .LBB387_363
; %bb.360:
	v_bfe_u32 v23, v24, 16, 7
	s_movk_i32 s11, 0x7f
	v_cmp_ne_u32_e32 vcc, s11, v23
	v_mov_b32_e32 v27, 0x7f800001
	s_and_saveexec_b64 s[20:21], vcc
	s_cbranch_execz .LBB387_362
; %bb.361:
	v_and_b32_e32 v30, 7, v22
	v_ffbh_u32_e32 v26, v30
	v_min_u32_e32 v32, 32, v26
	v_subrev_u32_e32 v26, 28, v32
	v_lshlrev_b64 v[26:27], v26, v[22:23]
	v_and_b32_e32 v26, 7, v26
	v_cmp_gt_u32_e32 vcc, 8, v23
	v_lshrrev_b32_e32 v31, 3, v23
	v_sub_u32_e32 v22, 29, v32
	v_cndmask_b32_e32 v23, v30, v26, vcc
	v_mov_b32_e32 v26, 24
	v_cndmask_b32_e32 v22, v31, v22, vcc
	v_lshlrev_b32_sdwa v26, v26, v24 dst_sel:DWORD dst_unused:UNUSED_PAD src0_sel:DWORD src1_sel:WORD_1
	v_bfrev_b32_e32 v27, 60
	v_lshlrev_b32_e32 v23, 20, v23
	v_and_b32_e32 v26, 0x80000000, v26
	v_lshl_add_u32 v22, v22, 23, v27
	v_or3_b32 v27, v26, v22, v23
.LBB387_362:
	s_or_b64 exec, exec, s[20:21]
.LBB387_363:
	s_or_b64 exec, exec, s[8:9]
.LBB387_364:
	s_or_b64 exec, exec, s[2:3]
	s_mov_b32 s2, 0xffffff
	v_cmp_lt_u32_e32 vcc, s2, v24
	v_mov_b32_e32 v23, 0
	v_mov_b32_e32 v30, 0
	s_and_saveexec_b64 s[2:3], vcc
	s_cbranch_execz .LBB387_370
; %bb.365:
	v_lshrrev_b32_e32 v22, 24, v24
	s_movk_i32 s8, 0x80
	v_cmp_ne_u32_e32 vcc, s8, v22
	v_bfrev_b32_e32 v30, 1
	s_and_saveexec_b64 s[8:9], vcc
	s_cbranch_execz .LBB387_369
; %bb.366:
	v_bfe_u32 v26, v24, 24, 7
	s_movk_i32 s11, 0x7f
	v_cmp_ne_u32_e32 vcc, s11, v26
	v_mov_b32_e32 v30, 0x7f800001
	s_and_saveexec_b64 s[20:21], vcc
	s_cbranch_execz .LBB387_368
; %bb.367:
	v_and_b32_e32 v32, 7, v22
	v_ffbh_u32_e32 v30, v32
	v_min_u32_e32 v34, 32, v30
	v_subrev_u32_e32 v30, 28, v34
	v_lshlrev_b64 v[30:31], v30, v[22:23]
	v_lshrrev_b32_e32 v33, 3, v26
	v_sub_u32_e32 v31, 29, v34
	v_and_b32_e32 v30, 7, v30
	v_cmp_gt_u32_e32 vcc, 8, v26
	v_cndmask_b32_e32 v26, v33, v31, vcc
	v_cndmask_b32_e32 v30, v32, v30, vcc
	v_lshlrev_b32_e32 v22, 24, v22
	v_bfrev_b32_e32 v31, 60
	v_lshlrev_b32_e32 v30, 20, v30
	v_and_b32_e32 v22, 0x80000000, v22
	v_lshl_add_u32 v26, v26, 23, v31
	v_or3_b32 v30, v22, v26, v30
.LBB387_368:
	s_or_b64 exec, exec, s[20:21]
.LBB387_369:
	s_or_b64 exec, exec, s[8:9]
.LBB387_370:
	s_or_b64 exec, exec, s[2:3]
	v_mov_b32_e32 v22, v25
	v_cmp_ne_u16_sdwa s[8:9], v25, v23 src0_sel:BYTE_0 src1_sel:DWORD
	s_and_saveexec_b64 s[2:3], s[8:9]
	s_cbranch_execz .LBB387_376
; %bb.371:
	s_movk_i32 s8, 0x80
	v_cmp_ne_u16_sdwa s[20:21], v25, s8 src0_sel:BYTE_0 src1_sel:DWORD
	v_bfrev_b32_e32 v26, 1
	s_and_saveexec_b64 s[8:9], s[20:21]
	s_cbranch_execz .LBB387_375
; %bb.372:
	s_movk_i32 s11, 0x7f
	v_and_b32_e32 v31, 0x7f, v25
	v_cmp_ne_u32_e32 vcc, s11, v31
	v_mov_b32_e32 v26, 0x7f800001
	s_and_saveexec_b64 s[20:21], vcc
	s_cbranch_execz .LBB387_374
; %bb.373:
	v_and_b32_e32 v26, 7, v25
	v_ffbh_u32_e32 v26, v26
	v_min_u32_e32 v26, 32, v26
	v_subrev_u32_e32 v33, 28, v26
	v_cmp_gt_u32_e32 vcc, 8, v31
	v_lshrrev_b32_e32 v32, 3, v31
	v_sub_u32_e32 v26, 29, v26
	v_cndmask_b32_e32 v31, 0, v33, vcc
	v_cndmask_b32_e32 v26, v32, v26, vcc
	v_lshlrev_b64 v[32:33], v31, v[22:23]
	v_lshlrev_b32_e32 v23, 20, v32
	v_lshlrev_b32_e32 v31, 24, v22
	v_bfrev_b32_e32 v32, 60
	v_and_b32_e32 v23, 0x700000, v23
	v_and_b32_e32 v31, 0x80000000, v31
	v_lshl_add_u32 v26, v26, 23, v32
	v_or3_b32 v26, v31, v26, v23
.LBB387_374:
	s_or_b64 exec, exec, s[20:21]
.LBB387_375:
	s_or_b64 exec, exec, s[8:9]
	v_mov_b32_e32 v23, v26
.LBB387_376:
	s_or_b64 exec, exec, s[2:3]
	v_lshrrev_b16_e32 v26, 8, v22
	v_cmp_ne_u16_e32 vcc, 0, v26
	v_mov_b32_e32 v31, 0
	v_mov_b32_e32 v32, 0
	s_and_saveexec_b64 s[2:3], vcc
	s_cbranch_execz .LBB387_382
; %bb.377:
	s_movk_i32 s8, 0x80
	v_cmp_ne_u16_e32 vcc, s8, v26
	v_bfrev_b32_e32 v32, 1
	s_and_saveexec_b64 s[8:9], vcc
	s_cbranch_execz .LBB387_381
; %bb.378:
	s_movk_i32 s11, 0x7f
	v_and_b32_e32 v33, 0x7f, v26
	v_cmp_ne_u32_e32 vcc, s11, v33
	v_mov_b32_e32 v32, 0x7f800001
	s_and_saveexec_b64 s[20:21], vcc
	s_cbranch_execz .LBB387_380
; %bb.379:
	v_and_b32_e32 v32, 7, v26
	v_ffbh_u32_e32 v34, v32
	v_min_u32_e32 v37, 32, v34
	v_subrev_u32_e32 v34, 28, v37
	v_lshlrev_b64 v[34:35], v34, v[26:27]
	v_lshrrev_b32_e32 v36, 3, v33
	v_sub_u32_e32 v26, 29, v37
	v_and_b32_e32 v34, 7, v34
	v_cmp_gt_u32_e32 vcc, 8, v33
	v_cndmask_b32_e32 v26, v36, v26, vcc
	v_cndmask_b32_e32 v32, v32, v34, vcc
	v_lshlrev_b32_e32 v22, 16, v22
	v_bfrev_b32_e32 v33, 60
	v_lshlrev_b32_e32 v32, 20, v32
	v_and_b32_e32 v22, 0x80000000, v22
	v_lshl_add_u32 v26, v26, 23, v33
	v_or3_b32 v32, v22, v26, v32
.LBB387_380:
	s_or_b64 exec, exec, s[20:21]
.LBB387_381:
	s_or_b64 exec, exec, s[8:9]
.LBB387_382:
	s_or_b64 exec, exec, s[2:3]
	s_movk_i32 s2, 0xff
	v_and_b32_sdwa v26, v25, s2 dst_sel:DWORD dst_unused:UNUSED_PAD src0_sel:WORD_1 src1_sel:DWORD
	v_lshrrev_b32_e32 v22, 16, v25
	v_cmp_ne_u16_e32 vcc, 0, v26
	s_and_saveexec_b64 s[2:3], vcc
	s_cbranch_execz .LBB387_388
; %bb.383:
	s_movk_i32 s8, 0x80
	v_cmp_ne_u16_e32 vcc, s8, v26
	v_bfrev_b32_e32 v31, 1
	s_and_saveexec_b64 s[8:9], vcc
	s_cbranch_execz .LBB387_387
; %bb.384:
	v_bfe_u32 v26, v25, 16, 7
	s_movk_i32 s11, 0x7f
	v_cmp_ne_u32_e32 vcc, s11, v26
	v_mov_b32_e32 v31, 0x7f800001
	s_and_saveexec_b64 s[20:21], vcc
	s_cbranch_execz .LBB387_386
; %bb.385:
	v_and_b32_e32 v31, 7, v22
	v_ffbh_u32_e32 v34, v31
	v_min_u32_e32 v36, 32, v34
	v_subrev_u32_e32 v34, 28, v36
	v_lshlrev_b64 v[34:35], v34, v[22:23]
	v_and_b32_e32 v34, 7, v34
	v_cmp_gt_u32_e32 vcc, 8, v26
	v_lshrrev_b32_e32 v33, 3, v26
	v_sub_u32_e32 v22, 29, v36
	v_cndmask_b32_e32 v26, v31, v34, vcc
	v_mov_b32_e32 v31, 24
	v_cndmask_b32_e32 v22, v33, v22, vcc
	v_lshlrev_b32_sdwa v31, v31, v25 dst_sel:DWORD dst_unused:UNUSED_PAD src0_sel:DWORD src1_sel:WORD_1
	v_bfrev_b32_e32 v33, 60
	v_lshlrev_b32_e32 v26, 20, v26
	v_and_b32_e32 v31, 0x80000000, v31
	v_lshl_add_u32 v22, v22, 23, v33
	v_or3_b32 v31, v31, v22, v26
.LBB387_386:
	s_or_b64 exec, exec, s[20:21]
.LBB387_387:
	s_or_b64 exec, exec, s[8:9]
.LBB387_388:
	s_or_b64 exec, exec, s[2:3]
	s_mov_b32 s2, -1
	s_mov_b32 s3, 0xffffff
	v_cmp_lt_u64_e32 vcc, s[2:3], v[24:25]
	v_mov_b32_e32 v24, 0
	s_and_saveexec_b64 s[2:3], vcc
	s_cbranch_execz .LBB387_394
; %bb.389:
	v_lshrrev_b32_e32 v22, 24, v25
	s_movk_i32 s8, 0x80
	v_cmp_ne_u32_e32 vcc, s8, v22
	v_bfrev_b32_e32 v24, 1
	s_and_saveexec_b64 s[8:9], vcc
	s_cbranch_execz .LBB387_393
; %bb.390:
	v_bfe_u32 v25, v25, 24, 7
	s_movk_i32 s11, 0x7f
	v_cmp_ne_u32_e32 vcc, s11, v25
	v_mov_b32_e32 v24, 0x7f800001
	s_and_saveexec_b64 s[20:21], vcc
	s_cbranch_execz .LBB387_392
; %bb.391:
	v_and_b32_e32 v24, 7, v22
	v_ffbh_u32_e32 v33, v24
	v_min_u32_e32 v33, 32, v33
	v_subrev_u32_e32 v34, 28, v33
	v_lshlrev_b64 v[34:35], v34, v[22:23]
	v_lshrrev_b32_e32 v26, 3, v25
	v_sub_u32_e32 v33, 29, v33
	v_and_b32_e32 v34, 7, v34
	v_cmp_gt_u32_e32 vcc, 8, v25
	v_cndmask_b32_e32 v25, v26, v33, vcc
	v_cndmask_b32_e32 v24, v24, v34, vcc
	v_lshlrev_b32_e32 v22, 24, v22
	v_bfrev_b32_e32 v26, 60
	v_lshlrev_b32_e32 v24, 20, v24
	v_and_b32_e32 v22, 0x80000000, v22
	v_lshl_add_u32 v25, v25, 23, v26
	v_or3_b32 v24, v22, v25, v24
.LBB387_392:
	s_or_b64 exec, exec, s[20:21]
.LBB387_393:
	s_or_b64 exec, exec, s[8:9]
.LBB387_394:
	s_or_b64 exec, exec, s[2:3]
	s_load_dword s2, s[4:5], 0x1c
	v_cvt_pkrtz_f16_f32 v26, v28, v29
	v_cvt_pkrtz_f16_f32 v27, v27, v30
	s_load_dword s3, s[12:13], 0x0
	v_cvt_pkrtz_f16_f32 v22, v23, v32
	v_mfma_f32_4x4x4f16 a[0:3], v[18:19], v[26:27], a[0:3] cbsz:4 abid:7
	v_cvt_pkrtz_f16_f32 v23, v31, v24
	s_waitcnt lgkmcnt(0)
	v_mov_b32_e32 v18, s2
	v_cmp_eq_u32_e32 vcc, 0, v44
	v_mfma_f32_4x4x4f16 a[0:3], v[20:21], v[22:23], a[0:3] cbsz:4 abid:7
	v_mul_f32_e32 v20, s3, v18
	v_mov_b32_e32 v25, 0xff7fffff
	s_nop 2
	v_accvgpr_read_b32 v23, a1
	v_accvgpr_read_b32 v22, a0
	v_pk_mul_f32 v[22:23], v[22:23], v[20:21] op_sel_hi:[1,0]
	v_accvgpr_read_b32 v19, a3
	v_accvgpr_read_b32 v18, a2
	v_pk_mul_f32 v[18:19], v[18:19], v[20:21] op_sel_hi:[1,0]
	v_cndmask_b32_e64 v20, 0, 1.0, vcc
	v_cmp_eq_u32_e32 vcc, 1, v44
	s_nop 0
	v_mfma_f32_4x4x1f32 a[0:3], v22, v20, 0
	v_cndmask_b32_e64 v20, 0, 1.0, vcc
	v_cmp_eq_u32_e32 vcc, 2, v44
	s_nop 0
	v_mfma_f32_4x4x1f32 a[0:3], v23, v20, a[0:3]
	v_cndmask_b32_e64 v20, 0, 1.0, vcc
	v_cmp_eq_u32_e32 vcc, 3, v44
	s_nop 0
	v_mfma_f32_4x4x1f32 a[0:3], v18, v20, a[0:3]
	v_cndmask_b32_e64 v18, 0, 1.0, vcc
	s_nop 1
	v_mfma_f32_4x4x1f32 a[0:3], v19, v18, a[0:3]
	v_and_b32_e32 v18, -4, v45
	v_subrev_u32_e32 v19, s7, v18
	v_add_u32_e32 v20, 1, v19
	v_cvt_f32_i32_e32 v20, v20
	v_add_u32_e32 v21, 2, v19
	v_cvt_f32_i32_e32 v21, v21
	v_accvgpr_read_b32 v22, a0
	s_waitcnt vmcnt(4)
	v_fma_f32 v20, v46, v20, v22
	v_accvgpr_read_b32 v22, a1
	v_fma_f32 v21, v46, v21, v22
	v_add_u32_e32 v22, 3, v19
	v_cvt_f32_i32_e32 v22, v22
	v_add_u32_e32 v19, 4, v19
	v_max_f32_e32 v24, 0xff7fffff, v20
	v_cmp_gt_i32_e32 vcc, s7, v18
	v_cvt_f32_i32_e32 v19, v19
	v_cndmask_b32_e32 v24, v25, v24, vcc
	v_or_b32_e32 v25, 1, v18
	v_accvgpr_read_b32 v23, a2
	v_max_f32_e32 v26, v24, v21
	v_cmp_gt_i32_e64 s[2:3], s7, v25
	v_fma_f32 v22, v46, v22, v23
	v_cndmask_b32_e64 v24, v24, v26, s[2:3]
	v_or_b32_e32 v18, 2, v18
	v_accvgpr_read_b32 v23, a3
	v_max_f32_e32 v25, v24, v22
	v_cmp_gt_i32_e64 s[4:5], s7, v18
	v_fmac_f32_e32 v23, v46, v19
	v_cndmask_b32_e64 v18, v24, v25, s[4:5]
	v_or_b32_e32 v24, 3, v45
	v_max_f32_e32 v25, v18, v23
	v_cmp_gt_i32_e64 s[8:9], s7, v24
	v_lshlrev_b32_e32 v19, 2, v0
	v_cndmask_b32_e64 v18, v18, v25, s[8:9]
	v_and_or_b32 v19, v19, 48, v44
	;;#ASMSTART
	v_nop
 v_nop
 v_max_f32_dpp v18, v18, v18 row_ror:4
	;;#ASMEND
	v_lshlrev_b32_e32 v24, 2, v19
	;;#ASMSTART
	v_nop
 v_nop
 v_max_f32_dpp v18, v18, v18 row_ror:8
	;;#ASMEND
	ds_bpermute_b32 v18, v24, v18
	s_waitcnt lgkmcnt(0)
	;;#ASMSTART
	v_nop
 v_nop
 v_max_f32_dpp v18, v18, v18 row_ror:4
	;;#ASMEND
	;;#ASMSTART
	v_nop
 v_nop
 v_max_f32_dpp v26, v18, v18 row_ror:8
	;;#ASMEND
	v_sub_f32_e32 v18, v20, v26
	v_mul_f32_e32 v18, 0x3fb8aa3b, v18
	v_sub_f32_e32 v19, v21, v26
	v_exp_f32_e32 v18, v18
	v_mul_f32_e32 v19, 0x3fb8aa3b, v19
	v_sub_f32_e32 v21, v22, v26
	v_exp_f32_e32 v19, v19
	;; [unrolled: 3-line block ×3, first 2 shown]
	v_mul_f32_e32 v22, 0x3fb8aa3b, v22
	v_exp_f32_e32 v22, v22
	v_cndmask_b32_e32 v18, 0, v18, vcc
	v_add_f32_e32 v20, 0, v18
	v_cndmask_b32_e64 v19, 0, v19, s[2:3]
	v_add_f32_e32 v23, v20, v19
	v_cndmask_b32_e64 v20, 0, v21, s[4:5]
	;; [unrolled: 2-line block ×3, first 2 shown]
	v_add_f32_e32 v22, v23, v21
	;;#ASMSTART
	v_nop
 v_nop
 v_add_f32_dpp v22, v22, v22 row_ror:4
	;;#ASMEND
	;;#ASMSTART
	v_nop
 v_nop
 v_add_f32_dpp v22, v22, v22 row_ror:8
	;;#ASMEND
	ds_bpermute_b32 v22, v24, v22
	s_waitcnt lgkmcnt(0)
	;;#ASMSTART
	v_nop
 v_nop
 v_add_f32_dpp v22, v22, v22 row_ror:4
	;;#ASMEND
	v_cmp_gt_u32_e32 vcc, 4, v1
	;;#ASMSTART
	v_nop
 v_nop
 v_add_f32_dpp v22, v22, v22 row_ror:8
	;;#ASMEND
	s_and_saveexec_b64 s[2:3], vcc
	s_cbranch_execz .LBB387_396
; %bb.395:
	v_mul_u32_u24_e32 v23, 20, v43
	v_lshl_add_u32 v23, v44, 2, v23
	v_add_u32_e32 v23, 0x800, v23
	ds_write2_b32 v23, v26, v22 offset0:128 offset1:148
.LBB387_396:
	s_or_b64 exec, exec, s[2:3]
.LBB387_397:
	s_or_b64 exec, exec, s[34:35]
	v_lshlrev_b32_e32 v22, 2, v44
	v_add_u32_e32 v30, 0x800, v22
	s_waitcnt lgkmcnt(0)
	s_barrier
	s_load_dword s2, s[30:31], 0x8
	ds_read2_b32 v[22:23], v30 offset0:128 offset1:133
	ds_read2_b32 v[24:25], v30 offset0:138 offset1:143
	s_mov_b32 s7, 0xff7fffff
	s_mul_i32 s3, s6, s44
	ds_read2_b32 v[28:29], v30 offset0:148 offset1:153
	s_waitcnt lgkmcnt(0)
	v_max3_f32 v27, v22, s7, v23
	v_max3_f32 v27, v27, v24, v25
	v_sub_f32_e32 v22, v22, v27
	v_mul_f32_e32 v22, 0x3fb8aa3b, v22
	v_exp_f32_e32 v31, v22
	v_sub_f32_e32 v22, v23, v27
	s_mul_i32 s3, s3, s2
	v_mul_f32_e32 v22, 0x3fb8aa3b, v22
	v_sub_f32_e32 v24, v24, v27
	s_lshl_b32 s2, s3, 2
	s_mov_b32 s3, 0
	v_exp_f32_e32 v32, v22
	ds_read2_b32 v[22:23], v30 offset0:158 offset1:163
	v_mul_f32_e32 v24, 0x3fb8aa3b, v24
	v_sub_f32_e32 v25, v25, v27
	s_lshl_b64 s[4:5], s[2:3], 2
	v_exp_f32_e32 v24, v24
	v_mul_f32_e32 v25, 0x3fb8aa3b, v25
	s_mov_b32 s11, s3
	s_add_u32 s3, s16, s4
	v_exp_f32_e32 v25, v25
	s_addc_u32 s6, s17, s5
	v_fma_f32 v28, v31, v28, 0
	s_add_u32 s7, s18, s4
	v_fmac_f32_e32 v28, v32, v29
	s_addc_u32 s8, s19, s5
	s_lshl_b64 s[4:5], s[10:11], 2
	s_waitcnt lgkmcnt(0)
	v_fmac_f32_e32 v28, v24, v22
	s_add_u32 s7, s7, s4
	v_fmac_f32_e32 v28, v25, v23
	v_mul_lo_u32 v22, s44, v38
	v_mov_b32_e32 v23, 0
	s_addc_u32 s8, s8, s5
	v_lshlrev_b64 v[24:25], 2, v[22:23]
	s_add_u32 s3, s3, s4
	v_mov_b32_e32 v22, s8
	v_add_co_u32_e32 v30, vcc, s7, v24
	s_addc_u32 s4, s6, s5
	v_addc_co_u32_e32 v31, vcc, v22, v25, vcc
	v_mov_b32_e32 v22, s4
	v_add_co_u32_e32 v24, vcc, s3, v24
	v_addc_co_u32_e32 v25, vcc, v22, v25, vcc
	global_store_dword v[24:25], v28, off
	v_lshlrev_b32_e32 v25, 3, v43
	global_store_dword v[30:31], v27, off
	s_and_saveexec_b64 s[4:5], s[0:1]
	s_xor_b64 s[0:1], exec, s[4:5]
	s_cbranch_execz .LBB387_399
; %bb.398:
	s_waitcnt vmcnt(2)
	v_mad_u32_u24 v2, v1, 40, v25
	v_mov_b32_e32 v22, v23
	ds_write_b64 v2, v[22:23]
                                        ; implicit-def: $vgpr21
                                        ; implicit-def: $vgpr19
                                        ; implicit-def: $vgpr26
                                        ; implicit-def: $vgpr14_vgpr15
                                        ; implicit-def: $vgpr10_vgpr11
                                        ; implicit-def: $vgpr6_vgpr7
                                        ; implicit-def: $vgpr2_vgpr3
                                        ; implicit-def: $vgpr27
                                        ; implicit-def: $vgpr28
                                        ; implicit-def: $vgpr25
.LBB387_399:
	s_andn2_saveexec_b64 s[0:1], s[0:1]
	s_cbranch_execz .LBB387_785
; %bb.400:
	v_mov_b32_e32 v29, 0
	s_waitcnt vmcnt(5)
	v_cmp_ne_u16_sdwa s[6:7], v14, v29 src0_sel:BYTE_0 src1_sel:DWORD
	v_mov_b32_e32 v30, 0
	s_and_saveexec_b64 s[4:5], s[6:7]
	s_cbranch_execz .LBB387_406
; %bb.401:
	s_movk_i32 s3, 0x80
	v_cmp_ne_u16_sdwa s[8:9], v14, s3 src0_sel:BYTE_0 src1_sel:DWORD
	v_bfrev_b32_e32 v30, 1
	s_and_saveexec_b64 s[6:7], s[8:9]
	s_cbranch_execz .LBB387_405
; %bb.402:
	s_movk_i32 s3, 0x7f
	v_and_b32_e32 v22, 0x7f, v14
	v_cmp_ne_u32_e32 vcc, s3, v22
	v_mov_b32_e32 v30, 0x7f800001
	s_and_saveexec_b64 s[8:9], vcc
	s_cbranch_execz .LBB387_404
; %bb.403:
	v_and_b32_e32 v23, 7, v14
	v_ffbh_u32_e32 v23, v23
	v_min_u32_e32 v23, 32, v23
	v_subrev_u32_e32 v30, 28, v23
	v_cmp_gt_u32_e32 vcc, 8, v22
	v_lshrrev_b32_e32 v24, 3, v22
	v_sub_u32_e32 v23, 29, v23
	v_cndmask_b32_e32 v22, 0, v30, vcc
	v_cndmask_b32_e32 v24, v24, v23, vcc
	v_lshlrev_b64 v[22:23], v22, v[14:15]
	v_lshlrev_b32_e32 v22, 20, v22
	v_lshlrev_b32_e32 v23, 24, v14
	v_bfrev_b32_e32 v30, 60
	v_and_b32_e32 v22, 0x700000, v22
	v_and_b32_e32 v23, 0x80000000, v23
	v_lshl_add_u32 v24, v24, 23, v30
	v_or3_b32 v30, v23, v24, v22
.LBB387_404:
	s_or_b64 exec, exec, s[8:9]
.LBB387_405:
	s_or_b64 exec, exec, s[6:7]
.LBB387_406:
	s_or_b64 exec, exec, s[4:5]
	v_lshrrev_b16_e32 v22, 8, v14
	v_cmp_ne_u16_e32 vcc, 0, v22
	s_and_saveexec_b64 s[4:5], vcc
	s_cbranch_execz .LBB387_412
; %bb.407:
	s_movk_i32 s3, 0x80
	v_cmp_ne_u16_e32 vcc, s3, v22
	v_bfrev_b32_e32 v29, 1
	s_and_saveexec_b64 s[6:7], vcc
	s_cbranch_execz .LBB387_411
; %bb.408:
	s_movk_i32 s3, 0x7f
	v_and_b32_e32 v23, 0x7f, v22
	v_cmp_ne_u32_e32 vcc, s3, v23
	v_mov_b32_e32 v29, 0x7f800001
	s_and_saveexec_b64 s[8:9], vcc
	s_cbranch_execz .LBB387_410
; %bb.409:
	v_and_b32_e32 v24, 7, v22
	v_ffbh_u32_e32 v31, v24
	v_min_u32_e32 v31, 32, v31
	v_subrev_u32_e32 v32, 28, v31
	v_lshlrev_b64 v[32:33], v32, v[22:23]
	v_lshrrev_b32_e32 v29, 3, v23
	v_sub_u32_e32 v22, 29, v31
	v_and_b32_e32 v31, 7, v32
	v_cmp_gt_u32_e32 vcc, 8, v23
	v_cndmask_b32_e32 v22, v29, v22, vcc
	v_cndmask_b32_e32 v23, v24, v31, vcc
	v_lshlrev_b32_e32 v24, 16, v14
	v_bfrev_b32_e32 v29, 60
	v_lshlrev_b32_e32 v23, 20, v23
	v_and_b32_e32 v24, 0x80000000, v24
	v_lshl_add_u32 v22, v22, 23, v29
	v_or3_b32 v29, v24, v22, v23
.LBB387_410:
	s_or_b64 exec, exec, s[8:9]
.LBB387_411:
	s_or_b64 exec, exec, s[6:7]
.LBB387_412:
	s_or_b64 exec, exec, s[4:5]
	s_movk_i32 s3, 0xff
	v_and_b32_sdwa v23, v14, s3 dst_sel:DWORD dst_unused:UNUSED_PAD src0_sel:WORD_1 src1_sel:DWORD
	v_lshrrev_b32_e32 v22, 16, v14
	v_cmp_ne_u16_e32 vcc, 0, v23
	v_mov_b32_e32 v31, 0
	v_mov_b32_e32 v32, 0
	s_and_saveexec_b64 s[4:5], vcc
	s_cbranch_execz .LBB387_418
; %bb.413:
	s_movk_i32 s3, 0x80
	v_cmp_ne_u16_e32 vcc, s3, v23
	v_bfrev_b32_e32 v32, 1
	s_and_saveexec_b64 s[6:7], vcc
	s_cbranch_execz .LBB387_417
; %bb.414:
	v_bfe_u32 v23, v14, 16, 7
	s_movk_i32 s3, 0x7f
	v_cmp_ne_u32_e32 vcc, s3, v23
	v_mov_b32_e32 v32, 0x7f800001
	s_and_saveexec_b64 s[8:9], vcc
	s_cbranch_execz .LBB387_416
; %bb.415:
	v_and_b32_e32 v24, 7, v22
	v_ffbh_u32_e32 v32, v24
	v_min_u32_e32 v35, 32, v32
	v_subrev_u32_e32 v32, 28, v35
	v_lshlrev_b64 v[32:33], v32, v[22:23]
	v_and_b32_e32 v32, 7, v32
	v_cmp_gt_u32_e32 vcc, 8, v23
	v_lshrrev_b32_e32 v34, 3, v23
	v_sub_u32_e32 v22, 29, v35
	v_cndmask_b32_e32 v23, v24, v32, vcc
	v_mov_b32_e32 v24, 24
	v_cndmask_b32_e32 v22, v34, v22, vcc
	v_lshlrev_b32_sdwa v24, v24, v14 dst_sel:DWORD dst_unused:UNUSED_PAD src0_sel:DWORD src1_sel:WORD_1
	v_bfrev_b32_e32 v32, 60
	v_lshlrev_b32_e32 v23, 20, v23
	v_and_b32_e32 v24, 0x80000000, v24
	v_lshl_add_u32 v22, v22, 23, v32
	v_or3_b32 v32, v24, v22, v23
.LBB387_416:
	s_or_b64 exec, exec, s[8:9]
.LBB387_417:
	s_or_b64 exec, exec, s[6:7]
.LBB387_418:
	s_or_b64 exec, exec, s[4:5]
	s_mov_b32 s3, 0xffffff
	v_cmp_lt_u32_e32 vcc, s3, v14
	s_and_saveexec_b64 s[4:5], vcc
	s_cbranch_execz .LBB387_424
; %bb.419:
	v_lshrrev_b32_e32 v22, 24, v14
	s_movk_i32 s3, 0x80
	v_cmp_ne_u32_e32 vcc, s3, v22
	v_bfrev_b32_e32 v31, 1
	s_and_saveexec_b64 s[6:7], vcc
	s_cbranch_execz .LBB387_423
; %bb.420:
	v_bfe_u32 v23, v14, 24, 7
	s_movk_i32 s3, 0x7f
	v_cmp_ne_u32_e32 vcc, s3, v23
	v_mov_b32_e32 v31, 0x7f800001
	s_and_saveexec_b64 s[8:9], vcc
	s_cbranch_execz .LBB387_422
; %bb.421:
	v_and_b32_e32 v24, 7, v22
	v_ffbh_u32_e32 v33, v24
	v_min_u32_e32 v33, 32, v33
	v_subrev_u32_e32 v34, 28, v33
	v_lshlrev_b64 v[34:35], v34, v[22:23]
	v_lshrrev_b32_e32 v31, 3, v23
	v_sub_u32_e32 v33, 29, v33
	v_and_b32_e32 v34, 7, v34
	v_cmp_gt_u32_e32 vcc, 8, v23
	v_cndmask_b32_e32 v23, v31, v33, vcc
	v_cndmask_b32_e32 v24, v24, v34, vcc
	v_lshlrev_b32_e32 v22, 24, v22
	v_bfrev_b32_e32 v31, 60
	v_lshlrev_b32_e32 v24, 20, v24
	v_and_b32_e32 v22, 0x80000000, v22
	v_lshl_add_u32 v23, v23, 23, v31
	v_or3_b32 v31, v22, v23, v24
.LBB387_422:
	s_or_b64 exec, exec, s[8:9]
.LBB387_423:
	s_or_b64 exec, exec, s[6:7]
.LBB387_424:
	s_or_b64 exec, exec, s[4:5]
	v_mov_b32_e32 v23, 0
	v_mov_b32_e32 v22, v15
	v_cmp_ne_u16_sdwa s[6:7], v15, v23 src0_sel:BYTE_0 src1_sel:DWORD
	v_mov_b32_e32 v33, v23
	s_and_saveexec_b64 s[4:5], s[6:7]
	s_cbranch_execz .LBB387_430
; %bb.425:
	s_movk_i32 s3, 0x80
	v_cmp_ne_u16_sdwa s[8:9], v15, s3 src0_sel:BYTE_0 src1_sel:DWORD
	v_bfrev_b32_e32 v33, 1
	s_and_saveexec_b64 s[6:7], s[8:9]
	s_cbranch_execz .LBB387_429
; %bb.426:
	s_movk_i32 s3, 0x7f
	v_and_b32_e32 v24, 0x7f, v15
	v_cmp_ne_u32_e32 vcc, s3, v24
	v_mov_b32_e32 v33, 0x7f800001
	s_and_saveexec_b64 s[8:9], vcc
	s_cbranch_execz .LBB387_428
; %bb.427:
	v_and_b32_e32 v33, 7, v15
	v_ffbh_u32_e32 v33, v33
	v_min_u32_e32 v33, 32, v33
	v_lshrrev_b32_e32 v34, 3, v24
	v_subrev_u32_e32 v35, 28, v33
	v_sub_u32_e32 v33, 29, v33
	v_cmp_gt_u32_e32 vcc, 8, v24
	v_cndmask_b32_e32 v24, v34, v33, vcc
	v_cndmask_b32_e32 v33, 0, v35, vcc
	v_lshlrev_b64 v[34:35], v33, v[22:23]
	v_lshlrev_b32_e32 v33, 20, v34
	v_lshlrev_b32_e32 v34, 24, v22
	v_bfrev_b32_e32 v35, 60
	v_and_b32_e32 v33, 0x700000, v33
	v_and_b32_e32 v34, 0x80000000, v34
	v_lshl_add_u32 v24, v24, 23, v35
	v_or3_b32 v33, v34, v24, v33
.LBB387_428:
	s_or_b64 exec, exec, s[8:9]
.LBB387_429:
	s_or_b64 exec, exec, s[6:7]
.LBB387_430:
	s_or_b64 exec, exec, s[4:5]
	v_lshrrev_b16_e32 v24, 8, v22
	v_cmp_ne_u16_e32 vcc, 0, v24
	s_and_saveexec_b64 s[4:5], vcc
	s_cbranch_execz .LBB387_436
; %bb.431:
	s_movk_i32 s3, 0x80
	v_cmp_ne_u16_e32 vcc, s3, v24
	v_bfrev_b32_e32 v23, 1
	s_and_saveexec_b64 s[6:7], vcc
	s_cbranch_execz .LBB387_435
; %bb.432:
	s_movk_i32 s3, 0x7f
	v_and_b32_e32 v34, 0x7f, v24
	v_cmp_ne_u32_e32 vcc, s3, v34
	v_mov_b32_e32 v23, 0x7f800001
	s_and_saveexec_b64 s[8:9], vcc
	s_cbranch_execz .LBB387_434
; %bb.433:
	v_and_b32_e32 v23, 7, v24
	v_ffbh_u32_e32 v36, v23
	v_min_u32_e32 v38, 32, v36
	v_subrev_u32_e32 v36, 28, v38
	v_lshlrev_b64 v[36:37], v36, v[24:25]
	v_lshrrev_b32_e32 v35, 3, v34
	v_sub_u32_e32 v24, 29, v38
	v_and_b32_e32 v36, 7, v36
	v_cmp_gt_u32_e32 vcc, 8, v34
	v_cndmask_b32_e32 v24, v35, v24, vcc
	v_cndmask_b32_e32 v23, v23, v36, vcc
	v_lshlrev_b32_e32 v22, 16, v22
	v_bfrev_b32_e32 v34, 60
	v_lshlrev_b32_e32 v23, 20, v23
	v_and_b32_e32 v22, 0x80000000, v22
	v_lshl_add_u32 v24, v24, 23, v34
	v_or3_b32 v23, v22, v24, v23
.LBB387_434:
	s_or_b64 exec, exec, s[8:9]
.LBB387_435:
	s_or_b64 exec, exec, s[6:7]
.LBB387_436:
	s_or_b64 exec, exec, s[4:5]
	s_movk_i32 s3, 0xff
	v_and_b32_sdwa v35, v15, s3 dst_sel:DWORD dst_unused:UNUSED_PAD src0_sel:WORD_1 src1_sel:DWORD
	v_lshrrev_b32_e32 v22, 16, v15
	v_cmp_ne_u16_e32 vcc, 0, v35
	v_mov_b32_e32 v24, 0
	v_mov_b32_e32 v34, 0
	s_and_saveexec_b64 s[4:5], vcc
	s_cbranch_execz .LBB387_442
; %bb.437:
	s_movk_i32 s3, 0x80
	v_cmp_ne_u16_e32 vcc, s3, v35
	v_bfrev_b32_e32 v34, 1
	s_and_saveexec_b64 s[6:7], vcc
	s_cbranch_execz .LBB387_441
; %bb.438:
	v_bfe_u32 v35, v15, 16, 7
	s_movk_i32 s3, 0x7f
	v_cmp_ne_u32_e32 vcc, s3, v35
	v_mov_b32_e32 v34, 0x7f800001
	s_and_saveexec_b64 s[8:9], vcc
	s_cbranch_execz .LBB387_440
; %bb.439:
	v_and_b32_e32 v34, 7, v22
	v_ffbh_u32_e32 v36, v34
	v_min_u32_e32 v39, 32, v36
	v_subrev_u32_e32 v36, 28, v39
	v_lshlrev_b64 v[36:37], v36, v[22:23]
	v_lshrrev_b32_e32 v38, 3, v35
	v_sub_u32_e32 v22, 29, v39
	v_and_b32_e32 v36, 7, v36
	v_cmp_gt_u32_e32 vcc, 8, v35
	v_mov_b32_e32 v35, 24
	v_cndmask_b32_e32 v22, v38, v22, vcc
	v_cndmask_b32_e32 v34, v34, v36, vcc
	v_lshlrev_b32_sdwa v35, v35, v15 dst_sel:DWORD dst_unused:UNUSED_PAD src0_sel:DWORD src1_sel:WORD_1
	v_bfrev_b32_e32 v36, 60
	v_lshlrev_b32_e32 v34, 20, v34
	v_and_b32_e32 v35, 0x80000000, v35
	v_lshl_add_u32 v22, v22, 23, v36
	v_or3_b32 v34, v35, v22, v34
.LBB387_440:
	s_or_b64 exec, exec, s[8:9]
.LBB387_441:
	s_or_b64 exec, exec, s[6:7]
.LBB387_442:
	s_or_b64 exec, exec, s[4:5]
	s_mov_b32 s4, -1
	s_mov_b32 s5, 0xffffff
	v_cmp_lt_u64_e32 vcc, s[4:5], v[14:15]
	s_and_saveexec_b64 s[4:5], vcc
	s_cbranch_execz .LBB387_448
; %bb.443:
	v_lshrrev_b32_e32 v14, 24, v15
	s_movk_i32 s3, 0x80
	v_cmp_ne_u32_e32 vcc, s3, v14
	v_bfrev_b32_e32 v24, 1
	s_and_saveexec_b64 s[6:7], vcc
	s_cbranch_execz .LBB387_447
; %bb.444:
	v_bfe_u32 v15, v15, 24, 7
	s_movk_i32 s3, 0x7f
	v_cmp_ne_u32_e32 vcc, s3, v15
	v_mov_b32_e32 v24, 0x7f800001
	s_and_saveexec_b64 s[8:9], vcc
	s_cbranch_execz .LBB387_446
; %bb.445:
	v_and_b32_e32 v22, 7, v14
	v_ffbh_u32_e32 v35, v22
	v_min_u32_e32 v35, 32, v35
	v_subrev_u32_e32 v36, 28, v35
	v_lshlrev_b64 v[36:37], v36, v[14:15]
	v_lshrrev_b32_e32 v24, 3, v15
	v_sub_u32_e32 v35, 29, v35
	v_and_b32_e32 v36, 7, v36
	v_cmp_gt_u32_e32 vcc, 8, v15
	v_cndmask_b32_e32 v15, v24, v35, vcc
	v_cndmask_b32_e32 v22, v22, v36, vcc
	v_lshlrev_b32_e32 v14, 24, v14
	v_bfrev_b32_e32 v24, 60
	v_lshlrev_b32_e32 v22, 20, v22
	v_and_b32_e32 v14, 0x80000000, v14
	v_lshl_add_u32 v15, v15, 23, v24
	v_or3_b32 v24, v14, v15, v22
.LBB387_446:
	s_or_b64 exec, exec, s[8:9]
.LBB387_447:
	s_or_b64 exec, exec, s[6:7]
.LBB387_448:
	s_or_b64 exec, exec, s[4:5]
	v_add_f32_e32 v14, 0x358637bd, v28
	v_div_scale_f32 v15, s[4:5], v14, v14, 1.0
	v_rcp_f32_e32 v22, v15
	v_div_scale_f32 v28, vcc, 1.0, v14, 1.0
	v_sub_f32_e32 v26, v26, v27
	v_fma_f32 v35, -v15, v22, 1.0
	v_fmac_f32_e32 v22, v35, v22
	v_mul_f32_e32 v35, v28, v22
	v_fma_f32 v36, -v15, v35, v28
	v_mul_f32_e32 v26, 0x3fb8aa3b, v26
	v_fmac_f32_e32 v35, v36, v22
	v_exp_f32_e32 v26, v26
	v_fma_f32 v15, -v15, v35, v28
	v_div_fmas_f32 v15, v15, v22, v35
	v_div_fixup_f32 v14, v15, v14, 1.0
	v_mul_f32_e32 v14, v26, v14
	v_pk_mul_f32 v[20:21], v[20:21], v[14:15] op_sel_hi:[1,0]
	v_pk_mul_f32 v[14:15], v[18:19], v[14:15] op_sel_hi:[1,0]
	v_cvt_f16_f32_e32 v14, v14
	v_cvt_f16_f32_e32 v15, v15
	;; [unrolled: 1-line block ×4, first 2 shown]
	v_cvt_pkrtz_f16_f32 v22, v33, v23
	v_pack_b32_f16 v14, v14, v15
	v_cvt_pkrtz_f16_f32 v23, v34, v24
	v_pack_b32_f16 v15, v18, v19
	v_cvt_pkrtz_f16_f32 v18, v30, v29
	v_cvt_pkrtz_f16_f32 v19, v32, v31
	v_mov_b32_e32 v21, 0
	s_nop 0
	v_mfma_f32_4x4x4f16 a[0:3], v[14:15], v[18:19], 0 cbsz:4
	v_mfma_f32_4x4x4f16 a[0:3], v[14:15], v[22:23], a[0:3] cbsz:4 abid:1
	v_mov_b32_e32 v22, 0
	v_cmp_ne_u16_sdwa s[6:7], v16, v22 src0_sel:BYTE_0 src1_sel:DWORD
	s_and_saveexec_b64 s[4:5], s[6:7]
	s_cbranch_execz .LBB387_454
; %bb.449:
	s_movk_i32 s3, 0x80
	v_cmp_ne_u16_sdwa s[8:9], v16, s3 src0_sel:BYTE_0 src1_sel:DWORD
	v_bfrev_b32_e32 v21, 1
	s_and_saveexec_b64 s[6:7], s[8:9]
	s_cbranch_execz .LBB387_453
; %bb.450:
	s_movk_i32 s3, 0x7f
	v_and_b32_e32 v18, 0x7f, v16
	v_cmp_ne_u32_e32 vcc, s3, v18
	v_mov_b32_e32 v21, 0x7f800001
	s_and_saveexec_b64 s[8:9], vcc
	s_cbranch_execz .LBB387_452
; %bb.451:
	v_and_b32_e32 v19, 7, v16
	v_ffbh_u32_e32 v19, v19
	v_min_u32_e32 v19, 32, v19
	v_subrev_u32_e32 v21, 28, v19
	v_cmp_gt_u32_e32 vcc, 8, v18
	v_lshrrev_b32_e32 v20, 3, v18
	v_sub_u32_e32 v19, 29, v19
	v_cndmask_b32_e32 v18, 0, v21, vcc
	v_cndmask_b32_e32 v20, v20, v19, vcc
	v_lshlrev_b64 v[18:19], v18, v[16:17]
	v_lshlrev_b32_e32 v18, 20, v18
	v_lshlrev_b32_e32 v19, 24, v16
	v_bfrev_b32_e32 v21, 60
	v_and_b32_e32 v18, 0x700000, v18
	v_and_b32_e32 v19, 0x80000000, v19
	v_lshl_add_u32 v20, v20, 23, v21
	v_or3_b32 v21, v19, v20, v18
.LBB387_452:
	s_or_b64 exec, exec, s[8:9]
.LBB387_453:
	s_or_b64 exec, exec, s[6:7]
.LBB387_454:
	s_or_b64 exec, exec, s[4:5]
	v_lshrrev_b16_e32 v18, 8, v16
	v_cmp_ne_u16_e32 vcc, 0, v18
	v_mov_b32_e32 v23, 0
	s_and_saveexec_b64 s[4:5], vcc
	s_cbranch_execz .LBB387_460
; %bb.455:
	s_movk_i32 s3, 0x80
	v_cmp_ne_u16_e32 vcc, s3, v18
	v_bfrev_b32_e32 v23, 1
	s_and_saveexec_b64 s[6:7], vcc
	s_cbranch_execz .LBB387_459
; %bb.456:
	s_movk_i32 s3, 0x7f
	v_and_b32_e32 v19, 0x7f, v18
	v_cmp_ne_u32_e32 vcc, s3, v19
	v_mov_b32_e32 v23, 0x7f800001
	s_and_saveexec_b64 s[8:9], vcc
	s_cbranch_execz .LBB387_458
; %bb.457:
	v_and_b32_e32 v20, 7, v18
	v_ffbh_u32_e32 v24, v20
	v_min_u32_e32 v24, 32, v24
	v_subrev_u32_e32 v26, 28, v24
	v_lshlrev_b64 v[26:27], v26, v[18:19]
	v_lshrrev_b32_e32 v23, 3, v19
	v_sub_u32_e32 v18, 29, v24
	v_and_b32_e32 v24, 7, v26
	v_cmp_gt_u32_e32 vcc, 8, v19
	v_cndmask_b32_e32 v18, v23, v18, vcc
	v_cndmask_b32_e32 v19, v20, v24, vcc
	v_lshlrev_b32_e32 v20, 16, v16
	v_bfrev_b32_e32 v23, 60
	v_lshlrev_b32_e32 v19, 20, v19
	v_and_b32_e32 v20, 0x80000000, v20
	v_lshl_add_u32 v18, v18, 23, v23
	v_or3_b32 v23, v20, v18, v19
.LBB387_458:
	s_or_b64 exec, exec, s[8:9]
.LBB387_459:
	s_or_b64 exec, exec, s[6:7]
.LBB387_460:
	s_or_b64 exec, exec, s[4:5]
	s_movk_i32 s3, 0xff
	v_and_b32_sdwa v19, v16, s3 dst_sel:DWORD dst_unused:UNUSED_PAD src0_sel:WORD_1 src1_sel:DWORD
	v_lshrrev_b32_e32 v18, 16, v16
	v_cmp_ne_u16_e32 vcc, 0, v19
	s_and_saveexec_b64 s[4:5], vcc
	s_cbranch_execz .LBB387_466
; %bb.461:
	s_movk_i32 s3, 0x80
	v_cmp_ne_u16_e32 vcc, s3, v19
	v_bfrev_b32_e32 v22, 1
	s_and_saveexec_b64 s[6:7], vcc
	s_cbranch_execz .LBB387_465
; %bb.462:
	v_bfe_u32 v19, v16, 16, 7
	s_movk_i32 s3, 0x7f
	v_cmp_ne_u32_e32 vcc, s3, v19
	v_mov_b32_e32 v22, 0x7f800001
	s_and_saveexec_b64 s[8:9], vcc
	s_cbranch_execz .LBB387_464
; %bb.463:
	v_and_b32_e32 v20, 7, v18
	v_ffbh_u32_e32 v24, v20
	v_min_u32_e32 v24, 32, v24
	v_subrev_u32_e32 v26, 28, v24
	v_lshlrev_b64 v[26:27], v26, v[18:19]
	v_sub_u32_e32 v18, 29, v24
	v_and_b32_e32 v24, 7, v26
	v_cmp_gt_u32_e32 vcc, 8, v19
	v_lshrrev_b32_e32 v22, 3, v19
	v_cndmask_b32_e32 v19, v20, v24, vcc
	v_mov_b32_e32 v20, 24
	v_cndmask_b32_e32 v18, v22, v18, vcc
	v_lshlrev_b32_sdwa v20, v20, v16 dst_sel:DWORD dst_unused:UNUSED_PAD src0_sel:DWORD src1_sel:WORD_1
	v_bfrev_b32_e32 v22, 60
	v_lshlrev_b32_e32 v19, 20, v19
	v_and_b32_e32 v20, 0x80000000, v20
	v_lshl_add_u32 v18, v18, 23, v22
	v_or3_b32 v22, v20, v18, v19
.LBB387_464:
	s_or_b64 exec, exec, s[8:9]
.LBB387_465:
	s_or_b64 exec, exec, s[6:7]
.LBB387_466:
	s_or_b64 exec, exec, s[4:5]
	s_mov_b32 s3, 0xffffff
	v_cmp_lt_u32_e32 vcc, s3, v16
	v_mov_b32_e32 v19, 0
	v_mov_b32_e32 v24, 0
	s_and_saveexec_b64 s[4:5], vcc
	s_cbranch_execz .LBB387_472
; %bb.467:
	v_lshrrev_b32_e32 v18, 24, v16
	s_movk_i32 s3, 0x80
	v_cmp_ne_u32_e32 vcc, s3, v18
	v_bfrev_b32_e32 v24, 1
	s_and_saveexec_b64 s[6:7], vcc
	s_cbranch_execz .LBB387_471
; %bb.468:
	v_bfe_u32 v20, v16, 24, 7
	s_movk_i32 s3, 0x7f
	v_cmp_ne_u32_e32 vcc, s3, v20
	v_mov_b32_e32 v24, 0x7f800001
	s_and_saveexec_b64 s[8:9], vcc
	s_cbranch_execz .LBB387_470
; %bb.469:
	v_and_b32_e32 v24, 7, v18
	v_ffbh_u32_e32 v26, v24
	v_min_u32_e32 v29, 32, v26
	v_subrev_u32_e32 v26, 28, v29
	v_lshlrev_b64 v[26:27], v26, v[18:19]
	v_lshrrev_b32_e32 v28, 3, v20
	v_sub_u32_e32 v27, 29, v29
	v_and_b32_e32 v26, 7, v26
	v_cmp_gt_u32_e32 vcc, 8, v20
	v_cndmask_b32_e32 v20, v28, v27, vcc
	v_cndmask_b32_e32 v24, v24, v26, vcc
	v_lshlrev_b32_e32 v18, 24, v18
	v_bfrev_b32_e32 v26, 60
	v_lshlrev_b32_e32 v24, 20, v24
	v_and_b32_e32 v18, 0x80000000, v18
	v_lshl_add_u32 v20, v20, 23, v26
	v_or3_b32 v24, v18, v20, v24
.LBB387_470:
	s_or_b64 exec, exec, s[8:9]
.LBB387_471:
	s_or_b64 exec, exec, s[6:7]
.LBB387_472:
	s_or_b64 exec, exec, s[4:5]
	v_mov_b32_e32 v18, v17
	v_cmp_ne_u16_sdwa s[6:7], v17, v19 src0_sel:BYTE_0 src1_sel:DWORD
	s_and_saveexec_b64 s[4:5], s[6:7]
	s_cbranch_execz .LBB387_478
; %bb.473:
	s_movk_i32 s3, 0x80
	v_cmp_ne_u16_sdwa s[8:9], v17, s3 src0_sel:BYTE_0 src1_sel:DWORD
	v_bfrev_b32_e32 v20, 1
	s_and_saveexec_b64 s[6:7], s[8:9]
	s_cbranch_execz .LBB387_477
; %bb.474:
	s_movk_i32 s3, 0x7f
	v_and_b32_e32 v26, 0x7f, v17
	v_cmp_ne_u32_e32 vcc, s3, v26
	v_mov_b32_e32 v20, 0x7f800001
	s_and_saveexec_b64 s[8:9], vcc
	s_cbranch_execz .LBB387_476
; %bb.475:
	v_and_b32_e32 v20, 7, v17
	v_ffbh_u32_e32 v20, v20
	v_min_u32_e32 v20, 32, v20
	v_subrev_u32_e32 v28, 28, v20
	v_cmp_gt_u32_e32 vcc, 8, v26
	v_lshrrev_b32_e32 v27, 3, v26
	v_sub_u32_e32 v20, 29, v20
	v_cndmask_b32_e32 v26, 0, v28, vcc
	v_cndmask_b32_e32 v20, v27, v20, vcc
	v_lshlrev_b64 v[26:27], v26, v[18:19]
	v_lshlrev_b32_e32 v19, 20, v26
	v_lshlrev_b32_e32 v26, 24, v18
	v_bfrev_b32_e32 v27, 60
	v_and_b32_e32 v19, 0x700000, v19
	v_and_b32_e32 v26, 0x80000000, v26
	v_lshl_add_u32 v20, v20, 23, v27
	v_or3_b32 v20, v26, v20, v19
.LBB387_476:
	s_or_b64 exec, exec, s[8:9]
.LBB387_477:
	s_or_b64 exec, exec, s[6:7]
	v_mov_b32_e32 v19, v20
.LBB387_478:
	s_or_b64 exec, exec, s[4:5]
	v_lshrrev_b16_e32 v20, 8, v18
	v_cmp_ne_u16_e32 vcc, 0, v20
	v_mov_b32_e32 v26, 0
	v_mov_b32_e32 v27, 0
	s_and_saveexec_b64 s[4:5], vcc
	s_cbranch_execz .LBB387_484
; %bb.479:
	s_movk_i32 s3, 0x80
	v_cmp_ne_u16_e32 vcc, s3, v20
	v_bfrev_b32_e32 v27, 1
	s_and_saveexec_b64 s[6:7], vcc
	s_cbranch_execz .LBB387_483
; %bb.480:
	s_movk_i32 s3, 0x7f
	v_and_b32_e32 v28, 0x7f, v20
	v_cmp_ne_u32_e32 vcc, s3, v28
	v_mov_b32_e32 v27, 0x7f800001
	s_and_saveexec_b64 s[8:9], vcc
	s_cbranch_execz .LBB387_482
; %bb.481:
	v_and_b32_e32 v27, 7, v20
	v_ffbh_u32_e32 v30, v27
	v_min_u32_e32 v32, 32, v30
	v_subrev_u32_e32 v30, 28, v32
	v_lshlrev_b64 v[30:31], v30, v[20:21]
	v_lshrrev_b32_e32 v29, 3, v28
	v_sub_u32_e32 v20, 29, v32
	v_and_b32_e32 v30, 7, v30
	v_cmp_gt_u32_e32 vcc, 8, v28
	v_cndmask_b32_e32 v20, v29, v20, vcc
	v_cndmask_b32_e32 v27, v27, v30, vcc
	v_lshlrev_b32_e32 v18, 16, v18
	v_bfrev_b32_e32 v28, 60
	v_lshlrev_b32_e32 v27, 20, v27
	v_and_b32_e32 v18, 0x80000000, v18
	v_lshl_add_u32 v20, v20, 23, v28
	v_or3_b32 v27, v18, v20, v27
.LBB387_482:
	s_or_b64 exec, exec, s[8:9]
.LBB387_483:
	s_or_b64 exec, exec, s[6:7]
.LBB387_484:
	s_or_b64 exec, exec, s[4:5]
	s_movk_i32 s3, 0xff
	v_and_b32_sdwa v20, v17, s3 dst_sel:DWORD dst_unused:UNUSED_PAD src0_sel:WORD_1 src1_sel:DWORD
	v_lshrrev_b32_e32 v18, 16, v17
	v_cmp_ne_u16_e32 vcc, 0, v20
	s_and_saveexec_b64 s[4:5], vcc
	s_cbranch_execz .LBB387_490
; %bb.485:
	s_movk_i32 s3, 0x80
	v_cmp_ne_u16_e32 vcc, s3, v20
	v_bfrev_b32_e32 v26, 1
	s_and_saveexec_b64 s[6:7], vcc
	s_cbranch_execz .LBB387_489
; %bb.486:
	v_bfe_u32 v20, v17, 16, 7
	s_movk_i32 s3, 0x7f
	v_cmp_ne_u32_e32 vcc, s3, v20
	v_mov_b32_e32 v26, 0x7f800001
	s_and_saveexec_b64 s[8:9], vcc
	s_cbranch_execz .LBB387_488
; %bb.487:
	v_and_b32_e32 v26, 7, v18
	v_ffbh_u32_e32 v28, v26
	v_min_u32_e32 v31, 32, v28
	v_subrev_u32_e32 v28, 28, v31
	v_lshlrev_b64 v[28:29], v28, v[18:19]
	v_and_b32_e32 v28, 7, v28
	v_cmp_gt_u32_e32 vcc, 8, v20
	v_lshrrev_b32_e32 v30, 3, v20
	v_sub_u32_e32 v18, 29, v31
	v_cndmask_b32_e32 v20, v26, v28, vcc
	v_mov_b32_e32 v26, 24
	v_cndmask_b32_e32 v18, v30, v18, vcc
	v_lshlrev_b32_sdwa v26, v26, v17 dst_sel:DWORD dst_unused:UNUSED_PAD src0_sel:DWORD src1_sel:WORD_1
	v_bfrev_b32_e32 v28, 60
	v_lshlrev_b32_e32 v20, 20, v20
	v_and_b32_e32 v26, 0x80000000, v26
	v_lshl_add_u32 v18, v18, 23, v28
	v_or3_b32 v26, v26, v18, v20
.LBB387_488:
	s_or_b64 exec, exec, s[8:9]
.LBB387_489:
	s_or_b64 exec, exec, s[6:7]
.LBB387_490:
	s_or_b64 exec, exec, s[4:5]
	s_mov_b32 s4, -1
	s_mov_b32 s5, 0xffffff
	v_cmp_lt_u64_e32 vcc, s[4:5], v[16:17]
	v_mov_b32_e32 v20, 0
	v_mov_b32_e32 v18, 0
	s_and_saveexec_b64 s[4:5], vcc
	s_cbranch_execz .LBB387_496
; %bb.491:
	v_lshrrev_b32_e32 v16, 24, v17
	s_movk_i32 s3, 0x80
	v_cmp_ne_u32_e32 vcc, s3, v16
	v_bfrev_b32_e32 v18, 1
	s_and_saveexec_b64 s[6:7], vcc
	s_cbranch_execz .LBB387_495
; %bb.492:
	v_bfe_u32 v17, v17, 24, 7
	s_movk_i32 s3, 0x7f
	v_cmp_ne_u32_e32 vcc, s3, v17
	v_mov_b32_e32 v18, 0x7f800001
	s_and_saveexec_b64 s[8:9], vcc
	s_cbranch_execz .LBB387_494
; %bb.493:
	v_and_b32_e32 v18, 7, v16
	v_ffbh_u32_e32 v28, v18
	v_min_u32_e32 v31, 32, v28
	v_subrev_u32_e32 v28, 28, v31
	v_lshlrev_b64 v[28:29], v28, v[16:17]
	v_lshrrev_b32_e32 v30, 3, v17
	v_sub_u32_e32 v29, 29, v31
	v_and_b32_e32 v28, 7, v28
	v_cmp_gt_u32_e32 vcc, 8, v17
	v_cndmask_b32_e32 v17, v30, v29, vcc
	v_cndmask_b32_e32 v18, v18, v28, vcc
	v_lshlrev_b32_e32 v16, 24, v16
	v_bfrev_b32_e32 v28, 60
	v_lshlrev_b32_e32 v18, 20, v18
	v_and_b32_e32 v16, 0x80000000, v16
	v_lshl_add_u32 v17, v17, 23, v28
	v_or3_b32 v18, v16, v17, v18
.LBB387_494:
	s_or_b64 exec, exec, s[8:9]
.LBB387_495:
	s_or_b64 exec, exec, s[6:7]
.LBB387_496:
	s_or_b64 exec, exec, s[4:5]
	v_cvt_pkrtz_f16_f32 v16, v21, v23
	v_cvt_pkrtz_f16_f32 v17, v22, v24
	;; [unrolled: 1-line block ×4, first 2 shown]
	v_mfma_f32_4x4x4f16 a[0:3], v[14:15], v[16:17], a[0:3] cbsz:4 abid:2
	s_waitcnt vmcnt(4)
	v_cmp_ne_u16_sdwa s[6:7], v10, v20 src0_sel:BYTE_0 src1_sel:DWORD
	v_mfma_f32_4x4x4f16 a[0:3], v[14:15], v[22:23], a[0:3] cbsz:4 abid:3
	s_and_saveexec_b64 s[4:5], s[6:7]
	s_cbranch_execz .LBB387_502
; %bb.497:
	s_movk_i32 s3, 0x80
	v_cmp_ne_u16_sdwa s[8:9], v10, s3 src0_sel:BYTE_0 src1_sel:DWORD
	v_bfrev_b32_e32 v20, 1
	s_and_saveexec_b64 s[6:7], s[8:9]
	s_cbranch_execz .LBB387_501
; %bb.498:
	s_movk_i32 s3, 0x7f
	v_and_b32_e32 v16, 0x7f, v10
	v_cmp_ne_u32_e32 vcc, s3, v16
	v_mov_b32_e32 v20, 0x7f800001
	s_and_saveexec_b64 s[8:9], vcc
	s_cbranch_execz .LBB387_500
; %bb.499:
	v_and_b32_e32 v17, 7, v10
	v_ffbh_u32_e32 v17, v17
	v_min_u32_e32 v17, 32, v17
	v_subrev_u32_e32 v19, 28, v17
	v_cmp_gt_u32_e32 vcc, 8, v16
	v_lshrrev_b32_e32 v18, 3, v16
	v_sub_u32_e32 v17, 29, v17
	v_cndmask_b32_e32 v16, 0, v19, vcc
	v_cndmask_b32_e32 v18, v18, v17, vcc
	v_lshlrev_b64 v[16:17], v16, v[10:11]
	v_lshlrev_b32_e32 v16, 20, v16
	v_lshlrev_b32_e32 v17, 24, v10
	v_bfrev_b32_e32 v19, 60
	v_and_b32_e32 v16, 0x700000, v16
	v_and_b32_e32 v17, 0x80000000, v17
	v_lshl_add_u32 v18, v18, 23, v19
	v_or3_b32 v20, v17, v18, v16
.LBB387_500:
	s_or_b64 exec, exec, s[8:9]
.LBB387_501:
	s_or_b64 exec, exec, s[6:7]
.LBB387_502:
	s_or_b64 exec, exec, s[4:5]
	v_lshrrev_b16_e32 v16, 8, v10
	v_cmp_ne_u16_e32 vcc, 0, v16
	v_mov_b32_e32 v19, 0
	v_mov_b32_e32 v21, 0
	s_and_saveexec_b64 s[4:5], vcc
	s_cbranch_execz .LBB387_508
; %bb.503:
	s_movk_i32 s3, 0x80
	v_cmp_ne_u16_e32 vcc, s3, v16
	v_bfrev_b32_e32 v21, 1
	s_and_saveexec_b64 s[6:7], vcc
	s_cbranch_execz .LBB387_507
; %bb.504:
	s_movk_i32 s3, 0x7f
	v_and_b32_e32 v17, 0x7f, v16
	v_cmp_ne_u32_e32 vcc, s3, v17
	v_mov_b32_e32 v21, 0x7f800001
	s_and_saveexec_b64 s[8:9], vcc
	s_cbranch_execz .LBB387_506
; %bb.505:
	v_and_b32_e32 v18, 7, v16
	v_ffbh_u32_e32 v22, v18
	v_min_u32_e32 v24, 32, v22
	v_subrev_u32_e32 v22, 28, v24
	v_lshlrev_b64 v[22:23], v22, v[16:17]
	v_lshrrev_b32_e32 v21, 3, v17
	v_sub_u32_e32 v16, 29, v24
	v_and_b32_e32 v22, 7, v22
	v_cmp_gt_u32_e32 vcc, 8, v17
	v_cndmask_b32_e32 v16, v21, v16, vcc
	v_cndmask_b32_e32 v17, v18, v22, vcc
	v_lshlrev_b32_e32 v18, 16, v10
	v_bfrev_b32_e32 v21, 60
	v_lshlrev_b32_e32 v17, 20, v17
	v_and_b32_e32 v18, 0x80000000, v18
	v_lshl_add_u32 v16, v16, 23, v21
	v_or3_b32 v21, v18, v16, v17
.LBB387_506:
	s_or_b64 exec, exec, s[8:9]
.LBB387_507:
	s_or_b64 exec, exec, s[6:7]
.LBB387_508:
	s_or_b64 exec, exec, s[4:5]
	s_movk_i32 s3, 0xff
	v_and_b32_sdwa v17, v10, s3 dst_sel:DWORD dst_unused:UNUSED_PAD src0_sel:WORD_1 src1_sel:DWORD
	v_lshrrev_b32_e32 v16, 16, v10
	v_cmp_ne_u16_e32 vcc, 0, v17
	s_and_saveexec_b64 s[4:5], vcc
	s_cbranch_execz .LBB387_514
; %bb.509:
	s_movk_i32 s3, 0x80
	v_cmp_ne_u16_e32 vcc, s3, v17
	v_bfrev_b32_e32 v19, 1
	s_and_saveexec_b64 s[6:7], vcc
	s_cbranch_execz .LBB387_513
; %bb.510:
	v_bfe_u32 v17, v10, 16, 7
	s_movk_i32 s3, 0x7f
	v_cmp_ne_u32_e32 vcc, s3, v17
	v_mov_b32_e32 v19, 0x7f800001
	s_and_saveexec_b64 s[8:9], vcc
	s_cbranch_execz .LBB387_512
; %bb.511:
	v_and_b32_e32 v22, 7, v16
	v_ffbh_u32_e32 v18, v22
	v_min_u32_e32 v24, 32, v18
	v_subrev_u32_e32 v18, 28, v24
	v_lshlrev_b64 v[18:19], v18, v[16:17]
	v_and_b32_e32 v18, 7, v18
	v_cmp_gt_u32_e32 vcc, 8, v17
	v_lshrrev_b32_e32 v23, 3, v17
	v_sub_u32_e32 v16, 29, v24
	v_cndmask_b32_e32 v17, v22, v18, vcc
	v_mov_b32_e32 v18, 24
	v_cndmask_b32_e32 v16, v23, v16, vcc
	v_lshlrev_b32_sdwa v18, v18, v10 dst_sel:DWORD dst_unused:UNUSED_PAD src0_sel:DWORD src1_sel:WORD_1
	v_bfrev_b32_e32 v19, 60
	v_lshlrev_b32_e32 v17, 20, v17
	v_and_b32_e32 v18, 0x80000000, v18
	v_lshl_add_u32 v16, v16, 23, v19
	v_or3_b32 v19, v18, v16, v17
.LBB387_512:
	s_or_b64 exec, exec, s[8:9]
.LBB387_513:
	s_or_b64 exec, exec, s[6:7]
.LBB387_514:
	s_or_b64 exec, exec, s[4:5]
	s_mov_b32 s3, 0xffffff
	v_cmp_lt_u32_e32 vcc, s3, v10
	v_mov_b32_e32 v17, 0
	v_mov_b32_e32 v22, 0
	s_and_saveexec_b64 s[4:5], vcc
	s_cbranch_execz .LBB387_520
; %bb.515:
	v_lshrrev_b32_e32 v16, 24, v10
	s_movk_i32 s3, 0x80
	v_cmp_ne_u32_e32 vcc, s3, v16
	v_bfrev_b32_e32 v22, 1
	s_and_saveexec_b64 s[6:7], vcc
	s_cbranch_execz .LBB387_519
; %bb.516:
	v_bfe_u32 v18, v10, 24, 7
	s_movk_i32 s3, 0x7f
	v_cmp_ne_u32_e32 vcc, s3, v18
	v_mov_b32_e32 v22, 0x7f800001
	s_and_saveexec_b64 s[8:9], vcc
	s_cbranch_execz .LBB387_518
; %bb.517:
	v_and_b32_e32 v24, 7, v16
	v_ffbh_u32_e32 v22, v24
	v_min_u32_e32 v27, 32, v22
	v_subrev_u32_e32 v22, 28, v27
	v_lshlrev_b64 v[22:23], v22, v[16:17]
	v_lshrrev_b32_e32 v26, 3, v18
	v_sub_u32_e32 v23, 29, v27
	v_and_b32_e32 v22, 7, v22
	v_cmp_gt_u32_e32 vcc, 8, v18
	v_cndmask_b32_e32 v18, v26, v23, vcc
	v_cndmask_b32_e32 v22, v24, v22, vcc
	v_lshlrev_b32_e32 v16, 24, v16
	v_bfrev_b32_e32 v23, 60
	v_lshlrev_b32_e32 v22, 20, v22
	v_and_b32_e32 v16, 0x80000000, v16
	v_lshl_add_u32 v18, v18, 23, v23
	v_or3_b32 v22, v16, v18, v22
.LBB387_518:
	s_or_b64 exec, exec, s[8:9]
.LBB387_519:
	s_or_b64 exec, exec, s[6:7]
.LBB387_520:
	s_or_b64 exec, exec, s[4:5]
	v_mov_b32_e32 v16, v11
	v_cmp_ne_u16_sdwa s[6:7], v11, v17 src0_sel:BYTE_0 src1_sel:DWORD
	s_and_saveexec_b64 s[4:5], s[6:7]
	s_cbranch_execz .LBB387_526
; %bb.521:
	s_movk_i32 s3, 0x80
	v_cmp_ne_u16_sdwa s[8:9], v11, s3 src0_sel:BYTE_0 src1_sel:DWORD
	v_bfrev_b32_e32 v18, 1
	s_and_saveexec_b64 s[6:7], s[8:9]
	s_cbranch_execz .LBB387_525
; %bb.522:
	s_movk_i32 s3, 0x7f
	v_and_b32_e32 v23, 0x7f, v11
	v_cmp_ne_u32_e32 vcc, s3, v23
	v_mov_b32_e32 v18, 0x7f800001
	s_and_saveexec_b64 s[8:9], vcc
	s_cbranch_execz .LBB387_524
; %bb.523:
	v_and_b32_e32 v18, 7, v11
	v_ffbh_u32_e32 v18, v18
	v_min_u32_e32 v18, 32, v18
	v_subrev_u32_e32 v26, 28, v18
	v_cmp_gt_u32_e32 vcc, 8, v23
	v_lshrrev_b32_e32 v24, 3, v23
	v_cndmask_b32_e32 v23, 0, v26, vcc
	v_sub_u32_e32 v18, 29, v18
	v_lshlrev_b64 v[26:27], v23, v[16:17]
	v_cndmask_b32_e32 v18, v24, v18, vcc
	v_lshlrev_b32_e32 v17, 20, v26
	v_lshlrev_b32_e32 v23, 24, v16
	v_bfrev_b32_e32 v24, 60
	v_and_b32_e32 v17, 0x700000, v17
	v_and_b32_e32 v23, 0x80000000, v23
	v_lshl_add_u32 v18, v18, 23, v24
	v_or3_b32 v18, v23, v18, v17
.LBB387_524:
	s_or_b64 exec, exec, s[8:9]
.LBB387_525:
	s_or_b64 exec, exec, s[6:7]
	v_mov_b32_e32 v17, v18
.LBB387_526:
	s_or_b64 exec, exec, s[4:5]
	v_lshrrev_b16_e32 v18, 8, v16
	v_cmp_ne_u16_e32 vcc, 0, v18
	v_mov_b32_e32 v23, 0
	v_mov_b32_e32 v24, 0
	s_and_saveexec_b64 s[4:5], vcc
	s_cbranch_execz .LBB387_532
; %bb.527:
	s_movk_i32 s3, 0x80
	v_cmp_ne_u16_e32 vcc, s3, v18
	v_bfrev_b32_e32 v24, 1
	s_and_saveexec_b64 s[6:7], vcc
	s_cbranch_execz .LBB387_531
; %bb.528:
	s_movk_i32 s3, 0x7f
	v_and_b32_e32 v26, 0x7f, v18
	v_cmp_ne_u32_e32 vcc, s3, v26
	v_mov_b32_e32 v24, 0x7f800001
	s_and_saveexec_b64 s[8:9], vcc
	s_cbranch_execz .LBB387_530
; %bb.529:
	v_and_b32_e32 v24, 7, v18
	v_ffbh_u32_e32 v28, v24
	v_min_u32_e32 v30, 32, v28
	v_subrev_u32_e32 v28, 28, v30
	v_lshlrev_b64 v[28:29], v28, v[18:19]
	v_lshrrev_b32_e32 v27, 3, v26
	v_sub_u32_e32 v18, 29, v30
	v_and_b32_e32 v28, 7, v28
	v_cmp_gt_u32_e32 vcc, 8, v26
	v_cndmask_b32_e32 v18, v27, v18, vcc
	v_cndmask_b32_e32 v24, v24, v28, vcc
	v_lshlrev_b32_e32 v16, 16, v16
	v_bfrev_b32_e32 v26, 60
	v_lshlrev_b32_e32 v24, 20, v24
	v_and_b32_e32 v16, 0x80000000, v16
	v_lshl_add_u32 v18, v18, 23, v26
	v_or3_b32 v24, v16, v18, v24
.LBB387_530:
	s_or_b64 exec, exec, s[8:9]
.LBB387_531:
	s_or_b64 exec, exec, s[6:7]
.LBB387_532:
	s_or_b64 exec, exec, s[4:5]
	s_movk_i32 s3, 0xff
	v_and_b32_sdwa v18, v11, s3 dst_sel:DWORD dst_unused:UNUSED_PAD src0_sel:WORD_1 src1_sel:DWORD
	v_lshrrev_b32_e32 v16, 16, v11
	v_cmp_ne_u16_e32 vcc, 0, v18
	s_and_saveexec_b64 s[4:5], vcc
	s_cbranch_execz .LBB387_538
; %bb.533:
	s_movk_i32 s3, 0x80
	v_cmp_ne_u16_e32 vcc, s3, v18
	v_bfrev_b32_e32 v23, 1
	s_and_saveexec_b64 s[6:7], vcc
	s_cbranch_execz .LBB387_537
; %bb.534:
	v_bfe_u32 v18, v11, 16, 7
	s_movk_i32 s3, 0x7f
	v_cmp_ne_u32_e32 vcc, s3, v18
	v_mov_b32_e32 v23, 0x7f800001
	s_and_saveexec_b64 s[8:9], vcc
	s_cbranch_execz .LBB387_536
; %bb.535:
	v_and_b32_e32 v23, 7, v16
	v_ffbh_u32_e32 v26, v23
	v_min_u32_e32 v29, 32, v26
	v_subrev_u32_e32 v26, 28, v29
	v_lshlrev_b64 v[26:27], v26, v[16:17]
	v_and_b32_e32 v26, 7, v26
	v_cmp_gt_u32_e32 vcc, 8, v18
	v_lshrrev_b32_e32 v28, 3, v18
	v_sub_u32_e32 v16, 29, v29
	v_cndmask_b32_e32 v18, v23, v26, vcc
	v_mov_b32_e32 v23, 24
	v_cndmask_b32_e32 v16, v28, v16, vcc
	v_lshlrev_b32_sdwa v23, v23, v11 dst_sel:DWORD dst_unused:UNUSED_PAD src0_sel:DWORD src1_sel:WORD_1
	v_bfrev_b32_e32 v26, 60
	v_lshlrev_b32_e32 v18, 20, v18
	v_and_b32_e32 v23, 0x80000000, v23
	v_lshl_add_u32 v16, v16, 23, v26
	v_or3_b32 v23, v23, v16, v18
.LBB387_536:
	s_or_b64 exec, exec, s[8:9]
.LBB387_537:
	s_or_b64 exec, exec, s[6:7]
.LBB387_538:
	s_or_b64 exec, exec, s[4:5]
	s_mov_b32 s4, -1
	s_mov_b32 s5, 0xffffff
	v_cmp_lt_u64_e32 vcc, s[4:5], v[10:11]
	v_mov_b32_e32 v18, 0
	v_mov_b32_e32 v16, 0
	s_and_saveexec_b64 s[4:5], vcc
	s_cbranch_execz .LBB387_544
; %bb.539:
	v_lshrrev_b32_e32 v10, 24, v11
	s_movk_i32 s3, 0x80
	v_cmp_ne_u32_e32 vcc, s3, v10
	v_bfrev_b32_e32 v16, 1
	s_and_saveexec_b64 s[6:7], vcc
	s_cbranch_execz .LBB387_543
; %bb.540:
	v_bfe_u32 v11, v11, 24, 7
	s_movk_i32 s3, 0x7f
	v_cmp_ne_u32_e32 vcc, s3, v11
	v_mov_b32_e32 v16, 0x7f800001
	s_and_saveexec_b64 s[8:9], vcc
	s_cbranch_execz .LBB387_542
; %bb.541:
	v_and_b32_e32 v16, 7, v10
	v_ffbh_u32_e32 v26, v16
	v_min_u32_e32 v29, 32, v26
	v_subrev_u32_e32 v26, 28, v29
	v_lshlrev_b64 v[26:27], v26, v[10:11]
	v_lshrrev_b32_e32 v28, 3, v11
	v_sub_u32_e32 v27, 29, v29
	v_and_b32_e32 v26, 7, v26
	v_cmp_gt_u32_e32 vcc, 8, v11
	v_cndmask_b32_e32 v11, v28, v27, vcc
	v_cndmask_b32_e32 v16, v16, v26, vcc
	v_lshlrev_b32_e32 v10, 24, v10
	v_bfrev_b32_e32 v26, 60
	v_lshlrev_b32_e32 v16, 20, v16
	v_and_b32_e32 v10, 0x80000000, v10
	v_lshl_add_u32 v11, v11, 23, v26
	v_or3_b32 v16, v10, v11, v16
.LBB387_542:
	s_or_b64 exec, exec, s[8:9]
.LBB387_543:
	s_or_b64 exec, exec, s[6:7]
.LBB387_544:
	s_or_b64 exec, exec, s[4:5]
	v_cvt_pkrtz_f16_f32 v10, v20, v21
	v_cvt_pkrtz_f16_f32 v11, v19, v22
	;; [unrolled: 1-line block ×4, first 2 shown]
	v_mfma_f32_4x4x4f16 a[0:3], v[14:15], v[10:11], a[0:3] cbsz:4 abid:4
	v_cmp_ne_u16_sdwa s[6:7], v12, v18 src0_sel:BYTE_0 src1_sel:DWORD
	v_mfma_f32_4x4x4f16 a[0:3], v[14:15], v[20:21], a[0:3] cbsz:4 abid:5
	s_and_saveexec_b64 s[4:5], s[6:7]
	s_cbranch_execz .LBB387_550
; %bb.545:
	s_movk_i32 s3, 0x80
	v_cmp_ne_u16_sdwa s[8:9], v12, s3 src0_sel:BYTE_0 src1_sel:DWORD
	v_bfrev_b32_e32 v18, 1
	s_and_saveexec_b64 s[6:7], s[8:9]
	s_cbranch_execz .LBB387_549
; %bb.546:
	s_movk_i32 s3, 0x7f
	v_and_b32_e32 v10, 0x7f, v12
	v_cmp_ne_u32_e32 vcc, s3, v10
	v_mov_b32_e32 v18, 0x7f800001
	s_and_saveexec_b64 s[8:9], vcc
	s_cbranch_execz .LBB387_548
; %bb.547:
	v_and_b32_e32 v11, 7, v12
	v_ffbh_u32_e32 v11, v11
	v_min_u32_e32 v11, 32, v11
	v_subrev_u32_e32 v17, 28, v11
	v_cmp_gt_u32_e32 vcc, 8, v10
	v_lshrrev_b32_e32 v16, 3, v10
	v_sub_u32_e32 v11, 29, v11
	v_cndmask_b32_e32 v10, 0, v17, vcc
	v_cndmask_b32_e32 v16, v16, v11, vcc
	v_lshlrev_b64 v[10:11], v10, v[12:13]
	v_lshlrev_b32_e32 v10, 20, v10
	v_lshlrev_b32_e32 v11, 24, v12
	v_bfrev_b32_e32 v17, 60
	v_and_b32_e32 v10, 0x700000, v10
	v_and_b32_e32 v11, 0x80000000, v11
	v_lshl_add_u32 v16, v16, 23, v17
	v_or3_b32 v18, v11, v16, v10
.LBB387_548:
	s_or_b64 exec, exec, s[8:9]
.LBB387_549:
	s_or_b64 exec, exec, s[6:7]
.LBB387_550:
	s_or_b64 exec, exec, s[4:5]
	v_lshrrev_b16_e32 v10, 8, v12
	v_cmp_ne_u16_e32 vcc, 0, v10
	v_mov_b32_e32 v17, 0
	v_mov_b32_e32 v19, 0
	s_and_saveexec_b64 s[4:5], vcc
	s_cbranch_execz .LBB387_556
; %bb.551:
	s_movk_i32 s3, 0x80
	v_cmp_ne_u16_e32 vcc, s3, v10
	v_bfrev_b32_e32 v19, 1
	s_and_saveexec_b64 s[6:7], vcc
	s_cbranch_execz .LBB387_555
; %bb.552:
	s_movk_i32 s3, 0x7f
	v_and_b32_e32 v11, 0x7f, v10
	v_cmp_ne_u32_e32 vcc, s3, v11
	v_mov_b32_e32 v19, 0x7f800001
	s_and_saveexec_b64 s[8:9], vcc
	s_cbranch_execz .LBB387_554
; %bb.553:
	v_and_b32_e32 v16, 7, v10
	v_ffbh_u32_e32 v20, v16
	v_min_u32_e32 v22, 32, v20
	v_subrev_u32_e32 v20, 28, v22
	v_lshlrev_b64 v[20:21], v20, v[10:11]
	v_lshrrev_b32_e32 v19, 3, v11
	v_sub_u32_e32 v10, 29, v22
	v_and_b32_e32 v20, 7, v20
	v_cmp_gt_u32_e32 vcc, 8, v11
	v_cndmask_b32_e32 v10, v19, v10, vcc
	v_cndmask_b32_e32 v11, v16, v20, vcc
	v_lshlrev_b32_e32 v16, 16, v12
	v_bfrev_b32_e32 v19, 60
	v_lshlrev_b32_e32 v11, 20, v11
	v_and_b32_e32 v16, 0x80000000, v16
	v_lshl_add_u32 v10, v10, 23, v19
	v_or3_b32 v19, v16, v10, v11
.LBB387_554:
	s_or_b64 exec, exec, s[8:9]
.LBB387_555:
	s_or_b64 exec, exec, s[6:7]
.LBB387_556:
	s_or_b64 exec, exec, s[4:5]
	s_movk_i32 s3, 0xff
	v_and_b32_sdwa v11, v12, s3 dst_sel:DWORD dst_unused:UNUSED_PAD src0_sel:WORD_1 src1_sel:DWORD
	v_lshrrev_b32_e32 v10, 16, v12
	v_cmp_ne_u16_e32 vcc, 0, v11
	s_and_saveexec_b64 s[4:5], vcc
	s_cbranch_execz .LBB387_562
; %bb.557:
	s_movk_i32 s3, 0x80
	v_cmp_ne_u16_e32 vcc, s3, v11
	v_bfrev_b32_e32 v17, 1
	s_and_saveexec_b64 s[6:7], vcc
	s_cbranch_execz .LBB387_561
; %bb.558:
	v_bfe_u32 v11, v12, 16, 7
	s_movk_i32 s3, 0x7f
	v_cmp_ne_u32_e32 vcc, s3, v11
	v_mov_b32_e32 v17, 0x7f800001
	s_and_saveexec_b64 s[8:9], vcc
	s_cbranch_execz .LBB387_560
; %bb.559:
	v_and_b32_e32 v20, 7, v10
	v_ffbh_u32_e32 v16, v20
	v_min_u32_e32 v22, 32, v16
	v_subrev_u32_e32 v16, 28, v22
	v_lshlrev_b64 v[16:17], v16, v[10:11]
	v_and_b32_e32 v16, 7, v16
	v_cmp_gt_u32_e32 vcc, 8, v11
	v_lshrrev_b32_e32 v21, 3, v11
	v_sub_u32_e32 v10, 29, v22
	v_cndmask_b32_e32 v11, v20, v16, vcc
	v_mov_b32_e32 v16, 24
	v_cndmask_b32_e32 v10, v21, v10, vcc
	v_lshlrev_b32_sdwa v16, v16, v12 dst_sel:DWORD dst_unused:UNUSED_PAD src0_sel:DWORD src1_sel:WORD_1
	v_bfrev_b32_e32 v17, 60
	v_lshlrev_b32_e32 v11, 20, v11
	v_and_b32_e32 v16, 0x80000000, v16
	v_lshl_add_u32 v10, v10, 23, v17
	v_or3_b32 v17, v16, v10, v11
.LBB387_560:
	s_or_b64 exec, exec, s[8:9]
.LBB387_561:
	s_or_b64 exec, exec, s[6:7]
.LBB387_562:
	s_or_b64 exec, exec, s[4:5]
	s_mov_b32 s3, 0xffffff
	v_cmp_lt_u32_e32 vcc, s3, v12
	v_mov_b32_e32 v11, 0
	v_mov_b32_e32 v20, 0
	s_and_saveexec_b64 s[4:5], vcc
	s_cbranch_execz .LBB387_568
; %bb.563:
	v_lshrrev_b32_e32 v10, 24, v12
	s_movk_i32 s3, 0x80
	v_cmp_ne_u32_e32 vcc, s3, v10
	v_bfrev_b32_e32 v20, 1
	s_and_saveexec_b64 s[6:7], vcc
	s_cbranch_execz .LBB387_567
; %bb.564:
	v_bfe_u32 v16, v12, 24, 7
	s_movk_i32 s3, 0x7f
	v_cmp_ne_u32_e32 vcc, s3, v16
	v_mov_b32_e32 v20, 0x7f800001
	s_and_saveexec_b64 s[8:9], vcc
	s_cbranch_execz .LBB387_566
; %bb.565:
	v_and_b32_e32 v22, 7, v10
	v_ffbh_u32_e32 v20, v22
	v_min_u32_e32 v24, 32, v20
	v_subrev_u32_e32 v20, 28, v24
	v_lshlrev_b64 v[20:21], v20, v[10:11]
	v_lshrrev_b32_e32 v23, 3, v16
	v_sub_u32_e32 v21, 29, v24
	v_and_b32_e32 v20, 7, v20
	v_cmp_gt_u32_e32 vcc, 8, v16
	v_cndmask_b32_e32 v16, v23, v21, vcc
	v_cndmask_b32_e32 v20, v22, v20, vcc
	v_lshlrev_b32_e32 v10, 24, v10
	v_bfrev_b32_e32 v21, 60
	v_lshlrev_b32_e32 v20, 20, v20
	v_and_b32_e32 v10, 0x80000000, v10
	v_lshl_add_u32 v16, v16, 23, v21
	v_or3_b32 v20, v10, v16, v20
.LBB387_566:
	s_or_b64 exec, exec, s[8:9]
.LBB387_567:
	s_or_b64 exec, exec, s[6:7]
.LBB387_568:
	s_or_b64 exec, exec, s[4:5]
	v_mov_b32_e32 v10, v13
	v_cmp_ne_u16_sdwa s[6:7], v13, v11 src0_sel:BYTE_0 src1_sel:DWORD
	s_and_saveexec_b64 s[4:5], s[6:7]
	s_cbranch_execz .LBB387_574
; %bb.569:
	s_movk_i32 s3, 0x80
	v_cmp_ne_u16_sdwa s[8:9], v13, s3 src0_sel:BYTE_0 src1_sel:DWORD
	v_bfrev_b32_e32 v16, 1
	s_and_saveexec_b64 s[6:7], s[8:9]
	s_cbranch_execz .LBB387_573
; %bb.570:
	s_movk_i32 s3, 0x7f
	v_and_b32_e32 v21, 0x7f, v13
	v_cmp_ne_u32_e32 vcc, s3, v21
	v_mov_b32_e32 v16, 0x7f800001
	s_and_saveexec_b64 s[8:9], vcc
	s_cbranch_execz .LBB387_572
; %bb.571:
	v_and_b32_e32 v16, 7, v13
	v_ffbh_u32_e32 v16, v16
	v_min_u32_e32 v16, 32, v16
	v_subrev_u32_e32 v23, 28, v16
	v_cmp_gt_u32_e32 vcc, 8, v21
	v_lshrrev_b32_e32 v22, 3, v21
	v_sub_u32_e32 v16, 29, v16
	v_cndmask_b32_e32 v21, 0, v23, vcc
	v_cndmask_b32_e32 v16, v22, v16, vcc
	v_lshlrev_b64 v[22:23], v21, v[10:11]
	v_lshlrev_b32_e32 v11, 20, v22
	v_lshlrev_b32_e32 v21, 24, v10
	v_bfrev_b32_e32 v22, 60
	v_and_b32_e32 v11, 0x700000, v11
	v_and_b32_e32 v21, 0x80000000, v21
	v_lshl_add_u32 v16, v16, 23, v22
	v_or3_b32 v16, v21, v16, v11
.LBB387_572:
	s_or_b64 exec, exec, s[8:9]
.LBB387_573:
	s_or_b64 exec, exec, s[6:7]
	v_mov_b32_e32 v11, v16
.LBB387_574:
	s_or_b64 exec, exec, s[4:5]
	v_lshrrev_b16_e32 v16, 8, v10
	v_cmp_ne_u16_e32 vcc, 0, v16
	v_mov_b32_e32 v21, 0
	v_mov_b32_e32 v22, 0
	s_and_saveexec_b64 s[4:5], vcc
	s_cbranch_execz .LBB387_580
; %bb.575:
	s_movk_i32 s3, 0x80
	v_cmp_ne_u16_e32 vcc, s3, v16
	v_bfrev_b32_e32 v22, 1
	s_and_saveexec_b64 s[6:7], vcc
	s_cbranch_execz .LBB387_579
; %bb.576:
	s_movk_i32 s3, 0x7f
	v_and_b32_e32 v23, 0x7f, v16
	v_cmp_ne_u32_e32 vcc, s3, v23
	v_mov_b32_e32 v22, 0x7f800001
	s_and_saveexec_b64 s[8:9], vcc
	s_cbranch_execz .LBB387_578
; %bb.577:
	v_and_b32_e32 v22, 7, v16
	v_ffbh_u32_e32 v26, v22
	v_min_u32_e32 v28, 32, v26
	v_subrev_u32_e32 v26, 28, v28
	v_lshlrev_b64 v[26:27], v26, v[16:17]
	v_lshrrev_b32_e32 v24, 3, v23
	v_sub_u32_e32 v16, 29, v28
	v_and_b32_e32 v26, 7, v26
	v_cmp_gt_u32_e32 vcc, 8, v23
	v_cndmask_b32_e32 v16, v24, v16, vcc
	v_cndmask_b32_e32 v22, v22, v26, vcc
	v_lshlrev_b32_e32 v10, 16, v10
	v_bfrev_b32_e32 v23, 60
	v_lshlrev_b32_e32 v22, 20, v22
	v_and_b32_e32 v10, 0x80000000, v10
	v_lshl_add_u32 v16, v16, 23, v23
	v_or3_b32 v22, v10, v16, v22
.LBB387_578:
	s_or_b64 exec, exec, s[8:9]
.LBB387_579:
	s_or_b64 exec, exec, s[6:7]
.LBB387_580:
	s_or_b64 exec, exec, s[4:5]
	s_movk_i32 s3, 0xff
	v_and_b32_sdwa v16, v13, s3 dst_sel:DWORD dst_unused:UNUSED_PAD src0_sel:WORD_1 src1_sel:DWORD
	v_lshrrev_b32_e32 v10, 16, v13
	v_cmp_ne_u16_e32 vcc, 0, v16
	s_and_saveexec_b64 s[4:5], vcc
	s_cbranch_execz .LBB387_586
; %bb.581:
	s_movk_i32 s3, 0x80
	v_cmp_ne_u16_e32 vcc, s3, v16
	v_bfrev_b32_e32 v21, 1
	s_and_saveexec_b64 s[6:7], vcc
	s_cbranch_execz .LBB387_585
; %bb.582:
	v_bfe_u32 v16, v13, 16, 7
	s_movk_i32 s3, 0x7f
	v_cmp_ne_u32_e32 vcc, s3, v16
	v_mov_b32_e32 v21, 0x7f800001
	s_and_saveexec_b64 s[8:9], vcc
	s_cbranch_execz .LBB387_584
; %bb.583:
	v_and_b32_e32 v21, 7, v10
	v_ffbh_u32_e32 v24, v21
	v_min_u32_e32 v24, 32, v24
	v_subrev_u32_e32 v26, 28, v24
	v_lshlrev_b64 v[26:27], v26, v[10:11]
	v_sub_u32_e32 v10, 29, v24
	v_and_b32_e32 v24, 7, v26
	v_cmp_gt_u32_e32 vcc, 8, v16
	v_lshrrev_b32_e32 v23, 3, v16
	v_cndmask_b32_e32 v16, v21, v24, vcc
	v_mov_b32_e32 v21, 24
	v_cndmask_b32_e32 v10, v23, v10, vcc
	v_lshlrev_b32_sdwa v21, v21, v13 dst_sel:DWORD dst_unused:UNUSED_PAD src0_sel:DWORD src1_sel:WORD_1
	v_bfrev_b32_e32 v23, 60
	v_lshlrev_b32_e32 v16, 20, v16
	v_and_b32_e32 v21, 0x80000000, v21
	v_lshl_add_u32 v10, v10, 23, v23
	v_or3_b32 v21, v21, v10, v16
.LBB387_584:
	s_or_b64 exec, exec, s[8:9]
.LBB387_585:
	s_or_b64 exec, exec, s[6:7]
.LBB387_586:
	s_or_b64 exec, exec, s[4:5]
	s_mov_b32 s4, -1
	s_mov_b32 s5, 0xffffff
	v_cmp_lt_u64_e32 vcc, s[4:5], v[12:13]
	v_mov_b32_e32 v16, 0
	v_mov_b32_e32 v12, 0
	s_and_saveexec_b64 s[4:5], vcc
	s_cbranch_execz .LBB387_592
; %bb.587:
	v_lshrrev_b32_e32 v10, 24, v13
	s_movk_i32 s3, 0x80
	v_cmp_ne_u32_e32 vcc, s3, v10
	v_bfrev_b32_e32 v12, 1
	s_and_saveexec_b64 s[6:7], vcc
	s_cbranch_execz .LBB387_591
; %bb.588:
	v_bfe_u32 v13, v13, 24, 7
	s_movk_i32 s3, 0x7f
	v_cmp_ne_u32_e32 vcc, s3, v13
	v_mov_b32_e32 v12, 0x7f800001
	s_and_saveexec_b64 s[8:9], vcc
	s_cbranch_execz .LBB387_590
; %bb.589:
	v_and_b32_e32 v12, 7, v10
	v_ffbh_u32_e32 v24, v12
	v_min_u32_e32 v24, 32, v24
	v_subrev_u32_e32 v26, 28, v24
	v_lshlrev_b64 v[26:27], v26, v[10:11]
	v_lshrrev_b32_e32 v23, 3, v13
	v_sub_u32_e32 v24, 29, v24
	v_and_b32_e32 v26, 7, v26
	v_cmp_gt_u32_e32 vcc, 8, v13
	v_cndmask_b32_e32 v13, v23, v24, vcc
	v_cndmask_b32_e32 v12, v12, v26, vcc
	v_lshlrev_b32_e32 v10, 24, v10
	v_bfrev_b32_e32 v23, 60
	v_lshlrev_b32_e32 v12, 20, v12
	v_and_b32_e32 v10, 0x80000000, v10
	v_lshl_add_u32 v13, v13, 23, v23
	v_or3_b32 v12, v10, v13, v12
.LBB387_590:
	s_or_b64 exec, exec, s[8:9]
.LBB387_591:
	s_or_b64 exec, exec, s[6:7]
.LBB387_592:
	s_or_b64 exec, exec, s[4:5]
	v_cvt_pkrtz_f16_f32 v18, v18, v19
	v_cvt_pkrtz_f16_f32 v19, v17, v20
	;; [unrolled: 1-line block ×4, first 2 shown]
	v_mfma_f32_4x4x4f16 a[0:3], v[14:15], v[18:19], a[0:3] cbsz:4 abid:6
	s_waitcnt vmcnt(3)
	v_cmp_ne_u16_sdwa s[6:7], v6, v16 src0_sel:BYTE_0 src1_sel:DWORD
	v_mfma_f32_4x4x4f16 a[0:3], v[14:15], v[10:11], a[0:3] cbsz:4 abid:7
	s_and_saveexec_b64 s[4:5], s[6:7]
	s_cbranch_execz .LBB387_598
; %bb.593:
	s_movk_i32 s3, 0x80
	v_cmp_ne_u16_sdwa s[8:9], v6, s3 src0_sel:BYTE_0 src1_sel:DWORD
	v_bfrev_b32_e32 v16, 1
	s_and_saveexec_b64 s[6:7], s[8:9]
	s_cbranch_execz .LBB387_597
; %bb.594:
	s_movk_i32 s3, 0x7f
	v_and_b32_e32 v10, 0x7f, v6
	v_cmp_ne_u32_e32 vcc, s3, v10
	v_mov_b32_e32 v16, 0x7f800001
	s_and_saveexec_b64 s[8:9], vcc
	s_cbranch_execz .LBB387_596
; %bb.595:
	v_and_b32_e32 v11, 7, v6
	v_ffbh_u32_e32 v11, v11
	v_min_u32_e32 v11, 32, v11
	v_subrev_u32_e32 v13, 28, v11
	v_cmp_gt_u32_e32 vcc, 8, v10
	v_lshrrev_b32_e32 v12, 3, v10
	v_sub_u32_e32 v11, 29, v11
	v_cndmask_b32_e32 v10, 0, v13, vcc
	v_cndmask_b32_e32 v12, v12, v11, vcc
	v_lshlrev_b64 v[10:11], v10, v[6:7]
	v_lshlrev_b32_e32 v10, 20, v10
	v_lshlrev_b32_e32 v11, 24, v6
	v_bfrev_b32_e32 v13, 60
	v_and_b32_e32 v10, 0x700000, v10
	v_and_b32_e32 v11, 0x80000000, v11
	v_lshl_add_u32 v12, v12, 23, v13
	v_or3_b32 v16, v11, v12, v10
.LBB387_596:
	s_or_b64 exec, exec, s[8:9]
.LBB387_597:
	s_or_b64 exec, exec, s[6:7]
.LBB387_598:
	s_or_b64 exec, exec, s[4:5]
	v_lshrrev_b16_e32 v10, 8, v6
	v_cmp_ne_u16_e32 vcc, 0, v10
	v_mov_b32_e32 v13, 0
	v_mov_b32_e32 v17, 0
	s_and_saveexec_b64 s[4:5], vcc
	s_cbranch_execz .LBB387_604
; %bb.599:
	s_movk_i32 s3, 0x80
	v_cmp_ne_u16_e32 vcc, s3, v10
	v_bfrev_b32_e32 v17, 1
	s_and_saveexec_b64 s[6:7], vcc
	s_cbranch_execz .LBB387_603
; %bb.600:
	s_movk_i32 s3, 0x7f
	v_and_b32_e32 v11, 0x7f, v10
	v_cmp_ne_u32_e32 vcc, s3, v11
	v_mov_b32_e32 v17, 0x7f800001
	s_and_saveexec_b64 s[8:9], vcc
	s_cbranch_execz .LBB387_602
; %bb.601:
	v_and_b32_e32 v12, 7, v10
	v_ffbh_u32_e32 v18, v12
	v_min_u32_e32 v20, 32, v18
	v_subrev_u32_e32 v18, 28, v20
	v_lshlrev_b64 v[18:19], v18, v[10:11]
	v_lshrrev_b32_e32 v17, 3, v11
	v_sub_u32_e32 v10, 29, v20
	v_and_b32_e32 v18, 7, v18
	v_cmp_gt_u32_e32 vcc, 8, v11
	v_cndmask_b32_e32 v10, v17, v10, vcc
	v_cndmask_b32_e32 v11, v12, v18, vcc
	v_lshlrev_b32_e32 v12, 16, v6
	v_bfrev_b32_e32 v17, 60
	v_lshlrev_b32_e32 v11, 20, v11
	v_and_b32_e32 v12, 0x80000000, v12
	v_lshl_add_u32 v10, v10, 23, v17
	v_or3_b32 v17, v12, v10, v11
.LBB387_602:
	s_or_b64 exec, exec, s[8:9]
.LBB387_603:
	s_or_b64 exec, exec, s[6:7]
.LBB387_604:
	s_or_b64 exec, exec, s[4:5]
	s_movk_i32 s3, 0xff
	v_and_b32_sdwa v11, v6, s3 dst_sel:DWORD dst_unused:UNUSED_PAD src0_sel:WORD_1 src1_sel:DWORD
	v_lshrrev_b32_e32 v10, 16, v6
	v_cmp_ne_u16_e32 vcc, 0, v11
	s_and_saveexec_b64 s[4:5], vcc
	s_cbranch_execz .LBB387_610
; %bb.605:
	s_movk_i32 s3, 0x80
	v_cmp_ne_u16_e32 vcc, s3, v11
	v_bfrev_b32_e32 v13, 1
	s_and_saveexec_b64 s[6:7], vcc
	s_cbranch_execz .LBB387_609
; %bb.606:
	v_bfe_u32 v11, v6, 16, 7
	s_movk_i32 s3, 0x7f
	v_cmp_ne_u32_e32 vcc, s3, v11
	v_mov_b32_e32 v13, 0x7f800001
	s_and_saveexec_b64 s[8:9], vcc
	s_cbranch_execz .LBB387_608
; %bb.607:
	v_and_b32_e32 v18, 7, v10
	v_ffbh_u32_e32 v12, v18
	v_min_u32_e32 v20, 32, v12
	v_subrev_u32_e32 v12, 28, v20
	v_lshlrev_b64 v[12:13], v12, v[10:11]
	v_and_b32_e32 v12, 7, v12
	v_cmp_gt_u32_e32 vcc, 8, v11
	v_lshrrev_b32_e32 v19, 3, v11
	v_sub_u32_e32 v10, 29, v20
	v_cndmask_b32_e32 v11, v18, v12, vcc
	v_mov_b32_e32 v12, 24
	v_cndmask_b32_e32 v10, v19, v10, vcc
	v_lshlrev_b32_sdwa v12, v12, v6 dst_sel:DWORD dst_unused:UNUSED_PAD src0_sel:DWORD src1_sel:WORD_1
	v_bfrev_b32_e32 v13, 60
	v_lshlrev_b32_e32 v11, 20, v11
	v_and_b32_e32 v12, 0x80000000, v12
	v_lshl_add_u32 v10, v10, 23, v13
	v_or3_b32 v13, v12, v10, v11
.LBB387_608:
	s_or_b64 exec, exec, s[8:9]
.LBB387_609:
	s_or_b64 exec, exec, s[6:7]
.LBB387_610:
	s_or_b64 exec, exec, s[4:5]
	s_mov_b32 s3, 0xffffff
	v_cmp_lt_u32_e32 vcc, s3, v6
	v_mov_b32_e32 v11, 0
	v_mov_b32_e32 v18, 0
	s_and_saveexec_b64 s[4:5], vcc
	s_cbranch_execz .LBB387_616
; %bb.611:
	v_lshrrev_b32_e32 v10, 24, v6
	s_movk_i32 s3, 0x80
	v_cmp_ne_u32_e32 vcc, s3, v10
	v_bfrev_b32_e32 v18, 1
	s_and_saveexec_b64 s[6:7], vcc
	s_cbranch_execz .LBB387_615
; %bb.612:
	v_bfe_u32 v12, v6, 24, 7
	s_movk_i32 s3, 0x7f
	v_cmp_ne_u32_e32 vcc, s3, v12
	v_mov_b32_e32 v18, 0x7f800001
	s_and_saveexec_b64 s[8:9], vcc
	s_cbranch_execz .LBB387_614
; %bb.613:
	v_and_b32_e32 v20, 7, v10
	v_ffbh_u32_e32 v18, v20
	v_min_u32_e32 v22, 32, v18
	v_subrev_u32_e32 v18, 28, v22
	v_lshlrev_b64 v[18:19], v18, v[10:11]
	v_lshrrev_b32_e32 v21, 3, v12
	v_sub_u32_e32 v19, 29, v22
	v_and_b32_e32 v18, 7, v18
	v_cmp_gt_u32_e32 vcc, 8, v12
	v_cndmask_b32_e32 v12, v21, v19, vcc
	v_cndmask_b32_e32 v18, v20, v18, vcc
	v_lshlrev_b32_e32 v10, 24, v10
	v_bfrev_b32_e32 v19, 60
	v_lshlrev_b32_e32 v18, 20, v18
	v_and_b32_e32 v10, 0x80000000, v10
	v_lshl_add_u32 v12, v12, 23, v19
	v_or3_b32 v18, v10, v12, v18
.LBB387_614:
	s_or_b64 exec, exec, s[8:9]
.LBB387_615:
	s_or_b64 exec, exec, s[6:7]
.LBB387_616:
	s_or_b64 exec, exec, s[4:5]
	v_mov_b32_e32 v10, v7
	v_cmp_ne_u16_sdwa s[6:7], v7, v11 src0_sel:BYTE_0 src1_sel:DWORD
	s_and_saveexec_b64 s[4:5], s[6:7]
	s_cbranch_execz .LBB387_622
; %bb.617:
	s_movk_i32 s3, 0x80
	v_cmp_ne_u16_sdwa s[8:9], v7, s3 src0_sel:BYTE_0 src1_sel:DWORD
	v_bfrev_b32_e32 v12, 1
	s_and_saveexec_b64 s[6:7], s[8:9]
	s_cbranch_execz .LBB387_621
; %bb.618:
	s_movk_i32 s3, 0x7f
	v_and_b32_e32 v19, 0x7f, v7
	v_cmp_ne_u32_e32 vcc, s3, v19
	v_mov_b32_e32 v12, 0x7f800001
	s_and_saveexec_b64 s[8:9], vcc
	s_cbranch_execz .LBB387_620
; %bb.619:
	v_and_b32_e32 v12, 7, v7
	v_ffbh_u32_e32 v12, v12
	v_min_u32_e32 v12, 32, v12
	v_subrev_u32_e32 v21, 28, v12
	v_cmp_gt_u32_e32 vcc, 8, v19
	v_lshrrev_b32_e32 v20, 3, v19
	v_sub_u32_e32 v12, 29, v12
	v_cndmask_b32_e32 v19, 0, v21, vcc
	v_cndmask_b32_e32 v12, v20, v12, vcc
	v_lshlrev_b64 v[20:21], v19, v[10:11]
	v_lshlrev_b32_e32 v11, 20, v20
	v_lshlrev_b32_e32 v19, 24, v10
	v_bfrev_b32_e32 v20, 60
	v_and_b32_e32 v11, 0x700000, v11
	v_and_b32_e32 v19, 0x80000000, v19
	v_lshl_add_u32 v12, v12, 23, v20
	v_or3_b32 v12, v19, v12, v11
.LBB387_620:
	s_or_b64 exec, exec, s[8:9]
.LBB387_621:
	s_or_b64 exec, exec, s[6:7]
	v_mov_b32_e32 v11, v12
.LBB387_622:
	s_or_b64 exec, exec, s[4:5]
	v_lshrrev_b16_e32 v12, 8, v10
	v_cmp_ne_u16_e32 vcc, 0, v12
	v_mov_b32_e32 v19, 0
	v_mov_b32_e32 v20, 0
	s_and_saveexec_b64 s[4:5], vcc
	s_cbranch_execz .LBB387_628
; %bb.623:
	s_movk_i32 s3, 0x80
	v_cmp_ne_u16_e32 vcc, s3, v12
	v_bfrev_b32_e32 v20, 1
	s_and_saveexec_b64 s[6:7], vcc
	s_cbranch_execz .LBB387_627
; %bb.624:
	s_movk_i32 s3, 0x7f
	v_and_b32_e32 v21, 0x7f, v12
	v_cmp_ne_u32_e32 vcc, s3, v21
	v_mov_b32_e32 v20, 0x7f800001
	s_and_saveexec_b64 s[8:9], vcc
	s_cbranch_execz .LBB387_626
; %bb.625:
	v_and_b32_e32 v20, 7, v12
	v_ffbh_u32_e32 v22, v20
	v_min_u32_e32 v26, 32, v22
	v_subrev_u32_e32 v22, 28, v26
	v_lshlrev_b64 v[22:23], v22, v[12:13]
	v_lshrrev_b32_e32 v24, 3, v21
	v_sub_u32_e32 v12, 29, v26
	v_and_b32_e32 v22, 7, v22
	v_cmp_gt_u32_e32 vcc, 8, v21
	v_cndmask_b32_e32 v12, v24, v12, vcc
	v_cndmask_b32_e32 v20, v20, v22, vcc
	v_lshlrev_b32_e32 v10, 16, v10
	v_bfrev_b32_e32 v21, 60
	v_lshlrev_b32_e32 v20, 20, v20
	v_and_b32_e32 v10, 0x80000000, v10
	v_lshl_add_u32 v12, v12, 23, v21
	v_or3_b32 v20, v10, v12, v20
.LBB387_626:
	s_or_b64 exec, exec, s[8:9]
.LBB387_627:
	s_or_b64 exec, exec, s[6:7]
.LBB387_628:
	s_or_b64 exec, exec, s[4:5]
	s_movk_i32 s3, 0xff
	v_and_b32_sdwa v12, v7, s3 dst_sel:DWORD dst_unused:UNUSED_PAD src0_sel:WORD_1 src1_sel:DWORD
	v_lshrrev_b32_e32 v10, 16, v7
	v_cmp_ne_u16_e32 vcc, 0, v12
	s_and_saveexec_b64 s[4:5], vcc
	s_cbranch_execz .LBB387_634
; %bb.629:
	s_movk_i32 s3, 0x80
	v_cmp_ne_u16_e32 vcc, s3, v12
	v_bfrev_b32_e32 v19, 1
	s_and_saveexec_b64 s[6:7], vcc
	s_cbranch_execz .LBB387_633
; %bb.630:
	v_bfe_u32 v12, v7, 16, 7
	s_movk_i32 s3, 0x7f
	v_cmp_ne_u32_e32 vcc, s3, v12
	v_mov_b32_e32 v19, 0x7f800001
	s_and_saveexec_b64 s[8:9], vcc
	s_cbranch_execz .LBB387_632
; %bb.631:
	v_and_b32_e32 v19, 7, v10
	v_ffbh_u32_e32 v22, v19
	v_min_u32_e32 v24, 32, v22
	v_subrev_u32_e32 v22, 28, v24
	v_lshlrev_b64 v[22:23], v22, v[10:11]
	v_and_b32_e32 v22, 7, v22
	v_cmp_gt_u32_e32 vcc, 8, v12
	v_lshrrev_b32_e32 v21, 3, v12
	v_sub_u32_e32 v10, 29, v24
	v_cndmask_b32_e32 v12, v19, v22, vcc
	v_mov_b32_e32 v19, 24
	v_cndmask_b32_e32 v10, v21, v10, vcc
	v_lshlrev_b32_sdwa v19, v19, v7 dst_sel:DWORD dst_unused:UNUSED_PAD src0_sel:DWORD src1_sel:WORD_1
	v_bfrev_b32_e32 v21, 60
	v_lshlrev_b32_e32 v12, 20, v12
	v_and_b32_e32 v19, 0x80000000, v19
	v_lshl_add_u32 v10, v10, 23, v21
	v_or3_b32 v19, v19, v10, v12
.LBB387_632:
	s_or_b64 exec, exec, s[8:9]
.LBB387_633:
	s_or_b64 exec, exec, s[6:7]
.LBB387_634:
	s_or_b64 exec, exec, s[4:5]
	s_mov_b32 s4, -1
	s_mov_b32 s5, 0xffffff
	v_cmp_lt_u64_e32 vcc, s[4:5], v[6:7]
	v_mov_b32_e32 v12, 0
	v_mov_b32_e32 v10, 0
	s_and_saveexec_b64 s[4:5], vcc
	s_cbranch_execz .LBB387_640
; %bb.635:
	v_lshrrev_b32_e32 v6, 24, v7
	s_movk_i32 s3, 0x80
	v_cmp_ne_u32_e32 vcc, s3, v6
	v_bfrev_b32_e32 v10, 1
	s_and_saveexec_b64 s[6:7], vcc
	s_cbranch_execz .LBB387_639
; %bb.636:
	v_bfe_u32 v7, v7, 24, 7
	s_movk_i32 s3, 0x7f
	v_cmp_ne_u32_e32 vcc, s3, v7
	v_mov_b32_e32 v10, 0x7f800001
	s_and_saveexec_b64 s[8:9], vcc
	s_cbranch_execz .LBB387_638
; %bb.637:
	v_and_b32_e32 v10, 7, v6
	v_ffbh_u32_e32 v22, v10
	v_min_u32_e32 v24, 32, v22
	v_subrev_u32_e32 v22, 28, v24
	v_lshlrev_b64 v[22:23], v22, v[6:7]
	v_lshrrev_b32_e32 v21, 3, v7
	v_sub_u32_e32 v23, 29, v24
	v_and_b32_e32 v22, 7, v22
	v_cmp_gt_u32_e32 vcc, 8, v7
	v_cndmask_b32_e32 v7, v21, v23, vcc
	v_cndmask_b32_e32 v10, v10, v22, vcc
	v_lshlrev_b32_e32 v6, 24, v6
	v_bfrev_b32_e32 v21, 60
	v_lshlrev_b32_e32 v10, 20, v10
	v_and_b32_e32 v6, 0x80000000, v6
	v_lshl_add_u32 v7, v7, 23, v21
	v_or3_b32 v10, v6, v7, v10
.LBB387_638:
	s_or_b64 exec, exec, s[8:9]
.LBB387_639:
	s_or_b64 exec, exec, s[6:7]
.LBB387_640:
	s_or_b64 exec, exec, s[4:5]
	v_cvt_pkrtz_f16_f32 v6, v16, v17
	v_cvt_pkrtz_f16_f32 v7, v13, v18
	;; [unrolled: 1-line block ×4, first 2 shown]
	v_mfma_f32_4x4x4f16 a[0:3], v[14:15], v[6:7], a[0:3] cbsz:4 abid:8
	v_cmp_ne_u16_sdwa s[6:7], v8, v12 src0_sel:BYTE_0 src1_sel:DWORD
	v_mfma_f32_4x4x4f16 a[0:3], v[14:15], v[16:17], a[0:3] cbsz:4 abid:9
	s_and_saveexec_b64 s[4:5], s[6:7]
	s_cbranch_execz .LBB387_646
; %bb.641:
	s_movk_i32 s3, 0x80
	v_cmp_ne_u16_sdwa s[8:9], v8, s3 src0_sel:BYTE_0 src1_sel:DWORD
	v_bfrev_b32_e32 v12, 1
	s_and_saveexec_b64 s[6:7], s[8:9]
	s_cbranch_execz .LBB387_645
; %bb.642:
	s_movk_i32 s3, 0x7f
	v_and_b32_e32 v6, 0x7f, v8
	v_cmp_ne_u32_e32 vcc, s3, v6
	v_mov_b32_e32 v12, 0x7f800001
	s_and_saveexec_b64 s[8:9], vcc
	s_cbranch_execz .LBB387_644
; %bb.643:
	v_and_b32_e32 v7, 7, v8
	v_ffbh_u32_e32 v7, v7
	v_min_u32_e32 v7, 32, v7
	v_subrev_u32_e32 v11, 28, v7
	v_cmp_gt_u32_e32 vcc, 8, v6
	v_lshrrev_b32_e32 v10, 3, v6
	v_sub_u32_e32 v7, 29, v7
	v_cndmask_b32_e32 v6, 0, v11, vcc
	v_cndmask_b32_e32 v10, v10, v7, vcc
	v_lshlrev_b64 v[6:7], v6, v[8:9]
	v_lshlrev_b32_e32 v6, 20, v6
	v_lshlrev_b32_e32 v7, 24, v8
	v_bfrev_b32_e32 v11, 60
	v_and_b32_e32 v6, 0x700000, v6
	v_and_b32_e32 v7, 0x80000000, v7
	v_lshl_add_u32 v10, v10, 23, v11
	v_or3_b32 v12, v7, v10, v6
.LBB387_644:
	s_or_b64 exec, exec, s[8:9]
.LBB387_645:
	s_or_b64 exec, exec, s[6:7]
.LBB387_646:
	s_or_b64 exec, exec, s[4:5]
	v_lshrrev_b16_e32 v6, 8, v8
	v_cmp_ne_u16_e32 vcc, 0, v6
	v_mov_b32_e32 v11, 0
	v_mov_b32_e32 v13, 0
	s_and_saveexec_b64 s[4:5], vcc
	s_cbranch_execz .LBB387_652
; %bb.647:
	s_movk_i32 s3, 0x80
	v_cmp_ne_u16_e32 vcc, s3, v6
	v_bfrev_b32_e32 v13, 1
	s_and_saveexec_b64 s[6:7], vcc
	s_cbranch_execz .LBB387_651
; %bb.648:
	s_movk_i32 s3, 0x7f
	v_and_b32_e32 v7, 0x7f, v6
	v_cmp_ne_u32_e32 vcc, s3, v7
	v_mov_b32_e32 v13, 0x7f800001
	s_and_saveexec_b64 s[8:9], vcc
	s_cbranch_execz .LBB387_650
; %bb.649:
	v_and_b32_e32 v10, 7, v6
	v_ffbh_u32_e32 v16, v10
	v_min_u32_e32 v18, 32, v16
	v_subrev_u32_e32 v16, 28, v18
	v_lshlrev_b64 v[16:17], v16, v[6:7]
	v_lshrrev_b32_e32 v13, 3, v7
	v_sub_u32_e32 v6, 29, v18
	v_and_b32_e32 v16, 7, v16
	v_cmp_gt_u32_e32 vcc, 8, v7
	v_cndmask_b32_e32 v6, v13, v6, vcc
	v_cndmask_b32_e32 v7, v10, v16, vcc
	v_lshlrev_b32_e32 v10, 16, v8
	v_bfrev_b32_e32 v13, 60
	v_lshlrev_b32_e32 v7, 20, v7
	v_and_b32_e32 v10, 0x80000000, v10
	v_lshl_add_u32 v6, v6, 23, v13
	v_or3_b32 v13, v10, v6, v7
.LBB387_650:
	s_or_b64 exec, exec, s[8:9]
.LBB387_651:
	s_or_b64 exec, exec, s[6:7]
.LBB387_652:
	s_or_b64 exec, exec, s[4:5]
	s_movk_i32 s3, 0xff
	v_and_b32_sdwa v7, v8, s3 dst_sel:DWORD dst_unused:UNUSED_PAD src0_sel:WORD_1 src1_sel:DWORD
	v_lshrrev_b32_e32 v6, 16, v8
	v_cmp_ne_u16_e32 vcc, 0, v7
	s_and_saveexec_b64 s[4:5], vcc
	s_cbranch_execz .LBB387_658
; %bb.653:
	s_movk_i32 s3, 0x80
	v_cmp_ne_u16_e32 vcc, s3, v7
	v_bfrev_b32_e32 v11, 1
	s_and_saveexec_b64 s[6:7], vcc
	s_cbranch_execz .LBB387_657
; %bb.654:
	v_bfe_u32 v7, v8, 16, 7
	s_movk_i32 s3, 0x7f
	v_cmp_ne_u32_e32 vcc, s3, v7
	v_mov_b32_e32 v11, 0x7f800001
	s_and_saveexec_b64 s[8:9], vcc
	s_cbranch_execz .LBB387_656
; %bb.655:
	v_and_b32_e32 v16, 7, v6
	v_ffbh_u32_e32 v10, v16
	v_min_u32_e32 v18, 32, v10
	v_subrev_u32_e32 v10, 28, v18
	v_lshlrev_b64 v[10:11], v10, v[6:7]
	v_and_b32_e32 v10, 7, v10
	v_cmp_gt_u32_e32 vcc, 8, v7
	v_lshrrev_b32_e32 v17, 3, v7
	v_sub_u32_e32 v6, 29, v18
	v_cndmask_b32_e32 v7, v16, v10, vcc
	v_mov_b32_e32 v10, 24
	v_cndmask_b32_e32 v6, v17, v6, vcc
	v_lshlrev_b32_sdwa v10, v10, v8 dst_sel:DWORD dst_unused:UNUSED_PAD src0_sel:DWORD src1_sel:WORD_1
	v_bfrev_b32_e32 v11, 60
	v_lshlrev_b32_e32 v7, 20, v7
	v_and_b32_e32 v10, 0x80000000, v10
	v_lshl_add_u32 v6, v6, 23, v11
	v_or3_b32 v11, v10, v6, v7
.LBB387_656:
	s_or_b64 exec, exec, s[8:9]
.LBB387_657:
	s_or_b64 exec, exec, s[6:7]
.LBB387_658:
	s_or_b64 exec, exec, s[4:5]
	s_mov_b32 s3, 0xffffff
	v_cmp_lt_u32_e32 vcc, s3, v8
	v_mov_b32_e32 v7, 0
	v_mov_b32_e32 v16, 0
	s_and_saveexec_b64 s[4:5], vcc
	s_cbranch_execz .LBB387_664
; %bb.659:
	v_lshrrev_b32_e32 v6, 24, v8
	s_movk_i32 s3, 0x80
	v_cmp_ne_u32_e32 vcc, s3, v6
	v_bfrev_b32_e32 v16, 1
	s_and_saveexec_b64 s[6:7], vcc
	s_cbranch_execz .LBB387_663
; %bb.660:
	v_bfe_u32 v10, v8, 24, 7
	s_movk_i32 s3, 0x7f
	v_cmp_ne_u32_e32 vcc, s3, v10
	v_mov_b32_e32 v16, 0x7f800001
	s_and_saveexec_b64 s[8:9], vcc
	s_cbranch_execz .LBB387_662
; %bb.661:
	v_and_b32_e32 v18, 7, v6
	v_ffbh_u32_e32 v16, v18
	v_min_u32_e32 v20, 32, v16
	v_subrev_u32_e32 v16, 28, v20
	v_lshlrev_b64 v[16:17], v16, v[6:7]
	v_lshrrev_b32_e32 v19, 3, v10
	v_sub_u32_e32 v17, 29, v20
	v_and_b32_e32 v16, 7, v16
	v_cmp_gt_u32_e32 vcc, 8, v10
	v_cndmask_b32_e32 v10, v19, v17, vcc
	v_cndmask_b32_e32 v16, v18, v16, vcc
	v_lshlrev_b32_e32 v6, 24, v6
	v_bfrev_b32_e32 v17, 60
	v_lshlrev_b32_e32 v16, 20, v16
	v_and_b32_e32 v6, 0x80000000, v6
	v_lshl_add_u32 v10, v10, 23, v17
	v_or3_b32 v16, v6, v10, v16
.LBB387_662:
	s_or_b64 exec, exec, s[8:9]
.LBB387_663:
	s_or_b64 exec, exec, s[6:7]
.LBB387_664:
	s_or_b64 exec, exec, s[4:5]
	v_mov_b32_e32 v6, v9
	v_cmp_ne_u16_sdwa s[6:7], v9, v7 src0_sel:BYTE_0 src1_sel:DWORD
	s_and_saveexec_b64 s[4:5], s[6:7]
	s_cbranch_execz .LBB387_670
; %bb.665:
	s_movk_i32 s3, 0x80
	v_cmp_ne_u16_sdwa s[8:9], v9, s3 src0_sel:BYTE_0 src1_sel:DWORD
	v_bfrev_b32_e32 v10, 1
	s_and_saveexec_b64 s[6:7], s[8:9]
	s_cbranch_execz .LBB387_669
; %bb.666:
	s_movk_i32 s3, 0x7f
	v_and_b32_e32 v17, 0x7f, v9
	v_cmp_ne_u32_e32 vcc, s3, v17
	v_mov_b32_e32 v10, 0x7f800001
	s_and_saveexec_b64 s[8:9], vcc
	s_cbranch_execz .LBB387_668
; %bb.667:
	v_and_b32_e32 v10, 7, v9
	v_ffbh_u32_e32 v10, v10
	v_min_u32_e32 v10, 32, v10
	v_subrev_u32_e32 v19, 28, v10
	v_cmp_gt_u32_e32 vcc, 8, v17
	v_lshrrev_b32_e32 v18, 3, v17
	v_sub_u32_e32 v10, 29, v10
	v_cndmask_b32_e32 v17, 0, v19, vcc
	v_cndmask_b32_e32 v10, v18, v10, vcc
	v_lshlrev_b64 v[18:19], v17, v[6:7]
	v_lshlrev_b32_e32 v7, 20, v18
	v_lshlrev_b32_e32 v17, 24, v6
	v_bfrev_b32_e32 v18, 60
	v_and_b32_e32 v7, 0x700000, v7
	v_and_b32_e32 v17, 0x80000000, v17
	v_lshl_add_u32 v10, v10, 23, v18
	v_or3_b32 v10, v17, v10, v7
.LBB387_668:
	s_or_b64 exec, exec, s[8:9]
.LBB387_669:
	s_or_b64 exec, exec, s[6:7]
	v_mov_b32_e32 v7, v10
.LBB387_670:
	s_or_b64 exec, exec, s[4:5]
	v_lshrrev_b16_e32 v10, 8, v6
	v_cmp_ne_u16_e32 vcc, 0, v10
	v_mov_b32_e32 v17, 0
	v_mov_b32_e32 v18, 0
	s_and_saveexec_b64 s[4:5], vcc
	s_cbranch_execz .LBB387_676
; %bb.671:
	s_movk_i32 s3, 0x80
	v_cmp_ne_u16_e32 vcc, s3, v10
	v_bfrev_b32_e32 v18, 1
	s_and_saveexec_b64 s[6:7], vcc
	s_cbranch_execz .LBB387_675
; %bb.672:
	s_movk_i32 s3, 0x7f
	v_and_b32_e32 v19, 0x7f, v10
	v_cmp_ne_u32_e32 vcc, s3, v19
	v_mov_b32_e32 v18, 0x7f800001
	s_and_saveexec_b64 s[8:9], vcc
	s_cbranch_execz .LBB387_674
; %bb.673:
	v_and_b32_e32 v18, 7, v10
	v_ffbh_u32_e32 v20, v18
	v_min_u32_e32 v23, 32, v20
	v_subrev_u32_e32 v20, 28, v23
	v_lshlrev_b64 v[20:21], v20, v[10:11]
	v_lshrrev_b32_e32 v22, 3, v19
	v_sub_u32_e32 v10, 29, v23
	v_and_b32_e32 v20, 7, v20
	v_cmp_gt_u32_e32 vcc, 8, v19
	v_cndmask_b32_e32 v10, v22, v10, vcc
	v_cndmask_b32_e32 v18, v18, v20, vcc
	v_lshlrev_b32_e32 v6, 16, v6
	v_bfrev_b32_e32 v19, 60
	v_lshlrev_b32_e32 v18, 20, v18
	v_and_b32_e32 v6, 0x80000000, v6
	v_lshl_add_u32 v10, v10, 23, v19
	v_or3_b32 v18, v6, v10, v18
.LBB387_674:
	s_or_b64 exec, exec, s[8:9]
.LBB387_675:
	s_or_b64 exec, exec, s[6:7]
.LBB387_676:
	s_or_b64 exec, exec, s[4:5]
	s_movk_i32 s3, 0xff
	v_and_b32_sdwa v10, v9, s3 dst_sel:DWORD dst_unused:UNUSED_PAD src0_sel:WORD_1 src1_sel:DWORD
	v_lshrrev_b32_e32 v6, 16, v9
	v_cmp_ne_u16_e32 vcc, 0, v10
	s_and_saveexec_b64 s[4:5], vcc
	s_cbranch_execz .LBB387_682
; %bb.677:
	s_movk_i32 s3, 0x80
	v_cmp_ne_u16_e32 vcc, s3, v10
	v_bfrev_b32_e32 v17, 1
	s_and_saveexec_b64 s[6:7], vcc
	s_cbranch_execz .LBB387_681
; %bb.678:
	v_bfe_u32 v10, v9, 16, 7
	s_movk_i32 s3, 0x7f
	v_cmp_ne_u32_e32 vcc, s3, v10
	v_mov_b32_e32 v17, 0x7f800001
	s_and_saveexec_b64 s[8:9], vcc
	s_cbranch_execz .LBB387_680
; %bb.679:
	v_and_b32_e32 v17, 7, v6
	v_ffbh_u32_e32 v20, v17
	v_min_u32_e32 v22, 32, v20
	v_subrev_u32_e32 v20, 28, v22
	v_lshlrev_b64 v[20:21], v20, v[6:7]
	v_and_b32_e32 v20, 7, v20
	v_cmp_gt_u32_e32 vcc, 8, v10
	v_lshrrev_b32_e32 v19, 3, v10
	v_sub_u32_e32 v6, 29, v22
	v_cndmask_b32_e32 v10, v17, v20, vcc
	v_mov_b32_e32 v17, 24
	v_cndmask_b32_e32 v6, v19, v6, vcc
	v_lshlrev_b32_sdwa v17, v17, v9 dst_sel:DWORD dst_unused:UNUSED_PAD src0_sel:DWORD src1_sel:WORD_1
	v_bfrev_b32_e32 v19, 60
	v_lshlrev_b32_e32 v10, 20, v10
	v_and_b32_e32 v17, 0x80000000, v17
	v_lshl_add_u32 v6, v6, 23, v19
	v_or3_b32 v17, v17, v6, v10
.LBB387_680:
	s_or_b64 exec, exec, s[8:9]
.LBB387_681:
	s_or_b64 exec, exec, s[6:7]
.LBB387_682:
	s_or_b64 exec, exec, s[4:5]
	s_mov_b32 s4, -1
	s_mov_b32 s5, 0xffffff
	v_cmp_lt_u64_e32 vcc, s[4:5], v[8:9]
	v_mov_b32_e32 v10, 0
	v_mov_b32_e32 v8, 0
	s_and_saveexec_b64 s[4:5], vcc
	s_cbranch_execz .LBB387_688
; %bb.683:
	v_lshrrev_b32_e32 v6, 24, v9
	s_movk_i32 s3, 0x80
	v_cmp_ne_u32_e32 vcc, s3, v6
	v_bfrev_b32_e32 v8, 1
	s_and_saveexec_b64 s[6:7], vcc
	s_cbranch_execz .LBB387_687
; %bb.684:
	v_bfe_u32 v9, v9, 24, 7
	s_movk_i32 s3, 0x7f
	v_cmp_ne_u32_e32 vcc, s3, v9
	v_mov_b32_e32 v8, 0x7f800001
	s_and_saveexec_b64 s[8:9], vcc
	s_cbranch_execz .LBB387_686
; %bb.685:
	v_and_b32_e32 v8, 7, v6
	v_ffbh_u32_e32 v20, v8
	v_min_u32_e32 v22, 32, v20
	v_subrev_u32_e32 v20, 28, v22
	v_lshlrev_b64 v[20:21], v20, v[6:7]
	v_lshrrev_b32_e32 v19, 3, v9
	v_sub_u32_e32 v21, 29, v22
	v_and_b32_e32 v20, 7, v20
	v_cmp_gt_u32_e32 vcc, 8, v9
	v_cndmask_b32_e32 v9, v19, v21, vcc
	v_cndmask_b32_e32 v8, v8, v20, vcc
	v_lshlrev_b32_e32 v6, 24, v6
	v_bfrev_b32_e32 v19, 60
	v_lshlrev_b32_e32 v8, 20, v8
	v_and_b32_e32 v6, 0x80000000, v6
	v_lshl_add_u32 v9, v9, 23, v19
	v_or3_b32 v8, v6, v9, v8
.LBB387_686:
	s_or_b64 exec, exec, s[8:9]
.LBB387_687:
	s_or_b64 exec, exec, s[6:7]
.LBB387_688:
	s_or_b64 exec, exec, s[4:5]
	v_cvt_pkrtz_f16_f32 v12, v12, v13
	v_cvt_pkrtz_f16_f32 v13, v11, v16
	;; [unrolled: 1-line block ×4, first 2 shown]
	v_mfma_f32_4x4x4f16 a[0:3], v[14:15], v[12:13], a[0:3] cbsz:4 abid:10
	s_waitcnt vmcnt(2)
	v_cmp_ne_u16_sdwa s[6:7], v2, v10 src0_sel:BYTE_0 src1_sel:DWORD
	v_mfma_f32_4x4x4f16 a[0:3], v[14:15], v[6:7], a[0:3] cbsz:4 abid:11
	s_and_saveexec_b64 s[4:5], s[6:7]
	s_cbranch_execz .LBB387_694
; %bb.689:
	s_movk_i32 s3, 0x80
	v_cmp_ne_u16_sdwa s[8:9], v2, s3 src0_sel:BYTE_0 src1_sel:DWORD
	v_bfrev_b32_e32 v10, 1
	s_and_saveexec_b64 s[6:7], s[8:9]
	s_cbranch_execz .LBB387_693
; %bb.690:
	s_movk_i32 s3, 0x7f
	v_and_b32_e32 v6, 0x7f, v2
	v_cmp_ne_u32_e32 vcc, s3, v6
	v_mov_b32_e32 v10, 0x7f800001
	s_and_saveexec_b64 s[8:9], vcc
	s_cbranch_execz .LBB387_692
; %bb.691:
	v_and_b32_e32 v7, 7, v2
	v_ffbh_u32_e32 v7, v7
	v_min_u32_e32 v7, 32, v7
	v_subrev_u32_e32 v9, 28, v7
	v_cmp_gt_u32_e32 vcc, 8, v6
	v_lshrrev_b32_e32 v8, 3, v6
	v_sub_u32_e32 v7, 29, v7
	v_cndmask_b32_e32 v6, 0, v9, vcc
	v_cndmask_b32_e32 v8, v8, v7, vcc
	v_lshlrev_b64 v[6:7], v6, v[2:3]
	v_lshlrev_b32_e32 v6, 20, v6
	v_lshlrev_b32_e32 v7, 24, v2
	v_bfrev_b32_e32 v9, 60
	v_and_b32_e32 v6, 0x700000, v6
	v_and_b32_e32 v7, 0x80000000, v7
	v_lshl_add_u32 v8, v8, 23, v9
	v_or3_b32 v10, v7, v8, v6
.LBB387_692:
	s_or_b64 exec, exec, s[8:9]
.LBB387_693:
	s_or_b64 exec, exec, s[6:7]
.LBB387_694:
	s_or_b64 exec, exec, s[4:5]
	v_lshrrev_b16_e32 v6, 8, v2
	v_cmp_ne_u16_e32 vcc, 0, v6
	v_mov_b32_e32 v9, 0
	v_mov_b32_e32 v11, 0
	s_and_saveexec_b64 s[4:5], vcc
	s_cbranch_execz .LBB387_700
; %bb.695:
	s_movk_i32 s3, 0x80
	v_cmp_ne_u16_e32 vcc, s3, v6
	v_bfrev_b32_e32 v11, 1
	s_and_saveexec_b64 s[6:7], vcc
	s_cbranch_execz .LBB387_699
; %bb.696:
	s_movk_i32 s3, 0x7f
	v_and_b32_e32 v7, 0x7f, v6
	v_cmp_ne_u32_e32 vcc, s3, v7
	v_mov_b32_e32 v11, 0x7f800001
	s_and_saveexec_b64 s[8:9], vcc
	s_cbranch_execz .LBB387_698
; %bb.697:
	v_and_b32_e32 v8, 7, v6
	v_ffbh_u32_e32 v12, v8
	v_min_u32_e32 v16, 32, v12
	v_subrev_u32_e32 v12, 28, v16
	v_lshlrev_b64 v[12:13], v12, v[6:7]
	v_lshrrev_b32_e32 v11, 3, v7
	v_sub_u32_e32 v6, 29, v16
	v_and_b32_e32 v12, 7, v12
	v_cmp_gt_u32_e32 vcc, 8, v7
	v_cndmask_b32_e32 v6, v11, v6, vcc
	v_cndmask_b32_e32 v7, v8, v12, vcc
	v_lshlrev_b32_e32 v8, 16, v2
	v_bfrev_b32_e32 v11, 60
	v_lshlrev_b32_e32 v7, 20, v7
	v_and_b32_e32 v8, 0x80000000, v8
	v_lshl_add_u32 v6, v6, 23, v11
	v_or3_b32 v11, v8, v6, v7
.LBB387_698:
	s_or_b64 exec, exec, s[8:9]
.LBB387_699:
	s_or_b64 exec, exec, s[6:7]
.LBB387_700:
	s_or_b64 exec, exec, s[4:5]
	s_movk_i32 s3, 0xff
	v_and_b32_sdwa v7, v2, s3 dst_sel:DWORD dst_unused:UNUSED_PAD src0_sel:WORD_1 src1_sel:DWORD
	v_lshrrev_b32_e32 v6, 16, v2
	v_cmp_ne_u16_e32 vcc, 0, v7
	s_and_saveexec_b64 s[4:5], vcc
	s_cbranch_execz .LBB387_706
; %bb.701:
	s_movk_i32 s3, 0x80
	v_cmp_ne_u16_e32 vcc, s3, v7
	v_bfrev_b32_e32 v9, 1
	s_and_saveexec_b64 s[6:7], vcc
	s_cbranch_execz .LBB387_705
; %bb.702:
	v_bfe_u32 v7, v2, 16, 7
	s_movk_i32 s3, 0x7f
	v_cmp_ne_u32_e32 vcc, s3, v7
	v_mov_b32_e32 v9, 0x7f800001
	s_and_saveexec_b64 s[8:9], vcc
	s_cbranch_execz .LBB387_704
; %bb.703:
	v_and_b32_e32 v12, 7, v6
	v_ffbh_u32_e32 v8, v12
	v_min_u32_e32 v16, 32, v8
	v_subrev_u32_e32 v8, 28, v16
	v_lshlrev_b64 v[8:9], v8, v[6:7]
	v_and_b32_e32 v8, 7, v8
	v_cmp_gt_u32_e32 vcc, 8, v7
	v_lshrrev_b32_e32 v13, 3, v7
	v_sub_u32_e32 v6, 29, v16
	v_cndmask_b32_e32 v7, v12, v8, vcc
	v_mov_b32_e32 v8, 24
	v_cndmask_b32_e32 v6, v13, v6, vcc
	v_lshlrev_b32_sdwa v8, v8, v2 dst_sel:DWORD dst_unused:UNUSED_PAD src0_sel:DWORD src1_sel:WORD_1
	v_bfrev_b32_e32 v9, 60
	v_lshlrev_b32_e32 v7, 20, v7
	v_and_b32_e32 v8, 0x80000000, v8
	v_lshl_add_u32 v6, v6, 23, v9
	v_or3_b32 v9, v8, v6, v7
.LBB387_704:
	s_or_b64 exec, exec, s[8:9]
.LBB387_705:
	s_or_b64 exec, exec, s[6:7]
.LBB387_706:
	s_or_b64 exec, exec, s[4:5]
	s_mov_b32 s3, 0xffffff
	v_cmp_lt_u32_e32 vcc, s3, v2
	v_mov_b32_e32 v7, 0
	v_mov_b32_e32 v12, 0
	s_and_saveexec_b64 s[4:5], vcc
	s_cbranch_execz .LBB387_712
; %bb.707:
	v_lshrrev_b32_e32 v6, 24, v2
	s_movk_i32 s3, 0x80
	v_cmp_ne_u32_e32 vcc, s3, v6
	v_bfrev_b32_e32 v12, 1
	s_and_saveexec_b64 s[6:7], vcc
	s_cbranch_execz .LBB387_711
; %bb.708:
	v_bfe_u32 v8, v2, 24, 7
	s_movk_i32 s3, 0x7f
	v_cmp_ne_u32_e32 vcc, s3, v8
	v_mov_b32_e32 v12, 0x7f800001
	s_and_saveexec_b64 s[8:9], vcc
	s_cbranch_execz .LBB387_710
; %bb.709:
	v_and_b32_e32 v16, 7, v6
	v_ffbh_u32_e32 v12, v16
	v_min_u32_e32 v18, 32, v12
	v_subrev_u32_e32 v12, 28, v18
	v_lshlrev_b64 v[12:13], v12, v[6:7]
	v_lshrrev_b32_e32 v17, 3, v8
	v_sub_u32_e32 v13, 29, v18
	v_and_b32_e32 v12, 7, v12
	v_cmp_gt_u32_e32 vcc, 8, v8
	v_cndmask_b32_e32 v8, v17, v13, vcc
	v_cndmask_b32_e32 v12, v16, v12, vcc
	v_lshlrev_b32_e32 v6, 24, v6
	v_bfrev_b32_e32 v13, 60
	v_lshlrev_b32_e32 v12, 20, v12
	v_and_b32_e32 v6, 0x80000000, v6
	v_lshl_add_u32 v8, v8, 23, v13
	v_or3_b32 v12, v6, v8, v12
.LBB387_710:
	s_or_b64 exec, exec, s[8:9]
.LBB387_711:
	s_or_b64 exec, exec, s[6:7]
.LBB387_712:
	s_or_b64 exec, exec, s[4:5]
	v_mov_b32_e32 v6, v3
	v_cmp_ne_u16_sdwa s[6:7], v3, v7 src0_sel:BYTE_0 src1_sel:DWORD
	s_and_saveexec_b64 s[4:5], s[6:7]
	s_cbranch_execz .LBB387_718
; %bb.713:
	s_movk_i32 s3, 0x80
	v_cmp_ne_u16_sdwa s[8:9], v3, s3 src0_sel:BYTE_0 src1_sel:DWORD
	v_bfrev_b32_e32 v8, 1
	s_and_saveexec_b64 s[6:7], s[8:9]
	s_cbranch_execz .LBB387_717
; %bb.714:
	s_movk_i32 s3, 0x7f
	v_and_b32_e32 v13, 0x7f, v3
	v_cmp_ne_u32_e32 vcc, s3, v13
	v_mov_b32_e32 v8, 0x7f800001
	s_and_saveexec_b64 s[8:9], vcc
	s_cbranch_execz .LBB387_716
; %bb.715:
	v_and_b32_e32 v8, 7, v3
	v_ffbh_u32_e32 v8, v8
	v_min_u32_e32 v8, 32, v8
	v_subrev_u32_e32 v17, 28, v8
	v_cmp_gt_u32_e32 vcc, 8, v13
	v_lshrrev_b32_e32 v16, 3, v13
	v_sub_u32_e32 v8, 29, v8
	v_cndmask_b32_e32 v13, 0, v17, vcc
	v_cndmask_b32_e32 v8, v16, v8, vcc
	v_lshlrev_b64 v[16:17], v13, v[6:7]
	v_lshlrev_b32_e32 v7, 20, v16
	v_lshlrev_b32_e32 v13, 24, v6
	v_bfrev_b32_e32 v16, 60
	v_and_b32_e32 v7, 0x700000, v7
	v_and_b32_e32 v13, 0x80000000, v13
	v_lshl_add_u32 v8, v8, 23, v16
	v_or3_b32 v8, v13, v8, v7
.LBB387_716:
	s_or_b64 exec, exec, s[8:9]
.LBB387_717:
	s_or_b64 exec, exec, s[6:7]
	v_mov_b32_e32 v7, v8
.LBB387_718:
	s_or_b64 exec, exec, s[4:5]
	v_lshrrev_b16_e32 v8, 8, v6
	v_cmp_ne_u16_e32 vcc, 0, v8
	v_mov_b32_e32 v13, 0
	v_mov_b32_e32 v16, 0
	s_and_saveexec_b64 s[4:5], vcc
	s_cbranch_execz .LBB387_724
; %bb.719:
	s_movk_i32 s3, 0x80
	v_cmp_ne_u16_e32 vcc, s3, v8
	v_bfrev_b32_e32 v16, 1
	s_and_saveexec_b64 s[6:7], vcc
	s_cbranch_execz .LBB387_723
; %bb.720:
	s_movk_i32 s3, 0x7f
	v_and_b32_e32 v17, 0x7f, v8
	v_cmp_ne_u32_e32 vcc, s3, v17
	v_mov_b32_e32 v16, 0x7f800001
	s_and_saveexec_b64 s[8:9], vcc
	s_cbranch_execz .LBB387_722
; %bb.721:
	v_and_b32_e32 v16, 7, v8
	v_ffbh_u32_e32 v18, v16
	v_min_u32_e32 v21, 32, v18
	v_subrev_u32_e32 v18, 28, v21
	v_lshlrev_b64 v[18:19], v18, v[8:9]
	v_lshrrev_b32_e32 v20, 3, v17
	v_sub_u32_e32 v8, 29, v21
	v_and_b32_e32 v18, 7, v18
	v_cmp_gt_u32_e32 vcc, 8, v17
	v_cndmask_b32_e32 v8, v20, v8, vcc
	v_cndmask_b32_e32 v16, v16, v18, vcc
	v_lshlrev_b32_e32 v6, 16, v6
	v_bfrev_b32_e32 v17, 60
	v_lshlrev_b32_e32 v16, 20, v16
	v_and_b32_e32 v6, 0x80000000, v6
	v_lshl_add_u32 v8, v8, 23, v17
	v_or3_b32 v16, v6, v8, v16
.LBB387_722:
	s_or_b64 exec, exec, s[8:9]
.LBB387_723:
	s_or_b64 exec, exec, s[6:7]
.LBB387_724:
	s_or_b64 exec, exec, s[4:5]
	s_movk_i32 s3, 0xff
	v_and_b32_sdwa v8, v3, s3 dst_sel:DWORD dst_unused:UNUSED_PAD src0_sel:WORD_1 src1_sel:DWORD
	v_lshrrev_b32_e32 v6, 16, v3
	v_cmp_ne_u16_e32 vcc, 0, v8
	s_and_saveexec_b64 s[4:5], vcc
	s_cbranch_execz .LBB387_730
; %bb.725:
	s_movk_i32 s3, 0x80
	v_cmp_ne_u16_e32 vcc, s3, v8
	v_bfrev_b32_e32 v13, 1
	s_and_saveexec_b64 s[6:7], vcc
	s_cbranch_execz .LBB387_729
; %bb.726:
	v_bfe_u32 v8, v3, 16, 7
	s_movk_i32 s3, 0x7f
	v_cmp_ne_u32_e32 vcc, s3, v8
	v_mov_b32_e32 v13, 0x7f800001
	s_and_saveexec_b64 s[8:9], vcc
	s_cbranch_execz .LBB387_728
; %bb.727:
	v_and_b32_e32 v13, 7, v6
	v_ffbh_u32_e32 v18, v13
	v_min_u32_e32 v20, 32, v18
	v_subrev_u32_e32 v18, 28, v20
	v_lshlrev_b64 v[18:19], v18, v[6:7]
	v_and_b32_e32 v18, 7, v18
	v_cmp_gt_u32_e32 vcc, 8, v8
	v_lshrrev_b32_e32 v17, 3, v8
	v_sub_u32_e32 v6, 29, v20
	v_cndmask_b32_e32 v8, v13, v18, vcc
	v_mov_b32_e32 v13, 24
	v_cndmask_b32_e32 v6, v17, v6, vcc
	v_lshlrev_b32_sdwa v13, v13, v3 dst_sel:DWORD dst_unused:UNUSED_PAD src0_sel:DWORD src1_sel:WORD_1
	v_bfrev_b32_e32 v17, 60
	v_lshlrev_b32_e32 v8, 20, v8
	v_and_b32_e32 v13, 0x80000000, v13
	v_lshl_add_u32 v6, v6, 23, v17
	v_or3_b32 v13, v13, v6, v8
.LBB387_728:
	s_or_b64 exec, exec, s[8:9]
.LBB387_729:
	s_or_b64 exec, exec, s[6:7]
.LBB387_730:
	s_or_b64 exec, exec, s[4:5]
	s_mov_b32 s4, -1
	s_mov_b32 s5, 0xffffff
	v_cmp_lt_u64_e32 vcc, s[4:5], v[2:3]
	v_mov_b32_e32 v8, 0
	v_mov_b32_e32 v6, 0
	s_and_saveexec_b64 s[4:5], vcc
	s_cbranch_execz .LBB387_736
; %bb.731:
	v_lshrrev_b32_e32 v2, 24, v3
	s_movk_i32 s3, 0x80
	v_cmp_ne_u32_e32 vcc, s3, v2
	v_bfrev_b32_e32 v6, 1
	s_and_saveexec_b64 s[6:7], vcc
	s_cbranch_execz .LBB387_735
; %bb.732:
	v_bfe_u32 v3, v3, 24, 7
	s_movk_i32 s3, 0x7f
	v_cmp_ne_u32_e32 vcc, s3, v3
	v_mov_b32_e32 v6, 0x7f800001
	s_and_saveexec_b64 s[8:9], vcc
	s_cbranch_execz .LBB387_734
; %bb.733:
	v_and_b32_e32 v6, 7, v2
	v_ffbh_u32_e32 v18, v6
	v_min_u32_e32 v20, 32, v18
	v_subrev_u32_e32 v18, 28, v20
	v_lshlrev_b64 v[18:19], v18, v[2:3]
	v_lshrrev_b32_e32 v17, 3, v3
	v_sub_u32_e32 v19, 29, v20
	v_and_b32_e32 v18, 7, v18
	v_cmp_gt_u32_e32 vcc, 8, v3
	v_cndmask_b32_e32 v3, v17, v19, vcc
	v_cndmask_b32_e32 v6, v6, v18, vcc
	v_lshlrev_b32_e32 v2, 24, v2
	v_bfrev_b32_e32 v17, 60
	v_lshlrev_b32_e32 v6, 20, v6
	v_and_b32_e32 v2, 0x80000000, v2
	v_lshl_add_u32 v3, v3, 23, v17
	v_or3_b32 v6, v2, v3, v6
.LBB387_734:
	s_or_b64 exec, exec, s[8:9]
.LBB387_735:
	s_or_b64 exec, exec, s[6:7]
.LBB387_736:
	s_or_b64 exec, exec, s[4:5]
	v_cvt_pkrtz_f16_f32 v2, v10, v11
	v_cvt_pkrtz_f16_f32 v3, v9, v12
	;; [unrolled: 1-line block ×4, first 2 shown]
	v_mfma_f32_4x4x4f16 a[0:3], v[14:15], v[2:3], a[0:3] cbsz:4 abid:12
	v_cmp_ne_u16_sdwa s[6:7], v4, v8 src0_sel:BYTE_0 src1_sel:DWORD
	v_mfma_f32_4x4x4f16 a[0:3], v[14:15], v[10:11], a[0:3] cbsz:4 abid:13
	s_and_saveexec_b64 s[4:5], s[6:7]
	s_cbranch_execz .LBB387_742
; %bb.737:
	s_movk_i32 s3, 0x80
	v_cmp_ne_u16_sdwa s[8:9], v4, s3 src0_sel:BYTE_0 src1_sel:DWORD
	v_bfrev_b32_e32 v8, 1
	s_and_saveexec_b64 s[6:7], s[8:9]
	s_cbranch_execz .LBB387_741
; %bb.738:
	s_movk_i32 s3, 0x7f
	v_and_b32_e32 v2, 0x7f, v4
	v_cmp_ne_u32_e32 vcc, s3, v2
	v_mov_b32_e32 v8, 0x7f800001
	s_and_saveexec_b64 s[8:9], vcc
	s_cbranch_execz .LBB387_740
; %bb.739:
	v_and_b32_e32 v3, 7, v4
	v_ffbh_u32_e32 v3, v3
	v_min_u32_e32 v3, 32, v3
	v_subrev_u32_e32 v7, 28, v3
	v_cmp_gt_u32_e32 vcc, 8, v2
	v_lshrrev_b32_e32 v6, 3, v2
	v_sub_u32_e32 v3, 29, v3
	v_cndmask_b32_e32 v2, 0, v7, vcc
	v_cndmask_b32_e32 v6, v6, v3, vcc
	v_lshlrev_b64 v[2:3], v2, v[4:5]
	v_lshlrev_b32_e32 v2, 20, v2
	v_lshlrev_b32_e32 v3, 24, v4
	v_bfrev_b32_e32 v7, 60
	v_and_b32_e32 v2, 0x700000, v2
	v_and_b32_e32 v3, 0x80000000, v3
	v_lshl_add_u32 v6, v6, 23, v7
	v_or3_b32 v8, v3, v6, v2
.LBB387_740:
	s_or_b64 exec, exec, s[8:9]
.LBB387_741:
	s_or_b64 exec, exec, s[6:7]
.LBB387_742:
	s_or_b64 exec, exec, s[4:5]
	v_lshrrev_b16_e32 v2, 8, v4
	v_cmp_ne_u16_e32 vcc, 0, v2
	v_mov_b32_e32 v7, 0
	v_mov_b32_e32 v9, 0
	s_and_saveexec_b64 s[4:5], vcc
	s_cbranch_execz .LBB387_748
; %bb.743:
	s_movk_i32 s3, 0x80
	v_cmp_ne_u16_e32 vcc, s3, v2
	v_bfrev_b32_e32 v9, 1
	s_and_saveexec_b64 s[6:7], vcc
	s_cbranch_execz .LBB387_747
; %bb.744:
	s_movk_i32 s3, 0x7f
	v_and_b32_e32 v3, 0x7f, v2
	v_cmp_ne_u32_e32 vcc, s3, v3
	v_mov_b32_e32 v9, 0x7f800001
	s_and_saveexec_b64 s[8:9], vcc
	s_cbranch_execz .LBB387_746
; %bb.745:
	v_and_b32_e32 v6, 7, v2
	v_ffbh_u32_e32 v10, v6
	v_min_u32_e32 v12, 32, v10
	v_subrev_u32_e32 v10, 28, v12
	v_lshlrev_b64 v[10:11], v10, v[2:3]
	v_lshrrev_b32_e32 v9, 3, v3
	v_sub_u32_e32 v2, 29, v12
	v_and_b32_e32 v10, 7, v10
	v_cmp_gt_u32_e32 vcc, 8, v3
	v_cndmask_b32_e32 v2, v9, v2, vcc
	v_cndmask_b32_e32 v3, v6, v10, vcc
	v_lshlrev_b32_e32 v6, 16, v4
	v_bfrev_b32_e32 v9, 60
	v_lshlrev_b32_e32 v3, 20, v3
	v_and_b32_e32 v6, 0x80000000, v6
	v_lshl_add_u32 v2, v2, 23, v9
	v_or3_b32 v9, v6, v2, v3
.LBB387_746:
	s_or_b64 exec, exec, s[8:9]
.LBB387_747:
	s_or_b64 exec, exec, s[6:7]
.LBB387_748:
	s_or_b64 exec, exec, s[4:5]
	s_movk_i32 s3, 0xff
	v_and_b32_sdwa v3, v4, s3 dst_sel:DWORD dst_unused:UNUSED_PAD src0_sel:WORD_1 src1_sel:DWORD
	v_lshrrev_b32_e32 v2, 16, v4
	v_cmp_ne_u16_e32 vcc, 0, v3
	s_and_saveexec_b64 s[4:5], vcc
	s_cbranch_execz .LBB387_754
; %bb.749:
	s_movk_i32 s3, 0x80
	v_cmp_ne_u16_e32 vcc, s3, v3
	v_bfrev_b32_e32 v7, 1
	s_and_saveexec_b64 s[6:7], vcc
	s_cbranch_execz .LBB387_753
; %bb.750:
	v_bfe_u32 v3, v4, 16, 7
	s_movk_i32 s3, 0x7f
	v_cmp_ne_u32_e32 vcc, s3, v3
	v_mov_b32_e32 v7, 0x7f800001
	s_and_saveexec_b64 s[8:9], vcc
	s_cbranch_execz .LBB387_752
; %bb.751:
	v_and_b32_e32 v10, 7, v2
	v_ffbh_u32_e32 v6, v10
	v_min_u32_e32 v12, 32, v6
	v_subrev_u32_e32 v6, 28, v12
	v_lshlrev_b64 v[6:7], v6, v[2:3]
	v_and_b32_e32 v6, 7, v6
	v_cmp_gt_u32_e32 vcc, 8, v3
	v_lshrrev_b32_e32 v11, 3, v3
	v_sub_u32_e32 v2, 29, v12
	v_cndmask_b32_e32 v3, v10, v6, vcc
	v_mov_b32_e32 v6, 24
	v_cndmask_b32_e32 v2, v11, v2, vcc
	v_lshlrev_b32_sdwa v6, v6, v4 dst_sel:DWORD dst_unused:UNUSED_PAD src0_sel:DWORD src1_sel:WORD_1
	v_bfrev_b32_e32 v7, 60
	v_lshlrev_b32_e32 v3, 20, v3
	v_and_b32_e32 v6, 0x80000000, v6
	v_lshl_add_u32 v2, v2, 23, v7
	v_or3_b32 v7, v6, v2, v3
.LBB387_752:
	s_or_b64 exec, exec, s[8:9]
.LBB387_753:
	s_or_b64 exec, exec, s[6:7]
.LBB387_754:
	s_or_b64 exec, exec, s[4:5]
	s_mov_b32 s3, 0xffffff
	v_cmp_lt_u32_e32 vcc, s3, v4
	v_mov_b32_e32 v3, 0
	v_mov_b32_e32 v10, 0
	s_and_saveexec_b64 s[4:5], vcc
	s_cbranch_execz .LBB387_760
; %bb.755:
	v_lshrrev_b32_e32 v2, 24, v4
	s_movk_i32 s3, 0x80
	v_cmp_ne_u32_e32 vcc, s3, v2
	v_bfrev_b32_e32 v10, 1
	s_and_saveexec_b64 s[6:7], vcc
	s_cbranch_execz .LBB387_759
; %bb.756:
	v_bfe_u32 v6, v4, 24, 7
	s_movk_i32 s3, 0x7f
	v_cmp_ne_u32_e32 vcc, s3, v6
	v_mov_b32_e32 v10, 0x7f800001
	s_and_saveexec_b64 s[8:9], vcc
	s_cbranch_execz .LBB387_758
; %bb.757:
	v_and_b32_e32 v12, 7, v2
	v_ffbh_u32_e32 v10, v12
	v_min_u32_e32 v16, 32, v10
	v_subrev_u32_e32 v10, 28, v16
	v_lshlrev_b64 v[10:11], v10, v[2:3]
	v_lshrrev_b32_e32 v13, 3, v6
	v_sub_u32_e32 v11, 29, v16
	v_and_b32_e32 v10, 7, v10
	v_cmp_gt_u32_e32 vcc, 8, v6
	v_cndmask_b32_e32 v6, v13, v11, vcc
	v_cndmask_b32_e32 v10, v12, v10, vcc
	v_lshlrev_b32_e32 v2, 24, v2
	v_bfrev_b32_e32 v11, 60
	v_lshlrev_b32_e32 v10, 20, v10
	v_and_b32_e32 v2, 0x80000000, v2
	v_lshl_add_u32 v6, v6, 23, v11
	v_or3_b32 v10, v2, v6, v10
.LBB387_758:
	s_or_b64 exec, exec, s[8:9]
.LBB387_759:
	s_or_b64 exec, exec, s[6:7]
.LBB387_760:
	s_or_b64 exec, exec, s[4:5]
	v_mov_b32_e32 v2, v5
	v_cmp_ne_u16_sdwa s[6:7], v5, v3 src0_sel:BYTE_0 src1_sel:DWORD
	s_and_saveexec_b64 s[4:5], s[6:7]
	s_cbranch_execz .LBB387_766
; %bb.761:
	s_movk_i32 s3, 0x80
	v_cmp_ne_u16_sdwa s[8:9], v5, s3 src0_sel:BYTE_0 src1_sel:DWORD
	v_bfrev_b32_e32 v6, 1
	s_and_saveexec_b64 s[6:7], s[8:9]
	s_cbranch_execz .LBB387_765
; %bb.762:
	s_movk_i32 s3, 0x7f
	v_and_b32_e32 v11, 0x7f, v5
	v_cmp_ne_u32_e32 vcc, s3, v11
	v_mov_b32_e32 v6, 0x7f800001
	s_and_saveexec_b64 s[8:9], vcc
	s_cbranch_execz .LBB387_764
; %bb.763:
	v_and_b32_e32 v6, 7, v5
	v_ffbh_u32_e32 v6, v6
	v_min_u32_e32 v6, 32, v6
	v_subrev_u32_e32 v13, 28, v6
	v_cmp_gt_u32_e32 vcc, 8, v11
	v_lshrrev_b32_e32 v12, 3, v11
	v_sub_u32_e32 v6, 29, v6
	v_cndmask_b32_e32 v11, 0, v13, vcc
	v_cndmask_b32_e32 v6, v12, v6, vcc
	v_lshlrev_b64 v[12:13], v11, v[2:3]
	v_lshlrev_b32_e32 v3, 20, v12
	v_lshlrev_b32_e32 v11, 24, v2
	v_bfrev_b32_e32 v12, 60
	v_and_b32_e32 v3, 0x700000, v3
	v_and_b32_e32 v11, 0x80000000, v11
	v_lshl_add_u32 v6, v6, 23, v12
	v_or3_b32 v6, v11, v6, v3
.LBB387_764:
	s_or_b64 exec, exec, s[8:9]
.LBB387_765:
	s_or_b64 exec, exec, s[6:7]
	v_mov_b32_e32 v3, v6
.LBB387_766:
	s_or_b64 exec, exec, s[4:5]
	v_lshrrev_b16_e32 v6, 8, v2
	v_cmp_ne_u16_e32 vcc, 0, v6
	v_mov_b32_e32 v11, 0
	v_mov_b32_e32 v12, 0
	s_and_saveexec_b64 s[4:5], vcc
	s_cbranch_execz .LBB387_772
; %bb.767:
	s_movk_i32 s3, 0x80
	v_cmp_ne_u16_e32 vcc, s3, v6
	v_bfrev_b32_e32 v12, 1
	s_and_saveexec_b64 s[6:7], vcc
	s_cbranch_execz .LBB387_771
; %bb.768:
	s_movk_i32 s3, 0x7f
	v_and_b32_e32 v13, 0x7f, v6
	v_cmp_ne_u32_e32 vcc, s3, v13
	v_mov_b32_e32 v12, 0x7f800001
	s_and_saveexec_b64 s[8:9], vcc
	s_cbranch_execz .LBB387_770
; %bb.769:
	v_and_b32_e32 v12, 7, v6
	v_ffbh_u32_e32 v16, v12
	v_min_u32_e32 v19, 32, v16
	v_subrev_u32_e32 v16, 28, v19
	v_lshlrev_b64 v[16:17], v16, v[6:7]
	v_lshrrev_b32_e32 v18, 3, v13
	v_sub_u32_e32 v6, 29, v19
	v_and_b32_e32 v16, 7, v16
	v_cmp_gt_u32_e32 vcc, 8, v13
	v_cndmask_b32_e32 v6, v18, v6, vcc
	v_cndmask_b32_e32 v12, v12, v16, vcc
	v_lshlrev_b32_e32 v2, 16, v2
	v_bfrev_b32_e32 v13, 60
	v_lshlrev_b32_e32 v12, 20, v12
	v_and_b32_e32 v2, 0x80000000, v2
	v_lshl_add_u32 v6, v6, 23, v13
	v_or3_b32 v12, v2, v6, v12
.LBB387_770:
	s_or_b64 exec, exec, s[8:9]
.LBB387_771:
	s_or_b64 exec, exec, s[6:7]
.LBB387_772:
	s_or_b64 exec, exec, s[4:5]
	s_movk_i32 s3, 0xff
	v_and_b32_sdwa v6, v5, s3 dst_sel:DWORD dst_unused:UNUSED_PAD src0_sel:WORD_1 src1_sel:DWORD
	v_lshrrev_b32_e32 v2, 16, v5
	v_cmp_ne_u16_e32 vcc, 0, v6
	s_and_saveexec_b64 s[4:5], vcc
	s_cbranch_execz .LBB387_778
; %bb.773:
	s_movk_i32 s3, 0x80
	v_cmp_ne_u16_e32 vcc, s3, v6
	v_bfrev_b32_e32 v11, 1
	s_and_saveexec_b64 s[6:7], vcc
	s_cbranch_execz .LBB387_777
; %bb.774:
	v_bfe_u32 v6, v5, 16, 7
	s_movk_i32 s3, 0x7f
	v_cmp_ne_u32_e32 vcc, s3, v6
	v_mov_b32_e32 v11, 0x7f800001
	s_and_saveexec_b64 s[8:9], vcc
	s_cbranch_execz .LBB387_776
; %bb.775:
	v_and_b32_e32 v11, 7, v2
	v_ffbh_u32_e32 v16, v11
	v_min_u32_e32 v18, 32, v16
	v_subrev_u32_e32 v16, 28, v18
	v_lshlrev_b64 v[16:17], v16, v[2:3]
	v_and_b32_e32 v16, 7, v16
	v_cmp_gt_u32_e32 vcc, 8, v6
	v_lshrrev_b32_e32 v13, 3, v6
	v_sub_u32_e32 v2, 29, v18
	v_cndmask_b32_e32 v6, v11, v16, vcc
	v_mov_b32_e32 v11, 24
	v_cndmask_b32_e32 v2, v13, v2, vcc
	v_lshlrev_b32_sdwa v11, v11, v5 dst_sel:DWORD dst_unused:UNUSED_PAD src0_sel:DWORD src1_sel:WORD_1
	v_bfrev_b32_e32 v13, 60
	v_lshlrev_b32_e32 v6, 20, v6
	v_and_b32_e32 v11, 0x80000000, v11
	v_lshl_add_u32 v2, v2, 23, v13
	v_or3_b32 v11, v11, v2, v6
.LBB387_776:
	s_or_b64 exec, exec, s[8:9]
.LBB387_777:
	s_or_b64 exec, exec, s[6:7]
.LBB387_778:
	s_or_b64 exec, exec, s[4:5]
	s_mov_b32 s4, -1
	s_mov_b32 s5, 0xffffff
	v_cmp_lt_u64_e32 vcc, s[4:5], v[4:5]
	v_mov_b32_e32 v4, 0
	s_and_saveexec_b64 s[4:5], vcc
	s_cbranch_execz .LBB387_784
; %bb.779:
	v_lshrrev_b32_e32 v2, 24, v5
	s_movk_i32 s3, 0x80
	v_cmp_ne_u32_e32 vcc, s3, v2
	v_bfrev_b32_e32 v4, 1
	s_and_saveexec_b64 s[6:7], vcc
	s_cbranch_execz .LBB387_783
; %bb.780:
	v_bfe_u32 v5, v5, 24, 7
	s_movk_i32 s3, 0x7f
	v_cmp_ne_u32_e32 vcc, s3, v5
	v_mov_b32_e32 v4, 0x7f800001
	s_and_saveexec_b64 s[8:9], vcc
	s_cbranch_execz .LBB387_782
; %bb.781:
	v_and_b32_e32 v4, 7, v2
	v_ffbh_u32_e32 v13, v4
	v_min_u32_e32 v13, 32, v13
	v_subrev_u32_e32 v16, 28, v13
	v_lshlrev_b64 v[16:17], v16, v[2:3]
	v_lshrrev_b32_e32 v6, 3, v5
	v_sub_u32_e32 v13, 29, v13
	v_and_b32_e32 v16, 7, v16
	v_cmp_gt_u32_e32 vcc, 8, v5
	v_cndmask_b32_e32 v5, v6, v13, vcc
	v_cndmask_b32_e32 v4, v4, v16, vcc
	v_lshlrev_b32_e32 v2, 24, v2
	v_bfrev_b32_e32 v6, 60
	v_lshlrev_b32_e32 v4, 20, v4
	v_and_b32_e32 v2, 0x80000000, v2
	v_lshl_add_u32 v5, v5, 23, v6
	v_or3_b32 v4, v2, v5, v4
.LBB387_782:
	s_or_b64 exec, exec, s[8:9]
.LBB387_783:
	s_or_b64 exec, exec, s[6:7]
.LBB387_784:
	s_or_b64 exec, exec, s[4:5]
	v_cvt_pkrtz_f16_f32 v6, v8, v9
	v_cvt_pkrtz_f16_f32 v7, v7, v10
	v_cvt_pkrtz_f16_f32 v2, v3, v12
	v_cvt_pkrtz_f16_f32 v3, v11, v4
	v_mfma_f32_4x4x4f16 a[0:3], v[14:15], v[6:7], a[0:3] cbsz:4 abid:14
	s_load_dword s4, s[14:15], 0x0
	v_mfma_f32_4x4x4f16 a[0:3], v[14:15], v[2:3], a[0:3] cbsz:4 abid:15
	s_nop 4
	v_accvgpr_read_b32 v5, a1
	v_accvgpr_read_b32 v3, a3
	;; [unrolled: 1-line block ×4, first 2 shown]
	s_waitcnt lgkmcnt(0)
	v_pk_mul_f32 v[2:3], v[2:3], s[4:5] op_sel_hi:[1,0]
	v_pk_mul_f32 v[4:5], v[4:5], s[4:5] op_sel_hi:[1,0]
	v_cvt_f16_f32_e32 v4, v4
	v_cvt_f16_f32_e32 v5, v5
	;; [unrolled: 1-line block ×4, first 2 shown]
	v_pack_b32_f16 v2, v4, v5
	v_mad_u32_u24 v4, v1, 40, v25
	v_pack_b32_f16 v3, v6, v3
	ds_write_b64 v4, v[2:3]
.LBB387_785:
	s_or_b64 exec, exec, s[0:1]
	v_cmp_gt_u32_e32 vcc, 64, v0
	s_waitcnt lgkmcnt(0)
	s_barrier
	s_and_saveexec_b64 s[0:1], vcc
	s_cbranch_execz .LBB387_787
; %bb.786:
	v_mul_u32_u24_e32 v1, 40, v1
	s_waitcnt vmcnt(2)
	ds_read2_b64 v[2:5], v1 offset1:1
	ds_read2_b64 v[6:9], v1 offset0:2 offset1:3
	s_mov_b32 s1, 0
	s_lshl_b32 s0, s2, 6
	s_lshl_b64 s[2:3], s[0:1], 1
	s_add_u32 s2, s28, s2
	s_addc_u32 s3, s29, s3
	s_lshl_b32 s0, s10, 6
	s_lshl_b64 s[0:1], s[0:1], 1
	s_waitcnt lgkmcnt(1)
	v_pk_add_f16 v1, v2, 0
	v_pk_add_f16 v2, v3, 0
	s_add_u32 s0, s2, s0
	v_pk_add_f16 v2, v2, v5
	s_addc_u32 s1, s3, s1
	s_lshl_b32 s2, s44, 6
	v_pk_add_f16 v1, v1, v4
	s_waitcnt lgkmcnt(0)
	v_pk_add_f16 v2, v2, v7
	s_mul_i32 s3, s2, s33
	v_pk_add_f16 v1, v1, v6
	v_pk_add_f16 v6, v2, v9
	v_or_b32_e32 v2, s3, v0
	v_mov_b32_e32 v3, 0
	v_lshlrev_b64 v[4:5], 1, v[2:3]
	v_mov_b32_e32 v2, s1
	v_add_co_u32_e32 v4, vcc, s0, v4
	s_add_i32 s3, s3, s2
	v_pk_add_f16 v1, v1, v8
	v_addc_co_u32_e32 v5, vcc, v2, v5, vcc
	v_or_b32_e32 v2, s3, v0
	global_store_short v[4:5], v1, off
	v_lshlrev_b64 v[4:5], 1, v[2:3]
	v_mov_b32_e32 v2, s1
	v_add_co_u32_e32 v4, vcc, s0, v4
	s_add_i32 s3, s3, s2
	v_addc_co_u32_e32 v5, vcc, v2, v5, vcc
	v_or_b32_e32 v2, s3, v0
	global_store_short_d16_hi v[4:5], v1, off
	v_lshlrev_b64 v[4:5], 1, v[2:3]
	s_add_i32 s3, s3, s2
	v_mov_b32_e32 v1, s1
	v_add_co_u32_e32 v4, vcc, s0, v4
	v_or_b32_e32 v2, s3, v0
	v_addc_co_u32_e32 v5, vcc, v1, v5, vcc
	v_lshlrev_b64 v[0:1], 1, v[2:3]
	v_mov_b32_e32 v2, s1
	v_add_co_u32_e32 v0, vcc, s0, v0
	v_addc_co_u32_e32 v1, vcc, v2, v1, vcc
	global_store_short v[4:5], v6, off
	global_store_short_d16_hi v[0:1], v6, off
.LBB387_787:
	s_endpgm
.LBB387_788:
	s_mov_b64 s[12:13], 0
                                        ; implicit-def: $sgpr36_sgpr37
	s_branch .LBB387_2
	.section	.rodata,"a",@progbits
	.p2align	6, 0x0
	.amdhsa_kernel _Z38paged_attention_ll4mi_QKV_mfma4_kernelIDF16_hLN4vllm18Fp8KVCacheDataTypeE1EDF16_Li16ELi64ELi256ELb1ELi4EEvPKT_PKT0_S7_ifPKiS9_S9_iPKfiiiPfSC_PS2_PT2_iSB_SB_
		.amdhsa_group_segment_fixed_size 2720
		.amdhsa_private_segment_fixed_size 0
		.amdhsa_kernarg_size 400
		.amdhsa_user_sgpr_count 6
		.amdhsa_user_sgpr_private_segment_buffer 1
		.amdhsa_user_sgpr_dispatch_ptr 0
		.amdhsa_user_sgpr_queue_ptr 0
		.amdhsa_user_sgpr_kernarg_segment_ptr 1
		.amdhsa_user_sgpr_dispatch_id 0
		.amdhsa_user_sgpr_flat_scratch_init 0
		.amdhsa_user_sgpr_kernarg_preload_length 0
		.amdhsa_user_sgpr_kernarg_preload_offset 0
		.amdhsa_user_sgpr_private_segment_size 0
		.amdhsa_uses_dynamic_stack 0
		.amdhsa_system_sgpr_private_segment_wavefront_offset 0
		.amdhsa_system_sgpr_workgroup_id_x 1
		.amdhsa_system_sgpr_workgroup_id_y 1
		.amdhsa_system_sgpr_workgroup_id_z 1
		.amdhsa_system_sgpr_workgroup_info 0
		.amdhsa_system_vgpr_workitem_id 0
		.amdhsa_next_free_vgpr 64
		.amdhsa_next_free_sgpr 45
		.amdhsa_accum_offset 60
		.amdhsa_reserve_vcc 1
		.amdhsa_reserve_flat_scratch 0
		.amdhsa_float_round_mode_32 0
		.amdhsa_float_round_mode_16_64 0
		.amdhsa_float_denorm_mode_32 3
		.amdhsa_float_denorm_mode_16_64 3
		.amdhsa_dx10_clamp 1
		.amdhsa_ieee_mode 1
		.amdhsa_fp16_overflow 0
		.amdhsa_tg_split 0
		.amdhsa_exception_fp_ieee_invalid_op 0
		.amdhsa_exception_fp_denorm_src 0
		.amdhsa_exception_fp_ieee_div_zero 0
		.amdhsa_exception_fp_ieee_overflow 0
		.amdhsa_exception_fp_ieee_underflow 0
		.amdhsa_exception_fp_ieee_inexact 0
		.amdhsa_exception_int_div_zero 0
	.end_amdhsa_kernel
	.section	.text._Z38paged_attention_ll4mi_QKV_mfma4_kernelIDF16_hLN4vllm18Fp8KVCacheDataTypeE1EDF16_Li16ELi64ELi256ELb1ELi4EEvPKT_PKT0_S7_ifPKiS9_S9_iPKfiiiPfSC_PS2_PT2_iSB_SB_,"axG",@progbits,_Z38paged_attention_ll4mi_QKV_mfma4_kernelIDF16_hLN4vllm18Fp8KVCacheDataTypeE1EDF16_Li16ELi64ELi256ELb1ELi4EEvPKT_PKT0_S7_ifPKiS9_S9_iPKfiiiPfSC_PS2_PT2_iSB_SB_,comdat
.Lfunc_end387:
	.size	_Z38paged_attention_ll4mi_QKV_mfma4_kernelIDF16_hLN4vllm18Fp8KVCacheDataTypeE1EDF16_Li16ELi64ELi256ELb1ELi4EEvPKT_PKT0_S7_ifPKiS9_S9_iPKfiiiPfSC_PS2_PT2_iSB_SB_, .Lfunc_end387-_Z38paged_attention_ll4mi_QKV_mfma4_kernelIDF16_hLN4vllm18Fp8KVCacheDataTypeE1EDF16_Li16ELi64ELi256ELb1ELi4EEvPKT_PKT0_S7_ifPKiS9_S9_iPKfiiiPfSC_PS2_PT2_iSB_SB_
                                        ; -- End function
	.section	.AMDGPU.csdata,"",@progbits
; Kernel info:
; codeLenInByte = 26564
; NumSgprs: 49
; NumVgprs: 57
; NumAgprs: 4
; TotalNumVgprs: 64
; ScratchSize: 0
; MemoryBound: 0
; FloatMode: 240
; IeeeMode: 1
; LDSByteSize: 2720 bytes/workgroup (compile time only)
; SGPRBlocks: 6
; VGPRBlocks: 7
; NumSGPRsForWavesPerEU: 49
; NumVGPRsForWavesPerEU: 64
; AccumOffset: 60
; Occupancy: 8
; WaveLimiterHint : 1
; COMPUTE_PGM_RSRC2:SCRATCH_EN: 0
; COMPUTE_PGM_RSRC2:USER_SGPR: 6
; COMPUTE_PGM_RSRC2:TRAP_HANDLER: 0
; COMPUTE_PGM_RSRC2:TGID_X_EN: 1
; COMPUTE_PGM_RSRC2:TGID_Y_EN: 1
; COMPUTE_PGM_RSRC2:TGID_Z_EN: 1
; COMPUTE_PGM_RSRC2:TIDIG_COMP_CNT: 0
; COMPUTE_PGM_RSRC3_GFX90A:ACCUM_OFFSET: 14
; COMPUTE_PGM_RSRC3_GFX90A:TG_SPLIT: 0
	.text
	.p2align	2                               ; -- Begin function __ockl_fprintf_append_string_n
	.type	__ockl_fprintf_append_string_n,@function
__ockl_fprintf_append_string_n:         ; @__ockl_fprintf_append_string_n
; %bb.0:
	s_waitcnt vmcnt(0) expcnt(0) lgkmcnt(0)
	v_mov_b32_e32 v9, v3
	v_mov_b32_e32 v8, v2
	v_or_b32_e32 v2, 2, v0
	v_cmp_eq_u32_e32 vcc, 0, v6
	s_mov_b32 s22, 0
	v_cndmask_b32_e32 v0, v2, v0, vcc
	s_mov_b64 s[6:7], 0
	v_cmp_ne_u64_e32 vcc, 0, v[8:9]
	v_mbcnt_lo_u32_b32 v2, -1, 0
	s_and_saveexec_b64 s[4:5], vcc
	s_xor_b64 s[10:11], exec, s[4:5]
	s_cbranch_execz .LBB388_86
; %bb.1:
	s_load_dwordx2 s[12:13], s[8:9], 0x50
	v_and_b32_e32 v6, 2, v0
	v_mov_b32_e32 v31, 0
	v_and_b32_e32 v0, -3, v0
	v_mbcnt_hi_u32_b32 v32, -1, v2
	s_movk_i32 s23, 0xff1f
	v_mov_b32_e32 v12, 2
	v_mov_b32_e32 v13, 1
	s_branch .LBB388_3
.LBB388_2:                              ;   in Loop: Header=BB388_3 Depth=1
	s_or_b64 exec, exec, s[16:17]
	v_sub_co_u32_e32 v4, vcc, v4, v34
	v_subb_co_u32_e32 v5, vcc, v5, v35, vcc
	v_cmp_eq_u64_e32 vcc, 0, v[4:5]
	s_or_b64 s[6:7], vcc, s[6:7]
	v_add_co_u32_e32 v8, vcc, v8, v34
	v_addc_co_u32_e32 v9, vcc, v9, v35, vcc
	s_andn2_b64 exec, exec, s[6:7]
	s_cbranch_execz .LBB388_85
.LBB388_3:                              ; =>This Loop Header: Depth=1
                                        ;     Child Loop BB388_6 Depth 2
                                        ;     Child Loop BB388_14 Depth 2
	;; [unrolled: 1-line block ×11, first 2 shown]
	v_cmp_gt_u64_e32 vcc, 56, v[4:5]
	v_cndmask_b32_e32 v35, 0, v5, vcc
	v_cndmask_b32_e32 v34, 56, v4, vcc
	v_cmp_gt_u64_e32 vcc, 8, v[4:5]
                                        ; implicit-def: $vgpr2_vgpr3
                                        ; implicit-def: $sgpr14
	s_and_saveexec_b64 s[4:5], vcc
	s_xor_b64 s[4:5], exec, s[4:5]
	s_cbranch_execz .LBB388_9
; %bb.4:                                ;   in Loop: Header=BB388_3 Depth=1
	s_mov_b64 s[16:17], 0
	v_cmp_ne_u64_e32 vcc, 0, v[4:5]
	s_waitcnt vmcnt(0)
	v_pk_mov_b32 v[2:3], 0, 0
	s_and_saveexec_b64 s[14:15], vcc
	s_cbranch_execz .LBB388_8
; %bb.5:                                ;   in Loop: Header=BB388_3 Depth=1
	v_lshlrev_b64 v[10:11], 3, v[34:35]
	v_pk_mov_b32 v[2:3], 0, 0
	v_pk_mov_b32 v[14:15], v[8:9], v[8:9] op_sel:[0,1]
	s_mov_b64 s[18:19], 0
.LBB388_6:                              ;   Parent Loop BB388_3 Depth=1
                                        ; =>  This Inner Loop Header: Depth=2
	flat_load_ubyte v7, v[14:15]
	v_mov_b32_e32 v17, s22
	v_add_co_u32_e32 v14, vcc, 1, v14
	v_addc_co_u32_e32 v15, vcc, 0, v15, vcc
	s_waitcnt vmcnt(0) lgkmcnt(0)
	v_and_b32_e32 v16, 0xffff, v7
	v_lshlrev_b64 v[16:17], s18, v[16:17]
	s_add_u32 s18, s18, 8
	s_addc_u32 s19, s19, 0
	v_cmp_eq_u32_e32 vcc, s18, v10
	v_or_b32_e32 v3, v17, v3
	s_or_b64 s[16:17], vcc, s[16:17]
	v_or_b32_e32 v2, v16, v2
	s_andn2_b64 exec, exec, s[16:17]
	s_cbranch_execnz .LBB388_6
; %bb.7:                                ;   in Loop: Header=BB388_3 Depth=1
	s_or_b64 exec, exec, s[16:17]
.LBB388_8:                              ;   in Loop: Header=BB388_3 Depth=1
	s_or_b64 exec, exec, s[14:15]
	s_mov_b32 s14, 0
.LBB388_9:                              ;   in Loop: Header=BB388_3 Depth=1
	s_or_saveexec_b64 s[4:5], s[4:5]
	v_mov_b32_e32 v7, s14
	v_pk_mov_b32 v[10:11], v[8:9], v[8:9] op_sel:[0,1]
	s_xor_b64 exec, exec, s[4:5]
	s_cbranch_execz .LBB388_11
; %bb.10:                               ;   in Loop: Header=BB388_3 Depth=1
	s_waitcnt vmcnt(0)
	flat_load_dwordx2 v[2:3], v[8:9]
	v_add_u32_e32 v7, -8, v34
	s_waitcnt vmcnt(0) lgkmcnt(0)
	v_and_b32_e32 v10, 0xff, v3
	v_and_b32_e32 v11, 0xff00, v3
	;; [unrolled: 1-line block ×4, first 2 shown]
	v_or_b32_e32 v10, v10, v11
	v_or3_b32 v3, v10, v14, v3
	v_add_co_u32_e32 v10, vcc, 8, v8
	v_or3_b32 v2, v2, 0, 0
	v_addc_co_u32_e32 v11, vcc, 0, v9, vcc
.LBB388_11:                             ;   in Loop: Header=BB388_3 Depth=1
	s_or_b64 exec, exec, s[4:5]
	v_cmp_gt_u32_e32 vcc, 8, v7
                                        ; implicit-def: $vgpr14_vgpr15
                                        ; implicit-def: $sgpr14
	s_and_saveexec_b64 s[4:5], vcc
	s_xor_b64 s[4:5], exec, s[4:5]
	s_cbranch_execz .LBB388_17
; %bb.12:                               ;   in Loop: Header=BB388_3 Depth=1
	v_cmp_ne_u32_e32 vcc, 0, v7
	v_pk_mov_b32 v[14:15], 0, 0
	s_and_saveexec_b64 s[14:15], vcc
	s_cbranch_execz .LBB388_16
; %bb.13:                               ;   in Loop: Header=BB388_3 Depth=1
	s_mov_b64 s[16:17], 0
	v_pk_mov_b32 v[14:15], 0, 0
	s_mov_b64 s[18:19], 0
	s_mov_b64 s[20:21], 0
.LBB388_14:                             ;   Parent Loop BB388_3 Depth=1
                                        ; =>  This Inner Loop Header: Depth=2
	v_mov_b32_e32 v17, s21
	v_add_co_u32_e32 v16, vcc, s20, v10
	v_addc_co_u32_e32 v17, vcc, v11, v17, vcc
	flat_load_ubyte v16, v[16:17]
	s_add_u32 s20, s20, 1
	v_mov_b32_e32 v17, s22
	s_addc_u32 s21, s21, 0
	v_cmp_eq_u32_e32 vcc, s20, v7
	s_waitcnt vmcnt(0) lgkmcnt(0)
	v_and_b32_e32 v16, 0xffff, v16
	v_lshlrev_b64 v[16:17], s18, v[16:17]
	s_add_u32 s18, s18, 8
	s_addc_u32 s19, s19, 0
	v_or_b32_e32 v15, v17, v15
	s_or_b64 s[16:17], vcc, s[16:17]
	v_or_b32_e32 v14, v16, v14
	s_andn2_b64 exec, exec, s[16:17]
	s_cbranch_execnz .LBB388_14
; %bb.15:                               ;   in Loop: Header=BB388_3 Depth=1
	s_or_b64 exec, exec, s[16:17]
.LBB388_16:                             ;   in Loop: Header=BB388_3 Depth=1
	s_or_b64 exec, exec, s[14:15]
	s_mov_b32 s14, 0
                                        ; implicit-def: $vgpr7
.LBB388_17:                             ;   in Loop: Header=BB388_3 Depth=1
	s_or_saveexec_b64 s[4:5], s[4:5]
	v_mov_b32_e32 v18, s14
	s_xor_b64 exec, exec, s[4:5]
	s_cbranch_execz .LBB388_19
; %bb.18:                               ;   in Loop: Header=BB388_3 Depth=1
	flat_load_dwordx2 v[14:15], v[10:11]
	v_add_u32_e32 v18, -8, v7
	v_add_co_u32_e32 v10, vcc, 8, v10
	v_addc_co_u32_e32 v11, vcc, 0, v11, vcc
	s_waitcnt vmcnt(0) lgkmcnt(0)
	v_and_b32_e32 v7, 0xff, v15
	v_and_b32_e32 v16, 0xff00, v15
	;; [unrolled: 1-line block ×4, first 2 shown]
	v_or_b32_e32 v7, v7, v16
	v_or3_b32 v14, v14, 0, 0
	v_or3_b32 v15, v7, v17, v15
.LBB388_19:                             ;   in Loop: Header=BB388_3 Depth=1
	s_or_b64 exec, exec, s[4:5]
	v_cmp_gt_u32_e32 vcc, 8, v18
                                        ; implicit-def: $sgpr14
	s_and_saveexec_b64 s[4:5], vcc
	s_xor_b64 s[4:5], exec, s[4:5]
	s_cbranch_execz .LBB388_25
; %bb.20:                               ;   in Loop: Header=BB388_3 Depth=1
	v_cmp_ne_u32_e32 vcc, 0, v18
	v_pk_mov_b32 v[16:17], 0, 0
	s_and_saveexec_b64 s[14:15], vcc
	s_cbranch_execz .LBB388_24
; %bb.21:                               ;   in Loop: Header=BB388_3 Depth=1
	s_mov_b64 s[16:17], 0
	v_pk_mov_b32 v[16:17], 0, 0
	s_mov_b64 s[18:19], 0
	s_mov_b64 s[20:21], 0
.LBB388_22:                             ;   Parent Loop BB388_3 Depth=1
                                        ; =>  This Inner Loop Header: Depth=2
	v_mov_b32_e32 v7, s21
	v_add_co_u32_e32 v20, vcc, s20, v10
	v_addc_co_u32_e32 v21, vcc, v11, v7, vcc
	flat_load_ubyte v7, v[20:21]
	s_add_u32 s20, s20, 1
	v_mov_b32_e32 v21, s22
	s_addc_u32 s21, s21, 0
	v_cmp_eq_u32_e32 vcc, s20, v18
	s_waitcnt vmcnt(0) lgkmcnt(0)
	v_and_b32_e32 v20, 0xffff, v7
	v_lshlrev_b64 v[20:21], s18, v[20:21]
	s_add_u32 s18, s18, 8
	s_addc_u32 s19, s19, 0
	v_or_b32_e32 v17, v21, v17
	s_or_b64 s[16:17], vcc, s[16:17]
	v_or_b32_e32 v16, v20, v16
	s_andn2_b64 exec, exec, s[16:17]
	s_cbranch_execnz .LBB388_22
; %bb.23:                               ;   in Loop: Header=BB388_3 Depth=1
	s_or_b64 exec, exec, s[16:17]
.LBB388_24:                             ;   in Loop: Header=BB388_3 Depth=1
	s_or_b64 exec, exec, s[14:15]
	s_mov_b32 s14, 0
                                        ; implicit-def: $vgpr18
.LBB388_25:                             ;   in Loop: Header=BB388_3 Depth=1
	s_or_saveexec_b64 s[4:5], s[4:5]
	v_mov_b32_e32 v7, s14
	s_xor_b64 exec, exec, s[4:5]
	s_cbranch_execz .LBB388_27
; %bb.26:                               ;   in Loop: Header=BB388_3 Depth=1
	flat_load_dwordx2 v[16:17], v[10:11]
	v_add_u32_e32 v7, -8, v18
	v_add_co_u32_e32 v10, vcc, 8, v10
	v_addc_co_u32_e32 v11, vcc, 0, v11, vcc
	s_waitcnt vmcnt(0) lgkmcnt(0)
	v_and_b32_e32 v18, 0xff, v17
	v_and_b32_e32 v19, 0xff00, v17
	;; [unrolled: 1-line block ×4, first 2 shown]
	v_or_b32_e32 v18, v18, v19
	v_or3_b32 v16, v16, 0, 0
	v_or3_b32 v17, v18, v20, v17
.LBB388_27:                             ;   in Loop: Header=BB388_3 Depth=1
	s_or_b64 exec, exec, s[4:5]
	v_cmp_gt_u32_e32 vcc, 8, v7
                                        ; implicit-def: $vgpr18_vgpr19
                                        ; implicit-def: $sgpr14
	s_and_saveexec_b64 s[4:5], vcc
	s_xor_b64 s[4:5], exec, s[4:5]
	s_cbranch_execz .LBB388_33
; %bb.28:                               ;   in Loop: Header=BB388_3 Depth=1
	v_cmp_ne_u32_e32 vcc, 0, v7
	v_pk_mov_b32 v[18:19], 0, 0
	s_and_saveexec_b64 s[14:15], vcc
	s_cbranch_execz .LBB388_32
; %bb.29:                               ;   in Loop: Header=BB388_3 Depth=1
	s_mov_b64 s[16:17], 0
	v_pk_mov_b32 v[18:19], 0, 0
	s_mov_b64 s[18:19], 0
	s_mov_b64 s[20:21], 0
.LBB388_30:                             ;   Parent Loop BB388_3 Depth=1
                                        ; =>  This Inner Loop Header: Depth=2
	v_mov_b32_e32 v21, s21
	v_add_co_u32_e32 v20, vcc, s20, v10
	v_addc_co_u32_e32 v21, vcc, v11, v21, vcc
	flat_load_ubyte v20, v[20:21]
	s_add_u32 s20, s20, 1
	v_mov_b32_e32 v21, s22
	s_addc_u32 s21, s21, 0
	v_cmp_eq_u32_e32 vcc, s20, v7
	s_waitcnt vmcnt(0) lgkmcnt(0)
	v_and_b32_e32 v20, 0xffff, v20
	v_lshlrev_b64 v[20:21], s18, v[20:21]
	s_add_u32 s18, s18, 8
	s_addc_u32 s19, s19, 0
	v_or_b32_e32 v19, v21, v19
	s_or_b64 s[16:17], vcc, s[16:17]
	v_or_b32_e32 v18, v20, v18
	s_andn2_b64 exec, exec, s[16:17]
	s_cbranch_execnz .LBB388_30
; %bb.31:                               ;   in Loop: Header=BB388_3 Depth=1
	s_or_b64 exec, exec, s[16:17]
.LBB388_32:                             ;   in Loop: Header=BB388_3 Depth=1
	s_or_b64 exec, exec, s[14:15]
	s_mov_b32 s14, 0
                                        ; implicit-def: $vgpr7
.LBB388_33:                             ;   in Loop: Header=BB388_3 Depth=1
	s_or_saveexec_b64 s[4:5], s[4:5]
	v_mov_b32_e32 v22, s14
	s_xor_b64 exec, exec, s[4:5]
	s_cbranch_execz .LBB388_35
; %bb.34:                               ;   in Loop: Header=BB388_3 Depth=1
	flat_load_dwordx2 v[18:19], v[10:11]
	v_add_u32_e32 v22, -8, v7
	v_add_co_u32_e32 v10, vcc, 8, v10
	v_addc_co_u32_e32 v11, vcc, 0, v11, vcc
	s_waitcnt vmcnt(0) lgkmcnt(0)
	v_and_b32_e32 v7, 0xff, v19
	v_and_b32_e32 v20, 0xff00, v19
	v_and_b32_e32 v21, 0xff0000, v19
	v_and_b32_e32 v19, 0xff000000, v19
	v_or_b32_e32 v7, v7, v20
	v_or3_b32 v18, v18, 0, 0
	v_or3_b32 v19, v7, v21, v19
.LBB388_35:                             ;   in Loop: Header=BB388_3 Depth=1
	s_or_b64 exec, exec, s[4:5]
	v_cmp_gt_u32_e32 vcc, 8, v22
                                        ; implicit-def: $sgpr14
	s_and_saveexec_b64 s[4:5], vcc
	s_xor_b64 s[4:5], exec, s[4:5]
	s_cbranch_execz .LBB388_41
; %bb.36:                               ;   in Loop: Header=BB388_3 Depth=1
	v_cmp_ne_u32_e32 vcc, 0, v22
	v_pk_mov_b32 v[20:21], 0, 0
	s_and_saveexec_b64 s[14:15], vcc
	s_cbranch_execz .LBB388_40
; %bb.37:                               ;   in Loop: Header=BB388_3 Depth=1
	s_mov_b64 s[16:17], 0
	v_pk_mov_b32 v[20:21], 0, 0
	s_mov_b64 s[18:19], 0
	s_mov_b64 s[20:21], 0
.LBB388_38:                             ;   Parent Loop BB388_3 Depth=1
                                        ; =>  This Inner Loop Header: Depth=2
	v_mov_b32_e32 v7, s21
	v_add_co_u32_e32 v24, vcc, s20, v10
	v_addc_co_u32_e32 v25, vcc, v11, v7, vcc
	flat_load_ubyte v7, v[24:25]
	s_add_u32 s20, s20, 1
	v_mov_b32_e32 v25, s22
	s_addc_u32 s21, s21, 0
	v_cmp_eq_u32_e32 vcc, s20, v22
	s_waitcnt vmcnt(0) lgkmcnt(0)
	v_and_b32_e32 v24, 0xffff, v7
	v_lshlrev_b64 v[24:25], s18, v[24:25]
	s_add_u32 s18, s18, 8
	s_addc_u32 s19, s19, 0
	v_or_b32_e32 v21, v25, v21
	s_or_b64 s[16:17], vcc, s[16:17]
	v_or_b32_e32 v20, v24, v20
	s_andn2_b64 exec, exec, s[16:17]
	s_cbranch_execnz .LBB388_38
; %bb.39:                               ;   in Loop: Header=BB388_3 Depth=1
	s_or_b64 exec, exec, s[16:17]
.LBB388_40:                             ;   in Loop: Header=BB388_3 Depth=1
	s_or_b64 exec, exec, s[14:15]
	s_mov_b32 s14, 0
                                        ; implicit-def: $vgpr22
.LBB388_41:                             ;   in Loop: Header=BB388_3 Depth=1
	s_or_saveexec_b64 s[4:5], s[4:5]
	v_mov_b32_e32 v7, s14
	s_xor_b64 exec, exec, s[4:5]
	s_cbranch_execz .LBB388_43
; %bb.42:                               ;   in Loop: Header=BB388_3 Depth=1
	flat_load_dwordx2 v[20:21], v[10:11]
	v_add_u32_e32 v7, -8, v22
	v_add_co_u32_e32 v10, vcc, 8, v10
	v_addc_co_u32_e32 v11, vcc, 0, v11, vcc
	s_waitcnt vmcnt(0) lgkmcnt(0)
	v_and_b32_e32 v22, 0xff, v21
	v_and_b32_e32 v23, 0xff00, v21
	;; [unrolled: 1-line block ×4, first 2 shown]
	v_or_b32_e32 v22, v22, v23
	v_or3_b32 v20, v20, 0, 0
	v_or3_b32 v21, v22, v24, v21
.LBB388_43:                             ;   in Loop: Header=BB388_3 Depth=1
	s_or_b64 exec, exec, s[4:5]
	v_cmp_gt_u32_e32 vcc, 8, v7
                                        ; implicit-def: $vgpr22_vgpr23
                                        ; implicit-def: $sgpr14
	s_and_saveexec_b64 s[4:5], vcc
	s_xor_b64 s[4:5], exec, s[4:5]
	s_cbranch_execz .LBB388_49
; %bb.44:                               ;   in Loop: Header=BB388_3 Depth=1
	v_cmp_ne_u32_e32 vcc, 0, v7
	v_pk_mov_b32 v[22:23], 0, 0
	s_and_saveexec_b64 s[14:15], vcc
	s_cbranch_execz .LBB388_48
; %bb.45:                               ;   in Loop: Header=BB388_3 Depth=1
	s_mov_b64 s[16:17], 0
	v_pk_mov_b32 v[22:23], 0, 0
	s_mov_b64 s[18:19], 0
	s_mov_b64 s[20:21], 0
.LBB388_46:                             ;   Parent Loop BB388_3 Depth=1
                                        ; =>  This Inner Loop Header: Depth=2
	v_mov_b32_e32 v25, s21
	v_add_co_u32_e32 v24, vcc, s20, v10
	v_addc_co_u32_e32 v25, vcc, v11, v25, vcc
	flat_load_ubyte v24, v[24:25]
	s_add_u32 s20, s20, 1
	v_mov_b32_e32 v25, s22
	s_addc_u32 s21, s21, 0
	v_cmp_eq_u32_e32 vcc, s20, v7
	s_waitcnt vmcnt(0) lgkmcnt(0)
	v_and_b32_e32 v24, 0xffff, v24
	v_lshlrev_b64 v[24:25], s18, v[24:25]
	s_add_u32 s18, s18, 8
	s_addc_u32 s19, s19, 0
	v_or_b32_e32 v23, v25, v23
	s_or_b64 s[16:17], vcc, s[16:17]
	v_or_b32_e32 v22, v24, v22
	s_andn2_b64 exec, exec, s[16:17]
	s_cbranch_execnz .LBB388_46
; %bb.47:                               ;   in Loop: Header=BB388_3 Depth=1
	s_or_b64 exec, exec, s[16:17]
.LBB388_48:                             ;   in Loop: Header=BB388_3 Depth=1
	s_or_b64 exec, exec, s[14:15]
	s_mov_b32 s14, 0
                                        ; implicit-def: $vgpr7
.LBB388_49:                             ;   in Loop: Header=BB388_3 Depth=1
	s_or_saveexec_b64 s[4:5], s[4:5]
	v_mov_b32_e32 v26, s14
	s_xor_b64 exec, exec, s[4:5]
	s_cbranch_execz .LBB388_51
; %bb.50:                               ;   in Loop: Header=BB388_3 Depth=1
	flat_load_dwordx2 v[22:23], v[10:11]
	v_add_u32_e32 v26, -8, v7
	v_add_co_u32_e32 v10, vcc, 8, v10
	v_addc_co_u32_e32 v11, vcc, 0, v11, vcc
	s_waitcnt vmcnt(0) lgkmcnt(0)
	v_and_b32_e32 v7, 0xff, v23
	v_and_b32_e32 v24, 0xff00, v23
	;; [unrolled: 1-line block ×4, first 2 shown]
	v_or_b32_e32 v7, v7, v24
	v_or3_b32 v22, v22, 0, 0
	v_or3_b32 v23, v7, v25, v23
.LBB388_51:                             ;   in Loop: Header=BB388_3 Depth=1
	s_or_b64 exec, exec, s[4:5]
	v_cmp_gt_u32_e32 vcc, 8, v26
	s_and_saveexec_b64 s[4:5], vcc
	s_xor_b64 s[4:5], exec, s[4:5]
	s_cbranch_execz .LBB388_57
; %bb.52:                               ;   in Loop: Header=BB388_3 Depth=1
	v_cmp_ne_u32_e32 vcc, 0, v26
	v_pk_mov_b32 v[24:25], 0, 0
	s_and_saveexec_b64 s[14:15], vcc
	s_cbranch_execz .LBB388_56
; %bb.53:                               ;   in Loop: Header=BB388_3 Depth=1
	s_mov_b64 s[16:17], 0
	v_pk_mov_b32 v[24:25], 0, 0
	s_mov_b64 s[18:19], 0
.LBB388_54:                             ;   Parent Loop BB388_3 Depth=1
                                        ; =>  This Inner Loop Header: Depth=2
	flat_load_ubyte v7, v[10:11]
	v_mov_b32_e32 v29, s22
	v_add_co_u32_e32 v10, vcc, 1, v10
	v_add_u32_e32 v26, -1, v26
	v_addc_co_u32_e32 v11, vcc, 0, v11, vcc
	v_cmp_eq_u32_e32 vcc, 0, v26
	s_waitcnt vmcnt(0) lgkmcnt(0)
	v_and_b32_e32 v28, 0xffff, v7
	v_lshlrev_b64 v[28:29], s18, v[28:29]
	s_add_u32 s18, s18, 8
	s_addc_u32 s19, s19, 0
	v_or_b32_e32 v25, v29, v25
	s_or_b64 s[16:17], vcc, s[16:17]
	v_or_b32_e32 v24, v28, v24
	s_andn2_b64 exec, exec, s[16:17]
	s_cbranch_execnz .LBB388_54
; %bb.55:                               ;   in Loop: Header=BB388_3 Depth=1
	s_or_b64 exec, exec, s[16:17]
.LBB388_56:                             ;   in Loop: Header=BB388_3 Depth=1
	s_or_b64 exec, exec, s[14:15]
                                        ; implicit-def: $vgpr10_vgpr11
.LBB388_57:                             ;   in Loop: Header=BB388_3 Depth=1
	s_andn2_saveexec_b64 s[4:5], s[4:5]
	s_cbranch_execz .LBB388_59
; %bb.58:                               ;   in Loop: Header=BB388_3 Depth=1
	flat_load_dwordx2 v[10:11], v[10:11]
	s_waitcnt vmcnt(0) lgkmcnt(0)
	v_and_b32_e32 v7, 0xff, v11
	v_and_b32_e32 v24, 0xff00, v11
	;; [unrolled: 1-line block ×4, first 2 shown]
	v_or_b32_e32 v7, v7, v24
	v_or3_b32 v25, v7, v25, v11
	v_or3_b32 v24, v10, 0, 0
.LBB388_59:                             ;   in Loop: Header=BB388_3 Depth=1
	s_or_b64 exec, exec, s[4:5]
	v_readfirstlane_b32 s4, v32
	v_cmp_eq_u32_e64 s[4:5], s4, v32
	v_pk_mov_b32 v[10:11], 0, 0
	s_and_saveexec_b64 s[14:15], s[4:5]
	s_cbranch_execz .LBB388_65
; %bb.60:                               ;   in Loop: Header=BB388_3 Depth=1
	s_waitcnt lgkmcnt(0)
	global_load_dwordx2 v[28:29], v31, s[12:13] offset:24 glc
	s_waitcnt vmcnt(0)
	buffer_invl2
	buffer_wbinvl1_vol
	global_load_dwordx2 v[10:11], v31, s[12:13] offset:40
	global_load_dwordx2 v[26:27], v31, s[12:13]
	s_waitcnt vmcnt(1)
	v_and_b32_e32 v7, v10, v28
	v_and_b32_e32 v10, v11, v29
	v_mul_lo_u32 v10, v10, 24
	v_mul_hi_u32 v11, v7, 24
	v_mul_lo_u32 v7, v7, 24
	v_add_u32_e32 v11, v11, v10
	s_waitcnt vmcnt(0)
	v_add_co_u32_e32 v10, vcc, v26, v7
	v_addc_co_u32_e32 v11, vcc, v27, v11, vcc
	global_load_dwordx2 v[26:27], v[10:11], off glc
	s_waitcnt vmcnt(0)
	global_atomic_cmpswap_x2 v[10:11], v31, v[26:29], s[12:13] offset:24 glc
	s_waitcnt vmcnt(0)
	buffer_invl2
	buffer_wbinvl1_vol
	v_cmp_ne_u64_e32 vcc, v[10:11], v[28:29]
	s_and_saveexec_b64 s[16:17], vcc
	s_cbranch_execz .LBB388_64
; %bb.61:                               ;   in Loop: Header=BB388_3 Depth=1
	s_mov_b64 s[18:19], 0
.LBB388_62:                             ;   Parent Loop BB388_3 Depth=1
                                        ; =>  This Inner Loop Header: Depth=2
	s_sleep 1
	global_load_dwordx2 v[26:27], v31, s[12:13] offset:40
	global_load_dwordx2 v[36:37], v31, s[12:13]
	v_pk_mov_b32 v[28:29], v[10:11], v[10:11] op_sel:[0,1]
	s_waitcnt vmcnt(1)
	v_and_b32_e32 v10, v26, v28
	s_waitcnt vmcnt(0)
	v_mad_u64_u32 v[10:11], s[20:21], v10, 24, v[36:37]
	v_and_b32_e32 v7, v27, v29
	v_mov_b32_e32 v26, v11
	v_mad_u64_u32 v[26:27], s[20:21], v7, 24, v[26:27]
	v_mov_b32_e32 v11, v26
	global_load_dwordx2 v[26:27], v[10:11], off glc
	s_waitcnt vmcnt(0)
	global_atomic_cmpswap_x2 v[10:11], v31, v[26:29], s[12:13] offset:24 glc
	s_waitcnt vmcnt(0)
	buffer_invl2
	buffer_wbinvl1_vol
	v_cmp_eq_u64_e32 vcc, v[10:11], v[28:29]
	s_or_b64 s[18:19], vcc, s[18:19]
	s_andn2_b64 exec, exec, s[18:19]
	s_cbranch_execnz .LBB388_62
; %bb.63:                               ;   in Loop: Header=BB388_3 Depth=1
	s_or_b64 exec, exec, s[18:19]
.LBB388_64:                             ;   in Loop: Header=BB388_3 Depth=1
	s_or_b64 exec, exec, s[16:17]
.LBB388_65:                             ;   in Loop: Header=BB388_3 Depth=1
	s_or_b64 exec, exec, s[14:15]
	s_waitcnt lgkmcnt(0)
	global_load_dwordx2 v[36:37], v31, s[12:13] offset:40
	global_load_dwordx4 v[26:29], v31, s[12:13]
	v_readfirstlane_b32 s14, v10
	v_readfirstlane_b32 s15, v11
	s_mov_b64 s[16:17], exec
	s_waitcnt vmcnt(1)
	v_readfirstlane_b32 s18, v36
	v_readfirstlane_b32 s19, v37
	s_and_b64 s[18:19], s[14:15], s[18:19]
	s_mul_i32 s20, s19, 24
	s_mul_hi_u32 s21, s18, 24
	s_mul_i32 s24, s18, 24
	s_add_i32 s20, s21, s20
	v_mov_b32_e32 v7, s20
	s_waitcnt vmcnt(0)
	v_add_co_u32_e32 v36, vcc, s24, v26
	v_addc_co_u32_e32 v37, vcc, v27, v7, vcc
	s_and_saveexec_b64 s[20:21], s[4:5]
	s_cbranch_execz .LBB388_67
; %bb.66:                               ;   in Loop: Header=BB388_3 Depth=1
	v_pk_mov_b32 v[10:11], s[16:17], s[16:17] op_sel:[0,1]
	global_store_dwordx4 v[36:37], v[10:13], off offset:8
.LBB388_67:                             ;   in Loop: Header=BB388_3 Depth=1
	s_or_b64 exec, exec, s[20:21]
	s_lshl_b64 s[16:17], s[18:19], 12
	v_mov_b32_e32 v7, s17
	v_add_co_u32_e32 v10, vcc, s16, v28
	v_addc_co_u32_e32 v7, vcc, v29, v7, vcc
	v_or_b32_e32 v11, 0, v1
	v_cmp_lt_u64_e32 vcc, 56, v[4:5]
	v_or_b32_e32 v28, v0, v6
	v_cndmask_b32_e32 v1, v11, v1, vcc
	v_lshl_add_u32 v11, v34, 2, 28
	v_cndmask_b32_e32 v0, v28, v0, vcc
	v_and_b32_e32 v11, 0x1e0, v11
	v_and_or_b32 v0, v0, s23, v11
	v_lshlrev_b32_e32 v11, 6, v32
	v_readfirstlane_b32 s16, v10
	v_readfirstlane_b32 s17, v7
	s_nop 4
	global_store_dwordx4 v11, v[0:3], s[16:17]
	global_store_dwordx4 v11, v[14:17], s[16:17] offset:16
	global_store_dwordx4 v11, v[18:21], s[16:17] offset:32
	;; [unrolled: 1-line block ×3, first 2 shown]
	s_and_saveexec_b64 s[16:17], s[4:5]
	s_cbranch_execz .LBB388_75
; %bb.68:                               ;   in Loop: Header=BB388_3 Depth=1
	global_load_dwordx2 v[18:19], v31, s[12:13] offset:32 glc
	global_load_dwordx2 v[0:1], v31, s[12:13] offset:40
	v_mov_b32_e32 v16, s14
	v_mov_b32_e32 v17, s15
	s_waitcnt vmcnt(0)
	v_readfirstlane_b32 s18, v0
	v_readfirstlane_b32 s19, v1
	s_and_b64 s[18:19], s[18:19], s[14:15]
	s_mul_i32 s19, s19, 24
	s_mul_hi_u32 s20, s18, 24
	s_mul_i32 s18, s18, 24
	s_add_i32 s19, s20, s19
	v_mov_b32_e32 v0, s19
	v_add_co_u32_e32 v14, vcc, s18, v26
	v_addc_co_u32_e32 v15, vcc, v27, v0, vcc
	global_store_dwordx2 v[14:15], v[18:19], off
	buffer_wbl2
	s_waitcnt vmcnt(0)
	global_atomic_cmpswap_x2 v[2:3], v31, v[16:19], s[12:13] offset:32 glc
	s_waitcnt vmcnt(0)
	v_cmp_ne_u64_e32 vcc, v[2:3], v[18:19]
	s_and_saveexec_b64 s[18:19], vcc
	s_cbranch_execz .LBB388_71
; %bb.69:                               ;   in Loop: Header=BB388_3 Depth=1
	s_mov_b64 s[20:21], 0
.LBB388_70:                             ;   Parent Loop BB388_3 Depth=1
                                        ; =>  This Inner Loop Header: Depth=2
	s_sleep 1
	global_store_dwordx2 v[14:15], v[2:3], off
	v_mov_b32_e32 v0, s14
	v_mov_b32_e32 v1, s15
	buffer_wbl2
	s_waitcnt vmcnt(0)
	global_atomic_cmpswap_x2 v[0:1], v31, v[0:3], s[12:13] offset:32 glc
	s_waitcnt vmcnt(0)
	v_cmp_eq_u64_e32 vcc, v[0:1], v[2:3]
	s_or_b64 s[20:21], vcc, s[20:21]
	v_pk_mov_b32 v[2:3], v[0:1], v[0:1] op_sel:[0,1]
	s_andn2_b64 exec, exec, s[20:21]
	s_cbranch_execnz .LBB388_70
.LBB388_71:                             ;   in Loop: Header=BB388_3 Depth=1
	s_or_b64 exec, exec, s[18:19]
	global_load_dwordx2 v[0:1], v31, s[12:13] offset:16
	s_mov_b64 s[20:21], exec
	v_mbcnt_lo_u32_b32 v2, s20, 0
	v_mbcnt_hi_u32_b32 v2, s21, v2
	v_cmp_eq_u32_e32 vcc, 0, v2
	s_and_saveexec_b64 s[18:19], vcc
	s_cbranch_execz .LBB388_73
; %bb.72:                               ;   in Loop: Header=BB388_3 Depth=1
	s_bcnt1_i32_b64 s20, s[20:21]
	v_mov_b32_e32 v30, s20
	buffer_wbl2
	s_waitcnt vmcnt(0)
	global_atomic_add_x2 v[0:1], v[30:31], off offset:8
.LBB388_73:                             ;   in Loop: Header=BB388_3 Depth=1
	s_or_b64 exec, exec, s[18:19]
	s_waitcnt vmcnt(0)
	global_load_dwordx2 v[2:3], v[0:1], off offset:16
	s_waitcnt vmcnt(0)
	v_cmp_eq_u64_e32 vcc, 0, v[2:3]
	s_cbranch_vccnz .LBB388_75
; %bb.74:                               ;   in Loop: Header=BB388_3 Depth=1
	global_load_dword v30, v[0:1], off offset:24
	s_waitcnt vmcnt(0)
	v_and_b32_e32 v0, 0xffffff, v30
	v_readfirstlane_b32 m0, v0
	buffer_wbl2
	global_store_dwordx2 v[2:3], v[30:31], off
	s_sendmsg sendmsg(MSG_INTERRUPT)
.LBB388_75:                             ;   in Loop: Header=BB388_3 Depth=1
	s_or_b64 exec, exec, s[16:17]
	v_add_co_u32_e32 v0, vcc, v10, v11
	v_addc_co_u32_e32 v1, vcc, 0, v7, vcc
	s_branch .LBB388_79
.LBB388_76:                             ;   in Loop: Header=BB388_79 Depth=2
	s_or_b64 exec, exec, s[16:17]
	v_readfirstlane_b32 s16, v2
	s_cmp_eq_u32 s16, 0
	s_cbranch_scc1 .LBB388_78
; %bb.77:                               ;   in Loop: Header=BB388_79 Depth=2
	s_sleep 1
	s_cbranch_execnz .LBB388_79
	s_branch .LBB388_81
.LBB388_78:                             ;   in Loop: Header=BB388_3 Depth=1
	s_branch .LBB388_81
.LBB388_79:                             ;   Parent Loop BB388_3 Depth=1
                                        ; =>  This Inner Loop Header: Depth=2
	v_mov_b32_e32 v2, 1
	s_and_saveexec_b64 s[16:17], s[4:5]
	s_cbranch_execz .LBB388_76
; %bb.80:                               ;   in Loop: Header=BB388_79 Depth=2
	global_load_dword v2, v[36:37], off offset:20 glc
	s_waitcnt vmcnt(0)
	buffer_invl2
	buffer_wbinvl1_vol
	v_and_b32_e32 v2, 1, v2
	s_branch .LBB388_76
.LBB388_81:                             ;   in Loop: Header=BB388_3 Depth=1
	global_load_dwordx4 v[0:3], v[0:1], off
	s_and_saveexec_b64 s[16:17], s[4:5]
	s_cbranch_execz .LBB388_2
; %bb.82:                               ;   in Loop: Header=BB388_3 Depth=1
	global_load_dwordx2 v[2:3], v31, s[12:13] offset:40
	global_load_dwordx2 v[10:11], v31, s[12:13] offset:24 glc
	global_load_dwordx2 v[18:19], v31, s[12:13]
	v_mov_b32_e32 v7, s15
	s_waitcnt vmcnt(2)
	v_add_co_u32_e32 v17, vcc, 1, v2
	v_addc_co_u32_e32 v20, vcc, 0, v3, vcc
	v_add_co_u32_e32 v14, vcc, s14, v17
	v_addc_co_u32_e32 v15, vcc, v20, v7, vcc
	v_cmp_eq_u64_e32 vcc, 0, v[14:15]
	v_cndmask_b32_e32 v15, v15, v20, vcc
	v_cndmask_b32_e32 v14, v14, v17, vcc
	v_and_b32_e32 v3, v15, v3
	v_and_b32_e32 v2, v14, v2
	v_mul_lo_u32 v3, v3, 24
	v_mul_hi_u32 v7, v2, 24
	v_mul_lo_u32 v2, v2, 24
	v_add_u32_e32 v3, v7, v3
	s_waitcnt vmcnt(0)
	v_add_co_u32_e32 v2, vcc, v18, v2
	v_addc_co_u32_e32 v3, vcc, v19, v3, vcc
	v_mov_b32_e32 v16, v10
	global_store_dwordx2 v[2:3], v[10:11], off
	v_mov_b32_e32 v17, v11
	buffer_wbl2
	s_waitcnt vmcnt(0)
	global_atomic_cmpswap_x2 v[16:17], v31, v[14:17], s[12:13] offset:24 glc
	s_waitcnt vmcnt(0)
	v_cmp_ne_u64_e32 vcc, v[16:17], v[10:11]
	s_and_b64 exec, exec, vcc
	s_cbranch_execz .LBB388_2
; %bb.83:                               ;   in Loop: Header=BB388_3 Depth=1
	s_mov_b64 s[4:5], 0
.LBB388_84:                             ;   Parent Loop BB388_3 Depth=1
                                        ; =>  This Inner Loop Header: Depth=2
	s_sleep 1
	global_store_dwordx2 v[2:3], v[16:17], off
	buffer_wbl2
	s_waitcnt vmcnt(0)
	global_atomic_cmpswap_x2 v[10:11], v31, v[14:17], s[12:13] offset:24 glc
	s_waitcnt vmcnt(0)
	v_cmp_eq_u64_e32 vcc, v[10:11], v[16:17]
	s_or_b64 s[4:5], vcc, s[4:5]
	v_pk_mov_b32 v[16:17], v[10:11], v[10:11] op_sel:[0,1]
	s_andn2_b64 exec, exec, s[4:5]
	s_cbranch_execnz .LBB388_84
	s_branch .LBB388_2
.LBB388_85:
	s_or_b64 exec, exec, s[6:7]
                                        ; implicit-def: $vgpr0
                                        ; implicit-def: $vgpr1
                                        ; implicit-def: $vgpr2
.LBB388_86:
	s_andn2_saveexec_b64 s[6:7], s[10:11]
	s_cbranch_execz .LBB388_109
; %bb.87:
	s_load_dwordx2 s[8:9], s[8:9], 0x50
	s_waitcnt vmcnt(0)
	v_mbcnt_hi_u32_b32 v3, -1, v2
	v_readfirstlane_b32 s4, v3
	v_cmp_eq_u32_e64 s[4:5], s4, v3
	v_pk_mov_b32 v[8:9], 0, 0
	s_and_saveexec_b64 s[10:11], s[4:5]
	s_cbranch_execz .LBB388_93
; %bb.88:
	v_mov_b32_e32 v2, 0
	s_waitcnt lgkmcnt(0)
	global_load_dwordx2 v[6:7], v2, s[8:9] offset:24 glc
	s_waitcnt vmcnt(0)
	buffer_invl2
	buffer_wbinvl1_vol
	global_load_dwordx2 v[4:5], v2, s[8:9] offset:40
	global_load_dwordx2 v[8:9], v2, s[8:9]
	s_waitcnt vmcnt(1)
	v_and_b32_e32 v4, v4, v6
	v_and_b32_e32 v5, v5, v7
	v_mul_lo_u32 v5, v5, 24
	v_mul_hi_u32 v10, v4, 24
	v_mul_lo_u32 v4, v4, 24
	v_add_u32_e32 v5, v10, v5
	s_waitcnt vmcnt(0)
	v_add_co_u32_e32 v4, vcc, v8, v4
	v_addc_co_u32_e32 v5, vcc, v9, v5, vcc
	global_load_dwordx2 v[4:5], v[4:5], off glc
	s_waitcnt vmcnt(0)
	global_atomic_cmpswap_x2 v[8:9], v2, v[4:7], s[8:9] offset:24 glc
	s_waitcnt vmcnt(0)
	buffer_invl2
	buffer_wbinvl1_vol
	v_cmp_ne_u64_e32 vcc, v[8:9], v[6:7]
	s_and_saveexec_b64 s[12:13], vcc
	s_cbranch_execz .LBB388_92
; %bb.89:
	s_mov_b64 s[14:15], 0
.LBB388_90:                             ; =>This Inner Loop Header: Depth=1
	s_sleep 1
	global_load_dwordx2 v[4:5], v2, s[8:9] offset:40
	global_load_dwordx2 v[10:11], v2, s[8:9]
	v_pk_mov_b32 v[6:7], v[8:9], v[8:9] op_sel:[0,1]
	s_waitcnt vmcnt(1)
	v_and_b32_e32 v4, v4, v6
	v_and_b32_e32 v9, v5, v7
	s_waitcnt vmcnt(0)
	v_mad_u64_u32 v[4:5], s[16:17], v4, 24, v[10:11]
	v_mov_b32_e32 v8, v5
	v_mad_u64_u32 v[8:9], s[16:17], v9, 24, v[8:9]
	v_mov_b32_e32 v5, v8
	global_load_dwordx2 v[4:5], v[4:5], off glc
	s_waitcnt vmcnt(0)
	global_atomic_cmpswap_x2 v[8:9], v2, v[4:7], s[8:9] offset:24 glc
	s_waitcnt vmcnt(0)
	buffer_invl2
	buffer_wbinvl1_vol
	v_cmp_eq_u64_e32 vcc, v[8:9], v[6:7]
	s_or_b64 s[14:15], vcc, s[14:15]
	s_andn2_b64 exec, exec, s[14:15]
	s_cbranch_execnz .LBB388_90
; %bb.91:
	s_or_b64 exec, exec, s[14:15]
.LBB388_92:
	s_or_b64 exec, exec, s[12:13]
.LBB388_93:
	s_or_b64 exec, exec, s[10:11]
	v_mov_b32_e32 v2, 0
	s_waitcnt lgkmcnt(0)
	global_load_dwordx2 v[10:11], v2, s[8:9] offset:40
	global_load_dwordx4 v[4:7], v2, s[8:9]
	v_readfirstlane_b32 s10, v8
	v_readfirstlane_b32 s11, v9
	s_mov_b64 s[12:13], exec
	s_waitcnt vmcnt(1)
	v_readfirstlane_b32 s14, v10
	v_readfirstlane_b32 s15, v11
	s_and_b64 s[14:15], s[10:11], s[14:15]
	s_mul_i32 s16, s15, 24
	s_mul_hi_u32 s17, s14, 24
	s_mul_i32 s18, s14, 24
	s_add_i32 s16, s17, s16
	v_mov_b32_e32 v9, s16
	s_waitcnt vmcnt(0)
	v_add_co_u32_e32 v8, vcc, s18, v4
	v_addc_co_u32_e32 v9, vcc, v5, v9, vcc
	s_and_saveexec_b64 s[16:17], s[4:5]
	s_cbranch_execz .LBB388_95
; %bb.94:
	v_pk_mov_b32 v[10:11], s[12:13], s[12:13] op_sel:[0,1]
	v_mov_b32_e32 v12, 2
	v_mov_b32_e32 v13, 1
	global_store_dwordx4 v[8:9], v[10:13], off offset:8
.LBB388_95:
	s_or_b64 exec, exec, s[16:17]
	s_lshl_b64 s[12:13], s[14:15], 12
	v_mov_b32_e32 v10, s13
	v_add_co_u32_e32 v6, vcc, s12, v6
	s_movk_i32 s12, 0xff1f
	v_addc_co_u32_e32 v7, vcc, v7, v10, vcc
	v_and_or_b32 v0, v0, s12, 32
	s_mov_b32 s12, 0
	v_lshlrev_b32_e32 v10, 6, v3
	v_mov_b32_e32 v3, v2
	v_readfirstlane_b32 s16, v6
	v_readfirstlane_b32 s17, v7
	s_mov_b32 s13, s12
	s_mov_b32 s14, s12
	;; [unrolled: 1-line block ×3, first 2 shown]
	s_nop 1
	global_store_dwordx4 v10, v[0:3], s[16:17]
	s_nop 0
	v_pk_mov_b32 v[0:1], s[12:13], s[12:13] op_sel:[0,1]
	v_pk_mov_b32 v[2:3], s[14:15], s[14:15] op_sel:[0,1]
	global_store_dwordx4 v10, v[0:3], s[16:17] offset:16
	global_store_dwordx4 v10, v[0:3], s[16:17] offset:32
	global_store_dwordx4 v10, v[0:3], s[16:17] offset:48
	s_and_saveexec_b64 s[12:13], s[4:5]
	s_cbranch_execz .LBB388_103
; %bb.96:
	v_mov_b32_e32 v6, 0
	global_load_dwordx2 v[12:13], v6, s[8:9] offset:32 glc
	global_load_dwordx2 v[0:1], v6, s[8:9] offset:40
	v_mov_b32_e32 v10, s10
	v_mov_b32_e32 v11, s11
	s_waitcnt vmcnt(0)
	v_and_b32_e32 v0, s10, v0
	v_and_b32_e32 v1, s11, v1
	v_mul_lo_u32 v1, v1, 24
	v_mul_hi_u32 v2, v0, 24
	v_mul_lo_u32 v0, v0, 24
	v_add_u32_e32 v1, v2, v1
	v_add_co_u32_e32 v4, vcc, v4, v0
	v_addc_co_u32_e32 v5, vcc, v5, v1, vcc
	global_store_dwordx2 v[4:5], v[12:13], off
	buffer_wbl2
	s_waitcnt vmcnt(0)
	global_atomic_cmpswap_x2 v[2:3], v6, v[10:13], s[8:9] offset:32 glc
	s_waitcnt vmcnt(0)
	v_cmp_ne_u64_e32 vcc, v[2:3], v[12:13]
	s_and_saveexec_b64 s[14:15], vcc
	s_cbranch_execz .LBB388_99
; %bb.97:
	s_mov_b64 s[16:17], 0
.LBB388_98:                             ; =>This Inner Loop Header: Depth=1
	s_sleep 1
	global_store_dwordx2 v[4:5], v[2:3], off
	v_mov_b32_e32 v0, s10
	v_mov_b32_e32 v1, s11
	buffer_wbl2
	s_waitcnt vmcnt(0)
	global_atomic_cmpswap_x2 v[0:1], v6, v[0:3], s[8:9] offset:32 glc
	s_waitcnt vmcnt(0)
	v_cmp_eq_u64_e32 vcc, v[0:1], v[2:3]
	s_or_b64 s[16:17], vcc, s[16:17]
	v_pk_mov_b32 v[2:3], v[0:1], v[0:1] op_sel:[0,1]
	s_andn2_b64 exec, exec, s[16:17]
	s_cbranch_execnz .LBB388_98
.LBB388_99:
	s_or_b64 exec, exec, s[14:15]
	v_mov_b32_e32 v3, 0
	global_load_dwordx2 v[0:1], v3, s[8:9] offset:16
	s_mov_b64 s[14:15], exec
	v_mbcnt_lo_u32_b32 v2, s14, 0
	v_mbcnt_hi_u32_b32 v2, s15, v2
	v_cmp_eq_u32_e32 vcc, 0, v2
	s_and_saveexec_b64 s[16:17], vcc
	s_cbranch_execz .LBB388_101
; %bb.100:
	s_bcnt1_i32_b64 s14, s[14:15]
	v_mov_b32_e32 v2, s14
	buffer_wbl2
	s_waitcnt vmcnt(0)
	global_atomic_add_x2 v[0:1], v[2:3], off offset:8
.LBB388_101:
	s_or_b64 exec, exec, s[16:17]
	s_waitcnt vmcnt(0)
	global_load_dwordx2 v[2:3], v[0:1], off offset:16
	s_waitcnt vmcnt(0)
	v_cmp_eq_u64_e32 vcc, 0, v[2:3]
	s_cbranch_vccnz .LBB388_103
; %bb.102:
	global_load_dword v0, v[0:1], off offset:24
	v_mov_b32_e32 v1, 0
	buffer_wbl2
	s_waitcnt vmcnt(0)
	global_store_dwordx2 v[2:3], v[0:1], off
	v_and_b32_e32 v0, 0xffffff, v0
	v_readfirstlane_b32 m0, v0
	s_sendmsg sendmsg(MSG_INTERRUPT)
.LBB388_103:
	s_or_b64 exec, exec, s[12:13]
	s_branch .LBB388_107
.LBB388_104:                            ;   in Loop: Header=BB388_107 Depth=1
	s_or_b64 exec, exec, s[12:13]
	v_readfirstlane_b32 s12, v0
	s_cmp_eq_u32 s12, 0
	s_cbranch_scc1 .LBB388_106
; %bb.105:                              ;   in Loop: Header=BB388_107 Depth=1
	s_sleep 1
	s_cbranch_execnz .LBB388_107
	s_branch .LBB388_110
.LBB388_106:
	s_branch .LBB388_110
.LBB388_107:                            ; =>This Inner Loop Header: Depth=1
	v_mov_b32_e32 v0, 1
	s_and_saveexec_b64 s[12:13], s[4:5]
	s_cbranch_execz .LBB388_104
; %bb.108:                              ;   in Loop: Header=BB388_107 Depth=1
	global_load_dword v0, v[8:9], off offset:20 glc
	s_waitcnt vmcnt(0)
	buffer_invl2
	buffer_wbinvl1_vol
	v_and_b32_e32 v0, 1, v0
	s_branch .LBB388_104
.LBB388_109:
	s_or_b64 exec, exec, s[6:7]
	s_waitcnt vmcnt(0) lgkmcnt(0)
	s_setpc_b64 s[30:31]
.LBB388_110:
	s_and_saveexec_b64 s[12:13], s[4:5]
	s_cbranch_execz .LBB388_113
; %bb.111:
	v_mov_b32_e32 v6, 0
	global_load_dwordx2 v[4:5], v6, s[8:9] offset:40
	global_load_dwordx2 v[8:9], v6, s[8:9] offset:24 glc
	global_load_dwordx2 v[10:11], v6, s[8:9]
	v_mov_b32_e32 v1, s11
	s_mov_b64 s[4:5], 0
	s_waitcnt vmcnt(2)
	v_add_co_u32_e32 v3, vcc, 1, v4
	v_addc_co_u32_e32 v7, vcc, 0, v5, vcc
	v_add_co_u32_e32 v0, vcc, s10, v3
	v_addc_co_u32_e32 v1, vcc, v7, v1, vcc
	v_cmp_eq_u64_e32 vcc, 0, v[0:1]
	v_cndmask_b32_e32 v1, v1, v7, vcc
	v_cndmask_b32_e32 v0, v0, v3, vcc
	v_and_b32_e32 v3, v1, v5
	v_and_b32_e32 v4, v0, v4
	v_mul_lo_u32 v3, v3, 24
	v_mul_hi_u32 v5, v4, 24
	v_mul_lo_u32 v4, v4, 24
	v_add_u32_e32 v3, v5, v3
	s_waitcnt vmcnt(0)
	v_add_co_u32_e32 v4, vcc, v10, v4
	v_addc_co_u32_e32 v5, vcc, v11, v3, vcc
	v_mov_b32_e32 v2, v8
	global_store_dwordx2 v[4:5], v[8:9], off
	v_mov_b32_e32 v3, v9
	buffer_wbl2
	s_waitcnt vmcnt(0)
	global_atomic_cmpswap_x2 v[2:3], v6, v[0:3], s[8:9] offset:24 glc
	s_waitcnt vmcnt(0)
	v_cmp_ne_u64_e32 vcc, v[2:3], v[8:9]
	s_and_b64 exec, exec, vcc
	s_cbranch_execz .LBB388_113
.LBB388_112:                            ; =>This Inner Loop Header: Depth=1
	s_sleep 1
	global_store_dwordx2 v[4:5], v[2:3], off
	buffer_wbl2
	s_waitcnt vmcnt(0)
	global_atomic_cmpswap_x2 v[8:9], v6, v[0:3], s[8:9] offset:24 glc
	s_waitcnt vmcnt(0)
	v_cmp_eq_u64_e32 vcc, v[8:9], v[2:3]
	s_or_b64 s[4:5], vcc, s[4:5]
	v_pk_mov_b32 v[2:3], v[8:9], v[8:9] op_sel:[0,1]
	s_andn2_b64 exec, exec, s[4:5]
	s_cbranch_execnz .LBB388_112
.LBB388_113:
	s_or_b64 exec, exec, s[12:13]
	s_or_b64 exec, exec, s[6:7]
	s_waitcnt vmcnt(0) lgkmcnt(0)
	s_setpc_b64 s[30:31]
.Lfunc_end388:
	.size	__ockl_fprintf_append_string_n, .Lfunc_end388-__ockl_fprintf_append_string_n
                                        ; -- End function
	.section	.AMDGPU.csdata,"",@progbits
; Function info:
; codeLenInByte = 4372
; NumSgprs: 36
; NumVgprs: 38
; NumAgprs: 0
; TotalNumVgprs: 38
; ScratchSize: 0
; MemoryBound: 0
	.text
	.p2align	2                               ; -- Begin function __assert_fail
	.type	__assert_fail,@function
__assert_fail:                          ; @__assert_fail
; %bb.0:
	s_waitcnt vmcnt(0) expcnt(0) lgkmcnt(0)
	s_mov_b32 s25, s33
	s_mov_b32 s33, s32
	s_or_saveexec_b64 s[4:5], -1
	buffer_store_dword v41, off, s[0:3], s33 offset:48 ; 4-byte Folded Spill
	s_mov_b64 exec, s[4:5]
	v_accvgpr_write_b32 a0, v40             ;  Reload Reuse
	s_addk_i32 s32, 0x1000
	v_writelane_b32 v41, s30, 0
	v_writelane_b32 v41, s31, 1
	s_getpc_b64 s[4:5]
	s_add_u32 s4, s4, __const.__assert_fail.fmt@rel32@lo+4
	s_addc_u32 s5, s5, __const.__assert_fail.fmt@rel32@hi+12
	s_load_dwordx4 s[4:7], s[4:5], 0x0
	v_mov_b32_e32 v31, v2
	v_mov_b32_e32 v2, 0xa2e
	buffer_store_short v2, off, s[0:3], s33 offset:44
	v_mov_b32_e32 v2, 0x64656c69
	buffer_store_dword v2, off, s[0:3], s33 offset:40
	v_mov_b32_e32 v2, 0x61662027
	s_getpc_b64 s[10:11]
	s_add_u32 s10, s10, __const.__assert_fail.fmt@rel32@lo+20
	s_addc_u32 s11, s11, __const.__assert_fail.fmt@rel32@hi+28
	buffer_store_dword v2, off, s[0:3], s33 offset:36
	v_mov_b32_e32 v2, 0x73256020
	s_load_dwordx4 s[12:15], s[10:11], 0x0
	buffer_store_dword v2, off, s[0:3], s33 offset:32
	s_waitcnt lgkmcnt(0)
	v_mov_b32_e32 v2, s7
	buffer_store_dword v2, off, s[0:3], s33 offset:12
	v_mov_b32_e32 v2, s6
	buffer_store_dword v2, off, s[0:3], s33 offset:8
	;; [unrolled: 2-line block ×3, first 2 shown]
	v_mov_b32_e32 v2, s4
	buffer_store_dword v2, off, s[0:3], s33
	v_mov_b32_e32 v2, s15
	buffer_store_dword v2, off, s[0:3], s33 offset:28
	v_mov_b32_e32 v2, s14
	buffer_store_dword v2, off, s[0:3], s33 offset:24
	;; [unrolled: 2-line block ×3, first 2 shown]
	v_mov_b32_e32 v2, s12
	s_load_dwordx2 s[10:11], s[8:9], 0x50
	buffer_store_dword v2, off, s[0:3], s33 offset:16
	v_mbcnt_lo_u32_b32 v2, -1, 0
	v_mbcnt_hi_u32_b32 v39, -1, v2
	v_readfirstlane_b32 s4, v39
	v_mov_b32_e32 v30, v1
	v_mov_b32_e32 v1, 0
	v_cmp_eq_u32_e64 s[4:5], s4, v39
	v_pk_mov_b32 v[6:7], 0, 0
	buffer_store_byte v1, off, s[0:3], s33 offset:46
	s_and_saveexec_b64 s[6:7], s[4:5]
	s_cbranch_execz .LBB389_6
; %bb.1:
	s_waitcnt lgkmcnt(0)
	global_load_dwordx2 v[4:5], v1, s[10:11] offset:24 glc
	s_waitcnt vmcnt(0)
	buffer_invl2
	buffer_wbinvl1_vol
	global_load_dwordx2 v[2:3], v1, s[10:11] offset:40
	global_load_dwordx2 v[6:7], v1, s[10:11]
	s_waitcnt vmcnt(1)
	v_and_b32_e32 v2, v2, v4
	v_and_b32_e32 v3, v3, v5
	v_mul_lo_u32 v3, v3, 24
	v_mul_hi_u32 v8, v2, 24
	v_mul_lo_u32 v2, v2, 24
	v_add_u32_e32 v3, v8, v3
	s_waitcnt vmcnt(0)
	v_add_co_u32_e32 v2, vcc, v6, v2
	v_addc_co_u32_e32 v3, vcc, v7, v3, vcc
	global_load_dwordx2 v[2:3], v[2:3], off glc
	s_waitcnt vmcnt(0)
	global_atomic_cmpswap_x2 v[6:7], v1, v[2:5], s[10:11] offset:24 glc
	s_waitcnt vmcnt(0)
	buffer_invl2
	buffer_wbinvl1_vol
	v_cmp_ne_u64_e32 vcc, v[6:7], v[4:5]
	s_and_saveexec_b64 s[12:13], vcc
	s_cbranch_execz .LBB389_5
; %bb.2:
	s_mov_b64 s[14:15], 0
.LBB389_3:                              ; =>This Inner Loop Header: Depth=1
	s_sleep 1
	global_load_dwordx2 v[2:3], v1, s[10:11] offset:40
	global_load_dwordx2 v[8:9], v1, s[10:11]
	v_pk_mov_b32 v[4:5], v[6:7], v[6:7] op_sel:[0,1]
	s_waitcnt vmcnt(1)
	v_and_b32_e32 v2, v2, v4
	v_and_b32_e32 v7, v3, v5
	s_waitcnt vmcnt(0)
	v_mad_u64_u32 v[2:3], s[16:17], v2, 24, v[8:9]
	v_mov_b32_e32 v6, v3
	v_mad_u64_u32 v[6:7], s[16:17], v7, 24, v[6:7]
	v_mov_b32_e32 v3, v6
	global_load_dwordx2 v[2:3], v[2:3], off glc
	s_waitcnt vmcnt(0)
	global_atomic_cmpswap_x2 v[6:7], v1, v[2:5], s[10:11] offset:24 glc
	s_waitcnt vmcnt(0)
	buffer_invl2
	buffer_wbinvl1_vol
	v_cmp_eq_u64_e32 vcc, v[6:7], v[4:5]
	s_or_b64 s[14:15], vcc, s[14:15]
	s_andn2_b64 exec, exec, s[14:15]
	s_cbranch_execnz .LBB389_3
; %bb.4:
	s_or_b64 exec, exec, s[14:15]
.LBB389_5:
	s_or_b64 exec, exec, s[12:13]
.LBB389_6:
	s_or_b64 exec, exec, s[6:7]
	s_waitcnt lgkmcnt(0)
	global_load_dwordx2 v[8:9], v1, s[10:11] offset:40
	global_load_dwordx4 v[2:5], v1, s[10:11]
	v_readfirstlane_b32 s6, v6
	v_readfirstlane_b32 s7, v7
	s_mov_b64 s[12:13], exec
	s_waitcnt vmcnt(1)
	v_readfirstlane_b32 s14, v8
	v_readfirstlane_b32 s15, v9
	s_and_b64 s[14:15], s[6:7], s[14:15]
	s_mul_i32 s16, s15, 24
	s_mul_hi_u32 s17, s14, 24
	s_mul_i32 s18, s14, 24
	s_add_i32 s16, s17, s16
	v_mov_b32_e32 v1, s16
	s_waitcnt vmcnt(0)
	v_add_co_u32_e32 v10, vcc, s18, v2
	v_addc_co_u32_e32 v11, vcc, v3, v1, vcc
	s_and_saveexec_b64 s[16:17], s[4:5]
	s_cbranch_execz .LBB389_8
; %bb.7:
	v_pk_mov_b32 v[6:7], s[12:13], s[12:13] op_sel:[0,1]
	v_mov_b32_e32 v8, 2
	v_mov_b32_e32 v9, 1
	global_store_dwordx4 v[10:11], v[6:9], off offset:8
.LBB389_8:
	s_or_b64 exec, exec, s[16:17]
	s_lshl_b64 s[12:13], s[14:15], 12
	v_mov_b32_e32 v1, s13
	v_add_co_u32_e32 v8, vcc, s12, v4
	v_addc_co_u32_e32 v1, vcc, v5, v1, vcc
	s_mov_b32 s12, 0
	v_mov_b32_e32 v5, 0
	v_lshlrev_b32_e32 v38, 6, v39
	v_mov_b32_e32 v4, 33
	v_mov_b32_e32 v6, 1
	;; [unrolled: 1-line block ×3, first 2 shown]
	v_readfirstlane_b32 s16, v8
	v_readfirstlane_b32 s17, v1
	s_mov_b32 s13, s12
	v_add_co_u32_e32 v12, vcc, v8, v38
	s_mov_b32 s14, s12
	s_mov_b32 s15, s12
	s_nop 0
	global_store_dwordx4 v38, v[4:7], s[16:17]
	v_addc_co_u32_e32 v13, vcc, 0, v1, vcc
	v_pk_mov_b32 v[6:7], s[12:13], s[12:13] op_sel:[0,1]
	v_pk_mov_b32 v[8:9], s[14:15], s[14:15] op_sel:[0,1]
	global_store_dwordx4 v38, v[6:9], s[16:17] offset:16
	global_store_dwordx4 v38, v[6:9], s[16:17] offset:32
	;; [unrolled: 1-line block ×3, first 2 shown]
	s_and_saveexec_b64 s[12:13], s[4:5]
	s_cbranch_execz .LBB389_16
; %bb.9:
	global_load_dwordx2 v[16:17], v5, s[10:11] offset:32 glc
	global_load_dwordx2 v[6:7], v5, s[10:11] offset:40
	v_mov_b32_e32 v14, s6
	v_mov_b32_e32 v15, s7
	s_waitcnt vmcnt(0)
	v_and_b32_e32 v1, s6, v6
	v_and_b32_e32 v4, s7, v7
	v_mul_lo_u32 v4, v4, 24
	v_mul_hi_u32 v6, v1, 24
	v_mul_lo_u32 v1, v1, 24
	v_add_u32_e32 v4, v6, v4
	v_add_co_u32_e32 v2, vcc, v2, v1
	v_addc_co_u32_e32 v3, vcc, v3, v4, vcc
	global_store_dwordx2 v[2:3], v[16:17], off
	buffer_wbl2
	s_waitcnt vmcnt(0)
	global_atomic_cmpswap_x2 v[8:9], v5, v[14:17], s[10:11] offset:32 glc
	s_waitcnt vmcnt(0)
	v_cmp_ne_u64_e32 vcc, v[8:9], v[16:17]
	s_and_saveexec_b64 s[14:15], vcc
	s_cbranch_execz .LBB389_12
; %bb.10:
	s_mov_b64 s[16:17], 0
.LBB389_11:                             ; =>This Inner Loop Header: Depth=1
	s_sleep 1
	global_store_dwordx2 v[2:3], v[8:9], off
	v_mov_b32_e32 v6, s6
	v_mov_b32_e32 v7, s7
	buffer_wbl2
	s_waitcnt vmcnt(0)
	global_atomic_cmpswap_x2 v[6:7], v5, v[6:9], s[10:11] offset:32 glc
	s_waitcnt vmcnt(0)
	v_cmp_eq_u64_e32 vcc, v[6:7], v[8:9]
	s_or_b64 s[16:17], vcc, s[16:17]
	v_pk_mov_b32 v[8:9], v[6:7], v[6:7] op_sel:[0,1]
	s_andn2_b64 exec, exec, s[16:17]
	s_cbranch_execnz .LBB389_11
.LBB389_12:
	s_or_b64 exec, exec, s[14:15]
	v_mov_b32_e32 v5, 0
	global_load_dwordx2 v[2:3], v5, s[10:11] offset:16
	s_mov_b64 s[14:15], exec
	v_mbcnt_lo_u32_b32 v1, s14, 0
	v_mbcnt_hi_u32_b32 v1, s15, v1
	v_cmp_eq_u32_e32 vcc, 0, v1
	s_and_saveexec_b64 s[16:17], vcc
	s_cbranch_execz .LBB389_14
; %bb.13:
	s_bcnt1_i32_b64 s14, s[14:15]
	v_mov_b32_e32 v4, s14
	buffer_wbl2
	s_waitcnt vmcnt(0)
	global_atomic_add_x2 v[2:3], v[4:5], off offset:8
.LBB389_14:
	s_or_b64 exec, exec, s[16:17]
	s_waitcnt vmcnt(0)
	global_load_dwordx2 v[4:5], v[2:3], off offset:16
	s_waitcnt vmcnt(0)
	v_cmp_eq_u64_e32 vcc, 0, v[4:5]
	s_cbranch_vccnz .LBB389_16
; %bb.15:
	global_load_dword v2, v[2:3], off offset:24
	v_mov_b32_e32 v3, 0
	s_waitcnt vmcnt(0)
	v_and_b32_e32 v1, 0xffffff, v2
	v_readfirstlane_b32 m0, v1
	buffer_wbl2
	global_store_dwordx2 v[4:5], v[2:3], off
	s_sendmsg sendmsg(MSG_INTERRUPT)
.LBB389_16:
	s_or_b64 exec, exec, s[12:13]
	s_branch .LBB389_20
.LBB389_17:                             ;   in Loop: Header=BB389_20 Depth=1
	s_or_b64 exec, exec, s[12:13]
	v_readfirstlane_b32 s12, v1
	s_cmp_eq_u32 s12, 0
	s_cbranch_scc1 .LBB389_19
; %bb.18:                               ;   in Loop: Header=BB389_20 Depth=1
	s_sleep 1
	s_cbranch_execnz .LBB389_20
	s_branch .LBB389_22
.LBB389_19:
	s_branch .LBB389_22
.LBB389_20:                             ; =>This Inner Loop Header: Depth=1
	v_mov_b32_e32 v1, 1
	s_and_saveexec_b64 s[12:13], s[4:5]
	s_cbranch_execz .LBB389_17
; %bb.21:                               ;   in Loop: Header=BB389_20 Depth=1
	global_load_dword v1, v[10:11], off offset:20 glc
	s_waitcnt vmcnt(0)
	buffer_invl2
	buffer_wbinvl1_vol
	v_and_b32_e32 v1, 1, v1
	s_branch .LBB389_17
.LBB389_22:
	global_load_dwordx2 v[6:7], v[12:13], off
	s_and_saveexec_b64 s[12:13], s[4:5]
	s_cbranch_execz .LBB389_25
; %bb.23:
	v_mov_b32_e32 v1, 0
	global_load_dwordx2 v[8:9], v1, s[10:11] offset:40
	global_load_dwordx2 v[10:11], v1, s[10:11] offset:24 glc
	global_load_dwordx2 v[12:13], v1, s[10:11]
	v_mov_b32_e32 v3, s7
	s_mov_b64 s[4:5], 0
	s_waitcnt vmcnt(2)
	v_add_co_u32_e32 v5, vcc, 1, v8
	v_addc_co_u32_e32 v14, vcc, 0, v9, vcc
	v_add_co_u32_e32 v2, vcc, s6, v5
	v_addc_co_u32_e32 v3, vcc, v14, v3, vcc
	v_cmp_eq_u64_e32 vcc, 0, v[2:3]
	v_cndmask_b32_e32 v3, v3, v14, vcc
	v_cndmask_b32_e32 v2, v2, v5, vcc
	v_and_b32_e32 v5, v3, v9
	v_and_b32_e32 v8, v2, v8
	v_mul_lo_u32 v5, v5, 24
	v_mul_hi_u32 v9, v8, 24
	v_mul_lo_u32 v8, v8, 24
	v_add_u32_e32 v5, v9, v5
	s_waitcnt vmcnt(0)
	v_add_co_u32_e32 v8, vcc, v12, v8
	v_addc_co_u32_e32 v9, vcc, v13, v5, vcc
	v_mov_b32_e32 v4, v10
	global_store_dwordx2 v[8:9], v[10:11], off
	v_mov_b32_e32 v5, v11
	buffer_wbl2
	s_waitcnt vmcnt(0)
	global_atomic_cmpswap_x2 v[4:5], v1, v[2:5], s[10:11] offset:24 glc
	s_waitcnt vmcnt(0)
	v_cmp_ne_u64_e32 vcc, v[4:5], v[10:11]
	s_and_b64 exec, exec, vcc
	s_cbranch_execz .LBB389_25
.LBB389_24:                             ; =>This Inner Loop Header: Depth=1
	s_sleep 1
	global_store_dwordx2 v[8:9], v[4:5], off
	buffer_wbl2
	s_waitcnt vmcnt(0)
	global_atomic_cmpswap_x2 v[10:11], v1, v[2:5], s[10:11] offset:24 glc
	s_waitcnt vmcnt(0)
	v_cmp_eq_u64_e32 vcc, v[10:11], v[4:5]
	s_or_b64 s[4:5], vcc, s[4:5]
	v_pk_mov_b32 v[4:5], v[10:11], v[10:11] op_sel:[0,1]
	s_andn2_b64 exec, exec, s[4:5]
	s_cbranch_execnz .LBB389_24
.LBB389_25:
	s_or_b64 exec, exec, s[12:13]
	v_lshrrev_b32_e64 v2, 6, s33
	s_mov_b64 s[4:5], 0
.LBB389_26:                             ; =>This Inner Loop Header: Depth=1
	buffer_load_ubyte v3, v2, s[0:3], 0 offen
	v_add_u32_e32 v1, 1, v2
	v_mov_b32_e32 v2, v1
	s_waitcnt vmcnt(0)
	v_cmp_eq_u16_e32 vcc, 0, v3
	s_or_b64 s[4:5], vcc, s[4:5]
	s_andn2_b64 exec, exec, s[4:5]
	s_cbranch_execnz .LBB389_26
; %bb.27:
	s_or_b64 exec, exec, s[4:5]
	v_lshrrev_b32_e64 v33, 6, s33
	v_cmp_ne_u32_e32 vcc, -1, v33
	s_cbranch_vccz .LBB389_112
; %bb.28:
	v_lshrrev_b32_e64 v2, 6, s33
	v_subrev_u32_e32 v28, v2, v1
	v_ashrrev_i32_e32 v29, 31, v28
	v_and_b32_e32 v32, 2, v6
	v_mov_b32_e32 v35, 0
	v_and_b32_e32 v2, -3, v6
	v_mov_b32_e32 v3, v7
	s_mov_b64 s[12:13], 0
	s_mov_b32 s20, 0
	s_movk_i32 s21, 0xff1f
	v_mov_b32_e32 v10, 2
	v_mov_b32_e32 v11, 1
	s_branch .LBB389_30
.LBB389_29:                             ;   in Loop: Header=BB389_30 Depth=1
	s_or_b64 exec, exec, s[6:7]
	v_sub_co_u32_e32 v28, vcc, v28, v40
	v_subb_co_u32_e32 v29, vcc, v29, v9, vcc
	v_cmp_eq_u64_e32 vcc, 0, v[28:29]
	s_or_b64 s[12:13], vcc, s[12:13]
	v_add_u32_e32 v33, v33, v40
	s_andn2_b64 exec, exec, s[12:13]
	s_cbranch_execz .LBB389_113
.LBB389_30:                             ; =>This Loop Header: Depth=1
                                        ;     Child Loop BB389_33 Depth 2
                                        ;     Child Loop BB389_41 Depth 2
	;; [unrolled: 1-line block ×11, first 2 shown]
	v_cmp_gt_u64_e32 vcc, 56, v[28:29]
	v_cndmask_b32_e32 v40, 56, v28, vcc
	v_cmp_gt_u64_e64 s[4:5], 8, v[28:29]
                                        ; implicit-def: $vgpr4_vgpr5
                                        ; implicit-def: $sgpr14
	s_and_saveexec_b64 s[6:7], s[4:5]
	s_xor_b64 s[6:7], exec, s[6:7]
	s_cbranch_execz .LBB389_36
; %bb.31:                               ;   in Loop: Header=BB389_30 Depth=1
	s_mov_b64 s[16:17], 0
	v_cmp_ne_u64_e64 s[4:5], 0, v[28:29]
	s_waitcnt vmcnt(0)
	v_pk_mov_b32 v[4:5], 0, 0
	s_and_saveexec_b64 s[14:15], s[4:5]
	s_cbranch_execz .LBB389_35
; %bb.32:                               ;   in Loop: Header=BB389_30 Depth=1
	s_mov_b32 s22, 0
	v_pk_mov_b32 v[4:5], 0, 0
	s_mov_b64 s[18:19], 0
.LBB389_33:                             ;   Parent Loop BB389_30 Depth=1
                                        ; =>  This Inner Loop Header: Depth=2
	v_add_u32_e32 v1, s22, v33
	buffer_load_ubyte v1, v1, s[0:3], 0 offen
	v_mov_b32_e32 v9, s20
	s_add_i32 s22, s22, 1
	v_cmp_eq_u32_e64 s[4:5], s22, v40
	s_waitcnt vmcnt(0)
	v_and_b32_e32 v8, 0xffff, v1
	v_lshlrev_b64 v[8:9], s18, v[8:9]
	s_add_u32 s18, s18, 8
	s_addc_u32 s19, s19, 0
	v_or_b32_e32 v5, v9, v5
	s_or_b64 s[16:17], s[4:5], s[16:17]
	v_or_b32_e32 v4, v8, v4
	s_andn2_b64 exec, exec, s[16:17]
	s_cbranch_execnz .LBB389_33
; %bb.34:                               ;   in Loop: Header=BB389_30 Depth=1
	s_or_b64 exec, exec, s[16:17]
.LBB389_35:                             ;   in Loop: Header=BB389_30 Depth=1
	s_or_b64 exec, exec, s[14:15]
	s_mov_b32 s14, 0
.LBB389_36:                             ;   in Loop: Header=BB389_30 Depth=1
	s_or_saveexec_b64 s[4:5], s[6:7]
	v_mov_b32_e32 v8, s14
	v_mov_b32_e32 v1, v33
	s_xor_b64 exec, exec, s[4:5]
	s_cbranch_execz .LBB389_38
; %bb.37:                               ;   in Loop: Header=BB389_30 Depth=1
	buffer_load_dword v1, v33, s[0:3], 0 offen offset:4
	buffer_load_dword v4, v33, s[0:3], 0 offen
	v_add_u32_e32 v8, -8, v40
	s_waitcnt vmcnt(1)
	v_and_b32_e32 v5, 0xff, v1
	v_and_b32_e32 v9, 0xff00, v1
	s_waitcnt vmcnt(0)
	v_or3_b32 v4, v4, 0, 0
	v_and_b32_e32 v12, 0xff0000, v1
	v_and_b32_e32 v1, 0xff000000, v1
	v_or3_b32 v5, 0, v5, v9
	v_or3_b32 v4, v4, 0, 0
	;; [unrolled: 1-line block ×3, first 2 shown]
	v_add_u32_e32 v1, 8, v33
.LBB389_38:                             ;   in Loop: Header=BB389_30 Depth=1
	s_or_b64 exec, exec, s[4:5]
	v_cmp_gt_u32_e64 s[4:5], 8, v8
                                        ; implicit-def: $vgpr12_vgpr13
                                        ; implicit-def: $sgpr14
	s_and_saveexec_b64 s[6:7], s[4:5]
	s_xor_b64 s[6:7], exec, s[6:7]
	s_cbranch_execz .LBB389_44
; %bb.39:                               ;   in Loop: Header=BB389_30 Depth=1
	v_cmp_ne_u32_e64 s[4:5], 0, v8
	v_pk_mov_b32 v[12:13], 0, 0
	s_and_saveexec_b64 s[14:15], s[4:5]
	s_cbranch_execz .LBB389_43
; %bb.40:                               ;   in Loop: Header=BB389_30 Depth=1
	s_mov_b32 s22, 0
	s_mov_b64 s[16:17], 0
	v_pk_mov_b32 v[12:13], 0, 0
	s_mov_b64 s[18:19], 0
.LBB389_41:                             ;   Parent Loop BB389_30 Depth=1
                                        ; =>  This Inner Loop Header: Depth=2
	v_add_u32_e32 v9, s22, v1
	buffer_load_ubyte v9, v9, s[0:3], 0 offen
	v_mov_b32_e32 v15, s20
	s_add_i32 s22, s22, 1
	v_cmp_eq_u32_e64 s[4:5], s22, v8
	s_waitcnt vmcnt(0)
	v_and_b32_e32 v14, 0xffff, v9
	v_lshlrev_b64 v[14:15], s18, v[14:15]
	s_add_u32 s18, s18, 8
	s_addc_u32 s19, s19, 0
	v_or_b32_e32 v13, v15, v13
	s_or_b64 s[16:17], s[4:5], s[16:17]
	v_or_b32_e32 v12, v14, v12
	s_andn2_b64 exec, exec, s[16:17]
	s_cbranch_execnz .LBB389_41
; %bb.42:                               ;   in Loop: Header=BB389_30 Depth=1
	s_or_b64 exec, exec, s[16:17]
.LBB389_43:                             ;   in Loop: Header=BB389_30 Depth=1
	s_or_b64 exec, exec, s[14:15]
	s_mov_b32 s14, 0
                                        ; implicit-def: $vgpr8
.LBB389_44:                             ;   in Loop: Header=BB389_30 Depth=1
	s_or_saveexec_b64 s[4:5], s[6:7]
	v_mov_b32_e32 v9, s14
	s_xor_b64 exec, exec, s[4:5]
	s_cbranch_execz .LBB389_46
; %bb.45:                               ;   in Loop: Header=BB389_30 Depth=1
	buffer_load_dword v12, v1, s[0:3], 0 offen offset:4
	buffer_load_dword v13, v1, s[0:3], 0 offen
	v_add_u32_e32 v9, -8, v8
	v_add_u32_e32 v1, 8, v1
	s_waitcnt vmcnt(1)
	v_and_b32_e32 v8, 0xff, v12
	v_and_b32_e32 v14, 0xff00, v12
	s_waitcnt vmcnt(0)
	v_or3_b32 v13, v13, 0, 0
	v_and_b32_e32 v15, 0xff0000, v12
	v_and_b32_e32 v16, 0xff000000, v12
	v_or3_b32 v8, 0, v8, v14
	v_or3_b32 v12, v13, 0, 0
	v_or3_b32 v13, v8, v15, v16
.LBB389_46:                             ;   in Loop: Header=BB389_30 Depth=1
	s_or_b64 exec, exec, s[4:5]
	v_cmp_gt_u32_e64 s[4:5], 8, v9
                                        ; implicit-def: $sgpr14
	s_and_saveexec_b64 s[6:7], s[4:5]
	s_xor_b64 s[6:7], exec, s[6:7]
	s_cbranch_execz .LBB389_52
; %bb.47:                               ;   in Loop: Header=BB389_30 Depth=1
	v_cmp_ne_u32_e64 s[4:5], 0, v9
	v_pk_mov_b32 v[14:15], 0, 0
	s_and_saveexec_b64 s[14:15], s[4:5]
	s_cbranch_execz .LBB389_51
; %bb.48:                               ;   in Loop: Header=BB389_30 Depth=1
	s_mov_b32 s22, 0
	s_mov_b64 s[16:17], 0
	v_pk_mov_b32 v[14:15], 0, 0
	s_mov_b64 s[18:19], 0
.LBB389_49:                             ;   Parent Loop BB389_30 Depth=1
                                        ; =>  This Inner Loop Header: Depth=2
	v_add_u32_e32 v8, s22, v1
	buffer_load_ubyte v8, v8, s[0:3], 0 offen
	v_mov_b32_e32 v17, s20
	s_add_i32 s22, s22, 1
	v_cmp_eq_u32_e64 s[4:5], s22, v9
	s_waitcnt vmcnt(0)
	v_and_b32_e32 v16, 0xffff, v8
	v_lshlrev_b64 v[16:17], s18, v[16:17]
	s_add_u32 s18, s18, 8
	s_addc_u32 s19, s19, 0
	v_or_b32_e32 v15, v17, v15
	s_or_b64 s[16:17], s[4:5], s[16:17]
	v_or_b32_e32 v14, v16, v14
	s_andn2_b64 exec, exec, s[16:17]
	s_cbranch_execnz .LBB389_49
; %bb.50:                               ;   in Loop: Header=BB389_30 Depth=1
	s_or_b64 exec, exec, s[16:17]
.LBB389_51:                             ;   in Loop: Header=BB389_30 Depth=1
	s_or_b64 exec, exec, s[14:15]
	s_mov_b32 s14, 0
                                        ; implicit-def: $vgpr9
.LBB389_52:                             ;   in Loop: Header=BB389_30 Depth=1
	s_or_saveexec_b64 s[4:5], s[6:7]
	v_mov_b32_e32 v8, s14
	s_xor_b64 exec, exec, s[4:5]
	s_cbranch_execz .LBB389_54
; %bb.53:                               ;   in Loop: Header=BB389_30 Depth=1
	buffer_load_dword v14, v1, s[0:3], 0 offen offset:4
	buffer_load_dword v15, v1, s[0:3], 0 offen
	v_add_u32_e32 v8, -8, v9
	v_add_u32_e32 v1, 8, v1
	s_waitcnt vmcnt(1)
	v_and_b32_e32 v9, 0xff, v14
	v_and_b32_e32 v16, 0xff00, v14
	s_waitcnt vmcnt(0)
	v_or3_b32 v15, v15, 0, 0
	v_and_b32_e32 v17, 0xff0000, v14
	v_and_b32_e32 v18, 0xff000000, v14
	v_or3_b32 v9, 0, v9, v16
	v_or3_b32 v14, v15, 0, 0
	;; [unrolled: 1-line block ×3, first 2 shown]
.LBB389_54:                             ;   in Loop: Header=BB389_30 Depth=1
	s_or_b64 exec, exec, s[4:5]
	v_cmp_gt_u32_e64 s[4:5], 8, v8
                                        ; implicit-def: $vgpr16_vgpr17
                                        ; implicit-def: $sgpr14
	s_and_saveexec_b64 s[6:7], s[4:5]
	s_xor_b64 s[6:7], exec, s[6:7]
	s_cbranch_execz .LBB389_60
; %bb.55:                               ;   in Loop: Header=BB389_30 Depth=1
	v_cmp_ne_u32_e64 s[4:5], 0, v8
	v_pk_mov_b32 v[16:17], 0, 0
	s_and_saveexec_b64 s[14:15], s[4:5]
	s_cbranch_execz .LBB389_59
; %bb.56:                               ;   in Loop: Header=BB389_30 Depth=1
	s_mov_b32 s22, 0
	s_mov_b64 s[16:17], 0
	v_pk_mov_b32 v[16:17], 0, 0
	s_mov_b64 s[18:19], 0
.LBB389_57:                             ;   Parent Loop BB389_30 Depth=1
                                        ; =>  This Inner Loop Header: Depth=2
	v_add_u32_e32 v9, s22, v1
	buffer_load_ubyte v9, v9, s[0:3], 0 offen
	v_mov_b32_e32 v19, s20
	s_add_i32 s22, s22, 1
	v_cmp_eq_u32_e64 s[4:5], s22, v8
	s_waitcnt vmcnt(0)
	v_and_b32_e32 v18, 0xffff, v9
	v_lshlrev_b64 v[18:19], s18, v[18:19]
	s_add_u32 s18, s18, 8
	s_addc_u32 s19, s19, 0
	v_or_b32_e32 v17, v19, v17
	s_or_b64 s[16:17], s[4:5], s[16:17]
	v_or_b32_e32 v16, v18, v16
	s_andn2_b64 exec, exec, s[16:17]
	s_cbranch_execnz .LBB389_57
; %bb.58:                               ;   in Loop: Header=BB389_30 Depth=1
	s_or_b64 exec, exec, s[16:17]
.LBB389_59:                             ;   in Loop: Header=BB389_30 Depth=1
	s_or_b64 exec, exec, s[14:15]
	s_mov_b32 s14, 0
                                        ; implicit-def: $vgpr8
.LBB389_60:                             ;   in Loop: Header=BB389_30 Depth=1
	s_or_saveexec_b64 s[4:5], s[6:7]
	v_mov_b32_e32 v9, s14
	s_xor_b64 exec, exec, s[4:5]
	s_cbranch_execz .LBB389_62
; %bb.61:                               ;   in Loop: Header=BB389_30 Depth=1
	buffer_load_dword v16, v1, s[0:3], 0 offen offset:4
	buffer_load_dword v17, v1, s[0:3], 0 offen
	v_add_u32_e32 v9, -8, v8
	v_add_u32_e32 v1, 8, v1
	s_waitcnt vmcnt(1)
	v_and_b32_e32 v8, 0xff, v16
	v_and_b32_e32 v18, 0xff00, v16
	s_waitcnt vmcnt(0)
	v_or3_b32 v17, v17, 0, 0
	v_and_b32_e32 v19, 0xff0000, v16
	v_and_b32_e32 v20, 0xff000000, v16
	v_or3_b32 v8, 0, v8, v18
	v_or3_b32 v16, v17, 0, 0
	;; [unrolled: 1-line block ×3, first 2 shown]
.LBB389_62:                             ;   in Loop: Header=BB389_30 Depth=1
	s_or_b64 exec, exec, s[4:5]
	v_cmp_gt_u32_e64 s[4:5], 8, v9
                                        ; implicit-def: $sgpr14
	s_and_saveexec_b64 s[6:7], s[4:5]
	s_xor_b64 s[6:7], exec, s[6:7]
	s_cbranch_execz .LBB389_68
; %bb.63:                               ;   in Loop: Header=BB389_30 Depth=1
	v_cmp_ne_u32_e64 s[4:5], 0, v9
	v_pk_mov_b32 v[18:19], 0, 0
	s_and_saveexec_b64 s[14:15], s[4:5]
	s_cbranch_execz .LBB389_67
; %bb.64:                               ;   in Loop: Header=BB389_30 Depth=1
	s_mov_b32 s22, 0
	s_mov_b64 s[16:17], 0
	v_pk_mov_b32 v[18:19], 0, 0
	s_mov_b64 s[18:19], 0
.LBB389_65:                             ;   Parent Loop BB389_30 Depth=1
                                        ; =>  This Inner Loop Header: Depth=2
	v_add_u32_e32 v8, s22, v1
	buffer_load_ubyte v8, v8, s[0:3], 0 offen
	v_mov_b32_e32 v21, s20
	s_add_i32 s22, s22, 1
	v_cmp_eq_u32_e64 s[4:5], s22, v9
	s_waitcnt vmcnt(0)
	v_and_b32_e32 v20, 0xffff, v8
	v_lshlrev_b64 v[20:21], s18, v[20:21]
	s_add_u32 s18, s18, 8
	s_addc_u32 s19, s19, 0
	v_or_b32_e32 v19, v21, v19
	s_or_b64 s[16:17], s[4:5], s[16:17]
	v_or_b32_e32 v18, v20, v18
	s_andn2_b64 exec, exec, s[16:17]
	s_cbranch_execnz .LBB389_65
; %bb.66:                               ;   in Loop: Header=BB389_30 Depth=1
	s_or_b64 exec, exec, s[16:17]
.LBB389_67:                             ;   in Loop: Header=BB389_30 Depth=1
	s_or_b64 exec, exec, s[14:15]
	s_mov_b32 s14, 0
                                        ; implicit-def: $vgpr9
.LBB389_68:                             ;   in Loop: Header=BB389_30 Depth=1
	s_or_saveexec_b64 s[4:5], s[6:7]
	v_mov_b32_e32 v8, s14
	s_xor_b64 exec, exec, s[4:5]
	s_cbranch_execz .LBB389_70
; %bb.69:                               ;   in Loop: Header=BB389_30 Depth=1
	buffer_load_dword v18, v1, s[0:3], 0 offen offset:4
	buffer_load_dword v19, v1, s[0:3], 0 offen
	v_add_u32_e32 v8, -8, v9
	v_add_u32_e32 v1, 8, v1
	s_waitcnt vmcnt(1)
	v_and_b32_e32 v9, 0xff, v18
	v_and_b32_e32 v20, 0xff00, v18
	s_waitcnt vmcnt(0)
	v_or3_b32 v19, v19, 0, 0
	v_and_b32_e32 v21, 0xff0000, v18
	v_and_b32_e32 v22, 0xff000000, v18
	v_or3_b32 v9, 0, v9, v20
	v_or3_b32 v18, v19, 0, 0
	;; [unrolled: 1-line block ×3, first 2 shown]
.LBB389_70:                             ;   in Loop: Header=BB389_30 Depth=1
	s_or_b64 exec, exec, s[4:5]
	v_cmp_gt_u32_e64 s[4:5], 8, v8
                                        ; implicit-def: $vgpr20_vgpr21
                                        ; implicit-def: $sgpr14
	s_and_saveexec_b64 s[6:7], s[4:5]
	s_xor_b64 s[6:7], exec, s[6:7]
	s_cbranch_execz .LBB389_76
; %bb.71:                               ;   in Loop: Header=BB389_30 Depth=1
	v_cmp_ne_u32_e64 s[4:5], 0, v8
	v_pk_mov_b32 v[20:21], 0, 0
	s_and_saveexec_b64 s[14:15], s[4:5]
	s_cbranch_execz .LBB389_75
; %bb.72:                               ;   in Loop: Header=BB389_30 Depth=1
	s_mov_b32 s22, 0
	s_mov_b64 s[16:17], 0
	v_pk_mov_b32 v[20:21], 0, 0
	s_mov_b64 s[18:19], 0
.LBB389_73:                             ;   Parent Loop BB389_30 Depth=1
                                        ; =>  This Inner Loop Header: Depth=2
	v_add_u32_e32 v9, s22, v1
	buffer_load_ubyte v9, v9, s[0:3], 0 offen
	v_mov_b32_e32 v23, s20
	s_add_i32 s22, s22, 1
	v_cmp_eq_u32_e64 s[4:5], s22, v8
	s_waitcnt vmcnt(0)
	v_and_b32_e32 v22, 0xffff, v9
	v_lshlrev_b64 v[22:23], s18, v[22:23]
	s_add_u32 s18, s18, 8
	s_addc_u32 s19, s19, 0
	v_or_b32_e32 v21, v23, v21
	s_or_b64 s[16:17], s[4:5], s[16:17]
	v_or_b32_e32 v20, v22, v20
	s_andn2_b64 exec, exec, s[16:17]
	s_cbranch_execnz .LBB389_73
; %bb.74:                               ;   in Loop: Header=BB389_30 Depth=1
	s_or_b64 exec, exec, s[16:17]
.LBB389_75:                             ;   in Loop: Header=BB389_30 Depth=1
	s_or_b64 exec, exec, s[14:15]
	s_mov_b32 s14, 0
                                        ; implicit-def: $vgpr8
.LBB389_76:                             ;   in Loop: Header=BB389_30 Depth=1
	s_or_saveexec_b64 s[4:5], s[6:7]
	v_mov_b32_e32 v9, s14
	s_xor_b64 exec, exec, s[4:5]
	s_cbranch_execz .LBB389_78
; %bb.77:                               ;   in Loop: Header=BB389_30 Depth=1
	buffer_load_dword v20, v1, s[0:3], 0 offen offset:4
	buffer_load_dword v21, v1, s[0:3], 0 offen
	v_add_u32_e32 v9, -8, v8
	v_add_u32_e32 v1, 8, v1
	s_waitcnt vmcnt(1)
	v_and_b32_e32 v8, 0xff, v20
	v_and_b32_e32 v22, 0xff00, v20
	s_waitcnt vmcnt(0)
	v_or3_b32 v21, v21, 0, 0
	v_and_b32_e32 v23, 0xff0000, v20
	v_and_b32_e32 v24, 0xff000000, v20
	v_or3_b32 v8, 0, v8, v22
	v_or3_b32 v20, v21, 0, 0
	;; [unrolled: 1-line block ×3, first 2 shown]
.LBB389_78:                             ;   in Loop: Header=BB389_30 Depth=1
	s_or_b64 exec, exec, s[4:5]
	v_cmp_gt_u32_e64 s[4:5], 8, v9
	s_and_saveexec_b64 s[6:7], s[4:5]
	s_xor_b64 s[6:7], exec, s[6:7]
	s_cbranch_execz .LBB389_84
; %bb.79:                               ;   in Loop: Header=BB389_30 Depth=1
	v_cmp_ne_u32_e64 s[4:5], 0, v9
	v_pk_mov_b32 v[22:23], 0, 0
	s_and_saveexec_b64 s[14:15], s[4:5]
	s_cbranch_execz .LBB389_83
; %bb.80:                               ;   in Loop: Header=BB389_30 Depth=1
	s_mov_b64 s[16:17], 0
	v_pk_mov_b32 v[22:23], 0, 0
	s_mov_b64 s[18:19], 0
.LBB389_81:                             ;   Parent Loop BB389_30 Depth=1
                                        ; =>  This Inner Loop Header: Depth=2
	buffer_load_ubyte v8, v1, s[0:3], 0 offen
	v_mov_b32_e32 v25, s20
	v_add_u32_e32 v9, -1, v9
	v_cmp_eq_u32_e64 s[4:5], 0, v9
	v_add_u32_e32 v1, 1, v1
	s_waitcnt vmcnt(0)
	v_and_b32_e32 v24, 0xffff, v8
	v_lshlrev_b64 v[24:25], s18, v[24:25]
	s_add_u32 s18, s18, 8
	s_addc_u32 s19, s19, 0
	v_or_b32_e32 v23, v25, v23
	s_or_b64 s[16:17], s[4:5], s[16:17]
	v_or_b32_e32 v22, v24, v22
	s_andn2_b64 exec, exec, s[16:17]
	s_cbranch_execnz .LBB389_81
; %bb.82:                               ;   in Loop: Header=BB389_30 Depth=1
	s_or_b64 exec, exec, s[16:17]
.LBB389_83:                             ;   in Loop: Header=BB389_30 Depth=1
	s_or_b64 exec, exec, s[14:15]
                                        ; implicit-def: $vgpr1
.LBB389_84:                             ;   in Loop: Header=BB389_30 Depth=1
	s_andn2_saveexec_b64 s[4:5], s[6:7]
	s_cbranch_execz .LBB389_86
; %bb.85:                               ;   in Loop: Header=BB389_30 Depth=1
	buffer_load_dword v8, v1, s[0:3], 0 offen offset:4
	s_nop 0
	buffer_load_dword v1, v1, s[0:3], 0 offen
	s_waitcnt vmcnt(1)
	v_and_b32_e32 v9, 0xff, v8
	v_and_b32_e32 v22, 0xff00, v8
	s_waitcnt vmcnt(0)
	v_or3_b32 v1, v1, 0, 0
	v_and_b32_e32 v23, 0xff0000, v8
	v_and_b32_e32 v8, 0xff000000, v8
	v_or3_b32 v9, 0, v9, v22
	v_or3_b32 v23, v9, v23, v8
	;; [unrolled: 1-line block ×3, first 2 shown]
.LBB389_86:                             ;   in Loop: Header=BB389_30 Depth=1
	s_or_b64 exec, exec, s[4:5]
	v_readfirstlane_b32 s4, v39
	v_cmp_eq_u32_e64 s[4:5], s4, v39
	v_pk_mov_b32 v[8:9], 0, 0
	s_and_saveexec_b64 s[14:15], s[4:5]
	s_cbranch_execz .LBB389_92
; %bb.87:                               ;   in Loop: Header=BB389_30 Depth=1
	global_load_dwordx2 v[26:27], v35, s[10:11] offset:24 glc
	s_waitcnt vmcnt(0)
	buffer_invl2
	buffer_wbinvl1_vol
	global_load_dwordx2 v[8:9], v35, s[10:11] offset:40
	global_load_dwordx2 v[24:25], v35, s[10:11]
	s_waitcnt vmcnt(1)
	v_and_b32_e32 v1, v8, v26
	v_and_b32_e32 v8, v9, v27
	v_mul_lo_u32 v8, v8, 24
	v_mul_hi_u32 v9, v1, 24
	v_mul_lo_u32 v1, v1, 24
	v_add_u32_e32 v9, v9, v8
	s_waitcnt vmcnt(0)
	v_add_co_u32_e64 v8, s[6:7], v24, v1
	v_addc_co_u32_e64 v9, s[6:7], v25, v9, s[6:7]
	global_load_dwordx2 v[24:25], v[8:9], off glc
	s_waitcnt vmcnt(0)
	global_atomic_cmpswap_x2 v[8:9], v35, v[24:27], s[10:11] offset:24 glc
	s_waitcnt vmcnt(0)
	buffer_invl2
	buffer_wbinvl1_vol
	v_cmp_ne_u64_e64 s[6:7], v[8:9], v[26:27]
	s_and_saveexec_b64 s[16:17], s[6:7]
	s_cbranch_execz .LBB389_91
; %bb.88:                               ;   in Loop: Header=BB389_30 Depth=1
	s_mov_b64 s[18:19], 0
.LBB389_89:                             ;   Parent Loop BB389_30 Depth=1
                                        ; =>  This Inner Loop Header: Depth=2
	s_sleep 1
	global_load_dwordx2 v[24:25], v35, s[10:11] offset:40
	global_load_dwordx2 v[36:37], v35, s[10:11]
	v_pk_mov_b32 v[26:27], v[8:9], v[8:9] op_sel:[0,1]
	s_waitcnt vmcnt(1)
	v_and_b32_e32 v8, v24, v26
	s_waitcnt vmcnt(0)
	v_mad_u64_u32 v[8:9], s[6:7], v8, 24, v[36:37]
	v_and_b32_e32 v1, v25, v27
	v_mov_b32_e32 v24, v9
	v_mad_u64_u32 v[24:25], s[6:7], v1, 24, v[24:25]
	v_mov_b32_e32 v9, v24
	global_load_dwordx2 v[24:25], v[8:9], off glc
	s_waitcnt vmcnt(0)
	global_atomic_cmpswap_x2 v[8:9], v35, v[24:27], s[10:11] offset:24 glc
	s_waitcnt vmcnt(0)
	buffer_invl2
	buffer_wbinvl1_vol
	v_cmp_eq_u64_e64 s[6:7], v[8:9], v[26:27]
	s_or_b64 s[18:19], s[6:7], s[18:19]
	s_andn2_b64 exec, exec, s[18:19]
	s_cbranch_execnz .LBB389_89
; %bb.90:                               ;   in Loop: Header=BB389_30 Depth=1
	s_or_b64 exec, exec, s[18:19]
.LBB389_91:                             ;   in Loop: Header=BB389_30 Depth=1
	s_or_b64 exec, exec, s[16:17]
.LBB389_92:                             ;   in Loop: Header=BB389_30 Depth=1
	s_or_b64 exec, exec, s[14:15]
	global_load_dwordx2 v[36:37], v35, s[10:11] offset:40
	global_load_dwordx4 v[24:27], v35, s[10:11]
	v_readfirstlane_b32 s14, v8
	v_readfirstlane_b32 s15, v9
	s_mov_b64 s[16:17], exec
	s_waitcnt vmcnt(1)
	v_readfirstlane_b32 s6, v36
	v_readfirstlane_b32 s7, v37
	s_and_b64 s[18:19], s[14:15], s[6:7]
	s_mul_i32 s6, s19, 24
	s_mul_hi_u32 s7, s18, 24
	s_mul_i32 s22, s18, 24
	s_add_i32 s6, s7, s6
	v_mov_b32_e32 v1, s6
	s_waitcnt vmcnt(0)
	v_add_co_u32_e64 v36, s[6:7], s22, v24
	v_addc_co_u32_e64 v37, s[6:7], v25, v1, s[6:7]
	s_and_saveexec_b64 s[6:7], s[4:5]
	s_cbranch_execz .LBB389_94
; %bb.93:                               ;   in Loop: Header=BB389_30 Depth=1
	v_pk_mov_b32 v[8:9], s[16:17], s[16:17] op_sel:[0,1]
	global_store_dwordx4 v[36:37], v[8:11], off offset:8
.LBB389_94:                             ;   in Loop: Header=BB389_30 Depth=1
	s_or_b64 exec, exec, s[6:7]
	s_lshl_b64 s[6:7], s[18:19], 12
	v_cndmask_b32_e32 v9, 0, v29, vcc
	v_mov_b32_e32 v1, s7
	v_add_co_u32_e32 v8, vcc, s6, v26
	v_addc_co_u32_e32 v1, vcc, v27, v1, vcc
	v_or_b32_e32 v26, 0, v3
	v_cmp_lt_u64_e32 vcc, 56, v[28:29]
	v_or_b32_e32 v27, v2, v32
	v_cndmask_b32_e32 v3, v26, v3, vcc
	v_lshl_add_u32 v26, v40, 2, 28
	v_cndmask_b32_e32 v2, v27, v2, vcc
	v_and_b32_e32 v26, 0x1e0, v26
	v_and_or_b32 v2, v2, s21, v26
	v_readfirstlane_b32 s6, v8
	v_readfirstlane_b32 s7, v1
	s_nop 4
	global_store_dwordx4 v38, v[2:5], s[6:7]
	global_store_dwordx4 v38, v[12:15], s[6:7] offset:16
	global_store_dwordx4 v38, v[16:19], s[6:7] offset:32
	;; [unrolled: 1-line block ×3, first 2 shown]
	s_and_saveexec_b64 s[6:7], s[4:5]
	s_cbranch_execz .LBB389_102
; %bb.95:                               ;   in Loop: Header=BB389_30 Depth=1
	global_load_dwordx2 v[16:17], v35, s[10:11] offset:32 glc
	global_load_dwordx2 v[2:3], v35, s[10:11] offset:40
	v_mov_b32_e32 v14, s14
	v_mov_b32_e32 v15, s15
	s_waitcnt vmcnt(0)
	v_readfirstlane_b32 s16, v2
	v_readfirstlane_b32 s17, v3
	s_and_b64 s[16:17], s[16:17], s[14:15]
	s_mul_i32 s17, s17, 24
	s_mul_hi_u32 s18, s16, 24
	s_mul_i32 s16, s16, 24
	s_add_i32 s17, s18, s17
	v_mov_b32_e32 v2, s17
	v_add_co_u32_e32 v12, vcc, s16, v24
	v_addc_co_u32_e32 v13, vcc, v25, v2, vcc
	global_store_dwordx2 v[12:13], v[16:17], off
	buffer_wbl2
	s_waitcnt vmcnt(0)
	global_atomic_cmpswap_x2 v[4:5], v35, v[14:17], s[10:11] offset:32 glc
	s_waitcnt vmcnt(0)
	v_cmp_ne_u64_e32 vcc, v[4:5], v[16:17]
	s_and_saveexec_b64 s[16:17], vcc
	s_cbranch_execz .LBB389_98
; %bb.96:                               ;   in Loop: Header=BB389_30 Depth=1
	s_mov_b64 s[18:19], 0
.LBB389_97:                             ;   Parent Loop BB389_30 Depth=1
                                        ; =>  This Inner Loop Header: Depth=2
	s_sleep 1
	global_store_dwordx2 v[12:13], v[4:5], off
	v_mov_b32_e32 v2, s14
	v_mov_b32_e32 v3, s15
	buffer_wbl2
	s_waitcnt vmcnt(0)
	global_atomic_cmpswap_x2 v[2:3], v35, v[2:5], s[10:11] offset:32 glc
	s_waitcnt vmcnt(0)
	v_cmp_eq_u64_e32 vcc, v[2:3], v[4:5]
	s_or_b64 s[18:19], vcc, s[18:19]
	v_pk_mov_b32 v[4:5], v[2:3], v[2:3] op_sel:[0,1]
	s_andn2_b64 exec, exec, s[18:19]
	s_cbranch_execnz .LBB389_97
.LBB389_98:                             ;   in Loop: Header=BB389_30 Depth=1
	s_or_b64 exec, exec, s[16:17]
	global_load_dwordx2 v[2:3], v35, s[10:11] offset:16
	s_mov_b64 s[18:19], exec
	v_mbcnt_lo_u32_b32 v4, s18, 0
	v_mbcnt_hi_u32_b32 v4, s19, v4
	v_cmp_eq_u32_e32 vcc, 0, v4
	s_and_saveexec_b64 s[16:17], vcc
	s_cbranch_execz .LBB389_100
; %bb.99:                               ;   in Loop: Header=BB389_30 Depth=1
	s_bcnt1_i32_b64 s18, s[18:19]
	v_mov_b32_e32 v34, s18
	buffer_wbl2
	s_waitcnt vmcnt(0)
	global_atomic_add_x2 v[2:3], v[34:35], off offset:8
.LBB389_100:                            ;   in Loop: Header=BB389_30 Depth=1
	s_or_b64 exec, exec, s[16:17]
	s_waitcnt vmcnt(0)
	global_load_dwordx2 v[4:5], v[2:3], off offset:16
	s_waitcnt vmcnt(0)
	v_cmp_eq_u64_e32 vcc, 0, v[4:5]
	s_cbranch_vccnz .LBB389_102
; %bb.101:                              ;   in Loop: Header=BB389_30 Depth=1
	global_load_dword v34, v[2:3], off offset:24
	s_waitcnt vmcnt(0)
	v_and_b32_e32 v2, 0xffffff, v34
	v_readfirstlane_b32 m0, v2
	buffer_wbl2
	global_store_dwordx2 v[4:5], v[34:35], off
	s_sendmsg sendmsg(MSG_INTERRUPT)
.LBB389_102:                            ;   in Loop: Header=BB389_30 Depth=1
	s_or_b64 exec, exec, s[6:7]
	v_add_co_u32_e32 v2, vcc, v8, v38
	v_addc_co_u32_e32 v3, vcc, 0, v1, vcc
	s_branch .LBB389_106
.LBB389_103:                            ;   in Loop: Header=BB389_106 Depth=2
	s_or_b64 exec, exec, s[6:7]
	v_readfirstlane_b32 s6, v1
	s_cmp_eq_u32 s6, 0
	s_cbranch_scc1 .LBB389_105
; %bb.104:                              ;   in Loop: Header=BB389_106 Depth=2
	s_sleep 1
	s_cbranch_execnz .LBB389_106
	s_branch .LBB389_108
.LBB389_105:                            ;   in Loop: Header=BB389_30 Depth=1
	s_branch .LBB389_108
.LBB389_106:                            ;   Parent Loop BB389_30 Depth=1
                                        ; =>  This Inner Loop Header: Depth=2
	v_mov_b32_e32 v1, 1
	s_and_saveexec_b64 s[6:7], s[4:5]
	s_cbranch_execz .LBB389_103
; %bb.107:                              ;   in Loop: Header=BB389_106 Depth=2
	global_load_dword v1, v[36:37], off offset:20 glc
	s_waitcnt vmcnt(0)
	buffer_invl2
	buffer_wbinvl1_vol
	v_and_b32_e32 v1, 1, v1
	s_branch .LBB389_103
.LBB389_108:                            ;   in Loop: Header=BB389_30 Depth=1
	global_load_dwordx4 v[2:5], v[2:3], off
	s_and_saveexec_b64 s[6:7], s[4:5]
	s_cbranch_execz .LBB389_29
; %bb.109:                              ;   in Loop: Header=BB389_30 Depth=1
	global_load_dwordx2 v[4:5], v35, s[10:11] offset:40
	global_load_dwordx2 v[16:17], v35, s[10:11] offset:24 glc
	global_load_dwordx2 v[18:19], v35, s[10:11]
	v_mov_b32_e32 v1, s15
	s_waitcnt vmcnt(2)
	v_add_co_u32_e32 v8, vcc, 1, v4
	v_addc_co_u32_e32 v15, vcc, 0, v5, vcc
	v_add_co_u32_e32 v12, vcc, s14, v8
	v_addc_co_u32_e32 v13, vcc, v15, v1, vcc
	v_cmp_eq_u64_e32 vcc, 0, v[12:13]
	v_cndmask_b32_e32 v13, v13, v15, vcc
	v_cndmask_b32_e32 v12, v12, v8, vcc
	v_and_b32_e32 v1, v13, v5
	v_and_b32_e32 v4, v12, v4
	v_mul_lo_u32 v1, v1, 24
	v_mul_hi_u32 v5, v4, 24
	v_mul_lo_u32 v4, v4, 24
	v_add_u32_e32 v1, v5, v1
	s_waitcnt vmcnt(0)
	v_add_co_u32_e32 v4, vcc, v18, v4
	v_addc_co_u32_e32 v5, vcc, v19, v1, vcc
	v_mov_b32_e32 v14, v16
	global_store_dwordx2 v[4:5], v[16:17], off
	v_mov_b32_e32 v15, v17
	buffer_wbl2
	s_waitcnt vmcnt(0)
	global_atomic_cmpswap_x2 v[14:15], v35, v[12:15], s[10:11] offset:24 glc
	s_waitcnt vmcnt(0)
	v_cmp_ne_u64_e32 vcc, v[14:15], v[16:17]
	s_and_b64 exec, exec, vcc
	s_cbranch_execz .LBB389_29
; %bb.110:                              ;   in Loop: Header=BB389_30 Depth=1
	s_mov_b64 s[4:5], 0
.LBB389_111:                            ;   Parent Loop BB389_30 Depth=1
                                        ; =>  This Inner Loop Header: Depth=2
	s_sleep 1
	global_store_dwordx2 v[4:5], v[14:15], off
	buffer_wbl2
	s_waitcnt vmcnt(0)
	global_atomic_cmpswap_x2 v[16:17], v35, v[12:15], s[10:11] offset:24 glc
	s_waitcnt vmcnt(0)
	v_cmp_eq_u64_e32 vcc, v[16:17], v[14:15]
	s_or_b64 s[4:5], vcc, s[4:5]
	v_pk_mov_b32 v[14:15], v[16:17], v[16:17] op_sel:[0,1]
	s_andn2_b64 exec, exec, s[4:5]
	s_cbranch_execnz .LBB389_111
	s_branch .LBB389_29
.LBB389_112:
                                        ; implicit-def: $vgpr2_vgpr3
	s_cbranch_execnz .LBB389_114
	s_branch .LBB389_140
.LBB389_113:
	s_or_b64 exec, exec, s[12:13]
	s_branch .LBB389_140
.LBB389_114:
	v_readfirstlane_b32 s4, v39
	v_cmp_eq_u32_e64 s[4:5], s4, v39
	v_pk_mov_b32 v[10:11], 0, 0
	s_and_saveexec_b64 s[6:7], s[4:5]
	s_cbranch_execz .LBB389_120
; %bb.115:
	v_mov_b32_e32 v1, 0
	global_load_dwordx2 v[4:5], v1, s[10:11] offset:24 glc
	s_waitcnt vmcnt(0)
	buffer_invl2
	buffer_wbinvl1_vol
	global_load_dwordx2 v[2:3], v1, s[10:11] offset:40
	global_load_dwordx2 v[8:9], v1, s[10:11]
	s_waitcnt vmcnt(1)
	v_and_b32_e32 v2, v2, v4
	v_and_b32_e32 v3, v3, v5
	v_mul_lo_u32 v3, v3, 24
	v_mul_hi_u32 v10, v2, 24
	v_mul_lo_u32 v2, v2, 24
	v_add_u32_e32 v3, v10, v3
	s_waitcnt vmcnt(0)
	v_add_co_u32_e32 v2, vcc, v8, v2
	v_addc_co_u32_e32 v3, vcc, v9, v3, vcc
	global_load_dwordx2 v[2:3], v[2:3], off glc
	s_waitcnt vmcnt(0)
	global_atomic_cmpswap_x2 v[10:11], v1, v[2:5], s[10:11] offset:24 glc
	s_waitcnt vmcnt(0)
	buffer_invl2
	buffer_wbinvl1_vol
	v_cmp_ne_u64_e32 vcc, v[10:11], v[4:5]
	s_and_saveexec_b64 s[12:13], vcc
	s_cbranch_execz .LBB389_119
; %bb.116:
	s_mov_b64 s[14:15], 0
.LBB389_117:                            ; =>This Inner Loop Header: Depth=1
	s_sleep 1
	global_load_dwordx2 v[2:3], v1, s[10:11] offset:40
	global_load_dwordx2 v[8:9], v1, s[10:11]
	v_pk_mov_b32 v[4:5], v[10:11], v[10:11] op_sel:[0,1]
	s_waitcnt vmcnt(1)
	v_and_b32_e32 v2, v2, v4
	v_and_b32_e32 v10, v3, v5
	s_waitcnt vmcnt(0)
	v_mad_u64_u32 v[2:3], s[16:17], v2, 24, v[8:9]
	v_mov_b32_e32 v8, v3
	v_mad_u64_u32 v[8:9], s[16:17], v10, 24, v[8:9]
	v_mov_b32_e32 v3, v8
	global_load_dwordx2 v[2:3], v[2:3], off glc
	s_waitcnt vmcnt(0)
	global_atomic_cmpswap_x2 v[10:11], v1, v[2:5], s[10:11] offset:24 glc
	s_waitcnt vmcnt(0)
	buffer_invl2
	buffer_wbinvl1_vol
	v_cmp_eq_u64_e32 vcc, v[10:11], v[4:5]
	s_or_b64 s[14:15], vcc, s[14:15]
	s_andn2_b64 exec, exec, s[14:15]
	s_cbranch_execnz .LBB389_117
; %bb.118:
	s_or_b64 exec, exec, s[14:15]
.LBB389_119:
	s_or_b64 exec, exec, s[12:13]
.LBB389_120:
	s_or_b64 exec, exec, s[6:7]
	v_mov_b32_e32 v8, 0
	global_load_dwordx2 v[12:13], v8, s[10:11] offset:40
	global_load_dwordx4 v[2:5], v8, s[10:11]
	v_readfirstlane_b32 s6, v10
	v_readfirstlane_b32 s7, v11
	s_mov_b64 s[12:13], exec
	s_waitcnt vmcnt(1)
	v_readfirstlane_b32 s14, v12
	v_readfirstlane_b32 s15, v13
	s_and_b64 s[14:15], s[6:7], s[14:15]
	s_mul_i32 s16, s15, 24
	s_mul_hi_u32 s17, s14, 24
	s_mul_i32 s18, s14, 24
	s_add_i32 s16, s17, s16
	v_mov_b32_e32 v1, s16
	s_waitcnt vmcnt(0)
	v_add_co_u32_e32 v10, vcc, s18, v2
	v_addc_co_u32_e32 v11, vcc, v3, v1, vcc
	s_and_saveexec_b64 s[16:17], s[4:5]
	s_cbranch_execz .LBB389_122
; %bb.121:
	v_pk_mov_b32 v[12:13], s[12:13], s[12:13] op_sel:[0,1]
	v_mov_b32_e32 v14, 2
	v_mov_b32_e32 v15, 1
	global_store_dwordx4 v[10:11], v[12:15], off offset:8
.LBB389_122:
	s_or_b64 exec, exec, s[16:17]
	s_lshl_b64 s[12:13], s[14:15], 12
	v_mov_b32_e32 v1, s13
	v_add_co_u32_e32 v4, vcc, s12, v4
	s_movk_i32 s12, 0xff1f
	v_addc_co_u32_e32 v1, vcc, v5, v1, vcc
	v_and_or_b32 v6, v6, s12, 32
	s_mov_b32 s12, 0
	v_mov_b32_e32 v9, v8
	v_readfirstlane_b32 s16, v4
	v_readfirstlane_b32 s17, v1
	s_mov_b32 s13, s12
	v_add_co_u32_e32 v12, vcc, v4, v38
	s_mov_b32 s14, s12
	s_mov_b32 s15, s12
	s_nop 0
	global_store_dwordx4 v38, v[6:9], s[16:17]
	v_pk_mov_b32 v[4:5], s[12:13], s[12:13] op_sel:[0,1]
	v_addc_co_u32_e32 v13, vcc, 0, v1, vcc
	v_pk_mov_b32 v[6:7], s[14:15], s[14:15] op_sel:[0,1]
	global_store_dwordx4 v38, v[4:7], s[16:17] offset:16
	global_store_dwordx4 v38, v[4:7], s[16:17] offset:32
	;; [unrolled: 1-line block ×3, first 2 shown]
	s_and_saveexec_b64 s[12:13], s[4:5]
	s_cbranch_execz .LBB389_130
; %bb.123:
	v_mov_b32_e32 v1, 0
	global_load_dwordx2 v[16:17], v1, s[10:11] offset:32 glc
	global_load_dwordx2 v[4:5], v1, s[10:11] offset:40
	v_mov_b32_e32 v14, s6
	v_mov_b32_e32 v15, s7
	s_waitcnt vmcnt(0)
	v_readfirstlane_b32 s14, v4
	v_readfirstlane_b32 s15, v5
	s_and_b64 s[14:15], s[14:15], s[6:7]
	s_mul_i32 s15, s15, 24
	s_mul_hi_u32 s16, s14, 24
	s_mul_i32 s14, s14, 24
	s_add_i32 s15, s16, s15
	v_mov_b32_e32 v4, s15
	v_add_co_u32_e32 v6, vcc, s14, v2
	v_addc_co_u32_e32 v7, vcc, v3, v4, vcc
	global_store_dwordx2 v[6:7], v[16:17], off
	buffer_wbl2
	s_waitcnt vmcnt(0)
	global_atomic_cmpswap_x2 v[4:5], v1, v[14:17], s[10:11] offset:32 glc
	s_waitcnt vmcnt(0)
	v_cmp_ne_u64_e32 vcc, v[4:5], v[16:17]
	s_and_saveexec_b64 s[14:15], vcc
	s_cbranch_execz .LBB389_126
; %bb.124:
	s_mov_b64 s[16:17], 0
.LBB389_125:                            ; =>This Inner Loop Header: Depth=1
	s_sleep 1
	global_store_dwordx2 v[6:7], v[4:5], off
	v_mov_b32_e32 v2, s6
	v_mov_b32_e32 v3, s7
	buffer_wbl2
	s_waitcnt vmcnt(0)
	global_atomic_cmpswap_x2 v[2:3], v1, v[2:5], s[10:11] offset:32 glc
	s_waitcnt vmcnt(0)
	v_cmp_eq_u64_e32 vcc, v[2:3], v[4:5]
	s_or_b64 s[16:17], vcc, s[16:17]
	v_pk_mov_b32 v[4:5], v[2:3], v[2:3] op_sel:[0,1]
	s_andn2_b64 exec, exec, s[16:17]
	s_cbranch_execnz .LBB389_125
.LBB389_126:
	s_or_b64 exec, exec, s[14:15]
	v_mov_b32_e32 v5, 0
	global_load_dwordx2 v[2:3], v5, s[10:11] offset:16
	s_mov_b64 s[14:15], exec
	v_mbcnt_lo_u32_b32 v1, s14, 0
	v_mbcnt_hi_u32_b32 v1, s15, v1
	v_cmp_eq_u32_e32 vcc, 0, v1
	s_and_saveexec_b64 s[16:17], vcc
	s_cbranch_execz .LBB389_128
; %bb.127:
	s_bcnt1_i32_b64 s14, s[14:15]
	v_mov_b32_e32 v4, s14
	buffer_wbl2
	s_waitcnt vmcnt(0)
	global_atomic_add_x2 v[2:3], v[4:5], off offset:8
.LBB389_128:
	s_or_b64 exec, exec, s[16:17]
	s_waitcnt vmcnt(0)
	global_load_dwordx2 v[4:5], v[2:3], off offset:16
	s_waitcnt vmcnt(0)
	v_cmp_eq_u64_e32 vcc, 0, v[4:5]
	s_cbranch_vccnz .LBB389_130
; %bb.129:
	global_load_dword v2, v[2:3], off offset:24
	v_mov_b32_e32 v3, 0
	s_waitcnt vmcnt(0)
	v_and_b32_e32 v1, 0xffffff, v2
	v_readfirstlane_b32 m0, v1
	buffer_wbl2
	global_store_dwordx2 v[4:5], v[2:3], off
	s_sendmsg sendmsg(MSG_INTERRUPT)
.LBB389_130:
	s_or_b64 exec, exec, s[12:13]
	s_branch .LBB389_134
.LBB389_131:                            ;   in Loop: Header=BB389_134 Depth=1
	s_or_b64 exec, exec, s[12:13]
	v_readfirstlane_b32 s12, v1
	s_cmp_eq_u32 s12, 0
	s_cbranch_scc1 .LBB389_133
; %bb.132:                              ;   in Loop: Header=BB389_134 Depth=1
	s_sleep 1
	s_cbranch_execnz .LBB389_134
	s_branch .LBB389_136
.LBB389_133:
	s_branch .LBB389_136
.LBB389_134:                            ; =>This Inner Loop Header: Depth=1
	v_mov_b32_e32 v1, 1
	s_and_saveexec_b64 s[12:13], s[4:5]
	s_cbranch_execz .LBB389_131
; %bb.135:                              ;   in Loop: Header=BB389_134 Depth=1
	global_load_dword v1, v[10:11], off offset:20 glc
	s_waitcnt vmcnt(0)
	buffer_invl2
	buffer_wbinvl1_vol
	v_and_b32_e32 v1, 1, v1
	s_branch .LBB389_131
.LBB389_136:
	global_load_dwordx2 v[2:3], v[12:13], off
	s_and_saveexec_b64 s[12:13], s[4:5]
	s_cbranch_execz .LBB389_139
; %bb.137:
	v_mov_b32_e32 v1, 0
	global_load_dwordx2 v[8:9], v1, s[10:11] offset:40
	global_load_dwordx2 v[10:11], v1, s[10:11] offset:24 glc
	global_load_dwordx2 v[12:13], v1, s[10:11]
	v_mov_b32_e32 v5, s7
	s_mov_b64 s[4:5], 0
	s_waitcnt vmcnt(2)
	v_add_co_u32_e32 v7, vcc, 1, v8
	v_addc_co_u32_e32 v14, vcc, 0, v9, vcc
	v_add_co_u32_e32 v4, vcc, s6, v7
	v_addc_co_u32_e32 v5, vcc, v14, v5, vcc
	v_cmp_eq_u64_e32 vcc, 0, v[4:5]
	v_cndmask_b32_e32 v5, v5, v14, vcc
	v_cndmask_b32_e32 v4, v4, v7, vcc
	v_and_b32_e32 v7, v5, v9
	v_and_b32_e32 v8, v4, v8
	v_mul_lo_u32 v7, v7, 24
	v_mul_hi_u32 v9, v8, 24
	v_mul_lo_u32 v8, v8, 24
	v_add_u32_e32 v7, v9, v7
	s_waitcnt vmcnt(0)
	v_add_co_u32_e32 v8, vcc, v12, v8
	v_addc_co_u32_e32 v9, vcc, v13, v7, vcc
	v_mov_b32_e32 v6, v10
	global_store_dwordx2 v[8:9], v[10:11], off
	v_mov_b32_e32 v7, v11
	buffer_wbl2
	s_waitcnt vmcnt(0)
	global_atomic_cmpswap_x2 v[6:7], v1, v[4:7], s[10:11] offset:24 glc
	s_waitcnt vmcnt(0)
	v_cmp_ne_u64_e32 vcc, v[6:7], v[10:11]
	s_and_b64 exec, exec, vcc
	s_cbranch_execz .LBB389_139
.LBB389_138:                            ; =>This Inner Loop Header: Depth=1
	s_sleep 1
	global_store_dwordx2 v[8:9], v[6:7], off
	buffer_wbl2
	s_waitcnt vmcnt(0)
	global_atomic_cmpswap_x2 v[10:11], v1, v[4:7], s[10:11] offset:24 glc
	s_waitcnt vmcnt(0)
	v_cmp_eq_u64_e32 vcc, v[10:11], v[6:7]
	s_or_b64 s[4:5], vcc, s[4:5]
	v_pk_mov_b32 v[6:7], v[10:11], v[10:11] op_sel:[0,1]
	s_andn2_b64 exec, exec, s[4:5]
	s_cbranch_execnz .LBB389_138
.LBB389_139:
	s_or_b64 exec, exec, s[12:13]
.LBB389_140:
	s_getpc_b64 s[6:7]
	s_add_u32 s6, s6, .str.2@rel32@lo+4
	s_addc_u32 s7, s7, .str.2@rel32@hi+12
	s_cmp_lg_u64 s[6:7], 0
	s_cbranch_scc0 .LBB389_224
; %bb.141:
	s_getpc_b64 s[4:5]
	s_add_u32 s4, s4, .str.2@rel32@lo+79
	s_addc_u32 s5, s5, .str.2@rel32@hi+87
	s_sub_i32 s12, s4, s6
	s_ashr_i32 s13, s12, 31
	s_waitcnt vmcnt(0)
	v_and_b32_e32 v32, 2, v2
	v_mov_b32_e32 v35, 0
	v_and_b32_e32 v4, -3, v2
	v_mov_b32_e32 v5, v3
	v_mov_b32_e32 v8, 2
	;; [unrolled: 1-line block ×3, first 2 shown]
	s_branch .LBB389_143
.LBB389_142:                            ;   in Loop: Header=BB389_143 Depth=1
	s_or_b64 exec, exec, s[18:19]
	s_sub_u32 s12, s12, s14
	s_subb_u32 s13, s13, s15
	s_add_u32 s6, s6, s14
	s_addc_u32 s7, s7, s15
	s_cmp_lg_u64 s[12:13], 0
	s_cbranch_scc0 .LBB389_225
.LBB389_143:                            ; =>This Loop Header: Depth=1
                                        ;     Child Loop BB389_146 Depth 2
                                        ;     Child Loop BB389_153 Depth 2
	;; [unrolled: 1-line block ×11, first 2 shown]
	v_cmp_lt_u64_e64 s[4:5], s[12:13], 56
	s_and_b64 s[4:5], s[4:5], exec
	v_cmp_gt_u64_e64 s[4:5], s[12:13], 7
	s_cselect_b32 s15, s13, 0
	s_cselect_b32 s14, s12, 56
	s_and_b64 vcc, exec, s[4:5]
	s_cbranch_vccnz .LBB389_148
; %bb.144:                              ;   in Loop: Header=BB389_143 Depth=1
	s_mov_b64 s[4:5], 0
	s_cmp_eq_u64 s[12:13], 0
	v_pk_mov_b32 v[12:13], 0, 0
	s_cbranch_scc1 .LBB389_147
; %bb.145:                              ;   in Loop: Header=BB389_143 Depth=1
	s_lshl_b64 s[16:17], s[14:15], 3
	s_mov_b64 s[18:19], 0
	v_pk_mov_b32 v[12:13], 0, 0
	s_mov_b64 s[20:21], s[6:7]
.LBB389_146:                            ;   Parent Loop BB389_143 Depth=1
                                        ; =>  This Inner Loop Header: Depth=2
	global_load_ubyte v1, v35, s[20:21]
	s_waitcnt vmcnt(0)
	v_and_b32_e32 v34, 0xffff, v1
	v_lshlrev_b64 v[6:7], s18, v[34:35]
	s_add_u32 s18, s18, 8
	s_addc_u32 s19, s19, 0
	s_add_u32 s20, s20, 1
	s_addc_u32 s21, s21, 0
	v_or_b32_e32 v12, v6, v12
	s_cmp_lg_u32 s16, s18
	v_or_b32_e32 v13, v7, v13
	s_cbranch_scc1 .LBB389_146
.LBB389_147:                            ;   in Loop: Header=BB389_143 Depth=1
	s_mov_b32 s20, 0
	s_andn2_b64 vcc, exec, s[4:5]
	s_mov_b64 s[4:5], s[6:7]
	s_cbranch_vccz .LBB389_149
	s_branch .LBB389_150
.LBB389_148:                            ;   in Loop: Header=BB389_143 Depth=1
                                        ; implicit-def: $vgpr12_vgpr13
                                        ; implicit-def: $sgpr20
	s_mov_b64 s[4:5], s[6:7]
.LBB389_149:                            ;   in Loop: Header=BB389_143 Depth=1
	global_load_dwordx2 v[12:13], v35, s[6:7]
	s_add_i32 s20, s14, -8
	s_add_u32 s4, s6, 8
	s_addc_u32 s5, s7, 0
.LBB389_150:                            ;   in Loop: Header=BB389_143 Depth=1
	s_cmp_gt_u32 s20, 7
	s_cbranch_scc1 .LBB389_154
; %bb.151:                              ;   in Loop: Header=BB389_143 Depth=1
	s_cmp_eq_u32 s20, 0
	s_cbranch_scc1 .LBB389_155
; %bb.152:                              ;   in Loop: Header=BB389_143 Depth=1
	s_mov_b64 s[16:17], 0
	v_pk_mov_b32 v[14:15], 0, 0
	s_mov_b64 s[18:19], 0
.LBB389_153:                            ;   Parent Loop BB389_143 Depth=1
                                        ; =>  This Inner Loop Header: Depth=2
	s_add_u32 s22, s4, s18
	s_addc_u32 s23, s5, s19
	global_load_ubyte v1, v35, s[22:23]
	s_add_u32 s18, s18, 1
	s_addc_u32 s19, s19, 0
	s_waitcnt vmcnt(0)
	v_and_b32_e32 v34, 0xffff, v1
	v_lshlrev_b64 v[6:7], s16, v[34:35]
	s_add_u32 s16, s16, 8
	s_addc_u32 s17, s17, 0
	v_or_b32_e32 v14, v6, v14
	s_cmp_lg_u32 s20, s18
	v_or_b32_e32 v15, v7, v15
	s_cbranch_scc1 .LBB389_153
	s_branch .LBB389_156
.LBB389_154:                            ;   in Loop: Header=BB389_143 Depth=1
                                        ; implicit-def: $vgpr14_vgpr15
                                        ; implicit-def: $sgpr21
	s_branch .LBB389_157
.LBB389_155:                            ;   in Loop: Header=BB389_143 Depth=1
	v_pk_mov_b32 v[14:15], 0, 0
.LBB389_156:                            ;   in Loop: Header=BB389_143 Depth=1
	s_mov_b32 s21, 0
	s_cbranch_execnz .LBB389_158
.LBB389_157:                            ;   in Loop: Header=BB389_143 Depth=1
	global_load_dwordx2 v[14:15], v35, s[4:5]
	s_add_i32 s21, s20, -8
	s_add_u32 s4, s4, 8
	s_addc_u32 s5, s5, 0
.LBB389_158:                            ;   in Loop: Header=BB389_143 Depth=1
	s_cmp_gt_u32 s21, 7
	s_cbranch_scc1 .LBB389_162
; %bb.159:                              ;   in Loop: Header=BB389_143 Depth=1
	s_cmp_eq_u32 s21, 0
	s_cbranch_scc1 .LBB389_163
; %bb.160:                              ;   in Loop: Header=BB389_143 Depth=1
	s_mov_b64 s[16:17], 0
	v_pk_mov_b32 v[16:17], 0, 0
	s_mov_b64 s[18:19], 0
.LBB389_161:                            ;   Parent Loop BB389_143 Depth=1
                                        ; =>  This Inner Loop Header: Depth=2
	s_add_u32 s22, s4, s18
	s_addc_u32 s23, s5, s19
	global_load_ubyte v1, v35, s[22:23]
	s_add_u32 s18, s18, 1
	s_addc_u32 s19, s19, 0
	s_waitcnt vmcnt(0)
	v_and_b32_e32 v34, 0xffff, v1
	v_lshlrev_b64 v[6:7], s16, v[34:35]
	s_add_u32 s16, s16, 8
	s_addc_u32 s17, s17, 0
	v_or_b32_e32 v16, v6, v16
	s_cmp_lg_u32 s21, s18
	v_or_b32_e32 v17, v7, v17
	s_cbranch_scc1 .LBB389_161
	s_branch .LBB389_164
.LBB389_162:                            ;   in Loop: Header=BB389_143 Depth=1
                                        ; implicit-def: $sgpr20
	s_branch .LBB389_165
.LBB389_163:                            ;   in Loop: Header=BB389_143 Depth=1
	v_pk_mov_b32 v[16:17], 0, 0
.LBB389_164:                            ;   in Loop: Header=BB389_143 Depth=1
	s_mov_b32 s20, 0
	s_cbranch_execnz .LBB389_166
.LBB389_165:                            ;   in Loop: Header=BB389_143 Depth=1
	global_load_dwordx2 v[16:17], v35, s[4:5]
	s_add_i32 s20, s21, -8
	s_add_u32 s4, s4, 8
	s_addc_u32 s5, s5, 0
.LBB389_166:                            ;   in Loop: Header=BB389_143 Depth=1
	s_cmp_gt_u32 s20, 7
	s_cbranch_scc1 .LBB389_170
; %bb.167:                              ;   in Loop: Header=BB389_143 Depth=1
	s_cmp_eq_u32 s20, 0
	s_cbranch_scc1 .LBB389_171
; %bb.168:                              ;   in Loop: Header=BB389_143 Depth=1
	s_mov_b64 s[16:17], 0
	v_pk_mov_b32 v[18:19], 0, 0
	s_mov_b64 s[18:19], 0
.LBB389_169:                            ;   Parent Loop BB389_143 Depth=1
                                        ; =>  This Inner Loop Header: Depth=2
	s_add_u32 s22, s4, s18
	s_addc_u32 s23, s5, s19
	global_load_ubyte v1, v35, s[22:23]
	s_add_u32 s18, s18, 1
	s_addc_u32 s19, s19, 0
	s_waitcnt vmcnt(0)
	v_and_b32_e32 v34, 0xffff, v1
	v_lshlrev_b64 v[6:7], s16, v[34:35]
	s_add_u32 s16, s16, 8
	s_addc_u32 s17, s17, 0
	v_or_b32_e32 v18, v6, v18
	s_cmp_lg_u32 s20, s18
	v_or_b32_e32 v19, v7, v19
	s_cbranch_scc1 .LBB389_169
	s_branch .LBB389_172
.LBB389_170:                            ;   in Loop: Header=BB389_143 Depth=1
                                        ; implicit-def: $vgpr18_vgpr19
                                        ; implicit-def: $sgpr21
	s_branch .LBB389_173
.LBB389_171:                            ;   in Loop: Header=BB389_143 Depth=1
	v_pk_mov_b32 v[18:19], 0, 0
.LBB389_172:                            ;   in Loop: Header=BB389_143 Depth=1
	s_mov_b32 s21, 0
	s_cbranch_execnz .LBB389_174
.LBB389_173:                            ;   in Loop: Header=BB389_143 Depth=1
	global_load_dwordx2 v[18:19], v35, s[4:5]
	s_add_i32 s21, s20, -8
	s_add_u32 s4, s4, 8
	s_addc_u32 s5, s5, 0
.LBB389_174:                            ;   in Loop: Header=BB389_143 Depth=1
	s_cmp_gt_u32 s21, 7
	s_cbranch_scc1 .LBB389_178
; %bb.175:                              ;   in Loop: Header=BB389_143 Depth=1
	s_cmp_eq_u32 s21, 0
	s_cbranch_scc1 .LBB389_179
; %bb.176:                              ;   in Loop: Header=BB389_143 Depth=1
	s_mov_b64 s[16:17], 0
	v_pk_mov_b32 v[20:21], 0, 0
	s_mov_b64 s[18:19], 0
.LBB389_177:                            ;   Parent Loop BB389_143 Depth=1
                                        ; =>  This Inner Loop Header: Depth=2
	s_add_u32 s22, s4, s18
	s_addc_u32 s23, s5, s19
	global_load_ubyte v1, v35, s[22:23]
	s_add_u32 s18, s18, 1
	s_addc_u32 s19, s19, 0
	s_waitcnt vmcnt(0)
	v_and_b32_e32 v34, 0xffff, v1
	v_lshlrev_b64 v[6:7], s16, v[34:35]
	s_add_u32 s16, s16, 8
	s_addc_u32 s17, s17, 0
	v_or_b32_e32 v20, v6, v20
	s_cmp_lg_u32 s21, s18
	v_or_b32_e32 v21, v7, v21
	s_cbranch_scc1 .LBB389_177
	s_branch .LBB389_180
.LBB389_178:                            ;   in Loop: Header=BB389_143 Depth=1
                                        ; implicit-def: $sgpr20
	s_branch .LBB389_181
.LBB389_179:                            ;   in Loop: Header=BB389_143 Depth=1
	v_pk_mov_b32 v[20:21], 0, 0
.LBB389_180:                            ;   in Loop: Header=BB389_143 Depth=1
	s_mov_b32 s20, 0
	s_cbranch_execnz .LBB389_182
.LBB389_181:                            ;   in Loop: Header=BB389_143 Depth=1
	global_load_dwordx2 v[20:21], v35, s[4:5]
	s_add_i32 s20, s21, -8
	s_add_u32 s4, s4, 8
	s_addc_u32 s5, s5, 0
.LBB389_182:                            ;   in Loop: Header=BB389_143 Depth=1
	s_cmp_gt_u32 s20, 7
	s_cbranch_scc1 .LBB389_186
; %bb.183:                              ;   in Loop: Header=BB389_143 Depth=1
	s_cmp_eq_u32 s20, 0
	s_cbranch_scc1 .LBB389_187
; %bb.184:                              ;   in Loop: Header=BB389_143 Depth=1
	s_mov_b64 s[16:17], 0
	v_pk_mov_b32 v[22:23], 0, 0
	s_mov_b64 s[18:19], 0
.LBB389_185:                            ;   Parent Loop BB389_143 Depth=1
                                        ; =>  This Inner Loop Header: Depth=2
	s_add_u32 s22, s4, s18
	s_addc_u32 s23, s5, s19
	global_load_ubyte v1, v35, s[22:23]
	s_add_u32 s18, s18, 1
	s_addc_u32 s19, s19, 0
	s_waitcnt vmcnt(0)
	v_and_b32_e32 v34, 0xffff, v1
	v_lshlrev_b64 v[6:7], s16, v[34:35]
	s_add_u32 s16, s16, 8
	s_addc_u32 s17, s17, 0
	v_or_b32_e32 v22, v6, v22
	s_cmp_lg_u32 s20, s18
	v_or_b32_e32 v23, v7, v23
	s_cbranch_scc1 .LBB389_185
	s_branch .LBB389_188
.LBB389_186:                            ;   in Loop: Header=BB389_143 Depth=1
                                        ; implicit-def: $vgpr22_vgpr23
                                        ; implicit-def: $sgpr21
	s_branch .LBB389_189
.LBB389_187:                            ;   in Loop: Header=BB389_143 Depth=1
	v_pk_mov_b32 v[22:23], 0, 0
.LBB389_188:                            ;   in Loop: Header=BB389_143 Depth=1
	s_mov_b32 s21, 0
	s_cbranch_execnz .LBB389_190
.LBB389_189:                            ;   in Loop: Header=BB389_143 Depth=1
	global_load_dwordx2 v[22:23], v35, s[4:5]
	s_add_i32 s21, s20, -8
	s_add_u32 s4, s4, 8
	s_addc_u32 s5, s5, 0
.LBB389_190:                            ;   in Loop: Header=BB389_143 Depth=1
	s_cmp_gt_u32 s21, 7
	s_cbranch_scc1 .LBB389_194
; %bb.191:                              ;   in Loop: Header=BB389_143 Depth=1
	s_cmp_eq_u32 s21, 0
	s_cbranch_scc1 .LBB389_195
; %bb.192:                              ;   in Loop: Header=BB389_143 Depth=1
	s_mov_b64 s[16:17], 0
	v_pk_mov_b32 v[24:25], 0, 0
	s_mov_b64 s[18:19], s[4:5]
.LBB389_193:                            ;   Parent Loop BB389_143 Depth=1
                                        ; =>  This Inner Loop Header: Depth=2
	global_load_ubyte v1, v35, s[18:19]
	s_add_i32 s21, s21, -1
	s_waitcnt vmcnt(0)
	v_and_b32_e32 v34, 0xffff, v1
	v_lshlrev_b64 v[6:7], s16, v[34:35]
	s_add_u32 s16, s16, 8
	s_addc_u32 s17, s17, 0
	s_add_u32 s18, s18, 1
	s_addc_u32 s19, s19, 0
	v_or_b32_e32 v24, v6, v24
	s_cmp_lg_u32 s21, 0
	v_or_b32_e32 v25, v7, v25
	s_cbranch_scc1 .LBB389_193
	s_branch .LBB389_196
.LBB389_194:                            ;   in Loop: Header=BB389_143 Depth=1
	s_branch .LBB389_197
.LBB389_195:                            ;   in Loop: Header=BB389_143 Depth=1
	v_pk_mov_b32 v[24:25], 0, 0
.LBB389_196:                            ;   in Loop: Header=BB389_143 Depth=1
	s_cbranch_execnz .LBB389_198
.LBB389_197:                            ;   in Loop: Header=BB389_143 Depth=1
	global_load_dwordx2 v[24:25], v35, s[4:5]
.LBB389_198:                            ;   in Loop: Header=BB389_143 Depth=1
	v_readfirstlane_b32 s4, v39
	v_cmp_eq_u32_e64 s[4:5], s4, v39
	s_waitcnt vmcnt(0)
	v_pk_mov_b32 v[6:7], 0, 0
	s_and_saveexec_b64 s[16:17], s[4:5]
	s_cbranch_execz .LBB389_204
; %bb.199:                              ;   in Loop: Header=BB389_143 Depth=1
	global_load_dwordx2 v[28:29], v35, s[10:11] offset:24 glc
	s_waitcnt vmcnt(0)
	buffer_invl2
	buffer_wbinvl1_vol
	global_load_dwordx2 v[6:7], v35, s[10:11] offset:40
	global_load_dwordx2 v[10:11], v35, s[10:11]
	s_waitcnt vmcnt(1)
	v_and_b32_e32 v1, v6, v28
	v_and_b32_e32 v6, v7, v29
	v_mul_lo_u32 v6, v6, 24
	v_mul_hi_u32 v7, v1, 24
	v_mul_lo_u32 v1, v1, 24
	v_add_u32_e32 v7, v7, v6
	s_waitcnt vmcnt(0)
	v_add_co_u32_e32 v6, vcc, v10, v1
	v_addc_co_u32_e32 v7, vcc, v11, v7, vcc
	global_load_dwordx2 v[26:27], v[6:7], off glc
	s_waitcnt vmcnt(0)
	global_atomic_cmpswap_x2 v[6:7], v35, v[26:29], s[10:11] offset:24 glc
	s_waitcnt vmcnt(0)
	buffer_invl2
	buffer_wbinvl1_vol
	v_cmp_ne_u64_e32 vcc, v[6:7], v[28:29]
	s_and_saveexec_b64 s[18:19], vcc
	s_cbranch_execz .LBB389_203
; %bb.200:                              ;   in Loop: Header=BB389_143 Depth=1
	s_mov_b64 s[20:21], 0
.LBB389_201:                            ;   Parent Loop BB389_143 Depth=1
                                        ; =>  This Inner Loop Header: Depth=2
	s_sleep 1
	global_load_dwordx2 v[10:11], v35, s[10:11] offset:40
	global_load_dwordx2 v[26:27], v35, s[10:11]
	v_pk_mov_b32 v[28:29], v[6:7], v[6:7] op_sel:[0,1]
	s_waitcnt vmcnt(1)
	v_and_b32_e32 v6, v10, v28
	s_waitcnt vmcnt(0)
	v_mad_u64_u32 v[6:7], s[22:23], v6, 24, v[26:27]
	v_and_b32_e32 v1, v11, v29
	v_mov_b32_e32 v10, v7
	v_mad_u64_u32 v[10:11], s[22:23], v1, 24, v[10:11]
	v_mov_b32_e32 v7, v10
	global_load_dwordx2 v[26:27], v[6:7], off glc
	s_waitcnt vmcnt(0)
	global_atomic_cmpswap_x2 v[6:7], v35, v[26:29], s[10:11] offset:24 glc
	s_waitcnt vmcnt(0)
	buffer_invl2
	buffer_wbinvl1_vol
	v_cmp_eq_u64_e32 vcc, v[6:7], v[28:29]
	s_or_b64 s[20:21], vcc, s[20:21]
	s_andn2_b64 exec, exec, s[20:21]
	s_cbranch_execnz .LBB389_201
; %bb.202:                              ;   in Loop: Header=BB389_143 Depth=1
	s_or_b64 exec, exec, s[20:21]
.LBB389_203:                            ;   in Loop: Header=BB389_143 Depth=1
	s_or_b64 exec, exec, s[18:19]
.LBB389_204:                            ;   in Loop: Header=BB389_143 Depth=1
	s_or_b64 exec, exec, s[16:17]
	global_load_dwordx2 v[10:11], v35, s[10:11] offset:40
	global_load_dwordx4 v[26:29], v35, s[10:11]
	v_readfirstlane_b32 s16, v6
	v_readfirstlane_b32 s17, v7
	s_mov_b64 s[18:19], exec
	s_waitcnt vmcnt(1)
	v_readfirstlane_b32 s20, v10
	v_readfirstlane_b32 s21, v11
	s_and_b64 s[20:21], s[16:17], s[20:21]
	s_mul_i32 s22, s21, 24
	s_mul_hi_u32 s23, s20, 24
	s_mul_i32 s24, s20, 24
	s_add_i32 s22, s23, s22
	v_mov_b32_e32 v1, s22
	s_waitcnt vmcnt(0)
	v_add_co_u32_e32 v36, vcc, s24, v26
	v_addc_co_u32_e32 v37, vcc, v27, v1, vcc
	s_and_saveexec_b64 s[22:23], s[4:5]
	s_cbranch_execz .LBB389_206
; %bb.205:                              ;   in Loop: Header=BB389_143 Depth=1
	v_pk_mov_b32 v[6:7], s[18:19], s[18:19] op_sel:[0,1]
	global_store_dwordx4 v[36:37], v[6:9], off offset:8
.LBB389_206:                            ;   in Loop: Header=BB389_143 Depth=1
	s_or_b64 exec, exec, s[22:23]
	s_lshl_b64 s[18:19], s[20:21], 12
	v_mov_b32_e32 v1, s19
	v_add_co_u32_e32 v28, vcc, s18, v28
	v_addc_co_u32_e32 v1, vcc, v29, v1, vcc
	v_or_b32_e32 v7, v4, v32
	v_cmp_gt_u64_e64 vcc, s[12:13], 56
	s_lshl_b32 s18, s14, 2
	v_cndmask_b32_e32 v4, v7, v4, vcc
	s_add_i32 s18, s18, 28
	v_or_b32_e32 v6, 0, v5
	s_and_b32 s18, s18, 0x1e0
	v_and_b32_e32 v4, 0xffffff1f, v4
	v_cndmask_b32_e32 v11, v6, v5, vcc
	v_or_b32_e32 v10, s18, v4
	v_readfirstlane_b32 s18, v28
	v_readfirstlane_b32 s19, v1
	s_nop 4
	global_store_dwordx4 v38, v[10:13], s[18:19]
	global_store_dwordx4 v38, v[14:17], s[18:19] offset:16
	global_store_dwordx4 v38, v[18:21], s[18:19] offset:32
	;; [unrolled: 1-line block ×3, first 2 shown]
	s_and_saveexec_b64 s[18:19], s[4:5]
	s_cbranch_execz .LBB389_214
; %bb.207:                              ;   in Loop: Header=BB389_143 Depth=1
	global_load_dwordx2 v[14:15], v35, s[10:11] offset:32 glc
	global_load_dwordx2 v[4:5], v35, s[10:11] offset:40
	v_mov_b32_e32 v12, s16
	v_mov_b32_e32 v13, s17
	s_waitcnt vmcnt(0)
	v_readfirstlane_b32 s20, v4
	v_readfirstlane_b32 s21, v5
	s_and_b64 s[20:21], s[20:21], s[16:17]
	s_mul_i32 s21, s21, 24
	s_mul_hi_u32 s22, s20, 24
	s_mul_i32 s20, s20, 24
	s_add_i32 s21, s22, s21
	v_mov_b32_e32 v4, s21
	v_add_co_u32_e32 v10, vcc, s20, v26
	v_addc_co_u32_e32 v11, vcc, v27, v4, vcc
	global_store_dwordx2 v[10:11], v[14:15], off
	buffer_wbl2
	s_waitcnt vmcnt(0)
	global_atomic_cmpswap_x2 v[6:7], v35, v[12:15], s[10:11] offset:32 glc
	s_waitcnt vmcnt(0)
	v_cmp_ne_u64_e32 vcc, v[6:7], v[14:15]
	s_and_saveexec_b64 s[20:21], vcc
	s_cbranch_execz .LBB389_210
; %bb.208:                              ;   in Loop: Header=BB389_143 Depth=1
	s_mov_b64 s[22:23], 0
.LBB389_209:                            ;   Parent Loop BB389_143 Depth=1
                                        ; =>  This Inner Loop Header: Depth=2
	s_sleep 1
	global_store_dwordx2 v[10:11], v[6:7], off
	v_mov_b32_e32 v4, s16
	v_mov_b32_e32 v5, s17
	buffer_wbl2
	s_waitcnt vmcnt(0)
	global_atomic_cmpswap_x2 v[4:5], v35, v[4:7], s[10:11] offset:32 glc
	s_waitcnt vmcnt(0)
	v_cmp_eq_u64_e32 vcc, v[4:5], v[6:7]
	s_or_b64 s[22:23], vcc, s[22:23]
	v_pk_mov_b32 v[6:7], v[4:5], v[4:5] op_sel:[0,1]
	s_andn2_b64 exec, exec, s[22:23]
	s_cbranch_execnz .LBB389_209
.LBB389_210:                            ;   in Loop: Header=BB389_143 Depth=1
	s_or_b64 exec, exec, s[20:21]
	global_load_dwordx2 v[4:5], v35, s[10:11] offset:16
	s_mov_b64 s[22:23], exec
	v_mbcnt_lo_u32_b32 v6, s22, 0
	v_mbcnt_hi_u32_b32 v6, s23, v6
	v_cmp_eq_u32_e32 vcc, 0, v6
	s_and_saveexec_b64 s[20:21], vcc
	s_cbranch_execz .LBB389_212
; %bb.211:                              ;   in Loop: Header=BB389_143 Depth=1
	s_bcnt1_i32_b64 s22, s[22:23]
	v_mov_b32_e32 v34, s22
	buffer_wbl2
	s_waitcnt vmcnt(0)
	global_atomic_add_x2 v[4:5], v[34:35], off offset:8
.LBB389_212:                            ;   in Loop: Header=BB389_143 Depth=1
	s_or_b64 exec, exec, s[20:21]
	s_waitcnt vmcnt(0)
	global_load_dwordx2 v[6:7], v[4:5], off offset:16
	s_waitcnt vmcnt(0)
	v_cmp_eq_u64_e32 vcc, 0, v[6:7]
	s_cbranch_vccnz .LBB389_214
; %bb.213:                              ;   in Loop: Header=BB389_143 Depth=1
	global_load_dword v34, v[4:5], off offset:24
	s_waitcnt vmcnt(0)
	v_and_b32_e32 v4, 0xffffff, v34
	v_readfirstlane_b32 m0, v4
	buffer_wbl2
	global_store_dwordx2 v[6:7], v[34:35], off
	s_sendmsg sendmsg(MSG_INTERRUPT)
.LBB389_214:                            ;   in Loop: Header=BB389_143 Depth=1
	s_or_b64 exec, exec, s[18:19]
	v_add_co_u32_e32 v4, vcc, v28, v38
	v_addc_co_u32_e32 v5, vcc, 0, v1, vcc
	s_branch .LBB389_218
.LBB389_215:                            ;   in Loop: Header=BB389_218 Depth=2
	s_or_b64 exec, exec, s[18:19]
	v_readfirstlane_b32 s18, v1
	s_cmp_eq_u32 s18, 0
	s_cbranch_scc1 .LBB389_217
; %bb.216:                              ;   in Loop: Header=BB389_218 Depth=2
	s_sleep 1
	s_cbranch_execnz .LBB389_218
	s_branch .LBB389_220
.LBB389_217:                            ;   in Loop: Header=BB389_143 Depth=1
	s_branch .LBB389_220
.LBB389_218:                            ;   Parent Loop BB389_143 Depth=1
                                        ; =>  This Inner Loop Header: Depth=2
	v_mov_b32_e32 v1, 1
	s_and_saveexec_b64 s[18:19], s[4:5]
	s_cbranch_execz .LBB389_215
; %bb.219:                              ;   in Loop: Header=BB389_218 Depth=2
	global_load_dword v1, v[36:37], off offset:20 glc
	s_waitcnt vmcnt(0)
	buffer_invl2
	buffer_wbinvl1_vol
	v_and_b32_e32 v1, 1, v1
	s_branch .LBB389_215
.LBB389_220:                            ;   in Loop: Header=BB389_143 Depth=1
	global_load_dwordx4 v[4:7], v[4:5], off
	s_and_saveexec_b64 s[18:19], s[4:5]
	s_cbranch_execz .LBB389_142
; %bb.221:                              ;   in Loop: Header=BB389_143 Depth=1
	global_load_dwordx2 v[6:7], v35, s[10:11] offset:40
	global_load_dwordx2 v[14:15], v35, s[10:11] offset:24 glc
	global_load_dwordx2 v[16:17], v35, s[10:11]
	v_mov_b32_e32 v1, s17
	s_waitcnt vmcnt(2)
	v_add_co_u32_e32 v13, vcc, 1, v6
	v_addc_co_u32_e32 v18, vcc, 0, v7, vcc
	v_add_co_u32_e32 v10, vcc, s16, v13
	v_addc_co_u32_e32 v11, vcc, v18, v1, vcc
	v_cmp_eq_u64_e32 vcc, 0, v[10:11]
	v_cndmask_b32_e32 v11, v11, v18, vcc
	v_cndmask_b32_e32 v10, v10, v13, vcc
	v_and_b32_e32 v1, v11, v7
	v_and_b32_e32 v6, v10, v6
	v_mul_lo_u32 v1, v1, 24
	v_mul_hi_u32 v7, v6, 24
	v_mul_lo_u32 v6, v6, 24
	v_add_u32_e32 v1, v7, v1
	s_waitcnt vmcnt(0)
	v_add_co_u32_e32 v6, vcc, v16, v6
	v_addc_co_u32_e32 v7, vcc, v17, v1, vcc
	v_mov_b32_e32 v12, v14
	global_store_dwordx2 v[6:7], v[14:15], off
	v_mov_b32_e32 v13, v15
	buffer_wbl2
	s_waitcnt vmcnt(0)
	global_atomic_cmpswap_x2 v[12:13], v35, v[10:13], s[10:11] offset:24 glc
	s_waitcnt vmcnt(0)
	v_cmp_ne_u64_e32 vcc, v[12:13], v[14:15]
	s_and_b64 exec, exec, vcc
	s_cbranch_execz .LBB389_142
; %bb.222:                              ;   in Loop: Header=BB389_143 Depth=1
	s_mov_b64 s[4:5], 0
.LBB389_223:                            ;   Parent Loop BB389_143 Depth=1
                                        ; =>  This Inner Loop Header: Depth=2
	s_sleep 1
	global_store_dwordx2 v[6:7], v[12:13], off
	buffer_wbl2
	s_waitcnt vmcnt(0)
	global_atomic_cmpswap_x2 v[14:15], v35, v[10:13], s[10:11] offset:24 glc
	s_waitcnt vmcnt(0)
	v_cmp_eq_u64_e32 vcc, v[14:15], v[12:13]
	s_or_b64 s[4:5], vcc, s[4:5]
	v_pk_mov_b32 v[12:13], v[14:15], v[14:15] op_sel:[0,1]
	s_andn2_b64 exec, exec, s[4:5]
	s_cbranch_execnz .LBB389_223
	s_branch .LBB389_142
.LBB389_224:
                                        ; implicit-def: $vgpr4_vgpr5
	s_cbranch_execnz .LBB389_226
	s_branch .LBB389_252
.LBB389_225:
	s_branch .LBB389_252
.LBB389_226:
	v_readfirstlane_b32 s4, v39
	v_cmp_eq_u32_e64 s[4:5], s4, v39
	v_pk_mov_b32 v[10:11], 0, 0
	s_and_saveexec_b64 s[6:7], s[4:5]
	s_cbranch_execz .LBB389_232
; %bb.227:
	v_mov_b32_e32 v1, 0
	global_load_dwordx2 v[6:7], v1, s[10:11] offset:24 glc
	s_waitcnt vmcnt(0)
	buffer_invl2
	buffer_wbinvl1_vol
	global_load_dwordx2 v[4:5], v1, s[10:11] offset:40
	global_load_dwordx2 v[8:9], v1, s[10:11]
	s_waitcnt vmcnt(1)
	v_and_b32_e32 v4, v4, v6
	v_and_b32_e32 v5, v5, v7
	v_mul_lo_u32 v5, v5, 24
	v_mul_hi_u32 v10, v4, 24
	v_mul_lo_u32 v4, v4, 24
	v_add_u32_e32 v5, v10, v5
	s_waitcnt vmcnt(0)
	v_add_co_u32_e32 v4, vcc, v8, v4
	v_addc_co_u32_e32 v5, vcc, v9, v5, vcc
	global_load_dwordx2 v[4:5], v[4:5], off glc
	s_waitcnt vmcnt(0)
	global_atomic_cmpswap_x2 v[10:11], v1, v[4:7], s[10:11] offset:24 glc
	s_waitcnt vmcnt(0)
	buffer_invl2
	buffer_wbinvl1_vol
	v_cmp_ne_u64_e32 vcc, v[10:11], v[6:7]
	s_and_saveexec_b64 s[12:13], vcc
	s_cbranch_execz .LBB389_231
; %bb.228:
	s_mov_b64 s[14:15], 0
.LBB389_229:                            ; =>This Inner Loop Header: Depth=1
	s_sleep 1
	global_load_dwordx2 v[4:5], v1, s[10:11] offset:40
	global_load_dwordx2 v[8:9], v1, s[10:11]
	v_pk_mov_b32 v[6:7], v[10:11], v[10:11] op_sel:[0,1]
	s_waitcnt vmcnt(1)
	v_and_b32_e32 v4, v4, v6
	v_and_b32_e32 v10, v5, v7
	s_waitcnt vmcnt(0)
	v_mad_u64_u32 v[4:5], s[16:17], v4, 24, v[8:9]
	v_mov_b32_e32 v8, v5
	v_mad_u64_u32 v[8:9], s[16:17], v10, 24, v[8:9]
	v_mov_b32_e32 v5, v8
	global_load_dwordx2 v[4:5], v[4:5], off glc
	s_waitcnt vmcnt(0)
	global_atomic_cmpswap_x2 v[10:11], v1, v[4:7], s[10:11] offset:24 glc
	s_waitcnt vmcnt(0)
	buffer_invl2
	buffer_wbinvl1_vol
	v_cmp_eq_u64_e32 vcc, v[10:11], v[6:7]
	s_or_b64 s[14:15], vcc, s[14:15]
	s_andn2_b64 exec, exec, s[14:15]
	s_cbranch_execnz .LBB389_229
; %bb.230:
	s_or_b64 exec, exec, s[14:15]
.LBB389_231:
	s_or_b64 exec, exec, s[12:13]
.LBB389_232:
	s_or_b64 exec, exec, s[6:7]
	s_waitcnt vmcnt(0)
	v_mov_b32_e32 v4, 0
	global_load_dwordx2 v[12:13], v4, s[10:11] offset:40
	global_load_dwordx4 v[6:9], v4, s[10:11]
	v_readfirstlane_b32 s6, v10
	v_readfirstlane_b32 s7, v11
	s_mov_b64 s[12:13], exec
	s_waitcnt vmcnt(1)
	v_readfirstlane_b32 s14, v12
	v_readfirstlane_b32 s15, v13
	s_and_b64 s[14:15], s[6:7], s[14:15]
	s_mul_i32 s16, s15, 24
	s_mul_hi_u32 s17, s14, 24
	s_mul_i32 s18, s14, 24
	s_add_i32 s16, s17, s16
	v_mov_b32_e32 v1, s16
	s_waitcnt vmcnt(0)
	v_add_co_u32_e32 v10, vcc, s18, v6
	v_addc_co_u32_e32 v11, vcc, v7, v1, vcc
	s_and_saveexec_b64 s[16:17], s[4:5]
	s_cbranch_execz .LBB389_234
; %bb.233:
	v_pk_mov_b32 v[12:13], s[12:13], s[12:13] op_sel:[0,1]
	v_mov_b32_e32 v14, 2
	v_mov_b32_e32 v15, 1
	global_store_dwordx4 v[10:11], v[12:15], off offset:8
.LBB389_234:
	s_or_b64 exec, exec, s[16:17]
	s_lshl_b64 s[12:13], s[14:15], 12
	v_mov_b32_e32 v1, s13
	v_add_co_u32_e32 v12, vcc, s12, v8
	s_movk_i32 s12, 0xff1f
	v_addc_co_u32_e32 v1, vcc, v9, v1, vcc
	v_and_or_b32 v2, v2, s12, 32
	s_mov_b32 s12, 0
	v_mov_b32_e32 v5, v4
	v_readfirstlane_b32 s16, v12
	v_readfirstlane_b32 s17, v1
	s_mov_b32 s13, s12
	v_add_co_u32_e32 v8, vcc, v12, v38
	s_mov_b32 s14, s12
	s_mov_b32 s15, s12
	s_nop 0
	global_store_dwordx4 v38, v[2:5], s[16:17]
	v_addc_co_u32_e32 v9, vcc, 0, v1, vcc
	v_pk_mov_b32 v[2:3], s[12:13], s[12:13] op_sel:[0,1]
	v_pk_mov_b32 v[4:5], s[14:15], s[14:15] op_sel:[0,1]
	global_store_dwordx4 v38, v[2:5], s[16:17] offset:16
	global_store_dwordx4 v38, v[2:5], s[16:17] offset:32
	;; [unrolled: 1-line block ×3, first 2 shown]
	s_and_saveexec_b64 s[12:13], s[4:5]
	s_cbranch_execz .LBB389_242
; %bb.235:
	v_mov_b32_e32 v1, 0
	global_load_dwordx2 v[14:15], v1, s[10:11] offset:32 glc
	global_load_dwordx2 v[2:3], v1, s[10:11] offset:40
	v_mov_b32_e32 v12, s6
	v_mov_b32_e32 v13, s7
	s_waitcnt vmcnt(0)
	v_readfirstlane_b32 s14, v2
	v_readfirstlane_b32 s15, v3
	s_and_b64 s[14:15], s[14:15], s[6:7]
	s_mul_i32 s15, s15, 24
	s_mul_hi_u32 s16, s14, 24
	s_mul_i32 s14, s14, 24
	s_add_i32 s15, s16, s15
	v_mov_b32_e32 v2, s15
	v_add_co_u32_e32 v6, vcc, s14, v6
	v_addc_co_u32_e32 v7, vcc, v7, v2, vcc
	global_store_dwordx2 v[6:7], v[14:15], off
	buffer_wbl2
	s_waitcnt vmcnt(0)
	global_atomic_cmpswap_x2 v[4:5], v1, v[12:15], s[10:11] offset:32 glc
	s_waitcnt vmcnt(0)
	v_cmp_ne_u64_e32 vcc, v[4:5], v[14:15]
	s_and_saveexec_b64 s[14:15], vcc
	s_cbranch_execz .LBB389_238
; %bb.236:
	s_mov_b64 s[16:17], 0
.LBB389_237:                            ; =>This Inner Loop Header: Depth=1
	s_sleep 1
	global_store_dwordx2 v[6:7], v[4:5], off
	v_mov_b32_e32 v2, s6
	v_mov_b32_e32 v3, s7
	buffer_wbl2
	s_waitcnt vmcnt(0)
	global_atomic_cmpswap_x2 v[2:3], v1, v[2:5], s[10:11] offset:32 glc
	s_waitcnt vmcnt(0)
	v_cmp_eq_u64_e32 vcc, v[2:3], v[4:5]
	s_or_b64 s[16:17], vcc, s[16:17]
	v_pk_mov_b32 v[4:5], v[2:3], v[2:3] op_sel:[0,1]
	s_andn2_b64 exec, exec, s[16:17]
	s_cbranch_execnz .LBB389_237
.LBB389_238:
	s_or_b64 exec, exec, s[14:15]
	v_mov_b32_e32 v5, 0
	global_load_dwordx2 v[2:3], v5, s[10:11] offset:16
	s_mov_b64 s[14:15], exec
	v_mbcnt_lo_u32_b32 v1, s14, 0
	v_mbcnt_hi_u32_b32 v1, s15, v1
	v_cmp_eq_u32_e32 vcc, 0, v1
	s_and_saveexec_b64 s[16:17], vcc
	s_cbranch_execz .LBB389_240
; %bb.239:
	s_bcnt1_i32_b64 s14, s[14:15]
	v_mov_b32_e32 v4, s14
	buffer_wbl2
	s_waitcnt vmcnt(0)
	global_atomic_add_x2 v[2:3], v[4:5], off offset:8
.LBB389_240:
	s_or_b64 exec, exec, s[16:17]
	s_waitcnt vmcnt(0)
	global_load_dwordx2 v[4:5], v[2:3], off offset:16
	s_waitcnt vmcnt(0)
	v_cmp_eq_u64_e32 vcc, 0, v[4:5]
	s_cbranch_vccnz .LBB389_242
; %bb.241:
	global_load_dword v2, v[2:3], off offset:24
	v_mov_b32_e32 v3, 0
	s_waitcnt vmcnt(0)
	v_and_b32_e32 v1, 0xffffff, v2
	v_readfirstlane_b32 m0, v1
	buffer_wbl2
	global_store_dwordx2 v[4:5], v[2:3], off
	s_sendmsg sendmsg(MSG_INTERRUPT)
.LBB389_242:
	s_or_b64 exec, exec, s[12:13]
	s_branch .LBB389_246
.LBB389_243:                            ;   in Loop: Header=BB389_246 Depth=1
	s_or_b64 exec, exec, s[12:13]
	v_readfirstlane_b32 s12, v1
	s_cmp_eq_u32 s12, 0
	s_cbranch_scc1 .LBB389_245
; %bb.244:                              ;   in Loop: Header=BB389_246 Depth=1
	s_sleep 1
	s_cbranch_execnz .LBB389_246
	s_branch .LBB389_248
.LBB389_245:
	s_branch .LBB389_248
.LBB389_246:                            ; =>This Inner Loop Header: Depth=1
	v_mov_b32_e32 v1, 1
	s_and_saveexec_b64 s[12:13], s[4:5]
	s_cbranch_execz .LBB389_243
; %bb.247:                              ;   in Loop: Header=BB389_246 Depth=1
	global_load_dword v1, v[10:11], off offset:20 glc
	s_waitcnt vmcnt(0)
	buffer_invl2
	buffer_wbinvl1_vol
	v_and_b32_e32 v1, 1, v1
	s_branch .LBB389_243
.LBB389_248:
	global_load_dwordx2 v[4:5], v[8:9], off
	s_and_saveexec_b64 s[12:13], s[4:5]
	s_cbranch_execz .LBB389_251
; %bb.249:
	v_mov_b32_e32 v1, 0
	global_load_dwordx2 v[2:3], v1, s[10:11] offset:40
	global_load_dwordx2 v[10:11], v1, s[10:11] offset:24 glc
	global_load_dwordx2 v[12:13], v1, s[10:11]
	v_mov_b32_e32 v7, s7
	s_mov_b64 s[4:5], 0
	s_waitcnt vmcnt(2)
	v_add_co_u32_e32 v9, vcc, 1, v2
	v_addc_co_u32_e32 v14, vcc, 0, v3, vcc
	v_add_co_u32_e32 v6, vcc, s6, v9
	v_addc_co_u32_e32 v7, vcc, v14, v7, vcc
	v_cmp_eq_u64_e32 vcc, 0, v[6:7]
	v_cndmask_b32_e32 v7, v7, v14, vcc
	v_cndmask_b32_e32 v6, v6, v9, vcc
	v_and_b32_e32 v3, v7, v3
	v_and_b32_e32 v2, v6, v2
	v_mul_lo_u32 v3, v3, 24
	v_mul_hi_u32 v9, v2, 24
	v_mul_lo_u32 v2, v2, 24
	v_add_u32_e32 v3, v9, v3
	s_waitcnt vmcnt(0)
	v_add_co_u32_e32 v2, vcc, v12, v2
	v_addc_co_u32_e32 v3, vcc, v13, v3, vcc
	v_mov_b32_e32 v8, v10
	global_store_dwordx2 v[2:3], v[10:11], off
	v_mov_b32_e32 v9, v11
	buffer_wbl2
	s_waitcnt vmcnt(0)
	global_atomic_cmpswap_x2 v[8:9], v1, v[6:9], s[10:11] offset:24 glc
	s_waitcnt vmcnt(0)
	v_cmp_ne_u64_e32 vcc, v[8:9], v[10:11]
	s_and_b64 exec, exec, vcc
	s_cbranch_execz .LBB389_251
.LBB389_250:                            ; =>This Inner Loop Header: Depth=1
	s_sleep 1
	global_store_dwordx2 v[2:3], v[8:9], off
	buffer_wbl2
	s_waitcnt vmcnt(0)
	global_atomic_cmpswap_x2 v[10:11], v1, v[6:9], s[10:11] offset:24 glc
	s_waitcnt vmcnt(0)
	v_cmp_eq_u64_e32 vcc, v[10:11], v[8:9]
	s_or_b64 s[4:5], vcc, s[4:5]
	v_pk_mov_b32 v[8:9], v[10:11], v[10:11] op_sel:[0,1]
	s_andn2_b64 exec, exec, s[4:5]
	s_cbranch_execnz .LBB389_250
.LBB389_251:
	s_or_b64 exec, exec, s[12:13]
.LBB389_252:
	v_readfirstlane_b32 s4, v39
	v_cmp_eq_u32_e64 s[4:5], s4, v39
	s_waitcnt vmcnt(0)
	v_pk_mov_b32 v[2:3], 0, 0
	s_and_saveexec_b64 s[6:7], s[4:5]
	s_cbranch_execz .LBB389_258
; %bb.253:
	v_mov_b32_e32 v1, 0
	global_load_dwordx2 v[8:9], v1, s[10:11] offset:24 glc
	s_waitcnt vmcnt(0)
	buffer_invl2
	buffer_wbinvl1_vol
	global_load_dwordx2 v[2:3], v1, s[10:11] offset:40
	global_load_dwordx2 v[6:7], v1, s[10:11]
	s_waitcnt vmcnt(1)
	v_and_b32_e32 v2, v2, v8
	v_and_b32_e32 v3, v3, v9
	v_mul_lo_u32 v3, v3, 24
	v_mul_hi_u32 v10, v2, 24
	v_mul_lo_u32 v2, v2, 24
	v_add_u32_e32 v3, v10, v3
	s_waitcnt vmcnt(0)
	v_add_co_u32_e32 v2, vcc, v6, v2
	v_addc_co_u32_e32 v3, vcc, v7, v3, vcc
	global_load_dwordx2 v[6:7], v[2:3], off glc
	s_waitcnt vmcnt(0)
	global_atomic_cmpswap_x2 v[2:3], v1, v[6:9], s[10:11] offset:24 glc
	s_waitcnt vmcnt(0)
	buffer_invl2
	buffer_wbinvl1_vol
	v_cmp_ne_u64_e32 vcc, v[2:3], v[8:9]
	s_and_saveexec_b64 s[12:13], vcc
	s_cbranch_execz .LBB389_257
; %bb.254:
	s_mov_b64 s[14:15], 0
.LBB389_255:                            ; =>This Inner Loop Header: Depth=1
	s_sleep 1
	global_load_dwordx2 v[6:7], v1, s[10:11] offset:40
	global_load_dwordx2 v[10:11], v1, s[10:11]
	v_pk_mov_b32 v[8:9], v[2:3], v[2:3] op_sel:[0,1]
	s_waitcnt vmcnt(1)
	v_and_b32_e32 v2, v6, v8
	s_waitcnt vmcnt(0)
	v_mad_u64_u32 v[2:3], s[16:17], v2, 24, v[10:11]
	v_and_b32_e32 v7, v7, v9
	v_mov_b32_e32 v6, v3
	v_mad_u64_u32 v[6:7], s[16:17], v7, 24, v[6:7]
	v_mov_b32_e32 v3, v6
	global_load_dwordx2 v[6:7], v[2:3], off glc
	s_waitcnt vmcnt(0)
	global_atomic_cmpswap_x2 v[2:3], v1, v[6:9], s[10:11] offset:24 glc
	s_waitcnt vmcnt(0)
	buffer_invl2
	buffer_wbinvl1_vol
	v_cmp_eq_u64_e32 vcc, v[2:3], v[8:9]
	s_or_b64 s[14:15], vcc, s[14:15]
	s_andn2_b64 exec, exec, s[14:15]
	s_cbranch_execnz .LBB389_255
; %bb.256:
	s_or_b64 exec, exec, s[14:15]
.LBB389_257:
	s_or_b64 exec, exec, s[12:13]
.LBB389_258:
	s_or_b64 exec, exec, s[6:7]
	v_mov_b32_e32 v7, 0
	global_load_dwordx2 v[12:13], v7, s[10:11] offset:40
	global_load_dwordx4 v[8:11], v7, s[10:11]
	v_readfirstlane_b32 s6, v2
	v_readfirstlane_b32 s7, v3
	s_mov_b64 s[12:13], exec
	s_waitcnt vmcnt(1)
	v_readfirstlane_b32 s14, v12
	v_readfirstlane_b32 s15, v13
	s_and_b64 s[14:15], s[6:7], s[14:15]
	s_mul_i32 s16, s15, 24
	s_mul_hi_u32 s17, s14, 24
	s_mul_i32 s18, s14, 24
	s_add_i32 s16, s17, s16
	v_mov_b32_e32 v1, s16
	s_waitcnt vmcnt(0)
	v_add_co_u32_e32 v12, vcc, s18, v8
	v_addc_co_u32_e32 v13, vcc, v9, v1, vcc
	s_and_saveexec_b64 s[16:17], s[4:5]
	s_cbranch_execz .LBB389_260
; %bb.259:
	v_pk_mov_b32 v[14:15], s[12:13], s[12:13] op_sel:[0,1]
	v_mov_b32_e32 v16, 2
	v_mov_b32_e32 v17, 1
	global_store_dwordx4 v[12:13], v[14:17], off offset:8
.LBB389_260:
	s_or_b64 exec, exec, s[16:17]
	s_lshl_b64 s[12:13], s[14:15], 12
	v_mov_b32_e32 v1, s13
	v_add_co_u32_e32 v2, vcc, s12, v10
	v_addc_co_u32_e32 v1, vcc, v11, v1, vcc
	s_mov_b32 s12, 0
	s_movk_i32 s13, 0xff1f
	v_and_or_b32 v4, v4, s13, 32
	v_add_co_u32_e32 v10, vcc, v2, v38
	s_mov_b32 s13, s12
	v_addc_co_u32_e32 v11, vcc, 0, v1, vcc
	v_mov_b32_e32 v6, v0
	v_readfirstlane_b32 s16, v2
	v_readfirstlane_b32 s17, v1
	s_mov_b32 s14, s12
	s_mov_b32 s15, s12
	v_pk_mov_b32 v[0:1], s[12:13], s[12:13] op_sel:[0,1]
	v_pk_mov_b32 v[2:3], s[14:15], s[14:15] op_sel:[0,1]
	s_nop 0
	global_store_dwordx4 v38, v[4:7], s[16:17]
	global_store_dwordx4 v38, v[0:3], s[16:17] offset:16
	global_store_dwordx4 v38, v[0:3], s[16:17] offset:32
	;; [unrolled: 1-line block ×3, first 2 shown]
	s_and_saveexec_b64 s[12:13], s[4:5]
	s_cbranch_execz .LBB389_268
; %bb.261:
	v_mov_b32_e32 v6, 0
	global_load_dwordx2 v[16:17], v6, s[10:11] offset:32 glc
	global_load_dwordx2 v[0:1], v6, s[10:11] offset:40
	v_mov_b32_e32 v14, s6
	v_mov_b32_e32 v15, s7
	s_waitcnt vmcnt(0)
	v_readfirstlane_b32 s14, v0
	v_readfirstlane_b32 s15, v1
	s_and_b64 s[14:15], s[14:15], s[6:7]
	s_mul_i32 s15, s15, 24
	s_mul_hi_u32 s16, s14, 24
	s_mul_i32 s14, s14, 24
	s_add_i32 s15, s16, s15
	v_mov_b32_e32 v0, s15
	v_add_co_u32_e32 v4, vcc, s14, v8
	v_addc_co_u32_e32 v5, vcc, v9, v0, vcc
	global_store_dwordx2 v[4:5], v[16:17], off
	buffer_wbl2
	s_waitcnt vmcnt(0)
	global_atomic_cmpswap_x2 v[2:3], v6, v[14:17], s[10:11] offset:32 glc
	s_waitcnt vmcnt(0)
	v_cmp_ne_u64_e32 vcc, v[2:3], v[16:17]
	s_and_saveexec_b64 s[14:15], vcc
	s_cbranch_execz .LBB389_264
; %bb.262:
	s_mov_b64 s[16:17], 0
.LBB389_263:                            ; =>This Inner Loop Header: Depth=1
	s_sleep 1
	global_store_dwordx2 v[4:5], v[2:3], off
	v_mov_b32_e32 v0, s6
	v_mov_b32_e32 v1, s7
	buffer_wbl2
	s_waitcnt vmcnt(0)
	global_atomic_cmpswap_x2 v[0:1], v6, v[0:3], s[10:11] offset:32 glc
	s_waitcnt vmcnt(0)
	v_cmp_eq_u64_e32 vcc, v[0:1], v[2:3]
	s_or_b64 s[16:17], vcc, s[16:17]
	v_pk_mov_b32 v[2:3], v[0:1], v[0:1] op_sel:[0,1]
	s_andn2_b64 exec, exec, s[16:17]
	s_cbranch_execnz .LBB389_263
.LBB389_264:
	s_or_b64 exec, exec, s[14:15]
	v_mov_b32_e32 v3, 0
	global_load_dwordx2 v[0:1], v3, s[10:11] offset:16
	s_mov_b64 s[14:15], exec
	v_mbcnt_lo_u32_b32 v2, s14, 0
	v_mbcnt_hi_u32_b32 v2, s15, v2
	v_cmp_eq_u32_e32 vcc, 0, v2
	s_and_saveexec_b64 s[16:17], vcc
	s_cbranch_execz .LBB389_266
; %bb.265:
	s_bcnt1_i32_b64 s14, s[14:15]
	v_mov_b32_e32 v2, s14
	buffer_wbl2
	s_waitcnt vmcnt(0)
	global_atomic_add_x2 v[0:1], v[2:3], off offset:8
.LBB389_266:
	s_or_b64 exec, exec, s[16:17]
	s_waitcnt vmcnt(0)
	global_load_dwordx2 v[2:3], v[0:1], off offset:16
	s_waitcnt vmcnt(0)
	v_cmp_eq_u64_e32 vcc, 0, v[2:3]
	s_cbranch_vccnz .LBB389_268
; %bb.267:
	global_load_dword v0, v[0:1], off offset:24
	v_mov_b32_e32 v1, 0
	buffer_wbl2
	s_waitcnt vmcnt(0)
	global_store_dwordx2 v[2:3], v[0:1], off
	v_and_b32_e32 v0, 0xffffff, v0
	v_readfirstlane_b32 m0, v0
	s_sendmsg sendmsg(MSG_INTERRUPT)
.LBB389_268:
	s_or_b64 exec, exec, s[12:13]
	s_branch .LBB389_272
.LBB389_269:                            ;   in Loop: Header=BB389_272 Depth=1
	s_or_b64 exec, exec, s[12:13]
	v_readfirstlane_b32 s12, v0
	s_cmp_eq_u32 s12, 0
	s_cbranch_scc1 .LBB389_271
; %bb.270:                              ;   in Loop: Header=BB389_272 Depth=1
	s_sleep 1
	s_cbranch_execnz .LBB389_272
	s_branch .LBB389_274
.LBB389_271:
	s_branch .LBB389_274
.LBB389_272:                            ; =>This Inner Loop Header: Depth=1
	v_mov_b32_e32 v0, 1
	s_and_saveexec_b64 s[12:13], s[4:5]
	s_cbranch_execz .LBB389_269
; %bb.273:                              ;   in Loop: Header=BB389_272 Depth=1
	global_load_dword v0, v[12:13], off offset:20 glc
	s_waitcnt vmcnt(0)
	buffer_invl2
	buffer_wbinvl1_vol
	v_and_b32_e32 v0, 1, v0
	s_branch .LBB389_269
.LBB389_274:
	global_load_dwordx2 v[0:1], v[10:11], off
	s_and_saveexec_b64 s[12:13], s[4:5]
	s_cbranch_execz .LBB389_277
; %bb.275:
	v_mov_b32_e32 v8, 0
	global_load_dwordx2 v[6:7], v8, s[10:11] offset:40
	global_load_dwordx2 v[10:11], v8, s[10:11] offset:24 glc
	global_load_dwordx2 v[12:13], v8, s[10:11]
	v_mov_b32_e32 v3, s7
	s_mov_b64 s[4:5], 0
	s_waitcnt vmcnt(2)
	v_add_co_u32_e32 v5, vcc, 1, v6
	v_addc_co_u32_e32 v9, vcc, 0, v7, vcc
	v_add_co_u32_e32 v2, vcc, s6, v5
	v_addc_co_u32_e32 v3, vcc, v9, v3, vcc
	v_cmp_eq_u64_e32 vcc, 0, v[2:3]
	v_cndmask_b32_e32 v3, v3, v9, vcc
	v_cndmask_b32_e32 v2, v2, v5, vcc
	v_and_b32_e32 v5, v3, v7
	v_and_b32_e32 v6, v2, v6
	v_mul_lo_u32 v5, v5, 24
	v_mul_hi_u32 v7, v6, 24
	v_mul_lo_u32 v6, v6, 24
	v_add_u32_e32 v5, v7, v5
	s_waitcnt vmcnt(0)
	v_add_co_u32_e32 v6, vcc, v12, v6
	v_addc_co_u32_e32 v7, vcc, v13, v5, vcc
	v_mov_b32_e32 v4, v10
	global_store_dwordx2 v[6:7], v[10:11], off
	v_mov_b32_e32 v5, v11
	buffer_wbl2
	s_waitcnt vmcnt(0)
	global_atomic_cmpswap_x2 v[4:5], v8, v[2:5], s[10:11] offset:24 glc
	s_waitcnt vmcnt(0)
	v_cmp_ne_u64_e32 vcc, v[4:5], v[10:11]
	s_and_b64 exec, exec, vcc
	s_cbranch_execz .LBB389_277
.LBB389_276:                            ; =>This Inner Loop Header: Depth=1
	s_sleep 1
	global_store_dwordx2 v[6:7], v[4:5], off
	buffer_wbl2
	s_waitcnt vmcnt(0)
	global_atomic_cmpswap_x2 v[10:11], v8, v[2:5], s[10:11] offset:24 glc
	s_waitcnt vmcnt(0)
	v_cmp_eq_u64_e32 vcc, v[10:11], v[4:5]
	s_or_b64 s[4:5], vcc, s[4:5]
	v_pk_mov_b32 v[4:5], v[10:11], v[10:11] op_sel:[0,1]
	s_andn2_b64 exec, exec, s[4:5]
	s_cbranch_execnz .LBB389_276
.LBB389_277:
	s_or_b64 exec, exec, s[12:13]
	s_mov_b64 s[4:5], 0
	v_pk_mov_b32 v[4:5], v[30:31], v[30:31] op_sel:[0,1]
.LBB389_278:                            ; =>This Inner Loop Header: Depth=1
	flat_load_ubyte v6, v[4:5]
	v_add_co_u32_e32 v2, vcc, 1, v4
	v_addc_co_u32_e32 v3, vcc, 0, v5, vcc
	v_pk_mov_b32 v[4:5], v[2:3], v[2:3] op_sel:[0,1]
	s_waitcnt vmcnt(0) lgkmcnt(0)
	v_cmp_eq_u16_e32 vcc, 0, v6
	s_or_b64 s[4:5], vcc, s[4:5]
	s_andn2_b64 exec, exec, s[4:5]
	s_cbranch_execnz .LBB389_278
; %bb.279:
	s_or_b64 exec, exec, s[4:5]
	s_mov_b64 s[6:7], 0
	v_cmp_ne_u64_e32 vcc, 0, v[30:31]
	s_and_saveexec_b64 s[4:5], vcc
	s_xor_b64 s[12:13], exec, s[4:5]
	s_cbranch_execz .LBB389_365
; %bb.280:
	v_sub_u32_e32 v26, v2, v30
	v_ashrrev_i32_e32 v27, 31, v26
	v_and_b32_e32 v28, 2, v0
	v_mov_b32_e32 v33, 0
	v_and_b32_e32 v0, -3, v0
	s_mov_b32 s22, 0
	s_movk_i32 s23, 0xff1f
	v_mov_b32_e32 v4, 2
	v_mov_b32_e32 v5, 1
	s_branch .LBB389_282
.LBB389_281:                            ;   in Loop: Header=BB389_282 Depth=1
	s_or_b64 exec, exec, s[16:17]
	v_sub_co_u32_e32 v26, vcc, v26, v34
	v_subb_co_u32_e32 v27, vcc, v27, v35, vcc
	v_cmp_eq_u64_e32 vcc, 0, v[26:27]
	s_or_b64 s[6:7], vcc, s[6:7]
	v_add_co_u32_e32 v30, vcc, v30, v34
	v_addc_co_u32_e32 v31, vcc, v31, v35, vcc
	s_andn2_b64 exec, exec, s[6:7]
	s_cbranch_execz .LBB389_364
.LBB389_282:                            ; =>This Loop Header: Depth=1
                                        ;     Child Loop BB389_285 Depth 2
                                        ;     Child Loop BB389_293 Depth 2
	;; [unrolled: 1-line block ×11, first 2 shown]
	v_cmp_gt_u64_e32 vcc, 56, v[26:27]
	v_cndmask_b32_e32 v35, 0, v27, vcc
	v_cndmask_b32_e32 v34, 56, v26, vcc
	v_cmp_gt_u64_e32 vcc, 8, v[26:27]
                                        ; implicit-def: $vgpr8_vgpr9
                                        ; implicit-def: $sgpr14
	s_and_saveexec_b64 s[4:5], vcc
	s_xor_b64 s[4:5], exec, s[4:5]
	s_cbranch_execz .LBB389_288
; %bb.283:                              ;   in Loop: Header=BB389_282 Depth=1
	s_mov_b64 s[16:17], 0
	v_cmp_ne_u64_e32 vcc, 0, v[26:27]
	v_pk_mov_b32 v[8:9], 0, 0
	s_and_saveexec_b64 s[14:15], vcc
	s_cbranch_execz .LBB389_287
; %bb.284:                              ;   in Loop: Header=BB389_282 Depth=1
	s_waitcnt vmcnt(0)
	v_lshlrev_b64 v[2:3], 3, v[34:35]
	v_pk_mov_b32 v[8:9], 0, 0
	v_pk_mov_b32 v[6:7], v[30:31], v[30:31] op_sel:[0,1]
	s_mov_b64 s[18:19], 0
.LBB389_285:                            ;   Parent Loop BB389_282 Depth=1
                                        ; =>  This Inner Loop Header: Depth=2
	flat_load_ubyte v3, v[6:7]
	v_mov_b32_e32 v11, s22
	v_add_co_u32_e32 v6, vcc, 1, v6
	v_addc_co_u32_e32 v7, vcc, 0, v7, vcc
	s_waitcnt vmcnt(0) lgkmcnt(0)
	v_and_b32_e32 v10, 0xffff, v3
	v_lshlrev_b64 v[10:11], s18, v[10:11]
	s_add_u32 s18, s18, 8
	s_addc_u32 s19, s19, 0
	v_cmp_eq_u32_e32 vcc, s18, v2
	v_or_b32_e32 v9, v11, v9
	s_or_b64 s[16:17], vcc, s[16:17]
	v_or_b32_e32 v8, v10, v8
	s_andn2_b64 exec, exec, s[16:17]
	s_cbranch_execnz .LBB389_285
; %bb.286:                              ;   in Loop: Header=BB389_282 Depth=1
	s_or_b64 exec, exec, s[16:17]
.LBB389_287:                            ;   in Loop: Header=BB389_282 Depth=1
	s_or_b64 exec, exec, s[14:15]
	s_mov_b32 s14, 0
.LBB389_288:                            ;   in Loop: Header=BB389_282 Depth=1
	s_or_saveexec_b64 s[4:5], s[4:5]
	v_mov_b32_e32 v6, s14
	s_waitcnt vmcnt(0)
	v_pk_mov_b32 v[2:3], v[30:31], v[30:31] op_sel:[0,1]
	s_xor_b64 exec, exec, s[4:5]
	s_cbranch_execz .LBB389_290
; %bb.289:                              ;   in Loop: Header=BB389_282 Depth=1
	flat_load_dwordx2 v[2:3], v[30:31]
	v_add_u32_e32 v6, -8, v34
	s_waitcnt vmcnt(0) lgkmcnt(0)
	v_and_b32_e32 v7, 0xff, v3
	v_and_b32_e32 v9, 0xff00, v3
	;; [unrolled: 1-line block ×4, first 2 shown]
	v_or3_b32 v8, v2, 0, 0
	v_or_b32_e32 v2, v7, v9
	v_or3_b32 v9, v2, v10, v3
	v_add_co_u32_e32 v2, vcc, 8, v30
	v_addc_co_u32_e32 v3, vcc, 0, v31, vcc
.LBB389_290:                            ;   in Loop: Header=BB389_282 Depth=1
	s_or_b64 exec, exec, s[4:5]
	v_cmp_gt_u32_e32 vcc, 8, v6
                                        ; implicit-def: $vgpr10_vgpr11
                                        ; implicit-def: $sgpr14
	s_and_saveexec_b64 s[4:5], vcc
	s_xor_b64 s[4:5], exec, s[4:5]
	s_cbranch_execz .LBB389_296
; %bb.291:                              ;   in Loop: Header=BB389_282 Depth=1
	v_cmp_ne_u32_e32 vcc, 0, v6
	v_pk_mov_b32 v[10:11], 0, 0
	s_and_saveexec_b64 s[14:15], vcc
	s_cbranch_execz .LBB389_295
; %bb.292:                              ;   in Loop: Header=BB389_282 Depth=1
	s_mov_b64 s[16:17], 0
	v_pk_mov_b32 v[10:11], 0, 0
	s_mov_b64 s[18:19], 0
	s_mov_b64 s[20:21], 0
.LBB389_293:                            ;   Parent Loop BB389_282 Depth=1
                                        ; =>  This Inner Loop Header: Depth=2
	v_mov_b32_e32 v7, s21
	v_add_co_u32_e32 v12, vcc, s20, v2
	v_addc_co_u32_e32 v13, vcc, v3, v7, vcc
	flat_load_ubyte v7, v[12:13]
	s_add_u32 s20, s20, 1
	v_mov_b32_e32 v13, s22
	s_addc_u32 s21, s21, 0
	v_cmp_eq_u32_e32 vcc, s20, v6
	s_waitcnt vmcnt(0) lgkmcnt(0)
	v_and_b32_e32 v12, 0xffff, v7
	v_lshlrev_b64 v[12:13], s18, v[12:13]
	s_add_u32 s18, s18, 8
	s_addc_u32 s19, s19, 0
	v_or_b32_e32 v11, v13, v11
	s_or_b64 s[16:17], vcc, s[16:17]
	v_or_b32_e32 v10, v12, v10
	s_andn2_b64 exec, exec, s[16:17]
	s_cbranch_execnz .LBB389_293
; %bb.294:                              ;   in Loop: Header=BB389_282 Depth=1
	s_or_b64 exec, exec, s[16:17]
.LBB389_295:                            ;   in Loop: Header=BB389_282 Depth=1
	s_or_b64 exec, exec, s[14:15]
	s_mov_b32 s14, 0
                                        ; implicit-def: $vgpr6
.LBB389_296:                            ;   in Loop: Header=BB389_282 Depth=1
	s_or_saveexec_b64 s[4:5], s[4:5]
	v_mov_b32_e32 v7, s14
	s_xor_b64 exec, exec, s[4:5]
	s_cbranch_execz .LBB389_298
; %bb.297:                              ;   in Loop: Header=BB389_282 Depth=1
	flat_load_dwordx2 v[10:11], v[2:3]
	v_add_u32_e32 v7, -8, v6
	v_add_co_u32_e32 v2, vcc, 8, v2
	v_addc_co_u32_e32 v3, vcc, 0, v3, vcc
	s_waitcnt vmcnt(0) lgkmcnt(0)
	v_and_b32_e32 v6, 0xff, v11
	v_and_b32_e32 v12, 0xff00, v11
	;; [unrolled: 1-line block ×4, first 2 shown]
	v_or_b32_e32 v6, v6, v12
	v_or3_b32 v10, v10, 0, 0
	v_or3_b32 v11, v6, v13, v11
.LBB389_298:                            ;   in Loop: Header=BB389_282 Depth=1
	s_or_b64 exec, exec, s[4:5]
	v_cmp_gt_u32_e32 vcc, 8, v7
                                        ; implicit-def: $sgpr14
	s_and_saveexec_b64 s[4:5], vcc
	s_xor_b64 s[4:5], exec, s[4:5]
	s_cbranch_execz .LBB389_304
; %bb.299:                              ;   in Loop: Header=BB389_282 Depth=1
	v_cmp_ne_u32_e32 vcc, 0, v7
	v_pk_mov_b32 v[12:13], 0, 0
	s_and_saveexec_b64 s[14:15], vcc
	s_cbranch_execz .LBB389_303
; %bb.300:                              ;   in Loop: Header=BB389_282 Depth=1
	s_mov_b64 s[16:17], 0
	v_pk_mov_b32 v[12:13], 0, 0
	s_mov_b64 s[18:19], 0
	s_mov_b64 s[20:21], 0
.LBB389_301:                            ;   Parent Loop BB389_282 Depth=1
                                        ; =>  This Inner Loop Header: Depth=2
	v_mov_b32_e32 v6, s21
	v_add_co_u32_e32 v14, vcc, s20, v2
	v_addc_co_u32_e32 v15, vcc, v3, v6, vcc
	flat_load_ubyte v6, v[14:15]
	s_add_u32 s20, s20, 1
	v_mov_b32_e32 v15, s22
	s_addc_u32 s21, s21, 0
	v_cmp_eq_u32_e32 vcc, s20, v7
	s_waitcnt vmcnt(0) lgkmcnt(0)
	v_and_b32_e32 v14, 0xffff, v6
	v_lshlrev_b64 v[14:15], s18, v[14:15]
	s_add_u32 s18, s18, 8
	s_addc_u32 s19, s19, 0
	v_or_b32_e32 v13, v15, v13
	s_or_b64 s[16:17], vcc, s[16:17]
	v_or_b32_e32 v12, v14, v12
	s_andn2_b64 exec, exec, s[16:17]
	s_cbranch_execnz .LBB389_301
; %bb.302:                              ;   in Loop: Header=BB389_282 Depth=1
	s_or_b64 exec, exec, s[16:17]
.LBB389_303:                            ;   in Loop: Header=BB389_282 Depth=1
	s_or_b64 exec, exec, s[14:15]
	s_mov_b32 s14, 0
                                        ; implicit-def: $vgpr7
.LBB389_304:                            ;   in Loop: Header=BB389_282 Depth=1
	s_or_saveexec_b64 s[4:5], s[4:5]
	v_mov_b32_e32 v6, s14
	s_xor_b64 exec, exec, s[4:5]
	s_cbranch_execz .LBB389_306
; %bb.305:                              ;   in Loop: Header=BB389_282 Depth=1
	flat_load_dwordx2 v[12:13], v[2:3]
	v_add_u32_e32 v6, -8, v7
	v_add_co_u32_e32 v2, vcc, 8, v2
	v_addc_co_u32_e32 v3, vcc, 0, v3, vcc
	s_waitcnt vmcnt(0) lgkmcnt(0)
	v_and_b32_e32 v7, 0xff, v13
	v_and_b32_e32 v14, 0xff00, v13
	;; [unrolled: 1-line block ×4, first 2 shown]
	v_or_b32_e32 v7, v7, v14
	v_or3_b32 v12, v12, 0, 0
	v_or3_b32 v13, v7, v15, v13
.LBB389_306:                            ;   in Loop: Header=BB389_282 Depth=1
	s_or_b64 exec, exec, s[4:5]
	v_cmp_gt_u32_e32 vcc, 8, v6
                                        ; implicit-def: $vgpr14_vgpr15
                                        ; implicit-def: $sgpr14
	s_and_saveexec_b64 s[4:5], vcc
	s_xor_b64 s[4:5], exec, s[4:5]
	s_cbranch_execz .LBB389_312
; %bb.307:                              ;   in Loop: Header=BB389_282 Depth=1
	v_cmp_ne_u32_e32 vcc, 0, v6
	v_pk_mov_b32 v[14:15], 0, 0
	s_and_saveexec_b64 s[14:15], vcc
	s_cbranch_execz .LBB389_311
; %bb.308:                              ;   in Loop: Header=BB389_282 Depth=1
	s_mov_b64 s[16:17], 0
	v_pk_mov_b32 v[14:15], 0, 0
	s_mov_b64 s[18:19], 0
	s_mov_b64 s[20:21], 0
.LBB389_309:                            ;   Parent Loop BB389_282 Depth=1
                                        ; =>  This Inner Loop Header: Depth=2
	v_mov_b32_e32 v7, s21
	v_add_co_u32_e32 v16, vcc, s20, v2
	v_addc_co_u32_e32 v17, vcc, v3, v7, vcc
	flat_load_ubyte v7, v[16:17]
	s_add_u32 s20, s20, 1
	v_mov_b32_e32 v17, s22
	s_addc_u32 s21, s21, 0
	v_cmp_eq_u32_e32 vcc, s20, v6
	s_waitcnt vmcnt(0) lgkmcnt(0)
	v_and_b32_e32 v16, 0xffff, v7
	v_lshlrev_b64 v[16:17], s18, v[16:17]
	s_add_u32 s18, s18, 8
	s_addc_u32 s19, s19, 0
	v_or_b32_e32 v15, v17, v15
	s_or_b64 s[16:17], vcc, s[16:17]
	v_or_b32_e32 v14, v16, v14
	s_andn2_b64 exec, exec, s[16:17]
	s_cbranch_execnz .LBB389_309
; %bb.310:                              ;   in Loop: Header=BB389_282 Depth=1
	s_or_b64 exec, exec, s[16:17]
.LBB389_311:                            ;   in Loop: Header=BB389_282 Depth=1
	s_or_b64 exec, exec, s[14:15]
	s_mov_b32 s14, 0
                                        ; implicit-def: $vgpr6
.LBB389_312:                            ;   in Loop: Header=BB389_282 Depth=1
	s_or_saveexec_b64 s[4:5], s[4:5]
	v_mov_b32_e32 v7, s14
	s_xor_b64 exec, exec, s[4:5]
	s_cbranch_execz .LBB389_314
; %bb.313:                              ;   in Loop: Header=BB389_282 Depth=1
	flat_load_dwordx2 v[14:15], v[2:3]
	v_add_u32_e32 v7, -8, v6
	v_add_co_u32_e32 v2, vcc, 8, v2
	v_addc_co_u32_e32 v3, vcc, 0, v3, vcc
	s_waitcnt vmcnt(0) lgkmcnt(0)
	v_and_b32_e32 v6, 0xff, v15
	v_and_b32_e32 v16, 0xff00, v15
	;; [unrolled: 1-line block ×4, first 2 shown]
	v_or_b32_e32 v6, v6, v16
	v_or3_b32 v14, v14, 0, 0
	v_or3_b32 v15, v6, v17, v15
.LBB389_314:                            ;   in Loop: Header=BB389_282 Depth=1
	s_or_b64 exec, exec, s[4:5]
	v_cmp_gt_u32_e32 vcc, 8, v7
                                        ; implicit-def: $sgpr14
	s_and_saveexec_b64 s[4:5], vcc
	s_xor_b64 s[4:5], exec, s[4:5]
	s_cbranch_execz .LBB389_320
; %bb.315:                              ;   in Loop: Header=BB389_282 Depth=1
	v_cmp_ne_u32_e32 vcc, 0, v7
	v_pk_mov_b32 v[16:17], 0, 0
	s_and_saveexec_b64 s[14:15], vcc
	s_cbranch_execz .LBB389_319
; %bb.316:                              ;   in Loop: Header=BB389_282 Depth=1
	s_mov_b64 s[16:17], 0
	v_pk_mov_b32 v[16:17], 0, 0
	s_mov_b64 s[18:19], 0
	s_mov_b64 s[20:21], 0
.LBB389_317:                            ;   Parent Loop BB389_282 Depth=1
                                        ; =>  This Inner Loop Header: Depth=2
	v_mov_b32_e32 v6, s21
	v_add_co_u32_e32 v18, vcc, s20, v2
	v_addc_co_u32_e32 v19, vcc, v3, v6, vcc
	flat_load_ubyte v6, v[18:19]
	s_add_u32 s20, s20, 1
	v_mov_b32_e32 v19, s22
	s_addc_u32 s21, s21, 0
	v_cmp_eq_u32_e32 vcc, s20, v7
	s_waitcnt vmcnt(0) lgkmcnt(0)
	v_and_b32_e32 v18, 0xffff, v6
	v_lshlrev_b64 v[18:19], s18, v[18:19]
	s_add_u32 s18, s18, 8
	s_addc_u32 s19, s19, 0
	v_or_b32_e32 v17, v19, v17
	s_or_b64 s[16:17], vcc, s[16:17]
	v_or_b32_e32 v16, v18, v16
	s_andn2_b64 exec, exec, s[16:17]
	s_cbranch_execnz .LBB389_317
; %bb.318:                              ;   in Loop: Header=BB389_282 Depth=1
	s_or_b64 exec, exec, s[16:17]
.LBB389_319:                            ;   in Loop: Header=BB389_282 Depth=1
	s_or_b64 exec, exec, s[14:15]
	s_mov_b32 s14, 0
                                        ; implicit-def: $vgpr7
.LBB389_320:                            ;   in Loop: Header=BB389_282 Depth=1
	s_or_saveexec_b64 s[4:5], s[4:5]
	v_mov_b32_e32 v6, s14
	s_xor_b64 exec, exec, s[4:5]
	s_cbranch_execz .LBB389_322
; %bb.321:                              ;   in Loop: Header=BB389_282 Depth=1
	flat_load_dwordx2 v[16:17], v[2:3]
	v_add_u32_e32 v6, -8, v7
	v_add_co_u32_e32 v2, vcc, 8, v2
	v_addc_co_u32_e32 v3, vcc, 0, v3, vcc
	s_waitcnt vmcnt(0) lgkmcnt(0)
	v_and_b32_e32 v7, 0xff, v17
	v_and_b32_e32 v18, 0xff00, v17
	;; [unrolled: 1-line block ×4, first 2 shown]
	v_or_b32_e32 v7, v7, v18
	v_or3_b32 v16, v16, 0, 0
	v_or3_b32 v17, v7, v19, v17
.LBB389_322:                            ;   in Loop: Header=BB389_282 Depth=1
	s_or_b64 exec, exec, s[4:5]
	v_cmp_gt_u32_e32 vcc, 8, v6
                                        ; implicit-def: $vgpr18_vgpr19
                                        ; implicit-def: $sgpr14
	s_and_saveexec_b64 s[4:5], vcc
	s_xor_b64 s[4:5], exec, s[4:5]
	s_cbranch_execz .LBB389_328
; %bb.323:                              ;   in Loop: Header=BB389_282 Depth=1
	v_cmp_ne_u32_e32 vcc, 0, v6
	v_pk_mov_b32 v[18:19], 0, 0
	s_and_saveexec_b64 s[14:15], vcc
	s_cbranch_execz .LBB389_327
; %bb.324:                              ;   in Loop: Header=BB389_282 Depth=1
	s_mov_b64 s[16:17], 0
	v_pk_mov_b32 v[18:19], 0, 0
	s_mov_b64 s[18:19], 0
	s_mov_b64 s[20:21], 0
.LBB389_325:                            ;   Parent Loop BB389_282 Depth=1
                                        ; =>  This Inner Loop Header: Depth=2
	v_mov_b32_e32 v7, s21
	v_add_co_u32_e32 v20, vcc, s20, v2
	v_addc_co_u32_e32 v21, vcc, v3, v7, vcc
	flat_load_ubyte v7, v[20:21]
	s_add_u32 s20, s20, 1
	v_mov_b32_e32 v21, s22
	s_addc_u32 s21, s21, 0
	v_cmp_eq_u32_e32 vcc, s20, v6
	s_waitcnt vmcnt(0) lgkmcnt(0)
	v_and_b32_e32 v20, 0xffff, v7
	v_lshlrev_b64 v[20:21], s18, v[20:21]
	s_add_u32 s18, s18, 8
	s_addc_u32 s19, s19, 0
	v_or_b32_e32 v19, v21, v19
	s_or_b64 s[16:17], vcc, s[16:17]
	v_or_b32_e32 v18, v20, v18
	s_andn2_b64 exec, exec, s[16:17]
	s_cbranch_execnz .LBB389_325
; %bb.326:                              ;   in Loop: Header=BB389_282 Depth=1
	s_or_b64 exec, exec, s[16:17]
.LBB389_327:                            ;   in Loop: Header=BB389_282 Depth=1
	s_or_b64 exec, exec, s[14:15]
	s_mov_b32 s14, 0
                                        ; implicit-def: $vgpr6
.LBB389_328:                            ;   in Loop: Header=BB389_282 Depth=1
	s_or_saveexec_b64 s[4:5], s[4:5]
	v_mov_b32_e32 v7, s14
	s_xor_b64 exec, exec, s[4:5]
	s_cbranch_execz .LBB389_330
; %bb.329:                              ;   in Loop: Header=BB389_282 Depth=1
	flat_load_dwordx2 v[18:19], v[2:3]
	v_add_u32_e32 v7, -8, v6
	v_add_co_u32_e32 v2, vcc, 8, v2
	v_addc_co_u32_e32 v3, vcc, 0, v3, vcc
	s_waitcnt vmcnt(0) lgkmcnt(0)
	v_and_b32_e32 v6, 0xff, v19
	v_and_b32_e32 v20, 0xff00, v19
	;; [unrolled: 1-line block ×4, first 2 shown]
	v_or_b32_e32 v6, v6, v20
	v_or3_b32 v18, v18, 0, 0
	v_or3_b32 v19, v6, v21, v19
.LBB389_330:                            ;   in Loop: Header=BB389_282 Depth=1
	s_or_b64 exec, exec, s[4:5]
	v_cmp_gt_u32_e32 vcc, 8, v7
	s_and_saveexec_b64 s[4:5], vcc
	s_xor_b64 s[4:5], exec, s[4:5]
	s_cbranch_execz .LBB389_336
; %bb.331:                              ;   in Loop: Header=BB389_282 Depth=1
	v_cmp_ne_u32_e32 vcc, 0, v7
	v_pk_mov_b32 v[20:21], 0, 0
	s_and_saveexec_b64 s[14:15], vcc
	s_cbranch_execz .LBB389_335
; %bb.332:                              ;   in Loop: Header=BB389_282 Depth=1
	s_mov_b64 s[16:17], 0
	v_pk_mov_b32 v[20:21], 0, 0
	s_mov_b64 s[18:19], 0
.LBB389_333:                            ;   Parent Loop BB389_282 Depth=1
                                        ; =>  This Inner Loop Header: Depth=2
	flat_load_ubyte v6, v[2:3]
	v_mov_b32_e32 v23, s22
	v_add_co_u32_e32 v2, vcc, 1, v2
	v_add_u32_e32 v7, -1, v7
	v_addc_co_u32_e32 v3, vcc, 0, v3, vcc
	v_cmp_eq_u32_e32 vcc, 0, v7
	s_waitcnt vmcnt(0) lgkmcnt(0)
	v_and_b32_e32 v22, 0xffff, v6
	v_lshlrev_b64 v[22:23], s18, v[22:23]
	s_add_u32 s18, s18, 8
	s_addc_u32 s19, s19, 0
	v_or_b32_e32 v21, v23, v21
	s_or_b64 s[16:17], vcc, s[16:17]
	v_or_b32_e32 v20, v22, v20
	s_andn2_b64 exec, exec, s[16:17]
	s_cbranch_execnz .LBB389_333
; %bb.334:                              ;   in Loop: Header=BB389_282 Depth=1
	s_or_b64 exec, exec, s[16:17]
.LBB389_335:                            ;   in Loop: Header=BB389_282 Depth=1
	s_or_b64 exec, exec, s[14:15]
                                        ; implicit-def: $vgpr2_vgpr3
.LBB389_336:                            ;   in Loop: Header=BB389_282 Depth=1
	s_andn2_saveexec_b64 s[4:5], s[4:5]
	s_cbranch_execz .LBB389_338
; %bb.337:                              ;   in Loop: Header=BB389_282 Depth=1
	flat_load_dwordx2 v[2:3], v[2:3]
	s_waitcnt vmcnt(0) lgkmcnt(0)
	v_and_b32_e32 v6, 0xff, v3
	v_and_b32_e32 v7, 0xff00, v3
	;; [unrolled: 1-line block ×4, first 2 shown]
	v_or_b32_e32 v6, v6, v7
	v_or3_b32 v21, v6, v20, v3
	v_or3_b32 v20, v2, 0, 0
.LBB389_338:                            ;   in Loop: Header=BB389_282 Depth=1
	s_or_b64 exec, exec, s[4:5]
	v_readfirstlane_b32 s4, v39
	v_cmp_eq_u32_e64 s[4:5], s4, v39
	v_pk_mov_b32 v[2:3], 0, 0
	s_and_saveexec_b64 s[14:15], s[4:5]
	s_cbranch_execz .LBB389_344
; %bb.339:                              ;   in Loop: Header=BB389_282 Depth=1
	global_load_dwordx2 v[24:25], v33, s[10:11] offset:24 glc
	s_waitcnt vmcnt(0)
	buffer_invl2
	buffer_wbinvl1_vol
	global_load_dwordx2 v[2:3], v33, s[10:11] offset:40
	global_load_dwordx2 v[6:7], v33, s[10:11]
	s_waitcnt vmcnt(1)
	v_and_b32_e32 v2, v2, v24
	v_and_b32_e32 v3, v3, v25
	v_mul_lo_u32 v3, v3, 24
	v_mul_hi_u32 v22, v2, 24
	v_mul_lo_u32 v2, v2, 24
	v_add_u32_e32 v3, v22, v3
	s_waitcnt vmcnt(0)
	v_add_co_u32_e32 v2, vcc, v6, v2
	v_addc_co_u32_e32 v3, vcc, v7, v3, vcc
	global_load_dwordx2 v[22:23], v[2:3], off glc
	s_waitcnt vmcnt(0)
	global_atomic_cmpswap_x2 v[2:3], v33, v[22:25], s[10:11] offset:24 glc
	s_waitcnt vmcnt(0)
	buffer_invl2
	buffer_wbinvl1_vol
	v_cmp_ne_u64_e32 vcc, v[2:3], v[24:25]
	s_and_saveexec_b64 s[16:17], vcc
	s_cbranch_execz .LBB389_343
; %bb.340:                              ;   in Loop: Header=BB389_282 Depth=1
	s_mov_b64 s[18:19], 0
.LBB389_341:                            ;   Parent Loop BB389_282 Depth=1
                                        ; =>  This Inner Loop Header: Depth=2
	s_sleep 1
	global_load_dwordx2 v[6:7], v33, s[10:11] offset:40
	global_load_dwordx2 v[22:23], v33, s[10:11]
	v_pk_mov_b32 v[24:25], v[2:3], v[2:3] op_sel:[0,1]
	s_waitcnt vmcnt(1)
	v_and_b32_e32 v2, v6, v24
	s_waitcnt vmcnt(0)
	v_mad_u64_u32 v[2:3], s[20:21], v2, 24, v[22:23]
	v_and_b32_e32 v7, v7, v25
	v_mov_b32_e32 v6, v3
	v_mad_u64_u32 v[6:7], s[20:21], v7, 24, v[6:7]
	v_mov_b32_e32 v3, v6
	global_load_dwordx2 v[22:23], v[2:3], off glc
	s_waitcnt vmcnt(0)
	global_atomic_cmpswap_x2 v[2:3], v33, v[22:25], s[10:11] offset:24 glc
	s_waitcnt vmcnt(0)
	buffer_invl2
	buffer_wbinvl1_vol
	v_cmp_eq_u64_e32 vcc, v[2:3], v[24:25]
	s_or_b64 s[18:19], vcc, s[18:19]
	s_andn2_b64 exec, exec, s[18:19]
	s_cbranch_execnz .LBB389_341
; %bb.342:                              ;   in Loop: Header=BB389_282 Depth=1
	s_or_b64 exec, exec, s[18:19]
.LBB389_343:                            ;   in Loop: Header=BB389_282 Depth=1
	s_or_b64 exec, exec, s[16:17]
.LBB389_344:                            ;   in Loop: Header=BB389_282 Depth=1
	s_or_b64 exec, exec, s[14:15]
	global_load_dwordx2 v[6:7], v33, s[10:11] offset:40
	global_load_dwordx4 v[22:25], v33, s[10:11]
	v_readfirstlane_b32 s14, v2
	v_readfirstlane_b32 s15, v3
	s_mov_b64 s[16:17], exec
	s_waitcnt vmcnt(1)
	v_readfirstlane_b32 s18, v6
	v_readfirstlane_b32 s19, v7
	s_and_b64 s[18:19], s[14:15], s[18:19]
	s_mul_i32 s20, s19, 24
	s_mul_hi_u32 s21, s18, 24
	s_mul_i32 s24, s18, 24
	s_add_i32 s20, s21, s20
	v_mov_b32_e32 v2, s20
	s_waitcnt vmcnt(0)
	v_add_co_u32_e32 v36, vcc, s24, v22
	v_addc_co_u32_e32 v37, vcc, v23, v2, vcc
	s_and_saveexec_b64 s[20:21], s[4:5]
	s_cbranch_execz .LBB389_346
; %bb.345:                              ;   in Loop: Header=BB389_282 Depth=1
	v_pk_mov_b32 v[2:3], s[16:17], s[16:17] op_sel:[0,1]
	global_store_dwordx4 v[36:37], v[2:5], off offset:8
.LBB389_346:                            ;   in Loop: Header=BB389_282 Depth=1
	s_or_b64 exec, exec, s[20:21]
	s_lshl_b64 s[16:17], s[18:19], 12
	v_mov_b32_e32 v2, s17
	v_add_co_u32_e32 v24, vcc, s16, v24
	v_addc_co_u32_e32 v25, vcc, v25, v2, vcc
	v_or_b32_e32 v2, 0, v1
	v_cmp_lt_u64_e32 vcc, 56, v[26:27]
	v_or_b32_e32 v3, v0, v28
	v_cndmask_b32_e32 v7, v2, v1, vcc
	v_lshl_add_u32 v1, v34, 2, 28
	v_cndmask_b32_e32 v0, v3, v0, vcc
	v_and_b32_e32 v1, 0x1e0, v1
	v_and_or_b32 v6, v0, s23, v1
	v_readfirstlane_b32 s16, v24
	v_readfirstlane_b32 s17, v25
	s_nop 4
	global_store_dwordx4 v38, v[6:9], s[16:17]
	global_store_dwordx4 v38, v[10:13], s[16:17] offset:16
	global_store_dwordx4 v38, v[14:17], s[16:17] offset:32
	;; [unrolled: 1-line block ×3, first 2 shown]
	s_and_saveexec_b64 s[16:17], s[4:5]
	s_cbranch_execz .LBB389_354
; %bb.347:                              ;   in Loop: Header=BB389_282 Depth=1
	global_load_dwordx2 v[10:11], v33, s[10:11] offset:32 glc
	global_load_dwordx2 v[0:1], v33, s[10:11] offset:40
	v_mov_b32_e32 v8, s14
	v_mov_b32_e32 v9, s15
	s_waitcnt vmcnt(0)
	v_readfirstlane_b32 s18, v0
	v_readfirstlane_b32 s19, v1
	s_and_b64 s[18:19], s[18:19], s[14:15]
	s_mul_i32 s19, s19, 24
	s_mul_hi_u32 s20, s18, 24
	s_mul_i32 s18, s18, 24
	s_add_i32 s19, s20, s19
	v_mov_b32_e32 v0, s19
	v_add_co_u32_e32 v6, vcc, s18, v22
	v_addc_co_u32_e32 v7, vcc, v23, v0, vcc
	global_store_dwordx2 v[6:7], v[10:11], off
	buffer_wbl2
	s_waitcnt vmcnt(0)
	global_atomic_cmpswap_x2 v[2:3], v33, v[8:11], s[10:11] offset:32 glc
	s_waitcnt vmcnt(0)
	v_cmp_ne_u64_e32 vcc, v[2:3], v[10:11]
	s_and_saveexec_b64 s[18:19], vcc
	s_cbranch_execz .LBB389_350
; %bb.348:                              ;   in Loop: Header=BB389_282 Depth=1
	s_mov_b64 s[20:21], 0
.LBB389_349:                            ;   Parent Loop BB389_282 Depth=1
                                        ; =>  This Inner Loop Header: Depth=2
	s_sleep 1
	global_store_dwordx2 v[6:7], v[2:3], off
	v_mov_b32_e32 v0, s14
	v_mov_b32_e32 v1, s15
	buffer_wbl2
	s_waitcnt vmcnt(0)
	global_atomic_cmpswap_x2 v[0:1], v33, v[0:3], s[10:11] offset:32 glc
	s_waitcnt vmcnt(0)
	v_cmp_eq_u64_e32 vcc, v[0:1], v[2:3]
	s_or_b64 s[20:21], vcc, s[20:21]
	v_pk_mov_b32 v[2:3], v[0:1], v[0:1] op_sel:[0,1]
	s_andn2_b64 exec, exec, s[20:21]
	s_cbranch_execnz .LBB389_349
.LBB389_350:                            ;   in Loop: Header=BB389_282 Depth=1
	s_or_b64 exec, exec, s[18:19]
	global_load_dwordx2 v[0:1], v33, s[10:11] offset:16
	s_mov_b64 s[20:21], exec
	v_mbcnt_lo_u32_b32 v2, s20, 0
	v_mbcnt_hi_u32_b32 v2, s21, v2
	v_cmp_eq_u32_e32 vcc, 0, v2
	s_and_saveexec_b64 s[18:19], vcc
	s_cbranch_execz .LBB389_352
; %bb.351:                              ;   in Loop: Header=BB389_282 Depth=1
	s_bcnt1_i32_b64 s20, s[20:21]
	v_mov_b32_e32 v32, s20
	buffer_wbl2
	s_waitcnt vmcnt(0)
	global_atomic_add_x2 v[0:1], v[32:33], off offset:8
.LBB389_352:                            ;   in Loop: Header=BB389_282 Depth=1
	s_or_b64 exec, exec, s[18:19]
	s_waitcnt vmcnt(0)
	global_load_dwordx2 v[2:3], v[0:1], off offset:16
	s_waitcnt vmcnt(0)
	v_cmp_eq_u64_e32 vcc, 0, v[2:3]
	s_cbranch_vccnz .LBB389_354
; %bb.353:                              ;   in Loop: Header=BB389_282 Depth=1
	global_load_dword v32, v[0:1], off offset:24
	s_waitcnt vmcnt(0)
	v_and_b32_e32 v0, 0xffffff, v32
	v_readfirstlane_b32 m0, v0
	buffer_wbl2
	global_store_dwordx2 v[2:3], v[32:33], off
	s_sendmsg sendmsg(MSG_INTERRUPT)
.LBB389_354:                            ;   in Loop: Header=BB389_282 Depth=1
	s_or_b64 exec, exec, s[16:17]
	v_add_co_u32_e32 v0, vcc, v24, v38
	v_addc_co_u32_e32 v1, vcc, 0, v25, vcc
	s_branch .LBB389_358
.LBB389_355:                            ;   in Loop: Header=BB389_358 Depth=2
	s_or_b64 exec, exec, s[16:17]
	v_readfirstlane_b32 s16, v2
	s_cmp_eq_u32 s16, 0
	s_cbranch_scc1 .LBB389_357
; %bb.356:                              ;   in Loop: Header=BB389_358 Depth=2
	s_sleep 1
	s_cbranch_execnz .LBB389_358
	s_branch .LBB389_360
.LBB389_357:                            ;   in Loop: Header=BB389_282 Depth=1
	s_branch .LBB389_360
.LBB389_358:                            ;   Parent Loop BB389_282 Depth=1
                                        ; =>  This Inner Loop Header: Depth=2
	v_mov_b32_e32 v2, 1
	s_and_saveexec_b64 s[16:17], s[4:5]
	s_cbranch_execz .LBB389_355
; %bb.359:                              ;   in Loop: Header=BB389_358 Depth=2
	global_load_dword v2, v[36:37], off offset:20 glc
	s_waitcnt vmcnt(0)
	buffer_invl2
	buffer_wbinvl1_vol
	v_and_b32_e32 v2, 1, v2
	s_branch .LBB389_355
.LBB389_360:                            ;   in Loop: Header=BB389_282 Depth=1
	global_load_dwordx4 v[0:3], v[0:1], off
	s_and_saveexec_b64 s[16:17], s[4:5]
	s_cbranch_execz .LBB389_281
; %bb.361:                              ;   in Loop: Header=BB389_282 Depth=1
	global_load_dwordx2 v[2:3], v33, s[10:11] offset:40
	global_load_dwordx2 v[10:11], v33, s[10:11] offset:24 glc
	global_load_dwordx2 v[12:13], v33, s[10:11]
	v_mov_b32_e32 v7, s15
	s_waitcnt vmcnt(2)
	v_add_co_u32_e32 v9, vcc, 1, v2
	v_addc_co_u32_e32 v14, vcc, 0, v3, vcc
	v_add_co_u32_e32 v6, vcc, s14, v9
	v_addc_co_u32_e32 v7, vcc, v14, v7, vcc
	v_cmp_eq_u64_e32 vcc, 0, v[6:7]
	v_cndmask_b32_e32 v7, v7, v14, vcc
	v_cndmask_b32_e32 v6, v6, v9, vcc
	v_and_b32_e32 v3, v7, v3
	v_and_b32_e32 v2, v6, v2
	v_mul_lo_u32 v3, v3, 24
	v_mul_hi_u32 v9, v2, 24
	v_mul_lo_u32 v2, v2, 24
	v_add_u32_e32 v3, v9, v3
	s_waitcnt vmcnt(0)
	v_add_co_u32_e32 v2, vcc, v12, v2
	v_addc_co_u32_e32 v3, vcc, v13, v3, vcc
	v_mov_b32_e32 v8, v10
	global_store_dwordx2 v[2:3], v[10:11], off
	v_mov_b32_e32 v9, v11
	buffer_wbl2
	s_waitcnt vmcnt(0)
	global_atomic_cmpswap_x2 v[8:9], v33, v[6:9], s[10:11] offset:24 glc
	s_waitcnt vmcnt(0)
	v_cmp_ne_u64_e32 vcc, v[8:9], v[10:11]
	s_and_b64 exec, exec, vcc
	s_cbranch_execz .LBB389_281
; %bb.362:                              ;   in Loop: Header=BB389_282 Depth=1
	s_mov_b64 s[4:5], 0
.LBB389_363:                            ;   Parent Loop BB389_282 Depth=1
                                        ; =>  This Inner Loop Header: Depth=2
	s_sleep 1
	global_store_dwordx2 v[2:3], v[8:9], off
	buffer_wbl2
	s_waitcnt vmcnt(0)
	global_atomic_cmpswap_x2 v[10:11], v33, v[6:9], s[10:11] offset:24 glc
	s_waitcnt vmcnt(0)
	v_cmp_eq_u64_e32 vcc, v[10:11], v[8:9]
	s_or_b64 s[4:5], vcc, s[4:5]
	v_pk_mov_b32 v[8:9], v[10:11], v[10:11] op_sel:[0,1]
	s_andn2_b64 exec, exec, s[4:5]
	s_cbranch_execnz .LBB389_363
	s_branch .LBB389_281
.LBB389_364:
	s_or_b64 exec, exec, s[6:7]
                                        ; implicit-def: $vgpr38
                                        ; implicit-def: $vgpr39
.LBB389_365:
	s_andn2_saveexec_b64 s[6:7], s[12:13]
	s_cbranch_execz .LBB389_392
; %bb.366:
	v_readfirstlane_b32 s4, v39
	v_cmp_eq_u32_e64 s[4:5], s4, v39
	v_pk_mov_b32 v[8:9], 0, 0
	s_and_saveexec_b64 s[12:13], s[4:5]
	s_cbranch_execz .LBB389_372
; %bb.367:
	s_waitcnt vmcnt(0)
	v_mov_b32_e32 v2, 0
	global_load_dwordx2 v[6:7], v2, s[10:11] offset:24 glc
	s_waitcnt vmcnt(0)
	buffer_invl2
	buffer_wbinvl1_vol
	global_load_dwordx2 v[4:5], v2, s[10:11] offset:40
	global_load_dwordx2 v[8:9], v2, s[10:11]
	s_waitcnt vmcnt(1)
	v_and_b32_e32 v3, v4, v6
	v_and_b32_e32 v4, v5, v7
	v_mul_lo_u32 v4, v4, 24
	v_mul_hi_u32 v5, v3, 24
	v_mul_lo_u32 v3, v3, 24
	v_add_u32_e32 v5, v5, v4
	s_waitcnt vmcnt(0)
	v_add_co_u32_e32 v4, vcc, v8, v3
	v_addc_co_u32_e32 v5, vcc, v9, v5, vcc
	global_load_dwordx2 v[4:5], v[4:5], off glc
	s_waitcnt vmcnt(0)
	global_atomic_cmpswap_x2 v[8:9], v2, v[4:7], s[10:11] offset:24 glc
	s_waitcnt vmcnt(0)
	buffer_invl2
	buffer_wbinvl1_vol
	v_cmp_ne_u64_e32 vcc, v[8:9], v[6:7]
	s_and_saveexec_b64 s[14:15], vcc
	s_cbranch_execz .LBB389_371
; %bb.368:
	s_mov_b64 s[16:17], 0
.LBB389_369:                            ; =>This Inner Loop Header: Depth=1
	s_sleep 1
	global_load_dwordx2 v[4:5], v2, s[10:11] offset:40
	global_load_dwordx2 v[10:11], v2, s[10:11]
	v_pk_mov_b32 v[6:7], v[8:9], v[8:9] op_sel:[0,1]
	s_waitcnt vmcnt(1)
	v_and_b32_e32 v4, v4, v6
	v_and_b32_e32 v3, v5, v7
	s_waitcnt vmcnt(0)
	v_mad_u64_u32 v[4:5], s[18:19], v4, 24, v[10:11]
	v_mov_b32_e32 v8, v5
	v_mad_u64_u32 v[8:9], s[18:19], v3, 24, v[8:9]
	v_mov_b32_e32 v5, v8
	global_load_dwordx2 v[4:5], v[4:5], off glc
	s_waitcnt vmcnt(0)
	global_atomic_cmpswap_x2 v[8:9], v2, v[4:7], s[10:11] offset:24 glc
	s_waitcnt vmcnt(0)
	buffer_invl2
	buffer_wbinvl1_vol
	v_cmp_eq_u64_e32 vcc, v[8:9], v[6:7]
	s_or_b64 s[16:17], vcc, s[16:17]
	s_andn2_b64 exec, exec, s[16:17]
	s_cbranch_execnz .LBB389_369
; %bb.370:
	s_or_b64 exec, exec, s[16:17]
.LBB389_371:
	s_or_b64 exec, exec, s[14:15]
.LBB389_372:
	s_or_b64 exec, exec, s[12:13]
	s_waitcnt vmcnt(0)
	v_mov_b32_e32 v2, 0
	global_load_dwordx2 v[10:11], v2, s[10:11] offset:40
	global_load_dwordx4 v[4:7], v2, s[10:11]
	v_readfirstlane_b32 s12, v8
	v_readfirstlane_b32 s13, v9
	s_mov_b64 s[14:15], exec
	s_waitcnt vmcnt(1)
	v_readfirstlane_b32 s16, v10
	v_readfirstlane_b32 s17, v11
	s_and_b64 s[16:17], s[12:13], s[16:17]
	s_mul_i32 s18, s17, 24
	s_mul_hi_u32 s19, s16, 24
	s_mul_i32 s20, s16, 24
	s_add_i32 s18, s19, s18
	v_mov_b32_e32 v3, s18
	s_waitcnt vmcnt(0)
	v_add_co_u32_e32 v8, vcc, s20, v4
	v_addc_co_u32_e32 v9, vcc, v5, v3, vcc
	s_and_saveexec_b64 s[18:19], s[4:5]
	s_cbranch_execz .LBB389_374
; %bb.373:
	v_pk_mov_b32 v[10:11], s[14:15], s[14:15] op_sel:[0,1]
	v_mov_b32_e32 v12, 2
	v_mov_b32_e32 v13, 1
	global_store_dwordx4 v[8:9], v[10:13], off offset:8
.LBB389_374:
	s_or_b64 exec, exec, s[18:19]
	s_lshl_b64 s[14:15], s[16:17], 12
	v_mov_b32_e32 v3, s15
	v_add_co_u32_e32 v10, vcc, s14, v6
	v_addc_co_u32_e32 v11, vcc, v7, v3, vcc
	s_movk_i32 s14, 0xff1f
	s_mov_b32 s16, 0
	v_and_or_b32 v0, v0, s14, 32
	v_mov_b32_e32 v3, v2
	v_readfirstlane_b32 s14, v10
	v_readfirstlane_b32 s15, v11
	s_mov_b32 s17, s16
	v_add_co_u32_e32 v6, vcc, v10, v38
	s_mov_b32 s18, s16
	s_mov_b32 s19, s16
	s_nop 0
	global_store_dwordx4 v38, v[0:3], s[14:15]
	v_addc_co_u32_e32 v7, vcc, 0, v11, vcc
	v_pk_mov_b32 v[0:1], s[16:17], s[16:17] op_sel:[0,1]
	v_pk_mov_b32 v[2:3], s[18:19], s[18:19] op_sel:[0,1]
	global_store_dwordx4 v38, v[0:3], s[14:15] offset:16
	global_store_dwordx4 v38, v[0:3], s[14:15] offset:32
	;; [unrolled: 1-line block ×3, first 2 shown]
	s_and_saveexec_b64 s[14:15], s[4:5]
	s_cbranch_execz .LBB389_382
; %bb.375:
	v_mov_b32_e32 v10, 0
	global_load_dwordx2 v[14:15], v10, s[10:11] offset:32 glc
	global_load_dwordx2 v[0:1], v10, s[10:11] offset:40
	v_mov_b32_e32 v12, s12
	v_mov_b32_e32 v13, s13
	s_waitcnt vmcnt(0)
	v_readfirstlane_b32 s16, v0
	v_readfirstlane_b32 s17, v1
	s_and_b64 s[16:17], s[16:17], s[12:13]
	s_mul_i32 s17, s17, 24
	s_mul_hi_u32 s18, s16, 24
	s_mul_i32 s16, s16, 24
	s_add_i32 s17, s18, s17
	v_mov_b32_e32 v0, s17
	v_add_co_u32_e32 v4, vcc, s16, v4
	v_addc_co_u32_e32 v5, vcc, v5, v0, vcc
	global_store_dwordx2 v[4:5], v[14:15], off
	buffer_wbl2
	s_waitcnt vmcnt(0)
	global_atomic_cmpswap_x2 v[2:3], v10, v[12:15], s[10:11] offset:32 glc
	s_waitcnt vmcnt(0)
	v_cmp_ne_u64_e32 vcc, v[2:3], v[14:15]
	s_and_saveexec_b64 s[16:17], vcc
	s_cbranch_execz .LBB389_378
; %bb.376:
	s_mov_b64 s[18:19], 0
.LBB389_377:                            ; =>This Inner Loop Header: Depth=1
	s_sleep 1
	global_store_dwordx2 v[4:5], v[2:3], off
	v_mov_b32_e32 v0, s12
	v_mov_b32_e32 v1, s13
	buffer_wbl2
	s_waitcnt vmcnt(0)
	global_atomic_cmpswap_x2 v[0:1], v10, v[0:3], s[10:11] offset:32 glc
	s_waitcnt vmcnt(0)
	v_cmp_eq_u64_e32 vcc, v[0:1], v[2:3]
	s_or_b64 s[18:19], vcc, s[18:19]
	v_pk_mov_b32 v[2:3], v[0:1], v[0:1] op_sel:[0,1]
	s_andn2_b64 exec, exec, s[18:19]
	s_cbranch_execnz .LBB389_377
.LBB389_378:
	s_or_b64 exec, exec, s[16:17]
	v_mov_b32_e32 v3, 0
	global_load_dwordx2 v[0:1], v3, s[10:11] offset:16
	s_mov_b64 s[16:17], exec
	v_mbcnt_lo_u32_b32 v2, s16, 0
	v_mbcnt_hi_u32_b32 v2, s17, v2
	v_cmp_eq_u32_e32 vcc, 0, v2
	s_and_saveexec_b64 s[18:19], vcc
	s_cbranch_execz .LBB389_380
; %bb.379:
	s_bcnt1_i32_b64 s16, s[16:17]
	v_mov_b32_e32 v2, s16
	buffer_wbl2
	s_waitcnt vmcnt(0)
	global_atomic_add_x2 v[0:1], v[2:3], off offset:8
.LBB389_380:
	s_or_b64 exec, exec, s[18:19]
	s_waitcnt vmcnt(0)
	global_load_dwordx2 v[2:3], v[0:1], off offset:16
	s_waitcnt vmcnt(0)
	v_cmp_eq_u64_e32 vcc, 0, v[2:3]
	s_cbranch_vccnz .LBB389_382
; %bb.381:
	global_load_dword v0, v[0:1], off offset:24
	v_mov_b32_e32 v1, 0
	buffer_wbl2
	s_waitcnt vmcnt(0)
	global_store_dwordx2 v[2:3], v[0:1], off
	v_and_b32_e32 v0, 0xffffff, v0
	v_readfirstlane_b32 m0, v0
	s_sendmsg sendmsg(MSG_INTERRUPT)
.LBB389_382:
	s_or_b64 exec, exec, s[14:15]
	s_branch .LBB389_386
.LBB389_383:                            ;   in Loop: Header=BB389_386 Depth=1
	s_or_b64 exec, exec, s[14:15]
	v_readfirstlane_b32 s14, v0
	s_cmp_eq_u32 s14, 0
	s_cbranch_scc1 .LBB389_385
; %bb.384:                              ;   in Loop: Header=BB389_386 Depth=1
	s_sleep 1
	s_cbranch_execnz .LBB389_386
	s_branch .LBB389_388
.LBB389_385:
	s_branch .LBB389_388
.LBB389_386:                            ; =>This Inner Loop Header: Depth=1
	v_mov_b32_e32 v0, 1
	s_and_saveexec_b64 s[14:15], s[4:5]
	s_cbranch_execz .LBB389_383
; %bb.387:                              ;   in Loop: Header=BB389_386 Depth=1
	global_load_dword v0, v[8:9], off offset:20 glc
	s_waitcnt vmcnt(0)
	buffer_invl2
	buffer_wbinvl1_vol
	v_and_b32_e32 v0, 1, v0
	s_branch .LBB389_383
.LBB389_388:
	global_load_dwordx2 v[0:1], v[6:7], off
	s_and_saveexec_b64 s[14:15], s[4:5]
	s_cbranch_execz .LBB389_391
; %bb.389:
	v_mov_b32_e32 v8, 0
	global_load_dwordx2 v[6:7], v8, s[10:11] offset:40
	global_load_dwordx2 v[10:11], v8, s[10:11] offset:24 glc
	global_load_dwordx2 v[12:13], v8, s[10:11]
	v_mov_b32_e32 v3, s13
	s_mov_b64 s[4:5], 0
	s_waitcnt vmcnt(2)
	v_add_co_u32_e32 v5, vcc, 1, v6
	v_addc_co_u32_e32 v9, vcc, 0, v7, vcc
	v_add_co_u32_e32 v2, vcc, s12, v5
	v_addc_co_u32_e32 v3, vcc, v9, v3, vcc
	v_cmp_eq_u64_e32 vcc, 0, v[2:3]
	v_cndmask_b32_e32 v3, v3, v9, vcc
	v_cndmask_b32_e32 v2, v2, v5, vcc
	v_and_b32_e32 v5, v3, v7
	v_and_b32_e32 v6, v2, v6
	v_mul_lo_u32 v5, v5, 24
	v_mul_hi_u32 v7, v6, 24
	v_mul_lo_u32 v6, v6, 24
	v_add_u32_e32 v5, v7, v5
	s_waitcnt vmcnt(0)
	v_add_co_u32_e32 v6, vcc, v12, v6
	v_addc_co_u32_e32 v7, vcc, v13, v5, vcc
	v_mov_b32_e32 v4, v10
	global_store_dwordx2 v[6:7], v[10:11], off
	v_mov_b32_e32 v5, v11
	buffer_wbl2
	s_waitcnt vmcnt(0)
	global_atomic_cmpswap_x2 v[4:5], v8, v[2:5], s[10:11] offset:24 glc
	s_waitcnt vmcnt(0)
	v_cmp_ne_u64_e32 vcc, v[4:5], v[10:11]
	s_and_b64 exec, exec, vcc
	s_cbranch_execz .LBB389_391
.LBB389_390:                            ; =>This Inner Loop Header: Depth=1
	s_sleep 1
	global_store_dwordx2 v[6:7], v[4:5], off
	buffer_wbl2
	s_waitcnt vmcnt(0)
	global_atomic_cmpswap_x2 v[10:11], v8, v[2:5], s[10:11] offset:24 glc
	s_waitcnt vmcnt(0)
	v_cmp_eq_u64_e32 vcc, v[10:11], v[4:5]
	s_or_b64 s[4:5], vcc, s[4:5]
	v_pk_mov_b32 v[4:5], v[10:11], v[10:11] op_sel:[0,1]
	s_andn2_b64 exec, exec, s[4:5]
	s_cbranch_execnz .LBB389_390
.LBB389_391:
	s_or_b64 exec, exec, s[14:15]
.LBB389_392:
	s_or_b64 exec, exec, s[6:7]
	s_getpc_b64 s[4:5]
	s_add_u32 s4, s4, .str.1@rel32@lo+4
	s_addc_u32 s5, s5, .str.1@rel32@hi+12
	s_getpc_b64 s[6:7]
	s_add_u32 s6, s6, .str.1@rel32@lo+10
	s_addc_u32 s7, s7, .str.1@rel32@hi+18
	s_sub_i32 s10, s6, s4
	s_ashr_i32 s11, s10, 31
	s_waitcnt vmcnt(0)
	v_mov_b32_e32 v2, s4
	v_mov_b32_e32 v3, s5
	;; [unrolled: 1-line block ×5, first 2 shown]
	s_getpc_b64 s[6:7]
	s_add_u32 s6, s6, __ockl_fprintf_append_string_n@rel32@lo+4
	s_addc_u32 s7, s7, __ockl_fprintf_append_string_n@rel32@hi+12
	s_swappc_b64 s[30:31], s[6:7]
	s_trap 2
.Lfunc_end389:
	.size	__assert_fail, .Lfunc_end389-__assert_fail
                                        ; -- End function
	.section	.AMDGPU.csdata,"",@progbits
; Function info:
; codeLenInByte = 15356
; NumSgprs: 38
; NumVgprs: 42
; NumAgprs: 1
; TotalNumVgprs: 45
; ScratchSize: 64
; MemoryBound: 0
	.section	.text._Z39paged_attention_ll4mi_QKV_mfma16_kernelIDF16_hLN4vllm18Fp8KVCacheDataTypeE1EDF16_Li16ELi64ELi256ELb1ELi5EL8MFMAType1EEvPKT_PKT0_S8_ifPKiSA_SA_iPKfiiiPfSD_PS3_PT2_iSC_SC_,"axG",@progbits,_Z39paged_attention_ll4mi_QKV_mfma16_kernelIDF16_hLN4vllm18Fp8KVCacheDataTypeE1EDF16_Li16ELi64ELi256ELb1ELi5EL8MFMAType1EEvPKT_PKT0_S8_ifPKiSA_SA_iPKfiiiPfSD_PS3_PT2_iSC_SC_,comdat
	.protected	_Z39paged_attention_ll4mi_QKV_mfma16_kernelIDF16_hLN4vllm18Fp8KVCacheDataTypeE1EDF16_Li16ELi64ELi256ELb1ELi5EL8MFMAType1EEvPKT_PKT0_S8_ifPKiSA_SA_iPKfiiiPfSD_PS3_PT2_iSC_SC_ ; -- Begin function _Z39paged_attention_ll4mi_QKV_mfma16_kernelIDF16_hLN4vllm18Fp8KVCacheDataTypeE1EDF16_Li16ELi64ELi256ELb1ELi5EL8MFMAType1EEvPKT_PKT0_S8_ifPKiSA_SA_iPKfiiiPfSD_PS3_PT2_iSC_SC_
	.globl	_Z39paged_attention_ll4mi_QKV_mfma16_kernelIDF16_hLN4vllm18Fp8KVCacheDataTypeE1EDF16_Li16ELi64ELi256ELb1ELi5EL8MFMAType1EEvPKT_PKT0_S8_ifPKiSA_SA_iPKfiiiPfSD_PS3_PT2_iSC_SC_
	.p2align	8
	.type	_Z39paged_attention_ll4mi_QKV_mfma16_kernelIDF16_hLN4vllm18Fp8KVCacheDataTypeE1EDF16_Li16ELi64ELi256ELb1ELi5EL8MFMAType1EEvPKT_PKT0_S8_ifPKiSA_SA_iPKfiiiPfSD_PS3_PT2_iSC_SC_,@function
_Z39paged_attention_ll4mi_QKV_mfma16_kernelIDF16_hLN4vllm18Fp8KVCacheDataTypeE1EDF16_Li16ELi64ELi256ELb1ELi5EL8MFMAType1EEvPKT_PKT0_S8_ifPKiSA_SA_iPKfiiiPfSD_PS3_PT2_iSC_SC_: ; @_Z39paged_attention_ll4mi_QKV_mfma16_kernelIDF16_hLN4vllm18Fp8KVCacheDataTypeE1EDF16_Li16ELi64ELi256ELb1ELi5EL8MFMAType1EEvPKT_PKT0_S8_ifPKiSA_SA_iPKfiiiPfSD_PS3_PT2_iSC_SC_
; %bb.0:
	s_load_dwordx2 s[12:13], s[4:5], 0x30
	s_add_u32 flat_scratch_lo, s6, s11
	s_addc_u32 flat_scratch_hi, s7, 0
	s_add_u32 s0, s0, s11
	s_addc_u32 s1, s1, 0
	s_waitcnt lgkmcnt(0)
	s_cmp_lg_u64 s[12:13], 0
	s_cselect_b64 s[14:15], -1, 0
	s_mov_b32 s6, s9
	s_mov_b64 s[16:17], 0
	s_and_b64 vcc, exec, s[14:15]
	s_mov_b32 s32, 0
	s_cbranch_vccz .LBB390_11
; %bb.1:
	s_add_i32 s18, s8, 1
	s_mov_b32 s19, 0
	s_lshl_b64 s[20:21], s[18:19], 2
	s_add_u32 s20, s12, s20
	s_mov_b32 s9, s19
	s_addc_u32 s21, s13, s21
	s_lshl_b64 s[18:19], s[8:9], 2
	s_add_u32 s18, s12, s18
	s_addc_u32 s19, s13, s19
	s_load_dword s7, s[20:21], 0x0
	s_load_dword s11, s[18:19], 0x0
	s_waitcnt lgkmcnt(0)
	s_sub_i32 s7, s7, s11
	s_cmp_eq_u32 s7, 1
	s_cselect_b64 s[18:19], -1, 0
	s_andn2_b64 vcc, exec, s[16:17]
	s_cbranch_vccnz .LBB390_3
.LBB390_2:
	s_mov_b32 s9, 0
	s_mov_b64 s[18:19], -1
.LBB390_3:
	s_andn2_b64 vcc, exec, s[18:19]
	s_cbranch_vccnz .LBB390_10
; %bb.4:
	s_load_dwordx2 s[18:19], s[4:5], 0x28
	s_lshl_b64 s[16:17], s[8:9], 2
	s_waitcnt lgkmcnt(0)
	s_add_u32 s18, s18, s16
	s_addc_u32 s19, s19, s17
	s_load_dword s7, s[18:19], 0x0
	s_lshl_b32 s6, s6, 8
	s_waitcnt lgkmcnt(0)
	s_cmp_ge_i32 s6, s7
	s_cbranch_scc1 .LBB390_10
; %bb.5:
	s_andn2_b64 vcc, exec, s[14:15]
	s_cbranch_vccnz .LBB390_7
; %bb.6:
	s_add_u32 s6, s12, s16
	s_addc_u32 s7, s13, s17
	s_load_dword s8, s[6:7], 0x0
.LBB390_7:
	v_and_b32_e32 v1, 15, v0
	s_movk_i32 s6, 0x50
	v_cmp_gt_u32_e32 vcc, s6, v0
	v_cmp_gt_u32_e64 s[6:7], 8, v1
	s_and_b64 s[12:13], s[6:7], vcc
	s_and_saveexec_b64 s[6:7], s[12:13]
	s_cbranch_execz .LBB390_9
; %bb.8:
	s_load_dword s11, s[4:5], 0x48
	s_load_dwordx2 s[12:13], s[4:5], 0x0
	v_lshrrev_b32_e32 v6, 4, v0
	s_mul_i32 s10, s10, 5
	v_add_lshl_u32 v2, v6, s10, 6
	s_waitcnt lgkmcnt(0)
	s_ashr_i32 s9, s11, 31
	s_mul_hi_u32 s14, s8, s11
	s_mul_i32 s9, s8, s9
	s_add_i32 s9, s14, s9
	s_mul_i32 s8, s8, s11
	s_lshl_b64 s[8:9], s[8:9], 1
	s_add_u32 s8, s12, s8
	v_ashrrev_i32_e32 v3, 31, v2
	s_addc_u32 s9, s13, s9
	v_lshlrev_b64 v[2:3], 1, v[2:3]
	v_mov_b32_e32 v4, s9
	v_add_co_u32_e32 v2, vcc, s8, v2
	v_addc_co_u32_e32 v3, vcc, v4, v3, vcc
	v_lshlrev_b32_e32 v4, 4, v1
	v_add_co_u32_e32 v2, vcc, v2, v4
	v_addc_co_u32_e32 v3, vcc, 0, v3, vcc
	global_load_dwordx4 v[2:5], v[2:3], off
	v_lshlrev_b32_e32 v0, 4, v0
	v_lshlrev_b32_e32 v1, 8, v1
	v_and_b32_e32 v0, 16, v0
	v_lshlrev_b32_e32 v6, 5, v6
	v_and_b32_e32 v1, 0xe00, v1
	v_or3_b32 v0, v1, v6, v0
	s_waitcnt vmcnt(0)
	ds_write_b128 v0, v[2:5]
.LBB390_9:
	s_or_b64 exec, exec, s[6:7]
	s_waitcnt lgkmcnt(0)
	s_add_u32 s8, s4, 0x90
	s_addc_u32 s9, s5, 0
	s_getpc_b64 s[4:5]
	s_add_u32 s4, s4, __PRETTY_FUNCTION__._Z39paged_attention_ll4mi_QKV_mfma16_kernelIDF16_hLN4vllm18Fp8KVCacheDataTypeE1EDF16_Li16ELi64ELi256ELb1ELi5EL8MFMAType1EEvPKT_PKT0_S8_ifPKiSA_SA_iPKfiiiPfSD_PS3_PT2_iSC_SC_@rel32@lo+4
	s_addc_u32 s5, s5, __PRETTY_FUNCTION__._Z39paged_attention_ll4mi_QKV_mfma16_kernelIDF16_hLN4vllm18Fp8KVCacheDataTypeE1EDF16_Li16ELi64ELi256ELb1ELi5EL8MFMAType1EEvPKT_PKT0_S8_ifPKiSA_SA_iPKfiiiPfSD_PS3_PT2_iSC_SC_@rel32@hi+12
	v_mov_b32_e32 v0, 0x288
	v_mov_b32_e32 v1, s4
	;; [unrolled: 1-line block ×3, first 2 shown]
	s_barrier
	s_getpc_b64 s[6:7]
	s_add_u32 s6, s6, __assert_fail@rel32@lo+4
	s_addc_u32 s7, s7, __assert_fail@rel32@hi+12
	s_swappc_b64 s[30:31], s[6:7]
	; divergent unreachable
.LBB390_10:
	s_endpgm
.LBB390_11:
	s_mov_b64 s[18:19], 0
	s_branch .LBB390_2
	.section	.rodata,"a",@progbits
	.p2align	6, 0x0
	.amdhsa_kernel _Z39paged_attention_ll4mi_QKV_mfma16_kernelIDF16_hLN4vllm18Fp8KVCacheDataTypeE1EDF16_Li16ELi64ELi256ELb1ELi5EL8MFMAType1EEvPKT_PKT0_S8_ifPKiSA_SA_iPKfiiiPfSD_PS3_PT2_iSC_SC_
		.amdhsa_group_segment_fixed_size 8192
		.amdhsa_private_segment_fixed_size 64
		.amdhsa_kernarg_size 400
		.amdhsa_user_sgpr_count 8
		.amdhsa_user_sgpr_private_segment_buffer 1
		.amdhsa_user_sgpr_dispatch_ptr 0
		.amdhsa_user_sgpr_queue_ptr 0
		.amdhsa_user_sgpr_kernarg_segment_ptr 1
		.amdhsa_user_sgpr_dispatch_id 0
		.amdhsa_user_sgpr_flat_scratch_init 1
		.amdhsa_user_sgpr_kernarg_preload_length 0
		.amdhsa_user_sgpr_kernarg_preload_offset 0
		.amdhsa_user_sgpr_private_segment_size 0
		.amdhsa_uses_dynamic_stack 0
		.amdhsa_system_sgpr_private_segment_wavefront_offset 1
		.amdhsa_system_sgpr_workgroup_id_x 1
		.amdhsa_system_sgpr_workgroup_id_y 1
		.amdhsa_system_sgpr_workgroup_id_z 1
		.amdhsa_system_sgpr_workgroup_info 0
		.amdhsa_system_vgpr_workitem_id 0
		.amdhsa_next_free_vgpr 45
		.amdhsa_next_free_sgpr 34
		.amdhsa_accum_offset 44
		.amdhsa_reserve_vcc 1
		.amdhsa_reserve_flat_scratch 1
		.amdhsa_float_round_mode_32 0
		.amdhsa_float_round_mode_16_64 0
		.amdhsa_float_denorm_mode_32 3
		.amdhsa_float_denorm_mode_16_64 3
		.amdhsa_dx10_clamp 1
		.amdhsa_ieee_mode 1
		.amdhsa_fp16_overflow 0
		.amdhsa_tg_split 0
		.amdhsa_exception_fp_ieee_invalid_op 0
		.amdhsa_exception_fp_denorm_src 0
		.amdhsa_exception_fp_ieee_div_zero 0
		.amdhsa_exception_fp_ieee_overflow 0
		.amdhsa_exception_fp_ieee_underflow 0
		.amdhsa_exception_fp_ieee_inexact 0
		.amdhsa_exception_int_div_zero 0
	.end_amdhsa_kernel
	.section	.text._Z39paged_attention_ll4mi_QKV_mfma16_kernelIDF16_hLN4vllm18Fp8KVCacheDataTypeE1EDF16_Li16ELi64ELi256ELb1ELi5EL8MFMAType1EEvPKT_PKT0_S8_ifPKiSA_SA_iPKfiiiPfSD_PS3_PT2_iSC_SC_,"axG",@progbits,_Z39paged_attention_ll4mi_QKV_mfma16_kernelIDF16_hLN4vllm18Fp8KVCacheDataTypeE1EDF16_Li16ELi64ELi256ELb1ELi5EL8MFMAType1EEvPKT_PKT0_S8_ifPKiSA_SA_iPKfiiiPfSD_PS3_PT2_iSC_SC_,comdat
.Lfunc_end390:
	.size	_Z39paged_attention_ll4mi_QKV_mfma16_kernelIDF16_hLN4vllm18Fp8KVCacheDataTypeE1EDF16_Li16ELi64ELi256ELb1ELi5EL8MFMAType1EEvPKT_PKT0_S8_ifPKiSA_SA_iPKfiiiPfSD_PS3_PT2_iSC_SC_, .Lfunc_end390-_Z39paged_attention_ll4mi_QKV_mfma16_kernelIDF16_hLN4vllm18Fp8KVCacheDataTypeE1EDF16_Li16ELi64ELi256ELb1ELi5EL8MFMAType1EEvPKT_PKT0_S8_ifPKiSA_SA_iPKfiiiPfSD_PS3_PT2_iSC_SC_
                                        ; -- End function
	.section	.AMDGPU.csdata,"",@progbits
; Kernel info:
; codeLenInByte = 504
; NumSgprs: 40
; NumVgprs: 42
; NumAgprs: 1
; TotalNumVgprs: 45
; ScratchSize: 64
; MemoryBound: 0
; FloatMode: 240
; IeeeMode: 1
; LDSByteSize: 8192 bytes/workgroup (compile time only)
; SGPRBlocks: 4
; VGPRBlocks: 5
; NumSGPRsForWavesPerEU: 40
; NumVGPRsForWavesPerEU: 45
; AccumOffset: 44
; Occupancy: 8
; WaveLimiterHint : 1
; COMPUTE_PGM_RSRC2:SCRATCH_EN: 1
; COMPUTE_PGM_RSRC2:USER_SGPR: 8
; COMPUTE_PGM_RSRC2:TRAP_HANDLER: 0
; COMPUTE_PGM_RSRC2:TGID_X_EN: 1
; COMPUTE_PGM_RSRC2:TGID_Y_EN: 1
; COMPUTE_PGM_RSRC2:TGID_Z_EN: 1
; COMPUTE_PGM_RSRC2:TIDIG_COMP_CNT: 0
; COMPUTE_PGM_RSRC3_GFX90A:ACCUM_OFFSET: 10
; COMPUTE_PGM_RSRC3_GFX90A:TG_SPLIT: 0
	.section	.text._Z39paged_attention_ll4mi_QKV_mfma16_kernelIDF16_hLN4vllm18Fp8KVCacheDataTypeE1EDF16_Li16ELi64ELi256ELb1ELi6EL8MFMAType1EEvPKT_PKT0_S8_ifPKiSA_SA_iPKfiiiPfSD_PS3_PT2_iSC_SC_,"axG",@progbits,_Z39paged_attention_ll4mi_QKV_mfma16_kernelIDF16_hLN4vllm18Fp8KVCacheDataTypeE1EDF16_Li16ELi64ELi256ELb1ELi6EL8MFMAType1EEvPKT_PKT0_S8_ifPKiSA_SA_iPKfiiiPfSD_PS3_PT2_iSC_SC_,comdat
	.protected	_Z39paged_attention_ll4mi_QKV_mfma16_kernelIDF16_hLN4vllm18Fp8KVCacheDataTypeE1EDF16_Li16ELi64ELi256ELb1ELi6EL8MFMAType1EEvPKT_PKT0_S8_ifPKiSA_SA_iPKfiiiPfSD_PS3_PT2_iSC_SC_ ; -- Begin function _Z39paged_attention_ll4mi_QKV_mfma16_kernelIDF16_hLN4vllm18Fp8KVCacheDataTypeE1EDF16_Li16ELi64ELi256ELb1ELi6EL8MFMAType1EEvPKT_PKT0_S8_ifPKiSA_SA_iPKfiiiPfSD_PS3_PT2_iSC_SC_
	.globl	_Z39paged_attention_ll4mi_QKV_mfma16_kernelIDF16_hLN4vllm18Fp8KVCacheDataTypeE1EDF16_Li16ELi64ELi256ELb1ELi6EL8MFMAType1EEvPKT_PKT0_S8_ifPKiSA_SA_iPKfiiiPfSD_PS3_PT2_iSC_SC_
	.p2align	8
	.type	_Z39paged_attention_ll4mi_QKV_mfma16_kernelIDF16_hLN4vllm18Fp8KVCacheDataTypeE1EDF16_Li16ELi64ELi256ELb1ELi6EL8MFMAType1EEvPKT_PKT0_S8_ifPKiSA_SA_iPKfiiiPfSD_PS3_PT2_iSC_SC_,@function
_Z39paged_attention_ll4mi_QKV_mfma16_kernelIDF16_hLN4vllm18Fp8KVCacheDataTypeE1EDF16_Li16ELi64ELi256ELb1ELi6EL8MFMAType1EEvPKT_PKT0_S8_ifPKiSA_SA_iPKfiiiPfSD_PS3_PT2_iSC_SC_: ; @_Z39paged_attention_ll4mi_QKV_mfma16_kernelIDF16_hLN4vllm18Fp8KVCacheDataTypeE1EDF16_Li16ELi64ELi256ELb1ELi6EL8MFMAType1EEvPKT_PKT0_S8_ifPKiSA_SA_iPKfiiiPfSD_PS3_PT2_iSC_SC_
; %bb.0:
	s_load_dwordx2 s[12:13], s[4:5], 0x30
	s_add_u32 flat_scratch_lo, s6, s11
	s_addc_u32 flat_scratch_hi, s7, 0
	s_add_u32 s0, s0, s11
	s_addc_u32 s1, s1, 0
	s_waitcnt lgkmcnt(0)
	s_cmp_lg_u64 s[12:13], 0
	s_cselect_b64 s[14:15], -1, 0
	s_mov_b32 s6, s9
	s_mov_b64 s[16:17], 0
	s_and_b64 vcc, exec, s[14:15]
	s_mov_b32 s32, 0
	s_cbranch_vccz .LBB391_11
; %bb.1:
	s_add_i32 s18, s8, 1
	s_mov_b32 s19, 0
	s_lshl_b64 s[20:21], s[18:19], 2
	s_add_u32 s20, s12, s20
	s_mov_b32 s9, s19
	s_addc_u32 s21, s13, s21
	s_lshl_b64 s[18:19], s[8:9], 2
	s_add_u32 s18, s12, s18
	s_addc_u32 s19, s13, s19
	s_load_dword s7, s[20:21], 0x0
	s_load_dword s11, s[18:19], 0x0
	s_waitcnt lgkmcnt(0)
	s_sub_i32 s7, s7, s11
	s_cmp_eq_u32 s7, 1
	s_cselect_b64 s[18:19], -1, 0
	s_andn2_b64 vcc, exec, s[16:17]
	s_cbranch_vccnz .LBB391_3
.LBB391_2:
	s_mov_b32 s9, 0
	s_mov_b64 s[18:19], -1
.LBB391_3:
	s_andn2_b64 vcc, exec, s[18:19]
	s_cbranch_vccnz .LBB391_10
; %bb.4:
	s_load_dwordx2 s[18:19], s[4:5], 0x28
	s_lshl_b64 s[16:17], s[8:9], 2
	s_waitcnt lgkmcnt(0)
	s_add_u32 s18, s18, s16
	s_addc_u32 s19, s19, s17
	s_load_dword s7, s[18:19], 0x0
	s_lshl_b32 s6, s6, 8
	s_waitcnt lgkmcnt(0)
	s_cmp_ge_i32 s6, s7
	s_cbranch_scc1 .LBB391_10
; %bb.5:
	s_andn2_b64 vcc, exec, s[14:15]
	s_cbranch_vccnz .LBB391_7
; %bb.6:
	s_add_u32 s6, s12, s16
	s_addc_u32 s7, s13, s17
	s_load_dword s8, s[6:7], 0x0
.LBB391_7:
	v_and_b32_e32 v1, 15, v0
	s_movk_i32 s6, 0x60
	v_cmp_gt_u32_e32 vcc, s6, v0
	v_cmp_gt_u32_e64 s[6:7], 8, v1
	s_and_b64 s[12:13], s[6:7], vcc
	s_and_saveexec_b64 s[6:7], s[12:13]
	s_cbranch_execz .LBB391_9
; %bb.8:
	s_load_dword s11, s[4:5], 0x48
	s_load_dwordx2 s[12:13], s[4:5], 0x0
	v_lshrrev_b32_e32 v6, 4, v0
	s_mul_i32 s10, s10, 6
	v_add_lshl_u32 v2, v6, s10, 6
	s_waitcnt lgkmcnt(0)
	s_ashr_i32 s9, s11, 31
	s_mul_hi_u32 s14, s8, s11
	s_mul_i32 s9, s8, s9
	s_add_i32 s9, s14, s9
	s_mul_i32 s8, s8, s11
	s_lshl_b64 s[8:9], s[8:9], 1
	s_add_u32 s8, s12, s8
	v_ashrrev_i32_e32 v3, 31, v2
	s_addc_u32 s9, s13, s9
	v_lshlrev_b64 v[2:3], 1, v[2:3]
	v_mov_b32_e32 v4, s9
	v_add_co_u32_e32 v2, vcc, s8, v2
	v_addc_co_u32_e32 v3, vcc, v4, v3, vcc
	v_lshlrev_b32_e32 v4, 4, v1
	v_add_co_u32_e32 v2, vcc, v2, v4
	v_addc_co_u32_e32 v3, vcc, 0, v3, vcc
	global_load_dwordx4 v[2:5], v[2:3], off
	v_lshlrev_b32_e32 v0, 4, v0
	v_lshlrev_b32_e32 v1, 8, v1
	v_and_b32_e32 v0, 16, v0
	v_lshlrev_b32_e32 v6, 5, v6
	v_and_b32_e32 v1, 0xe00, v1
	v_or3_b32 v0, v1, v6, v0
	s_waitcnt vmcnt(0)
	ds_write_b128 v0, v[2:5]
.LBB391_9:
	s_or_b64 exec, exec, s[6:7]
	s_waitcnt lgkmcnt(0)
	s_add_u32 s8, s4, 0x90
	s_addc_u32 s9, s5, 0
	s_getpc_b64 s[4:5]
	s_add_u32 s4, s4, __PRETTY_FUNCTION__._Z39paged_attention_ll4mi_QKV_mfma16_kernelIDF16_hLN4vllm18Fp8KVCacheDataTypeE1EDF16_Li16ELi64ELi256ELb1ELi6EL8MFMAType1EEvPKT_PKT0_S8_ifPKiSA_SA_iPKfiiiPfSD_PS3_PT2_iSC_SC_@rel32@lo+4
	s_addc_u32 s5, s5, __PRETTY_FUNCTION__._Z39paged_attention_ll4mi_QKV_mfma16_kernelIDF16_hLN4vllm18Fp8KVCacheDataTypeE1EDF16_Li16ELi64ELi256ELb1ELi6EL8MFMAType1EEvPKT_PKT0_S8_ifPKiSA_SA_iPKfiiiPfSD_PS3_PT2_iSC_SC_@rel32@hi+12
	v_mov_b32_e32 v0, 0x288
	v_mov_b32_e32 v1, s4
	;; [unrolled: 1-line block ×3, first 2 shown]
	s_barrier
	s_getpc_b64 s[6:7]
	s_add_u32 s6, s6, __assert_fail@rel32@lo+4
	s_addc_u32 s7, s7, __assert_fail@rel32@hi+12
	s_swappc_b64 s[30:31], s[6:7]
	; divergent unreachable
.LBB391_10:
	s_endpgm
.LBB391_11:
	s_mov_b64 s[18:19], 0
	s_branch .LBB391_2
	.section	.rodata,"a",@progbits
	.p2align	6, 0x0
	.amdhsa_kernel _Z39paged_attention_ll4mi_QKV_mfma16_kernelIDF16_hLN4vllm18Fp8KVCacheDataTypeE1EDF16_Li16ELi64ELi256ELb1ELi6EL8MFMAType1EEvPKT_PKT0_S8_ifPKiSA_SA_iPKfiiiPfSD_PS3_PT2_iSC_SC_
		.amdhsa_group_segment_fixed_size 8192
		.amdhsa_private_segment_fixed_size 64
		.amdhsa_kernarg_size 400
		.amdhsa_user_sgpr_count 8
		.amdhsa_user_sgpr_private_segment_buffer 1
		.amdhsa_user_sgpr_dispatch_ptr 0
		.amdhsa_user_sgpr_queue_ptr 0
		.amdhsa_user_sgpr_kernarg_segment_ptr 1
		.amdhsa_user_sgpr_dispatch_id 0
		.amdhsa_user_sgpr_flat_scratch_init 1
		.amdhsa_user_sgpr_kernarg_preload_length 0
		.amdhsa_user_sgpr_kernarg_preload_offset 0
		.amdhsa_user_sgpr_private_segment_size 0
		.amdhsa_uses_dynamic_stack 0
		.amdhsa_system_sgpr_private_segment_wavefront_offset 1
		.amdhsa_system_sgpr_workgroup_id_x 1
		.amdhsa_system_sgpr_workgroup_id_y 1
		.amdhsa_system_sgpr_workgroup_id_z 1
		.amdhsa_system_sgpr_workgroup_info 0
		.amdhsa_system_vgpr_workitem_id 0
		.amdhsa_next_free_vgpr 45
		.amdhsa_next_free_sgpr 34
		.amdhsa_accum_offset 44
		.amdhsa_reserve_vcc 1
		.amdhsa_reserve_flat_scratch 1
		.amdhsa_float_round_mode_32 0
		.amdhsa_float_round_mode_16_64 0
		.amdhsa_float_denorm_mode_32 3
		.amdhsa_float_denorm_mode_16_64 3
		.amdhsa_dx10_clamp 1
		.amdhsa_ieee_mode 1
		.amdhsa_fp16_overflow 0
		.amdhsa_tg_split 0
		.amdhsa_exception_fp_ieee_invalid_op 0
		.amdhsa_exception_fp_denorm_src 0
		.amdhsa_exception_fp_ieee_div_zero 0
		.amdhsa_exception_fp_ieee_overflow 0
		.amdhsa_exception_fp_ieee_underflow 0
		.amdhsa_exception_fp_ieee_inexact 0
		.amdhsa_exception_int_div_zero 0
	.end_amdhsa_kernel
	.section	.text._Z39paged_attention_ll4mi_QKV_mfma16_kernelIDF16_hLN4vllm18Fp8KVCacheDataTypeE1EDF16_Li16ELi64ELi256ELb1ELi6EL8MFMAType1EEvPKT_PKT0_S8_ifPKiSA_SA_iPKfiiiPfSD_PS3_PT2_iSC_SC_,"axG",@progbits,_Z39paged_attention_ll4mi_QKV_mfma16_kernelIDF16_hLN4vllm18Fp8KVCacheDataTypeE1EDF16_Li16ELi64ELi256ELb1ELi6EL8MFMAType1EEvPKT_PKT0_S8_ifPKiSA_SA_iPKfiiiPfSD_PS3_PT2_iSC_SC_,comdat
.Lfunc_end391:
	.size	_Z39paged_attention_ll4mi_QKV_mfma16_kernelIDF16_hLN4vllm18Fp8KVCacheDataTypeE1EDF16_Li16ELi64ELi256ELb1ELi6EL8MFMAType1EEvPKT_PKT0_S8_ifPKiSA_SA_iPKfiiiPfSD_PS3_PT2_iSC_SC_, .Lfunc_end391-_Z39paged_attention_ll4mi_QKV_mfma16_kernelIDF16_hLN4vllm18Fp8KVCacheDataTypeE1EDF16_Li16ELi64ELi256ELb1ELi6EL8MFMAType1EEvPKT_PKT0_S8_ifPKiSA_SA_iPKfiiiPfSD_PS3_PT2_iSC_SC_
                                        ; -- End function
	.section	.AMDGPU.csdata,"",@progbits
; Kernel info:
; codeLenInByte = 504
; NumSgprs: 40
; NumVgprs: 42
; NumAgprs: 1
; TotalNumVgprs: 45
; ScratchSize: 64
; MemoryBound: 0
; FloatMode: 240
; IeeeMode: 1
; LDSByteSize: 8192 bytes/workgroup (compile time only)
; SGPRBlocks: 4
; VGPRBlocks: 5
; NumSGPRsForWavesPerEU: 40
; NumVGPRsForWavesPerEU: 45
; AccumOffset: 44
; Occupancy: 8
; WaveLimiterHint : 1
; COMPUTE_PGM_RSRC2:SCRATCH_EN: 1
; COMPUTE_PGM_RSRC2:USER_SGPR: 8
; COMPUTE_PGM_RSRC2:TRAP_HANDLER: 0
; COMPUTE_PGM_RSRC2:TGID_X_EN: 1
; COMPUTE_PGM_RSRC2:TGID_Y_EN: 1
; COMPUTE_PGM_RSRC2:TGID_Z_EN: 1
; COMPUTE_PGM_RSRC2:TIDIG_COMP_CNT: 0
; COMPUTE_PGM_RSRC3_GFX90A:ACCUM_OFFSET: 10
; COMPUTE_PGM_RSRC3_GFX90A:TG_SPLIT: 0
	.section	.text._Z39paged_attention_ll4mi_QKV_mfma16_kernelIDF16_hLN4vllm18Fp8KVCacheDataTypeE1EDF16_Li16ELi64ELi256ELb1ELi7EL8MFMAType1EEvPKT_PKT0_S8_ifPKiSA_SA_iPKfiiiPfSD_PS3_PT2_iSC_SC_,"axG",@progbits,_Z39paged_attention_ll4mi_QKV_mfma16_kernelIDF16_hLN4vllm18Fp8KVCacheDataTypeE1EDF16_Li16ELi64ELi256ELb1ELi7EL8MFMAType1EEvPKT_PKT0_S8_ifPKiSA_SA_iPKfiiiPfSD_PS3_PT2_iSC_SC_,comdat
	.protected	_Z39paged_attention_ll4mi_QKV_mfma16_kernelIDF16_hLN4vllm18Fp8KVCacheDataTypeE1EDF16_Li16ELi64ELi256ELb1ELi7EL8MFMAType1EEvPKT_PKT0_S8_ifPKiSA_SA_iPKfiiiPfSD_PS3_PT2_iSC_SC_ ; -- Begin function _Z39paged_attention_ll4mi_QKV_mfma16_kernelIDF16_hLN4vllm18Fp8KVCacheDataTypeE1EDF16_Li16ELi64ELi256ELb1ELi7EL8MFMAType1EEvPKT_PKT0_S8_ifPKiSA_SA_iPKfiiiPfSD_PS3_PT2_iSC_SC_
	.globl	_Z39paged_attention_ll4mi_QKV_mfma16_kernelIDF16_hLN4vllm18Fp8KVCacheDataTypeE1EDF16_Li16ELi64ELi256ELb1ELi7EL8MFMAType1EEvPKT_PKT0_S8_ifPKiSA_SA_iPKfiiiPfSD_PS3_PT2_iSC_SC_
	.p2align	8
	.type	_Z39paged_attention_ll4mi_QKV_mfma16_kernelIDF16_hLN4vllm18Fp8KVCacheDataTypeE1EDF16_Li16ELi64ELi256ELb1ELi7EL8MFMAType1EEvPKT_PKT0_S8_ifPKiSA_SA_iPKfiiiPfSD_PS3_PT2_iSC_SC_,@function
_Z39paged_attention_ll4mi_QKV_mfma16_kernelIDF16_hLN4vllm18Fp8KVCacheDataTypeE1EDF16_Li16ELi64ELi256ELb1ELi7EL8MFMAType1EEvPKT_PKT0_S8_ifPKiSA_SA_iPKfiiiPfSD_PS3_PT2_iSC_SC_: ; @_Z39paged_attention_ll4mi_QKV_mfma16_kernelIDF16_hLN4vllm18Fp8KVCacheDataTypeE1EDF16_Li16ELi64ELi256ELb1ELi7EL8MFMAType1EEvPKT_PKT0_S8_ifPKiSA_SA_iPKfiiiPfSD_PS3_PT2_iSC_SC_
; %bb.0:
	s_load_dwordx2 s[12:13], s[4:5], 0x30
	s_add_u32 flat_scratch_lo, s6, s11
	s_addc_u32 flat_scratch_hi, s7, 0
	s_add_u32 s0, s0, s11
	s_addc_u32 s1, s1, 0
	s_waitcnt lgkmcnt(0)
	s_cmp_lg_u64 s[12:13], 0
	s_cselect_b64 s[14:15], -1, 0
	s_mov_b32 s6, s9
	s_mov_b64 s[16:17], 0
	s_and_b64 vcc, exec, s[14:15]
	s_mov_b32 s32, 0
	s_cbranch_vccz .LBB392_11
; %bb.1:
	s_add_i32 s18, s8, 1
	s_mov_b32 s19, 0
	s_lshl_b64 s[20:21], s[18:19], 2
	s_add_u32 s20, s12, s20
	s_mov_b32 s9, s19
	s_addc_u32 s21, s13, s21
	s_lshl_b64 s[18:19], s[8:9], 2
	s_add_u32 s18, s12, s18
	s_addc_u32 s19, s13, s19
	s_load_dword s7, s[20:21], 0x0
	s_load_dword s11, s[18:19], 0x0
	s_waitcnt lgkmcnt(0)
	s_sub_i32 s7, s7, s11
	s_cmp_eq_u32 s7, 1
	s_cselect_b64 s[18:19], -1, 0
	s_andn2_b64 vcc, exec, s[16:17]
	s_cbranch_vccnz .LBB392_3
.LBB392_2:
	s_mov_b32 s9, 0
	s_mov_b64 s[18:19], -1
.LBB392_3:
	s_andn2_b64 vcc, exec, s[18:19]
	s_cbranch_vccnz .LBB392_10
; %bb.4:
	s_load_dwordx2 s[18:19], s[4:5], 0x28
	s_lshl_b64 s[16:17], s[8:9], 2
	s_waitcnt lgkmcnt(0)
	s_add_u32 s18, s18, s16
	s_addc_u32 s19, s19, s17
	s_load_dword s7, s[18:19], 0x0
	s_lshl_b32 s6, s6, 8
	s_waitcnt lgkmcnt(0)
	s_cmp_ge_i32 s6, s7
	s_cbranch_scc1 .LBB392_10
; %bb.5:
	s_andn2_b64 vcc, exec, s[14:15]
	s_cbranch_vccnz .LBB392_7
; %bb.6:
	s_add_u32 s6, s12, s16
	s_addc_u32 s7, s13, s17
	s_load_dword s8, s[6:7], 0x0
.LBB392_7:
	v_and_b32_e32 v1, 15, v0
	s_movk_i32 s6, 0x70
	v_cmp_gt_u32_e32 vcc, s6, v0
	v_cmp_gt_u32_e64 s[6:7], 8, v1
	s_and_b64 s[12:13], s[6:7], vcc
	s_and_saveexec_b64 s[6:7], s[12:13]
	s_cbranch_execz .LBB392_9
; %bb.8:
	s_load_dword s11, s[4:5], 0x48
	s_load_dwordx2 s[12:13], s[4:5], 0x0
	v_lshrrev_b32_e32 v6, 4, v0
	s_mul_i32 s10, s10, 7
	v_add_lshl_u32 v2, v6, s10, 6
	s_waitcnt lgkmcnt(0)
	s_ashr_i32 s9, s11, 31
	s_mul_hi_u32 s14, s8, s11
	s_mul_i32 s9, s8, s9
	s_add_i32 s9, s14, s9
	s_mul_i32 s8, s8, s11
	s_lshl_b64 s[8:9], s[8:9], 1
	s_add_u32 s8, s12, s8
	v_ashrrev_i32_e32 v3, 31, v2
	s_addc_u32 s9, s13, s9
	v_lshlrev_b64 v[2:3], 1, v[2:3]
	v_mov_b32_e32 v4, s9
	v_add_co_u32_e32 v2, vcc, s8, v2
	v_addc_co_u32_e32 v3, vcc, v4, v3, vcc
	v_lshlrev_b32_e32 v4, 4, v1
	v_add_co_u32_e32 v2, vcc, v2, v4
	v_addc_co_u32_e32 v3, vcc, 0, v3, vcc
	global_load_dwordx4 v[2:5], v[2:3], off
	v_lshlrev_b32_e32 v0, 4, v0
	v_lshlrev_b32_e32 v1, 8, v1
	v_and_b32_e32 v0, 16, v0
	v_lshlrev_b32_e32 v6, 5, v6
	v_and_b32_e32 v1, 0xe00, v1
	v_or3_b32 v0, v1, v6, v0
	s_waitcnt vmcnt(0)
	ds_write_b128 v0, v[2:5]
.LBB392_9:
	s_or_b64 exec, exec, s[6:7]
	s_waitcnt lgkmcnt(0)
	s_add_u32 s8, s4, 0x90
	s_addc_u32 s9, s5, 0
	s_getpc_b64 s[4:5]
	s_add_u32 s4, s4, __PRETTY_FUNCTION__._Z39paged_attention_ll4mi_QKV_mfma16_kernelIDF16_hLN4vllm18Fp8KVCacheDataTypeE1EDF16_Li16ELi64ELi256ELb1ELi7EL8MFMAType1EEvPKT_PKT0_S8_ifPKiSA_SA_iPKfiiiPfSD_PS3_PT2_iSC_SC_@rel32@lo+4
	s_addc_u32 s5, s5, __PRETTY_FUNCTION__._Z39paged_attention_ll4mi_QKV_mfma16_kernelIDF16_hLN4vllm18Fp8KVCacheDataTypeE1EDF16_Li16ELi64ELi256ELb1ELi7EL8MFMAType1EEvPKT_PKT0_S8_ifPKiSA_SA_iPKfiiiPfSD_PS3_PT2_iSC_SC_@rel32@hi+12
	v_mov_b32_e32 v0, 0x288
	v_mov_b32_e32 v1, s4
	;; [unrolled: 1-line block ×3, first 2 shown]
	s_barrier
	s_getpc_b64 s[6:7]
	s_add_u32 s6, s6, __assert_fail@rel32@lo+4
	s_addc_u32 s7, s7, __assert_fail@rel32@hi+12
	s_swappc_b64 s[30:31], s[6:7]
	; divergent unreachable
.LBB392_10:
	s_endpgm
.LBB392_11:
	s_mov_b64 s[18:19], 0
	s_branch .LBB392_2
	.section	.rodata,"a",@progbits
	.p2align	6, 0x0
	.amdhsa_kernel _Z39paged_attention_ll4mi_QKV_mfma16_kernelIDF16_hLN4vllm18Fp8KVCacheDataTypeE1EDF16_Li16ELi64ELi256ELb1ELi7EL8MFMAType1EEvPKT_PKT0_S8_ifPKiSA_SA_iPKfiiiPfSD_PS3_PT2_iSC_SC_
		.amdhsa_group_segment_fixed_size 8192
		.amdhsa_private_segment_fixed_size 64
		.amdhsa_kernarg_size 400
		.amdhsa_user_sgpr_count 8
		.amdhsa_user_sgpr_private_segment_buffer 1
		.amdhsa_user_sgpr_dispatch_ptr 0
		.amdhsa_user_sgpr_queue_ptr 0
		.amdhsa_user_sgpr_kernarg_segment_ptr 1
		.amdhsa_user_sgpr_dispatch_id 0
		.amdhsa_user_sgpr_flat_scratch_init 1
		.amdhsa_user_sgpr_kernarg_preload_length 0
		.amdhsa_user_sgpr_kernarg_preload_offset 0
		.amdhsa_user_sgpr_private_segment_size 0
		.amdhsa_uses_dynamic_stack 0
		.amdhsa_system_sgpr_private_segment_wavefront_offset 1
		.amdhsa_system_sgpr_workgroup_id_x 1
		.amdhsa_system_sgpr_workgroup_id_y 1
		.amdhsa_system_sgpr_workgroup_id_z 1
		.amdhsa_system_sgpr_workgroup_info 0
		.amdhsa_system_vgpr_workitem_id 0
		.amdhsa_next_free_vgpr 45
		.amdhsa_next_free_sgpr 34
		.amdhsa_accum_offset 44
		.amdhsa_reserve_vcc 1
		.amdhsa_reserve_flat_scratch 1
		.amdhsa_float_round_mode_32 0
		.amdhsa_float_round_mode_16_64 0
		.amdhsa_float_denorm_mode_32 3
		.amdhsa_float_denorm_mode_16_64 3
		.amdhsa_dx10_clamp 1
		.amdhsa_ieee_mode 1
		.amdhsa_fp16_overflow 0
		.amdhsa_tg_split 0
		.amdhsa_exception_fp_ieee_invalid_op 0
		.amdhsa_exception_fp_denorm_src 0
		.amdhsa_exception_fp_ieee_div_zero 0
		.amdhsa_exception_fp_ieee_overflow 0
		.amdhsa_exception_fp_ieee_underflow 0
		.amdhsa_exception_fp_ieee_inexact 0
		.amdhsa_exception_int_div_zero 0
	.end_amdhsa_kernel
	.section	.text._Z39paged_attention_ll4mi_QKV_mfma16_kernelIDF16_hLN4vllm18Fp8KVCacheDataTypeE1EDF16_Li16ELi64ELi256ELb1ELi7EL8MFMAType1EEvPKT_PKT0_S8_ifPKiSA_SA_iPKfiiiPfSD_PS3_PT2_iSC_SC_,"axG",@progbits,_Z39paged_attention_ll4mi_QKV_mfma16_kernelIDF16_hLN4vllm18Fp8KVCacheDataTypeE1EDF16_Li16ELi64ELi256ELb1ELi7EL8MFMAType1EEvPKT_PKT0_S8_ifPKiSA_SA_iPKfiiiPfSD_PS3_PT2_iSC_SC_,comdat
.Lfunc_end392:
	.size	_Z39paged_attention_ll4mi_QKV_mfma16_kernelIDF16_hLN4vllm18Fp8KVCacheDataTypeE1EDF16_Li16ELi64ELi256ELb1ELi7EL8MFMAType1EEvPKT_PKT0_S8_ifPKiSA_SA_iPKfiiiPfSD_PS3_PT2_iSC_SC_, .Lfunc_end392-_Z39paged_attention_ll4mi_QKV_mfma16_kernelIDF16_hLN4vllm18Fp8KVCacheDataTypeE1EDF16_Li16ELi64ELi256ELb1ELi7EL8MFMAType1EEvPKT_PKT0_S8_ifPKiSA_SA_iPKfiiiPfSD_PS3_PT2_iSC_SC_
                                        ; -- End function
	.section	.AMDGPU.csdata,"",@progbits
; Kernel info:
; codeLenInByte = 504
; NumSgprs: 40
; NumVgprs: 42
; NumAgprs: 1
; TotalNumVgprs: 45
; ScratchSize: 64
; MemoryBound: 0
; FloatMode: 240
; IeeeMode: 1
; LDSByteSize: 8192 bytes/workgroup (compile time only)
; SGPRBlocks: 4
; VGPRBlocks: 5
; NumSGPRsForWavesPerEU: 40
; NumVGPRsForWavesPerEU: 45
; AccumOffset: 44
; Occupancy: 8
; WaveLimiterHint : 1
; COMPUTE_PGM_RSRC2:SCRATCH_EN: 1
; COMPUTE_PGM_RSRC2:USER_SGPR: 8
; COMPUTE_PGM_RSRC2:TRAP_HANDLER: 0
; COMPUTE_PGM_RSRC2:TGID_X_EN: 1
; COMPUTE_PGM_RSRC2:TGID_Y_EN: 1
; COMPUTE_PGM_RSRC2:TGID_Z_EN: 1
; COMPUTE_PGM_RSRC2:TIDIG_COMP_CNT: 0
; COMPUTE_PGM_RSRC3_GFX90A:ACCUM_OFFSET: 10
; COMPUTE_PGM_RSRC3_GFX90A:TG_SPLIT: 0
	.section	.text._Z39paged_attention_ll4mi_QKV_mfma16_kernelIDF16_hLN4vllm18Fp8KVCacheDataTypeE1EDF16_Li16ELi64ELi256ELb1ELi8EL8MFMAType1EEvPKT_PKT0_S8_ifPKiSA_SA_iPKfiiiPfSD_PS3_PT2_iSC_SC_,"axG",@progbits,_Z39paged_attention_ll4mi_QKV_mfma16_kernelIDF16_hLN4vllm18Fp8KVCacheDataTypeE1EDF16_Li16ELi64ELi256ELb1ELi8EL8MFMAType1EEvPKT_PKT0_S8_ifPKiSA_SA_iPKfiiiPfSD_PS3_PT2_iSC_SC_,comdat
	.protected	_Z39paged_attention_ll4mi_QKV_mfma16_kernelIDF16_hLN4vllm18Fp8KVCacheDataTypeE1EDF16_Li16ELi64ELi256ELb1ELi8EL8MFMAType1EEvPKT_PKT0_S8_ifPKiSA_SA_iPKfiiiPfSD_PS3_PT2_iSC_SC_ ; -- Begin function _Z39paged_attention_ll4mi_QKV_mfma16_kernelIDF16_hLN4vllm18Fp8KVCacheDataTypeE1EDF16_Li16ELi64ELi256ELb1ELi8EL8MFMAType1EEvPKT_PKT0_S8_ifPKiSA_SA_iPKfiiiPfSD_PS3_PT2_iSC_SC_
	.globl	_Z39paged_attention_ll4mi_QKV_mfma16_kernelIDF16_hLN4vllm18Fp8KVCacheDataTypeE1EDF16_Li16ELi64ELi256ELb1ELi8EL8MFMAType1EEvPKT_PKT0_S8_ifPKiSA_SA_iPKfiiiPfSD_PS3_PT2_iSC_SC_
	.p2align	8
	.type	_Z39paged_attention_ll4mi_QKV_mfma16_kernelIDF16_hLN4vllm18Fp8KVCacheDataTypeE1EDF16_Li16ELi64ELi256ELb1ELi8EL8MFMAType1EEvPKT_PKT0_S8_ifPKiSA_SA_iPKfiiiPfSD_PS3_PT2_iSC_SC_,@function
_Z39paged_attention_ll4mi_QKV_mfma16_kernelIDF16_hLN4vllm18Fp8KVCacheDataTypeE1EDF16_Li16ELi64ELi256ELb1ELi8EL8MFMAType1EEvPKT_PKT0_S8_ifPKiSA_SA_iPKfiiiPfSD_PS3_PT2_iSC_SC_: ; @_Z39paged_attention_ll4mi_QKV_mfma16_kernelIDF16_hLN4vllm18Fp8KVCacheDataTypeE1EDF16_Li16ELi64ELi256ELb1ELi8EL8MFMAType1EEvPKT_PKT0_S8_ifPKiSA_SA_iPKfiiiPfSD_PS3_PT2_iSC_SC_
; %bb.0:
	s_load_dwordx2 s[12:13], s[4:5], 0x30
	s_add_u32 flat_scratch_lo, s6, s11
	s_addc_u32 flat_scratch_hi, s7, 0
	s_add_u32 s0, s0, s11
	s_addc_u32 s1, s1, 0
	s_waitcnt lgkmcnt(0)
	s_cmp_lg_u64 s[12:13], 0
	s_cselect_b64 s[14:15], -1, 0
	s_mov_b32 s6, s9
	s_mov_b64 s[16:17], 0
	s_and_b64 vcc, exec, s[14:15]
	s_mov_b32 s32, 0
	s_cbranch_vccz .LBB393_11
; %bb.1:
	s_add_i32 s18, s8, 1
	s_mov_b32 s19, 0
	s_lshl_b64 s[20:21], s[18:19], 2
	s_add_u32 s20, s12, s20
	s_mov_b32 s9, s19
	s_addc_u32 s21, s13, s21
	s_lshl_b64 s[18:19], s[8:9], 2
	s_add_u32 s18, s12, s18
	s_addc_u32 s19, s13, s19
	s_load_dword s7, s[20:21], 0x0
	s_load_dword s11, s[18:19], 0x0
	s_waitcnt lgkmcnt(0)
	s_sub_i32 s7, s7, s11
	s_cmp_eq_u32 s7, 1
	s_cselect_b64 s[18:19], -1, 0
	s_andn2_b64 vcc, exec, s[16:17]
	s_cbranch_vccnz .LBB393_3
.LBB393_2:
	s_mov_b32 s9, 0
	s_mov_b64 s[18:19], -1
.LBB393_3:
	s_andn2_b64 vcc, exec, s[18:19]
	s_cbranch_vccnz .LBB393_10
; %bb.4:
	s_load_dwordx2 s[18:19], s[4:5], 0x28
	s_lshl_b64 s[16:17], s[8:9], 2
	s_waitcnt lgkmcnt(0)
	s_add_u32 s18, s18, s16
	s_addc_u32 s19, s19, s17
	s_load_dword s7, s[18:19], 0x0
	s_lshl_b32 s6, s6, 8
	s_waitcnt lgkmcnt(0)
	s_cmp_ge_i32 s6, s7
	s_cbranch_scc1 .LBB393_10
; %bb.5:
	s_andn2_b64 vcc, exec, s[14:15]
	s_cbranch_vccnz .LBB393_7
; %bb.6:
	s_add_u32 s6, s12, s16
	s_addc_u32 s7, s13, s17
	s_load_dword s8, s[6:7], 0x0
.LBB393_7:
	v_and_b32_e32 v1, 15, v0
	s_movk_i32 s6, 0x80
	v_cmp_gt_u32_e32 vcc, s6, v0
	v_cmp_gt_u32_e64 s[6:7], 8, v1
	s_and_b64 s[12:13], vcc, s[6:7]
	s_and_saveexec_b64 s[6:7], s[12:13]
	s_cbranch_execz .LBB393_9
; %bb.8:
	s_load_dword s9, s[4:5], 0x48
	s_load_dwordx2 s[12:13], s[4:5], 0x0
	v_lshrrev_b32_e32 v6, 4, v0
	v_lshlrev_b32_e32 v2, 6, v6
	v_lshl_or_b32 v2, s10, 9, v2
	s_waitcnt lgkmcnt(0)
	s_ashr_i32 s11, s9, 31
	s_mul_hi_u32 s15, s8, s9
	s_mul_i32 s14, s8, s9
	s_mul_i32 s8, s8, s11
	s_add_i32 s15, s15, s8
	s_lshl_b64 s[8:9], s[14:15], 1
	s_add_u32 s8, s12, s8
	v_ashrrev_i32_e32 v3, 31, v2
	s_addc_u32 s9, s13, s9
	v_lshlrev_b64 v[2:3], 1, v[2:3]
	v_mov_b32_e32 v4, s9
	v_add_co_u32_e32 v2, vcc, s8, v2
	v_addc_co_u32_e32 v3, vcc, v4, v3, vcc
	v_lshlrev_b32_e32 v4, 4, v1
	v_add_co_u32_e32 v2, vcc, v2, v4
	v_addc_co_u32_e32 v3, vcc, 0, v3, vcc
	global_load_dwordx4 v[2:5], v[2:3], off
	v_lshlrev_b32_e32 v0, 4, v0
	v_lshlrev_b32_e32 v1, 8, v1
	v_and_b32_e32 v0, 16, v0
	v_lshlrev_b32_e32 v6, 5, v6
	v_and_b32_e32 v1, 0xe00, v1
	v_or3_b32 v0, v1, v6, v0
	s_waitcnt vmcnt(0)
	ds_write_b128 v0, v[2:5]
.LBB393_9:
	s_or_b64 exec, exec, s[6:7]
	s_waitcnt lgkmcnt(0)
	s_add_u32 s8, s4, 0x90
	s_addc_u32 s9, s5, 0
	s_getpc_b64 s[4:5]
	s_add_u32 s4, s4, __PRETTY_FUNCTION__._Z39paged_attention_ll4mi_QKV_mfma16_kernelIDF16_hLN4vllm18Fp8KVCacheDataTypeE1EDF16_Li16ELi64ELi256ELb1ELi8EL8MFMAType1EEvPKT_PKT0_S8_ifPKiSA_SA_iPKfiiiPfSD_PS3_PT2_iSC_SC_@rel32@lo+4
	s_addc_u32 s5, s5, __PRETTY_FUNCTION__._Z39paged_attention_ll4mi_QKV_mfma16_kernelIDF16_hLN4vllm18Fp8KVCacheDataTypeE1EDF16_Li16ELi64ELi256ELb1ELi8EL8MFMAType1EEvPKT_PKT0_S8_ifPKiSA_SA_iPKfiiiPfSD_PS3_PT2_iSC_SC_@rel32@hi+12
	v_mov_b32_e32 v0, 0x288
	v_mov_b32_e32 v1, s4
	;; [unrolled: 1-line block ×3, first 2 shown]
	s_barrier
	s_getpc_b64 s[6:7]
	s_add_u32 s6, s6, __assert_fail@rel32@lo+4
	s_addc_u32 s7, s7, __assert_fail@rel32@hi+12
	s_swappc_b64 s[30:31], s[6:7]
	; divergent unreachable
.LBB393_10:
	s_endpgm
.LBB393_11:
	s_mov_b64 s[18:19], 0
	s_branch .LBB393_2
	.section	.rodata,"a",@progbits
	.p2align	6, 0x0
	.amdhsa_kernel _Z39paged_attention_ll4mi_QKV_mfma16_kernelIDF16_hLN4vllm18Fp8KVCacheDataTypeE1EDF16_Li16ELi64ELi256ELb1ELi8EL8MFMAType1EEvPKT_PKT0_S8_ifPKiSA_SA_iPKfiiiPfSD_PS3_PT2_iSC_SC_
		.amdhsa_group_segment_fixed_size 8192
		.amdhsa_private_segment_fixed_size 64
		.amdhsa_kernarg_size 400
		.amdhsa_user_sgpr_count 8
		.amdhsa_user_sgpr_private_segment_buffer 1
		.amdhsa_user_sgpr_dispatch_ptr 0
		.amdhsa_user_sgpr_queue_ptr 0
		.amdhsa_user_sgpr_kernarg_segment_ptr 1
		.amdhsa_user_sgpr_dispatch_id 0
		.amdhsa_user_sgpr_flat_scratch_init 1
		.amdhsa_user_sgpr_kernarg_preload_length 0
		.amdhsa_user_sgpr_kernarg_preload_offset 0
		.amdhsa_user_sgpr_private_segment_size 0
		.amdhsa_uses_dynamic_stack 0
		.amdhsa_system_sgpr_private_segment_wavefront_offset 1
		.amdhsa_system_sgpr_workgroup_id_x 1
		.amdhsa_system_sgpr_workgroup_id_y 1
		.amdhsa_system_sgpr_workgroup_id_z 1
		.amdhsa_system_sgpr_workgroup_info 0
		.amdhsa_system_vgpr_workitem_id 0
		.amdhsa_next_free_vgpr 45
		.amdhsa_next_free_sgpr 34
		.amdhsa_accum_offset 44
		.amdhsa_reserve_vcc 1
		.amdhsa_reserve_flat_scratch 1
		.amdhsa_float_round_mode_32 0
		.amdhsa_float_round_mode_16_64 0
		.amdhsa_float_denorm_mode_32 3
		.amdhsa_float_denorm_mode_16_64 3
		.amdhsa_dx10_clamp 1
		.amdhsa_ieee_mode 1
		.amdhsa_fp16_overflow 0
		.amdhsa_tg_split 0
		.amdhsa_exception_fp_ieee_invalid_op 0
		.amdhsa_exception_fp_denorm_src 0
		.amdhsa_exception_fp_ieee_div_zero 0
		.amdhsa_exception_fp_ieee_overflow 0
		.amdhsa_exception_fp_ieee_underflow 0
		.amdhsa_exception_fp_ieee_inexact 0
		.amdhsa_exception_int_div_zero 0
	.end_amdhsa_kernel
	.section	.text._Z39paged_attention_ll4mi_QKV_mfma16_kernelIDF16_hLN4vllm18Fp8KVCacheDataTypeE1EDF16_Li16ELi64ELi256ELb1ELi8EL8MFMAType1EEvPKT_PKT0_S8_ifPKiSA_SA_iPKfiiiPfSD_PS3_PT2_iSC_SC_,"axG",@progbits,_Z39paged_attention_ll4mi_QKV_mfma16_kernelIDF16_hLN4vllm18Fp8KVCacheDataTypeE1EDF16_Li16ELi64ELi256ELb1ELi8EL8MFMAType1EEvPKT_PKT0_S8_ifPKiSA_SA_iPKfiiiPfSD_PS3_PT2_iSC_SC_,comdat
.Lfunc_end393:
	.size	_Z39paged_attention_ll4mi_QKV_mfma16_kernelIDF16_hLN4vllm18Fp8KVCacheDataTypeE1EDF16_Li16ELi64ELi256ELb1ELi8EL8MFMAType1EEvPKT_PKT0_S8_ifPKiSA_SA_iPKfiiiPfSD_PS3_PT2_iSC_SC_, .Lfunc_end393-_Z39paged_attention_ll4mi_QKV_mfma16_kernelIDF16_hLN4vllm18Fp8KVCacheDataTypeE1EDF16_Li16ELi64ELi256ELb1ELi8EL8MFMAType1EEvPKT_PKT0_S8_ifPKiSA_SA_iPKfiiiPfSD_PS3_PT2_iSC_SC_
                                        ; -- End function
	.section	.AMDGPU.csdata,"",@progbits
; Kernel info:
; codeLenInByte = 504
; NumSgprs: 40
; NumVgprs: 42
; NumAgprs: 1
; TotalNumVgprs: 45
; ScratchSize: 64
; MemoryBound: 0
; FloatMode: 240
; IeeeMode: 1
; LDSByteSize: 8192 bytes/workgroup (compile time only)
; SGPRBlocks: 4
; VGPRBlocks: 5
; NumSGPRsForWavesPerEU: 40
; NumVGPRsForWavesPerEU: 45
; AccumOffset: 44
; Occupancy: 8
; WaveLimiterHint : 1
; COMPUTE_PGM_RSRC2:SCRATCH_EN: 1
; COMPUTE_PGM_RSRC2:USER_SGPR: 8
; COMPUTE_PGM_RSRC2:TRAP_HANDLER: 0
; COMPUTE_PGM_RSRC2:TGID_X_EN: 1
; COMPUTE_PGM_RSRC2:TGID_Y_EN: 1
; COMPUTE_PGM_RSRC2:TGID_Z_EN: 1
; COMPUTE_PGM_RSRC2:TIDIG_COMP_CNT: 0
; COMPUTE_PGM_RSRC3_GFX90A:ACCUM_OFFSET: 10
; COMPUTE_PGM_RSRC3_GFX90A:TG_SPLIT: 0
	.section	.text._Z39paged_attention_ll4mi_QKV_mfma16_kernelIDF16_hLN4vllm18Fp8KVCacheDataTypeE1EDF16_Li16ELi64ELi256ELb1ELi9EL8MFMAType1EEvPKT_PKT0_S8_ifPKiSA_SA_iPKfiiiPfSD_PS3_PT2_iSC_SC_,"axG",@progbits,_Z39paged_attention_ll4mi_QKV_mfma16_kernelIDF16_hLN4vllm18Fp8KVCacheDataTypeE1EDF16_Li16ELi64ELi256ELb1ELi9EL8MFMAType1EEvPKT_PKT0_S8_ifPKiSA_SA_iPKfiiiPfSD_PS3_PT2_iSC_SC_,comdat
	.protected	_Z39paged_attention_ll4mi_QKV_mfma16_kernelIDF16_hLN4vllm18Fp8KVCacheDataTypeE1EDF16_Li16ELi64ELi256ELb1ELi9EL8MFMAType1EEvPKT_PKT0_S8_ifPKiSA_SA_iPKfiiiPfSD_PS3_PT2_iSC_SC_ ; -- Begin function _Z39paged_attention_ll4mi_QKV_mfma16_kernelIDF16_hLN4vllm18Fp8KVCacheDataTypeE1EDF16_Li16ELi64ELi256ELb1ELi9EL8MFMAType1EEvPKT_PKT0_S8_ifPKiSA_SA_iPKfiiiPfSD_PS3_PT2_iSC_SC_
	.globl	_Z39paged_attention_ll4mi_QKV_mfma16_kernelIDF16_hLN4vllm18Fp8KVCacheDataTypeE1EDF16_Li16ELi64ELi256ELb1ELi9EL8MFMAType1EEvPKT_PKT0_S8_ifPKiSA_SA_iPKfiiiPfSD_PS3_PT2_iSC_SC_
	.p2align	8
	.type	_Z39paged_attention_ll4mi_QKV_mfma16_kernelIDF16_hLN4vllm18Fp8KVCacheDataTypeE1EDF16_Li16ELi64ELi256ELb1ELi9EL8MFMAType1EEvPKT_PKT0_S8_ifPKiSA_SA_iPKfiiiPfSD_PS3_PT2_iSC_SC_,@function
_Z39paged_attention_ll4mi_QKV_mfma16_kernelIDF16_hLN4vllm18Fp8KVCacheDataTypeE1EDF16_Li16ELi64ELi256ELb1ELi9EL8MFMAType1EEvPKT_PKT0_S8_ifPKiSA_SA_iPKfiiiPfSD_PS3_PT2_iSC_SC_: ; @_Z39paged_attention_ll4mi_QKV_mfma16_kernelIDF16_hLN4vllm18Fp8KVCacheDataTypeE1EDF16_Li16ELi64ELi256ELb1ELi9EL8MFMAType1EEvPKT_PKT0_S8_ifPKiSA_SA_iPKfiiiPfSD_PS3_PT2_iSC_SC_
; %bb.0:
	s_load_dwordx2 s[12:13], s[4:5], 0x30
	s_add_u32 flat_scratch_lo, s6, s11
	s_addc_u32 flat_scratch_hi, s7, 0
	s_add_u32 s0, s0, s11
	s_addc_u32 s1, s1, 0
	s_waitcnt lgkmcnt(0)
	s_cmp_lg_u64 s[12:13], 0
	s_cselect_b64 s[14:15], -1, 0
	s_mov_b32 s6, s9
	s_mov_b64 s[16:17], 0
	s_and_b64 vcc, exec, s[14:15]
	s_mov_b32 s32, 0
	s_cbranch_vccz .LBB394_11
; %bb.1:
	s_add_i32 s18, s8, 1
	s_mov_b32 s19, 0
	s_lshl_b64 s[20:21], s[18:19], 2
	s_add_u32 s20, s12, s20
	s_mov_b32 s9, s19
	s_addc_u32 s21, s13, s21
	s_lshl_b64 s[18:19], s[8:9], 2
	s_add_u32 s18, s12, s18
	s_addc_u32 s19, s13, s19
	s_load_dword s7, s[20:21], 0x0
	s_load_dword s11, s[18:19], 0x0
	s_waitcnt lgkmcnt(0)
	s_sub_i32 s7, s7, s11
	s_cmp_eq_u32 s7, 1
	s_cselect_b64 s[18:19], -1, 0
	s_andn2_b64 vcc, exec, s[16:17]
	s_cbranch_vccnz .LBB394_3
.LBB394_2:
	s_mov_b32 s9, 0
	s_mov_b64 s[18:19], -1
.LBB394_3:
	s_andn2_b64 vcc, exec, s[18:19]
	s_cbranch_vccnz .LBB394_10
; %bb.4:
	s_load_dwordx2 s[18:19], s[4:5], 0x28
	s_lshl_b64 s[16:17], s[8:9], 2
	s_waitcnt lgkmcnt(0)
	s_add_u32 s18, s18, s16
	s_addc_u32 s19, s19, s17
	s_load_dword s7, s[18:19], 0x0
	s_lshl_b32 s6, s6, 8
	s_waitcnt lgkmcnt(0)
	s_cmp_ge_i32 s6, s7
	s_cbranch_scc1 .LBB394_10
; %bb.5:
	s_andn2_b64 vcc, exec, s[14:15]
	s_cbranch_vccnz .LBB394_7
; %bb.6:
	s_add_u32 s6, s12, s16
	s_addc_u32 s7, s13, s17
	s_load_dword s8, s[6:7], 0x0
.LBB394_7:
	v_and_b32_e32 v1, 15, v0
	s_movk_i32 s6, 0x90
	v_cmp_gt_u32_e32 vcc, s6, v0
	v_cmp_gt_u32_e64 s[6:7], 8, v1
	s_and_b64 s[12:13], s[6:7], vcc
	s_and_saveexec_b64 s[6:7], s[12:13]
	s_cbranch_execz .LBB394_9
; %bb.8:
	s_load_dword s11, s[4:5], 0x48
	s_load_dwordx2 s[12:13], s[4:5], 0x0
	v_lshrrev_b32_e32 v6, 4, v0
	s_mul_i32 s10, s10, 9
	v_add_lshl_u32 v2, v6, s10, 6
	s_waitcnt lgkmcnt(0)
	s_ashr_i32 s9, s11, 31
	s_mul_hi_u32 s14, s8, s11
	s_mul_i32 s9, s8, s9
	s_add_i32 s9, s14, s9
	s_mul_i32 s8, s8, s11
	s_lshl_b64 s[8:9], s[8:9], 1
	s_add_u32 s8, s12, s8
	v_ashrrev_i32_e32 v3, 31, v2
	s_addc_u32 s9, s13, s9
	v_lshlrev_b64 v[2:3], 1, v[2:3]
	v_mov_b32_e32 v4, s9
	v_add_co_u32_e32 v2, vcc, s8, v2
	v_addc_co_u32_e32 v3, vcc, v4, v3, vcc
	v_lshlrev_b32_e32 v4, 4, v1
	v_add_co_u32_e32 v2, vcc, v2, v4
	v_addc_co_u32_e32 v3, vcc, 0, v3, vcc
	global_load_dwordx4 v[2:5], v[2:3], off
	v_lshlrev_b32_e32 v0, 4, v0
	v_lshlrev_b32_e32 v1, 8, v1
	v_and_b32_e32 v0, 16, v0
	v_lshlrev_b32_e32 v6, 5, v6
	v_and_b32_e32 v1, 0xe00, v1
	v_or3_b32 v0, v1, v6, v0
	s_waitcnt vmcnt(0)
	ds_write_b128 v0, v[2:5]
.LBB394_9:
	s_or_b64 exec, exec, s[6:7]
	s_waitcnt lgkmcnt(0)
	s_add_u32 s8, s4, 0x90
	s_addc_u32 s9, s5, 0
	s_getpc_b64 s[4:5]
	s_add_u32 s4, s4, __PRETTY_FUNCTION__._Z39paged_attention_ll4mi_QKV_mfma16_kernelIDF16_hLN4vllm18Fp8KVCacheDataTypeE1EDF16_Li16ELi64ELi256ELb1ELi9EL8MFMAType1EEvPKT_PKT0_S8_ifPKiSA_SA_iPKfiiiPfSD_PS3_PT2_iSC_SC_@rel32@lo+4
	s_addc_u32 s5, s5, __PRETTY_FUNCTION__._Z39paged_attention_ll4mi_QKV_mfma16_kernelIDF16_hLN4vllm18Fp8KVCacheDataTypeE1EDF16_Li16ELi64ELi256ELb1ELi9EL8MFMAType1EEvPKT_PKT0_S8_ifPKiSA_SA_iPKfiiiPfSD_PS3_PT2_iSC_SC_@rel32@hi+12
	v_mov_b32_e32 v0, 0x288
	v_mov_b32_e32 v1, s4
	;; [unrolled: 1-line block ×3, first 2 shown]
	s_barrier
	s_getpc_b64 s[6:7]
	s_add_u32 s6, s6, __assert_fail@rel32@lo+4
	s_addc_u32 s7, s7, __assert_fail@rel32@hi+12
	s_swappc_b64 s[30:31], s[6:7]
	; divergent unreachable
.LBB394_10:
	s_endpgm
.LBB394_11:
	s_mov_b64 s[18:19], 0
	s_branch .LBB394_2
	.section	.rodata,"a",@progbits
	.p2align	6, 0x0
	.amdhsa_kernel _Z39paged_attention_ll4mi_QKV_mfma16_kernelIDF16_hLN4vllm18Fp8KVCacheDataTypeE1EDF16_Li16ELi64ELi256ELb1ELi9EL8MFMAType1EEvPKT_PKT0_S8_ifPKiSA_SA_iPKfiiiPfSD_PS3_PT2_iSC_SC_
		.amdhsa_group_segment_fixed_size 8192
		.amdhsa_private_segment_fixed_size 64
		.amdhsa_kernarg_size 400
		.amdhsa_user_sgpr_count 8
		.amdhsa_user_sgpr_private_segment_buffer 1
		.amdhsa_user_sgpr_dispatch_ptr 0
		.amdhsa_user_sgpr_queue_ptr 0
		.amdhsa_user_sgpr_kernarg_segment_ptr 1
		.amdhsa_user_sgpr_dispatch_id 0
		.amdhsa_user_sgpr_flat_scratch_init 1
		.amdhsa_user_sgpr_kernarg_preload_length 0
		.amdhsa_user_sgpr_kernarg_preload_offset 0
		.amdhsa_user_sgpr_private_segment_size 0
		.amdhsa_uses_dynamic_stack 0
		.amdhsa_system_sgpr_private_segment_wavefront_offset 1
		.amdhsa_system_sgpr_workgroup_id_x 1
		.amdhsa_system_sgpr_workgroup_id_y 1
		.amdhsa_system_sgpr_workgroup_id_z 1
		.amdhsa_system_sgpr_workgroup_info 0
		.amdhsa_system_vgpr_workitem_id 0
		.amdhsa_next_free_vgpr 45
		.amdhsa_next_free_sgpr 34
		.amdhsa_accum_offset 44
		.amdhsa_reserve_vcc 1
		.amdhsa_reserve_flat_scratch 1
		.amdhsa_float_round_mode_32 0
		.amdhsa_float_round_mode_16_64 0
		.amdhsa_float_denorm_mode_32 3
		.amdhsa_float_denorm_mode_16_64 3
		.amdhsa_dx10_clamp 1
		.amdhsa_ieee_mode 1
		.amdhsa_fp16_overflow 0
		.amdhsa_tg_split 0
		.amdhsa_exception_fp_ieee_invalid_op 0
		.amdhsa_exception_fp_denorm_src 0
		.amdhsa_exception_fp_ieee_div_zero 0
		.amdhsa_exception_fp_ieee_overflow 0
		.amdhsa_exception_fp_ieee_underflow 0
		.amdhsa_exception_fp_ieee_inexact 0
		.amdhsa_exception_int_div_zero 0
	.end_amdhsa_kernel
	.section	.text._Z39paged_attention_ll4mi_QKV_mfma16_kernelIDF16_hLN4vllm18Fp8KVCacheDataTypeE1EDF16_Li16ELi64ELi256ELb1ELi9EL8MFMAType1EEvPKT_PKT0_S8_ifPKiSA_SA_iPKfiiiPfSD_PS3_PT2_iSC_SC_,"axG",@progbits,_Z39paged_attention_ll4mi_QKV_mfma16_kernelIDF16_hLN4vllm18Fp8KVCacheDataTypeE1EDF16_Li16ELi64ELi256ELb1ELi9EL8MFMAType1EEvPKT_PKT0_S8_ifPKiSA_SA_iPKfiiiPfSD_PS3_PT2_iSC_SC_,comdat
.Lfunc_end394:
	.size	_Z39paged_attention_ll4mi_QKV_mfma16_kernelIDF16_hLN4vllm18Fp8KVCacheDataTypeE1EDF16_Li16ELi64ELi256ELb1ELi9EL8MFMAType1EEvPKT_PKT0_S8_ifPKiSA_SA_iPKfiiiPfSD_PS3_PT2_iSC_SC_, .Lfunc_end394-_Z39paged_attention_ll4mi_QKV_mfma16_kernelIDF16_hLN4vllm18Fp8KVCacheDataTypeE1EDF16_Li16ELi64ELi256ELb1ELi9EL8MFMAType1EEvPKT_PKT0_S8_ifPKiSA_SA_iPKfiiiPfSD_PS3_PT2_iSC_SC_
                                        ; -- End function
	.section	.AMDGPU.csdata,"",@progbits
; Kernel info:
; codeLenInByte = 504
; NumSgprs: 40
; NumVgprs: 42
; NumAgprs: 1
; TotalNumVgprs: 45
; ScratchSize: 64
; MemoryBound: 0
; FloatMode: 240
; IeeeMode: 1
; LDSByteSize: 8192 bytes/workgroup (compile time only)
; SGPRBlocks: 4
; VGPRBlocks: 5
; NumSGPRsForWavesPerEU: 40
; NumVGPRsForWavesPerEU: 45
; AccumOffset: 44
; Occupancy: 8
; WaveLimiterHint : 1
; COMPUTE_PGM_RSRC2:SCRATCH_EN: 1
; COMPUTE_PGM_RSRC2:USER_SGPR: 8
; COMPUTE_PGM_RSRC2:TRAP_HANDLER: 0
; COMPUTE_PGM_RSRC2:TGID_X_EN: 1
; COMPUTE_PGM_RSRC2:TGID_Y_EN: 1
; COMPUTE_PGM_RSRC2:TGID_Z_EN: 1
; COMPUTE_PGM_RSRC2:TIDIG_COMP_CNT: 0
; COMPUTE_PGM_RSRC3_GFX90A:ACCUM_OFFSET: 10
; COMPUTE_PGM_RSRC3_GFX90A:TG_SPLIT: 0
	.section	.text._Z39paged_attention_ll4mi_QKV_mfma16_kernelIDF16_hLN4vllm18Fp8KVCacheDataTypeE1EDF16_Li16ELi64ELi256ELb1ELi10EL8MFMAType1EEvPKT_PKT0_S8_ifPKiSA_SA_iPKfiiiPfSD_PS3_PT2_iSC_SC_,"axG",@progbits,_Z39paged_attention_ll4mi_QKV_mfma16_kernelIDF16_hLN4vllm18Fp8KVCacheDataTypeE1EDF16_Li16ELi64ELi256ELb1ELi10EL8MFMAType1EEvPKT_PKT0_S8_ifPKiSA_SA_iPKfiiiPfSD_PS3_PT2_iSC_SC_,comdat
	.protected	_Z39paged_attention_ll4mi_QKV_mfma16_kernelIDF16_hLN4vllm18Fp8KVCacheDataTypeE1EDF16_Li16ELi64ELi256ELb1ELi10EL8MFMAType1EEvPKT_PKT0_S8_ifPKiSA_SA_iPKfiiiPfSD_PS3_PT2_iSC_SC_ ; -- Begin function _Z39paged_attention_ll4mi_QKV_mfma16_kernelIDF16_hLN4vllm18Fp8KVCacheDataTypeE1EDF16_Li16ELi64ELi256ELb1ELi10EL8MFMAType1EEvPKT_PKT0_S8_ifPKiSA_SA_iPKfiiiPfSD_PS3_PT2_iSC_SC_
	.globl	_Z39paged_attention_ll4mi_QKV_mfma16_kernelIDF16_hLN4vllm18Fp8KVCacheDataTypeE1EDF16_Li16ELi64ELi256ELb1ELi10EL8MFMAType1EEvPKT_PKT0_S8_ifPKiSA_SA_iPKfiiiPfSD_PS3_PT2_iSC_SC_
	.p2align	8
	.type	_Z39paged_attention_ll4mi_QKV_mfma16_kernelIDF16_hLN4vllm18Fp8KVCacheDataTypeE1EDF16_Li16ELi64ELi256ELb1ELi10EL8MFMAType1EEvPKT_PKT0_S8_ifPKiSA_SA_iPKfiiiPfSD_PS3_PT2_iSC_SC_,@function
_Z39paged_attention_ll4mi_QKV_mfma16_kernelIDF16_hLN4vllm18Fp8KVCacheDataTypeE1EDF16_Li16ELi64ELi256ELb1ELi10EL8MFMAType1EEvPKT_PKT0_S8_ifPKiSA_SA_iPKfiiiPfSD_PS3_PT2_iSC_SC_: ; @_Z39paged_attention_ll4mi_QKV_mfma16_kernelIDF16_hLN4vllm18Fp8KVCacheDataTypeE1EDF16_Li16ELi64ELi256ELb1ELi10EL8MFMAType1EEvPKT_PKT0_S8_ifPKiSA_SA_iPKfiiiPfSD_PS3_PT2_iSC_SC_
; %bb.0:
	s_load_dwordx2 s[12:13], s[4:5], 0x30
	s_add_u32 flat_scratch_lo, s6, s11
	s_addc_u32 flat_scratch_hi, s7, 0
	s_add_u32 s0, s0, s11
	s_addc_u32 s1, s1, 0
	s_waitcnt lgkmcnt(0)
	s_cmp_lg_u64 s[12:13], 0
	s_cselect_b64 s[14:15], -1, 0
	s_mov_b32 s6, s9
	s_mov_b64 s[16:17], 0
	s_and_b64 vcc, exec, s[14:15]
	s_mov_b32 s32, 0
	s_cbranch_vccz .LBB395_11
; %bb.1:
	s_add_i32 s18, s8, 1
	s_mov_b32 s19, 0
	s_lshl_b64 s[20:21], s[18:19], 2
	s_add_u32 s20, s12, s20
	s_mov_b32 s9, s19
	s_addc_u32 s21, s13, s21
	s_lshl_b64 s[18:19], s[8:9], 2
	s_add_u32 s18, s12, s18
	s_addc_u32 s19, s13, s19
	s_load_dword s7, s[20:21], 0x0
	s_load_dword s11, s[18:19], 0x0
	s_waitcnt lgkmcnt(0)
	s_sub_i32 s7, s7, s11
	s_cmp_eq_u32 s7, 1
	s_cselect_b64 s[18:19], -1, 0
	s_andn2_b64 vcc, exec, s[16:17]
	s_cbranch_vccnz .LBB395_3
.LBB395_2:
	s_mov_b32 s9, 0
	s_mov_b64 s[18:19], -1
.LBB395_3:
	s_andn2_b64 vcc, exec, s[18:19]
	s_cbranch_vccnz .LBB395_10
; %bb.4:
	s_load_dwordx2 s[18:19], s[4:5], 0x28
	s_lshl_b64 s[16:17], s[8:9], 2
	s_waitcnt lgkmcnt(0)
	s_add_u32 s18, s18, s16
	s_addc_u32 s19, s19, s17
	s_load_dword s7, s[18:19], 0x0
	s_lshl_b32 s6, s6, 8
	s_waitcnt lgkmcnt(0)
	s_cmp_ge_i32 s6, s7
	s_cbranch_scc1 .LBB395_10
; %bb.5:
	s_andn2_b64 vcc, exec, s[14:15]
	s_cbranch_vccnz .LBB395_7
; %bb.6:
	s_add_u32 s6, s12, s16
	s_addc_u32 s7, s13, s17
	s_load_dword s8, s[6:7], 0x0
.LBB395_7:
	v_and_b32_e32 v1, 15, v0
	s_movk_i32 s6, 0xa0
	v_cmp_gt_u32_e32 vcc, s6, v0
	v_cmp_gt_u32_e64 s[6:7], 8, v1
	s_and_b64 s[12:13], s[6:7], vcc
	s_and_saveexec_b64 s[6:7], s[12:13]
	s_cbranch_execz .LBB395_9
; %bb.8:
	s_load_dword s11, s[4:5], 0x48
	s_load_dwordx2 s[12:13], s[4:5], 0x0
	v_lshrrev_b32_e32 v6, 4, v0
	s_mul_i32 s10, s10, 10
	v_add_lshl_u32 v2, v6, s10, 6
	s_waitcnt lgkmcnt(0)
	s_ashr_i32 s9, s11, 31
	s_mul_hi_u32 s14, s8, s11
	s_mul_i32 s9, s8, s9
	s_add_i32 s9, s14, s9
	s_mul_i32 s8, s8, s11
	s_lshl_b64 s[8:9], s[8:9], 1
	s_add_u32 s8, s12, s8
	v_ashrrev_i32_e32 v3, 31, v2
	s_addc_u32 s9, s13, s9
	v_lshlrev_b64 v[2:3], 1, v[2:3]
	v_mov_b32_e32 v4, s9
	v_add_co_u32_e32 v2, vcc, s8, v2
	v_addc_co_u32_e32 v3, vcc, v4, v3, vcc
	v_lshlrev_b32_e32 v4, 4, v1
	v_add_co_u32_e32 v2, vcc, v2, v4
	v_addc_co_u32_e32 v3, vcc, 0, v3, vcc
	global_load_dwordx4 v[2:5], v[2:3], off
	v_lshlrev_b32_e32 v0, 4, v0
	v_lshlrev_b32_e32 v1, 8, v1
	v_and_b32_e32 v0, 16, v0
	v_lshlrev_b32_e32 v6, 5, v6
	v_and_b32_e32 v1, 0xe00, v1
	v_or3_b32 v0, v1, v6, v0
	s_waitcnt vmcnt(0)
	ds_write_b128 v0, v[2:5]
.LBB395_9:
	s_or_b64 exec, exec, s[6:7]
	s_waitcnt lgkmcnt(0)
	s_add_u32 s8, s4, 0x90
	s_addc_u32 s9, s5, 0
	s_getpc_b64 s[4:5]
	s_add_u32 s4, s4, __PRETTY_FUNCTION__._Z39paged_attention_ll4mi_QKV_mfma16_kernelIDF16_hLN4vllm18Fp8KVCacheDataTypeE1EDF16_Li16ELi64ELi256ELb1ELi10EL8MFMAType1EEvPKT_PKT0_S8_ifPKiSA_SA_iPKfiiiPfSD_PS3_PT2_iSC_SC_@rel32@lo+4
	s_addc_u32 s5, s5, __PRETTY_FUNCTION__._Z39paged_attention_ll4mi_QKV_mfma16_kernelIDF16_hLN4vllm18Fp8KVCacheDataTypeE1EDF16_Li16ELi64ELi256ELb1ELi10EL8MFMAType1EEvPKT_PKT0_S8_ifPKiSA_SA_iPKfiiiPfSD_PS3_PT2_iSC_SC_@rel32@hi+12
	v_mov_b32_e32 v0, 0x288
	v_mov_b32_e32 v1, s4
	;; [unrolled: 1-line block ×3, first 2 shown]
	s_barrier
	s_getpc_b64 s[6:7]
	s_add_u32 s6, s6, __assert_fail@rel32@lo+4
	s_addc_u32 s7, s7, __assert_fail@rel32@hi+12
	s_swappc_b64 s[30:31], s[6:7]
	; divergent unreachable
.LBB395_10:
	s_endpgm
.LBB395_11:
	s_mov_b64 s[18:19], 0
	s_branch .LBB395_2
	.section	.rodata,"a",@progbits
	.p2align	6, 0x0
	.amdhsa_kernel _Z39paged_attention_ll4mi_QKV_mfma16_kernelIDF16_hLN4vllm18Fp8KVCacheDataTypeE1EDF16_Li16ELi64ELi256ELb1ELi10EL8MFMAType1EEvPKT_PKT0_S8_ifPKiSA_SA_iPKfiiiPfSD_PS3_PT2_iSC_SC_
		.amdhsa_group_segment_fixed_size 8192
		.amdhsa_private_segment_fixed_size 64
		.amdhsa_kernarg_size 400
		.amdhsa_user_sgpr_count 8
		.amdhsa_user_sgpr_private_segment_buffer 1
		.amdhsa_user_sgpr_dispatch_ptr 0
		.amdhsa_user_sgpr_queue_ptr 0
		.amdhsa_user_sgpr_kernarg_segment_ptr 1
		.amdhsa_user_sgpr_dispatch_id 0
		.amdhsa_user_sgpr_flat_scratch_init 1
		.amdhsa_user_sgpr_kernarg_preload_length 0
		.amdhsa_user_sgpr_kernarg_preload_offset 0
		.amdhsa_user_sgpr_private_segment_size 0
		.amdhsa_uses_dynamic_stack 0
		.amdhsa_system_sgpr_private_segment_wavefront_offset 1
		.amdhsa_system_sgpr_workgroup_id_x 1
		.amdhsa_system_sgpr_workgroup_id_y 1
		.amdhsa_system_sgpr_workgroup_id_z 1
		.amdhsa_system_sgpr_workgroup_info 0
		.amdhsa_system_vgpr_workitem_id 0
		.amdhsa_next_free_vgpr 45
		.amdhsa_next_free_sgpr 34
		.amdhsa_accum_offset 44
		.amdhsa_reserve_vcc 1
		.amdhsa_reserve_flat_scratch 1
		.amdhsa_float_round_mode_32 0
		.amdhsa_float_round_mode_16_64 0
		.amdhsa_float_denorm_mode_32 3
		.amdhsa_float_denorm_mode_16_64 3
		.amdhsa_dx10_clamp 1
		.amdhsa_ieee_mode 1
		.amdhsa_fp16_overflow 0
		.amdhsa_tg_split 0
		.amdhsa_exception_fp_ieee_invalid_op 0
		.amdhsa_exception_fp_denorm_src 0
		.amdhsa_exception_fp_ieee_div_zero 0
		.amdhsa_exception_fp_ieee_overflow 0
		.amdhsa_exception_fp_ieee_underflow 0
		.amdhsa_exception_fp_ieee_inexact 0
		.amdhsa_exception_int_div_zero 0
	.end_amdhsa_kernel
	.section	.text._Z39paged_attention_ll4mi_QKV_mfma16_kernelIDF16_hLN4vllm18Fp8KVCacheDataTypeE1EDF16_Li16ELi64ELi256ELb1ELi10EL8MFMAType1EEvPKT_PKT0_S8_ifPKiSA_SA_iPKfiiiPfSD_PS3_PT2_iSC_SC_,"axG",@progbits,_Z39paged_attention_ll4mi_QKV_mfma16_kernelIDF16_hLN4vllm18Fp8KVCacheDataTypeE1EDF16_Li16ELi64ELi256ELb1ELi10EL8MFMAType1EEvPKT_PKT0_S8_ifPKiSA_SA_iPKfiiiPfSD_PS3_PT2_iSC_SC_,comdat
.Lfunc_end395:
	.size	_Z39paged_attention_ll4mi_QKV_mfma16_kernelIDF16_hLN4vllm18Fp8KVCacheDataTypeE1EDF16_Li16ELi64ELi256ELb1ELi10EL8MFMAType1EEvPKT_PKT0_S8_ifPKiSA_SA_iPKfiiiPfSD_PS3_PT2_iSC_SC_, .Lfunc_end395-_Z39paged_attention_ll4mi_QKV_mfma16_kernelIDF16_hLN4vllm18Fp8KVCacheDataTypeE1EDF16_Li16ELi64ELi256ELb1ELi10EL8MFMAType1EEvPKT_PKT0_S8_ifPKiSA_SA_iPKfiiiPfSD_PS3_PT2_iSC_SC_
                                        ; -- End function
	.section	.AMDGPU.csdata,"",@progbits
; Kernel info:
; codeLenInByte = 504
; NumSgprs: 40
; NumVgprs: 42
; NumAgprs: 1
; TotalNumVgprs: 45
; ScratchSize: 64
; MemoryBound: 0
; FloatMode: 240
; IeeeMode: 1
; LDSByteSize: 8192 bytes/workgroup (compile time only)
; SGPRBlocks: 4
; VGPRBlocks: 5
; NumSGPRsForWavesPerEU: 40
; NumVGPRsForWavesPerEU: 45
; AccumOffset: 44
; Occupancy: 8
; WaveLimiterHint : 1
; COMPUTE_PGM_RSRC2:SCRATCH_EN: 1
; COMPUTE_PGM_RSRC2:USER_SGPR: 8
; COMPUTE_PGM_RSRC2:TRAP_HANDLER: 0
; COMPUTE_PGM_RSRC2:TGID_X_EN: 1
; COMPUTE_PGM_RSRC2:TGID_Y_EN: 1
; COMPUTE_PGM_RSRC2:TGID_Z_EN: 1
; COMPUTE_PGM_RSRC2:TIDIG_COMP_CNT: 0
; COMPUTE_PGM_RSRC3_GFX90A:ACCUM_OFFSET: 10
; COMPUTE_PGM_RSRC3_GFX90A:TG_SPLIT: 0
	.section	.text._Z39paged_attention_ll4mi_QKV_mfma16_kernelIDF16_hLN4vllm18Fp8KVCacheDataTypeE1EDF16_Li16ELi64ELi256ELb1ELi11EL8MFMAType1EEvPKT_PKT0_S8_ifPKiSA_SA_iPKfiiiPfSD_PS3_PT2_iSC_SC_,"axG",@progbits,_Z39paged_attention_ll4mi_QKV_mfma16_kernelIDF16_hLN4vllm18Fp8KVCacheDataTypeE1EDF16_Li16ELi64ELi256ELb1ELi11EL8MFMAType1EEvPKT_PKT0_S8_ifPKiSA_SA_iPKfiiiPfSD_PS3_PT2_iSC_SC_,comdat
	.protected	_Z39paged_attention_ll4mi_QKV_mfma16_kernelIDF16_hLN4vllm18Fp8KVCacheDataTypeE1EDF16_Li16ELi64ELi256ELb1ELi11EL8MFMAType1EEvPKT_PKT0_S8_ifPKiSA_SA_iPKfiiiPfSD_PS3_PT2_iSC_SC_ ; -- Begin function _Z39paged_attention_ll4mi_QKV_mfma16_kernelIDF16_hLN4vllm18Fp8KVCacheDataTypeE1EDF16_Li16ELi64ELi256ELb1ELi11EL8MFMAType1EEvPKT_PKT0_S8_ifPKiSA_SA_iPKfiiiPfSD_PS3_PT2_iSC_SC_
	.globl	_Z39paged_attention_ll4mi_QKV_mfma16_kernelIDF16_hLN4vllm18Fp8KVCacheDataTypeE1EDF16_Li16ELi64ELi256ELb1ELi11EL8MFMAType1EEvPKT_PKT0_S8_ifPKiSA_SA_iPKfiiiPfSD_PS3_PT2_iSC_SC_
	.p2align	8
	.type	_Z39paged_attention_ll4mi_QKV_mfma16_kernelIDF16_hLN4vllm18Fp8KVCacheDataTypeE1EDF16_Li16ELi64ELi256ELb1ELi11EL8MFMAType1EEvPKT_PKT0_S8_ifPKiSA_SA_iPKfiiiPfSD_PS3_PT2_iSC_SC_,@function
_Z39paged_attention_ll4mi_QKV_mfma16_kernelIDF16_hLN4vllm18Fp8KVCacheDataTypeE1EDF16_Li16ELi64ELi256ELb1ELi11EL8MFMAType1EEvPKT_PKT0_S8_ifPKiSA_SA_iPKfiiiPfSD_PS3_PT2_iSC_SC_: ; @_Z39paged_attention_ll4mi_QKV_mfma16_kernelIDF16_hLN4vllm18Fp8KVCacheDataTypeE1EDF16_Li16ELi64ELi256ELb1ELi11EL8MFMAType1EEvPKT_PKT0_S8_ifPKiSA_SA_iPKfiiiPfSD_PS3_PT2_iSC_SC_
; %bb.0:
	s_load_dwordx2 s[12:13], s[4:5], 0x30
	s_add_u32 flat_scratch_lo, s6, s11
	s_addc_u32 flat_scratch_hi, s7, 0
	s_add_u32 s0, s0, s11
	s_addc_u32 s1, s1, 0
	s_waitcnt lgkmcnt(0)
	s_cmp_lg_u64 s[12:13], 0
	s_cselect_b64 s[14:15], -1, 0
	s_mov_b32 s6, s9
	s_mov_b64 s[16:17], 0
	s_and_b64 vcc, exec, s[14:15]
	s_mov_b32 s32, 0
	s_cbranch_vccz .LBB396_11
; %bb.1:
	s_add_i32 s18, s8, 1
	s_mov_b32 s19, 0
	s_lshl_b64 s[20:21], s[18:19], 2
	s_add_u32 s20, s12, s20
	s_mov_b32 s9, s19
	s_addc_u32 s21, s13, s21
	s_lshl_b64 s[18:19], s[8:9], 2
	s_add_u32 s18, s12, s18
	s_addc_u32 s19, s13, s19
	s_load_dword s7, s[20:21], 0x0
	s_load_dword s11, s[18:19], 0x0
	s_waitcnt lgkmcnt(0)
	s_sub_i32 s7, s7, s11
	s_cmp_eq_u32 s7, 1
	s_cselect_b64 s[18:19], -1, 0
	s_andn2_b64 vcc, exec, s[16:17]
	s_cbranch_vccnz .LBB396_3
.LBB396_2:
	s_mov_b32 s9, 0
	s_mov_b64 s[18:19], -1
.LBB396_3:
	s_andn2_b64 vcc, exec, s[18:19]
	s_cbranch_vccnz .LBB396_10
; %bb.4:
	s_load_dwordx2 s[18:19], s[4:5], 0x28
	s_lshl_b64 s[16:17], s[8:9], 2
	s_waitcnt lgkmcnt(0)
	s_add_u32 s18, s18, s16
	s_addc_u32 s19, s19, s17
	s_load_dword s7, s[18:19], 0x0
	s_lshl_b32 s6, s6, 8
	s_waitcnt lgkmcnt(0)
	s_cmp_ge_i32 s6, s7
	s_cbranch_scc1 .LBB396_10
; %bb.5:
	s_andn2_b64 vcc, exec, s[14:15]
	s_cbranch_vccnz .LBB396_7
; %bb.6:
	s_add_u32 s6, s12, s16
	s_addc_u32 s7, s13, s17
	s_load_dword s8, s[6:7], 0x0
.LBB396_7:
	v_and_b32_e32 v1, 15, v0
	s_movk_i32 s6, 0xb0
	v_cmp_gt_u32_e32 vcc, s6, v0
	v_cmp_gt_u32_e64 s[6:7], 8, v1
	s_and_b64 s[12:13], s[6:7], vcc
	s_and_saveexec_b64 s[6:7], s[12:13]
	s_cbranch_execz .LBB396_9
; %bb.8:
	s_load_dword s11, s[4:5], 0x48
	s_load_dwordx2 s[12:13], s[4:5], 0x0
	v_lshrrev_b32_e32 v6, 4, v0
	s_mul_i32 s10, s10, 11
	v_add_lshl_u32 v2, v6, s10, 6
	s_waitcnt lgkmcnt(0)
	s_ashr_i32 s9, s11, 31
	s_mul_hi_u32 s14, s8, s11
	s_mul_i32 s9, s8, s9
	s_add_i32 s9, s14, s9
	s_mul_i32 s8, s8, s11
	s_lshl_b64 s[8:9], s[8:9], 1
	s_add_u32 s8, s12, s8
	v_ashrrev_i32_e32 v3, 31, v2
	s_addc_u32 s9, s13, s9
	v_lshlrev_b64 v[2:3], 1, v[2:3]
	v_mov_b32_e32 v4, s9
	v_add_co_u32_e32 v2, vcc, s8, v2
	v_addc_co_u32_e32 v3, vcc, v4, v3, vcc
	v_lshlrev_b32_e32 v4, 4, v1
	v_add_co_u32_e32 v2, vcc, v2, v4
	v_addc_co_u32_e32 v3, vcc, 0, v3, vcc
	global_load_dwordx4 v[2:5], v[2:3], off
	v_lshlrev_b32_e32 v0, 4, v0
	v_lshlrev_b32_e32 v1, 8, v1
	v_and_b32_e32 v0, 16, v0
	v_lshlrev_b32_e32 v6, 5, v6
	v_and_b32_e32 v1, 0xe00, v1
	v_or3_b32 v0, v1, v6, v0
	s_waitcnt vmcnt(0)
	ds_write_b128 v0, v[2:5]
.LBB396_9:
	s_or_b64 exec, exec, s[6:7]
	s_waitcnt lgkmcnt(0)
	s_add_u32 s8, s4, 0x90
	s_addc_u32 s9, s5, 0
	s_getpc_b64 s[4:5]
	s_add_u32 s4, s4, __PRETTY_FUNCTION__._Z39paged_attention_ll4mi_QKV_mfma16_kernelIDF16_hLN4vllm18Fp8KVCacheDataTypeE1EDF16_Li16ELi64ELi256ELb1ELi11EL8MFMAType1EEvPKT_PKT0_S8_ifPKiSA_SA_iPKfiiiPfSD_PS3_PT2_iSC_SC_@rel32@lo+4
	s_addc_u32 s5, s5, __PRETTY_FUNCTION__._Z39paged_attention_ll4mi_QKV_mfma16_kernelIDF16_hLN4vllm18Fp8KVCacheDataTypeE1EDF16_Li16ELi64ELi256ELb1ELi11EL8MFMAType1EEvPKT_PKT0_S8_ifPKiSA_SA_iPKfiiiPfSD_PS3_PT2_iSC_SC_@rel32@hi+12
	v_mov_b32_e32 v0, 0x288
	v_mov_b32_e32 v1, s4
	;; [unrolled: 1-line block ×3, first 2 shown]
	s_barrier
	s_getpc_b64 s[6:7]
	s_add_u32 s6, s6, __assert_fail@rel32@lo+4
	s_addc_u32 s7, s7, __assert_fail@rel32@hi+12
	s_swappc_b64 s[30:31], s[6:7]
	; divergent unreachable
.LBB396_10:
	s_endpgm
.LBB396_11:
	s_mov_b64 s[18:19], 0
	s_branch .LBB396_2
	.section	.rodata,"a",@progbits
	.p2align	6, 0x0
	.amdhsa_kernel _Z39paged_attention_ll4mi_QKV_mfma16_kernelIDF16_hLN4vllm18Fp8KVCacheDataTypeE1EDF16_Li16ELi64ELi256ELb1ELi11EL8MFMAType1EEvPKT_PKT0_S8_ifPKiSA_SA_iPKfiiiPfSD_PS3_PT2_iSC_SC_
		.amdhsa_group_segment_fixed_size 8192
		.amdhsa_private_segment_fixed_size 64
		.amdhsa_kernarg_size 400
		.amdhsa_user_sgpr_count 8
		.amdhsa_user_sgpr_private_segment_buffer 1
		.amdhsa_user_sgpr_dispatch_ptr 0
		.amdhsa_user_sgpr_queue_ptr 0
		.amdhsa_user_sgpr_kernarg_segment_ptr 1
		.amdhsa_user_sgpr_dispatch_id 0
		.amdhsa_user_sgpr_flat_scratch_init 1
		.amdhsa_user_sgpr_kernarg_preload_length 0
		.amdhsa_user_sgpr_kernarg_preload_offset 0
		.amdhsa_user_sgpr_private_segment_size 0
		.amdhsa_uses_dynamic_stack 0
		.amdhsa_system_sgpr_private_segment_wavefront_offset 1
		.amdhsa_system_sgpr_workgroup_id_x 1
		.amdhsa_system_sgpr_workgroup_id_y 1
		.amdhsa_system_sgpr_workgroup_id_z 1
		.amdhsa_system_sgpr_workgroup_info 0
		.amdhsa_system_vgpr_workitem_id 0
		.amdhsa_next_free_vgpr 45
		.amdhsa_next_free_sgpr 34
		.amdhsa_accum_offset 44
		.amdhsa_reserve_vcc 1
		.amdhsa_reserve_flat_scratch 1
		.amdhsa_float_round_mode_32 0
		.amdhsa_float_round_mode_16_64 0
		.amdhsa_float_denorm_mode_32 3
		.amdhsa_float_denorm_mode_16_64 3
		.amdhsa_dx10_clamp 1
		.amdhsa_ieee_mode 1
		.amdhsa_fp16_overflow 0
		.amdhsa_tg_split 0
		.amdhsa_exception_fp_ieee_invalid_op 0
		.amdhsa_exception_fp_denorm_src 0
		.amdhsa_exception_fp_ieee_div_zero 0
		.amdhsa_exception_fp_ieee_overflow 0
		.amdhsa_exception_fp_ieee_underflow 0
		.amdhsa_exception_fp_ieee_inexact 0
		.amdhsa_exception_int_div_zero 0
	.end_amdhsa_kernel
	.section	.text._Z39paged_attention_ll4mi_QKV_mfma16_kernelIDF16_hLN4vllm18Fp8KVCacheDataTypeE1EDF16_Li16ELi64ELi256ELb1ELi11EL8MFMAType1EEvPKT_PKT0_S8_ifPKiSA_SA_iPKfiiiPfSD_PS3_PT2_iSC_SC_,"axG",@progbits,_Z39paged_attention_ll4mi_QKV_mfma16_kernelIDF16_hLN4vllm18Fp8KVCacheDataTypeE1EDF16_Li16ELi64ELi256ELb1ELi11EL8MFMAType1EEvPKT_PKT0_S8_ifPKiSA_SA_iPKfiiiPfSD_PS3_PT2_iSC_SC_,comdat
.Lfunc_end396:
	.size	_Z39paged_attention_ll4mi_QKV_mfma16_kernelIDF16_hLN4vllm18Fp8KVCacheDataTypeE1EDF16_Li16ELi64ELi256ELb1ELi11EL8MFMAType1EEvPKT_PKT0_S8_ifPKiSA_SA_iPKfiiiPfSD_PS3_PT2_iSC_SC_, .Lfunc_end396-_Z39paged_attention_ll4mi_QKV_mfma16_kernelIDF16_hLN4vllm18Fp8KVCacheDataTypeE1EDF16_Li16ELi64ELi256ELb1ELi11EL8MFMAType1EEvPKT_PKT0_S8_ifPKiSA_SA_iPKfiiiPfSD_PS3_PT2_iSC_SC_
                                        ; -- End function
	.section	.AMDGPU.csdata,"",@progbits
; Kernel info:
; codeLenInByte = 504
; NumSgprs: 40
; NumVgprs: 42
; NumAgprs: 1
; TotalNumVgprs: 45
; ScratchSize: 64
; MemoryBound: 0
; FloatMode: 240
; IeeeMode: 1
; LDSByteSize: 8192 bytes/workgroup (compile time only)
; SGPRBlocks: 4
; VGPRBlocks: 5
; NumSGPRsForWavesPerEU: 40
; NumVGPRsForWavesPerEU: 45
; AccumOffset: 44
; Occupancy: 8
; WaveLimiterHint : 1
; COMPUTE_PGM_RSRC2:SCRATCH_EN: 1
; COMPUTE_PGM_RSRC2:USER_SGPR: 8
; COMPUTE_PGM_RSRC2:TRAP_HANDLER: 0
; COMPUTE_PGM_RSRC2:TGID_X_EN: 1
; COMPUTE_PGM_RSRC2:TGID_Y_EN: 1
; COMPUTE_PGM_RSRC2:TGID_Z_EN: 1
; COMPUTE_PGM_RSRC2:TIDIG_COMP_CNT: 0
; COMPUTE_PGM_RSRC3_GFX90A:ACCUM_OFFSET: 10
; COMPUTE_PGM_RSRC3_GFX90A:TG_SPLIT: 0
	.section	.text._Z39paged_attention_ll4mi_QKV_mfma16_kernelIDF16_hLN4vllm18Fp8KVCacheDataTypeE1EDF16_Li16ELi64ELi256ELb1ELi12EL8MFMAType1EEvPKT_PKT0_S8_ifPKiSA_SA_iPKfiiiPfSD_PS3_PT2_iSC_SC_,"axG",@progbits,_Z39paged_attention_ll4mi_QKV_mfma16_kernelIDF16_hLN4vllm18Fp8KVCacheDataTypeE1EDF16_Li16ELi64ELi256ELb1ELi12EL8MFMAType1EEvPKT_PKT0_S8_ifPKiSA_SA_iPKfiiiPfSD_PS3_PT2_iSC_SC_,comdat
	.protected	_Z39paged_attention_ll4mi_QKV_mfma16_kernelIDF16_hLN4vllm18Fp8KVCacheDataTypeE1EDF16_Li16ELi64ELi256ELb1ELi12EL8MFMAType1EEvPKT_PKT0_S8_ifPKiSA_SA_iPKfiiiPfSD_PS3_PT2_iSC_SC_ ; -- Begin function _Z39paged_attention_ll4mi_QKV_mfma16_kernelIDF16_hLN4vllm18Fp8KVCacheDataTypeE1EDF16_Li16ELi64ELi256ELb1ELi12EL8MFMAType1EEvPKT_PKT0_S8_ifPKiSA_SA_iPKfiiiPfSD_PS3_PT2_iSC_SC_
	.globl	_Z39paged_attention_ll4mi_QKV_mfma16_kernelIDF16_hLN4vllm18Fp8KVCacheDataTypeE1EDF16_Li16ELi64ELi256ELb1ELi12EL8MFMAType1EEvPKT_PKT0_S8_ifPKiSA_SA_iPKfiiiPfSD_PS3_PT2_iSC_SC_
	.p2align	8
	.type	_Z39paged_attention_ll4mi_QKV_mfma16_kernelIDF16_hLN4vllm18Fp8KVCacheDataTypeE1EDF16_Li16ELi64ELi256ELb1ELi12EL8MFMAType1EEvPKT_PKT0_S8_ifPKiSA_SA_iPKfiiiPfSD_PS3_PT2_iSC_SC_,@function
_Z39paged_attention_ll4mi_QKV_mfma16_kernelIDF16_hLN4vllm18Fp8KVCacheDataTypeE1EDF16_Li16ELi64ELi256ELb1ELi12EL8MFMAType1EEvPKT_PKT0_S8_ifPKiSA_SA_iPKfiiiPfSD_PS3_PT2_iSC_SC_: ; @_Z39paged_attention_ll4mi_QKV_mfma16_kernelIDF16_hLN4vllm18Fp8KVCacheDataTypeE1EDF16_Li16ELi64ELi256ELb1ELi12EL8MFMAType1EEvPKT_PKT0_S8_ifPKiSA_SA_iPKfiiiPfSD_PS3_PT2_iSC_SC_
; %bb.0:
	s_load_dwordx2 s[12:13], s[4:5], 0x30
	s_add_u32 flat_scratch_lo, s6, s11
	s_addc_u32 flat_scratch_hi, s7, 0
	s_add_u32 s0, s0, s11
	s_addc_u32 s1, s1, 0
	s_waitcnt lgkmcnt(0)
	s_cmp_lg_u64 s[12:13], 0
	s_cselect_b64 s[14:15], -1, 0
	s_mov_b32 s6, s9
	s_mov_b64 s[16:17], 0
	s_and_b64 vcc, exec, s[14:15]
	s_mov_b32 s32, 0
	s_cbranch_vccz .LBB397_11
; %bb.1:
	s_add_i32 s18, s8, 1
	s_mov_b32 s19, 0
	s_lshl_b64 s[20:21], s[18:19], 2
	s_add_u32 s20, s12, s20
	s_mov_b32 s9, s19
	s_addc_u32 s21, s13, s21
	s_lshl_b64 s[18:19], s[8:9], 2
	s_add_u32 s18, s12, s18
	s_addc_u32 s19, s13, s19
	s_load_dword s7, s[20:21], 0x0
	s_load_dword s11, s[18:19], 0x0
	s_waitcnt lgkmcnt(0)
	s_sub_i32 s7, s7, s11
	s_cmp_eq_u32 s7, 1
	s_cselect_b64 s[18:19], -1, 0
	s_andn2_b64 vcc, exec, s[16:17]
	s_cbranch_vccnz .LBB397_3
.LBB397_2:
	s_mov_b32 s9, 0
	s_mov_b64 s[18:19], -1
.LBB397_3:
	s_andn2_b64 vcc, exec, s[18:19]
	s_cbranch_vccnz .LBB397_10
; %bb.4:
	s_load_dwordx2 s[18:19], s[4:5], 0x28
	s_lshl_b64 s[16:17], s[8:9], 2
	s_waitcnt lgkmcnt(0)
	s_add_u32 s18, s18, s16
	s_addc_u32 s19, s19, s17
	s_load_dword s7, s[18:19], 0x0
	s_lshl_b32 s6, s6, 8
	s_waitcnt lgkmcnt(0)
	s_cmp_ge_i32 s6, s7
	s_cbranch_scc1 .LBB397_10
; %bb.5:
	s_andn2_b64 vcc, exec, s[14:15]
	s_cbranch_vccnz .LBB397_7
; %bb.6:
	s_add_u32 s6, s12, s16
	s_addc_u32 s7, s13, s17
	s_load_dword s8, s[6:7], 0x0
.LBB397_7:
	v_and_b32_e32 v1, 15, v0
	s_movk_i32 s6, 0xc0
	v_cmp_gt_u32_e32 vcc, s6, v0
	v_cmp_gt_u32_e64 s[6:7], 8, v1
	s_and_b64 s[12:13], vcc, s[6:7]
	s_and_saveexec_b64 s[6:7], s[12:13]
	s_cbranch_execz .LBB397_9
; %bb.8:
	s_load_dword s11, s[4:5], 0x48
	s_load_dwordx2 s[12:13], s[4:5], 0x0
	v_lshrrev_b32_e32 v6, 4, v0
	s_mul_i32 s10, s10, 12
	v_add_lshl_u32 v2, v6, s10, 6
	s_waitcnt lgkmcnt(0)
	s_ashr_i32 s9, s11, 31
	s_mul_hi_u32 s14, s8, s11
	s_mul_i32 s9, s8, s9
	s_add_i32 s9, s14, s9
	s_mul_i32 s8, s8, s11
	s_lshl_b64 s[8:9], s[8:9], 1
	s_add_u32 s8, s12, s8
	v_ashrrev_i32_e32 v3, 31, v2
	s_addc_u32 s9, s13, s9
	v_lshlrev_b64 v[2:3], 1, v[2:3]
	v_mov_b32_e32 v4, s9
	v_add_co_u32_e32 v2, vcc, s8, v2
	v_addc_co_u32_e32 v3, vcc, v4, v3, vcc
	v_lshlrev_b32_e32 v4, 4, v1
	v_add_co_u32_e32 v2, vcc, v2, v4
	v_addc_co_u32_e32 v3, vcc, 0, v3, vcc
	global_load_dwordx4 v[2:5], v[2:3], off
	v_lshlrev_b32_e32 v0, 4, v0
	v_lshlrev_b32_e32 v1, 8, v1
	v_and_b32_e32 v0, 16, v0
	v_lshlrev_b32_e32 v6, 5, v6
	v_and_b32_e32 v1, 0xe00, v1
	v_or3_b32 v0, v1, v6, v0
	s_waitcnt vmcnt(0)
	ds_write_b128 v0, v[2:5]
.LBB397_9:
	s_or_b64 exec, exec, s[6:7]
	s_waitcnt lgkmcnt(0)
	s_add_u32 s8, s4, 0x90
	s_addc_u32 s9, s5, 0
	s_getpc_b64 s[4:5]
	s_add_u32 s4, s4, __PRETTY_FUNCTION__._Z39paged_attention_ll4mi_QKV_mfma16_kernelIDF16_hLN4vllm18Fp8KVCacheDataTypeE1EDF16_Li16ELi64ELi256ELb1ELi12EL8MFMAType1EEvPKT_PKT0_S8_ifPKiSA_SA_iPKfiiiPfSD_PS3_PT2_iSC_SC_@rel32@lo+4
	s_addc_u32 s5, s5, __PRETTY_FUNCTION__._Z39paged_attention_ll4mi_QKV_mfma16_kernelIDF16_hLN4vllm18Fp8KVCacheDataTypeE1EDF16_Li16ELi64ELi256ELb1ELi12EL8MFMAType1EEvPKT_PKT0_S8_ifPKiSA_SA_iPKfiiiPfSD_PS3_PT2_iSC_SC_@rel32@hi+12
	v_mov_b32_e32 v0, 0x288
	v_mov_b32_e32 v1, s4
	;; [unrolled: 1-line block ×3, first 2 shown]
	s_barrier
	s_getpc_b64 s[6:7]
	s_add_u32 s6, s6, __assert_fail@rel32@lo+4
	s_addc_u32 s7, s7, __assert_fail@rel32@hi+12
	s_swappc_b64 s[30:31], s[6:7]
	; divergent unreachable
.LBB397_10:
	s_endpgm
.LBB397_11:
	s_mov_b64 s[18:19], 0
	s_branch .LBB397_2
	.section	.rodata,"a",@progbits
	.p2align	6, 0x0
	.amdhsa_kernel _Z39paged_attention_ll4mi_QKV_mfma16_kernelIDF16_hLN4vllm18Fp8KVCacheDataTypeE1EDF16_Li16ELi64ELi256ELb1ELi12EL8MFMAType1EEvPKT_PKT0_S8_ifPKiSA_SA_iPKfiiiPfSD_PS3_PT2_iSC_SC_
		.amdhsa_group_segment_fixed_size 8192
		.amdhsa_private_segment_fixed_size 64
		.amdhsa_kernarg_size 400
		.amdhsa_user_sgpr_count 8
		.amdhsa_user_sgpr_private_segment_buffer 1
		.amdhsa_user_sgpr_dispatch_ptr 0
		.amdhsa_user_sgpr_queue_ptr 0
		.amdhsa_user_sgpr_kernarg_segment_ptr 1
		.amdhsa_user_sgpr_dispatch_id 0
		.amdhsa_user_sgpr_flat_scratch_init 1
		.amdhsa_user_sgpr_kernarg_preload_length 0
		.amdhsa_user_sgpr_kernarg_preload_offset 0
		.amdhsa_user_sgpr_private_segment_size 0
		.amdhsa_uses_dynamic_stack 0
		.amdhsa_system_sgpr_private_segment_wavefront_offset 1
		.amdhsa_system_sgpr_workgroup_id_x 1
		.amdhsa_system_sgpr_workgroup_id_y 1
		.amdhsa_system_sgpr_workgroup_id_z 1
		.amdhsa_system_sgpr_workgroup_info 0
		.amdhsa_system_vgpr_workitem_id 0
		.amdhsa_next_free_vgpr 45
		.amdhsa_next_free_sgpr 34
		.amdhsa_accum_offset 44
		.amdhsa_reserve_vcc 1
		.amdhsa_reserve_flat_scratch 1
		.amdhsa_float_round_mode_32 0
		.amdhsa_float_round_mode_16_64 0
		.amdhsa_float_denorm_mode_32 3
		.amdhsa_float_denorm_mode_16_64 3
		.amdhsa_dx10_clamp 1
		.amdhsa_ieee_mode 1
		.amdhsa_fp16_overflow 0
		.amdhsa_tg_split 0
		.amdhsa_exception_fp_ieee_invalid_op 0
		.amdhsa_exception_fp_denorm_src 0
		.amdhsa_exception_fp_ieee_div_zero 0
		.amdhsa_exception_fp_ieee_overflow 0
		.amdhsa_exception_fp_ieee_underflow 0
		.amdhsa_exception_fp_ieee_inexact 0
		.amdhsa_exception_int_div_zero 0
	.end_amdhsa_kernel
	.section	.text._Z39paged_attention_ll4mi_QKV_mfma16_kernelIDF16_hLN4vllm18Fp8KVCacheDataTypeE1EDF16_Li16ELi64ELi256ELb1ELi12EL8MFMAType1EEvPKT_PKT0_S8_ifPKiSA_SA_iPKfiiiPfSD_PS3_PT2_iSC_SC_,"axG",@progbits,_Z39paged_attention_ll4mi_QKV_mfma16_kernelIDF16_hLN4vllm18Fp8KVCacheDataTypeE1EDF16_Li16ELi64ELi256ELb1ELi12EL8MFMAType1EEvPKT_PKT0_S8_ifPKiSA_SA_iPKfiiiPfSD_PS3_PT2_iSC_SC_,comdat
.Lfunc_end397:
	.size	_Z39paged_attention_ll4mi_QKV_mfma16_kernelIDF16_hLN4vllm18Fp8KVCacheDataTypeE1EDF16_Li16ELi64ELi256ELb1ELi12EL8MFMAType1EEvPKT_PKT0_S8_ifPKiSA_SA_iPKfiiiPfSD_PS3_PT2_iSC_SC_, .Lfunc_end397-_Z39paged_attention_ll4mi_QKV_mfma16_kernelIDF16_hLN4vllm18Fp8KVCacheDataTypeE1EDF16_Li16ELi64ELi256ELb1ELi12EL8MFMAType1EEvPKT_PKT0_S8_ifPKiSA_SA_iPKfiiiPfSD_PS3_PT2_iSC_SC_
                                        ; -- End function
	.section	.AMDGPU.csdata,"",@progbits
; Kernel info:
; codeLenInByte = 504
; NumSgprs: 40
; NumVgprs: 42
; NumAgprs: 1
; TotalNumVgprs: 45
; ScratchSize: 64
; MemoryBound: 0
; FloatMode: 240
; IeeeMode: 1
; LDSByteSize: 8192 bytes/workgroup (compile time only)
; SGPRBlocks: 4
; VGPRBlocks: 5
; NumSGPRsForWavesPerEU: 40
; NumVGPRsForWavesPerEU: 45
; AccumOffset: 44
; Occupancy: 8
; WaveLimiterHint : 1
; COMPUTE_PGM_RSRC2:SCRATCH_EN: 1
; COMPUTE_PGM_RSRC2:USER_SGPR: 8
; COMPUTE_PGM_RSRC2:TRAP_HANDLER: 0
; COMPUTE_PGM_RSRC2:TGID_X_EN: 1
; COMPUTE_PGM_RSRC2:TGID_Y_EN: 1
; COMPUTE_PGM_RSRC2:TGID_Z_EN: 1
; COMPUTE_PGM_RSRC2:TIDIG_COMP_CNT: 0
; COMPUTE_PGM_RSRC3_GFX90A:ACCUM_OFFSET: 10
; COMPUTE_PGM_RSRC3_GFX90A:TG_SPLIT: 0
	.section	.text._Z39paged_attention_ll4mi_QKV_mfma16_kernelIDF16_hLN4vllm18Fp8KVCacheDataTypeE1EDF16_Li16ELi64ELi256ELb1ELi13EL8MFMAType1EEvPKT_PKT0_S8_ifPKiSA_SA_iPKfiiiPfSD_PS3_PT2_iSC_SC_,"axG",@progbits,_Z39paged_attention_ll4mi_QKV_mfma16_kernelIDF16_hLN4vllm18Fp8KVCacheDataTypeE1EDF16_Li16ELi64ELi256ELb1ELi13EL8MFMAType1EEvPKT_PKT0_S8_ifPKiSA_SA_iPKfiiiPfSD_PS3_PT2_iSC_SC_,comdat
	.protected	_Z39paged_attention_ll4mi_QKV_mfma16_kernelIDF16_hLN4vllm18Fp8KVCacheDataTypeE1EDF16_Li16ELi64ELi256ELb1ELi13EL8MFMAType1EEvPKT_PKT0_S8_ifPKiSA_SA_iPKfiiiPfSD_PS3_PT2_iSC_SC_ ; -- Begin function _Z39paged_attention_ll4mi_QKV_mfma16_kernelIDF16_hLN4vllm18Fp8KVCacheDataTypeE1EDF16_Li16ELi64ELi256ELb1ELi13EL8MFMAType1EEvPKT_PKT0_S8_ifPKiSA_SA_iPKfiiiPfSD_PS3_PT2_iSC_SC_
	.globl	_Z39paged_attention_ll4mi_QKV_mfma16_kernelIDF16_hLN4vllm18Fp8KVCacheDataTypeE1EDF16_Li16ELi64ELi256ELb1ELi13EL8MFMAType1EEvPKT_PKT0_S8_ifPKiSA_SA_iPKfiiiPfSD_PS3_PT2_iSC_SC_
	.p2align	8
	.type	_Z39paged_attention_ll4mi_QKV_mfma16_kernelIDF16_hLN4vllm18Fp8KVCacheDataTypeE1EDF16_Li16ELi64ELi256ELb1ELi13EL8MFMAType1EEvPKT_PKT0_S8_ifPKiSA_SA_iPKfiiiPfSD_PS3_PT2_iSC_SC_,@function
_Z39paged_attention_ll4mi_QKV_mfma16_kernelIDF16_hLN4vllm18Fp8KVCacheDataTypeE1EDF16_Li16ELi64ELi256ELb1ELi13EL8MFMAType1EEvPKT_PKT0_S8_ifPKiSA_SA_iPKfiiiPfSD_PS3_PT2_iSC_SC_: ; @_Z39paged_attention_ll4mi_QKV_mfma16_kernelIDF16_hLN4vllm18Fp8KVCacheDataTypeE1EDF16_Li16ELi64ELi256ELb1ELi13EL8MFMAType1EEvPKT_PKT0_S8_ifPKiSA_SA_iPKfiiiPfSD_PS3_PT2_iSC_SC_
; %bb.0:
	s_load_dwordx2 s[12:13], s[4:5], 0x30
	s_add_u32 flat_scratch_lo, s6, s11
	s_addc_u32 flat_scratch_hi, s7, 0
	s_add_u32 s0, s0, s11
	s_addc_u32 s1, s1, 0
	s_waitcnt lgkmcnt(0)
	s_cmp_lg_u64 s[12:13], 0
	s_cselect_b64 s[14:15], -1, 0
	s_mov_b32 s6, s9
	s_mov_b64 s[16:17], 0
	s_and_b64 vcc, exec, s[14:15]
	s_mov_b32 s32, 0
	s_cbranch_vccz .LBB398_11
; %bb.1:
	s_add_i32 s18, s8, 1
	s_mov_b32 s19, 0
	s_lshl_b64 s[20:21], s[18:19], 2
	s_add_u32 s20, s12, s20
	s_mov_b32 s9, s19
	s_addc_u32 s21, s13, s21
	s_lshl_b64 s[18:19], s[8:9], 2
	s_add_u32 s18, s12, s18
	s_addc_u32 s19, s13, s19
	s_load_dword s7, s[20:21], 0x0
	s_load_dword s11, s[18:19], 0x0
	s_waitcnt lgkmcnt(0)
	s_sub_i32 s7, s7, s11
	s_cmp_eq_u32 s7, 1
	s_cselect_b64 s[18:19], -1, 0
	s_andn2_b64 vcc, exec, s[16:17]
	s_cbranch_vccnz .LBB398_3
.LBB398_2:
	s_mov_b32 s9, 0
	s_mov_b64 s[18:19], -1
.LBB398_3:
	s_andn2_b64 vcc, exec, s[18:19]
	s_cbranch_vccnz .LBB398_10
; %bb.4:
	s_load_dwordx2 s[18:19], s[4:5], 0x28
	s_lshl_b64 s[16:17], s[8:9], 2
	s_waitcnt lgkmcnt(0)
	s_add_u32 s18, s18, s16
	s_addc_u32 s19, s19, s17
	s_load_dword s7, s[18:19], 0x0
	s_lshl_b32 s6, s6, 8
	s_waitcnt lgkmcnt(0)
	s_cmp_ge_i32 s6, s7
	s_cbranch_scc1 .LBB398_10
; %bb.5:
	s_andn2_b64 vcc, exec, s[14:15]
	s_cbranch_vccnz .LBB398_7
; %bb.6:
	s_add_u32 s6, s12, s16
	s_addc_u32 s7, s13, s17
	s_load_dword s8, s[6:7], 0x0
.LBB398_7:
	v_and_b32_e32 v1, 15, v0
	s_movk_i32 s6, 0xd0
	v_cmp_gt_u32_e32 vcc, s6, v0
	v_cmp_gt_u32_e64 s[6:7], 8, v1
	s_and_b64 s[12:13], s[6:7], vcc
	s_and_saveexec_b64 s[6:7], s[12:13]
	s_cbranch_execz .LBB398_9
; %bb.8:
	s_load_dword s11, s[4:5], 0x48
	s_load_dwordx2 s[12:13], s[4:5], 0x0
	v_lshrrev_b32_e32 v6, 4, v0
	s_mul_i32 s10, s10, 13
	v_add_lshl_u32 v2, v6, s10, 6
	s_waitcnt lgkmcnt(0)
	s_ashr_i32 s9, s11, 31
	s_mul_hi_u32 s14, s8, s11
	s_mul_i32 s9, s8, s9
	s_add_i32 s9, s14, s9
	s_mul_i32 s8, s8, s11
	s_lshl_b64 s[8:9], s[8:9], 1
	s_add_u32 s8, s12, s8
	v_ashrrev_i32_e32 v3, 31, v2
	s_addc_u32 s9, s13, s9
	v_lshlrev_b64 v[2:3], 1, v[2:3]
	v_mov_b32_e32 v4, s9
	v_add_co_u32_e32 v2, vcc, s8, v2
	v_addc_co_u32_e32 v3, vcc, v4, v3, vcc
	v_lshlrev_b32_e32 v4, 4, v1
	v_add_co_u32_e32 v2, vcc, v2, v4
	v_addc_co_u32_e32 v3, vcc, 0, v3, vcc
	global_load_dwordx4 v[2:5], v[2:3], off
	v_lshlrev_b32_e32 v0, 4, v0
	v_lshlrev_b32_e32 v1, 8, v1
	v_and_b32_e32 v0, 16, v0
	v_lshlrev_b32_e32 v6, 5, v6
	v_and_b32_e32 v1, 0xe00, v1
	v_or3_b32 v0, v1, v6, v0
	s_waitcnt vmcnt(0)
	ds_write_b128 v0, v[2:5]
.LBB398_9:
	s_or_b64 exec, exec, s[6:7]
	s_waitcnt lgkmcnt(0)
	s_add_u32 s8, s4, 0x90
	s_addc_u32 s9, s5, 0
	s_getpc_b64 s[4:5]
	s_add_u32 s4, s4, __PRETTY_FUNCTION__._Z39paged_attention_ll4mi_QKV_mfma16_kernelIDF16_hLN4vllm18Fp8KVCacheDataTypeE1EDF16_Li16ELi64ELi256ELb1ELi13EL8MFMAType1EEvPKT_PKT0_S8_ifPKiSA_SA_iPKfiiiPfSD_PS3_PT2_iSC_SC_@rel32@lo+4
	s_addc_u32 s5, s5, __PRETTY_FUNCTION__._Z39paged_attention_ll4mi_QKV_mfma16_kernelIDF16_hLN4vllm18Fp8KVCacheDataTypeE1EDF16_Li16ELi64ELi256ELb1ELi13EL8MFMAType1EEvPKT_PKT0_S8_ifPKiSA_SA_iPKfiiiPfSD_PS3_PT2_iSC_SC_@rel32@hi+12
	v_mov_b32_e32 v0, 0x288
	v_mov_b32_e32 v1, s4
	;; [unrolled: 1-line block ×3, first 2 shown]
	s_barrier
	s_getpc_b64 s[6:7]
	s_add_u32 s6, s6, __assert_fail@rel32@lo+4
	s_addc_u32 s7, s7, __assert_fail@rel32@hi+12
	s_swappc_b64 s[30:31], s[6:7]
	; divergent unreachable
.LBB398_10:
	s_endpgm
.LBB398_11:
	s_mov_b64 s[18:19], 0
	s_branch .LBB398_2
	.section	.rodata,"a",@progbits
	.p2align	6, 0x0
	.amdhsa_kernel _Z39paged_attention_ll4mi_QKV_mfma16_kernelIDF16_hLN4vllm18Fp8KVCacheDataTypeE1EDF16_Li16ELi64ELi256ELb1ELi13EL8MFMAType1EEvPKT_PKT0_S8_ifPKiSA_SA_iPKfiiiPfSD_PS3_PT2_iSC_SC_
		.amdhsa_group_segment_fixed_size 8192
		.amdhsa_private_segment_fixed_size 64
		.amdhsa_kernarg_size 400
		.amdhsa_user_sgpr_count 8
		.amdhsa_user_sgpr_private_segment_buffer 1
		.amdhsa_user_sgpr_dispatch_ptr 0
		.amdhsa_user_sgpr_queue_ptr 0
		.amdhsa_user_sgpr_kernarg_segment_ptr 1
		.amdhsa_user_sgpr_dispatch_id 0
		.amdhsa_user_sgpr_flat_scratch_init 1
		.amdhsa_user_sgpr_kernarg_preload_length 0
		.amdhsa_user_sgpr_kernarg_preload_offset 0
		.amdhsa_user_sgpr_private_segment_size 0
		.amdhsa_uses_dynamic_stack 0
		.amdhsa_system_sgpr_private_segment_wavefront_offset 1
		.amdhsa_system_sgpr_workgroup_id_x 1
		.amdhsa_system_sgpr_workgroup_id_y 1
		.amdhsa_system_sgpr_workgroup_id_z 1
		.amdhsa_system_sgpr_workgroup_info 0
		.amdhsa_system_vgpr_workitem_id 0
		.amdhsa_next_free_vgpr 45
		.amdhsa_next_free_sgpr 34
		.amdhsa_accum_offset 44
		.amdhsa_reserve_vcc 1
		.amdhsa_reserve_flat_scratch 1
		.amdhsa_float_round_mode_32 0
		.amdhsa_float_round_mode_16_64 0
		.amdhsa_float_denorm_mode_32 3
		.amdhsa_float_denorm_mode_16_64 3
		.amdhsa_dx10_clamp 1
		.amdhsa_ieee_mode 1
		.amdhsa_fp16_overflow 0
		.amdhsa_tg_split 0
		.amdhsa_exception_fp_ieee_invalid_op 0
		.amdhsa_exception_fp_denorm_src 0
		.amdhsa_exception_fp_ieee_div_zero 0
		.amdhsa_exception_fp_ieee_overflow 0
		.amdhsa_exception_fp_ieee_underflow 0
		.amdhsa_exception_fp_ieee_inexact 0
		.amdhsa_exception_int_div_zero 0
	.end_amdhsa_kernel
	.section	.text._Z39paged_attention_ll4mi_QKV_mfma16_kernelIDF16_hLN4vllm18Fp8KVCacheDataTypeE1EDF16_Li16ELi64ELi256ELb1ELi13EL8MFMAType1EEvPKT_PKT0_S8_ifPKiSA_SA_iPKfiiiPfSD_PS3_PT2_iSC_SC_,"axG",@progbits,_Z39paged_attention_ll4mi_QKV_mfma16_kernelIDF16_hLN4vllm18Fp8KVCacheDataTypeE1EDF16_Li16ELi64ELi256ELb1ELi13EL8MFMAType1EEvPKT_PKT0_S8_ifPKiSA_SA_iPKfiiiPfSD_PS3_PT2_iSC_SC_,comdat
.Lfunc_end398:
	.size	_Z39paged_attention_ll4mi_QKV_mfma16_kernelIDF16_hLN4vllm18Fp8KVCacheDataTypeE1EDF16_Li16ELi64ELi256ELb1ELi13EL8MFMAType1EEvPKT_PKT0_S8_ifPKiSA_SA_iPKfiiiPfSD_PS3_PT2_iSC_SC_, .Lfunc_end398-_Z39paged_attention_ll4mi_QKV_mfma16_kernelIDF16_hLN4vllm18Fp8KVCacheDataTypeE1EDF16_Li16ELi64ELi256ELb1ELi13EL8MFMAType1EEvPKT_PKT0_S8_ifPKiSA_SA_iPKfiiiPfSD_PS3_PT2_iSC_SC_
                                        ; -- End function
	.section	.AMDGPU.csdata,"",@progbits
; Kernel info:
; codeLenInByte = 504
; NumSgprs: 40
; NumVgprs: 42
; NumAgprs: 1
; TotalNumVgprs: 45
; ScratchSize: 64
; MemoryBound: 0
; FloatMode: 240
; IeeeMode: 1
; LDSByteSize: 8192 bytes/workgroup (compile time only)
; SGPRBlocks: 4
; VGPRBlocks: 5
; NumSGPRsForWavesPerEU: 40
; NumVGPRsForWavesPerEU: 45
; AccumOffset: 44
; Occupancy: 8
; WaveLimiterHint : 1
; COMPUTE_PGM_RSRC2:SCRATCH_EN: 1
; COMPUTE_PGM_RSRC2:USER_SGPR: 8
; COMPUTE_PGM_RSRC2:TRAP_HANDLER: 0
; COMPUTE_PGM_RSRC2:TGID_X_EN: 1
; COMPUTE_PGM_RSRC2:TGID_Y_EN: 1
; COMPUTE_PGM_RSRC2:TGID_Z_EN: 1
; COMPUTE_PGM_RSRC2:TIDIG_COMP_CNT: 0
; COMPUTE_PGM_RSRC3_GFX90A:ACCUM_OFFSET: 10
; COMPUTE_PGM_RSRC3_GFX90A:TG_SPLIT: 0
	.section	.text._Z39paged_attention_ll4mi_QKV_mfma16_kernelIDF16_hLN4vllm18Fp8KVCacheDataTypeE1EDF16_Li16ELi64ELi256ELb1ELi14EL8MFMAType1EEvPKT_PKT0_S8_ifPKiSA_SA_iPKfiiiPfSD_PS3_PT2_iSC_SC_,"axG",@progbits,_Z39paged_attention_ll4mi_QKV_mfma16_kernelIDF16_hLN4vllm18Fp8KVCacheDataTypeE1EDF16_Li16ELi64ELi256ELb1ELi14EL8MFMAType1EEvPKT_PKT0_S8_ifPKiSA_SA_iPKfiiiPfSD_PS3_PT2_iSC_SC_,comdat
	.protected	_Z39paged_attention_ll4mi_QKV_mfma16_kernelIDF16_hLN4vllm18Fp8KVCacheDataTypeE1EDF16_Li16ELi64ELi256ELb1ELi14EL8MFMAType1EEvPKT_PKT0_S8_ifPKiSA_SA_iPKfiiiPfSD_PS3_PT2_iSC_SC_ ; -- Begin function _Z39paged_attention_ll4mi_QKV_mfma16_kernelIDF16_hLN4vllm18Fp8KVCacheDataTypeE1EDF16_Li16ELi64ELi256ELb1ELi14EL8MFMAType1EEvPKT_PKT0_S8_ifPKiSA_SA_iPKfiiiPfSD_PS3_PT2_iSC_SC_
	.globl	_Z39paged_attention_ll4mi_QKV_mfma16_kernelIDF16_hLN4vllm18Fp8KVCacheDataTypeE1EDF16_Li16ELi64ELi256ELb1ELi14EL8MFMAType1EEvPKT_PKT0_S8_ifPKiSA_SA_iPKfiiiPfSD_PS3_PT2_iSC_SC_
	.p2align	8
	.type	_Z39paged_attention_ll4mi_QKV_mfma16_kernelIDF16_hLN4vllm18Fp8KVCacheDataTypeE1EDF16_Li16ELi64ELi256ELb1ELi14EL8MFMAType1EEvPKT_PKT0_S8_ifPKiSA_SA_iPKfiiiPfSD_PS3_PT2_iSC_SC_,@function
_Z39paged_attention_ll4mi_QKV_mfma16_kernelIDF16_hLN4vllm18Fp8KVCacheDataTypeE1EDF16_Li16ELi64ELi256ELb1ELi14EL8MFMAType1EEvPKT_PKT0_S8_ifPKiSA_SA_iPKfiiiPfSD_PS3_PT2_iSC_SC_: ; @_Z39paged_attention_ll4mi_QKV_mfma16_kernelIDF16_hLN4vllm18Fp8KVCacheDataTypeE1EDF16_Li16ELi64ELi256ELb1ELi14EL8MFMAType1EEvPKT_PKT0_S8_ifPKiSA_SA_iPKfiiiPfSD_PS3_PT2_iSC_SC_
; %bb.0:
	s_load_dwordx2 s[12:13], s[4:5], 0x30
	s_add_u32 flat_scratch_lo, s6, s11
	s_addc_u32 flat_scratch_hi, s7, 0
	s_add_u32 s0, s0, s11
	s_addc_u32 s1, s1, 0
	s_waitcnt lgkmcnt(0)
	s_cmp_lg_u64 s[12:13], 0
	s_cselect_b64 s[14:15], -1, 0
	s_mov_b32 s6, s9
	s_mov_b64 s[16:17], 0
	s_and_b64 vcc, exec, s[14:15]
	s_mov_b32 s32, 0
	s_cbranch_vccz .LBB399_11
; %bb.1:
	s_add_i32 s18, s8, 1
	s_mov_b32 s19, 0
	s_lshl_b64 s[20:21], s[18:19], 2
	s_add_u32 s20, s12, s20
	s_mov_b32 s9, s19
	s_addc_u32 s21, s13, s21
	s_lshl_b64 s[18:19], s[8:9], 2
	s_add_u32 s18, s12, s18
	s_addc_u32 s19, s13, s19
	s_load_dword s7, s[20:21], 0x0
	s_load_dword s11, s[18:19], 0x0
	s_waitcnt lgkmcnt(0)
	s_sub_i32 s7, s7, s11
	s_cmp_eq_u32 s7, 1
	s_cselect_b64 s[18:19], -1, 0
	s_andn2_b64 vcc, exec, s[16:17]
	s_cbranch_vccnz .LBB399_3
.LBB399_2:
	s_mov_b32 s9, 0
	s_mov_b64 s[18:19], -1
.LBB399_3:
	s_andn2_b64 vcc, exec, s[18:19]
	s_cbranch_vccnz .LBB399_10
; %bb.4:
	s_load_dwordx2 s[18:19], s[4:5], 0x28
	s_lshl_b64 s[16:17], s[8:9], 2
	s_waitcnt lgkmcnt(0)
	s_add_u32 s18, s18, s16
	s_addc_u32 s19, s19, s17
	s_load_dword s7, s[18:19], 0x0
	s_lshl_b32 s6, s6, 8
	s_waitcnt lgkmcnt(0)
	s_cmp_ge_i32 s6, s7
	s_cbranch_scc1 .LBB399_10
; %bb.5:
	s_andn2_b64 vcc, exec, s[14:15]
	s_cbranch_vccnz .LBB399_7
; %bb.6:
	s_add_u32 s6, s12, s16
	s_addc_u32 s7, s13, s17
	s_load_dword s8, s[6:7], 0x0
.LBB399_7:
	v_and_b32_e32 v1, 15, v0
	s_movk_i32 s6, 0xe0
	v_cmp_gt_u32_e32 vcc, s6, v0
	v_cmp_gt_u32_e64 s[6:7], 8, v1
	s_and_b64 s[12:13], s[6:7], vcc
	s_and_saveexec_b64 s[6:7], s[12:13]
	s_cbranch_execz .LBB399_9
; %bb.8:
	s_load_dword s11, s[4:5], 0x48
	s_load_dwordx2 s[12:13], s[4:5], 0x0
	v_lshrrev_b32_e32 v6, 4, v0
	s_mul_i32 s10, s10, 14
	v_add_lshl_u32 v2, v6, s10, 6
	s_waitcnt lgkmcnt(0)
	s_ashr_i32 s9, s11, 31
	s_mul_hi_u32 s14, s8, s11
	s_mul_i32 s9, s8, s9
	s_add_i32 s9, s14, s9
	s_mul_i32 s8, s8, s11
	s_lshl_b64 s[8:9], s[8:9], 1
	s_add_u32 s8, s12, s8
	v_ashrrev_i32_e32 v3, 31, v2
	s_addc_u32 s9, s13, s9
	v_lshlrev_b64 v[2:3], 1, v[2:3]
	v_mov_b32_e32 v4, s9
	v_add_co_u32_e32 v2, vcc, s8, v2
	v_addc_co_u32_e32 v3, vcc, v4, v3, vcc
	v_lshlrev_b32_e32 v4, 4, v1
	v_add_co_u32_e32 v2, vcc, v2, v4
	v_addc_co_u32_e32 v3, vcc, 0, v3, vcc
	global_load_dwordx4 v[2:5], v[2:3], off
	v_lshlrev_b32_e32 v0, 4, v0
	v_lshlrev_b32_e32 v1, 8, v1
	v_and_b32_e32 v0, 16, v0
	v_lshlrev_b32_e32 v6, 5, v6
	v_and_b32_e32 v1, 0xe00, v1
	v_or3_b32 v0, v1, v6, v0
	s_waitcnt vmcnt(0)
	ds_write_b128 v0, v[2:5]
.LBB399_9:
	s_or_b64 exec, exec, s[6:7]
	s_waitcnt lgkmcnt(0)
	s_add_u32 s8, s4, 0x90
	s_addc_u32 s9, s5, 0
	s_getpc_b64 s[4:5]
	s_add_u32 s4, s4, __PRETTY_FUNCTION__._Z39paged_attention_ll4mi_QKV_mfma16_kernelIDF16_hLN4vllm18Fp8KVCacheDataTypeE1EDF16_Li16ELi64ELi256ELb1ELi14EL8MFMAType1EEvPKT_PKT0_S8_ifPKiSA_SA_iPKfiiiPfSD_PS3_PT2_iSC_SC_@rel32@lo+4
	s_addc_u32 s5, s5, __PRETTY_FUNCTION__._Z39paged_attention_ll4mi_QKV_mfma16_kernelIDF16_hLN4vllm18Fp8KVCacheDataTypeE1EDF16_Li16ELi64ELi256ELb1ELi14EL8MFMAType1EEvPKT_PKT0_S8_ifPKiSA_SA_iPKfiiiPfSD_PS3_PT2_iSC_SC_@rel32@hi+12
	v_mov_b32_e32 v0, 0x288
	v_mov_b32_e32 v1, s4
	;; [unrolled: 1-line block ×3, first 2 shown]
	s_barrier
	s_getpc_b64 s[6:7]
	s_add_u32 s6, s6, __assert_fail@rel32@lo+4
	s_addc_u32 s7, s7, __assert_fail@rel32@hi+12
	s_swappc_b64 s[30:31], s[6:7]
	; divergent unreachable
.LBB399_10:
	s_endpgm
.LBB399_11:
	s_mov_b64 s[18:19], 0
	s_branch .LBB399_2
	.section	.rodata,"a",@progbits
	.p2align	6, 0x0
	.amdhsa_kernel _Z39paged_attention_ll4mi_QKV_mfma16_kernelIDF16_hLN4vllm18Fp8KVCacheDataTypeE1EDF16_Li16ELi64ELi256ELb1ELi14EL8MFMAType1EEvPKT_PKT0_S8_ifPKiSA_SA_iPKfiiiPfSD_PS3_PT2_iSC_SC_
		.amdhsa_group_segment_fixed_size 8192
		.amdhsa_private_segment_fixed_size 64
		.amdhsa_kernarg_size 400
		.amdhsa_user_sgpr_count 8
		.amdhsa_user_sgpr_private_segment_buffer 1
		.amdhsa_user_sgpr_dispatch_ptr 0
		.amdhsa_user_sgpr_queue_ptr 0
		.amdhsa_user_sgpr_kernarg_segment_ptr 1
		.amdhsa_user_sgpr_dispatch_id 0
		.amdhsa_user_sgpr_flat_scratch_init 1
		.amdhsa_user_sgpr_kernarg_preload_length 0
		.amdhsa_user_sgpr_kernarg_preload_offset 0
		.amdhsa_user_sgpr_private_segment_size 0
		.amdhsa_uses_dynamic_stack 0
		.amdhsa_system_sgpr_private_segment_wavefront_offset 1
		.amdhsa_system_sgpr_workgroup_id_x 1
		.amdhsa_system_sgpr_workgroup_id_y 1
		.amdhsa_system_sgpr_workgroup_id_z 1
		.amdhsa_system_sgpr_workgroup_info 0
		.amdhsa_system_vgpr_workitem_id 0
		.amdhsa_next_free_vgpr 45
		.amdhsa_next_free_sgpr 34
		.amdhsa_accum_offset 44
		.amdhsa_reserve_vcc 1
		.amdhsa_reserve_flat_scratch 1
		.amdhsa_float_round_mode_32 0
		.amdhsa_float_round_mode_16_64 0
		.amdhsa_float_denorm_mode_32 3
		.amdhsa_float_denorm_mode_16_64 3
		.amdhsa_dx10_clamp 1
		.amdhsa_ieee_mode 1
		.amdhsa_fp16_overflow 0
		.amdhsa_tg_split 0
		.amdhsa_exception_fp_ieee_invalid_op 0
		.amdhsa_exception_fp_denorm_src 0
		.amdhsa_exception_fp_ieee_div_zero 0
		.amdhsa_exception_fp_ieee_overflow 0
		.amdhsa_exception_fp_ieee_underflow 0
		.amdhsa_exception_fp_ieee_inexact 0
		.amdhsa_exception_int_div_zero 0
	.end_amdhsa_kernel
	.section	.text._Z39paged_attention_ll4mi_QKV_mfma16_kernelIDF16_hLN4vllm18Fp8KVCacheDataTypeE1EDF16_Li16ELi64ELi256ELb1ELi14EL8MFMAType1EEvPKT_PKT0_S8_ifPKiSA_SA_iPKfiiiPfSD_PS3_PT2_iSC_SC_,"axG",@progbits,_Z39paged_attention_ll4mi_QKV_mfma16_kernelIDF16_hLN4vllm18Fp8KVCacheDataTypeE1EDF16_Li16ELi64ELi256ELb1ELi14EL8MFMAType1EEvPKT_PKT0_S8_ifPKiSA_SA_iPKfiiiPfSD_PS3_PT2_iSC_SC_,comdat
.Lfunc_end399:
	.size	_Z39paged_attention_ll4mi_QKV_mfma16_kernelIDF16_hLN4vllm18Fp8KVCacheDataTypeE1EDF16_Li16ELi64ELi256ELb1ELi14EL8MFMAType1EEvPKT_PKT0_S8_ifPKiSA_SA_iPKfiiiPfSD_PS3_PT2_iSC_SC_, .Lfunc_end399-_Z39paged_attention_ll4mi_QKV_mfma16_kernelIDF16_hLN4vllm18Fp8KVCacheDataTypeE1EDF16_Li16ELi64ELi256ELb1ELi14EL8MFMAType1EEvPKT_PKT0_S8_ifPKiSA_SA_iPKfiiiPfSD_PS3_PT2_iSC_SC_
                                        ; -- End function
	.section	.AMDGPU.csdata,"",@progbits
; Kernel info:
; codeLenInByte = 504
; NumSgprs: 40
; NumVgprs: 42
; NumAgprs: 1
; TotalNumVgprs: 45
; ScratchSize: 64
; MemoryBound: 0
; FloatMode: 240
; IeeeMode: 1
; LDSByteSize: 8192 bytes/workgroup (compile time only)
; SGPRBlocks: 4
; VGPRBlocks: 5
; NumSGPRsForWavesPerEU: 40
; NumVGPRsForWavesPerEU: 45
; AccumOffset: 44
; Occupancy: 8
; WaveLimiterHint : 1
; COMPUTE_PGM_RSRC2:SCRATCH_EN: 1
; COMPUTE_PGM_RSRC2:USER_SGPR: 8
; COMPUTE_PGM_RSRC2:TRAP_HANDLER: 0
; COMPUTE_PGM_RSRC2:TGID_X_EN: 1
; COMPUTE_PGM_RSRC2:TGID_Y_EN: 1
; COMPUTE_PGM_RSRC2:TGID_Z_EN: 1
; COMPUTE_PGM_RSRC2:TIDIG_COMP_CNT: 0
; COMPUTE_PGM_RSRC3_GFX90A:ACCUM_OFFSET: 10
; COMPUTE_PGM_RSRC3_GFX90A:TG_SPLIT: 0
	.section	.text._Z39paged_attention_ll4mi_QKV_mfma16_kernelIDF16_hLN4vllm18Fp8KVCacheDataTypeE1EDF16_Li16ELi64ELi256ELb1ELi15EL8MFMAType1EEvPKT_PKT0_S8_ifPKiSA_SA_iPKfiiiPfSD_PS3_PT2_iSC_SC_,"axG",@progbits,_Z39paged_attention_ll4mi_QKV_mfma16_kernelIDF16_hLN4vllm18Fp8KVCacheDataTypeE1EDF16_Li16ELi64ELi256ELb1ELi15EL8MFMAType1EEvPKT_PKT0_S8_ifPKiSA_SA_iPKfiiiPfSD_PS3_PT2_iSC_SC_,comdat
	.protected	_Z39paged_attention_ll4mi_QKV_mfma16_kernelIDF16_hLN4vllm18Fp8KVCacheDataTypeE1EDF16_Li16ELi64ELi256ELb1ELi15EL8MFMAType1EEvPKT_PKT0_S8_ifPKiSA_SA_iPKfiiiPfSD_PS3_PT2_iSC_SC_ ; -- Begin function _Z39paged_attention_ll4mi_QKV_mfma16_kernelIDF16_hLN4vllm18Fp8KVCacheDataTypeE1EDF16_Li16ELi64ELi256ELb1ELi15EL8MFMAType1EEvPKT_PKT0_S8_ifPKiSA_SA_iPKfiiiPfSD_PS3_PT2_iSC_SC_
	.globl	_Z39paged_attention_ll4mi_QKV_mfma16_kernelIDF16_hLN4vllm18Fp8KVCacheDataTypeE1EDF16_Li16ELi64ELi256ELb1ELi15EL8MFMAType1EEvPKT_PKT0_S8_ifPKiSA_SA_iPKfiiiPfSD_PS3_PT2_iSC_SC_
	.p2align	8
	.type	_Z39paged_attention_ll4mi_QKV_mfma16_kernelIDF16_hLN4vllm18Fp8KVCacheDataTypeE1EDF16_Li16ELi64ELi256ELb1ELi15EL8MFMAType1EEvPKT_PKT0_S8_ifPKiSA_SA_iPKfiiiPfSD_PS3_PT2_iSC_SC_,@function
_Z39paged_attention_ll4mi_QKV_mfma16_kernelIDF16_hLN4vllm18Fp8KVCacheDataTypeE1EDF16_Li16ELi64ELi256ELb1ELi15EL8MFMAType1EEvPKT_PKT0_S8_ifPKiSA_SA_iPKfiiiPfSD_PS3_PT2_iSC_SC_: ; @_Z39paged_attention_ll4mi_QKV_mfma16_kernelIDF16_hLN4vllm18Fp8KVCacheDataTypeE1EDF16_Li16ELi64ELi256ELb1ELi15EL8MFMAType1EEvPKT_PKT0_S8_ifPKiSA_SA_iPKfiiiPfSD_PS3_PT2_iSC_SC_
; %bb.0:
	s_load_dwordx2 s[12:13], s[4:5], 0x30
	s_add_u32 flat_scratch_lo, s6, s11
	s_addc_u32 flat_scratch_hi, s7, 0
	s_add_u32 s0, s0, s11
	s_addc_u32 s1, s1, 0
	s_waitcnt lgkmcnt(0)
	s_cmp_lg_u64 s[12:13], 0
	s_cselect_b64 s[14:15], -1, 0
	s_mov_b32 s6, s9
	s_mov_b64 s[16:17], 0
	s_and_b64 vcc, exec, s[14:15]
	s_mov_b32 s32, 0
	s_cbranch_vccz .LBB400_11
; %bb.1:
	s_add_i32 s18, s8, 1
	s_mov_b32 s19, 0
	s_lshl_b64 s[20:21], s[18:19], 2
	s_add_u32 s20, s12, s20
	s_mov_b32 s9, s19
	s_addc_u32 s21, s13, s21
	s_lshl_b64 s[18:19], s[8:9], 2
	s_add_u32 s18, s12, s18
	s_addc_u32 s19, s13, s19
	s_load_dword s7, s[20:21], 0x0
	s_load_dword s11, s[18:19], 0x0
	s_waitcnt lgkmcnt(0)
	s_sub_i32 s7, s7, s11
	s_cmp_eq_u32 s7, 1
	s_cselect_b64 s[18:19], -1, 0
	s_andn2_b64 vcc, exec, s[16:17]
	s_cbranch_vccnz .LBB400_3
.LBB400_2:
	s_mov_b32 s9, 0
	s_mov_b64 s[18:19], -1
.LBB400_3:
	s_andn2_b64 vcc, exec, s[18:19]
	s_cbranch_vccnz .LBB400_10
; %bb.4:
	s_load_dwordx2 s[18:19], s[4:5], 0x28
	s_lshl_b64 s[16:17], s[8:9], 2
	s_waitcnt lgkmcnt(0)
	s_add_u32 s18, s18, s16
	s_addc_u32 s19, s19, s17
	s_load_dword s7, s[18:19], 0x0
	s_lshl_b32 s6, s6, 8
	s_waitcnt lgkmcnt(0)
	s_cmp_ge_i32 s6, s7
	s_cbranch_scc1 .LBB400_10
; %bb.5:
	s_andn2_b64 vcc, exec, s[14:15]
	s_cbranch_vccnz .LBB400_7
; %bb.6:
	s_add_u32 s6, s12, s16
	s_addc_u32 s7, s13, s17
	s_load_dword s8, s[6:7], 0x0
.LBB400_7:
	v_and_b32_e32 v1, 15, v0
	s_movk_i32 s6, 0xf0
	v_cmp_gt_u32_e32 vcc, s6, v0
	v_cmp_gt_u32_e64 s[6:7], 8, v1
	s_and_b64 s[12:13], s[6:7], vcc
	s_and_saveexec_b64 s[6:7], s[12:13]
	s_cbranch_execz .LBB400_9
; %bb.8:
	s_load_dword s11, s[4:5], 0x48
	s_load_dwordx2 s[12:13], s[4:5], 0x0
	v_lshrrev_b32_e32 v6, 4, v0
	s_mul_i32 s10, s10, 15
	v_add_lshl_u32 v2, v6, s10, 6
	s_waitcnt lgkmcnt(0)
	s_ashr_i32 s9, s11, 31
	s_mul_hi_u32 s14, s8, s11
	s_mul_i32 s9, s8, s9
	s_add_i32 s9, s14, s9
	s_mul_i32 s8, s8, s11
	s_lshl_b64 s[8:9], s[8:9], 1
	s_add_u32 s8, s12, s8
	v_ashrrev_i32_e32 v3, 31, v2
	s_addc_u32 s9, s13, s9
	v_lshlrev_b64 v[2:3], 1, v[2:3]
	v_mov_b32_e32 v4, s9
	v_add_co_u32_e32 v2, vcc, s8, v2
	v_addc_co_u32_e32 v3, vcc, v4, v3, vcc
	v_lshlrev_b32_e32 v4, 4, v1
	v_add_co_u32_e32 v2, vcc, v2, v4
	v_addc_co_u32_e32 v3, vcc, 0, v3, vcc
	global_load_dwordx4 v[2:5], v[2:3], off
	v_lshlrev_b32_e32 v0, 4, v0
	v_lshlrev_b32_e32 v1, 8, v1
	v_and_b32_e32 v0, 16, v0
	v_lshlrev_b32_e32 v6, 5, v6
	v_and_b32_e32 v1, 0xe00, v1
	v_or3_b32 v0, v1, v6, v0
	s_waitcnt vmcnt(0)
	ds_write_b128 v0, v[2:5]
.LBB400_9:
	s_or_b64 exec, exec, s[6:7]
	s_waitcnt lgkmcnt(0)
	s_add_u32 s8, s4, 0x90
	s_addc_u32 s9, s5, 0
	s_getpc_b64 s[4:5]
	s_add_u32 s4, s4, __PRETTY_FUNCTION__._Z39paged_attention_ll4mi_QKV_mfma16_kernelIDF16_hLN4vllm18Fp8KVCacheDataTypeE1EDF16_Li16ELi64ELi256ELb1ELi15EL8MFMAType1EEvPKT_PKT0_S8_ifPKiSA_SA_iPKfiiiPfSD_PS3_PT2_iSC_SC_@rel32@lo+4
	s_addc_u32 s5, s5, __PRETTY_FUNCTION__._Z39paged_attention_ll4mi_QKV_mfma16_kernelIDF16_hLN4vllm18Fp8KVCacheDataTypeE1EDF16_Li16ELi64ELi256ELb1ELi15EL8MFMAType1EEvPKT_PKT0_S8_ifPKiSA_SA_iPKfiiiPfSD_PS3_PT2_iSC_SC_@rel32@hi+12
	v_mov_b32_e32 v0, 0x288
	v_mov_b32_e32 v1, s4
	v_mov_b32_e32 v2, s5
	s_barrier
	s_getpc_b64 s[6:7]
	s_add_u32 s6, s6, __assert_fail@rel32@lo+4
	s_addc_u32 s7, s7, __assert_fail@rel32@hi+12
	s_swappc_b64 s[30:31], s[6:7]
	; divergent unreachable
.LBB400_10:
	s_endpgm
.LBB400_11:
	s_mov_b64 s[18:19], 0
	s_branch .LBB400_2
	.section	.rodata,"a",@progbits
	.p2align	6, 0x0
	.amdhsa_kernel _Z39paged_attention_ll4mi_QKV_mfma16_kernelIDF16_hLN4vllm18Fp8KVCacheDataTypeE1EDF16_Li16ELi64ELi256ELb1ELi15EL8MFMAType1EEvPKT_PKT0_S8_ifPKiSA_SA_iPKfiiiPfSD_PS3_PT2_iSC_SC_
		.amdhsa_group_segment_fixed_size 8192
		.amdhsa_private_segment_fixed_size 64
		.amdhsa_kernarg_size 400
		.amdhsa_user_sgpr_count 8
		.amdhsa_user_sgpr_private_segment_buffer 1
		.amdhsa_user_sgpr_dispatch_ptr 0
		.amdhsa_user_sgpr_queue_ptr 0
		.amdhsa_user_sgpr_kernarg_segment_ptr 1
		.amdhsa_user_sgpr_dispatch_id 0
		.amdhsa_user_sgpr_flat_scratch_init 1
		.amdhsa_user_sgpr_kernarg_preload_length 0
		.amdhsa_user_sgpr_kernarg_preload_offset 0
		.amdhsa_user_sgpr_private_segment_size 0
		.amdhsa_uses_dynamic_stack 0
		.amdhsa_system_sgpr_private_segment_wavefront_offset 1
		.amdhsa_system_sgpr_workgroup_id_x 1
		.amdhsa_system_sgpr_workgroup_id_y 1
		.amdhsa_system_sgpr_workgroup_id_z 1
		.amdhsa_system_sgpr_workgroup_info 0
		.amdhsa_system_vgpr_workitem_id 0
		.amdhsa_next_free_vgpr 45
		.amdhsa_next_free_sgpr 34
		.amdhsa_accum_offset 44
		.amdhsa_reserve_vcc 1
		.amdhsa_reserve_flat_scratch 1
		.amdhsa_float_round_mode_32 0
		.amdhsa_float_round_mode_16_64 0
		.amdhsa_float_denorm_mode_32 3
		.amdhsa_float_denorm_mode_16_64 3
		.amdhsa_dx10_clamp 1
		.amdhsa_ieee_mode 1
		.amdhsa_fp16_overflow 0
		.amdhsa_tg_split 0
		.amdhsa_exception_fp_ieee_invalid_op 0
		.amdhsa_exception_fp_denorm_src 0
		.amdhsa_exception_fp_ieee_div_zero 0
		.amdhsa_exception_fp_ieee_overflow 0
		.amdhsa_exception_fp_ieee_underflow 0
		.amdhsa_exception_fp_ieee_inexact 0
		.amdhsa_exception_int_div_zero 0
	.end_amdhsa_kernel
	.section	.text._Z39paged_attention_ll4mi_QKV_mfma16_kernelIDF16_hLN4vllm18Fp8KVCacheDataTypeE1EDF16_Li16ELi64ELi256ELb1ELi15EL8MFMAType1EEvPKT_PKT0_S8_ifPKiSA_SA_iPKfiiiPfSD_PS3_PT2_iSC_SC_,"axG",@progbits,_Z39paged_attention_ll4mi_QKV_mfma16_kernelIDF16_hLN4vllm18Fp8KVCacheDataTypeE1EDF16_Li16ELi64ELi256ELb1ELi15EL8MFMAType1EEvPKT_PKT0_S8_ifPKiSA_SA_iPKfiiiPfSD_PS3_PT2_iSC_SC_,comdat
.Lfunc_end400:
	.size	_Z39paged_attention_ll4mi_QKV_mfma16_kernelIDF16_hLN4vllm18Fp8KVCacheDataTypeE1EDF16_Li16ELi64ELi256ELb1ELi15EL8MFMAType1EEvPKT_PKT0_S8_ifPKiSA_SA_iPKfiiiPfSD_PS3_PT2_iSC_SC_, .Lfunc_end400-_Z39paged_attention_ll4mi_QKV_mfma16_kernelIDF16_hLN4vllm18Fp8KVCacheDataTypeE1EDF16_Li16ELi64ELi256ELb1ELi15EL8MFMAType1EEvPKT_PKT0_S8_ifPKiSA_SA_iPKfiiiPfSD_PS3_PT2_iSC_SC_
                                        ; -- End function
	.section	.AMDGPU.csdata,"",@progbits
; Kernel info:
; codeLenInByte = 504
; NumSgprs: 40
; NumVgprs: 42
; NumAgprs: 1
; TotalNumVgprs: 45
; ScratchSize: 64
; MemoryBound: 0
; FloatMode: 240
; IeeeMode: 1
; LDSByteSize: 8192 bytes/workgroup (compile time only)
; SGPRBlocks: 4
; VGPRBlocks: 5
; NumSGPRsForWavesPerEU: 40
; NumVGPRsForWavesPerEU: 45
; AccumOffset: 44
; Occupancy: 8
; WaveLimiterHint : 1
; COMPUTE_PGM_RSRC2:SCRATCH_EN: 1
; COMPUTE_PGM_RSRC2:USER_SGPR: 8
; COMPUTE_PGM_RSRC2:TRAP_HANDLER: 0
; COMPUTE_PGM_RSRC2:TGID_X_EN: 1
; COMPUTE_PGM_RSRC2:TGID_Y_EN: 1
; COMPUTE_PGM_RSRC2:TGID_Z_EN: 1
; COMPUTE_PGM_RSRC2:TIDIG_COMP_CNT: 0
; COMPUTE_PGM_RSRC3_GFX90A:ACCUM_OFFSET: 10
; COMPUTE_PGM_RSRC3_GFX90A:TG_SPLIT: 0
	.section	.text._Z39paged_attention_ll4mi_QKV_mfma16_kernelIDF16_hLN4vllm18Fp8KVCacheDataTypeE1EDF16_Li16ELi64ELi256ELb1ELi16EL8MFMAType1EEvPKT_PKT0_S8_ifPKiSA_SA_iPKfiiiPfSD_PS3_PT2_iSC_SC_,"axG",@progbits,_Z39paged_attention_ll4mi_QKV_mfma16_kernelIDF16_hLN4vllm18Fp8KVCacheDataTypeE1EDF16_Li16ELi64ELi256ELb1ELi16EL8MFMAType1EEvPKT_PKT0_S8_ifPKiSA_SA_iPKfiiiPfSD_PS3_PT2_iSC_SC_,comdat
	.protected	_Z39paged_attention_ll4mi_QKV_mfma16_kernelIDF16_hLN4vllm18Fp8KVCacheDataTypeE1EDF16_Li16ELi64ELi256ELb1ELi16EL8MFMAType1EEvPKT_PKT0_S8_ifPKiSA_SA_iPKfiiiPfSD_PS3_PT2_iSC_SC_ ; -- Begin function _Z39paged_attention_ll4mi_QKV_mfma16_kernelIDF16_hLN4vllm18Fp8KVCacheDataTypeE1EDF16_Li16ELi64ELi256ELb1ELi16EL8MFMAType1EEvPKT_PKT0_S8_ifPKiSA_SA_iPKfiiiPfSD_PS3_PT2_iSC_SC_
	.globl	_Z39paged_attention_ll4mi_QKV_mfma16_kernelIDF16_hLN4vllm18Fp8KVCacheDataTypeE1EDF16_Li16ELi64ELi256ELb1ELi16EL8MFMAType1EEvPKT_PKT0_S8_ifPKiSA_SA_iPKfiiiPfSD_PS3_PT2_iSC_SC_
	.p2align	8
	.type	_Z39paged_attention_ll4mi_QKV_mfma16_kernelIDF16_hLN4vllm18Fp8KVCacheDataTypeE1EDF16_Li16ELi64ELi256ELb1ELi16EL8MFMAType1EEvPKT_PKT0_S8_ifPKiSA_SA_iPKfiiiPfSD_PS3_PT2_iSC_SC_,@function
_Z39paged_attention_ll4mi_QKV_mfma16_kernelIDF16_hLN4vllm18Fp8KVCacheDataTypeE1EDF16_Li16ELi64ELi256ELb1ELi16EL8MFMAType1EEvPKT_PKT0_S8_ifPKiSA_SA_iPKfiiiPfSD_PS3_PT2_iSC_SC_: ; @_Z39paged_attention_ll4mi_QKV_mfma16_kernelIDF16_hLN4vllm18Fp8KVCacheDataTypeE1EDF16_Li16ELi64ELi256ELb1ELi16EL8MFMAType1EEvPKT_PKT0_S8_ifPKiSA_SA_iPKfiiiPfSD_PS3_PT2_iSC_SC_
; %bb.0:
	s_load_dwordx2 s[12:13], s[4:5], 0x30
	s_add_u32 flat_scratch_lo, s6, s11
	s_addc_u32 flat_scratch_hi, s7, 0
	s_add_u32 s0, s0, s11
	s_addc_u32 s1, s1, 0
	s_waitcnt lgkmcnt(0)
	s_cmp_lg_u64 s[12:13], 0
	s_cselect_b64 s[14:15], -1, 0
	s_mov_b32 s6, s9
	s_mov_b64 s[16:17], 0
	s_and_b64 vcc, exec, s[14:15]
	s_mov_b32 s32, 0
	s_cbranch_vccz .LBB401_11
; %bb.1:
	s_add_i32 s18, s8, 1
	s_mov_b32 s19, 0
	s_lshl_b64 s[20:21], s[18:19], 2
	s_add_u32 s20, s12, s20
	s_mov_b32 s9, s19
	s_addc_u32 s21, s13, s21
	s_lshl_b64 s[18:19], s[8:9], 2
	s_add_u32 s18, s12, s18
	s_addc_u32 s19, s13, s19
	s_load_dword s7, s[20:21], 0x0
	s_load_dword s11, s[18:19], 0x0
	s_waitcnt lgkmcnt(0)
	s_sub_i32 s7, s7, s11
	s_cmp_eq_u32 s7, 1
	s_cselect_b64 s[18:19], -1, 0
	s_andn2_b64 vcc, exec, s[16:17]
	s_cbranch_vccnz .LBB401_3
.LBB401_2:
	s_mov_b32 s9, 0
	s_mov_b64 s[18:19], -1
.LBB401_3:
	s_andn2_b64 vcc, exec, s[18:19]
	s_cbranch_vccnz .LBB401_10
; %bb.4:
	s_load_dwordx2 s[18:19], s[4:5], 0x28
	s_lshl_b64 s[16:17], s[8:9], 2
	s_waitcnt lgkmcnt(0)
	s_add_u32 s18, s18, s16
	s_addc_u32 s19, s19, s17
	s_load_dword s7, s[18:19], 0x0
	s_lshl_b32 s6, s6, 8
	s_waitcnt lgkmcnt(0)
	s_cmp_ge_i32 s6, s7
	s_cbranch_scc1 .LBB401_10
; %bb.5:
	s_andn2_b64 vcc, exec, s[14:15]
	s_cbranch_vccnz .LBB401_7
; %bb.6:
	s_add_u32 s6, s12, s16
	s_addc_u32 s7, s13, s17
	s_load_dword s8, s[6:7], 0x0
.LBB401_7:
	v_and_b32_e32 v1, 15, v0
	s_movk_i32 s6, 0x100
	v_cmp_gt_u32_e32 vcc, s6, v0
	v_cmp_gt_u32_e64 s[6:7], 8, v1
	s_and_b64 s[12:13], vcc, s[6:7]
	s_and_saveexec_b64 s[6:7], s[12:13]
	s_cbranch_execz .LBB401_9
; %bb.8:
	s_load_dword s9, s[4:5], 0x48
	s_load_dwordx2 s[12:13], s[4:5], 0x0
	v_lshrrev_b32_e32 v6, 4, v0
	v_lshlrev_b32_e32 v2, 6, v6
	v_lshl_or_b32 v2, s10, 10, v2
	s_waitcnt lgkmcnt(0)
	s_ashr_i32 s11, s9, 31
	s_mul_hi_u32 s15, s8, s9
	s_mul_i32 s14, s8, s9
	s_mul_i32 s8, s8, s11
	s_add_i32 s15, s15, s8
	s_lshl_b64 s[8:9], s[14:15], 1
	s_add_u32 s8, s12, s8
	v_ashrrev_i32_e32 v3, 31, v2
	s_addc_u32 s9, s13, s9
	v_lshlrev_b64 v[2:3], 1, v[2:3]
	v_mov_b32_e32 v4, s9
	v_add_co_u32_e32 v2, vcc, s8, v2
	v_addc_co_u32_e32 v3, vcc, v4, v3, vcc
	v_lshlrev_b32_e32 v4, 4, v1
	v_add_co_u32_e32 v2, vcc, v2, v4
	v_addc_co_u32_e32 v3, vcc, 0, v3, vcc
	global_load_dwordx4 v[2:5], v[2:3], off
	v_lshlrev_b32_e32 v0, 4, v0
	v_lshlrev_b32_e32 v1, 8, v1
	v_and_b32_e32 v0, 16, v0
	v_lshlrev_b32_e32 v6, 5, v6
	v_and_b32_e32 v1, 0xe00, v1
	v_or3_b32 v0, v1, v6, v0
	s_waitcnt vmcnt(0)
	ds_write_b128 v0, v[2:5]
.LBB401_9:
	s_or_b64 exec, exec, s[6:7]
	s_waitcnt lgkmcnt(0)
	s_add_u32 s8, s4, 0x90
	s_addc_u32 s9, s5, 0
	s_getpc_b64 s[4:5]
	s_add_u32 s4, s4, __PRETTY_FUNCTION__._Z39paged_attention_ll4mi_QKV_mfma16_kernelIDF16_hLN4vllm18Fp8KVCacheDataTypeE1EDF16_Li16ELi64ELi256ELb1ELi16EL8MFMAType1EEvPKT_PKT0_S8_ifPKiSA_SA_iPKfiiiPfSD_PS3_PT2_iSC_SC_@rel32@lo+4
	s_addc_u32 s5, s5, __PRETTY_FUNCTION__._Z39paged_attention_ll4mi_QKV_mfma16_kernelIDF16_hLN4vllm18Fp8KVCacheDataTypeE1EDF16_Li16ELi64ELi256ELb1ELi16EL8MFMAType1EEvPKT_PKT0_S8_ifPKiSA_SA_iPKfiiiPfSD_PS3_PT2_iSC_SC_@rel32@hi+12
	v_mov_b32_e32 v0, 0x288
	v_mov_b32_e32 v1, s4
	;; [unrolled: 1-line block ×3, first 2 shown]
	s_barrier
	s_getpc_b64 s[6:7]
	s_add_u32 s6, s6, __assert_fail@rel32@lo+4
	s_addc_u32 s7, s7, __assert_fail@rel32@hi+12
	s_swappc_b64 s[30:31], s[6:7]
	; divergent unreachable
.LBB401_10:
	s_endpgm
.LBB401_11:
	s_mov_b64 s[18:19], 0
	s_branch .LBB401_2
	.section	.rodata,"a",@progbits
	.p2align	6, 0x0
	.amdhsa_kernel _Z39paged_attention_ll4mi_QKV_mfma16_kernelIDF16_hLN4vllm18Fp8KVCacheDataTypeE1EDF16_Li16ELi64ELi256ELb1ELi16EL8MFMAType1EEvPKT_PKT0_S8_ifPKiSA_SA_iPKfiiiPfSD_PS3_PT2_iSC_SC_
		.amdhsa_group_segment_fixed_size 8192
		.amdhsa_private_segment_fixed_size 64
		.amdhsa_kernarg_size 400
		.amdhsa_user_sgpr_count 8
		.amdhsa_user_sgpr_private_segment_buffer 1
		.amdhsa_user_sgpr_dispatch_ptr 0
		.amdhsa_user_sgpr_queue_ptr 0
		.amdhsa_user_sgpr_kernarg_segment_ptr 1
		.amdhsa_user_sgpr_dispatch_id 0
		.amdhsa_user_sgpr_flat_scratch_init 1
		.amdhsa_user_sgpr_kernarg_preload_length 0
		.amdhsa_user_sgpr_kernarg_preload_offset 0
		.amdhsa_user_sgpr_private_segment_size 0
		.amdhsa_uses_dynamic_stack 0
		.amdhsa_system_sgpr_private_segment_wavefront_offset 1
		.amdhsa_system_sgpr_workgroup_id_x 1
		.amdhsa_system_sgpr_workgroup_id_y 1
		.amdhsa_system_sgpr_workgroup_id_z 1
		.amdhsa_system_sgpr_workgroup_info 0
		.amdhsa_system_vgpr_workitem_id 0
		.amdhsa_next_free_vgpr 45
		.amdhsa_next_free_sgpr 34
		.amdhsa_accum_offset 44
		.amdhsa_reserve_vcc 1
		.amdhsa_reserve_flat_scratch 1
		.amdhsa_float_round_mode_32 0
		.amdhsa_float_round_mode_16_64 0
		.amdhsa_float_denorm_mode_32 3
		.amdhsa_float_denorm_mode_16_64 3
		.amdhsa_dx10_clamp 1
		.amdhsa_ieee_mode 1
		.amdhsa_fp16_overflow 0
		.amdhsa_tg_split 0
		.amdhsa_exception_fp_ieee_invalid_op 0
		.amdhsa_exception_fp_denorm_src 0
		.amdhsa_exception_fp_ieee_div_zero 0
		.amdhsa_exception_fp_ieee_overflow 0
		.amdhsa_exception_fp_ieee_underflow 0
		.amdhsa_exception_fp_ieee_inexact 0
		.amdhsa_exception_int_div_zero 0
	.end_amdhsa_kernel
	.section	.text._Z39paged_attention_ll4mi_QKV_mfma16_kernelIDF16_hLN4vllm18Fp8KVCacheDataTypeE1EDF16_Li16ELi64ELi256ELb1ELi16EL8MFMAType1EEvPKT_PKT0_S8_ifPKiSA_SA_iPKfiiiPfSD_PS3_PT2_iSC_SC_,"axG",@progbits,_Z39paged_attention_ll4mi_QKV_mfma16_kernelIDF16_hLN4vllm18Fp8KVCacheDataTypeE1EDF16_Li16ELi64ELi256ELb1ELi16EL8MFMAType1EEvPKT_PKT0_S8_ifPKiSA_SA_iPKfiiiPfSD_PS3_PT2_iSC_SC_,comdat
.Lfunc_end401:
	.size	_Z39paged_attention_ll4mi_QKV_mfma16_kernelIDF16_hLN4vllm18Fp8KVCacheDataTypeE1EDF16_Li16ELi64ELi256ELb1ELi16EL8MFMAType1EEvPKT_PKT0_S8_ifPKiSA_SA_iPKfiiiPfSD_PS3_PT2_iSC_SC_, .Lfunc_end401-_Z39paged_attention_ll4mi_QKV_mfma16_kernelIDF16_hLN4vllm18Fp8KVCacheDataTypeE1EDF16_Li16ELi64ELi256ELb1ELi16EL8MFMAType1EEvPKT_PKT0_S8_ifPKiSA_SA_iPKfiiiPfSD_PS3_PT2_iSC_SC_
                                        ; -- End function
	.section	.AMDGPU.csdata,"",@progbits
; Kernel info:
; codeLenInByte = 504
; NumSgprs: 40
; NumVgprs: 42
; NumAgprs: 1
; TotalNumVgprs: 45
; ScratchSize: 64
; MemoryBound: 0
; FloatMode: 240
; IeeeMode: 1
; LDSByteSize: 8192 bytes/workgroup (compile time only)
; SGPRBlocks: 4
; VGPRBlocks: 5
; NumSGPRsForWavesPerEU: 40
; NumVGPRsForWavesPerEU: 45
; AccumOffset: 44
; Occupancy: 8
; WaveLimiterHint : 1
; COMPUTE_PGM_RSRC2:SCRATCH_EN: 1
; COMPUTE_PGM_RSRC2:USER_SGPR: 8
; COMPUTE_PGM_RSRC2:TRAP_HANDLER: 0
; COMPUTE_PGM_RSRC2:TGID_X_EN: 1
; COMPUTE_PGM_RSRC2:TGID_Y_EN: 1
; COMPUTE_PGM_RSRC2:TGID_Z_EN: 1
; COMPUTE_PGM_RSRC2:TIDIG_COMP_CNT: 0
; COMPUTE_PGM_RSRC3_GFX90A:ACCUM_OFFSET: 10
; COMPUTE_PGM_RSRC3_GFX90A:TG_SPLIT: 0
	.section	.text._Z39paged_attention_ll4mi_QKV_mfma16_kernelIDF16_hLN4vllm18Fp8KVCacheDataTypeE1EDF16_Li16ELi64ELi256ELb1ELi1EL8MFMAType1EEvPKT_PKT0_S8_ifPKiSA_SA_iPKfiiiPfSD_PS3_PT2_iSC_SC_,"axG",@progbits,_Z39paged_attention_ll4mi_QKV_mfma16_kernelIDF16_hLN4vllm18Fp8KVCacheDataTypeE1EDF16_Li16ELi64ELi256ELb1ELi1EL8MFMAType1EEvPKT_PKT0_S8_ifPKiSA_SA_iPKfiiiPfSD_PS3_PT2_iSC_SC_,comdat
	.protected	_Z39paged_attention_ll4mi_QKV_mfma16_kernelIDF16_hLN4vllm18Fp8KVCacheDataTypeE1EDF16_Li16ELi64ELi256ELb1ELi1EL8MFMAType1EEvPKT_PKT0_S8_ifPKiSA_SA_iPKfiiiPfSD_PS3_PT2_iSC_SC_ ; -- Begin function _Z39paged_attention_ll4mi_QKV_mfma16_kernelIDF16_hLN4vllm18Fp8KVCacheDataTypeE1EDF16_Li16ELi64ELi256ELb1ELi1EL8MFMAType1EEvPKT_PKT0_S8_ifPKiSA_SA_iPKfiiiPfSD_PS3_PT2_iSC_SC_
	.globl	_Z39paged_attention_ll4mi_QKV_mfma16_kernelIDF16_hLN4vllm18Fp8KVCacheDataTypeE1EDF16_Li16ELi64ELi256ELb1ELi1EL8MFMAType1EEvPKT_PKT0_S8_ifPKiSA_SA_iPKfiiiPfSD_PS3_PT2_iSC_SC_
	.p2align	8
	.type	_Z39paged_attention_ll4mi_QKV_mfma16_kernelIDF16_hLN4vllm18Fp8KVCacheDataTypeE1EDF16_Li16ELi64ELi256ELb1ELi1EL8MFMAType1EEvPKT_PKT0_S8_ifPKiSA_SA_iPKfiiiPfSD_PS3_PT2_iSC_SC_,@function
_Z39paged_attention_ll4mi_QKV_mfma16_kernelIDF16_hLN4vllm18Fp8KVCacheDataTypeE1EDF16_Li16ELi64ELi256ELb1ELi1EL8MFMAType1EEvPKT_PKT0_S8_ifPKiSA_SA_iPKfiiiPfSD_PS3_PT2_iSC_SC_: ; @_Z39paged_attention_ll4mi_QKV_mfma16_kernelIDF16_hLN4vllm18Fp8KVCacheDataTypeE1EDF16_Li16ELi64ELi256ELb1ELi1EL8MFMAType1EEvPKT_PKT0_S8_ifPKiSA_SA_iPKfiiiPfSD_PS3_PT2_iSC_SC_
; %bb.0:
	s_load_dwordx2 s[12:13], s[4:5], 0x30
	s_add_u32 flat_scratch_lo, s6, s11
	s_addc_u32 flat_scratch_hi, s7, 0
	s_add_u32 s0, s0, s11
	s_addc_u32 s1, s1, 0
	s_waitcnt lgkmcnt(0)
	s_cmp_lg_u64 s[12:13], 0
	s_cselect_b64 s[14:15], -1, 0
	s_mov_b32 s6, s9
	s_mov_b64 s[16:17], 0
	s_and_b64 vcc, exec, s[14:15]
	s_mov_b32 s32, 0
	s_cbranch_vccz .LBB402_11
; %bb.1:
	s_add_i32 s18, s8, 1
	s_mov_b32 s19, 0
	s_lshl_b64 s[20:21], s[18:19], 2
	s_add_u32 s20, s12, s20
	s_mov_b32 s9, s19
	s_addc_u32 s21, s13, s21
	s_lshl_b64 s[18:19], s[8:9], 2
	s_add_u32 s18, s12, s18
	s_addc_u32 s19, s13, s19
	s_load_dword s7, s[20:21], 0x0
	s_load_dword s11, s[18:19], 0x0
	s_waitcnt lgkmcnt(0)
	s_sub_i32 s7, s7, s11
	s_cmp_eq_u32 s7, 1
	s_cselect_b64 s[18:19], -1, 0
	s_andn2_b64 vcc, exec, s[16:17]
	s_cbranch_vccnz .LBB402_3
.LBB402_2:
	s_mov_b32 s9, 0
	s_mov_b64 s[18:19], -1
.LBB402_3:
	s_andn2_b64 vcc, exec, s[18:19]
	s_cbranch_vccnz .LBB402_10
; %bb.4:
	s_load_dwordx2 s[18:19], s[4:5], 0x28
	s_lshl_b64 s[16:17], s[8:9], 2
	s_waitcnt lgkmcnt(0)
	s_add_u32 s18, s18, s16
	s_addc_u32 s19, s19, s17
	s_load_dword s7, s[18:19], 0x0
	s_lshl_b32 s6, s6, 8
	s_waitcnt lgkmcnt(0)
	s_cmp_ge_i32 s6, s7
	s_cbranch_scc1 .LBB402_10
; %bb.5:
	s_andn2_b64 vcc, exec, s[14:15]
	s_cbranch_vccnz .LBB402_7
; %bb.6:
	s_add_u32 s6, s12, s16
	s_addc_u32 s7, s13, s17
	s_load_dword s8, s[6:7], 0x0
.LBB402_7:
	v_cmp_gt_u32_e32 vcc, 8, v0
	s_and_saveexec_b64 s[6:7], vcc
	s_cbranch_execz .LBB402_9
; %bb.8:
	s_load_dword s9, s[4:5], 0x48
	s_load_dwordx2 s[12:13], s[4:5], 0x0
	v_lshlrev_b32_e32 v1, 4, v0
	v_lshlrev_b32_e32 v0, 8, v0
	s_waitcnt lgkmcnt(0)
	s_ashr_i32 s11, s9, 31
	s_mul_hi_u32 s15, s8, s9
	s_mul_i32 s14, s8, s9
	s_mul_i32 s8, s8, s11
	s_add_i32 s15, s15, s8
	s_lshl_b64 s[8:9], s[14:15], 1
	s_add_u32 s11, s12, s8
	s_addc_u32 s12, s13, s9
	s_lshl_b32 s8, s10, 6
	s_ashr_i32 s9, s8, 31
	s_lshl_b64 s[8:9], s[8:9], 1
	s_add_u32 s8, s11, s8
	s_addc_u32 s9, s12, s9
	global_load_dwordx4 v[2:5], v1, s[8:9]
	v_and_b32_e32 v1, 16, v1
	s_mov_b32 s8, 0xfe00
	v_and_or_b32 v0, v0, s8, v1
	s_waitcnt vmcnt(0)
	ds_write_b128 v0, v[2:5]
.LBB402_9:
	s_or_b64 exec, exec, s[6:7]
	s_waitcnt lgkmcnt(0)
	s_add_u32 s8, s4, 0x90
	s_addc_u32 s9, s5, 0
	s_getpc_b64 s[4:5]
	s_add_u32 s4, s4, __PRETTY_FUNCTION__._Z39paged_attention_ll4mi_QKV_mfma16_kernelIDF16_hLN4vllm18Fp8KVCacheDataTypeE1EDF16_Li16ELi64ELi256ELb1ELi1EL8MFMAType1EEvPKT_PKT0_S8_ifPKiSA_SA_iPKfiiiPfSD_PS3_PT2_iSC_SC_@rel32@lo+4
	s_addc_u32 s5, s5, __PRETTY_FUNCTION__._Z39paged_attention_ll4mi_QKV_mfma16_kernelIDF16_hLN4vllm18Fp8KVCacheDataTypeE1EDF16_Li16ELi64ELi256ELb1ELi1EL8MFMAType1EEvPKT_PKT0_S8_ifPKiSA_SA_iPKfiiiPfSD_PS3_PT2_iSC_SC_@rel32@hi+12
	v_mov_b32_e32 v0, 0x288
	v_mov_b32_e32 v1, s4
	;; [unrolled: 1-line block ×3, first 2 shown]
	s_barrier
	s_getpc_b64 s[6:7]
	s_add_u32 s6, s6, __assert_fail@rel32@lo+4
	s_addc_u32 s7, s7, __assert_fail@rel32@hi+12
	s_swappc_b64 s[30:31], s[6:7]
	; divergent unreachable
.LBB402_10:
	s_endpgm
.LBB402_11:
	s_mov_b64 s[18:19], 0
	s_branch .LBB402_2
	.section	.rodata,"a",@progbits
	.p2align	6, 0x0
	.amdhsa_kernel _Z39paged_attention_ll4mi_QKV_mfma16_kernelIDF16_hLN4vllm18Fp8KVCacheDataTypeE1EDF16_Li16ELi64ELi256ELb1ELi1EL8MFMAType1EEvPKT_PKT0_S8_ifPKiSA_SA_iPKfiiiPfSD_PS3_PT2_iSC_SC_
		.amdhsa_group_segment_fixed_size 8192
		.amdhsa_private_segment_fixed_size 64
		.amdhsa_kernarg_size 400
		.amdhsa_user_sgpr_count 8
		.amdhsa_user_sgpr_private_segment_buffer 1
		.amdhsa_user_sgpr_dispatch_ptr 0
		.amdhsa_user_sgpr_queue_ptr 0
		.amdhsa_user_sgpr_kernarg_segment_ptr 1
		.amdhsa_user_sgpr_dispatch_id 0
		.amdhsa_user_sgpr_flat_scratch_init 1
		.amdhsa_user_sgpr_kernarg_preload_length 0
		.amdhsa_user_sgpr_kernarg_preload_offset 0
		.amdhsa_user_sgpr_private_segment_size 0
		.amdhsa_uses_dynamic_stack 0
		.amdhsa_system_sgpr_private_segment_wavefront_offset 1
		.amdhsa_system_sgpr_workgroup_id_x 1
		.amdhsa_system_sgpr_workgroup_id_y 1
		.amdhsa_system_sgpr_workgroup_id_z 1
		.amdhsa_system_sgpr_workgroup_info 0
		.amdhsa_system_vgpr_workitem_id 0
		.amdhsa_next_free_vgpr 45
		.amdhsa_next_free_sgpr 34
		.amdhsa_accum_offset 44
		.amdhsa_reserve_vcc 1
		.amdhsa_reserve_flat_scratch 1
		.amdhsa_float_round_mode_32 0
		.amdhsa_float_round_mode_16_64 0
		.amdhsa_float_denorm_mode_32 3
		.amdhsa_float_denorm_mode_16_64 3
		.amdhsa_dx10_clamp 1
		.amdhsa_ieee_mode 1
		.amdhsa_fp16_overflow 0
		.amdhsa_tg_split 0
		.amdhsa_exception_fp_ieee_invalid_op 0
		.amdhsa_exception_fp_denorm_src 0
		.amdhsa_exception_fp_ieee_div_zero 0
		.amdhsa_exception_fp_ieee_overflow 0
		.amdhsa_exception_fp_ieee_underflow 0
		.amdhsa_exception_fp_ieee_inexact 0
		.amdhsa_exception_int_div_zero 0
	.end_amdhsa_kernel
	.section	.text._Z39paged_attention_ll4mi_QKV_mfma16_kernelIDF16_hLN4vllm18Fp8KVCacheDataTypeE1EDF16_Li16ELi64ELi256ELb1ELi1EL8MFMAType1EEvPKT_PKT0_S8_ifPKiSA_SA_iPKfiiiPfSD_PS3_PT2_iSC_SC_,"axG",@progbits,_Z39paged_attention_ll4mi_QKV_mfma16_kernelIDF16_hLN4vllm18Fp8KVCacheDataTypeE1EDF16_Li16ELi64ELi256ELb1ELi1EL8MFMAType1EEvPKT_PKT0_S8_ifPKiSA_SA_iPKfiiiPfSD_PS3_PT2_iSC_SC_,comdat
.Lfunc_end402:
	.size	_Z39paged_attention_ll4mi_QKV_mfma16_kernelIDF16_hLN4vllm18Fp8KVCacheDataTypeE1EDF16_Li16ELi64ELi256ELb1ELi1EL8MFMAType1EEvPKT_PKT0_S8_ifPKiSA_SA_iPKfiiiPfSD_PS3_PT2_iSC_SC_, .Lfunc_end402-_Z39paged_attention_ll4mi_QKV_mfma16_kernelIDF16_hLN4vllm18Fp8KVCacheDataTypeE1EDF16_Li16ELi64ELi256ELb1ELi1EL8MFMAType1EEvPKT_PKT0_S8_ifPKiSA_SA_iPKfiiiPfSD_PS3_PT2_iSC_SC_
                                        ; -- End function
	.section	.AMDGPU.csdata,"",@progbits
; Kernel info:
; codeLenInByte = 448
; NumSgprs: 40
; NumVgprs: 42
; NumAgprs: 1
; TotalNumVgprs: 45
; ScratchSize: 64
; MemoryBound: 0
; FloatMode: 240
; IeeeMode: 1
; LDSByteSize: 8192 bytes/workgroup (compile time only)
; SGPRBlocks: 4
; VGPRBlocks: 5
; NumSGPRsForWavesPerEU: 40
; NumVGPRsForWavesPerEU: 45
; AccumOffset: 44
; Occupancy: 8
; WaveLimiterHint : 1
; COMPUTE_PGM_RSRC2:SCRATCH_EN: 1
; COMPUTE_PGM_RSRC2:USER_SGPR: 8
; COMPUTE_PGM_RSRC2:TRAP_HANDLER: 0
; COMPUTE_PGM_RSRC2:TGID_X_EN: 1
; COMPUTE_PGM_RSRC2:TGID_Y_EN: 1
; COMPUTE_PGM_RSRC2:TGID_Z_EN: 1
; COMPUTE_PGM_RSRC2:TIDIG_COMP_CNT: 0
; COMPUTE_PGM_RSRC3_GFX90A:ACCUM_OFFSET: 10
; COMPUTE_PGM_RSRC3_GFX90A:TG_SPLIT: 0
	.section	.text._Z39paged_attention_ll4mi_QKV_mfma16_kernelIDF16_hLN4vllm18Fp8KVCacheDataTypeE1EDF16_Li16ELi64ELi256ELb1ELi2EL8MFMAType1EEvPKT_PKT0_S8_ifPKiSA_SA_iPKfiiiPfSD_PS3_PT2_iSC_SC_,"axG",@progbits,_Z39paged_attention_ll4mi_QKV_mfma16_kernelIDF16_hLN4vllm18Fp8KVCacheDataTypeE1EDF16_Li16ELi64ELi256ELb1ELi2EL8MFMAType1EEvPKT_PKT0_S8_ifPKiSA_SA_iPKfiiiPfSD_PS3_PT2_iSC_SC_,comdat
	.protected	_Z39paged_attention_ll4mi_QKV_mfma16_kernelIDF16_hLN4vllm18Fp8KVCacheDataTypeE1EDF16_Li16ELi64ELi256ELb1ELi2EL8MFMAType1EEvPKT_PKT0_S8_ifPKiSA_SA_iPKfiiiPfSD_PS3_PT2_iSC_SC_ ; -- Begin function _Z39paged_attention_ll4mi_QKV_mfma16_kernelIDF16_hLN4vllm18Fp8KVCacheDataTypeE1EDF16_Li16ELi64ELi256ELb1ELi2EL8MFMAType1EEvPKT_PKT0_S8_ifPKiSA_SA_iPKfiiiPfSD_PS3_PT2_iSC_SC_
	.globl	_Z39paged_attention_ll4mi_QKV_mfma16_kernelIDF16_hLN4vllm18Fp8KVCacheDataTypeE1EDF16_Li16ELi64ELi256ELb1ELi2EL8MFMAType1EEvPKT_PKT0_S8_ifPKiSA_SA_iPKfiiiPfSD_PS3_PT2_iSC_SC_
	.p2align	8
	.type	_Z39paged_attention_ll4mi_QKV_mfma16_kernelIDF16_hLN4vllm18Fp8KVCacheDataTypeE1EDF16_Li16ELi64ELi256ELb1ELi2EL8MFMAType1EEvPKT_PKT0_S8_ifPKiSA_SA_iPKfiiiPfSD_PS3_PT2_iSC_SC_,@function
_Z39paged_attention_ll4mi_QKV_mfma16_kernelIDF16_hLN4vllm18Fp8KVCacheDataTypeE1EDF16_Li16ELi64ELi256ELb1ELi2EL8MFMAType1EEvPKT_PKT0_S8_ifPKiSA_SA_iPKfiiiPfSD_PS3_PT2_iSC_SC_: ; @_Z39paged_attention_ll4mi_QKV_mfma16_kernelIDF16_hLN4vllm18Fp8KVCacheDataTypeE1EDF16_Li16ELi64ELi256ELb1ELi2EL8MFMAType1EEvPKT_PKT0_S8_ifPKiSA_SA_iPKfiiiPfSD_PS3_PT2_iSC_SC_
; %bb.0:
	s_load_dwordx2 s[12:13], s[4:5], 0x30
	s_add_u32 flat_scratch_lo, s6, s11
	s_addc_u32 flat_scratch_hi, s7, 0
	s_add_u32 s0, s0, s11
	s_addc_u32 s1, s1, 0
	s_waitcnt lgkmcnt(0)
	s_cmp_lg_u64 s[12:13], 0
	s_cselect_b64 s[14:15], -1, 0
	s_mov_b32 s6, s9
	s_mov_b64 s[16:17], 0
	s_and_b64 vcc, exec, s[14:15]
	s_mov_b32 s32, 0
	s_cbranch_vccz .LBB403_11
; %bb.1:
	s_add_i32 s18, s8, 1
	s_mov_b32 s19, 0
	s_lshl_b64 s[20:21], s[18:19], 2
	s_add_u32 s20, s12, s20
	s_mov_b32 s9, s19
	s_addc_u32 s21, s13, s21
	s_lshl_b64 s[18:19], s[8:9], 2
	s_add_u32 s18, s12, s18
	s_addc_u32 s19, s13, s19
	s_load_dword s7, s[20:21], 0x0
	s_load_dword s11, s[18:19], 0x0
	s_waitcnt lgkmcnt(0)
	s_sub_i32 s7, s7, s11
	s_cmp_eq_u32 s7, 1
	s_cselect_b64 s[18:19], -1, 0
	s_andn2_b64 vcc, exec, s[16:17]
	s_cbranch_vccnz .LBB403_3
.LBB403_2:
	s_mov_b32 s9, 0
	s_mov_b64 s[18:19], -1
.LBB403_3:
	s_andn2_b64 vcc, exec, s[18:19]
	s_cbranch_vccnz .LBB403_10
; %bb.4:
	s_load_dwordx2 s[18:19], s[4:5], 0x28
	s_lshl_b64 s[16:17], s[8:9], 2
	s_waitcnt lgkmcnt(0)
	s_add_u32 s18, s18, s16
	s_addc_u32 s19, s19, s17
	s_load_dword s7, s[18:19], 0x0
	s_lshl_b32 s6, s6, 8
	s_waitcnt lgkmcnt(0)
	s_cmp_ge_i32 s6, s7
	s_cbranch_scc1 .LBB403_10
; %bb.5:
	s_andn2_b64 vcc, exec, s[14:15]
	s_cbranch_vccnz .LBB403_7
; %bb.6:
	s_add_u32 s6, s12, s16
	s_addc_u32 s7, s13, s17
	s_load_dword s8, s[6:7], 0x0
.LBB403_7:
	v_and_b32_e32 v1, 15, v0
	v_cmp_gt_u32_e32 vcc, 32, v0
	v_cmp_gt_u32_e64 s[6:7], 8, v1
	s_and_b64 s[12:13], s[6:7], vcc
	s_and_saveexec_b64 s[6:7], s[12:13]
	s_cbranch_execz .LBB403_9
; %bb.8:
	s_load_dword s9, s[4:5], 0x48
	s_load_dwordx2 s[12:13], s[4:5], 0x0
	v_lshrrev_b32_e32 v6, 4, v0
	v_lshlrev_b32_e32 v2, 6, v6
	v_lshl_or_b32 v2, s10, 7, v2
	s_waitcnt lgkmcnt(0)
	s_ashr_i32 s11, s9, 31
	s_mul_hi_u32 s15, s8, s9
	s_mul_i32 s14, s8, s9
	s_mul_i32 s8, s8, s11
	s_add_i32 s15, s15, s8
	s_lshl_b64 s[8:9], s[14:15], 1
	s_add_u32 s8, s12, s8
	v_ashrrev_i32_e32 v3, 31, v2
	s_addc_u32 s9, s13, s9
	v_lshlrev_b64 v[2:3], 1, v[2:3]
	v_mov_b32_e32 v4, s9
	v_add_co_u32_e32 v2, vcc, s8, v2
	v_addc_co_u32_e32 v3, vcc, v4, v3, vcc
	v_lshlrev_b32_e32 v4, 4, v1
	v_add_co_u32_e32 v2, vcc, v2, v4
	v_addc_co_u32_e32 v3, vcc, 0, v3, vcc
	global_load_dwordx4 v[2:5], v[2:3], off
	v_lshlrev_b32_e32 v0, 4, v0
	v_lshlrev_b32_e32 v1, 8, v1
	v_and_b32_e32 v0, 16, v0
	v_lshlrev_b32_e32 v6, 5, v6
	v_and_b32_e32 v1, 0xe00, v1
	v_or3_b32 v0, v1, v6, v0
	s_waitcnt vmcnt(0)
	ds_write_b128 v0, v[2:5]
.LBB403_9:
	s_or_b64 exec, exec, s[6:7]
	s_waitcnt lgkmcnt(0)
	s_add_u32 s8, s4, 0x90
	s_addc_u32 s9, s5, 0
	s_getpc_b64 s[4:5]
	s_add_u32 s4, s4, __PRETTY_FUNCTION__._Z39paged_attention_ll4mi_QKV_mfma16_kernelIDF16_hLN4vllm18Fp8KVCacheDataTypeE1EDF16_Li16ELi64ELi256ELb1ELi2EL8MFMAType1EEvPKT_PKT0_S8_ifPKiSA_SA_iPKfiiiPfSD_PS3_PT2_iSC_SC_@rel32@lo+4
	s_addc_u32 s5, s5, __PRETTY_FUNCTION__._Z39paged_attention_ll4mi_QKV_mfma16_kernelIDF16_hLN4vllm18Fp8KVCacheDataTypeE1EDF16_Li16ELi64ELi256ELb1ELi2EL8MFMAType1EEvPKT_PKT0_S8_ifPKiSA_SA_iPKfiiiPfSD_PS3_PT2_iSC_SC_@rel32@hi+12
	v_mov_b32_e32 v0, 0x288
	v_mov_b32_e32 v1, s4
	;; [unrolled: 1-line block ×3, first 2 shown]
	s_barrier
	s_getpc_b64 s[6:7]
	s_add_u32 s6, s6, __assert_fail@rel32@lo+4
	s_addc_u32 s7, s7, __assert_fail@rel32@hi+12
	s_swappc_b64 s[30:31], s[6:7]
	; divergent unreachable
.LBB403_10:
	s_endpgm
.LBB403_11:
	s_mov_b64 s[18:19], 0
	s_branch .LBB403_2
	.section	.rodata,"a",@progbits
	.p2align	6, 0x0
	.amdhsa_kernel _Z39paged_attention_ll4mi_QKV_mfma16_kernelIDF16_hLN4vllm18Fp8KVCacheDataTypeE1EDF16_Li16ELi64ELi256ELb1ELi2EL8MFMAType1EEvPKT_PKT0_S8_ifPKiSA_SA_iPKfiiiPfSD_PS3_PT2_iSC_SC_
		.amdhsa_group_segment_fixed_size 8192
		.amdhsa_private_segment_fixed_size 64
		.amdhsa_kernarg_size 400
		.amdhsa_user_sgpr_count 8
		.amdhsa_user_sgpr_private_segment_buffer 1
		.amdhsa_user_sgpr_dispatch_ptr 0
		.amdhsa_user_sgpr_queue_ptr 0
		.amdhsa_user_sgpr_kernarg_segment_ptr 1
		.amdhsa_user_sgpr_dispatch_id 0
		.amdhsa_user_sgpr_flat_scratch_init 1
		.amdhsa_user_sgpr_kernarg_preload_length 0
		.amdhsa_user_sgpr_kernarg_preload_offset 0
		.amdhsa_user_sgpr_private_segment_size 0
		.amdhsa_uses_dynamic_stack 0
		.amdhsa_system_sgpr_private_segment_wavefront_offset 1
		.amdhsa_system_sgpr_workgroup_id_x 1
		.amdhsa_system_sgpr_workgroup_id_y 1
		.amdhsa_system_sgpr_workgroup_id_z 1
		.amdhsa_system_sgpr_workgroup_info 0
		.amdhsa_system_vgpr_workitem_id 0
		.amdhsa_next_free_vgpr 45
		.amdhsa_next_free_sgpr 34
		.amdhsa_accum_offset 44
		.amdhsa_reserve_vcc 1
		.amdhsa_reserve_flat_scratch 1
		.amdhsa_float_round_mode_32 0
		.amdhsa_float_round_mode_16_64 0
		.amdhsa_float_denorm_mode_32 3
		.amdhsa_float_denorm_mode_16_64 3
		.amdhsa_dx10_clamp 1
		.amdhsa_ieee_mode 1
		.amdhsa_fp16_overflow 0
		.amdhsa_tg_split 0
		.amdhsa_exception_fp_ieee_invalid_op 0
		.amdhsa_exception_fp_denorm_src 0
		.amdhsa_exception_fp_ieee_div_zero 0
		.amdhsa_exception_fp_ieee_overflow 0
		.amdhsa_exception_fp_ieee_underflow 0
		.amdhsa_exception_fp_ieee_inexact 0
		.amdhsa_exception_int_div_zero 0
	.end_amdhsa_kernel
	.section	.text._Z39paged_attention_ll4mi_QKV_mfma16_kernelIDF16_hLN4vllm18Fp8KVCacheDataTypeE1EDF16_Li16ELi64ELi256ELb1ELi2EL8MFMAType1EEvPKT_PKT0_S8_ifPKiSA_SA_iPKfiiiPfSD_PS3_PT2_iSC_SC_,"axG",@progbits,_Z39paged_attention_ll4mi_QKV_mfma16_kernelIDF16_hLN4vllm18Fp8KVCacheDataTypeE1EDF16_Li16ELi64ELi256ELb1ELi2EL8MFMAType1EEvPKT_PKT0_S8_ifPKiSA_SA_iPKfiiiPfSD_PS3_PT2_iSC_SC_,comdat
.Lfunc_end403:
	.size	_Z39paged_attention_ll4mi_QKV_mfma16_kernelIDF16_hLN4vllm18Fp8KVCacheDataTypeE1EDF16_Li16ELi64ELi256ELb1ELi2EL8MFMAType1EEvPKT_PKT0_S8_ifPKiSA_SA_iPKfiiiPfSD_PS3_PT2_iSC_SC_, .Lfunc_end403-_Z39paged_attention_ll4mi_QKV_mfma16_kernelIDF16_hLN4vllm18Fp8KVCacheDataTypeE1EDF16_Li16ELi64ELi256ELb1ELi2EL8MFMAType1EEvPKT_PKT0_S8_ifPKiSA_SA_iPKfiiiPfSD_PS3_PT2_iSC_SC_
                                        ; -- End function
	.section	.AMDGPU.csdata,"",@progbits
; Kernel info:
; codeLenInByte = 500
; NumSgprs: 40
; NumVgprs: 42
; NumAgprs: 1
; TotalNumVgprs: 45
; ScratchSize: 64
; MemoryBound: 0
; FloatMode: 240
; IeeeMode: 1
; LDSByteSize: 8192 bytes/workgroup (compile time only)
; SGPRBlocks: 4
; VGPRBlocks: 5
; NumSGPRsForWavesPerEU: 40
; NumVGPRsForWavesPerEU: 45
; AccumOffset: 44
; Occupancy: 8
; WaveLimiterHint : 1
; COMPUTE_PGM_RSRC2:SCRATCH_EN: 1
; COMPUTE_PGM_RSRC2:USER_SGPR: 8
; COMPUTE_PGM_RSRC2:TRAP_HANDLER: 0
; COMPUTE_PGM_RSRC2:TGID_X_EN: 1
; COMPUTE_PGM_RSRC2:TGID_Y_EN: 1
; COMPUTE_PGM_RSRC2:TGID_Z_EN: 1
; COMPUTE_PGM_RSRC2:TIDIG_COMP_CNT: 0
; COMPUTE_PGM_RSRC3_GFX90A:ACCUM_OFFSET: 10
; COMPUTE_PGM_RSRC3_GFX90A:TG_SPLIT: 0
	.section	.text._Z39paged_attention_ll4mi_QKV_mfma16_kernelIDF16_hLN4vllm18Fp8KVCacheDataTypeE1EDF16_Li16ELi64ELi256ELb1ELi3EL8MFMAType1EEvPKT_PKT0_S8_ifPKiSA_SA_iPKfiiiPfSD_PS3_PT2_iSC_SC_,"axG",@progbits,_Z39paged_attention_ll4mi_QKV_mfma16_kernelIDF16_hLN4vllm18Fp8KVCacheDataTypeE1EDF16_Li16ELi64ELi256ELb1ELi3EL8MFMAType1EEvPKT_PKT0_S8_ifPKiSA_SA_iPKfiiiPfSD_PS3_PT2_iSC_SC_,comdat
	.protected	_Z39paged_attention_ll4mi_QKV_mfma16_kernelIDF16_hLN4vllm18Fp8KVCacheDataTypeE1EDF16_Li16ELi64ELi256ELb1ELi3EL8MFMAType1EEvPKT_PKT0_S8_ifPKiSA_SA_iPKfiiiPfSD_PS3_PT2_iSC_SC_ ; -- Begin function _Z39paged_attention_ll4mi_QKV_mfma16_kernelIDF16_hLN4vllm18Fp8KVCacheDataTypeE1EDF16_Li16ELi64ELi256ELb1ELi3EL8MFMAType1EEvPKT_PKT0_S8_ifPKiSA_SA_iPKfiiiPfSD_PS3_PT2_iSC_SC_
	.globl	_Z39paged_attention_ll4mi_QKV_mfma16_kernelIDF16_hLN4vllm18Fp8KVCacheDataTypeE1EDF16_Li16ELi64ELi256ELb1ELi3EL8MFMAType1EEvPKT_PKT0_S8_ifPKiSA_SA_iPKfiiiPfSD_PS3_PT2_iSC_SC_
	.p2align	8
	.type	_Z39paged_attention_ll4mi_QKV_mfma16_kernelIDF16_hLN4vllm18Fp8KVCacheDataTypeE1EDF16_Li16ELi64ELi256ELb1ELi3EL8MFMAType1EEvPKT_PKT0_S8_ifPKiSA_SA_iPKfiiiPfSD_PS3_PT2_iSC_SC_,@function
_Z39paged_attention_ll4mi_QKV_mfma16_kernelIDF16_hLN4vllm18Fp8KVCacheDataTypeE1EDF16_Li16ELi64ELi256ELb1ELi3EL8MFMAType1EEvPKT_PKT0_S8_ifPKiSA_SA_iPKfiiiPfSD_PS3_PT2_iSC_SC_: ; @_Z39paged_attention_ll4mi_QKV_mfma16_kernelIDF16_hLN4vllm18Fp8KVCacheDataTypeE1EDF16_Li16ELi64ELi256ELb1ELi3EL8MFMAType1EEvPKT_PKT0_S8_ifPKiSA_SA_iPKfiiiPfSD_PS3_PT2_iSC_SC_
; %bb.0:
	s_load_dwordx2 s[12:13], s[4:5], 0x30
	s_add_u32 flat_scratch_lo, s6, s11
	s_addc_u32 flat_scratch_hi, s7, 0
	s_add_u32 s0, s0, s11
	s_addc_u32 s1, s1, 0
	s_waitcnt lgkmcnt(0)
	s_cmp_lg_u64 s[12:13], 0
	s_cselect_b64 s[14:15], -1, 0
	s_mov_b32 s6, s9
	s_mov_b64 s[16:17], 0
	s_and_b64 vcc, exec, s[14:15]
	s_mov_b32 s32, 0
	s_cbranch_vccz .LBB404_11
; %bb.1:
	s_add_i32 s18, s8, 1
	s_mov_b32 s19, 0
	s_lshl_b64 s[20:21], s[18:19], 2
	s_add_u32 s20, s12, s20
	s_mov_b32 s9, s19
	s_addc_u32 s21, s13, s21
	s_lshl_b64 s[18:19], s[8:9], 2
	s_add_u32 s18, s12, s18
	s_addc_u32 s19, s13, s19
	s_load_dword s7, s[20:21], 0x0
	s_load_dword s11, s[18:19], 0x0
	s_waitcnt lgkmcnt(0)
	s_sub_i32 s7, s7, s11
	s_cmp_eq_u32 s7, 1
	s_cselect_b64 s[18:19], -1, 0
	s_andn2_b64 vcc, exec, s[16:17]
	s_cbranch_vccnz .LBB404_3
.LBB404_2:
	s_mov_b32 s9, 0
	s_mov_b64 s[18:19], -1
.LBB404_3:
	s_andn2_b64 vcc, exec, s[18:19]
	s_cbranch_vccnz .LBB404_10
; %bb.4:
	s_load_dwordx2 s[18:19], s[4:5], 0x28
	s_lshl_b64 s[16:17], s[8:9], 2
	s_waitcnt lgkmcnt(0)
	s_add_u32 s18, s18, s16
	s_addc_u32 s19, s19, s17
	s_load_dword s7, s[18:19], 0x0
	s_lshl_b32 s6, s6, 8
	s_waitcnt lgkmcnt(0)
	s_cmp_ge_i32 s6, s7
	s_cbranch_scc1 .LBB404_10
; %bb.5:
	s_andn2_b64 vcc, exec, s[14:15]
	s_cbranch_vccnz .LBB404_7
; %bb.6:
	s_add_u32 s6, s12, s16
	s_addc_u32 s7, s13, s17
	s_load_dword s8, s[6:7], 0x0
.LBB404_7:
	v_and_b32_e32 v1, 15, v0
	v_cmp_gt_u32_e32 vcc, 48, v0
	v_cmp_gt_u32_e64 s[6:7], 8, v1
	s_and_b64 s[12:13], s[6:7], vcc
	s_and_saveexec_b64 s[6:7], s[12:13]
	s_cbranch_execz .LBB404_9
; %bb.8:
	s_load_dword s11, s[4:5], 0x48
	s_load_dwordx2 s[12:13], s[4:5], 0x0
	v_lshrrev_b32_e32 v6, 4, v0
	s_mul_i32 s10, s10, 3
	v_add_lshl_u32 v2, v6, s10, 6
	s_waitcnt lgkmcnt(0)
	s_ashr_i32 s9, s11, 31
	s_mul_hi_u32 s14, s8, s11
	s_mul_i32 s9, s8, s9
	s_add_i32 s9, s14, s9
	s_mul_i32 s8, s8, s11
	s_lshl_b64 s[8:9], s[8:9], 1
	s_add_u32 s8, s12, s8
	v_ashrrev_i32_e32 v3, 31, v2
	s_addc_u32 s9, s13, s9
	v_lshlrev_b64 v[2:3], 1, v[2:3]
	v_mov_b32_e32 v4, s9
	v_add_co_u32_e32 v2, vcc, s8, v2
	v_addc_co_u32_e32 v3, vcc, v4, v3, vcc
	v_lshlrev_b32_e32 v4, 4, v1
	v_add_co_u32_e32 v2, vcc, v2, v4
	v_addc_co_u32_e32 v3, vcc, 0, v3, vcc
	global_load_dwordx4 v[2:5], v[2:3], off
	v_lshlrev_b32_e32 v0, 4, v0
	v_lshlrev_b32_e32 v1, 8, v1
	v_and_b32_e32 v0, 16, v0
	v_lshlrev_b32_e32 v6, 5, v6
	v_and_b32_e32 v1, 0xe00, v1
	v_or3_b32 v0, v1, v6, v0
	s_waitcnt vmcnt(0)
	ds_write_b128 v0, v[2:5]
.LBB404_9:
	s_or_b64 exec, exec, s[6:7]
	s_waitcnt lgkmcnt(0)
	s_add_u32 s8, s4, 0x90
	s_addc_u32 s9, s5, 0
	s_getpc_b64 s[4:5]
	s_add_u32 s4, s4, __PRETTY_FUNCTION__._Z39paged_attention_ll4mi_QKV_mfma16_kernelIDF16_hLN4vllm18Fp8KVCacheDataTypeE1EDF16_Li16ELi64ELi256ELb1ELi3EL8MFMAType1EEvPKT_PKT0_S8_ifPKiSA_SA_iPKfiiiPfSD_PS3_PT2_iSC_SC_@rel32@lo+4
	s_addc_u32 s5, s5, __PRETTY_FUNCTION__._Z39paged_attention_ll4mi_QKV_mfma16_kernelIDF16_hLN4vllm18Fp8KVCacheDataTypeE1EDF16_Li16ELi64ELi256ELb1ELi3EL8MFMAType1EEvPKT_PKT0_S8_ifPKiSA_SA_iPKfiiiPfSD_PS3_PT2_iSC_SC_@rel32@hi+12
	v_mov_b32_e32 v0, 0x288
	v_mov_b32_e32 v1, s4
	;; [unrolled: 1-line block ×3, first 2 shown]
	s_barrier
	s_getpc_b64 s[6:7]
	s_add_u32 s6, s6, __assert_fail@rel32@lo+4
	s_addc_u32 s7, s7, __assert_fail@rel32@hi+12
	s_swappc_b64 s[30:31], s[6:7]
	; divergent unreachable
.LBB404_10:
	s_endpgm
.LBB404_11:
	s_mov_b64 s[18:19], 0
	s_branch .LBB404_2
	.section	.rodata,"a",@progbits
	.p2align	6, 0x0
	.amdhsa_kernel _Z39paged_attention_ll4mi_QKV_mfma16_kernelIDF16_hLN4vllm18Fp8KVCacheDataTypeE1EDF16_Li16ELi64ELi256ELb1ELi3EL8MFMAType1EEvPKT_PKT0_S8_ifPKiSA_SA_iPKfiiiPfSD_PS3_PT2_iSC_SC_
		.amdhsa_group_segment_fixed_size 8192
		.amdhsa_private_segment_fixed_size 64
		.amdhsa_kernarg_size 400
		.amdhsa_user_sgpr_count 8
		.amdhsa_user_sgpr_private_segment_buffer 1
		.amdhsa_user_sgpr_dispatch_ptr 0
		.amdhsa_user_sgpr_queue_ptr 0
		.amdhsa_user_sgpr_kernarg_segment_ptr 1
		.amdhsa_user_sgpr_dispatch_id 0
		.amdhsa_user_sgpr_flat_scratch_init 1
		.amdhsa_user_sgpr_kernarg_preload_length 0
		.amdhsa_user_sgpr_kernarg_preload_offset 0
		.amdhsa_user_sgpr_private_segment_size 0
		.amdhsa_uses_dynamic_stack 0
		.amdhsa_system_sgpr_private_segment_wavefront_offset 1
		.amdhsa_system_sgpr_workgroup_id_x 1
		.amdhsa_system_sgpr_workgroup_id_y 1
		.amdhsa_system_sgpr_workgroup_id_z 1
		.amdhsa_system_sgpr_workgroup_info 0
		.amdhsa_system_vgpr_workitem_id 0
		.amdhsa_next_free_vgpr 45
		.amdhsa_next_free_sgpr 34
		.amdhsa_accum_offset 44
		.amdhsa_reserve_vcc 1
		.amdhsa_reserve_flat_scratch 1
		.amdhsa_float_round_mode_32 0
		.amdhsa_float_round_mode_16_64 0
		.amdhsa_float_denorm_mode_32 3
		.amdhsa_float_denorm_mode_16_64 3
		.amdhsa_dx10_clamp 1
		.amdhsa_ieee_mode 1
		.amdhsa_fp16_overflow 0
		.amdhsa_tg_split 0
		.amdhsa_exception_fp_ieee_invalid_op 0
		.amdhsa_exception_fp_denorm_src 0
		.amdhsa_exception_fp_ieee_div_zero 0
		.amdhsa_exception_fp_ieee_overflow 0
		.amdhsa_exception_fp_ieee_underflow 0
		.amdhsa_exception_fp_ieee_inexact 0
		.amdhsa_exception_int_div_zero 0
	.end_amdhsa_kernel
	.section	.text._Z39paged_attention_ll4mi_QKV_mfma16_kernelIDF16_hLN4vllm18Fp8KVCacheDataTypeE1EDF16_Li16ELi64ELi256ELb1ELi3EL8MFMAType1EEvPKT_PKT0_S8_ifPKiSA_SA_iPKfiiiPfSD_PS3_PT2_iSC_SC_,"axG",@progbits,_Z39paged_attention_ll4mi_QKV_mfma16_kernelIDF16_hLN4vllm18Fp8KVCacheDataTypeE1EDF16_Li16ELi64ELi256ELb1ELi3EL8MFMAType1EEvPKT_PKT0_S8_ifPKiSA_SA_iPKfiiiPfSD_PS3_PT2_iSC_SC_,comdat
.Lfunc_end404:
	.size	_Z39paged_attention_ll4mi_QKV_mfma16_kernelIDF16_hLN4vllm18Fp8KVCacheDataTypeE1EDF16_Li16ELi64ELi256ELb1ELi3EL8MFMAType1EEvPKT_PKT0_S8_ifPKiSA_SA_iPKfiiiPfSD_PS3_PT2_iSC_SC_, .Lfunc_end404-_Z39paged_attention_ll4mi_QKV_mfma16_kernelIDF16_hLN4vllm18Fp8KVCacheDataTypeE1EDF16_Li16ELi64ELi256ELb1ELi3EL8MFMAType1EEvPKT_PKT0_S8_ifPKiSA_SA_iPKfiiiPfSD_PS3_PT2_iSC_SC_
                                        ; -- End function
	.section	.AMDGPU.csdata,"",@progbits
; Kernel info:
; codeLenInByte = 500
; NumSgprs: 40
; NumVgprs: 42
; NumAgprs: 1
; TotalNumVgprs: 45
; ScratchSize: 64
; MemoryBound: 0
; FloatMode: 240
; IeeeMode: 1
; LDSByteSize: 8192 bytes/workgroup (compile time only)
; SGPRBlocks: 4
; VGPRBlocks: 5
; NumSGPRsForWavesPerEU: 40
; NumVGPRsForWavesPerEU: 45
; AccumOffset: 44
; Occupancy: 8
; WaveLimiterHint : 1
; COMPUTE_PGM_RSRC2:SCRATCH_EN: 1
; COMPUTE_PGM_RSRC2:USER_SGPR: 8
; COMPUTE_PGM_RSRC2:TRAP_HANDLER: 0
; COMPUTE_PGM_RSRC2:TGID_X_EN: 1
; COMPUTE_PGM_RSRC2:TGID_Y_EN: 1
; COMPUTE_PGM_RSRC2:TGID_Z_EN: 1
; COMPUTE_PGM_RSRC2:TIDIG_COMP_CNT: 0
; COMPUTE_PGM_RSRC3_GFX90A:ACCUM_OFFSET: 10
; COMPUTE_PGM_RSRC3_GFX90A:TG_SPLIT: 0
	.section	.text._Z39paged_attention_ll4mi_QKV_mfma16_kernelIDF16_hLN4vllm18Fp8KVCacheDataTypeE1EDF16_Li16ELi64ELi256ELb1ELi4EL8MFMAType1EEvPKT_PKT0_S8_ifPKiSA_SA_iPKfiiiPfSD_PS3_PT2_iSC_SC_,"axG",@progbits,_Z39paged_attention_ll4mi_QKV_mfma16_kernelIDF16_hLN4vllm18Fp8KVCacheDataTypeE1EDF16_Li16ELi64ELi256ELb1ELi4EL8MFMAType1EEvPKT_PKT0_S8_ifPKiSA_SA_iPKfiiiPfSD_PS3_PT2_iSC_SC_,comdat
	.protected	_Z39paged_attention_ll4mi_QKV_mfma16_kernelIDF16_hLN4vllm18Fp8KVCacheDataTypeE1EDF16_Li16ELi64ELi256ELb1ELi4EL8MFMAType1EEvPKT_PKT0_S8_ifPKiSA_SA_iPKfiiiPfSD_PS3_PT2_iSC_SC_ ; -- Begin function _Z39paged_attention_ll4mi_QKV_mfma16_kernelIDF16_hLN4vllm18Fp8KVCacheDataTypeE1EDF16_Li16ELi64ELi256ELb1ELi4EL8MFMAType1EEvPKT_PKT0_S8_ifPKiSA_SA_iPKfiiiPfSD_PS3_PT2_iSC_SC_
	.globl	_Z39paged_attention_ll4mi_QKV_mfma16_kernelIDF16_hLN4vllm18Fp8KVCacheDataTypeE1EDF16_Li16ELi64ELi256ELb1ELi4EL8MFMAType1EEvPKT_PKT0_S8_ifPKiSA_SA_iPKfiiiPfSD_PS3_PT2_iSC_SC_
	.p2align	8
	.type	_Z39paged_attention_ll4mi_QKV_mfma16_kernelIDF16_hLN4vllm18Fp8KVCacheDataTypeE1EDF16_Li16ELi64ELi256ELb1ELi4EL8MFMAType1EEvPKT_PKT0_S8_ifPKiSA_SA_iPKfiiiPfSD_PS3_PT2_iSC_SC_,@function
_Z39paged_attention_ll4mi_QKV_mfma16_kernelIDF16_hLN4vllm18Fp8KVCacheDataTypeE1EDF16_Li16ELi64ELi256ELb1ELi4EL8MFMAType1EEvPKT_PKT0_S8_ifPKiSA_SA_iPKfiiiPfSD_PS3_PT2_iSC_SC_: ; @_Z39paged_attention_ll4mi_QKV_mfma16_kernelIDF16_hLN4vllm18Fp8KVCacheDataTypeE1EDF16_Li16ELi64ELi256ELb1ELi4EL8MFMAType1EEvPKT_PKT0_S8_ifPKiSA_SA_iPKfiiiPfSD_PS3_PT2_iSC_SC_
; %bb.0:
	s_load_dwordx2 s[12:13], s[4:5], 0x30
	s_add_u32 flat_scratch_lo, s6, s11
	s_addc_u32 flat_scratch_hi, s7, 0
	s_add_u32 s0, s0, s11
	s_addc_u32 s1, s1, 0
	s_waitcnt lgkmcnt(0)
	s_cmp_lg_u64 s[12:13], 0
	s_cselect_b64 s[14:15], -1, 0
	s_mov_b32 s6, s9
	s_mov_b64 s[16:17], 0
	s_and_b64 vcc, exec, s[14:15]
	s_mov_b32 s32, 0
	s_cbranch_vccz .LBB405_11
; %bb.1:
	s_add_i32 s18, s8, 1
	s_mov_b32 s19, 0
	s_lshl_b64 s[20:21], s[18:19], 2
	s_add_u32 s20, s12, s20
	s_mov_b32 s9, s19
	s_addc_u32 s21, s13, s21
	s_lshl_b64 s[18:19], s[8:9], 2
	s_add_u32 s18, s12, s18
	s_addc_u32 s19, s13, s19
	s_load_dword s7, s[20:21], 0x0
	s_load_dword s11, s[18:19], 0x0
	s_waitcnt lgkmcnt(0)
	s_sub_i32 s7, s7, s11
	s_cmp_eq_u32 s7, 1
	s_cselect_b64 s[18:19], -1, 0
	s_andn2_b64 vcc, exec, s[16:17]
	s_cbranch_vccnz .LBB405_3
.LBB405_2:
	s_mov_b32 s9, 0
	s_mov_b64 s[18:19], -1
.LBB405_3:
	s_andn2_b64 vcc, exec, s[18:19]
	s_cbranch_vccnz .LBB405_10
; %bb.4:
	s_load_dwordx2 s[18:19], s[4:5], 0x28
	s_lshl_b64 s[16:17], s[8:9], 2
	s_waitcnt lgkmcnt(0)
	s_add_u32 s18, s18, s16
	s_addc_u32 s19, s19, s17
	s_load_dword s7, s[18:19], 0x0
	s_lshl_b32 s6, s6, 8
	s_waitcnt lgkmcnt(0)
	s_cmp_ge_i32 s6, s7
	s_cbranch_scc1 .LBB405_10
; %bb.5:
	s_andn2_b64 vcc, exec, s[14:15]
	s_cbranch_vccnz .LBB405_7
; %bb.6:
	s_add_u32 s6, s12, s16
	s_addc_u32 s7, s13, s17
	s_load_dword s8, s[6:7], 0x0
.LBB405_7:
	v_and_b32_e32 v1, 15, v0
	v_cmp_gt_u32_e32 vcc, 64, v0
	v_cmp_gt_u32_e64 s[6:7], 8, v1
	s_and_b64 s[12:13], vcc, s[6:7]
	s_and_saveexec_b64 s[6:7], s[12:13]
	s_cbranch_execz .LBB405_9
; %bb.8:
	s_load_dword s9, s[4:5], 0x48
	s_load_dwordx2 s[12:13], s[4:5], 0x0
	v_lshrrev_b32_e32 v6, 4, v0
	v_lshlrev_b32_e32 v2, 6, v6
	v_lshl_or_b32 v2, s10, 8, v2
	s_waitcnt lgkmcnt(0)
	s_ashr_i32 s11, s9, 31
	s_mul_hi_u32 s15, s8, s9
	s_mul_i32 s14, s8, s9
	s_mul_i32 s8, s8, s11
	s_add_i32 s15, s15, s8
	s_lshl_b64 s[8:9], s[14:15], 1
	s_add_u32 s8, s12, s8
	v_ashrrev_i32_e32 v3, 31, v2
	s_addc_u32 s9, s13, s9
	v_lshlrev_b64 v[2:3], 1, v[2:3]
	v_mov_b32_e32 v4, s9
	v_add_co_u32_e32 v2, vcc, s8, v2
	v_addc_co_u32_e32 v3, vcc, v4, v3, vcc
	v_lshlrev_b32_e32 v4, 4, v1
	v_add_co_u32_e32 v2, vcc, v2, v4
	v_addc_co_u32_e32 v3, vcc, 0, v3, vcc
	global_load_dwordx4 v[2:5], v[2:3], off
	v_lshlrev_b32_e32 v0, 4, v0
	v_lshlrev_b32_e32 v1, 8, v1
	v_and_b32_e32 v0, 16, v0
	v_lshlrev_b32_e32 v6, 5, v6
	v_and_b32_e32 v1, 0xe00, v1
	v_or3_b32 v0, v1, v6, v0
	s_waitcnt vmcnt(0)
	ds_write_b128 v0, v[2:5]
.LBB405_9:
	s_or_b64 exec, exec, s[6:7]
	s_waitcnt lgkmcnt(0)
	s_add_u32 s8, s4, 0x90
	s_addc_u32 s9, s5, 0
	s_getpc_b64 s[4:5]
	s_add_u32 s4, s4, __PRETTY_FUNCTION__._Z39paged_attention_ll4mi_QKV_mfma16_kernelIDF16_hLN4vllm18Fp8KVCacheDataTypeE1EDF16_Li16ELi64ELi256ELb1ELi4EL8MFMAType1EEvPKT_PKT0_S8_ifPKiSA_SA_iPKfiiiPfSD_PS3_PT2_iSC_SC_@rel32@lo+4
	s_addc_u32 s5, s5, __PRETTY_FUNCTION__._Z39paged_attention_ll4mi_QKV_mfma16_kernelIDF16_hLN4vllm18Fp8KVCacheDataTypeE1EDF16_Li16ELi64ELi256ELb1ELi4EL8MFMAType1EEvPKT_PKT0_S8_ifPKiSA_SA_iPKfiiiPfSD_PS3_PT2_iSC_SC_@rel32@hi+12
	v_mov_b32_e32 v0, 0x288
	v_mov_b32_e32 v1, s4
	;; [unrolled: 1-line block ×3, first 2 shown]
	s_barrier
	s_getpc_b64 s[6:7]
	s_add_u32 s6, s6, __assert_fail@rel32@lo+4
	s_addc_u32 s7, s7, __assert_fail@rel32@hi+12
	s_swappc_b64 s[30:31], s[6:7]
	; divergent unreachable
.LBB405_10:
	s_endpgm
.LBB405_11:
	s_mov_b64 s[18:19], 0
	s_branch .LBB405_2
	.section	.rodata,"a",@progbits
	.p2align	6, 0x0
	.amdhsa_kernel _Z39paged_attention_ll4mi_QKV_mfma16_kernelIDF16_hLN4vllm18Fp8KVCacheDataTypeE1EDF16_Li16ELi64ELi256ELb1ELi4EL8MFMAType1EEvPKT_PKT0_S8_ifPKiSA_SA_iPKfiiiPfSD_PS3_PT2_iSC_SC_
		.amdhsa_group_segment_fixed_size 8192
		.amdhsa_private_segment_fixed_size 64
		.amdhsa_kernarg_size 400
		.amdhsa_user_sgpr_count 8
		.amdhsa_user_sgpr_private_segment_buffer 1
		.amdhsa_user_sgpr_dispatch_ptr 0
		.amdhsa_user_sgpr_queue_ptr 0
		.amdhsa_user_sgpr_kernarg_segment_ptr 1
		.amdhsa_user_sgpr_dispatch_id 0
		.amdhsa_user_sgpr_flat_scratch_init 1
		.amdhsa_user_sgpr_kernarg_preload_length 0
		.amdhsa_user_sgpr_kernarg_preload_offset 0
		.amdhsa_user_sgpr_private_segment_size 0
		.amdhsa_uses_dynamic_stack 0
		.amdhsa_system_sgpr_private_segment_wavefront_offset 1
		.amdhsa_system_sgpr_workgroup_id_x 1
		.amdhsa_system_sgpr_workgroup_id_y 1
		.amdhsa_system_sgpr_workgroup_id_z 1
		.amdhsa_system_sgpr_workgroup_info 0
		.amdhsa_system_vgpr_workitem_id 0
		.amdhsa_next_free_vgpr 45
		.amdhsa_next_free_sgpr 34
		.amdhsa_accum_offset 44
		.amdhsa_reserve_vcc 1
		.amdhsa_reserve_flat_scratch 1
		.amdhsa_float_round_mode_32 0
		.amdhsa_float_round_mode_16_64 0
		.amdhsa_float_denorm_mode_32 3
		.amdhsa_float_denorm_mode_16_64 3
		.amdhsa_dx10_clamp 1
		.amdhsa_ieee_mode 1
		.amdhsa_fp16_overflow 0
		.amdhsa_tg_split 0
		.amdhsa_exception_fp_ieee_invalid_op 0
		.amdhsa_exception_fp_denorm_src 0
		.amdhsa_exception_fp_ieee_div_zero 0
		.amdhsa_exception_fp_ieee_overflow 0
		.amdhsa_exception_fp_ieee_underflow 0
		.amdhsa_exception_fp_ieee_inexact 0
		.amdhsa_exception_int_div_zero 0
	.end_amdhsa_kernel
	.section	.text._Z39paged_attention_ll4mi_QKV_mfma16_kernelIDF16_hLN4vllm18Fp8KVCacheDataTypeE1EDF16_Li16ELi64ELi256ELb1ELi4EL8MFMAType1EEvPKT_PKT0_S8_ifPKiSA_SA_iPKfiiiPfSD_PS3_PT2_iSC_SC_,"axG",@progbits,_Z39paged_attention_ll4mi_QKV_mfma16_kernelIDF16_hLN4vllm18Fp8KVCacheDataTypeE1EDF16_Li16ELi64ELi256ELb1ELi4EL8MFMAType1EEvPKT_PKT0_S8_ifPKiSA_SA_iPKfiiiPfSD_PS3_PT2_iSC_SC_,comdat
.Lfunc_end405:
	.size	_Z39paged_attention_ll4mi_QKV_mfma16_kernelIDF16_hLN4vllm18Fp8KVCacheDataTypeE1EDF16_Li16ELi64ELi256ELb1ELi4EL8MFMAType1EEvPKT_PKT0_S8_ifPKiSA_SA_iPKfiiiPfSD_PS3_PT2_iSC_SC_, .Lfunc_end405-_Z39paged_attention_ll4mi_QKV_mfma16_kernelIDF16_hLN4vllm18Fp8KVCacheDataTypeE1EDF16_Li16ELi64ELi256ELb1ELi4EL8MFMAType1EEvPKT_PKT0_S8_ifPKiSA_SA_iPKfiiiPfSD_PS3_PT2_iSC_SC_
                                        ; -- End function
	.section	.AMDGPU.csdata,"",@progbits
; Kernel info:
; codeLenInByte = 500
; NumSgprs: 40
; NumVgprs: 42
; NumAgprs: 1
; TotalNumVgprs: 45
; ScratchSize: 64
; MemoryBound: 0
; FloatMode: 240
; IeeeMode: 1
; LDSByteSize: 8192 bytes/workgroup (compile time only)
; SGPRBlocks: 4
; VGPRBlocks: 5
; NumSGPRsForWavesPerEU: 40
; NumVGPRsForWavesPerEU: 45
; AccumOffset: 44
; Occupancy: 8
; WaveLimiterHint : 1
; COMPUTE_PGM_RSRC2:SCRATCH_EN: 1
; COMPUTE_PGM_RSRC2:USER_SGPR: 8
; COMPUTE_PGM_RSRC2:TRAP_HANDLER: 0
; COMPUTE_PGM_RSRC2:TGID_X_EN: 1
; COMPUTE_PGM_RSRC2:TGID_Y_EN: 1
; COMPUTE_PGM_RSRC2:TGID_Z_EN: 1
; COMPUTE_PGM_RSRC2:TIDIG_COMP_CNT: 0
; COMPUTE_PGM_RSRC3_GFX90A:ACCUM_OFFSET: 10
; COMPUTE_PGM_RSRC3_GFX90A:TG_SPLIT: 0
	.section	.text._Z38paged_attention_ll4mi_QKV_mfma4_kernelIDF16_hLN4vllm18Fp8KVCacheDataTypeE1EDF16_Li16ELi64ELi256ELb0ELi1EEvPKT_PKT0_S7_ifPKiS9_S9_iPKfiiiPfSC_PS2_PT2_iSB_SB_,"axG",@progbits,_Z38paged_attention_ll4mi_QKV_mfma4_kernelIDF16_hLN4vllm18Fp8KVCacheDataTypeE1EDF16_Li16ELi64ELi256ELb0ELi1EEvPKT_PKT0_S7_ifPKiS9_S9_iPKfiiiPfSC_PS2_PT2_iSB_SB_,comdat
	.protected	_Z38paged_attention_ll4mi_QKV_mfma4_kernelIDF16_hLN4vllm18Fp8KVCacheDataTypeE1EDF16_Li16ELi64ELi256ELb0ELi1EEvPKT_PKT0_S7_ifPKiS9_S9_iPKfiiiPfSC_PS2_PT2_iSB_SB_ ; -- Begin function _Z38paged_attention_ll4mi_QKV_mfma4_kernelIDF16_hLN4vllm18Fp8KVCacheDataTypeE1EDF16_Li16ELi64ELi256ELb0ELi1EEvPKT_PKT0_S7_ifPKiS9_S9_iPKfiiiPfSC_PS2_PT2_iSB_SB_
	.globl	_Z38paged_attention_ll4mi_QKV_mfma4_kernelIDF16_hLN4vllm18Fp8KVCacheDataTypeE1EDF16_Li16ELi64ELi256ELb0ELi1EEvPKT_PKT0_S7_ifPKiS9_S9_iPKfiiiPfSC_PS2_PT2_iSB_SB_
	.p2align	8
	.type	_Z38paged_attention_ll4mi_QKV_mfma4_kernelIDF16_hLN4vllm18Fp8KVCacheDataTypeE1EDF16_Li16ELi64ELi256ELb0ELi1EEvPKT_PKT0_S7_ifPKiS9_S9_iPKfiiiPfSC_PS2_PT2_iSB_SB_,@function
_Z38paged_attention_ll4mi_QKV_mfma4_kernelIDF16_hLN4vllm18Fp8KVCacheDataTypeE1EDF16_Li16ELi64ELi256ELb0ELi1EEvPKT_PKT0_S7_ifPKiS9_S9_iPKfiiiPfSC_PS2_PT2_iSB_SB_: ; @_Z38paged_attention_ll4mi_QKV_mfma4_kernelIDF16_hLN4vllm18Fp8KVCacheDataTypeE1EDF16_Li16ELi64ELi256ELb0ELi1EEvPKT_PKT0_S7_ifPKiS9_S9_iPKfiiiPfSC_PS2_PT2_iSB_SB_
; %bb.0:
	s_load_dwordx2 s[2:3], s[4:5], 0x30
	s_mov_b32 s28, s7
	s_mov_b64 s[0:1], 0
	s_waitcnt lgkmcnt(0)
	s_cmp_lg_u64 s[2:3], 0
	s_cselect_b64 s[10:11], -1, 0
	s_and_b64 vcc, exec, s[10:11]
	s_cbranch_vccz .LBB406_10
; %bb.1:
	s_add_i32 s12, s6, 1
	s_mov_b32 s13, 0
	s_lshl_b64 s[14:15], s[12:13], 2
	s_add_u32 s14, s2, s14
	s_mov_b32 s7, s13
	s_addc_u32 s15, s3, s15
	s_lshl_b64 s[12:13], s[6:7], 2
	s_add_u32 s12, s2, s12
	s_addc_u32 s13, s3, s13
	s_load_dword s9, s[14:15], 0x0
	s_load_dword s16, s[12:13], 0x0
	s_waitcnt lgkmcnt(0)
	s_sub_i32 s9, s9, s16
	s_cmp_eq_u32 s9, 1
	s_cselect_b64 s[12:13], -1, 0
	s_andn2_b64 vcc, exec, s[0:1]
	s_cbranch_vccnz .LBB406_3
.LBB406_2:
	s_mov_b32 s7, 0
	s_mov_b64 s[12:13], -1
.LBB406_3:
	s_andn2_b64 vcc, exec, s[12:13]
	s_cbranch_vccnz .LBB406_793
; %bb.4:
	s_load_dword s9, s[4:5], 0x9c
	s_load_dwordx2 s[0:1], s[4:5], 0x28
	s_add_u32 s34, s4, 0x90
	s_addc_u32 s35, s5, 0
	s_lshl_b64 s[20:21], s[6:7], 2
	s_waitcnt lgkmcnt(0)
	s_and_b32 s9, s9, 0xffff
	s_add_u32 s0, s0, s20
	s_addc_u32 s1, s1, s21
	s_load_dword s7, s[0:1], 0x0
	s_mul_i32 s22, s28, s9
	s_waitcnt lgkmcnt(0)
	s_cmp_ge_i32 s22, s7
	s_cbranch_scc1 .LBB406_793
; %bb.5:
	v_and_b32_e32 v1, 0xc0, v0
	v_add_u32_e32 v4, s22, v1
	v_lshrrev_b32_e32 v42, 6, v0
	v_cmp_le_i32_e64 s[0:1], s7, v4
                                        ; implicit-def: $sgpr24
                                        ; implicit-def: $sgpr23
	s_and_saveexec_b64 s[12:13], s[0:1]
	s_xor_b64 s[12:13], exec, s[12:13]
	s_cbranch_execz .LBB406_7
; %bb.6:
	v_mul_u32_u24_e32 v1, 20, v42
	v_or_b32_e32 v1, 0xa00, v1
	v_mov_b32_e32 v2, 0xa50
	v_mov_b32_e32 v3, 0xff7fffff
	v_mad_u32_u24 v2, v42, 20, v2
	ds_write2_b32 v1, v3, v3 offset1:1
	v_mov_b32_e32 v1, 0
	ds_write2_b32 v2, v1, v1 offset1:1
	v_mov_b32_e32 v2, 0xa08
	v_mov_b32_e32 v4, 0xa58
	s_mov_b32 s23, 0xff7fffff
	s_mov_b32 s24, 0
	v_mad_u32_u24 v2, v42, 20, v2
	v_mad_u32_u24 v4, v42, 20, v4
	ds_write2_b32 v2, v3, v3 offset1:1
	ds_write2_b32 v4, v1, v1 offset1:1
                                        ; implicit-def: $vgpr4
.LBB406_7:
	s_or_saveexec_b64 s[36:37], s[12:13]
	s_load_dwordx2 s[30:31], s[4:5], 0x68
	s_load_dwordx4 s[16:19], s[4:5], 0x58
	s_load_dword s9, s[34:35], 0x4
	s_load_dwordx4 s[12:15], s[4:5], 0x80
	v_and_b32_e32 v1, 63, v0
	v_and_b32_e32 v43, 3, v0
	v_mov_b32_e32 v21, s24
	v_mov_b32_e32 v26, s23
	;; [unrolled: 1-line block ×5, first 2 shown]
                                        ; implicit-def: $vgpr14_vgpr15
                                        ; implicit-def: $vgpr10_vgpr11
                                        ; implicit-def: $vgpr6_vgpr7
                                        ; implicit-def: $vgpr2_vgpr3
	s_xor_b64 exec, exec, s[36:37]
	s_cbranch_execz .LBB406_401
; %bb.8:
	s_add_i32 s26, s7, 15
	s_ashr_i32 s27, s26, 31
	s_load_dwordx2 s[24:25], s[4:5], 0x20
	s_load_dword s23, s[4:5], 0x38
	s_lshr_b32 s27, s27, 28
	v_add_u32_e32 v44, s22, v0
	s_add_i32 s26, s26, s27
	v_ashrrev_i32_e32 v2, 31, v44
	s_ashr_i32 s26, s26, 4
	v_lshrrev_b32_e32 v2, 28, v2
	s_add_i32 s29, s26, -1
	v_add_u32_e32 v2, v44, v2
	v_ashrrev_i32_e32 v2, 4, v2
	v_mov_b32_e32 v3, s29
	v_cmp_gt_i32_e32 vcc, s7, v44
	s_waitcnt lgkmcnt(0)
	s_mul_i32 s26, s6, s23
	s_mov_b32 s27, 0
	v_cndmask_b32_e32 v2, v3, v2, vcc
	s_lshl_b64 s[26:27], s[26:27], 2
	v_ashrrev_i32_e32 v3, 31, v2
	s_add_u32 s23, s24, s26
	v_lshlrev_b64 v[2:3], 2, v[2:3]
	v_add_co_u32_e32 v8, vcc, s23, v2
	v_ashrrev_i32_e32 v2, 31, v4
	v_lshrrev_b32_e32 v2, 28, v2
	v_add_u32_e32 v2, v4, v2
	s_addc_u32 s24, s25, s27
	v_ashrrev_i32_e32 v4, 4, v2
	v_mov_b32_e32 v5, s24
	v_min_i32_e32 v2, s29, v4
	v_addc_co_u32_e32 v9, vcc, v5, v3, vcc
	v_ashrrev_i32_e32 v3, 31, v2
	v_lshlrev_b64 v[2:3], 2, v[2:3]
	v_add_co_u32_e32 v10, vcc, s23, v2
	v_add_u32_e32 v2, 1, v4
	v_min_i32_e32 v2, s29, v2
	v_addc_co_u32_e32 v11, vcc, v5, v3, vcc
	v_ashrrev_i32_e32 v3, 31, v2
	v_lshlrev_b64 v[2:3], 2, v[2:3]
	v_add_co_u32_e32 v12, vcc, s23, v2
	v_add_u32_e32 v2, 2, v4
	;; [unrolled: 6-line block ×3, first 2 shown]
	v_min_i32_e32 v2, s29, v2
	v_addc_co_u32_e32 v15, vcc, v5, v3, vcc
	v_ashrrev_i32_e32 v3, 31, v2
	v_lshlrev_b64 v[2:3], 2, v[2:3]
	v_mov_b32_e32 v4, s24
	v_add_co_u32_e32 v16, vcc, s23, v2
	v_addc_co_u32_e32 v17, vcc, v4, v3, vcc
	global_load_dword v6, v[8:9], off
	global_load_dword v5, v[10:11], off
	;; [unrolled: 1-line block ×5, first 2 shown]
	s_load_dwordx4 s[24:27], s[4:5], 0x8
	s_andn2_b64 vcc, exec, s[10:11]
	s_cbranch_vccnz .LBB406_11
; %bb.9:
	s_add_u32 s2, s2, s20
	s_addc_u32 s3, s3, s21
	s_load_dword s10, s[2:3], 0x0
	s_branch .LBB406_12
.LBB406_10:
	s_mov_b64 s[12:13], 0
	s_branch .LBB406_2
.LBB406_11:
	s_mov_b32 s10, s6
.LBB406_12:
	s_load_dwordx4 s[20:23], s[4:5], 0x48
	v_cmp_eq_u32_e32 vcc, 0, v43
	s_mov_b32 s11, 0
	v_mov_b32_e32 v39, 0
	v_mov_b32_e32 v18, 0
	;; [unrolled: 1-line block ×5, first 2 shown]
	s_and_saveexec_b64 s[2:3], vcc
	s_cbranch_execz .LBB406_14
; %bb.13:
	s_load_dwordx2 s[38:39], s[4:5], 0x0
	s_waitcnt lgkmcnt(0)
	s_ashr_i32 s23, s20, 31
	s_mul_hi_u32 s29, s10, s20
	s_mul_i32 s23, s10, s23
	s_add_i32 s41, s29, s23
	s_mul_i32 s40, s10, s20
	s_lshl_b64 s[40:41], s[40:41], 1
	s_add_u32 s20, s38, s40
	s_addc_u32 s23, s39, s41
	s_lshl_b32 s10, s8, 6
	s_lshl_b64 s[10:11], s[10:11], 1
	s_add_u32 s10, s20, s10
	s_addc_u32 s11, s23, s11
	v_lshlrev_b32_e32 v7, 2, v1
	global_load_dwordx4 v[18:21], v7, s[10:11]
.LBB406_14:
	s_or_b64 exec, exec, s[2:3]
	s_waitcnt lgkmcnt(0)
	s_mul_i32 s10, s8, s22
	s_add_u32 s2, s10, s24
	s_addc_u32 s3, 0, s25
	v_pk_mov_b32 v[8:9], s[2:3], s[2:3] op_sel:[0,1]
	s_waitcnt vmcnt(4)
	v_mad_i64_i32 v[6:7], s[2:3], v6, s21, v[8:9]
	v_lshlrev_b32_e32 v8, 4, v0
	v_and_b32_e32 v8, 0xf0, v8
	v_add_co_u32_e64 v6, s[2:3], v6, v8
	v_addc_co_u32_e64 v7, s[2:3], 0, v7, s[2:3]
	s_add_u32 s2, s26, s10
	global_load_dwordx4 v[34:37], v[6:7], off
	global_load_dwordx4 v[30:33], v[6:7], off offset:256
	global_load_dwordx4 v[26:29], v[6:7], off offset:512
	global_load_dwordx4 v[22:25], v[6:7], off offset:768
	s_addc_u32 s3, s27, 0
	v_lshlrev_b32_e32 v6, 4, v1
	v_mov_b32_e32 v7, s3
	v_add_co_u32_e64 v8, s[2:3], s2, v6
	s_waitcnt vmcnt(7)
	v_mul_hi_i32 v6, v5, s21
	v_ashrrev_i32_e32 v6, 31, v6
	v_lshrrev_b32_e32 v38, 29, v6
	v_addc_co_u32_e64 v9, s[2:3], 0, v7, s[2:3]
	v_mad_i64_i32 v[6:7], s[2:3], v5, s21, v[38:39]
	v_and_b32_e32 v5, -8, v6
	v_add_co_u32_e64 v6, s[2:3], v8, v5
	s_waitcnt vmcnt(6)
	v_mul_hi_i32 v5, v4, s21
	v_ashrrev_i32_e32 v5, 31, v5
	v_lshrrev_b32_e32 v38, 29, v5
	v_addc_co_u32_e64 v7, s[2:3], v9, v7, s[2:3]
	v_mad_i64_i32 v[4:5], s[2:3], v4, s21, v[38:39]
	v_and_b32_e32 v4, -8, v4
	v_add_co_u32_e64 v4, s[2:3], v8, v4
	v_addc_co_u32_e64 v5, s[2:3], v9, v5, s[2:3]
	global_load_dwordx4 v[14:17], v[6:7], off
	global_load_dwordx4 v[10:13], v[4:5], off
	s_waitcnt vmcnt(7)
	v_mul_hi_i32 v4, v3, s21
	v_ashrrev_i32_e32 v4, 31, v4
	v_lshrrev_b32_e32 v38, 29, v4
	v_mad_i64_i32 v[4:5], s[2:3], v3, s21, v[38:39]
	v_and_b32_e32 v3, -8, v4
	v_add_co_u32_e64 v40, s[2:3], v8, v3
	s_waitcnt vmcnt(6)
	v_mul_hi_i32 v3, v2, s21
	v_ashrrev_i32_e32 v3, 31, v3
	v_lshrrev_b32_e32 v38, 29, v3
	v_addc_co_u32_e64 v41, s[2:3], v9, v5, s[2:3]
	v_mad_i64_i32 v[2:3], s[2:3], v2, s21, v[38:39]
	v_and_b32_e32 v2, -8, v2
	v_add_co_u32_e64 v46, s[2:3], v8, v2
	v_addc_co_u32_e64 v47, s[2:3], v9, v3, s[2:3]
	global_load_dwordx4 v[6:9], v[40:41], off
	global_load_dwordx4 v[2:5], v[46:47], off
	v_mov_b32_e32 v45, 0
	s_waitcnt vmcnt(7)
	v_cmp_ne_u16_sdwa s[2:3], v34, v39 src0_sel:BYTE_0 src1_sel:DWORD
	s_and_saveexec_b64 s[10:11], s[2:3]
	s_cbranch_execz .LBB406_20
; %bb.15:
	s_movk_i32 s2, 0x80
	v_cmp_ne_u16_sdwa s[2:3], v34, s2 src0_sel:BYTE_0 src1_sel:DWORD
	v_bfrev_b32_e32 v45, 1
	s_and_saveexec_b64 s[20:21], s[2:3]
	s_cbranch_execz .LBB406_19
; %bb.16:
	s_movk_i32 s2, 0x7f
	v_and_b32_e32 v38, 0x7f, v34
	v_cmp_ne_u32_e64 s[2:3], s2, v38
	v_mov_b32_e32 v45, 0x7f800001
	s_and_saveexec_b64 s[22:23], s[2:3]
	s_cbranch_execz .LBB406_18
; %bb.17:
	v_and_b32_e32 v40, 7, v34
	v_ffbh_u32_e32 v40, v40
	v_min_u32_e32 v40, 32, v40
	v_lshrrev_b32_e32 v41, 3, v38
	v_subrev_u32_e32 v45, 28, v40
	v_sub_u32_e32 v40, 29, v40
	v_cmp_gt_u32_e64 s[2:3], 8, v38
	v_cndmask_b32_e64 v38, v41, v40, s[2:3]
	v_cndmask_b32_e64 v40, 0, v45, s[2:3]
	v_lshlrev_b64 v[40:41], v40, v[34:35]
	v_lshlrev_b32_e32 v40, 20, v40
	v_lshlrev_b32_e32 v41, 24, v34
	v_bfrev_b32_e32 v45, 60
	v_and_b32_e32 v40, 0x700000, v40
	v_and_b32_e32 v41, 0x80000000, v41
	v_lshl_add_u32 v38, v38, 23, v45
	v_or3_b32 v45, v41, v38, v40
.LBB406_18:
	s_or_b64 exec, exec, s[22:23]
.LBB406_19:
	s_or_b64 exec, exec, s[20:21]
.LBB406_20:
	s_or_b64 exec, exec, s[10:11]
	v_lshrrev_b16_e32 v38, 8, v34
	v_cmp_ne_u16_e64 s[2:3], 0, v38
	s_and_saveexec_b64 s[10:11], s[2:3]
	s_cbranch_execz .LBB406_26
; %bb.21:
	s_movk_i32 s2, 0x80
	v_cmp_ne_u16_e64 s[2:3], s2, v38
	v_bfrev_b32_e32 v39, 1
	s_and_saveexec_b64 s[20:21], s[2:3]
	s_cbranch_execz .LBB406_25
; %bb.22:
	s_movk_i32 s2, 0x7f
	v_and_b32_e32 v40, 0x7f, v38
	v_cmp_ne_u32_e64 s[2:3], s2, v40
	v_mov_b32_e32 v39, 0x7f800001
	s_and_saveexec_b64 s[22:23], s[2:3]
	s_cbranch_execz .LBB406_24
; %bb.23:
	v_and_b32_e32 v41, 7, v38
	v_ffbh_u32_e32 v39, v41
	v_min_u32_e32 v47, 32, v39
	v_subrev_u32_e32 v39, 28, v47
	v_lshlrev_b64 v[38:39], v39, v[38:39]
	v_lshrrev_b32_e32 v46, 3, v40
	v_sub_u32_e32 v39, 29, v47
	v_and_b32_e32 v38, 7, v38
	v_cmp_gt_u32_e64 s[2:3], 8, v40
	v_cndmask_b32_e64 v39, v46, v39, s[2:3]
	v_cndmask_b32_e64 v38, v41, v38, s[2:3]
	v_lshlrev_b32_e32 v40, 16, v34
	v_bfrev_b32_e32 v41, 60
	v_lshlrev_b32_e32 v38, 20, v38
	v_and_b32_e32 v40, 0x80000000, v40
	v_lshl_add_u32 v39, v39, 23, v41
	v_or3_b32 v39, v40, v39, v38
.LBB406_24:
	s_or_b64 exec, exec, s[22:23]
.LBB406_25:
	s_or_b64 exec, exec, s[20:21]
.LBB406_26:
	s_or_b64 exec, exec, s[10:11]
	s_movk_i32 s2, 0xff
	v_and_b32_sdwa v40, v34, s2 dst_sel:DWORD dst_unused:UNUSED_PAD src0_sel:WORD_1 src1_sel:DWORD
	v_lshrrev_b32_e32 v38, 16, v34
	v_cmp_ne_u16_e64 s[2:3], 0, v40
	v_mov_b32_e32 v46, 0
	v_mov_b32_e32 v47, 0
	s_and_saveexec_b64 s[10:11], s[2:3]
	s_cbranch_execz .LBB406_32
; %bb.27:
	s_movk_i32 s2, 0x80
	v_cmp_ne_u16_e64 s[2:3], s2, v40
	v_bfrev_b32_e32 v47, 1
	s_and_saveexec_b64 s[20:21], s[2:3]
	s_cbranch_execz .LBB406_31
; %bb.28:
	v_bfe_u32 v40, v34, 16, 7
	s_movk_i32 s2, 0x7f
	v_cmp_ne_u32_e64 s[2:3], s2, v40
	v_mov_b32_e32 v47, 0x7f800001
	s_and_saveexec_b64 s[22:23], s[2:3]
	s_cbranch_execz .LBB406_30
; %bb.29:
	v_and_b32_e32 v41, 7, v38
	v_ffbh_u32_e32 v48, v41
	v_min_u32_e32 v50, 32, v48
	v_subrev_u32_e32 v48, 28, v50
	v_lshlrev_b64 v[48:49], v48, v[38:39]
	v_and_b32_e32 v48, 7, v48
	v_cmp_gt_u32_e64 s[2:3], 8, v40
	v_lshrrev_b32_e32 v47, 3, v40
	v_sub_u32_e32 v38, 29, v50
	v_cndmask_b32_e64 v40, v41, v48, s[2:3]
	v_mov_b32_e32 v41, 24
	v_cndmask_b32_e64 v38, v47, v38, s[2:3]
	v_lshlrev_b32_sdwa v41, v41, v34 dst_sel:DWORD dst_unused:UNUSED_PAD src0_sel:DWORD src1_sel:WORD_1
	v_bfrev_b32_e32 v47, 60
	v_lshlrev_b32_e32 v40, 20, v40
	v_and_b32_e32 v41, 0x80000000, v41
	v_lshl_add_u32 v38, v38, 23, v47
	v_or3_b32 v47, v41, v38, v40
.LBB406_30:
	s_or_b64 exec, exec, s[22:23]
.LBB406_31:
	s_or_b64 exec, exec, s[20:21]
.LBB406_32:
	s_or_b64 exec, exec, s[10:11]
	s_mov_b32 s2, 0xffffff
	v_cmp_lt_u32_e64 s[2:3], s2, v34
	s_and_saveexec_b64 s[10:11], s[2:3]
	s_cbranch_execz .LBB406_38
; %bb.33:
	v_lshrrev_b32_e32 v38, 24, v34
	s_movk_i32 s2, 0x80
	v_cmp_ne_u32_e64 s[2:3], s2, v38
	v_bfrev_b32_e32 v46, 1
	s_and_saveexec_b64 s[20:21], s[2:3]
	s_cbranch_execz .LBB406_37
; %bb.34:
	v_bfe_u32 v40, v34, 24, 7
	s_movk_i32 s2, 0x7f
	v_cmp_ne_u32_e64 s[2:3], s2, v40
	v_mov_b32_e32 v46, 0x7f800001
	s_and_saveexec_b64 s[22:23], s[2:3]
	s_cbranch_execz .LBB406_36
; %bb.35:
	v_and_b32_e32 v41, 7, v38
	v_ffbh_u32_e32 v48, v41
	v_min_u32_e32 v50, 32, v48
	v_subrev_u32_e32 v48, 28, v50
	v_lshlrev_b64 v[48:49], v48, v[38:39]
	v_lshrrev_b32_e32 v46, 3, v40
	v_sub_u32_e32 v49, 29, v50
	v_and_b32_e32 v48, 7, v48
	v_cmp_gt_u32_e64 s[2:3], 8, v40
	v_cndmask_b32_e64 v40, v46, v49, s[2:3]
	v_cndmask_b32_e64 v41, v41, v48, s[2:3]
	v_lshlrev_b32_e32 v38, 24, v38
	v_bfrev_b32_e32 v46, 60
	v_lshlrev_b32_e32 v41, 20, v41
	v_and_b32_e32 v38, 0x80000000, v38
	v_lshl_add_u32 v40, v40, 23, v46
	v_or3_b32 v46, v38, v40, v41
.LBB406_36:
	s_or_b64 exec, exec, s[22:23]
.LBB406_37:
	s_or_b64 exec, exec, s[20:21]
.LBB406_38:
	s_or_b64 exec, exec, s[10:11]
	v_mov_b32_e32 v41, 0
	v_mov_b32_e32 v40, v35
	v_cmp_ne_u16_sdwa s[2:3], v35, v41 src0_sel:BYTE_0 src1_sel:DWORD
	v_mov_b32_e32 v48, v41
	s_and_saveexec_b64 s[10:11], s[2:3]
	s_cbranch_execz .LBB406_44
; %bb.39:
	s_movk_i32 s2, 0x80
	v_cmp_ne_u16_sdwa s[2:3], v35, s2 src0_sel:BYTE_0 src1_sel:DWORD
	v_bfrev_b32_e32 v48, 1
	s_and_saveexec_b64 s[20:21], s[2:3]
	s_cbranch_execz .LBB406_43
; %bb.40:
	s_movk_i32 s2, 0x7f
	v_and_b32_e32 v38, 0x7f, v35
	v_cmp_ne_u32_e64 s[2:3], s2, v38
	v_mov_b32_e32 v48, 0x7f800001
	s_and_saveexec_b64 s[22:23], s[2:3]
	s_cbranch_execz .LBB406_42
; %bb.41:
	v_and_b32_e32 v48, 7, v35
	v_ffbh_u32_e32 v48, v48
	v_min_u32_e32 v48, 32, v48
	v_lshrrev_b32_e32 v49, 3, v38
	v_subrev_u32_e32 v50, 28, v48
	v_sub_u32_e32 v48, 29, v48
	v_cmp_gt_u32_e64 s[2:3], 8, v38
	v_cndmask_b32_e64 v38, v49, v48, s[2:3]
	v_cndmask_b32_e64 v48, 0, v50, s[2:3]
	v_lshlrev_b64 v[48:49], v48, v[40:41]
	v_lshlrev_b32_e32 v48, 20, v48
	v_lshlrev_b32_e32 v49, 24, v40
	v_bfrev_b32_e32 v50, 60
	v_and_b32_e32 v48, 0x700000, v48
	v_and_b32_e32 v49, 0x80000000, v49
	v_lshl_add_u32 v38, v38, 23, v50
	v_or3_b32 v48, v49, v38, v48
.LBB406_42:
	s_or_b64 exec, exec, s[22:23]
.LBB406_43:
	s_or_b64 exec, exec, s[20:21]
.LBB406_44:
	s_or_b64 exec, exec, s[10:11]
	v_lshrrev_b16_e32 v38, 8, v40
	v_cmp_ne_u16_e64 s[2:3], 0, v38
	s_and_saveexec_b64 s[10:11], s[2:3]
	s_cbranch_execz .LBB406_50
; %bb.45:
	s_movk_i32 s2, 0x80
	v_cmp_ne_u16_e64 s[2:3], s2, v38
	v_bfrev_b32_e32 v41, 1
	s_and_saveexec_b64 s[20:21], s[2:3]
	s_cbranch_execz .LBB406_49
; %bb.46:
	s_movk_i32 s2, 0x7f
	v_and_b32_e32 v49, 0x7f, v38
	v_cmp_ne_u32_e64 s[2:3], s2, v49
	v_mov_b32_e32 v41, 0x7f800001
	s_and_saveexec_b64 s[22:23], s[2:3]
	s_cbranch_execz .LBB406_48
; %bb.47:
	v_and_b32_e32 v41, 7, v38
	v_ffbh_u32_e32 v50, v41
	v_min_u32_e32 v53, 32, v50
	v_subrev_u32_e32 v50, 28, v53
	v_lshlrev_b64 v[50:51], v50, v[38:39]
	v_lshrrev_b32_e32 v52, 3, v49
	v_sub_u32_e32 v38, 29, v53
	v_and_b32_e32 v50, 7, v50
	v_cmp_gt_u32_e64 s[2:3], 8, v49
	v_cndmask_b32_e64 v38, v52, v38, s[2:3]
	v_cndmask_b32_e64 v41, v41, v50, s[2:3]
	v_lshlrev_b32_e32 v40, 16, v40
	v_bfrev_b32_e32 v49, 60
	v_lshlrev_b32_e32 v41, 20, v41
	v_and_b32_e32 v40, 0x80000000, v40
	v_lshl_add_u32 v38, v38, 23, v49
	v_or3_b32 v41, v40, v38, v41
.LBB406_48:
	s_or_b64 exec, exec, s[22:23]
.LBB406_49:
	s_or_b64 exec, exec, s[20:21]
.LBB406_50:
	s_or_b64 exec, exec, s[10:11]
	s_movk_i32 s2, 0xff
	v_and_b32_sdwa v50, v35, s2 dst_sel:DWORD dst_unused:UNUSED_PAD src0_sel:WORD_1 src1_sel:DWORD
	v_lshrrev_b32_e32 v38, 16, v35
	v_cmp_ne_u16_e64 s[2:3], 0, v50
	v_mov_b32_e32 v40, 0
	v_mov_b32_e32 v49, 0
	s_and_saveexec_b64 s[10:11], s[2:3]
	s_cbranch_execz .LBB406_56
; %bb.51:
	s_movk_i32 s2, 0x80
	v_cmp_ne_u16_e64 s[2:3], s2, v50
	v_bfrev_b32_e32 v49, 1
	s_and_saveexec_b64 s[20:21], s[2:3]
	s_cbranch_execz .LBB406_55
; %bb.52:
	v_bfe_u32 v50, v35, 16, 7
	s_movk_i32 s2, 0x7f
	v_cmp_ne_u32_e64 s[2:3], s2, v50
	v_mov_b32_e32 v49, 0x7f800001
	s_and_saveexec_b64 s[22:23], s[2:3]
	s_cbranch_execz .LBB406_54
; %bb.53:
	v_and_b32_e32 v49, 7, v38
	v_ffbh_u32_e32 v52, v49
	v_min_u32_e32 v54, 32, v52
	v_subrev_u32_e32 v52, 28, v54
	v_lshlrev_b64 v[52:53], v52, v[38:39]
	v_lshrrev_b32_e32 v51, 3, v50
	v_sub_u32_e32 v38, 29, v54
	v_and_b32_e32 v52, 7, v52
	v_cmp_gt_u32_e64 s[2:3], 8, v50
	v_mov_b32_e32 v50, 24
	v_cndmask_b32_e64 v38, v51, v38, s[2:3]
	v_cndmask_b32_e64 v49, v49, v52, s[2:3]
	v_lshlrev_b32_sdwa v50, v50, v35 dst_sel:DWORD dst_unused:UNUSED_PAD src0_sel:DWORD src1_sel:WORD_1
	v_bfrev_b32_e32 v51, 60
	v_lshlrev_b32_e32 v49, 20, v49
	v_and_b32_e32 v50, 0x80000000, v50
	v_lshl_add_u32 v38, v38, 23, v51
	v_or3_b32 v49, v50, v38, v49
.LBB406_54:
	s_or_b64 exec, exec, s[22:23]
.LBB406_55:
	s_or_b64 exec, exec, s[20:21]
.LBB406_56:
	s_or_b64 exec, exec, s[10:11]
	s_mov_b32 s2, -1
	s_mov_b32 s3, 0xffffff
	v_cmp_lt_u64_e64 s[2:3], s[2:3], v[34:35]
	s_and_saveexec_b64 s[10:11], s[2:3]
	s_cbranch_execz .LBB406_62
; %bb.57:
	v_lshrrev_b32_e32 v34, 24, v35
	s_movk_i32 s2, 0x80
	v_cmp_ne_u32_e64 s[2:3], s2, v34
	v_bfrev_b32_e32 v40, 1
	s_and_saveexec_b64 s[20:21], s[2:3]
	s_cbranch_execz .LBB406_61
; %bb.58:
	v_bfe_u32 v35, v35, 24, 7
	s_movk_i32 s2, 0x7f
	v_cmp_ne_u32_e64 s[2:3], s2, v35
	v_mov_b32_e32 v40, 0x7f800001
	s_and_saveexec_b64 s[22:23], s[2:3]
	s_cbranch_execz .LBB406_60
; %bb.59:
	v_and_b32_e32 v38, 7, v34
	v_ffbh_u32_e32 v50, v38
	v_min_u32_e32 v52, 32, v50
	v_subrev_u32_e32 v50, 28, v52
	v_lshlrev_b64 v[50:51], v50, v[34:35]
	v_lshrrev_b32_e32 v40, 3, v35
	v_sub_u32_e32 v51, 29, v52
	v_and_b32_e32 v50, 7, v50
	v_cmp_gt_u32_e64 s[2:3], 8, v35
	v_cndmask_b32_e64 v35, v40, v51, s[2:3]
	v_cndmask_b32_e64 v38, v38, v50, s[2:3]
	v_lshlrev_b32_e32 v34, 24, v34
	v_bfrev_b32_e32 v40, 60
	v_lshlrev_b32_e32 v38, 20, v38
	v_and_b32_e32 v34, 0x80000000, v34
	v_lshl_add_u32 v35, v35, 23, v40
	v_or3_b32 v40, v34, v35, v38
.LBB406_60:
	s_or_b64 exec, exec, s[22:23]
.LBB406_61:
	s_or_b64 exec, exec, s[20:21]
.LBB406_62:
	s_or_b64 exec, exec, s[10:11]
	v_cvt_pkrtz_f16_f32 v34, v45, v39
	v_cvt_pkrtz_f16_f32 v35, v47, v46
	;; [unrolled: 1-line block ×4, first 2 shown]
	v_mfma_f32_4x4x4f16 a[0:3], v[18:19], v[34:35], 0 cbsz:4
	v_mov_b32_e32 v40, 0
	v_mfma_f32_4x4x4f16 a[0:3], v[20:21], v[46:47], a[0:3] cbsz:4
	v_mov_b32_e32 v39, 0
	v_cmp_ne_u16_sdwa s[2:3], v36, v40 src0_sel:BYTE_0 src1_sel:DWORD
	s_and_saveexec_b64 s[10:11], s[2:3]
	s_cbranch_execz .LBB406_68
; %bb.63:
	s_movk_i32 s2, 0x80
	v_cmp_ne_u16_sdwa s[2:3], v36, s2 src0_sel:BYTE_0 src1_sel:DWORD
	v_bfrev_b32_e32 v39, 1
	s_and_saveexec_b64 s[20:21], s[2:3]
	s_cbranch_execz .LBB406_67
; %bb.64:
	s_movk_i32 s2, 0x7f
	v_and_b32_e32 v34, 0x7f, v36
	v_cmp_ne_u32_e64 s[2:3], s2, v34
	v_mov_b32_e32 v39, 0x7f800001
	s_and_saveexec_b64 s[22:23], s[2:3]
	s_cbranch_execz .LBB406_66
; %bb.65:
	v_and_b32_e32 v35, 7, v36
	v_ffbh_u32_e32 v35, v35
	v_min_u32_e32 v35, 32, v35
	v_subrev_u32_e32 v39, 28, v35
	v_cmp_gt_u32_e64 s[2:3], 8, v34
	v_lshrrev_b32_e32 v38, 3, v34
	v_sub_u32_e32 v35, 29, v35
	v_cndmask_b32_e64 v34, 0, v39, s[2:3]
	v_cndmask_b32_e64 v38, v38, v35, s[2:3]
	v_lshlrev_b64 v[34:35], v34, v[36:37]
	v_lshlrev_b32_e32 v34, 20, v34
	v_lshlrev_b32_e32 v35, 24, v36
	v_bfrev_b32_e32 v39, 60
	v_and_b32_e32 v34, 0x700000, v34
	v_and_b32_e32 v35, 0x80000000, v35
	v_lshl_add_u32 v38, v38, 23, v39
	v_or3_b32 v39, v35, v38, v34
.LBB406_66:
	s_or_b64 exec, exec, s[22:23]
.LBB406_67:
	s_or_b64 exec, exec, s[20:21]
.LBB406_68:
	s_or_b64 exec, exec, s[10:11]
	v_lshrrev_b16_e32 v34, 8, v36
	v_cmp_ne_u16_e64 s[2:3], 0, v34
	v_mov_b32_e32 v41, 0
	s_and_saveexec_b64 s[10:11], s[2:3]
	s_cbranch_execz .LBB406_74
; %bb.69:
	s_movk_i32 s2, 0x80
	v_cmp_ne_u16_e64 s[2:3], s2, v34
	v_bfrev_b32_e32 v41, 1
	s_and_saveexec_b64 s[20:21], s[2:3]
	s_cbranch_execz .LBB406_73
; %bb.70:
	s_movk_i32 s2, 0x7f
	v_and_b32_e32 v35, 0x7f, v34
	v_cmp_ne_u32_e64 s[2:3], s2, v35
	v_mov_b32_e32 v41, 0x7f800001
	s_and_saveexec_b64 s[22:23], s[2:3]
	s_cbranch_execz .LBB406_72
; %bb.71:
	v_and_b32_e32 v38, 7, v34
	v_ffbh_u32_e32 v45, v38
	v_min_u32_e32 v45, 32, v45
	v_subrev_u32_e32 v46, 28, v45
	v_lshlrev_b64 v[46:47], v46, v[34:35]
	v_lshrrev_b32_e32 v41, 3, v35
	v_sub_u32_e32 v34, 29, v45
	v_and_b32_e32 v45, 7, v46
	v_cmp_gt_u32_e64 s[2:3], 8, v35
	v_cndmask_b32_e64 v34, v41, v34, s[2:3]
	v_cndmask_b32_e64 v35, v38, v45, s[2:3]
	v_lshlrev_b32_e32 v38, 16, v36
	v_bfrev_b32_e32 v41, 60
	v_lshlrev_b32_e32 v35, 20, v35
	v_and_b32_e32 v38, 0x80000000, v38
	v_lshl_add_u32 v34, v34, 23, v41
	v_or3_b32 v41, v38, v34, v35
.LBB406_72:
	s_or_b64 exec, exec, s[22:23]
.LBB406_73:
	s_or_b64 exec, exec, s[20:21]
.LBB406_74:
	s_or_b64 exec, exec, s[10:11]
	s_movk_i32 s2, 0xff
	v_and_b32_sdwa v35, v36, s2 dst_sel:DWORD dst_unused:UNUSED_PAD src0_sel:WORD_1 src1_sel:DWORD
	v_lshrrev_b32_e32 v34, 16, v36
	v_cmp_ne_u16_e64 s[2:3], 0, v35
	s_and_saveexec_b64 s[10:11], s[2:3]
	s_cbranch_execz .LBB406_80
; %bb.75:
	s_movk_i32 s2, 0x80
	v_cmp_ne_u16_e64 s[2:3], s2, v35
	v_bfrev_b32_e32 v40, 1
	s_and_saveexec_b64 s[20:21], s[2:3]
	s_cbranch_execz .LBB406_79
; %bb.76:
	v_bfe_u32 v35, v36, 16, 7
	s_movk_i32 s2, 0x7f
	v_cmp_ne_u32_e64 s[2:3], s2, v35
	v_mov_b32_e32 v40, 0x7f800001
	s_and_saveexec_b64 s[22:23], s[2:3]
	s_cbranch_execz .LBB406_78
; %bb.77:
	v_and_b32_e32 v38, 7, v34
	v_ffbh_u32_e32 v45, v38
	v_min_u32_e32 v45, 32, v45
	v_subrev_u32_e32 v46, 28, v45
	v_lshlrev_b64 v[46:47], v46, v[34:35]
	v_sub_u32_e32 v34, 29, v45
	v_and_b32_e32 v45, 7, v46
	v_cmp_gt_u32_e64 s[2:3], 8, v35
	v_lshrrev_b32_e32 v40, 3, v35
	v_cndmask_b32_e64 v35, v38, v45, s[2:3]
	v_mov_b32_e32 v38, 24
	v_cndmask_b32_e64 v34, v40, v34, s[2:3]
	v_lshlrev_b32_sdwa v38, v38, v36 dst_sel:DWORD dst_unused:UNUSED_PAD src0_sel:DWORD src1_sel:WORD_1
	v_bfrev_b32_e32 v40, 60
	v_lshlrev_b32_e32 v35, 20, v35
	v_and_b32_e32 v38, 0x80000000, v38
	v_lshl_add_u32 v34, v34, 23, v40
	v_or3_b32 v40, v38, v34, v35
.LBB406_78:
	s_or_b64 exec, exec, s[22:23]
.LBB406_79:
	s_or_b64 exec, exec, s[20:21]
.LBB406_80:
	s_or_b64 exec, exec, s[10:11]
	s_mov_b32 s2, 0xffffff
	v_cmp_lt_u32_e64 s[2:3], s2, v36
	v_mov_b32_e32 v35, 0
	v_mov_b32_e32 v45, 0
	s_and_saveexec_b64 s[10:11], s[2:3]
	s_cbranch_execz .LBB406_86
; %bb.81:
	v_lshrrev_b32_e32 v34, 24, v36
	s_movk_i32 s2, 0x80
	v_cmp_ne_u32_e64 s[2:3], s2, v34
	v_bfrev_b32_e32 v45, 1
	s_and_saveexec_b64 s[20:21], s[2:3]
	s_cbranch_execz .LBB406_85
; %bb.82:
	v_bfe_u32 v38, v36, 24, 7
	s_movk_i32 s2, 0x7f
	v_cmp_ne_u32_e64 s[2:3], s2, v38
	v_mov_b32_e32 v45, 0x7f800001
	s_and_saveexec_b64 s[22:23], s[2:3]
	s_cbranch_execz .LBB406_84
; %bb.83:
	v_and_b32_e32 v45, 7, v34
	v_ffbh_u32_e32 v46, v45
	v_min_u32_e32 v49, 32, v46
	v_subrev_u32_e32 v46, 28, v49
	v_lshlrev_b64 v[46:47], v46, v[34:35]
	v_lshrrev_b32_e32 v48, 3, v38
	v_sub_u32_e32 v47, 29, v49
	v_and_b32_e32 v46, 7, v46
	v_cmp_gt_u32_e64 s[2:3], 8, v38
	v_cndmask_b32_e64 v38, v48, v47, s[2:3]
	v_cndmask_b32_e64 v45, v45, v46, s[2:3]
	v_lshlrev_b32_e32 v34, 24, v34
	v_bfrev_b32_e32 v46, 60
	v_lshlrev_b32_e32 v45, 20, v45
	v_and_b32_e32 v34, 0x80000000, v34
	v_lshl_add_u32 v38, v38, 23, v46
	v_or3_b32 v45, v34, v38, v45
.LBB406_84:
	s_or_b64 exec, exec, s[22:23]
.LBB406_85:
	s_or_b64 exec, exec, s[20:21]
.LBB406_86:
	s_or_b64 exec, exec, s[10:11]
	v_mov_b32_e32 v34, v37
	v_cmp_ne_u16_sdwa s[2:3], v37, v35 src0_sel:BYTE_0 src1_sel:DWORD
	s_and_saveexec_b64 s[10:11], s[2:3]
	s_cbranch_execz .LBB406_92
; %bb.87:
	s_movk_i32 s2, 0x80
	v_cmp_ne_u16_sdwa s[2:3], v37, s2 src0_sel:BYTE_0 src1_sel:DWORD
	v_bfrev_b32_e32 v38, 1
	s_and_saveexec_b64 s[20:21], s[2:3]
	s_cbranch_execz .LBB406_91
; %bb.88:
	s_movk_i32 s2, 0x7f
	v_and_b32_e32 v46, 0x7f, v37
	v_cmp_ne_u32_e64 s[2:3], s2, v46
	v_mov_b32_e32 v38, 0x7f800001
	s_and_saveexec_b64 s[22:23], s[2:3]
	s_cbranch_execz .LBB406_90
; %bb.89:
	v_and_b32_e32 v38, 7, v37
	v_ffbh_u32_e32 v38, v38
	v_min_u32_e32 v38, 32, v38
	v_subrev_u32_e32 v48, 28, v38
	v_cmp_gt_u32_e64 s[2:3], 8, v46
	v_lshrrev_b32_e32 v47, 3, v46
	v_sub_u32_e32 v38, 29, v38
	v_cndmask_b32_e64 v46, 0, v48, s[2:3]
	v_cndmask_b32_e64 v38, v47, v38, s[2:3]
	v_lshlrev_b64 v[46:47], v46, v[34:35]
	v_lshlrev_b32_e32 v35, 20, v46
	v_lshlrev_b32_e32 v46, 24, v34
	v_bfrev_b32_e32 v47, 60
	v_and_b32_e32 v35, 0x700000, v35
	v_and_b32_e32 v46, 0x80000000, v46
	v_lshl_add_u32 v38, v38, 23, v47
	v_or3_b32 v38, v46, v38, v35
.LBB406_90:
	s_or_b64 exec, exec, s[22:23]
.LBB406_91:
	s_or_b64 exec, exec, s[20:21]
	v_mov_b32_e32 v35, v38
.LBB406_92:
	s_or_b64 exec, exec, s[10:11]
	v_lshrrev_b16_e32 v38, 8, v34
	v_cmp_ne_u16_e64 s[2:3], 0, v38
	v_mov_b32_e32 v46, 0
	v_mov_b32_e32 v47, 0
	s_and_saveexec_b64 s[10:11], s[2:3]
	s_cbranch_execz .LBB406_98
; %bb.93:
	s_movk_i32 s2, 0x80
	v_cmp_ne_u16_e64 s[2:3], s2, v38
	v_bfrev_b32_e32 v47, 1
	s_and_saveexec_b64 s[20:21], s[2:3]
	s_cbranch_execz .LBB406_97
; %bb.94:
	s_movk_i32 s2, 0x7f
	v_and_b32_e32 v48, 0x7f, v38
	v_cmp_ne_u32_e64 s[2:3], s2, v48
	v_mov_b32_e32 v47, 0x7f800001
	s_and_saveexec_b64 s[22:23], s[2:3]
	s_cbranch_execz .LBB406_96
; %bb.95:
	v_and_b32_e32 v47, 7, v38
	v_ffbh_u32_e32 v50, v47
	v_min_u32_e32 v52, 32, v50
	v_subrev_u32_e32 v50, 28, v52
	v_lshlrev_b64 v[50:51], v50, v[38:39]
	v_lshrrev_b32_e32 v49, 3, v48
	v_sub_u32_e32 v38, 29, v52
	v_and_b32_e32 v50, 7, v50
	v_cmp_gt_u32_e64 s[2:3], 8, v48
	v_cndmask_b32_e64 v38, v49, v38, s[2:3]
	v_cndmask_b32_e64 v47, v47, v50, s[2:3]
	v_lshlrev_b32_e32 v34, 16, v34
	v_bfrev_b32_e32 v48, 60
	v_lshlrev_b32_e32 v47, 20, v47
	v_and_b32_e32 v34, 0x80000000, v34
	v_lshl_add_u32 v38, v38, 23, v48
	v_or3_b32 v47, v34, v38, v47
.LBB406_96:
	s_or_b64 exec, exec, s[22:23]
.LBB406_97:
	s_or_b64 exec, exec, s[20:21]
.LBB406_98:
	s_or_b64 exec, exec, s[10:11]
	s_movk_i32 s2, 0xff
	v_and_b32_sdwa v38, v37, s2 dst_sel:DWORD dst_unused:UNUSED_PAD src0_sel:WORD_1 src1_sel:DWORD
	v_lshrrev_b32_e32 v34, 16, v37
	v_cmp_ne_u16_e64 s[2:3], 0, v38
	s_and_saveexec_b64 s[10:11], s[2:3]
	s_cbranch_execz .LBB406_104
; %bb.99:
	s_movk_i32 s2, 0x80
	v_cmp_ne_u16_e64 s[2:3], s2, v38
	v_bfrev_b32_e32 v46, 1
	s_and_saveexec_b64 s[20:21], s[2:3]
	s_cbranch_execz .LBB406_103
; %bb.100:
	v_bfe_u32 v38, v37, 16, 7
	s_movk_i32 s2, 0x7f
	v_cmp_ne_u32_e64 s[2:3], s2, v38
	v_mov_b32_e32 v46, 0x7f800001
	s_and_saveexec_b64 s[22:23], s[2:3]
	s_cbranch_execz .LBB406_102
; %bb.101:
	v_and_b32_e32 v46, 7, v34
	v_ffbh_u32_e32 v48, v46
	v_min_u32_e32 v51, 32, v48
	v_subrev_u32_e32 v48, 28, v51
	v_lshlrev_b64 v[48:49], v48, v[34:35]
	v_and_b32_e32 v48, 7, v48
	v_cmp_gt_u32_e64 s[2:3], 8, v38
	v_lshrrev_b32_e32 v50, 3, v38
	v_sub_u32_e32 v34, 29, v51
	v_cndmask_b32_e64 v38, v46, v48, s[2:3]
	v_mov_b32_e32 v46, 24
	v_cndmask_b32_e64 v34, v50, v34, s[2:3]
	v_lshlrev_b32_sdwa v46, v46, v37 dst_sel:DWORD dst_unused:UNUSED_PAD src0_sel:DWORD src1_sel:WORD_1
	v_bfrev_b32_e32 v48, 60
	v_lshlrev_b32_e32 v38, 20, v38
	v_and_b32_e32 v46, 0x80000000, v46
	v_lshl_add_u32 v34, v34, 23, v48
	v_or3_b32 v46, v46, v34, v38
.LBB406_102:
	s_or_b64 exec, exec, s[22:23]
.LBB406_103:
	s_or_b64 exec, exec, s[20:21]
.LBB406_104:
	s_or_b64 exec, exec, s[10:11]
	s_mov_b32 s2, -1
	s_mov_b32 s3, 0xffffff
	v_cmp_lt_u64_e64 s[2:3], s[2:3], v[36:37]
	v_mov_b32_e32 v38, 0
	v_mov_b32_e32 v36, 0
	s_and_saveexec_b64 s[10:11], s[2:3]
	s_cbranch_execz .LBB406_110
; %bb.105:
	v_lshrrev_b32_e32 v34, 24, v37
	s_movk_i32 s2, 0x80
	v_cmp_ne_u32_e64 s[2:3], s2, v34
	v_bfrev_b32_e32 v36, 1
	s_and_saveexec_b64 s[20:21], s[2:3]
	s_cbranch_execz .LBB406_109
; %bb.106:
	v_bfe_u32 v37, v37, 24, 7
	s_movk_i32 s2, 0x7f
	v_cmp_ne_u32_e64 s[2:3], s2, v37
	v_mov_b32_e32 v36, 0x7f800001
	s_and_saveexec_b64 s[22:23], s[2:3]
	s_cbranch_execz .LBB406_108
; %bb.107:
	v_and_b32_e32 v36, 7, v34
	v_ffbh_u32_e32 v48, v36
	v_min_u32_e32 v51, 32, v48
	v_subrev_u32_e32 v48, 28, v51
	v_lshlrev_b64 v[48:49], v48, v[34:35]
	v_lshrrev_b32_e32 v50, 3, v37
	v_sub_u32_e32 v49, 29, v51
	v_and_b32_e32 v48, 7, v48
	v_cmp_gt_u32_e64 s[2:3], 8, v37
	v_cndmask_b32_e64 v37, v50, v49, s[2:3]
	v_cndmask_b32_e64 v36, v36, v48, s[2:3]
	v_lshlrev_b32_e32 v34, 24, v34
	v_bfrev_b32_e32 v48, 60
	v_lshlrev_b32_e32 v36, 20, v36
	v_and_b32_e32 v34, 0x80000000, v34
	v_lshl_add_u32 v37, v37, 23, v48
	v_or3_b32 v36, v34, v37, v36
.LBB406_108:
	s_or_b64 exec, exec, s[22:23]
.LBB406_109:
	s_or_b64 exec, exec, s[20:21]
.LBB406_110:
	s_or_b64 exec, exec, s[10:11]
	v_cvt_pkrtz_f16_f32 v48, v39, v41
	v_cvt_pkrtz_f16_f32 v49, v40, v45
	v_cvt_pkrtz_f16_f32 v34, v35, v47
	v_cvt_pkrtz_f16_f32 v35, v46, v36
	v_mfma_f32_4x4x4f16 a[0:3], v[18:19], v[48:49], a[0:3] cbsz:4 abid:1
	s_waitcnt vmcnt(6)
	v_cmp_ne_u16_sdwa s[2:3], v30, v38 src0_sel:BYTE_0 src1_sel:DWORD
	v_mfma_f32_4x4x4f16 a[0:3], v[20:21], v[34:35], a[0:3] cbsz:4 abid:1
	s_and_saveexec_b64 s[10:11], s[2:3]
	s_cbranch_execz .LBB406_116
; %bb.111:
	s_movk_i32 s2, 0x80
	v_cmp_ne_u16_sdwa s[2:3], v30, s2 src0_sel:BYTE_0 src1_sel:DWORD
	v_bfrev_b32_e32 v38, 1
	s_and_saveexec_b64 s[20:21], s[2:3]
	s_cbranch_execz .LBB406_115
; %bb.112:
	s_movk_i32 s2, 0x7f
	v_and_b32_e32 v34, 0x7f, v30
	v_cmp_ne_u32_e64 s[2:3], s2, v34
	v_mov_b32_e32 v38, 0x7f800001
	s_and_saveexec_b64 s[22:23], s[2:3]
	s_cbranch_execz .LBB406_114
; %bb.113:
	v_and_b32_e32 v35, 7, v30
	v_ffbh_u32_e32 v35, v35
	v_min_u32_e32 v35, 32, v35
	v_subrev_u32_e32 v37, 28, v35
	v_cmp_gt_u32_e64 s[2:3], 8, v34
	v_lshrrev_b32_e32 v36, 3, v34
	v_sub_u32_e32 v35, 29, v35
	v_cndmask_b32_e64 v34, 0, v37, s[2:3]
	v_cndmask_b32_e64 v36, v36, v35, s[2:3]
	v_lshlrev_b64 v[34:35], v34, v[30:31]
	v_lshlrev_b32_e32 v34, 20, v34
	v_lshlrev_b32_e32 v35, 24, v30
	v_bfrev_b32_e32 v37, 60
	v_and_b32_e32 v34, 0x700000, v34
	v_and_b32_e32 v35, 0x80000000, v35
	v_lshl_add_u32 v36, v36, 23, v37
	v_or3_b32 v38, v35, v36, v34
.LBB406_114:
	s_or_b64 exec, exec, s[22:23]
.LBB406_115:
	s_or_b64 exec, exec, s[20:21]
.LBB406_116:
	s_or_b64 exec, exec, s[10:11]
	v_lshrrev_b16_e32 v34, 8, v30
	v_cmp_ne_u16_e64 s[2:3], 0, v34
	v_mov_b32_e32 v37, 0
	v_mov_b32_e32 v39, 0
	s_and_saveexec_b64 s[10:11], s[2:3]
	s_cbranch_execz .LBB406_122
; %bb.117:
	s_movk_i32 s2, 0x80
	v_cmp_ne_u16_e64 s[2:3], s2, v34
	v_bfrev_b32_e32 v39, 1
	s_and_saveexec_b64 s[20:21], s[2:3]
	s_cbranch_execz .LBB406_121
; %bb.118:
	s_movk_i32 s2, 0x7f
	v_and_b32_e32 v35, 0x7f, v34
	v_cmp_ne_u32_e64 s[2:3], s2, v35
	v_mov_b32_e32 v39, 0x7f800001
	s_and_saveexec_b64 s[22:23], s[2:3]
	s_cbranch_execz .LBB406_120
; %bb.119:
	v_and_b32_e32 v36, 7, v34
	v_ffbh_u32_e32 v40, v36
	v_min_u32_e32 v45, 32, v40
	v_subrev_u32_e32 v40, 28, v45
	v_lshlrev_b64 v[40:41], v40, v[34:35]
	v_lshrrev_b32_e32 v39, 3, v35
	v_sub_u32_e32 v34, 29, v45
	v_and_b32_e32 v40, 7, v40
	v_cmp_gt_u32_e64 s[2:3], 8, v35
	v_cndmask_b32_e64 v34, v39, v34, s[2:3]
	v_cndmask_b32_e64 v35, v36, v40, s[2:3]
	v_lshlrev_b32_e32 v36, 16, v30
	v_bfrev_b32_e32 v39, 60
	v_lshlrev_b32_e32 v35, 20, v35
	v_and_b32_e32 v36, 0x80000000, v36
	v_lshl_add_u32 v34, v34, 23, v39
	v_or3_b32 v39, v36, v34, v35
.LBB406_120:
	s_or_b64 exec, exec, s[22:23]
.LBB406_121:
	s_or_b64 exec, exec, s[20:21]
.LBB406_122:
	s_or_b64 exec, exec, s[10:11]
	s_movk_i32 s2, 0xff
	v_and_b32_sdwa v35, v30, s2 dst_sel:DWORD dst_unused:UNUSED_PAD src0_sel:WORD_1 src1_sel:DWORD
	v_lshrrev_b32_e32 v34, 16, v30
	v_cmp_ne_u16_e64 s[2:3], 0, v35
	s_and_saveexec_b64 s[10:11], s[2:3]
	s_cbranch_execz .LBB406_128
; %bb.123:
	s_movk_i32 s2, 0x80
	v_cmp_ne_u16_e64 s[2:3], s2, v35
	v_bfrev_b32_e32 v37, 1
	s_and_saveexec_b64 s[20:21], s[2:3]
	s_cbranch_execz .LBB406_127
; %bb.124:
	v_bfe_u32 v35, v30, 16, 7
	s_movk_i32 s2, 0x7f
	v_cmp_ne_u32_e64 s[2:3], s2, v35
	v_mov_b32_e32 v37, 0x7f800001
	s_and_saveexec_b64 s[22:23], s[2:3]
	s_cbranch_execz .LBB406_126
; %bb.125:
	v_and_b32_e32 v40, 7, v34
	v_ffbh_u32_e32 v36, v40
	v_min_u32_e32 v45, 32, v36
	v_subrev_u32_e32 v36, 28, v45
	v_lshlrev_b64 v[36:37], v36, v[34:35]
	v_and_b32_e32 v36, 7, v36
	v_cmp_gt_u32_e64 s[2:3], 8, v35
	v_lshrrev_b32_e32 v41, 3, v35
	v_sub_u32_e32 v34, 29, v45
	v_cndmask_b32_e64 v35, v40, v36, s[2:3]
	v_mov_b32_e32 v36, 24
	v_cndmask_b32_e64 v34, v41, v34, s[2:3]
	v_lshlrev_b32_sdwa v36, v36, v30 dst_sel:DWORD dst_unused:UNUSED_PAD src0_sel:DWORD src1_sel:WORD_1
	v_bfrev_b32_e32 v37, 60
	v_lshlrev_b32_e32 v35, 20, v35
	v_and_b32_e32 v36, 0x80000000, v36
	v_lshl_add_u32 v34, v34, 23, v37
	v_or3_b32 v37, v36, v34, v35
.LBB406_126:
	s_or_b64 exec, exec, s[22:23]
.LBB406_127:
	s_or_b64 exec, exec, s[20:21]
.LBB406_128:
	s_or_b64 exec, exec, s[10:11]
	s_mov_b32 s2, 0xffffff
	v_cmp_lt_u32_e64 s[2:3], s2, v30
	v_mov_b32_e32 v35, 0
	v_mov_b32_e32 v40, 0
	s_and_saveexec_b64 s[10:11], s[2:3]
	s_cbranch_execz .LBB406_134
; %bb.129:
	v_lshrrev_b32_e32 v34, 24, v30
	s_movk_i32 s2, 0x80
	v_cmp_ne_u32_e64 s[2:3], s2, v34
	v_bfrev_b32_e32 v40, 1
	s_and_saveexec_b64 s[20:21], s[2:3]
	s_cbranch_execz .LBB406_133
; %bb.130:
	v_bfe_u32 v36, v30, 24, 7
	s_movk_i32 s2, 0x7f
	v_cmp_ne_u32_e64 s[2:3], s2, v36
	v_mov_b32_e32 v40, 0x7f800001
	s_and_saveexec_b64 s[22:23], s[2:3]
	s_cbranch_execz .LBB406_132
; %bb.131:
	v_and_b32_e32 v45, 7, v34
	v_ffbh_u32_e32 v40, v45
	v_min_u32_e32 v47, 32, v40
	v_subrev_u32_e32 v40, 28, v47
	v_lshlrev_b64 v[40:41], v40, v[34:35]
	v_lshrrev_b32_e32 v46, 3, v36
	v_sub_u32_e32 v41, 29, v47
	v_and_b32_e32 v40, 7, v40
	v_cmp_gt_u32_e64 s[2:3], 8, v36
	v_cndmask_b32_e64 v36, v46, v41, s[2:3]
	v_cndmask_b32_e64 v40, v45, v40, s[2:3]
	v_lshlrev_b32_e32 v34, 24, v34
	v_bfrev_b32_e32 v41, 60
	v_lshlrev_b32_e32 v40, 20, v40
	v_and_b32_e32 v34, 0x80000000, v34
	v_lshl_add_u32 v36, v36, 23, v41
	v_or3_b32 v40, v34, v36, v40
.LBB406_132:
	s_or_b64 exec, exec, s[22:23]
.LBB406_133:
	s_or_b64 exec, exec, s[20:21]
.LBB406_134:
	s_or_b64 exec, exec, s[10:11]
	v_mov_b32_e32 v34, v31
	v_cmp_ne_u16_sdwa s[2:3], v31, v35 src0_sel:BYTE_0 src1_sel:DWORD
	s_and_saveexec_b64 s[10:11], s[2:3]
	s_cbranch_execz .LBB406_140
; %bb.135:
	s_movk_i32 s2, 0x80
	v_cmp_ne_u16_sdwa s[2:3], v31, s2 src0_sel:BYTE_0 src1_sel:DWORD
	v_bfrev_b32_e32 v36, 1
	s_and_saveexec_b64 s[20:21], s[2:3]
	s_cbranch_execz .LBB406_139
; %bb.136:
	s_movk_i32 s2, 0x7f
	v_and_b32_e32 v41, 0x7f, v31
	v_cmp_ne_u32_e64 s[2:3], s2, v41
	v_mov_b32_e32 v36, 0x7f800001
	s_and_saveexec_b64 s[22:23], s[2:3]
	s_cbranch_execz .LBB406_138
; %bb.137:
	v_and_b32_e32 v36, 7, v31
	v_ffbh_u32_e32 v36, v36
	v_min_u32_e32 v36, 32, v36
	v_subrev_u32_e32 v46, 28, v36
	v_cmp_gt_u32_e64 s[2:3], 8, v41
	v_lshrrev_b32_e32 v45, 3, v41
	v_cndmask_b32_e64 v41, 0, v46, s[2:3]
	v_sub_u32_e32 v36, 29, v36
	v_lshlrev_b64 v[46:47], v41, v[34:35]
	v_cndmask_b32_e64 v36, v45, v36, s[2:3]
	v_lshlrev_b32_e32 v35, 20, v46
	v_lshlrev_b32_e32 v41, 24, v34
	v_bfrev_b32_e32 v45, 60
	v_and_b32_e32 v35, 0x700000, v35
	v_and_b32_e32 v41, 0x80000000, v41
	v_lshl_add_u32 v36, v36, 23, v45
	v_or3_b32 v36, v41, v36, v35
.LBB406_138:
	s_or_b64 exec, exec, s[22:23]
.LBB406_139:
	s_or_b64 exec, exec, s[20:21]
	v_mov_b32_e32 v35, v36
.LBB406_140:
	s_or_b64 exec, exec, s[10:11]
	v_lshrrev_b16_e32 v36, 8, v34
	v_cmp_ne_u16_e64 s[2:3], 0, v36
	v_mov_b32_e32 v41, 0
	v_mov_b32_e32 v45, 0
	s_and_saveexec_b64 s[10:11], s[2:3]
	s_cbranch_execz .LBB406_146
; %bb.141:
	s_movk_i32 s2, 0x80
	v_cmp_ne_u16_e64 s[2:3], s2, v36
	v_bfrev_b32_e32 v45, 1
	s_and_saveexec_b64 s[20:21], s[2:3]
	s_cbranch_execz .LBB406_145
; %bb.142:
	s_movk_i32 s2, 0x7f
	v_and_b32_e32 v46, 0x7f, v36
	v_cmp_ne_u32_e64 s[2:3], s2, v46
	v_mov_b32_e32 v45, 0x7f800001
	s_and_saveexec_b64 s[22:23], s[2:3]
	s_cbranch_execz .LBB406_144
; %bb.143:
	v_and_b32_e32 v45, 7, v36
	v_ffbh_u32_e32 v48, v45
	v_min_u32_e32 v50, 32, v48
	v_subrev_u32_e32 v48, 28, v50
	v_lshlrev_b64 v[48:49], v48, v[36:37]
	v_lshrrev_b32_e32 v47, 3, v46
	v_sub_u32_e32 v36, 29, v50
	v_and_b32_e32 v48, 7, v48
	v_cmp_gt_u32_e64 s[2:3], 8, v46
	v_cndmask_b32_e64 v36, v47, v36, s[2:3]
	v_cndmask_b32_e64 v45, v45, v48, s[2:3]
	v_lshlrev_b32_e32 v34, 16, v34
	v_bfrev_b32_e32 v46, 60
	v_lshlrev_b32_e32 v45, 20, v45
	v_and_b32_e32 v34, 0x80000000, v34
	v_lshl_add_u32 v36, v36, 23, v46
	v_or3_b32 v45, v34, v36, v45
.LBB406_144:
	s_or_b64 exec, exec, s[22:23]
.LBB406_145:
	s_or_b64 exec, exec, s[20:21]
.LBB406_146:
	s_or_b64 exec, exec, s[10:11]
	s_movk_i32 s2, 0xff
	v_and_b32_sdwa v36, v31, s2 dst_sel:DWORD dst_unused:UNUSED_PAD src0_sel:WORD_1 src1_sel:DWORD
	v_lshrrev_b32_e32 v34, 16, v31
	v_cmp_ne_u16_e64 s[2:3], 0, v36
	s_and_saveexec_b64 s[10:11], s[2:3]
	s_cbranch_execz .LBB406_152
; %bb.147:
	s_movk_i32 s2, 0x80
	v_cmp_ne_u16_e64 s[2:3], s2, v36
	v_bfrev_b32_e32 v41, 1
	s_and_saveexec_b64 s[20:21], s[2:3]
	s_cbranch_execz .LBB406_151
; %bb.148:
	v_bfe_u32 v36, v31, 16, 7
	s_movk_i32 s2, 0x7f
	v_cmp_ne_u32_e64 s[2:3], s2, v36
	v_mov_b32_e32 v41, 0x7f800001
	s_and_saveexec_b64 s[22:23], s[2:3]
	s_cbranch_execz .LBB406_150
; %bb.149:
	v_and_b32_e32 v41, 7, v34
	v_ffbh_u32_e32 v46, v41
	v_min_u32_e32 v49, 32, v46
	v_subrev_u32_e32 v46, 28, v49
	v_lshlrev_b64 v[46:47], v46, v[34:35]
	v_and_b32_e32 v46, 7, v46
	v_cmp_gt_u32_e64 s[2:3], 8, v36
	v_lshrrev_b32_e32 v48, 3, v36
	v_sub_u32_e32 v34, 29, v49
	v_cndmask_b32_e64 v36, v41, v46, s[2:3]
	v_mov_b32_e32 v41, 24
	v_cndmask_b32_e64 v34, v48, v34, s[2:3]
	v_lshlrev_b32_sdwa v41, v41, v31 dst_sel:DWORD dst_unused:UNUSED_PAD src0_sel:DWORD src1_sel:WORD_1
	v_bfrev_b32_e32 v46, 60
	v_lshlrev_b32_e32 v36, 20, v36
	v_and_b32_e32 v41, 0x80000000, v41
	v_lshl_add_u32 v34, v34, 23, v46
	v_or3_b32 v41, v41, v34, v36
.LBB406_150:
	s_or_b64 exec, exec, s[22:23]
.LBB406_151:
	s_or_b64 exec, exec, s[20:21]
.LBB406_152:
	s_or_b64 exec, exec, s[10:11]
	s_mov_b32 s2, -1
	s_mov_b32 s3, 0xffffff
	v_cmp_lt_u64_e64 s[2:3], s[2:3], v[30:31]
	v_mov_b32_e32 v36, 0
	v_mov_b32_e32 v34, 0
	s_and_saveexec_b64 s[10:11], s[2:3]
	s_cbranch_execz .LBB406_158
; %bb.153:
	v_lshrrev_b32_e32 v30, 24, v31
	s_movk_i32 s2, 0x80
	v_cmp_ne_u32_e64 s[2:3], s2, v30
	v_bfrev_b32_e32 v34, 1
	s_and_saveexec_b64 s[20:21], s[2:3]
	s_cbranch_execz .LBB406_157
; %bb.154:
	v_bfe_u32 v31, v31, 24, 7
	s_movk_i32 s2, 0x7f
	v_cmp_ne_u32_e64 s[2:3], s2, v31
	v_mov_b32_e32 v34, 0x7f800001
	s_and_saveexec_b64 s[22:23], s[2:3]
	s_cbranch_execz .LBB406_156
; %bb.155:
	v_and_b32_e32 v34, 7, v30
	v_ffbh_u32_e32 v46, v34
	v_min_u32_e32 v49, 32, v46
	v_subrev_u32_e32 v46, 28, v49
	v_lshlrev_b64 v[46:47], v46, v[30:31]
	v_lshrrev_b32_e32 v48, 3, v31
	v_sub_u32_e32 v47, 29, v49
	v_and_b32_e32 v46, 7, v46
	v_cmp_gt_u32_e64 s[2:3], 8, v31
	v_cndmask_b32_e64 v31, v48, v47, s[2:3]
	v_cndmask_b32_e64 v34, v34, v46, s[2:3]
	v_lshlrev_b32_e32 v30, 24, v30
	v_bfrev_b32_e32 v46, 60
	v_lshlrev_b32_e32 v34, 20, v34
	v_and_b32_e32 v30, 0x80000000, v30
	v_lshl_add_u32 v31, v31, 23, v46
	v_or3_b32 v34, v30, v31, v34
.LBB406_156:
	s_or_b64 exec, exec, s[22:23]
.LBB406_157:
	s_or_b64 exec, exec, s[20:21]
.LBB406_158:
	s_or_b64 exec, exec, s[10:11]
	v_cvt_pkrtz_f16_f32 v30, v38, v39
	v_cvt_pkrtz_f16_f32 v31, v37, v40
	;; [unrolled: 1-line block ×4, first 2 shown]
	v_mfma_f32_4x4x4f16 a[0:3], v[18:19], v[30:31], a[0:3] cbsz:4 abid:2
	v_cmp_ne_u16_sdwa s[2:3], v32, v36 src0_sel:BYTE_0 src1_sel:DWORD
	v_mfma_f32_4x4x4f16 a[0:3], v[20:21], v[38:39], a[0:3] cbsz:4 abid:2
	s_and_saveexec_b64 s[10:11], s[2:3]
	s_cbranch_execz .LBB406_164
; %bb.159:
	s_movk_i32 s2, 0x80
	v_cmp_ne_u16_sdwa s[2:3], v32, s2 src0_sel:BYTE_0 src1_sel:DWORD
	v_bfrev_b32_e32 v36, 1
	s_and_saveexec_b64 s[20:21], s[2:3]
	s_cbranch_execz .LBB406_163
; %bb.160:
	s_movk_i32 s2, 0x7f
	v_and_b32_e32 v30, 0x7f, v32
	v_cmp_ne_u32_e64 s[2:3], s2, v30
	v_mov_b32_e32 v36, 0x7f800001
	s_and_saveexec_b64 s[22:23], s[2:3]
	s_cbranch_execz .LBB406_162
; %bb.161:
	v_and_b32_e32 v31, 7, v32
	v_ffbh_u32_e32 v31, v31
	v_min_u32_e32 v31, 32, v31
	v_subrev_u32_e32 v35, 28, v31
	v_cmp_gt_u32_e64 s[2:3], 8, v30
	v_lshrrev_b32_e32 v34, 3, v30
	v_sub_u32_e32 v31, 29, v31
	v_cndmask_b32_e64 v30, 0, v35, s[2:3]
	v_cndmask_b32_e64 v34, v34, v31, s[2:3]
	v_lshlrev_b64 v[30:31], v30, v[32:33]
	v_lshlrev_b32_e32 v30, 20, v30
	v_lshlrev_b32_e32 v31, 24, v32
	v_bfrev_b32_e32 v35, 60
	v_and_b32_e32 v30, 0x700000, v30
	v_and_b32_e32 v31, 0x80000000, v31
	v_lshl_add_u32 v34, v34, 23, v35
	v_or3_b32 v36, v31, v34, v30
.LBB406_162:
	s_or_b64 exec, exec, s[22:23]
.LBB406_163:
	s_or_b64 exec, exec, s[20:21]
.LBB406_164:
	s_or_b64 exec, exec, s[10:11]
	v_lshrrev_b16_e32 v30, 8, v32
	v_cmp_ne_u16_e64 s[2:3], 0, v30
	v_mov_b32_e32 v35, 0
	v_mov_b32_e32 v37, 0
	s_and_saveexec_b64 s[10:11], s[2:3]
	s_cbranch_execz .LBB406_170
; %bb.165:
	s_movk_i32 s2, 0x80
	v_cmp_ne_u16_e64 s[2:3], s2, v30
	v_bfrev_b32_e32 v37, 1
	s_and_saveexec_b64 s[20:21], s[2:3]
	s_cbranch_execz .LBB406_169
; %bb.166:
	s_movk_i32 s2, 0x7f
	v_and_b32_e32 v31, 0x7f, v30
	v_cmp_ne_u32_e64 s[2:3], s2, v31
	v_mov_b32_e32 v37, 0x7f800001
	s_and_saveexec_b64 s[22:23], s[2:3]
	s_cbranch_execz .LBB406_168
; %bb.167:
	v_and_b32_e32 v34, 7, v30
	v_ffbh_u32_e32 v38, v34
	v_min_u32_e32 v40, 32, v38
	v_subrev_u32_e32 v38, 28, v40
	v_lshlrev_b64 v[38:39], v38, v[30:31]
	v_lshrrev_b32_e32 v37, 3, v31
	v_sub_u32_e32 v30, 29, v40
	v_and_b32_e32 v38, 7, v38
	v_cmp_gt_u32_e64 s[2:3], 8, v31
	v_cndmask_b32_e64 v30, v37, v30, s[2:3]
	v_cndmask_b32_e64 v31, v34, v38, s[2:3]
	v_lshlrev_b32_e32 v34, 16, v32
	v_bfrev_b32_e32 v37, 60
	v_lshlrev_b32_e32 v31, 20, v31
	v_and_b32_e32 v34, 0x80000000, v34
	v_lshl_add_u32 v30, v30, 23, v37
	v_or3_b32 v37, v34, v30, v31
.LBB406_168:
	s_or_b64 exec, exec, s[22:23]
.LBB406_169:
	s_or_b64 exec, exec, s[20:21]
.LBB406_170:
	s_or_b64 exec, exec, s[10:11]
	s_movk_i32 s2, 0xff
	v_and_b32_sdwa v31, v32, s2 dst_sel:DWORD dst_unused:UNUSED_PAD src0_sel:WORD_1 src1_sel:DWORD
	v_lshrrev_b32_e32 v30, 16, v32
	v_cmp_ne_u16_e64 s[2:3], 0, v31
	s_and_saveexec_b64 s[10:11], s[2:3]
	s_cbranch_execz .LBB406_176
; %bb.171:
	s_movk_i32 s2, 0x80
	v_cmp_ne_u16_e64 s[2:3], s2, v31
	v_bfrev_b32_e32 v35, 1
	s_and_saveexec_b64 s[20:21], s[2:3]
	s_cbranch_execz .LBB406_175
; %bb.172:
	v_bfe_u32 v31, v32, 16, 7
	s_movk_i32 s2, 0x7f
	v_cmp_ne_u32_e64 s[2:3], s2, v31
	v_mov_b32_e32 v35, 0x7f800001
	s_and_saveexec_b64 s[22:23], s[2:3]
	s_cbranch_execz .LBB406_174
; %bb.173:
	v_and_b32_e32 v38, 7, v30
	v_ffbh_u32_e32 v34, v38
	v_min_u32_e32 v40, 32, v34
	v_subrev_u32_e32 v34, 28, v40
	v_lshlrev_b64 v[34:35], v34, v[30:31]
	v_and_b32_e32 v34, 7, v34
	v_cmp_gt_u32_e64 s[2:3], 8, v31
	v_lshrrev_b32_e32 v39, 3, v31
	v_sub_u32_e32 v30, 29, v40
	v_cndmask_b32_e64 v31, v38, v34, s[2:3]
	v_mov_b32_e32 v34, 24
	v_cndmask_b32_e64 v30, v39, v30, s[2:3]
	v_lshlrev_b32_sdwa v34, v34, v32 dst_sel:DWORD dst_unused:UNUSED_PAD src0_sel:DWORD src1_sel:WORD_1
	v_bfrev_b32_e32 v35, 60
	v_lshlrev_b32_e32 v31, 20, v31
	v_and_b32_e32 v34, 0x80000000, v34
	v_lshl_add_u32 v30, v30, 23, v35
	v_or3_b32 v35, v34, v30, v31
.LBB406_174:
	s_or_b64 exec, exec, s[22:23]
.LBB406_175:
	s_or_b64 exec, exec, s[20:21]
.LBB406_176:
	s_or_b64 exec, exec, s[10:11]
	s_mov_b32 s2, 0xffffff
	v_cmp_lt_u32_e64 s[2:3], s2, v32
	v_mov_b32_e32 v31, 0
	v_mov_b32_e32 v38, 0
	s_and_saveexec_b64 s[10:11], s[2:3]
	s_cbranch_execz .LBB406_182
; %bb.177:
	v_lshrrev_b32_e32 v30, 24, v32
	s_movk_i32 s2, 0x80
	v_cmp_ne_u32_e64 s[2:3], s2, v30
	v_bfrev_b32_e32 v38, 1
	s_and_saveexec_b64 s[20:21], s[2:3]
	s_cbranch_execz .LBB406_181
; %bb.178:
	v_bfe_u32 v34, v32, 24, 7
	s_movk_i32 s2, 0x7f
	v_cmp_ne_u32_e64 s[2:3], s2, v34
	v_mov_b32_e32 v38, 0x7f800001
	s_and_saveexec_b64 s[22:23], s[2:3]
	s_cbranch_execz .LBB406_180
; %bb.179:
	v_and_b32_e32 v40, 7, v30
	v_ffbh_u32_e32 v38, v40
	v_min_u32_e32 v45, 32, v38
	v_subrev_u32_e32 v38, 28, v45
	v_lshlrev_b64 v[38:39], v38, v[30:31]
	v_lshrrev_b32_e32 v41, 3, v34
	v_sub_u32_e32 v39, 29, v45
	v_and_b32_e32 v38, 7, v38
	v_cmp_gt_u32_e64 s[2:3], 8, v34
	v_cndmask_b32_e64 v34, v41, v39, s[2:3]
	v_cndmask_b32_e64 v38, v40, v38, s[2:3]
	v_lshlrev_b32_e32 v30, 24, v30
	v_bfrev_b32_e32 v39, 60
	v_lshlrev_b32_e32 v38, 20, v38
	v_and_b32_e32 v30, 0x80000000, v30
	v_lshl_add_u32 v34, v34, 23, v39
	v_or3_b32 v38, v30, v34, v38
.LBB406_180:
	s_or_b64 exec, exec, s[22:23]
.LBB406_181:
	s_or_b64 exec, exec, s[20:21]
.LBB406_182:
	s_or_b64 exec, exec, s[10:11]
	v_mov_b32_e32 v30, v33
	v_cmp_ne_u16_sdwa s[2:3], v33, v31 src0_sel:BYTE_0 src1_sel:DWORD
	s_and_saveexec_b64 s[10:11], s[2:3]
	s_cbranch_execz .LBB406_188
; %bb.183:
	s_movk_i32 s2, 0x80
	v_cmp_ne_u16_sdwa s[2:3], v33, s2 src0_sel:BYTE_0 src1_sel:DWORD
	v_bfrev_b32_e32 v34, 1
	s_and_saveexec_b64 s[20:21], s[2:3]
	s_cbranch_execz .LBB406_187
; %bb.184:
	s_movk_i32 s2, 0x7f
	v_and_b32_e32 v39, 0x7f, v33
	v_cmp_ne_u32_e64 s[2:3], s2, v39
	v_mov_b32_e32 v34, 0x7f800001
	s_and_saveexec_b64 s[22:23], s[2:3]
	s_cbranch_execz .LBB406_186
; %bb.185:
	v_and_b32_e32 v34, 7, v33
	v_ffbh_u32_e32 v34, v34
	v_min_u32_e32 v34, 32, v34
	v_subrev_u32_e32 v41, 28, v34
	v_cmp_gt_u32_e64 s[2:3], 8, v39
	v_lshrrev_b32_e32 v40, 3, v39
	v_sub_u32_e32 v34, 29, v34
	v_cndmask_b32_e64 v39, 0, v41, s[2:3]
	v_cndmask_b32_e64 v34, v40, v34, s[2:3]
	v_lshlrev_b64 v[40:41], v39, v[30:31]
	v_lshlrev_b32_e32 v31, 20, v40
	v_lshlrev_b32_e32 v39, 24, v30
	v_bfrev_b32_e32 v40, 60
	v_and_b32_e32 v31, 0x700000, v31
	v_and_b32_e32 v39, 0x80000000, v39
	v_lshl_add_u32 v34, v34, 23, v40
	v_or3_b32 v34, v39, v34, v31
.LBB406_186:
	s_or_b64 exec, exec, s[22:23]
.LBB406_187:
	s_or_b64 exec, exec, s[20:21]
	v_mov_b32_e32 v31, v34
.LBB406_188:
	s_or_b64 exec, exec, s[10:11]
	v_lshrrev_b16_e32 v34, 8, v30
	v_cmp_ne_u16_e64 s[2:3], 0, v34
	v_mov_b32_e32 v39, 0
	v_mov_b32_e32 v40, 0
	s_and_saveexec_b64 s[10:11], s[2:3]
	s_cbranch_execz .LBB406_194
; %bb.189:
	s_movk_i32 s2, 0x80
	v_cmp_ne_u16_e64 s[2:3], s2, v34
	v_bfrev_b32_e32 v40, 1
	s_and_saveexec_b64 s[20:21], s[2:3]
	s_cbranch_execz .LBB406_193
; %bb.190:
	s_movk_i32 s2, 0x7f
	v_and_b32_e32 v41, 0x7f, v34
	v_cmp_ne_u32_e64 s[2:3], s2, v41
	v_mov_b32_e32 v40, 0x7f800001
	s_and_saveexec_b64 s[22:23], s[2:3]
	s_cbranch_execz .LBB406_192
; %bb.191:
	v_and_b32_e32 v40, 7, v34
	v_ffbh_u32_e32 v46, v40
	v_min_u32_e32 v48, 32, v46
	v_subrev_u32_e32 v46, 28, v48
	v_lshlrev_b64 v[46:47], v46, v[34:35]
	v_lshrrev_b32_e32 v45, 3, v41
	v_sub_u32_e32 v34, 29, v48
	v_and_b32_e32 v46, 7, v46
	v_cmp_gt_u32_e64 s[2:3], 8, v41
	v_cndmask_b32_e64 v34, v45, v34, s[2:3]
	v_cndmask_b32_e64 v40, v40, v46, s[2:3]
	v_lshlrev_b32_e32 v30, 16, v30
	v_bfrev_b32_e32 v41, 60
	v_lshlrev_b32_e32 v40, 20, v40
	v_and_b32_e32 v30, 0x80000000, v30
	v_lshl_add_u32 v34, v34, 23, v41
	v_or3_b32 v40, v30, v34, v40
.LBB406_192:
	s_or_b64 exec, exec, s[22:23]
.LBB406_193:
	s_or_b64 exec, exec, s[20:21]
.LBB406_194:
	s_or_b64 exec, exec, s[10:11]
	s_movk_i32 s2, 0xff
	v_and_b32_sdwa v34, v33, s2 dst_sel:DWORD dst_unused:UNUSED_PAD src0_sel:WORD_1 src1_sel:DWORD
	v_lshrrev_b32_e32 v30, 16, v33
	v_cmp_ne_u16_e64 s[2:3], 0, v34
	s_and_saveexec_b64 s[10:11], s[2:3]
	s_cbranch_execz .LBB406_200
; %bb.195:
	s_movk_i32 s2, 0x80
	v_cmp_ne_u16_e64 s[2:3], s2, v34
	v_bfrev_b32_e32 v39, 1
	s_and_saveexec_b64 s[20:21], s[2:3]
	s_cbranch_execz .LBB406_199
; %bb.196:
	v_bfe_u32 v34, v33, 16, 7
	s_movk_i32 s2, 0x7f
	v_cmp_ne_u32_e64 s[2:3], s2, v34
	v_mov_b32_e32 v39, 0x7f800001
	s_and_saveexec_b64 s[22:23], s[2:3]
	s_cbranch_execz .LBB406_198
; %bb.197:
	v_and_b32_e32 v39, 7, v30
	v_ffbh_u32_e32 v45, v39
	v_min_u32_e32 v45, 32, v45
	v_subrev_u32_e32 v46, 28, v45
	v_lshlrev_b64 v[46:47], v46, v[30:31]
	v_sub_u32_e32 v30, 29, v45
	v_and_b32_e32 v45, 7, v46
	v_cmp_gt_u32_e64 s[2:3], 8, v34
	v_lshrrev_b32_e32 v41, 3, v34
	v_cndmask_b32_e64 v34, v39, v45, s[2:3]
	v_mov_b32_e32 v39, 24
	v_cndmask_b32_e64 v30, v41, v30, s[2:3]
	v_lshlrev_b32_sdwa v39, v39, v33 dst_sel:DWORD dst_unused:UNUSED_PAD src0_sel:DWORD src1_sel:WORD_1
	v_bfrev_b32_e32 v41, 60
	v_lshlrev_b32_e32 v34, 20, v34
	v_and_b32_e32 v39, 0x80000000, v39
	v_lshl_add_u32 v30, v30, 23, v41
	v_or3_b32 v39, v39, v30, v34
.LBB406_198:
	s_or_b64 exec, exec, s[22:23]
.LBB406_199:
	s_or_b64 exec, exec, s[20:21]
.LBB406_200:
	s_or_b64 exec, exec, s[10:11]
	s_mov_b32 s2, -1
	s_mov_b32 s3, 0xffffff
	v_cmp_lt_u64_e64 s[2:3], s[2:3], v[32:33]
	v_mov_b32_e32 v34, 0
	v_mov_b32_e32 v32, 0
	s_and_saveexec_b64 s[10:11], s[2:3]
	s_cbranch_execz .LBB406_206
; %bb.201:
	v_lshrrev_b32_e32 v30, 24, v33
	s_movk_i32 s2, 0x80
	v_cmp_ne_u32_e64 s[2:3], s2, v30
	v_bfrev_b32_e32 v32, 1
	s_and_saveexec_b64 s[20:21], s[2:3]
	s_cbranch_execz .LBB406_205
; %bb.202:
	v_bfe_u32 v33, v33, 24, 7
	s_movk_i32 s2, 0x7f
	v_cmp_ne_u32_e64 s[2:3], s2, v33
	v_mov_b32_e32 v32, 0x7f800001
	s_and_saveexec_b64 s[22:23], s[2:3]
	s_cbranch_execz .LBB406_204
; %bb.203:
	v_and_b32_e32 v32, 7, v30
	v_ffbh_u32_e32 v45, v32
	v_min_u32_e32 v45, 32, v45
	v_subrev_u32_e32 v46, 28, v45
	v_lshlrev_b64 v[46:47], v46, v[30:31]
	v_lshrrev_b32_e32 v41, 3, v33
	v_sub_u32_e32 v45, 29, v45
	v_and_b32_e32 v46, 7, v46
	v_cmp_gt_u32_e64 s[2:3], 8, v33
	v_cndmask_b32_e64 v33, v41, v45, s[2:3]
	v_cndmask_b32_e64 v32, v32, v46, s[2:3]
	v_lshlrev_b32_e32 v30, 24, v30
	v_bfrev_b32_e32 v41, 60
	v_lshlrev_b32_e32 v32, 20, v32
	v_and_b32_e32 v30, 0x80000000, v30
	v_lshl_add_u32 v33, v33, 23, v41
	v_or3_b32 v32, v30, v33, v32
.LBB406_204:
	s_or_b64 exec, exec, s[22:23]
.LBB406_205:
	s_or_b64 exec, exec, s[20:21]
.LBB406_206:
	s_or_b64 exec, exec, s[10:11]
	v_cvt_pkrtz_f16_f32 v36, v36, v37
	v_cvt_pkrtz_f16_f32 v37, v35, v38
	;; [unrolled: 1-line block ×4, first 2 shown]
	v_mfma_f32_4x4x4f16 a[0:3], v[18:19], v[36:37], a[0:3] cbsz:4 abid:3
	s_waitcnt vmcnt(5)
	v_cmp_ne_u16_sdwa s[2:3], v26, v34 src0_sel:BYTE_0 src1_sel:DWORD
	v_mfma_f32_4x4x4f16 a[0:3], v[20:21], v[30:31], a[0:3] cbsz:4 abid:3
	s_and_saveexec_b64 s[10:11], s[2:3]
	s_cbranch_execz .LBB406_212
; %bb.207:
	s_movk_i32 s2, 0x80
	v_cmp_ne_u16_sdwa s[2:3], v26, s2 src0_sel:BYTE_0 src1_sel:DWORD
	v_bfrev_b32_e32 v34, 1
	s_and_saveexec_b64 s[20:21], s[2:3]
	s_cbranch_execz .LBB406_211
; %bb.208:
	s_movk_i32 s2, 0x7f
	v_and_b32_e32 v30, 0x7f, v26
	v_cmp_ne_u32_e64 s[2:3], s2, v30
	v_mov_b32_e32 v34, 0x7f800001
	s_and_saveexec_b64 s[22:23], s[2:3]
	s_cbranch_execz .LBB406_210
; %bb.209:
	v_and_b32_e32 v31, 7, v26
	v_ffbh_u32_e32 v31, v31
	v_min_u32_e32 v31, 32, v31
	v_subrev_u32_e32 v33, 28, v31
	v_cmp_gt_u32_e64 s[2:3], 8, v30
	v_lshrrev_b32_e32 v32, 3, v30
	v_sub_u32_e32 v31, 29, v31
	v_cndmask_b32_e64 v30, 0, v33, s[2:3]
	v_cndmask_b32_e64 v32, v32, v31, s[2:3]
	v_lshlrev_b64 v[30:31], v30, v[26:27]
	v_lshlrev_b32_e32 v30, 20, v30
	v_lshlrev_b32_e32 v31, 24, v26
	v_bfrev_b32_e32 v33, 60
	v_and_b32_e32 v30, 0x700000, v30
	v_and_b32_e32 v31, 0x80000000, v31
	v_lshl_add_u32 v32, v32, 23, v33
	v_or3_b32 v34, v31, v32, v30
.LBB406_210:
	s_or_b64 exec, exec, s[22:23]
.LBB406_211:
	s_or_b64 exec, exec, s[20:21]
.LBB406_212:
	s_or_b64 exec, exec, s[10:11]
	v_lshrrev_b16_e32 v30, 8, v26
	v_cmp_ne_u16_e64 s[2:3], 0, v30
	v_mov_b32_e32 v33, 0
	v_mov_b32_e32 v35, 0
	s_and_saveexec_b64 s[10:11], s[2:3]
	s_cbranch_execz .LBB406_218
; %bb.213:
	s_movk_i32 s2, 0x80
	v_cmp_ne_u16_e64 s[2:3], s2, v30
	v_bfrev_b32_e32 v35, 1
	s_and_saveexec_b64 s[20:21], s[2:3]
	s_cbranch_execz .LBB406_217
; %bb.214:
	s_movk_i32 s2, 0x7f
	v_and_b32_e32 v31, 0x7f, v30
	v_cmp_ne_u32_e64 s[2:3], s2, v31
	v_mov_b32_e32 v35, 0x7f800001
	s_and_saveexec_b64 s[22:23], s[2:3]
	s_cbranch_execz .LBB406_216
; %bb.215:
	v_and_b32_e32 v32, 7, v30
	v_ffbh_u32_e32 v36, v32
	v_min_u32_e32 v38, 32, v36
	v_subrev_u32_e32 v36, 28, v38
	v_lshlrev_b64 v[36:37], v36, v[30:31]
	v_lshrrev_b32_e32 v35, 3, v31
	v_sub_u32_e32 v30, 29, v38
	v_and_b32_e32 v36, 7, v36
	v_cmp_gt_u32_e64 s[2:3], 8, v31
	v_cndmask_b32_e64 v30, v35, v30, s[2:3]
	v_cndmask_b32_e64 v31, v32, v36, s[2:3]
	v_lshlrev_b32_e32 v32, 16, v26
	v_bfrev_b32_e32 v35, 60
	v_lshlrev_b32_e32 v31, 20, v31
	v_and_b32_e32 v32, 0x80000000, v32
	v_lshl_add_u32 v30, v30, 23, v35
	v_or3_b32 v35, v32, v30, v31
.LBB406_216:
	s_or_b64 exec, exec, s[22:23]
.LBB406_217:
	s_or_b64 exec, exec, s[20:21]
.LBB406_218:
	s_or_b64 exec, exec, s[10:11]
	s_movk_i32 s2, 0xff
	v_and_b32_sdwa v31, v26, s2 dst_sel:DWORD dst_unused:UNUSED_PAD src0_sel:WORD_1 src1_sel:DWORD
	v_lshrrev_b32_e32 v30, 16, v26
	v_cmp_ne_u16_e64 s[2:3], 0, v31
	s_and_saveexec_b64 s[10:11], s[2:3]
	s_cbranch_execz .LBB406_224
; %bb.219:
	s_movk_i32 s2, 0x80
	v_cmp_ne_u16_e64 s[2:3], s2, v31
	v_bfrev_b32_e32 v33, 1
	s_and_saveexec_b64 s[20:21], s[2:3]
	s_cbranch_execz .LBB406_223
; %bb.220:
	v_bfe_u32 v31, v26, 16, 7
	s_movk_i32 s2, 0x7f
	v_cmp_ne_u32_e64 s[2:3], s2, v31
	v_mov_b32_e32 v33, 0x7f800001
	s_and_saveexec_b64 s[22:23], s[2:3]
	s_cbranch_execz .LBB406_222
; %bb.221:
	v_and_b32_e32 v36, 7, v30
	v_ffbh_u32_e32 v32, v36
	v_min_u32_e32 v38, 32, v32
	v_subrev_u32_e32 v32, 28, v38
	v_lshlrev_b64 v[32:33], v32, v[30:31]
	v_and_b32_e32 v32, 7, v32
	v_cmp_gt_u32_e64 s[2:3], 8, v31
	v_lshrrev_b32_e32 v37, 3, v31
	v_sub_u32_e32 v30, 29, v38
	v_cndmask_b32_e64 v31, v36, v32, s[2:3]
	v_mov_b32_e32 v32, 24
	v_cndmask_b32_e64 v30, v37, v30, s[2:3]
	v_lshlrev_b32_sdwa v32, v32, v26 dst_sel:DWORD dst_unused:UNUSED_PAD src0_sel:DWORD src1_sel:WORD_1
	v_bfrev_b32_e32 v33, 60
	v_lshlrev_b32_e32 v31, 20, v31
	v_and_b32_e32 v32, 0x80000000, v32
	v_lshl_add_u32 v30, v30, 23, v33
	v_or3_b32 v33, v32, v30, v31
.LBB406_222:
	s_or_b64 exec, exec, s[22:23]
.LBB406_223:
	s_or_b64 exec, exec, s[20:21]
.LBB406_224:
	s_or_b64 exec, exec, s[10:11]
	s_mov_b32 s2, 0xffffff
	v_cmp_lt_u32_e64 s[2:3], s2, v26
	v_mov_b32_e32 v31, 0
	v_mov_b32_e32 v36, 0
	s_and_saveexec_b64 s[10:11], s[2:3]
	s_cbranch_execz .LBB406_230
; %bb.225:
	v_lshrrev_b32_e32 v30, 24, v26
	s_movk_i32 s2, 0x80
	v_cmp_ne_u32_e64 s[2:3], s2, v30
	v_bfrev_b32_e32 v36, 1
	s_and_saveexec_b64 s[20:21], s[2:3]
	s_cbranch_execz .LBB406_229
; %bb.226:
	v_bfe_u32 v32, v26, 24, 7
	s_movk_i32 s2, 0x7f
	v_cmp_ne_u32_e64 s[2:3], s2, v32
	v_mov_b32_e32 v36, 0x7f800001
	s_and_saveexec_b64 s[22:23], s[2:3]
	s_cbranch_execz .LBB406_228
; %bb.227:
	v_and_b32_e32 v38, 7, v30
	v_ffbh_u32_e32 v36, v38
	v_min_u32_e32 v40, 32, v36
	v_subrev_u32_e32 v36, 28, v40
	v_lshlrev_b64 v[36:37], v36, v[30:31]
	v_lshrrev_b32_e32 v39, 3, v32
	v_sub_u32_e32 v37, 29, v40
	v_and_b32_e32 v36, 7, v36
	v_cmp_gt_u32_e64 s[2:3], 8, v32
	v_cndmask_b32_e64 v32, v39, v37, s[2:3]
	v_cndmask_b32_e64 v36, v38, v36, s[2:3]
	v_lshlrev_b32_e32 v30, 24, v30
	v_bfrev_b32_e32 v37, 60
	v_lshlrev_b32_e32 v36, 20, v36
	v_and_b32_e32 v30, 0x80000000, v30
	v_lshl_add_u32 v32, v32, 23, v37
	v_or3_b32 v36, v30, v32, v36
.LBB406_228:
	s_or_b64 exec, exec, s[22:23]
.LBB406_229:
	s_or_b64 exec, exec, s[20:21]
.LBB406_230:
	s_or_b64 exec, exec, s[10:11]
	v_mov_b32_e32 v30, v27
	v_cmp_ne_u16_sdwa s[2:3], v27, v31 src0_sel:BYTE_0 src1_sel:DWORD
	s_and_saveexec_b64 s[10:11], s[2:3]
	s_cbranch_execz .LBB406_236
; %bb.231:
	s_movk_i32 s2, 0x80
	v_cmp_ne_u16_sdwa s[2:3], v27, s2 src0_sel:BYTE_0 src1_sel:DWORD
	v_bfrev_b32_e32 v32, 1
	s_and_saveexec_b64 s[20:21], s[2:3]
	s_cbranch_execz .LBB406_235
; %bb.232:
	s_movk_i32 s2, 0x7f
	v_and_b32_e32 v37, 0x7f, v27
	v_cmp_ne_u32_e64 s[2:3], s2, v37
	v_mov_b32_e32 v32, 0x7f800001
	s_and_saveexec_b64 s[22:23], s[2:3]
	s_cbranch_execz .LBB406_234
; %bb.233:
	v_and_b32_e32 v32, 7, v27
	v_ffbh_u32_e32 v32, v32
	v_min_u32_e32 v32, 32, v32
	v_subrev_u32_e32 v39, 28, v32
	v_cmp_gt_u32_e64 s[2:3], 8, v37
	v_lshrrev_b32_e32 v38, 3, v37
	v_sub_u32_e32 v32, 29, v32
	v_cndmask_b32_e64 v37, 0, v39, s[2:3]
	v_cndmask_b32_e64 v32, v38, v32, s[2:3]
	v_lshlrev_b64 v[38:39], v37, v[30:31]
	v_lshlrev_b32_e32 v31, 20, v38
	v_lshlrev_b32_e32 v37, 24, v30
	v_bfrev_b32_e32 v38, 60
	v_and_b32_e32 v31, 0x700000, v31
	v_and_b32_e32 v37, 0x80000000, v37
	v_lshl_add_u32 v32, v32, 23, v38
	v_or3_b32 v32, v37, v32, v31
.LBB406_234:
	s_or_b64 exec, exec, s[22:23]
.LBB406_235:
	s_or_b64 exec, exec, s[20:21]
	v_mov_b32_e32 v31, v32
.LBB406_236:
	s_or_b64 exec, exec, s[10:11]
	v_lshrrev_b16_e32 v32, 8, v30
	v_cmp_ne_u16_e64 s[2:3], 0, v32
	v_mov_b32_e32 v37, 0
	v_mov_b32_e32 v38, 0
	s_and_saveexec_b64 s[10:11], s[2:3]
	s_cbranch_execz .LBB406_242
; %bb.237:
	s_movk_i32 s2, 0x80
	v_cmp_ne_u16_e64 s[2:3], s2, v32
	v_bfrev_b32_e32 v38, 1
	s_and_saveexec_b64 s[20:21], s[2:3]
	s_cbranch_execz .LBB406_241
; %bb.238:
	s_movk_i32 s2, 0x7f
	v_and_b32_e32 v39, 0x7f, v32
	v_cmp_ne_u32_e64 s[2:3], s2, v39
	v_mov_b32_e32 v38, 0x7f800001
	s_and_saveexec_b64 s[22:23], s[2:3]
	s_cbranch_execz .LBB406_240
; %bb.239:
	v_and_b32_e32 v38, 7, v32
	v_ffbh_u32_e32 v40, v38
	v_min_u32_e32 v46, 32, v40
	v_subrev_u32_e32 v40, 28, v46
	v_lshlrev_b64 v[40:41], v40, v[32:33]
	v_lshrrev_b32_e32 v45, 3, v39
	v_sub_u32_e32 v32, 29, v46
	v_and_b32_e32 v40, 7, v40
	v_cmp_gt_u32_e64 s[2:3], 8, v39
	v_cndmask_b32_e64 v32, v45, v32, s[2:3]
	v_cndmask_b32_e64 v38, v38, v40, s[2:3]
	v_lshlrev_b32_e32 v30, 16, v30
	v_bfrev_b32_e32 v39, 60
	v_lshlrev_b32_e32 v38, 20, v38
	v_and_b32_e32 v30, 0x80000000, v30
	v_lshl_add_u32 v32, v32, 23, v39
	v_or3_b32 v38, v30, v32, v38
.LBB406_240:
	s_or_b64 exec, exec, s[22:23]
.LBB406_241:
	s_or_b64 exec, exec, s[20:21]
.LBB406_242:
	s_or_b64 exec, exec, s[10:11]
	s_movk_i32 s2, 0xff
	v_and_b32_sdwa v32, v27, s2 dst_sel:DWORD dst_unused:UNUSED_PAD src0_sel:WORD_1 src1_sel:DWORD
	v_lshrrev_b32_e32 v30, 16, v27
	v_cmp_ne_u16_e64 s[2:3], 0, v32
	s_and_saveexec_b64 s[10:11], s[2:3]
	s_cbranch_execz .LBB406_248
; %bb.243:
	s_movk_i32 s2, 0x80
	v_cmp_ne_u16_e64 s[2:3], s2, v32
	v_bfrev_b32_e32 v37, 1
	s_and_saveexec_b64 s[20:21], s[2:3]
	s_cbranch_execz .LBB406_247
; %bb.244:
	v_bfe_u32 v32, v27, 16, 7
	s_movk_i32 s2, 0x7f
	v_cmp_ne_u32_e64 s[2:3], s2, v32
	v_mov_b32_e32 v37, 0x7f800001
	s_and_saveexec_b64 s[22:23], s[2:3]
	s_cbranch_execz .LBB406_246
; %bb.245:
	v_and_b32_e32 v37, 7, v30
	v_ffbh_u32_e32 v40, v37
	v_min_u32_e32 v45, 32, v40
	v_subrev_u32_e32 v40, 28, v45
	v_lshlrev_b64 v[40:41], v40, v[30:31]
	v_and_b32_e32 v40, 7, v40
	v_cmp_gt_u32_e64 s[2:3], 8, v32
	v_lshrrev_b32_e32 v39, 3, v32
	v_sub_u32_e32 v30, 29, v45
	v_cndmask_b32_e64 v32, v37, v40, s[2:3]
	v_mov_b32_e32 v37, 24
	v_cndmask_b32_e64 v30, v39, v30, s[2:3]
	v_lshlrev_b32_sdwa v37, v37, v27 dst_sel:DWORD dst_unused:UNUSED_PAD src0_sel:DWORD src1_sel:WORD_1
	v_bfrev_b32_e32 v39, 60
	v_lshlrev_b32_e32 v32, 20, v32
	v_and_b32_e32 v37, 0x80000000, v37
	v_lshl_add_u32 v30, v30, 23, v39
	v_or3_b32 v37, v37, v30, v32
.LBB406_246:
	s_or_b64 exec, exec, s[22:23]
.LBB406_247:
	s_or_b64 exec, exec, s[20:21]
.LBB406_248:
	s_or_b64 exec, exec, s[10:11]
	s_mov_b32 s2, -1
	s_mov_b32 s3, 0xffffff
	v_cmp_lt_u64_e64 s[2:3], s[2:3], v[26:27]
	v_mov_b32_e32 v32, 0
	v_mov_b32_e32 v30, 0
	s_and_saveexec_b64 s[10:11], s[2:3]
	s_cbranch_execz .LBB406_254
; %bb.249:
	v_lshrrev_b32_e32 v26, 24, v27
	s_movk_i32 s2, 0x80
	v_cmp_ne_u32_e64 s[2:3], s2, v26
	v_bfrev_b32_e32 v30, 1
	s_and_saveexec_b64 s[20:21], s[2:3]
	s_cbranch_execz .LBB406_253
; %bb.250:
	v_bfe_u32 v27, v27, 24, 7
	s_movk_i32 s2, 0x7f
	v_cmp_ne_u32_e64 s[2:3], s2, v27
	v_mov_b32_e32 v30, 0x7f800001
	s_and_saveexec_b64 s[22:23], s[2:3]
	s_cbranch_execz .LBB406_252
; %bb.251:
	v_and_b32_e32 v30, 7, v26
	v_ffbh_u32_e32 v40, v30
	v_min_u32_e32 v45, 32, v40
	v_subrev_u32_e32 v40, 28, v45
	v_lshlrev_b64 v[40:41], v40, v[26:27]
	v_lshrrev_b32_e32 v39, 3, v27
	v_sub_u32_e32 v41, 29, v45
	v_and_b32_e32 v40, 7, v40
	v_cmp_gt_u32_e64 s[2:3], 8, v27
	v_cndmask_b32_e64 v27, v39, v41, s[2:3]
	v_cndmask_b32_e64 v30, v30, v40, s[2:3]
	v_lshlrev_b32_e32 v26, 24, v26
	v_bfrev_b32_e32 v39, 60
	v_lshlrev_b32_e32 v30, 20, v30
	v_and_b32_e32 v26, 0x80000000, v26
	v_lshl_add_u32 v27, v27, 23, v39
	v_or3_b32 v30, v26, v27, v30
.LBB406_252:
	s_or_b64 exec, exec, s[22:23]
.LBB406_253:
	s_or_b64 exec, exec, s[20:21]
.LBB406_254:
	s_or_b64 exec, exec, s[10:11]
	v_cvt_pkrtz_f16_f32 v26, v34, v35
	v_cvt_pkrtz_f16_f32 v27, v33, v36
	;; [unrolled: 1-line block ×4, first 2 shown]
	v_mfma_f32_4x4x4f16 a[0:3], v[18:19], v[26:27], a[0:3] cbsz:4 abid:4
	v_cmp_ne_u16_sdwa s[2:3], v28, v32 src0_sel:BYTE_0 src1_sel:DWORD
	v_mfma_f32_4x4x4f16 a[0:3], v[20:21], v[34:35], a[0:3] cbsz:4 abid:4
	s_and_saveexec_b64 s[10:11], s[2:3]
	s_cbranch_execz .LBB406_260
; %bb.255:
	s_movk_i32 s2, 0x80
	v_cmp_ne_u16_sdwa s[2:3], v28, s2 src0_sel:BYTE_0 src1_sel:DWORD
	v_bfrev_b32_e32 v32, 1
	s_and_saveexec_b64 s[20:21], s[2:3]
	s_cbranch_execz .LBB406_259
; %bb.256:
	s_movk_i32 s2, 0x7f
	v_and_b32_e32 v26, 0x7f, v28
	v_cmp_ne_u32_e64 s[2:3], s2, v26
	v_mov_b32_e32 v32, 0x7f800001
	s_and_saveexec_b64 s[22:23], s[2:3]
	s_cbranch_execz .LBB406_258
; %bb.257:
	v_and_b32_e32 v27, 7, v28
	v_ffbh_u32_e32 v27, v27
	v_min_u32_e32 v27, 32, v27
	v_subrev_u32_e32 v31, 28, v27
	v_cmp_gt_u32_e64 s[2:3], 8, v26
	v_lshrrev_b32_e32 v30, 3, v26
	v_sub_u32_e32 v27, 29, v27
	v_cndmask_b32_e64 v26, 0, v31, s[2:3]
	v_cndmask_b32_e64 v30, v30, v27, s[2:3]
	v_lshlrev_b64 v[26:27], v26, v[28:29]
	v_lshlrev_b32_e32 v26, 20, v26
	v_lshlrev_b32_e32 v27, 24, v28
	v_bfrev_b32_e32 v31, 60
	v_and_b32_e32 v26, 0x700000, v26
	v_and_b32_e32 v27, 0x80000000, v27
	v_lshl_add_u32 v30, v30, 23, v31
	v_or3_b32 v32, v27, v30, v26
.LBB406_258:
	s_or_b64 exec, exec, s[22:23]
.LBB406_259:
	s_or_b64 exec, exec, s[20:21]
.LBB406_260:
	s_or_b64 exec, exec, s[10:11]
	v_lshrrev_b16_e32 v26, 8, v28
	v_cmp_ne_u16_e64 s[2:3], 0, v26
	v_mov_b32_e32 v31, 0
	v_mov_b32_e32 v33, 0
	s_and_saveexec_b64 s[10:11], s[2:3]
	s_cbranch_execz .LBB406_266
; %bb.261:
	s_movk_i32 s2, 0x80
	v_cmp_ne_u16_e64 s[2:3], s2, v26
	v_bfrev_b32_e32 v33, 1
	s_and_saveexec_b64 s[20:21], s[2:3]
	s_cbranch_execz .LBB406_265
; %bb.262:
	s_movk_i32 s2, 0x7f
	v_and_b32_e32 v27, 0x7f, v26
	v_cmp_ne_u32_e64 s[2:3], s2, v27
	v_mov_b32_e32 v33, 0x7f800001
	s_and_saveexec_b64 s[22:23], s[2:3]
	s_cbranch_execz .LBB406_264
; %bb.263:
	v_and_b32_e32 v30, 7, v26
	v_ffbh_u32_e32 v34, v30
	v_min_u32_e32 v36, 32, v34
	v_subrev_u32_e32 v34, 28, v36
	v_lshlrev_b64 v[34:35], v34, v[26:27]
	v_lshrrev_b32_e32 v33, 3, v27
	v_sub_u32_e32 v26, 29, v36
	v_and_b32_e32 v34, 7, v34
	v_cmp_gt_u32_e64 s[2:3], 8, v27
	v_cndmask_b32_e64 v26, v33, v26, s[2:3]
	v_cndmask_b32_e64 v27, v30, v34, s[2:3]
	v_lshlrev_b32_e32 v30, 16, v28
	v_bfrev_b32_e32 v33, 60
	v_lshlrev_b32_e32 v27, 20, v27
	v_and_b32_e32 v30, 0x80000000, v30
	v_lshl_add_u32 v26, v26, 23, v33
	v_or3_b32 v33, v30, v26, v27
.LBB406_264:
	s_or_b64 exec, exec, s[22:23]
.LBB406_265:
	s_or_b64 exec, exec, s[20:21]
.LBB406_266:
	s_or_b64 exec, exec, s[10:11]
	s_movk_i32 s2, 0xff
	v_and_b32_sdwa v27, v28, s2 dst_sel:DWORD dst_unused:UNUSED_PAD src0_sel:WORD_1 src1_sel:DWORD
	v_lshrrev_b32_e32 v26, 16, v28
	v_cmp_ne_u16_e64 s[2:3], 0, v27
	s_and_saveexec_b64 s[10:11], s[2:3]
	s_cbranch_execz .LBB406_272
; %bb.267:
	s_movk_i32 s2, 0x80
	v_cmp_ne_u16_e64 s[2:3], s2, v27
	v_bfrev_b32_e32 v31, 1
	s_and_saveexec_b64 s[20:21], s[2:3]
	s_cbranch_execz .LBB406_271
; %bb.268:
	v_bfe_u32 v27, v28, 16, 7
	s_movk_i32 s2, 0x7f
	v_cmp_ne_u32_e64 s[2:3], s2, v27
	v_mov_b32_e32 v31, 0x7f800001
	s_and_saveexec_b64 s[22:23], s[2:3]
	s_cbranch_execz .LBB406_270
; %bb.269:
	v_and_b32_e32 v34, 7, v26
	v_ffbh_u32_e32 v30, v34
	v_min_u32_e32 v36, 32, v30
	v_subrev_u32_e32 v30, 28, v36
	v_lshlrev_b64 v[30:31], v30, v[26:27]
	v_and_b32_e32 v30, 7, v30
	v_cmp_gt_u32_e64 s[2:3], 8, v27
	v_lshrrev_b32_e32 v35, 3, v27
	v_sub_u32_e32 v26, 29, v36
	v_cndmask_b32_e64 v27, v34, v30, s[2:3]
	v_mov_b32_e32 v30, 24
	v_cndmask_b32_e64 v26, v35, v26, s[2:3]
	v_lshlrev_b32_sdwa v30, v30, v28 dst_sel:DWORD dst_unused:UNUSED_PAD src0_sel:DWORD src1_sel:WORD_1
	v_bfrev_b32_e32 v31, 60
	v_lshlrev_b32_e32 v27, 20, v27
	v_and_b32_e32 v30, 0x80000000, v30
	v_lshl_add_u32 v26, v26, 23, v31
	v_or3_b32 v31, v30, v26, v27
.LBB406_270:
	s_or_b64 exec, exec, s[22:23]
.LBB406_271:
	s_or_b64 exec, exec, s[20:21]
.LBB406_272:
	s_or_b64 exec, exec, s[10:11]
	s_mov_b32 s2, 0xffffff
	v_cmp_lt_u32_e64 s[2:3], s2, v28
	v_mov_b32_e32 v27, 0
	v_mov_b32_e32 v34, 0
	s_and_saveexec_b64 s[10:11], s[2:3]
	s_cbranch_execz .LBB406_278
; %bb.273:
	v_lshrrev_b32_e32 v26, 24, v28
	s_movk_i32 s2, 0x80
	v_cmp_ne_u32_e64 s[2:3], s2, v26
	v_bfrev_b32_e32 v34, 1
	s_and_saveexec_b64 s[20:21], s[2:3]
	s_cbranch_execz .LBB406_277
; %bb.274:
	v_bfe_u32 v30, v28, 24, 7
	s_movk_i32 s2, 0x7f
	v_cmp_ne_u32_e64 s[2:3], s2, v30
	v_mov_b32_e32 v34, 0x7f800001
	s_and_saveexec_b64 s[22:23], s[2:3]
	s_cbranch_execz .LBB406_276
; %bb.275:
	v_and_b32_e32 v36, 7, v26
	v_ffbh_u32_e32 v34, v36
	v_min_u32_e32 v38, 32, v34
	v_subrev_u32_e32 v34, 28, v38
	v_lshlrev_b64 v[34:35], v34, v[26:27]
	v_lshrrev_b32_e32 v37, 3, v30
	v_sub_u32_e32 v35, 29, v38
	v_and_b32_e32 v34, 7, v34
	v_cmp_gt_u32_e64 s[2:3], 8, v30
	v_cndmask_b32_e64 v30, v37, v35, s[2:3]
	v_cndmask_b32_e64 v34, v36, v34, s[2:3]
	v_lshlrev_b32_e32 v26, 24, v26
	v_bfrev_b32_e32 v35, 60
	v_lshlrev_b32_e32 v34, 20, v34
	v_and_b32_e32 v26, 0x80000000, v26
	v_lshl_add_u32 v30, v30, 23, v35
	v_or3_b32 v34, v26, v30, v34
.LBB406_276:
	s_or_b64 exec, exec, s[22:23]
.LBB406_277:
	s_or_b64 exec, exec, s[20:21]
.LBB406_278:
	s_or_b64 exec, exec, s[10:11]
	v_mov_b32_e32 v26, v29
	v_cmp_ne_u16_sdwa s[2:3], v29, v27 src0_sel:BYTE_0 src1_sel:DWORD
	s_and_saveexec_b64 s[10:11], s[2:3]
	s_cbranch_execz .LBB406_284
; %bb.279:
	s_movk_i32 s2, 0x80
	v_cmp_ne_u16_sdwa s[2:3], v29, s2 src0_sel:BYTE_0 src1_sel:DWORD
	v_bfrev_b32_e32 v30, 1
	s_and_saveexec_b64 s[20:21], s[2:3]
	s_cbranch_execz .LBB406_283
; %bb.280:
	s_movk_i32 s2, 0x7f
	v_and_b32_e32 v35, 0x7f, v29
	v_cmp_ne_u32_e64 s[2:3], s2, v35
	v_mov_b32_e32 v30, 0x7f800001
	s_and_saveexec_b64 s[22:23], s[2:3]
	s_cbranch_execz .LBB406_282
; %bb.281:
	v_and_b32_e32 v30, 7, v29
	v_ffbh_u32_e32 v30, v30
	v_min_u32_e32 v30, 32, v30
	v_subrev_u32_e32 v37, 28, v30
	v_cmp_gt_u32_e64 s[2:3], 8, v35
	v_lshrrev_b32_e32 v36, 3, v35
	v_sub_u32_e32 v30, 29, v30
	v_cndmask_b32_e64 v35, 0, v37, s[2:3]
	v_cndmask_b32_e64 v30, v36, v30, s[2:3]
	v_lshlrev_b64 v[36:37], v35, v[26:27]
	v_lshlrev_b32_e32 v27, 20, v36
	v_lshlrev_b32_e32 v35, 24, v26
	v_bfrev_b32_e32 v36, 60
	v_and_b32_e32 v27, 0x700000, v27
	v_and_b32_e32 v35, 0x80000000, v35
	v_lshl_add_u32 v30, v30, 23, v36
	v_or3_b32 v30, v35, v30, v27
.LBB406_282:
	s_or_b64 exec, exec, s[22:23]
.LBB406_283:
	s_or_b64 exec, exec, s[20:21]
	v_mov_b32_e32 v27, v30
.LBB406_284:
	s_or_b64 exec, exec, s[10:11]
	v_lshrrev_b16_e32 v30, 8, v26
	v_cmp_ne_u16_e64 s[2:3], 0, v30
	v_mov_b32_e32 v35, 0
	v_mov_b32_e32 v36, 0
	s_and_saveexec_b64 s[10:11], s[2:3]
	s_cbranch_execz .LBB406_290
; %bb.285:
	s_movk_i32 s2, 0x80
	v_cmp_ne_u16_e64 s[2:3], s2, v30
	v_bfrev_b32_e32 v36, 1
	s_and_saveexec_b64 s[20:21], s[2:3]
	s_cbranch_execz .LBB406_289
; %bb.286:
	s_movk_i32 s2, 0x7f
	v_and_b32_e32 v37, 0x7f, v30
	v_cmp_ne_u32_e64 s[2:3], s2, v37
	v_mov_b32_e32 v36, 0x7f800001
	s_and_saveexec_b64 s[22:23], s[2:3]
	s_cbranch_execz .LBB406_288
; %bb.287:
	v_and_b32_e32 v36, 7, v30
	v_ffbh_u32_e32 v38, v36
	v_min_u32_e32 v41, 32, v38
	v_subrev_u32_e32 v38, 28, v41
	v_lshlrev_b64 v[38:39], v38, v[30:31]
	v_lshrrev_b32_e32 v40, 3, v37
	v_sub_u32_e32 v30, 29, v41
	v_and_b32_e32 v38, 7, v38
	v_cmp_gt_u32_e64 s[2:3], 8, v37
	v_cndmask_b32_e64 v30, v40, v30, s[2:3]
	v_cndmask_b32_e64 v36, v36, v38, s[2:3]
	v_lshlrev_b32_e32 v26, 16, v26
	v_bfrev_b32_e32 v37, 60
	v_lshlrev_b32_e32 v36, 20, v36
	v_and_b32_e32 v26, 0x80000000, v26
	v_lshl_add_u32 v30, v30, 23, v37
	v_or3_b32 v36, v26, v30, v36
.LBB406_288:
	s_or_b64 exec, exec, s[22:23]
.LBB406_289:
	s_or_b64 exec, exec, s[20:21]
.LBB406_290:
	s_or_b64 exec, exec, s[10:11]
	s_movk_i32 s2, 0xff
	v_and_b32_sdwa v30, v29, s2 dst_sel:DWORD dst_unused:UNUSED_PAD src0_sel:WORD_1 src1_sel:DWORD
	v_lshrrev_b32_e32 v26, 16, v29
	v_cmp_ne_u16_e64 s[2:3], 0, v30
	s_and_saveexec_b64 s[10:11], s[2:3]
	s_cbranch_execz .LBB406_296
; %bb.291:
	s_movk_i32 s2, 0x80
	v_cmp_ne_u16_e64 s[2:3], s2, v30
	v_bfrev_b32_e32 v35, 1
	s_and_saveexec_b64 s[20:21], s[2:3]
	s_cbranch_execz .LBB406_295
; %bb.292:
	v_bfe_u32 v30, v29, 16, 7
	s_movk_i32 s2, 0x7f
	v_cmp_ne_u32_e64 s[2:3], s2, v30
	v_mov_b32_e32 v35, 0x7f800001
	s_and_saveexec_b64 s[22:23], s[2:3]
	s_cbranch_execz .LBB406_294
; %bb.293:
	v_and_b32_e32 v35, 7, v26
	v_ffbh_u32_e32 v38, v35
	v_min_u32_e32 v40, 32, v38
	v_subrev_u32_e32 v38, 28, v40
	v_lshlrev_b64 v[38:39], v38, v[26:27]
	v_and_b32_e32 v38, 7, v38
	v_cmp_gt_u32_e64 s[2:3], 8, v30
	v_lshrrev_b32_e32 v37, 3, v30
	v_sub_u32_e32 v26, 29, v40
	v_cndmask_b32_e64 v30, v35, v38, s[2:3]
	v_mov_b32_e32 v35, 24
	v_cndmask_b32_e64 v26, v37, v26, s[2:3]
	v_lshlrev_b32_sdwa v35, v35, v29 dst_sel:DWORD dst_unused:UNUSED_PAD src0_sel:DWORD src1_sel:WORD_1
	v_bfrev_b32_e32 v37, 60
	v_lshlrev_b32_e32 v30, 20, v30
	v_and_b32_e32 v35, 0x80000000, v35
	v_lshl_add_u32 v26, v26, 23, v37
	v_or3_b32 v35, v35, v26, v30
.LBB406_294:
	s_or_b64 exec, exec, s[22:23]
.LBB406_295:
	s_or_b64 exec, exec, s[20:21]
.LBB406_296:
	s_or_b64 exec, exec, s[10:11]
	s_mov_b32 s2, -1
	s_mov_b32 s3, 0xffffff
	v_cmp_lt_u64_e64 s[2:3], s[2:3], v[28:29]
	v_mov_b32_e32 v30, 0
	v_mov_b32_e32 v28, 0
	s_and_saveexec_b64 s[10:11], s[2:3]
	s_cbranch_execz .LBB406_302
; %bb.297:
	v_lshrrev_b32_e32 v26, 24, v29
	s_movk_i32 s2, 0x80
	v_cmp_ne_u32_e64 s[2:3], s2, v26
	v_bfrev_b32_e32 v28, 1
	s_and_saveexec_b64 s[20:21], s[2:3]
	s_cbranch_execz .LBB406_301
; %bb.298:
	v_bfe_u32 v29, v29, 24, 7
	s_movk_i32 s2, 0x7f
	v_cmp_ne_u32_e64 s[2:3], s2, v29
	v_mov_b32_e32 v28, 0x7f800001
	s_and_saveexec_b64 s[22:23], s[2:3]
	s_cbranch_execz .LBB406_300
; %bb.299:
	v_and_b32_e32 v28, 7, v26
	v_ffbh_u32_e32 v38, v28
	v_min_u32_e32 v40, 32, v38
	v_subrev_u32_e32 v38, 28, v40
	v_lshlrev_b64 v[38:39], v38, v[26:27]
	v_lshrrev_b32_e32 v37, 3, v29
	v_sub_u32_e32 v39, 29, v40
	v_and_b32_e32 v38, 7, v38
	v_cmp_gt_u32_e64 s[2:3], 8, v29
	v_cndmask_b32_e64 v29, v37, v39, s[2:3]
	v_cndmask_b32_e64 v28, v28, v38, s[2:3]
	v_lshlrev_b32_e32 v26, 24, v26
	v_bfrev_b32_e32 v37, 60
	v_lshlrev_b32_e32 v28, 20, v28
	v_and_b32_e32 v26, 0x80000000, v26
	v_lshl_add_u32 v29, v29, 23, v37
	v_or3_b32 v28, v26, v29, v28
.LBB406_300:
	s_or_b64 exec, exec, s[22:23]
.LBB406_301:
	s_or_b64 exec, exec, s[20:21]
.LBB406_302:
	s_or_b64 exec, exec, s[10:11]
	v_cvt_pkrtz_f16_f32 v32, v32, v33
	v_cvt_pkrtz_f16_f32 v33, v31, v34
	;; [unrolled: 1-line block ×4, first 2 shown]
	v_mfma_f32_4x4x4f16 a[0:3], v[18:19], v[32:33], a[0:3] cbsz:4 abid:5
	s_waitcnt vmcnt(4)
	v_cmp_ne_u16_sdwa s[2:3], v22, v30 src0_sel:BYTE_0 src1_sel:DWORD
	v_mfma_f32_4x4x4f16 a[0:3], v[20:21], v[26:27], a[0:3] cbsz:4 abid:5
	s_and_saveexec_b64 s[10:11], s[2:3]
	s_cbranch_execz .LBB406_308
; %bb.303:
	s_movk_i32 s2, 0x80
	v_cmp_ne_u16_sdwa s[2:3], v22, s2 src0_sel:BYTE_0 src1_sel:DWORD
	v_bfrev_b32_e32 v30, 1
	s_and_saveexec_b64 s[20:21], s[2:3]
	s_cbranch_execz .LBB406_307
; %bb.304:
	s_movk_i32 s2, 0x7f
	v_and_b32_e32 v26, 0x7f, v22
	v_cmp_ne_u32_e64 s[2:3], s2, v26
	v_mov_b32_e32 v30, 0x7f800001
	s_and_saveexec_b64 s[22:23], s[2:3]
	s_cbranch_execz .LBB406_306
; %bb.305:
	v_and_b32_e32 v27, 7, v22
	v_ffbh_u32_e32 v27, v27
	v_min_u32_e32 v27, 32, v27
	v_subrev_u32_e32 v29, 28, v27
	v_cmp_gt_u32_e64 s[2:3], 8, v26
	v_lshrrev_b32_e32 v28, 3, v26
	v_sub_u32_e32 v27, 29, v27
	v_cndmask_b32_e64 v26, 0, v29, s[2:3]
	v_cndmask_b32_e64 v28, v28, v27, s[2:3]
	v_lshlrev_b64 v[26:27], v26, v[22:23]
	v_lshlrev_b32_e32 v26, 20, v26
	v_lshlrev_b32_e32 v27, 24, v22
	v_bfrev_b32_e32 v29, 60
	v_and_b32_e32 v26, 0x700000, v26
	v_and_b32_e32 v27, 0x80000000, v27
	v_lshl_add_u32 v28, v28, 23, v29
	v_or3_b32 v30, v27, v28, v26
.LBB406_306:
	s_or_b64 exec, exec, s[22:23]
.LBB406_307:
	s_or_b64 exec, exec, s[20:21]
.LBB406_308:
	s_or_b64 exec, exec, s[10:11]
	v_lshrrev_b16_e32 v26, 8, v22
	v_cmp_ne_u16_e64 s[2:3], 0, v26
	v_mov_b32_e32 v29, 0
	v_mov_b32_e32 v31, 0
	s_and_saveexec_b64 s[10:11], s[2:3]
	s_cbranch_execz .LBB406_314
; %bb.309:
	s_movk_i32 s2, 0x80
	v_cmp_ne_u16_e64 s[2:3], s2, v26
	v_bfrev_b32_e32 v31, 1
	s_and_saveexec_b64 s[20:21], s[2:3]
	s_cbranch_execz .LBB406_313
; %bb.310:
	s_movk_i32 s2, 0x7f
	v_and_b32_e32 v27, 0x7f, v26
	v_cmp_ne_u32_e64 s[2:3], s2, v27
	v_mov_b32_e32 v31, 0x7f800001
	s_and_saveexec_b64 s[22:23], s[2:3]
	s_cbranch_execz .LBB406_312
; %bb.311:
	v_and_b32_e32 v28, 7, v26
	v_ffbh_u32_e32 v32, v28
	v_min_u32_e32 v34, 32, v32
	v_subrev_u32_e32 v32, 28, v34
	v_lshlrev_b64 v[32:33], v32, v[26:27]
	v_lshrrev_b32_e32 v31, 3, v27
	v_sub_u32_e32 v26, 29, v34
	v_and_b32_e32 v32, 7, v32
	v_cmp_gt_u32_e64 s[2:3], 8, v27
	v_cndmask_b32_e64 v26, v31, v26, s[2:3]
	v_cndmask_b32_e64 v27, v28, v32, s[2:3]
	v_lshlrev_b32_e32 v28, 16, v22
	v_bfrev_b32_e32 v31, 60
	v_lshlrev_b32_e32 v27, 20, v27
	v_and_b32_e32 v28, 0x80000000, v28
	v_lshl_add_u32 v26, v26, 23, v31
	v_or3_b32 v31, v28, v26, v27
.LBB406_312:
	s_or_b64 exec, exec, s[22:23]
.LBB406_313:
	s_or_b64 exec, exec, s[20:21]
.LBB406_314:
	s_or_b64 exec, exec, s[10:11]
	s_movk_i32 s2, 0xff
	v_and_b32_sdwa v27, v22, s2 dst_sel:DWORD dst_unused:UNUSED_PAD src0_sel:WORD_1 src1_sel:DWORD
	v_lshrrev_b32_e32 v26, 16, v22
	v_cmp_ne_u16_e64 s[2:3], 0, v27
	s_and_saveexec_b64 s[10:11], s[2:3]
	s_cbranch_execz .LBB406_320
; %bb.315:
	s_movk_i32 s2, 0x80
	v_cmp_ne_u16_e64 s[2:3], s2, v27
	v_bfrev_b32_e32 v29, 1
	s_and_saveexec_b64 s[20:21], s[2:3]
	s_cbranch_execz .LBB406_319
; %bb.316:
	v_bfe_u32 v27, v22, 16, 7
	s_movk_i32 s2, 0x7f
	v_cmp_ne_u32_e64 s[2:3], s2, v27
	v_mov_b32_e32 v29, 0x7f800001
	s_and_saveexec_b64 s[22:23], s[2:3]
	s_cbranch_execz .LBB406_318
; %bb.317:
	v_and_b32_e32 v32, 7, v26
	v_ffbh_u32_e32 v28, v32
	v_min_u32_e32 v34, 32, v28
	v_subrev_u32_e32 v28, 28, v34
	v_lshlrev_b64 v[28:29], v28, v[26:27]
	v_and_b32_e32 v28, 7, v28
	v_cmp_gt_u32_e64 s[2:3], 8, v27
	v_lshrrev_b32_e32 v33, 3, v27
	v_sub_u32_e32 v26, 29, v34
	v_cndmask_b32_e64 v27, v32, v28, s[2:3]
	v_mov_b32_e32 v28, 24
	v_cndmask_b32_e64 v26, v33, v26, s[2:3]
	v_lshlrev_b32_sdwa v28, v28, v22 dst_sel:DWORD dst_unused:UNUSED_PAD src0_sel:DWORD src1_sel:WORD_1
	v_bfrev_b32_e32 v29, 60
	v_lshlrev_b32_e32 v27, 20, v27
	v_and_b32_e32 v28, 0x80000000, v28
	v_lshl_add_u32 v26, v26, 23, v29
	v_or3_b32 v29, v28, v26, v27
.LBB406_318:
	s_or_b64 exec, exec, s[22:23]
.LBB406_319:
	s_or_b64 exec, exec, s[20:21]
.LBB406_320:
	s_or_b64 exec, exec, s[10:11]
	s_mov_b32 s2, 0xffffff
	v_cmp_lt_u32_e64 s[2:3], s2, v22
	v_mov_b32_e32 v27, 0
	v_mov_b32_e32 v32, 0
	s_and_saveexec_b64 s[10:11], s[2:3]
	s_cbranch_execz .LBB406_326
; %bb.321:
	v_lshrrev_b32_e32 v26, 24, v22
	s_movk_i32 s2, 0x80
	v_cmp_ne_u32_e64 s[2:3], s2, v26
	v_bfrev_b32_e32 v32, 1
	s_and_saveexec_b64 s[20:21], s[2:3]
	s_cbranch_execz .LBB406_325
; %bb.322:
	v_bfe_u32 v28, v22, 24, 7
	s_movk_i32 s2, 0x7f
	v_cmp_ne_u32_e64 s[2:3], s2, v28
	v_mov_b32_e32 v32, 0x7f800001
	s_and_saveexec_b64 s[22:23], s[2:3]
	s_cbranch_execz .LBB406_324
; %bb.323:
	v_and_b32_e32 v34, 7, v26
	v_ffbh_u32_e32 v32, v34
	v_min_u32_e32 v36, 32, v32
	v_subrev_u32_e32 v32, 28, v36
	v_lshlrev_b64 v[32:33], v32, v[26:27]
	v_lshrrev_b32_e32 v35, 3, v28
	v_sub_u32_e32 v33, 29, v36
	v_and_b32_e32 v32, 7, v32
	v_cmp_gt_u32_e64 s[2:3], 8, v28
	v_cndmask_b32_e64 v28, v35, v33, s[2:3]
	v_cndmask_b32_e64 v32, v34, v32, s[2:3]
	v_lshlrev_b32_e32 v26, 24, v26
	v_bfrev_b32_e32 v33, 60
	v_lshlrev_b32_e32 v32, 20, v32
	v_and_b32_e32 v26, 0x80000000, v26
	v_lshl_add_u32 v28, v28, 23, v33
	v_or3_b32 v32, v26, v28, v32
.LBB406_324:
	s_or_b64 exec, exec, s[22:23]
.LBB406_325:
	s_or_b64 exec, exec, s[20:21]
.LBB406_326:
	s_or_b64 exec, exec, s[10:11]
	v_mov_b32_e32 v26, v23
	v_cmp_ne_u16_sdwa s[2:3], v23, v27 src0_sel:BYTE_0 src1_sel:DWORD
	s_and_saveexec_b64 s[10:11], s[2:3]
	s_cbranch_execz .LBB406_332
; %bb.327:
	s_movk_i32 s2, 0x80
	v_cmp_ne_u16_sdwa s[2:3], v23, s2 src0_sel:BYTE_0 src1_sel:DWORD
	v_bfrev_b32_e32 v28, 1
	s_and_saveexec_b64 s[20:21], s[2:3]
	s_cbranch_execz .LBB406_331
; %bb.328:
	s_movk_i32 s2, 0x7f
	v_and_b32_e32 v33, 0x7f, v23
	v_cmp_ne_u32_e64 s[2:3], s2, v33
	v_mov_b32_e32 v28, 0x7f800001
	s_and_saveexec_b64 s[22:23], s[2:3]
	s_cbranch_execz .LBB406_330
; %bb.329:
	v_and_b32_e32 v28, 7, v23
	v_ffbh_u32_e32 v28, v28
	v_min_u32_e32 v28, 32, v28
	v_subrev_u32_e32 v35, 28, v28
	v_cmp_gt_u32_e64 s[2:3], 8, v33
	v_lshrrev_b32_e32 v34, 3, v33
	v_sub_u32_e32 v28, 29, v28
	v_cndmask_b32_e64 v33, 0, v35, s[2:3]
	v_cndmask_b32_e64 v28, v34, v28, s[2:3]
	v_lshlrev_b64 v[34:35], v33, v[26:27]
	v_lshlrev_b32_e32 v27, 20, v34
	v_lshlrev_b32_e32 v33, 24, v26
	v_bfrev_b32_e32 v34, 60
	v_and_b32_e32 v27, 0x700000, v27
	v_and_b32_e32 v33, 0x80000000, v33
	v_lshl_add_u32 v28, v28, 23, v34
	v_or3_b32 v28, v33, v28, v27
.LBB406_330:
	s_or_b64 exec, exec, s[22:23]
.LBB406_331:
	s_or_b64 exec, exec, s[20:21]
	v_mov_b32_e32 v27, v28
.LBB406_332:
	s_or_b64 exec, exec, s[10:11]
	v_lshrrev_b16_e32 v28, 8, v26
	v_cmp_ne_u16_e64 s[2:3], 0, v28
	v_mov_b32_e32 v33, 0
	v_mov_b32_e32 v34, 0
	s_and_saveexec_b64 s[10:11], s[2:3]
	s_cbranch_execz .LBB406_338
; %bb.333:
	s_movk_i32 s2, 0x80
	v_cmp_ne_u16_e64 s[2:3], s2, v28
	v_bfrev_b32_e32 v34, 1
	s_and_saveexec_b64 s[20:21], s[2:3]
	s_cbranch_execz .LBB406_337
; %bb.334:
	s_movk_i32 s2, 0x7f
	v_and_b32_e32 v35, 0x7f, v28
	v_cmp_ne_u32_e64 s[2:3], s2, v35
	v_mov_b32_e32 v34, 0x7f800001
	s_and_saveexec_b64 s[22:23], s[2:3]
	s_cbranch_execz .LBB406_336
; %bb.335:
	v_and_b32_e32 v34, 7, v28
	v_ffbh_u32_e32 v36, v34
	v_min_u32_e32 v39, 32, v36
	v_subrev_u32_e32 v36, 28, v39
	v_lshlrev_b64 v[36:37], v36, v[28:29]
	v_lshrrev_b32_e32 v38, 3, v35
	v_sub_u32_e32 v28, 29, v39
	v_and_b32_e32 v36, 7, v36
	v_cmp_gt_u32_e64 s[2:3], 8, v35
	v_cndmask_b32_e64 v28, v38, v28, s[2:3]
	v_cndmask_b32_e64 v34, v34, v36, s[2:3]
	v_lshlrev_b32_e32 v26, 16, v26
	v_bfrev_b32_e32 v35, 60
	v_lshlrev_b32_e32 v34, 20, v34
	v_and_b32_e32 v26, 0x80000000, v26
	v_lshl_add_u32 v28, v28, 23, v35
	v_or3_b32 v34, v26, v28, v34
.LBB406_336:
	s_or_b64 exec, exec, s[22:23]
.LBB406_337:
	s_or_b64 exec, exec, s[20:21]
.LBB406_338:
	s_or_b64 exec, exec, s[10:11]
	s_movk_i32 s2, 0xff
	v_and_b32_sdwa v28, v23, s2 dst_sel:DWORD dst_unused:UNUSED_PAD src0_sel:WORD_1 src1_sel:DWORD
	v_lshrrev_b32_e32 v26, 16, v23
	v_cmp_ne_u16_e64 s[2:3], 0, v28
	s_and_saveexec_b64 s[10:11], s[2:3]
	s_cbranch_execz .LBB406_344
; %bb.339:
	s_movk_i32 s2, 0x80
	v_cmp_ne_u16_e64 s[2:3], s2, v28
	v_bfrev_b32_e32 v33, 1
	s_and_saveexec_b64 s[20:21], s[2:3]
	s_cbranch_execz .LBB406_343
; %bb.340:
	v_bfe_u32 v28, v23, 16, 7
	s_movk_i32 s2, 0x7f
	v_cmp_ne_u32_e64 s[2:3], s2, v28
	v_mov_b32_e32 v33, 0x7f800001
	s_and_saveexec_b64 s[22:23], s[2:3]
	s_cbranch_execz .LBB406_342
; %bb.341:
	v_and_b32_e32 v33, 7, v26
	v_ffbh_u32_e32 v36, v33
	v_min_u32_e32 v38, 32, v36
	v_subrev_u32_e32 v36, 28, v38
	v_lshlrev_b64 v[36:37], v36, v[26:27]
	v_and_b32_e32 v36, 7, v36
	v_cmp_gt_u32_e64 s[2:3], 8, v28
	v_lshrrev_b32_e32 v35, 3, v28
	v_sub_u32_e32 v26, 29, v38
	v_cndmask_b32_e64 v28, v33, v36, s[2:3]
	v_mov_b32_e32 v33, 24
	v_cndmask_b32_e64 v26, v35, v26, s[2:3]
	v_lshlrev_b32_sdwa v33, v33, v23 dst_sel:DWORD dst_unused:UNUSED_PAD src0_sel:DWORD src1_sel:WORD_1
	v_bfrev_b32_e32 v35, 60
	v_lshlrev_b32_e32 v28, 20, v28
	v_and_b32_e32 v33, 0x80000000, v33
	v_lshl_add_u32 v26, v26, 23, v35
	v_or3_b32 v33, v33, v26, v28
.LBB406_342:
	s_or_b64 exec, exec, s[22:23]
.LBB406_343:
	s_or_b64 exec, exec, s[20:21]
.LBB406_344:
	s_or_b64 exec, exec, s[10:11]
	s_mov_b32 s2, -1
	s_mov_b32 s3, 0xffffff
	v_cmp_lt_u64_e64 s[2:3], s[2:3], v[22:23]
	v_mov_b32_e32 v28, 0
	v_mov_b32_e32 v26, 0
	s_and_saveexec_b64 s[10:11], s[2:3]
	s_cbranch_execz .LBB406_350
; %bb.345:
	v_lshrrev_b32_e32 v22, 24, v23
	s_movk_i32 s2, 0x80
	v_cmp_ne_u32_e64 s[2:3], s2, v22
	v_bfrev_b32_e32 v26, 1
	s_and_saveexec_b64 s[20:21], s[2:3]
	s_cbranch_execz .LBB406_349
; %bb.346:
	v_bfe_u32 v23, v23, 24, 7
	s_movk_i32 s2, 0x7f
	v_cmp_ne_u32_e64 s[2:3], s2, v23
	v_mov_b32_e32 v26, 0x7f800001
	s_and_saveexec_b64 s[22:23], s[2:3]
	s_cbranch_execz .LBB406_348
; %bb.347:
	v_and_b32_e32 v26, 7, v22
	v_ffbh_u32_e32 v36, v26
	v_min_u32_e32 v38, 32, v36
	v_subrev_u32_e32 v36, 28, v38
	v_lshlrev_b64 v[36:37], v36, v[22:23]
	v_lshrrev_b32_e32 v35, 3, v23
	v_sub_u32_e32 v37, 29, v38
	v_and_b32_e32 v36, 7, v36
	v_cmp_gt_u32_e64 s[2:3], 8, v23
	v_cndmask_b32_e64 v23, v35, v37, s[2:3]
	v_cndmask_b32_e64 v26, v26, v36, s[2:3]
	v_lshlrev_b32_e32 v22, 24, v22
	v_bfrev_b32_e32 v35, 60
	v_lshlrev_b32_e32 v26, 20, v26
	v_and_b32_e32 v22, 0x80000000, v22
	v_lshl_add_u32 v23, v23, 23, v35
	v_or3_b32 v26, v22, v23, v26
.LBB406_348:
	s_or_b64 exec, exec, s[22:23]
.LBB406_349:
	s_or_b64 exec, exec, s[20:21]
.LBB406_350:
	s_or_b64 exec, exec, s[10:11]
	v_cvt_pkrtz_f16_f32 v22, v30, v31
	v_cvt_pkrtz_f16_f32 v23, v29, v32
	;; [unrolled: 1-line block ×4, first 2 shown]
	v_mfma_f32_4x4x4f16 a[0:3], v[18:19], v[22:23], a[0:3] cbsz:4 abid:6
	v_cmp_ne_u16_sdwa s[2:3], v24, v28 src0_sel:BYTE_0 src1_sel:DWORD
	v_mfma_f32_4x4x4f16 a[0:3], v[20:21], v[30:31], a[0:3] cbsz:4 abid:6
	s_and_saveexec_b64 s[10:11], s[2:3]
	s_cbranch_execz .LBB406_356
; %bb.351:
	s_movk_i32 s2, 0x80
	v_cmp_ne_u16_sdwa s[2:3], v24, s2 src0_sel:BYTE_0 src1_sel:DWORD
	v_bfrev_b32_e32 v28, 1
	s_and_saveexec_b64 s[20:21], s[2:3]
	s_cbranch_execz .LBB406_355
; %bb.352:
	s_movk_i32 s2, 0x7f
	v_and_b32_e32 v22, 0x7f, v24
	v_cmp_ne_u32_e64 s[2:3], s2, v22
	v_mov_b32_e32 v28, 0x7f800001
	s_and_saveexec_b64 s[22:23], s[2:3]
	s_cbranch_execz .LBB406_354
; %bb.353:
	v_and_b32_e32 v23, 7, v24
	v_ffbh_u32_e32 v23, v23
	v_min_u32_e32 v23, 32, v23
	v_subrev_u32_e32 v27, 28, v23
	v_cmp_gt_u32_e64 s[2:3], 8, v22
	v_lshrrev_b32_e32 v26, 3, v22
	v_sub_u32_e32 v23, 29, v23
	v_cndmask_b32_e64 v22, 0, v27, s[2:3]
	v_cndmask_b32_e64 v26, v26, v23, s[2:3]
	v_lshlrev_b64 v[22:23], v22, v[24:25]
	v_lshlrev_b32_e32 v22, 20, v22
	v_lshlrev_b32_e32 v23, 24, v24
	v_bfrev_b32_e32 v27, 60
	v_and_b32_e32 v22, 0x700000, v22
	v_and_b32_e32 v23, 0x80000000, v23
	v_lshl_add_u32 v26, v26, 23, v27
	v_or3_b32 v28, v23, v26, v22
.LBB406_354:
	s_or_b64 exec, exec, s[22:23]
.LBB406_355:
	s_or_b64 exec, exec, s[20:21]
.LBB406_356:
	s_or_b64 exec, exec, s[10:11]
	v_lshrrev_b16_e32 v22, 8, v24
	v_cmp_ne_u16_e64 s[2:3], 0, v22
	v_mov_b32_e32 v27, 0
	v_mov_b32_e32 v29, 0
	s_and_saveexec_b64 s[10:11], s[2:3]
	s_cbranch_execz .LBB406_362
; %bb.357:
	s_movk_i32 s2, 0x80
	v_cmp_ne_u16_e64 s[2:3], s2, v22
	v_bfrev_b32_e32 v29, 1
	s_and_saveexec_b64 s[20:21], s[2:3]
	s_cbranch_execz .LBB406_361
; %bb.358:
	s_movk_i32 s2, 0x7f
	v_and_b32_e32 v23, 0x7f, v22
	v_cmp_ne_u32_e64 s[2:3], s2, v23
	v_mov_b32_e32 v29, 0x7f800001
	s_and_saveexec_b64 s[22:23], s[2:3]
	s_cbranch_execz .LBB406_360
; %bb.359:
	v_and_b32_e32 v26, 7, v22
	v_ffbh_u32_e32 v30, v26
	v_min_u32_e32 v32, 32, v30
	v_subrev_u32_e32 v30, 28, v32
	v_lshlrev_b64 v[30:31], v30, v[22:23]
	v_lshrrev_b32_e32 v29, 3, v23
	v_sub_u32_e32 v22, 29, v32
	v_and_b32_e32 v30, 7, v30
	v_cmp_gt_u32_e64 s[2:3], 8, v23
	v_cndmask_b32_e64 v22, v29, v22, s[2:3]
	v_cndmask_b32_e64 v23, v26, v30, s[2:3]
	v_lshlrev_b32_e32 v26, 16, v24
	v_bfrev_b32_e32 v29, 60
	v_lshlrev_b32_e32 v23, 20, v23
	v_and_b32_e32 v26, 0x80000000, v26
	v_lshl_add_u32 v22, v22, 23, v29
	v_or3_b32 v29, v26, v22, v23
.LBB406_360:
	s_or_b64 exec, exec, s[22:23]
.LBB406_361:
	s_or_b64 exec, exec, s[20:21]
.LBB406_362:
	s_or_b64 exec, exec, s[10:11]
	s_movk_i32 s2, 0xff
	v_and_b32_sdwa v23, v24, s2 dst_sel:DWORD dst_unused:UNUSED_PAD src0_sel:WORD_1 src1_sel:DWORD
	v_lshrrev_b32_e32 v22, 16, v24
	v_cmp_ne_u16_e64 s[2:3], 0, v23
	s_and_saveexec_b64 s[10:11], s[2:3]
	s_cbranch_execz .LBB406_368
; %bb.363:
	s_movk_i32 s2, 0x80
	v_cmp_ne_u16_e64 s[2:3], s2, v23
	v_bfrev_b32_e32 v27, 1
	s_and_saveexec_b64 s[20:21], s[2:3]
	s_cbranch_execz .LBB406_367
; %bb.364:
	v_bfe_u32 v23, v24, 16, 7
	s_movk_i32 s2, 0x7f
	v_cmp_ne_u32_e64 s[2:3], s2, v23
	v_mov_b32_e32 v27, 0x7f800001
	s_and_saveexec_b64 s[22:23], s[2:3]
	s_cbranch_execz .LBB406_366
; %bb.365:
	v_and_b32_e32 v30, 7, v22
	v_ffbh_u32_e32 v26, v30
	v_min_u32_e32 v32, 32, v26
	v_subrev_u32_e32 v26, 28, v32
	v_lshlrev_b64 v[26:27], v26, v[22:23]
	v_and_b32_e32 v26, 7, v26
	v_cmp_gt_u32_e64 s[2:3], 8, v23
	v_lshrrev_b32_e32 v31, 3, v23
	v_sub_u32_e32 v22, 29, v32
	v_cndmask_b32_e64 v23, v30, v26, s[2:3]
	v_mov_b32_e32 v26, 24
	v_cndmask_b32_e64 v22, v31, v22, s[2:3]
	v_lshlrev_b32_sdwa v26, v26, v24 dst_sel:DWORD dst_unused:UNUSED_PAD src0_sel:DWORD src1_sel:WORD_1
	v_bfrev_b32_e32 v27, 60
	v_lshlrev_b32_e32 v23, 20, v23
	v_and_b32_e32 v26, 0x80000000, v26
	v_lshl_add_u32 v22, v22, 23, v27
	v_or3_b32 v27, v26, v22, v23
.LBB406_366:
	s_or_b64 exec, exec, s[22:23]
.LBB406_367:
	s_or_b64 exec, exec, s[20:21]
.LBB406_368:
	s_or_b64 exec, exec, s[10:11]
	s_mov_b32 s2, 0xffffff
	v_cmp_lt_u32_e64 s[2:3], s2, v24
	v_mov_b32_e32 v23, 0
	v_mov_b32_e32 v30, 0
	s_and_saveexec_b64 s[10:11], s[2:3]
	s_cbranch_execz .LBB406_374
; %bb.369:
	v_lshrrev_b32_e32 v22, 24, v24
	s_movk_i32 s2, 0x80
	v_cmp_ne_u32_e64 s[2:3], s2, v22
	v_bfrev_b32_e32 v30, 1
	s_and_saveexec_b64 s[20:21], s[2:3]
	s_cbranch_execz .LBB406_373
; %bb.370:
	v_bfe_u32 v26, v24, 24, 7
	s_movk_i32 s2, 0x7f
	v_cmp_ne_u32_e64 s[2:3], s2, v26
	v_mov_b32_e32 v30, 0x7f800001
	s_and_saveexec_b64 s[22:23], s[2:3]
	s_cbranch_execz .LBB406_372
; %bb.371:
	v_and_b32_e32 v32, 7, v22
	v_ffbh_u32_e32 v30, v32
	v_min_u32_e32 v34, 32, v30
	v_subrev_u32_e32 v30, 28, v34
	v_lshlrev_b64 v[30:31], v30, v[22:23]
	v_lshrrev_b32_e32 v33, 3, v26
	v_sub_u32_e32 v31, 29, v34
	v_and_b32_e32 v30, 7, v30
	v_cmp_gt_u32_e64 s[2:3], 8, v26
	v_cndmask_b32_e64 v26, v33, v31, s[2:3]
	v_cndmask_b32_e64 v30, v32, v30, s[2:3]
	v_lshlrev_b32_e32 v22, 24, v22
	v_bfrev_b32_e32 v31, 60
	v_lshlrev_b32_e32 v30, 20, v30
	v_and_b32_e32 v22, 0x80000000, v22
	v_lshl_add_u32 v26, v26, 23, v31
	v_or3_b32 v30, v22, v26, v30
.LBB406_372:
	s_or_b64 exec, exec, s[22:23]
.LBB406_373:
	s_or_b64 exec, exec, s[20:21]
.LBB406_374:
	s_or_b64 exec, exec, s[10:11]
	v_mov_b32_e32 v22, v25
	v_cmp_ne_u16_sdwa s[2:3], v25, v23 src0_sel:BYTE_0 src1_sel:DWORD
	s_and_saveexec_b64 s[10:11], s[2:3]
	s_cbranch_execz .LBB406_380
; %bb.375:
	s_movk_i32 s2, 0x80
	v_cmp_ne_u16_sdwa s[2:3], v25, s2 src0_sel:BYTE_0 src1_sel:DWORD
	v_bfrev_b32_e32 v26, 1
	s_and_saveexec_b64 s[20:21], s[2:3]
	s_cbranch_execz .LBB406_379
; %bb.376:
	s_movk_i32 s2, 0x7f
	v_and_b32_e32 v31, 0x7f, v25
	v_cmp_ne_u32_e64 s[2:3], s2, v31
	v_mov_b32_e32 v26, 0x7f800001
	s_and_saveexec_b64 s[22:23], s[2:3]
	s_cbranch_execz .LBB406_378
; %bb.377:
	v_and_b32_e32 v26, 7, v25
	v_ffbh_u32_e32 v26, v26
	v_min_u32_e32 v26, 32, v26
	v_subrev_u32_e32 v33, 28, v26
	v_cmp_gt_u32_e64 s[2:3], 8, v31
	v_lshrrev_b32_e32 v32, 3, v31
	v_sub_u32_e32 v26, 29, v26
	v_cndmask_b32_e64 v31, 0, v33, s[2:3]
	v_cndmask_b32_e64 v26, v32, v26, s[2:3]
	v_lshlrev_b64 v[32:33], v31, v[22:23]
	v_lshlrev_b32_e32 v23, 20, v32
	v_lshlrev_b32_e32 v31, 24, v22
	v_bfrev_b32_e32 v32, 60
	v_and_b32_e32 v23, 0x700000, v23
	v_and_b32_e32 v31, 0x80000000, v31
	v_lshl_add_u32 v26, v26, 23, v32
	v_or3_b32 v26, v31, v26, v23
.LBB406_378:
	s_or_b64 exec, exec, s[22:23]
.LBB406_379:
	s_or_b64 exec, exec, s[20:21]
	v_mov_b32_e32 v23, v26
.LBB406_380:
	s_or_b64 exec, exec, s[10:11]
	v_lshrrev_b16_e32 v26, 8, v22
	v_cmp_ne_u16_e64 s[2:3], 0, v26
	v_mov_b32_e32 v31, 0
	v_mov_b32_e32 v32, 0
	s_and_saveexec_b64 s[10:11], s[2:3]
	s_cbranch_execz .LBB406_386
; %bb.381:
	s_movk_i32 s2, 0x80
	v_cmp_ne_u16_e64 s[2:3], s2, v26
	v_bfrev_b32_e32 v32, 1
	s_and_saveexec_b64 s[20:21], s[2:3]
	s_cbranch_execz .LBB406_385
; %bb.382:
	s_movk_i32 s2, 0x7f
	v_and_b32_e32 v33, 0x7f, v26
	v_cmp_ne_u32_e64 s[2:3], s2, v33
	v_mov_b32_e32 v32, 0x7f800001
	s_and_saveexec_b64 s[22:23], s[2:3]
	s_cbranch_execz .LBB406_384
; %bb.383:
	v_and_b32_e32 v32, 7, v26
	v_ffbh_u32_e32 v34, v32
	v_min_u32_e32 v37, 32, v34
	v_subrev_u32_e32 v34, 28, v37
	v_lshlrev_b64 v[34:35], v34, v[26:27]
	v_lshrrev_b32_e32 v36, 3, v33
	v_sub_u32_e32 v26, 29, v37
	v_and_b32_e32 v34, 7, v34
	v_cmp_gt_u32_e64 s[2:3], 8, v33
	v_cndmask_b32_e64 v26, v36, v26, s[2:3]
	v_cndmask_b32_e64 v32, v32, v34, s[2:3]
	v_lshlrev_b32_e32 v22, 16, v22
	v_bfrev_b32_e32 v33, 60
	v_lshlrev_b32_e32 v32, 20, v32
	v_and_b32_e32 v22, 0x80000000, v22
	v_lshl_add_u32 v26, v26, 23, v33
	v_or3_b32 v32, v22, v26, v32
.LBB406_384:
	s_or_b64 exec, exec, s[22:23]
.LBB406_385:
	s_or_b64 exec, exec, s[20:21]
.LBB406_386:
	s_or_b64 exec, exec, s[10:11]
	s_movk_i32 s2, 0xff
	v_and_b32_sdwa v26, v25, s2 dst_sel:DWORD dst_unused:UNUSED_PAD src0_sel:WORD_1 src1_sel:DWORD
	v_lshrrev_b32_e32 v22, 16, v25
	v_cmp_ne_u16_e64 s[2:3], 0, v26
	s_and_saveexec_b64 s[10:11], s[2:3]
	s_cbranch_execz .LBB406_392
; %bb.387:
	s_movk_i32 s2, 0x80
	v_cmp_ne_u16_e64 s[2:3], s2, v26
	v_bfrev_b32_e32 v31, 1
	s_and_saveexec_b64 s[20:21], s[2:3]
	s_cbranch_execz .LBB406_391
; %bb.388:
	v_bfe_u32 v26, v25, 16, 7
	s_movk_i32 s2, 0x7f
	v_cmp_ne_u32_e64 s[2:3], s2, v26
	v_mov_b32_e32 v31, 0x7f800001
	s_and_saveexec_b64 s[22:23], s[2:3]
	s_cbranch_execz .LBB406_390
; %bb.389:
	v_and_b32_e32 v31, 7, v22
	v_ffbh_u32_e32 v34, v31
	v_min_u32_e32 v36, 32, v34
	v_subrev_u32_e32 v34, 28, v36
	v_lshlrev_b64 v[34:35], v34, v[22:23]
	v_and_b32_e32 v34, 7, v34
	v_cmp_gt_u32_e64 s[2:3], 8, v26
	v_lshrrev_b32_e32 v33, 3, v26
	v_sub_u32_e32 v22, 29, v36
	v_cndmask_b32_e64 v26, v31, v34, s[2:3]
	v_mov_b32_e32 v31, 24
	v_cndmask_b32_e64 v22, v33, v22, s[2:3]
	v_lshlrev_b32_sdwa v31, v31, v25 dst_sel:DWORD dst_unused:UNUSED_PAD src0_sel:DWORD src1_sel:WORD_1
	v_bfrev_b32_e32 v33, 60
	v_lshlrev_b32_e32 v26, 20, v26
	v_and_b32_e32 v31, 0x80000000, v31
	v_lshl_add_u32 v22, v22, 23, v33
	v_or3_b32 v31, v31, v22, v26
.LBB406_390:
	s_or_b64 exec, exec, s[22:23]
.LBB406_391:
	s_or_b64 exec, exec, s[20:21]
.LBB406_392:
	s_or_b64 exec, exec, s[10:11]
	s_mov_b32 s2, -1
	s_mov_b32 s3, 0xffffff
	v_cmp_lt_u64_e64 s[2:3], s[2:3], v[24:25]
	v_mov_b32_e32 v24, 0
	s_and_saveexec_b64 s[10:11], s[2:3]
	s_cbranch_execz .LBB406_398
; %bb.393:
	v_lshrrev_b32_e32 v22, 24, v25
	s_movk_i32 s2, 0x80
	v_cmp_ne_u32_e64 s[2:3], s2, v22
	v_bfrev_b32_e32 v24, 1
	s_and_saveexec_b64 s[20:21], s[2:3]
	s_cbranch_execz .LBB406_397
; %bb.394:
	v_bfe_u32 v25, v25, 24, 7
	s_movk_i32 s2, 0x7f
	v_cmp_ne_u32_e64 s[2:3], s2, v25
	v_mov_b32_e32 v24, 0x7f800001
	s_and_saveexec_b64 s[22:23], s[2:3]
	s_cbranch_execz .LBB406_396
; %bb.395:
	v_and_b32_e32 v24, 7, v22
	v_ffbh_u32_e32 v33, v24
	v_min_u32_e32 v33, 32, v33
	v_subrev_u32_e32 v34, 28, v33
	v_lshlrev_b64 v[34:35], v34, v[22:23]
	v_lshrrev_b32_e32 v26, 3, v25
	v_sub_u32_e32 v33, 29, v33
	v_and_b32_e32 v34, 7, v34
	v_cmp_gt_u32_e64 s[2:3], 8, v25
	v_cndmask_b32_e64 v25, v26, v33, s[2:3]
	v_cndmask_b32_e64 v24, v24, v34, s[2:3]
	v_lshlrev_b32_e32 v22, 24, v22
	v_bfrev_b32_e32 v26, 60
	v_lshlrev_b32_e32 v24, 20, v24
	v_and_b32_e32 v22, 0x80000000, v22
	v_lshl_add_u32 v25, v25, 23, v26
	v_or3_b32 v24, v22, v25, v24
.LBB406_396:
	s_or_b64 exec, exec, s[22:23]
.LBB406_397:
	s_or_b64 exec, exec, s[20:21]
.LBB406_398:
	s_or_b64 exec, exec, s[10:11]
	s_load_dword s2, s[4:5], 0x1c
	v_cvt_pkrtz_f16_f32 v26, v28, v29
	v_cvt_pkrtz_f16_f32 v27, v27, v30
	s_load_dword s3, s[12:13], 0x0
	v_cvt_pkrtz_f16_f32 v22, v23, v32
	v_mfma_f32_4x4x4f16 a[0:3], v[18:19], v[26:27], a[0:3] cbsz:4 abid:7
	v_cvt_pkrtz_f16_f32 v23, v31, v24
	s_waitcnt lgkmcnt(0)
	v_mov_b32_e32 v18, s2
	v_mul_f32_e32 v18, s3, v18
	v_mfma_f32_4x4x4f16 a[0:3], v[20:21], v[22:23], a[0:3] cbsz:4 abid:7
	s_nop 4
	v_accvgpr_read_b32 v21, a1
	v_accvgpr_read_b32 v20, a0
	v_pk_mul_f32 v[20:21], v[20:21], v[18:19] op_sel_hi:[1,0]
	v_accvgpr_read_b32 v23, a3
	v_accvgpr_read_b32 v22, a2
	v_pk_mul_f32 v[18:19], v[22:23], v[18:19] op_sel_hi:[1,0]
	v_cndmask_b32_e64 v22, 0, 1.0, vcc
	v_cmp_eq_u32_e32 vcc, 1, v43
	s_nop 0
	v_mfma_f32_4x4x1f32 a[0:3], v20, v22, 0
	v_cndmask_b32_e64 v20, 0, 1.0, vcc
	v_cmp_eq_u32_e32 vcc, 2, v43
	v_mov_b32_e32 v22, 0xff7fffff
	v_mfma_f32_4x4x1f32 a[0:3], v21, v20, a[0:3]
	v_cndmask_b32_e64 v20, 0, 1.0, vcc
	v_cmp_eq_u32_e32 vcc, 3, v43
	s_nop 0
	v_mfma_f32_4x4x1f32 a[0:3], v18, v20, a[0:3]
	v_cndmask_b32_e64 v18, 0, 1.0, vcc
	s_nop 1
	v_mfma_f32_4x4x1f32 a[0:3], v19, v18, a[0:3]
	v_and_b32_e32 v18, -4, v44
	v_cmp_gt_i32_e32 vcc, s7, v18
	v_lshlrev_b32_e32 v19, 2, v0
	v_and_or_b32 v19, v19, 48, v43
	s_nop 0
	v_accvgpr_read_b32 v20, a0
	v_max_f32_e32 v21, v20, v20
	v_max_f32_e32 v21, 0xff7fffff, v21
	v_accvgpr_read_b32 v23, a1
	v_cndmask_b32_e32 v21, v22, v21, vcc
	v_or_b32_e32 v22, 1, v18
	v_max_f32_e32 v24, v23, v23
	v_max_f32_e32 v24, v21, v24
	v_cmp_gt_i32_e64 s[2:3], s7, v22
	v_accvgpr_read_b32 v22, a2
	v_cndmask_b32_e64 v21, v21, v24, s[2:3]
	v_or_b32_e32 v18, 2, v18
	v_max_f32_e32 v24, v22, v22
	v_max_f32_e32 v24, v21, v24
	v_cmp_gt_i32_e64 s[4:5], s7, v18
	v_cndmask_b32_e64 v18, v21, v24, s[4:5]
	v_accvgpr_read_b32 v24, a3
	v_or_b32_e32 v21, 3, v44
	v_max_f32_e32 v25, v24, v24
	v_max_f32_e32 v25, v18, v25
	v_cmp_gt_i32_e64 s[10:11], s7, v21
	v_cndmask_b32_e64 v18, v18, v25, s[10:11]
	;;#ASMSTART
	v_nop
 v_nop
 v_max_f32_dpp v18, v18, v18 row_ror:4
	;;#ASMEND
	v_lshlrev_b32_e32 v25, 2, v19
	;;#ASMSTART
	v_nop
 v_nop
 v_max_f32_dpp v18, v18, v18 row_ror:8
	;;#ASMEND
	ds_bpermute_b32 v18, v25, v18
	s_waitcnt lgkmcnt(0)
	;;#ASMSTART
	v_nop
 v_nop
 v_max_f32_dpp v18, v18, v18 row_ror:4
	;;#ASMEND
	;;#ASMSTART
	v_nop
 v_nop
 v_max_f32_dpp v26, v18, v18 row_ror:8
	;;#ASMEND
	v_sub_f32_e32 v18, v20, v26
	v_mul_f32_e32 v18, 0x3fb8aa3b, v18
	v_sub_f32_e32 v19, v23, v26
	v_exp_f32_e32 v18, v18
	v_mul_f32_e32 v19, 0x3fb8aa3b, v19
	v_sub_f32_e32 v21, v22, v26
	v_exp_f32_e32 v19, v19
	;; [unrolled: 3-line block ×3, first 2 shown]
	v_mul_f32_e32 v22, 0x3fb8aa3b, v22
	v_exp_f32_e32 v22, v22
	v_cndmask_b32_e32 v18, 0, v18, vcc
	v_add_f32_e32 v20, 0, v18
	v_cndmask_b32_e64 v19, 0, v19, s[2:3]
	v_add_f32_e32 v23, v20, v19
	v_cndmask_b32_e64 v20, 0, v21, s[4:5]
	;; [unrolled: 2-line block ×3, first 2 shown]
	v_add_f32_e32 v22, v23, v21
	;;#ASMSTART
	v_nop
 v_nop
 v_add_f32_dpp v22, v22, v22 row_ror:4
	;;#ASMEND
	;;#ASMSTART
	v_nop
 v_nop
 v_add_f32_dpp v22, v22, v22 row_ror:8
	;;#ASMEND
	ds_bpermute_b32 v22, v25, v22
	s_waitcnt lgkmcnt(0)
	;;#ASMSTART
	v_nop
 v_nop
 v_add_f32_dpp v22, v22, v22 row_ror:4
	;;#ASMEND
	v_cmp_gt_u32_e32 vcc, 4, v1
	;;#ASMSTART
	v_nop
 v_nop
 v_add_f32_dpp v22, v22, v22 row_ror:8
	;;#ASMEND
	s_and_saveexec_b64 s[2:3], vcc
	s_cbranch_execz .LBB406_400
; %bb.399:
	v_mul_u32_u24_e32 v23, 20, v42
	v_lshl_add_u32 v23, v43, 2, v23
	v_add_u32_e32 v23, 0x800, v23
	ds_write2_b32 v23, v26, v22 offset0:128 offset1:148
.LBB406_400:
	s_or_b64 exec, exec, s[2:3]
.LBB406_401:
	s_or_b64 exec, exec, s[36:37]
	s_waitcnt lgkmcnt(0)
	s_barrier
	s_load_dword s2, s[34:35], 0x8
	v_lshlrev_b32_e32 v22, 2, v43
	v_add_u32_e32 v30, 0x800, v22
	ds_read2_b32 v[22:23], v30 offset0:128 offset1:133
	ds_read2_b32 v[24:25], v30 offset0:138 offset1:143
	s_mul_i32 s3, s9, s6
	s_waitcnt lgkmcnt(0)
	s_mul_i32 s2, s3, s2
	s_mov_b32 s3, 0xff7fffff
	v_max3_f32 v27, v22, s3, v23
	v_max3_f32 v27, v27, v24, v25
	v_sub_f32_e32 v22, v22, v27
	ds_read2_b32 v[28:29], v30 offset0:148 offset1:153
	v_mul_f32_e32 v22, 0x3fb8aa3b, v22
	v_sub_f32_e32 v23, v23, v27
	v_exp_f32_e32 v32, v22
	v_mul_f32_e32 v23, 0x3fb8aa3b, v23
	v_sub_f32_e32 v24, v24, v27
	v_exp_f32_e32 v23, v23
	ds_read2_b32 v[30:31], v30 offset0:158 offset1:163
	v_mul_f32_e32 v24, 0x3fb8aa3b, v24
	v_sub_f32_e32 v25, v25, v27
	v_exp_f32_e32 v24, v24
	v_mul_f32_e32 v25, 0x3fb8aa3b, v25
	v_exp_f32_e32 v25, v25
	s_waitcnt lgkmcnt(1)
	v_fma_f32 v28, v32, v28, 0
	v_fmac_f32_e32 v28, v23, v29
	s_waitcnt lgkmcnt(0)
	v_fmac_f32_e32 v28, v24, v30
	v_mov_b32_e32 v22, 0
	v_fmac_f32_e32 v28, v25, v31
	s_mov_b32 s3, 0
	v_cmp_eq_u32_e32 vcc, 0, v43
	s_and_saveexec_b64 s[4:5], vcc
	s_cbranch_execz .LBB406_403
; %bb.402:
	s_lshl_b64 s[6:7], s[2:3], 2
	s_add_u32 s12, s16, s6
	s_mov_b32 s29, s3
	s_addc_u32 s13, s17, s7
	s_lshl_b64 s[10:11], s[28:29], 2
	s_add_u32 s12, s12, s10
	s_addc_u32 s13, s13, s11
	s_add_u32 s6, s18, s6
	s_addc_u32 s7, s19, s7
	;; [unrolled: 2-line block ×3, first 2 shown]
	s_mul_i32 s6, s9, s8
	s_mov_b32 s7, s3
	s_lshl_b64 s[6:7], s[6:7], 2
	s_add_u32 s10, s12, s6
	s_addc_u32 s11, s13, s7
	s_add_u32 s6, s16, s6
	s_addc_u32 s7, s17, s7
	global_store_dword v22, v27, s[6:7]
	global_store_dword v22, v28, s[10:11]
.LBB406_403:
	s_or_b64 exec, exec, s[4:5]
	v_lshlrev_b32_e32 v25, 3, v42
	s_and_saveexec_b64 s[4:5], s[0:1]
	s_xor_b64 s[0:1], exec, s[4:5]
	s_cbranch_execz .LBB406_405
; %bb.404:
	s_waitcnt vmcnt(0)
	v_mov_b32_e32 v2, 0
	v_mad_u32_u24 v4, v1, 40, v25
	v_mov_b32_e32 v3, v2
	ds_write_b64 v4, v[2:3]
                                        ; implicit-def: $vgpr21
                                        ; implicit-def: $vgpr19
                                        ; implicit-def: $vgpr26
                                        ; implicit-def: $vgpr14_vgpr15
                                        ; implicit-def: $vgpr10_vgpr11
                                        ; implicit-def: $vgpr6_vgpr7
                                        ; implicit-def: $vgpr2_vgpr3
                                        ; implicit-def: $vgpr27
                                        ; implicit-def: $vgpr28
                                        ; implicit-def: $vgpr25
.LBB406_405:
	s_andn2_saveexec_b64 s[0:1], s[0:1]
	s_cbranch_execz .LBB406_791
; %bb.406:
	v_mov_b32_e32 v29, 0
	s_waitcnt vmcnt(3)
	v_cmp_ne_u16_sdwa s[6:7], v14, v29 src0_sel:BYTE_0 src1_sel:DWORD
	v_mov_b32_e32 v30, 0
	s_and_saveexec_b64 s[4:5], s[6:7]
	s_cbranch_execz .LBB406_412
; %bb.407:
	s_movk_i32 s3, 0x80
	v_cmp_ne_u16_sdwa s[10:11], v14, s3 src0_sel:BYTE_0 src1_sel:DWORD
	v_bfrev_b32_e32 v30, 1
	s_and_saveexec_b64 s[6:7], s[10:11]
	s_cbranch_execz .LBB406_411
; %bb.408:
	s_movk_i32 s3, 0x7f
	v_and_b32_e32 v22, 0x7f, v14
	v_cmp_ne_u32_e32 vcc, s3, v22
	v_mov_b32_e32 v30, 0x7f800001
	s_and_saveexec_b64 s[10:11], vcc
	s_cbranch_execz .LBB406_410
; %bb.409:
	v_and_b32_e32 v23, 7, v14
	v_ffbh_u32_e32 v23, v23
	v_min_u32_e32 v23, 32, v23
	v_subrev_u32_e32 v30, 28, v23
	v_cmp_gt_u32_e32 vcc, 8, v22
	v_lshrrev_b32_e32 v24, 3, v22
	v_sub_u32_e32 v23, 29, v23
	v_cndmask_b32_e32 v22, 0, v30, vcc
	v_cndmask_b32_e32 v24, v24, v23, vcc
	v_lshlrev_b64 v[22:23], v22, v[14:15]
	v_lshlrev_b32_e32 v22, 20, v22
	v_lshlrev_b32_e32 v23, 24, v14
	v_bfrev_b32_e32 v30, 60
	v_and_b32_e32 v22, 0x700000, v22
	v_and_b32_e32 v23, 0x80000000, v23
	v_lshl_add_u32 v24, v24, 23, v30
	v_or3_b32 v30, v23, v24, v22
.LBB406_410:
	s_or_b64 exec, exec, s[10:11]
.LBB406_411:
	s_or_b64 exec, exec, s[6:7]
.LBB406_412:
	s_or_b64 exec, exec, s[4:5]
	v_lshrrev_b16_e32 v22, 8, v14
	v_cmp_ne_u16_e32 vcc, 0, v22
	s_and_saveexec_b64 s[4:5], vcc
	s_cbranch_execz .LBB406_418
; %bb.413:
	s_movk_i32 s3, 0x80
	v_cmp_ne_u16_e32 vcc, s3, v22
	v_bfrev_b32_e32 v29, 1
	s_and_saveexec_b64 s[6:7], vcc
	s_cbranch_execz .LBB406_417
; %bb.414:
	s_movk_i32 s3, 0x7f
	v_and_b32_e32 v23, 0x7f, v22
	v_cmp_ne_u32_e32 vcc, s3, v23
	v_mov_b32_e32 v29, 0x7f800001
	s_and_saveexec_b64 s[10:11], vcc
	s_cbranch_execz .LBB406_416
; %bb.415:
	v_and_b32_e32 v24, 7, v22
	v_ffbh_u32_e32 v31, v24
	v_min_u32_e32 v31, 32, v31
	v_subrev_u32_e32 v32, 28, v31
	v_lshlrev_b64 v[32:33], v32, v[22:23]
	v_lshrrev_b32_e32 v29, 3, v23
	v_sub_u32_e32 v22, 29, v31
	v_and_b32_e32 v31, 7, v32
	v_cmp_gt_u32_e32 vcc, 8, v23
	v_cndmask_b32_e32 v22, v29, v22, vcc
	v_cndmask_b32_e32 v23, v24, v31, vcc
	v_lshlrev_b32_e32 v24, 16, v14
	v_bfrev_b32_e32 v29, 60
	v_lshlrev_b32_e32 v23, 20, v23
	v_and_b32_e32 v24, 0x80000000, v24
	v_lshl_add_u32 v22, v22, 23, v29
	v_or3_b32 v29, v24, v22, v23
.LBB406_416:
	s_or_b64 exec, exec, s[10:11]
.LBB406_417:
	s_or_b64 exec, exec, s[6:7]
.LBB406_418:
	s_or_b64 exec, exec, s[4:5]
	s_movk_i32 s3, 0xff
	v_and_b32_sdwa v23, v14, s3 dst_sel:DWORD dst_unused:UNUSED_PAD src0_sel:WORD_1 src1_sel:DWORD
	v_lshrrev_b32_e32 v22, 16, v14
	v_cmp_ne_u16_e32 vcc, 0, v23
	v_mov_b32_e32 v31, 0
	v_mov_b32_e32 v32, 0
	s_and_saveexec_b64 s[4:5], vcc
	s_cbranch_execz .LBB406_424
; %bb.419:
	s_movk_i32 s3, 0x80
	v_cmp_ne_u16_e32 vcc, s3, v23
	v_bfrev_b32_e32 v32, 1
	s_and_saveexec_b64 s[6:7], vcc
	s_cbranch_execz .LBB406_423
; %bb.420:
	v_bfe_u32 v23, v14, 16, 7
	s_movk_i32 s3, 0x7f
	v_cmp_ne_u32_e32 vcc, s3, v23
	v_mov_b32_e32 v32, 0x7f800001
	s_and_saveexec_b64 s[10:11], vcc
	s_cbranch_execz .LBB406_422
; %bb.421:
	v_and_b32_e32 v24, 7, v22
	v_ffbh_u32_e32 v32, v24
	v_min_u32_e32 v35, 32, v32
	v_subrev_u32_e32 v32, 28, v35
	v_lshlrev_b64 v[32:33], v32, v[22:23]
	v_and_b32_e32 v32, 7, v32
	v_cmp_gt_u32_e32 vcc, 8, v23
	v_lshrrev_b32_e32 v34, 3, v23
	v_sub_u32_e32 v22, 29, v35
	v_cndmask_b32_e32 v23, v24, v32, vcc
	v_mov_b32_e32 v24, 24
	v_cndmask_b32_e32 v22, v34, v22, vcc
	v_lshlrev_b32_sdwa v24, v24, v14 dst_sel:DWORD dst_unused:UNUSED_PAD src0_sel:DWORD src1_sel:WORD_1
	v_bfrev_b32_e32 v32, 60
	v_lshlrev_b32_e32 v23, 20, v23
	v_and_b32_e32 v24, 0x80000000, v24
	v_lshl_add_u32 v22, v22, 23, v32
	v_or3_b32 v32, v24, v22, v23
.LBB406_422:
	s_or_b64 exec, exec, s[10:11]
.LBB406_423:
	s_or_b64 exec, exec, s[6:7]
.LBB406_424:
	s_or_b64 exec, exec, s[4:5]
	s_mov_b32 s3, 0xffffff
	v_cmp_lt_u32_e32 vcc, s3, v14
	s_and_saveexec_b64 s[4:5], vcc
	s_cbranch_execz .LBB406_430
; %bb.425:
	v_lshrrev_b32_e32 v22, 24, v14
	s_movk_i32 s3, 0x80
	v_cmp_ne_u32_e32 vcc, s3, v22
	v_bfrev_b32_e32 v31, 1
	s_and_saveexec_b64 s[6:7], vcc
	s_cbranch_execz .LBB406_429
; %bb.426:
	v_bfe_u32 v23, v14, 24, 7
	s_movk_i32 s3, 0x7f
	v_cmp_ne_u32_e32 vcc, s3, v23
	v_mov_b32_e32 v31, 0x7f800001
	s_and_saveexec_b64 s[10:11], vcc
	s_cbranch_execz .LBB406_428
; %bb.427:
	v_and_b32_e32 v24, 7, v22
	v_ffbh_u32_e32 v33, v24
	v_min_u32_e32 v33, 32, v33
	v_subrev_u32_e32 v34, 28, v33
	v_lshlrev_b64 v[34:35], v34, v[22:23]
	v_lshrrev_b32_e32 v31, 3, v23
	v_sub_u32_e32 v33, 29, v33
	v_and_b32_e32 v34, 7, v34
	v_cmp_gt_u32_e32 vcc, 8, v23
	v_cndmask_b32_e32 v23, v31, v33, vcc
	v_cndmask_b32_e32 v24, v24, v34, vcc
	v_lshlrev_b32_e32 v22, 24, v22
	v_bfrev_b32_e32 v31, 60
	v_lshlrev_b32_e32 v24, 20, v24
	v_and_b32_e32 v22, 0x80000000, v22
	v_lshl_add_u32 v23, v23, 23, v31
	v_or3_b32 v31, v22, v23, v24
.LBB406_428:
	s_or_b64 exec, exec, s[10:11]
.LBB406_429:
	s_or_b64 exec, exec, s[6:7]
.LBB406_430:
	s_or_b64 exec, exec, s[4:5]
	v_mov_b32_e32 v23, 0
	v_mov_b32_e32 v22, v15
	v_cmp_ne_u16_sdwa s[6:7], v15, v23 src0_sel:BYTE_0 src1_sel:DWORD
	v_mov_b32_e32 v33, v23
	s_and_saveexec_b64 s[4:5], s[6:7]
	s_cbranch_execz .LBB406_436
; %bb.431:
	s_movk_i32 s3, 0x80
	v_cmp_ne_u16_sdwa s[10:11], v15, s3 src0_sel:BYTE_0 src1_sel:DWORD
	v_bfrev_b32_e32 v33, 1
	s_and_saveexec_b64 s[6:7], s[10:11]
	s_cbranch_execz .LBB406_435
; %bb.432:
	s_movk_i32 s3, 0x7f
	v_and_b32_e32 v24, 0x7f, v15
	v_cmp_ne_u32_e32 vcc, s3, v24
	v_mov_b32_e32 v33, 0x7f800001
	s_and_saveexec_b64 s[10:11], vcc
	s_cbranch_execz .LBB406_434
; %bb.433:
	v_and_b32_e32 v33, 7, v15
	v_ffbh_u32_e32 v33, v33
	v_min_u32_e32 v33, 32, v33
	v_lshrrev_b32_e32 v34, 3, v24
	v_subrev_u32_e32 v35, 28, v33
	v_sub_u32_e32 v33, 29, v33
	v_cmp_gt_u32_e32 vcc, 8, v24
	v_cndmask_b32_e32 v24, v34, v33, vcc
	v_cndmask_b32_e32 v33, 0, v35, vcc
	v_lshlrev_b64 v[34:35], v33, v[22:23]
	v_lshlrev_b32_e32 v33, 20, v34
	v_lshlrev_b32_e32 v34, 24, v22
	v_bfrev_b32_e32 v35, 60
	v_and_b32_e32 v33, 0x700000, v33
	v_and_b32_e32 v34, 0x80000000, v34
	v_lshl_add_u32 v24, v24, 23, v35
	v_or3_b32 v33, v34, v24, v33
.LBB406_434:
	s_or_b64 exec, exec, s[10:11]
.LBB406_435:
	s_or_b64 exec, exec, s[6:7]
.LBB406_436:
	s_or_b64 exec, exec, s[4:5]
	v_lshrrev_b16_e32 v24, 8, v22
	v_cmp_ne_u16_e32 vcc, 0, v24
	s_and_saveexec_b64 s[4:5], vcc
	s_cbranch_execz .LBB406_442
; %bb.437:
	s_movk_i32 s3, 0x80
	v_cmp_ne_u16_e32 vcc, s3, v24
	v_bfrev_b32_e32 v23, 1
	s_and_saveexec_b64 s[6:7], vcc
	s_cbranch_execz .LBB406_441
; %bb.438:
	s_movk_i32 s3, 0x7f
	v_and_b32_e32 v34, 0x7f, v24
	v_cmp_ne_u32_e32 vcc, s3, v34
	v_mov_b32_e32 v23, 0x7f800001
	s_and_saveexec_b64 s[10:11], vcc
	s_cbranch_execz .LBB406_440
; %bb.439:
	v_and_b32_e32 v23, 7, v24
	v_ffbh_u32_e32 v36, v23
	v_min_u32_e32 v38, 32, v36
	v_subrev_u32_e32 v36, 28, v38
	v_lshlrev_b64 v[36:37], v36, v[24:25]
	v_lshrrev_b32_e32 v35, 3, v34
	v_sub_u32_e32 v24, 29, v38
	v_and_b32_e32 v36, 7, v36
	v_cmp_gt_u32_e32 vcc, 8, v34
	v_cndmask_b32_e32 v24, v35, v24, vcc
	v_cndmask_b32_e32 v23, v23, v36, vcc
	v_lshlrev_b32_e32 v22, 16, v22
	v_bfrev_b32_e32 v34, 60
	v_lshlrev_b32_e32 v23, 20, v23
	v_and_b32_e32 v22, 0x80000000, v22
	v_lshl_add_u32 v24, v24, 23, v34
	v_or3_b32 v23, v22, v24, v23
.LBB406_440:
	s_or_b64 exec, exec, s[10:11]
.LBB406_441:
	s_or_b64 exec, exec, s[6:7]
.LBB406_442:
	s_or_b64 exec, exec, s[4:5]
	s_movk_i32 s3, 0xff
	v_and_b32_sdwa v35, v15, s3 dst_sel:DWORD dst_unused:UNUSED_PAD src0_sel:WORD_1 src1_sel:DWORD
	v_lshrrev_b32_e32 v22, 16, v15
	v_cmp_ne_u16_e32 vcc, 0, v35
	v_mov_b32_e32 v24, 0
	v_mov_b32_e32 v34, 0
	s_and_saveexec_b64 s[4:5], vcc
	s_cbranch_execz .LBB406_448
; %bb.443:
	s_movk_i32 s3, 0x80
	v_cmp_ne_u16_e32 vcc, s3, v35
	v_bfrev_b32_e32 v34, 1
	s_and_saveexec_b64 s[6:7], vcc
	s_cbranch_execz .LBB406_447
; %bb.444:
	v_bfe_u32 v35, v15, 16, 7
	s_movk_i32 s3, 0x7f
	v_cmp_ne_u32_e32 vcc, s3, v35
	v_mov_b32_e32 v34, 0x7f800001
	s_and_saveexec_b64 s[10:11], vcc
	s_cbranch_execz .LBB406_446
; %bb.445:
	v_and_b32_e32 v34, 7, v22
	v_ffbh_u32_e32 v36, v34
	v_min_u32_e32 v39, 32, v36
	v_subrev_u32_e32 v36, 28, v39
	v_lshlrev_b64 v[36:37], v36, v[22:23]
	v_lshrrev_b32_e32 v38, 3, v35
	v_sub_u32_e32 v22, 29, v39
	v_and_b32_e32 v36, 7, v36
	v_cmp_gt_u32_e32 vcc, 8, v35
	v_mov_b32_e32 v35, 24
	v_cndmask_b32_e32 v22, v38, v22, vcc
	v_cndmask_b32_e32 v34, v34, v36, vcc
	v_lshlrev_b32_sdwa v35, v35, v15 dst_sel:DWORD dst_unused:UNUSED_PAD src0_sel:DWORD src1_sel:WORD_1
	v_bfrev_b32_e32 v36, 60
	v_lshlrev_b32_e32 v34, 20, v34
	v_and_b32_e32 v35, 0x80000000, v35
	v_lshl_add_u32 v22, v22, 23, v36
	v_or3_b32 v34, v35, v22, v34
.LBB406_446:
	s_or_b64 exec, exec, s[10:11]
.LBB406_447:
	s_or_b64 exec, exec, s[6:7]
.LBB406_448:
	s_or_b64 exec, exec, s[4:5]
	s_mov_b32 s4, -1
	s_mov_b32 s5, 0xffffff
	v_cmp_lt_u64_e32 vcc, s[4:5], v[14:15]
	s_and_saveexec_b64 s[4:5], vcc
	s_cbranch_execz .LBB406_454
; %bb.449:
	v_lshrrev_b32_e32 v14, 24, v15
	s_movk_i32 s3, 0x80
	v_cmp_ne_u32_e32 vcc, s3, v14
	v_bfrev_b32_e32 v24, 1
	s_and_saveexec_b64 s[6:7], vcc
	s_cbranch_execz .LBB406_453
; %bb.450:
	v_bfe_u32 v15, v15, 24, 7
	s_movk_i32 s3, 0x7f
	v_cmp_ne_u32_e32 vcc, s3, v15
	v_mov_b32_e32 v24, 0x7f800001
	s_and_saveexec_b64 s[10:11], vcc
	s_cbranch_execz .LBB406_452
; %bb.451:
	v_and_b32_e32 v22, 7, v14
	v_ffbh_u32_e32 v35, v22
	v_min_u32_e32 v35, 32, v35
	v_subrev_u32_e32 v36, 28, v35
	v_lshlrev_b64 v[36:37], v36, v[14:15]
	v_lshrrev_b32_e32 v24, 3, v15
	v_sub_u32_e32 v35, 29, v35
	v_and_b32_e32 v36, 7, v36
	v_cmp_gt_u32_e32 vcc, 8, v15
	v_cndmask_b32_e32 v15, v24, v35, vcc
	v_cndmask_b32_e32 v22, v22, v36, vcc
	v_lshlrev_b32_e32 v14, 24, v14
	v_bfrev_b32_e32 v24, 60
	v_lshlrev_b32_e32 v22, 20, v22
	v_and_b32_e32 v14, 0x80000000, v14
	v_lshl_add_u32 v15, v15, 23, v24
	v_or3_b32 v24, v14, v15, v22
.LBB406_452:
	s_or_b64 exec, exec, s[10:11]
.LBB406_453:
	s_or_b64 exec, exec, s[6:7]
.LBB406_454:
	s_or_b64 exec, exec, s[4:5]
	v_add_f32_e32 v14, 0x358637bd, v28
	v_div_scale_f32 v15, s[4:5], v14, v14, 1.0
	v_rcp_f32_e32 v22, v15
	v_div_scale_f32 v28, vcc, 1.0, v14, 1.0
	v_sub_f32_e32 v26, v26, v27
	v_fma_f32 v35, -v15, v22, 1.0
	v_fmac_f32_e32 v22, v35, v22
	v_mul_f32_e32 v35, v28, v22
	v_fma_f32 v36, -v15, v35, v28
	v_mul_f32_e32 v26, 0x3fb8aa3b, v26
	v_fmac_f32_e32 v35, v36, v22
	v_exp_f32_e32 v26, v26
	v_fma_f32 v15, -v15, v35, v28
	v_div_fmas_f32 v15, v15, v22, v35
	v_div_fixup_f32 v14, v15, v14, 1.0
	v_mul_f32_e32 v14, v26, v14
	v_pk_mul_f32 v[20:21], v[20:21], v[14:15] op_sel_hi:[1,0]
	v_pk_mul_f32 v[14:15], v[18:19], v[14:15] op_sel_hi:[1,0]
	v_cvt_f16_f32_e32 v14, v14
	v_cvt_f16_f32_e32 v15, v15
	;; [unrolled: 1-line block ×4, first 2 shown]
	v_cvt_pkrtz_f16_f32 v22, v33, v23
	v_pack_b32_f16 v14, v14, v15
	v_cvt_pkrtz_f16_f32 v23, v34, v24
	v_pack_b32_f16 v15, v18, v19
	v_cvt_pkrtz_f16_f32 v18, v30, v29
	v_cvt_pkrtz_f16_f32 v19, v32, v31
	v_mov_b32_e32 v21, 0
	s_nop 0
	v_mfma_f32_4x4x4f16 a[0:3], v[14:15], v[18:19], 0 cbsz:4
	v_mfma_f32_4x4x4f16 a[0:3], v[14:15], v[22:23], a[0:3] cbsz:4 abid:1
	v_mov_b32_e32 v22, 0
	v_cmp_ne_u16_sdwa s[6:7], v16, v22 src0_sel:BYTE_0 src1_sel:DWORD
	s_and_saveexec_b64 s[4:5], s[6:7]
	s_cbranch_execz .LBB406_460
; %bb.455:
	s_movk_i32 s3, 0x80
	v_cmp_ne_u16_sdwa s[10:11], v16, s3 src0_sel:BYTE_0 src1_sel:DWORD
	v_bfrev_b32_e32 v21, 1
	s_and_saveexec_b64 s[6:7], s[10:11]
	s_cbranch_execz .LBB406_459
; %bb.456:
	s_movk_i32 s3, 0x7f
	v_and_b32_e32 v18, 0x7f, v16
	v_cmp_ne_u32_e32 vcc, s3, v18
	v_mov_b32_e32 v21, 0x7f800001
	s_and_saveexec_b64 s[10:11], vcc
	s_cbranch_execz .LBB406_458
; %bb.457:
	v_and_b32_e32 v19, 7, v16
	v_ffbh_u32_e32 v19, v19
	v_min_u32_e32 v19, 32, v19
	v_subrev_u32_e32 v21, 28, v19
	v_cmp_gt_u32_e32 vcc, 8, v18
	v_lshrrev_b32_e32 v20, 3, v18
	v_sub_u32_e32 v19, 29, v19
	v_cndmask_b32_e32 v18, 0, v21, vcc
	v_cndmask_b32_e32 v20, v20, v19, vcc
	v_lshlrev_b64 v[18:19], v18, v[16:17]
	v_lshlrev_b32_e32 v18, 20, v18
	v_lshlrev_b32_e32 v19, 24, v16
	v_bfrev_b32_e32 v21, 60
	v_and_b32_e32 v18, 0x700000, v18
	v_and_b32_e32 v19, 0x80000000, v19
	v_lshl_add_u32 v20, v20, 23, v21
	v_or3_b32 v21, v19, v20, v18
.LBB406_458:
	s_or_b64 exec, exec, s[10:11]
.LBB406_459:
	s_or_b64 exec, exec, s[6:7]
.LBB406_460:
	s_or_b64 exec, exec, s[4:5]
	v_lshrrev_b16_e32 v18, 8, v16
	v_cmp_ne_u16_e32 vcc, 0, v18
	v_mov_b32_e32 v23, 0
	s_and_saveexec_b64 s[4:5], vcc
	s_cbranch_execz .LBB406_466
; %bb.461:
	s_movk_i32 s3, 0x80
	v_cmp_ne_u16_e32 vcc, s3, v18
	v_bfrev_b32_e32 v23, 1
	s_and_saveexec_b64 s[6:7], vcc
	s_cbranch_execz .LBB406_465
; %bb.462:
	s_movk_i32 s3, 0x7f
	v_and_b32_e32 v19, 0x7f, v18
	v_cmp_ne_u32_e32 vcc, s3, v19
	v_mov_b32_e32 v23, 0x7f800001
	s_and_saveexec_b64 s[10:11], vcc
	s_cbranch_execz .LBB406_464
; %bb.463:
	v_and_b32_e32 v20, 7, v18
	v_ffbh_u32_e32 v24, v20
	v_min_u32_e32 v24, 32, v24
	v_subrev_u32_e32 v26, 28, v24
	v_lshlrev_b64 v[26:27], v26, v[18:19]
	v_lshrrev_b32_e32 v23, 3, v19
	v_sub_u32_e32 v18, 29, v24
	v_and_b32_e32 v24, 7, v26
	v_cmp_gt_u32_e32 vcc, 8, v19
	v_cndmask_b32_e32 v18, v23, v18, vcc
	v_cndmask_b32_e32 v19, v20, v24, vcc
	v_lshlrev_b32_e32 v20, 16, v16
	v_bfrev_b32_e32 v23, 60
	v_lshlrev_b32_e32 v19, 20, v19
	v_and_b32_e32 v20, 0x80000000, v20
	v_lshl_add_u32 v18, v18, 23, v23
	v_or3_b32 v23, v20, v18, v19
.LBB406_464:
	s_or_b64 exec, exec, s[10:11]
.LBB406_465:
	s_or_b64 exec, exec, s[6:7]
.LBB406_466:
	s_or_b64 exec, exec, s[4:5]
	s_movk_i32 s3, 0xff
	v_and_b32_sdwa v19, v16, s3 dst_sel:DWORD dst_unused:UNUSED_PAD src0_sel:WORD_1 src1_sel:DWORD
	v_lshrrev_b32_e32 v18, 16, v16
	v_cmp_ne_u16_e32 vcc, 0, v19
	s_and_saveexec_b64 s[4:5], vcc
	s_cbranch_execz .LBB406_472
; %bb.467:
	s_movk_i32 s3, 0x80
	v_cmp_ne_u16_e32 vcc, s3, v19
	v_bfrev_b32_e32 v22, 1
	s_and_saveexec_b64 s[6:7], vcc
	s_cbranch_execz .LBB406_471
; %bb.468:
	v_bfe_u32 v19, v16, 16, 7
	s_movk_i32 s3, 0x7f
	v_cmp_ne_u32_e32 vcc, s3, v19
	v_mov_b32_e32 v22, 0x7f800001
	s_and_saveexec_b64 s[10:11], vcc
	s_cbranch_execz .LBB406_470
; %bb.469:
	v_and_b32_e32 v20, 7, v18
	v_ffbh_u32_e32 v24, v20
	v_min_u32_e32 v24, 32, v24
	v_subrev_u32_e32 v26, 28, v24
	v_lshlrev_b64 v[26:27], v26, v[18:19]
	v_sub_u32_e32 v18, 29, v24
	v_and_b32_e32 v24, 7, v26
	v_cmp_gt_u32_e32 vcc, 8, v19
	v_lshrrev_b32_e32 v22, 3, v19
	v_cndmask_b32_e32 v19, v20, v24, vcc
	v_mov_b32_e32 v20, 24
	v_cndmask_b32_e32 v18, v22, v18, vcc
	v_lshlrev_b32_sdwa v20, v20, v16 dst_sel:DWORD dst_unused:UNUSED_PAD src0_sel:DWORD src1_sel:WORD_1
	v_bfrev_b32_e32 v22, 60
	v_lshlrev_b32_e32 v19, 20, v19
	v_and_b32_e32 v20, 0x80000000, v20
	v_lshl_add_u32 v18, v18, 23, v22
	v_or3_b32 v22, v20, v18, v19
.LBB406_470:
	s_or_b64 exec, exec, s[10:11]
.LBB406_471:
	s_or_b64 exec, exec, s[6:7]
.LBB406_472:
	s_or_b64 exec, exec, s[4:5]
	s_mov_b32 s3, 0xffffff
	v_cmp_lt_u32_e32 vcc, s3, v16
	v_mov_b32_e32 v19, 0
	v_mov_b32_e32 v24, 0
	s_and_saveexec_b64 s[4:5], vcc
	s_cbranch_execz .LBB406_478
; %bb.473:
	v_lshrrev_b32_e32 v18, 24, v16
	s_movk_i32 s3, 0x80
	v_cmp_ne_u32_e32 vcc, s3, v18
	v_bfrev_b32_e32 v24, 1
	s_and_saveexec_b64 s[6:7], vcc
	s_cbranch_execz .LBB406_477
; %bb.474:
	v_bfe_u32 v20, v16, 24, 7
	s_movk_i32 s3, 0x7f
	v_cmp_ne_u32_e32 vcc, s3, v20
	v_mov_b32_e32 v24, 0x7f800001
	s_and_saveexec_b64 s[10:11], vcc
	s_cbranch_execz .LBB406_476
; %bb.475:
	v_and_b32_e32 v24, 7, v18
	v_ffbh_u32_e32 v26, v24
	v_min_u32_e32 v29, 32, v26
	v_subrev_u32_e32 v26, 28, v29
	v_lshlrev_b64 v[26:27], v26, v[18:19]
	v_lshrrev_b32_e32 v28, 3, v20
	v_sub_u32_e32 v27, 29, v29
	v_and_b32_e32 v26, 7, v26
	v_cmp_gt_u32_e32 vcc, 8, v20
	v_cndmask_b32_e32 v20, v28, v27, vcc
	v_cndmask_b32_e32 v24, v24, v26, vcc
	v_lshlrev_b32_e32 v18, 24, v18
	v_bfrev_b32_e32 v26, 60
	v_lshlrev_b32_e32 v24, 20, v24
	v_and_b32_e32 v18, 0x80000000, v18
	v_lshl_add_u32 v20, v20, 23, v26
	v_or3_b32 v24, v18, v20, v24
.LBB406_476:
	s_or_b64 exec, exec, s[10:11]
.LBB406_477:
	s_or_b64 exec, exec, s[6:7]
.LBB406_478:
	s_or_b64 exec, exec, s[4:5]
	v_mov_b32_e32 v18, v17
	v_cmp_ne_u16_sdwa s[6:7], v17, v19 src0_sel:BYTE_0 src1_sel:DWORD
	s_and_saveexec_b64 s[4:5], s[6:7]
	s_cbranch_execz .LBB406_484
; %bb.479:
	s_movk_i32 s3, 0x80
	v_cmp_ne_u16_sdwa s[10:11], v17, s3 src0_sel:BYTE_0 src1_sel:DWORD
	v_bfrev_b32_e32 v20, 1
	s_and_saveexec_b64 s[6:7], s[10:11]
	s_cbranch_execz .LBB406_483
; %bb.480:
	s_movk_i32 s3, 0x7f
	v_and_b32_e32 v26, 0x7f, v17
	v_cmp_ne_u32_e32 vcc, s3, v26
	v_mov_b32_e32 v20, 0x7f800001
	s_and_saveexec_b64 s[10:11], vcc
	s_cbranch_execz .LBB406_482
; %bb.481:
	v_and_b32_e32 v20, 7, v17
	v_ffbh_u32_e32 v20, v20
	v_min_u32_e32 v20, 32, v20
	v_subrev_u32_e32 v28, 28, v20
	v_cmp_gt_u32_e32 vcc, 8, v26
	v_lshrrev_b32_e32 v27, 3, v26
	v_sub_u32_e32 v20, 29, v20
	v_cndmask_b32_e32 v26, 0, v28, vcc
	v_cndmask_b32_e32 v20, v27, v20, vcc
	v_lshlrev_b64 v[26:27], v26, v[18:19]
	v_lshlrev_b32_e32 v19, 20, v26
	v_lshlrev_b32_e32 v26, 24, v18
	v_bfrev_b32_e32 v27, 60
	v_and_b32_e32 v19, 0x700000, v19
	v_and_b32_e32 v26, 0x80000000, v26
	v_lshl_add_u32 v20, v20, 23, v27
	v_or3_b32 v20, v26, v20, v19
.LBB406_482:
	s_or_b64 exec, exec, s[10:11]
.LBB406_483:
	s_or_b64 exec, exec, s[6:7]
	v_mov_b32_e32 v19, v20
.LBB406_484:
	s_or_b64 exec, exec, s[4:5]
	v_lshrrev_b16_e32 v20, 8, v18
	v_cmp_ne_u16_e32 vcc, 0, v20
	v_mov_b32_e32 v26, 0
	v_mov_b32_e32 v27, 0
	s_and_saveexec_b64 s[4:5], vcc
	s_cbranch_execz .LBB406_490
; %bb.485:
	s_movk_i32 s3, 0x80
	v_cmp_ne_u16_e32 vcc, s3, v20
	v_bfrev_b32_e32 v27, 1
	s_and_saveexec_b64 s[6:7], vcc
	s_cbranch_execz .LBB406_489
; %bb.486:
	s_movk_i32 s3, 0x7f
	v_and_b32_e32 v28, 0x7f, v20
	v_cmp_ne_u32_e32 vcc, s3, v28
	v_mov_b32_e32 v27, 0x7f800001
	s_and_saveexec_b64 s[10:11], vcc
	s_cbranch_execz .LBB406_488
; %bb.487:
	v_and_b32_e32 v27, 7, v20
	v_ffbh_u32_e32 v30, v27
	v_min_u32_e32 v32, 32, v30
	v_subrev_u32_e32 v30, 28, v32
	v_lshlrev_b64 v[30:31], v30, v[20:21]
	v_lshrrev_b32_e32 v29, 3, v28
	v_sub_u32_e32 v20, 29, v32
	v_and_b32_e32 v30, 7, v30
	v_cmp_gt_u32_e32 vcc, 8, v28
	v_cndmask_b32_e32 v20, v29, v20, vcc
	v_cndmask_b32_e32 v27, v27, v30, vcc
	v_lshlrev_b32_e32 v18, 16, v18
	v_bfrev_b32_e32 v28, 60
	v_lshlrev_b32_e32 v27, 20, v27
	v_and_b32_e32 v18, 0x80000000, v18
	v_lshl_add_u32 v20, v20, 23, v28
	v_or3_b32 v27, v18, v20, v27
.LBB406_488:
	s_or_b64 exec, exec, s[10:11]
.LBB406_489:
	s_or_b64 exec, exec, s[6:7]
.LBB406_490:
	s_or_b64 exec, exec, s[4:5]
	s_movk_i32 s3, 0xff
	v_and_b32_sdwa v20, v17, s3 dst_sel:DWORD dst_unused:UNUSED_PAD src0_sel:WORD_1 src1_sel:DWORD
	v_lshrrev_b32_e32 v18, 16, v17
	v_cmp_ne_u16_e32 vcc, 0, v20
	s_and_saveexec_b64 s[4:5], vcc
	s_cbranch_execz .LBB406_496
; %bb.491:
	s_movk_i32 s3, 0x80
	v_cmp_ne_u16_e32 vcc, s3, v20
	v_bfrev_b32_e32 v26, 1
	s_and_saveexec_b64 s[6:7], vcc
	s_cbranch_execz .LBB406_495
; %bb.492:
	v_bfe_u32 v20, v17, 16, 7
	s_movk_i32 s3, 0x7f
	v_cmp_ne_u32_e32 vcc, s3, v20
	v_mov_b32_e32 v26, 0x7f800001
	s_and_saveexec_b64 s[10:11], vcc
	s_cbranch_execz .LBB406_494
; %bb.493:
	v_and_b32_e32 v26, 7, v18
	v_ffbh_u32_e32 v28, v26
	v_min_u32_e32 v31, 32, v28
	v_subrev_u32_e32 v28, 28, v31
	v_lshlrev_b64 v[28:29], v28, v[18:19]
	v_and_b32_e32 v28, 7, v28
	v_cmp_gt_u32_e32 vcc, 8, v20
	v_lshrrev_b32_e32 v30, 3, v20
	v_sub_u32_e32 v18, 29, v31
	v_cndmask_b32_e32 v20, v26, v28, vcc
	v_mov_b32_e32 v26, 24
	v_cndmask_b32_e32 v18, v30, v18, vcc
	v_lshlrev_b32_sdwa v26, v26, v17 dst_sel:DWORD dst_unused:UNUSED_PAD src0_sel:DWORD src1_sel:WORD_1
	v_bfrev_b32_e32 v28, 60
	v_lshlrev_b32_e32 v20, 20, v20
	v_and_b32_e32 v26, 0x80000000, v26
	v_lshl_add_u32 v18, v18, 23, v28
	v_or3_b32 v26, v26, v18, v20
.LBB406_494:
	s_or_b64 exec, exec, s[10:11]
.LBB406_495:
	s_or_b64 exec, exec, s[6:7]
.LBB406_496:
	s_or_b64 exec, exec, s[4:5]
	s_mov_b32 s4, -1
	s_mov_b32 s5, 0xffffff
	v_cmp_lt_u64_e32 vcc, s[4:5], v[16:17]
	v_mov_b32_e32 v20, 0
	v_mov_b32_e32 v18, 0
	s_and_saveexec_b64 s[4:5], vcc
	s_cbranch_execz .LBB406_502
; %bb.497:
	v_lshrrev_b32_e32 v16, 24, v17
	s_movk_i32 s3, 0x80
	v_cmp_ne_u32_e32 vcc, s3, v16
	v_bfrev_b32_e32 v18, 1
	s_and_saveexec_b64 s[6:7], vcc
	s_cbranch_execz .LBB406_501
; %bb.498:
	v_bfe_u32 v17, v17, 24, 7
	s_movk_i32 s3, 0x7f
	v_cmp_ne_u32_e32 vcc, s3, v17
	v_mov_b32_e32 v18, 0x7f800001
	s_and_saveexec_b64 s[10:11], vcc
	s_cbranch_execz .LBB406_500
; %bb.499:
	v_and_b32_e32 v18, 7, v16
	v_ffbh_u32_e32 v28, v18
	v_min_u32_e32 v31, 32, v28
	v_subrev_u32_e32 v28, 28, v31
	v_lshlrev_b64 v[28:29], v28, v[16:17]
	v_lshrrev_b32_e32 v30, 3, v17
	v_sub_u32_e32 v29, 29, v31
	v_and_b32_e32 v28, 7, v28
	v_cmp_gt_u32_e32 vcc, 8, v17
	v_cndmask_b32_e32 v17, v30, v29, vcc
	v_cndmask_b32_e32 v18, v18, v28, vcc
	v_lshlrev_b32_e32 v16, 24, v16
	v_bfrev_b32_e32 v28, 60
	v_lshlrev_b32_e32 v18, 20, v18
	v_and_b32_e32 v16, 0x80000000, v16
	v_lshl_add_u32 v17, v17, 23, v28
	v_or3_b32 v18, v16, v17, v18
.LBB406_500:
	s_or_b64 exec, exec, s[10:11]
.LBB406_501:
	s_or_b64 exec, exec, s[6:7]
.LBB406_502:
	s_or_b64 exec, exec, s[4:5]
	v_cvt_pkrtz_f16_f32 v16, v21, v23
	v_cvt_pkrtz_f16_f32 v17, v22, v24
	;; [unrolled: 1-line block ×4, first 2 shown]
	v_mfma_f32_4x4x4f16 a[0:3], v[14:15], v[16:17], a[0:3] cbsz:4 abid:2
	s_waitcnt vmcnt(2)
	v_cmp_ne_u16_sdwa s[6:7], v10, v20 src0_sel:BYTE_0 src1_sel:DWORD
	v_mfma_f32_4x4x4f16 a[0:3], v[14:15], v[22:23], a[0:3] cbsz:4 abid:3
	s_and_saveexec_b64 s[4:5], s[6:7]
	s_cbranch_execz .LBB406_508
; %bb.503:
	s_movk_i32 s3, 0x80
	v_cmp_ne_u16_sdwa s[10:11], v10, s3 src0_sel:BYTE_0 src1_sel:DWORD
	v_bfrev_b32_e32 v20, 1
	s_and_saveexec_b64 s[6:7], s[10:11]
	s_cbranch_execz .LBB406_507
; %bb.504:
	s_movk_i32 s3, 0x7f
	v_and_b32_e32 v16, 0x7f, v10
	v_cmp_ne_u32_e32 vcc, s3, v16
	v_mov_b32_e32 v20, 0x7f800001
	s_and_saveexec_b64 s[10:11], vcc
	s_cbranch_execz .LBB406_506
; %bb.505:
	v_and_b32_e32 v17, 7, v10
	v_ffbh_u32_e32 v17, v17
	v_min_u32_e32 v17, 32, v17
	v_subrev_u32_e32 v19, 28, v17
	v_cmp_gt_u32_e32 vcc, 8, v16
	v_lshrrev_b32_e32 v18, 3, v16
	v_sub_u32_e32 v17, 29, v17
	v_cndmask_b32_e32 v16, 0, v19, vcc
	v_cndmask_b32_e32 v18, v18, v17, vcc
	v_lshlrev_b64 v[16:17], v16, v[10:11]
	v_lshlrev_b32_e32 v16, 20, v16
	v_lshlrev_b32_e32 v17, 24, v10
	v_bfrev_b32_e32 v19, 60
	v_and_b32_e32 v16, 0x700000, v16
	v_and_b32_e32 v17, 0x80000000, v17
	v_lshl_add_u32 v18, v18, 23, v19
	v_or3_b32 v20, v17, v18, v16
.LBB406_506:
	s_or_b64 exec, exec, s[10:11]
.LBB406_507:
	s_or_b64 exec, exec, s[6:7]
.LBB406_508:
	s_or_b64 exec, exec, s[4:5]
	v_lshrrev_b16_e32 v16, 8, v10
	v_cmp_ne_u16_e32 vcc, 0, v16
	v_mov_b32_e32 v19, 0
	v_mov_b32_e32 v21, 0
	s_and_saveexec_b64 s[4:5], vcc
	s_cbranch_execz .LBB406_514
; %bb.509:
	s_movk_i32 s3, 0x80
	v_cmp_ne_u16_e32 vcc, s3, v16
	v_bfrev_b32_e32 v21, 1
	s_and_saveexec_b64 s[6:7], vcc
	s_cbranch_execz .LBB406_513
; %bb.510:
	s_movk_i32 s3, 0x7f
	v_and_b32_e32 v17, 0x7f, v16
	v_cmp_ne_u32_e32 vcc, s3, v17
	v_mov_b32_e32 v21, 0x7f800001
	s_and_saveexec_b64 s[10:11], vcc
	s_cbranch_execz .LBB406_512
; %bb.511:
	v_and_b32_e32 v18, 7, v16
	v_ffbh_u32_e32 v22, v18
	v_min_u32_e32 v24, 32, v22
	v_subrev_u32_e32 v22, 28, v24
	v_lshlrev_b64 v[22:23], v22, v[16:17]
	v_lshrrev_b32_e32 v21, 3, v17
	v_sub_u32_e32 v16, 29, v24
	v_and_b32_e32 v22, 7, v22
	v_cmp_gt_u32_e32 vcc, 8, v17
	v_cndmask_b32_e32 v16, v21, v16, vcc
	v_cndmask_b32_e32 v17, v18, v22, vcc
	v_lshlrev_b32_e32 v18, 16, v10
	v_bfrev_b32_e32 v21, 60
	v_lshlrev_b32_e32 v17, 20, v17
	v_and_b32_e32 v18, 0x80000000, v18
	v_lshl_add_u32 v16, v16, 23, v21
	v_or3_b32 v21, v18, v16, v17
.LBB406_512:
	s_or_b64 exec, exec, s[10:11]
.LBB406_513:
	s_or_b64 exec, exec, s[6:7]
.LBB406_514:
	s_or_b64 exec, exec, s[4:5]
	s_movk_i32 s3, 0xff
	v_and_b32_sdwa v17, v10, s3 dst_sel:DWORD dst_unused:UNUSED_PAD src0_sel:WORD_1 src1_sel:DWORD
	v_lshrrev_b32_e32 v16, 16, v10
	v_cmp_ne_u16_e32 vcc, 0, v17
	s_and_saveexec_b64 s[4:5], vcc
	s_cbranch_execz .LBB406_520
; %bb.515:
	s_movk_i32 s3, 0x80
	v_cmp_ne_u16_e32 vcc, s3, v17
	v_bfrev_b32_e32 v19, 1
	s_and_saveexec_b64 s[6:7], vcc
	s_cbranch_execz .LBB406_519
; %bb.516:
	v_bfe_u32 v17, v10, 16, 7
	s_movk_i32 s3, 0x7f
	v_cmp_ne_u32_e32 vcc, s3, v17
	v_mov_b32_e32 v19, 0x7f800001
	s_and_saveexec_b64 s[10:11], vcc
	s_cbranch_execz .LBB406_518
; %bb.517:
	v_and_b32_e32 v22, 7, v16
	v_ffbh_u32_e32 v18, v22
	v_min_u32_e32 v24, 32, v18
	v_subrev_u32_e32 v18, 28, v24
	v_lshlrev_b64 v[18:19], v18, v[16:17]
	v_and_b32_e32 v18, 7, v18
	v_cmp_gt_u32_e32 vcc, 8, v17
	v_lshrrev_b32_e32 v23, 3, v17
	v_sub_u32_e32 v16, 29, v24
	v_cndmask_b32_e32 v17, v22, v18, vcc
	v_mov_b32_e32 v18, 24
	v_cndmask_b32_e32 v16, v23, v16, vcc
	v_lshlrev_b32_sdwa v18, v18, v10 dst_sel:DWORD dst_unused:UNUSED_PAD src0_sel:DWORD src1_sel:WORD_1
	v_bfrev_b32_e32 v19, 60
	v_lshlrev_b32_e32 v17, 20, v17
	v_and_b32_e32 v18, 0x80000000, v18
	v_lshl_add_u32 v16, v16, 23, v19
	v_or3_b32 v19, v18, v16, v17
.LBB406_518:
	s_or_b64 exec, exec, s[10:11]
.LBB406_519:
	s_or_b64 exec, exec, s[6:7]
.LBB406_520:
	s_or_b64 exec, exec, s[4:5]
	s_mov_b32 s3, 0xffffff
	v_cmp_lt_u32_e32 vcc, s3, v10
	v_mov_b32_e32 v17, 0
	v_mov_b32_e32 v22, 0
	s_and_saveexec_b64 s[4:5], vcc
	s_cbranch_execz .LBB406_526
; %bb.521:
	v_lshrrev_b32_e32 v16, 24, v10
	s_movk_i32 s3, 0x80
	v_cmp_ne_u32_e32 vcc, s3, v16
	v_bfrev_b32_e32 v22, 1
	s_and_saveexec_b64 s[6:7], vcc
	s_cbranch_execz .LBB406_525
; %bb.522:
	v_bfe_u32 v18, v10, 24, 7
	s_movk_i32 s3, 0x7f
	v_cmp_ne_u32_e32 vcc, s3, v18
	v_mov_b32_e32 v22, 0x7f800001
	s_and_saveexec_b64 s[10:11], vcc
	s_cbranch_execz .LBB406_524
; %bb.523:
	v_and_b32_e32 v24, 7, v16
	v_ffbh_u32_e32 v22, v24
	v_min_u32_e32 v27, 32, v22
	v_subrev_u32_e32 v22, 28, v27
	v_lshlrev_b64 v[22:23], v22, v[16:17]
	v_lshrrev_b32_e32 v26, 3, v18
	v_sub_u32_e32 v23, 29, v27
	v_and_b32_e32 v22, 7, v22
	v_cmp_gt_u32_e32 vcc, 8, v18
	v_cndmask_b32_e32 v18, v26, v23, vcc
	v_cndmask_b32_e32 v22, v24, v22, vcc
	v_lshlrev_b32_e32 v16, 24, v16
	v_bfrev_b32_e32 v23, 60
	v_lshlrev_b32_e32 v22, 20, v22
	v_and_b32_e32 v16, 0x80000000, v16
	v_lshl_add_u32 v18, v18, 23, v23
	v_or3_b32 v22, v16, v18, v22
.LBB406_524:
	s_or_b64 exec, exec, s[10:11]
.LBB406_525:
	s_or_b64 exec, exec, s[6:7]
.LBB406_526:
	s_or_b64 exec, exec, s[4:5]
	v_mov_b32_e32 v16, v11
	v_cmp_ne_u16_sdwa s[6:7], v11, v17 src0_sel:BYTE_0 src1_sel:DWORD
	s_and_saveexec_b64 s[4:5], s[6:7]
	s_cbranch_execz .LBB406_532
; %bb.527:
	s_movk_i32 s3, 0x80
	v_cmp_ne_u16_sdwa s[10:11], v11, s3 src0_sel:BYTE_0 src1_sel:DWORD
	v_bfrev_b32_e32 v18, 1
	s_and_saveexec_b64 s[6:7], s[10:11]
	s_cbranch_execz .LBB406_531
; %bb.528:
	s_movk_i32 s3, 0x7f
	v_and_b32_e32 v23, 0x7f, v11
	v_cmp_ne_u32_e32 vcc, s3, v23
	v_mov_b32_e32 v18, 0x7f800001
	s_and_saveexec_b64 s[10:11], vcc
	s_cbranch_execz .LBB406_530
; %bb.529:
	v_and_b32_e32 v18, 7, v11
	v_ffbh_u32_e32 v18, v18
	v_min_u32_e32 v18, 32, v18
	v_subrev_u32_e32 v26, 28, v18
	v_cmp_gt_u32_e32 vcc, 8, v23
	v_lshrrev_b32_e32 v24, 3, v23
	v_cndmask_b32_e32 v23, 0, v26, vcc
	v_sub_u32_e32 v18, 29, v18
	v_lshlrev_b64 v[26:27], v23, v[16:17]
	v_cndmask_b32_e32 v18, v24, v18, vcc
	v_lshlrev_b32_e32 v17, 20, v26
	v_lshlrev_b32_e32 v23, 24, v16
	v_bfrev_b32_e32 v24, 60
	v_and_b32_e32 v17, 0x700000, v17
	v_and_b32_e32 v23, 0x80000000, v23
	v_lshl_add_u32 v18, v18, 23, v24
	v_or3_b32 v18, v23, v18, v17
.LBB406_530:
	s_or_b64 exec, exec, s[10:11]
.LBB406_531:
	s_or_b64 exec, exec, s[6:7]
	v_mov_b32_e32 v17, v18
.LBB406_532:
	s_or_b64 exec, exec, s[4:5]
	v_lshrrev_b16_e32 v18, 8, v16
	v_cmp_ne_u16_e32 vcc, 0, v18
	v_mov_b32_e32 v23, 0
	v_mov_b32_e32 v24, 0
	s_and_saveexec_b64 s[4:5], vcc
	s_cbranch_execz .LBB406_538
; %bb.533:
	s_movk_i32 s3, 0x80
	v_cmp_ne_u16_e32 vcc, s3, v18
	v_bfrev_b32_e32 v24, 1
	s_and_saveexec_b64 s[6:7], vcc
	s_cbranch_execz .LBB406_537
; %bb.534:
	s_movk_i32 s3, 0x7f
	v_and_b32_e32 v26, 0x7f, v18
	v_cmp_ne_u32_e32 vcc, s3, v26
	v_mov_b32_e32 v24, 0x7f800001
	s_and_saveexec_b64 s[10:11], vcc
	s_cbranch_execz .LBB406_536
; %bb.535:
	v_and_b32_e32 v24, 7, v18
	v_ffbh_u32_e32 v28, v24
	v_min_u32_e32 v30, 32, v28
	v_subrev_u32_e32 v28, 28, v30
	v_lshlrev_b64 v[28:29], v28, v[18:19]
	v_lshrrev_b32_e32 v27, 3, v26
	v_sub_u32_e32 v18, 29, v30
	v_and_b32_e32 v28, 7, v28
	v_cmp_gt_u32_e32 vcc, 8, v26
	v_cndmask_b32_e32 v18, v27, v18, vcc
	v_cndmask_b32_e32 v24, v24, v28, vcc
	v_lshlrev_b32_e32 v16, 16, v16
	v_bfrev_b32_e32 v26, 60
	v_lshlrev_b32_e32 v24, 20, v24
	v_and_b32_e32 v16, 0x80000000, v16
	v_lshl_add_u32 v18, v18, 23, v26
	v_or3_b32 v24, v16, v18, v24
.LBB406_536:
	s_or_b64 exec, exec, s[10:11]
.LBB406_537:
	s_or_b64 exec, exec, s[6:7]
.LBB406_538:
	s_or_b64 exec, exec, s[4:5]
	s_movk_i32 s3, 0xff
	v_and_b32_sdwa v18, v11, s3 dst_sel:DWORD dst_unused:UNUSED_PAD src0_sel:WORD_1 src1_sel:DWORD
	v_lshrrev_b32_e32 v16, 16, v11
	v_cmp_ne_u16_e32 vcc, 0, v18
	s_and_saveexec_b64 s[4:5], vcc
	s_cbranch_execz .LBB406_544
; %bb.539:
	s_movk_i32 s3, 0x80
	v_cmp_ne_u16_e32 vcc, s3, v18
	v_bfrev_b32_e32 v23, 1
	s_and_saveexec_b64 s[6:7], vcc
	s_cbranch_execz .LBB406_543
; %bb.540:
	v_bfe_u32 v18, v11, 16, 7
	s_movk_i32 s3, 0x7f
	v_cmp_ne_u32_e32 vcc, s3, v18
	v_mov_b32_e32 v23, 0x7f800001
	s_and_saveexec_b64 s[10:11], vcc
	s_cbranch_execz .LBB406_542
; %bb.541:
	v_and_b32_e32 v23, 7, v16
	v_ffbh_u32_e32 v26, v23
	v_min_u32_e32 v29, 32, v26
	v_subrev_u32_e32 v26, 28, v29
	v_lshlrev_b64 v[26:27], v26, v[16:17]
	v_and_b32_e32 v26, 7, v26
	v_cmp_gt_u32_e32 vcc, 8, v18
	v_lshrrev_b32_e32 v28, 3, v18
	v_sub_u32_e32 v16, 29, v29
	v_cndmask_b32_e32 v18, v23, v26, vcc
	v_mov_b32_e32 v23, 24
	v_cndmask_b32_e32 v16, v28, v16, vcc
	v_lshlrev_b32_sdwa v23, v23, v11 dst_sel:DWORD dst_unused:UNUSED_PAD src0_sel:DWORD src1_sel:WORD_1
	v_bfrev_b32_e32 v26, 60
	v_lshlrev_b32_e32 v18, 20, v18
	v_and_b32_e32 v23, 0x80000000, v23
	v_lshl_add_u32 v16, v16, 23, v26
	v_or3_b32 v23, v23, v16, v18
.LBB406_542:
	s_or_b64 exec, exec, s[10:11]
.LBB406_543:
	s_or_b64 exec, exec, s[6:7]
.LBB406_544:
	s_or_b64 exec, exec, s[4:5]
	s_mov_b32 s4, -1
	s_mov_b32 s5, 0xffffff
	v_cmp_lt_u64_e32 vcc, s[4:5], v[10:11]
	v_mov_b32_e32 v18, 0
	v_mov_b32_e32 v16, 0
	s_and_saveexec_b64 s[4:5], vcc
	s_cbranch_execz .LBB406_550
; %bb.545:
	v_lshrrev_b32_e32 v10, 24, v11
	s_movk_i32 s3, 0x80
	v_cmp_ne_u32_e32 vcc, s3, v10
	v_bfrev_b32_e32 v16, 1
	s_and_saveexec_b64 s[6:7], vcc
	s_cbranch_execz .LBB406_549
; %bb.546:
	v_bfe_u32 v11, v11, 24, 7
	s_movk_i32 s3, 0x7f
	v_cmp_ne_u32_e32 vcc, s3, v11
	v_mov_b32_e32 v16, 0x7f800001
	s_and_saveexec_b64 s[10:11], vcc
	s_cbranch_execz .LBB406_548
; %bb.547:
	v_and_b32_e32 v16, 7, v10
	v_ffbh_u32_e32 v26, v16
	v_min_u32_e32 v29, 32, v26
	v_subrev_u32_e32 v26, 28, v29
	v_lshlrev_b64 v[26:27], v26, v[10:11]
	v_lshrrev_b32_e32 v28, 3, v11
	v_sub_u32_e32 v27, 29, v29
	v_and_b32_e32 v26, 7, v26
	v_cmp_gt_u32_e32 vcc, 8, v11
	v_cndmask_b32_e32 v11, v28, v27, vcc
	v_cndmask_b32_e32 v16, v16, v26, vcc
	v_lshlrev_b32_e32 v10, 24, v10
	v_bfrev_b32_e32 v26, 60
	v_lshlrev_b32_e32 v16, 20, v16
	v_and_b32_e32 v10, 0x80000000, v10
	v_lshl_add_u32 v11, v11, 23, v26
	v_or3_b32 v16, v10, v11, v16
.LBB406_548:
	s_or_b64 exec, exec, s[10:11]
.LBB406_549:
	s_or_b64 exec, exec, s[6:7]
.LBB406_550:
	s_or_b64 exec, exec, s[4:5]
	v_cvt_pkrtz_f16_f32 v10, v20, v21
	v_cvt_pkrtz_f16_f32 v11, v19, v22
	;; [unrolled: 1-line block ×4, first 2 shown]
	v_mfma_f32_4x4x4f16 a[0:3], v[14:15], v[10:11], a[0:3] cbsz:4 abid:4
	v_cmp_ne_u16_sdwa s[6:7], v12, v18 src0_sel:BYTE_0 src1_sel:DWORD
	v_mfma_f32_4x4x4f16 a[0:3], v[14:15], v[20:21], a[0:3] cbsz:4 abid:5
	s_and_saveexec_b64 s[4:5], s[6:7]
	s_cbranch_execz .LBB406_556
; %bb.551:
	s_movk_i32 s3, 0x80
	v_cmp_ne_u16_sdwa s[10:11], v12, s3 src0_sel:BYTE_0 src1_sel:DWORD
	v_bfrev_b32_e32 v18, 1
	s_and_saveexec_b64 s[6:7], s[10:11]
	s_cbranch_execz .LBB406_555
; %bb.552:
	s_movk_i32 s3, 0x7f
	v_and_b32_e32 v10, 0x7f, v12
	v_cmp_ne_u32_e32 vcc, s3, v10
	v_mov_b32_e32 v18, 0x7f800001
	s_and_saveexec_b64 s[10:11], vcc
	s_cbranch_execz .LBB406_554
; %bb.553:
	v_and_b32_e32 v11, 7, v12
	v_ffbh_u32_e32 v11, v11
	v_min_u32_e32 v11, 32, v11
	v_subrev_u32_e32 v17, 28, v11
	v_cmp_gt_u32_e32 vcc, 8, v10
	v_lshrrev_b32_e32 v16, 3, v10
	v_sub_u32_e32 v11, 29, v11
	v_cndmask_b32_e32 v10, 0, v17, vcc
	v_cndmask_b32_e32 v16, v16, v11, vcc
	v_lshlrev_b64 v[10:11], v10, v[12:13]
	v_lshlrev_b32_e32 v10, 20, v10
	v_lshlrev_b32_e32 v11, 24, v12
	v_bfrev_b32_e32 v17, 60
	v_and_b32_e32 v10, 0x700000, v10
	v_and_b32_e32 v11, 0x80000000, v11
	v_lshl_add_u32 v16, v16, 23, v17
	v_or3_b32 v18, v11, v16, v10
.LBB406_554:
	s_or_b64 exec, exec, s[10:11]
.LBB406_555:
	s_or_b64 exec, exec, s[6:7]
.LBB406_556:
	s_or_b64 exec, exec, s[4:5]
	v_lshrrev_b16_e32 v10, 8, v12
	v_cmp_ne_u16_e32 vcc, 0, v10
	v_mov_b32_e32 v17, 0
	v_mov_b32_e32 v19, 0
	s_and_saveexec_b64 s[4:5], vcc
	s_cbranch_execz .LBB406_562
; %bb.557:
	s_movk_i32 s3, 0x80
	v_cmp_ne_u16_e32 vcc, s3, v10
	v_bfrev_b32_e32 v19, 1
	s_and_saveexec_b64 s[6:7], vcc
	s_cbranch_execz .LBB406_561
; %bb.558:
	s_movk_i32 s3, 0x7f
	v_and_b32_e32 v11, 0x7f, v10
	v_cmp_ne_u32_e32 vcc, s3, v11
	v_mov_b32_e32 v19, 0x7f800001
	s_and_saveexec_b64 s[10:11], vcc
	s_cbranch_execz .LBB406_560
; %bb.559:
	v_and_b32_e32 v16, 7, v10
	v_ffbh_u32_e32 v20, v16
	v_min_u32_e32 v22, 32, v20
	v_subrev_u32_e32 v20, 28, v22
	v_lshlrev_b64 v[20:21], v20, v[10:11]
	v_lshrrev_b32_e32 v19, 3, v11
	v_sub_u32_e32 v10, 29, v22
	v_and_b32_e32 v20, 7, v20
	v_cmp_gt_u32_e32 vcc, 8, v11
	v_cndmask_b32_e32 v10, v19, v10, vcc
	v_cndmask_b32_e32 v11, v16, v20, vcc
	v_lshlrev_b32_e32 v16, 16, v12
	v_bfrev_b32_e32 v19, 60
	v_lshlrev_b32_e32 v11, 20, v11
	v_and_b32_e32 v16, 0x80000000, v16
	v_lshl_add_u32 v10, v10, 23, v19
	v_or3_b32 v19, v16, v10, v11
.LBB406_560:
	s_or_b64 exec, exec, s[10:11]
.LBB406_561:
	s_or_b64 exec, exec, s[6:7]
.LBB406_562:
	s_or_b64 exec, exec, s[4:5]
	s_movk_i32 s3, 0xff
	v_and_b32_sdwa v11, v12, s3 dst_sel:DWORD dst_unused:UNUSED_PAD src0_sel:WORD_1 src1_sel:DWORD
	v_lshrrev_b32_e32 v10, 16, v12
	v_cmp_ne_u16_e32 vcc, 0, v11
	s_and_saveexec_b64 s[4:5], vcc
	s_cbranch_execz .LBB406_568
; %bb.563:
	s_movk_i32 s3, 0x80
	v_cmp_ne_u16_e32 vcc, s3, v11
	v_bfrev_b32_e32 v17, 1
	s_and_saveexec_b64 s[6:7], vcc
	s_cbranch_execz .LBB406_567
; %bb.564:
	v_bfe_u32 v11, v12, 16, 7
	s_movk_i32 s3, 0x7f
	v_cmp_ne_u32_e32 vcc, s3, v11
	v_mov_b32_e32 v17, 0x7f800001
	s_and_saveexec_b64 s[10:11], vcc
	s_cbranch_execz .LBB406_566
; %bb.565:
	v_and_b32_e32 v20, 7, v10
	v_ffbh_u32_e32 v16, v20
	v_min_u32_e32 v22, 32, v16
	v_subrev_u32_e32 v16, 28, v22
	v_lshlrev_b64 v[16:17], v16, v[10:11]
	v_and_b32_e32 v16, 7, v16
	v_cmp_gt_u32_e32 vcc, 8, v11
	v_lshrrev_b32_e32 v21, 3, v11
	v_sub_u32_e32 v10, 29, v22
	v_cndmask_b32_e32 v11, v20, v16, vcc
	v_mov_b32_e32 v16, 24
	v_cndmask_b32_e32 v10, v21, v10, vcc
	v_lshlrev_b32_sdwa v16, v16, v12 dst_sel:DWORD dst_unused:UNUSED_PAD src0_sel:DWORD src1_sel:WORD_1
	v_bfrev_b32_e32 v17, 60
	v_lshlrev_b32_e32 v11, 20, v11
	v_and_b32_e32 v16, 0x80000000, v16
	v_lshl_add_u32 v10, v10, 23, v17
	v_or3_b32 v17, v16, v10, v11
.LBB406_566:
	s_or_b64 exec, exec, s[10:11]
.LBB406_567:
	s_or_b64 exec, exec, s[6:7]
.LBB406_568:
	s_or_b64 exec, exec, s[4:5]
	s_mov_b32 s3, 0xffffff
	v_cmp_lt_u32_e32 vcc, s3, v12
	v_mov_b32_e32 v11, 0
	v_mov_b32_e32 v20, 0
	s_and_saveexec_b64 s[4:5], vcc
	s_cbranch_execz .LBB406_574
; %bb.569:
	v_lshrrev_b32_e32 v10, 24, v12
	s_movk_i32 s3, 0x80
	v_cmp_ne_u32_e32 vcc, s3, v10
	v_bfrev_b32_e32 v20, 1
	s_and_saveexec_b64 s[6:7], vcc
	s_cbranch_execz .LBB406_573
; %bb.570:
	v_bfe_u32 v16, v12, 24, 7
	s_movk_i32 s3, 0x7f
	v_cmp_ne_u32_e32 vcc, s3, v16
	v_mov_b32_e32 v20, 0x7f800001
	s_and_saveexec_b64 s[10:11], vcc
	s_cbranch_execz .LBB406_572
; %bb.571:
	v_and_b32_e32 v22, 7, v10
	v_ffbh_u32_e32 v20, v22
	v_min_u32_e32 v24, 32, v20
	v_subrev_u32_e32 v20, 28, v24
	v_lshlrev_b64 v[20:21], v20, v[10:11]
	v_lshrrev_b32_e32 v23, 3, v16
	v_sub_u32_e32 v21, 29, v24
	v_and_b32_e32 v20, 7, v20
	v_cmp_gt_u32_e32 vcc, 8, v16
	v_cndmask_b32_e32 v16, v23, v21, vcc
	v_cndmask_b32_e32 v20, v22, v20, vcc
	v_lshlrev_b32_e32 v10, 24, v10
	v_bfrev_b32_e32 v21, 60
	v_lshlrev_b32_e32 v20, 20, v20
	v_and_b32_e32 v10, 0x80000000, v10
	v_lshl_add_u32 v16, v16, 23, v21
	v_or3_b32 v20, v10, v16, v20
.LBB406_572:
	s_or_b64 exec, exec, s[10:11]
.LBB406_573:
	s_or_b64 exec, exec, s[6:7]
.LBB406_574:
	s_or_b64 exec, exec, s[4:5]
	v_mov_b32_e32 v10, v13
	v_cmp_ne_u16_sdwa s[6:7], v13, v11 src0_sel:BYTE_0 src1_sel:DWORD
	s_and_saveexec_b64 s[4:5], s[6:7]
	s_cbranch_execz .LBB406_580
; %bb.575:
	s_movk_i32 s3, 0x80
	v_cmp_ne_u16_sdwa s[10:11], v13, s3 src0_sel:BYTE_0 src1_sel:DWORD
	v_bfrev_b32_e32 v16, 1
	s_and_saveexec_b64 s[6:7], s[10:11]
	s_cbranch_execz .LBB406_579
; %bb.576:
	s_movk_i32 s3, 0x7f
	v_and_b32_e32 v21, 0x7f, v13
	v_cmp_ne_u32_e32 vcc, s3, v21
	v_mov_b32_e32 v16, 0x7f800001
	s_and_saveexec_b64 s[10:11], vcc
	s_cbranch_execz .LBB406_578
; %bb.577:
	v_and_b32_e32 v16, 7, v13
	v_ffbh_u32_e32 v16, v16
	v_min_u32_e32 v16, 32, v16
	v_subrev_u32_e32 v23, 28, v16
	v_cmp_gt_u32_e32 vcc, 8, v21
	v_lshrrev_b32_e32 v22, 3, v21
	v_sub_u32_e32 v16, 29, v16
	v_cndmask_b32_e32 v21, 0, v23, vcc
	v_cndmask_b32_e32 v16, v22, v16, vcc
	v_lshlrev_b64 v[22:23], v21, v[10:11]
	v_lshlrev_b32_e32 v11, 20, v22
	v_lshlrev_b32_e32 v21, 24, v10
	v_bfrev_b32_e32 v22, 60
	v_and_b32_e32 v11, 0x700000, v11
	v_and_b32_e32 v21, 0x80000000, v21
	v_lshl_add_u32 v16, v16, 23, v22
	v_or3_b32 v16, v21, v16, v11
.LBB406_578:
	s_or_b64 exec, exec, s[10:11]
.LBB406_579:
	s_or_b64 exec, exec, s[6:7]
	v_mov_b32_e32 v11, v16
.LBB406_580:
	s_or_b64 exec, exec, s[4:5]
	v_lshrrev_b16_e32 v16, 8, v10
	v_cmp_ne_u16_e32 vcc, 0, v16
	v_mov_b32_e32 v21, 0
	v_mov_b32_e32 v22, 0
	s_and_saveexec_b64 s[4:5], vcc
	s_cbranch_execz .LBB406_586
; %bb.581:
	s_movk_i32 s3, 0x80
	v_cmp_ne_u16_e32 vcc, s3, v16
	v_bfrev_b32_e32 v22, 1
	s_and_saveexec_b64 s[6:7], vcc
	s_cbranch_execz .LBB406_585
; %bb.582:
	s_movk_i32 s3, 0x7f
	v_and_b32_e32 v23, 0x7f, v16
	v_cmp_ne_u32_e32 vcc, s3, v23
	v_mov_b32_e32 v22, 0x7f800001
	s_and_saveexec_b64 s[10:11], vcc
	s_cbranch_execz .LBB406_584
; %bb.583:
	v_and_b32_e32 v22, 7, v16
	v_ffbh_u32_e32 v26, v22
	v_min_u32_e32 v28, 32, v26
	v_subrev_u32_e32 v26, 28, v28
	v_lshlrev_b64 v[26:27], v26, v[16:17]
	v_lshrrev_b32_e32 v24, 3, v23
	v_sub_u32_e32 v16, 29, v28
	v_and_b32_e32 v26, 7, v26
	v_cmp_gt_u32_e32 vcc, 8, v23
	v_cndmask_b32_e32 v16, v24, v16, vcc
	v_cndmask_b32_e32 v22, v22, v26, vcc
	v_lshlrev_b32_e32 v10, 16, v10
	v_bfrev_b32_e32 v23, 60
	v_lshlrev_b32_e32 v22, 20, v22
	v_and_b32_e32 v10, 0x80000000, v10
	v_lshl_add_u32 v16, v16, 23, v23
	v_or3_b32 v22, v10, v16, v22
.LBB406_584:
	s_or_b64 exec, exec, s[10:11]
.LBB406_585:
	s_or_b64 exec, exec, s[6:7]
.LBB406_586:
	s_or_b64 exec, exec, s[4:5]
	s_movk_i32 s3, 0xff
	v_and_b32_sdwa v16, v13, s3 dst_sel:DWORD dst_unused:UNUSED_PAD src0_sel:WORD_1 src1_sel:DWORD
	v_lshrrev_b32_e32 v10, 16, v13
	v_cmp_ne_u16_e32 vcc, 0, v16
	s_and_saveexec_b64 s[4:5], vcc
	s_cbranch_execz .LBB406_592
; %bb.587:
	s_movk_i32 s3, 0x80
	v_cmp_ne_u16_e32 vcc, s3, v16
	v_bfrev_b32_e32 v21, 1
	s_and_saveexec_b64 s[6:7], vcc
	s_cbranch_execz .LBB406_591
; %bb.588:
	v_bfe_u32 v16, v13, 16, 7
	s_movk_i32 s3, 0x7f
	v_cmp_ne_u32_e32 vcc, s3, v16
	v_mov_b32_e32 v21, 0x7f800001
	s_and_saveexec_b64 s[10:11], vcc
	s_cbranch_execz .LBB406_590
; %bb.589:
	v_and_b32_e32 v21, 7, v10
	v_ffbh_u32_e32 v24, v21
	v_min_u32_e32 v24, 32, v24
	v_subrev_u32_e32 v26, 28, v24
	v_lshlrev_b64 v[26:27], v26, v[10:11]
	v_sub_u32_e32 v10, 29, v24
	v_and_b32_e32 v24, 7, v26
	v_cmp_gt_u32_e32 vcc, 8, v16
	v_lshrrev_b32_e32 v23, 3, v16
	v_cndmask_b32_e32 v16, v21, v24, vcc
	v_mov_b32_e32 v21, 24
	v_cndmask_b32_e32 v10, v23, v10, vcc
	v_lshlrev_b32_sdwa v21, v21, v13 dst_sel:DWORD dst_unused:UNUSED_PAD src0_sel:DWORD src1_sel:WORD_1
	v_bfrev_b32_e32 v23, 60
	v_lshlrev_b32_e32 v16, 20, v16
	v_and_b32_e32 v21, 0x80000000, v21
	v_lshl_add_u32 v10, v10, 23, v23
	v_or3_b32 v21, v21, v10, v16
.LBB406_590:
	s_or_b64 exec, exec, s[10:11]
.LBB406_591:
	s_or_b64 exec, exec, s[6:7]
.LBB406_592:
	s_or_b64 exec, exec, s[4:5]
	s_mov_b32 s4, -1
	s_mov_b32 s5, 0xffffff
	v_cmp_lt_u64_e32 vcc, s[4:5], v[12:13]
	v_mov_b32_e32 v16, 0
	v_mov_b32_e32 v12, 0
	s_and_saveexec_b64 s[4:5], vcc
	s_cbranch_execz .LBB406_598
; %bb.593:
	v_lshrrev_b32_e32 v10, 24, v13
	s_movk_i32 s3, 0x80
	v_cmp_ne_u32_e32 vcc, s3, v10
	v_bfrev_b32_e32 v12, 1
	s_and_saveexec_b64 s[6:7], vcc
	s_cbranch_execz .LBB406_597
; %bb.594:
	v_bfe_u32 v13, v13, 24, 7
	s_movk_i32 s3, 0x7f
	v_cmp_ne_u32_e32 vcc, s3, v13
	v_mov_b32_e32 v12, 0x7f800001
	s_and_saveexec_b64 s[10:11], vcc
	s_cbranch_execz .LBB406_596
; %bb.595:
	v_and_b32_e32 v12, 7, v10
	v_ffbh_u32_e32 v24, v12
	v_min_u32_e32 v24, 32, v24
	v_subrev_u32_e32 v26, 28, v24
	v_lshlrev_b64 v[26:27], v26, v[10:11]
	v_lshrrev_b32_e32 v23, 3, v13
	v_sub_u32_e32 v24, 29, v24
	v_and_b32_e32 v26, 7, v26
	v_cmp_gt_u32_e32 vcc, 8, v13
	v_cndmask_b32_e32 v13, v23, v24, vcc
	v_cndmask_b32_e32 v12, v12, v26, vcc
	v_lshlrev_b32_e32 v10, 24, v10
	v_bfrev_b32_e32 v23, 60
	v_lshlrev_b32_e32 v12, 20, v12
	v_and_b32_e32 v10, 0x80000000, v10
	v_lshl_add_u32 v13, v13, 23, v23
	v_or3_b32 v12, v10, v13, v12
.LBB406_596:
	s_or_b64 exec, exec, s[10:11]
.LBB406_597:
	s_or_b64 exec, exec, s[6:7]
.LBB406_598:
	s_or_b64 exec, exec, s[4:5]
	v_cvt_pkrtz_f16_f32 v18, v18, v19
	v_cvt_pkrtz_f16_f32 v19, v17, v20
	;; [unrolled: 1-line block ×4, first 2 shown]
	v_mfma_f32_4x4x4f16 a[0:3], v[14:15], v[18:19], a[0:3] cbsz:4 abid:6
	s_waitcnt vmcnt(1)
	v_cmp_ne_u16_sdwa s[6:7], v6, v16 src0_sel:BYTE_0 src1_sel:DWORD
	v_mfma_f32_4x4x4f16 a[0:3], v[14:15], v[10:11], a[0:3] cbsz:4 abid:7
	s_and_saveexec_b64 s[4:5], s[6:7]
	s_cbranch_execz .LBB406_604
; %bb.599:
	s_movk_i32 s3, 0x80
	v_cmp_ne_u16_sdwa s[10:11], v6, s3 src0_sel:BYTE_0 src1_sel:DWORD
	v_bfrev_b32_e32 v16, 1
	s_and_saveexec_b64 s[6:7], s[10:11]
	s_cbranch_execz .LBB406_603
; %bb.600:
	s_movk_i32 s3, 0x7f
	v_and_b32_e32 v10, 0x7f, v6
	v_cmp_ne_u32_e32 vcc, s3, v10
	v_mov_b32_e32 v16, 0x7f800001
	s_and_saveexec_b64 s[10:11], vcc
	s_cbranch_execz .LBB406_602
; %bb.601:
	v_and_b32_e32 v11, 7, v6
	v_ffbh_u32_e32 v11, v11
	v_min_u32_e32 v11, 32, v11
	v_subrev_u32_e32 v13, 28, v11
	v_cmp_gt_u32_e32 vcc, 8, v10
	v_lshrrev_b32_e32 v12, 3, v10
	v_sub_u32_e32 v11, 29, v11
	v_cndmask_b32_e32 v10, 0, v13, vcc
	v_cndmask_b32_e32 v12, v12, v11, vcc
	v_lshlrev_b64 v[10:11], v10, v[6:7]
	v_lshlrev_b32_e32 v10, 20, v10
	v_lshlrev_b32_e32 v11, 24, v6
	v_bfrev_b32_e32 v13, 60
	v_and_b32_e32 v10, 0x700000, v10
	v_and_b32_e32 v11, 0x80000000, v11
	v_lshl_add_u32 v12, v12, 23, v13
	v_or3_b32 v16, v11, v12, v10
.LBB406_602:
	s_or_b64 exec, exec, s[10:11]
.LBB406_603:
	s_or_b64 exec, exec, s[6:7]
.LBB406_604:
	s_or_b64 exec, exec, s[4:5]
	v_lshrrev_b16_e32 v10, 8, v6
	v_cmp_ne_u16_e32 vcc, 0, v10
	v_mov_b32_e32 v13, 0
	v_mov_b32_e32 v17, 0
	s_and_saveexec_b64 s[4:5], vcc
	s_cbranch_execz .LBB406_610
; %bb.605:
	s_movk_i32 s3, 0x80
	v_cmp_ne_u16_e32 vcc, s3, v10
	v_bfrev_b32_e32 v17, 1
	s_and_saveexec_b64 s[6:7], vcc
	s_cbranch_execz .LBB406_609
; %bb.606:
	s_movk_i32 s3, 0x7f
	v_and_b32_e32 v11, 0x7f, v10
	v_cmp_ne_u32_e32 vcc, s3, v11
	v_mov_b32_e32 v17, 0x7f800001
	s_and_saveexec_b64 s[10:11], vcc
	s_cbranch_execz .LBB406_608
; %bb.607:
	v_and_b32_e32 v12, 7, v10
	v_ffbh_u32_e32 v18, v12
	v_min_u32_e32 v20, 32, v18
	v_subrev_u32_e32 v18, 28, v20
	v_lshlrev_b64 v[18:19], v18, v[10:11]
	v_lshrrev_b32_e32 v17, 3, v11
	v_sub_u32_e32 v10, 29, v20
	v_and_b32_e32 v18, 7, v18
	v_cmp_gt_u32_e32 vcc, 8, v11
	v_cndmask_b32_e32 v10, v17, v10, vcc
	v_cndmask_b32_e32 v11, v12, v18, vcc
	v_lshlrev_b32_e32 v12, 16, v6
	v_bfrev_b32_e32 v17, 60
	v_lshlrev_b32_e32 v11, 20, v11
	v_and_b32_e32 v12, 0x80000000, v12
	v_lshl_add_u32 v10, v10, 23, v17
	v_or3_b32 v17, v12, v10, v11
.LBB406_608:
	s_or_b64 exec, exec, s[10:11]
.LBB406_609:
	s_or_b64 exec, exec, s[6:7]
.LBB406_610:
	s_or_b64 exec, exec, s[4:5]
	s_movk_i32 s3, 0xff
	v_and_b32_sdwa v11, v6, s3 dst_sel:DWORD dst_unused:UNUSED_PAD src0_sel:WORD_1 src1_sel:DWORD
	v_lshrrev_b32_e32 v10, 16, v6
	v_cmp_ne_u16_e32 vcc, 0, v11
	s_and_saveexec_b64 s[4:5], vcc
	s_cbranch_execz .LBB406_616
; %bb.611:
	s_movk_i32 s3, 0x80
	v_cmp_ne_u16_e32 vcc, s3, v11
	v_bfrev_b32_e32 v13, 1
	s_and_saveexec_b64 s[6:7], vcc
	s_cbranch_execz .LBB406_615
; %bb.612:
	v_bfe_u32 v11, v6, 16, 7
	s_movk_i32 s3, 0x7f
	v_cmp_ne_u32_e32 vcc, s3, v11
	v_mov_b32_e32 v13, 0x7f800001
	s_and_saveexec_b64 s[10:11], vcc
	s_cbranch_execz .LBB406_614
; %bb.613:
	v_and_b32_e32 v18, 7, v10
	v_ffbh_u32_e32 v12, v18
	v_min_u32_e32 v20, 32, v12
	v_subrev_u32_e32 v12, 28, v20
	v_lshlrev_b64 v[12:13], v12, v[10:11]
	v_and_b32_e32 v12, 7, v12
	v_cmp_gt_u32_e32 vcc, 8, v11
	v_lshrrev_b32_e32 v19, 3, v11
	v_sub_u32_e32 v10, 29, v20
	v_cndmask_b32_e32 v11, v18, v12, vcc
	v_mov_b32_e32 v12, 24
	v_cndmask_b32_e32 v10, v19, v10, vcc
	v_lshlrev_b32_sdwa v12, v12, v6 dst_sel:DWORD dst_unused:UNUSED_PAD src0_sel:DWORD src1_sel:WORD_1
	v_bfrev_b32_e32 v13, 60
	v_lshlrev_b32_e32 v11, 20, v11
	v_and_b32_e32 v12, 0x80000000, v12
	v_lshl_add_u32 v10, v10, 23, v13
	v_or3_b32 v13, v12, v10, v11
.LBB406_614:
	s_or_b64 exec, exec, s[10:11]
.LBB406_615:
	s_or_b64 exec, exec, s[6:7]
.LBB406_616:
	s_or_b64 exec, exec, s[4:5]
	s_mov_b32 s3, 0xffffff
	v_cmp_lt_u32_e32 vcc, s3, v6
	v_mov_b32_e32 v11, 0
	v_mov_b32_e32 v18, 0
	s_and_saveexec_b64 s[4:5], vcc
	s_cbranch_execz .LBB406_622
; %bb.617:
	v_lshrrev_b32_e32 v10, 24, v6
	s_movk_i32 s3, 0x80
	v_cmp_ne_u32_e32 vcc, s3, v10
	v_bfrev_b32_e32 v18, 1
	s_and_saveexec_b64 s[6:7], vcc
	s_cbranch_execz .LBB406_621
; %bb.618:
	v_bfe_u32 v12, v6, 24, 7
	s_movk_i32 s3, 0x7f
	v_cmp_ne_u32_e32 vcc, s3, v12
	v_mov_b32_e32 v18, 0x7f800001
	s_and_saveexec_b64 s[10:11], vcc
	s_cbranch_execz .LBB406_620
; %bb.619:
	v_and_b32_e32 v20, 7, v10
	v_ffbh_u32_e32 v18, v20
	v_min_u32_e32 v22, 32, v18
	v_subrev_u32_e32 v18, 28, v22
	v_lshlrev_b64 v[18:19], v18, v[10:11]
	v_lshrrev_b32_e32 v21, 3, v12
	v_sub_u32_e32 v19, 29, v22
	v_and_b32_e32 v18, 7, v18
	v_cmp_gt_u32_e32 vcc, 8, v12
	v_cndmask_b32_e32 v12, v21, v19, vcc
	v_cndmask_b32_e32 v18, v20, v18, vcc
	v_lshlrev_b32_e32 v10, 24, v10
	v_bfrev_b32_e32 v19, 60
	v_lshlrev_b32_e32 v18, 20, v18
	v_and_b32_e32 v10, 0x80000000, v10
	v_lshl_add_u32 v12, v12, 23, v19
	v_or3_b32 v18, v10, v12, v18
.LBB406_620:
	s_or_b64 exec, exec, s[10:11]
.LBB406_621:
	s_or_b64 exec, exec, s[6:7]
.LBB406_622:
	s_or_b64 exec, exec, s[4:5]
	v_mov_b32_e32 v10, v7
	v_cmp_ne_u16_sdwa s[6:7], v7, v11 src0_sel:BYTE_0 src1_sel:DWORD
	s_and_saveexec_b64 s[4:5], s[6:7]
	s_cbranch_execz .LBB406_628
; %bb.623:
	s_movk_i32 s3, 0x80
	v_cmp_ne_u16_sdwa s[10:11], v7, s3 src0_sel:BYTE_0 src1_sel:DWORD
	v_bfrev_b32_e32 v12, 1
	s_and_saveexec_b64 s[6:7], s[10:11]
	s_cbranch_execz .LBB406_627
; %bb.624:
	s_movk_i32 s3, 0x7f
	v_and_b32_e32 v19, 0x7f, v7
	v_cmp_ne_u32_e32 vcc, s3, v19
	v_mov_b32_e32 v12, 0x7f800001
	s_and_saveexec_b64 s[10:11], vcc
	s_cbranch_execz .LBB406_626
; %bb.625:
	v_and_b32_e32 v12, 7, v7
	v_ffbh_u32_e32 v12, v12
	v_min_u32_e32 v12, 32, v12
	v_subrev_u32_e32 v21, 28, v12
	v_cmp_gt_u32_e32 vcc, 8, v19
	v_lshrrev_b32_e32 v20, 3, v19
	v_sub_u32_e32 v12, 29, v12
	v_cndmask_b32_e32 v19, 0, v21, vcc
	v_cndmask_b32_e32 v12, v20, v12, vcc
	v_lshlrev_b64 v[20:21], v19, v[10:11]
	v_lshlrev_b32_e32 v11, 20, v20
	v_lshlrev_b32_e32 v19, 24, v10
	v_bfrev_b32_e32 v20, 60
	v_and_b32_e32 v11, 0x700000, v11
	v_and_b32_e32 v19, 0x80000000, v19
	v_lshl_add_u32 v12, v12, 23, v20
	v_or3_b32 v12, v19, v12, v11
.LBB406_626:
	s_or_b64 exec, exec, s[10:11]
.LBB406_627:
	s_or_b64 exec, exec, s[6:7]
	v_mov_b32_e32 v11, v12
.LBB406_628:
	s_or_b64 exec, exec, s[4:5]
	v_lshrrev_b16_e32 v12, 8, v10
	v_cmp_ne_u16_e32 vcc, 0, v12
	v_mov_b32_e32 v19, 0
	v_mov_b32_e32 v20, 0
	s_and_saveexec_b64 s[4:5], vcc
	s_cbranch_execz .LBB406_634
; %bb.629:
	s_movk_i32 s3, 0x80
	v_cmp_ne_u16_e32 vcc, s3, v12
	v_bfrev_b32_e32 v20, 1
	s_and_saveexec_b64 s[6:7], vcc
	s_cbranch_execz .LBB406_633
; %bb.630:
	s_movk_i32 s3, 0x7f
	v_and_b32_e32 v21, 0x7f, v12
	v_cmp_ne_u32_e32 vcc, s3, v21
	v_mov_b32_e32 v20, 0x7f800001
	s_and_saveexec_b64 s[10:11], vcc
	s_cbranch_execz .LBB406_632
; %bb.631:
	v_and_b32_e32 v20, 7, v12
	v_ffbh_u32_e32 v22, v20
	v_min_u32_e32 v26, 32, v22
	v_subrev_u32_e32 v22, 28, v26
	v_lshlrev_b64 v[22:23], v22, v[12:13]
	v_lshrrev_b32_e32 v24, 3, v21
	v_sub_u32_e32 v12, 29, v26
	v_and_b32_e32 v22, 7, v22
	v_cmp_gt_u32_e32 vcc, 8, v21
	v_cndmask_b32_e32 v12, v24, v12, vcc
	v_cndmask_b32_e32 v20, v20, v22, vcc
	v_lshlrev_b32_e32 v10, 16, v10
	v_bfrev_b32_e32 v21, 60
	v_lshlrev_b32_e32 v20, 20, v20
	v_and_b32_e32 v10, 0x80000000, v10
	v_lshl_add_u32 v12, v12, 23, v21
	v_or3_b32 v20, v10, v12, v20
.LBB406_632:
	s_or_b64 exec, exec, s[10:11]
.LBB406_633:
	s_or_b64 exec, exec, s[6:7]
.LBB406_634:
	s_or_b64 exec, exec, s[4:5]
	s_movk_i32 s3, 0xff
	v_and_b32_sdwa v12, v7, s3 dst_sel:DWORD dst_unused:UNUSED_PAD src0_sel:WORD_1 src1_sel:DWORD
	v_lshrrev_b32_e32 v10, 16, v7
	v_cmp_ne_u16_e32 vcc, 0, v12
	s_and_saveexec_b64 s[4:5], vcc
	s_cbranch_execz .LBB406_640
; %bb.635:
	s_movk_i32 s3, 0x80
	v_cmp_ne_u16_e32 vcc, s3, v12
	v_bfrev_b32_e32 v19, 1
	s_and_saveexec_b64 s[6:7], vcc
	s_cbranch_execz .LBB406_639
; %bb.636:
	v_bfe_u32 v12, v7, 16, 7
	s_movk_i32 s3, 0x7f
	v_cmp_ne_u32_e32 vcc, s3, v12
	v_mov_b32_e32 v19, 0x7f800001
	s_and_saveexec_b64 s[10:11], vcc
	s_cbranch_execz .LBB406_638
; %bb.637:
	v_and_b32_e32 v19, 7, v10
	v_ffbh_u32_e32 v22, v19
	v_min_u32_e32 v24, 32, v22
	v_subrev_u32_e32 v22, 28, v24
	v_lshlrev_b64 v[22:23], v22, v[10:11]
	v_and_b32_e32 v22, 7, v22
	v_cmp_gt_u32_e32 vcc, 8, v12
	v_lshrrev_b32_e32 v21, 3, v12
	v_sub_u32_e32 v10, 29, v24
	v_cndmask_b32_e32 v12, v19, v22, vcc
	v_mov_b32_e32 v19, 24
	v_cndmask_b32_e32 v10, v21, v10, vcc
	v_lshlrev_b32_sdwa v19, v19, v7 dst_sel:DWORD dst_unused:UNUSED_PAD src0_sel:DWORD src1_sel:WORD_1
	v_bfrev_b32_e32 v21, 60
	v_lshlrev_b32_e32 v12, 20, v12
	v_and_b32_e32 v19, 0x80000000, v19
	v_lshl_add_u32 v10, v10, 23, v21
	v_or3_b32 v19, v19, v10, v12
.LBB406_638:
	s_or_b64 exec, exec, s[10:11]
.LBB406_639:
	s_or_b64 exec, exec, s[6:7]
.LBB406_640:
	s_or_b64 exec, exec, s[4:5]
	s_mov_b32 s4, -1
	s_mov_b32 s5, 0xffffff
	v_cmp_lt_u64_e32 vcc, s[4:5], v[6:7]
	v_mov_b32_e32 v12, 0
	v_mov_b32_e32 v10, 0
	s_and_saveexec_b64 s[4:5], vcc
	s_cbranch_execz .LBB406_646
; %bb.641:
	v_lshrrev_b32_e32 v6, 24, v7
	s_movk_i32 s3, 0x80
	v_cmp_ne_u32_e32 vcc, s3, v6
	v_bfrev_b32_e32 v10, 1
	s_and_saveexec_b64 s[6:7], vcc
	s_cbranch_execz .LBB406_645
; %bb.642:
	v_bfe_u32 v7, v7, 24, 7
	s_movk_i32 s3, 0x7f
	v_cmp_ne_u32_e32 vcc, s3, v7
	v_mov_b32_e32 v10, 0x7f800001
	s_and_saveexec_b64 s[10:11], vcc
	s_cbranch_execz .LBB406_644
; %bb.643:
	v_and_b32_e32 v10, 7, v6
	v_ffbh_u32_e32 v22, v10
	v_min_u32_e32 v24, 32, v22
	v_subrev_u32_e32 v22, 28, v24
	v_lshlrev_b64 v[22:23], v22, v[6:7]
	v_lshrrev_b32_e32 v21, 3, v7
	v_sub_u32_e32 v23, 29, v24
	v_and_b32_e32 v22, 7, v22
	v_cmp_gt_u32_e32 vcc, 8, v7
	v_cndmask_b32_e32 v7, v21, v23, vcc
	v_cndmask_b32_e32 v10, v10, v22, vcc
	v_lshlrev_b32_e32 v6, 24, v6
	v_bfrev_b32_e32 v21, 60
	v_lshlrev_b32_e32 v10, 20, v10
	v_and_b32_e32 v6, 0x80000000, v6
	v_lshl_add_u32 v7, v7, 23, v21
	v_or3_b32 v10, v6, v7, v10
.LBB406_644:
	s_or_b64 exec, exec, s[10:11]
.LBB406_645:
	s_or_b64 exec, exec, s[6:7]
.LBB406_646:
	s_or_b64 exec, exec, s[4:5]
	v_cvt_pkrtz_f16_f32 v6, v16, v17
	v_cvt_pkrtz_f16_f32 v7, v13, v18
	v_cvt_pkrtz_f16_f32 v16, v11, v20
	v_cvt_pkrtz_f16_f32 v17, v19, v10
	v_mfma_f32_4x4x4f16 a[0:3], v[14:15], v[6:7], a[0:3] cbsz:4 abid:8
	v_cmp_ne_u16_sdwa s[6:7], v8, v12 src0_sel:BYTE_0 src1_sel:DWORD
	v_mfma_f32_4x4x4f16 a[0:3], v[14:15], v[16:17], a[0:3] cbsz:4 abid:9
	s_and_saveexec_b64 s[4:5], s[6:7]
	s_cbranch_execz .LBB406_652
; %bb.647:
	s_movk_i32 s3, 0x80
	v_cmp_ne_u16_sdwa s[10:11], v8, s3 src0_sel:BYTE_0 src1_sel:DWORD
	v_bfrev_b32_e32 v12, 1
	s_and_saveexec_b64 s[6:7], s[10:11]
	s_cbranch_execz .LBB406_651
; %bb.648:
	s_movk_i32 s3, 0x7f
	v_and_b32_e32 v6, 0x7f, v8
	v_cmp_ne_u32_e32 vcc, s3, v6
	v_mov_b32_e32 v12, 0x7f800001
	s_and_saveexec_b64 s[10:11], vcc
	s_cbranch_execz .LBB406_650
; %bb.649:
	v_and_b32_e32 v7, 7, v8
	v_ffbh_u32_e32 v7, v7
	v_min_u32_e32 v7, 32, v7
	v_subrev_u32_e32 v11, 28, v7
	v_cmp_gt_u32_e32 vcc, 8, v6
	v_lshrrev_b32_e32 v10, 3, v6
	v_sub_u32_e32 v7, 29, v7
	v_cndmask_b32_e32 v6, 0, v11, vcc
	v_cndmask_b32_e32 v10, v10, v7, vcc
	v_lshlrev_b64 v[6:7], v6, v[8:9]
	v_lshlrev_b32_e32 v6, 20, v6
	v_lshlrev_b32_e32 v7, 24, v8
	v_bfrev_b32_e32 v11, 60
	v_and_b32_e32 v6, 0x700000, v6
	v_and_b32_e32 v7, 0x80000000, v7
	v_lshl_add_u32 v10, v10, 23, v11
	v_or3_b32 v12, v7, v10, v6
.LBB406_650:
	s_or_b64 exec, exec, s[10:11]
.LBB406_651:
	s_or_b64 exec, exec, s[6:7]
.LBB406_652:
	s_or_b64 exec, exec, s[4:5]
	v_lshrrev_b16_e32 v6, 8, v8
	v_cmp_ne_u16_e32 vcc, 0, v6
	v_mov_b32_e32 v11, 0
	v_mov_b32_e32 v13, 0
	s_and_saveexec_b64 s[4:5], vcc
	s_cbranch_execz .LBB406_658
; %bb.653:
	s_movk_i32 s3, 0x80
	v_cmp_ne_u16_e32 vcc, s3, v6
	v_bfrev_b32_e32 v13, 1
	s_and_saveexec_b64 s[6:7], vcc
	s_cbranch_execz .LBB406_657
; %bb.654:
	s_movk_i32 s3, 0x7f
	v_and_b32_e32 v7, 0x7f, v6
	v_cmp_ne_u32_e32 vcc, s3, v7
	v_mov_b32_e32 v13, 0x7f800001
	s_and_saveexec_b64 s[10:11], vcc
	s_cbranch_execz .LBB406_656
; %bb.655:
	v_and_b32_e32 v10, 7, v6
	v_ffbh_u32_e32 v16, v10
	v_min_u32_e32 v18, 32, v16
	v_subrev_u32_e32 v16, 28, v18
	v_lshlrev_b64 v[16:17], v16, v[6:7]
	v_lshrrev_b32_e32 v13, 3, v7
	v_sub_u32_e32 v6, 29, v18
	v_and_b32_e32 v16, 7, v16
	v_cmp_gt_u32_e32 vcc, 8, v7
	v_cndmask_b32_e32 v6, v13, v6, vcc
	v_cndmask_b32_e32 v7, v10, v16, vcc
	v_lshlrev_b32_e32 v10, 16, v8
	v_bfrev_b32_e32 v13, 60
	v_lshlrev_b32_e32 v7, 20, v7
	v_and_b32_e32 v10, 0x80000000, v10
	v_lshl_add_u32 v6, v6, 23, v13
	v_or3_b32 v13, v10, v6, v7
.LBB406_656:
	s_or_b64 exec, exec, s[10:11]
.LBB406_657:
	s_or_b64 exec, exec, s[6:7]
.LBB406_658:
	s_or_b64 exec, exec, s[4:5]
	s_movk_i32 s3, 0xff
	v_and_b32_sdwa v7, v8, s3 dst_sel:DWORD dst_unused:UNUSED_PAD src0_sel:WORD_1 src1_sel:DWORD
	v_lshrrev_b32_e32 v6, 16, v8
	v_cmp_ne_u16_e32 vcc, 0, v7
	s_and_saveexec_b64 s[4:5], vcc
	s_cbranch_execz .LBB406_664
; %bb.659:
	s_movk_i32 s3, 0x80
	v_cmp_ne_u16_e32 vcc, s3, v7
	v_bfrev_b32_e32 v11, 1
	s_and_saveexec_b64 s[6:7], vcc
	s_cbranch_execz .LBB406_663
; %bb.660:
	v_bfe_u32 v7, v8, 16, 7
	s_movk_i32 s3, 0x7f
	v_cmp_ne_u32_e32 vcc, s3, v7
	v_mov_b32_e32 v11, 0x7f800001
	s_and_saveexec_b64 s[10:11], vcc
	s_cbranch_execz .LBB406_662
; %bb.661:
	v_and_b32_e32 v16, 7, v6
	v_ffbh_u32_e32 v10, v16
	v_min_u32_e32 v18, 32, v10
	v_subrev_u32_e32 v10, 28, v18
	v_lshlrev_b64 v[10:11], v10, v[6:7]
	v_and_b32_e32 v10, 7, v10
	v_cmp_gt_u32_e32 vcc, 8, v7
	v_lshrrev_b32_e32 v17, 3, v7
	v_sub_u32_e32 v6, 29, v18
	v_cndmask_b32_e32 v7, v16, v10, vcc
	v_mov_b32_e32 v10, 24
	v_cndmask_b32_e32 v6, v17, v6, vcc
	v_lshlrev_b32_sdwa v10, v10, v8 dst_sel:DWORD dst_unused:UNUSED_PAD src0_sel:DWORD src1_sel:WORD_1
	v_bfrev_b32_e32 v11, 60
	v_lshlrev_b32_e32 v7, 20, v7
	v_and_b32_e32 v10, 0x80000000, v10
	v_lshl_add_u32 v6, v6, 23, v11
	v_or3_b32 v11, v10, v6, v7
.LBB406_662:
	s_or_b64 exec, exec, s[10:11]
.LBB406_663:
	s_or_b64 exec, exec, s[6:7]
.LBB406_664:
	s_or_b64 exec, exec, s[4:5]
	s_mov_b32 s3, 0xffffff
	v_cmp_lt_u32_e32 vcc, s3, v8
	v_mov_b32_e32 v7, 0
	v_mov_b32_e32 v16, 0
	s_and_saveexec_b64 s[4:5], vcc
	s_cbranch_execz .LBB406_670
; %bb.665:
	v_lshrrev_b32_e32 v6, 24, v8
	s_movk_i32 s3, 0x80
	v_cmp_ne_u32_e32 vcc, s3, v6
	v_bfrev_b32_e32 v16, 1
	s_and_saveexec_b64 s[6:7], vcc
	s_cbranch_execz .LBB406_669
; %bb.666:
	v_bfe_u32 v10, v8, 24, 7
	s_movk_i32 s3, 0x7f
	v_cmp_ne_u32_e32 vcc, s3, v10
	v_mov_b32_e32 v16, 0x7f800001
	s_and_saveexec_b64 s[10:11], vcc
	s_cbranch_execz .LBB406_668
; %bb.667:
	v_and_b32_e32 v18, 7, v6
	v_ffbh_u32_e32 v16, v18
	v_min_u32_e32 v20, 32, v16
	v_subrev_u32_e32 v16, 28, v20
	v_lshlrev_b64 v[16:17], v16, v[6:7]
	v_lshrrev_b32_e32 v19, 3, v10
	v_sub_u32_e32 v17, 29, v20
	v_and_b32_e32 v16, 7, v16
	v_cmp_gt_u32_e32 vcc, 8, v10
	v_cndmask_b32_e32 v10, v19, v17, vcc
	v_cndmask_b32_e32 v16, v18, v16, vcc
	v_lshlrev_b32_e32 v6, 24, v6
	v_bfrev_b32_e32 v17, 60
	v_lshlrev_b32_e32 v16, 20, v16
	v_and_b32_e32 v6, 0x80000000, v6
	v_lshl_add_u32 v10, v10, 23, v17
	v_or3_b32 v16, v6, v10, v16
.LBB406_668:
	s_or_b64 exec, exec, s[10:11]
.LBB406_669:
	s_or_b64 exec, exec, s[6:7]
.LBB406_670:
	s_or_b64 exec, exec, s[4:5]
	v_mov_b32_e32 v6, v9
	v_cmp_ne_u16_sdwa s[6:7], v9, v7 src0_sel:BYTE_0 src1_sel:DWORD
	s_and_saveexec_b64 s[4:5], s[6:7]
	s_cbranch_execz .LBB406_676
; %bb.671:
	s_movk_i32 s3, 0x80
	v_cmp_ne_u16_sdwa s[10:11], v9, s3 src0_sel:BYTE_0 src1_sel:DWORD
	v_bfrev_b32_e32 v10, 1
	s_and_saveexec_b64 s[6:7], s[10:11]
	s_cbranch_execz .LBB406_675
; %bb.672:
	s_movk_i32 s3, 0x7f
	v_and_b32_e32 v17, 0x7f, v9
	v_cmp_ne_u32_e32 vcc, s3, v17
	v_mov_b32_e32 v10, 0x7f800001
	s_and_saveexec_b64 s[10:11], vcc
	s_cbranch_execz .LBB406_674
; %bb.673:
	v_and_b32_e32 v10, 7, v9
	v_ffbh_u32_e32 v10, v10
	v_min_u32_e32 v10, 32, v10
	v_subrev_u32_e32 v19, 28, v10
	v_cmp_gt_u32_e32 vcc, 8, v17
	v_lshrrev_b32_e32 v18, 3, v17
	v_sub_u32_e32 v10, 29, v10
	v_cndmask_b32_e32 v17, 0, v19, vcc
	v_cndmask_b32_e32 v10, v18, v10, vcc
	v_lshlrev_b64 v[18:19], v17, v[6:7]
	v_lshlrev_b32_e32 v7, 20, v18
	v_lshlrev_b32_e32 v17, 24, v6
	v_bfrev_b32_e32 v18, 60
	v_and_b32_e32 v7, 0x700000, v7
	v_and_b32_e32 v17, 0x80000000, v17
	v_lshl_add_u32 v10, v10, 23, v18
	v_or3_b32 v10, v17, v10, v7
.LBB406_674:
	s_or_b64 exec, exec, s[10:11]
.LBB406_675:
	s_or_b64 exec, exec, s[6:7]
	v_mov_b32_e32 v7, v10
.LBB406_676:
	s_or_b64 exec, exec, s[4:5]
	v_lshrrev_b16_e32 v10, 8, v6
	v_cmp_ne_u16_e32 vcc, 0, v10
	v_mov_b32_e32 v17, 0
	v_mov_b32_e32 v18, 0
	s_and_saveexec_b64 s[4:5], vcc
	s_cbranch_execz .LBB406_682
; %bb.677:
	s_movk_i32 s3, 0x80
	v_cmp_ne_u16_e32 vcc, s3, v10
	v_bfrev_b32_e32 v18, 1
	s_and_saveexec_b64 s[6:7], vcc
	s_cbranch_execz .LBB406_681
; %bb.678:
	s_movk_i32 s3, 0x7f
	v_and_b32_e32 v19, 0x7f, v10
	v_cmp_ne_u32_e32 vcc, s3, v19
	v_mov_b32_e32 v18, 0x7f800001
	s_and_saveexec_b64 s[10:11], vcc
	s_cbranch_execz .LBB406_680
; %bb.679:
	v_and_b32_e32 v18, 7, v10
	v_ffbh_u32_e32 v20, v18
	v_min_u32_e32 v23, 32, v20
	v_subrev_u32_e32 v20, 28, v23
	v_lshlrev_b64 v[20:21], v20, v[10:11]
	v_lshrrev_b32_e32 v22, 3, v19
	v_sub_u32_e32 v10, 29, v23
	v_and_b32_e32 v20, 7, v20
	v_cmp_gt_u32_e32 vcc, 8, v19
	v_cndmask_b32_e32 v10, v22, v10, vcc
	v_cndmask_b32_e32 v18, v18, v20, vcc
	v_lshlrev_b32_e32 v6, 16, v6
	v_bfrev_b32_e32 v19, 60
	v_lshlrev_b32_e32 v18, 20, v18
	v_and_b32_e32 v6, 0x80000000, v6
	v_lshl_add_u32 v10, v10, 23, v19
	v_or3_b32 v18, v6, v10, v18
.LBB406_680:
	s_or_b64 exec, exec, s[10:11]
.LBB406_681:
	s_or_b64 exec, exec, s[6:7]
.LBB406_682:
	s_or_b64 exec, exec, s[4:5]
	s_movk_i32 s3, 0xff
	v_and_b32_sdwa v10, v9, s3 dst_sel:DWORD dst_unused:UNUSED_PAD src0_sel:WORD_1 src1_sel:DWORD
	v_lshrrev_b32_e32 v6, 16, v9
	v_cmp_ne_u16_e32 vcc, 0, v10
	s_and_saveexec_b64 s[4:5], vcc
	s_cbranch_execz .LBB406_688
; %bb.683:
	s_movk_i32 s3, 0x80
	v_cmp_ne_u16_e32 vcc, s3, v10
	v_bfrev_b32_e32 v17, 1
	s_and_saveexec_b64 s[6:7], vcc
	s_cbranch_execz .LBB406_687
; %bb.684:
	v_bfe_u32 v10, v9, 16, 7
	s_movk_i32 s3, 0x7f
	v_cmp_ne_u32_e32 vcc, s3, v10
	v_mov_b32_e32 v17, 0x7f800001
	s_and_saveexec_b64 s[10:11], vcc
	s_cbranch_execz .LBB406_686
; %bb.685:
	v_and_b32_e32 v17, 7, v6
	v_ffbh_u32_e32 v20, v17
	v_min_u32_e32 v22, 32, v20
	v_subrev_u32_e32 v20, 28, v22
	v_lshlrev_b64 v[20:21], v20, v[6:7]
	v_and_b32_e32 v20, 7, v20
	v_cmp_gt_u32_e32 vcc, 8, v10
	v_lshrrev_b32_e32 v19, 3, v10
	v_sub_u32_e32 v6, 29, v22
	v_cndmask_b32_e32 v10, v17, v20, vcc
	v_mov_b32_e32 v17, 24
	v_cndmask_b32_e32 v6, v19, v6, vcc
	v_lshlrev_b32_sdwa v17, v17, v9 dst_sel:DWORD dst_unused:UNUSED_PAD src0_sel:DWORD src1_sel:WORD_1
	v_bfrev_b32_e32 v19, 60
	v_lshlrev_b32_e32 v10, 20, v10
	v_and_b32_e32 v17, 0x80000000, v17
	v_lshl_add_u32 v6, v6, 23, v19
	v_or3_b32 v17, v17, v6, v10
.LBB406_686:
	s_or_b64 exec, exec, s[10:11]
.LBB406_687:
	s_or_b64 exec, exec, s[6:7]
.LBB406_688:
	s_or_b64 exec, exec, s[4:5]
	s_mov_b32 s4, -1
	s_mov_b32 s5, 0xffffff
	v_cmp_lt_u64_e32 vcc, s[4:5], v[8:9]
	v_mov_b32_e32 v10, 0
	v_mov_b32_e32 v8, 0
	s_and_saveexec_b64 s[4:5], vcc
	s_cbranch_execz .LBB406_694
; %bb.689:
	v_lshrrev_b32_e32 v6, 24, v9
	s_movk_i32 s3, 0x80
	v_cmp_ne_u32_e32 vcc, s3, v6
	v_bfrev_b32_e32 v8, 1
	s_and_saveexec_b64 s[6:7], vcc
	s_cbranch_execz .LBB406_693
; %bb.690:
	v_bfe_u32 v9, v9, 24, 7
	s_movk_i32 s3, 0x7f
	v_cmp_ne_u32_e32 vcc, s3, v9
	v_mov_b32_e32 v8, 0x7f800001
	s_and_saveexec_b64 s[10:11], vcc
	s_cbranch_execz .LBB406_692
; %bb.691:
	v_and_b32_e32 v8, 7, v6
	v_ffbh_u32_e32 v20, v8
	v_min_u32_e32 v22, 32, v20
	v_subrev_u32_e32 v20, 28, v22
	v_lshlrev_b64 v[20:21], v20, v[6:7]
	v_lshrrev_b32_e32 v19, 3, v9
	v_sub_u32_e32 v21, 29, v22
	v_and_b32_e32 v20, 7, v20
	v_cmp_gt_u32_e32 vcc, 8, v9
	v_cndmask_b32_e32 v9, v19, v21, vcc
	v_cndmask_b32_e32 v8, v8, v20, vcc
	v_lshlrev_b32_e32 v6, 24, v6
	v_bfrev_b32_e32 v19, 60
	v_lshlrev_b32_e32 v8, 20, v8
	v_and_b32_e32 v6, 0x80000000, v6
	v_lshl_add_u32 v9, v9, 23, v19
	v_or3_b32 v8, v6, v9, v8
.LBB406_692:
	s_or_b64 exec, exec, s[10:11]
.LBB406_693:
	s_or_b64 exec, exec, s[6:7]
.LBB406_694:
	s_or_b64 exec, exec, s[4:5]
	v_cvt_pkrtz_f16_f32 v12, v12, v13
	v_cvt_pkrtz_f16_f32 v13, v11, v16
	;; [unrolled: 1-line block ×4, first 2 shown]
	v_mfma_f32_4x4x4f16 a[0:3], v[14:15], v[12:13], a[0:3] cbsz:4 abid:10
	s_waitcnt vmcnt(0)
	v_cmp_ne_u16_sdwa s[6:7], v2, v10 src0_sel:BYTE_0 src1_sel:DWORD
	v_mfma_f32_4x4x4f16 a[0:3], v[14:15], v[6:7], a[0:3] cbsz:4 abid:11
	s_and_saveexec_b64 s[4:5], s[6:7]
	s_cbranch_execz .LBB406_700
; %bb.695:
	s_movk_i32 s3, 0x80
	v_cmp_ne_u16_sdwa s[10:11], v2, s3 src0_sel:BYTE_0 src1_sel:DWORD
	v_bfrev_b32_e32 v10, 1
	s_and_saveexec_b64 s[6:7], s[10:11]
	s_cbranch_execz .LBB406_699
; %bb.696:
	s_movk_i32 s3, 0x7f
	v_and_b32_e32 v6, 0x7f, v2
	v_cmp_ne_u32_e32 vcc, s3, v6
	v_mov_b32_e32 v10, 0x7f800001
	s_and_saveexec_b64 s[10:11], vcc
	s_cbranch_execz .LBB406_698
; %bb.697:
	v_and_b32_e32 v7, 7, v2
	v_ffbh_u32_e32 v7, v7
	v_min_u32_e32 v7, 32, v7
	v_subrev_u32_e32 v9, 28, v7
	v_cmp_gt_u32_e32 vcc, 8, v6
	v_lshrrev_b32_e32 v8, 3, v6
	v_sub_u32_e32 v7, 29, v7
	v_cndmask_b32_e32 v6, 0, v9, vcc
	v_cndmask_b32_e32 v8, v8, v7, vcc
	v_lshlrev_b64 v[6:7], v6, v[2:3]
	v_lshlrev_b32_e32 v6, 20, v6
	v_lshlrev_b32_e32 v7, 24, v2
	v_bfrev_b32_e32 v9, 60
	v_and_b32_e32 v6, 0x700000, v6
	v_and_b32_e32 v7, 0x80000000, v7
	v_lshl_add_u32 v8, v8, 23, v9
	v_or3_b32 v10, v7, v8, v6
.LBB406_698:
	s_or_b64 exec, exec, s[10:11]
.LBB406_699:
	s_or_b64 exec, exec, s[6:7]
.LBB406_700:
	s_or_b64 exec, exec, s[4:5]
	v_lshrrev_b16_e32 v6, 8, v2
	v_cmp_ne_u16_e32 vcc, 0, v6
	v_mov_b32_e32 v9, 0
	v_mov_b32_e32 v11, 0
	s_and_saveexec_b64 s[4:5], vcc
	s_cbranch_execz .LBB406_706
; %bb.701:
	s_movk_i32 s3, 0x80
	v_cmp_ne_u16_e32 vcc, s3, v6
	v_bfrev_b32_e32 v11, 1
	s_and_saveexec_b64 s[6:7], vcc
	s_cbranch_execz .LBB406_705
; %bb.702:
	s_movk_i32 s3, 0x7f
	v_and_b32_e32 v7, 0x7f, v6
	v_cmp_ne_u32_e32 vcc, s3, v7
	v_mov_b32_e32 v11, 0x7f800001
	s_and_saveexec_b64 s[10:11], vcc
	s_cbranch_execz .LBB406_704
; %bb.703:
	v_and_b32_e32 v8, 7, v6
	v_ffbh_u32_e32 v12, v8
	v_min_u32_e32 v16, 32, v12
	v_subrev_u32_e32 v12, 28, v16
	v_lshlrev_b64 v[12:13], v12, v[6:7]
	v_lshrrev_b32_e32 v11, 3, v7
	v_sub_u32_e32 v6, 29, v16
	v_and_b32_e32 v12, 7, v12
	v_cmp_gt_u32_e32 vcc, 8, v7
	v_cndmask_b32_e32 v6, v11, v6, vcc
	v_cndmask_b32_e32 v7, v8, v12, vcc
	v_lshlrev_b32_e32 v8, 16, v2
	v_bfrev_b32_e32 v11, 60
	v_lshlrev_b32_e32 v7, 20, v7
	v_and_b32_e32 v8, 0x80000000, v8
	v_lshl_add_u32 v6, v6, 23, v11
	v_or3_b32 v11, v8, v6, v7
.LBB406_704:
	s_or_b64 exec, exec, s[10:11]
.LBB406_705:
	s_or_b64 exec, exec, s[6:7]
.LBB406_706:
	s_or_b64 exec, exec, s[4:5]
	s_movk_i32 s3, 0xff
	v_and_b32_sdwa v7, v2, s3 dst_sel:DWORD dst_unused:UNUSED_PAD src0_sel:WORD_1 src1_sel:DWORD
	v_lshrrev_b32_e32 v6, 16, v2
	v_cmp_ne_u16_e32 vcc, 0, v7
	s_and_saveexec_b64 s[4:5], vcc
	s_cbranch_execz .LBB406_712
; %bb.707:
	s_movk_i32 s3, 0x80
	v_cmp_ne_u16_e32 vcc, s3, v7
	v_bfrev_b32_e32 v9, 1
	s_and_saveexec_b64 s[6:7], vcc
	s_cbranch_execz .LBB406_711
; %bb.708:
	v_bfe_u32 v7, v2, 16, 7
	s_movk_i32 s3, 0x7f
	v_cmp_ne_u32_e32 vcc, s3, v7
	v_mov_b32_e32 v9, 0x7f800001
	s_and_saveexec_b64 s[10:11], vcc
	s_cbranch_execz .LBB406_710
; %bb.709:
	v_and_b32_e32 v12, 7, v6
	v_ffbh_u32_e32 v8, v12
	v_min_u32_e32 v16, 32, v8
	v_subrev_u32_e32 v8, 28, v16
	v_lshlrev_b64 v[8:9], v8, v[6:7]
	v_and_b32_e32 v8, 7, v8
	v_cmp_gt_u32_e32 vcc, 8, v7
	v_lshrrev_b32_e32 v13, 3, v7
	v_sub_u32_e32 v6, 29, v16
	v_cndmask_b32_e32 v7, v12, v8, vcc
	v_mov_b32_e32 v8, 24
	v_cndmask_b32_e32 v6, v13, v6, vcc
	v_lshlrev_b32_sdwa v8, v8, v2 dst_sel:DWORD dst_unused:UNUSED_PAD src0_sel:DWORD src1_sel:WORD_1
	v_bfrev_b32_e32 v9, 60
	v_lshlrev_b32_e32 v7, 20, v7
	v_and_b32_e32 v8, 0x80000000, v8
	v_lshl_add_u32 v6, v6, 23, v9
	v_or3_b32 v9, v8, v6, v7
.LBB406_710:
	s_or_b64 exec, exec, s[10:11]
.LBB406_711:
	s_or_b64 exec, exec, s[6:7]
.LBB406_712:
	s_or_b64 exec, exec, s[4:5]
	s_mov_b32 s3, 0xffffff
	v_cmp_lt_u32_e32 vcc, s3, v2
	v_mov_b32_e32 v7, 0
	v_mov_b32_e32 v12, 0
	s_and_saveexec_b64 s[4:5], vcc
	s_cbranch_execz .LBB406_718
; %bb.713:
	v_lshrrev_b32_e32 v6, 24, v2
	s_movk_i32 s3, 0x80
	v_cmp_ne_u32_e32 vcc, s3, v6
	v_bfrev_b32_e32 v12, 1
	s_and_saveexec_b64 s[6:7], vcc
	s_cbranch_execz .LBB406_717
; %bb.714:
	v_bfe_u32 v8, v2, 24, 7
	s_movk_i32 s3, 0x7f
	v_cmp_ne_u32_e32 vcc, s3, v8
	v_mov_b32_e32 v12, 0x7f800001
	s_and_saveexec_b64 s[10:11], vcc
	s_cbranch_execz .LBB406_716
; %bb.715:
	v_and_b32_e32 v16, 7, v6
	v_ffbh_u32_e32 v12, v16
	v_min_u32_e32 v18, 32, v12
	v_subrev_u32_e32 v12, 28, v18
	v_lshlrev_b64 v[12:13], v12, v[6:7]
	v_lshrrev_b32_e32 v17, 3, v8
	v_sub_u32_e32 v13, 29, v18
	v_and_b32_e32 v12, 7, v12
	v_cmp_gt_u32_e32 vcc, 8, v8
	v_cndmask_b32_e32 v8, v17, v13, vcc
	v_cndmask_b32_e32 v12, v16, v12, vcc
	v_lshlrev_b32_e32 v6, 24, v6
	v_bfrev_b32_e32 v13, 60
	v_lshlrev_b32_e32 v12, 20, v12
	v_and_b32_e32 v6, 0x80000000, v6
	v_lshl_add_u32 v8, v8, 23, v13
	v_or3_b32 v12, v6, v8, v12
.LBB406_716:
	s_or_b64 exec, exec, s[10:11]
.LBB406_717:
	s_or_b64 exec, exec, s[6:7]
.LBB406_718:
	s_or_b64 exec, exec, s[4:5]
	v_mov_b32_e32 v6, v3
	v_cmp_ne_u16_sdwa s[6:7], v3, v7 src0_sel:BYTE_0 src1_sel:DWORD
	s_and_saveexec_b64 s[4:5], s[6:7]
	s_cbranch_execz .LBB406_724
; %bb.719:
	s_movk_i32 s3, 0x80
	v_cmp_ne_u16_sdwa s[10:11], v3, s3 src0_sel:BYTE_0 src1_sel:DWORD
	v_bfrev_b32_e32 v8, 1
	s_and_saveexec_b64 s[6:7], s[10:11]
	s_cbranch_execz .LBB406_723
; %bb.720:
	s_movk_i32 s3, 0x7f
	v_and_b32_e32 v13, 0x7f, v3
	v_cmp_ne_u32_e32 vcc, s3, v13
	v_mov_b32_e32 v8, 0x7f800001
	s_and_saveexec_b64 s[10:11], vcc
	s_cbranch_execz .LBB406_722
; %bb.721:
	v_and_b32_e32 v8, 7, v3
	v_ffbh_u32_e32 v8, v8
	v_min_u32_e32 v8, 32, v8
	v_subrev_u32_e32 v17, 28, v8
	v_cmp_gt_u32_e32 vcc, 8, v13
	v_lshrrev_b32_e32 v16, 3, v13
	v_sub_u32_e32 v8, 29, v8
	v_cndmask_b32_e32 v13, 0, v17, vcc
	v_cndmask_b32_e32 v8, v16, v8, vcc
	v_lshlrev_b64 v[16:17], v13, v[6:7]
	v_lshlrev_b32_e32 v7, 20, v16
	v_lshlrev_b32_e32 v13, 24, v6
	v_bfrev_b32_e32 v16, 60
	v_and_b32_e32 v7, 0x700000, v7
	v_and_b32_e32 v13, 0x80000000, v13
	v_lshl_add_u32 v8, v8, 23, v16
	v_or3_b32 v8, v13, v8, v7
.LBB406_722:
	s_or_b64 exec, exec, s[10:11]
.LBB406_723:
	s_or_b64 exec, exec, s[6:7]
	v_mov_b32_e32 v7, v8
.LBB406_724:
	s_or_b64 exec, exec, s[4:5]
	v_lshrrev_b16_e32 v8, 8, v6
	v_cmp_ne_u16_e32 vcc, 0, v8
	v_mov_b32_e32 v13, 0
	v_mov_b32_e32 v16, 0
	s_and_saveexec_b64 s[4:5], vcc
	s_cbranch_execz .LBB406_730
; %bb.725:
	s_movk_i32 s3, 0x80
	v_cmp_ne_u16_e32 vcc, s3, v8
	v_bfrev_b32_e32 v16, 1
	s_and_saveexec_b64 s[6:7], vcc
	s_cbranch_execz .LBB406_729
; %bb.726:
	s_movk_i32 s3, 0x7f
	v_and_b32_e32 v17, 0x7f, v8
	v_cmp_ne_u32_e32 vcc, s3, v17
	v_mov_b32_e32 v16, 0x7f800001
	s_and_saveexec_b64 s[10:11], vcc
	s_cbranch_execz .LBB406_728
; %bb.727:
	v_and_b32_e32 v16, 7, v8
	v_ffbh_u32_e32 v18, v16
	v_min_u32_e32 v21, 32, v18
	v_subrev_u32_e32 v18, 28, v21
	v_lshlrev_b64 v[18:19], v18, v[8:9]
	v_lshrrev_b32_e32 v20, 3, v17
	v_sub_u32_e32 v8, 29, v21
	v_and_b32_e32 v18, 7, v18
	v_cmp_gt_u32_e32 vcc, 8, v17
	v_cndmask_b32_e32 v8, v20, v8, vcc
	v_cndmask_b32_e32 v16, v16, v18, vcc
	v_lshlrev_b32_e32 v6, 16, v6
	v_bfrev_b32_e32 v17, 60
	v_lshlrev_b32_e32 v16, 20, v16
	v_and_b32_e32 v6, 0x80000000, v6
	v_lshl_add_u32 v8, v8, 23, v17
	v_or3_b32 v16, v6, v8, v16
.LBB406_728:
	s_or_b64 exec, exec, s[10:11]
.LBB406_729:
	s_or_b64 exec, exec, s[6:7]
.LBB406_730:
	s_or_b64 exec, exec, s[4:5]
	s_movk_i32 s3, 0xff
	v_and_b32_sdwa v8, v3, s3 dst_sel:DWORD dst_unused:UNUSED_PAD src0_sel:WORD_1 src1_sel:DWORD
	v_lshrrev_b32_e32 v6, 16, v3
	v_cmp_ne_u16_e32 vcc, 0, v8
	s_and_saveexec_b64 s[4:5], vcc
	s_cbranch_execz .LBB406_736
; %bb.731:
	s_movk_i32 s3, 0x80
	v_cmp_ne_u16_e32 vcc, s3, v8
	v_bfrev_b32_e32 v13, 1
	s_and_saveexec_b64 s[6:7], vcc
	s_cbranch_execz .LBB406_735
; %bb.732:
	v_bfe_u32 v8, v3, 16, 7
	s_movk_i32 s3, 0x7f
	v_cmp_ne_u32_e32 vcc, s3, v8
	v_mov_b32_e32 v13, 0x7f800001
	s_and_saveexec_b64 s[10:11], vcc
	s_cbranch_execz .LBB406_734
; %bb.733:
	v_and_b32_e32 v13, 7, v6
	v_ffbh_u32_e32 v18, v13
	v_min_u32_e32 v20, 32, v18
	v_subrev_u32_e32 v18, 28, v20
	v_lshlrev_b64 v[18:19], v18, v[6:7]
	v_and_b32_e32 v18, 7, v18
	v_cmp_gt_u32_e32 vcc, 8, v8
	v_lshrrev_b32_e32 v17, 3, v8
	v_sub_u32_e32 v6, 29, v20
	v_cndmask_b32_e32 v8, v13, v18, vcc
	v_mov_b32_e32 v13, 24
	v_cndmask_b32_e32 v6, v17, v6, vcc
	v_lshlrev_b32_sdwa v13, v13, v3 dst_sel:DWORD dst_unused:UNUSED_PAD src0_sel:DWORD src1_sel:WORD_1
	v_bfrev_b32_e32 v17, 60
	v_lshlrev_b32_e32 v8, 20, v8
	v_and_b32_e32 v13, 0x80000000, v13
	v_lshl_add_u32 v6, v6, 23, v17
	v_or3_b32 v13, v13, v6, v8
.LBB406_734:
	s_or_b64 exec, exec, s[10:11]
.LBB406_735:
	s_or_b64 exec, exec, s[6:7]
.LBB406_736:
	s_or_b64 exec, exec, s[4:5]
	s_mov_b32 s4, -1
	s_mov_b32 s5, 0xffffff
	v_cmp_lt_u64_e32 vcc, s[4:5], v[2:3]
	v_mov_b32_e32 v8, 0
	v_mov_b32_e32 v6, 0
	s_and_saveexec_b64 s[4:5], vcc
	s_cbranch_execz .LBB406_742
; %bb.737:
	v_lshrrev_b32_e32 v2, 24, v3
	s_movk_i32 s3, 0x80
	v_cmp_ne_u32_e32 vcc, s3, v2
	v_bfrev_b32_e32 v6, 1
	s_and_saveexec_b64 s[6:7], vcc
	s_cbranch_execz .LBB406_741
; %bb.738:
	v_bfe_u32 v3, v3, 24, 7
	s_movk_i32 s3, 0x7f
	v_cmp_ne_u32_e32 vcc, s3, v3
	v_mov_b32_e32 v6, 0x7f800001
	s_and_saveexec_b64 s[10:11], vcc
	s_cbranch_execz .LBB406_740
; %bb.739:
	v_and_b32_e32 v6, 7, v2
	v_ffbh_u32_e32 v18, v6
	v_min_u32_e32 v20, 32, v18
	v_subrev_u32_e32 v18, 28, v20
	v_lshlrev_b64 v[18:19], v18, v[2:3]
	v_lshrrev_b32_e32 v17, 3, v3
	v_sub_u32_e32 v19, 29, v20
	v_and_b32_e32 v18, 7, v18
	v_cmp_gt_u32_e32 vcc, 8, v3
	v_cndmask_b32_e32 v3, v17, v19, vcc
	v_cndmask_b32_e32 v6, v6, v18, vcc
	v_lshlrev_b32_e32 v2, 24, v2
	v_bfrev_b32_e32 v17, 60
	v_lshlrev_b32_e32 v6, 20, v6
	v_and_b32_e32 v2, 0x80000000, v2
	v_lshl_add_u32 v3, v3, 23, v17
	v_or3_b32 v6, v2, v3, v6
.LBB406_740:
	s_or_b64 exec, exec, s[10:11]
.LBB406_741:
	s_or_b64 exec, exec, s[6:7]
.LBB406_742:
	s_or_b64 exec, exec, s[4:5]
	v_cvt_pkrtz_f16_f32 v2, v10, v11
	v_cvt_pkrtz_f16_f32 v3, v9, v12
	;; [unrolled: 1-line block ×4, first 2 shown]
	v_mfma_f32_4x4x4f16 a[0:3], v[14:15], v[2:3], a[0:3] cbsz:4 abid:12
	v_cmp_ne_u16_sdwa s[6:7], v4, v8 src0_sel:BYTE_0 src1_sel:DWORD
	v_mfma_f32_4x4x4f16 a[0:3], v[14:15], v[10:11], a[0:3] cbsz:4 abid:13
	s_and_saveexec_b64 s[4:5], s[6:7]
	s_cbranch_execz .LBB406_748
; %bb.743:
	s_movk_i32 s3, 0x80
	v_cmp_ne_u16_sdwa s[10:11], v4, s3 src0_sel:BYTE_0 src1_sel:DWORD
	v_bfrev_b32_e32 v8, 1
	s_and_saveexec_b64 s[6:7], s[10:11]
	s_cbranch_execz .LBB406_747
; %bb.744:
	s_movk_i32 s3, 0x7f
	v_and_b32_e32 v2, 0x7f, v4
	v_cmp_ne_u32_e32 vcc, s3, v2
	v_mov_b32_e32 v8, 0x7f800001
	s_and_saveexec_b64 s[10:11], vcc
	s_cbranch_execz .LBB406_746
; %bb.745:
	v_and_b32_e32 v3, 7, v4
	v_ffbh_u32_e32 v3, v3
	v_min_u32_e32 v3, 32, v3
	v_subrev_u32_e32 v7, 28, v3
	v_cmp_gt_u32_e32 vcc, 8, v2
	v_lshrrev_b32_e32 v6, 3, v2
	v_sub_u32_e32 v3, 29, v3
	v_cndmask_b32_e32 v2, 0, v7, vcc
	v_cndmask_b32_e32 v6, v6, v3, vcc
	v_lshlrev_b64 v[2:3], v2, v[4:5]
	v_lshlrev_b32_e32 v2, 20, v2
	v_lshlrev_b32_e32 v3, 24, v4
	v_bfrev_b32_e32 v7, 60
	v_and_b32_e32 v2, 0x700000, v2
	v_and_b32_e32 v3, 0x80000000, v3
	v_lshl_add_u32 v6, v6, 23, v7
	v_or3_b32 v8, v3, v6, v2
.LBB406_746:
	s_or_b64 exec, exec, s[10:11]
.LBB406_747:
	s_or_b64 exec, exec, s[6:7]
.LBB406_748:
	s_or_b64 exec, exec, s[4:5]
	v_lshrrev_b16_e32 v2, 8, v4
	v_cmp_ne_u16_e32 vcc, 0, v2
	v_mov_b32_e32 v7, 0
	v_mov_b32_e32 v9, 0
	s_and_saveexec_b64 s[4:5], vcc
	s_cbranch_execz .LBB406_754
; %bb.749:
	s_movk_i32 s3, 0x80
	v_cmp_ne_u16_e32 vcc, s3, v2
	v_bfrev_b32_e32 v9, 1
	s_and_saveexec_b64 s[6:7], vcc
	s_cbranch_execz .LBB406_753
; %bb.750:
	s_movk_i32 s3, 0x7f
	v_and_b32_e32 v3, 0x7f, v2
	v_cmp_ne_u32_e32 vcc, s3, v3
	v_mov_b32_e32 v9, 0x7f800001
	s_and_saveexec_b64 s[10:11], vcc
	s_cbranch_execz .LBB406_752
; %bb.751:
	v_and_b32_e32 v6, 7, v2
	v_ffbh_u32_e32 v10, v6
	v_min_u32_e32 v12, 32, v10
	v_subrev_u32_e32 v10, 28, v12
	v_lshlrev_b64 v[10:11], v10, v[2:3]
	v_lshrrev_b32_e32 v9, 3, v3
	v_sub_u32_e32 v2, 29, v12
	v_and_b32_e32 v10, 7, v10
	v_cmp_gt_u32_e32 vcc, 8, v3
	v_cndmask_b32_e32 v2, v9, v2, vcc
	v_cndmask_b32_e32 v3, v6, v10, vcc
	v_lshlrev_b32_e32 v6, 16, v4
	v_bfrev_b32_e32 v9, 60
	v_lshlrev_b32_e32 v3, 20, v3
	v_and_b32_e32 v6, 0x80000000, v6
	v_lshl_add_u32 v2, v2, 23, v9
	v_or3_b32 v9, v6, v2, v3
.LBB406_752:
	s_or_b64 exec, exec, s[10:11]
.LBB406_753:
	s_or_b64 exec, exec, s[6:7]
.LBB406_754:
	s_or_b64 exec, exec, s[4:5]
	s_movk_i32 s3, 0xff
	v_and_b32_sdwa v3, v4, s3 dst_sel:DWORD dst_unused:UNUSED_PAD src0_sel:WORD_1 src1_sel:DWORD
	v_lshrrev_b32_e32 v2, 16, v4
	v_cmp_ne_u16_e32 vcc, 0, v3
	s_and_saveexec_b64 s[4:5], vcc
	s_cbranch_execz .LBB406_760
; %bb.755:
	s_movk_i32 s3, 0x80
	v_cmp_ne_u16_e32 vcc, s3, v3
	v_bfrev_b32_e32 v7, 1
	s_and_saveexec_b64 s[6:7], vcc
	s_cbranch_execz .LBB406_759
; %bb.756:
	v_bfe_u32 v3, v4, 16, 7
	s_movk_i32 s3, 0x7f
	v_cmp_ne_u32_e32 vcc, s3, v3
	v_mov_b32_e32 v7, 0x7f800001
	s_and_saveexec_b64 s[10:11], vcc
	s_cbranch_execz .LBB406_758
; %bb.757:
	v_and_b32_e32 v10, 7, v2
	v_ffbh_u32_e32 v6, v10
	v_min_u32_e32 v12, 32, v6
	v_subrev_u32_e32 v6, 28, v12
	v_lshlrev_b64 v[6:7], v6, v[2:3]
	v_and_b32_e32 v6, 7, v6
	v_cmp_gt_u32_e32 vcc, 8, v3
	v_lshrrev_b32_e32 v11, 3, v3
	v_sub_u32_e32 v2, 29, v12
	v_cndmask_b32_e32 v3, v10, v6, vcc
	v_mov_b32_e32 v6, 24
	v_cndmask_b32_e32 v2, v11, v2, vcc
	v_lshlrev_b32_sdwa v6, v6, v4 dst_sel:DWORD dst_unused:UNUSED_PAD src0_sel:DWORD src1_sel:WORD_1
	v_bfrev_b32_e32 v7, 60
	v_lshlrev_b32_e32 v3, 20, v3
	v_and_b32_e32 v6, 0x80000000, v6
	v_lshl_add_u32 v2, v2, 23, v7
	v_or3_b32 v7, v6, v2, v3
.LBB406_758:
	s_or_b64 exec, exec, s[10:11]
.LBB406_759:
	s_or_b64 exec, exec, s[6:7]
.LBB406_760:
	s_or_b64 exec, exec, s[4:5]
	s_mov_b32 s3, 0xffffff
	v_cmp_lt_u32_e32 vcc, s3, v4
	v_mov_b32_e32 v3, 0
	v_mov_b32_e32 v10, 0
	s_and_saveexec_b64 s[4:5], vcc
	s_cbranch_execz .LBB406_766
; %bb.761:
	v_lshrrev_b32_e32 v2, 24, v4
	s_movk_i32 s3, 0x80
	v_cmp_ne_u32_e32 vcc, s3, v2
	v_bfrev_b32_e32 v10, 1
	s_and_saveexec_b64 s[6:7], vcc
	s_cbranch_execz .LBB406_765
; %bb.762:
	v_bfe_u32 v6, v4, 24, 7
	s_movk_i32 s3, 0x7f
	v_cmp_ne_u32_e32 vcc, s3, v6
	v_mov_b32_e32 v10, 0x7f800001
	s_and_saveexec_b64 s[10:11], vcc
	s_cbranch_execz .LBB406_764
; %bb.763:
	v_and_b32_e32 v12, 7, v2
	v_ffbh_u32_e32 v10, v12
	v_min_u32_e32 v16, 32, v10
	v_subrev_u32_e32 v10, 28, v16
	v_lshlrev_b64 v[10:11], v10, v[2:3]
	v_lshrrev_b32_e32 v13, 3, v6
	v_sub_u32_e32 v11, 29, v16
	v_and_b32_e32 v10, 7, v10
	v_cmp_gt_u32_e32 vcc, 8, v6
	v_cndmask_b32_e32 v6, v13, v11, vcc
	v_cndmask_b32_e32 v10, v12, v10, vcc
	v_lshlrev_b32_e32 v2, 24, v2
	v_bfrev_b32_e32 v11, 60
	v_lshlrev_b32_e32 v10, 20, v10
	v_and_b32_e32 v2, 0x80000000, v2
	v_lshl_add_u32 v6, v6, 23, v11
	v_or3_b32 v10, v2, v6, v10
.LBB406_764:
	s_or_b64 exec, exec, s[10:11]
.LBB406_765:
	s_or_b64 exec, exec, s[6:7]
.LBB406_766:
	s_or_b64 exec, exec, s[4:5]
	v_mov_b32_e32 v2, v5
	v_cmp_ne_u16_sdwa s[6:7], v5, v3 src0_sel:BYTE_0 src1_sel:DWORD
	s_and_saveexec_b64 s[4:5], s[6:7]
	s_cbranch_execz .LBB406_772
; %bb.767:
	s_movk_i32 s3, 0x80
	v_cmp_ne_u16_sdwa s[10:11], v5, s3 src0_sel:BYTE_0 src1_sel:DWORD
	v_bfrev_b32_e32 v6, 1
	s_and_saveexec_b64 s[6:7], s[10:11]
	s_cbranch_execz .LBB406_771
; %bb.768:
	s_movk_i32 s3, 0x7f
	v_and_b32_e32 v11, 0x7f, v5
	v_cmp_ne_u32_e32 vcc, s3, v11
	v_mov_b32_e32 v6, 0x7f800001
	s_and_saveexec_b64 s[10:11], vcc
	s_cbranch_execz .LBB406_770
; %bb.769:
	v_and_b32_e32 v6, 7, v5
	v_ffbh_u32_e32 v6, v6
	v_min_u32_e32 v6, 32, v6
	v_subrev_u32_e32 v13, 28, v6
	v_cmp_gt_u32_e32 vcc, 8, v11
	v_lshrrev_b32_e32 v12, 3, v11
	v_sub_u32_e32 v6, 29, v6
	v_cndmask_b32_e32 v11, 0, v13, vcc
	v_cndmask_b32_e32 v6, v12, v6, vcc
	v_lshlrev_b64 v[12:13], v11, v[2:3]
	v_lshlrev_b32_e32 v3, 20, v12
	v_lshlrev_b32_e32 v11, 24, v2
	v_bfrev_b32_e32 v12, 60
	v_and_b32_e32 v3, 0x700000, v3
	v_and_b32_e32 v11, 0x80000000, v11
	v_lshl_add_u32 v6, v6, 23, v12
	v_or3_b32 v6, v11, v6, v3
.LBB406_770:
	s_or_b64 exec, exec, s[10:11]
.LBB406_771:
	s_or_b64 exec, exec, s[6:7]
	v_mov_b32_e32 v3, v6
.LBB406_772:
	s_or_b64 exec, exec, s[4:5]
	v_lshrrev_b16_e32 v6, 8, v2
	v_cmp_ne_u16_e32 vcc, 0, v6
	v_mov_b32_e32 v11, 0
	v_mov_b32_e32 v12, 0
	s_and_saveexec_b64 s[4:5], vcc
	s_cbranch_execz .LBB406_778
; %bb.773:
	s_movk_i32 s3, 0x80
	v_cmp_ne_u16_e32 vcc, s3, v6
	v_bfrev_b32_e32 v12, 1
	s_and_saveexec_b64 s[6:7], vcc
	s_cbranch_execz .LBB406_777
; %bb.774:
	s_movk_i32 s3, 0x7f
	v_and_b32_e32 v13, 0x7f, v6
	v_cmp_ne_u32_e32 vcc, s3, v13
	v_mov_b32_e32 v12, 0x7f800001
	s_and_saveexec_b64 s[10:11], vcc
	s_cbranch_execz .LBB406_776
; %bb.775:
	v_and_b32_e32 v12, 7, v6
	v_ffbh_u32_e32 v16, v12
	v_min_u32_e32 v19, 32, v16
	v_subrev_u32_e32 v16, 28, v19
	v_lshlrev_b64 v[16:17], v16, v[6:7]
	v_lshrrev_b32_e32 v18, 3, v13
	v_sub_u32_e32 v6, 29, v19
	v_and_b32_e32 v16, 7, v16
	v_cmp_gt_u32_e32 vcc, 8, v13
	v_cndmask_b32_e32 v6, v18, v6, vcc
	v_cndmask_b32_e32 v12, v12, v16, vcc
	v_lshlrev_b32_e32 v2, 16, v2
	v_bfrev_b32_e32 v13, 60
	v_lshlrev_b32_e32 v12, 20, v12
	v_and_b32_e32 v2, 0x80000000, v2
	v_lshl_add_u32 v6, v6, 23, v13
	v_or3_b32 v12, v2, v6, v12
.LBB406_776:
	s_or_b64 exec, exec, s[10:11]
.LBB406_777:
	s_or_b64 exec, exec, s[6:7]
.LBB406_778:
	s_or_b64 exec, exec, s[4:5]
	s_movk_i32 s3, 0xff
	v_and_b32_sdwa v6, v5, s3 dst_sel:DWORD dst_unused:UNUSED_PAD src0_sel:WORD_1 src1_sel:DWORD
	v_lshrrev_b32_e32 v2, 16, v5
	v_cmp_ne_u16_e32 vcc, 0, v6
	s_and_saveexec_b64 s[4:5], vcc
	s_cbranch_execz .LBB406_784
; %bb.779:
	s_movk_i32 s3, 0x80
	v_cmp_ne_u16_e32 vcc, s3, v6
	v_bfrev_b32_e32 v11, 1
	s_and_saveexec_b64 s[6:7], vcc
	s_cbranch_execz .LBB406_783
; %bb.780:
	v_bfe_u32 v6, v5, 16, 7
	s_movk_i32 s3, 0x7f
	v_cmp_ne_u32_e32 vcc, s3, v6
	v_mov_b32_e32 v11, 0x7f800001
	s_and_saveexec_b64 s[10:11], vcc
	s_cbranch_execz .LBB406_782
; %bb.781:
	v_and_b32_e32 v11, 7, v2
	v_ffbh_u32_e32 v16, v11
	v_min_u32_e32 v18, 32, v16
	v_subrev_u32_e32 v16, 28, v18
	v_lshlrev_b64 v[16:17], v16, v[2:3]
	v_and_b32_e32 v16, 7, v16
	v_cmp_gt_u32_e32 vcc, 8, v6
	v_lshrrev_b32_e32 v13, 3, v6
	v_sub_u32_e32 v2, 29, v18
	v_cndmask_b32_e32 v6, v11, v16, vcc
	v_mov_b32_e32 v11, 24
	v_cndmask_b32_e32 v2, v13, v2, vcc
	v_lshlrev_b32_sdwa v11, v11, v5 dst_sel:DWORD dst_unused:UNUSED_PAD src0_sel:DWORD src1_sel:WORD_1
	v_bfrev_b32_e32 v13, 60
	v_lshlrev_b32_e32 v6, 20, v6
	v_and_b32_e32 v11, 0x80000000, v11
	v_lshl_add_u32 v2, v2, 23, v13
	v_or3_b32 v11, v11, v2, v6
.LBB406_782:
	s_or_b64 exec, exec, s[10:11]
.LBB406_783:
	s_or_b64 exec, exec, s[6:7]
.LBB406_784:
	s_or_b64 exec, exec, s[4:5]
	s_mov_b32 s4, -1
	s_mov_b32 s5, 0xffffff
	v_cmp_lt_u64_e32 vcc, s[4:5], v[4:5]
	v_mov_b32_e32 v4, 0
	s_and_saveexec_b64 s[4:5], vcc
	s_cbranch_execz .LBB406_790
; %bb.785:
	v_lshrrev_b32_e32 v2, 24, v5
	s_movk_i32 s3, 0x80
	v_cmp_ne_u32_e32 vcc, s3, v2
	v_bfrev_b32_e32 v4, 1
	s_and_saveexec_b64 s[6:7], vcc
	s_cbranch_execz .LBB406_789
; %bb.786:
	v_bfe_u32 v5, v5, 24, 7
	s_movk_i32 s3, 0x7f
	v_cmp_ne_u32_e32 vcc, s3, v5
	v_mov_b32_e32 v4, 0x7f800001
	s_and_saveexec_b64 s[10:11], vcc
	s_cbranch_execz .LBB406_788
; %bb.787:
	v_and_b32_e32 v4, 7, v2
	v_ffbh_u32_e32 v13, v4
	v_min_u32_e32 v13, 32, v13
	v_subrev_u32_e32 v16, 28, v13
	v_lshlrev_b64 v[16:17], v16, v[2:3]
	v_lshrrev_b32_e32 v6, 3, v5
	v_sub_u32_e32 v13, 29, v13
	v_and_b32_e32 v16, 7, v16
	v_cmp_gt_u32_e32 vcc, 8, v5
	v_cndmask_b32_e32 v5, v6, v13, vcc
	v_cndmask_b32_e32 v4, v4, v16, vcc
	v_lshlrev_b32_e32 v2, 24, v2
	v_bfrev_b32_e32 v6, 60
	v_lshlrev_b32_e32 v4, 20, v4
	v_and_b32_e32 v2, 0x80000000, v2
	v_lshl_add_u32 v5, v5, 23, v6
	v_or3_b32 v4, v2, v5, v4
.LBB406_788:
	s_or_b64 exec, exec, s[10:11]
.LBB406_789:
	s_or_b64 exec, exec, s[6:7]
.LBB406_790:
	s_or_b64 exec, exec, s[4:5]
	v_cvt_pkrtz_f16_f32 v6, v8, v9
	v_cvt_pkrtz_f16_f32 v7, v7, v10
	;; [unrolled: 1-line block ×4, first 2 shown]
	v_mfma_f32_4x4x4f16 a[0:3], v[14:15], v[6:7], a[0:3] cbsz:4 abid:14
	s_load_dword s4, s[14:15], 0x0
	v_mfma_f32_4x4x4f16 a[0:3], v[14:15], v[2:3], a[0:3] cbsz:4 abid:15
	s_nop 4
	v_accvgpr_read_b32 v5, a1
	v_accvgpr_read_b32 v3, a3
	;; [unrolled: 1-line block ×4, first 2 shown]
	s_waitcnt lgkmcnt(0)
	v_pk_mul_f32 v[2:3], v[2:3], s[4:5] op_sel_hi:[1,0]
	v_pk_mul_f32 v[4:5], v[4:5], s[4:5] op_sel_hi:[1,0]
	v_cvt_f16_f32_e32 v4, v4
	v_cvt_f16_f32_e32 v5, v5
	;; [unrolled: 1-line block ×4, first 2 shown]
	v_pack_b32_f16 v2, v4, v5
	v_mad_u32_u24 v4, v1, 40, v25
	v_pack_b32_f16 v3, v6, v3
	ds_write_b64 v4, v[2:3]
.LBB406_791:
	s_or_b64 exec, exec, s[0:1]
	v_cmp_gt_u32_e32 vcc, 64, v0
	s_waitcnt lgkmcnt(0)
	s_barrier
	s_and_saveexec_b64 s[0:1], vcc
	s_cbranch_execz .LBB406_793
; %bb.792:
	s_mul_i32 s8, s8, s9
	s_lshl_b32 s0, s2, 6
	s_mov_b32 s1, 0
	s_waitcnt vmcnt(0)
	v_lshl_or_b32 v2, s8, 6, v0
	v_mov_b32_e32 v3, 0
	v_mul_u32_u24_e32 v4, 40, v1
	s_lshl_b64 s[2:3], s[0:1], 1
	v_lshlrev_b64 v[8:9], 1, v[2:3]
	ds_read2_b64 v[0:3], v4 offset1:1
	ds_read2_b64 v[4:7], v4 offset0:2 offset1:3
	s_add_u32 s2, s30, s2
	s_addc_u32 s3, s31, s3
	s_lshl_b32 s0, s28, 6
	s_lshl_b64 s[0:1], s[0:1], 1
	s_add_u32 s0, s2, s0
	s_waitcnt lgkmcnt(1)
	v_pk_add_f16 v0, v0, 0
	s_addc_u32 s1, s3, s1
	v_pk_add_f16 v0, v0, v2
	v_mov_b32_e32 v10, s1
	v_add_co_u32_e32 v8, vcc, s0, v8
	s_waitcnt lgkmcnt(0)
	v_pk_add_f16 v0, v0, v4
	v_addc_co_u32_e32 v9, vcc, v10, v9, vcc
	v_pk_add_f16 v0, v0, v6
	global_store_short v[8:9], v0, off
.LBB406_793:
	s_endpgm
	.section	.rodata,"a",@progbits
	.p2align	6, 0x0
	.amdhsa_kernel _Z38paged_attention_ll4mi_QKV_mfma4_kernelIDF16_hLN4vllm18Fp8KVCacheDataTypeE1EDF16_Li16ELi64ELi256ELb0ELi1EEvPKT_PKT0_S7_ifPKiS9_S9_iPKfiiiPfSC_PS2_PT2_iSB_SB_
		.amdhsa_group_segment_fixed_size 2720
		.amdhsa_private_segment_fixed_size 0
		.amdhsa_kernarg_size 400
		.amdhsa_user_sgpr_count 6
		.amdhsa_user_sgpr_private_segment_buffer 1
		.amdhsa_user_sgpr_dispatch_ptr 0
		.amdhsa_user_sgpr_queue_ptr 0
		.amdhsa_user_sgpr_kernarg_segment_ptr 1
		.amdhsa_user_sgpr_dispatch_id 0
		.amdhsa_user_sgpr_flat_scratch_init 0
		.amdhsa_user_sgpr_kernarg_preload_length 0
		.amdhsa_user_sgpr_kernarg_preload_offset 0
		.amdhsa_user_sgpr_private_segment_size 0
		.amdhsa_uses_dynamic_stack 0
		.amdhsa_system_sgpr_private_segment_wavefront_offset 0
		.amdhsa_system_sgpr_workgroup_id_x 1
		.amdhsa_system_sgpr_workgroup_id_y 1
		.amdhsa_system_sgpr_workgroup_id_z 1
		.amdhsa_system_sgpr_workgroup_info 0
		.amdhsa_system_vgpr_workitem_id 0
		.amdhsa_next_free_vgpr 60
		.amdhsa_next_free_sgpr 42
		.amdhsa_accum_offset 56
		.amdhsa_reserve_vcc 1
		.amdhsa_reserve_flat_scratch 0
		.amdhsa_float_round_mode_32 0
		.amdhsa_float_round_mode_16_64 0
		.amdhsa_float_denorm_mode_32 3
		.amdhsa_float_denorm_mode_16_64 3
		.amdhsa_dx10_clamp 1
		.amdhsa_ieee_mode 1
		.amdhsa_fp16_overflow 0
		.amdhsa_tg_split 0
		.amdhsa_exception_fp_ieee_invalid_op 0
		.amdhsa_exception_fp_denorm_src 0
		.amdhsa_exception_fp_ieee_div_zero 0
		.amdhsa_exception_fp_ieee_overflow 0
		.amdhsa_exception_fp_ieee_underflow 0
		.amdhsa_exception_fp_ieee_inexact 0
		.amdhsa_exception_int_div_zero 0
	.end_amdhsa_kernel
	.section	.text._Z38paged_attention_ll4mi_QKV_mfma4_kernelIDF16_hLN4vllm18Fp8KVCacheDataTypeE1EDF16_Li16ELi64ELi256ELb0ELi1EEvPKT_PKT0_S7_ifPKiS9_S9_iPKfiiiPfSC_PS2_PT2_iSB_SB_,"axG",@progbits,_Z38paged_attention_ll4mi_QKV_mfma4_kernelIDF16_hLN4vllm18Fp8KVCacheDataTypeE1EDF16_Li16ELi64ELi256ELb0ELi1EEvPKT_PKT0_S7_ifPKiS9_S9_iPKfiiiPfSC_PS2_PT2_iSB_SB_,comdat
.Lfunc_end406:
	.size	_Z38paged_attention_ll4mi_QKV_mfma4_kernelIDF16_hLN4vllm18Fp8KVCacheDataTypeE1EDF16_Li16ELi64ELi256ELb0ELi1EEvPKT_PKT0_S7_ifPKiS9_S9_iPKfiiiPfSC_PS2_PT2_iSB_SB_, .Lfunc_end406-_Z38paged_attention_ll4mi_QKV_mfma4_kernelIDF16_hLN4vllm18Fp8KVCacheDataTypeE1EDF16_Li16ELi64ELi256ELb0ELi1EEvPKT_PKT0_S7_ifPKiS9_S9_iPKfiiiPfSC_PS2_PT2_iSB_SB_
                                        ; -- End function
	.section	.AMDGPU.csdata,"",@progbits
; Kernel info:
; codeLenInByte = 27776
; NumSgprs: 46
; NumVgprs: 55
; NumAgprs: 4
; TotalNumVgprs: 60
; ScratchSize: 0
; MemoryBound: 0
; FloatMode: 240
; IeeeMode: 1
; LDSByteSize: 2720 bytes/workgroup (compile time only)
; SGPRBlocks: 5
; VGPRBlocks: 7
; NumSGPRsForWavesPerEU: 46
; NumVGPRsForWavesPerEU: 60
; AccumOffset: 56
; Occupancy: 8
; WaveLimiterHint : 1
; COMPUTE_PGM_RSRC2:SCRATCH_EN: 0
; COMPUTE_PGM_RSRC2:USER_SGPR: 6
; COMPUTE_PGM_RSRC2:TRAP_HANDLER: 0
; COMPUTE_PGM_RSRC2:TGID_X_EN: 1
; COMPUTE_PGM_RSRC2:TGID_Y_EN: 1
; COMPUTE_PGM_RSRC2:TGID_Z_EN: 1
; COMPUTE_PGM_RSRC2:TIDIG_COMP_CNT: 0
; COMPUTE_PGM_RSRC3_GFX90A:ACCUM_OFFSET: 13
; COMPUTE_PGM_RSRC3_GFX90A:TG_SPLIT: 0
	.section	.text._Z38paged_attention_ll4mi_QKV_mfma4_kernelIDF16_hLN4vllm18Fp8KVCacheDataTypeE1EDF16_Li16ELi64ELi256ELb0ELi2EEvPKT_PKT0_S7_ifPKiS9_S9_iPKfiiiPfSC_PS2_PT2_iSB_SB_,"axG",@progbits,_Z38paged_attention_ll4mi_QKV_mfma4_kernelIDF16_hLN4vllm18Fp8KVCacheDataTypeE1EDF16_Li16ELi64ELi256ELb0ELi2EEvPKT_PKT0_S7_ifPKiS9_S9_iPKfiiiPfSC_PS2_PT2_iSB_SB_,comdat
	.protected	_Z38paged_attention_ll4mi_QKV_mfma4_kernelIDF16_hLN4vllm18Fp8KVCacheDataTypeE1EDF16_Li16ELi64ELi256ELb0ELi2EEvPKT_PKT0_S7_ifPKiS9_S9_iPKfiiiPfSC_PS2_PT2_iSB_SB_ ; -- Begin function _Z38paged_attention_ll4mi_QKV_mfma4_kernelIDF16_hLN4vllm18Fp8KVCacheDataTypeE1EDF16_Li16ELi64ELi256ELb0ELi2EEvPKT_PKT0_S7_ifPKiS9_S9_iPKfiiiPfSC_PS2_PT2_iSB_SB_
	.globl	_Z38paged_attention_ll4mi_QKV_mfma4_kernelIDF16_hLN4vllm18Fp8KVCacheDataTypeE1EDF16_Li16ELi64ELi256ELb0ELi2EEvPKT_PKT0_S7_ifPKiS9_S9_iPKfiiiPfSC_PS2_PT2_iSB_SB_
	.p2align	8
	.type	_Z38paged_attention_ll4mi_QKV_mfma4_kernelIDF16_hLN4vllm18Fp8KVCacheDataTypeE1EDF16_Li16ELi64ELi256ELb0ELi2EEvPKT_PKT0_S7_ifPKiS9_S9_iPKfiiiPfSC_PS2_PT2_iSB_SB_,@function
_Z38paged_attention_ll4mi_QKV_mfma4_kernelIDF16_hLN4vllm18Fp8KVCacheDataTypeE1EDF16_Li16ELi64ELi256ELb0ELi2EEvPKT_PKT0_S7_ifPKiS9_S9_iPKfiiiPfSC_PS2_PT2_iSB_SB_: ; @_Z38paged_attention_ll4mi_QKV_mfma4_kernelIDF16_hLN4vllm18Fp8KVCacheDataTypeE1EDF16_Li16ELi64ELi256ELb0ELi2EEvPKT_PKT0_S7_ifPKiS9_S9_iPKfiiiPfSC_PS2_PT2_iSB_SB_
; %bb.0:
	s_load_dwordx2 s[2:3], s[4:5], 0x30
	s_mov_b32 s28, s7
	s_mov_b64 s[0:1], 0
	s_waitcnt lgkmcnt(0)
	s_cmp_lg_u64 s[2:3], 0
	s_cselect_b64 s[10:11], -1, 0
	s_and_b64 vcc, exec, s[10:11]
	s_cbranch_vccz .LBB407_10
; %bb.1:
	s_add_i32 s12, s6, 1
	s_mov_b32 s13, 0
	s_lshl_b64 s[14:15], s[12:13], 2
	s_add_u32 s14, s2, s14
	s_mov_b32 s7, s13
	s_addc_u32 s15, s3, s15
	s_lshl_b64 s[12:13], s[6:7], 2
	s_add_u32 s12, s2, s12
	s_addc_u32 s13, s3, s13
	s_load_dword s9, s[14:15], 0x0
	s_load_dword s16, s[12:13], 0x0
	s_waitcnt lgkmcnt(0)
	s_sub_i32 s9, s9, s16
	s_cmp_eq_u32 s9, 1
	s_cselect_b64 s[12:13], -1, 0
	s_andn2_b64 vcc, exec, s[0:1]
	s_cbranch_vccnz .LBB407_3
.LBB407_2:
	s_mov_b32 s7, 0
	s_mov_b64 s[12:13], -1
.LBB407_3:
	s_andn2_b64 vcc, exec, s[12:13]
	s_cbranch_vccnz .LBB407_793
; %bb.4:
	s_load_dword s9, s[4:5], 0x9c
	s_load_dwordx2 s[0:1], s[4:5], 0x28
	s_add_u32 s34, s4, 0x90
	s_addc_u32 s35, s5, 0
	s_lshl_b64 s[20:21], s[6:7], 2
	s_waitcnt lgkmcnt(0)
	s_and_b32 s9, s9, 0xffff
	s_add_u32 s0, s0, s20
	s_addc_u32 s1, s1, s21
	s_load_dword s7, s[0:1], 0x0
	s_mul_i32 s9, s28, s9
	s_waitcnt lgkmcnt(0)
	s_cmp_ge_i32 s9, s7
	s_cbranch_scc1 .LBB407_793
; %bb.5:
	v_and_b32_e32 v1, 0xc0, v0
	v_add_u32_e32 v4, s9, v1
	v_lshrrev_b32_e32 v42, 6, v0
	v_cmp_le_i32_e64 s[0:1], s7, v4
                                        ; implicit-def: $sgpr23
                                        ; implicit-def: $sgpr22
	s_and_saveexec_b64 s[12:13], s[0:1]
	s_xor_b64 s[12:13], exec, s[12:13]
	s_cbranch_execz .LBB407_7
; %bb.6:
	v_mul_u32_u24_e32 v1, 20, v42
	v_or_b32_e32 v1, 0xa00, v1
	v_mov_b32_e32 v2, 0xa50
	v_mov_b32_e32 v3, 0xff7fffff
	v_mad_u32_u24 v2, v42, 20, v2
	ds_write2_b32 v1, v3, v3 offset1:1
	v_mov_b32_e32 v1, 0
	ds_write2_b32 v2, v1, v1 offset1:1
	v_mov_b32_e32 v2, 0xa08
	v_mov_b32_e32 v4, 0xa58
	s_mov_b32 s22, 0xff7fffff
	s_mov_b32 s23, 0
	v_mad_u32_u24 v2, v42, 20, v2
	v_mad_u32_u24 v4, v42, 20, v4
	ds_write2_b32 v2, v3, v3 offset1:1
	ds_write2_b32 v4, v1, v1 offset1:1
                                        ; implicit-def: $vgpr4
.LBB407_7:
	s_or_saveexec_b64 s[36:37], s[12:13]
	s_load_dwordx2 s[30:31], s[4:5], 0x68
	s_load_dwordx4 s[16:19], s[4:5], 0x58
	s_load_dword s33, s[34:35], 0x4
	s_load_dwordx4 s[12:15], s[4:5], 0x80
	v_and_b32_e32 v1, 63, v0
	v_and_b32_e32 v43, 3, v0
	v_mov_b32_e32 v21, s23
	v_mov_b32_e32 v26, s22
	;; [unrolled: 1-line block ×5, first 2 shown]
                                        ; implicit-def: $vgpr14_vgpr15
                                        ; implicit-def: $vgpr10_vgpr11
                                        ; implicit-def: $vgpr6_vgpr7
                                        ; implicit-def: $vgpr2_vgpr3
	s_xor_b64 exec, exec, s[36:37]
	s_cbranch_execz .LBB407_401
; %bb.8:
	s_add_i32 s25, s7, 15
	s_ashr_i32 s26, s25, 31
	s_load_dwordx2 s[22:23], s[4:5], 0x20
	s_load_dword s24, s[4:5], 0x38
	s_lshr_b32 s26, s26, 28
	v_add_u32_e32 v44, s9, v0
	s_add_i32 s25, s25, s26
	v_ashrrev_i32_e32 v2, 31, v44
	s_ashr_i32 s25, s25, 4
	v_lshrrev_b32_e32 v2, 28, v2
	s_add_i32 s26, s25, -1
	v_add_u32_e32 v2, v44, v2
	v_ashrrev_i32_e32 v2, 4, v2
	v_mov_b32_e32 v3, s26
	v_cmp_gt_i32_e32 vcc, s7, v44
	s_waitcnt lgkmcnt(0)
	s_mul_i32 s24, s6, s24
	s_mov_b32 s25, 0
	v_cndmask_b32_e32 v2, v3, v2, vcc
	s_lshl_b64 s[24:25], s[24:25], 2
	v_ashrrev_i32_e32 v3, 31, v2
	s_add_u32 s22, s22, s24
	v_lshlrev_b64 v[2:3], 2, v[2:3]
	v_add_co_u32_e32 v8, vcc, s22, v2
	v_ashrrev_i32_e32 v2, 31, v4
	v_lshrrev_b32_e32 v2, 28, v2
	v_add_u32_e32 v2, v4, v2
	s_addc_u32 s23, s23, s25
	v_ashrrev_i32_e32 v4, 4, v2
	v_mov_b32_e32 v5, s23
	v_min_i32_e32 v2, s26, v4
	v_addc_co_u32_e32 v9, vcc, v5, v3, vcc
	v_ashrrev_i32_e32 v3, 31, v2
	v_lshlrev_b64 v[2:3], 2, v[2:3]
	v_add_co_u32_e32 v10, vcc, s22, v2
	v_add_u32_e32 v2, 1, v4
	v_min_i32_e32 v2, s26, v2
	v_addc_co_u32_e32 v11, vcc, v5, v3, vcc
	v_ashrrev_i32_e32 v3, 31, v2
	v_lshlrev_b64 v[2:3], 2, v[2:3]
	v_add_co_u32_e32 v12, vcc, s22, v2
	v_add_u32_e32 v2, 2, v4
	;; [unrolled: 6-line block ×3, first 2 shown]
	v_min_i32_e32 v2, s26, v2
	v_addc_co_u32_e32 v15, vcc, v5, v3, vcc
	v_ashrrev_i32_e32 v3, 31, v2
	v_lshlrev_b64 v[2:3], 2, v[2:3]
	v_mov_b32_e32 v4, s23
	v_add_co_u32_e32 v16, vcc, s22, v2
	v_addc_co_u32_e32 v17, vcc, v4, v3, vcc
	global_load_dword v6, v[8:9], off
	global_load_dword v5, v[10:11], off
	;; [unrolled: 1-line block ×5, first 2 shown]
	s_load_dwordx4 s[24:27], s[4:5], 0x8
	s_andn2_b64 vcc, exec, s[10:11]
	s_cbranch_vccnz .LBB407_11
; %bb.9:
	s_add_u32 s2, s2, s20
	s_addc_u32 s3, s3, s21
	s_load_dword s9, s[2:3], 0x0
	s_branch .LBB407_12
.LBB407_10:
	s_mov_b64 s[12:13], 0
	s_branch .LBB407_2
.LBB407_11:
	s_mov_b32 s9, s6
.LBB407_12:
	s_load_dwordx4 s[20:23], s[4:5], 0x48
	v_cmp_gt_u32_e32 vcc, 2, v43
	s_mov_b32 s11, 0
	v_mov_b32_e32 v39, 0
	v_mov_b32_e32 v18, 0
	;; [unrolled: 1-line block ×5, first 2 shown]
	s_and_saveexec_b64 s[2:3], vcc
	s_cbranch_execz .LBB407_14
; %bb.13:
	s_load_dwordx2 s[38:39], s[4:5], 0x0
	s_waitcnt lgkmcnt(0)
	s_ashr_i32 s10, s20, 31
	s_mul_hi_u32 s23, s9, s20
	s_mul_i32 s10, s9, s10
	s_add_i32 s41, s23, s10
	s_mul_i32 s40, s9, s20
	s_lshl_b64 s[40:41], s[40:41], 1
	s_add_u32 s9, s38, s40
	s_addc_u32 s20, s39, s41
	s_lshl_b32 s10, s8, 7
	s_lshl_b64 s[10:11], s[10:11], 1
	s_add_u32 s10, s9, s10
	v_lshlrev_b32_e32 v7, 3, v43
	v_lshrrev_b32_e32 v8, 2, v1
	s_addc_u32 s11, s20, s11
	v_add_lshl_u32 v7, v7, v8, 4
	global_load_dwordx4 v[18:21], v7, s[10:11]
.LBB407_14:
	s_or_b64 exec, exec, s[2:3]
	s_waitcnt lgkmcnt(0)
	s_mul_i32 s9, s8, s22
	s_add_u32 s2, s9, s24
	s_addc_u32 s3, 0, s25
	v_pk_mov_b32 v[8:9], s[2:3], s[2:3] op_sel:[0,1]
	s_waitcnt vmcnt(4)
	v_mad_i64_i32 v[6:7], s[2:3], v6, s21, v[8:9]
	v_lshlrev_b32_e32 v8, 4, v0
	v_and_b32_e32 v8, 0xf0, v8
	v_add_co_u32_e32 v6, vcc, v6, v8
	v_addc_co_u32_e32 v7, vcc, 0, v7, vcc
	global_load_dwordx4 v[34:37], v[6:7], off
	global_load_dwordx4 v[30:33], v[6:7], off offset:256
	global_load_dwordx4 v[26:29], v[6:7], off offset:512
	;; [unrolled: 1-line block ×3, first 2 shown]
	s_add_u32 s2, s26, s9
	v_lshlrev_b32_e32 v6, 4, v1
	v_add_co_u32_e32 v8, vcc, s2, v6
	s_waitcnt vmcnt(7)
	v_mul_hi_i32 v6, v5, s21
	s_addc_u32 s3, s27, 0
	v_ashrrev_i32_e32 v6, 31, v6
	v_mov_b32_e32 v7, s3
	v_lshrrev_b32_e32 v38, 29, v6
	v_addc_co_u32_e32 v9, vcc, 0, v7, vcc
	v_mad_i64_i32 v[6:7], s[2:3], v5, s21, v[38:39]
	v_and_b32_e32 v5, -8, v6
	v_add_co_u32_e32 v6, vcc, v8, v5
	s_waitcnt vmcnt(6)
	v_mul_hi_i32 v5, v4, s21
	v_ashrrev_i32_e32 v5, 31, v5
	v_lshrrev_b32_e32 v38, 29, v5
	v_mad_i64_i32 v[4:5], s[2:3], v4, s21, v[38:39]
	v_addc_co_u32_e32 v7, vcc, v9, v7, vcc
	v_and_b32_e32 v4, -8, v4
	v_add_co_u32_e32 v4, vcc, v8, v4
	v_addc_co_u32_e32 v5, vcc, v9, v5, vcc
	global_load_dwordx4 v[14:17], v[6:7], off
	global_load_dwordx4 v[10:13], v[4:5], off
	s_waitcnt vmcnt(7)
	v_mul_hi_i32 v4, v3, s21
	v_ashrrev_i32_e32 v4, 31, v4
	v_lshrrev_b32_e32 v38, 29, v4
	v_mad_i64_i32 v[4:5], s[2:3], v3, s21, v[38:39]
	v_and_b32_e32 v3, -8, v4
	v_add_co_u32_e32 v40, vcc, v8, v3
	s_waitcnt vmcnt(6)
	v_mul_hi_i32 v3, v2, s21
	v_ashrrev_i32_e32 v3, 31, v3
	v_lshrrev_b32_e32 v38, 29, v3
	v_mad_i64_i32 v[2:3], s[2:3], v2, s21, v[38:39]
	v_addc_co_u32_e32 v41, vcc, v9, v5, vcc
	v_and_b32_e32 v2, -8, v2
	v_add_co_u32_e32 v46, vcc, v8, v2
	v_addc_co_u32_e32 v47, vcc, v9, v3, vcc
	global_load_dwordx4 v[6:9], v[40:41], off
	global_load_dwordx4 v[2:5], v[46:47], off
	v_mov_b32_e32 v45, 0
	s_waitcnt vmcnt(7)
	v_cmp_ne_u16_sdwa s[10:11], v34, v39 src0_sel:BYTE_0 src1_sel:DWORD
	s_and_saveexec_b64 s[2:3], s[10:11]
	s_cbranch_execz .LBB407_20
; %bb.15:
	s_movk_i32 s9, 0x80
	v_cmp_ne_u16_sdwa s[20:21], v34, s9 src0_sel:BYTE_0 src1_sel:DWORD
	v_bfrev_b32_e32 v45, 1
	s_and_saveexec_b64 s[10:11], s[20:21]
	s_cbranch_execz .LBB407_19
; %bb.16:
	s_movk_i32 s9, 0x7f
	v_and_b32_e32 v38, 0x7f, v34
	v_cmp_ne_u32_e32 vcc, s9, v38
	v_mov_b32_e32 v45, 0x7f800001
	s_and_saveexec_b64 s[20:21], vcc
	s_cbranch_execz .LBB407_18
; %bb.17:
	v_and_b32_e32 v40, 7, v34
	v_ffbh_u32_e32 v40, v40
	v_min_u32_e32 v40, 32, v40
	v_lshrrev_b32_e32 v41, 3, v38
	v_subrev_u32_e32 v45, 28, v40
	v_sub_u32_e32 v40, 29, v40
	v_cmp_gt_u32_e32 vcc, 8, v38
	v_cndmask_b32_e32 v38, v41, v40, vcc
	v_cndmask_b32_e32 v40, 0, v45, vcc
	v_lshlrev_b64 v[40:41], v40, v[34:35]
	v_lshlrev_b32_e32 v40, 20, v40
	v_lshlrev_b32_e32 v41, 24, v34
	v_bfrev_b32_e32 v45, 60
	v_and_b32_e32 v40, 0x700000, v40
	v_and_b32_e32 v41, 0x80000000, v41
	v_lshl_add_u32 v38, v38, 23, v45
	v_or3_b32 v45, v41, v38, v40
.LBB407_18:
	s_or_b64 exec, exec, s[20:21]
.LBB407_19:
	s_or_b64 exec, exec, s[10:11]
.LBB407_20:
	s_or_b64 exec, exec, s[2:3]
	v_lshrrev_b16_e32 v38, 8, v34
	v_cmp_ne_u16_e32 vcc, 0, v38
	s_and_saveexec_b64 s[2:3], vcc
	s_cbranch_execz .LBB407_26
; %bb.21:
	s_movk_i32 s9, 0x80
	v_cmp_ne_u16_e32 vcc, s9, v38
	v_bfrev_b32_e32 v39, 1
	s_and_saveexec_b64 s[10:11], vcc
	s_cbranch_execz .LBB407_25
; %bb.22:
	s_movk_i32 s9, 0x7f
	v_and_b32_e32 v40, 0x7f, v38
	v_cmp_ne_u32_e32 vcc, s9, v40
	v_mov_b32_e32 v39, 0x7f800001
	s_and_saveexec_b64 s[20:21], vcc
	s_cbranch_execz .LBB407_24
; %bb.23:
	v_and_b32_e32 v41, 7, v38
	v_ffbh_u32_e32 v39, v41
	v_min_u32_e32 v47, 32, v39
	v_subrev_u32_e32 v39, 28, v47
	v_lshlrev_b64 v[38:39], v39, v[38:39]
	v_lshrrev_b32_e32 v46, 3, v40
	v_sub_u32_e32 v39, 29, v47
	v_and_b32_e32 v38, 7, v38
	v_cmp_gt_u32_e32 vcc, 8, v40
	v_cndmask_b32_e32 v39, v46, v39, vcc
	v_cndmask_b32_e32 v38, v41, v38, vcc
	v_lshlrev_b32_e32 v40, 16, v34
	v_bfrev_b32_e32 v41, 60
	v_lshlrev_b32_e32 v38, 20, v38
	v_and_b32_e32 v40, 0x80000000, v40
	v_lshl_add_u32 v39, v39, 23, v41
	v_or3_b32 v39, v40, v39, v38
.LBB407_24:
	s_or_b64 exec, exec, s[20:21]
.LBB407_25:
	s_or_b64 exec, exec, s[10:11]
.LBB407_26:
	s_or_b64 exec, exec, s[2:3]
	s_movk_i32 s2, 0xff
	v_and_b32_sdwa v40, v34, s2 dst_sel:DWORD dst_unused:UNUSED_PAD src0_sel:WORD_1 src1_sel:DWORD
	v_lshrrev_b32_e32 v38, 16, v34
	v_cmp_ne_u16_e32 vcc, 0, v40
	v_mov_b32_e32 v46, 0
	v_mov_b32_e32 v47, 0
	s_and_saveexec_b64 s[2:3], vcc
	s_cbranch_execz .LBB407_32
; %bb.27:
	s_movk_i32 s9, 0x80
	v_cmp_ne_u16_e32 vcc, s9, v40
	v_bfrev_b32_e32 v47, 1
	s_and_saveexec_b64 s[10:11], vcc
	s_cbranch_execz .LBB407_31
; %bb.28:
	v_bfe_u32 v40, v34, 16, 7
	s_movk_i32 s9, 0x7f
	v_cmp_ne_u32_e32 vcc, s9, v40
	v_mov_b32_e32 v47, 0x7f800001
	s_and_saveexec_b64 s[20:21], vcc
	s_cbranch_execz .LBB407_30
; %bb.29:
	v_and_b32_e32 v41, 7, v38
	v_ffbh_u32_e32 v48, v41
	v_min_u32_e32 v50, 32, v48
	v_subrev_u32_e32 v48, 28, v50
	v_lshlrev_b64 v[48:49], v48, v[38:39]
	v_and_b32_e32 v48, 7, v48
	v_cmp_gt_u32_e32 vcc, 8, v40
	v_lshrrev_b32_e32 v47, 3, v40
	v_sub_u32_e32 v38, 29, v50
	v_cndmask_b32_e32 v40, v41, v48, vcc
	v_mov_b32_e32 v41, 24
	v_cndmask_b32_e32 v38, v47, v38, vcc
	v_lshlrev_b32_sdwa v41, v41, v34 dst_sel:DWORD dst_unused:UNUSED_PAD src0_sel:DWORD src1_sel:WORD_1
	v_bfrev_b32_e32 v47, 60
	v_lshlrev_b32_e32 v40, 20, v40
	v_and_b32_e32 v41, 0x80000000, v41
	v_lshl_add_u32 v38, v38, 23, v47
	v_or3_b32 v47, v41, v38, v40
.LBB407_30:
	s_or_b64 exec, exec, s[20:21]
.LBB407_31:
	s_or_b64 exec, exec, s[10:11]
.LBB407_32:
	s_or_b64 exec, exec, s[2:3]
	s_mov_b32 s2, 0xffffff
	v_cmp_lt_u32_e32 vcc, s2, v34
	s_and_saveexec_b64 s[2:3], vcc
	s_cbranch_execz .LBB407_38
; %bb.33:
	v_lshrrev_b32_e32 v38, 24, v34
	s_movk_i32 s9, 0x80
	v_cmp_ne_u32_e32 vcc, s9, v38
	v_bfrev_b32_e32 v46, 1
	s_and_saveexec_b64 s[10:11], vcc
	s_cbranch_execz .LBB407_37
; %bb.34:
	v_bfe_u32 v40, v34, 24, 7
	s_movk_i32 s9, 0x7f
	v_cmp_ne_u32_e32 vcc, s9, v40
	v_mov_b32_e32 v46, 0x7f800001
	s_and_saveexec_b64 s[20:21], vcc
	s_cbranch_execz .LBB407_36
; %bb.35:
	v_and_b32_e32 v41, 7, v38
	v_ffbh_u32_e32 v48, v41
	v_min_u32_e32 v50, 32, v48
	v_subrev_u32_e32 v48, 28, v50
	v_lshlrev_b64 v[48:49], v48, v[38:39]
	v_lshrrev_b32_e32 v46, 3, v40
	v_sub_u32_e32 v49, 29, v50
	v_and_b32_e32 v48, 7, v48
	v_cmp_gt_u32_e32 vcc, 8, v40
	v_cndmask_b32_e32 v40, v46, v49, vcc
	v_cndmask_b32_e32 v41, v41, v48, vcc
	v_lshlrev_b32_e32 v38, 24, v38
	v_bfrev_b32_e32 v46, 60
	v_lshlrev_b32_e32 v41, 20, v41
	v_and_b32_e32 v38, 0x80000000, v38
	v_lshl_add_u32 v40, v40, 23, v46
	v_or3_b32 v46, v38, v40, v41
.LBB407_36:
	s_or_b64 exec, exec, s[20:21]
.LBB407_37:
	s_or_b64 exec, exec, s[10:11]
.LBB407_38:
	s_or_b64 exec, exec, s[2:3]
	v_mov_b32_e32 v41, 0
	v_mov_b32_e32 v40, v35
	v_cmp_ne_u16_sdwa s[10:11], v35, v41 src0_sel:BYTE_0 src1_sel:DWORD
	v_mov_b32_e32 v48, v41
	s_and_saveexec_b64 s[2:3], s[10:11]
	s_cbranch_execz .LBB407_44
; %bb.39:
	s_movk_i32 s9, 0x80
	v_cmp_ne_u16_sdwa s[20:21], v35, s9 src0_sel:BYTE_0 src1_sel:DWORD
	v_bfrev_b32_e32 v48, 1
	s_and_saveexec_b64 s[10:11], s[20:21]
	s_cbranch_execz .LBB407_43
; %bb.40:
	s_movk_i32 s9, 0x7f
	v_and_b32_e32 v38, 0x7f, v35
	v_cmp_ne_u32_e32 vcc, s9, v38
	v_mov_b32_e32 v48, 0x7f800001
	s_and_saveexec_b64 s[20:21], vcc
	s_cbranch_execz .LBB407_42
; %bb.41:
	v_and_b32_e32 v48, 7, v35
	v_ffbh_u32_e32 v48, v48
	v_min_u32_e32 v48, 32, v48
	v_lshrrev_b32_e32 v49, 3, v38
	v_subrev_u32_e32 v50, 28, v48
	v_sub_u32_e32 v48, 29, v48
	v_cmp_gt_u32_e32 vcc, 8, v38
	v_cndmask_b32_e32 v38, v49, v48, vcc
	v_cndmask_b32_e32 v48, 0, v50, vcc
	v_lshlrev_b64 v[48:49], v48, v[40:41]
	v_lshlrev_b32_e32 v48, 20, v48
	v_lshlrev_b32_e32 v49, 24, v40
	v_bfrev_b32_e32 v50, 60
	v_and_b32_e32 v48, 0x700000, v48
	v_and_b32_e32 v49, 0x80000000, v49
	v_lshl_add_u32 v38, v38, 23, v50
	v_or3_b32 v48, v49, v38, v48
.LBB407_42:
	s_or_b64 exec, exec, s[20:21]
.LBB407_43:
	s_or_b64 exec, exec, s[10:11]
.LBB407_44:
	s_or_b64 exec, exec, s[2:3]
	v_lshrrev_b16_e32 v38, 8, v40
	v_cmp_ne_u16_e32 vcc, 0, v38
	s_and_saveexec_b64 s[2:3], vcc
	s_cbranch_execz .LBB407_50
; %bb.45:
	s_movk_i32 s9, 0x80
	v_cmp_ne_u16_e32 vcc, s9, v38
	v_bfrev_b32_e32 v41, 1
	s_and_saveexec_b64 s[10:11], vcc
	s_cbranch_execz .LBB407_49
; %bb.46:
	s_movk_i32 s9, 0x7f
	v_and_b32_e32 v49, 0x7f, v38
	v_cmp_ne_u32_e32 vcc, s9, v49
	v_mov_b32_e32 v41, 0x7f800001
	s_and_saveexec_b64 s[20:21], vcc
	s_cbranch_execz .LBB407_48
; %bb.47:
	v_and_b32_e32 v41, 7, v38
	v_ffbh_u32_e32 v50, v41
	v_min_u32_e32 v53, 32, v50
	v_subrev_u32_e32 v50, 28, v53
	v_lshlrev_b64 v[50:51], v50, v[38:39]
	v_lshrrev_b32_e32 v52, 3, v49
	v_sub_u32_e32 v38, 29, v53
	v_and_b32_e32 v50, 7, v50
	v_cmp_gt_u32_e32 vcc, 8, v49
	v_cndmask_b32_e32 v38, v52, v38, vcc
	v_cndmask_b32_e32 v41, v41, v50, vcc
	v_lshlrev_b32_e32 v40, 16, v40
	v_bfrev_b32_e32 v49, 60
	v_lshlrev_b32_e32 v41, 20, v41
	v_and_b32_e32 v40, 0x80000000, v40
	v_lshl_add_u32 v38, v38, 23, v49
	v_or3_b32 v41, v40, v38, v41
.LBB407_48:
	s_or_b64 exec, exec, s[20:21]
.LBB407_49:
	s_or_b64 exec, exec, s[10:11]
.LBB407_50:
	s_or_b64 exec, exec, s[2:3]
	s_movk_i32 s2, 0xff
	v_and_b32_sdwa v50, v35, s2 dst_sel:DWORD dst_unused:UNUSED_PAD src0_sel:WORD_1 src1_sel:DWORD
	v_lshrrev_b32_e32 v38, 16, v35
	v_cmp_ne_u16_e32 vcc, 0, v50
	v_mov_b32_e32 v40, 0
	v_mov_b32_e32 v49, 0
	s_and_saveexec_b64 s[2:3], vcc
	s_cbranch_execz .LBB407_56
; %bb.51:
	s_movk_i32 s9, 0x80
	v_cmp_ne_u16_e32 vcc, s9, v50
	v_bfrev_b32_e32 v49, 1
	s_and_saveexec_b64 s[10:11], vcc
	s_cbranch_execz .LBB407_55
; %bb.52:
	v_bfe_u32 v50, v35, 16, 7
	s_movk_i32 s9, 0x7f
	v_cmp_ne_u32_e32 vcc, s9, v50
	v_mov_b32_e32 v49, 0x7f800001
	s_and_saveexec_b64 s[20:21], vcc
	s_cbranch_execz .LBB407_54
; %bb.53:
	v_and_b32_e32 v49, 7, v38
	v_ffbh_u32_e32 v52, v49
	v_min_u32_e32 v54, 32, v52
	v_subrev_u32_e32 v52, 28, v54
	v_lshlrev_b64 v[52:53], v52, v[38:39]
	v_lshrrev_b32_e32 v51, 3, v50
	v_sub_u32_e32 v38, 29, v54
	v_and_b32_e32 v52, 7, v52
	v_cmp_gt_u32_e32 vcc, 8, v50
	v_mov_b32_e32 v50, 24
	v_cndmask_b32_e32 v38, v51, v38, vcc
	v_cndmask_b32_e32 v49, v49, v52, vcc
	v_lshlrev_b32_sdwa v50, v50, v35 dst_sel:DWORD dst_unused:UNUSED_PAD src0_sel:DWORD src1_sel:WORD_1
	v_bfrev_b32_e32 v51, 60
	v_lshlrev_b32_e32 v49, 20, v49
	v_and_b32_e32 v50, 0x80000000, v50
	v_lshl_add_u32 v38, v38, 23, v51
	v_or3_b32 v49, v50, v38, v49
.LBB407_54:
	s_or_b64 exec, exec, s[20:21]
.LBB407_55:
	s_or_b64 exec, exec, s[10:11]
.LBB407_56:
	s_or_b64 exec, exec, s[2:3]
	s_mov_b32 s2, -1
	s_mov_b32 s3, 0xffffff
	v_cmp_lt_u64_e32 vcc, s[2:3], v[34:35]
	s_and_saveexec_b64 s[2:3], vcc
	s_cbranch_execz .LBB407_62
; %bb.57:
	v_lshrrev_b32_e32 v34, 24, v35
	s_movk_i32 s9, 0x80
	v_cmp_ne_u32_e32 vcc, s9, v34
	v_bfrev_b32_e32 v40, 1
	s_and_saveexec_b64 s[10:11], vcc
	s_cbranch_execz .LBB407_61
; %bb.58:
	v_bfe_u32 v35, v35, 24, 7
	s_movk_i32 s9, 0x7f
	v_cmp_ne_u32_e32 vcc, s9, v35
	v_mov_b32_e32 v40, 0x7f800001
	s_and_saveexec_b64 s[20:21], vcc
	s_cbranch_execz .LBB407_60
; %bb.59:
	v_and_b32_e32 v38, 7, v34
	v_ffbh_u32_e32 v50, v38
	v_min_u32_e32 v52, 32, v50
	v_subrev_u32_e32 v50, 28, v52
	v_lshlrev_b64 v[50:51], v50, v[34:35]
	v_lshrrev_b32_e32 v40, 3, v35
	v_sub_u32_e32 v51, 29, v52
	v_and_b32_e32 v50, 7, v50
	v_cmp_gt_u32_e32 vcc, 8, v35
	v_cndmask_b32_e32 v35, v40, v51, vcc
	v_cndmask_b32_e32 v38, v38, v50, vcc
	v_lshlrev_b32_e32 v34, 24, v34
	v_bfrev_b32_e32 v40, 60
	v_lshlrev_b32_e32 v38, 20, v38
	v_and_b32_e32 v34, 0x80000000, v34
	v_lshl_add_u32 v35, v35, 23, v40
	v_or3_b32 v40, v34, v35, v38
.LBB407_60:
	s_or_b64 exec, exec, s[20:21]
.LBB407_61:
	s_or_b64 exec, exec, s[10:11]
.LBB407_62:
	s_or_b64 exec, exec, s[2:3]
	v_cvt_pkrtz_f16_f32 v34, v45, v39
	v_cvt_pkrtz_f16_f32 v35, v47, v46
	;; [unrolled: 1-line block ×4, first 2 shown]
	v_mfma_f32_4x4x4f16 a[0:3], v[18:19], v[34:35], 0 cbsz:4
	v_mov_b32_e32 v40, 0
	v_mfma_f32_4x4x4f16 a[0:3], v[20:21], v[46:47], a[0:3] cbsz:4
	v_mov_b32_e32 v39, 0
	v_cmp_ne_u16_sdwa s[10:11], v36, v40 src0_sel:BYTE_0 src1_sel:DWORD
	s_and_saveexec_b64 s[2:3], s[10:11]
	s_cbranch_execz .LBB407_68
; %bb.63:
	s_movk_i32 s9, 0x80
	v_cmp_ne_u16_sdwa s[20:21], v36, s9 src0_sel:BYTE_0 src1_sel:DWORD
	v_bfrev_b32_e32 v39, 1
	s_and_saveexec_b64 s[10:11], s[20:21]
	s_cbranch_execz .LBB407_67
; %bb.64:
	s_movk_i32 s9, 0x7f
	v_and_b32_e32 v34, 0x7f, v36
	v_cmp_ne_u32_e32 vcc, s9, v34
	v_mov_b32_e32 v39, 0x7f800001
	s_and_saveexec_b64 s[20:21], vcc
	s_cbranch_execz .LBB407_66
; %bb.65:
	v_and_b32_e32 v35, 7, v36
	v_ffbh_u32_e32 v35, v35
	v_min_u32_e32 v35, 32, v35
	v_subrev_u32_e32 v39, 28, v35
	v_cmp_gt_u32_e32 vcc, 8, v34
	v_lshrrev_b32_e32 v38, 3, v34
	v_sub_u32_e32 v35, 29, v35
	v_cndmask_b32_e32 v34, 0, v39, vcc
	v_cndmask_b32_e32 v38, v38, v35, vcc
	v_lshlrev_b64 v[34:35], v34, v[36:37]
	v_lshlrev_b32_e32 v34, 20, v34
	v_lshlrev_b32_e32 v35, 24, v36
	v_bfrev_b32_e32 v39, 60
	v_and_b32_e32 v34, 0x700000, v34
	v_and_b32_e32 v35, 0x80000000, v35
	v_lshl_add_u32 v38, v38, 23, v39
	v_or3_b32 v39, v35, v38, v34
.LBB407_66:
	s_or_b64 exec, exec, s[20:21]
.LBB407_67:
	s_or_b64 exec, exec, s[10:11]
.LBB407_68:
	s_or_b64 exec, exec, s[2:3]
	v_lshrrev_b16_e32 v34, 8, v36
	v_cmp_ne_u16_e32 vcc, 0, v34
	v_mov_b32_e32 v41, 0
	s_and_saveexec_b64 s[2:3], vcc
	s_cbranch_execz .LBB407_74
; %bb.69:
	s_movk_i32 s9, 0x80
	v_cmp_ne_u16_e32 vcc, s9, v34
	v_bfrev_b32_e32 v41, 1
	s_and_saveexec_b64 s[10:11], vcc
	s_cbranch_execz .LBB407_73
; %bb.70:
	s_movk_i32 s9, 0x7f
	v_and_b32_e32 v35, 0x7f, v34
	v_cmp_ne_u32_e32 vcc, s9, v35
	v_mov_b32_e32 v41, 0x7f800001
	s_and_saveexec_b64 s[20:21], vcc
	s_cbranch_execz .LBB407_72
; %bb.71:
	v_and_b32_e32 v38, 7, v34
	v_ffbh_u32_e32 v45, v38
	v_min_u32_e32 v45, 32, v45
	v_subrev_u32_e32 v46, 28, v45
	v_lshlrev_b64 v[46:47], v46, v[34:35]
	v_lshrrev_b32_e32 v41, 3, v35
	v_sub_u32_e32 v34, 29, v45
	v_and_b32_e32 v45, 7, v46
	v_cmp_gt_u32_e32 vcc, 8, v35
	v_cndmask_b32_e32 v34, v41, v34, vcc
	v_cndmask_b32_e32 v35, v38, v45, vcc
	v_lshlrev_b32_e32 v38, 16, v36
	v_bfrev_b32_e32 v41, 60
	v_lshlrev_b32_e32 v35, 20, v35
	v_and_b32_e32 v38, 0x80000000, v38
	v_lshl_add_u32 v34, v34, 23, v41
	v_or3_b32 v41, v38, v34, v35
.LBB407_72:
	s_or_b64 exec, exec, s[20:21]
.LBB407_73:
	s_or_b64 exec, exec, s[10:11]
.LBB407_74:
	s_or_b64 exec, exec, s[2:3]
	s_movk_i32 s2, 0xff
	v_and_b32_sdwa v35, v36, s2 dst_sel:DWORD dst_unused:UNUSED_PAD src0_sel:WORD_1 src1_sel:DWORD
	v_lshrrev_b32_e32 v34, 16, v36
	v_cmp_ne_u16_e32 vcc, 0, v35
	s_and_saveexec_b64 s[2:3], vcc
	s_cbranch_execz .LBB407_80
; %bb.75:
	s_movk_i32 s9, 0x80
	v_cmp_ne_u16_e32 vcc, s9, v35
	v_bfrev_b32_e32 v40, 1
	s_and_saveexec_b64 s[10:11], vcc
	s_cbranch_execz .LBB407_79
; %bb.76:
	v_bfe_u32 v35, v36, 16, 7
	s_movk_i32 s9, 0x7f
	v_cmp_ne_u32_e32 vcc, s9, v35
	v_mov_b32_e32 v40, 0x7f800001
	s_and_saveexec_b64 s[20:21], vcc
	s_cbranch_execz .LBB407_78
; %bb.77:
	v_and_b32_e32 v38, 7, v34
	v_ffbh_u32_e32 v45, v38
	v_min_u32_e32 v45, 32, v45
	v_subrev_u32_e32 v46, 28, v45
	v_lshlrev_b64 v[46:47], v46, v[34:35]
	v_sub_u32_e32 v34, 29, v45
	v_and_b32_e32 v45, 7, v46
	v_cmp_gt_u32_e32 vcc, 8, v35
	v_lshrrev_b32_e32 v40, 3, v35
	v_cndmask_b32_e32 v35, v38, v45, vcc
	v_mov_b32_e32 v38, 24
	v_cndmask_b32_e32 v34, v40, v34, vcc
	v_lshlrev_b32_sdwa v38, v38, v36 dst_sel:DWORD dst_unused:UNUSED_PAD src0_sel:DWORD src1_sel:WORD_1
	v_bfrev_b32_e32 v40, 60
	v_lshlrev_b32_e32 v35, 20, v35
	v_and_b32_e32 v38, 0x80000000, v38
	v_lshl_add_u32 v34, v34, 23, v40
	v_or3_b32 v40, v38, v34, v35
.LBB407_78:
	s_or_b64 exec, exec, s[20:21]
.LBB407_79:
	s_or_b64 exec, exec, s[10:11]
.LBB407_80:
	s_or_b64 exec, exec, s[2:3]
	s_mov_b32 s2, 0xffffff
	v_cmp_lt_u32_e32 vcc, s2, v36
	v_mov_b32_e32 v35, 0
	v_mov_b32_e32 v45, 0
	s_and_saveexec_b64 s[2:3], vcc
	s_cbranch_execz .LBB407_86
; %bb.81:
	v_lshrrev_b32_e32 v34, 24, v36
	s_movk_i32 s9, 0x80
	v_cmp_ne_u32_e32 vcc, s9, v34
	v_bfrev_b32_e32 v45, 1
	s_and_saveexec_b64 s[10:11], vcc
	s_cbranch_execz .LBB407_85
; %bb.82:
	v_bfe_u32 v38, v36, 24, 7
	s_movk_i32 s9, 0x7f
	v_cmp_ne_u32_e32 vcc, s9, v38
	v_mov_b32_e32 v45, 0x7f800001
	s_and_saveexec_b64 s[20:21], vcc
	s_cbranch_execz .LBB407_84
; %bb.83:
	v_and_b32_e32 v45, 7, v34
	v_ffbh_u32_e32 v46, v45
	v_min_u32_e32 v49, 32, v46
	v_subrev_u32_e32 v46, 28, v49
	v_lshlrev_b64 v[46:47], v46, v[34:35]
	v_lshrrev_b32_e32 v48, 3, v38
	v_sub_u32_e32 v47, 29, v49
	v_and_b32_e32 v46, 7, v46
	v_cmp_gt_u32_e32 vcc, 8, v38
	v_cndmask_b32_e32 v38, v48, v47, vcc
	v_cndmask_b32_e32 v45, v45, v46, vcc
	v_lshlrev_b32_e32 v34, 24, v34
	v_bfrev_b32_e32 v46, 60
	v_lshlrev_b32_e32 v45, 20, v45
	v_and_b32_e32 v34, 0x80000000, v34
	v_lshl_add_u32 v38, v38, 23, v46
	v_or3_b32 v45, v34, v38, v45
.LBB407_84:
	s_or_b64 exec, exec, s[20:21]
.LBB407_85:
	s_or_b64 exec, exec, s[10:11]
.LBB407_86:
	s_or_b64 exec, exec, s[2:3]
	v_mov_b32_e32 v34, v37
	v_cmp_ne_u16_sdwa s[10:11], v37, v35 src0_sel:BYTE_0 src1_sel:DWORD
	s_and_saveexec_b64 s[2:3], s[10:11]
	s_cbranch_execz .LBB407_92
; %bb.87:
	s_movk_i32 s9, 0x80
	v_cmp_ne_u16_sdwa s[20:21], v37, s9 src0_sel:BYTE_0 src1_sel:DWORD
	v_bfrev_b32_e32 v38, 1
	s_and_saveexec_b64 s[10:11], s[20:21]
	s_cbranch_execz .LBB407_91
; %bb.88:
	s_movk_i32 s9, 0x7f
	v_and_b32_e32 v46, 0x7f, v37
	v_cmp_ne_u32_e32 vcc, s9, v46
	v_mov_b32_e32 v38, 0x7f800001
	s_and_saveexec_b64 s[20:21], vcc
	s_cbranch_execz .LBB407_90
; %bb.89:
	v_and_b32_e32 v38, 7, v37
	v_ffbh_u32_e32 v38, v38
	v_min_u32_e32 v38, 32, v38
	v_subrev_u32_e32 v48, 28, v38
	v_cmp_gt_u32_e32 vcc, 8, v46
	v_lshrrev_b32_e32 v47, 3, v46
	v_sub_u32_e32 v38, 29, v38
	v_cndmask_b32_e32 v46, 0, v48, vcc
	v_cndmask_b32_e32 v38, v47, v38, vcc
	v_lshlrev_b64 v[46:47], v46, v[34:35]
	v_lshlrev_b32_e32 v35, 20, v46
	v_lshlrev_b32_e32 v46, 24, v34
	v_bfrev_b32_e32 v47, 60
	v_and_b32_e32 v35, 0x700000, v35
	v_and_b32_e32 v46, 0x80000000, v46
	v_lshl_add_u32 v38, v38, 23, v47
	v_or3_b32 v38, v46, v38, v35
.LBB407_90:
	s_or_b64 exec, exec, s[20:21]
.LBB407_91:
	s_or_b64 exec, exec, s[10:11]
	v_mov_b32_e32 v35, v38
.LBB407_92:
	s_or_b64 exec, exec, s[2:3]
	v_lshrrev_b16_e32 v38, 8, v34
	v_cmp_ne_u16_e32 vcc, 0, v38
	v_mov_b32_e32 v46, 0
	v_mov_b32_e32 v47, 0
	s_and_saveexec_b64 s[2:3], vcc
	s_cbranch_execz .LBB407_98
; %bb.93:
	s_movk_i32 s9, 0x80
	v_cmp_ne_u16_e32 vcc, s9, v38
	v_bfrev_b32_e32 v47, 1
	s_and_saveexec_b64 s[10:11], vcc
	s_cbranch_execz .LBB407_97
; %bb.94:
	s_movk_i32 s9, 0x7f
	v_and_b32_e32 v48, 0x7f, v38
	v_cmp_ne_u32_e32 vcc, s9, v48
	v_mov_b32_e32 v47, 0x7f800001
	s_and_saveexec_b64 s[20:21], vcc
	s_cbranch_execz .LBB407_96
; %bb.95:
	v_and_b32_e32 v47, 7, v38
	v_ffbh_u32_e32 v50, v47
	v_min_u32_e32 v52, 32, v50
	v_subrev_u32_e32 v50, 28, v52
	v_lshlrev_b64 v[50:51], v50, v[38:39]
	v_lshrrev_b32_e32 v49, 3, v48
	v_sub_u32_e32 v38, 29, v52
	v_and_b32_e32 v50, 7, v50
	v_cmp_gt_u32_e32 vcc, 8, v48
	v_cndmask_b32_e32 v38, v49, v38, vcc
	v_cndmask_b32_e32 v47, v47, v50, vcc
	v_lshlrev_b32_e32 v34, 16, v34
	v_bfrev_b32_e32 v48, 60
	v_lshlrev_b32_e32 v47, 20, v47
	v_and_b32_e32 v34, 0x80000000, v34
	v_lshl_add_u32 v38, v38, 23, v48
	v_or3_b32 v47, v34, v38, v47
.LBB407_96:
	s_or_b64 exec, exec, s[20:21]
.LBB407_97:
	s_or_b64 exec, exec, s[10:11]
.LBB407_98:
	s_or_b64 exec, exec, s[2:3]
	s_movk_i32 s2, 0xff
	v_and_b32_sdwa v38, v37, s2 dst_sel:DWORD dst_unused:UNUSED_PAD src0_sel:WORD_1 src1_sel:DWORD
	v_lshrrev_b32_e32 v34, 16, v37
	v_cmp_ne_u16_e32 vcc, 0, v38
	s_and_saveexec_b64 s[2:3], vcc
	s_cbranch_execz .LBB407_104
; %bb.99:
	s_movk_i32 s9, 0x80
	v_cmp_ne_u16_e32 vcc, s9, v38
	v_bfrev_b32_e32 v46, 1
	s_and_saveexec_b64 s[10:11], vcc
	s_cbranch_execz .LBB407_103
; %bb.100:
	v_bfe_u32 v38, v37, 16, 7
	s_movk_i32 s9, 0x7f
	v_cmp_ne_u32_e32 vcc, s9, v38
	v_mov_b32_e32 v46, 0x7f800001
	s_and_saveexec_b64 s[20:21], vcc
	s_cbranch_execz .LBB407_102
; %bb.101:
	v_and_b32_e32 v46, 7, v34
	v_ffbh_u32_e32 v48, v46
	v_min_u32_e32 v51, 32, v48
	v_subrev_u32_e32 v48, 28, v51
	v_lshlrev_b64 v[48:49], v48, v[34:35]
	v_and_b32_e32 v48, 7, v48
	v_cmp_gt_u32_e32 vcc, 8, v38
	v_lshrrev_b32_e32 v50, 3, v38
	v_sub_u32_e32 v34, 29, v51
	v_cndmask_b32_e32 v38, v46, v48, vcc
	v_mov_b32_e32 v46, 24
	v_cndmask_b32_e32 v34, v50, v34, vcc
	v_lshlrev_b32_sdwa v46, v46, v37 dst_sel:DWORD dst_unused:UNUSED_PAD src0_sel:DWORD src1_sel:WORD_1
	v_bfrev_b32_e32 v48, 60
	v_lshlrev_b32_e32 v38, 20, v38
	v_and_b32_e32 v46, 0x80000000, v46
	v_lshl_add_u32 v34, v34, 23, v48
	v_or3_b32 v46, v46, v34, v38
.LBB407_102:
	s_or_b64 exec, exec, s[20:21]
.LBB407_103:
	s_or_b64 exec, exec, s[10:11]
.LBB407_104:
	s_or_b64 exec, exec, s[2:3]
	s_mov_b32 s2, -1
	s_mov_b32 s3, 0xffffff
	v_cmp_lt_u64_e32 vcc, s[2:3], v[36:37]
	v_mov_b32_e32 v38, 0
	v_mov_b32_e32 v36, 0
	s_and_saveexec_b64 s[2:3], vcc
	s_cbranch_execz .LBB407_110
; %bb.105:
	v_lshrrev_b32_e32 v34, 24, v37
	s_movk_i32 s9, 0x80
	v_cmp_ne_u32_e32 vcc, s9, v34
	v_bfrev_b32_e32 v36, 1
	s_and_saveexec_b64 s[10:11], vcc
	s_cbranch_execz .LBB407_109
; %bb.106:
	v_bfe_u32 v37, v37, 24, 7
	s_movk_i32 s9, 0x7f
	v_cmp_ne_u32_e32 vcc, s9, v37
	v_mov_b32_e32 v36, 0x7f800001
	s_and_saveexec_b64 s[20:21], vcc
	s_cbranch_execz .LBB407_108
; %bb.107:
	v_and_b32_e32 v36, 7, v34
	v_ffbh_u32_e32 v48, v36
	v_min_u32_e32 v51, 32, v48
	v_subrev_u32_e32 v48, 28, v51
	v_lshlrev_b64 v[48:49], v48, v[34:35]
	v_lshrrev_b32_e32 v50, 3, v37
	v_sub_u32_e32 v49, 29, v51
	v_and_b32_e32 v48, 7, v48
	v_cmp_gt_u32_e32 vcc, 8, v37
	v_cndmask_b32_e32 v37, v50, v49, vcc
	v_cndmask_b32_e32 v36, v36, v48, vcc
	v_lshlrev_b32_e32 v34, 24, v34
	v_bfrev_b32_e32 v48, 60
	v_lshlrev_b32_e32 v36, 20, v36
	v_and_b32_e32 v34, 0x80000000, v34
	v_lshl_add_u32 v37, v37, 23, v48
	v_or3_b32 v36, v34, v37, v36
.LBB407_108:
	s_or_b64 exec, exec, s[20:21]
.LBB407_109:
	s_or_b64 exec, exec, s[10:11]
.LBB407_110:
	s_or_b64 exec, exec, s[2:3]
	v_cvt_pkrtz_f16_f32 v48, v39, v41
	v_cvt_pkrtz_f16_f32 v49, v40, v45
	;; [unrolled: 1-line block ×4, first 2 shown]
	v_mfma_f32_4x4x4f16 a[0:3], v[18:19], v[48:49], a[0:3] cbsz:4 abid:1
	s_waitcnt vmcnt(6)
	v_cmp_ne_u16_sdwa s[10:11], v30, v38 src0_sel:BYTE_0 src1_sel:DWORD
	v_mfma_f32_4x4x4f16 a[0:3], v[20:21], v[34:35], a[0:3] cbsz:4 abid:1
	s_and_saveexec_b64 s[2:3], s[10:11]
	s_cbranch_execz .LBB407_116
; %bb.111:
	s_movk_i32 s9, 0x80
	v_cmp_ne_u16_sdwa s[20:21], v30, s9 src0_sel:BYTE_0 src1_sel:DWORD
	v_bfrev_b32_e32 v38, 1
	s_and_saveexec_b64 s[10:11], s[20:21]
	s_cbranch_execz .LBB407_115
; %bb.112:
	s_movk_i32 s9, 0x7f
	v_and_b32_e32 v34, 0x7f, v30
	v_cmp_ne_u32_e32 vcc, s9, v34
	v_mov_b32_e32 v38, 0x7f800001
	s_and_saveexec_b64 s[20:21], vcc
	s_cbranch_execz .LBB407_114
; %bb.113:
	v_and_b32_e32 v35, 7, v30
	v_ffbh_u32_e32 v35, v35
	v_min_u32_e32 v35, 32, v35
	v_subrev_u32_e32 v37, 28, v35
	v_cmp_gt_u32_e32 vcc, 8, v34
	v_lshrrev_b32_e32 v36, 3, v34
	v_sub_u32_e32 v35, 29, v35
	v_cndmask_b32_e32 v34, 0, v37, vcc
	v_cndmask_b32_e32 v36, v36, v35, vcc
	v_lshlrev_b64 v[34:35], v34, v[30:31]
	v_lshlrev_b32_e32 v34, 20, v34
	v_lshlrev_b32_e32 v35, 24, v30
	v_bfrev_b32_e32 v37, 60
	v_and_b32_e32 v34, 0x700000, v34
	v_and_b32_e32 v35, 0x80000000, v35
	v_lshl_add_u32 v36, v36, 23, v37
	v_or3_b32 v38, v35, v36, v34
.LBB407_114:
	s_or_b64 exec, exec, s[20:21]
.LBB407_115:
	s_or_b64 exec, exec, s[10:11]
.LBB407_116:
	s_or_b64 exec, exec, s[2:3]
	v_lshrrev_b16_e32 v34, 8, v30
	v_cmp_ne_u16_e32 vcc, 0, v34
	v_mov_b32_e32 v37, 0
	v_mov_b32_e32 v39, 0
	s_and_saveexec_b64 s[2:3], vcc
	s_cbranch_execz .LBB407_122
; %bb.117:
	s_movk_i32 s9, 0x80
	v_cmp_ne_u16_e32 vcc, s9, v34
	v_bfrev_b32_e32 v39, 1
	s_and_saveexec_b64 s[10:11], vcc
	s_cbranch_execz .LBB407_121
; %bb.118:
	s_movk_i32 s9, 0x7f
	v_and_b32_e32 v35, 0x7f, v34
	v_cmp_ne_u32_e32 vcc, s9, v35
	v_mov_b32_e32 v39, 0x7f800001
	s_and_saveexec_b64 s[20:21], vcc
	s_cbranch_execz .LBB407_120
; %bb.119:
	v_and_b32_e32 v36, 7, v34
	v_ffbh_u32_e32 v40, v36
	v_min_u32_e32 v45, 32, v40
	v_subrev_u32_e32 v40, 28, v45
	v_lshlrev_b64 v[40:41], v40, v[34:35]
	v_lshrrev_b32_e32 v39, 3, v35
	v_sub_u32_e32 v34, 29, v45
	v_and_b32_e32 v40, 7, v40
	v_cmp_gt_u32_e32 vcc, 8, v35
	v_cndmask_b32_e32 v34, v39, v34, vcc
	v_cndmask_b32_e32 v35, v36, v40, vcc
	v_lshlrev_b32_e32 v36, 16, v30
	v_bfrev_b32_e32 v39, 60
	v_lshlrev_b32_e32 v35, 20, v35
	v_and_b32_e32 v36, 0x80000000, v36
	v_lshl_add_u32 v34, v34, 23, v39
	v_or3_b32 v39, v36, v34, v35
.LBB407_120:
	s_or_b64 exec, exec, s[20:21]
.LBB407_121:
	s_or_b64 exec, exec, s[10:11]
.LBB407_122:
	s_or_b64 exec, exec, s[2:3]
	s_movk_i32 s2, 0xff
	v_and_b32_sdwa v35, v30, s2 dst_sel:DWORD dst_unused:UNUSED_PAD src0_sel:WORD_1 src1_sel:DWORD
	v_lshrrev_b32_e32 v34, 16, v30
	v_cmp_ne_u16_e32 vcc, 0, v35
	s_and_saveexec_b64 s[2:3], vcc
	s_cbranch_execz .LBB407_128
; %bb.123:
	s_movk_i32 s9, 0x80
	v_cmp_ne_u16_e32 vcc, s9, v35
	v_bfrev_b32_e32 v37, 1
	s_and_saveexec_b64 s[10:11], vcc
	s_cbranch_execz .LBB407_127
; %bb.124:
	v_bfe_u32 v35, v30, 16, 7
	s_movk_i32 s9, 0x7f
	v_cmp_ne_u32_e32 vcc, s9, v35
	v_mov_b32_e32 v37, 0x7f800001
	s_and_saveexec_b64 s[20:21], vcc
	s_cbranch_execz .LBB407_126
; %bb.125:
	v_and_b32_e32 v40, 7, v34
	v_ffbh_u32_e32 v36, v40
	v_min_u32_e32 v45, 32, v36
	v_subrev_u32_e32 v36, 28, v45
	v_lshlrev_b64 v[36:37], v36, v[34:35]
	v_and_b32_e32 v36, 7, v36
	v_cmp_gt_u32_e32 vcc, 8, v35
	v_lshrrev_b32_e32 v41, 3, v35
	v_sub_u32_e32 v34, 29, v45
	v_cndmask_b32_e32 v35, v40, v36, vcc
	v_mov_b32_e32 v36, 24
	v_cndmask_b32_e32 v34, v41, v34, vcc
	v_lshlrev_b32_sdwa v36, v36, v30 dst_sel:DWORD dst_unused:UNUSED_PAD src0_sel:DWORD src1_sel:WORD_1
	v_bfrev_b32_e32 v37, 60
	v_lshlrev_b32_e32 v35, 20, v35
	v_and_b32_e32 v36, 0x80000000, v36
	v_lshl_add_u32 v34, v34, 23, v37
	v_or3_b32 v37, v36, v34, v35
.LBB407_126:
	s_or_b64 exec, exec, s[20:21]
.LBB407_127:
	s_or_b64 exec, exec, s[10:11]
.LBB407_128:
	s_or_b64 exec, exec, s[2:3]
	s_mov_b32 s2, 0xffffff
	v_cmp_lt_u32_e32 vcc, s2, v30
	v_mov_b32_e32 v35, 0
	v_mov_b32_e32 v40, 0
	s_and_saveexec_b64 s[2:3], vcc
	s_cbranch_execz .LBB407_134
; %bb.129:
	v_lshrrev_b32_e32 v34, 24, v30
	s_movk_i32 s9, 0x80
	v_cmp_ne_u32_e32 vcc, s9, v34
	v_bfrev_b32_e32 v40, 1
	s_and_saveexec_b64 s[10:11], vcc
	s_cbranch_execz .LBB407_133
; %bb.130:
	v_bfe_u32 v36, v30, 24, 7
	s_movk_i32 s9, 0x7f
	v_cmp_ne_u32_e32 vcc, s9, v36
	v_mov_b32_e32 v40, 0x7f800001
	s_and_saveexec_b64 s[20:21], vcc
	s_cbranch_execz .LBB407_132
; %bb.131:
	v_and_b32_e32 v45, 7, v34
	v_ffbh_u32_e32 v40, v45
	v_min_u32_e32 v47, 32, v40
	v_subrev_u32_e32 v40, 28, v47
	v_lshlrev_b64 v[40:41], v40, v[34:35]
	v_lshrrev_b32_e32 v46, 3, v36
	v_sub_u32_e32 v41, 29, v47
	v_and_b32_e32 v40, 7, v40
	v_cmp_gt_u32_e32 vcc, 8, v36
	v_cndmask_b32_e32 v36, v46, v41, vcc
	v_cndmask_b32_e32 v40, v45, v40, vcc
	v_lshlrev_b32_e32 v34, 24, v34
	v_bfrev_b32_e32 v41, 60
	v_lshlrev_b32_e32 v40, 20, v40
	v_and_b32_e32 v34, 0x80000000, v34
	v_lshl_add_u32 v36, v36, 23, v41
	v_or3_b32 v40, v34, v36, v40
.LBB407_132:
	s_or_b64 exec, exec, s[20:21]
.LBB407_133:
	s_or_b64 exec, exec, s[10:11]
.LBB407_134:
	s_or_b64 exec, exec, s[2:3]
	v_mov_b32_e32 v34, v31
	v_cmp_ne_u16_sdwa s[10:11], v31, v35 src0_sel:BYTE_0 src1_sel:DWORD
	s_and_saveexec_b64 s[2:3], s[10:11]
	s_cbranch_execz .LBB407_140
; %bb.135:
	s_movk_i32 s9, 0x80
	v_cmp_ne_u16_sdwa s[20:21], v31, s9 src0_sel:BYTE_0 src1_sel:DWORD
	v_bfrev_b32_e32 v36, 1
	s_and_saveexec_b64 s[10:11], s[20:21]
	s_cbranch_execz .LBB407_139
; %bb.136:
	s_movk_i32 s9, 0x7f
	v_and_b32_e32 v41, 0x7f, v31
	v_cmp_ne_u32_e32 vcc, s9, v41
	v_mov_b32_e32 v36, 0x7f800001
	s_and_saveexec_b64 s[20:21], vcc
	s_cbranch_execz .LBB407_138
; %bb.137:
	v_and_b32_e32 v36, 7, v31
	v_ffbh_u32_e32 v36, v36
	v_min_u32_e32 v36, 32, v36
	v_subrev_u32_e32 v46, 28, v36
	v_cmp_gt_u32_e32 vcc, 8, v41
	v_lshrrev_b32_e32 v45, 3, v41
	v_cndmask_b32_e32 v41, 0, v46, vcc
	v_sub_u32_e32 v36, 29, v36
	v_lshlrev_b64 v[46:47], v41, v[34:35]
	v_cndmask_b32_e32 v36, v45, v36, vcc
	v_lshlrev_b32_e32 v35, 20, v46
	v_lshlrev_b32_e32 v41, 24, v34
	v_bfrev_b32_e32 v45, 60
	v_and_b32_e32 v35, 0x700000, v35
	v_and_b32_e32 v41, 0x80000000, v41
	v_lshl_add_u32 v36, v36, 23, v45
	v_or3_b32 v36, v41, v36, v35
.LBB407_138:
	s_or_b64 exec, exec, s[20:21]
.LBB407_139:
	s_or_b64 exec, exec, s[10:11]
	v_mov_b32_e32 v35, v36
.LBB407_140:
	s_or_b64 exec, exec, s[2:3]
	v_lshrrev_b16_e32 v36, 8, v34
	v_cmp_ne_u16_e32 vcc, 0, v36
	v_mov_b32_e32 v41, 0
	v_mov_b32_e32 v45, 0
	s_and_saveexec_b64 s[2:3], vcc
	s_cbranch_execz .LBB407_146
; %bb.141:
	s_movk_i32 s9, 0x80
	v_cmp_ne_u16_e32 vcc, s9, v36
	v_bfrev_b32_e32 v45, 1
	s_and_saveexec_b64 s[10:11], vcc
	s_cbranch_execz .LBB407_145
; %bb.142:
	s_movk_i32 s9, 0x7f
	v_and_b32_e32 v46, 0x7f, v36
	v_cmp_ne_u32_e32 vcc, s9, v46
	v_mov_b32_e32 v45, 0x7f800001
	s_and_saveexec_b64 s[20:21], vcc
	s_cbranch_execz .LBB407_144
; %bb.143:
	v_and_b32_e32 v45, 7, v36
	v_ffbh_u32_e32 v48, v45
	v_min_u32_e32 v50, 32, v48
	v_subrev_u32_e32 v48, 28, v50
	v_lshlrev_b64 v[48:49], v48, v[36:37]
	v_lshrrev_b32_e32 v47, 3, v46
	v_sub_u32_e32 v36, 29, v50
	v_and_b32_e32 v48, 7, v48
	v_cmp_gt_u32_e32 vcc, 8, v46
	v_cndmask_b32_e32 v36, v47, v36, vcc
	v_cndmask_b32_e32 v45, v45, v48, vcc
	v_lshlrev_b32_e32 v34, 16, v34
	v_bfrev_b32_e32 v46, 60
	v_lshlrev_b32_e32 v45, 20, v45
	v_and_b32_e32 v34, 0x80000000, v34
	v_lshl_add_u32 v36, v36, 23, v46
	v_or3_b32 v45, v34, v36, v45
.LBB407_144:
	s_or_b64 exec, exec, s[20:21]
.LBB407_145:
	s_or_b64 exec, exec, s[10:11]
.LBB407_146:
	s_or_b64 exec, exec, s[2:3]
	s_movk_i32 s2, 0xff
	v_and_b32_sdwa v36, v31, s2 dst_sel:DWORD dst_unused:UNUSED_PAD src0_sel:WORD_1 src1_sel:DWORD
	v_lshrrev_b32_e32 v34, 16, v31
	v_cmp_ne_u16_e32 vcc, 0, v36
	s_and_saveexec_b64 s[2:3], vcc
	s_cbranch_execz .LBB407_152
; %bb.147:
	s_movk_i32 s9, 0x80
	v_cmp_ne_u16_e32 vcc, s9, v36
	v_bfrev_b32_e32 v41, 1
	s_and_saveexec_b64 s[10:11], vcc
	s_cbranch_execz .LBB407_151
; %bb.148:
	v_bfe_u32 v36, v31, 16, 7
	s_movk_i32 s9, 0x7f
	v_cmp_ne_u32_e32 vcc, s9, v36
	v_mov_b32_e32 v41, 0x7f800001
	s_and_saveexec_b64 s[20:21], vcc
	s_cbranch_execz .LBB407_150
; %bb.149:
	v_and_b32_e32 v41, 7, v34
	v_ffbh_u32_e32 v46, v41
	v_min_u32_e32 v49, 32, v46
	v_subrev_u32_e32 v46, 28, v49
	v_lshlrev_b64 v[46:47], v46, v[34:35]
	v_and_b32_e32 v46, 7, v46
	v_cmp_gt_u32_e32 vcc, 8, v36
	v_lshrrev_b32_e32 v48, 3, v36
	v_sub_u32_e32 v34, 29, v49
	v_cndmask_b32_e32 v36, v41, v46, vcc
	v_mov_b32_e32 v41, 24
	v_cndmask_b32_e32 v34, v48, v34, vcc
	v_lshlrev_b32_sdwa v41, v41, v31 dst_sel:DWORD dst_unused:UNUSED_PAD src0_sel:DWORD src1_sel:WORD_1
	v_bfrev_b32_e32 v46, 60
	v_lshlrev_b32_e32 v36, 20, v36
	v_and_b32_e32 v41, 0x80000000, v41
	v_lshl_add_u32 v34, v34, 23, v46
	v_or3_b32 v41, v41, v34, v36
.LBB407_150:
	s_or_b64 exec, exec, s[20:21]
.LBB407_151:
	s_or_b64 exec, exec, s[10:11]
.LBB407_152:
	s_or_b64 exec, exec, s[2:3]
	s_mov_b32 s2, -1
	s_mov_b32 s3, 0xffffff
	v_cmp_lt_u64_e32 vcc, s[2:3], v[30:31]
	v_mov_b32_e32 v36, 0
	v_mov_b32_e32 v34, 0
	s_and_saveexec_b64 s[2:3], vcc
	s_cbranch_execz .LBB407_158
; %bb.153:
	v_lshrrev_b32_e32 v30, 24, v31
	s_movk_i32 s9, 0x80
	v_cmp_ne_u32_e32 vcc, s9, v30
	v_bfrev_b32_e32 v34, 1
	s_and_saveexec_b64 s[10:11], vcc
	s_cbranch_execz .LBB407_157
; %bb.154:
	v_bfe_u32 v31, v31, 24, 7
	s_movk_i32 s9, 0x7f
	v_cmp_ne_u32_e32 vcc, s9, v31
	v_mov_b32_e32 v34, 0x7f800001
	s_and_saveexec_b64 s[20:21], vcc
	s_cbranch_execz .LBB407_156
; %bb.155:
	v_and_b32_e32 v34, 7, v30
	v_ffbh_u32_e32 v46, v34
	v_min_u32_e32 v49, 32, v46
	v_subrev_u32_e32 v46, 28, v49
	v_lshlrev_b64 v[46:47], v46, v[30:31]
	v_lshrrev_b32_e32 v48, 3, v31
	v_sub_u32_e32 v47, 29, v49
	v_and_b32_e32 v46, 7, v46
	v_cmp_gt_u32_e32 vcc, 8, v31
	v_cndmask_b32_e32 v31, v48, v47, vcc
	v_cndmask_b32_e32 v34, v34, v46, vcc
	v_lshlrev_b32_e32 v30, 24, v30
	v_bfrev_b32_e32 v46, 60
	v_lshlrev_b32_e32 v34, 20, v34
	v_and_b32_e32 v30, 0x80000000, v30
	v_lshl_add_u32 v31, v31, 23, v46
	v_or3_b32 v34, v30, v31, v34
.LBB407_156:
	s_or_b64 exec, exec, s[20:21]
.LBB407_157:
	s_or_b64 exec, exec, s[10:11]
.LBB407_158:
	s_or_b64 exec, exec, s[2:3]
	v_cvt_pkrtz_f16_f32 v30, v38, v39
	v_cvt_pkrtz_f16_f32 v31, v37, v40
	;; [unrolled: 1-line block ×4, first 2 shown]
	v_mfma_f32_4x4x4f16 a[0:3], v[18:19], v[30:31], a[0:3] cbsz:4 abid:2
	v_cmp_ne_u16_sdwa s[10:11], v32, v36 src0_sel:BYTE_0 src1_sel:DWORD
	v_mfma_f32_4x4x4f16 a[0:3], v[20:21], v[38:39], a[0:3] cbsz:4 abid:2
	s_and_saveexec_b64 s[2:3], s[10:11]
	s_cbranch_execz .LBB407_164
; %bb.159:
	s_movk_i32 s9, 0x80
	v_cmp_ne_u16_sdwa s[20:21], v32, s9 src0_sel:BYTE_0 src1_sel:DWORD
	v_bfrev_b32_e32 v36, 1
	s_and_saveexec_b64 s[10:11], s[20:21]
	s_cbranch_execz .LBB407_163
; %bb.160:
	s_movk_i32 s9, 0x7f
	v_and_b32_e32 v30, 0x7f, v32
	v_cmp_ne_u32_e32 vcc, s9, v30
	v_mov_b32_e32 v36, 0x7f800001
	s_and_saveexec_b64 s[20:21], vcc
	s_cbranch_execz .LBB407_162
; %bb.161:
	v_and_b32_e32 v31, 7, v32
	v_ffbh_u32_e32 v31, v31
	v_min_u32_e32 v31, 32, v31
	v_subrev_u32_e32 v35, 28, v31
	v_cmp_gt_u32_e32 vcc, 8, v30
	v_lshrrev_b32_e32 v34, 3, v30
	v_sub_u32_e32 v31, 29, v31
	v_cndmask_b32_e32 v30, 0, v35, vcc
	v_cndmask_b32_e32 v34, v34, v31, vcc
	v_lshlrev_b64 v[30:31], v30, v[32:33]
	v_lshlrev_b32_e32 v30, 20, v30
	v_lshlrev_b32_e32 v31, 24, v32
	v_bfrev_b32_e32 v35, 60
	v_and_b32_e32 v30, 0x700000, v30
	v_and_b32_e32 v31, 0x80000000, v31
	v_lshl_add_u32 v34, v34, 23, v35
	v_or3_b32 v36, v31, v34, v30
.LBB407_162:
	s_or_b64 exec, exec, s[20:21]
.LBB407_163:
	s_or_b64 exec, exec, s[10:11]
.LBB407_164:
	s_or_b64 exec, exec, s[2:3]
	v_lshrrev_b16_e32 v30, 8, v32
	v_cmp_ne_u16_e32 vcc, 0, v30
	v_mov_b32_e32 v35, 0
	v_mov_b32_e32 v37, 0
	s_and_saveexec_b64 s[2:3], vcc
	s_cbranch_execz .LBB407_170
; %bb.165:
	s_movk_i32 s9, 0x80
	v_cmp_ne_u16_e32 vcc, s9, v30
	v_bfrev_b32_e32 v37, 1
	s_and_saveexec_b64 s[10:11], vcc
	s_cbranch_execz .LBB407_169
; %bb.166:
	s_movk_i32 s9, 0x7f
	v_and_b32_e32 v31, 0x7f, v30
	v_cmp_ne_u32_e32 vcc, s9, v31
	v_mov_b32_e32 v37, 0x7f800001
	s_and_saveexec_b64 s[20:21], vcc
	s_cbranch_execz .LBB407_168
; %bb.167:
	v_and_b32_e32 v34, 7, v30
	v_ffbh_u32_e32 v38, v34
	v_min_u32_e32 v40, 32, v38
	v_subrev_u32_e32 v38, 28, v40
	v_lshlrev_b64 v[38:39], v38, v[30:31]
	v_lshrrev_b32_e32 v37, 3, v31
	v_sub_u32_e32 v30, 29, v40
	v_and_b32_e32 v38, 7, v38
	v_cmp_gt_u32_e32 vcc, 8, v31
	v_cndmask_b32_e32 v30, v37, v30, vcc
	v_cndmask_b32_e32 v31, v34, v38, vcc
	v_lshlrev_b32_e32 v34, 16, v32
	v_bfrev_b32_e32 v37, 60
	v_lshlrev_b32_e32 v31, 20, v31
	v_and_b32_e32 v34, 0x80000000, v34
	v_lshl_add_u32 v30, v30, 23, v37
	v_or3_b32 v37, v34, v30, v31
.LBB407_168:
	s_or_b64 exec, exec, s[20:21]
.LBB407_169:
	s_or_b64 exec, exec, s[10:11]
.LBB407_170:
	s_or_b64 exec, exec, s[2:3]
	s_movk_i32 s2, 0xff
	v_and_b32_sdwa v31, v32, s2 dst_sel:DWORD dst_unused:UNUSED_PAD src0_sel:WORD_1 src1_sel:DWORD
	v_lshrrev_b32_e32 v30, 16, v32
	v_cmp_ne_u16_e32 vcc, 0, v31
	s_and_saveexec_b64 s[2:3], vcc
	s_cbranch_execz .LBB407_176
; %bb.171:
	s_movk_i32 s9, 0x80
	v_cmp_ne_u16_e32 vcc, s9, v31
	v_bfrev_b32_e32 v35, 1
	s_and_saveexec_b64 s[10:11], vcc
	s_cbranch_execz .LBB407_175
; %bb.172:
	v_bfe_u32 v31, v32, 16, 7
	s_movk_i32 s9, 0x7f
	v_cmp_ne_u32_e32 vcc, s9, v31
	v_mov_b32_e32 v35, 0x7f800001
	s_and_saveexec_b64 s[20:21], vcc
	s_cbranch_execz .LBB407_174
; %bb.173:
	v_and_b32_e32 v38, 7, v30
	v_ffbh_u32_e32 v34, v38
	v_min_u32_e32 v40, 32, v34
	v_subrev_u32_e32 v34, 28, v40
	v_lshlrev_b64 v[34:35], v34, v[30:31]
	v_and_b32_e32 v34, 7, v34
	v_cmp_gt_u32_e32 vcc, 8, v31
	v_lshrrev_b32_e32 v39, 3, v31
	v_sub_u32_e32 v30, 29, v40
	v_cndmask_b32_e32 v31, v38, v34, vcc
	v_mov_b32_e32 v34, 24
	v_cndmask_b32_e32 v30, v39, v30, vcc
	v_lshlrev_b32_sdwa v34, v34, v32 dst_sel:DWORD dst_unused:UNUSED_PAD src0_sel:DWORD src1_sel:WORD_1
	v_bfrev_b32_e32 v35, 60
	v_lshlrev_b32_e32 v31, 20, v31
	v_and_b32_e32 v34, 0x80000000, v34
	v_lshl_add_u32 v30, v30, 23, v35
	v_or3_b32 v35, v34, v30, v31
.LBB407_174:
	s_or_b64 exec, exec, s[20:21]
.LBB407_175:
	s_or_b64 exec, exec, s[10:11]
.LBB407_176:
	s_or_b64 exec, exec, s[2:3]
	s_mov_b32 s2, 0xffffff
	v_cmp_lt_u32_e32 vcc, s2, v32
	v_mov_b32_e32 v31, 0
	v_mov_b32_e32 v38, 0
	s_and_saveexec_b64 s[2:3], vcc
	s_cbranch_execz .LBB407_182
; %bb.177:
	v_lshrrev_b32_e32 v30, 24, v32
	s_movk_i32 s9, 0x80
	v_cmp_ne_u32_e32 vcc, s9, v30
	v_bfrev_b32_e32 v38, 1
	s_and_saveexec_b64 s[10:11], vcc
	s_cbranch_execz .LBB407_181
; %bb.178:
	v_bfe_u32 v34, v32, 24, 7
	s_movk_i32 s9, 0x7f
	v_cmp_ne_u32_e32 vcc, s9, v34
	v_mov_b32_e32 v38, 0x7f800001
	s_and_saveexec_b64 s[20:21], vcc
	s_cbranch_execz .LBB407_180
; %bb.179:
	v_and_b32_e32 v40, 7, v30
	v_ffbh_u32_e32 v38, v40
	v_min_u32_e32 v45, 32, v38
	v_subrev_u32_e32 v38, 28, v45
	v_lshlrev_b64 v[38:39], v38, v[30:31]
	v_lshrrev_b32_e32 v41, 3, v34
	v_sub_u32_e32 v39, 29, v45
	v_and_b32_e32 v38, 7, v38
	v_cmp_gt_u32_e32 vcc, 8, v34
	v_cndmask_b32_e32 v34, v41, v39, vcc
	v_cndmask_b32_e32 v38, v40, v38, vcc
	v_lshlrev_b32_e32 v30, 24, v30
	v_bfrev_b32_e32 v39, 60
	v_lshlrev_b32_e32 v38, 20, v38
	v_and_b32_e32 v30, 0x80000000, v30
	v_lshl_add_u32 v34, v34, 23, v39
	v_or3_b32 v38, v30, v34, v38
.LBB407_180:
	s_or_b64 exec, exec, s[20:21]
.LBB407_181:
	s_or_b64 exec, exec, s[10:11]
.LBB407_182:
	s_or_b64 exec, exec, s[2:3]
	v_mov_b32_e32 v30, v33
	v_cmp_ne_u16_sdwa s[10:11], v33, v31 src0_sel:BYTE_0 src1_sel:DWORD
	s_and_saveexec_b64 s[2:3], s[10:11]
	s_cbranch_execz .LBB407_188
; %bb.183:
	s_movk_i32 s9, 0x80
	v_cmp_ne_u16_sdwa s[20:21], v33, s9 src0_sel:BYTE_0 src1_sel:DWORD
	v_bfrev_b32_e32 v34, 1
	s_and_saveexec_b64 s[10:11], s[20:21]
	s_cbranch_execz .LBB407_187
; %bb.184:
	s_movk_i32 s9, 0x7f
	v_and_b32_e32 v39, 0x7f, v33
	v_cmp_ne_u32_e32 vcc, s9, v39
	v_mov_b32_e32 v34, 0x7f800001
	s_and_saveexec_b64 s[20:21], vcc
	s_cbranch_execz .LBB407_186
; %bb.185:
	v_and_b32_e32 v34, 7, v33
	v_ffbh_u32_e32 v34, v34
	v_min_u32_e32 v34, 32, v34
	v_subrev_u32_e32 v41, 28, v34
	v_cmp_gt_u32_e32 vcc, 8, v39
	v_lshrrev_b32_e32 v40, 3, v39
	v_sub_u32_e32 v34, 29, v34
	v_cndmask_b32_e32 v39, 0, v41, vcc
	v_cndmask_b32_e32 v34, v40, v34, vcc
	v_lshlrev_b64 v[40:41], v39, v[30:31]
	v_lshlrev_b32_e32 v31, 20, v40
	v_lshlrev_b32_e32 v39, 24, v30
	v_bfrev_b32_e32 v40, 60
	v_and_b32_e32 v31, 0x700000, v31
	v_and_b32_e32 v39, 0x80000000, v39
	v_lshl_add_u32 v34, v34, 23, v40
	v_or3_b32 v34, v39, v34, v31
.LBB407_186:
	s_or_b64 exec, exec, s[20:21]
.LBB407_187:
	s_or_b64 exec, exec, s[10:11]
	v_mov_b32_e32 v31, v34
.LBB407_188:
	s_or_b64 exec, exec, s[2:3]
	v_lshrrev_b16_e32 v34, 8, v30
	v_cmp_ne_u16_e32 vcc, 0, v34
	v_mov_b32_e32 v39, 0
	v_mov_b32_e32 v40, 0
	s_and_saveexec_b64 s[2:3], vcc
	s_cbranch_execz .LBB407_194
; %bb.189:
	s_movk_i32 s9, 0x80
	v_cmp_ne_u16_e32 vcc, s9, v34
	v_bfrev_b32_e32 v40, 1
	s_and_saveexec_b64 s[10:11], vcc
	s_cbranch_execz .LBB407_193
; %bb.190:
	s_movk_i32 s9, 0x7f
	v_and_b32_e32 v41, 0x7f, v34
	v_cmp_ne_u32_e32 vcc, s9, v41
	v_mov_b32_e32 v40, 0x7f800001
	s_and_saveexec_b64 s[20:21], vcc
	s_cbranch_execz .LBB407_192
; %bb.191:
	v_and_b32_e32 v40, 7, v34
	v_ffbh_u32_e32 v46, v40
	v_min_u32_e32 v48, 32, v46
	v_subrev_u32_e32 v46, 28, v48
	v_lshlrev_b64 v[46:47], v46, v[34:35]
	v_lshrrev_b32_e32 v45, 3, v41
	v_sub_u32_e32 v34, 29, v48
	v_and_b32_e32 v46, 7, v46
	v_cmp_gt_u32_e32 vcc, 8, v41
	v_cndmask_b32_e32 v34, v45, v34, vcc
	v_cndmask_b32_e32 v40, v40, v46, vcc
	v_lshlrev_b32_e32 v30, 16, v30
	v_bfrev_b32_e32 v41, 60
	v_lshlrev_b32_e32 v40, 20, v40
	v_and_b32_e32 v30, 0x80000000, v30
	v_lshl_add_u32 v34, v34, 23, v41
	v_or3_b32 v40, v30, v34, v40
.LBB407_192:
	s_or_b64 exec, exec, s[20:21]
.LBB407_193:
	s_or_b64 exec, exec, s[10:11]
.LBB407_194:
	s_or_b64 exec, exec, s[2:3]
	s_movk_i32 s2, 0xff
	v_and_b32_sdwa v34, v33, s2 dst_sel:DWORD dst_unused:UNUSED_PAD src0_sel:WORD_1 src1_sel:DWORD
	v_lshrrev_b32_e32 v30, 16, v33
	v_cmp_ne_u16_e32 vcc, 0, v34
	s_and_saveexec_b64 s[2:3], vcc
	s_cbranch_execz .LBB407_200
; %bb.195:
	s_movk_i32 s9, 0x80
	v_cmp_ne_u16_e32 vcc, s9, v34
	v_bfrev_b32_e32 v39, 1
	s_and_saveexec_b64 s[10:11], vcc
	s_cbranch_execz .LBB407_199
; %bb.196:
	v_bfe_u32 v34, v33, 16, 7
	s_movk_i32 s9, 0x7f
	v_cmp_ne_u32_e32 vcc, s9, v34
	v_mov_b32_e32 v39, 0x7f800001
	s_and_saveexec_b64 s[20:21], vcc
	s_cbranch_execz .LBB407_198
; %bb.197:
	v_and_b32_e32 v39, 7, v30
	v_ffbh_u32_e32 v45, v39
	v_min_u32_e32 v45, 32, v45
	v_subrev_u32_e32 v46, 28, v45
	v_lshlrev_b64 v[46:47], v46, v[30:31]
	v_sub_u32_e32 v30, 29, v45
	v_and_b32_e32 v45, 7, v46
	v_cmp_gt_u32_e32 vcc, 8, v34
	v_lshrrev_b32_e32 v41, 3, v34
	v_cndmask_b32_e32 v34, v39, v45, vcc
	v_mov_b32_e32 v39, 24
	v_cndmask_b32_e32 v30, v41, v30, vcc
	v_lshlrev_b32_sdwa v39, v39, v33 dst_sel:DWORD dst_unused:UNUSED_PAD src0_sel:DWORD src1_sel:WORD_1
	v_bfrev_b32_e32 v41, 60
	v_lshlrev_b32_e32 v34, 20, v34
	v_and_b32_e32 v39, 0x80000000, v39
	v_lshl_add_u32 v30, v30, 23, v41
	v_or3_b32 v39, v39, v30, v34
.LBB407_198:
	s_or_b64 exec, exec, s[20:21]
.LBB407_199:
	s_or_b64 exec, exec, s[10:11]
.LBB407_200:
	s_or_b64 exec, exec, s[2:3]
	s_mov_b32 s2, -1
	s_mov_b32 s3, 0xffffff
	v_cmp_lt_u64_e32 vcc, s[2:3], v[32:33]
	v_mov_b32_e32 v34, 0
	v_mov_b32_e32 v32, 0
	s_and_saveexec_b64 s[2:3], vcc
	s_cbranch_execz .LBB407_206
; %bb.201:
	v_lshrrev_b32_e32 v30, 24, v33
	s_movk_i32 s9, 0x80
	v_cmp_ne_u32_e32 vcc, s9, v30
	v_bfrev_b32_e32 v32, 1
	s_and_saveexec_b64 s[10:11], vcc
	s_cbranch_execz .LBB407_205
; %bb.202:
	v_bfe_u32 v33, v33, 24, 7
	s_movk_i32 s9, 0x7f
	v_cmp_ne_u32_e32 vcc, s9, v33
	v_mov_b32_e32 v32, 0x7f800001
	s_and_saveexec_b64 s[20:21], vcc
	s_cbranch_execz .LBB407_204
; %bb.203:
	v_and_b32_e32 v32, 7, v30
	v_ffbh_u32_e32 v45, v32
	v_min_u32_e32 v45, 32, v45
	v_subrev_u32_e32 v46, 28, v45
	v_lshlrev_b64 v[46:47], v46, v[30:31]
	v_lshrrev_b32_e32 v41, 3, v33
	v_sub_u32_e32 v45, 29, v45
	v_and_b32_e32 v46, 7, v46
	v_cmp_gt_u32_e32 vcc, 8, v33
	v_cndmask_b32_e32 v33, v41, v45, vcc
	v_cndmask_b32_e32 v32, v32, v46, vcc
	v_lshlrev_b32_e32 v30, 24, v30
	v_bfrev_b32_e32 v41, 60
	v_lshlrev_b32_e32 v32, 20, v32
	v_and_b32_e32 v30, 0x80000000, v30
	v_lshl_add_u32 v33, v33, 23, v41
	v_or3_b32 v32, v30, v33, v32
.LBB407_204:
	s_or_b64 exec, exec, s[20:21]
.LBB407_205:
	s_or_b64 exec, exec, s[10:11]
.LBB407_206:
	s_or_b64 exec, exec, s[2:3]
	v_cvt_pkrtz_f16_f32 v36, v36, v37
	v_cvt_pkrtz_f16_f32 v37, v35, v38
	;; [unrolled: 1-line block ×4, first 2 shown]
	v_mfma_f32_4x4x4f16 a[0:3], v[18:19], v[36:37], a[0:3] cbsz:4 abid:3
	s_waitcnt vmcnt(5)
	v_cmp_ne_u16_sdwa s[10:11], v26, v34 src0_sel:BYTE_0 src1_sel:DWORD
	v_mfma_f32_4x4x4f16 a[0:3], v[20:21], v[30:31], a[0:3] cbsz:4 abid:3
	s_and_saveexec_b64 s[2:3], s[10:11]
	s_cbranch_execz .LBB407_212
; %bb.207:
	s_movk_i32 s9, 0x80
	v_cmp_ne_u16_sdwa s[20:21], v26, s9 src0_sel:BYTE_0 src1_sel:DWORD
	v_bfrev_b32_e32 v34, 1
	s_and_saveexec_b64 s[10:11], s[20:21]
	s_cbranch_execz .LBB407_211
; %bb.208:
	s_movk_i32 s9, 0x7f
	v_and_b32_e32 v30, 0x7f, v26
	v_cmp_ne_u32_e32 vcc, s9, v30
	v_mov_b32_e32 v34, 0x7f800001
	s_and_saveexec_b64 s[20:21], vcc
	s_cbranch_execz .LBB407_210
; %bb.209:
	v_and_b32_e32 v31, 7, v26
	v_ffbh_u32_e32 v31, v31
	v_min_u32_e32 v31, 32, v31
	v_subrev_u32_e32 v33, 28, v31
	v_cmp_gt_u32_e32 vcc, 8, v30
	v_lshrrev_b32_e32 v32, 3, v30
	v_sub_u32_e32 v31, 29, v31
	v_cndmask_b32_e32 v30, 0, v33, vcc
	v_cndmask_b32_e32 v32, v32, v31, vcc
	v_lshlrev_b64 v[30:31], v30, v[26:27]
	v_lshlrev_b32_e32 v30, 20, v30
	v_lshlrev_b32_e32 v31, 24, v26
	v_bfrev_b32_e32 v33, 60
	v_and_b32_e32 v30, 0x700000, v30
	v_and_b32_e32 v31, 0x80000000, v31
	v_lshl_add_u32 v32, v32, 23, v33
	v_or3_b32 v34, v31, v32, v30
.LBB407_210:
	s_or_b64 exec, exec, s[20:21]
.LBB407_211:
	s_or_b64 exec, exec, s[10:11]
.LBB407_212:
	s_or_b64 exec, exec, s[2:3]
	v_lshrrev_b16_e32 v30, 8, v26
	v_cmp_ne_u16_e32 vcc, 0, v30
	v_mov_b32_e32 v33, 0
	v_mov_b32_e32 v35, 0
	s_and_saveexec_b64 s[2:3], vcc
	s_cbranch_execz .LBB407_218
; %bb.213:
	s_movk_i32 s9, 0x80
	v_cmp_ne_u16_e32 vcc, s9, v30
	v_bfrev_b32_e32 v35, 1
	s_and_saveexec_b64 s[10:11], vcc
	s_cbranch_execz .LBB407_217
; %bb.214:
	s_movk_i32 s9, 0x7f
	v_and_b32_e32 v31, 0x7f, v30
	v_cmp_ne_u32_e32 vcc, s9, v31
	v_mov_b32_e32 v35, 0x7f800001
	s_and_saveexec_b64 s[20:21], vcc
	s_cbranch_execz .LBB407_216
; %bb.215:
	v_and_b32_e32 v32, 7, v30
	v_ffbh_u32_e32 v36, v32
	v_min_u32_e32 v38, 32, v36
	v_subrev_u32_e32 v36, 28, v38
	v_lshlrev_b64 v[36:37], v36, v[30:31]
	v_lshrrev_b32_e32 v35, 3, v31
	v_sub_u32_e32 v30, 29, v38
	v_and_b32_e32 v36, 7, v36
	v_cmp_gt_u32_e32 vcc, 8, v31
	v_cndmask_b32_e32 v30, v35, v30, vcc
	v_cndmask_b32_e32 v31, v32, v36, vcc
	v_lshlrev_b32_e32 v32, 16, v26
	v_bfrev_b32_e32 v35, 60
	v_lshlrev_b32_e32 v31, 20, v31
	v_and_b32_e32 v32, 0x80000000, v32
	v_lshl_add_u32 v30, v30, 23, v35
	v_or3_b32 v35, v32, v30, v31
.LBB407_216:
	s_or_b64 exec, exec, s[20:21]
.LBB407_217:
	s_or_b64 exec, exec, s[10:11]
.LBB407_218:
	s_or_b64 exec, exec, s[2:3]
	s_movk_i32 s2, 0xff
	v_and_b32_sdwa v31, v26, s2 dst_sel:DWORD dst_unused:UNUSED_PAD src0_sel:WORD_1 src1_sel:DWORD
	v_lshrrev_b32_e32 v30, 16, v26
	v_cmp_ne_u16_e32 vcc, 0, v31
	s_and_saveexec_b64 s[2:3], vcc
	s_cbranch_execz .LBB407_224
; %bb.219:
	s_movk_i32 s9, 0x80
	v_cmp_ne_u16_e32 vcc, s9, v31
	v_bfrev_b32_e32 v33, 1
	s_and_saveexec_b64 s[10:11], vcc
	s_cbranch_execz .LBB407_223
; %bb.220:
	v_bfe_u32 v31, v26, 16, 7
	s_movk_i32 s9, 0x7f
	v_cmp_ne_u32_e32 vcc, s9, v31
	v_mov_b32_e32 v33, 0x7f800001
	s_and_saveexec_b64 s[20:21], vcc
	s_cbranch_execz .LBB407_222
; %bb.221:
	v_and_b32_e32 v36, 7, v30
	v_ffbh_u32_e32 v32, v36
	v_min_u32_e32 v38, 32, v32
	v_subrev_u32_e32 v32, 28, v38
	v_lshlrev_b64 v[32:33], v32, v[30:31]
	v_and_b32_e32 v32, 7, v32
	v_cmp_gt_u32_e32 vcc, 8, v31
	v_lshrrev_b32_e32 v37, 3, v31
	v_sub_u32_e32 v30, 29, v38
	v_cndmask_b32_e32 v31, v36, v32, vcc
	v_mov_b32_e32 v32, 24
	v_cndmask_b32_e32 v30, v37, v30, vcc
	v_lshlrev_b32_sdwa v32, v32, v26 dst_sel:DWORD dst_unused:UNUSED_PAD src0_sel:DWORD src1_sel:WORD_1
	v_bfrev_b32_e32 v33, 60
	v_lshlrev_b32_e32 v31, 20, v31
	v_and_b32_e32 v32, 0x80000000, v32
	v_lshl_add_u32 v30, v30, 23, v33
	v_or3_b32 v33, v32, v30, v31
.LBB407_222:
	s_or_b64 exec, exec, s[20:21]
.LBB407_223:
	s_or_b64 exec, exec, s[10:11]
.LBB407_224:
	s_or_b64 exec, exec, s[2:3]
	s_mov_b32 s2, 0xffffff
	v_cmp_lt_u32_e32 vcc, s2, v26
	v_mov_b32_e32 v31, 0
	v_mov_b32_e32 v36, 0
	s_and_saveexec_b64 s[2:3], vcc
	s_cbranch_execz .LBB407_230
; %bb.225:
	v_lshrrev_b32_e32 v30, 24, v26
	s_movk_i32 s9, 0x80
	v_cmp_ne_u32_e32 vcc, s9, v30
	v_bfrev_b32_e32 v36, 1
	s_and_saveexec_b64 s[10:11], vcc
	s_cbranch_execz .LBB407_229
; %bb.226:
	v_bfe_u32 v32, v26, 24, 7
	s_movk_i32 s9, 0x7f
	v_cmp_ne_u32_e32 vcc, s9, v32
	v_mov_b32_e32 v36, 0x7f800001
	s_and_saveexec_b64 s[20:21], vcc
	s_cbranch_execz .LBB407_228
; %bb.227:
	v_and_b32_e32 v38, 7, v30
	v_ffbh_u32_e32 v36, v38
	v_min_u32_e32 v40, 32, v36
	v_subrev_u32_e32 v36, 28, v40
	v_lshlrev_b64 v[36:37], v36, v[30:31]
	v_lshrrev_b32_e32 v39, 3, v32
	v_sub_u32_e32 v37, 29, v40
	v_and_b32_e32 v36, 7, v36
	v_cmp_gt_u32_e32 vcc, 8, v32
	v_cndmask_b32_e32 v32, v39, v37, vcc
	v_cndmask_b32_e32 v36, v38, v36, vcc
	v_lshlrev_b32_e32 v30, 24, v30
	v_bfrev_b32_e32 v37, 60
	v_lshlrev_b32_e32 v36, 20, v36
	v_and_b32_e32 v30, 0x80000000, v30
	v_lshl_add_u32 v32, v32, 23, v37
	v_or3_b32 v36, v30, v32, v36
.LBB407_228:
	s_or_b64 exec, exec, s[20:21]
.LBB407_229:
	s_or_b64 exec, exec, s[10:11]
.LBB407_230:
	s_or_b64 exec, exec, s[2:3]
	v_mov_b32_e32 v30, v27
	v_cmp_ne_u16_sdwa s[10:11], v27, v31 src0_sel:BYTE_0 src1_sel:DWORD
	s_and_saveexec_b64 s[2:3], s[10:11]
	s_cbranch_execz .LBB407_236
; %bb.231:
	s_movk_i32 s9, 0x80
	v_cmp_ne_u16_sdwa s[20:21], v27, s9 src0_sel:BYTE_0 src1_sel:DWORD
	v_bfrev_b32_e32 v32, 1
	s_and_saveexec_b64 s[10:11], s[20:21]
	s_cbranch_execz .LBB407_235
; %bb.232:
	s_movk_i32 s9, 0x7f
	v_and_b32_e32 v37, 0x7f, v27
	v_cmp_ne_u32_e32 vcc, s9, v37
	v_mov_b32_e32 v32, 0x7f800001
	s_and_saveexec_b64 s[20:21], vcc
	s_cbranch_execz .LBB407_234
; %bb.233:
	v_and_b32_e32 v32, 7, v27
	v_ffbh_u32_e32 v32, v32
	v_min_u32_e32 v32, 32, v32
	v_subrev_u32_e32 v39, 28, v32
	v_cmp_gt_u32_e32 vcc, 8, v37
	v_lshrrev_b32_e32 v38, 3, v37
	v_sub_u32_e32 v32, 29, v32
	v_cndmask_b32_e32 v37, 0, v39, vcc
	v_cndmask_b32_e32 v32, v38, v32, vcc
	v_lshlrev_b64 v[38:39], v37, v[30:31]
	v_lshlrev_b32_e32 v31, 20, v38
	v_lshlrev_b32_e32 v37, 24, v30
	v_bfrev_b32_e32 v38, 60
	v_and_b32_e32 v31, 0x700000, v31
	v_and_b32_e32 v37, 0x80000000, v37
	v_lshl_add_u32 v32, v32, 23, v38
	v_or3_b32 v32, v37, v32, v31
.LBB407_234:
	s_or_b64 exec, exec, s[20:21]
.LBB407_235:
	s_or_b64 exec, exec, s[10:11]
	v_mov_b32_e32 v31, v32
.LBB407_236:
	s_or_b64 exec, exec, s[2:3]
	v_lshrrev_b16_e32 v32, 8, v30
	v_cmp_ne_u16_e32 vcc, 0, v32
	v_mov_b32_e32 v37, 0
	v_mov_b32_e32 v38, 0
	s_and_saveexec_b64 s[2:3], vcc
	s_cbranch_execz .LBB407_242
; %bb.237:
	s_movk_i32 s9, 0x80
	v_cmp_ne_u16_e32 vcc, s9, v32
	v_bfrev_b32_e32 v38, 1
	s_and_saveexec_b64 s[10:11], vcc
	s_cbranch_execz .LBB407_241
; %bb.238:
	s_movk_i32 s9, 0x7f
	v_and_b32_e32 v39, 0x7f, v32
	v_cmp_ne_u32_e32 vcc, s9, v39
	v_mov_b32_e32 v38, 0x7f800001
	s_and_saveexec_b64 s[20:21], vcc
	s_cbranch_execz .LBB407_240
; %bb.239:
	v_and_b32_e32 v38, 7, v32
	v_ffbh_u32_e32 v40, v38
	v_min_u32_e32 v46, 32, v40
	v_subrev_u32_e32 v40, 28, v46
	v_lshlrev_b64 v[40:41], v40, v[32:33]
	v_lshrrev_b32_e32 v45, 3, v39
	v_sub_u32_e32 v32, 29, v46
	v_and_b32_e32 v40, 7, v40
	v_cmp_gt_u32_e32 vcc, 8, v39
	v_cndmask_b32_e32 v32, v45, v32, vcc
	v_cndmask_b32_e32 v38, v38, v40, vcc
	v_lshlrev_b32_e32 v30, 16, v30
	v_bfrev_b32_e32 v39, 60
	v_lshlrev_b32_e32 v38, 20, v38
	v_and_b32_e32 v30, 0x80000000, v30
	v_lshl_add_u32 v32, v32, 23, v39
	v_or3_b32 v38, v30, v32, v38
.LBB407_240:
	s_or_b64 exec, exec, s[20:21]
.LBB407_241:
	s_or_b64 exec, exec, s[10:11]
.LBB407_242:
	s_or_b64 exec, exec, s[2:3]
	s_movk_i32 s2, 0xff
	v_and_b32_sdwa v32, v27, s2 dst_sel:DWORD dst_unused:UNUSED_PAD src0_sel:WORD_1 src1_sel:DWORD
	v_lshrrev_b32_e32 v30, 16, v27
	v_cmp_ne_u16_e32 vcc, 0, v32
	s_and_saveexec_b64 s[2:3], vcc
	s_cbranch_execz .LBB407_248
; %bb.243:
	s_movk_i32 s9, 0x80
	v_cmp_ne_u16_e32 vcc, s9, v32
	v_bfrev_b32_e32 v37, 1
	s_and_saveexec_b64 s[10:11], vcc
	s_cbranch_execz .LBB407_247
; %bb.244:
	v_bfe_u32 v32, v27, 16, 7
	s_movk_i32 s9, 0x7f
	v_cmp_ne_u32_e32 vcc, s9, v32
	v_mov_b32_e32 v37, 0x7f800001
	s_and_saveexec_b64 s[20:21], vcc
	s_cbranch_execz .LBB407_246
; %bb.245:
	v_and_b32_e32 v37, 7, v30
	v_ffbh_u32_e32 v40, v37
	v_min_u32_e32 v45, 32, v40
	v_subrev_u32_e32 v40, 28, v45
	v_lshlrev_b64 v[40:41], v40, v[30:31]
	v_and_b32_e32 v40, 7, v40
	v_cmp_gt_u32_e32 vcc, 8, v32
	v_lshrrev_b32_e32 v39, 3, v32
	v_sub_u32_e32 v30, 29, v45
	v_cndmask_b32_e32 v32, v37, v40, vcc
	v_mov_b32_e32 v37, 24
	v_cndmask_b32_e32 v30, v39, v30, vcc
	v_lshlrev_b32_sdwa v37, v37, v27 dst_sel:DWORD dst_unused:UNUSED_PAD src0_sel:DWORD src1_sel:WORD_1
	v_bfrev_b32_e32 v39, 60
	v_lshlrev_b32_e32 v32, 20, v32
	v_and_b32_e32 v37, 0x80000000, v37
	v_lshl_add_u32 v30, v30, 23, v39
	v_or3_b32 v37, v37, v30, v32
.LBB407_246:
	s_or_b64 exec, exec, s[20:21]
.LBB407_247:
	s_or_b64 exec, exec, s[10:11]
.LBB407_248:
	s_or_b64 exec, exec, s[2:3]
	s_mov_b32 s2, -1
	s_mov_b32 s3, 0xffffff
	v_cmp_lt_u64_e32 vcc, s[2:3], v[26:27]
	v_mov_b32_e32 v32, 0
	v_mov_b32_e32 v30, 0
	s_and_saveexec_b64 s[2:3], vcc
	s_cbranch_execz .LBB407_254
; %bb.249:
	v_lshrrev_b32_e32 v26, 24, v27
	s_movk_i32 s9, 0x80
	v_cmp_ne_u32_e32 vcc, s9, v26
	v_bfrev_b32_e32 v30, 1
	s_and_saveexec_b64 s[10:11], vcc
	s_cbranch_execz .LBB407_253
; %bb.250:
	v_bfe_u32 v27, v27, 24, 7
	s_movk_i32 s9, 0x7f
	v_cmp_ne_u32_e32 vcc, s9, v27
	v_mov_b32_e32 v30, 0x7f800001
	s_and_saveexec_b64 s[20:21], vcc
	s_cbranch_execz .LBB407_252
; %bb.251:
	v_and_b32_e32 v30, 7, v26
	v_ffbh_u32_e32 v40, v30
	v_min_u32_e32 v45, 32, v40
	v_subrev_u32_e32 v40, 28, v45
	v_lshlrev_b64 v[40:41], v40, v[26:27]
	v_lshrrev_b32_e32 v39, 3, v27
	v_sub_u32_e32 v41, 29, v45
	v_and_b32_e32 v40, 7, v40
	v_cmp_gt_u32_e32 vcc, 8, v27
	v_cndmask_b32_e32 v27, v39, v41, vcc
	v_cndmask_b32_e32 v30, v30, v40, vcc
	v_lshlrev_b32_e32 v26, 24, v26
	v_bfrev_b32_e32 v39, 60
	v_lshlrev_b32_e32 v30, 20, v30
	v_and_b32_e32 v26, 0x80000000, v26
	v_lshl_add_u32 v27, v27, 23, v39
	v_or3_b32 v30, v26, v27, v30
.LBB407_252:
	s_or_b64 exec, exec, s[20:21]
.LBB407_253:
	s_or_b64 exec, exec, s[10:11]
.LBB407_254:
	s_or_b64 exec, exec, s[2:3]
	v_cvt_pkrtz_f16_f32 v26, v34, v35
	v_cvt_pkrtz_f16_f32 v27, v33, v36
	;; [unrolled: 1-line block ×4, first 2 shown]
	v_mfma_f32_4x4x4f16 a[0:3], v[18:19], v[26:27], a[0:3] cbsz:4 abid:4
	v_cmp_ne_u16_sdwa s[10:11], v28, v32 src0_sel:BYTE_0 src1_sel:DWORD
	v_mfma_f32_4x4x4f16 a[0:3], v[20:21], v[34:35], a[0:3] cbsz:4 abid:4
	s_and_saveexec_b64 s[2:3], s[10:11]
	s_cbranch_execz .LBB407_260
; %bb.255:
	s_movk_i32 s9, 0x80
	v_cmp_ne_u16_sdwa s[20:21], v28, s9 src0_sel:BYTE_0 src1_sel:DWORD
	v_bfrev_b32_e32 v32, 1
	s_and_saveexec_b64 s[10:11], s[20:21]
	s_cbranch_execz .LBB407_259
; %bb.256:
	s_movk_i32 s9, 0x7f
	v_and_b32_e32 v26, 0x7f, v28
	v_cmp_ne_u32_e32 vcc, s9, v26
	v_mov_b32_e32 v32, 0x7f800001
	s_and_saveexec_b64 s[20:21], vcc
	s_cbranch_execz .LBB407_258
; %bb.257:
	v_and_b32_e32 v27, 7, v28
	v_ffbh_u32_e32 v27, v27
	v_min_u32_e32 v27, 32, v27
	v_subrev_u32_e32 v31, 28, v27
	v_cmp_gt_u32_e32 vcc, 8, v26
	v_lshrrev_b32_e32 v30, 3, v26
	v_sub_u32_e32 v27, 29, v27
	v_cndmask_b32_e32 v26, 0, v31, vcc
	v_cndmask_b32_e32 v30, v30, v27, vcc
	v_lshlrev_b64 v[26:27], v26, v[28:29]
	v_lshlrev_b32_e32 v26, 20, v26
	v_lshlrev_b32_e32 v27, 24, v28
	v_bfrev_b32_e32 v31, 60
	v_and_b32_e32 v26, 0x700000, v26
	v_and_b32_e32 v27, 0x80000000, v27
	v_lshl_add_u32 v30, v30, 23, v31
	v_or3_b32 v32, v27, v30, v26
.LBB407_258:
	s_or_b64 exec, exec, s[20:21]
.LBB407_259:
	s_or_b64 exec, exec, s[10:11]
.LBB407_260:
	s_or_b64 exec, exec, s[2:3]
	v_lshrrev_b16_e32 v26, 8, v28
	v_cmp_ne_u16_e32 vcc, 0, v26
	v_mov_b32_e32 v31, 0
	v_mov_b32_e32 v33, 0
	s_and_saveexec_b64 s[2:3], vcc
	s_cbranch_execz .LBB407_266
; %bb.261:
	s_movk_i32 s9, 0x80
	v_cmp_ne_u16_e32 vcc, s9, v26
	v_bfrev_b32_e32 v33, 1
	s_and_saveexec_b64 s[10:11], vcc
	s_cbranch_execz .LBB407_265
; %bb.262:
	s_movk_i32 s9, 0x7f
	v_and_b32_e32 v27, 0x7f, v26
	v_cmp_ne_u32_e32 vcc, s9, v27
	v_mov_b32_e32 v33, 0x7f800001
	s_and_saveexec_b64 s[20:21], vcc
	s_cbranch_execz .LBB407_264
; %bb.263:
	v_and_b32_e32 v30, 7, v26
	v_ffbh_u32_e32 v34, v30
	v_min_u32_e32 v36, 32, v34
	v_subrev_u32_e32 v34, 28, v36
	v_lshlrev_b64 v[34:35], v34, v[26:27]
	v_lshrrev_b32_e32 v33, 3, v27
	v_sub_u32_e32 v26, 29, v36
	v_and_b32_e32 v34, 7, v34
	v_cmp_gt_u32_e32 vcc, 8, v27
	v_cndmask_b32_e32 v26, v33, v26, vcc
	v_cndmask_b32_e32 v27, v30, v34, vcc
	v_lshlrev_b32_e32 v30, 16, v28
	v_bfrev_b32_e32 v33, 60
	v_lshlrev_b32_e32 v27, 20, v27
	v_and_b32_e32 v30, 0x80000000, v30
	v_lshl_add_u32 v26, v26, 23, v33
	v_or3_b32 v33, v30, v26, v27
.LBB407_264:
	s_or_b64 exec, exec, s[20:21]
.LBB407_265:
	s_or_b64 exec, exec, s[10:11]
.LBB407_266:
	s_or_b64 exec, exec, s[2:3]
	s_movk_i32 s2, 0xff
	v_and_b32_sdwa v27, v28, s2 dst_sel:DWORD dst_unused:UNUSED_PAD src0_sel:WORD_1 src1_sel:DWORD
	v_lshrrev_b32_e32 v26, 16, v28
	v_cmp_ne_u16_e32 vcc, 0, v27
	s_and_saveexec_b64 s[2:3], vcc
	s_cbranch_execz .LBB407_272
; %bb.267:
	s_movk_i32 s9, 0x80
	v_cmp_ne_u16_e32 vcc, s9, v27
	v_bfrev_b32_e32 v31, 1
	s_and_saveexec_b64 s[10:11], vcc
	s_cbranch_execz .LBB407_271
; %bb.268:
	v_bfe_u32 v27, v28, 16, 7
	s_movk_i32 s9, 0x7f
	v_cmp_ne_u32_e32 vcc, s9, v27
	v_mov_b32_e32 v31, 0x7f800001
	s_and_saveexec_b64 s[20:21], vcc
	s_cbranch_execz .LBB407_270
; %bb.269:
	v_and_b32_e32 v34, 7, v26
	v_ffbh_u32_e32 v30, v34
	v_min_u32_e32 v36, 32, v30
	v_subrev_u32_e32 v30, 28, v36
	v_lshlrev_b64 v[30:31], v30, v[26:27]
	v_and_b32_e32 v30, 7, v30
	v_cmp_gt_u32_e32 vcc, 8, v27
	v_lshrrev_b32_e32 v35, 3, v27
	v_sub_u32_e32 v26, 29, v36
	v_cndmask_b32_e32 v27, v34, v30, vcc
	v_mov_b32_e32 v30, 24
	v_cndmask_b32_e32 v26, v35, v26, vcc
	v_lshlrev_b32_sdwa v30, v30, v28 dst_sel:DWORD dst_unused:UNUSED_PAD src0_sel:DWORD src1_sel:WORD_1
	v_bfrev_b32_e32 v31, 60
	v_lshlrev_b32_e32 v27, 20, v27
	v_and_b32_e32 v30, 0x80000000, v30
	v_lshl_add_u32 v26, v26, 23, v31
	v_or3_b32 v31, v30, v26, v27
.LBB407_270:
	s_or_b64 exec, exec, s[20:21]
.LBB407_271:
	s_or_b64 exec, exec, s[10:11]
.LBB407_272:
	s_or_b64 exec, exec, s[2:3]
	s_mov_b32 s2, 0xffffff
	v_cmp_lt_u32_e32 vcc, s2, v28
	v_mov_b32_e32 v27, 0
	v_mov_b32_e32 v34, 0
	s_and_saveexec_b64 s[2:3], vcc
	s_cbranch_execz .LBB407_278
; %bb.273:
	v_lshrrev_b32_e32 v26, 24, v28
	s_movk_i32 s9, 0x80
	v_cmp_ne_u32_e32 vcc, s9, v26
	v_bfrev_b32_e32 v34, 1
	s_and_saveexec_b64 s[10:11], vcc
	s_cbranch_execz .LBB407_277
; %bb.274:
	v_bfe_u32 v30, v28, 24, 7
	s_movk_i32 s9, 0x7f
	v_cmp_ne_u32_e32 vcc, s9, v30
	v_mov_b32_e32 v34, 0x7f800001
	s_and_saveexec_b64 s[20:21], vcc
	s_cbranch_execz .LBB407_276
; %bb.275:
	v_and_b32_e32 v36, 7, v26
	v_ffbh_u32_e32 v34, v36
	v_min_u32_e32 v38, 32, v34
	v_subrev_u32_e32 v34, 28, v38
	v_lshlrev_b64 v[34:35], v34, v[26:27]
	v_lshrrev_b32_e32 v37, 3, v30
	v_sub_u32_e32 v35, 29, v38
	v_and_b32_e32 v34, 7, v34
	v_cmp_gt_u32_e32 vcc, 8, v30
	v_cndmask_b32_e32 v30, v37, v35, vcc
	v_cndmask_b32_e32 v34, v36, v34, vcc
	v_lshlrev_b32_e32 v26, 24, v26
	v_bfrev_b32_e32 v35, 60
	v_lshlrev_b32_e32 v34, 20, v34
	v_and_b32_e32 v26, 0x80000000, v26
	v_lshl_add_u32 v30, v30, 23, v35
	v_or3_b32 v34, v26, v30, v34
.LBB407_276:
	s_or_b64 exec, exec, s[20:21]
.LBB407_277:
	s_or_b64 exec, exec, s[10:11]
.LBB407_278:
	s_or_b64 exec, exec, s[2:3]
	v_mov_b32_e32 v26, v29
	v_cmp_ne_u16_sdwa s[10:11], v29, v27 src0_sel:BYTE_0 src1_sel:DWORD
	s_and_saveexec_b64 s[2:3], s[10:11]
	s_cbranch_execz .LBB407_284
; %bb.279:
	s_movk_i32 s9, 0x80
	v_cmp_ne_u16_sdwa s[20:21], v29, s9 src0_sel:BYTE_0 src1_sel:DWORD
	v_bfrev_b32_e32 v30, 1
	s_and_saveexec_b64 s[10:11], s[20:21]
	s_cbranch_execz .LBB407_283
; %bb.280:
	s_movk_i32 s9, 0x7f
	v_and_b32_e32 v35, 0x7f, v29
	v_cmp_ne_u32_e32 vcc, s9, v35
	v_mov_b32_e32 v30, 0x7f800001
	s_and_saveexec_b64 s[20:21], vcc
	s_cbranch_execz .LBB407_282
; %bb.281:
	v_and_b32_e32 v30, 7, v29
	v_ffbh_u32_e32 v30, v30
	v_min_u32_e32 v30, 32, v30
	v_subrev_u32_e32 v37, 28, v30
	v_cmp_gt_u32_e32 vcc, 8, v35
	v_lshrrev_b32_e32 v36, 3, v35
	v_sub_u32_e32 v30, 29, v30
	v_cndmask_b32_e32 v35, 0, v37, vcc
	v_cndmask_b32_e32 v30, v36, v30, vcc
	v_lshlrev_b64 v[36:37], v35, v[26:27]
	v_lshlrev_b32_e32 v27, 20, v36
	v_lshlrev_b32_e32 v35, 24, v26
	v_bfrev_b32_e32 v36, 60
	v_and_b32_e32 v27, 0x700000, v27
	v_and_b32_e32 v35, 0x80000000, v35
	v_lshl_add_u32 v30, v30, 23, v36
	v_or3_b32 v30, v35, v30, v27
.LBB407_282:
	s_or_b64 exec, exec, s[20:21]
.LBB407_283:
	s_or_b64 exec, exec, s[10:11]
	v_mov_b32_e32 v27, v30
.LBB407_284:
	s_or_b64 exec, exec, s[2:3]
	v_lshrrev_b16_e32 v30, 8, v26
	v_cmp_ne_u16_e32 vcc, 0, v30
	v_mov_b32_e32 v35, 0
	v_mov_b32_e32 v36, 0
	s_and_saveexec_b64 s[2:3], vcc
	s_cbranch_execz .LBB407_290
; %bb.285:
	s_movk_i32 s9, 0x80
	v_cmp_ne_u16_e32 vcc, s9, v30
	v_bfrev_b32_e32 v36, 1
	s_and_saveexec_b64 s[10:11], vcc
	s_cbranch_execz .LBB407_289
; %bb.286:
	s_movk_i32 s9, 0x7f
	v_and_b32_e32 v37, 0x7f, v30
	v_cmp_ne_u32_e32 vcc, s9, v37
	v_mov_b32_e32 v36, 0x7f800001
	s_and_saveexec_b64 s[20:21], vcc
	s_cbranch_execz .LBB407_288
; %bb.287:
	v_and_b32_e32 v36, 7, v30
	v_ffbh_u32_e32 v38, v36
	v_min_u32_e32 v41, 32, v38
	v_subrev_u32_e32 v38, 28, v41
	v_lshlrev_b64 v[38:39], v38, v[30:31]
	v_lshrrev_b32_e32 v40, 3, v37
	v_sub_u32_e32 v30, 29, v41
	v_and_b32_e32 v38, 7, v38
	v_cmp_gt_u32_e32 vcc, 8, v37
	v_cndmask_b32_e32 v30, v40, v30, vcc
	v_cndmask_b32_e32 v36, v36, v38, vcc
	v_lshlrev_b32_e32 v26, 16, v26
	v_bfrev_b32_e32 v37, 60
	v_lshlrev_b32_e32 v36, 20, v36
	v_and_b32_e32 v26, 0x80000000, v26
	v_lshl_add_u32 v30, v30, 23, v37
	v_or3_b32 v36, v26, v30, v36
.LBB407_288:
	s_or_b64 exec, exec, s[20:21]
.LBB407_289:
	s_or_b64 exec, exec, s[10:11]
.LBB407_290:
	s_or_b64 exec, exec, s[2:3]
	s_movk_i32 s2, 0xff
	v_and_b32_sdwa v30, v29, s2 dst_sel:DWORD dst_unused:UNUSED_PAD src0_sel:WORD_1 src1_sel:DWORD
	v_lshrrev_b32_e32 v26, 16, v29
	v_cmp_ne_u16_e32 vcc, 0, v30
	s_and_saveexec_b64 s[2:3], vcc
	s_cbranch_execz .LBB407_296
; %bb.291:
	s_movk_i32 s9, 0x80
	v_cmp_ne_u16_e32 vcc, s9, v30
	v_bfrev_b32_e32 v35, 1
	s_and_saveexec_b64 s[10:11], vcc
	s_cbranch_execz .LBB407_295
; %bb.292:
	v_bfe_u32 v30, v29, 16, 7
	s_movk_i32 s9, 0x7f
	v_cmp_ne_u32_e32 vcc, s9, v30
	v_mov_b32_e32 v35, 0x7f800001
	s_and_saveexec_b64 s[20:21], vcc
	s_cbranch_execz .LBB407_294
; %bb.293:
	v_and_b32_e32 v35, 7, v26
	v_ffbh_u32_e32 v38, v35
	v_min_u32_e32 v40, 32, v38
	v_subrev_u32_e32 v38, 28, v40
	v_lshlrev_b64 v[38:39], v38, v[26:27]
	v_and_b32_e32 v38, 7, v38
	v_cmp_gt_u32_e32 vcc, 8, v30
	v_lshrrev_b32_e32 v37, 3, v30
	v_sub_u32_e32 v26, 29, v40
	v_cndmask_b32_e32 v30, v35, v38, vcc
	v_mov_b32_e32 v35, 24
	v_cndmask_b32_e32 v26, v37, v26, vcc
	v_lshlrev_b32_sdwa v35, v35, v29 dst_sel:DWORD dst_unused:UNUSED_PAD src0_sel:DWORD src1_sel:WORD_1
	v_bfrev_b32_e32 v37, 60
	v_lshlrev_b32_e32 v30, 20, v30
	v_and_b32_e32 v35, 0x80000000, v35
	v_lshl_add_u32 v26, v26, 23, v37
	v_or3_b32 v35, v35, v26, v30
.LBB407_294:
	s_or_b64 exec, exec, s[20:21]
.LBB407_295:
	s_or_b64 exec, exec, s[10:11]
.LBB407_296:
	s_or_b64 exec, exec, s[2:3]
	s_mov_b32 s2, -1
	s_mov_b32 s3, 0xffffff
	v_cmp_lt_u64_e32 vcc, s[2:3], v[28:29]
	v_mov_b32_e32 v30, 0
	v_mov_b32_e32 v28, 0
	s_and_saveexec_b64 s[2:3], vcc
	s_cbranch_execz .LBB407_302
; %bb.297:
	v_lshrrev_b32_e32 v26, 24, v29
	s_movk_i32 s9, 0x80
	v_cmp_ne_u32_e32 vcc, s9, v26
	v_bfrev_b32_e32 v28, 1
	s_and_saveexec_b64 s[10:11], vcc
	s_cbranch_execz .LBB407_301
; %bb.298:
	v_bfe_u32 v29, v29, 24, 7
	s_movk_i32 s9, 0x7f
	v_cmp_ne_u32_e32 vcc, s9, v29
	v_mov_b32_e32 v28, 0x7f800001
	s_and_saveexec_b64 s[20:21], vcc
	s_cbranch_execz .LBB407_300
; %bb.299:
	v_and_b32_e32 v28, 7, v26
	v_ffbh_u32_e32 v38, v28
	v_min_u32_e32 v40, 32, v38
	v_subrev_u32_e32 v38, 28, v40
	v_lshlrev_b64 v[38:39], v38, v[26:27]
	v_lshrrev_b32_e32 v37, 3, v29
	v_sub_u32_e32 v39, 29, v40
	v_and_b32_e32 v38, 7, v38
	v_cmp_gt_u32_e32 vcc, 8, v29
	v_cndmask_b32_e32 v29, v37, v39, vcc
	v_cndmask_b32_e32 v28, v28, v38, vcc
	v_lshlrev_b32_e32 v26, 24, v26
	v_bfrev_b32_e32 v37, 60
	v_lshlrev_b32_e32 v28, 20, v28
	v_and_b32_e32 v26, 0x80000000, v26
	v_lshl_add_u32 v29, v29, 23, v37
	v_or3_b32 v28, v26, v29, v28
.LBB407_300:
	s_or_b64 exec, exec, s[20:21]
.LBB407_301:
	s_or_b64 exec, exec, s[10:11]
.LBB407_302:
	s_or_b64 exec, exec, s[2:3]
	v_cvt_pkrtz_f16_f32 v32, v32, v33
	v_cvt_pkrtz_f16_f32 v33, v31, v34
	;; [unrolled: 1-line block ×4, first 2 shown]
	v_mfma_f32_4x4x4f16 a[0:3], v[18:19], v[32:33], a[0:3] cbsz:4 abid:5
	s_waitcnt vmcnt(4)
	v_cmp_ne_u16_sdwa s[10:11], v22, v30 src0_sel:BYTE_0 src1_sel:DWORD
	v_mfma_f32_4x4x4f16 a[0:3], v[20:21], v[26:27], a[0:3] cbsz:4 abid:5
	s_and_saveexec_b64 s[2:3], s[10:11]
	s_cbranch_execz .LBB407_308
; %bb.303:
	s_movk_i32 s9, 0x80
	v_cmp_ne_u16_sdwa s[20:21], v22, s9 src0_sel:BYTE_0 src1_sel:DWORD
	v_bfrev_b32_e32 v30, 1
	s_and_saveexec_b64 s[10:11], s[20:21]
	s_cbranch_execz .LBB407_307
; %bb.304:
	s_movk_i32 s9, 0x7f
	v_and_b32_e32 v26, 0x7f, v22
	v_cmp_ne_u32_e32 vcc, s9, v26
	v_mov_b32_e32 v30, 0x7f800001
	s_and_saveexec_b64 s[20:21], vcc
	s_cbranch_execz .LBB407_306
; %bb.305:
	v_and_b32_e32 v27, 7, v22
	v_ffbh_u32_e32 v27, v27
	v_min_u32_e32 v27, 32, v27
	v_subrev_u32_e32 v29, 28, v27
	v_cmp_gt_u32_e32 vcc, 8, v26
	v_lshrrev_b32_e32 v28, 3, v26
	v_sub_u32_e32 v27, 29, v27
	v_cndmask_b32_e32 v26, 0, v29, vcc
	v_cndmask_b32_e32 v28, v28, v27, vcc
	v_lshlrev_b64 v[26:27], v26, v[22:23]
	v_lshlrev_b32_e32 v26, 20, v26
	v_lshlrev_b32_e32 v27, 24, v22
	v_bfrev_b32_e32 v29, 60
	v_and_b32_e32 v26, 0x700000, v26
	v_and_b32_e32 v27, 0x80000000, v27
	v_lshl_add_u32 v28, v28, 23, v29
	v_or3_b32 v30, v27, v28, v26
.LBB407_306:
	s_or_b64 exec, exec, s[20:21]
.LBB407_307:
	s_or_b64 exec, exec, s[10:11]
.LBB407_308:
	s_or_b64 exec, exec, s[2:3]
	v_lshrrev_b16_e32 v26, 8, v22
	v_cmp_ne_u16_e32 vcc, 0, v26
	v_mov_b32_e32 v29, 0
	v_mov_b32_e32 v31, 0
	s_and_saveexec_b64 s[2:3], vcc
	s_cbranch_execz .LBB407_314
; %bb.309:
	s_movk_i32 s9, 0x80
	v_cmp_ne_u16_e32 vcc, s9, v26
	v_bfrev_b32_e32 v31, 1
	s_and_saveexec_b64 s[10:11], vcc
	s_cbranch_execz .LBB407_313
; %bb.310:
	s_movk_i32 s9, 0x7f
	v_and_b32_e32 v27, 0x7f, v26
	v_cmp_ne_u32_e32 vcc, s9, v27
	v_mov_b32_e32 v31, 0x7f800001
	s_and_saveexec_b64 s[20:21], vcc
	s_cbranch_execz .LBB407_312
; %bb.311:
	v_and_b32_e32 v28, 7, v26
	v_ffbh_u32_e32 v32, v28
	v_min_u32_e32 v34, 32, v32
	v_subrev_u32_e32 v32, 28, v34
	v_lshlrev_b64 v[32:33], v32, v[26:27]
	v_lshrrev_b32_e32 v31, 3, v27
	v_sub_u32_e32 v26, 29, v34
	v_and_b32_e32 v32, 7, v32
	v_cmp_gt_u32_e32 vcc, 8, v27
	v_cndmask_b32_e32 v26, v31, v26, vcc
	v_cndmask_b32_e32 v27, v28, v32, vcc
	v_lshlrev_b32_e32 v28, 16, v22
	v_bfrev_b32_e32 v31, 60
	v_lshlrev_b32_e32 v27, 20, v27
	v_and_b32_e32 v28, 0x80000000, v28
	v_lshl_add_u32 v26, v26, 23, v31
	v_or3_b32 v31, v28, v26, v27
.LBB407_312:
	s_or_b64 exec, exec, s[20:21]
.LBB407_313:
	s_or_b64 exec, exec, s[10:11]
.LBB407_314:
	s_or_b64 exec, exec, s[2:3]
	s_movk_i32 s2, 0xff
	v_and_b32_sdwa v27, v22, s2 dst_sel:DWORD dst_unused:UNUSED_PAD src0_sel:WORD_1 src1_sel:DWORD
	v_lshrrev_b32_e32 v26, 16, v22
	v_cmp_ne_u16_e32 vcc, 0, v27
	s_and_saveexec_b64 s[2:3], vcc
	s_cbranch_execz .LBB407_320
; %bb.315:
	s_movk_i32 s9, 0x80
	v_cmp_ne_u16_e32 vcc, s9, v27
	v_bfrev_b32_e32 v29, 1
	s_and_saveexec_b64 s[10:11], vcc
	s_cbranch_execz .LBB407_319
; %bb.316:
	v_bfe_u32 v27, v22, 16, 7
	s_movk_i32 s9, 0x7f
	v_cmp_ne_u32_e32 vcc, s9, v27
	v_mov_b32_e32 v29, 0x7f800001
	s_and_saveexec_b64 s[20:21], vcc
	s_cbranch_execz .LBB407_318
; %bb.317:
	v_and_b32_e32 v32, 7, v26
	v_ffbh_u32_e32 v28, v32
	v_min_u32_e32 v34, 32, v28
	v_subrev_u32_e32 v28, 28, v34
	v_lshlrev_b64 v[28:29], v28, v[26:27]
	v_and_b32_e32 v28, 7, v28
	v_cmp_gt_u32_e32 vcc, 8, v27
	v_lshrrev_b32_e32 v33, 3, v27
	v_sub_u32_e32 v26, 29, v34
	v_cndmask_b32_e32 v27, v32, v28, vcc
	v_mov_b32_e32 v28, 24
	v_cndmask_b32_e32 v26, v33, v26, vcc
	v_lshlrev_b32_sdwa v28, v28, v22 dst_sel:DWORD dst_unused:UNUSED_PAD src0_sel:DWORD src1_sel:WORD_1
	v_bfrev_b32_e32 v29, 60
	v_lshlrev_b32_e32 v27, 20, v27
	v_and_b32_e32 v28, 0x80000000, v28
	v_lshl_add_u32 v26, v26, 23, v29
	v_or3_b32 v29, v28, v26, v27
.LBB407_318:
	s_or_b64 exec, exec, s[20:21]
.LBB407_319:
	s_or_b64 exec, exec, s[10:11]
.LBB407_320:
	s_or_b64 exec, exec, s[2:3]
	s_mov_b32 s2, 0xffffff
	v_cmp_lt_u32_e32 vcc, s2, v22
	v_mov_b32_e32 v27, 0
	v_mov_b32_e32 v32, 0
	s_and_saveexec_b64 s[2:3], vcc
	s_cbranch_execz .LBB407_326
; %bb.321:
	v_lshrrev_b32_e32 v26, 24, v22
	s_movk_i32 s9, 0x80
	v_cmp_ne_u32_e32 vcc, s9, v26
	v_bfrev_b32_e32 v32, 1
	s_and_saveexec_b64 s[10:11], vcc
	s_cbranch_execz .LBB407_325
; %bb.322:
	v_bfe_u32 v28, v22, 24, 7
	s_movk_i32 s9, 0x7f
	v_cmp_ne_u32_e32 vcc, s9, v28
	v_mov_b32_e32 v32, 0x7f800001
	s_and_saveexec_b64 s[20:21], vcc
	s_cbranch_execz .LBB407_324
; %bb.323:
	v_and_b32_e32 v34, 7, v26
	v_ffbh_u32_e32 v32, v34
	v_min_u32_e32 v36, 32, v32
	v_subrev_u32_e32 v32, 28, v36
	v_lshlrev_b64 v[32:33], v32, v[26:27]
	v_lshrrev_b32_e32 v35, 3, v28
	v_sub_u32_e32 v33, 29, v36
	v_and_b32_e32 v32, 7, v32
	v_cmp_gt_u32_e32 vcc, 8, v28
	v_cndmask_b32_e32 v28, v35, v33, vcc
	v_cndmask_b32_e32 v32, v34, v32, vcc
	v_lshlrev_b32_e32 v26, 24, v26
	v_bfrev_b32_e32 v33, 60
	v_lshlrev_b32_e32 v32, 20, v32
	v_and_b32_e32 v26, 0x80000000, v26
	v_lshl_add_u32 v28, v28, 23, v33
	v_or3_b32 v32, v26, v28, v32
.LBB407_324:
	s_or_b64 exec, exec, s[20:21]
.LBB407_325:
	s_or_b64 exec, exec, s[10:11]
.LBB407_326:
	s_or_b64 exec, exec, s[2:3]
	v_mov_b32_e32 v26, v23
	v_cmp_ne_u16_sdwa s[10:11], v23, v27 src0_sel:BYTE_0 src1_sel:DWORD
	s_and_saveexec_b64 s[2:3], s[10:11]
	s_cbranch_execz .LBB407_332
; %bb.327:
	s_movk_i32 s9, 0x80
	v_cmp_ne_u16_sdwa s[20:21], v23, s9 src0_sel:BYTE_0 src1_sel:DWORD
	v_bfrev_b32_e32 v28, 1
	s_and_saveexec_b64 s[10:11], s[20:21]
	s_cbranch_execz .LBB407_331
; %bb.328:
	s_movk_i32 s9, 0x7f
	v_and_b32_e32 v33, 0x7f, v23
	v_cmp_ne_u32_e32 vcc, s9, v33
	v_mov_b32_e32 v28, 0x7f800001
	s_and_saveexec_b64 s[20:21], vcc
	s_cbranch_execz .LBB407_330
; %bb.329:
	v_and_b32_e32 v28, 7, v23
	v_ffbh_u32_e32 v28, v28
	v_min_u32_e32 v28, 32, v28
	v_subrev_u32_e32 v35, 28, v28
	v_cmp_gt_u32_e32 vcc, 8, v33
	v_lshrrev_b32_e32 v34, 3, v33
	v_sub_u32_e32 v28, 29, v28
	v_cndmask_b32_e32 v33, 0, v35, vcc
	v_cndmask_b32_e32 v28, v34, v28, vcc
	v_lshlrev_b64 v[34:35], v33, v[26:27]
	v_lshlrev_b32_e32 v27, 20, v34
	v_lshlrev_b32_e32 v33, 24, v26
	v_bfrev_b32_e32 v34, 60
	v_and_b32_e32 v27, 0x700000, v27
	v_and_b32_e32 v33, 0x80000000, v33
	v_lshl_add_u32 v28, v28, 23, v34
	v_or3_b32 v28, v33, v28, v27
.LBB407_330:
	s_or_b64 exec, exec, s[20:21]
.LBB407_331:
	s_or_b64 exec, exec, s[10:11]
	v_mov_b32_e32 v27, v28
.LBB407_332:
	s_or_b64 exec, exec, s[2:3]
	v_lshrrev_b16_e32 v28, 8, v26
	v_cmp_ne_u16_e32 vcc, 0, v28
	v_mov_b32_e32 v33, 0
	v_mov_b32_e32 v34, 0
	s_and_saveexec_b64 s[2:3], vcc
	s_cbranch_execz .LBB407_338
; %bb.333:
	s_movk_i32 s9, 0x80
	v_cmp_ne_u16_e32 vcc, s9, v28
	v_bfrev_b32_e32 v34, 1
	s_and_saveexec_b64 s[10:11], vcc
	s_cbranch_execz .LBB407_337
; %bb.334:
	s_movk_i32 s9, 0x7f
	v_and_b32_e32 v35, 0x7f, v28
	v_cmp_ne_u32_e32 vcc, s9, v35
	v_mov_b32_e32 v34, 0x7f800001
	s_and_saveexec_b64 s[20:21], vcc
	s_cbranch_execz .LBB407_336
; %bb.335:
	v_and_b32_e32 v34, 7, v28
	v_ffbh_u32_e32 v36, v34
	v_min_u32_e32 v39, 32, v36
	v_subrev_u32_e32 v36, 28, v39
	v_lshlrev_b64 v[36:37], v36, v[28:29]
	v_lshrrev_b32_e32 v38, 3, v35
	v_sub_u32_e32 v28, 29, v39
	v_and_b32_e32 v36, 7, v36
	v_cmp_gt_u32_e32 vcc, 8, v35
	v_cndmask_b32_e32 v28, v38, v28, vcc
	v_cndmask_b32_e32 v34, v34, v36, vcc
	v_lshlrev_b32_e32 v26, 16, v26
	v_bfrev_b32_e32 v35, 60
	v_lshlrev_b32_e32 v34, 20, v34
	v_and_b32_e32 v26, 0x80000000, v26
	v_lshl_add_u32 v28, v28, 23, v35
	v_or3_b32 v34, v26, v28, v34
.LBB407_336:
	s_or_b64 exec, exec, s[20:21]
.LBB407_337:
	s_or_b64 exec, exec, s[10:11]
.LBB407_338:
	s_or_b64 exec, exec, s[2:3]
	s_movk_i32 s2, 0xff
	v_and_b32_sdwa v28, v23, s2 dst_sel:DWORD dst_unused:UNUSED_PAD src0_sel:WORD_1 src1_sel:DWORD
	v_lshrrev_b32_e32 v26, 16, v23
	v_cmp_ne_u16_e32 vcc, 0, v28
	s_and_saveexec_b64 s[2:3], vcc
	s_cbranch_execz .LBB407_344
; %bb.339:
	s_movk_i32 s9, 0x80
	v_cmp_ne_u16_e32 vcc, s9, v28
	v_bfrev_b32_e32 v33, 1
	s_and_saveexec_b64 s[10:11], vcc
	s_cbranch_execz .LBB407_343
; %bb.340:
	v_bfe_u32 v28, v23, 16, 7
	s_movk_i32 s9, 0x7f
	v_cmp_ne_u32_e32 vcc, s9, v28
	v_mov_b32_e32 v33, 0x7f800001
	s_and_saveexec_b64 s[20:21], vcc
	s_cbranch_execz .LBB407_342
; %bb.341:
	v_and_b32_e32 v33, 7, v26
	v_ffbh_u32_e32 v36, v33
	v_min_u32_e32 v38, 32, v36
	v_subrev_u32_e32 v36, 28, v38
	v_lshlrev_b64 v[36:37], v36, v[26:27]
	v_and_b32_e32 v36, 7, v36
	v_cmp_gt_u32_e32 vcc, 8, v28
	v_lshrrev_b32_e32 v35, 3, v28
	v_sub_u32_e32 v26, 29, v38
	v_cndmask_b32_e32 v28, v33, v36, vcc
	v_mov_b32_e32 v33, 24
	v_cndmask_b32_e32 v26, v35, v26, vcc
	v_lshlrev_b32_sdwa v33, v33, v23 dst_sel:DWORD dst_unused:UNUSED_PAD src0_sel:DWORD src1_sel:WORD_1
	v_bfrev_b32_e32 v35, 60
	v_lshlrev_b32_e32 v28, 20, v28
	v_and_b32_e32 v33, 0x80000000, v33
	v_lshl_add_u32 v26, v26, 23, v35
	v_or3_b32 v33, v33, v26, v28
.LBB407_342:
	s_or_b64 exec, exec, s[20:21]
.LBB407_343:
	s_or_b64 exec, exec, s[10:11]
.LBB407_344:
	s_or_b64 exec, exec, s[2:3]
	s_mov_b32 s2, -1
	s_mov_b32 s3, 0xffffff
	v_cmp_lt_u64_e32 vcc, s[2:3], v[22:23]
	v_mov_b32_e32 v28, 0
	v_mov_b32_e32 v26, 0
	s_and_saveexec_b64 s[2:3], vcc
	s_cbranch_execz .LBB407_350
; %bb.345:
	v_lshrrev_b32_e32 v22, 24, v23
	s_movk_i32 s9, 0x80
	v_cmp_ne_u32_e32 vcc, s9, v22
	v_bfrev_b32_e32 v26, 1
	s_and_saveexec_b64 s[10:11], vcc
	s_cbranch_execz .LBB407_349
; %bb.346:
	v_bfe_u32 v23, v23, 24, 7
	s_movk_i32 s9, 0x7f
	v_cmp_ne_u32_e32 vcc, s9, v23
	v_mov_b32_e32 v26, 0x7f800001
	s_and_saveexec_b64 s[20:21], vcc
	s_cbranch_execz .LBB407_348
; %bb.347:
	v_and_b32_e32 v26, 7, v22
	v_ffbh_u32_e32 v36, v26
	v_min_u32_e32 v38, 32, v36
	v_subrev_u32_e32 v36, 28, v38
	v_lshlrev_b64 v[36:37], v36, v[22:23]
	v_lshrrev_b32_e32 v35, 3, v23
	v_sub_u32_e32 v37, 29, v38
	v_and_b32_e32 v36, 7, v36
	v_cmp_gt_u32_e32 vcc, 8, v23
	v_cndmask_b32_e32 v23, v35, v37, vcc
	v_cndmask_b32_e32 v26, v26, v36, vcc
	v_lshlrev_b32_e32 v22, 24, v22
	v_bfrev_b32_e32 v35, 60
	v_lshlrev_b32_e32 v26, 20, v26
	v_and_b32_e32 v22, 0x80000000, v22
	v_lshl_add_u32 v23, v23, 23, v35
	v_or3_b32 v26, v22, v23, v26
.LBB407_348:
	s_or_b64 exec, exec, s[20:21]
.LBB407_349:
	s_or_b64 exec, exec, s[10:11]
.LBB407_350:
	s_or_b64 exec, exec, s[2:3]
	v_cvt_pkrtz_f16_f32 v22, v30, v31
	v_cvt_pkrtz_f16_f32 v23, v29, v32
	;; [unrolled: 1-line block ×4, first 2 shown]
	v_mfma_f32_4x4x4f16 a[0:3], v[18:19], v[22:23], a[0:3] cbsz:4 abid:6
	v_cmp_ne_u16_sdwa s[10:11], v24, v28 src0_sel:BYTE_0 src1_sel:DWORD
	v_mfma_f32_4x4x4f16 a[0:3], v[20:21], v[30:31], a[0:3] cbsz:4 abid:6
	s_and_saveexec_b64 s[2:3], s[10:11]
	s_cbranch_execz .LBB407_356
; %bb.351:
	s_movk_i32 s9, 0x80
	v_cmp_ne_u16_sdwa s[20:21], v24, s9 src0_sel:BYTE_0 src1_sel:DWORD
	v_bfrev_b32_e32 v28, 1
	s_and_saveexec_b64 s[10:11], s[20:21]
	s_cbranch_execz .LBB407_355
; %bb.352:
	s_movk_i32 s9, 0x7f
	v_and_b32_e32 v22, 0x7f, v24
	v_cmp_ne_u32_e32 vcc, s9, v22
	v_mov_b32_e32 v28, 0x7f800001
	s_and_saveexec_b64 s[20:21], vcc
	s_cbranch_execz .LBB407_354
; %bb.353:
	v_and_b32_e32 v23, 7, v24
	v_ffbh_u32_e32 v23, v23
	v_min_u32_e32 v23, 32, v23
	v_subrev_u32_e32 v27, 28, v23
	v_cmp_gt_u32_e32 vcc, 8, v22
	v_lshrrev_b32_e32 v26, 3, v22
	v_sub_u32_e32 v23, 29, v23
	v_cndmask_b32_e32 v22, 0, v27, vcc
	v_cndmask_b32_e32 v26, v26, v23, vcc
	v_lshlrev_b64 v[22:23], v22, v[24:25]
	v_lshlrev_b32_e32 v22, 20, v22
	v_lshlrev_b32_e32 v23, 24, v24
	v_bfrev_b32_e32 v27, 60
	v_and_b32_e32 v22, 0x700000, v22
	v_and_b32_e32 v23, 0x80000000, v23
	v_lshl_add_u32 v26, v26, 23, v27
	v_or3_b32 v28, v23, v26, v22
.LBB407_354:
	s_or_b64 exec, exec, s[20:21]
.LBB407_355:
	s_or_b64 exec, exec, s[10:11]
.LBB407_356:
	s_or_b64 exec, exec, s[2:3]
	v_lshrrev_b16_e32 v22, 8, v24
	v_cmp_ne_u16_e32 vcc, 0, v22
	v_mov_b32_e32 v27, 0
	v_mov_b32_e32 v29, 0
	s_and_saveexec_b64 s[2:3], vcc
	s_cbranch_execz .LBB407_362
; %bb.357:
	s_movk_i32 s9, 0x80
	v_cmp_ne_u16_e32 vcc, s9, v22
	v_bfrev_b32_e32 v29, 1
	s_and_saveexec_b64 s[10:11], vcc
	s_cbranch_execz .LBB407_361
; %bb.358:
	s_movk_i32 s9, 0x7f
	v_and_b32_e32 v23, 0x7f, v22
	v_cmp_ne_u32_e32 vcc, s9, v23
	v_mov_b32_e32 v29, 0x7f800001
	s_and_saveexec_b64 s[20:21], vcc
	s_cbranch_execz .LBB407_360
; %bb.359:
	v_and_b32_e32 v26, 7, v22
	v_ffbh_u32_e32 v30, v26
	v_min_u32_e32 v32, 32, v30
	v_subrev_u32_e32 v30, 28, v32
	v_lshlrev_b64 v[30:31], v30, v[22:23]
	v_lshrrev_b32_e32 v29, 3, v23
	v_sub_u32_e32 v22, 29, v32
	v_and_b32_e32 v30, 7, v30
	v_cmp_gt_u32_e32 vcc, 8, v23
	v_cndmask_b32_e32 v22, v29, v22, vcc
	v_cndmask_b32_e32 v23, v26, v30, vcc
	v_lshlrev_b32_e32 v26, 16, v24
	v_bfrev_b32_e32 v29, 60
	v_lshlrev_b32_e32 v23, 20, v23
	v_and_b32_e32 v26, 0x80000000, v26
	v_lshl_add_u32 v22, v22, 23, v29
	v_or3_b32 v29, v26, v22, v23
.LBB407_360:
	s_or_b64 exec, exec, s[20:21]
.LBB407_361:
	s_or_b64 exec, exec, s[10:11]
.LBB407_362:
	s_or_b64 exec, exec, s[2:3]
	s_movk_i32 s2, 0xff
	v_and_b32_sdwa v23, v24, s2 dst_sel:DWORD dst_unused:UNUSED_PAD src0_sel:WORD_1 src1_sel:DWORD
	v_lshrrev_b32_e32 v22, 16, v24
	v_cmp_ne_u16_e32 vcc, 0, v23
	s_and_saveexec_b64 s[2:3], vcc
	s_cbranch_execz .LBB407_368
; %bb.363:
	s_movk_i32 s9, 0x80
	v_cmp_ne_u16_e32 vcc, s9, v23
	v_bfrev_b32_e32 v27, 1
	s_and_saveexec_b64 s[10:11], vcc
	s_cbranch_execz .LBB407_367
; %bb.364:
	v_bfe_u32 v23, v24, 16, 7
	s_movk_i32 s9, 0x7f
	v_cmp_ne_u32_e32 vcc, s9, v23
	v_mov_b32_e32 v27, 0x7f800001
	s_and_saveexec_b64 s[20:21], vcc
	s_cbranch_execz .LBB407_366
; %bb.365:
	v_and_b32_e32 v30, 7, v22
	v_ffbh_u32_e32 v26, v30
	v_min_u32_e32 v32, 32, v26
	v_subrev_u32_e32 v26, 28, v32
	v_lshlrev_b64 v[26:27], v26, v[22:23]
	v_and_b32_e32 v26, 7, v26
	v_cmp_gt_u32_e32 vcc, 8, v23
	v_lshrrev_b32_e32 v31, 3, v23
	v_sub_u32_e32 v22, 29, v32
	v_cndmask_b32_e32 v23, v30, v26, vcc
	v_mov_b32_e32 v26, 24
	v_cndmask_b32_e32 v22, v31, v22, vcc
	v_lshlrev_b32_sdwa v26, v26, v24 dst_sel:DWORD dst_unused:UNUSED_PAD src0_sel:DWORD src1_sel:WORD_1
	v_bfrev_b32_e32 v27, 60
	v_lshlrev_b32_e32 v23, 20, v23
	v_and_b32_e32 v26, 0x80000000, v26
	v_lshl_add_u32 v22, v22, 23, v27
	v_or3_b32 v27, v26, v22, v23
.LBB407_366:
	s_or_b64 exec, exec, s[20:21]
.LBB407_367:
	s_or_b64 exec, exec, s[10:11]
.LBB407_368:
	s_or_b64 exec, exec, s[2:3]
	s_mov_b32 s2, 0xffffff
	v_cmp_lt_u32_e32 vcc, s2, v24
	v_mov_b32_e32 v23, 0
	v_mov_b32_e32 v30, 0
	s_and_saveexec_b64 s[2:3], vcc
	s_cbranch_execz .LBB407_374
; %bb.369:
	v_lshrrev_b32_e32 v22, 24, v24
	s_movk_i32 s9, 0x80
	v_cmp_ne_u32_e32 vcc, s9, v22
	v_bfrev_b32_e32 v30, 1
	s_and_saveexec_b64 s[10:11], vcc
	s_cbranch_execz .LBB407_373
; %bb.370:
	v_bfe_u32 v26, v24, 24, 7
	s_movk_i32 s9, 0x7f
	v_cmp_ne_u32_e32 vcc, s9, v26
	v_mov_b32_e32 v30, 0x7f800001
	s_and_saveexec_b64 s[20:21], vcc
	s_cbranch_execz .LBB407_372
; %bb.371:
	v_and_b32_e32 v32, 7, v22
	v_ffbh_u32_e32 v30, v32
	v_min_u32_e32 v34, 32, v30
	v_subrev_u32_e32 v30, 28, v34
	v_lshlrev_b64 v[30:31], v30, v[22:23]
	v_lshrrev_b32_e32 v33, 3, v26
	v_sub_u32_e32 v31, 29, v34
	v_and_b32_e32 v30, 7, v30
	v_cmp_gt_u32_e32 vcc, 8, v26
	v_cndmask_b32_e32 v26, v33, v31, vcc
	v_cndmask_b32_e32 v30, v32, v30, vcc
	v_lshlrev_b32_e32 v22, 24, v22
	v_bfrev_b32_e32 v31, 60
	v_lshlrev_b32_e32 v30, 20, v30
	v_and_b32_e32 v22, 0x80000000, v22
	v_lshl_add_u32 v26, v26, 23, v31
	v_or3_b32 v30, v22, v26, v30
.LBB407_372:
	s_or_b64 exec, exec, s[20:21]
.LBB407_373:
	s_or_b64 exec, exec, s[10:11]
.LBB407_374:
	s_or_b64 exec, exec, s[2:3]
	v_mov_b32_e32 v22, v25
	v_cmp_ne_u16_sdwa s[10:11], v25, v23 src0_sel:BYTE_0 src1_sel:DWORD
	s_and_saveexec_b64 s[2:3], s[10:11]
	s_cbranch_execz .LBB407_380
; %bb.375:
	s_movk_i32 s9, 0x80
	v_cmp_ne_u16_sdwa s[20:21], v25, s9 src0_sel:BYTE_0 src1_sel:DWORD
	v_bfrev_b32_e32 v26, 1
	s_and_saveexec_b64 s[10:11], s[20:21]
	s_cbranch_execz .LBB407_379
; %bb.376:
	s_movk_i32 s9, 0x7f
	v_and_b32_e32 v31, 0x7f, v25
	v_cmp_ne_u32_e32 vcc, s9, v31
	v_mov_b32_e32 v26, 0x7f800001
	s_and_saveexec_b64 s[20:21], vcc
	s_cbranch_execz .LBB407_378
; %bb.377:
	v_and_b32_e32 v26, 7, v25
	v_ffbh_u32_e32 v26, v26
	v_min_u32_e32 v26, 32, v26
	v_subrev_u32_e32 v33, 28, v26
	v_cmp_gt_u32_e32 vcc, 8, v31
	v_lshrrev_b32_e32 v32, 3, v31
	v_sub_u32_e32 v26, 29, v26
	v_cndmask_b32_e32 v31, 0, v33, vcc
	v_cndmask_b32_e32 v26, v32, v26, vcc
	v_lshlrev_b64 v[32:33], v31, v[22:23]
	v_lshlrev_b32_e32 v23, 20, v32
	v_lshlrev_b32_e32 v31, 24, v22
	v_bfrev_b32_e32 v32, 60
	v_and_b32_e32 v23, 0x700000, v23
	v_and_b32_e32 v31, 0x80000000, v31
	v_lshl_add_u32 v26, v26, 23, v32
	v_or3_b32 v26, v31, v26, v23
.LBB407_378:
	s_or_b64 exec, exec, s[20:21]
.LBB407_379:
	s_or_b64 exec, exec, s[10:11]
	v_mov_b32_e32 v23, v26
.LBB407_380:
	s_or_b64 exec, exec, s[2:3]
	v_lshrrev_b16_e32 v26, 8, v22
	v_cmp_ne_u16_e32 vcc, 0, v26
	v_mov_b32_e32 v31, 0
	v_mov_b32_e32 v32, 0
	s_and_saveexec_b64 s[2:3], vcc
	s_cbranch_execz .LBB407_386
; %bb.381:
	s_movk_i32 s9, 0x80
	v_cmp_ne_u16_e32 vcc, s9, v26
	v_bfrev_b32_e32 v32, 1
	s_and_saveexec_b64 s[10:11], vcc
	s_cbranch_execz .LBB407_385
; %bb.382:
	s_movk_i32 s9, 0x7f
	v_and_b32_e32 v33, 0x7f, v26
	v_cmp_ne_u32_e32 vcc, s9, v33
	v_mov_b32_e32 v32, 0x7f800001
	s_and_saveexec_b64 s[20:21], vcc
	s_cbranch_execz .LBB407_384
; %bb.383:
	v_and_b32_e32 v32, 7, v26
	v_ffbh_u32_e32 v34, v32
	v_min_u32_e32 v37, 32, v34
	v_subrev_u32_e32 v34, 28, v37
	v_lshlrev_b64 v[34:35], v34, v[26:27]
	v_lshrrev_b32_e32 v36, 3, v33
	v_sub_u32_e32 v26, 29, v37
	v_and_b32_e32 v34, 7, v34
	v_cmp_gt_u32_e32 vcc, 8, v33
	v_cndmask_b32_e32 v26, v36, v26, vcc
	v_cndmask_b32_e32 v32, v32, v34, vcc
	v_lshlrev_b32_e32 v22, 16, v22
	v_bfrev_b32_e32 v33, 60
	v_lshlrev_b32_e32 v32, 20, v32
	v_and_b32_e32 v22, 0x80000000, v22
	v_lshl_add_u32 v26, v26, 23, v33
	v_or3_b32 v32, v22, v26, v32
.LBB407_384:
	s_or_b64 exec, exec, s[20:21]
.LBB407_385:
	s_or_b64 exec, exec, s[10:11]
.LBB407_386:
	s_or_b64 exec, exec, s[2:3]
	s_movk_i32 s2, 0xff
	v_and_b32_sdwa v26, v25, s2 dst_sel:DWORD dst_unused:UNUSED_PAD src0_sel:WORD_1 src1_sel:DWORD
	v_lshrrev_b32_e32 v22, 16, v25
	v_cmp_ne_u16_e32 vcc, 0, v26
	s_and_saveexec_b64 s[2:3], vcc
	s_cbranch_execz .LBB407_392
; %bb.387:
	s_movk_i32 s9, 0x80
	v_cmp_ne_u16_e32 vcc, s9, v26
	v_bfrev_b32_e32 v31, 1
	s_and_saveexec_b64 s[10:11], vcc
	s_cbranch_execz .LBB407_391
; %bb.388:
	v_bfe_u32 v26, v25, 16, 7
	s_movk_i32 s9, 0x7f
	v_cmp_ne_u32_e32 vcc, s9, v26
	v_mov_b32_e32 v31, 0x7f800001
	s_and_saveexec_b64 s[20:21], vcc
	s_cbranch_execz .LBB407_390
; %bb.389:
	v_and_b32_e32 v31, 7, v22
	v_ffbh_u32_e32 v34, v31
	v_min_u32_e32 v36, 32, v34
	v_subrev_u32_e32 v34, 28, v36
	v_lshlrev_b64 v[34:35], v34, v[22:23]
	v_and_b32_e32 v34, 7, v34
	v_cmp_gt_u32_e32 vcc, 8, v26
	v_lshrrev_b32_e32 v33, 3, v26
	v_sub_u32_e32 v22, 29, v36
	v_cndmask_b32_e32 v26, v31, v34, vcc
	v_mov_b32_e32 v31, 24
	v_cndmask_b32_e32 v22, v33, v22, vcc
	v_lshlrev_b32_sdwa v31, v31, v25 dst_sel:DWORD dst_unused:UNUSED_PAD src0_sel:DWORD src1_sel:WORD_1
	v_bfrev_b32_e32 v33, 60
	v_lshlrev_b32_e32 v26, 20, v26
	v_and_b32_e32 v31, 0x80000000, v31
	v_lshl_add_u32 v22, v22, 23, v33
	v_or3_b32 v31, v31, v22, v26
.LBB407_390:
	s_or_b64 exec, exec, s[20:21]
.LBB407_391:
	s_or_b64 exec, exec, s[10:11]
.LBB407_392:
	s_or_b64 exec, exec, s[2:3]
	s_mov_b32 s2, -1
	s_mov_b32 s3, 0xffffff
	v_cmp_lt_u64_e32 vcc, s[2:3], v[24:25]
	v_mov_b32_e32 v24, 0
	s_and_saveexec_b64 s[2:3], vcc
	s_cbranch_execz .LBB407_398
; %bb.393:
	v_lshrrev_b32_e32 v22, 24, v25
	s_movk_i32 s9, 0x80
	v_cmp_ne_u32_e32 vcc, s9, v22
	v_bfrev_b32_e32 v24, 1
	s_and_saveexec_b64 s[10:11], vcc
	s_cbranch_execz .LBB407_397
; %bb.394:
	v_bfe_u32 v25, v25, 24, 7
	s_movk_i32 s9, 0x7f
	v_cmp_ne_u32_e32 vcc, s9, v25
	v_mov_b32_e32 v24, 0x7f800001
	s_and_saveexec_b64 s[20:21], vcc
	s_cbranch_execz .LBB407_396
; %bb.395:
	v_and_b32_e32 v24, 7, v22
	v_ffbh_u32_e32 v33, v24
	v_min_u32_e32 v33, 32, v33
	v_subrev_u32_e32 v34, 28, v33
	v_lshlrev_b64 v[34:35], v34, v[22:23]
	v_lshrrev_b32_e32 v26, 3, v25
	v_sub_u32_e32 v33, 29, v33
	v_and_b32_e32 v34, 7, v34
	v_cmp_gt_u32_e32 vcc, 8, v25
	v_cndmask_b32_e32 v25, v26, v33, vcc
	v_cndmask_b32_e32 v24, v24, v34, vcc
	v_lshlrev_b32_e32 v22, 24, v22
	v_bfrev_b32_e32 v26, 60
	v_lshlrev_b32_e32 v24, 20, v24
	v_and_b32_e32 v22, 0x80000000, v22
	v_lshl_add_u32 v25, v25, 23, v26
	v_or3_b32 v24, v22, v25, v24
.LBB407_396:
	s_or_b64 exec, exec, s[20:21]
.LBB407_397:
	s_or_b64 exec, exec, s[10:11]
.LBB407_398:
	s_or_b64 exec, exec, s[2:3]
	s_load_dword s2, s[4:5], 0x1c
	v_cvt_pkrtz_f16_f32 v26, v28, v29
	v_cvt_pkrtz_f16_f32 v27, v27, v30
	s_load_dword s3, s[12:13], 0x0
	v_cvt_pkrtz_f16_f32 v22, v23, v32
	v_mfma_f32_4x4x4f16 a[0:3], v[18:19], v[26:27], a[0:3] cbsz:4 abid:7
	v_cvt_pkrtz_f16_f32 v23, v31, v24
	s_waitcnt lgkmcnt(0)
	v_mov_b32_e32 v18, s2
	v_cmp_eq_u32_e32 vcc, 0, v43
	v_mfma_f32_4x4x4f16 a[0:3], v[20:21], v[22:23], a[0:3] cbsz:4 abid:7
	v_mul_f32_e32 v20, s3, v18
	s_nop 3
	v_accvgpr_read_b32 v23, a1
	v_accvgpr_read_b32 v22, a0
	v_pk_mul_f32 v[22:23], v[22:23], v[20:21] op_sel_hi:[1,0]
	v_accvgpr_read_b32 v19, a3
	v_accvgpr_read_b32 v18, a2
	v_pk_mul_f32 v[18:19], v[18:19], v[20:21] op_sel_hi:[1,0]
	v_cndmask_b32_e64 v20, 0, 1.0, vcc
	v_cmp_eq_u32_e32 vcc, 1, v43
	s_nop 0
	v_mfma_f32_4x4x1f32 a[0:3], v22, v20, 0
	v_cndmask_b32_e64 v20, 0, 1.0, vcc
	v_cmp_eq_u32_e32 vcc, 2, v43
	v_mov_b32_e32 v22, 0xff7fffff
	v_mfma_f32_4x4x1f32 a[0:3], v23, v20, a[0:3]
	v_cndmask_b32_e64 v20, 0, 1.0, vcc
	v_cmp_eq_u32_e32 vcc, 3, v43
	s_nop 0
	v_mfma_f32_4x4x1f32 a[0:3], v18, v20, a[0:3]
	v_cndmask_b32_e64 v18, 0, 1.0, vcc
	s_nop 1
	v_mfma_f32_4x4x1f32 a[0:3], v19, v18, a[0:3]
	v_and_b32_e32 v18, -4, v44
	v_cmp_gt_i32_e32 vcc, s7, v18
	v_lshlrev_b32_e32 v19, 2, v0
	v_and_or_b32 v19, v19, 48, v43
	s_nop 0
	v_accvgpr_read_b32 v20, a0
	v_max_f32_e32 v21, v20, v20
	v_max_f32_e32 v21, 0xff7fffff, v21
	v_accvgpr_read_b32 v23, a1
	v_cndmask_b32_e32 v21, v22, v21, vcc
	v_or_b32_e32 v22, 1, v18
	v_max_f32_e32 v24, v23, v23
	v_max_f32_e32 v24, v21, v24
	v_cmp_gt_i32_e64 s[2:3], s7, v22
	v_accvgpr_read_b32 v22, a2
	v_cndmask_b32_e64 v21, v21, v24, s[2:3]
	v_or_b32_e32 v18, 2, v18
	v_max_f32_e32 v24, v22, v22
	v_max_f32_e32 v24, v21, v24
	v_cmp_gt_i32_e64 s[4:5], s7, v18
	v_cndmask_b32_e64 v18, v21, v24, s[4:5]
	v_accvgpr_read_b32 v24, a3
	v_or_b32_e32 v21, 3, v44
	v_max_f32_e32 v25, v24, v24
	v_max_f32_e32 v25, v18, v25
	v_cmp_gt_i32_e64 s[10:11], s7, v21
	v_cndmask_b32_e64 v18, v18, v25, s[10:11]
	;;#ASMSTART
	v_nop
 v_nop
 v_max_f32_dpp v18, v18, v18 row_ror:4
	;;#ASMEND
	v_lshlrev_b32_e32 v25, 2, v19
	;;#ASMSTART
	v_nop
 v_nop
 v_max_f32_dpp v18, v18, v18 row_ror:8
	;;#ASMEND
	ds_bpermute_b32 v18, v25, v18
	s_waitcnt lgkmcnt(0)
	;;#ASMSTART
	v_nop
 v_nop
 v_max_f32_dpp v18, v18, v18 row_ror:4
	;;#ASMEND
	;;#ASMSTART
	v_nop
 v_nop
 v_max_f32_dpp v26, v18, v18 row_ror:8
	;;#ASMEND
	v_sub_f32_e32 v18, v20, v26
	v_mul_f32_e32 v18, 0x3fb8aa3b, v18
	v_sub_f32_e32 v19, v23, v26
	v_exp_f32_e32 v18, v18
	v_mul_f32_e32 v19, 0x3fb8aa3b, v19
	v_sub_f32_e32 v21, v22, v26
	v_exp_f32_e32 v19, v19
	;; [unrolled: 3-line block ×3, first 2 shown]
	v_mul_f32_e32 v22, 0x3fb8aa3b, v22
	v_exp_f32_e32 v22, v22
	v_cndmask_b32_e32 v18, 0, v18, vcc
	v_add_f32_e32 v20, 0, v18
	v_cndmask_b32_e64 v19, 0, v19, s[2:3]
	v_add_f32_e32 v23, v20, v19
	v_cndmask_b32_e64 v20, 0, v21, s[4:5]
	;; [unrolled: 2-line block ×3, first 2 shown]
	v_add_f32_e32 v22, v23, v21
	;;#ASMSTART
	v_nop
 v_nop
 v_add_f32_dpp v22, v22, v22 row_ror:4
	;;#ASMEND
	;;#ASMSTART
	v_nop
 v_nop
 v_add_f32_dpp v22, v22, v22 row_ror:8
	;;#ASMEND
	ds_bpermute_b32 v22, v25, v22
	s_waitcnt lgkmcnt(0)
	;;#ASMSTART
	v_nop
 v_nop
 v_add_f32_dpp v22, v22, v22 row_ror:4
	;;#ASMEND
	v_cmp_gt_u32_e32 vcc, 4, v1
	;;#ASMSTART
	v_nop
 v_nop
 v_add_f32_dpp v22, v22, v22 row_ror:8
	;;#ASMEND
	s_and_saveexec_b64 s[2:3], vcc
	s_cbranch_execz .LBB407_400
; %bb.399:
	v_mul_u32_u24_e32 v23, 20, v42
	v_lshl_add_u32 v23, v43, 2, v23
	v_add_u32_e32 v23, 0x800, v23
	ds_write2_b32 v23, v26, v22 offset0:128 offset1:148
.LBB407_400:
	s_or_b64 exec, exec, s[2:3]
.LBB407_401:
	s_or_b64 exec, exec, s[36:37]
	s_waitcnt lgkmcnt(0)
	s_barrier
	s_load_dword s2, s[34:35], 0x8
	v_lshlrev_b32_e32 v22, 2, v43
	v_add_u32_e32 v30, 0x800, v22
	ds_read2_b32 v[22:23], v30 offset0:128 offset1:133
	ds_read2_b32 v[24:25], v30 offset0:138 offset1:143
	s_mul_i32 s3, s6, s33
	s_waitcnt lgkmcnt(0)
	s_mul_i32 s3, s3, s2
	s_lshl_b32 s2, s3, 1
	s_mov_b32 s3, 0xff7fffff
	v_max3_f32 v27, v22, s3, v23
	v_max3_f32 v27, v27, v24, v25
	v_sub_f32_e32 v22, v22, v27
	v_mul_f32_e32 v22, 0x3fb8aa3b, v22
	ds_read2_b32 v[28:29], v30 offset0:148 offset1:153
	v_exp_f32_e32 v31, v22
	v_sub_f32_e32 v22, v23, v27
	v_mul_f32_e32 v22, 0x3fb8aa3b, v22
	v_sub_f32_e32 v24, v24, v27
	v_exp_f32_e32 v32, v22
	ds_read2_b32 v[22:23], v30 offset0:158 offset1:163
	v_mul_f32_e32 v24, 0x3fb8aa3b, v24
	v_sub_f32_e32 v25, v25, v27
	v_exp_f32_e32 v24, v24
	v_mul_f32_e32 v25, 0x3fb8aa3b, v25
	v_exp_f32_e32 v25, v25
	s_waitcnt lgkmcnt(1)
	v_fma_f32 v28, v31, v28, 0
	v_fmac_f32_e32 v28, v32, v29
	s_waitcnt lgkmcnt(0)
	v_fmac_f32_e32 v28, v24, v22
	s_lshl_b32 s10, s8, 1
	v_fmac_f32_e32 v28, v25, v23
	v_cmp_gt_u32_e32 vcc, 2, v43
	s_and_saveexec_b64 s[4:5], vcc
	s_cbranch_execz .LBB407_403
; %bb.402:
	s_mov_b32 s3, 0
	s_lshl_b64 s[6:7], s[2:3], 2
	s_add_u32 s11, s16, s6
	s_mov_b32 s29, s3
	s_addc_u32 s12, s17, s7
	s_lshl_b64 s[8:9], s[28:29], 2
	s_add_u32 s3, s11, s8
	s_addc_u32 s11, s12, s9
	v_or_b32_e32 v22, s10, v43
	s_add_u32 s6, s18, s6
	v_mul_lo_u32 v22, s33, v22
	v_mov_b32_e32 v23, 0
	s_addc_u32 s7, s19, s7
	v_lshlrev_b64 v[22:23], 2, v[22:23]
	s_add_u32 s6, s6, s8
	v_mov_b32_e32 v25, s11
	v_add_co_u32_e32 v24, vcc, s3, v22
	s_addc_u32 s7, s7, s9
	v_addc_co_u32_e32 v25, vcc, v25, v23, vcc
	v_mov_b32_e32 v29, s7
	v_add_co_u32_e32 v22, vcc, s6, v22
	v_addc_co_u32_e32 v23, vcc, v29, v23, vcc
	global_store_dword v[22:23], v27, off
	global_store_dword v[24:25], v28, off
.LBB407_403:
	s_or_b64 exec, exec, s[4:5]
	v_lshlrev_b32_e32 v25, 3, v42
	s_and_saveexec_b64 s[4:5], s[0:1]
	s_xor_b64 s[0:1], exec, s[4:5]
	s_cbranch_execz .LBB407_405
; %bb.404:
	s_waitcnt vmcnt(0)
	v_mov_b32_e32 v2, 0
	v_mad_u32_u24 v4, v1, 40, v25
	v_mov_b32_e32 v3, v2
	ds_write_b64 v4, v[2:3]
                                        ; implicit-def: $vgpr21
                                        ; implicit-def: $vgpr19
                                        ; implicit-def: $vgpr26
                                        ; implicit-def: $vgpr14_vgpr15
                                        ; implicit-def: $vgpr10_vgpr11
                                        ; implicit-def: $vgpr6_vgpr7
                                        ; implicit-def: $vgpr2_vgpr3
                                        ; implicit-def: $vgpr27
                                        ; implicit-def: $vgpr28
                                        ; implicit-def: $vgpr25
.LBB407_405:
	s_andn2_saveexec_b64 s[0:1], s[0:1]
	s_cbranch_execz .LBB407_791
; %bb.406:
	v_mov_b32_e32 v29, 0
	s_waitcnt vmcnt(3)
	v_cmp_ne_u16_sdwa s[6:7], v14, v29 src0_sel:BYTE_0 src1_sel:DWORD
	v_mov_b32_e32 v30, 0
	s_and_saveexec_b64 s[4:5], s[6:7]
	s_cbranch_execz .LBB407_412
; %bb.407:
	s_movk_i32 s3, 0x80
	v_cmp_ne_u16_sdwa s[8:9], v14, s3 src0_sel:BYTE_0 src1_sel:DWORD
	v_bfrev_b32_e32 v30, 1
	s_and_saveexec_b64 s[6:7], s[8:9]
	s_cbranch_execz .LBB407_411
; %bb.408:
	s_movk_i32 s3, 0x7f
	v_and_b32_e32 v22, 0x7f, v14
	v_cmp_ne_u32_e32 vcc, s3, v22
	v_mov_b32_e32 v30, 0x7f800001
	s_and_saveexec_b64 s[8:9], vcc
	s_cbranch_execz .LBB407_410
; %bb.409:
	v_and_b32_e32 v23, 7, v14
	v_ffbh_u32_e32 v23, v23
	v_min_u32_e32 v23, 32, v23
	v_subrev_u32_e32 v30, 28, v23
	v_cmp_gt_u32_e32 vcc, 8, v22
	v_lshrrev_b32_e32 v24, 3, v22
	v_sub_u32_e32 v23, 29, v23
	v_cndmask_b32_e32 v22, 0, v30, vcc
	v_cndmask_b32_e32 v24, v24, v23, vcc
	v_lshlrev_b64 v[22:23], v22, v[14:15]
	v_lshlrev_b32_e32 v22, 20, v22
	v_lshlrev_b32_e32 v23, 24, v14
	v_bfrev_b32_e32 v30, 60
	v_and_b32_e32 v22, 0x700000, v22
	v_and_b32_e32 v23, 0x80000000, v23
	v_lshl_add_u32 v24, v24, 23, v30
	v_or3_b32 v30, v23, v24, v22
.LBB407_410:
	s_or_b64 exec, exec, s[8:9]
.LBB407_411:
	s_or_b64 exec, exec, s[6:7]
.LBB407_412:
	s_or_b64 exec, exec, s[4:5]
	v_lshrrev_b16_e32 v22, 8, v14
	v_cmp_ne_u16_e32 vcc, 0, v22
	s_and_saveexec_b64 s[4:5], vcc
	s_cbranch_execz .LBB407_418
; %bb.413:
	s_movk_i32 s3, 0x80
	v_cmp_ne_u16_e32 vcc, s3, v22
	v_bfrev_b32_e32 v29, 1
	s_and_saveexec_b64 s[6:7], vcc
	s_cbranch_execz .LBB407_417
; %bb.414:
	s_movk_i32 s3, 0x7f
	v_and_b32_e32 v23, 0x7f, v22
	v_cmp_ne_u32_e32 vcc, s3, v23
	v_mov_b32_e32 v29, 0x7f800001
	s_and_saveexec_b64 s[8:9], vcc
	s_cbranch_execz .LBB407_416
; %bb.415:
	v_and_b32_e32 v24, 7, v22
	v_ffbh_u32_e32 v31, v24
	v_min_u32_e32 v31, 32, v31
	v_subrev_u32_e32 v32, 28, v31
	v_lshlrev_b64 v[32:33], v32, v[22:23]
	v_lshrrev_b32_e32 v29, 3, v23
	v_sub_u32_e32 v22, 29, v31
	v_and_b32_e32 v31, 7, v32
	v_cmp_gt_u32_e32 vcc, 8, v23
	v_cndmask_b32_e32 v22, v29, v22, vcc
	v_cndmask_b32_e32 v23, v24, v31, vcc
	v_lshlrev_b32_e32 v24, 16, v14
	v_bfrev_b32_e32 v29, 60
	v_lshlrev_b32_e32 v23, 20, v23
	v_and_b32_e32 v24, 0x80000000, v24
	v_lshl_add_u32 v22, v22, 23, v29
	v_or3_b32 v29, v24, v22, v23
.LBB407_416:
	s_or_b64 exec, exec, s[8:9]
.LBB407_417:
	s_or_b64 exec, exec, s[6:7]
.LBB407_418:
	s_or_b64 exec, exec, s[4:5]
	s_movk_i32 s3, 0xff
	v_and_b32_sdwa v23, v14, s3 dst_sel:DWORD dst_unused:UNUSED_PAD src0_sel:WORD_1 src1_sel:DWORD
	v_lshrrev_b32_e32 v22, 16, v14
	v_cmp_ne_u16_e32 vcc, 0, v23
	v_mov_b32_e32 v31, 0
	v_mov_b32_e32 v32, 0
	s_and_saveexec_b64 s[4:5], vcc
	s_cbranch_execz .LBB407_424
; %bb.419:
	s_movk_i32 s3, 0x80
	v_cmp_ne_u16_e32 vcc, s3, v23
	v_bfrev_b32_e32 v32, 1
	s_and_saveexec_b64 s[6:7], vcc
	s_cbranch_execz .LBB407_423
; %bb.420:
	v_bfe_u32 v23, v14, 16, 7
	s_movk_i32 s3, 0x7f
	v_cmp_ne_u32_e32 vcc, s3, v23
	v_mov_b32_e32 v32, 0x7f800001
	s_and_saveexec_b64 s[8:9], vcc
	s_cbranch_execz .LBB407_422
; %bb.421:
	v_and_b32_e32 v24, 7, v22
	v_ffbh_u32_e32 v32, v24
	v_min_u32_e32 v35, 32, v32
	v_subrev_u32_e32 v32, 28, v35
	v_lshlrev_b64 v[32:33], v32, v[22:23]
	v_and_b32_e32 v32, 7, v32
	v_cmp_gt_u32_e32 vcc, 8, v23
	v_lshrrev_b32_e32 v34, 3, v23
	v_sub_u32_e32 v22, 29, v35
	v_cndmask_b32_e32 v23, v24, v32, vcc
	v_mov_b32_e32 v24, 24
	v_cndmask_b32_e32 v22, v34, v22, vcc
	v_lshlrev_b32_sdwa v24, v24, v14 dst_sel:DWORD dst_unused:UNUSED_PAD src0_sel:DWORD src1_sel:WORD_1
	v_bfrev_b32_e32 v32, 60
	v_lshlrev_b32_e32 v23, 20, v23
	v_and_b32_e32 v24, 0x80000000, v24
	v_lshl_add_u32 v22, v22, 23, v32
	v_or3_b32 v32, v24, v22, v23
.LBB407_422:
	s_or_b64 exec, exec, s[8:9]
.LBB407_423:
	s_or_b64 exec, exec, s[6:7]
.LBB407_424:
	s_or_b64 exec, exec, s[4:5]
	s_mov_b32 s3, 0xffffff
	v_cmp_lt_u32_e32 vcc, s3, v14
	s_and_saveexec_b64 s[4:5], vcc
	s_cbranch_execz .LBB407_430
; %bb.425:
	v_lshrrev_b32_e32 v22, 24, v14
	s_movk_i32 s3, 0x80
	v_cmp_ne_u32_e32 vcc, s3, v22
	v_bfrev_b32_e32 v31, 1
	s_and_saveexec_b64 s[6:7], vcc
	s_cbranch_execz .LBB407_429
; %bb.426:
	v_bfe_u32 v23, v14, 24, 7
	s_movk_i32 s3, 0x7f
	v_cmp_ne_u32_e32 vcc, s3, v23
	v_mov_b32_e32 v31, 0x7f800001
	s_and_saveexec_b64 s[8:9], vcc
	s_cbranch_execz .LBB407_428
; %bb.427:
	v_and_b32_e32 v24, 7, v22
	v_ffbh_u32_e32 v33, v24
	v_min_u32_e32 v33, 32, v33
	v_subrev_u32_e32 v34, 28, v33
	v_lshlrev_b64 v[34:35], v34, v[22:23]
	v_lshrrev_b32_e32 v31, 3, v23
	v_sub_u32_e32 v33, 29, v33
	v_and_b32_e32 v34, 7, v34
	v_cmp_gt_u32_e32 vcc, 8, v23
	v_cndmask_b32_e32 v23, v31, v33, vcc
	v_cndmask_b32_e32 v24, v24, v34, vcc
	v_lshlrev_b32_e32 v22, 24, v22
	v_bfrev_b32_e32 v31, 60
	v_lshlrev_b32_e32 v24, 20, v24
	v_and_b32_e32 v22, 0x80000000, v22
	v_lshl_add_u32 v23, v23, 23, v31
	v_or3_b32 v31, v22, v23, v24
.LBB407_428:
	s_or_b64 exec, exec, s[8:9]
.LBB407_429:
	s_or_b64 exec, exec, s[6:7]
.LBB407_430:
	s_or_b64 exec, exec, s[4:5]
	v_mov_b32_e32 v23, 0
	v_mov_b32_e32 v22, v15
	v_cmp_ne_u16_sdwa s[6:7], v15, v23 src0_sel:BYTE_0 src1_sel:DWORD
	v_mov_b32_e32 v33, v23
	s_and_saveexec_b64 s[4:5], s[6:7]
	s_cbranch_execz .LBB407_436
; %bb.431:
	s_movk_i32 s3, 0x80
	v_cmp_ne_u16_sdwa s[8:9], v15, s3 src0_sel:BYTE_0 src1_sel:DWORD
	v_bfrev_b32_e32 v33, 1
	s_and_saveexec_b64 s[6:7], s[8:9]
	s_cbranch_execz .LBB407_435
; %bb.432:
	s_movk_i32 s3, 0x7f
	v_and_b32_e32 v24, 0x7f, v15
	v_cmp_ne_u32_e32 vcc, s3, v24
	v_mov_b32_e32 v33, 0x7f800001
	s_and_saveexec_b64 s[8:9], vcc
	s_cbranch_execz .LBB407_434
; %bb.433:
	v_and_b32_e32 v33, 7, v15
	v_ffbh_u32_e32 v33, v33
	v_min_u32_e32 v33, 32, v33
	v_lshrrev_b32_e32 v34, 3, v24
	v_subrev_u32_e32 v35, 28, v33
	v_sub_u32_e32 v33, 29, v33
	v_cmp_gt_u32_e32 vcc, 8, v24
	v_cndmask_b32_e32 v24, v34, v33, vcc
	v_cndmask_b32_e32 v33, 0, v35, vcc
	v_lshlrev_b64 v[34:35], v33, v[22:23]
	v_lshlrev_b32_e32 v33, 20, v34
	v_lshlrev_b32_e32 v34, 24, v22
	v_bfrev_b32_e32 v35, 60
	v_and_b32_e32 v33, 0x700000, v33
	v_and_b32_e32 v34, 0x80000000, v34
	v_lshl_add_u32 v24, v24, 23, v35
	v_or3_b32 v33, v34, v24, v33
.LBB407_434:
	s_or_b64 exec, exec, s[8:9]
.LBB407_435:
	s_or_b64 exec, exec, s[6:7]
.LBB407_436:
	s_or_b64 exec, exec, s[4:5]
	v_lshrrev_b16_e32 v24, 8, v22
	v_cmp_ne_u16_e32 vcc, 0, v24
	s_and_saveexec_b64 s[4:5], vcc
	s_cbranch_execz .LBB407_442
; %bb.437:
	s_movk_i32 s3, 0x80
	v_cmp_ne_u16_e32 vcc, s3, v24
	v_bfrev_b32_e32 v23, 1
	s_and_saveexec_b64 s[6:7], vcc
	s_cbranch_execz .LBB407_441
; %bb.438:
	s_movk_i32 s3, 0x7f
	v_and_b32_e32 v34, 0x7f, v24
	v_cmp_ne_u32_e32 vcc, s3, v34
	v_mov_b32_e32 v23, 0x7f800001
	s_and_saveexec_b64 s[8:9], vcc
	s_cbranch_execz .LBB407_440
; %bb.439:
	v_and_b32_e32 v23, 7, v24
	v_ffbh_u32_e32 v36, v23
	v_min_u32_e32 v38, 32, v36
	v_subrev_u32_e32 v36, 28, v38
	v_lshlrev_b64 v[36:37], v36, v[24:25]
	v_lshrrev_b32_e32 v35, 3, v34
	v_sub_u32_e32 v24, 29, v38
	v_and_b32_e32 v36, 7, v36
	v_cmp_gt_u32_e32 vcc, 8, v34
	v_cndmask_b32_e32 v24, v35, v24, vcc
	v_cndmask_b32_e32 v23, v23, v36, vcc
	v_lshlrev_b32_e32 v22, 16, v22
	v_bfrev_b32_e32 v34, 60
	v_lshlrev_b32_e32 v23, 20, v23
	v_and_b32_e32 v22, 0x80000000, v22
	v_lshl_add_u32 v24, v24, 23, v34
	v_or3_b32 v23, v22, v24, v23
.LBB407_440:
	s_or_b64 exec, exec, s[8:9]
.LBB407_441:
	s_or_b64 exec, exec, s[6:7]
.LBB407_442:
	s_or_b64 exec, exec, s[4:5]
	s_movk_i32 s3, 0xff
	v_and_b32_sdwa v35, v15, s3 dst_sel:DWORD dst_unused:UNUSED_PAD src0_sel:WORD_1 src1_sel:DWORD
	v_lshrrev_b32_e32 v22, 16, v15
	v_cmp_ne_u16_e32 vcc, 0, v35
	v_mov_b32_e32 v24, 0
	v_mov_b32_e32 v34, 0
	s_and_saveexec_b64 s[4:5], vcc
	s_cbranch_execz .LBB407_448
; %bb.443:
	s_movk_i32 s3, 0x80
	v_cmp_ne_u16_e32 vcc, s3, v35
	v_bfrev_b32_e32 v34, 1
	s_and_saveexec_b64 s[6:7], vcc
	s_cbranch_execz .LBB407_447
; %bb.444:
	v_bfe_u32 v35, v15, 16, 7
	s_movk_i32 s3, 0x7f
	v_cmp_ne_u32_e32 vcc, s3, v35
	v_mov_b32_e32 v34, 0x7f800001
	s_and_saveexec_b64 s[8:9], vcc
	s_cbranch_execz .LBB407_446
; %bb.445:
	v_and_b32_e32 v34, 7, v22
	v_ffbh_u32_e32 v36, v34
	v_min_u32_e32 v39, 32, v36
	v_subrev_u32_e32 v36, 28, v39
	v_lshlrev_b64 v[36:37], v36, v[22:23]
	v_lshrrev_b32_e32 v38, 3, v35
	v_sub_u32_e32 v22, 29, v39
	v_and_b32_e32 v36, 7, v36
	v_cmp_gt_u32_e32 vcc, 8, v35
	v_mov_b32_e32 v35, 24
	v_cndmask_b32_e32 v22, v38, v22, vcc
	v_cndmask_b32_e32 v34, v34, v36, vcc
	v_lshlrev_b32_sdwa v35, v35, v15 dst_sel:DWORD dst_unused:UNUSED_PAD src0_sel:DWORD src1_sel:WORD_1
	v_bfrev_b32_e32 v36, 60
	v_lshlrev_b32_e32 v34, 20, v34
	v_and_b32_e32 v35, 0x80000000, v35
	v_lshl_add_u32 v22, v22, 23, v36
	v_or3_b32 v34, v35, v22, v34
.LBB407_446:
	s_or_b64 exec, exec, s[8:9]
.LBB407_447:
	s_or_b64 exec, exec, s[6:7]
.LBB407_448:
	s_or_b64 exec, exec, s[4:5]
	s_mov_b32 s4, -1
	s_mov_b32 s5, 0xffffff
	v_cmp_lt_u64_e32 vcc, s[4:5], v[14:15]
	s_and_saveexec_b64 s[4:5], vcc
	s_cbranch_execz .LBB407_454
; %bb.449:
	v_lshrrev_b32_e32 v14, 24, v15
	s_movk_i32 s3, 0x80
	v_cmp_ne_u32_e32 vcc, s3, v14
	v_bfrev_b32_e32 v24, 1
	s_and_saveexec_b64 s[6:7], vcc
	s_cbranch_execz .LBB407_453
; %bb.450:
	v_bfe_u32 v15, v15, 24, 7
	s_movk_i32 s3, 0x7f
	v_cmp_ne_u32_e32 vcc, s3, v15
	v_mov_b32_e32 v24, 0x7f800001
	s_and_saveexec_b64 s[8:9], vcc
	s_cbranch_execz .LBB407_452
; %bb.451:
	v_and_b32_e32 v22, 7, v14
	v_ffbh_u32_e32 v35, v22
	v_min_u32_e32 v35, 32, v35
	v_subrev_u32_e32 v36, 28, v35
	v_lshlrev_b64 v[36:37], v36, v[14:15]
	v_lshrrev_b32_e32 v24, 3, v15
	v_sub_u32_e32 v35, 29, v35
	v_and_b32_e32 v36, 7, v36
	v_cmp_gt_u32_e32 vcc, 8, v15
	v_cndmask_b32_e32 v15, v24, v35, vcc
	v_cndmask_b32_e32 v22, v22, v36, vcc
	v_lshlrev_b32_e32 v14, 24, v14
	v_bfrev_b32_e32 v24, 60
	v_lshlrev_b32_e32 v22, 20, v22
	v_and_b32_e32 v14, 0x80000000, v14
	v_lshl_add_u32 v15, v15, 23, v24
	v_or3_b32 v24, v14, v15, v22
.LBB407_452:
	s_or_b64 exec, exec, s[8:9]
.LBB407_453:
	s_or_b64 exec, exec, s[6:7]
.LBB407_454:
	s_or_b64 exec, exec, s[4:5]
	v_add_f32_e32 v14, 0x358637bd, v28
	v_div_scale_f32 v15, s[4:5], v14, v14, 1.0
	v_rcp_f32_e32 v22, v15
	v_div_scale_f32 v28, vcc, 1.0, v14, 1.0
	v_sub_f32_e32 v26, v26, v27
	v_fma_f32 v35, -v15, v22, 1.0
	v_fmac_f32_e32 v22, v35, v22
	v_mul_f32_e32 v35, v28, v22
	v_fma_f32 v36, -v15, v35, v28
	v_mul_f32_e32 v26, 0x3fb8aa3b, v26
	v_fmac_f32_e32 v35, v36, v22
	v_exp_f32_e32 v26, v26
	v_fma_f32 v15, -v15, v35, v28
	v_div_fmas_f32 v15, v15, v22, v35
	v_div_fixup_f32 v14, v15, v14, 1.0
	v_mul_f32_e32 v14, v26, v14
	v_pk_mul_f32 v[20:21], v[20:21], v[14:15] op_sel_hi:[1,0]
	v_pk_mul_f32 v[14:15], v[18:19], v[14:15] op_sel_hi:[1,0]
	v_cvt_f16_f32_e32 v14, v14
	v_cvt_f16_f32_e32 v15, v15
	;; [unrolled: 1-line block ×4, first 2 shown]
	v_cvt_pkrtz_f16_f32 v22, v33, v23
	v_pack_b32_f16 v14, v14, v15
	v_cvt_pkrtz_f16_f32 v23, v34, v24
	v_pack_b32_f16 v15, v18, v19
	v_cvt_pkrtz_f16_f32 v18, v30, v29
	v_cvt_pkrtz_f16_f32 v19, v32, v31
	v_mov_b32_e32 v21, 0
	s_nop 0
	v_mfma_f32_4x4x4f16 a[0:3], v[14:15], v[18:19], 0 cbsz:4
	v_mfma_f32_4x4x4f16 a[0:3], v[14:15], v[22:23], a[0:3] cbsz:4 abid:1
	v_mov_b32_e32 v22, 0
	v_cmp_ne_u16_sdwa s[6:7], v16, v22 src0_sel:BYTE_0 src1_sel:DWORD
	s_and_saveexec_b64 s[4:5], s[6:7]
	s_cbranch_execz .LBB407_460
; %bb.455:
	s_movk_i32 s3, 0x80
	v_cmp_ne_u16_sdwa s[8:9], v16, s3 src0_sel:BYTE_0 src1_sel:DWORD
	v_bfrev_b32_e32 v21, 1
	s_and_saveexec_b64 s[6:7], s[8:9]
	s_cbranch_execz .LBB407_459
; %bb.456:
	s_movk_i32 s3, 0x7f
	v_and_b32_e32 v18, 0x7f, v16
	v_cmp_ne_u32_e32 vcc, s3, v18
	v_mov_b32_e32 v21, 0x7f800001
	s_and_saveexec_b64 s[8:9], vcc
	s_cbranch_execz .LBB407_458
; %bb.457:
	v_and_b32_e32 v19, 7, v16
	v_ffbh_u32_e32 v19, v19
	v_min_u32_e32 v19, 32, v19
	v_subrev_u32_e32 v21, 28, v19
	v_cmp_gt_u32_e32 vcc, 8, v18
	v_lshrrev_b32_e32 v20, 3, v18
	v_sub_u32_e32 v19, 29, v19
	v_cndmask_b32_e32 v18, 0, v21, vcc
	v_cndmask_b32_e32 v20, v20, v19, vcc
	v_lshlrev_b64 v[18:19], v18, v[16:17]
	v_lshlrev_b32_e32 v18, 20, v18
	v_lshlrev_b32_e32 v19, 24, v16
	v_bfrev_b32_e32 v21, 60
	v_and_b32_e32 v18, 0x700000, v18
	v_and_b32_e32 v19, 0x80000000, v19
	v_lshl_add_u32 v20, v20, 23, v21
	v_or3_b32 v21, v19, v20, v18
.LBB407_458:
	s_or_b64 exec, exec, s[8:9]
.LBB407_459:
	s_or_b64 exec, exec, s[6:7]
.LBB407_460:
	s_or_b64 exec, exec, s[4:5]
	v_lshrrev_b16_e32 v18, 8, v16
	v_cmp_ne_u16_e32 vcc, 0, v18
	v_mov_b32_e32 v23, 0
	s_and_saveexec_b64 s[4:5], vcc
	s_cbranch_execz .LBB407_466
; %bb.461:
	s_movk_i32 s3, 0x80
	v_cmp_ne_u16_e32 vcc, s3, v18
	v_bfrev_b32_e32 v23, 1
	s_and_saveexec_b64 s[6:7], vcc
	s_cbranch_execz .LBB407_465
; %bb.462:
	s_movk_i32 s3, 0x7f
	v_and_b32_e32 v19, 0x7f, v18
	v_cmp_ne_u32_e32 vcc, s3, v19
	v_mov_b32_e32 v23, 0x7f800001
	s_and_saveexec_b64 s[8:9], vcc
	s_cbranch_execz .LBB407_464
; %bb.463:
	v_and_b32_e32 v20, 7, v18
	v_ffbh_u32_e32 v24, v20
	v_min_u32_e32 v24, 32, v24
	v_subrev_u32_e32 v26, 28, v24
	v_lshlrev_b64 v[26:27], v26, v[18:19]
	v_lshrrev_b32_e32 v23, 3, v19
	v_sub_u32_e32 v18, 29, v24
	v_and_b32_e32 v24, 7, v26
	v_cmp_gt_u32_e32 vcc, 8, v19
	v_cndmask_b32_e32 v18, v23, v18, vcc
	v_cndmask_b32_e32 v19, v20, v24, vcc
	v_lshlrev_b32_e32 v20, 16, v16
	v_bfrev_b32_e32 v23, 60
	v_lshlrev_b32_e32 v19, 20, v19
	v_and_b32_e32 v20, 0x80000000, v20
	v_lshl_add_u32 v18, v18, 23, v23
	v_or3_b32 v23, v20, v18, v19
.LBB407_464:
	s_or_b64 exec, exec, s[8:9]
.LBB407_465:
	s_or_b64 exec, exec, s[6:7]
.LBB407_466:
	s_or_b64 exec, exec, s[4:5]
	s_movk_i32 s3, 0xff
	v_and_b32_sdwa v19, v16, s3 dst_sel:DWORD dst_unused:UNUSED_PAD src0_sel:WORD_1 src1_sel:DWORD
	v_lshrrev_b32_e32 v18, 16, v16
	v_cmp_ne_u16_e32 vcc, 0, v19
	s_and_saveexec_b64 s[4:5], vcc
	s_cbranch_execz .LBB407_472
; %bb.467:
	s_movk_i32 s3, 0x80
	v_cmp_ne_u16_e32 vcc, s3, v19
	v_bfrev_b32_e32 v22, 1
	s_and_saveexec_b64 s[6:7], vcc
	s_cbranch_execz .LBB407_471
; %bb.468:
	v_bfe_u32 v19, v16, 16, 7
	s_movk_i32 s3, 0x7f
	v_cmp_ne_u32_e32 vcc, s3, v19
	v_mov_b32_e32 v22, 0x7f800001
	s_and_saveexec_b64 s[8:9], vcc
	s_cbranch_execz .LBB407_470
; %bb.469:
	v_and_b32_e32 v20, 7, v18
	v_ffbh_u32_e32 v24, v20
	v_min_u32_e32 v24, 32, v24
	v_subrev_u32_e32 v26, 28, v24
	v_lshlrev_b64 v[26:27], v26, v[18:19]
	v_sub_u32_e32 v18, 29, v24
	v_and_b32_e32 v24, 7, v26
	v_cmp_gt_u32_e32 vcc, 8, v19
	v_lshrrev_b32_e32 v22, 3, v19
	v_cndmask_b32_e32 v19, v20, v24, vcc
	v_mov_b32_e32 v20, 24
	v_cndmask_b32_e32 v18, v22, v18, vcc
	v_lshlrev_b32_sdwa v20, v20, v16 dst_sel:DWORD dst_unused:UNUSED_PAD src0_sel:DWORD src1_sel:WORD_1
	v_bfrev_b32_e32 v22, 60
	v_lshlrev_b32_e32 v19, 20, v19
	v_and_b32_e32 v20, 0x80000000, v20
	v_lshl_add_u32 v18, v18, 23, v22
	v_or3_b32 v22, v20, v18, v19
.LBB407_470:
	s_or_b64 exec, exec, s[8:9]
.LBB407_471:
	s_or_b64 exec, exec, s[6:7]
.LBB407_472:
	s_or_b64 exec, exec, s[4:5]
	s_mov_b32 s3, 0xffffff
	v_cmp_lt_u32_e32 vcc, s3, v16
	v_mov_b32_e32 v19, 0
	v_mov_b32_e32 v24, 0
	s_and_saveexec_b64 s[4:5], vcc
	s_cbranch_execz .LBB407_478
; %bb.473:
	v_lshrrev_b32_e32 v18, 24, v16
	s_movk_i32 s3, 0x80
	v_cmp_ne_u32_e32 vcc, s3, v18
	v_bfrev_b32_e32 v24, 1
	s_and_saveexec_b64 s[6:7], vcc
	s_cbranch_execz .LBB407_477
; %bb.474:
	v_bfe_u32 v20, v16, 24, 7
	s_movk_i32 s3, 0x7f
	v_cmp_ne_u32_e32 vcc, s3, v20
	v_mov_b32_e32 v24, 0x7f800001
	s_and_saveexec_b64 s[8:9], vcc
	s_cbranch_execz .LBB407_476
; %bb.475:
	v_and_b32_e32 v24, 7, v18
	v_ffbh_u32_e32 v26, v24
	v_min_u32_e32 v29, 32, v26
	v_subrev_u32_e32 v26, 28, v29
	v_lshlrev_b64 v[26:27], v26, v[18:19]
	v_lshrrev_b32_e32 v28, 3, v20
	v_sub_u32_e32 v27, 29, v29
	v_and_b32_e32 v26, 7, v26
	v_cmp_gt_u32_e32 vcc, 8, v20
	v_cndmask_b32_e32 v20, v28, v27, vcc
	v_cndmask_b32_e32 v24, v24, v26, vcc
	v_lshlrev_b32_e32 v18, 24, v18
	v_bfrev_b32_e32 v26, 60
	v_lshlrev_b32_e32 v24, 20, v24
	v_and_b32_e32 v18, 0x80000000, v18
	v_lshl_add_u32 v20, v20, 23, v26
	v_or3_b32 v24, v18, v20, v24
.LBB407_476:
	s_or_b64 exec, exec, s[8:9]
.LBB407_477:
	s_or_b64 exec, exec, s[6:7]
.LBB407_478:
	s_or_b64 exec, exec, s[4:5]
	v_mov_b32_e32 v18, v17
	v_cmp_ne_u16_sdwa s[6:7], v17, v19 src0_sel:BYTE_0 src1_sel:DWORD
	s_and_saveexec_b64 s[4:5], s[6:7]
	s_cbranch_execz .LBB407_484
; %bb.479:
	s_movk_i32 s3, 0x80
	v_cmp_ne_u16_sdwa s[8:9], v17, s3 src0_sel:BYTE_0 src1_sel:DWORD
	v_bfrev_b32_e32 v20, 1
	s_and_saveexec_b64 s[6:7], s[8:9]
	s_cbranch_execz .LBB407_483
; %bb.480:
	s_movk_i32 s3, 0x7f
	v_and_b32_e32 v26, 0x7f, v17
	v_cmp_ne_u32_e32 vcc, s3, v26
	v_mov_b32_e32 v20, 0x7f800001
	s_and_saveexec_b64 s[8:9], vcc
	s_cbranch_execz .LBB407_482
; %bb.481:
	v_and_b32_e32 v20, 7, v17
	v_ffbh_u32_e32 v20, v20
	v_min_u32_e32 v20, 32, v20
	v_subrev_u32_e32 v28, 28, v20
	v_cmp_gt_u32_e32 vcc, 8, v26
	v_lshrrev_b32_e32 v27, 3, v26
	v_sub_u32_e32 v20, 29, v20
	v_cndmask_b32_e32 v26, 0, v28, vcc
	v_cndmask_b32_e32 v20, v27, v20, vcc
	v_lshlrev_b64 v[26:27], v26, v[18:19]
	v_lshlrev_b32_e32 v19, 20, v26
	v_lshlrev_b32_e32 v26, 24, v18
	v_bfrev_b32_e32 v27, 60
	v_and_b32_e32 v19, 0x700000, v19
	v_and_b32_e32 v26, 0x80000000, v26
	v_lshl_add_u32 v20, v20, 23, v27
	v_or3_b32 v20, v26, v20, v19
.LBB407_482:
	s_or_b64 exec, exec, s[8:9]
.LBB407_483:
	s_or_b64 exec, exec, s[6:7]
	v_mov_b32_e32 v19, v20
.LBB407_484:
	s_or_b64 exec, exec, s[4:5]
	v_lshrrev_b16_e32 v20, 8, v18
	v_cmp_ne_u16_e32 vcc, 0, v20
	v_mov_b32_e32 v26, 0
	v_mov_b32_e32 v27, 0
	s_and_saveexec_b64 s[4:5], vcc
	s_cbranch_execz .LBB407_490
; %bb.485:
	s_movk_i32 s3, 0x80
	v_cmp_ne_u16_e32 vcc, s3, v20
	v_bfrev_b32_e32 v27, 1
	s_and_saveexec_b64 s[6:7], vcc
	s_cbranch_execz .LBB407_489
; %bb.486:
	s_movk_i32 s3, 0x7f
	v_and_b32_e32 v28, 0x7f, v20
	v_cmp_ne_u32_e32 vcc, s3, v28
	v_mov_b32_e32 v27, 0x7f800001
	s_and_saveexec_b64 s[8:9], vcc
	s_cbranch_execz .LBB407_488
; %bb.487:
	v_and_b32_e32 v27, 7, v20
	v_ffbh_u32_e32 v30, v27
	v_min_u32_e32 v32, 32, v30
	v_subrev_u32_e32 v30, 28, v32
	v_lshlrev_b64 v[30:31], v30, v[20:21]
	v_lshrrev_b32_e32 v29, 3, v28
	v_sub_u32_e32 v20, 29, v32
	v_and_b32_e32 v30, 7, v30
	v_cmp_gt_u32_e32 vcc, 8, v28
	v_cndmask_b32_e32 v20, v29, v20, vcc
	v_cndmask_b32_e32 v27, v27, v30, vcc
	v_lshlrev_b32_e32 v18, 16, v18
	v_bfrev_b32_e32 v28, 60
	v_lshlrev_b32_e32 v27, 20, v27
	v_and_b32_e32 v18, 0x80000000, v18
	v_lshl_add_u32 v20, v20, 23, v28
	v_or3_b32 v27, v18, v20, v27
.LBB407_488:
	s_or_b64 exec, exec, s[8:9]
.LBB407_489:
	s_or_b64 exec, exec, s[6:7]
.LBB407_490:
	s_or_b64 exec, exec, s[4:5]
	s_movk_i32 s3, 0xff
	v_and_b32_sdwa v20, v17, s3 dst_sel:DWORD dst_unused:UNUSED_PAD src0_sel:WORD_1 src1_sel:DWORD
	v_lshrrev_b32_e32 v18, 16, v17
	v_cmp_ne_u16_e32 vcc, 0, v20
	s_and_saveexec_b64 s[4:5], vcc
	s_cbranch_execz .LBB407_496
; %bb.491:
	s_movk_i32 s3, 0x80
	v_cmp_ne_u16_e32 vcc, s3, v20
	v_bfrev_b32_e32 v26, 1
	s_and_saveexec_b64 s[6:7], vcc
	s_cbranch_execz .LBB407_495
; %bb.492:
	v_bfe_u32 v20, v17, 16, 7
	s_movk_i32 s3, 0x7f
	v_cmp_ne_u32_e32 vcc, s3, v20
	v_mov_b32_e32 v26, 0x7f800001
	s_and_saveexec_b64 s[8:9], vcc
	s_cbranch_execz .LBB407_494
; %bb.493:
	v_and_b32_e32 v26, 7, v18
	v_ffbh_u32_e32 v28, v26
	v_min_u32_e32 v31, 32, v28
	v_subrev_u32_e32 v28, 28, v31
	v_lshlrev_b64 v[28:29], v28, v[18:19]
	v_and_b32_e32 v28, 7, v28
	v_cmp_gt_u32_e32 vcc, 8, v20
	v_lshrrev_b32_e32 v30, 3, v20
	v_sub_u32_e32 v18, 29, v31
	v_cndmask_b32_e32 v20, v26, v28, vcc
	v_mov_b32_e32 v26, 24
	v_cndmask_b32_e32 v18, v30, v18, vcc
	v_lshlrev_b32_sdwa v26, v26, v17 dst_sel:DWORD dst_unused:UNUSED_PAD src0_sel:DWORD src1_sel:WORD_1
	v_bfrev_b32_e32 v28, 60
	v_lshlrev_b32_e32 v20, 20, v20
	v_and_b32_e32 v26, 0x80000000, v26
	v_lshl_add_u32 v18, v18, 23, v28
	v_or3_b32 v26, v26, v18, v20
.LBB407_494:
	s_or_b64 exec, exec, s[8:9]
.LBB407_495:
	s_or_b64 exec, exec, s[6:7]
.LBB407_496:
	s_or_b64 exec, exec, s[4:5]
	s_mov_b32 s4, -1
	s_mov_b32 s5, 0xffffff
	v_cmp_lt_u64_e32 vcc, s[4:5], v[16:17]
	v_mov_b32_e32 v20, 0
	v_mov_b32_e32 v18, 0
	s_and_saveexec_b64 s[4:5], vcc
	s_cbranch_execz .LBB407_502
; %bb.497:
	v_lshrrev_b32_e32 v16, 24, v17
	s_movk_i32 s3, 0x80
	v_cmp_ne_u32_e32 vcc, s3, v16
	v_bfrev_b32_e32 v18, 1
	s_and_saveexec_b64 s[6:7], vcc
	s_cbranch_execz .LBB407_501
; %bb.498:
	v_bfe_u32 v17, v17, 24, 7
	s_movk_i32 s3, 0x7f
	v_cmp_ne_u32_e32 vcc, s3, v17
	v_mov_b32_e32 v18, 0x7f800001
	s_and_saveexec_b64 s[8:9], vcc
	s_cbranch_execz .LBB407_500
; %bb.499:
	v_and_b32_e32 v18, 7, v16
	v_ffbh_u32_e32 v28, v18
	v_min_u32_e32 v31, 32, v28
	v_subrev_u32_e32 v28, 28, v31
	v_lshlrev_b64 v[28:29], v28, v[16:17]
	v_lshrrev_b32_e32 v30, 3, v17
	v_sub_u32_e32 v29, 29, v31
	v_and_b32_e32 v28, 7, v28
	v_cmp_gt_u32_e32 vcc, 8, v17
	v_cndmask_b32_e32 v17, v30, v29, vcc
	v_cndmask_b32_e32 v18, v18, v28, vcc
	v_lshlrev_b32_e32 v16, 24, v16
	v_bfrev_b32_e32 v28, 60
	v_lshlrev_b32_e32 v18, 20, v18
	v_and_b32_e32 v16, 0x80000000, v16
	v_lshl_add_u32 v17, v17, 23, v28
	v_or3_b32 v18, v16, v17, v18
.LBB407_500:
	s_or_b64 exec, exec, s[8:9]
.LBB407_501:
	s_or_b64 exec, exec, s[6:7]
.LBB407_502:
	s_or_b64 exec, exec, s[4:5]
	v_cvt_pkrtz_f16_f32 v16, v21, v23
	v_cvt_pkrtz_f16_f32 v17, v22, v24
	;; [unrolled: 1-line block ×4, first 2 shown]
	v_mfma_f32_4x4x4f16 a[0:3], v[14:15], v[16:17], a[0:3] cbsz:4 abid:2
	s_waitcnt vmcnt(2)
	v_cmp_ne_u16_sdwa s[6:7], v10, v20 src0_sel:BYTE_0 src1_sel:DWORD
	v_mfma_f32_4x4x4f16 a[0:3], v[14:15], v[22:23], a[0:3] cbsz:4 abid:3
	s_and_saveexec_b64 s[4:5], s[6:7]
	s_cbranch_execz .LBB407_508
; %bb.503:
	s_movk_i32 s3, 0x80
	v_cmp_ne_u16_sdwa s[8:9], v10, s3 src0_sel:BYTE_0 src1_sel:DWORD
	v_bfrev_b32_e32 v20, 1
	s_and_saveexec_b64 s[6:7], s[8:9]
	s_cbranch_execz .LBB407_507
; %bb.504:
	s_movk_i32 s3, 0x7f
	v_and_b32_e32 v16, 0x7f, v10
	v_cmp_ne_u32_e32 vcc, s3, v16
	v_mov_b32_e32 v20, 0x7f800001
	s_and_saveexec_b64 s[8:9], vcc
	s_cbranch_execz .LBB407_506
; %bb.505:
	v_and_b32_e32 v17, 7, v10
	v_ffbh_u32_e32 v17, v17
	v_min_u32_e32 v17, 32, v17
	v_subrev_u32_e32 v19, 28, v17
	v_cmp_gt_u32_e32 vcc, 8, v16
	v_lshrrev_b32_e32 v18, 3, v16
	v_sub_u32_e32 v17, 29, v17
	v_cndmask_b32_e32 v16, 0, v19, vcc
	v_cndmask_b32_e32 v18, v18, v17, vcc
	v_lshlrev_b64 v[16:17], v16, v[10:11]
	v_lshlrev_b32_e32 v16, 20, v16
	v_lshlrev_b32_e32 v17, 24, v10
	v_bfrev_b32_e32 v19, 60
	v_and_b32_e32 v16, 0x700000, v16
	v_and_b32_e32 v17, 0x80000000, v17
	v_lshl_add_u32 v18, v18, 23, v19
	v_or3_b32 v20, v17, v18, v16
.LBB407_506:
	s_or_b64 exec, exec, s[8:9]
.LBB407_507:
	s_or_b64 exec, exec, s[6:7]
.LBB407_508:
	s_or_b64 exec, exec, s[4:5]
	v_lshrrev_b16_e32 v16, 8, v10
	v_cmp_ne_u16_e32 vcc, 0, v16
	v_mov_b32_e32 v19, 0
	v_mov_b32_e32 v21, 0
	s_and_saveexec_b64 s[4:5], vcc
	s_cbranch_execz .LBB407_514
; %bb.509:
	s_movk_i32 s3, 0x80
	v_cmp_ne_u16_e32 vcc, s3, v16
	v_bfrev_b32_e32 v21, 1
	s_and_saveexec_b64 s[6:7], vcc
	s_cbranch_execz .LBB407_513
; %bb.510:
	s_movk_i32 s3, 0x7f
	v_and_b32_e32 v17, 0x7f, v16
	v_cmp_ne_u32_e32 vcc, s3, v17
	v_mov_b32_e32 v21, 0x7f800001
	s_and_saveexec_b64 s[8:9], vcc
	s_cbranch_execz .LBB407_512
; %bb.511:
	v_and_b32_e32 v18, 7, v16
	v_ffbh_u32_e32 v22, v18
	v_min_u32_e32 v24, 32, v22
	v_subrev_u32_e32 v22, 28, v24
	v_lshlrev_b64 v[22:23], v22, v[16:17]
	v_lshrrev_b32_e32 v21, 3, v17
	v_sub_u32_e32 v16, 29, v24
	v_and_b32_e32 v22, 7, v22
	v_cmp_gt_u32_e32 vcc, 8, v17
	v_cndmask_b32_e32 v16, v21, v16, vcc
	v_cndmask_b32_e32 v17, v18, v22, vcc
	v_lshlrev_b32_e32 v18, 16, v10
	v_bfrev_b32_e32 v21, 60
	v_lshlrev_b32_e32 v17, 20, v17
	v_and_b32_e32 v18, 0x80000000, v18
	v_lshl_add_u32 v16, v16, 23, v21
	v_or3_b32 v21, v18, v16, v17
.LBB407_512:
	s_or_b64 exec, exec, s[8:9]
.LBB407_513:
	s_or_b64 exec, exec, s[6:7]
.LBB407_514:
	s_or_b64 exec, exec, s[4:5]
	s_movk_i32 s3, 0xff
	v_and_b32_sdwa v17, v10, s3 dst_sel:DWORD dst_unused:UNUSED_PAD src0_sel:WORD_1 src1_sel:DWORD
	v_lshrrev_b32_e32 v16, 16, v10
	v_cmp_ne_u16_e32 vcc, 0, v17
	s_and_saveexec_b64 s[4:5], vcc
	s_cbranch_execz .LBB407_520
; %bb.515:
	s_movk_i32 s3, 0x80
	v_cmp_ne_u16_e32 vcc, s3, v17
	v_bfrev_b32_e32 v19, 1
	s_and_saveexec_b64 s[6:7], vcc
	s_cbranch_execz .LBB407_519
; %bb.516:
	v_bfe_u32 v17, v10, 16, 7
	s_movk_i32 s3, 0x7f
	v_cmp_ne_u32_e32 vcc, s3, v17
	v_mov_b32_e32 v19, 0x7f800001
	s_and_saveexec_b64 s[8:9], vcc
	s_cbranch_execz .LBB407_518
; %bb.517:
	v_and_b32_e32 v22, 7, v16
	v_ffbh_u32_e32 v18, v22
	v_min_u32_e32 v24, 32, v18
	v_subrev_u32_e32 v18, 28, v24
	v_lshlrev_b64 v[18:19], v18, v[16:17]
	v_and_b32_e32 v18, 7, v18
	v_cmp_gt_u32_e32 vcc, 8, v17
	v_lshrrev_b32_e32 v23, 3, v17
	v_sub_u32_e32 v16, 29, v24
	v_cndmask_b32_e32 v17, v22, v18, vcc
	v_mov_b32_e32 v18, 24
	v_cndmask_b32_e32 v16, v23, v16, vcc
	v_lshlrev_b32_sdwa v18, v18, v10 dst_sel:DWORD dst_unused:UNUSED_PAD src0_sel:DWORD src1_sel:WORD_1
	v_bfrev_b32_e32 v19, 60
	v_lshlrev_b32_e32 v17, 20, v17
	v_and_b32_e32 v18, 0x80000000, v18
	v_lshl_add_u32 v16, v16, 23, v19
	v_or3_b32 v19, v18, v16, v17
.LBB407_518:
	s_or_b64 exec, exec, s[8:9]
.LBB407_519:
	s_or_b64 exec, exec, s[6:7]
.LBB407_520:
	s_or_b64 exec, exec, s[4:5]
	s_mov_b32 s3, 0xffffff
	v_cmp_lt_u32_e32 vcc, s3, v10
	v_mov_b32_e32 v17, 0
	v_mov_b32_e32 v22, 0
	s_and_saveexec_b64 s[4:5], vcc
	s_cbranch_execz .LBB407_526
; %bb.521:
	v_lshrrev_b32_e32 v16, 24, v10
	s_movk_i32 s3, 0x80
	v_cmp_ne_u32_e32 vcc, s3, v16
	v_bfrev_b32_e32 v22, 1
	s_and_saveexec_b64 s[6:7], vcc
	s_cbranch_execz .LBB407_525
; %bb.522:
	v_bfe_u32 v18, v10, 24, 7
	s_movk_i32 s3, 0x7f
	v_cmp_ne_u32_e32 vcc, s3, v18
	v_mov_b32_e32 v22, 0x7f800001
	s_and_saveexec_b64 s[8:9], vcc
	s_cbranch_execz .LBB407_524
; %bb.523:
	v_and_b32_e32 v24, 7, v16
	v_ffbh_u32_e32 v22, v24
	v_min_u32_e32 v27, 32, v22
	v_subrev_u32_e32 v22, 28, v27
	v_lshlrev_b64 v[22:23], v22, v[16:17]
	v_lshrrev_b32_e32 v26, 3, v18
	v_sub_u32_e32 v23, 29, v27
	v_and_b32_e32 v22, 7, v22
	v_cmp_gt_u32_e32 vcc, 8, v18
	v_cndmask_b32_e32 v18, v26, v23, vcc
	v_cndmask_b32_e32 v22, v24, v22, vcc
	v_lshlrev_b32_e32 v16, 24, v16
	v_bfrev_b32_e32 v23, 60
	v_lshlrev_b32_e32 v22, 20, v22
	v_and_b32_e32 v16, 0x80000000, v16
	v_lshl_add_u32 v18, v18, 23, v23
	v_or3_b32 v22, v16, v18, v22
.LBB407_524:
	s_or_b64 exec, exec, s[8:9]
.LBB407_525:
	s_or_b64 exec, exec, s[6:7]
.LBB407_526:
	s_or_b64 exec, exec, s[4:5]
	v_mov_b32_e32 v16, v11
	v_cmp_ne_u16_sdwa s[6:7], v11, v17 src0_sel:BYTE_0 src1_sel:DWORD
	s_and_saveexec_b64 s[4:5], s[6:7]
	s_cbranch_execz .LBB407_532
; %bb.527:
	s_movk_i32 s3, 0x80
	v_cmp_ne_u16_sdwa s[8:9], v11, s3 src0_sel:BYTE_0 src1_sel:DWORD
	v_bfrev_b32_e32 v18, 1
	s_and_saveexec_b64 s[6:7], s[8:9]
	s_cbranch_execz .LBB407_531
; %bb.528:
	s_movk_i32 s3, 0x7f
	v_and_b32_e32 v23, 0x7f, v11
	v_cmp_ne_u32_e32 vcc, s3, v23
	v_mov_b32_e32 v18, 0x7f800001
	s_and_saveexec_b64 s[8:9], vcc
	s_cbranch_execz .LBB407_530
; %bb.529:
	v_and_b32_e32 v18, 7, v11
	v_ffbh_u32_e32 v18, v18
	v_min_u32_e32 v18, 32, v18
	v_subrev_u32_e32 v26, 28, v18
	v_cmp_gt_u32_e32 vcc, 8, v23
	v_lshrrev_b32_e32 v24, 3, v23
	v_cndmask_b32_e32 v23, 0, v26, vcc
	v_sub_u32_e32 v18, 29, v18
	v_lshlrev_b64 v[26:27], v23, v[16:17]
	v_cndmask_b32_e32 v18, v24, v18, vcc
	v_lshlrev_b32_e32 v17, 20, v26
	v_lshlrev_b32_e32 v23, 24, v16
	v_bfrev_b32_e32 v24, 60
	v_and_b32_e32 v17, 0x700000, v17
	v_and_b32_e32 v23, 0x80000000, v23
	v_lshl_add_u32 v18, v18, 23, v24
	v_or3_b32 v18, v23, v18, v17
.LBB407_530:
	s_or_b64 exec, exec, s[8:9]
.LBB407_531:
	s_or_b64 exec, exec, s[6:7]
	v_mov_b32_e32 v17, v18
.LBB407_532:
	s_or_b64 exec, exec, s[4:5]
	v_lshrrev_b16_e32 v18, 8, v16
	v_cmp_ne_u16_e32 vcc, 0, v18
	v_mov_b32_e32 v23, 0
	v_mov_b32_e32 v24, 0
	s_and_saveexec_b64 s[4:5], vcc
	s_cbranch_execz .LBB407_538
; %bb.533:
	s_movk_i32 s3, 0x80
	v_cmp_ne_u16_e32 vcc, s3, v18
	v_bfrev_b32_e32 v24, 1
	s_and_saveexec_b64 s[6:7], vcc
	s_cbranch_execz .LBB407_537
; %bb.534:
	s_movk_i32 s3, 0x7f
	v_and_b32_e32 v26, 0x7f, v18
	v_cmp_ne_u32_e32 vcc, s3, v26
	v_mov_b32_e32 v24, 0x7f800001
	s_and_saveexec_b64 s[8:9], vcc
	s_cbranch_execz .LBB407_536
; %bb.535:
	v_and_b32_e32 v24, 7, v18
	v_ffbh_u32_e32 v28, v24
	v_min_u32_e32 v30, 32, v28
	v_subrev_u32_e32 v28, 28, v30
	v_lshlrev_b64 v[28:29], v28, v[18:19]
	v_lshrrev_b32_e32 v27, 3, v26
	v_sub_u32_e32 v18, 29, v30
	v_and_b32_e32 v28, 7, v28
	v_cmp_gt_u32_e32 vcc, 8, v26
	v_cndmask_b32_e32 v18, v27, v18, vcc
	v_cndmask_b32_e32 v24, v24, v28, vcc
	v_lshlrev_b32_e32 v16, 16, v16
	v_bfrev_b32_e32 v26, 60
	v_lshlrev_b32_e32 v24, 20, v24
	v_and_b32_e32 v16, 0x80000000, v16
	v_lshl_add_u32 v18, v18, 23, v26
	v_or3_b32 v24, v16, v18, v24
.LBB407_536:
	s_or_b64 exec, exec, s[8:9]
.LBB407_537:
	s_or_b64 exec, exec, s[6:7]
.LBB407_538:
	s_or_b64 exec, exec, s[4:5]
	s_movk_i32 s3, 0xff
	v_and_b32_sdwa v18, v11, s3 dst_sel:DWORD dst_unused:UNUSED_PAD src0_sel:WORD_1 src1_sel:DWORD
	v_lshrrev_b32_e32 v16, 16, v11
	v_cmp_ne_u16_e32 vcc, 0, v18
	s_and_saveexec_b64 s[4:5], vcc
	s_cbranch_execz .LBB407_544
; %bb.539:
	s_movk_i32 s3, 0x80
	v_cmp_ne_u16_e32 vcc, s3, v18
	v_bfrev_b32_e32 v23, 1
	s_and_saveexec_b64 s[6:7], vcc
	s_cbranch_execz .LBB407_543
; %bb.540:
	v_bfe_u32 v18, v11, 16, 7
	s_movk_i32 s3, 0x7f
	v_cmp_ne_u32_e32 vcc, s3, v18
	v_mov_b32_e32 v23, 0x7f800001
	s_and_saveexec_b64 s[8:9], vcc
	s_cbranch_execz .LBB407_542
; %bb.541:
	v_and_b32_e32 v23, 7, v16
	v_ffbh_u32_e32 v26, v23
	v_min_u32_e32 v29, 32, v26
	v_subrev_u32_e32 v26, 28, v29
	v_lshlrev_b64 v[26:27], v26, v[16:17]
	v_and_b32_e32 v26, 7, v26
	v_cmp_gt_u32_e32 vcc, 8, v18
	v_lshrrev_b32_e32 v28, 3, v18
	v_sub_u32_e32 v16, 29, v29
	v_cndmask_b32_e32 v18, v23, v26, vcc
	v_mov_b32_e32 v23, 24
	v_cndmask_b32_e32 v16, v28, v16, vcc
	v_lshlrev_b32_sdwa v23, v23, v11 dst_sel:DWORD dst_unused:UNUSED_PAD src0_sel:DWORD src1_sel:WORD_1
	v_bfrev_b32_e32 v26, 60
	v_lshlrev_b32_e32 v18, 20, v18
	v_and_b32_e32 v23, 0x80000000, v23
	v_lshl_add_u32 v16, v16, 23, v26
	v_or3_b32 v23, v23, v16, v18
.LBB407_542:
	s_or_b64 exec, exec, s[8:9]
.LBB407_543:
	s_or_b64 exec, exec, s[6:7]
.LBB407_544:
	s_or_b64 exec, exec, s[4:5]
	s_mov_b32 s4, -1
	s_mov_b32 s5, 0xffffff
	v_cmp_lt_u64_e32 vcc, s[4:5], v[10:11]
	v_mov_b32_e32 v18, 0
	v_mov_b32_e32 v16, 0
	s_and_saveexec_b64 s[4:5], vcc
	s_cbranch_execz .LBB407_550
; %bb.545:
	v_lshrrev_b32_e32 v10, 24, v11
	s_movk_i32 s3, 0x80
	v_cmp_ne_u32_e32 vcc, s3, v10
	v_bfrev_b32_e32 v16, 1
	s_and_saveexec_b64 s[6:7], vcc
	s_cbranch_execz .LBB407_549
; %bb.546:
	v_bfe_u32 v11, v11, 24, 7
	s_movk_i32 s3, 0x7f
	v_cmp_ne_u32_e32 vcc, s3, v11
	v_mov_b32_e32 v16, 0x7f800001
	s_and_saveexec_b64 s[8:9], vcc
	s_cbranch_execz .LBB407_548
; %bb.547:
	v_and_b32_e32 v16, 7, v10
	v_ffbh_u32_e32 v26, v16
	v_min_u32_e32 v29, 32, v26
	v_subrev_u32_e32 v26, 28, v29
	v_lshlrev_b64 v[26:27], v26, v[10:11]
	v_lshrrev_b32_e32 v28, 3, v11
	v_sub_u32_e32 v27, 29, v29
	v_and_b32_e32 v26, 7, v26
	v_cmp_gt_u32_e32 vcc, 8, v11
	v_cndmask_b32_e32 v11, v28, v27, vcc
	v_cndmask_b32_e32 v16, v16, v26, vcc
	v_lshlrev_b32_e32 v10, 24, v10
	v_bfrev_b32_e32 v26, 60
	v_lshlrev_b32_e32 v16, 20, v16
	v_and_b32_e32 v10, 0x80000000, v10
	v_lshl_add_u32 v11, v11, 23, v26
	v_or3_b32 v16, v10, v11, v16
.LBB407_548:
	s_or_b64 exec, exec, s[8:9]
.LBB407_549:
	s_or_b64 exec, exec, s[6:7]
.LBB407_550:
	s_or_b64 exec, exec, s[4:5]
	v_cvt_pkrtz_f16_f32 v10, v20, v21
	v_cvt_pkrtz_f16_f32 v11, v19, v22
	;; [unrolled: 1-line block ×4, first 2 shown]
	v_mfma_f32_4x4x4f16 a[0:3], v[14:15], v[10:11], a[0:3] cbsz:4 abid:4
	v_cmp_ne_u16_sdwa s[6:7], v12, v18 src0_sel:BYTE_0 src1_sel:DWORD
	v_mfma_f32_4x4x4f16 a[0:3], v[14:15], v[20:21], a[0:3] cbsz:4 abid:5
	s_and_saveexec_b64 s[4:5], s[6:7]
	s_cbranch_execz .LBB407_556
; %bb.551:
	s_movk_i32 s3, 0x80
	v_cmp_ne_u16_sdwa s[8:9], v12, s3 src0_sel:BYTE_0 src1_sel:DWORD
	v_bfrev_b32_e32 v18, 1
	s_and_saveexec_b64 s[6:7], s[8:9]
	s_cbranch_execz .LBB407_555
; %bb.552:
	s_movk_i32 s3, 0x7f
	v_and_b32_e32 v10, 0x7f, v12
	v_cmp_ne_u32_e32 vcc, s3, v10
	v_mov_b32_e32 v18, 0x7f800001
	s_and_saveexec_b64 s[8:9], vcc
	s_cbranch_execz .LBB407_554
; %bb.553:
	v_and_b32_e32 v11, 7, v12
	v_ffbh_u32_e32 v11, v11
	v_min_u32_e32 v11, 32, v11
	v_subrev_u32_e32 v17, 28, v11
	v_cmp_gt_u32_e32 vcc, 8, v10
	v_lshrrev_b32_e32 v16, 3, v10
	v_sub_u32_e32 v11, 29, v11
	v_cndmask_b32_e32 v10, 0, v17, vcc
	v_cndmask_b32_e32 v16, v16, v11, vcc
	v_lshlrev_b64 v[10:11], v10, v[12:13]
	v_lshlrev_b32_e32 v10, 20, v10
	v_lshlrev_b32_e32 v11, 24, v12
	v_bfrev_b32_e32 v17, 60
	v_and_b32_e32 v10, 0x700000, v10
	v_and_b32_e32 v11, 0x80000000, v11
	v_lshl_add_u32 v16, v16, 23, v17
	v_or3_b32 v18, v11, v16, v10
.LBB407_554:
	s_or_b64 exec, exec, s[8:9]
.LBB407_555:
	s_or_b64 exec, exec, s[6:7]
.LBB407_556:
	s_or_b64 exec, exec, s[4:5]
	v_lshrrev_b16_e32 v10, 8, v12
	v_cmp_ne_u16_e32 vcc, 0, v10
	v_mov_b32_e32 v17, 0
	v_mov_b32_e32 v19, 0
	s_and_saveexec_b64 s[4:5], vcc
	s_cbranch_execz .LBB407_562
; %bb.557:
	s_movk_i32 s3, 0x80
	v_cmp_ne_u16_e32 vcc, s3, v10
	v_bfrev_b32_e32 v19, 1
	s_and_saveexec_b64 s[6:7], vcc
	s_cbranch_execz .LBB407_561
; %bb.558:
	s_movk_i32 s3, 0x7f
	v_and_b32_e32 v11, 0x7f, v10
	v_cmp_ne_u32_e32 vcc, s3, v11
	v_mov_b32_e32 v19, 0x7f800001
	s_and_saveexec_b64 s[8:9], vcc
	s_cbranch_execz .LBB407_560
; %bb.559:
	v_and_b32_e32 v16, 7, v10
	v_ffbh_u32_e32 v20, v16
	v_min_u32_e32 v22, 32, v20
	v_subrev_u32_e32 v20, 28, v22
	v_lshlrev_b64 v[20:21], v20, v[10:11]
	v_lshrrev_b32_e32 v19, 3, v11
	v_sub_u32_e32 v10, 29, v22
	v_and_b32_e32 v20, 7, v20
	v_cmp_gt_u32_e32 vcc, 8, v11
	v_cndmask_b32_e32 v10, v19, v10, vcc
	v_cndmask_b32_e32 v11, v16, v20, vcc
	v_lshlrev_b32_e32 v16, 16, v12
	v_bfrev_b32_e32 v19, 60
	v_lshlrev_b32_e32 v11, 20, v11
	v_and_b32_e32 v16, 0x80000000, v16
	v_lshl_add_u32 v10, v10, 23, v19
	v_or3_b32 v19, v16, v10, v11
.LBB407_560:
	s_or_b64 exec, exec, s[8:9]
.LBB407_561:
	s_or_b64 exec, exec, s[6:7]
.LBB407_562:
	s_or_b64 exec, exec, s[4:5]
	s_movk_i32 s3, 0xff
	v_and_b32_sdwa v11, v12, s3 dst_sel:DWORD dst_unused:UNUSED_PAD src0_sel:WORD_1 src1_sel:DWORD
	v_lshrrev_b32_e32 v10, 16, v12
	v_cmp_ne_u16_e32 vcc, 0, v11
	s_and_saveexec_b64 s[4:5], vcc
	s_cbranch_execz .LBB407_568
; %bb.563:
	s_movk_i32 s3, 0x80
	v_cmp_ne_u16_e32 vcc, s3, v11
	v_bfrev_b32_e32 v17, 1
	s_and_saveexec_b64 s[6:7], vcc
	s_cbranch_execz .LBB407_567
; %bb.564:
	v_bfe_u32 v11, v12, 16, 7
	s_movk_i32 s3, 0x7f
	v_cmp_ne_u32_e32 vcc, s3, v11
	v_mov_b32_e32 v17, 0x7f800001
	s_and_saveexec_b64 s[8:9], vcc
	s_cbranch_execz .LBB407_566
; %bb.565:
	v_and_b32_e32 v20, 7, v10
	v_ffbh_u32_e32 v16, v20
	v_min_u32_e32 v22, 32, v16
	v_subrev_u32_e32 v16, 28, v22
	v_lshlrev_b64 v[16:17], v16, v[10:11]
	v_and_b32_e32 v16, 7, v16
	v_cmp_gt_u32_e32 vcc, 8, v11
	v_lshrrev_b32_e32 v21, 3, v11
	v_sub_u32_e32 v10, 29, v22
	v_cndmask_b32_e32 v11, v20, v16, vcc
	v_mov_b32_e32 v16, 24
	v_cndmask_b32_e32 v10, v21, v10, vcc
	v_lshlrev_b32_sdwa v16, v16, v12 dst_sel:DWORD dst_unused:UNUSED_PAD src0_sel:DWORD src1_sel:WORD_1
	v_bfrev_b32_e32 v17, 60
	v_lshlrev_b32_e32 v11, 20, v11
	v_and_b32_e32 v16, 0x80000000, v16
	v_lshl_add_u32 v10, v10, 23, v17
	v_or3_b32 v17, v16, v10, v11
.LBB407_566:
	s_or_b64 exec, exec, s[8:9]
.LBB407_567:
	s_or_b64 exec, exec, s[6:7]
.LBB407_568:
	s_or_b64 exec, exec, s[4:5]
	s_mov_b32 s3, 0xffffff
	v_cmp_lt_u32_e32 vcc, s3, v12
	v_mov_b32_e32 v11, 0
	v_mov_b32_e32 v20, 0
	s_and_saveexec_b64 s[4:5], vcc
	s_cbranch_execz .LBB407_574
; %bb.569:
	v_lshrrev_b32_e32 v10, 24, v12
	s_movk_i32 s3, 0x80
	v_cmp_ne_u32_e32 vcc, s3, v10
	v_bfrev_b32_e32 v20, 1
	s_and_saveexec_b64 s[6:7], vcc
	s_cbranch_execz .LBB407_573
; %bb.570:
	v_bfe_u32 v16, v12, 24, 7
	s_movk_i32 s3, 0x7f
	v_cmp_ne_u32_e32 vcc, s3, v16
	v_mov_b32_e32 v20, 0x7f800001
	s_and_saveexec_b64 s[8:9], vcc
	s_cbranch_execz .LBB407_572
; %bb.571:
	v_and_b32_e32 v22, 7, v10
	v_ffbh_u32_e32 v20, v22
	v_min_u32_e32 v24, 32, v20
	v_subrev_u32_e32 v20, 28, v24
	v_lshlrev_b64 v[20:21], v20, v[10:11]
	v_lshrrev_b32_e32 v23, 3, v16
	v_sub_u32_e32 v21, 29, v24
	v_and_b32_e32 v20, 7, v20
	v_cmp_gt_u32_e32 vcc, 8, v16
	v_cndmask_b32_e32 v16, v23, v21, vcc
	v_cndmask_b32_e32 v20, v22, v20, vcc
	v_lshlrev_b32_e32 v10, 24, v10
	v_bfrev_b32_e32 v21, 60
	v_lshlrev_b32_e32 v20, 20, v20
	v_and_b32_e32 v10, 0x80000000, v10
	v_lshl_add_u32 v16, v16, 23, v21
	v_or3_b32 v20, v10, v16, v20
.LBB407_572:
	s_or_b64 exec, exec, s[8:9]
.LBB407_573:
	s_or_b64 exec, exec, s[6:7]
.LBB407_574:
	s_or_b64 exec, exec, s[4:5]
	v_mov_b32_e32 v10, v13
	v_cmp_ne_u16_sdwa s[6:7], v13, v11 src0_sel:BYTE_0 src1_sel:DWORD
	s_and_saveexec_b64 s[4:5], s[6:7]
	s_cbranch_execz .LBB407_580
; %bb.575:
	s_movk_i32 s3, 0x80
	v_cmp_ne_u16_sdwa s[8:9], v13, s3 src0_sel:BYTE_0 src1_sel:DWORD
	v_bfrev_b32_e32 v16, 1
	s_and_saveexec_b64 s[6:7], s[8:9]
	s_cbranch_execz .LBB407_579
; %bb.576:
	s_movk_i32 s3, 0x7f
	v_and_b32_e32 v21, 0x7f, v13
	v_cmp_ne_u32_e32 vcc, s3, v21
	v_mov_b32_e32 v16, 0x7f800001
	s_and_saveexec_b64 s[8:9], vcc
	s_cbranch_execz .LBB407_578
; %bb.577:
	v_and_b32_e32 v16, 7, v13
	v_ffbh_u32_e32 v16, v16
	v_min_u32_e32 v16, 32, v16
	v_subrev_u32_e32 v23, 28, v16
	v_cmp_gt_u32_e32 vcc, 8, v21
	v_lshrrev_b32_e32 v22, 3, v21
	v_sub_u32_e32 v16, 29, v16
	v_cndmask_b32_e32 v21, 0, v23, vcc
	v_cndmask_b32_e32 v16, v22, v16, vcc
	v_lshlrev_b64 v[22:23], v21, v[10:11]
	v_lshlrev_b32_e32 v11, 20, v22
	v_lshlrev_b32_e32 v21, 24, v10
	v_bfrev_b32_e32 v22, 60
	v_and_b32_e32 v11, 0x700000, v11
	v_and_b32_e32 v21, 0x80000000, v21
	v_lshl_add_u32 v16, v16, 23, v22
	v_or3_b32 v16, v21, v16, v11
.LBB407_578:
	s_or_b64 exec, exec, s[8:9]
.LBB407_579:
	s_or_b64 exec, exec, s[6:7]
	v_mov_b32_e32 v11, v16
.LBB407_580:
	s_or_b64 exec, exec, s[4:5]
	v_lshrrev_b16_e32 v16, 8, v10
	v_cmp_ne_u16_e32 vcc, 0, v16
	v_mov_b32_e32 v21, 0
	v_mov_b32_e32 v22, 0
	s_and_saveexec_b64 s[4:5], vcc
	s_cbranch_execz .LBB407_586
; %bb.581:
	s_movk_i32 s3, 0x80
	v_cmp_ne_u16_e32 vcc, s3, v16
	v_bfrev_b32_e32 v22, 1
	s_and_saveexec_b64 s[6:7], vcc
	s_cbranch_execz .LBB407_585
; %bb.582:
	s_movk_i32 s3, 0x7f
	v_and_b32_e32 v23, 0x7f, v16
	v_cmp_ne_u32_e32 vcc, s3, v23
	v_mov_b32_e32 v22, 0x7f800001
	s_and_saveexec_b64 s[8:9], vcc
	s_cbranch_execz .LBB407_584
; %bb.583:
	v_and_b32_e32 v22, 7, v16
	v_ffbh_u32_e32 v26, v22
	v_min_u32_e32 v28, 32, v26
	v_subrev_u32_e32 v26, 28, v28
	v_lshlrev_b64 v[26:27], v26, v[16:17]
	v_lshrrev_b32_e32 v24, 3, v23
	v_sub_u32_e32 v16, 29, v28
	v_and_b32_e32 v26, 7, v26
	v_cmp_gt_u32_e32 vcc, 8, v23
	v_cndmask_b32_e32 v16, v24, v16, vcc
	v_cndmask_b32_e32 v22, v22, v26, vcc
	v_lshlrev_b32_e32 v10, 16, v10
	v_bfrev_b32_e32 v23, 60
	v_lshlrev_b32_e32 v22, 20, v22
	v_and_b32_e32 v10, 0x80000000, v10
	v_lshl_add_u32 v16, v16, 23, v23
	v_or3_b32 v22, v10, v16, v22
.LBB407_584:
	s_or_b64 exec, exec, s[8:9]
.LBB407_585:
	s_or_b64 exec, exec, s[6:7]
.LBB407_586:
	s_or_b64 exec, exec, s[4:5]
	s_movk_i32 s3, 0xff
	v_and_b32_sdwa v16, v13, s3 dst_sel:DWORD dst_unused:UNUSED_PAD src0_sel:WORD_1 src1_sel:DWORD
	v_lshrrev_b32_e32 v10, 16, v13
	v_cmp_ne_u16_e32 vcc, 0, v16
	s_and_saveexec_b64 s[4:5], vcc
	s_cbranch_execz .LBB407_592
; %bb.587:
	s_movk_i32 s3, 0x80
	v_cmp_ne_u16_e32 vcc, s3, v16
	v_bfrev_b32_e32 v21, 1
	s_and_saveexec_b64 s[6:7], vcc
	s_cbranch_execz .LBB407_591
; %bb.588:
	v_bfe_u32 v16, v13, 16, 7
	s_movk_i32 s3, 0x7f
	v_cmp_ne_u32_e32 vcc, s3, v16
	v_mov_b32_e32 v21, 0x7f800001
	s_and_saveexec_b64 s[8:9], vcc
	s_cbranch_execz .LBB407_590
; %bb.589:
	v_and_b32_e32 v21, 7, v10
	v_ffbh_u32_e32 v24, v21
	v_min_u32_e32 v24, 32, v24
	v_subrev_u32_e32 v26, 28, v24
	v_lshlrev_b64 v[26:27], v26, v[10:11]
	v_sub_u32_e32 v10, 29, v24
	v_and_b32_e32 v24, 7, v26
	v_cmp_gt_u32_e32 vcc, 8, v16
	v_lshrrev_b32_e32 v23, 3, v16
	v_cndmask_b32_e32 v16, v21, v24, vcc
	v_mov_b32_e32 v21, 24
	v_cndmask_b32_e32 v10, v23, v10, vcc
	v_lshlrev_b32_sdwa v21, v21, v13 dst_sel:DWORD dst_unused:UNUSED_PAD src0_sel:DWORD src1_sel:WORD_1
	v_bfrev_b32_e32 v23, 60
	v_lshlrev_b32_e32 v16, 20, v16
	v_and_b32_e32 v21, 0x80000000, v21
	v_lshl_add_u32 v10, v10, 23, v23
	v_or3_b32 v21, v21, v10, v16
.LBB407_590:
	s_or_b64 exec, exec, s[8:9]
.LBB407_591:
	s_or_b64 exec, exec, s[6:7]
.LBB407_592:
	s_or_b64 exec, exec, s[4:5]
	s_mov_b32 s4, -1
	s_mov_b32 s5, 0xffffff
	v_cmp_lt_u64_e32 vcc, s[4:5], v[12:13]
	v_mov_b32_e32 v16, 0
	v_mov_b32_e32 v12, 0
	s_and_saveexec_b64 s[4:5], vcc
	s_cbranch_execz .LBB407_598
; %bb.593:
	v_lshrrev_b32_e32 v10, 24, v13
	s_movk_i32 s3, 0x80
	v_cmp_ne_u32_e32 vcc, s3, v10
	v_bfrev_b32_e32 v12, 1
	s_and_saveexec_b64 s[6:7], vcc
	s_cbranch_execz .LBB407_597
; %bb.594:
	v_bfe_u32 v13, v13, 24, 7
	s_movk_i32 s3, 0x7f
	v_cmp_ne_u32_e32 vcc, s3, v13
	v_mov_b32_e32 v12, 0x7f800001
	s_and_saveexec_b64 s[8:9], vcc
	s_cbranch_execz .LBB407_596
; %bb.595:
	v_and_b32_e32 v12, 7, v10
	v_ffbh_u32_e32 v24, v12
	v_min_u32_e32 v24, 32, v24
	v_subrev_u32_e32 v26, 28, v24
	v_lshlrev_b64 v[26:27], v26, v[10:11]
	v_lshrrev_b32_e32 v23, 3, v13
	v_sub_u32_e32 v24, 29, v24
	v_and_b32_e32 v26, 7, v26
	v_cmp_gt_u32_e32 vcc, 8, v13
	v_cndmask_b32_e32 v13, v23, v24, vcc
	v_cndmask_b32_e32 v12, v12, v26, vcc
	v_lshlrev_b32_e32 v10, 24, v10
	v_bfrev_b32_e32 v23, 60
	v_lshlrev_b32_e32 v12, 20, v12
	v_and_b32_e32 v10, 0x80000000, v10
	v_lshl_add_u32 v13, v13, 23, v23
	v_or3_b32 v12, v10, v13, v12
.LBB407_596:
	s_or_b64 exec, exec, s[8:9]
.LBB407_597:
	s_or_b64 exec, exec, s[6:7]
.LBB407_598:
	s_or_b64 exec, exec, s[4:5]
	v_cvt_pkrtz_f16_f32 v18, v18, v19
	v_cvt_pkrtz_f16_f32 v19, v17, v20
	;; [unrolled: 1-line block ×4, first 2 shown]
	v_mfma_f32_4x4x4f16 a[0:3], v[14:15], v[18:19], a[0:3] cbsz:4 abid:6
	s_waitcnt vmcnt(1)
	v_cmp_ne_u16_sdwa s[6:7], v6, v16 src0_sel:BYTE_0 src1_sel:DWORD
	v_mfma_f32_4x4x4f16 a[0:3], v[14:15], v[10:11], a[0:3] cbsz:4 abid:7
	s_and_saveexec_b64 s[4:5], s[6:7]
	s_cbranch_execz .LBB407_604
; %bb.599:
	s_movk_i32 s3, 0x80
	v_cmp_ne_u16_sdwa s[8:9], v6, s3 src0_sel:BYTE_0 src1_sel:DWORD
	v_bfrev_b32_e32 v16, 1
	s_and_saveexec_b64 s[6:7], s[8:9]
	s_cbranch_execz .LBB407_603
; %bb.600:
	s_movk_i32 s3, 0x7f
	v_and_b32_e32 v10, 0x7f, v6
	v_cmp_ne_u32_e32 vcc, s3, v10
	v_mov_b32_e32 v16, 0x7f800001
	s_and_saveexec_b64 s[8:9], vcc
	s_cbranch_execz .LBB407_602
; %bb.601:
	v_and_b32_e32 v11, 7, v6
	v_ffbh_u32_e32 v11, v11
	v_min_u32_e32 v11, 32, v11
	v_subrev_u32_e32 v13, 28, v11
	v_cmp_gt_u32_e32 vcc, 8, v10
	v_lshrrev_b32_e32 v12, 3, v10
	v_sub_u32_e32 v11, 29, v11
	v_cndmask_b32_e32 v10, 0, v13, vcc
	v_cndmask_b32_e32 v12, v12, v11, vcc
	v_lshlrev_b64 v[10:11], v10, v[6:7]
	v_lshlrev_b32_e32 v10, 20, v10
	v_lshlrev_b32_e32 v11, 24, v6
	v_bfrev_b32_e32 v13, 60
	v_and_b32_e32 v10, 0x700000, v10
	v_and_b32_e32 v11, 0x80000000, v11
	v_lshl_add_u32 v12, v12, 23, v13
	v_or3_b32 v16, v11, v12, v10
.LBB407_602:
	s_or_b64 exec, exec, s[8:9]
.LBB407_603:
	s_or_b64 exec, exec, s[6:7]
.LBB407_604:
	s_or_b64 exec, exec, s[4:5]
	v_lshrrev_b16_e32 v10, 8, v6
	v_cmp_ne_u16_e32 vcc, 0, v10
	v_mov_b32_e32 v13, 0
	v_mov_b32_e32 v17, 0
	s_and_saveexec_b64 s[4:5], vcc
	s_cbranch_execz .LBB407_610
; %bb.605:
	s_movk_i32 s3, 0x80
	v_cmp_ne_u16_e32 vcc, s3, v10
	v_bfrev_b32_e32 v17, 1
	s_and_saveexec_b64 s[6:7], vcc
	s_cbranch_execz .LBB407_609
; %bb.606:
	s_movk_i32 s3, 0x7f
	v_and_b32_e32 v11, 0x7f, v10
	v_cmp_ne_u32_e32 vcc, s3, v11
	v_mov_b32_e32 v17, 0x7f800001
	s_and_saveexec_b64 s[8:9], vcc
	s_cbranch_execz .LBB407_608
; %bb.607:
	v_and_b32_e32 v12, 7, v10
	v_ffbh_u32_e32 v18, v12
	v_min_u32_e32 v20, 32, v18
	v_subrev_u32_e32 v18, 28, v20
	v_lshlrev_b64 v[18:19], v18, v[10:11]
	v_lshrrev_b32_e32 v17, 3, v11
	v_sub_u32_e32 v10, 29, v20
	v_and_b32_e32 v18, 7, v18
	v_cmp_gt_u32_e32 vcc, 8, v11
	v_cndmask_b32_e32 v10, v17, v10, vcc
	v_cndmask_b32_e32 v11, v12, v18, vcc
	v_lshlrev_b32_e32 v12, 16, v6
	v_bfrev_b32_e32 v17, 60
	v_lshlrev_b32_e32 v11, 20, v11
	v_and_b32_e32 v12, 0x80000000, v12
	v_lshl_add_u32 v10, v10, 23, v17
	v_or3_b32 v17, v12, v10, v11
.LBB407_608:
	s_or_b64 exec, exec, s[8:9]
.LBB407_609:
	s_or_b64 exec, exec, s[6:7]
.LBB407_610:
	s_or_b64 exec, exec, s[4:5]
	s_movk_i32 s3, 0xff
	v_and_b32_sdwa v11, v6, s3 dst_sel:DWORD dst_unused:UNUSED_PAD src0_sel:WORD_1 src1_sel:DWORD
	v_lshrrev_b32_e32 v10, 16, v6
	v_cmp_ne_u16_e32 vcc, 0, v11
	s_and_saveexec_b64 s[4:5], vcc
	s_cbranch_execz .LBB407_616
; %bb.611:
	s_movk_i32 s3, 0x80
	v_cmp_ne_u16_e32 vcc, s3, v11
	v_bfrev_b32_e32 v13, 1
	s_and_saveexec_b64 s[6:7], vcc
	s_cbranch_execz .LBB407_615
; %bb.612:
	v_bfe_u32 v11, v6, 16, 7
	s_movk_i32 s3, 0x7f
	v_cmp_ne_u32_e32 vcc, s3, v11
	v_mov_b32_e32 v13, 0x7f800001
	s_and_saveexec_b64 s[8:9], vcc
	s_cbranch_execz .LBB407_614
; %bb.613:
	v_and_b32_e32 v18, 7, v10
	v_ffbh_u32_e32 v12, v18
	v_min_u32_e32 v20, 32, v12
	v_subrev_u32_e32 v12, 28, v20
	v_lshlrev_b64 v[12:13], v12, v[10:11]
	v_and_b32_e32 v12, 7, v12
	v_cmp_gt_u32_e32 vcc, 8, v11
	v_lshrrev_b32_e32 v19, 3, v11
	v_sub_u32_e32 v10, 29, v20
	v_cndmask_b32_e32 v11, v18, v12, vcc
	v_mov_b32_e32 v12, 24
	v_cndmask_b32_e32 v10, v19, v10, vcc
	v_lshlrev_b32_sdwa v12, v12, v6 dst_sel:DWORD dst_unused:UNUSED_PAD src0_sel:DWORD src1_sel:WORD_1
	v_bfrev_b32_e32 v13, 60
	v_lshlrev_b32_e32 v11, 20, v11
	v_and_b32_e32 v12, 0x80000000, v12
	v_lshl_add_u32 v10, v10, 23, v13
	v_or3_b32 v13, v12, v10, v11
.LBB407_614:
	s_or_b64 exec, exec, s[8:9]
.LBB407_615:
	s_or_b64 exec, exec, s[6:7]
.LBB407_616:
	s_or_b64 exec, exec, s[4:5]
	s_mov_b32 s3, 0xffffff
	v_cmp_lt_u32_e32 vcc, s3, v6
	v_mov_b32_e32 v11, 0
	v_mov_b32_e32 v18, 0
	s_and_saveexec_b64 s[4:5], vcc
	s_cbranch_execz .LBB407_622
; %bb.617:
	v_lshrrev_b32_e32 v10, 24, v6
	s_movk_i32 s3, 0x80
	v_cmp_ne_u32_e32 vcc, s3, v10
	v_bfrev_b32_e32 v18, 1
	s_and_saveexec_b64 s[6:7], vcc
	s_cbranch_execz .LBB407_621
; %bb.618:
	v_bfe_u32 v12, v6, 24, 7
	s_movk_i32 s3, 0x7f
	v_cmp_ne_u32_e32 vcc, s3, v12
	v_mov_b32_e32 v18, 0x7f800001
	s_and_saveexec_b64 s[8:9], vcc
	s_cbranch_execz .LBB407_620
; %bb.619:
	v_and_b32_e32 v20, 7, v10
	v_ffbh_u32_e32 v18, v20
	v_min_u32_e32 v22, 32, v18
	v_subrev_u32_e32 v18, 28, v22
	v_lshlrev_b64 v[18:19], v18, v[10:11]
	v_lshrrev_b32_e32 v21, 3, v12
	v_sub_u32_e32 v19, 29, v22
	v_and_b32_e32 v18, 7, v18
	v_cmp_gt_u32_e32 vcc, 8, v12
	v_cndmask_b32_e32 v12, v21, v19, vcc
	v_cndmask_b32_e32 v18, v20, v18, vcc
	v_lshlrev_b32_e32 v10, 24, v10
	v_bfrev_b32_e32 v19, 60
	v_lshlrev_b32_e32 v18, 20, v18
	v_and_b32_e32 v10, 0x80000000, v10
	v_lshl_add_u32 v12, v12, 23, v19
	v_or3_b32 v18, v10, v12, v18
.LBB407_620:
	s_or_b64 exec, exec, s[8:9]
.LBB407_621:
	s_or_b64 exec, exec, s[6:7]
.LBB407_622:
	s_or_b64 exec, exec, s[4:5]
	v_mov_b32_e32 v10, v7
	v_cmp_ne_u16_sdwa s[6:7], v7, v11 src0_sel:BYTE_0 src1_sel:DWORD
	s_and_saveexec_b64 s[4:5], s[6:7]
	s_cbranch_execz .LBB407_628
; %bb.623:
	s_movk_i32 s3, 0x80
	v_cmp_ne_u16_sdwa s[8:9], v7, s3 src0_sel:BYTE_0 src1_sel:DWORD
	v_bfrev_b32_e32 v12, 1
	s_and_saveexec_b64 s[6:7], s[8:9]
	s_cbranch_execz .LBB407_627
; %bb.624:
	s_movk_i32 s3, 0x7f
	v_and_b32_e32 v19, 0x7f, v7
	v_cmp_ne_u32_e32 vcc, s3, v19
	v_mov_b32_e32 v12, 0x7f800001
	s_and_saveexec_b64 s[8:9], vcc
	s_cbranch_execz .LBB407_626
; %bb.625:
	v_and_b32_e32 v12, 7, v7
	v_ffbh_u32_e32 v12, v12
	v_min_u32_e32 v12, 32, v12
	v_subrev_u32_e32 v21, 28, v12
	v_cmp_gt_u32_e32 vcc, 8, v19
	v_lshrrev_b32_e32 v20, 3, v19
	v_sub_u32_e32 v12, 29, v12
	v_cndmask_b32_e32 v19, 0, v21, vcc
	v_cndmask_b32_e32 v12, v20, v12, vcc
	v_lshlrev_b64 v[20:21], v19, v[10:11]
	v_lshlrev_b32_e32 v11, 20, v20
	v_lshlrev_b32_e32 v19, 24, v10
	v_bfrev_b32_e32 v20, 60
	v_and_b32_e32 v11, 0x700000, v11
	v_and_b32_e32 v19, 0x80000000, v19
	v_lshl_add_u32 v12, v12, 23, v20
	v_or3_b32 v12, v19, v12, v11
.LBB407_626:
	s_or_b64 exec, exec, s[8:9]
.LBB407_627:
	s_or_b64 exec, exec, s[6:7]
	v_mov_b32_e32 v11, v12
.LBB407_628:
	s_or_b64 exec, exec, s[4:5]
	v_lshrrev_b16_e32 v12, 8, v10
	v_cmp_ne_u16_e32 vcc, 0, v12
	v_mov_b32_e32 v19, 0
	v_mov_b32_e32 v20, 0
	s_and_saveexec_b64 s[4:5], vcc
	s_cbranch_execz .LBB407_634
; %bb.629:
	s_movk_i32 s3, 0x80
	v_cmp_ne_u16_e32 vcc, s3, v12
	v_bfrev_b32_e32 v20, 1
	s_and_saveexec_b64 s[6:7], vcc
	s_cbranch_execz .LBB407_633
; %bb.630:
	s_movk_i32 s3, 0x7f
	v_and_b32_e32 v21, 0x7f, v12
	v_cmp_ne_u32_e32 vcc, s3, v21
	v_mov_b32_e32 v20, 0x7f800001
	s_and_saveexec_b64 s[8:9], vcc
	s_cbranch_execz .LBB407_632
; %bb.631:
	v_and_b32_e32 v20, 7, v12
	v_ffbh_u32_e32 v22, v20
	v_min_u32_e32 v26, 32, v22
	v_subrev_u32_e32 v22, 28, v26
	v_lshlrev_b64 v[22:23], v22, v[12:13]
	v_lshrrev_b32_e32 v24, 3, v21
	v_sub_u32_e32 v12, 29, v26
	v_and_b32_e32 v22, 7, v22
	v_cmp_gt_u32_e32 vcc, 8, v21
	v_cndmask_b32_e32 v12, v24, v12, vcc
	v_cndmask_b32_e32 v20, v20, v22, vcc
	v_lshlrev_b32_e32 v10, 16, v10
	v_bfrev_b32_e32 v21, 60
	v_lshlrev_b32_e32 v20, 20, v20
	v_and_b32_e32 v10, 0x80000000, v10
	v_lshl_add_u32 v12, v12, 23, v21
	v_or3_b32 v20, v10, v12, v20
.LBB407_632:
	s_or_b64 exec, exec, s[8:9]
.LBB407_633:
	s_or_b64 exec, exec, s[6:7]
.LBB407_634:
	s_or_b64 exec, exec, s[4:5]
	s_movk_i32 s3, 0xff
	v_and_b32_sdwa v12, v7, s3 dst_sel:DWORD dst_unused:UNUSED_PAD src0_sel:WORD_1 src1_sel:DWORD
	v_lshrrev_b32_e32 v10, 16, v7
	v_cmp_ne_u16_e32 vcc, 0, v12
	s_and_saveexec_b64 s[4:5], vcc
	s_cbranch_execz .LBB407_640
; %bb.635:
	s_movk_i32 s3, 0x80
	v_cmp_ne_u16_e32 vcc, s3, v12
	v_bfrev_b32_e32 v19, 1
	s_and_saveexec_b64 s[6:7], vcc
	s_cbranch_execz .LBB407_639
; %bb.636:
	v_bfe_u32 v12, v7, 16, 7
	s_movk_i32 s3, 0x7f
	v_cmp_ne_u32_e32 vcc, s3, v12
	v_mov_b32_e32 v19, 0x7f800001
	s_and_saveexec_b64 s[8:9], vcc
	s_cbranch_execz .LBB407_638
; %bb.637:
	v_and_b32_e32 v19, 7, v10
	v_ffbh_u32_e32 v22, v19
	v_min_u32_e32 v24, 32, v22
	v_subrev_u32_e32 v22, 28, v24
	v_lshlrev_b64 v[22:23], v22, v[10:11]
	v_and_b32_e32 v22, 7, v22
	v_cmp_gt_u32_e32 vcc, 8, v12
	v_lshrrev_b32_e32 v21, 3, v12
	v_sub_u32_e32 v10, 29, v24
	v_cndmask_b32_e32 v12, v19, v22, vcc
	v_mov_b32_e32 v19, 24
	v_cndmask_b32_e32 v10, v21, v10, vcc
	v_lshlrev_b32_sdwa v19, v19, v7 dst_sel:DWORD dst_unused:UNUSED_PAD src0_sel:DWORD src1_sel:WORD_1
	v_bfrev_b32_e32 v21, 60
	v_lshlrev_b32_e32 v12, 20, v12
	v_and_b32_e32 v19, 0x80000000, v19
	v_lshl_add_u32 v10, v10, 23, v21
	v_or3_b32 v19, v19, v10, v12
.LBB407_638:
	s_or_b64 exec, exec, s[8:9]
.LBB407_639:
	s_or_b64 exec, exec, s[6:7]
.LBB407_640:
	s_or_b64 exec, exec, s[4:5]
	s_mov_b32 s4, -1
	s_mov_b32 s5, 0xffffff
	v_cmp_lt_u64_e32 vcc, s[4:5], v[6:7]
	v_mov_b32_e32 v12, 0
	v_mov_b32_e32 v10, 0
	s_and_saveexec_b64 s[4:5], vcc
	s_cbranch_execz .LBB407_646
; %bb.641:
	v_lshrrev_b32_e32 v6, 24, v7
	s_movk_i32 s3, 0x80
	v_cmp_ne_u32_e32 vcc, s3, v6
	v_bfrev_b32_e32 v10, 1
	s_and_saveexec_b64 s[6:7], vcc
	s_cbranch_execz .LBB407_645
; %bb.642:
	v_bfe_u32 v7, v7, 24, 7
	s_movk_i32 s3, 0x7f
	v_cmp_ne_u32_e32 vcc, s3, v7
	v_mov_b32_e32 v10, 0x7f800001
	s_and_saveexec_b64 s[8:9], vcc
	s_cbranch_execz .LBB407_644
; %bb.643:
	v_and_b32_e32 v10, 7, v6
	v_ffbh_u32_e32 v22, v10
	v_min_u32_e32 v24, 32, v22
	v_subrev_u32_e32 v22, 28, v24
	v_lshlrev_b64 v[22:23], v22, v[6:7]
	v_lshrrev_b32_e32 v21, 3, v7
	v_sub_u32_e32 v23, 29, v24
	v_and_b32_e32 v22, 7, v22
	v_cmp_gt_u32_e32 vcc, 8, v7
	v_cndmask_b32_e32 v7, v21, v23, vcc
	v_cndmask_b32_e32 v10, v10, v22, vcc
	v_lshlrev_b32_e32 v6, 24, v6
	v_bfrev_b32_e32 v21, 60
	v_lshlrev_b32_e32 v10, 20, v10
	v_and_b32_e32 v6, 0x80000000, v6
	v_lshl_add_u32 v7, v7, 23, v21
	v_or3_b32 v10, v6, v7, v10
.LBB407_644:
	s_or_b64 exec, exec, s[8:9]
.LBB407_645:
	s_or_b64 exec, exec, s[6:7]
.LBB407_646:
	s_or_b64 exec, exec, s[4:5]
	v_cvt_pkrtz_f16_f32 v6, v16, v17
	v_cvt_pkrtz_f16_f32 v7, v13, v18
	;; [unrolled: 1-line block ×4, first 2 shown]
	v_mfma_f32_4x4x4f16 a[0:3], v[14:15], v[6:7], a[0:3] cbsz:4 abid:8
	v_cmp_ne_u16_sdwa s[6:7], v8, v12 src0_sel:BYTE_0 src1_sel:DWORD
	v_mfma_f32_4x4x4f16 a[0:3], v[14:15], v[16:17], a[0:3] cbsz:4 abid:9
	s_and_saveexec_b64 s[4:5], s[6:7]
	s_cbranch_execz .LBB407_652
; %bb.647:
	s_movk_i32 s3, 0x80
	v_cmp_ne_u16_sdwa s[8:9], v8, s3 src0_sel:BYTE_0 src1_sel:DWORD
	v_bfrev_b32_e32 v12, 1
	s_and_saveexec_b64 s[6:7], s[8:9]
	s_cbranch_execz .LBB407_651
; %bb.648:
	s_movk_i32 s3, 0x7f
	v_and_b32_e32 v6, 0x7f, v8
	v_cmp_ne_u32_e32 vcc, s3, v6
	v_mov_b32_e32 v12, 0x7f800001
	s_and_saveexec_b64 s[8:9], vcc
	s_cbranch_execz .LBB407_650
; %bb.649:
	v_and_b32_e32 v7, 7, v8
	v_ffbh_u32_e32 v7, v7
	v_min_u32_e32 v7, 32, v7
	v_subrev_u32_e32 v11, 28, v7
	v_cmp_gt_u32_e32 vcc, 8, v6
	v_lshrrev_b32_e32 v10, 3, v6
	v_sub_u32_e32 v7, 29, v7
	v_cndmask_b32_e32 v6, 0, v11, vcc
	v_cndmask_b32_e32 v10, v10, v7, vcc
	v_lshlrev_b64 v[6:7], v6, v[8:9]
	v_lshlrev_b32_e32 v6, 20, v6
	v_lshlrev_b32_e32 v7, 24, v8
	v_bfrev_b32_e32 v11, 60
	v_and_b32_e32 v6, 0x700000, v6
	v_and_b32_e32 v7, 0x80000000, v7
	v_lshl_add_u32 v10, v10, 23, v11
	v_or3_b32 v12, v7, v10, v6
.LBB407_650:
	s_or_b64 exec, exec, s[8:9]
.LBB407_651:
	s_or_b64 exec, exec, s[6:7]
.LBB407_652:
	s_or_b64 exec, exec, s[4:5]
	v_lshrrev_b16_e32 v6, 8, v8
	v_cmp_ne_u16_e32 vcc, 0, v6
	v_mov_b32_e32 v11, 0
	v_mov_b32_e32 v13, 0
	s_and_saveexec_b64 s[4:5], vcc
	s_cbranch_execz .LBB407_658
; %bb.653:
	s_movk_i32 s3, 0x80
	v_cmp_ne_u16_e32 vcc, s3, v6
	v_bfrev_b32_e32 v13, 1
	s_and_saveexec_b64 s[6:7], vcc
	s_cbranch_execz .LBB407_657
; %bb.654:
	s_movk_i32 s3, 0x7f
	v_and_b32_e32 v7, 0x7f, v6
	v_cmp_ne_u32_e32 vcc, s3, v7
	v_mov_b32_e32 v13, 0x7f800001
	s_and_saveexec_b64 s[8:9], vcc
	s_cbranch_execz .LBB407_656
; %bb.655:
	v_and_b32_e32 v10, 7, v6
	v_ffbh_u32_e32 v16, v10
	v_min_u32_e32 v18, 32, v16
	v_subrev_u32_e32 v16, 28, v18
	v_lshlrev_b64 v[16:17], v16, v[6:7]
	v_lshrrev_b32_e32 v13, 3, v7
	v_sub_u32_e32 v6, 29, v18
	v_and_b32_e32 v16, 7, v16
	v_cmp_gt_u32_e32 vcc, 8, v7
	v_cndmask_b32_e32 v6, v13, v6, vcc
	v_cndmask_b32_e32 v7, v10, v16, vcc
	v_lshlrev_b32_e32 v10, 16, v8
	v_bfrev_b32_e32 v13, 60
	v_lshlrev_b32_e32 v7, 20, v7
	v_and_b32_e32 v10, 0x80000000, v10
	v_lshl_add_u32 v6, v6, 23, v13
	v_or3_b32 v13, v10, v6, v7
.LBB407_656:
	s_or_b64 exec, exec, s[8:9]
.LBB407_657:
	s_or_b64 exec, exec, s[6:7]
.LBB407_658:
	s_or_b64 exec, exec, s[4:5]
	s_movk_i32 s3, 0xff
	v_and_b32_sdwa v7, v8, s3 dst_sel:DWORD dst_unused:UNUSED_PAD src0_sel:WORD_1 src1_sel:DWORD
	v_lshrrev_b32_e32 v6, 16, v8
	v_cmp_ne_u16_e32 vcc, 0, v7
	s_and_saveexec_b64 s[4:5], vcc
	s_cbranch_execz .LBB407_664
; %bb.659:
	s_movk_i32 s3, 0x80
	v_cmp_ne_u16_e32 vcc, s3, v7
	v_bfrev_b32_e32 v11, 1
	s_and_saveexec_b64 s[6:7], vcc
	s_cbranch_execz .LBB407_663
; %bb.660:
	v_bfe_u32 v7, v8, 16, 7
	s_movk_i32 s3, 0x7f
	v_cmp_ne_u32_e32 vcc, s3, v7
	v_mov_b32_e32 v11, 0x7f800001
	s_and_saveexec_b64 s[8:9], vcc
	s_cbranch_execz .LBB407_662
; %bb.661:
	v_and_b32_e32 v16, 7, v6
	v_ffbh_u32_e32 v10, v16
	v_min_u32_e32 v18, 32, v10
	v_subrev_u32_e32 v10, 28, v18
	v_lshlrev_b64 v[10:11], v10, v[6:7]
	v_and_b32_e32 v10, 7, v10
	v_cmp_gt_u32_e32 vcc, 8, v7
	v_lshrrev_b32_e32 v17, 3, v7
	v_sub_u32_e32 v6, 29, v18
	v_cndmask_b32_e32 v7, v16, v10, vcc
	v_mov_b32_e32 v10, 24
	v_cndmask_b32_e32 v6, v17, v6, vcc
	v_lshlrev_b32_sdwa v10, v10, v8 dst_sel:DWORD dst_unused:UNUSED_PAD src0_sel:DWORD src1_sel:WORD_1
	v_bfrev_b32_e32 v11, 60
	v_lshlrev_b32_e32 v7, 20, v7
	v_and_b32_e32 v10, 0x80000000, v10
	v_lshl_add_u32 v6, v6, 23, v11
	v_or3_b32 v11, v10, v6, v7
.LBB407_662:
	s_or_b64 exec, exec, s[8:9]
.LBB407_663:
	s_or_b64 exec, exec, s[6:7]
.LBB407_664:
	s_or_b64 exec, exec, s[4:5]
	s_mov_b32 s3, 0xffffff
	v_cmp_lt_u32_e32 vcc, s3, v8
	v_mov_b32_e32 v7, 0
	v_mov_b32_e32 v16, 0
	s_and_saveexec_b64 s[4:5], vcc
	s_cbranch_execz .LBB407_670
; %bb.665:
	v_lshrrev_b32_e32 v6, 24, v8
	s_movk_i32 s3, 0x80
	v_cmp_ne_u32_e32 vcc, s3, v6
	v_bfrev_b32_e32 v16, 1
	s_and_saveexec_b64 s[6:7], vcc
	s_cbranch_execz .LBB407_669
; %bb.666:
	v_bfe_u32 v10, v8, 24, 7
	s_movk_i32 s3, 0x7f
	v_cmp_ne_u32_e32 vcc, s3, v10
	v_mov_b32_e32 v16, 0x7f800001
	s_and_saveexec_b64 s[8:9], vcc
	s_cbranch_execz .LBB407_668
; %bb.667:
	v_and_b32_e32 v18, 7, v6
	v_ffbh_u32_e32 v16, v18
	v_min_u32_e32 v20, 32, v16
	v_subrev_u32_e32 v16, 28, v20
	v_lshlrev_b64 v[16:17], v16, v[6:7]
	v_lshrrev_b32_e32 v19, 3, v10
	v_sub_u32_e32 v17, 29, v20
	v_and_b32_e32 v16, 7, v16
	v_cmp_gt_u32_e32 vcc, 8, v10
	v_cndmask_b32_e32 v10, v19, v17, vcc
	v_cndmask_b32_e32 v16, v18, v16, vcc
	v_lshlrev_b32_e32 v6, 24, v6
	v_bfrev_b32_e32 v17, 60
	v_lshlrev_b32_e32 v16, 20, v16
	v_and_b32_e32 v6, 0x80000000, v6
	v_lshl_add_u32 v10, v10, 23, v17
	v_or3_b32 v16, v6, v10, v16
.LBB407_668:
	s_or_b64 exec, exec, s[8:9]
.LBB407_669:
	s_or_b64 exec, exec, s[6:7]
.LBB407_670:
	s_or_b64 exec, exec, s[4:5]
	v_mov_b32_e32 v6, v9
	v_cmp_ne_u16_sdwa s[6:7], v9, v7 src0_sel:BYTE_0 src1_sel:DWORD
	s_and_saveexec_b64 s[4:5], s[6:7]
	s_cbranch_execz .LBB407_676
; %bb.671:
	s_movk_i32 s3, 0x80
	v_cmp_ne_u16_sdwa s[8:9], v9, s3 src0_sel:BYTE_0 src1_sel:DWORD
	v_bfrev_b32_e32 v10, 1
	s_and_saveexec_b64 s[6:7], s[8:9]
	s_cbranch_execz .LBB407_675
; %bb.672:
	s_movk_i32 s3, 0x7f
	v_and_b32_e32 v17, 0x7f, v9
	v_cmp_ne_u32_e32 vcc, s3, v17
	v_mov_b32_e32 v10, 0x7f800001
	s_and_saveexec_b64 s[8:9], vcc
	s_cbranch_execz .LBB407_674
; %bb.673:
	v_and_b32_e32 v10, 7, v9
	v_ffbh_u32_e32 v10, v10
	v_min_u32_e32 v10, 32, v10
	v_subrev_u32_e32 v19, 28, v10
	v_cmp_gt_u32_e32 vcc, 8, v17
	v_lshrrev_b32_e32 v18, 3, v17
	v_sub_u32_e32 v10, 29, v10
	v_cndmask_b32_e32 v17, 0, v19, vcc
	v_cndmask_b32_e32 v10, v18, v10, vcc
	v_lshlrev_b64 v[18:19], v17, v[6:7]
	v_lshlrev_b32_e32 v7, 20, v18
	v_lshlrev_b32_e32 v17, 24, v6
	v_bfrev_b32_e32 v18, 60
	v_and_b32_e32 v7, 0x700000, v7
	v_and_b32_e32 v17, 0x80000000, v17
	v_lshl_add_u32 v10, v10, 23, v18
	v_or3_b32 v10, v17, v10, v7
.LBB407_674:
	s_or_b64 exec, exec, s[8:9]
.LBB407_675:
	s_or_b64 exec, exec, s[6:7]
	v_mov_b32_e32 v7, v10
.LBB407_676:
	s_or_b64 exec, exec, s[4:5]
	v_lshrrev_b16_e32 v10, 8, v6
	v_cmp_ne_u16_e32 vcc, 0, v10
	v_mov_b32_e32 v17, 0
	v_mov_b32_e32 v18, 0
	s_and_saveexec_b64 s[4:5], vcc
	s_cbranch_execz .LBB407_682
; %bb.677:
	s_movk_i32 s3, 0x80
	v_cmp_ne_u16_e32 vcc, s3, v10
	v_bfrev_b32_e32 v18, 1
	s_and_saveexec_b64 s[6:7], vcc
	s_cbranch_execz .LBB407_681
; %bb.678:
	s_movk_i32 s3, 0x7f
	v_and_b32_e32 v19, 0x7f, v10
	v_cmp_ne_u32_e32 vcc, s3, v19
	v_mov_b32_e32 v18, 0x7f800001
	s_and_saveexec_b64 s[8:9], vcc
	s_cbranch_execz .LBB407_680
; %bb.679:
	v_and_b32_e32 v18, 7, v10
	v_ffbh_u32_e32 v20, v18
	v_min_u32_e32 v23, 32, v20
	v_subrev_u32_e32 v20, 28, v23
	v_lshlrev_b64 v[20:21], v20, v[10:11]
	v_lshrrev_b32_e32 v22, 3, v19
	v_sub_u32_e32 v10, 29, v23
	v_and_b32_e32 v20, 7, v20
	v_cmp_gt_u32_e32 vcc, 8, v19
	v_cndmask_b32_e32 v10, v22, v10, vcc
	v_cndmask_b32_e32 v18, v18, v20, vcc
	v_lshlrev_b32_e32 v6, 16, v6
	v_bfrev_b32_e32 v19, 60
	v_lshlrev_b32_e32 v18, 20, v18
	v_and_b32_e32 v6, 0x80000000, v6
	v_lshl_add_u32 v10, v10, 23, v19
	v_or3_b32 v18, v6, v10, v18
.LBB407_680:
	s_or_b64 exec, exec, s[8:9]
.LBB407_681:
	s_or_b64 exec, exec, s[6:7]
.LBB407_682:
	s_or_b64 exec, exec, s[4:5]
	s_movk_i32 s3, 0xff
	v_and_b32_sdwa v10, v9, s3 dst_sel:DWORD dst_unused:UNUSED_PAD src0_sel:WORD_1 src1_sel:DWORD
	v_lshrrev_b32_e32 v6, 16, v9
	v_cmp_ne_u16_e32 vcc, 0, v10
	s_and_saveexec_b64 s[4:5], vcc
	s_cbranch_execz .LBB407_688
; %bb.683:
	s_movk_i32 s3, 0x80
	v_cmp_ne_u16_e32 vcc, s3, v10
	v_bfrev_b32_e32 v17, 1
	s_and_saveexec_b64 s[6:7], vcc
	s_cbranch_execz .LBB407_687
; %bb.684:
	v_bfe_u32 v10, v9, 16, 7
	s_movk_i32 s3, 0x7f
	v_cmp_ne_u32_e32 vcc, s3, v10
	v_mov_b32_e32 v17, 0x7f800001
	s_and_saveexec_b64 s[8:9], vcc
	s_cbranch_execz .LBB407_686
; %bb.685:
	v_and_b32_e32 v17, 7, v6
	v_ffbh_u32_e32 v20, v17
	v_min_u32_e32 v22, 32, v20
	v_subrev_u32_e32 v20, 28, v22
	v_lshlrev_b64 v[20:21], v20, v[6:7]
	v_and_b32_e32 v20, 7, v20
	v_cmp_gt_u32_e32 vcc, 8, v10
	v_lshrrev_b32_e32 v19, 3, v10
	v_sub_u32_e32 v6, 29, v22
	v_cndmask_b32_e32 v10, v17, v20, vcc
	v_mov_b32_e32 v17, 24
	v_cndmask_b32_e32 v6, v19, v6, vcc
	v_lshlrev_b32_sdwa v17, v17, v9 dst_sel:DWORD dst_unused:UNUSED_PAD src0_sel:DWORD src1_sel:WORD_1
	v_bfrev_b32_e32 v19, 60
	v_lshlrev_b32_e32 v10, 20, v10
	v_and_b32_e32 v17, 0x80000000, v17
	v_lshl_add_u32 v6, v6, 23, v19
	v_or3_b32 v17, v17, v6, v10
.LBB407_686:
	s_or_b64 exec, exec, s[8:9]
.LBB407_687:
	s_or_b64 exec, exec, s[6:7]
.LBB407_688:
	s_or_b64 exec, exec, s[4:5]
	s_mov_b32 s4, -1
	s_mov_b32 s5, 0xffffff
	v_cmp_lt_u64_e32 vcc, s[4:5], v[8:9]
	v_mov_b32_e32 v10, 0
	v_mov_b32_e32 v8, 0
	s_and_saveexec_b64 s[4:5], vcc
	s_cbranch_execz .LBB407_694
; %bb.689:
	v_lshrrev_b32_e32 v6, 24, v9
	s_movk_i32 s3, 0x80
	v_cmp_ne_u32_e32 vcc, s3, v6
	v_bfrev_b32_e32 v8, 1
	s_and_saveexec_b64 s[6:7], vcc
	s_cbranch_execz .LBB407_693
; %bb.690:
	v_bfe_u32 v9, v9, 24, 7
	s_movk_i32 s3, 0x7f
	v_cmp_ne_u32_e32 vcc, s3, v9
	v_mov_b32_e32 v8, 0x7f800001
	s_and_saveexec_b64 s[8:9], vcc
	s_cbranch_execz .LBB407_692
; %bb.691:
	v_and_b32_e32 v8, 7, v6
	v_ffbh_u32_e32 v20, v8
	v_min_u32_e32 v22, 32, v20
	v_subrev_u32_e32 v20, 28, v22
	v_lshlrev_b64 v[20:21], v20, v[6:7]
	v_lshrrev_b32_e32 v19, 3, v9
	v_sub_u32_e32 v21, 29, v22
	v_and_b32_e32 v20, 7, v20
	v_cmp_gt_u32_e32 vcc, 8, v9
	v_cndmask_b32_e32 v9, v19, v21, vcc
	v_cndmask_b32_e32 v8, v8, v20, vcc
	v_lshlrev_b32_e32 v6, 24, v6
	v_bfrev_b32_e32 v19, 60
	v_lshlrev_b32_e32 v8, 20, v8
	v_and_b32_e32 v6, 0x80000000, v6
	v_lshl_add_u32 v9, v9, 23, v19
	v_or3_b32 v8, v6, v9, v8
.LBB407_692:
	s_or_b64 exec, exec, s[8:9]
.LBB407_693:
	s_or_b64 exec, exec, s[6:7]
.LBB407_694:
	s_or_b64 exec, exec, s[4:5]
	v_cvt_pkrtz_f16_f32 v12, v12, v13
	v_cvt_pkrtz_f16_f32 v13, v11, v16
	;; [unrolled: 1-line block ×4, first 2 shown]
	v_mfma_f32_4x4x4f16 a[0:3], v[14:15], v[12:13], a[0:3] cbsz:4 abid:10
	s_waitcnt vmcnt(0)
	v_cmp_ne_u16_sdwa s[6:7], v2, v10 src0_sel:BYTE_0 src1_sel:DWORD
	v_mfma_f32_4x4x4f16 a[0:3], v[14:15], v[6:7], a[0:3] cbsz:4 abid:11
	s_and_saveexec_b64 s[4:5], s[6:7]
	s_cbranch_execz .LBB407_700
; %bb.695:
	s_movk_i32 s3, 0x80
	v_cmp_ne_u16_sdwa s[8:9], v2, s3 src0_sel:BYTE_0 src1_sel:DWORD
	v_bfrev_b32_e32 v10, 1
	s_and_saveexec_b64 s[6:7], s[8:9]
	s_cbranch_execz .LBB407_699
; %bb.696:
	s_movk_i32 s3, 0x7f
	v_and_b32_e32 v6, 0x7f, v2
	v_cmp_ne_u32_e32 vcc, s3, v6
	v_mov_b32_e32 v10, 0x7f800001
	s_and_saveexec_b64 s[8:9], vcc
	s_cbranch_execz .LBB407_698
; %bb.697:
	v_and_b32_e32 v7, 7, v2
	v_ffbh_u32_e32 v7, v7
	v_min_u32_e32 v7, 32, v7
	v_subrev_u32_e32 v9, 28, v7
	v_cmp_gt_u32_e32 vcc, 8, v6
	v_lshrrev_b32_e32 v8, 3, v6
	v_sub_u32_e32 v7, 29, v7
	v_cndmask_b32_e32 v6, 0, v9, vcc
	v_cndmask_b32_e32 v8, v8, v7, vcc
	v_lshlrev_b64 v[6:7], v6, v[2:3]
	v_lshlrev_b32_e32 v6, 20, v6
	v_lshlrev_b32_e32 v7, 24, v2
	v_bfrev_b32_e32 v9, 60
	v_and_b32_e32 v6, 0x700000, v6
	v_and_b32_e32 v7, 0x80000000, v7
	v_lshl_add_u32 v8, v8, 23, v9
	v_or3_b32 v10, v7, v8, v6
.LBB407_698:
	s_or_b64 exec, exec, s[8:9]
.LBB407_699:
	s_or_b64 exec, exec, s[6:7]
.LBB407_700:
	s_or_b64 exec, exec, s[4:5]
	v_lshrrev_b16_e32 v6, 8, v2
	v_cmp_ne_u16_e32 vcc, 0, v6
	v_mov_b32_e32 v9, 0
	v_mov_b32_e32 v11, 0
	s_and_saveexec_b64 s[4:5], vcc
	s_cbranch_execz .LBB407_706
; %bb.701:
	s_movk_i32 s3, 0x80
	v_cmp_ne_u16_e32 vcc, s3, v6
	v_bfrev_b32_e32 v11, 1
	s_and_saveexec_b64 s[6:7], vcc
	s_cbranch_execz .LBB407_705
; %bb.702:
	s_movk_i32 s3, 0x7f
	v_and_b32_e32 v7, 0x7f, v6
	v_cmp_ne_u32_e32 vcc, s3, v7
	v_mov_b32_e32 v11, 0x7f800001
	s_and_saveexec_b64 s[8:9], vcc
	s_cbranch_execz .LBB407_704
; %bb.703:
	v_and_b32_e32 v8, 7, v6
	v_ffbh_u32_e32 v12, v8
	v_min_u32_e32 v16, 32, v12
	v_subrev_u32_e32 v12, 28, v16
	v_lshlrev_b64 v[12:13], v12, v[6:7]
	v_lshrrev_b32_e32 v11, 3, v7
	v_sub_u32_e32 v6, 29, v16
	v_and_b32_e32 v12, 7, v12
	v_cmp_gt_u32_e32 vcc, 8, v7
	v_cndmask_b32_e32 v6, v11, v6, vcc
	v_cndmask_b32_e32 v7, v8, v12, vcc
	v_lshlrev_b32_e32 v8, 16, v2
	v_bfrev_b32_e32 v11, 60
	v_lshlrev_b32_e32 v7, 20, v7
	v_and_b32_e32 v8, 0x80000000, v8
	v_lshl_add_u32 v6, v6, 23, v11
	v_or3_b32 v11, v8, v6, v7
.LBB407_704:
	s_or_b64 exec, exec, s[8:9]
.LBB407_705:
	s_or_b64 exec, exec, s[6:7]
.LBB407_706:
	s_or_b64 exec, exec, s[4:5]
	s_movk_i32 s3, 0xff
	v_and_b32_sdwa v7, v2, s3 dst_sel:DWORD dst_unused:UNUSED_PAD src0_sel:WORD_1 src1_sel:DWORD
	v_lshrrev_b32_e32 v6, 16, v2
	v_cmp_ne_u16_e32 vcc, 0, v7
	s_and_saveexec_b64 s[4:5], vcc
	s_cbranch_execz .LBB407_712
; %bb.707:
	s_movk_i32 s3, 0x80
	v_cmp_ne_u16_e32 vcc, s3, v7
	v_bfrev_b32_e32 v9, 1
	s_and_saveexec_b64 s[6:7], vcc
	s_cbranch_execz .LBB407_711
; %bb.708:
	v_bfe_u32 v7, v2, 16, 7
	s_movk_i32 s3, 0x7f
	v_cmp_ne_u32_e32 vcc, s3, v7
	v_mov_b32_e32 v9, 0x7f800001
	s_and_saveexec_b64 s[8:9], vcc
	s_cbranch_execz .LBB407_710
; %bb.709:
	v_and_b32_e32 v12, 7, v6
	v_ffbh_u32_e32 v8, v12
	v_min_u32_e32 v16, 32, v8
	v_subrev_u32_e32 v8, 28, v16
	v_lshlrev_b64 v[8:9], v8, v[6:7]
	v_and_b32_e32 v8, 7, v8
	v_cmp_gt_u32_e32 vcc, 8, v7
	v_lshrrev_b32_e32 v13, 3, v7
	v_sub_u32_e32 v6, 29, v16
	v_cndmask_b32_e32 v7, v12, v8, vcc
	v_mov_b32_e32 v8, 24
	v_cndmask_b32_e32 v6, v13, v6, vcc
	v_lshlrev_b32_sdwa v8, v8, v2 dst_sel:DWORD dst_unused:UNUSED_PAD src0_sel:DWORD src1_sel:WORD_1
	v_bfrev_b32_e32 v9, 60
	v_lshlrev_b32_e32 v7, 20, v7
	v_and_b32_e32 v8, 0x80000000, v8
	v_lshl_add_u32 v6, v6, 23, v9
	v_or3_b32 v9, v8, v6, v7
.LBB407_710:
	s_or_b64 exec, exec, s[8:9]
.LBB407_711:
	s_or_b64 exec, exec, s[6:7]
.LBB407_712:
	s_or_b64 exec, exec, s[4:5]
	s_mov_b32 s3, 0xffffff
	v_cmp_lt_u32_e32 vcc, s3, v2
	v_mov_b32_e32 v7, 0
	v_mov_b32_e32 v12, 0
	s_and_saveexec_b64 s[4:5], vcc
	s_cbranch_execz .LBB407_718
; %bb.713:
	v_lshrrev_b32_e32 v6, 24, v2
	s_movk_i32 s3, 0x80
	v_cmp_ne_u32_e32 vcc, s3, v6
	v_bfrev_b32_e32 v12, 1
	s_and_saveexec_b64 s[6:7], vcc
	s_cbranch_execz .LBB407_717
; %bb.714:
	v_bfe_u32 v8, v2, 24, 7
	s_movk_i32 s3, 0x7f
	v_cmp_ne_u32_e32 vcc, s3, v8
	v_mov_b32_e32 v12, 0x7f800001
	s_and_saveexec_b64 s[8:9], vcc
	s_cbranch_execz .LBB407_716
; %bb.715:
	v_and_b32_e32 v16, 7, v6
	v_ffbh_u32_e32 v12, v16
	v_min_u32_e32 v18, 32, v12
	v_subrev_u32_e32 v12, 28, v18
	v_lshlrev_b64 v[12:13], v12, v[6:7]
	v_lshrrev_b32_e32 v17, 3, v8
	v_sub_u32_e32 v13, 29, v18
	v_and_b32_e32 v12, 7, v12
	v_cmp_gt_u32_e32 vcc, 8, v8
	v_cndmask_b32_e32 v8, v17, v13, vcc
	v_cndmask_b32_e32 v12, v16, v12, vcc
	v_lshlrev_b32_e32 v6, 24, v6
	v_bfrev_b32_e32 v13, 60
	v_lshlrev_b32_e32 v12, 20, v12
	v_and_b32_e32 v6, 0x80000000, v6
	v_lshl_add_u32 v8, v8, 23, v13
	v_or3_b32 v12, v6, v8, v12
.LBB407_716:
	s_or_b64 exec, exec, s[8:9]
.LBB407_717:
	s_or_b64 exec, exec, s[6:7]
.LBB407_718:
	s_or_b64 exec, exec, s[4:5]
	v_mov_b32_e32 v6, v3
	v_cmp_ne_u16_sdwa s[6:7], v3, v7 src0_sel:BYTE_0 src1_sel:DWORD
	s_and_saveexec_b64 s[4:5], s[6:7]
	s_cbranch_execz .LBB407_724
; %bb.719:
	s_movk_i32 s3, 0x80
	v_cmp_ne_u16_sdwa s[8:9], v3, s3 src0_sel:BYTE_0 src1_sel:DWORD
	v_bfrev_b32_e32 v8, 1
	s_and_saveexec_b64 s[6:7], s[8:9]
	s_cbranch_execz .LBB407_723
; %bb.720:
	s_movk_i32 s3, 0x7f
	v_and_b32_e32 v13, 0x7f, v3
	v_cmp_ne_u32_e32 vcc, s3, v13
	v_mov_b32_e32 v8, 0x7f800001
	s_and_saveexec_b64 s[8:9], vcc
	s_cbranch_execz .LBB407_722
; %bb.721:
	v_and_b32_e32 v8, 7, v3
	v_ffbh_u32_e32 v8, v8
	v_min_u32_e32 v8, 32, v8
	v_subrev_u32_e32 v17, 28, v8
	v_cmp_gt_u32_e32 vcc, 8, v13
	v_lshrrev_b32_e32 v16, 3, v13
	v_sub_u32_e32 v8, 29, v8
	v_cndmask_b32_e32 v13, 0, v17, vcc
	v_cndmask_b32_e32 v8, v16, v8, vcc
	v_lshlrev_b64 v[16:17], v13, v[6:7]
	v_lshlrev_b32_e32 v7, 20, v16
	v_lshlrev_b32_e32 v13, 24, v6
	v_bfrev_b32_e32 v16, 60
	v_and_b32_e32 v7, 0x700000, v7
	v_and_b32_e32 v13, 0x80000000, v13
	v_lshl_add_u32 v8, v8, 23, v16
	v_or3_b32 v8, v13, v8, v7
.LBB407_722:
	s_or_b64 exec, exec, s[8:9]
.LBB407_723:
	s_or_b64 exec, exec, s[6:7]
	v_mov_b32_e32 v7, v8
.LBB407_724:
	s_or_b64 exec, exec, s[4:5]
	v_lshrrev_b16_e32 v8, 8, v6
	v_cmp_ne_u16_e32 vcc, 0, v8
	v_mov_b32_e32 v13, 0
	v_mov_b32_e32 v16, 0
	s_and_saveexec_b64 s[4:5], vcc
	s_cbranch_execz .LBB407_730
; %bb.725:
	s_movk_i32 s3, 0x80
	v_cmp_ne_u16_e32 vcc, s3, v8
	v_bfrev_b32_e32 v16, 1
	s_and_saveexec_b64 s[6:7], vcc
	s_cbranch_execz .LBB407_729
; %bb.726:
	s_movk_i32 s3, 0x7f
	v_and_b32_e32 v17, 0x7f, v8
	v_cmp_ne_u32_e32 vcc, s3, v17
	v_mov_b32_e32 v16, 0x7f800001
	s_and_saveexec_b64 s[8:9], vcc
	s_cbranch_execz .LBB407_728
; %bb.727:
	v_and_b32_e32 v16, 7, v8
	v_ffbh_u32_e32 v18, v16
	v_min_u32_e32 v21, 32, v18
	v_subrev_u32_e32 v18, 28, v21
	v_lshlrev_b64 v[18:19], v18, v[8:9]
	v_lshrrev_b32_e32 v20, 3, v17
	v_sub_u32_e32 v8, 29, v21
	v_and_b32_e32 v18, 7, v18
	v_cmp_gt_u32_e32 vcc, 8, v17
	v_cndmask_b32_e32 v8, v20, v8, vcc
	v_cndmask_b32_e32 v16, v16, v18, vcc
	v_lshlrev_b32_e32 v6, 16, v6
	v_bfrev_b32_e32 v17, 60
	v_lshlrev_b32_e32 v16, 20, v16
	v_and_b32_e32 v6, 0x80000000, v6
	v_lshl_add_u32 v8, v8, 23, v17
	v_or3_b32 v16, v6, v8, v16
.LBB407_728:
	s_or_b64 exec, exec, s[8:9]
.LBB407_729:
	s_or_b64 exec, exec, s[6:7]
.LBB407_730:
	s_or_b64 exec, exec, s[4:5]
	s_movk_i32 s3, 0xff
	v_and_b32_sdwa v8, v3, s3 dst_sel:DWORD dst_unused:UNUSED_PAD src0_sel:WORD_1 src1_sel:DWORD
	v_lshrrev_b32_e32 v6, 16, v3
	v_cmp_ne_u16_e32 vcc, 0, v8
	s_and_saveexec_b64 s[4:5], vcc
	s_cbranch_execz .LBB407_736
; %bb.731:
	s_movk_i32 s3, 0x80
	v_cmp_ne_u16_e32 vcc, s3, v8
	v_bfrev_b32_e32 v13, 1
	s_and_saveexec_b64 s[6:7], vcc
	s_cbranch_execz .LBB407_735
; %bb.732:
	v_bfe_u32 v8, v3, 16, 7
	s_movk_i32 s3, 0x7f
	v_cmp_ne_u32_e32 vcc, s3, v8
	v_mov_b32_e32 v13, 0x7f800001
	s_and_saveexec_b64 s[8:9], vcc
	s_cbranch_execz .LBB407_734
; %bb.733:
	v_and_b32_e32 v13, 7, v6
	v_ffbh_u32_e32 v18, v13
	v_min_u32_e32 v20, 32, v18
	v_subrev_u32_e32 v18, 28, v20
	v_lshlrev_b64 v[18:19], v18, v[6:7]
	v_and_b32_e32 v18, 7, v18
	v_cmp_gt_u32_e32 vcc, 8, v8
	v_lshrrev_b32_e32 v17, 3, v8
	v_sub_u32_e32 v6, 29, v20
	v_cndmask_b32_e32 v8, v13, v18, vcc
	v_mov_b32_e32 v13, 24
	v_cndmask_b32_e32 v6, v17, v6, vcc
	v_lshlrev_b32_sdwa v13, v13, v3 dst_sel:DWORD dst_unused:UNUSED_PAD src0_sel:DWORD src1_sel:WORD_1
	v_bfrev_b32_e32 v17, 60
	v_lshlrev_b32_e32 v8, 20, v8
	v_and_b32_e32 v13, 0x80000000, v13
	v_lshl_add_u32 v6, v6, 23, v17
	v_or3_b32 v13, v13, v6, v8
.LBB407_734:
	s_or_b64 exec, exec, s[8:9]
.LBB407_735:
	s_or_b64 exec, exec, s[6:7]
.LBB407_736:
	s_or_b64 exec, exec, s[4:5]
	s_mov_b32 s4, -1
	s_mov_b32 s5, 0xffffff
	v_cmp_lt_u64_e32 vcc, s[4:5], v[2:3]
	v_mov_b32_e32 v8, 0
	v_mov_b32_e32 v6, 0
	s_and_saveexec_b64 s[4:5], vcc
	s_cbranch_execz .LBB407_742
; %bb.737:
	v_lshrrev_b32_e32 v2, 24, v3
	s_movk_i32 s3, 0x80
	v_cmp_ne_u32_e32 vcc, s3, v2
	v_bfrev_b32_e32 v6, 1
	s_and_saveexec_b64 s[6:7], vcc
	s_cbranch_execz .LBB407_741
; %bb.738:
	v_bfe_u32 v3, v3, 24, 7
	s_movk_i32 s3, 0x7f
	v_cmp_ne_u32_e32 vcc, s3, v3
	v_mov_b32_e32 v6, 0x7f800001
	s_and_saveexec_b64 s[8:9], vcc
	s_cbranch_execz .LBB407_740
; %bb.739:
	v_and_b32_e32 v6, 7, v2
	v_ffbh_u32_e32 v18, v6
	v_min_u32_e32 v20, 32, v18
	v_subrev_u32_e32 v18, 28, v20
	v_lshlrev_b64 v[18:19], v18, v[2:3]
	v_lshrrev_b32_e32 v17, 3, v3
	v_sub_u32_e32 v19, 29, v20
	v_and_b32_e32 v18, 7, v18
	v_cmp_gt_u32_e32 vcc, 8, v3
	v_cndmask_b32_e32 v3, v17, v19, vcc
	v_cndmask_b32_e32 v6, v6, v18, vcc
	v_lshlrev_b32_e32 v2, 24, v2
	v_bfrev_b32_e32 v17, 60
	v_lshlrev_b32_e32 v6, 20, v6
	v_and_b32_e32 v2, 0x80000000, v2
	v_lshl_add_u32 v3, v3, 23, v17
	v_or3_b32 v6, v2, v3, v6
.LBB407_740:
	s_or_b64 exec, exec, s[8:9]
.LBB407_741:
	s_or_b64 exec, exec, s[6:7]
.LBB407_742:
	s_or_b64 exec, exec, s[4:5]
	v_cvt_pkrtz_f16_f32 v2, v10, v11
	v_cvt_pkrtz_f16_f32 v3, v9, v12
	;; [unrolled: 1-line block ×4, first 2 shown]
	v_mfma_f32_4x4x4f16 a[0:3], v[14:15], v[2:3], a[0:3] cbsz:4 abid:12
	v_cmp_ne_u16_sdwa s[6:7], v4, v8 src0_sel:BYTE_0 src1_sel:DWORD
	v_mfma_f32_4x4x4f16 a[0:3], v[14:15], v[10:11], a[0:3] cbsz:4 abid:13
	s_and_saveexec_b64 s[4:5], s[6:7]
	s_cbranch_execz .LBB407_748
; %bb.743:
	s_movk_i32 s3, 0x80
	v_cmp_ne_u16_sdwa s[8:9], v4, s3 src0_sel:BYTE_0 src1_sel:DWORD
	v_bfrev_b32_e32 v8, 1
	s_and_saveexec_b64 s[6:7], s[8:9]
	s_cbranch_execz .LBB407_747
; %bb.744:
	s_movk_i32 s3, 0x7f
	v_and_b32_e32 v2, 0x7f, v4
	v_cmp_ne_u32_e32 vcc, s3, v2
	v_mov_b32_e32 v8, 0x7f800001
	s_and_saveexec_b64 s[8:9], vcc
	s_cbranch_execz .LBB407_746
; %bb.745:
	v_and_b32_e32 v3, 7, v4
	v_ffbh_u32_e32 v3, v3
	v_min_u32_e32 v3, 32, v3
	v_subrev_u32_e32 v7, 28, v3
	v_cmp_gt_u32_e32 vcc, 8, v2
	v_lshrrev_b32_e32 v6, 3, v2
	v_sub_u32_e32 v3, 29, v3
	v_cndmask_b32_e32 v2, 0, v7, vcc
	v_cndmask_b32_e32 v6, v6, v3, vcc
	v_lshlrev_b64 v[2:3], v2, v[4:5]
	v_lshlrev_b32_e32 v2, 20, v2
	v_lshlrev_b32_e32 v3, 24, v4
	v_bfrev_b32_e32 v7, 60
	v_and_b32_e32 v2, 0x700000, v2
	v_and_b32_e32 v3, 0x80000000, v3
	v_lshl_add_u32 v6, v6, 23, v7
	v_or3_b32 v8, v3, v6, v2
.LBB407_746:
	s_or_b64 exec, exec, s[8:9]
.LBB407_747:
	s_or_b64 exec, exec, s[6:7]
.LBB407_748:
	s_or_b64 exec, exec, s[4:5]
	v_lshrrev_b16_e32 v2, 8, v4
	v_cmp_ne_u16_e32 vcc, 0, v2
	v_mov_b32_e32 v7, 0
	v_mov_b32_e32 v9, 0
	s_and_saveexec_b64 s[4:5], vcc
	s_cbranch_execz .LBB407_754
; %bb.749:
	s_movk_i32 s3, 0x80
	v_cmp_ne_u16_e32 vcc, s3, v2
	v_bfrev_b32_e32 v9, 1
	s_and_saveexec_b64 s[6:7], vcc
	s_cbranch_execz .LBB407_753
; %bb.750:
	s_movk_i32 s3, 0x7f
	v_and_b32_e32 v3, 0x7f, v2
	v_cmp_ne_u32_e32 vcc, s3, v3
	v_mov_b32_e32 v9, 0x7f800001
	s_and_saveexec_b64 s[8:9], vcc
	s_cbranch_execz .LBB407_752
; %bb.751:
	v_and_b32_e32 v6, 7, v2
	v_ffbh_u32_e32 v10, v6
	v_min_u32_e32 v12, 32, v10
	v_subrev_u32_e32 v10, 28, v12
	v_lshlrev_b64 v[10:11], v10, v[2:3]
	v_lshrrev_b32_e32 v9, 3, v3
	v_sub_u32_e32 v2, 29, v12
	v_and_b32_e32 v10, 7, v10
	v_cmp_gt_u32_e32 vcc, 8, v3
	v_cndmask_b32_e32 v2, v9, v2, vcc
	v_cndmask_b32_e32 v3, v6, v10, vcc
	v_lshlrev_b32_e32 v6, 16, v4
	v_bfrev_b32_e32 v9, 60
	v_lshlrev_b32_e32 v3, 20, v3
	v_and_b32_e32 v6, 0x80000000, v6
	v_lshl_add_u32 v2, v2, 23, v9
	v_or3_b32 v9, v6, v2, v3
.LBB407_752:
	s_or_b64 exec, exec, s[8:9]
.LBB407_753:
	s_or_b64 exec, exec, s[6:7]
.LBB407_754:
	s_or_b64 exec, exec, s[4:5]
	s_movk_i32 s3, 0xff
	v_and_b32_sdwa v3, v4, s3 dst_sel:DWORD dst_unused:UNUSED_PAD src0_sel:WORD_1 src1_sel:DWORD
	v_lshrrev_b32_e32 v2, 16, v4
	v_cmp_ne_u16_e32 vcc, 0, v3
	s_and_saveexec_b64 s[4:5], vcc
	s_cbranch_execz .LBB407_760
; %bb.755:
	s_movk_i32 s3, 0x80
	v_cmp_ne_u16_e32 vcc, s3, v3
	v_bfrev_b32_e32 v7, 1
	s_and_saveexec_b64 s[6:7], vcc
	s_cbranch_execz .LBB407_759
; %bb.756:
	v_bfe_u32 v3, v4, 16, 7
	s_movk_i32 s3, 0x7f
	v_cmp_ne_u32_e32 vcc, s3, v3
	v_mov_b32_e32 v7, 0x7f800001
	s_and_saveexec_b64 s[8:9], vcc
	s_cbranch_execz .LBB407_758
; %bb.757:
	v_and_b32_e32 v10, 7, v2
	v_ffbh_u32_e32 v6, v10
	v_min_u32_e32 v12, 32, v6
	v_subrev_u32_e32 v6, 28, v12
	v_lshlrev_b64 v[6:7], v6, v[2:3]
	v_and_b32_e32 v6, 7, v6
	v_cmp_gt_u32_e32 vcc, 8, v3
	v_lshrrev_b32_e32 v11, 3, v3
	v_sub_u32_e32 v2, 29, v12
	v_cndmask_b32_e32 v3, v10, v6, vcc
	v_mov_b32_e32 v6, 24
	v_cndmask_b32_e32 v2, v11, v2, vcc
	v_lshlrev_b32_sdwa v6, v6, v4 dst_sel:DWORD dst_unused:UNUSED_PAD src0_sel:DWORD src1_sel:WORD_1
	v_bfrev_b32_e32 v7, 60
	v_lshlrev_b32_e32 v3, 20, v3
	v_and_b32_e32 v6, 0x80000000, v6
	v_lshl_add_u32 v2, v2, 23, v7
	v_or3_b32 v7, v6, v2, v3
.LBB407_758:
	s_or_b64 exec, exec, s[8:9]
.LBB407_759:
	s_or_b64 exec, exec, s[6:7]
.LBB407_760:
	s_or_b64 exec, exec, s[4:5]
	s_mov_b32 s3, 0xffffff
	v_cmp_lt_u32_e32 vcc, s3, v4
	v_mov_b32_e32 v3, 0
	v_mov_b32_e32 v10, 0
	s_and_saveexec_b64 s[4:5], vcc
	s_cbranch_execz .LBB407_766
; %bb.761:
	v_lshrrev_b32_e32 v2, 24, v4
	s_movk_i32 s3, 0x80
	v_cmp_ne_u32_e32 vcc, s3, v2
	v_bfrev_b32_e32 v10, 1
	s_and_saveexec_b64 s[6:7], vcc
	s_cbranch_execz .LBB407_765
; %bb.762:
	v_bfe_u32 v6, v4, 24, 7
	s_movk_i32 s3, 0x7f
	v_cmp_ne_u32_e32 vcc, s3, v6
	v_mov_b32_e32 v10, 0x7f800001
	s_and_saveexec_b64 s[8:9], vcc
	s_cbranch_execz .LBB407_764
; %bb.763:
	v_and_b32_e32 v12, 7, v2
	v_ffbh_u32_e32 v10, v12
	v_min_u32_e32 v16, 32, v10
	v_subrev_u32_e32 v10, 28, v16
	v_lshlrev_b64 v[10:11], v10, v[2:3]
	v_lshrrev_b32_e32 v13, 3, v6
	v_sub_u32_e32 v11, 29, v16
	v_and_b32_e32 v10, 7, v10
	v_cmp_gt_u32_e32 vcc, 8, v6
	v_cndmask_b32_e32 v6, v13, v11, vcc
	v_cndmask_b32_e32 v10, v12, v10, vcc
	v_lshlrev_b32_e32 v2, 24, v2
	v_bfrev_b32_e32 v11, 60
	v_lshlrev_b32_e32 v10, 20, v10
	v_and_b32_e32 v2, 0x80000000, v2
	v_lshl_add_u32 v6, v6, 23, v11
	v_or3_b32 v10, v2, v6, v10
.LBB407_764:
	s_or_b64 exec, exec, s[8:9]
.LBB407_765:
	s_or_b64 exec, exec, s[6:7]
.LBB407_766:
	s_or_b64 exec, exec, s[4:5]
	v_mov_b32_e32 v2, v5
	v_cmp_ne_u16_sdwa s[6:7], v5, v3 src0_sel:BYTE_0 src1_sel:DWORD
	s_and_saveexec_b64 s[4:5], s[6:7]
	s_cbranch_execz .LBB407_772
; %bb.767:
	s_movk_i32 s3, 0x80
	v_cmp_ne_u16_sdwa s[8:9], v5, s3 src0_sel:BYTE_0 src1_sel:DWORD
	v_bfrev_b32_e32 v6, 1
	s_and_saveexec_b64 s[6:7], s[8:9]
	s_cbranch_execz .LBB407_771
; %bb.768:
	s_movk_i32 s3, 0x7f
	v_and_b32_e32 v11, 0x7f, v5
	v_cmp_ne_u32_e32 vcc, s3, v11
	v_mov_b32_e32 v6, 0x7f800001
	s_and_saveexec_b64 s[8:9], vcc
	s_cbranch_execz .LBB407_770
; %bb.769:
	v_and_b32_e32 v6, 7, v5
	v_ffbh_u32_e32 v6, v6
	v_min_u32_e32 v6, 32, v6
	v_subrev_u32_e32 v13, 28, v6
	v_cmp_gt_u32_e32 vcc, 8, v11
	v_lshrrev_b32_e32 v12, 3, v11
	v_sub_u32_e32 v6, 29, v6
	v_cndmask_b32_e32 v11, 0, v13, vcc
	v_cndmask_b32_e32 v6, v12, v6, vcc
	v_lshlrev_b64 v[12:13], v11, v[2:3]
	v_lshlrev_b32_e32 v3, 20, v12
	v_lshlrev_b32_e32 v11, 24, v2
	v_bfrev_b32_e32 v12, 60
	v_and_b32_e32 v3, 0x700000, v3
	v_and_b32_e32 v11, 0x80000000, v11
	v_lshl_add_u32 v6, v6, 23, v12
	v_or3_b32 v6, v11, v6, v3
.LBB407_770:
	s_or_b64 exec, exec, s[8:9]
.LBB407_771:
	s_or_b64 exec, exec, s[6:7]
	v_mov_b32_e32 v3, v6
.LBB407_772:
	s_or_b64 exec, exec, s[4:5]
	v_lshrrev_b16_e32 v6, 8, v2
	v_cmp_ne_u16_e32 vcc, 0, v6
	v_mov_b32_e32 v11, 0
	v_mov_b32_e32 v12, 0
	s_and_saveexec_b64 s[4:5], vcc
	s_cbranch_execz .LBB407_778
; %bb.773:
	s_movk_i32 s3, 0x80
	v_cmp_ne_u16_e32 vcc, s3, v6
	v_bfrev_b32_e32 v12, 1
	s_and_saveexec_b64 s[6:7], vcc
	s_cbranch_execz .LBB407_777
; %bb.774:
	s_movk_i32 s3, 0x7f
	v_and_b32_e32 v13, 0x7f, v6
	v_cmp_ne_u32_e32 vcc, s3, v13
	v_mov_b32_e32 v12, 0x7f800001
	s_and_saveexec_b64 s[8:9], vcc
	s_cbranch_execz .LBB407_776
; %bb.775:
	v_and_b32_e32 v12, 7, v6
	v_ffbh_u32_e32 v16, v12
	v_min_u32_e32 v19, 32, v16
	v_subrev_u32_e32 v16, 28, v19
	v_lshlrev_b64 v[16:17], v16, v[6:7]
	v_lshrrev_b32_e32 v18, 3, v13
	v_sub_u32_e32 v6, 29, v19
	v_and_b32_e32 v16, 7, v16
	v_cmp_gt_u32_e32 vcc, 8, v13
	v_cndmask_b32_e32 v6, v18, v6, vcc
	v_cndmask_b32_e32 v12, v12, v16, vcc
	v_lshlrev_b32_e32 v2, 16, v2
	v_bfrev_b32_e32 v13, 60
	v_lshlrev_b32_e32 v12, 20, v12
	v_and_b32_e32 v2, 0x80000000, v2
	v_lshl_add_u32 v6, v6, 23, v13
	v_or3_b32 v12, v2, v6, v12
.LBB407_776:
	s_or_b64 exec, exec, s[8:9]
.LBB407_777:
	s_or_b64 exec, exec, s[6:7]
.LBB407_778:
	s_or_b64 exec, exec, s[4:5]
	s_movk_i32 s3, 0xff
	v_and_b32_sdwa v6, v5, s3 dst_sel:DWORD dst_unused:UNUSED_PAD src0_sel:WORD_1 src1_sel:DWORD
	v_lshrrev_b32_e32 v2, 16, v5
	v_cmp_ne_u16_e32 vcc, 0, v6
	s_and_saveexec_b64 s[4:5], vcc
	s_cbranch_execz .LBB407_784
; %bb.779:
	s_movk_i32 s3, 0x80
	v_cmp_ne_u16_e32 vcc, s3, v6
	v_bfrev_b32_e32 v11, 1
	s_and_saveexec_b64 s[6:7], vcc
	s_cbranch_execz .LBB407_783
; %bb.780:
	v_bfe_u32 v6, v5, 16, 7
	s_movk_i32 s3, 0x7f
	v_cmp_ne_u32_e32 vcc, s3, v6
	v_mov_b32_e32 v11, 0x7f800001
	s_and_saveexec_b64 s[8:9], vcc
	s_cbranch_execz .LBB407_782
; %bb.781:
	v_and_b32_e32 v11, 7, v2
	v_ffbh_u32_e32 v16, v11
	v_min_u32_e32 v18, 32, v16
	v_subrev_u32_e32 v16, 28, v18
	v_lshlrev_b64 v[16:17], v16, v[2:3]
	v_and_b32_e32 v16, 7, v16
	v_cmp_gt_u32_e32 vcc, 8, v6
	v_lshrrev_b32_e32 v13, 3, v6
	v_sub_u32_e32 v2, 29, v18
	v_cndmask_b32_e32 v6, v11, v16, vcc
	v_mov_b32_e32 v11, 24
	v_cndmask_b32_e32 v2, v13, v2, vcc
	v_lshlrev_b32_sdwa v11, v11, v5 dst_sel:DWORD dst_unused:UNUSED_PAD src0_sel:DWORD src1_sel:WORD_1
	v_bfrev_b32_e32 v13, 60
	v_lshlrev_b32_e32 v6, 20, v6
	v_and_b32_e32 v11, 0x80000000, v11
	v_lshl_add_u32 v2, v2, 23, v13
	v_or3_b32 v11, v11, v2, v6
.LBB407_782:
	s_or_b64 exec, exec, s[8:9]
.LBB407_783:
	s_or_b64 exec, exec, s[6:7]
.LBB407_784:
	s_or_b64 exec, exec, s[4:5]
	s_mov_b32 s4, -1
	s_mov_b32 s5, 0xffffff
	v_cmp_lt_u64_e32 vcc, s[4:5], v[4:5]
	v_mov_b32_e32 v4, 0
	s_and_saveexec_b64 s[4:5], vcc
	s_cbranch_execz .LBB407_790
; %bb.785:
	v_lshrrev_b32_e32 v2, 24, v5
	s_movk_i32 s3, 0x80
	v_cmp_ne_u32_e32 vcc, s3, v2
	v_bfrev_b32_e32 v4, 1
	s_and_saveexec_b64 s[6:7], vcc
	s_cbranch_execz .LBB407_789
; %bb.786:
	v_bfe_u32 v5, v5, 24, 7
	s_movk_i32 s3, 0x7f
	v_cmp_ne_u32_e32 vcc, s3, v5
	v_mov_b32_e32 v4, 0x7f800001
	s_and_saveexec_b64 s[8:9], vcc
	s_cbranch_execz .LBB407_788
; %bb.787:
	v_and_b32_e32 v4, 7, v2
	v_ffbh_u32_e32 v13, v4
	v_min_u32_e32 v13, 32, v13
	v_subrev_u32_e32 v16, 28, v13
	v_lshlrev_b64 v[16:17], v16, v[2:3]
	v_lshrrev_b32_e32 v6, 3, v5
	v_sub_u32_e32 v13, 29, v13
	v_and_b32_e32 v16, 7, v16
	v_cmp_gt_u32_e32 vcc, 8, v5
	v_cndmask_b32_e32 v5, v6, v13, vcc
	v_cndmask_b32_e32 v4, v4, v16, vcc
	v_lshlrev_b32_e32 v2, 24, v2
	v_bfrev_b32_e32 v6, 60
	v_lshlrev_b32_e32 v4, 20, v4
	v_and_b32_e32 v2, 0x80000000, v2
	v_lshl_add_u32 v5, v5, 23, v6
	v_or3_b32 v4, v2, v5, v4
.LBB407_788:
	s_or_b64 exec, exec, s[8:9]
.LBB407_789:
	s_or_b64 exec, exec, s[6:7]
.LBB407_790:
	s_or_b64 exec, exec, s[4:5]
	v_cvt_pkrtz_f16_f32 v6, v8, v9
	v_cvt_pkrtz_f16_f32 v7, v7, v10
	;; [unrolled: 1-line block ×4, first 2 shown]
	v_mfma_f32_4x4x4f16 a[0:3], v[14:15], v[6:7], a[0:3] cbsz:4 abid:14
	s_load_dword s4, s[14:15], 0x0
	v_mfma_f32_4x4x4f16 a[0:3], v[14:15], v[2:3], a[0:3] cbsz:4 abid:15
	s_nop 4
	v_accvgpr_read_b32 v5, a1
	v_accvgpr_read_b32 v3, a3
	;; [unrolled: 1-line block ×4, first 2 shown]
	s_waitcnt lgkmcnt(0)
	v_pk_mul_f32 v[2:3], v[2:3], s[4:5] op_sel_hi:[1,0]
	v_pk_mul_f32 v[4:5], v[4:5], s[4:5] op_sel_hi:[1,0]
	v_cvt_f16_f32_e32 v4, v4
	v_cvt_f16_f32_e32 v5, v5
	;; [unrolled: 1-line block ×4, first 2 shown]
	v_pack_b32_f16 v2, v4, v5
	v_mad_u32_u24 v4, v1, 40, v25
	v_pack_b32_f16 v3, v6, v3
	ds_write_b64 v4, v[2:3]
.LBB407_791:
	s_or_b64 exec, exec, s[0:1]
	v_cmp_gt_u32_e32 vcc, 64, v0
	s_waitcnt lgkmcnt(0)
	s_barrier
	s_and_saveexec_b64 s[0:1], vcc
	s_cbranch_execz .LBB407_793
; %bb.792:
	s_mov_b32 s1, 0
	s_lshl_b32 s0, s2, 6
	v_mul_u32_u24_e32 v1, 40, v1
	s_lshl_b64 s[2:3], s[0:1], 1
	s_waitcnt vmcnt(0)
	ds_read2_b64 v[2:5], v1 offset1:1
	ds_read2_b64 v[6:9], v1 offset0:2 offset1:3
	s_add_u32 s2, s30, s2
	s_addc_u32 s3, s31, s3
	s_lshl_b32 s0, s28, 6
	s_lshl_b64 s[0:1], s[0:1], 1
	s_add_u32 s0, s2, s0
	s_addc_u32 s1, s3, s1
	s_lshl_b32 s2, s33, 6
	s_waitcnt lgkmcnt(1)
	v_pk_add_f16 v1, v2, 0
	s_mul_i32 s3, s2, s10
	v_pk_add_f16 v1, v1, v4
	v_or_b32_e32 v2, s3, v0
	v_mov_b32_e32 v3, 0
	s_waitcnt lgkmcnt(0)
	v_pk_add_f16 v1, v1, v6
	v_lshlrev_b64 v[4:5], 1, v[2:3]
	s_add_i32 s3, s3, s2
	v_pk_add_f16 v6, v1, v8
	v_mov_b32_e32 v1, s1
	v_add_co_u32_e32 v4, vcc, s0, v4
	v_or_b32_e32 v2, s3, v0
	v_addc_co_u32_e32 v5, vcc, v1, v5, vcc
	v_lshlrev_b64 v[0:1], 1, v[2:3]
	v_mov_b32_e32 v2, s1
	v_add_co_u32_e32 v0, vcc, s0, v0
	v_addc_co_u32_e32 v1, vcc, v2, v1, vcc
	global_store_short v[4:5], v6, off
	global_store_short_d16_hi v[0:1], v6, off
.LBB407_793:
	s_endpgm
	.section	.rodata,"a",@progbits
	.p2align	6, 0x0
	.amdhsa_kernel _Z38paged_attention_ll4mi_QKV_mfma4_kernelIDF16_hLN4vllm18Fp8KVCacheDataTypeE1EDF16_Li16ELi64ELi256ELb0ELi2EEvPKT_PKT0_S7_ifPKiS9_S9_iPKfiiiPfSC_PS2_PT2_iSB_SB_
		.amdhsa_group_segment_fixed_size 2720
		.amdhsa_private_segment_fixed_size 0
		.amdhsa_kernarg_size 400
		.amdhsa_user_sgpr_count 6
		.amdhsa_user_sgpr_private_segment_buffer 1
		.amdhsa_user_sgpr_dispatch_ptr 0
		.amdhsa_user_sgpr_queue_ptr 0
		.amdhsa_user_sgpr_kernarg_segment_ptr 1
		.amdhsa_user_sgpr_dispatch_id 0
		.amdhsa_user_sgpr_flat_scratch_init 0
		.amdhsa_user_sgpr_kernarg_preload_length 0
		.amdhsa_user_sgpr_kernarg_preload_offset 0
		.amdhsa_user_sgpr_private_segment_size 0
		.amdhsa_uses_dynamic_stack 0
		.amdhsa_system_sgpr_private_segment_wavefront_offset 0
		.amdhsa_system_sgpr_workgroup_id_x 1
		.amdhsa_system_sgpr_workgroup_id_y 1
		.amdhsa_system_sgpr_workgroup_id_z 1
		.amdhsa_system_sgpr_workgroup_info 0
		.amdhsa_system_vgpr_workitem_id 0
		.amdhsa_next_free_vgpr 60
		.amdhsa_next_free_sgpr 42
		.amdhsa_accum_offset 56
		.amdhsa_reserve_vcc 1
		.amdhsa_reserve_flat_scratch 0
		.amdhsa_float_round_mode_32 0
		.amdhsa_float_round_mode_16_64 0
		.amdhsa_float_denorm_mode_32 3
		.amdhsa_float_denorm_mode_16_64 3
		.amdhsa_dx10_clamp 1
		.amdhsa_ieee_mode 1
		.amdhsa_fp16_overflow 0
		.amdhsa_tg_split 0
		.amdhsa_exception_fp_ieee_invalid_op 0
		.amdhsa_exception_fp_denorm_src 0
		.amdhsa_exception_fp_ieee_div_zero 0
		.amdhsa_exception_fp_ieee_overflow 0
		.amdhsa_exception_fp_ieee_underflow 0
		.amdhsa_exception_fp_ieee_inexact 0
		.amdhsa_exception_int_div_zero 0
	.end_amdhsa_kernel
	.section	.text._Z38paged_attention_ll4mi_QKV_mfma4_kernelIDF16_hLN4vllm18Fp8KVCacheDataTypeE1EDF16_Li16ELi64ELi256ELb0ELi2EEvPKT_PKT0_S7_ifPKiS9_S9_iPKfiiiPfSC_PS2_PT2_iSB_SB_,"axG",@progbits,_Z38paged_attention_ll4mi_QKV_mfma4_kernelIDF16_hLN4vllm18Fp8KVCacheDataTypeE1EDF16_Li16ELi64ELi256ELb0ELi2EEvPKT_PKT0_S7_ifPKiS9_S9_iPKfiiiPfSC_PS2_PT2_iSB_SB_,comdat
.Lfunc_end407:
	.size	_Z38paged_attention_ll4mi_QKV_mfma4_kernelIDF16_hLN4vllm18Fp8KVCacheDataTypeE1EDF16_Li16ELi64ELi256ELb0ELi2EEvPKT_PKT0_S7_ifPKiS9_S9_iPKfiiiPfSC_PS2_PT2_iSB_SB_, .Lfunc_end407-_Z38paged_attention_ll4mi_QKV_mfma4_kernelIDF16_hLN4vllm18Fp8KVCacheDataTypeE1EDF16_Li16ELi64ELi256ELb0ELi2EEvPKT_PKT0_S7_ifPKiS9_S9_iPKfiiiPfSC_PS2_PT2_iSB_SB_
                                        ; -- End function
	.section	.AMDGPU.csdata,"",@progbits
; Kernel info:
; codeLenInByte = 26396
; NumSgprs: 46
; NumVgprs: 55
; NumAgprs: 4
; TotalNumVgprs: 60
; ScratchSize: 0
; MemoryBound: 0
; FloatMode: 240
; IeeeMode: 1
; LDSByteSize: 2720 bytes/workgroup (compile time only)
; SGPRBlocks: 5
; VGPRBlocks: 7
; NumSGPRsForWavesPerEU: 46
; NumVGPRsForWavesPerEU: 60
; AccumOffset: 56
; Occupancy: 8
; WaveLimiterHint : 1
; COMPUTE_PGM_RSRC2:SCRATCH_EN: 0
; COMPUTE_PGM_RSRC2:USER_SGPR: 6
; COMPUTE_PGM_RSRC2:TRAP_HANDLER: 0
; COMPUTE_PGM_RSRC2:TGID_X_EN: 1
; COMPUTE_PGM_RSRC2:TGID_Y_EN: 1
; COMPUTE_PGM_RSRC2:TGID_Z_EN: 1
; COMPUTE_PGM_RSRC2:TIDIG_COMP_CNT: 0
; COMPUTE_PGM_RSRC3_GFX90A:ACCUM_OFFSET: 13
; COMPUTE_PGM_RSRC3_GFX90A:TG_SPLIT: 0
	.section	.text._Z38paged_attention_ll4mi_QKV_mfma4_kernelIDF16_hLN4vllm18Fp8KVCacheDataTypeE1EDF16_Li16ELi64ELi256ELb0ELi3EEvPKT_PKT0_S7_ifPKiS9_S9_iPKfiiiPfSC_PS2_PT2_iSB_SB_,"axG",@progbits,_Z38paged_attention_ll4mi_QKV_mfma4_kernelIDF16_hLN4vllm18Fp8KVCacheDataTypeE1EDF16_Li16ELi64ELi256ELb0ELi3EEvPKT_PKT0_S7_ifPKiS9_S9_iPKfiiiPfSC_PS2_PT2_iSB_SB_,comdat
	.protected	_Z38paged_attention_ll4mi_QKV_mfma4_kernelIDF16_hLN4vllm18Fp8KVCacheDataTypeE1EDF16_Li16ELi64ELi256ELb0ELi3EEvPKT_PKT0_S7_ifPKiS9_S9_iPKfiiiPfSC_PS2_PT2_iSB_SB_ ; -- Begin function _Z38paged_attention_ll4mi_QKV_mfma4_kernelIDF16_hLN4vllm18Fp8KVCacheDataTypeE1EDF16_Li16ELi64ELi256ELb0ELi3EEvPKT_PKT0_S7_ifPKiS9_S9_iPKfiiiPfSC_PS2_PT2_iSB_SB_
	.globl	_Z38paged_attention_ll4mi_QKV_mfma4_kernelIDF16_hLN4vllm18Fp8KVCacheDataTypeE1EDF16_Li16ELi64ELi256ELb0ELi3EEvPKT_PKT0_S7_ifPKiS9_S9_iPKfiiiPfSC_PS2_PT2_iSB_SB_
	.p2align	8
	.type	_Z38paged_attention_ll4mi_QKV_mfma4_kernelIDF16_hLN4vllm18Fp8KVCacheDataTypeE1EDF16_Li16ELi64ELi256ELb0ELi3EEvPKT_PKT0_S7_ifPKiS9_S9_iPKfiiiPfSC_PS2_PT2_iSB_SB_,@function
_Z38paged_attention_ll4mi_QKV_mfma4_kernelIDF16_hLN4vllm18Fp8KVCacheDataTypeE1EDF16_Li16ELi64ELi256ELb0ELi3EEvPKT_PKT0_S7_ifPKiS9_S9_iPKfiiiPfSC_PS2_PT2_iSB_SB_: ; @_Z38paged_attention_ll4mi_QKV_mfma4_kernelIDF16_hLN4vllm18Fp8KVCacheDataTypeE1EDF16_Li16ELi64ELi256ELb0ELi3EEvPKT_PKT0_S7_ifPKiS9_S9_iPKfiiiPfSC_PS2_PT2_iSB_SB_
; %bb.0:
	s_load_dwordx2 s[2:3], s[4:5], 0x30
	s_mov_b32 s28, s7
	s_mov_b64 s[0:1], 0
	s_waitcnt lgkmcnt(0)
	s_cmp_lg_u64 s[2:3], 0
	s_cselect_b64 s[10:11], -1, 0
	s_and_b64 vcc, exec, s[10:11]
	s_cbranch_vccz .LBB408_10
; %bb.1:
	s_add_i32 s12, s6, 1
	s_mov_b32 s13, 0
	s_lshl_b64 s[14:15], s[12:13], 2
	s_add_u32 s14, s2, s14
	s_mov_b32 s7, s13
	s_addc_u32 s15, s3, s15
	s_lshl_b64 s[12:13], s[6:7], 2
	s_add_u32 s12, s2, s12
	s_addc_u32 s13, s3, s13
	s_load_dword s9, s[14:15], 0x0
	s_load_dword s16, s[12:13], 0x0
	s_waitcnt lgkmcnt(0)
	s_sub_i32 s9, s9, s16
	s_cmp_eq_u32 s9, 1
	s_cselect_b64 s[12:13], -1, 0
	s_andn2_b64 vcc, exec, s[0:1]
	s_cbranch_vccnz .LBB408_3
.LBB408_2:
	s_mov_b32 s7, 0
	s_mov_b64 s[12:13], -1
.LBB408_3:
	s_andn2_b64 vcc, exec, s[12:13]
	s_cbranch_vccnz .LBB408_793
; %bb.4:
	s_load_dword s9, s[4:5], 0x9c
	s_load_dwordx2 s[0:1], s[4:5], 0x28
	s_add_u32 s34, s4, 0x90
	s_addc_u32 s35, s5, 0
	s_lshl_b64 s[20:21], s[6:7], 2
	s_waitcnt lgkmcnt(0)
	s_and_b32 s9, s9, 0xffff
	s_add_u32 s0, s0, s20
	s_addc_u32 s1, s1, s21
	s_load_dword s7, s[0:1], 0x0
	s_mul_i32 s9, s28, s9
	s_waitcnt lgkmcnt(0)
	s_cmp_ge_i32 s9, s7
	s_cbranch_scc1 .LBB408_793
; %bb.5:
	v_and_b32_e32 v1, 0xc0, v0
	v_add_u32_e32 v4, s9, v1
	v_lshrrev_b32_e32 v42, 6, v0
	v_cmp_le_i32_e64 s[0:1], s7, v4
                                        ; implicit-def: $sgpr23
                                        ; implicit-def: $sgpr22
	s_and_saveexec_b64 s[12:13], s[0:1]
	s_xor_b64 s[12:13], exec, s[12:13]
	s_cbranch_execz .LBB408_7
; %bb.6:
	v_mul_u32_u24_e32 v1, 20, v42
	v_or_b32_e32 v1, 0xa00, v1
	v_mov_b32_e32 v2, 0xa50
	v_mov_b32_e32 v3, 0xff7fffff
	v_mad_u32_u24 v2, v42, 20, v2
	ds_write2_b32 v1, v3, v3 offset1:1
	v_mov_b32_e32 v1, 0
	ds_write2_b32 v2, v1, v1 offset1:1
	v_mov_b32_e32 v2, 0xa08
	v_mov_b32_e32 v4, 0xa58
	s_mov_b32 s22, 0xff7fffff
	s_mov_b32 s23, 0
	v_mad_u32_u24 v2, v42, 20, v2
	v_mad_u32_u24 v4, v42, 20, v4
	ds_write2_b32 v2, v3, v3 offset1:1
	ds_write2_b32 v4, v1, v1 offset1:1
                                        ; implicit-def: $vgpr4
.LBB408_7:
	s_or_saveexec_b64 s[36:37], s[12:13]
	s_load_dwordx2 s[30:31], s[4:5], 0x68
	s_load_dwordx4 s[16:19], s[4:5], 0x58
	s_load_dword s33, s[34:35], 0x4
	s_load_dwordx4 s[12:15], s[4:5], 0x80
	v_and_b32_e32 v1, 63, v0
	v_and_b32_e32 v43, 3, v0
	v_mov_b32_e32 v21, s23
	v_mov_b32_e32 v26, s22
	;; [unrolled: 1-line block ×5, first 2 shown]
                                        ; implicit-def: $vgpr14_vgpr15
                                        ; implicit-def: $vgpr10_vgpr11
                                        ; implicit-def: $vgpr6_vgpr7
                                        ; implicit-def: $vgpr2_vgpr3
	s_xor_b64 exec, exec, s[36:37]
	s_cbranch_execz .LBB408_401
; %bb.8:
	s_add_i32 s25, s7, 15
	s_ashr_i32 s26, s25, 31
	s_load_dwordx2 s[22:23], s[4:5], 0x20
	s_load_dword s24, s[4:5], 0x38
	s_lshr_b32 s26, s26, 28
	v_add_u32_e32 v44, s9, v0
	s_add_i32 s25, s25, s26
	v_ashrrev_i32_e32 v2, 31, v44
	s_ashr_i32 s25, s25, 4
	v_lshrrev_b32_e32 v2, 28, v2
	s_add_i32 s26, s25, -1
	v_add_u32_e32 v2, v44, v2
	v_ashrrev_i32_e32 v2, 4, v2
	v_mov_b32_e32 v3, s26
	v_cmp_gt_i32_e32 vcc, s7, v44
	s_waitcnt lgkmcnt(0)
	s_mul_i32 s24, s6, s24
	s_mov_b32 s25, 0
	v_cndmask_b32_e32 v2, v3, v2, vcc
	s_lshl_b64 s[24:25], s[24:25], 2
	v_ashrrev_i32_e32 v3, 31, v2
	s_add_u32 s22, s22, s24
	v_lshlrev_b64 v[2:3], 2, v[2:3]
	v_add_co_u32_e32 v8, vcc, s22, v2
	v_ashrrev_i32_e32 v2, 31, v4
	v_lshrrev_b32_e32 v2, 28, v2
	v_add_u32_e32 v2, v4, v2
	s_addc_u32 s23, s23, s25
	v_ashrrev_i32_e32 v4, 4, v2
	v_mov_b32_e32 v5, s23
	v_min_i32_e32 v2, s26, v4
	v_addc_co_u32_e32 v9, vcc, v5, v3, vcc
	v_ashrrev_i32_e32 v3, 31, v2
	v_lshlrev_b64 v[2:3], 2, v[2:3]
	v_add_co_u32_e32 v10, vcc, s22, v2
	v_add_u32_e32 v2, 1, v4
	v_min_i32_e32 v2, s26, v2
	v_addc_co_u32_e32 v11, vcc, v5, v3, vcc
	v_ashrrev_i32_e32 v3, 31, v2
	v_lshlrev_b64 v[2:3], 2, v[2:3]
	v_add_co_u32_e32 v12, vcc, s22, v2
	v_add_u32_e32 v2, 2, v4
	;; [unrolled: 6-line block ×3, first 2 shown]
	v_min_i32_e32 v2, s26, v2
	v_addc_co_u32_e32 v15, vcc, v5, v3, vcc
	v_ashrrev_i32_e32 v3, 31, v2
	v_lshlrev_b64 v[2:3], 2, v[2:3]
	v_mov_b32_e32 v4, s23
	v_add_co_u32_e32 v16, vcc, s22, v2
	v_addc_co_u32_e32 v17, vcc, v4, v3, vcc
	global_load_dword v6, v[8:9], off
	global_load_dword v5, v[10:11], off
	;; [unrolled: 1-line block ×5, first 2 shown]
	s_load_dwordx4 s[24:27], s[4:5], 0x8
	s_andn2_b64 vcc, exec, s[10:11]
	s_cbranch_vccnz .LBB408_11
; %bb.9:
	s_add_u32 s2, s2, s20
	s_addc_u32 s3, s3, s21
	s_load_dword s9, s[2:3], 0x0
	s_branch .LBB408_12
.LBB408_10:
	s_mov_b64 s[12:13], 0
	s_branch .LBB408_2
.LBB408_11:
	s_mov_b32 s9, s6
.LBB408_12:
	s_load_dwordx4 s[20:23], s[4:5], 0x48
	v_cmp_eq_u32_e32 vcc, 3, v43
	v_cmp_ne_u32_e64 s[2:3], 3, v43
	s_mov_b32 s39, 0
	v_mov_b32_e32 v39, 0
	v_mov_b32_e32 v18, 0
	;; [unrolled: 1-line block ×5, first 2 shown]
	s_and_saveexec_b64 s[10:11], s[2:3]
	s_cbranch_execz .LBB408_14
; %bb.13:
	s_load_dwordx2 s[2:3], s[4:5], 0x0
	s_waitcnt lgkmcnt(0)
	s_ashr_i32 s23, s20, 31
	s_mul_hi_u32 s29, s9, s20
	s_mul_i32 s23, s9, s23
	s_add_i32 s41, s29, s23
	s_mul_i32 s40, s9, s20
	s_lshl_b64 s[40:41], s[40:41], 1
	s_add_u32 s9, s2, s40
	s_mul_i32 s38, s8, 0xc0
	s_addc_u32 s20, s3, s41
	s_lshl_b64 s[2:3], s[38:39], 1
	s_add_u32 s2, s9, s2
	v_lshlrev_b32_e32 v7, 3, v43
	v_lshrrev_b32_e32 v8, 2, v1
	s_addc_u32 s3, s20, s3
	v_add_lshl_u32 v7, v7, v8, 4
	global_load_dwordx4 v[18:21], v7, s[2:3]
.LBB408_14:
	s_or_b64 exec, exec, s[10:11]
	s_waitcnt lgkmcnt(0)
	s_mul_i32 s9, s8, s22
	s_add_u32 s2, s9, s24
	s_addc_u32 s3, 0, s25
	v_pk_mov_b32 v[8:9], s[2:3], s[2:3] op_sel:[0,1]
	s_waitcnt vmcnt(4)
	v_mad_i64_i32 v[6:7], s[2:3], v6, s21, v[8:9]
	v_lshlrev_b32_e32 v8, 4, v0
	v_and_b32_e32 v8, 0xf0, v8
	v_add_co_u32_e64 v6, s[2:3], v6, v8
	v_addc_co_u32_e64 v7, s[2:3], 0, v7, s[2:3]
	s_add_u32 s2, s26, s9
	global_load_dwordx4 v[34:37], v[6:7], off
	global_load_dwordx4 v[30:33], v[6:7], off offset:256
	global_load_dwordx4 v[26:29], v[6:7], off offset:512
	global_load_dwordx4 v[22:25], v[6:7], off offset:768
	s_addc_u32 s3, s27, 0
	v_lshlrev_b32_e32 v6, 4, v1
	v_mov_b32_e32 v7, s3
	v_add_co_u32_e64 v8, s[2:3], s2, v6
	s_waitcnt vmcnt(7)
	v_mul_hi_i32 v6, v5, s21
	v_ashrrev_i32_e32 v6, 31, v6
	v_lshrrev_b32_e32 v38, 29, v6
	v_addc_co_u32_e64 v9, s[2:3], 0, v7, s[2:3]
	v_mad_i64_i32 v[6:7], s[2:3], v5, s21, v[38:39]
	v_and_b32_e32 v5, -8, v6
	v_add_co_u32_e64 v6, s[2:3], v8, v5
	s_waitcnt vmcnt(6)
	v_mul_hi_i32 v5, v4, s21
	v_ashrrev_i32_e32 v5, 31, v5
	v_lshrrev_b32_e32 v38, 29, v5
	v_addc_co_u32_e64 v7, s[2:3], v9, v7, s[2:3]
	v_mad_i64_i32 v[4:5], s[2:3], v4, s21, v[38:39]
	v_and_b32_e32 v4, -8, v4
	v_add_co_u32_e64 v4, s[2:3], v8, v4
	v_addc_co_u32_e64 v5, s[2:3], v9, v5, s[2:3]
	global_load_dwordx4 v[14:17], v[6:7], off
	global_load_dwordx4 v[10:13], v[4:5], off
	s_waitcnt vmcnt(7)
	v_mul_hi_i32 v4, v3, s21
	v_ashrrev_i32_e32 v4, 31, v4
	v_lshrrev_b32_e32 v38, 29, v4
	v_mad_i64_i32 v[4:5], s[2:3], v3, s21, v[38:39]
	v_and_b32_e32 v3, -8, v4
	v_add_co_u32_e64 v40, s[2:3], v8, v3
	s_waitcnt vmcnt(6)
	v_mul_hi_i32 v3, v2, s21
	v_ashrrev_i32_e32 v3, 31, v3
	v_lshrrev_b32_e32 v38, 29, v3
	v_addc_co_u32_e64 v41, s[2:3], v9, v5, s[2:3]
	v_mad_i64_i32 v[2:3], s[2:3], v2, s21, v[38:39]
	v_and_b32_e32 v2, -8, v2
	v_add_co_u32_e64 v46, s[2:3], v8, v2
	v_addc_co_u32_e64 v47, s[2:3], v9, v3, s[2:3]
	global_load_dwordx4 v[6:9], v[40:41], off
	global_load_dwordx4 v[2:5], v[46:47], off
	v_mov_b32_e32 v45, 0
	s_waitcnt vmcnt(7)
	v_cmp_ne_u16_sdwa s[2:3], v34, v39 src0_sel:BYTE_0 src1_sel:DWORD
	s_and_saveexec_b64 s[10:11], s[2:3]
	s_cbranch_execz .LBB408_20
; %bb.15:
	s_movk_i32 s2, 0x80
	v_cmp_ne_u16_sdwa s[2:3], v34, s2 src0_sel:BYTE_0 src1_sel:DWORD
	v_bfrev_b32_e32 v45, 1
	s_and_saveexec_b64 s[20:21], s[2:3]
	s_cbranch_execz .LBB408_19
; %bb.16:
	s_movk_i32 s2, 0x7f
	v_and_b32_e32 v38, 0x7f, v34
	v_cmp_ne_u32_e64 s[2:3], s2, v38
	v_mov_b32_e32 v45, 0x7f800001
	s_and_saveexec_b64 s[22:23], s[2:3]
	s_cbranch_execz .LBB408_18
; %bb.17:
	v_and_b32_e32 v40, 7, v34
	v_ffbh_u32_e32 v40, v40
	v_min_u32_e32 v40, 32, v40
	v_lshrrev_b32_e32 v41, 3, v38
	v_subrev_u32_e32 v45, 28, v40
	v_sub_u32_e32 v40, 29, v40
	v_cmp_gt_u32_e64 s[2:3], 8, v38
	v_cndmask_b32_e64 v38, v41, v40, s[2:3]
	v_cndmask_b32_e64 v40, 0, v45, s[2:3]
	v_lshlrev_b64 v[40:41], v40, v[34:35]
	v_lshlrev_b32_e32 v40, 20, v40
	v_lshlrev_b32_e32 v41, 24, v34
	v_bfrev_b32_e32 v45, 60
	v_and_b32_e32 v40, 0x700000, v40
	v_and_b32_e32 v41, 0x80000000, v41
	v_lshl_add_u32 v38, v38, 23, v45
	v_or3_b32 v45, v41, v38, v40
.LBB408_18:
	s_or_b64 exec, exec, s[22:23]
.LBB408_19:
	s_or_b64 exec, exec, s[20:21]
.LBB408_20:
	s_or_b64 exec, exec, s[10:11]
	v_lshrrev_b16_e32 v38, 8, v34
	v_cmp_ne_u16_e64 s[2:3], 0, v38
	s_and_saveexec_b64 s[10:11], s[2:3]
	s_cbranch_execz .LBB408_26
; %bb.21:
	s_movk_i32 s2, 0x80
	v_cmp_ne_u16_e64 s[2:3], s2, v38
	v_bfrev_b32_e32 v39, 1
	s_and_saveexec_b64 s[20:21], s[2:3]
	s_cbranch_execz .LBB408_25
; %bb.22:
	s_movk_i32 s2, 0x7f
	v_and_b32_e32 v40, 0x7f, v38
	v_cmp_ne_u32_e64 s[2:3], s2, v40
	v_mov_b32_e32 v39, 0x7f800001
	s_and_saveexec_b64 s[22:23], s[2:3]
	s_cbranch_execz .LBB408_24
; %bb.23:
	v_and_b32_e32 v41, 7, v38
	v_ffbh_u32_e32 v39, v41
	v_min_u32_e32 v47, 32, v39
	v_subrev_u32_e32 v39, 28, v47
	v_lshlrev_b64 v[38:39], v39, v[38:39]
	v_lshrrev_b32_e32 v46, 3, v40
	v_sub_u32_e32 v39, 29, v47
	v_and_b32_e32 v38, 7, v38
	v_cmp_gt_u32_e64 s[2:3], 8, v40
	v_cndmask_b32_e64 v39, v46, v39, s[2:3]
	v_cndmask_b32_e64 v38, v41, v38, s[2:3]
	v_lshlrev_b32_e32 v40, 16, v34
	v_bfrev_b32_e32 v41, 60
	v_lshlrev_b32_e32 v38, 20, v38
	v_and_b32_e32 v40, 0x80000000, v40
	v_lshl_add_u32 v39, v39, 23, v41
	v_or3_b32 v39, v40, v39, v38
.LBB408_24:
	s_or_b64 exec, exec, s[22:23]
.LBB408_25:
	s_or_b64 exec, exec, s[20:21]
.LBB408_26:
	s_or_b64 exec, exec, s[10:11]
	s_movk_i32 s2, 0xff
	v_and_b32_sdwa v40, v34, s2 dst_sel:DWORD dst_unused:UNUSED_PAD src0_sel:WORD_1 src1_sel:DWORD
	v_lshrrev_b32_e32 v38, 16, v34
	v_cmp_ne_u16_e64 s[2:3], 0, v40
	v_mov_b32_e32 v46, 0
	v_mov_b32_e32 v47, 0
	s_and_saveexec_b64 s[10:11], s[2:3]
	s_cbranch_execz .LBB408_32
; %bb.27:
	s_movk_i32 s2, 0x80
	v_cmp_ne_u16_e64 s[2:3], s2, v40
	v_bfrev_b32_e32 v47, 1
	s_and_saveexec_b64 s[20:21], s[2:3]
	s_cbranch_execz .LBB408_31
; %bb.28:
	v_bfe_u32 v40, v34, 16, 7
	s_movk_i32 s2, 0x7f
	v_cmp_ne_u32_e64 s[2:3], s2, v40
	v_mov_b32_e32 v47, 0x7f800001
	s_and_saveexec_b64 s[22:23], s[2:3]
	s_cbranch_execz .LBB408_30
; %bb.29:
	v_and_b32_e32 v41, 7, v38
	v_ffbh_u32_e32 v48, v41
	v_min_u32_e32 v50, 32, v48
	v_subrev_u32_e32 v48, 28, v50
	v_lshlrev_b64 v[48:49], v48, v[38:39]
	v_and_b32_e32 v48, 7, v48
	v_cmp_gt_u32_e64 s[2:3], 8, v40
	v_lshrrev_b32_e32 v47, 3, v40
	v_sub_u32_e32 v38, 29, v50
	v_cndmask_b32_e64 v40, v41, v48, s[2:3]
	v_mov_b32_e32 v41, 24
	v_cndmask_b32_e64 v38, v47, v38, s[2:3]
	v_lshlrev_b32_sdwa v41, v41, v34 dst_sel:DWORD dst_unused:UNUSED_PAD src0_sel:DWORD src1_sel:WORD_1
	v_bfrev_b32_e32 v47, 60
	v_lshlrev_b32_e32 v40, 20, v40
	v_and_b32_e32 v41, 0x80000000, v41
	v_lshl_add_u32 v38, v38, 23, v47
	v_or3_b32 v47, v41, v38, v40
.LBB408_30:
	s_or_b64 exec, exec, s[22:23]
.LBB408_31:
	s_or_b64 exec, exec, s[20:21]
.LBB408_32:
	s_or_b64 exec, exec, s[10:11]
	s_mov_b32 s2, 0xffffff
	v_cmp_lt_u32_e64 s[2:3], s2, v34
	s_and_saveexec_b64 s[10:11], s[2:3]
	s_cbranch_execz .LBB408_38
; %bb.33:
	v_lshrrev_b32_e32 v38, 24, v34
	s_movk_i32 s2, 0x80
	v_cmp_ne_u32_e64 s[2:3], s2, v38
	v_bfrev_b32_e32 v46, 1
	s_and_saveexec_b64 s[20:21], s[2:3]
	s_cbranch_execz .LBB408_37
; %bb.34:
	v_bfe_u32 v40, v34, 24, 7
	s_movk_i32 s2, 0x7f
	v_cmp_ne_u32_e64 s[2:3], s2, v40
	v_mov_b32_e32 v46, 0x7f800001
	s_and_saveexec_b64 s[22:23], s[2:3]
	s_cbranch_execz .LBB408_36
; %bb.35:
	v_and_b32_e32 v41, 7, v38
	v_ffbh_u32_e32 v48, v41
	v_min_u32_e32 v50, 32, v48
	v_subrev_u32_e32 v48, 28, v50
	v_lshlrev_b64 v[48:49], v48, v[38:39]
	v_lshrrev_b32_e32 v46, 3, v40
	v_sub_u32_e32 v49, 29, v50
	v_and_b32_e32 v48, 7, v48
	v_cmp_gt_u32_e64 s[2:3], 8, v40
	v_cndmask_b32_e64 v40, v46, v49, s[2:3]
	v_cndmask_b32_e64 v41, v41, v48, s[2:3]
	v_lshlrev_b32_e32 v38, 24, v38
	v_bfrev_b32_e32 v46, 60
	v_lshlrev_b32_e32 v41, 20, v41
	v_and_b32_e32 v38, 0x80000000, v38
	v_lshl_add_u32 v40, v40, 23, v46
	v_or3_b32 v46, v38, v40, v41
.LBB408_36:
	s_or_b64 exec, exec, s[22:23]
.LBB408_37:
	s_or_b64 exec, exec, s[20:21]
.LBB408_38:
	s_or_b64 exec, exec, s[10:11]
	v_mov_b32_e32 v41, 0
	v_mov_b32_e32 v40, v35
	v_cmp_ne_u16_sdwa s[2:3], v35, v41 src0_sel:BYTE_0 src1_sel:DWORD
	v_mov_b32_e32 v48, v41
	s_and_saveexec_b64 s[10:11], s[2:3]
	s_cbranch_execz .LBB408_44
; %bb.39:
	s_movk_i32 s2, 0x80
	v_cmp_ne_u16_sdwa s[2:3], v35, s2 src0_sel:BYTE_0 src1_sel:DWORD
	v_bfrev_b32_e32 v48, 1
	s_and_saveexec_b64 s[20:21], s[2:3]
	s_cbranch_execz .LBB408_43
; %bb.40:
	s_movk_i32 s2, 0x7f
	v_and_b32_e32 v38, 0x7f, v35
	v_cmp_ne_u32_e64 s[2:3], s2, v38
	v_mov_b32_e32 v48, 0x7f800001
	s_and_saveexec_b64 s[22:23], s[2:3]
	s_cbranch_execz .LBB408_42
; %bb.41:
	v_and_b32_e32 v48, 7, v35
	v_ffbh_u32_e32 v48, v48
	v_min_u32_e32 v48, 32, v48
	v_lshrrev_b32_e32 v49, 3, v38
	v_subrev_u32_e32 v50, 28, v48
	v_sub_u32_e32 v48, 29, v48
	v_cmp_gt_u32_e64 s[2:3], 8, v38
	v_cndmask_b32_e64 v38, v49, v48, s[2:3]
	v_cndmask_b32_e64 v48, 0, v50, s[2:3]
	v_lshlrev_b64 v[48:49], v48, v[40:41]
	v_lshlrev_b32_e32 v48, 20, v48
	v_lshlrev_b32_e32 v49, 24, v40
	v_bfrev_b32_e32 v50, 60
	v_and_b32_e32 v48, 0x700000, v48
	v_and_b32_e32 v49, 0x80000000, v49
	v_lshl_add_u32 v38, v38, 23, v50
	v_or3_b32 v48, v49, v38, v48
.LBB408_42:
	s_or_b64 exec, exec, s[22:23]
.LBB408_43:
	s_or_b64 exec, exec, s[20:21]
.LBB408_44:
	s_or_b64 exec, exec, s[10:11]
	v_lshrrev_b16_e32 v38, 8, v40
	v_cmp_ne_u16_e64 s[2:3], 0, v38
	s_and_saveexec_b64 s[10:11], s[2:3]
	s_cbranch_execz .LBB408_50
; %bb.45:
	s_movk_i32 s2, 0x80
	v_cmp_ne_u16_e64 s[2:3], s2, v38
	v_bfrev_b32_e32 v41, 1
	s_and_saveexec_b64 s[20:21], s[2:3]
	s_cbranch_execz .LBB408_49
; %bb.46:
	s_movk_i32 s2, 0x7f
	v_and_b32_e32 v49, 0x7f, v38
	v_cmp_ne_u32_e64 s[2:3], s2, v49
	v_mov_b32_e32 v41, 0x7f800001
	s_and_saveexec_b64 s[22:23], s[2:3]
	s_cbranch_execz .LBB408_48
; %bb.47:
	v_and_b32_e32 v41, 7, v38
	v_ffbh_u32_e32 v50, v41
	v_min_u32_e32 v53, 32, v50
	v_subrev_u32_e32 v50, 28, v53
	v_lshlrev_b64 v[50:51], v50, v[38:39]
	v_lshrrev_b32_e32 v52, 3, v49
	v_sub_u32_e32 v38, 29, v53
	v_and_b32_e32 v50, 7, v50
	v_cmp_gt_u32_e64 s[2:3], 8, v49
	v_cndmask_b32_e64 v38, v52, v38, s[2:3]
	v_cndmask_b32_e64 v41, v41, v50, s[2:3]
	v_lshlrev_b32_e32 v40, 16, v40
	v_bfrev_b32_e32 v49, 60
	v_lshlrev_b32_e32 v41, 20, v41
	v_and_b32_e32 v40, 0x80000000, v40
	v_lshl_add_u32 v38, v38, 23, v49
	v_or3_b32 v41, v40, v38, v41
.LBB408_48:
	s_or_b64 exec, exec, s[22:23]
.LBB408_49:
	s_or_b64 exec, exec, s[20:21]
.LBB408_50:
	s_or_b64 exec, exec, s[10:11]
	s_movk_i32 s2, 0xff
	v_and_b32_sdwa v50, v35, s2 dst_sel:DWORD dst_unused:UNUSED_PAD src0_sel:WORD_1 src1_sel:DWORD
	v_lshrrev_b32_e32 v38, 16, v35
	v_cmp_ne_u16_e64 s[2:3], 0, v50
	v_mov_b32_e32 v40, 0
	v_mov_b32_e32 v49, 0
	s_and_saveexec_b64 s[10:11], s[2:3]
	s_cbranch_execz .LBB408_56
; %bb.51:
	s_movk_i32 s2, 0x80
	v_cmp_ne_u16_e64 s[2:3], s2, v50
	v_bfrev_b32_e32 v49, 1
	s_and_saveexec_b64 s[20:21], s[2:3]
	s_cbranch_execz .LBB408_55
; %bb.52:
	v_bfe_u32 v50, v35, 16, 7
	s_movk_i32 s2, 0x7f
	v_cmp_ne_u32_e64 s[2:3], s2, v50
	v_mov_b32_e32 v49, 0x7f800001
	s_and_saveexec_b64 s[22:23], s[2:3]
	s_cbranch_execz .LBB408_54
; %bb.53:
	v_and_b32_e32 v49, 7, v38
	v_ffbh_u32_e32 v52, v49
	v_min_u32_e32 v54, 32, v52
	v_subrev_u32_e32 v52, 28, v54
	v_lshlrev_b64 v[52:53], v52, v[38:39]
	v_lshrrev_b32_e32 v51, 3, v50
	v_sub_u32_e32 v38, 29, v54
	v_and_b32_e32 v52, 7, v52
	v_cmp_gt_u32_e64 s[2:3], 8, v50
	v_mov_b32_e32 v50, 24
	v_cndmask_b32_e64 v38, v51, v38, s[2:3]
	v_cndmask_b32_e64 v49, v49, v52, s[2:3]
	v_lshlrev_b32_sdwa v50, v50, v35 dst_sel:DWORD dst_unused:UNUSED_PAD src0_sel:DWORD src1_sel:WORD_1
	v_bfrev_b32_e32 v51, 60
	v_lshlrev_b32_e32 v49, 20, v49
	v_and_b32_e32 v50, 0x80000000, v50
	v_lshl_add_u32 v38, v38, 23, v51
	v_or3_b32 v49, v50, v38, v49
.LBB408_54:
	s_or_b64 exec, exec, s[22:23]
.LBB408_55:
	s_or_b64 exec, exec, s[20:21]
.LBB408_56:
	s_or_b64 exec, exec, s[10:11]
	s_mov_b32 s2, -1
	s_mov_b32 s3, 0xffffff
	v_cmp_lt_u64_e64 s[2:3], s[2:3], v[34:35]
	s_and_saveexec_b64 s[10:11], s[2:3]
	s_cbranch_execz .LBB408_62
; %bb.57:
	v_lshrrev_b32_e32 v34, 24, v35
	s_movk_i32 s2, 0x80
	v_cmp_ne_u32_e64 s[2:3], s2, v34
	v_bfrev_b32_e32 v40, 1
	s_and_saveexec_b64 s[20:21], s[2:3]
	s_cbranch_execz .LBB408_61
; %bb.58:
	v_bfe_u32 v35, v35, 24, 7
	s_movk_i32 s2, 0x7f
	v_cmp_ne_u32_e64 s[2:3], s2, v35
	v_mov_b32_e32 v40, 0x7f800001
	s_and_saveexec_b64 s[22:23], s[2:3]
	s_cbranch_execz .LBB408_60
; %bb.59:
	v_and_b32_e32 v38, 7, v34
	v_ffbh_u32_e32 v50, v38
	v_min_u32_e32 v52, 32, v50
	v_subrev_u32_e32 v50, 28, v52
	v_lshlrev_b64 v[50:51], v50, v[34:35]
	v_lshrrev_b32_e32 v40, 3, v35
	v_sub_u32_e32 v51, 29, v52
	v_and_b32_e32 v50, 7, v50
	v_cmp_gt_u32_e64 s[2:3], 8, v35
	v_cndmask_b32_e64 v35, v40, v51, s[2:3]
	v_cndmask_b32_e64 v38, v38, v50, s[2:3]
	v_lshlrev_b32_e32 v34, 24, v34
	v_bfrev_b32_e32 v40, 60
	v_lshlrev_b32_e32 v38, 20, v38
	v_and_b32_e32 v34, 0x80000000, v34
	v_lshl_add_u32 v35, v35, 23, v40
	v_or3_b32 v40, v34, v35, v38
.LBB408_60:
	s_or_b64 exec, exec, s[22:23]
.LBB408_61:
	s_or_b64 exec, exec, s[20:21]
.LBB408_62:
	s_or_b64 exec, exec, s[10:11]
	v_cvt_pkrtz_f16_f32 v34, v45, v39
	v_cvt_pkrtz_f16_f32 v35, v47, v46
	;; [unrolled: 1-line block ×4, first 2 shown]
	v_mfma_f32_4x4x4f16 a[0:3], v[18:19], v[34:35], 0 cbsz:4
	v_mov_b32_e32 v40, 0
	v_mfma_f32_4x4x4f16 a[0:3], v[20:21], v[46:47], a[0:3] cbsz:4
	v_mov_b32_e32 v39, 0
	v_cmp_ne_u16_sdwa s[2:3], v36, v40 src0_sel:BYTE_0 src1_sel:DWORD
	s_and_saveexec_b64 s[10:11], s[2:3]
	s_cbranch_execz .LBB408_68
; %bb.63:
	s_movk_i32 s2, 0x80
	v_cmp_ne_u16_sdwa s[2:3], v36, s2 src0_sel:BYTE_0 src1_sel:DWORD
	v_bfrev_b32_e32 v39, 1
	s_and_saveexec_b64 s[20:21], s[2:3]
	s_cbranch_execz .LBB408_67
; %bb.64:
	s_movk_i32 s2, 0x7f
	v_and_b32_e32 v34, 0x7f, v36
	v_cmp_ne_u32_e64 s[2:3], s2, v34
	v_mov_b32_e32 v39, 0x7f800001
	s_and_saveexec_b64 s[22:23], s[2:3]
	s_cbranch_execz .LBB408_66
; %bb.65:
	v_and_b32_e32 v35, 7, v36
	v_ffbh_u32_e32 v35, v35
	v_min_u32_e32 v35, 32, v35
	v_subrev_u32_e32 v39, 28, v35
	v_cmp_gt_u32_e64 s[2:3], 8, v34
	v_lshrrev_b32_e32 v38, 3, v34
	v_sub_u32_e32 v35, 29, v35
	v_cndmask_b32_e64 v34, 0, v39, s[2:3]
	v_cndmask_b32_e64 v38, v38, v35, s[2:3]
	v_lshlrev_b64 v[34:35], v34, v[36:37]
	v_lshlrev_b32_e32 v34, 20, v34
	v_lshlrev_b32_e32 v35, 24, v36
	v_bfrev_b32_e32 v39, 60
	v_and_b32_e32 v34, 0x700000, v34
	v_and_b32_e32 v35, 0x80000000, v35
	v_lshl_add_u32 v38, v38, 23, v39
	v_or3_b32 v39, v35, v38, v34
.LBB408_66:
	s_or_b64 exec, exec, s[22:23]
.LBB408_67:
	s_or_b64 exec, exec, s[20:21]
.LBB408_68:
	s_or_b64 exec, exec, s[10:11]
	v_lshrrev_b16_e32 v34, 8, v36
	v_cmp_ne_u16_e64 s[2:3], 0, v34
	v_mov_b32_e32 v41, 0
	s_and_saveexec_b64 s[10:11], s[2:3]
	s_cbranch_execz .LBB408_74
; %bb.69:
	s_movk_i32 s2, 0x80
	v_cmp_ne_u16_e64 s[2:3], s2, v34
	v_bfrev_b32_e32 v41, 1
	s_and_saveexec_b64 s[20:21], s[2:3]
	s_cbranch_execz .LBB408_73
; %bb.70:
	s_movk_i32 s2, 0x7f
	v_and_b32_e32 v35, 0x7f, v34
	v_cmp_ne_u32_e64 s[2:3], s2, v35
	v_mov_b32_e32 v41, 0x7f800001
	s_and_saveexec_b64 s[22:23], s[2:3]
	s_cbranch_execz .LBB408_72
; %bb.71:
	v_and_b32_e32 v38, 7, v34
	v_ffbh_u32_e32 v45, v38
	v_min_u32_e32 v45, 32, v45
	v_subrev_u32_e32 v46, 28, v45
	v_lshlrev_b64 v[46:47], v46, v[34:35]
	v_lshrrev_b32_e32 v41, 3, v35
	v_sub_u32_e32 v34, 29, v45
	v_and_b32_e32 v45, 7, v46
	v_cmp_gt_u32_e64 s[2:3], 8, v35
	v_cndmask_b32_e64 v34, v41, v34, s[2:3]
	v_cndmask_b32_e64 v35, v38, v45, s[2:3]
	v_lshlrev_b32_e32 v38, 16, v36
	v_bfrev_b32_e32 v41, 60
	v_lshlrev_b32_e32 v35, 20, v35
	v_and_b32_e32 v38, 0x80000000, v38
	v_lshl_add_u32 v34, v34, 23, v41
	v_or3_b32 v41, v38, v34, v35
.LBB408_72:
	s_or_b64 exec, exec, s[22:23]
.LBB408_73:
	s_or_b64 exec, exec, s[20:21]
.LBB408_74:
	s_or_b64 exec, exec, s[10:11]
	s_movk_i32 s2, 0xff
	v_and_b32_sdwa v35, v36, s2 dst_sel:DWORD dst_unused:UNUSED_PAD src0_sel:WORD_1 src1_sel:DWORD
	v_lshrrev_b32_e32 v34, 16, v36
	v_cmp_ne_u16_e64 s[2:3], 0, v35
	s_and_saveexec_b64 s[10:11], s[2:3]
	s_cbranch_execz .LBB408_80
; %bb.75:
	s_movk_i32 s2, 0x80
	v_cmp_ne_u16_e64 s[2:3], s2, v35
	v_bfrev_b32_e32 v40, 1
	s_and_saveexec_b64 s[20:21], s[2:3]
	s_cbranch_execz .LBB408_79
; %bb.76:
	v_bfe_u32 v35, v36, 16, 7
	s_movk_i32 s2, 0x7f
	v_cmp_ne_u32_e64 s[2:3], s2, v35
	v_mov_b32_e32 v40, 0x7f800001
	s_and_saveexec_b64 s[22:23], s[2:3]
	s_cbranch_execz .LBB408_78
; %bb.77:
	v_and_b32_e32 v38, 7, v34
	v_ffbh_u32_e32 v45, v38
	v_min_u32_e32 v45, 32, v45
	v_subrev_u32_e32 v46, 28, v45
	v_lshlrev_b64 v[46:47], v46, v[34:35]
	v_sub_u32_e32 v34, 29, v45
	v_and_b32_e32 v45, 7, v46
	v_cmp_gt_u32_e64 s[2:3], 8, v35
	v_lshrrev_b32_e32 v40, 3, v35
	v_cndmask_b32_e64 v35, v38, v45, s[2:3]
	v_mov_b32_e32 v38, 24
	v_cndmask_b32_e64 v34, v40, v34, s[2:3]
	v_lshlrev_b32_sdwa v38, v38, v36 dst_sel:DWORD dst_unused:UNUSED_PAD src0_sel:DWORD src1_sel:WORD_1
	v_bfrev_b32_e32 v40, 60
	v_lshlrev_b32_e32 v35, 20, v35
	v_and_b32_e32 v38, 0x80000000, v38
	v_lshl_add_u32 v34, v34, 23, v40
	v_or3_b32 v40, v38, v34, v35
.LBB408_78:
	s_or_b64 exec, exec, s[22:23]
.LBB408_79:
	s_or_b64 exec, exec, s[20:21]
.LBB408_80:
	s_or_b64 exec, exec, s[10:11]
	s_mov_b32 s2, 0xffffff
	v_cmp_lt_u32_e64 s[2:3], s2, v36
	v_mov_b32_e32 v35, 0
	v_mov_b32_e32 v45, 0
	s_and_saveexec_b64 s[10:11], s[2:3]
	s_cbranch_execz .LBB408_86
; %bb.81:
	v_lshrrev_b32_e32 v34, 24, v36
	s_movk_i32 s2, 0x80
	v_cmp_ne_u32_e64 s[2:3], s2, v34
	v_bfrev_b32_e32 v45, 1
	s_and_saveexec_b64 s[20:21], s[2:3]
	s_cbranch_execz .LBB408_85
; %bb.82:
	v_bfe_u32 v38, v36, 24, 7
	s_movk_i32 s2, 0x7f
	v_cmp_ne_u32_e64 s[2:3], s2, v38
	v_mov_b32_e32 v45, 0x7f800001
	s_and_saveexec_b64 s[22:23], s[2:3]
	s_cbranch_execz .LBB408_84
; %bb.83:
	v_and_b32_e32 v45, 7, v34
	v_ffbh_u32_e32 v46, v45
	v_min_u32_e32 v49, 32, v46
	v_subrev_u32_e32 v46, 28, v49
	v_lshlrev_b64 v[46:47], v46, v[34:35]
	v_lshrrev_b32_e32 v48, 3, v38
	v_sub_u32_e32 v47, 29, v49
	v_and_b32_e32 v46, 7, v46
	v_cmp_gt_u32_e64 s[2:3], 8, v38
	v_cndmask_b32_e64 v38, v48, v47, s[2:3]
	v_cndmask_b32_e64 v45, v45, v46, s[2:3]
	v_lshlrev_b32_e32 v34, 24, v34
	v_bfrev_b32_e32 v46, 60
	v_lshlrev_b32_e32 v45, 20, v45
	v_and_b32_e32 v34, 0x80000000, v34
	v_lshl_add_u32 v38, v38, 23, v46
	v_or3_b32 v45, v34, v38, v45
.LBB408_84:
	s_or_b64 exec, exec, s[22:23]
.LBB408_85:
	s_or_b64 exec, exec, s[20:21]
.LBB408_86:
	s_or_b64 exec, exec, s[10:11]
	v_mov_b32_e32 v34, v37
	v_cmp_ne_u16_sdwa s[2:3], v37, v35 src0_sel:BYTE_0 src1_sel:DWORD
	s_and_saveexec_b64 s[10:11], s[2:3]
	s_cbranch_execz .LBB408_92
; %bb.87:
	s_movk_i32 s2, 0x80
	v_cmp_ne_u16_sdwa s[2:3], v37, s2 src0_sel:BYTE_0 src1_sel:DWORD
	v_bfrev_b32_e32 v38, 1
	s_and_saveexec_b64 s[20:21], s[2:3]
	s_cbranch_execz .LBB408_91
; %bb.88:
	s_movk_i32 s2, 0x7f
	v_and_b32_e32 v46, 0x7f, v37
	v_cmp_ne_u32_e64 s[2:3], s2, v46
	v_mov_b32_e32 v38, 0x7f800001
	s_and_saveexec_b64 s[22:23], s[2:3]
	s_cbranch_execz .LBB408_90
; %bb.89:
	v_and_b32_e32 v38, 7, v37
	v_ffbh_u32_e32 v38, v38
	v_min_u32_e32 v38, 32, v38
	v_subrev_u32_e32 v48, 28, v38
	v_cmp_gt_u32_e64 s[2:3], 8, v46
	v_lshrrev_b32_e32 v47, 3, v46
	v_sub_u32_e32 v38, 29, v38
	v_cndmask_b32_e64 v46, 0, v48, s[2:3]
	v_cndmask_b32_e64 v38, v47, v38, s[2:3]
	v_lshlrev_b64 v[46:47], v46, v[34:35]
	v_lshlrev_b32_e32 v35, 20, v46
	v_lshlrev_b32_e32 v46, 24, v34
	v_bfrev_b32_e32 v47, 60
	v_and_b32_e32 v35, 0x700000, v35
	v_and_b32_e32 v46, 0x80000000, v46
	v_lshl_add_u32 v38, v38, 23, v47
	v_or3_b32 v38, v46, v38, v35
.LBB408_90:
	s_or_b64 exec, exec, s[22:23]
.LBB408_91:
	s_or_b64 exec, exec, s[20:21]
	v_mov_b32_e32 v35, v38
.LBB408_92:
	s_or_b64 exec, exec, s[10:11]
	v_lshrrev_b16_e32 v38, 8, v34
	v_cmp_ne_u16_e64 s[2:3], 0, v38
	v_mov_b32_e32 v46, 0
	v_mov_b32_e32 v47, 0
	s_and_saveexec_b64 s[10:11], s[2:3]
	s_cbranch_execz .LBB408_98
; %bb.93:
	s_movk_i32 s2, 0x80
	v_cmp_ne_u16_e64 s[2:3], s2, v38
	v_bfrev_b32_e32 v47, 1
	s_and_saveexec_b64 s[20:21], s[2:3]
	s_cbranch_execz .LBB408_97
; %bb.94:
	s_movk_i32 s2, 0x7f
	v_and_b32_e32 v48, 0x7f, v38
	v_cmp_ne_u32_e64 s[2:3], s2, v48
	v_mov_b32_e32 v47, 0x7f800001
	s_and_saveexec_b64 s[22:23], s[2:3]
	s_cbranch_execz .LBB408_96
; %bb.95:
	v_and_b32_e32 v47, 7, v38
	v_ffbh_u32_e32 v50, v47
	v_min_u32_e32 v52, 32, v50
	v_subrev_u32_e32 v50, 28, v52
	v_lshlrev_b64 v[50:51], v50, v[38:39]
	v_lshrrev_b32_e32 v49, 3, v48
	v_sub_u32_e32 v38, 29, v52
	v_and_b32_e32 v50, 7, v50
	v_cmp_gt_u32_e64 s[2:3], 8, v48
	v_cndmask_b32_e64 v38, v49, v38, s[2:3]
	v_cndmask_b32_e64 v47, v47, v50, s[2:3]
	v_lshlrev_b32_e32 v34, 16, v34
	v_bfrev_b32_e32 v48, 60
	v_lshlrev_b32_e32 v47, 20, v47
	v_and_b32_e32 v34, 0x80000000, v34
	v_lshl_add_u32 v38, v38, 23, v48
	v_or3_b32 v47, v34, v38, v47
.LBB408_96:
	s_or_b64 exec, exec, s[22:23]
.LBB408_97:
	s_or_b64 exec, exec, s[20:21]
.LBB408_98:
	s_or_b64 exec, exec, s[10:11]
	s_movk_i32 s2, 0xff
	v_and_b32_sdwa v38, v37, s2 dst_sel:DWORD dst_unused:UNUSED_PAD src0_sel:WORD_1 src1_sel:DWORD
	v_lshrrev_b32_e32 v34, 16, v37
	v_cmp_ne_u16_e64 s[2:3], 0, v38
	s_and_saveexec_b64 s[10:11], s[2:3]
	s_cbranch_execz .LBB408_104
; %bb.99:
	s_movk_i32 s2, 0x80
	v_cmp_ne_u16_e64 s[2:3], s2, v38
	v_bfrev_b32_e32 v46, 1
	s_and_saveexec_b64 s[20:21], s[2:3]
	s_cbranch_execz .LBB408_103
; %bb.100:
	v_bfe_u32 v38, v37, 16, 7
	s_movk_i32 s2, 0x7f
	v_cmp_ne_u32_e64 s[2:3], s2, v38
	v_mov_b32_e32 v46, 0x7f800001
	s_and_saveexec_b64 s[22:23], s[2:3]
	s_cbranch_execz .LBB408_102
; %bb.101:
	v_and_b32_e32 v46, 7, v34
	v_ffbh_u32_e32 v48, v46
	v_min_u32_e32 v51, 32, v48
	v_subrev_u32_e32 v48, 28, v51
	v_lshlrev_b64 v[48:49], v48, v[34:35]
	v_and_b32_e32 v48, 7, v48
	v_cmp_gt_u32_e64 s[2:3], 8, v38
	v_lshrrev_b32_e32 v50, 3, v38
	v_sub_u32_e32 v34, 29, v51
	v_cndmask_b32_e64 v38, v46, v48, s[2:3]
	v_mov_b32_e32 v46, 24
	v_cndmask_b32_e64 v34, v50, v34, s[2:3]
	v_lshlrev_b32_sdwa v46, v46, v37 dst_sel:DWORD dst_unused:UNUSED_PAD src0_sel:DWORD src1_sel:WORD_1
	v_bfrev_b32_e32 v48, 60
	v_lshlrev_b32_e32 v38, 20, v38
	v_and_b32_e32 v46, 0x80000000, v46
	v_lshl_add_u32 v34, v34, 23, v48
	v_or3_b32 v46, v46, v34, v38
.LBB408_102:
	s_or_b64 exec, exec, s[22:23]
.LBB408_103:
	s_or_b64 exec, exec, s[20:21]
.LBB408_104:
	s_or_b64 exec, exec, s[10:11]
	s_mov_b32 s2, -1
	s_mov_b32 s3, 0xffffff
	v_cmp_lt_u64_e64 s[2:3], s[2:3], v[36:37]
	v_mov_b32_e32 v38, 0
	v_mov_b32_e32 v36, 0
	s_and_saveexec_b64 s[10:11], s[2:3]
	s_cbranch_execz .LBB408_110
; %bb.105:
	v_lshrrev_b32_e32 v34, 24, v37
	s_movk_i32 s2, 0x80
	v_cmp_ne_u32_e64 s[2:3], s2, v34
	v_bfrev_b32_e32 v36, 1
	s_and_saveexec_b64 s[20:21], s[2:3]
	s_cbranch_execz .LBB408_109
; %bb.106:
	v_bfe_u32 v37, v37, 24, 7
	s_movk_i32 s2, 0x7f
	v_cmp_ne_u32_e64 s[2:3], s2, v37
	v_mov_b32_e32 v36, 0x7f800001
	s_and_saveexec_b64 s[22:23], s[2:3]
	s_cbranch_execz .LBB408_108
; %bb.107:
	v_and_b32_e32 v36, 7, v34
	v_ffbh_u32_e32 v48, v36
	v_min_u32_e32 v51, 32, v48
	v_subrev_u32_e32 v48, 28, v51
	v_lshlrev_b64 v[48:49], v48, v[34:35]
	v_lshrrev_b32_e32 v50, 3, v37
	v_sub_u32_e32 v49, 29, v51
	v_and_b32_e32 v48, 7, v48
	v_cmp_gt_u32_e64 s[2:3], 8, v37
	v_cndmask_b32_e64 v37, v50, v49, s[2:3]
	v_cndmask_b32_e64 v36, v36, v48, s[2:3]
	v_lshlrev_b32_e32 v34, 24, v34
	v_bfrev_b32_e32 v48, 60
	v_lshlrev_b32_e32 v36, 20, v36
	v_and_b32_e32 v34, 0x80000000, v34
	v_lshl_add_u32 v37, v37, 23, v48
	v_or3_b32 v36, v34, v37, v36
.LBB408_108:
	s_or_b64 exec, exec, s[22:23]
.LBB408_109:
	s_or_b64 exec, exec, s[20:21]
.LBB408_110:
	s_or_b64 exec, exec, s[10:11]
	v_cvt_pkrtz_f16_f32 v48, v39, v41
	v_cvt_pkrtz_f16_f32 v49, v40, v45
	;; [unrolled: 1-line block ×4, first 2 shown]
	v_mfma_f32_4x4x4f16 a[0:3], v[18:19], v[48:49], a[0:3] cbsz:4 abid:1
	s_waitcnt vmcnt(6)
	v_cmp_ne_u16_sdwa s[2:3], v30, v38 src0_sel:BYTE_0 src1_sel:DWORD
	v_mfma_f32_4x4x4f16 a[0:3], v[20:21], v[34:35], a[0:3] cbsz:4 abid:1
	s_and_saveexec_b64 s[10:11], s[2:3]
	s_cbranch_execz .LBB408_116
; %bb.111:
	s_movk_i32 s2, 0x80
	v_cmp_ne_u16_sdwa s[2:3], v30, s2 src0_sel:BYTE_0 src1_sel:DWORD
	v_bfrev_b32_e32 v38, 1
	s_and_saveexec_b64 s[20:21], s[2:3]
	s_cbranch_execz .LBB408_115
; %bb.112:
	s_movk_i32 s2, 0x7f
	v_and_b32_e32 v34, 0x7f, v30
	v_cmp_ne_u32_e64 s[2:3], s2, v34
	v_mov_b32_e32 v38, 0x7f800001
	s_and_saveexec_b64 s[22:23], s[2:3]
	s_cbranch_execz .LBB408_114
; %bb.113:
	v_and_b32_e32 v35, 7, v30
	v_ffbh_u32_e32 v35, v35
	v_min_u32_e32 v35, 32, v35
	v_subrev_u32_e32 v37, 28, v35
	v_cmp_gt_u32_e64 s[2:3], 8, v34
	v_lshrrev_b32_e32 v36, 3, v34
	v_sub_u32_e32 v35, 29, v35
	v_cndmask_b32_e64 v34, 0, v37, s[2:3]
	v_cndmask_b32_e64 v36, v36, v35, s[2:3]
	v_lshlrev_b64 v[34:35], v34, v[30:31]
	v_lshlrev_b32_e32 v34, 20, v34
	v_lshlrev_b32_e32 v35, 24, v30
	v_bfrev_b32_e32 v37, 60
	v_and_b32_e32 v34, 0x700000, v34
	v_and_b32_e32 v35, 0x80000000, v35
	v_lshl_add_u32 v36, v36, 23, v37
	v_or3_b32 v38, v35, v36, v34
.LBB408_114:
	s_or_b64 exec, exec, s[22:23]
.LBB408_115:
	s_or_b64 exec, exec, s[20:21]
.LBB408_116:
	s_or_b64 exec, exec, s[10:11]
	v_lshrrev_b16_e32 v34, 8, v30
	v_cmp_ne_u16_e64 s[2:3], 0, v34
	v_mov_b32_e32 v37, 0
	v_mov_b32_e32 v39, 0
	s_and_saveexec_b64 s[10:11], s[2:3]
	s_cbranch_execz .LBB408_122
; %bb.117:
	s_movk_i32 s2, 0x80
	v_cmp_ne_u16_e64 s[2:3], s2, v34
	v_bfrev_b32_e32 v39, 1
	s_and_saveexec_b64 s[20:21], s[2:3]
	s_cbranch_execz .LBB408_121
; %bb.118:
	s_movk_i32 s2, 0x7f
	v_and_b32_e32 v35, 0x7f, v34
	v_cmp_ne_u32_e64 s[2:3], s2, v35
	v_mov_b32_e32 v39, 0x7f800001
	s_and_saveexec_b64 s[22:23], s[2:3]
	s_cbranch_execz .LBB408_120
; %bb.119:
	v_and_b32_e32 v36, 7, v34
	v_ffbh_u32_e32 v40, v36
	v_min_u32_e32 v45, 32, v40
	v_subrev_u32_e32 v40, 28, v45
	v_lshlrev_b64 v[40:41], v40, v[34:35]
	v_lshrrev_b32_e32 v39, 3, v35
	v_sub_u32_e32 v34, 29, v45
	v_and_b32_e32 v40, 7, v40
	v_cmp_gt_u32_e64 s[2:3], 8, v35
	v_cndmask_b32_e64 v34, v39, v34, s[2:3]
	v_cndmask_b32_e64 v35, v36, v40, s[2:3]
	v_lshlrev_b32_e32 v36, 16, v30
	v_bfrev_b32_e32 v39, 60
	v_lshlrev_b32_e32 v35, 20, v35
	v_and_b32_e32 v36, 0x80000000, v36
	v_lshl_add_u32 v34, v34, 23, v39
	v_or3_b32 v39, v36, v34, v35
.LBB408_120:
	s_or_b64 exec, exec, s[22:23]
.LBB408_121:
	s_or_b64 exec, exec, s[20:21]
.LBB408_122:
	s_or_b64 exec, exec, s[10:11]
	s_movk_i32 s2, 0xff
	v_and_b32_sdwa v35, v30, s2 dst_sel:DWORD dst_unused:UNUSED_PAD src0_sel:WORD_1 src1_sel:DWORD
	v_lshrrev_b32_e32 v34, 16, v30
	v_cmp_ne_u16_e64 s[2:3], 0, v35
	s_and_saveexec_b64 s[10:11], s[2:3]
	s_cbranch_execz .LBB408_128
; %bb.123:
	s_movk_i32 s2, 0x80
	v_cmp_ne_u16_e64 s[2:3], s2, v35
	v_bfrev_b32_e32 v37, 1
	s_and_saveexec_b64 s[20:21], s[2:3]
	s_cbranch_execz .LBB408_127
; %bb.124:
	v_bfe_u32 v35, v30, 16, 7
	s_movk_i32 s2, 0x7f
	v_cmp_ne_u32_e64 s[2:3], s2, v35
	v_mov_b32_e32 v37, 0x7f800001
	s_and_saveexec_b64 s[22:23], s[2:3]
	s_cbranch_execz .LBB408_126
; %bb.125:
	v_and_b32_e32 v40, 7, v34
	v_ffbh_u32_e32 v36, v40
	v_min_u32_e32 v45, 32, v36
	v_subrev_u32_e32 v36, 28, v45
	v_lshlrev_b64 v[36:37], v36, v[34:35]
	v_and_b32_e32 v36, 7, v36
	v_cmp_gt_u32_e64 s[2:3], 8, v35
	v_lshrrev_b32_e32 v41, 3, v35
	v_sub_u32_e32 v34, 29, v45
	v_cndmask_b32_e64 v35, v40, v36, s[2:3]
	v_mov_b32_e32 v36, 24
	v_cndmask_b32_e64 v34, v41, v34, s[2:3]
	v_lshlrev_b32_sdwa v36, v36, v30 dst_sel:DWORD dst_unused:UNUSED_PAD src0_sel:DWORD src1_sel:WORD_1
	v_bfrev_b32_e32 v37, 60
	v_lshlrev_b32_e32 v35, 20, v35
	v_and_b32_e32 v36, 0x80000000, v36
	v_lshl_add_u32 v34, v34, 23, v37
	v_or3_b32 v37, v36, v34, v35
.LBB408_126:
	s_or_b64 exec, exec, s[22:23]
.LBB408_127:
	s_or_b64 exec, exec, s[20:21]
.LBB408_128:
	s_or_b64 exec, exec, s[10:11]
	s_mov_b32 s2, 0xffffff
	v_cmp_lt_u32_e64 s[2:3], s2, v30
	v_mov_b32_e32 v35, 0
	v_mov_b32_e32 v40, 0
	s_and_saveexec_b64 s[10:11], s[2:3]
	s_cbranch_execz .LBB408_134
; %bb.129:
	v_lshrrev_b32_e32 v34, 24, v30
	s_movk_i32 s2, 0x80
	v_cmp_ne_u32_e64 s[2:3], s2, v34
	v_bfrev_b32_e32 v40, 1
	s_and_saveexec_b64 s[20:21], s[2:3]
	s_cbranch_execz .LBB408_133
; %bb.130:
	v_bfe_u32 v36, v30, 24, 7
	s_movk_i32 s2, 0x7f
	v_cmp_ne_u32_e64 s[2:3], s2, v36
	v_mov_b32_e32 v40, 0x7f800001
	s_and_saveexec_b64 s[22:23], s[2:3]
	s_cbranch_execz .LBB408_132
; %bb.131:
	v_and_b32_e32 v45, 7, v34
	v_ffbh_u32_e32 v40, v45
	v_min_u32_e32 v47, 32, v40
	v_subrev_u32_e32 v40, 28, v47
	v_lshlrev_b64 v[40:41], v40, v[34:35]
	v_lshrrev_b32_e32 v46, 3, v36
	v_sub_u32_e32 v41, 29, v47
	v_and_b32_e32 v40, 7, v40
	v_cmp_gt_u32_e64 s[2:3], 8, v36
	v_cndmask_b32_e64 v36, v46, v41, s[2:3]
	v_cndmask_b32_e64 v40, v45, v40, s[2:3]
	v_lshlrev_b32_e32 v34, 24, v34
	v_bfrev_b32_e32 v41, 60
	v_lshlrev_b32_e32 v40, 20, v40
	v_and_b32_e32 v34, 0x80000000, v34
	v_lshl_add_u32 v36, v36, 23, v41
	v_or3_b32 v40, v34, v36, v40
.LBB408_132:
	s_or_b64 exec, exec, s[22:23]
.LBB408_133:
	s_or_b64 exec, exec, s[20:21]
.LBB408_134:
	s_or_b64 exec, exec, s[10:11]
	v_mov_b32_e32 v34, v31
	v_cmp_ne_u16_sdwa s[2:3], v31, v35 src0_sel:BYTE_0 src1_sel:DWORD
	s_and_saveexec_b64 s[10:11], s[2:3]
	s_cbranch_execz .LBB408_140
; %bb.135:
	s_movk_i32 s2, 0x80
	v_cmp_ne_u16_sdwa s[2:3], v31, s2 src0_sel:BYTE_0 src1_sel:DWORD
	v_bfrev_b32_e32 v36, 1
	s_and_saveexec_b64 s[20:21], s[2:3]
	s_cbranch_execz .LBB408_139
; %bb.136:
	s_movk_i32 s2, 0x7f
	v_and_b32_e32 v41, 0x7f, v31
	v_cmp_ne_u32_e64 s[2:3], s2, v41
	v_mov_b32_e32 v36, 0x7f800001
	s_and_saveexec_b64 s[22:23], s[2:3]
	s_cbranch_execz .LBB408_138
; %bb.137:
	v_and_b32_e32 v36, 7, v31
	v_ffbh_u32_e32 v36, v36
	v_min_u32_e32 v36, 32, v36
	v_subrev_u32_e32 v46, 28, v36
	v_cmp_gt_u32_e64 s[2:3], 8, v41
	v_lshrrev_b32_e32 v45, 3, v41
	v_cndmask_b32_e64 v41, 0, v46, s[2:3]
	v_sub_u32_e32 v36, 29, v36
	v_lshlrev_b64 v[46:47], v41, v[34:35]
	v_cndmask_b32_e64 v36, v45, v36, s[2:3]
	v_lshlrev_b32_e32 v35, 20, v46
	v_lshlrev_b32_e32 v41, 24, v34
	v_bfrev_b32_e32 v45, 60
	v_and_b32_e32 v35, 0x700000, v35
	v_and_b32_e32 v41, 0x80000000, v41
	v_lshl_add_u32 v36, v36, 23, v45
	v_or3_b32 v36, v41, v36, v35
.LBB408_138:
	s_or_b64 exec, exec, s[22:23]
.LBB408_139:
	s_or_b64 exec, exec, s[20:21]
	v_mov_b32_e32 v35, v36
.LBB408_140:
	s_or_b64 exec, exec, s[10:11]
	v_lshrrev_b16_e32 v36, 8, v34
	v_cmp_ne_u16_e64 s[2:3], 0, v36
	v_mov_b32_e32 v41, 0
	v_mov_b32_e32 v45, 0
	s_and_saveexec_b64 s[10:11], s[2:3]
	s_cbranch_execz .LBB408_146
; %bb.141:
	s_movk_i32 s2, 0x80
	v_cmp_ne_u16_e64 s[2:3], s2, v36
	v_bfrev_b32_e32 v45, 1
	s_and_saveexec_b64 s[20:21], s[2:3]
	s_cbranch_execz .LBB408_145
; %bb.142:
	s_movk_i32 s2, 0x7f
	v_and_b32_e32 v46, 0x7f, v36
	v_cmp_ne_u32_e64 s[2:3], s2, v46
	v_mov_b32_e32 v45, 0x7f800001
	s_and_saveexec_b64 s[22:23], s[2:3]
	s_cbranch_execz .LBB408_144
; %bb.143:
	v_and_b32_e32 v45, 7, v36
	v_ffbh_u32_e32 v48, v45
	v_min_u32_e32 v50, 32, v48
	v_subrev_u32_e32 v48, 28, v50
	v_lshlrev_b64 v[48:49], v48, v[36:37]
	v_lshrrev_b32_e32 v47, 3, v46
	v_sub_u32_e32 v36, 29, v50
	v_and_b32_e32 v48, 7, v48
	v_cmp_gt_u32_e64 s[2:3], 8, v46
	v_cndmask_b32_e64 v36, v47, v36, s[2:3]
	v_cndmask_b32_e64 v45, v45, v48, s[2:3]
	v_lshlrev_b32_e32 v34, 16, v34
	v_bfrev_b32_e32 v46, 60
	v_lshlrev_b32_e32 v45, 20, v45
	v_and_b32_e32 v34, 0x80000000, v34
	v_lshl_add_u32 v36, v36, 23, v46
	v_or3_b32 v45, v34, v36, v45
.LBB408_144:
	s_or_b64 exec, exec, s[22:23]
.LBB408_145:
	s_or_b64 exec, exec, s[20:21]
.LBB408_146:
	s_or_b64 exec, exec, s[10:11]
	s_movk_i32 s2, 0xff
	v_and_b32_sdwa v36, v31, s2 dst_sel:DWORD dst_unused:UNUSED_PAD src0_sel:WORD_1 src1_sel:DWORD
	v_lshrrev_b32_e32 v34, 16, v31
	v_cmp_ne_u16_e64 s[2:3], 0, v36
	s_and_saveexec_b64 s[10:11], s[2:3]
	s_cbranch_execz .LBB408_152
; %bb.147:
	s_movk_i32 s2, 0x80
	v_cmp_ne_u16_e64 s[2:3], s2, v36
	v_bfrev_b32_e32 v41, 1
	s_and_saveexec_b64 s[20:21], s[2:3]
	s_cbranch_execz .LBB408_151
; %bb.148:
	v_bfe_u32 v36, v31, 16, 7
	s_movk_i32 s2, 0x7f
	v_cmp_ne_u32_e64 s[2:3], s2, v36
	v_mov_b32_e32 v41, 0x7f800001
	s_and_saveexec_b64 s[22:23], s[2:3]
	s_cbranch_execz .LBB408_150
; %bb.149:
	v_and_b32_e32 v41, 7, v34
	v_ffbh_u32_e32 v46, v41
	v_min_u32_e32 v49, 32, v46
	v_subrev_u32_e32 v46, 28, v49
	v_lshlrev_b64 v[46:47], v46, v[34:35]
	v_and_b32_e32 v46, 7, v46
	v_cmp_gt_u32_e64 s[2:3], 8, v36
	v_lshrrev_b32_e32 v48, 3, v36
	v_sub_u32_e32 v34, 29, v49
	v_cndmask_b32_e64 v36, v41, v46, s[2:3]
	v_mov_b32_e32 v41, 24
	v_cndmask_b32_e64 v34, v48, v34, s[2:3]
	v_lshlrev_b32_sdwa v41, v41, v31 dst_sel:DWORD dst_unused:UNUSED_PAD src0_sel:DWORD src1_sel:WORD_1
	v_bfrev_b32_e32 v46, 60
	v_lshlrev_b32_e32 v36, 20, v36
	v_and_b32_e32 v41, 0x80000000, v41
	v_lshl_add_u32 v34, v34, 23, v46
	v_or3_b32 v41, v41, v34, v36
.LBB408_150:
	s_or_b64 exec, exec, s[22:23]
.LBB408_151:
	s_or_b64 exec, exec, s[20:21]
.LBB408_152:
	s_or_b64 exec, exec, s[10:11]
	s_mov_b32 s2, -1
	s_mov_b32 s3, 0xffffff
	v_cmp_lt_u64_e64 s[2:3], s[2:3], v[30:31]
	v_mov_b32_e32 v36, 0
	v_mov_b32_e32 v34, 0
	s_and_saveexec_b64 s[10:11], s[2:3]
	s_cbranch_execz .LBB408_158
; %bb.153:
	v_lshrrev_b32_e32 v30, 24, v31
	s_movk_i32 s2, 0x80
	v_cmp_ne_u32_e64 s[2:3], s2, v30
	v_bfrev_b32_e32 v34, 1
	s_and_saveexec_b64 s[20:21], s[2:3]
	s_cbranch_execz .LBB408_157
; %bb.154:
	v_bfe_u32 v31, v31, 24, 7
	s_movk_i32 s2, 0x7f
	v_cmp_ne_u32_e64 s[2:3], s2, v31
	v_mov_b32_e32 v34, 0x7f800001
	s_and_saveexec_b64 s[22:23], s[2:3]
	s_cbranch_execz .LBB408_156
; %bb.155:
	v_and_b32_e32 v34, 7, v30
	v_ffbh_u32_e32 v46, v34
	v_min_u32_e32 v49, 32, v46
	v_subrev_u32_e32 v46, 28, v49
	v_lshlrev_b64 v[46:47], v46, v[30:31]
	v_lshrrev_b32_e32 v48, 3, v31
	v_sub_u32_e32 v47, 29, v49
	v_and_b32_e32 v46, 7, v46
	v_cmp_gt_u32_e64 s[2:3], 8, v31
	v_cndmask_b32_e64 v31, v48, v47, s[2:3]
	v_cndmask_b32_e64 v34, v34, v46, s[2:3]
	v_lshlrev_b32_e32 v30, 24, v30
	v_bfrev_b32_e32 v46, 60
	v_lshlrev_b32_e32 v34, 20, v34
	v_and_b32_e32 v30, 0x80000000, v30
	v_lshl_add_u32 v31, v31, 23, v46
	v_or3_b32 v34, v30, v31, v34
.LBB408_156:
	s_or_b64 exec, exec, s[22:23]
.LBB408_157:
	s_or_b64 exec, exec, s[20:21]
.LBB408_158:
	s_or_b64 exec, exec, s[10:11]
	v_cvt_pkrtz_f16_f32 v30, v38, v39
	v_cvt_pkrtz_f16_f32 v31, v37, v40
	;; [unrolled: 1-line block ×4, first 2 shown]
	v_mfma_f32_4x4x4f16 a[0:3], v[18:19], v[30:31], a[0:3] cbsz:4 abid:2
	v_cmp_ne_u16_sdwa s[2:3], v32, v36 src0_sel:BYTE_0 src1_sel:DWORD
	v_mfma_f32_4x4x4f16 a[0:3], v[20:21], v[38:39], a[0:3] cbsz:4 abid:2
	s_and_saveexec_b64 s[10:11], s[2:3]
	s_cbranch_execz .LBB408_164
; %bb.159:
	s_movk_i32 s2, 0x80
	v_cmp_ne_u16_sdwa s[2:3], v32, s2 src0_sel:BYTE_0 src1_sel:DWORD
	v_bfrev_b32_e32 v36, 1
	s_and_saveexec_b64 s[20:21], s[2:3]
	s_cbranch_execz .LBB408_163
; %bb.160:
	s_movk_i32 s2, 0x7f
	v_and_b32_e32 v30, 0x7f, v32
	v_cmp_ne_u32_e64 s[2:3], s2, v30
	v_mov_b32_e32 v36, 0x7f800001
	s_and_saveexec_b64 s[22:23], s[2:3]
	s_cbranch_execz .LBB408_162
; %bb.161:
	v_and_b32_e32 v31, 7, v32
	v_ffbh_u32_e32 v31, v31
	v_min_u32_e32 v31, 32, v31
	v_subrev_u32_e32 v35, 28, v31
	v_cmp_gt_u32_e64 s[2:3], 8, v30
	v_lshrrev_b32_e32 v34, 3, v30
	v_sub_u32_e32 v31, 29, v31
	v_cndmask_b32_e64 v30, 0, v35, s[2:3]
	v_cndmask_b32_e64 v34, v34, v31, s[2:3]
	v_lshlrev_b64 v[30:31], v30, v[32:33]
	v_lshlrev_b32_e32 v30, 20, v30
	v_lshlrev_b32_e32 v31, 24, v32
	v_bfrev_b32_e32 v35, 60
	v_and_b32_e32 v30, 0x700000, v30
	v_and_b32_e32 v31, 0x80000000, v31
	v_lshl_add_u32 v34, v34, 23, v35
	v_or3_b32 v36, v31, v34, v30
.LBB408_162:
	s_or_b64 exec, exec, s[22:23]
.LBB408_163:
	s_or_b64 exec, exec, s[20:21]
.LBB408_164:
	s_or_b64 exec, exec, s[10:11]
	v_lshrrev_b16_e32 v30, 8, v32
	v_cmp_ne_u16_e64 s[2:3], 0, v30
	v_mov_b32_e32 v35, 0
	v_mov_b32_e32 v37, 0
	s_and_saveexec_b64 s[10:11], s[2:3]
	s_cbranch_execz .LBB408_170
; %bb.165:
	s_movk_i32 s2, 0x80
	v_cmp_ne_u16_e64 s[2:3], s2, v30
	v_bfrev_b32_e32 v37, 1
	s_and_saveexec_b64 s[20:21], s[2:3]
	s_cbranch_execz .LBB408_169
; %bb.166:
	s_movk_i32 s2, 0x7f
	v_and_b32_e32 v31, 0x7f, v30
	v_cmp_ne_u32_e64 s[2:3], s2, v31
	v_mov_b32_e32 v37, 0x7f800001
	s_and_saveexec_b64 s[22:23], s[2:3]
	s_cbranch_execz .LBB408_168
; %bb.167:
	v_and_b32_e32 v34, 7, v30
	v_ffbh_u32_e32 v38, v34
	v_min_u32_e32 v40, 32, v38
	v_subrev_u32_e32 v38, 28, v40
	v_lshlrev_b64 v[38:39], v38, v[30:31]
	v_lshrrev_b32_e32 v37, 3, v31
	v_sub_u32_e32 v30, 29, v40
	v_and_b32_e32 v38, 7, v38
	v_cmp_gt_u32_e64 s[2:3], 8, v31
	v_cndmask_b32_e64 v30, v37, v30, s[2:3]
	v_cndmask_b32_e64 v31, v34, v38, s[2:3]
	v_lshlrev_b32_e32 v34, 16, v32
	v_bfrev_b32_e32 v37, 60
	v_lshlrev_b32_e32 v31, 20, v31
	v_and_b32_e32 v34, 0x80000000, v34
	v_lshl_add_u32 v30, v30, 23, v37
	v_or3_b32 v37, v34, v30, v31
.LBB408_168:
	s_or_b64 exec, exec, s[22:23]
.LBB408_169:
	s_or_b64 exec, exec, s[20:21]
.LBB408_170:
	s_or_b64 exec, exec, s[10:11]
	s_movk_i32 s2, 0xff
	v_and_b32_sdwa v31, v32, s2 dst_sel:DWORD dst_unused:UNUSED_PAD src0_sel:WORD_1 src1_sel:DWORD
	v_lshrrev_b32_e32 v30, 16, v32
	v_cmp_ne_u16_e64 s[2:3], 0, v31
	s_and_saveexec_b64 s[10:11], s[2:3]
	s_cbranch_execz .LBB408_176
; %bb.171:
	s_movk_i32 s2, 0x80
	v_cmp_ne_u16_e64 s[2:3], s2, v31
	v_bfrev_b32_e32 v35, 1
	s_and_saveexec_b64 s[20:21], s[2:3]
	s_cbranch_execz .LBB408_175
; %bb.172:
	v_bfe_u32 v31, v32, 16, 7
	s_movk_i32 s2, 0x7f
	v_cmp_ne_u32_e64 s[2:3], s2, v31
	v_mov_b32_e32 v35, 0x7f800001
	s_and_saveexec_b64 s[22:23], s[2:3]
	s_cbranch_execz .LBB408_174
; %bb.173:
	v_and_b32_e32 v38, 7, v30
	v_ffbh_u32_e32 v34, v38
	v_min_u32_e32 v40, 32, v34
	v_subrev_u32_e32 v34, 28, v40
	v_lshlrev_b64 v[34:35], v34, v[30:31]
	v_and_b32_e32 v34, 7, v34
	v_cmp_gt_u32_e64 s[2:3], 8, v31
	v_lshrrev_b32_e32 v39, 3, v31
	v_sub_u32_e32 v30, 29, v40
	v_cndmask_b32_e64 v31, v38, v34, s[2:3]
	v_mov_b32_e32 v34, 24
	v_cndmask_b32_e64 v30, v39, v30, s[2:3]
	v_lshlrev_b32_sdwa v34, v34, v32 dst_sel:DWORD dst_unused:UNUSED_PAD src0_sel:DWORD src1_sel:WORD_1
	v_bfrev_b32_e32 v35, 60
	v_lshlrev_b32_e32 v31, 20, v31
	v_and_b32_e32 v34, 0x80000000, v34
	v_lshl_add_u32 v30, v30, 23, v35
	v_or3_b32 v35, v34, v30, v31
.LBB408_174:
	s_or_b64 exec, exec, s[22:23]
.LBB408_175:
	s_or_b64 exec, exec, s[20:21]
.LBB408_176:
	s_or_b64 exec, exec, s[10:11]
	s_mov_b32 s2, 0xffffff
	v_cmp_lt_u32_e64 s[2:3], s2, v32
	v_mov_b32_e32 v31, 0
	v_mov_b32_e32 v38, 0
	s_and_saveexec_b64 s[10:11], s[2:3]
	s_cbranch_execz .LBB408_182
; %bb.177:
	v_lshrrev_b32_e32 v30, 24, v32
	s_movk_i32 s2, 0x80
	v_cmp_ne_u32_e64 s[2:3], s2, v30
	v_bfrev_b32_e32 v38, 1
	s_and_saveexec_b64 s[20:21], s[2:3]
	s_cbranch_execz .LBB408_181
; %bb.178:
	v_bfe_u32 v34, v32, 24, 7
	s_movk_i32 s2, 0x7f
	v_cmp_ne_u32_e64 s[2:3], s2, v34
	v_mov_b32_e32 v38, 0x7f800001
	s_and_saveexec_b64 s[22:23], s[2:3]
	s_cbranch_execz .LBB408_180
; %bb.179:
	v_and_b32_e32 v40, 7, v30
	v_ffbh_u32_e32 v38, v40
	v_min_u32_e32 v45, 32, v38
	v_subrev_u32_e32 v38, 28, v45
	v_lshlrev_b64 v[38:39], v38, v[30:31]
	v_lshrrev_b32_e32 v41, 3, v34
	v_sub_u32_e32 v39, 29, v45
	v_and_b32_e32 v38, 7, v38
	v_cmp_gt_u32_e64 s[2:3], 8, v34
	v_cndmask_b32_e64 v34, v41, v39, s[2:3]
	v_cndmask_b32_e64 v38, v40, v38, s[2:3]
	v_lshlrev_b32_e32 v30, 24, v30
	v_bfrev_b32_e32 v39, 60
	v_lshlrev_b32_e32 v38, 20, v38
	v_and_b32_e32 v30, 0x80000000, v30
	v_lshl_add_u32 v34, v34, 23, v39
	v_or3_b32 v38, v30, v34, v38
.LBB408_180:
	s_or_b64 exec, exec, s[22:23]
.LBB408_181:
	s_or_b64 exec, exec, s[20:21]
.LBB408_182:
	s_or_b64 exec, exec, s[10:11]
	v_mov_b32_e32 v30, v33
	v_cmp_ne_u16_sdwa s[2:3], v33, v31 src0_sel:BYTE_0 src1_sel:DWORD
	s_and_saveexec_b64 s[10:11], s[2:3]
	s_cbranch_execz .LBB408_188
; %bb.183:
	s_movk_i32 s2, 0x80
	v_cmp_ne_u16_sdwa s[2:3], v33, s2 src0_sel:BYTE_0 src1_sel:DWORD
	v_bfrev_b32_e32 v34, 1
	s_and_saveexec_b64 s[20:21], s[2:3]
	s_cbranch_execz .LBB408_187
; %bb.184:
	s_movk_i32 s2, 0x7f
	v_and_b32_e32 v39, 0x7f, v33
	v_cmp_ne_u32_e64 s[2:3], s2, v39
	v_mov_b32_e32 v34, 0x7f800001
	s_and_saveexec_b64 s[22:23], s[2:3]
	s_cbranch_execz .LBB408_186
; %bb.185:
	v_and_b32_e32 v34, 7, v33
	v_ffbh_u32_e32 v34, v34
	v_min_u32_e32 v34, 32, v34
	v_subrev_u32_e32 v41, 28, v34
	v_cmp_gt_u32_e64 s[2:3], 8, v39
	v_lshrrev_b32_e32 v40, 3, v39
	v_sub_u32_e32 v34, 29, v34
	v_cndmask_b32_e64 v39, 0, v41, s[2:3]
	v_cndmask_b32_e64 v34, v40, v34, s[2:3]
	v_lshlrev_b64 v[40:41], v39, v[30:31]
	v_lshlrev_b32_e32 v31, 20, v40
	v_lshlrev_b32_e32 v39, 24, v30
	v_bfrev_b32_e32 v40, 60
	v_and_b32_e32 v31, 0x700000, v31
	v_and_b32_e32 v39, 0x80000000, v39
	v_lshl_add_u32 v34, v34, 23, v40
	v_or3_b32 v34, v39, v34, v31
.LBB408_186:
	s_or_b64 exec, exec, s[22:23]
.LBB408_187:
	s_or_b64 exec, exec, s[20:21]
	v_mov_b32_e32 v31, v34
.LBB408_188:
	s_or_b64 exec, exec, s[10:11]
	v_lshrrev_b16_e32 v34, 8, v30
	v_cmp_ne_u16_e64 s[2:3], 0, v34
	v_mov_b32_e32 v39, 0
	v_mov_b32_e32 v40, 0
	s_and_saveexec_b64 s[10:11], s[2:3]
	s_cbranch_execz .LBB408_194
; %bb.189:
	s_movk_i32 s2, 0x80
	v_cmp_ne_u16_e64 s[2:3], s2, v34
	v_bfrev_b32_e32 v40, 1
	s_and_saveexec_b64 s[20:21], s[2:3]
	s_cbranch_execz .LBB408_193
; %bb.190:
	s_movk_i32 s2, 0x7f
	v_and_b32_e32 v41, 0x7f, v34
	v_cmp_ne_u32_e64 s[2:3], s2, v41
	v_mov_b32_e32 v40, 0x7f800001
	s_and_saveexec_b64 s[22:23], s[2:3]
	s_cbranch_execz .LBB408_192
; %bb.191:
	v_and_b32_e32 v40, 7, v34
	v_ffbh_u32_e32 v46, v40
	v_min_u32_e32 v48, 32, v46
	v_subrev_u32_e32 v46, 28, v48
	v_lshlrev_b64 v[46:47], v46, v[34:35]
	v_lshrrev_b32_e32 v45, 3, v41
	v_sub_u32_e32 v34, 29, v48
	v_and_b32_e32 v46, 7, v46
	v_cmp_gt_u32_e64 s[2:3], 8, v41
	v_cndmask_b32_e64 v34, v45, v34, s[2:3]
	v_cndmask_b32_e64 v40, v40, v46, s[2:3]
	v_lshlrev_b32_e32 v30, 16, v30
	v_bfrev_b32_e32 v41, 60
	v_lshlrev_b32_e32 v40, 20, v40
	v_and_b32_e32 v30, 0x80000000, v30
	v_lshl_add_u32 v34, v34, 23, v41
	v_or3_b32 v40, v30, v34, v40
.LBB408_192:
	s_or_b64 exec, exec, s[22:23]
.LBB408_193:
	s_or_b64 exec, exec, s[20:21]
.LBB408_194:
	s_or_b64 exec, exec, s[10:11]
	s_movk_i32 s2, 0xff
	v_and_b32_sdwa v34, v33, s2 dst_sel:DWORD dst_unused:UNUSED_PAD src0_sel:WORD_1 src1_sel:DWORD
	v_lshrrev_b32_e32 v30, 16, v33
	v_cmp_ne_u16_e64 s[2:3], 0, v34
	s_and_saveexec_b64 s[10:11], s[2:3]
	s_cbranch_execz .LBB408_200
; %bb.195:
	s_movk_i32 s2, 0x80
	v_cmp_ne_u16_e64 s[2:3], s2, v34
	v_bfrev_b32_e32 v39, 1
	s_and_saveexec_b64 s[20:21], s[2:3]
	s_cbranch_execz .LBB408_199
; %bb.196:
	v_bfe_u32 v34, v33, 16, 7
	s_movk_i32 s2, 0x7f
	v_cmp_ne_u32_e64 s[2:3], s2, v34
	v_mov_b32_e32 v39, 0x7f800001
	s_and_saveexec_b64 s[22:23], s[2:3]
	s_cbranch_execz .LBB408_198
; %bb.197:
	v_and_b32_e32 v39, 7, v30
	v_ffbh_u32_e32 v45, v39
	v_min_u32_e32 v45, 32, v45
	v_subrev_u32_e32 v46, 28, v45
	v_lshlrev_b64 v[46:47], v46, v[30:31]
	v_sub_u32_e32 v30, 29, v45
	v_and_b32_e32 v45, 7, v46
	v_cmp_gt_u32_e64 s[2:3], 8, v34
	v_lshrrev_b32_e32 v41, 3, v34
	v_cndmask_b32_e64 v34, v39, v45, s[2:3]
	v_mov_b32_e32 v39, 24
	v_cndmask_b32_e64 v30, v41, v30, s[2:3]
	v_lshlrev_b32_sdwa v39, v39, v33 dst_sel:DWORD dst_unused:UNUSED_PAD src0_sel:DWORD src1_sel:WORD_1
	v_bfrev_b32_e32 v41, 60
	v_lshlrev_b32_e32 v34, 20, v34
	v_and_b32_e32 v39, 0x80000000, v39
	v_lshl_add_u32 v30, v30, 23, v41
	v_or3_b32 v39, v39, v30, v34
.LBB408_198:
	s_or_b64 exec, exec, s[22:23]
.LBB408_199:
	s_or_b64 exec, exec, s[20:21]
.LBB408_200:
	s_or_b64 exec, exec, s[10:11]
	s_mov_b32 s2, -1
	s_mov_b32 s3, 0xffffff
	v_cmp_lt_u64_e64 s[2:3], s[2:3], v[32:33]
	v_mov_b32_e32 v34, 0
	v_mov_b32_e32 v32, 0
	s_and_saveexec_b64 s[10:11], s[2:3]
	s_cbranch_execz .LBB408_206
; %bb.201:
	v_lshrrev_b32_e32 v30, 24, v33
	s_movk_i32 s2, 0x80
	v_cmp_ne_u32_e64 s[2:3], s2, v30
	v_bfrev_b32_e32 v32, 1
	s_and_saveexec_b64 s[20:21], s[2:3]
	s_cbranch_execz .LBB408_205
; %bb.202:
	v_bfe_u32 v33, v33, 24, 7
	s_movk_i32 s2, 0x7f
	v_cmp_ne_u32_e64 s[2:3], s2, v33
	v_mov_b32_e32 v32, 0x7f800001
	s_and_saveexec_b64 s[22:23], s[2:3]
	s_cbranch_execz .LBB408_204
; %bb.203:
	v_and_b32_e32 v32, 7, v30
	v_ffbh_u32_e32 v45, v32
	v_min_u32_e32 v45, 32, v45
	v_subrev_u32_e32 v46, 28, v45
	v_lshlrev_b64 v[46:47], v46, v[30:31]
	v_lshrrev_b32_e32 v41, 3, v33
	v_sub_u32_e32 v45, 29, v45
	v_and_b32_e32 v46, 7, v46
	v_cmp_gt_u32_e64 s[2:3], 8, v33
	v_cndmask_b32_e64 v33, v41, v45, s[2:3]
	v_cndmask_b32_e64 v32, v32, v46, s[2:3]
	v_lshlrev_b32_e32 v30, 24, v30
	v_bfrev_b32_e32 v41, 60
	v_lshlrev_b32_e32 v32, 20, v32
	v_and_b32_e32 v30, 0x80000000, v30
	v_lshl_add_u32 v33, v33, 23, v41
	v_or3_b32 v32, v30, v33, v32
.LBB408_204:
	s_or_b64 exec, exec, s[22:23]
.LBB408_205:
	s_or_b64 exec, exec, s[20:21]
.LBB408_206:
	s_or_b64 exec, exec, s[10:11]
	v_cvt_pkrtz_f16_f32 v36, v36, v37
	v_cvt_pkrtz_f16_f32 v37, v35, v38
	;; [unrolled: 1-line block ×4, first 2 shown]
	v_mfma_f32_4x4x4f16 a[0:3], v[18:19], v[36:37], a[0:3] cbsz:4 abid:3
	s_waitcnt vmcnt(5)
	v_cmp_ne_u16_sdwa s[2:3], v26, v34 src0_sel:BYTE_0 src1_sel:DWORD
	v_mfma_f32_4x4x4f16 a[0:3], v[20:21], v[30:31], a[0:3] cbsz:4 abid:3
	s_and_saveexec_b64 s[10:11], s[2:3]
	s_cbranch_execz .LBB408_212
; %bb.207:
	s_movk_i32 s2, 0x80
	v_cmp_ne_u16_sdwa s[2:3], v26, s2 src0_sel:BYTE_0 src1_sel:DWORD
	v_bfrev_b32_e32 v34, 1
	s_and_saveexec_b64 s[20:21], s[2:3]
	s_cbranch_execz .LBB408_211
; %bb.208:
	s_movk_i32 s2, 0x7f
	v_and_b32_e32 v30, 0x7f, v26
	v_cmp_ne_u32_e64 s[2:3], s2, v30
	v_mov_b32_e32 v34, 0x7f800001
	s_and_saveexec_b64 s[22:23], s[2:3]
	s_cbranch_execz .LBB408_210
; %bb.209:
	v_and_b32_e32 v31, 7, v26
	v_ffbh_u32_e32 v31, v31
	v_min_u32_e32 v31, 32, v31
	v_subrev_u32_e32 v33, 28, v31
	v_cmp_gt_u32_e64 s[2:3], 8, v30
	v_lshrrev_b32_e32 v32, 3, v30
	v_sub_u32_e32 v31, 29, v31
	v_cndmask_b32_e64 v30, 0, v33, s[2:3]
	v_cndmask_b32_e64 v32, v32, v31, s[2:3]
	v_lshlrev_b64 v[30:31], v30, v[26:27]
	v_lshlrev_b32_e32 v30, 20, v30
	v_lshlrev_b32_e32 v31, 24, v26
	v_bfrev_b32_e32 v33, 60
	v_and_b32_e32 v30, 0x700000, v30
	v_and_b32_e32 v31, 0x80000000, v31
	v_lshl_add_u32 v32, v32, 23, v33
	v_or3_b32 v34, v31, v32, v30
.LBB408_210:
	s_or_b64 exec, exec, s[22:23]
.LBB408_211:
	s_or_b64 exec, exec, s[20:21]
.LBB408_212:
	s_or_b64 exec, exec, s[10:11]
	v_lshrrev_b16_e32 v30, 8, v26
	v_cmp_ne_u16_e64 s[2:3], 0, v30
	v_mov_b32_e32 v33, 0
	v_mov_b32_e32 v35, 0
	s_and_saveexec_b64 s[10:11], s[2:3]
	s_cbranch_execz .LBB408_218
; %bb.213:
	s_movk_i32 s2, 0x80
	v_cmp_ne_u16_e64 s[2:3], s2, v30
	v_bfrev_b32_e32 v35, 1
	s_and_saveexec_b64 s[20:21], s[2:3]
	s_cbranch_execz .LBB408_217
; %bb.214:
	s_movk_i32 s2, 0x7f
	v_and_b32_e32 v31, 0x7f, v30
	v_cmp_ne_u32_e64 s[2:3], s2, v31
	v_mov_b32_e32 v35, 0x7f800001
	s_and_saveexec_b64 s[22:23], s[2:3]
	s_cbranch_execz .LBB408_216
; %bb.215:
	v_and_b32_e32 v32, 7, v30
	v_ffbh_u32_e32 v36, v32
	v_min_u32_e32 v38, 32, v36
	v_subrev_u32_e32 v36, 28, v38
	v_lshlrev_b64 v[36:37], v36, v[30:31]
	v_lshrrev_b32_e32 v35, 3, v31
	v_sub_u32_e32 v30, 29, v38
	v_and_b32_e32 v36, 7, v36
	v_cmp_gt_u32_e64 s[2:3], 8, v31
	v_cndmask_b32_e64 v30, v35, v30, s[2:3]
	v_cndmask_b32_e64 v31, v32, v36, s[2:3]
	v_lshlrev_b32_e32 v32, 16, v26
	v_bfrev_b32_e32 v35, 60
	v_lshlrev_b32_e32 v31, 20, v31
	v_and_b32_e32 v32, 0x80000000, v32
	v_lshl_add_u32 v30, v30, 23, v35
	v_or3_b32 v35, v32, v30, v31
.LBB408_216:
	s_or_b64 exec, exec, s[22:23]
.LBB408_217:
	s_or_b64 exec, exec, s[20:21]
.LBB408_218:
	s_or_b64 exec, exec, s[10:11]
	s_movk_i32 s2, 0xff
	v_and_b32_sdwa v31, v26, s2 dst_sel:DWORD dst_unused:UNUSED_PAD src0_sel:WORD_1 src1_sel:DWORD
	v_lshrrev_b32_e32 v30, 16, v26
	v_cmp_ne_u16_e64 s[2:3], 0, v31
	s_and_saveexec_b64 s[10:11], s[2:3]
	s_cbranch_execz .LBB408_224
; %bb.219:
	s_movk_i32 s2, 0x80
	v_cmp_ne_u16_e64 s[2:3], s2, v31
	v_bfrev_b32_e32 v33, 1
	s_and_saveexec_b64 s[20:21], s[2:3]
	s_cbranch_execz .LBB408_223
; %bb.220:
	v_bfe_u32 v31, v26, 16, 7
	s_movk_i32 s2, 0x7f
	v_cmp_ne_u32_e64 s[2:3], s2, v31
	v_mov_b32_e32 v33, 0x7f800001
	s_and_saveexec_b64 s[22:23], s[2:3]
	s_cbranch_execz .LBB408_222
; %bb.221:
	v_and_b32_e32 v36, 7, v30
	v_ffbh_u32_e32 v32, v36
	v_min_u32_e32 v38, 32, v32
	v_subrev_u32_e32 v32, 28, v38
	v_lshlrev_b64 v[32:33], v32, v[30:31]
	v_and_b32_e32 v32, 7, v32
	v_cmp_gt_u32_e64 s[2:3], 8, v31
	v_lshrrev_b32_e32 v37, 3, v31
	v_sub_u32_e32 v30, 29, v38
	v_cndmask_b32_e64 v31, v36, v32, s[2:3]
	v_mov_b32_e32 v32, 24
	v_cndmask_b32_e64 v30, v37, v30, s[2:3]
	v_lshlrev_b32_sdwa v32, v32, v26 dst_sel:DWORD dst_unused:UNUSED_PAD src0_sel:DWORD src1_sel:WORD_1
	v_bfrev_b32_e32 v33, 60
	v_lshlrev_b32_e32 v31, 20, v31
	v_and_b32_e32 v32, 0x80000000, v32
	v_lshl_add_u32 v30, v30, 23, v33
	v_or3_b32 v33, v32, v30, v31
.LBB408_222:
	s_or_b64 exec, exec, s[22:23]
.LBB408_223:
	s_or_b64 exec, exec, s[20:21]
.LBB408_224:
	s_or_b64 exec, exec, s[10:11]
	s_mov_b32 s2, 0xffffff
	v_cmp_lt_u32_e64 s[2:3], s2, v26
	v_mov_b32_e32 v31, 0
	v_mov_b32_e32 v36, 0
	s_and_saveexec_b64 s[10:11], s[2:3]
	s_cbranch_execz .LBB408_230
; %bb.225:
	v_lshrrev_b32_e32 v30, 24, v26
	s_movk_i32 s2, 0x80
	v_cmp_ne_u32_e64 s[2:3], s2, v30
	v_bfrev_b32_e32 v36, 1
	s_and_saveexec_b64 s[20:21], s[2:3]
	s_cbranch_execz .LBB408_229
; %bb.226:
	v_bfe_u32 v32, v26, 24, 7
	s_movk_i32 s2, 0x7f
	v_cmp_ne_u32_e64 s[2:3], s2, v32
	v_mov_b32_e32 v36, 0x7f800001
	s_and_saveexec_b64 s[22:23], s[2:3]
	s_cbranch_execz .LBB408_228
; %bb.227:
	v_and_b32_e32 v38, 7, v30
	v_ffbh_u32_e32 v36, v38
	v_min_u32_e32 v40, 32, v36
	v_subrev_u32_e32 v36, 28, v40
	v_lshlrev_b64 v[36:37], v36, v[30:31]
	v_lshrrev_b32_e32 v39, 3, v32
	v_sub_u32_e32 v37, 29, v40
	v_and_b32_e32 v36, 7, v36
	v_cmp_gt_u32_e64 s[2:3], 8, v32
	v_cndmask_b32_e64 v32, v39, v37, s[2:3]
	v_cndmask_b32_e64 v36, v38, v36, s[2:3]
	v_lshlrev_b32_e32 v30, 24, v30
	v_bfrev_b32_e32 v37, 60
	v_lshlrev_b32_e32 v36, 20, v36
	v_and_b32_e32 v30, 0x80000000, v30
	v_lshl_add_u32 v32, v32, 23, v37
	v_or3_b32 v36, v30, v32, v36
.LBB408_228:
	s_or_b64 exec, exec, s[22:23]
.LBB408_229:
	s_or_b64 exec, exec, s[20:21]
.LBB408_230:
	s_or_b64 exec, exec, s[10:11]
	v_mov_b32_e32 v30, v27
	v_cmp_ne_u16_sdwa s[2:3], v27, v31 src0_sel:BYTE_0 src1_sel:DWORD
	s_and_saveexec_b64 s[10:11], s[2:3]
	s_cbranch_execz .LBB408_236
; %bb.231:
	s_movk_i32 s2, 0x80
	v_cmp_ne_u16_sdwa s[2:3], v27, s2 src0_sel:BYTE_0 src1_sel:DWORD
	v_bfrev_b32_e32 v32, 1
	s_and_saveexec_b64 s[20:21], s[2:3]
	s_cbranch_execz .LBB408_235
; %bb.232:
	s_movk_i32 s2, 0x7f
	v_and_b32_e32 v37, 0x7f, v27
	v_cmp_ne_u32_e64 s[2:3], s2, v37
	v_mov_b32_e32 v32, 0x7f800001
	s_and_saveexec_b64 s[22:23], s[2:3]
	s_cbranch_execz .LBB408_234
; %bb.233:
	v_and_b32_e32 v32, 7, v27
	v_ffbh_u32_e32 v32, v32
	v_min_u32_e32 v32, 32, v32
	v_subrev_u32_e32 v39, 28, v32
	v_cmp_gt_u32_e64 s[2:3], 8, v37
	v_lshrrev_b32_e32 v38, 3, v37
	v_sub_u32_e32 v32, 29, v32
	v_cndmask_b32_e64 v37, 0, v39, s[2:3]
	v_cndmask_b32_e64 v32, v38, v32, s[2:3]
	v_lshlrev_b64 v[38:39], v37, v[30:31]
	v_lshlrev_b32_e32 v31, 20, v38
	v_lshlrev_b32_e32 v37, 24, v30
	v_bfrev_b32_e32 v38, 60
	v_and_b32_e32 v31, 0x700000, v31
	v_and_b32_e32 v37, 0x80000000, v37
	v_lshl_add_u32 v32, v32, 23, v38
	v_or3_b32 v32, v37, v32, v31
.LBB408_234:
	s_or_b64 exec, exec, s[22:23]
.LBB408_235:
	s_or_b64 exec, exec, s[20:21]
	v_mov_b32_e32 v31, v32
.LBB408_236:
	s_or_b64 exec, exec, s[10:11]
	v_lshrrev_b16_e32 v32, 8, v30
	v_cmp_ne_u16_e64 s[2:3], 0, v32
	v_mov_b32_e32 v37, 0
	v_mov_b32_e32 v38, 0
	s_and_saveexec_b64 s[10:11], s[2:3]
	s_cbranch_execz .LBB408_242
; %bb.237:
	s_movk_i32 s2, 0x80
	v_cmp_ne_u16_e64 s[2:3], s2, v32
	v_bfrev_b32_e32 v38, 1
	s_and_saveexec_b64 s[20:21], s[2:3]
	s_cbranch_execz .LBB408_241
; %bb.238:
	s_movk_i32 s2, 0x7f
	v_and_b32_e32 v39, 0x7f, v32
	v_cmp_ne_u32_e64 s[2:3], s2, v39
	v_mov_b32_e32 v38, 0x7f800001
	s_and_saveexec_b64 s[22:23], s[2:3]
	s_cbranch_execz .LBB408_240
; %bb.239:
	v_and_b32_e32 v38, 7, v32
	v_ffbh_u32_e32 v40, v38
	v_min_u32_e32 v46, 32, v40
	v_subrev_u32_e32 v40, 28, v46
	v_lshlrev_b64 v[40:41], v40, v[32:33]
	v_lshrrev_b32_e32 v45, 3, v39
	v_sub_u32_e32 v32, 29, v46
	v_and_b32_e32 v40, 7, v40
	v_cmp_gt_u32_e64 s[2:3], 8, v39
	v_cndmask_b32_e64 v32, v45, v32, s[2:3]
	v_cndmask_b32_e64 v38, v38, v40, s[2:3]
	v_lshlrev_b32_e32 v30, 16, v30
	v_bfrev_b32_e32 v39, 60
	v_lshlrev_b32_e32 v38, 20, v38
	v_and_b32_e32 v30, 0x80000000, v30
	v_lshl_add_u32 v32, v32, 23, v39
	v_or3_b32 v38, v30, v32, v38
.LBB408_240:
	s_or_b64 exec, exec, s[22:23]
.LBB408_241:
	s_or_b64 exec, exec, s[20:21]
.LBB408_242:
	s_or_b64 exec, exec, s[10:11]
	s_movk_i32 s2, 0xff
	v_and_b32_sdwa v32, v27, s2 dst_sel:DWORD dst_unused:UNUSED_PAD src0_sel:WORD_1 src1_sel:DWORD
	v_lshrrev_b32_e32 v30, 16, v27
	v_cmp_ne_u16_e64 s[2:3], 0, v32
	s_and_saveexec_b64 s[10:11], s[2:3]
	s_cbranch_execz .LBB408_248
; %bb.243:
	s_movk_i32 s2, 0x80
	v_cmp_ne_u16_e64 s[2:3], s2, v32
	v_bfrev_b32_e32 v37, 1
	s_and_saveexec_b64 s[20:21], s[2:3]
	s_cbranch_execz .LBB408_247
; %bb.244:
	v_bfe_u32 v32, v27, 16, 7
	s_movk_i32 s2, 0x7f
	v_cmp_ne_u32_e64 s[2:3], s2, v32
	v_mov_b32_e32 v37, 0x7f800001
	s_and_saveexec_b64 s[22:23], s[2:3]
	s_cbranch_execz .LBB408_246
; %bb.245:
	v_and_b32_e32 v37, 7, v30
	v_ffbh_u32_e32 v40, v37
	v_min_u32_e32 v45, 32, v40
	v_subrev_u32_e32 v40, 28, v45
	v_lshlrev_b64 v[40:41], v40, v[30:31]
	v_and_b32_e32 v40, 7, v40
	v_cmp_gt_u32_e64 s[2:3], 8, v32
	v_lshrrev_b32_e32 v39, 3, v32
	v_sub_u32_e32 v30, 29, v45
	v_cndmask_b32_e64 v32, v37, v40, s[2:3]
	v_mov_b32_e32 v37, 24
	v_cndmask_b32_e64 v30, v39, v30, s[2:3]
	v_lshlrev_b32_sdwa v37, v37, v27 dst_sel:DWORD dst_unused:UNUSED_PAD src0_sel:DWORD src1_sel:WORD_1
	v_bfrev_b32_e32 v39, 60
	v_lshlrev_b32_e32 v32, 20, v32
	v_and_b32_e32 v37, 0x80000000, v37
	v_lshl_add_u32 v30, v30, 23, v39
	v_or3_b32 v37, v37, v30, v32
.LBB408_246:
	s_or_b64 exec, exec, s[22:23]
.LBB408_247:
	s_or_b64 exec, exec, s[20:21]
.LBB408_248:
	s_or_b64 exec, exec, s[10:11]
	s_mov_b32 s2, -1
	s_mov_b32 s3, 0xffffff
	v_cmp_lt_u64_e64 s[2:3], s[2:3], v[26:27]
	v_mov_b32_e32 v32, 0
	v_mov_b32_e32 v30, 0
	s_and_saveexec_b64 s[10:11], s[2:3]
	s_cbranch_execz .LBB408_254
; %bb.249:
	v_lshrrev_b32_e32 v26, 24, v27
	s_movk_i32 s2, 0x80
	v_cmp_ne_u32_e64 s[2:3], s2, v26
	v_bfrev_b32_e32 v30, 1
	s_and_saveexec_b64 s[20:21], s[2:3]
	s_cbranch_execz .LBB408_253
; %bb.250:
	v_bfe_u32 v27, v27, 24, 7
	s_movk_i32 s2, 0x7f
	v_cmp_ne_u32_e64 s[2:3], s2, v27
	v_mov_b32_e32 v30, 0x7f800001
	s_and_saveexec_b64 s[22:23], s[2:3]
	s_cbranch_execz .LBB408_252
; %bb.251:
	v_and_b32_e32 v30, 7, v26
	v_ffbh_u32_e32 v40, v30
	v_min_u32_e32 v45, 32, v40
	v_subrev_u32_e32 v40, 28, v45
	v_lshlrev_b64 v[40:41], v40, v[26:27]
	v_lshrrev_b32_e32 v39, 3, v27
	v_sub_u32_e32 v41, 29, v45
	v_and_b32_e32 v40, 7, v40
	v_cmp_gt_u32_e64 s[2:3], 8, v27
	v_cndmask_b32_e64 v27, v39, v41, s[2:3]
	v_cndmask_b32_e64 v30, v30, v40, s[2:3]
	v_lshlrev_b32_e32 v26, 24, v26
	v_bfrev_b32_e32 v39, 60
	v_lshlrev_b32_e32 v30, 20, v30
	v_and_b32_e32 v26, 0x80000000, v26
	v_lshl_add_u32 v27, v27, 23, v39
	v_or3_b32 v30, v26, v27, v30
.LBB408_252:
	s_or_b64 exec, exec, s[22:23]
.LBB408_253:
	s_or_b64 exec, exec, s[20:21]
.LBB408_254:
	s_or_b64 exec, exec, s[10:11]
	v_cvt_pkrtz_f16_f32 v26, v34, v35
	v_cvt_pkrtz_f16_f32 v27, v33, v36
	v_cvt_pkrtz_f16_f32 v34, v31, v38
	v_cvt_pkrtz_f16_f32 v35, v37, v30
	v_mfma_f32_4x4x4f16 a[0:3], v[18:19], v[26:27], a[0:3] cbsz:4 abid:4
	v_cmp_ne_u16_sdwa s[2:3], v28, v32 src0_sel:BYTE_0 src1_sel:DWORD
	v_mfma_f32_4x4x4f16 a[0:3], v[20:21], v[34:35], a[0:3] cbsz:4 abid:4
	s_and_saveexec_b64 s[10:11], s[2:3]
	s_cbranch_execz .LBB408_260
; %bb.255:
	s_movk_i32 s2, 0x80
	v_cmp_ne_u16_sdwa s[2:3], v28, s2 src0_sel:BYTE_0 src1_sel:DWORD
	v_bfrev_b32_e32 v32, 1
	s_and_saveexec_b64 s[20:21], s[2:3]
	s_cbranch_execz .LBB408_259
; %bb.256:
	s_movk_i32 s2, 0x7f
	v_and_b32_e32 v26, 0x7f, v28
	v_cmp_ne_u32_e64 s[2:3], s2, v26
	v_mov_b32_e32 v32, 0x7f800001
	s_and_saveexec_b64 s[22:23], s[2:3]
	s_cbranch_execz .LBB408_258
; %bb.257:
	v_and_b32_e32 v27, 7, v28
	v_ffbh_u32_e32 v27, v27
	v_min_u32_e32 v27, 32, v27
	v_subrev_u32_e32 v31, 28, v27
	v_cmp_gt_u32_e64 s[2:3], 8, v26
	v_lshrrev_b32_e32 v30, 3, v26
	v_sub_u32_e32 v27, 29, v27
	v_cndmask_b32_e64 v26, 0, v31, s[2:3]
	v_cndmask_b32_e64 v30, v30, v27, s[2:3]
	v_lshlrev_b64 v[26:27], v26, v[28:29]
	v_lshlrev_b32_e32 v26, 20, v26
	v_lshlrev_b32_e32 v27, 24, v28
	v_bfrev_b32_e32 v31, 60
	v_and_b32_e32 v26, 0x700000, v26
	v_and_b32_e32 v27, 0x80000000, v27
	v_lshl_add_u32 v30, v30, 23, v31
	v_or3_b32 v32, v27, v30, v26
.LBB408_258:
	s_or_b64 exec, exec, s[22:23]
.LBB408_259:
	s_or_b64 exec, exec, s[20:21]
.LBB408_260:
	s_or_b64 exec, exec, s[10:11]
	v_lshrrev_b16_e32 v26, 8, v28
	v_cmp_ne_u16_e64 s[2:3], 0, v26
	v_mov_b32_e32 v31, 0
	v_mov_b32_e32 v33, 0
	s_and_saveexec_b64 s[10:11], s[2:3]
	s_cbranch_execz .LBB408_266
; %bb.261:
	s_movk_i32 s2, 0x80
	v_cmp_ne_u16_e64 s[2:3], s2, v26
	v_bfrev_b32_e32 v33, 1
	s_and_saveexec_b64 s[20:21], s[2:3]
	s_cbranch_execz .LBB408_265
; %bb.262:
	s_movk_i32 s2, 0x7f
	v_and_b32_e32 v27, 0x7f, v26
	v_cmp_ne_u32_e64 s[2:3], s2, v27
	v_mov_b32_e32 v33, 0x7f800001
	s_and_saveexec_b64 s[22:23], s[2:3]
	s_cbranch_execz .LBB408_264
; %bb.263:
	v_and_b32_e32 v30, 7, v26
	v_ffbh_u32_e32 v34, v30
	v_min_u32_e32 v36, 32, v34
	v_subrev_u32_e32 v34, 28, v36
	v_lshlrev_b64 v[34:35], v34, v[26:27]
	v_lshrrev_b32_e32 v33, 3, v27
	v_sub_u32_e32 v26, 29, v36
	v_and_b32_e32 v34, 7, v34
	v_cmp_gt_u32_e64 s[2:3], 8, v27
	v_cndmask_b32_e64 v26, v33, v26, s[2:3]
	v_cndmask_b32_e64 v27, v30, v34, s[2:3]
	v_lshlrev_b32_e32 v30, 16, v28
	v_bfrev_b32_e32 v33, 60
	v_lshlrev_b32_e32 v27, 20, v27
	v_and_b32_e32 v30, 0x80000000, v30
	v_lshl_add_u32 v26, v26, 23, v33
	v_or3_b32 v33, v30, v26, v27
.LBB408_264:
	s_or_b64 exec, exec, s[22:23]
.LBB408_265:
	s_or_b64 exec, exec, s[20:21]
.LBB408_266:
	s_or_b64 exec, exec, s[10:11]
	s_movk_i32 s2, 0xff
	v_and_b32_sdwa v27, v28, s2 dst_sel:DWORD dst_unused:UNUSED_PAD src0_sel:WORD_1 src1_sel:DWORD
	v_lshrrev_b32_e32 v26, 16, v28
	v_cmp_ne_u16_e64 s[2:3], 0, v27
	s_and_saveexec_b64 s[10:11], s[2:3]
	s_cbranch_execz .LBB408_272
; %bb.267:
	s_movk_i32 s2, 0x80
	v_cmp_ne_u16_e64 s[2:3], s2, v27
	v_bfrev_b32_e32 v31, 1
	s_and_saveexec_b64 s[20:21], s[2:3]
	s_cbranch_execz .LBB408_271
; %bb.268:
	v_bfe_u32 v27, v28, 16, 7
	s_movk_i32 s2, 0x7f
	v_cmp_ne_u32_e64 s[2:3], s2, v27
	v_mov_b32_e32 v31, 0x7f800001
	s_and_saveexec_b64 s[22:23], s[2:3]
	s_cbranch_execz .LBB408_270
; %bb.269:
	v_and_b32_e32 v34, 7, v26
	v_ffbh_u32_e32 v30, v34
	v_min_u32_e32 v36, 32, v30
	v_subrev_u32_e32 v30, 28, v36
	v_lshlrev_b64 v[30:31], v30, v[26:27]
	v_and_b32_e32 v30, 7, v30
	v_cmp_gt_u32_e64 s[2:3], 8, v27
	v_lshrrev_b32_e32 v35, 3, v27
	v_sub_u32_e32 v26, 29, v36
	v_cndmask_b32_e64 v27, v34, v30, s[2:3]
	v_mov_b32_e32 v30, 24
	v_cndmask_b32_e64 v26, v35, v26, s[2:3]
	v_lshlrev_b32_sdwa v30, v30, v28 dst_sel:DWORD dst_unused:UNUSED_PAD src0_sel:DWORD src1_sel:WORD_1
	v_bfrev_b32_e32 v31, 60
	v_lshlrev_b32_e32 v27, 20, v27
	v_and_b32_e32 v30, 0x80000000, v30
	v_lshl_add_u32 v26, v26, 23, v31
	v_or3_b32 v31, v30, v26, v27
.LBB408_270:
	s_or_b64 exec, exec, s[22:23]
.LBB408_271:
	s_or_b64 exec, exec, s[20:21]
.LBB408_272:
	s_or_b64 exec, exec, s[10:11]
	s_mov_b32 s2, 0xffffff
	v_cmp_lt_u32_e64 s[2:3], s2, v28
	v_mov_b32_e32 v27, 0
	v_mov_b32_e32 v34, 0
	s_and_saveexec_b64 s[10:11], s[2:3]
	s_cbranch_execz .LBB408_278
; %bb.273:
	v_lshrrev_b32_e32 v26, 24, v28
	s_movk_i32 s2, 0x80
	v_cmp_ne_u32_e64 s[2:3], s2, v26
	v_bfrev_b32_e32 v34, 1
	s_and_saveexec_b64 s[20:21], s[2:3]
	s_cbranch_execz .LBB408_277
; %bb.274:
	v_bfe_u32 v30, v28, 24, 7
	s_movk_i32 s2, 0x7f
	v_cmp_ne_u32_e64 s[2:3], s2, v30
	v_mov_b32_e32 v34, 0x7f800001
	s_and_saveexec_b64 s[22:23], s[2:3]
	s_cbranch_execz .LBB408_276
; %bb.275:
	v_and_b32_e32 v36, 7, v26
	v_ffbh_u32_e32 v34, v36
	v_min_u32_e32 v38, 32, v34
	v_subrev_u32_e32 v34, 28, v38
	v_lshlrev_b64 v[34:35], v34, v[26:27]
	v_lshrrev_b32_e32 v37, 3, v30
	v_sub_u32_e32 v35, 29, v38
	v_and_b32_e32 v34, 7, v34
	v_cmp_gt_u32_e64 s[2:3], 8, v30
	v_cndmask_b32_e64 v30, v37, v35, s[2:3]
	v_cndmask_b32_e64 v34, v36, v34, s[2:3]
	v_lshlrev_b32_e32 v26, 24, v26
	v_bfrev_b32_e32 v35, 60
	v_lshlrev_b32_e32 v34, 20, v34
	v_and_b32_e32 v26, 0x80000000, v26
	v_lshl_add_u32 v30, v30, 23, v35
	v_or3_b32 v34, v26, v30, v34
.LBB408_276:
	s_or_b64 exec, exec, s[22:23]
.LBB408_277:
	s_or_b64 exec, exec, s[20:21]
.LBB408_278:
	s_or_b64 exec, exec, s[10:11]
	v_mov_b32_e32 v26, v29
	v_cmp_ne_u16_sdwa s[2:3], v29, v27 src0_sel:BYTE_0 src1_sel:DWORD
	s_and_saveexec_b64 s[10:11], s[2:3]
	s_cbranch_execz .LBB408_284
; %bb.279:
	s_movk_i32 s2, 0x80
	v_cmp_ne_u16_sdwa s[2:3], v29, s2 src0_sel:BYTE_0 src1_sel:DWORD
	v_bfrev_b32_e32 v30, 1
	s_and_saveexec_b64 s[20:21], s[2:3]
	s_cbranch_execz .LBB408_283
; %bb.280:
	s_movk_i32 s2, 0x7f
	v_and_b32_e32 v35, 0x7f, v29
	v_cmp_ne_u32_e64 s[2:3], s2, v35
	v_mov_b32_e32 v30, 0x7f800001
	s_and_saveexec_b64 s[22:23], s[2:3]
	s_cbranch_execz .LBB408_282
; %bb.281:
	v_and_b32_e32 v30, 7, v29
	v_ffbh_u32_e32 v30, v30
	v_min_u32_e32 v30, 32, v30
	v_subrev_u32_e32 v37, 28, v30
	v_cmp_gt_u32_e64 s[2:3], 8, v35
	v_lshrrev_b32_e32 v36, 3, v35
	v_sub_u32_e32 v30, 29, v30
	v_cndmask_b32_e64 v35, 0, v37, s[2:3]
	v_cndmask_b32_e64 v30, v36, v30, s[2:3]
	v_lshlrev_b64 v[36:37], v35, v[26:27]
	v_lshlrev_b32_e32 v27, 20, v36
	v_lshlrev_b32_e32 v35, 24, v26
	v_bfrev_b32_e32 v36, 60
	v_and_b32_e32 v27, 0x700000, v27
	v_and_b32_e32 v35, 0x80000000, v35
	v_lshl_add_u32 v30, v30, 23, v36
	v_or3_b32 v30, v35, v30, v27
.LBB408_282:
	s_or_b64 exec, exec, s[22:23]
.LBB408_283:
	s_or_b64 exec, exec, s[20:21]
	v_mov_b32_e32 v27, v30
.LBB408_284:
	s_or_b64 exec, exec, s[10:11]
	v_lshrrev_b16_e32 v30, 8, v26
	v_cmp_ne_u16_e64 s[2:3], 0, v30
	v_mov_b32_e32 v35, 0
	v_mov_b32_e32 v36, 0
	s_and_saveexec_b64 s[10:11], s[2:3]
	s_cbranch_execz .LBB408_290
; %bb.285:
	s_movk_i32 s2, 0x80
	v_cmp_ne_u16_e64 s[2:3], s2, v30
	v_bfrev_b32_e32 v36, 1
	s_and_saveexec_b64 s[20:21], s[2:3]
	s_cbranch_execz .LBB408_289
; %bb.286:
	s_movk_i32 s2, 0x7f
	v_and_b32_e32 v37, 0x7f, v30
	v_cmp_ne_u32_e64 s[2:3], s2, v37
	v_mov_b32_e32 v36, 0x7f800001
	s_and_saveexec_b64 s[22:23], s[2:3]
	s_cbranch_execz .LBB408_288
; %bb.287:
	v_and_b32_e32 v36, 7, v30
	v_ffbh_u32_e32 v38, v36
	v_min_u32_e32 v41, 32, v38
	v_subrev_u32_e32 v38, 28, v41
	v_lshlrev_b64 v[38:39], v38, v[30:31]
	v_lshrrev_b32_e32 v40, 3, v37
	v_sub_u32_e32 v30, 29, v41
	v_and_b32_e32 v38, 7, v38
	v_cmp_gt_u32_e64 s[2:3], 8, v37
	v_cndmask_b32_e64 v30, v40, v30, s[2:3]
	v_cndmask_b32_e64 v36, v36, v38, s[2:3]
	v_lshlrev_b32_e32 v26, 16, v26
	v_bfrev_b32_e32 v37, 60
	v_lshlrev_b32_e32 v36, 20, v36
	v_and_b32_e32 v26, 0x80000000, v26
	v_lshl_add_u32 v30, v30, 23, v37
	v_or3_b32 v36, v26, v30, v36
.LBB408_288:
	s_or_b64 exec, exec, s[22:23]
.LBB408_289:
	s_or_b64 exec, exec, s[20:21]
.LBB408_290:
	s_or_b64 exec, exec, s[10:11]
	s_movk_i32 s2, 0xff
	v_and_b32_sdwa v30, v29, s2 dst_sel:DWORD dst_unused:UNUSED_PAD src0_sel:WORD_1 src1_sel:DWORD
	v_lshrrev_b32_e32 v26, 16, v29
	v_cmp_ne_u16_e64 s[2:3], 0, v30
	s_and_saveexec_b64 s[10:11], s[2:3]
	s_cbranch_execz .LBB408_296
; %bb.291:
	s_movk_i32 s2, 0x80
	v_cmp_ne_u16_e64 s[2:3], s2, v30
	v_bfrev_b32_e32 v35, 1
	s_and_saveexec_b64 s[20:21], s[2:3]
	s_cbranch_execz .LBB408_295
; %bb.292:
	v_bfe_u32 v30, v29, 16, 7
	s_movk_i32 s2, 0x7f
	v_cmp_ne_u32_e64 s[2:3], s2, v30
	v_mov_b32_e32 v35, 0x7f800001
	s_and_saveexec_b64 s[22:23], s[2:3]
	s_cbranch_execz .LBB408_294
; %bb.293:
	v_and_b32_e32 v35, 7, v26
	v_ffbh_u32_e32 v38, v35
	v_min_u32_e32 v40, 32, v38
	v_subrev_u32_e32 v38, 28, v40
	v_lshlrev_b64 v[38:39], v38, v[26:27]
	v_and_b32_e32 v38, 7, v38
	v_cmp_gt_u32_e64 s[2:3], 8, v30
	v_lshrrev_b32_e32 v37, 3, v30
	v_sub_u32_e32 v26, 29, v40
	v_cndmask_b32_e64 v30, v35, v38, s[2:3]
	v_mov_b32_e32 v35, 24
	v_cndmask_b32_e64 v26, v37, v26, s[2:3]
	v_lshlrev_b32_sdwa v35, v35, v29 dst_sel:DWORD dst_unused:UNUSED_PAD src0_sel:DWORD src1_sel:WORD_1
	v_bfrev_b32_e32 v37, 60
	v_lshlrev_b32_e32 v30, 20, v30
	v_and_b32_e32 v35, 0x80000000, v35
	v_lshl_add_u32 v26, v26, 23, v37
	v_or3_b32 v35, v35, v26, v30
.LBB408_294:
	s_or_b64 exec, exec, s[22:23]
.LBB408_295:
	s_or_b64 exec, exec, s[20:21]
.LBB408_296:
	s_or_b64 exec, exec, s[10:11]
	s_mov_b32 s2, -1
	s_mov_b32 s3, 0xffffff
	v_cmp_lt_u64_e64 s[2:3], s[2:3], v[28:29]
	v_mov_b32_e32 v30, 0
	v_mov_b32_e32 v28, 0
	s_and_saveexec_b64 s[10:11], s[2:3]
	s_cbranch_execz .LBB408_302
; %bb.297:
	v_lshrrev_b32_e32 v26, 24, v29
	s_movk_i32 s2, 0x80
	v_cmp_ne_u32_e64 s[2:3], s2, v26
	v_bfrev_b32_e32 v28, 1
	s_and_saveexec_b64 s[20:21], s[2:3]
	s_cbranch_execz .LBB408_301
; %bb.298:
	v_bfe_u32 v29, v29, 24, 7
	s_movk_i32 s2, 0x7f
	v_cmp_ne_u32_e64 s[2:3], s2, v29
	v_mov_b32_e32 v28, 0x7f800001
	s_and_saveexec_b64 s[22:23], s[2:3]
	s_cbranch_execz .LBB408_300
; %bb.299:
	v_and_b32_e32 v28, 7, v26
	v_ffbh_u32_e32 v38, v28
	v_min_u32_e32 v40, 32, v38
	v_subrev_u32_e32 v38, 28, v40
	v_lshlrev_b64 v[38:39], v38, v[26:27]
	v_lshrrev_b32_e32 v37, 3, v29
	v_sub_u32_e32 v39, 29, v40
	v_and_b32_e32 v38, 7, v38
	v_cmp_gt_u32_e64 s[2:3], 8, v29
	v_cndmask_b32_e64 v29, v37, v39, s[2:3]
	v_cndmask_b32_e64 v28, v28, v38, s[2:3]
	v_lshlrev_b32_e32 v26, 24, v26
	v_bfrev_b32_e32 v37, 60
	v_lshlrev_b32_e32 v28, 20, v28
	v_and_b32_e32 v26, 0x80000000, v26
	v_lshl_add_u32 v29, v29, 23, v37
	v_or3_b32 v28, v26, v29, v28
.LBB408_300:
	s_or_b64 exec, exec, s[22:23]
.LBB408_301:
	s_or_b64 exec, exec, s[20:21]
.LBB408_302:
	s_or_b64 exec, exec, s[10:11]
	v_cvt_pkrtz_f16_f32 v32, v32, v33
	v_cvt_pkrtz_f16_f32 v33, v31, v34
	;; [unrolled: 1-line block ×4, first 2 shown]
	v_mfma_f32_4x4x4f16 a[0:3], v[18:19], v[32:33], a[0:3] cbsz:4 abid:5
	s_waitcnt vmcnt(4)
	v_cmp_ne_u16_sdwa s[2:3], v22, v30 src0_sel:BYTE_0 src1_sel:DWORD
	v_mfma_f32_4x4x4f16 a[0:3], v[20:21], v[26:27], a[0:3] cbsz:4 abid:5
	s_and_saveexec_b64 s[10:11], s[2:3]
	s_cbranch_execz .LBB408_308
; %bb.303:
	s_movk_i32 s2, 0x80
	v_cmp_ne_u16_sdwa s[2:3], v22, s2 src0_sel:BYTE_0 src1_sel:DWORD
	v_bfrev_b32_e32 v30, 1
	s_and_saveexec_b64 s[20:21], s[2:3]
	s_cbranch_execz .LBB408_307
; %bb.304:
	s_movk_i32 s2, 0x7f
	v_and_b32_e32 v26, 0x7f, v22
	v_cmp_ne_u32_e64 s[2:3], s2, v26
	v_mov_b32_e32 v30, 0x7f800001
	s_and_saveexec_b64 s[22:23], s[2:3]
	s_cbranch_execz .LBB408_306
; %bb.305:
	v_and_b32_e32 v27, 7, v22
	v_ffbh_u32_e32 v27, v27
	v_min_u32_e32 v27, 32, v27
	v_subrev_u32_e32 v29, 28, v27
	v_cmp_gt_u32_e64 s[2:3], 8, v26
	v_lshrrev_b32_e32 v28, 3, v26
	v_sub_u32_e32 v27, 29, v27
	v_cndmask_b32_e64 v26, 0, v29, s[2:3]
	v_cndmask_b32_e64 v28, v28, v27, s[2:3]
	v_lshlrev_b64 v[26:27], v26, v[22:23]
	v_lshlrev_b32_e32 v26, 20, v26
	v_lshlrev_b32_e32 v27, 24, v22
	v_bfrev_b32_e32 v29, 60
	v_and_b32_e32 v26, 0x700000, v26
	v_and_b32_e32 v27, 0x80000000, v27
	v_lshl_add_u32 v28, v28, 23, v29
	v_or3_b32 v30, v27, v28, v26
.LBB408_306:
	s_or_b64 exec, exec, s[22:23]
.LBB408_307:
	s_or_b64 exec, exec, s[20:21]
.LBB408_308:
	s_or_b64 exec, exec, s[10:11]
	v_lshrrev_b16_e32 v26, 8, v22
	v_cmp_ne_u16_e64 s[2:3], 0, v26
	v_mov_b32_e32 v29, 0
	v_mov_b32_e32 v31, 0
	s_and_saveexec_b64 s[10:11], s[2:3]
	s_cbranch_execz .LBB408_314
; %bb.309:
	s_movk_i32 s2, 0x80
	v_cmp_ne_u16_e64 s[2:3], s2, v26
	v_bfrev_b32_e32 v31, 1
	s_and_saveexec_b64 s[20:21], s[2:3]
	s_cbranch_execz .LBB408_313
; %bb.310:
	s_movk_i32 s2, 0x7f
	v_and_b32_e32 v27, 0x7f, v26
	v_cmp_ne_u32_e64 s[2:3], s2, v27
	v_mov_b32_e32 v31, 0x7f800001
	s_and_saveexec_b64 s[22:23], s[2:3]
	s_cbranch_execz .LBB408_312
; %bb.311:
	v_and_b32_e32 v28, 7, v26
	v_ffbh_u32_e32 v32, v28
	v_min_u32_e32 v34, 32, v32
	v_subrev_u32_e32 v32, 28, v34
	v_lshlrev_b64 v[32:33], v32, v[26:27]
	v_lshrrev_b32_e32 v31, 3, v27
	v_sub_u32_e32 v26, 29, v34
	v_and_b32_e32 v32, 7, v32
	v_cmp_gt_u32_e64 s[2:3], 8, v27
	v_cndmask_b32_e64 v26, v31, v26, s[2:3]
	v_cndmask_b32_e64 v27, v28, v32, s[2:3]
	v_lshlrev_b32_e32 v28, 16, v22
	v_bfrev_b32_e32 v31, 60
	v_lshlrev_b32_e32 v27, 20, v27
	v_and_b32_e32 v28, 0x80000000, v28
	v_lshl_add_u32 v26, v26, 23, v31
	v_or3_b32 v31, v28, v26, v27
.LBB408_312:
	s_or_b64 exec, exec, s[22:23]
.LBB408_313:
	s_or_b64 exec, exec, s[20:21]
.LBB408_314:
	s_or_b64 exec, exec, s[10:11]
	s_movk_i32 s2, 0xff
	v_and_b32_sdwa v27, v22, s2 dst_sel:DWORD dst_unused:UNUSED_PAD src0_sel:WORD_1 src1_sel:DWORD
	v_lshrrev_b32_e32 v26, 16, v22
	v_cmp_ne_u16_e64 s[2:3], 0, v27
	s_and_saveexec_b64 s[10:11], s[2:3]
	s_cbranch_execz .LBB408_320
; %bb.315:
	s_movk_i32 s2, 0x80
	v_cmp_ne_u16_e64 s[2:3], s2, v27
	v_bfrev_b32_e32 v29, 1
	s_and_saveexec_b64 s[20:21], s[2:3]
	s_cbranch_execz .LBB408_319
; %bb.316:
	v_bfe_u32 v27, v22, 16, 7
	s_movk_i32 s2, 0x7f
	v_cmp_ne_u32_e64 s[2:3], s2, v27
	v_mov_b32_e32 v29, 0x7f800001
	s_and_saveexec_b64 s[22:23], s[2:3]
	s_cbranch_execz .LBB408_318
; %bb.317:
	v_and_b32_e32 v32, 7, v26
	v_ffbh_u32_e32 v28, v32
	v_min_u32_e32 v34, 32, v28
	v_subrev_u32_e32 v28, 28, v34
	v_lshlrev_b64 v[28:29], v28, v[26:27]
	v_and_b32_e32 v28, 7, v28
	v_cmp_gt_u32_e64 s[2:3], 8, v27
	v_lshrrev_b32_e32 v33, 3, v27
	v_sub_u32_e32 v26, 29, v34
	v_cndmask_b32_e64 v27, v32, v28, s[2:3]
	v_mov_b32_e32 v28, 24
	v_cndmask_b32_e64 v26, v33, v26, s[2:3]
	v_lshlrev_b32_sdwa v28, v28, v22 dst_sel:DWORD dst_unused:UNUSED_PAD src0_sel:DWORD src1_sel:WORD_1
	v_bfrev_b32_e32 v29, 60
	v_lshlrev_b32_e32 v27, 20, v27
	v_and_b32_e32 v28, 0x80000000, v28
	v_lshl_add_u32 v26, v26, 23, v29
	v_or3_b32 v29, v28, v26, v27
.LBB408_318:
	s_or_b64 exec, exec, s[22:23]
.LBB408_319:
	s_or_b64 exec, exec, s[20:21]
.LBB408_320:
	s_or_b64 exec, exec, s[10:11]
	s_mov_b32 s2, 0xffffff
	v_cmp_lt_u32_e64 s[2:3], s2, v22
	v_mov_b32_e32 v27, 0
	v_mov_b32_e32 v32, 0
	s_and_saveexec_b64 s[10:11], s[2:3]
	s_cbranch_execz .LBB408_326
; %bb.321:
	v_lshrrev_b32_e32 v26, 24, v22
	s_movk_i32 s2, 0x80
	v_cmp_ne_u32_e64 s[2:3], s2, v26
	v_bfrev_b32_e32 v32, 1
	s_and_saveexec_b64 s[20:21], s[2:3]
	s_cbranch_execz .LBB408_325
; %bb.322:
	v_bfe_u32 v28, v22, 24, 7
	s_movk_i32 s2, 0x7f
	v_cmp_ne_u32_e64 s[2:3], s2, v28
	v_mov_b32_e32 v32, 0x7f800001
	s_and_saveexec_b64 s[22:23], s[2:3]
	s_cbranch_execz .LBB408_324
; %bb.323:
	v_and_b32_e32 v34, 7, v26
	v_ffbh_u32_e32 v32, v34
	v_min_u32_e32 v36, 32, v32
	v_subrev_u32_e32 v32, 28, v36
	v_lshlrev_b64 v[32:33], v32, v[26:27]
	v_lshrrev_b32_e32 v35, 3, v28
	v_sub_u32_e32 v33, 29, v36
	v_and_b32_e32 v32, 7, v32
	v_cmp_gt_u32_e64 s[2:3], 8, v28
	v_cndmask_b32_e64 v28, v35, v33, s[2:3]
	v_cndmask_b32_e64 v32, v34, v32, s[2:3]
	v_lshlrev_b32_e32 v26, 24, v26
	v_bfrev_b32_e32 v33, 60
	v_lshlrev_b32_e32 v32, 20, v32
	v_and_b32_e32 v26, 0x80000000, v26
	v_lshl_add_u32 v28, v28, 23, v33
	v_or3_b32 v32, v26, v28, v32
.LBB408_324:
	s_or_b64 exec, exec, s[22:23]
.LBB408_325:
	s_or_b64 exec, exec, s[20:21]
.LBB408_326:
	s_or_b64 exec, exec, s[10:11]
	v_mov_b32_e32 v26, v23
	v_cmp_ne_u16_sdwa s[2:3], v23, v27 src0_sel:BYTE_0 src1_sel:DWORD
	s_and_saveexec_b64 s[10:11], s[2:3]
	s_cbranch_execz .LBB408_332
; %bb.327:
	s_movk_i32 s2, 0x80
	v_cmp_ne_u16_sdwa s[2:3], v23, s2 src0_sel:BYTE_0 src1_sel:DWORD
	v_bfrev_b32_e32 v28, 1
	s_and_saveexec_b64 s[20:21], s[2:3]
	s_cbranch_execz .LBB408_331
; %bb.328:
	s_movk_i32 s2, 0x7f
	v_and_b32_e32 v33, 0x7f, v23
	v_cmp_ne_u32_e64 s[2:3], s2, v33
	v_mov_b32_e32 v28, 0x7f800001
	s_and_saveexec_b64 s[22:23], s[2:3]
	s_cbranch_execz .LBB408_330
; %bb.329:
	v_and_b32_e32 v28, 7, v23
	v_ffbh_u32_e32 v28, v28
	v_min_u32_e32 v28, 32, v28
	v_subrev_u32_e32 v35, 28, v28
	v_cmp_gt_u32_e64 s[2:3], 8, v33
	v_lshrrev_b32_e32 v34, 3, v33
	v_sub_u32_e32 v28, 29, v28
	v_cndmask_b32_e64 v33, 0, v35, s[2:3]
	v_cndmask_b32_e64 v28, v34, v28, s[2:3]
	v_lshlrev_b64 v[34:35], v33, v[26:27]
	v_lshlrev_b32_e32 v27, 20, v34
	v_lshlrev_b32_e32 v33, 24, v26
	v_bfrev_b32_e32 v34, 60
	v_and_b32_e32 v27, 0x700000, v27
	v_and_b32_e32 v33, 0x80000000, v33
	v_lshl_add_u32 v28, v28, 23, v34
	v_or3_b32 v28, v33, v28, v27
.LBB408_330:
	s_or_b64 exec, exec, s[22:23]
.LBB408_331:
	s_or_b64 exec, exec, s[20:21]
	v_mov_b32_e32 v27, v28
.LBB408_332:
	s_or_b64 exec, exec, s[10:11]
	v_lshrrev_b16_e32 v28, 8, v26
	v_cmp_ne_u16_e64 s[2:3], 0, v28
	v_mov_b32_e32 v33, 0
	v_mov_b32_e32 v34, 0
	s_and_saveexec_b64 s[10:11], s[2:3]
	s_cbranch_execz .LBB408_338
; %bb.333:
	s_movk_i32 s2, 0x80
	v_cmp_ne_u16_e64 s[2:3], s2, v28
	v_bfrev_b32_e32 v34, 1
	s_and_saveexec_b64 s[20:21], s[2:3]
	s_cbranch_execz .LBB408_337
; %bb.334:
	s_movk_i32 s2, 0x7f
	v_and_b32_e32 v35, 0x7f, v28
	v_cmp_ne_u32_e64 s[2:3], s2, v35
	v_mov_b32_e32 v34, 0x7f800001
	s_and_saveexec_b64 s[22:23], s[2:3]
	s_cbranch_execz .LBB408_336
; %bb.335:
	v_and_b32_e32 v34, 7, v28
	v_ffbh_u32_e32 v36, v34
	v_min_u32_e32 v39, 32, v36
	v_subrev_u32_e32 v36, 28, v39
	v_lshlrev_b64 v[36:37], v36, v[28:29]
	v_lshrrev_b32_e32 v38, 3, v35
	v_sub_u32_e32 v28, 29, v39
	v_and_b32_e32 v36, 7, v36
	v_cmp_gt_u32_e64 s[2:3], 8, v35
	v_cndmask_b32_e64 v28, v38, v28, s[2:3]
	v_cndmask_b32_e64 v34, v34, v36, s[2:3]
	v_lshlrev_b32_e32 v26, 16, v26
	v_bfrev_b32_e32 v35, 60
	v_lshlrev_b32_e32 v34, 20, v34
	v_and_b32_e32 v26, 0x80000000, v26
	v_lshl_add_u32 v28, v28, 23, v35
	v_or3_b32 v34, v26, v28, v34
.LBB408_336:
	s_or_b64 exec, exec, s[22:23]
.LBB408_337:
	s_or_b64 exec, exec, s[20:21]
.LBB408_338:
	s_or_b64 exec, exec, s[10:11]
	s_movk_i32 s2, 0xff
	v_and_b32_sdwa v28, v23, s2 dst_sel:DWORD dst_unused:UNUSED_PAD src0_sel:WORD_1 src1_sel:DWORD
	v_lshrrev_b32_e32 v26, 16, v23
	v_cmp_ne_u16_e64 s[2:3], 0, v28
	s_and_saveexec_b64 s[10:11], s[2:3]
	s_cbranch_execz .LBB408_344
; %bb.339:
	s_movk_i32 s2, 0x80
	v_cmp_ne_u16_e64 s[2:3], s2, v28
	v_bfrev_b32_e32 v33, 1
	s_and_saveexec_b64 s[20:21], s[2:3]
	s_cbranch_execz .LBB408_343
; %bb.340:
	v_bfe_u32 v28, v23, 16, 7
	s_movk_i32 s2, 0x7f
	v_cmp_ne_u32_e64 s[2:3], s2, v28
	v_mov_b32_e32 v33, 0x7f800001
	s_and_saveexec_b64 s[22:23], s[2:3]
	s_cbranch_execz .LBB408_342
; %bb.341:
	v_and_b32_e32 v33, 7, v26
	v_ffbh_u32_e32 v36, v33
	v_min_u32_e32 v38, 32, v36
	v_subrev_u32_e32 v36, 28, v38
	v_lshlrev_b64 v[36:37], v36, v[26:27]
	v_and_b32_e32 v36, 7, v36
	v_cmp_gt_u32_e64 s[2:3], 8, v28
	v_lshrrev_b32_e32 v35, 3, v28
	v_sub_u32_e32 v26, 29, v38
	v_cndmask_b32_e64 v28, v33, v36, s[2:3]
	v_mov_b32_e32 v33, 24
	v_cndmask_b32_e64 v26, v35, v26, s[2:3]
	v_lshlrev_b32_sdwa v33, v33, v23 dst_sel:DWORD dst_unused:UNUSED_PAD src0_sel:DWORD src1_sel:WORD_1
	v_bfrev_b32_e32 v35, 60
	v_lshlrev_b32_e32 v28, 20, v28
	v_and_b32_e32 v33, 0x80000000, v33
	v_lshl_add_u32 v26, v26, 23, v35
	v_or3_b32 v33, v33, v26, v28
.LBB408_342:
	s_or_b64 exec, exec, s[22:23]
.LBB408_343:
	s_or_b64 exec, exec, s[20:21]
.LBB408_344:
	s_or_b64 exec, exec, s[10:11]
	s_mov_b32 s2, -1
	s_mov_b32 s3, 0xffffff
	v_cmp_lt_u64_e64 s[2:3], s[2:3], v[22:23]
	v_mov_b32_e32 v28, 0
	v_mov_b32_e32 v26, 0
	s_and_saveexec_b64 s[10:11], s[2:3]
	s_cbranch_execz .LBB408_350
; %bb.345:
	v_lshrrev_b32_e32 v22, 24, v23
	s_movk_i32 s2, 0x80
	v_cmp_ne_u32_e64 s[2:3], s2, v22
	v_bfrev_b32_e32 v26, 1
	s_and_saveexec_b64 s[20:21], s[2:3]
	s_cbranch_execz .LBB408_349
; %bb.346:
	v_bfe_u32 v23, v23, 24, 7
	s_movk_i32 s2, 0x7f
	v_cmp_ne_u32_e64 s[2:3], s2, v23
	v_mov_b32_e32 v26, 0x7f800001
	s_and_saveexec_b64 s[22:23], s[2:3]
	s_cbranch_execz .LBB408_348
; %bb.347:
	v_and_b32_e32 v26, 7, v22
	v_ffbh_u32_e32 v36, v26
	v_min_u32_e32 v38, 32, v36
	v_subrev_u32_e32 v36, 28, v38
	v_lshlrev_b64 v[36:37], v36, v[22:23]
	v_lshrrev_b32_e32 v35, 3, v23
	v_sub_u32_e32 v37, 29, v38
	v_and_b32_e32 v36, 7, v36
	v_cmp_gt_u32_e64 s[2:3], 8, v23
	v_cndmask_b32_e64 v23, v35, v37, s[2:3]
	v_cndmask_b32_e64 v26, v26, v36, s[2:3]
	v_lshlrev_b32_e32 v22, 24, v22
	v_bfrev_b32_e32 v35, 60
	v_lshlrev_b32_e32 v26, 20, v26
	v_and_b32_e32 v22, 0x80000000, v22
	v_lshl_add_u32 v23, v23, 23, v35
	v_or3_b32 v26, v22, v23, v26
.LBB408_348:
	s_or_b64 exec, exec, s[22:23]
.LBB408_349:
	s_or_b64 exec, exec, s[20:21]
.LBB408_350:
	s_or_b64 exec, exec, s[10:11]
	v_cvt_pkrtz_f16_f32 v22, v30, v31
	v_cvt_pkrtz_f16_f32 v23, v29, v32
	;; [unrolled: 1-line block ×4, first 2 shown]
	v_mfma_f32_4x4x4f16 a[0:3], v[18:19], v[22:23], a[0:3] cbsz:4 abid:6
	v_cmp_ne_u16_sdwa s[2:3], v24, v28 src0_sel:BYTE_0 src1_sel:DWORD
	v_mfma_f32_4x4x4f16 a[0:3], v[20:21], v[30:31], a[0:3] cbsz:4 abid:6
	s_and_saveexec_b64 s[10:11], s[2:3]
	s_cbranch_execz .LBB408_356
; %bb.351:
	s_movk_i32 s2, 0x80
	v_cmp_ne_u16_sdwa s[2:3], v24, s2 src0_sel:BYTE_0 src1_sel:DWORD
	v_bfrev_b32_e32 v28, 1
	s_and_saveexec_b64 s[20:21], s[2:3]
	s_cbranch_execz .LBB408_355
; %bb.352:
	s_movk_i32 s2, 0x7f
	v_and_b32_e32 v22, 0x7f, v24
	v_cmp_ne_u32_e64 s[2:3], s2, v22
	v_mov_b32_e32 v28, 0x7f800001
	s_and_saveexec_b64 s[22:23], s[2:3]
	s_cbranch_execz .LBB408_354
; %bb.353:
	v_and_b32_e32 v23, 7, v24
	v_ffbh_u32_e32 v23, v23
	v_min_u32_e32 v23, 32, v23
	v_subrev_u32_e32 v27, 28, v23
	v_cmp_gt_u32_e64 s[2:3], 8, v22
	v_lshrrev_b32_e32 v26, 3, v22
	v_sub_u32_e32 v23, 29, v23
	v_cndmask_b32_e64 v22, 0, v27, s[2:3]
	v_cndmask_b32_e64 v26, v26, v23, s[2:3]
	v_lshlrev_b64 v[22:23], v22, v[24:25]
	v_lshlrev_b32_e32 v22, 20, v22
	v_lshlrev_b32_e32 v23, 24, v24
	v_bfrev_b32_e32 v27, 60
	v_and_b32_e32 v22, 0x700000, v22
	v_and_b32_e32 v23, 0x80000000, v23
	v_lshl_add_u32 v26, v26, 23, v27
	v_or3_b32 v28, v23, v26, v22
.LBB408_354:
	s_or_b64 exec, exec, s[22:23]
.LBB408_355:
	s_or_b64 exec, exec, s[20:21]
.LBB408_356:
	s_or_b64 exec, exec, s[10:11]
	v_lshrrev_b16_e32 v22, 8, v24
	v_cmp_ne_u16_e64 s[2:3], 0, v22
	v_mov_b32_e32 v27, 0
	v_mov_b32_e32 v29, 0
	s_and_saveexec_b64 s[10:11], s[2:3]
	s_cbranch_execz .LBB408_362
; %bb.357:
	s_movk_i32 s2, 0x80
	v_cmp_ne_u16_e64 s[2:3], s2, v22
	v_bfrev_b32_e32 v29, 1
	s_and_saveexec_b64 s[20:21], s[2:3]
	s_cbranch_execz .LBB408_361
; %bb.358:
	s_movk_i32 s2, 0x7f
	v_and_b32_e32 v23, 0x7f, v22
	v_cmp_ne_u32_e64 s[2:3], s2, v23
	v_mov_b32_e32 v29, 0x7f800001
	s_and_saveexec_b64 s[22:23], s[2:3]
	s_cbranch_execz .LBB408_360
; %bb.359:
	v_and_b32_e32 v26, 7, v22
	v_ffbh_u32_e32 v30, v26
	v_min_u32_e32 v32, 32, v30
	v_subrev_u32_e32 v30, 28, v32
	v_lshlrev_b64 v[30:31], v30, v[22:23]
	v_lshrrev_b32_e32 v29, 3, v23
	v_sub_u32_e32 v22, 29, v32
	v_and_b32_e32 v30, 7, v30
	v_cmp_gt_u32_e64 s[2:3], 8, v23
	v_cndmask_b32_e64 v22, v29, v22, s[2:3]
	v_cndmask_b32_e64 v23, v26, v30, s[2:3]
	v_lshlrev_b32_e32 v26, 16, v24
	v_bfrev_b32_e32 v29, 60
	v_lshlrev_b32_e32 v23, 20, v23
	v_and_b32_e32 v26, 0x80000000, v26
	v_lshl_add_u32 v22, v22, 23, v29
	v_or3_b32 v29, v26, v22, v23
.LBB408_360:
	s_or_b64 exec, exec, s[22:23]
.LBB408_361:
	s_or_b64 exec, exec, s[20:21]
.LBB408_362:
	s_or_b64 exec, exec, s[10:11]
	s_movk_i32 s2, 0xff
	v_and_b32_sdwa v23, v24, s2 dst_sel:DWORD dst_unused:UNUSED_PAD src0_sel:WORD_1 src1_sel:DWORD
	v_lshrrev_b32_e32 v22, 16, v24
	v_cmp_ne_u16_e64 s[2:3], 0, v23
	s_and_saveexec_b64 s[10:11], s[2:3]
	s_cbranch_execz .LBB408_368
; %bb.363:
	s_movk_i32 s2, 0x80
	v_cmp_ne_u16_e64 s[2:3], s2, v23
	v_bfrev_b32_e32 v27, 1
	s_and_saveexec_b64 s[20:21], s[2:3]
	s_cbranch_execz .LBB408_367
; %bb.364:
	v_bfe_u32 v23, v24, 16, 7
	s_movk_i32 s2, 0x7f
	v_cmp_ne_u32_e64 s[2:3], s2, v23
	v_mov_b32_e32 v27, 0x7f800001
	s_and_saveexec_b64 s[22:23], s[2:3]
	s_cbranch_execz .LBB408_366
; %bb.365:
	v_and_b32_e32 v30, 7, v22
	v_ffbh_u32_e32 v26, v30
	v_min_u32_e32 v32, 32, v26
	v_subrev_u32_e32 v26, 28, v32
	v_lshlrev_b64 v[26:27], v26, v[22:23]
	v_and_b32_e32 v26, 7, v26
	v_cmp_gt_u32_e64 s[2:3], 8, v23
	v_lshrrev_b32_e32 v31, 3, v23
	v_sub_u32_e32 v22, 29, v32
	v_cndmask_b32_e64 v23, v30, v26, s[2:3]
	v_mov_b32_e32 v26, 24
	v_cndmask_b32_e64 v22, v31, v22, s[2:3]
	v_lshlrev_b32_sdwa v26, v26, v24 dst_sel:DWORD dst_unused:UNUSED_PAD src0_sel:DWORD src1_sel:WORD_1
	v_bfrev_b32_e32 v27, 60
	v_lshlrev_b32_e32 v23, 20, v23
	v_and_b32_e32 v26, 0x80000000, v26
	v_lshl_add_u32 v22, v22, 23, v27
	v_or3_b32 v27, v26, v22, v23
.LBB408_366:
	s_or_b64 exec, exec, s[22:23]
.LBB408_367:
	s_or_b64 exec, exec, s[20:21]
.LBB408_368:
	s_or_b64 exec, exec, s[10:11]
	s_mov_b32 s2, 0xffffff
	v_cmp_lt_u32_e64 s[2:3], s2, v24
	v_mov_b32_e32 v23, 0
	v_mov_b32_e32 v30, 0
	s_and_saveexec_b64 s[10:11], s[2:3]
	s_cbranch_execz .LBB408_374
; %bb.369:
	v_lshrrev_b32_e32 v22, 24, v24
	s_movk_i32 s2, 0x80
	v_cmp_ne_u32_e64 s[2:3], s2, v22
	v_bfrev_b32_e32 v30, 1
	s_and_saveexec_b64 s[20:21], s[2:3]
	s_cbranch_execz .LBB408_373
; %bb.370:
	v_bfe_u32 v26, v24, 24, 7
	s_movk_i32 s2, 0x7f
	v_cmp_ne_u32_e64 s[2:3], s2, v26
	v_mov_b32_e32 v30, 0x7f800001
	s_and_saveexec_b64 s[22:23], s[2:3]
	s_cbranch_execz .LBB408_372
; %bb.371:
	v_and_b32_e32 v32, 7, v22
	v_ffbh_u32_e32 v30, v32
	v_min_u32_e32 v34, 32, v30
	v_subrev_u32_e32 v30, 28, v34
	v_lshlrev_b64 v[30:31], v30, v[22:23]
	v_lshrrev_b32_e32 v33, 3, v26
	v_sub_u32_e32 v31, 29, v34
	v_and_b32_e32 v30, 7, v30
	v_cmp_gt_u32_e64 s[2:3], 8, v26
	v_cndmask_b32_e64 v26, v33, v31, s[2:3]
	v_cndmask_b32_e64 v30, v32, v30, s[2:3]
	v_lshlrev_b32_e32 v22, 24, v22
	v_bfrev_b32_e32 v31, 60
	v_lshlrev_b32_e32 v30, 20, v30
	v_and_b32_e32 v22, 0x80000000, v22
	v_lshl_add_u32 v26, v26, 23, v31
	v_or3_b32 v30, v22, v26, v30
.LBB408_372:
	s_or_b64 exec, exec, s[22:23]
.LBB408_373:
	s_or_b64 exec, exec, s[20:21]
.LBB408_374:
	s_or_b64 exec, exec, s[10:11]
	v_mov_b32_e32 v22, v25
	v_cmp_ne_u16_sdwa s[2:3], v25, v23 src0_sel:BYTE_0 src1_sel:DWORD
	s_and_saveexec_b64 s[10:11], s[2:3]
	s_cbranch_execz .LBB408_380
; %bb.375:
	s_movk_i32 s2, 0x80
	v_cmp_ne_u16_sdwa s[2:3], v25, s2 src0_sel:BYTE_0 src1_sel:DWORD
	v_bfrev_b32_e32 v26, 1
	s_and_saveexec_b64 s[20:21], s[2:3]
	s_cbranch_execz .LBB408_379
; %bb.376:
	s_movk_i32 s2, 0x7f
	v_and_b32_e32 v31, 0x7f, v25
	v_cmp_ne_u32_e64 s[2:3], s2, v31
	v_mov_b32_e32 v26, 0x7f800001
	s_and_saveexec_b64 s[22:23], s[2:3]
	s_cbranch_execz .LBB408_378
; %bb.377:
	v_and_b32_e32 v26, 7, v25
	v_ffbh_u32_e32 v26, v26
	v_min_u32_e32 v26, 32, v26
	v_subrev_u32_e32 v33, 28, v26
	v_cmp_gt_u32_e64 s[2:3], 8, v31
	v_lshrrev_b32_e32 v32, 3, v31
	v_sub_u32_e32 v26, 29, v26
	v_cndmask_b32_e64 v31, 0, v33, s[2:3]
	v_cndmask_b32_e64 v26, v32, v26, s[2:3]
	v_lshlrev_b64 v[32:33], v31, v[22:23]
	v_lshlrev_b32_e32 v23, 20, v32
	v_lshlrev_b32_e32 v31, 24, v22
	v_bfrev_b32_e32 v32, 60
	v_and_b32_e32 v23, 0x700000, v23
	v_and_b32_e32 v31, 0x80000000, v31
	v_lshl_add_u32 v26, v26, 23, v32
	v_or3_b32 v26, v31, v26, v23
.LBB408_378:
	s_or_b64 exec, exec, s[22:23]
.LBB408_379:
	s_or_b64 exec, exec, s[20:21]
	v_mov_b32_e32 v23, v26
.LBB408_380:
	s_or_b64 exec, exec, s[10:11]
	v_lshrrev_b16_e32 v26, 8, v22
	v_cmp_ne_u16_e64 s[2:3], 0, v26
	v_mov_b32_e32 v31, 0
	v_mov_b32_e32 v32, 0
	s_and_saveexec_b64 s[10:11], s[2:3]
	s_cbranch_execz .LBB408_386
; %bb.381:
	s_movk_i32 s2, 0x80
	v_cmp_ne_u16_e64 s[2:3], s2, v26
	v_bfrev_b32_e32 v32, 1
	s_and_saveexec_b64 s[20:21], s[2:3]
	s_cbranch_execz .LBB408_385
; %bb.382:
	s_movk_i32 s2, 0x7f
	v_and_b32_e32 v33, 0x7f, v26
	v_cmp_ne_u32_e64 s[2:3], s2, v33
	v_mov_b32_e32 v32, 0x7f800001
	s_and_saveexec_b64 s[22:23], s[2:3]
	s_cbranch_execz .LBB408_384
; %bb.383:
	v_and_b32_e32 v32, 7, v26
	v_ffbh_u32_e32 v34, v32
	v_min_u32_e32 v37, 32, v34
	v_subrev_u32_e32 v34, 28, v37
	v_lshlrev_b64 v[34:35], v34, v[26:27]
	v_lshrrev_b32_e32 v36, 3, v33
	v_sub_u32_e32 v26, 29, v37
	v_and_b32_e32 v34, 7, v34
	v_cmp_gt_u32_e64 s[2:3], 8, v33
	v_cndmask_b32_e64 v26, v36, v26, s[2:3]
	v_cndmask_b32_e64 v32, v32, v34, s[2:3]
	v_lshlrev_b32_e32 v22, 16, v22
	v_bfrev_b32_e32 v33, 60
	v_lshlrev_b32_e32 v32, 20, v32
	v_and_b32_e32 v22, 0x80000000, v22
	v_lshl_add_u32 v26, v26, 23, v33
	v_or3_b32 v32, v22, v26, v32
.LBB408_384:
	s_or_b64 exec, exec, s[22:23]
.LBB408_385:
	s_or_b64 exec, exec, s[20:21]
.LBB408_386:
	s_or_b64 exec, exec, s[10:11]
	s_movk_i32 s2, 0xff
	v_and_b32_sdwa v26, v25, s2 dst_sel:DWORD dst_unused:UNUSED_PAD src0_sel:WORD_1 src1_sel:DWORD
	v_lshrrev_b32_e32 v22, 16, v25
	v_cmp_ne_u16_e64 s[2:3], 0, v26
	s_and_saveexec_b64 s[10:11], s[2:3]
	s_cbranch_execz .LBB408_392
; %bb.387:
	s_movk_i32 s2, 0x80
	v_cmp_ne_u16_e64 s[2:3], s2, v26
	v_bfrev_b32_e32 v31, 1
	s_and_saveexec_b64 s[20:21], s[2:3]
	s_cbranch_execz .LBB408_391
; %bb.388:
	v_bfe_u32 v26, v25, 16, 7
	s_movk_i32 s2, 0x7f
	v_cmp_ne_u32_e64 s[2:3], s2, v26
	v_mov_b32_e32 v31, 0x7f800001
	s_and_saveexec_b64 s[22:23], s[2:3]
	s_cbranch_execz .LBB408_390
; %bb.389:
	v_and_b32_e32 v31, 7, v22
	v_ffbh_u32_e32 v34, v31
	v_min_u32_e32 v36, 32, v34
	v_subrev_u32_e32 v34, 28, v36
	v_lshlrev_b64 v[34:35], v34, v[22:23]
	v_and_b32_e32 v34, 7, v34
	v_cmp_gt_u32_e64 s[2:3], 8, v26
	v_lshrrev_b32_e32 v33, 3, v26
	v_sub_u32_e32 v22, 29, v36
	v_cndmask_b32_e64 v26, v31, v34, s[2:3]
	v_mov_b32_e32 v31, 24
	v_cndmask_b32_e64 v22, v33, v22, s[2:3]
	v_lshlrev_b32_sdwa v31, v31, v25 dst_sel:DWORD dst_unused:UNUSED_PAD src0_sel:DWORD src1_sel:WORD_1
	v_bfrev_b32_e32 v33, 60
	v_lshlrev_b32_e32 v26, 20, v26
	v_and_b32_e32 v31, 0x80000000, v31
	v_lshl_add_u32 v22, v22, 23, v33
	v_or3_b32 v31, v31, v22, v26
.LBB408_390:
	s_or_b64 exec, exec, s[22:23]
.LBB408_391:
	s_or_b64 exec, exec, s[20:21]
.LBB408_392:
	s_or_b64 exec, exec, s[10:11]
	s_mov_b32 s2, -1
	s_mov_b32 s3, 0xffffff
	v_cmp_lt_u64_e64 s[2:3], s[2:3], v[24:25]
	v_mov_b32_e32 v24, 0
	s_and_saveexec_b64 s[10:11], s[2:3]
	s_cbranch_execz .LBB408_398
; %bb.393:
	v_lshrrev_b32_e32 v22, 24, v25
	s_movk_i32 s2, 0x80
	v_cmp_ne_u32_e64 s[2:3], s2, v22
	v_bfrev_b32_e32 v24, 1
	s_and_saveexec_b64 s[20:21], s[2:3]
	s_cbranch_execz .LBB408_397
; %bb.394:
	v_bfe_u32 v25, v25, 24, 7
	s_movk_i32 s2, 0x7f
	v_cmp_ne_u32_e64 s[2:3], s2, v25
	v_mov_b32_e32 v24, 0x7f800001
	s_and_saveexec_b64 s[22:23], s[2:3]
	s_cbranch_execz .LBB408_396
; %bb.395:
	v_and_b32_e32 v24, 7, v22
	v_ffbh_u32_e32 v33, v24
	v_min_u32_e32 v33, 32, v33
	v_subrev_u32_e32 v34, 28, v33
	v_lshlrev_b64 v[34:35], v34, v[22:23]
	v_lshrrev_b32_e32 v26, 3, v25
	v_sub_u32_e32 v33, 29, v33
	v_and_b32_e32 v34, 7, v34
	v_cmp_gt_u32_e64 s[2:3], 8, v25
	v_cndmask_b32_e64 v25, v26, v33, s[2:3]
	v_cndmask_b32_e64 v24, v24, v34, s[2:3]
	v_lshlrev_b32_e32 v22, 24, v22
	v_bfrev_b32_e32 v26, 60
	v_lshlrev_b32_e32 v24, 20, v24
	v_and_b32_e32 v22, 0x80000000, v22
	v_lshl_add_u32 v25, v25, 23, v26
	v_or3_b32 v24, v22, v25, v24
.LBB408_396:
	s_or_b64 exec, exec, s[22:23]
.LBB408_397:
	s_or_b64 exec, exec, s[20:21]
.LBB408_398:
	s_or_b64 exec, exec, s[10:11]
	s_load_dword s2, s[4:5], 0x1c
	v_cvt_pkrtz_f16_f32 v26, v28, v29
	v_cvt_pkrtz_f16_f32 v27, v27, v30
	s_load_dword s3, s[12:13], 0x0
	v_cvt_pkrtz_f16_f32 v22, v23, v32
	v_mfma_f32_4x4x4f16 a[0:3], v[18:19], v[26:27], a[0:3] cbsz:4 abid:7
	v_cvt_pkrtz_f16_f32 v23, v31, v24
	s_waitcnt lgkmcnt(0)
	v_mov_b32_e32 v18, s2
	v_mfma_f32_4x4x4f16 a[0:3], v[20:21], v[22:23], a[0:3] cbsz:4 abid:7
	v_mul_f32_e32 v20, s3, v18
	v_cmp_eq_u32_e64 s[2:3], 0, v43
	s_nop 2
	v_accvgpr_read_b32 v23, a1
	v_accvgpr_read_b32 v22, a0
	v_pk_mul_f32 v[22:23], v[22:23], v[20:21] op_sel_hi:[1,0]
	v_accvgpr_read_b32 v19, a3
	v_accvgpr_read_b32 v18, a2
	v_pk_mul_f32 v[18:19], v[18:19], v[20:21] op_sel_hi:[1,0]
	v_cndmask_b32_e64 v20, 0, 1.0, s[2:3]
	v_cmp_eq_u32_e64 s[2:3], 1, v43
	s_nop 0
	v_mfma_f32_4x4x1f32 a[0:3], v22, v20, 0
	v_cndmask_b32_e64 v20, 0, 1.0, s[2:3]
	v_cmp_eq_u32_e64 s[2:3], 2, v43
	v_mov_b32_e32 v22, 0xff7fffff
	v_mfma_f32_4x4x1f32 a[0:3], v23, v20, a[0:3]
	v_cndmask_b32_e64 v20, 0, 1.0, s[2:3]
	s_nop 1
	v_mfma_f32_4x4x1f32 a[0:3], v18, v20, a[0:3]
	v_cndmask_b32_e64 v18, 0, 1.0, vcc
	s_nop 1
	v_mfma_f32_4x4x1f32 a[0:3], v19, v18, a[0:3]
	v_and_b32_e32 v18, -4, v44
	v_cmp_gt_i32_e32 vcc, s7, v18
	v_lshlrev_b32_e32 v19, 2, v0
	v_and_or_b32 v19, v19, 48, v43
	s_nop 0
	v_accvgpr_read_b32 v20, a0
	v_max_f32_e32 v21, v20, v20
	v_max_f32_e32 v21, 0xff7fffff, v21
	v_accvgpr_read_b32 v23, a1
	v_cndmask_b32_e32 v21, v22, v21, vcc
	v_or_b32_e32 v22, 1, v18
	v_max_f32_e32 v24, v23, v23
	v_max_f32_e32 v24, v21, v24
	v_cmp_gt_i32_e64 s[2:3], s7, v22
	v_accvgpr_read_b32 v22, a2
	v_cndmask_b32_e64 v21, v21, v24, s[2:3]
	v_or_b32_e32 v18, 2, v18
	v_max_f32_e32 v24, v22, v22
	v_max_f32_e32 v24, v21, v24
	v_cmp_gt_i32_e64 s[4:5], s7, v18
	v_cndmask_b32_e64 v18, v21, v24, s[4:5]
	v_accvgpr_read_b32 v24, a3
	v_or_b32_e32 v21, 3, v44
	v_max_f32_e32 v25, v24, v24
	v_max_f32_e32 v25, v18, v25
	v_cmp_gt_i32_e64 s[10:11], s7, v21
	v_cndmask_b32_e64 v18, v18, v25, s[10:11]
	;;#ASMSTART
	v_nop
 v_nop
 v_max_f32_dpp v18, v18, v18 row_ror:4
	;;#ASMEND
	v_lshlrev_b32_e32 v25, 2, v19
	;;#ASMSTART
	v_nop
 v_nop
 v_max_f32_dpp v18, v18, v18 row_ror:8
	;;#ASMEND
	ds_bpermute_b32 v18, v25, v18
	s_waitcnt lgkmcnt(0)
	;;#ASMSTART
	v_nop
 v_nop
 v_max_f32_dpp v18, v18, v18 row_ror:4
	;;#ASMEND
	;;#ASMSTART
	v_nop
 v_nop
 v_max_f32_dpp v26, v18, v18 row_ror:8
	;;#ASMEND
	v_sub_f32_e32 v18, v20, v26
	v_mul_f32_e32 v18, 0x3fb8aa3b, v18
	v_sub_f32_e32 v19, v23, v26
	v_exp_f32_e32 v18, v18
	v_mul_f32_e32 v19, 0x3fb8aa3b, v19
	v_sub_f32_e32 v21, v22, v26
	v_exp_f32_e32 v19, v19
	;; [unrolled: 3-line block ×3, first 2 shown]
	v_mul_f32_e32 v22, 0x3fb8aa3b, v22
	v_exp_f32_e32 v22, v22
	v_cndmask_b32_e32 v18, 0, v18, vcc
	v_add_f32_e32 v20, 0, v18
	v_cndmask_b32_e64 v19, 0, v19, s[2:3]
	v_add_f32_e32 v23, v20, v19
	v_cndmask_b32_e64 v20, 0, v21, s[4:5]
	;; [unrolled: 2-line block ×3, first 2 shown]
	v_add_f32_e32 v22, v23, v21
	;;#ASMSTART
	v_nop
 v_nop
 v_add_f32_dpp v22, v22, v22 row_ror:4
	;;#ASMEND
	;;#ASMSTART
	v_nop
 v_nop
 v_add_f32_dpp v22, v22, v22 row_ror:8
	;;#ASMEND
	ds_bpermute_b32 v22, v25, v22
	s_waitcnt lgkmcnt(0)
	;;#ASMSTART
	v_nop
 v_nop
 v_add_f32_dpp v22, v22, v22 row_ror:4
	;;#ASMEND
	v_cmp_gt_u32_e32 vcc, 4, v1
	;;#ASMSTART
	v_nop
 v_nop
 v_add_f32_dpp v22, v22, v22 row_ror:8
	;;#ASMEND
	s_and_saveexec_b64 s[2:3], vcc
	s_cbranch_execz .LBB408_400
; %bb.399:
	v_mul_u32_u24_e32 v23, 20, v42
	v_lshl_add_u32 v23, v43, 2, v23
	v_add_u32_e32 v23, 0x800, v23
	ds_write2_b32 v23, v26, v22 offset0:128 offset1:148
.LBB408_400:
	s_or_b64 exec, exec, s[2:3]
.LBB408_401:
	s_or_b64 exec, exec, s[36:37]
	s_waitcnt lgkmcnt(0)
	s_barrier
	s_load_dword s2, s[34:35], 0x8
	v_lshlrev_b32_e32 v22, 2, v43
	v_add_u32_e32 v30, 0x800, v22
	ds_read2_b32 v[22:23], v30 offset0:128 offset1:133
	ds_read2_b32 v[24:25], v30 offset0:138 offset1:143
	s_mul_i32 s3, s6, s33
	s_waitcnt lgkmcnt(0)
	s_mul_i32 s2, s3, s2
	s_mov_b32 s3, 0xff7fffff
	v_max3_f32 v27, v22, s3, v23
	v_max3_f32 v27, v27, v24, v25
	v_sub_f32_e32 v22, v22, v27
	v_mul_f32_e32 v22, 0x3fb8aa3b, v22
	ds_read2_b32 v[28:29], v30 offset0:148 offset1:153
	v_exp_f32_e32 v31, v22
	v_sub_f32_e32 v22, v23, v27
	v_mul_f32_e32 v22, 0x3fb8aa3b, v22
	v_sub_f32_e32 v24, v24, v27
	v_exp_f32_e32 v32, v22
	ds_read2_b32 v[22:23], v30 offset0:158 offset1:163
	v_mul_f32_e32 v24, 0x3fb8aa3b, v24
	v_sub_f32_e32 v25, v25, v27
	v_exp_f32_e32 v24, v24
	v_mul_f32_e32 v25, 0x3fb8aa3b, v25
	v_exp_f32_e32 v25, v25
	s_waitcnt lgkmcnt(1)
	v_fma_f32 v28, v31, v28, 0
	v_fmac_f32_e32 v28, v32, v29
	s_waitcnt lgkmcnt(0)
	v_fmac_f32_e32 v28, v24, v22
	s_mul_i32 s10, s8, 3
	s_mul_i32 s2, s2, 3
	v_fmac_f32_e32 v28, v25, v23
	v_cmp_ne_u32_e32 vcc, 3, v43
	s_and_saveexec_b64 s[4:5], vcc
	s_cbranch_execz .LBB408_403
; %bb.402:
	s_mov_b32 s3, 0
	s_lshl_b64 s[6:7], s[2:3], 2
	s_add_u32 s11, s16, s6
	s_mov_b32 s29, s3
	s_addc_u32 s12, s17, s7
	s_lshl_b64 s[8:9], s[28:29], 2
	s_add_u32 s3, s11, s8
	s_addc_u32 s11, s12, s9
	v_add_u32_e32 v22, s10, v43
	s_add_u32 s6, s18, s6
	v_mul_lo_u32 v22, s33, v22
	v_mov_b32_e32 v23, 0
	s_addc_u32 s7, s19, s7
	v_lshlrev_b64 v[22:23], 2, v[22:23]
	s_add_u32 s6, s6, s8
	v_mov_b32_e32 v25, s11
	v_add_co_u32_e32 v24, vcc, s3, v22
	s_addc_u32 s7, s7, s9
	v_addc_co_u32_e32 v25, vcc, v25, v23, vcc
	v_mov_b32_e32 v29, s7
	v_add_co_u32_e32 v22, vcc, s6, v22
	v_addc_co_u32_e32 v23, vcc, v29, v23, vcc
	global_store_dword v[22:23], v27, off
	global_store_dword v[24:25], v28, off
.LBB408_403:
	s_or_b64 exec, exec, s[4:5]
	v_lshlrev_b32_e32 v25, 3, v42
	s_and_saveexec_b64 s[4:5], s[0:1]
	s_xor_b64 s[0:1], exec, s[4:5]
	s_cbranch_execz .LBB408_405
; %bb.404:
	s_waitcnt vmcnt(0)
	v_mov_b32_e32 v2, 0
	v_mad_u32_u24 v4, v1, 40, v25
	v_mov_b32_e32 v3, v2
	ds_write_b64 v4, v[2:3]
                                        ; implicit-def: $vgpr21
                                        ; implicit-def: $vgpr19
                                        ; implicit-def: $vgpr26
                                        ; implicit-def: $vgpr14_vgpr15
                                        ; implicit-def: $vgpr10_vgpr11
                                        ; implicit-def: $vgpr6_vgpr7
                                        ; implicit-def: $vgpr2_vgpr3
                                        ; implicit-def: $vgpr27
                                        ; implicit-def: $vgpr28
                                        ; implicit-def: $vgpr25
.LBB408_405:
	s_andn2_saveexec_b64 s[0:1], s[0:1]
	s_cbranch_execz .LBB408_791
; %bb.406:
	v_mov_b32_e32 v29, 0
	s_waitcnt vmcnt(3)
	v_cmp_ne_u16_sdwa s[6:7], v14, v29 src0_sel:BYTE_0 src1_sel:DWORD
	v_mov_b32_e32 v30, 0
	s_and_saveexec_b64 s[4:5], s[6:7]
	s_cbranch_execz .LBB408_412
; %bb.407:
	s_movk_i32 s3, 0x80
	v_cmp_ne_u16_sdwa s[8:9], v14, s3 src0_sel:BYTE_0 src1_sel:DWORD
	v_bfrev_b32_e32 v30, 1
	s_and_saveexec_b64 s[6:7], s[8:9]
	s_cbranch_execz .LBB408_411
; %bb.408:
	s_movk_i32 s3, 0x7f
	v_and_b32_e32 v22, 0x7f, v14
	v_cmp_ne_u32_e32 vcc, s3, v22
	v_mov_b32_e32 v30, 0x7f800001
	s_and_saveexec_b64 s[8:9], vcc
	s_cbranch_execz .LBB408_410
; %bb.409:
	v_and_b32_e32 v23, 7, v14
	v_ffbh_u32_e32 v23, v23
	v_min_u32_e32 v23, 32, v23
	v_subrev_u32_e32 v30, 28, v23
	v_cmp_gt_u32_e32 vcc, 8, v22
	v_lshrrev_b32_e32 v24, 3, v22
	v_sub_u32_e32 v23, 29, v23
	v_cndmask_b32_e32 v22, 0, v30, vcc
	v_cndmask_b32_e32 v24, v24, v23, vcc
	v_lshlrev_b64 v[22:23], v22, v[14:15]
	v_lshlrev_b32_e32 v22, 20, v22
	v_lshlrev_b32_e32 v23, 24, v14
	v_bfrev_b32_e32 v30, 60
	v_and_b32_e32 v22, 0x700000, v22
	v_and_b32_e32 v23, 0x80000000, v23
	v_lshl_add_u32 v24, v24, 23, v30
	v_or3_b32 v30, v23, v24, v22
.LBB408_410:
	s_or_b64 exec, exec, s[8:9]
.LBB408_411:
	s_or_b64 exec, exec, s[6:7]
.LBB408_412:
	s_or_b64 exec, exec, s[4:5]
	v_lshrrev_b16_e32 v22, 8, v14
	v_cmp_ne_u16_e32 vcc, 0, v22
	s_and_saveexec_b64 s[4:5], vcc
	s_cbranch_execz .LBB408_418
; %bb.413:
	s_movk_i32 s3, 0x80
	v_cmp_ne_u16_e32 vcc, s3, v22
	v_bfrev_b32_e32 v29, 1
	s_and_saveexec_b64 s[6:7], vcc
	s_cbranch_execz .LBB408_417
; %bb.414:
	s_movk_i32 s3, 0x7f
	v_and_b32_e32 v23, 0x7f, v22
	v_cmp_ne_u32_e32 vcc, s3, v23
	v_mov_b32_e32 v29, 0x7f800001
	s_and_saveexec_b64 s[8:9], vcc
	s_cbranch_execz .LBB408_416
; %bb.415:
	v_and_b32_e32 v24, 7, v22
	v_ffbh_u32_e32 v31, v24
	v_min_u32_e32 v31, 32, v31
	v_subrev_u32_e32 v32, 28, v31
	v_lshlrev_b64 v[32:33], v32, v[22:23]
	v_lshrrev_b32_e32 v29, 3, v23
	v_sub_u32_e32 v22, 29, v31
	v_and_b32_e32 v31, 7, v32
	v_cmp_gt_u32_e32 vcc, 8, v23
	v_cndmask_b32_e32 v22, v29, v22, vcc
	v_cndmask_b32_e32 v23, v24, v31, vcc
	v_lshlrev_b32_e32 v24, 16, v14
	v_bfrev_b32_e32 v29, 60
	v_lshlrev_b32_e32 v23, 20, v23
	v_and_b32_e32 v24, 0x80000000, v24
	v_lshl_add_u32 v22, v22, 23, v29
	v_or3_b32 v29, v24, v22, v23
.LBB408_416:
	s_or_b64 exec, exec, s[8:9]
.LBB408_417:
	s_or_b64 exec, exec, s[6:7]
.LBB408_418:
	s_or_b64 exec, exec, s[4:5]
	s_movk_i32 s3, 0xff
	v_and_b32_sdwa v23, v14, s3 dst_sel:DWORD dst_unused:UNUSED_PAD src0_sel:WORD_1 src1_sel:DWORD
	v_lshrrev_b32_e32 v22, 16, v14
	v_cmp_ne_u16_e32 vcc, 0, v23
	v_mov_b32_e32 v31, 0
	v_mov_b32_e32 v32, 0
	s_and_saveexec_b64 s[4:5], vcc
	s_cbranch_execz .LBB408_424
; %bb.419:
	s_movk_i32 s3, 0x80
	v_cmp_ne_u16_e32 vcc, s3, v23
	v_bfrev_b32_e32 v32, 1
	s_and_saveexec_b64 s[6:7], vcc
	s_cbranch_execz .LBB408_423
; %bb.420:
	v_bfe_u32 v23, v14, 16, 7
	s_movk_i32 s3, 0x7f
	v_cmp_ne_u32_e32 vcc, s3, v23
	v_mov_b32_e32 v32, 0x7f800001
	s_and_saveexec_b64 s[8:9], vcc
	s_cbranch_execz .LBB408_422
; %bb.421:
	v_and_b32_e32 v24, 7, v22
	v_ffbh_u32_e32 v32, v24
	v_min_u32_e32 v35, 32, v32
	v_subrev_u32_e32 v32, 28, v35
	v_lshlrev_b64 v[32:33], v32, v[22:23]
	v_and_b32_e32 v32, 7, v32
	v_cmp_gt_u32_e32 vcc, 8, v23
	v_lshrrev_b32_e32 v34, 3, v23
	v_sub_u32_e32 v22, 29, v35
	v_cndmask_b32_e32 v23, v24, v32, vcc
	v_mov_b32_e32 v24, 24
	v_cndmask_b32_e32 v22, v34, v22, vcc
	v_lshlrev_b32_sdwa v24, v24, v14 dst_sel:DWORD dst_unused:UNUSED_PAD src0_sel:DWORD src1_sel:WORD_1
	v_bfrev_b32_e32 v32, 60
	v_lshlrev_b32_e32 v23, 20, v23
	v_and_b32_e32 v24, 0x80000000, v24
	v_lshl_add_u32 v22, v22, 23, v32
	v_or3_b32 v32, v24, v22, v23
.LBB408_422:
	s_or_b64 exec, exec, s[8:9]
.LBB408_423:
	s_or_b64 exec, exec, s[6:7]
.LBB408_424:
	s_or_b64 exec, exec, s[4:5]
	s_mov_b32 s3, 0xffffff
	v_cmp_lt_u32_e32 vcc, s3, v14
	s_and_saveexec_b64 s[4:5], vcc
	s_cbranch_execz .LBB408_430
; %bb.425:
	v_lshrrev_b32_e32 v22, 24, v14
	s_movk_i32 s3, 0x80
	v_cmp_ne_u32_e32 vcc, s3, v22
	v_bfrev_b32_e32 v31, 1
	s_and_saveexec_b64 s[6:7], vcc
	s_cbranch_execz .LBB408_429
; %bb.426:
	v_bfe_u32 v23, v14, 24, 7
	s_movk_i32 s3, 0x7f
	v_cmp_ne_u32_e32 vcc, s3, v23
	v_mov_b32_e32 v31, 0x7f800001
	s_and_saveexec_b64 s[8:9], vcc
	s_cbranch_execz .LBB408_428
; %bb.427:
	v_and_b32_e32 v24, 7, v22
	v_ffbh_u32_e32 v33, v24
	v_min_u32_e32 v33, 32, v33
	v_subrev_u32_e32 v34, 28, v33
	v_lshlrev_b64 v[34:35], v34, v[22:23]
	v_lshrrev_b32_e32 v31, 3, v23
	v_sub_u32_e32 v33, 29, v33
	v_and_b32_e32 v34, 7, v34
	v_cmp_gt_u32_e32 vcc, 8, v23
	v_cndmask_b32_e32 v23, v31, v33, vcc
	v_cndmask_b32_e32 v24, v24, v34, vcc
	v_lshlrev_b32_e32 v22, 24, v22
	v_bfrev_b32_e32 v31, 60
	v_lshlrev_b32_e32 v24, 20, v24
	v_and_b32_e32 v22, 0x80000000, v22
	v_lshl_add_u32 v23, v23, 23, v31
	v_or3_b32 v31, v22, v23, v24
.LBB408_428:
	s_or_b64 exec, exec, s[8:9]
.LBB408_429:
	s_or_b64 exec, exec, s[6:7]
.LBB408_430:
	s_or_b64 exec, exec, s[4:5]
	v_mov_b32_e32 v23, 0
	v_mov_b32_e32 v22, v15
	v_cmp_ne_u16_sdwa s[6:7], v15, v23 src0_sel:BYTE_0 src1_sel:DWORD
	v_mov_b32_e32 v33, v23
	s_and_saveexec_b64 s[4:5], s[6:7]
	s_cbranch_execz .LBB408_436
; %bb.431:
	s_movk_i32 s3, 0x80
	v_cmp_ne_u16_sdwa s[8:9], v15, s3 src0_sel:BYTE_0 src1_sel:DWORD
	v_bfrev_b32_e32 v33, 1
	s_and_saveexec_b64 s[6:7], s[8:9]
	s_cbranch_execz .LBB408_435
; %bb.432:
	s_movk_i32 s3, 0x7f
	v_and_b32_e32 v24, 0x7f, v15
	v_cmp_ne_u32_e32 vcc, s3, v24
	v_mov_b32_e32 v33, 0x7f800001
	s_and_saveexec_b64 s[8:9], vcc
	s_cbranch_execz .LBB408_434
; %bb.433:
	v_and_b32_e32 v33, 7, v15
	v_ffbh_u32_e32 v33, v33
	v_min_u32_e32 v33, 32, v33
	v_lshrrev_b32_e32 v34, 3, v24
	v_subrev_u32_e32 v35, 28, v33
	v_sub_u32_e32 v33, 29, v33
	v_cmp_gt_u32_e32 vcc, 8, v24
	v_cndmask_b32_e32 v24, v34, v33, vcc
	v_cndmask_b32_e32 v33, 0, v35, vcc
	v_lshlrev_b64 v[34:35], v33, v[22:23]
	v_lshlrev_b32_e32 v33, 20, v34
	v_lshlrev_b32_e32 v34, 24, v22
	v_bfrev_b32_e32 v35, 60
	v_and_b32_e32 v33, 0x700000, v33
	v_and_b32_e32 v34, 0x80000000, v34
	v_lshl_add_u32 v24, v24, 23, v35
	v_or3_b32 v33, v34, v24, v33
.LBB408_434:
	s_or_b64 exec, exec, s[8:9]
.LBB408_435:
	s_or_b64 exec, exec, s[6:7]
.LBB408_436:
	s_or_b64 exec, exec, s[4:5]
	v_lshrrev_b16_e32 v24, 8, v22
	v_cmp_ne_u16_e32 vcc, 0, v24
	s_and_saveexec_b64 s[4:5], vcc
	s_cbranch_execz .LBB408_442
; %bb.437:
	s_movk_i32 s3, 0x80
	v_cmp_ne_u16_e32 vcc, s3, v24
	v_bfrev_b32_e32 v23, 1
	s_and_saveexec_b64 s[6:7], vcc
	s_cbranch_execz .LBB408_441
; %bb.438:
	s_movk_i32 s3, 0x7f
	v_and_b32_e32 v34, 0x7f, v24
	v_cmp_ne_u32_e32 vcc, s3, v34
	v_mov_b32_e32 v23, 0x7f800001
	s_and_saveexec_b64 s[8:9], vcc
	s_cbranch_execz .LBB408_440
; %bb.439:
	v_and_b32_e32 v23, 7, v24
	v_ffbh_u32_e32 v36, v23
	v_min_u32_e32 v38, 32, v36
	v_subrev_u32_e32 v36, 28, v38
	v_lshlrev_b64 v[36:37], v36, v[24:25]
	v_lshrrev_b32_e32 v35, 3, v34
	v_sub_u32_e32 v24, 29, v38
	v_and_b32_e32 v36, 7, v36
	v_cmp_gt_u32_e32 vcc, 8, v34
	v_cndmask_b32_e32 v24, v35, v24, vcc
	v_cndmask_b32_e32 v23, v23, v36, vcc
	v_lshlrev_b32_e32 v22, 16, v22
	v_bfrev_b32_e32 v34, 60
	v_lshlrev_b32_e32 v23, 20, v23
	v_and_b32_e32 v22, 0x80000000, v22
	v_lshl_add_u32 v24, v24, 23, v34
	v_or3_b32 v23, v22, v24, v23
.LBB408_440:
	s_or_b64 exec, exec, s[8:9]
.LBB408_441:
	s_or_b64 exec, exec, s[6:7]
.LBB408_442:
	s_or_b64 exec, exec, s[4:5]
	s_movk_i32 s3, 0xff
	v_and_b32_sdwa v35, v15, s3 dst_sel:DWORD dst_unused:UNUSED_PAD src0_sel:WORD_1 src1_sel:DWORD
	v_lshrrev_b32_e32 v22, 16, v15
	v_cmp_ne_u16_e32 vcc, 0, v35
	v_mov_b32_e32 v24, 0
	v_mov_b32_e32 v34, 0
	s_and_saveexec_b64 s[4:5], vcc
	s_cbranch_execz .LBB408_448
; %bb.443:
	s_movk_i32 s3, 0x80
	v_cmp_ne_u16_e32 vcc, s3, v35
	v_bfrev_b32_e32 v34, 1
	s_and_saveexec_b64 s[6:7], vcc
	s_cbranch_execz .LBB408_447
; %bb.444:
	v_bfe_u32 v35, v15, 16, 7
	s_movk_i32 s3, 0x7f
	v_cmp_ne_u32_e32 vcc, s3, v35
	v_mov_b32_e32 v34, 0x7f800001
	s_and_saveexec_b64 s[8:9], vcc
	s_cbranch_execz .LBB408_446
; %bb.445:
	v_and_b32_e32 v34, 7, v22
	v_ffbh_u32_e32 v36, v34
	v_min_u32_e32 v39, 32, v36
	v_subrev_u32_e32 v36, 28, v39
	v_lshlrev_b64 v[36:37], v36, v[22:23]
	v_lshrrev_b32_e32 v38, 3, v35
	v_sub_u32_e32 v22, 29, v39
	v_and_b32_e32 v36, 7, v36
	v_cmp_gt_u32_e32 vcc, 8, v35
	v_mov_b32_e32 v35, 24
	v_cndmask_b32_e32 v22, v38, v22, vcc
	v_cndmask_b32_e32 v34, v34, v36, vcc
	v_lshlrev_b32_sdwa v35, v35, v15 dst_sel:DWORD dst_unused:UNUSED_PAD src0_sel:DWORD src1_sel:WORD_1
	v_bfrev_b32_e32 v36, 60
	v_lshlrev_b32_e32 v34, 20, v34
	v_and_b32_e32 v35, 0x80000000, v35
	v_lshl_add_u32 v22, v22, 23, v36
	v_or3_b32 v34, v35, v22, v34
.LBB408_446:
	s_or_b64 exec, exec, s[8:9]
.LBB408_447:
	s_or_b64 exec, exec, s[6:7]
.LBB408_448:
	s_or_b64 exec, exec, s[4:5]
	s_mov_b32 s4, -1
	s_mov_b32 s5, 0xffffff
	v_cmp_lt_u64_e32 vcc, s[4:5], v[14:15]
	s_and_saveexec_b64 s[4:5], vcc
	s_cbranch_execz .LBB408_454
; %bb.449:
	v_lshrrev_b32_e32 v14, 24, v15
	s_movk_i32 s3, 0x80
	v_cmp_ne_u32_e32 vcc, s3, v14
	v_bfrev_b32_e32 v24, 1
	s_and_saveexec_b64 s[6:7], vcc
	s_cbranch_execz .LBB408_453
; %bb.450:
	v_bfe_u32 v15, v15, 24, 7
	s_movk_i32 s3, 0x7f
	v_cmp_ne_u32_e32 vcc, s3, v15
	v_mov_b32_e32 v24, 0x7f800001
	s_and_saveexec_b64 s[8:9], vcc
	s_cbranch_execz .LBB408_452
; %bb.451:
	v_and_b32_e32 v22, 7, v14
	v_ffbh_u32_e32 v35, v22
	v_min_u32_e32 v35, 32, v35
	v_subrev_u32_e32 v36, 28, v35
	v_lshlrev_b64 v[36:37], v36, v[14:15]
	v_lshrrev_b32_e32 v24, 3, v15
	v_sub_u32_e32 v35, 29, v35
	v_and_b32_e32 v36, 7, v36
	v_cmp_gt_u32_e32 vcc, 8, v15
	v_cndmask_b32_e32 v15, v24, v35, vcc
	v_cndmask_b32_e32 v22, v22, v36, vcc
	v_lshlrev_b32_e32 v14, 24, v14
	v_bfrev_b32_e32 v24, 60
	v_lshlrev_b32_e32 v22, 20, v22
	v_and_b32_e32 v14, 0x80000000, v14
	v_lshl_add_u32 v15, v15, 23, v24
	v_or3_b32 v24, v14, v15, v22
.LBB408_452:
	s_or_b64 exec, exec, s[8:9]
.LBB408_453:
	s_or_b64 exec, exec, s[6:7]
.LBB408_454:
	s_or_b64 exec, exec, s[4:5]
	v_add_f32_e32 v14, 0x358637bd, v28
	v_div_scale_f32 v15, s[4:5], v14, v14, 1.0
	v_rcp_f32_e32 v22, v15
	v_div_scale_f32 v28, vcc, 1.0, v14, 1.0
	v_sub_f32_e32 v26, v26, v27
	v_fma_f32 v35, -v15, v22, 1.0
	v_fmac_f32_e32 v22, v35, v22
	v_mul_f32_e32 v35, v28, v22
	v_fma_f32 v36, -v15, v35, v28
	v_mul_f32_e32 v26, 0x3fb8aa3b, v26
	v_fmac_f32_e32 v35, v36, v22
	v_exp_f32_e32 v26, v26
	v_fma_f32 v15, -v15, v35, v28
	v_div_fmas_f32 v15, v15, v22, v35
	v_div_fixup_f32 v14, v15, v14, 1.0
	v_mul_f32_e32 v14, v26, v14
	v_pk_mul_f32 v[20:21], v[20:21], v[14:15] op_sel_hi:[1,0]
	v_pk_mul_f32 v[14:15], v[18:19], v[14:15] op_sel_hi:[1,0]
	v_cvt_f16_f32_e32 v14, v14
	v_cvt_f16_f32_e32 v15, v15
	;; [unrolled: 1-line block ×4, first 2 shown]
	v_cvt_pkrtz_f16_f32 v22, v33, v23
	v_pack_b32_f16 v14, v14, v15
	v_cvt_pkrtz_f16_f32 v23, v34, v24
	v_pack_b32_f16 v15, v18, v19
	v_cvt_pkrtz_f16_f32 v18, v30, v29
	v_cvt_pkrtz_f16_f32 v19, v32, v31
	v_mov_b32_e32 v21, 0
	s_nop 0
	v_mfma_f32_4x4x4f16 a[0:3], v[14:15], v[18:19], 0 cbsz:4
	v_mfma_f32_4x4x4f16 a[0:3], v[14:15], v[22:23], a[0:3] cbsz:4 abid:1
	v_mov_b32_e32 v22, 0
	v_cmp_ne_u16_sdwa s[6:7], v16, v22 src0_sel:BYTE_0 src1_sel:DWORD
	s_and_saveexec_b64 s[4:5], s[6:7]
	s_cbranch_execz .LBB408_460
; %bb.455:
	s_movk_i32 s3, 0x80
	v_cmp_ne_u16_sdwa s[8:9], v16, s3 src0_sel:BYTE_0 src1_sel:DWORD
	v_bfrev_b32_e32 v21, 1
	s_and_saveexec_b64 s[6:7], s[8:9]
	s_cbranch_execz .LBB408_459
; %bb.456:
	s_movk_i32 s3, 0x7f
	v_and_b32_e32 v18, 0x7f, v16
	v_cmp_ne_u32_e32 vcc, s3, v18
	v_mov_b32_e32 v21, 0x7f800001
	s_and_saveexec_b64 s[8:9], vcc
	s_cbranch_execz .LBB408_458
; %bb.457:
	v_and_b32_e32 v19, 7, v16
	v_ffbh_u32_e32 v19, v19
	v_min_u32_e32 v19, 32, v19
	v_subrev_u32_e32 v21, 28, v19
	v_cmp_gt_u32_e32 vcc, 8, v18
	v_lshrrev_b32_e32 v20, 3, v18
	v_sub_u32_e32 v19, 29, v19
	v_cndmask_b32_e32 v18, 0, v21, vcc
	v_cndmask_b32_e32 v20, v20, v19, vcc
	v_lshlrev_b64 v[18:19], v18, v[16:17]
	v_lshlrev_b32_e32 v18, 20, v18
	v_lshlrev_b32_e32 v19, 24, v16
	v_bfrev_b32_e32 v21, 60
	v_and_b32_e32 v18, 0x700000, v18
	v_and_b32_e32 v19, 0x80000000, v19
	v_lshl_add_u32 v20, v20, 23, v21
	v_or3_b32 v21, v19, v20, v18
.LBB408_458:
	s_or_b64 exec, exec, s[8:9]
.LBB408_459:
	s_or_b64 exec, exec, s[6:7]
.LBB408_460:
	s_or_b64 exec, exec, s[4:5]
	v_lshrrev_b16_e32 v18, 8, v16
	v_cmp_ne_u16_e32 vcc, 0, v18
	v_mov_b32_e32 v23, 0
	s_and_saveexec_b64 s[4:5], vcc
	s_cbranch_execz .LBB408_466
; %bb.461:
	s_movk_i32 s3, 0x80
	v_cmp_ne_u16_e32 vcc, s3, v18
	v_bfrev_b32_e32 v23, 1
	s_and_saveexec_b64 s[6:7], vcc
	s_cbranch_execz .LBB408_465
; %bb.462:
	s_movk_i32 s3, 0x7f
	v_and_b32_e32 v19, 0x7f, v18
	v_cmp_ne_u32_e32 vcc, s3, v19
	v_mov_b32_e32 v23, 0x7f800001
	s_and_saveexec_b64 s[8:9], vcc
	s_cbranch_execz .LBB408_464
; %bb.463:
	v_and_b32_e32 v20, 7, v18
	v_ffbh_u32_e32 v24, v20
	v_min_u32_e32 v24, 32, v24
	v_subrev_u32_e32 v26, 28, v24
	v_lshlrev_b64 v[26:27], v26, v[18:19]
	v_lshrrev_b32_e32 v23, 3, v19
	v_sub_u32_e32 v18, 29, v24
	v_and_b32_e32 v24, 7, v26
	v_cmp_gt_u32_e32 vcc, 8, v19
	v_cndmask_b32_e32 v18, v23, v18, vcc
	v_cndmask_b32_e32 v19, v20, v24, vcc
	v_lshlrev_b32_e32 v20, 16, v16
	v_bfrev_b32_e32 v23, 60
	v_lshlrev_b32_e32 v19, 20, v19
	v_and_b32_e32 v20, 0x80000000, v20
	v_lshl_add_u32 v18, v18, 23, v23
	v_or3_b32 v23, v20, v18, v19
.LBB408_464:
	s_or_b64 exec, exec, s[8:9]
.LBB408_465:
	s_or_b64 exec, exec, s[6:7]
.LBB408_466:
	s_or_b64 exec, exec, s[4:5]
	s_movk_i32 s3, 0xff
	v_and_b32_sdwa v19, v16, s3 dst_sel:DWORD dst_unused:UNUSED_PAD src0_sel:WORD_1 src1_sel:DWORD
	v_lshrrev_b32_e32 v18, 16, v16
	v_cmp_ne_u16_e32 vcc, 0, v19
	s_and_saveexec_b64 s[4:5], vcc
	s_cbranch_execz .LBB408_472
; %bb.467:
	s_movk_i32 s3, 0x80
	v_cmp_ne_u16_e32 vcc, s3, v19
	v_bfrev_b32_e32 v22, 1
	s_and_saveexec_b64 s[6:7], vcc
	s_cbranch_execz .LBB408_471
; %bb.468:
	v_bfe_u32 v19, v16, 16, 7
	s_movk_i32 s3, 0x7f
	v_cmp_ne_u32_e32 vcc, s3, v19
	v_mov_b32_e32 v22, 0x7f800001
	s_and_saveexec_b64 s[8:9], vcc
	s_cbranch_execz .LBB408_470
; %bb.469:
	v_and_b32_e32 v20, 7, v18
	v_ffbh_u32_e32 v24, v20
	v_min_u32_e32 v24, 32, v24
	v_subrev_u32_e32 v26, 28, v24
	v_lshlrev_b64 v[26:27], v26, v[18:19]
	v_sub_u32_e32 v18, 29, v24
	v_and_b32_e32 v24, 7, v26
	v_cmp_gt_u32_e32 vcc, 8, v19
	v_lshrrev_b32_e32 v22, 3, v19
	v_cndmask_b32_e32 v19, v20, v24, vcc
	v_mov_b32_e32 v20, 24
	v_cndmask_b32_e32 v18, v22, v18, vcc
	v_lshlrev_b32_sdwa v20, v20, v16 dst_sel:DWORD dst_unused:UNUSED_PAD src0_sel:DWORD src1_sel:WORD_1
	v_bfrev_b32_e32 v22, 60
	v_lshlrev_b32_e32 v19, 20, v19
	v_and_b32_e32 v20, 0x80000000, v20
	v_lshl_add_u32 v18, v18, 23, v22
	v_or3_b32 v22, v20, v18, v19
.LBB408_470:
	s_or_b64 exec, exec, s[8:9]
.LBB408_471:
	s_or_b64 exec, exec, s[6:7]
.LBB408_472:
	s_or_b64 exec, exec, s[4:5]
	s_mov_b32 s3, 0xffffff
	v_cmp_lt_u32_e32 vcc, s3, v16
	v_mov_b32_e32 v19, 0
	v_mov_b32_e32 v24, 0
	s_and_saveexec_b64 s[4:5], vcc
	s_cbranch_execz .LBB408_478
; %bb.473:
	v_lshrrev_b32_e32 v18, 24, v16
	s_movk_i32 s3, 0x80
	v_cmp_ne_u32_e32 vcc, s3, v18
	v_bfrev_b32_e32 v24, 1
	s_and_saveexec_b64 s[6:7], vcc
	s_cbranch_execz .LBB408_477
; %bb.474:
	v_bfe_u32 v20, v16, 24, 7
	s_movk_i32 s3, 0x7f
	v_cmp_ne_u32_e32 vcc, s3, v20
	v_mov_b32_e32 v24, 0x7f800001
	s_and_saveexec_b64 s[8:9], vcc
	s_cbranch_execz .LBB408_476
; %bb.475:
	v_and_b32_e32 v24, 7, v18
	v_ffbh_u32_e32 v26, v24
	v_min_u32_e32 v29, 32, v26
	v_subrev_u32_e32 v26, 28, v29
	v_lshlrev_b64 v[26:27], v26, v[18:19]
	v_lshrrev_b32_e32 v28, 3, v20
	v_sub_u32_e32 v27, 29, v29
	v_and_b32_e32 v26, 7, v26
	v_cmp_gt_u32_e32 vcc, 8, v20
	v_cndmask_b32_e32 v20, v28, v27, vcc
	v_cndmask_b32_e32 v24, v24, v26, vcc
	v_lshlrev_b32_e32 v18, 24, v18
	v_bfrev_b32_e32 v26, 60
	v_lshlrev_b32_e32 v24, 20, v24
	v_and_b32_e32 v18, 0x80000000, v18
	v_lshl_add_u32 v20, v20, 23, v26
	v_or3_b32 v24, v18, v20, v24
.LBB408_476:
	s_or_b64 exec, exec, s[8:9]
.LBB408_477:
	s_or_b64 exec, exec, s[6:7]
.LBB408_478:
	s_or_b64 exec, exec, s[4:5]
	v_mov_b32_e32 v18, v17
	v_cmp_ne_u16_sdwa s[6:7], v17, v19 src0_sel:BYTE_0 src1_sel:DWORD
	s_and_saveexec_b64 s[4:5], s[6:7]
	s_cbranch_execz .LBB408_484
; %bb.479:
	s_movk_i32 s3, 0x80
	v_cmp_ne_u16_sdwa s[8:9], v17, s3 src0_sel:BYTE_0 src1_sel:DWORD
	v_bfrev_b32_e32 v20, 1
	s_and_saveexec_b64 s[6:7], s[8:9]
	s_cbranch_execz .LBB408_483
; %bb.480:
	s_movk_i32 s3, 0x7f
	v_and_b32_e32 v26, 0x7f, v17
	v_cmp_ne_u32_e32 vcc, s3, v26
	v_mov_b32_e32 v20, 0x7f800001
	s_and_saveexec_b64 s[8:9], vcc
	s_cbranch_execz .LBB408_482
; %bb.481:
	v_and_b32_e32 v20, 7, v17
	v_ffbh_u32_e32 v20, v20
	v_min_u32_e32 v20, 32, v20
	v_subrev_u32_e32 v28, 28, v20
	v_cmp_gt_u32_e32 vcc, 8, v26
	v_lshrrev_b32_e32 v27, 3, v26
	v_sub_u32_e32 v20, 29, v20
	v_cndmask_b32_e32 v26, 0, v28, vcc
	v_cndmask_b32_e32 v20, v27, v20, vcc
	v_lshlrev_b64 v[26:27], v26, v[18:19]
	v_lshlrev_b32_e32 v19, 20, v26
	v_lshlrev_b32_e32 v26, 24, v18
	v_bfrev_b32_e32 v27, 60
	v_and_b32_e32 v19, 0x700000, v19
	v_and_b32_e32 v26, 0x80000000, v26
	v_lshl_add_u32 v20, v20, 23, v27
	v_or3_b32 v20, v26, v20, v19
.LBB408_482:
	s_or_b64 exec, exec, s[8:9]
.LBB408_483:
	s_or_b64 exec, exec, s[6:7]
	v_mov_b32_e32 v19, v20
.LBB408_484:
	s_or_b64 exec, exec, s[4:5]
	v_lshrrev_b16_e32 v20, 8, v18
	v_cmp_ne_u16_e32 vcc, 0, v20
	v_mov_b32_e32 v26, 0
	v_mov_b32_e32 v27, 0
	s_and_saveexec_b64 s[4:5], vcc
	s_cbranch_execz .LBB408_490
; %bb.485:
	s_movk_i32 s3, 0x80
	v_cmp_ne_u16_e32 vcc, s3, v20
	v_bfrev_b32_e32 v27, 1
	s_and_saveexec_b64 s[6:7], vcc
	s_cbranch_execz .LBB408_489
; %bb.486:
	s_movk_i32 s3, 0x7f
	v_and_b32_e32 v28, 0x7f, v20
	v_cmp_ne_u32_e32 vcc, s3, v28
	v_mov_b32_e32 v27, 0x7f800001
	s_and_saveexec_b64 s[8:9], vcc
	s_cbranch_execz .LBB408_488
; %bb.487:
	v_and_b32_e32 v27, 7, v20
	v_ffbh_u32_e32 v30, v27
	v_min_u32_e32 v32, 32, v30
	v_subrev_u32_e32 v30, 28, v32
	v_lshlrev_b64 v[30:31], v30, v[20:21]
	v_lshrrev_b32_e32 v29, 3, v28
	v_sub_u32_e32 v20, 29, v32
	v_and_b32_e32 v30, 7, v30
	v_cmp_gt_u32_e32 vcc, 8, v28
	v_cndmask_b32_e32 v20, v29, v20, vcc
	v_cndmask_b32_e32 v27, v27, v30, vcc
	v_lshlrev_b32_e32 v18, 16, v18
	v_bfrev_b32_e32 v28, 60
	v_lshlrev_b32_e32 v27, 20, v27
	v_and_b32_e32 v18, 0x80000000, v18
	v_lshl_add_u32 v20, v20, 23, v28
	v_or3_b32 v27, v18, v20, v27
.LBB408_488:
	s_or_b64 exec, exec, s[8:9]
.LBB408_489:
	s_or_b64 exec, exec, s[6:7]
.LBB408_490:
	s_or_b64 exec, exec, s[4:5]
	s_movk_i32 s3, 0xff
	v_and_b32_sdwa v20, v17, s3 dst_sel:DWORD dst_unused:UNUSED_PAD src0_sel:WORD_1 src1_sel:DWORD
	v_lshrrev_b32_e32 v18, 16, v17
	v_cmp_ne_u16_e32 vcc, 0, v20
	s_and_saveexec_b64 s[4:5], vcc
	s_cbranch_execz .LBB408_496
; %bb.491:
	s_movk_i32 s3, 0x80
	v_cmp_ne_u16_e32 vcc, s3, v20
	v_bfrev_b32_e32 v26, 1
	s_and_saveexec_b64 s[6:7], vcc
	s_cbranch_execz .LBB408_495
; %bb.492:
	v_bfe_u32 v20, v17, 16, 7
	s_movk_i32 s3, 0x7f
	v_cmp_ne_u32_e32 vcc, s3, v20
	v_mov_b32_e32 v26, 0x7f800001
	s_and_saveexec_b64 s[8:9], vcc
	s_cbranch_execz .LBB408_494
; %bb.493:
	v_and_b32_e32 v26, 7, v18
	v_ffbh_u32_e32 v28, v26
	v_min_u32_e32 v31, 32, v28
	v_subrev_u32_e32 v28, 28, v31
	v_lshlrev_b64 v[28:29], v28, v[18:19]
	v_and_b32_e32 v28, 7, v28
	v_cmp_gt_u32_e32 vcc, 8, v20
	v_lshrrev_b32_e32 v30, 3, v20
	v_sub_u32_e32 v18, 29, v31
	v_cndmask_b32_e32 v20, v26, v28, vcc
	v_mov_b32_e32 v26, 24
	v_cndmask_b32_e32 v18, v30, v18, vcc
	v_lshlrev_b32_sdwa v26, v26, v17 dst_sel:DWORD dst_unused:UNUSED_PAD src0_sel:DWORD src1_sel:WORD_1
	v_bfrev_b32_e32 v28, 60
	v_lshlrev_b32_e32 v20, 20, v20
	v_and_b32_e32 v26, 0x80000000, v26
	v_lshl_add_u32 v18, v18, 23, v28
	v_or3_b32 v26, v26, v18, v20
.LBB408_494:
	s_or_b64 exec, exec, s[8:9]
.LBB408_495:
	s_or_b64 exec, exec, s[6:7]
.LBB408_496:
	s_or_b64 exec, exec, s[4:5]
	s_mov_b32 s4, -1
	s_mov_b32 s5, 0xffffff
	v_cmp_lt_u64_e32 vcc, s[4:5], v[16:17]
	v_mov_b32_e32 v20, 0
	v_mov_b32_e32 v18, 0
	s_and_saveexec_b64 s[4:5], vcc
	s_cbranch_execz .LBB408_502
; %bb.497:
	v_lshrrev_b32_e32 v16, 24, v17
	s_movk_i32 s3, 0x80
	v_cmp_ne_u32_e32 vcc, s3, v16
	v_bfrev_b32_e32 v18, 1
	s_and_saveexec_b64 s[6:7], vcc
	s_cbranch_execz .LBB408_501
; %bb.498:
	v_bfe_u32 v17, v17, 24, 7
	s_movk_i32 s3, 0x7f
	v_cmp_ne_u32_e32 vcc, s3, v17
	v_mov_b32_e32 v18, 0x7f800001
	s_and_saveexec_b64 s[8:9], vcc
	s_cbranch_execz .LBB408_500
; %bb.499:
	v_and_b32_e32 v18, 7, v16
	v_ffbh_u32_e32 v28, v18
	v_min_u32_e32 v31, 32, v28
	v_subrev_u32_e32 v28, 28, v31
	v_lshlrev_b64 v[28:29], v28, v[16:17]
	v_lshrrev_b32_e32 v30, 3, v17
	v_sub_u32_e32 v29, 29, v31
	v_and_b32_e32 v28, 7, v28
	v_cmp_gt_u32_e32 vcc, 8, v17
	v_cndmask_b32_e32 v17, v30, v29, vcc
	v_cndmask_b32_e32 v18, v18, v28, vcc
	v_lshlrev_b32_e32 v16, 24, v16
	v_bfrev_b32_e32 v28, 60
	v_lshlrev_b32_e32 v18, 20, v18
	v_and_b32_e32 v16, 0x80000000, v16
	v_lshl_add_u32 v17, v17, 23, v28
	v_or3_b32 v18, v16, v17, v18
.LBB408_500:
	s_or_b64 exec, exec, s[8:9]
.LBB408_501:
	s_or_b64 exec, exec, s[6:7]
.LBB408_502:
	s_or_b64 exec, exec, s[4:5]
	v_cvt_pkrtz_f16_f32 v16, v21, v23
	v_cvt_pkrtz_f16_f32 v17, v22, v24
	;; [unrolled: 1-line block ×4, first 2 shown]
	v_mfma_f32_4x4x4f16 a[0:3], v[14:15], v[16:17], a[0:3] cbsz:4 abid:2
	s_waitcnt vmcnt(2)
	v_cmp_ne_u16_sdwa s[6:7], v10, v20 src0_sel:BYTE_0 src1_sel:DWORD
	v_mfma_f32_4x4x4f16 a[0:3], v[14:15], v[22:23], a[0:3] cbsz:4 abid:3
	s_and_saveexec_b64 s[4:5], s[6:7]
	s_cbranch_execz .LBB408_508
; %bb.503:
	s_movk_i32 s3, 0x80
	v_cmp_ne_u16_sdwa s[8:9], v10, s3 src0_sel:BYTE_0 src1_sel:DWORD
	v_bfrev_b32_e32 v20, 1
	s_and_saveexec_b64 s[6:7], s[8:9]
	s_cbranch_execz .LBB408_507
; %bb.504:
	s_movk_i32 s3, 0x7f
	v_and_b32_e32 v16, 0x7f, v10
	v_cmp_ne_u32_e32 vcc, s3, v16
	v_mov_b32_e32 v20, 0x7f800001
	s_and_saveexec_b64 s[8:9], vcc
	s_cbranch_execz .LBB408_506
; %bb.505:
	v_and_b32_e32 v17, 7, v10
	v_ffbh_u32_e32 v17, v17
	v_min_u32_e32 v17, 32, v17
	v_subrev_u32_e32 v19, 28, v17
	v_cmp_gt_u32_e32 vcc, 8, v16
	v_lshrrev_b32_e32 v18, 3, v16
	v_sub_u32_e32 v17, 29, v17
	v_cndmask_b32_e32 v16, 0, v19, vcc
	v_cndmask_b32_e32 v18, v18, v17, vcc
	v_lshlrev_b64 v[16:17], v16, v[10:11]
	v_lshlrev_b32_e32 v16, 20, v16
	v_lshlrev_b32_e32 v17, 24, v10
	v_bfrev_b32_e32 v19, 60
	v_and_b32_e32 v16, 0x700000, v16
	v_and_b32_e32 v17, 0x80000000, v17
	v_lshl_add_u32 v18, v18, 23, v19
	v_or3_b32 v20, v17, v18, v16
.LBB408_506:
	s_or_b64 exec, exec, s[8:9]
.LBB408_507:
	s_or_b64 exec, exec, s[6:7]
.LBB408_508:
	s_or_b64 exec, exec, s[4:5]
	v_lshrrev_b16_e32 v16, 8, v10
	v_cmp_ne_u16_e32 vcc, 0, v16
	v_mov_b32_e32 v19, 0
	v_mov_b32_e32 v21, 0
	s_and_saveexec_b64 s[4:5], vcc
	s_cbranch_execz .LBB408_514
; %bb.509:
	s_movk_i32 s3, 0x80
	v_cmp_ne_u16_e32 vcc, s3, v16
	v_bfrev_b32_e32 v21, 1
	s_and_saveexec_b64 s[6:7], vcc
	s_cbranch_execz .LBB408_513
; %bb.510:
	s_movk_i32 s3, 0x7f
	v_and_b32_e32 v17, 0x7f, v16
	v_cmp_ne_u32_e32 vcc, s3, v17
	v_mov_b32_e32 v21, 0x7f800001
	s_and_saveexec_b64 s[8:9], vcc
	s_cbranch_execz .LBB408_512
; %bb.511:
	v_and_b32_e32 v18, 7, v16
	v_ffbh_u32_e32 v22, v18
	v_min_u32_e32 v24, 32, v22
	v_subrev_u32_e32 v22, 28, v24
	v_lshlrev_b64 v[22:23], v22, v[16:17]
	v_lshrrev_b32_e32 v21, 3, v17
	v_sub_u32_e32 v16, 29, v24
	v_and_b32_e32 v22, 7, v22
	v_cmp_gt_u32_e32 vcc, 8, v17
	v_cndmask_b32_e32 v16, v21, v16, vcc
	v_cndmask_b32_e32 v17, v18, v22, vcc
	v_lshlrev_b32_e32 v18, 16, v10
	v_bfrev_b32_e32 v21, 60
	v_lshlrev_b32_e32 v17, 20, v17
	v_and_b32_e32 v18, 0x80000000, v18
	v_lshl_add_u32 v16, v16, 23, v21
	v_or3_b32 v21, v18, v16, v17
.LBB408_512:
	s_or_b64 exec, exec, s[8:9]
.LBB408_513:
	s_or_b64 exec, exec, s[6:7]
.LBB408_514:
	s_or_b64 exec, exec, s[4:5]
	s_movk_i32 s3, 0xff
	v_and_b32_sdwa v17, v10, s3 dst_sel:DWORD dst_unused:UNUSED_PAD src0_sel:WORD_1 src1_sel:DWORD
	v_lshrrev_b32_e32 v16, 16, v10
	v_cmp_ne_u16_e32 vcc, 0, v17
	s_and_saveexec_b64 s[4:5], vcc
	s_cbranch_execz .LBB408_520
; %bb.515:
	s_movk_i32 s3, 0x80
	v_cmp_ne_u16_e32 vcc, s3, v17
	v_bfrev_b32_e32 v19, 1
	s_and_saveexec_b64 s[6:7], vcc
	s_cbranch_execz .LBB408_519
; %bb.516:
	v_bfe_u32 v17, v10, 16, 7
	s_movk_i32 s3, 0x7f
	v_cmp_ne_u32_e32 vcc, s3, v17
	v_mov_b32_e32 v19, 0x7f800001
	s_and_saveexec_b64 s[8:9], vcc
	s_cbranch_execz .LBB408_518
; %bb.517:
	v_and_b32_e32 v22, 7, v16
	v_ffbh_u32_e32 v18, v22
	v_min_u32_e32 v24, 32, v18
	v_subrev_u32_e32 v18, 28, v24
	v_lshlrev_b64 v[18:19], v18, v[16:17]
	v_and_b32_e32 v18, 7, v18
	v_cmp_gt_u32_e32 vcc, 8, v17
	v_lshrrev_b32_e32 v23, 3, v17
	v_sub_u32_e32 v16, 29, v24
	v_cndmask_b32_e32 v17, v22, v18, vcc
	v_mov_b32_e32 v18, 24
	v_cndmask_b32_e32 v16, v23, v16, vcc
	v_lshlrev_b32_sdwa v18, v18, v10 dst_sel:DWORD dst_unused:UNUSED_PAD src0_sel:DWORD src1_sel:WORD_1
	v_bfrev_b32_e32 v19, 60
	v_lshlrev_b32_e32 v17, 20, v17
	v_and_b32_e32 v18, 0x80000000, v18
	v_lshl_add_u32 v16, v16, 23, v19
	v_or3_b32 v19, v18, v16, v17
.LBB408_518:
	s_or_b64 exec, exec, s[8:9]
.LBB408_519:
	s_or_b64 exec, exec, s[6:7]
.LBB408_520:
	s_or_b64 exec, exec, s[4:5]
	s_mov_b32 s3, 0xffffff
	v_cmp_lt_u32_e32 vcc, s3, v10
	v_mov_b32_e32 v17, 0
	v_mov_b32_e32 v22, 0
	s_and_saveexec_b64 s[4:5], vcc
	s_cbranch_execz .LBB408_526
; %bb.521:
	v_lshrrev_b32_e32 v16, 24, v10
	s_movk_i32 s3, 0x80
	v_cmp_ne_u32_e32 vcc, s3, v16
	v_bfrev_b32_e32 v22, 1
	s_and_saveexec_b64 s[6:7], vcc
	s_cbranch_execz .LBB408_525
; %bb.522:
	v_bfe_u32 v18, v10, 24, 7
	s_movk_i32 s3, 0x7f
	v_cmp_ne_u32_e32 vcc, s3, v18
	v_mov_b32_e32 v22, 0x7f800001
	s_and_saveexec_b64 s[8:9], vcc
	s_cbranch_execz .LBB408_524
; %bb.523:
	v_and_b32_e32 v24, 7, v16
	v_ffbh_u32_e32 v22, v24
	v_min_u32_e32 v27, 32, v22
	v_subrev_u32_e32 v22, 28, v27
	v_lshlrev_b64 v[22:23], v22, v[16:17]
	v_lshrrev_b32_e32 v26, 3, v18
	v_sub_u32_e32 v23, 29, v27
	v_and_b32_e32 v22, 7, v22
	v_cmp_gt_u32_e32 vcc, 8, v18
	v_cndmask_b32_e32 v18, v26, v23, vcc
	v_cndmask_b32_e32 v22, v24, v22, vcc
	v_lshlrev_b32_e32 v16, 24, v16
	v_bfrev_b32_e32 v23, 60
	v_lshlrev_b32_e32 v22, 20, v22
	v_and_b32_e32 v16, 0x80000000, v16
	v_lshl_add_u32 v18, v18, 23, v23
	v_or3_b32 v22, v16, v18, v22
.LBB408_524:
	s_or_b64 exec, exec, s[8:9]
.LBB408_525:
	s_or_b64 exec, exec, s[6:7]
.LBB408_526:
	s_or_b64 exec, exec, s[4:5]
	v_mov_b32_e32 v16, v11
	v_cmp_ne_u16_sdwa s[6:7], v11, v17 src0_sel:BYTE_0 src1_sel:DWORD
	s_and_saveexec_b64 s[4:5], s[6:7]
	s_cbranch_execz .LBB408_532
; %bb.527:
	s_movk_i32 s3, 0x80
	v_cmp_ne_u16_sdwa s[8:9], v11, s3 src0_sel:BYTE_0 src1_sel:DWORD
	v_bfrev_b32_e32 v18, 1
	s_and_saveexec_b64 s[6:7], s[8:9]
	s_cbranch_execz .LBB408_531
; %bb.528:
	s_movk_i32 s3, 0x7f
	v_and_b32_e32 v23, 0x7f, v11
	v_cmp_ne_u32_e32 vcc, s3, v23
	v_mov_b32_e32 v18, 0x7f800001
	s_and_saveexec_b64 s[8:9], vcc
	s_cbranch_execz .LBB408_530
; %bb.529:
	v_and_b32_e32 v18, 7, v11
	v_ffbh_u32_e32 v18, v18
	v_min_u32_e32 v18, 32, v18
	v_subrev_u32_e32 v26, 28, v18
	v_cmp_gt_u32_e32 vcc, 8, v23
	v_lshrrev_b32_e32 v24, 3, v23
	v_cndmask_b32_e32 v23, 0, v26, vcc
	v_sub_u32_e32 v18, 29, v18
	v_lshlrev_b64 v[26:27], v23, v[16:17]
	v_cndmask_b32_e32 v18, v24, v18, vcc
	v_lshlrev_b32_e32 v17, 20, v26
	v_lshlrev_b32_e32 v23, 24, v16
	v_bfrev_b32_e32 v24, 60
	v_and_b32_e32 v17, 0x700000, v17
	v_and_b32_e32 v23, 0x80000000, v23
	v_lshl_add_u32 v18, v18, 23, v24
	v_or3_b32 v18, v23, v18, v17
.LBB408_530:
	s_or_b64 exec, exec, s[8:9]
.LBB408_531:
	s_or_b64 exec, exec, s[6:7]
	v_mov_b32_e32 v17, v18
.LBB408_532:
	s_or_b64 exec, exec, s[4:5]
	v_lshrrev_b16_e32 v18, 8, v16
	v_cmp_ne_u16_e32 vcc, 0, v18
	v_mov_b32_e32 v23, 0
	v_mov_b32_e32 v24, 0
	s_and_saveexec_b64 s[4:5], vcc
	s_cbranch_execz .LBB408_538
; %bb.533:
	s_movk_i32 s3, 0x80
	v_cmp_ne_u16_e32 vcc, s3, v18
	v_bfrev_b32_e32 v24, 1
	s_and_saveexec_b64 s[6:7], vcc
	s_cbranch_execz .LBB408_537
; %bb.534:
	s_movk_i32 s3, 0x7f
	v_and_b32_e32 v26, 0x7f, v18
	v_cmp_ne_u32_e32 vcc, s3, v26
	v_mov_b32_e32 v24, 0x7f800001
	s_and_saveexec_b64 s[8:9], vcc
	s_cbranch_execz .LBB408_536
; %bb.535:
	v_and_b32_e32 v24, 7, v18
	v_ffbh_u32_e32 v28, v24
	v_min_u32_e32 v30, 32, v28
	v_subrev_u32_e32 v28, 28, v30
	v_lshlrev_b64 v[28:29], v28, v[18:19]
	v_lshrrev_b32_e32 v27, 3, v26
	v_sub_u32_e32 v18, 29, v30
	v_and_b32_e32 v28, 7, v28
	v_cmp_gt_u32_e32 vcc, 8, v26
	v_cndmask_b32_e32 v18, v27, v18, vcc
	v_cndmask_b32_e32 v24, v24, v28, vcc
	v_lshlrev_b32_e32 v16, 16, v16
	v_bfrev_b32_e32 v26, 60
	v_lshlrev_b32_e32 v24, 20, v24
	v_and_b32_e32 v16, 0x80000000, v16
	v_lshl_add_u32 v18, v18, 23, v26
	v_or3_b32 v24, v16, v18, v24
.LBB408_536:
	s_or_b64 exec, exec, s[8:9]
.LBB408_537:
	s_or_b64 exec, exec, s[6:7]
.LBB408_538:
	s_or_b64 exec, exec, s[4:5]
	s_movk_i32 s3, 0xff
	v_and_b32_sdwa v18, v11, s3 dst_sel:DWORD dst_unused:UNUSED_PAD src0_sel:WORD_1 src1_sel:DWORD
	v_lshrrev_b32_e32 v16, 16, v11
	v_cmp_ne_u16_e32 vcc, 0, v18
	s_and_saveexec_b64 s[4:5], vcc
	s_cbranch_execz .LBB408_544
; %bb.539:
	s_movk_i32 s3, 0x80
	v_cmp_ne_u16_e32 vcc, s3, v18
	v_bfrev_b32_e32 v23, 1
	s_and_saveexec_b64 s[6:7], vcc
	s_cbranch_execz .LBB408_543
; %bb.540:
	v_bfe_u32 v18, v11, 16, 7
	s_movk_i32 s3, 0x7f
	v_cmp_ne_u32_e32 vcc, s3, v18
	v_mov_b32_e32 v23, 0x7f800001
	s_and_saveexec_b64 s[8:9], vcc
	s_cbranch_execz .LBB408_542
; %bb.541:
	v_and_b32_e32 v23, 7, v16
	v_ffbh_u32_e32 v26, v23
	v_min_u32_e32 v29, 32, v26
	v_subrev_u32_e32 v26, 28, v29
	v_lshlrev_b64 v[26:27], v26, v[16:17]
	v_and_b32_e32 v26, 7, v26
	v_cmp_gt_u32_e32 vcc, 8, v18
	v_lshrrev_b32_e32 v28, 3, v18
	v_sub_u32_e32 v16, 29, v29
	v_cndmask_b32_e32 v18, v23, v26, vcc
	v_mov_b32_e32 v23, 24
	v_cndmask_b32_e32 v16, v28, v16, vcc
	v_lshlrev_b32_sdwa v23, v23, v11 dst_sel:DWORD dst_unused:UNUSED_PAD src0_sel:DWORD src1_sel:WORD_1
	v_bfrev_b32_e32 v26, 60
	v_lshlrev_b32_e32 v18, 20, v18
	v_and_b32_e32 v23, 0x80000000, v23
	v_lshl_add_u32 v16, v16, 23, v26
	v_or3_b32 v23, v23, v16, v18
.LBB408_542:
	s_or_b64 exec, exec, s[8:9]
.LBB408_543:
	s_or_b64 exec, exec, s[6:7]
.LBB408_544:
	s_or_b64 exec, exec, s[4:5]
	s_mov_b32 s4, -1
	s_mov_b32 s5, 0xffffff
	v_cmp_lt_u64_e32 vcc, s[4:5], v[10:11]
	v_mov_b32_e32 v18, 0
	v_mov_b32_e32 v16, 0
	s_and_saveexec_b64 s[4:5], vcc
	s_cbranch_execz .LBB408_550
; %bb.545:
	v_lshrrev_b32_e32 v10, 24, v11
	s_movk_i32 s3, 0x80
	v_cmp_ne_u32_e32 vcc, s3, v10
	v_bfrev_b32_e32 v16, 1
	s_and_saveexec_b64 s[6:7], vcc
	s_cbranch_execz .LBB408_549
; %bb.546:
	v_bfe_u32 v11, v11, 24, 7
	s_movk_i32 s3, 0x7f
	v_cmp_ne_u32_e32 vcc, s3, v11
	v_mov_b32_e32 v16, 0x7f800001
	s_and_saveexec_b64 s[8:9], vcc
	s_cbranch_execz .LBB408_548
; %bb.547:
	v_and_b32_e32 v16, 7, v10
	v_ffbh_u32_e32 v26, v16
	v_min_u32_e32 v29, 32, v26
	v_subrev_u32_e32 v26, 28, v29
	v_lshlrev_b64 v[26:27], v26, v[10:11]
	v_lshrrev_b32_e32 v28, 3, v11
	v_sub_u32_e32 v27, 29, v29
	v_and_b32_e32 v26, 7, v26
	v_cmp_gt_u32_e32 vcc, 8, v11
	v_cndmask_b32_e32 v11, v28, v27, vcc
	v_cndmask_b32_e32 v16, v16, v26, vcc
	v_lshlrev_b32_e32 v10, 24, v10
	v_bfrev_b32_e32 v26, 60
	v_lshlrev_b32_e32 v16, 20, v16
	v_and_b32_e32 v10, 0x80000000, v10
	v_lshl_add_u32 v11, v11, 23, v26
	v_or3_b32 v16, v10, v11, v16
.LBB408_548:
	s_or_b64 exec, exec, s[8:9]
.LBB408_549:
	s_or_b64 exec, exec, s[6:7]
.LBB408_550:
	s_or_b64 exec, exec, s[4:5]
	v_cvt_pkrtz_f16_f32 v10, v20, v21
	v_cvt_pkrtz_f16_f32 v11, v19, v22
	v_cvt_pkrtz_f16_f32 v20, v17, v24
	v_cvt_pkrtz_f16_f32 v21, v23, v16
	v_mfma_f32_4x4x4f16 a[0:3], v[14:15], v[10:11], a[0:3] cbsz:4 abid:4
	v_cmp_ne_u16_sdwa s[6:7], v12, v18 src0_sel:BYTE_0 src1_sel:DWORD
	v_mfma_f32_4x4x4f16 a[0:3], v[14:15], v[20:21], a[0:3] cbsz:4 abid:5
	s_and_saveexec_b64 s[4:5], s[6:7]
	s_cbranch_execz .LBB408_556
; %bb.551:
	s_movk_i32 s3, 0x80
	v_cmp_ne_u16_sdwa s[8:9], v12, s3 src0_sel:BYTE_0 src1_sel:DWORD
	v_bfrev_b32_e32 v18, 1
	s_and_saveexec_b64 s[6:7], s[8:9]
	s_cbranch_execz .LBB408_555
; %bb.552:
	s_movk_i32 s3, 0x7f
	v_and_b32_e32 v10, 0x7f, v12
	v_cmp_ne_u32_e32 vcc, s3, v10
	v_mov_b32_e32 v18, 0x7f800001
	s_and_saveexec_b64 s[8:9], vcc
	s_cbranch_execz .LBB408_554
; %bb.553:
	v_and_b32_e32 v11, 7, v12
	v_ffbh_u32_e32 v11, v11
	v_min_u32_e32 v11, 32, v11
	v_subrev_u32_e32 v17, 28, v11
	v_cmp_gt_u32_e32 vcc, 8, v10
	v_lshrrev_b32_e32 v16, 3, v10
	v_sub_u32_e32 v11, 29, v11
	v_cndmask_b32_e32 v10, 0, v17, vcc
	v_cndmask_b32_e32 v16, v16, v11, vcc
	v_lshlrev_b64 v[10:11], v10, v[12:13]
	v_lshlrev_b32_e32 v10, 20, v10
	v_lshlrev_b32_e32 v11, 24, v12
	v_bfrev_b32_e32 v17, 60
	v_and_b32_e32 v10, 0x700000, v10
	v_and_b32_e32 v11, 0x80000000, v11
	v_lshl_add_u32 v16, v16, 23, v17
	v_or3_b32 v18, v11, v16, v10
.LBB408_554:
	s_or_b64 exec, exec, s[8:9]
.LBB408_555:
	s_or_b64 exec, exec, s[6:7]
.LBB408_556:
	s_or_b64 exec, exec, s[4:5]
	v_lshrrev_b16_e32 v10, 8, v12
	v_cmp_ne_u16_e32 vcc, 0, v10
	v_mov_b32_e32 v17, 0
	v_mov_b32_e32 v19, 0
	s_and_saveexec_b64 s[4:5], vcc
	s_cbranch_execz .LBB408_562
; %bb.557:
	s_movk_i32 s3, 0x80
	v_cmp_ne_u16_e32 vcc, s3, v10
	v_bfrev_b32_e32 v19, 1
	s_and_saveexec_b64 s[6:7], vcc
	s_cbranch_execz .LBB408_561
; %bb.558:
	s_movk_i32 s3, 0x7f
	v_and_b32_e32 v11, 0x7f, v10
	v_cmp_ne_u32_e32 vcc, s3, v11
	v_mov_b32_e32 v19, 0x7f800001
	s_and_saveexec_b64 s[8:9], vcc
	s_cbranch_execz .LBB408_560
; %bb.559:
	v_and_b32_e32 v16, 7, v10
	v_ffbh_u32_e32 v20, v16
	v_min_u32_e32 v22, 32, v20
	v_subrev_u32_e32 v20, 28, v22
	v_lshlrev_b64 v[20:21], v20, v[10:11]
	v_lshrrev_b32_e32 v19, 3, v11
	v_sub_u32_e32 v10, 29, v22
	v_and_b32_e32 v20, 7, v20
	v_cmp_gt_u32_e32 vcc, 8, v11
	v_cndmask_b32_e32 v10, v19, v10, vcc
	v_cndmask_b32_e32 v11, v16, v20, vcc
	v_lshlrev_b32_e32 v16, 16, v12
	v_bfrev_b32_e32 v19, 60
	v_lshlrev_b32_e32 v11, 20, v11
	v_and_b32_e32 v16, 0x80000000, v16
	v_lshl_add_u32 v10, v10, 23, v19
	v_or3_b32 v19, v16, v10, v11
.LBB408_560:
	s_or_b64 exec, exec, s[8:9]
.LBB408_561:
	s_or_b64 exec, exec, s[6:7]
.LBB408_562:
	s_or_b64 exec, exec, s[4:5]
	s_movk_i32 s3, 0xff
	v_and_b32_sdwa v11, v12, s3 dst_sel:DWORD dst_unused:UNUSED_PAD src0_sel:WORD_1 src1_sel:DWORD
	v_lshrrev_b32_e32 v10, 16, v12
	v_cmp_ne_u16_e32 vcc, 0, v11
	s_and_saveexec_b64 s[4:5], vcc
	s_cbranch_execz .LBB408_568
; %bb.563:
	s_movk_i32 s3, 0x80
	v_cmp_ne_u16_e32 vcc, s3, v11
	v_bfrev_b32_e32 v17, 1
	s_and_saveexec_b64 s[6:7], vcc
	s_cbranch_execz .LBB408_567
; %bb.564:
	v_bfe_u32 v11, v12, 16, 7
	s_movk_i32 s3, 0x7f
	v_cmp_ne_u32_e32 vcc, s3, v11
	v_mov_b32_e32 v17, 0x7f800001
	s_and_saveexec_b64 s[8:9], vcc
	s_cbranch_execz .LBB408_566
; %bb.565:
	v_and_b32_e32 v20, 7, v10
	v_ffbh_u32_e32 v16, v20
	v_min_u32_e32 v22, 32, v16
	v_subrev_u32_e32 v16, 28, v22
	v_lshlrev_b64 v[16:17], v16, v[10:11]
	v_and_b32_e32 v16, 7, v16
	v_cmp_gt_u32_e32 vcc, 8, v11
	v_lshrrev_b32_e32 v21, 3, v11
	v_sub_u32_e32 v10, 29, v22
	v_cndmask_b32_e32 v11, v20, v16, vcc
	v_mov_b32_e32 v16, 24
	v_cndmask_b32_e32 v10, v21, v10, vcc
	v_lshlrev_b32_sdwa v16, v16, v12 dst_sel:DWORD dst_unused:UNUSED_PAD src0_sel:DWORD src1_sel:WORD_1
	v_bfrev_b32_e32 v17, 60
	v_lshlrev_b32_e32 v11, 20, v11
	v_and_b32_e32 v16, 0x80000000, v16
	v_lshl_add_u32 v10, v10, 23, v17
	v_or3_b32 v17, v16, v10, v11
.LBB408_566:
	s_or_b64 exec, exec, s[8:9]
.LBB408_567:
	s_or_b64 exec, exec, s[6:7]
.LBB408_568:
	s_or_b64 exec, exec, s[4:5]
	s_mov_b32 s3, 0xffffff
	v_cmp_lt_u32_e32 vcc, s3, v12
	v_mov_b32_e32 v11, 0
	v_mov_b32_e32 v20, 0
	s_and_saveexec_b64 s[4:5], vcc
	s_cbranch_execz .LBB408_574
; %bb.569:
	v_lshrrev_b32_e32 v10, 24, v12
	s_movk_i32 s3, 0x80
	v_cmp_ne_u32_e32 vcc, s3, v10
	v_bfrev_b32_e32 v20, 1
	s_and_saveexec_b64 s[6:7], vcc
	s_cbranch_execz .LBB408_573
; %bb.570:
	v_bfe_u32 v16, v12, 24, 7
	s_movk_i32 s3, 0x7f
	v_cmp_ne_u32_e32 vcc, s3, v16
	v_mov_b32_e32 v20, 0x7f800001
	s_and_saveexec_b64 s[8:9], vcc
	s_cbranch_execz .LBB408_572
; %bb.571:
	v_and_b32_e32 v22, 7, v10
	v_ffbh_u32_e32 v20, v22
	v_min_u32_e32 v24, 32, v20
	v_subrev_u32_e32 v20, 28, v24
	v_lshlrev_b64 v[20:21], v20, v[10:11]
	v_lshrrev_b32_e32 v23, 3, v16
	v_sub_u32_e32 v21, 29, v24
	v_and_b32_e32 v20, 7, v20
	v_cmp_gt_u32_e32 vcc, 8, v16
	v_cndmask_b32_e32 v16, v23, v21, vcc
	v_cndmask_b32_e32 v20, v22, v20, vcc
	v_lshlrev_b32_e32 v10, 24, v10
	v_bfrev_b32_e32 v21, 60
	v_lshlrev_b32_e32 v20, 20, v20
	v_and_b32_e32 v10, 0x80000000, v10
	v_lshl_add_u32 v16, v16, 23, v21
	v_or3_b32 v20, v10, v16, v20
.LBB408_572:
	s_or_b64 exec, exec, s[8:9]
.LBB408_573:
	s_or_b64 exec, exec, s[6:7]
.LBB408_574:
	s_or_b64 exec, exec, s[4:5]
	v_mov_b32_e32 v10, v13
	v_cmp_ne_u16_sdwa s[6:7], v13, v11 src0_sel:BYTE_0 src1_sel:DWORD
	s_and_saveexec_b64 s[4:5], s[6:7]
	s_cbranch_execz .LBB408_580
; %bb.575:
	s_movk_i32 s3, 0x80
	v_cmp_ne_u16_sdwa s[8:9], v13, s3 src0_sel:BYTE_0 src1_sel:DWORD
	v_bfrev_b32_e32 v16, 1
	s_and_saveexec_b64 s[6:7], s[8:9]
	s_cbranch_execz .LBB408_579
; %bb.576:
	s_movk_i32 s3, 0x7f
	v_and_b32_e32 v21, 0x7f, v13
	v_cmp_ne_u32_e32 vcc, s3, v21
	v_mov_b32_e32 v16, 0x7f800001
	s_and_saveexec_b64 s[8:9], vcc
	s_cbranch_execz .LBB408_578
; %bb.577:
	v_and_b32_e32 v16, 7, v13
	v_ffbh_u32_e32 v16, v16
	v_min_u32_e32 v16, 32, v16
	v_subrev_u32_e32 v23, 28, v16
	v_cmp_gt_u32_e32 vcc, 8, v21
	v_lshrrev_b32_e32 v22, 3, v21
	v_sub_u32_e32 v16, 29, v16
	v_cndmask_b32_e32 v21, 0, v23, vcc
	v_cndmask_b32_e32 v16, v22, v16, vcc
	v_lshlrev_b64 v[22:23], v21, v[10:11]
	v_lshlrev_b32_e32 v11, 20, v22
	v_lshlrev_b32_e32 v21, 24, v10
	v_bfrev_b32_e32 v22, 60
	v_and_b32_e32 v11, 0x700000, v11
	v_and_b32_e32 v21, 0x80000000, v21
	v_lshl_add_u32 v16, v16, 23, v22
	v_or3_b32 v16, v21, v16, v11
.LBB408_578:
	s_or_b64 exec, exec, s[8:9]
.LBB408_579:
	s_or_b64 exec, exec, s[6:7]
	v_mov_b32_e32 v11, v16
.LBB408_580:
	s_or_b64 exec, exec, s[4:5]
	v_lshrrev_b16_e32 v16, 8, v10
	v_cmp_ne_u16_e32 vcc, 0, v16
	v_mov_b32_e32 v21, 0
	v_mov_b32_e32 v22, 0
	s_and_saveexec_b64 s[4:5], vcc
	s_cbranch_execz .LBB408_586
; %bb.581:
	s_movk_i32 s3, 0x80
	v_cmp_ne_u16_e32 vcc, s3, v16
	v_bfrev_b32_e32 v22, 1
	s_and_saveexec_b64 s[6:7], vcc
	s_cbranch_execz .LBB408_585
; %bb.582:
	s_movk_i32 s3, 0x7f
	v_and_b32_e32 v23, 0x7f, v16
	v_cmp_ne_u32_e32 vcc, s3, v23
	v_mov_b32_e32 v22, 0x7f800001
	s_and_saveexec_b64 s[8:9], vcc
	s_cbranch_execz .LBB408_584
; %bb.583:
	v_and_b32_e32 v22, 7, v16
	v_ffbh_u32_e32 v26, v22
	v_min_u32_e32 v28, 32, v26
	v_subrev_u32_e32 v26, 28, v28
	v_lshlrev_b64 v[26:27], v26, v[16:17]
	v_lshrrev_b32_e32 v24, 3, v23
	v_sub_u32_e32 v16, 29, v28
	v_and_b32_e32 v26, 7, v26
	v_cmp_gt_u32_e32 vcc, 8, v23
	v_cndmask_b32_e32 v16, v24, v16, vcc
	v_cndmask_b32_e32 v22, v22, v26, vcc
	v_lshlrev_b32_e32 v10, 16, v10
	v_bfrev_b32_e32 v23, 60
	v_lshlrev_b32_e32 v22, 20, v22
	v_and_b32_e32 v10, 0x80000000, v10
	v_lshl_add_u32 v16, v16, 23, v23
	v_or3_b32 v22, v10, v16, v22
.LBB408_584:
	s_or_b64 exec, exec, s[8:9]
.LBB408_585:
	s_or_b64 exec, exec, s[6:7]
.LBB408_586:
	s_or_b64 exec, exec, s[4:5]
	s_movk_i32 s3, 0xff
	v_and_b32_sdwa v16, v13, s3 dst_sel:DWORD dst_unused:UNUSED_PAD src0_sel:WORD_1 src1_sel:DWORD
	v_lshrrev_b32_e32 v10, 16, v13
	v_cmp_ne_u16_e32 vcc, 0, v16
	s_and_saveexec_b64 s[4:5], vcc
	s_cbranch_execz .LBB408_592
; %bb.587:
	s_movk_i32 s3, 0x80
	v_cmp_ne_u16_e32 vcc, s3, v16
	v_bfrev_b32_e32 v21, 1
	s_and_saveexec_b64 s[6:7], vcc
	s_cbranch_execz .LBB408_591
; %bb.588:
	v_bfe_u32 v16, v13, 16, 7
	s_movk_i32 s3, 0x7f
	v_cmp_ne_u32_e32 vcc, s3, v16
	v_mov_b32_e32 v21, 0x7f800001
	s_and_saveexec_b64 s[8:9], vcc
	s_cbranch_execz .LBB408_590
; %bb.589:
	v_and_b32_e32 v21, 7, v10
	v_ffbh_u32_e32 v24, v21
	v_min_u32_e32 v24, 32, v24
	v_subrev_u32_e32 v26, 28, v24
	v_lshlrev_b64 v[26:27], v26, v[10:11]
	v_sub_u32_e32 v10, 29, v24
	v_and_b32_e32 v24, 7, v26
	v_cmp_gt_u32_e32 vcc, 8, v16
	v_lshrrev_b32_e32 v23, 3, v16
	v_cndmask_b32_e32 v16, v21, v24, vcc
	v_mov_b32_e32 v21, 24
	v_cndmask_b32_e32 v10, v23, v10, vcc
	v_lshlrev_b32_sdwa v21, v21, v13 dst_sel:DWORD dst_unused:UNUSED_PAD src0_sel:DWORD src1_sel:WORD_1
	v_bfrev_b32_e32 v23, 60
	v_lshlrev_b32_e32 v16, 20, v16
	v_and_b32_e32 v21, 0x80000000, v21
	v_lshl_add_u32 v10, v10, 23, v23
	v_or3_b32 v21, v21, v10, v16
.LBB408_590:
	s_or_b64 exec, exec, s[8:9]
.LBB408_591:
	s_or_b64 exec, exec, s[6:7]
.LBB408_592:
	s_or_b64 exec, exec, s[4:5]
	s_mov_b32 s4, -1
	s_mov_b32 s5, 0xffffff
	v_cmp_lt_u64_e32 vcc, s[4:5], v[12:13]
	v_mov_b32_e32 v16, 0
	v_mov_b32_e32 v12, 0
	s_and_saveexec_b64 s[4:5], vcc
	s_cbranch_execz .LBB408_598
; %bb.593:
	v_lshrrev_b32_e32 v10, 24, v13
	s_movk_i32 s3, 0x80
	v_cmp_ne_u32_e32 vcc, s3, v10
	v_bfrev_b32_e32 v12, 1
	s_and_saveexec_b64 s[6:7], vcc
	s_cbranch_execz .LBB408_597
; %bb.594:
	v_bfe_u32 v13, v13, 24, 7
	s_movk_i32 s3, 0x7f
	v_cmp_ne_u32_e32 vcc, s3, v13
	v_mov_b32_e32 v12, 0x7f800001
	s_and_saveexec_b64 s[8:9], vcc
	s_cbranch_execz .LBB408_596
; %bb.595:
	v_and_b32_e32 v12, 7, v10
	v_ffbh_u32_e32 v24, v12
	v_min_u32_e32 v24, 32, v24
	v_subrev_u32_e32 v26, 28, v24
	v_lshlrev_b64 v[26:27], v26, v[10:11]
	v_lshrrev_b32_e32 v23, 3, v13
	v_sub_u32_e32 v24, 29, v24
	v_and_b32_e32 v26, 7, v26
	v_cmp_gt_u32_e32 vcc, 8, v13
	v_cndmask_b32_e32 v13, v23, v24, vcc
	v_cndmask_b32_e32 v12, v12, v26, vcc
	v_lshlrev_b32_e32 v10, 24, v10
	v_bfrev_b32_e32 v23, 60
	v_lshlrev_b32_e32 v12, 20, v12
	v_and_b32_e32 v10, 0x80000000, v10
	v_lshl_add_u32 v13, v13, 23, v23
	v_or3_b32 v12, v10, v13, v12
.LBB408_596:
	s_or_b64 exec, exec, s[8:9]
.LBB408_597:
	s_or_b64 exec, exec, s[6:7]
.LBB408_598:
	s_or_b64 exec, exec, s[4:5]
	v_cvt_pkrtz_f16_f32 v18, v18, v19
	v_cvt_pkrtz_f16_f32 v19, v17, v20
	;; [unrolled: 1-line block ×4, first 2 shown]
	v_mfma_f32_4x4x4f16 a[0:3], v[14:15], v[18:19], a[0:3] cbsz:4 abid:6
	s_waitcnt vmcnt(1)
	v_cmp_ne_u16_sdwa s[6:7], v6, v16 src0_sel:BYTE_0 src1_sel:DWORD
	v_mfma_f32_4x4x4f16 a[0:3], v[14:15], v[10:11], a[0:3] cbsz:4 abid:7
	s_and_saveexec_b64 s[4:5], s[6:7]
	s_cbranch_execz .LBB408_604
; %bb.599:
	s_movk_i32 s3, 0x80
	v_cmp_ne_u16_sdwa s[8:9], v6, s3 src0_sel:BYTE_0 src1_sel:DWORD
	v_bfrev_b32_e32 v16, 1
	s_and_saveexec_b64 s[6:7], s[8:9]
	s_cbranch_execz .LBB408_603
; %bb.600:
	s_movk_i32 s3, 0x7f
	v_and_b32_e32 v10, 0x7f, v6
	v_cmp_ne_u32_e32 vcc, s3, v10
	v_mov_b32_e32 v16, 0x7f800001
	s_and_saveexec_b64 s[8:9], vcc
	s_cbranch_execz .LBB408_602
; %bb.601:
	v_and_b32_e32 v11, 7, v6
	v_ffbh_u32_e32 v11, v11
	v_min_u32_e32 v11, 32, v11
	v_subrev_u32_e32 v13, 28, v11
	v_cmp_gt_u32_e32 vcc, 8, v10
	v_lshrrev_b32_e32 v12, 3, v10
	v_sub_u32_e32 v11, 29, v11
	v_cndmask_b32_e32 v10, 0, v13, vcc
	v_cndmask_b32_e32 v12, v12, v11, vcc
	v_lshlrev_b64 v[10:11], v10, v[6:7]
	v_lshlrev_b32_e32 v10, 20, v10
	v_lshlrev_b32_e32 v11, 24, v6
	v_bfrev_b32_e32 v13, 60
	v_and_b32_e32 v10, 0x700000, v10
	v_and_b32_e32 v11, 0x80000000, v11
	v_lshl_add_u32 v12, v12, 23, v13
	v_or3_b32 v16, v11, v12, v10
.LBB408_602:
	s_or_b64 exec, exec, s[8:9]
.LBB408_603:
	s_or_b64 exec, exec, s[6:7]
.LBB408_604:
	s_or_b64 exec, exec, s[4:5]
	v_lshrrev_b16_e32 v10, 8, v6
	v_cmp_ne_u16_e32 vcc, 0, v10
	v_mov_b32_e32 v13, 0
	v_mov_b32_e32 v17, 0
	s_and_saveexec_b64 s[4:5], vcc
	s_cbranch_execz .LBB408_610
; %bb.605:
	s_movk_i32 s3, 0x80
	v_cmp_ne_u16_e32 vcc, s3, v10
	v_bfrev_b32_e32 v17, 1
	s_and_saveexec_b64 s[6:7], vcc
	s_cbranch_execz .LBB408_609
; %bb.606:
	s_movk_i32 s3, 0x7f
	v_and_b32_e32 v11, 0x7f, v10
	v_cmp_ne_u32_e32 vcc, s3, v11
	v_mov_b32_e32 v17, 0x7f800001
	s_and_saveexec_b64 s[8:9], vcc
	s_cbranch_execz .LBB408_608
; %bb.607:
	v_and_b32_e32 v12, 7, v10
	v_ffbh_u32_e32 v18, v12
	v_min_u32_e32 v20, 32, v18
	v_subrev_u32_e32 v18, 28, v20
	v_lshlrev_b64 v[18:19], v18, v[10:11]
	v_lshrrev_b32_e32 v17, 3, v11
	v_sub_u32_e32 v10, 29, v20
	v_and_b32_e32 v18, 7, v18
	v_cmp_gt_u32_e32 vcc, 8, v11
	v_cndmask_b32_e32 v10, v17, v10, vcc
	v_cndmask_b32_e32 v11, v12, v18, vcc
	v_lshlrev_b32_e32 v12, 16, v6
	v_bfrev_b32_e32 v17, 60
	v_lshlrev_b32_e32 v11, 20, v11
	v_and_b32_e32 v12, 0x80000000, v12
	v_lshl_add_u32 v10, v10, 23, v17
	v_or3_b32 v17, v12, v10, v11
.LBB408_608:
	s_or_b64 exec, exec, s[8:9]
.LBB408_609:
	s_or_b64 exec, exec, s[6:7]
.LBB408_610:
	s_or_b64 exec, exec, s[4:5]
	s_movk_i32 s3, 0xff
	v_and_b32_sdwa v11, v6, s3 dst_sel:DWORD dst_unused:UNUSED_PAD src0_sel:WORD_1 src1_sel:DWORD
	v_lshrrev_b32_e32 v10, 16, v6
	v_cmp_ne_u16_e32 vcc, 0, v11
	s_and_saveexec_b64 s[4:5], vcc
	s_cbranch_execz .LBB408_616
; %bb.611:
	s_movk_i32 s3, 0x80
	v_cmp_ne_u16_e32 vcc, s3, v11
	v_bfrev_b32_e32 v13, 1
	s_and_saveexec_b64 s[6:7], vcc
	s_cbranch_execz .LBB408_615
; %bb.612:
	v_bfe_u32 v11, v6, 16, 7
	s_movk_i32 s3, 0x7f
	v_cmp_ne_u32_e32 vcc, s3, v11
	v_mov_b32_e32 v13, 0x7f800001
	s_and_saveexec_b64 s[8:9], vcc
	s_cbranch_execz .LBB408_614
; %bb.613:
	v_and_b32_e32 v18, 7, v10
	v_ffbh_u32_e32 v12, v18
	v_min_u32_e32 v20, 32, v12
	v_subrev_u32_e32 v12, 28, v20
	v_lshlrev_b64 v[12:13], v12, v[10:11]
	v_and_b32_e32 v12, 7, v12
	v_cmp_gt_u32_e32 vcc, 8, v11
	v_lshrrev_b32_e32 v19, 3, v11
	v_sub_u32_e32 v10, 29, v20
	v_cndmask_b32_e32 v11, v18, v12, vcc
	v_mov_b32_e32 v12, 24
	v_cndmask_b32_e32 v10, v19, v10, vcc
	v_lshlrev_b32_sdwa v12, v12, v6 dst_sel:DWORD dst_unused:UNUSED_PAD src0_sel:DWORD src1_sel:WORD_1
	v_bfrev_b32_e32 v13, 60
	v_lshlrev_b32_e32 v11, 20, v11
	v_and_b32_e32 v12, 0x80000000, v12
	v_lshl_add_u32 v10, v10, 23, v13
	v_or3_b32 v13, v12, v10, v11
.LBB408_614:
	s_or_b64 exec, exec, s[8:9]
.LBB408_615:
	s_or_b64 exec, exec, s[6:7]
.LBB408_616:
	s_or_b64 exec, exec, s[4:5]
	s_mov_b32 s3, 0xffffff
	v_cmp_lt_u32_e32 vcc, s3, v6
	v_mov_b32_e32 v11, 0
	v_mov_b32_e32 v18, 0
	s_and_saveexec_b64 s[4:5], vcc
	s_cbranch_execz .LBB408_622
; %bb.617:
	v_lshrrev_b32_e32 v10, 24, v6
	s_movk_i32 s3, 0x80
	v_cmp_ne_u32_e32 vcc, s3, v10
	v_bfrev_b32_e32 v18, 1
	s_and_saveexec_b64 s[6:7], vcc
	s_cbranch_execz .LBB408_621
; %bb.618:
	v_bfe_u32 v12, v6, 24, 7
	s_movk_i32 s3, 0x7f
	v_cmp_ne_u32_e32 vcc, s3, v12
	v_mov_b32_e32 v18, 0x7f800001
	s_and_saveexec_b64 s[8:9], vcc
	s_cbranch_execz .LBB408_620
; %bb.619:
	v_and_b32_e32 v20, 7, v10
	v_ffbh_u32_e32 v18, v20
	v_min_u32_e32 v22, 32, v18
	v_subrev_u32_e32 v18, 28, v22
	v_lshlrev_b64 v[18:19], v18, v[10:11]
	v_lshrrev_b32_e32 v21, 3, v12
	v_sub_u32_e32 v19, 29, v22
	v_and_b32_e32 v18, 7, v18
	v_cmp_gt_u32_e32 vcc, 8, v12
	v_cndmask_b32_e32 v12, v21, v19, vcc
	v_cndmask_b32_e32 v18, v20, v18, vcc
	v_lshlrev_b32_e32 v10, 24, v10
	v_bfrev_b32_e32 v19, 60
	v_lshlrev_b32_e32 v18, 20, v18
	v_and_b32_e32 v10, 0x80000000, v10
	v_lshl_add_u32 v12, v12, 23, v19
	v_or3_b32 v18, v10, v12, v18
.LBB408_620:
	s_or_b64 exec, exec, s[8:9]
.LBB408_621:
	s_or_b64 exec, exec, s[6:7]
.LBB408_622:
	s_or_b64 exec, exec, s[4:5]
	v_mov_b32_e32 v10, v7
	v_cmp_ne_u16_sdwa s[6:7], v7, v11 src0_sel:BYTE_0 src1_sel:DWORD
	s_and_saveexec_b64 s[4:5], s[6:7]
	s_cbranch_execz .LBB408_628
; %bb.623:
	s_movk_i32 s3, 0x80
	v_cmp_ne_u16_sdwa s[8:9], v7, s3 src0_sel:BYTE_0 src1_sel:DWORD
	v_bfrev_b32_e32 v12, 1
	s_and_saveexec_b64 s[6:7], s[8:9]
	s_cbranch_execz .LBB408_627
; %bb.624:
	s_movk_i32 s3, 0x7f
	v_and_b32_e32 v19, 0x7f, v7
	v_cmp_ne_u32_e32 vcc, s3, v19
	v_mov_b32_e32 v12, 0x7f800001
	s_and_saveexec_b64 s[8:9], vcc
	s_cbranch_execz .LBB408_626
; %bb.625:
	v_and_b32_e32 v12, 7, v7
	v_ffbh_u32_e32 v12, v12
	v_min_u32_e32 v12, 32, v12
	v_subrev_u32_e32 v21, 28, v12
	v_cmp_gt_u32_e32 vcc, 8, v19
	v_lshrrev_b32_e32 v20, 3, v19
	v_sub_u32_e32 v12, 29, v12
	v_cndmask_b32_e32 v19, 0, v21, vcc
	v_cndmask_b32_e32 v12, v20, v12, vcc
	v_lshlrev_b64 v[20:21], v19, v[10:11]
	v_lshlrev_b32_e32 v11, 20, v20
	v_lshlrev_b32_e32 v19, 24, v10
	v_bfrev_b32_e32 v20, 60
	v_and_b32_e32 v11, 0x700000, v11
	v_and_b32_e32 v19, 0x80000000, v19
	v_lshl_add_u32 v12, v12, 23, v20
	v_or3_b32 v12, v19, v12, v11
.LBB408_626:
	s_or_b64 exec, exec, s[8:9]
.LBB408_627:
	s_or_b64 exec, exec, s[6:7]
	v_mov_b32_e32 v11, v12
.LBB408_628:
	s_or_b64 exec, exec, s[4:5]
	v_lshrrev_b16_e32 v12, 8, v10
	v_cmp_ne_u16_e32 vcc, 0, v12
	v_mov_b32_e32 v19, 0
	v_mov_b32_e32 v20, 0
	s_and_saveexec_b64 s[4:5], vcc
	s_cbranch_execz .LBB408_634
; %bb.629:
	s_movk_i32 s3, 0x80
	v_cmp_ne_u16_e32 vcc, s3, v12
	v_bfrev_b32_e32 v20, 1
	s_and_saveexec_b64 s[6:7], vcc
	s_cbranch_execz .LBB408_633
; %bb.630:
	s_movk_i32 s3, 0x7f
	v_and_b32_e32 v21, 0x7f, v12
	v_cmp_ne_u32_e32 vcc, s3, v21
	v_mov_b32_e32 v20, 0x7f800001
	s_and_saveexec_b64 s[8:9], vcc
	s_cbranch_execz .LBB408_632
; %bb.631:
	v_and_b32_e32 v20, 7, v12
	v_ffbh_u32_e32 v22, v20
	v_min_u32_e32 v26, 32, v22
	v_subrev_u32_e32 v22, 28, v26
	v_lshlrev_b64 v[22:23], v22, v[12:13]
	v_lshrrev_b32_e32 v24, 3, v21
	v_sub_u32_e32 v12, 29, v26
	v_and_b32_e32 v22, 7, v22
	v_cmp_gt_u32_e32 vcc, 8, v21
	v_cndmask_b32_e32 v12, v24, v12, vcc
	v_cndmask_b32_e32 v20, v20, v22, vcc
	v_lshlrev_b32_e32 v10, 16, v10
	v_bfrev_b32_e32 v21, 60
	v_lshlrev_b32_e32 v20, 20, v20
	v_and_b32_e32 v10, 0x80000000, v10
	v_lshl_add_u32 v12, v12, 23, v21
	v_or3_b32 v20, v10, v12, v20
.LBB408_632:
	s_or_b64 exec, exec, s[8:9]
.LBB408_633:
	s_or_b64 exec, exec, s[6:7]
.LBB408_634:
	s_or_b64 exec, exec, s[4:5]
	s_movk_i32 s3, 0xff
	v_and_b32_sdwa v12, v7, s3 dst_sel:DWORD dst_unused:UNUSED_PAD src0_sel:WORD_1 src1_sel:DWORD
	v_lshrrev_b32_e32 v10, 16, v7
	v_cmp_ne_u16_e32 vcc, 0, v12
	s_and_saveexec_b64 s[4:5], vcc
	s_cbranch_execz .LBB408_640
; %bb.635:
	s_movk_i32 s3, 0x80
	v_cmp_ne_u16_e32 vcc, s3, v12
	v_bfrev_b32_e32 v19, 1
	s_and_saveexec_b64 s[6:7], vcc
	s_cbranch_execz .LBB408_639
; %bb.636:
	v_bfe_u32 v12, v7, 16, 7
	s_movk_i32 s3, 0x7f
	v_cmp_ne_u32_e32 vcc, s3, v12
	v_mov_b32_e32 v19, 0x7f800001
	s_and_saveexec_b64 s[8:9], vcc
	s_cbranch_execz .LBB408_638
; %bb.637:
	v_and_b32_e32 v19, 7, v10
	v_ffbh_u32_e32 v22, v19
	v_min_u32_e32 v24, 32, v22
	v_subrev_u32_e32 v22, 28, v24
	v_lshlrev_b64 v[22:23], v22, v[10:11]
	v_and_b32_e32 v22, 7, v22
	v_cmp_gt_u32_e32 vcc, 8, v12
	v_lshrrev_b32_e32 v21, 3, v12
	v_sub_u32_e32 v10, 29, v24
	v_cndmask_b32_e32 v12, v19, v22, vcc
	v_mov_b32_e32 v19, 24
	v_cndmask_b32_e32 v10, v21, v10, vcc
	v_lshlrev_b32_sdwa v19, v19, v7 dst_sel:DWORD dst_unused:UNUSED_PAD src0_sel:DWORD src1_sel:WORD_1
	v_bfrev_b32_e32 v21, 60
	v_lshlrev_b32_e32 v12, 20, v12
	v_and_b32_e32 v19, 0x80000000, v19
	v_lshl_add_u32 v10, v10, 23, v21
	v_or3_b32 v19, v19, v10, v12
.LBB408_638:
	s_or_b64 exec, exec, s[8:9]
.LBB408_639:
	s_or_b64 exec, exec, s[6:7]
.LBB408_640:
	s_or_b64 exec, exec, s[4:5]
	s_mov_b32 s4, -1
	s_mov_b32 s5, 0xffffff
	v_cmp_lt_u64_e32 vcc, s[4:5], v[6:7]
	v_mov_b32_e32 v12, 0
	v_mov_b32_e32 v10, 0
	s_and_saveexec_b64 s[4:5], vcc
	s_cbranch_execz .LBB408_646
; %bb.641:
	v_lshrrev_b32_e32 v6, 24, v7
	s_movk_i32 s3, 0x80
	v_cmp_ne_u32_e32 vcc, s3, v6
	v_bfrev_b32_e32 v10, 1
	s_and_saveexec_b64 s[6:7], vcc
	s_cbranch_execz .LBB408_645
; %bb.642:
	v_bfe_u32 v7, v7, 24, 7
	s_movk_i32 s3, 0x7f
	v_cmp_ne_u32_e32 vcc, s3, v7
	v_mov_b32_e32 v10, 0x7f800001
	s_and_saveexec_b64 s[8:9], vcc
	s_cbranch_execz .LBB408_644
; %bb.643:
	v_and_b32_e32 v10, 7, v6
	v_ffbh_u32_e32 v22, v10
	v_min_u32_e32 v24, 32, v22
	v_subrev_u32_e32 v22, 28, v24
	v_lshlrev_b64 v[22:23], v22, v[6:7]
	v_lshrrev_b32_e32 v21, 3, v7
	v_sub_u32_e32 v23, 29, v24
	v_and_b32_e32 v22, 7, v22
	v_cmp_gt_u32_e32 vcc, 8, v7
	v_cndmask_b32_e32 v7, v21, v23, vcc
	v_cndmask_b32_e32 v10, v10, v22, vcc
	v_lshlrev_b32_e32 v6, 24, v6
	v_bfrev_b32_e32 v21, 60
	v_lshlrev_b32_e32 v10, 20, v10
	v_and_b32_e32 v6, 0x80000000, v6
	v_lshl_add_u32 v7, v7, 23, v21
	v_or3_b32 v10, v6, v7, v10
.LBB408_644:
	s_or_b64 exec, exec, s[8:9]
.LBB408_645:
	s_or_b64 exec, exec, s[6:7]
.LBB408_646:
	s_or_b64 exec, exec, s[4:5]
	v_cvt_pkrtz_f16_f32 v6, v16, v17
	v_cvt_pkrtz_f16_f32 v7, v13, v18
	;; [unrolled: 1-line block ×4, first 2 shown]
	v_mfma_f32_4x4x4f16 a[0:3], v[14:15], v[6:7], a[0:3] cbsz:4 abid:8
	v_cmp_ne_u16_sdwa s[6:7], v8, v12 src0_sel:BYTE_0 src1_sel:DWORD
	v_mfma_f32_4x4x4f16 a[0:3], v[14:15], v[16:17], a[0:3] cbsz:4 abid:9
	s_and_saveexec_b64 s[4:5], s[6:7]
	s_cbranch_execz .LBB408_652
; %bb.647:
	s_movk_i32 s3, 0x80
	v_cmp_ne_u16_sdwa s[8:9], v8, s3 src0_sel:BYTE_0 src1_sel:DWORD
	v_bfrev_b32_e32 v12, 1
	s_and_saveexec_b64 s[6:7], s[8:9]
	s_cbranch_execz .LBB408_651
; %bb.648:
	s_movk_i32 s3, 0x7f
	v_and_b32_e32 v6, 0x7f, v8
	v_cmp_ne_u32_e32 vcc, s3, v6
	v_mov_b32_e32 v12, 0x7f800001
	s_and_saveexec_b64 s[8:9], vcc
	s_cbranch_execz .LBB408_650
; %bb.649:
	v_and_b32_e32 v7, 7, v8
	v_ffbh_u32_e32 v7, v7
	v_min_u32_e32 v7, 32, v7
	v_subrev_u32_e32 v11, 28, v7
	v_cmp_gt_u32_e32 vcc, 8, v6
	v_lshrrev_b32_e32 v10, 3, v6
	v_sub_u32_e32 v7, 29, v7
	v_cndmask_b32_e32 v6, 0, v11, vcc
	v_cndmask_b32_e32 v10, v10, v7, vcc
	v_lshlrev_b64 v[6:7], v6, v[8:9]
	v_lshlrev_b32_e32 v6, 20, v6
	v_lshlrev_b32_e32 v7, 24, v8
	v_bfrev_b32_e32 v11, 60
	v_and_b32_e32 v6, 0x700000, v6
	v_and_b32_e32 v7, 0x80000000, v7
	v_lshl_add_u32 v10, v10, 23, v11
	v_or3_b32 v12, v7, v10, v6
.LBB408_650:
	s_or_b64 exec, exec, s[8:9]
.LBB408_651:
	s_or_b64 exec, exec, s[6:7]
.LBB408_652:
	s_or_b64 exec, exec, s[4:5]
	v_lshrrev_b16_e32 v6, 8, v8
	v_cmp_ne_u16_e32 vcc, 0, v6
	v_mov_b32_e32 v11, 0
	v_mov_b32_e32 v13, 0
	s_and_saveexec_b64 s[4:5], vcc
	s_cbranch_execz .LBB408_658
; %bb.653:
	s_movk_i32 s3, 0x80
	v_cmp_ne_u16_e32 vcc, s3, v6
	v_bfrev_b32_e32 v13, 1
	s_and_saveexec_b64 s[6:7], vcc
	s_cbranch_execz .LBB408_657
; %bb.654:
	s_movk_i32 s3, 0x7f
	v_and_b32_e32 v7, 0x7f, v6
	v_cmp_ne_u32_e32 vcc, s3, v7
	v_mov_b32_e32 v13, 0x7f800001
	s_and_saveexec_b64 s[8:9], vcc
	s_cbranch_execz .LBB408_656
; %bb.655:
	v_and_b32_e32 v10, 7, v6
	v_ffbh_u32_e32 v16, v10
	v_min_u32_e32 v18, 32, v16
	v_subrev_u32_e32 v16, 28, v18
	v_lshlrev_b64 v[16:17], v16, v[6:7]
	v_lshrrev_b32_e32 v13, 3, v7
	v_sub_u32_e32 v6, 29, v18
	v_and_b32_e32 v16, 7, v16
	v_cmp_gt_u32_e32 vcc, 8, v7
	v_cndmask_b32_e32 v6, v13, v6, vcc
	v_cndmask_b32_e32 v7, v10, v16, vcc
	v_lshlrev_b32_e32 v10, 16, v8
	v_bfrev_b32_e32 v13, 60
	v_lshlrev_b32_e32 v7, 20, v7
	v_and_b32_e32 v10, 0x80000000, v10
	v_lshl_add_u32 v6, v6, 23, v13
	v_or3_b32 v13, v10, v6, v7
.LBB408_656:
	s_or_b64 exec, exec, s[8:9]
.LBB408_657:
	s_or_b64 exec, exec, s[6:7]
.LBB408_658:
	s_or_b64 exec, exec, s[4:5]
	s_movk_i32 s3, 0xff
	v_and_b32_sdwa v7, v8, s3 dst_sel:DWORD dst_unused:UNUSED_PAD src0_sel:WORD_1 src1_sel:DWORD
	v_lshrrev_b32_e32 v6, 16, v8
	v_cmp_ne_u16_e32 vcc, 0, v7
	s_and_saveexec_b64 s[4:5], vcc
	s_cbranch_execz .LBB408_664
; %bb.659:
	s_movk_i32 s3, 0x80
	v_cmp_ne_u16_e32 vcc, s3, v7
	v_bfrev_b32_e32 v11, 1
	s_and_saveexec_b64 s[6:7], vcc
	s_cbranch_execz .LBB408_663
; %bb.660:
	v_bfe_u32 v7, v8, 16, 7
	s_movk_i32 s3, 0x7f
	v_cmp_ne_u32_e32 vcc, s3, v7
	v_mov_b32_e32 v11, 0x7f800001
	s_and_saveexec_b64 s[8:9], vcc
	s_cbranch_execz .LBB408_662
; %bb.661:
	v_and_b32_e32 v16, 7, v6
	v_ffbh_u32_e32 v10, v16
	v_min_u32_e32 v18, 32, v10
	v_subrev_u32_e32 v10, 28, v18
	v_lshlrev_b64 v[10:11], v10, v[6:7]
	v_and_b32_e32 v10, 7, v10
	v_cmp_gt_u32_e32 vcc, 8, v7
	v_lshrrev_b32_e32 v17, 3, v7
	v_sub_u32_e32 v6, 29, v18
	v_cndmask_b32_e32 v7, v16, v10, vcc
	v_mov_b32_e32 v10, 24
	v_cndmask_b32_e32 v6, v17, v6, vcc
	v_lshlrev_b32_sdwa v10, v10, v8 dst_sel:DWORD dst_unused:UNUSED_PAD src0_sel:DWORD src1_sel:WORD_1
	v_bfrev_b32_e32 v11, 60
	v_lshlrev_b32_e32 v7, 20, v7
	v_and_b32_e32 v10, 0x80000000, v10
	v_lshl_add_u32 v6, v6, 23, v11
	v_or3_b32 v11, v10, v6, v7
.LBB408_662:
	s_or_b64 exec, exec, s[8:9]
.LBB408_663:
	s_or_b64 exec, exec, s[6:7]
.LBB408_664:
	s_or_b64 exec, exec, s[4:5]
	s_mov_b32 s3, 0xffffff
	v_cmp_lt_u32_e32 vcc, s3, v8
	v_mov_b32_e32 v7, 0
	v_mov_b32_e32 v16, 0
	s_and_saveexec_b64 s[4:5], vcc
	s_cbranch_execz .LBB408_670
; %bb.665:
	v_lshrrev_b32_e32 v6, 24, v8
	s_movk_i32 s3, 0x80
	v_cmp_ne_u32_e32 vcc, s3, v6
	v_bfrev_b32_e32 v16, 1
	s_and_saveexec_b64 s[6:7], vcc
	s_cbranch_execz .LBB408_669
; %bb.666:
	v_bfe_u32 v10, v8, 24, 7
	s_movk_i32 s3, 0x7f
	v_cmp_ne_u32_e32 vcc, s3, v10
	v_mov_b32_e32 v16, 0x7f800001
	s_and_saveexec_b64 s[8:9], vcc
	s_cbranch_execz .LBB408_668
; %bb.667:
	v_and_b32_e32 v18, 7, v6
	v_ffbh_u32_e32 v16, v18
	v_min_u32_e32 v20, 32, v16
	v_subrev_u32_e32 v16, 28, v20
	v_lshlrev_b64 v[16:17], v16, v[6:7]
	v_lshrrev_b32_e32 v19, 3, v10
	v_sub_u32_e32 v17, 29, v20
	v_and_b32_e32 v16, 7, v16
	v_cmp_gt_u32_e32 vcc, 8, v10
	v_cndmask_b32_e32 v10, v19, v17, vcc
	v_cndmask_b32_e32 v16, v18, v16, vcc
	v_lshlrev_b32_e32 v6, 24, v6
	v_bfrev_b32_e32 v17, 60
	v_lshlrev_b32_e32 v16, 20, v16
	v_and_b32_e32 v6, 0x80000000, v6
	v_lshl_add_u32 v10, v10, 23, v17
	v_or3_b32 v16, v6, v10, v16
.LBB408_668:
	s_or_b64 exec, exec, s[8:9]
.LBB408_669:
	s_or_b64 exec, exec, s[6:7]
.LBB408_670:
	s_or_b64 exec, exec, s[4:5]
	v_mov_b32_e32 v6, v9
	v_cmp_ne_u16_sdwa s[6:7], v9, v7 src0_sel:BYTE_0 src1_sel:DWORD
	s_and_saveexec_b64 s[4:5], s[6:7]
	s_cbranch_execz .LBB408_676
; %bb.671:
	s_movk_i32 s3, 0x80
	v_cmp_ne_u16_sdwa s[8:9], v9, s3 src0_sel:BYTE_0 src1_sel:DWORD
	v_bfrev_b32_e32 v10, 1
	s_and_saveexec_b64 s[6:7], s[8:9]
	s_cbranch_execz .LBB408_675
; %bb.672:
	s_movk_i32 s3, 0x7f
	v_and_b32_e32 v17, 0x7f, v9
	v_cmp_ne_u32_e32 vcc, s3, v17
	v_mov_b32_e32 v10, 0x7f800001
	s_and_saveexec_b64 s[8:9], vcc
	s_cbranch_execz .LBB408_674
; %bb.673:
	v_and_b32_e32 v10, 7, v9
	v_ffbh_u32_e32 v10, v10
	v_min_u32_e32 v10, 32, v10
	v_subrev_u32_e32 v19, 28, v10
	v_cmp_gt_u32_e32 vcc, 8, v17
	v_lshrrev_b32_e32 v18, 3, v17
	v_sub_u32_e32 v10, 29, v10
	v_cndmask_b32_e32 v17, 0, v19, vcc
	v_cndmask_b32_e32 v10, v18, v10, vcc
	v_lshlrev_b64 v[18:19], v17, v[6:7]
	v_lshlrev_b32_e32 v7, 20, v18
	v_lshlrev_b32_e32 v17, 24, v6
	v_bfrev_b32_e32 v18, 60
	v_and_b32_e32 v7, 0x700000, v7
	v_and_b32_e32 v17, 0x80000000, v17
	v_lshl_add_u32 v10, v10, 23, v18
	v_or3_b32 v10, v17, v10, v7
.LBB408_674:
	s_or_b64 exec, exec, s[8:9]
.LBB408_675:
	s_or_b64 exec, exec, s[6:7]
	v_mov_b32_e32 v7, v10
.LBB408_676:
	s_or_b64 exec, exec, s[4:5]
	v_lshrrev_b16_e32 v10, 8, v6
	v_cmp_ne_u16_e32 vcc, 0, v10
	v_mov_b32_e32 v17, 0
	v_mov_b32_e32 v18, 0
	s_and_saveexec_b64 s[4:5], vcc
	s_cbranch_execz .LBB408_682
; %bb.677:
	s_movk_i32 s3, 0x80
	v_cmp_ne_u16_e32 vcc, s3, v10
	v_bfrev_b32_e32 v18, 1
	s_and_saveexec_b64 s[6:7], vcc
	s_cbranch_execz .LBB408_681
; %bb.678:
	s_movk_i32 s3, 0x7f
	v_and_b32_e32 v19, 0x7f, v10
	v_cmp_ne_u32_e32 vcc, s3, v19
	v_mov_b32_e32 v18, 0x7f800001
	s_and_saveexec_b64 s[8:9], vcc
	s_cbranch_execz .LBB408_680
; %bb.679:
	v_and_b32_e32 v18, 7, v10
	v_ffbh_u32_e32 v20, v18
	v_min_u32_e32 v23, 32, v20
	v_subrev_u32_e32 v20, 28, v23
	v_lshlrev_b64 v[20:21], v20, v[10:11]
	v_lshrrev_b32_e32 v22, 3, v19
	v_sub_u32_e32 v10, 29, v23
	v_and_b32_e32 v20, 7, v20
	v_cmp_gt_u32_e32 vcc, 8, v19
	v_cndmask_b32_e32 v10, v22, v10, vcc
	v_cndmask_b32_e32 v18, v18, v20, vcc
	v_lshlrev_b32_e32 v6, 16, v6
	v_bfrev_b32_e32 v19, 60
	v_lshlrev_b32_e32 v18, 20, v18
	v_and_b32_e32 v6, 0x80000000, v6
	v_lshl_add_u32 v10, v10, 23, v19
	v_or3_b32 v18, v6, v10, v18
.LBB408_680:
	s_or_b64 exec, exec, s[8:9]
.LBB408_681:
	s_or_b64 exec, exec, s[6:7]
.LBB408_682:
	s_or_b64 exec, exec, s[4:5]
	s_movk_i32 s3, 0xff
	v_and_b32_sdwa v10, v9, s3 dst_sel:DWORD dst_unused:UNUSED_PAD src0_sel:WORD_1 src1_sel:DWORD
	v_lshrrev_b32_e32 v6, 16, v9
	v_cmp_ne_u16_e32 vcc, 0, v10
	s_and_saveexec_b64 s[4:5], vcc
	s_cbranch_execz .LBB408_688
; %bb.683:
	s_movk_i32 s3, 0x80
	v_cmp_ne_u16_e32 vcc, s3, v10
	v_bfrev_b32_e32 v17, 1
	s_and_saveexec_b64 s[6:7], vcc
	s_cbranch_execz .LBB408_687
; %bb.684:
	v_bfe_u32 v10, v9, 16, 7
	s_movk_i32 s3, 0x7f
	v_cmp_ne_u32_e32 vcc, s3, v10
	v_mov_b32_e32 v17, 0x7f800001
	s_and_saveexec_b64 s[8:9], vcc
	s_cbranch_execz .LBB408_686
; %bb.685:
	v_and_b32_e32 v17, 7, v6
	v_ffbh_u32_e32 v20, v17
	v_min_u32_e32 v22, 32, v20
	v_subrev_u32_e32 v20, 28, v22
	v_lshlrev_b64 v[20:21], v20, v[6:7]
	v_and_b32_e32 v20, 7, v20
	v_cmp_gt_u32_e32 vcc, 8, v10
	v_lshrrev_b32_e32 v19, 3, v10
	v_sub_u32_e32 v6, 29, v22
	v_cndmask_b32_e32 v10, v17, v20, vcc
	v_mov_b32_e32 v17, 24
	v_cndmask_b32_e32 v6, v19, v6, vcc
	v_lshlrev_b32_sdwa v17, v17, v9 dst_sel:DWORD dst_unused:UNUSED_PAD src0_sel:DWORD src1_sel:WORD_1
	v_bfrev_b32_e32 v19, 60
	v_lshlrev_b32_e32 v10, 20, v10
	v_and_b32_e32 v17, 0x80000000, v17
	v_lshl_add_u32 v6, v6, 23, v19
	v_or3_b32 v17, v17, v6, v10
.LBB408_686:
	s_or_b64 exec, exec, s[8:9]
.LBB408_687:
	s_or_b64 exec, exec, s[6:7]
.LBB408_688:
	s_or_b64 exec, exec, s[4:5]
	s_mov_b32 s4, -1
	s_mov_b32 s5, 0xffffff
	v_cmp_lt_u64_e32 vcc, s[4:5], v[8:9]
	v_mov_b32_e32 v10, 0
	v_mov_b32_e32 v8, 0
	s_and_saveexec_b64 s[4:5], vcc
	s_cbranch_execz .LBB408_694
; %bb.689:
	v_lshrrev_b32_e32 v6, 24, v9
	s_movk_i32 s3, 0x80
	v_cmp_ne_u32_e32 vcc, s3, v6
	v_bfrev_b32_e32 v8, 1
	s_and_saveexec_b64 s[6:7], vcc
	s_cbranch_execz .LBB408_693
; %bb.690:
	v_bfe_u32 v9, v9, 24, 7
	s_movk_i32 s3, 0x7f
	v_cmp_ne_u32_e32 vcc, s3, v9
	v_mov_b32_e32 v8, 0x7f800001
	s_and_saveexec_b64 s[8:9], vcc
	s_cbranch_execz .LBB408_692
; %bb.691:
	v_and_b32_e32 v8, 7, v6
	v_ffbh_u32_e32 v20, v8
	v_min_u32_e32 v22, 32, v20
	v_subrev_u32_e32 v20, 28, v22
	v_lshlrev_b64 v[20:21], v20, v[6:7]
	v_lshrrev_b32_e32 v19, 3, v9
	v_sub_u32_e32 v21, 29, v22
	v_and_b32_e32 v20, 7, v20
	v_cmp_gt_u32_e32 vcc, 8, v9
	v_cndmask_b32_e32 v9, v19, v21, vcc
	v_cndmask_b32_e32 v8, v8, v20, vcc
	v_lshlrev_b32_e32 v6, 24, v6
	v_bfrev_b32_e32 v19, 60
	v_lshlrev_b32_e32 v8, 20, v8
	v_and_b32_e32 v6, 0x80000000, v6
	v_lshl_add_u32 v9, v9, 23, v19
	v_or3_b32 v8, v6, v9, v8
.LBB408_692:
	s_or_b64 exec, exec, s[8:9]
.LBB408_693:
	s_or_b64 exec, exec, s[6:7]
.LBB408_694:
	s_or_b64 exec, exec, s[4:5]
	v_cvt_pkrtz_f16_f32 v12, v12, v13
	v_cvt_pkrtz_f16_f32 v13, v11, v16
	;; [unrolled: 1-line block ×4, first 2 shown]
	v_mfma_f32_4x4x4f16 a[0:3], v[14:15], v[12:13], a[0:3] cbsz:4 abid:10
	s_waitcnt vmcnt(0)
	v_cmp_ne_u16_sdwa s[6:7], v2, v10 src0_sel:BYTE_0 src1_sel:DWORD
	v_mfma_f32_4x4x4f16 a[0:3], v[14:15], v[6:7], a[0:3] cbsz:4 abid:11
	s_and_saveexec_b64 s[4:5], s[6:7]
	s_cbranch_execz .LBB408_700
; %bb.695:
	s_movk_i32 s3, 0x80
	v_cmp_ne_u16_sdwa s[8:9], v2, s3 src0_sel:BYTE_0 src1_sel:DWORD
	v_bfrev_b32_e32 v10, 1
	s_and_saveexec_b64 s[6:7], s[8:9]
	s_cbranch_execz .LBB408_699
; %bb.696:
	s_movk_i32 s3, 0x7f
	v_and_b32_e32 v6, 0x7f, v2
	v_cmp_ne_u32_e32 vcc, s3, v6
	v_mov_b32_e32 v10, 0x7f800001
	s_and_saveexec_b64 s[8:9], vcc
	s_cbranch_execz .LBB408_698
; %bb.697:
	v_and_b32_e32 v7, 7, v2
	v_ffbh_u32_e32 v7, v7
	v_min_u32_e32 v7, 32, v7
	v_subrev_u32_e32 v9, 28, v7
	v_cmp_gt_u32_e32 vcc, 8, v6
	v_lshrrev_b32_e32 v8, 3, v6
	v_sub_u32_e32 v7, 29, v7
	v_cndmask_b32_e32 v6, 0, v9, vcc
	v_cndmask_b32_e32 v8, v8, v7, vcc
	v_lshlrev_b64 v[6:7], v6, v[2:3]
	v_lshlrev_b32_e32 v6, 20, v6
	v_lshlrev_b32_e32 v7, 24, v2
	v_bfrev_b32_e32 v9, 60
	v_and_b32_e32 v6, 0x700000, v6
	v_and_b32_e32 v7, 0x80000000, v7
	v_lshl_add_u32 v8, v8, 23, v9
	v_or3_b32 v10, v7, v8, v6
.LBB408_698:
	s_or_b64 exec, exec, s[8:9]
.LBB408_699:
	s_or_b64 exec, exec, s[6:7]
.LBB408_700:
	s_or_b64 exec, exec, s[4:5]
	v_lshrrev_b16_e32 v6, 8, v2
	v_cmp_ne_u16_e32 vcc, 0, v6
	v_mov_b32_e32 v9, 0
	v_mov_b32_e32 v11, 0
	s_and_saveexec_b64 s[4:5], vcc
	s_cbranch_execz .LBB408_706
; %bb.701:
	s_movk_i32 s3, 0x80
	v_cmp_ne_u16_e32 vcc, s3, v6
	v_bfrev_b32_e32 v11, 1
	s_and_saveexec_b64 s[6:7], vcc
	s_cbranch_execz .LBB408_705
; %bb.702:
	s_movk_i32 s3, 0x7f
	v_and_b32_e32 v7, 0x7f, v6
	v_cmp_ne_u32_e32 vcc, s3, v7
	v_mov_b32_e32 v11, 0x7f800001
	s_and_saveexec_b64 s[8:9], vcc
	s_cbranch_execz .LBB408_704
; %bb.703:
	v_and_b32_e32 v8, 7, v6
	v_ffbh_u32_e32 v12, v8
	v_min_u32_e32 v16, 32, v12
	v_subrev_u32_e32 v12, 28, v16
	v_lshlrev_b64 v[12:13], v12, v[6:7]
	v_lshrrev_b32_e32 v11, 3, v7
	v_sub_u32_e32 v6, 29, v16
	v_and_b32_e32 v12, 7, v12
	v_cmp_gt_u32_e32 vcc, 8, v7
	v_cndmask_b32_e32 v6, v11, v6, vcc
	v_cndmask_b32_e32 v7, v8, v12, vcc
	v_lshlrev_b32_e32 v8, 16, v2
	v_bfrev_b32_e32 v11, 60
	v_lshlrev_b32_e32 v7, 20, v7
	v_and_b32_e32 v8, 0x80000000, v8
	v_lshl_add_u32 v6, v6, 23, v11
	v_or3_b32 v11, v8, v6, v7
.LBB408_704:
	s_or_b64 exec, exec, s[8:9]
.LBB408_705:
	s_or_b64 exec, exec, s[6:7]
.LBB408_706:
	s_or_b64 exec, exec, s[4:5]
	s_movk_i32 s3, 0xff
	v_and_b32_sdwa v7, v2, s3 dst_sel:DWORD dst_unused:UNUSED_PAD src0_sel:WORD_1 src1_sel:DWORD
	v_lshrrev_b32_e32 v6, 16, v2
	v_cmp_ne_u16_e32 vcc, 0, v7
	s_and_saveexec_b64 s[4:5], vcc
	s_cbranch_execz .LBB408_712
; %bb.707:
	s_movk_i32 s3, 0x80
	v_cmp_ne_u16_e32 vcc, s3, v7
	v_bfrev_b32_e32 v9, 1
	s_and_saveexec_b64 s[6:7], vcc
	s_cbranch_execz .LBB408_711
; %bb.708:
	v_bfe_u32 v7, v2, 16, 7
	s_movk_i32 s3, 0x7f
	v_cmp_ne_u32_e32 vcc, s3, v7
	v_mov_b32_e32 v9, 0x7f800001
	s_and_saveexec_b64 s[8:9], vcc
	s_cbranch_execz .LBB408_710
; %bb.709:
	v_and_b32_e32 v12, 7, v6
	v_ffbh_u32_e32 v8, v12
	v_min_u32_e32 v16, 32, v8
	v_subrev_u32_e32 v8, 28, v16
	v_lshlrev_b64 v[8:9], v8, v[6:7]
	v_and_b32_e32 v8, 7, v8
	v_cmp_gt_u32_e32 vcc, 8, v7
	v_lshrrev_b32_e32 v13, 3, v7
	v_sub_u32_e32 v6, 29, v16
	v_cndmask_b32_e32 v7, v12, v8, vcc
	v_mov_b32_e32 v8, 24
	v_cndmask_b32_e32 v6, v13, v6, vcc
	v_lshlrev_b32_sdwa v8, v8, v2 dst_sel:DWORD dst_unused:UNUSED_PAD src0_sel:DWORD src1_sel:WORD_1
	v_bfrev_b32_e32 v9, 60
	v_lshlrev_b32_e32 v7, 20, v7
	v_and_b32_e32 v8, 0x80000000, v8
	v_lshl_add_u32 v6, v6, 23, v9
	v_or3_b32 v9, v8, v6, v7
.LBB408_710:
	s_or_b64 exec, exec, s[8:9]
.LBB408_711:
	s_or_b64 exec, exec, s[6:7]
.LBB408_712:
	s_or_b64 exec, exec, s[4:5]
	s_mov_b32 s3, 0xffffff
	v_cmp_lt_u32_e32 vcc, s3, v2
	v_mov_b32_e32 v7, 0
	v_mov_b32_e32 v12, 0
	s_and_saveexec_b64 s[4:5], vcc
	s_cbranch_execz .LBB408_718
; %bb.713:
	v_lshrrev_b32_e32 v6, 24, v2
	s_movk_i32 s3, 0x80
	v_cmp_ne_u32_e32 vcc, s3, v6
	v_bfrev_b32_e32 v12, 1
	s_and_saveexec_b64 s[6:7], vcc
	s_cbranch_execz .LBB408_717
; %bb.714:
	v_bfe_u32 v8, v2, 24, 7
	s_movk_i32 s3, 0x7f
	v_cmp_ne_u32_e32 vcc, s3, v8
	v_mov_b32_e32 v12, 0x7f800001
	s_and_saveexec_b64 s[8:9], vcc
	s_cbranch_execz .LBB408_716
; %bb.715:
	v_and_b32_e32 v16, 7, v6
	v_ffbh_u32_e32 v12, v16
	v_min_u32_e32 v18, 32, v12
	v_subrev_u32_e32 v12, 28, v18
	v_lshlrev_b64 v[12:13], v12, v[6:7]
	v_lshrrev_b32_e32 v17, 3, v8
	v_sub_u32_e32 v13, 29, v18
	v_and_b32_e32 v12, 7, v12
	v_cmp_gt_u32_e32 vcc, 8, v8
	v_cndmask_b32_e32 v8, v17, v13, vcc
	v_cndmask_b32_e32 v12, v16, v12, vcc
	v_lshlrev_b32_e32 v6, 24, v6
	v_bfrev_b32_e32 v13, 60
	v_lshlrev_b32_e32 v12, 20, v12
	v_and_b32_e32 v6, 0x80000000, v6
	v_lshl_add_u32 v8, v8, 23, v13
	v_or3_b32 v12, v6, v8, v12
.LBB408_716:
	s_or_b64 exec, exec, s[8:9]
.LBB408_717:
	s_or_b64 exec, exec, s[6:7]
.LBB408_718:
	s_or_b64 exec, exec, s[4:5]
	v_mov_b32_e32 v6, v3
	v_cmp_ne_u16_sdwa s[6:7], v3, v7 src0_sel:BYTE_0 src1_sel:DWORD
	s_and_saveexec_b64 s[4:5], s[6:7]
	s_cbranch_execz .LBB408_724
; %bb.719:
	s_movk_i32 s3, 0x80
	v_cmp_ne_u16_sdwa s[8:9], v3, s3 src0_sel:BYTE_0 src1_sel:DWORD
	v_bfrev_b32_e32 v8, 1
	s_and_saveexec_b64 s[6:7], s[8:9]
	s_cbranch_execz .LBB408_723
; %bb.720:
	s_movk_i32 s3, 0x7f
	v_and_b32_e32 v13, 0x7f, v3
	v_cmp_ne_u32_e32 vcc, s3, v13
	v_mov_b32_e32 v8, 0x7f800001
	s_and_saveexec_b64 s[8:9], vcc
	s_cbranch_execz .LBB408_722
; %bb.721:
	v_and_b32_e32 v8, 7, v3
	v_ffbh_u32_e32 v8, v8
	v_min_u32_e32 v8, 32, v8
	v_subrev_u32_e32 v17, 28, v8
	v_cmp_gt_u32_e32 vcc, 8, v13
	v_lshrrev_b32_e32 v16, 3, v13
	v_sub_u32_e32 v8, 29, v8
	v_cndmask_b32_e32 v13, 0, v17, vcc
	v_cndmask_b32_e32 v8, v16, v8, vcc
	v_lshlrev_b64 v[16:17], v13, v[6:7]
	v_lshlrev_b32_e32 v7, 20, v16
	v_lshlrev_b32_e32 v13, 24, v6
	v_bfrev_b32_e32 v16, 60
	v_and_b32_e32 v7, 0x700000, v7
	v_and_b32_e32 v13, 0x80000000, v13
	v_lshl_add_u32 v8, v8, 23, v16
	v_or3_b32 v8, v13, v8, v7
.LBB408_722:
	s_or_b64 exec, exec, s[8:9]
.LBB408_723:
	s_or_b64 exec, exec, s[6:7]
	v_mov_b32_e32 v7, v8
.LBB408_724:
	s_or_b64 exec, exec, s[4:5]
	v_lshrrev_b16_e32 v8, 8, v6
	v_cmp_ne_u16_e32 vcc, 0, v8
	v_mov_b32_e32 v13, 0
	v_mov_b32_e32 v16, 0
	s_and_saveexec_b64 s[4:5], vcc
	s_cbranch_execz .LBB408_730
; %bb.725:
	s_movk_i32 s3, 0x80
	v_cmp_ne_u16_e32 vcc, s3, v8
	v_bfrev_b32_e32 v16, 1
	s_and_saveexec_b64 s[6:7], vcc
	s_cbranch_execz .LBB408_729
; %bb.726:
	s_movk_i32 s3, 0x7f
	v_and_b32_e32 v17, 0x7f, v8
	v_cmp_ne_u32_e32 vcc, s3, v17
	v_mov_b32_e32 v16, 0x7f800001
	s_and_saveexec_b64 s[8:9], vcc
	s_cbranch_execz .LBB408_728
; %bb.727:
	v_and_b32_e32 v16, 7, v8
	v_ffbh_u32_e32 v18, v16
	v_min_u32_e32 v21, 32, v18
	v_subrev_u32_e32 v18, 28, v21
	v_lshlrev_b64 v[18:19], v18, v[8:9]
	v_lshrrev_b32_e32 v20, 3, v17
	v_sub_u32_e32 v8, 29, v21
	v_and_b32_e32 v18, 7, v18
	v_cmp_gt_u32_e32 vcc, 8, v17
	v_cndmask_b32_e32 v8, v20, v8, vcc
	v_cndmask_b32_e32 v16, v16, v18, vcc
	v_lshlrev_b32_e32 v6, 16, v6
	v_bfrev_b32_e32 v17, 60
	v_lshlrev_b32_e32 v16, 20, v16
	v_and_b32_e32 v6, 0x80000000, v6
	v_lshl_add_u32 v8, v8, 23, v17
	v_or3_b32 v16, v6, v8, v16
.LBB408_728:
	s_or_b64 exec, exec, s[8:9]
.LBB408_729:
	s_or_b64 exec, exec, s[6:7]
.LBB408_730:
	s_or_b64 exec, exec, s[4:5]
	s_movk_i32 s3, 0xff
	v_and_b32_sdwa v8, v3, s3 dst_sel:DWORD dst_unused:UNUSED_PAD src0_sel:WORD_1 src1_sel:DWORD
	v_lshrrev_b32_e32 v6, 16, v3
	v_cmp_ne_u16_e32 vcc, 0, v8
	s_and_saveexec_b64 s[4:5], vcc
	s_cbranch_execz .LBB408_736
; %bb.731:
	s_movk_i32 s3, 0x80
	v_cmp_ne_u16_e32 vcc, s3, v8
	v_bfrev_b32_e32 v13, 1
	s_and_saveexec_b64 s[6:7], vcc
	s_cbranch_execz .LBB408_735
; %bb.732:
	v_bfe_u32 v8, v3, 16, 7
	s_movk_i32 s3, 0x7f
	v_cmp_ne_u32_e32 vcc, s3, v8
	v_mov_b32_e32 v13, 0x7f800001
	s_and_saveexec_b64 s[8:9], vcc
	s_cbranch_execz .LBB408_734
; %bb.733:
	v_and_b32_e32 v13, 7, v6
	v_ffbh_u32_e32 v18, v13
	v_min_u32_e32 v20, 32, v18
	v_subrev_u32_e32 v18, 28, v20
	v_lshlrev_b64 v[18:19], v18, v[6:7]
	v_and_b32_e32 v18, 7, v18
	v_cmp_gt_u32_e32 vcc, 8, v8
	v_lshrrev_b32_e32 v17, 3, v8
	v_sub_u32_e32 v6, 29, v20
	v_cndmask_b32_e32 v8, v13, v18, vcc
	v_mov_b32_e32 v13, 24
	v_cndmask_b32_e32 v6, v17, v6, vcc
	v_lshlrev_b32_sdwa v13, v13, v3 dst_sel:DWORD dst_unused:UNUSED_PAD src0_sel:DWORD src1_sel:WORD_1
	v_bfrev_b32_e32 v17, 60
	v_lshlrev_b32_e32 v8, 20, v8
	v_and_b32_e32 v13, 0x80000000, v13
	v_lshl_add_u32 v6, v6, 23, v17
	v_or3_b32 v13, v13, v6, v8
.LBB408_734:
	s_or_b64 exec, exec, s[8:9]
.LBB408_735:
	s_or_b64 exec, exec, s[6:7]
.LBB408_736:
	s_or_b64 exec, exec, s[4:5]
	s_mov_b32 s4, -1
	s_mov_b32 s5, 0xffffff
	v_cmp_lt_u64_e32 vcc, s[4:5], v[2:3]
	v_mov_b32_e32 v8, 0
	v_mov_b32_e32 v6, 0
	s_and_saveexec_b64 s[4:5], vcc
	s_cbranch_execz .LBB408_742
; %bb.737:
	v_lshrrev_b32_e32 v2, 24, v3
	s_movk_i32 s3, 0x80
	v_cmp_ne_u32_e32 vcc, s3, v2
	v_bfrev_b32_e32 v6, 1
	s_and_saveexec_b64 s[6:7], vcc
	s_cbranch_execz .LBB408_741
; %bb.738:
	v_bfe_u32 v3, v3, 24, 7
	s_movk_i32 s3, 0x7f
	v_cmp_ne_u32_e32 vcc, s3, v3
	v_mov_b32_e32 v6, 0x7f800001
	s_and_saveexec_b64 s[8:9], vcc
	s_cbranch_execz .LBB408_740
; %bb.739:
	v_and_b32_e32 v6, 7, v2
	v_ffbh_u32_e32 v18, v6
	v_min_u32_e32 v20, 32, v18
	v_subrev_u32_e32 v18, 28, v20
	v_lshlrev_b64 v[18:19], v18, v[2:3]
	v_lshrrev_b32_e32 v17, 3, v3
	v_sub_u32_e32 v19, 29, v20
	v_and_b32_e32 v18, 7, v18
	v_cmp_gt_u32_e32 vcc, 8, v3
	v_cndmask_b32_e32 v3, v17, v19, vcc
	v_cndmask_b32_e32 v6, v6, v18, vcc
	v_lshlrev_b32_e32 v2, 24, v2
	v_bfrev_b32_e32 v17, 60
	v_lshlrev_b32_e32 v6, 20, v6
	v_and_b32_e32 v2, 0x80000000, v2
	v_lshl_add_u32 v3, v3, 23, v17
	v_or3_b32 v6, v2, v3, v6
.LBB408_740:
	s_or_b64 exec, exec, s[8:9]
.LBB408_741:
	s_or_b64 exec, exec, s[6:7]
.LBB408_742:
	s_or_b64 exec, exec, s[4:5]
	v_cvt_pkrtz_f16_f32 v2, v10, v11
	v_cvt_pkrtz_f16_f32 v3, v9, v12
	;; [unrolled: 1-line block ×4, first 2 shown]
	v_mfma_f32_4x4x4f16 a[0:3], v[14:15], v[2:3], a[0:3] cbsz:4 abid:12
	v_cmp_ne_u16_sdwa s[6:7], v4, v8 src0_sel:BYTE_0 src1_sel:DWORD
	v_mfma_f32_4x4x4f16 a[0:3], v[14:15], v[10:11], a[0:3] cbsz:4 abid:13
	s_and_saveexec_b64 s[4:5], s[6:7]
	s_cbranch_execz .LBB408_748
; %bb.743:
	s_movk_i32 s3, 0x80
	v_cmp_ne_u16_sdwa s[8:9], v4, s3 src0_sel:BYTE_0 src1_sel:DWORD
	v_bfrev_b32_e32 v8, 1
	s_and_saveexec_b64 s[6:7], s[8:9]
	s_cbranch_execz .LBB408_747
; %bb.744:
	s_movk_i32 s3, 0x7f
	v_and_b32_e32 v2, 0x7f, v4
	v_cmp_ne_u32_e32 vcc, s3, v2
	v_mov_b32_e32 v8, 0x7f800001
	s_and_saveexec_b64 s[8:9], vcc
	s_cbranch_execz .LBB408_746
; %bb.745:
	v_and_b32_e32 v3, 7, v4
	v_ffbh_u32_e32 v3, v3
	v_min_u32_e32 v3, 32, v3
	v_subrev_u32_e32 v7, 28, v3
	v_cmp_gt_u32_e32 vcc, 8, v2
	v_lshrrev_b32_e32 v6, 3, v2
	v_sub_u32_e32 v3, 29, v3
	v_cndmask_b32_e32 v2, 0, v7, vcc
	v_cndmask_b32_e32 v6, v6, v3, vcc
	v_lshlrev_b64 v[2:3], v2, v[4:5]
	v_lshlrev_b32_e32 v2, 20, v2
	v_lshlrev_b32_e32 v3, 24, v4
	v_bfrev_b32_e32 v7, 60
	v_and_b32_e32 v2, 0x700000, v2
	v_and_b32_e32 v3, 0x80000000, v3
	v_lshl_add_u32 v6, v6, 23, v7
	v_or3_b32 v8, v3, v6, v2
.LBB408_746:
	s_or_b64 exec, exec, s[8:9]
.LBB408_747:
	s_or_b64 exec, exec, s[6:7]
.LBB408_748:
	s_or_b64 exec, exec, s[4:5]
	v_lshrrev_b16_e32 v2, 8, v4
	v_cmp_ne_u16_e32 vcc, 0, v2
	v_mov_b32_e32 v7, 0
	v_mov_b32_e32 v9, 0
	s_and_saveexec_b64 s[4:5], vcc
	s_cbranch_execz .LBB408_754
; %bb.749:
	s_movk_i32 s3, 0x80
	v_cmp_ne_u16_e32 vcc, s3, v2
	v_bfrev_b32_e32 v9, 1
	s_and_saveexec_b64 s[6:7], vcc
	s_cbranch_execz .LBB408_753
; %bb.750:
	s_movk_i32 s3, 0x7f
	v_and_b32_e32 v3, 0x7f, v2
	v_cmp_ne_u32_e32 vcc, s3, v3
	v_mov_b32_e32 v9, 0x7f800001
	s_and_saveexec_b64 s[8:9], vcc
	s_cbranch_execz .LBB408_752
; %bb.751:
	v_and_b32_e32 v6, 7, v2
	v_ffbh_u32_e32 v10, v6
	v_min_u32_e32 v12, 32, v10
	v_subrev_u32_e32 v10, 28, v12
	v_lshlrev_b64 v[10:11], v10, v[2:3]
	v_lshrrev_b32_e32 v9, 3, v3
	v_sub_u32_e32 v2, 29, v12
	v_and_b32_e32 v10, 7, v10
	v_cmp_gt_u32_e32 vcc, 8, v3
	v_cndmask_b32_e32 v2, v9, v2, vcc
	v_cndmask_b32_e32 v3, v6, v10, vcc
	v_lshlrev_b32_e32 v6, 16, v4
	v_bfrev_b32_e32 v9, 60
	v_lshlrev_b32_e32 v3, 20, v3
	v_and_b32_e32 v6, 0x80000000, v6
	v_lshl_add_u32 v2, v2, 23, v9
	v_or3_b32 v9, v6, v2, v3
.LBB408_752:
	s_or_b64 exec, exec, s[8:9]
.LBB408_753:
	s_or_b64 exec, exec, s[6:7]
.LBB408_754:
	s_or_b64 exec, exec, s[4:5]
	s_movk_i32 s3, 0xff
	v_and_b32_sdwa v3, v4, s3 dst_sel:DWORD dst_unused:UNUSED_PAD src0_sel:WORD_1 src1_sel:DWORD
	v_lshrrev_b32_e32 v2, 16, v4
	v_cmp_ne_u16_e32 vcc, 0, v3
	s_and_saveexec_b64 s[4:5], vcc
	s_cbranch_execz .LBB408_760
; %bb.755:
	s_movk_i32 s3, 0x80
	v_cmp_ne_u16_e32 vcc, s3, v3
	v_bfrev_b32_e32 v7, 1
	s_and_saveexec_b64 s[6:7], vcc
	s_cbranch_execz .LBB408_759
; %bb.756:
	v_bfe_u32 v3, v4, 16, 7
	s_movk_i32 s3, 0x7f
	v_cmp_ne_u32_e32 vcc, s3, v3
	v_mov_b32_e32 v7, 0x7f800001
	s_and_saveexec_b64 s[8:9], vcc
	s_cbranch_execz .LBB408_758
; %bb.757:
	v_and_b32_e32 v10, 7, v2
	v_ffbh_u32_e32 v6, v10
	v_min_u32_e32 v12, 32, v6
	v_subrev_u32_e32 v6, 28, v12
	v_lshlrev_b64 v[6:7], v6, v[2:3]
	v_and_b32_e32 v6, 7, v6
	v_cmp_gt_u32_e32 vcc, 8, v3
	v_lshrrev_b32_e32 v11, 3, v3
	v_sub_u32_e32 v2, 29, v12
	v_cndmask_b32_e32 v3, v10, v6, vcc
	v_mov_b32_e32 v6, 24
	v_cndmask_b32_e32 v2, v11, v2, vcc
	v_lshlrev_b32_sdwa v6, v6, v4 dst_sel:DWORD dst_unused:UNUSED_PAD src0_sel:DWORD src1_sel:WORD_1
	v_bfrev_b32_e32 v7, 60
	v_lshlrev_b32_e32 v3, 20, v3
	v_and_b32_e32 v6, 0x80000000, v6
	v_lshl_add_u32 v2, v2, 23, v7
	v_or3_b32 v7, v6, v2, v3
.LBB408_758:
	s_or_b64 exec, exec, s[8:9]
.LBB408_759:
	s_or_b64 exec, exec, s[6:7]
.LBB408_760:
	s_or_b64 exec, exec, s[4:5]
	s_mov_b32 s3, 0xffffff
	v_cmp_lt_u32_e32 vcc, s3, v4
	v_mov_b32_e32 v3, 0
	v_mov_b32_e32 v10, 0
	s_and_saveexec_b64 s[4:5], vcc
	s_cbranch_execz .LBB408_766
; %bb.761:
	v_lshrrev_b32_e32 v2, 24, v4
	s_movk_i32 s3, 0x80
	v_cmp_ne_u32_e32 vcc, s3, v2
	v_bfrev_b32_e32 v10, 1
	s_and_saveexec_b64 s[6:7], vcc
	s_cbranch_execz .LBB408_765
; %bb.762:
	v_bfe_u32 v6, v4, 24, 7
	s_movk_i32 s3, 0x7f
	v_cmp_ne_u32_e32 vcc, s3, v6
	v_mov_b32_e32 v10, 0x7f800001
	s_and_saveexec_b64 s[8:9], vcc
	s_cbranch_execz .LBB408_764
; %bb.763:
	v_and_b32_e32 v12, 7, v2
	v_ffbh_u32_e32 v10, v12
	v_min_u32_e32 v16, 32, v10
	v_subrev_u32_e32 v10, 28, v16
	v_lshlrev_b64 v[10:11], v10, v[2:3]
	v_lshrrev_b32_e32 v13, 3, v6
	v_sub_u32_e32 v11, 29, v16
	v_and_b32_e32 v10, 7, v10
	v_cmp_gt_u32_e32 vcc, 8, v6
	v_cndmask_b32_e32 v6, v13, v11, vcc
	v_cndmask_b32_e32 v10, v12, v10, vcc
	v_lshlrev_b32_e32 v2, 24, v2
	v_bfrev_b32_e32 v11, 60
	v_lshlrev_b32_e32 v10, 20, v10
	v_and_b32_e32 v2, 0x80000000, v2
	v_lshl_add_u32 v6, v6, 23, v11
	v_or3_b32 v10, v2, v6, v10
.LBB408_764:
	s_or_b64 exec, exec, s[8:9]
.LBB408_765:
	s_or_b64 exec, exec, s[6:7]
.LBB408_766:
	s_or_b64 exec, exec, s[4:5]
	v_mov_b32_e32 v2, v5
	v_cmp_ne_u16_sdwa s[6:7], v5, v3 src0_sel:BYTE_0 src1_sel:DWORD
	s_and_saveexec_b64 s[4:5], s[6:7]
	s_cbranch_execz .LBB408_772
; %bb.767:
	s_movk_i32 s3, 0x80
	v_cmp_ne_u16_sdwa s[8:9], v5, s3 src0_sel:BYTE_0 src1_sel:DWORD
	v_bfrev_b32_e32 v6, 1
	s_and_saveexec_b64 s[6:7], s[8:9]
	s_cbranch_execz .LBB408_771
; %bb.768:
	s_movk_i32 s3, 0x7f
	v_and_b32_e32 v11, 0x7f, v5
	v_cmp_ne_u32_e32 vcc, s3, v11
	v_mov_b32_e32 v6, 0x7f800001
	s_and_saveexec_b64 s[8:9], vcc
	s_cbranch_execz .LBB408_770
; %bb.769:
	v_and_b32_e32 v6, 7, v5
	v_ffbh_u32_e32 v6, v6
	v_min_u32_e32 v6, 32, v6
	v_subrev_u32_e32 v13, 28, v6
	v_cmp_gt_u32_e32 vcc, 8, v11
	v_lshrrev_b32_e32 v12, 3, v11
	v_sub_u32_e32 v6, 29, v6
	v_cndmask_b32_e32 v11, 0, v13, vcc
	v_cndmask_b32_e32 v6, v12, v6, vcc
	v_lshlrev_b64 v[12:13], v11, v[2:3]
	v_lshlrev_b32_e32 v3, 20, v12
	v_lshlrev_b32_e32 v11, 24, v2
	v_bfrev_b32_e32 v12, 60
	v_and_b32_e32 v3, 0x700000, v3
	v_and_b32_e32 v11, 0x80000000, v11
	v_lshl_add_u32 v6, v6, 23, v12
	v_or3_b32 v6, v11, v6, v3
.LBB408_770:
	s_or_b64 exec, exec, s[8:9]
.LBB408_771:
	s_or_b64 exec, exec, s[6:7]
	v_mov_b32_e32 v3, v6
.LBB408_772:
	s_or_b64 exec, exec, s[4:5]
	v_lshrrev_b16_e32 v6, 8, v2
	v_cmp_ne_u16_e32 vcc, 0, v6
	v_mov_b32_e32 v11, 0
	v_mov_b32_e32 v12, 0
	s_and_saveexec_b64 s[4:5], vcc
	s_cbranch_execz .LBB408_778
; %bb.773:
	s_movk_i32 s3, 0x80
	v_cmp_ne_u16_e32 vcc, s3, v6
	v_bfrev_b32_e32 v12, 1
	s_and_saveexec_b64 s[6:7], vcc
	s_cbranch_execz .LBB408_777
; %bb.774:
	s_movk_i32 s3, 0x7f
	v_and_b32_e32 v13, 0x7f, v6
	v_cmp_ne_u32_e32 vcc, s3, v13
	v_mov_b32_e32 v12, 0x7f800001
	s_and_saveexec_b64 s[8:9], vcc
	s_cbranch_execz .LBB408_776
; %bb.775:
	v_and_b32_e32 v12, 7, v6
	v_ffbh_u32_e32 v16, v12
	v_min_u32_e32 v19, 32, v16
	v_subrev_u32_e32 v16, 28, v19
	v_lshlrev_b64 v[16:17], v16, v[6:7]
	v_lshrrev_b32_e32 v18, 3, v13
	v_sub_u32_e32 v6, 29, v19
	v_and_b32_e32 v16, 7, v16
	v_cmp_gt_u32_e32 vcc, 8, v13
	v_cndmask_b32_e32 v6, v18, v6, vcc
	v_cndmask_b32_e32 v12, v12, v16, vcc
	v_lshlrev_b32_e32 v2, 16, v2
	v_bfrev_b32_e32 v13, 60
	v_lshlrev_b32_e32 v12, 20, v12
	v_and_b32_e32 v2, 0x80000000, v2
	v_lshl_add_u32 v6, v6, 23, v13
	v_or3_b32 v12, v2, v6, v12
.LBB408_776:
	s_or_b64 exec, exec, s[8:9]
.LBB408_777:
	s_or_b64 exec, exec, s[6:7]
.LBB408_778:
	s_or_b64 exec, exec, s[4:5]
	s_movk_i32 s3, 0xff
	v_and_b32_sdwa v6, v5, s3 dst_sel:DWORD dst_unused:UNUSED_PAD src0_sel:WORD_1 src1_sel:DWORD
	v_lshrrev_b32_e32 v2, 16, v5
	v_cmp_ne_u16_e32 vcc, 0, v6
	s_and_saveexec_b64 s[4:5], vcc
	s_cbranch_execz .LBB408_784
; %bb.779:
	s_movk_i32 s3, 0x80
	v_cmp_ne_u16_e32 vcc, s3, v6
	v_bfrev_b32_e32 v11, 1
	s_and_saveexec_b64 s[6:7], vcc
	s_cbranch_execz .LBB408_783
; %bb.780:
	v_bfe_u32 v6, v5, 16, 7
	s_movk_i32 s3, 0x7f
	v_cmp_ne_u32_e32 vcc, s3, v6
	v_mov_b32_e32 v11, 0x7f800001
	s_and_saveexec_b64 s[8:9], vcc
	s_cbranch_execz .LBB408_782
; %bb.781:
	v_and_b32_e32 v11, 7, v2
	v_ffbh_u32_e32 v16, v11
	v_min_u32_e32 v18, 32, v16
	v_subrev_u32_e32 v16, 28, v18
	v_lshlrev_b64 v[16:17], v16, v[2:3]
	v_and_b32_e32 v16, 7, v16
	v_cmp_gt_u32_e32 vcc, 8, v6
	v_lshrrev_b32_e32 v13, 3, v6
	v_sub_u32_e32 v2, 29, v18
	v_cndmask_b32_e32 v6, v11, v16, vcc
	v_mov_b32_e32 v11, 24
	v_cndmask_b32_e32 v2, v13, v2, vcc
	v_lshlrev_b32_sdwa v11, v11, v5 dst_sel:DWORD dst_unused:UNUSED_PAD src0_sel:DWORD src1_sel:WORD_1
	v_bfrev_b32_e32 v13, 60
	v_lshlrev_b32_e32 v6, 20, v6
	v_and_b32_e32 v11, 0x80000000, v11
	v_lshl_add_u32 v2, v2, 23, v13
	v_or3_b32 v11, v11, v2, v6
.LBB408_782:
	s_or_b64 exec, exec, s[8:9]
.LBB408_783:
	s_or_b64 exec, exec, s[6:7]
.LBB408_784:
	s_or_b64 exec, exec, s[4:5]
	s_mov_b32 s4, -1
	s_mov_b32 s5, 0xffffff
	v_cmp_lt_u64_e32 vcc, s[4:5], v[4:5]
	v_mov_b32_e32 v4, 0
	s_and_saveexec_b64 s[4:5], vcc
	s_cbranch_execz .LBB408_790
; %bb.785:
	v_lshrrev_b32_e32 v2, 24, v5
	s_movk_i32 s3, 0x80
	v_cmp_ne_u32_e32 vcc, s3, v2
	v_bfrev_b32_e32 v4, 1
	s_and_saveexec_b64 s[6:7], vcc
	s_cbranch_execz .LBB408_789
; %bb.786:
	v_bfe_u32 v5, v5, 24, 7
	s_movk_i32 s3, 0x7f
	v_cmp_ne_u32_e32 vcc, s3, v5
	v_mov_b32_e32 v4, 0x7f800001
	s_and_saveexec_b64 s[8:9], vcc
	s_cbranch_execz .LBB408_788
; %bb.787:
	v_and_b32_e32 v4, 7, v2
	v_ffbh_u32_e32 v13, v4
	v_min_u32_e32 v13, 32, v13
	v_subrev_u32_e32 v16, 28, v13
	v_lshlrev_b64 v[16:17], v16, v[2:3]
	v_lshrrev_b32_e32 v6, 3, v5
	v_sub_u32_e32 v13, 29, v13
	v_and_b32_e32 v16, 7, v16
	v_cmp_gt_u32_e32 vcc, 8, v5
	v_cndmask_b32_e32 v5, v6, v13, vcc
	v_cndmask_b32_e32 v4, v4, v16, vcc
	v_lshlrev_b32_e32 v2, 24, v2
	v_bfrev_b32_e32 v6, 60
	v_lshlrev_b32_e32 v4, 20, v4
	v_and_b32_e32 v2, 0x80000000, v2
	v_lshl_add_u32 v5, v5, 23, v6
	v_or3_b32 v4, v2, v5, v4
.LBB408_788:
	s_or_b64 exec, exec, s[8:9]
.LBB408_789:
	s_or_b64 exec, exec, s[6:7]
.LBB408_790:
	s_or_b64 exec, exec, s[4:5]
	v_cvt_pkrtz_f16_f32 v6, v8, v9
	v_cvt_pkrtz_f16_f32 v7, v7, v10
	v_cvt_pkrtz_f16_f32 v2, v3, v12
	v_cvt_pkrtz_f16_f32 v3, v11, v4
	v_mfma_f32_4x4x4f16 a[0:3], v[14:15], v[6:7], a[0:3] cbsz:4 abid:14
	s_load_dword s4, s[14:15], 0x0
	v_mfma_f32_4x4x4f16 a[0:3], v[14:15], v[2:3], a[0:3] cbsz:4 abid:15
	s_nop 4
	v_accvgpr_read_b32 v5, a1
	v_accvgpr_read_b32 v3, a3
	;; [unrolled: 1-line block ×4, first 2 shown]
	s_waitcnt lgkmcnt(0)
	v_pk_mul_f32 v[2:3], v[2:3], s[4:5] op_sel_hi:[1,0]
	v_pk_mul_f32 v[4:5], v[4:5], s[4:5] op_sel_hi:[1,0]
	v_cvt_f16_f32_e32 v4, v4
	v_cvt_f16_f32_e32 v5, v5
	;; [unrolled: 1-line block ×4, first 2 shown]
	v_pack_b32_f16 v2, v4, v5
	v_mad_u32_u24 v4, v1, 40, v25
	v_pack_b32_f16 v3, v6, v3
	ds_write_b64 v4, v[2:3]
.LBB408_791:
	s_or_b64 exec, exec, s[0:1]
	v_cmp_gt_u32_e32 vcc, 64, v0
	s_waitcnt lgkmcnt(0)
	s_barrier
	s_and_saveexec_b64 s[0:1], vcc
	s_cbranch_execz .LBB408_793
; %bb.792:
	v_mul_u32_u24_e32 v1, 40, v1
	s_waitcnt vmcnt(0)
	ds_read2_b64 v[2:5], v1 offset1:1
	ds_read2_b64 v[6:9], v1 offset0:2 offset1:3
	s_mov_b32 s1, 0
	s_lshl_b32 s0, s2, 6
	s_lshl_b64 s[2:3], s[0:1], 1
	s_add_u32 s2, s30, s2
	s_addc_u32 s3, s31, s3
	s_lshl_b32 s0, s28, 6
	s_lshl_b64 s[0:1], s[0:1], 1
	s_waitcnt lgkmcnt(1)
	v_pk_add_f16 v1, v2, 0
	v_pk_add_f16 v2, v3, 0
	s_add_u32 s0, s2, s0
	v_pk_add_f16 v2, v2, v5
	s_addc_u32 s1, s3, s1
	s_lshl_b32 s2, s33, 6
	v_pk_add_f16 v1, v1, v4
	s_waitcnt lgkmcnt(0)
	v_pk_add_f16 v2, v2, v7
	s_mul_i32 s3, s2, s10
	v_pk_add_f16 v1, v1, v6
	v_pk_add_f16 v6, v2, v9
	v_or_b32_e32 v2, s3, v0
	v_mov_b32_e32 v3, 0
	v_lshlrev_b64 v[4:5], 1, v[2:3]
	v_mov_b32_e32 v2, s1
	v_add_co_u32_e32 v4, vcc, s0, v4
	s_add_i32 s3, s3, s2
	v_pk_add_f16 v1, v1, v8
	v_addc_co_u32_e32 v5, vcc, v2, v5, vcc
	v_or_b32_e32 v2, s3, v0
	global_store_short v[4:5], v1, off
	v_lshlrev_b64 v[4:5], 1, v[2:3]
	v_mov_b32_e32 v2, s1
	v_add_co_u32_e32 v4, vcc, s0, v4
	s_add_i32 s3, s3, s2
	v_addc_co_u32_e32 v5, vcc, v2, v5, vcc
	v_or_b32_e32 v2, s3, v0
	global_store_short_d16_hi v[4:5], v1, off
	v_lshlrev_b64 v[0:1], 1, v[2:3]
	v_mov_b32_e32 v2, s1
	v_add_co_u32_e32 v0, vcc, s0, v0
	v_addc_co_u32_e32 v1, vcc, v2, v1, vcc
	global_store_short v[0:1], v6, off
.LBB408_793:
	s_endpgm
	.section	.rodata,"a",@progbits
	.p2align	6, 0x0
	.amdhsa_kernel _Z38paged_attention_ll4mi_QKV_mfma4_kernelIDF16_hLN4vllm18Fp8KVCacheDataTypeE1EDF16_Li16ELi64ELi256ELb0ELi3EEvPKT_PKT0_S7_ifPKiS9_S9_iPKfiiiPfSC_PS2_PT2_iSB_SB_
		.amdhsa_group_segment_fixed_size 2720
		.amdhsa_private_segment_fixed_size 0
		.amdhsa_kernarg_size 400
		.amdhsa_user_sgpr_count 6
		.amdhsa_user_sgpr_private_segment_buffer 1
		.amdhsa_user_sgpr_dispatch_ptr 0
		.amdhsa_user_sgpr_queue_ptr 0
		.amdhsa_user_sgpr_kernarg_segment_ptr 1
		.amdhsa_user_sgpr_dispatch_id 0
		.amdhsa_user_sgpr_flat_scratch_init 0
		.amdhsa_user_sgpr_kernarg_preload_length 0
		.amdhsa_user_sgpr_kernarg_preload_offset 0
		.amdhsa_user_sgpr_private_segment_size 0
		.amdhsa_uses_dynamic_stack 0
		.amdhsa_system_sgpr_private_segment_wavefront_offset 0
		.amdhsa_system_sgpr_workgroup_id_x 1
		.amdhsa_system_sgpr_workgroup_id_y 1
		.amdhsa_system_sgpr_workgroup_id_z 1
		.amdhsa_system_sgpr_workgroup_info 0
		.amdhsa_system_vgpr_workitem_id 0
		.amdhsa_next_free_vgpr 60
		.amdhsa_next_free_sgpr 42
		.amdhsa_accum_offset 56
		.amdhsa_reserve_vcc 1
		.amdhsa_reserve_flat_scratch 0
		.amdhsa_float_round_mode_32 0
		.amdhsa_float_round_mode_16_64 0
		.amdhsa_float_denorm_mode_32 3
		.amdhsa_float_denorm_mode_16_64 3
		.amdhsa_dx10_clamp 1
		.amdhsa_ieee_mode 1
		.amdhsa_fp16_overflow 0
		.amdhsa_tg_split 0
		.amdhsa_exception_fp_ieee_invalid_op 0
		.amdhsa_exception_fp_denorm_src 0
		.amdhsa_exception_fp_ieee_div_zero 0
		.amdhsa_exception_fp_ieee_overflow 0
		.amdhsa_exception_fp_ieee_underflow 0
		.amdhsa_exception_fp_ieee_inexact 0
		.amdhsa_exception_int_div_zero 0
	.end_amdhsa_kernel
	.section	.text._Z38paged_attention_ll4mi_QKV_mfma4_kernelIDF16_hLN4vllm18Fp8KVCacheDataTypeE1EDF16_Li16ELi64ELi256ELb0ELi3EEvPKT_PKT0_S7_ifPKiS9_S9_iPKfiiiPfSC_PS2_PT2_iSB_SB_,"axG",@progbits,_Z38paged_attention_ll4mi_QKV_mfma4_kernelIDF16_hLN4vllm18Fp8KVCacheDataTypeE1EDF16_Li16ELi64ELi256ELb0ELi3EEvPKT_PKT0_S7_ifPKiS9_S9_iPKfiiiPfSC_PS2_PT2_iSB_SB_,comdat
.Lfunc_end408:
	.size	_Z38paged_attention_ll4mi_QKV_mfma4_kernelIDF16_hLN4vllm18Fp8KVCacheDataTypeE1EDF16_Li16ELi64ELi256ELb0ELi3EEvPKT_PKT0_S7_ifPKiS9_S9_iPKfiiiPfSC_PS2_PT2_iSB_SB_, .Lfunc_end408-_Z38paged_attention_ll4mi_QKV_mfma4_kernelIDF16_hLN4vllm18Fp8KVCacheDataTypeE1EDF16_Li16ELi64ELi256ELb0ELi3EEvPKT_PKT0_S7_ifPKiS9_S9_iPKfiiiPfSC_PS2_PT2_iSB_SB_
                                        ; -- End function
	.section	.AMDGPU.csdata,"",@progbits
; Kernel info:
; codeLenInByte = 27940
; NumSgprs: 46
; NumVgprs: 55
; NumAgprs: 4
; TotalNumVgprs: 60
; ScratchSize: 0
; MemoryBound: 0
; FloatMode: 240
; IeeeMode: 1
; LDSByteSize: 2720 bytes/workgroup (compile time only)
; SGPRBlocks: 5
; VGPRBlocks: 7
; NumSGPRsForWavesPerEU: 46
; NumVGPRsForWavesPerEU: 60
; AccumOffset: 56
; Occupancy: 8
; WaveLimiterHint : 1
; COMPUTE_PGM_RSRC2:SCRATCH_EN: 0
; COMPUTE_PGM_RSRC2:USER_SGPR: 6
; COMPUTE_PGM_RSRC2:TRAP_HANDLER: 0
; COMPUTE_PGM_RSRC2:TGID_X_EN: 1
; COMPUTE_PGM_RSRC2:TGID_Y_EN: 1
; COMPUTE_PGM_RSRC2:TGID_Z_EN: 1
; COMPUTE_PGM_RSRC2:TIDIG_COMP_CNT: 0
; COMPUTE_PGM_RSRC3_GFX90A:ACCUM_OFFSET: 13
; COMPUTE_PGM_RSRC3_GFX90A:TG_SPLIT: 0
	.section	.text._Z38paged_attention_ll4mi_QKV_mfma4_kernelIDF16_hLN4vllm18Fp8KVCacheDataTypeE1EDF16_Li16ELi64ELi256ELb0ELi4EEvPKT_PKT0_S7_ifPKiS9_S9_iPKfiiiPfSC_PS2_PT2_iSB_SB_,"axG",@progbits,_Z38paged_attention_ll4mi_QKV_mfma4_kernelIDF16_hLN4vllm18Fp8KVCacheDataTypeE1EDF16_Li16ELi64ELi256ELb0ELi4EEvPKT_PKT0_S7_ifPKiS9_S9_iPKfiiiPfSC_PS2_PT2_iSB_SB_,comdat
	.protected	_Z38paged_attention_ll4mi_QKV_mfma4_kernelIDF16_hLN4vllm18Fp8KVCacheDataTypeE1EDF16_Li16ELi64ELi256ELb0ELi4EEvPKT_PKT0_S7_ifPKiS9_S9_iPKfiiiPfSC_PS2_PT2_iSB_SB_ ; -- Begin function _Z38paged_attention_ll4mi_QKV_mfma4_kernelIDF16_hLN4vllm18Fp8KVCacheDataTypeE1EDF16_Li16ELi64ELi256ELb0ELi4EEvPKT_PKT0_S7_ifPKiS9_S9_iPKfiiiPfSC_PS2_PT2_iSB_SB_
	.globl	_Z38paged_attention_ll4mi_QKV_mfma4_kernelIDF16_hLN4vllm18Fp8KVCacheDataTypeE1EDF16_Li16ELi64ELi256ELb0ELi4EEvPKT_PKT0_S7_ifPKiS9_S9_iPKfiiiPfSC_PS2_PT2_iSB_SB_
	.p2align	8
	.type	_Z38paged_attention_ll4mi_QKV_mfma4_kernelIDF16_hLN4vllm18Fp8KVCacheDataTypeE1EDF16_Li16ELi64ELi256ELb0ELi4EEvPKT_PKT0_S7_ifPKiS9_S9_iPKfiiiPfSC_PS2_PT2_iSB_SB_,@function
_Z38paged_attention_ll4mi_QKV_mfma4_kernelIDF16_hLN4vllm18Fp8KVCacheDataTypeE1EDF16_Li16ELi64ELi256ELb0ELi4EEvPKT_PKT0_S7_ifPKiS9_S9_iPKfiiiPfSC_PS2_PT2_iSB_SB_: ; @_Z38paged_attention_ll4mi_QKV_mfma4_kernelIDF16_hLN4vllm18Fp8KVCacheDataTypeE1EDF16_Li16ELi64ELi256ELb0ELi4EEvPKT_PKT0_S7_ifPKiS9_S9_iPKfiiiPfSC_PS2_PT2_iSB_SB_
; %bb.0:
	s_load_dwordx2 s[2:3], s[4:5], 0x30
	s_mov_b32 s28, s7
	s_mov_b64 s[0:1], 0
	s_waitcnt lgkmcnt(0)
	s_cmp_lg_u64 s[2:3], 0
	s_cselect_b64 s[10:11], -1, 0
	s_and_b64 vcc, exec, s[10:11]
	s_cbranch_vccz .LBB409_788
; %bb.1:
	s_add_i32 s12, s6, 1
	s_mov_b32 s13, 0
	s_lshl_b64 s[14:15], s[12:13], 2
	s_add_u32 s14, s2, s14
	s_mov_b32 s7, s13
	s_addc_u32 s15, s3, s15
	s_lshl_b64 s[12:13], s[6:7], 2
	s_add_u32 s12, s2, s12
	s_addc_u32 s13, s3, s13
	s_load_dword s9, s[14:15], 0x0
	s_load_dword s16, s[12:13], 0x0
	s_mov_b64 s[38:39], s[6:7]
	s_waitcnt lgkmcnt(0)
	s_sub_i32 s9, s9, s16
	s_cmp_eq_u32 s9, 1
	s_cselect_b64 s[12:13], -1, 0
	s_andn2_b64 vcc, exec, s[0:1]
	s_cbranch_vccnz .LBB409_3
.LBB409_2:
	s_mov_b32 s7, 0
	s_mov_b64 s[12:13], -1
	s_mov_b64 s[38:39], s[6:7]
.LBB409_3:
	s_andn2_b64 vcc, exec, s[12:13]
	s_cbranch_vccnz .LBB409_787
; %bb.4:
	s_load_dword s7, s[4:5], 0x9c
	s_load_dwordx2 s[0:1], s[4:5], 0x28
	s_add_u32 s34, s4, 0x90
	s_addc_u32 s35, s5, 0
	s_lshl_b64 s[20:21], s[38:39], 2
	s_waitcnt lgkmcnt(0)
	s_and_b32 s9, s7, 0xffff
	s_add_u32 s0, s0, s20
	s_addc_u32 s1, s1, s21
	s_load_dword s7, s[0:1], 0x0
	s_mul_i32 s9, s28, s9
	s_waitcnt lgkmcnt(0)
	s_cmp_ge_i32 s9, s7
	s_cbranch_scc1 .LBB409_787
; %bb.5:
	v_and_b32_e32 v1, 0xc0, v0
	v_add_u32_e32 v4, s9, v1
	v_lshrrev_b32_e32 v42, 6, v0
	v_cmp_le_i32_e64 s[0:1], s7, v4
                                        ; implicit-def: $sgpr23
                                        ; implicit-def: $sgpr22
	s_and_saveexec_b64 s[12:13], s[0:1]
	s_xor_b64 s[12:13], exec, s[12:13]
	s_cbranch_execz .LBB409_7
; %bb.6:
	v_mul_u32_u24_e32 v1, 20, v42
	v_or_b32_e32 v1, 0xa00, v1
	v_mov_b32_e32 v2, 0xa50
	v_mov_b32_e32 v3, 0xff7fffff
	v_mad_u32_u24 v2, v42, 20, v2
	ds_write2_b32 v1, v3, v3 offset1:1
	v_mov_b32_e32 v1, 0
	ds_write2_b32 v2, v1, v1 offset1:1
	v_mov_b32_e32 v2, 0xa08
	v_mov_b32_e32 v4, 0xa58
	s_mov_b32 s22, 0xff7fffff
	s_mov_b32 s23, 0
	v_mad_u32_u24 v2, v42, 20, v2
	v_mad_u32_u24 v4, v42, 20, v4
	ds_write2_b32 v2, v3, v3 offset1:1
	ds_write2_b32 v4, v1, v1 offset1:1
                                        ; implicit-def: $vgpr4
.LBB409_7:
	s_or_saveexec_b64 s[36:37], s[12:13]
	s_load_dwordx2 s[30:31], s[4:5], 0x68
	s_load_dwordx4 s[16:19], s[4:5], 0x58
	s_load_dword s33, s[34:35], 0x4
	s_load_dwordx4 s[12:15], s[4:5], 0x80
	v_and_b32_e32 v1, 63, v0
	v_and_b32_e32 v43, 3, v0
	v_mov_b32_e32 v21, s23
	v_mov_b32_e32 v26, s22
	;; [unrolled: 1-line block ×5, first 2 shown]
                                        ; implicit-def: $vgpr14_vgpr15
                                        ; implicit-def: $vgpr10_vgpr11
                                        ; implicit-def: $vgpr6_vgpr7
                                        ; implicit-def: $vgpr2_vgpr3
	s_xor_b64 exec, exec, s[36:37]
	s_cbranch_execz .LBB409_397
; %bb.8:
	s_add_i32 s25, s7, 15
	s_ashr_i32 s26, s25, 31
	s_load_dwordx2 s[22:23], s[4:5], 0x20
	s_load_dword s24, s[4:5], 0x38
	s_lshr_b32 s26, s26, 28
	v_add_u32_e32 v44, s9, v0
	s_add_i32 s25, s25, s26
	v_ashrrev_i32_e32 v2, 31, v44
	s_ashr_i32 s25, s25, 4
	v_lshrrev_b32_e32 v2, 28, v2
	s_add_i32 s26, s25, -1
	v_add_u32_e32 v2, v44, v2
	v_ashrrev_i32_e32 v2, 4, v2
	v_mov_b32_e32 v3, s26
	v_cmp_gt_i32_e32 vcc, s7, v44
	s_waitcnt lgkmcnt(0)
	s_mul_i32 s40, s6, s24
	s_mov_b32 s41, 0
	v_cndmask_b32_e32 v2, v3, v2, vcc
	s_lshl_b64 s[24:25], s[40:41], 2
	v_ashrrev_i32_e32 v3, 31, v2
	s_add_u32 s22, s22, s24
	v_lshlrev_b64 v[2:3], 2, v[2:3]
	v_add_co_u32_e32 v8, vcc, s22, v2
	v_ashrrev_i32_e32 v2, 31, v4
	v_lshrrev_b32_e32 v2, 28, v2
	v_add_u32_e32 v2, v4, v2
	s_addc_u32 s23, s23, s25
	v_ashrrev_i32_e32 v4, 4, v2
	v_mov_b32_e32 v5, s23
	v_min_i32_e32 v2, s26, v4
	v_addc_co_u32_e32 v9, vcc, v5, v3, vcc
	v_ashrrev_i32_e32 v3, 31, v2
	v_lshlrev_b64 v[2:3], 2, v[2:3]
	v_add_co_u32_e32 v10, vcc, s22, v2
	v_add_u32_e32 v2, 1, v4
	v_min_i32_e32 v2, s26, v2
	v_addc_co_u32_e32 v11, vcc, v5, v3, vcc
	v_ashrrev_i32_e32 v3, 31, v2
	v_lshlrev_b64 v[2:3], 2, v[2:3]
	v_add_co_u32_e32 v12, vcc, s22, v2
	v_add_u32_e32 v2, 2, v4
	;; [unrolled: 6-line block ×3, first 2 shown]
	v_min_i32_e32 v2, s26, v2
	v_addc_co_u32_e32 v15, vcc, v5, v3, vcc
	v_ashrrev_i32_e32 v3, 31, v2
	v_lshlrev_b64 v[2:3], 2, v[2:3]
	v_mov_b32_e32 v4, s23
	v_add_co_u32_e32 v16, vcc, s22, v2
	v_addc_co_u32_e32 v17, vcc, v4, v3, vcc
	global_load_dword v6, v[8:9], off
	global_load_dword v5, v[10:11], off
	;; [unrolled: 1-line block ×5, first 2 shown]
	s_load_dwordx4 s[24:27], s[4:5], 0x0
	s_load_dwordx2 s[42:43], s[4:5], 0x10
	s_andn2_b64 vcc, exec, s[10:11]
	s_cbranch_vccnz .LBB409_10
; %bb.9:
	s_add_u32 s2, s2, s20
	s_addc_u32 s3, s3, s21
	s_load_dword s40, s[2:3], 0x0
	s_waitcnt lgkmcnt(0)
	s_mov_b64 s[38:39], s[40:41]
.LBB409_10:
	s_load_dwordx4 s[20:23], s[4:5], 0x48
	v_lshrrev_b32_e32 v7, 2, v1
	v_lshlrev_b32_e32 v8, 3, v43
	v_add_lshl_u32 v7, v8, v7, 4
	v_mov_b32_e32 v39, 0
	s_waitcnt lgkmcnt(0)
	s_ashr_i32 s3, s20, 31
	s_mul_hi_u32 s9, s38, s20
	s_mul_i32 s3, s38, s3
	s_mul_i32 s10, s39, s20
	s_add_i32 s3, s9, s3
	s_mul_i32 s2, s38, s20
	s_add_i32 s3, s3, s10
	s_lshl_b64 s[2:3], s[2:3], 1
	s_add_u32 s9, s24, s2
	s_addc_u32 s10, s25, s3
	s_lshl_b32 s40, s8, 8
	s_lshl_b64 s[2:3], s[40:41], 1
	s_add_u32 s2, s9, s2
	s_addc_u32 s3, s10, s3
	s_mul_i32 s9, s8, s22
	global_load_dwordx4 v[18:21], v7, s[2:3]
	s_add_u32 s2, s9, s26
	s_addc_u32 s3, 0, s27
	v_pk_mov_b32 v[8:9], s[2:3], s[2:3] op_sel:[0,1]
	s_waitcnt vmcnt(5)
	v_mad_i64_i32 v[6:7], s[2:3], v6, s21, v[8:9]
	v_lshlrev_b32_e32 v8, 4, v0
	v_and_b32_e32 v8, 0xf0, v8
	v_add_co_u32_e32 v6, vcc, v6, v8
	v_addc_co_u32_e32 v7, vcc, 0, v7, vcc
	global_load_dwordx4 v[34:37], v[6:7], off
	global_load_dwordx4 v[30:33], v[6:7], off offset:256
	global_load_dwordx4 v[26:29], v[6:7], off offset:512
	;; [unrolled: 1-line block ×3, first 2 shown]
	s_add_u32 s2, s42, s9
	v_lshlrev_b32_e32 v6, 4, v1
	v_add_co_u32_e32 v8, vcc, s2, v6
	s_waitcnt vmcnt(8)
	v_mul_hi_i32 v6, v5, s21
	s_addc_u32 s3, s43, 0
	v_ashrrev_i32_e32 v6, 31, v6
	v_mov_b32_e32 v7, s3
	v_lshrrev_b32_e32 v38, 29, v6
	v_addc_co_u32_e32 v9, vcc, 0, v7, vcc
	v_mad_i64_i32 v[6:7], s[2:3], v5, s21, v[38:39]
	v_and_b32_e32 v5, -8, v6
	v_add_co_u32_e32 v6, vcc, v8, v5
	s_waitcnt vmcnt(7)
	v_mul_hi_i32 v5, v4, s21
	v_ashrrev_i32_e32 v5, 31, v5
	v_lshrrev_b32_e32 v38, 29, v5
	v_mad_i64_i32 v[4:5], s[2:3], v4, s21, v[38:39]
	v_addc_co_u32_e32 v7, vcc, v9, v7, vcc
	v_and_b32_e32 v4, -8, v4
	v_add_co_u32_e32 v4, vcc, v8, v4
	v_addc_co_u32_e32 v5, vcc, v9, v5, vcc
	global_load_dwordx4 v[14:17], v[6:7], off
	global_load_dwordx4 v[10:13], v[4:5], off
	s_waitcnt vmcnt(8)
	v_mul_hi_i32 v4, v3, s21
	v_ashrrev_i32_e32 v4, 31, v4
	v_lshrrev_b32_e32 v38, 29, v4
	v_mad_i64_i32 v[4:5], s[2:3], v3, s21, v[38:39]
	v_and_b32_e32 v3, -8, v4
	v_add_co_u32_e32 v40, vcc, v8, v3
	s_waitcnt vmcnt(7)
	v_mul_hi_i32 v3, v2, s21
	v_ashrrev_i32_e32 v3, 31, v3
	v_lshrrev_b32_e32 v38, 29, v3
	v_mad_i64_i32 v[2:3], s[2:3], v2, s21, v[38:39]
	v_addc_co_u32_e32 v41, vcc, v9, v5, vcc
	v_and_b32_e32 v2, -8, v2
	v_add_co_u32_e32 v46, vcc, v8, v2
	v_addc_co_u32_e32 v47, vcc, v9, v3, vcc
	global_load_dwordx4 v[6:9], v[40:41], off
	global_load_dwordx4 v[2:5], v[46:47], off
	v_mov_b32_e32 v45, 0
	s_waitcnt vmcnt(7)
	v_cmp_ne_u16_sdwa s[10:11], v34, v39 src0_sel:BYTE_0 src1_sel:DWORD
	s_and_saveexec_b64 s[2:3], s[10:11]
	s_cbranch_execz .LBB409_16
; %bb.11:
	s_movk_i32 s9, 0x80
	v_cmp_ne_u16_sdwa s[20:21], v34, s9 src0_sel:BYTE_0 src1_sel:DWORD
	v_bfrev_b32_e32 v45, 1
	s_and_saveexec_b64 s[10:11], s[20:21]
	s_cbranch_execz .LBB409_15
; %bb.12:
	s_movk_i32 s9, 0x7f
	v_and_b32_e32 v38, 0x7f, v34
	v_cmp_ne_u32_e32 vcc, s9, v38
	v_mov_b32_e32 v45, 0x7f800001
	s_and_saveexec_b64 s[20:21], vcc
	s_cbranch_execz .LBB409_14
; %bb.13:
	v_and_b32_e32 v40, 7, v34
	v_ffbh_u32_e32 v40, v40
	v_min_u32_e32 v40, 32, v40
	v_lshrrev_b32_e32 v41, 3, v38
	v_subrev_u32_e32 v45, 28, v40
	v_sub_u32_e32 v40, 29, v40
	v_cmp_gt_u32_e32 vcc, 8, v38
	v_cndmask_b32_e32 v38, v41, v40, vcc
	v_cndmask_b32_e32 v40, 0, v45, vcc
	v_lshlrev_b64 v[40:41], v40, v[34:35]
	v_lshlrev_b32_e32 v40, 20, v40
	v_lshlrev_b32_e32 v41, 24, v34
	v_bfrev_b32_e32 v45, 60
	v_and_b32_e32 v40, 0x700000, v40
	v_and_b32_e32 v41, 0x80000000, v41
	v_lshl_add_u32 v38, v38, 23, v45
	v_or3_b32 v45, v41, v38, v40
.LBB409_14:
	s_or_b64 exec, exec, s[20:21]
.LBB409_15:
	s_or_b64 exec, exec, s[10:11]
.LBB409_16:
	s_or_b64 exec, exec, s[2:3]
	v_lshrrev_b16_e32 v38, 8, v34
	v_cmp_ne_u16_e32 vcc, 0, v38
	s_and_saveexec_b64 s[2:3], vcc
	s_cbranch_execz .LBB409_22
; %bb.17:
	s_movk_i32 s9, 0x80
	v_cmp_ne_u16_sdwa s[20:21], v34, s9 src0_sel:BYTE_1 src1_sel:DWORD
	v_bfrev_b32_e32 v39, 1
	s_and_saveexec_b64 s[10:11], s[20:21]
	s_cbranch_execz .LBB409_21
; %bb.18:
	s_movk_i32 s9, 0x7f
	v_and_b32_e32 v40, 0x7f, v38
	v_cmp_ne_u32_e32 vcc, s9, v40
	v_mov_b32_e32 v39, 0x7f800001
	s_and_saveexec_b64 s[20:21], vcc
	s_cbranch_execz .LBB409_20
; %bb.19:
	v_and_b32_e32 v41, 7, v38
	v_ffbh_u32_e32 v39, v41
	v_min_u32_e32 v47, 32, v39
	v_subrev_u32_e32 v39, 28, v47
	v_lshlrev_b64 v[38:39], v39, v[38:39]
	v_lshrrev_b32_e32 v46, 3, v40
	v_sub_u32_e32 v39, 29, v47
	v_and_b32_e32 v38, 7, v38
	v_cmp_gt_u32_e32 vcc, 8, v40
	v_cndmask_b32_e32 v39, v46, v39, vcc
	v_cndmask_b32_e32 v38, v41, v38, vcc
	v_lshlrev_b32_e32 v40, 16, v34
	v_bfrev_b32_e32 v41, 60
	v_lshlrev_b32_e32 v38, 20, v38
	v_and_b32_e32 v40, 0x80000000, v40
	v_lshl_add_u32 v39, v39, 23, v41
	v_or3_b32 v39, v40, v39, v38
.LBB409_20:
	s_or_b64 exec, exec, s[20:21]
.LBB409_21:
	s_or_b64 exec, exec, s[10:11]
.LBB409_22:
	s_or_b64 exec, exec, s[2:3]
	s_movk_i32 s2, 0xff
	v_and_b32_sdwa v40, v34, s2 dst_sel:DWORD dst_unused:UNUSED_PAD src0_sel:WORD_1 src1_sel:DWORD
	v_lshrrev_b32_e32 v38, 16, v34
	v_cmp_ne_u16_e32 vcc, 0, v40
	v_mov_b32_e32 v46, 0
	v_mov_b32_e32 v47, 0
	s_and_saveexec_b64 s[2:3], vcc
	s_cbranch_execz .LBB409_28
; %bb.23:
	s_movk_i32 s9, 0x80
	v_cmp_ne_u16_e32 vcc, s9, v40
	v_bfrev_b32_e32 v47, 1
	s_and_saveexec_b64 s[10:11], vcc
	s_cbranch_execz .LBB409_27
; %bb.24:
	v_bfe_u32 v40, v34, 16, 7
	s_movk_i32 s9, 0x7f
	v_cmp_ne_u32_e32 vcc, s9, v40
	v_mov_b32_e32 v47, 0x7f800001
	s_and_saveexec_b64 s[20:21], vcc
	s_cbranch_execz .LBB409_26
; %bb.25:
	v_and_b32_e32 v41, 7, v38
	v_ffbh_u32_e32 v48, v41
	v_min_u32_e32 v50, 32, v48
	v_subrev_u32_e32 v48, 28, v50
	v_lshlrev_b64 v[48:49], v48, v[38:39]
	v_and_b32_e32 v48, 7, v48
	v_cmp_gt_u32_e32 vcc, 8, v40
	v_lshrrev_b32_e32 v47, 3, v40
	v_sub_u32_e32 v38, 29, v50
	v_cndmask_b32_e32 v40, v41, v48, vcc
	v_mov_b32_e32 v41, 24
	v_cndmask_b32_e32 v38, v47, v38, vcc
	v_lshlrev_b32_sdwa v41, v41, v34 dst_sel:DWORD dst_unused:UNUSED_PAD src0_sel:DWORD src1_sel:WORD_1
	v_bfrev_b32_e32 v47, 60
	v_lshlrev_b32_e32 v40, 20, v40
	v_and_b32_e32 v41, 0x80000000, v41
	v_lshl_add_u32 v38, v38, 23, v47
	v_or3_b32 v47, v41, v38, v40
.LBB409_26:
	s_or_b64 exec, exec, s[20:21]
.LBB409_27:
	s_or_b64 exec, exec, s[10:11]
.LBB409_28:
	s_or_b64 exec, exec, s[2:3]
	s_mov_b32 s2, 0xffffff
	v_cmp_lt_u32_e32 vcc, s2, v34
	s_and_saveexec_b64 s[2:3], vcc
	s_cbranch_execz .LBB409_34
; %bb.29:
	v_lshrrev_b32_e32 v38, 24, v34
	s_movk_i32 s9, 0x80
	v_cmp_ne_u32_e32 vcc, s9, v38
	v_bfrev_b32_e32 v46, 1
	s_and_saveexec_b64 s[10:11], vcc
	s_cbranch_execz .LBB409_33
; %bb.30:
	v_bfe_u32 v40, v34, 24, 7
	s_movk_i32 s9, 0x7f
	v_cmp_ne_u32_e32 vcc, s9, v40
	v_mov_b32_e32 v46, 0x7f800001
	s_and_saveexec_b64 s[20:21], vcc
	s_cbranch_execz .LBB409_32
; %bb.31:
	v_and_b32_e32 v41, 7, v38
	v_ffbh_u32_e32 v48, v41
	v_min_u32_e32 v50, 32, v48
	v_subrev_u32_e32 v48, 28, v50
	v_lshlrev_b64 v[48:49], v48, v[38:39]
	v_lshrrev_b32_e32 v46, 3, v40
	v_sub_u32_e32 v49, 29, v50
	v_and_b32_e32 v48, 7, v48
	v_cmp_gt_u32_e32 vcc, 8, v40
	v_cndmask_b32_e32 v40, v46, v49, vcc
	v_cndmask_b32_e32 v41, v41, v48, vcc
	v_lshlrev_b32_e32 v38, 24, v38
	v_bfrev_b32_e32 v46, 60
	v_lshlrev_b32_e32 v41, 20, v41
	v_and_b32_e32 v38, 0x80000000, v38
	v_lshl_add_u32 v40, v40, 23, v46
	v_or3_b32 v46, v38, v40, v41
.LBB409_32:
	s_or_b64 exec, exec, s[20:21]
.LBB409_33:
	s_or_b64 exec, exec, s[10:11]
.LBB409_34:
	s_or_b64 exec, exec, s[2:3]
	v_mov_b32_e32 v41, 0
	v_mov_b32_e32 v40, v35
	v_cmp_ne_u16_sdwa s[10:11], v35, v41 src0_sel:BYTE_0 src1_sel:DWORD
	v_mov_b32_e32 v48, v41
	s_and_saveexec_b64 s[2:3], s[10:11]
	s_cbranch_execz .LBB409_40
; %bb.35:
	s_movk_i32 s9, 0x80
	v_cmp_ne_u16_sdwa s[20:21], v35, s9 src0_sel:BYTE_0 src1_sel:DWORD
	v_bfrev_b32_e32 v48, 1
	s_and_saveexec_b64 s[10:11], s[20:21]
	s_cbranch_execz .LBB409_39
; %bb.36:
	s_movk_i32 s9, 0x7f
	v_and_b32_e32 v38, 0x7f, v35
	v_cmp_ne_u32_e32 vcc, s9, v38
	v_mov_b32_e32 v48, 0x7f800001
	s_and_saveexec_b64 s[20:21], vcc
	s_cbranch_execz .LBB409_38
; %bb.37:
	v_and_b32_e32 v48, 7, v35
	v_ffbh_u32_e32 v48, v48
	v_min_u32_e32 v48, 32, v48
	v_lshrrev_b32_e32 v49, 3, v38
	v_subrev_u32_e32 v50, 28, v48
	v_sub_u32_e32 v48, 29, v48
	v_cmp_gt_u32_e32 vcc, 8, v38
	v_cndmask_b32_e32 v38, v49, v48, vcc
	v_cndmask_b32_e32 v48, 0, v50, vcc
	v_lshlrev_b64 v[48:49], v48, v[40:41]
	v_lshlrev_b32_e32 v48, 20, v48
	v_lshlrev_b32_e32 v49, 24, v40
	v_bfrev_b32_e32 v50, 60
	v_and_b32_e32 v48, 0x700000, v48
	v_and_b32_e32 v49, 0x80000000, v49
	v_lshl_add_u32 v38, v38, 23, v50
	v_or3_b32 v48, v49, v38, v48
.LBB409_38:
	s_or_b64 exec, exec, s[20:21]
.LBB409_39:
	s_or_b64 exec, exec, s[10:11]
.LBB409_40:
	s_or_b64 exec, exec, s[2:3]
	v_lshrrev_b16_e32 v38, 8, v40
	v_cmp_ne_u16_e32 vcc, 0, v38
	s_and_saveexec_b64 s[2:3], vcc
	s_cbranch_execz .LBB409_46
; %bb.41:
	s_movk_i32 s9, 0x80
	v_cmp_ne_u16_e32 vcc, s9, v38
	v_bfrev_b32_e32 v41, 1
	s_and_saveexec_b64 s[10:11], vcc
	s_cbranch_execz .LBB409_45
; %bb.42:
	s_movk_i32 s9, 0x7f
	v_and_b32_e32 v49, 0x7f, v38
	v_cmp_ne_u32_e32 vcc, s9, v49
	v_mov_b32_e32 v41, 0x7f800001
	s_and_saveexec_b64 s[20:21], vcc
	s_cbranch_execz .LBB409_44
; %bb.43:
	v_and_b32_e32 v41, 7, v38
	v_ffbh_u32_e32 v50, v41
	v_min_u32_e32 v53, 32, v50
	v_subrev_u32_e32 v50, 28, v53
	v_lshlrev_b64 v[50:51], v50, v[38:39]
	v_lshrrev_b32_e32 v52, 3, v49
	v_sub_u32_e32 v38, 29, v53
	v_and_b32_e32 v50, 7, v50
	v_cmp_gt_u32_e32 vcc, 8, v49
	v_cndmask_b32_e32 v38, v52, v38, vcc
	v_cndmask_b32_e32 v41, v41, v50, vcc
	v_lshlrev_b32_e32 v40, 16, v40
	v_bfrev_b32_e32 v49, 60
	v_lshlrev_b32_e32 v41, 20, v41
	v_and_b32_e32 v40, 0x80000000, v40
	v_lshl_add_u32 v38, v38, 23, v49
	v_or3_b32 v41, v40, v38, v41
.LBB409_44:
	s_or_b64 exec, exec, s[20:21]
.LBB409_45:
	s_or_b64 exec, exec, s[10:11]
.LBB409_46:
	s_or_b64 exec, exec, s[2:3]
	s_movk_i32 s2, 0xff
	v_and_b32_sdwa v50, v35, s2 dst_sel:DWORD dst_unused:UNUSED_PAD src0_sel:WORD_1 src1_sel:DWORD
	v_lshrrev_b32_e32 v38, 16, v35
	v_cmp_ne_u16_e32 vcc, 0, v50
	v_mov_b32_e32 v40, 0
	v_mov_b32_e32 v49, 0
	s_and_saveexec_b64 s[2:3], vcc
	s_cbranch_execz .LBB409_52
; %bb.47:
	s_movk_i32 s9, 0x80
	v_cmp_ne_u16_e32 vcc, s9, v50
	v_bfrev_b32_e32 v49, 1
	s_and_saveexec_b64 s[10:11], vcc
	s_cbranch_execz .LBB409_51
; %bb.48:
	v_bfe_u32 v50, v35, 16, 7
	s_movk_i32 s9, 0x7f
	v_cmp_ne_u32_e32 vcc, s9, v50
	v_mov_b32_e32 v49, 0x7f800001
	s_and_saveexec_b64 s[20:21], vcc
	s_cbranch_execz .LBB409_50
; %bb.49:
	v_and_b32_e32 v49, 7, v38
	v_ffbh_u32_e32 v52, v49
	v_min_u32_e32 v54, 32, v52
	v_subrev_u32_e32 v52, 28, v54
	v_lshlrev_b64 v[52:53], v52, v[38:39]
	v_lshrrev_b32_e32 v51, 3, v50
	v_sub_u32_e32 v38, 29, v54
	v_and_b32_e32 v52, 7, v52
	v_cmp_gt_u32_e32 vcc, 8, v50
	v_mov_b32_e32 v50, 24
	v_cndmask_b32_e32 v38, v51, v38, vcc
	v_cndmask_b32_e32 v49, v49, v52, vcc
	v_lshlrev_b32_sdwa v50, v50, v35 dst_sel:DWORD dst_unused:UNUSED_PAD src0_sel:DWORD src1_sel:WORD_1
	v_bfrev_b32_e32 v51, 60
	v_lshlrev_b32_e32 v49, 20, v49
	v_and_b32_e32 v50, 0x80000000, v50
	v_lshl_add_u32 v38, v38, 23, v51
	v_or3_b32 v49, v50, v38, v49
.LBB409_50:
	s_or_b64 exec, exec, s[20:21]
.LBB409_51:
	s_or_b64 exec, exec, s[10:11]
.LBB409_52:
	s_or_b64 exec, exec, s[2:3]
	s_mov_b32 s2, -1
	s_mov_b32 s3, 0xffffff
	v_cmp_lt_u64_e32 vcc, s[2:3], v[34:35]
	s_and_saveexec_b64 s[2:3], vcc
	s_cbranch_execz .LBB409_58
; %bb.53:
	v_lshrrev_b32_e32 v34, 24, v35
	s_movk_i32 s9, 0x80
	v_cmp_ne_u32_e32 vcc, s9, v34
	v_bfrev_b32_e32 v40, 1
	s_and_saveexec_b64 s[10:11], vcc
	s_cbranch_execz .LBB409_57
; %bb.54:
	v_bfe_u32 v35, v35, 24, 7
	s_movk_i32 s9, 0x7f
	v_cmp_ne_u32_e32 vcc, s9, v35
	v_mov_b32_e32 v40, 0x7f800001
	s_and_saveexec_b64 s[20:21], vcc
	s_cbranch_execz .LBB409_56
; %bb.55:
	v_and_b32_e32 v38, 7, v34
	v_ffbh_u32_e32 v50, v38
	v_min_u32_e32 v52, 32, v50
	v_subrev_u32_e32 v50, 28, v52
	v_lshlrev_b64 v[50:51], v50, v[34:35]
	v_lshrrev_b32_e32 v40, 3, v35
	v_sub_u32_e32 v51, 29, v52
	v_and_b32_e32 v50, 7, v50
	v_cmp_gt_u32_e32 vcc, 8, v35
	v_cndmask_b32_e32 v35, v40, v51, vcc
	v_cndmask_b32_e32 v38, v38, v50, vcc
	v_lshlrev_b32_e32 v34, 24, v34
	v_bfrev_b32_e32 v40, 60
	v_lshlrev_b32_e32 v38, 20, v38
	v_and_b32_e32 v34, 0x80000000, v34
	v_lshl_add_u32 v35, v35, 23, v40
	v_or3_b32 v40, v34, v35, v38
.LBB409_56:
	s_or_b64 exec, exec, s[20:21]
.LBB409_57:
	s_or_b64 exec, exec, s[10:11]
.LBB409_58:
	s_or_b64 exec, exec, s[2:3]
	v_cvt_pkrtz_f16_f32 v34, v45, v39
	v_cvt_pkrtz_f16_f32 v35, v47, v46
	;; [unrolled: 1-line block ×4, first 2 shown]
	v_mfma_f32_4x4x4f16 a[0:3], v[18:19], v[34:35], 0 cbsz:4
	v_mov_b32_e32 v40, 0
	v_mfma_f32_4x4x4f16 a[0:3], v[20:21], v[46:47], a[0:3] cbsz:4
	v_mov_b32_e32 v39, 0
	v_cmp_ne_u16_sdwa s[10:11], v36, v40 src0_sel:BYTE_0 src1_sel:DWORD
	s_and_saveexec_b64 s[2:3], s[10:11]
	s_cbranch_execz .LBB409_64
; %bb.59:
	s_movk_i32 s9, 0x80
	v_cmp_ne_u16_sdwa s[20:21], v36, s9 src0_sel:BYTE_0 src1_sel:DWORD
	v_bfrev_b32_e32 v39, 1
	s_and_saveexec_b64 s[10:11], s[20:21]
	s_cbranch_execz .LBB409_63
; %bb.60:
	s_movk_i32 s9, 0x7f
	v_and_b32_e32 v34, 0x7f, v36
	v_cmp_ne_u32_e32 vcc, s9, v34
	v_mov_b32_e32 v39, 0x7f800001
	s_and_saveexec_b64 s[20:21], vcc
	s_cbranch_execz .LBB409_62
; %bb.61:
	v_and_b32_e32 v35, 7, v36
	v_ffbh_u32_e32 v35, v35
	v_min_u32_e32 v35, 32, v35
	v_subrev_u32_e32 v39, 28, v35
	v_cmp_gt_u32_e32 vcc, 8, v34
	v_lshrrev_b32_e32 v38, 3, v34
	v_sub_u32_e32 v35, 29, v35
	v_cndmask_b32_e32 v34, 0, v39, vcc
	v_cndmask_b32_e32 v38, v38, v35, vcc
	v_lshlrev_b64 v[34:35], v34, v[36:37]
	v_lshlrev_b32_e32 v34, 20, v34
	v_lshlrev_b32_e32 v35, 24, v36
	v_bfrev_b32_e32 v39, 60
	v_and_b32_e32 v34, 0x700000, v34
	v_and_b32_e32 v35, 0x80000000, v35
	v_lshl_add_u32 v38, v38, 23, v39
	v_or3_b32 v39, v35, v38, v34
.LBB409_62:
	s_or_b64 exec, exec, s[20:21]
.LBB409_63:
	s_or_b64 exec, exec, s[10:11]
.LBB409_64:
	s_or_b64 exec, exec, s[2:3]
	v_lshrrev_b16_e32 v34, 8, v36
	v_cmp_ne_u16_e32 vcc, 0, v34
	v_mov_b32_e32 v41, 0
	s_and_saveexec_b64 s[2:3], vcc
	s_cbranch_execz .LBB409_70
; %bb.65:
	s_movk_i32 s9, 0x80
	v_cmp_ne_u16_e32 vcc, s9, v34
	v_bfrev_b32_e32 v41, 1
	s_and_saveexec_b64 s[10:11], vcc
	s_cbranch_execz .LBB409_69
; %bb.66:
	s_movk_i32 s9, 0x7f
	v_and_b32_e32 v35, 0x7f, v34
	v_cmp_ne_u32_e32 vcc, s9, v35
	v_mov_b32_e32 v41, 0x7f800001
	s_and_saveexec_b64 s[20:21], vcc
	s_cbranch_execz .LBB409_68
; %bb.67:
	v_and_b32_e32 v38, 7, v34
	v_ffbh_u32_e32 v45, v38
	v_min_u32_e32 v45, 32, v45
	v_subrev_u32_e32 v46, 28, v45
	v_lshlrev_b64 v[46:47], v46, v[34:35]
	v_lshrrev_b32_e32 v41, 3, v35
	v_sub_u32_e32 v34, 29, v45
	v_and_b32_e32 v45, 7, v46
	v_cmp_gt_u32_e32 vcc, 8, v35
	v_cndmask_b32_e32 v34, v41, v34, vcc
	v_cndmask_b32_e32 v35, v38, v45, vcc
	v_lshlrev_b32_e32 v38, 16, v36
	v_bfrev_b32_e32 v41, 60
	v_lshlrev_b32_e32 v35, 20, v35
	v_and_b32_e32 v38, 0x80000000, v38
	v_lshl_add_u32 v34, v34, 23, v41
	v_or3_b32 v41, v38, v34, v35
.LBB409_68:
	s_or_b64 exec, exec, s[20:21]
.LBB409_69:
	s_or_b64 exec, exec, s[10:11]
.LBB409_70:
	s_or_b64 exec, exec, s[2:3]
	s_movk_i32 s2, 0xff
	v_and_b32_sdwa v35, v36, s2 dst_sel:DWORD dst_unused:UNUSED_PAD src0_sel:WORD_1 src1_sel:DWORD
	v_lshrrev_b32_e32 v34, 16, v36
	v_cmp_ne_u16_e32 vcc, 0, v35
	s_and_saveexec_b64 s[2:3], vcc
	s_cbranch_execz .LBB409_76
; %bb.71:
	s_movk_i32 s9, 0x80
	v_cmp_ne_u16_e32 vcc, s9, v35
	v_bfrev_b32_e32 v40, 1
	s_and_saveexec_b64 s[10:11], vcc
	s_cbranch_execz .LBB409_75
; %bb.72:
	v_bfe_u32 v35, v36, 16, 7
	s_movk_i32 s9, 0x7f
	v_cmp_ne_u32_e32 vcc, s9, v35
	v_mov_b32_e32 v40, 0x7f800001
	s_and_saveexec_b64 s[20:21], vcc
	s_cbranch_execz .LBB409_74
; %bb.73:
	v_and_b32_e32 v38, 7, v34
	v_ffbh_u32_e32 v45, v38
	v_min_u32_e32 v45, 32, v45
	v_subrev_u32_e32 v46, 28, v45
	v_lshlrev_b64 v[46:47], v46, v[34:35]
	v_sub_u32_e32 v34, 29, v45
	v_and_b32_e32 v45, 7, v46
	v_cmp_gt_u32_e32 vcc, 8, v35
	v_lshrrev_b32_e32 v40, 3, v35
	v_cndmask_b32_e32 v35, v38, v45, vcc
	v_mov_b32_e32 v38, 24
	v_cndmask_b32_e32 v34, v40, v34, vcc
	v_lshlrev_b32_sdwa v38, v38, v36 dst_sel:DWORD dst_unused:UNUSED_PAD src0_sel:DWORD src1_sel:WORD_1
	v_bfrev_b32_e32 v40, 60
	v_lshlrev_b32_e32 v35, 20, v35
	v_and_b32_e32 v38, 0x80000000, v38
	v_lshl_add_u32 v34, v34, 23, v40
	v_or3_b32 v40, v38, v34, v35
.LBB409_74:
	s_or_b64 exec, exec, s[20:21]
.LBB409_75:
	s_or_b64 exec, exec, s[10:11]
.LBB409_76:
	s_or_b64 exec, exec, s[2:3]
	s_mov_b32 s2, 0xffffff
	v_cmp_lt_u32_e32 vcc, s2, v36
	v_mov_b32_e32 v35, 0
	v_mov_b32_e32 v45, 0
	s_and_saveexec_b64 s[2:3], vcc
	s_cbranch_execz .LBB409_82
; %bb.77:
	v_lshrrev_b32_e32 v34, 24, v36
	s_movk_i32 s9, 0x80
	v_cmp_ne_u32_e32 vcc, s9, v34
	v_bfrev_b32_e32 v45, 1
	s_and_saveexec_b64 s[10:11], vcc
	s_cbranch_execz .LBB409_81
; %bb.78:
	v_bfe_u32 v38, v36, 24, 7
	s_movk_i32 s9, 0x7f
	v_cmp_ne_u32_e32 vcc, s9, v38
	v_mov_b32_e32 v45, 0x7f800001
	s_and_saveexec_b64 s[20:21], vcc
	s_cbranch_execz .LBB409_80
; %bb.79:
	v_and_b32_e32 v45, 7, v34
	v_ffbh_u32_e32 v46, v45
	v_min_u32_e32 v49, 32, v46
	v_subrev_u32_e32 v46, 28, v49
	v_lshlrev_b64 v[46:47], v46, v[34:35]
	v_lshrrev_b32_e32 v48, 3, v38
	v_sub_u32_e32 v47, 29, v49
	v_and_b32_e32 v46, 7, v46
	v_cmp_gt_u32_e32 vcc, 8, v38
	v_cndmask_b32_e32 v38, v48, v47, vcc
	v_cndmask_b32_e32 v45, v45, v46, vcc
	v_lshlrev_b32_e32 v34, 24, v34
	v_bfrev_b32_e32 v46, 60
	v_lshlrev_b32_e32 v45, 20, v45
	v_and_b32_e32 v34, 0x80000000, v34
	v_lshl_add_u32 v38, v38, 23, v46
	v_or3_b32 v45, v34, v38, v45
.LBB409_80:
	s_or_b64 exec, exec, s[20:21]
.LBB409_81:
	s_or_b64 exec, exec, s[10:11]
.LBB409_82:
	s_or_b64 exec, exec, s[2:3]
	v_mov_b32_e32 v34, v37
	v_cmp_ne_u16_sdwa s[10:11], v37, v35 src0_sel:BYTE_0 src1_sel:DWORD
	s_and_saveexec_b64 s[2:3], s[10:11]
	s_cbranch_execz .LBB409_88
; %bb.83:
	s_movk_i32 s9, 0x80
	v_cmp_ne_u16_sdwa s[20:21], v37, s9 src0_sel:BYTE_0 src1_sel:DWORD
	v_bfrev_b32_e32 v38, 1
	s_and_saveexec_b64 s[10:11], s[20:21]
	s_cbranch_execz .LBB409_87
; %bb.84:
	s_movk_i32 s9, 0x7f
	v_and_b32_e32 v46, 0x7f, v37
	v_cmp_ne_u32_e32 vcc, s9, v46
	v_mov_b32_e32 v38, 0x7f800001
	s_and_saveexec_b64 s[20:21], vcc
	s_cbranch_execz .LBB409_86
; %bb.85:
	v_and_b32_e32 v38, 7, v37
	v_ffbh_u32_e32 v38, v38
	v_min_u32_e32 v38, 32, v38
	v_subrev_u32_e32 v48, 28, v38
	v_cmp_gt_u32_e32 vcc, 8, v46
	v_lshrrev_b32_e32 v47, 3, v46
	v_sub_u32_e32 v38, 29, v38
	v_cndmask_b32_e32 v46, 0, v48, vcc
	v_cndmask_b32_e32 v38, v47, v38, vcc
	v_lshlrev_b64 v[46:47], v46, v[34:35]
	v_lshlrev_b32_e32 v35, 20, v46
	v_lshlrev_b32_e32 v46, 24, v34
	v_bfrev_b32_e32 v47, 60
	v_and_b32_e32 v35, 0x700000, v35
	v_and_b32_e32 v46, 0x80000000, v46
	v_lshl_add_u32 v38, v38, 23, v47
	v_or3_b32 v38, v46, v38, v35
.LBB409_86:
	s_or_b64 exec, exec, s[20:21]
.LBB409_87:
	s_or_b64 exec, exec, s[10:11]
	v_mov_b32_e32 v35, v38
.LBB409_88:
	s_or_b64 exec, exec, s[2:3]
	v_lshrrev_b16_e32 v38, 8, v34
	v_cmp_ne_u16_e32 vcc, 0, v38
	v_mov_b32_e32 v46, 0
	v_mov_b32_e32 v47, 0
	s_and_saveexec_b64 s[2:3], vcc
	s_cbranch_execz .LBB409_94
; %bb.89:
	s_movk_i32 s9, 0x80
	v_cmp_ne_u16_e32 vcc, s9, v38
	v_bfrev_b32_e32 v47, 1
	s_and_saveexec_b64 s[10:11], vcc
	s_cbranch_execz .LBB409_93
; %bb.90:
	s_movk_i32 s9, 0x7f
	v_and_b32_e32 v48, 0x7f, v38
	v_cmp_ne_u32_e32 vcc, s9, v48
	v_mov_b32_e32 v47, 0x7f800001
	s_and_saveexec_b64 s[20:21], vcc
	s_cbranch_execz .LBB409_92
; %bb.91:
	v_and_b32_e32 v47, 7, v38
	v_ffbh_u32_e32 v50, v47
	v_min_u32_e32 v52, 32, v50
	v_subrev_u32_e32 v50, 28, v52
	v_lshlrev_b64 v[50:51], v50, v[38:39]
	v_lshrrev_b32_e32 v49, 3, v48
	v_sub_u32_e32 v38, 29, v52
	v_and_b32_e32 v50, 7, v50
	v_cmp_gt_u32_e32 vcc, 8, v48
	v_cndmask_b32_e32 v38, v49, v38, vcc
	v_cndmask_b32_e32 v47, v47, v50, vcc
	v_lshlrev_b32_e32 v34, 16, v34
	v_bfrev_b32_e32 v48, 60
	v_lshlrev_b32_e32 v47, 20, v47
	v_and_b32_e32 v34, 0x80000000, v34
	v_lshl_add_u32 v38, v38, 23, v48
	v_or3_b32 v47, v34, v38, v47
.LBB409_92:
	s_or_b64 exec, exec, s[20:21]
.LBB409_93:
	s_or_b64 exec, exec, s[10:11]
.LBB409_94:
	s_or_b64 exec, exec, s[2:3]
	s_movk_i32 s2, 0xff
	v_and_b32_sdwa v38, v37, s2 dst_sel:DWORD dst_unused:UNUSED_PAD src0_sel:WORD_1 src1_sel:DWORD
	v_lshrrev_b32_e32 v34, 16, v37
	v_cmp_ne_u16_e32 vcc, 0, v38
	s_and_saveexec_b64 s[2:3], vcc
	s_cbranch_execz .LBB409_100
; %bb.95:
	s_movk_i32 s9, 0x80
	v_cmp_ne_u16_e32 vcc, s9, v38
	v_bfrev_b32_e32 v46, 1
	s_and_saveexec_b64 s[10:11], vcc
	s_cbranch_execz .LBB409_99
; %bb.96:
	v_bfe_u32 v38, v37, 16, 7
	s_movk_i32 s9, 0x7f
	v_cmp_ne_u32_e32 vcc, s9, v38
	v_mov_b32_e32 v46, 0x7f800001
	s_and_saveexec_b64 s[20:21], vcc
	s_cbranch_execz .LBB409_98
; %bb.97:
	v_and_b32_e32 v46, 7, v34
	v_ffbh_u32_e32 v48, v46
	v_min_u32_e32 v51, 32, v48
	v_subrev_u32_e32 v48, 28, v51
	v_lshlrev_b64 v[48:49], v48, v[34:35]
	v_and_b32_e32 v48, 7, v48
	v_cmp_gt_u32_e32 vcc, 8, v38
	v_lshrrev_b32_e32 v50, 3, v38
	v_sub_u32_e32 v34, 29, v51
	v_cndmask_b32_e32 v38, v46, v48, vcc
	v_mov_b32_e32 v46, 24
	v_cndmask_b32_e32 v34, v50, v34, vcc
	v_lshlrev_b32_sdwa v46, v46, v37 dst_sel:DWORD dst_unused:UNUSED_PAD src0_sel:DWORD src1_sel:WORD_1
	v_bfrev_b32_e32 v48, 60
	v_lshlrev_b32_e32 v38, 20, v38
	v_and_b32_e32 v46, 0x80000000, v46
	v_lshl_add_u32 v34, v34, 23, v48
	v_or3_b32 v46, v46, v34, v38
.LBB409_98:
	s_or_b64 exec, exec, s[20:21]
.LBB409_99:
	s_or_b64 exec, exec, s[10:11]
.LBB409_100:
	s_or_b64 exec, exec, s[2:3]
	s_mov_b32 s2, -1
	s_mov_b32 s3, 0xffffff
	v_cmp_lt_u64_e32 vcc, s[2:3], v[36:37]
	v_mov_b32_e32 v38, 0
	v_mov_b32_e32 v36, 0
	s_and_saveexec_b64 s[2:3], vcc
	s_cbranch_execz .LBB409_106
; %bb.101:
	v_lshrrev_b32_e32 v34, 24, v37
	s_movk_i32 s9, 0x80
	v_cmp_ne_u32_e32 vcc, s9, v34
	v_bfrev_b32_e32 v36, 1
	s_and_saveexec_b64 s[10:11], vcc
	s_cbranch_execz .LBB409_105
; %bb.102:
	v_bfe_u32 v37, v37, 24, 7
	s_movk_i32 s9, 0x7f
	v_cmp_ne_u32_e32 vcc, s9, v37
	v_mov_b32_e32 v36, 0x7f800001
	s_and_saveexec_b64 s[20:21], vcc
	s_cbranch_execz .LBB409_104
; %bb.103:
	v_and_b32_e32 v36, 7, v34
	v_ffbh_u32_e32 v48, v36
	v_min_u32_e32 v51, 32, v48
	v_subrev_u32_e32 v48, 28, v51
	v_lshlrev_b64 v[48:49], v48, v[34:35]
	v_lshrrev_b32_e32 v50, 3, v37
	v_sub_u32_e32 v49, 29, v51
	v_and_b32_e32 v48, 7, v48
	v_cmp_gt_u32_e32 vcc, 8, v37
	v_cndmask_b32_e32 v37, v50, v49, vcc
	v_cndmask_b32_e32 v36, v36, v48, vcc
	v_lshlrev_b32_e32 v34, 24, v34
	v_bfrev_b32_e32 v48, 60
	v_lshlrev_b32_e32 v36, 20, v36
	v_and_b32_e32 v34, 0x80000000, v34
	v_lshl_add_u32 v37, v37, 23, v48
	v_or3_b32 v36, v34, v37, v36
.LBB409_104:
	s_or_b64 exec, exec, s[20:21]
.LBB409_105:
	s_or_b64 exec, exec, s[10:11]
.LBB409_106:
	s_or_b64 exec, exec, s[2:3]
	v_cvt_pkrtz_f16_f32 v48, v39, v41
	v_cvt_pkrtz_f16_f32 v49, v40, v45
	;; [unrolled: 1-line block ×4, first 2 shown]
	v_mfma_f32_4x4x4f16 a[0:3], v[18:19], v[48:49], a[0:3] cbsz:4 abid:1
	s_waitcnt vmcnt(6)
	v_cmp_ne_u16_sdwa s[10:11], v30, v38 src0_sel:BYTE_0 src1_sel:DWORD
	v_mfma_f32_4x4x4f16 a[0:3], v[20:21], v[34:35], a[0:3] cbsz:4 abid:1
	s_and_saveexec_b64 s[2:3], s[10:11]
	s_cbranch_execz .LBB409_112
; %bb.107:
	s_movk_i32 s9, 0x80
	v_cmp_ne_u16_sdwa s[20:21], v30, s9 src0_sel:BYTE_0 src1_sel:DWORD
	v_bfrev_b32_e32 v38, 1
	s_and_saveexec_b64 s[10:11], s[20:21]
	s_cbranch_execz .LBB409_111
; %bb.108:
	s_movk_i32 s9, 0x7f
	v_and_b32_e32 v34, 0x7f, v30
	v_cmp_ne_u32_e32 vcc, s9, v34
	v_mov_b32_e32 v38, 0x7f800001
	s_and_saveexec_b64 s[20:21], vcc
	s_cbranch_execz .LBB409_110
; %bb.109:
	v_and_b32_e32 v35, 7, v30
	v_ffbh_u32_e32 v35, v35
	v_min_u32_e32 v35, 32, v35
	v_subrev_u32_e32 v37, 28, v35
	v_cmp_gt_u32_e32 vcc, 8, v34
	v_lshrrev_b32_e32 v36, 3, v34
	v_sub_u32_e32 v35, 29, v35
	v_cndmask_b32_e32 v34, 0, v37, vcc
	v_cndmask_b32_e32 v36, v36, v35, vcc
	v_lshlrev_b64 v[34:35], v34, v[30:31]
	v_lshlrev_b32_e32 v34, 20, v34
	v_lshlrev_b32_e32 v35, 24, v30
	v_bfrev_b32_e32 v37, 60
	v_and_b32_e32 v34, 0x700000, v34
	v_and_b32_e32 v35, 0x80000000, v35
	v_lshl_add_u32 v36, v36, 23, v37
	v_or3_b32 v38, v35, v36, v34
.LBB409_110:
	s_or_b64 exec, exec, s[20:21]
.LBB409_111:
	s_or_b64 exec, exec, s[10:11]
.LBB409_112:
	s_or_b64 exec, exec, s[2:3]
	v_lshrrev_b16_e32 v34, 8, v30
	v_cmp_ne_u16_e32 vcc, 0, v34
	v_mov_b32_e32 v37, 0
	v_mov_b32_e32 v39, 0
	s_and_saveexec_b64 s[2:3], vcc
	s_cbranch_execz .LBB409_118
; %bb.113:
	s_movk_i32 s9, 0x80
	v_cmp_ne_u16_e32 vcc, s9, v34
	v_bfrev_b32_e32 v39, 1
	s_and_saveexec_b64 s[10:11], vcc
	s_cbranch_execz .LBB409_117
; %bb.114:
	s_movk_i32 s9, 0x7f
	v_and_b32_e32 v35, 0x7f, v34
	v_cmp_ne_u32_e32 vcc, s9, v35
	v_mov_b32_e32 v39, 0x7f800001
	s_and_saveexec_b64 s[20:21], vcc
	s_cbranch_execz .LBB409_116
; %bb.115:
	v_and_b32_e32 v36, 7, v34
	v_ffbh_u32_e32 v40, v36
	v_min_u32_e32 v45, 32, v40
	v_subrev_u32_e32 v40, 28, v45
	v_lshlrev_b64 v[40:41], v40, v[34:35]
	v_lshrrev_b32_e32 v39, 3, v35
	v_sub_u32_e32 v34, 29, v45
	v_and_b32_e32 v40, 7, v40
	v_cmp_gt_u32_e32 vcc, 8, v35
	v_cndmask_b32_e32 v34, v39, v34, vcc
	v_cndmask_b32_e32 v35, v36, v40, vcc
	v_lshlrev_b32_e32 v36, 16, v30
	v_bfrev_b32_e32 v39, 60
	v_lshlrev_b32_e32 v35, 20, v35
	v_and_b32_e32 v36, 0x80000000, v36
	v_lshl_add_u32 v34, v34, 23, v39
	v_or3_b32 v39, v36, v34, v35
.LBB409_116:
	s_or_b64 exec, exec, s[20:21]
.LBB409_117:
	s_or_b64 exec, exec, s[10:11]
.LBB409_118:
	s_or_b64 exec, exec, s[2:3]
	s_movk_i32 s2, 0xff
	v_and_b32_sdwa v35, v30, s2 dst_sel:DWORD dst_unused:UNUSED_PAD src0_sel:WORD_1 src1_sel:DWORD
	v_lshrrev_b32_e32 v34, 16, v30
	v_cmp_ne_u16_e32 vcc, 0, v35
	s_and_saveexec_b64 s[2:3], vcc
	s_cbranch_execz .LBB409_124
; %bb.119:
	s_movk_i32 s9, 0x80
	v_cmp_ne_u16_e32 vcc, s9, v35
	v_bfrev_b32_e32 v37, 1
	s_and_saveexec_b64 s[10:11], vcc
	s_cbranch_execz .LBB409_123
; %bb.120:
	v_bfe_u32 v35, v30, 16, 7
	s_movk_i32 s9, 0x7f
	v_cmp_ne_u32_e32 vcc, s9, v35
	v_mov_b32_e32 v37, 0x7f800001
	s_and_saveexec_b64 s[20:21], vcc
	s_cbranch_execz .LBB409_122
; %bb.121:
	v_and_b32_e32 v40, 7, v34
	v_ffbh_u32_e32 v36, v40
	v_min_u32_e32 v45, 32, v36
	v_subrev_u32_e32 v36, 28, v45
	v_lshlrev_b64 v[36:37], v36, v[34:35]
	v_and_b32_e32 v36, 7, v36
	v_cmp_gt_u32_e32 vcc, 8, v35
	v_lshrrev_b32_e32 v41, 3, v35
	v_sub_u32_e32 v34, 29, v45
	v_cndmask_b32_e32 v35, v40, v36, vcc
	v_mov_b32_e32 v36, 24
	v_cndmask_b32_e32 v34, v41, v34, vcc
	v_lshlrev_b32_sdwa v36, v36, v30 dst_sel:DWORD dst_unused:UNUSED_PAD src0_sel:DWORD src1_sel:WORD_1
	v_bfrev_b32_e32 v37, 60
	v_lshlrev_b32_e32 v35, 20, v35
	v_and_b32_e32 v36, 0x80000000, v36
	v_lshl_add_u32 v34, v34, 23, v37
	v_or3_b32 v37, v36, v34, v35
.LBB409_122:
	s_or_b64 exec, exec, s[20:21]
.LBB409_123:
	s_or_b64 exec, exec, s[10:11]
.LBB409_124:
	s_or_b64 exec, exec, s[2:3]
	s_mov_b32 s2, 0xffffff
	v_cmp_lt_u32_e32 vcc, s2, v30
	v_mov_b32_e32 v35, 0
	v_mov_b32_e32 v40, 0
	s_and_saveexec_b64 s[2:3], vcc
	s_cbranch_execz .LBB409_130
; %bb.125:
	v_lshrrev_b32_e32 v34, 24, v30
	s_movk_i32 s9, 0x80
	v_cmp_ne_u32_e32 vcc, s9, v34
	v_bfrev_b32_e32 v40, 1
	s_and_saveexec_b64 s[10:11], vcc
	s_cbranch_execz .LBB409_129
; %bb.126:
	v_bfe_u32 v36, v30, 24, 7
	s_movk_i32 s9, 0x7f
	v_cmp_ne_u32_e32 vcc, s9, v36
	v_mov_b32_e32 v40, 0x7f800001
	s_and_saveexec_b64 s[20:21], vcc
	s_cbranch_execz .LBB409_128
; %bb.127:
	v_and_b32_e32 v45, 7, v34
	v_ffbh_u32_e32 v40, v45
	v_min_u32_e32 v47, 32, v40
	v_subrev_u32_e32 v40, 28, v47
	v_lshlrev_b64 v[40:41], v40, v[34:35]
	v_lshrrev_b32_e32 v46, 3, v36
	v_sub_u32_e32 v41, 29, v47
	v_and_b32_e32 v40, 7, v40
	v_cmp_gt_u32_e32 vcc, 8, v36
	v_cndmask_b32_e32 v36, v46, v41, vcc
	v_cndmask_b32_e32 v40, v45, v40, vcc
	v_lshlrev_b32_e32 v34, 24, v34
	v_bfrev_b32_e32 v41, 60
	v_lshlrev_b32_e32 v40, 20, v40
	v_and_b32_e32 v34, 0x80000000, v34
	v_lshl_add_u32 v36, v36, 23, v41
	v_or3_b32 v40, v34, v36, v40
.LBB409_128:
	s_or_b64 exec, exec, s[20:21]
.LBB409_129:
	s_or_b64 exec, exec, s[10:11]
.LBB409_130:
	s_or_b64 exec, exec, s[2:3]
	v_mov_b32_e32 v34, v31
	v_cmp_ne_u16_sdwa s[10:11], v31, v35 src0_sel:BYTE_0 src1_sel:DWORD
	s_and_saveexec_b64 s[2:3], s[10:11]
	s_cbranch_execz .LBB409_136
; %bb.131:
	s_movk_i32 s9, 0x80
	v_cmp_ne_u16_sdwa s[20:21], v31, s9 src0_sel:BYTE_0 src1_sel:DWORD
	v_bfrev_b32_e32 v36, 1
	s_and_saveexec_b64 s[10:11], s[20:21]
	s_cbranch_execz .LBB409_135
; %bb.132:
	s_movk_i32 s9, 0x7f
	v_and_b32_e32 v41, 0x7f, v31
	v_cmp_ne_u32_e32 vcc, s9, v41
	v_mov_b32_e32 v36, 0x7f800001
	s_and_saveexec_b64 s[20:21], vcc
	s_cbranch_execz .LBB409_134
; %bb.133:
	v_and_b32_e32 v36, 7, v31
	v_ffbh_u32_e32 v36, v36
	v_min_u32_e32 v36, 32, v36
	v_subrev_u32_e32 v46, 28, v36
	v_cmp_gt_u32_e32 vcc, 8, v41
	v_lshrrev_b32_e32 v45, 3, v41
	v_cndmask_b32_e32 v41, 0, v46, vcc
	v_sub_u32_e32 v36, 29, v36
	v_lshlrev_b64 v[46:47], v41, v[34:35]
	v_cndmask_b32_e32 v36, v45, v36, vcc
	v_lshlrev_b32_e32 v35, 20, v46
	v_lshlrev_b32_e32 v41, 24, v34
	v_bfrev_b32_e32 v45, 60
	v_and_b32_e32 v35, 0x700000, v35
	v_and_b32_e32 v41, 0x80000000, v41
	v_lshl_add_u32 v36, v36, 23, v45
	v_or3_b32 v36, v41, v36, v35
.LBB409_134:
	s_or_b64 exec, exec, s[20:21]
.LBB409_135:
	s_or_b64 exec, exec, s[10:11]
	v_mov_b32_e32 v35, v36
.LBB409_136:
	s_or_b64 exec, exec, s[2:3]
	v_lshrrev_b16_e32 v36, 8, v34
	v_cmp_ne_u16_e32 vcc, 0, v36
	v_mov_b32_e32 v41, 0
	v_mov_b32_e32 v45, 0
	s_and_saveexec_b64 s[2:3], vcc
	s_cbranch_execz .LBB409_142
; %bb.137:
	s_movk_i32 s9, 0x80
	v_cmp_ne_u16_e32 vcc, s9, v36
	v_bfrev_b32_e32 v45, 1
	s_and_saveexec_b64 s[10:11], vcc
	s_cbranch_execz .LBB409_141
; %bb.138:
	s_movk_i32 s9, 0x7f
	v_and_b32_e32 v46, 0x7f, v36
	v_cmp_ne_u32_e32 vcc, s9, v46
	v_mov_b32_e32 v45, 0x7f800001
	s_and_saveexec_b64 s[20:21], vcc
	s_cbranch_execz .LBB409_140
; %bb.139:
	v_and_b32_e32 v45, 7, v36
	v_ffbh_u32_e32 v48, v45
	v_min_u32_e32 v50, 32, v48
	v_subrev_u32_e32 v48, 28, v50
	v_lshlrev_b64 v[48:49], v48, v[36:37]
	v_lshrrev_b32_e32 v47, 3, v46
	v_sub_u32_e32 v36, 29, v50
	v_and_b32_e32 v48, 7, v48
	v_cmp_gt_u32_e32 vcc, 8, v46
	v_cndmask_b32_e32 v36, v47, v36, vcc
	v_cndmask_b32_e32 v45, v45, v48, vcc
	v_lshlrev_b32_e32 v34, 16, v34
	v_bfrev_b32_e32 v46, 60
	v_lshlrev_b32_e32 v45, 20, v45
	v_and_b32_e32 v34, 0x80000000, v34
	v_lshl_add_u32 v36, v36, 23, v46
	v_or3_b32 v45, v34, v36, v45
.LBB409_140:
	s_or_b64 exec, exec, s[20:21]
.LBB409_141:
	s_or_b64 exec, exec, s[10:11]
.LBB409_142:
	s_or_b64 exec, exec, s[2:3]
	s_movk_i32 s2, 0xff
	v_and_b32_sdwa v36, v31, s2 dst_sel:DWORD dst_unused:UNUSED_PAD src0_sel:WORD_1 src1_sel:DWORD
	v_lshrrev_b32_e32 v34, 16, v31
	v_cmp_ne_u16_e32 vcc, 0, v36
	s_and_saveexec_b64 s[2:3], vcc
	s_cbranch_execz .LBB409_148
; %bb.143:
	s_movk_i32 s9, 0x80
	v_cmp_ne_u16_e32 vcc, s9, v36
	v_bfrev_b32_e32 v41, 1
	s_and_saveexec_b64 s[10:11], vcc
	s_cbranch_execz .LBB409_147
; %bb.144:
	v_bfe_u32 v36, v31, 16, 7
	s_movk_i32 s9, 0x7f
	v_cmp_ne_u32_e32 vcc, s9, v36
	v_mov_b32_e32 v41, 0x7f800001
	s_and_saveexec_b64 s[20:21], vcc
	s_cbranch_execz .LBB409_146
; %bb.145:
	v_and_b32_e32 v41, 7, v34
	v_ffbh_u32_e32 v46, v41
	v_min_u32_e32 v49, 32, v46
	v_subrev_u32_e32 v46, 28, v49
	v_lshlrev_b64 v[46:47], v46, v[34:35]
	v_and_b32_e32 v46, 7, v46
	v_cmp_gt_u32_e32 vcc, 8, v36
	v_lshrrev_b32_e32 v48, 3, v36
	v_sub_u32_e32 v34, 29, v49
	v_cndmask_b32_e32 v36, v41, v46, vcc
	v_mov_b32_e32 v41, 24
	v_cndmask_b32_e32 v34, v48, v34, vcc
	v_lshlrev_b32_sdwa v41, v41, v31 dst_sel:DWORD dst_unused:UNUSED_PAD src0_sel:DWORD src1_sel:WORD_1
	v_bfrev_b32_e32 v46, 60
	v_lshlrev_b32_e32 v36, 20, v36
	v_and_b32_e32 v41, 0x80000000, v41
	v_lshl_add_u32 v34, v34, 23, v46
	v_or3_b32 v41, v41, v34, v36
.LBB409_146:
	s_or_b64 exec, exec, s[20:21]
.LBB409_147:
	s_or_b64 exec, exec, s[10:11]
.LBB409_148:
	s_or_b64 exec, exec, s[2:3]
	s_mov_b32 s2, -1
	s_mov_b32 s3, 0xffffff
	v_cmp_lt_u64_e32 vcc, s[2:3], v[30:31]
	v_mov_b32_e32 v36, 0
	v_mov_b32_e32 v34, 0
	s_and_saveexec_b64 s[2:3], vcc
	s_cbranch_execz .LBB409_154
; %bb.149:
	v_lshrrev_b32_e32 v30, 24, v31
	s_movk_i32 s9, 0x80
	v_cmp_ne_u32_e32 vcc, s9, v30
	v_bfrev_b32_e32 v34, 1
	s_and_saveexec_b64 s[10:11], vcc
	s_cbranch_execz .LBB409_153
; %bb.150:
	v_bfe_u32 v31, v31, 24, 7
	s_movk_i32 s9, 0x7f
	v_cmp_ne_u32_e32 vcc, s9, v31
	v_mov_b32_e32 v34, 0x7f800001
	s_and_saveexec_b64 s[20:21], vcc
	s_cbranch_execz .LBB409_152
; %bb.151:
	v_and_b32_e32 v34, 7, v30
	v_ffbh_u32_e32 v46, v34
	v_min_u32_e32 v49, 32, v46
	v_subrev_u32_e32 v46, 28, v49
	v_lshlrev_b64 v[46:47], v46, v[30:31]
	v_lshrrev_b32_e32 v48, 3, v31
	v_sub_u32_e32 v47, 29, v49
	v_and_b32_e32 v46, 7, v46
	v_cmp_gt_u32_e32 vcc, 8, v31
	v_cndmask_b32_e32 v31, v48, v47, vcc
	v_cndmask_b32_e32 v34, v34, v46, vcc
	v_lshlrev_b32_e32 v30, 24, v30
	v_bfrev_b32_e32 v46, 60
	v_lshlrev_b32_e32 v34, 20, v34
	v_and_b32_e32 v30, 0x80000000, v30
	v_lshl_add_u32 v31, v31, 23, v46
	v_or3_b32 v34, v30, v31, v34
.LBB409_152:
	s_or_b64 exec, exec, s[20:21]
.LBB409_153:
	s_or_b64 exec, exec, s[10:11]
.LBB409_154:
	s_or_b64 exec, exec, s[2:3]
	v_cvt_pkrtz_f16_f32 v30, v38, v39
	v_cvt_pkrtz_f16_f32 v31, v37, v40
	v_cvt_pkrtz_f16_f32 v38, v35, v45
	v_cvt_pkrtz_f16_f32 v39, v41, v34
	v_mfma_f32_4x4x4f16 a[0:3], v[18:19], v[30:31], a[0:3] cbsz:4 abid:2
	v_cmp_ne_u16_sdwa s[10:11], v32, v36 src0_sel:BYTE_0 src1_sel:DWORD
	v_mfma_f32_4x4x4f16 a[0:3], v[20:21], v[38:39], a[0:3] cbsz:4 abid:2
	s_and_saveexec_b64 s[2:3], s[10:11]
	s_cbranch_execz .LBB409_160
; %bb.155:
	s_movk_i32 s9, 0x80
	v_cmp_ne_u16_sdwa s[20:21], v32, s9 src0_sel:BYTE_0 src1_sel:DWORD
	v_bfrev_b32_e32 v36, 1
	s_and_saveexec_b64 s[10:11], s[20:21]
	s_cbranch_execz .LBB409_159
; %bb.156:
	s_movk_i32 s9, 0x7f
	v_and_b32_e32 v30, 0x7f, v32
	v_cmp_ne_u32_e32 vcc, s9, v30
	v_mov_b32_e32 v36, 0x7f800001
	s_and_saveexec_b64 s[20:21], vcc
	s_cbranch_execz .LBB409_158
; %bb.157:
	v_and_b32_e32 v31, 7, v32
	v_ffbh_u32_e32 v31, v31
	v_min_u32_e32 v31, 32, v31
	v_subrev_u32_e32 v35, 28, v31
	v_cmp_gt_u32_e32 vcc, 8, v30
	v_lshrrev_b32_e32 v34, 3, v30
	v_sub_u32_e32 v31, 29, v31
	v_cndmask_b32_e32 v30, 0, v35, vcc
	v_cndmask_b32_e32 v34, v34, v31, vcc
	v_lshlrev_b64 v[30:31], v30, v[32:33]
	v_lshlrev_b32_e32 v30, 20, v30
	v_lshlrev_b32_e32 v31, 24, v32
	v_bfrev_b32_e32 v35, 60
	v_and_b32_e32 v30, 0x700000, v30
	v_and_b32_e32 v31, 0x80000000, v31
	v_lshl_add_u32 v34, v34, 23, v35
	v_or3_b32 v36, v31, v34, v30
.LBB409_158:
	s_or_b64 exec, exec, s[20:21]
.LBB409_159:
	s_or_b64 exec, exec, s[10:11]
.LBB409_160:
	s_or_b64 exec, exec, s[2:3]
	v_lshrrev_b16_e32 v30, 8, v32
	v_cmp_ne_u16_e32 vcc, 0, v30
	v_mov_b32_e32 v35, 0
	v_mov_b32_e32 v37, 0
	s_and_saveexec_b64 s[2:3], vcc
	s_cbranch_execz .LBB409_166
; %bb.161:
	s_movk_i32 s9, 0x80
	v_cmp_ne_u16_e32 vcc, s9, v30
	v_bfrev_b32_e32 v37, 1
	s_and_saveexec_b64 s[10:11], vcc
	s_cbranch_execz .LBB409_165
; %bb.162:
	s_movk_i32 s9, 0x7f
	v_and_b32_e32 v31, 0x7f, v30
	v_cmp_ne_u32_e32 vcc, s9, v31
	v_mov_b32_e32 v37, 0x7f800001
	s_and_saveexec_b64 s[20:21], vcc
	s_cbranch_execz .LBB409_164
; %bb.163:
	v_and_b32_e32 v34, 7, v30
	v_ffbh_u32_e32 v38, v34
	v_min_u32_e32 v40, 32, v38
	v_subrev_u32_e32 v38, 28, v40
	v_lshlrev_b64 v[38:39], v38, v[30:31]
	v_lshrrev_b32_e32 v37, 3, v31
	v_sub_u32_e32 v30, 29, v40
	v_and_b32_e32 v38, 7, v38
	v_cmp_gt_u32_e32 vcc, 8, v31
	v_cndmask_b32_e32 v30, v37, v30, vcc
	v_cndmask_b32_e32 v31, v34, v38, vcc
	v_lshlrev_b32_e32 v34, 16, v32
	v_bfrev_b32_e32 v37, 60
	v_lshlrev_b32_e32 v31, 20, v31
	v_and_b32_e32 v34, 0x80000000, v34
	v_lshl_add_u32 v30, v30, 23, v37
	v_or3_b32 v37, v34, v30, v31
.LBB409_164:
	s_or_b64 exec, exec, s[20:21]
.LBB409_165:
	s_or_b64 exec, exec, s[10:11]
.LBB409_166:
	s_or_b64 exec, exec, s[2:3]
	s_movk_i32 s2, 0xff
	v_and_b32_sdwa v31, v32, s2 dst_sel:DWORD dst_unused:UNUSED_PAD src0_sel:WORD_1 src1_sel:DWORD
	v_lshrrev_b32_e32 v30, 16, v32
	v_cmp_ne_u16_e32 vcc, 0, v31
	s_and_saveexec_b64 s[2:3], vcc
	s_cbranch_execz .LBB409_172
; %bb.167:
	s_movk_i32 s9, 0x80
	v_cmp_ne_u16_e32 vcc, s9, v31
	v_bfrev_b32_e32 v35, 1
	s_and_saveexec_b64 s[10:11], vcc
	s_cbranch_execz .LBB409_171
; %bb.168:
	v_bfe_u32 v31, v32, 16, 7
	s_movk_i32 s9, 0x7f
	v_cmp_ne_u32_e32 vcc, s9, v31
	v_mov_b32_e32 v35, 0x7f800001
	s_and_saveexec_b64 s[20:21], vcc
	s_cbranch_execz .LBB409_170
; %bb.169:
	v_and_b32_e32 v38, 7, v30
	v_ffbh_u32_e32 v34, v38
	v_min_u32_e32 v40, 32, v34
	v_subrev_u32_e32 v34, 28, v40
	v_lshlrev_b64 v[34:35], v34, v[30:31]
	v_and_b32_e32 v34, 7, v34
	v_cmp_gt_u32_e32 vcc, 8, v31
	v_lshrrev_b32_e32 v39, 3, v31
	v_sub_u32_e32 v30, 29, v40
	v_cndmask_b32_e32 v31, v38, v34, vcc
	v_mov_b32_e32 v34, 24
	v_cndmask_b32_e32 v30, v39, v30, vcc
	v_lshlrev_b32_sdwa v34, v34, v32 dst_sel:DWORD dst_unused:UNUSED_PAD src0_sel:DWORD src1_sel:WORD_1
	v_bfrev_b32_e32 v35, 60
	v_lshlrev_b32_e32 v31, 20, v31
	v_and_b32_e32 v34, 0x80000000, v34
	v_lshl_add_u32 v30, v30, 23, v35
	v_or3_b32 v35, v34, v30, v31
.LBB409_170:
	s_or_b64 exec, exec, s[20:21]
.LBB409_171:
	s_or_b64 exec, exec, s[10:11]
.LBB409_172:
	s_or_b64 exec, exec, s[2:3]
	s_mov_b32 s2, 0xffffff
	v_cmp_lt_u32_e32 vcc, s2, v32
	v_mov_b32_e32 v31, 0
	v_mov_b32_e32 v38, 0
	s_and_saveexec_b64 s[2:3], vcc
	s_cbranch_execz .LBB409_178
; %bb.173:
	v_lshrrev_b32_e32 v30, 24, v32
	s_movk_i32 s9, 0x80
	v_cmp_ne_u32_e32 vcc, s9, v30
	v_bfrev_b32_e32 v38, 1
	s_and_saveexec_b64 s[10:11], vcc
	s_cbranch_execz .LBB409_177
; %bb.174:
	v_bfe_u32 v34, v32, 24, 7
	s_movk_i32 s9, 0x7f
	v_cmp_ne_u32_e32 vcc, s9, v34
	v_mov_b32_e32 v38, 0x7f800001
	s_and_saveexec_b64 s[20:21], vcc
	s_cbranch_execz .LBB409_176
; %bb.175:
	v_and_b32_e32 v40, 7, v30
	v_ffbh_u32_e32 v38, v40
	v_min_u32_e32 v45, 32, v38
	v_subrev_u32_e32 v38, 28, v45
	v_lshlrev_b64 v[38:39], v38, v[30:31]
	v_lshrrev_b32_e32 v41, 3, v34
	v_sub_u32_e32 v39, 29, v45
	v_and_b32_e32 v38, 7, v38
	v_cmp_gt_u32_e32 vcc, 8, v34
	v_cndmask_b32_e32 v34, v41, v39, vcc
	v_cndmask_b32_e32 v38, v40, v38, vcc
	v_lshlrev_b32_e32 v30, 24, v30
	v_bfrev_b32_e32 v39, 60
	v_lshlrev_b32_e32 v38, 20, v38
	v_and_b32_e32 v30, 0x80000000, v30
	v_lshl_add_u32 v34, v34, 23, v39
	v_or3_b32 v38, v30, v34, v38
.LBB409_176:
	s_or_b64 exec, exec, s[20:21]
.LBB409_177:
	s_or_b64 exec, exec, s[10:11]
.LBB409_178:
	s_or_b64 exec, exec, s[2:3]
	v_mov_b32_e32 v30, v33
	v_cmp_ne_u16_sdwa s[10:11], v33, v31 src0_sel:BYTE_0 src1_sel:DWORD
	s_and_saveexec_b64 s[2:3], s[10:11]
	s_cbranch_execz .LBB409_184
; %bb.179:
	s_movk_i32 s9, 0x80
	v_cmp_ne_u16_sdwa s[20:21], v33, s9 src0_sel:BYTE_0 src1_sel:DWORD
	v_bfrev_b32_e32 v34, 1
	s_and_saveexec_b64 s[10:11], s[20:21]
	s_cbranch_execz .LBB409_183
; %bb.180:
	s_movk_i32 s9, 0x7f
	v_and_b32_e32 v39, 0x7f, v33
	v_cmp_ne_u32_e32 vcc, s9, v39
	v_mov_b32_e32 v34, 0x7f800001
	s_and_saveexec_b64 s[20:21], vcc
	s_cbranch_execz .LBB409_182
; %bb.181:
	v_and_b32_e32 v34, 7, v33
	v_ffbh_u32_e32 v34, v34
	v_min_u32_e32 v34, 32, v34
	v_subrev_u32_e32 v41, 28, v34
	v_cmp_gt_u32_e32 vcc, 8, v39
	v_lshrrev_b32_e32 v40, 3, v39
	v_sub_u32_e32 v34, 29, v34
	v_cndmask_b32_e32 v39, 0, v41, vcc
	v_cndmask_b32_e32 v34, v40, v34, vcc
	v_lshlrev_b64 v[40:41], v39, v[30:31]
	v_lshlrev_b32_e32 v31, 20, v40
	v_lshlrev_b32_e32 v39, 24, v30
	v_bfrev_b32_e32 v40, 60
	v_and_b32_e32 v31, 0x700000, v31
	v_and_b32_e32 v39, 0x80000000, v39
	v_lshl_add_u32 v34, v34, 23, v40
	v_or3_b32 v34, v39, v34, v31
.LBB409_182:
	s_or_b64 exec, exec, s[20:21]
.LBB409_183:
	s_or_b64 exec, exec, s[10:11]
	v_mov_b32_e32 v31, v34
.LBB409_184:
	s_or_b64 exec, exec, s[2:3]
	v_lshrrev_b16_e32 v34, 8, v30
	v_cmp_ne_u16_e32 vcc, 0, v34
	v_mov_b32_e32 v39, 0
	v_mov_b32_e32 v40, 0
	s_and_saveexec_b64 s[2:3], vcc
	s_cbranch_execz .LBB409_190
; %bb.185:
	s_movk_i32 s9, 0x80
	v_cmp_ne_u16_e32 vcc, s9, v34
	v_bfrev_b32_e32 v40, 1
	s_and_saveexec_b64 s[10:11], vcc
	s_cbranch_execz .LBB409_189
; %bb.186:
	s_movk_i32 s9, 0x7f
	v_and_b32_e32 v41, 0x7f, v34
	v_cmp_ne_u32_e32 vcc, s9, v41
	v_mov_b32_e32 v40, 0x7f800001
	s_and_saveexec_b64 s[20:21], vcc
	s_cbranch_execz .LBB409_188
; %bb.187:
	v_and_b32_e32 v40, 7, v34
	v_ffbh_u32_e32 v46, v40
	v_min_u32_e32 v48, 32, v46
	v_subrev_u32_e32 v46, 28, v48
	v_lshlrev_b64 v[46:47], v46, v[34:35]
	v_lshrrev_b32_e32 v45, 3, v41
	v_sub_u32_e32 v34, 29, v48
	v_and_b32_e32 v46, 7, v46
	v_cmp_gt_u32_e32 vcc, 8, v41
	v_cndmask_b32_e32 v34, v45, v34, vcc
	v_cndmask_b32_e32 v40, v40, v46, vcc
	v_lshlrev_b32_e32 v30, 16, v30
	v_bfrev_b32_e32 v41, 60
	v_lshlrev_b32_e32 v40, 20, v40
	v_and_b32_e32 v30, 0x80000000, v30
	v_lshl_add_u32 v34, v34, 23, v41
	v_or3_b32 v40, v30, v34, v40
.LBB409_188:
	s_or_b64 exec, exec, s[20:21]
.LBB409_189:
	s_or_b64 exec, exec, s[10:11]
.LBB409_190:
	s_or_b64 exec, exec, s[2:3]
	s_movk_i32 s2, 0xff
	v_and_b32_sdwa v34, v33, s2 dst_sel:DWORD dst_unused:UNUSED_PAD src0_sel:WORD_1 src1_sel:DWORD
	v_lshrrev_b32_e32 v30, 16, v33
	v_cmp_ne_u16_e32 vcc, 0, v34
	s_and_saveexec_b64 s[2:3], vcc
	s_cbranch_execz .LBB409_196
; %bb.191:
	s_movk_i32 s9, 0x80
	v_cmp_ne_u16_e32 vcc, s9, v34
	v_bfrev_b32_e32 v39, 1
	s_and_saveexec_b64 s[10:11], vcc
	s_cbranch_execz .LBB409_195
; %bb.192:
	v_bfe_u32 v34, v33, 16, 7
	s_movk_i32 s9, 0x7f
	v_cmp_ne_u32_e32 vcc, s9, v34
	v_mov_b32_e32 v39, 0x7f800001
	s_and_saveexec_b64 s[20:21], vcc
	s_cbranch_execz .LBB409_194
; %bb.193:
	v_and_b32_e32 v39, 7, v30
	v_ffbh_u32_e32 v45, v39
	v_min_u32_e32 v45, 32, v45
	v_subrev_u32_e32 v46, 28, v45
	v_lshlrev_b64 v[46:47], v46, v[30:31]
	v_sub_u32_e32 v30, 29, v45
	v_and_b32_e32 v45, 7, v46
	v_cmp_gt_u32_e32 vcc, 8, v34
	v_lshrrev_b32_e32 v41, 3, v34
	v_cndmask_b32_e32 v34, v39, v45, vcc
	v_mov_b32_e32 v39, 24
	v_cndmask_b32_e32 v30, v41, v30, vcc
	v_lshlrev_b32_sdwa v39, v39, v33 dst_sel:DWORD dst_unused:UNUSED_PAD src0_sel:DWORD src1_sel:WORD_1
	v_bfrev_b32_e32 v41, 60
	v_lshlrev_b32_e32 v34, 20, v34
	v_and_b32_e32 v39, 0x80000000, v39
	v_lshl_add_u32 v30, v30, 23, v41
	v_or3_b32 v39, v39, v30, v34
.LBB409_194:
	s_or_b64 exec, exec, s[20:21]
.LBB409_195:
	s_or_b64 exec, exec, s[10:11]
.LBB409_196:
	s_or_b64 exec, exec, s[2:3]
	s_mov_b32 s2, -1
	s_mov_b32 s3, 0xffffff
	v_cmp_lt_u64_e32 vcc, s[2:3], v[32:33]
	v_mov_b32_e32 v34, 0
	v_mov_b32_e32 v32, 0
	s_and_saveexec_b64 s[2:3], vcc
	s_cbranch_execz .LBB409_202
; %bb.197:
	v_lshrrev_b32_e32 v30, 24, v33
	s_movk_i32 s9, 0x80
	v_cmp_ne_u32_e32 vcc, s9, v30
	v_bfrev_b32_e32 v32, 1
	s_and_saveexec_b64 s[10:11], vcc
	s_cbranch_execz .LBB409_201
; %bb.198:
	v_bfe_u32 v33, v33, 24, 7
	s_movk_i32 s9, 0x7f
	v_cmp_ne_u32_e32 vcc, s9, v33
	v_mov_b32_e32 v32, 0x7f800001
	s_and_saveexec_b64 s[20:21], vcc
	s_cbranch_execz .LBB409_200
; %bb.199:
	v_and_b32_e32 v32, 7, v30
	v_ffbh_u32_e32 v45, v32
	v_min_u32_e32 v45, 32, v45
	v_subrev_u32_e32 v46, 28, v45
	v_lshlrev_b64 v[46:47], v46, v[30:31]
	v_lshrrev_b32_e32 v41, 3, v33
	v_sub_u32_e32 v45, 29, v45
	v_and_b32_e32 v46, 7, v46
	v_cmp_gt_u32_e32 vcc, 8, v33
	v_cndmask_b32_e32 v33, v41, v45, vcc
	v_cndmask_b32_e32 v32, v32, v46, vcc
	v_lshlrev_b32_e32 v30, 24, v30
	v_bfrev_b32_e32 v41, 60
	v_lshlrev_b32_e32 v32, 20, v32
	v_and_b32_e32 v30, 0x80000000, v30
	v_lshl_add_u32 v33, v33, 23, v41
	v_or3_b32 v32, v30, v33, v32
.LBB409_200:
	s_or_b64 exec, exec, s[20:21]
.LBB409_201:
	s_or_b64 exec, exec, s[10:11]
.LBB409_202:
	s_or_b64 exec, exec, s[2:3]
	v_cvt_pkrtz_f16_f32 v36, v36, v37
	v_cvt_pkrtz_f16_f32 v37, v35, v38
	;; [unrolled: 1-line block ×4, first 2 shown]
	v_mfma_f32_4x4x4f16 a[0:3], v[18:19], v[36:37], a[0:3] cbsz:4 abid:3
	s_waitcnt vmcnt(5)
	v_cmp_ne_u16_sdwa s[10:11], v26, v34 src0_sel:BYTE_0 src1_sel:DWORD
	v_mfma_f32_4x4x4f16 a[0:3], v[20:21], v[30:31], a[0:3] cbsz:4 abid:3
	s_and_saveexec_b64 s[2:3], s[10:11]
	s_cbranch_execz .LBB409_208
; %bb.203:
	s_movk_i32 s9, 0x80
	v_cmp_ne_u16_sdwa s[20:21], v26, s9 src0_sel:BYTE_0 src1_sel:DWORD
	v_bfrev_b32_e32 v34, 1
	s_and_saveexec_b64 s[10:11], s[20:21]
	s_cbranch_execz .LBB409_207
; %bb.204:
	s_movk_i32 s9, 0x7f
	v_and_b32_e32 v30, 0x7f, v26
	v_cmp_ne_u32_e32 vcc, s9, v30
	v_mov_b32_e32 v34, 0x7f800001
	s_and_saveexec_b64 s[20:21], vcc
	s_cbranch_execz .LBB409_206
; %bb.205:
	v_and_b32_e32 v31, 7, v26
	v_ffbh_u32_e32 v31, v31
	v_min_u32_e32 v31, 32, v31
	v_subrev_u32_e32 v33, 28, v31
	v_cmp_gt_u32_e32 vcc, 8, v30
	v_lshrrev_b32_e32 v32, 3, v30
	v_sub_u32_e32 v31, 29, v31
	v_cndmask_b32_e32 v30, 0, v33, vcc
	v_cndmask_b32_e32 v32, v32, v31, vcc
	v_lshlrev_b64 v[30:31], v30, v[26:27]
	v_lshlrev_b32_e32 v30, 20, v30
	v_lshlrev_b32_e32 v31, 24, v26
	v_bfrev_b32_e32 v33, 60
	v_and_b32_e32 v30, 0x700000, v30
	v_and_b32_e32 v31, 0x80000000, v31
	v_lshl_add_u32 v32, v32, 23, v33
	v_or3_b32 v34, v31, v32, v30
.LBB409_206:
	s_or_b64 exec, exec, s[20:21]
.LBB409_207:
	s_or_b64 exec, exec, s[10:11]
.LBB409_208:
	s_or_b64 exec, exec, s[2:3]
	v_lshrrev_b16_e32 v30, 8, v26
	v_cmp_ne_u16_e32 vcc, 0, v30
	v_mov_b32_e32 v33, 0
	v_mov_b32_e32 v35, 0
	s_and_saveexec_b64 s[2:3], vcc
	s_cbranch_execz .LBB409_214
; %bb.209:
	s_movk_i32 s9, 0x80
	v_cmp_ne_u16_e32 vcc, s9, v30
	v_bfrev_b32_e32 v35, 1
	s_and_saveexec_b64 s[10:11], vcc
	s_cbranch_execz .LBB409_213
; %bb.210:
	s_movk_i32 s9, 0x7f
	v_and_b32_e32 v31, 0x7f, v30
	v_cmp_ne_u32_e32 vcc, s9, v31
	v_mov_b32_e32 v35, 0x7f800001
	s_and_saveexec_b64 s[20:21], vcc
	s_cbranch_execz .LBB409_212
; %bb.211:
	v_and_b32_e32 v32, 7, v30
	v_ffbh_u32_e32 v36, v32
	v_min_u32_e32 v38, 32, v36
	v_subrev_u32_e32 v36, 28, v38
	v_lshlrev_b64 v[36:37], v36, v[30:31]
	v_lshrrev_b32_e32 v35, 3, v31
	v_sub_u32_e32 v30, 29, v38
	v_and_b32_e32 v36, 7, v36
	v_cmp_gt_u32_e32 vcc, 8, v31
	v_cndmask_b32_e32 v30, v35, v30, vcc
	v_cndmask_b32_e32 v31, v32, v36, vcc
	v_lshlrev_b32_e32 v32, 16, v26
	v_bfrev_b32_e32 v35, 60
	v_lshlrev_b32_e32 v31, 20, v31
	v_and_b32_e32 v32, 0x80000000, v32
	v_lshl_add_u32 v30, v30, 23, v35
	v_or3_b32 v35, v32, v30, v31
.LBB409_212:
	s_or_b64 exec, exec, s[20:21]
.LBB409_213:
	s_or_b64 exec, exec, s[10:11]
.LBB409_214:
	s_or_b64 exec, exec, s[2:3]
	s_movk_i32 s2, 0xff
	v_and_b32_sdwa v31, v26, s2 dst_sel:DWORD dst_unused:UNUSED_PAD src0_sel:WORD_1 src1_sel:DWORD
	v_lshrrev_b32_e32 v30, 16, v26
	v_cmp_ne_u16_e32 vcc, 0, v31
	s_and_saveexec_b64 s[2:3], vcc
	s_cbranch_execz .LBB409_220
; %bb.215:
	s_movk_i32 s9, 0x80
	v_cmp_ne_u16_e32 vcc, s9, v31
	v_bfrev_b32_e32 v33, 1
	s_and_saveexec_b64 s[10:11], vcc
	s_cbranch_execz .LBB409_219
; %bb.216:
	v_bfe_u32 v31, v26, 16, 7
	s_movk_i32 s9, 0x7f
	v_cmp_ne_u32_e32 vcc, s9, v31
	v_mov_b32_e32 v33, 0x7f800001
	s_and_saveexec_b64 s[20:21], vcc
	s_cbranch_execz .LBB409_218
; %bb.217:
	v_and_b32_e32 v36, 7, v30
	v_ffbh_u32_e32 v32, v36
	v_min_u32_e32 v38, 32, v32
	v_subrev_u32_e32 v32, 28, v38
	v_lshlrev_b64 v[32:33], v32, v[30:31]
	v_and_b32_e32 v32, 7, v32
	v_cmp_gt_u32_e32 vcc, 8, v31
	v_lshrrev_b32_e32 v37, 3, v31
	v_sub_u32_e32 v30, 29, v38
	v_cndmask_b32_e32 v31, v36, v32, vcc
	v_mov_b32_e32 v32, 24
	v_cndmask_b32_e32 v30, v37, v30, vcc
	v_lshlrev_b32_sdwa v32, v32, v26 dst_sel:DWORD dst_unused:UNUSED_PAD src0_sel:DWORD src1_sel:WORD_1
	v_bfrev_b32_e32 v33, 60
	v_lshlrev_b32_e32 v31, 20, v31
	v_and_b32_e32 v32, 0x80000000, v32
	v_lshl_add_u32 v30, v30, 23, v33
	v_or3_b32 v33, v32, v30, v31
.LBB409_218:
	s_or_b64 exec, exec, s[20:21]
.LBB409_219:
	s_or_b64 exec, exec, s[10:11]
.LBB409_220:
	s_or_b64 exec, exec, s[2:3]
	s_mov_b32 s2, 0xffffff
	v_cmp_lt_u32_e32 vcc, s2, v26
	v_mov_b32_e32 v31, 0
	v_mov_b32_e32 v36, 0
	s_and_saveexec_b64 s[2:3], vcc
	s_cbranch_execz .LBB409_226
; %bb.221:
	v_lshrrev_b32_e32 v30, 24, v26
	s_movk_i32 s9, 0x80
	v_cmp_ne_u32_e32 vcc, s9, v30
	v_bfrev_b32_e32 v36, 1
	s_and_saveexec_b64 s[10:11], vcc
	s_cbranch_execz .LBB409_225
; %bb.222:
	v_bfe_u32 v32, v26, 24, 7
	s_movk_i32 s9, 0x7f
	v_cmp_ne_u32_e32 vcc, s9, v32
	v_mov_b32_e32 v36, 0x7f800001
	s_and_saveexec_b64 s[20:21], vcc
	s_cbranch_execz .LBB409_224
; %bb.223:
	v_and_b32_e32 v38, 7, v30
	v_ffbh_u32_e32 v36, v38
	v_min_u32_e32 v40, 32, v36
	v_subrev_u32_e32 v36, 28, v40
	v_lshlrev_b64 v[36:37], v36, v[30:31]
	v_lshrrev_b32_e32 v39, 3, v32
	v_sub_u32_e32 v37, 29, v40
	v_and_b32_e32 v36, 7, v36
	v_cmp_gt_u32_e32 vcc, 8, v32
	v_cndmask_b32_e32 v32, v39, v37, vcc
	v_cndmask_b32_e32 v36, v38, v36, vcc
	v_lshlrev_b32_e32 v30, 24, v30
	v_bfrev_b32_e32 v37, 60
	v_lshlrev_b32_e32 v36, 20, v36
	v_and_b32_e32 v30, 0x80000000, v30
	v_lshl_add_u32 v32, v32, 23, v37
	v_or3_b32 v36, v30, v32, v36
.LBB409_224:
	s_or_b64 exec, exec, s[20:21]
.LBB409_225:
	s_or_b64 exec, exec, s[10:11]
.LBB409_226:
	s_or_b64 exec, exec, s[2:3]
	v_mov_b32_e32 v30, v27
	v_cmp_ne_u16_sdwa s[10:11], v27, v31 src0_sel:BYTE_0 src1_sel:DWORD
	s_and_saveexec_b64 s[2:3], s[10:11]
	s_cbranch_execz .LBB409_232
; %bb.227:
	s_movk_i32 s9, 0x80
	v_cmp_ne_u16_sdwa s[20:21], v27, s9 src0_sel:BYTE_0 src1_sel:DWORD
	v_bfrev_b32_e32 v32, 1
	s_and_saveexec_b64 s[10:11], s[20:21]
	s_cbranch_execz .LBB409_231
; %bb.228:
	s_movk_i32 s9, 0x7f
	v_and_b32_e32 v37, 0x7f, v27
	v_cmp_ne_u32_e32 vcc, s9, v37
	v_mov_b32_e32 v32, 0x7f800001
	s_and_saveexec_b64 s[20:21], vcc
	s_cbranch_execz .LBB409_230
; %bb.229:
	v_and_b32_e32 v32, 7, v27
	v_ffbh_u32_e32 v32, v32
	v_min_u32_e32 v32, 32, v32
	v_subrev_u32_e32 v39, 28, v32
	v_cmp_gt_u32_e32 vcc, 8, v37
	v_lshrrev_b32_e32 v38, 3, v37
	v_sub_u32_e32 v32, 29, v32
	v_cndmask_b32_e32 v37, 0, v39, vcc
	v_cndmask_b32_e32 v32, v38, v32, vcc
	v_lshlrev_b64 v[38:39], v37, v[30:31]
	v_lshlrev_b32_e32 v31, 20, v38
	v_lshlrev_b32_e32 v37, 24, v30
	v_bfrev_b32_e32 v38, 60
	v_and_b32_e32 v31, 0x700000, v31
	v_and_b32_e32 v37, 0x80000000, v37
	v_lshl_add_u32 v32, v32, 23, v38
	v_or3_b32 v32, v37, v32, v31
.LBB409_230:
	s_or_b64 exec, exec, s[20:21]
.LBB409_231:
	s_or_b64 exec, exec, s[10:11]
	v_mov_b32_e32 v31, v32
.LBB409_232:
	s_or_b64 exec, exec, s[2:3]
	v_lshrrev_b16_e32 v32, 8, v30
	v_cmp_ne_u16_e32 vcc, 0, v32
	v_mov_b32_e32 v37, 0
	v_mov_b32_e32 v38, 0
	s_and_saveexec_b64 s[2:3], vcc
	s_cbranch_execz .LBB409_238
; %bb.233:
	s_movk_i32 s9, 0x80
	v_cmp_ne_u16_e32 vcc, s9, v32
	v_bfrev_b32_e32 v38, 1
	s_and_saveexec_b64 s[10:11], vcc
	s_cbranch_execz .LBB409_237
; %bb.234:
	s_movk_i32 s9, 0x7f
	v_and_b32_e32 v39, 0x7f, v32
	v_cmp_ne_u32_e32 vcc, s9, v39
	v_mov_b32_e32 v38, 0x7f800001
	s_and_saveexec_b64 s[20:21], vcc
	s_cbranch_execz .LBB409_236
; %bb.235:
	v_and_b32_e32 v38, 7, v32
	v_ffbh_u32_e32 v40, v38
	v_min_u32_e32 v46, 32, v40
	v_subrev_u32_e32 v40, 28, v46
	v_lshlrev_b64 v[40:41], v40, v[32:33]
	v_lshrrev_b32_e32 v45, 3, v39
	v_sub_u32_e32 v32, 29, v46
	v_and_b32_e32 v40, 7, v40
	v_cmp_gt_u32_e32 vcc, 8, v39
	v_cndmask_b32_e32 v32, v45, v32, vcc
	v_cndmask_b32_e32 v38, v38, v40, vcc
	v_lshlrev_b32_e32 v30, 16, v30
	v_bfrev_b32_e32 v39, 60
	v_lshlrev_b32_e32 v38, 20, v38
	v_and_b32_e32 v30, 0x80000000, v30
	v_lshl_add_u32 v32, v32, 23, v39
	v_or3_b32 v38, v30, v32, v38
.LBB409_236:
	s_or_b64 exec, exec, s[20:21]
.LBB409_237:
	s_or_b64 exec, exec, s[10:11]
.LBB409_238:
	s_or_b64 exec, exec, s[2:3]
	s_movk_i32 s2, 0xff
	v_and_b32_sdwa v32, v27, s2 dst_sel:DWORD dst_unused:UNUSED_PAD src0_sel:WORD_1 src1_sel:DWORD
	v_lshrrev_b32_e32 v30, 16, v27
	v_cmp_ne_u16_e32 vcc, 0, v32
	s_and_saveexec_b64 s[2:3], vcc
	s_cbranch_execz .LBB409_244
; %bb.239:
	s_movk_i32 s9, 0x80
	v_cmp_ne_u16_e32 vcc, s9, v32
	v_bfrev_b32_e32 v37, 1
	s_and_saveexec_b64 s[10:11], vcc
	s_cbranch_execz .LBB409_243
; %bb.240:
	v_bfe_u32 v32, v27, 16, 7
	s_movk_i32 s9, 0x7f
	v_cmp_ne_u32_e32 vcc, s9, v32
	v_mov_b32_e32 v37, 0x7f800001
	s_and_saveexec_b64 s[20:21], vcc
	s_cbranch_execz .LBB409_242
; %bb.241:
	v_and_b32_e32 v37, 7, v30
	v_ffbh_u32_e32 v40, v37
	v_min_u32_e32 v45, 32, v40
	v_subrev_u32_e32 v40, 28, v45
	v_lshlrev_b64 v[40:41], v40, v[30:31]
	v_and_b32_e32 v40, 7, v40
	v_cmp_gt_u32_e32 vcc, 8, v32
	v_lshrrev_b32_e32 v39, 3, v32
	v_sub_u32_e32 v30, 29, v45
	v_cndmask_b32_e32 v32, v37, v40, vcc
	v_mov_b32_e32 v37, 24
	v_cndmask_b32_e32 v30, v39, v30, vcc
	v_lshlrev_b32_sdwa v37, v37, v27 dst_sel:DWORD dst_unused:UNUSED_PAD src0_sel:DWORD src1_sel:WORD_1
	v_bfrev_b32_e32 v39, 60
	v_lshlrev_b32_e32 v32, 20, v32
	v_and_b32_e32 v37, 0x80000000, v37
	v_lshl_add_u32 v30, v30, 23, v39
	v_or3_b32 v37, v37, v30, v32
.LBB409_242:
	s_or_b64 exec, exec, s[20:21]
.LBB409_243:
	s_or_b64 exec, exec, s[10:11]
.LBB409_244:
	s_or_b64 exec, exec, s[2:3]
	s_mov_b32 s2, -1
	s_mov_b32 s3, 0xffffff
	v_cmp_lt_u64_e32 vcc, s[2:3], v[26:27]
	v_mov_b32_e32 v32, 0
	v_mov_b32_e32 v30, 0
	s_and_saveexec_b64 s[2:3], vcc
	s_cbranch_execz .LBB409_250
; %bb.245:
	v_lshrrev_b32_e32 v26, 24, v27
	s_movk_i32 s9, 0x80
	v_cmp_ne_u32_e32 vcc, s9, v26
	v_bfrev_b32_e32 v30, 1
	s_and_saveexec_b64 s[10:11], vcc
	s_cbranch_execz .LBB409_249
; %bb.246:
	v_bfe_u32 v27, v27, 24, 7
	s_movk_i32 s9, 0x7f
	v_cmp_ne_u32_e32 vcc, s9, v27
	v_mov_b32_e32 v30, 0x7f800001
	s_and_saveexec_b64 s[20:21], vcc
	s_cbranch_execz .LBB409_248
; %bb.247:
	v_and_b32_e32 v30, 7, v26
	v_ffbh_u32_e32 v40, v30
	v_min_u32_e32 v45, 32, v40
	v_subrev_u32_e32 v40, 28, v45
	v_lshlrev_b64 v[40:41], v40, v[26:27]
	v_lshrrev_b32_e32 v39, 3, v27
	v_sub_u32_e32 v41, 29, v45
	v_and_b32_e32 v40, 7, v40
	v_cmp_gt_u32_e32 vcc, 8, v27
	v_cndmask_b32_e32 v27, v39, v41, vcc
	v_cndmask_b32_e32 v30, v30, v40, vcc
	v_lshlrev_b32_e32 v26, 24, v26
	v_bfrev_b32_e32 v39, 60
	v_lshlrev_b32_e32 v30, 20, v30
	v_and_b32_e32 v26, 0x80000000, v26
	v_lshl_add_u32 v27, v27, 23, v39
	v_or3_b32 v30, v26, v27, v30
.LBB409_248:
	s_or_b64 exec, exec, s[20:21]
.LBB409_249:
	s_or_b64 exec, exec, s[10:11]
.LBB409_250:
	s_or_b64 exec, exec, s[2:3]
	v_cvt_pkrtz_f16_f32 v26, v34, v35
	v_cvt_pkrtz_f16_f32 v27, v33, v36
	;; [unrolled: 1-line block ×4, first 2 shown]
	v_mfma_f32_4x4x4f16 a[0:3], v[18:19], v[26:27], a[0:3] cbsz:4 abid:4
	v_cmp_ne_u16_sdwa s[10:11], v28, v32 src0_sel:BYTE_0 src1_sel:DWORD
	v_mfma_f32_4x4x4f16 a[0:3], v[20:21], v[34:35], a[0:3] cbsz:4 abid:4
	s_and_saveexec_b64 s[2:3], s[10:11]
	s_cbranch_execz .LBB409_256
; %bb.251:
	s_movk_i32 s9, 0x80
	v_cmp_ne_u16_sdwa s[20:21], v28, s9 src0_sel:BYTE_0 src1_sel:DWORD
	v_bfrev_b32_e32 v32, 1
	s_and_saveexec_b64 s[10:11], s[20:21]
	s_cbranch_execz .LBB409_255
; %bb.252:
	s_movk_i32 s9, 0x7f
	v_and_b32_e32 v26, 0x7f, v28
	v_cmp_ne_u32_e32 vcc, s9, v26
	v_mov_b32_e32 v32, 0x7f800001
	s_and_saveexec_b64 s[20:21], vcc
	s_cbranch_execz .LBB409_254
; %bb.253:
	v_and_b32_e32 v27, 7, v28
	v_ffbh_u32_e32 v27, v27
	v_min_u32_e32 v27, 32, v27
	v_subrev_u32_e32 v31, 28, v27
	v_cmp_gt_u32_e32 vcc, 8, v26
	v_lshrrev_b32_e32 v30, 3, v26
	v_sub_u32_e32 v27, 29, v27
	v_cndmask_b32_e32 v26, 0, v31, vcc
	v_cndmask_b32_e32 v30, v30, v27, vcc
	v_lshlrev_b64 v[26:27], v26, v[28:29]
	v_lshlrev_b32_e32 v26, 20, v26
	v_lshlrev_b32_e32 v27, 24, v28
	v_bfrev_b32_e32 v31, 60
	v_and_b32_e32 v26, 0x700000, v26
	v_and_b32_e32 v27, 0x80000000, v27
	v_lshl_add_u32 v30, v30, 23, v31
	v_or3_b32 v32, v27, v30, v26
.LBB409_254:
	s_or_b64 exec, exec, s[20:21]
.LBB409_255:
	s_or_b64 exec, exec, s[10:11]
.LBB409_256:
	s_or_b64 exec, exec, s[2:3]
	v_lshrrev_b16_e32 v26, 8, v28
	v_cmp_ne_u16_e32 vcc, 0, v26
	v_mov_b32_e32 v31, 0
	v_mov_b32_e32 v33, 0
	s_and_saveexec_b64 s[2:3], vcc
	s_cbranch_execz .LBB409_262
; %bb.257:
	s_movk_i32 s9, 0x80
	v_cmp_ne_u16_e32 vcc, s9, v26
	v_bfrev_b32_e32 v33, 1
	s_and_saveexec_b64 s[10:11], vcc
	s_cbranch_execz .LBB409_261
; %bb.258:
	s_movk_i32 s9, 0x7f
	v_and_b32_e32 v27, 0x7f, v26
	v_cmp_ne_u32_e32 vcc, s9, v27
	v_mov_b32_e32 v33, 0x7f800001
	s_and_saveexec_b64 s[20:21], vcc
	s_cbranch_execz .LBB409_260
; %bb.259:
	v_and_b32_e32 v30, 7, v26
	v_ffbh_u32_e32 v34, v30
	v_min_u32_e32 v36, 32, v34
	v_subrev_u32_e32 v34, 28, v36
	v_lshlrev_b64 v[34:35], v34, v[26:27]
	v_lshrrev_b32_e32 v33, 3, v27
	v_sub_u32_e32 v26, 29, v36
	v_and_b32_e32 v34, 7, v34
	v_cmp_gt_u32_e32 vcc, 8, v27
	v_cndmask_b32_e32 v26, v33, v26, vcc
	v_cndmask_b32_e32 v27, v30, v34, vcc
	v_lshlrev_b32_e32 v30, 16, v28
	v_bfrev_b32_e32 v33, 60
	v_lshlrev_b32_e32 v27, 20, v27
	v_and_b32_e32 v30, 0x80000000, v30
	v_lshl_add_u32 v26, v26, 23, v33
	v_or3_b32 v33, v30, v26, v27
.LBB409_260:
	s_or_b64 exec, exec, s[20:21]
.LBB409_261:
	s_or_b64 exec, exec, s[10:11]
.LBB409_262:
	s_or_b64 exec, exec, s[2:3]
	s_movk_i32 s2, 0xff
	v_and_b32_sdwa v27, v28, s2 dst_sel:DWORD dst_unused:UNUSED_PAD src0_sel:WORD_1 src1_sel:DWORD
	v_lshrrev_b32_e32 v26, 16, v28
	v_cmp_ne_u16_e32 vcc, 0, v27
	s_and_saveexec_b64 s[2:3], vcc
	s_cbranch_execz .LBB409_268
; %bb.263:
	s_movk_i32 s9, 0x80
	v_cmp_ne_u16_e32 vcc, s9, v27
	v_bfrev_b32_e32 v31, 1
	s_and_saveexec_b64 s[10:11], vcc
	s_cbranch_execz .LBB409_267
; %bb.264:
	v_bfe_u32 v27, v28, 16, 7
	s_movk_i32 s9, 0x7f
	v_cmp_ne_u32_e32 vcc, s9, v27
	v_mov_b32_e32 v31, 0x7f800001
	s_and_saveexec_b64 s[20:21], vcc
	s_cbranch_execz .LBB409_266
; %bb.265:
	v_and_b32_e32 v34, 7, v26
	v_ffbh_u32_e32 v30, v34
	v_min_u32_e32 v36, 32, v30
	v_subrev_u32_e32 v30, 28, v36
	v_lshlrev_b64 v[30:31], v30, v[26:27]
	v_and_b32_e32 v30, 7, v30
	v_cmp_gt_u32_e32 vcc, 8, v27
	v_lshrrev_b32_e32 v35, 3, v27
	v_sub_u32_e32 v26, 29, v36
	v_cndmask_b32_e32 v27, v34, v30, vcc
	v_mov_b32_e32 v30, 24
	v_cndmask_b32_e32 v26, v35, v26, vcc
	v_lshlrev_b32_sdwa v30, v30, v28 dst_sel:DWORD dst_unused:UNUSED_PAD src0_sel:DWORD src1_sel:WORD_1
	v_bfrev_b32_e32 v31, 60
	v_lshlrev_b32_e32 v27, 20, v27
	v_and_b32_e32 v30, 0x80000000, v30
	v_lshl_add_u32 v26, v26, 23, v31
	v_or3_b32 v31, v30, v26, v27
.LBB409_266:
	s_or_b64 exec, exec, s[20:21]
.LBB409_267:
	s_or_b64 exec, exec, s[10:11]
.LBB409_268:
	s_or_b64 exec, exec, s[2:3]
	s_mov_b32 s2, 0xffffff
	v_cmp_lt_u32_e32 vcc, s2, v28
	v_mov_b32_e32 v27, 0
	v_mov_b32_e32 v34, 0
	s_and_saveexec_b64 s[2:3], vcc
	s_cbranch_execz .LBB409_274
; %bb.269:
	v_lshrrev_b32_e32 v26, 24, v28
	s_movk_i32 s9, 0x80
	v_cmp_ne_u32_e32 vcc, s9, v26
	v_bfrev_b32_e32 v34, 1
	s_and_saveexec_b64 s[10:11], vcc
	s_cbranch_execz .LBB409_273
; %bb.270:
	v_bfe_u32 v30, v28, 24, 7
	s_movk_i32 s9, 0x7f
	v_cmp_ne_u32_e32 vcc, s9, v30
	v_mov_b32_e32 v34, 0x7f800001
	s_and_saveexec_b64 s[20:21], vcc
	s_cbranch_execz .LBB409_272
; %bb.271:
	v_and_b32_e32 v36, 7, v26
	v_ffbh_u32_e32 v34, v36
	v_min_u32_e32 v38, 32, v34
	v_subrev_u32_e32 v34, 28, v38
	v_lshlrev_b64 v[34:35], v34, v[26:27]
	v_lshrrev_b32_e32 v37, 3, v30
	v_sub_u32_e32 v35, 29, v38
	v_and_b32_e32 v34, 7, v34
	v_cmp_gt_u32_e32 vcc, 8, v30
	v_cndmask_b32_e32 v30, v37, v35, vcc
	v_cndmask_b32_e32 v34, v36, v34, vcc
	v_lshlrev_b32_e32 v26, 24, v26
	v_bfrev_b32_e32 v35, 60
	v_lshlrev_b32_e32 v34, 20, v34
	v_and_b32_e32 v26, 0x80000000, v26
	v_lshl_add_u32 v30, v30, 23, v35
	v_or3_b32 v34, v26, v30, v34
.LBB409_272:
	s_or_b64 exec, exec, s[20:21]
.LBB409_273:
	s_or_b64 exec, exec, s[10:11]
.LBB409_274:
	s_or_b64 exec, exec, s[2:3]
	v_mov_b32_e32 v26, v29
	v_cmp_ne_u16_sdwa s[10:11], v29, v27 src0_sel:BYTE_0 src1_sel:DWORD
	s_and_saveexec_b64 s[2:3], s[10:11]
	s_cbranch_execz .LBB409_280
; %bb.275:
	s_movk_i32 s9, 0x80
	v_cmp_ne_u16_sdwa s[20:21], v29, s9 src0_sel:BYTE_0 src1_sel:DWORD
	v_bfrev_b32_e32 v30, 1
	s_and_saveexec_b64 s[10:11], s[20:21]
	s_cbranch_execz .LBB409_279
; %bb.276:
	s_movk_i32 s9, 0x7f
	v_and_b32_e32 v35, 0x7f, v29
	v_cmp_ne_u32_e32 vcc, s9, v35
	v_mov_b32_e32 v30, 0x7f800001
	s_and_saveexec_b64 s[20:21], vcc
	s_cbranch_execz .LBB409_278
; %bb.277:
	v_and_b32_e32 v30, 7, v29
	v_ffbh_u32_e32 v30, v30
	v_min_u32_e32 v30, 32, v30
	v_subrev_u32_e32 v37, 28, v30
	v_cmp_gt_u32_e32 vcc, 8, v35
	v_lshrrev_b32_e32 v36, 3, v35
	v_sub_u32_e32 v30, 29, v30
	v_cndmask_b32_e32 v35, 0, v37, vcc
	v_cndmask_b32_e32 v30, v36, v30, vcc
	v_lshlrev_b64 v[36:37], v35, v[26:27]
	v_lshlrev_b32_e32 v27, 20, v36
	v_lshlrev_b32_e32 v35, 24, v26
	v_bfrev_b32_e32 v36, 60
	v_and_b32_e32 v27, 0x700000, v27
	v_and_b32_e32 v35, 0x80000000, v35
	v_lshl_add_u32 v30, v30, 23, v36
	v_or3_b32 v30, v35, v30, v27
.LBB409_278:
	s_or_b64 exec, exec, s[20:21]
.LBB409_279:
	s_or_b64 exec, exec, s[10:11]
	v_mov_b32_e32 v27, v30
.LBB409_280:
	s_or_b64 exec, exec, s[2:3]
	v_lshrrev_b16_e32 v30, 8, v26
	v_cmp_ne_u16_e32 vcc, 0, v30
	v_mov_b32_e32 v35, 0
	v_mov_b32_e32 v36, 0
	s_and_saveexec_b64 s[2:3], vcc
	s_cbranch_execz .LBB409_286
; %bb.281:
	s_movk_i32 s9, 0x80
	v_cmp_ne_u16_e32 vcc, s9, v30
	v_bfrev_b32_e32 v36, 1
	s_and_saveexec_b64 s[10:11], vcc
	s_cbranch_execz .LBB409_285
; %bb.282:
	s_movk_i32 s9, 0x7f
	v_and_b32_e32 v37, 0x7f, v30
	v_cmp_ne_u32_e32 vcc, s9, v37
	v_mov_b32_e32 v36, 0x7f800001
	s_and_saveexec_b64 s[20:21], vcc
	s_cbranch_execz .LBB409_284
; %bb.283:
	v_and_b32_e32 v36, 7, v30
	v_ffbh_u32_e32 v38, v36
	v_min_u32_e32 v41, 32, v38
	v_subrev_u32_e32 v38, 28, v41
	v_lshlrev_b64 v[38:39], v38, v[30:31]
	v_lshrrev_b32_e32 v40, 3, v37
	v_sub_u32_e32 v30, 29, v41
	v_and_b32_e32 v38, 7, v38
	v_cmp_gt_u32_e32 vcc, 8, v37
	v_cndmask_b32_e32 v30, v40, v30, vcc
	v_cndmask_b32_e32 v36, v36, v38, vcc
	v_lshlrev_b32_e32 v26, 16, v26
	v_bfrev_b32_e32 v37, 60
	v_lshlrev_b32_e32 v36, 20, v36
	v_and_b32_e32 v26, 0x80000000, v26
	v_lshl_add_u32 v30, v30, 23, v37
	v_or3_b32 v36, v26, v30, v36
.LBB409_284:
	s_or_b64 exec, exec, s[20:21]
.LBB409_285:
	s_or_b64 exec, exec, s[10:11]
.LBB409_286:
	s_or_b64 exec, exec, s[2:3]
	s_movk_i32 s2, 0xff
	v_and_b32_sdwa v30, v29, s2 dst_sel:DWORD dst_unused:UNUSED_PAD src0_sel:WORD_1 src1_sel:DWORD
	v_lshrrev_b32_e32 v26, 16, v29
	v_cmp_ne_u16_e32 vcc, 0, v30
	s_and_saveexec_b64 s[2:3], vcc
	s_cbranch_execz .LBB409_292
; %bb.287:
	s_movk_i32 s9, 0x80
	v_cmp_ne_u16_e32 vcc, s9, v30
	v_bfrev_b32_e32 v35, 1
	s_and_saveexec_b64 s[10:11], vcc
	s_cbranch_execz .LBB409_291
; %bb.288:
	v_bfe_u32 v30, v29, 16, 7
	s_movk_i32 s9, 0x7f
	v_cmp_ne_u32_e32 vcc, s9, v30
	v_mov_b32_e32 v35, 0x7f800001
	s_and_saveexec_b64 s[20:21], vcc
	s_cbranch_execz .LBB409_290
; %bb.289:
	v_and_b32_e32 v35, 7, v26
	v_ffbh_u32_e32 v38, v35
	v_min_u32_e32 v40, 32, v38
	v_subrev_u32_e32 v38, 28, v40
	v_lshlrev_b64 v[38:39], v38, v[26:27]
	v_and_b32_e32 v38, 7, v38
	v_cmp_gt_u32_e32 vcc, 8, v30
	v_lshrrev_b32_e32 v37, 3, v30
	v_sub_u32_e32 v26, 29, v40
	v_cndmask_b32_e32 v30, v35, v38, vcc
	v_mov_b32_e32 v35, 24
	v_cndmask_b32_e32 v26, v37, v26, vcc
	v_lshlrev_b32_sdwa v35, v35, v29 dst_sel:DWORD dst_unused:UNUSED_PAD src0_sel:DWORD src1_sel:WORD_1
	v_bfrev_b32_e32 v37, 60
	v_lshlrev_b32_e32 v30, 20, v30
	v_and_b32_e32 v35, 0x80000000, v35
	v_lshl_add_u32 v26, v26, 23, v37
	v_or3_b32 v35, v35, v26, v30
.LBB409_290:
	s_or_b64 exec, exec, s[20:21]
.LBB409_291:
	s_or_b64 exec, exec, s[10:11]
.LBB409_292:
	s_or_b64 exec, exec, s[2:3]
	s_mov_b32 s2, -1
	s_mov_b32 s3, 0xffffff
	v_cmp_lt_u64_e32 vcc, s[2:3], v[28:29]
	v_mov_b32_e32 v30, 0
	v_mov_b32_e32 v28, 0
	s_and_saveexec_b64 s[2:3], vcc
	s_cbranch_execz .LBB409_298
; %bb.293:
	v_lshrrev_b32_e32 v26, 24, v29
	s_movk_i32 s9, 0x80
	v_cmp_ne_u32_e32 vcc, s9, v26
	v_bfrev_b32_e32 v28, 1
	s_and_saveexec_b64 s[10:11], vcc
	s_cbranch_execz .LBB409_297
; %bb.294:
	v_bfe_u32 v29, v29, 24, 7
	s_movk_i32 s9, 0x7f
	v_cmp_ne_u32_e32 vcc, s9, v29
	v_mov_b32_e32 v28, 0x7f800001
	s_and_saveexec_b64 s[20:21], vcc
	s_cbranch_execz .LBB409_296
; %bb.295:
	v_and_b32_e32 v28, 7, v26
	v_ffbh_u32_e32 v38, v28
	v_min_u32_e32 v40, 32, v38
	v_subrev_u32_e32 v38, 28, v40
	v_lshlrev_b64 v[38:39], v38, v[26:27]
	v_lshrrev_b32_e32 v37, 3, v29
	v_sub_u32_e32 v39, 29, v40
	v_and_b32_e32 v38, 7, v38
	v_cmp_gt_u32_e32 vcc, 8, v29
	v_cndmask_b32_e32 v29, v37, v39, vcc
	v_cndmask_b32_e32 v28, v28, v38, vcc
	v_lshlrev_b32_e32 v26, 24, v26
	v_bfrev_b32_e32 v37, 60
	v_lshlrev_b32_e32 v28, 20, v28
	v_and_b32_e32 v26, 0x80000000, v26
	v_lshl_add_u32 v29, v29, 23, v37
	v_or3_b32 v28, v26, v29, v28
.LBB409_296:
	s_or_b64 exec, exec, s[20:21]
.LBB409_297:
	s_or_b64 exec, exec, s[10:11]
.LBB409_298:
	s_or_b64 exec, exec, s[2:3]
	v_cvt_pkrtz_f16_f32 v32, v32, v33
	v_cvt_pkrtz_f16_f32 v33, v31, v34
	;; [unrolled: 1-line block ×4, first 2 shown]
	v_mfma_f32_4x4x4f16 a[0:3], v[18:19], v[32:33], a[0:3] cbsz:4 abid:5
	s_waitcnt vmcnt(4)
	v_cmp_ne_u16_sdwa s[10:11], v22, v30 src0_sel:BYTE_0 src1_sel:DWORD
	v_mfma_f32_4x4x4f16 a[0:3], v[20:21], v[26:27], a[0:3] cbsz:4 abid:5
	s_and_saveexec_b64 s[2:3], s[10:11]
	s_cbranch_execz .LBB409_304
; %bb.299:
	s_movk_i32 s9, 0x80
	v_cmp_ne_u16_sdwa s[20:21], v22, s9 src0_sel:BYTE_0 src1_sel:DWORD
	v_bfrev_b32_e32 v30, 1
	s_and_saveexec_b64 s[10:11], s[20:21]
	s_cbranch_execz .LBB409_303
; %bb.300:
	s_movk_i32 s9, 0x7f
	v_and_b32_e32 v26, 0x7f, v22
	v_cmp_ne_u32_e32 vcc, s9, v26
	v_mov_b32_e32 v30, 0x7f800001
	s_and_saveexec_b64 s[20:21], vcc
	s_cbranch_execz .LBB409_302
; %bb.301:
	v_and_b32_e32 v27, 7, v22
	v_ffbh_u32_e32 v27, v27
	v_min_u32_e32 v27, 32, v27
	v_subrev_u32_e32 v29, 28, v27
	v_cmp_gt_u32_e32 vcc, 8, v26
	v_lshrrev_b32_e32 v28, 3, v26
	v_sub_u32_e32 v27, 29, v27
	v_cndmask_b32_e32 v26, 0, v29, vcc
	v_cndmask_b32_e32 v28, v28, v27, vcc
	v_lshlrev_b64 v[26:27], v26, v[22:23]
	v_lshlrev_b32_e32 v26, 20, v26
	v_lshlrev_b32_e32 v27, 24, v22
	v_bfrev_b32_e32 v29, 60
	v_and_b32_e32 v26, 0x700000, v26
	v_and_b32_e32 v27, 0x80000000, v27
	v_lshl_add_u32 v28, v28, 23, v29
	v_or3_b32 v30, v27, v28, v26
.LBB409_302:
	s_or_b64 exec, exec, s[20:21]
.LBB409_303:
	s_or_b64 exec, exec, s[10:11]
.LBB409_304:
	s_or_b64 exec, exec, s[2:3]
	v_lshrrev_b16_e32 v26, 8, v22
	v_cmp_ne_u16_e32 vcc, 0, v26
	v_mov_b32_e32 v29, 0
	v_mov_b32_e32 v31, 0
	s_and_saveexec_b64 s[2:3], vcc
	s_cbranch_execz .LBB409_310
; %bb.305:
	s_movk_i32 s9, 0x80
	v_cmp_ne_u16_e32 vcc, s9, v26
	v_bfrev_b32_e32 v31, 1
	s_and_saveexec_b64 s[10:11], vcc
	s_cbranch_execz .LBB409_309
; %bb.306:
	s_movk_i32 s9, 0x7f
	v_and_b32_e32 v27, 0x7f, v26
	v_cmp_ne_u32_e32 vcc, s9, v27
	v_mov_b32_e32 v31, 0x7f800001
	s_and_saveexec_b64 s[20:21], vcc
	s_cbranch_execz .LBB409_308
; %bb.307:
	v_and_b32_e32 v28, 7, v26
	v_ffbh_u32_e32 v32, v28
	v_min_u32_e32 v34, 32, v32
	v_subrev_u32_e32 v32, 28, v34
	v_lshlrev_b64 v[32:33], v32, v[26:27]
	v_lshrrev_b32_e32 v31, 3, v27
	v_sub_u32_e32 v26, 29, v34
	v_and_b32_e32 v32, 7, v32
	v_cmp_gt_u32_e32 vcc, 8, v27
	v_cndmask_b32_e32 v26, v31, v26, vcc
	v_cndmask_b32_e32 v27, v28, v32, vcc
	v_lshlrev_b32_e32 v28, 16, v22
	v_bfrev_b32_e32 v31, 60
	v_lshlrev_b32_e32 v27, 20, v27
	v_and_b32_e32 v28, 0x80000000, v28
	v_lshl_add_u32 v26, v26, 23, v31
	v_or3_b32 v31, v28, v26, v27
.LBB409_308:
	s_or_b64 exec, exec, s[20:21]
.LBB409_309:
	s_or_b64 exec, exec, s[10:11]
.LBB409_310:
	s_or_b64 exec, exec, s[2:3]
	s_movk_i32 s2, 0xff
	v_and_b32_sdwa v27, v22, s2 dst_sel:DWORD dst_unused:UNUSED_PAD src0_sel:WORD_1 src1_sel:DWORD
	v_lshrrev_b32_e32 v26, 16, v22
	v_cmp_ne_u16_e32 vcc, 0, v27
	s_and_saveexec_b64 s[2:3], vcc
	s_cbranch_execz .LBB409_316
; %bb.311:
	s_movk_i32 s9, 0x80
	v_cmp_ne_u16_e32 vcc, s9, v27
	v_bfrev_b32_e32 v29, 1
	s_and_saveexec_b64 s[10:11], vcc
	s_cbranch_execz .LBB409_315
; %bb.312:
	v_bfe_u32 v27, v22, 16, 7
	s_movk_i32 s9, 0x7f
	v_cmp_ne_u32_e32 vcc, s9, v27
	v_mov_b32_e32 v29, 0x7f800001
	s_and_saveexec_b64 s[20:21], vcc
	s_cbranch_execz .LBB409_314
; %bb.313:
	v_and_b32_e32 v32, 7, v26
	v_ffbh_u32_e32 v28, v32
	v_min_u32_e32 v34, 32, v28
	v_subrev_u32_e32 v28, 28, v34
	v_lshlrev_b64 v[28:29], v28, v[26:27]
	v_and_b32_e32 v28, 7, v28
	v_cmp_gt_u32_e32 vcc, 8, v27
	v_lshrrev_b32_e32 v33, 3, v27
	v_sub_u32_e32 v26, 29, v34
	v_cndmask_b32_e32 v27, v32, v28, vcc
	v_mov_b32_e32 v28, 24
	v_cndmask_b32_e32 v26, v33, v26, vcc
	v_lshlrev_b32_sdwa v28, v28, v22 dst_sel:DWORD dst_unused:UNUSED_PAD src0_sel:DWORD src1_sel:WORD_1
	v_bfrev_b32_e32 v29, 60
	v_lshlrev_b32_e32 v27, 20, v27
	v_and_b32_e32 v28, 0x80000000, v28
	v_lshl_add_u32 v26, v26, 23, v29
	v_or3_b32 v29, v28, v26, v27
.LBB409_314:
	s_or_b64 exec, exec, s[20:21]
.LBB409_315:
	s_or_b64 exec, exec, s[10:11]
.LBB409_316:
	s_or_b64 exec, exec, s[2:3]
	s_mov_b32 s2, 0xffffff
	v_cmp_lt_u32_e32 vcc, s2, v22
	v_mov_b32_e32 v27, 0
	v_mov_b32_e32 v32, 0
	s_and_saveexec_b64 s[2:3], vcc
	s_cbranch_execz .LBB409_322
; %bb.317:
	v_lshrrev_b32_e32 v26, 24, v22
	s_movk_i32 s9, 0x80
	v_cmp_ne_u32_e32 vcc, s9, v26
	v_bfrev_b32_e32 v32, 1
	s_and_saveexec_b64 s[10:11], vcc
	s_cbranch_execz .LBB409_321
; %bb.318:
	v_bfe_u32 v28, v22, 24, 7
	s_movk_i32 s9, 0x7f
	v_cmp_ne_u32_e32 vcc, s9, v28
	v_mov_b32_e32 v32, 0x7f800001
	s_and_saveexec_b64 s[20:21], vcc
	s_cbranch_execz .LBB409_320
; %bb.319:
	v_and_b32_e32 v34, 7, v26
	v_ffbh_u32_e32 v32, v34
	v_min_u32_e32 v36, 32, v32
	v_subrev_u32_e32 v32, 28, v36
	v_lshlrev_b64 v[32:33], v32, v[26:27]
	v_lshrrev_b32_e32 v35, 3, v28
	v_sub_u32_e32 v33, 29, v36
	v_and_b32_e32 v32, 7, v32
	v_cmp_gt_u32_e32 vcc, 8, v28
	v_cndmask_b32_e32 v28, v35, v33, vcc
	v_cndmask_b32_e32 v32, v34, v32, vcc
	v_lshlrev_b32_e32 v26, 24, v26
	v_bfrev_b32_e32 v33, 60
	v_lshlrev_b32_e32 v32, 20, v32
	v_and_b32_e32 v26, 0x80000000, v26
	v_lshl_add_u32 v28, v28, 23, v33
	v_or3_b32 v32, v26, v28, v32
.LBB409_320:
	s_or_b64 exec, exec, s[20:21]
.LBB409_321:
	s_or_b64 exec, exec, s[10:11]
.LBB409_322:
	s_or_b64 exec, exec, s[2:3]
	v_mov_b32_e32 v26, v23
	v_cmp_ne_u16_sdwa s[10:11], v23, v27 src0_sel:BYTE_0 src1_sel:DWORD
	s_and_saveexec_b64 s[2:3], s[10:11]
	s_cbranch_execz .LBB409_328
; %bb.323:
	s_movk_i32 s9, 0x80
	v_cmp_ne_u16_sdwa s[20:21], v23, s9 src0_sel:BYTE_0 src1_sel:DWORD
	v_bfrev_b32_e32 v28, 1
	s_and_saveexec_b64 s[10:11], s[20:21]
	s_cbranch_execz .LBB409_327
; %bb.324:
	s_movk_i32 s9, 0x7f
	v_and_b32_e32 v33, 0x7f, v23
	v_cmp_ne_u32_e32 vcc, s9, v33
	v_mov_b32_e32 v28, 0x7f800001
	s_and_saveexec_b64 s[20:21], vcc
	s_cbranch_execz .LBB409_326
; %bb.325:
	v_and_b32_e32 v28, 7, v23
	v_ffbh_u32_e32 v28, v28
	v_min_u32_e32 v28, 32, v28
	v_subrev_u32_e32 v35, 28, v28
	v_cmp_gt_u32_e32 vcc, 8, v33
	v_lshrrev_b32_e32 v34, 3, v33
	v_sub_u32_e32 v28, 29, v28
	v_cndmask_b32_e32 v33, 0, v35, vcc
	v_cndmask_b32_e32 v28, v34, v28, vcc
	v_lshlrev_b64 v[34:35], v33, v[26:27]
	v_lshlrev_b32_e32 v27, 20, v34
	v_lshlrev_b32_e32 v33, 24, v26
	v_bfrev_b32_e32 v34, 60
	v_and_b32_e32 v27, 0x700000, v27
	v_and_b32_e32 v33, 0x80000000, v33
	v_lshl_add_u32 v28, v28, 23, v34
	v_or3_b32 v28, v33, v28, v27
.LBB409_326:
	s_or_b64 exec, exec, s[20:21]
.LBB409_327:
	s_or_b64 exec, exec, s[10:11]
	v_mov_b32_e32 v27, v28
.LBB409_328:
	s_or_b64 exec, exec, s[2:3]
	v_lshrrev_b16_e32 v28, 8, v26
	v_cmp_ne_u16_e32 vcc, 0, v28
	v_mov_b32_e32 v33, 0
	v_mov_b32_e32 v34, 0
	s_and_saveexec_b64 s[2:3], vcc
	s_cbranch_execz .LBB409_334
; %bb.329:
	s_movk_i32 s9, 0x80
	v_cmp_ne_u16_e32 vcc, s9, v28
	v_bfrev_b32_e32 v34, 1
	s_and_saveexec_b64 s[10:11], vcc
	s_cbranch_execz .LBB409_333
; %bb.330:
	s_movk_i32 s9, 0x7f
	v_and_b32_e32 v35, 0x7f, v28
	v_cmp_ne_u32_e32 vcc, s9, v35
	v_mov_b32_e32 v34, 0x7f800001
	s_and_saveexec_b64 s[20:21], vcc
	s_cbranch_execz .LBB409_332
; %bb.331:
	v_and_b32_e32 v34, 7, v28
	v_ffbh_u32_e32 v36, v34
	v_min_u32_e32 v39, 32, v36
	v_subrev_u32_e32 v36, 28, v39
	v_lshlrev_b64 v[36:37], v36, v[28:29]
	v_lshrrev_b32_e32 v38, 3, v35
	v_sub_u32_e32 v28, 29, v39
	v_and_b32_e32 v36, 7, v36
	v_cmp_gt_u32_e32 vcc, 8, v35
	v_cndmask_b32_e32 v28, v38, v28, vcc
	v_cndmask_b32_e32 v34, v34, v36, vcc
	v_lshlrev_b32_e32 v26, 16, v26
	v_bfrev_b32_e32 v35, 60
	v_lshlrev_b32_e32 v34, 20, v34
	v_and_b32_e32 v26, 0x80000000, v26
	v_lshl_add_u32 v28, v28, 23, v35
	v_or3_b32 v34, v26, v28, v34
.LBB409_332:
	s_or_b64 exec, exec, s[20:21]
.LBB409_333:
	s_or_b64 exec, exec, s[10:11]
.LBB409_334:
	s_or_b64 exec, exec, s[2:3]
	s_movk_i32 s2, 0xff
	v_and_b32_sdwa v28, v23, s2 dst_sel:DWORD dst_unused:UNUSED_PAD src0_sel:WORD_1 src1_sel:DWORD
	v_lshrrev_b32_e32 v26, 16, v23
	v_cmp_ne_u16_e32 vcc, 0, v28
	s_and_saveexec_b64 s[2:3], vcc
	s_cbranch_execz .LBB409_340
; %bb.335:
	s_movk_i32 s9, 0x80
	v_cmp_ne_u16_e32 vcc, s9, v28
	v_bfrev_b32_e32 v33, 1
	s_and_saveexec_b64 s[10:11], vcc
	s_cbranch_execz .LBB409_339
; %bb.336:
	v_bfe_u32 v28, v23, 16, 7
	s_movk_i32 s9, 0x7f
	v_cmp_ne_u32_e32 vcc, s9, v28
	v_mov_b32_e32 v33, 0x7f800001
	s_and_saveexec_b64 s[20:21], vcc
	s_cbranch_execz .LBB409_338
; %bb.337:
	v_and_b32_e32 v33, 7, v26
	v_ffbh_u32_e32 v36, v33
	v_min_u32_e32 v38, 32, v36
	v_subrev_u32_e32 v36, 28, v38
	v_lshlrev_b64 v[36:37], v36, v[26:27]
	v_and_b32_e32 v36, 7, v36
	v_cmp_gt_u32_e32 vcc, 8, v28
	v_lshrrev_b32_e32 v35, 3, v28
	v_sub_u32_e32 v26, 29, v38
	v_cndmask_b32_e32 v28, v33, v36, vcc
	v_mov_b32_e32 v33, 24
	v_cndmask_b32_e32 v26, v35, v26, vcc
	v_lshlrev_b32_sdwa v33, v33, v23 dst_sel:DWORD dst_unused:UNUSED_PAD src0_sel:DWORD src1_sel:WORD_1
	v_bfrev_b32_e32 v35, 60
	v_lshlrev_b32_e32 v28, 20, v28
	v_and_b32_e32 v33, 0x80000000, v33
	v_lshl_add_u32 v26, v26, 23, v35
	v_or3_b32 v33, v33, v26, v28
.LBB409_338:
	s_or_b64 exec, exec, s[20:21]
.LBB409_339:
	s_or_b64 exec, exec, s[10:11]
.LBB409_340:
	s_or_b64 exec, exec, s[2:3]
	s_mov_b32 s2, -1
	s_mov_b32 s3, 0xffffff
	v_cmp_lt_u64_e32 vcc, s[2:3], v[22:23]
	v_mov_b32_e32 v28, 0
	v_mov_b32_e32 v26, 0
	s_and_saveexec_b64 s[2:3], vcc
	s_cbranch_execz .LBB409_346
; %bb.341:
	v_lshrrev_b32_e32 v22, 24, v23
	s_movk_i32 s9, 0x80
	v_cmp_ne_u32_e32 vcc, s9, v22
	v_bfrev_b32_e32 v26, 1
	s_and_saveexec_b64 s[10:11], vcc
	s_cbranch_execz .LBB409_345
; %bb.342:
	v_bfe_u32 v23, v23, 24, 7
	s_movk_i32 s9, 0x7f
	v_cmp_ne_u32_e32 vcc, s9, v23
	v_mov_b32_e32 v26, 0x7f800001
	s_and_saveexec_b64 s[20:21], vcc
	s_cbranch_execz .LBB409_344
; %bb.343:
	v_and_b32_e32 v26, 7, v22
	v_ffbh_u32_e32 v36, v26
	v_min_u32_e32 v38, 32, v36
	v_subrev_u32_e32 v36, 28, v38
	v_lshlrev_b64 v[36:37], v36, v[22:23]
	v_lshrrev_b32_e32 v35, 3, v23
	v_sub_u32_e32 v37, 29, v38
	v_and_b32_e32 v36, 7, v36
	v_cmp_gt_u32_e32 vcc, 8, v23
	v_cndmask_b32_e32 v23, v35, v37, vcc
	v_cndmask_b32_e32 v26, v26, v36, vcc
	v_lshlrev_b32_e32 v22, 24, v22
	v_bfrev_b32_e32 v35, 60
	v_lshlrev_b32_e32 v26, 20, v26
	v_and_b32_e32 v22, 0x80000000, v22
	v_lshl_add_u32 v23, v23, 23, v35
	v_or3_b32 v26, v22, v23, v26
.LBB409_344:
	s_or_b64 exec, exec, s[20:21]
.LBB409_345:
	s_or_b64 exec, exec, s[10:11]
.LBB409_346:
	s_or_b64 exec, exec, s[2:3]
	v_cvt_pkrtz_f16_f32 v22, v30, v31
	v_cvt_pkrtz_f16_f32 v23, v29, v32
	;; [unrolled: 1-line block ×4, first 2 shown]
	v_mfma_f32_4x4x4f16 a[0:3], v[18:19], v[22:23], a[0:3] cbsz:4 abid:6
	v_cmp_ne_u16_sdwa s[10:11], v24, v28 src0_sel:BYTE_0 src1_sel:DWORD
	v_mfma_f32_4x4x4f16 a[0:3], v[20:21], v[30:31], a[0:3] cbsz:4 abid:6
	s_and_saveexec_b64 s[2:3], s[10:11]
	s_cbranch_execz .LBB409_352
; %bb.347:
	s_movk_i32 s9, 0x80
	v_cmp_ne_u16_sdwa s[20:21], v24, s9 src0_sel:BYTE_0 src1_sel:DWORD
	v_bfrev_b32_e32 v28, 1
	s_and_saveexec_b64 s[10:11], s[20:21]
	s_cbranch_execz .LBB409_351
; %bb.348:
	s_movk_i32 s9, 0x7f
	v_and_b32_e32 v22, 0x7f, v24
	v_cmp_ne_u32_e32 vcc, s9, v22
	v_mov_b32_e32 v28, 0x7f800001
	s_and_saveexec_b64 s[20:21], vcc
	s_cbranch_execz .LBB409_350
; %bb.349:
	v_and_b32_e32 v23, 7, v24
	v_ffbh_u32_e32 v23, v23
	v_min_u32_e32 v23, 32, v23
	v_subrev_u32_e32 v27, 28, v23
	v_cmp_gt_u32_e32 vcc, 8, v22
	v_lshrrev_b32_e32 v26, 3, v22
	v_sub_u32_e32 v23, 29, v23
	v_cndmask_b32_e32 v22, 0, v27, vcc
	v_cndmask_b32_e32 v26, v26, v23, vcc
	v_lshlrev_b64 v[22:23], v22, v[24:25]
	v_lshlrev_b32_e32 v22, 20, v22
	v_lshlrev_b32_e32 v23, 24, v24
	v_bfrev_b32_e32 v27, 60
	v_and_b32_e32 v22, 0x700000, v22
	v_and_b32_e32 v23, 0x80000000, v23
	v_lshl_add_u32 v26, v26, 23, v27
	v_or3_b32 v28, v23, v26, v22
.LBB409_350:
	s_or_b64 exec, exec, s[20:21]
.LBB409_351:
	s_or_b64 exec, exec, s[10:11]
.LBB409_352:
	s_or_b64 exec, exec, s[2:3]
	v_lshrrev_b16_e32 v22, 8, v24
	v_cmp_ne_u16_e32 vcc, 0, v22
	v_mov_b32_e32 v27, 0
	v_mov_b32_e32 v29, 0
	s_and_saveexec_b64 s[2:3], vcc
	s_cbranch_execz .LBB409_358
; %bb.353:
	s_movk_i32 s9, 0x80
	v_cmp_ne_u16_e32 vcc, s9, v22
	v_bfrev_b32_e32 v29, 1
	s_and_saveexec_b64 s[10:11], vcc
	s_cbranch_execz .LBB409_357
; %bb.354:
	s_movk_i32 s9, 0x7f
	v_and_b32_e32 v23, 0x7f, v22
	v_cmp_ne_u32_e32 vcc, s9, v23
	v_mov_b32_e32 v29, 0x7f800001
	s_and_saveexec_b64 s[20:21], vcc
	s_cbranch_execz .LBB409_356
; %bb.355:
	v_and_b32_e32 v26, 7, v22
	v_ffbh_u32_e32 v30, v26
	v_min_u32_e32 v32, 32, v30
	v_subrev_u32_e32 v30, 28, v32
	v_lshlrev_b64 v[30:31], v30, v[22:23]
	v_lshrrev_b32_e32 v29, 3, v23
	v_sub_u32_e32 v22, 29, v32
	v_and_b32_e32 v30, 7, v30
	v_cmp_gt_u32_e32 vcc, 8, v23
	v_cndmask_b32_e32 v22, v29, v22, vcc
	v_cndmask_b32_e32 v23, v26, v30, vcc
	v_lshlrev_b32_e32 v26, 16, v24
	v_bfrev_b32_e32 v29, 60
	v_lshlrev_b32_e32 v23, 20, v23
	v_and_b32_e32 v26, 0x80000000, v26
	v_lshl_add_u32 v22, v22, 23, v29
	v_or3_b32 v29, v26, v22, v23
.LBB409_356:
	s_or_b64 exec, exec, s[20:21]
.LBB409_357:
	s_or_b64 exec, exec, s[10:11]
.LBB409_358:
	s_or_b64 exec, exec, s[2:3]
	s_movk_i32 s2, 0xff
	v_and_b32_sdwa v23, v24, s2 dst_sel:DWORD dst_unused:UNUSED_PAD src0_sel:WORD_1 src1_sel:DWORD
	v_lshrrev_b32_e32 v22, 16, v24
	v_cmp_ne_u16_e32 vcc, 0, v23
	s_and_saveexec_b64 s[2:3], vcc
	s_cbranch_execz .LBB409_364
; %bb.359:
	s_movk_i32 s9, 0x80
	v_cmp_ne_u16_e32 vcc, s9, v23
	v_bfrev_b32_e32 v27, 1
	s_and_saveexec_b64 s[10:11], vcc
	s_cbranch_execz .LBB409_363
; %bb.360:
	v_bfe_u32 v23, v24, 16, 7
	s_movk_i32 s9, 0x7f
	v_cmp_ne_u32_e32 vcc, s9, v23
	v_mov_b32_e32 v27, 0x7f800001
	s_and_saveexec_b64 s[20:21], vcc
	s_cbranch_execz .LBB409_362
; %bb.361:
	v_and_b32_e32 v30, 7, v22
	v_ffbh_u32_e32 v26, v30
	v_min_u32_e32 v32, 32, v26
	v_subrev_u32_e32 v26, 28, v32
	v_lshlrev_b64 v[26:27], v26, v[22:23]
	v_and_b32_e32 v26, 7, v26
	v_cmp_gt_u32_e32 vcc, 8, v23
	v_lshrrev_b32_e32 v31, 3, v23
	v_sub_u32_e32 v22, 29, v32
	v_cndmask_b32_e32 v23, v30, v26, vcc
	v_mov_b32_e32 v26, 24
	v_cndmask_b32_e32 v22, v31, v22, vcc
	v_lshlrev_b32_sdwa v26, v26, v24 dst_sel:DWORD dst_unused:UNUSED_PAD src0_sel:DWORD src1_sel:WORD_1
	v_bfrev_b32_e32 v27, 60
	v_lshlrev_b32_e32 v23, 20, v23
	v_and_b32_e32 v26, 0x80000000, v26
	v_lshl_add_u32 v22, v22, 23, v27
	v_or3_b32 v27, v26, v22, v23
.LBB409_362:
	s_or_b64 exec, exec, s[20:21]
.LBB409_363:
	s_or_b64 exec, exec, s[10:11]
.LBB409_364:
	s_or_b64 exec, exec, s[2:3]
	s_mov_b32 s2, 0xffffff
	v_cmp_lt_u32_e32 vcc, s2, v24
	v_mov_b32_e32 v23, 0
	v_mov_b32_e32 v30, 0
	s_and_saveexec_b64 s[2:3], vcc
	s_cbranch_execz .LBB409_370
; %bb.365:
	v_lshrrev_b32_e32 v22, 24, v24
	s_movk_i32 s9, 0x80
	v_cmp_ne_u32_e32 vcc, s9, v22
	v_bfrev_b32_e32 v30, 1
	s_and_saveexec_b64 s[10:11], vcc
	s_cbranch_execz .LBB409_369
; %bb.366:
	v_bfe_u32 v26, v24, 24, 7
	s_movk_i32 s9, 0x7f
	v_cmp_ne_u32_e32 vcc, s9, v26
	v_mov_b32_e32 v30, 0x7f800001
	s_and_saveexec_b64 s[20:21], vcc
	s_cbranch_execz .LBB409_368
; %bb.367:
	v_and_b32_e32 v32, 7, v22
	v_ffbh_u32_e32 v30, v32
	v_min_u32_e32 v34, 32, v30
	v_subrev_u32_e32 v30, 28, v34
	v_lshlrev_b64 v[30:31], v30, v[22:23]
	v_lshrrev_b32_e32 v33, 3, v26
	v_sub_u32_e32 v31, 29, v34
	v_and_b32_e32 v30, 7, v30
	v_cmp_gt_u32_e32 vcc, 8, v26
	v_cndmask_b32_e32 v26, v33, v31, vcc
	v_cndmask_b32_e32 v30, v32, v30, vcc
	v_lshlrev_b32_e32 v22, 24, v22
	v_bfrev_b32_e32 v31, 60
	v_lshlrev_b32_e32 v30, 20, v30
	v_and_b32_e32 v22, 0x80000000, v22
	v_lshl_add_u32 v26, v26, 23, v31
	v_or3_b32 v30, v22, v26, v30
.LBB409_368:
	s_or_b64 exec, exec, s[20:21]
.LBB409_369:
	s_or_b64 exec, exec, s[10:11]
.LBB409_370:
	s_or_b64 exec, exec, s[2:3]
	v_mov_b32_e32 v22, v25
	v_cmp_ne_u16_sdwa s[10:11], v25, v23 src0_sel:BYTE_0 src1_sel:DWORD
	s_and_saveexec_b64 s[2:3], s[10:11]
	s_cbranch_execz .LBB409_376
; %bb.371:
	s_movk_i32 s9, 0x80
	v_cmp_ne_u16_sdwa s[20:21], v25, s9 src0_sel:BYTE_0 src1_sel:DWORD
	v_bfrev_b32_e32 v26, 1
	s_and_saveexec_b64 s[10:11], s[20:21]
	s_cbranch_execz .LBB409_375
; %bb.372:
	s_movk_i32 s9, 0x7f
	v_and_b32_e32 v31, 0x7f, v25
	v_cmp_ne_u32_e32 vcc, s9, v31
	v_mov_b32_e32 v26, 0x7f800001
	s_and_saveexec_b64 s[20:21], vcc
	s_cbranch_execz .LBB409_374
; %bb.373:
	v_and_b32_e32 v26, 7, v25
	v_ffbh_u32_e32 v26, v26
	v_min_u32_e32 v26, 32, v26
	v_subrev_u32_e32 v33, 28, v26
	v_cmp_gt_u32_e32 vcc, 8, v31
	v_lshrrev_b32_e32 v32, 3, v31
	v_sub_u32_e32 v26, 29, v26
	v_cndmask_b32_e32 v31, 0, v33, vcc
	v_cndmask_b32_e32 v26, v32, v26, vcc
	v_lshlrev_b64 v[32:33], v31, v[22:23]
	v_lshlrev_b32_e32 v23, 20, v32
	v_lshlrev_b32_e32 v31, 24, v22
	v_bfrev_b32_e32 v32, 60
	v_and_b32_e32 v23, 0x700000, v23
	v_and_b32_e32 v31, 0x80000000, v31
	v_lshl_add_u32 v26, v26, 23, v32
	v_or3_b32 v26, v31, v26, v23
.LBB409_374:
	s_or_b64 exec, exec, s[20:21]
.LBB409_375:
	s_or_b64 exec, exec, s[10:11]
	v_mov_b32_e32 v23, v26
.LBB409_376:
	s_or_b64 exec, exec, s[2:3]
	v_lshrrev_b16_e32 v26, 8, v22
	v_cmp_ne_u16_e32 vcc, 0, v26
	v_mov_b32_e32 v31, 0
	v_mov_b32_e32 v32, 0
	s_and_saveexec_b64 s[2:3], vcc
	s_cbranch_execz .LBB409_382
; %bb.377:
	s_movk_i32 s9, 0x80
	v_cmp_ne_u16_e32 vcc, s9, v26
	v_bfrev_b32_e32 v32, 1
	s_and_saveexec_b64 s[10:11], vcc
	s_cbranch_execz .LBB409_381
; %bb.378:
	s_movk_i32 s9, 0x7f
	v_and_b32_e32 v33, 0x7f, v26
	v_cmp_ne_u32_e32 vcc, s9, v33
	v_mov_b32_e32 v32, 0x7f800001
	s_and_saveexec_b64 s[20:21], vcc
	s_cbranch_execz .LBB409_380
; %bb.379:
	v_and_b32_e32 v32, 7, v26
	v_ffbh_u32_e32 v34, v32
	v_min_u32_e32 v37, 32, v34
	v_subrev_u32_e32 v34, 28, v37
	v_lshlrev_b64 v[34:35], v34, v[26:27]
	v_lshrrev_b32_e32 v36, 3, v33
	v_sub_u32_e32 v26, 29, v37
	v_and_b32_e32 v34, 7, v34
	v_cmp_gt_u32_e32 vcc, 8, v33
	v_cndmask_b32_e32 v26, v36, v26, vcc
	v_cndmask_b32_e32 v32, v32, v34, vcc
	v_lshlrev_b32_e32 v22, 16, v22
	v_bfrev_b32_e32 v33, 60
	v_lshlrev_b32_e32 v32, 20, v32
	v_and_b32_e32 v22, 0x80000000, v22
	v_lshl_add_u32 v26, v26, 23, v33
	v_or3_b32 v32, v22, v26, v32
.LBB409_380:
	s_or_b64 exec, exec, s[20:21]
.LBB409_381:
	s_or_b64 exec, exec, s[10:11]
.LBB409_382:
	s_or_b64 exec, exec, s[2:3]
	s_movk_i32 s2, 0xff
	v_and_b32_sdwa v26, v25, s2 dst_sel:DWORD dst_unused:UNUSED_PAD src0_sel:WORD_1 src1_sel:DWORD
	v_lshrrev_b32_e32 v22, 16, v25
	v_cmp_ne_u16_e32 vcc, 0, v26
	s_and_saveexec_b64 s[2:3], vcc
	s_cbranch_execz .LBB409_388
; %bb.383:
	s_movk_i32 s9, 0x80
	v_cmp_ne_u16_e32 vcc, s9, v26
	v_bfrev_b32_e32 v31, 1
	s_and_saveexec_b64 s[10:11], vcc
	s_cbranch_execz .LBB409_387
; %bb.384:
	v_bfe_u32 v26, v25, 16, 7
	s_movk_i32 s9, 0x7f
	v_cmp_ne_u32_e32 vcc, s9, v26
	v_mov_b32_e32 v31, 0x7f800001
	s_and_saveexec_b64 s[20:21], vcc
	s_cbranch_execz .LBB409_386
; %bb.385:
	v_and_b32_e32 v31, 7, v22
	v_ffbh_u32_e32 v34, v31
	v_min_u32_e32 v36, 32, v34
	v_subrev_u32_e32 v34, 28, v36
	v_lshlrev_b64 v[34:35], v34, v[22:23]
	v_and_b32_e32 v34, 7, v34
	v_cmp_gt_u32_e32 vcc, 8, v26
	v_lshrrev_b32_e32 v33, 3, v26
	v_sub_u32_e32 v22, 29, v36
	v_cndmask_b32_e32 v26, v31, v34, vcc
	v_mov_b32_e32 v31, 24
	v_cndmask_b32_e32 v22, v33, v22, vcc
	v_lshlrev_b32_sdwa v31, v31, v25 dst_sel:DWORD dst_unused:UNUSED_PAD src0_sel:DWORD src1_sel:WORD_1
	v_bfrev_b32_e32 v33, 60
	v_lshlrev_b32_e32 v26, 20, v26
	v_and_b32_e32 v31, 0x80000000, v31
	v_lshl_add_u32 v22, v22, 23, v33
	v_or3_b32 v31, v31, v22, v26
.LBB409_386:
	s_or_b64 exec, exec, s[20:21]
.LBB409_387:
	s_or_b64 exec, exec, s[10:11]
.LBB409_388:
	s_or_b64 exec, exec, s[2:3]
	s_mov_b32 s2, -1
	s_mov_b32 s3, 0xffffff
	v_cmp_lt_u64_e32 vcc, s[2:3], v[24:25]
	v_mov_b32_e32 v24, 0
	s_and_saveexec_b64 s[2:3], vcc
	s_cbranch_execz .LBB409_394
; %bb.389:
	v_lshrrev_b32_e32 v22, 24, v25
	s_movk_i32 s9, 0x80
	v_cmp_ne_u32_e32 vcc, s9, v22
	v_bfrev_b32_e32 v24, 1
	s_and_saveexec_b64 s[10:11], vcc
	s_cbranch_execz .LBB409_393
; %bb.390:
	v_bfe_u32 v25, v25, 24, 7
	s_movk_i32 s9, 0x7f
	v_cmp_ne_u32_e32 vcc, s9, v25
	v_mov_b32_e32 v24, 0x7f800001
	s_and_saveexec_b64 s[20:21], vcc
	s_cbranch_execz .LBB409_392
; %bb.391:
	v_and_b32_e32 v24, 7, v22
	v_ffbh_u32_e32 v33, v24
	v_min_u32_e32 v33, 32, v33
	v_subrev_u32_e32 v34, 28, v33
	v_lshlrev_b64 v[34:35], v34, v[22:23]
	v_lshrrev_b32_e32 v26, 3, v25
	v_sub_u32_e32 v33, 29, v33
	v_and_b32_e32 v34, 7, v34
	v_cmp_gt_u32_e32 vcc, 8, v25
	v_cndmask_b32_e32 v25, v26, v33, vcc
	v_cndmask_b32_e32 v24, v24, v34, vcc
	v_lshlrev_b32_e32 v22, 24, v22
	v_bfrev_b32_e32 v26, 60
	v_lshlrev_b32_e32 v24, 20, v24
	v_and_b32_e32 v22, 0x80000000, v22
	v_lshl_add_u32 v25, v25, 23, v26
	v_or3_b32 v24, v22, v25, v24
.LBB409_392:
	s_or_b64 exec, exec, s[20:21]
.LBB409_393:
	s_or_b64 exec, exec, s[10:11]
.LBB409_394:
	s_or_b64 exec, exec, s[2:3]
	s_load_dword s2, s[4:5], 0x1c
	v_cvt_pkrtz_f16_f32 v26, v28, v29
	v_cvt_pkrtz_f16_f32 v27, v27, v30
	s_load_dword s3, s[12:13], 0x0
	v_cvt_pkrtz_f16_f32 v22, v23, v32
	v_mfma_f32_4x4x4f16 a[0:3], v[18:19], v[26:27], a[0:3] cbsz:4 abid:7
	v_cvt_pkrtz_f16_f32 v23, v31, v24
	s_waitcnt lgkmcnt(0)
	v_mov_b32_e32 v18, s2
	v_cmp_eq_u32_e32 vcc, 0, v43
	v_mfma_f32_4x4x4f16 a[0:3], v[20:21], v[22:23], a[0:3] cbsz:4 abid:7
	v_mul_f32_e32 v20, s3, v18
	s_nop 3
	v_accvgpr_read_b32 v23, a1
	v_accvgpr_read_b32 v22, a0
	v_pk_mul_f32 v[22:23], v[22:23], v[20:21] op_sel_hi:[1,0]
	v_accvgpr_read_b32 v19, a3
	v_accvgpr_read_b32 v18, a2
	v_pk_mul_f32 v[18:19], v[18:19], v[20:21] op_sel_hi:[1,0]
	v_cndmask_b32_e64 v20, 0, 1.0, vcc
	v_cmp_eq_u32_e32 vcc, 1, v43
	s_nop 0
	v_mfma_f32_4x4x1f32 a[0:3], v22, v20, 0
	v_cndmask_b32_e64 v20, 0, 1.0, vcc
	v_cmp_eq_u32_e32 vcc, 2, v43
	v_mov_b32_e32 v22, 0xff7fffff
	v_mfma_f32_4x4x1f32 a[0:3], v23, v20, a[0:3]
	v_cndmask_b32_e64 v20, 0, 1.0, vcc
	v_cmp_eq_u32_e32 vcc, 3, v43
	s_nop 0
	v_mfma_f32_4x4x1f32 a[0:3], v18, v20, a[0:3]
	v_cndmask_b32_e64 v18, 0, 1.0, vcc
	s_nop 1
	v_mfma_f32_4x4x1f32 a[0:3], v19, v18, a[0:3]
	v_and_b32_e32 v18, -4, v44
	v_cmp_gt_i32_e32 vcc, s7, v18
	v_lshlrev_b32_e32 v19, 2, v0
	v_and_or_b32 v19, v19, 48, v43
	s_nop 0
	v_accvgpr_read_b32 v20, a0
	v_max_f32_e32 v21, v20, v20
	v_max_f32_e32 v21, 0xff7fffff, v21
	v_accvgpr_read_b32 v23, a1
	v_cndmask_b32_e32 v21, v22, v21, vcc
	v_or_b32_e32 v22, 1, v18
	v_max_f32_e32 v24, v23, v23
	v_max_f32_e32 v24, v21, v24
	v_cmp_gt_i32_e64 s[2:3], s7, v22
	v_accvgpr_read_b32 v22, a2
	v_cndmask_b32_e64 v21, v21, v24, s[2:3]
	v_or_b32_e32 v18, 2, v18
	v_max_f32_e32 v24, v22, v22
	v_max_f32_e32 v24, v21, v24
	v_cmp_gt_i32_e64 s[4:5], s7, v18
	v_cndmask_b32_e64 v18, v21, v24, s[4:5]
	v_accvgpr_read_b32 v24, a3
	v_or_b32_e32 v21, 3, v44
	v_max_f32_e32 v25, v24, v24
	v_max_f32_e32 v25, v18, v25
	v_cmp_gt_i32_e64 s[10:11], s7, v21
	v_cndmask_b32_e64 v18, v18, v25, s[10:11]
	;;#ASMSTART
	v_nop
 v_nop
 v_max_f32_dpp v18, v18, v18 row_ror:4
	;;#ASMEND
	v_lshlrev_b32_e32 v25, 2, v19
	;;#ASMSTART
	v_nop
 v_nop
 v_max_f32_dpp v18, v18, v18 row_ror:8
	;;#ASMEND
	ds_bpermute_b32 v18, v25, v18
	s_waitcnt lgkmcnt(0)
	;;#ASMSTART
	v_nop
 v_nop
 v_max_f32_dpp v18, v18, v18 row_ror:4
	;;#ASMEND
	;;#ASMSTART
	v_nop
 v_nop
 v_max_f32_dpp v26, v18, v18 row_ror:8
	;;#ASMEND
	v_sub_f32_e32 v18, v20, v26
	v_mul_f32_e32 v18, 0x3fb8aa3b, v18
	v_sub_f32_e32 v19, v23, v26
	v_exp_f32_e32 v18, v18
	v_mul_f32_e32 v19, 0x3fb8aa3b, v19
	v_sub_f32_e32 v21, v22, v26
	v_exp_f32_e32 v19, v19
	;; [unrolled: 3-line block ×3, first 2 shown]
	v_mul_f32_e32 v22, 0x3fb8aa3b, v22
	v_exp_f32_e32 v22, v22
	v_cndmask_b32_e32 v18, 0, v18, vcc
	v_add_f32_e32 v20, 0, v18
	v_cndmask_b32_e64 v19, 0, v19, s[2:3]
	v_add_f32_e32 v23, v20, v19
	v_cndmask_b32_e64 v20, 0, v21, s[4:5]
	;; [unrolled: 2-line block ×3, first 2 shown]
	v_add_f32_e32 v22, v23, v21
	;;#ASMSTART
	v_nop
 v_nop
 v_add_f32_dpp v22, v22, v22 row_ror:4
	;;#ASMEND
	;;#ASMSTART
	v_nop
 v_nop
 v_add_f32_dpp v22, v22, v22 row_ror:8
	;;#ASMEND
	ds_bpermute_b32 v22, v25, v22
	s_waitcnt lgkmcnt(0)
	;;#ASMSTART
	v_nop
 v_nop
 v_add_f32_dpp v22, v22, v22 row_ror:4
	;;#ASMEND
	v_cmp_gt_u32_e32 vcc, 4, v1
	;;#ASMSTART
	v_nop
 v_nop
 v_add_f32_dpp v22, v22, v22 row_ror:8
	;;#ASMEND
	s_and_saveexec_b64 s[2:3], vcc
	s_cbranch_execz .LBB409_396
; %bb.395:
	v_mul_u32_u24_e32 v23, 20, v42
	v_lshl_add_u32 v23, v43, 2, v23
	v_add_u32_e32 v23, 0x800, v23
	ds_write2_b32 v23, v26, v22 offset0:128 offset1:148
.LBB409_396:
	s_or_b64 exec, exec, s[2:3]
.LBB409_397:
	s_or_b64 exec, exec, s[36:37]
	v_lshlrev_b32_e32 v22, 2, v43
	v_add_u32_e32 v30, 0x800, v22
	s_waitcnt lgkmcnt(0)
	s_barrier
	s_load_dword s2, s[34:35], 0x8
	ds_read2_b32 v[22:23], v30 offset0:128 offset1:133
	ds_read2_b32 v[24:25], v30 offset0:138 offset1:143
	s_mov_b32 s7, 0xff7fffff
	s_mul_i32 s3, s6, s33
	ds_read2_b32 v[28:29], v30 offset0:148 offset1:153
	s_waitcnt lgkmcnt(0)
	v_max3_f32 v27, v22, s7, v23
	v_max3_f32 v27, v27, v24, v25
	v_sub_f32_e32 v22, v22, v27
	v_mul_f32_e32 v22, 0x3fb8aa3b, v22
	v_exp_f32_e32 v31, v22
	v_sub_f32_e32 v22, v23, v27
	s_mul_i32 s3, s3, s2
	v_mul_f32_e32 v22, 0x3fb8aa3b, v22
	v_sub_f32_e32 v24, v24, v27
	s_lshl_b32 s2, s3, 2
	s_mov_b32 s3, 0
	v_exp_f32_e32 v32, v22
	ds_read2_b32 v[22:23], v30 offset0:158 offset1:163
	v_mul_f32_e32 v24, 0x3fb8aa3b, v24
	v_sub_f32_e32 v25, v25, v27
	s_lshl_b32 s10, s8, 2
	s_lshl_b64 s[4:5], s[2:3], 2
	v_exp_f32_e32 v24, v24
	v_mul_f32_e32 v25, 0x3fb8aa3b, v25
	s_mov_b32 s29, s3
	s_add_u32 s3, s16, s4
	v_exp_f32_e32 v25, v25
	s_addc_u32 s6, s17, s5
	v_fma_f32 v28, v31, v28, 0
	s_add_u32 s7, s18, s4
	v_fmac_f32_e32 v28, v32, v29
	s_addc_u32 s8, s19, s5
	s_lshl_b64 s[4:5], s[28:29], 2
	s_waitcnt lgkmcnt(0)
	v_fmac_f32_e32 v28, v24, v22
	v_or_b32_e32 v22, s10, v43
	s_add_u32 s7, s7, s4
	v_fmac_f32_e32 v28, v25, v23
	v_mul_lo_u32 v22, s33, v22
	v_mov_b32_e32 v23, 0
	s_addc_u32 s8, s8, s5
	v_lshlrev_b64 v[24:25], 2, v[22:23]
	s_add_u32 s3, s3, s4
	v_mov_b32_e32 v22, s8
	v_add_co_u32_e32 v30, vcc, s7, v24
	s_addc_u32 s4, s6, s5
	v_addc_co_u32_e32 v31, vcc, v22, v25, vcc
	v_mov_b32_e32 v22, s4
	v_add_co_u32_e32 v24, vcc, s3, v24
	v_addc_co_u32_e32 v25, vcc, v22, v25, vcc
	global_store_dword v[24:25], v28, off
	v_lshlrev_b32_e32 v25, 3, v42
	global_store_dword v[30:31], v27, off
	s_and_saveexec_b64 s[4:5], s[0:1]
	s_xor_b64 s[0:1], exec, s[4:5]
	s_cbranch_execz .LBB409_399
; %bb.398:
	s_waitcnt vmcnt(2)
	v_mad_u32_u24 v2, v1, 40, v25
	v_mov_b32_e32 v22, v23
	ds_write_b64 v2, v[22:23]
                                        ; implicit-def: $vgpr21
                                        ; implicit-def: $vgpr19
                                        ; implicit-def: $vgpr26
                                        ; implicit-def: $vgpr14_vgpr15
                                        ; implicit-def: $vgpr10_vgpr11
                                        ; implicit-def: $vgpr6_vgpr7
                                        ; implicit-def: $vgpr2_vgpr3
                                        ; implicit-def: $vgpr27
                                        ; implicit-def: $vgpr28
                                        ; implicit-def: $vgpr25
.LBB409_399:
	s_andn2_saveexec_b64 s[0:1], s[0:1]
	s_cbranch_execz .LBB409_785
; %bb.400:
	v_mov_b32_e32 v29, 0
	s_waitcnt vmcnt(5)
	v_cmp_ne_u16_sdwa s[6:7], v14, v29 src0_sel:BYTE_0 src1_sel:DWORD
	v_mov_b32_e32 v30, 0
	s_and_saveexec_b64 s[4:5], s[6:7]
	s_cbranch_execz .LBB409_406
; %bb.401:
	s_movk_i32 s3, 0x80
	v_cmp_ne_u16_sdwa s[8:9], v14, s3 src0_sel:BYTE_0 src1_sel:DWORD
	v_bfrev_b32_e32 v30, 1
	s_and_saveexec_b64 s[6:7], s[8:9]
	s_cbranch_execz .LBB409_405
; %bb.402:
	s_movk_i32 s3, 0x7f
	v_and_b32_e32 v22, 0x7f, v14
	v_cmp_ne_u32_e32 vcc, s3, v22
	v_mov_b32_e32 v30, 0x7f800001
	s_and_saveexec_b64 s[8:9], vcc
	s_cbranch_execz .LBB409_404
; %bb.403:
	v_and_b32_e32 v23, 7, v14
	v_ffbh_u32_e32 v23, v23
	v_min_u32_e32 v23, 32, v23
	v_subrev_u32_e32 v30, 28, v23
	v_cmp_gt_u32_e32 vcc, 8, v22
	v_lshrrev_b32_e32 v24, 3, v22
	v_sub_u32_e32 v23, 29, v23
	v_cndmask_b32_e32 v22, 0, v30, vcc
	v_cndmask_b32_e32 v24, v24, v23, vcc
	v_lshlrev_b64 v[22:23], v22, v[14:15]
	v_lshlrev_b32_e32 v22, 20, v22
	v_lshlrev_b32_e32 v23, 24, v14
	v_bfrev_b32_e32 v30, 60
	v_and_b32_e32 v22, 0x700000, v22
	v_and_b32_e32 v23, 0x80000000, v23
	v_lshl_add_u32 v24, v24, 23, v30
	v_or3_b32 v30, v23, v24, v22
.LBB409_404:
	s_or_b64 exec, exec, s[8:9]
.LBB409_405:
	s_or_b64 exec, exec, s[6:7]
.LBB409_406:
	s_or_b64 exec, exec, s[4:5]
	v_lshrrev_b16_e32 v22, 8, v14
	v_cmp_ne_u16_e32 vcc, 0, v22
	s_and_saveexec_b64 s[4:5], vcc
	s_cbranch_execz .LBB409_412
; %bb.407:
	s_movk_i32 s3, 0x80
	v_cmp_ne_u16_e32 vcc, s3, v22
	v_bfrev_b32_e32 v29, 1
	s_and_saveexec_b64 s[6:7], vcc
	s_cbranch_execz .LBB409_411
; %bb.408:
	s_movk_i32 s3, 0x7f
	v_and_b32_e32 v23, 0x7f, v22
	v_cmp_ne_u32_e32 vcc, s3, v23
	v_mov_b32_e32 v29, 0x7f800001
	s_and_saveexec_b64 s[8:9], vcc
	s_cbranch_execz .LBB409_410
; %bb.409:
	v_and_b32_e32 v24, 7, v22
	v_ffbh_u32_e32 v31, v24
	v_min_u32_e32 v31, 32, v31
	v_subrev_u32_e32 v32, 28, v31
	v_lshlrev_b64 v[32:33], v32, v[22:23]
	v_lshrrev_b32_e32 v29, 3, v23
	v_sub_u32_e32 v22, 29, v31
	v_and_b32_e32 v31, 7, v32
	v_cmp_gt_u32_e32 vcc, 8, v23
	v_cndmask_b32_e32 v22, v29, v22, vcc
	v_cndmask_b32_e32 v23, v24, v31, vcc
	v_lshlrev_b32_e32 v24, 16, v14
	v_bfrev_b32_e32 v29, 60
	v_lshlrev_b32_e32 v23, 20, v23
	v_and_b32_e32 v24, 0x80000000, v24
	v_lshl_add_u32 v22, v22, 23, v29
	v_or3_b32 v29, v24, v22, v23
.LBB409_410:
	s_or_b64 exec, exec, s[8:9]
.LBB409_411:
	s_or_b64 exec, exec, s[6:7]
.LBB409_412:
	s_or_b64 exec, exec, s[4:5]
	s_movk_i32 s3, 0xff
	v_and_b32_sdwa v23, v14, s3 dst_sel:DWORD dst_unused:UNUSED_PAD src0_sel:WORD_1 src1_sel:DWORD
	v_lshrrev_b32_e32 v22, 16, v14
	v_cmp_ne_u16_e32 vcc, 0, v23
	v_mov_b32_e32 v31, 0
	v_mov_b32_e32 v32, 0
	s_and_saveexec_b64 s[4:5], vcc
	s_cbranch_execz .LBB409_418
; %bb.413:
	s_movk_i32 s3, 0x80
	v_cmp_ne_u16_e32 vcc, s3, v23
	v_bfrev_b32_e32 v32, 1
	s_and_saveexec_b64 s[6:7], vcc
	s_cbranch_execz .LBB409_417
; %bb.414:
	v_bfe_u32 v23, v14, 16, 7
	s_movk_i32 s3, 0x7f
	v_cmp_ne_u32_e32 vcc, s3, v23
	v_mov_b32_e32 v32, 0x7f800001
	s_and_saveexec_b64 s[8:9], vcc
	s_cbranch_execz .LBB409_416
; %bb.415:
	v_and_b32_e32 v24, 7, v22
	v_ffbh_u32_e32 v32, v24
	v_min_u32_e32 v35, 32, v32
	v_subrev_u32_e32 v32, 28, v35
	v_lshlrev_b64 v[32:33], v32, v[22:23]
	v_and_b32_e32 v32, 7, v32
	v_cmp_gt_u32_e32 vcc, 8, v23
	v_lshrrev_b32_e32 v34, 3, v23
	v_sub_u32_e32 v22, 29, v35
	v_cndmask_b32_e32 v23, v24, v32, vcc
	v_mov_b32_e32 v24, 24
	v_cndmask_b32_e32 v22, v34, v22, vcc
	v_lshlrev_b32_sdwa v24, v24, v14 dst_sel:DWORD dst_unused:UNUSED_PAD src0_sel:DWORD src1_sel:WORD_1
	v_bfrev_b32_e32 v32, 60
	v_lshlrev_b32_e32 v23, 20, v23
	v_and_b32_e32 v24, 0x80000000, v24
	v_lshl_add_u32 v22, v22, 23, v32
	v_or3_b32 v32, v24, v22, v23
.LBB409_416:
	s_or_b64 exec, exec, s[8:9]
.LBB409_417:
	s_or_b64 exec, exec, s[6:7]
.LBB409_418:
	s_or_b64 exec, exec, s[4:5]
	s_mov_b32 s3, 0xffffff
	v_cmp_lt_u32_e32 vcc, s3, v14
	s_and_saveexec_b64 s[4:5], vcc
	s_cbranch_execz .LBB409_424
; %bb.419:
	v_lshrrev_b32_e32 v22, 24, v14
	s_movk_i32 s3, 0x80
	v_cmp_ne_u32_e32 vcc, s3, v22
	v_bfrev_b32_e32 v31, 1
	s_and_saveexec_b64 s[6:7], vcc
	s_cbranch_execz .LBB409_423
; %bb.420:
	v_bfe_u32 v23, v14, 24, 7
	s_movk_i32 s3, 0x7f
	v_cmp_ne_u32_e32 vcc, s3, v23
	v_mov_b32_e32 v31, 0x7f800001
	s_and_saveexec_b64 s[8:9], vcc
	s_cbranch_execz .LBB409_422
; %bb.421:
	v_and_b32_e32 v24, 7, v22
	v_ffbh_u32_e32 v33, v24
	v_min_u32_e32 v33, 32, v33
	v_subrev_u32_e32 v34, 28, v33
	v_lshlrev_b64 v[34:35], v34, v[22:23]
	v_lshrrev_b32_e32 v31, 3, v23
	v_sub_u32_e32 v33, 29, v33
	v_and_b32_e32 v34, 7, v34
	v_cmp_gt_u32_e32 vcc, 8, v23
	v_cndmask_b32_e32 v23, v31, v33, vcc
	v_cndmask_b32_e32 v24, v24, v34, vcc
	v_lshlrev_b32_e32 v22, 24, v22
	v_bfrev_b32_e32 v31, 60
	v_lshlrev_b32_e32 v24, 20, v24
	v_and_b32_e32 v22, 0x80000000, v22
	v_lshl_add_u32 v23, v23, 23, v31
	v_or3_b32 v31, v22, v23, v24
.LBB409_422:
	s_or_b64 exec, exec, s[8:9]
.LBB409_423:
	s_or_b64 exec, exec, s[6:7]
.LBB409_424:
	s_or_b64 exec, exec, s[4:5]
	v_mov_b32_e32 v23, 0
	v_mov_b32_e32 v22, v15
	v_cmp_ne_u16_sdwa s[6:7], v15, v23 src0_sel:BYTE_0 src1_sel:DWORD
	v_mov_b32_e32 v33, v23
	s_and_saveexec_b64 s[4:5], s[6:7]
	s_cbranch_execz .LBB409_430
; %bb.425:
	s_movk_i32 s3, 0x80
	v_cmp_ne_u16_sdwa s[8:9], v15, s3 src0_sel:BYTE_0 src1_sel:DWORD
	v_bfrev_b32_e32 v33, 1
	s_and_saveexec_b64 s[6:7], s[8:9]
	s_cbranch_execz .LBB409_429
; %bb.426:
	s_movk_i32 s3, 0x7f
	v_and_b32_e32 v24, 0x7f, v15
	v_cmp_ne_u32_e32 vcc, s3, v24
	v_mov_b32_e32 v33, 0x7f800001
	s_and_saveexec_b64 s[8:9], vcc
	s_cbranch_execz .LBB409_428
; %bb.427:
	v_and_b32_e32 v33, 7, v15
	v_ffbh_u32_e32 v33, v33
	v_min_u32_e32 v33, 32, v33
	v_lshrrev_b32_e32 v34, 3, v24
	v_subrev_u32_e32 v35, 28, v33
	v_sub_u32_e32 v33, 29, v33
	v_cmp_gt_u32_e32 vcc, 8, v24
	v_cndmask_b32_e32 v24, v34, v33, vcc
	v_cndmask_b32_e32 v33, 0, v35, vcc
	v_lshlrev_b64 v[34:35], v33, v[22:23]
	v_lshlrev_b32_e32 v33, 20, v34
	v_lshlrev_b32_e32 v34, 24, v22
	v_bfrev_b32_e32 v35, 60
	v_and_b32_e32 v33, 0x700000, v33
	v_and_b32_e32 v34, 0x80000000, v34
	v_lshl_add_u32 v24, v24, 23, v35
	v_or3_b32 v33, v34, v24, v33
.LBB409_428:
	s_or_b64 exec, exec, s[8:9]
.LBB409_429:
	s_or_b64 exec, exec, s[6:7]
.LBB409_430:
	s_or_b64 exec, exec, s[4:5]
	v_lshrrev_b16_e32 v24, 8, v22
	v_cmp_ne_u16_e32 vcc, 0, v24
	s_and_saveexec_b64 s[4:5], vcc
	s_cbranch_execz .LBB409_436
; %bb.431:
	s_movk_i32 s3, 0x80
	v_cmp_ne_u16_e32 vcc, s3, v24
	v_bfrev_b32_e32 v23, 1
	s_and_saveexec_b64 s[6:7], vcc
	s_cbranch_execz .LBB409_435
; %bb.432:
	s_movk_i32 s3, 0x7f
	v_and_b32_e32 v34, 0x7f, v24
	v_cmp_ne_u32_e32 vcc, s3, v34
	v_mov_b32_e32 v23, 0x7f800001
	s_and_saveexec_b64 s[8:9], vcc
	s_cbranch_execz .LBB409_434
; %bb.433:
	v_and_b32_e32 v23, 7, v24
	v_ffbh_u32_e32 v36, v23
	v_min_u32_e32 v38, 32, v36
	v_subrev_u32_e32 v36, 28, v38
	v_lshlrev_b64 v[36:37], v36, v[24:25]
	v_lshrrev_b32_e32 v35, 3, v34
	v_sub_u32_e32 v24, 29, v38
	v_and_b32_e32 v36, 7, v36
	v_cmp_gt_u32_e32 vcc, 8, v34
	v_cndmask_b32_e32 v24, v35, v24, vcc
	v_cndmask_b32_e32 v23, v23, v36, vcc
	v_lshlrev_b32_e32 v22, 16, v22
	v_bfrev_b32_e32 v34, 60
	v_lshlrev_b32_e32 v23, 20, v23
	v_and_b32_e32 v22, 0x80000000, v22
	v_lshl_add_u32 v24, v24, 23, v34
	v_or3_b32 v23, v22, v24, v23
.LBB409_434:
	s_or_b64 exec, exec, s[8:9]
.LBB409_435:
	s_or_b64 exec, exec, s[6:7]
.LBB409_436:
	s_or_b64 exec, exec, s[4:5]
	s_movk_i32 s3, 0xff
	v_and_b32_sdwa v35, v15, s3 dst_sel:DWORD dst_unused:UNUSED_PAD src0_sel:WORD_1 src1_sel:DWORD
	v_lshrrev_b32_e32 v22, 16, v15
	v_cmp_ne_u16_e32 vcc, 0, v35
	v_mov_b32_e32 v24, 0
	v_mov_b32_e32 v34, 0
	s_and_saveexec_b64 s[4:5], vcc
	s_cbranch_execz .LBB409_442
; %bb.437:
	s_movk_i32 s3, 0x80
	v_cmp_ne_u16_e32 vcc, s3, v35
	v_bfrev_b32_e32 v34, 1
	s_and_saveexec_b64 s[6:7], vcc
	s_cbranch_execz .LBB409_441
; %bb.438:
	v_bfe_u32 v35, v15, 16, 7
	s_movk_i32 s3, 0x7f
	v_cmp_ne_u32_e32 vcc, s3, v35
	v_mov_b32_e32 v34, 0x7f800001
	s_and_saveexec_b64 s[8:9], vcc
	s_cbranch_execz .LBB409_440
; %bb.439:
	v_and_b32_e32 v34, 7, v22
	v_ffbh_u32_e32 v36, v34
	v_min_u32_e32 v39, 32, v36
	v_subrev_u32_e32 v36, 28, v39
	v_lshlrev_b64 v[36:37], v36, v[22:23]
	v_lshrrev_b32_e32 v38, 3, v35
	v_sub_u32_e32 v22, 29, v39
	v_and_b32_e32 v36, 7, v36
	v_cmp_gt_u32_e32 vcc, 8, v35
	v_mov_b32_e32 v35, 24
	v_cndmask_b32_e32 v22, v38, v22, vcc
	v_cndmask_b32_e32 v34, v34, v36, vcc
	v_lshlrev_b32_sdwa v35, v35, v15 dst_sel:DWORD dst_unused:UNUSED_PAD src0_sel:DWORD src1_sel:WORD_1
	v_bfrev_b32_e32 v36, 60
	v_lshlrev_b32_e32 v34, 20, v34
	v_and_b32_e32 v35, 0x80000000, v35
	v_lshl_add_u32 v22, v22, 23, v36
	v_or3_b32 v34, v35, v22, v34
.LBB409_440:
	s_or_b64 exec, exec, s[8:9]
.LBB409_441:
	s_or_b64 exec, exec, s[6:7]
.LBB409_442:
	s_or_b64 exec, exec, s[4:5]
	s_mov_b32 s4, -1
	s_mov_b32 s5, 0xffffff
	v_cmp_lt_u64_e32 vcc, s[4:5], v[14:15]
	s_and_saveexec_b64 s[4:5], vcc
	s_cbranch_execz .LBB409_448
; %bb.443:
	v_lshrrev_b32_e32 v14, 24, v15
	s_movk_i32 s3, 0x80
	v_cmp_ne_u32_e32 vcc, s3, v14
	v_bfrev_b32_e32 v24, 1
	s_and_saveexec_b64 s[6:7], vcc
	s_cbranch_execz .LBB409_447
; %bb.444:
	v_bfe_u32 v15, v15, 24, 7
	s_movk_i32 s3, 0x7f
	v_cmp_ne_u32_e32 vcc, s3, v15
	v_mov_b32_e32 v24, 0x7f800001
	s_and_saveexec_b64 s[8:9], vcc
	s_cbranch_execz .LBB409_446
; %bb.445:
	v_and_b32_e32 v22, 7, v14
	v_ffbh_u32_e32 v35, v22
	v_min_u32_e32 v35, 32, v35
	v_subrev_u32_e32 v36, 28, v35
	v_lshlrev_b64 v[36:37], v36, v[14:15]
	v_lshrrev_b32_e32 v24, 3, v15
	v_sub_u32_e32 v35, 29, v35
	v_and_b32_e32 v36, 7, v36
	v_cmp_gt_u32_e32 vcc, 8, v15
	v_cndmask_b32_e32 v15, v24, v35, vcc
	v_cndmask_b32_e32 v22, v22, v36, vcc
	v_lshlrev_b32_e32 v14, 24, v14
	v_bfrev_b32_e32 v24, 60
	v_lshlrev_b32_e32 v22, 20, v22
	v_and_b32_e32 v14, 0x80000000, v14
	v_lshl_add_u32 v15, v15, 23, v24
	v_or3_b32 v24, v14, v15, v22
.LBB409_446:
	s_or_b64 exec, exec, s[8:9]
.LBB409_447:
	s_or_b64 exec, exec, s[6:7]
.LBB409_448:
	s_or_b64 exec, exec, s[4:5]
	v_add_f32_e32 v14, 0x358637bd, v28
	v_div_scale_f32 v15, s[4:5], v14, v14, 1.0
	v_rcp_f32_e32 v22, v15
	v_div_scale_f32 v28, vcc, 1.0, v14, 1.0
	v_sub_f32_e32 v26, v26, v27
	v_fma_f32 v35, -v15, v22, 1.0
	v_fmac_f32_e32 v22, v35, v22
	v_mul_f32_e32 v35, v28, v22
	v_fma_f32 v36, -v15, v35, v28
	v_mul_f32_e32 v26, 0x3fb8aa3b, v26
	v_fmac_f32_e32 v35, v36, v22
	v_exp_f32_e32 v26, v26
	v_fma_f32 v15, -v15, v35, v28
	v_div_fmas_f32 v15, v15, v22, v35
	v_div_fixup_f32 v14, v15, v14, 1.0
	v_mul_f32_e32 v14, v26, v14
	v_pk_mul_f32 v[20:21], v[20:21], v[14:15] op_sel_hi:[1,0]
	v_pk_mul_f32 v[14:15], v[18:19], v[14:15] op_sel_hi:[1,0]
	v_cvt_f16_f32_e32 v14, v14
	v_cvt_f16_f32_e32 v15, v15
	;; [unrolled: 1-line block ×4, first 2 shown]
	v_cvt_pkrtz_f16_f32 v22, v33, v23
	v_pack_b32_f16 v14, v14, v15
	v_cvt_pkrtz_f16_f32 v23, v34, v24
	v_pack_b32_f16 v15, v18, v19
	v_cvt_pkrtz_f16_f32 v18, v30, v29
	v_cvt_pkrtz_f16_f32 v19, v32, v31
	v_mov_b32_e32 v21, 0
	s_nop 0
	v_mfma_f32_4x4x4f16 a[0:3], v[14:15], v[18:19], 0 cbsz:4
	v_mfma_f32_4x4x4f16 a[0:3], v[14:15], v[22:23], a[0:3] cbsz:4 abid:1
	v_mov_b32_e32 v22, 0
	v_cmp_ne_u16_sdwa s[6:7], v16, v22 src0_sel:BYTE_0 src1_sel:DWORD
	s_and_saveexec_b64 s[4:5], s[6:7]
	s_cbranch_execz .LBB409_454
; %bb.449:
	s_movk_i32 s3, 0x80
	v_cmp_ne_u16_sdwa s[8:9], v16, s3 src0_sel:BYTE_0 src1_sel:DWORD
	v_bfrev_b32_e32 v21, 1
	s_and_saveexec_b64 s[6:7], s[8:9]
	s_cbranch_execz .LBB409_453
; %bb.450:
	s_movk_i32 s3, 0x7f
	v_and_b32_e32 v18, 0x7f, v16
	v_cmp_ne_u32_e32 vcc, s3, v18
	v_mov_b32_e32 v21, 0x7f800001
	s_and_saveexec_b64 s[8:9], vcc
	s_cbranch_execz .LBB409_452
; %bb.451:
	v_and_b32_e32 v19, 7, v16
	v_ffbh_u32_e32 v19, v19
	v_min_u32_e32 v19, 32, v19
	v_subrev_u32_e32 v21, 28, v19
	v_cmp_gt_u32_e32 vcc, 8, v18
	v_lshrrev_b32_e32 v20, 3, v18
	v_sub_u32_e32 v19, 29, v19
	v_cndmask_b32_e32 v18, 0, v21, vcc
	v_cndmask_b32_e32 v20, v20, v19, vcc
	v_lshlrev_b64 v[18:19], v18, v[16:17]
	v_lshlrev_b32_e32 v18, 20, v18
	v_lshlrev_b32_e32 v19, 24, v16
	v_bfrev_b32_e32 v21, 60
	v_and_b32_e32 v18, 0x700000, v18
	v_and_b32_e32 v19, 0x80000000, v19
	v_lshl_add_u32 v20, v20, 23, v21
	v_or3_b32 v21, v19, v20, v18
.LBB409_452:
	s_or_b64 exec, exec, s[8:9]
.LBB409_453:
	s_or_b64 exec, exec, s[6:7]
.LBB409_454:
	s_or_b64 exec, exec, s[4:5]
	v_lshrrev_b16_e32 v18, 8, v16
	v_cmp_ne_u16_e32 vcc, 0, v18
	v_mov_b32_e32 v23, 0
	s_and_saveexec_b64 s[4:5], vcc
	s_cbranch_execz .LBB409_460
; %bb.455:
	s_movk_i32 s3, 0x80
	v_cmp_ne_u16_e32 vcc, s3, v18
	v_bfrev_b32_e32 v23, 1
	s_and_saveexec_b64 s[6:7], vcc
	s_cbranch_execz .LBB409_459
; %bb.456:
	s_movk_i32 s3, 0x7f
	v_and_b32_e32 v19, 0x7f, v18
	v_cmp_ne_u32_e32 vcc, s3, v19
	v_mov_b32_e32 v23, 0x7f800001
	s_and_saveexec_b64 s[8:9], vcc
	s_cbranch_execz .LBB409_458
; %bb.457:
	v_and_b32_e32 v20, 7, v18
	v_ffbh_u32_e32 v24, v20
	v_min_u32_e32 v24, 32, v24
	v_subrev_u32_e32 v26, 28, v24
	v_lshlrev_b64 v[26:27], v26, v[18:19]
	v_lshrrev_b32_e32 v23, 3, v19
	v_sub_u32_e32 v18, 29, v24
	v_and_b32_e32 v24, 7, v26
	v_cmp_gt_u32_e32 vcc, 8, v19
	v_cndmask_b32_e32 v18, v23, v18, vcc
	v_cndmask_b32_e32 v19, v20, v24, vcc
	v_lshlrev_b32_e32 v20, 16, v16
	v_bfrev_b32_e32 v23, 60
	v_lshlrev_b32_e32 v19, 20, v19
	v_and_b32_e32 v20, 0x80000000, v20
	v_lshl_add_u32 v18, v18, 23, v23
	v_or3_b32 v23, v20, v18, v19
.LBB409_458:
	s_or_b64 exec, exec, s[8:9]
.LBB409_459:
	s_or_b64 exec, exec, s[6:7]
.LBB409_460:
	s_or_b64 exec, exec, s[4:5]
	s_movk_i32 s3, 0xff
	v_and_b32_sdwa v19, v16, s3 dst_sel:DWORD dst_unused:UNUSED_PAD src0_sel:WORD_1 src1_sel:DWORD
	v_lshrrev_b32_e32 v18, 16, v16
	v_cmp_ne_u16_e32 vcc, 0, v19
	s_and_saveexec_b64 s[4:5], vcc
	s_cbranch_execz .LBB409_466
; %bb.461:
	s_movk_i32 s3, 0x80
	v_cmp_ne_u16_e32 vcc, s3, v19
	v_bfrev_b32_e32 v22, 1
	s_and_saveexec_b64 s[6:7], vcc
	s_cbranch_execz .LBB409_465
; %bb.462:
	v_bfe_u32 v19, v16, 16, 7
	s_movk_i32 s3, 0x7f
	v_cmp_ne_u32_e32 vcc, s3, v19
	v_mov_b32_e32 v22, 0x7f800001
	s_and_saveexec_b64 s[8:9], vcc
	s_cbranch_execz .LBB409_464
; %bb.463:
	v_and_b32_e32 v20, 7, v18
	v_ffbh_u32_e32 v24, v20
	v_min_u32_e32 v24, 32, v24
	v_subrev_u32_e32 v26, 28, v24
	v_lshlrev_b64 v[26:27], v26, v[18:19]
	v_sub_u32_e32 v18, 29, v24
	v_and_b32_e32 v24, 7, v26
	v_cmp_gt_u32_e32 vcc, 8, v19
	v_lshrrev_b32_e32 v22, 3, v19
	v_cndmask_b32_e32 v19, v20, v24, vcc
	v_mov_b32_e32 v20, 24
	v_cndmask_b32_e32 v18, v22, v18, vcc
	v_lshlrev_b32_sdwa v20, v20, v16 dst_sel:DWORD dst_unused:UNUSED_PAD src0_sel:DWORD src1_sel:WORD_1
	v_bfrev_b32_e32 v22, 60
	v_lshlrev_b32_e32 v19, 20, v19
	v_and_b32_e32 v20, 0x80000000, v20
	v_lshl_add_u32 v18, v18, 23, v22
	v_or3_b32 v22, v20, v18, v19
.LBB409_464:
	s_or_b64 exec, exec, s[8:9]
.LBB409_465:
	s_or_b64 exec, exec, s[6:7]
.LBB409_466:
	s_or_b64 exec, exec, s[4:5]
	s_mov_b32 s3, 0xffffff
	v_cmp_lt_u32_e32 vcc, s3, v16
	v_mov_b32_e32 v19, 0
	v_mov_b32_e32 v24, 0
	s_and_saveexec_b64 s[4:5], vcc
	s_cbranch_execz .LBB409_472
; %bb.467:
	v_lshrrev_b32_e32 v18, 24, v16
	s_movk_i32 s3, 0x80
	v_cmp_ne_u32_e32 vcc, s3, v18
	v_bfrev_b32_e32 v24, 1
	s_and_saveexec_b64 s[6:7], vcc
	s_cbranch_execz .LBB409_471
; %bb.468:
	v_bfe_u32 v20, v16, 24, 7
	s_movk_i32 s3, 0x7f
	v_cmp_ne_u32_e32 vcc, s3, v20
	v_mov_b32_e32 v24, 0x7f800001
	s_and_saveexec_b64 s[8:9], vcc
	s_cbranch_execz .LBB409_470
; %bb.469:
	v_and_b32_e32 v24, 7, v18
	v_ffbh_u32_e32 v26, v24
	v_min_u32_e32 v29, 32, v26
	v_subrev_u32_e32 v26, 28, v29
	v_lshlrev_b64 v[26:27], v26, v[18:19]
	v_lshrrev_b32_e32 v28, 3, v20
	v_sub_u32_e32 v27, 29, v29
	v_and_b32_e32 v26, 7, v26
	v_cmp_gt_u32_e32 vcc, 8, v20
	v_cndmask_b32_e32 v20, v28, v27, vcc
	v_cndmask_b32_e32 v24, v24, v26, vcc
	v_lshlrev_b32_e32 v18, 24, v18
	v_bfrev_b32_e32 v26, 60
	v_lshlrev_b32_e32 v24, 20, v24
	v_and_b32_e32 v18, 0x80000000, v18
	v_lshl_add_u32 v20, v20, 23, v26
	v_or3_b32 v24, v18, v20, v24
.LBB409_470:
	s_or_b64 exec, exec, s[8:9]
.LBB409_471:
	s_or_b64 exec, exec, s[6:7]
.LBB409_472:
	s_or_b64 exec, exec, s[4:5]
	v_mov_b32_e32 v18, v17
	v_cmp_ne_u16_sdwa s[6:7], v17, v19 src0_sel:BYTE_0 src1_sel:DWORD
	s_and_saveexec_b64 s[4:5], s[6:7]
	s_cbranch_execz .LBB409_478
; %bb.473:
	s_movk_i32 s3, 0x80
	v_cmp_ne_u16_sdwa s[8:9], v17, s3 src0_sel:BYTE_0 src1_sel:DWORD
	v_bfrev_b32_e32 v20, 1
	s_and_saveexec_b64 s[6:7], s[8:9]
	s_cbranch_execz .LBB409_477
; %bb.474:
	s_movk_i32 s3, 0x7f
	v_and_b32_e32 v26, 0x7f, v17
	v_cmp_ne_u32_e32 vcc, s3, v26
	v_mov_b32_e32 v20, 0x7f800001
	s_and_saveexec_b64 s[8:9], vcc
	s_cbranch_execz .LBB409_476
; %bb.475:
	v_and_b32_e32 v20, 7, v17
	v_ffbh_u32_e32 v20, v20
	v_min_u32_e32 v20, 32, v20
	v_subrev_u32_e32 v28, 28, v20
	v_cmp_gt_u32_e32 vcc, 8, v26
	v_lshrrev_b32_e32 v27, 3, v26
	v_sub_u32_e32 v20, 29, v20
	v_cndmask_b32_e32 v26, 0, v28, vcc
	v_cndmask_b32_e32 v20, v27, v20, vcc
	v_lshlrev_b64 v[26:27], v26, v[18:19]
	v_lshlrev_b32_e32 v19, 20, v26
	v_lshlrev_b32_e32 v26, 24, v18
	v_bfrev_b32_e32 v27, 60
	v_and_b32_e32 v19, 0x700000, v19
	v_and_b32_e32 v26, 0x80000000, v26
	v_lshl_add_u32 v20, v20, 23, v27
	v_or3_b32 v20, v26, v20, v19
.LBB409_476:
	s_or_b64 exec, exec, s[8:9]
.LBB409_477:
	s_or_b64 exec, exec, s[6:7]
	v_mov_b32_e32 v19, v20
.LBB409_478:
	s_or_b64 exec, exec, s[4:5]
	v_lshrrev_b16_e32 v20, 8, v18
	v_cmp_ne_u16_e32 vcc, 0, v20
	v_mov_b32_e32 v26, 0
	v_mov_b32_e32 v27, 0
	s_and_saveexec_b64 s[4:5], vcc
	s_cbranch_execz .LBB409_484
; %bb.479:
	s_movk_i32 s3, 0x80
	v_cmp_ne_u16_e32 vcc, s3, v20
	v_bfrev_b32_e32 v27, 1
	s_and_saveexec_b64 s[6:7], vcc
	s_cbranch_execz .LBB409_483
; %bb.480:
	s_movk_i32 s3, 0x7f
	v_and_b32_e32 v28, 0x7f, v20
	v_cmp_ne_u32_e32 vcc, s3, v28
	v_mov_b32_e32 v27, 0x7f800001
	s_and_saveexec_b64 s[8:9], vcc
	s_cbranch_execz .LBB409_482
; %bb.481:
	v_and_b32_e32 v27, 7, v20
	v_ffbh_u32_e32 v30, v27
	v_min_u32_e32 v32, 32, v30
	v_subrev_u32_e32 v30, 28, v32
	v_lshlrev_b64 v[30:31], v30, v[20:21]
	v_lshrrev_b32_e32 v29, 3, v28
	v_sub_u32_e32 v20, 29, v32
	v_and_b32_e32 v30, 7, v30
	v_cmp_gt_u32_e32 vcc, 8, v28
	v_cndmask_b32_e32 v20, v29, v20, vcc
	v_cndmask_b32_e32 v27, v27, v30, vcc
	v_lshlrev_b32_e32 v18, 16, v18
	v_bfrev_b32_e32 v28, 60
	v_lshlrev_b32_e32 v27, 20, v27
	v_and_b32_e32 v18, 0x80000000, v18
	v_lshl_add_u32 v20, v20, 23, v28
	v_or3_b32 v27, v18, v20, v27
.LBB409_482:
	s_or_b64 exec, exec, s[8:9]
.LBB409_483:
	s_or_b64 exec, exec, s[6:7]
.LBB409_484:
	s_or_b64 exec, exec, s[4:5]
	s_movk_i32 s3, 0xff
	v_and_b32_sdwa v20, v17, s3 dst_sel:DWORD dst_unused:UNUSED_PAD src0_sel:WORD_1 src1_sel:DWORD
	v_lshrrev_b32_e32 v18, 16, v17
	v_cmp_ne_u16_e32 vcc, 0, v20
	s_and_saveexec_b64 s[4:5], vcc
	s_cbranch_execz .LBB409_490
; %bb.485:
	s_movk_i32 s3, 0x80
	v_cmp_ne_u16_e32 vcc, s3, v20
	v_bfrev_b32_e32 v26, 1
	s_and_saveexec_b64 s[6:7], vcc
	s_cbranch_execz .LBB409_489
; %bb.486:
	v_bfe_u32 v20, v17, 16, 7
	s_movk_i32 s3, 0x7f
	v_cmp_ne_u32_e32 vcc, s3, v20
	v_mov_b32_e32 v26, 0x7f800001
	s_and_saveexec_b64 s[8:9], vcc
	s_cbranch_execz .LBB409_488
; %bb.487:
	v_and_b32_e32 v26, 7, v18
	v_ffbh_u32_e32 v28, v26
	v_min_u32_e32 v31, 32, v28
	v_subrev_u32_e32 v28, 28, v31
	v_lshlrev_b64 v[28:29], v28, v[18:19]
	v_and_b32_e32 v28, 7, v28
	v_cmp_gt_u32_e32 vcc, 8, v20
	v_lshrrev_b32_e32 v30, 3, v20
	v_sub_u32_e32 v18, 29, v31
	v_cndmask_b32_e32 v20, v26, v28, vcc
	v_mov_b32_e32 v26, 24
	v_cndmask_b32_e32 v18, v30, v18, vcc
	v_lshlrev_b32_sdwa v26, v26, v17 dst_sel:DWORD dst_unused:UNUSED_PAD src0_sel:DWORD src1_sel:WORD_1
	v_bfrev_b32_e32 v28, 60
	v_lshlrev_b32_e32 v20, 20, v20
	v_and_b32_e32 v26, 0x80000000, v26
	v_lshl_add_u32 v18, v18, 23, v28
	v_or3_b32 v26, v26, v18, v20
.LBB409_488:
	s_or_b64 exec, exec, s[8:9]
.LBB409_489:
	s_or_b64 exec, exec, s[6:7]
.LBB409_490:
	s_or_b64 exec, exec, s[4:5]
	s_mov_b32 s4, -1
	s_mov_b32 s5, 0xffffff
	v_cmp_lt_u64_e32 vcc, s[4:5], v[16:17]
	v_mov_b32_e32 v20, 0
	v_mov_b32_e32 v18, 0
	s_and_saveexec_b64 s[4:5], vcc
	s_cbranch_execz .LBB409_496
; %bb.491:
	v_lshrrev_b32_e32 v16, 24, v17
	s_movk_i32 s3, 0x80
	v_cmp_ne_u32_e32 vcc, s3, v16
	v_bfrev_b32_e32 v18, 1
	s_and_saveexec_b64 s[6:7], vcc
	s_cbranch_execz .LBB409_495
; %bb.492:
	v_bfe_u32 v17, v17, 24, 7
	s_movk_i32 s3, 0x7f
	v_cmp_ne_u32_e32 vcc, s3, v17
	v_mov_b32_e32 v18, 0x7f800001
	s_and_saveexec_b64 s[8:9], vcc
	s_cbranch_execz .LBB409_494
; %bb.493:
	v_and_b32_e32 v18, 7, v16
	v_ffbh_u32_e32 v28, v18
	v_min_u32_e32 v31, 32, v28
	v_subrev_u32_e32 v28, 28, v31
	v_lshlrev_b64 v[28:29], v28, v[16:17]
	v_lshrrev_b32_e32 v30, 3, v17
	v_sub_u32_e32 v29, 29, v31
	v_and_b32_e32 v28, 7, v28
	v_cmp_gt_u32_e32 vcc, 8, v17
	v_cndmask_b32_e32 v17, v30, v29, vcc
	v_cndmask_b32_e32 v18, v18, v28, vcc
	v_lshlrev_b32_e32 v16, 24, v16
	v_bfrev_b32_e32 v28, 60
	v_lshlrev_b32_e32 v18, 20, v18
	v_and_b32_e32 v16, 0x80000000, v16
	v_lshl_add_u32 v17, v17, 23, v28
	v_or3_b32 v18, v16, v17, v18
.LBB409_494:
	s_or_b64 exec, exec, s[8:9]
.LBB409_495:
	s_or_b64 exec, exec, s[6:7]
.LBB409_496:
	s_or_b64 exec, exec, s[4:5]
	v_cvt_pkrtz_f16_f32 v16, v21, v23
	v_cvt_pkrtz_f16_f32 v17, v22, v24
	;; [unrolled: 1-line block ×4, first 2 shown]
	v_mfma_f32_4x4x4f16 a[0:3], v[14:15], v[16:17], a[0:3] cbsz:4 abid:2
	s_waitcnt vmcnt(4)
	v_cmp_ne_u16_sdwa s[6:7], v10, v20 src0_sel:BYTE_0 src1_sel:DWORD
	v_mfma_f32_4x4x4f16 a[0:3], v[14:15], v[22:23], a[0:3] cbsz:4 abid:3
	s_and_saveexec_b64 s[4:5], s[6:7]
	s_cbranch_execz .LBB409_502
; %bb.497:
	s_movk_i32 s3, 0x80
	v_cmp_ne_u16_sdwa s[8:9], v10, s3 src0_sel:BYTE_0 src1_sel:DWORD
	v_bfrev_b32_e32 v20, 1
	s_and_saveexec_b64 s[6:7], s[8:9]
	s_cbranch_execz .LBB409_501
; %bb.498:
	s_movk_i32 s3, 0x7f
	v_and_b32_e32 v16, 0x7f, v10
	v_cmp_ne_u32_e32 vcc, s3, v16
	v_mov_b32_e32 v20, 0x7f800001
	s_and_saveexec_b64 s[8:9], vcc
	s_cbranch_execz .LBB409_500
; %bb.499:
	v_and_b32_e32 v17, 7, v10
	v_ffbh_u32_e32 v17, v17
	v_min_u32_e32 v17, 32, v17
	v_subrev_u32_e32 v19, 28, v17
	v_cmp_gt_u32_e32 vcc, 8, v16
	v_lshrrev_b32_e32 v18, 3, v16
	v_sub_u32_e32 v17, 29, v17
	v_cndmask_b32_e32 v16, 0, v19, vcc
	v_cndmask_b32_e32 v18, v18, v17, vcc
	v_lshlrev_b64 v[16:17], v16, v[10:11]
	v_lshlrev_b32_e32 v16, 20, v16
	v_lshlrev_b32_e32 v17, 24, v10
	v_bfrev_b32_e32 v19, 60
	v_and_b32_e32 v16, 0x700000, v16
	v_and_b32_e32 v17, 0x80000000, v17
	v_lshl_add_u32 v18, v18, 23, v19
	v_or3_b32 v20, v17, v18, v16
.LBB409_500:
	s_or_b64 exec, exec, s[8:9]
.LBB409_501:
	s_or_b64 exec, exec, s[6:7]
.LBB409_502:
	s_or_b64 exec, exec, s[4:5]
	v_lshrrev_b16_e32 v16, 8, v10
	v_cmp_ne_u16_e32 vcc, 0, v16
	v_mov_b32_e32 v19, 0
	v_mov_b32_e32 v21, 0
	s_and_saveexec_b64 s[4:5], vcc
	s_cbranch_execz .LBB409_508
; %bb.503:
	s_movk_i32 s3, 0x80
	v_cmp_ne_u16_e32 vcc, s3, v16
	v_bfrev_b32_e32 v21, 1
	s_and_saveexec_b64 s[6:7], vcc
	s_cbranch_execz .LBB409_507
; %bb.504:
	s_movk_i32 s3, 0x7f
	v_and_b32_e32 v17, 0x7f, v16
	v_cmp_ne_u32_e32 vcc, s3, v17
	v_mov_b32_e32 v21, 0x7f800001
	s_and_saveexec_b64 s[8:9], vcc
	s_cbranch_execz .LBB409_506
; %bb.505:
	v_and_b32_e32 v18, 7, v16
	v_ffbh_u32_e32 v22, v18
	v_min_u32_e32 v24, 32, v22
	v_subrev_u32_e32 v22, 28, v24
	v_lshlrev_b64 v[22:23], v22, v[16:17]
	v_lshrrev_b32_e32 v21, 3, v17
	v_sub_u32_e32 v16, 29, v24
	v_and_b32_e32 v22, 7, v22
	v_cmp_gt_u32_e32 vcc, 8, v17
	v_cndmask_b32_e32 v16, v21, v16, vcc
	v_cndmask_b32_e32 v17, v18, v22, vcc
	v_lshlrev_b32_e32 v18, 16, v10
	v_bfrev_b32_e32 v21, 60
	v_lshlrev_b32_e32 v17, 20, v17
	v_and_b32_e32 v18, 0x80000000, v18
	v_lshl_add_u32 v16, v16, 23, v21
	v_or3_b32 v21, v18, v16, v17
.LBB409_506:
	s_or_b64 exec, exec, s[8:9]
.LBB409_507:
	s_or_b64 exec, exec, s[6:7]
.LBB409_508:
	s_or_b64 exec, exec, s[4:5]
	s_movk_i32 s3, 0xff
	v_and_b32_sdwa v17, v10, s3 dst_sel:DWORD dst_unused:UNUSED_PAD src0_sel:WORD_1 src1_sel:DWORD
	v_lshrrev_b32_e32 v16, 16, v10
	v_cmp_ne_u16_e32 vcc, 0, v17
	s_and_saveexec_b64 s[4:5], vcc
	s_cbranch_execz .LBB409_514
; %bb.509:
	s_movk_i32 s3, 0x80
	v_cmp_ne_u16_e32 vcc, s3, v17
	v_bfrev_b32_e32 v19, 1
	s_and_saveexec_b64 s[6:7], vcc
	s_cbranch_execz .LBB409_513
; %bb.510:
	v_bfe_u32 v17, v10, 16, 7
	s_movk_i32 s3, 0x7f
	v_cmp_ne_u32_e32 vcc, s3, v17
	v_mov_b32_e32 v19, 0x7f800001
	s_and_saveexec_b64 s[8:9], vcc
	s_cbranch_execz .LBB409_512
; %bb.511:
	v_and_b32_e32 v22, 7, v16
	v_ffbh_u32_e32 v18, v22
	v_min_u32_e32 v24, 32, v18
	v_subrev_u32_e32 v18, 28, v24
	v_lshlrev_b64 v[18:19], v18, v[16:17]
	v_and_b32_e32 v18, 7, v18
	v_cmp_gt_u32_e32 vcc, 8, v17
	v_lshrrev_b32_e32 v23, 3, v17
	v_sub_u32_e32 v16, 29, v24
	v_cndmask_b32_e32 v17, v22, v18, vcc
	v_mov_b32_e32 v18, 24
	v_cndmask_b32_e32 v16, v23, v16, vcc
	v_lshlrev_b32_sdwa v18, v18, v10 dst_sel:DWORD dst_unused:UNUSED_PAD src0_sel:DWORD src1_sel:WORD_1
	v_bfrev_b32_e32 v19, 60
	v_lshlrev_b32_e32 v17, 20, v17
	v_and_b32_e32 v18, 0x80000000, v18
	v_lshl_add_u32 v16, v16, 23, v19
	v_or3_b32 v19, v18, v16, v17
.LBB409_512:
	s_or_b64 exec, exec, s[8:9]
.LBB409_513:
	s_or_b64 exec, exec, s[6:7]
.LBB409_514:
	s_or_b64 exec, exec, s[4:5]
	s_mov_b32 s3, 0xffffff
	v_cmp_lt_u32_e32 vcc, s3, v10
	v_mov_b32_e32 v17, 0
	v_mov_b32_e32 v22, 0
	s_and_saveexec_b64 s[4:5], vcc
	s_cbranch_execz .LBB409_520
; %bb.515:
	v_lshrrev_b32_e32 v16, 24, v10
	s_movk_i32 s3, 0x80
	v_cmp_ne_u32_e32 vcc, s3, v16
	v_bfrev_b32_e32 v22, 1
	s_and_saveexec_b64 s[6:7], vcc
	s_cbranch_execz .LBB409_519
; %bb.516:
	v_bfe_u32 v18, v10, 24, 7
	s_movk_i32 s3, 0x7f
	v_cmp_ne_u32_e32 vcc, s3, v18
	v_mov_b32_e32 v22, 0x7f800001
	s_and_saveexec_b64 s[8:9], vcc
	s_cbranch_execz .LBB409_518
; %bb.517:
	v_and_b32_e32 v24, 7, v16
	v_ffbh_u32_e32 v22, v24
	v_min_u32_e32 v27, 32, v22
	v_subrev_u32_e32 v22, 28, v27
	v_lshlrev_b64 v[22:23], v22, v[16:17]
	v_lshrrev_b32_e32 v26, 3, v18
	v_sub_u32_e32 v23, 29, v27
	v_and_b32_e32 v22, 7, v22
	v_cmp_gt_u32_e32 vcc, 8, v18
	v_cndmask_b32_e32 v18, v26, v23, vcc
	v_cndmask_b32_e32 v22, v24, v22, vcc
	v_lshlrev_b32_e32 v16, 24, v16
	v_bfrev_b32_e32 v23, 60
	v_lshlrev_b32_e32 v22, 20, v22
	v_and_b32_e32 v16, 0x80000000, v16
	v_lshl_add_u32 v18, v18, 23, v23
	v_or3_b32 v22, v16, v18, v22
.LBB409_518:
	s_or_b64 exec, exec, s[8:9]
.LBB409_519:
	s_or_b64 exec, exec, s[6:7]
.LBB409_520:
	s_or_b64 exec, exec, s[4:5]
	v_mov_b32_e32 v16, v11
	v_cmp_ne_u16_sdwa s[6:7], v11, v17 src0_sel:BYTE_0 src1_sel:DWORD
	s_and_saveexec_b64 s[4:5], s[6:7]
	s_cbranch_execz .LBB409_526
; %bb.521:
	s_movk_i32 s3, 0x80
	v_cmp_ne_u16_sdwa s[8:9], v11, s3 src0_sel:BYTE_0 src1_sel:DWORD
	v_bfrev_b32_e32 v18, 1
	s_and_saveexec_b64 s[6:7], s[8:9]
	s_cbranch_execz .LBB409_525
; %bb.522:
	s_movk_i32 s3, 0x7f
	v_and_b32_e32 v23, 0x7f, v11
	v_cmp_ne_u32_e32 vcc, s3, v23
	v_mov_b32_e32 v18, 0x7f800001
	s_and_saveexec_b64 s[8:9], vcc
	s_cbranch_execz .LBB409_524
; %bb.523:
	v_and_b32_e32 v18, 7, v11
	v_ffbh_u32_e32 v18, v18
	v_min_u32_e32 v18, 32, v18
	v_subrev_u32_e32 v26, 28, v18
	v_cmp_gt_u32_e32 vcc, 8, v23
	v_lshrrev_b32_e32 v24, 3, v23
	v_cndmask_b32_e32 v23, 0, v26, vcc
	v_sub_u32_e32 v18, 29, v18
	v_lshlrev_b64 v[26:27], v23, v[16:17]
	v_cndmask_b32_e32 v18, v24, v18, vcc
	v_lshlrev_b32_e32 v17, 20, v26
	v_lshlrev_b32_e32 v23, 24, v16
	v_bfrev_b32_e32 v24, 60
	v_and_b32_e32 v17, 0x700000, v17
	v_and_b32_e32 v23, 0x80000000, v23
	v_lshl_add_u32 v18, v18, 23, v24
	v_or3_b32 v18, v23, v18, v17
.LBB409_524:
	s_or_b64 exec, exec, s[8:9]
.LBB409_525:
	s_or_b64 exec, exec, s[6:7]
	v_mov_b32_e32 v17, v18
.LBB409_526:
	s_or_b64 exec, exec, s[4:5]
	v_lshrrev_b16_e32 v18, 8, v16
	v_cmp_ne_u16_e32 vcc, 0, v18
	v_mov_b32_e32 v23, 0
	v_mov_b32_e32 v24, 0
	s_and_saveexec_b64 s[4:5], vcc
	s_cbranch_execz .LBB409_532
; %bb.527:
	s_movk_i32 s3, 0x80
	v_cmp_ne_u16_e32 vcc, s3, v18
	v_bfrev_b32_e32 v24, 1
	s_and_saveexec_b64 s[6:7], vcc
	s_cbranch_execz .LBB409_531
; %bb.528:
	s_movk_i32 s3, 0x7f
	v_and_b32_e32 v26, 0x7f, v18
	v_cmp_ne_u32_e32 vcc, s3, v26
	v_mov_b32_e32 v24, 0x7f800001
	s_and_saveexec_b64 s[8:9], vcc
	s_cbranch_execz .LBB409_530
; %bb.529:
	v_and_b32_e32 v24, 7, v18
	v_ffbh_u32_e32 v28, v24
	v_min_u32_e32 v30, 32, v28
	v_subrev_u32_e32 v28, 28, v30
	v_lshlrev_b64 v[28:29], v28, v[18:19]
	v_lshrrev_b32_e32 v27, 3, v26
	v_sub_u32_e32 v18, 29, v30
	v_and_b32_e32 v28, 7, v28
	v_cmp_gt_u32_e32 vcc, 8, v26
	v_cndmask_b32_e32 v18, v27, v18, vcc
	v_cndmask_b32_e32 v24, v24, v28, vcc
	v_lshlrev_b32_e32 v16, 16, v16
	v_bfrev_b32_e32 v26, 60
	v_lshlrev_b32_e32 v24, 20, v24
	v_and_b32_e32 v16, 0x80000000, v16
	v_lshl_add_u32 v18, v18, 23, v26
	v_or3_b32 v24, v16, v18, v24
.LBB409_530:
	s_or_b64 exec, exec, s[8:9]
.LBB409_531:
	s_or_b64 exec, exec, s[6:7]
.LBB409_532:
	s_or_b64 exec, exec, s[4:5]
	s_movk_i32 s3, 0xff
	v_and_b32_sdwa v18, v11, s3 dst_sel:DWORD dst_unused:UNUSED_PAD src0_sel:WORD_1 src1_sel:DWORD
	v_lshrrev_b32_e32 v16, 16, v11
	v_cmp_ne_u16_e32 vcc, 0, v18
	s_and_saveexec_b64 s[4:5], vcc
	s_cbranch_execz .LBB409_538
; %bb.533:
	s_movk_i32 s3, 0x80
	v_cmp_ne_u16_e32 vcc, s3, v18
	v_bfrev_b32_e32 v23, 1
	s_and_saveexec_b64 s[6:7], vcc
	s_cbranch_execz .LBB409_537
; %bb.534:
	v_bfe_u32 v18, v11, 16, 7
	s_movk_i32 s3, 0x7f
	v_cmp_ne_u32_e32 vcc, s3, v18
	v_mov_b32_e32 v23, 0x7f800001
	s_and_saveexec_b64 s[8:9], vcc
	s_cbranch_execz .LBB409_536
; %bb.535:
	v_and_b32_e32 v23, 7, v16
	v_ffbh_u32_e32 v26, v23
	v_min_u32_e32 v29, 32, v26
	v_subrev_u32_e32 v26, 28, v29
	v_lshlrev_b64 v[26:27], v26, v[16:17]
	v_and_b32_e32 v26, 7, v26
	v_cmp_gt_u32_e32 vcc, 8, v18
	v_lshrrev_b32_e32 v28, 3, v18
	v_sub_u32_e32 v16, 29, v29
	v_cndmask_b32_e32 v18, v23, v26, vcc
	v_mov_b32_e32 v23, 24
	v_cndmask_b32_e32 v16, v28, v16, vcc
	v_lshlrev_b32_sdwa v23, v23, v11 dst_sel:DWORD dst_unused:UNUSED_PAD src0_sel:DWORD src1_sel:WORD_1
	v_bfrev_b32_e32 v26, 60
	v_lshlrev_b32_e32 v18, 20, v18
	v_and_b32_e32 v23, 0x80000000, v23
	v_lshl_add_u32 v16, v16, 23, v26
	v_or3_b32 v23, v23, v16, v18
.LBB409_536:
	s_or_b64 exec, exec, s[8:9]
.LBB409_537:
	s_or_b64 exec, exec, s[6:7]
.LBB409_538:
	s_or_b64 exec, exec, s[4:5]
	s_mov_b32 s4, -1
	s_mov_b32 s5, 0xffffff
	v_cmp_lt_u64_e32 vcc, s[4:5], v[10:11]
	v_mov_b32_e32 v18, 0
	v_mov_b32_e32 v16, 0
	s_and_saveexec_b64 s[4:5], vcc
	s_cbranch_execz .LBB409_544
; %bb.539:
	v_lshrrev_b32_e32 v10, 24, v11
	s_movk_i32 s3, 0x80
	v_cmp_ne_u32_e32 vcc, s3, v10
	v_bfrev_b32_e32 v16, 1
	s_and_saveexec_b64 s[6:7], vcc
	s_cbranch_execz .LBB409_543
; %bb.540:
	v_bfe_u32 v11, v11, 24, 7
	s_movk_i32 s3, 0x7f
	v_cmp_ne_u32_e32 vcc, s3, v11
	v_mov_b32_e32 v16, 0x7f800001
	s_and_saveexec_b64 s[8:9], vcc
	s_cbranch_execz .LBB409_542
; %bb.541:
	v_and_b32_e32 v16, 7, v10
	v_ffbh_u32_e32 v26, v16
	v_min_u32_e32 v29, 32, v26
	v_subrev_u32_e32 v26, 28, v29
	v_lshlrev_b64 v[26:27], v26, v[10:11]
	v_lshrrev_b32_e32 v28, 3, v11
	v_sub_u32_e32 v27, 29, v29
	v_and_b32_e32 v26, 7, v26
	v_cmp_gt_u32_e32 vcc, 8, v11
	v_cndmask_b32_e32 v11, v28, v27, vcc
	v_cndmask_b32_e32 v16, v16, v26, vcc
	v_lshlrev_b32_e32 v10, 24, v10
	v_bfrev_b32_e32 v26, 60
	v_lshlrev_b32_e32 v16, 20, v16
	v_and_b32_e32 v10, 0x80000000, v10
	v_lshl_add_u32 v11, v11, 23, v26
	v_or3_b32 v16, v10, v11, v16
.LBB409_542:
	s_or_b64 exec, exec, s[8:9]
.LBB409_543:
	s_or_b64 exec, exec, s[6:7]
.LBB409_544:
	s_or_b64 exec, exec, s[4:5]
	v_cvt_pkrtz_f16_f32 v10, v20, v21
	v_cvt_pkrtz_f16_f32 v11, v19, v22
	;; [unrolled: 1-line block ×4, first 2 shown]
	v_mfma_f32_4x4x4f16 a[0:3], v[14:15], v[10:11], a[0:3] cbsz:4 abid:4
	v_cmp_ne_u16_sdwa s[6:7], v12, v18 src0_sel:BYTE_0 src1_sel:DWORD
	v_mfma_f32_4x4x4f16 a[0:3], v[14:15], v[20:21], a[0:3] cbsz:4 abid:5
	s_and_saveexec_b64 s[4:5], s[6:7]
	s_cbranch_execz .LBB409_550
; %bb.545:
	s_movk_i32 s3, 0x80
	v_cmp_ne_u16_sdwa s[8:9], v12, s3 src0_sel:BYTE_0 src1_sel:DWORD
	v_bfrev_b32_e32 v18, 1
	s_and_saveexec_b64 s[6:7], s[8:9]
	s_cbranch_execz .LBB409_549
; %bb.546:
	s_movk_i32 s3, 0x7f
	v_and_b32_e32 v10, 0x7f, v12
	v_cmp_ne_u32_e32 vcc, s3, v10
	v_mov_b32_e32 v18, 0x7f800001
	s_and_saveexec_b64 s[8:9], vcc
	s_cbranch_execz .LBB409_548
; %bb.547:
	v_and_b32_e32 v11, 7, v12
	v_ffbh_u32_e32 v11, v11
	v_min_u32_e32 v11, 32, v11
	v_subrev_u32_e32 v17, 28, v11
	v_cmp_gt_u32_e32 vcc, 8, v10
	v_lshrrev_b32_e32 v16, 3, v10
	v_sub_u32_e32 v11, 29, v11
	v_cndmask_b32_e32 v10, 0, v17, vcc
	v_cndmask_b32_e32 v16, v16, v11, vcc
	v_lshlrev_b64 v[10:11], v10, v[12:13]
	v_lshlrev_b32_e32 v10, 20, v10
	v_lshlrev_b32_e32 v11, 24, v12
	v_bfrev_b32_e32 v17, 60
	v_and_b32_e32 v10, 0x700000, v10
	v_and_b32_e32 v11, 0x80000000, v11
	v_lshl_add_u32 v16, v16, 23, v17
	v_or3_b32 v18, v11, v16, v10
.LBB409_548:
	s_or_b64 exec, exec, s[8:9]
.LBB409_549:
	s_or_b64 exec, exec, s[6:7]
.LBB409_550:
	s_or_b64 exec, exec, s[4:5]
	v_lshrrev_b16_e32 v10, 8, v12
	v_cmp_ne_u16_e32 vcc, 0, v10
	v_mov_b32_e32 v17, 0
	v_mov_b32_e32 v19, 0
	s_and_saveexec_b64 s[4:5], vcc
	s_cbranch_execz .LBB409_556
; %bb.551:
	s_movk_i32 s3, 0x80
	v_cmp_ne_u16_e32 vcc, s3, v10
	v_bfrev_b32_e32 v19, 1
	s_and_saveexec_b64 s[6:7], vcc
	s_cbranch_execz .LBB409_555
; %bb.552:
	s_movk_i32 s3, 0x7f
	v_and_b32_e32 v11, 0x7f, v10
	v_cmp_ne_u32_e32 vcc, s3, v11
	v_mov_b32_e32 v19, 0x7f800001
	s_and_saveexec_b64 s[8:9], vcc
	s_cbranch_execz .LBB409_554
; %bb.553:
	v_and_b32_e32 v16, 7, v10
	v_ffbh_u32_e32 v20, v16
	v_min_u32_e32 v22, 32, v20
	v_subrev_u32_e32 v20, 28, v22
	v_lshlrev_b64 v[20:21], v20, v[10:11]
	v_lshrrev_b32_e32 v19, 3, v11
	v_sub_u32_e32 v10, 29, v22
	v_and_b32_e32 v20, 7, v20
	v_cmp_gt_u32_e32 vcc, 8, v11
	v_cndmask_b32_e32 v10, v19, v10, vcc
	v_cndmask_b32_e32 v11, v16, v20, vcc
	v_lshlrev_b32_e32 v16, 16, v12
	v_bfrev_b32_e32 v19, 60
	v_lshlrev_b32_e32 v11, 20, v11
	v_and_b32_e32 v16, 0x80000000, v16
	v_lshl_add_u32 v10, v10, 23, v19
	v_or3_b32 v19, v16, v10, v11
.LBB409_554:
	s_or_b64 exec, exec, s[8:9]
.LBB409_555:
	s_or_b64 exec, exec, s[6:7]
.LBB409_556:
	s_or_b64 exec, exec, s[4:5]
	s_movk_i32 s3, 0xff
	v_and_b32_sdwa v11, v12, s3 dst_sel:DWORD dst_unused:UNUSED_PAD src0_sel:WORD_1 src1_sel:DWORD
	v_lshrrev_b32_e32 v10, 16, v12
	v_cmp_ne_u16_e32 vcc, 0, v11
	s_and_saveexec_b64 s[4:5], vcc
	s_cbranch_execz .LBB409_562
; %bb.557:
	s_movk_i32 s3, 0x80
	v_cmp_ne_u16_e32 vcc, s3, v11
	v_bfrev_b32_e32 v17, 1
	s_and_saveexec_b64 s[6:7], vcc
	s_cbranch_execz .LBB409_561
; %bb.558:
	v_bfe_u32 v11, v12, 16, 7
	s_movk_i32 s3, 0x7f
	v_cmp_ne_u32_e32 vcc, s3, v11
	v_mov_b32_e32 v17, 0x7f800001
	s_and_saveexec_b64 s[8:9], vcc
	s_cbranch_execz .LBB409_560
; %bb.559:
	v_and_b32_e32 v20, 7, v10
	v_ffbh_u32_e32 v16, v20
	v_min_u32_e32 v22, 32, v16
	v_subrev_u32_e32 v16, 28, v22
	v_lshlrev_b64 v[16:17], v16, v[10:11]
	v_and_b32_e32 v16, 7, v16
	v_cmp_gt_u32_e32 vcc, 8, v11
	v_lshrrev_b32_e32 v21, 3, v11
	v_sub_u32_e32 v10, 29, v22
	v_cndmask_b32_e32 v11, v20, v16, vcc
	v_mov_b32_e32 v16, 24
	v_cndmask_b32_e32 v10, v21, v10, vcc
	v_lshlrev_b32_sdwa v16, v16, v12 dst_sel:DWORD dst_unused:UNUSED_PAD src0_sel:DWORD src1_sel:WORD_1
	v_bfrev_b32_e32 v17, 60
	v_lshlrev_b32_e32 v11, 20, v11
	v_and_b32_e32 v16, 0x80000000, v16
	v_lshl_add_u32 v10, v10, 23, v17
	v_or3_b32 v17, v16, v10, v11
.LBB409_560:
	s_or_b64 exec, exec, s[8:9]
.LBB409_561:
	s_or_b64 exec, exec, s[6:7]
.LBB409_562:
	s_or_b64 exec, exec, s[4:5]
	s_mov_b32 s3, 0xffffff
	v_cmp_lt_u32_e32 vcc, s3, v12
	v_mov_b32_e32 v11, 0
	v_mov_b32_e32 v20, 0
	s_and_saveexec_b64 s[4:5], vcc
	s_cbranch_execz .LBB409_568
; %bb.563:
	v_lshrrev_b32_e32 v10, 24, v12
	s_movk_i32 s3, 0x80
	v_cmp_ne_u32_e32 vcc, s3, v10
	v_bfrev_b32_e32 v20, 1
	s_and_saveexec_b64 s[6:7], vcc
	s_cbranch_execz .LBB409_567
; %bb.564:
	v_bfe_u32 v16, v12, 24, 7
	s_movk_i32 s3, 0x7f
	v_cmp_ne_u32_e32 vcc, s3, v16
	v_mov_b32_e32 v20, 0x7f800001
	s_and_saveexec_b64 s[8:9], vcc
	s_cbranch_execz .LBB409_566
; %bb.565:
	v_and_b32_e32 v22, 7, v10
	v_ffbh_u32_e32 v20, v22
	v_min_u32_e32 v24, 32, v20
	v_subrev_u32_e32 v20, 28, v24
	v_lshlrev_b64 v[20:21], v20, v[10:11]
	v_lshrrev_b32_e32 v23, 3, v16
	v_sub_u32_e32 v21, 29, v24
	v_and_b32_e32 v20, 7, v20
	v_cmp_gt_u32_e32 vcc, 8, v16
	v_cndmask_b32_e32 v16, v23, v21, vcc
	v_cndmask_b32_e32 v20, v22, v20, vcc
	v_lshlrev_b32_e32 v10, 24, v10
	v_bfrev_b32_e32 v21, 60
	v_lshlrev_b32_e32 v20, 20, v20
	v_and_b32_e32 v10, 0x80000000, v10
	v_lshl_add_u32 v16, v16, 23, v21
	v_or3_b32 v20, v10, v16, v20
.LBB409_566:
	s_or_b64 exec, exec, s[8:9]
.LBB409_567:
	s_or_b64 exec, exec, s[6:7]
.LBB409_568:
	s_or_b64 exec, exec, s[4:5]
	v_mov_b32_e32 v10, v13
	v_cmp_ne_u16_sdwa s[6:7], v13, v11 src0_sel:BYTE_0 src1_sel:DWORD
	s_and_saveexec_b64 s[4:5], s[6:7]
	s_cbranch_execz .LBB409_574
; %bb.569:
	s_movk_i32 s3, 0x80
	v_cmp_ne_u16_sdwa s[8:9], v13, s3 src0_sel:BYTE_0 src1_sel:DWORD
	v_bfrev_b32_e32 v16, 1
	s_and_saveexec_b64 s[6:7], s[8:9]
	s_cbranch_execz .LBB409_573
; %bb.570:
	s_movk_i32 s3, 0x7f
	v_and_b32_e32 v21, 0x7f, v13
	v_cmp_ne_u32_e32 vcc, s3, v21
	v_mov_b32_e32 v16, 0x7f800001
	s_and_saveexec_b64 s[8:9], vcc
	s_cbranch_execz .LBB409_572
; %bb.571:
	v_and_b32_e32 v16, 7, v13
	v_ffbh_u32_e32 v16, v16
	v_min_u32_e32 v16, 32, v16
	v_subrev_u32_e32 v23, 28, v16
	v_cmp_gt_u32_e32 vcc, 8, v21
	v_lshrrev_b32_e32 v22, 3, v21
	v_sub_u32_e32 v16, 29, v16
	v_cndmask_b32_e32 v21, 0, v23, vcc
	v_cndmask_b32_e32 v16, v22, v16, vcc
	v_lshlrev_b64 v[22:23], v21, v[10:11]
	v_lshlrev_b32_e32 v11, 20, v22
	v_lshlrev_b32_e32 v21, 24, v10
	v_bfrev_b32_e32 v22, 60
	v_and_b32_e32 v11, 0x700000, v11
	v_and_b32_e32 v21, 0x80000000, v21
	v_lshl_add_u32 v16, v16, 23, v22
	v_or3_b32 v16, v21, v16, v11
.LBB409_572:
	s_or_b64 exec, exec, s[8:9]
.LBB409_573:
	s_or_b64 exec, exec, s[6:7]
	v_mov_b32_e32 v11, v16
.LBB409_574:
	s_or_b64 exec, exec, s[4:5]
	v_lshrrev_b16_e32 v16, 8, v10
	v_cmp_ne_u16_e32 vcc, 0, v16
	v_mov_b32_e32 v21, 0
	v_mov_b32_e32 v22, 0
	s_and_saveexec_b64 s[4:5], vcc
	s_cbranch_execz .LBB409_580
; %bb.575:
	s_movk_i32 s3, 0x80
	v_cmp_ne_u16_e32 vcc, s3, v16
	v_bfrev_b32_e32 v22, 1
	s_and_saveexec_b64 s[6:7], vcc
	s_cbranch_execz .LBB409_579
; %bb.576:
	s_movk_i32 s3, 0x7f
	v_and_b32_e32 v23, 0x7f, v16
	v_cmp_ne_u32_e32 vcc, s3, v23
	v_mov_b32_e32 v22, 0x7f800001
	s_and_saveexec_b64 s[8:9], vcc
	s_cbranch_execz .LBB409_578
; %bb.577:
	v_and_b32_e32 v22, 7, v16
	v_ffbh_u32_e32 v26, v22
	v_min_u32_e32 v28, 32, v26
	v_subrev_u32_e32 v26, 28, v28
	v_lshlrev_b64 v[26:27], v26, v[16:17]
	v_lshrrev_b32_e32 v24, 3, v23
	v_sub_u32_e32 v16, 29, v28
	v_and_b32_e32 v26, 7, v26
	v_cmp_gt_u32_e32 vcc, 8, v23
	v_cndmask_b32_e32 v16, v24, v16, vcc
	v_cndmask_b32_e32 v22, v22, v26, vcc
	v_lshlrev_b32_e32 v10, 16, v10
	v_bfrev_b32_e32 v23, 60
	v_lshlrev_b32_e32 v22, 20, v22
	v_and_b32_e32 v10, 0x80000000, v10
	v_lshl_add_u32 v16, v16, 23, v23
	v_or3_b32 v22, v10, v16, v22
.LBB409_578:
	s_or_b64 exec, exec, s[8:9]
.LBB409_579:
	s_or_b64 exec, exec, s[6:7]
.LBB409_580:
	s_or_b64 exec, exec, s[4:5]
	s_movk_i32 s3, 0xff
	v_and_b32_sdwa v16, v13, s3 dst_sel:DWORD dst_unused:UNUSED_PAD src0_sel:WORD_1 src1_sel:DWORD
	v_lshrrev_b32_e32 v10, 16, v13
	v_cmp_ne_u16_e32 vcc, 0, v16
	s_and_saveexec_b64 s[4:5], vcc
	s_cbranch_execz .LBB409_586
; %bb.581:
	s_movk_i32 s3, 0x80
	v_cmp_ne_u16_e32 vcc, s3, v16
	v_bfrev_b32_e32 v21, 1
	s_and_saveexec_b64 s[6:7], vcc
	s_cbranch_execz .LBB409_585
; %bb.582:
	v_bfe_u32 v16, v13, 16, 7
	s_movk_i32 s3, 0x7f
	v_cmp_ne_u32_e32 vcc, s3, v16
	v_mov_b32_e32 v21, 0x7f800001
	s_and_saveexec_b64 s[8:9], vcc
	s_cbranch_execz .LBB409_584
; %bb.583:
	v_and_b32_e32 v21, 7, v10
	v_ffbh_u32_e32 v24, v21
	v_min_u32_e32 v24, 32, v24
	v_subrev_u32_e32 v26, 28, v24
	v_lshlrev_b64 v[26:27], v26, v[10:11]
	v_sub_u32_e32 v10, 29, v24
	v_and_b32_e32 v24, 7, v26
	v_cmp_gt_u32_e32 vcc, 8, v16
	v_lshrrev_b32_e32 v23, 3, v16
	v_cndmask_b32_e32 v16, v21, v24, vcc
	v_mov_b32_e32 v21, 24
	v_cndmask_b32_e32 v10, v23, v10, vcc
	v_lshlrev_b32_sdwa v21, v21, v13 dst_sel:DWORD dst_unused:UNUSED_PAD src0_sel:DWORD src1_sel:WORD_1
	v_bfrev_b32_e32 v23, 60
	v_lshlrev_b32_e32 v16, 20, v16
	v_and_b32_e32 v21, 0x80000000, v21
	v_lshl_add_u32 v10, v10, 23, v23
	v_or3_b32 v21, v21, v10, v16
.LBB409_584:
	s_or_b64 exec, exec, s[8:9]
.LBB409_585:
	s_or_b64 exec, exec, s[6:7]
.LBB409_586:
	s_or_b64 exec, exec, s[4:5]
	s_mov_b32 s4, -1
	s_mov_b32 s5, 0xffffff
	v_cmp_lt_u64_e32 vcc, s[4:5], v[12:13]
	v_mov_b32_e32 v16, 0
	v_mov_b32_e32 v12, 0
	s_and_saveexec_b64 s[4:5], vcc
	s_cbranch_execz .LBB409_592
; %bb.587:
	v_lshrrev_b32_e32 v10, 24, v13
	s_movk_i32 s3, 0x80
	v_cmp_ne_u32_e32 vcc, s3, v10
	v_bfrev_b32_e32 v12, 1
	s_and_saveexec_b64 s[6:7], vcc
	s_cbranch_execz .LBB409_591
; %bb.588:
	v_bfe_u32 v13, v13, 24, 7
	s_movk_i32 s3, 0x7f
	v_cmp_ne_u32_e32 vcc, s3, v13
	v_mov_b32_e32 v12, 0x7f800001
	s_and_saveexec_b64 s[8:9], vcc
	s_cbranch_execz .LBB409_590
; %bb.589:
	v_and_b32_e32 v12, 7, v10
	v_ffbh_u32_e32 v24, v12
	v_min_u32_e32 v24, 32, v24
	v_subrev_u32_e32 v26, 28, v24
	v_lshlrev_b64 v[26:27], v26, v[10:11]
	v_lshrrev_b32_e32 v23, 3, v13
	v_sub_u32_e32 v24, 29, v24
	v_and_b32_e32 v26, 7, v26
	v_cmp_gt_u32_e32 vcc, 8, v13
	v_cndmask_b32_e32 v13, v23, v24, vcc
	v_cndmask_b32_e32 v12, v12, v26, vcc
	v_lshlrev_b32_e32 v10, 24, v10
	v_bfrev_b32_e32 v23, 60
	v_lshlrev_b32_e32 v12, 20, v12
	v_and_b32_e32 v10, 0x80000000, v10
	v_lshl_add_u32 v13, v13, 23, v23
	v_or3_b32 v12, v10, v13, v12
.LBB409_590:
	s_or_b64 exec, exec, s[8:9]
.LBB409_591:
	s_or_b64 exec, exec, s[6:7]
.LBB409_592:
	s_or_b64 exec, exec, s[4:5]
	v_cvt_pkrtz_f16_f32 v18, v18, v19
	v_cvt_pkrtz_f16_f32 v19, v17, v20
	v_cvt_pkrtz_f16_f32 v10, v11, v22
	v_cvt_pkrtz_f16_f32 v11, v21, v12
	v_mfma_f32_4x4x4f16 a[0:3], v[14:15], v[18:19], a[0:3] cbsz:4 abid:6
	s_waitcnt vmcnt(3)
	v_cmp_ne_u16_sdwa s[6:7], v6, v16 src0_sel:BYTE_0 src1_sel:DWORD
	v_mfma_f32_4x4x4f16 a[0:3], v[14:15], v[10:11], a[0:3] cbsz:4 abid:7
	s_and_saveexec_b64 s[4:5], s[6:7]
	s_cbranch_execz .LBB409_598
; %bb.593:
	s_movk_i32 s3, 0x80
	v_cmp_ne_u16_sdwa s[8:9], v6, s3 src0_sel:BYTE_0 src1_sel:DWORD
	v_bfrev_b32_e32 v16, 1
	s_and_saveexec_b64 s[6:7], s[8:9]
	s_cbranch_execz .LBB409_597
; %bb.594:
	s_movk_i32 s3, 0x7f
	v_and_b32_e32 v10, 0x7f, v6
	v_cmp_ne_u32_e32 vcc, s3, v10
	v_mov_b32_e32 v16, 0x7f800001
	s_and_saveexec_b64 s[8:9], vcc
	s_cbranch_execz .LBB409_596
; %bb.595:
	v_and_b32_e32 v11, 7, v6
	v_ffbh_u32_e32 v11, v11
	v_min_u32_e32 v11, 32, v11
	v_subrev_u32_e32 v13, 28, v11
	v_cmp_gt_u32_e32 vcc, 8, v10
	v_lshrrev_b32_e32 v12, 3, v10
	v_sub_u32_e32 v11, 29, v11
	v_cndmask_b32_e32 v10, 0, v13, vcc
	v_cndmask_b32_e32 v12, v12, v11, vcc
	v_lshlrev_b64 v[10:11], v10, v[6:7]
	v_lshlrev_b32_e32 v10, 20, v10
	v_lshlrev_b32_e32 v11, 24, v6
	v_bfrev_b32_e32 v13, 60
	v_and_b32_e32 v10, 0x700000, v10
	v_and_b32_e32 v11, 0x80000000, v11
	v_lshl_add_u32 v12, v12, 23, v13
	v_or3_b32 v16, v11, v12, v10
.LBB409_596:
	s_or_b64 exec, exec, s[8:9]
.LBB409_597:
	s_or_b64 exec, exec, s[6:7]
.LBB409_598:
	s_or_b64 exec, exec, s[4:5]
	v_lshrrev_b16_e32 v10, 8, v6
	v_cmp_ne_u16_e32 vcc, 0, v10
	v_mov_b32_e32 v13, 0
	v_mov_b32_e32 v17, 0
	s_and_saveexec_b64 s[4:5], vcc
	s_cbranch_execz .LBB409_604
; %bb.599:
	s_movk_i32 s3, 0x80
	v_cmp_ne_u16_e32 vcc, s3, v10
	v_bfrev_b32_e32 v17, 1
	s_and_saveexec_b64 s[6:7], vcc
	s_cbranch_execz .LBB409_603
; %bb.600:
	s_movk_i32 s3, 0x7f
	v_and_b32_e32 v11, 0x7f, v10
	v_cmp_ne_u32_e32 vcc, s3, v11
	v_mov_b32_e32 v17, 0x7f800001
	s_and_saveexec_b64 s[8:9], vcc
	s_cbranch_execz .LBB409_602
; %bb.601:
	v_and_b32_e32 v12, 7, v10
	v_ffbh_u32_e32 v18, v12
	v_min_u32_e32 v20, 32, v18
	v_subrev_u32_e32 v18, 28, v20
	v_lshlrev_b64 v[18:19], v18, v[10:11]
	v_lshrrev_b32_e32 v17, 3, v11
	v_sub_u32_e32 v10, 29, v20
	v_and_b32_e32 v18, 7, v18
	v_cmp_gt_u32_e32 vcc, 8, v11
	v_cndmask_b32_e32 v10, v17, v10, vcc
	v_cndmask_b32_e32 v11, v12, v18, vcc
	v_lshlrev_b32_e32 v12, 16, v6
	v_bfrev_b32_e32 v17, 60
	v_lshlrev_b32_e32 v11, 20, v11
	v_and_b32_e32 v12, 0x80000000, v12
	v_lshl_add_u32 v10, v10, 23, v17
	v_or3_b32 v17, v12, v10, v11
.LBB409_602:
	s_or_b64 exec, exec, s[8:9]
.LBB409_603:
	s_or_b64 exec, exec, s[6:7]
.LBB409_604:
	s_or_b64 exec, exec, s[4:5]
	s_movk_i32 s3, 0xff
	v_and_b32_sdwa v11, v6, s3 dst_sel:DWORD dst_unused:UNUSED_PAD src0_sel:WORD_1 src1_sel:DWORD
	v_lshrrev_b32_e32 v10, 16, v6
	v_cmp_ne_u16_e32 vcc, 0, v11
	s_and_saveexec_b64 s[4:5], vcc
	s_cbranch_execz .LBB409_610
; %bb.605:
	s_movk_i32 s3, 0x80
	v_cmp_ne_u16_e32 vcc, s3, v11
	v_bfrev_b32_e32 v13, 1
	s_and_saveexec_b64 s[6:7], vcc
	s_cbranch_execz .LBB409_609
; %bb.606:
	v_bfe_u32 v11, v6, 16, 7
	s_movk_i32 s3, 0x7f
	v_cmp_ne_u32_e32 vcc, s3, v11
	v_mov_b32_e32 v13, 0x7f800001
	s_and_saveexec_b64 s[8:9], vcc
	s_cbranch_execz .LBB409_608
; %bb.607:
	v_and_b32_e32 v18, 7, v10
	v_ffbh_u32_e32 v12, v18
	v_min_u32_e32 v20, 32, v12
	v_subrev_u32_e32 v12, 28, v20
	v_lshlrev_b64 v[12:13], v12, v[10:11]
	v_and_b32_e32 v12, 7, v12
	v_cmp_gt_u32_e32 vcc, 8, v11
	v_lshrrev_b32_e32 v19, 3, v11
	v_sub_u32_e32 v10, 29, v20
	v_cndmask_b32_e32 v11, v18, v12, vcc
	v_mov_b32_e32 v12, 24
	v_cndmask_b32_e32 v10, v19, v10, vcc
	v_lshlrev_b32_sdwa v12, v12, v6 dst_sel:DWORD dst_unused:UNUSED_PAD src0_sel:DWORD src1_sel:WORD_1
	v_bfrev_b32_e32 v13, 60
	v_lshlrev_b32_e32 v11, 20, v11
	v_and_b32_e32 v12, 0x80000000, v12
	v_lshl_add_u32 v10, v10, 23, v13
	v_or3_b32 v13, v12, v10, v11
.LBB409_608:
	s_or_b64 exec, exec, s[8:9]
.LBB409_609:
	s_or_b64 exec, exec, s[6:7]
.LBB409_610:
	s_or_b64 exec, exec, s[4:5]
	s_mov_b32 s3, 0xffffff
	v_cmp_lt_u32_e32 vcc, s3, v6
	v_mov_b32_e32 v11, 0
	v_mov_b32_e32 v18, 0
	s_and_saveexec_b64 s[4:5], vcc
	s_cbranch_execz .LBB409_616
; %bb.611:
	v_lshrrev_b32_e32 v10, 24, v6
	s_movk_i32 s3, 0x80
	v_cmp_ne_u32_e32 vcc, s3, v10
	v_bfrev_b32_e32 v18, 1
	s_and_saveexec_b64 s[6:7], vcc
	s_cbranch_execz .LBB409_615
; %bb.612:
	v_bfe_u32 v12, v6, 24, 7
	s_movk_i32 s3, 0x7f
	v_cmp_ne_u32_e32 vcc, s3, v12
	v_mov_b32_e32 v18, 0x7f800001
	s_and_saveexec_b64 s[8:9], vcc
	s_cbranch_execz .LBB409_614
; %bb.613:
	v_and_b32_e32 v20, 7, v10
	v_ffbh_u32_e32 v18, v20
	v_min_u32_e32 v22, 32, v18
	v_subrev_u32_e32 v18, 28, v22
	v_lshlrev_b64 v[18:19], v18, v[10:11]
	v_lshrrev_b32_e32 v21, 3, v12
	v_sub_u32_e32 v19, 29, v22
	v_and_b32_e32 v18, 7, v18
	v_cmp_gt_u32_e32 vcc, 8, v12
	v_cndmask_b32_e32 v12, v21, v19, vcc
	v_cndmask_b32_e32 v18, v20, v18, vcc
	v_lshlrev_b32_e32 v10, 24, v10
	v_bfrev_b32_e32 v19, 60
	v_lshlrev_b32_e32 v18, 20, v18
	v_and_b32_e32 v10, 0x80000000, v10
	v_lshl_add_u32 v12, v12, 23, v19
	v_or3_b32 v18, v10, v12, v18
.LBB409_614:
	s_or_b64 exec, exec, s[8:9]
.LBB409_615:
	s_or_b64 exec, exec, s[6:7]
.LBB409_616:
	s_or_b64 exec, exec, s[4:5]
	v_mov_b32_e32 v10, v7
	v_cmp_ne_u16_sdwa s[6:7], v7, v11 src0_sel:BYTE_0 src1_sel:DWORD
	s_and_saveexec_b64 s[4:5], s[6:7]
	s_cbranch_execz .LBB409_622
; %bb.617:
	s_movk_i32 s3, 0x80
	v_cmp_ne_u16_sdwa s[8:9], v7, s3 src0_sel:BYTE_0 src1_sel:DWORD
	v_bfrev_b32_e32 v12, 1
	s_and_saveexec_b64 s[6:7], s[8:9]
	s_cbranch_execz .LBB409_621
; %bb.618:
	s_movk_i32 s3, 0x7f
	v_and_b32_e32 v19, 0x7f, v7
	v_cmp_ne_u32_e32 vcc, s3, v19
	v_mov_b32_e32 v12, 0x7f800001
	s_and_saveexec_b64 s[8:9], vcc
	s_cbranch_execz .LBB409_620
; %bb.619:
	v_and_b32_e32 v12, 7, v7
	v_ffbh_u32_e32 v12, v12
	v_min_u32_e32 v12, 32, v12
	v_subrev_u32_e32 v21, 28, v12
	v_cmp_gt_u32_e32 vcc, 8, v19
	v_lshrrev_b32_e32 v20, 3, v19
	v_sub_u32_e32 v12, 29, v12
	v_cndmask_b32_e32 v19, 0, v21, vcc
	v_cndmask_b32_e32 v12, v20, v12, vcc
	v_lshlrev_b64 v[20:21], v19, v[10:11]
	v_lshlrev_b32_e32 v11, 20, v20
	v_lshlrev_b32_e32 v19, 24, v10
	v_bfrev_b32_e32 v20, 60
	v_and_b32_e32 v11, 0x700000, v11
	v_and_b32_e32 v19, 0x80000000, v19
	v_lshl_add_u32 v12, v12, 23, v20
	v_or3_b32 v12, v19, v12, v11
.LBB409_620:
	s_or_b64 exec, exec, s[8:9]
.LBB409_621:
	s_or_b64 exec, exec, s[6:7]
	v_mov_b32_e32 v11, v12
.LBB409_622:
	s_or_b64 exec, exec, s[4:5]
	v_lshrrev_b16_e32 v12, 8, v10
	v_cmp_ne_u16_e32 vcc, 0, v12
	v_mov_b32_e32 v19, 0
	v_mov_b32_e32 v20, 0
	s_and_saveexec_b64 s[4:5], vcc
	s_cbranch_execz .LBB409_628
; %bb.623:
	s_movk_i32 s3, 0x80
	v_cmp_ne_u16_e32 vcc, s3, v12
	v_bfrev_b32_e32 v20, 1
	s_and_saveexec_b64 s[6:7], vcc
	s_cbranch_execz .LBB409_627
; %bb.624:
	s_movk_i32 s3, 0x7f
	v_and_b32_e32 v21, 0x7f, v12
	v_cmp_ne_u32_e32 vcc, s3, v21
	v_mov_b32_e32 v20, 0x7f800001
	s_and_saveexec_b64 s[8:9], vcc
	s_cbranch_execz .LBB409_626
; %bb.625:
	v_and_b32_e32 v20, 7, v12
	v_ffbh_u32_e32 v22, v20
	v_min_u32_e32 v26, 32, v22
	v_subrev_u32_e32 v22, 28, v26
	v_lshlrev_b64 v[22:23], v22, v[12:13]
	v_lshrrev_b32_e32 v24, 3, v21
	v_sub_u32_e32 v12, 29, v26
	v_and_b32_e32 v22, 7, v22
	v_cmp_gt_u32_e32 vcc, 8, v21
	v_cndmask_b32_e32 v12, v24, v12, vcc
	v_cndmask_b32_e32 v20, v20, v22, vcc
	v_lshlrev_b32_e32 v10, 16, v10
	v_bfrev_b32_e32 v21, 60
	v_lshlrev_b32_e32 v20, 20, v20
	v_and_b32_e32 v10, 0x80000000, v10
	v_lshl_add_u32 v12, v12, 23, v21
	v_or3_b32 v20, v10, v12, v20
.LBB409_626:
	s_or_b64 exec, exec, s[8:9]
.LBB409_627:
	s_or_b64 exec, exec, s[6:7]
.LBB409_628:
	s_or_b64 exec, exec, s[4:5]
	s_movk_i32 s3, 0xff
	v_and_b32_sdwa v12, v7, s3 dst_sel:DWORD dst_unused:UNUSED_PAD src0_sel:WORD_1 src1_sel:DWORD
	v_lshrrev_b32_e32 v10, 16, v7
	v_cmp_ne_u16_e32 vcc, 0, v12
	s_and_saveexec_b64 s[4:5], vcc
	s_cbranch_execz .LBB409_634
; %bb.629:
	s_movk_i32 s3, 0x80
	v_cmp_ne_u16_e32 vcc, s3, v12
	v_bfrev_b32_e32 v19, 1
	s_and_saveexec_b64 s[6:7], vcc
	s_cbranch_execz .LBB409_633
; %bb.630:
	v_bfe_u32 v12, v7, 16, 7
	s_movk_i32 s3, 0x7f
	v_cmp_ne_u32_e32 vcc, s3, v12
	v_mov_b32_e32 v19, 0x7f800001
	s_and_saveexec_b64 s[8:9], vcc
	s_cbranch_execz .LBB409_632
; %bb.631:
	v_and_b32_e32 v19, 7, v10
	v_ffbh_u32_e32 v22, v19
	v_min_u32_e32 v24, 32, v22
	v_subrev_u32_e32 v22, 28, v24
	v_lshlrev_b64 v[22:23], v22, v[10:11]
	v_and_b32_e32 v22, 7, v22
	v_cmp_gt_u32_e32 vcc, 8, v12
	v_lshrrev_b32_e32 v21, 3, v12
	v_sub_u32_e32 v10, 29, v24
	v_cndmask_b32_e32 v12, v19, v22, vcc
	v_mov_b32_e32 v19, 24
	v_cndmask_b32_e32 v10, v21, v10, vcc
	v_lshlrev_b32_sdwa v19, v19, v7 dst_sel:DWORD dst_unused:UNUSED_PAD src0_sel:DWORD src1_sel:WORD_1
	v_bfrev_b32_e32 v21, 60
	v_lshlrev_b32_e32 v12, 20, v12
	v_and_b32_e32 v19, 0x80000000, v19
	v_lshl_add_u32 v10, v10, 23, v21
	v_or3_b32 v19, v19, v10, v12
.LBB409_632:
	s_or_b64 exec, exec, s[8:9]
.LBB409_633:
	s_or_b64 exec, exec, s[6:7]
.LBB409_634:
	s_or_b64 exec, exec, s[4:5]
	s_mov_b32 s4, -1
	s_mov_b32 s5, 0xffffff
	v_cmp_lt_u64_e32 vcc, s[4:5], v[6:7]
	v_mov_b32_e32 v12, 0
	v_mov_b32_e32 v10, 0
	s_and_saveexec_b64 s[4:5], vcc
	s_cbranch_execz .LBB409_640
; %bb.635:
	v_lshrrev_b32_e32 v6, 24, v7
	s_movk_i32 s3, 0x80
	v_cmp_ne_u32_e32 vcc, s3, v6
	v_bfrev_b32_e32 v10, 1
	s_and_saveexec_b64 s[6:7], vcc
	s_cbranch_execz .LBB409_639
; %bb.636:
	v_bfe_u32 v7, v7, 24, 7
	s_movk_i32 s3, 0x7f
	v_cmp_ne_u32_e32 vcc, s3, v7
	v_mov_b32_e32 v10, 0x7f800001
	s_and_saveexec_b64 s[8:9], vcc
	s_cbranch_execz .LBB409_638
; %bb.637:
	v_and_b32_e32 v10, 7, v6
	v_ffbh_u32_e32 v22, v10
	v_min_u32_e32 v24, 32, v22
	v_subrev_u32_e32 v22, 28, v24
	v_lshlrev_b64 v[22:23], v22, v[6:7]
	v_lshrrev_b32_e32 v21, 3, v7
	v_sub_u32_e32 v23, 29, v24
	v_and_b32_e32 v22, 7, v22
	v_cmp_gt_u32_e32 vcc, 8, v7
	v_cndmask_b32_e32 v7, v21, v23, vcc
	v_cndmask_b32_e32 v10, v10, v22, vcc
	v_lshlrev_b32_e32 v6, 24, v6
	v_bfrev_b32_e32 v21, 60
	v_lshlrev_b32_e32 v10, 20, v10
	v_and_b32_e32 v6, 0x80000000, v6
	v_lshl_add_u32 v7, v7, 23, v21
	v_or3_b32 v10, v6, v7, v10
.LBB409_638:
	s_or_b64 exec, exec, s[8:9]
.LBB409_639:
	s_or_b64 exec, exec, s[6:7]
.LBB409_640:
	s_or_b64 exec, exec, s[4:5]
	v_cvt_pkrtz_f16_f32 v6, v16, v17
	v_cvt_pkrtz_f16_f32 v7, v13, v18
	v_cvt_pkrtz_f16_f32 v16, v11, v20
	v_cvt_pkrtz_f16_f32 v17, v19, v10
	v_mfma_f32_4x4x4f16 a[0:3], v[14:15], v[6:7], a[0:3] cbsz:4 abid:8
	v_cmp_ne_u16_sdwa s[6:7], v8, v12 src0_sel:BYTE_0 src1_sel:DWORD
	v_mfma_f32_4x4x4f16 a[0:3], v[14:15], v[16:17], a[0:3] cbsz:4 abid:9
	s_and_saveexec_b64 s[4:5], s[6:7]
	s_cbranch_execz .LBB409_646
; %bb.641:
	s_movk_i32 s3, 0x80
	v_cmp_ne_u16_sdwa s[8:9], v8, s3 src0_sel:BYTE_0 src1_sel:DWORD
	v_bfrev_b32_e32 v12, 1
	s_and_saveexec_b64 s[6:7], s[8:9]
	s_cbranch_execz .LBB409_645
; %bb.642:
	s_movk_i32 s3, 0x7f
	v_and_b32_e32 v6, 0x7f, v8
	v_cmp_ne_u32_e32 vcc, s3, v6
	v_mov_b32_e32 v12, 0x7f800001
	s_and_saveexec_b64 s[8:9], vcc
	s_cbranch_execz .LBB409_644
; %bb.643:
	v_and_b32_e32 v7, 7, v8
	v_ffbh_u32_e32 v7, v7
	v_min_u32_e32 v7, 32, v7
	v_subrev_u32_e32 v11, 28, v7
	v_cmp_gt_u32_e32 vcc, 8, v6
	v_lshrrev_b32_e32 v10, 3, v6
	v_sub_u32_e32 v7, 29, v7
	v_cndmask_b32_e32 v6, 0, v11, vcc
	v_cndmask_b32_e32 v10, v10, v7, vcc
	v_lshlrev_b64 v[6:7], v6, v[8:9]
	v_lshlrev_b32_e32 v6, 20, v6
	v_lshlrev_b32_e32 v7, 24, v8
	v_bfrev_b32_e32 v11, 60
	v_and_b32_e32 v6, 0x700000, v6
	v_and_b32_e32 v7, 0x80000000, v7
	v_lshl_add_u32 v10, v10, 23, v11
	v_or3_b32 v12, v7, v10, v6
.LBB409_644:
	s_or_b64 exec, exec, s[8:9]
.LBB409_645:
	s_or_b64 exec, exec, s[6:7]
.LBB409_646:
	s_or_b64 exec, exec, s[4:5]
	v_lshrrev_b16_e32 v6, 8, v8
	v_cmp_ne_u16_e32 vcc, 0, v6
	v_mov_b32_e32 v11, 0
	v_mov_b32_e32 v13, 0
	s_and_saveexec_b64 s[4:5], vcc
	s_cbranch_execz .LBB409_652
; %bb.647:
	s_movk_i32 s3, 0x80
	v_cmp_ne_u16_e32 vcc, s3, v6
	v_bfrev_b32_e32 v13, 1
	s_and_saveexec_b64 s[6:7], vcc
	s_cbranch_execz .LBB409_651
; %bb.648:
	s_movk_i32 s3, 0x7f
	v_and_b32_e32 v7, 0x7f, v6
	v_cmp_ne_u32_e32 vcc, s3, v7
	v_mov_b32_e32 v13, 0x7f800001
	s_and_saveexec_b64 s[8:9], vcc
	s_cbranch_execz .LBB409_650
; %bb.649:
	v_and_b32_e32 v10, 7, v6
	v_ffbh_u32_e32 v16, v10
	v_min_u32_e32 v18, 32, v16
	v_subrev_u32_e32 v16, 28, v18
	v_lshlrev_b64 v[16:17], v16, v[6:7]
	v_lshrrev_b32_e32 v13, 3, v7
	v_sub_u32_e32 v6, 29, v18
	v_and_b32_e32 v16, 7, v16
	v_cmp_gt_u32_e32 vcc, 8, v7
	v_cndmask_b32_e32 v6, v13, v6, vcc
	v_cndmask_b32_e32 v7, v10, v16, vcc
	v_lshlrev_b32_e32 v10, 16, v8
	v_bfrev_b32_e32 v13, 60
	v_lshlrev_b32_e32 v7, 20, v7
	v_and_b32_e32 v10, 0x80000000, v10
	v_lshl_add_u32 v6, v6, 23, v13
	v_or3_b32 v13, v10, v6, v7
.LBB409_650:
	s_or_b64 exec, exec, s[8:9]
.LBB409_651:
	s_or_b64 exec, exec, s[6:7]
.LBB409_652:
	s_or_b64 exec, exec, s[4:5]
	s_movk_i32 s3, 0xff
	v_and_b32_sdwa v7, v8, s3 dst_sel:DWORD dst_unused:UNUSED_PAD src0_sel:WORD_1 src1_sel:DWORD
	v_lshrrev_b32_e32 v6, 16, v8
	v_cmp_ne_u16_e32 vcc, 0, v7
	s_and_saveexec_b64 s[4:5], vcc
	s_cbranch_execz .LBB409_658
; %bb.653:
	s_movk_i32 s3, 0x80
	v_cmp_ne_u16_e32 vcc, s3, v7
	v_bfrev_b32_e32 v11, 1
	s_and_saveexec_b64 s[6:7], vcc
	s_cbranch_execz .LBB409_657
; %bb.654:
	v_bfe_u32 v7, v8, 16, 7
	s_movk_i32 s3, 0x7f
	v_cmp_ne_u32_e32 vcc, s3, v7
	v_mov_b32_e32 v11, 0x7f800001
	s_and_saveexec_b64 s[8:9], vcc
	s_cbranch_execz .LBB409_656
; %bb.655:
	v_and_b32_e32 v16, 7, v6
	v_ffbh_u32_e32 v10, v16
	v_min_u32_e32 v18, 32, v10
	v_subrev_u32_e32 v10, 28, v18
	v_lshlrev_b64 v[10:11], v10, v[6:7]
	v_and_b32_e32 v10, 7, v10
	v_cmp_gt_u32_e32 vcc, 8, v7
	v_lshrrev_b32_e32 v17, 3, v7
	v_sub_u32_e32 v6, 29, v18
	v_cndmask_b32_e32 v7, v16, v10, vcc
	v_mov_b32_e32 v10, 24
	v_cndmask_b32_e32 v6, v17, v6, vcc
	v_lshlrev_b32_sdwa v10, v10, v8 dst_sel:DWORD dst_unused:UNUSED_PAD src0_sel:DWORD src1_sel:WORD_1
	v_bfrev_b32_e32 v11, 60
	v_lshlrev_b32_e32 v7, 20, v7
	v_and_b32_e32 v10, 0x80000000, v10
	v_lshl_add_u32 v6, v6, 23, v11
	v_or3_b32 v11, v10, v6, v7
.LBB409_656:
	s_or_b64 exec, exec, s[8:9]
.LBB409_657:
	s_or_b64 exec, exec, s[6:7]
.LBB409_658:
	s_or_b64 exec, exec, s[4:5]
	s_mov_b32 s3, 0xffffff
	v_cmp_lt_u32_e32 vcc, s3, v8
	v_mov_b32_e32 v7, 0
	v_mov_b32_e32 v16, 0
	s_and_saveexec_b64 s[4:5], vcc
	s_cbranch_execz .LBB409_664
; %bb.659:
	v_lshrrev_b32_e32 v6, 24, v8
	s_movk_i32 s3, 0x80
	v_cmp_ne_u32_e32 vcc, s3, v6
	v_bfrev_b32_e32 v16, 1
	s_and_saveexec_b64 s[6:7], vcc
	s_cbranch_execz .LBB409_663
; %bb.660:
	v_bfe_u32 v10, v8, 24, 7
	s_movk_i32 s3, 0x7f
	v_cmp_ne_u32_e32 vcc, s3, v10
	v_mov_b32_e32 v16, 0x7f800001
	s_and_saveexec_b64 s[8:9], vcc
	s_cbranch_execz .LBB409_662
; %bb.661:
	v_and_b32_e32 v18, 7, v6
	v_ffbh_u32_e32 v16, v18
	v_min_u32_e32 v20, 32, v16
	v_subrev_u32_e32 v16, 28, v20
	v_lshlrev_b64 v[16:17], v16, v[6:7]
	v_lshrrev_b32_e32 v19, 3, v10
	v_sub_u32_e32 v17, 29, v20
	v_and_b32_e32 v16, 7, v16
	v_cmp_gt_u32_e32 vcc, 8, v10
	v_cndmask_b32_e32 v10, v19, v17, vcc
	v_cndmask_b32_e32 v16, v18, v16, vcc
	v_lshlrev_b32_e32 v6, 24, v6
	v_bfrev_b32_e32 v17, 60
	v_lshlrev_b32_e32 v16, 20, v16
	v_and_b32_e32 v6, 0x80000000, v6
	v_lshl_add_u32 v10, v10, 23, v17
	v_or3_b32 v16, v6, v10, v16
.LBB409_662:
	s_or_b64 exec, exec, s[8:9]
.LBB409_663:
	s_or_b64 exec, exec, s[6:7]
.LBB409_664:
	s_or_b64 exec, exec, s[4:5]
	v_mov_b32_e32 v6, v9
	v_cmp_ne_u16_sdwa s[6:7], v9, v7 src0_sel:BYTE_0 src1_sel:DWORD
	s_and_saveexec_b64 s[4:5], s[6:7]
	s_cbranch_execz .LBB409_670
; %bb.665:
	s_movk_i32 s3, 0x80
	v_cmp_ne_u16_sdwa s[8:9], v9, s3 src0_sel:BYTE_0 src1_sel:DWORD
	v_bfrev_b32_e32 v10, 1
	s_and_saveexec_b64 s[6:7], s[8:9]
	s_cbranch_execz .LBB409_669
; %bb.666:
	s_movk_i32 s3, 0x7f
	v_and_b32_e32 v17, 0x7f, v9
	v_cmp_ne_u32_e32 vcc, s3, v17
	v_mov_b32_e32 v10, 0x7f800001
	s_and_saveexec_b64 s[8:9], vcc
	s_cbranch_execz .LBB409_668
; %bb.667:
	v_and_b32_e32 v10, 7, v9
	v_ffbh_u32_e32 v10, v10
	v_min_u32_e32 v10, 32, v10
	v_subrev_u32_e32 v19, 28, v10
	v_cmp_gt_u32_e32 vcc, 8, v17
	v_lshrrev_b32_e32 v18, 3, v17
	v_sub_u32_e32 v10, 29, v10
	v_cndmask_b32_e32 v17, 0, v19, vcc
	v_cndmask_b32_e32 v10, v18, v10, vcc
	v_lshlrev_b64 v[18:19], v17, v[6:7]
	v_lshlrev_b32_e32 v7, 20, v18
	v_lshlrev_b32_e32 v17, 24, v6
	v_bfrev_b32_e32 v18, 60
	v_and_b32_e32 v7, 0x700000, v7
	v_and_b32_e32 v17, 0x80000000, v17
	v_lshl_add_u32 v10, v10, 23, v18
	v_or3_b32 v10, v17, v10, v7
.LBB409_668:
	s_or_b64 exec, exec, s[8:9]
.LBB409_669:
	s_or_b64 exec, exec, s[6:7]
	v_mov_b32_e32 v7, v10
.LBB409_670:
	s_or_b64 exec, exec, s[4:5]
	v_lshrrev_b16_e32 v10, 8, v6
	v_cmp_ne_u16_e32 vcc, 0, v10
	v_mov_b32_e32 v17, 0
	v_mov_b32_e32 v18, 0
	s_and_saveexec_b64 s[4:5], vcc
	s_cbranch_execz .LBB409_676
; %bb.671:
	s_movk_i32 s3, 0x80
	v_cmp_ne_u16_e32 vcc, s3, v10
	v_bfrev_b32_e32 v18, 1
	s_and_saveexec_b64 s[6:7], vcc
	s_cbranch_execz .LBB409_675
; %bb.672:
	s_movk_i32 s3, 0x7f
	v_and_b32_e32 v19, 0x7f, v10
	v_cmp_ne_u32_e32 vcc, s3, v19
	v_mov_b32_e32 v18, 0x7f800001
	s_and_saveexec_b64 s[8:9], vcc
	s_cbranch_execz .LBB409_674
; %bb.673:
	v_and_b32_e32 v18, 7, v10
	v_ffbh_u32_e32 v20, v18
	v_min_u32_e32 v23, 32, v20
	v_subrev_u32_e32 v20, 28, v23
	v_lshlrev_b64 v[20:21], v20, v[10:11]
	v_lshrrev_b32_e32 v22, 3, v19
	v_sub_u32_e32 v10, 29, v23
	v_and_b32_e32 v20, 7, v20
	v_cmp_gt_u32_e32 vcc, 8, v19
	v_cndmask_b32_e32 v10, v22, v10, vcc
	v_cndmask_b32_e32 v18, v18, v20, vcc
	v_lshlrev_b32_e32 v6, 16, v6
	v_bfrev_b32_e32 v19, 60
	v_lshlrev_b32_e32 v18, 20, v18
	v_and_b32_e32 v6, 0x80000000, v6
	v_lshl_add_u32 v10, v10, 23, v19
	v_or3_b32 v18, v6, v10, v18
.LBB409_674:
	s_or_b64 exec, exec, s[8:9]
.LBB409_675:
	s_or_b64 exec, exec, s[6:7]
.LBB409_676:
	s_or_b64 exec, exec, s[4:5]
	s_movk_i32 s3, 0xff
	v_and_b32_sdwa v10, v9, s3 dst_sel:DWORD dst_unused:UNUSED_PAD src0_sel:WORD_1 src1_sel:DWORD
	v_lshrrev_b32_e32 v6, 16, v9
	v_cmp_ne_u16_e32 vcc, 0, v10
	s_and_saveexec_b64 s[4:5], vcc
	s_cbranch_execz .LBB409_682
; %bb.677:
	s_movk_i32 s3, 0x80
	v_cmp_ne_u16_e32 vcc, s3, v10
	v_bfrev_b32_e32 v17, 1
	s_and_saveexec_b64 s[6:7], vcc
	s_cbranch_execz .LBB409_681
; %bb.678:
	v_bfe_u32 v10, v9, 16, 7
	s_movk_i32 s3, 0x7f
	v_cmp_ne_u32_e32 vcc, s3, v10
	v_mov_b32_e32 v17, 0x7f800001
	s_and_saveexec_b64 s[8:9], vcc
	s_cbranch_execz .LBB409_680
; %bb.679:
	v_and_b32_e32 v17, 7, v6
	v_ffbh_u32_e32 v20, v17
	v_min_u32_e32 v22, 32, v20
	v_subrev_u32_e32 v20, 28, v22
	v_lshlrev_b64 v[20:21], v20, v[6:7]
	v_and_b32_e32 v20, 7, v20
	v_cmp_gt_u32_e32 vcc, 8, v10
	v_lshrrev_b32_e32 v19, 3, v10
	v_sub_u32_e32 v6, 29, v22
	v_cndmask_b32_e32 v10, v17, v20, vcc
	v_mov_b32_e32 v17, 24
	v_cndmask_b32_e32 v6, v19, v6, vcc
	v_lshlrev_b32_sdwa v17, v17, v9 dst_sel:DWORD dst_unused:UNUSED_PAD src0_sel:DWORD src1_sel:WORD_1
	v_bfrev_b32_e32 v19, 60
	v_lshlrev_b32_e32 v10, 20, v10
	v_and_b32_e32 v17, 0x80000000, v17
	v_lshl_add_u32 v6, v6, 23, v19
	v_or3_b32 v17, v17, v6, v10
.LBB409_680:
	s_or_b64 exec, exec, s[8:9]
.LBB409_681:
	s_or_b64 exec, exec, s[6:7]
.LBB409_682:
	s_or_b64 exec, exec, s[4:5]
	s_mov_b32 s4, -1
	s_mov_b32 s5, 0xffffff
	v_cmp_lt_u64_e32 vcc, s[4:5], v[8:9]
	v_mov_b32_e32 v10, 0
	v_mov_b32_e32 v8, 0
	s_and_saveexec_b64 s[4:5], vcc
	s_cbranch_execz .LBB409_688
; %bb.683:
	v_lshrrev_b32_e32 v6, 24, v9
	s_movk_i32 s3, 0x80
	v_cmp_ne_u32_e32 vcc, s3, v6
	v_bfrev_b32_e32 v8, 1
	s_and_saveexec_b64 s[6:7], vcc
	s_cbranch_execz .LBB409_687
; %bb.684:
	v_bfe_u32 v9, v9, 24, 7
	s_movk_i32 s3, 0x7f
	v_cmp_ne_u32_e32 vcc, s3, v9
	v_mov_b32_e32 v8, 0x7f800001
	s_and_saveexec_b64 s[8:9], vcc
	s_cbranch_execz .LBB409_686
; %bb.685:
	v_and_b32_e32 v8, 7, v6
	v_ffbh_u32_e32 v20, v8
	v_min_u32_e32 v22, 32, v20
	v_subrev_u32_e32 v20, 28, v22
	v_lshlrev_b64 v[20:21], v20, v[6:7]
	v_lshrrev_b32_e32 v19, 3, v9
	v_sub_u32_e32 v21, 29, v22
	v_and_b32_e32 v20, 7, v20
	v_cmp_gt_u32_e32 vcc, 8, v9
	v_cndmask_b32_e32 v9, v19, v21, vcc
	v_cndmask_b32_e32 v8, v8, v20, vcc
	v_lshlrev_b32_e32 v6, 24, v6
	v_bfrev_b32_e32 v19, 60
	v_lshlrev_b32_e32 v8, 20, v8
	v_and_b32_e32 v6, 0x80000000, v6
	v_lshl_add_u32 v9, v9, 23, v19
	v_or3_b32 v8, v6, v9, v8
.LBB409_686:
	s_or_b64 exec, exec, s[8:9]
.LBB409_687:
	s_or_b64 exec, exec, s[6:7]
.LBB409_688:
	s_or_b64 exec, exec, s[4:5]
	v_cvt_pkrtz_f16_f32 v12, v12, v13
	v_cvt_pkrtz_f16_f32 v13, v11, v16
	v_cvt_pkrtz_f16_f32 v6, v7, v18
	v_cvt_pkrtz_f16_f32 v7, v17, v8
	v_mfma_f32_4x4x4f16 a[0:3], v[14:15], v[12:13], a[0:3] cbsz:4 abid:10
	s_waitcnt vmcnt(2)
	v_cmp_ne_u16_sdwa s[6:7], v2, v10 src0_sel:BYTE_0 src1_sel:DWORD
	v_mfma_f32_4x4x4f16 a[0:3], v[14:15], v[6:7], a[0:3] cbsz:4 abid:11
	s_and_saveexec_b64 s[4:5], s[6:7]
	s_cbranch_execz .LBB409_694
; %bb.689:
	s_movk_i32 s3, 0x80
	v_cmp_ne_u16_sdwa s[8:9], v2, s3 src0_sel:BYTE_0 src1_sel:DWORD
	v_bfrev_b32_e32 v10, 1
	s_and_saveexec_b64 s[6:7], s[8:9]
	s_cbranch_execz .LBB409_693
; %bb.690:
	s_movk_i32 s3, 0x7f
	v_and_b32_e32 v6, 0x7f, v2
	v_cmp_ne_u32_e32 vcc, s3, v6
	v_mov_b32_e32 v10, 0x7f800001
	s_and_saveexec_b64 s[8:9], vcc
	s_cbranch_execz .LBB409_692
; %bb.691:
	v_and_b32_e32 v7, 7, v2
	v_ffbh_u32_e32 v7, v7
	v_min_u32_e32 v7, 32, v7
	v_subrev_u32_e32 v9, 28, v7
	v_cmp_gt_u32_e32 vcc, 8, v6
	v_lshrrev_b32_e32 v8, 3, v6
	v_sub_u32_e32 v7, 29, v7
	v_cndmask_b32_e32 v6, 0, v9, vcc
	v_cndmask_b32_e32 v8, v8, v7, vcc
	v_lshlrev_b64 v[6:7], v6, v[2:3]
	v_lshlrev_b32_e32 v6, 20, v6
	v_lshlrev_b32_e32 v7, 24, v2
	v_bfrev_b32_e32 v9, 60
	v_and_b32_e32 v6, 0x700000, v6
	v_and_b32_e32 v7, 0x80000000, v7
	v_lshl_add_u32 v8, v8, 23, v9
	v_or3_b32 v10, v7, v8, v6
.LBB409_692:
	s_or_b64 exec, exec, s[8:9]
.LBB409_693:
	s_or_b64 exec, exec, s[6:7]
.LBB409_694:
	s_or_b64 exec, exec, s[4:5]
	v_lshrrev_b16_e32 v6, 8, v2
	v_cmp_ne_u16_e32 vcc, 0, v6
	v_mov_b32_e32 v9, 0
	v_mov_b32_e32 v11, 0
	s_and_saveexec_b64 s[4:5], vcc
	s_cbranch_execz .LBB409_700
; %bb.695:
	s_movk_i32 s3, 0x80
	v_cmp_ne_u16_e32 vcc, s3, v6
	v_bfrev_b32_e32 v11, 1
	s_and_saveexec_b64 s[6:7], vcc
	s_cbranch_execz .LBB409_699
; %bb.696:
	s_movk_i32 s3, 0x7f
	v_and_b32_e32 v7, 0x7f, v6
	v_cmp_ne_u32_e32 vcc, s3, v7
	v_mov_b32_e32 v11, 0x7f800001
	s_and_saveexec_b64 s[8:9], vcc
	s_cbranch_execz .LBB409_698
; %bb.697:
	v_and_b32_e32 v8, 7, v6
	v_ffbh_u32_e32 v12, v8
	v_min_u32_e32 v16, 32, v12
	v_subrev_u32_e32 v12, 28, v16
	v_lshlrev_b64 v[12:13], v12, v[6:7]
	v_lshrrev_b32_e32 v11, 3, v7
	v_sub_u32_e32 v6, 29, v16
	v_and_b32_e32 v12, 7, v12
	v_cmp_gt_u32_e32 vcc, 8, v7
	v_cndmask_b32_e32 v6, v11, v6, vcc
	v_cndmask_b32_e32 v7, v8, v12, vcc
	v_lshlrev_b32_e32 v8, 16, v2
	v_bfrev_b32_e32 v11, 60
	v_lshlrev_b32_e32 v7, 20, v7
	v_and_b32_e32 v8, 0x80000000, v8
	v_lshl_add_u32 v6, v6, 23, v11
	v_or3_b32 v11, v8, v6, v7
.LBB409_698:
	s_or_b64 exec, exec, s[8:9]
.LBB409_699:
	s_or_b64 exec, exec, s[6:7]
.LBB409_700:
	s_or_b64 exec, exec, s[4:5]
	s_movk_i32 s3, 0xff
	v_and_b32_sdwa v7, v2, s3 dst_sel:DWORD dst_unused:UNUSED_PAD src0_sel:WORD_1 src1_sel:DWORD
	v_lshrrev_b32_e32 v6, 16, v2
	v_cmp_ne_u16_e32 vcc, 0, v7
	s_and_saveexec_b64 s[4:5], vcc
	s_cbranch_execz .LBB409_706
; %bb.701:
	s_movk_i32 s3, 0x80
	v_cmp_ne_u16_e32 vcc, s3, v7
	v_bfrev_b32_e32 v9, 1
	s_and_saveexec_b64 s[6:7], vcc
	s_cbranch_execz .LBB409_705
; %bb.702:
	v_bfe_u32 v7, v2, 16, 7
	s_movk_i32 s3, 0x7f
	v_cmp_ne_u32_e32 vcc, s3, v7
	v_mov_b32_e32 v9, 0x7f800001
	s_and_saveexec_b64 s[8:9], vcc
	s_cbranch_execz .LBB409_704
; %bb.703:
	v_and_b32_e32 v12, 7, v6
	v_ffbh_u32_e32 v8, v12
	v_min_u32_e32 v16, 32, v8
	v_subrev_u32_e32 v8, 28, v16
	v_lshlrev_b64 v[8:9], v8, v[6:7]
	v_and_b32_e32 v8, 7, v8
	v_cmp_gt_u32_e32 vcc, 8, v7
	v_lshrrev_b32_e32 v13, 3, v7
	v_sub_u32_e32 v6, 29, v16
	v_cndmask_b32_e32 v7, v12, v8, vcc
	v_mov_b32_e32 v8, 24
	v_cndmask_b32_e32 v6, v13, v6, vcc
	v_lshlrev_b32_sdwa v8, v8, v2 dst_sel:DWORD dst_unused:UNUSED_PAD src0_sel:DWORD src1_sel:WORD_1
	v_bfrev_b32_e32 v9, 60
	v_lshlrev_b32_e32 v7, 20, v7
	v_and_b32_e32 v8, 0x80000000, v8
	v_lshl_add_u32 v6, v6, 23, v9
	v_or3_b32 v9, v8, v6, v7
.LBB409_704:
	s_or_b64 exec, exec, s[8:9]
.LBB409_705:
	s_or_b64 exec, exec, s[6:7]
.LBB409_706:
	s_or_b64 exec, exec, s[4:5]
	s_mov_b32 s3, 0xffffff
	v_cmp_lt_u32_e32 vcc, s3, v2
	v_mov_b32_e32 v7, 0
	v_mov_b32_e32 v12, 0
	s_and_saveexec_b64 s[4:5], vcc
	s_cbranch_execz .LBB409_712
; %bb.707:
	v_lshrrev_b32_e32 v6, 24, v2
	s_movk_i32 s3, 0x80
	v_cmp_ne_u32_e32 vcc, s3, v6
	v_bfrev_b32_e32 v12, 1
	s_and_saveexec_b64 s[6:7], vcc
	s_cbranch_execz .LBB409_711
; %bb.708:
	v_bfe_u32 v8, v2, 24, 7
	s_movk_i32 s3, 0x7f
	v_cmp_ne_u32_e32 vcc, s3, v8
	v_mov_b32_e32 v12, 0x7f800001
	s_and_saveexec_b64 s[8:9], vcc
	s_cbranch_execz .LBB409_710
; %bb.709:
	v_and_b32_e32 v16, 7, v6
	v_ffbh_u32_e32 v12, v16
	v_min_u32_e32 v18, 32, v12
	v_subrev_u32_e32 v12, 28, v18
	v_lshlrev_b64 v[12:13], v12, v[6:7]
	v_lshrrev_b32_e32 v17, 3, v8
	v_sub_u32_e32 v13, 29, v18
	v_and_b32_e32 v12, 7, v12
	v_cmp_gt_u32_e32 vcc, 8, v8
	v_cndmask_b32_e32 v8, v17, v13, vcc
	v_cndmask_b32_e32 v12, v16, v12, vcc
	v_lshlrev_b32_e32 v6, 24, v6
	v_bfrev_b32_e32 v13, 60
	v_lshlrev_b32_e32 v12, 20, v12
	v_and_b32_e32 v6, 0x80000000, v6
	v_lshl_add_u32 v8, v8, 23, v13
	v_or3_b32 v12, v6, v8, v12
.LBB409_710:
	s_or_b64 exec, exec, s[8:9]
.LBB409_711:
	s_or_b64 exec, exec, s[6:7]
.LBB409_712:
	s_or_b64 exec, exec, s[4:5]
	v_mov_b32_e32 v6, v3
	v_cmp_ne_u16_sdwa s[6:7], v3, v7 src0_sel:BYTE_0 src1_sel:DWORD
	s_and_saveexec_b64 s[4:5], s[6:7]
	s_cbranch_execz .LBB409_718
; %bb.713:
	s_movk_i32 s3, 0x80
	v_cmp_ne_u16_sdwa s[8:9], v3, s3 src0_sel:BYTE_0 src1_sel:DWORD
	v_bfrev_b32_e32 v8, 1
	s_and_saveexec_b64 s[6:7], s[8:9]
	s_cbranch_execz .LBB409_717
; %bb.714:
	s_movk_i32 s3, 0x7f
	v_and_b32_e32 v13, 0x7f, v3
	v_cmp_ne_u32_e32 vcc, s3, v13
	v_mov_b32_e32 v8, 0x7f800001
	s_and_saveexec_b64 s[8:9], vcc
	s_cbranch_execz .LBB409_716
; %bb.715:
	v_and_b32_e32 v8, 7, v3
	v_ffbh_u32_e32 v8, v8
	v_min_u32_e32 v8, 32, v8
	v_subrev_u32_e32 v17, 28, v8
	v_cmp_gt_u32_e32 vcc, 8, v13
	v_lshrrev_b32_e32 v16, 3, v13
	v_sub_u32_e32 v8, 29, v8
	v_cndmask_b32_e32 v13, 0, v17, vcc
	v_cndmask_b32_e32 v8, v16, v8, vcc
	v_lshlrev_b64 v[16:17], v13, v[6:7]
	v_lshlrev_b32_e32 v7, 20, v16
	v_lshlrev_b32_e32 v13, 24, v6
	v_bfrev_b32_e32 v16, 60
	v_and_b32_e32 v7, 0x700000, v7
	v_and_b32_e32 v13, 0x80000000, v13
	v_lshl_add_u32 v8, v8, 23, v16
	v_or3_b32 v8, v13, v8, v7
.LBB409_716:
	s_or_b64 exec, exec, s[8:9]
.LBB409_717:
	s_or_b64 exec, exec, s[6:7]
	v_mov_b32_e32 v7, v8
.LBB409_718:
	s_or_b64 exec, exec, s[4:5]
	v_lshrrev_b16_e32 v8, 8, v6
	v_cmp_ne_u16_e32 vcc, 0, v8
	v_mov_b32_e32 v13, 0
	v_mov_b32_e32 v16, 0
	s_and_saveexec_b64 s[4:5], vcc
	s_cbranch_execz .LBB409_724
; %bb.719:
	s_movk_i32 s3, 0x80
	v_cmp_ne_u16_e32 vcc, s3, v8
	v_bfrev_b32_e32 v16, 1
	s_and_saveexec_b64 s[6:7], vcc
	s_cbranch_execz .LBB409_723
; %bb.720:
	s_movk_i32 s3, 0x7f
	v_and_b32_e32 v17, 0x7f, v8
	v_cmp_ne_u32_e32 vcc, s3, v17
	v_mov_b32_e32 v16, 0x7f800001
	s_and_saveexec_b64 s[8:9], vcc
	s_cbranch_execz .LBB409_722
; %bb.721:
	v_and_b32_e32 v16, 7, v8
	v_ffbh_u32_e32 v18, v16
	v_min_u32_e32 v21, 32, v18
	v_subrev_u32_e32 v18, 28, v21
	v_lshlrev_b64 v[18:19], v18, v[8:9]
	v_lshrrev_b32_e32 v20, 3, v17
	v_sub_u32_e32 v8, 29, v21
	v_and_b32_e32 v18, 7, v18
	v_cmp_gt_u32_e32 vcc, 8, v17
	v_cndmask_b32_e32 v8, v20, v8, vcc
	v_cndmask_b32_e32 v16, v16, v18, vcc
	v_lshlrev_b32_e32 v6, 16, v6
	v_bfrev_b32_e32 v17, 60
	v_lshlrev_b32_e32 v16, 20, v16
	v_and_b32_e32 v6, 0x80000000, v6
	v_lshl_add_u32 v8, v8, 23, v17
	v_or3_b32 v16, v6, v8, v16
.LBB409_722:
	s_or_b64 exec, exec, s[8:9]
.LBB409_723:
	s_or_b64 exec, exec, s[6:7]
.LBB409_724:
	s_or_b64 exec, exec, s[4:5]
	s_movk_i32 s3, 0xff
	v_and_b32_sdwa v8, v3, s3 dst_sel:DWORD dst_unused:UNUSED_PAD src0_sel:WORD_1 src1_sel:DWORD
	v_lshrrev_b32_e32 v6, 16, v3
	v_cmp_ne_u16_e32 vcc, 0, v8
	s_and_saveexec_b64 s[4:5], vcc
	s_cbranch_execz .LBB409_730
; %bb.725:
	s_movk_i32 s3, 0x80
	v_cmp_ne_u16_e32 vcc, s3, v8
	v_bfrev_b32_e32 v13, 1
	s_and_saveexec_b64 s[6:7], vcc
	s_cbranch_execz .LBB409_729
; %bb.726:
	v_bfe_u32 v8, v3, 16, 7
	s_movk_i32 s3, 0x7f
	v_cmp_ne_u32_e32 vcc, s3, v8
	v_mov_b32_e32 v13, 0x7f800001
	s_and_saveexec_b64 s[8:9], vcc
	s_cbranch_execz .LBB409_728
; %bb.727:
	v_and_b32_e32 v13, 7, v6
	v_ffbh_u32_e32 v18, v13
	v_min_u32_e32 v20, 32, v18
	v_subrev_u32_e32 v18, 28, v20
	v_lshlrev_b64 v[18:19], v18, v[6:7]
	v_and_b32_e32 v18, 7, v18
	v_cmp_gt_u32_e32 vcc, 8, v8
	v_lshrrev_b32_e32 v17, 3, v8
	v_sub_u32_e32 v6, 29, v20
	v_cndmask_b32_e32 v8, v13, v18, vcc
	v_mov_b32_e32 v13, 24
	v_cndmask_b32_e32 v6, v17, v6, vcc
	v_lshlrev_b32_sdwa v13, v13, v3 dst_sel:DWORD dst_unused:UNUSED_PAD src0_sel:DWORD src1_sel:WORD_1
	v_bfrev_b32_e32 v17, 60
	v_lshlrev_b32_e32 v8, 20, v8
	v_and_b32_e32 v13, 0x80000000, v13
	v_lshl_add_u32 v6, v6, 23, v17
	v_or3_b32 v13, v13, v6, v8
.LBB409_728:
	s_or_b64 exec, exec, s[8:9]
.LBB409_729:
	s_or_b64 exec, exec, s[6:7]
.LBB409_730:
	s_or_b64 exec, exec, s[4:5]
	s_mov_b32 s4, -1
	s_mov_b32 s5, 0xffffff
	v_cmp_lt_u64_e32 vcc, s[4:5], v[2:3]
	v_mov_b32_e32 v8, 0
	v_mov_b32_e32 v6, 0
	s_and_saveexec_b64 s[4:5], vcc
	s_cbranch_execz .LBB409_736
; %bb.731:
	v_lshrrev_b32_e32 v2, 24, v3
	s_movk_i32 s3, 0x80
	v_cmp_ne_u32_e32 vcc, s3, v2
	v_bfrev_b32_e32 v6, 1
	s_and_saveexec_b64 s[6:7], vcc
	s_cbranch_execz .LBB409_735
; %bb.732:
	v_bfe_u32 v3, v3, 24, 7
	s_movk_i32 s3, 0x7f
	v_cmp_ne_u32_e32 vcc, s3, v3
	v_mov_b32_e32 v6, 0x7f800001
	s_and_saveexec_b64 s[8:9], vcc
	s_cbranch_execz .LBB409_734
; %bb.733:
	v_and_b32_e32 v6, 7, v2
	v_ffbh_u32_e32 v18, v6
	v_min_u32_e32 v20, 32, v18
	v_subrev_u32_e32 v18, 28, v20
	v_lshlrev_b64 v[18:19], v18, v[2:3]
	v_lshrrev_b32_e32 v17, 3, v3
	v_sub_u32_e32 v19, 29, v20
	v_and_b32_e32 v18, 7, v18
	v_cmp_gt_u32_e32 vcc, 8, v3
	v_cndmask_b32_e32 v3, v17, v19, vcc
	v_cndmask_b32_e32 v6, v6, v18, vcc
	v_lshlrev_b32_e32 v2, 24, v2
	v_bfrev_b32_e32 v17, 60
	v_lshlrev_b32_e32 v6, 20, v6
	v_and_b32_e32 v2, 0x80000000, v2
	v_lshl_add_u32 v3, v3, 23, v17
	v_or3_b32 v6, v2, v3, v6
.LBB409_734:
	s_or_b64 exec, exec, s[8:9]
.LBB409_735:
	s_or_b64 exec, exec, s[6:7]
.LBB409_736:
	s_or_b64 exec, exec, s[4:5]
	v_cvt_pkrtz_f16_f32 v2, v10, v11
	v_cvt_pkrtz_f16_f32 v3, v9, v12
	v_cvt_pkrtz_f16_f32 v10, v7, v16
	v_cvt_pkrtz_f16_f32 v11, v13, v6
	v_mfma_f32_4x4x4f16 a[0:3], v[14:15], v[2:3], a[0:3] cbsz:4 abid:12
	v_cmp_ne_u16_sdwa s[6:7], v4, v8 src0_sel:BYTE_0 src1_sel:DWORD
	v_mfma_f32_4x4x4f16 a[0:3], v[14:15], v[10:11], a[0:3] cbsz:4 abid:13
	s_and_saveexec_b64 s[4:5], s[6:7]
	s_cbranch_execz .LBB409_742
; %bb.737:
	s_movk_i32 s3, 0x80
	v_cmp_ne_u16_sdwa s[8:9], v4, s3 src0_sel:BYTE_0 src1_sel:DWORD
	v_bfrev_b32_e32 v8, 1
	s_and_saveexec_b64 s[6:7], s[8:9]
	s_cbranch_execz .LBB409_741
; %bb.738:
	s_movk_i32 s3, 0x7f
	v_and_b32_e32 v2, 0x7f, v4
	v_cmp_ne_u32_e32 vcc, s3, v2
	v_mov_b32_e32 v8, 0x7f800001
	s_and_saveexec_b64 s[8:9], vcc
	s_cbranch_execz .LBB409_740
; %bb.739:
	v_and_b32_e32 v3, 7, v4
	v_ffbh_u32_e32 v3, v3
	v_min_u32_e32 v3, 32, v3
	v_subrev_u32_e32 v7, 28, v3
	v_cmp_gt_u32_e32 vcc, 8, v2
	v_lshrrev_b32_e32 v6, 3, v2
	v_sub_u32_e32 v3, 29, v3
	v_cndmask_b32_e32 v2, 0, v7, vcc
	v_cndmask_b32_e32 v6, v6, v3, vcc
	v_lshlrev_b64 v[2:3], v2, v[4:5]
	v_lshlrev_b32_e32 v2, 20, v2
	v_lshlrev_b32_e32 v3, 24, v4
	v_bfrev_b32_e32 v7, 60
	v_and_b32_e32 v2, 0x700000, v2
	v_and_b32_e32 v3, 0x80000000, v3
	v_lshl_add_u32 v6, v6, 23, v7
	v_or3_b32 v8, v3, v6, v2
.LBB409_740:
	s_or_b64 exec, exec, s[8:9]
.LBB409_741:
	s_or_b64 exec, exec, s[6:7]
.LBB409_742:
	s_or_b64 exec, exec, s[4:5]
	v_lshrrev_b16_e32 v2, 8, v4
	v_cmp_ne_u16_e32 vcc, 0, v2
	v_mov_b32_e32 v7, 0
	v_mov_b32_e32 v9, 0
	s_and_saveexec_b64 s[4:5], vcc
	s_cbranch_execz .LBB409_748
; %bb.743:
	s_movk_i32 s3, 0x80
	v_cmp_ne_u16_e32 vcc, s3, v2
	v_bfrev_b32_e32 v9, 1
	s_and_saveexec_b64 s[6:7], vcc
	s_cbranch_execz .LBB409_747
; %bb.744:
	s_movk_i32 s3, 0x7f
	v_and_b32_e32 v3, 0x7f, v2
	v_cmp_ne_u32_e32 vcc, s3, v3
	v_mov_b32_e32 v9, 0x7f800001
	s_and_saveexec_b64 s[8:9], vcc
	s_cbranch_execz .LBB409_746
; %bb.745:
	v_and_b32_e32 v6, 7, v2
	v_ffbh_u32_e32 v10, v6
	v_min_u32_e32 v12, 32, v10
	v_subrev_u32_e32 v10, 28, v12
	v_lshlrev_b64 v[10:11], v10, v[2:3]
	v_lshrrev_b32_e32 v9, 3, v3
	v_sub_u32_e32 v2, 29, v12
	v_and_b32_e32 v10, 7, v10
	v_cmp_gt_u32_e32 vcc, 8, v3
	v_cndmask_b32_e32 v2, v9, v2, vcc
	v_cndmask_b32_e32 v3, v6, v10, vcc
	v_lshlrev_b32_e32 v6, 16, v4
	v_bfrev_b32_e32 v9, 60
	v_lshlrev_b32_e32 v3, 20, v3
	v_and_b32_e32 v6, 0x80000000, v6
	v_lshl_add_u32 v2, v2, 23, v9
	v_or3_b32 v9, v6, v2, v3
.LBB409_746:
	s_or_b64 exec, exec, s[8:9]
.LBB409_747:
	s_or_b64 exec, exec, s[6:7]
.LBB409_748:
	s_or_b64 exec, exec, s[4:5]
	s_movk_i32 s3, 0xff
	v_and_b32_sdwa v3, v4, s3 dst_sel:DWORD dst_unused:UNUSED_PAD src0_sel:WORD_1 src1_sel:DWORD
	v_lshrrev_b32_e32 v2, 16, v4
	v_cmp_ne_u16_e32 vcc, 0, v3
	s_and_saveexec_b64 s[4:5], vcc
	s_cbranch_execz .LBB409_754
; %bb.749:
	s_movk_i32 s3, 0x80
	v_cmp_ne_u16_e32 vcc, s3, v3
	v_bfrev_b32_e32 v7, 1
	s_and_saveexec_b64 s[6:7], vcc
	s_cbranch_execz .LBB409_753
; %bb.750:
	v_bfe_u32 v3, v4, 16, 7
	s_movk_i32 s3, 0x7f
	v_cmp_ne_u32_e32 vcc, s3, v3
	v_mov_b32_e32 v7, 0x7f800001
	s_and_saveexec_b64 s[8:9], vcc
	s_cbranch_execz .LBB409_752
; %bb.751:
	v_and_b32_e32 v10, 7, v2
	v_ffbh_u32_e32 v6, v10
	v_min_u32_e32 v12, 32, v6
	v_subrev_u32_e32 v6, 28, v12
	v_lshlrev_b64 v[6:7], v6, v[2:3]
	v_and_b32_e32 v6, 7, v6
	v_cmp_gt_u32_e32 vcc, 8, v3
	v_lshrrev_b32_e32 v11, 3, v3
	v_sub_u32_e32 v2, 29, v12
	v_cndmask_b32_e32 v3, v10, v6, vcc
	v_mov_b32_e32 v6, 24
	v_cndmask_b32_e32 v2, v11, v2, vcc
	v_lshlrev_b32_sdwa v6, v6, v4 dst_sel:DWORD dst_unused:UNUSED_PAD src0_sel:DWORD src1_sel:WORD_1
	v_bfrev_b32_e32 v7, 60
	v_lshlrev_b32_e32 v3, 20, v3
	v_and_b32_e32 v6, 0x80000000, v6
	v_lshl_add_u32 v2, v2, 23, v7
	v_or3_b32 v7, v6, v2, v3
.LBB409_752:
	s_or_b64 exec, exec, s[8:9]
.LBB409_753:
	s_or_b64 exec, exec, s[6:7]
.LBB409_754:
	s_or_b64 exec, exec, s[4:5]
	s_mov_b32 s3, 0xffffff
	v_cmp_lt_u32_e32 vcc, s3, v4
	v_mov_b32_e32 v3, 0
	v_mov_b32_e32 v10, 0
	s_and_saveexec_b64 s[4:5], vcc
	s_cbranch_execz .LBB409_760
; %bb.755:
	v_lshrrev_b32_e32 v2, 24, v4
	s_movk_i32 s3, 0x80
	v_cmp_ne_u32_e32 vcc, s3, v2
	v_bfrev_b32_e32 v10, 1
	s_and_saveexec_b64 s[6:7], vcc
	s_cbranch_execz .LBB409_759
; %bb.756:
	v_bfe_u32 v6, v4, 24, 7
	s_movk_i32 s3, 0x7f
	v_cmp_ne_u32_e32 vcc, s3, v6
	v_mov_b32_e32 v10, 0x7f800001
	s_and_saveexec_b64 s[8:9], vcc
	s_cbranch_execz .LBB409_758
; %bb.757:
	v_and_b32_e32 v12, 7, v2
	v_ffbh_u32_e32 v10, v12
	v_min_u32_e32 v16, 32, v10
	v_subrev_u32_e32 v10, 28, v16
	v_lshlrev_b64 v[10:11], v10, v[2:3]
	v_lshrrev_b32_e32 v13, 3, v6
	v_sub_u32_e32 v11, 29, v16
	v_and_b32_e32 v10, 7, v10
	v_cmp_gt_u32_e32 vcc, 8, v6
	v_cndmask_b32_e32 v6, v13, v11, vcc
	v_cndmask_b32_e32 v10, v12, v10, vcc
	v_lshlrev_b32_e32 v2, 24, v2
	v_bfrev_b32_e32 v11, 60
	v_lshlrev_b32_e32 v10, 20, v10
	v_and_b32_e32 v2, 0x80000000, v2
	v_lshl_add_u32 v6, v6, 23, v11
	v_or3_b32 v10, v2, v6, v10
.LBB409_758:
	s_or_b64 exec, exec, s[8:9]
.LBB409_759:
	s_or_b64 exec, exec, s[6:7]
.LBB409_760:
	s_or_b64 exec, exec, s[4:5]
	v_mov_b32_e32 v2, v5
	v_cmp_ne_u16_sdwa s[6:7], v5, v3 src0_sel:BYTE_0 src1_sel:DWORD
	s_and_saveexec_b64 s[4:5], s[6:7]
	s_cbranch_execz .LBB409_766
; %bb.761:
	s_movk_i32 s3, 0x80
	v_cmp_ne_u16_sdwa s[8:9], v5, s3 src0_sel:BYTE_0 src1_sel:DWORD
	v_bfrev_b32_e32 v6, 1
	s_and_saveexec_b64 s[6:7], s[8:9]
	s_cbranch_execz .LBB409_765
; %bb.762:
	s_movk_i32 s3, 0x7f
	v_and_b32_e32 v11, 0x7f, v5
	v_cmp_ne_u32_e32 vcc, s3, v11
	v_mov_b32_e32 v6, 0x7f800001
	s_and_saveexec_b64 s[8:9], vcc
	s_cbranch_execz .LBB409_764
; %bb.763:
	v_and_b32_e32 v6, 7, v5
	v_ffbh_u32_e32 v6, v6
	v_min_u32_e32 v6, 32, v6
	v_subrev_u32_e32 v13, 28, v6
	v_cmp_gt_u32_e32 vcc, 8, v11
	v_lshrrev_b32_e32 v12, 3, v11
	v_sub_u32_e32 v6, 29, v6
	v_cndmask_b32_e32 v11, 0, v13, vcc
	v_cndmask_b32_e32 v6, v12, v6, vcc
	v_lshlrev_b64 v[12:13], v11, v[2:3]
	v_lshlrev_b32_e32 v3, 20, v12
	v_lshlrev_b32_e32 v11, 24, v2
	v_bfrev_b32_e32 v12, 60
	v_and_b32_e32 v3, 0x700000, v3
	v_and_b32_e32 v11, 0x80000000, v11
	v_lshl_add_u32 v6, v6, 23, v12
	v_or3_b32 v6, v11, v6, v3
.LBB409_764:
	s_or_b64 exec, exec, s[8:9]
.LBB409_765:
	s_or_b64 exec, exec, s[6:7]
	v_mov_b32_e32 v3, v6
.LBB409_766:
	s_or_b64 exec, exec, s[4:5]
	v_lshrrev_b16_e32 v6, 8, v2
	v_cmp_ne_u16_e32 vcc, 0, v6
	v_mov_b32_e32 v11, 0
	v_mov_b32_e32 v12, 0
	s_and_saveexec_b64 s[4:5], vcc
	s_cbranch_execz .LBB409_772
; %bb.767:
	s_movk_i32 s3, 0x80
	v_cmp_ne_u16_e32 vcc, s3, v6
	v_bfrev_b32_e32 v12, 1
	s_and_saveexec_b64 s[6:7], vcc
	s_cbranch_execz .LBB409_771
; %bb.768:
	s_movk_i32 s3, 0x7f
	v_and_b32_e32 v13, 0x7f, v6
	v_cmp_ne_u32_e32 vcc, s3, v13
	v_mov_b32_e32 v12, 0x7f800001
	s_and_saveexec_b64 s[8:9], vcc
	s_cbranch_execz .LBB409_770
; %bb.769:
	v_and_b32_e32 v12, 7, v6
	v_ffbh_u32_e32 v16, v12
	v_min_u32_e32 v19, 32, v16
	v_subrev_u32_e32 v16, 28, v19
	v_lshlrev_b64 v[16:17], v16, v[6:7]
	v_lshrrev_b32_e32 v18, 3, v13
	v_sub_u32_e32 v6, 29, v19
	v_and_b32_e32 v16, 7, v16
	v_cmp_gt_u32_e32 vcc, 8, v13
	v_cndmask_b32_e32 v6, v18, v6, vcc
	v_cndmask_b32_e32 v12, v12, v16, vcc
	v_lshlrev_b32_e32 v2, 16, v2
	v_bfrev_b32_e32 v13, 60
	v_lshlrev_b32_e32 v12, 20, v12
	v_and_b32_e32 v2, 0x80000000, v2
	v_lshl_add_u32 v6, v6, 23, v13
	v_or3_b32 v12, v2, v6, v12
.LBB409_770:
	s_or_b64 exec, exec, s[8:9]
.LBB409_771:
	s_or_b64 exec, exec, s[6:7]
.LBB409_772:
	s_or_b64 exec, exec, s[4:5]
	s_movk_i32 s3, 0xff
	v_and_b32_sdwa v6, v5, s3 dst_sel:DWORD dst_unused:UNUSED_PAD src0_sel:WORD_1 src1_sel:DWORD
	v_lshrrev_b32_e32 v2, 16, v5
	v_cmp_ne_u16_e32 vcc, 0, v6
	s_and_saveexec_b64 s[4:5], vcc
	s_cbranch_execz .LBB409_778
; %bb.773:
	s_movk_i32 s3, 0x80
	v_cmp_ne_u16_e32 vcc, s3, v6
	v_bfrev_b32_e32 v11, 1
	s_and_saveexec_b64 s[6:7], vcc
	s_cbranch_execz .LBB409_777
; %bb.774:
	v_bfe_u32 v6, v5, 16, 7
	s_movk_i32 s3, 0x7f
	v_cmp_ne_u32_e32 vcc, s3, v6
	v_mov_b32_e32 v11, 0x7f800001
	s_and_saveexec_b64 s[8:9], vcc
	s_cbranch_execz .LBB409_776
; %bb.775:
	v_and_b32_e32 v11, 7, v2
	v_ffbh_u32_e32 v16, v11
	v_min_u32_e32 v18, 32, v16
	v_subrev_u32_e32 v16, 28, v18
	v_lshlrev_b64 v[16:17], v16, v[2:3]
	v_and_b32_e32 v16, 7, v16
	v_cmp_gt_u32_e32 vcc, 8, v6
	v_lshrrev_b32_e32 v13, 3, v6
	v_sub_u32_e32 v2, 29, v18
	v_cndmask_b32_e32 v6, v11, v16, vcc
	v_mov_b32_e32 v11, 24
	v_cndmask_b32_e32 v2, v13, v2, vcc
	v_lshlrev_b32_sdwa v11, v11, v5 dst_sel:DWORD dst_unused:UNUSED_PAD src0_sel:DWORD src1_sel:WORD_1
	v_bfrev_b32_e32 v13, 60
	v_lshlrev_b32_e32 v6, 20, v6
	v_and_b32_e32 v11, 0x80000000, v11
	v_lshl_add_u32 v2, v2, 23, v13
	v_or3_b32 v11, v11, v2, v6
.LBB409_776:
	s_or_b64 exec, exec, s[8:9]
.LBB409_777:
	s_or_b64 exec, exec, s[6:7]
.LBB409_778:
	s_or_b64 exec, exec, s[4:5]
	s_mov_b32 s4, -1
	s_mov_b32 s5, 0xffffff
	v_cmp_lt_u64_e32 vcc, s[4:5], v[4:5]
	v_mov_b32_e32 v4, 0
	s_and_saveexec_b64 s[4:5], vcc
	s_cbranch_execz .LBB409_784
; %bb.779:
	v_lshrrev_b32_e32 v2, 24, v5
	s_movk_i32 s3, 0x80
	v_cmp_ne_u32_e32 vcc, s3, v2
	v_bfrev_b32_e32 v4, 1
	s_and_saveexec_b64 s[6:7], vcc
	s_cbranch_execz .LBB409_783
; %bb.780:
	v_bfe_u32 v5, v5, 24, 7
	s_movk_i32 s3, 0x7f
	v_cmp_ne_u32_e32 vcc, s3, v5
	v_mov_b32_e32 v4, 0x7f800001
	s_and_saveexec_b64 s[8:9], vcc
	s_cbranch_execz .LBB409_782
; %bb.781:
	v_and_b32_e32 v4, 7, v2
	v_ffbh_u32_e32 v13, v4
	v_min_u32_e32 v13, 32, v13
	v_subrev_u32_e32 v16, 28, v13
	v_lshlrev_b64 v[16:17], v16, v[2:3]
	v_lshrrev_b32_e32 v6, 3, v5
	v_sub_u32_e32 v13, 29, v13
	v_and_b32_e32 v16, 7, v16
	v_cmp_gt_u32_e32 vcc, 8, v5
	v_cndmask_b32_e32 v5, v6, v13, vcc
	v_cndmask_b32_e32 v4, v4, v16, vcc
	v_lshlrev_b32_e32 v2, 24, v2
	v_bfrev_b32_e32 v6, 60
	v_lshlrev_b32_e32 v4, 20, v4
	v_and_b32_e32 v2, 0x80000000, v2
	v_lshl_add_u32 v5, v5, 23, v6
	v_or3_b32 v4, v2, v5, v4
.LBB409_782:
	s_or_b64 exec, exec, s[8:9]
.LBB409_783:
	s_or_b64 exec, exec, s[6:7]
.LBB409_784:
	s_or_b64 exec, exec, s[4:5]
	v_cvt_pkrtz_f16_f32 v6, v8, v9
	v_cvt_pkrtz_f16_f32 v7, v7, v10
	;; [unrolled: 1-line block ×4, first 2 shown]
	v_mfma_f32_4x4x4f16 a[0:3], v[14:15], v[6:7], a[0:3] cbsz:4 abid:14
	s_load_dword s4, s[14:15], 0x0
	v_mfma_f32_4x4x4f16 a[0:3], v[14:15], v[2:3], a[0:3] cbsz:4 abid:15
	s_nop 4
	v_accvgpr_read_b32 v5, a1
	v_accvgpr_read_b32 v3, a3
	;; [unrolled: 1-line block ×4, first 2 shown]
	s_waitcnt lgkmcnt(0)
	v_pk_mul_f32 v[2:3], v[2:3], s[4:5] op_sel_hi:[1,0]
	v_pk_mul_f32 v[4:5], v[4:5], s[4:5] op_sel_hi:[1,0]
	v_cvt_f16_f32_e32 v4, v4
	v_cvt_f16_f32_e32 v5, v5
	;; [unrolled: 1-line block ×4, first 2 shown]
	v_pack_b32_f16 v2, v4, v5
	v_mad_u32_u24 v4, v1, 40, v25
	v_pack_b32_f16 v3, v6, v3
	ds_write_b64 v4, v[2:3]
.LBB409_785:
	s_or_b64 exec, exec, s[0:1]
	v_cmp_gt_u32_e32 vcc, 64, v0
	s_waitcnt lgkmcnt(0)
	s_barrier
	s_and_saveexec_b64 s[0:1], vcc
	s_cbranch_execz .LBB409_787
; %bb.786:
	v_mul_u32_u24_e32 v1, 40, v1
	s_waitcnt vmcnt(2)
	ds_read2_b64 v[2:5], v1 offset1:1
	ds_read2_b64 v[6:9], v1 offset0:2 offset1:3
	s_mov_b32 s1, 0
	s_lshl_b32 s0, s2, 6
	s_lshl_b64 s[2:3], s[0:1], 1
	s_add_u32 s2, s30, s2
	s_addc_u32 s3, s31, s3
	s_lshl_b32 s0, s28, 6
	s_lshl_b64 s[0:1], s[0:1], 1
	s_waitcnt lgkmcnt(1)
	v_pk_add_f16 v1, v2, 0
	v_pk_add_f16 v2, v3, 0
	s_add_u32 s0, s2, s0
	v_pk_add_f16 v2, v2, v5
	s_addc_u32 s1, s3, s1
	s_lshl_b32 s2, s33, 6
	v_pk_add_f16 v1, v1, v4
	s_waitcnt lgkmcnt(0)
	v_pk_add_f16 v2, v2, v7
	s_mul_i32 s3, s2, s10
	v_pk_add_f16 v1, v1, v6
	v_pk_add_f16 v6, v2, v9
	v_or_b32_e32 v2, s3, v0
	v_mov_b32_e32 v3, 0
	v_lshlrev_b64 v[4:5], 1, v[2:3]
	v_mov_b32_e32 v2, s1
	v_add_co_u32_e32 v4, vcc, s0, v4
	s_add_i32 s3, s3, s2
	v_pk_add_f16 v1, v1, v8
	v_addc_co_u32_e32 v5, vcc, v2, v5, vcc
	v_or_b32_e32 v2, s3, v0
	global_store_short v[4:5], v1, off
	v_lshlrev_b64 v[4:5], 1, v[2:3]
	v_mov_b32_e32 v2, s1
	v_add_co_u32_e32 v4, vcc, s0, v4
	s_add_i32 s3, s3, s2
	v_addc_co_u32_e32 v5, vcc, v2, v5, vcc
	v_or_b32_e32 v2, s3, v0
	global_store_short_d16_hi v[4:5], v1, off
	v_lshlrev_b64 v[4:5], 1, v[2:3]
	s_add_i32 s3, s3, s2
	v_mov_b32_e32 v1, s1
	v_add_co_u32_e32 v4, vcc, s0, v4
	v_or_b32_e32 v2, s3, v0
	v_addc_co_u32_e32 v5, vcc, v1, v5, vcc
	v_lshlrev_b64 v[0:1], 1, v[2:3]
	v_mov_b32_e32 v2, s1
	v_add_co_u32_e32 v0, vcc, s0, v0
	v_addc_co_u32_e32 v1, vcc, v2, v1, vcc
	global_store_short v[4:5], v6, off
	global_store_short_d16_hi v[0:1], v6, off
.LBB409_787:
	s_endpgm
.LBB409_788:
	s_mov_b64 s[12:13], 0
                                        ; implicit-def: $sgpr38_sgpr39
	s_branch .LBB409_2
	.section	.rodata,"a",@progbits
	.p2align	6, 0x0
	.amdhsa_kernel _Z38paged_attention_ll4mi_QKV_mfma4_kernelIDF16_hLN4vllm18Fp8KVCacheDataTypeE1EDF16_Li16ELi64ELi256ELb0ELi4EEvPKT_PKT0_S7_ifPKiS9_S9_iPKfiiiPfSC_PS2_PT2_iSB_SB_
		.amdhsa_group_segment_fixed_size 2720
		.amdhsa_private_segment_fixed_size 0
		.amdhsa_kernarg_size 400
		.amdhsa_user_sgpr_count 6
		.amdhsa_user_sgpr_private_segment_buffer 1
		.amdhsa_user_sgpr_dispatch_ptr 0
		.amdhsa_user_sgpr_queue_ptr 0
		.amdhsa_user_sgpr_kernarg_segment_ptr 1
		.amdhsa_user_sgpr_dispatch_id 0
		.amdhsa_user_sgpr_flat_scratch_init 0
		.amdhsa_user_sgpr_kernarg_preload_length 0
		.amdhsa_user_sgpr_kernarg_preload_offset 0
		.amdhsa_user_sgpr_private_segment_size 0
		.amdhsa_uses_dynamic_stack 0
		.amdhsa_system_sgpr_private_segment_wavefront_offset 0
		.amdhsa_system_sgpr_workgroup_id_x 1
		.amdhsa_system_sgpr_workgroup_id_y 1
		.amdhsa_system_sgpr_workgroup_id_z 1
		.amdhsa_system_sgpr_workgroup_info 0
		.amdhsa_system_vgpr_workitem_id 0
		.amdhsa_next_free_vgpr 60
		.amdhsa_next_free_sgpr 44
		.amdhsa_accum_offset 56
		.amdhsa_reserve_vcc 1
		.amdhsa_reserve_flat_scratch 0
		.amdhsa_float_round_mode_32 0
		.amdhsa_float_round_mode_16_64 0
		.amdhsa_float_denorm_mode_32 3
		.amdhsa_float_denorm_mode_16_64 3
		.amdhsa_dx10_clamp 1
		.amdhsa_ieee_mode 1
		.amdhsa_fp16_overflow 0
		.amdhsa_tg_split 0
		.amdhsa_exception_fp_ieee_invalid_op 0
		.amdhsa_exception_fp_denorm_src 0
		.amdhsa_exception_fp_ieee_div_zero 0
		.amdhsa_exception_fp_ieee_overflow 0
		.amdhsa_exception_fp_ieee_underflow 0
		.amdhsa_exception_fp_ieee_inexact 0
		.amdhsa_exception_int_div_zero 0
	.end_amdhsa_kernel
	.section	.text._Z38paged_attention_ll4mi_QKV_mfma4_kernelIDF16_hLN4vllm18Fp8KVCacheDataTypeE1EDF16_Li16ELi64ELi256ELb0ELi4EEvPKT_PKT0_S7_ifPKiS9_S9_iPKfiiiPfSC_PS2_PT2_iSB_SB_,"axG",@progbits,_Z38paged_attention_ll4mi_QKV_mfma4_kernelIDF16_hLN4vllm18Fp8KVCacheDataTypeE1EDF16_Li16ELi64ELi256ELb0ELi4EEvPKT_PKT0_S7_ifPKiS9_S9_iPKfiiiPfSC_PS2_PT2_iSB_SB_,comdat
.Lfunc_end409:
	.size	_Z38paged_attention_ll4mi_QKV_mfma4_kernelIDF16_hLN4vllm18Fp8KVCacheDataTypeE1EDF16_Li16ELi64ELi256ELb0ELi4EEvPKT_PKT0_S7_ifPKiS9_S9_iPKfiiiPfSC_PS2_PT2_iSB_SB_, .Lfunc_end409-_Z38paged_attention_ll4mi_QKV_mfma4_kernelIDF16_hLN4vllm18Fp8KVCacheDataTypeE1EDF16_Li16ELi64ELi256ELb0ELi4EEvPKT_PKT0_S7_ifPKiS9_S9_iPKfiiiPfSC_PS2_PT2_iSB_SB_
                                        ; -- End function
	.section	.AMDGPU.csdata,"",@progbits
; Kernel info:
; codeLenInByte = 26456
; NumSgprs: 48
; NumVgprs: 55
; NumAgprs: 4
; TotalNumVgprs: 60
; ScratchSize: 0
; MemoryBound: 0
; FloatMode: 240
; IeeeMode: 1
; LDSByteSize: 2720 bytes/workgroup (compile time only)
; SGPRBlocks: 5
; VGPRBlocks: 7
; NumSGPRsForWavesPerEU: 48
; NumVGPRsForWavesPerEU: 60
; AccumOffset: 56
; Occupancy: 8
; WaveLimiterHint : 1
; COMPUTE_PGM_RSRC2:SCRATCH_EN: 0
; COMPUTE_PGM_RSRC2:USER_SGPR: 6
; COMPUTE_PGM_RSRC2:TRAP_HANDLER: 0
; COMPUTE_PGM_RSRC2:TGID_X_EN: 1
; COMPUTE_PGM_RSRC2:TGID_Y_EN: 1
; COMPUTE_PGM_RSRC2:TGID_Z_EN: 1
; COMPUTE_PGM_RSRC2:TIDIG_COMP_CNT: 0
; COMPUTE_PGM_RSRC3_GFX90A:ACCUM_OFFSET: 13
; COMPUTE_PGM_RSRC3_GFX90A:TG_SPLIT: 0
	.section	.text._Z39paged_attention_ll4mi_QKV_mfma16_kernelIDF16_hLN4vllm18Fp8KVCacheDataTypeE1EDF16_Li16ELi64ELi256ELb0ELi5EL8MFMAType1EEvPKT_PKT0_S8_ifPKiSA_SA_iPKfiiiPfSD_PS3_PT2_iSC_SC_,"axG",@progbits,_Z39paged_attention_ll4mi_QKV_mfma16_kernelIDF16_hLN4vllm18Fp8KVCacheDataTypeE1EDF16_Li16ELi64ELi256ELb0ELi5EL8MFMAType1EEvPKT_PKT0_S8_ifPKiSA_SA_iPKfiiiPfSD_PS3_PT2_iSC_SC_,comdat
	.protected	_Z39paged_attention_ll4mi_QKV_mfma16_kernelIDF16_hLN4vllm18Fp8KVCacheDataTypeE1EDF16_Li16ELi64ELi256ELb0ELi5EL8MFMAType1EEvPKT_PKT0_S8_ifPKiSA_SA_iPKfiiiPfSD_PS3_PT2_iSC_SC_ ; -- Begin function _Z39paged_attention_ll4mi_QKV_mfma16_kernelIDF16_hLN4vllm18Fp8KVCacheDataTypeE1EDF16_Li16ELi64ELi256ELb0ELi5EL8MFMAType1EEvPKT_PKT0_S8_ifPKiSA_SA_iPKfiiiPfSD_PS3_PT2_iSC_SC_
	.globl	_Z39paged_attention_ll4mi_QKV_mfma16_kernelIDF16_hLN4vllm18Fp8KVCacheDataTypeE1EDF16_Li16ELi64ELi256ELb0ELi5EL8MFMAType1EEvPKT_PKT0_S8_ifPKiSA_SA_iPKfiiiPfSD_PS3_PT2_iSC_SC_
	.p2align	8
	.type	_Z39paged_attention_ll4mi_QKV_mfma16_kernelIDF16_hLN4vllm18Fp8KVCacheDataTypeE1EDF16_Li16ELi64ELi256ELb0ELi5EL8MFMAType1EEvPKT_PKT0_S8_ifPKiSA_SA_iPKfiiiPfSD_PS3_PT2_iSC_SC_,@function
_Z39paged_attention_ll4mi_QKV_mfma16_kernelIDF16_hLN4vllm18Fp8KVCacheDataTypeE1EDF16_Li16ELi64ELi256ELb0ELi5EL8MFMAType1EEvPKT_PKT0_S8_ifPKiSA_SA_iPKfiiiPfSD_PS3_PT2_iSC_SC_: ; @_Z39paged_attention_ll4mi_QKV_mfma16_kernelIDF16_hLN4vllm18Fp8KVCacheDataTypeE1EDF16_Li16ELi64ELi256ELb0ELi5EL8MFMAType1EEvPKT_PKT0_S8_ifPKiSA_SA_iPKfiiiPfSD_PS3_PT2_iSC_SC_
; %bb.0:
	s_load_dwordx2 s[12:13], s[4:5], 0x30
	s_add_u32 flat_scratch_lo, s6, s11
	s_addc_u32 flat_scratch_hi, s7, 0
	s_add_u32 s0, s0, s11
	s_addc_u32 s1, s1, 0
	s_waitcnt lgkmcnt(0)
	s_cmp_lg_u64 s[12:13], 0
	s_cselect_b64 s[14:15], -1, 0
	s_mov_b32 s6, s9
	s_mov_b64 s[16:17], 0
	s_and_b64 vcc, exec, s[14:15]
	s_mov_b32 s32, 0
	s_cbranch_vccz .LBB410_11
; %bb.1:
	s_add_i32 s18, s8, 1
	s_mov_b32 s19, 0
	s_lshl_b64 s[20:21], s[18:19], 2
	s_add_u32 s20, s12, s20
	s_mov_b32 s9, s19
	s_addc_u32 s21, s13, s21
	s_lshl_b64 s[18:19], s[8:9], 2
	s_add_u32 s18, s12, s18
	s_addc_u32 s19, s13, s19
	s_load_dword s7, s[20:21], 0x0
	s_load_dword s11, s[18:19], 0x0
	s_waitcnt lgkmcnt(0)
	s_sub_i32 s7, s7, s11
	s_cmp_eq_u32 s7, 1
	s_cselect_b64 s[18:19], -1, 0
	s_andn2_b64 vcc, exec, s[16:17]
	s_cbranch_vccnz .LBB410_3
.LBB410_2:
	s_mov_b32 s9, 0
	s_mov_b64 s[18:19], -1
.LBB410_3:
	s_andn2_b64 vcc, exec, s[18:19]
	s_cbranch_vccnz .LBB410_10
; %bb.4:
	s_load_dwordx2 s[18:19], s[4:5], 0x28
	s_lshl_b64 s[16:17], s[8:9], 2
	s_waitcnt lgkmcnt(0)
	s_add_u32 s18, s18, s16
	s_addc_u32 s19, s19, s17
	s_load_dword s7, s[18:19], 0x0
	s_lshl_b32 s6, s6, 8
	s_waitcnt lgkmcnt(0)
	s_cmp_ge_i32 s6, s7
	s_cbranch_scc1 .LBB410_10
; %bb.5:
	s_andn2_b64 vcc, exec, s[14:15]
	s_cbranch_vccnz .LBB410_7
; %bb.6:
	s_add_u32 s6, s12, s16
	s_addc_u32 s7, s13, s17
	s_load_dword s8, s[6:7], 0x0
.LBB410_7:
	v_and_b32_e32 v1, 15, v0
	s_movk_i32 s6, 0x50
	v_cmp_gt_u32_e32 vcc, s6, v0
	v_cmp_gt_u32_e64 s[6:7], 8, v1
	s_and_b64 s[12:13], s[6:7], vcc
	s_and_saveexec_b64 s[6:7], s[12:13]
	s_cbranch_execz .LBB410_9
; %bb.8:
	s_load_dword s11, s[4:5], 0x48
	s_load_dwordx2 s[12:13], s[4:5], 0x0
	v_lshrrev_b32_e32 v6, 4, v0
	s_mul_i32 s10, s10, 5
	v_add_lshl_u32 v2, v6, s10, 6
	s_waitcnt lgkmcnt(0)
	s_ashr_i32 s9, s11, 31
	s_mul_hi_u32 s14, s8, s11
	s_mul_i32 s9, s8, s9
	s_add_i32 s9, s14, s9
	s_mul_i32 s8, s8, s11
	s_lshl_b64 s[8:9], s[8:9], 1
	s_add_u32 s8, s12, s8
	v_ashrrev_i32_e32 v3, 31, v2
	s_addc_u32 s9, s13, s9
	v_lshlrev_b64 v[2:3], 1, v[2:3]
	v_mov_b32_e32 v4, s9
	v_add_co_u32_e32 v2, vcc, s8, v2
	v_addc_co_u32_e32 v3, vcc, v4, v3, vcc
	v_lshlrev_b32_e32 v4, 4, v1
	v_add_co_u32_e32 v2, vcc, v2, v4
	v_addc_co_u32_e32 v3, vcc, 0, v3, vcc
	global_load_dwordx4 v[2:5], v[2:3], off
	v_lshlrev_b32_e32 v0, 4, v0
	v_lshlrev_b32_e32 v1, 8, v1
	v_and_b32_e32 v0, 16, v0
	v_lshlrev_b32_e32 v6, 5, v6
	v_and_b32_e32 v1, 0xe00, v1
	v_or3_b32 v0, v1, v6, v0
	s_waitcnt vmcnt(0)
	ds_write_b128 v0, v[2:5]
.LBB410_9:
	s_or_b64 exec, exec, s[6:7]
	s_waitcnt lgkmcnt(0)
	s_add_u32 s8, s4, 0x90
	s_addc_u32 s9, s5, 0
	s_getpc_b64 s[4:5]
	s_add_u32 s4, s4, __PRETTY_FUNCTION__._Z39paged_attention_ll4mi_QKV_mfma16_kernelIDF16_hLN4vllm18Fp8KVCacheDataTypeE1EDF16_Li16ELi64ELi256ELb0ELi5EL8MFMAType1EEvPKT_PKT0_S8_ifPKiSA_SA_iPKfiiiPfSD_PS3_PT2_iSC_SC_@rel32@lo+4
	s_addc_u32 s5, s5, __PRETTY_FUNCTION__._Z39paged_attention_ll4mi_QKV_mfma16_kernelIDF16_hLN4vllm18Fp8KVCacheDataTypeE1EDF16_Li16ELi64ELi256ELb0ELi5EL8MFMAType1EEvPKT_PKT0_S8_ifPKiSA_SA_iPKfiiiPfSD_PS3_PT2_iSC_SC_@rel32@hi+12
	v_mov_b32_e32 v0, 0x288
	v_mov_b32_e32 v1, s4
	;; [unrolled: 1-line block ×3, first 2 shown]
	s_barrier
	s_getpc_b64 s[6:7]
	s_add_u32 s6, s6, __assert_fail@rel32@lo+4
	s_addc_u32 s7, s7, __assert_fail@rel32@hi+12
	s_swappc_b64 s[30:31], s[6:7]
	; divergent unreachable
.LBB410_10:
	s_endpgm
.LBB410_11:
	s_mov_b64 s[18:19], 0
	s_branch .LBB410_2
	.section	.rodata,"a",@progbits
	.p2align	6, 0x0
	.amdhsa_kernel _Z39paged_attention_ll4mi_QKV_mfma16_kernelIDF16_hLN4vllm18Fp8KVCacheDataTypeE1EDF16_Li16ELi64ELi256ELb0ELi5EL8MFMAType1EEvPKT_PKT0_S8_ifPKiSA_SA_iPKfiiiPfSD_PS3_PT2_iSC_SC_
		.amdhsa_group_segment_fixed_size 8192
		.amdhsa_private_segment_fixed_size 64
		.amdhsa_kernarg_size 400
		.amdhsa_user_sgpr_count 8
		.amdhsa_user_sgpr_private_segment_buffer 1
		.amdhsa_user_sgpr_dispatch_ptr 0
		.amdhsa_user_sgpr_queue_ptr 0
		.amdhsa_user_sgpr_kernarg_segment_ptr 1
		.amdhsa_user_sgpr_dispatch_id 0
		.amdhsa_user_sgpr_flat_scratch_init 1
		.amdhsa_user_sgpr_kernarg_preload_length 0
		.amdhsa_user_sgpr_kernarg_preload_offset 0
		.amdhsa_user_sgpr_private_segment_size 0
		.amdhsa_uses_dynamic_stack 0
		.amdhsa_system_sgpr_private_segment_wavefront_offset 1
		.amdhsa_system_sgpr_workgroup_id_x 1
		.amdhsa_system_sgpr_workgroup_id_y 1
		.amdhsa_system_sgpr_workgroup_id_z 1
		.amdhsa_system_sgpr_workgroup_info 0
		.amdhsa_system_vgpr_workitem_id 0
		.amdhsa_next_free_vgpr 45
		.amdhsa_next_free_sgpr 34
		.amdhsa_accum_offset 44
		.amdhsa_reserve_vcc 1
		.amdhsa_reserve_flat_scratch 1
		.amdhsa_float_round_mode_32 0
		.amdhsa_float_round_mode_16_64 0
		.amdhsa_float_denorm_mode_32 3
		.amdhsa_float_denorm_mode_16_64 3
		.amdhsa_dx10_clamp 1
		.amdhsa_ieee_mode 1
		.amdhsa_fp16_overflow 0
		.amdhsa_tg_split 0
		.amdhsa_exception_fp_ieee_invalid_op 0
		.amdhsa_exception_fp_denorm_src 0
		.amdhsa_exception_fp_ieee_div_zero 0
		.amdhsa_exception_fp_ieee_overflow 0
		.amdhsa_exception_fp_ieee_underflow 0
		.amdhsa_exception_fp_ieee_inexact 0
		.amdhsa_exception_int_div_zero 0
	.end_amdhsa_kernel
	.section	.text._Z39paged_attention_ll4mi_QKV_mfma16_kernelIDF16_hLN4vllm18Fp8KVCacheDataTypeE1EDF16_Li16ELi64ELi256ELb0ELi5EL8MFMAType1EEvPKT_PKT0_S8_ifPKiSA_SA_iPKfiiiPfSD_PS3_PT2_iSC_SC_,"axG",@progbits,_Z39paged_attention_ll4mi_QKV_mfma16_kernelIDF16_hLN4vllm18Fp8KVCacheDataTypeE1EDF16_Li16ELi64ELi256ELb0ELi5EL8MFMAType1EEvPKT_PKT0_S8_ifPKiSA_SA_iPKfiiiPfSD_PS3_PT2_iSC_SC_,comdat
.Lfunc_end410:
	.size	_Z39paged_attention_ll4mi_QKV_mfma16_kernelIDF16_hLN4vllm18Fp8KVCacheDataTypeE1EDF16_Li16ELi64ELi256ELb0ELi5EL8MFMAType1EEvPKT_PKT0_S8_ifPKiSA_SA_iPKfiiiPfSD_PS3_PT2_iSC_SC_, .Lfunc_end410-_Z39paged_attention_ll4mi_QKV_mfma16_kernelIDF16_hLN4vllm18Fp8KVCacheDataTypeE1EDF16_Li16ELi64ELi256ELb0ELi5EL8MFMAType1EEvPKT_PKT0_S8_ifPKiSA_SA_iPKfiiiPfSD_PS3_PT2_iSC_SC_
                                        ; -- End function
	.section	.AMDGPU.csdata,"",@progbits
; Kernel info:
; codeLenInByte = 504
; NumSgprs: 40
; NumVgprs: 42
; NumAgprs: 1
; TotalNumVgprs: 45
; ScratchSize: 64
; MemoryBound: 0
; FloatMode: 240
; IeeeMode: 1
; LDSByteSize: 8192 bytes/workgroup (compile time only)
; SGPRBlocks: 4
; VGPRBlocks: 5
; NumSGPRsForWavesPerEU: 40
; NumVGPRsForWavesPerEU: 45
; AccumOffset: 44
; Occupancy: 8
; WaveLimiterHint : 1
; COMPUTE_PGM_RSRC2:SCRATCH_EN: 1
; COMPUTE_PGM_RSRC2:USER_SGPR: 8
; COMPUTE_PGM_RSRC2:TRAP_HANDLER: 0
; COMPUTE_PGM_RSRC2:TGID_X_EN: 1
; COMPUTE_PGM_RSRC2:TGID_Y_EN: 1
; COMPUTE_PGM_RSRC2:TGID_Z_EN: 1
; COMPUTE_PGM_RSRC2:TIDIG_COMP_CNT: 0
; COMPUTE_PGM_RSRC3_GFX90A:ACCUM_OFFSET: 10
; COMPUTE_PGM_RSRC3_GFX90A:TG_SPLIT: 0
	.section	.text._Z39paged_attention_ll4mi_QKV_mfma16_kernelIDF16_hLN4vllm18Fp8KVCacheDataTypeE1EDF16_Li16ELi64ELi256ELb0ELi6EL8MFMAType1EEvPKT_PKT0_S8_ifPKiSA_SA_iPKfiiiPfSD_PS3_PT2_iSC_SC_,"axG",@progbits,_Z39paged_attention_ll4mi_QKV_mfma16_kernelIDF16_hLN4vllm18Fp8KVCacheDataTypeE1EDF16_Li16ELi64ELi256ELb0ELi6EL8MFMAType1EEvPKT_PKT0_S8_ifPKiSA_SA_iPKfiiiPfSD_PS3_PT2_iSC_SC_,comdat
	.protected	_Z39paged_attention_ll4mi_QKV_mfma16_kernelIDF16_hLN4vllm18Fp8KVCacheDataTypeE1EDF16_Li16ELi64ELi256ELb0ELi6EL8MFMAType1EEvPKT_PKT0_S8_ifPKiSA_SA_iPKfiiiPfSD_PS3_PT2_iSC_SC_ ; -- Begin function _Z39paged_attention_ll4mi_QKV_mfma16_kernelIDF16_hLN4vllm18Fp8KVCacheDataTypeE1EDF16_Li16ELi64ELi256ELb0ELi6EL8MFMAType1EEvPKT_PKT0_S8_ifPKiSA_SA_iPKfiiiPfSD_PS3_PT2_iSC_SC_
	.globl	_Z39paged_attention_ll4mi_QKV_mfma16_kernelIDF16_hLN4vllm18Fp8KVCacheDataTypeE1EDF16_Li16ELi64ELi256ELb0ELi6EL8MFMAType1EEvPKT_PKT0_S8_ifPKiSA_SA_iPKfiiiPfSD_PS3_PT2_iSC_SC_
	.p2align	8
	.type	_Z39paged_attention_ll4mi_QKV_mfma16_kernelIDF16_hLN4vllm18Fp8KVCacheDataTypeE1EDF16_Li16ELi64ELi256ELb0ELi6EL8MFMAType1EEvPKT_PKT0_S8_ifPKiSA_SA_iPKfiiiPfSD_PS3_PT2_iSC_SC_,@function
_Z39paged_attention_ll4mi_QKV_mfma16_kernelIDF16_hLN4vllm18Fp8KVCacheDataTypeE1EDF16_Li16ELi64ELi256ELb0ELi6EL8MFMAType1EEvPKT_PKT0_S8_ifPKiSA_SA_iPKfiiiPfSD_PS3_PT2_iSC_SC_: ; @_Z39paged_attention_ll4mi_QKV_mfma16_kernelIDF16_hLN4vllm18Fp8KVCacheDataTypeE1EDF16_Li16ELi64ELi256ELb0ELi6EL8MFMAType1EEvPKT_PKT0_S8_ifPKiSA_SA_iPKfiiiPfSD_PS3_PT2_iSC_SC_
; %bb.0:
	s_load_dwordx2 s[12:13], s[4:5], 0x30
	s_add_u32 flat_scratch_lo, s6, s11
	s_addc_u32 flat_scratch_hi, s7, 0
	s_add_u32 s0, s0, s11
	s_addc_u32 s1, s1, 0
	s_waitcnt lgkmcnt(0)
	s_cmp_lg_u64 s[12:13], 0
	s_cselect_b64 s[14:15], -1, 0
	s_mov_b32 s6, s9
	s_mov_b64 s[16:17], 0
	s_and_b64 vcc, exec, s[14:15]
	s_mov_b32 s32, 0
	s_cbranch_vccz .LBB411_11
; %bb.1:
	s_add_i32 s18, s8, 1
	s_mov_b32 s19, 0
	s_lshl_b64 s[20:21], s[18:19], 2
	s_add_u32 s20, s12, s20
	s_mov_b32 s9, s19
	s_addc_u32 s21, s13, s21
	s_lshl_b64 s[18:19], s[8:9], 2
	s_add_u32 s18, s12, s18
	s_addc_u32 s19, s13, s19
	s_load_dword s7, s[20:21], 0x0
	s_load_dword s11, s[18:19], 0x0
	s_waitcnt lgkmcnt(0)
	s_sub_i32 s7, s7, s11
	s_cmp_eq_u32 s7, 1
	s_cselect_b64 s[18:19], -1, 0
	s_andn2_b64 vcc, exec, s[16:17]
	s_cbranch_vccnz .LBB411_3
.LBB411_2:
	s_mov_b32 s9, 0
	s_mov_b64 s[18:19], -1
.LBB411_3:
	s_andn2_b64 vcc, exec, s[18:19]
	s_cbranch_vccnz .LBB411_10
; %bb.4:
	s_load_dwordx2 s[18:19], s[4:5], 0x28
	s_lshl_b64 s[16:17], s[8:9], 2
	s_waitcnt lgkmcnt(0)
	s_add_u32 s18, s18, s16
	s_addc_u32 s19, s19, s17
	s_load_dword s7, s[18:19], 0x0
	s_lshl_b32 s6, s6, 8
	s_waitcnt lgkmcnt(0)
	s_cmp_ge_i32 s6, s7
	s_cbranch_scc1 .LBB411_10
; %bb.5:
	s_andn2_b64 vcc, exec, s[14:15]
	s_cbranch_vccnz .LBB411_7
; %bb.6:
	s_add_u32 s6, s12, s16
	s_addc_u32 s7, s13, s17
	s_load_dword s8, s[6:7], 0x0
.LBB411_7:
	v_and_b32_e32 v1, 15, v0
	s_movk_i32 s6, 0x60
	v_cmp_gt_u32_e32 vcc, s6, v0
	v_cmp_gt_u32_e64 s[6:7], 8, v1
	s_and_b64 s[12:13], s[6:7], vcc
	s_and_saveexec_b64 s[6:7], s[12:13]
	s_cbranch_execz .LBB411_9
; %bb.8:
	s_load_dword s11, s[4:5], 0x48
	s_load_dwordx2 s[12:13], s[4:5], 0x0
	v_lshrrev_b32_e32 v6, 4, v0
	s_mul_i32 s10, s10, 6
	v_add_lshl_u32 v2, v6, s10, 6
	s_waitcnt lgkmcnt(0)
	s_ashr_i32 s9, s11, 31
	s_mul_hi_u32 s14, s8, s11
	s_mul_i32 s9, s8, s9
	s_add_i32 s9, s14, s9
	s_mul_i32 s8, s8, s11
	s_lshl_b64 s[8:9], s[8:9], 1
	s_add_u32 s8, s12, s8
	v_ashrrev_i32_e32 v3, 31, v2
	s_addc_u32 s9, s13, s9
	v_lshlrev_b64 v[2:3], 1, v[2:3]
	v_mov_b32_e32 v4, s9
	v_add_co_u32_e32 v2, vcc, s8, v2
	v_addc_co_u32_e32 v3, vcc, v4, v3, vcc
	v_lshlrev_b32_e32 v4, 4, v1
	v_add_co_u32_e32 v2, vcc, v2, v4
	v_addc_co_u32_e32 v3, vcc, 0, v3, vcc
	global_load_dwordx4 v[2:5], v[2:3], off
	v_lshlrev_b32_e32 v0, 4, v0
	v_lshlrev_b32_e32 v1, 8, v1
	v_and_b32_e32 v0, 16, v0
	v_lshlrev_b32_e32 v6, 5, v6
	v_and_b32_e32 v1, 0xe00, v1
	v_or3_b32 v0, v1, v6, v0
	s_waitcnt vmcnt(0)
	ds_write_b128 v0, v[2:5]
.LBB411_9:
	s_or_b64 exec, exec, s[6:7]
	s_waitcnt lgkmcnt(0)
	s_add_u32 s8, s4, 0x90
	s_addc_u32 s9, s5, 0
	s_getpc_b64 s[4:5]
	s_add_u32 s4, s4, __PRETTY_FUNCTION__._Z39paged_attention_ll4mi_QKV_mfma16_kernelIDF16_hLN4vllm18Fp8KVCacheDataTypeE1EDF16_Li16ELi64ELi256ELb0ELi6EL8MFMAType1EEvPKT_PKT0_S8_ifPKiSA_SA_iPKfiiiPfSD_PS3_PT2_iSC_SC_@rel32@lo+4
	s_addc_u32 s5, s5, __PRETTY_FUNCTION__._Z39paged_attention_ll4mi_QKV_mfma16_kernelIDF16_hLN4vllm18Fp8KVCacheDataTypeE1EDF16_Li16ELi64ELi256ELb0ELi6EL8MFMAType1EEvPKT_PKT0_S8_ifPKiSA_SA_iPKfiiiPfSD_PS3_PT2_iSC_SC_@rel32@hi+12
	v_mov_b32_e32 v0, 0x288
	v_mov_b32_e32 v1, s4
	;; [unrolled: 1-line block ×3, first 2 shown]
	s_barrier
	s_getpc_b64 s[6:7]
	s_add_u32 s6, s6, __assert_fail@rel32@lo+4
	s_addc_u32 s7, s7, __assert_fail@rel32@hi+12
	s_swappc_b64 s[30:31], s[6:7]
	; divergent unreachable
.LBB411_10:
	s_endpgm
.LBB411_11:
	s_mov_b64 s[18:19], 0
	s_branch .LBB411_2
	.section	.rodata,"a",@progbits
	.p2align	6, 0x0
	.amdhsa_kernel _Z39paged_attention_ll4mi_QKV_mfma16_kernelIDF16_hLN4vllm18Fp8KVCacheDataTypeE1EDF16_Li16ELi64ELi256ELb0ELi6EL8MFMAType1EEvPKT_PKT0_S8_ifPKiSA_SA_iPKfiiiPfSD_PS3_PT2_iSC_SC_
		.amdhsa_group_segment_fixed_size 8192
		.amdhsa_private_segment_fixed_size 64
		.amdhsa_kernarg_size 400
		.amdhsa_user_sgpr_count 8
		.amdhsa_user_sgpr_private_segment_buffer 1
		.amdhsa_user_sgpr_dispatch_ptr 0
		.amdhsa_user_sgpr_queue_ptr 0
		.amdhsa_user_sgpr_kernarg_segment_ptr 1
		.amdhsa_user_sgpr_dispatch_id 0
		.amdhsa_user_sgpr_flat_scratch_init 1
		.amdhsa_user_sgpr_kernarg_preload_length 0
		.amdhsa_user_sgpr_kernarg_preload_offset 0
		.amdhsa_user_sgpr_private_segment_size 0
		.amdhsa_uses_dynamic_stack 0
		.amdhsa_system_sgpr_private_segment_wavefront_offset 1
		.amdhsa_system_sgpr_workgroup_id_x 1
		.amdhsa_system_sgpr_workgroup_id_y 1
		.amdhsa_system_sgpr_workgroup_id_z 1
		.amdhsa_system_sgpr_workgroup_info 0
		.amdhsa_system_vgpr_workitem_id 0
		.amdhsa_next_free_vgpr 45
		.amdhsa_next_free_sgpr 34
		.amdhsa_accum_offset 44
		.amdhsa_reserve_vcc 1
		.amdhsa_reserve_flat_scratch 1
		.amdhsa_float_round_mode_32 0
		.amdhsa_float_round_mode_16_64 0
		.amdhsa_float_denorm_mode_32 3
		.amdhsa_float_denorm_mode_16_64 3
		.amdhsa_dx10_clamp 1
		.amdhsa_ieee_mode 1
		.amdhsa_fp16_overflow 0
		.amdhsa_tg_split 0
		.amdhsa_exception_fp_ieee_invalid_op 0
		.amdhsa_exception_fp_denorm_src 0
		.amdhsa_exception_fp_ieee_div_zero 0
		.amdhsa_exception_fp_ieee_overflow 0
		.amdhsa_exception_fp_ieee_underflow 0
		.amdhsa_exception_fp_ieee_inexact 0
		.amdhsa_exception_int_div_zero 0
	.end_amdhsa_kernel
	.section	.text._Z39paged_attention_ll4mi_QKV_mfma16_kernelIDF16_hLN4vllm18Fp8KVCacheDataTypeE1EDF16_Li16ELi64ELi256ELb0ELi6EL8MFMAType1EEvPKT_PKT0_S8_ifPKiSA_SA_iPKfiiiPfSD_PS3_PT2_iSC_SC_,"axG",@progbits,_Z39paged_attention_ll4mi_QKV_mfma16_kernelIDF16_hLN4vllm18Fp8KVCacheDataTypeE1EDF16_Li16ELi64ELi256ELb0ELi6EL8MFMAType1EEvPKT_PKT0_S8_ifPKiSA_SA_iPKfiiiPfSD_PS3_PT2_iSC_SC_,comdat
.Lfunc_end411:
	.size	_Z39paged_attention_ll4mi_QKV_mfma16_kernelIDF16_hLN4vllm18Fp8KVCacheDataTypeE1EDF16_Li16ELi64ELi256ELb0ELi6EL8MFMAType1EEvPKT_PKT0_S8_ifPKiSA_SA_iPKfiiiPfSD_PS3_PT2_iSC_SC_, .Lfunc_end411-_Z39paged_attention_ll4mi_QKV_mfma16_kernelIDF16_hLN4vllm18Fp8KVCacheDataTypeE1EDF16_Li16ELi64ELi256ELb0ELi6EL8MFMAType1EEvPKT_PKT0_S8_ifPKiSA_SA_iPKfiiiPfSD_PS3_PT2_iSC_SC_
                                        ; -- End function
	.section	.AMDGPU.csdata,"",@progbits
; Kernel info:
; codeLenInByte = 504
; NumSgprs: 40
; NumVgprs: 42
; NumAgprs: 1
; TotalNumVgprs: 45
; ScratchSize: 64
; MemoryBound: 0
; FloatMode: 240
; IeeeMode: 1
; LDSByteSize: 8192 bytes/workgroup (compile time only)
; SGPRBlocks: 4
; VGPRBlocks: 5
; NumSGPRsForWavesPerEU: 40
; NumVGPRsForWavesPerEU: 45
; AccumOffset: 44
; Occupancy: 8
; WaveLimiterHint : 1
; COMPUTE_PGM_RSRC2:SCRATCH_EN: 1
; COMPUTE_PGM_RSRC2:USER_SGPR: 8
; COMPUTE_PGM_RSRC2:TRAP_HANDLER: 0
; COMPUTE_PGM_RSRC2:TGID_X_EN: 1
; COMPUTE_PGM_RSRC2:TGID_Y_EN: 1
; COMPUTE_PGM_RSRC2:TGID_Z_EN: 1
; COMPUTE_PGM_RSRC2:TIDIG_COMP_CNT: 0
; COMPUTE_PGM_RSRC3_GFX90A:ACCUM_OFFSET: 10
; COMPUTE_PGM_RSRC3_GFX90A:TG_SPLIT: 0
	.section	.text._Z39paged_attention_ll4mi_QKV_mfma16_kernelIDF16_hLN4vllm18Fp8KVCacheDataTypeE1EDF16_Li16ELi64ELi256ELb0ELi7EL8MFMAType1EEvPKT_PKT0_S8_ifPKiSA_SA_iPKfiiiPfSD_PS3_PT2_iSC_SC_,"axG",@progbits,_Z39paged_attention_ll4mi_QKV_mfma16_kernelIDF16_hLN4vllm18Fp8KVCacheDataTypeE1EDF16_Li16ELi64ELi256ELb0ELi7EL8MFMAType1EEvPKT_PKT0_S8_ifPKiSA_SA_iPKfiiiPfSD_PS3_PT2_iSC_SC_,comdat
	.protected	_Z39paged_attention_ll4mi_QKV_mfma16_kernelIDF16_hLN4vllm18Fp8KVCacheDataTypeE1EDF16_Li16ELi64ELi256ELb0ELi7EL8MFMAType1EEvPKT_PKT0_S8_ifPKiSA_SA_iPKfiiiPfSD_PS3_PT2_iSC_SC_ ; -- Begin function _Z39paged_attention_ll4mi_QKV_mfma16_kernelIDF16_hLN4vllm18Fp8KVCacheDataTypeE1EDF16_Li16ELi64ELi256ELb0ELi7EL8MFMAType1EEvPKT_PKT0_S8_ifPKiSA_SA_iPKfiiiPfSD_PS3_PT2_iSC_SC_
	.globl	_Z39paged_attention_ll4mi_QKV_mfma16_kernelIDF16_hLN4vllm18Fp8KVCacheDataTypeE1EDF16_Li16ELi64ELi256ELb0ELi7EL8MFMAType1EEvPKT_PKT0_S8_ifPKiSA_SA_iPKfiiiPfSD_PS3_PT2_iSC_SC_
	.p2align	8
	.type	_Z39paged_attention_ll4mi_QKV_mfma16_kernelIDF16_hLN4vllm18Fp8KVCacheDataTypeE1EDF16_Li16ELi64ELi256ELb0ELi7EL8MFMAType1EEvPKT_PKT0_S8_ifPKiSA_SA_iPKfiiiPfSD_PS3_PT2_iSC_SC_,@function
_Z39paged_attention_ll4mi_QKV_mfma16_kernelIDF16_hLN4vllm18Fp8KVCacheDataTypeE1EDF16_Li16ELi64ELi256ELb0ELi7EL8MFMAType1EEvPKT_PKT0_S8_ifPKiSA_SA_iPKfiiiPfSD_PS3_PT2_iSC_SC_: ; @_Z39paged_attention_ll4mi_QKV_mfma16_kernelIDF16_hLN4vllm18Fp8KVCacheDataTypeE1EDF16_Li16ELi64ELi256ELb0ELi7EL8MFMAType1EEvPKT_PKT0_S8_ifPKiSA_SA_iPKfiiiPfSD_PS3_PT2_iSC_SC_
; %bb.0:
	s_load_dwordx2 s[12:13], s[4:5], 0x30
	s_add_u32 flat_scratch_lo, s6, s11
	s_addc_u32 flat_scratch_hi, s7, 0
	s_add_u32 s0, s0, s11
	s_addc_u32 s1, s1, 0
	s_waitcnt lgkmcnt(0)
	s_cmp_lg_u64 s[12:13], 0
	s_cselect_b64 s[14:15], -1, 0
	s_mov_b32 s6, s9
	s_mov_b64 s[16:17], 0
	s_and_b64 vcc, exec, s[14:15]
	s_mov_b32 s32, 0
	s_cbranch_vccz .LBB412_11
; %bb.1:
	s_add_i32 s18, s8, 1
	s_mov_b32 s19, 0
	s_lshl_b64 s[20:21], s[18:19], 2
	s_add_u32 s20, s12, s20
	s_mov_b32 s9, s19
	s_addc_u32 s21, s13, s21
	s_lshl_b64 s[18:19], s[8:9], 2
	s_add_u32 s18, s12, s18
	s_addc_u32 s19, s13, s19
	s_load_dword s7, s[20:21], 0x0
	s_load_dword s11, s[18:19], 0x0
	s_waitcnt lgkmcnt(0)
	s_sub_i32 s7, s7, s11
	s_cmp_eq_u32 s7, 1
	s_cselect_b64 s[18:19], -1, 0
	s_andn2_b64 vcc, exec, s[16:17]
	s_cbranch_vccnz .LBB412_3
.LBB412_2:
	s_mov_b32 s9, 0
	s_mov_b64 s[18:19], -1
.LBB412_3:
	s_andn2_b64 vcc, exec, s[18:19]
	s_cbranch_vccnz .LBB412_10
; %bb.4:
	s_load_dwordx2 s[18:19], s[4:5], 0x28
	s_lshl_b64 s[16:17], s[8:9], 2
	s_waitcnt lgkmcnt(0)
	s_add_u32 s18, s18, s16
	s_addc_u32 s19, s19, s17
	s_load_dword s7, s[18:19], 0x0
	s_lshl_b32 s6, s6, 8
	s_waitcnt lgkmcnt(0)
	s_cmp_ge_i32 s6, s7
	s_cbranch_scc1 .LBB412_10
; %bb.5:
	s_andn2_b64 vcc, exec, s[14:15]
	s_cbranch_vccnz .LBB412_7
; %bb.6:
	s_add_u32 s6, s12, s16
	s_addc_u32 s7, s13, s17
	s_load_dword s8, s[6:7], 0x0
.LBB412_7:
	v_and_b32_e32 v1, 15, v0
	s_movk_i32 s6, 0x70
	v_cmp_gt_u32_e32 vcc, s6, v0
	v_cmp_gt_u32_e64 s[6:7], 8, v1
	s_and_b64 s[12:13], s[6:7], vcc
	s_and_saveexec_b64 s[6:7], s[12:13]
	s_cbranch_execz .LBB412_9
; %bb.8:
	s_load_dword s11, s[4:5], 0x48
	s_load_dwordx2 s[12:13], s[4:5], 0x0
	v_lshrrev_b32_e32 v6, 4, v0
	s_mul_i32 s10, s10, 7
	v_add_lshl_u32 v2, v6, s10, 6
	s_waitcnt lgkmcnt(0)
	s_ashr_i32 s9, s11, 31
	s_mul_hi_u32 s14, s8, s11
	s_mul_i32 s9, s8, s9
	s_add_i32 s9, s14, s9
	s_mul_i32 s8, s8, s11
	s_lshl_b64 s[8:9], s[8:9], 1
	s_add_u32 s8, s12, s8
	v_ashrrev_i32_e32 v3, 31, v2
	s_addc_u32 s9, s13, s9
	v_lshlrev_b64 v[2:3], 1, v[2:3]
	v_mov_b32_e32 v4, s9
	v_add_co_u32_e32 v2, vcc, s8, v2
	v_addc_co_u32_e32 v3, vcc, v4, v3, vcc
	v_lshlrev_b32_e32 v4, 4, v1
	v_add_co_u32_e32 v2, vcc, v2, v4
	v_addc_co_u32_e32 v3, vcc, 0, v3, vcc
	global_load_dwordx4 v[2:5], v[2:3], off
	v_lshlrev_b32_e32 v0, 4, v0
	v_lshlrev_b32_e32 v1, 8, v1
	v_and_b32_e32 v0, 16, v0
	v_lshlrev_b32_e32 v6, 5, v6
	v_and_b32_e32 v1, 0xe00, v1
	v_or3_b32 v0, v1, v6, v0
	s_waitcnt vmcnt(0)
	ds_write_b128 v0, v[2:5]
.LBB412_9:
	s_or_b64 exec, exec, s[6:7]
	s_waitcnt lgkmcnt(0)
	s_add_u32 s8, s4, 0x90
	s_addc_u32 s9, s5, 0
	s_getpc_b64 s[4:5]
	s_add_u32 s4, s4, __PRETTY_FUNCTION__._Z39paged_attention_ll4mi_QKV_mfma16_kernelIDF16_hLN4vllm18Fp8KVCacheDataTypeE1EDF16_Li16ELi64ELi256ELb0ELi7EL8MFMAType1EEvPKT_PKT0_S8_ifPKiSA_SA_iPKfiiiPfSD_PS3_PT2_iSC_SC_@rel32@lo+4
	s_addc_u32 s5, s5, __PRETTY_FUNCTION__._Z39paged_attention_ll4mi_QKV_mfma16_kernelIDF16_hLN4vllm18Fp8KVCacheDataTypeE1EDF16_Li16ELi64ELi256ELb0ELi7EL8MFMAType1EEvPKT_PKT0_S8_ifPKiSA_SA_iPKfiiiPfSD_PS3_PT2_iSC_SC_@rel32@hi+12
	v_mov_b32_e32 v0, 0x288
	v_mov_b32_e32 v1, s4
	;; [unrolled: 1-line block ×3, first 2 shown]
	s_barrier
	s_getpc_b64 s[6:7]
	s_add_u32 s6, s6, __assert_fail@rel32@lo+4
	s_addc_u32 s7, s7, __assert_fail@rel32@hi+12
	s_swappc_b64 s[30:31], s[6:7]
	; divergent unreachable
.LBB412_10:
	s_endpgm
.LBB412_11:
	s_mov_b64 s[18:19], 0
	s_branch .LBB412_2
	.section	.rodata,"a",@progbits
	.p2align	6, 0x0
	.amdhsa_kernel _Z39paged_attention_ll4mi_QKV_mfma16_kernelIDF16_hLN4vllm18Fp8KVCacheDataTypeE1EDF16_Li16ELi64ELi256ELb0ELi7EL8MFMAType1EEvPKT_PKT0_S8_ifPKiSA_SA_iPKfiiiPfSD_PS3_PT2_iSC_SC_
		.amdhsa_group_segment_fixed_size 8192
		.amdhsa_private_segment_fixed_size 64
		.amdhsa_kernarg_size 400
		.amdhsa_user_sgpr_count 8
		.amdhsa_user_sgpr_private_segment_buffer 1
		.amdhsa_user_sgpr_dispatch_ptr 0
		.amdhsa_user_sgpr_queue_ptr 0
		.amdhsa_user_sgpr_kernarg_segment_ptr 1
		.amdhsa_user_sgpr_dispatch_id 0
		.amdhsa_user_sgpr_flat_scratch_init 1
		.amdhsa_user_sgpr_kernarg_preload_length 0
		.amdhsa_user_sgpr_kernarg_preload_offset 0
		.amdhsa_user_sgpr_private_segment_size 0
		.amdhsa_uses_dynamic_stack 0
		.amdhsa_system_sgpr_private_segment_wavefront_offset 1
		.amdhsa_system_sgpr_workgroup_id_x 1
		.amdhsa_system_sgpr_workgroup_id_y 1
		.amdhsa_system_sgpr_workgroup_id_z 1
		.amdhsa_system_sgpr_workgroup_info 0
		.amdhsa_system_vgpr_workitem_id 0
		.amdhsa_next_free_vgpr 45
		.amdhsa_next_free_sgpr 34
		.amdhsa_accum_offset 44
		.amdhsa_reserve_vcc 1
		.amdhsa_reserve_flat_scratch 1
		.amdhsa_float_round_mode_32 0
		.amdhsa_float_round_mode_16_64 0
		.amdhsa_float_denorm_mode_32 3
		.amdhsa_float_denorm_mode_16_64 3
		.amdhsa_dx10_clamp 1
		.amdhsa_ieee_mode 1
		.amdhsa_fp16_overflow 0
		.amdhsa_tg_split 0
		.amdhsa_exception_fp_ieee_invalid_op 0
		.amdhsa_exception_fp_denorm_src 0
		.amdhsa_exception_fp_ieee_div_zero 0
		.amdhsa_exception_fp_ieee_overflow 0
		.amdhsa_exception_fp_ieee_underflow 0
		.amdhsa_exception_fp_ieee_inexact 0
		.amdhsa_exception_int_div_zero 0
	.end_amdhsa_kernel
	.section	.text._Z39paged_attention_ll4mi_QKV_mfma16_kernelIDF16_hLN4vllm18Fp8KVCacheDataTypeE1EDF16_Li16ELi64ELi256ELb0ELi7EL8MFMAType1EEvPKT_PKT0_S8_ifPKiSA_SA_iPKfiiiPfSD_PS3_PT2_iSC_SC_,"axG",@progbits,_Z39paged_attention_ll4mi_QKV_mfma16_kernelIDF16_hLN4vllm18Fp8KVCacheDataTypeE1EDF16_Li16ELi64ELi256ELb0ELi7EL8MFMAType1EEvPKT_PKT0_S8_ifPKiSA_SA_iPKfiiiPfSD_PS3_PT2_iSC_SC_,comdat
.Lfunc_end412:
	.size	_Z39paged_attention_ll4mi_QKV_mfma16_kernelIDF16_hLN4vllm18Fp8KVCacheDataTypeE1EDF16_Li16ELi64ELi256ELb0ELi7EL8MFMAType1EEvPKT_PKT0_S8_ifPKiSA_SA_iPKfiiiPfSD_PS3_PT2_iSC_SC_, .Lfunc_end412-_Z39paged_attention_ll4mi_QKV_mfma16_kernelIDF16_hLN4vllm18Fp8KVCacheDataTypeE1EDF16_Li16ELi64ELi256ELb0ELi7EL8MFMAType1EEvPKT_PKT0_S8_ifPKiSA_SA_iPKfiiiPfSD_PS3_PT2_iSC_SC_
                                        ; -- End function
	.section	.AMDGPU.csdata,"",@progbits
; Kernel info:
; codeLenInByte = 504
; NumSgprs: 40
; NumVgprs: 42
; NumAgprs: 1
; TotalNumVgprs: 45
; ScratchSize: 64
; MemoryBound: 0
; FloatMode: 240
; IeeeMode: 1
; LDSByteSize: 8192 bytes/workgroup (compile time only)
; SGPRBlocks: 4
; VGPRBlocks: 5
; NumSGPRsForWavesPerEU: 40
; NumVGPRsForWavesPerEU: 45
; AccumOffset: 44
; Occupancy: 8
; WaveLimiterHint : 1
; COMPUTE_PGM_RSRC2:SCRATCH_EN: 1
; COMPUTE_PGM_RSRC2:USER_SGPR: 8
; COMPUTE_PGM_RSRC2:TRAP_HANDLER: 0
; COMPUTE_PGM_RSRC2:TGID_X_EN: 1
; COMPUTE_PGM_RSRC2:TGID_Y_EN: 1
; COMPUTE_PGM_RSRC2:TGID_Z_EN: 1
; COMPUTE_PGM_RSRC2:TIDIG_COMP_CNT: 0
; COMPUTE_PGM_RSRC3_GFX90A:ACCUM_OFFSET: 10
; COMPUTE_PGM_RSRC3_GFX90A:TG_SPLIT: 0
	.section	.text._Z39paged_attention_ll4mi_QKV_mfma16_kernelIDF16_hLN4vllm18Fp8KVCacheDataTypeE1EDF16_Li16ELi64ELi256ELb0ELi8EL8MFMAType1EEvPKT_PKT0_S8_ifPKiSA_SA_iPKfiiiPfSD_PS3_PT2_iSC_SC_,"axG",@progbits,_Z39paged_attention_ll4mi_QKV_mfma16_kernelIDF16_hLN4vllm18Fp8KVCacheDataTypeE1EDF16_Li16ELi64ELi256ELb0ELi8EL8MFMAType1EEvPKT_PKT0_S8_ifPKiSA_SA_iPKfiiiPfSD_PS3_PT2_iSC_SC_,comdat
	.protected	_Z39paged_attention_ll4mi_QKV_mfma16_kernelIDF16_hLN4vllm18Fp8KVCacheDataTypeE1EDF16_Li16ELi64ELi256ELb0ELi8EL8MFMAType1EEvPKT_PKT0_S8_ifPKiSA_SA_iPKfiiiPfSD_PS3_PT2_iSC_SC_ ; -- Begin function _Z39paged_attention_ll4mi_QKV_mfma16_kernelIDF16_hLN4vllm18Fp8KVCacheDataTypeE1EDF16_Li16ELi64ELi256ELb0ELi8EL8MFMAType1EEvPKT_PKT0_S8_ifPKiSA_SA_iPKfiiiPfSD_PS3_PT2_iSC_SC_
	.globl	_Z39paged_attention_ll4mi_QKV_mfma16_kernelIDF16_hLN4vllm18Fp8KVCacheDataTypeE1EDF16_Li16ELi64ELi256ELb0ELi8EL8MFMAType1EEvPKT_PKT0_S8_ifPKiSA_SA_iPKfiiiPfSD_PS3_PT2_iSC_SC_
	.p2align	8
	.type	_Z39paged_attention_ll4mi_QKV_mfma16_kernelIDF16_hLN4vllm18Fp8KVCacheDataTypeE1EDF16_Li16ELi64ELi256ELb0ELi8EL8MFMAType1EEvPKT_PKT0_S8_ifPKiSA_SA_iPKfiiiPfSD_PS3_PT2_iSC_SC_,@function
_Z39paged_attention_ll4mi_QKV_mfma16_kernelIDF16_hLN4vllm18Fp8KVCacheDataTypeE1EDF16_Li16ELi64ELi256ELb0ELi8EL8MFMAType1EEvPKT_PKT0_S8_ifPKiSA_SA_iPKfiiiPfSD_PS3_PT2_iSC_SC_: ; @_Z39paged_attention_ll4mi_QKV_mfma16_kernelIDF16_hLN4vllm18Fp8KVCacheDataTypeE1EDF16_Li16ELi64ELi256ELb0ELi8EL8MFMAType1EEvPKT_PKT0_S8_ifPKiSA_SA_iPKfiiiPfSD_PS3_PT2_iSC_SC_
; %bb.0:
	s_load_dwordx2 s[12:13], s[4:5], 0x30
	s_add_u32 flat_scratch_lo, s6, s11
	s_addc_u32 flat_scratch_hi, s7, 0
	s_add_u32 s0, s0, s11
	s_addc_u32 s1, s1, 0
	s_waitcnt lgkmcnt(0)
	s_cmp_lg_u64 s[12:13], 0
	s_cselect_b64 s[14:15], -1, 0
	s_mov_b32 s6, s9
	s_mov_b64 s[16:17], 0
	s_and_b64 vcc, exec, s[14:15]
	s_mov_b32 s32, 0
	s_cbranch_vccz .LBB413_11
; %bb.1:
	s_add_i32 s18, s8, 1
	s_mov_b32 s19, 0
	s_lshl_b64 s[20:21], s[18:19], 2
	s_add_u32 s20, s12, s20
	s_mov_b32 s9, s19
	s_addc_u32 s21, s13, s21
	s_lshl_b64 s[18:19], s[8:9], 2
	s_add_u32 s18, s12, s18
	s_addc_u32 s19, s13, s19
	s_load_dword s7, s[20:21], 0x0
	s_load_dword s11, s[18:19], 0x0
	s_waitcnt lgkmcnt(0)
	s_sub_i32 s7, s7, s11
	s_cmp_eq_u32 s7, 1
	s_cselect_b64 s[18:19], -1, 0
	s_andn2_b64 vcc, exec, s[16:17]
	s_cbranch_vccnz .LBB413_3
.LBB413_2:
	s_mov_b32 s9, 0
	s_mov_b64 s[18:19], -1
.LBB413_3:
	s_andn2_b64 vcc, exec, s[18:19]
	s_cbranch_vccnz .LBB413_10
; %bb.4:
	s_load_dwordx2 s[18:19], s[4:5], 0x28
	s_lshl_b64 s[16:17], s[8:9], 2
	s_waitcnt lgkmcnt(0)
	s_add_u32 s18, s18, s16
	s_addc_u32 s19, s19, s17
	s_load_dword s7, s[18:19], 0x0
	s_lshl_b32 s6, s6, 8
	s_waitcnt lgkmcnt(0)
	s_cmp_ge_i32 s6, s7
	s_cbranch_scc1 .LBB413_10
; %bb.5:
	s_andn2_b64 vcc, exec, s[14:15]
	s_cbranch_vccnz .LBB413_7
; %bb.6:
	s_add_u32 s6, s12, s16
	s_addc_u32 s7, s13, s17
	s_load_dword s8, s[6:7], 0x0
.LBB413_7:
	v_and_b32_e32 v1, 15, v0
	s_movk_i32 s6, 0x80
	v_cmp_gt_u32_e32 vcc, s6, v0
	v_cmp_gt_u32_e64 s[6:7], 8, v1
	s_and_b64 s[12:13], vcc, s[6:7]
	s_and_saveexec_b64 s[6:7], s[12:13]
	s_cbranch_execz .LBB413_9
; %bb.8:
	s_load_dword s9, s[4:5], 0x48
	s_load_dwordx2 s[12:13], s[4:5], 0x0
	v_lshrrev_b32_e32 v6, 4, v0
	v_lshlrev_b32_e32 v0, 4, v0
	v_and_b32_e32 v0, 16, v0
	s_waitcnt lgkmcnt(0)
	s_ashr_i32 s11, s9, 31
	s_mul_hi_u32 s15, s8, s9
	s_mul_i32 s14, s8, s9
	s_mul_i32 s8, s8, s11
	s_add_i32 s15, s15, s8
	s_lshl_b64 s[8:9], s[14:15], 1
	s_add_u32 s8, s12, s8
	s_addc_u32 s9, s13, s9
	s_lshl_b32 s10, s10, 9
	v_lshl_or_b32 v2, v6, 6, s10
	v_ashrrev_i32_e32 v3, 31, v2
	v_lshlrev_b64 v[2:3], 1, v[2:3]
	v_mov_b32_e32 v4, s9
	v_add_co_u32_e32 v2, vcc, s8, v2
	v_addc_co_u32_e32 v3, vcc, v4, v3, vcc
	v_lshlrev_b32_e32 v4, 4, v1
	v_add_co_u32_e32 v2, vcc, v2, v4
	v_addc_co_u32_e32 v3, vcc, 0, v3, vcc
	global_load_dwordx4 v[2:5], v[2:3], off
	v_lshlrev_b32_e32 v1, 8, v1
	v_lshlrev_b32_e32 v6, 5, v6
	v_and_b32_e32 v1, 0xe00, v1
	v_or3_b32 v0, v1, v6, v0
	s_waitcnt vmcnt(0)
	ds_write_b128 v0, v[2:5]
.LBB413_9:
	s_or_b64 exec, exec, s[6:7]
	s_waitcnt lgkmcnt(0)
	s_add_u32 s8, s4, 0x90
	s_addc_u32 s9, s5, 0
	s_getpc_b64 s[4:5]
	s_add_u32 s4, s4, __PRETTY_FUNCTION__._Z39paged_attention_ll4mi_QKV_mfma16_kernelIDF16_hLN4vllm18Fp8KVCacheDataTypeE1EDF16_Li16ELi64ELi256ELb0ELi8EL8MFMAType1EEvPKT_PKT0_S8_ifPKiSA_SA_iPKfiiiPfSD_PS3_PT2_iSC_SC_@rel32@lo+4
	s_addc_u32 s5, s5, __PRETTY_FUNCTION__._Z39paged_attention_ll4mi_QKV_mfma16_kernelIDF16_hLN4vllm18Fp8KVCacheDataTypeE1EDF16_Li16ELi64ELi256ELb0ELi8EL8MFMAType1EEvPKT_PKT0_S8_ifPKiSA_SA_iPKfiiiPfSD_PS3_PT2_iSC_SC_@rel32@hi+12
	v_mov_b32_e32 v0, 0x288
	v_mov_b32_e32 v1, s4
	;; [unrolled: 1-line block ×3, first 2 shown]
	s_barrier
	s_getpc_b64 s[6:7]
	s_add_u32 s6, s6, __assert_fail@rel32@lo+4
	s_addc_u32 s7, s7, __assert_fail@rel32@hi+12
	s_swappc_b64 s[30:31], s[6:7]
	; divergent unreachable
.LBB413_10:
	s_endpgm
.LBB413_11:
	s_mov_b64 s[18:19], 0
	s_branch .LBB413_2
	.section	.rodata,"a",@progbits
	.p2align	6, 0x0
	.amdhsa_kernel _Z39paged_attention_ll4mi_QKV_mfma16_kernelIDF16_hLN4vllm18Fp8KVCacheDataTypeE1EDF16_Li16ELi64ELi256ELb0ELi8EL8MFMAType1EEvPKT_PKT0_S8_ifPKiSA_SA_iPKfiiiPfSD_PS3_PT2_iSC_SC_
		.amdhsa_group_segment_fixed_size 8192
		.amdhsa_private_segment_fixed_size 64
		.amdhsa_kernarg_size 400
		.amdhsa_user_sgpr_count 8
		.amdhsa_user_sgpr_private_segment_buffer 1
		.amdhsa_user_sgpr_dispatch_ptr 0
		.amdhsa_user_sgpr_queue_ptr 0
		.amdhsa_user_sgpr_kernarg_segment_ptr 1
		.amdhsa_user_sgpr_dispatch_id 0
		.amdhsa_user_sgpr_flat_scratch_init 1
		.amdhsa_user_sgpr_kernarg_preload_length 0
		.amdhsa_user_sgpr_kernarg_preload_offset 0
		.amdhsa_user_sgpr_private_segment_size 0
		.amdhsa_uses_dynamic_stack 0
		.amdhsa_system_sgpr_private_segment_wavefront_offset 1
		.amdhsa_system_sgpr_workgroup_id_x 1
		.amdhsa_system_sgpr_workgroup_id_y 1
		.amdhsa_system_sgpr_workgroup_id_z 1
		.amdhsa_system_sgpr_workgroup_info 0
		.amdhsa_system_vgpr_workitem_id 0
		.amdhsa_next_free_vgpr 45
		.amdhsa_next_free_sgpr 34
		.amdhsa_accum_offset 44
		.amdhsa_reserve_vcc 1
		.amdhsa_reserve_flat_scratch 1
		.amdhsa_float_round_mode_32 0
		.amdhsa_float_round_mode_16_64 0
		.amdhsa_float_denorm_mode_32 3
		.amdhsa_float_denorm_mode_16_64 3
		.amdhsa_dx10_clamp 1
		.amdhsa_ieee_mode 1
		.amdhsa_fp16_overflow 0
		.amdhsa_tg_split 0
		.amdhsa_exception_fp_ieee_invalid_op 0
		.amdhsa_exception_fp_denorm_src 0
		.amdhsa_exception_fp_ieee_div_zero 0
		.amdhsa_exception_fp_ieee_overflow 0
		.amdhsa_exception_fp_ieee_underflow 0
		.amdhsa_exception_fp_ieee_inexact 0
		.amdhsa_exception_int_div_zero 0
	.end_amdhsa_kernel
	.section	.text._Z39paged_attention_ll4mi_QKV_mfma16_kernelIDF16_hLN4vllm18Fp8KVCacheDataTypeE1EDF16_Li16ELi64ELi256ELb0ELi8EL8MFMAType1EEvPKT_PKT0_S8_ifPKiSA_SA_iPKfiiiPfSD_PS3_PT2_iSC_SC_,"axG",@progbits,_Z39paged_attention_ll4mi_QKV_mfma16_kernelIDF16_hLN4vllm18Fp8KVCacheDataTypeE1EDF16_Li16ELi64ELi256ELb0ELi8EL8MFMAType1EEvPKT_PKT0_S8_ifPKiSA_SA_iPKfiiiPfSD_PS3_PT2_iSC_SC_,comdat
.Lfunc_end413:
	.size	_Z39paged_attention_ll4mi_QKV_mfma16_kernelIDF16_hLN4vllm18Fp8KVCacheDataTypeE1EDF16_Li16ELi64ELi256ELb0ELi8EL8MFMAType1EEvPKT_PKT0_S8_ifPKiSA_SA_iPKfiiiPfSD_PS3_PT2_iSC_SC_, .Lfunc_end413-_Z39paged_attention_ll4mi_QKV_mfma16_kernelIDF16_hLN4vllm18Fp8KVCacheDataTypeE1EDF16_Li16ELi64ELi256ELb0ELi8EL8MFMAType1EEvPKT_PKT0_S8_ifPKiSA_SA_iPKfiiiPfSD_PS3_PT2_iSC_SC_
                                        ; -- End function
	.section	.AMDGPU.csdata,"",@progbits
; Kernel info:
; codeLenInByte = 504
; NumSgprs: 40
; NumVgprs: 42
; NumAgprs: 1
; TotalNumVgprs: 45
; ScratchSize: 64
; MemoryBound: 0
; FloatMode: 240
; IeeeMode: 1
; LDSByteSize: 8192 bytes/workgroup (compile time only)
; SGPRBlocks: 4
; VGPRBlocks: 5
; NumSGPRsForWavesPerEU: 40
; NumVGPRsForWavesPerEU: 45
; AccumOffset: 44
; Occupancy: 8
; WaveLimiterHint : 1
; COMPUTE_PGM_RSRC2:SCRATCH_EN: 1
; COMPUTE_PGM_RSRC2:USER_SGPR: 8
; COMPUTE_PGM_RSRC2:TRAP_HANDLER: 0
; COMPUTE_PGM_RSRC2:TGID_X_EN: 1
; COMPUTE_PGM_RSRC2:TGID_Y_EN: 1
; COMPUTE_PGM_RSRC2:TGID_Z_EN: 1
; COMPUTE_PGM_RSRC2:TIDIG_COMP_CNT: 0
; COMPUTE_PGM_RSRC3_GFX90A:ACCUM_OFFSET: 10
; COMPUTE_PGM_RSRC3_GFX90A:TG_SPLIT: 0
	.section	.text._Z39paged_attention_ll4mi_QKV_mfma16_kernelIDF16_hLN4vllm18Fp8KVCacheDataTypeE1EDF16_Li16ELi64ELi256ELb0ELi9EL8MFMAType1EEvPKT_PKT0_S8_ifPKiSA_SA_iPKfiiiPfSD_PS3_PT2_iSC_SC_,"axG",@progbits,_Z39paged_attention_ll4mi_QKV_mfma16_kernelIDF16_hLN4vllm18Fp8KVCacheDataTypeE1EDF16_Li16ELi64ELi256ELb0ELi9EL8MFMAType1EEvPKT_PKT0_S8_ifPKiSA_SA_iPKfiiiPfSD_PS3_PT2_iSC_SC_,comdat
	.protected	_Z39paged_attention_ll4mi_QKV_mfma16_kernelIDF16_hLN4vllm18Fp8KVCacheDataTypeE1EDF16_Li16ELi64ELi256ELb0ELi9EL8MFMAType1EEvPKT_PKT0_S8_ifPKiSA_SA_iPKfiiiPfSD_PS3_PT2_iSC_SC_ ; -- Begin function _Z39paged_attention_ll4mi_QKV_mfma16_kernelIDF16_hLN4vllm18Fp8KVCacheDataTypeE1EDF16_Li16ELi64ELi256ELb0ELi9EL8MFMAType1EEvPKT_PKT0_S8_ifPKiSA_SA_iPKfiiiPfSD_PS3_PT2_iSC_SC_
	.globl	_Z39paged_attention_ll4mi_QKV_mfma16_kernelIDF16_hLN4vllm18Fp8KVCacheDataTypeE1EDF16_Li16ELi64ELi256ELb0ELi9EL8MFMAType1EEvPKT_PKT0_S8_ifPKiSA_SA_iPKfiiiPfSD_PS3_PT2_iSC_SC_
	.p2align	8
	.type	_Z39paged_attention_ll4mi_QKV_mfma16_kernelIDF16_hLN4vllm18Fp8KVCacheDataTypeE1EDF16_Li16ELi64ELi256ELb0ELi9EL8MFMAType1EEvPKT_PKT0_S8_ifPKiSA_SA_iPKfiiiPfSD_PS3_PT2_iSC_SC_,@function
_Z39paged_attention_ll4mi_QKV_mfma16_kernelIDF16_hLN4vllm18Fp8KVCacheDataTypeE1EDF16_Li16ELi64ELi256ELb0ELi9EL8MFMAType1EEvPKT_PKT0_S8_ifPKiSA_SA_iPKfiiiPfSD_PS3_PT2_iSC_SC_: ; @_Z39paged_attention_ll4mi_QKV_mfma16_kernelIDF16_hLN4vllm18Fp8KVCacheDataTypeE1EDF16_Li16ELi64ELi256ELb0ELi9EL8MFMAType1EEvPKT_PKT0_S8_ifPKiSA_SA_iPKfiiiPfSD_PS3_PT2_iSC_SC_
; %bb.0:
	s_load_dwordx2 s[12:13], s[4:5], 0x30
	s_add_u32 flat_scratch_lo, s6, s11
	s_addc_u32 flat_scratch_hi, s7, 0
	s_add_u32 s0, s0, s11
	s_addc_u32 s1, s1, 0
	s_waitcnt lgkmcnt(0)
	s_cmp_lg_u64 s[12:13], 0
	s_cselect_b64 s[14:15], -1, 0
	s_mov_b32 s6, s9
	s_mov_b64 s[16:17], 0
	s_and_b64 vcc, exec, s[14:15]
	s_mov_b32 s32, 0
	s_cbranch_vccz .LBB414_11
; %bb.1:
	s_add_i32 s18, s8, 1
	s_mov_b32 s19, 0
	s_lshl_b64 s[20:21], s[18:19], 2
	s_add_u32 s20, s12, s20
	s_mov_b32 s9, s19
	s_addc_u32 s21, s13, s21
	s_lshl_b64 s[18:19], s[8:9], 2
	s_add_u32 s18, s12, s18
	s_addc_u32 s19, s13, s19
	s_load_dword s7, s[20:21], 0x0
	s_load_dword s11, s[18:19], 0x0
	s_waitcnt lgkmcnt(0)
	s_sub_i32 s7, s7, s11
	s_cmp_eq_u32 s7, 1
	s_cselect_b64 s[18:19], -1, 0
	s_andn2_b64 vcc, exec, s[16:17]
	s_cbranch_vccnz .LBB414_3
.LBB414_2:
	s_mov_b32 s9, 0
	s_mov_b64 s[18:19], -1
.LBB414_3:
	s_andn2_b64 vcc, exec, s[18:19]
	s_cbranch_vccnz .LBB414_10
; %bb.4:
	s_load_dwordx2 s[18:19], s[4:5], 0x28
	s_lshl_b64 s[16:17], s[8:9], 2
	s_waitcnt lgkmcnt(0)
	s_add_u32 s18, s18, s16
	s_addc_u32 s19, s19, s17
	s_load_dword s7, s[18:19], 0x0
	s_lshl_b32 s6, s6, 8
	s_waitcnt lgkmcnt(0)
	s_cmp_ge_i32 s6, s7
	s_cbranch_scc1 .LBB414_10
; %bb.5:
	s_andn2_b64 vcc, exec, s[14:15]
	s_cbranch_vccnz .LBB414_7
; %bb.6:
	s_add_u32 s6, s12, s16
	s_addc_u32 s7, s13, s17
	s_load_dword s8, s[6:7], 0x0
.LBB414_7:
	v_and_b32_e32 v1, 15, v0
	s_movk_i32 s6, 0x90
	v_cmp_gt_u32_e32 vcc, s6, v0
	v_cmp_gt_u32_e64 s[6:7], 8, v1
	s_and_b64 s[12:13], s[6:7], vcc
	s_and_saveexec_b64 s[6:7], s[12:13]
	s_cbranch_execz .LBB414_9
; %bb.8:
	s_load_dword s11, s[4:5], 0x48
	s_load_dwordx2 s[12:13], s[4:5], 0x0
	v_lshrrev_b32_e32 v6, 4, v0
	s_mul_i32 s10, s10, 9
	v_add_lshl_u32 v2, v6, s10, 6
	s_waitcnt lgkmcnt(0)
	s_ashr_i32 s9, s11, 31
	s_mul_hi_u32 s14, s8, s11
	s_mul_i32 s9, s8, s9
	s_add_i32 s9, s14, s9
	s_mul_i32 s8, s8, s11
	s_lshl_b64 s[8:9], s[8:9], 1
	s_add_u32 s8, s12, s8
	v_ashrrev_i32_e32 v3, 31, v2
	s_addc_u32 s9, s13, s9
	v_lshlrev_b64 v[2:3], 1, v[2:3]
	v_mov_b32_e32 v4, s9
	v_add_co_u32_e32 v2, vcc, s8, v2
	v_addc_co_u32_e32 v3, vcc, v4, v3, vcc
	v_lshlrev_b32_e32 v4, 4, v1
	v_add_co_u32_e32 v2, vcc, v2, v4
	v_addc_co_u32_e32 v3, vcc, 0, v3, vcc
	global_load_dwordx4 v[2:5], v[2:3], off
	v_lshlrev_b32_e32 v0, 4, v0
	v_lshlrev_b32_e32 v1, 8, v1
	v_and_b32_e32 v0, 16, v0
	v_lshlrev_b32_e32 v6, 5, v6
	v_and_b32_e32 v1, 0xe00, v1
	v_or3_b32 v0, v1, v6, v0
	s_waitcnt vmcnt(0)
	ds_write_b128 v0, v[2:5]
.LBB414_9:
	s_or_b64 exec, exec, s[6:7]
	s_waitcnt lgkmcnt(0)
	s_add_u32 s8, s4, 0x90
	s_addc_u32 s9, s5, 0
	s_getpc_b64 s[4:5]
	s_add_u32 s4, s4, __PRETTY_FUNCTION__._Z39paged_attention_ll4mi_QKV_mfma16_kernelIDF16_hLN4vllm18Fp8KVCacheDataTypeE1EDF16_Li16ELi64ELi256ELb0ELi9EL8MFMAType1EEvPKT_PKT0_S8_ifPKiSA_SA_iPKfiiiPfSD_PS3_PT2_iSC_SC_@rel32@lo+4
	s_addc_u32 s5, s5, __PRETTY_FUNCTION__._Z39paged_attention_ll4mi_QKV_mfma16_kernelIDF16_hLN4vllm18Fp8KVCacheDataTypeE1EDF16_Li16ELi64ELi256ELb0ELi9EL8MFMAType1EEvPKT_PKT0_S8_ifPKiSA_SA_iPKfiiiPfSD_PS3_PT2_iSC_SC_@rel32@hi+12
	v_mov_b32_e32 v0, 0x288
	v_mov_b32_e32 v1, s4
	;; [unrolled: 1-line block ×3, first 2 shown]
	s_barrier
	s_getpc_b64 s[6:7]
	s_add_u32 s6, s6, __assert_fail@rel32@lo+4
	s_addc_u32 s7, s7, __assert_fail@rel32@hi+12
	s_swappc_b64 s[30:31], s[6:7]
	; divergent unreachable
.LBB414_10:
	s_endpgm
.LBB414_11:
	s_mov_b64 s[18:19], 0
	s_branch .LBB414_2
	.section	.rodata,"a",@progbits
	.p2align	6, 0x0
	.amdhsa_kernel _Z39paged_attention_ll4mi_QKV_mfma16_kernelIDF16_hLN4vllm18Fp8KVCacheDataTypeE1EDF16_Li16ELi64ELi256ELb0ELi9EL8MFMAType1EEvPKT_PKT0_S8_ifPKiSA_SA_iPKfiiiPfSD_PS3_PT2_iSC_SC_
		.amdhsa_group_segment_fixed_size 8192
		.amdhsa_private_segment_fixed_size 64
		.amdhsa_kernarg_size 400
		.amdhsa_user_sgpr_count 8
		.amdhsa_user_sgpr_private_segment_buffer 1
		.amdhsa_user_sgpr_dispatch_ptr 0
		.amdhsa_user_sgpr_queue_ptr 0
		.amdhsa_user_sgpr_kernarg_segment_ptr 1
		.amdhsa_user_sgpr_dispatch_id 0
		.amdhsa_user_sgpr_flat_scratch_init 1
		.amdhsa_user_sgpr_kernarg_preload_length 0
		.amdhsa_user_sgpr_kernarg_preload_offset 0
		.amdhsa_user_sgpr_private_segment_size 0
		.amdhsa_uses_dynamic_stack 0
		.amdhsa_system_sgpr_private_segment_wavefront_offset 1
		.amdhsa_system_sgpr_workgroup_id_x 1
		.amdhsa_system_sgpr_workgroup_id_y 1
		.amdhsa_system_sgpr_workgroup_id_z 1
		.amdhsa_system_sgpr_workgroup_info 0
		.amdhsa_system_vgpr_workitem_id 0
		.amdhsa_next_free_vgpr 45
		.amdhsa_next_free_sgpr 34
		.amdhsa_accum_offset 44
		.amdhsa_reserve_vcc 1
		.amdhsa_reserve_flat_scratch 1
		.amdhsa_float_round_mode_32 0
		.amdhsa_float_round_mode_16_64 0
		.amdhsa_float_denorm_mode_32 3
		.amdhsa_float_denorm_mode_16_64 3
		.amdhsa_dx10_clamp 1
		.amdhsa_ieee_mode 1
		.amdhsa_fp16_overflow 0
		.amdhsa_tg_split 0
		.amdhsa_exception_fp_ieee_invalid_op 0
		.amdhsa_exception_fp_denorm_src 0
		.amdhsa_exception_fp_ieee_div_zero 0
		.amdhsa_exception_fp_ieee_overflow 0
		.amdhsa_exception_fp_ieee_underflow 0
		.amdhsa_exception_fp_ieee_inexact 0
		.amdhsa_exception_int_div_zero 0
	.end_amdhsa_kernel
	.section	.text._Z39paged_attention_ll4mi_QKV_mfma16_kernelIDF16_hLN4vllm18Fp8KVCacheDataTypeE1EDF16_Li16ELi64ELi256ELb0ELi9EL8MFMAType1EEvPKT_PKT0_S8_ifPKiSA_SA_iPKfiiiPfSD_PS3_PT2_iSC_SC_,"axG",@progbits,_Z39paged_attention_ll4mi_QKV_mfma16_kernelIDF16_hLN4vllm18Fp8KVCacheDataTypeE1EDF16_Li16ELi64ELi256ELb0ELi9EL8MFMAType1EEvPKT_PKT0_S8_ifPKiSA_SA_iPKfiiiPfSD_PS3_PT2_iSC_SC_,comdat
.Lfunc_end414:
	.size	_Z39paged_attention_ll4mi_QKV_mfma16_kernelIDF16_hLN4vllm18Fp8KVCacheDataTypeE1EDF16_Li16ELi64ELi256ELb0ELi9EL8MFMAType1EEvPKT_PKT0_S8_ifPKiSA_SA_iPKfiiiPfSD_PS3_PT2_iSC_SC_, .Lfunc_end414-_Z39paged_attention_ll4mi_QKV_mfma16_kernelIDF16_hLN4vllm18Fp8KVCacheDataTypeE1EDF16_Li16ELi64ELi256ELb0ELi9EL8MFMAType1EEvPKT_PKT0_S8_ifPKiSA_SA_iPKfiiiPfSD_PS3_PT2_iSC_SC_
                                        ; -- End function
	.section	.AMDGPU.csdata,"",@progbits
; Kernel info:
; codeLenInByte = 504
; NumSgprs: 40
; NumVgprs: 42
; NumAgprs: 1
; TotalNumVgprs: 45
; ScratchSize: 64
; MemoryBound: 0
; FloatMode: 240
; IeeeMode: 1
; LDSByteSize: 8192 bytes/workgroup (compile time only)
; SGPRBlocks: 4
; VGPRBlocks: 5
; NumSGPRsForWavesPerEU: 40
; NumVGPRsForWavesPerEU: 45
; AccumOffset: 44
; Occupancy: 8
; WaveLimiterHint : 1
; COMPUTE_PGM_RSRC2:SCRATCH_EN: 1
; COMPUTE_PGM_RSRC2:USER_SGPR: 8
; COMPUTE_PGM_RSRC2:TRAP_HANDLER: 0
; COMPUTE_PGM_RSRC2:TGID_X_EN: 1
; COMPUTE_PGM_RSRC2:TGID_Y_EN: 1
; COMPUTE_PGM_RSRC2:TGID_Z_EN: 1
; COMPUTE_PGM_RSRC2:TIDIG_COMP_CNT: 0
; COMPUTE_PGM_RSRC3_GFX90A:ACCUM_OFFSET: 10
; COMPUTE_PGM_RSRC3_GFX90A:TG_SPLIT: 0
	.section	.text._Z39paged_attention_ll4mi_QKV_mfma16_kernelIDF16_hLN4vllm18Fp8KVCacheDataTypeE1EDF16_Li16ELi64ELi256ELb0ELi10EL8MFMAType1EEvPKT_PKT0_S8_ifPKiSA_SA_iPKfiiiPfSD_PS3_PT2_iSC_SC_,"axG",@progbits,_Z39paged_attention_ll4mi_QKV_mfma16_kernelIDF16_hLN4vllm18Fp8KVCacheDataTypeE1EDF16_Li16ELi64ELi256ELb0ELi10EL8MFMAType1EEvPKT_PKT0_S8_ifPKiSA_SA_iPKfiiiPfSD_PS3_PT2_iSC_SC_,comdat
	.protected	_Z39paged_attention_ll4mi_QKV_mfma16_kernelIDF16_hLN4vllm18Fp8KVCacheDataTypeE1EDF16_Li16ELi64ELi256ELb0ELi10EL8MFMAType1EEvPKT_PKT0_S8_ifPKiSA_SA_iPKfiiiPfSD_PS3_PT2_iSC_SC_ ; -- Begin function _Z39paged_attention_ll4mi_QKV_mfma16_kernelIDF16_hLN4vllm18Fp8KVCacheDataTypeE1EDF16_Li16ELi64ELi256ELb0ELi10EL8MFMAType1EEvPKT_PKT0_S8_ifPKiSA_SA_iPKfiiiPfSD_PS3_PT2_iSC_SC_
	.globl	_Z39paged_attention_ll4mi_QKV_mfma16_kernelIDF16_hLN4vllm18Fp8KVCacheDataTypeE1EDF16_Li16ELi64ELi256ELb0ELi10EL8MFMAType1EEvPKT_PKT0_S8_ifPKiSA_SA_iPKfiiiPfSD_PS3_PT2_iSC_SC_
	.p2align	8
	.type	_Z39paged_attention_ll4mi_QKV_mfma16_kernelIDF16_hLN4vllm18Fp8KVCacheDataTypeE1EDF16_Li16ELi64ELi256ELb0ELi10EL8MFMAType1EEvPKT_PKT0_S8_ifPKiSA_SA_iPKfiiiPfSD_PS3_PT2_iSC_SC_,@function
_Z39paged_attention_ll4mi_QKV_mfma16_kernelIDF16_hLN4vllm18Fp8KVCacheDataTypeE1EDF16_Li16ELi64ELi256ELb0ELi10EL8MFMAType1EEvPKT_PKT0_S8_ifPKiSA_SA_iPKfiiiPfSD_PS3_PT2_iSC_SC_: ; @_Z39paged_attention_ll4mi_QKV_mfma16_kernelIDF16_hLN4vllm18Fp8KVCacheDataTypeE1EDF16_Li16ELi64ELi256ELb0ELi10EL8MFMAType1EEvPKT_PKT0_S8_ifPKiSA_SA_iPKfiiiPfSD_PS3_PT2_iSC_SC_
; %bb.0:
	s_load_dwordx2 s[12:13], s[4:5], 0x30
	s_add_u32 flat_scratch_lo, s6, s11
	s_addc_u32 flat_scratch_hi, s7, 0
	s_add_u32 s0, s0, s11
	s_addc_u32 s1, s1, 0
	s_waitcnt lgkmcnt(0)
	s_cmp_lg_u64 s[12:13], 0
	s_cselect_b64 s[14:15], -1, 0
	s_mov_b32 s6, s9
	s_mov_b64 s[16:17], 0
	s_and_b64 vcc, exec, s[14:15]
	s_mov_b32 s32, 0
	s_cbranch_vccz .LBB415_11
; %bb.1:
	s_add_i32 s18, s8, 1
	s_mov_b32 s19, 0
	s_lshl_b64 s[20:21], s[18:19], 2
	s_add_u32 s20, s12, s20
	s_mov_b32 s9, s19
	s_addc_u32 s21, s13, s21
	s_lshl_b64 s[18:19], s[8:9], 2
	s_add_u32 s18, s12, s18
	s_addc_u32 s19, s13, s19
	s_load_dword s7, s[20:21], 0x0
	s_load_dword s11, s[18:19], 0x0
	s_waitcnt lgkmcnt(0)
	s_sub_i32 s7, s7, s11
	s_cmp_eq_u32 s7, 1
	s_cselect_b64 s[18:19], -1, 0
	s_andn2_b64 vcc, exec, s[16:17]
	s_cbranch_vccnz .LBB415_3
.LBB415_2:
	s_mov_b32 s9, 0
	s_mov_b64 s[18:19], -1
.LBB415_3:
	s_andn2_b64 vcc, exec, s[18:19]
	s_cbranch_vccnz .LBB415_10
; %bb.4:
	s_load_dwordx2 s[18:19], s[4:5], 0x28
	s_lshl_b64 s[16:17], s[8:9], 2
	s_waitcnt lgkmcnt(0)
	s_add_u32 s18, s18, s16
	s_addc_u32 s19, s19, s17
	s_load_dword s7, s[18:19], 0x0
	s_lshl_b32 s6, s6, 8
	s_waitcnt lgkmcnt(0)
	s_cmp_ge_i32 s6, s7
	s_cbranch_scc1 .LBB415_10
; %bb.5:
	s_andn2_b64 vcc, exec, s[14:15]
	s_cbranch_vccnz .LBB415_7
; %bb.6:
	s_add_u32 s6, s12, s16
	s_addc_u32 s7, s13, s17
	s_load_dword s8, s[6:7], 0x0
.LBB415_7:
	v_and_b32_e32 v1, 15, v0
	s_movk_i32 s6, 0xa0
	v_cmp_gt_u32_e32 vcc, s6, v0
	v_cmp_gt_u32_e64 s[6:7], 8, v1
	s_and_b64 s[12:13], s[6:7], vcc
	s_and_saveexec_b64 s[6:7], s[12:13]
	s_cbranch_execz .LBB415_9
; %bb.8:
	s_load_dword s11, s[4:5], 0x48
	s_load_dwordx2 s[12:13], s[4:5], 0x0
	v_lshrrev_b32_e32 v6, 4, v0
	s_mul_i32 s10, s10, 10
	v_add_lshl_u32 v2, v6, s10, 6
	s_waitcnt lgkmcnt(0)
	s_ashr_i32 s9, s11, 31
	s_mul_hi_u32 s14, s8, s11
	s_mul_i32 s9, s8, s9
	s_add_i32 s9, s14, s9
	s_mul_i32 s8, s8, s11
	s_lshl_b64 s[8:9], s[8:9], 1
	s_add_u32 s8, s12, s8
	v_ashrrev_i32_e32 v3, 31, v2
	s_addc_u32 s9, s13, s9
	v_lshlrev_b64 v[2:3], 1, v[2:3]
	v_mov_b32_e32 v4, s9
	v_add_co_u32_e32 v2, vcc, s8, v2
	v_addc_co_u32_e32 v3, vcc, v4, v3, vcc
	v_lshlrev_b32_e32 v4, 4, v1
	v_add_co_u32_e32 v2, vcc, v2, v4
	v_addc_co_u32_e32 v3, vcc, 0, v3, vcc
	global_load_dwordx4 v[2:5], v[2:3], off
	v_lshlrev_b32_e32 v0, 4, v0
	v_lshlrev_b32_e32 v1, 8, v1
	v_and_b32_e32 v0, 16, v0
	v_lshlrev_b32_e32 v6, 5, v6
	v_and_b32_e32 v1, 0xe00, v1
	v_or3_b32 v0, v1, v6, v0
	s_waitcnt vmcnt(0)
	ds_write_b128 v0, v[2:5]
.LBB415_9:
	s_or_b64 exec, exec, s[6:7]
	s_waitcnt lgkmcnt(0)
	s_add_u32 s8, s4, 0x90
	s_addc_u32 s9, s5, 0
	s_getpc_b64 s[4:5]
	s_add_u32 s4, s4, __PRETTY_FUNCTION__._Z39paged_attention_ll4mi_QKV_mfma16_kernelIDF16_hLN4vllm18Fp8KVCacheDataTypeE1EDF16_Li16ELi64ELi256ELb0ELi10EL8MFMAType1EEvPKT_PKT0_S8_ifPKiSA_SA_iPKfiiiPfSD_PS3_PT2_iSC_SC_@rel32@lo+4
	s_addc_u32 s5, s5, __PRETTY_FUNCTION__._Z39paged_attention_ll4mi_QKV_mfma16_kernelIDF16_hLN4vllm18Fp8KVCacheDataTypeE1EDF16_Li16ELi64ELi256ELb0ELi10EL8MFMAType1EEvPKT_PKT0_S8_ifPKiSA_SA_iPKfiiiPfSD_PS3_PT2_iSC_SC_@rel32@hi+12
	v_mov_b32_e32 v0, 0x288
	v_mov_b32_e32 v1, s4
	v_mov_b32_e32 v2, s5
	s_barrier
	s_getpc_b64 s[6:7]
	s_add_u32 s6, s6, __assert_fail@rel32@lo+4
	s_addc_u32 s7, s7, __assert_fail@rel32@hi+12
	s_swappc_b64 s[30:31], s[6:7]
	; divergent unreachable
.LBB415_10:
	s_endpgm
.LBB415_11:
	s_mov_b64 s[18:19], 0
	s_branch .LBB415_2
	.section	.rodata,"a",@progbits
	.p2align	6, 0x0
	.amdhsa_kernel _Z39paged_attention_ll4mi_QKV_mfma16_kernelIDF16_hLN4vllm18Fp8KVCacheDataTypeE1EDF16_Li16ELi64ELi256ELb0ELi10EL8MFMAType1EEvPKT_PKT0_S8_ifPKiSA_SA_iPKfiiiPfSD_PS3_PT2_iSC_SC_
		.amdhsa_group_segment_fixed_size 8192
		.amdhsa_private_segment_fixed_size 64
		.amdhsa_kernarg_size 400
		.amdhsa_user_sgpr_count 8
		.amdhsa_user_sgpr_private_segment_buffer 1
		.amdhsa_user_sgpr_dispatch_ptr 0
		.amdhsa_user_sgpr_queue_ptr 0
		.amdhsa_user_sgpr_kernarg_segment_ptr 1
		.amdhsa_user_sgpr_dispatch_id 0
		.amdhsa_user_sgpr_flat_scratch_init 1
		.amdhsa_user_sgpr_kernarg_preload_length 0
		.amdhsa_user_sgpr_kernarg_preload_offset 0
		.amdhsa_user_sgpr_private_segment_size 0
		.amdhsa_uses_dynamic_stack 0
		.amdhsa_system_sgpr_private_segment_wavefront_offset 1
		.amdhsa_system_sgpr_workgroup_id_x 1
		.amdhsa_system_sgpr_workgroup_id_y 1
		.amdhsa_system_sgpr_workgroup_id_z 1
		.amdhsa_system_sgpr_workgroup_info 0
		.amdhsa_system_vgpr_workitem_id 0
		.amdhsa_next_free_vgpr 45
		.amdhsa_next_free_sgpr 34
		.amdhsa_accum_offset 44
		.amdhsa_reserve_vcc 1
		.amdhsa_reserve_flat_scratch 1
		.amdhsa_float_round_mode_32 0
		.amdhsa_float_round_mode_16_64 0
		.amdhsa_float_denorm_mode_32 3
		.amdhsa_float_denorm_mode_16_64 3
		.amdhsa_dx10_clamp 1
		.amdhsa_ieee_mode 1
		.amdhsa_fp16_overflow 0
		.amdhsa_tg_split 0
		.amdhsa_exception_fp_ieee_invalid_op 0
		.amdhsa_exception_fp_denorm_src 0
		.amdhsa_exception_fp_ieee_div_zero 0
		.amdhsa_exception_fp_ieee_overflow 0
		.amdhsa_exception_fp_ieee_underflow 0
		.amdhsa_exception_fp_ieee_inexact 0
		.amdhsa_exception_int_div_zero 0
	.end_amdhsa_kernel
	.section	.text._Z39paged_attention_ll4mi_QKV_mfma16_kernelIDF16_hLN4vllm18Fp8KVCacheDataTypeE1EDF16_Li16ELi64ELi256ELb0ELi10EL8MFMAType1EEvPKT_PKT0_S8_ifPKiSA_SA_iPKfiiiPfSD_PS3_PT2_iSC_SC_,"axG",@progbits,_Z39paged_attention_ll4mi_QKV_mfma16_kernelIDF16_hLN4vllm18Fp8KVCacheDataTypeE1EDF16_Li16ELi64ELi256ELb0ELi10EL8MFMAType1EEvPKT_PKT0_S8_ifPKiSA_SA_iPKfiiiPfSD_PS3_PT2_iSC_SC_,comdat
.Lfunc_end415:
	.size	_Z39paged_attention_ll4mi_QKV_mfma16_kernelIDF16_hLN4vllm18Fp8KVCacheDataTypeE1EDF16_Li16ELi64ELi256ELb0ELi10EL8MFMAType1EEvPKT_PKT0_S8_ifPKiSA_SA_iPKfiiiPfSD_PS3_PT2_iSC_SC_, .Lfunc_end415-_Z39paged_attention_ll4mi_QKV_mfma16_kernelIDF16_hLN4vllm18Fp8KVCacheDataTypeE1EDF16_Li16ELi64ELi256ELb0ELi10EL8MFMAType1EEvPKT_PKT0_S8_ifPKiSA_SA_iPKfiiiPfSD_PS3_PT2_iSC_SC_
                                        ; -- End function
	.section	.AMDGPU.csdata,"",@progbits
; Kernel info:
; codeLenInByte = 504
; NumSgprs: 40
; NumVgprs: 42
; NumAgprs: 1
; TotalNumVgprs: 45
; ScratchSize: 64
; MemoryBound: 0
; FloatMode: 240
; IeeeMode: 1
; LDSByteSize: 8192 bytes/workgroup (compile time only)
; SGPRBlocks: 4
; VGPRBlocks: 5
; NumSGPRsForWavesPerEU: 40
; NumVGPRsForWavesPerEU: 45
; AccumOffset: 44
; Occupancy: 8
; WaveLimiterHint : 1
; COMPUTE_PGM_RSRC2:SCRATCH_EN: 1
; COMPUTE_PGM_RSRC2:USER_SGPR: 8
; COMPUTE_PGM_RSRC2:TRAP_HANDLER: 0
; COMPUTE_PGM_RSRC2:TGID_X_EN: 1
; COMPUTE_PGM_RSRC2:TGID_Y_EN: 1
; COMPUTE_PGM_RSRC2:TGID_Z_EN: 1
; COMPUTE_PGM_RSRC2:TIDIG_COMP_CNT: 0
; COMPUTE_PGM_RSRC3_GFX90A:ACCUM_OFFSET: 10
; COMPUTE_PGM_RSRC3_GFX90A:TG_SPLIT: 0
	.section	.text._Z39paged_attention_ll4mi_QKV_mfma16_kernelIDF16_hLN4vllm18Fp8KVCacheDataTypeE1EDF16_Li16ELi64ELi256ELb0ELi11EL8MFMAType1EEvPKT_PKT0_S8_ifPKiSA_SA_iPKfiiiPfSD_PS3_PT2_iSC_SC_,"axG",@progbits,_Z39paged_attention_ll4mi_QKV_mfma16_kernelIDF16_hLN4vllm18Fp8KVCacheDataTypeE1EDF16_Li16ELi64ELi256ELb0ELi11EL8MFMAType1EEvPKT_PKT0_S8_ifPKiSA_SA_iPKfiiiPfSD_PS3_PT2_iSC_SC_,comdat
	.protected	_Z39paged_attention_ll4mi_QKV_mfma16_kernelIDF16_hLN4vllm18Fp8KVCacheDataTypeE1EDF16_Li16ELi64ELi256ELb0ELi11EL8MFMAType1EEvPKT_PKT0_S8_ifPKiSA_SA_iPKfiiiPfSD_PS3_PT2_iSC_SC_ ; -- Begin function _Z39paged_attention_ll4mi_QKV_mfma16_kernelIDF16_hLN4vllm18Fp8KVCacheDataTypeE1EDF16_Li16ELi64ELi256ELb0ELi11EL8MFMAType1EEvPKT_PKT0_S8_ifPKiSA_SA_iPKfiiiPfSD_PS3_PT2_iSC_SC_
	.globl	_Z39paged_attention_ll4mi_QKV_mfma16_kernelIDF16_hLN4vllm18Fp8KVCacheDataTypeE1EDF16_Li16ELi64ELi256ELb0ELi11EL8MFMAType1EEvPKT_PKT0_S8_ifPKiSA_SA_iPKfiiiPfSD_PS3_PT2_iSC_SC_
	.p2align	8
	.type	_Z39paged_attention_ll4mi_QKV_mfma16_kernelIDF16_hLN4vllm18Fp8KVCacheDataTypeE1EDF16_Li16ELi64ELi256ELb0ELi11EL8MFMAType1EEvPKT_PKT0_S8_ifPKiSA_SA_iPKfiiiPfSD_PS3_PT2_iSC_SC_,@function
_Z39paged_attention_ll4mi_QKV_mfma16_kernelIDF16_hLN4vllm18Fp8KVCacheDataTypeE1EDF16_Li16ELi64ELi256ELb0ELi11EL8MFMAType1EEvPKT_PKT0_S8_ifPKiSA_SA_iPKfiiiPfSD_PS3_PT2_iSC_SC_: ; @_Z39paged_attention_ll4mi_QKV_mfma16_kernelIDF16_hLN4vllm18Fp8KVCacheDataTypeE1EDF16_Li16ELi64ELi256ELb0ELi11EL8MFMAType1EEvPKT_PKT0_S8_ifPKiSA_SA_iPKfiiiPfSD_PS3_PT2_iSC_SC_
; %bb.0:
	s_load_dwordx2 s[12:13], s[4:5], 0x30
	s_add_u32 flat_scratch_lo, s6, s11
	s_addc_u32 flat_scratch_hi, s7, 0
	s_add_u32 s0, s0, s11
	s_addc_u32 s1, s1, 0
	s_waitcnt lgkmcnt(0)
	s_cmp_lg_u64 s[12:13], 0
	s_cselect_b64 s[14:15], -1, 0
	s_mov_b32 s6, s9
	s_mov_b64 s[16:17], 0
	s_and_b64 vcc, exec, s[14:15]
	s_mov_b32 s32, 0
	s_cbranch_vccz .LBB416_11
; %bb.1:
	s_add_i32 s18, s8, 1
	s_mov_b32 s19, 0
	s_lshl_b64 s[20:21], s[18:19], 2
	s_add_u32 s20, s12, s20
	s_mov_b32 s9, s19
	s_addc_u32 s21, s13, s21
	s_lshl_b64 s[18:19], s[8:9], 2
	s_add_u32 s18, s12, s18
	s_addc_u32 s19, s13, s19
	s_load_dword s7, s[20:21], 0x0
	s_load_dword s11, s[18:19], 0x0
	s_waitcnt lgkmcnt(0)
	s_sub_i32 s7, s7, s11
	s_cmp_eq_u32 s7, 1
	s_cselect_b64 s[18:19], -1, 0
	s_andn2_b64 vcc, exec, s[16:17]
	s_cbranch_vccnz .LBB416_3
.LBB416_2:
	s_mov_b32 s9, 0
	s_mov_b64 s[18:19], -1
.LBB416_3:
	s_andn2_b64 vcc, exec, s[18:19]
	s_cbranch_vccnz .LBB416_10
; %bb.4:
	s_load_dwordx2 s[18:19], s[4:5], 0x28
	s_lshl_b64 s[16:17], s[8:9], 2
	s_waitcnt lgkmcnt(0)
	s_add_u32 s18, s18, s16
	s_addc_u32 s19, s19, s17
	s_load_dword s7, s[18:19], 0x0
	s_lshl_b32 s6, s6, 8
	s_waitcnt lgkmcnt(0)
	s_cmp_ge_i32 s6, s7
	s_cbranch_scc1 .LBB416_10
; %bb.5:
	s_andn2_b64 vcc, exec, s[14:15]
	s_cbranch_vccnz .LBB416_7
; %bb.6:
	s_add_u32 s6, s12, s16
	s_addc_u32 s7, s13, s17
	s_load_dword s8, s[6:7], 0x0
.LBB416_7:
	v_and_b32_e32 v1, 15, v0
	s_movk_i32 s6, 0xb0
	v_cmp_gt_u32_e32 vcc, s6, v0
	v_cmp_gt_u32_e64 s[6:7], 8, v1
	s_and_b64 s[12:13], s[6:7], vcc
	s_and_saveexec_b64 s[6:7], s[12:13]
	s_cbranch_execz .LBB416_9
; %bb.8:
	s_load_dword s11, s[4:5], 0x48
	s_load_dwordx2 s[12:13], s[4:5], 0x0
	v_lshrrev_b32_e32 v6, 4, v0
	s_mul_i32 s10, s10, 11
	v_add_lshl_u32 v2, v6, s10, 6
	s_waitcnt lgkmcnt(0)
	s_ashr_i32 s9, s11, 31
	s_mul_hi_u32 s14, s8, s11
	s_mul_i32 s9, s8, s9
	s_add_i32 s9, s14, s9
	s_mul_i32 s8, s8, s11
	s_lshl_b64 s[8:9], s[8:9], 1
	s_add_u32 s8, s12, s8
	v_ashrrev_i32_e32 v3, 31, v2
	s_addc_u32 s9, s13, s9
	v_lshlrev_b64 v[2:3], 1, v[2:3]
	v_mov_b32_e32 v4, s9
	v_add_co_u32_e32 v2, vcc, s8, v2
	v_addc_co_u32_e32 v3, vcc, v4, v3, vcc
	v_lshlrev_b32_e32 v4, 4, v1
	v_add_co_u32_e32 v2, vcc, v2, v4
	v_addc_co_u32_e32 v3, vcc, 0, v3, vcc
	global_load_dwordx4 v[2:5], v[2:3], off
	v_lshlrev_b32_e32 v0, 4, v0
	v_lshlrev_b32_e32 v1, 8, v1
	v_and_b32_e32 v0, 16, v0
	v_lshlrev_b32_e32 v6, 5, v6
	v_and_b32_e32 v1, 0xe00, v1
	v_or3_b32 v0, v1, v6, v0
	s_waitcnt vmcnt(0)
	ds_write_b128 v0, v[2:5]
.LBB416_9:
	s_or_b64 exec, exec, s[6:7]
	s_waitcnt lgkmcnt(0)
	s_add_u32 s8, s4, 0x90
	s_addc_u32 s9, s5, 0
	s_getpc_b64 s[4:5]
	s_add_u32 s4, s4, __PRETTY_FUNCTION__._Z39paged_attention_ll4mi_QKV_mfma16_kernelIDF16_hLN4vllm18Fp8KVCacheDataTypeE1EDF16_Li16ELi64ELi256ELb0ELi11EL8MFMAType1EEvPKT_PKT0_S8_ifPKiSA_SA_iPKfiiiPfSD_PS3_PT2_iSC_SC_@rel32@lo+4
	s_addc_u32 s5, s5, __PRETTY_FUNCTION__._Z39paged_attention_ll4mi_QKV_mfma16_kernelIDF16_hLN4vllm18Fp8KVCacheDataTypeE1EDF16_Li16ELi64ELi256ELb0ELi11EL8MFMAType1EEvPKT_PKT0_S8_ifPKiSA_SA_iPKfiiiPfSD_PS3_PT2_iSC_SC_@rel32@hi+12
	v_mov_b32_e32 v0, 0x288
	v_mov_b32_e32 v1, s4
	;; [unrolled: 1-line block ×3, first 2 shown]
	s_barrier
	s_getpc_b64 s[6:7]
	s_add_u32 s6, s6, __assert_fail@rel32@lo+4
	s_addc_u32 s7, s7, __assert_fail@rel32@hi+12
	s_swappc_b64 s[30:31], s[6:7]
	; divergent unreachable
.LBB416_10:
	s_endpgm
.LBB416_11:
	s_mov_b64 s[18:19], 0
	s_branch .LBB416_2
	.section	.rodata,"a",@progbits
	.p2align	6, 0x0
	.amdhsa_kernel _Z39paged_attention_ll4mi_QKV_mfma16_kernelIDF16_hLN4vllm18Fp8KVCacheDataTypeE1EDF16_Li16ELi64ELi256ELb0ELi11EL8MFMAType1EEvPKT_PKT0_S8_ifPKiSA_SA_iPKfiiiPfSD_PS3_PT2_iSC_SC_
		.amdhsa_group_segment_fixed_size 8192
		.amdhsa_private_segment_fixed_size 64
		.amdhsa_kernarg_size 400
		.amdhsa_user_sgpr_count 8
		.amdhsa_user_sgpr_private_segment_buffer 1
		.amdhsa_user_sgpr_dispatch_ptr 0
		.amdhsa_user_sgpr_queue_ptr 0
		.amdhsa_user_sgpr_kernarg_segment_ptr 1
		.amdhsa_user_sgpr_dispatch_id 0
		.amdhsa_user_sgpr_flat_scratch_init 1
		.amdhsa_user_sgpr_kernarg_preload_length 0
		.amdhsa_user_sgpr_kernarg_preload_offset 0
		.amdhsa_user_sgpr_private_segment_size 0
		.amdhsa_uses_dynamic_stack 0
		.amdhsa_system_sgpr_private_segment_wavefront_offset 1
		.amdhsa_system_sgpr_workgroup_id_x 1
		.amdhsa_system_sgpr_workgroup_id_y 1
		.amdhsa_system_sgpr_workgroup_id_z 1
		.amdhsa_system_sgpr_workgroup_info 0
		.amdhsa_system_vgpr_workitem_id 0
		.amdhsa_next_free_vgpr 45
		.amdhsa_next_free_sgpr 34
		.amdhsa_accum_offset 44
		.amdhsa_reserve_vcc 1
		.amdhsa_reserve_flat_scratch 1
		.amdhsa_float_round_mode_32 0
		.amdhsa_float_round_mode_16_64 0
		.amdhsa_float_denorm_mode_32 3
		.amdhsa_float_denorm_mode_16_64 3
		.amdhsa_dx10_clamp 1
		.amdhsa_ieee_mode 1
		.amdhsa_fp16_overflow 0
		.amdhsa_tg_split 0
		.amdhsa_exception_fp_ieee_invalid_op 0
		.amdhsa_exception_fp_denorm_src 0
		.amdhsa_exception_fp_ieee_div_zero 0
		.amdhsa_exception_fp_ieee_overflow 0
		.amdhsa_exception_fp_ieee_underflow 0
		.amdhsa_exception_fp_ieee_inexact 0
		.amdhsa_exception_int_div_zero 0
	.end_amdhsa_kernel
	.section	.text._Z39paged_attention_ll4mi_QKV_mfma16_kernelIDF16_hLN4vllm18Fp8KVCacheDataTypeE1EDF16_Li16ELi64ELi256ELb0ELi11EL8MFMAType1EEvPKT_PKT0_S8_ifPKiSA_SA_iPKfiiiPfSD_PS3_PT2_iSC_SC_,"axG",@progbits,_Z39paged_attention_ll4mi_QKV_mfma16_kernelIDF16_hLN4vllm18Fp8KVCacheDataTypeE1EDF16_Li16ELi64ELi256ELb0ELi11EL8MFMAType1EEvPKT_PKT0_S8_ifPKiSA_SA_iPKfiiiPfSD_PS3_PT2_iSC_SC_,comdat
.Lfunc_end416:
	.size	_Z39paged_attention_ll4mi_QKV_mfma16_kernelIDF16_hLN4vllm18Fp8KVCacheDataTypeE1EDF16_Li16ELi64ELi256ELb0ELi11EL8MFMAType1EEvPKT_PKT0_S8_ifPKiSA_SA_iPKfiiiPfSD_PS3_PT2_iSC_SC_, .Lfunc_end416-_Z39paged_attention_ll4mi_QKV_mfma16_kernelIDF16_hLN4vllm18Fp8KVCacheDataTypeE1EDF16_Li16ELi64ELi256ELb0ELi11EL8MFMAType1EEvPKT_PKT0_S8_ifPKiSA_SA_iPKfiiiPfSD_PS3_PT2_iSC_SC_
                                        ; -- End function
	.section	.AMDGPU.csdata,"",@progbits
; Kernel info:
; codeLenInByte = 504
; NumSgprs: 40
; NumVgprs: 42
; NumAgprs: 1
; TotalNumVgprs: 45
; ScratchSize: 64
; MemoryBound: 0
; FloatMode: 240
; IeeeMode: 1
; LDSByteSize: 8192 bytes/workgroup (compile time only)
; SGPRBlocks: 4
; VGPRBlocks: 5
; NumSGPRsForWavesPerEU: 40
; NumVGPRsForWavesPerEU: 45
; AccumOffset: 44
; Occupancy: 8
; WaveLimiterHint : 1
; COMPUTE_PGM_RSRC2:SCRATCH_EN: 1
; COMPUTE_PGM_RSRC2:USER_SGPR: 8
; COMPUTE_PGM_RSRC2:TRAP_HANDLER: 0
; COMPUTE_PGM_RSRC2:TGID_X_EN: 1
; COMPUTE_PGM_RSRC2:TGID_Y_EN: 1
; COMPUTE_PGM_RSRC2:TGID_Z_EN: 1
; COMPUTE_PGM_RSRC2:TIDIG_COMP_CNT: 0
; COMPUTE_PGM_RSRC3_GFX90A:ACCUM_OFFSET: 10
; COMPUTE_PGM_RSRC3_GFX90A:TG_SPLIT: 0
	.section	.text._Z39paged_attention_ll4mi_QKV_mfma16_kernelIDF16_hLN4vllm18Fp8KVCacheDataTypeE1EDF16_Li16ELi64ELi256ELb0ELi12EL8MFMAType1EEvPKT_PKT0_S8_ifPKiSA_SA_iPKfiiiPfSD_PS3_PT2_iSC_SC_,"axG",@progbits,_Z39paged_attention_ll4mi_QKV_mfma16_kernelIDF16_hLN4vllm18Fp8KVCacheDataTypeE1EDF16_Li16ELi64ELi256ELb0ELi12EL8MFMAType1EEvPKT_PKT0_S8_ifPKiSA_SA_iPKfiiiPfSD_PS3_PT2_iSC_SC_,comdat
	.protected	_Z39paged_attention_ll4mi_QKV_mfma16_kernelIDF16_hLN4vllm18Fp8KVCacheDataTypeE1EDF16_Li16ELi64ELi256ELb0ELi12EL8MFMAType1EEvPKT_PKT0_S8_ifPKiSA_SA_iPKfiiiPfSD_PS3_PT2_iSC_SC_ ; -- Begin function _Z39paged_attention_ll4mi_QKV_mfma16_kernelIDF16_hLN4vllm18Fp8KVCacheDataTypeE1EDF16_Li16ELi64ELi256ELb0ELi12EL8MFMAType1EEvPKT_PKT0_S8_ifPKiSA_SA_iPKfiiiPfSD_PS3_PT2_iSC_SC_
	.globl	_Z39paged_attention_ll4mi_QKV_mfma16_kernelIDF16_hLN4vllm18Fp8KVCacheDataTypeE1EDF16_Li16ELi64ELi256ELb0ELi12EL8MFMAType1EEvPKT_PKT0_S8_ifPKiSA_SA_iPKfiiiPfSD_PS3_PT2_iSC_SC_
	.p2align	8
	.type	_Z39paged_attention_ll4mi_QKV_mfma16_kernelIDF16_hLN4vllm18Fp8KVCacheDataTypeE1EDF16_Li16ELi64ELi256ELb0ELi12EL8MFMAType1EEvPKT_PKT0_S8_ifPKiSA_SA_iPKfiiiPfSD_PS3_PT2_iSC_SC_,@function
_Z39paged_attention_ll4mi_QKV_mfma16_kernelIDF16_hLN4vllm18Fp8KVCacheDataTypeE1EDF16_Li16ELi64ELi256ELb0ELi12EL8MFMAType1EEvPKT_PKT0_S8_ifPKiSA_SA_iPKfiiiPfSD_PS3_PT2_iSC_SC_: ; @_Z39paged_attention_ll4mi_QKV_mfma16_kernelIDF16_hLN4vllm18Fp8KVCacheDataTypeE1EDF16_Li16ELi64ELi256ELb0ELi12EL8MFMAType1EEvPKT_PKT0_S8_ifPKiSA_SA_iPKfiiiPfSD_PS3_PT2_iSC_SC_
; %bb.0:
	s_load_dwordx2 s[12:13], s[4:5], 0x30
	s_add_u32 flat_scratch_lo, s6, s11
	s_addc_u32 flat_scratch_hi, s7, 0
	s_add_u32 s0, s0, s11
	s_addc_u32 s1, s1, 0
	s_waitcnt lgkmcnt(0)
	s_cmp_lg_u64 s[12:13], 0
	s_cselect_b64 s[14:15], -1, 0
	s_mov_b32 s6, s9
	s_mov_b64 s[16:17], 0
	s_and_b64 vcc, exec, s[14:15]
	s_mov_b32 s32, 0
	s_cbranch_vccz .LBB417_11
; %bb.1:
	s_add_i32 s18, s8, 1
	s_mov_b32 s19, 0
	s_lshl_b64 s[20:21], s[18:19], 2
	s_add_u32 s20, s12, s20
	s_mov_b32 s9, s19
	s_addc_u32 s21, s13, s21
	s_lshl_b64 s[18:19], s[8:9], 2
	s_add_u32 s18, s12, s18
	s_addc_u32 s19, s13, s19
	s_load_dword s7, s[20:21], 0x0
	s_load_dword s11, s[18:19], 0x0
	s_waitcnt lgkmcnt(0)
	s_sub_i32 s7, s7, s11
	s_cmp_eq_u32 s7, 1
	s_cselect_b64 s[18:19], -1, 0
	s_andn2_b64 vcc, exec, s[16:17]
	s_cbranch_vccnz .LBB417_3
.LBB417_2:
	s_mov_b32 s9, 0
	s_mov_b64 s[18:19], -1
.LBB417_3:
	s_andn2_b64 vcc, exec, s[18:19]
	s_cbranch_vccnz .LBB417_10
; %bb.4:
	s_load_dwordx2 s[18:19], s[4:5], 0x28
	s_lshl_b64 s[16:17], s[8:9], 2
	s_waitcnt lgkmcnt(0)
	s_add_u32 s18, s18, s16
	s_addc_u32 s19, s19, s17
	s_load_dword s7, s[18:19], 0x0
	s_lshl_b32 s6, s6, 8
	s_waitcnt lgkmcnt(0)
	s_cmp_ge_i32 s6, s7
	s_cbranch_scc1 .LBB417_10
; %bb.5:
	s_andn2_b64 vcc, exec, s[14:15]
	s_cbranch_vccnz .LBB417_7
; %bb.6:
	s_add_u32 s6, s12, s16
	s_addc_u32 s7, s13, s17
	s_load_dword s8, s[6:7], 0x0
.LBB417_7:
	v_and_b32_e32 v1, 15, v0
	s_movk_i32 s6, 0xc0
	v_cmp_gt_u32_e32 vcc, s6, v0
	v_cmp_gt_u32_e64 s[6:7], 8, v1
	s_and_b64 s[12:13], vcc, s[6:7]
	s_and_saveexec_b64 s[6:7], s[12:13]
	s_cbranch_execz .LBB417_9
; %bb.8:
	s_load_dword s11, s[4:5], 0x48
	s_load_dwordx2 s[12:13], s[4:5], 0x0
	v_lshrrev_b32_e32 v6, 4, v0
	s_mul_i32 s10, s10, 12
	v_add_lshl_u32 v2, v6, s10, 6
	s_waitcnt lgkmcnt(0)
	s_ashr_i32 s9, s11, 31
	s_mul_hi_u32 s14, s8, s11
	s_mul_i32 s9, s8, s9
	s_add_i32 s9, s14, s9
	s_mul_i32 s8, s8, s11
	s_lshl_b64 s[8:9], s[8:9], 1
	s_add_u32 s8, s12, s8
	v_ashrrev_i32_e32 v3, 31, v2
	s_addc_u32 s9, s13, s9
	v_lshlrev_b64 v[2:3], 1, v[2:3]
	v_mov_b32_e32 v4, s9
	v_add_co_u32_e32 v2, vcc, s8, v2
	v_addc_co_u32_e32 v3, vcc, v4, v3, vcc
	v_lshlrev_b32_e32 v4, 4, v1
	v_add_co_u32_e32 v2, vcc, v2, v4
	v_addc_co_u32_e32 v3, vcc, 0, v3, vcc
	global_load_dwordx4 v[2:5], v[2:3], off
	v_lshlrev_b32_e32 v0, 4, v0
	v_lshlrev_b32_e32 v1, 8, v1
	v_and_b32_e32 v0, 16, v0
	v_lshlrev_b32_e32 v6, 5, v6
	v_and_b32_e32 v1, 0xe00, v1
	v_or3_b32 v0, v1, v6, v0
	s_waitcnt vmcnt(0)
	ds_write_b128 v0, v[2:5]
.LBB417_9:
	s_or_b64 exec, exec, s[6:7]
	s_waitcnt lgkmcnt(0)
	s_add_u32 s8, s4, 0x90
	s_addc_u32 s9, s5, 0
	s_getpc_b64 s[4:5]
	s_add_u32 s4, s4, __PRETTY_FUNCTION__._Z39paged_attention_ll4mi_QKV_mfma16_kernelIDF16_hLN4vllm18Fp8KVCacheDataTypeE1EDF16_Li16ELi64ELi256ELb0ELi12EL8MFMAType1EEvPKT_PKT0_S8_ifPKiSA_SA_iPKfiiiPfSD_PS3_PT2_iSC_SC_@rel32@lo+4
	s_addc_u32 s5, s5, __PRETTY_FUNCTION__._Z39paged_attention_ll4mi_QKV_mfma16_kernelIDF16_hLN4vllm18Fp8KVCacheDataTypeE1EDF16_Li16ELi64ELi256ELb0ELi12EL8MFMAType1EEvPKT_PKT0_S8_ifPKiSA_SA_iPKfiiiPfSD_PS3_PT2_iSC_SC_@rel32@hi+12
	v_mov_b32_e32 v0, 0x288
	v_mov_b32_e32 v1, s4
	;; [unrolled: 1-line block ×3, first 2 shown]
	s_barrier
	s_getpc_b64 s[6:7]
	s_add_u32 s6, s6, __assert_fail@rel32@lo+4
	s_addc_u32 s7, s7, __assert_fail@rel32@hi+12
	s_swappc_b64 s[30:31], s[6:7]
	; divergent unreachable
.LBB417_10:
	s_endpgm
.LBB417_11:
	s_mov_b64 s[18:19], 0
	s_branch .LBB417_2
	.section	.rodata,"a",@progbits
	.p2align	6, 0x0
	.amdhsa_kernel _Z39paged_attention_ll4mi_QKV_mfma16_kernelIDF16_hLN4vllm18Fp8KVCacheDataTypeE1EDF16_Li16ELi64ELi256ELb0ELi12EL8MFMAType1EEvPKT_PKT0_S8_ifPKiSA_SA_iPKfiiiPfSD_PS3_PT2_iSC_SC_
		.amdhsa_group_segment_fixed_size 8192
		.amdhsa_private_segment_fixed_size 64
		.amdhsa_kernarg_size 400
		.amdhsa_user_sgpr_count 8
		.amdhsa_user_sgpr_private_segment_buffer 1
		.amdhsa_user_sgpr_dispatch_ptr 0
		.amdhsa_user_sgpr_queue_ptr 0
		.amdhsa_user_sgpr_kernarg_segment_ptr 1
		.amdhsa_user_sgpr_dispatch_id 0
		.amdhsa_user_sgpr_flat_scratch_init 1
		.amdhsa_user_sgpr_kernarg_preload_length 0
		.amdhsa_user_sgpr_kernarg_preload_offset 0
		.amdhsa_user_sgpr_private_segment_size 0
		.amdhsa_uses_dynamic_stack 0
		.amdhsa_system_sgpr_private_segment_wavefront_offset 1
		.amdhsa_system_sgpr_workgroup_id_x 1
		.amdhsa_system_sgpr_workgroup_id_y 1
		.amdhsa_system_sgpr_workgroup_id_z 1
		.amdhsa_system_sgpr_workgroup_info 0
		.amdhsa_system_vgpr_workitem_id 0
		.amdhsa_next_free_vgpr 45
		.amdhsa_next_free_sgpr 34
		.amdhsa_accum_offset 44
		.amdhsa_reserve_vcc 1
		.amdhsa_reserve_flat_scratch 1
		.amdhsa_float_round_mode_32 0
		.amdhsa_float_round_mode_16_64 0
		.amdhsa_float_denorm_mode_32 3
		.amdhsa_float_denorm_mode_16_64 3
		.amdhsa_dx10_clamp 1
		.amdhsa_ieee_mode 1
		.amdhsa_fp16_overflow 0
		.amdhsa_tg_split 0
		.amdhsa_exception_fp_ieee_invalid_op 0
		.amdhsa_exception_fp_denorm_src 0
		.amdhsa_exception_fp_ieee_div_zero 0
		.amdhsa_exception_fp_ieee_overflow 0
		.amdhsa_exception_fp_ieee_underflow 0
		.amdhsa_exception_fp_ieee_inexact 0
		.amdhsa_exception_int_div_zero 0
	.end_amdhsa_kernel
	.section	.text._Z39paged_attention_ll4mi_QKV_mfma16_kernelIDF16_hLN4vllm18Fp8KVCacheDataTypeE1EDF16_Li16ELi64ELi256ELb0ELi12EL8MFMAType1EEvPKT_PKT0_S8_ifPKiSA_SA_iPKfiiiPfSD_PS3_PT2_iSC_SC_,"axG",@progbits,_Z39paged_attention_ll4mi_QKV_mfma16_kernelIDF16_hLN4vllm18Fp8KVCacheDataTypeE1EDF16_Li16ELi64ELi256ELb0ELi12EL8MFMAType1EEvPKT_PKT0_S8_ifPKiSA_SA_iPKfiiiPfSD_PS3_PT2_iSC_SC_,comdat
.Lfunc_end417:
	.size	_Z39paged_attention_ll4mi_QKV_mfma16_kernelIDF16_hLN4vllm18Fp8KVCacheDataTypeE1EDF16_Li16ELi64ELi256ELb0ELi12EL8MFMAType1EEvPKT_PKT0_S8_ifPKiSA_SA_iPKfiiiPfSD_PS3_PT2_iSC_SC_, .Lfunc_end417-_Z39paged_attention_ll4mi_QKV_mfma16_kernelIDF16_hLN4vllm18Fp8KVCacheDataTypeE1EDF16_Li16ELi64ELi256ELb0ELi12EL8MFMAType1EEvPKT_PKT0_S8_ifPKiSA_SA_iPKfiiiPfSD_PS3_PT2_iSC_SC_
                                        ; -- End function
	.section	.AMDGPU.csdata,"",@progbits
; Kernel info:
; codeLenInByte = 504
; NumSgprs: 40
; NumVgprs: 42
; NumAgprs: 1
; TotalNumVgprs: 45
; ScratchSize: 64
; MemoryBound: 0
; FloatMode: 240
; IeeeMode: 1
; LDSByteSize: 8192 bytes/workgroup (compile time only)
; SGPRBlocks: 4
; VGPRBlocks: 5
; NumSGPRsForWavesPerEU: 40
; NumVGPRsForWavesPerEU: 45
; AccumOffset: 44
; Occupancy: 8
; WaveLimiterHint : 1
; COMPUTE_PGM_RSRC2:SCRATCH_EN: 1
; COMPUTE_PGM_RSRC2:USER_SGPR: 8
; COMPUTE_PGM_RSRC2:TRAP_HANDLER: 0
; COMPUTE_PGM_RSRC2:TGID_X_EN: 1
; COMPUTE_PGM_RSRC2:TGID_Y_EN: 1
; COMPUTE_PGM_RSRC2:TGID_Z_EN: 1
; COMPUTE_PGM_RSRC2:TIDIG_COMP_CNT: 0
; COMPUTE_PGM_RSRC3_GFX90A:ACCUM_OFFSET: 10
; COMPUTE_PGM_RSRC3_GFX90A:TG_SPLIT: 0
	.section	.text._Z39paged_attention_ll4mi_QKV_mfma16_kernelIDF16_hLN4vllm18Fp8KVCacheDataTypeE1EDF16_Li16ELi64ELi256ELb0ELi13EL8MFMAType1EEvPKT_PKT0_S8_ifPKiSA_SA_iPKfiiiPfSD_PS3_PT2_iSC_SC_,"axG",@progbits,_Z39paged_attention_ll4mi_QKV_mfma16_kernelIDF16_hLN4vllm18Fp8KVCacheDataTypeE1EDF16_Li16ELi64ELi256ELb0ELi13EL8MFMAType1EEvPKT_PKT0_S8_ifPKiSA_SA_iPKfiiiPfSD_PS3_PT2_iSC_SC_,comdat
	.protected	_Z39paged_attention_ll4mi_QKV_mfma16_kernelIDF16_hLN4vllm18Fp8KVCacheDataTypeE1EDF16_Li16ELi64ELi256ELb0ELi13EL8MFMAType1EEvPKT_PKT0_S8_ifPKiSA_SA_iPKfiiiPfSD_PS3_PT2_iSC_SC_ ; -- Begin function _Z39paged_attention_ll4mi_QKV_mfma16_kernelIDF16_hLN4vllm18Fp8KVCacheDataTypeE1EDF16_Li16ELi64ELi256ELb0ELi13EL8MFMAType1EEvPKT_PKT0_S8_ifPKiSA_SA_iPKfiiiPfSD_PS3_PT2_iSC_SC_
	.globl	_Z39paged_attention_ll4mi_QKV_mfma16_kernelIDF16_hLN4vllm18Fp8KVCacheDataTypeE1EDF16_Li16ELi64ELi256ELb0ELi13EL8MFMAType1EEvPKT_PKT0_S8_ifPKiSA_SA_iPKfiiiPfSD_PS3_PT2_iSC_SC_
	.p2align	8
	.type	_Z39paged_attention_ll4mi_QKV_mfma16_kernelIDF16_hLN4vllm18Fp8KVCacheDataTypeE1EDF16_Li16ELi64ELi256ELb0ELi13EL8MFMAType1EEvPKT_PKT0_S8_ifPKiSA_SA_iPKfiiiPfSD_PS3_PT2_iSC_SC_,@function
_Z39paged_attention_ll4mi_QKV_mfma16_kernelIDF16_hLN4vllm18Fp8KVCacheDataTypeE1EDF16_Li16ELi64ELi256ELb0ELi13EL8MFMAType1EEvPKT_PKT0_S8_ifPKiSA_SA_iPKfiiiPfSD_PS3_PT2_iSC_SC_: ; @_Z39paged_attention_ll4mi_QKV_mfma16_kernelIDF16_hLN4vllm18Fp8KVCacheDataTypeE1EDF16_Li16ELi64ELi256ELb0ELi13EL8MFMAType1EEvPKT_PKT0_S8_ifPKiSA_SA_iPKfiiiPfSD_PS3_PT2_iSC_SC_
; %bb.0:
	s_load_dwordx2 s[12:13], s[4:5], 0x30
	s_add_u32 flat_scratch_lo, s6, s11
	s_addc_u32 flat_scratch_hi, s7, 0
	s_add_u32 s0, s0, s11
	s_addc_u32 s1, s1, 0
	s_waitcnt lgkmcnt(0)
	s_cmp_lg_u64 s[12:13], 0
	s_cselect_b64 s[14:15], -1, 0
	s_mov_b32 s6, s9
	s_mov_b64 s[16:17], 0
	s_and_b64 vcc, exec, s[14:15]
	s_mov_b32 s32, 0
	s_cbranch_vccz .LBB418_11
; %bb.1:
	s_add_i32 s18, s8, 1
	s_mov_b32 s19, 0
	s_lshl_b64 s[20:21], s[18:19], 2
	s_add_u32 s20, s12, s20
	s_mov_b32 s9, s19
	s_addc_u32 s21, s13, s21
	s_lshl_b64 s[18:19], s[8:9], 2
	s_add_u32 s18, s12, s18
	s_addc_u32 s19, s13, s19
	s_load_dword s7, s[20:21], 0x0
	s_load_dword s11, s[18:19], 0x0
	s_waitcnt lgkmcnt(0)
	s_sub_i32 s7, s7, s11
	s_cmp_eq_u32 s7, 1
	s_cselect_b64 s[18:19], -1, 0
	s_andn2_b64 vcc, exec, s[16:17]
	s_cbranch_vccnz .LBB418_3
.LBB418_2:
	s_mov_b32 s9, 0
	s_mov_b64 s[18:19], -1
.LBB418_3:
	s_andn2_b64 vcc, exec, s[18:19]
	s_cbranch_vccnz .LBB418_10
; %bb.4:
	s_load_dwordx2 s[18:19], s[4:5], 0x28
	s_lshl_b64 s[16:17], s[8:9], 2
	s_waitcnt lgkmcnt(0)
	s_add_u32 s18, s18, s16
	s_addc_u32 s19, s19, s17
	s_load_dword s7, s[18:19], 0x0
	s_lshl_b32 s6, s6, 8
	s_waitcnt lgkmcnt(0)
	s_cmp_ge_i32 s6, s7
	s_cbranch_scc1 .LBB418_10
; %bb.5:
	s_andn2_b64 vcc, exec, s[14:15]
	s_cbranch_vccnz .LBB418_7
; %bb.6:
	s_add_u32 s6, s12, s16
	s_addc_u32 s7, s13, s17
	s_load_dword s8, s[6:7], 0x0
.LBB418_7:
	v_and_b32_e32 v1, 15, v0
	s_movk_i32 s6, 0xd0
	v_cmp_gt_u32_e32 vcc, s6, v0
	v_cmp_gt_u32_e64 s[6:7], 8, v1
	s_and_b64 s[12:13], s[6:7], vcc
	s_and_saveexec_b64 s[6:7], s[12:13]
	s_cbranch_execz .LBB418_9
; %bb.8:
	s_load_dword s11, s[4:5], 0x48
	s_load_dwordx2 s[12:13], s[4:5], 0x0
	v_lshrrev_b32_e32 v6, 4, v0
	s_mul_i32 s10, s10, 13
	v_add_lshl_u32 v2, v6, s10, 6
	s_waitcnt lgkmcnt(0)
	s_ashr_i32 s9, s11, 31
	s_mul_hi_u32 s14, s8, s11
	s_mul_i32 s9, s8, s9
	s_add_i32 s9, s14, s9
	s_mul_i32 s8, s8, s11
	s_lshl_b64 s[8:9], s[8:9], 1
	s_add_u32 s8, s12, s8
	v_ashrrev_i32_e32 v3, 31, v2
	s_addc_u32 s9, s13, s9
	v_lshlrev_b64 v[2:3], 1, v[2:3]
	v_mov_b32_e32 v4, s9
	v_add_co_u32_e32 v2, vcc, s8, v2
	v_addc_co_u32_e32 v3, vcc, v4, v3, vcc
	v_lshlrev_b32_e32 v4, 4, v1
	v_add_co_u32_e32 v2, vcc, v2, v4
	v_addc_co_u32_e32 v3, vcc, 0, v3, vcc
	global_load_dwordx4 v[2:5], v[2:3], off
	v_lshlrev_b32_e32 v0, 4, v0
	v_lshlrev_b32_e32 v1, 8, v1
	v_and_b32_e32 v0, 16, v0
	v_lshlrev_b32_e32 v6, 5, v6
	v_and_b32_e32 v1, 0xe00, v1
	v_or3_b32 v0, v1, v6, v0
	s_waitcnt vmcnt(0)
	ds_write_b128 v0, v[2:5]
.LBB418_9:
	s_or_b64 exec, exec, s[6:7]
	s_waitcnt lgkmcnt(0)
	s_add_u32 s8, s4, 0x90
	s_addc_u32 s9, s5, 0
	s_getpc_b64 s[4:5]
	s_add_u32 s4, s4, __PRETTY_FUNCTION__._Z39paged_attention_ll4mi_QKV_mfma16_kernelIDF16_hLN4vllm18Fp8KVCacheDataTypeE1EDF16_Li16ELi64ELi256ELb0ELi13EL8MFMAType1EEvPKT_PKT0_S8_ifPKiSA_SA_iPKfiiiPfSD_PS3_PT2_iSC_SC_@rel32@lo+4
	s_addc_u32 s5, s5, __PRETTY_FUNCTION__._Z39paged_attention_ll4mi_QKV_mfma16_kernelIDF16_hLN4vllm18Fp8KVCacheDataTypeE1EDF16_Li16ELi64ELi256ELb0ELi13EL8MFMAType1EEvPKT_PKT0_S8_ifPKiSA_SA_iPKfiiiPfSD_PS3_PT2_iSC_SC_@rel32@hi+12
	v_mov_b32_e32 v0, 0x288
	v_mov_b32_e32 v1, s4
	;; [unrolled: 1-line block ×3, first 2 shown]
	s_barrier
	s_getpc_b64 s[6:7]
	s_add_u32 s6, s6, __assert_fail@rel32@lo+4
	s_addc_u32 s7, s7, __assert_fail@rel32@hi+12
	s_swappc_b64 s[30:31], s[6:7]
	; divergent unreachable
.LBB418_10:
	s_endpgm
.LBB418_11:
	s_mov_b64 s[18:19], 0
	s_branch .LBB418_2
	.section	.rodata,"a",@progbits
	.p2align	6, 0x0
	.amdhsa_kernel _Z39paged_attention_ll4mi_QKV_mfma16_kernelIDF16_hLN4vllm18Fp8KVCacheDataTypeE1EDF16_Li16ELi64ELi256ELb0ELi13EL8MFMAType1EEvPKT_PKT0_S8_ifPKiSA_SA_iPKfiiiPfSD_PS3_PT2_iSC_SC_
		.amdhsa_group_segment_fixed_size 8192
		.amdhsa_private_segment_fixed_size 64
		.amdhsa_kernarg_size 400
		.amdhsa_user_sgpr_count 8
		.amdhsa_user_sgpr_private_segment_buffer 1
		.amdhsa_user_sgpr_dispatch_ptr 0
		.amdhsa_user_sgpr_queue_ptr 0
		.amdhsa_user_sgpr_kernarg_segment_ptr 1
		.amdhsa_user_sgpr_dispatch_id 0
		.amdhsa_user_sgpr_flat_scratch_init 1
		.amdhsa_user_sgpr_kernarg_preload_length 0
		.amdhsa_user_sgpr_kernarg_preload_offset 0
		.amdhsa_user_sgpr_private_segment_size 0
		.amdhsa_uses_dynamic_stack 0
		.amdhsa_system_sgpr_private_segment_wavefront_offset 1
		.amdhsa_system_sgpr_workgroup_id_x 1
		.amdhsa_system_sgpr_workgroup_id_y 1
		.amdhsa_system_sgpr_workgroup_id_z 1
		.amdhsa_system_sgpr_workgroup_info 0
		.amdhsa_system_vgpr_workitem_id 0
		.amdhsa_next_free_vgpr 45
		.amdhsa_next_free_sgpr 34
		.amdhsa_accum_offset 44
		.amdhsa_reserve_vcc 1
		.amdhsa_reserve_flat_scratch 1
		.amdhsa_float_round_mode_32 0
		.amdhsa_float_round_mode_16_64 0
		.amdhsa_float_denorm_mode_32 3
		.amdhsa_float_denorm_mode_16_64 3
		.amdhsa_dx10_clamp 1
		.amdhsa_ieee_mode 1
		.amdhsa_fp16_overflow 0
		.amdhsa_tg_split 0
		.amdhsa_exception_fp_ieee_invalid_op 0
		.amdhsa_exception_fp_denorm_src 0
		.amdhsa_exception_fp_ieee_div_zero 0
		.amdhsa_exception_fp_ieee_overflow 0
		.amdhsa_exception_fp_ieee_underflow 0
		.amdhsa_exception_fp_ieee_inexact 0
		.amdhsa_exception_int_div_zero 0
	.end_amdhsa_kernel
	.section	.text._Z39paged_attention_ll4mi_QKV_mfma16_kernelIDF16_hLN4vllm18Fp8KVCacheDataTypeE1EDF16_Li16ELi64ELi256ELb0ELi13EL8MFMAType1EEvPKT_PKT0_S8_ifPKiSA_SA_iPKfiiiPfSD_PS3_PT2_iSC_SC_,"axG",@progbits,_Z39paged_attention_ll4mi_QKV_mfma16_kernelIDF16_hLN4vllm18Fp8KVCacheDataTypeE1EDF16_Li16ELi64ELi256ELb0ELi13EL8MFMAType1EEvPKT_PKT0_S8_ifPKiSA_SA_iPKfiiiPfSD_PS3_PT2_iSC_SC_,comdat
.Lfunc_end418:
	.size	_Z39paged_attention_ll4mi_QKV_mfma16_kernelIDF16_hLN4vllm18Fp8KVCacheDataTypeE1EDF16_Li16ELi64ELi256ELb0ELi13EL8MFMAType1EEvPKT_PKT0_S8_ifPKiSA_SA_iPKfiiiPfSD_PS3_PT2_iSC_SC_, .Lfunc_end418-_Z39paged_attention_ll4mi_QKV_mfma16_kernelIDF16_hLN4vllm18Fp8KVCacheDataTypeE1EDF16_Li16ELi64ELi256ELb0ELi13EL8MFMAType1EEvPKT_PKT0_S8_ifPKiSA_SA_iPKfiiiPfSD_PS3_PT2_iSC_SC_
                                        ; -- End function
	.section	.AMDGPU.csdata,"",@progbits
; Kernel info:
; codeLenInByte = 504
; NumSgprs: 40
; NumVgprs: 42
; NumAgprs: 1
; TotalNumVgprs: 45
; ScratchSize: 64
; MemoryBound: 0
; FloatMode: 240
; IeeeMode: 1
; LDSByteSize: 8192 bytes/workgroup (compile time only)
; SGPRBlocks: 4
; VGPRBlocks: 5
; NumSGPRsForWavesPerEU: 40
; NumVGPRsForWavesPerEU: 45
; AccumOffset: 44
; Occupancy: 8
; WaveLimiterHint : 1
; COMPUTE_PGM_RSRC2:SCRATCH_EN: 1
; COMPUTE_PGM_RSRC2:USER_SGPR: 8
; COMPUTE_PGM_RSRC2:TRAP_HANDLER: 0
; COMPUTE_PGM_RSRC2:TGID_X_EN: 1
; COMPUTE_PGM_RSRC2:TGID_Y_EN: 1
; COMPUTE_PGM_RSRC2:TGID_Z_EN: 1
; COMPUTE_PGM_RSRC2:TIDIG_COMP_CNT: 0
; COMPUTE_PGM_RSRC3_GFX90A:ACCUM_OFFSET: 10
; COMPUTE_PGM_RSRC3_GFX90A:TG_SPLIT: 0
	.section	.text._Z39paged_attention_ll4mi_QKV_mfma16_kernelIDF16_hLN4vllm18Fp8KVCacheDataTypeE1EDF16_Li16ELi64ELi256ELb0ELi14EL8MFMAType1EEvPKT_PKT0_S8_ifPKiSA_SA_iPKfiiiPfSD_PS3_PT2_iSC_SC_,"axG",@progbits,_Z39paged_attention_ll4mi_QKV_mfma16_kernelIDF16_hLN4vllm18Fp8KVCacheDataTypeE1EDF16_Li16ELi64ELi256ELb0ELi14EL8MFMAType1EEvPKT_PKT0_S8_ifPKiSA_SA_iPKfiiiPfSD_PS3_PT2_iSC_SC_,comdat
	.protected	_Z39paged_attention_ll4mi_QKV_mfma16_kernelIDF16_hLN4vllm18Fp8KVCacheDataTypeE1EDF16_Li16ELi64ELi256ELb0ELi14EL8MFMAType1EEvPKT_PKT0_S8_ifPKiSA_SA_iPKfiiiPfSD_PS3_PT2_iSC_SC_ ; -- Begin function _Z39paged_attention_ll4mi_QKV_mfma16_kernelIDF16_hLN4vllm18Fp8KVCacheDataTypeE1EDF16_Li16ELi64ELi256ELb0ELi14EL8MFMAType1EEvPKT_PKT0_S8_ifPKiSA_SA_iPKfiiiPfSD_PS3_PT2_iSC_SC_
	.globl	_Z39paged_attention_ll4mi_QKV_mfma16_kernelIDF16_hLN4vllm18Fp8KVCacheDataTypeE1EDF16_Li16ELi64ELi256ELb0ELi14EL8MFMAType1EEvPKT_PKT0_S8_ifPKiSA_SA_iPKfiiiPfSD_PS3_PT2_iSC_SC_
	.p2align	8
	.type	_Z39paged_attention_ll4mi_QKV_mfma16_kernelIDF16_hLN4vllm18Fp8KVCacheDataTypeE1EDF16_Li16ELi64ELi256ELb0ELi14EL8MFMAType1EEvPKT_PKT0_S8_ifPKiSA_SA_iPKfiiiPfSD_PS3_PT2_iSC_SC_,@function
_Z39paged_attention_ll4mi_QKV_mfma16_kernelIDF16_hLN4vllm18Fp8KVCacheDataTypeE1EDF16_Li16ELi64ELi256ELb0ELi14EL8MFMAType1EEvPKT_PKT0_S8_ifPKiSA_SA_iPKfiiiPfSD_PS3_PT2_iSC_SC_: ; @_Z39paged_attention_ll4mi_QKV_mfma16_kernelIDF16_hLN4vllm18Fp8KVCacheDataTypeE1EDF16_Li16ELi64ELi256ELb0ELi14EL8MFMAType1EEvPKT_PKT0_S8_ifPKiSA_SA_iPKfiiiPfSD_PS3_PT2_iSC_SC_
; %bb.0:
	s_load_dwordx2 s[12:13], s[4:5], 0x30
	s_add_u32 flat_scratch_lo, s6, s11
	s_addc_u32 flat_scratch_hi, s7, 0
	s_add_u32 s0, s0, s11
	s_addc_u32 s1, s1, 0
	s_waitcnt lgkmcnt(0)
	s_cmp_lg_u64 s[12:13], 0
	s_cselect_b64 s[14:15], -1, 0
	s_mov_b32 s6, s9
	s_mov_b64 s[16:17], 0
	s_and_b64 vcc, exec, s[14:15]
	s_mov_b32 s32, 0
	s_cbranch_vccz .LBB419_11
; %bb.1:
	s_add_i32 s18, s8, 1
	s_mov_b32 s19, 0
	s_lshl_b64 s[20:21], s[18:19], 2
	s_add_u32 s20, s12, s20
	s_mov_b32 s9, s19
	s_addc_u32 s21, s13, s21
	s_lshl_b64 s[18:19], s[8:9], 2
	s_add_u32 s18, s12, s18
	s_addc_u32 s19, s13, s19
	s_load_dword s7, s[20:21], 0x0
	s_load_dword s11, s[18:19], 0x0
	s_waitcnt lgkmcnt(0)
	s_sub_i32 s7, s7, s11
	s_cmp_eq_u32 s7, 1
	s_cselect_b64 s[18:19], -1, 0
	s_andn2_b64 vcc, exec, s[16:17]
	s_cbranch_vccnz .LBB419_3
.LBB419_2:
	s_mov_b32 s9, 0
	s_mov_b64 s[18:19], -1
.LBB419_3:
	s_andn2_b64 vcc, exec, s[18:19]
	s_cbranch_vccnz .LBB419_10
; %bb.4:
	s_load_dwordx2 s[18:19], s[4:5], 0x28
	s_lshl_b64 s[16:17], s[8:9], 2
	s_waitcnt lgkmcnt(0)
	s_add_u32 s18, s18, s16
	s_addc_u32 s19, s19, s17
	s_load_dword s7, s[18:19], 0x0
	s_lshl_b32 s6, s6, 8
	s_waitcnt lgkmcnt(0)
	s_cmp_ge_i32 s6, s7
	s_cbranch_scc1 .LBB419_10
; %bb.5:
	s_andn2_b64 vcc, exec, s[14:15]
	s_cbranch_vccnz .LBB419_7
; %bb.6:
	s_add_u32 s6, s12, s16
	s_addc_u32 s7, s13, s17
	s_load_dword s8, s[6:7], 0x0
.LBB419_7:
	v_and_b32_e32 v1, 15, v0
	s_movk_i32 s6, 0xe0
	v_cmp_gt_u32_e32 vcc, s6, v0
	v_cmp_gt_u32_e64 s[6:7], 8, v1
	s_and_b64 s[12:13], s[6:7], vcc
	s_and_saveexec_b64 s[6:7], s[12:13]
	s_cbranch_execz .LBB419_9
; %bb.8:
	s_load_dword s11, s[4:5], 0x48
	s_load_dwordx2 s[12:13], s[4:5], 0x0
	v_lshrrev_b32_e32 v6, 4, v0
	s_mul_i32 s10, s10, 14
	v_add_lshl_u32 v2, v6, s10, 6
	s_waitcnt lgkmcnt(0)
	s_ashr_i32 s9, s11, 31
	s_mul_hi_u32 s14, s8, s11
	s_mul_i32 s9, s8, s9
	s_add_i32 s9, s14, s9
	s_mul_i32 s8, s8, s11
	s_lshl_b64 s[8:9], s[8:9], 1
	s_add_u32 s8, s12, s8
	v_ashrrev_i32_e32 v3, 31, v2
	s_addc_u32 s9, s13, s9
	v_lshlrev_b64 v[2:3], 1, v[2:3]
	v_mov_b32_e32 v4, s9
	v_add_co_u32_e32 v2, vcc, s8, v2
	v_addc_co_u32_e32 v3, vcc, v4, v3, vcc
	v_lshlrev_b32_e32 v4, 4, v1
	v_add_co_u32_e32 v2, vcc, v2, v4
	v_addc_co_u32_e32 v3, vcc, 0, v3, vcc
	global_load_dwordx4 v[2:5], v[2:3], off
	v_lshlrev_b32_e32 v0, 4, v0
	v_lshlrev_b32_e32 v1, 8, v1
	v_and_b32_e32 v0, 16, v0
	v_lshlrev_b32_e32 v6, 5, v6
	v_and_b32_e32 v1, 0xe00, v1
	v_or3_b32 v0, v1, v6, v0
	s_waitcnt vmcnt(0)
	ds_write_b128 v0, v[2:5]
.LBB419_9:
	s_or_b64 exec, exec, s[6:7]
	s_waitcnt lgkmcnt(0)
	s_add_u32 s8, s4, 0x90
	s_addc_u32 s9, s5, 0
	s_getpc_b64 s[4:5]
	s_add_u32 s4, s4, __PRETTY_FUNCTION__._Z39paged_attention_ll4mi_QKV_mfma16_kernelIDF16_hLN4vllm18Fp8KVCacheDataTypeE1EDF16_Li16ELi64ELi256ELb0ELi14EL8MFMAType1EEvPKT_PKT0_S8_ifPKiSA_SA_iPKfiiiPfSD_PS3_PT2_iSC_SC_@rel32@lo+4
	s_addc_u32 s5, s5, __PRETTY_FUNCTION__._Z39paged_attention_ll4mi_QKV_mfma16_kernelIDF16_hLN4vllm18Fp8KVCacheDataTypeE1EDF16_Li16ELi64ELi256ELb0ELi14EL8MFMAType1EEvPKT_PKT0_S8_ifPKiSA_SA_iPKfiiiPfSD_PS3_PT2_iSC_SC_@rel32@hi+12
	v_mov_b32_e32 v0, 0x288
	v_mov_b32_e32 v1, s4
	v_mov_b32_e32 v2, s5
	s_barrier
	s_getpc_b64 s[6:7]
	s_add_u32 s6, s6, __assert_fail@rel32@lo+4
	s_addc_u32 s7, s7, __assert_fail@rel32@hi+12
	s_swappc_b64 s[30:31], s[6:7]
	; divergent unreachable
.LBB419_10:
	s_endpgm
.LBB419_11:
	s_mov_b64 s[18:19], 0
	s_branch .LBB419_2
	.section	.rodata,"a",@progbits
	.p2align	6, 0x0
	.amdhsa_kernel _Z39paged_attention_ll4mi_QKV_mfma16_kernelIDF16_hLN4vllm18Fp8KVCacheDataTypeE1EDF16_Li16ELi64ELi256ELb0ELi14EL8MFMAType1EEvPKT_PKT0_S8_ifPKiSA_SA_iPKfiiiPfSD_PS3_PT2_iSC_SC_
		.amdhsa_group_segment_fixed_size 8192
		.amdhsa_private_segment_fixed_size 64
		.amdhsa_kernarg_size 400
		.amdhsa_user_sgpr_count 8
		.amdhsa_user_sgpr_private_segment_buffer 1
		.amdhsa_user_sgpr_dispatch_ptr 0
		.amdhsa_user_sgpr_queue_ptr 0
		.amdhsa_user_sgpr_kernarg_segment_ptr 1
		.amdhsa_user_sgpr_dispatch_id 0
		.amdhsa_user_sgpr_flat_scratch_init 1
		.amdhsa_user_sgpr_kernarg_preload_length 0
		.amdhsa_user_sgpr_kernarg_preload_offset 0
		.amdhsa_user_sgpr_private_segment_size 0
		.amdhsa_uses_dynamic_stack 0
		.amdhsa_system_sgpr_private_segment_wavefront_offset 1
		.amdhsa_system_sgpr_workgroup_id_x 1
		.amdhsa_system_sgpr_workgroup_id_y 1
		.amdhsa_system_sgpr_workgroup_id_z 1
		.amdhsa_system_sgpr_workgroup_info 0
		.amdhsa_system_vgpr_workitem_id 0
		.amdhsa_next_free_vgpr 45
		.amdhsa_next_free_sgpr 34
		.amdhsa_accum_offset 44
		.amdhsa_reserve_vcc 1
		.amdhsa_reserve_flat_scratch 1
		.amdhsa_float_round_mode_32 0
		.amdhsa_float_round_mode_16_64 0
		.amdhsa_float_denorm_mode_32 3
		.amdhsa_float_denorm_mode_16_64 3
		.amdhsa_dx10_clamp 1
		.amdhsa_ieee_mode 1
		.amdhsa_fp16_overflow 0
		.amdhsa_tg_split 0
		.amdhsa_exception_fp_ieee_invalid_op 0
		.amdhsa_exception_fp_denorm_src 0
		.amdhsa_exception_fp_ieee_div_zero 0
		.amdhsa_exception_fp_ieee_overflow 0
		.amdhsa_exception_fp_ieee_underflow 0
		.amdhsa_exception_fp_ieee_inexact 0
		.amdhsa_exception_int_div_zero 0
	.end_amdhsa_kernel
	.section	.text._Z39paged_attention_ll4mi_QKV_mfma16_kernelIDF16_hLN4vllm18Fp8KVCacheDataTypeE1EDF16_Li16ELi64ELi256ELb0ELi14EL8MFMAType1EEvPKT_PKT0_S8_ifPKiSA_SA_iPKfiiiPfSD_PS3_PT2_iSC_SC_,"axG",@progbits,_Z39paged_attention_ll4mi_QKV_mfma16_kernelIDF16_hLN4vllm18Fp8KVCacheDataTypeE1EDF16_Li16ELi64ELi256ELb0ELi14EL8MFMAType1EEvPKT_PKT0_S8_ifPKiSA_SA_iPKfiiiPfSD_PS3_PT2_iSC_SC_,comdat
.Lfunc_end419:
	.size	_Z39paged_attention_ll4mi_QKV_mfma16_kernelIDF16_hLN4vllm18Fp8KVCacheDataTypeE1EDF16_Li16ELi64ELi256ELb0ELi14EL8MFMAType1EEvPKT_PKT0_S8_ifPKiSA_SA_iPKfiiiPfSD_PS3_PT2_iSC_SC_, .Lfunc_end419-_Z39paged_attention_ll4mi_QKV_mfma16_kernelIDF16_hLN4vllm18Fp8KVCacheDataTypeE1EDF16_Li16ELi64ELi256ELb0ELi14EL8MFMAType1EEvPKT_PKT0_S8_ifPKiSA_SA_iPKfiiiPfSD_PS3_PT2_iSC_SC_
                                        ; -- End function
	.section	.AMDGPU.csdata,"",@progbits
; Kernel info:
; codeLenInByte = 504
; NumSgprs: 40
; NumVgprs: 42
; NumAgprs: 1
; TotalNumVgprs: 45
; ScratchSize: 64
; MemoryBound: 0
; FloatMode: 240
; IeeeMode: 1
; LDSByteSize: 8192 bytes/workgroup (compile time only)
; SGPRBlocks: 4
; VGPRBlocks: 5
; NumSGPRsForWavesPerEU: 40
; NumVGPRsForWavesPerEU: 45
; AccumOffset: 44
; Occupancy: 8
; WaveLimiterHint : 1
; COMPUTE_PGM_RSRC2:SCRATCH_EN: 1
; COMPUTE_PGM_RSRC2:USER_SGPR: 8
; COMPUTE_PGM_RSRC2:TRAP_HANDLER: 0
; COMPUTE_PGM_RSRC2:TGID_X_EN: 1
; COMPUTE_PGM_RSRC2:TGID_Y_EN: 1
; COMPUTE_PGM_RSRC2:TGID_Z_EN: 1
; COMPUTE_PGM_RSRC2:TIDIG_COMP_CNT: 0
; COMPUTE_PGM_RSRC3_GFX90A:ACCUM_OFFSET: 10
; COMPUTE_PGM_RSRC3_GFX90A:TG_SPLIT: 0
	.section	.text._Z39paged_attention_ll4mi_QKV_mfma16_kernelIDF16_hLN4vllm18Fp8KVCacheDataTypeE1EDF16_Li16ELi64ELi256ELb0ELi15EL8MFMAType1EEvPKT_PKT0_S8_ifPKiSA_SA_iPKfiiiPfSD_PS3_PT2_iSC_SC_,"axG",@progbits,_Z39paged_attention_ll4mi_QKV_mfma16_kernelIDF16_hLN4vllm18Fp8KVCacheDataTypeE1EDF16_Li16ELi64ELi256ELb0ELi15EL8MFMAType1EEvPKT_PKT0_S8_ifPKiSA_SA_iPKfiiiPfSD_PS3_PT2_iSC_SC_,comdat
	.protected	_Z39paged_attention_ll4mi_QKV_mfma16_kernelIDF16_hLN4vllm18Fp8KVCacheDataTypeE1EDF16_Li16ELi64ELi256ELb0ELi15EL8MFMAType1EEvPKT_PKT0_S8_ifPKiSA_SA_iPKfiiiPfSD_PS3_PT2_iSC_SC_ ; -- Begin function _Z39paged_attention_ll4mi_QKV_mfma16_kernelIDF16_hLN4vllm18Fp8KVCacheDataTypeE1EDF16_Li16ELi64ELi256ELb0ELi15EL8MFMAType1EEvPKT_PKT0_S8_ifPKiSA_SA_iPKfiiiPfSD_PS3_PT2_iSC_SC_
	.globl	_Z39paged_attention_ll4mi_QKV_mfma16_kernelIDF16_hLN4vllm18Fp8KVCacheDataTypeE1EDF16_Li16ELi64ELi256ELb0ELi15EL8MFMAType1EEvPKT_PKT0_S8_ifPKiSA_SA_iPKfiiiPfSD_PS3_PT2_iSC_SC_
	.p2align	8
	.type	_Z39paged_attention_ll4mi_QKV_mfma16_kernelIDF16_hLN4vllm18Fp8KVCacheDataTypeE1EDF16_Li16ELi64ELi256ELb0ELi15EL8MFMAType1EEvPKT_PKT0_S8_ifPKiSA_SA_iPKfiiiPfSD_PS3_PT2_iSC_SC_,@function
_Z39paged_attention_ll4mi_QKV_mfma16_kernelIDF16_hLN4vllm18Fp8KVCacheDataTypeE1EDF16_Li16ELi64ELi256ELb0ELi15EL8MFMAType1EEvPKT_PKT0_S8_ifPKiSA_SA_iPKfiiiPfSD_PS3_PT2_iSC_SC_: ; @_Z39paged_attention_ll4mi_QKV_mfma16_kernelIDF16_hLN4vllm18Fp8KVCacheDataTypeE1EDF16_Li16ELi64ELi256ELb0ELi15EL8MFMAType1EEvPKT_PKT0_S8_ifPKiSA_SA_iPKfiiiPfSD_PS3_PT2_iSC_SC_
; %bb.0:
	s_load_dwordx2 s[12:13], s[4:5], 0x30
	s_add_u32 flat_scratch_lo, s6, s11
	s_addc_u32 flat_scratch_hi, s7, 0
	s_add_u32 s0, s0, s11
	s_addc_u32 s1, s1, 0
	s_waitcnt lgkmcnt(0)
	s_cmp_lg_u64 s[12:13], 0
	s_cselect_b64 s[14:15], -1, 0
	s_mov_b32 s6, s9
	s_mov_b64 s[16:17], 0
	s_and_b64 vcc, exec, s[14:15]
	s_mov_b32 s32, 0
	s_cbranch_vccz .LBB420_11
; %bb.1:
	s_add_i32 s18, s8, 1
	s_mov_b32 s19, 0
	s_lshl_b64 s[20:21], s[18:19], 2
	s_add_u32 s20, s12, s20
	s_mov_b32 s9, s19
	s_addc_u32 s21, s13, s21
	s_lshl_b64 s[18:19], s[8:9], 2
	s_add_u32 s18, s12, s18
	s_addc_u32 s19, s13, s19
	s_load_dword s7, s[20:21], 0x0
	s_load_dword s11, s[18:19], 0x0
	s_waitcnt lgkmcnt(0)
	s_sub_i32 s7, s7, s11
	s_cmp_eq_u32 s7, 1
	s_cselect_b64 s[18:19], -1, 0
	s_andn2_b64 vcc, exec, s[16:17]
	s_cbranch_vccnz .LBB420_3
.LBB420_2:
	s_mov_b32 s9, 0
	s_mov_b64 s[18:19], -1
.LBB420_3:
	s_andn2_b64 vcc, exec, s[18:19]
	s_cbranch_vccnz .LBB420_10
; %bb.4:
	s_load_dwordx2 s[18:19], s[4:5], 0x28
	s_lshl_b64 s[16:17], s[8:9], 2
	s_waitcnt lgkmcnt(0)
	s_add_u32 s18, s18, s16
	s_addc_u32 s19, s19, s17
	s_load_dword s7, s[18:19], 0x0
	s_lshl_b32 s6, s6, 8
	s_waitcnt lgkmcnt(0)
	s_cmp_ge_i32 s6, s7
	s_cbranch_scc1 .LBB420_10
; %bb.5:
	s_andn2_b64 vcc, exec, s[14:15]
	s_cbranch_vccnz .LBB420_7
; %bb.6:
	s_add_u32 s6, s12, s16
	s_addc_u32 s7, s13, s17
	s_load_dword s8, s[6:7], 0x0
.LBB420_7:
	v_and_b32_e32 v1, 15, v0
	s_movk_i32 s6, 0xf0
	v_cmp_gt_u32_e32 vcc, s6, v0
	v_cmp_gt_u32_e64 s[6:7], 8, v1
	s_and_b64 s[12:13], s[6:7], vcc
	s_and_saveexec_b64 s[6:7], s[12:13]
	s_cbranch_execz .LBB420_9
; %bb.8:
	s_load_dword s11, s[4:5], 0x48
	s_load_dwordx2 s[12:13], s[4:5], 0x0
	v_lshrrev_b32_e32 v6, 4, v0
	s_mul_i32 s10, s10, 15
	v_add_lshl_u32 v2, v6, s10, 6
	s_waitcnt lgkmcnt(0)
	s_ashr_i32 s9, s11, 31
	s_mul_hi_u32 s14, s8, s11
	s_mul_i32 s9, s8, s9
	s_add_i32 s9, s14, s9
	s_mul_i32 s8, s8, s11
	s_lshl_b64 s[8:9], s[8:9], 1
	s_add_u32 s8, s12, s8
	v_ashrrev_i32_e32 v3, 31, v2
	s_addc_u32 s9, s13, s9
	v_lshlrev_b64 v[2:3], 1, v[2:3]
	v_mov_b32_e32 v4, s9
	v_add_co_u32_e32 v2, vcc, s8, v2
	v_addc_co_u32_e32 v3, vcc, v4, v3, vcc
	v_lshlrev_b32_e32 v4, 4, v1
	v_add_co_u32_e32 v2, vcc, v2, v4
	v_addc_co_u32_e32 v3, vcc, 0, v3, vcc
	global_load_dwordx4 v[2:5], v[2:3], off
	v_lshlrev_b32_e32 v0, 4, v0
	v_lshlrev_b32_e32 v1, 8, v1
	v_and_b32_e32 v0, 16, v0
	v_lshlrev_b32_e32 v6, 5, v6
	v_and_b32_e32 v1, 0xe00, v1
	v_or3_b32 v0, v1, v6, v0
	s_waitcnt vmcnt(0)
	ds_write_b128 v0, v[2:5]
.LBB420_9:
	s_or_b64 exec, exec, s[6:7]
	s_waitcnt lgkmcnt(0)
	s_add_u32 s8, s4, 0x90
	s_addc_u32 s9, s5, 0
	s_getpc_b64 s[4:5]
	s_add_u32 s4, s4, __PRETTY_FUNCTION__._Z39paged_attention_ll4mi_QKV_mfma16_kernelIDF16_hLN4vllm18Fp8KVCacheDataTypeE1EDF16_Li16ELi64ELi256ELb0ELi15EL8MFMAType1EEvPKT_PKT0_S8_ifPKiSA_SA_iPKfiiiPfSD_PS3_PT2_iSC_SC_@rel32@lo+4
	s_addc_u32 s5, s5, __PRETTY_FUNCTION__._Z39paged_attention_ll4mi_QKV_mfma16_kernelIDF16_hLN4vllm18Fp8KVCacheDataTypeE1EDF16_Li16ELi64ELi256ELb0ELi15EL8MFMAType1EEvPKT_PKT0_S8_ifPKiSA_SA_iPKfiiiPfSD_PS3_PT2_iSC_SC_@rel32@hi+12
	v_mov_b32_e32 v0, 0x288
	v_mov_b32_e32 v1, s4
	;; [unrolled: 1-line block ×3, first 2 shown]
	s_barrier
	s_getpc_b64 s[6:7]
	s_add_u32 s6, s6, __assert_fail@rel32@lo+4
	s_addc_u32 s7, s7, __assert_fail@rel32@hi+12
	s_swappc_b64 s[30:31], s[6:7]
	; divergent unreachable
.LBB420_10:
	s_endpgm
.LBB420_11:
	s_mov_b64 s[18:19], 0
	s_branch .LBB420_2
	.section	.rodata,"a",@progbits
	.p2align	6, 0x0
	.amdhsa_kernel _Z39paged_attention_ll4mi_QKV_mfma16_kernelIDF16_hLN4vllm18Fp8KVCacheDataTypeE1EDF16_Li16ELi64ELi256ELb0ELi15EL8MFMAType1EEvPKT_PKT0_S8_ifPKiSA_SA_iPKfiiiPfSD_PS3_PT2_iSC_SC_
		.amdhsa_group_segment_fixed_size 8192
		.amdhsa_private_segment_fixed_size 64
		.amdhsa_kernarg_size 400
		.amdhsa_user_sgpr_count 8
		.amdhsa_user_sgpr_private_segment_buffer 1
		.amdhsa_user_sgpr_dispatch_ptr 0
		.amdhsa_user_sgpr_queue_ptr 0
		.amdhsa_user_sgpr_kernarg_segment_ptr 1
		.amdhsa_user_sgpr_dispatch_id 0
		.amdhsa_user_sgpr_flat_scratch_init 1
		.amdhsa_user_sgpr_kernarg_preload_length 0
		.amdhsa_user_sgpr_kernarg_preload_offset 0
		.amdhsa_user_sgpr_private_segment_size 0
		.amdhsa_uses_dynamic_stack 0
		.amdhsa_system_sgpr_private_segment_wavefront_offset 1
		.amdhsa_system_sgpr_workgroup_id_x 1
		.amdhsa_system_sgpr_workgroup_id_y 1
		.amdhsa_system_sgpr_workgroup_id_z 1
		.amdhsa_system_sgpr_workgroup_info 0
		.amdhsa_system_vgpr_workitem_id 0
		.amdhsa_next_free_vgpr 45
		.amdhsa_next_free_sgpr 34
		.amdhsa_accum_offset 44
		.amdhsa_reserve_vcc 1
		.amdhsa_reserve_flat_scratch 1
		.amdhsa_float_round_mode_32 0
		.amdhsa_float_round_mode_16_64 0
		.amdhsa_float_denorm_mode_32 3
		.amdhsa_float_denorm_mode_16_64 3
		.amdhsa_dx10_clamp 1
		.amdhsa_ieee_mode 1
		.amdhsa_fp16_overflow 0
		.amdhsa_tg_split 0
		.amdhsa_exception_fp_ieee_invalid_op 0
		.amdhsa_exception_fp_denorm_src 0
		.amdhsa_exception_fp_ieee_div_zero 0
		.amdhsa_exception_fp_ieee_overflow 0
		.amdhsa_exception_fp_ieee_underflow 0
		.amdhsa_exception_fp_ieee_inexact 0
		.amdhsa_exception_int_div_zero 0
	.end_amdhsa_kernel
	.section	.text._Z39paged_attention_ll4mi_QKV_mfma16_kernelIDF16_hLN4vllm18Fp8KVCacheDataTypeE1EDF16_Li16ELi64ELi256ELb0ELi15EL8MFMAType1EEvPKT_PKT0_S8_ifPKiSA_SA_iPKfiiiPfSD_PS3_PT2_iSC_SC_,"axG",@progbits,_Z39paged_attention_ll4mi_QKV_mfma16_kernelIDF16_hLN4vllm18Fp8KVCacheDataTypeE1EDF16_Li16ELi64ELi256ELb0ELi15EL8MFMAType1EEvPKT_PKT0_S8_ifPKiSA_SA_iPKfiiiPfSD_PS3_PT2_iSC_SC_,comdat
.Lfunc_end420:
	.size	_Z39paged_attention_ll4mi_QKV_mfma16_kernelIDF16_hLN4vllm18Fp8KVCacheDataTypeE1EDF16_Li16ELi64ELi256ELb0ELi15EL8MFMAType1EEvPKT_PKT0_S8_ifPKiSA_SA_iPKfiiiPfSD_PS3_PT2_iSC_SC_, .Lfunc_end420-_Z39paged_attention_ll4mi_QKV_mfma16_kernelIDF16_hLN4vllm18Fp8KVCacheDataTypeE1EDF16_Li16ELi64ELi256ELb0ELi15EL8MFMAType1EEvPKT_PKT0_S8_ifPKiSA_SA_iPKfiiiPfSD_PS3_PT2_iSC_SC_
                                        ; -- End function
	.section	.AMDGPU.csdata,"",@progbits
; Kernel info:
; codeLenInByte = 504
; NumSgprs: 40
; NumVgprs: 42
; NumAgprs: 1
; TotalNumVgprs: 45
; ScratchSize: 64
; MemoryBound: 0
; FloatMode: 240
; IeeeMode: 1
; LDSByteSize: 8192 bytes/workgroup (compile time only)
; SGPRBlocks: 4
; VGPRBlocks: 5
; NumSGPRsForWavesPerEU: 40
; NumVGPRsForWavesPerEU: 45
; AccumOffset: 44
; Occupancy: 8
; WaveLimiterHint : 1
; COMPUTE_PGM_RSRC2:SCRATCH_EN: 1
; COMPUTE_PGM_RSRC2:USER_SGPR: 8
; COMPUTE_PGM_RSRC2:TRAP_HANDLER: 0
; COMPUTE_PGM_RSRC2:TGID_X_EN: 1
; COMPUTE_PGM_RSRC2:TGID_Y_EN: 1
; COMPUTE_PGM_RSRC2:TGID_Z_EN: 1
; COMPUTE_PGM_RSRC2:TIDIG_COMP_CNT: 0
; COMPUTE_PGM_RSRC3_GFX90A:ACCUM_OFFSET: 10
; COMPUTE_PGM_RSRC3_GFX90A:TG_SPLIT: 0
	.section	.text._Z39paged_attention_ll4mi_QKV_mfma16_kernelIDF16_hLN4vllm18Fp8KVCacheDataTypeE1EDF16_Li16ELi64ELi256ELb0ELi16EL8MFMAType1EEvPKT_PKT0_S8_ifPKiSA_SA_iPKfiiiPfSD_PS3_PT2_iSC_SC_,"axG",@progbits,_Z39paged_attention_ll4mi_QKV_mfma16_kernelIDF16_hLN4vllm18Fp8KVCacheDataTypeE1EDF16_Li16ELi64ELi256ELb0ELi16EL8MFMAType1EEvPKT_PKT0_S8_ifPKiSA_SA_iPKfiiiPfSD_PS3_PT2_iSC_SC_,comdat
	.protected	_Z39paged_attention_ll4mi_QKV_mfma16_kernelIDF16_hLN4vllm18Fp8KVCacheDataTypeE1EDF16_Li16ELi64ELi256ELb0ELi16EL8MFMAType1EEvPKT_PKT0_S8_ifPKiSA_SA_iPKfiiiPfSD_PS3_PT2_iSC_SC_ ; -- Begin function _Z39paged_attention_ll4mi_QKV_mfma16_kernelIDF16_hLN4vllm18Fp8KVCacheDataTypeE1EDF16_Li16ELi64ELi256ELb0ELi16EL8MFMAType1EEvPKT_PKT0_S8_ifPKiSA_SA_iPKfiiiPfSD_PS3_PT2_iSC_SC_
	.globl	_Z39paged_attention_ll4mi_QKV_mfma16_kernelIDF16_hLN4vllm18Fp8KVCacheDataTypeE1EDF16_Li16ELi64ELi256ELb0ELi16EL8MFMAType1EEvPKT_PKT0_S8_ifPKiSA_SA_iPKfiiiPfSD_PS3_PT2_iSC_SC_
	.p2align	8
	.type	_Z39paged_attention_ll4mi_QKV_mfma16_kernelIDF16_hLN4vllm18Fp8KVCacheDataTypeE1EDF16_Li16ELi64ELi256ELb0ELi16EL8MFMAType1EEvPKT_PKT0_S8_ifPKiSA_SA_iPKfiiiPfSD_PS3_PT2_iSC_SC_,@function
_Z39paged_attention_ll4mi_QKV_mfma16_kernelIDF16_hLN4vllm18Fp8KVCacheDataTypeE1EDF16_Li16ELi64ELi256ELb0ELi16EL8MFMAType1EEvPKT_PKT0_S8_ifPKiSA_SA_iPKfiiiPfSD_PS3_PT2_iSC_SC_: ; @_Z39paged_attention_ll4mi_QKV_mfma16_kernelIDF16_hLN4vllm18Fp8KVCacheDataTypeE1EDF16_Li16ELi64ELi256ELb0ELi16EL8MFMAType1EEvPKT_PKT0_S8_ifPKiSA_SA_iPKfiiiPfSD_PS3_PT2_iSC_SC_
; %bb.0:
	s_load_dwordx2 s[12:13], s[4:5], 0x30
	s_add_u32 flat_scratch_lo, s6, s11
	s_addc_u32 flat_scratch_hi, s7, 0
	s_add_u32 s0, s0, s11
	s_addc_u32 s1, s1, 0
	s_waitcnt lgkmcnt(0)
	s_cmp_lg_u64 s[12:13], 0
	s_cselect_b64 s[14:15], -1, 0
	s_mov_b32 s6, s9
	s_mov_b64 s[16:17], 0
	s_and_b64 vcc, exec, s[14:15]
	s_mov_b32 s32, 0
	s_cbranch_vccz .LBB421_11
; %bb.1:
	s_add_i32 s18, s8, 1
	s_mov_b32 s19, 0
	s_lshl_b64 s[20:21], s[18:19], 2
	s_add_u32 s20, s12, s20
	s_mov_b32 s9, s19
	s_addc_u32 s21, s13, s21
	s_lshl_b64 s[18:19], s[8:9], 2
	s_add_u32 s18, s12, s18
	s_addc_u32 s19, s13, s19
	s_load_dword s7, s[20:21], 0x0
	s_load_dword s11, s[18:19], 0x0
	s_waitcnt lgkmcnt(0)
	s_sub_i32 s7, s7, s11
	s_cmp_eq_u32 s7, 1
	s_cselect_b64 s[18:19], -1, 0
	s_andn2_b64 vcc, exec, s[16:17]
	s_cbranch_vccnz .LBB421_3
.LBB421_2:
	s_mov_b32 s9, 0
	s_mov_b64 s[18:19], -1
.LBB421_3:
	s_andn2_b64 vcc, exec, s[18:19]
	s_cbranch_vccnz .LBB421_10
; %bb.4:
	s_load_dwordx2 s[18:19], s[4:5], 0x28
	s_lshl_b64 s[16:17], s[8:9], 2
	s_waitcnt lgkmcnt(0)
	s_add_u32 s18, s18, s16
	s_addc_u32 s19, s19, s17
	s_load_dword s7, s[18:19], 0x0
	s_lshl_b32 s6, s6, 8
	s_waitcnt lgkmcnt(0)
	s_cmp_ge_i32 s6, s7
	s_cbranch_scc1 .LBB421_10
; %bb.5:
	s_andn2_b64 vcc, exec, s[14:15]
	s_cbranch_vccnz .LBB421_7
; %bb.6:
	s_add_u32 s6, s12, s16
	s_addc_u32 s7, s13, s17
	s_load_dword s8, s[6:7], 0x0
.LBB421_7:
	v_and_b32_e32 v1, 15, v0
	s_movk_i32 s6, 0x100
	v_cmp_gt_u32_e32 vcc, s6, v0
	v_cmp_gt_u32_e64 s[6:7], 8, v1
	s_and_b64 s[12:13], vcc, s[6:7]
	s_and_saveexec_b64 s[6:7], s[12:13]
	s_cbranch_execz .LBB421_9
; %bb.8:
	s_load_dword s9, s[4:5], 0x48
	s_load_dwordx2 s[12:13], s[4:5], 0x0
	v_lshrrev_b32_e32 v6, 4, v0
	v_lshlrev_b32_e32 v0, 4, v0
	v_and_b32_e32 v0, 16, v0
	s_waitcnt lgkmcnt(0)
	s_ashr_i32 s11, s9, 31
	s_mul_hi_u32 s15, s8, s9
	s_mul_i32 s14, s8, s9
	s_mul_i32 s8, s8, s11
	s_add_i32 s15, s15, s8
	s_lshl_b64 s[8:9], s[14:15], 1
	s_add_u32 s8, s12, s8
	s_addc_u32 s9, s13, s9
	s_lshl_b32 s10, s10, 10
	v_lshl_or_b32 v2, v6, 6, s10
	v_ashrrev_i32_e32 v3, 31, v2
	v_lshlrev_b64 v[2:3], 1, v[2:3]
	v_mov_b32_e32 v4, s9
	v_add_co_u32_e32 v2, vcc, s8, v2
	v_addc_co_u32_e32 v3, vcc, v4, v3, vcc
	v_lshlrev_b32_e32 v4, 4, v1
	v_add_co_u32_e32 v2, vcc, v2, v4
	v_addc_co_u32_e32 v3, vcc, 0, v3, vcc
	global_load_dwordx4 v[2:5], v[2:3], off
	v_lshlrev_b32_e32 v1, 8, v1
	v_lshlrev_b32_e32 v6, 5, v6
	v_and_b32_e32 v1, 0xe00, v1
	v_or3_b32 v0, v1, v6, v0
	s_waitcnt vmcnt(0)
	ds_write_b128 v0, v[2:5]
.LBB421_9:
	s_or_b64 exec, exec, s[6:7]
	s_waitcnt lgkmcnt(0)
	s_add_u32 s8, s4, 0x90
	s_addc_u32 s9, s5, 0
	s_getpc_b64 s[4:5]
	s_add_u32 s4, s4, __PRETTY_FUNCTION__._Z39paged_attention_ll4mi_QKV_mfma16_kernelIDF16_hLN4vllm18Fp8KVCacheDataTypeE1EDF16_Li16ELi64ELi256ELb0ELi16EL8MFMAType1EEvPKT_PKT0_S8_ifPKiSA_SA_iPKfiiiPfSD_PS3_PT2_iSC_SC_@rel32@lo+4
	s_addc_u32 s5, s5, __PRETTY_FUNCTION__._Z39paged_attention_ll4mi_QKV_mfma16_kernelIDF16_hLN4vllm18Fp8KVCacheDataTypeE1EDF16_Li16ELi64ELi256ELb0ELi16EL8MFMAType1EEvPKT_PKT0_S8_ifPKiSA_SA_iPKfiiiPfSD_PS3_PT2_iSC_SC_@rel32@hi+12
	v_mov_b32_e32 v0, 0x288
	v_mov_b32_e32 v1, s4
	;; [unrolled: 1-line block ×3, first 2 shown]
	s_barrier
	s_getpc_b64 s[6:7]
	s_add_u32 s6, s6, __assert_fail@rel32@lo+4
	s_addc_u32 s7, s7, __assert_fail@rel32@hi+12
	s_swappc_b64 s[30:31], s[6:7]
	; divergent unreachable
.LBB421_10:
	s_endpgm
.LBB421_11:
	s_mov_b64 s[18:19], 0
	s_branch .LBB421_2
	.section	.rodata,"a",@progbits
	.p2align	6, 0x0
	.amdhsa_kernel _Z39paged_attention_ll4mi_QKV_mfma16_kernelIDF16_hLN4vllm18Fp8KVCacheDataTypeE1EDF16_Li16ELi64ELi256ELb0ELi16EL8MFMAType1EEvPKT_PKT0_S8_ifPKiSA_SA_iPKfiiiPfSD_PS3_PT2_iSC_SC_
		.amdhsa_group_segment_fixed_size 8192
		.amdhsa_private_segment_fixed_size 64
		.amdhsa_kernarg_size 400
		.amdhsa_user_sgpr_count 8
		.amdhsa_user_sgpr_private_segment_buffer 1
		.amdhsa_user_sgpr_dispatch_ptr 0
		.amdhsa_user_sgpr_queue_ptr 0
		.amdhsa_user_sgpr_kernarg_segment_ptr 1
		.amdhsa_user_sgpr_dispatch_id 0
		.amdhsa_user_sgpr_flat_scratch_init 1
		.amdhsa_user_sgpr_kernarg_preload_length 0
		.amdhsa_user_sgpr_kernarg_preload_offset 0
		.amdhsa_user_sgpr_private_segment_size 0
		.amdhsa_uses_dynamic_stack 0
		.amdhsa_system_sgpr_private_segment_wavefront_offset 1
		.amdhsa_system_sgpr_workgroup_id_x 1
		.amdhsa_system_sgpr_workgroup_id_y 1
		.amdhsa_system_sgpr_workgroup_id_z 1
		.amdhsa_system_sgpr_workgroup_info 0
		.amdhsa_system_vgpr_workitem_id 0
		.amdhsa_next_free_vgpr 45
		.amdhsa_next_free_sgpr 34
		.amdhsa_accum_offset 44
		.amdhsa_reserve_vcc 1
		.amdhsa_reserve_flat_scratch 1
		.amdhsa_float_round_mode_32 0
		.amdhsa_float_round_mode_16_64 0
		.amdhsa_float_denorm_mode_32 3
		.amdhsa_float_denorm_mode_16_64 3
		.amdhsa_dx10_clamp 1
		.amdhsa_ieee_mode 1
		.amdhsa_fp16_overflow 0
		.amdhsa_tg_split 0
		.amdhsa_exception_fp_ieee_invalid_op 0
		.amdhsa_exception_fp_denorm_src 0
		.amdhsa_exception_fp_ieee_div_zero 0
		.amdhsa_exception_fp_ieee_overflow 0
		.amdhsa_exception_fp_ieee_underflow 0
		.amdhsa_exception_fp_ieee_inexact 0
		.amdhsa_exception_int_div_zero 0
	.end_amdhsa_kernel
	.section	.text._Z39paged_attention_ll4mi_QKV_mfma16_kernelIDF16_hLN4vllm18Fp8KVCacheDataTypeE1EDF16_Li16ELi64ELi256ELb0ELi16EL8MFMAType1EEvPKT_PKT0_S8_ifPKiSA_SA_iPKfiiiPfSD_PS3_PT2_iSC_SC_,"axG",@progbits,_Z39paged_attention_ll4mi_QKV_mfma16_kernelIDF16_hLN4vllm18Fp8KVCacheDataTypeE1EDF16_Li16ELi64ELi256ELb0ELi16EL8MFMAType1EEvPKT_PKT0_S8_ifPKiSA_SA_iPKfiiiPfSD_PS3_PT2_iSC_SC_,comdat
.Lfunc_end421:
	.size	_Z39paged_attention_ll4mi_QKV_mfma16_kernelIDF16_hLN4vllm18Fp8KVCacheDataTypeE1EDF16_Li16ELi64ELi256ELb0ELi16EL8MFMAType1EEvPKT_PKT0_S8_ifPKiSA_SA_iPKfiiiPfSD_PS3_PT2_iSC_SC_, .Lfunc_end421-_Z39paged_attention_ll4mi_QKV_mfma16_kernelIDF16_hLN4vllm18Fp8KVCacheDataTypeE1EDF16_Li16ELi64ELi256ELb0ELi16EL8MFMAType1EEvPKT_PKT0_S8_ifPKiSA_SA_iPKfiiiPfSD_PS3_PT2_iSC_SC_
                                        ; -- End function
	.section	.AMDGPU.csdata,"",@progbits
; Kernel info:
; codeLenInByte = 504
; NumSgprs: 40
; NumVgprs: 42
; NumAgprs: 1
; TotalNumVgprs: 45
; ScratchSize: 64
; MemoryBound: 0
; FloatMode: 240
; IeeeMode: 1
; LDSByteSize: 8192 bytes/workgroup (compile time only)
; SGPRBlocks: 4
; VGPRBlocks: 5
; NumSGPRsForWavesPerEU: 40
; NumVGPRsForWavesPerEU: 45
; AccumOffset: 44
; Occupancy: 8
; WaveLimiterHint : 1
; COMPUTE_PGM_RSRC2:SCRATCH_EN: 1
; COMPUTE_PGM_RSRC2:USER_SGPR: 8
; COMPUTE_PGM_RSRC2:TRAP_HANDLER: 0
; COMPUTE_PGM_RSRC2:TGID_X_EN: 1
; COMPUTE_PGM_RSRC2:TGID_Y_EN: 1
; COMPUTE_PGM_RSRC2:TGID_Z_EN: 1
; COMPUTE_PGM_RSRC2:TIDIG_COMP_CNT: 0
; COMPUTE_PGM_RSRC3_GFX90A:ACCUM_OFFSET: 10
; COMPUTE_PGM_RSRC3_GFX90A:TG_SPLIT: 0
	.section	.text._Z39paged_attention_ll4mi_QKV_mfma16_kernelIDF16_hLN4vllm18Fp8KVCacheDataTypeE1EDF16_Li16ELi64ELi256ELb0ELi1EL8MFMAType1EEvPKT_PKT0_S8_ifPKiSA_SA_iPKfiiiPfSD_PS3_PT2_iSC_SC_,"axG",@progbits,_Z39paged_attention_ll4mi_QKV_mfma16_kernelIDF16_hLN4vllm18Fp8KVCacheDataTypeE1EDF16_Li16ELi64ELi256ELb0ELi1EL8MFMAType1EEvPKT_PKT0_S8_ifPKiSA_SA_iPKfiiiPfSD_PS3_PT2_iSC_SC_,comdat
	.protected	_Z39paged_attention_ll4mi_QKV_mfma16_kernelIDF16_hLN4vllm18Fp8KVCacheDataTypeE1EDF16_Li16ELi64ELi256ELb0ELi1EL8MFMAType1EEvPKT_PKT0_S8_ifPKiSA_SA_iPKfiiiPfSD_PS3_PT2_iSC_SC_ ; -- Begin function _Z39paged_attention_ll4mi_QKV_mfma16_kernelIDF16_hLN4vllm18Fp8KVCacheDataTypeE1EDF16_Li16ELi64ELi256ELb0ELi1EL8MFMAType1EEvPKT_PKT0_S8_ifPKiSA_SA_iPKfiiiPfSD_PS3_PT2_iSC_SC_
	.globl	_Z39paged_attention_ll4mi_QKV_mfma16_kernelIDF16_hLN4vllm18Fp8KVCacheDataTypeE1EDF16_Li16ELi64ELi256ELb0ELi1EL8MFMAType1EEvPKT_PKT0_S8_ifPKiSA_SA_iPKfiiiPfSD_PS3_PT2_iSC_SC_
	.p2align	8
	.type	_Z39paged_attention_ll4mi_QKV_mfma16_kernelIDF16_hLN4vllm18Fp8KVCacheDataTypeE1EDF16_Li16ELi64ELi256ELb0ELi1EL8MFMAType1EEvPKT_PKT0_S8_ifPKiSA_SA_iPKfiiiPfSD_PS3_PT2_iSC_SC_,@function
_Z39paged_attention_ll4mi_QKV_mfma16_kernelIDF16_hLN4vllm18Fp8KVCacheDataTypeE1EDF16_Li16ELi64ELi256ELb0ELi1EL8MFMAType1EEvPKT_PKT0_S8_ifPKiSA_SA_iPKfiiiPfSD_PS3_PT2_iSC_SC_: ; @_Z39paged_attention_ll4mi_QKV_mfma16_kernelIDF16_hLN4vllm18Fp8KVCacheDataTypeE1EDF16_Li16ELi64ELi256ELb0ELi1EL8MFMAType1EEvPKT_PKT0_S8_ifPKiSA_SA_iPKfiiiPfSD_PS3_PT2_iSC_SC_
; %bb.0:
	s_load_dwordx2 s[12:13], s[4:5], 0x30
	s_add_u32 flat_scratch_lo, s6, s11
	s_addc_u32 flat_scratch_hi, s7, 0
	s_add_u32 s0, s0, s11
	s_addc_u32 s1, s1, 0
	s_waitcnt lgkmcnt(0)
	s_cmp_lg_u64 s[12:13], 0
	s_cselect_b64 s[14:15], -1, 0
	s_mov_b32 s6, s9
	s_mov_b64 s[16:17], 0
	s_and_b64 vcc, exec, s[14:15]
	s_mov_b32 s32, 0
	s_cbranch_vccz .LBB422_11
; %bb.1:
	s_add_i32 s18, s8, 1
	s_mov_b32 s19, 0
	s_lshl_b64 s[20:21], s[18:19], 2
	s_add_u32 s20, s12, s20
	s_mov_b32 s9, s19
	s_addc_u32 s21, s13, s21
	s_lshl_b64 s[18:19], s[8:9], 2
	s_add_u32 s18, s12, s18
	s_addc_u32 s19, s13, s19
	s_load_dword s7, s[20:21], 0x0
	s_load_dword s11, s[18:19], 0x0
	s_waitcnt lgkmcnt(0)
	s_sub_i32 s7, s7, s11
	s_cmp_eq_u32 s7, 1
	s_cselect_b64 s[18:19], -1, 0
	s_andn2_b64 vcc, exec, s[16:17]
	s_cbranch_vccnz .LBB422_3
.LBB422_2:
	s_mov_b32 s9, 0
	s_mov_b64 s[18:19], -1
.LBB422_3:
	s_andn2_b64 vcc, exec, s[18:19]
	s_cbranch_vccnz .LBB422_10
; %bb.4:
	s_load_dwordx2 s[18:19], s[4:5], 0x28
	s_lshl_b64 s[16:17], s[8:9], 2
	s_waitcnt lgkmcnt(0)
	s_add_u32 s18, s18, s16
	s_addc_u32 s19, s19, s17
	s_load_dword s7, s[18:19], 0x0
	s_lshl_b32 s6, s6, 8
	s_waitcnt lgkmcnt(0)
	s_cmp_ge_i32 s6, s7
	s_cbranch_scc1 .LBB422_10
; %bb.5:
	s_andn2_b64 vcc, exec, s[14:15]
	s_cbranch_vccnz .LBB422_7
; %bb.6:
	s_add_u32 s6, s12, s16
	s_addc_u32 s7, s13, s17
	s_load_dword s8, s[6:7], 0x0
.LBB422_7:
	v_cmp_gt_u32_e32 vcc, 8, v0
	s_and_saveexec_b64 s[6:7], vcc
	s_cbranch_execz .LBB422_9
; %bb.8:
	s_load_dword s9, s[4:5], 0x48
	s_load_dwordx2 s[12:13], s[4:5], 0x0
	v_lshlrev_b32_e32 v1, 4, v0
	v_lshlrev_b32_e32 v0, 8, v0
	s_waitcnt lgkmcnt(0)
	s_ashr_i32 s11, s9, 31
	s_mul_hi_u32 s15, s8, s9
	s_mul_i32 s14, s8, s9
	s_mul_i32 s8, s8, s11
	s_add_i32 s15, s15, s8
	s_lshl_b64 s[8:9], s[14:15], 1
	s_add_u32 s11, s12, s8
	s_addc_u32 s12, s13, s9
	s_lshl_b32 s8, s10, 6
	s_ashr_i32 s9, s8, 31
	s_lshl_b64 s[8:9], s[8:9], 1
	s_add_u32 s8, s11, s8
	s_addc_u32 s9, s12, s9
	global_load_dwordx4 v[2:5], v1, s[8:9]
	v_and_b32_e32 v1, 16, v1
	s_mov_b32 s8, 0xfe00
	v_and_or_b32 v0, v0, s8, v1
	s_waitcnt vmcnt(0)
	ds_write_b128 v0, v[2:5]
.LBB422_9:
	s_or_b64 exec, exec, s[6:7]
	s_waitcnt lgkmcnt(0)
	s_add_u32 s8, s4, 0x90
	s_addc_u32 s9, s5, 0
	s_getpc_b64 s[4:5]
	s_add_u32 s4, s4, __PRETTY_FUNCTION__._Z39paged_attention_ll4mi_QKV_mfma16_kernelIDF16_hLN4vllm18Fp8KVCacheDataTypeE1EDF16_Li16ELi64ELi256ELb0ELi1EL8MFMAType1EEvPKT_PKT0_S8_ifPKiSA_SA_iPKfiiiPfSD_PS3_PT2_iSC_SC_@rel32@lo+4
	s_addc_u32 s5, s5, __PRETTY_FUNCTION__._Z39paged_attention_ll4mi_QKV_mfma16_kernelIDF16_hLN4vllm18Fp8KVCacheDataTypeE1EDF16_Li16ELi64ELi256ELb0ELi1EL8MFMAType1EEvPKT_PKT0_S8_ifPKiSA_SA_iPKfiiiPfSD_PS3_PT2_iSC_SC_@rel32@hi+12
	v_mov_b32_e32 v0, 0x288
	v_mov_b32_e32 v1, s4
	;; [unrolled: 1-line block ×3, first 2 shown]
	s_barrier
	s_getpc_b64 s[6:7]
	s_add_u32 s6, s6, __assert_fail@rel32@lo+4
	s_addc_u32 s7, s7, __assert_fail@rel32@hi+12
	s_swappc_b64 s[30:31], s[6:7]
	; divergent unreachable
.LBB422_10:
	s_endpgm
.LBB422_11:
	s_mov_b64 s[18:19], 0
	s_branch .LBB422_2
	.section	.rodata,"a",@progbits
	.p2align	6, 0x0
	.amdhsa_kernel _Z39paged_attention_ll4mi_QKV_mfma16_kernelIDF16_hLN4vllm18Fp8KVCacheDataTypeE1EDF16_Li16ELi64ELi256ELb0ELi1EL8MFMAType1EEvPKT_PKT0_S8_ifPKiSA_SA_iPKfiiiPfSD_PS3_PT2_iSC_SC_
		.amdhsa_group_segment_fixed_size 8192
		.amdhsa_private_segment_fixed_size 64
		.amdhsa_kernarg_size 400
		.amdhsa_user_sgpr_count 8
		.amdhsa_user_sgpr_private_segment_buffer 1
		.amdhsa_user_sgpr_dispatch_ptr 0
		.amdhsa_user_sgpr_queue_ptr 0
		.amdhsa_user_sgpr_kernarg_segment_ptr 1
		.amdhsa_user_sgpr_dispatch_id 0
		.amdhsa_user_sgpr_flat_scratch_init 1
		.amdhsa_user_sgpr_kernarg_preload_length 0
		.amdhsa_user_sgpr_kernarg_preload_offset 0
		.amdhsa_user_sgpr_private_segment_size 0
		.amdhsa_uses_dynamic_stack 0
		.amdhsa_system_sgpr_private_segment_wavefront_offset 1
		.amdhsa_system_sgpr_workgroup_id_x 1
		.amdhsa_system_sgpr_workgroup_id_y 1
		.amdhsa_system_sgpr_workgroup_id_z 1
		.amdhsa_system_sgpr_workgroup_info 0
		.amdhsa_system_vgpr_workitem_id 0
		.amdhsa_next_free_vgpr 45
		.amdhsa_next_free_sgpr 34
		.amdhsa_accum_offset 44
		.amdhsa_reserve_vcc 1
		.amdhsa_reserve_flat_scratch 1
		.amdhsa_float_round_mode_32 0
		.amdhsa_float_round_mode_16_64 0
		.amdhsa_float_denorm_mode_32 3
		.amdhsa_float_denorm_mode_16_64 3
		.amdhsa_dx10_clamp 1
		.amdhsa_ieee_mode 1
		.amdhsa_fp16_overflow 0
		.amdhsa_tg_split 0
		.amdhsa_exception_fp_ieee_invalid_op 0
		.amdhsa_exception_fp_denorm_src 0
		.amdhsa_exception_fp_ieee_div_zero 0
		.amdhsa_exception_fp_ieee_overflow 0
		.amdhsa_exception_fp_ieee_underflow 0
		.amdhsa_exception_fp_ieee_inexact 0
		.amdhsa_exception_int_div_zero 0
	.end_amdhsa_kernel
	.section	.text._Z39paged_attention_ll4mi_QKV_mfma16_kernelIDF16_hLN4vllm18Fp8KVCacheDataTypeE1EDF16_Li16ELi64ELi256ELb0ELi1EL8MFMAType1EEvPKT_PKT0_S8_ifPKiSA_SA_iPKfiiiPfSD_PS3_PT2_iSC_SC_,"axG",@progbits,_Z39paged_attention_ll4mi_QKV_mfma16_kernelIDF16_hLN4vllm18Fp8KVCacheDataTypeE1EDF16_Li16ELi64ELi256ELb0ELi1EL8MFMAType1EEvPKT_PKT0_S8_ifPKiSA_SA_iPKfiiiPfSD_PS3_PT2_iSC_SC_,comdat
.Lfunc_end422:
	.size	_Z39paged_attention_ll4mi_QKV_mfma16_kernelIDF16_hLN4vllm18Fp8KVCacheDataTypeE1EDF16_Li16ELi64ELi256ELb0ELi1EL8MFMAType1EEvPKT_PKT0_S8_ifPKiSA_SA_iPKfiiiPfSD_PS3_PT2_iSC_SC_, .Lfunc_end422-_Z39paged_attention_ll4mi_QKV_mfma16_kernelIDF16_hLN4vllm18Fp8KVCacheDataTypeE1EDF16_Li16ELi64ELi256ELb0ELi1EL8MFMAType1EEvPKT_PKT0_S8_ifPKiSA_SA_iPKfiiiPfSD_PS3_PT2_iSC_SC_
                                        ; -- End function
	.section	.AMDGPU.csdata,"",@progbits
; Kernel info:
; codeLenInByte = 448
; NumSgprs: 40
; NumVgprs: 42
; NumAgprs: 1
; TotalNumVgprs: 45
; ScratchSize: 64
; MemoryBound: 0
; FloatMode: 240
; IeeeMode: 1
; LDSByteSize: 8192 bytes/workgroup (compile time only)
; SGPRBlocks: 4
; VGPRBlocks: 5
; NumSGPRsForWavesPerEU: 40
; NumVGPRsForWavesPerEU: 45
; AccumOffset: 44
; Occupancy: 8
; WaveLimiterHint : 1
; COMPUTE_PGM_RSRC2:SCRATCH_EN: 1
; COMPUTE_PGM_RSRC2:USER_SGPR: 8
; COMPUTE_PGM_RSRC2:TRAP_HANDLER: 0
; COMPUTE_PGM_RSRC2:TGID_X_EN: 1
; COMPUTE_PGM_RSRC2:TGID_Y_EN: 1
; COMPUTE_PGM_RSRC2:TGID_Z_EN: 1
; COMPUTE_PGM_RSRC2:TIDIG_COMP_CNT: 0
; COMPUTE_PGM_RSRC3_GFX90A:ACCUM_OFFSET: 10
; COMPUTE_PGM_RSRC3_GFX90A:TG_SPLIT: 0
	.section	.text._Z39paged_attention_ll4mi_QKV_mfma16_kernelIDF16_hLN4vllm18Fp8KVCacheDataTypeE1EDF16_Li16ELi64ELi256ELb0ELi2EL8MFMAType1EEvPKT_PKT0_S8_ifPKiSA_SA_iPKfiiiPfSD_PS3_PT2_iSC_SC_,"axG",@progbits,_Z39paged_attention_ll4mi_QKV_mfma16_kernelIDF16_hLN4vllm18Fp8KVCacheDataTypeE1EDF16_Li16ELi64ELi256ELb0ELi2EL8MFMAType1EEvPKT_PKT0_S8_ifPKiSA_SA_iPKfiiiPfSD_PS3_PT2_iSC_SC_,comdat
	.protected	_Z39paged_attention_ll4mi_QKV_mfma16_kernelIDF16_hLN4vllm18Fp8KVCacheDataTypeE1EDF16_Li16ELi64ELi256ELb0ELi2EL8MFMAType1EEvPKT_PKT0_S8_ifPKiSA_SA_iPKfiiiPfSD_PS3_PT2_iSC_SC_ ; -- Begin function _Z39paged_attention_ll4mi_QKV_mfma16_kernelIDF16_hLN4vllm18Fp8KVCacheDataTypeE1EDF16_Li16ELi64ELi256ELb0ELi2EL8MFMAType1EEvPKT_PKT0_S8_ifPKiSA_SA_iPKfiiiPfSD_PS3_PT2_iSC_SC_
	.globl	_Z39paged_attention_ll4mi_QKV_mfma16_kernelIDF16_hLN4vllm18Fp8KVCacheDataTypeE1EDF16_Li16ELi64ELi256ELb0ELi2EL8MFMAType1EEvPKT_PKT0_S8_ifPKiSA_SA_iPKfiiiPfSD_PS3_PT2_iSC_SC_
	.p2align	8
	.type	_Z39paged_attention_ll4mi_QKV_mfma16_kernelIDF16_hLN4vllm18Fp8KVCacheDataTypeE1EDF16_Li16ELi64ELi256ELb0ELi2EL8MFMAType1EEvPKT_PKT0_S8_ifPKiSA_SA_iPKfiiiPfSD_PS3_PT2_iSC_SC_,@function
_Z39paged_attention_ll4mi_QKV_mfma16_kernelIDF16_hLN4vllm18Fp8KVCacheDataTypeE1EDF16_Li16ELi64ELi256ELb0ELi2EL8MFMAType1EEvPKT_PKT0_S8_ifPKiSA_SA_iPKfiiiPfSD_PS3_PT2_iSC_SC_: ; @_Z39paged_attention_ll4mi_QKV_mfma16_kernelIDF16_hLN4vllm18Fp8KVCacheDataTypeE1EDF16_Li16ELi64ELi256ELb0ELi2EL8MFMAType1EEvPKT_PKT0_S8_ifPKiSA_SA_iPKfiiiPfSD_PS3_PT2_iSC_SC_
; %bb.0:
	s_load_dwordx2 s[12:13], s[4:5], 0x30
	s_add_u32 flat_scratch_lo, s6, s11
	s_addc_u32 flat_scratch_hi, s7, 0
	s_add_u32 s0, s0, s11
	s_addc_u32 s1, s1, 0
	s_waitcnt lgkmcnt(0)
	s_cmp_lg_u64 s[12:13], 0
	s_cselect_b64 s[14:15], -1, 0
	s_mov_b32 s6, s9
	s_mov_b64 s[16:17], 0
	s_and_b64 vcc, exec, s[14:15]
	s_mov_b32 s32, 0
	s_cbranch_vccz .LBB423_11
; %bb.1:
	s_add_i32 s18, s8, 1
	s_mov_b32 s19, 0
	s_lshl_b64 s[20:21], s[18:19], 2
	s_add_u32 s20, s12, s20
	s_mov_b32 s9, s19
	s_addc_u32 s21, s13, s21
	s_lshl_b64 s[18:19], s[8:9], 2
	s_add_u32 s18, s12, s18
	s_addc_u32 s19, s13, s19
	s_load_dword s7, s[20:21], 0x0
	s_load_dword s11, s[18:19], 0x0
	s_waitcnt lgkmcnt(0)
	s_sub_i32 s7, s7, s11
	s_cmp_eq_u32 s7, 1
	s_cselect_b64 s[18:19], -1, 0
	s_andn2_b64 vcc, exec, s[16:17]
	s_cbranch_vccnz .LBB423_3
.LBB423_2:
	s_mov_b32 s9, 0
	s_mov_b64 s[18:19], -1
.LBB423_3:
	s_andn2_b64 vcc, exec, s[18:19]
	s_cbranch_vccnz .LBB423_10
; %bb.4:
	s_load_dwordx2 s[18:19], s[4:5], 0x28
	s_lshl_b64 s[16:17], s[8:9], 2
	s_waitcnt lgkmcnt(0)
	s_add_u32 s18, s18, s16
	s_addc_u32 s19, s19, s17
	s_load_dword s7, s[18:19], 0x0
	s_lshl_b32 s6, s6, 8
	s_waitcnt lgkmcnt(0)
	s_cmp_ge_i32 s6, s7
	s_cbranch_scc1 .LBB423_10
; %bb.5:
	s_andn2_b64 vcc, exec, s[14:15]
	s_cbranch_vccnz .LBB423_7
; %bb.6:
	s_add_u32 s6, s12, s16
	s_addc_u32 s7, s13, s17
	s_load_dword s8, s[6:7], 0x0
.LBB423_7:
	v_and_b32_e32 v1, 15, v0
	v_cmp_gt_u32_e32 vcc, 32, v0
	v_cmp_gt_u32_e64 s[6:7], 8, v1
	s_and_b64 s[12:13], s[6:7], vcc
	s_and_saveexec_b64 s[6:7], s[12:13]
	s_cbranch_execz .LBB423_9
; %bb.8:
	s_load_dword s9, s[4:5], 0x48
	s_load_dwordx2 s[12:13], s[4:5], 0x0
	v_lshrrev_b32_e32 v6, 4, v0
	v_lshlrev_b32_e32 v0, 4, v0
	v_and_b32_e32 v0, 16, v0
	s_waitcnt lgkmcnt(0)
	s_ashr_i32 s11, s9, 31
	s_mul_hi_u32 s15, s8, s9
	s_mul_i32 s14, s8, s9
	s_mul_i32 s8, s8, s11
	s_add_i32 s15, s15, s8
	s_lshl_b64 s[8:9], s[14:15], 1
	s_add_u32 s8, s12, s8
	s_addc_u32 s9, s13, s9
	s_lshl_b32 s10, s10, 7
	v_lshl_or_b32 v2, v6, 6, s10
	v_ashrrev_i32_e32 v3, 31, v2
	v_lshlrev_b64 v[2:3], 1, v[2:3]
	v_mov_b32_e32 v4, s9
	v_add_co_u32_e32 v2, vcc, s8, v2
	v_addc_co_u32_e32 v3, vcc, v4, v3, vcc
	v_lshlrev_b32_e32 v4, 4, v1
	v_add_co_u32_e32 v2, vcc, v2, v4
	v_addc_co_u32_e32 v3, vcc, 0, v3, vcc
	global_load_dwordx4 v[2:5], v[2:3], off
	v_lshlrev_b32_e32 v1, 8, v1
	v_lshlrev_b32_e32 v6, 5, v6
	v_and_b32_e32 v1, 0xe00, v1
	v_or3_b32 v0, v1, v6, v0
	s_waitcnt vmcnt(0)
	ds_write_b128 v0, v[2:5]
.LBB423_9:
	s_or_b64 exec, exec, s[6:7]
	s_waitcnt lgkmcnt(0)
	s_add_u32 s8, s4, 0x90
	s_addc_u32 s9, s5, 0
	s_getpc_b64 s[4:5]
	s_add_u32 s4, s4, __PRETTY_FUNCTION__._Z39paged_attention_ll4mi_QKV_mfma16_kernelIDF16_hLN4vllm18Fp8KVCacheDataTypeE1EDF16_Li16ELi64ELi256ELb0ELi2EL8MFMAType1EEvPKT_PKT0_S8_ifPKiSA_SA_iPKfiiiPfSD_PS3_PT2_iSC_SC_@rel32@lo+4
	s_addc_u32 s5, s5, __PRETTY_FUNCTION__._Z39paged_attention_ll4mi_QKV_mfma16_kernelIDF16_hLN4vllm18Fp8KVCacheDataTypeE1EDF16_Li16ELi64ELi256ELb0ELi2EL8MFMAType1EEvPKT_PKT0_S8_ifPKiSA_SA_iPKfiiiPfSD_PS3_PT2_iSC_SC_@rel32@hi+12
	v_mov_b32_e32 v0, 0x288
	v_mov_b32_e32 v1, s4
	;; [unrolled: 1-line block ×3, first 2 shown]
	s_barrier
	s_getpc_b64 s[6:7]
	s_add_u32 s6, s6, __assert_fail@rel32@lo+4
	s_addc_u32 s7, s7, __assert_fail@rel32@hi+12
	s_swappc_b64 s[30:31], s[6:7]
	; divergent unreachable
.LBB423_10:
	s_endpgm
.LBB423_11:
	s_mov_b64 s[18:19], 0
	s_branch .LBB423_2
	.section	.rodata,"a",@progbits
	.p2align	6, 0x0
	.amdhsa_kernel _Z39paged_attention_ll4mi_QKV_mfma16_kernelIDF16_hLN4vllm18Fp8KVCacheDataTypeE1EDF16_Li16ELi64ELi256ELb0ELi2EL8MFMAType1EEvPKT_PKT0_S8_ifPKiSA_SA_iPKfiiiPfSD_PS3_PT2_iSC_SC_
		.amdhsa_group_segment_fixed_size 8192
		.amdhsa_private_segment_fixed_size 64
		.amdhsa_kernarg_size 400
		.amdhsa_user_sgpr_count 8
		.amdhsa_user_sgpr_private_segment_buffer 1
		.amdhsa_user_sgpr_dispatch_ptr 0
		.amdhsa_user_sgpr_queue_ptr 0
		.amdhsa_user_sgpr_kernarg_segment_ptr 1
		.amdhsa_user_sgpr_dispatch_id 0
		.amdhsa_user_sgpr_flat_scratch_init 1
		.amdhsa_user_sgpr_kernarg_preload_length 0
		.amdhsa_user_sgpr_kernarg_preload_offset 0
		.amdhsa_user_sgpr_private_segment_size 0
		.amdhsa_uses_dynamic_stack 0
		.amdhsa_system_sgpr_private_segment_wavefront_offset 1
		.amdhsa_system_sgpr_workgroup_id_x 1
		.amdhsa_system_sgpr_workgroup_id_y 1
		.amdhsa_system_sgpr_workgroup_id_z 1
		.amdhsa_system_sgpr_workgroup_info 0
		.amdhsa_system_vgpr_workitem_id 0
		.amdhsa_next_free_vgpr 45
		.amdhsa_next_free_sgpr 34
		.amdhsa_accum_offset 44
		.amdhsa_reserve_vcc 1
		.amdhsa_reserve_flat_scratch 1
		.amdhsa_float_round_mode_32 0
		.amdhsa_float_round_mode_16_64 0
		.amdhsa_float_denorm_mode_32 3
		.amdhsa_float_denorm_mode_16_64 3
		.amdhsa_dx10_clamp 1
		.amdhsa_ieee_mode 1
		.amdhsa_fp16_overflow 0
		.amdhsa_tg_split 0
		.amdhsa_exception_fp_ieee_invalid_op 0
		.amdhsa_exception_fp_denorm_src 0
		.amdhsa_exception_fp_ieee_div_zero 0
		.amdhsa_exception_fp_ieee_overflow 0
		.amdhsa_exception_fp_ieee_underflow 0
		.amdhsa_exception_fp_ieee_inexact 0
		.amdhsa_exception_int_div_zero 0
	.end_amdhsa_kernel
	.section	.text._Z39paged_attention_ll4mi_QKV_mfma16_kernelIDF16_hLN4vllm18Fp8KVCacheDataTypeE1EDF16_Li16ELi64ELi256ELb0ELi2EL8MFMAType1EEvPKT_PKT0_S8_ifPKiSA_SA_iPKfiiiPfSD_PS3_PT2_iSC_SC_,"axG",@progbits,_Z39paged_attention_ll4mi_QKV_mfma16_kernelIDF16_hLN4vllm18Fp8KVCacheDataTypeE1EDF16_Li16ELi64ELi256ELb0ELi2EL8MFMAType1EEvPKT_PKT0_S8_ifPKiSA_SA_iPKfiiiPfSD_PS3_PT2_iSC_SC_,comdat
.Lfunc_end423:
	.size	_Z39paged_attention_ll4mi_QKV_mfma16_kernelIDF16_hLN4vllm18Fp8KVCacheDataTypeE1EDF16_Li16ELi64ELi256ELb0ELi2EL8MFMAType1EEvPKT_PKT0_S8_ifPKiSA_SA_iPKfiiiPfSD_PS3_PT2_iSC_SC_, .Lfunc_end423-_Z39paged_attention_ll4mi_QKV_mfma16_kernelIDF16_hLN4vllm18Fp8KVCacheDataTypeE1EDF16_Li16ELi64ELi256ELb0ELi2EL8MFMAType1EEvPKT_PKT0_S8_ifPKiSA_SA_iPKfiiiPfSD_PS3_PT2_iSC_SC_
                                        ; -- End function
	.section	.AMDGPU.csdata,"",@progbits
; Kernel info:
; codeLenInByte = 500
; NumSgprs: 40
; NumVgprs: 42
; NumAgprs: 1
; TotalNumVgprs: 45
; ScratchSize: 64
; MemoryBound: 0
; FloatMode: 240
; IeeeMode: 1
; LDSByteSize: 8192 bytes/workgroup (compile time only)
; SGPRBlocks: 4
; VGPRBlocks: 5
; NumSGPRsForWavesPerEU: 40
; NumVGPRsForWavesPerEU: 45
; AccumOffset: 44
; Occupancy: 8
; WaveLimiterHint : 1
; COMPUTE_PGM_RSRC2:SCRATCH_EN: 1
; COMPUTE_PGM_RSRC2:USER_SGPR: 8
; COMPUTE_PGM_RSRC2:TRAP_HANDLER: 0
; COMPUTE_PGM_RSRC2:TGID_X_EN: 1
; COMPUTE_PGM_RSRC2:TGID_Y_EN: 1
; COMPUTE_PGM_RSRC2:TGID_Z_EN: 1
; COMPUTE_PGM_RSRC2:TIDIG_COMP_CNT: 0
; COMPUTE_PGM_RSRC3_GFX90A:ACCUM_OFFSET: 10
; COMPUTE_PGM_RSRC3_GFX90A:TG_SPLIT: 0
	.section	.text._Z39paged_attention_ll4mi_QKV_mfma16_kernelIDF16_hLN4vllm18Fp8KVCacheDataTypeE1EDF16_Li16ELi64ELi256ELb0ELi3EL8MFMAType1EEvPKT_PKT0_S8_ifPKiSA_SA_iPKfiiiPfSD_PS3_PT2_iSC_SC_,"axG",@progbits,_Z39paged_attention_ll4mi_QKV_mfma16_kernelIDF16_hLN4vllm18Fp8KVCacheDataTypeE1EDF16_Li16ELi64ELi256ELb0ELi3EL8MFMAType1EEvPKT_PKT0_S8_ifPKiSA_SA_iPKfiiiPfSD_PS3_PT2_iSC_SC_,comdat
	.protected	_Z39paged_attention_ll4mi_QKV_mfma16_kernelIDF16_hLN4vllm18Fp8KVCacheDataTypeE1EDF16_Li16ELi64ELi256ELb0ELi3EL8MFMAType1EEvPKT_PKT0_S8_ifPKiSA_SA_iPKfiiiPfSD_PS3_PT2_iSC_SC_ ; -- Begin function _Z39paged_attention_ll4mi_QKV_mfma16_kernelIDF16_hLN4vllm18Fp8KVCacheDataTypeE1EDF16_Li16ELi64ELi256ELb0ELi3EL8MFMAType1EEvPKT_PKT0_S8_ifPKiSA_SA_iPKfiiiPfSD_PS3_PT2_iSC_SC_
	.globl	_Z39paged_attention_ll4mi_QKV_mfma16_kernelIDF16_hLN4vllm18Fp8KVCacheDataTypeE1EDF16_Li16ELi64ELi256ELb0ELi3EL8MFMAType1EEvPKT_PKT0_S8_ifPKiSA_SA_iPKfiiiPfSD_PS3_PT2_iSC_SC_
	.p2align	8
	.type	_Z39paged_attention_ll4mi_QKV_mfma16_kernelIDF16_hLN4vllm18Fp8KVCacheDataTypeE1EDF16_Li16ELi64ELi256ELb0ELi3EL8MFMAType1EEvPKT_PKT0_S8_ifPKiSA_SA_iPKfiiiPfSD_PS3_PT2_iSC_SC_,@function
_Z39paged_attention_ll4mi_QKV_mfma16_kernelIDF16_hLN4vllm18Fp8KVCacheDataTypeE1EDF16_Li16ELi64ELi256ELb0ELi3EL8MFMAType1EEvPKT_PKT0_S8_ifPKiSA_SA_iPKfiiiPfSD_PS3_PT2_iSC_SC_: ; @_Z39paged_attention_ll4mi_QKV_mfma16_kernelIDF16_hLN4vllm18Fp8KVCacheDataTypeE1EDF16_Li16ELi64ELi256ELb0ELi3EL8MFMAType1EEvPKT_PKT0_S8_ifPKiSA_SA_iPKfiiiPfSD_PS3_PT2_iSC_SC_
; %bb.0:
	s_load_dwordx2 s[12:13], s[4:5], 0x30
	s_add_u32 flat_scratch_lo, s6, s11
	s_addc_u32 flat_scratch_hi, s7, 0
	s_add_u32 s0, s0, s11
	s_addc_u32 s1, s1, 0
	s_waitcnt lgkmcnt(0)
	s_cmp_lg_u64 s[12:13], 0
	s_cselect_b64 s[14:15], -1, 0
	s_mov_b32 s6, s9
	s_mov_b64 s[16:17], 0
	s_and_b64 vcc, exec, s[14:15]
	s_mov_b32 s32, 0
	s_cbranch_vccz .LBB424_11
; %bb.1:
	s_add_i32 s18, s8, 1
	s_mov_b32 s19, 0
	s_lshl_b64 s[20:21], s[18:19], 2
	s_add_u32 s20, s12, s20
	s_mov_b32 s9, s19
	s_addc_u32 s21, s13, s21
	s_lshl_b64 s[18:19], s[8:9], 2
	s_add_u32 s18, s12, s18
	s_addc_u32 s19, s13, s19
	s_load_dword s7, s[20:21], 0x0
	s_load_dword s11, s[18:19], 0x0
	s_waitcnt lgkmcnt(0)
	s_sub_i32 s7, s7, s11
	s_cmp_eq_u32 s7, 1
	s_cselect_b64 s[18:19], -1, 0
	s_andn2_b64 vcc, exec, s[16:17]
	s_cbranch_vccnz .LBB424_3
.LBB424_2:
	s_mov_b32 s9, 0
	s_mov_b64 s[18:19], -1
.LBB424_3:
	s_andn2_b64 vcc, exec, s[18:19]
	s_cbranch_vccnz .LBB424_10
; %bb.4:
	s_load_dwordx2 s[18:19], s[4:5], 0x28
	s_lshl_b64 s[16:17], s[8:9], 2
	s_waitcnt lgkmcnt(0)
	s_add_u32 s18, s18, s16
	s_addc_u32 s19, s19, s17
	s_load_dword s7, s[18:19], 0x0
	s_lshl_b32 s6, s6, 8
	s_waitcnt lgkmcnt(0)
	s_cmp_ge_i32 s6, s7
	s_cbranch_scc1 .LBB424_10
; %bb.5:
	s_andn2_b64 vcc, exec, s[14:15]
	s_cbranch_vccnz .LBB424_7
; %bb.6:
	s_add_u32 s6, s12, s16
	s_addc_u32 s7, s13, s17
	s_load_dword s8, s[6:7], 0x0
.LBB424_7:
	v_and_b32_e32 v1, 15, v0
	v_cmp_gt_u32_e32 vcc, 48, v0
	v_cmp_gt_u32_e64 s[6:7], 8, v1
	s_and_b64 s[12:13], s[6:7], vcc
	s_and_saveexec_b64 s[6:7], s[12:13]
	s_cbranch_execz .LBB424_9
; %bb.8:
	s_load_dword s11, s[4:5], 0x48
	s_load_dwordx2 s[12:13], s[4:5], 0x0
	v_lshrrev_b32_e32 v6, 4, v0
	s_mul_i32 s10, s10, 3
	v_add_lshl_u32 v2, v6, s10, 6
	s_waitcnt lgkmcnt(0)
	s_ashr_i32 s9, s11, 31
	s_mul_hi_u32 s14, s8, s11
	s_mul_i32 s9, s8, s9
	s_add_i32 s9, s14, s9
	s_mul_i32 s8, s8, s11
	s_lshl_b64 s[8:9], s[8:9], 1
	s_add_u32 s8, s12, s8
	v_ashrrev_i32_e32 v3, 31, v2
	s_addc_u32 s9, s13, s9
	v_lshlrev_b64 v[2:3], 1, v[2:3]
	v_mov_b32_e32 v4, s9
	v_add_co_u32_e32 v2, vcc, s8, v2
	v_addc_co_u32_e32 v3, vcc, v4, v3, vcc
	v_lshlrev_b32_e32 v4, 4, v1
	v_add_co_u32_e32 v2, vcc, v2, v4
	v_addc_co_u32_e32 v3, vcc, 0, v3, vcc
	global_load_dwordx4 v[2:5], v[2:3], off
	v_lshlrev_b32_e32 v0, 4, v0
	v_lshlrev_b32_e32 v1, 8, v1
	v_and_b32_e32 v0, 16, v0
	v_lshlrev_b32_e32 v6, 5, v6
	v_and_b32_e32 v1, 0xe00, v1
	v_or3_b32 v0, v1, v6, v0
	s_waitcnt vmcnt(0)
	ds_write_b128 v0, v[2:5]
.LBB424_9:
	s_or_b64 exec, exec, s[6:7]
	s_waitcnt lgkmcnt(0)
	s_add_u32 s8, s4, 0x90
	s_addc_u32 s9, s5, 0
	s_getpc_b64 s[4:5]
	s_add_u32 s4, s4, __PRETTY_FUNCTION__._Z39paged_attention_ll4mi_QKV_mfma16_kernelIDF16_hLN4vllm18Fp8KVCacheDataTypeE1EDF16_Li16ELi64ELi256ELb0ELi3EL8MFMAType1EEvPKT_PKT0_S8_ifPKiSA_SA_iPKfiiiPfSD_PS3_PT2_iSC_SC_@rel32@lo+4
	s_addc_u32 s5, s5, __PRETTY_FUNCTION__._Z39paged_attention_ll4mi_QKV_mfma16_kernelIDF16_hLN4vllm18Fp8KVCacheDataTypeE1EDF16_Li16ELi64ELi256ELb0ELi3EL8MFMAType1EEvPKT_PKT0_S8_ifPKiSA_SA_iPKfiiiPfSD_PS3_PT2_iSC_SC_@rel32@hi+12
	v_mov_b32_e32 v0, 0x288
	v_mov_b32_e32 v1, s4
	;; [unrolled: 1-line block ×3, first 2 shown]
	s_barrier
	s_getpc_b64 s[6:7]
	s_add_u32 s6, s6, __assert_fail@rel32@lo+4
	s_addc_u32 s7, s7, __assert_fail@rel32@hi+12
	s_swappc_b64 s[30:31], s[6:7]
	; divergent unreachable
.LBB424_10:
	s_endpgm
.LBB424_11:
	s_mov_b64 s[18:19], 0
	s_branch .LBB424_2
	.section	.rodata,"a",@progbits
	.p2align	6, 0x0
	.amdhsa_kernel _Z39paged_attention_ll4mi_QKV_mfma16_kernelIDF16_hLN4vllm18Fp8KVCacheDataTypeE1EDF16_Li16ELi64ELi256ELb0ELi3EL8MFMAType1EEvPKT_PKT0_S8_ifPKiSA_SA_iPKfiiiPfSD_PS3_PT2_iSC_SC_
		.amdhsa_group_segment_fixed_size 8192
		.amdhsa_private_segment_fixed_size 64
		.amdhsa_kernarg_size 400
		.amdhsa_user_sgpr_count 8
		.amdhsa_user_sgpr_private_segment_buffer 1
		.amdhsa_user_sgpr_dispatch_ptr 0
		.amdhsa_user_sgpr_queue_ptr 0
		.amdhsa_user_sgpr_kernarg_segment_ptr 1
		.amdhsa_user_sgpr_dispatch_id 0
		.amdhsa_user_sgpr_flat_scratch_init 1
		.amdhsa_user_sgpr_kernarg_preload_length 0
		.amdhsa_user_sgpr_kernarg_preload_offset 0
		.amdhsa_user_sgpr_private_segment_size 0
		.amdhsa_uses_dynamic_stack 0
		.amdhsa_system_sgpr_private_segment_wavefront_offset 1
		.amdhsa_system_sgpr_workgroup_id_x 1
		.amdhsa_system_sgpr_workgroup_id_y 1
		.amdhsa_system_sgpr_workgroup_id_z 1
		.amdhsa_system_sgpr_workgroup_info 0
		.amdhsa_system_vgpr_workitem_id 0
		.amdhsa_next_free_vgpr 45
		.amdhsa_next_free_sgpr 34
		.amdhsa_accum_offset 44
		.amdhsa_reserve_vcc 1
		.amdhsa_reserve_flat_scratch 1
		.amdhsa_float_round_mode_32 0
		.amdhsa_float_round_mode_16_64 0
		.amdhsa_float_denorm_mode_32 3
		.amdhsa_float_denorm_mode_16_64 3
		.amdhsa_dx10_clamp 1
		.amdhsa_ieee_mode 1
		.amdhsa_fp16_overflow 0
		.amdhsa_tg_split 0
		.amdhsa_exception_fp_ieee_invalid_op 0
		.amdhsa_exception_fp_denorm_src 0
		.amdhsa_exception_fp_ieee_div_zero 0
		.amdhsa_exception_fp_ieee_overflow 0
		.amdhsa_exception_fp_ieee_underflow 0
		.amdhsa_exception_fp_ieee_inexact 0
		.amdhsa_exception_int_div_zero 0
	.end_amdhsa_kernel
	.section	.text._Z39paged_attention_ll4mi_QKV_mfma16_kernelIDF16_hLN4vllm18Fp8KVCacheDataTypeE1EDF16_Li16ELi64ELi256ELb0ELi3EL8MFMAType1EEvPKT_PKT0_S8_ifPKiSA_SA_iPKfiiiPfSD_PS3_PT2_iSC_SC_,"axG",@progbits,_Z39paged_attention_ll4mi_QKV_mfma16_kernelIDF16_hLN4vllm18Fp8KVCacheDataTypeE1EDF16_Li16ELi64ELi256ELb0ELi3EL8MFMAType1EEvPKT_PKT0_S8_ifPKiSA_SA_iPKfiiiPfSD_PS3_PT2_iSC_SC_,comdat
.Lfunc_end424:
	.size	_Z39paged_attention_ll4mi_QKV_mfma16_kernelIDF16_hLN4vllm18Fp8KVCacheDataTypeE1EDF16_Li16ELi64ELi256ELb0ELi3EL8MFMAType1EEvPKT_PKT0_S8_ifPKiSA_SA_iPKfiiiPfSD_PS3_PT2_iSC_SC_, .Lfunc_end424-_Z39paged_attention_ll4mi_QKV_mfma16_kernelIDF16_hLN4vllm18Fp8KVCacheDataTypeE1EDF16_Li16ELi64ELi256ELb0ELi3EL8MFMAType1EEvPKT_PKT0_S8_ifPKiSA_SA_iPKfiiiPfSD_PS3_PT2_iSC_SC_
                                        ; -- End function
	.section	.AMDGPU.csdata,"",@progbits
; Kernel info:
; codeLenInByte = 500
; NumSgprs: 40
; NumVgprs: 42
; NumAgprs: 1
; TotalNumVgprs: 45
; ScratchSize: 64
; MemoryBound: 0
; FloatMode: 240
; IeeeMode: 1
; LDSByteSize: 8192 bytes/workgroup (compile time only)
; SGPRBlocks: 4
; VGPRBlocks: 5
; NumSGPRsForWavesPerEU: 40
; NumVGPRsForWavesPerEU: 45
; AccumOffset: 44
; Occupancy: 8
; WaveLimiterHint : 1
; COMPUTE_PGM_RSRC2:SCRATCH_EN: 1
; COMPUTE_PGM_RSRC2:USER_SGPR: 8
; COMPUTE_PGM_RSRC2:TRAP_HANDLER: 0
; COMPUTE_PGM_RSRC2:TGID_X_EN: 1
; COMPUTE_PGM_RSRC2:TGID_Y_EN: 1
; COMPUTE_PGM_RSRC2:TGID_Z_EN: 1
; COMPUTE_PGM_RSRC2:TIDIG_COMP_CNT: 0
; COMPUTE_PGM_RSRC3_GFX90A:ACCUM_OFFSET: 10
; COMPUTE_PGM_RSRC3_GFX90A:TG_SPLIT: 0
	.section	.text._Z39paged_attention_ll4mi_QKV_mfma16_kernelIDF16_hLN4vllm18Fp8KVCacheDataTypeE1EDF16_Li16ELi64ELi256ELb0ELi4EL8MFMAType1EEvPKT_PKT0_S8_ifPKiSA_SA_iPKfiiiPfSD_PS3_PT2_iSC_SC_,"axG",@progbits,_Z39paged_attention_ll4mi_QKV_mfma16_kernelIDF16_hLN4vllm18Fp8KVCacheDataTypeE1EDF16_Li16ELi64ELi256ELb0ELi4EL8MFMAType1EEvPKT_PKT0_S8_ifPKiSA_SA_iPKfiiiPfSD_PS3_PT2_iSC_SC_,comdat
	.protected	_Z39paged_attention_ll4mi_QKV_mfma16_kernelIDF16_hLN4vllm18Fp8KVCacheDataTypeE1EDF16_Li16ELi64ELi256ELb0ELi4EL8MFMAType1EEvPKT_PKT0_S8_ifPKiSA_SA_iPKfiiiPfSD_PS3_PT2_iSC_SC_ ; -- Begin function _Z39paged_attention_ll4mi_QKV_mfma16_kernelIDF16_hLN4vllm18Fp8KVCacheDataTypeE1EDF16_Li16ELi64ELi256ELb0ELi4EL8MFMAType1EEvPKT_PKT0_S8_ifPKiSA_SA_iPKfiiiPfSD_PS3_PT2_iSC_SC_
	.globl	_Z39paged_attention_ll4mi_QKV_mfma16_kernelIDF16_hLN4vllm18Fp8KVCacheDataTypeE1EDF16_Li16ELi64ELi256ELb0ELi4EL8MFMAType1EEvPKT_PKT0_S8_ifPKiSA_SA_iPKfiiiPfSD_PS3_PT2_iSC_SC_
	.p2align	8
	.type	_Z39paged_attention_ll4mi_QKV_mfma16_kernelIDF16_hLN4vllm18Fp8KVCacheDataTypeE1EDF16_Li16ELi64ELi256ELb0ELi4EL8MFMAType1EEvPKT_PKT0_S8_ifPKiSA_SA_iPKfiiiPfSD_PS3_PT2_iSC_SC_,@function
_Z39paged_attention_ll4mi_QKV_mfma16_kernelIDF16_hLN4vllm18Fp8KVCacheDataTypeE1EDF16_Li16ELi64ELi256ELb0ELi4EL8MFMAType1EEvPKT_PKT0_S8_ifPKiSA_SA_iPKfiiiPfSD_PS3_PT2_iSC_SC_: ; @_Z39paged_attention_ll4mi_QKV_mfma16_kernelIDF16_hLN4vllm18Fp8KVCacheDataTypeE1EDF16_Li16ELi64ELi256ELb0ELi4EL8MFMAType1EEvPKT_PKT0_S8_ifPKiSA_SA_iPKfiiiPfSD_PS3_PT2_iSC_SC_
; %bb.0:
	s_load_dwordx2 s[12:13], s[4:5], 0x30
	s_add_u32 flat_scratch_lo, s6, s11
	s_addc_u32 flat_scratch_hi, s7, 0
	s_add_u32 s0, s0, s11
	s_addc_u32 s1, s1, 0
	s_waitcnt lgkmcnt(0)
	s_cmp_lg_u64 s[12:13], 0
	s_cselect_b64 s[14:15], -1, 0
	s_mov_b32 s6, s9
	s_mov_b64 s[16:17], 0
	s_and_b64 vcc, exec, s[14:15]
	s_mov_b32 s32, 0
	s_cbranch_vccz .LBB425_11
; %bb.1:
	s_add_i32 s18, s8, 1
	s_mov_b32 s19, 0
	s_lshl_b64 s[20:21], s[18:19], 2
	s_add_u32 s20, s12, s20
	s_mov_b32 s9, s19
	s_addc_u32 s21, s13, s21
	s_lshl_b64 s[18:19], s[8:9], 2
	s_add_u32 s18, s12, s18
	s_addc_u32 s19, s13, s19
	s_load_dword s7, s[20:21], 0x0
	s_load_dword s11, s[18:19], 0x0
	s_waitcnt lgkmcnt(0)
	s_sub_i32 s7, s7, s11
	s_cmp_eq_u32 s7, 1
	s_cselect_b64 s[18:19], -1, 0
	s_andn2_b64 vcc, exec, s[16:17]
	s_cbranch_vccnz .LBB425_3
.LBB425_2:
	s_mov_b32 s9, 0
	s_mov_b64 s[18:19], -1
.LBB425_3:
	s_andn2_b64 vcc, exec, s[18:19]
	s_cbranch_vccnz .LBB425_10
; %bb.4:
	s_load_dwordx2 s[18:19], s[4:5], 0x28
	s_lshl_b64 s[16:17], s[8:9], 2
	s_waitcnt lgkmcnt(0)
	s_add_u32 s18, s18, s16
	s_addc_u32 s19, s19, s17
	s_load_dword s7, s[18:19], 0x0
	s_lshl_b32 s6, s6, 8
	s_waitcnt lgkmcnt(0)
	s_cmp_ge_i32 s6, s7
	s_cbranch_scc1 .LBB425_10
; %bb.5:
	s_andn2_b64 vcc, exec, s[14:15]
	s_cbranch_vccnz .LBB425_7
; %bb.6:
	s_add_u32 s6, s12, s16
	s_addc_u32 s7, s13, s17
	s_load_dword s8, s[6:7], 0x0
.LBB425_7:
	v_and_b32_e32 v1, 15, v0
	v_cmp_gt_u32_e32 vcc, 64, v0
	v_cmp_gt_u32_e64 s[6:7], 8, v1
	s_and_b64 s[12:13], vcc, s[6:7]
	s_and_saveexec_b64 s[6:7], s[12:13]
	s_cbranch_execz .LBB425_9
; %bb.8:
	s_load_dword s9, s[4:5], 0x48
	s_load_dwordx2 s[12:13], s[4:5], 0x0
	v_lshrrev_b32_e32 v6, 4, v0
	v_lshlrev_b32_e32 v0, 4, v0
	v_and_b32_e32 v0, 16, v0
	s_waitcnt lgkmcnt(0)
	s_ashr_i32 s11, s9, 31
	s_mul_hi_u32 s15, s8, s9
	s_mul_i32 s14, s8, s9
	s_mul_i32 s8, s8, s11
	s_add_i32 s15, s15, s8
	s_lshl_b64 s[8:9], s[14:15], 1
	s_add_u32 s8, s12, s8
	s_addc_u32 s9, s13, s9
	s_lshl_b32 s10, s10, 8
	v_lshl_or_b32 v2, v6, 6, s10
	v_ashrrev_i32_e32 v3, 31, v2
	v_lshlrev_b64 v[2:3], 1, v[2:3]
	v_mov_b32_e32 v4, s9
	v_add_co_u32_e32 v2, vcc, s8, v2
	v_addc_co_u32_e32 v3, vcc, v4, v3, vcc
	v_lshlrev_b32_e32 v4, 4, v1
	v_add_co_u32_e32 v2, vcc, v2, v4
	v_addc_co_u32_e32 v3, vcc, 0, v3, vcc
	global_load_dwordx4 v[2:5], v[2:3], off
	v_lshlrev_b32_e32 v1, 8, v1
	v_lshlrev_b32_e32 v6, 5, v6
	v_and_b32_e32 v1, 0xe00, v1
	v_or3_b32 v0, v1, v6, v0
	s_waitcnt vmcnt(0)
	ds_write_b128 v0, v[2:5]
.LBB425_9:
	s_or_b64 exec, exec, s[6:7]
	s_waitcnt lgkmcnt(0)
	s_add_u32 s8, s4, 0x90
	s_addc_u32 s9, s5, 0
	s_getpc_b64 s[4:5]
	s_add_u32 s4, s4, __PRETTY_FUNCTION__._Z39paged_attention_ll4mi_QKV_mfma16_kernelIDF16_hLN4vllm18Fp8KVCacheDataTypeE1EDF16_Li16ELi64ELi256ELb0ELi4EL8MFMAType1EEvPKT_PKT0_S8_ifPKiSA_SA_iPKfiiiPfSD_PS3_PT2_iSC_SC_@rel32@lo+4
	s_addc_u32 s5, s5, __PRETTY_FUNCTION__._Z39paged_attention_ll4mi_QKV_mfma16_kernelIDF16_hLN4vllm18Fp8KVCacheDataTypeE1EDF16_Li16ELi64ELi256ELb0ELi4EL8MFMAType1EEvPKT_PKT0_S8_ifPKiSA_SA_iPKfiiiPfSD_PS3_PT2_iSC_SC_@rel32@hi+12
	v_mov_b32_e32 v0, 0x288
	v_mov_b32_e32 v1, s4
	;; [unrolled: 1-line block ×3, first 2 shown]
	s_barrier
	s_getpc_b64 s[6:7]
	s_add_u32 s6, s6, __assert_fail@rel32@lo+4
	s_addc_u32 s7, s7, __assert_fail@rel32@hi+12
	s_swappc_b64 s[30:31], s[6:7]
	; divergent unreachable
.LBB425_10:
	s_endpgm
.LBB425_11:
	s_mov_b64 s[18:19], 0
	s_branch .LBB425_2
	.section	.rodata,"a",@progbits
	.p2align	6, 0x0
	.amdhsa_kernel _Z39paged_attention_ll4mi_QKV_mfma16_kernelIDF16_hLN4vllm18Fp8KVCacheDataTypeE1EDF16_Li16ELi64ELi256ELb0ELi4EL8MFMAType1EEvPKT_PKT0_S8_ifPKiSA_SA_iPKfiiiPfSD_PS3_PT2_iSC_SC_
		.amdhsa_group_segment_fixed_size 8192
		.amdhsa_private_segment_fixed_size 64
		.amdhsa_kernarg_size 400
		.amdhsa_user_sgpr_count 8
		.amdhsa_user_sgpr_private_segment_buffer 1
		.amdhsa_user_sgpr_dispatch_ptr 0
		.amdhsa_user_sgpr_queue_ptr 0
		.amdhsa_user_sgpr_kernarg_segment_ptr 1
		.amdhsa_user_sgpr_dispatch_id 0
		.amdhsa_user_sgpr_flat_scratch_init 1
		.amdhsa_user_sgpr_kernarg_preload_length 0
		.amdhsa_user_sgpr_kernarg_preload_offset 0
		.amdhsa_user_sgpr_private_segment_size 0
		.amdhsa_uses_dynamic_stack 0
		.amdhsa_system_sgpr_private_segment_wavefront_offset 1
		.amdhsa_system_sgpr_workgroup_id_x 1
		.amdhsa_system_sgpr_workgroup_id_y 1
		.amdhsa_system_sgpr_workgroup_id_z 1
		.amdhsa_system_sgpr_workgroup_info 0
		.amdhsa_system_vgpr_workitem_id 0
		.amdhsa_next_free_vgpr 45
		.amdhsa_next_free_sgpr 34
		.amdhsa_accum_offset 44
		.amdhsa_reserve_vcc 1
		.amdhsa_reserve_flat_scratch 1
		.amdhsa_float_round_mode_32 0
		.amdhsa_float_round_mode_16_64 0
		.amdhsa_float_denorm_mode_32 3
		.amdhsa_float_denorm_mode_16_64 3
		.amdhsa_dx10_clamp 1
		.amdhsa_ieee_mode 1
		.amdhsa_fp16_overflow 0
		.amdhsa_tg_split 0
		.amdhsa_exception_fp_ieee_invalid_op 0
		.amdhsa_exception_fp_denorm_src 0
		.amdhsa_exception_fp_ieee_div_zero 0
		.amdhsa_exception_fp_ieee_overflow 0
		.amdhsa_exception_fp_ieee_underflow 0
		.amdhsa_exception_fp_ieee_inexact 0
		.amdhsa_exception_int_div_zero 0
	.end_amdhsa_kernel
	.section	.text._Z39paged_attention_ll4mi_QKV_mfma16_kernelIDF16_hLN4vllm18Fp8KVCacheDataTypeE1EDF16_Li16ELi64ELi256ELb0ELi4EL8MFMAType1EEvPKT_PKT0_S8_ifPKiSA_SA_iPKfiiiPfSD_PS3_PT2_iSC_SC_,"axG",@progbits,_Z39paged_attention_ll4mi_QKV_mfma16_kernelIDF16_hLN4vllm18Fp8KVCacheDataTypeE1EDF16_Li16ELi64ELi256ELb0ELi4EL8MFMAType1EEvPKT_PKT0_S8_ifPKiSA_SA_iPKfiiiPfSD_PS3_PT2_iSC_SC_,comdat
.Lfunc_end425:
	.size	_Z39paged_attention_ll4mi_QKV_mfma16_kernelIDF16_hLN4vllm18Fp8KVCacheDataTypeE1EDF16_Li16ELi64ELi256ELb0ELi4EL8MFMAType1EEvPKT_PKT0_S8_ifPKiSA_SA_iPKfiiiPfSD_PS3_PT2_iSC_SC_, .Lfunc_end425-_Z39paged_attention_ll4mi_QKV_mfma16_kernelIDF16_hLN4vllm18Fp8KVCacheDataTypeE1EDF16_Li16ELi64ELi256ELb0ELi4EL8MFMAType1EEvPKT_PKT0_S8_ifPKiSA_SA_iPKfiiiPfSD_PS3_PT2_iSC_SC_
                                        ; -- End function
	.section	.AMDGPU.csdata,"",@progbits
; Kernel info:
; codeLenInByte = 500
; NumSgprs: 40
; NumVgprs: 42
; NumAgprs: 1
; TotalNumVgprs: 45
; ScratchSize: 64
; MemoryBound: 0
; FloatMode: 240
; IeeeMode: 1
; LDSByteSize: 8192 bytes/workgroup (compile time only)
; SGPRBlocks: 4
; VGPRBlocks: 5
; NumSGPRsForWavesPerEU: 40
; NumVGPRsForWavesPerEU: 45
; AccumOffset: 44
; Occupancy: 8
; WaveLimiterHint : 1
; COMPUTE_PGM_RSRC2:SCRATCH_EN: 1
; COMPUTE_PGM_RSRC2:USER_SGPR: 8
; COMPUTE_PGM_RSRC2:TRAP_HANDLER: 0
; COMPUTE_PGM_RSRC2:TGID_X_EN: 1
; COMPUTE_PGM_RSRC2:TGID_Y_EN: 1
; COMPUTE_PGM_RSRC2:TGID_Z_EN: 1
; COMPUTE_PGM_RSRC2:TIDIG_COMP_CNT: 0
; COMPUTE_PGM_RSRC3_GFX90A:ACCUM_OFFSET: 10
; COMPUTE_PGM_RSRC3_GFX90A:TG_SPLIT: 0
	.section	.text._Z38paged_attention_ll4mi_QKV_mfma4_kernelIDF16_hLN4vllm18Fp8KVCacheDataTypeE1EDF16_Li32ELi64ELi256ELb1ELi1EEvPKT_PKT0_S7_ifPKiS9_S9_iPKfiiiPfSC_PS2_PT2_iSB_SB_,"axG",@progbits,_Z38paged_attention_ll4mi_QKV_mfma4_kernelIDF16_hLN4vllm18Fp8KVCacheDataTypeE1EDF16_Li32ELi64ELi256ELb1ELi1EEvPKT_PKT0_S7_ifPKiS9_S9_iPKfiiiPfSC_PS2_PT2_iSB_SB_,comdat
	.protected	_Z38paged_attention_ll4mi_QKV_mfma4_kernelIDF16_hLN4vllm18Fp8KVCacheDataTypeE1EDF16_Li32ELi64ELi256ELb1ELi1EEvPKT_PKT0_S7_ifPKiS9_S9_iPKfiiiPfSC_PS2_PT2_iSB_SB_ ; -- Begin function _Z38paged_attention_ll4mi_QKV_mfma4_kernelIDF16_hLN4vllm18Fp8KVCacheDataTypeE1EDF16_Li32ELi64ELi256ELb1ELi1EEvPKT_PKT0_S7_ifPKiS9_S9_iPKfiiiPfSC_PS2_PT2_iSB_SB_
	.globl	_Z38paged_attention_ll4mi_QKV_mfma4_kernelIDF16_hLN4vllm18Fp8KVCacheDataTypeE1EDF16_Li32ELi64ELi256ELb1ELi1EEvPKT_PKT0_S7_ifPKiS9_S9_iPKfiiiPfSC_PS2_PT2_iSB_SB_
	.p2align	8
	.type	_Z38paged_attention_ll4mi_QKV_mfma4_kernelIDF16_hLN4vllm18Fp8KVCacheDataTypeE1EDF16_Li32ELi64ELi256ELb1ELi1EEvPKT_PKT0_S7_ifPKiS9_S9_iPKfiiiPfSC_PS2_PT2_iSB_SB_,@function
_Z38paged_attention_ll4mi_QKV_mfma4_kernelIDF16_hLN4vllm18Fp8KVCacheDataTypeE1EDF16_Li32ELi64ELi256ELb1ELi1EEvPKT_PKT0_S7_ifPKiS9_S9_iPKfiiiPfSC_PS2_PT2_iSB_SB_: ; @_Z38paged_attention_ll4mi_QKV_mfma4_kernelIDF16_hLN4vllm18Fp8KVCacheDataTypeE1EDF16_Li32ELi64ELi256ELb1ELi1EEvPKT_PKT0_S7_ifPKiS9_S9_iPKfiiiPfSC_PS2_PT2_iSB_SB_
; %bb.0:
	s_load_dwordx2 s[2:3], s[4:5], 0x30
	s_mov_b32 s24, s7
	s_mov_b64 s[0:1], 0
	s_waitcnt lgkmcnt(0)
	s_cmp_lg_u64 s[2:3], 0
	s_cselect_b64 s[10:11], -1, 0
	s_and_b64 vcc, exec, s[10:11]
	s_cbranch_vccz .LBB426_10
; %bb.1:
	s_add_i32 s12, s6, 1
	s_mov_b32 s13, 0
	s_lshl_b64 s[14:15], s[12:13], 2
	s_add_u32 s14, s2, s14
	s_mov_b32 s7, s13
	s_addc_u32 s15, s3, s15
	s_lshl_b64 s[12:13], s[6:7], 2
	s_add_u32 s12, s2, s12
	s_addc_u32 s13, s3, s13
	s_load_dword s9, s[14:15], 0x0
	s_load_dword s16, s[12:13], 0x0
	s_waitcnt lgkmcnt(0)
	s_sub_i32 s9, s9, s16
	s_cmp_eq_u32 s9, 1
	s_cselect_b64 s[12:13], -1, 0
	s_andn2_b64 vcc, exec, s[0:1]
	s_cbranch_vccnz .LBB426_3
.LBB426_2:
	s_mov_b32 s7, 0
	s_mov_b64 s[12:13], -1
.LBB426_3:
	s_andn2_b64 vcc, exec, s[12:13]
	s_cbranch_vccnz .LBB426_795
; %bb.4:
	s_load_dword s9, s[4:5], 0x9c
	s_load_dwordx2 s[0:1], s[4:5], 0x28
	s_add_u32 s28, s4, 0x90
	s_addc_u32 s29, s5, 0
	s_lshl_b64 s[20:21], s[6:7], 2
	s_waitcnt lgkmcnt(0)
	s_and_b32 s9, s9, 0xffff
	s_add_u32 s0, s0, s20
	s_addc_u32 s1, s1, s21
	s_load_dword s7, s[0:1], 0x0
	s_mul_i32 s9, s24, s9
	s_waitcnt lgkmcnt(0)
	s_cmp_ge_i32 s9, s7
	s_cbranch_scc1 .LBB426_795
; %bb.5:
	v_and_b32_e32 v1, 0xc0, v0
	v_add_u32_e32 v4, s9, v1
	v_lshrrev_b32_e32 v42, 6, v0
	v_cmp_le_i32_e64 s[0:1], s7, v4
                                        ; implicit-def: $sgpr23
                                        ; implicit-def: $sgpr22
	s_and_saveexec_b64 s[12:13], s[0:1]
	s_xor_b64 s[12:13], exec, s[12:13]
	s_cbranch_execz .LBB426_7
; %bb.6:
	v_mul_u32_u24_e32 v1, 20, v42
	v_or_b32_e32 v1, 0xa00, v1
	v_mov_b32_e32 v2, 0xa50
	v_mov_b32_e32 v3, 0xff7fffff
	v_mad_u32_u24 v2, v42, 20, v2
	ds_write2_b32 v1, v3, v3 offset1:1
	v_mov_b32_e32 v1, 0
	ds_write2_b32 v2, v1, v1 offset1:1
	v_mov_b32_e32 v2, 0xa08
	v_mov_b32_e32 v4, 0xa58
	s_mov_b32 s22, 0xff7fffff
	s_mov_b32 s23, 0
	v_mad_u32_u24 v2, v42, 20, v2
	v_mad_u32_u24 v4, v42, 20, v4
	ds_write2_b32 v2, v3, v3 offset1:1
	ds_write2_b32 v4, v1, v1 offset1:1
                                        ; implicit-def: $vgpr4
.LBB426_7:
	s_or_saveexec_b64 s[30:31], s[12:13]
	s_load_dwordx2 s[26:27], s[4:5], 0x68
	s_load_dwordx4 s[16:19], s[4:5], 0x58
	s_load_dword s33, s[28:29], 0x4
	s_load_dwordx4 s[12:15], s[4:5], 0x80
	v_and_b32_e32 v1, 63, v0
	v_and_b32_e32 v43, 3, v0
	v_mov_b32_e32 v21, s23
	v_mov_b32_e32 v26, s22
	v_mov_b32_e32 v20, s23
	v_mov_b32_e32 v19, s23
	v_mov_b32_e32 v18, s23
                                        ; implicit-def: $vgpr14_vgpr15
                                        ; implicit-def: $vgpr10_vgpr11
                                        ; implicit-def: $vgpr6_vgpr7
                                        ; implicit-def: $vgpr2_vgpr3
	s_xor_b64 exec, exec, s[30:31]
	s_cbranch_execz .LBB426_403
; %bb.8:
	s_add_i32 s34, s7, 31
	s_ashr_i32 s35, s34, 31
	s_load_dwordx2 s[22:23], s[4:5], 0x20
	s_load_dword s25, s[4:5], 0x38
	s_lshr_b32 s35, s35, 27
	v_add_u32_e32 v44, s9, v0
	s_add_i32 s34, s34, s35
	v_ashrrev_i32_e32 v2, 31, v44
	s_ashr_i32 s34, s34, 5
	v_lshrrev_b32_e32 v2, 27, v2
	s_add_i32 s36, s34, -1
	v_add_u32_e32 v2, v44, v2
	v_ashrrev_i32_e32 v2, 5, v2
	v_mov_b32_e32 v3, s36
	v_cmp_gt_i32_e32 vcc, s7, v44
	s_waitcnt lgkmcnt(0)
	s_mul_i32 s34, s6, s25
	s_mov_b32 s35, 0
	v_cndmask_b32_e32 v2, v3, v2, vcc
	s_lshl_b64 s[34:35], s[34:35], 2
	v_ashrrev_i32_e32 v3, 31, v2
	s_add_u32 s22, s22, s34
	v_lshlrev_b64 v[2:3], 2, v[2:3]
	v_add_co_u32_e32 v6, vcc, s22, v2
	v_ashrrev_i32_e32 v2, 31, v4
	v_lshrrev_b32_e32 v2, 27, v2
	v_add_u32_e32 v2, v4, v2
	s_addc_u32 s23, s23, s35
	v_ashrrev_i32_e32 v4, 5, v2
	v_mov_b32_e32 v5, s23
	v_min_i32_e32 v2, s36, v4
	v_addc_co_u32_e32 v7, vcc, v5, v3, vcc
	v_ashrrev_i32_e32 v3, 31, v2
	v_lshlrev_b64 v[2:3], 2, v[2:3]
	v_add_co_u32_e32 v8, vcc, s22, v2
	v_add_u32_e32 v2, 1, v4
	v_min_i32_e32 v2, s36, v2
	v_addc_co_u32_e32 v9, vcc, v5, v3, vcc
	v_ashrrev_i32_e32 v3, 31, v2
	v_lshlrev_b64 v[2:3], 2, v[2:3]
	v_mov_b32_e32 v4, s23
	v_add_co_u32_e32 v10, vcc, s22, v2
	v_addc_co_u32_e32 v11, vcc, v4, v3, vcc
	global_load_dword v4, v[6:7], off
	global_load_dword v3, v[8:9], off
	;; [unrolled: 1-line block ×3, first 2 shown]
	s_load_dwordx2 s[34:35], s[4:5], 0x8
	s_andn2_b64 vcc, exec, s[10:11]
	s_cbranch_vccnz .LBB426_11
; %bb.9:
	s_add_u32 s2, s2, s20
	s_addc_u32 s3, s3, s21
	s_load_dword s9, s[2:3], 0x0
	s_branch .LBB426_12
.LBB426_10:
	s_mov_b64 s[12:13], 0
	s_branch .LBB426_2
.LBB426_11:
	s_mov_b32 s9, s6
.LBB426_12:
	s_load_dwordx2 s[10:11], s[4:5], 0x10
	s_load_dwordx4 s[20:23], s[4:5], 0x48
	v_cmp_eq_u32_e32 vcc, 0, v43
	s_mov_b32 s37, 0
	v_mov_b32_e32 v46, 0
	v_mov_b32_e32 v18, 0
	;; [unrolled: 1-line block ×5, first 2 shown]
	s_and_saveexec_b64 s[2:3], vcc
	s_cbranch_execz .LBB426_14
; %bb.13:
	s_load_dwordx2 s[38:39], s[4:5], 0x0
	s_waitcnt lgkmcnt(0)
	s_ashr_i32 s23, s20, 31
	s_mul_hi_u32 s25, s9, s20
	s_mul_i32 s23, s9, s23
	s_add_i32 s41, s25, s23
	s_mul_i32 s40, s9, s20
	s_lshl_b64 s[40:41], s[40:41], 1
	s_add_u32 s9, s38, s40
	s_addc_u32 s20, s39, s41
	s_lshl_b32 s36, s8, 6
	s_lshl_b64 s[36:37], s[36:37], 1
	s_add_u32 s36, s9, s36
	s_addc_u32 s37, s20, s37
	v_lshlrev_b32_e32 v5, 2, v1
	global_load_dwordx4 v[18:21], v5, s[36:37]
.LBB426_14:
	s_or_b64 exec, exec, s[2:3]
	s_waitcnt lgkmcnt(0)
	s_mul_i32 s20, s8, s22
	s_add_u32 s2, s20, s34
	s_addc_u32 s3, 0, s35
	v_pk_mov_b32 v[6:7], s[2:3], s[2:3] op_sel:[0,1]
	s_waitcnt vmcnt(2)
	v_mad_i64_i32 v[4:5], s[2:3], v4, s21, v[6:7]
	v_lshlrev_b32_e32 v6, 4, v0
	v_and_b32_e32 v6, 0x1f0, v6
	v_add_co_u32_e64 v4, s[2:3], v4, v6
	v_addc_co_u32_e64 v5, s[2:3], 0, v5, s[2:3]
	global_load_dwordx4 v[34:37], v[4:5], off
	global_load_dwordx4 v[30:33], v[4:5], off offset:512
	global_load_dwordx4 v[26:29], v[4:5], off offset:1024
	;; [unrolled: 1-line block ×3, first 2 shown]
	v_mov_b32_e32 v45, 0
	s_and_saveexec_b64 s[2:3], vcc
	s_cbranch_execz .LBB426_16
; %bb.15:
	s_load_dwordx2 s[22:23], s[4:5], 0x40
	s_mov_b32 s9, 0
	s_lshl_b64 s[34:35], s[8:9], 2
	s_waitcnt lgkmcnt(0)
	s_add_u32 s22, s22, s34
	s_addc_u32 s23, s23, s35
	s_load_dword s9, s[22:23], 0x0
	s_waitcnt lgkmcnt(0)
	v_mov_b32_e32 v45, s9
.LBB426_16:
	s_or_b64 exec, exec, s[2:3]
	s_add_u32 s2, s10, s20
	s_addc_u32 s3, s11, 0
	v_lshlrev_b32_e32 v4, 5, v1
	v_mov_b32_e32 v5, s3
	v_add_co_u32_e64 v6, s[2:3], s2, v4
	s_waitcnt vmcnt(5)
	v_mul_hi_i32 v4, v3, s21
	v_ashrrev_i32_e32 v4, 31, v4
	v_lshrrev_b32_e32 v38, 29, v4
	v_mov_b32_e32 v39, 0
	v_addc_co_u32_e64 v7, s[2:3], 0, v5, s[2:3]
	v_mad_i64_i32 v[4:5], s[2:3], v3, s21, v[38:39]
	v_and_b32_e32 v3, -8, v4
	v_add_co_u32_e64 v4, s[2:3], v6, v3
	s_waitcnt vmcnt(4)
	v_mul_hi_i32 v3, v2, s21
	v_ashrrev_i32_e32 v3, 31, v3
	v_lshrrev_b32_e32 v38, 29, v3
	v_addc_co_u32_e64 v5, s[2:3], v7, v5, s[2:3]
	v_mad_i64_i32 v[2:3], s[2:3], v2, s21, v[38:39]
	v_and_b32_e32 v2, -8, v2
	v_add_co_u32_e64 v40, s[2:3], v6, v2
	v_addc_co_u32_e64 v41, s[2:3], v7, v3, s[2:3]
	global_load_dwordx4 v[10:13], v[4:5], off offset:16
	global_load_dwordx4 v[14:17], v[4:5], off
	s_nop 0
	global_load_dwordx4 v[2:5], v[40:41], off offset:16
	global_load_dwordx4 v[6:9], v[40:41], off
	s_waitcnt vmcnt(7)
	v_cmp_ne_u16_sdwa s[2:3], v34, v39 src0_sel:BYTE_0 src1_sel:DWORD
	s_and_saveexec_b64 s[10:11], s[2:3]
	s_cbranch_execz .LBB426_22
; %bb.17:
	s_movk_i32 s2, 0x80
	v_cmp_ne_u16_sdwa s[2:3], v34, s2 src0_sel:BYTE_0 src1_sel:DWORD
	v_bfrev_b32_e32 v46, 1
	s_and_saveexec_b64 s[20:21], s[2:3]
	s_cbranch_execz .LBB426_21
; %bb.18:
	s_movk_i32 s2, 0x7f
	v_and_b32_e32 v38, 0x7f, v34
	v_cmp_ne_u32_e64 s[2:3], s2, v38
	v_mov_b32_e32 v46, 0x7f800001
	s_and_saveexec_b64 s[22:23], s[2:3]
	s_cbranch_execz .LBB426_20
; %bb.19:
	v_and_b32_e32 v40, 7, v34
	v_ffbh_u32_e32 v40, v40
	v_min_u32_e32 v40, 32, v40
	v_lshrrev_b32_e32 v41, 3, v38
	v_subrev_u32_e32 v46, 28, v40
	v_sub_u32_e32 v40, 29, v40
	v_cmp_gt_u32_e64 s[2:3], 8, v38
	v_cndmask_b32_e64 v38, v41, v40, s[2:3]
	v_cndmask_b32_e64 v40, 0, v46, s[2:3]
	v_lshlrev_b64 v[40:41], v40, v[34:35]
	v_lshlrev_b32_e32 v40, 20, v40
	v_lshlrev_b32_e32 v41, 24, v34
	v_bfrev_b32_e32 v46, 60
	v_and_b32_e32 v40, 0x700000, v40
	v_and_b32_e32 v41, 0x80000000, v41
	v_lshl_add_u32 v38, v38, 23, v46
	v_or3_b32 v46, v41, v38, v40
.LBB426_20:
	s_or_b64 exec, exec, s[22:23]
.LBB426_21:
	s_or_b64 exec, exec, s[20:21]
.LBB426_22:
	s_or_b64 exec, exec, s[10:11]
	v_lshrrev_b16_e32 v38, 8, v34
	v_cmp_ne_u16_e64 s[2:3], 0, v38
	v_mov_b32_e32 v47, 0
	s_and_saveexec_b64 s[10:11], s[2:3]
	s_cbranch_execz .LBB426_28
; %bb.23:
	s_movk_i32 s2, 0x80
	v_cmp_ne_u16_e64 s[2:3], s2, v38
	v_bfrev_b32_e32 v47, 1
	s_and_saveexec_b64 s[20:21], s[2:3]
	s_cbranch_execz .LBB426_27
; %bb.24:
	s_movk_i32 s2, 0x7f
	v_and_b32_e32 v40, 0x7f, v38
	v_cmp_ne_u32_e64 s[2:3], s2, v40
	v_mov_b32_e32 v47, 0x7f800001
	s_and_saveexec_b64 s[22:23], s[2:3]
	s_cbranch_execz .LBB426_26
; %bb.25:
	v_and_b32_e32 v41, 7, v38
	v_ffbh_u32_e32 v48, v41
	v_min_u32_e32 v50, 32, v48
	v_subrev_u32_e32 v48, 28, v50
	v_lshlrev_b64 v[48:49], v48, v[38:39]
	v_lshrrev_b32_e32 v47, 3, v40
	v_sub_u32_e32 v38, 29, v50
	v_and_b32_e32 v48, 7, v48
	v_cmp_gt_u32_e64 s[2:3], 8, v40
	v_cndmask_b32_e64 v38, v47, v38, s[2:3]
	v_cndmask_b32_e64 v40, v41, v48, s[2:3]
	v_lshlrev_b32_e32 v41, 16, v34
	v_bfrev_b32_e32 v47, 60
	v_lshlrev_b32_e32 v40, 20, v40
	v_and_b32_e32 v41, 0x80000000, v41
	v_lshl_add_u32 v38, v38, 23, v47
	v_or3_b32 v47, v41, v38, v40
.LBB426_26:
	s_or_b64 exec, exec, s[22:23]
.LBB426_27:
	s_or_b64 exec, exec, s[20:21]
.LBB426_28:
	s_or_b64 exec, exec, s[10:11]
	s_movk_i32 s2, 0xff
	v_and_b32_sdwa v40, v34, s2 dst_sel:DWORD dst_unused:UNUSED_PAD src0_sel:WORD_1 src1_sel:DWORD
	v_lshrrev_b32_e32 v38, 16, v34
	v_cmp_ne_u16_e64 s[2:3], 0, v40
	s_and_saveexec_b64 s[10:11], s[2:3]
	s_cbranch_execz .LBB426_34
; %bb.29:
	s_movk_i32 s2, 0x80
	v_cmp_ne_u16_e64 s[2:3], s2, v40
	v_bfrev_b32_e32 v39, 1
	s_and_saveexec_b64 s[20:21], s[2:3]
	s_cbranch_execz .LBB426_33
; %bb.30:
	v_bfe_u32 v40, v34, 16, 7
	s_movk_i32 s2, 0x7f
	v_cmp_ne_u32_e64 s[2:3], s2, v40
	v_mov_b32_e32 v39, 0x7f800001
	s_and_saveexec_b64 s[22:23], s[2:3]
	s_cbranch_execz .LBB426_32
; %bb.31:
	v_and_b32_e32 v41, 7, v38
	v_ffbh_u32_e32 v39, v41
	v_min_u32_e32 v49, 32, v39
	v_subrev_u32_e32 v39, 28, v49
	v_lshlrev_b64 v[38:39], v39, v[38:39]
	v_lshrrev_b32_e32 v48, 3, v40
	v_sub_u32_e32 v39, 29, v49
	v_and_b32_e32 v38, 7, v38
	v_cmp_gt_u32_e64 s[2:3], 8, v40
	v_mov_b32_e32 v40, 24
	v_cndmask_b32_e64 v39, v48, v39, s[2:3]
	v_cndmask_b32_e64 v38, v41, v38, s[2:3]
	v_lshlrev_b32_sdwa v40, v40, v34 dst_sel:DWORD dst_unused:UNUSED_PAD src0_sel:DWORD src1_sel:WORD_1
	v_bfrev_b32_e32 v41, 60
	v_lshlrev_b32_e32 v38, 20, v38
	v_and_b32_e32 v40, 0x80000000, v40
	v_lshl_add_u32 v39, v39, 23, v41
	v_or3_b32 v39, v40, v39, v38
.LBB426_32:
	s_or_b64 exec, exec, s[22:23]
.LBB426_33:
	s_or_b64 exec, exec, s[20:21]
.LBB426_34:
	s_or_b64 exec, exec, s[10:11]
	s_mov_b32 s2, 0xffffff
	v_cmp_lt_u32_e64 s[2:3], s2, v34
	v_mov_b32_e32 v41, 0
	v_mov_b32_e32 v48, 0
	s_and_saveexec_b64 s[10:11], s[2:3]
	s_cbranch_execz .LBB426_40
; %bb.35:
	v_lshrrev_b32_e32 v38, 24, v34
	s_movk_i32 s2, 0x80
	v_cmp_ne_u32_e64 s[2:3], s2, v38
	v_bfrev_b32_e32 v48, 1
	s_and_saveexec_b64 s[20:21], s[2:3]
	s_cbranch_execz .LBB426_39
; %bb.36:
	v_bfe_u32 v40, v34, 24, 7
	s_movk_i32 s2, 0x7f
	v_cmp_ne_u32_e64 s[2:3], s2, v40
	v_mov_b32_e32 v48, 0x7f800001
	s_and_saveexec_b64 s[22:23], s[2:3]
	s_cbranch_execz .LBB426_38
; %bb.37:
	v_and_b32_e32 v50, 7, v38
	v_ffbh_u32_e32 v48, v50
	v_min_u32_e32 v52, 32, v48
	v_subrev_u32_e32 v48, 28, v52
	v_lshlrev_b64 v[48:49], v48, v[38:39]
	v_lshrrev_b32_e32 v51, 3, v40
	v_sub_u32_e32 v49, 29, v52
	v_and_b32_e32 v48, 7, v48
	v_cmp_gt_u32_e64 s[2:3], 8, v40
	v_cndmask_b32_e64 v40, v51, v49, s[2:3]
	v_cndmask_b32_e64 v48, v50, v48, s[2:3]
	v_lshlrev_b32_e32 v38, 24, v38
	v_bfrev_b32_e32 v49, 60
	v_lshlrev_b32_e32 v48, 20, v48
	v_and_b32_e32 v38, 0x80000000, v38
	v_lshl_add_u32 v40, v40, 23, v49
	v_or3_b32 v48, v38, v40, v48
.LBB426_38:
	s_or_b64 exec, exec, s[22:23]
.LBB426_39:
	s_or_b64 exec, exec, s[20:21]
.LBB426_40:
	s_or_b64 exec, exec, s[10:11]
	v_mov_b32_e32 v40, v35
	v_cmp_ne_u16_sdwa s[2:3], v35, v41 src0_sel:BYTE_0 src1_sel:DWORD
	s_and_saveexec_b64 s[10:11], s[2:3]
	s_cbranch_execz .LBB426_46
; %bb.41:
	s_movk_i32 s2, 0x80
	v_cmp_ne_u16_sdwa s[2:3], v35, s2 src0_sel:BYTE_0 src1_sel:DWORD
	v_bfrev_b32_e32 v38, 1
	s_and_saveexec_b64 s[20:21], s[2:3]
	s_cbranch_execz .LBB426_45
; %bb.42:
	s_movk_i32 s2, 0x7f
	v_and_b32_e32 v49, 0x7f, v35
	v_cmp_ne_u32_e64 s[2:3], s2, v49
	v_mov_b32_e32 v38, 0x7f800001
	s_and_saveexec_b64 s[22:23], s[2:3]
	s_cbranch_execz .LBB426_44
; %bb.43:
	v_and_b32_e32 v38, 7, v35
	v_ffbh_u32_e32 v38, v38
	v_min_u32_e32 v38, 32, v38
	v_subrev_u32_e32 v51, 28, v38
	v_cmp_gt_u32_e64 s[2:3], 8, v49
	v_lshrrev_b32_e32 v50, 3, v49
	v_sub_u32_e32 v38, 29, v38
	v_cndmask_b32_e64 v49, 0, v51, s[2:3]
	v_cndmask_b32_e64 v38, v50, v38, s[2:3]
	v_lshlrev_b64 v[50:51], v49, v[40:41]
	v_lshlrev_b32_e32 v41, 20, v50
	v_lshlrev_b32_e32 v49, 24, v40
	v_bfrev_b32_e32 v50, 60
	v_and_b32_e32 v41, 0x700000, v41
	v_and_b32_e32 v49, 0x80000000, v49
	v_lshl_add_u32 v38, v38, 23, v50
	v_or3_b32 v38, v49, v38, v41
.LBB426_44:
	s_or_b64 exec, exec, s[22:23]
.LBB426_45:
	s_or_b64 exec, exec, s[20:21]
	v_mov_b32_e32 v41, v38
.LBB426_46:
	s_or_b64 exec, exec, s[10:11]
	v_lshrrev_b16_e32 v38, 8, v40
	v_cmp_ne_u16_e64 s[2:3], 0, v38
	v_mov_b32_e32 v49, 0
	v_mov_b32_e32 v50, 0
	s_and_saveexec_b64 s[10:11], s[2:3]
	s_cbranch_execz .LBB426_52
; %bb.47:
	s_movk_i32 s2, 0x80
	v_cmp_ne_u16_e64 s[2:3], s2, v38
	v_bfrev_b32_e32 v50, 1
	s_and_saveexec_b64 s[20:21], s[2:3]
	s_cbranch_execz .LBB426_51
; %bb.48:
	s_movk_i32 s2, 0x7f
	v_and_b32_e32 v51, 0x7f, v38
	v_cmp_ne_u32_e64 s[2:3], s2, v51
	v_mov_b32_e32 v50, 0x7f800001
	s_and_saveexec_b64 s[22:23], s[2:3]
	s_cbranch_execz .LBB426_50
; %bb.49:
	v_and_b32_e32 v50, 7, v38
	v_ffbh_u32_e32 v52, v50
	v_min_u32_e32 v55, 32, v52
	v_subrev_u32_e32 v52, 28, v55
	v_lshlrev_b64 v[52:53], v52, v[38:39]
	v_lshrrev_b32_e32 v54, 3, v51
	v_sub_u32_e32 v38, 29, v55
	v_and_b32_e32 v52, 7, v52
	v_cmp_gt_u32_e64 s[2:3], 8, v51
	v_cndmask_b32_e64 v38, v54, v38, s[2:3]
	v_cndmask_b32_e64 v50, v50, v52, s[2:3]
	v_lshlrev_b32_e32 v40, 16, v40
	v_bfrev_b32_e32 v51, 60
	v_lshlrev_b32_e32 v50, 20, v50
	v_and_b32_e32 v40, 0x80000000, v40
	v_lshl_add_u32 v38, v38, 23, v51
	v_or3_b32 v50, v40, v38, v50
.LBB426_50:
	s_or_b64 exec, exec, s[22:23]
.LBB426_51:
	s_or_b64 exec, exec, s[20:21]
.LBB426_52:
	s_or_b64 exec, exec, s[10:11]
	s_movk_i32 s2, 0xff
	v_and_b32_sdwa v40, v35, s2 dst_sel:DWORD dst_unused:UNUSED_PAD src0_sel:WORD_1 src1_sel:DWORD
	v_lshrrev_b32_e32 v38, 16, v35
	v_cmp_ne_u16_e64 s[2:3], 0, v40
	s_and_saveexec_b64 s[10:11], s[2:3]
	s_cbranch_execz .LBB426_58
; %bb.53:
	s_movk_i32 s2, 0x80
	v_cmp_ne_u16_e64 s[2:3], s2, v40
	v_bfrev_b32_e32 v49, 1
	s_and_saveexec_b64 s[20:21], s[2:3]
	s_cbranch_execz .LBB426_57
; %bb.54:
	v_bfe_u32 v40, v35, 16, 7
	s_movk_i32 s2, 0x7f
	v_cmp_ne_u32_e64 s[2:3], s2, v40
	v_mov_b32_e32 v49, 0x7f800001
	s_and_saveexec_b64 s[22:23], s[2:3]
	s_cbranch_execz .LBB426_56
; %bb.55:
	v_and_b32_e32 v49, 7, v38
	v_ffbh_u32_e32 v52, v49
	v_min_u32_e32 v54, 32, v52
	v_subrev_u32_e32 v52, 28, v54
	v_lshlrev_b64 v[52:53], v52, v[38:39]
	v_and_b32_e32 v52, 7, v52
	v_cmp_gt_u32_e64 s[2:3], 8, v40
	v_lshrrev_b32_e32 v51, 3, v40
	v_sub_u32_e32 v38, 29, v54
	v_cndmask_b32_e64 v40, v49, v52, s[2:3]
	v_mov_b32_e32 v49, 24
	v_cndmask_b32_e64 v38, v51, v38, s[2:3]
	v_lshlrev_b32_sdwa v49, v49, v35 dst_sel:DWORD dst_unused:UNUSED_PAD src0_sel:DWORD src1_sel:WORD_1
	v_bfrev_b32_e32 v51, 60
	v_lshlrev_b32_e32 v40, 20, v40
	v_and_b32_e32 v49, 0x80000000, v49
	v_lshl_add_u32 v38, v38, 23, v51
	v_or3_b32 v49, v49, v38, v40
.LBB426_56:
	s_or_b64 exec, exec, s[22:23]
.LBB426_57:
	s_or_b64 exec, exec, s[20:21]
.LBB426_58:
	s_or_b64 exec, exec, s[10:11]
	s_mov_b32 s2, -1
	s_mov_b32 s3, 0xffffff
	v_cmp_lt_u64_e64 s[2:3], s[2:3], v[34:35]
	v_mov_b32_e32 v40, 0
	v_mov_b32_e32 v38, 0
	s_and_saveexec_b64 s[10:11], s[2:3]
	s_cbranch_execz .LBB426_64
; %bb.59:
	v_lshrrev_b32_e32 v34, 24, v35
	s_movk_i32 s2, 0x80
	v_cmp_ne_u32_e64 s[2:3], s2, v34
	v_bfrev_b32_e32 v38, 1
	s_and_saveexec_b64 s[20:21], s[2:3]
	s_cbranch_execz .LBB426_63
; %bb.60:
	v_bfe_u32 v35, v35, 24, 7
	s_movk_i32 s2, 0x7f
	v_cmp_ne_u32_e64 s[2:3], s2, v35
	v_mov_b32_e32 v38, 0x7f800001
	s_and_saveexec_b64 s[22:23], s[2:3]
	s_cbranch_execz .LBB426_62
; %bb.61:
	v_and_b32_e32 v38, 7, v34
	v_ffbh_u32_e32 v52, v38
	v_min_u32_e32 v54, 32, v52
	v_subrev_u32_e32 v52, 28, v54
	v_lshlrev_b64 v[52:53], v52, v[34:35]
	v_lshrrev_b32_e32 v51, 3, v35
	v_sub_u32_e32 v53, 29, v54
	v_and_b32_e32 v52, 7, v52
	v_cmp_gt_u32_e64 s[2:3], 8, v35
	v_cndmask_b32_e64 v35, v51, v53, s[2:3]
	v_cndmask_b32_e64 v38, v38, v52, s[2:3]
	v_lshlrev_b32_e32 v34, 24, v34
	v_bfrev_b32_e32 v51, 60
	v_lshlrev_b32_e32 v38, 20, v38
	v_and_b32_e32 v34, 0x80000000, v34
	v_lshl_add_u32 v35, v35, 23, v51
	v_or3_b32 v38, v34, v35, v38
.LBB426_62:
	s_or_b64 exec, exec, s[22:23]
.LBB426_63:
	s_or_b64 exec, exec, s[20:21]
.LBB426_64:
	s_or_b64 exec, exec, s[10:11]
	v_cvt_pkrtz_f16_f32 v34, v46, v47
	v_cvt_pkrtz_f16_f32 v35, v39, v48
	;; [unrolled: 1-line block ×4, first 2 shown]
	v_mfma_f32_4x4x4f16 a[0:3], v[18:19], v[34:35], 0 cbsz:4
	v_cmp_ne_u16_sdwa s[2:3], v36, v40 src0_sel:BYTE_0 src1_sel:DWORD
	v_mfma_f32_4x4x4f16 a[0:3], v[20:21], v[46:47], a[0:3] cbsz:4
	s_and_saveexec_b64 s[10:11], s[2:3]
	s_cbranch_execz .LBB426_70
; %bb.65:
	s_movk_i32 s2, 0x80
	v_cmp_ne_u16_sdwa s[2:3], v36, s2 src0_sel:BYTE_0 src1_sel:DWORD
	v_bfrev_b32_e32 v40, 1
	s_and_saveexec_b64 s[20:21], s[2:3]
	s_cbranch_execz .LBB426_69
; %bb.66:
	s_movk_i32 s2, 0x7f
	v_and_b32_e32 v34, 0x7f, v36
	v_cmp_ne_u32_e64 s[2:3], s2, v34
	v_mov_b32_e32 v40, 0x7f800001
	s_and_saveexec_b64 s[22:23], s[2:3]
	s_cbranch_execz .LBB426_68
; %bb.67:
	v_and_b32_e32 v35, 7, v36
	v_ffbh_u32_e32 v35, v35
	v_min_u32_e32 v35, 32, v35
	v_subrev_u32_e32 v39, 28, v35
	v_cmp_gt_u32_e64 s[2:3], 8, v34
	v_lshrrev_b32_e32 v38, 3, v34
	v_sub_u32_e32 v35, 29, v35
	v_cndmask_b32_e64 v34, 0, v39, s[2:3]
	v_cndmask_b32_e64 v38, v38, v35, s[2:3]
	v_lshlrev_b64 v[34:35], v34, v[36:37]
	v_lshlrev_b32_e32 v34, 20, v34
	v_lshlrev_b32_e32 v35, 24, v36
	v_bfrev_b32_e32 v39, 60
	v_and_b32_e32 v34, 0x700000, v34
	v_and_b32_e32 v35, 0x80000000, v35
	v_lshl_add_u32 v38, v38, 23, v39
	v_or3_b32 v40, v35, v38, v34
.LBB426_68:
	s_or_b64 exec, exec, s[22:23]
.LBB426_69:
	s_or_b64 exec, exec, s[20:21]
.LBB426_70:
	s_or_b64 exec, exec, s[10:11]
	v_lshrrev_b16_e32 v34, 8, v36
	v_cmp_ne_u16_e64 s[2:3], 0, v34
	v_mov_b32_e32 v39, 0
	v_mov_b32_e32 v41, 0
	s_and_saveexec_b64 s[10:11], s[2:3]
	s_cbranch_execz .LBB426_76
; %bb.71:
	s_movk_i32 s2, 0x80
	v_cmp_ne_u16_e64 s[2:3], s2, v34
	v_bfrev_b32_e32 v41, 1
	s_and_saveexec_b64 s[20:21], s[2:3]
	s_cbranch_execz .LBB426_75
; %bb.72:
	s_movk_i32 s2, 0x7f
	v_and_b32_e32 v35, 0x7f, v34
	v_cmp_ne_u32_e64 s[2:3], s2, v35
	v_mov_b32_e32 v41, 0x7f800001
	s_and_saveexec_b64 s[22:23], s[2:3]
	s_cbranch_execz .LBB426_74
; %bb.73:
	v_and_b32_e32 v38, 7, v34
	v_ffbh_u32_e32 v46, v38
	v_min_u32_e32 v48, 32, v46
	v_subrev_u32_e32 v46, 28, v48
	v_lshlrev_b64 v[46:47], v46, v[34:35]
	v_lshrrev_b32_e32 v41, 3, v35
	v_sub_u32_e32 v34, 29, v48
	v_and_b32_e32 v46, 7, v46
	v_cmp_gt_u32_e64 s[2:3], 8, v35
	v_cndmask_b32_e64 v34, v41, v34, s[2:3]
	v_cndmask_b32_e64 v35, v38, v46, s[2:3]
	v_lshlrev_b32_e32 v38, 16, v36
	v_bfrev_b32_e32 v41, 60
	v_lshlrev_b32_e32 v35, 20, v35
	v_and_b32_e32 v38, 0x80000000, v38
	v_lshl_add_u32 v34, v34, 23, v41
	v_or3_b32 v41, v38, v34, v35
.LBB426_74:
	s_or_b64 exec, exec, s[22:23]
.LBB426_75:
	s_or_b64 exec, exec, s[20:21]
.LBB426_76:
	s_or_b64 exec, exec, s[10:11]
	s_movk_i32 s2, 0xff
	v_and_b32_sdwa v35, v36, s2 dst_sel:DWORD dst_unused:UNUSED_PAD src0_sel:WORD_1 src1_sel:DWORD
	v_lshrrev_b32_e32 v34, 16, v36
	v_cmp_ne_u16_e64 s[2:3], 0, v35
	s_and_saveexec_b64 s[10:11], s[2:3]
	s_cbranch_execz .LBB426_82
; %bb.77:
	s_movk_i32 s2, 0x80
	v_cmp_ne_u16_e64 s[2:3], s2, v35
	v_bfrev_b32_e32 v39, 1
	s_and_saveexec_b64 s[20:21], s[2:3]
	s_cbranch_execz .LBB426_81
; %bb.78:
	v_bfe_u32 v35, v36, 16, 7
	s_movk_i32 s2, 0x7f
	v_cmp_ne_u32_e64 s[2:3], s2, v35
	v_mov_b32_e32 v39, 0x7f800001
	s_and_saveexec_b64 s[22:23], s[2:3]
	s_cbranch_execz .LBB426_80
; %bb.79:
	v_and_b32_e32 v46, 7, v34
	v_ffbh_u32_e32 v38, v46
	v_min_u32_e32 v48, 32, v38
	v_subrev_u32_e32 v38, 28, v48
	v_lshlrev_b64 v[38:39], v38, v[34:35]
	v_and_b32_e32 v38, 7, v38
	v_cmp_gt_u32_e64 s[2:3], 8, v35
	v_lshrrev_b32_e32 v47, 3, v35
	v_sub_u32_e32 v34, 29, v48
	v_cndmask_b32_e64 v35, v46, v38, s[2:3]
	v_mov_b32_e32 v38, 24
	v_cndmask_b32_e64 v34, v47, v34, s[2:3]
	v_lshlrev_b32_sdwa v38, v38, v36 dst_sel:DWORD dst_unused:UNUSED_PAD src0_sel:DWORD src1_sel:WORD_1
	v_bfrev_b32_e32 v39, 60
	v_lshlrev_b32_e32 v35, 20, v35
	v_and_b32_e32 v38, 0x80000000, v38
	v_lshl_add_u32 v34, v34, 23, v39
	v_or3_b32 v39, v38, v34, v35
.LBB426_80:
	s_or_b64 exec, exec, s[22:23]
.LBB426_81:
	s_or_b64 exec, exec, s[20:21]
.LBB426_82:
	s_or_b64 exec, exec, s[10:11]
	s_mov_b32 s2, 0xffffff
	v_cmp_lt_u32_e64 s[2:3], s2, v36
	v_mov_b32_e32 v35, 0
	v_mov_b32_e32 v46, 0
	s_and_saveexec_b64 s[10:11], s[2:3]
	s_cbranch_execz .LBB426_88
; %bb.83:
	v_lshrrev_b32_e32 v34, 24, v36
	s_movk_i32 s2, 0x80
	v_cmp_ne_u32_e64 s[2:3], s2, v34
	v_bfrev_b32_e32 v46, 1
	s_and_saveexec_b64 s[20:21], s[2:3]
	s_cbranch_execz .LBB426_87
; %bb.84:
	v_bfe_u32 v38, v36, 24, 7
	s_movk_i32 s2, 0x7f
	v_cmp_ne_u32_e64 s[2:3], s2, v38
	v_mov_b32_e32 v46, 0x7f800001
	s_and_saveexec_b64 s[22:23], s[2:3]
	s_cbranch_execz .LBB426_86
; %bb.85:
	v_and_b32_e32 v48, 7, v34
	v_ffbh_u32_e32 v46, v48
	v_min_u32_e32 v50, 32, v46
	v_subrev_u32_e32 v46, 28, v50
	v_lshlrev_b64 v[46:47], v46, v[34:35]
	v_lshrrev_b32_e32 v49, 3, v38
	v_sub_u32_e32 v47, 29, v50
	v_and_b32_e32 v46, 7, v46
	v_cmp_gt_u32_e64 s[2:3], 8, v38
	v_cndmask_b32_e64 v38, v49, v47, s[2:3]
	v_cndmask_b32_e64 v46, v48, v46, s[2:3]
	v_lshlrev_b32_e32 v34, 24, v34
	v_bfrev_b32_e32 v47, 60
	v_lshlrev_b32_e32 v46, 20, v46
	v_and_b32_e32 v34, 0x80000000, v34
	v_lshl_add_u32 v38, v38, 23, v47
	v_or3_b32 v46, v34, v38, v46
.LBB426_86:
	s_or_b64 exec, exec, s[22:23]
.LBB426_87:
	s_or_b64 exec, exec, s[20:21]
.LBB426_88:
	s_or_b64 exec, exec, s[10:11]
	v_mov_b32_e32 v34, v37
	v_cmp_ne_u16_sdwa s[2:3], v37, v35 src0_sel:BYTE_0 src1_sel:DWORD
	s_and_saveexec_b64 s[10:11], s[2:3]
	s_cbranch_execz .LBB426_94
; %bb.89:
	s_movk_i32 s2, 0x80
	v_cmp_ne_u16_sdwa s[2:3], v37, s2 src0_sel:BYTE_0 src1_sel:DWORD
	v_bfrev_b32_e32 v38, 1
	s_and_saveexec_b64 s[20:21], s[2:3]
	s_cbranch_execz .LBB426_93
; %bb.90:
	s_movk_i32 s2, 0x7f
	v_and_b32_e32 v47, 0x7f, v37
	v_cmp_ne_u32_e64 s[2:3], s2, v47
	v_mov_b32_e32 v38, 0x7f800001
	s_and_saveexec_b64 s[22:23], s[2:3]
	s_cbranch_execz .LBB426_92
; %bb.91:
	v_and_b32_e32 v38, 7, v37
	v_ffbh_u32_e32 v38, v38
	v_min_u32_e32 v38, 32, v38
	v_subrev_u32_e32 v49, 28, v38
	v_cmp_gt_u32_e64 s[2:3], 8, v47
	v_lshrrev_b32_e32 v48, 3, v47
	v_sub_u32_e32 v38, 29, v38
	v_cndmask_b32_e64 v47, 0, v49, s[2:3]
	v_cndmask_b32_e64 v38, v48, v38, s[2:3]
	v_lshlrev_b64 v[48:49], v47, v[34:35]
	v_lshlrev_b32_e32 v35, 20, v48
	v_lshlrev_b32_e32 v47, 24, v34
	v_bfrev_b32_e32 v48, 60
	v_and_b32_e32 v35, 0x700000, v35
	v_and_b32_e32 v47, 0x80000000, v47
	v_lshl_add_u32 v38, v38, 23, v48
	v_or3_b32 v38, v47, v38, v35
.LBB426_92:
	s_or_b64 exec, exec, s[22:23]
.LBB426_93:
	s_or_b64 exec, exec, s[20:21]
	v_mov_b32_e32 v35, v38
.LBB426_94:
	s_or_b64 exec, exec, s[10:11]
	v_lshrrev_b16_e32 v38, 8, v34
	v_cmp_ne_u16_e64 s[2:3], 0, v38
	v_mov_b32_e32 v47, 0
	v_mov_b32_e32 v48, 0
	s_and_saveexec_b64 s[10:11], s[2:3]
	s_cbranch_execz .LBB426_100
; %bb.95:
	s_movk_i32 s2, 0x80
	v_cmp_ne_u16_e64 s[2:3], s2, v38
	v_bfrev_b32_e32 v48, 1
	s_and_saveexec_b64 s[20:21], s[2:3]
	s_cbranch_execz .LBB426_99
; %bb.96:
	s_movk_i32 s2, 0x7f
	v_and_b32_e32 v49, 0x7f, v38
	v_cmp_ne_u32_e64 s[2:3], s2, v49
	v_mov_b32_e32 v48, 0x7f800001
	s_and_saveexec_b64 s[22:23], s[2:3]
	s_cbranch_execz .LBB426_98
; %bb.97:
	v_and_b32_e32 v48, 7, v38
	v_ffbh_u32_e32 v50, v48
	v_min_u32_e32 v53, 32, v50
	v_subrev_u32_e32 v50, 28, v53
	v_lshlrev_b64 v[50:51], v50, v[38:39]
	v_lshrrev_b32_e32 v52, 3, v49
	v_sub_u32_e32 v38, 29, v53
	v_and_b32_e32 v50, 7, v50
	v_cmp_gt_u32_e64 s[2:3], 8, v49
	v_cndmask_b32_e64 v38, v52, v38, s[2:3]
	v_cndmask_b32_e64 v48, v48, v50, s[2:3]
	v_lshlrev_b32_e32 v34, 16, v34
	v_bfrev_b32_e32 v49, 60
	v_lshlrev_b32_e32 v48, 20, v48
	v_and_b32_e32 v34, 0x80000000, v34
	v_lshl_add_u32 v38, v38, 23, v49
	v_or3_b32 v48, v34, v38, v48
.LBB426_98:
	s_or_b64 exec, exec, s[22:23]
.LBB426_99:
	s_or_b64 exec, exec, s[20:21]
.LBB426_100:
	s_or_b64 exec, exec, s[10:11]
	s_movk_i32 s2, 0xff
	v_and_b32_sdwa v38, v37, s2 dst_sel:DWORD dst_unused:UNUSED_PAD src0_sel:WORD_1 src1_sel:DWORD
	v_lshrrev_b32_e32 v34, 16, v37
	v_cmp_ne_u16_e64 s[2:3], 0, v38
	s_and_saveexec_b64 s[10:11], s[2:3]
	s_cbranch_execz .LBB426_106
; %bb.101:
	s_movk_i32 s2, 0x80
	v_cmp_ne_u16_e64 s[2:3], s2, v38
	v_bfrev_b32_e32 v47, 1
	s_and_saveexec_b64 s[20:21], s[2:3]
	s_cbranch_execz .LBB426_105
; %bb.102:
	v_bfe_u32 v38, v37, 16, 7
	s_movk_i32 s2, 0x7f
	v_cmp_ne_u32_e64 s[2:3], s2, v38
	v_mov_b32_e32 v47, 0x7f800001
	s_and_saveexec_b64 s[22:23], s[2:3]
	s_cbranch_execz .LBB426_104
; %bb.103:
	v_and_b32_e32 v47, 7, v34
	v_ffbh_u32_e32 v50, v47
	v_min_u32_e32 v52, 32, v50
	v_subrev_u32_e32 v50, 28, v52
	v_lshlrev_b64 v[50:51], v50, v[34:35]
	v_and_b32_e32 v50, 7, v50
	v_cmp_gt_u32_e64 s[2:3], 8, v38
	v_lshrrev_b32_e32 v49, 3, v38
	v_sub_u32_e32 v34, 29, v52
	v_cndmask_b32_e64 v38, v47, v50, s[2:3]
	v_mov_b32_e32 v47, 24
	v_cndmask_b32_e64 v34, v49, v34, s[2:3]
	v_lshlrev_b32_sdwa v47, v47, v37 dst_sel:DWORD dst_unused:UNUSED_PAD src0_sel:DWORD src1_sel:WORD_1
	v_bfrev_b32_e32 v49, 60
	v_lshlrev_b32_e32 v38, 20, v38
	v_and_b32_e32 v47, 0x80000000, v47
	v_lshl_add_u32 v34, v34, 23, v49
	v_or3_b32 v47, v47, v34, v38
.LBB426_104:
	s_or_b64 exec, exec, s[22:23]
.LBB426_105:
	s_or_b64 exec, exec, s[20:21]
.LBB426_106:
	s_or_b64 exec, exec, s[10:11]
	s_mov_b32 s2, -1
	s_mov_b32 s3, 0xffffff
	v_cmp_lt_u64_e64 s[2:3], s[2:3], v[36:37]
	v_mov_b32_e32 v38, 0
	v_mov_b32_e32 v36, 0
	s_and_saveexec_b64 s[10:11], s[2:3]
	s_cbranch_execz .LBB426_112
; %bb.107:
	v_lshrrev_b32_e32 v34, 24, v37
	s_movk_i32 s2, 0x80
	v_cmp_ne_u32_e64 s[2:3], s2, v34
	v_bfrev_b32_e32 v36, 1
	s_and_saveexec_b64 s[20:21], s[2:3]
	s_cbranch_execz .LBB426_111
; %bb.108:
	v_bfe_u32 v37, v37, 24, 7
	s_movk_i32 s2, 0x7f
	v_cmp_ne_u32_e64 s[2:3], s2, v37
	v_mov_b32_e32 v36, 0x7f800001
	s_and_saveexec_b64 s[22:23], s[2:3]
	s_cbranch_execz .LBB426_110
; %bb.109:
	v_and_b32_e32 v36, 7, v34
	v_ffbh_u32_e32 v50, v36
	v_min_u32_e32 v52, 32, v50
	v_subrev_u32_e32 v50, 28, v52
	v_lshlrev_b64 v[50:51], v50, v[34:35]
	v_lshrrev_b32_e32 v49, 3, v37
	v_sub_u32_e32 v51, 29, v52
	v_and_b32_e32 v50, 7, v50
	v_cmp_gt_u32_e64 s[2:3], 8, v37
	v_cndmask_b32_e64 v37, v49, v51, s[2:3]
	v_cndmask_b32_e64 v36, v36, v50, s[2:3]
	v_lshlrev_b32_e32 v34, 24, v34
	v_bfrev_b32_e32 v49, 60
	v_lshlrev_b32_e32 v36, 20, v36
	v_and_b32_e32 v34, 0x80000000, v34
	v_lshl_add_u32 v37, v37, 23, v49
	v_or3_b32 v36, v34, v37, v36
.LBB426_110:
	s_or_b64 exec, exec, s[22:23]
.LBB426_111:
	s_or_b64 exec, exec, s[20:21]
.LBB426_112:
	s_or_b64 exec, exec, s[10:11]
	v_cvt_pkrtz_f16_f32 v40, v40, v41
	v_cvt_pkrtz_f16_f32 v41, v39, v46
	;; [unrolled: 1-line block ×4, first 2 shown]
	v_mfma_f32_4x4x4f16 a[0:3], v[18:19], v[40:41], a[0:3] cbsz:4 abid:1
	s_waitcnt vmcnt(6)
	v_cmp_ne_u16_sdwa s[2:3], v30, v38 src0_sel:BYTE_0 src1_sel:DWORD
	v_mfma_f32_4x4x4f16 a[0:3], v[20:21], v[34:35], a[0:3] cbsz:4 abid:1
	s_and_saveexec_b64 s[10:11], s[2:3]
	s_cbranch_execz .LBB426_118
; %bb.113:
	s_movk_i32 s2, 0x80
	v_cmp_ne_u16_sdwa s[2:3], v30, s2 src0_sel:BYTE_0 src1_sel:DWORD
	v_bfrev_b32_e32 v38, 1
	s_and_saveexec_b64 s[20:21], s[2:3]
	s_cbranch_execz .LBB426_117
; %bb.114:
	s_movk_i32 s2, 0x7f
	v_and_b32_e32 v34, 0x7f, v30
	v_cmp_ne_u32_e64 s[2:3], s2, v34
	v_mov_b32_e32 v38, 0x7f800001
	s_and_saveexec_b64 s[22:23], s[2:3]
	s_cbranch_execz .LBB426_116
; %bb.115:
	v_and_b32_e32 v35, 7, v30
	v_ffbh_u32_e32 v35, v35
	v_min_u32_e32 v35, 32, v35
	v_subrev_u32_e32 v37, 28, v35
	v_cmp_gt_u32_e64 s[2:3], 8, v34
	v_lshrrev_b32_e32 v36, 3, v34
	v_sub_u32_e32 v35, 29, v35
	v_cndmask_b32_e64 v34, 0, v37, s[2:3]
	v_cndmask_b32_e64 v36, v36, v35, s[2:3]
	v_lshlrev_b64 v[34:35], v34, v[30:31]
	v_lshlrev_b32_e32 v34, 20, v34
	v_lshlrev_b32_e32 v35, 24, v30
	v_bfrev_b32_e32 v37, 60
	v_and_b32_e32 v34, 0x700000, v34
	v_and_b32_e32 v35, 0x80000000, v35
	v_lshl_add_u32 v36, v36, 23, v37
	v_or3_b32 v38, v35, v36, v34
.LBB426_116:
	s_or_b64 exec, exec, s[22:23]
.LBB426_117:
	s_or_b64 exec, exec, s[20:21]
.LBB426_118:
	s_or_b64 exec, exec, s[10:11]
	v_lshrrev_b16_e32 v34, 8, v30
	v_cmp_ne_u16_e64 s[2:3], 0, v34
	v_mov_b32_e32 v37, 0
	v_mov_b32_e32 v39, 0
	s_and_saveexec_b64 s[10:11], s[2:3]
	s_cbranch_execz .LBB426_124
; %bb.119:
	s_movk_i32 s2, 0x80
	v_cmp_ne_u16_e64 s[2:3], s2, v34
	v_bfrev_b32_e32 v39, 1
	s_and_saveexec_b64 s[20:21], s[2:3]
	s_cbranch_execz .LBB426_123
; %bb.120:
	s_movk_i32 s2, 0x7f
	v_and_b32_e32 v35, 0x7f, v34
	v_cmp_ne_u32_e64 s[2:3], s2, v35
	v_mov_b32_e32 v39, 0x7f800001
	s_and_saveexec_b64 s[22:23], s[2:3]
	s_cbranch_execz .LBB426_122
; %bb.121:
	v_and_b32_e32 v36, 7, v34
	v_ffbh_u32_e32 v40, v36
	v_min_u32_e32 v46, 32, v40
	v_subrev_u32_e32 v40, 28, v46
	v_lshlrev_b64 v[40:41], v40, v[34:35]
	v_lshrrev_b32_e32 v39, 3, v35
	v_sub_u32_e32 v34, 29, v46
	v_and_b32_e32 v40, 7, v40
	v_cmp_gt_u32_e64 s[2:3], 8, v35
	v_cndmask_b32_e64 v34, v39, v34, s[2:3]
	v_cndmask_b32_e64 v35, v36, v40, s[2:3]
	v_lshlrev_b32_e32 v36, 16, v30
	v_bfrev_b32_e32 v39, 60
	v_lshlrev_b32_e32 v35, 20, v35
	v_and_b32_e32 v36, 0x80000000, v36
	v_lshl_add_u32 v34, v34, 23, v39
	v_or3_b32 v39, v36, v34, v35
.LBB426_122:
	s_or_b64 exec, exec, s[22:23]
.LBB426_123:
	s_or_b64 exec, exec, s[20:21]
.LBB426_124:
	s_or_b64 exec, exec, s[10:11]
	s_movk_i32 s2, 0xff
	v_and_b32_sdwa v35, v30, s2 dst_sel:DWORD dst_unused:UNUSED_PAD src0_sel:WORD_1 src1_sel:DWORD
	v_lshrrev_b32_e32 v34, 16, v30
	v_cmp_ne_u16_e64 s[2:3], 0, v35
	s_and_saveexec_b64 s[10:11], s[2:3]
	s_cbranch_execz .LBB426_130
; %bb.125:
	s_movk_i32 s2, 0x80
	v_cmp_ne_u16_e64 s[2:3], s2, v35
	v_bfrev_b32_e32 v37, 1
	s_and_saveexec_b64 s[20:21], s[2:3]
	s_cbranch_execz .LBB426_129
; %bb.126:
	v_bfe_u32 v35, v30, 16, 7
	s_movk_i32 s2, 0x7f
	v_cmp_ne_u32_e64 s[2:3], s2, v35
	v_mov_b32_e32 v37, 0x7f800001
	s_and_saveexec_b64 s[22:23], s[2:3]
	s_cbranch_execz .LBB426_128
; %bb.127:
	v_and_b32_e32 v40, 7, v34
	v_ffbh_u32_e32 v36, v40
	v_min_u32_e32 v46, 32, v36
	v_subrev_u32_e32 v36, 28, v46
	v_lshlrev_b64 v[36:37], v36, v[34:35]
	v_and_b32_e32 v36, 7, v36
	v_cmp_gt_u32_e64 s[2:3], 8, v35
	v_lshrrev_b32_e32 v41, 3, v35
	v_sub_u32_e32 v34, 29, v46
	v_cndmask_b32_e64 v35, v40, v36, s[2:3]
	v_mov_b32_e32 v36, 24
	v_cndmask_b32_e64 v34, v41, v34, s[2:3]
	v_lshlrev_b32_sdwa v36, v36, v30 dst_sel:DWORD dst_unused:UNUSED_PAD src0_sel:DWORD src1_sel:WORD_1
	v_bfrev_b32_e32 v37, 60
	v_lshlrev_b32_e32 v35, 20, v35
	v_and_b32_e32 v36, 0x80000000, v36
	v_lshl_add_u32 v34, v34, 23, v37
	v_or3_b32 v37, v36, v34, v35
.LBB426_128:
	s_or_b64 exec, exec, s[22:23]
.LBB426_129:
	s_or_b64 exec, exec, s[20:21]
.LBB426_130:
	s_or_b64 exec, exec, s[10:11]
	s_mov_b32 s2, 0xffffff
	v_cmp_lt_u32_e64 s[2:3], s2, v30
	v_mov_b32_e32 v35, 0
	v_mov_b32_e32 v40, 0
	s_and_saveexec_b64 s[10:11], s[2:3]
	s_cbranch_execz .LBB426_136
; %bb.131:
	v_lshrrev_b32_e32 v34, 24, v30
	s_movk_i32 s2, 0x80
	v_cmp_ne_u32_e64 s[2:3], s2, v34
	v_bfrev_b32_e32 v40, 1
	s_and_saveexec_b64 s[20:21], s[2:3]
	s_cbranch_execz .LBB426_135
; %bb.132:
	v_bfe_u32 v36, v30, 24, 7
	s_movk_i32 s2, 0x7f
	v_cmp_ne_u32_e64 s[2:3], s2, v36
	v_mov_b32_e32 v40, 0x7f800001
	s_and_saveexec_b64 s[22:23], s[2:3]
	s_cbranch_execz .LBB426_134
; %bb.133:
	v_and_b32_e32 v46, 7, v34
	v_ffbh_u32_e32 v40, v46
	v_min_u32_e32 v48, 32, v40
	v_subrev_u32_e32 v40, 28, v48
	v_lshlrev_b64 v[40:41], v40, v[34:35]
	v_lshrrev_b32_e32 v47, 3, v36
	v_sub_u32_e32 v41, 29, v48
	v_and_b32_e32 v40, 7, v40
	v_cmp_gt_u32_e64 s[2:3], 8, v36
	v_cndmask_b32_e64 v36, v47, v41, s[2:3]
	v_cndmask_b32_e64 v40, v46, v40, s[2:3]
	v_lshlrev_b32_e32 v34, 24, v34
	v_bfrev_b32_e32 v41, 60
	v_lshlrev_b32_e32 v40, 20, v40
	v_and_b32_e32 v34, 0x80000000, v34
	v_lshl_add_u32 v36, v36, 23, v41
	v_or3_b32 v40, v34, v36, v40
.LBB426_134:
	s_or_b64 exec, exec, s[22:23]
.LBB426_135:
	s_or_b64 exec, exec, s[20:21]
.LBB426_136:
	s_or_b64 exec, exec, s[10:11]
	v_mov_b32_e32 v34, v31
	v_cmp_ne_u16_sdwa s[2:3], v31, v35 src0_sel:BYTE_0 src1_sel:DWORD
	s_and_saveexec_b64 s[10:11], s[2:3]
	s_cbranch_execz .LBB426_142
; %bb.137:
	s_movk_i32 s2, 0x80
	v_cmp_ne_u16_sdwa s[2:3], v31, s2 src0_sel:BYTE_0 src1_sel:DWORD
	v_bfrev_b32_e32 v36, 1
	s_and_saveexec_b64 s[20:21], s[2:3]
	s_cbranch_execz .LBB426_141
; %bb.138:
	s_movk_i32 s2, 0x7f
	v_and_b32_e32 v41, 0x7f, v31
	v_cmp_ne_u32_e64 s[2:3], s2, v41
	v_mov_b32_e32 v36, 0x7f800001
	s_and_saveexec_b64 s[22:23], s[2:3]
	s_cbranch_execz .LBB426_140
; %bb.139:
	v_and_b32_e32 v36, 7, v31
	v_ffbh_u32_e32 v36, v36
	v_min_u32_e32 v36, 32, v36
	v_subrev_u32_e32 v47, 28, v36
	v_cmp_gt_u32_e64 s[2:3], 8, v41
	v_lshrrev_b32_e32 v46, 3, v41
	v_sub_u32_e32 v36, 29, v36
	v_cndmask_b32_e64 v41, 0, v47, s[2:3]
	v_cndmask_b32_e64 v36, v46, v36, s[2:3]
	v_lshlrev_b64 v[46:47], v41, v[34:35]
	v_lshlrev_b32_e32 v35, 20, v46
	v_lshlrev_b32_e32 v41, 24, v34
	v_bfrev_b32_e32 v46, 60
	v_and_b32_e32 v35, 0x700000, v35
	v_and_b32_e32 v41, 0x80000000, v41
	v_lshl_add_u32 v36, v36, 23, v46
	v_or3_b32 v36, v41, v36, v35
.LBB426_140:
	s_or_b64 exec, exec, s[22:23]
.LBB426_141:
	s_or_b64 exec, exec, s[20:21]
	v_mov_b32_e32 v35, v36
.LBB426_142:
	s_or_b64 exec, exec, s[10:11]
	v_lshrrev_b16_e32 v36, 8, v34
	v_cmp_ne_u16_e64 s[2:3], 0, v36
	v_mov_b32_e32 v41, 0
	v_mov_b32_e32 v46, 0
	s_and_saveexec_b64 s[10:11], s[2:3]
	s_cbranch_execz .LBB426_148
; %bb.143:
	s_movk_i32 s2, 0x80
	v_cmp_ne_u16_e64 s[2:3], s2, v36
	v_bfrev_b32_e32 v46, 1
	s_and_saveexec_b64 s[20:21], s[2:3]
	s_cbranch_execz .LBB426_147
; %bb.144:
	s_movk_i32 s2, 0x7f
	v_and_b32_e32 v47, 0x7f, v36
	v_cmp_ne_u32_e64 s[2:3], s2, v47
	v_mov_b32_e32 v46, 0x7f800001
	s_and_saveexec_b64 s[22:23], s[2:3]
	s_cbranch_execz .LBB426_146
; %bb.145:
	v_and_b32_e32 v46, 7, v36
	v_ffbh_u32_e32 v48, v46
	v_min_u32_e32 v51, 32, v48
	v_subrev_u32_e32 v48, 28, v51
	v_lshlrev_b64 v[48:49], v48, v[36:37]
	v_lshrrev_b32_e32 v50, 3, v47
	v_sub_u32_e32 v36, 29, v51
	v_and_b32_e32 v48, 7, v48
	v_cmp_gt_u32_e64 s[2:3], 8, v47
	v_cndmask_b32_e64 v36, v50, v36, s[2:3]
	v_cndmask_b32_e64 v46, v46, v48, s[2:3]
	v_lshlrev_b32_e32 v34, 16, v34
	v_bfrev_b32_e32 v47, 60
	v_lshlrev_b32_e32 v46, 20, v46
	v_and_b32_e32 v34, 0x80000000, v34
	v_lshl_add_u32 v36, v36, 23, v47
	v_or3_b32 v46, v34, v36, v46
.LBB426_146:
	s_or_b64 exec, exec, s[22:23]
.LBB426_147:
	s_or_b64 exec, exec, s[20:21]
.LBB426_148:
	s_or_b64 exec, exec, s[10:11]
	s_movk_i32 s2, 0xff
	v_and_b32_sdwa v36, v31, s2 dst_sel:DWORD dst_unused:UNUSED_PAD src0_sel:WORD_1 src1_sel:DWORD
	v_lshrrev_b32_e32 v34, 16, v31
	v_cmp_ne_u16_e64 s[2:3], 0, v36
	s_and_saveexec_b64 s[10:11], s[2:3]
	s_cbranch_execz .LBB426_154
; %bb.149:
	s_movk_i32 s2, 0x80
	v_cmp_ne_u16_e64 s[2:3], s2, v36
	v_bfrev_b32_e32 v41, 1
	s_and_saveexec_b64 s[20:21], s[2:3]
	s_cbranch_execz .LBB426_153
; %bb.150:
	v_bfe_u32 v36, v31, 16, 7
	s_movk_i32 s2, 0x7f
	v_cmp_ne_u32_e64 s[2:3], s2, v36
	v_mov_b32_e32 v41, 0x7f800001
	s_and_saveexec_b64 s[22:23], s[2:3]
	s_cbranch_execz .LBB426_152
; %bb.151:
	v_and_b32_e32 v41, 7, v34
	v_ffbh_u32_e32 v48, v41
	v_min_u32_e32 v50, 32, v48
	v_subrev_u32_e32 v48, 28, v50
	v_lshlrev_b64 v[48:49], v48, v[34:35]
	v_and_b32_e32 v48, 7, v48
	v_cmp_gt_u32_e64 s[2:3], 8, v36
	v_lshrrev_b32_e32 v47, 3, v36
	v_sub_u32_e32 v34, 29, v50
	v_cndmask_b32_e64 v36, v41, v48, s[2:3]
	v_mov_b32_e32 v41, 24
	v_cndmask_b32_e64 v34, v47, v34, s[2:3]
	v_lshlrev_b32_sdwa v41, v41, v31 dst_sel:DWORD dst_unused:UNUSED_PAD src0_sel:DWORD src1_sel:WORD_1
	v_bfrev_b32_e32 v47, 60
	v_lshlrev_b32_e32 v36, 20, v36
	v_and_b32_e32 v41, 0x80000000, v41
	v_lshl_add_u32 v34, v34, 23, v47
	v_or3_b32 v41, v41, v34, v36
.LBB426_152:
	s_or_b64 exec, exec, s[22:23]
.LBB426_153:
	s_or_b64 exec, exec, s[20:21]
.LBB426_154:
	s_or_b64 exec, exec, s[10:11]
	s_mov_b32 s2, -1
	s_mov_b32 s3, 0xffffff
	v_cmp_lt_u64_e64 s[2:3], s[2:3], v[30:31]
	v_mov_b32_e32 v36, 0
	v_mov_b32_e32 v34, 0
	s_and_saveexec_b64 s[10:11], s[2:3]
	s_cbranch_execz .LBB426_160
; %bb.155:
	v_lshrrev_b32_e32 v30, 24, v31
	s_movk_i32 s2, 0x80
	v_cmp_ne_u32_e64 s[2:3], s2, v30
	v_bfrev_b32_e32 v34, 1
	s_and_saveexec_b64 s[20:21], s[2:3]
	s_cbranch_execz .LBB426_159
; %bb.156:
	v_bfe_u32 v31, v31, 24, 7
	s_movk_i32 s2, 0x7f
	v_cmp_ne_u32_e64 s[2:3], s2, v31
	v_mov_b32_e32 v34, 0x7f800001
	s_and_saveexec_b64 s[22:23], s[2:3]
	s_cbranch_execz .LBB426_158
; %bb.157:
	v_and_b32_e32 v34, 7, v30
	v_ffbh_u32_e32 v48, v34
	v_min_u32_e32 v50, 32, v48
	v_subrev_u32_e32 v48, 28, v50
	v_lshlrev_b64 v[48:49], v48, v[30:31]
	v_lshrrev_b32_e32 v47, 3, v31
	v_sub_u32_e32 v49, 29, v50
	v_and_b32_e32 v48, 7, v48
	v_cmp_gt_u32_e64 s[2:3], 8, v31
	v_cndmask_b32_e64 v31, v47, v49, s[2:3]
	v_cndmask_b32_e64 v34, v34, v48, s[2:3]
	v_lshlrev_b32_e32 v30, 24, v30
	v_bfrev_b32_e32 v47, 60
	v_lshlrev_b32_e32 v34, 20, v34
	v_and_b32_e32 v30, 0x80000000, v30
	v_lshl_add_u32 v31, v31, 23, v47
	v_or3_b32 v34, v30, v31, v34
.LBB426_158:
	s_or_b64 exec, exec, s[22:23]
.LBB426_159:
	s_or_b64 exec, exec, s[20:21]
.LBB426_160:
	s_or_b64 exec, exec, s[10:11]
	v_cvt_pkrtz_f16_f32 v30, v38, v39
	v_cvt_pkrtz_f16_f32 v31, v37, v40
	;; [unrolled: 1-line block ×4, first 2 shown]
	v_mfma_f32_4x4x4f16 a[0:3], v[18:19], v[30:31], a[0:3] cbsz:4 abid:2
	v_cmp_ne_u16_sdwa s[2:3], v32, v36 src0_sel:BYTE_0 src1_sel:DWORD
	v_mfma_f32_4x4x4f16 a[0:3], v[20:21], v[38:39], a[0:3] cbsz:4 abid:2
	s_and_saveexec_b64 s[10:11], s[2:3]
	s_cbranch_execz .LBB426_166
; %bb.161:
	s_movk_i32 s2, 0x80
	v_cmp_ne_u16_sdwa s[2:3], v32, s2 src0_sel:BYTE_0 src1_sel:DWORD
	v_bfrev_b32_e32 v36, 1
	s_and_saveexec_b64 s[20:21], s[2:3]
	s_cbranch_execz .LBB426_165
; %bb.162:
	s_movk_i32 s2, 0x7f
	v_and_b32_e32 v30, 0x7f, v32
	v_cmp_ne_u32_e64 s[2:3], s2, v30
	v_mov_b32_e32 v36, 0x7f800001
	s_and_saveexec_b64 s[22:23], s[2:3]
	s_cbranch_execz .LBB426_164
; %bb.163:
	v_and_b32_e32 v31, 7, v32
	v_ffbh_u32_e32 v31, v31
	v_min_u32_e32 v31, 32, v31
	v_subrev_u32_e32 v35, 28, v31
	v_cmp_gt_u32_e64 s[2:3], 8, v30
	v_lshrrev_b32_e32 v34, 3, v30
	v_sub_u32_e32 v31, 29, v31
	v_cndmask_b32_e64 v30, 0, v35, s[2:3]
	v_cndmask_b32_e64 v34, v34, v31, s[2:3]
	v_lshlrev_b64 v[30:31], v30, v[32:33]
	v_lshlrev_b32_e32 v30, 20, v30
	v_lshlrev_b32_e32 v31, 24, v32
	v_bfrev_b32_e32 v35, 60
	v_and_b32_e32 v30, 0x700000, v30
	v_and_b32_e32 v31, 0x80000000, v31
	v_lshl_add_u32 v34, v34, 23, v35
	v_or3_b32 v36, v31, v34, v30
.LBB426_164:
	s_or_b64 exec, exec, s[22:23]
.LBB426_165:
	s_or_b64 exec, exec, s[20:21]
.LBB426_166:
	s_or_b64 exec, exec, s[10:11]
	v_lshrrev_b16_e32 v30, 8, v32
	v_cmp_ne_u16_e64 s[2:3], 0, v30
	v_mov_b32_e32 v35, 0
	v_mov_b32_e32 v37, 0
	s_and_saveexec_b64 s[10:11], s[2:3]
	s_cbranch_execz .LBB426_172
; %bb.167:
	s_movk_i32 s2, 0x80
	v_cmp_ne_u16_e64 s[2:3], s2, v30
	v_bfrev_b32_e32 v37, 1
	s_and_saveexec_b64 s[20:21], s[2:3]
	s_cbranch_execz .LBB426_171
; %bb.168:
	s_movk_i32 s2, 0x7f
	v_and_b32_e32 v31, 0x7f, v30
	v_cmp_ne_u32_e64 s[2:3], s2, v31
	v_mov_b32_e32 v37, 0x7f800001
	s_and_saveexec_b64 s[22:23], s[2:3]
	s_cbranch_execz .LBB426_170
; %bb.169:
	v_and_b32_e32 v34, 7, v30
	v_ffbh_u32_e32 v38, v34
	v_min_u32_e32 v40, 32, v38
	v_subrev_u32_e32 v38, 28, v40
	v_lshlrev_b64 v[38:39], v38, v[30:31]
	v_lshrrev_b32_e32 v37, 3, v31
	v_sub_u32_e32 v30, 29, v40
	v_and_b32_e32 v38, 7, v38
	v_cmp_gt_u32_e64 s[2:3], 8, v31
	v_cndmask_b32_e64 v30, v37, v30, s[2:3]
	v_cndmask_b32_e64 v31, v34, v38, s[2:3]
	v_lshlrev_b32_e32 v34, 16, v32
	v_bfrev_b32_e32 v37, 60
	v_lshlrev_b32_e32 v31, 20, v31
	v_and_b32_e32 v34, 0x80000000, v34
	v_lshl_add_u32 v30, v30, 23, v37
	v_or3_b32 v37, v34, v30, v31
.LBB426_170:
	s_or_b64 exec, exec, s[22:23]
.LBB426_171:
	s_or_b64 exec, exec, s[20:21]
.LBB426_172:
	s_or_b64 exec, exec, s[10:11]
	s_movk_i32 s2, 0xff
	v_and_b32_sdwa v31, v32, s2 dst_sel:DWORD dst_unused:UNUSED_PAD src0_sel:WORD_1 src1_sel:DWORD
	v_lshrrev_b32_e32 v30, 16, v32
	v_cmp_ne_u16_e64 s[2:3], 0, v31
	s_and_saveexec_b64 s[10:11], s[2:3]
	s_cbranch_execz .LBB426_178
; %bb.173:
	s_movk_i32 s2, 0x80
	v_cmp_ne_u16_e64 s[2:3], s2, v31
	v_bfrev_b32_e32 v35, 1
	s_and_saveexec_b64 s[20:21], s[2:3]
	s_cbranch_execz .LBB426_177
; %bb.174:
	v_bfe_u32 v31, v32, 16, 7
	s_movk_i32 s2, 0x7f
	v_cmp_ne_u32_e64 s[2:3], s2, v31
	v_mov_b32_e32 v35, 0x7f800001
	s_and_saveexec_b64 s[22:23], s[2:3]
	s_cbranch_execz .LBB426_176
; %bb.175:
	v_and_b32_e32 v38, 7, v30
	v_ffbh_u32_e32 v34, v38
	v_min_u32_e32 v40, 32, v34
	v_subrev_u32_e32 v34, 28, v40
	v_lshlrev_b64 v[34:35], v34, v[30:31]
	v_and_b32_e32 v34, 7, v34
	v_cmp_gt_u32_e64 s[2:3], 8, v31
	v_lshrrev_b32_e32 v39, 3, v31
	v_sub_u32_e32 v30, 29, v40
	v_cndmask_b32_e64 v31, v38, v34, s[2:3]
	v_mov_b32_e32 v34, 24
	v_cndmask_b32_e64 v30, v39, v30, s[2:3]
	v_lshlrev_b32_sdwa v34, v34, v32 dst_sel:DWORD dst_unused:UNUSED_PAD src0_sel:DWORD src1_sel:WORD_1
	v_bfrev_b32_e32 v35, 60
	v_lshlrev_b32_e32 v31, 20, v31
	v_and_b32_e32 v34, 0x80000000, v34
	v_lshl_add_u32 v30, v30, 23, v35
	v_or3_b32 v35, v34, v30, v31
.LBB426_176:
	s_or_b64 exec, exec, s[22:23]
.LBB426_177:
	s_or_b64 exec, exec, s[20:21]
.LBB426_178:
	s_or_b64 exec, exec, s[10:11]
	s_mov_b32 s2, 0xffffff
	v_cmp_lt_u32_e64 s[2:3], s2, v32
	v_mov_b32_e32 v31, 0
	v_mov_b32_e32 v38, 0
	s_and_saveexec_b64 s[10:11], s[2:3]
	s_cbranch_execz .LBB426_184
; %bb.179:
	v_lshrrev_b32_e32 v30, 24, v32
	s_movk_i32 s2, 0x80
	v_cmp_ne_u32_e64 s[2:3], s2, v30
	v_bfrev_b32_e32 v38, 1
	s_and_saveexec_b64 s[20:21], s[2:3]
	s_cbranch_execz .LBB426_183
; %bb.180:
	v_bfe_u32 v34, v32, 24, 7
	s_movk_i32 s2, 0x7f
	v_cmp_ne_u32_e64 s[2:3], s2, v34
	v_mov_b32_e32 v38, 0x7f800001
	s_and_saveexec_b64 s[22:23], s[2:3]
	s_cbranch_execz .LBB426_182
; %bb.181:
	v_and_b32_e32 v40, 7, v30
	v_ffbh_u32_e32 v38, v40
	v_min_u32_e32 v46, 32, v38
	v_subrev_u32_e32 v38, 28, v46
	v_lshlrev_b64 v[38:39], v38, v[30:31]
	v_lshrrev_b32_e32 v41, 3, v34
	v_sub_u32_e32 v39, 29, v46
	v_and_b32_e32 v38, 7, v38
	v_cmp_gt_u32_e64 s[2:3], 8, v34
	v_cndmask_b32_e64 v34, v41, v39, s[2:3]
	v_cndmask_b32_e64 v38, v40, v38, s[2:3]
	v_lshlrev_b32_e32 v30, 24, v30
	v_bfrev_b32_e32 v39, 60
	v_lshlrev_b32_e32 v38, 20, v38
	v_and_b32_e32 v30, 0x80000000, v30
	v_lshl_add_u32 v34, v34, 23, v39
	v_or3_b32 v38, v30, v34, v38
.LBB426_182:
	s_or_b64 exec, exec, s[22:23]
.LBB426_183:
	s_or_b64 exec, exec, s[20:21]
.LBB426_184:
	s_or_b64 exec, exec, s[10:11]
	v_mov_b32_e32 v30, v33
	v_cmp_ne_u16_sdwa s[2:3], v33, v31 src0_sel:BYTE_0 src1_sel:DWORD
	s_and_saveexec_b64 s[10:11], s[2:3]
	s_cbranch_execz .LBB426_190
; %bb.185:
	s_movk_i32 s2, 0x80
	v_cmp_ne_u16_sdwa s[2:3], v33, s2 src0_sel:BYTE_0 src1_sel:DWORD
	v_bfrev_b32_e32 v34, 1
	s_and_saveexec_b64 s[20:21], s[2:3]
	s_cbranch_execz .LBB426_189
; %bb.186:
	s_movk_i32 s2, 0x7f
	v_and_b32_e32 v39, 0x7f, v33
	v_cmp_ne_u32_e64 s[2:3], s2, v39
	v_mov_b32_e32 v34, 0x7f800001
	s_and_saveexec_b64 s[22:23], s[2:3]
	s_cbranch_execz .LBB426_188
; %bb.187:
	v_and_b32_e32 v34, 7, v33
	v_ffbh_u32_e32 v34, v34
	v_min_u32_e32 v34, 32, v34
	v_subrev_u32_e32 v41, 28, v34
	v_cmp_gt_u32_e64 s[2:3], 8, v39
	v_lshrrev_b32_e32 v40, 3, v39
	v_sub_u32_e32 v34, 29, v34
	v_cndmask_b32_e64 v39, 0, v41, s[2:3]
	v_cndmask_b32_e64 v34, v40, v34, s[2:3]
	v_lshlrev_b64 v[40:41], v39, v[30:31]
	v_lshlrev_b32_e32 v31, 20, v40
	v_lshlrev_b32_e32 v39, 24, v30
	v_bfrev_b32_e32 v40, 60
	v_and_b32_e32 v31, 0x700000, v31
	v_and_b32_e32 v39, 0x80000000, v39
	v_lshl_add_u32 v34, v34, 23, v40
	v_or3_b32 v34, v39, v34, v31
.LBB426_188:
	s_or_b64 exec, exec, s[22:23]
.LBB426_189:
	s_or_b64 exec, exec, s[20:21]
	v_mov_b32_e32 v31, v34
.LBB426_190:
	s_or_b64 exec, exec, s[10:11]
	v_lshrrev_b16_e32 v34, 8, v30
	v_cmp_ne_u16_e64 s[2:3], 0, v34
	v_mov_b32_e32 v39, 0
	v_mov_b32_e32 v40, 0
	s_and_saveexec_b64 s[10:11], s[2:3]
	s_cbranch_execz .LBB426_196
; %bb.191:
	s_movk_i32 s2, 0x80
	v_cmp_ne_u16_e64 s[2:3], s2, v34
	v_bfrev_b32_e32 v40, 1
	s_and_saveexec_b64 s[20:21], s[2:3]
	s_cbranch_execz .LBB426_195
; %bb.192:
	s_movk_i32 s2, 0x7f
	v_and_b32_e32 v41, 0x7f, v34
	v_cmp_ne_u32_e64 s[2:3], s2, v41
	v_mov_b32_e32 v40, 0x7f800001
	s_and_saveexec_b64 s[22:23], s[2:3]
	s_cbranch_execz .LBB426_194
; %bb.193:
	v_and_b32_e32 v40, 7, v34
	v_ffbh_u32_e32 v46, v40
	v_min_u32_e32 v49, 32, v46
	v_subrev_u32_e32 v46, 28, v49
	v_lshlrev_b64 v[46:47], v46, v[34:35]
	v_lshrrev_b32_e32 v48, 3, v41
	v_sub_u32_e32 v34, 29, v49
	v_and_b32_e32 v46, 7, v46
	v_cmp_gt_u32_e64 s[2:3], 8, v41
	v_cndmask_b32_e64 v34, v48, v34, s[2:3]
	v_cndmask_b32_e64 v40, v40, v46, s[2:3]
	v_lshlrev_b32_e32 v30, 16, v30
	v_bfrev_b32_e32 v41, 60
	v_lshlrev_b32_e32 v40, 20, v40
	v_and_b32_e32 v30, 0x80000000, v30
	v_lshl_add_u32 v34, v34, 23, v41
	v_or3_b32 v40, v30, v34, v40
.LBB426_194:
	s_or_b64 exec, exec, s[22:23]
.LBB426_195:
	s_or_b64 exec, exec, s[20:21]
.LBB426_196:
	s_or_b64 exec, exec, s[10:11]
	s_movk_i32 s2, 0xff
	v_and_b32_sdwa v34, v33, s2 dst_sel:DWORD dst_unused:UNUSED_PAD src0_sel:WORD_1 src1_sel:DWORD
	v_lshrrev_b32_e32 v30, 16, v33
	v_cmp_ne_u16_e64 s[2:3], 0, v34
	s_and_saveexec_b64 s[10:11], s[2:3]
	s_cbranch_execz .LBB426_202
; %bb.197:
	s_movk_i32 s2, 0x80
	v_cmp_ne_u16_e64 s[2:3], s2, v34
	v_bfrev_b32_e32 v39, 1
	s_and_saveexec_b64 s[20:21], s[2:3]
	s_cbranch_execz .LBB426_201
; %bb.198:
	v_bfe_u32 v34, v33, 16, 7
	s_movk_i32 s2, 0x7f
	v_cmp_ne_u32_e64 s[2:3], s2, v34
	v_mov_b32_e32 v39, 0x7f800001
	s_and_saveexec_b64 s[22:23], s[2:3]
	s_cbranch_execz .LBB426_200
; %bb.199:
	v_and_b32_e32 v39, 7, v30
	v_ffbh_u32_e32 v46, v39
	v_min_u32_e32 v48, 32, v46
	v_subrev_u32_e32 v46, 28, v48
	v_lshlrev_b64 v[46:47], v46, v[30:31]
	v_and_b32_e32 v46, 7, v46
	v_cmp_gt_u32_e64 s[2:3], 8, v34
	v_lshrrev_b32_e32 v41, 3, v34
	v_sub_u32_e32 v30, 29, v48
	v_cndmask_b32_e64 v34, v39, v46, s[2:3]
	v_mov_b32_e32 v39, 24
	v_cndmask_b32_e64 v30, v41, v30, s[2:3]
	v_lshlrev_b32_sdwa v39, v39, v33 dst_sel:DWORD dst_unused:UNUSED_PAD src0_sel:DWORD src1_sel:WORD_1
	v_bfrev_b32_e32 v41, 60
	v_lshlrev_b32_e32 v34, 20, v34
	v_and_b32_e32 v39, 0x80000000, v39
	v_lshl_add_u32 v30, v30, 23, v41
	v_or3_b32 v39, v39, v30, v34
.LBB426_200:
	s_or_b64 exec, exec, s[22:23]
.LBB426_201:
	s_or_b64 exec, exec, s[20:21]
.LBB426_202:
	s_or_b64 exec, exec, s[10:11]
	s_mov_b32 s2, -1
	s_mov_b32 s3, 0xffffff
	v_cmp_lt_u64_e64 s[2:3], s[2:3], v[32:33]
	v_mov_b32_e32 v34, 0
	v_mov_b32_e32 v32, 0
	s_and_saveexec_b64 s[10:11], s[2:3]
	s_cbranch_execz .LBB426_208
; %bb.203:
	v_lshrrev_b32_e32 v30, 24, v33
	s_movk_i32 s2, 0x80
	v_cmp_ne_u32_e64 s[2:3], s2, v30
	v_bfrev_b32_e32 v32, 1
	s_and_saveexec_b64 s[20:21], s[2:3]
	s_cbranch_execz .LBB426_207
; %bb.204:
	v_bfe_u32 v33, v33, 24, 7
	s_movk_i32 s2, 0x7f
	v_cmp_ne_u32_e64 s[2:3], s2, v33
	v_mov_b32_e32 v32, 0x7f800001
	s_and_saveexec_b64 s[22:23], s[2:3]
	s_cbranch_execz .LBB426_206
; %bb.205:
	v_and_b32_e32 v32, 7, v30
	v_ffbh_u32_e32 v46, v32
	v_min_u32_e32 v48, 32, v46
	v_subrev_u32_e32 v46, 28, v48
	v_lshlrev_b64 v[46:47], v46, v[30:31]
	v_lshrrev_b32_e32 v41, 3, v33
	v_sub_u32_e32 v47, 29, v48
	v_and_b32_e32 v46, 7, v46
	v_cmp_gt_u32_e64 s[2:3], 8, v33
	v_cndmask_b32_e64 v33, v41, v47, s[2:3]
	v_cndmask_b32_e64 v32, v32, v46, s[2:3]
	v_lshlrev_b32_e32 v30, 24, v30
	v_bfrev_b32_e32 v41, 60
	v_lshlrev_b32_e32 v32, 20, v32
	v_and_b32_e32 v30, 0x80000000, v30
	v_lshl_add_u32 v33, v33, 23, v41
	v_or3_b32 v32, v30, v33, v32
.LBB426_206:
	s_or_b64 exec, exec, s[22:23]
.LBB426_207:
	s_or_b64 exec, exec, s[20:21]
.LBB426_208:
	s_or_b64 exec, exec, s[10:11]
	v_cvt_pkrtz_f16_f32 v36, v36, v37
	v_cvt_pkrtz_f16_f32 v37, v35, v38
	;; [unrolled: 1-line block ×4, first 2 shown]
	v_mfma_f32_4x4x4f16 a[0:3], v[18:19], v[36:37], a[0:3] cbsz:4 abid:3
	s_waitcnt vmcnt(5)
	v_cmp_ne_u16_sdwa s[2:3], v26, v34 src0_sel:BYTE_0 src1_sel:DWORD
	v_mfma_f32_4x4x4f16 a[0:3], v[20:21], v[30:31], a[0:3] cbsz:4 abid:3
	s_and_saveexec_b64 s[10:11], s[2:3]
	s_cbranch_execz .LBB426_214
; %bb.209:
	s_movk_i32 s2, 0x80
	v_cmp_ne_u16_sdwa s[2:3], v26, s2 src0_sel:BYTE_0 src1_sel:DWORD
	v_bfrev_b32_e32 v34, 1
	s_and_saveexec_b64 s[20:21], s[2:3]
	s_cbranch_execz .LBB426_213
; %bb.210:
	s_movk_i32 s2, 0x7f
	v_and_b32_e32 v30, 0x7f, v26
	v_cmp_ne_u32_e64 s[2:3], s2, v30
	v_mov_b32_e32 v34, 0x7f800001
	s_and_saveexec_b64 s[22:23], s[2:3]
	s_cbranch_execz .LBB426_212
; %bb.211:
	v_and_b32_e32 v31, 7, v26
	v_ffbh_u32_e32 v31, v31
	v_min_u32_e32 v31, 32, v31
	v_subrev_u32_e32 v33, 28, v31
	v_cmp_gt_u32_e64 s[2:3], 8, v30
	v_lshrrev_b32_e32 v32, 3, v30
	v_sub_u32_e32 v31, 29, v31
	v_cndmask_b32_e64 v30, 0, v33, s[2:3]
	v_cndmask_b32_e64 v32, v32, v31, s[2:3]
	v_lshlrev_b64 v[30:31], v30, v[26:27]
	v_lshlrev_b32_e32 v30, 20, v30
	v_lshlrev_b32_e32 v31, 24, v26
	v_bfrev_b32_e32 v33, 60
	v_and_b32_e32 v30, 0x700000, v30
	v_and_b32_e32 v31, 0x80000000, v31
	v_lshl_add_u32 v32, v32, 23, v33
	v_or3_b32 v34, v31, v32, v30
.LBB426_212:
	s_or_b64 exec, exec, s[22:23]
.LBB426_213:
	s_or_b64 exec, exec, s[20:21]
.LBB426_214:
	s_or_b64 exec, exec, s[10:11]
	v_lshrrev_b16_e32 v30, 8, v26
	v_cmp_ne_u16_e64 s[2:3], 0, v30
	v_mov_b32_e32 v33, 0
	v_mov_b32_e32 v35, 0
	s_and_saveexec_b64 s[10:11], s[2:3]
	s_cbranch_execz .LBB426_220
; %bb.215:
	s_movk_i32 s2, 0x80
	v_cmp_ne_u16_e64 s[2:3], s2, v30
	v_bfrev_b32_e32 v35, 1
	s_and_saveexec_b64 s[20:21], s[2:3]
	s_cbranch_execz .LBB426_219
; %bb.216:
	s_movk_i32 s2, 0x7f
	v_and_b32_e32 v31, 0x7f, v30
	v_cmp_ne_u32_e64 s[2:3], s2, v31
	v_mov_b32_e32 v35, 0x7f800001
	s_and_saveexec_b64 s[22:23], s[2:3]
	s_cbranch_execz .LBB426_218
; %bb.217:
	v_and_b32_e32 v32, 7, v30
	v_ffbh_u32_e32 v36, v32
	v_min_u32_e32 v38, 32, v36
	v_subrev_u32_e32 v36, 28, v38
	v_lshlrev_b64 v[36:37], v36, v[30:31]
	v_lshrrev_b32_e32 v35, 3, v31
	v_sub_u32_e32 v30, 29, v38
	v_and_b32_e32 v36, 7, v36
	v_cmp_gt_u32_e64 s[2:3], 8, v31
	v_cndmask_b32_e64 v30, v35, v30, s[2:3]
	v_cndmask_b32_e64 v31, v32, v36, s[2:3]
	v_lshlrev_b32_e32 v32, 16, v26
	v_bfrev_b32_e32 v35, 60
	v_lshlrev_b32_e32 v31, 20, v31
	v_and_b32_e32 v32, 0x80000000, v32
	v_lshl_add_u32 v30, v30, 23, v35
	v_or3_b32 v35, v32, v30, v31
.LBB426_218:
	s_or_b64 exec, exec, s[22:23]
.LBB426_219:
	s_or_b64 exec, exec, s[20:21]
.LBB426_220:
	s_or_b64 exec, exec, s[10:11]
	s_movk_i32 s2, 0xff
	v_and_b32_sdwa v31, v26, s2 dst_sel:DWORD dst_unused:UNUSED_PAD src0_sel:WORD_1 src1_sel:DWORD
	v_lshrrev_b32_e32 v30, 16, v26
	v_cmp_ne_u16_e64 s[2:3], 0, v31
	s_and_saveexec_b64 s[10:11], s[2:3]
	s_cbranch_execz .LBB426_226
; %bb.221:
	s_movk_i32 s2, 0x80
	v_cmp_ne_u16_e64 s[2:3], s2, v31
	v_bfrev_b32_e32 v33, 1
	s_and_saveexec_b64 s[20:21], s[2:3]
	s_cbranch_execz .LBB426_225
; %bb.222:
	v_bfe_u32 v31, v26, 16, 7
	s_movk_i32 s2, 0x7f
	v_cmp_ne_u32_e64 s[2:3], s2, v31
	v_mov_b32_e32 v33, 0x7f800001
	s_and_saveexec_b64 s[22:23], s[2:3]
	s_cbranch_execz .LBB426_224
; %bb.223:
	v_and_b32_e32 v36, 7, v30
	v_ffbh_u32_e32 v32, v36
	v_min_u32_e32 v38, 32, v32
	v_subrev_u32_e32 v32, 28, v38
	v_lshlrev_b64 v[32:33], v32, v[30:31]
	v_and_b32_e32 v32, 7, v32
	v_cmp_gt_u32_e64 s[2:3], 8, v31
	v_lshrrev_b32_e32 v37, 3, v31
	v_sub_u32_e32 v30, 29, v38
	v_cndmask_b32_e64 v31, v36, v32, s[2:3]
	v_mov_b32_e32 v32, 24
	v_cndmask_b32_e64 v30, v37, v30, s[2:3]
	v_lshlrev_b32_sdwa v32, v32, v26 dst_sel:DWORD dst_unused:UNUSED_PAD src0_sel:DWORD src1_sel:WORD_1
	v_bfrev_b32_e32 v33, 60
	v_lshlrev_b32_e32 v31, 20, v31
	v_and_b32_e32 v32, 0x80000000, v32
	v_lshl_add_u32 v30, v30, 23, v33
	v_or3_b32 v33, v32, v30, v31
.LBB426_224:
	s_or_b64 exec, exec, s[22:23]
.LBB426_225:
	s_or_b64 exec, exec, s[20:21]
.LBB426_226:
	s_or_b64 exec, exec, s[10:11]
	s_mov_b32 s2, 0xffffff
	v_cmp_lt_u32_e64 s[2:3], s2, v26
	v_mov_b32_e32 v31, 0
	v_mov_b32_e32 v36, 0
	s_and_saveexec_b64 s[10:11], s[2:3]
	s_cbranch_execz .LBB426_232
; %bb.227:
	v_lshrrev_b32_e32 v30, 24, v26
	s_movk_i32 s2, 0x80
	v_cmp_ne_u32_e64 s[2:3], s2, v30
	v_bfrev_b32_e32 v36, 1
	s_and_saveexec_b64 s[20:21], s[2:3]
	s_cbranch_execz .LBB426_231
; %bb.228:
	v_bfe_u32 v32, v26, 24, 7
	s_movk_i32 s2, 0x7f
	v_cmp_ne_u32_e64 s[2:3], s2, v32
	v_mov_b32_e32 v36, 0x7f800001
	s_and_saveexec_b64 s[22:23], s[2:3]
	s_cbranch_execz .LBB426_230
; %bb.229:
	v_and_b32_e32 v38, 7, v30
	v_ffbh_u32_e32 v36, v38
	v_min_u32_e32 v40, 32, v36
	v_subrev_u32_e32 v36, 28, v40
	v_lshlrev_b64 v[36:37], v36, v[30:31]
	v_lshrrev_b32_e32 v39, 3, v32
	v_sub_u32_e32 v37, 29, v40
	v_and_b32_e32 v36, 7, v36
	v_cmp_gt_u32_e64 s[2:3], 8, v32
	v_cndmask_b32_e64 v32, v39, v37, s[2:3]
	v_cndmask_b32_e64 v36, v38, v36, s[2:3]
	v_lshlrev_b32_e32 v30, 24, v30
	v_bfrev_b32_e32 v37, 60
	v_lshlrev_b32_e32 v36, 20, v36
	v_and_b32_e32 v30, 0x80000000, v30
	v_lshl_add_u32 v32, v32, 23, v37
	v_or3_b32 v36, v30, v32, v36
.LBB426_230:
	s_or_b64 exec, exec, s[22:23]
.LBB426_231:
	s_or_b64 exec, exec, s[20:21]
.LBB426_232:
	s_or_b64 exec, exec, s[10:11]
	v_mov_b32_e32 v30, v27
	v_cmp_ne_u16_sdwa s[2:3], v27, v31 src0_sel:BYTE_0 src1_sel:DWORD
	s_and_saveexec_b64 s[10:11], s[2:3]
	s_cbranch_execz .LBB426_238
; %bb.233:
	s_movk_i32 s2, 0x80
	v_cmp_ne_u16_sdwa s[2:3], v27, s2 src0_sel:BYTE_0 src1_sel:DWORD
	v_bfrev_b32_e32 v32, 1
	s_and_saveexec_b64 s[20:21], s[2:3]
	s_cbranch_execz .LBB426_237
; %bb.234:
	s_movk_i32 s2, 0x7f
	v_and_b32_e32 v37, 0x7f, v27
	v_cmp_ne_u32_e64 s[2:3], s2, v37
	v_mov_b32_e32 v32, 0x7f800001
	s_and_saveexec_b64 s[22:23], s[2:3]
	s_cbranch_execz .LBB426_236
; %bb.235:
	v_and_b32_e32 v32, 7, v27
	v_ffbh_u32_e32 v32, v32
	v_min_u32_e32 v32, 32, v32
	v_subrev_u32_e32 v39, 28, v32
	v_cmp_gt_u32_e64 s[2:3], 8, v37
	v_lshrrev_b32_e32 v38, 3, v37
	v_sub_u32_e32 v32, 29, v32
	v_cndmask_b32_e64 v37, 0, v39, s[2:3]
	v_cndmask_b32_e64 v32, v38, v32, s[2:3]
	v_lshlrev_b64 v[38:39], v37, v[30:31]
	v_lshlrev_b32_e32 v31, 20, v38
	v_lshlrev_b32_e32 v37, 24, v30
	v_bfrev_b32_e32 v38, 60
	v_and_b32_e32 v31, 0x700000, v31
	v_and_b32_e32 v37, 0x80000000, v37
	v_lshl_add_u32 v32, v32, 23, v38
	v_or3_b32 v32, v37, v32, v31
.LBB426_236:
	s_or_b64 exec, exec, s[22:23]
.LBB426_237:
	s_or_b64 exec, exec, s[20:21]
	v_mov_b32_e32 v31, v32
.LBB426_238:
	s_or_b64 exec, exec, s[10:11]
	v_lshrrev_b16_e32 v32, 8, v30
	v_cmp_ne_u16_e64 s[2:3], 0, v32
	v_mov_b32_e32 v37, 0
	v_mov_b32_e32 v38, 0
	s_and_saveexec_b64 s[10:11], s[2:3]
	s_cbranch_execz .LBB426_244
; %bb.239:
	s_movk_i32 s2, 0x80
	v_cmp_ne_u16_e64 s[2:3], s2, v32
	v_bfrev_b32_e32 v38, 1
	s_and_saveexec_b64 s[20:21], s[2:3]
	s_cbranch_execz .LBB426_243
; %bb.240:
	s_movk_i32 s2, 0x7f
	v_and_b32_e32 v39, 0x7f, v32
	v_cmp_ne_u32_e64 s[2:3], s2, v39
	v_mov_b32_e32 v38, 0x7f800001
	s_and_saveexec_b64 s[22:23], s[2:3]
	s_cbranch_execz .LBB426_242
; %bb.241:
	v_and_b32_e32 v38, 7, v32
	v_ffbh_u32_e32 v40, v38
	v_min_u32_e32 v47, 32, v40
	v_subrev_u32_e32 v40, 28, v47
	v_lshlrev_b64 v[40:41], v40, v[32:33]
	v_lshrrev_b32_e32 v46, 3, v39
	v_sub_u32_e32 v32, 29, v47
	v_and_b32_e32 v40, 7, v40
	v_cmp_gt_u32_e64 s[2:3], 8, v39
	v_cndmask_b32_e64 v32, v46, v32, s[2:3]
	v_cndmask_b32_e64 v38, v38, v40, s[2:3]
	v_lshlrev_b32_e32 v30, 16, v30
	v_bfrev_b32_e32 v39, 60
	v_lshlrev_b32_e32 v38, 20, v38
	v_and_b32_e32 v30, 0x80000000, v30
	v_lshl_add_u32 v32, v32, 23, v39
	v_or3_b32 v38, v30, v32, v38
.LBB426_242:
	s_or_b64 exec, exec, s[22:23]
.LBB426_243:
	s_or_b64 exec, exec, s[20:21]
.LBB426_244:
	s_or_b64 exec, exec, s[10:11]
	s_movk_i32 s2, 0xff
	v_and_b32_sdwa v32, v27, s2 dst_sel:DWORD dst_unused:UNUSED_PAD src0_sel:WORD_1 src1_sel:DWORD
	v_lshrrev_b32_e32 v30, 16, v27
	v_cmp_ne_u16_e64 s[2:3], 0, v32
	s_and_saveexec_b64 s[10:11], s[2:3]
	s_cbranch_execz .LBB426_250
; %bb.245:
	s_movk_i32 s2, 0x80
	v_cmp_ne_u16_e64 s[2:3], s2, v32
	v_bfrev_b32_e32 v37, 1
	s_and_saveexec_b64 s[20:21], s[2:3]
	s_cbranch_execz .LBB426_249
; %bb.246:
	v_bfe_u32 v32, v27, 16, 7
	s_movk_i32 s2, 0x7f
	v_cmp_ne_u32_e64 s[2:3], s2, v32
	v_mov_b32_e32 v37, 0x7f800001
	s_and_saveexec_b64 s[22:23], s[2:3]
	s_cbranch_execz .LBB426_248
; %bb.247:
	v_and_b32_e32 v37, 7, v30
	v_ffbh_u32_e32 v40, v37
	v_min_u32_e32 v46, 32, v40
	v_subrev_u32_e32 v40, 28, v46
	v_lshlrev_b64 v[40:41], v40, v[30:31]
	v_and_b32_e32 v40, 7, v40
	v_cmp_gt_u32_e64 s[2:3], 8, v32
	v_lshrrev_b32_e32 v39, 3, v32
	v_sub_u32_e32 v30, 29, v46
	v_cndmask_b32_e64 v32, v37, v40, s[2:3]
	v_mov_b32_e32 v37, 24
	v_cndmask_b32_e64 v30, v39, v30, s[2:3]
	v_lshlrev_b32_sdwa v37, v37, v27 dst_sel:DWORD dst_unused:UNUSED_PAD src0_sel:DWORD src1_sel:WORD_1
	v_bfrev_b32_e32 v39, 60
	v_lshlrev_b32_e32 v32, 20, v32
	v_and_b32_e32 v37, 0x80000000, v37
	v_lshl_add_u32 v30, v30, 23, v39
	v_or3_b32 v37, v37, v30, v32
.LBB426_248:
	s_or_b64 exec, exec, s[22:23]
.LBB426_249:
	s_or_b64 exec, exec, s[20:21]
.LBB426_250:
	s_or_b64 exec, exec, s[10:11]
	s_mov_b32 s2, -1
	s_mov_b32 s3, 0xffffff
	v_cmp_lt_u64_e64 s[2:3], s[2:3], v[26:27]
	v_mov_b32_e32 v32, 0
	v_mov_b32_e32 v30, 0
	s_and_saveexec_b64 s[10:11], s[2:3]
	s_cbranch_execz .LBB426_256
; %bb.251:
	v_lshrrev_b32_e32 v26, 24, v27
	s_movk_i32 s2, 0x80
	v_cmp_ne_u32_e64 s[2:3], s2, v26
	v_bfrev_b32_e32 v30, 1
	s_and_saveexec_b64 s[20:21], s[2:3]
	s_cbranch_execz .LBB426_255
; %bb.252:
	v_bfe_u32 v27, v27, 24, 7
	s_movk_i32 s2, 0x7f
	v_cmp_ne_u32_e64 s[2:3], s2, v27
	v_mov_b32_e32 v30, 0x7f800001
	s_and_saveexec_b64 s[22:23], s[2:3]
	s_cbranch_execz .LBB426_254
; %bb.253:
	v_and_b32_e32 v30, 7, v26
	v_ffbh_u32_e32 v40, v30
	v_min_u32_e32 v46, 32, v40
	v_subrev_u32_e32 v40, 28, v46
	v_lshlrev_b64 v[40:41], v40, v[26:27]
	v_lshrrev_b32_e32 v39, 3, v27
	v_sub_u32_e32 v41, 29, v46
	v_and_b32_e32 v40, 7, v40
	v_cmp_gt_u32_e64 s[2:3], 8, v27
	v_cndmask_b32_e64 v27, v39, v41, s[2:3]
	v_cndmask_b32_e64 v30, v30, v40, s[2:3]
	v_lshlrev_b32_e32 v26, 24, v26
	v_bfrev_b32_e32 v39, 60
	v_lshlrev_b32_e32 v30, 20, v30
	v_and_b32_e32 v26, 0x80000000, v26
	v_lshl_add_u32 v27, v27, 23, v39
	v_or3_b32 v30, v26, v27, v30
.LBB426_254:
	s_or_b64 exec, exec, s[22:23]
.LBB426_255:
	s_or_b64 exec, exec, s[20:21]
.LBB426_256:
	s_or_b64 exec, exec, s[10:11]
	v_cvt_pkrtz_f16_f32 v26, v34, v35
	v_cvt_pkrtz_f16_f32 v27, v33, v36
	;; [unrolled: 1-line block ×4, first 2 shown]
	v_mfma_f32_4x4x4f16 a[0:3], v[18:19], v[26:27], a[0:3] cbsz:4 abid:4
	v_cmp_ne_u16_sdwa s[2:3], v28, v32 src0_sel:BYTE_0 src1_sel:DWORD
	v_mfma_f32_4x4x4f16 a[0:3], v[20:21], v[34:35], a[0:3] cbsz:4 abid:4
	s_and_saveexec_b64 s[10:11], s[2:3]
	s_cbranch_execz .LBB426_262
; %bb.257:
	s_movk_i32 s2, 0x80
	v_cmp_ne_u16_sdwa s[2:3], v28, s2 src0_sel:BYTE_0 src1_sel:DWORD
	v_bfrev_b32_e32 v32, 1
	s_and_saveexec_b64 s[20:21], s[2:3]
	s_cbranch_execz .LBB426_261
; %bb.258:
	s_movk_i32 s2, 0x7f
	v_and_b32_e32 v26, 0x7f, v28
	v_cmp_ne_u32_e64 s[2:3], s2, v26
	v_mov_b32_e32 v32, 0x7f800001
	s_and_saveexec_b64 s[22:23], s[2:3]
	s_cbranch_execz .LBB426_260
; %bb.259:
	v_and_b32_e32 v27, 7, v28
	v_ffbh_u32_e32 v27, v27
	v_min_u32_e32 v27, 32, v27
	v_subrev_u32_e32 v31, 28, v27
	v_cmp_gt_u32_e64 s[2:3], 8, v26
	v_lshrrev_b32_e32 v30, 3, v26
	v_sub_u32_e32 v27, 29, v27
	v_cndmask_b32_e64 v26, 0, v31, s[2:3]
	v_cndmask_b32_e64 v30, v30, v27, s[2:3]
	v_lshlrev_b64 v[26:27], v26, v[28:29]
	v_lshlrev_b32_e32 v26, 20, v26
	v_lshlrev_b32_e32 v27, 24, v28
	v_bfrev_b32_e32 v31, 60
	v_and_b32_e32 v26, 0x700000, v26
	v_and_b32_e32 v27, 0x80000000, v27
	v_lshl_add_u32 v30, v30, 23, v31
	v_or3_b32 v32, v27, v30, v26
.LBB426_260:
	s_or_b64 exec, exec, s[22:23]
.LBB426_261:
	s_or_b64 exec, exec, s[20:21]
.LBB426_262:
	s_or_b64 exec, exec, s[10:11]
	v_lshrrev_b16_e32 v26, 8, v28
	v_cmp_ne_u16_e64 s[2:3], 0, v26
	v_mov_b32_e32 v31, 0
	v_mov_b32_e32 v33, 0
	s_and_saveexec_b64 s[10:11], s[2:3]
	s_cbranch_execz .LBB426_268
; %bb.263:
	s_movk_i32 s2, 0x80
	v_cmp_ne_u16_e64 s[2:3], s2, v26
	v_bfrev_b32_e32 v33, 1
	s_and_saveexec_b64 s[20:21], s[2:3]
	s_cbranch_execz .LBB426_267
; %bb.264:
	s_movk_i32 s2, 0x7f
	v_and_b32_e32 v27, 0x7f, v26
	v_cmp_ne_u32_e64 s[2:3], s2, v27
	v_mov_b32_e32 v33, 0x7f800001
	s_and_saveexec_b64 s[22:23], s[2:3]
	s_cbranch_execz .LBB426_266
; %bb.265:
	v_and_b32_e32 v30, 7, v26
	v_ffbh_u32_e32 v34, v30
	v_min_u32_e32 v36, 32, v34
	v_subrev_u32_e32 v34, 28, v36
	v_lshlrev_b64 v[34:35], v34, v[26:27]
	v_lshrrev_b32_e32 v33, 3, v27
	v_sub_u32_e32 v26, 29, v36
	v_and_b32_e32 v34, 7, v34
	v_cmp_gt_u32_e64 s[2:3], 8, v27
	v_cndmask_b32_e64 v26, v33, v26, s[2:3]
	v_cndmask_b32_e64 v27, v30, v34, s[2:3]
	v_lshlrev_b32_e32 v30, 16, v28
	v_bfrev_b32_e32 v33, 60
	v_lshlrev_b32_e32 v27, 20, v27
	v_and_b32_e32 v30, 0x80000000, v30
	v_lshl_add_u32 v26, v26, 23, v33
	v_or3_b32 v33, v30, v26, v27
.LBB426_266:
	s_or_b64 exec, exec, s[22:23]
.LBB426_267:
	s_or_b64 exec, exec, s[20:21]
.LBB426_268:
	s_or_b64 exec, exec, s[10:11]
	s_movk_i32 s2, 0xff
	v_and_b32_sdwa v27, v28, s2 dst_sel:DWORD dst_unused:UNUSED_PAD src0_sel:WORD_1 src1_sel:DWORD
	v_lshrrev_b32_e32 v26, 16, v28
	v_cmp_ne_u16_e64 s[2:3], 0, v27
	s_and_saveexec_b64 s[10:11], s[2:3]
	s_cbranch_execz .LBB426_274
; %bb.269:
	s_movk_i32 s2, 0x80
	v_cmp_ne_u16_e64 s[2:3], s2, v27
	v_bfrev_b32_e32 v31, 1
	s_and_saveexec_b64 s[20:21], s[2:3]
	s_cbranch_execz .LBB426_273
; %bb.270:
	v_bfe_u32 v27, v28, 16, 7
	s_movk_i32 s2, 0x7f
	v_cmp_ne_u32_e64 s[2:3], s2, v27
	v_mov_b32_e32 v31, 0x7f800001
	s_and_saveexec_b64 s[22:23], s[2:3]
	s_cbranch_execz .LBB426_272
; %bb.271:
	v_and_b32_e32 v34, 7, v26
	v_ffbh_u32_e32 v30, v34
	v_min_u32_e32 v36, 32, v30
	v_subrev_u32_e32 v30, 28, v36
	v_lshlrev_b64 v[30:31], v30, v[26:27]
	v_and_b32_e32 v30, 7, v30
	v_cmp_gt_u32_e64 s[2:3], 8, v27
	v_lshrrev_b32_e32 v35, 3, v27
	v_sub_u32_e32 v26, 29, v36
	v_cndmask_b32_e64 v27, v34, v30, s[2:3]
	v_mov_b32_e32 v30, 24
	v_cndmask_b32_e64 v26, v35, v26, s[2:3]
	v_lshlrev_b32_sdwa v30, v30, v28 dst_sel:DWORD dst_unused:UNUSED_PAD src0_sel:DWORD src1_sel:WORD_1
	v_bfrev_b32_e32 v31, 60
	v_lshlrev_b32_e32 v27, 20, v27
	v_and_b32_e32 v30, 0x80000000, v30
	v_lshl_add_u32 v26, v26, 23, v31
	v_or3_b32 v31, v30, v26, v27
.LBB426_272:
	s_or_b64 exec, exec, s[22:23]
.LBB426_273:
	s_or_b64 exec, exec, s[20:21]
.LBB426_274:
	s_or_b64 exec, exec, s[10:11]
	s_mov_b32 s2, 0xffffff
	v_cmp_lt_u32_e64 s[2:3], s2, v28
	v_mov_b32_e32 v27, 0
	v_mov_b32_e32 v34, 0
	s_and_saveexec_b64 s[10:11], s[2:3]
	s_cbranch_execz .LBB426_280
; %bb.275:
	v_lshrrev_b32_e32 v26, 24, v28
	s_movk_i32 s2, 0x80
	v_cmp_ne_u32_e64 s[2:3], s2, v26
	v_bfrev_b32_e32 v34, 1
	s_and_saveexec_b64 s[20:21], s[2:3]
	s_cbranch_execz .LBB426_279
; %bb.276:
	v_bfe_u32 v30, v28, 24, 7
	s_movk_i32 s2, 0x7f
	v_cmp_ne_u32_e64 s[2:3], s2, v30
	v_mov_b32_e32 v34, 0x7f800001
	s_and_saveexec_b64 s[22:23], s[2:3]
	s_cbranch_execz .LBB426_278
; %bb.277:
	v_and_b32_e32 v36, 7, v26
	v_ffbh_u32_e32 v34, v36
	v_min_u32_e32 v38, 32, v34
	v_subrev_u32_e32 v34, 28, v38
	v_lshlrev_b64 v[34:35], v34, v[26:27]
	v_lshrrev_b32_e32 v37, 3, v30
	v_sub_u32_e32 v35, 29, v38
	v_and_b32_e32 v34, 7, v34
	v_cmp_gt_u32_e64 s[2:3], 8, v30
	v_cndmask_b32_e64 v30, v37, v35, s[2:3]
	v_cndmask_b32_e64 v34, v36, v34, s[2:3]
	v_lshlrev_b32_e32 v26, 24, v26
	v_bfrev_b32_e32 v35, 60
	v_lshlrev_b32_e32 v34, 20, v34
	v_and_b32_e32 v26, 0x80000000, v26
	v_lshl_add_u32 v30, v30, 23, v35
	v_or3_b32 v34, v26, v30, v34
.LBB426_278:
	s_or_b64 exec, exec, s[22:23]
.LBB426_279:
	s_or_b64 exec, exec, s[20:21]
.LBB426_280:
	s_or_b64 exec, exec, s[10:11]
	v_mov_b32_e32 v26, v29
	v_cmp_ne_u16_sdwa s[2:3], v29, v27 src0_sel:BYTE_0 src1_sel:DWORD
	s_and_saveexec_b64 s[10:11], s[2:3]
	s_cbranch_execz .LBB426_286
; %bb.281:
	s_movk_i32 s2, 0x80
	v_cmp_ne_u16_sdwa s[2:3], v29, s2 src0_sel:BYTE_0 src1_sel:DWORD
	v_bfrev_b32_e32 v30, 1
	s_and_saveexec_b64 s[20:21], s[2:3]
	s_cbranch_execz .LBB426_285
; %bb.282:
	s_movk_i32 s2, 0x7f
	v_and_b32_e32 v35, 0x7f, v29
	v_cmp_ne_u32_e64 s[2:3], s2, v35
	v_mov_b32_e32 v30, 0x7f800001
	s_and_saveexec_b64 s[22:23], s[2:3]
	s_cbranch_execz .LBB426_284
; %bb.283:
	v_and_b32_e32 v30, 7, v29
	v_ffbh_u32_e32 v30, v30
	v_min_u32_e32 v30, 32, v30
	v_subrev_u32_e32 v37, 28, v30
	v_cmp_gt_u32_e64 s[2:3], 8, v35
	v_lshrrev_b32_e32 v36, 3, v35
	v_sub_u32_e32 v30, 29, v30
	v_cndmask_b32_e64 v35, 0, v37, s[2:3]
	v_cndmask_b32_e64 v30, v36, v30, s[2:3]
	v_lshlrev_b64 v[36:37], v35, v[26:27]
	v_lshlrev_b32_e32 v27, 20, v36
	v_lshlrev_b32_e32 v35, 24, v26
	v_bfrev_b32_e32 v36, 60
	v_and_b32_e32 v27, 0x700000, v27
	v_and_b32_e32 v35, 0x80000000, v35
	v_lshl_add_u32 v30, v30, 23, v36
	v_or3_b32 v30, v35, v30, v27
.LBB426_284:
	s_or_b64 exec, exec, s[22:23]
.LBB426_285:
	s_or_b64 exec, exec, s[20:21]
	v_mov_b32_e32 v27, v30
.LBB426_286:
	s_or_b64 exec, exec, s[10:11]
	v_lshrrev_b16_e32 v30, 8, v26
	v_cmp_ne_u16_e64 s[2:3], 0, v30
	v_mov_b32_e32 v35, 0
	v_mov_b32_e32 v36, 0
	s_and_saveexec_b64 s[10:11], s[2:3]
	s_cbranch_execz .LBB426_292
; %bb.287:
	s_movk_i32 s2, 0x80
	v_cmp_ne_u16_e64 s[2:3], s2, v30
	v_bfrev_b32_e32 v36, 1
	s_and_saveexec_b64 s[20:21], s[2:3]
	s_cbranch_execz .LBB426_291
; %bb.288:
	s_movk_i32 s2, 0x7f
	v_and_b32_e32 v37, 0x7f, v30
	v_cmp_ne_u32_e64 s[2:3], s2, v37
	v_mov_b32_e32 v36, 0x7f800001
	s_and_saveexec_b64 s[22:23], s[2:3]
	s_cbranch_execz .LBB426_290
; %bb.289:
	v_and_b32_e32 v36, 7, v30
	v_ffbh_u32_e32 v38, v36
	v_min_u32_e32 v41, 32, v38
	v_subrev_u32_e32 v38, 28, v41
	v_lshlrev_b64 v[38:39], v38, v[30:31]
	v_lshrrev_b32_e32 v40, 3, v37
	v_sub_u32_e32 v30, 29, v41
	v_and_b32_e32 v38, 7, v38
	v_cmp_gt_u32_e64 s[2:3], 8, v37
	v_cndmask_b32_e64 v30, v40, v30, s[2:3]
	v_cndmask_b32_e64 v36, v36, v38, s[2:3]
	v_lshlrev_b32_e32 v26, 16, v26
	v_bfrev_b32_e32 v37, 60
	v_lshlrev_b32_e32 v36, 20, v36
	v_and_b32_e32 v26, 0x80000000, v26
	v_lshl_add_u32 v30, v30, 23, v37
	v_or3_b32 v36, v26, v30, v36
.LBB426_290:
	s_or_b64 exec, exec, s[22:23]
.LBB426_291:
	s_or_b64 exec, exec, s[20:21]
.LBB426_292:
	s_or_b64 exec, exec, s[10:11]
	s_movk_i32 s2, 0xff
	v_and_b32_sdwa v30, v29, s2 dst_sel:DWORD dst_unused:UNUSED_PAD src0_sel:WORD_1 src1_sel:DWORD
	v_lshrrev_b32_e32 v26, 16, v29
	v_cmp_ne_u16_e64 s[2:3], 0, v30
	s_and_saveexec_b64 s[10:11], s[2:3]
	s_cbranch_execz .LBB426_298
; %bb.293:
	s_movk_i32 s2, 0x80
	v_cmp_ne_u16_e64 s[2:3], s2, v30
	v_bfrev_b32_e32 v35, 1
	s_and_saveexec_b64 s[20:21], s[2:3]
	s_cbranch_execz .LBB426_297
; %bb.294:
	v_bfe_u32 v30, v29, 16, 7
	s_movk_i32 s2, 0x7f
	v_cmp_ne_u32_e64 s[2:3], s2, v30
	v_mov_b32_e32 v35, 0x7f800001
	s_and_saveexec_b64 s[22:23], s[2:3]
	s_cbranch_execz .LBB426_296
; %bb.295:
	v_and_b32_e32 v35, 7, v26
	v_ffbh_u32_e32 v38, v35
	v_min_u32_e32 v40, 32, v38
	v_subrev_u32_e32 v38, 28, v40
	v_lshlrev_b64 v[38:39], v38, v[26:27]
	v_and_b32_e32 v38, 7, v38
	v_cmp_gt_u32_e64 s[2:3], 8, v30
	v_lshrrev_b32_e32 v37, 3, v30
	v_sub_u32_e32 v26, 29, v40
	v_cndmask_b32_e64 v30, v35, v38, s[2:3]
	v_mov_b32_e32 v35, 24
	v_cndmask_b32_e64 v26, v37, v26, s[2:3]
	v_lshlrev_b32_sdwa v35, v35, v29 dst_sel:DWORD dst_unused:UNUSED_PAD src0_sel:DWORD src1_sel:WORD_1
	v_bfrev_b32_e32 v37, 60
	v_lshlrev_b32_e32 v30, 20, v30
	v_and_b32_e32 v35, 0x80000000, v35
	v_lshl_add_u32 v26, v26, 23, v37
	v_or3_b32 v35, v35, v26, v30
.LBB426_296:
	s_or_b64 exec, exec, s[22:23]
.LBB426_297:
	s_or_b64 exec, exec, s[20:21]
.LBB426_298:
	s_or_b64 exec, exec, s[10:11]
	s_mov_b32 s2, -1
	s_mov_b32 s3, 0xffffff
	v_cmp_lt_u64_e64 s[2:3], s[2:3], v[28:29]
	v_mov_b32_e32 v30, 0
	v_mov_b32_e32 v28, 0
	s_and_saveexec_b64 s[10:11], s[2:3]
	s_cbranch_execz .LBB426_304
; %bb.299:
	v_lshrrev_b32_e32 v26, 24, v29
	s_movk_i32 s2, 0x80
	v_cmp_ne_u32_e64 s[2:3], s2, v26
	v_bfrev_b32_e32 v28, 1
	s_and_saveexec_b64 s[20:21], s[2:3]
	s_cbranch_execz .LBB426_303
; %bb.300:
	v_bfe_u32 v29, v29, 24, 7
	s_movk_i32 s2, 0x7f
	v_cmp_ne_u32_e64 s[2:3], s2, v29
	v_mov_b32_e32 v28, 0x7f800001
	s_and_saveexec_b64 s[22:23], s[2:3]
	s_cbranch_execz .LBB426_302
; %bb.301:
	v_and_b32_e32 v28, 7, v26
	v_ffbh_u32_e32 v38, v28
	v_min_u32_e32 v40, 32, v38
	v_subrev_u32_e32 v38, 28, v40
	v_lshlrev_b64 v[38:39], v38, v[26:27]
	v_lshrrev_b32_e32 v37, 3, v29
	v_sub_u32_e32 v39, 29, v40
	v_and_b32_e32 v38, 7, v38
	v_cmp_gt_u32_e64 s[2:3], 8, v29
	v_cndmask_b32_e64 v29, v37, v39, s[2:3]
	v_cndmask_b32_e64 v28, v28, v38, s[2:3]
	v_lshlrev_b32_e32 v26, 24, v26
	v_bfrev_b32_e32 v37, 60
	v_lshlrev_b32_e32 v28, 20, v28
	v_and_b32_e32 v26, 0x80000000, v26
	v_lshl_add_u32 v29, v29, 23, v37
	v_or3_b32 v28, v26, v29, v28
.LBB426_302:
	s_or_b64 exec, exec, s[22:23]
.LBB426_303:
	s_or_b64 exec, exec, s[20:21]
.LBB426_304:
	s_or_b64 exec, exec, s[10:11]
	v_cvt_pkrtz_f16_f32 v32, v32, v33
	v_cvt_pkrtz_f16_f32 v33, v31, v34
	;; [unrolled: 1-line block ×4, first 2 shown]
	v_mfma_f32_4x4x4f16 a[0:3], v[18:19], v[32:33], a[0:3] cbsz:4 abid:5
	s_waitcnt vmcnt(4)
	v_cmp_ne_u16_sdwa s[2:3], v22, v30 src0_sel:BYTE_0 src1_sel:DWORD
	v_mfma_f32_4x4x4f16 a[0:3], v[20:21], v[26:27], a[0:3] cbsz:4 abid:5
	s_and_saveexec_b64 s[10:11], s[2:3]
	s_cbranch_execz .LBB426_310
; %bb.305:
	s_movk_i32 s2, 0x80
	v_cmp_ne_u16_sdwa s[2:3], v22, s2 src0_sel:BYTE_0 src1_sel:DWORD
	v_bfrev_b32_e32 v30, 1
	s_and_saveexec_b64 s[20:21], s[2:3]
	s_cbranch_execz .LBB426_309
; %bb.306:
	s_movk_i32 s2, 0x7f
	v_and_b32_e32 v26, 0x7f, v22
	v_cmp_ne_u32_e64 s[2:3], s2, v26
	v_mov_b32_e32 v30, 0x7f800001
	s_and_saveexec_b64 s[22:23], s[2:3]
	s_cbranch_execz .LBB426_308
; %bb.307:
	v_and_b32_e32 v27, 7, v22
	v_ffbh_u32_e32 v27, v27
	v_min_u32_e32 v27, 32, v27
	v_subrev_u32_e32 v29, 28, v27
	v_cmp_gt_u32_e64 s[2:3], 8, v26
	v_lshrrev_b32_e32 v28, 3, v26
	v_sub_u32_e32 v27, 29, v27
	v_cndmask_b32_e64 v26, 0, v29, s[2:3]
	v_cndmask_b32_e64 v28, v28, v27, s[2:3]
	v_lshlrev_b64 v[26:27], v26, v[22:23]
	v_lshlrev_b32_e32 v26, 20, v26
	v_lshlrev_b32_e32 v27, 24, v22
	v_bfrev_b32_e32 v29, 60
	v_and_b32_e32 v26, 0x700000, v26
	v_and_b32_e32 v27, 0x80000000, v27
	v_lshl_add_u32 v28, v28, 23, v29
	v_or3_b32 v30, v27, v28, v26
.LBB426_308:
	s_or_b64 exec, exec, s[22:23]
.LBB426_309:
	s_or_b64 exec, exec, s[20:21]
.LBB426_310:
	s_or_b64 exec, exec, s[10:11]
	v_lshrrev_b16_e32 v26, 8, v22
	v_cmp_ne_u16_e64 s[2:3], 0, v26
	v_mov_b32_e32 v29, 0
	v_mov_b32_e32 v31, 0
	s_and_saveexec_b64 s[10:11], s[2:3]
	s_cbranch_execz .LBB426_316
; %bb.311:
	s_movk_i32 s2, 0x80
	v_cmp_ne_u16_e64 s[2:3], s2, v26
	v_bfrev_b32_e32 v31, 1
	s_and_saveexec_b64 s[20:21], s[2:3]
	s_cbranch_execz .LBB426_315
; %bb.312:
	s_movk_i32 s2, 0x7f
	v_and_b32_e32 v27, 0x7f, v26
	v_cmp_ne_u32_e64 s[2:3], s2, v27
	v_mov_b32_e32 v31, 0x7f800001
	s_and_saveexec_b64 s[22:23], s[2:3]
	s_cbranch_execz .LBB426_314
; %bb.313:
	v_and_b32_e32 v28, 7, v26
	v_ffbh_u32_e32 v32, v28
	v_min_u32_e32 v34, 32, v32
	v_subrev_u32_e32 v32, 28, v34
	v_lshlrev_b64 v[32:33], v32, v[26:27]
	v_lshrrev_b32_e32 v31, 3, v27
	v_sub_u32_e32 v26, 29, v34
	v_and_b32_e32 v32, 7, v32
	v_cmp_gt_u32_e64 s[2:3], 8, v27
	v_cndmask_b32_e64 v26, v31, v26, s[2:3]
	v_cndmask_b32_e64 v27, v28, v32, s[2:3]
	v_lshlrev_b32_e32 v28, 16, v22
	v_bfrev_b32_e32 v31, 60
	v_lshlrev_b32_e32 v27, 20, v27
	v_and_b32_e32 v28, 0x80000000, v28
	v_lshl_add_u32 v26, v26, 23, v31
	v_or3_b32 v31, v28, v26, v27
.LBB426_314:
	s_or_b64 exec, exec, s[22:23]
.LBB426_315:
	s_or_b64 exec, exec, s[20:21]
.LBB426_316:
	s_or_b64 exec, exec, s[10:11]
	s_movk_i32 s2, 0xff
	v_and_b32_sdwa v27, v22, s2 dst_sel:DWORD dst_unused:UNUSED_PAD src0_sel:WORD_1 src1_sel:DWORD
	v_lshrrev_b32_e32 v26, 16, v22
	v_cmp_ne_u16_e64 s[2:3], 0, v27
	s_and_saveexec_b64 s[10:11], s[2:3]
	s_cbranch_execz .LBB426_322
; %bb.317:
	s_movk_i32 s2, 0x80
	v_cmp_ne_u16_e64 s[2:3], s2, v27
	v_bfrev_b32_e32 v29, 1
	s_and_saveexec_b64 s[20:21], s[2:3]
	s_cbranch_execz .LBB426_321
; %bb.318:
	v_bfe_u32 v27, v22, 16, 7
	s_movk_i32 s2, 0x7f
	v_cmp_ne_u32_e64 s[2:3], s2, v27
	v_mov_b32_e32 v29, 0x7f800001
	s_and_saveexec_b64 s[22:23], s[2:3]
	s_cbranch_execz .LBB426_320
; %bb.319:
	v_and_b32_e32 v32, 7, v26
	v_ffbh_u32_e32 v28, v32
	v_min_u32_e32 v34, 32, v28
	v_subrev_u32_e32 v28, 28, v34
	v_lshlrev_b64 v[28:29], v28, v[26:27]
	v_and_b32_e32 v28, 7, v28
	v_cmp_gt_u32_e64 s[2:3], 8, v27
	v_lshrrev_b32_e32 v33, 3, v27
	v_sub_u32_e32 v26, 29, v34
	v_cndmask_b32_e64 v27, v32, v28, s[2:3]
	v_mov_b32_e32 v28, 24
	v_cndmask_b32_e64 v26, v33, v26, s[2:3]
	v_lshlrev_b32_sdwa v28, v28, v22 dst_sel:DWORD dst_unused:UNUSED_PAD src0_sel:DWORD src1_sel:WORD_1
	v_bfrev_b32_e32 v29, 60
	v_lshlrev_b32_e32 v27, 20, v27
	v_and_b32_e32 v28, 0x80000000, v28
	v_lshl_add_u32 v26, v26, 23, v29
	v_or3_b32 v29, v28, v26, v27
.LBB426_320:
	s_or_b64 exec, exec, s[22:23]
.LBB426_321:
	s_or_b64 exec, exec, s[20:21]
.LBB426_322:
	s_or_b64 exec, exec, s[10:11]
	s_mov_b32 s2, 0xffffff
	v_cmp_lt_u32_e64 s[2:3], s2, v22
	v_mov_b32_e32 v27, 0
	v_mov_b32_e32 v32, 0
	s_and_saveexec_b64 s[10:11], s[2:3]
	s_cbranch_execz .LBB426_328
; %bb.323:
	v_lshrrev_b32_e32 v26, 24, v22
	s_movk_i32 s2, 0x80
	v_cmp_ne_u32_e64 s[2:3], s2, v26
	v_bfrev_b32_e32 v32, 1
	s_and_saveexec_b64 s[20:21], s[2:3]
	s_cbranch_execz .LBB426_327
; %bb.324:
	v_bfe_u32 v28, v22, 24, 7
	s_movk_i32 s2, 0x7f
	v_cmp_ne_u32_e64 s[2:3], s2, v28
	v_mov_b32_e32 v32, 0x7f800001
	s_and_saveexec_b64 s[22:23], s[2:3]
	s_cbranch_execz .LBB426_326
; %bb.325:
	v_and_b32_e32 v34, 7, v26
	v_ffbh_u32_e32 v32, v34
	v_min_u32_e32 v36, 32, v32
	v_subrev_u32_e32 v32, 28, v36
	v_lshlrev_b64 v[32:33], v32, v[26:27]
	v_lshrrev_b32_e32 v35, 3, v28
	v_sub_u32_e32 v33, 29, v36
	v_and_b32_e32 v32, 7, v32
	v_cmp_gt_u32_e64 s[2:3], 8, v28
	v_cndmask_b32_e64 v28, v35, v33, s[2:3]
	v_cndmask_b32_e64 v32, v34, v32, s[2:3]
	v_lshlrev_b32_e32 v26, 24, v26
	v_bfrev_b32_e32 v33, 60
	v_lshlrev_b32_e32 v32, 20, v32
	v_and_b32_e32 v26, 0x80000000, v26
	v_lshl_add_u32 v28, v28, 23, v33
	v_or3_b32 v32, v26, v28, v32
.LBB426_326:
	s_or_b64 exec, exec, s[22:23]
.LBB426_327:
	s_or_b64 exec, exec, s[20:21]
.LBB426_328:
	s_or_b64 exec, exec, s[10:11]
	v_mov_b32_e32 v26, v23
	v_cmp_ne_u16_sdwa s[2:3], v23, v27 src0_sel:BYTE_0 src1_sel:DWORD
	s_and_saveexec_b64 s[10:11], s[2:3]
	s_cbranch_execz .LBB426_334
; %bb.329:
	s_movk_i32 s2, 0x80
	v_cmp_ne_u16_sdwa s[2:3], v23, s2 src0_sel:BYTE_0 src1_sel:DWORD
	v_bfrev_b32_e32 v28, 1
	s_and_saveexec_b64 s[20:21], s[2:3]
	s_cbranch_execz .LBB426_333
; %bb.330:
	s_movk_i32 s2, 0x7f
	v_and_b32_e32 v33, 0x7f, v23
	v_cmp_ne_u32_e64 s[2:3], s2, v33
	v_mov_b32_e32 v28, 0x7f800001
	s_and_saveexec_b64 s[22:23], s[2:3]
	s_cbranch_execz .LBB426_332
; %bb.331:
	v_and_b32_e32 v28, 7, v23
	v_ffbh_u32_e32 v28, v28
	v_min_u32_e32 v28, 32, v28
	v_subrev_u32_e32 v35, 28, v28
	v_cmp_gt_u32_e64 s[2:3], 8, v33
	v_lshrrev_b32_e32 v34, 3, v33
	v_sub_u32_e32 v28, 29, v28
	v_cndmask_b32_e64 v33, 0, v35, s[2:3]
	v_cndmask_b32_e64 v28, v34, v28, s[2:3]
	v_lshlrev_b64 v[34:35], v33, v[26:27]
	v_lshlrev_b32_e32 v27, 20, v34
	v_lshlrev_b32_e32 v33, 24, v26
	v_bfrev_b32_e32 v34, 60
	v_and_b32_e32 v27, 0x700000, v27
	v_and_b32_e32 v33, 0x80000000, v33
	v_lshl_add_u32 v28, v28, 23, v34
	v_or3_b32 v28, v33, v28, v27
.LBB426_332:
	s_or_b64 exec, exec, s[22:23]
.LBB426_333:
	s_or_b64 exec, exec, s[20:21]
	v_mov_b32_e32 v27, v28
.LBB426_334:
	s_or_b64 exec, exec, s[10:11]
	v_lshrrev_b16_e32 v28, 8, v26
	v_cmp_ne_u16_e64 s[2:3], 0, v28
	v_mov_b32_e32 v33, 0
	v_mov_b32_e32 v34, 0
	s_and_saveexec_b64 s[10:11], s[2:3]
	s_cbranch_execz .LBB426_340
; %bb.335:
	s_movk_i32 s2, 0x80
	v_cmp_ne_u16_e64 s[2:3], s2, v28
	v_bfrev_b32_e32 v34, 1
	s_and_saveexec_b64 s[20:21], s[2:3]
	s_cbranch_execz .LBB426_339
; %bb.336:
	s_movk_i32 s2, 0x7f
	v_and_b32_e32 v35, 0x7f, v28
	v_cmp_ne_u32_e64 s[2:3], s2, v35
	v_mov_b32_e32 v34, 0x7f800001
	s_and_saveexec_b64 s[22:23], s[2:3]
	s_cbranch_execz .LBB426_338
; %bb.337:
	v_and_b32_e32 v34, 7, v28
	v_ffbh_u32_e32 v36, v34
	v_min_u32_e32 v39, 32, v36
	v_subrev_u32_e32 v36, 28, v39
	v_lshlrev_b64 v[36:37], v36, v[28:29]
	v_lshrrev_b32_e32 v38, 3, v35
	v_sub_u32_e32 v28, 29, v39
	v_and_b32_e32 v36, 7, v36
	v_cmp_gt_u32_e64 s[2:3], 8, v35
	v_cndmask_b32_e64 v28, v38, v28, s[2:3]
	v_cndmask_b32_e64 v34, v34, v36, s[2:3]
	v_lshlrev_b32_e32 v26, 16, v26
	v_bfrev_b32_e32 v35, 60
	v_lshlrev_b32_e32 v34, 20, v34
	v_and_b32_e32 v26, 0x80000000, v26
	v_lshl_add_u32 v28, v28, 23, v35
	v_or3_b32 v34, v26, v28, v34
.LBB426_338:
	s_or_b64 exec, exec, s[22:23]
.LBB426_339:
	s_or_b64 exec, exec, s[20:21]
.LBB426_340:
	s_or_b64 exec, exec, s[10:11]
	s_movk_i32 s2, 0xff
	v_and_b32_sdwa v28, v23, s2 dst_sel:DWORD dst_unused:UNUSED_PAD src0_sel:WORD_1 src1_sel:DWORD
	v_lshrrev_b32_e32 v26, 16, v23
	v_cmp_ne_u16_e64 s[2:3], 0, v28
	s_and_saveexec_b64 s[10:11], s[2:3]
	s_cbranch_execz .LBB426_346
; %bb.341:
	s_movk_i32 s2, 0x80
	v_cmp_ne_u16_e64 s[2:3], s2, v28
	v_bfrev_b32_e32 v33, 1
	s_and_saveexec_b64 s[20:21], s[2:3]
	s_cbranch_execz .LBB426_345
; %bb.342:
	v_bfe_u32 v28, v23, 16, 7
	s_movk_i32 s2, 0x7f
	v_cmp_ne_u32_e64 s[2:3], s2, v28
	v_mov_b32_e32 v33, 0x7f800001
	s_and_saveexec_b64 s[22:23], s[2:3]
	s_cbranch_execz .LBB426_344
; %bb.343:
	v_and_b32_e32 v33, 7, v26
	v_ffbh_u32_e32 v36, v33
	v_min_u32_e32 v38, 32, v36
	v_subrev_u32_e32 v36, 28, v38
	v_lshlrev_b64 v[36:37], v36, v[26:27]
	v_and_b32_e32 v36, 7, v36
	v_cmp_gt_u32_e64 s[2:3], 8, v28
	v_lshrrev_b32_e32 v35, 3, v28
	v_sub_u32_e32 v26, 29, v38
	v_cndmask_b32_e64 v28, v33, v36, s[2:3]
	v_mov_b32_e32 v33, 24
	v_cndmask_b32_e64 v26, v35, v26, s[2:3]
	v_lshlrev_b32_sdwa v33, v33, v23 dst_sel:DWORD dst_unused:UNUSED_PAD src0_sel:DWORD src1_sel:WORD_1
	v_bfrev_b32_e32 v35, 60
	v_lshlrev_b32_e32 v28, 20, v28
	v_and_b32_e32 v33, 0x80000000, v33
	v_lshl_add_u32 v26, v26, 23, v35
	v_or3_b32 v33, v33, v26, v28
.LBB426_344:
	s_or_b64 exec, exec, s[22:23]
.LBB426_345:
	s_or_b64 exec, exec, s[20:21]
.LBB426_346:
	s_or_b64 exec, exec, s[10:11]
	s_mov_b32 s2, -1
	s_mov_b32 s3, 0xffffff
	v_cmp_lt_u64_e64 s[2:3], s[2:3], v[22:23]
	v_mov_b32_e32 v28, 0
	v_mov_b32_e32 v26, 0
	s_and_saveexec_b64 s[10:11], s[2:3]
	s_cbranch_execz .LBB426_352
; %bb.347:
	v_lshrrev_b32_e32 v22, 24, v23
	s_movk_i32 s2, 0x80
	v_cmp_ne_u32_e64 s[2:3], s2, v22
	v_bfrev_b32_e32 v26, 1
	s_and_saveexec_b64 s[20:21], s[2:3]
	s_cbranch_execz .LBB426_351
; %bb.348:
	v_bfe_u32 v23, v23, 24, 7
	s_movk_i32 s2, 0x7f
	v_cmp_ne_u32_e64 s[2:3], s2, v23
	v_mov_b32_e32 v26, 0x7f800001
	s_and_saveexec_b64 s[22:23], s[2:3]
	s_cbranch_execz .LBB426_350
; %bb.349:
	v_and_b32_e32 v26, 7, v22
	v_ffbh_u32_e32 v36, v26
	v_min_u32_e32 v38, 32, v36
	v_subrev_u32_e32 v36, 28, v38
	v_lshlrev_b64 v[36:37], v36, v[22:23]
	v_lshrrev_b32_e32 v35, 3, v23
	v_sub_u32_e32 v37, 29, v38
	v_and_b32_e32 v36, 7, v36
	v_cmp_gt_u32_e64 s[2:3], 8, v23
	v_cndmask_b32_e64 v23, v35, v37, s[2:3]
	v_cndmask_b32_e64 v26, v26, v36, s[2:3]
	v_lshlrev_b32_e32 v22, 24, v22
	v_bfrev_b32_e32 v35, 60
	v_lshlrev_b32_e32 v26, 20, v26
	v_and_b32_e32 v22, 0x80000000, v22
	v_lshl_add_u32 v23, v23, 23, v35
	v_or3_b32 v26, v22, v23, v26
.LBB426_350:
	s_or_b64 exec, exec, s[22:23]
.LBB426_351:
	s_or_b64 exec, exec, s[20:21]
.LBB426_352:
	s_or_b64 exec, exec, s[10:11]
	v_cvt_pkrtz_f16_f32 v22, v30, v31
	v_cvt_pkrtz_f16_f32 v23, v29, v32
	v_cvt_pkrtz_f16_f32 v30, v27, v34
	v_cvt_pkrtz_f16_f32 v31, v33, v26
	v_mfma_f32_4x4x4f16 a[0:3], v[18:19], v[22:23], a[0:3] cbsz:4 abid:6
	v_cmp_ne_u16_sdwa s[2:3], v24, v28 src0_sel:BYTE_0 src1_sel:DWORD
	v_mfma_f32_4x4x4f16 a[0:3], v[20:21], v[30:31], a[0:3] cbsz:4 abid:6
	s_and_saveexec_b64 s[10:11], s[2:3]
	s_cbranch_execz .LBB426_358
; %bb.353:
	s_movk_i32 s2, 0x80
	v_cmp_ne_u16_sdwa s[2:3], v24, s2 src0_sel:BYTE_0 src1_sel:DWORD
	v_bfrev_b32_e32 v28, 1
	s_and_saveexec_b64 s[20:21], s[2:3]
	s_cbranch_execz .LBB426_357
; %bb.354:
	s_movk_i32 s2, 0x7f
	v_and_b32_e32 v22, 0x7f, v24
	v_cmp_ne_u32_e64 s[2:3], s2, v22
	v_mov_b32_e32 v28, 0x7f800001
	s_and_saveexec_b64 s[22:23], s[2:3]
	s_cbranch_execz .LBB426_356
; %bb.355:
	v_and_b32_e32 v23, 7, v24
	v_ffbh_u32_e32 v23, v23
	v_min_u32_e32 v23, 32, v23
	v_subrev_u32_e32 v27, 28, v23
	v_cmp_gt_u32_e64 s[2:3], 8, v22
	v_lshrrev_b32_e32 v26, 3, v22
	v_sub_u32_e32 v23, 29, v23
	v_cndmask_b32_e64 v22, 0, v27, s[2:3]
	v_cndmask_b32_e64 v26, v26, v23, s[2:3]
	v_lshlrev_b64 v[22:23], v22, v[24:25]
	v_lshlrev_b32_e32 v22, 20, v22
	v_lshlrev_b32_e32 v23, 24, v24
	v_bfrev_b32_e32 v27, 60
	v_and_b32_e32 v22, 0x700000, v22
	v_and_b32_e32 v23, 0x80000000, v23
	v_lshl_add_u32 v26, v26, 23, v27
	v_or3_b32 v28, v23, v26, v22
.LBB426_356:
	s_or_b64 exec, exec, s[22:23]
.LBB426_357:
	s_or_b64 exec, exec, s[20:21]
.LBB426_358:
	s_or_b64 exec, exec, s[10:11]
	v_lshrrev_b16_e32 v22, 8, v24
	v_cmp_ne_u16_e64 s[2:3], 0, v22
	v_mov_b32_e32 v27, 0
	v_mov_b32_e32 v29, 0
	s_and_saveexec_b64 s[10:11], s[2:3]
	s_cbranch_execz .LBB426_364
; %bb.359:
	s_movk_i32 s2, 0x80
	v_cmp_ne_u16_e64 s[2:3], s2, v22
	v_bfrev_b32_e32 v29, 1
	s_and_saveexec_b64 s[20:21], s[2:3]
	s_cbranch_execz .LBB426_363
; %bb.360:
	s_movk_i32 s2, 0x7f
	v_and_b32_e32 v23, 0x7f, v22
	v_cmp_ne_u32_e64 s[2:3], s2, v23
	v_mov_b32_e32 v29, 0x7f800001
	s_and_saveexec_b64 s[22:23], s[2:3]
	s_cbranch_execz .LBB426_362
; %bb.361:
	v_and_b32_e32 v26, 7, v22
	v_ffbh_u32_e32 v30, v26
	v_min_u32_e32 v32, 32, v30
	v_subrev_u32_e32 v30, 28, v32
	v_lshlrev_b64 v[30:31], v30, v[22:23]
	v_lshrrev_b32_e32 v29, 3, v23
	v_sub_u32_e32 v22, 29, v32
	v_and_b32_e32 v30, 7, v30
	v_cmp_gt_u32_e64 s[2:3], 8, v23
	v_cndmask_b32_e64 v22, v29, v22, s[2:3]
	v_cndmask_b32_e64 v23, v26, v30, s[2:3]
	v_lshlrev_b32_e32 v26, 16, v24
	v_bfrev_b32_e32 v29, 60
	v_lshlrev_b32_e32 v23, 20, v23
	v_and_b32_e32 v26, 0x80000000, v26
	v_lshl_add_u32 v22, v22, 23, v29
	v_or3_b32 v29, v26, v22, v23
.LBB426_362:
	s_or_b64 exec, exec, s[22:23]
.LBB426_363:
	s_or_b64 exec, exec, s[20:21]
.LBB426_364:
	s_or_b64 exec, exec, s[10:11]
	s_movk_i32 s2, 0xff
	v_and_b32_sdwa v23, v24, s2 dst_sel:DWORD dst_unused:UNUSED_PAD src0_sel:WORD_1 src1_sel:DWORD
	v_lshrrev_b32_e32 v22, 16, v24
	v_cmp_ne_u16_e64 s[2:3], 0, v23
	s_and_saveexec_b64 s[10:11], s[2:3]
	s_cbranch_execz .LBB426_370
; %bb.365:
	s_movk_i32 s2, 0x80
	v_cmp_ne_u16_e64 s[2:3], s2, v23
	v_bfrev_b32_e32 v27, 1
	s_and_saveexec_b64 s[20:21], s[2:3]
	s_cbranch_execz .LBB426_369
; %bb.366:
	v_bfe_u32 v23, v24, 16, 7
	s_movk_i32 s2, 0x7f
	v_cmp_ne_u32_e64 s[2:3], s2, v23
	v_mov_b32_e32 v27, 0x7f800001
	s_and_saveexec_b64 s[22:23], s[2:3]
	s_cbranch_execz .LBB426_368
; %bb.367:
	v_and_b32_e32 v30, 7, v22
	v_ffbh_u32_e32 v26, v30
	v_min_u32_e32 v32, 32, v26
	v_subrev_u32_e32 v26, 28, v32
	v_lshlrev_b64 v[26:27], v26, v[22:23]
	v_and_b32_e32 v26, 7, v26
	v_cmp_gt_u32_e64 s[2:3], 8, v23
	v_lshrrev_b32_e32 v31, 3, v23
	v_sub_u32_e32 v22, 29, v32
	v_cndmask_b32_e64 v23, v30, v26, s[2:3]
	v_mov_b32_e32 v26, 24
	v_cndmask_b32_e64 v22, v31, v22, s[2:3]
	v_lshlrev_b32_sdwa v26, v26, v24 dst_sel:DWORD dst_unused:UNUSED_PAD src0_sel:DWORD src1_sel:WORD_1
	v_bfrev_b32_e32 v27, 60
	v_lshlrev_b32_e32 v23, 20, v23
	v_and_b32_e32 v26, 0x80000000, v26
	v_lshl_add_u32 v22, v22, 23, v27
	v_or3_b32 v27, v26, v22, v23
.LBB426_368:
	s_or_b64 exec, exec, s[22:23]
.LBB426_369:
	s_or_b64 exec, exec, s[20:21]
.LBB426_370:
	s_or_b64 exec, exec, s[10:11]
	s_mov_b32 s2, 0xffffff
	v_cmp_lt_u32_e64 s[2:3], s2, v24
	v_mov_b32_e32 v23, 0
	v_mov_b32_e32 v30, 0
	s_and_saveexec_b64 s[10:11], s[2:3]
	s_cbranch_execz .LBB426_376
; %bb.371:
	v_lshrrev_b32_e32 v22, 24, v24
	s_movk_i32 s2, 0x80
	v_cmp_ne_u32_e64 s[2:3], s2, v22
	v_bfrev_b32_e32 v30, 1
	s_and_saveexec_b64 s[20:21], s[2:3]
	s_cbranch_execz .LBB426_375
; %bb.372:
	v_bfe_u32 v26, v24, 24, 7
	s_movk_i32 s2, 0x7f
	v_cmp_ne_u32_e64 s[2:3], s2, v26
	v_mov_b32_e32 v30, 0x7f800001
	s_and_saveexec_b64 s[22:23], s[2:3]
	s_cbranch_execz .LBB426_374
; %bb.373:
	v_and_b32_e32 v32, 7, v22
	v_ffbh_u32_e32 v30, v32
	v_min_u32_e32 v34, 32, v30
	v_subrev_u32_e32 v30, 28, v34
	v_lshlrev_b64 v[30:31], v30, v[22:23]
	v_lshrrev_b32_e32 v33, 3, v26
	v_sub_u32_e32 v31, 29, v34
	v_and_b32_e32 v30, 7, v30
	v_cmp_gt_u32_e64 s[2:3], 8, v26
	v_cndmask_b32_e64 v26, v33, v31, s[2:3]
	v_cndmask_b32_e64 v30, v32, v30, s[2:3]
	v_lshlrev_b32_e32 v22, 24, v22
	v_bfrev_b32_e32 v31, 60
	v_lshlrev_b32_e32 v30, 20, v30
	v_and_b32_e32 v22, 0x80000000, v22
	v_lshl_add_u32 v26, v26, 23, v31
	v_or3_b32 v30, v22, v26, v30
.LBB426_374:
	s_or_b64 exec, exec, s[22:23]
.LBB426_375:
	s_or_b64 exec, exec, s[20:21]
.LBB426_376:
	s_or_b64 exec, exec, s[10:11]
	v_mov_b32_e32 v22, v25
	v_cmp_ne_u16_sdwa s[2:3], v25, v23 src0_sel:BYTE_0 src1_sel:DWORD
	s_and_saveexec_b64 s[10:11], s[2:3]
	s_cbranch_execz .LBB426_382
; %bb.377:
	s_movk_i32 s2, 0x80
	v_cmp_ne_u16_sdwa s[2:3], v25, s2 src0_sel:BYTE_0 src1_sel:DWORD
	v_bfrev_b32_e32 v26, 1
	s_and_saveexec_b64 s[20:21], s[2:3]
	s_cbranch_execz .LBB426_381
; %bb.378:
	s_movk_i32 s2, 0x7f
	v_and_b32_e32 v31, 0x7f, v25
	v_cmp_ne_u32_e64 s[2:3], s2, v31
	v_mov_b32_e32 v26, 0x7f800001
	s_and_saveexec_b64 s[22:23], s[2:3]
	s_cbranch_execz .LBB426_380
; %bb.379:
	v_and_b32_e32 v26, 7, v25
	v_ffbh_u32_e32 v26, v26
	v_min_u32_e32 v26, 32, v26
	v_subrev_u32_e32 v33, 28, v26
	v_cmp_gt_u32_e64 s[2:3], 8, v31
	v_lshrrev_b32_e32 v32, 3, v31
	v_sub_u32_e32 v26, 29, v26
	v_cndmask_b32_e64 v31, 0, v33, s[2:3]
	v_cndmask_b32_e64 v26, v32, v26, s[2:3]
	v_lshlrev_b64 v[32:33], v31, v[22:23]
	v_lshlrev_b32_e32 v23, 20, v32
	v_lshlrev_b32_e32 v31, 24, v22
	v_bfrev_b32_e32 v32, 60
	v_and_b32_e32 v23, 0x700000, v23
	v_and_b32_e32 v31, 0x80000000, v31
	v_lshl_add_u32 v26, v26, 23, v32
	v_or3_b32 v26, v31, v26, v23
.LBB426_380:
	s_or_b64 exec, exec, s[22:23]
.LBB426_381:
	s_or_b64 exec, exec, s[20:21]
	v_mov_b32_e32 v23, v26
.LBB426_382:
	s_or_b64 exec, exec, s[10:11]
	v_lshrrev_b16_e32 v26, 8, v22
	v_cmp_ne_u16_e64 s[2:3], 0, v26
	v_mov_b32_e32 v31, 0
	v_mov_b32_e32 v32, 0
	s_and_saveexec_b64 s[10:11], s[2:3]
	s_cbranch_execz .LBB426_388
; %bb.383:
	s_movk_i32 s2, 0x80
	v_cmp_ne_u16_e64 s[2:3], s2, v26
	v_bfrev_b32_e32 v32, 1
	s_and_saveexec_b64 s[20:21], s[2:3]
	s_cbranch_execz .LBB426_387
; %bb.384:
	s_movk_i32 s2, 0x7f
	v_and_b32_e32 v33, 0x7f, v26
	v_cmp_ne_u32_e64 s[2:3], s2, v33
	v_mov_b32_e32 v32, 0x7f800001
	s_and_saveexec_b64 s[22:23], s[2:3]
	s_cbranch_execz .LBB426_386
; %bb.385:
	v_and_b32_e32 v32, 7, v26
	v_ffbh_u32_e32 v34, v32
	v_min_u32_e32 v37, 32, v34
	v_subrev_u32_e32 v34, 28, v37
	v_lshlrev_b64 v[34:35], v34, v[26:27]
	v_lshrrev_b32_e32 v36, 3, v33
	v_sub_u32_e32 v26, 29, v37
	v_and_b32_e32 v34, 7, v34
	v_cmp_gt_u32_e64 s[2:3], 8, v33
	v_cndmask_b32_e64 v26, v36, v26, s[2:3]
	v_cndmask_b32_e64 v32, v32, v34, s[2:3]
	v_lshlrev_b32_e32 v22, 16, v22
	v_bfrev_b32_e32 v33, 60
	v_lshlrev_b32_e32 v32, 20, v32
	v_and_b32_e32 v22, 0x80000000, v22
	v_lshl_add_u32 v26, v26, 23, v33
	v_or3_b32 v32, v22, v26, v32
.LBB426_386:
	s_or_b64 exec, exec, s[22:23]
.LBB426_387:
	s_or_b64 exec, exec, s[20:21]
.LBB426_388:
	s_or_b64 exec, exec, s[10:11]
	s_movk_i32 s2, 0xff
	v_and_b32_sdwa v26, v25, s2 dst_sel:DWORD dst_unused:UNUSED_PAD src0_sel:WORD_1 src1_sel:DWORD
	v_lshrrev_b32_e32 v22, 16, v25
	v_cmp_ne_u16_e64 s[2:3], 0, v26
	s_and_saveexec_b64 s[10:11], s[2:3]
	s_cbranch_execz .LBB426_394
; %bb.389:
	s_movk_i32 s2, 0x80
	v_cmp_ne_u16_e64 s[2:3], s2, v26
	v_bfrev_b32_e32 v31, 1
	s_and_saveexec_b64 s[20:21], s[2:3]
	s_cbranch_execz .LBB426_393
; %bb.390:
	v_bfe_u32 v26, v25, 16, 7
	s_movk_i32 s2, 0x7f
	v_cmp_ne_u32_e64 s[2:3], s2, v26
	v_mov_b32_e32 v31, 0x7f800001
	s_and_saveexec_b64 s[22:23], s[2:3]
	s_cbranch_execz .LBB426_392
; %bb.391:
	v_and_b32_e32 v31, 7, v22
	v_ffbh_u32_e32 v34, v31
	v_min_u32_e32 v36, 32, v34
	v_subrev_u32_e32 v34, 28, v36
	v_lshlrev_b64 v[34:35], v34, v[22:23]
	v_and_b32_e32 v34, 7, v34
	v_cmp_gt_u32_e64 s[2:3], 8, v26
	v_lshrrev_b32_e32 v33, 3, v26
	v_sub_u32_e32 v22, 29, v36
	v_cndmask_b32_e64 v26, v31, v34, s[2:3]
	v_mov_b32_e32 v31, 24
	v_cndmask_b32_e64 v22, v33, v22, s[2:3]
	v_lshlrev_b32_sdwa v31, v31, v25 dst_sel:DWORD dst_unused:UNUSED_PAD src0_sel:DWORD src1_sel:WORD_1
	v_bfrev_b32_e32 v33, 60
	v_lshlrev_b32_e32 v26, 20, v26
	v_and_b32_e32 v31, 0x80000000, v31
	v_lshl_add_u32 v22, v22, 23, v33
	v_or3_b32 v31, v31, v22, v26
.LBB426_392:
	s_or_b64 exec, exec, s[22:23]
.LBB426_393:
	s_or_b64 exec, exec, s[20:21]
.LBB426_394:
	s_or_b64 exec, exec, s[10:11]
	s_mov_b32 s2, -1
	s_mov_b32 s3, 0xffffff
	v_cmp_lt_u64_e64 s[2:3], s[2:3], v[24:25]
	v_mov_b32_e32 v24, 0
	s_and_saveexec_b64 s[10:11], s[2:3]
	s_cbranch_execz .LBB426_400
; %bb.395:
	v_lshrrev_b32_e32 v22, 24, v25
	s_movk_i32 s2, 0x80
	v_cmp_ne_u32_e64 s[2:3], s2, v22
	v_bfrev_b32_e32 v24, 1
	s_and_saveexec_b64 s[20:21], s[2:3]
	s_cbranch_execz .LBB426_399
; %bb.396:
	v_bfe_u32 v25, v25, 24, 7
	s_movk_i32 s2, 0x7f
	v_cmp_ne_u32_e64 s[2:3], s2, v25
	v_mov_b32_e32 v24, 0x7f800001
	s_and_saveexec_b64 s[22:23], s[2:3]
	s_cbranch_execz .LBB426_398
; %bb.397:
	v_and_b32_e32 v24, 7, v22
	v_ffbh_u32_e32 v33, v24
	v_min_u32_e32 v33, 32, v33
	v_subrev_u32_e32 v34, 28, v33
	v_lshlrev_b64 v[34:35], v34, v[22:23]
	v_lshrrev_b32_e32 v26, 3, v25
	v_sub_u32_e32 v33, 29, v33
	v_and_b32_e32 v34, 7, v34
	v_cmp_gt_u32_e64 s[2:3], 8, v25
	v_cndmask_b32_e64 v25, v26, v33, s[2:3]
	v_cndmask_b32_e64 v24, v24, v34, s[2:3]
	v_lshlrev_b32_e32 v22, 24, v22
	v_bfrev_b32_e32 v26, 60
	v_lshlrev_b32_e32 v24, 20, v24
	v_and_b32_e32 v22, 0x80000000, v22
	v_lshl_add_u32 v25, v25, 23, v26
	v_or3_b32 v24, v22, v25, v24
.LBB426_398:
	s_or_b64 exec, exec, s[22:23]
.LBB426_399:
	s_or_b64 exec, exec, s[20:21]
.LBB426_400:
	s_or_b64 exec, exec, s[10:11]
	s_load_dword s2, s[4:5], 0x1c
	v_cvt_pkrtz_f16_f32 v26, v28, v29
	v_cvt_pkrtz_f16_f32 v27, v27, v30
	s_load_dword s3, s[12:13], 0x0
	v_cvt_pkrtz_f16_f32 v22, v23, v32
	v_mfma_f32_4x4x4f16 a[0:3], v[18:19], v[26:27], a[0:3] cbsz:4 abid:7
	v_cvt_pkrtz_f16_f32 v23, v31, v24
	s_waitcnt lgkmcnt(0)
	v_mov_b32_e32 v18, s2
	v_mul_f32_e32 v18, s3, v18
	v_mfma_f32_4x4x4f16 a[0:3], v[20:21], v[22:23], a[0:3] cbsz:4 abid:7
	v_mov_b32_e32 v25, 0xff7fffff
	s_nop 3
	v_accvgpr_read_b32 v21, a1
	v_accvgpr_read_b32 v20, a0
	v_pk_mul_f32 v[20:21], v[20:21], v[18:19] op_sel_hi:[1,0]
	v_accvgpr_read_b32 v23, a3
	v_accvgpr_read_b32 v22, a2
	v_pk_mul_f32 v[18:19], v[22:23], v[18:19] op_sel_hi:[1,0]
	v_cndmask_b32_e64 v22, 0, 1.0, vcc
	v_cmp_eq_u32_e32 vcc, 1, v43
	s_nop 0
	v_mfma_f32_4x4x1f32 a[0:3], v20, v22, 0
	v_cndmask_b32_e64 v20, 0, 1.0, vcc
	v_cmp_eq_u32_e32 vcc, 2, v43
	s_nop 0
	v_mfma_f32_4x4x1f32 a[0:3], v21, v20, a[0:3]
	;; [unrolled: 4-line block ×3, first 2 shown]
	v_cndmask_b32_e64 v18, 0, 1.0, vcc
	s_nop 1
	v_mfma_f32_4x4x1f32 a[0:3], v19, v18, a[0:3]
	v_and_b32_e32 v18, -4, v44
	v_subrev_u32_e32 v19, s7, v18
	v_add_u32_e32 v20, 1, v19
	v_cvt_f32_i32_e32 v20, v20
	v_add_u32_e32 v21, 2, v19
	v_cvt_f32_i32_e32 v21, v21
	v_accvgpr_read_b32 v22, a0
	v_fma_f32 v20, v45, v20, v22
	v_accvgpr_read_b32 v22, a1
	v_fma_f32 v21, v45, v21, v22
	v_add_u32_e32 v22, 3, v19
	v_cvt_f32_i32_e32 v22, v22
	v_add_u32_e32 v19, 4, v19
	v_max_f32_e32 v24, 0xff7fffff, v20
	v_cmp_gt_i32_e32 vcc, s7, v18
	v_cvt_f32_i32_e32 v19, v19
	v_cndmask_b32_e32 v24, v25, v24, vcc
	v_or_b32_e32 v25, 1, v18
	v_accvgpr_read_b32 v23, a2
	v_max_f32_e32 v26, v24, v21
	v_cmp_gt_i32_e64 s[2:3], s7, v25
	v_fma_f32 v22, v45, v22, v23
	v_cndmask_b32_e64 v24, v24, v26, s[2:3]
	v_or_b32_e32 v18, 2, v18
	v_accvgpr_read_b32 v23, a3
	v_max_f32_e32 v25, v24, v22
	v_cmp_gt_i32_e64 s[4:5], s7, v18
	v_fmac_f32_e32 v23, v45, v19
	v_cndmask_b32_e64 v18, v24, v25, s[4:5]
	v_or_b32_e32 v24, 3, v44
	v_max_f32_e32 v25, v18, v23
	v_cmp_gt_i32_e64 s[10:11], s7, v24
	v_lshlrev_b32_e32 v19, 2, v0
	v_cndmask_b32_e64 v18, v18, v25, s[10:11]
	v_and_or_b32 v19, v19, 48, v43
	;;#ASMSTART
	v_nop
 v_nop
 v_max_f32_dpp v18, v18, v18 row_ror:4
	;;#ASMEND
	v_lshlrev_b32_e32 v24, 2, v19
	;;#ASMSTART
	v_nop
 v_nop
 v_max_f32_dpp v18, v18, v18 row_ror:8
	;;#ASMEND
	ds_bpermute_b32 v18, v24, v18
	s_waitcnt lgkmcnt(0)
	;;#ASMSTART
	v_nop
 v_nop
 v_max_f32_dpp v18, v18, v18 row_ror:4
	;;#ASMEND
	;;#ASMSTART
	v_nop
 v_nop
 v_max_f32_dpp v26, v18, v18 row_ror:8
	;;#ASMEND
	v_sub_f32_e32 v18, v20, v26
	v_mul_f32_e32 v18, 0x3fb8aa3b, v18
	v_sub_f32_e32 v19, v21, v26
	v_exp_f32_e32 v18, v18
	v_mul_f32_e32 v19, 0x3fb8aa3b, v19
	v_sub_f32_e32 v21, v22, v26
	v_exp_f32_e32 v19, v19
	v_mul_f32_e32 v21, 0x3fb8aa3b, v21
	v_sub_f32_e32 v22, v23, v26
	v_exp_f32_e32 v21, v21
	v_mul_f32_e32 v22, 0x3fb8aa3b, v22
	v_exp_f32_e32 v22, v22
	v_cndmask_b32_e32 v18, 0, v18, vcc
	v_add_f32_e32 v20, 0, v18
	v_cndmask_b32_e64 v19, 0, v19, s[2:3]
	v_add_f32_e32 v23, v20, v19
	v_cndmask_b32_e64 v20, 0, v21, s[4:5]
	v_add_f32_e32 v23, v23, v20
	v_cndmask_b32_e64 v21, 0, v22, s[10:11]
	v_add_f32_e32 v22, v23, v21
	;;#ASMSTART
	v_nop
 v_nop
 v_add_f32_dpp v22, v22, v22 row_ror:4
	;;#ASMEND
	;;#ASMSTART
	v_nop
 v_nop
 v_add_f32_dpp v22, v22, v22 row_ror:8
	;;#ASMEND
	ds_bpermute_b32 v22, v24, v22
	s_waitcnt lgkmcnt(0)
	;;#ASMSTART
	v_nop
 v_nop
 v_add_f32_dpp v22, v22, v22 row_ror:4
	;;#ASMEND
	v_cmp_gt_u32_e32 vcc, 4, v1
	;;#ASMSTART
	v_nop
 v_nop
 v_add_f32_dpp v22, v22, v22 row_ror:8
	;;#ASMEND
	s_and_saveexec_b64 s[2:3], vcc
	s_cbranch_execz .LBB426_402
; %bb.401:
	v_mul_u32_u24_e32 v23, 20, v42
	v_lshl_add_u32 v23, v43, 2, v23
	v_add_u32_e32 v23, 0x800, v23
	ds_write2_b32 v23, v26, v22 offset0:128 offset1:148
.LBB426_402:
	s_or_b64 exec, exec, s[2:3]
.LBB426_403:
	s_or_b64 exec, exec, s[30:31]
	s_waitcnt lgkmcnt(0)
	s_barrier
	s_load_dword s2, s[28:29], 0x8
	v_lshlrev_b32_e32 v22, 2, v43
	v_add_u32_e32 v30, 0x800, v22
	ds_read2_b32 v[22:23], v30 offset0:128 offset1:133
	ds_read2_b32 v[24:25], v30 offset0:138 offset1:143
	s_mul_i32 s3, s33, s6
	s_waitcnt lgkmcnt(0)
	s_mul_i32 s2, s3, s2
	s_mov_b32 s3, 0xff7fffff
	v_max3_f32 v27, v22, s3, v23
	v_max3_f32 v27, v27, v24, v25
	v_sub_f32_e32 v22, v22, v27
	ds_read2_b32 v[28:29], v30 offset0:148 offset1:153
	v_mul_f32_e32 v22, 0x3fb8aa3b, v22
	v_sub_f32_e32 v23, v23, v27
	v_exp_f32_e32 v32, v22
	v_mul_f32_e32 v23, 0x3fb8aa3b, v23
	v_sub_f32_e32 v24, v24, v27
	v_exp_f32_e32 v23, v23
	ds_read2_b32 v[30:31], v30 offset0:158 offset1:163
	v_mul_f32_e32 v24, 0x3fb8aa3b, v24
	v_sub_f32_e32 v25, v25, v27
	v_exp_f32_e32 v24, v24
	v_mul_f32_e32 v25, 0x3fb8aa3b, v25
	v_exp_f32_e32 v25, v25
	s_waitcnt lgkmcnt(1)
	v_fma_f32 v28, v32, v28, 0
	v_fmac_f32_e32 v28, v23, v29
	s_waitcnt lgkmcnt(0)
	v_fmac_f32_e32 v28, v24, v30
	v_mov_b32_e32 v22, 0
	v_fmac_f32_e32 v28, v25, v31
	s_mov_b32 s3, 0
	v_cmp_eq_u32_e32 vcc, 0, v43
	s_and_saveexec_b64 s[4:5], vcc
	s_cbranch_execz .LBB426_405
; %bb.404:
	s_lshl_b64 s[6:7], s[2:3], 2
	s_add_u32 s9, s16, s6
	s_mov_b32 s25, s3
	s_addc_u32 s12, s17, s7
	s_lshl_b64 s[10:11], s[24:25], 2
	s_add_u32 s9, s9, s10
	s_addc_u32 s12, s12, s11
	s_add_u32 s6, s18, s6
	s_addc_u32 s7, s19, s7
	s_add_u32 s13, s6, s10
	s_addc_u32 s16, s7, s11
	s_mul_i32 s6, s33, s8
	s_mov_b32 s7, s3
	s_lshl_b64 s[6:7], s[6:7], 2
	s_add_u32 s10, s9, s6
	s_addc_u32 s11, s12, s7
	s_add_u32 s6, s13, s6
	s_addc_u32 s7, s16, s7
	global_store_dword v22, v27, s[6:7]
	global_store_dword v22, v28, s[10:11]
.LBB426_405:
	s_or_b64 exec, exec, s[4:5]
	v_lshlrev_b32_e32 v25, 3, v42
	s_and_saveexec_b64 s[4:5], s[0:1]
	s_xor_b64 s[0:1], exec, s[4:5]
	s_cbranch_execz .LBB426_407
; %bb.406:
	s_waitcnt vmcnt(1)
	v_mov_b32_e32 v2, 0
	v_mad_u32_u24 v4, v1, 40, v25
	v_mov_b32_e32 v3, v2
	ds_write_b64 v4, v[2:3]
                                        ; implicit-def: $vgpr21
                                        ; implicit-def: $vgpr19
                                        ; implicit-def: $vgpr26
                                        ; implicit-def: $vgpr14_vgpr15
                                        ; implicit-def: $vgpr10_vgpr11
                                        ; implicit-def: $vgpr6_vgpr7
                                        ; implicit-def: $vgpr2_vgpr3
                                        ; implicit-def: $vgpr27
                                        ; implicit-def: $vgpr28
                                        ; implicit-def: $vgpr25
.LBB426_407:
	s_andn2_saveexec_b64 s[0:1], s[0:1]
	s_cbranch_execz .LBB426_793
; %bb.408:
	v_mov_b32_e32 v29, 0
	s_waitcnt vmcnt(2)
	v_cmp_ne_u16_sdwa s[6:7], v14, v29 src0_sel:BYTE_0 src1_sel:DWORD
	v_mov_b32_e32 v30, 0
	s_and_saveexec_b64 s[4:5], s[6:7]
	s_cbranch_execz .LBB426_414
; %bb.409:
	s_movk_i32 s3, 0x80
	v_cmp_ne_u16_sdwa s[10:11], v14, s3 src0_sel:BYTE_0 src1_sel:DWORD
	v_bfrev_b32_e32 v30, 1
	s_and_saveexec_b64 s[6:7], s[10:11]
	s_cbranch_execz .LBB426_413
; %bb.410:
	s_movk_i32 s3, 0x7f
	v_and_b32_e32 v22, 0x7f, v14
	v_cmp_ne_u32_e32 vcc, s3, v22
	v_mov_b32_e32 v30, 0x7f800001
	s_and_saveexec_b64 s[10:11], vcc
	s_cbranch_execz .LBB426_412
; %bb.411:
	v_and_b32_e32 v23, 7, v14
	v_ffbh_u32_e32 v23, v23
	v_min_u32_e32 v23, 32, v23
	v_subrev_u32_e32 v30, 28, v23
	v_cmp_gt_u32_e32 vcc, 8, v22
	v_lshrrev_b32_e32 v24, 3, v22
	v_sub_u32_e32 v23, 29, v23
	v_cndmask_b32_e32 v22, 0, v30, vcc
	v_cndmask_b32_e32 v24, v24, v23, vcc
	v_lshlrev_b64 v[22:23], v22, v[14:15]
	v_lshlrev_b32_e32 v22, 20, v22
	v_lshlrev_b32_e32 v23, 24, v14
	v_bfrev_b32_e32 v30, 60
	v_and_b32_e32 v22, 0x700000, v22
	v_and_b32_e32 v23, 0x80000000, v23
	v_lshl_add_u32 v24, v24, 23, v30
	v_or3_b32 v30, v23, v24, v22
.LBB426_412:
	s_or_b64 exec, exec, s[10:11]
.LBB426_413:
	s_or_b64 exec, exec, s[6:7]
.LBB426_414:
	s_or_b64 exec, exec, s[4:5]
	v_lshrrev_b16_e32 v22, 8, v14
	v_cmp_ne_u16_e32 vcc, 0, v22
	s_and_saveexec_b64 s[4:5], vcc
	s_cbranch_execz .LBB426_420
; %bb.415:
	s_movk_i32 s3, 0x80
	v_cmp_ne_u16_e32 vcc, s3, v22
	v_bfrev_b32_e32 v29, 1
	s_and_saveexec_b64 s[6:7], vcc
	s_cbranch_execz .LBB426_419
; %bb.416:
	s_movk_i32 s3, 0x7f
	v_and_b32_e32 v23, 0x7f, v22
	v_cmp_ne_u32_e32 vcc, s3, v23
	v_mov_b32_e32 v29, 0x7f800001
	s_and_saveexec_b64 s[10:11], vcc
	s_cbranch_execz .LBB426_418
; %bb.417:
	v_and_b32_e32 v24, 7, v22
	v_ffbh_u32_e32 v31, v24
	v_min_u32_e32 v31, 32, v31
	v_subrev_u32_e32 v32, 28, v31
	v_lshlrev_b64 v[32:33], v32, v[22:23]
	v_lshrrev_b32_e32 v29, 3, v23
	v_sub_u32_e32 v22, 29, v31
	v_and_b32_e32 v31, 7, v32
	v_cmp_gt_u32_e32 vcc, 8, v23
	v_cndmask_b32_e32 v22, v29, v22, vcc
	v_cndmask_b32_e32 v23, v24, v31, vcc
	v_lshlrev_b32_e32 v24, 16, v14
	v_bfrev_b32_e32 v29, 60
	v_lshlrev_b32_e32 v23, 20, v23
	v_and_b32_e32 v24, 0x80000000, v24
	v_lshl_add_u32 v22, v22, 23, v29
	v_or3_b32 v29, v24, v22, v23
.LBB426_418:
	s_or_b64 exec, exec, s[10:11]
.LBB426_419:
	s_or_b64 exec, exec, s[6:7]
.LBB426_420:
	s_or_b64 exec, exec, s[4:5]
	s_movk_i32 s3, 0xff
	v_and_b32_sdwa v23, v14, s3 dst_sel:DWORD dst_unused:UNUSED_PAD src0_sel:WORD_1 src1_sel:DWORD
	v_lshrrev_b32_e32 v22, 16, v14
	v_cmp_ne_u16_e32 vcc, 0, v23
	v_mov_b32_e32 v31, 0
	v_mov_b32_e32 v32, 0
	s_and_saveexec_b64 s[4:5], vcc
	s_cbranch_execz .LBB426_426
; %bb.421:
	s_movk_i32 s3, 0x80
	v_cmp_ne_u16_e32 vcc, s3, v23
	v_bfrev_b32_e32 v32, 1
	s_and_saveexec_b64 s[6:7], vcc
	s_cbranch_execz .LBB426_425
; %bb.422:
	v_bfe_u32 v23, v14, 16, 7
	s_movk_i32 s3, 0x7f
	v_cmp_ne_u32_e32 vcc, s3, v23
	v_mov_b32_e32 v32, 0x7f800001
	s_and_saveexec_b64 s[10:11], vcc
	s_cbranch_execz .LBB426_424
; %bb.423:
	v_and_b32_e32 v24, 7, v22
	v_ffbh_u32_e32 v32, v24
	v_min_u32_e32 v35, 32, v32
	v_subrev_u32_e32 v32, 28, v35
	v_lshlrev_b64 v[32:33], v32, v[22:23]
	v_and_b32_e32 v32, 7, v32
	v_cmp_gt_u32_e32 vcc, 8, v23
	v_lshrrev_b32_e32 v34, 3, v23
	v_sub_u32_e32 v22, 29, v35
	v_cndmask_b32_e32 v23, v24, v32, vcc
	v_mov_b32_e32 v24, 24
	v_cndmask_b32_e32 v22, v34, v22, vcc
	v_lshlrev_b32_sdwa v24, v24, v14 dst_sel:DWORD dst_unused:UNUSED_PAD src0_sel:DWORD src1_sel:WORD_1
	v_bfrev_b32_e32 v32, 60
	v_lshlrev_b32_e32 v23, 20, v23
	v_and_b32_e32 v24, 0x80000000, v24
	v_lshl_add_u32 v22, v22, 23, v32
	v_or3_b32 v32, v24, v22, v23
.LBB426_424:
	s_or_b64 exec, exec, s[10:11]
.LBB426_425:
	s_or_b64 exec, exec, s[6:7]
.LBB426_426:
	s_or_b64 exec, exec, s[4:5]
	s_mov_b32 s3, 0xffffff
	v_cmp_lt_u32_e32 vcc, s3, v14
	s_and_saveexec_b64 s[4:5], vcc
	s_cbranch_execz .LBB426_432
; %bb.427:
	v_lshrrev_b32_e32 v22, 24, v14
	s_movk_i32 s3, 0x80
	v_cmp_ne_u32_e32 vcc, s3, v22
	v_bfrev_b32_e32 v31, 1
	s_and_saveexec_b64 s[6:7], vcc
	s_cbranch_execz .LBB426_431
; %bb.428:
	v_bfe_u32 v23, v14, 24, 7
	s_movk_i32 s3, 0x7f
	v_cmp_ne_u32_e32 vcc, s3, v23
	v_mov_b32_e32 v31, 0x7f800001
	s_and_saveexec_b64 s[10:11], vcc
	s_cbranch_execz .LBB426_430
; %bb.429:
	v_and_b32_e32 v24, 7, v22
	v_ffbh_u32_e32 v33, v24
	v_min_u32_e32 v33, 32, v33
	v_subrev_u32_e32 v34, 28, v33
	v_lshlrev_b64 v[34:35], v34, v[22:23]
	v_lshrrev_b32_e32 v31, 3, v23
	v_sub_u32_e32 v33, 29, v33
	v_and_b32_e32 v34, 7, v34
	v_cmp_gt_u32_e32 vcc, 8, v23
	v_cndmask_b32_e32 v23, v31, v33, vcc
	v_cndmask_b32_e32 v24, v24, v34, vcc
	v_lshlrev_b32_e32 v22, 24, v22
	v_bfrev_b32_e32 v31, 60
	v_lshlrev_b32_e32 v24, 20, v24
	v_and_b32_e32 v22, 0x80000000, v22
	v_lshl_add_u32 v23, v23, 23, v31
	v_or3_b32 v31, v22, v23, v24
.LBB426_430:
	s_or_b64 exec, exec, s[10:11]
.LBB426_431:
	s_or_b64 exec, exec, s[6:7]
.LBB426_432:
	s_or_b64 exec, exec, s[4:5]
	v_mov_b32_e32 v23, 0
	v_mov_b32_e32 v22, v15
	v_cmp_ne_u16_sdwa s[6:7], v15, v23 src0_sel:BYTE_0 src1_sel:DWORD
	v_mov_b32_e32 v33, v23
	s_and_saveexec_b64 s[4:5], s[6:7]
	s_cbranch_execz .LBB426_438
; %bb.433:
	s_movk_i32 s3, 0x80
	v_cmp_ne_u16_sdwa s[10:11], v15, s3 src0_sel:BYTE_0 src1_sel:DWORD
	v_bfrev_b32_e32 v33, 1
	s_and_saveexec_b64 s[6:7], s[10:11]
	s_cbranch_execz .LBB426_437
; %bb.434:
	s_movk_i32 s3, 0x7f
	v_and_b32_e32 v24, 0x7f, v15
	v_cmp_ne_u32_e32 vcc, s3, v24
	v_mov_b32_e32 v33, 0x7f800001
	s_and_saveexec_b64 s[10:11], vcc
	s_cbranch_execz .LBB426_436
; %bb.435:
	v_and_b32_e32 v33, 7, v15
	v_ffbh_u32_e32 v33, v33
	v_min_u32_e32 v33, 32, v33
	v_lshrrev_b32_e32 v34, 3, v24
	v_subrev_u32_e32 v35, 28, v33
	v_sub_u32_e32 v33, 29, v33
	v_cmp_gt_u32_e32 vcc, 8, v24
	v_cndmask_b32_e32 v24, v34, v33, vcc
	v_cndmask_b32_e32 v33, 0, v35, vcc
	v_lshlrev_b64 v[34:35], v33, v[22:23]
	v_lshlrev_b32_e32 v33, 20, v34
	v_lshlrev_b32_e32 v34, 24, v22
	v_bfrev_b32_e32 v35, 60
	v_and_b32_e32 v33, 0x700000, v33
	v_and_b32_e32 v34, 0x80000000, v34
	v_lshl_add_u32 v24, v24, 23, v35
	v_or3_b32 v33, v34, v24, v33
.LBB426_436:
	s_or_b64 exec, exec, s[10:11]
.LBB426_437:
	s_or_b64 exec, exec, s[6:7]
.LBB426_438:
	s_or_b64 exec, exec, s[4:5]
	v_lshrrev_b16_e32 v24, 8, v22
	v_cmp_ne_u16_e32 vcc, 0, v24
	s_and_saveexec_b64 s[4:5], vcc
	s_cbranch_execz .LBB426_444
; %bb.439:
	s_movk_i32 s3, 0x80
	v_cmp_ne_u16_e32 vcc, s3, v24
	v_bfrev_b32_e32 v23, 1
	s_and_saveexec_b64 s[6:7], vcc
	s_cbranch_execz .LBB426_443
; %bb.440:
	s_movk_i32 s3, 0x7f
	v_and_b32_e32 v34, 0x7f, v24
	v_cmp_ne_u32_e32 vcc, s3, v34
	v_mov_b32_e32 v23, 0x7f800001
	s_and_saveexec_b64 s[10:11], vcc
	s_cbranch_execz .LBB426_442
; %bb.441:
	v_and_b32_e32 v23, 7, v24
	v_ffbh_u32_e32 v36, v23
	v_min_u32_e32 v38, 32, v36
	v_subrev_u32_e32 v36, 28, v38
	v_lshlrev_b64 v[36:37], v36, v[24:25]
	v_lshrrev_b32_e32 v35, 3, v34
	v_sub_u32_e32 v24, 29, v38
	v_and_b32_e32 v36, 7, v36
	v_cmp_gt_u32_e32 vcc, 8, v34
	v_cndmask_b32_e32 v24, v35, v24, vcc
	v_cndmask_b32_e32 v23, v23, v36, vcc
	v_lshlrev_b32_e32 v22, 16, v22
	v_bfrev_b32_e32 v34, 60
	v_lshlrev_b32_e32 v23, 20, v23
	v_and_b32_e32 v22, 0x80000000, v22
	v_lshl_add_u32 v24, v24, 23, v34
	v_or3_b32 v23, v22, v24, v23
.LBB426_442:
	s_or_b64 exec, exec, s[10:11]
.LBB426_443:
	s_or_b64 exec, exec, s[6:7]
.LBB426_444:
	s_or_b64 exec, exec, s[4:5]
	s_movk_i32 s3, 0xff
	v_and_b32_sdwa v35, v15, s3 dst_sel:DWORD dst_unused:UNUSED_PAD src0_sel:WORD_1 src1_sel:DWORD
	v_lshrrev_b32_e32 v22, 16, v15
	v_cmp_ne_u16_e32 vcc, 0, v35
	v_mov_b32_e32 v24, 0
	v_mov_b32_e32 v34, 0
	s_and_saveexec_b64 s[4:5], vcc
	s_cbranch_execz .LBB426_450
; %bb.445:
	s_movk_i32 s3, 0x80
	v_cmp_ne_u16_e32 vcc, s3, v35
	v_bfrev_b32_e32 v34, 1
	s_and_saveexec_b64 s[6:7], vcc
	s_cbranch_execz .LBB426_449
; %bb.446:
	v_bfe_u32 v35, v15, 16, 7
	s_movk_i32 s3, 0x7f
	v_cmp_ne_u32_e32 vcc, s3, v35
	v_mov_b32_e32 v34, 0x7f800001
	s_and_saveexec_b64 s[10:11], vcc
	s_cbranch_execz .LBB426_448
; %bb.447:
	v_and_b32_e32 v34, 7, v22
	v_ffbh_u32_e32 v36, v34
	v_min_u32_e32 v39, 32, v36
	v_subrev_u32_e32 v36, 28, v39
	v_lshlrev_b64 v[36:37], v36, v[22:23]
	v_lshrrev_b32_e32 v38, 3, v35
	v_sub_u32_e32 v22, 29, v39
	v_and_b32_e32 v36, 7, v36
	v_cmp_gt_u32_e32 vcc, 8, v35
	v_mov_b32_e32 v35, 24
	v_cndmask_b32_e32 v22, v38, v22, vcc
	v_cndmask_b32_e32 v34, v34, v36, vcc
	v_lshlrev_b32_sdwa v35, v35, v15 dst_sel:DWORD dst_unused:UNUSED_PAD src0_sel:DWORD src1_sel:WORD_1
	v_bfrev_b32_e32 v36, 60
	v_lshlrev_b32_e32 v34, 20, v34
	v_and_b32_e32 v35, 0x80000000, v35
	v_lshl_add_u32 v22, v22, 23, v36
	v_or3_b32 v34, v35, v22, v34
.LBB426_448:
	s_or_b64 exec, exec, s[10:11]
.LBB426_449:
	s_or_b64 exec, exec, s[6:7]
.LBB426_450:
	s_or_b64 exec, exec, s[4:5]
	s_mov_b32 s4, -1
	s_mov_b32 s5, 0xffffff
	v_cmp_lt_u64_e32 vcc, s[4:5], v[14:15]
	s_and_saveexec_b64 s[4:5], vcc
	s_cbranch_execz .LBB426_456
; %bb.451:
	v_lshrrev_b32_e32 v14, 24, v15
	s_movk_i32 s3, 0x80
	v_cmp_ne_u32_e32 vcc, s3, v14
	v_bfrev_b32_e32 v24, 1
	s_and_saveexec_b64 s[6:7], vcc
	s_cbranch_execz .LBB426_455
; %bb.452:
	v_bfe_u32 v15, v15, 24, 7
	s_movk_i32 s3, 0x7f
	v_cmp_ne_u32_e32 vcc, s3, v15
	v_mov_b32_e32 v24, 0x7f800001
	s_and_saveexec_b64 s[10:11], vcc
	s_cbranch_execz .LBB426_454
; %bb.453:
	v_and_b32_e32 v22, 7, v14
	v_ffbh_u32_e32 v35, v22
	v_min_u32_e32 v35, 32, v35
	v_subrev_u32_e32 v36, 28, v35
	v_lshlrev_b64 v[36:37], v36, v[14:15]
	v_lshrrev_b32_e32 v24, 3, v15
	v_sub_u32_e32 v35, 29, v35
	v_and_b32_e32 v36, 7, v36
	v_cmp_gt_u32_e32 vcc, 8, v15
	v_cndmask_b32_e32 v15, v24, v35, vcc
	v_cndmask_b32_e32 v22, v22, v36, vcc
	v_lshlrev_b32_e32 v14, 24, v14
	v_bfrev_b32_e32 v24, 60
	v_lshlrev_b32_e32 v22, 20, v22
	v_and_b32_e32 v14, 0x80000000, v14
	v_lshl_add_u32 v15, v15, 23, v24
	v_or3_b32 v24, v14, v15, v22
.LBB426_454:
	s_or_b64 exec, exec, s[10:11]
.LBB426_455:
	s_or_b64 exec, exec, s[6:7]
.LBB426_456:
	s_or_b64 exec, exec, s[4:5]
	v_add_f32_e32 v14, 0x358637bd, v28
	v_div_scale_f32 v15, s[4:5], v14, v14, 1.0
	v_rcp_f32_e32 v22, v15
	v_div_scale_f32 v28, vcc, 1.0, v14, 1.0
	v_sub_f32_e32 v26, v26, v27
	v_fma_f32 v35, -v15, v22, 1.0
	v_fmac_f32_e32 v22, v35, v22
	v_mul_f32_e32 v35, v28, v22
	v_fma_f32 v36, -v15, v35, v28
	v_mul_f32_e32 v26, 0x3fb8aa3b, v26
	v_fmac_f32_e32 v35, v36, v22
	v_exp_f32_e32 v26, v26
	v_fma_f32 v15, -v15, v35, v28
	v_div_fmas_f32 v15, v15, v22, v35
	v_div_fixup_f32 v14, v15, v14, 1.0
	v_mul_f32_e32 v14, v26, v14
	v_pk_mul_f32 v[20:21], v[20:21], v[14:15] op_sel_hi:[1,0]
	v_pk_mul_f32 v[14:15], v[18:19], v[14:15] op_sel_hi:[1,0]
	v_cvt_f16_f32_e32 v14, v14
	v_cvt_f16_f32_e32 v15, v15
	v_cvt_f16_f32_e32 v18, v20
	v_cvt_f16_f32_e32 v19, v21
	v_cvt_pkrtz_f16_f32 v22, v33, v23
	v_pack_b32_f16 v14, v14, v15
	v_cvt_pkrtz_f16_f32 v23, v34, v24
	v_pack_b32_f16 v15, v18, v19
	v_cvt_pkrtz_f16_f32 v18, v30, v29
	v_cvt_pkrtz_f16_f32 v19, v32, v31
	v_mov_b32_e32 v21, 0
	s_nop 0
	v_mfma_f32_4x4x4f16 a[0:3], v[14:15], v[18:19], 0 cbsz:4
	v_mfma_f32_4x4x4f16 a[0:3], v[14:15], v[22:23], a[0:3] cbsz:4 abid:1
	v_mov_b32_e32 v22, 0
	v_cmp_ne_u16_sdwa s[6:7], v16, v22 src0_sel:BYTE_0 src1_sel:DWORD
	s_and_saveexec_b64 s[4:5], s[6:7]
	s_cbranch_execz .LBB426_462
; %bb.457:
	s_movk_i32 s3, 0x80
	v_cmp_ne_u16_sdwa s[10:11], v16, s3 src0_sel:BYTE_0 src1_sel:DWORD
	v_bfrev_b32_e32 v21, 1
	s_and_saveexec_b64 s[6:7], s[10:11]
	s_cbranch_execz .LBB426_461
; %bb.458:
	s_movk_i32 s3, 0x7f
	v_and_b32_e32 v18, 0x7f, v16
	v_cmp_ne_u32_e32 vcc, s3, v18
	v_mov_b32_e32 v21, 0x7f800001
	s_and_saveexec_b64 s[10:11], vcc
	s_cbranch_execz .LBB426_460
; %bb.459:
	v_and_b32_e32 v19, 7, v16
	v_ffbh_u32_e32 v19, v19
	v_min_u32_e32 v19, 32, v19
	v_subrev_u32_e32 v21, 28, v19
	v_cmp_gt_u32_e32 vcc, 8, v18
	v_lshrrev_b32_e32 v20, 3, v18
	v_sub_u32_e32 v19, 29, v19
	v_cndmask_b32_e32 v18, 0, v21, vcc
	v_cndmask_b32_e32 v20, v20, v19, vcc
	v_lshlrev_b64 v[18:19], v18, v[16:17]
	v_lshlrev_b32_e32 v18, 20, v18
	v_lshlrev_b32_e32 v19, 24, v16
	v_bfrev_b32_e32 v21, 60
	v_and_b32_e32 v18, 0x700000, v18
	v_and_b32_e32 v19, 0x80000000, v19
	v_lshl_add_u32 v20, v20, 23, v21
	v_or3_b32 v21, v19, v20, v18
.LBB426_460:
	s_or_b64 exec, exec, s[10:11]
.LBB426_461:
	s_or_b64 exec, exec, s[6:7]
.LBB426_462:
	s_or_b64 exec, exec, s[4:5]
	v_lshrrev_b16_e32 v18, 8, v16
	v_cmp_ne_u16_e32 vcc, 0, v18
	v_mov_b32_e32 v23, 0
	s_and_saveexec_b64 s[4:5], vcc
	s_cbranch_execz .LBB426_468
; %bb.463:
	s_movk_i32 s3, 0x80
	v_cmp_ne_u16_e32 vcc, s3, v18
	v_bfrev_b32_e32 v23, 1
	s_and_saveexec_b64 s[6:7], vcc
	s_cbranch_execz .LBB426_467
; %bb.464:
	s_movk_i32 s3, 0x7f
	v_and_b32_e32 v19, 0x7f, v18
	v_cmp_ne_u32_e32 vcc, s3, v19
	v_mov_b32_e32 v23, 0x7f800001
	s_and_saveexec_b64 s[10:11], vcc
	s_cbranch_execz .LBB426_466
; %bb.465:
	v_and_b32_e32 v20, 7, v18
	v_ffbh_u32_e32 v24, v20
	v_min_u32_e32 v24, 32, v24
	v_subrev_u32_e32 v26, 28, v24
	v_lshlrev_b64 v[26:27], v26, v[18:19]
	v_lshrrev_b32_e32 v23, 3, v19
	v_sub_u32_e32 v18, 29, v24
	v_and_b32_e32 v24, 7, v26
	v_cmp_gt_u32_e32 vcc, 8, v19
	v_cndmask_b32_e32 v18, v23, v18, vcc
	v_cndmask_b32_e32 v19, v20, v24, vcc
	v_lshlrev_b32_e32 v20, 16, v16
	v_bfrev_b32_e32 v23, 60
	v_lshlrev_b32_e32 v19, 20, v19
	v_and_b32_e32 v20, 0x80000000, v20
	v_lshl_add_u32 v18, v18, 23, v23
	v_or3_b32 v23, v20, v18, v19
.LBB426_466:
	s_or_b64 exec, exec, s[10:11]
.LBB426_467:
	s_or_b64 exec, exec, s[6:7]
.LBB426_468:
	s_or_b64 exec, exec, s[4:5]
	s_movk_i32 s3, 0xff
	v_and_b32_sdwa v19, v16, s3 dst_sel:DWORD dst_unused:UNUSED_PAD src0_sel:WORD_1 src1_sel:DWORD
	v_lshrrev_b32_e32 v18, 16, v16
	v_cmp_ne_u16_e32 vcc, 0, v19
	s_and_saveexec_b64 s[4:5], vcc
	s_cbranch_execz .LBB426_474
; %bb.469:
	s_movk_i32 s3, 0x80
	v_cmp_ne_u16_e32 vcc, s3, v19
	v_bfrev_b32_e32 v22, 1
	s_and_saveexec_b64 s[6:7], vcc
	s_cbranch_execz .LBB426_473
; %bb.470:
	v_bfe_u32 v19, v16, 16, 7
	s_movk_i32 s3, 0x7f
	v_cmp_ne_u32_e32 vcc, s3, v19
	v_mov_b32_e32 v22, 0x7f800001
	s_and_saveexec_b64 s[10:11], vcc
	s_cbranch_execz .LBB426_472
; %bb.471:
	v_and_b32_e32 v20, 7, v18
	v_ffbh_u32_e32 v24, v20
	v_min_u32_e32 v24, 32, v24
	v_subrev_u32_e32 v26, 28, v24
	v_lshlrev_b64 v[26:27], v26, v[18:19]
	v_sub_u32_e32 v18, 29, v24
	v_and_b32_e32 v24, 7, v26
	v_cmp_gt_u32_e32 vcc, 8, v19
	v_lshrrev_b32_e32 v22, 3, v19
	v_cndmask_b32_e32 v19, v20, v24, vcc
	v_mov_b32_e32 v20, 24
	v_cndmask_b32_e32 v18, v22, v18, vcc
	v_lshlrev_b32_sdwa v20, v20, v16 dst_sel:DWORD dst_unused:UNUSED_PAD src0_sel:DWORD src1_sel:WORD_1
	v_bfrev_b32_e32 v22, 60
	v_lshlrev_b32_e32 v19, 20, v19
	v_and_b32_e32 v20, 0x80000000, v20
	v_lshl_add_u32 v18, v18, 23, v22
	v_or3_b32 v22, v20, v18, v19
.LBB426_472:
	s_or_b64 exec, exec, s[10:11]
.LBB426_473:
	s_or_b64 exec, exec, s[6:7]
.LBB426_474:
	s_or_b64 exec, exec, s[4:5]
	s_mov_b32 s3, 0xffffff
	v_cmp_lt_u32_e32 vcc, s3, v16
	v_mov_b32_e32 v19, 0
	v_mov_b32_e32 v24, 0
	s_and_saveexec_b64 s[4:5], vcc
	s_cbranch_execz .LBB426_480
; %bb.475:
	v_lshrrev_b32_e32 v18, 24, v16
	s_movk_i32 s3, 0x80
	v_cmp_ne_u32_e32 vcc, s3, v18
	v_bfrev_b32_e32 v24, 1
	s_and_saveexec_b64 s[6:7], vcc
	s_cbranch_execz .LBB426_479
; %bb.476:
	v_bfe_u32 v20, v16, 24, 7
	s_movk_i32 s3, 0x7f
	v_cmp_ne_u32_e32 vcc, s3, v20
	v_mov_b32_e32 v24, 0x7f800001
	s_and_saveexec_b64 s[10:11], vcc
	s_cbranch_execz .LBB426_478
; %bb.477:
	v_and_b32_e32 v24, 7, v18
	v_ffbh_u32_e32 v26, v24
	v_min_u32_e32 v29, 32, v26
	v_subrev_u32_e32 v26, 28, v29
	v_lshlrev_b64 v[26:27], v26, v[18:19]
	v_lshrrev_b32_e32 v28, 3, v20
	v_sub_u32_e32 v27, 29, v29
	v_and_b32_e32 v26, 7, v26
	v_cmp_gt_u32_e32 vcc, 8, v20
	v_cndmask_b32_e32 v20, v28, v27, vcc
	v_cndmask_b32_e32 v24, v24, v26, vcc
	v_lshlrev_b32_e32 v18, 24, v18
	v_bfrev_b32_e32 v26, 60
	v_lshlrev_b32_e32 v24, 20, v24
	v_and_b32_e32 v18, 0x80000000, v18
	v_lshl_add_u32 v20, v20, 23, v26
	v_or3_b32 v24, v18, v20, v24
.LBB426_478:
	s_or_b64 exec, exec, s[10:11]
.LBB426_479:
	s_or_b64 exec, exec, s[6:7]
.LBB426_480:
	s_or_b64 exec, exec, s[4:5]
	v_mov_b32_e32 v18, v17
	v_cmp_ne_u16_sdwa s[6:7], v17, v19 src0_sel:BYTE_0 src1_sel:DWORD
	s_and_saveexec_b64 s[4:5], s[6:7]
	s_cbranch_execz .LBB426_486
; %bb.481:
	s_movk_i32 s3, 0x80
	v_cmp_ne_u16_sdwa s[10:11], v17, s3 src0_sel:BYTE_0 src1_sel:DWORD
	v_bfrev_b32_e32 v20, 1
	s_and_saveexec_b64 s[6:7], s[10:11]
	s_cbranch_execz .LBB426_485
; %bb.482:
	s_movk_i32 s3, 0x7f
	v_and_b32_e32 v26, 0x7f, v17
	v_cmp_ne_u32_e32 vcc, s3, v26
	v_mov_b32_e32 v20, 0x7f800001
	s_and_saveexec_b64 s[10:11], vcc
	s_cbranch_execz .LBB426_484
; %bb.483:
	v_and_b32_e32 v20, 7, v17
	v_ffbh_u32_e32 v20, v20
	v_min_u32_e32 v20, 32, v20
	v_subrev_u32_e32 v28, 28, v20
	v_cmp_gt_u32_e32 vcc, 8, v26
	v_lshrrev_b32_e32 v27, 3, v26
	v_sub_u32_e32 v20, 29, v20
	v_cndmask_b32_e32 v26, 0, v28, vcc
	v_cndmask_b32_e32 v20, v27, v20, vcc
	v_lshlrev_b64 v[26:27], v26, v[18:19]
	v_lshlrev_b32_e32 v19, 20, v26
	v_lshlrev_b32_e32 v26, 24, v18
	v_bfrev_b32_e32 v27, 60
	v_and_b32_e32 v19, 0x700000, v19
	v_and_b32_e32 v26, 0x80000000, v26
	v_lshl_add_u32 v20, v20, 23, v27
	v_or3_b32 v20, v26, v20, v19
.LBB426_484:
	s_or_b64 exec, exec, s[10:11]
.LBB426_485:
	s_or_b64 exec, exec, s[6:7]
	v_mov_b32_e32 v19, v20
.LBB426_486:
	s_or_b64 exec, exec, s[4:5]
	v_lshrrev_b16_e32 v20, 8, v18
	v_cmp_ne_u16_e32 vcc, 0, v20
	v_mov_b32_e32 v26, 0
	v_mov_b32_e32 v27, 0
	s_and_saveexec_b64 s[4:5], vcc
	s_cbranch_execz .LBB426_492
; %bb.487:
	s_movk_i32 s3, 0x80
	v_cmp_ne_u16_e32 vcc, s3, v20
	v_bfrev_b32_e32 v27, 1
	s_and_saveexec_b64 s[6:7], vcc
	s_cbranch_execz .LBB426_491
; %bb.488:
	s_movk_i32 s3, 0x7f
	v_and_b32_e32 v28, 0x7f, v20
	v_cmp_ne_u32_e32 vcc, s3, v28
	v_mov_b32_e32 v27, 0x7f800001
	s_and_saveexec_b64 s[10:11], vcc
	s_cbranch_execz .LBB426_490
; %bb.489:
	v_and_b32_e32 v27, 7, v20
	v_ffbh_u32_e32 v30, v27
	v_min_u32_e32 v32, 32, v30
	v_subrev_u32_e32 v30, 28, v32
	v_lshlrev_b64 v[30:31], v30, v[20:21]
	v_lshrrev_b32_e32 v29, 3, v28
	v_sub_u32_e32 v20, 29, v32
	v_and_b32_e32 v30, 7, v30
	v_cmp_gt_u32_e32 vcc, 8, v28
	v_cndmask_b32_e32 v20, v29, v20, vcc
	v_cndmask_b32_e32 v27, v27, v30, vcc
	v_lshlrev_b32_e32 v18, 16, v18
	v_bfrev_b32_e32 v28, 60
	v_lshlrev_b32_e32 v27, 20, v27
	v_and_b32_e32 v18, 0x80000000, v18
	v_lshl_add_u32 v20, v20, 23, v28
	v_or3_b32 v27, v18, v20, v27
.LBB426_490:
	s_or_b64 exec, exec, s[10:11]
.LBB426_491:
	s_or_b64 exec, exec, s[6:7]
.LBB426_492:
	s_or_b64 exec, exec, s[4:5]
	s_movk_i32 s3, 0xff
	v_and_b32_sdwa v20, v17, s3 dst_sel:DWORD dst_unused:UNUSED_PAD src0_sel:WORD_1 src1_sel:DWORD
	v_lshrrev_b32_e32 v18, 16, v17
	v_cmp_ne_u16_e32 vcc, 0, v20
	s_and_saveexec_b64 s[4:5], vcc
	s_cbranch_execz .LBB426_498
; %bb.493:
	s_movk_i32 s3, 0x80
	v_cmp_ne_u16_e32 vcc, s3, v20
	v_bfrev_b32_e32 v26, 1
	s_and_saveexec_b64 s[6:7], vcc
	s_cbranch_execz .LBB426_497
; %bb.494:
	v_bfe_u32 v20, v17, 16, 7
	s_movk_i32 s3, 0x7f
	v_cmp_ne_u32_e32 vcc, s3, v20
	v_mov_b32_e32 v26, 0x7f800001
	s_and_saveexec_b64 s[10:11], vcc
	s_cbranch_execz .LBB426_496
; %bb.495:
	v_and_b32_e32 v26, 7, v18
	v_ffbh_u32_e32 v28, v26
	v_min_u32_e32 v31, 32, v28
	v_subrev_u32_e32 v28, 28, v31
	v_lshlrev_b64 v[28:29], v28, v[18:19]
	v_and_b32_e32 v28, 7, v28
	v_cmp_gt_u32_e32 vcc, 8, v20
	v_lshrrev_b32_e32 v30, 3, v20
	v_sub_u32_e32 v18, 29, v31
	v_cndmask_b32_e32 v20, v26, v28, vcc
	v_mov_b32_e32 v26, 24
	v_cndmask_b32_e32 v18, v30, v18, vcc
	v_lshlrev_b32_sdwa v26, v26, v17 dst_sel:DWORD dst_unused:UNUSED_PAD src0_sel:DWORD src1_sel:WORD_1
	v_bfrev_b32_e32 v28, 60
	v_lshlrev_b32_e32 v20, 20, v20
	v_and_b32_e32 v26, 0x80000000, v26
	v_lshl_add_u32 v18, v18, 23, v28
	v_or3_b32 v26, v26, v18, v20
.LBB426_496:
	s_or_b64 exec, exec, s[10:11]
.LBB426_497:
	s_or_b64 exec, exec, s[6:7]
.LBB426_498:
	s_or_b64 exec, exec, s[4:5]
	s_mov_b32 s4, -1
	s_mov_b32 s5, 0xffffff
	v_cmp_lt_u64_e32 vcc, s[4:5], v[16:17]
	v_mov_b32_e32 v20, 0
	v_mov_b32_e32 v18, 0
	s_and_saveexec_b64 s[4:5], vcc
	s_cbranch_execz .LBB426_504
; %bb.499:
	v_lshrrev_b32_e32 v16, 24, v17
	s_movk_i32 s3, 0x80
	v_cmp_ne_u32_e32 vcc, s3, v16
	v_bfrev_b32_e32 v18, 1
	s_and_saveexec_b64 s[6:7], vcc
	s_cbranch_execz .LBB426_503
; %bb.500:
	v_bfe_u32 v17, v17, 24, 7
	s_movk_i32 s3, 0x7f
	v_cmp_ne_u32_e32 vcc, s3, v17
	v_mov_b32_e32 v18, 0x7f800001
	s_and_saveexec_b64 s[10:11], vcc
	s_cbranch_execz .LBB426_502
; %bb.501:
	v_and_b32_e32 v18, 7, v16
	v_ffbh_u32_e32 v28, v18
	v_min_u32_e32 v31, 32, v28
	v_subrev_u32_e32 v28, 28, v31
	v_lshlrev_b64 v[28:29], v28, v[16:17]
	v_lshrrev_b32_e32 v30, 3, v17
	v_sub_u32_e32 v29, 29, v31
	v_and_b32_e32 v28, 7, v28
	v_cmp_gt_u32_e32 vcc, 8, v17
	v_cndmask_b32_e32 v17, v30, v29, vcc
	v_cndmask_b32_e32 v18, v18, v28, vcc
	v_lshlrev_b32_e32 v16, 24, v16
	v_bfrev_b32_e32 v28, 60
	v_lshlrev_b32_e32 v18, 20, v18
	v_and_b32_e32 v16, 0x80000000, v16
	v_lshl_add_u32 v17, v17, 23, v28
	v_or3_b32 v18, v16, v17, v18
.LBB426_502:
	s_or_b64 exec, exec, s[10:11]
.LBB426_503:
	s_or_b64 exec, exec, s[6:7]
.LBB426_504:
	s_or_b64 exec, exec, s[4:5]
	v_cvt_pkrtz_f16_f32 v16, v21, v23
	v_cvt_pkrtz_f16_f32 v17, v22, v24
	;; [unrolled: 1-line block ×4, first 2 shown]
	v_mfma_f32_4x4x4f16 a[0:3], v[14:15], v[16:17], a[0:3] cbsz:4 abid:2
	v_cmp_ne_u16_sdwa s[6:7], v10, v20 src0_sel:BYTE_0 src1_sel:DWORD
	v_mfma_f32_4x4x4f16 a[0:3], v[14:15], v[22:23], a[0:3] cbsz:4 abid:3
	s_and_saveexec_b64 s[4:5], s[6:7]
	s_cbranch_execz .LBB426_510
; %bb.505:
	s_movk_i32 s3, 0x80
	v_cmp_ne_u16_sdwa s[10:11], v10, s3 src0_sel:BYTE_0 src1_sel:DWORD
	v_bfrev_b32_e32 v20, 1
	s_and_saveexec_b64 s[6:7], s[10:11]
	s_cbranch_execz .LBB426_509
; %bb.506:
	s_movk_i32 s3, 0x7f
	v_and_b32_e32 v16, 0x7f, v10
	v_cmp_ne_u32_e32 vcc, s3, v16
	v_mov_b32_e32 v20, 0x7f800001
	s_and_saveexec_b64 s[10:11], vcc
	s_cbranch_execz .LBB426_508
; %bb.507:
	v_and_b32_e32 v17, 7, v10
	v_ffbh_u32_e32 v17, v17
	v_min_u32_e32 v17, 32, v17
	v_subrev_u32_e32 v19, 28, v17
	v_cmp_gt_u32_e32 vcc, 8, v16
	v_lshrrev_b32_e32 v18, 3, v16
	v_sub_u32_e32 v17, 29, v17
	v_cndmask_b32_e32 v16, 0, v19, vcc
	v_cndmask_b32_e32 v18, v18, v17, vcc
	v_lshlrev_b64 v[16:17], v16, v[10:11]
	v_lshlrev_b32_e32 v16, 20, v16
	v_lshlrev_b32_e32 v17, 24, v10
	v_bfrev_b32_e32 v19, 60
	v_and_b32_e32 v16, 0x700000, v16
	v_and_b32_e32 v17, 0x80000000, v17
	v_lshl_add_u32 v18, v18, 23, v19
	v_or3_b32 v20, v17, v18, v16
.LBB426_508:
	s_or_b64 exec, exec, s[10:11]
.LBB426_509:
	s_or_b64 exec, exec, s[6:7]
.LBB426_510:
	s_or_b64 exec, exec, s[4:5]
	v_lshrrev_b16_e32 v16, 8, v10
	v_cmp_ne_u16_e32 vcc, 0, v16
	v_mov_b32_e32 v19, 0
	v_mov_b32_e32 v21, 0
	s_and_saveexec_b64 s[4:5], vcc
	s_cbranch_execz .LBB426_516
; %bb.511:
	s_movk_i32 s3, 0x80
	v_cmp_ne_u16_e32 vcc, s3, v16
	v_bfrev_b32_e32 v21, 1
	s_and_saveexec_b64 s[6:7], vcc
	s_cbranch_execz .LBB426_515
; %bb.512:
	s_movk_i32 s3, 0x7f
	v_and_b32_e32 v17, 0x7f, v16
	v_cmp_ne_u32_e32 vcc, s3, v17
	v_mov_b32_e32 v21, 0x7f800001
	s_and_saveexec_b64 s[10:11], vcc
	s_cbranch_execz .LBB426_514
; %bb.513:
	v_and_b32_e32 v18, 7, v16
	v_ffbh_u32_e32 v22, v18
	v_min_u32_e32 v24, 32, v22
	v_subrev_u32_e32 v22, 28, v24
	v_lshlrev_b64 v[22:23], v22, v[16:17]
	v_lshrrev_b32_e32 v21, 3, v17
	v_sub_u32_e32 v16, 29, v24
	v_and_b32_e32 v22, 7, v22
	v_cmp_gt_u32_e32 vcc, 8, v17
	v_cndmask_b32_e32 v16, v21, v16, vcc
	v_cndmask_b32_e32 v17, v18, v22, vcc
	v_lshlrev_b32_e32 v18, 16, v10
	v_bfrev_b32_e32 v21, 60
	v_lshlrev_b32_e32 v17, 20, v17
	v_and_b32_e32 v18, 0x80000000, v18
	v_lshl_add_u32 v16, v16, 23, v21
	v_or3_b32 v21, v18, v16, v17
.LBB426_514:
	s_or_b64 exec, exec, s[10:11]
.LBB426_515:
	s_or_b64 exec, exec, s[6:7]
.LBB426_516:
	s_or_b64 exec, exec, s[4:5]
	s_movk_i32 s3, 0xff
	v_and_b32_sdwa v17, v10, s3 dst_sel:DWORD dst_unused:UNUSED_PAD src0_sel:WORD_1 src1_sel:DWORD
	v_lshrrev_b32_e32 v16, 16, v10
	v_cmp_ne_u16_e32 vcc, 0, v17
	s_and_saveexec_b64 s[4:5], vcc
	s_cbranch_execz .LBB426_522
; %bb.517:
	s_movk_i32 s3, 0x80
	v_cmp_ne_u16_e32 vcc, s3, v17
	v_bfrev_b32_e32 v19, 1
	s_and_saveexec_b64 s[6:7], vcc
	s_cbranch_execz .LBB426_521
; %bb.518:
	v_bfe_u32 v17, v10, 16, 7
	s_movk_i32 s3, 0x7f
	v_cmp_ne_u32_e32 vcc, s3, v17
	v_mov_b32_e32 v19, 0x7f800001
	s_and_saveexec_b64 s[10:11], vcc
	s_cbranch_execz .LBB426_520
; %bb.519:
	v_and_b32_e32 v22, 7, v16
	v_ffbh_u32_e32 v18, v22
	v_min_u32_e32 v24, 32, v18
	v_subrev_u32_e32 v18, 28, v24
	v_lshlrev_b64 v[18:19], v18, v[16:17]
	v_and_b32_e32 v18, 7, v18
	v_cmp_gt_u32_e32 vcc, 8, v17
	v_lshrrev_b32_e32 v23, 3, v17
	v_sub_u32_e32 v16, 29, v24
	v_cndmask_b32_e32 v17, v22, v18, vcc
	v_mov_b32_e32 v18, 24
	v_cndmask_b32_e32 v16, v23, v16, vcc
	v_lshlrev_b32_sdwa v18, v18, v10 dst_sel:DWORD dst_unused:UNUSED_PAD src0_sel:DWORD src1_sel:WORD_1
	v_bfrev_b32_e32 v19, 60
	v_lshlrev_b32_e32 v17, 20, v17
	v_and_b32_e32 v18, 0x80000000, v18
	v_lshl_add_u32 v16, v16, 23, v19
	v_or3_b32 v19, v18, v16, v17
.LBB426_520:
	s_or_b64 exec, exec, s[10:11]
.LBB426_521:
	s_or_b64 exec, exec, s[6:7]
.LBB426_522:
	s_or_b64 exec, exec, s[4:5]
	s_mov_b32 s3, 0xffffff
	v_cmp_lt_u32_e32 vcc, s3, v10
	v_mov_b32_e32 v17, 0
	v_mov_b32_e32 v22, 0
	s_and_saveexec_b64 s[4:5], vcc
	s_cbranch_execz .LBB426_528
; %bb.523:
	v_lshrrev_b32_e32 v16, 24, v10
	s_movk_i32 s3, 0x80
	v_cmp_ne_u32_e32 vcc, s3, v16
	v_bfrev_b32_e32 v22, 1
	s_and_saveexec_b64 s[6:7], vcc
	s_cbranch_execz .LBB426_527
; %bb.524:
	v_bfe_u32 v18, v10, 24, 7
	s_movk_i32 s3, 0x7f
	v_cmp_ne_u32_e32 vcc, s3, v18
	v_mov_b32_e32 v22, 0x7f800001
	s_and_saveexec_b64 s[10:11], vcc
	s_cbranch_execz .LBB426_526
; %bb.525:
	v_and_b32_e32 v24, 7, v16
	v_ffbh_u32_e32 v22, v24
	v_min_u32_e32 v27, 32, v22
	v_subrev_u32_e32 v22, 28, v27
	v_lshlrev_b64 v[22:23], v22, v[16:17]
	v_lshrrev_b32_e32 v26, 3, v18
	v_sub_u32_e32 v23, 29, v27
	v_and_b32_e32 v22, 7, v22
	v_cmp_gt_u32_e32 vcc, 8, v18
	v_cndmask_b32_e32 v18, v26, v23, vcc
	v_cndmask_b32_e32 v22, v24, v22, vcc
	v_lshlrev_b32_e32 v16, 24, v16
	v_bfrev_b32_e32 v23, 60
	v_lshlrev_b32_e32 v22, 20, v22
	v_and_b32_e32 v16, 0x80000000, v16
	v_lshl_add_u32 v18, v18, 23, v23
	v_or3_b32 v22, v16, v18, v22
.LBB426_526:
	s_or_b64 exec, exec, s[10:11]
.LBB426_527:
	s_or_b64 exec, exec, s[6:7]
.LBB426_528:
	s_or_b64 exec, exec, s[4:5]
	v_mov_b32_e32 v16, v11
	v_cmp_ne_u16_sdwa s[6:7], v11, v17 src0_sel:BYTE_0 src1_sel:DWORD
	s_and_saveexec_b64 s[4:5], s[6:7]
	s_cbranch_execz .LBB426_534
; %bb.529:
	s_movk_i32 s3, 0x80
	v_cmp_ne_u16_sdwa s[10:11], v11, s3 src0_sel:BYTE_0 src1_sel:DWORD
	v_bfrev_b32_e32 v18, 1
	s_and_saveexec_b64 s[6:7], s[10:11]
	s_cbranch_execz .LBB426_533
; %bb.530:
	s_movk_i32 s3, 0x7f
	v_and_b32_e32 v23, 0x7f, v11
	v_cmp_ne_u32_e32 vcc, s3, v23
	v_mov_b32_e32 v18, 0x7f800001
	s_and_saveexec_b64 s[10:11], vcc
	s_cbranch_execz .LBB426_532
; %bb.531:
	v_and_b32_e32 v18, 7, v11
	v_ffbh_u32_e32 v18, v18
	v_min_u32_e32 v18, 32, v18
	v_subrev_u32_e32 v26, 28, v18
	v_cmp_gt_u32_e32 vcc, 8, v23
	v_lshrrev_b32_e32 v24, 3, v23
	v_cndmask_b32_e32 v23, 0, v26, vcc
	v_sub_u32_e32 v18, 29, v18
	v_lshlrev_b64 v[26:27], v23, v[16:17]
	v_cndmask_b32_e32 v18, v24, v18, vcc
	v_lshlrev_b32_e32 v17, 20, v26
	v_lshlrev_b32_e32 v23, 24, v16
	v_bfrev_b32_e32 v24, 60
	v_and_b32_e32 v17, 0x700000, v17
	v_and_b32_e32 v23, 0x80000000, v23
	v_lshl_add_u32 v18, v18, 23, v24
	v_or3_b32 v18, v23, v18, v17
.LBB426_532:
	s_or_b64 exec, exec, s[10:11]
.LBB426_533:
	s_or_b64 exec, exec, s[6:7]
	v_mov_b32_e32 v17, v18
.LBB426_534:
	s_or_b64 exec, exec, s[4:5]
	v_lshrrev_b16_e32 v18, 8, v16
	v_cmp_ne_u16_e32 vcc, 0, v18
	v_mov_b32_e32 v23, 0
	v_mov_b32_e32 v24, 0
	s_and_saveexec_b64 s[4:5], vcc
	s_cbranch_execz .LBB426_540
; %bb.535:
	s_movk_i32 s3, 0x80
	v_cmp_ne_u16_e32 vcc, s3, v18
	v_bfrev_b32_e32 v24, 1
	s_and_saveexec_b64 s[6:7], vcc
	s_cbranch_execz .LBB426_539
; %bb.536:
	s_movk_i32 s3, 0x7f
	v_and_b32_e32 v26, 0x7f, v18
	v_cmp_ne_u32_e32 vcc, s3, v26
	v_mov_b32_e32 v24, 0x7f800001
	s_and_saveexec_b64 s[10:11], vcc
	s_cbranch_execz .LBB426_538
; %bb.537:
	v_and_b32_e32 v24, 7, v18
	v_ffbh_u32_e32 v28, v24
	v_min_u32_e32 v30, 32, v28
	v_subrev_u32_e32 v28, 28, v30
	v_lshlrev_b64 v[28:29], v28, v[18:19]
	v_lshrrev_b32_e32 v27, 3, v26
	v_sub_u32_e32 v18, 29, v30
	v_and_b32_e32 v28, 7, v28
	v_cmp_gt_u32_e32 vcc, 8, v26
	v_cndmask_b32_e32 v18, v27, v18, vcc
	v_cndmask_b32_e32 v24, v24, v28, vcc
	v_lshlrev_b32_e32 v16, 16, v16
	v_bfrev_b32_e32 v26, 60
	v_lshlrev_b32_e32 v24, 20, v24
	v_and_b32_e32 v16, 0x80000000, v16
	v_lshl_add_u32 v18, v18, 23, v26
	v_or3_b32 v24, v16, v18, v24
.LBB426_538:
	s_or_b64 exec, exec, s[10:11]
.LBB426_539:
	s_or_b64 exec, exec, s[6:7]
.LBB426_540:
	s_or_b64 exec, exec, s[4:5]
	s_movk_i32 s3, 0xff
	v_and_b32_sdwa v18, v11, s3 dst_sel:DWORD dst_unused:UNUSED_PAD src0_sel:WORD_1 src1_sel:DWORD
	v_lshrrev_b32_e32 v16, 16, v11
	v_cmp_ne_u16_e32 vcc, 0, v18
	s_and_saveexec_b64 s[4:5], vcc
	s_cbranch_execz .LBB426_546
; %bb.541:
	s_movk_i32 s3, 0x80
	v_cmp_ne_u16_e32 vcc, s3, v18
	v_bfrev_b32_e32 v23, 1
	s_and_saveexec_b64 s[6:7], vcc
	s_cbranch_execz .LBB426_545
; %bb.542:
	v_bfe_u32 v18, v11, 16, 7
	s_movk_i32 s3, 0x7f
	v_cmp_ne_u32_e32 vcc, s3, v18
	v_mov_b32_e32 v23, 0x7f800001
	s_and_saveexec_b64 s[10:11], vcc
	s_cbranch_execz .LBB426_544
; %bb.543:
	v_and_b32_e32 v23, 7, v16
	v_ffbh_u32_e32 v26, v23
	v_min_u32_e32 v29, 32, v26
	v_subrev_u32_e32 v26, 28, v29
	v_lshlrev_b64 v[26:27], v26, v[16:17]
	v_and_b32_e32 v26, 7, v26
	v_cmp_gt_u32_e32 vcc, 8, v18
	v_lshrrev_b32_e32 v28, 3, v18
	v_sub_u32_e32 v16, 29, v29
	v_cndmask_b32_e32 v18, v23, v26, vcc
	v_mov_b32_e32 v23, 24
	v_cndmask_b32_e32 v16, v28, v16, vcc
	v_lshlrev_b32_sdwa v23, v23, v11 dst_sel:DWORD dst_unused:UNUSED_PAD src0_sel:DWORD src1_sel:WORD_1
	v_bfrev_b32_e32 v26, 60
	v_lshlrev_b32_e32 v18, 20, v18
	v_and_b32_e32 v23, 0x80000000, v23
	v_lshl_add_u32 v16, v16, 23, v26
	v_or3_b32 v23, v23, v16, v18
.LBB426_544:
	s_or_b64 exec, exec, s[10:11]
.LBB426_545:
	s_or_b64 exec, exec, s[6:7]
.LBB426_546:
	s_or_b64 exec, exec, s[4:5]
	s_mov_b32 s4, -1
	s_mov_b32 s5, 0xffffff
	v_cmp_lt_u64_e32 vcc, s[4:5], v[10:11]
	v_mov_b32_e32 v18, 0
	v_mov_b32_e32 v16, 0
	s_and_saveexec_b64 s[4:5], vcc
	s_cbranch_execz .LBB426_552
; %bb.547:
	v_lshrrev_b32_e32 v10, 24, v11
	s_movk_i32 s3, 0x80
	v_cmp_ne_u32_e32 vcc, s3, v10
	v_bfrev_b32_e32 v16, 1
	s_and_saveexec_b64 s[6:7], vcc
	s_cbranch_execz .LBB426_551
; %bb.548:
	v_bfe_u32 v11, v11, 24, 7
	s_movk_i32 s3, 0x7f
	v_cmp_ne_u32_e32 vcc, s3, v11
	v_mov_b32_e32 v16, 0x7f800001
	s_and_saveexec_b64 s[10:11], vcc
	s_cbranch_execz .LBB426_550
; %bb.549:
	v_and_b32_e32 v16, 7, v10
	v_ffbh_u32_e32 v26, v16
	v_min_u32_e32 v29, 32, v26
	v_subrev_u32_e32 v26, 28, v29
	v_lshlrev_b64 v[26:27], v26, v[10:11]
	v_lshrrev_b32_e32 v28, 3, v11
	v_sub_u32_e32 v27, 29, v29
	v_and_b32_e32 v26, 7, v26
	v_cmp_gt_u32_e32 vcc, 8, v11
	v_cndmask_b32_e32 v11, v28, v27, vcc
	v_cndmask_b32_e32 v16, v16, v26, vcc
	v_lshlrev_b32_e32 v10, 24, v10
	v_bfrev_b32_e32 v26, 60
	v_lshlrev_b32_e32 v16, 20, v16
	v_and_b32_e32 v10, 0x80000000, v10
	v_lshl_add_u32 v11, v11, 23, v26
	v_or3_b32 v16, v10, v11, v16
.LBB426_550:
	s_or_b64 exec, exec, s[10:11]
.LBB426_551:
	s_or_b64 exec, exec, s[6:7]
.LBB426_552:
	s_or_b64 exec, exec, s[4:5]
	v_cvt_pkrtz_f16_f32 v10, v20, v21
	v_cvt_pkrtz_f16_f32 v11, v19, v22
	;; [unrolled: 1-line block ×4, first 2 shown]
	v_mfma_f32_4x4x4f16 a[0:3], v[14:15], v[10:11], a[0:3] cbsz:4 abid:4
	v_cmp_ne_u16_sdwa s[6:7], v12, v18 src0_sel:BYTE_0 src1_sel:DWORD
	v_mfma_f32_4x4x4f16 a[0:3], v[14:15], v[20:21], a[0:3] cbsz:4 abid:5
	s_and_saveexec_b64 s[4:5], s[6:7]
	s_cbranch_execz .LBB426_558
; %bb.553:
	s_movk_i32 s3, 0x80
	v_cmp_ne_u16_sdwa s[10:11], v12, s3 src0_sel:BYTE_0 src1_sel:DWORD
	v_bfrev_b32_e32 v18, 1
	s_and_saveexec_b64 s[6:7], s[10:11]
	s_cbranch_execz .LBB426_557
; %bb.554:
	s_movk_i32 s3, 0x7f
	v_and_b32_e32 v10, 0x7f, v12
	v_cmp_ne_u32_e32 vcc, s3, v10
	v_mov_b32_e32 v18, 0x7f800001
	s_and_saveexec_b64 s[10:11], vcc
	s_cbranch_execz .LBB426_556
; %bb.555:
	v_and_b32_e32 v11, 7, v12
	v_ffbh_u32_e32 v11, v11
	v_min_u32_e32 v11, 32, v11
	v_subrev_u32_e32 v17, 28, v11
	v_cmp_gt_u32_e32 vcc, 8, v10
	v_lshrrev_b32_e32 v16, 3, v10
	v_sub_u32_e32 v11, 29, v11
	v_cndmask_b32_e32 v10, 0, v17, vcc
	v_cndmask_b32_e32 v16, v16, v11, vcc
	v_lshlrev_b64 v[10:11], v10, v[12:13]
	v_lshlrev_b32_e32 v10, 20, v10
	v_lshlrev_b32_e32 v11, 24, v12
	v_bfrev_b32_e32 v17, 60
	v_and_b32_e32 v10, 0x700000, v10
	v_and_b32_e32 v11, 0x80000000, v11
	v_lshl_add_u32 v16, v16, 23, v17
	v_or3_b32 v18, v11, v16, v10
.LBB426_556:
	s_or_b64 exec, exec, s[10:11]
.LBB426_557:
	s_or_b64 exec, exec, s[6:7]
.LBB426_558:
	s_or_b64 exec, exec, s[4:5]
	v_lshrrev_b16_e32 v10, 8, v12
	v_cmp_ne_u16_e32 vcc, 0, v10
	v_mov_b32_e32 v17, 0
	v_mov_b32_e32 v19, 0
	s_and_saveexec_b64 s[4:5], vcc
	s_cbranch_execz .LBB426_564
; %bb.559:
	s_movk_i32 s3, 0x80
	v_cmp_ne_u16_e32 vcc, s3, v10
	v_bfrev_b32_e32 v19, 1
	s_and_saveexec_b64 s[6:7], vcc
	s_cbranch_execz .LBB426_563
; %bb.560:
	s_movk_i32 s3, 0x7f
	v_and_b32_e32 v11, 0x7f, v10
	v_cmp_ne_u32_e32 vcc, s3, v11
	v_mov_b32_e32 v19, 0x7f800001
	s_and_saveexec_b64 s[10:11], vcc
	s_cbranch_execz .LBB426_562
; %bb.561:
	v_and_b32_e32 v16, 7, v10
	v_ffbh_u32_e32 v20, v16
	v_min_u32_e32 v22, 32, v20
	v_subrev_u32_e32 v20, 28, v22
	v_lshlrev_b64 v[20:21], v20, v[10:11]
	v_lshrrev_b32_e32 v19, 3, v11
	v_sub_u32_e32 v10, 29, v22
	v_and_b32_e32 v20, 7, v20
	v_cmp_gt_u32_e32 vcc, 8, v11
	v_cndmask_b32_e32 v10, v19, v10, vcc
	v_cndmask_b32_e32 v11, v16, v20, vcc
	v_lshlrev_b32_e32 v16, 16, v12
	v_bfrev_b32_e32 v19, 60
	v_lshlrev_b32_e32 v11, 20, v11
	v_and_b32_e32 v16, 0x80000000, v16
	v_lshl_add_u32 v10, v10, 23, v19
	v_or3_b32 v19, v16, v10, v11
.LBB426_562:
	s_or_b64 exec, exec, s[10:11]
.LBB426_563:
	s_or_b64 exec, exec, s[6:7]
.LBB426_564:
	s_or_b64 exec, exec, s[4:5]
	s_movk_i32 s3, 0xff
	v_and_b32_sdwa v11, v12, s3 dst_sel:DWORD dst_unused:UNUSED_PAD src0_sel:WORD_1 src1_sel:DWORD
	v_lshrrev_b32_e32 v10, 16, v12
	v_cmp_ne_u16_e32 vcc, 0, v11
	s_and_saveexec_b64 s[4:5], vcc
	s_cbranch_execz .LBB426_570
; %bb.565:
	s_movk_i32 s3, 0x80
	v_cmp_ne_u16_e32 vcc, s3, v11
	v_bfrev_b32_e32 v17, 1
	s_and_saveexec_b64 s[6:7], vcc
	s_cbranch_execz .LBB426_569
; %bb.566:
	v_bfe_u32 v11, v12, 16, 7
	s_movk_i32 s3, 0x7f
	v_cmp_ne_u32_e32 vcc, s3, v11
	v_mov_b32_e32 v17, 0x7f800001
	s_and_saveexec_b64 s[10:11], vcc
	s_cbranch_execz .LBB426_568
; %bb.567:
	v_and_b32_e32 v20, 7, v10
	v_ffbh_u32_e32 v16, v20
	v_min_u32_e32 v22, 32, v16
	v_subrev_u32_e32 v16, 28, v22
	v_lshlrev_b64 v[16:17], v16, v[10:11]
	v_and_b32_e32 v16, 7, v16
	v_cmp_gt_u32_e32 vcc, 8, v11
	v_lshrrev_b32_e32 v21, 3, v11
	v_sub_u32_e32 v10, 29, v22
	v_cndmask_b32_e32 v11, v20, v16, vcc
	v_mov_b32_e32 v16, 24
	v_cndmask_b32_e32 v10, v21, v10, vcc
	v_lshlrev_b32_sdwa v16, v16, v12 dst_sel:DWORD dst_unused:UNUSED_PAD src0_sel:DWORD src1_sel:WORD_1
	v_bfrev_b32_e32 v17, 60
	v_lshlrev_b32_e32 v11, 20, v11
	v_and_b32_e32 v16, 0x80000000, v16
	v_lshl_add_u32 v10, v10, 23, v17
	v_or3_b32 v17, v16, v10, v11
.LBB426_568:
	s_or_b64 exec, exec, s[10:11]
.LBB426_569:
	s_or_b64 exec, exec, s[6:7]
.LBB426_570:
	s_or_b64 exec, exec, s[4:5]
	s_mov_b32 s3, 0xffffff
	v_cmp_lt_u32_e32 vcc, s3, v12
	v_mov_b32_e32 v11, 0
	v_mov_b32_e32 v20, 0
	s_and_saveexec_b64 s[4:5], vcc
	s_cbranch_execz .LBB426_576
; %bb.571:
	v_lshrrev_b32_e32 v10, 24, v12
	s_movk_i32 s3, 0x80
	v_cmp_ne_u32_e32 vcc, s3, v10
	v_bfrev_b32_e32 v20, 1
	s_and_saveexec_b64 s[6:7], vcc
	s_cbranch_execz .LBB426_575
; %bb.572:
	v_bfe_u32 v16, v12, 24, 7
	s_movk_i32 s3, 0x7f
	v_cmp_ne_u32_e32 vcc, s3, v16
	v_mov_b32_e32 v20, 0x7f800001
	s_and_saveexec_b64 s[10:11], vcc
	s_cbranch_execz .LBB426_574
; %bb.573:
	v_and_b32_e32 v22, 7, v10
	v_ffbh_u32_e32 v20, v22
	v_min_u32_e32 v24, 32, v20
	v_subrev_u32_e32 v20, 28, v24
	v_lshlrev_b64 v[20:21], v20, v[10:11]
	v_lshrrev_b32_e32 v23, 3, v16
	v_sub_u32_e32 v21, 29, v24
	v_and_b32_e32 v20, 7, v20
	v_cmp_gt_u32_e32 vcc, 8, v16
	v_cndmask_b32_e32 v16, v23, v21, vcc
	v_cndmask_b32_e32 v20, v22, v20, vcc
	v_lshlrev_b32_e32 v10, 24, v10
	v_bfrev_b32_e32 v21, 60
	v_lshlrev_b32_e32 v20, 20, v20
	v_and_b32_e32 v10, 0x80000000, v10
	v_lshl_add_u32 v16, v16, 23, v21
	v_or3_b32 v20, v10, v16, v20
.LBB426_574:
	s_or_b64 exec, exec, s[10:11]
.LBB426_575:
	s_or_b64 exec, exec, s[6:7]
.LBB426_576:
	s_or_b64 exec, exec, s[4:5]
	v_mov_b32_e32 v10, v13
	v_cmp_ne_u16_sdwa s[6:7], v13, v11 src0_sel:BYTE_0 src1_sel:DWORD
	s_and_saveexec_b64 s[4:5], s[6:7]
	s_cbranch_execz .LBB426_582
; %bb.577:
	s_movk_i32 s3, 0x80
	v_cmp_ne_u16_sdwa s[10:11], v13, s3 src0_sel:BYTE_0 src1_sel:DWORD
	v_bfrev_b32_e32 v16, 1
	s_and_saveexec_b64 s[6:7], s[10:11]
	s_cbranch_execz .LBB426_581
; %bb.578:
	s_movk_i32 s3, 0x7f
	v_and_b32_e32 v21, 0x7f, v13
	v_cmp_ne_u32_e32 vcc, s3, v21
	v_mov_b32_e32 v16, 0x7f800001
	s_and_saveexec_b64 s[10:11], vcc
	s_cbranch_execz .LBB426_580
; %bb.579:
	v_and_b32_e32 v16, 7, v13
	v_ffbh_u32_e32 v16, v16
	v_min_u32_e32 v16, 32, v16
	v_subrev_u32_e32 v23, 28, v16
	v_cmp_gt_u32_e32 vcc, 8, v21
	v_lshrrev_b32_e32 v22, 3, v21
	v_sub_u32_e32 v16, 29, v16
	v_cndmask_b32_e32 v21, 0, v23, vcc
	v_cndmask_b32_e32 v16, v22, v16, vcc
	v_lshlrev_b64 v[22:23], v21, v[10:11]
	v_lshlrev_b32_e32 v11, 20, v22
	v_lshlrev_b32_e32 v21, 24, v10
	v_bfrev_b32_e32 v22, 60
	v_and_b32_e32 v11, 0x700000, v11
	v_and_b32_e32 v21, 0x80000000, v21
	v_lshl_add_u32 v16, v16, 23, v22
	v_or3_b32 v16, v21, v16, v11
.LBB426_580:
	s_or_b64 exec, exec, s[10:11]
.LBB426_581:
	s_or_b64 exec, exec, s[6:7]
	v_mov_b32_e32 v11, v16
.LBB426_582:
	s_or_b64 exec, exec, s[4:5]
	v_lshrrev_b16_e32 v16, 8, v10
	v_cmp_ne_u16_e32 vcc, 0, v16
	v_mov_b32_e32 v21, 0
	v_mov_b32_e32 v22, 0
	s_and_saveexec_b64 s[4:5], vcc
	s_cbranch_execz .LBB426_588
; %bb.583:
	s_movk_i32 s3, 0x80
	v_cmp_ne_u16_e32 vcc, s3, v16
	v_bfrev_b32_e32 v22, 1
	s_and_saveexec_b64 s[6:7], vcc
	s_cbranch_execz .LBB426_587
; %bb.584:
	s_movk_i32 s3, 0x7f
	v_and_b32_e32 v23, 0x7f, v16
	v_cmp_ne_u32_e32 vcc, s3, v23
	v_mov_b32_e32 v22, 0x7f800001
	s_and_saveexec_b64 s[10:11], vcc
	s_cbranch_execz .LBB426_586
; %bb.585:
	v_and_b32_e32 v22, 7, v16
	v_ffbh_u32_e32 v26, v22
	v_min_u32_e32 v28, 32, v26
	v_subrev_u32_e32 v26, 28, v28
	v_lshlrev_b64 v[26:27], v26, v[16:17]
	v_lshrrev_b32_e32 v24, 3, v23
	v_sub_u32_e32 v16, 29, v28
	v_and_b32_e32 v26, 7, v26
	v_cmp_gt_u32_e32 vcc, 8, v23
	v_cndmask_b32_e32 v16, v24, v16, vcc
	v_cndmask_b32_e32 v22, v22, v26, vcc
	v_lshlrev_b32_e32 v10, 16, v10
	v_bfrev_b32_e32 v23, 60
	v_lshlrev_b32_e32 v22, 20, v22
	v_and_b32_e32 v10, 0x80000000, v10
	v_lshl_add_u32 v16, v16, 23, v23
	v_or3_b32 v22, v10, v16, v22
.LBB426_586:
	s_or_b64 exec, exec, s[10:11]
.LBB426_587:
	s_or_b64 exec, exec, s[6:7]
.LBB426_588:
	s_or_b64 exec, exec, s[4:5]
	s_movk_i32 s3, 0xff
	v_and_b32_sdwa v16, v13, s3 dst_sel:DWORD dst_unused:UNUSED_PAD src0_sel:WORD_1 src1_sel:DWORD
	v_lshrrev_b32_e32 v10, 16, v13
	v_cmp_ne_u16_e32 vcc, 0, v16
	s_and_saveexec_b64 s[4:5], vcc
	s_cbranch_execz .LBB426_594
; %bb.589:
	s_movk_i32 s3, 0x80
	v_cmp_ne_u16_e32 vcc, s3, v16
	v_bfrev_b32_e32 v21, 1
	s_and_saveexec_b64 s[6:7], vcc
	s_cbranch_execz .LBB426_593
; %bb.590:
	v_bfe_u32 v16, v13, 16, 7
	s_movk_i32 s3, 0x7f
	v_cmp_ne_u32_e32 vcc, s3, v16
	v_mov_b32_e32 v21, 0x7f800001
	s_and_saveexec_b64 s[10:11], vcc
	s_cbranch_execz .LBB426_592
; %bb.591:
	v_and_b32_e32 v21, 7, v10
	v_ffbh_u32_e32 v24, v21
	v_min_u32_e32 v24, 32, v24
	v_subrev_u32_e32 v26, 28, v24
	v_lshlrev_b64 v[26:27], v26, v[10:11]
	v_sub_u32_e32 v10, 29, v24
	v_and_b32_e32 v24, 7, v26
	v_cmp_gt_u32_e32 vcc, 8, v16
	v_lshrrev_b32_e32 v23, 3, v16
	v_cndmask_b32_e32 v16, v21, v24, vcc
	v_mov_b32_e32 v21, 24
	v_cndmask_b32_e32 v10, v23, v10, vcc
	v_lshlrev_b32_sdwa v21, v21, v13 dst_sel:DWORD dst_unused:UNUSED_PAD src0_sel:DWORD src1_sel:WORD_1
	v_bfrev_b32_e32 v23, 60
	v_lshlrev_b32_e32 v16, 20, v16
	v_and_b32_e32 v21, 0x80000000, v21
	v_lshl_add_u32 v10, v10, 23, v23
	v_or3_b32 v21, v21, v10, v16
.LBB426_592:
	s_or_b64 exec, exec, s[10:11]
.LBB426_593:
	s_or_b64 exec, exec, s[6:7]
.LBB426_594:
	s_or_b64 exec, exec, s[4:5]
	s_mov_b32 s4, -1
	s_mov_b32 s5, 0xffffff
	v_cmp_lt_u64_e32 vcc, s[4:5], v[12:13]
	v_mov_b32_e32 v16, 0
	v_mov_b32_e32 v12, 0
	s_and_saveexec_b64 s[4:5], vcc
	s_cbranch_execz .LBB426_600
; %bb.595:
	v_lshrrev_b32_e32 v10, 24, v13
	s_movk_i32 s3, 0x80
	v_cmp_ne_u32_e32 vcc, s3, v10
	v_bfrev_b32_e32 v12, 1
	s_and_saveexec_b64 s[6:7], vcc
	s_cbranch_execz .LBB426_599
; %bb.596:
	v_bfe_u32 v13, v13, 24, 7
	s_movk_i32 s3, 0x7f
	v_cmp_ne_u32_e32 vcc, s3, v13
	v_mov_b32_e32 v12, 0x7f800001
	s_and_saveexec_b64 s[10:11], vcc
	s_cbranch_execz .LBB426_598
; %bb.597:
	v_and_b32_e32 v12, 7, v10
	v_ffbh_u32_e32 v24, v12
	v_min_u32_e32 v24, 32, v24
	v_subrev_u32_e32 v26, 28, v24
	v_lshlrev_b64 v[26:27], v26, v[10:11]
	v_lshrrev_b32_e32 v23, 3, v13
	v_sub_u32_e32 v24, 29, v24
	v_and_b32_e32 v26, 7, v26
	v_cmp_gt_u32_e32 vcc, 8, v13
	v_cndmask_b32_e32 v13, v23, v24, vcc
	v_cndmask_b32_e32 v12, v12, v26, vcc
	v_lshlrev_b32_e32 v10, 24, v10
	v_bfrev_b32_e32 v23, 60
	v_lshlrev_b32_e32 v12, 20, v12
	v_and_b32_e32 v10, 0x80000000, v10
	v_lshl_add_u32 v13, v13, 23, v23
	v_or3_b32 v12, v10, v13, v12
.LBB426_598:
	s_or_b64 exec, exec, s[10:11]
.LBB426_599:
	s_or_b64 exec, exec, s[6:7]
.LBB426_600:
	s_or_b64 exec, exec, s[4:5]
	v_cvt_pkrtz_f16_f32 v18, v18, v19
	v_cvt_pkrtz_f16_f32 v19, v17, v20
	;; [unrolled: 1-line block ×4, first 2 shown]
	v_mfma_f32_4x4x4f16 a[0:3], v[14:15], v[18:19], a[0:3] cbsz:4 abid:6
	s_waitcnt vmcnt(0)
	v_cmp_ne_u16_sdwa s[6:7], v6, v16 src0_sel:BYTE_0 src1_sel:DWORD
	v_mfma_f32_4x4x4f16 a[0:3], v[14:15], v[10:11], a[0:3] cbsz:4 abid:7
	s_and_saveexec_b64 s[4:5], s[6:7]
	s_cbranch_execz .LBB426_606
; %bb.601:
	s_movk_i32 s3, 0x80
	v_cmp_ne_u16_sdwa s[10:11], v6, s3 src0_sel:BYTE_0 src1_sel:DWORD
	v_bfrev_b32_e32 v16, 1
	s_and_saveexec_b64 s[6:7], s[10:11]
	s_cbranch_execz .LBB426_605
; %bb.602:
	s_movk_i32 s3, 0x7f
	v_and_b32_e32 v10, 0x7f, v6
	v_cmp_ne_u32_e32 vcc, s3, v10
	v_mov_b32_e32 v16, 0x7f800001
	s_and_saveexec_b64 s[10:11], vcc
	s_cbranch_execz .LBB426_604
; %bb.603:
	v_and_b32_e32 v11, 7, v6
	v_ffbh_u32_e32 v11, v11
	v_min_u32_e32 v11, 32, v11
	v_subrev_u32_e32 v13, 28, v11
	v_cmp_gt_u32_e32 vcc, 8, v10
	v_lshrrev_b32_e32 v12, 3, v10
	v_sub_u32_e32 v11, 29, v11
	v_cndmask_b32_e32 v10, 0, v13, vcc
	v_cndmask_b32_e32 v12, v12, v11, vcc
	v_lshlrev_b64 v[10:11], v10, v[6:7]
	v_lshlrev_b32_e32 v10, 20, v10
	v_lshlrev_b32_e32 v11, 24, v6
	v_bfrev_b32_e32 v13, 60
	v_and_b32_e32 v10, 0x700000, v10
	v_and_b32_e32 v11, 0x80000000, v11
	v_lshl_add_u32 v12, v12, 23, v13
	v_or3_b32 v16, v11, v12, v10
.LBB426_604:
	s_or_b64 exec, exec, s[10:11]
.LBB426_605:
	s_or_b64 exec, exec, s[6:7]
.LBB426_606:
	s_or_b64 exec, exec, s[4:5]
	v_lshrrev_b16_e32 v10, 8, v6
	v_cmp_ne_u16_e32 vcc, 0, v10
	v_mov_b32_e32 v13, 0
	v_mov_b32_e32 v17, 0
	s_and_saveexec_b64 s[4:5], vcc
	s_cbranch_execz .LBB426_612
; %bb.607:
	s_movk_i32 s3, 0x80
	v_cmp_ne_u16_e32 vcc, s3, v10
	v_bfrev_b32_e32 v17, 1
	s_and_saveexec_b64 s[6:7], vcc
	s_cbranch_execz .LBB426_611
; %bb.608:
	s_movk_i32 s3, 0x7f
	v_and_b32_e32 v11, 0x7f, v10
	v_cmp_ne_u32_e32 vcc, s3, v11
	v_mov_b32_e32 v17, 0x7f800001
	s_and_saveexec_b64 s[10:11], vcc
	s_cbranch_execz .LBB426_610
; %bb.609:
	v_and_b32_e32 v12, 7, v10
	v_ffbh_u32_e32 v18, v12
	v_min_u32_e32 v20, 32, v18
	v_subrev_u32_e32 v18, 28, v20
	v_lshlrev_b64 v[18:19], v18, v[10:11]
	v_lshrrev_b32_e32 v17, 3, v11
	v_sub_u32_e32 v10, 29, v20
	v_and_b32_e32 v18, 7, v18
	v_cmp_gt_u32_e32 vcc, 8, v11
	v_cndmask_b32_e32 v10, v17, v10, vcc
	v_cndmask_b32_e32 v11, v12, v18, vcc
	v_lshlrev_b32_e32 v12, 16, v6
	v_bfrev_b32_e32 v17, 60
	v_lshlrev_b32_e32 v11, 20, v11
	v_and_b32_e32 v12, 0x80000000, v12
	v_lshl_add_u32 v10, v10, 23, v17
	v_or3_b32 v17, v12, v10, v11
.LBB426_610:
	s_or_b64 exec, exec, s[10:11]
.LBB426_611:
	s_or_b64 exec, exec, s[6:7]
.LBB426_612:
	s_or_b64 exec, exec, s[4:5]
	s_movk_i32 s3, 0xff
	v_and_b32_sdwa v11, v6, s3 dst_sel:DWORD dst_unused:UNUSED_PAD src0_sel:WORD_1 src1_sel:DWORD
	v_lshrrev_b32_e32 v10, 16, v6
	v_cmp_ne_u16_e32 vcc, 0, v11
	s_and_saveexec_b64 s[4:5], vcc
	s_cbranch_execz .LBB426_618
; %bb.613:
	s_movk_i32 s3, 0x80
	v_cmp_ne_u16_e32 vcc, s3, v11
	v_bfrev_b32_e32 v13, 1
	s_and_saveexec_b64 s[6:7], vcc
	s_cbranch_execz .LBB426_617
; %bb.614:
	v_bfe_u32 v11, v6, 16, 7
	s_movk_i32 s3, 0x7f
	v_cmp_ne_u32_e32 vcc, s3, v11
	v_mov_b32_e32 v13, 0x7f800001
	s_and_saveexec_b64 s[10:11], vcc
	s_cbranch_execz .LBB426_616
; %bb.615:
	v_and_b32_e32 v18, 7, v10
	v_ffbh_u32_e32 v12, v18
	v_min_u32_e32 v20, 32, v12
	v_subrev_u32_e32 v12, 28, v20
	v_lshlrev_b64 v[12:13], v12, v[10:11]
	v_and_b32_e32 v12, 7, v12
	v_cmp_gt_u32_e32 vcc, 8, v11
	v_lshrrev_b32_e32 v19, 3, v11
	v_sub_u32_e32 v10, 29, v20
	v_cndmask_b32_e32 v11, v18, v12, vcc
	v_mov_b32_e32 v12, 24
	v_cndmask_b32_e32 v10, v19, v10, vcc
	v_lshlrev_b32_sdwa v12, v12, v6 dst_sel:DWORD dst_unused:UNUSED_PAD src0_sel:DWORD src1_sel:WORD_1
	v_bfrev_b32_e32 v13, 60
	v_lshlrev_b32_e32 v11, 20, v11
	v_and_b32_e32 v12, 0x80000000, v12
	v_lshl_add_u32 v10, v10, 23, v13
	v_or3_b32 v13, v12, v10, v11
.LBB426_616:
	s_or_b64 exec, exec, s[10:11]
.LBB426_617:
	s_or_b64 exec, exec, s[6:7]
.LBB426_618:
	s_or_b64 exec, exec, s[4:5]
	s_mov_b32 s3, 0xffffff
	v_cmp_lt_u32_e32 vcc, s3, v6
	v_mov_b32_e32 v11, 0
	v_mov_b32_e32 v18, 0
	s_and_saveexec_b64 s[4:5], vcc
	s_cbranch_execz .LBB426_624
; %bb.619:
	v_lshrrev_b32_e32 v10, 24, v6
	s_movk_i32 s3, 0x80
	v_cmp_ne_u32_e32 vcc, s3, v10
	v_bfrev_b32_e32 v18, 1
	s_and_saveexec_b64 s[6:7], vcc
	s_cbranch_execz .LBB426_623
; %bb.620:
	v_bfe_u32 v12, v6, 24, 7
	s_movk_i32 s3, 0x7f
	v_cmp_ne_u32_e32 vcc, s3, v12
	v_mov_b32_e32 v18, 0x7f800001
	s_and_saveexec_b64 s[10:11], vcc
	s_cbranch_execz .LBB426_622
; %bb.621:
	v_and_b32_e32 v20, 7, v10
	v_ffbh_u32_e32 v18, v20
	v_min_u32_e32 v22, 32, v18
	v_subrev_u32_e32 v18, 28, v22
	v_lshlrev_b64 v[18:19], v18, v[10:11]
	v_lshrrev_b32_e32 v21, 3, v12
	v_sub_u32_e32 v19, 29, v22
	v_and_b32_e32 v18, 7, v18
	v_cmp_gt_u32_e32 vcc, 8, v12
	v_cndmask_b32_e32 v12, v21, v19, vcc
	v_cndmask_b32_e32 v18, v20, v18, vcc
	v_lshlrev_b32_e32 v10, 24, v10
	v_bfrev_b32_e32 v19, 60
	v_lshlrev_b32_e32 v18, 20, v18
	v_and_b32_e32 v10, 0x80000000, v10
	v_lshl_add_u32 v12, v12, 23, v19
	v_or3_b32 v18, v10, v12, v18
.LBB426_622:
	s_or_b64 exec, exec, s[10:11]
.LBB426_623:
	s_or_b64 exec, exec, s[6:7]
.LBB426_624:
	s_or_b64 exec, exec, s[4:5]
	v_mov_b32_e32 v10, v7
	v_cmp_ne_u16_sdwa s[6:7], v7, v11 src0_sel:BYTE_0 src1_sel:DWORD
	s_and_saveexec_b64 s[4:5], s[6:7]
	s_cbranch_execz .LBB426_630
; %bb.625:
	s_movk_i32 s3, 0x80
	v_cmp_ne_u16_sdwa s[10:11], v7, s3 src0_sel:BYTE_0 src1_sel:DWORD
	v_bfrev_b32_e32 v12, 1
	s_and_saveexec_b64 s[6:7], s[10:11]
	s_cbranch_execz .LBB426_629
; %bb.626:
	s_movk_i32 s3, 0x7f
	v_and_b32_e32 v19, 0x7f, v7
	v_cmp_ne_u32_e32 vcc, s3, v19
	v_mov_b32_e32 v12, 0x7f800001
	s_and_saveexec_b64 s[10:11], vcc
	s_cbranch_execz .LBB426_628
; %bb.627:
	v_and_b32_e32 v12, 7, v7
	v_ffbh_u32_e32 v12, v12
	v_min_u32_e32 v12, 32, v12
	v_subrev_u32_e32 v21, 28, v12
	v_cmp_gt_u32_e32 vcc, 8, v19
	v_lshrrev_b32_e32 v20, 3, v19
	v_sub_u32_e32 v12, 29, v12
	v_cndmask_b32_e32 v19, 0, v21, vcc
	v_cndmask_b32_e32 v12, v20, v12, vcc
	v_lshlrev_b64 v[20:21], v19, v[10:11]
	v_lshlrev_b32_e32 v11, 20, v20
	v_lshlrev_b32_e32 v19, 24, v10
	v_bfrev_b32_e32 v20, 60
	v_and_b32_e32 v11, 0x700000, v11
	v_and_b32_e32 v19, 0x80000000, v19
	v_lshl_add_u32 v12, v12, 23, v20
	v_or3_b32 v12, v19, v12, v11
.LBB426_628:
	s_or_b64 exec, exec, s[10:11]
.LBB426_629:
	s_or_b64 exec, exec, s[6:7]
	v_mov_b32_e32 v11, v12
.LBB426_630:
	s_or_b64 exec, exec, s[4:5]
	v_lshrrev_b16_e32 v12, 8, v10
	v_cmp_ne_u16_e32 vcc, 0, v12
	v_mov_b32_e32 v19, 0
	v_mov_b32_e32 v20, 0
	s_and_saveexec_b64 s[4:5], vcc
	s_cbranch_execz .LBB426_636
; %bb.631:
	s_movk_i32 s3, 0x80
	v_cmp_ne_u16_e32 vcc, s3, v12
	v_bfrev_b32_e32 v20, 1
	s_and_saveexec_b64 s[6:7], vcc
	s_cbranch_execz .LBB426_635
; %bb.632:
	s_movk_i32 s3, 0x7f
	v_and_b32_e32 v21, 0x7f, v12
	v_cmp_ne_u32_e32 vcc, s3, v21
	v_mov_b32_e32 v20, 0x7f800001
	s_and_saveexec_b64 s[10:11], vcc
	s_cbranch_execz .LBB426_634
; %bb.633:
	v_and_b32_e32 v20, 7, v12
	v_ffbh_u32_e32 v22, v20
	v_min_u32_e32 v26, 32, v22
	v_subrev_u32_e32 v22, 28, v26
	v_lshlrev_b64 v[22:23], v22, v[12:13]
	v_lshrrev_b32_e32 v24, 3, v21
	v_sub_u32_e32 v12, 29, v26
	v_and_b32_e32 v22, 7, v22
	v_cmp_gt_u32_e32 vcc, 8, v21
	v_cndmask_b32_e32 v12, v24, v12, vcc
	v_cndmask_b32_e32 v20, v20, v22, vcc
	v_lshlrev_b32_e32 v10, 16, v10
	v_bfrev_b32_e32 v21, 60
	v_lshlrev_b32_e32 v20, 20, v20
	v_and_b32_e32 v10, 0x80000000, v10
	v_lshl_add_u32 v12, v12, 23, v21
	v_or3_b32 v20, v10, v12, v20
.LBB426_634:
	s_or_b64 exec, exec, s[10:11]
.LBB426_635:
	s_or_b64 exec, exec, s[6:7]
.LBB426_636:
	s_or_b64 exec, exec, s[4:5]
	s_movk_i32 s3, 0xff
	v_and_b32_sdwa v12, v7, s3 dst_sel:DWORD dst_unused:UNUSED_PAD src0_sel:WORD_1 src1_sel:DWORD
	v_lshrrev_b32_e32 v10, 16, v7
	v_cmp_ne_u16_e32 vcc, 0, v12
	s_and_saveexec_b64 s[4:5], vcc
	s_cbranch_execz .LBB426_642
; %bb.637:
	s_movk_i32 s3, 0x80
	v_cmp_ne_u16_e32 vcc, s3, v12
	v_bfrev_b32_e32 v19, 1
	s_and_saveexec_b64 s[6:7], vcc
	s_cbranch_execz .LBB426_641
; %bb.638:
	v_bfe_u32 v12, v7, 16, 7
	s_movk_i32 s3, 0x7f
	v_cmp_ne_u32_e32 vcc, s3, v12
	v_mov_b32_e32 v19, 0x7f800001
	s_and_saveexec_b64 s[10:11], vcc
	s_cbranch_execz .LBB426_640
; %bb.639:
	v_and_b32_e32 v19, 7, v10
	v_ffbh_u32_e32 v22, v19
	v_min_u32_e32 v24, 32, v22
	v_subrev_u32_e32 v22, 28, v24
	v_lshlrev_b64 v[22:23], v22, v[10:11]
	v_and_b32_e32 v22, 7, v22
	v_cmp_gt_u32_e32 vcc, 8, v12
	v_lshrrev_b32_e32 v21, 3, v12
	v_sub_u32_e32 v10, 29, v24
	v_cndmask_b32_e32 v12, v19, v22, vcc
	v_mov_b32_e32 v19, 24
	v_cndmask_b32_e32 v10, v21, v10, vcc
	v_lshlrev_b32_sdwa v19, v19, v7 dst_sel:DWORD dst_unused:UNUSED_PAD src0_sel:DWORD src1_sel:WORD_1
	v_bfrev_b32_e32 v21, 60
	v_lshlrev_b32_e32 v12, 20, v12
	v_and_b32_e32 v19, 0x80000000, v19
	v_lshl_add_u32 v10, v10, 23, v21
	v_or3_b32 v19, v19, v10, v12
.LBB426_640:
	s_or_b64 exec, exec, s[10:11]
.LBB426_641:
	s_or_b64 exec, exec, s[6:7]
.LBB426_642:
	s_or_b64 exec, exec, s[4:5]
	s_mov_b32 s4, -1
	s_mov_b32 s5, 0xffffff
	v_cmp_lt_u64_e32 vcc, s[4:5], v[6:7]
	v_mov_b32_e32 v12, 0
	v_mov_b32_e32 v10, 0
	s_and_saveexec_b64 s[4:5], vcc
	s_cbranch_execz .LBB426_648
; %bb.643:
	v_lshrrev_b32_e32 v6, 24, v7
	s_movk_i32 s3, 0x80
	v_cmp_ne_u32_e32 vcc, s3, v6
	v_bfrev_b32_e32 v10, 1
	s_and_saveexec_b64 s[6:7], vcc
	s_cbranch_execz .LBB426_647
; %bb.644:
	v_bfe_u32 v7, v7, 24, 7
	s_movk_i32 s3, 0x7f
	v_cmp_ne_u32_e32 vcc, s3, v7
	v_mov_b32_e32 v10, 0x7f800001
	s_and_saveexec_b64 s[10:11], vcc
	s_cbranch_execz .LBB426_646
; %bb.645:
	v_and_b32_e32 v10, 7, v6
	v_ffbh_u32_e32 v22, v10
	v_min_u32_e32 v24, 32, v22
	v_subrev_u32_e32 v22, 28, v24
	v_lshlrev_b64 v[22:23], v22, v[6:7]
	v_lshrrev_b32_e32 v21, 3, v7
	v_sub_u32_e32 v23, 29, v24
	v_and_b32_e32 v22, 7, v22
	v_cmp_gt_u32_e32 vcc, 8, v7
	v_cndmask_b32_e32 v7, v21, v23, vcc
	v_cndmask_b32_e32 v10, v10, v22, vcc
	v_lshlrev_b32_e32 v6, 24, v6
	v_bfrev_b32_e32 v21, 60
	v_lshlrev_b32_e32 v10, 20, v10
	v_and_b32_e32 v6, 0x80000000, v6
	v_lshl_add_u32 v7, v7, 23, v21
	v_or3_b32 v10, v6, v7, v10
.LBB426_646:
	s_or_b64 exec, exec, s[10:11]
.LBB426_647:
	s_or_b64 exec, exec, s[6:7]
.LBB426_648:
	s_or_b64 exec, exec, s[4:5]
	v_cvt_pkrtz_f16_f32 v6, v16, v17
	v_cvt_pkrtz_f16_f32 v7, v13, v18
	;; [unrolled: 1-line block ×4, first 2 shown]
	v_mfma_f32_4x4x4f16 a[0:3], v[14:15], v[6:7], a[0:3] cbsz:4 abid:8
	v_cmp_ne_u16_sdwa s[6:7], v8, v12 src0_sel:BYTE_0 src1_sel:DWORD
	v_mfma_f32_4x4x4f16 a[0:3], v[14:15], v[16:17], a[0:3] cbsz:4 abid:9
	s_and_saveexec_b64 s[4:5], s[6:7]
	s_cbranch_execz .LBB426_654
; %bb.649:
	s_movk_i32 s3, 0x80
	v_cmp_ne_u16_sdwa s[10:11], v8, s3 src0_sel:BYTE_0 src1_sel:DWORD
	v_bfrev_b32_e32 v12, 1
	s_and_saveexec_b64 s[6:7], s[10:11]
	s_cbranch_execz .LBB426_653
; %bb.650:
	s_movk_i32 s3, 0x7f
	v_and_b32_e32 v6, 0x7f, v8
	v_cmp_ne_u32_e32 vcc, s3, v6
	v_mov_b32_e32 v12, 0x7f800001
	s_and_saveexec_b64 s[10:11], vcc
	s_cbranch_execz .LBB426_652
; %bb.651:
	v_and_b32_e32 v7, 7, v8
	v_ffbh_u32_e32 v7, v7
	v_min_u32_e32 v7, 32, v7
	v_subrev_u32_e32 v11, 28, v7
	v_cmp_gt_u32_e32 vcc, 8, v6
	v_lshrrev_b32_e32 v10, 3, v6
	v_sub_u32_e32 v7, 29, v7
	v_cndmask_b32_e32 v6, 0, v11, vcc
	v_cndmask_b32_e32 v10, v10, v7, vcc
	v_lshlrev_b64 v[6:7], v6, v[8:9]
	v_lshlrev_b32_e32 v6, 20, v6
	v_lshlrev_b32_e32 v7, 24, v8
	v_bfrev_b32_e32 v11, 60
	v_and_b32_e32 v6, 0x700000, v6
	v_and_b32_e32 v7, 0x80000000, v7
	v_lshl_add_u32 v10, v10, 23, v11
	v_or3_b32 v12, v7, v10, v6
.LBB426_652:
	s_or_b64 exec, exec, s[10:11]
.LBB426_653:
	s_or_b64 exec, exec, s[6:7]
.LBB426_654:
	s_or_b64 exec, exec, s[4:5]
	v_lshrrev_b16_e32 v6, 8, v8
	v_cmp_ne_u16_e32 vcc, 0, v6
	v_mov_b32_e32 v11, 0
	v_mov_b32_e32 v13, 0
	s_and_saveexec_b64 s[4:5], vcc
	s_cbranch_execz .LBB426_660
; %bb.655:
	s_movk_i32 s3, 0x80
	v_cmp_ne_u16_e32 vcc, s3, v6
	v_bfrev_b32_e32 v13, 1
	s_and_saveexec_b64 s[6:7], vcc
	s_cbranch_execz .LBB426_659
; %bb.656:
	s_movk_i32 s3, 0x7f
	v_and_b32_e32 v7, 0x7f, v6
	v_cmp_ne_u32_e32 vcc, s3, v7
	v_mov_b32_e32 v13, 0x7f800001
	s_and_saveexec_b64 s[10:11], vcc
	s_cbranch_execz .LBB426_658
; %bb.657:
	v_and_b32_e32 v10, 7, v6
	v_ffbh_u32_e32 v16, v10
	v_min_u32_e32 v18, 32, v16
	v_subrev_u32_e32 v16, 28, v18
	v_lshlrev_b64 v[16:17], v16, v[6:7]
	v_lshrrev_b32_e32 v13, 3, v7
	v_sub_u32_e32 v6, 29, v18
	v_and_b32_e32 v16, 7, v16
	v_cmp_gt_u32_e32 vcc, 8, v7
	v_cndmask_b32_e32 v6, v13, v6, vcc
	v_cndmask_b32_e32 v7, v10, v16, vcc
	v_lshlrev_b32_e32 v10, 16, v8
	v_bfrev_b32_e32 v13, 60
	v_lshlrev_b32_e32 v7, 20, v7
	v_and_b32_e32 v10, 0x80000000, v10
	v_lshl_add_u32 v6, v6, 23, v13
	v_or3_b32 v13, v10, v6, v7
.LBB426_658:
	s_or_b64 exec, exec, s[10:11]
.LBB426_659:
	s_or_b64 exec, exec, s[6:7]
.LBB426_660:
	s_or_b64 exec, exec, s[4:5]
	s_movk_i32 s3, 0xff
	v_and_b32_sdwa v7, v8, s3 dst_sel:DWORD dst_unused:UNUSED_PAD src0_sel:WORD_1 src1_sel:DWORD
	v_lshrrev_b32_e32 v6, 16, v8
	v_cmp_ne_u16_e32 vcc, 0, v7
	s_and_saveexec_b64 s[4:5], vcc
	s_cbranch_execz .LBB426_666
; %bb.661:
	s_movk_i32 s3, 0x80
	v_cmp_ne_u16_e32 vcc, s3, v7
	v_bfrev_b32_e32 v11, 1
	s_and_saveexec_b64 s[6:7], vcc
	s_cbranch_execz .LBB426_665
; %bb.662:
	v_bfe_u32 v7, v8, 16, 7
	s_movk_i32 s3, 0x7f
	v_cmp_ne_u32_e32 vcc, s3, v7
	v_mov_b32_e32 v11, 0x7f800001
	s_and_saveexec_b64 s[10:11], vcc
	s_cbranch_execz .LBB426_664
; %bb.663:
	v_and_b32_e32 v16, 7, v6
	v_ffbh_u32_e32 v10, v16
	v_min_u32_e32 v18, 32, v10
	v_subrev_u32_e32 v10, 28, v18
	v_lshlrev_b64 v[10:11], v10, v[6:7]
	v_and_b32_e32 v10, 7, v10
	v_cmp_gt_u32_e32 vcc, 8, v7
	v_lshrrev_b32_e32 v17, 3, v7
	v_sub_u32_e32 v6, 29, v18
	v_cndmask_b32_e32 v7, v16, v10, vcc
	v_mov_b32_e32 v10, 24
	v_cndmask_b32_e32 v6, v17, v6, vcc
	v_lshlrev_b32_sdwa v10, v10, v8 dst_sel:DWORD dst_unused:UNUSED_PAD src0_sel:DWORD src1_sel:WORD_1
	v_bfrev_b32_e32 v11, 60
	v_lshlrev_b32_e32 v7, 20, v7
	v_and_b32_e32 v10, 0x80000000, v10
	v_lshl_add_u32 v6, v6, 23, v11
	v_or3_b32 v11, v10, v6, v7
.LBB426_664:
	s_or_b64 exec, exec, s[10:11]
.LBB426_665:
	s_or_b64 exec, exec, s[6:7]
.LBB426_666:
	s_or_b64 exec, exec, s[4:5]
	s_mov_b32 s3, 0xffffff
	v_cmp_lt_u32_e32 vcc, s3, v8
	v_mov_b32_e32 v7, 0
	v_mov_b32_e32 v16, 0
	s_and_saveexec_b64 s[4:5], vcc
	s_cbranch_execz .LBB426_672
; %bb.667:
	v_lshrrev_b32_e32 v6, 24, v8
	s_movk_i32 s3, 0x80
	v_cmp_ne_u32_e32 vcc, s3, v6
	v_bfrev_b32_e32 v16, 1
	s_and_saveexec_b64 s[6:7], vcc
	s_cbranch_execz .LBB426_671
; %bb.668:
	v_bfe_u32 v10, v8, 24, 7
	s_movk_i32 s3, 0x7f
	v_cmp_ne_u32_e32 vcc, s3, v10
	v_mov_b32_e32 v16, 0x7f800001
	s_and_saveexec_b64 s[10:11], vcc
	s_cbranch_execz .LBB426_670
; %bb.669:
	v_and_b32_e32 v18, 7, v6
	v_ffbh_u32_e32 v16, v18
	v_min_u32_e32 v20, 32, v16
	v_subrev_u32_e32 v16, 28, v20
	v_lshlrev_b64 v[16:17], v16, v[6:7]
	v_lshrrev_b32_e32 v19, 3, v10
	v_sub_u32_e32 v17, 29, v20
	v_and_b32_e32 v16, 7, v16
	v_cmp_gt_u32_e32 vcc, 8, v10
	v_cndmask_b32_e32 v10, v19, v17, vcc
	v_cndmask_b32_e32 v16, v18, v16, vcc
	v_lshlrev_b32_e32 v6, 24, v6
	v_bfrev_b32_e32 v17, 60
	v_lshlrev_b32_e32 v16, 20, v16
	v_and_b32_e32 v6, 0x80000000, v6
	v_lshl_add_u32 v10, v10, 23, v17
	v_or3_b32 v16, v6, v10, v16
.LBB426_670:
	s_or_b64 exec, exec, s[10:11]
.LBB426_671:
	s_or_b64 exec, exec, s[6:7]
.LBB426_672:
	s_or_b64 exec, exec, s[4:5]
	v_mov_b32_e32 v6, v9
	v_cmp_ne_u16_sdwa s[6:7], v9, v7 src0_sel:BYTE_0 src1_sel:DWORD
	s_and_saveexec_b64 s[4:5], s[6:7]
	s_cbranch_execz .LBB426_678
; %bb.673:
	s_movk_i32 s3, 0x80
	v_cmp_ne_u16_sdwa s[10:11], v9, s3 src0_sel:BYTE_0 src1_sel:DWORD
	v_bfrev_b32_e32 v10, 1
	s_and_saveexec_b64 s[6:7], s[10:11]
	s_cbranch_execz .LBB426_677
; %bb.674:
	s_movk_i32 s3, 0x7f
	v_and_b32_e32 v17, 0x7f, v9
	v_cmp_ne_u32_e32 vcc, s3, v17
	v_mov_b32_e32 v10, 0x7f800001
	s_and_saveexec_b64 s[10:11], vcc
	s_cbranch_execz .LBB426_676
; %bb.675:
	v_and_b32_e32 v10, 7, v9
	v_ffbh_u32_e32 v10, v10
	v_min_u32_e32 v10, 32, v10
	v_subrev_u32_e32 v19, 28, v10
	v_cmp_gt_u32_e32 vcc, 8, v17
	v_lshrrev_b32_e32 v18, 3, v17
	v_sub_u32_e32 v10, 29, v10
	v_cndmask_b32_e32 v17, 0, v19, vcc
	v_cndmask_b32_e32 v10, v18, v10, vcc
	v_lshlrev_b64 v[18:19], v17, v[6:7]
	v_lshlrev_b32_e32 v7, 20, v18
	v_lshlrev_b32_e32 v17, 24, v6
	v_bfrev_b32_e32 v18, 60
	v_and_b32_e32 v7, 0x700000, v7
	v_and_b32_e32 v17, 0x80000000, v17
	v_lshl_add_u32 v10, v10, 23, v18
	v_or3_b32 v10, v17, v10, v7
.LBB426_676:
	s_or_b64 exec, exec, s[10:11]
.LBB426_677:
	s_or_b64 exec, exec, s[6:7]
	v_mov_b32_e32 v7, v10
.LBB426_678:
	s_or_b64 exec, exec, s[4:5]
	v_lshrrev_b16_e32 v10, 8, v6
	v_cmp_ne_u16_e32 vcc, 0, v10
	v_mov_b32_e32 v17, 0
	v_mov_b32_e32 v18, 0
	s_and_saveexec_b64 s[4:5], vcc
	s_cbranch_execz .LBB426_684
; %bb.679:
	s_movk_i32 s3, 0x80
	v_cmp_ne_u16_e32 vcc, s3, v10
	v_bfrev_b32_e32 v18, 1
	s_and_saveexec_b64 s[6:7], vcc
	s_cbranch_execz .LBB426_683
; %bb.680:
	s_movk_i32 s3, 0x7f
	v_and_b32_e32 v19, 0x7f, v10
	v_cmp_ne_u32_e32 vcc, s3, v19
	v_mov_b32_e32 v18, 0x7f800001
	s_and_saveexec_b64 s[10:11], vcc
	s_cbranch_execz .LBB426_682
; %bb.681:
	v_and_b32_e32 v18, 7, v10
	v_ffbh_u32_e32 v20, v18
	v_min_u32_e32 v23, 32, v20
	v_subrev_u32_e32 v20, 28, v23
	v_lshlrev_b64 v[20:21], v20, v[10:11]
	v_lshrrev_b32_e32 v22, 3, v19
	v_sub_u32_e32 v10, 29, v23
	v_and_b32_e32 v20, 7, v20
	v_cmp_gt_u32_e32 vcc, 8, v19
	v_cndmask_b32_e32 v10, v22, v10, vcc
	v_cndmask_b32_e32 v18, v18, v20, vcc
	v_lshlrev_b32_e32 v6, 16, v6
	v_bfrev_b32_e32 v19, 60
	v_lshlrev_b32_e32 v18, 20, v18
	v_and_b32_e32 v6, 0x80000000, v6
	v_lshl_add_u32 v10, v10, 23, v19
	v_or3_b32 v18, v6, v10, v18
.LBB426_682:
	s_or_b64 exec, exec, s[10:11]
.LBB426_683:
	s_or_b64 exec, exec, s[6:7]
.LBB426_684:
	s_or_b64 exec, exec, s[4:5]
	s_movk_i32 s3, 0xff
	v_and_b32_sdwa v10, v9, s3 dst_sel:DWORD dst_unused:UNUSED_PAD src0_sel:WORD_1 src1_sel:DWORD
	v_lshrrev_b32_e32 v6, 16, v9
	v_cmp_ne_u16_e32 vcc, 0, v10
	s_and_saveexec_b64 s[4:5], vcc
	s_cbranch_execz .LBB426_690
; %bb.685:
	s_movk_i32 s3, 0x80
	v_cmp_ne_u16_e32 vcc, s3, v10
	v_bfrev_b32_e32 v17, 1
	s_and_saveexec_b64 s[6:7], vcc
	s_cbranch_execz .LBB426_689
; %bb.686:
	v_bfe_u32 v10, v9, 16, 7
	s_movk_i32 s3, 0x7f
	v_cmp_ne_u32_e32 vcc, s3, v10
	v_mov_b32_e32 v17, 0x7f800001
	s_and_saveexec_b64 s[10:11], vcc
	s_cbranch_execz .LBB426_688
; %bb.687:
	v_and_b32_e32 v17, 7, v6
	v_ffbh_u32_e32 v20, v17
	v_min_u32_e32 v22, 32, v20
	v_subrev_u32_e32 v20, 28, v22
	v_lshlrev_b64 v[20:21], v20, v[6:7]
	v_and_b32_e32 v20, 7, v20
	v_cmp_gt_u32_e32 vcc, 8, v10
	v_lshrrev_b32_e32 v19, 3, v10
	v_sub_u32_e32 v6, 29, v22
	v_cndmask_b32_e32 v10, v17, v20, vcc
	v_mov_b32_e32 v17, 24
	v_cndmask_b32_e32 v6, v19, v6, vcc
	v_lshlrev_b32_sdwa v17, v17, v9 dst_sel:DWORD dst_unused:UNUSED_PAD src0_sel:DWORD src1_sel:WORD_1
	v_bfrev_b32_e32 v19, 60
	v_lshlrev_b32_e32 v10, 20, v10
	v_and_b32_e32 v17, 0x80000000, v17
	v_lshl_add_u32 v6, v6, 23, v19
	v_or3_b32 v17, v17, v6, v10
.LBB426_688:
	s_or_b64 exec, exec, s[10:11]
.LBB426_689:
	s_or_b64 exec, exec, s[6:7]
.LBB426_690:
	s_or_b64 exec, exec, s[4:5]
	s_mov_b32 s4, -1
	s_mov_b32 s5, 0xffffff
	v_cmp_lt_u64_e32 vcc, s[4:5], v[8:9]
	v_mov_b32_e32 v10, 0
	v_mov_b32_e32 v8, 0
	s_and_saveexec_b64 s[4:5], vcc
	s_cbranch_execz .LBB426_696
; %bb.691:
	v_lshrrev_b32_e32 v6, 24, v9
	s_movk_i32 s3, 0x80
	v_cmp_ne_u32_e32 vcc, s3, v6
	v_bfrev_b32_e32 v8, 1
	s_and_saveexec_b64 s[6:7], vcc
	s_cbranch_execz .LBB426_695
; %bb.692:
	v_bfe_u32 v9, v9, 24, 7
	s_movk_i32 s3, 0x7f
	v_cmp_ne_u32_e32 vcc, s3, v9
	v_mov_b32_e32 v8, 0x7f800001
	s_and_saveexec_b64 s[10:11], vcc
	s_cbranch_execz .LBB426_694
; %bb.693:
	v_and_b32_e32 v8, 7, v6
	v_ffbh_u32_e32 v20, v8
	v_min_u32_e32 v22, 32, v20
	v_subrev_u32_e32 v20, 28, v22
	v_lshlrev_b64 v[20:21], v20, v[6:7]
	v_lshrrev_b32_e32 v19, 3, v9
	v_sub_u32_e32 v21, 29, v22
	v_and_b32_e32 v20, 7, v20
	v_cmp_gt_u32_e32 vcc, 8, v9
	v_cndmask_b32_e32 v9, v19, v21, vcc
	v_cndmask_b32_e32 v8, v8, v20, vcc
	v_lshlrev_b32_e32 v6, 24, v6
	v_bfrev_b32_e32 v19, 60
	v_lshlrev_b32_e32 v8, 20, v8
	v_and_b32_e32 v6, 0x80000000, v6
	v_lshl_add_u32 v9, v9, 23, v19
	v_or3_b32 v8, v6, v9, v8
.LBB426_694:
	s_or_b64 exec, exec, s[10:11]
.LBB426_695:
	s_or_b64 exec, exec, s[6:7]
.LBB426_696:
	s_or_b64 exec, exec, s[4:5]
	v_cvt_pkrtz_f16_f32 v12, v12, v13
	v_cvt_pkrtz_f16_f32 v13, v11, v16
	v_cvt_pkrtz_f16_f32 v6, v7, v18
	v_cvt_pkrtz_f16_f32 v7, v17, v8
	v_mfma_f32_4x4x4f16 a[0:3], v[14:15], v[12:13], a[0:3] cbsz:4 abid:10
	v_cmp_ne_u16_sdwa s[6:7], v2, v10 src0_sel:BYTE_0 src1_sel:DWORD
	v_mfma_f32_4x4x4f16 a[0:3], v[14:15], v[6:7], a[0:3] cbsz:4 abid:11
	s_and_saveexec_b64 s[4:5], s[6:7]
	s_cbranch_execz .LBB426_702
; %bb.697:
	s_movk_i32 s3, 0x80
	v_cmp_ne_u16_sdwa s[10:11], v2, s3 src0_sel:BYTE_0 src1_sel:DWORD
	v_bfrev_b32_e32 v10, 1
	s_and_saveexec_b64 s[6:7], s[10:11]
	s_cbranch_execz .LBB426_701
; %bb.698:
	s_movk_i32 s3, 0x7f
	v_and_b32_e32 v6, 0x7f, v2
	v_cmp_ne_u32_e32 vcc, s3, v6
	v_mov_b32_e32 v10, 0x7f800001
	s_and_saveexec_b64 s[10:11], vcc
	s_cbranch_execz .LBB426_700
; %bb.699:
	v_and_b32_e32 v7, 7, v2
	v_ffbh_u32_e32 v7, v7
	v_min_u32_e32 v7, 32, v7
	v_subrev_u32_e32 v9, 28, v7
	v_cmp_gt_u32_e32 vcc, 8, v6
	v_lshrrev_b32_e32 v8, 3, v6
	v_sub_u32_e32 v7, 29, v7
	v_cndmask_b32_e32 v6, 0, v9, vcc
	v_cndmask_b32_e32 v8, v8, v7, vcc
	v_lshlrev_b64 v[6:7], v6, v[2:3]
	v_lshlrev_b32_e32 v6, 20, v6
	v_lshlrev_b32_e32 v7, 24, v2
	v_bfrev_b32_e32 v9, 60
	v_and_b32_e32 v6, 0x700000, v6
	v_and_b32_e32 v7, 0x80000000, v7
	v_lshl_add_u32 v8, v8, 23, v9
	v_or3_b32 v10, v7, v8, v6
.LBB426_700:
	s_or_b64 exec, exec, s[10:11]
.LBB426_701:
	s_or_b64 exec, exec, s[6:7]
.LBB426_702:
	s_or_b64 exec, exec, s[4:5]
	v_lshrrev_b16_e32 v6, 8, v2
	v_cmp_ne_u16_e32 vcc, 0, v6
	v_mov_b32_e32 v9, 0
	v_mov_b32_e32 v11, 0
	s_and_saveexec_b64 s[4:5], vcc
	s_cbranch_execz .LBB426_708
; %bb.703:
	s_movk_i32 s3, 0x80
	v_cmp_ne_u16_e32 vcc, s3, v6
	v_bfrev_b32_e32 v11, 1
	s_and_saveexec_b64 s[6:7], vcc
	s_cbranch_execz .LBB426_707
; %bb.704:
	s_movk_i32 s3, 0x7f
	v_and_b32_e32 v7, 0x7f, v6
	v_cmp_ne_u32_e32 vcc, s3, v7
	v_mov_b32_e32 v11, 0x7f800001
	s_and_saveexec_b64 s[10:11], vcc
	s_cbranch_execz .LBB426_706
; %bb.705:
	v_and_b32_e32 v8, 7, v6
	v_ffbh_u32_e32 v12, v8
	v_min_u32_e32 v16, 32, v12
	v_subrev_u32_e32 v12, 28, v16
	v_lshlrev_b64 v[12:13], v12, v[6:7]
	v_lshrrev_b32_e32 v11, 3, v7
	v_sub_u32_e32 v6, 29, v16
	v_and_b32_e32 v12, 7, v12
	v_cmp_gt_u32_e32 vcc, 8, v7
	v_cndmask_b32_e32 v6, v11, v6, vcc
	v_cndmask_b32_e32 v7, v8, v12, vcc
	v_lshlrev_b32_e32 v8, 16, v2
	v_bfrev_b32_e32 v11, 60
	v_lshlrev_b32_e32 v7, 20, v7
	v_and_b32_e32 v8, 0x80000000, v8
	v_lshl_add_u32 v6, v6, 23, v11
	v_or3_b32 v11, v8, v6, v7
.LBB426_706:
	s_or_b64 exec, exec, s[10:11]
.LBB426_707:
	s_or_b64 exec, exec, s[6:7]
.LBB426_708:
	s_or_b64 exec, exec, s[4:5]
	s_movk_i32 s3, 0xff
	v_and_b32_sdwa v7, v2, s3 dst_sel:DWORD dst_unused:UNUSED_PAD src0_sel:WORD_1 src1_sel:DWORD
	v_lshrrev_b32_e32 v6, 16, v2
	v_cmp_ne_u16_e32 vcc, 0, v7
	s_and_saveexec_b64 s[4:5], vcc
	s_cbranch_execz .LBB426_714
; %bb.709:
	s_movk_i32 s3, 0x80
	v_cmp_ne_u16_e32 vcc, s3, v7
	v_bfrev_b32_e32 v9, 1
	s_and_saveexec_b64 s[6:7], vcc
	s_cbranch_execz .LBB426_713
; %bb.710:
	v_bfe_u32 v7, v2, 16, 7
	s_movk_i32 s3, 0x7f
	v_cmp_ne_u32_e32 vcc, s3, v7
	v_mov_b32_e32 v9, 0x7f800001
	s_and_saveexec_b64 s[10:11], vcc
	s_cbranch_execz .LBB426_712
; %bb.711:
	v_and_b32_e32 v12, 7, v6
	v_ffbh_u32_e32 v8, v12
	v_min_u32_e32 v16, 32, v8
	v_subrev_u32_e32 v8, 28, v16
	v_lshlrev_b64 v[8:9], v8, v[6:7]
	v_and_b32_e32 v8, 7, v8
	v_cmp_gt_u32_e32 vcc, 8, v7
	v_lshrrev_b32_e32 v13, 3, v7
	v_sub_u32_e32 v6, 29, v16
	v_cndmask_b32_e32 v7, v12, v8, vcc
	v_mov_b32_e32 v8, 24
	v_cndmask_b32_e32 v6, v13, v6, vcc
	v_lshlrev_b32_sdwa v8, v8, v2 dst_sel:DWORD dst_unused:UNUSED_PAD src0_sel:DWORD src1_sel:WORD_1
	v_bfrev_b32_e32 v9, 60
	v_lshlrev_b32_e32 v7, 20, v7
	v_and_b32_e32 v8, 0x80000000, v8
	v_lshl_add_u32 v6, v6, 23, v9
	v_or3_b32 v9, v8, v6, v7
.LBB426_712:
	s_or_b64 exec, exec, s[10:11]
.LBB426_713:
	s_or_b64 exec, exec, s[6:7]
.LBB426_714:
	s_or_b64 exec, exec, s[4:5]
	s_mov_b32 s3, 0xffffff
	v_cmp_lt_u32_e32 vcc, s3, v2
	v_mov_b32_e32 v7, 0
	v_mov_b32_e32 v12, 0
	s_and_saveexec_b64 s[4:5], vcc
	s_cbranch_execz .LBB426_720
; %bb.715:
	v_lshrrev_b32_e32 v6, 24, v2
	s_movk_i32 s3, 0x80
	v_cmp_ne_u32_e32 vcc, s3, v6
	v_bfrev_b32_e32 v12, 1
	s_and_saveexec_b64 s[6:7], vcc
	s_cbranch_execz .LBB426_719
; %bb.716:
	v_bfe_u32 v8, v2, 24, 7
	s_movk_i32 s3, 0x7f
	v_cmp_ne_u32_e32 vcc, s3, v8
	v_mov_b32_e32 v12, 0x7f800001
	s_and_saveexec_b64 s[10:11], vcc
	s_cbranch_execz .LBB426_718
; %bb.717:
	v_and_b32_e32 v16, 7, v6
	v_ffbh_u32_e32 v12, v16
	v_min_u32_e32 v18, 32, v12
	v_subrev_u32_e32 v12, 28, v18
	v_lshlrev_b64 v[12:13], v12, v[6:7]
	v_lshrrev_b32_e32 v17, 3, v8
	v_sub_u32_e32 v13, 29, v18
	v_and_b32_e32 v12, 7, v12
	v_cmp_gt_u32_e32 vcc, 8, v8
	v_cndmask_b32_e32 v8, v17, v13, vcc
	v_cndmask_b32_e32 v12, v16, v12, vcc
	v_lshlrev_b32_e32 v6, 24, v6
	v_bfrev_b32_e32 v13, 60
	v_lshlrev_b32_e32 v12, 20, v12
	v_and_b32_e32 v6, 0x80000000, v6
	v_lshl_add_u32 v8, v8, 23, v13
	v_or3_b32 v12, v6, v8, v12
.LBB426_718:
	s_or_b64 exec, exec, s[10:11]
.LBB426_719:
	s_or_b64 exec, exec, s[6:7]
.LBB426_720:
	s_or_b64 exec, exec, s[4:5]
	v_mov_b32_e32 v6, v3
	v_cmp_ne_u16_sdwa s[6:7], v3, v7 src0_sel:BYTE_0 src1_sel:DWORD
	s_and_saveexec_b64 s[4:5], s[6:7]
	s_cbranch_execz .LBB426_726
; %bb.721:
	s_movk_i32 s3, 0x80
	v_cmp_ne_u16_sdwa s[10:11], v3, s3 src0_sel:BYTE_0 src1_sel:DWORD
	v_bfrev_b32_e32 v8, 1
	s_and_saveexec_b64 s[6:7], s[10:11]
	s_cbranch_execz .LBB426_725
; %bb.722:
	s_movk_i32 s3, 0x7f
	v_and_b32_e32 v13, 0x7f, v3
	v_cmp_ne_u32_e32 vcc, s3, v13
	v_mov_b32_e32 v8, 0x7f800001
	s_and_saveexec_b64 s[10:11], vcc
	s_cbranch_execz .LBB426_724
; %bb.723:
	v_and_b32_e32 v8, 7, v3
	v_ffbh_u32_e32 v8, v8
	v_min_u32_e32 v8, 32, v8
	v_subrev_u32_e32 v17, 28, v8
	v_cmp_gt_u32_e32 vcc, 8, v13
	v_lshrrev_b32_e32 v16, 3, v13
	v_sub_u32_e32 v8, 29, v8
	v_cndmask_b32_e32 v13, 0, v17, vcc
	v_cndmask_b32_e32 v8, v16, v8, vcc
	v_lshlrev_b64 v[16:17], v13, v[6:7]
	v_lshlrev_b32_e32 v7, 20, v16
	v_lshlrev_b32_e32 v13, 24, v6
	v_bfrev_b32_e32 v16, 60
	v_and_b32_e32 v7, 0x700000, v7
	v_and_b32_e32 v13, 0x80000000, v13
	v_lshl_add_u32 v8, v8, 23, v16
	v_or3_b32 v8, v13, v8, v7
.LBB426_724:
	s_or_b64 exec, exec, s[10:11]
.LBB426_725:
	s_or_b64 exec, exec, s[6:7]
	v_mov_b32_e32 v7, v8
.LBB426_726:
	s_or_b64 exec, exec, s[4:5]
	v_lshrrev_b16_e32 v8, 8, v6
	v_cmp_ne_u16_e32 vcc, 0, v8
	v_mov_b32_e32 v13, 0
	v_mov_b32_e32 v16, 0
	s_and_saveexec_b64 s[4:5], vcc
	s_cbranch_execz .LBB426_732
; %bb.727:
	s_movk_i32 s3, 0x80
	v_cmp_ne_u16_e32 vcc, s3, v8
	v_bfrev_b32_e32 v16, 1
	s_and_saveexec_b64 s[6:7], vcc
	s_cbranch_execz .LBB426_731
; %bb.728:
	s_movk_i32 s3, 0x7f
	v_and_b32_e32 v17, 0x7f, v8
	v_cmp_ne_u32_e32 vcc, s3, v17
	v_mov_b32_e32 v16, 0x7f800001
	s_and_saveexec_b64 s[10:11], vcc
	s_cbranch_execz .LBB426_730
; %bb.729:
	v_and_b32_e32 v16, 7, v8
	v_ffbh_u32_e32 v18, v16
	v_min_u32_e32 v21, 32, v18
	v_subrev_u32_e32 v18, 28, v21
	v_lshlrev_b64 v[18:19], v18, v[8:9]
	v_lshrrev_b32_e32 v20, 3, v17
	v_sub_u32_e32 v8, 29, v21
	v_and_b32_e32 v18, 7, v18
	v_cmp_gt_u32_e32 vcc, 8, v17
	v_cndmask_b32_e32 v8, v20, v8, vcc
	v_cndmask_b32_e32 v16, v16, v18, vcc
	v_lshlrev_b32_e32 v6, 16, v6
	v_bfrev_b32_e32 v17, 60
	v_lshlrev_b32_e32 v16, 20, v16
	v_and_b32_e32 v6, 0x80000000, v6
	v_lshl_add_u32 v8, v8, 23, v17
	v_or3_b32 v16, v6, v8, v16
.LBB426_730:
	s_or_b64 exec, exec, s[10:11]
.LBB426_731:
	s_or_b64 exec, exec, s[6:7]
.LBB426_732:
	s_or_b64 exec, exec, s[4:5]
	s_movk_i32 s3, 0xff
	v_and_b32_sdwa v8, v3, s3 dst_sel:DWORD dst_unused:UNUSED_PAD src0_sel:WORD_1 src1_sel:DWORD
	v_lshrrev_b32_e32 v6, 16, v3
	v_cmp_ne_u16_e32 vcc, 0, v8
	s_and_saveexec_b64 s[4:5], vcc
	s_cbranch_execz .LBB426_738
; %bb.733:
	s_movk_i32 s3, 0x80
	v_cmp_ne_u16_e32 vcc, s3, v8
	v_bfrev_b32_e32 v13, 1
	s_and_saveexec_b64 s[6:7], vcc
	s_cbranch_execz .LBB426_737
; %bb.734:
	v_bfe_u32 v8, v3, 16, 7
	s_movk_i32 s3, 0x7f
	v_cmp_ne_u32_e32 vcc, s3, v8
	v_mov_b32_e32 v13, 0x7f800001
	s_and_saveexec_b64 s[10:11], vcc
	s_cbranch_execz .LBB426_736
; %bb.735:
	v_and_b32_e32 v13, 7, v6
	v_ffbh_u32_e32 v18, v13
	v_min_u32_e32 v20, 32, v18
	v_subrev_u32_e32 v18, 28, v20
	v_lshlrev_b64 v[18:19], v18, v[6:7]
	v_and_b32_e32 v18, 7, v18
	v_cmp_gt_u32_e32 vcc, 8, v8
	v_lshrrev_b32_e32 v17, 3, v8
	v_sub_u32_e32 v6, 29, v20
	v_cndmask_b32_e32 v8, v13, v18, vcc
	v_mov_b32_e32 v13, 24
	v_cndmask_b32_e32 v6, v17, v6, vcc
	v_lshlrev_b32_sdwa v13, v13, v3 dst_sel:DWORD dst_unused:UNUSED_PAD src0_sel:DWORD src1_sel:WORD_1
	v_bfrev_b32_e32 v17, 60
	v_lshlrev_b32_e32 v8, 20, v8
	v_and_b32_e32 v13, 0x80000000, v13
	v_lshl_add_u32 v6, v6, 23, v17
	v_or3_b32 v13, v13, v6, v8
.LBB426_736:
	s_or_b64 exec, exec, s[10:11]
.LBB426_737:
	s_or_b64 exec, exec, s[6:7]
.LBB426_738:
	s_or_b64 exec, exec, s[4:5]
	s_mov_b32 s4, -1
	s_mov_b32 s5, 0xffffff
	v_cmp_lt_u64_e32 vcc, s[4:5], v[2:3]
	v_mov_b32_e32 v8, 0
	v_mov_b32_e32 v6, 0
	s_and_saveexec_b64 s[4:5], vcc
	s_cbranch_execz .LBB426_744
; %bb.739:
	v_lshrrev_b32_e32 v2, 24, v3
	s_movk_i32 s3, 0x80
	v_cmp_ne_u32_e32 vcc, s3, v2
	v_bfrev_b32_e32 v6, 1
	s_and_saveexec_b64 s[6:7], vcc
	s_cbranch_execz .LBB426_743
; %bb.740:
	v_bfe_u32 v3, v3, 24, 7
	s_movk_i32 s3, 0x7f
	v_cmp_ne_u32_e32 vcc, s3, v3
	v_mov_b32_e32 v6, 0x7f800001
	s_and_saveexec_b64 s[10:11], vcc
	s_cbranch_execz .LBB426_742
; %bb.741:
	v_and_b32_e32 v6, 7, v2
	v_ffbh_u32_e32 v18, v6
	v_min_u32_e32 v20, 32, v18
	v_subrev_u32_e32 v18, 28, v20
	v_lshlrev_b64 v[18:19], v18, v[2:3]
	v_lshrrev_b32_e32 v17, 3, v3
	v_sub_u32_e32 v19, 29, v20
	v_and_b32_e32 v18, 7, v18
	v_cmp_gt_u32_e32 vcc, 8, v3
	v_cndmask_b32_e32 v3, v17, v19, vcc
	v_cndmask_b32_e32 v6, v6, v18, vcc
	v_lshlrev_b32_e32 v2, 24, v2
	v_bfrev_b32_e32 v17, 60
	v_lshlrev_b32_e32 v6, 20, v6
	v_and_b32_e32 v2, 0x80000000, v2
	v_lshl_add_u32 v3, v3, 23, v17
	v_or3_b32 v6, v2, v3, v6
.LBB426_742:
	s_or_b64 exec, exec, s[10:11]
.LBB426_743:
	s_or_b64 exec, exec, s[6:7]
.LBB426_744:
	s_or_b64 exec, exec, s[4:5]
	v_cvt_pkrtz_f16_f32 v2, v10, v11
	v_cvt_pkrtz_f16_f32 v3, v9, v12
	;; [unrolled: 1-line block ×4, first 2 shown]
	v_mfma_f32_4x4x4f16 a[0:3], v[14:15], v[2:3], a[0:3] cbsz:4 abid:12
	v_cmp_ne_u16_sdwa s[6:7], v4, v8 src0_sel:BYTE_0 src1_sel:DWORD
	v_mfma_f32_4x4x4f16 a[0:3], v[14:15], v[10:11], a[0:3] cbsz:4 abid:13
	s_and_saveexec_b64 s[4:5], s[6:7]
	s_cbranch_execz .LBB426_750
; %bb.745:
	s_movk_i32 s3, 0x80
	v_cmp_ne_u16_sdwa s[10:11], v4, s3 src0_sel:BYTE_0 src1_sel:DWORD
	v_bfrev_b32_e32 v8, 1
	s_and_saveexec_b64 s[6:7], s[10:11]
	s_cbranch_execz .LBB426_749
; %bb.746:
	s_movk_i32 s3, 0x7f
	v_and_b32_e32 v2, 0x7f, v4
	v_cmp_ne_u32_e32 vcc, s3, v2
	v_mov_b32_e32 v8, 0x7f800001
	s_and_saveexec_b64 s[10:11], vcc
	s_cbranch_execz .LBB426_748
; %bb.747:
	v_and_b32_e32 v3, 7, v4
	v_ffbh_u32_e32 v3, v3
	v_min_u32_e32 v3, 32, v3
	v_subrev_u32_e32 v7, 28, v3
	v_cmp_gt_u32_e32 vcc, 8, v2
	v_lshrrev_b32_e32 v6, 3, v2
	v_sub_u32_e32 v3, 29, v3
	v_cndmask_b32_e32 v2, 0, v7, vcc
	v_cndmask_b32_e32 v6, v6, v3, vcc
	v_lshlrev_b64 v[2:3], v2, v[4:5]
	v_lshlrev_b32_e32 v2, 20, v2
	v_lshlrev_b32_e32 v3, 24, v4
	v_bfrev_b32_e32 v7, 60
	v_and_b32_e32 v2, 0x700000, v2
	v_and_b32_e32 v3, 0x80000000, v3
	v_lshl_add_u32 v6, v6, 23, v7
	v_or3_b32 v8, v3, v6, v2
.LBB426_748:
	s_or_b64 exec, exec, s[10:11]
.LBB426_749:
	s_or_b64 exec, exec, s[6:7]
.LBB426_750:
	s_or_b64 exec, exec, s[4:5]
	v_lshrrev_b16_e32 v2, 8, v4
	v_cmp_ne_u16_e32 vcc, 0, v2
	v_mov_b32_e32 v7, 0
	v_mov_b32_e32 v9, 0
	s_and_saveexec_b64 s[4:5], vcc
	s_cbranch_execz .LBB426_756
; %bb.751:
	s_movk_i32 s3, 0x80
	v_cmp_ne_u16_e32 vcc, s3, v2
	v_bfrev_b32_e32 v9, 1
	s_and_saveexec_b64 s[6:7], vcc
	s_cbranch_execz .LBB426_755
; %bb.752:
	s_movk_i32 s3, 0x7f
	v_and_b32_e32 v3, 0x7f, v2
	v_cmp_ne_u32_e32 vcc, s3, v3
	v_mov_b32_e32 v9, 0x7f800001
	s_and_saveexec_b64 s[10:11], vcc
	s_cbranch_execz .LBB426_754
; %bb.753:
	v_and_b32_e32 v6, 7, v2
	v_ffbh_u32_e32 v10, v6
	v_min_u32_e32 v12, 32, v10
	v_subrev_u32_e32 v10, 28, v12
	v_lshlrev_b64 v[10:11], v10, v[2:3]
	v_lshrrev_b32_e32 v9, 3, v3
	v_sub_u32_e32 v2, 29, v12
	v_and_b32_e32 v10, 7, v10
	v_cmp_gt_u32_e32 vcc, 8, v3
	v_cndmask_b32_e32 v2, v9, v2, vcc
	v_cndmask_b32_e32 v3, v6, v10, vcc
	v_lshlrev_b32_e32 v6, 16, v4
	v_bfrev_b32_e32 v9, 60
	v_lshlrev_b32_e32 v3, 20, v3
	v_and_b32_e32 v6, 0x80000000, v6
	v_lshl_add_u32 v2, v2, 23, v9
	v_or3_b32 v9, v6, v2, v3
.LBB426_754:
	s_or_b64 exec, exec, s[10:11]
.LBB426_755:
	s_or_b64 exec, exec, s[6:7]
.LBB426_756:
	s_or_b64 exec, exec, s[4:5]
	s_movk_i32 s3, 0xff
	v_and_b32_sdwa v3, v4, s3 dst_sel:DWORD dst_unused:UNUSED_PAD src0_sel:WORD_1 src1_sel:DWORD
	v_lshrrev_b32_e32 v2, 16, v4
	v_cmp_ne_u16_e32 vcc, 0, v3
	s_and_saveexec_b64 s[4:5], vcc
	s_cbranch_execz .LBB426_762
; %bb.757:
	s_movk_i32 s3, 0x80
	v_cmp_ne_u16_e32 vcc, s3, v3
	v_bfrev_b32_e32 v7, 1
	s_and_saveexec_b64 s[6:7], vcc
	s_cbranch_execz .LBB426_761
; %bb.758:
	v_bfe_u32 v3, v4, 16, 7
	s_movk_i32 s3, 0x7f
	v_cmp_ne_u32_e32 vcc, s3, v3
	v_mov_b32_e32 v7, 0x7f800001
	s_and_saveexec_b64 s[10:11], vcc
	s_cbranch_execz .LBB426_760
; %bb.759:
	v_and_b32_e32 v10, 7, v2
	v_ffbh_u32_e32 v6, v10
	v_min_u32_e32 v12, 32, v6
	v_subrev_u32_e32 v6, 28, v12
	v_lshlrev_b64 v[6:7], v6, v[2:3]
	v_and_b32_e32 v6, 7, v6
	v_cmp_gt_u32_e32 vcc, 8, v3
	v_lshrrev_b32_e32 v11, 3, v3
	v_sub_u32_e32 v2, 29, v12
	v_cndmask_b32_e32 v3, v10, v6, vcc
	v_mov_b32_e32 v6, 24
	v_cndmask_b32_e32 v2, v11, v2, vcc
	v_lshlrev_b32_sdwa v6, v6, v4 dst_sel:DWORD dst_unused:UNUSED_PAD src0_sel:DWORD src1_sel:WORD_1
	v_bfrev_b32_e32 v7, 60
	v_lshlrev_b32_e32 v3, 20, v3
	v_and_b32_e32 v6, 0x80000000, v6
	v_lshl_add_u32 v2, v2, 23, v7
	v_or3_b32 v7, v6, v2, v3
.LBB426_760:
	s_or_b64 exec, exec, s[10:11]
.LBB426_761:
	s_or_b64 exec, exec, s[6:7]
.LBB426_762:
	s_or_b64 exec, exec, s[4:5]
	s_mov_b32 s3, 0xffffff
	v_cmp_lt_u32_e32 vcc, s3, v4
	v_mov_b32_e32 v3, 0
	v_mov_b32_e32 v10, 0
	s_and_saveexec_b64 s[4:5], vcc
	s_cbranch_execz .LBB426_768
; %bb.763:
	v_lshrrev_b32_e32 v2, 24, v4
	s_movk_i32 s3, 0x80
	v_cmp_ne_u32_e32 vcc, s3, v2
	v_bfrev_b32_e32 v10, 1
	s_and_saveexec_b64 s[6:7], vcc
	s_cbranch_execz .LBB426_767
; %bb.764:
	v_bfe_u32 v6, v4, 24, 7
	s_movk_i32 s3, 0x7f
	v_cmp_ne_u32_e32 vcc, s3, v6
	v_mov_b32_e32 v10, 0x7f800001
	s_and_saveexec_b64 s[10:11], vcc
	s_cbranch_execz .LBB426_766
; %bb.765:
	v_and_b32_e32 v12, 7, v2
	v_ffbh_u32_e32 v10, v12
	v_min_u32_e32 v16, 32, v10
	v_subrev_u32_e32 v10, 28, v16
	v_lshlrev_b64 v[10:11], v10, v[2:3]
	v_lshrrev_b32_e32 v13, 3, v6
	v_sub_u32_e32 v11, 29, v16
	v_and_b32_e32 v10, 7, v10
	v_cmp_gt_u32_e32 vcc, 8, v6
	v_cndmask_b32_e32 v6, v13, v11, vcc
	v_cndmask_b32_e32 v10, v12, v10, vcc
	v_lshlrev_b32_e32 v2, 24, v2
	v_bfrev_b32_e32 v11, 60
	v_lshlrev_b32_e32 v10, 20, v10
	v_and_b32_e32 v2, 0x80000000, v2
	v_lshl_add_u32 v6, v6, 23, v11
	v_or3_b32 v10, v2, v6, v10
.LBB426_766:
	s_or_b64 exec, exec, s[10:11]
.LBB426_767:
	s_or_b64 exec, exec, s[6:7]
.LBB426_768:
	s_or_b64 exec, exec, s[4:5]
	v_mov_b32_e32 v2, v5
	v_cmp_ne_u16_sdwa s[6:7], v5, v3 src0_sel:BYTE_0 src1_sel:DWORD
	s_and_saveexec_b64 s[4:5], s[6:7]
	s_cbranch_execz .LBB426_774
; %bb.769:
	s_movk_i32 s3, 0x80
	v_cmp_ne_u16_sdwa s[10:11], v5, s3 src0_sel:BYTE_0 src1_sel:DWORD
	v_bfrev_b32_e32 v6, 1
	s_and_saveexec_b64 s[6:7], s[10:11]
	s_cbranch_execz .LBB426_773
; %bb.770:
	s_movk_i32 s3, 0x7f
	v_and_b32_e32 v11, 0x7f, v5
	v_cmp_ne_u32_e32 vcc, s3, v11
	v_mov_b32_e32 v6, 0x7f800001
	s_and_saveexec_b64 s[10:11], vcc
	s_cbranch_execz .LBB426_772
; %bb.771:
	v_and_b32_e32 v6, 7, v5
	v_ffbh_u32_e32 v6, v6
	v_min_u32_e32 v6, 32, v6
	v_subrev_u32_e32 v13, 28, v6
	v_cmp_gt_u32_e32 vcc, 8, v11
	v_lshrrev_b32_e32 v12, 3, v11
	v_sub_u32_e32 v6, 29, v6
	v_cndmask_b32_e32 v11, 0, v13, vcc
	v_cndmask_b32_e32 v6, v12, v6, vcc
	v_lshlrev_b64 v[12:13], v11, v[2:3]
	v_lshlrev_b32_e32 v3, 20, v12
	v_lshlrev_b32_e32 v11, 24, v2
	v_bfrev_b32_e32 v12, 60
	v_and_b32_e32 v3, 0x700000, v3
	v_and_b32_e32 v11, 0x80000000, v11
	v_lshl_add_u32 v6, v6, 23, v12
	v_or3_b32 v6, v11, v6, v3
.LBB426_772:
	s_or_b64 exec, exec, s[10:11]
.LBB426_773:
	s_or_b64 exec, exec, s[6:7]
	v_mov_b32_e32 v3, v6
.LBB426_774:
	s_or_b64 exec, exec, s[4:5]
	v_lshrrev_b16_e32 v6, 8, v2
	v_cmp_ne_u16_e32 vcc, 0, v6
	v_mov_b32_e32 v11, 0
	v_mov_b32_e32 v12, 0
	s_and_saveexec_b64 s[4:5], vcc
	s_cbranch_execz .LBB426_780
; %bb.775:
	s_movk_i32 s3, 0x80
	v_cmp_ne_u16_e32 vcc, s3, v6
	v_bfrev_b32_e32 v12, 1
	s_and_saveexec_b64 s[6:7], vcc
	s_cbranch_execz .LBB426_779
; %bb.776:
	s_movk_i32 s3, 0x7f
	v_and_b32_e32 v13, 0x7f, v6
	v_cmp_ne_u32_e32 vcc, s3, v13
	v_mov_b32_e32 v12, 0x7f800001
	s_and_saveexec_b64 s[10:11], vcc
	s_cbranch_execz .LBB426_778
; %bb.777:
	v_and_b32_e32 v12, 7, v6
	v_ffbh_u32_e32 v16, v12
	v_min_u32_e32 v19, 32, v16
	v_subrev_u32_e32 v16, 28, v19
	v_lshlrev_b64 v[16:17], v16, v[6:7]
	v_lshrrev_b32_e32 v18, 3, v13
	v_sub_u32_e32 v6, 29, v19
	v_and_b32_e32 v16, 7, v16
	v_cmp_gt_u32_e32 vcc, 8, v13
	v_cndmask_b32_e32 v6, v18, v6, vcc
	v_cndmask_b32_e32 v12, v12, v16, vcc
	v_lshlrev_b32_e32 v2, 16, v2
	v_bfrev_b32_e32 v13, 60
	v_lshlrev_b32_e32 v12, 20, v12
	v_and_b32_e32 v2, 0x80000000, v2
	v_lshl_add_u32 v6, v6, 23, v13
	v_or3_b32 v12, v2, v6, v12
.LBB426_778:
	s_or_b64 exec, exec, s[10:11]
.LBB426_779:
	s_or_b64 exec, exec, s[6:7]
.LBB426_780:
	s_or_b64 exec, exec, s[4:5]
	s_movk_i32 s3, 0xff
	v_and_b32_sdwa v6, v5, s3 dst_sel:DWORD dst_unused:UNUSED_PAD src0_sel:WORD_1 src1_sel:DWORD
	v_lshrrev_b32_e32 v2, 16, v5
	v_cmp_ne_u16_e32 vcc, 0, v6
	s_and_saveexec_b64 s[4:5], vcc
	s_cbranch_execz .LBB426_786
; %bb.781:
	s_movk_i32 s3, 0x80
	v_cmp_ne_u16_e32 vcc, s3, v6
	v_bfrev_b32_e32 v11, 1
	s_and_saveexec_b64 s[6:7], vcc
	s_cbranch_execz .LBB426_785
; %bb.782:
	v_bfe_u32 v6, v5, 16, 7
	s_movk_i32 s3, 0x7f
	v_cmp_ne_u32_e32 vcc, s3, v6
	v_mov_b32_e32 v11, 0x7f800001
	s_and_saveexec_b64 s[10:11], vcc
	s_cbranch_execz .LBB426_784
; %bb.783:
	v_and_b32_e32 v11, 7, v2
	v_ffbh_u32_e32 v16, v11
	v_min_u32_e32 v18, 32, v16
	v_subrev_u32_e32 v16, 28, v18
	v_lshlrev_b64 v[16:17], v16, v[2:3]
	v_and_b32_e32 v16, 7, v16
	v_cmp_gt_u32_e32 vcc, 8, v6
	v_lshrrev_b32_e32 v13, 3, v6
	v_sub_u32_e32 v2, 29, v18
	v_cndmask_b32_e32 v6, v11, v16, vcc
	v_mov_b32_e32 v11, 24
	v_cndmask_b32_e32 v2, v13, v2, vcc
	v_lshlrev_b32_sdwa v11, v11, v5 dst_sel:DWORD dst_unused:UNUSED_PAD src0_sel:DWORD src1_sel:WORD_1
	v_bfrev_b32_e32 v13, 60
	v_lshlrev_b32_e32 v6, 20, v6
	v_and_b32_e32 v11, 0x80000000, v11
	v_lshl_add_u32 v2, v2, 23, v13
	v_or3_b32 v11, v11, v2, v6
.LBB426_784:
	s_or_b64 exec, exec, s[10:11]
.LBB426_785:
	s_or_b64 exec, exec, s[6:7]
.LBB426_786:
	s_or_b64 exec, exec, s[4:5]
	s_mov_b32 s4, -1
	s_mov_b32 s5, 0xffffff
	v_cmp_lt_u64_e32 vcc, s[4:5], v[4:5]
	v_mov_b32_e32 v4, 0
	s_and_saveexec_b64 s[4:5], vcc
	s_cbranch_execz .LBB426_792
; %bb.787:
	v_lshrrev_b32_e32 v2, 24, v5
	s_movk_i32 s3, 0x80
	v_cmp_ne_u32_e32 vcc, s3, v2
	v_bfrev_b32_e32 v4, 1
	s_and_saveexec_b64 s[6:7], vcc
	s_cbranch_execz .LBB426_791
; %bb.788:
	v_bfe_u32 v5, v5, 24, 7
	s_movk_i32 s3, 0x7f
	v_cmp_ne_u32_e32 vcc, s3, v5
	v_mov_b32_e32 v4, 0x7f800001
	s_and_saveexec_b64 s[10:11], vcc
	s_cbranch_execz .LBB426_790
; %bb.789:
	v_and_b32_e32 v4, 7, v2
	v_ffbh_u32_e32 v13, v4
	v_min_u32_e32 v13, 32, v13
	v_subrev_u32_e32 v16, 28, v13
	v_lshlrev_b64 v[16:17], v16, v[2:3]
	v_lshrrev_b32_e32 v6, 3, v5
	v_sub_u32_e32 v13, 29, v13
	v_and_b32_e32 v16, 7, v16
	v_cmp_gt_u32_e32 vcc, 8, v5
	v_cndmask_b32_e32 v5, v6, v13, vcc
	v_cndmask_b32_e32 v4, v4, v16, vcc
	v_lshlrev_b32_e32 v2, 24, v2
	v_bfrev_b32_e32 v6, 60
	v_lshlrev_b32_e32 v4, 20, v4
	v_and_b32_e32 v2, 0x80000000, v2
	v_lshl_add_u32 v5, v5, 23, v6
	v_or3_b32 v4, v2, v5, v4
.LBB426_790:
	s_or_b64 exec, exec, s[10:11]
.LBB426_791:
	s_or_b64 exec, exec, s[6:7]
.LBB426_792:
	s_or_b64 exec, exec, s[4:5]
	v_cvt_pkrtz_f16_f32 v6, v8, v9
	v_cvt_pkrtz_f16_f32 v7, v7, v10
	;; [unrolled: 1-line block ×4, first 2 shown]
	v_mfma_f32_4x4x4f16 a[0:3], v[14:15], v[6:7], a[0:3] cbsz:4 abid:14
	s_load_dword s4, s[14:15], 0x0
	v_mfma_f32_4x4x4f16 a[0:3], v[14:15], v[2:3], a[0:3] cbsz:4 abid:15
	s_nop 4
	v_accvgpr_read_b32 v5, a1
	v_accvgpr_read_b32 v3, a3
	;; [unrolled: 1-line block ×4, first 2 shown]
	s_waitcnt lgkmcnt(0)
	v_pk_mul_f32 v[2:3], v[2:3], s[4:5] op_sel_hi:[1,0]
	v_pk_mul_f32 v[4:5], v[4:5], s[4:5] op_sel_hi:[1,0]
	v_cvt_f16_f32_e32 v4, v4
	v_cvt_f16_f32_e32 v5, v5
	;; [unrolled: 1-line block ×4, first 2 shown]
	v_pack_b32_f16 v2, v4, v5
	v_mad_u32_u24 v4, v1, 40, v25
	v_pack_b32_f16 v3, v6, v3
	ds_write_b64 v4, v[2:3]
.LBB426_793:
	s_or_b64 exec, exec, s[0:1]
	v_cmp_gt_u32_e32 vcc, 64, v0
	s_waitcnt lgkmcnt(0)
	s_barrier
	s_and_saveexec_b64 s[0:1], vcc
	s_cbranch_execz .LBB426_795
; %bb.794:
	s_lshl_b32 s0, s2, 6
	s_mov_b32 s1, 0
	s_lshl_b64 s[2:3], s[0:1], 1
	s_add_u32 s2, s26, s2
	s_addc_u32 s3, s27, s3
	s_lshl_b32 s0, s24, 6
	s_lshl_b64 s[0:1], s[0:1], 1
	s_add_u32 s0, s2, s0
	s_mul_i32 s2, s8, s33
	s_waitcnt vmcnt(1)
	v_lshl_or_b32 v2, s2, 6, v0
	v_mov_b32_e32 v3, 0
	v_mul_u32_u24_e32 v4, 40, v1
	s_waitcnt vmcnt(0)
	v_lshlrev_b64 v[8:9], 1, v[2:3]
	ds_read2_b64 v[0:3], v4 offset1:1
	ds_read2_b64 v[4:7], v4 offset0:2 offset1:3
	s_addc_u32 s1, s3, s1
	v_mov_b32_e32 v10, s1
	v_add_co_u32_e32 v8, vcc, s0, v8
	s_waitcnt lgkmcnt(1)
	v_pk_add_f16 v0, v0, 0
	v_pk_add_f16 v0, v0, v2
	s_waitcnt lgkmcnt(0)
	v_pk_add_f16 v0, v0, v4
	v_addc_co_u32_e32 v9, vcc, v10, v9, vcc
	v_pk_add_f16 v0, v0, v6
	global_store_short v[8:9], v0, off
.LBB426_795:
	s_endpgm
	.section	.rodata,"a",@progbits
	.p2align	6, 0x0
	.amdhsa_kernel _Z38paged_attention_ll4mi_QKV_mfma4_kernelIDF16_hLN4vllm18Fp8KVCacheDataTypeE1EDF16_Li32ELi64ELi256ELb1ELi1EEvPKT_PKT0_S7_ifPKiS9_S9_iPKfiiiPfSC_PS2_PT2_iSB_SB_
		.amdhsa_group_segment_fixed_size 2720
		.amdhsa_private_segment_fixed_size 0
		.amdhsa_kernarg_size 400
		.amdhsa_user_sgpr_count 6
		.amdhsa_user_sgpr_private_segment_buffer 1
		.amdhsa_user_sgpr_dispatch_ptr 0
		.amdhsa_user_sgpr_queue_ptr 0
		.amdhsa_user_sgpr_kernarg_segment_ptr 1
		.amdhsa_user_sgpr_dispatch_id 0
		.amdhsa_user_sgpr_flat_scratch_init 0
		.amdhsa_user_sgpr_kernarg_preload_length 0
		.amdhsa_user_sgpr_kernarg_preload_offset 0
		.amdhsa_user_sgpr_private_segment_size 0
		.amdhsa_uses_dynamic_stack 0
		.amdhsa_system_sgpr_private_segment_wavefront_offset 0
		.amdhsa_system_sgpr_workgroup_id_x 1
		.amdhsa_system_sgpr_workgroup_id_y 1
		.amdhsa_system_sgpr_workgroup_id_z 1
		.amdhsa_system_sgpr_workgroup_info 0
		.amdhsa_system_vgpr_workitem_id 0
		.amdhsa_next_free_vgpr 60
		.amdhsa_next_free_sgpr 42
		.amdhsa_accum_offset 56
		.amdhsa_reserve_vcc 1
		.amdhsa_reserve_flat_scratch 0
		.amdhsa_float_round_mode_32 0
		.amdhsa_float_round_mode_16_64 0
		.amdhsa_float_denorm_mode_32 3
		.amdhsa_float_denorm_mode_16_64 3
		.amdhsa_dx10_clamp 1
		.amdhsa_ieee_mode 1
		.amdhsa_fp16_overflow 0
		.amdhsa_tg_split 0
		.amdhsa_exception_fp_ieee_invalid_op 0
		.amdhsa_exception_fp_denorm_src 0
		.amdhsa_exception_fp_ieee_div_zero 0
		.amdhsa_exception_fp_ieee_overflow 0
		.amdhsa_exception_fp_ieee_underflow 0
		.amdhsa_exception_fp_ieee_inexact 0
		.amdhsa_exception_int_div_zero 0
	.end_amdhsa_kernel
	.section	.text._Z38paged_attention_ll4mi_QKV_mfma4_kernelIDF16_hLN4vllm18Fp8KVCacheDataTypeE1EDF16_Li32ELi64ELi256ELb1ELi1EEvPKT_PKT0_S7_ifPKiS9_S9_iPKfiiiPfSC_PS2_PT2_iSB_SB_,"axG",@progbits,_Z38paged_attention_ll4mi_QKV_mfma4_kernelIDF16_hLN4vllm18Fp8KVCacheDataTypeE1EDF16_Li32ELi64ELi256ELb1ELi1EEvPKT_PKT0_S7_ifPKiS9_S9_iPKfiiiPfSC_PS2_PT2_iSB_SB_,comdat
.Lfunc_end426:
	.size	_Z38paged_attention_ll4mi_QKV_mfma4_kernelIDF16_hLN4vllm18Fp8KVCacheDataTypeE1EDF16_Li32ELi64ELi256ELb1ELi1EEvPKT_PKT0_S7_ifPKiS9_S9_iPKfiiiPfSC_PS2_PT2_iSB_SB_, .Lfunc_end426-_Z38paged_attention_ll4mi_QKV_mfma4_kernelIDF16_hLN4vllm18Fp8KVCacheDataTypeE1EDF16_Li32ELi64ELi256ELb1ELi1EEvPKT_PKT0_S7_ifPKiS9_S9_iPKfiiiPfSC_PS2_PT2_iSB_SB_
                                        ; -- End function
	.section	.AMDGPU.csdata,"",@progbits
; Kernel info:
; codeLenInByte = 27728
; NumSgprs: 46
; NumVgprs: 56
; NumAgprs: 4
; TotalNumVgprs: 60
; ScratchSize: 0
; MemoryBound: 0
; FloatMode: 240
; IeeeMode: 1
; LDSByteSize: 2720 bytes/workgroup (compile time only)
; SGPRBlocks: 5
; VGPRBlocks: 7
; NumSGPRsForWavesPerEU: 46
; NumVGPRsForWavesPerEU: 60
; AccumOffset: 56
; Occupancy: 8
; WaveLimiterHint : 1
; COMPUTE_PGM_RSRC2:SCRATCH_EN: 0
; COMPUTE_PGM_RSRC2:USER_SGPR: 6
; COMPUTE_PGM_RSRC2:TRAP_HANDLER: 0
; COMPUTE_PGM_RSRC2:TGID_X_EN: 1
; COMPUTE_PGM_RSRC2:TGID_Y_EN: 1
; COMPUTE_PGM_RSRC2:TGID_Z_EN: 1
; COMPUTE_PGM_RSRC2:TIDIG_COMP_CNT: 0
; COMPUTE_PGM_RSRC3_GFX90A:ACCUM_OFFSET: 13
; COMPUTE_PGM_RSRC3_GFX90A:TG_SPLIT: 0
	.section	.text._Z38paged_attention_ll4mi_QKV_mfma4_kernelIDF16_hLN4vllm18Fp8KVCacheDataTypeE1EDF16_Li32ELi64ELi256ELb1ELi2EEvPKT_PKT0_S7_ifPKiS9_S9_iPKfiiiPfSC_PS2_PT2_iSB_SB_,"axG",@progbits,_Z38paged_attention_ll4mi_QKV_mfma4_kernelIDF16_hLN4vllm18Fp8KVCacheDataTypeE1EDF16_Li32ELi64ELi256ELb1ELi2EEvPKT_PKT0_S7_ifPKiS9_S9_iPKfiiiPfSC_PS2_PT2_iSB_SB_,comdat
	.protected	_Z38paged_attention_ll4mi_QKV_mfma4_kernelIDF16_hLN4vllm18Fp8KVCacheDataTypeE1EDF16_Li32ELi64ELi256ELb1ELi2EEvPKT_PKT0_S7_ifPKiS9_S9_iPKfiiiPfSC_PS2_PT2_iSB_SB_ ; -- Begin function _Z38paged_attention_ll4mi_QKV_mfma4_kernelIDF16_hLN4vllm18Fp8KVCacheDataTypeE1EDF16_Li32ELi64ELi256ELb1ELi2EEvPKT_PKT0_S7_ifPKiS9_S9_iPKfiiiPfSC_PS2_PT2_iSB_SB_
	.globl	_Z38paged_attention_ll4mi_QKV_mfma4_kernelIDF16_hLN4vllm18Fp8KVCacheDataTypeE1EDF16_Li32ELi64ELi256ELb1ELi2EEvPKT_PKT0_S7_ifPKiS9_S9_iPKfiiiPfSC_PS2_PT2_iSB_SB_
	.p2align	8
	.type	_Z38paged_attention_ll4mi_QKV_mfma4_kernelIDF16_hLN4vllm18Fp8KVCacheDataTypeE1EDF16_Li32ELi64ELi256ELb1ELi2EEvPKT_PKT0_S7_ifPKiS9_S9_iPKfiiiPfSC_PS2_PT2_iSB_SB_,@function
_Z38paged_attention_ll4mi_QKV_mfma4_kernelIDF16_hLN4vllm18Fp8KVCacheDataTypeE1EDF16_Li32ELi64ELi256ELb1ELi2EEvPKT_PKT0_S7_ifPKiS9_S9_iPKfiiiPfSC_PS2_PT2_iSB_SB_: ; @_Z38paged_attention_ll4mi_QKV_mfma4_kernelIDF16_hLN4vllm18Fp8KVCacheDataTypeE1EDF16_Li32ELi64ELi256ELb1ELi2EEvPKT_PKT0_S7_ifPKiS9_S9_iPKfiiiPfSC_PS2_PT2_iSB_SB_
; %bb.0:
	s_load_dwordx2 s[2:3], s[4:5], 0x30
	s_mov_b32 s10, s7
	s_mov_b64 s[0:1], 0
	s_waitcnt lgkmcnt(0)
	s_cmp_lg_u64 s[2:3], 0
	s_cselect_b64 s[20:21], -1, 0
	s_and_b64 vcc, exec, s[20:21]
	s_cbranch_vccz .LBB427_10
; %bb.1:
	s_add_i32 s12, s6, 1
	s_mov_b32 s13, 0
	s_lshl_b64 s[14:15], s[12:13], 2
	s_add_u32 s14, s2, s14
	s_mov_b32 s7, s13
	s_addc_u32 s15, s3, s15
	s_lshl_b64 s[12:13], s[6:7], 2
	s_add_u32 s12, s2, s12
	s_addc_u32 s13, s3, s13
	s_load_dword s9, s[14:15], 0x0
	s_load_dword s11, s[12:13], 0x0
	s_waitcnt lgkmcnt(0)
	s_sub_i32 s9, s9, s11
	s_cmp_eq_u32 s9, 1
	s_cselect_b64 s[12:13], -1, 0
	s_andn2_b64 vcc, exec, s[0:1]
	s_cbranch_vccnz .LBB427_3
.LBB427_2:
	s_mov_b32 s7, 0
	s_mov_b64 s[12:13], -1
.LBB427_3:
	s_andn2_b64 vcc, exec, s[12:13]
	s_cbranch_vccnz .LBB427_795
; %bb.4:
	s_load_dword s9, s[4:5], 0x9c
	s_load_dwordx2 s[0:1], s[4:5], 0x28
	s_add_u32 s26, s4, 0x90
	s_addc_u32 s27, s5, 0
	s_lshl_b64 s[22:23], s[6:7], 2
	s_waitcnt lgkmcnt(0)
	s_and_b32 s9, s9, 0xffff
	s_add_u32 s0, s0, s22
	s_addc_u32 s1, s1, s23
	s_load_dword s7, s[0:1], 0x0
	s_mul_i32 s9, s10, s9
	s_waitcnt lgkmcnt(0)
	s_cmp_ge_i32 s9, s7
	s_cbranch_scc1 .LBB427_795
; %bb.5:
	v_and_b32_e32 v1, 0xc0, v0
	v_add_u32_e32 v4, s9, v1
	v_lshrrev_b32_e32 v42, 6, v0
	v_cmp_le_i32_e64 s[0:1], s7, v4
                                        ; implicit-def: $sgpr30
                                        ; implicit-def: $sgpr11
	s_and_saveexec_b64 s[12:13], s[0:1]
	s_xor_b64 s[12:13], exec, s[12:13]
	s_cbranch_execz .LBB427_7
; %bb.6:
	v_mul_u32_u24_e32 v1, 20, v42
	v_or_b32_e32 v1, 0xa00, v1
	v_mov_b32_e32 v2, 0xa50
	v_mov_b32_e32 v3, 0xff7fffff
	v_mad_u32_u24 v2, v42, 20, v2
	ds_write2_b32 v1, v3, v3 offset1:1
	v_mov_b32_e32 v1, 0
	ds_write2_b32 v2, v1, v1 offset1:1
	v_mov_b32_e32 v2, 0xa08
	v_mov_b32_e32 v4, 0xa58
	s_mov_b32 s11, 0xff7fffff
	s_mov_b32 s30, 0
	v_mad_u32_u24 v2, v42, 20, v2
	v_mad_u32_u24 v4, v42, 20, v4
	ds_write2_b32 v2, v3, v3 offset1:1
	ds_write2_b32 v4, v1, v1 offset1:1
                                        ; implicit-def: $vgpr4
.LBB427_7:
	s_or_saveexec_b64 s[28:29], s[12:13]
	s_load_dwordx2 s[24:25], s[4:5], 0x68
	s_load_dwordx4 s[16:19], s[4:5], 0x58
	s_load_dword s33, s[26:27], 0x4
	s_load_dwordx4 s[12:15], s[4:5], 0x80
	v_and_b32_e32 v1, 63, v0
	v_and_b32_e32 v43, 3, v0
	s_lshl_b32 s38, s8, 1
	v_mov_b32_e32 v21, s30
	v_mov_b32_e32 v26, s11
	;; [unrolled: 1-line block ×5, first 2 shown]
                                        ; implicit-def: $vgpr14_vgpr15
                                        ; implicit-def: $vgpr10_vgpr11
                                        ; implicit-def: $vgpr6_vgpr7
                                        ; implicit-def: $vgpr2_vgpr3
	s_xor_b64 exec, exec, s[28:29]
	s_cbranch_execz .LBB427_403
; %bb.8:
	s_add_i32 s34, s7, 31
	s_ashr_i32 s35, s34, 31
	s_load_dwordx2 s[30:31], s[4:5], 0x20
	s_load_dword s11, s[4:5], 0x38
	s_lshr_b32 s35, s35, 27
	v_add_u32_e32 v44, s9, v0
	s_add_i32 s34, s34, s35
	v_ashrrev_i32_e32 v2, 31, v44
	s_ashr_i32 s34, s34, 5
	v_lshrrev_b32_e32 v2, 27, v2
	s_add_i32 s36, s34, -1
	v_add_u32_e32 v2, v44, v2
	v_ashrrev_i32_e32 v2, 5, v2
	v_mov_b32_e32 v3, s36
	v_cmp_gt_i32_e32 vcc, s7, v44
	s_waitcnt lgkmcnt(0)
	s_mul_i32 s34, s6, s11
	s_mov_b32 s35, 0
	v_cndmask_b32_e32 v2, v3, v2, vcc
	s_lshl_b64 s[34:35], s[34:35], 2
	v_ashrrev_i32_e32 v3, 31, v2
	s_add_u32 s11, s30, s34
	v_lshlrev_b64 v[2:3], 2, v[2:3]
	v_add_co_u32_e32 v6, vcc, s11, v2
	v_ashrrev_i32_e32 v2, 31, v4
	v_lshrrev_b32_e32 v2, 27, v2
	v_add_u32_e32 v2, v4, v2
	s_addc_u32 s30, s31, s35
	v_ashrrev_i32_e32 v4, 5, v2
	v_mov_b32_e32 v5, s30
	v_min_i32_e32 v2, s36, v4
	v_addc_co_u32_e32 v7, vcc, v5, v3, vcc
	v_ashrrev_i32_e32 v3, 31, v2
	v_lshlrev_b64 v[2:3], 2, v[2:3]
	v_add_co_u32_e32 v8, vcc, s11, v2
	v_add_u32_e32 v2, 1, v4
	v_min_i32_e32 v2, s36, v2
	v_addc_co_u32_e32 v9, vcc, v5, v3, vcc
	v_ashrrev_i32_e32 v3, 31, v2
	v_lshlrev_b64 v[2:3], 2, v[2:3]
	v_mov_b32_e32 v4, s30
	v_add_co_u32_e32 v10, vcc, s11, v2
	v_addc_co_u32_e32 v11, vcc, v4, v3, vcc
	global_load_dword v4, v[6:7], off
	global_load_dword v3, v[8:9], off
	;; [unrolled: 1-line block ×3, first 2 shown]
	s_load_dwordx2 s[34:35], s[4:5], 0x8
	s_andn2_b64 vcc, exec, s[20:21]
	s_cbranch_vccnz .LBB427_11
; %bb.9:
	s_add_u32 s2, s2, s22
	s_addc_u32 s3, s3, s23
	s_load_dword s9, s[2:3], 0x0
	s_branch .LBB427_12
.LBB427_10:
	s_mov_b64 s[12:13], 0
	s_branch .LBB427_2
.LBB427_11:
	s_mov_b32 s9, s6
.LBB427_12:
	s_load_dwordx2 s[30:31], s[4:5], 0x10
	s_load_dwordx4 s[20:23], s[4:5], 0x48
	v_cmp_gt_u32_e32 vcc, 2, v43
	s_mov_b32 s37, 0
	v_mov_b32_e32 v46, 0
	v_mov_b32_e32 v18, 0
	v_mov_b32_e32 v19, 0
	v_mov_b32_e32 v20, 0
	v_mov_b32_e32 v21, 0
	s_and_saveexec_b64 s[2:3], vcc
	s_cbranch_execz .LBB427_14
; %bb.13:
	s_load_dwordx2 s[40:41], s[4:5], 0x0
	s_waitcnt lgkmcnt(0)
	s_ashr_i32 s11, s20, 31
	s_mul_hi_u32 s23, s9, s20
	s_mul_i32 s11, s9, s11
	s_add_i32 s43, s23, s11
	s_mul_i32 s42, s9, s20
	s_lshl_b64 s[42:43], s[42:43], 1
	s_add_u32 s9, s40, s42
	s_addc_u32 s11, s41, s43
	s_lshl_b32 s36, s8, 7
	s_lshl_b64 s[36:37], s[36:37], 1
	s_add_u32 s36, s9, s36
	v_lshlrev_b32_e32 v5, 3, v43
	v_lshrrev_b32_e32 v6, 2, v1
	s_addc_u32 s37, s11, s37
	v_add_lshl_u32 v5, v5, v6, 4
	global_load_dwordx4 v[18:21], v5, s[36:37]
.LBB427_14:
	s_or_b64 exec, exec, s[2:3]
	s_waitcnt lgkmcnt(0)
	s_mul_i32 s8, s8, s22
	s_add_u32 s2, s8, s34
	s_addc_u32 s3, 0, s35
	v_pk_mov_b32 v[6:7], s[2:3], s[2:3] op_sel:[0,1]
	s_waitcnt vmcnt(2)
	v_mad_i64_i32 v[4:5], s[2:3], v4, s21, v[6:7]
	v_lshlrev_b32_e32 v6, 4, v0
	v_and_b32_e32 v6, 0x1f0, v6
	v_add_co_u32_e64 v4, s[2:3], v4, v6
	v_addc_co_u32_e64 v5, s[2:3], 0, v5, s[2:3]
	global_load_dwordx4 v[34:37], v[4:5], off
	global_load_dwordx4 v[30:33], v[4:5], off offset:512
	global_load_dwordx4 v[26:29], v[4:5], off offset:1024
	;; [unrolled: 1-line block ×3, first 2 shown]
	v_mov_b32_e32 v45, 0
	s_and_saveexec_b64 s[2:3], vcc
	s_cbranch_execz .LBB427_16
; %bb.15:
	s_load_dwordx2 s[22:23], s[4:5], 0x40
	v_or_b32_e32 v4, s38, v43
	v_mov_b32_e32 v5, 0
	v_lshlrev_b64 v[4:5], 2, v[4:5]
	s_waitcnt lgkmcnt(0)
	v_mov_b32_e32 v6, s23
	v_add_co_u32_e32 v4, vcc, s22, v4
	v_addc_co_u32_e32 v5, vcc, v6, v5, vcc
	global_load_dword v45, v[4:5], off
.LBB427_16:
	s_or_b64 exec, exec, s[2:3]
	s_add_u32 s2, s30, s8
	v_lshlrev_b32_e32 v4, 5, v1
	v_add_co_u32_e32 v6, vcc, s2, v4
	s_waitcnt vmcnt(5)
	v_mul_hi_i32 v4, v3, s21
	s_addc_u32 s3, s31, 0
	v_ashrrev_i32_e32 v4, 31, v4
	v_mov_b32_e32 v5, s3
	v_lshrrev_b32_e32 v38, 29, v4
	v_mov_b32_e32 v39, 0
	v_addc_co_u32_e32 v7, vcc, 0, v5, vcc
	v_mad_i64_i32 v[4:5], s[2:3], v3, s21, v[38:39]
	v_and_b32_e32 v3, -8, v4
	v_add_co_u32_e32 v4, vcc, v6, v3
	s_waitcnt vmcnt(4)
	v_mul_hi_i32 v3, v2, s21
	v_ashrrev_i32_e32 v3, 31, v3
	v_lshrrev_b32_e32 v38, 29, v3
	v_mad_i64_i32 v[2:3], s[2:3], v2, s21, v[38:39]
	v_addc_co_u32_e32 v5, vcc, v7, v5, vcc
	v_and_b32_e32 v2, -8, v2
	v_add_co_u32_e32 v40, vcc, v6, v2
	v_addc_co_u32_e32 v41, vcc, v7, v3, vcc
	global_load_dwordx4 v[10:13], v[4:5], off offset:16
	global_load_dwordx4 v[14:17], v[4:5], off
	s_nop 0
	global_load_dwordx4 v[2:5], v[40:41], off offset:16
	global_load_dwordx4 v[6:9], v[40:41], off
	s_waitcnt vmcnt(7)
	v_cmp_ne_u16_sdwa s[8:9], v34, v39 src0_sel:BYTE_0 src1_sel:DWORD
	s_and_saveexec_b64 s[2:3], s[8:9]
	s_cbranch_execz .LBB427_22
; %bb.17:
	s_movk_i32 s8, 0x80
	v_cmp_ne_u16_sdwa s[20:21], v34, s8 src0_sel:BYTE_0 src1_sel:DWORD
	v_bfrev_b32_e32 v46, 1
	s_and_saveexec_b64 s[8:9], s[20:21]
	s_cbranch_execz .LBB427_21
; %bb.18:
	s_movk_i32 s11, 0x7f
	v_and_b32_e32 v38, 0x7f, v34
	v_cmp_ne_u32_e32 vcc, s11, v38
	v_mov_b32_e32 v46, 0x7f800001
	s_and_saveexec_b64 s[20:21], vcc
	s_cbranch_execz .LBB427_20
; %bb.19:
	v_and_b32_e32 v40, 7, v34
	v_ffbh_u32_e32 v40, v40
	v_min_u32_e32 v40, 32, v40
	v_lshrrev_b32_e32 v41, 3, v38
	v_subrev_u32_e32 v46, 28, v40
	v_sub_u32_e32 v40, 29, v40
	v_cmp_gt_u32_e32 vcc, 8, v38
	v_cndmask_b32_e32 v38, v41, v40, vcc
	v_cndmask_b32_e32 v40, 0, v46, vcc
	v_lshlrev_b64 v[40:41], v40, v[34:35]
	v_lshlrev_b32_e32 v40, 20, v40
	v_lshlrev_b32_e32 v41, 24, v34
	v_bfrev_b32_e32 v46, 60
	v_and_b32_e32 v40, 0x700000, v40
	v_and_b32_e32 v41, 0x80000000, v41
	v_lshl_add_u32 v38, v38, 23, v46
	v_or3_b32 v46, v41, v38, v40
.LBB427_20:
	s_or_b64 exec, exec, s[20:21]
.LBB427_21:
	s_or_b64 exec, exec, s[8:9]
.LBB427_22:
	s_or_b64 exec, exec, s[2:3]
	v_lshrrev_b16_e32 v38, 8, v34
	v_cmp_ne_u16_e32 vcc, 0, v38
	v_mov_b32_e32 v47, 0
	s_and_saveexec_b64 s[2:3], vcc
	s_cbranch_execz .LBB427_28
; %bb.23:
	s_movk_i32 s8, 0x80
	v_cmp_ne_u16_e32 vcc, s8, v38
	v_bfrev_b32_e32 v47, 1
	s_and_saveexec_b64 s[8:9], vcc
	s_cbranch_execz .LBB427_27
; %bb.24:
	s_movk_i32 s11, 0x7f
	v_and_b32_e32 v40, 0x7f, v38
	v_cmp_ne_u32_e32 vcc, s11, v40
	v_mov_b32_e32 v47, 0x7f800001
	s_and_saveexec_b64 s[20:21], vcc
	s_cbranch_execz .LBB427_26
; %bb.25:
	v_and_b32_e32 v41, 7, v38
	v_ffbh_u32_e32 v48, v41
	v_min_u32_e32 v50, 32, v48
	v_subrev_u32_e32 v48, 28, v50
	v_lshlrev_b64 v[48:49], v48, v[38:39]
	v_lshrrev_b32_e32 v47, 3, v40
	v_sub_u32_e32 v38, 29, v50
	v_and_b32_e32 v48, 7, v48
	v_cmp_gt_u32_e32 vcc, 8, v40
	v_cndmask_b32_e32 v38, v47, v38, vcc
	v_cndmask_b32_e32 v40, v41, v48, vcc
	v_lshlrev_b32_e32 v41, 16, v34
	v_bfrev_b32_e32 v47, 60
	v_lshlrev_b32_e32 v40, 20, v40
	v_and_b32_e32 v41, 0x80000000, v41
	v_lshl_add_u32 v38, v38, 23, v47
	v_or3_b32 v47, v41, v38, v40
.LBB427_26:
	s_or_b64 exec, exec, s[20:21]
.LBB427_27:
	s_or_b64 exec, exec, s[8:9]
.LBB427_28:
	s_or_b64 exec, exec, s[2:3]
	s_movk_i32 s2, 0xff
	v_and_b32_sdwa v40, v34, s2 dst_sel:DWORD dst_unused:UNUSED_PAD src0_sel:WORD_1 src1_sel:DWORD
	v_lshrrev_b32_e32 v38, 16, v34
	v_cmp_ne_u16_e32 vcc, 0, v40
	s_and_saveexec_b64 s[2:3], vcc
	s_cbranch_execz .LBB427_34
; %bb.29:
	s_movk_i32 s8, 0x80
	v_cmp_ne_u16_e32 vcc, s8, v40
	v_bfrev_b32_e32 v39, 1
	s_and_saveexec_b64 s[8:9], vcc
	s_cbranch_execz .LBB427_33
; %bb.30:
	v_bfe_u32 v40, v34, 16, 7
	s_movk_i32 s11, 0x7f
	v_cmp_ne_u32_e32 vcc, s11, v40
	v_mov_b32_e32 v39, 0x7f800001
	s_and_saveexec_b64 s[20:21], vcc
	s_cbranch_execz .LBB427_32
; %bb.31:
	v_and_b32_e32 v41, 7, v38
	v_ffbh_u32_e32 v39, v41
	v_min_u32_e32 v49, 32, v39
	v_subrev_u32_e32 v39, 28, v49
	v_lshlrev_b64 v[38:39], v39, v[38:39]
	v_lshrrev_b32_e32 v48, 3, v40
	v_sub_u32_e32 v39, 29, v49
	v_and_b32_e32 v38, 7, v38
	v_cmp_gt_u32_e32 vcc, 8, v40
	v_mov_b32_e32 v40, 24
	v_cndmask_b32_e32 v39, v48, v39, vcc
	v_cndmask_b32_e32 v38, v41, v38, vcc
	v_lshlrev_b32_sdwa v40, v40, v34 dst_sel:DWORD dst_unused:UNUSED_PAD src0_sel:DWORD src1_sel:WORD_1
	v_bfrev_b32_e32 v41, 60
	v_lshlrev_b32_e32 v38, 20, v38
	v_and_b32_e32 v40, 0x80000000, v40
	v_lshl_add_u32 v39, v39, 23, v41
	v_or3_b32 v39, v40, v39, v38
.LBB427_32:
	s_or_b64 exec, exec, s[20:21]
.LBB427_33:
	s_or_b64 exec, exec, s[8:9]
.LBB427_34:
	s_or_b64 exec, exec, s[2:3]
	s_mov_b32 s2, 0xffffff
	v_cmp_lt_u32_e32 vcc, s2, v34
	v_mov_b32_e32 v41, 0
	v_mov_b32_e32 v48, 0
	s_and_saveexec_b64 s[2:3], vcc
	s_cbranch_execz .LBB427_40
; %bb.35:
	v_lshrrev_b32_e32 v38, 24, v34
	s_movk_i32 s8, 0x80
	v_cmp_ne_u32_e32 vcc, s8, v38
	v_bfrev_b32_e32 v48, 1
	s_and_saveexec_b64 s[8:9], vcc
	s_cbranch_execz .LBB427_39
; %bb.36:
	v_bfe_u32 v40, v34, 24, 7
	s_movk_i32 s11, 0x7f
	v_cmp_ne_u32_e32 vcc, s11, v40
	v_mov_b32_e32 v48, 0x7f800001
	s_and_saveexec_b64 s[20:21], vcc
	s_cbranch_execz .LBB427_38
; %bb.37:
	v_and_b32_e32 v50, 7, v38
	v_ffbh_u32_e32 v48, v50
	v_min_u32_e32 v52, 32, v48
	v_subrev_u32_e32 v48, 28, v52
	v_lshlrev_b64 v[48:49], v48, v[38:39]
	v_lshrrev_b32_e32 v51, 3, v40
	v_sub_u32_e32 v49, 29, v52
	v_and_b32_e32 v48, 7, v48
	v_cmp_gt_u32_e32 vcc, 8, v40
	v_cndmask_b32_e32 v40, v51, v49, vcc
	v_cndmask_b32_e32 v48, v50, v48, vcc
	v_lshlrev_b32_e32 v38, 24, v38
	v_bfrev_b32_e32 v49, 60
	v_lshlrev_b32_e32 v48, 20, v48
	v_and_b32_e32 v38, 0x80000000, v38
	v_lshl_add_u32 v40, v40, 23, v49
	v_or3_b32 v48, v38, v40, v48
.LBB427_38:
	s_or_b64 exec, exec, s[20:21]
.LBB427_39:
	s_or_b64 exec, exec, s[8:9]
.LBB427_40:
	s_or_b64 exec, exec, s[2:3]
	v_mov_b32_e32 v40, v35
	v_cmp_ne_u16_sdwa s[8:9], v35, v41 src0_sel:BYTE_0 src1_sel:DWORD
	s_and_saveexec_b64 s[2:3], s[8:9]
	s_cbranch_execz .LBB427_46
; %bb.41:
	s_movk_i32 s8, 0x80
	v_cmp_ne_u16_sdwa s[20:21], v35, s8 src0_sel:BYTE_0 src1_sel:DWORD
	v_bfrev_b32_e32 v38, 1
	s_and_saveexec_b64 s[8:9], s[20:21]
	s_cbranch_execz .LBB427_45
; %bb.42:
	s_movk_i32 s11, 0x7f
	v_and_b32_e32 v49, 0x7f, v35
	v_cmp_ne_u32_e32 vcc, s11, v49
	v_mov_b32_e32 v38, 0x7f800001
	s_and_saveexec_b64 s[20:21], vcc
	s_cbranch_execz .LBB427_44
; %bb.43:
	v_and_b32_e32 v38, 7, v35
	v_ffbh_u32_e32 v38, v38
	v_min_u32_e32 v38, 32, v38
	v_subrev_u32_e32 v51, 28, v38
	v_cmp_gt_u32_e32 vcc, 8, v49
	v_lshrrev_b32_e32 v50, 3, v49
	v_sub_u32_e32 v38, 29, v38
	v_cndmask_b32_e32 v49, 0, v51, vcc
	v_cndmask_b32_e32 v38, v50, v38, vcc
	v_lshlrev_b64 v[50:51], v49, v[40:41]
	v_lshlrev_b32_e32 v41, 20, v50
	v_lshlrev_b32_e32 v49, 24, v40
	v_bfrev_b32_e32 v50, 60
	v_and_b32_e32 v41, 0x700000, v41
	v_and_b32_e32 v49, 0x80000000, v49
	v_lshl_add_u32 v38, v38, 23, v50
	v_or3_b32 v38, v49, v38, v41
.LBB427_44:
	s_or_b64 exec, exec, s[20:21]
.LBB427_45:
	s_or_b64 exec, exec, s[8:9]
	v_mov_b32_e32 v41, v38
.LBB427_46:
	s_or_b64 exec, exec, s[2:3]
	v_lshrrev_b16_e32 v38, 8, v40
	v_cmp_ne_u16_e32 vcc, 0, v38
	v_mov_b32_e32 v49, 0
	v_mov_b32_e32 v50, 0
	s_and_saveexec_b64 s[2:3], vcc
	s_cbranch_execz .LBB427_52
; %bb.47:
	s_movk_i32 s8, 0x80
	v_cmp_ne_u16_e32 vcc, s8, v38
	v_bfrev_b32_e32 v50, 1
	s_and_saveexec_b64 s[8:9], vcc
	s_cbranch_execz .LBB427_51
; %bb.48:
	s_movk_i32 s11, 0x7f
	v_and_b32_e32 v51, 0x7f, v38
	v_cmp_ne_u32_e32 vcc, s11, v51
	v_mov_b32_e32 v50, 0x7f800001
	s_and_saveexec_b64 s[20:21], vcc
	s_cbranch_execz .LBB427_50
; %bb.49:
	v_and_b32_e32 v50, 7, v38
	v_ffbh_u32_e32 v52, v50
	v_min_u32_e32 v55, 32, v52
	v_subrev_u32_e32 v52, 28, v55
	v_lshlrev_b64 v[52:53], v52, v[38:39]
	v_lshrrev_b32_e32 v54, 3, v51
	v_sub_u32_e32 v38, 29, v55
	v_and_b32_e32 v52, 7, v52
	v_cmp_gt_u32_e32 vcc, 8, v51
	v_cndmask_b32_e32 v38, v54, v38, vcc
	v_cndmask_b32_e32 v50, v50, v52, vcc
	v_lshlrev_b32_e32 v40, 16, v40
	v_bfrev_b32_e32 v51, 60
	v_lshlrev_b32_e32 v50, 20, v50
	v_and_b32_e32 v40, 0x80000000, v40
	v_lshl_add_u32 v38, v38, 23, v51
	v_or3_b32 v50, v40, v38, v50
.LBB427_50:
	s_or_b64 exec, exec, s[20:21]
.LBB427_51:
	s_or_b64 exec, exec, s[8:9]
.LBB427_52:
	s_or_b64 exec, exec, s[2:3]
	s_movk_i32 s2, 0xff
	v_and_b32_sdwa v40, v35, s2 dst_sel:DWORD dst_unused:UNUSED_PAD src0_sel:WORD_1 src1_sel:DWORD
	v_lshrrev_b32_e32 v38, 16, v35
	v_cmp_ne_u16_e32 vcc, 0, v40
	s_and_saveexec_b64 s[2:3], vcc
	s_cbranch_execz .LBB427_58
; %bb.53:
	s_movk_i32 s8, 0x80
	v_cmp_ne_u16_e32 vcc, s8, v40
	v_bfrev_b32_e32 v49, 1
	s_and_saveexec_b64 s[8:9], vcc
	s_cbranch_execz .LBB427_57
; %bb.54:
	v_bfe_u32 v40, v35, 16, 7
	s_movk_i32 s11, 0x7f
	v_cmp_ne_u32_e32 vcc, s11, v40
	v_mov_b32_e32 v49, 0x7f800001
	s_and_saveexec_b64 s[20:21], vcc
	s_cbranch_execz .LBB427_56
; %bb.55:
	v_and_b32_e32 v49, 7, v38
	v_ffbh_u32_e32 v52, v49
	v_min_u32_e32 v54, 32, v52
	v_subrev_u32_e32 v52, 28, v54
	v_lshlrev_b64 v[52:53], v52, v[38:39]
	v_and_b32_e32 v52, 7, v52
	v_cmp_gt_u32_e32 vcc, 8, v40
	v_lshrrev_b32_e32 v51, 3, v40
	v_sub_u32_e32 v38, 29, v54
	v_cndmask_b32_e32 v40, v49, v52, vcc
	v_mov_b32_e32 v49, 24
	v_cndmask_b32_e32 v38, v51, v38, vcc
	v_lshlrev_b32_sdwa v49, v49, v35 dst_sel:DWORD dst_unused:UNUSED_PAD src0_sel:DWORD src1_sel:WORD_1
	v_bfrev_b32_e32 v51, 60
	v_lshlrev_b32_e32 v40, 20, v40
	v_and_b32_e32 v49, 0x80000000, v49
	v_lshl_add_u32 v38, v38, 23, v51
	v_or3_b32 v49, v49, v38, v40
.LBB427_56:
	s_or_b64 exec, exec, s[20:21]
.LBB427_57:
	s_or_b64 exec, exec, s[8:9]
.LBB427_58:
	s_or_b64 exec, exec, s[2:3]
	s_mov_b32 s2, -1
	s_mov_b32 s3, 0xffffff
	v_cmp_lt_u64_e32 vcc, s[2:3], v[34:35]
	v_mov_b32_e32 v40, 0
	v_mov_b32_e32 v38, 0
	s_and_saveexec_b64 s[2:3], vcc
	s_cbranch_execz .LBB427_64
; %bb.59:
	v_lshrrev_b32_e32 v34, 24, v35
	s_movk_i32 s8, 0x80
	v_cmp_ne_u32_e32 vcc, s8, v34
	v_bfrev_b32_e32 v38, 1
	s_and_saveexec_b64 s[8:9], vcc
	s_cbranch_execz .LBB427_63
; %bb.60:
	v_bfe_u32 v35, v35, 24, 7
	s_movk_i32 s11, 0x7f
	v_cmp_ne_u32_e32 vcc, s11, v35
	v_mov_b32_e32 v38, 0x7f800001
	s_and_saveexec_b64 s[20:21], vcc
	s_cbranch_execz .LBB427_62
; %bb.61:
	v_and_b32_e32 v38, 7, v34
	v_ffbh_u32_e32 v52, v38
	v_min_u32_e32 v54, 32, v52
	v_subrev_u32_e32 v52, 28, v54
	v_lshlrev_b64 v[52:53], v52, v[34:35]
	v_lshrrev_b32_e32 v51, 3, v35
	v_sub_u32_e32 v53, 29, v54
	v_and_b32_e32 v52, 7, v52
	v_cmp_gt_u32_e32 vcc, 8, v35
	v_cndmask_b32_e32 v35, v51, v53, vcc
	v_cndmask_b32_e32 v38, v38, v52, vcc
	v_lshlrev_b32_e32 v34, 24, v34
	v_bfrev_b32_e32 v51, 60
	v_lshlrev_b32_e32 v38, 20, v38
	v_and_b32_e32 v34, 0x80000000, v34
	v_lshl_add_u32 v35, v35, 23, v51
	v_or3_b32 v38, v34, v35, v38
.LBB427_62:
	s_or_b64 exec, exec, s[20:21]
.LBB427_63:
	s_or_b64 exec, exec, s[8:9]
.LBB427_64:
	s_or_b64 exec, exec, s[2:3]
	v_cvt_pkrtz_f16_f32 v34, v46, v47
	v_cvt_pkrtz_f16_f32 v35, v39, v48
	;; [unrolled: 1-line block ×4, first 2 shown]
	v_mfma_f32_4x4x4f16 a[0:3], v[18:19], v[34:35], 0 cbsz:4
	v_cmp_ne_u16_sdwa s[8:9], v36, v40 src0_sel:BYTE_0 src1_sel:DWORD
	v_mfma_f32_4x4x4f16 a[0:3], v[20:21], v[46:47], a[0:3] cbsz:4
	s_and_saveexec_b64 s[2:3], s[8:9]
	s_cbranch_execz .LBB427_70
; %bb.65:
	s_movk_i32 s8, 0x80
	v_cmp_ne_u16_sdwa s[20:21], v36, s8 src0_sel:BYTE_0 src1_sel:DWORD
	v_bfrev_b32_e32 v40, 1
	s_and_saveexec_b64 s[8:9], s[20:21]
	s_cbranch_execz .LBB427_69
; %bb.66:
	s_movk_i32 s11, 0x7f
	v_and_b32_e32 v34, 0x7f, v36
	v_cmp_ne_u32_e32 vcc, s11, v34
	v_mov_b32_e32 v40, 0x7f800001
	s_and_saveexec_b64 s[20:21], vcc
	s_cbranch_execz .LBB427_68
; %bb.67:
	v_and_b32_e32 v35, 7, v36
	v_ffbh_u32_e32 v35, v35
	v_min_u32_e32 v35, 32, v35
	v_subrev_u32_e32 v39, 28, v35
	v_cmp_gt_u32_e32 vcc, 8, v34
	v_lshrrev_b32_e32 v38, 3, v34
	v_sub_u32_e32 v35, 29, v35
	v_cndmask_b32_e32 v34, 0, v39, vcc
	v_cndmask_b32_e32 v38, v38, v35, vcc
	v_lshlrev_b64 v[34:35], v34, v[36:37]
	v_lshlrev_b32_e32 v34, 20, v34
	v_lshlrev_b32_e32 v35, 24, v36
	v_bfrev_b32_e32 v39, 60
	v_and_b32_e32 v34, 0x700000, v34
	v_and_b32_e32 v35, 0x80000000, v35
	v_lshl_add_u32 v38, v38, 23, v39
	v_or3_b32 v40, v35, v38, v34
.LBB427_68:
	s_or_b64 exec, exec, s[20:21]
.LBB427_69:
	s_or_b64 exec, exec, s[8:9]
.LBB427_70:
	s_or_b64 exec, exec, s[2:3]
	v_lshrrev_b16_e32 v34, 8, v36
	v_cmp_ne_u16_e32 vcc, 0, v34
	v_mov_b32_e32 v39, 0
	v_mov_b32_e32 v41, 0
	s_and_saveexec_b64 s[2:3], vcc
	s_cbranch_execz .LBB427_76
; %bb.71:
	s_movk_i32 s8, 0x80
	v_cmp_ne_u16_e32 vcc, s8, v34
	v_bfrev_b32_e32 v41, 1
	s_and_saveexec_b64 s[8:9], vcc
	s_cbranch_execz .LBB427_75
; %bb.72:
	s_movk_i32 s11, 0x7f
	v_and_b32_e32 v35, 0x7f, v34
	v_cmp_ne_u32_e32 vcc, s11, v35
	v_mov_b32_e32 v41, 0x7f800001
	s_and_saveexec_b64 s[20:21], vcc
	s_cbranch_execz .LBB427_74
; %bb.73:
	v_and_b32_e32 v38, 7, v34
	v_ffbh_u32_e32 v46, v38
	v_min_u32_e32 v48, 32, v46
	v_subrev_u32_e32 v46, 28, v48
	v_lshlrev_b64 v[46:47], v46, v[34:35]
	v_lshrrev_b32_e32 v41, 3, v35
	v_sub_u32_e32 v34, 29, v48
	v_and_b32_e32 v46, 7, v46
	v_cmp_gt_u32_e32 vcc, 8, v35
	v_cndmask_b32_e32 v34, v41, v34, vcc
	v_cndmask_b32_e32 v35, v38, v46, vcc
	v_lshlrev_b32_e32 v38, 16, v36
	v_bfrev_b32_e32 v41, 60
	v_lshlrev_b32_e32 v35, 20, v35
	v_and_b32_e32 v38, 0x80000000, v38
	v_lshl_add_u32 v34, v34, 23, v41
	v_or3_b32 v41, v38, v34, v35
.LBB427_74:
	s_or_b64 exec, exec, s[20:21]
.LBB427_75:
	s_or_b64 exec, exec, s[8:9]
.LBB427_76:
	s_or_b64 exec, exec, s[2:3]
	s_movk_i32 s2, 0xff
	v_and_b32_sdwa v35, v36, s2 dst_sel:DWORD dst_unused:UNUSED_PAD src0_sel:WORD_1 src1_sel:DWORD
	v_lshrrev_b32_e32 v34, 16, v36
	v_cmp_ne_u16_e32 vcc, 0, v35
	s_and_saveexec_b64 s[2:3], vcc
	s_cbranch_execz .LBB427_82
; %bb.77:
	s_movk_i32 s8, 0x80
	v_cmp_ne_u16_e32 vcc, s8, v35
	v_bfrev_b32_e32 v39, 1
	s_and_saveexec_b64 s[8:9], vcc
	s_cbranch_execz .LBB427_81
; %bb.78:
	v_bfe_u32 v35, v36, 16, 7
	s_movk_i32 s11, 0x7f
	v_cmp_ne_u32_e32 vcc, s11, v35
	v_mov_b32_e32 v39, 0x7f800001
	s_and_saveexec_b64 s[20:21], vcc
	s_cbranch_execz .LBB427_80
; %bb.79:
	v_and_b32_e32 v46, 7, v34
	v_ffbh_u32_e32 v38, v46
	v_min_u32_e32 v48, 32, v38
	v_subrev_u32_e32 v38, 28, v48
	v_lshlrev_b64 v[38:39], v38, v[34:35]
	v_and_b32_e32 v38, 7, v38
	v_cmp_gt_u32_e32 vcc, 8, v35
	v_lshrrev_b32_e32 v47, 3, v35
	v_sub_u32_e32 v34, 29, v48
	v_cndmask_b32_e32 v35, v46, v38, vcc
	v_mov_b32_e32 v38, 24
	v_cndmask_b32_e32 v34, v47, v34, vcc
	v_lshlrev_b32_sdwa v38, v38, v36 dst_sel:DWORD dst_unused:UNUSED_PAD src0_sel:DWORD src1_sel:WORD_1
	v_bfrev_b32_e32 v39, 60
	v_lshlrev_b32_e32 v35, 20, v35
	v_and_b32_e32 v38, 0x80000000, v38
	v_lshl_add_u32 v34, v34, 23, v39
	v_or3_b32 v39, v38, v34, v35
.LBB427_80:
	s_or_b64 exec, exec, s[20:21]
.LBB427_81:
	s_or_b64 exec, exec, s[8:9]
.LBB427_82:
	s_or_b64 exec, exec, s[2:3]
	s_mov_b32 s2, 0xffffff
	v_cmp_lt_u32_e32 vcc, s2, v36
	v_mov_b32_e32 v35, 0
	v_mov_b32_e32 v46, 0
	s_and_saveexec_b64 s[2:3], vcc
	s_cbranch_execz .LBB427_88
; %bb.83:
	v_lshrrev_b32_e32 v34, 24, v36
	s_movk_i32 s8, 0x80
	v_cmp_ne_u32_e32 vcc, s8, v34
	v_bfrev_b32_e32 v46, 1
	s_and_saveexec_b64 s[8:9], vcc
	s_cbranch_execz .LBB427_87
; %bb.84:
	v_bfe_u32 v38, v36, 24, 7
	s_movk_i32 s11, 0x7f
	v_cmp_ne_u32_e32 vcc, s11, v38
	v_mov_b32_e32 v46, 0x7f800001
	s_and_saveexec_b64 s[20:21], vcc
	s_cbranch_execz .LBB427_86
; %bb.85:
	v_and_b32_e32 v48, 7, v34
	v_ffbh_u32_e32 v46, v48
	v_min_u32_e32 v50, 32, v46
	v_subrev_u32_e32 v46, 28, v50
	v_lshlrev_b64 v[46:47], v46, v[34:35]
	v_lshrrev_b32_e32 v49, 3, v38
	v_sub_u32_e32 v47, 29, v50
	v_and_b32_e32 v46, 7, v46
	v_cmp_gt_u32_e32 vcc, 8, v38
	v_cndmask_b32_e32 v38, v49, v47, vcc
	v_cndmask_b32_e32 v46, v48, v46, vcc
	v_lshlrev_b32_e32 v34, 24, v34
	v_bfrev_b32_e32 v47, 60
	v_lshlrev_b32_e32 v46, 20, v46
	v_and_b32_e32 v34, 0x80000000, v34
	v_lshl_add_u32 v38, v38, 23, v47
	v_or3_b32 v46, v34, v38, v46
.LBB427_86:
	s_or_b64 exec, exec, s[20:21]
.LBB427_87:
	s_or_b64 exec, exec, s[8:9]
.LBB427_88:
	s_or_b64 exec, exec, s[2:3]
	v_mov_b32_e32 v34, v37
	v_cmp_ne_u16_sdwa s[8:9], v37, v35 src0_sel:BYTE_0 src1_sel:DWORD
	s_and_saveexec_b64 s[2:3], s[8:9]
	s_cbranch_execz .LBB427_94
; %bb.89:
	s_movk_i32 s8, 0x80
	v_cmp_ne_u16_sdwa s[20:21], v37, s8 src0_sel:BYTE_0 src1_sel:DWORD
	v_bfrev_b32_e32 v38, 1
	s_and_saveexec_b64 s[8:9], s[20:21]
	s_cbranch_execz .LBB427_93
; %bb.90:
	s_movk_i32 s11, 0x7f
	v_and_b32_e32 v47, 0x7f, v37
	v_cmp_ne_u32_e32 vcc, s11, v47
	v_mov_b32_e32 v38, 0x7f800001
	s_and_saveexec_b64 s[20:21], vcc
	s_cbranch_execz .LBB427_92
; %bb.91:
	v_and_b32_e32 v38, 7, v37
	v_ffbh_u32_e32 v38, v38
	v_min_u32_e32 v38, 32, v38
	v_subrev_u32_e32 v49, 28, v38
	v_cmp_gt_u32_e32 vcc, 8, v47
	v_lshrrev_b32_e32 v48, 3, v47
	v_sub_u32_e32 v38, 29, v38
	v_cndmask_b32_e32 v47, 0, v49, vcc
	v_cndmask_b32_e32 v38, v48, v38, vcc
	v_lshlrev_b64 v[48:49], v47, v[34:35]
	v_lshlrev_b32_e32 v35, 20, v48
	v_lshlrev_b32_e32 v47, 24, v34
	v_bfrev_b32_e32 v48, 60
	v_and_b32_e32 v35, 0x700000, v35
	v_and_b32_e32 v47, 0x80000000, v47
	v_lshl_add_u32 v38, v38, 23, v48
	v_or3_b32 v38, v47, v38, v35
.LBB427_92:
	s_or_b64 exec, exec, s[20:21]
.LBB427_93:
	s_or_b64 exec, exec, s[8:9]
	v_mov_b32_e32 v35, v38
.LBB427_94:
	s_or_b64 exec, exec, s[2:3]
	v_lshrrev_b16_e32 v38, 8, v34
	v_cmp_ne_u16_e32 vcc, 0, v38
	v_mov_b32_e32 v47, 0
	v_mov_b32_e32 v48, 0
	s_and_saveexec_b64 s[2:3], vcc
	s_cbranch_execz .LBB427_100
; %bb.95:
	s_movk_i32 s8, 0x80
	v_cmp_ne_u16_e32 vcc, s8, v38
	v_bfrev_b32_e32 v48, 1
	s_and_saveexec_b64 s[8:9], vcc
	s_cbranch_execz .LBB427_99
; %bb.96:
	s_movk_i32 s11, 0x7f
	v_and_b32_e32 v49, 0x7f, v38
	v_cmp_ne_u32_e32 vcc, s11, v49
	v_mov_b32_e32 v48, 0x7f800001
	s_and_saveexec_b64 s[20:21], vcc
	s_cbranch_execz .LBB427_98
; %bb.97:
	v_and_b32_e32 v48, 7, v38
	v_ffbh_u32_e32 v50, v48
	v_min_u32_e32 v53, 32, v50
	v_subrev_u32_e32 v50, 28, v53
	v_lshlrev_b64 v[50:51], v50, v[38:39]
	v_lshrrev_b32_e32 v52, 3, v49
	v_sub_u32_e32 v38, 29, v53
	v_and_b32_e32 v50, 7, v50
	v_cmp_gt_u32_e32 vcc, 8, v49
	v_cndmask_b32_e32 v38, v52, v38, vcc
	v_cndmask_b32_e32 v48, v48, v50, vcc
	v_lshlrev_b32_e32 v34, 16, v34
	v_bfrev_b32_e32 v49, 60
	v_lshlrev_b32_e32 v48, 20, v48
	v_and_b32_e32 v34, 0x80000000, v34
	v_lshl_add_u32 v38, v38, 23, v49
	v_or3_b32 v48, v34, v38, v48
.LBB427_98:
	s_or_b64 exec, exec, s[20:21]
.LBB427_99:
	s_or_b64 exec, exec, s[8:9]
.LBB427_100:
	s_or_b64 exec, exec, s[2:3]
	s_movk_i32 s2, 0xff
	v_and_b32_sdwa v38, v37, s2 dst_sel:DWORD dst_unused:UNUSED_PAD src0_sel:WORD_1 src1_sel:DWORD
	v_lshrrev_b32_e32 v34, 16, v37
	v_cmp_ne_u16_e32 vcc, 0, v38
	s_and_saveexec_b64 s[2:3], vcc
	s_cbranch_execz .LBB427_106
; %bb.101:
	s_movk_i32 s8, 0x80
	v_cmp_ne_u16_e32 vcc, s8, v38
	v_bfrev_b32_e32 v47, 1
	s_and_saveexec_b64 s[8:9], vcc
	s_cbranch_execz .LBB427_105
; %bb.102:
	v_bfe_u32 v38, v37, 16, 7
	s_movk_i32 s11, 0x7f
	v_cmp_ne_u32_e32 vcc, s11, v38
	v_mov_b32_e32 v47, 0x7f800001
	s_and_saveexec_b64 s[20:21], vcc
	s_cbranch_execz .LBB427_104
; %bb.103:
	v_and_b32_e32 v47, 7, v34
	v_ffbh_u32_e32 v50, v47
	v_min_u32_e32 v52, 32, v50
	v_subrev_u32_e32 v50, 28, v52
	v_lshlrev_b64 v[50:51], v50, v[34:35]
	v_and_b32_e32 v50, 7, v50
	v_cmp_gt_u32_e32 vcc, 8, v38
	v_lshrrev_b32_e32 v49, 3, v38
	v_sub_u32_e32 v34, 29, v52
	v_cndmask_b32_e32 v38, v47, v50, vcc
	v_mov_b32_e32 v47, 24
	v_cndmask_b32_e32 v34, v49, v34, vcc
	v_lshlrev_b32_sdwa v47, v47, v37 dst_sel:DWORD dst_unused:UNUSED_PAD src0_sel:DWORD src1_sel:WORD_1
	v_bfrev_b32_e32 v49, 60
	v_lshlrev_b32_e32 v38, 20, v38
	v_and_b32_e32 v47, 0x80000000, v47
	v_lshl_add_u32 v34, v34, 23, v49
	v_or3_b32 v47, v47, v34, v38
.LBB427_104:
	s_or_b64 exec, exec, s[20:21]
.LBB427_105:
	s_or_b64 exec, exec, s[8:9]
.LBB427_106:
	s_or_b64 exec, exec, s[2:3]
	s_mov_b32 s2, -1
	s_mov_b32 s3, 0xffffff
	v_cmp_lt_u64_e32 vcc, s[2:3], v[36:37]
	v_mov_b32_e32 v38, 0
	v_mov_b32_e32 v36, 0
	s_and_saveexec_b64 s[2:3], vcc
	s_cbranch_execz .LBB427_112
; %bb.107:
	v_lshrrev_b32_e32 v34, 24, v37
	s_movk_i32 s8, 0x80
	v_cmp_ne_u32_e32 vcc, s8, v34
	v_bfrev_b32_e32 v36, 1
	s_and_saveexec_b64 s[8:9], vcc
	s_cbranch_execz .LBB427_111
; %bb.108:
	v_bfe_u32 v37, v37, 24, 7
	s_movk_i32 s11, 0x7f
	v_cmp_ne_u32_e32 vcc, s11, v37
	v_mov_b32_e32 v36, 0x7f800001
	s_and_saveexec_b64 s[20:21], vcc
	s_cbranch_execz .LBB427_110
; %bb.109:
	v_and_b32_e32 v36, 7, v34
	v_ffbh_u32_e32 v50, v36
	v_min_u32_e32 v52, 32, v50
	v_subrev_u32_e32 v50, 28, v52
	v_lshlrev_b64 v[50:51], v50, v[34:35]
	v_lshrrev_b32_e32 v49, 3, v37
	v_sub_u32_e32 v51, 29, v52
	v_and_b32_e32 v50, 7, v50
	v_cmp_gt_u32_e32 vcc, 8, v37
	v_cndmask_b32_e32 v37, v49, v51, vcc
	v_cndmask_b32_e32 v36, v36, v50, vcc
	v_lshlrev_b32_e32 v34, 24, v34
	v_bfrev_b32_e32 v49, 60
	v_lshlrev_b32_e32 v36, 20, v36
	v_and_b32_e32 v34, 0x80000000, v34
	v_lshl_add_u32 v37, v37, 23, v49
	v_or3_b32 v36, v34, v37, v36
.LBB427_110:
	s_or_b64 exec, exec, s[20:21]
.LBB427_111:
	s_or_b64 exec, exec, s[8:9]
.LBB427_112:
	s_or_b64 exec, exec, s[2:3]
	v_cvt_pkrtz_f16_f32 v40, v40, v41
	v_cvt_pkrtz_f16_f32 v41, v39, v46
	;; [unrolled: 1-line block ×4, first 2 shown]
	v_mfma_f32_4x4x4f16 a[0:3], v[18:19], v[40:41], a[0:3] cbsz:4 abid:1
	s_waitcnt vmcnt(6)
	v_cmp_ne_u16_sdwa s[8:9], v30, v38 src0_sel:BYTE_0 src1_sel:DWORD
	v_mfma_f32_4x4x4f16 a[0:3], v[20:21], v[34:35], a[0:3] cbsz:4 abid:1
	s_and_saveexec_b64 s[2:3], s[8:9]
	s_cbranch_execz .LBB427_118
; %bb.113:
	s_movk_i32 s8, 0x80
	v_cmp_ne_u16_sdwa s[20:21], v30, s8 src0_sel:BYTE_0 src1_sel:DWORD
	v_bfrev_b32_e32 v38, 1
	s_and_saveexec_b64 s[8:9], s[20:21]
	s_cbranch_execz .LBB427_117
; %bb.114:
	s_movk_i32 s11, 0x7f
	v_and_b32_e32 v34, 0x7f, v30
	v_cmp_ne_u32_e32 vcc, s11, v34
	v_mov_b32_e32 v38, 0x7f800001
	s_and_saveexec_b64 s[20:21], vcc
	s_cbranch_execz .LBB427_116
; %bb.115:
	v_and_b32_e32 v35, 7, v30
	v_ffbh_u32_e32 v35, v35
	v_min_u32_e32 v35, 32, v35
	v_subrev_u32_e32 v37, 28, v35
	v_cmp_gt_u32_e32 vcc, 8, v34
	v_lshrrev_b32_e32 v36, 3, v34
	v_sub_u32_e32 v35, 29, v35
	v_cndmask_b32_e32 v34, 0, v37, vcc
	v_cndmask_b32_e32 v36, v36, v35, vcc
	v_lshlrev_b64 v[34:35], v34, v[30:31]
	v_lshlrev_b32_e32 v34, 20, v34
	v_lshlrev_b32_e32 v35, 24, v30
	v_bfrev_b32_e32 v37, 60
	v_and_b32_e32 v34, 0x700000, v34
	v_and_b32_e32 v35, 0x80000000, v35
	v_lshl_add_u32 v36, v36, 23, v37
	v_or3_b32 v38, v35, v36, v34
.LBB427_116:
	s_or_b64 exec, exec, s[20:21]
.LBB427_117:
	s_or_b64 exec, exec, s[8:9]
.LBB427_118:
	s_or_b64 exec, exec, s[2:3]
	v_lshrrev_b16_e32 v34, 8, v30
	v_cmp_ne_u16_e32 vcc, 0, v34
	v_mov_b32_e32 v37, 0
	v_mov_b32_e32 v39, 0
	s_and_saveexec_b64 s[2:3], vcc
	s_cbranch_execz .LBB427_124
; %bb.119:
	s_movk_i32 s8, 0x80
	v_cmp_ne_u16_e32 vcc, s8, v34
	v_bfrev_b32_e32 v39, 1
	s_and_saveexec_b64 s[8:9], vcc
	s_cbranch_execz .LBB427_123
; %bb.120:
	s_movk_i32 s11, 0x7f
	v_and_b32_e32 v35, 0x7f, v34
	v_cmp_ne_u32_e32 vcc, s11, v35
	v_mov_b32_e32 v39, 0x7f800001
	s_and_saveexec_b64 s[20:21], vcc
	s_cbranch_execz .LBB427_122
; %bb.121:
	v_and_b32_e32 v36, 7, v34
	v_ffbh_u32_e32 v40, v36
	v_min_u32_e32 v46, 32, v40
	v_subrev_u32_e32 v40, 28, v46
	v_lshlrev_b64 v[40:41], v40, v[34:35]
	v_lshrrev_b32_e32 v39, 3, v35
	v_sub_u32_e32 v34, 29, v46
	v_and_b32_e32 v40, 7, v40
	v_cmp_gt_u32_e32 vcc, 8, v35
	v_cndmask_b32_e32 v34, v39, v34, vcc
	v_cndmask_b32_e32 v35, v36, v40, vcc
	v_lshlrev_b32_e32 v36, 16, v30
	v_bfrev_b32_e32 v39, 60
	v_lshlrev_b32_e32 v35, 20, v35
	v_and_b32_e32 v36, 0x80000000, v36
	v_lshl_add_u32 v34, v34, 23, v39
	v_or3_b32 v39, v36, v34, v35
.LBB427_122:
	s_or_b64 exec, exec, s[20:21]
.LBB427_123:
	s_or_b64 exec, exec, s[8:9]
.LBB427_124:
	s_or_b64 exec, exec, s[2:3]
	s_movk_i32 s2, 0xff
	v_and_b32_sdwa v35, v30, s2 dst_sel:DWORD dst_unused:UNUSED_PAD src0_sel:WORD_1 src1_sel:DWORD
	v_lshrrev_b32_e32 v34, 16, v30
	v_cmp_ne_u16_e32 vcc, 0, v35
	s_and_saveexec_b64 s[2:3], vcc
	s_cbranch_execz .LBB427_130
; %bb.125:
	s_movk_i32 s8, 0x80
	v_cmp_ne_u16_e32 vcc, s8, v35
	v_bfrev_b32_e32 v37, 1
	s_and_saveexec_b64 s[8:9], vcc
	s_cbranch_execz .LBB427_129
; %bb.126:
	v_bfe_u32 v35, v30, 16, 7
	s_movk_i32 s11, 0x7f
	v_cmp_ne_u32_e32 vcc, s11, v35
	v_mov_b32_e32 v37, 0x7f800001
	s_and_saveexec_b64 s[20:21], vcc
	s_cbranch_execz .LBB427_128
; %bb.127:
	v_and_b32_e32 v40, 7, v34
	v_ffbh_u32_e32 v36, v40
	v_min_u32_e32 v46, 32, v36
	v_subrev_u32_e32 v36, 28, v46
	v_lshlrev_b64 v[36:37], v36, v[34:35]
	v_and_b32_e32 v36, 7, v36
	v_cmp_gt_u32_e32 vcc, 8, v35
	v_lshrrev_b32_e32 v41, 3, v35
	v_sub_u32_e32 v34, 29, v46
	v_cndmask_b32_e32 v35, v40, v36, vcc
	v_mov_b32_e32 v36, 24
	v_cndmask_b32_e32 v34, v41, v34, vcc
	v_lshlrev_b32_sdwa v36, v36, v30 dst_sel:DWORD dst_unused:UNUSED_PAD src0_sel:DWORD src1_sel:WORD_1
	v_bfrev_b32_e32 v37, 60
	v_lshlrev_b32_e32 v35, 20, v35
	v_and_b32_e32 v36, 0x80000000, v36
	v_lshl_add_u32 v34, v34, 23, v37
	v_or3_b32 v37, v36, v34, v35
.LBB427_128:
	s_or_b64 exec, exec, s[20:21]
.LBB427_129:
	s_or_b64 exec, exec, s[8:9]
.LBB427_130:
	s_or_b64 exec, exec, s[2:3]
	s_mov_b32 s2, 0xffffff
	v_cmp_lt_u32_e32 vcc, s2, v30
	v_mov_b32_e32 v35, 0
	v_mov_b32_e32 v40, 0
	s_and_saveexec_b64 s[2:3], vcc
	s_cbranch_execz .LBB427_136
; %bb.131:
	v_lshrrev_b32_e32 v34, 24, v30
	s_movk_i32 s8, 0x80
	v_cmp_ne_u32_e32 vcc, s8, v34
	v_bfrev_b32_e32 v40, 1
	s_and_saveexec_b64 s[8:9], vcc
	s_cbranch_execz .LBB427_135
; %bb.132:
	v_bfe_u32 v36, v30, 24, 7
	s_movk_i32 s11, 0x7f
	v_cmp_ne_u32_e32 vcc, s11, v36
	v_mov_b32_e32 v40, 0x7f800001
	s_and_saveexec_b64 s[20:21], vcc
	s_cbranch_execz .LBB427_134
; %bb.133:
	v_and_b32_e32 v46, 7, v34
	v_ffbh_u32_e32 v40, v46
	v_min_u32_e32 v48, 32, v40
	v_subrev_u32_e32 v40, 28, v48
	v_lshlrev_b64 v[40:41], v40, v[34:35]
	v_lshrrev_b32_e32 v47, 3, v36
	v_sub_u32_e32 v41, 29, v48
	v_and_b32_e32 v40, 7, v40
	v_cmp_gt_u32_e32 vcc, 8, v36
	v_cndmask_b32_e32 v36, v47, v41, vcc
	v_cndmask_b32_e32 v40, v46, v40, vcc
	v_lshlrev_b32_e32 v34, 24, v34
	v_bfrev_b32_e32 v41, 60
	v_lshlrev_b32_e32 v40, 20, v40
	v_and_b32_e32 v34, 0x80000000, v34
	v_lshl_add_u32 v36, v36, 23, v41
	v_or3_b32 v40, v34, v36, v40
.LBB427_134:
	s_or_b64 exec, exec, s[20:21]
.LBB427_135:
	s_or_b64 exec, exec, s[8:9]
.LBB427_136:
	s_or_b64 exec, exec, s[2:3]
	v_mov_b32_e32 v34, v31
	v_cmp_ne_u16_sdwa s[8:9], v31, v35 src0_sel:BYTE_0 src1_sel:DWORD
	s_and_saveexec_b64 s[2:3], s[8:9]
	s_cbranch_execz .LBB427_142
; %bb.137:
	s_movk_i32 s8, 0x80
	v_cmp_ne_u16_sdwa s[20:21], v31, s8 src0_sel:BYTE_0 src1_sel:DWORD
	v_bfrev_b32_e32 v36, 1
	s_and_saveexec_b64 s[8:9], s[20:21]
	s_cbranch_execz .LBB427_141
; %bb.138:
	s_movk_i32 s11, 0x7f
	v_and_b32_e32 v41, 0x7f, v31
	v_cmp_ne_u32_e32 vcc, s11, v41
	v_mov_b32_e32 v36, 0x7f800001
	s_and_saveexec_b64 s[20:21], vcc
	s_cbranch_execz .LBB427_140
; %bb.139:
	v_and_b32_e32 v36, 7, v31
	v_ffbh_u32_e32 v36, v36
	v_min_u32_e32 v36, 32, v36
	v_subrev_u32_e32 v47, 28, v36
	v_cmp_gt_u32_e32 vcc, 8, v41
	v_lshrrev_b32_e32 v46, 3, v41
	v_sub_u32_e32 v36, 29, v36
	v_cndmask_b32_e32 v41, 0, v47, vcc
	v_cndmask_b32_e32 v36, v46, v36, vcc
	v_lshlrev_b64 v[46:47], v41, v[34:35]
	v_lshlrev_b32_e32 v35, 20, v46
	v_lshlrev_b32_e32 v41, 24, v34
	v_bfrev_b32_e32 v46, 60
	v_and_b32_e32 v35, 0x700000, v35
	v_and_b32_e32 v41, 0x80000000, v41
	v_lshl_add_u32 v36, v36, 23, v46
	v_or3_b32 v36, v41, v36, v35
.LBB427_140:
	s_or_b64 exec, exec, s[20:21]
.LBB427_141:
	s_or_b64 exec, exec, s[8:9]
	v_mov_b32_e32 v35, v36
.LBB427_142:
	s_or_b64 exec, exec, s[2:3]
	v_lshrrev_b16_e32 v36, 8, v34
	v_cmp_ne_u16_e32 vcc, 0, v36
	v_mov_b32_e32 v41, 0
	v_mov_b32_e32 v46, 0
	s_and_saveexec_b64 s[2:3], vcc
	s_cbranch_execz .LBB427_148
; %bb.143:
	s_movk_i32 s8, 0x80
	v_cmp_ne_u16_e32 vcc, s8, v36
	v_bfrev_b32_e32 v46, 1
	s_and_saveexec_b64 s[8:9], vcc
	s_cbranch_execz .LBB427_147
; %bb.144:
	s_movk_i32 s11, 0x7f
	v_and_b32_e32 v47, 0x7f, v36
	v_cmp_ne_u32_e32 vcc, s11, v47
	v_mov_b32_e32 v46, 0x7f800001
	s_and_saveexec_b64 s[20:21], vcc
	s_cbranch_execz .LBB427_146
; %bb.145:
	v_and_b32_e32 v46, 7, v36
	v_ffbh_u32_e32 v48, v46
	v_min_u32_e32 v51, 32, v48
	v_subrev_u32_e32 v48, 28, v51
	v_lshlrev_b64 v[48:49], v48, v[36:37]
	v_lshrrev_b32_e32 v50, 3, v47
	v_sub_u32_e32 v36, 29, v51
	v_and_b32_e32 v48, 7, v48
	v_cmp_gt_u32_e32 vcc, 8, v47
	v_cndmask_b32_e32 v36, v50, v36, vcc
	v_cndmask_b32_e32 v46, v46, v48, vcc
	v_lshlrev_b32_e32 v34, 16, v34
	v_bfrev_b32_e32 v47, 60
	v_lshlrev_b32_e32 v46, 20, v46
	v_and_b32_e32 v34, 0x80000000, v34
	v_lshl_add_u32 v36, v36, 23, v47
	v_or3_b32 v46, v34, v36, v46
.LBB427_146:
	s_or_b64 exec, exec, s[20:21]
.LBB427_147:
	s_or_b64 exec, exec, s[8:9]
.LBB427_148:
	s_or_b64 exec, exec, s[2:3]
	s_movk_i32 s2, 0xff
	v_and_b32_sdwa v36, v31, s2 dst_sel:DWORD dst_unused:UNUSED_PAD src0_sel:WORD_1 src1_sel:DWORD
	v_lshrrev_b32_e32 v34, 16, v31
	v_cmp_ne_u16_e32 vcc, 0, v36
	s_and_saveexec_b64 s[2:3], vcc
	s_cbranch_execz .LBB427_154
; %bb.149:
	s_movk_i32 s8, 0x80
	v_cmp_ne_u16_e32 vcc, s8, v36
	v_bfrev_b32_e32 v41, 1
	s_and_saveexec_b64 s[8:9], vcc
	s_cbranch_execz .LBB427_153
; %bb.150:
	v_bfe_u32 v36, v31, 16, 7
	s_movk_i32 s11, 0x7f
	v_cmp_ne_u32_e32 vcc, s11, v36
	v_mov_b32_e32 v41, 0x7f800001
	s_and_saveexec_b64 s[20:21], vcc
	s_cbranch_execz .LBB427_152
; %bb.151:
	v_and_b32_e32 v41, 7, v34
	v_ffbh_u32_e32 v48, v41
	v_min_u32_e32 v50, 32, v48
	v_subrev_u32_e32 v48, 28, v50
	v_lshlrev_b64 v[48:49], v48, v[34:35]
	v_and_b32_e32 v48, 7, v48
	v_cmp_gt_u32_e32 vcc, 8, v36
	v_lshrrev_b32_e32 v47, 3, v36
	v_sub_u32_e32 v34, 29, v50
	v_cndmask_b32_e32 v36, v41, v48, vcc
	v_mov_b32_e32 v41, 24
	v_cndmask_b32_e32 v34, v47, v34, vcc
	v_lshlrev_b32_sdwa v41, v41, v31 dst_sel:DWORD dst_unused:UNUSED_PAD src0_sel:DWORD src1_sel:WORD_1
	v_bfrev_b32_e32 v47, 60
	v_lshlrev_b32_e32 v36, 20, v36
	v_and_b32_e32 v41, 0x80000000, v41
	v_lshl_add_u32 v34, v34, 23, v47
	v_or3_b32 v41, v41, v34, v36
.LBB427_152:
	s_or_b64 exec, exec, s[20:21]
.LBB427_153:
	s_or_b64 exec, exec, s[8:9]
.LBB427_154:
	s_or_b64 exec, exec, s[2:3]
	s_mov_b32 s2, -1
	s_mov_b32 s3, 0xffffff
	v_cmp_lt_u64_e32 vcc, s[2:3], v[30:31]
	v_mov_b32_e32 v36, 0
	v_mov_b32_e32 v34, 0
	s_and_saveexec_b64 s[2:3], vcc
	s_cbranch_execz .LBB427_160
; %bb.155:
	v_lshrrev_b32_e32 v30, 24, v31
	s_movk_i32 s8, 0x80
	v_cmp_ne_u32_e32 vcc, s8, v30
	v_bfrev_b32_e32 v34, 1
	s_and_saveexec_b64 s[8:9], vcc
	s_cbranch_execz .LBB427_159
; %bb.156:
	v_bfe_u32 v31, v31, 24, 7
	s_movk_i32 s11, 0x7f
	v_cmp_ne_u32_e32 vcc, s11, v31
	v_mov_b32_e32 v34, 0x7f800001
	s_and_saveexec_b64 s[20:21], vcc
	s_cbranch_execz .LBB427_158
; %bb.157:
	v_and_b32_e32 v34, 7, v30
	v_ffbh_u32_e32 v48, v34
	v_min_u32_e32 v50, 32, v48
	v_subrev_u32_e32 v48, 28, v50
	v_lshlrev_b64 v[48:49], v48, v[30:31]
	v_lshrrev_b32_e32 v47, 3, v31
	v_sub_u32_e32 v49, 29, v50
	v_and_b32_e32 v48, 7, v48
	v_cmp_gt_u32_e32 vcc, 8, v31
	v_cndmask_b32_e32 v31, v47, v49, vcc
	v_cndmask_b32_e32 v34, v34, v48, vcc
	v_lshlrev_b32_e32 v30, 24, v30
	v_bfrev_b32_e32 v47, 60
	v_lshlrev_b32_e32 v34, 20, v34
	v_and_b32_e32 v30, 0x80000000, v30
	v_lshl_add_u32 v31, v31, 23, v47
	v_or3_b32 v34, v30, v31, v34
.LBB427_158:
	s_or_b64 exec, exec, s[20:21]
.LBB427_159:
	s_or_b64 exec, exec, s[8:9]
.LBB427_160:
	s_or_b64 exec, exec, s[2:3]
	v_cvt_pkrtz_f16_f32 v30, v38, v39
	v_cvt_pkrtz_f16_f32 v31, v37, v40
	;; [unrolled: 1-line block ×4, first 2 shown]
	v_mfma_f32_4x4x4f16 a[0:3], v[18:19], v[30:31], a[0:3] cbsz:4 abid:2
	v_cmp_ne_u16_sdwa s[8:9], v32, v36 src0_sel:BYTE_0 src1_sel:DWORD
	v_mfma_f32_4x4x4f16 a[0:3], v[20:21], v[38:39], a[0:3] cbsz:4 abid:2
	s_and_saveexec_b64 s[2:3], s[8:9]
	s_cbranch_execz .LBB427_166
; %bb.161:
	s_movk_i32 s8, 0x80
	v_cmp_ne_u16_sdwa s[20:21], v32, s8 src0_sel:BYTE_0 src1_sel:DWORD
	v_bfrev_b32_e32 v36, 1
	s_and_saveexec_b64 s[8:9], s[20:21]
	s_cbranch_execz .LBB427_165
; %bb.162:
	s_movk_i32 s11, 0x7f
	v_and_b32_e32 v30, 0x7f, v32
	v_cmp_ne_u32_e32 vcc, s11, v30
	v_mov_b32_e32 v36, 0x7f800001
	s_and_saveexec_b64 s[20:21], vcc
	s_cbranch_execz .LBB427_164
; %bb.163:
	v_and_b32_e32 v31, 7, v32
	v_ffbh_u32_e32 v31, v31
	v_min_u32_e32 v31, 32, v31
	v_subrev_u32_e32 v35, 28, v31
	v_cmp_gt_u32_e32 vcc, 8, v30
	v_lshrrev_b32_e32 v34, 3, v30
	v_sub_u32_e32 v31, 29, v31
	v_cndmask_b32_e32 v30, 0, v35, vcc
	v_cndmask_b32_e32 v34, v34, v31, vcc
	v_lshlrev_b64 v[30:31], v30, v[32:33]
	v_lshlrev_b32_e32 v30, 20, v30
	v_lshlrev_b32_e32 v31, 24, v32
	v_bfrev_b32_e32 v35, 60
	v_and_b32_e32 v30, 0x700000, v30
	v_and_b32_e32 v31, 0x80000000, v31
	v_lshl_add_u32 v34, v34, 23, v35
	v_or3_b32 v36, v31, v34, v30
.LBB427_164:
	s_or_b64 exec, exec, s[20:21]
.LBB427_165:
	s_or_b64 exec, exec, s[8:9]
.LBB427_166:
	s_or_b64 exec, exec, s[2:3]
	v_lshrrev_b16_e32 v30, 8, v32
	v_cmp_ne_u16_e32 vcc, 0, v30
	v_mov_b32_e32 v35, 0
	v_mov_b32_e32 v37, 0
	s_and_saveexec_b64 s[2:3], vcc
	s_cbranch_execz .LBB427_172
; %bb.167:
	s_movk_i32 s8, 0x80
	v_cmp_ne_u16_e32 vcc, s8, v30
	v_bfrev_b32_e32 v37, 1
	s_and_saveexec_b64 s[8:9], vcc
	s_cbranch_execz .LBB427_171
; %bb.168:
	s_movk_i32 s11, 0x7f
	v_and_b32_e32 v31, 0x7f, v30
	v_cmp_ne_u32_e32 vcc, s11, v31
	v_mov_b32_e32 v37, 0x7f800001
	s_and_saveexec_b64 s[20:21], vcc
	s_cbranch_execz .LBB427_170
; %bb.169:
	v_and_b32_e32 v34, 7, v30
	v_ffbh_u32_e32 v38, v34
	v_min_u32_e32 v40, 32, v38
	v_subrev_u32_e32 v38, 28, v40
	v_lshlrev_b64 v[38:39], v38, v[30:31]
	v_lshrrev_b32_e32 v37, 3, v31
	v_sub_u32_e32 v30, 29, v40
	v_and_b32_e32 v38, 7, v38
	v_cmp_gt_u32_e32 vcc, 8, v31
	v_cndmask_b32_e32 v30, v37, v30, vcc
	v_cndmask_b32_e32 v31, v34, v38, vcc
	v_lshlrev_b32_e32 v34, 16, v32
	v_bfrev_b32_e32 v37, 60
	v_lshlrev_b32_e32 v31, 20, v31
	v_and_b32_e32 v34, 0x80000000, v34
	v_lshl_add_u32 v30, v30, 23, v37
	v_or3_b32 v37, v34, v30, v31
.LBB427_170:
	s_or_b64 exec, exec, s[20:21]
.LBB427_171:
	s_or_b64 exec, exec, s[8:9]
.LBB427_172:
	s_or_b64 exec, exec, s[2:3]
	s_movk_i32 s2, 0xff
	v_and_b32_sdwa v31, v32, s2 dst_sel:DWORD dst_unused:UNUSED_PAD src0_sel:WORD_1 src1_sel:DWORD
	v_lshrrev_b32_e32 v30, 16, v32
	v_cmp_ne_u16_e32 vcc, 0, v31
	s_and_saveexec_b64 s[2:3], vcc
	s_cbranch_execz .LBB427_178
; %bb.173:
	s_movk_i32 s8, 0x80
	v_cmp_ne_u16_e32 vcc, s8, v31
	v_bfrev_b32_e32 v35, 1
	s_and_saveexec_b64 s[8:9], vcc
	s_cbranch_execz .LBB427_177
; %bb.174:
	v_bfe_u32 v31, v32, 16, 7
	s_movk_i32 s11, 0x7f
	v_cmp_ne_u32_e32 vcc, s11, v31
	v_mov_b32_e32 v35, 0x7f800001
	s_and_saveexec_b64 s[20:21], vcc
	s_cbranch_execz .LBB427_176
; %bb.175:
	v_and_b32_e32 v38, 7, v30
	v_ffbh_u32_e32 v34, v38
	v_min_u32_e32 v40, 32, v34
	v_subrev_u32_e32 v34, 28, v40
	v_lshlrev_b64 v[34:35], v34, v[30:31]
	v_and_b32_e32 v34, 7, v34
	v_cmp_gt_u32_e32 vcc, 8, v31
	v_lshrrev_b32_e32 v39, 3, v31
	v_sub_u32_e32 v30, 29, v40
	v_cndmask_b32_e32 v31, v38, v34, vcc
	v_mov_b32_e32 v34, 24
	v_cndmask_b32_e32 v30, v39, v30, vcc
	v_lshlrev_b32_sdwa v34, v34, v32 dst_sel:DWORD dst_unused:UNUSED_PAD src0_sel:DWORD src1_sel:WORD_1
	v_bfrev_b32_e32 v35, 60
	v_lshlrev_b32_e32 v31, 20, v31
	v_and_b32_e32 v34, 0x80000000, v34
	v_lshl_add_u32 v30, v30, 23, v35
	v_or3_b32 v35, v34, v30, v31
.LBB427_176:
	s_or_b64 exec, exec, s[20:21]
.LBB427_177:
	s_or_b64 exec, exec, s[8:9]
.LBB427_178:
	s_or_b64 exec, exec, s[2:3]
	s_mov_b32 s2, 0xffffff
	v_cmp_lt_u32_e32 vcc, s2, v32
	v_mov_b32_e32 v31, 0
	v_mov_b32_e32 v38, 0
	s_and_saveexec_b64 s[2:3], vcc
	s_cbranch_execz .LBB427_184
; %bb.179:
	v_lshrrev_b32_e32 v30, 24, v32
	s_movk_i32 s8, 0x80
	v_cmp_ne_u32_e32 vcc, s8, v30
	v_bfrev_b32_e32 v38, 1
	s_and_saveexec_b64 s[8:9], vcc
	s_cbranch_execz .LBB427_183
; %bb.180:
	v_bfe_u32 v34, v32, 24, 7
	s_movk_i32 s11, 0x7f
	v_cmp_ne_u32_e32 vcc, s11, v34
	v_mov_b32_e32 v38, 0x7f800001
	s_and_saveexec_b64 s[20:21], vcc
	s_cbranch_execz .LBB427_182
; %bb.181:
	v_and_b32_e32 v40, 7, v30
	v_ffbh_u32_e32 v38, v40
	v_min_u32_e32 v46, 32, v38
	v_subrev_u32_e32 v38, 28, v46
	v_lshlrev_b64 v[38:39], v38, v[30:31]
	v_lshrrev_b32_e32 v41, 3, v34
	v_sub_u32_e32 v39, 29, v46
	v_and_b32_e32 v38, 7, v38
	v_cmp_gt_u32_e32 vcc, 8, v34
	v_cndmask_b32_e32 v34, v41, v39, vcc
	v_cndmask_b32_e32 v38, v40, v38, vcc
	v_lshlrev_b32_e32 v30, 24, v30
	v_bfrev_b32_e32 v39, 60
	v_lshlrev_b32_e32 v38, 20, v38
	v_and_b32_e32 v30, 0x80000000, v30
	v_lshl_add_u32 v34, v34, 23, v39
	v_or3_b32 v38, v30, v34, v38
.LBB427_182:
	s_or_b64 exec, exec, s[20:21]
.LBB427_183:
	s_or_b64 exec, exec, s[8:9]
.LBB427_184:
	s_or_b64 exec, exec, s[2:3]
	v_mov_b32_e32 v30, v33
	v_cmp_ne_u16_sdwa s[8:9], v33, v31 src0_sel:BYTE_0 src1_sel:DWORD
	s_and_saveexec_b64 s[2:3], s[8:9]
	s_cbranch_execz .LBB427_190
; %bb.185:
	s_movk_i32 s8, 0x80
	v_cmp_ne_u16_sdwa s[20:21], v33, s8 src0_sel:BYTE_0 src1_sel:DWORD
	v_bfrev_b32_e32 v34, 1
	s_and_saveexec_b64 s[8:9], s[20:21]
	s_cbranch_execz .LBB427_189
; %bb.186:
	s_movk_i32 s11, 0x7f
	v_and_b32_e32 v39, 0x7f, v33
	v_cmp_ne_u32_e32 vcc, s11, v39
	v_mov_b32_e32 v34, 0x7f800001
	s_and_saveexec_b64 s[20:21], vcc
	s_cbranch_execz .LBB427_188
; %bb.187:
	v_and_b32_e32 v34, 7, v33
	v_ffbh_u32_e32 v34, v34
	v_min_u32_e32 v34, 32, v34
	v_subrev_u32_e32 v41, 28, v34
	v_cmp_gt_u32_e32 vcc, 8, v39
	v_lshrrev_b32_e32 v40, 3, v39
	v_sub_u32_e32 v34, 29, v34
	v_cndmask_b32_e32 v39, 0, v41, vcc
	v_cndmask_b32_e32 v34, v40, v34, vcc
	v_lshlrev_b64 v[40:41], v39, v[30:31]
	v_lshlrev_b32_e32 v31, 20, v40
	v_lshlrev_b32_e32 v39, 24, v30
	v_bfrev_b32_e32 v40, 60
	v_and_b32_e32 v31, 0x700000, v31
	v_and_b32_e32 v39, 0x80000000, v39
	v_lshl_add_u32 v34, v34, 23, v40
	v_or3_b32 v34, v39, v34, v31
.LBB427_188:
	s_or_b64 exec, exec, s[20:21]
.LBB427_189:
	s_or_b64 exec, exec, s[8:9]
	v_mov_b32_e32 v31, v34
.LBB427_190:
	s_or_b64 exec, exec, s[2:3]
	v_lshrrev_b16_e32 v34, 8, v30
	v_cmp_ne_u16_e32 vcc, 0, v34
	v_mov_b32_e32 v39, 0
	v_mov_b32_e32 v40, 0
	s_and_saveexec_b64 s[2:3], vcc
	s_cbranch_execz .LBB427_196
; %bb.191:
	s_movk_i32 s8, 0x80
	v_cmp_ne_u16_e32 vcc, s8, v34
	v_bfrev_b32_e32 v40, 1
	s_and_saveexec_b64 s[8:9], vcc
	s_cbranch_execz .LBB427_195
; %bb.192:
	s_movk_i32 s11, 0x7f
	v_and_b32_e32 v41, 0x7f, v34
	v_cmp_ne_u32_e32 vcc, s11, v41
	v_mov_b32_e32 v40, 0x7f800001
	s_and_saveexec_b64 s[20:21], vcc
	s_cbranch_execz .LBB427_194
; %bb.193:
	v_and_b32_e32 v40, 7, v34
	v_ffbh_u32_e32 v46, v40
	v_min_u32_e32 v49, 32, v46
	v_subrev_u32_e32 v46, 28, v49
	v_lshlrev_b64 v[46:47], v46, v[34:35]
	v_lshrrev_b32_e32 v48, 3, v41
	v_sub_u32_e32 v34, 29, v49
	v_and_b32_e32 v46, 7, v46
	v_cmp_gt_u32_e32 vcc, 8, v41
	v_cndmask_b32_e32 v34, v48, v34, vcc
	v_cndmask_b32_e32 v40, v40, v46, vcc
	v_lshlrev_b32_e32 v30, 16, v30
	v_bfrev_b32_e32 v41, 60
	v_lshlrev_b32_e32 v40, 20, v40
	v_and_b32_e32 v30, 0x80000000, v30
	v_lshl_add_u32 v34, v34, 23, v41
	v_or3_b32 v40, v30, v34, v40
.LBB427_194:
	s_or_b64 exec, exec, s[20:21]
.LBB427_195:
	s_or_b64 exec, exec, s[8:9]
.LBB427_196:
	s_or_b64 exec, exec, s[2:3]
	s_movk_i32 s2, 0xff
	v_and_b32_sdwa v34, v33, s2 dst_sel:DWORD dst_unused:UNUSED_PAD src0_sel:WORD_1 src1_sel:DWORD
	v_lshrrev_b32_e32 v30, 16, v33
	v_cmp_ne_u16_e32 vcc, 0, v34
	s_and_saveexec_b64 s[2:3], vcc
	s_cbranch_execz .LBB427_202
; %bb.197:
	s_movk_i32 s8, 0x80
	v_cmp_ne_u16_e32 vcc, s8, v34
	v_bfrev_b32_e32 v39, 1
	s_and_saveexec_b64 s[8:9], vcc
	s_cbranch_execz .LBB427_201
; %bb.198:
	v_bfe_u32 v34, v33, 16, 7
	s_movk_i32 s11, 0x7f
	v_cmp_ne_u32_e32 vcc, s11, v34
	v_mov_b32_e32 v39, 0x7f800001
	s_and_saveexec_b64 s[20:21], vcc
	s_cbranch_execz .LBB427_200
; %bb.199:
	v_and_b32_e32 v39, 7, v30
	v_ffbh_u32_e32 v46, v39
	v_min_u32_e32 v48, 32, v46
	v_subrev_u32_e32 v46, 28, v48
	v_lshlrev_b64 v[46:47], v46, v[30:31]
	v_and_b32_e32 v46, 7, v46
	v_cmp_gt_u32_e32 vcc, 8, v34
	v_lshrrev_b32_e32 v41, 3, v34
	v_sub_u32_e32 v30, 29, v48
	v_cndmask_b32_e32 v34, v39, v46, vcc
	v_mov_b32_e32 v39, 24
	v_cndmask_b32_e32 v30, v41, v30, vcc
	v_lshlrev_b32_sdwa v39, v39, v33 dst_sel:DWORD dst_unused:UNUSED_PAD src0_sel:DWORD src1_sel:WORD_1
	v_bfrev_b32_e32 v41, 60
	v_lshlrev_b32_e32 v34, 20, v34
	v_and_b32_e32 v39, 0x80000000, v39
	v_lshl_add_u32 v30, v30, 23, v41
	v_or3_b32 v39, v39, v30, v34
.LBB427_200:
	s_or_b64 exec, exec, s[20:21]
.LBB427_201:
	s_or_b64 exec, exec, s[8:9]
.LBB427_202:
	s_or_b64 exec, exec, s[2:3]
	s_mov_b32 s2, -1
	s_mov_b32 s3, 0xffffff
	v_cmp_lt_u64_e32 vcc, s[2:3], v[32:33]
	v_mov_b32_e32 v34, 0
	v_mov_b32_e32 v32, 0
	s_and_saveexec_b64 s[2:3], vcc
	s_cbranch_execz .LBB427_208
; %bb.203:
	v_lshrrev_b32_e32 v30, 24, v33
	s_movk_i32 s8, 0x80
	v_cmp_ne_u32_e32 vcc, s8, v30
	v_bfrev_b32_e32 v32, 1
	s_and_saveexec_b64 s[8:9], vcc
	s_cbranch_execz .LBB427_207
; %bb.204:
	v_bfe_u32 v33, v33, 24, 7
	s_movk_i32 s11, 0x7f
	v_cmp_ne_u32_e32 vcc, s11, v33
	v_mov_b32_e32 v32, 0x7f800001
	s_and_saveexec_b64 s[20:21], vcc
	s_cbranch_execz .LBB427_206
; %bb.205:
	v_and_b32_e32 v32, 7, v30
	v_ffbh_u32_e32 v46, v32
	v_min_u32_e32 v48, 32, v46
	v_subrev_u32_e32 v46, 28, v48
	v_lshlrev_b64 v[46:47], v46, v[30:31]
	v_lshrrev_b32_e32 v41, 3, v33
	v_sub_u32_e32 v47, 29, v48
	v_and_b32_e32 v46, 7, v46
	v_cmp_gt_u32_e32 vcc, 8, v33
	v_cndmask_b32_e32 v33, v41, v47, vcc
	v_cndmask_b32_e32 v32, v32, v46, vcc
	v_lshlrev_b32_e32 v30, 24, v30
	v_bfrev_b32_e32 v41, 60
	v_lshlrev_b32_e32 v32, 20, v32
	v_and_b32_e32 v30, 0x80000000, v30
	v_lshl_add_u32 v33, v33, 23, v41
	v_or3_b32 v32, v30, v33, v32
.LBB427_206:
	s_or_b64 exec, exec, s[20:21]
.LBB427_207:
	s_or_b64 exec, exec, s[8:9]
.LBB427_208:
	s_or_b64 exec, exec, s[2:3]
	v_cvt_pkrtz_f16_f32 v36, v36, v37
	v_cvt_pkrtz_f16_f32 v37, v35, v38
	v_cvt_pkrtz_f16_f32 v30, v31, v40
	v_cvt_pkrtz_f16_f32 v31, v39, v32
	v_mfma_f32_4x4x4f16 a[0:3], v[18:19], v[36:37], a[0:3] cbsz:4 abid:3
	s_waitcnt vmcnt(5)
	v_cmp_ne_u16_sdwa s[8:9], v26, v34 src0_sel:BYTE_0 src1_sel:DWORD
	v_mfma_f32_4x4x4f16 a[0:3], v[20:21], v[30:31], a[0:3] cbsz:4 abid:3
	s_and_saveexec_b64 s[2:3], s[8:9]
	s_cbranch_execz .LBB427_214
; %bb.209:
	s_movk_i32 s8, 0x80
	v_cmp_ne_u16_sdwa s[20:21], v26, s8 src0_sel:BYTE_0 src1_sel:DWORD
	v_bfrev_b32_e32 v34, 1
	s_and_saveexec_b64 s[8:9], s[20:21]
	s_cbranch_execz .LBB427_213
; %bb.210:
	s_movk_i32 s11, 0x7f
	v_and_b32_e32 v30, 0x7f, v26
	v_cmp_ne_u32_e32 vcc, s11, v30
	v_mov_b32_e32 v34, 0x7f800001
	s_and_saveexec_b64 s[20:21], vcc
	s_cbranch_execz .LBB427_212
; %bb.211:
	v_and_b32_e32 v31, 7, v26
	v_ffbh_u32_e32 v31, v31
	v_min_u32_e32 v31, 32, v31
	v_subrev_u32_e32 v33, 28, v31
	v_cmp_gt_u32_e32 vcc, 8, v30
	v_lshrrev_b32_e32 v32, 3, v30
	v_sub_u32_e32 v31, 29, v31
	v_cndmask_b32_e32 v30, 0, v33, vcc
	v_cndmask_b32_e32 v32, v32, v31, vcc
	v_lshlrev_b64 v[30:31], v30, v[26:27]
	v_lshlrev_b32_e32 v30, 20, v30
	v_lshlrev_b32_e32 v31, 24, v26
	v_bfrev_b32_e32 v33, 60
	v_and_b32_e32 v30, 0x700000, v30
	v_and_b32_e32 v31, 0x80000000, v31
	v_lshl_add_u32 v32, v32, 23, v33
	v_or3_b32 v34, v31, v32, v30
.LBB427_212:
	s_or_b64 exec, exec, s[20:21]
.LBB427_213:
	s_or_b64 exec, exec, s[8:9]
.LBB427_214:
	s_or_b64 exec, exec, s[2:3]
	v_lshrrev_b16_e32 v30, 8, v26
	v_cmp_ne_u16_e32 vcc, 0, v30
	v_mov_b32_e32 v33, 0
	v_mov_b32_e32 v35, 0
	s_and_saveexec_b64 s[2:3], vcc
	s_cbranch_execz .LBB427_220
; %bb.215:
	s_movk_i32 s8, 0x80
	v_cmp_ne_u16_e32 vcc, s8, v30
	v_bfrev_b32_e32 v35, 1
	s_and_saveexec_b64 s[8:9], vcc
	s_cbranch_execz .LBB427_219
; %bb.216:
	s_movk_i32 s11, 0x7f
	v_and_b32_e32 v31, 0x7f, v30
	v_cmp_ne_u32_e32 vcc, s11, v31
	v_mov_b32_e32 v35, 0x7f800001
	s_and_saveexec_b64 s[20:21], vcc
	s_cbranch_execz .LBB427_218
; %bb.217:
	v_and_b32_e32 v32, 7, v30
	v_ffbh_u32_e32 v36, v32
	v_min_u32_e32 v38, 32, v36
	v_subrev_u32_e32 v36, 28, v38
	v_lshlrev_b64 v[36:37], v36, v[30:31]
	v_lshrrev_b32_e32 v35, 3, v31
	v_sub_u32_e32 v30, 29, v38
	v_and_b32_e32 v36, 7, v36
	v_cmp_gt_u32_e32 vcc, 8, v31
	v_cndmask_b32_e32 v30, v35, v30, vcc
	v_cndmask_b32_e32 v31, v32, v36, vcc
	v_lshlrev_b32_e32 v32, 16, v26
	v_bfrev_b32_e32 v35, 60
	v_lshlrev_b32_e32 v31, 20, v31
	v_and_b32_e32 v32, 0x80000000, v32
	v_lshl_add_u32 v30, v30, 23, v35
	v_or3_b32 v35, v32, v30, v31
.LBB427_218:
	s_or_b64 exec, exec, s[20:21]
.LBB427_219:
	s_or_b64 exec, exec, s[8:9]
.LBB427_220:
	s_or_b64 exec, exec, s[2:3]
	s_movk_i32 s2, 0xff
	v_and_b32_sdwa v31, v26, s2 dst_sel:DWORD dst_unused:UNUSED_PAD src0_sel:WORD_1 src1_sel:DWORD
	v_lshrrev_b32_e32 v30, 16, v26
	v_cmp_ne_u16_e32 vcc, 0, v31
	s_and_saveexec_b64 s[2:3], vcc
	s_cbranch_execz .LBB427_226
; %bb.221:
	s_movk_i32 s8, 0x80
	v_cmp_ne_u16_e32 vcc, s8, v31
	v_bfrev_b32_e32 v33, 1
	s_and_saveexec_b64 s[8:9], vcc
	s_cbranch_execz .LBB427_225
; %bb.222:
	v_bfe_u32 v31, v26, 16, 7
	s_movk_i32 s11, 0x7f
	v_cmp_ne_u32_e32 vcc, s11, v31
	v_mov_b32_e32 v33, 0x7f800001
	s_and_saveexec_b64 s[20:21], vcc
	s_cbranch_execz .LBB427_224
; %bb.223:
	v_and_b32_e32 v36, 7, v30
	v_ffbh_u32_e32 v32, v36
	v_min_u32_e32 v38, 32, v32
	v_subrev_u32_e32 v32, 28, v38
	v_lshlrev_b64 v[32:33], v32, v[30:31]
	v_and_b32_e32 v32, 7, v32
	v_cmp_gt_u32_e32 vcc, 8, v31
	v_lshrrev_b32_e32 v37, 3, v31
	v_sub_u32_e32 v30, 29, v38
	v_cndmask_b32_e32 v31, v36, v32, vcc
	v_mov_b32_e32 v32, 24
	v_cndmask_b32_e32 v30, v37, v30, vcc
	v_lshlrev_b32_sdwa v32, v32, v26 dst_sel:DWORD dst_unused:UNUSED_PAD src0_sel:DWORD src1_sel:WORD_1
	v_bfrev_b32_e32 v33, 60
	v_lshlrev_b32_e32 v31, 20, v31
	v_and_b32_e32 v32, 0x80000000, v32
	v_lshl_add_u32 v30, v30, 23, v33
	v_or3_b32 v33, v32, v30, v31
.LBB427_224:
	s_or_b64 exec, exec, s[20:21]
.LBB427_225:
	s_or_b64 exec, exec, s[8:9]
.LBB427_226:
	s_or_b64 exec, exec, s[2:3]
	s_mov_b32 s2, 0xffffff
	v_cmp_lt_u32_e32 vcc, s2, v26
	v_mov_b32_e32 v31, 0
	v_mov_b32_e32 v36, 0
	s_and_saveexec_b64 s[2:3], vcc
	s_cbranch_execz .LBB427_232
; %bb.227:
	v_lshrrev_b32_e32 v30, 24, v26
	s_movk_i32 s8, 0x80
	v_cmp_ne_u32_e32 vcc, s8, v30
	v_bfrev_b32_e32 v36, 1
	s_and_saveexec_b64 s[8:9], vcc
	s_cbranch_execz .LBB427_231
; %bb.228:
	v_bfe_u32 v32, v26, 24, 7
	s_movk_i32 s11, 0x7f
	v_cmp_ne_u32_e32 vcc, s11, v32
	v_mov_b32_e32 v36, 0x7f800001
	s_and_saveexec_b64 s[20:21], vcc
	s_cbranch_execz .LBB427_230
; %bb.229:
	v_and_b32_e32 v38, 7, v30
	v_ffbh_u32_e32 v36, v38
	v_min_u32_e32 v40, 32, v36
	v_subrev_u32_e32 v36, 28, v40
	v_lshlrev_b64 v[36:37], v36, v[30:31]
	v_lshrrev_b32_e32 v39, 3, v32
	v_sub_u32_e32 v37, 29, v40
	v_and_b32_e32 v36, 7, v36
	v_cmp_gt_u32_e32 vcc, 8, v32
	v_cndmask_b32_e32 v32, v39, v37, vcc
	v_cndmask_b32_e32 v36, v38, v36, vcc
	v_lshlrev_b32_e32 v30, 24, v30
	v_bfrev_b32_e32 v37, 60
	v_lshlrev_b32_e32 v36, 20, v36
	v_and_b32_e32 v30, 0x80000000, v30
	v_lshl_add_u32 v32, v32, 23, v37
	v_or3_b32 v36, v30, v32, v36
.LBB427_230:
	s_or_b64 exec, exec, s[20:21]
.LBB427_231:
	s_or_b64 exec, exec, s[8:9]
.LBB427_232:
	s_or_b64 exec, exec, s[2:3]
	v_mov_b32_e32 v30, v27
	v_cmp_ne_u16_sdwa s[8:9], v27, v31 src0_sel:BYTE_0 src1_sel:DWORD
	s_and_saveexec_b64 s[2:3], s[8:9]
	s_cbranch_execz .LBB427_238
; %bb.233:
	s_movk_i32 s8, 0x80
	v_cmp_ne_u16_sdwa s[20:21], v27, s8 src0_sel:BYTE_0 src1_sel:DWORD
	v_bfrev_b32_e32 v32, 1
	s_and_saveexec_b64 s[8:9], s[20:21]
	s_cbranch_execz .LBB427_237
; %bb.234:
	s_movk_i32 s11, 0x7f
	v_and_b32_e32 v37, 0x7f, v27
	v_cmp_ne_u32_e32 vcc, s11, v37
	v_mov_b32_e32 v32, 0x7f800001
	s_and_saveexec_b64 s[20:21], vcc
	s_cbranch_execz .LBB427_236
; %bb.235:
	v_and_b32_e32 v32, 7, v27
	v_ffbh_u32_e32 v32, v32
	v_min_u32_e32 v32, 32, v32
	v_subrev_u32_e32 v39, 28, v32
	v_cmp_gt_u32_e32 vcc, 8, v37
	v_lshrrev_b32_e32 v38, 3, v37
	v_sub_u32_e32 v32, 29, v32
	v_cndmask_b32_e32 v37, 0, v39, vcc
	v_cndmask_b32_e32 v32, v38, v32, vcc
	v_lshlrev_b64 v[38:39], v37, v[30:31]
	v_lshlrev_b32_e32 v31, 20, v38
	v_lshlrev_b32_e32 v37, 24, v30
	v_bfrev_b32_e32 v38, 60
	v_and_b32_e32 v31, 0x700000, v31
	v_and_b32_e32 v37, 0x80000000, v37
	v_lshl_add_u32 v32, v32, 23, v38
	v_or3_b32 v32, v37, v32, v31
.LBB427_236:
	s_or_b64 exec, exec, s[20:21]
.LBB427_237:
	s_or_b64 exec, exec, s[8:9]
	v_mov_b32_e32 v31, v32
.LBB427_238:
	s_or_b64 exec, exec, s[2:3]
	v_lshrrev_b16_e32 v32, 8, v30
	v_cmp_ne_u16_e32 vcc, 0, v32
	v_mov_b32_e32 v37, 0
	v_mov_b32_e32 v38, 0
	s_and_saveexec_b64 s[2:3], vcc
	s_cbranch_execz .LBB427_244
; %bb.239:
	s_movk_i32 s8, 0x80
	v_cmp_ne_u16_e32 vcc, s8, v32
	v_bfrev_b32_e32 v38, 1
	s_and_saveexec_b64 s[8:9], vcc
	s_cbranch_execz .LBB427_243
; %bb.240:
	s_movk_i32 s11, 0x7f
	v_and_b32_e32 v39, 0x7f, v32
	v_cmp_ne_u32_e32 vcc, s11, v39
	v_mov_b32_e32 v38, 0x7f800001
	s_and_saveexec_b64 s[20:21], vcc
	s_cbranch_execz .LBB427_242
; %bb.241:
	v_and_b32_e32 v38, 7, v32
	v_ffbh_u32_e32 v40, v38
	v_min_u32_e32 v47, 32, v40
	v_subrev_u32_e32 v40, 28, v47
	v_lshlrev_b64 v[40:41], v40, v[32:33]
	v_lshrrev_b32_e32 v46, 3, v39
	v_sub_u32_e32 v32, 29, v47
	v_and_b32_e32 v40, 7, v40
	v_cmp_gt_u32_e32 vcc, 8, v39
	v_cndmask_b32_e32 v32, v46, v32, vcc
	v_cndmask_b32_e32 v38, v38, v40, vcc
	v_lshlrev_b32_e32 v30, 16, v30
	v_bfrev_b32_e32 v39, 60
	v_lshlrev_b32_e32 v38, 20, v38
	v_and_b32_e32 v30, 0x80000000, v30
	v_lshl_add_u32 v32, v32, 23, v39
	v_or3_b32 v38, v30, v32, v38
.LBB427_242:
	s_or_b64 exec, exec, s[20:21]
.LBB427_243:
	s_or_b64 exec, exec, s[8:9]
.LBB427_244:
	s_or_b64 exec, exec, s[2:3]
	s_movk_i32 s2, 0xff
	v_and_b32_sdwa v32, v27, s2 dst_sel:DWORD dst_unused:UNUSED_PAD src0_sel:WORD_1 src1_sel:DWORD
	v_lshrrev_b32_e32 v30, 16, v27
	v_cmp_ne_u16_e32 vcc, 0, v32
	s_and_saveexec_b64 s[2:3], vcc
	s_cbranch_execz .LBB427_250
; %bb.245:
	s_movk_i32 s8, 0x80
	v_cmp_ne_u16_e32 vcc, s8, v32
	v_bfrev_b32_e32 v37, 1
	s_and_saveexec_b64 s[8:9], vcc
	s_cbranch_execz .LBB427_249
; %bb.246:
	v_bfe_u32 v32, v27, 16, 7
	s_movk_i32 s11, 0x7f
	v_cmp_ne_u32_e32 vcc, s11, v32
	v_mov_b32_e32 v37, 0x7f800001
	s_and_saveexec_b64 s[20:21], vcc
	s_cbranch_execz .LBB427_248
; %bb.247:
	v_and_b32_e32 v37, 7, v30
	v_ffbh_u32_e32 v40, v37
	v_min_u32_e32 v46, 32, v40
	v_subrev_u32_e32 v40, 28, v46
	v_lshlrev_b64 v[40:41], v40, v[30:31]
	v_and_b32_e32 v40, 7, v40
	v_cmp_gt_u32_e32 vcc, 8, v32
	v_lshrrev_b32_e32 v39, 3, v32
	v_sub_u32_e32 v30, 29, v46
	v_cndmask_b32_e32 v32, v37, v40, vcc
	v_mov_b32_e32 v37, 24
	v_cndmask_b32_e32 v30, v39, v30, vcc
	v_lshlrev_b32_sdwa v37, v37, v27 dst_sel:DWORD dst_unused:UNUSED_PAD src0_sel:DWORD src1_sel:WORD_1
	v_bfrev_b32_e32 v39, 60
	v_lshlrev_b32_e32 v32, 20, v32
	v_and_b32_e32 v37, 0x80000000, v37
	v_lshl_add_u32 v30, v30, 23, v39
	v_or3_b32 v37, v37, v30, v32
.LBB427_248:
	s_or_b64 exec, exec, s[20:21]
.LBB427_249:
	s_or_b64 exec, exec, s[8:9]
.LBB427_250:
	s_or_b64 exec, exec, s[2:3]
	s_mov_b32 s2, -1
	s_mov_b32 s3, 0xffffff
	v_cmp_lt_u64_e32 vcc, s[2:3], v[26:27]
	v_mov_b32_e32 v32, 0
	v_mov_b32_e32 v30, 0
	s_and_saveexec_b64 s[2:3], vcc
	s_cbranch_execz .LBB427_256
; %bb.251:
	v_lshrrev_b32_e32 v26, 24, v27
	s_movk_i32 s8, 0x80
	v_cmp_ne_u32_e32 vcc, s8, v26
	v_bfrev_b32_e32 v30, 1
	s_and_saveexec_b64 s[8:9], vcc
	s_cbranch_execz .LBB427_255
; %bb.252:
	v_bfe_u32 v27, v27, 24, 7
	s_movk_i32 s11, 0x7f
	v_cmp_ne_u32_e32 vcc, s11, v27
	v_mov_b32_e32 v30, 0x7f800001
	s_and_saveexec_b64 s[20:21], vcc
	s_cbranch_execz .LBB427_254
; %bb.253:
	v_and_b32_e32 v30, 7, v26
	v_ffbh_u32_e32 v40, v30
	v_min_u32_e32 v46, 32, v40
	v_subrev_u32_e32 v40, 28, v46
	v_lshlrev_b64 v[40:41], v40, v[26:27]
	v_lshrrev_b32_e32 v39, 3, v27
	v_sub_u32_e32 v41, 29, v46
	v_and_b32_e32 v40, 7, v40
	v_cmp_gt_u32_e32 vcc, 8, v27
	v_cndmask_b32_e32 v27, v39, v41, vcc
	v_cndmask_b32_e32 v30, v30, v40, vcc
	v_lshlrev_b32_e32 v26, 24, v26
	v_bfrev_b32_e32 v39, 60
	v_lshlrev_b32_e32 v30, 20, v30
	v_and_b32_e32 v26, 0x80000000, v26
	v_lshl_add_u32 v27, v27, 23, v39
	v_or3_b32 v30, v26, v27, v30
.LBB427_254:
	s_or_b64 exec, exec, s[20:21]
.LBB427_255:
	s_or_b64 exec, exec, s[8:9]
.LBB427_256:
	s_or_b64 exec, exec, s[2:3]
	v_cvt_pkrtz_f16_f32 v26, v34, v35
	v_cvt_pkrtz_f16_f32 v27, v33, v36
	;; [unrolled: 1-line block ×4, first 2 shown]
	v_mfma_f32_4x4x4f16 a[0:3], v[18:19], v[26:27], a[0:3] cbsz:4 abid:4
	v_cmp_ne_u16_sdwa s[8:9], v28, v32 src0_sel:BYTE_0 src1_sel:DWORD
	v_mfma_f32_4x4x4f16 a[0:3], v[20:21], v[34:35], a[0:3] cbsz:4 abid:4
	s_and_saveexec_b64 s[2:3], s[8:9]
	s_cbranch_execz .LBB427_262
; %bb.257:
	s_movk_i32 s8, 0x80
	v_cmp_ne_u16_sdwa s[20:21], v28, s8 src0_sel:BYTE_0 src1_sel:DWORD
	v_bfrev_b32_e32 v32, 1
	s_and_saveexec_b64 s[8:9], s[20:21]
	s_cbranch_execz .LBB427_261
; %bb.258:
	s_movk_i32 s11, 0x7f
	v_and_b32_e32 v26, 0x7f, v28
	v_cmp_ne_u32_e32 vcc, s11, v26
	v_mov_b32_e32 v32, 0x7f800001
	s_and_saveexec_b64 s[20:21], vcc
	s_cbranch_execz .LBB427_260
; %bb.259:
	v_and_b32_e32 v27, 7, v28
	v_ffbh_u32_e32 v27, v27
	v_min_u32_e32 v27, 32, v27
	v_subrev_u32_e32 v31, 28, v27
	v_cmp_gt_u32_e32 vcc, 8, v26
	v_lshrrev_b32_e32 v30, 3, v26
	v_sub_u32_e32 v27, 29, v27
	v_cndmask_b32_e32 v26, 0, v31, vcc
	v_cndmask_b32_e32 v30, v30, v27, vcc
	v_lshlrev_b64 v[26:27], v26, v[28:29]
	v_lshlrev_b32_e32 v26, 20, v26
	v_lshlrev_b32_e32 v27, 24, v28
	v_bfrev_b32_e32 v31, 60
	v_and_b32_e32 v26, 0x700000, v26
	v_and_b32_e32 v27, 0x80000000, v27
	v_lshl_add_u32 v30, v30, 23, v31
	v_or3_b32 v32, v27, v30, v26
.LBB427_260:
	s_or_b64 exec, exec, s[20:21]
.LBB427_261:
	s_or_b64 exec, exec, s[8:9]
.LBB427_262:
	s_or_b64 exec, exec, s[2:3]
	v_lshrrev_b16_e32 v26, 8, v28
	v_cmp_ne_u16_e32 vcc, 0, v26
	v_mov_b32_e32 v31, 0
	v_mov_b32_e32 v33, 0
	s_and_saveexec_b64 s[2:3], vcc
	s_cbranch_execz .LBB427_268
; %bb.263:
	s_movk_i32 s8, 0x80
	v_cmp_ne_u16_e32 vcc, s8, v26
	v_bfrev_b32_e32 v33, 1
	s_and_saveexec_b64 s[8:9], vcc
	s_cbranch_execz .LBB427_267
; %bb.264:
	s_movk_i32 s11, 0x7f
	v_and_b32_e32 v27, 0x7f, v26
	v_cmp_ne_u32_e32 vcc, s11, v27
	v_mov_b32_e32 v33, 0x7f800001
	s_and_saveexec_b64 s[20:21], vcc
	s_cbranch_execz .LBB427_266
; %bb.265:
	v_and_b32_e32 v30, 7, v26
	v_ffbh_u32_e32 v34, v30
	v_min_u32_e32 v36, 32, v34
	v_subrev_u32_e32 v34, 28, v36
	v_lshlrev_b64 v[34:35], v34, v[26:27]
	v_lshrrev_b32_e32 v33, 3, v27
	v_sub_u32_e32 v26, 29, v36
	v_and_b32_e32 v34, 7, v34
	v_cmp_gt_u32_e32 vcc, 8, v27
	v_cndmask_b32_e32 v26, v33, v26, vcc
	v_cndmask_b32_e32 v27, v30, v34, vcc
	v_lshlrev_b32_e32 v30, 16, v28
	v_bfrev_b32_e32 v33, 60
	v_lshlrev_b32_e32 v27, 20, v27
	v_and_b32_e32 v30, 0x80000000, v30
	v_lshl_add_u32 v26, v26, 23, v33
	v_or3_b32 v33, v30, v26, v27
.LBB427_266:
	s_or_b64 exec, exec, s[20:21]
.LBB427_267:
	s_or_b64 exec, exec, s[8:9]
.LBB427_268:
	s_or_b64 exec, exec, s[2:3]
	s_movk_i32 s2, 0xff
	v_and_b32_sdwa v27, v28, s2 dst_sel:DWORD dst_unused:UNUSED_PAD src0_sel:WORD_1 src1_sel:DWORD
	v_lshrrev_b32_e32 v26, 16, v28
	v_cmp_ne_u16_e32 vcc, 0, v27
	s_and_saveexec_b64 s[2:3], vcc
	s_cbranch_execz .LBB427_274
; %bb.269:
	s_movk_i32 s8, 0x80
	v_cmp_ne_u16_e32 vcc, s8, v27
	v_bfrev_b32_e32 v31, 1
	s_and_saveexec_b64 s[8:9], vcc
	s_cbranch_execz .LBB427_273
; %bb.270:
	v_bfe_u32 v27, v28, 16, 7
	s_movk_i32 s11, 0x7f
	v_cmp_ne_u32_e32 vcc, s11, v27
	v_mov_b32_e32 v31, 0x7f800001
	s_and_saveexec_b64 s[20:21], vcc
	s_cbranch_execz .LBB427_272
; %bb.271:
	v_and_b32_e32 v34, 7, v26
	v_ffbh_u32_e32 v30, v34
	v_min_u32_e32 v36, 32, v30
	v_subrev_u32_e32 v30, 28, v36
	v_lshlrev_b64 v[30:31], v30, v[26:27]
	v_and_b32_e32 v30, 7, v30
	v_cmp_gt_u32_e32 vcc, 8, v27
	v_lshrrev_b32_e32 v35, 3, v27
	v_sub_u32_e32 v26, 29, v36
	v_cndmask_b32_e32 v27, v34, v30, vcc
	v_mov_b32_e32 v30, 24
	v_cndmask_b32_e32 v26, v35, v26, vcc
	v_lshlrev_b32_sdwa v30, v30, v28 dst_sel:DWORD dst_unused:UNUSED_PAD src0_sel:DWORD src1_sel:WORD_1
	v_bfrev_b32_e32 v31, 60
	v_lshlrev_b32_e32 v27, 20, v27
	v_and_b32_e32 v30, 0x80000000, v30
	v_lshl_add_u32 v26, v26, 23, v31
	v_or3_b32 v31, v30, v26, v27
.LBB427_272:
	s_or_b64 exec, exec, s[20:21]
.LBB427_273:
	s_or_b64 exec, exec, s[8:9]
.LBB427_274:
	s_or_b64 exec, exec, s[2:3]
	s_mov_b32 s2, 0xffffff
	v_cmp_lt_u32_e32 vcc, s2, v28
	v_mov_b32_e32 v27, 0
	v_mov_b32_e32 v34, 0
	s_and_saveexec_b64 s[2:3], vcc
	s_cbranch_execz .LBB427_280
; %bb.275:
	v_lshrrev_b32_e32 v26, 24, v28
	s_movk_i32 s8, 0x80
	v_cmp_ne_u32_e32 vcc, s8, v26
	v_bfrev_b32_e32 v34, 1
	s_and_saveexec_b64 s[8:9], vcc
	s_cbranch_execz .LBB427_279
; %bb.276:
	v_bfe_u32 v30, v28, 24, 7
	s_movk_i32 s11, 0x7f
	v_cmp_ne_u32_e32 vcc, s11, v30
	v_mov_b32_e32 v34, 0x7f800001
	s_and_saveexec_b64 s[20:21], vcc
	s_cbranch_execz .LBB427_278
; %bb.277:
	v_and_b32_e32 v36, 7, v26
	v_ffbh_u32_e32 v34, v36
	v_min_u32_e32 v38, 32, v34
	v_subrev_u32_e32 v34, 28, v38
	v_lshlrev_b64 v[34:35], v34, v[26:27]
	v_lshrrev_b32_e32 v37, 3, v30
	v_sub_u32_e32 v35, 29, v38
	v_and_b32_e32 v34, 7, v34
	v_cmp_gt_u32_e32 vcc, 8, v30
	v_cndmask_b32_e32 v30, v37, v35, vcc
	v_cndmask_b32_e32 v34, v36, v34, vcc
	v_lshlrev_b32_e32 v26, 24, v26
	v_bfrev_b32_e32 v35, 60
	v_lshlrev_b32_e32 v34, 20, v34
	v_and_b32_e32 v26, 0x80000000, v26
	v_lshl_add_u32 v30, v30, 23, v35
	v_or3_b32 v34, v26, v30, v34
.LBB427_278:
	s_or_b64 exec, exec, s[20:21]
.LBB427_279:
	s_or_b64 exec, exec, s[8:9]
.LBB427_280:
	s_or_b64 exec, exec, s[2:3]
	v_mov_b32_e32 v26, v29
	v_cmp_ne_u16_sdwa s[8:9], v29, v27 src0_sel:BYTE_0 src1_sel:DWORD
	s_and_saveexec_b64 s[2:3], s[8:9]
	s_cbranch_execz .LBB427_286
; %bb.281:
	s_movk_i32 s8, 0x80
	v_cmp_ne_u16_sdwa s[20:21], v29, s8 src0_sel:BYTE_0 src1_sel:DWORD
	v_bfrev_b32_e32 v30, 1
	s_and_saveexec_b64 s[8:9], s[20:21]
	s_cbranch_execz .LBB427_285
; %bb.282:
	s_movk_i32 s11, 0x7f
	v_and_b32_e32 v35, 0x7f, v29
	v_cmp_ne_u32_e32 vcc, s11, v35
	v_mov_b32_e32 v30, 0x7f800001
	s_and_saveexec_b64 s[20:21], vcc
	s_cbranch_execz .LBB427_284
; %bb.283:
	v_and_b32_e32 v30, 7, v29
	v_ffbh_u32_e32 v30, v30
	v_min_u32_e32 v30, 32, v30
	v_subrev_u32_e32 v37, 28, v30
	v_cmp_gt_u32_e32 vcc, 8, v35
	v_lshrrev_b32_e32 v36, 3, v35
	v_sub_u32_e32 v30, 29, v30
	v_cndmask_b32_e32 v35, 0, v37, vcc
	v_cndmask_b32_e32 v30, v36, v30, vcc
	v_lshlrev_b64 v[36:37], v35, v[26:27]
	v_lshlrev_b32_e32 v27, 20, v36
	v_lshlrev_b32_e32 v35, 24, v26
	v_bfrev_b32_e32 v36, 60
	v_and_b32_e32 v27, 0x700000, v27
	v_and_b32_e32 v35, 0x80000000, v35
	v_lshl_add_u32 v30, v30, 23, v36
	v_or3_b32 v30, v35, v30, v27
.LBB427_284:
	s_or_b64 exec, exec, s[20:21]
.LBB427_285:
	s_or_b64 exec, exec, s[8:9]
	v_mov_b32_e32 v27, v30
.LBB427_286:
	s_or_b64 exec, exec, s[2:3]
	v_lshrrev_b16_e32 v30, 8, v26
	v_cmp_ne_u16_e32 vcc, 0, v30
	v_mov_b32_e32 v35, 0
	v_mov_b32_e32 v36, 0
	s_and_saveexec_b64 s[2:3], vcc
	s_cbranch_execz .LBB427_292
; %bb.287:
	s_movk_i32 s8, 0x80
	v_cmp_ne_u16_e32 vcc, s8, v30
	v_bfrev_b32_e32 v36, 1
	s_and_saveexec_b64 s[8:9], vcc
	s_cbranch_execz .LBB427_291
; %bb.288:
	s_movk_i32 s11, 0x7f
	v_and_b32_e32 v37, 0x7f, v30
	v_cmp_ne_u32_e32 vcc, s11, v37
	v_mov_b32_e32 v36, 0x7f800001
	s_and_saveexec_b64 s[20:21], vcc
	s_cbranch_execz .LBB427_290
; %bb.289:
	v_and_b32_e32 v36, 7, v30
	v_ffbh_u32_e32 v38, v36
	v_min_u32_e32 v41, 32, v38
	v_subrev_u32_e32 v38, 28, v41
	v_lshlrev_b64 v[38:39], v38, v[30:31]
	v_lshrrev_b32_e32 v40, 3, v37
	v_sub_u32_e32 v30, 29, v41
	v_and_b32_e32 v38, 7, v38
	v_cmp_gt_u32_e32 vcc, 8, v37
	v_cndmask_b32_e32 v30, v40, v30, vcc
	v_cndmask_b32_e32 v36, v36, v38, vcc
	v_lshlrev_b32_e32 v26, 16, v26
	v_bfrev_b32_e32 v37, 60
	v_lshlrev_b32_e32 v36, 20, v36
	v_and_b32_e32 v26, 0x80000000, v26
	v_lshl_add_u32 v30, v30, 23, v37
	v_or3_b32 v36, v26, v30, v36
.LBB427_290:
	s_or_b64 exec, exec, s[20:21]
.LBB427_291:
	s_or_b64 exec, exec, s[8:9]
.LBB427_292:
	s_or_b64 exec, exec, s[2:3]
	s_movk_i32 s2, 0xff
	v_and_b32_sdwa v30, v29, s2 dst_sel:DWORD dst_unused:UNUSED_PAD src0_sel:WORD_1 src1_sel:DWORD
	v_lshrrev_b32_e32 v26, 16, v29
	v_cmp_ne_u16_e32 vcc, 0, v30
	s_and_saveexec_b64 s[2:3], vcc
	s_cbranch_execz .LBB427_298
; %bb.293:
	s_movk_i32 s8, 0x80
	v_cmp_ne_u16_e32 vcc, s8, v30
	v_bfrev_b32_e32 v35, 1
	s_and_saveexec_b64 s[8:9], vcc
	s_cbranch_execz .LBB427_297
; %bb.294:
	v_bfe_u32 v30, v29, 16, 7
	s_movk_i32 s11, 0x7f
	v_cmp_ne_u32_e32 vcc, s11, v30
	v_mov_b32_e32 v35, 0x7f800001
	s_and_saveexec_b64 s[20:21], vcc
	s_cbranch_execz .LBB427_296
; %bb.295:
	v_and_b32_e32 v35, 7, v26
	v_ffbh_u32_e32 v38, v35
	v_min_u32_e32 v40, 32, v38
	v_subrev_u32_e32 v38, 28, v40
	v_lshlrev_b64 v[38:39], v38, v[26:27]
	v_and_b32_e32 v38, 7, v38
	v_cmp_gt_u32_e32 vcc, 8, v30
	v_lshrrev_b32_e32 v37, 3, v30
	v_sub_u32_e32 v26, 29, v40
	v_cndmask_b32_e32 v30, v35, v38, vcc
	v_mov_b32_e32 v35, 24
	v_cndmask_b32_e32 v26, v37, v26, vcc
	v_lshlrev_b32_sdwa v35, v35, v29 dst_sel:DWORD dst_unused:UNUSED_PAD src0_sel:DWORD src1_sel:WORD_1
	v_bfrev_b32_e32 v37, 60
	v_lshlrev_b32_e32 v30, 20, v30
	v_and_b32_e32 v35, 0x80000000, v35
	v_lshl_add_u32 v26, v26, 23, v37
	v_or3_b32 v35, v35, v26, v30
.LBB427_296:
	s_or_b64 exec, exec, s[20:21]
.LBB427_297:
	s_or_b64 exec, exec, s[8:9]
.LBB427_298:
	s_or_b64 exec, exec, s[2:3]
	s_mov_b32 s2, -1
	s_mov_b32 s3, 0xffffff
	v_cmp_lt_u64_e32 vcc, s[2:3], v[28:29]
	v_mov_b32_e32 v30, 0
	v_mov_b32_e32 v28, 0
	s_and_saveexec_b64 s[2:3], vcc
	s_cbranch_execz .LBB427_304
; %bb.299:
	v_lshrrev_b32_e32 v26, 24, v29
	s_movk_i32 s8, 0x80
	v_cmp_ne_u32_e32 vcc, s8, v26
	v_bfrev_b32_e32 v28, 1
	s_and_saveexec_b64 s[8:9], vcc
	s_cbranch_execz .LBB427_303
; %bb.300:
	v_bfe_u32 v29, v29, 24, 7
	s_movk_i32 s11, 0x7f
	v_cmp_ne_u32_e32 vcc, s11, v29
	v_mov_b32_e32 v28, 0x7f800001
	s_and_saveexec_b64 s[20:21], vcc
	s_cbranch_execz .LBB427_302
; %bb.301:
	v_and_b32_e32 v28, 7, v26
	v_ffbh_u32_e32 v38, v28
	v_min_u32_e32 v40, 32, v38
	v_subrev_u32_e32 v38, 28, v40
	v_lshlrev_b64 v[38:39], v38, v[26:27]
	v_lshrrev_b32_e32 v37, 3, v29
	v_sub_u32_e32 v39, 29, v40
	v_and_b32_e32 v38, 7, v38
	v_cmp_gt_u32_e32 vcc, 8, v29
	v_cndmask_b32_e32 v29, v37, v39, vcc
	v_cndmask_b32_e32 v28, v28, v38, vcc
	v_lshlrev_b32_e32 v26, 24, v26
	v_bfrev_b32_e32 v37, 60
	v_lshlrev_b32_e32 v28, 20, v28
	v_and_b32_e32 v26, 0x80000000, v26
	v_lshl_add_u32 v29, v29, 23, v37
	v_or3_b32 v28, v26, v29, v28
.LBB427_302:
	s_or_b64 exec, exec, s[20:21]
.LBB427_303:
	s_or_b64 exec, exec, s[8:9]
.LBB427_304:
	s_or_b64 exec, exec, s[2:3]
	v_cvt_pkrtz_f16_f32 v32, v32, v33
	v_cvt_pkrtz_f16_f32 v33, v31, v34
	;; [unrolled: 1-line block ×4, first 2 shown]
	v_mfma_f32_4x4x4f16 a[0:3], v[18:19], v[32:33], a[0:3] cbsz:4 abid:5
	s_waitcnt vmcnt(4)
	v_cmp_ne_u16_sdwa s[8:9], v22, v30 src0_sel:BYTE_0 src1_sel:DWORD
	v_mfma_f32_4x4x4f16 a[0:3], v[20:21], v[26:27], a[0:3] cbsz:4 abid:5
	s_and_saveexec_b64 s[2:3], s[8:9]
	s_cbranch_execz .LBB427_310
; %bb.305:
	s_movk_i32 s8, 0x80
	v_cmp_ne_u16_sdwa s[20:21], v22, s8 src0_sel:BYTE_0 src1_sel:DWORD
	v_bfrev_b32_e32 v30, 1
	s_and_saveexec_b64 s[8:9], s[20:21]
	s_cbranch_execz .LBB427_309
; %bb.306:
	s_movk_i32 s11, 0x7f
	v_and_b32_e32 v26, 0x7f, v22
	v_cmp_ne_u32_e32 vcc, s11, v26
	v_mov_b32_e32 v30, 0x7f800001
	s_and_saveexec_b64 s[20:21], vcc
	s_cbranch_execz .LBB427_308
; %bb.307:
	v_and_b32_e32 v27, 7, v22
	v_ffbh_u32_e32 v27, v27
	v_min_u32_e32 v27, 32, v27
	v_subrev_u32_e32 v29, 28, v27
	v_cmp_gt_u32_e32 vcc, 8, v26
	v_lshrrev_b32_e32 v28, 3, v26
	v_sub_u32_e32 v27, 29, v27
	v_cndmask_b32_e32 v26, 0, v29, vcc
	v_cndmask_b32_e32 v28, v28, v27, vcc
	v_lshlrev_b64 v[26:27], v26, v[22:23]
	v_lshlrev_b32_e32 v26, 20, v26
	v_lshlrev_b32_e32 v27, 24, v22
	v_bfrev_b32_e32 v29, 60
	v_and_b32_e32 v26, 0x700000, v26
	v_and_b32_e32 v27, 0x80000000, v27
	v_lshl_add_u32 v28, v28, 23, v29
	v_or3_b32 v30, v27, v28, v26
.LBB427_308:
	s_or_b64 exec, exec, s[20:21]
.LBB427_309:
	s_or_b64 exec, exec, s[8:9]
.LBB427_310:
	s_or_b64 exec, exec, s[2:3]
	v_lshrrev_b16_e32 v26, 8, v22
	v_cmp_ne_u16_e32 vcc, 0, v26
	v_mov_b32_e32 v29, 0
	v_mov_b32_e32 v31, 0
	s_and_saveexec_b64 s[2:3], vcc
	s_cbranch_execz .LBB427_316
; %bb.311:
	s_movk_i32 s8, 0x80
	v_cmp_ne_u16_e32 vcc, s8, v26
	v_bfrev_b32_e32 v31, 1
	s_and_saveexec_b64 s[8:9], vcc
	s_cbranch_execz .LBB427_315
; %bb.312:
	s_movk_i32 s11, 0x7f
	v_and_b32_e32 v27, 0x7f, v26
	v_cmp_ne_u32_e32 vcc, s11, v27
	v_mov_b32_e32 v31, 0x7f800001
	s_and_saveexec_b64 s[20:21], vcc
	s_cbranch_execz .LBB427_314
; %bb.313:
	v_and_b32_e32 v28, 7, v26
	v_ffbh_u32_e32 v32, v28
	v_min_u32_e32 v34, 32, v32
	v_subrev_u32_e32 v32, 28, v34
	v_lshlrev_b64 v[32:33], v32, v[26:27]
	v_lshrrev_b32_e32 v31, 3, v27
	v_sub_u32_e32 v26, 29, v34
	v_and_b32_e32 v32, 7, v32
	v_cmp_gt_u32_e32 vcc, 8, v27
	v_cndmask_b32_e32 v26, v31, v26, vcc
	v_cndmask_b32_e32 v27, v28, v32, vcc
	v_lshlrev_b32_e32 v28, 16, v22
	v_bfrev_b32_e32 v31, 60
	v_lshlrev_b32_e32 v27, 20, v27
	v_and_b32_e32 v28, 0x80000000, v28
	v_lshl_add_u32 v26, v26, 23, v31
	v_or3_b32 v31, v28, v26, v27
.LBB427_314:
	s_or_b64 exec, exec, s[20:21]
.LBB427_315:
	s_or_b64 exec, exec, s[8:9]
.LBB427_316:
	s_or_b64 exec, exec, s[2:3]
	s_movk_i32 s2, 0xff
	v_and_b32_sdwa v27, v22, s2 dst_sel:DWORD dst_unused:UNUSED_PAD src0_sel:WORD_1 src1_sel:DWORD
	v_lshrrev_b32_e32 v26, 16, v22
	v_cmp_ne_u16_e32 vcc, 0, v27
	s_and_saveexec_b64 s[2:3], vcc
	s_cbranch_execz .LBB427_322
; %bb.317:
	s_movk_i32 s8, 0x80
	v_cmp_ne_u16_e32 vcc, s8, v27
	v_bfrev_b32_e32 v29, 1
	s_and_saveexec_b64 s[8:9], vcc
	s_cbranch_execz .LBB427_321
; %bb.318:
	v_bfe_u32 v27, v22, 16, 7
	s_movk_i32 s11, 0x7f
	v_cmp_ne_u32_e32 vcc, s11, v27
	v_mov_b32_e32 v29, 0x7f800001
	s_and_saveexec_b64 s[20:21], vcc
	s_cbranch_execz .LBB427_320
; %bb.319:
	v_and_b32_e32 v32, 7, v26
	v_ffbh_u32_e32 v28, v32
	v_min_u32_e32 v34, 32, v28
	v_subrev_u32_e32 v28, 28, v34
	v_lshlrev_b64 v[28:29], v28, v[26:27]
	v_and_b32_e32 v28, 7, v28
	v_cmp_gt_u32_e32 vcc, 8, v27
	v_lshrrev_b32_e32 v33, 3, v27
	v_sub_u32_e32 v26, 29, v34
	v_cndmask_b32_e32 v27, v32, v28, vcc
	v_mov_b32_e32 v28, 24
	v_cndmask_b32_e32 v26, v33, v26, vcc
	v_lshlrev_b32_sdwa v28, v28, v22 dst_sel:DWORD dst_unused:UNUSED_PAD src0_sel:DWORD src1_sel:WORD_1
	v_bfrev_b32_e32 v29, 60
	v_lshlrev_b32_e32 v27, 20, v27
	v_and_b32_e32 v28, 0x80000000, v28
	v_lshl_add_u32 v26, v26, 23, v29
	v_or3_b32 v29, v28, v26, v27
.LBB427_320:
	s_or_b64 exec, exec, s[20:21]
.LBB427_321:
	s_or_b64 exec, exec, s[8:9]
.LBB427_322:
	s_or_b64 exec, exec, s[2:3]
	s_mov_b32 s2, 0xffffff
	v_cmp_lt_u32_e32 vcc, s2, v22
	v_mov_b32_e32 v27, 0
	v_mov_b32_e32 v32, 0
	s_and_saveexec_b64 s[2:3], vcc
	s_cbranch_execz .LBB427_328
; %bb.323:
	v_lshrrev_b32_e32 v26, 24, v22
	s_movk_i32 s8, 0x80
	v_cmp_ne_u32_e32 vcc, s8, v26
	v_bfrev_b32_e32 v32, 1
	s_and_saveexec_b64 s[8:9], vcc
	s_cbranch_execz .LBB427_327
; %bb.324:
	v_bfe_u32 v28, v22, 24, 7
	s_movk_i32 s11, 0x7f
	v_cmp_ne_u32_e32 vcc, s11, v28
	v_mov_b32_e32 v32, 0x7f800001
	s_and_saveexec_b64 s[20:21], vcc
	s_cbranch_execz .LBB427_326
; %bb.325:
	v_and_b32_e32 v34, 7, v26
	v_ffbh_u32_e32 v32, v34
	v_min_u32_e32 v36, 32, v32
	v_subrev_u32_e32 v32, 28, v36
	v_lshlrev_b64 v[32:33], v32, v[26:27]
	v_lshrrev_b32_e32 v35, 3, v28
	v_sub_u32_e32 v33, 29, v36
	v_and_b32_e32 v32, 7, v32
	v_cmp_gt_u32_e32 vcc, 8, v28
	v_cndmask_b32_e32 v28, v35, v33, vcc
	v_cndmask_b32_e32 v32, v34, v32, vcc
	v_lshlrev_b32_e32 v26, 24, v26
	v_bfrev_b32_e32 v33, 60
	v_lshlrev_b32_e32 v32, 20, v32
	v_and_b32_e32 v26, 0x80000000, v26
	v_lshl_add_u32 v28, v28, 23, v33
	v_or3_b32 v32, v26, v28, v32
.LBB427_326:
	s_or_b64 exec, exec, s[20:21]
.LBB427_327:
	s_or_b64 exec, exec, s[8:9]
.LBB427_328:
	s_or_b64 exec, exec, s[2:3]
	v_mov_b32_e32 v26, v23
	v_cmp_ne_u16_sdwa s[8:9], v23, v27 src0_sel:BYTE_0 src1_sel:DWORD
	s_and_saveexec_b64 s[2:3], s[8:9]
	s_cbranch_execz .LBB427_334
; %bb.329:
	s_movk_i32 s8, 0x80
	v_cmp_ne_u16_sdwa s[20:21], v23, s8 src0_sel:BYTE_0 src1_sel:DWORD
	v_bfrev_b32_e32 v28, 1
	s_and_saveexec_b64 s[8:9], s[20:21]
	s_cbranch_execz .LBB427_333
; %bb.330:
	s_movk_i32 s11, 0x7f
	v_and_b32_e32 v33, 0x7f, v23
	v_cmp_ne_u32_e32 vcc, s11, v33
	v_mov_b32_e32 v28, 0x7f800001
	s_and_saveexec_b64 s[20:21], vcc
	s_cbranch_execz .LBB427_332
; %bb.331:
	v_and_b32_e32 v28, 7, v23
	v_ffbh_u32_e32 v28, v28
	v_min_u32_e32 v28, 32, v28
	v_subrev_u32_e32 v35, 28, v28
	v_cmp_gt_u32_e32 vcc, 8, v33
	v_lshrrev_b32_e32 v34, 3, v33
	v_sub_u32_e32 v28, 29, v28
	v_cndmask_b32_e32 v33, 0, v35, vcc
	v_cndmask_b32_e32 v28, v34, v28, vcc
	v_lshlrev_b64 v[34:35], v33, v[26:27]
	v_lshlrev_b32_e32 v27, 20, v34
	v_lshlrev_b32_e32 v33, 24, v26
	v_bfrev_b32_e32 v34, 60
	v_and_b32_e32 v27, 0x700000, v27
	v_and_b32_e32 v33, 0x80000000, v33
	v_lshl_add_u32 v28, v28, 23, v34
	v_or3_b32 v28, v33, v28, v27
.LBB427_332:
	s_or_b64 exec, exec, s[20:21]
.LBB427_333:
	s_or_b64 exec, exec, s[8:9]
	v_mov_b32_e32 v27, v28
.LBB427_334:
	s_or_b64 exec, exec, s[2:3]
	v_lshrrev_b16_e32 v28, 8, v26
	v_cmp_ne_u16_e32 vcc, 0, v28
	v_mov_b32_e32 v33, 0
	v_mov_b32_e32 v34, 0
	s_and_saveexec_b64 s[2:3], vcc
	s_cbranch_execz .LBB427_340
; %bb.335:
	s_movk_i32 s8, 0x80
	v_cmp_ne_u16_e32 vcc, s8, v28
	v_bfrev_b32_e32 v34, 1
	s_and_saveexec_b64 s[8:9], vcc
	s_cbranch_execz .LBB427_339
; %bb.336:
	s_movk_i32 s11, 0x7f
	v_and_b32_e32 v35, 0x7f, v28
	v_cmp_ne_u32_e32 vcc, s11, v35
	v_mov_b32_e32 v34, 0x7f800001
	s_and_saveexec_b64 s[20:21], vcc
	s_cbranch_execz .LBB427_338
; %bb.337:
	v_and_b32_e32 v34, 7, v28
	v_ffbh_u32_e32 v36, v34
	v_min_u32_e32 v39, 32, v36
	v_subrev_u32_e32 v36, 28, v39
	v_lshlrev_b64 v[36:37], v36, v[28:29]
	v_lshrrev_b32_e32 v38, 3, v35
	v_sub_u32_e32 v28, 29, v39
	v_and_b32_e32 v36, 7, v36
	v_cmp_gt_u32_e32 vcc, 8, v35
	v_cndmask_b32_e32 v28, v38, v28, vcc
	v_cndmask_b32_e32 v34, v34, v36, vcc
	v_lshlrev_b32_e32 v26, 16, v26
	v_bfrev_b32_e32 v35, 60
	v_lshlrev_b32_e32 v34, 20, v34
	v_and_b32_e32 v26, 0x80000000, v26
	v_lshl_add_u32 v28, v28, 23, v35
	v_or3_b32 v34, v26, v28, v34
.LBB427_338:
	s_or_b64 exec, exec, s[20:21]
.LBB427_339:
	s_or_b64 exec, exec, s[8:9]
.LBB427_340:
	s_or_b64 exec, exec, s[2:3]
	s_movk_i32 s2, 0xff
	v_and_b32_sdwa v28, v23, s2 dst_sel:DWORD dst_unused:UNUSED_PAD src0_sel:WORD_1 src1_sel:DWORD
	v_lshrrev_b32_e32 v26, 16, v23
	v_cmp_ne_u16_e32 vcc, 0, v28
	s_and_saveexec_b64 s[2:3], vcc
	s_cbranch_execz .LBB427_346
; %bb.341:
	s_movk_i32 s8, 0x80
	v_cmp_ne_u16_e32 vcc, s8, v28
	v_bfrev_b32_e32 v33, 1
	s_and_saveexec_b64 s[8:9], vcc
	s_cbranch_execz .LBB427_345
; %bb.342:
	v_bfe_u32 v28, v23, 16, 7
	s_movk_i32 s11, 0x7f
	v_cmp_ne_u32_e32 vcc, s11, v28
	v_mov_b32_e32 v33, 0x7f800001
	s_and_saveexec_b64 s[20:21], vcc
	s_cbranch_execz .LBB427_344
; %bb.343:
	v_and_b32_e32 v33, 7, v26
	v_ffbh_u32_e32 v36, v33
	v_min_u32_e32 v38, 32, v36
	v_subrev_u32_e32 v36, 28, v38
	v_lshlrev_b64 v[36:37], v36, v[26:27]
	v_and_b32_e32 v36, 7, v36
	v_cmp_gt_u32_e32 vcc, 8, v28
	v_lshrrev_b32_e32 v35, 3, v28
	v_sub_u32_e32 v26, 29, v38
	v_cndmask_b32_e32 v28, v33, v36, vcc
	v_mov_b32_e32 v33, 24
	v_cndmask_b32_e32 v26, v35, v26, vcc
	v_lshlrev_b32_sdwa v33, v33, v23 dst_sel:DWORD dst_unused:UNUSED_PAD src0_sel:DWORD src1_sel:WORD_1
	v_bfrev_b32_e32 v35, 60
	v_lshlrev_b32_e32 v28, 20, v28
	v_and_b32_e32 v33, 0x80000000, v33
	v_lshl_add_u32 v26, v26, 23, v35
	v_or3_b32 v33, v33, v26, v28
.LBB427_344:
	s_or_b64 exec, exec, s[20:21]
.LBB427_345:
	s_or_b64 exec, exec, s[8:9]
.LBB427_346:
	s_or_b64 exec, exec, s[2:3]
	s_mov_b32 s2, -1
	s_mov_b32 s3, 0xffffff
	v_cmp_lt_u64_e32 vcc, s[2:3], v[22:23]
	v_mov_b32_e32 v28, 0
	v_mov_b32_e32 v26, 0
	s_and_saveexec_b64 s[2:3], vcc
	s_cbranch_execz .LBB427_352
; %bb.347:
	v_lshrrev_b32_e32 v22, 24, v23
	s_movk_i32 s8, 0x80
	v_cmp_ne_u32_e32 vcc, s8, v22
	v_bfrev_b32_e32 v26, 1
	s_and_saveexec_b64 s[8:9], vcc
	s_cbranch_execz .LBB427_351
; %bb.348:
	v_bfe_u32 v23, v23, 24, 7
	s_movk_i32 s11, 0x7f
	v_cmp_ne_u32_e32 vcc, s11, v23
	v_mov_b32_e32 v26, 0x7f800001
	s_and_saveexec_b64 s[20:21], vcc
	s_cbranch_execz .LBB427_350
; %bb.349:
	v_and_b32_e32 v26, 7, v22
	v_ffbh_u32_e32 v36, v26
	v_min_u32_e32 v38, 32, v36
	v_subrev_u32_e32 v36, 28, v38
	v_lshlrev_b64 v[36:37], v36, v[22:23]
	v_lshrrev_b32_e32 v35, 3, v23
	v_sub_u32_e32 v37, 29, v38
	v_and_b32_e32 v36, 7, v36
	v_cmp_gt_u32_e32 vcc, 8, v23
	v_cndmask_b32_e32 v23, v35, v37, vcc
	v_cndmask_b32_e32 v26, v26, v36, vcc
	v_lshlrev_b32_e32 v22, 24, v22
	v_bfrev_b32_e32 v35, 60
	v_lshlrev_b32_e32 v26, 20, v26
	v_and_b32_e32 v22, 0x80000000, v22
	v_lshl_add_u32 v23, v23, 23, v35
	v_or3_b32 v26, v22, v23, v26
.LBB427_350:
	s_or_b64 exec, exec, s[20:21]
.LBB427_351:
	s_or_b64 exec, exec, s[8:9]
.LBB427_352:
	s_or_b64 exec, exec, s[2:3]
	v_cvt_pkrtz_f16_f32 v22, v30, v31
	v_cvt_pkrtz_f16_f32 v23, v29, v32
	;; [unrolled: 1-line block ×4, first 2 shown]
	v_mfma_f32_4x4x4f16 a[0:3], v[18:19], v[22:23], a[0:3] cbsz:4 abid:6
	v_cmp_ne_u16_sdwa s[8:9], v24, v28 src0_sel:BYTE_0 src1_sel:DWORD
	v_mfma_f32_4x4x4f16 a[0:3], v[20:21], v[30:31], a[0:3] cbsz:4 abid:6
	s_and_saveexec_b64 s[2:3], s[8:9]
	s_cbranch_execz .LBB427_358
; %bb.353:
	s_movk_i32 s8, 0x80
	v_cmp_ne_u16_sdwa s[20:21], v24, s8 src0_sel:BYTE_0 src1_sel:DWORD
	v_bfrev_b32_e32 v28, 1
	s_and_saveexec_b64 s[8:9], s[20:21]
	s_cbranch_execz .LBB427_357
; %bb.354:
	s_movk_i32 s11, 0x7f
	v_and_b32_e32 v22, 0x7f, v24
	v_cmp_ne_u32_e32 vcc, s11, v22
	v_mov_b32_e32 v28, 0x7f800001
	s_and_saveexec_b64 s[20:21], vcc
	s_cbranch_execz .LBB427_356
; %bb.355:
	v_and_b32_e32 v23, 7, v24
	v_ffbh_u32_e32 v23, v23
	v_min_u32_e32 v23, 32, v23
	v_subrev_u32_e32 v27, 28, v23
	v_cmp_gt_u32_e32 vcc, 8, v22
	v_lshrrev_b32_e32 v26, 3, v22
	v_sub_u32_e32 v23, 29, v23
	v_cndmask_b32_e32 v22, 0, v27, vcc
	v_cndmask_b32_e32 v26, v26, v23, vcc
	v_lshlrev_b64 v[22:23], v22, v[24:25]
	v_lshlrev_b32_e32 v22, 20, v22
	v_lshlrev_b32_e32 v23, 24, v24
	v_bfrev_b32_e32 v27, 60
	v_and_b32_e32 v22, 0x700000, v22
	v_and_b32_e32 v23, 0x80000000, v23
	v_lshl_add_u32 v26, v26, 23, v27
	v_or3_b32 v28, v23, v26, v22
.LBB427_356:
	s_or_b64 exec, exec, s[20:21]
.LBB427_357:
	s_or_b64 exec, exec, s[8:9]
.LBB427_358:
	s_or_b64 exec, exec, s[2:3]
	v_lshrrev_b16_e32 v22, 8, v24
	v_cmp_ne_u16_e32 vcc, 0, v22
	v_mov_b32_e32 v27, 0
	v_mov_b32_e32 v29, 0
	s_and_saveexec_b64 s[2:3], vcc
	s_cbranch_execz .LBB427_364
; %bb.359:
	s_movk_i32 s8, 0x80
	v_cmp_ne_u16_e32 vcc, s8, v22
	v_bfrev_b32_e32 v29, 1
	s_and_saveexec_b64 s[8:9], vcc
	s_cbranch_execz .LBB427_363
; %bb.360:
	s_movk_i32 s11, 0x7f
	v_and_b32_e32 v23, 0x7f, v22
	v_cmp_ne_u32_e32 vcc, s11, v23
	v_mov_b32_e32 v29, 0x7f800001
	s_and_saveexec_b64 s[20:21], vcc
	s_cbranch_execz .LBB427_362
; %bb.361:
	v_and_b32_e32 v26, 7, v22
	v_ffbh_u32_e32 v30, v26
	v_min_u32_e32 v32, 32, v30
	v_subrev_u32_e32 v30, 28, v32
	v_lshlrev_b64 v[30:31], v30, v[22:23]
	v_lshrrev_b32_e32 v29, 3, v23
	v_sub_u32_e32 v22, 29, v32
	v_and_b32_e32 v30, 7, v30
	v_cmp_gt_u32_e32 vcc, 8, v23
	v_cndmask_b32_e32 v22, v29, v22, vcc
	v_cndmask_b32_e32 v23, v26, v30, vcc
	v_lshlrev_b32_e32 v26, 16, v24
	v_bfrev_b32_e32 v29, 60
	v_lshlrev_b32_e32 v23, 20, v23
	v_and_b32_e32 v26, 0x80000000, v26
	v_lshl_add_u32 v22, v22, 23, v29
	v_or3_b32 v29, v26, v22, v23
.LBB427_362:
	s_or_b64 exec, exec, s[20:21]
.LBB427_363:
	s_or_b64 exec, exec, s[8:9]
.LBB427_364:
	s_or_b64 exec, exec, s[2:3]
	s_movk_i32 s2, 0xff
	v_and_b32_sdwa v23, v24, s2 dst_sel:DWORD dst_unused:UNUSED_PAD src0_sel:WORD_1 src1_sel:DWORD
	v_lshrrev_b32_e32 v22, 16, v24
	v_cmp_ne_u16_e32 vcc, 0, v23
	s_and_saveexec_b64 s[2:3], vcc
	s_cbranch_execz .LBB427_370
; %bb.365:
	s_movk_i32 s8, 0x80
	v_cmp_ne_u16_e32 vcc, s8, v23
	v_bfrev_b32_e32 v27, 1
	s_and_saveexec_b64 s[8:9], vcc
	s_cbranch_execz .LBB427_369
; %bb.366:
	v_bfe_u32 v23, v24, 16, 7
	s_movk_i32 s11, 0x7f
	v_cmp_ne_u32_e32 vcc, s11, v23
	v_mov_b32_e32 v27, 0x7f800001
	s_and_saveexec_b64 s[20:21], vcc
	s_cbranch_execz .LBB427_368
; %bb.367:
	v_and_b32_e32 v30, 7, v22
	v_ffbh_u32_e32 v26, v30
	v_min_u32_e32 v32, 32, v26
	v_subrev_u32_e32 v26, 28, v32
	v_lshlrev_b64 v[26:27], v26, v[22:23]
	v_and_b32_e32 v26, 7, v26
	v_cmp_gt_u32_e32 vcc, 8, v23
	v_lshrrev_b32_e32 v31, 3, v23
	v_sub_u32_e32 v22, 29, v32
	v_cndmask_b32_e32 v23, v30, v26, vcc
	v_mov_b32_e32 v26, 24
	v_cndmask_b32_e32 v22, v31, v22, vcc
	v_lshlrev_b32_sdwa v26, v26, v24 dst_sel:DWORD dst_unused:UNUSED_PAD src0_sel:DWORD src1_sel:WORD_1
	v_bfrev_b32_e32 v27, 60
	v_lshlrev_b32_e32 v23, 20, v23
	v_and_b32_e32 v26, 0x80000000, v26
	v_lshl_add_u32 v22, v22, 23, v27
	v_or3_b32 v27, v26, v22, v23
.LBB427_368:
	s_or_b64 exec, exec, s[20:21]
.LBB427_369:
	s_or_b64 exec, exec, s[8:9]
.LBB427_370:
	s_or_b64 exec, exec, s[2:3]
	s_mov_b32 s2, 0xffffff
	v_cmp_lt_u32_e32 vcc, s2, v24
	v_mov_b32_e32 v23, 0
	v_mov_b32_e32 v30, 0
	s_and_saveexec_b64 s[2:3], vcc
	s_cbranch_execz .LBB427_376
; %bb.371:
	v_lshrrev_b32_e32 v22, 24, v24
	s_movk_i32 s8, 0x80
	v_cmp_ne_u32_e32 vcc, s8, v22
	v_bfrev_b32_e32 v30, 1
	s_and_saveexec_b64 s[8:9], vcc
	s_cbranch_execz .LBB427_375
; %bb.372:
	v_bfe_u32 v26, v24, 24, 7
	s_movk_i32 s11, 0x7f
	v_cmp_ne_u32_e32 vcc, s11, v26
	v_mov_b32_e32 v30, 0x7f800001
	s_and_saveexec_b64 s[20:21], vcc
	s_cbranch_execz .LBB427_374
; %bb.373:
	v_and_b32_e32 v32, 7, v22
	v_ffbh_u32_e32 v30, v32
	v_min_u32_e32 v34, 32, v30
	v_subrev_u32_e32 v30, 28, v34
	v_lshlrev_b64 v[30:31], v30, v[22:23]
	v_lshrrev_b32_e32 v33, 3, v26
	v_sub_u32_e32 v31, 29, v34
	v_and_b32_e32 v30, 7, v30
	v_cmp_gt_u32_e32 vcc, 8, v26
	v_cndmask_b32_e32 v26, v33, v31, vcc
	v_cndmask_b32_e32 v30, v32, v30, vcc
	v_lshlrev_b32_e32 v22, 24, v22
	v_bfrev_b32_e32 v31, 60
	v_lshlrev_b32_e32 v30, 20, v30
	v_and_b32_e32 v22, 0x80000000, v22
	v_lshl_add_u32 v26, v26, 23, v31
	v_or3_b32 v30, v22, v26, v30
.LBB427_374:
	s_or_b64 exec, exec, s[20:21]
.LBB427_375:
	s_or_b64 exec, exec, s[8:9]
.LBB427_376:
	s_or_b64 exec, exec, s[2:3]
	v_mov_b32_e32 v22, v25
	v_cmp_ne_u16_sdwa s[8:9], v25, v23 src0_sel:BYTE_0 src1_sel:DWORD
	s_and_saveexec_b64 s[2:3], s[8:9]
	s_cbranch_execz .LBB427_382
; %bb.377:
	s_movk_i32 s8, 0x80
	v_cmp_ne_u16_sdwa s[20:21], v25, s8 src0_sel:BYTE_0 src1_sel:DWORD
	v_bfrev_b32_e32 v26, 1
	s_and_saveexec_b64 s[8:9], s[20:21]
	s_cbranch_execz .LBB427_381
; %bb.378:
	s_movk_i32 s11, 0x7f
	v_and_b32_e32 v31, 0x7f, v25
	v_cmp_ne_u32_e32 vcc, s11, v31
	v_mov_b32_e32 v26, 0x7f800001
	s_and_saveexec_b64 s[20:21], vcc
	s_cbranch_execz .LBB427_380
; %bb.379:
	v_and_b32_e32 v26, 7, v25
	v_ffbh_u32_e32 v26, v26
	v_min_u32_e32 v26, 32, v26
	v_subrev_u32_e32 v33, 28, v26
	v_cmp_gt_u32_e32 vcc, 8, v31
	v_lshrrev_b32_e32 v32, 3, v31
	v_sub_u32_e32 v26, 29, v26
	v_cndmask_b32_e32 v31, 0, v33, vcc
	v_cndmask_b32_e32 v26, v32, v26, vcc
	v_lshlrev_b64 v[32:33], v31, v[22:23]
	v_lshlrev_b32_e32 v23, 20, v32
	v_lshlrev_b32_e32 v31, 24, v22
	v_bfrev_b32_e32 v32, 60
	v_and_b32_e32 v23, 0x700000, v23
	v_and_b32_e32 v31, 0x80000000, v31
	v_lshl_add_u32 v26, v26, 23, v32
	v_or3_b32 v26, v31, v26, v23
.LBB427_380:
	s_or_b64 exec, exec, s[20:21]
.LBB427_381:
	s_or_b64 exec, exec, s[8:9]
	v_mov_b32_e32 v23, v26
.LBB427_382:
	s_or_b64 exec, exec, s[2:3]
	v_lshrrev_b16_e32 v26, 8, v22
	v_cmp_ne_u16_e32 vcc, 0, v26
	v_mov_b32_e32 v31, 0
	v_mov_b32_e32 v32, 0
	s_and_saveexec_b64 s[2:3], vcc
	s_cbranch_execz .LBB427_388
; %bb.383:
	s_movk_i32 s8, 0x80
	v_cmp_ne_u16_e32 vcc, s8, v26
	v_bfrev_b32_e32 v32, 1
	s_and_saveexec_b64 s[8:9], vcc
	s_cbranch_execz .LBB427_387
; %bb.384:
	s_movk_i32 s11, 0x7f
	v_and_b32_e32 v33, 0x7f, v26
	v_cmp_ne_u32_e32 vcc, s11, v33
	v_mov_b32_e32 v32, 0x7f800001
	s_and_saveexec_b64 s[20:21], vcc
	s_cbranch_execz .LBB427_386
; %bb.385:
	v_and_b32_e32 v32, 7, v26
	v_ffbh_u32_e32 v34, v32
	v_min_u32_e32 v37, 32, v34
	v_subrev_u32_e32 v34, 28, v37
	v_lshlrev_b64 v[34:35], v34, v[26:27]
	v_lshrrev_b32_e32 v36, 3, v33
	v_sub_u32_e32 v26, 29, v37
	v_and_b32_e32 v34, 7, v34
	v_cmp_gt_u32_e32 vcc, 8, v33
	v_cndmask_b32_e32 v26, v36, v26, vcc
	v_cndmask_b32_e32 v32, v32, v34, vcc
	v_lshlrev_b32_e32 v22, 16, v22
	v_bfrev_b32_e32 v33, 60
	v_lshlrev_b32_e32 v32, 20, v32
	v_and_b32_e32 v22, 0x80000000, v22
	v_lshl_add_u32 v26, v26, 23, v33
	v_or3_b32 v32, v22, v26, v32
.LBB427_386:
	s_or_b64 exec, exec, s[20:21]
.LBB427_387:
	s_or_b64 exec, exec, s[8:9]
.LBB427_388:
	s_or_b64 exec, exec, s[2:3]
	s_movk_i32 s2, 0xff
	v_and_b32_sdwa v26, v25, s2 dst_sel:DWORD dst_unused:UNUSED_PAD src0_sel:WORD_1 src1_sel:DWORD
	v_lshrrev_b32_e32 v22, 16, v25
	v_cmp_ne_u16_e32 vcc, 0, v26
	s_and_saveexec_b64 s[2:3], vcc
	s_cbranch_execz .LBB427_394
; %bb.389:
	s_movk_i32 s8, 0x80
	v_cmp_ne_u16_e32 vcc, s8, v26
	v_bfrev_b32_e32 v31, 1
	s_and_saveexec_b64 s[8:9], vcc
	s_cbranch_execz .LBB427_393
; %bb.390:
	v_bfe_u32 v26, v25, 16, 7
	s_movk_i32 s11, 0x7f
	v_cmp_ne_u32_e32 vcc, s11, v26
	v_mov_b32_e32 v31, 0x7f800001
	s_and_saveexec_b64 s[20:21], vcc
	s_cbranch_execz .LBB427_392
; %bb.391:
	v_and_b32_e32 v31, 7, v22
	v_ffbh_u32_e32 v34, v31
	v_min_u32_e32 v36, 32, v34
	v_subrev_u32_e32 v34, 28, v36
	v_lshlrev_b64 v[34:35], v34, v[22:23]
	v_and_b32_e32 v34, 7, v34
	v_cmp_gt_u32_e32 vcc, 8, v26
	v_lshrrev_b32_e32 v33, 3, v26
	v_sub_u32_e32 v22, 29, v36
	v_cndmask_b32_e32 v26, v31, v34, vcc
	v_mov_b32_e32 v31, 24
	v_cndmask_b32_e32 v22, v33, v22, vcc
	v_lshlrev_b32_sdwa v31, v31, v25 dst_sel:DWORD dst_unused:UNUSED_PAD src0_sel:DWORD src1_sel:WORD_1
	v_bfrev_b32_e32 v33, 60
	v_lshlrev_b32_e32 v26, 20, v26
	v_and_b32_e32 v31, 0x80000000, v31
	v_lshl_add_u32 v22, v22, 23, v33
	v_or3_b32 v31, v31, v22, v26
.LBB427_392:
	s_or_b64 exec, exec, s[20:21]
.LBB427_393:
	s_or_b64 exec, exec, s[8:9]
.LBB427_394:
	s_or_b64 exec, exec, s[2:3]
	s_mov_b32 s2, -1
	s_mov_b32 s3, 0xffffff
	v_cmp_lt_u64_e32 vcc, s[2:3], v[24:25]
	v_mov_b32_e32 v24, 0
	s_and_saveexec_b64 s[2:3], vcc
	s_cbranch_execz .LBB427_400
; %bb.395:
	v_lshrrev_b32_e32 v22, 24, v25
	s_movk_i32 s8, 0x80
	v_cmp_ne_u32_e32 vcc, s8, v22
	v_bfrev_b32_e32 v24, 1
	s_and_saveexec_b64 s[8:9], vcc
	s_cbranch_execz .LBB427_399
; %bb.396:
	v_bfe_u32 v25, v25, 24, 7
	s_movk_i32 s11, 0x7f
	v_cmp_ne_u32_e32 vcc, s11, v25
	v_mov_b32_e32 v24, 0x7f800001
	s_and_saveexec_b64 s[20:21], vcc
	s_cbranch_execz .LBB427_398
; %bb.397:
	v_and_b32_e32 v24, 7, v22
	v_ffbh_u32_e32 v33, v24
	v_min_u32_e32 v33, 32, v33
	v_subrev_u32_e32 v34, 28, v33
	v_lshlrev_b64 v[34:35], v34, v[22:23]
	v_lshrrev_b32_e32 v26, 3, v25
	v_sub_u32_e32 v33, 29, v33
	v_and_b32_e32 v34, 7, v34
	v_cmp_gt_u32_e32 vcc, 8, v25
	v_cndmask_b32_e32 v25, v26, v33, vcc
	v_cndmask_b32_e32 v24, v24, v34, vcc
	v_lshlrev_b32_e32 v22, 24, v22
	v_bfrev_b32_e32 v26, 60
	v_lshlrev_b32_e32 v24, 20, v24
	v_and_b32_e32 v22, 0x80000000, v22
	v_lshl_add_u32 v25, v25, 23, v26
	v_or3_b32 v24, v22, v25, v24
.LBB427_398:
	s_or_b64 exec, exec, s[20:21]
.LBB427_399:
	s_or_b64 exec, exec, s[8:9]
.LBB427_400:
	s_or_b64 exec, exec, s[2:3]
	s_load_dword s2, s[4:5], 0x1c
	v_cvt_pkrtz_f16_f32 v26, v28, v29
	v_cvt_pkrtz_f16_f32 v27, v27, v30
	s_load_dword s3, s[12:13], 0x0
	v_cvt_pkrtz_f16_f32 v22, v23, v32
	v_mfma_f32_4x4x4f16 a[0:3], v[18:19], v[26:27], a[0:3] cbsz:4 abid:7
	v_cvt_pkrtz_f16_f32 v23, v31, v24
	s_waitcnt lgkmcnt(0)
	v_mov_b32_e32 v18, s2
	v_cmp_eq_u32_e32 vcc, 0, v43
	v_mfma_f32_4x4x4f16 a[0:3], v[20:21], v[22:23], a[0:3] cbsz:4 abid:7
	v_mul_f32_e32 v20, s3, v18
	v_mov_b32_e32 v25, 0xff7fffff
	s_nop 2
	v_accvgpr_read_b32 v23, a1
	v_accvgpr_read_b32 v22, a0
	v_pk_mul_f32 v[22:23], v[22:23], v[20:21] op_sel_hi:[1,0]
	v_accvgpr_read_b32 v19, a3
	v_accvgpr_read_b32 v18, a2
	v_pk_mul_f32 v[18:19], v[18:19], v[20:21] op_sel_hi:[1,0]
	v_cndmask_b32_e64 v20, 0, 1.0, vcc
	v_cmp_eq_u32_e32 vcc, 1, v43
	s_nop 0
	v_mfma_f32_4x4x1f32 a[0:3], v22, v20, 0
	v_cndmask_b32_e64 v20, 0, 1.0, vcc
	v_cmp_eq_u32_e32 vcc, 2, v43
	s_nop 0
	v_mfma_f32_4x4x1f32 a[0:3], v23, v20, a[0:3]
	;; [unrolled: 4-line block ×3, first 2 shown]
	v_cndmask_b32_e64 v18, 0, 1.0, vcc
	s_nop 1
	v_mfma_f32_4x4x1f32 a[0:3], v19, v18, a[0:3]
	v_and_b32_e32 v18, -4, v44
	v_subrev_u32_e32 v19, s7, v18
	v_add_u32_e32 v20, 1, v19
	v_cvt_f32_i32_e32 v20, v20
	v_add_u32_e32 v21, 2, v19
	v_cvt_f32_i32_e32 v21, v21
	v_accvgpr_read_b32 v22, a0
	v_fma_f32 v20, v45, v20, v22
	v_accvgpr_read_b32 v22, a1
	v_fma_f32 v21, v45, v21, v22
	v_add_u32_e32 v22, 3, v19
	v_cvt_f32_i32_e32 v22, v22
	v_add_u32_e32 v19, 4, v19
	v_max_f32_e32 v24, 0xff7fffff, v20
	v_cmp_gt_i32_e32 vcc, s7, v18
	v_cvt_f32_i32_e32 v19, v19
	v_cndmask_b32_e32 v24, v25, v24, vcc
	v_or_b32_e32 v25, 1, v18
	v_accvgpr_read_b32 v23, a2
	v_max_f32_e32 v26, v24, v21
	v_cmp_gt_i32_e64 s[2:3], s7, v25
	v_fma_f32 v22, v45, v22, v23
	v_cndmask_b32_e64 v24, v24, v26, s[2:3]
	v_or_b32_e32 v18, 2, v18
	v_accvgpr_read_b32 v23, a3
	v_max_f32_e32 v25, v24, v22
	v_cmp_gt_i32_e64 s[4:5], s7, v18
	v_fmac_f32_e32 v23, v45, v19
	v_cndmask_b32_e64 v18, v24, v25, s[4:5]
	v_or_b32_e32 v24, 3, v44
	v_max_f32_e32 v25, v18, v23
	v_cmp_gt_i32_e64 s[8:9], s7, v24
	v_lshlrev_b32_e32 v19, 2, v0
	v_cndmask_b32_e64 v18, v18, v25, s[8:9]
	v_and_or_b32 v19, v19, 48, v43
	;;#ASMSTART
	v_nop
 v_nop
 v_max_f32_dpp v18, v18, v18 row_ror:4
	;;#ASMEND
	v_lshlrev_b32_e32 v24, 2, v19
	;;#ASMSTART
	v_nop
 v_nop
 v_max_f32_dpp v18, v18, v18 row_ror:8
	;;#ASMEND
	ds_bpermute_b32 v18, v24, v18
	s_waitcnt lgkmcnt(0)
	;;#ASMSTART
	v_nop
 v_nop
 v_max_f32_dpp v18, v18, v18 row_ror:4
	;;#ASMEND
	;;#ASMSTART
	v_nop
 v_nop
 v_max_f32_dpp v26, v18, v18 row_ror:8
	;;#ASMEND
	v_sub_f32_e32 v18, v20, v26
	v_mul_f32_e32 v18, 0x3fb8aa3b, v18
	v_sub_f32_e32 v19, v21, v26
	v_exp_f32_e32 v18, v18
	v_mul_f32_e32 v19, 0x3fb8aa3b, v19
	v_sub_f32_e32 v21, v22, v26
	v_exp_f32_e32 v19, v19
	;; [unrolled: 3-line block ×3, first 2 shown]
	v_mul_f32_e32 v22, 0x3fb8aa3b, v22
	v_exp_f32_e32 v22, v22
	v_cndmask_b32_e32 v18, 0, v18, vcc
	v_add_f32_e32 v20, 0, v18
	v_cndmask_b32_e64 v19, 0, v19, s[2:3]
	v_add_f32_e32 v23, v20, v19
	v_cndmask_b32_e64 v20, 0, v21, s[4:5]
	v_add_f32_e32 v23, v23, v20
	v_cndmask_b32_e64 v21, 0, v22, s[8:9]
	v_add_f32_e32 v22, v23, v21
	;;#ASMSTART
	v_nop
 v_nop
 v_add_f32_dpp v22, v22, v22 row_ror:4
	;;#ASMEND
	;;#ASMSTART
	v_nop
 v_nop
 v_add_f32_dpp v22, v22, v22 row_ror:8
	;;#ASMEND
	ds_bpermute_b32 v22, v24, v22
	s_waitcnt lgkmcnt(0)
	;;#ASMSTART
	v_nop
 v_nop
 v_add_f32_dpp v22, v22, v22 row_ror:4
	;;#ASMEND
	v_cmp_gt_u32_e32 vcc, 4, v1
	;;#ASMSTART
	v_nop
 v_nop
 v_add_f32_dpp v22, v22, v22 row_ror:8
	;;#ASMEND
	s_and_saveexec_b64 s[2:3], vcc
	s_cbranch_execz .LBB427_402
; %bb.401:
	v_mul_u32_u24_e32 v23, 20, v42
	v_lshl_add_u32 v23, v43, 2, v23
	v_add_u32_e32 v23, 0x800, v23
	ds_write2_b32 v23, v26, v22 offset0:128 offset1:148
.LBB427_402:
	s_or_b64 exec, exec, s[2:3]
.LBB427_403:
	s_or_b64 exec, exec, s[28:29]
	s_waitcnt lgkmcnt(0)
	s_barrier
	s_load_dword s2, s[26:27], 0x8
	v_lshlrev_b32_e32 v22, 2, v43
	v_add_u32_e32 v30, 0x800, v22
	ds_read2_b32 v[22:23], v30 offset0:128 offset1:133
	ds_read2_b32 v[24:25], v30 offset0:138 offset1:143
	s_mul_i32 s3, s6, s33
	s_waitcnt lgkmcnt(0)
	s_mul_i32 s3, s3, s2
	s_lshl_b32 s2, s3, 1
	s_mov_b32 s3, 0xff7fffff
	v_max3_f32 v27, v22, s3, v23
	v_max3_f32 v27, v27, v24, v25
	v_sub_f32_e32 v22, v22, v27
	v_mul_f32_e32 v22, 0x3fb8aa3b, v22
	ds_read2_b32 v[28:29], v30 offset0:148 offset1:153
	v_exp_f32_e32 v31, v22
	v_sub_f32_e32 v22, v23, v27
	v_mul_f32_e32 v22, 0x3fb8aa3b, v22
	v_sub_f32_e32 v24, v24, v27
	v_exp_f32_e32 v32, v22
	ds_read2_b32 v[22:23], v30 offset0:158 offset1:163
	v_mul_f32_e32 v24, 0x3fb8aa3b, v24
	v_sub_f32_e32 v25, v25, v27
	v_exp_f32_e32 v24, v24
	v_mul_f32_e32 v25, 0x3fb8aa3b, v25
	v_exp_f32_e32 v25, v25
	s_waitcnt lgkmcnt(1)
	v_fma_f32 v28, v31, v28, 0
	v_fmac_f32_e32 v28, v32, v29
	s_waitcnt lgkmcnt(0)
	v_fmac_f32_e32 v28, v24, v22
	v_fmac_f32_e32 v28, v25, v23
	v_cmp_gt_u32_e32 vcc, 2, v43
	s_and_saveexec_b64 s[4:5], vcc
	s_cbranch_execz .LBB427_405
; %bb.404:
	s_mov_b32 s3, 0
	s_lshl_b64 s[6:7], s[2:3], 2
	s_add_u32 s12, s16, s6
	s_mov_b32 s11, s3
	s_addc_u32 s13, s17, s7
	s_lshl_b64 s[8:9], s[10:11], 2
	s_add_u32 s3, s12, s8
	s_addc_u32 s11, s13, s9
	v_or_b32_e32 v22, s38, v43
	s_add_u32 s6, s18, s6
	v_mul_lo_u32 v22, s33, v22
	v_mov_b32_e32 v23, 0
	s_addc_u32 s7, s19, s7
	v_lshlrev_b64 v[22:23], 2, v[22:23]
	s_add_u32 s6, s6, s8
	v_mov_b32_e32 v25, s11
	v_add_co_u32_e32 v24, vcc, s3, v22
	s_addc_u32 s7, s7, s9
	v_addc_co_u32_e32 v25, vcc, v25, v23, vcc
	v_mov_b32_e32 v29, s7
	v_add_co_u32_e32 v22, vcc, s6, v22
	v_addc_co_u32_e32 v23, vcc, v29, v23, vcc
	global_store_dword v[22:23], v27, off
	global_store_dword v[24:25], v28, off
.LBB427_405:
	s_or_b64 exec, exec, s[4:5]
	v_lshlrev_b32_e32 v25, 3, v42
	s_and_saveexec_b64 s[4:5], s[0:1]
	s_xor_b64 s[0:1], exec, s[4:5]
	s_cbranch_execz .LBB427_407
; %bb.406:
	s_waitcnt vmcnt(1)
	v_mov_b32_e32 v2, 0
	v_mad_u32_u24 v4, v1, 40, v25
	v_mov_b32_e32 v3, v2
	ds_write_b64 v4, v[2:3]
                                        ; implicit-def: $vgpr21
                                        ; implicit-def: $vgpr19
                                        ; implicit-def: $vgpr26
                                        ; implicit-def: $vgpr14_vgpr15
                                        ; implicit-def: $vgpr10_vgpr11
                                        ; implicit-def: $vgpr6_vgpr7
                                        ; implicit-def: $vgpr2_vgpr3
                                        ; implicit-def: $vgpr27
                                        ; implicit-def: $vgpr28
                                        ; implicit-def: $vgpr25
.LBB427_407:
	s_andn2_saveexec_b64 s[0:1], s[0:1]
	s_cbranch_execz .LBB427_793
; %bb.408:
	v_mov_b32_e32 v29, 0
	s_waitcnt vmcnt(2)
	v_cmp_ne_u16_sdwa s[6:7], v14, v29 src0_sel:BYTE_0 src1_sel:DWORD
	v_mov_b32_e32 v30, 0
	s_and_saveexec_b64 s[4:5], s[6:7]
	s_cbranch_execz .LBB427_414
; %bb.409:
	s_movk_i32 s3, 0x80
	v_cmp_ne_u16_sdwa s[8:9], v14, s3 src0_sel:BYTE_0 src1_sel:DWORD
	v_bfrev_b32_e32 v30, 1
	s_and_saveexec_b64 s[6:7], s[8:9]
	s_cbranch_execz .LBB427_413
; %bb.410:
	s_movk_i32 s3, 0x7f
	v_and_b32_e32 v22, 0x7f, v14
	v_cmp_ne_u32_e32 vcc, s3, v22
	v_mov_b32_e32 v30, 0x7f800001
	s_and_saveexec_b64 s[8:9], vcc
	s_cbranch_execz .LBB427_412
; %bb.411:
	v_and_b32_e32 v23, 7, v14
	v_ffbh_u32_e32 v23, v23
	v_min_u32_e32 v23, 32, v23
	v_subrev_u32_e32 v30, 28, v23
	v_cmp_gt_u32_e32 vcc, 8, v22
	v_lshrrev_b32_e32 v24, 3, v22
	v_sub_u32_e32 v23, 29, v23
	v_cndmask_b32_e32 v22, 0, v30, vcc
	v_cndmask_b32_e32 v24, v24, v23, vcc
	v_lshlrev_b64 v[22:23], v22, v[14:15]
	v_lshlrev_b32_e32 v22, 20, v22
	v_lshlrev_b32_e32 v23, 24, v14
	v_bfrev_b32_e32 v30, 60
	v_and_b32_e32 v22, 0x700000, v22
	v_and_b32_e32 v23, 0x80000000, v23
	v_lshl_add_u32 v24, v24, 23, v30
	v_or3_b32 v30, v23, v24, v22
.LBB427_412:
	s_or_b64 exec, exec, s[8:9]
.LBB427_413:
	s_or_b64 exec, exec, s[6:7]
.LBB427_414:
	s_or_b64 exec, exec, s[4:5]
	v_lshrrev_b16_e32 v22, 8, v14
	v_cmp_ne_u16_e32 vcc, 0, v22
	s_and_saveexec_b64 s[4:5], vcc
	s_cbranch_execz .LBB427_420
; %bb.415:
	s_movk_i32 s3, 0x80
	v_cmp_ne_u16_e32 vcc, s3, v22
	v_bfrev_b32_e32 v29, 1
	s_and_saveexec_b64 s[6:7], vcc
	s_cbranch_execz .LBB427_419
; %bb.416:
	s_movk_i32 s3, 0x7f
	v_and_b32_e32 v23, 0x7f, v22
	v_cmp_ne_u32_e32 vcc, s3, v23
	v_mov_b32_e32 v29, 0x7f800001
	s_and_saveexec_b64 s[8:9], vcc
	s_cbranch_execz .LBB427_418
; %bb.417:
	v_and_b32_e32 v24, 7, v22
	v_ffbh_u32_e32 v31, v24
	v_min_u32_e32 v31, 32, v31
	v_subrev_u32_e32 v32, 28, v31
	v_lshlrev_b64 v[32:33], v32, v[22:23]
	v_lshrrev_b32_e32 v29, 3, v23
	v_sub_u32_e32 v22, 29, v31
	v_and_b32_e32 v31, 7, v32
	v_cmp_gt_u32_e32 vcc, 8, v23
	v_cndmask_b32_e32 v22, v29, v22, vcc
	v_cndmask_b32_e32 v23, v24, v31, vcc
	v_lshlrev_b32_e32 v24, 16, v14
	v_bfrev_b32_e32 v29, 60
	v_lshlrev_b32_e32 v23, 20, v23
	v_and_b32_e32 v24, 0x80000000, v24
	v_lshl_add_u32 v22, v22, 23, v29
	v_or3_b32 v29, v24, v22, v23
.LBB427_418:
	s_or_b64 exec, exec, s[8:9]
.LBB427_419:
	s_or_b64 exec, exec, s[6:7]
.LBB427_420:
	s_or_b64 exec, exec, s[4:5]
	s_movk_i32 s3, 0xff
	v_and_b32_sdwa v23, v14, s3 dst_sel:DWORD dst_unused:UNUSED_PAD src0_sel:WORD_1 src1_sel:DWORD
	v_lshrrev_b32_e32 v22, 16, v14
	v_cmp_ne_u16_e32 vcc, 0, v23
	v_mov_b32_e32 v31, 0
	v_mov_b32_e32 v32, 0
	s_and_saveexec_b64 s[4:5], vcc
	s_cbranch_execz .LBB427_426
; %bb.421:
	s_movk_i32 s3, 0x80
	v_cmp_ne_u16_e32 vcc, s3, v23
	v_bfrev_b32_e32 v32, 1
	s_and_saveexec_b64 s[6:7], vcc
	s_cbranch_execz .LBB427_425
; %bb.422:
	v_bfe_u32 v23, v14, 16, 7
	s_movk_i32 s3, 0x7f
	v_cmp_ne_u32_e32 vcc, s3, v23
	v_mov_b32_e32 v32, 0x7f800001
	s_and_saveexec_b64 s[8:9], vcc
	s_cbranch_execz .LBB427_424
; %bb.423:
	v_and_b32_e32 v24, 7, v22
	v_ffbh_u32_e32 v32, v24
	v_min_u32_e32 v35, 32, v32
	v_subrev_u32_e32 v32, 28, v35
	v_lshlrev_b64 v[32:33], v32, v[22:23]
	v_and_b32_e32 v32, 7, v32
	v_cmp_gt_u32_e32 vcc, 8, v23
	v_lshrrev_b32_e32 v34, 3, v23
	v_sub_u32_e32 v22, 29, v35
	v_cndmask_b32_e32 v23, v24, v32, vcc
	v_mov_b32_e32 v24, 24
	v_cndmask_b32_e32 v22, v34, v22, vcc
	v_lshlrev_b32_sdwa v24, v24, v14 dst_sel:DWORD dst_unused:UNUSED_PAD src0_sel:DWORD src1_sel:WORD_1
	v_bfrev_b32_e32 v32, 60
	v_lshlrev_b32_e32 v23, 20, v23
	v_and_b32_e32 v24, 0x80000000, v24
	v_lshl_add_u32 v22, v22, 23, v32
	v_or3_b32 v32, v24, v22, v23
.LBB427_424:
	s_or_b64 exec, exec, s[8:9]
.LBB427_425:
	s_or_b64 exec, exec, s[6:7]
.LBB427_426:
	s_or_b64 exec, exec, s[4:5]
	s_mov_b32 s3, 0xffffff
	v_cmp_lt_u32_e32 vcc, s3, v14
	s_and_saveexec_b64 s[4:5], vcc
	s_cbranch_execz .LBB427_432
; %bb.427:
	v_lshrrev_b32_e32 v22, 24, v14
	s_movk_i32 s3, 0x80
	v_cmp_ne_u32_e32 vcc, s3, v22
	v_bfrev_b32_e32 v31, 1
	s_and_saveexec_b64 s[6:7], vcc
	s_cbranch_execz .LBB427_431
; %bb.428:
	v_bfe_u32 v23, v14, 24, 7
	s_movk_i32 s3, 0x7f
	v_cmp_ne_u32_e32 vcc, s3, v23
	v_mov_b32_e32 v31, 0x7f800001
	s_and_saveexec_b64 s[8:9], vcc
	s_cbranch_execz .LBB427_430
; %bb.429:
	v_and_b32_e32 v24, 7, v22
	v_ffbh_u32_e32 v33, v24
	v_min_u32_e32 v33, 32, v33
	v_subrev_u32_e32 v34, 28, v33
	v_lshlrev_b64 v[34:35], v34, v[22:23]
	v_lshrrev_b32_e32 v31, 3, v23
	v_sub_u32_e32 v33, 29, v33
	v_and_b32_e32 v34, 7, v34
	v_cmp_gt_u32_e32 vcc, 8, v23
	v_cndmask_b32_e32 v23, v31, v33, vcc
	v_cndmask_b32_e32 v24, v24, v34, vcc
	v_lshlrev_b32_e32 v22, 24, v22
	v_bfrev_b32_e32 v31, 60
	v_lshlrev_b32_e32 v24, 20, v24
	v_and_b32_e32 v22, 0x80000000, v22
	v_lshl_add_u32 v23, v23, 23, v31
	v_or3_b32 v31, v22, v23, v24
.LBB427_430:
	s_or_b64 exec, exec, s[8:9]
.LBB427_431:
	s_or_b64 exec, exec, s[6:7]
.LBB427_432:
	s_or_b64 exec, exec, s[4:5]
	v_mov_b32_e32 v23, 0
	v_mov_b32_e32 v22, v15
	v_cmp_ne_u16_sdwa s[6:7], v15, v23 src0_sel:BYTE_0 src1_sel:DWORD
	v_mov_b32_e32 v33, v23
	s_and_saveexec_b64 s[4:5], s[6:7]
	s_cbranch_execz .LBB427_438
; %bb.433:
	s_movk_i32 s3, 0x80
	v_cmp_ne_u16_sdwa s[8:9], v15, s3 src0_sel:BYTE_0 src1_sel:DWORD
	v_bfrev_b32_e32 v33, 1
	s_and_saveexec_b64 s[6:7], s[8:9]
	s_cbranch_execz .LBB427_437
; %bb.434:
	s_movk_i32 s3, 0x7f
	v_and_b32_e32 v24, 0x7f, v15
	v_cmp_ne_u32_e32 vcc, s3, v24
	v_mov_b32_e32 v33, 0x7f800001
	s_and_saveexec_b64 s[8:9], vcc
	s_cbranch_execz .LBB427_436
; %bb.435:
	v_and_b32_e32 v33, 7, v15
	v_ffbh_u32_e32 v33, v33
	v_min_u32_e32 v33, 32, v33
	v_lshrrev_b32_e32 v34, 3, v24
	v_subrev_u32_e32 v35, 28, v33
	v_sub_u32_e32 v33, 29, v33
	v_cmp_gt_u32_e32 vcc, 8, v24
	v_cndmask_b32_e32 v24, v34, v33, vcc
	v_cndmask_b32_e32 v33, 0, v35, vcc
	v_lshlrev_b64 v[34:35], v33, v[22:23]
	v_lshlrev_b32_e32 v33, 20, v34
	v_lshlrev_b32_e32 v34, 24, v22
	v_bfrev_b32_e32 v35, 60
	v_and_b32_e32 v33, 0x700000, v33
	v_and_b32_e32 v34, 0x80000000, v34
	v_lshl_add_u32 v24, v24, 23, v35
	v_or3_b32 v33, v34, v24, v33
.LBB427_436:
	s_or_b64 exec, exec, s[8:9]
.LBB427_437:
	s_or_b64 exec, exec, s[6:7]
.LBB427_438:
	s_or_b64 exec, exec, s[4:5]
	v_lshrrev_b16_e32 v24, 8, v22
	v_cmp_ne_u16_e32 vcc, 0, v24
	s_and_saveexec_b64 s[4:5], vcc
	s_cbranch_execz .LBB427_444
; %bb.439:
	s_movk_i32 s3, 0x80
	v_cmp_ne_u16_e32 vcc, s3, v24
	v_bfrev_b32_e32 v23, 1
	s_and_saveexec_b64 s[6:7], vcc
	s_cbranch_execz .LBB427_443
; %bb.440:
	s_movk_i32 s3, 0x7f
	v_and_b32_e32 v34, 0x7f, v24
	v_cmp_ne_u32_e32 vcc, s3, v34
	v_mov_b32_e32 v23, 0x7f800001
	s_and_saveexec_b64 s[8:9], vcc
	s_cbranch_execz .LBB427_442
; %bb.441:
	v_and_b32_e32 v23, 7, v24
	v_ffbh_u32_e32 v36, v23
	v_min_u32_e32 v38, 32, v36
	v_subrev_u32_e32 v36, 28, v38
	v_lshlrev_b64 v[36:37], v36, v[24:25]
	v_lshrrev_b32_e32 v35, 3, v34
	v_sub_u32_e32 v24, 29, v38
	v_and_b32_e32 v36, 7, v36
	v_cmp_gt_u32_e32 vcc, 8, v34
	v_cndmask_b32_e32 v24, v35, v24, vcc
	v_cndmask_b32_e32 v23, v23, v36, vcc
	v_lshlrev_b32_e32 v22, 16, v22
	v_bfrev_b32_e32 v34, 60
	v_lshlrev_b32_e32 v23, 20, v23
	v_and_b32_e32 v22, 0x80000000, v22
	v_lshl_add_u32 v24, v24, 23, v34
	v_or3_b32 v23, v22, v24, v23
.LBB427_442:
	s_or_b64 exec, exec, s[8:9]
.LBB427_443:
	s_or_b64 exec, exec, s[6:7]
.LBB427_444:
	s_or_b64 exec, exec, s[4:5]
	s_movk_i32 s3, 0xff
	v_and_b32_sdwa v35, v15, s3 dst_sel:DWORD dst_unused:UNUSED_PAD src0_sel:WORD_1 src1_sel:DWORD
	v_lshrrev_b32_e32 v22, 16, v15
	v_cmp_ne_u16_e32 vcc, 0, v35
	v_mov_b32_e32 v24, 0
	v_mov_b32_e32 v34, 0
	s_and_saveexec_b64 s[4:5], vcc
	s_cbranch_execz .LBB427_450
; %bb.445:
	s_movk_i32 s3, 0x80
	v_cmp_ne_u16_e32 vcc, s3, v35
	v_bfrev_b32_e32 v34, 1
	s_and_saveexec_b64 s[6:7], vcc
	s_cbranch_execz .LBB427_449
; %bb.446:
	v_bfe_u32 v35, v15, 16, 7
	s_movk_i32 s3, 0x7f
	v_cmp_ne_u32_e32 vcc, s3, v35
	v_mov_b32_e32 v34, 0x7f800001
	s_and_saveexec_b64 s[8:9], vcc
	s_cbranch_execz .LBB427_448
; %bb.447:
	v_and_b32_e32 v34, 7, v22
	v_ffbh_u32_e32 v36, v34
	v_min_u32_e32 v39, 32, v36
	v_subrev_u32_e32 v36, 28, v39
	v_lshlrev_b64 v[36:37], v36, v[22:23]
	v_lshrrev_b32_e32 v38, 3, v35
	v_sub_u32_e32 v22, 29, v39
	v_and_b32_e32 v36, 7, v36
	v_cmp_gt_u32_e32 vcc, 8, v35
	v_mov_b32_e32 v35, 24
	v_cndmask_b32_e32 v22, v38, v22, vcc
	v_cndmask_b32_e32 v34, v34, v36, vcc
	v_lshlrev_b32_sdwa v35, v35, v15 dst_sel:DWORD dst_unused:UNUSED_PAD src0_sel:DWORD src1_sel:WORD_1
	v_bfrev_b32_e32 v36, 60
	v_lshlrev_b32_e32 v34, 20, v34
	v_and_b32_e32 v35, 0x80000000, v35
	v_lshl_add_u32 v22, v22, 23, v36
	v_or3_b32 v34, v35, v22, v34
.LBB427_448:
	s_or_b64 exec, exec, s[8:9]
.LBB427_449:
	s_or_b64 exec, exec, s[6:7]
.LBB427_450:
	s_or_b64 exec, exec, s[4:5]
	s_mov_b32 s4, -1
	s_mov_b32 s5, 0xffffff
	v_cmp_lt_u64_e32 vcc, s[4:5], v[14:15]
	s_and_saveexec_b64 s[4:5], vcc
	s_cbranch_execz .LBB427_456
; %bb.451:
	v_lshrrev_b32_e32 v14, 24, v15
	s_movk_i32 s3, 0x80
	v_cmp_ne_u32_e32 vcc, s3, v14
	v_bfrev_b32_e32 v24, 1
	s_and_saveexec_b64 s[6:7], vcc
	s_cbranch_execz .LBB427_455
; %bb.452:
	v_bfe_u32 v15, v15, 24, 7
	s_movk_i32 s3, 0x7f
	v_cmp_ne_u32_e32 vcc, s3, v15
	v_mov_b32_e32 v24, 0x7f800001
	s_and_saveexec_b64 s[8:9], vcc
	s_cbranch_execz .LBB427_454
; %bb.453:
	v_and_b32_e32 v22, 7, v14
	v_ffbh_u32_e32 v35, v22
	v_min_u32_e32 v35, 32, v35
	v_subrev_u32_e32 v36, 28, v35
	v_lshlrev_b64 v[36:37], v36, v[14:15]
	v_lshrrev_b32_e32 v24, 3, v15
	v_sub_u32_e32 v35, 29, v35
	v_and_b32_e32 v36, 7, v36
	v_cmp_gt_u32_e32 vcc, 8, v15
	v_cndmask_b32_e32 v15, v24, v35, vcc
	v_cndmask_b32_e32 v22, v22, v36, vcc
	v_lshlrev_b32_e32 v14, 24, v14
	v_bfrev_b32_e32 v24, 60
	v_lshlrev_b32_e32 v22, 20, v22
	v_and_b32_e32 v14, 0x80000000, v14
	v_lshl_add_u32 v15, v15, 23, v24
	v_or3_b32 v24, v14, v15, v22
.LBB427_454:
	s_or_b64 exec, exec, s[8:9]
.LBB427_455:
	s_or_b64 exec, exec, s[6:7]
.LBB427_456:
	s_or_b64 exec, exec, s[4:5]
	v_add_f32_e32 v14, 0x358637bd, v28
	v_div_scale_f32 v15, s[4:5], v14, v14, 1.0
	v_rcp_f32_e32 v22, v15
	v_div_scale_f32 v28, vcc, 1.0, v14, 1.0
	v_sub_f32_e32 v26, v26, v27
	v_fma_f32 v35, -v15, v22, 1.0
	v_fmac_f32_e32 v22, v35, v22
	v_mul_f32_e32 v35, v28, v22
	v_fma_f32 v36, -v15, v35, v28
	v_mul_f32_e32 v26, 0x3fb8aa3b, v26
	v_fmac_f32_e32 v35, v36, v22
	v_exp_f32_e32 v26, v26
	v_fma_f32 v15, -v15, v35, v28
	v_div_fmas_f32 v15, v15, v22, v35
	v_div_fixup_f32 v14, v15, v14, 1.0
	v_mul_f32_e32 v14, v26, v14
	v_pk_mul_f32 v[20:21], v[20:21], v[14:15] op_sel_hi:[1,0]
	v_pk_mul_f32 v[14:15], v[18:19], v[14:15] op_sel_hi:[1,0]
	v_cvt_f16_f32_e32 v14, v14
	v_cvt_f16_f32_e32 v15, v15
	;; [unrolled: 1-line block ×4, first 2 shown]
	v_cvt_pkrtz_f16_f32 v22, v33, v23
	v_pack_b32_f16 v14, v14, v15
	v_cvt_pkrtz_f16_f32 v23, v34, v24
	v_pack_b32_f16 v15, v18, v19
	v_cvt_pkrtz_f16_f32 v18, v30, v29
	v_cvt_pkrtz_f16_f32 v19, v32, v31
	v_mov_b32_e32 v21, 0
	s_nop 0
	v_mfma_f32_4x4x4f16 a[0:3], v[14:15], v[18:19], 0 cbsz:4
	v_mfma_f32_4x4x4f16 a[0:3], v[14:15], v[22:23], a[0:3] cbsz:4 abid:1
	v_mov_b32_e32 v22, 0
	v_cmp_ne_u16_sdwa s[6:7], v16, v22 src0_sel:BYTE_0 src1_sel:DWORD
	s_and_saveexec_b64 s[4:5], s[6:7]
	s_cbranch_execz .LBB427_462
; %bb.457:
	s_movk_i32 s3, 0x80
	v_cmp_ne_u16_sdwa s[8:9], v16, s3 src0_sel:BYTE_0 src1_sel:DWORD
	v_bfrev_b32_e32 v21, 1
	s_and_saveexec_b64 s[6:7], s[8:9]
	s_cbranch_execz .LBB427_461
; %bb.458:
	s_movk_i32 s3, 0x7f
	v_and_b32_e32 v18, 0x7f, v16
	v_cmp_ne_u32_e32 vcc, s3, v18
	v_mov_b32_e32 v21, 0x7f800001
	s_and_saveexec_b64 s[8:9], vcc
	s_cbranch_execz .LBB427_460
; %bb.459:
	v_and_b32_e32 v19, 7, v16
	v_ffbh_u32_e32 v19, v19
	v_min_u32_e32 v19, 32, v19
	v_subrev_u32_e32 v21, 28, v19
	v_cmp_gt_u32_e32 vcc, 8, v18
	v_lshrrev_b32_e32 v20, 3, v18
	v_sub_u32_e32 v19, 29, v19
	v_cndmask_b32_e32 v18, 0, v21, vcc
	v_cndmask_b32_e32 v20, v20, v19, vcc
	v_lshlrev_b64 v[18:19], v18, v[16:17]
	v_lshlrev_b32_e32 v18, 20, v18
	v_lshlrev_b32_e32 v19, 24, v16
	v_bfrev_b32_e32 v21, 60
	v_and_b32_e32 v18, 0x700000, v18
	v_and_b32_e32 v19, 0x80000000, v19
	v_lshl_add_u32 v20, v20, 23, v21
	v_or3_b32 v21, v19, v20, v18
.LBB427_460:
	s_or_b64 exec, exec, s[8:9]
.LBB427_461:
	s_or_b64 exec, exec, s[6:7]
.LBB427_462:
	s_or_b64 exec, exec, s[4:5]
	v_lshrrev_b16_e32 v18, 8, v16
	v_cmp_ne_u16_e32 vcc, 0, v18
	v_mov_b32_e32 v23, 0
	s_and_saveexec_b64 s[4:5], vcc
	s_cbranch_execz .LBB427_468
; %bb.463:
	s_movk_i32 s3, 0x80
	v_cmp_ne_u16_e32 vcc, s3, v18
	v_bfrev_b32_e32 v23, 1
	s_and_saveexec_b64 s[6:7], vcc
	s_cbranch_execz .LBB427_467
; %bb.464:
	s_movk_i32 s3, 0x7f
	v_and_b32_e32 v19, 0x7f, v18
	v_cmp_ne_u32_e32 vcc, s3, v19
	v_mov_b32_e32 v23, 0x7f800001
	s_and_saveexec_b64 s[8:9], vcc
	s_cbranch_execz .LBB427_466
; %bb.465:
	v_and_b32_e32 v20, 7, v18
	v_ffbh_u32_e32 v24, v20
	v_min_u32_e32 v24, 32, v24
	v_subrev_u32_e32 v26, 28, v24
	v_lshlrev_b64 v[26:27], v26, v[18:19]
	v_lshrrev_b32_e32 v23, 3, v19
	v_sub_u32_e32 v18, 29, v24
	v_and_b32_e32 v24, 7, v26
	v_cmp_gt_u32_e32 vcc, 8, v19
	v_cndmask_b32_e32 v18, v23, v18, vcc
	v_cndmask_b32_e32 v19, v20, v24, vcc
	v_lshlrev_b32_e32 v20, 16, v16
	v_bfrev_b32_e32 v23, 60
	v_lshlrev_b32_e32 v19, 20, v19
	v_and_b32_e32 v20, 0x80000000, v20
	v_lshl_add_u32 v18, v18, 23, v23
	v_or3_b32 v23, v20, v18, v19
.LBB427_466:
	s_or_b64 exec, exec, s[8:9]
.LBB427_467:
	s_or_b64 exec, exec, s[6:7]
.LBB427_468:
	s_or_b64 exec, exec, s[4:5]
	s_movk_i32 s3, 0xff
	v_and_b32_sdwa v19, v16, s3 dst_sel:DWORD dst_unused:UNUSED_PAD src0_sel:WORD_1 src1_sel:DWORD
	v_lshrrev_b32_e32 v18, 16, v16
	v_cmp_ne_u16_e32 vcc, 0, v19
	s_and_saveexec_b64 s[4:5], vcc
	s_cbranch_execz .LBB427_474
; %bb.469:
	s_movk_i32 s3, 0x80
	v_cmp_ne_u16_e32 vcc, s3, v19
	v_bfrev_b32_e32 v22, 1
	s_and_saveexec_b64 s[6:7], vcc
	s_cbranch_execz .LBB427_473
; %bb.470:
	v_bfe_u32 v19, v16, 16, 7
	s_movk_i32 s3, 0x7f
	v_cmp_ne_u32_e32 vcc, s3, v19
	v_mov_b32_e32 v22, 0x7f800001
	s_and_saveexec_b64 s[8:9], vcc
	s_cbranch_execz .LBB427_472
; %bb.471:
	v_and_b32_e32 v20, 7, v18
	v_ffbh_u32_e32 v24, v20
	v_min_u32_e32 v24, 32, v24
	v_subrev_u32_e32 v26, 28, v24
	v_lshlrev_b64 v[26:27], v26, v[18:19]
	v_sub_u32_e32 v18, 29, v24
	v_and_b32_e32 v24, 7, v26
	v_cmp_gt_u32_e32 vcc, 8, v19
	v_lshrrev_b32_e32 v22, 3, v19
	v_cndmask_b32_e32 v19, v20, v24, vcc
	v_mov_b32_e32 v20, 24
	v_cndmask_b32_e32 v18, v22, v18, vcc
	v_lshlrev_b32_sdwa v20, v20, v16 dst_sel:DWORD dst_unused:UNUSED_PAD src0_sel:DWORD src1_sel:WORD_1
	v_bfrev_b32_e32 v22, 60
	v_lshlrev_b32_e32 v19, 20, v19
	v_and_b32_e32 v20, 0x80000000, v20
	v_lshl_add_u32 v18, v18, 23, v22
	v_or3_b32 v22, v20, v18, v19
.LBB427_472:
	s_or_b64 exec, exec, s[8:9]
.LBB427_473:
	s_or_b64 exec, exec, s[6:7]
.LBB427_474:
	s_or_b64 exec, exec, s[4:5]
	s_mov_b32 s3, 0xffffff
	v_cmp_lt_u32_e32 vcc, s3, v16
	v_mov_b32_e32 v19, 0
	v_mov_b32_e32 v24, 0
	s_and_saveexec_b64 s[4:5], vcc
	s_cbranch_execz .LBB427_480
; %bb.475:
	v_lshrrev_b32_e32 v18, 24, v16
	s_movk_i32 s3, 0x80
	v_cmp_ne_u32_e32 vcc, s3, v18
	v_bfrev_b32_e32 v24, 1
	s_and_saveexec_b64 s[6:7], vcc
	s_cbranch_execz .LBB427_479
; %bb.476:
	v_bfe_u32 v20, v16, 24, 7
	s_movk_i32 s3, 0x7f
	v_cmp_ne_u32_e32 vcc, s3, v20
	v_mov_b32_e32 v24, 0x7f800001
	s_and_saveexec_b64 s[8:9], vcc
	s_cbranch_execz .LBB427_478
; %bb.477:
	v_and_b32_e32 v24, 7, v18
	v_ffbh_u32_e32 v26, v24
	v_min_u32_e32 v29, 32, v26
	v_subrev_u32_e32 v26, 28, v29
	v_lshlrev_b64 v[26:27], v26, v[18:19]
	v_lshrrev_b32_e32 v28, 3, v20
	v_sub_u32_e32 v27, 29, v29
	v_and_b32_e32 v26, 7, v26
	v_cmp_gt_u32_e32 vcc, 8, v20
	v_cndmask_b32_e32 v20, v28, v27, vcc
	v_cndmask_b32_e32 v24, v24, v26, vcc
	v_lshlrev_b32_e32 v18, 24, v18
	v_bfrev_b32_e32 v26, 60
	v_lshlrev_b32_e32 v24, 20, v24
	v_and_b32_e32 v18, 0x80000000, v18
	v_lshl_add_u32 v20, v20, 23, v26
	v_or3_b32 v24, v18, v20, v24
.LBB427_478:
	s_or_b64 exec, exec, s[8:9]
.LBB427_479:
	s_or_b64 exec, exec, s[6:7]
.LBB427_480:
	s_or_b64 exec, exec, s[4:5]
	v_mov_b32_e32 v18, v17
	v_cmp_ne_u16_sdwa s[6:7], v17, v19 src0_sel:BYTE_0 src1_sel:DWORD
	s_and_saveexec_b64 s[4:5], s[6:7]
	s_cbranch_execz .LBB427_486
; %bb.481:
	s_movk_i32 s3, 0x80
	v_cmp_ne_u16_sdwa s[8:9], v17, s3 src0_sel:BYTE_0 src1_sel:DWORD
	v_bfrev_b32_e32 v20, 1
	s_and_saveexec_b64 s[6:7], s[8:9]
	s_cbranch_execz .LBB427_485
; %bb.482:
	s_movk_i32 s3, 0x7f
	v_and_b32_e32 v26, 0x7f, v17
	v_cmp_ne_u32_e32 vcc, s3, v26
	v_mov_b32_e32 v20, 0x7f800001
	s_and_saveexec_b64 s[8:9], vcc
	s_cbranch_execz .LBB427_484
; %bb.483:
	v_and_b32_e32 v20, 7, v17
	v_ffbh_u32_e32 v20, v20
	v_min_u32_e32 v20, 32, v20
	v_subrev_u32_e32 v28, 28, v20
	v_cmp_gt_u32_e32 vcc, 8, v26
	v_lshrrev_b32_e32 v27, 3, v26
	v_sub_u32_e32 v20, 29, v20
	v_cndmask_b32_e32 v26, 0, v28, vcc
	v_cndmask_b32_e32 v20, v27, v20, vcc
	v_lshlrev_b64 v[26:27], v26, v[18:19]
	v_lshlrev_b32_e32 v19, 20, v26
	v_lshlrev_b32_e32 v26, 24, v18
	v_bfrev_b32_e32 v27, 60
	v_and_b32_e32 v19, 0x700000, v19
	v_and_b32_e32 v26, 0x80000000, v26
	v_lshl_add_u32 v20, v20, 23, v27
	v_or3_b32 v20, v26, v20, v19
.LBB427_484:
	s_or_b64 exec, exec, s[8:9]
.LBB427_485:
	s_or_b64 exec, exec, s[6:7]
	v_mov_b32_e32 v19, v20
.LBB427_486:
	s_or_b64 exec, exec, s[4:5]
	v_lshrrev_b16_e32 v20, 8, v18
	v_cmp_ne_u16_e32 vcc, 0, v20
	v_mov_b32_e32 v26, 0
	v_mov_b32_e32 v27, 0
	s_and_saveexec_b64 s[4:5], vcc
	s_cbranch_execz .LBB427_492
; %bb.487:
	s_movk_i32 s3, 0x80
	v_cmp_ne_u16_e32 vcc, s3, v20
	v_bfrev_b32_e32 v27, 1
	s_and_saveexec_b64 s[6:7], vcc
	s_cbranch_execz .LBB427_491
; %bb.488:
	s_movk_i32 s3, 0x7f
	v_and_b32_e32 v28, 0x7f, v20
	v_cmp_ne_u32_e32 vcc, s3, v28
	v_mov_b32_e32 v27, 0x7f800001
	s_and_saveexec_b64 s[8:9], vcc
	s_cbranch_execz .LBB427_490
; %bb.489:
	v_and_b32_e32 v27, 7, v20
	v_ffbh_u32_e32 v30, v27
	v_min_u32_e32 v32, 32, v30
	v_subrev_u32_e32 v30, 28, v32
	v_lshlrev_b64 v[30:31], v30, v[20:21]
	v_lshrrev_b32_e32 v29, 3, v28
	v_sub_u32_e32 v20, 29, v32
	v_and_b32_e32 v30, 7, v30
	v_cmp_gt_u32_e32 vcc, 8, v28
	v_cndmask_b32_e32 v20, v29, v20, vcc
	v_cndmask_b32_e32 v27, v27, v30, vcc
	v_lshlrev_b32_e32 v18, 16, v18
	v_bfrev_b32_e32 v28, 60
	v_lshlrev_b32_e32 v27, 20, v27
	v_and_b32_e32 v18, 0x80000000, v18
	v_lshl_add_u32 v20, v20, 23, v28
	v_or3_b32 v27, v18, v20, v27
.LBB427_490:
	s_or_b64 exec, exec, s[8:9]
.LBB427_491:
	s_or_b64 exec, exec, s[6:7]
.LBB427_492:
	s_or_b64 exec, exec, s[4:5]
	s_movk_i32 s3, 0xff
	v_and_b32_sdwa v20, v17, s3 dst_sel:DWORD dst_unused:UNUSED_PAD src0_sel:WORD_1 src1_sel:DWORD
	v_lshrrev_b32_e32 v18, 16, v17
	v_cmp_ne_u16_e32 vcc, 0, v20
	s_and_saveexec_b64 s[4:5], vcc
	s_cbranch_execz .LBB427_498
; %bb.493:
	s_movk_i32 s3, 0x80
	v_cmp_ne_u16_e32 vcc, s3, v20
	v_bfrev_b32_e32 v26, 1
	s_and_saveexec_b64 s[6:7], vcc
	s_cbranch_execz .LBB427_497
; %bb.494:
	v_bfe_u32 v20, v17, 16, 7
	s_movk_i32 s3, 0x7f
	v_cmp_ne_u32_e32 vcc, s3, v20
	v_mov_b32_e32 v26, 0x7f800001
	s_and_saveexec_b64 s[8:9], vcc
	s_cbranch_execz .LBB427_496
; %bb.495:
	v_and_b32_e32 v26, 7, v18
	v_ffbh_u32_e32 v28, v26
	v_min_u32_e32 v31, 32, v28
	v_subrev_u32_e32 v28, 28, v31
	v_lshlrev_b64 v[28:29], v28, v[18:19]
	v_and_b32_e32 v28, 7, v28
	v_cmp_gt_u32_e32 vcc, 8, v20
	v_lshrrev_b32_e32 v30, 3, v20
	v_sub_u32_e32 v18, 29, v31
	v_cndmask_b32_e32 v20, v26, v28, vcc
	v_mov_b32_e32 v26, 24
	v_cndmask_b32_e32 v18, v30, v18, vcc
	v_lshlrev_b32_sdwa v26, v26, v17 dst_sel:DWORD dst_unused:UNUSED_PAD src0_sel:DWORD src1_sel:WORD_1
	v_bfrev_b32_e32 v28, 60
	v_lshlrev_b32_e32 v20, 20, v20
	v_and_b32_e32 v26, 0x80000000, v26
	v_lshl_add_u32 v18, v18, 23, v28
	v_or3_b32 v26, v26, v18, v20
.LBB427_496:
	s_or_b64 exec, exec, s[8:9]
.LBB427_497:
	s_or_b64 exec, exec, s[6:7]
.LBB427_498:
	s_or_b64 exec, exec, s[4:5]
	s_mov_b32 s4, -1
	s_mov_b32 s5, 0xffffff
	v_cmp_lt_u64_e32 vcc, s[4:5], v[16:17]
	v_mov_b32_e32 v20, 0
	v_mov_b32_e32 v18, 0
	s_and_saveexec_b64 s[4:5], vcc
	s_cbranch_execz .LBB427_504
; %bb.499:
	v_lshrrev_b32_e32 v16, 24, v17
	s_movk_i32 s3, 0x80
	v_cmp_ne_u32_e32 vcc, s3, v16
	v_bfrev_b32_e32 v18, 1
	s_and_saveexec_b64 s[6:7], vcc
	s_cbranch_execz .LBB427_503
; %bb.500:
	v_bfe_u32 v17, v17, 24, 7
	s_movk_i32 s3, 0x7f
	v_cmp_ne_u32_e32 vcc, s3, v17
	v_mov_b32_e32 v18, 0x7f800001
	s_and_saveexec_b64 s[8:9], vcc
	s_cbranch_execz .LBB427_502
; %bb.501:
	v_and_b32_e32 v18, 7, v16
	v_ffbh_u32_e32 v28, v18
	v_min_u32_e32 v31, 32, v28
	v_subrev_u32_e32 v28, 28, v31
	v_lshlrev_b64 v[28:29], v28, v[16:17]
	v_lshrrev_b32_e32 v30, 3, v17
	v_sub_u32_e32 v29, 29, v31
	v_and_b32_e32 v28, 7, v28
	v_cmp_gt_u32_e32 vcc, 8, v17
	v_cndmask_b32_e32 v17, v30, v29, vcc
	v_cndmask_b32_e32 v18, v18, v28, vcc
	v_lshlrev_b32_e32 v16, 24, v16
	v_bfrev_b32_e32 v28, 60
	v_lshlrev_b32_e32 v18, 20, v18
	v_and_b32_e32 v16, 0x80000000, v16
	v_lshl_add_u32 v17, v17, 23, v28
	v_or3_b32 v18, v16, v17, v18
.LBB427_502:
	s_or_b64 exec, exec, s[8:9]
.LBB427_503:
	s_or_b64 exec, exec, s[6:7]
.LBB427_504:
	s_or_b64 exec, exec, s[4:5]
	v_cvt_pkrtz_f16_f32 v16, v21, v23
	v_cvt_pkrtz_f16_f32 v17, v22, v24
	;; [unrolled: 1-line block ×4, first 2 shown]
	v_mfma_f32_4x4x4f16 a[0:3], v[14:15], v[16:17], a[0:3] cbsz:4 abid:2
	v_cmp_ne_u16_sdwa s[6:7], v10, v20 src0_sel:BYTE_0 src1_sel:DWORD
	v_mfma_f32_4x4x4f16 a[0:3], v[14:15], v[22:23], a[0:3] cbsz:4 abid:3
	s_and_saveexec_b64 s[4:5], s[6:7]
	s_cbranch_execz .LBB427_510
; %bb.505:
	s_movk_i32 s3, 0x80
	v_cmp_ne_u16_sdwa s[8:9], v10, s3 src0_sel:BYTE_0 src1_sel:DWORD
	v_bfrev_b32_e32 v20, 1
	s_and_saveexec_b64 s[6:7], s[8:9]
	s_cbranch_execz .LBB427_509
; %bb.506:
	s_movk_i32 s3, 0x7f
	v_and_b32_e32 v16, 0x7f, v10
	v_cmp_ne_u32_e32 vcc, s3, v16
	v_mov_b32_e32 v20, 0x7f800001
	s_and_saveexec_b64 s[8:9], vcc
	s_cbranch_execz .LBB427_508
; %bb.507:
	v_and_b32_e32 v17, 7, v10
	v_ffbh_u32_e32 v17, v17
	v_min_u32_e32 v17, 32, v17
	v_subrev_u32_e32 v19, 28, v17
	v_cmp_gt_u32_e32 vcc, 8, v16
	v_lshrrev_b32_e32 v18, 3, v16
	v_sub_u32_e32 v17, 29, v17
	v_cndmask_b32_e32 v16, 0, v19, vcc
	v_cndmask_b32_e32 v18, v18, v17, vcc
	v_lshlrev_b64 v[16:17], v16, v[10:11]
	v_lshlrev_b32_e32 v16, 20, v16
	v_lshlrev_b32_e32 v17, 24, v10
	v_bfrev_b32_e32 v19, 60
	v_and_b32_e32 v16, 0x700000, v16
	v_and_b32_e32 v17, 0x80000000, v17
	v_lshl_add_u32 v18, v18, 23, v19
	v_or3_b32 v20, v17, v18, v16
.LBB427_508:
	s_or_b64 exec, exec, s[8:9]
.LBB427_509:
	s_or_b64 exec, exec, s[6:7]
.LBB427_510:
	s_or_b64 exec, exec, s[4:5]
	v_lshrrev_b16_e32 v16, 8, v10
	v_cmp_ne_u16_e32 vcc, 0, v16
	v_mov_b32_e32 v19, 0
	v_mov_b32_e32 v21, 0
	s_and_saveexec_b64 s[4:5], vcc
	s_cbranch_execz .LBB427_516
; %bb.511:
	s_movk_i32 s3, 0x80
	v_cmp_ne_u16_e32 vcc, s3, v16
	v_bfrev_b32_e32 v21, 1
	s_and_saveexec_b64 s[6:7], vcc
	s_cbranch_execz .LBB427_515
; %bb.512:
	s_movk_i32 s3, 0x7f
	v_and_b32_e32 v17, 0x7f, v16
	v_cmp_ne_u32_e32 vcc, s3, v17
	v_mov_b32_e32 v21, 0x7f800001
	s_and_saveexec_b64 s[8:9], vcc
	s_cbranch_execz .LBB427_514
; %bb.513:
	v_and_b32_e32 v18, 7, v16
	v_ffbh_u32_e32 v22, v18
	v_min_u32_e32 v24, 32, v22
	v_subrev_u32_e32 v22, 28, v24
	v_lshlrev_b64 v[22:23], v22, v[16:17]
	v_lshrrev_b32_e32 v21, 3, v17
	v_sub_u32_e32 v16, 29, v24
	v_and_b32_e32 v22, 7, v22
	v_cmp_gt_u32_e32 vcc, 8, v17
	v_cndmask_b32_e32 v16, v21, v16, vcc
	v_cndmask_b32_e32 v17, v18, v22, vcc
	v_lshlrev_b32_e32 v18, 16, v10
	v_bfrev_b32_e32 v21, 60
	v_lshlrev_b32_e32 v17, 20, v17
	v_and_b32_e32 v18, 0x80000000, v18
	v_lshl_add_u32 v16, v16, 23, v21
	v_or3_b32 v21, v18, v16, v17
.LBB427_514:
	s_or_b64 exec, exec, s[8:9]
.LBB427_515:
	s_or_b64 exec, exec, s[6:7]
.LBB427_516:
	s_or_b64 exec, exec, s[4:5]
	s_movk_i32 s3, 0xff
	v_and_b32_sdwa v17, v10, s3 dst_sel:DWORD dst_unused:UNUSED_PAD src0_sel:WORD_1 src1_sel:DWORD
	v_lshrrev_b32_e32 v16, 16, v10
	v_cmp_ne_u16_e32 vcc, 0, v17
	s_and_saveexec_b64 s[4:5], vcc
	s_cbranch_execz .LBB427_522
; %bb.517:
	s_movk_i32 s3, 0x80
	v_cmp_ne_u16_e32 vcc, s3, v17
	v_bfrev_b32_e32 v19, 1
	s_and_saveexec_b64 s[6:7], vcc
	s_cbranch_execz .LBB427_521
; %bb.518:
	v_bfe_u32 v17, v10, 16, 7
	s_movk_i32 s3, 0x7f
	v_cmp_ne_u32_e32 vcc, s3, v17
	v_mov_b32_e32 v19, 0x7f800001
	s_and_saveexec_b64 s[8:9], vcc
	s_cbranch_execz .LBB427_520
; %bb.519:
	v_and_b32_e32 v22, 7, v16
	v_ffbh_u32_e32 v18, v22
	v_min_u32_e32 v24, 32, v18
	v_subrev_u32_e32 v18, 28, v24
	v_lshlrev_b64 v[18:19], v18, v[16:17]
	v_and_b32_e32 v18, 7, v18
	v_cmp_gt_u32_e32 vcc, 8, v17
	v_lshrrev_b32_e32 v23, 3, v17
	v_sub_u32_e32 v16, 29, v24
	v_cndmask_b32_e32 v17, v22, v18, vcc
	v_mov_b32_e32 v18, 24
	v_cndmask_b32_e32 v16, v23, v16, vcc
	v_lshlrev_b32_sdwa v18, v18, v10 dst_sel:DWORD dst_unused:UNUSED_PAD src0_sel:DWORD src1_sel:WORD_1
	v_bfrev_b32_e32 v19, 60
	v_lshlrev_b32_e32 v17, 20, v17
	v_and_b32_e32 v18, 0x80000000, v18
	v_lshl_add_u32 v16, v16, 23, v19
	v_or3_b32 v19, v18, v16, v17
.LBB427_520:
	s_or_b64 exec, exec, s[8:9]
.LBB427_521:
	s_or_b64 exec, exec, s[6:7]
.LBB427_522:
	s_or_b64 exec, exec, s[4:5]
	s_mov_b32 s3, 0xffffff
	v_cmp_lt_u32_e32 vcc, s3, v10
	v_mov_b32_e32 v17, 0
	v_mov_b32_e32 v22, 0
	s_and_saveexec_b64 s[4:5], vcc
	s_cbranch_execz .LBB427_528
; %bb.523:
	v_lshrrev_b32_e32 v16, 24, v10
	s_movk_i32 s3, 0x80
	v_cmp_ne_u32_e32 vcc, s3, v16
	v_bfrev_b32_e32 v22, 1
	s_and_saveexec_b64 s[6:7], vcc
	s_cbranch_execz .LBB427_527
; %bb.524:
	v_bfe_u32 v18, v10, 24, 7
	s_movk_i32 s3, 0x7f
	v_cmp_ne_u32_e32 vcc, s3, v18
	v_mov_b32_e32 v22, 0x7f800001
	s_and_saveexec_b64 s[8:9], vcc
	s_cbranch_execz .LBB427_526
; %bb.525:
	v_and_b32_e32 v24, 7, v16
	v_ffbh_u32_e32 v22, v24
	v_min_u32_e32 v27, 32, v22
	v_subrev_u32_e32 v22, 28, v27
	v_lshlrev_b64 v[22:23], v22, v[16:17]
	v_lshrrev_b32_e32 v26, 3, v18
	v_sub_u32_e32 v23, 29, v27
	v_and_b32_e32 v22, 7, v22
	v_cmp_gt_u32_e32 vcc, 8, v18
	v_cndmask_b32_e32 v18, v26, v23, vcc
	v_cndmask_b32_e32 v22, v24, v22, vcc
	v_lshlrev_b32_e32 v16, 24, v16
	v_bfrev_b32_e32 v23, 60
	v_lshlrev_b32_e32 v22, 20, v22
	v_and_b32_e32 v16, 0x80000000, v16
	v_lshl_add_u32 v18, v18, 23, v23
	v_or3_b32 v22, v16, v18, v22
.LBB427_526:
	s_or_b64 exec, exec, s[8:9]
.LBB427_527:
	s_or_b64 exec, exec, s[6:7]
.LBB427_528:
	s_or_b64 exec, exec, s[4:5]
	v_mov_b32_e32 v16, v11
	v_cmp_ne_u16_sdwa s[6:7], v11, v17 src0_sel:BYTE_0 src1_sel:DWORD
	s_and_saveexec_b64 s[4:5], s[6:7]
	s_cbranch_execz .LBB427_534
; %bb.529:
	s_movk_i32 s3, 0x80
	v_cmp_ne_u16_sdwa s[8:9], v11, s3 src0_sel:BYTE_0 src1_sel:DWORD
	v_bfrev_b32_e32 v18, 1
	s_and_saveexec_b64 s[6:7], s[8:9]
	s_cbranch_execz .LBB427_533
; %bb.530:
	s_movk_i32 s3, 0x7f
	v_and_b32_e32 v23, 0x7f, v11
	v_cmp_ne_u32_e32 vcc, s3, v23
	v_mov_b32_e32 v18, 0x7f800001
	s_and_saveexec_b64 s[8:9], vcc
	s_cbranch_execz .LBB427_532
; %bb.531:
	v_and_b32_e32 v18, 7, v11
	v_ffbh_u32_e32 v18, v18
	v_min_u32_e32 v18, 32, v18
	v_subrev_u32_e32 v26, 28, v18
	v_cmp_gt_u32_e32 vcc, 8, v23
	v_lshrrev_b32_e32 v24, 3, v23
	v_cndmask_b32_e32 v23, 0, v26, vcc
	v_sub_u32_e32 v18, 29, v18
	v_lshlrev_b64 v[26:27], v23, v[16:17]
	v_cndmask_b32_e32 v18, v24, v18, vcc
	v_lshlrev_b32_e32 v17, 20, v26
	v_lshlrev_b32_e32 v23, 24, v16
	v_bfrev_b32_e32 v24, 60
	v_and_b32_e32 v17, 0x700000, v17
	v_and_b32_e32 v23, 0x80000000, v23
	v_lshl_add_u32 v18, v18, 23, v24
	v_or3_b32 v18, v23, v18, v17
.LBB427_532:
	s_or_b64 exec, exec, s[8:9]
.LBB427_533:
	s_or_b64 exec, exec, s[6:7]
	v_mov_b32_e32 v17, v18
.LBB427_534:
	s_or_b64 exec, exec, s[4:5]
	v_lshrrev_b16_e32 v18, 8, v16
	v_cmp_ne_u16_e32 vcc, 0, v18
	v_mov_b32_e32 v23, 0
	v_mov_b32_e32 v24, 0
	s_and_saveexec_b64 s[4:5], vcc
	s_cbranch_execz .LBB427_540
; %bb.535:
	s_movk_i32 s3, 0x80
	v_cmp_ne_u16_e32 vcc, s3, v18
	v_bfrev_b32_e32 v24, 1
	s_and_saveexec_b64 s[6:7], vcc
	s_cbranch_execz .LBB427_539
; %bb.536:
	s_movk_i32 s3, 0x7f
	v_and_b32_e32 v26, 0x7f, v18
	v_cmp_ne_u32_e32 vcc, s3, v26
	v_mov_b32_e32 v24, 0x7f800001
	s_and_saveexec_b64 s[8:9], vcc
	s_cbranch_execz .LBB427_538
; %bb.537:
	v_and_b32_e32 v24, 7, v18
	v_ffbh_u32_e32 v28, v24
	v_min_u32_e32 v30, 32, v28
	v_subrev_u32_e32 v28, 28, v30
	v_lshlrev_b64 v[28:29], v28, v[18:19]
	v_lshrrev_b32_e32 v27, 3, v26
	v_sub_u32_e32 v18, 29, v30
	v_and_b32_e32 v28, 7, v28
	v_cmp_gt_u32_e32 vcc, 8, v26
	v_cndmask_b32_e32 v18, v27, v18, vcc
	v_cndmask_b32_e32 v24, v24, v28, vcc
	v_lshlrev_b32_e32 v16, 16, v16
	v_bfrev_b32_e32 v26, 60
	v_lshlrev_b32_e32 v24, 20, v24
	v_and_b32_e32 v16, 0x80000000, v16
	v_lshl_add_u32 v18, v18, 23, v26
	v_or3_b32 v24, v16, v18, v24
.LBB427_538:
	s_or_b64 exec, exec, s[8:9]
.LBB427_539:
	s_or_b64 exec, exec, s[6:7]
.LBB427_540:
	s_or_b64 exec, exec, s[4:5]
	s_movk_i32 s3, 0xff
	v_and_b32_sdwa v18, v11, s3 dst_sel:DWORD dst_unused:UNUSED_PAD src0_sel:WORD_1 src1_sel:DWORD
	v_lshrrev_b32_e32 v16, 16, v11
	v_cmp_ne_u16_e32 vcc, 0, v18
	s_and_saveexec_b64 s[4:5], vcc
	s_cbranch_execz .LBB427_546
; %bb.541:
	s_movk_i32 s3, 0x80
	v_cmp_ne_u16_e32 vcc, s3, v18
	v_bfrev_b32_e32 v23, 1
	s_and_saveexec_b64 s[6:7], vcc
	s_cbranch_execz .LBB427_545
; %bb.542:
	v_bfe_u32 v18, v11, 16, 7
	s_movk_i32 s3, 0x7f
	v_cmp_ne_u32_e32 vcc, s3, v18
	v_mov_b32_e32 v23, 0x7f800001
	s_and_saveexec_b64 s[8:9], vcc
	s_cbranch_execz .LBB427_544
; %bb.543:
	v_and_b32_e32 v23, 7, v16
	v_ffbh_u32_e32 v26, v23
	v_min_u32_e32 v29, 32, v26
	v_subrev_u32_e32 v26, 28, v29
	v_lshlrev_b64 v[26:27], v26, v[16:17]
	v_and_b32_e32 v26, 7, v26
	v_cmp_gt_u32_e32 vcc, 8, v18
	v_lshrrev_b32_e32 v28, 3, v18
	v_sub_u32_e32 v16, 29, v29
	v_cndmask_b32_e32 v18, v23, v26, vcc
	v_mov_b32_e32 v23, 24
	v_cndmask_b32_e32 v16, v28, v16, vcc
	v_lshlrev_b32_sdwa v23, v23, v11 dst_sel:DWORD dst_unused:UNUSED_PAD src0_sel:DWORD src1_sel:WORD_1
	v_bfrev_b32_e32 v26, 60
	v_lshlrev_b32_e32 v18, 20, v18
	v_and_b32_e32 v23, 0x80000000, v23
	v_lshl_add_u32 v16, v16, 23, v26
	v_or3_b32 v23, v23, v16, v18
.LBB427_544:
	s_or_b64 exec, exec, s[8:9]
.LBB427_545:
	s_or_b64 exec, exec, s[6:7]
.LBB427_546:
	s_or_b64 exec, exec, s[4:5]
	s_mov_b32 s4, -1
	s_mov_b32 s5, 0xffffff
	v_cmp_lt_u64_e32 vcc, s[4:5], v[10:11]
	v_mov_b32_e32 v18, 0
	v_mov_b32_e32 v16, 0
	s_and_saveexec_b64 s[4:5], vcc
	s_cbranch_execz .LBB427_552
; %bb.547:
	v_lshrrev_b32_e32 v10, 24, v11
	s_movk_i32 s3, 0x80
	v_cmp_ne_u32_e32 vcc, s3, v10
	v_bfrev_b32_e32 v16, 1
	s_and_saveexec_b64 s[6:7], vcc
	s_cbranch_execz .LBB427_551
; %bb.548:
	v_bfe_u32 v11, v11, 24, 7
	s_movk_i32 s3, 0x7f
	v_cmp_ne_u32_e32 vcc, s3, v11
	v_mov_b32_e32 v16, 0x7f800001
	s_and_saveexec_b64 s[8:9], vcc
	s_cbranch_execz .LBB427_550
; %bb.549:
	v_and_b32_e32 v16, 7, v10
	v_ffbh_u32_e32 v26, v16
	v_min_u32_e32 v29, 32, v26
	v_subrev_u32_e32 v26, 28, v29
	v_lshlrev_b64 v[26:27], v26, v[10:11]
	v_lshrrev_b32_e32 v28, 3, v11
	v_sub_u32_e32 v27, 29, v29
	v_and_b32_e32 v26, 7, v26
	v_cmp_gt_u32_e32 vcc, 8, v11
	v_cndmask_b32_e32 v11, v28, v27, vcc
	v_cndmask_b32_e32 v16, v16, v26, vcc
	v_lshlrev_b32_e32 v10, 24, v10
	v_bfrev_b32_e32 v26, 60
	v_lshlrev_b32_e32 v16, 20, v16
	v_and_b32_e32 v10, 0x80000000, v10
	v_lshl_add_u32 v11, v11, 23, v26
	v_or3_b32 v16, v10, v11, v16
.LBB427_550:
	s_or_b64 exec, exec, s[8:9]
.LBB427_551:
	s_or_b64 exec, exec, s[6:7]
.LBB427_552:
	s_or_b64 exec, exec, s[4:5]
	v_cvt_pkrtz_f16_f32 v10, v20, v21
	v_cvt_pkrtz_f16_f32 v11, v19, v22
	;; [unrolled: 1-line block ×4, first 2 shown]
	v_mfma_f32_4x4x4f16 a[0:3], v[14:15], v[10:11], a[0:3] cbsz:4 abid:4
	v_cmp_ne_u16_sdwa s[6:7], v12, v18 src0_sel:BYTE_0 src1_sel:DWORD
	v_mfma_f32_4x4x4f16 a[0:3], v[14:15], v[20:21], a[0:3] cbsz:4 abid:5
	s_and_saveexec_b64 s[4:5], s[6:7]
	s_cbranch_execz .LBB427_558
; %bb.553:
	s_movk_i32 s3, 0x80
	v_cmp_ne_u16_sdwa s[8:9], v12, s3 src0_sel:BYTE_0 src1_sel:DWORD
	v_bfrev_b32_e32 v18, 1
	s_and_saveexec_b64 s[6:7], s[8:9]
	s_cbranch_execz .LBB427_557
; %bb.554:
	s_movk_i32 s3, 0x7f
	v_and_b32_e32 v10, 0x7f, v12
	v_cmp_ne_u32_e32 vcc, s3, v10
	v_mov_b32_e32 v18, 0x7f800001
	s_and_saveexec_b64 s[8:9], vcc
	s_cbranch_execz .LBB427_556
; %bb.555:
	v_and_b32_e32 v11, 7, v12
	v_ffbh_u32_e32 v11, v11
	v_min_u32_e32 v11, 32, v11
	v_subrev_u32_e32 v17, 28, v11
	v_cmp_gt_u32_e32 vcc, 8, v10
	v_lshrrev_b32_e32 v16, 3, v10
	v_sub_u32_e32 v11, 29, v11
	v_cndmask_b32_e32 v10, 0, v17, vcc
	v_cndmask_b32_e32 v16, v16, v11, vcc
	v_lshlrev_b64 v[10:11], v10, v[12:13]
	v_lshlrev_b32_e32 v10, 20, v10
	v_lshlrev_b32_e32 v11, 24, v12
	v_bfrev_b32_e32 v17, 60
	v_and_b32_e32 v10, 0x700000, v10
	v_and_b32_e32 v11, 0x80000000, v11
	v_lshl_add_u32 v16, v16, 23, v17
	v_or3_b32 v18, v11, v16, v10
.LBB427_556:
	s_or_b64 exec, exec, s[8:9]
.LBB427_557:
	s_or_b64 exec, exec, s[6:7]
.LBB427_558:
	s_or_b64 exec, exec, s[4:5]
	v_lshrrev_b16_e32 v10, 8, v12
	v_cmp_ne_u16_e32 vcc, 0, v10
	v_mov_b32_e32 v17, 0
	v_mov_b32_e32 v19, 0
	s_and_saveexec_b64 s[4:5], vcc
	s_cbranch_execz .LBB427_564
; %bb.559:
	s_movk_i32 s3, 0x80
	v_cmp_ne_u16_e32 vcc, s3, v10
	v_bfrev_b32_e32 v19, 1
	s_and_saveexec_b64 s[6:7], vcc
	s_cbranch_execz .LBB427_563
; %bb.560:
	s_movk_i32 s3, 0x7f
	v_and_b32_e32 v11, 0x7f, v10
	v_cmp_ne_u32_e32 vcc, s3, v11
	v_mov_b32_e32 v19, 0x7f800001
	s_and_saveexec_b64 s[8:9], vcc
	s_cbranch_execz .LBB427_562
; %bb.561:
	v_and_b32_e32 v16, 7, v10
	v_ffbh_u32_e32 v20, v16
	v_min_u32_e32 v22, 32, v20
	v_subrev_u32_e32 v20, 28, v22
	v_lshlrev_b64 v[20:21], v20, v[10:11]
	v_lshrrev_b32_e32 v19, 3, v11
	v_sub_u32_e32 v10, 29, v22
	v_and_b32_e32 v20, 7, v20
	v_cmp_gt_u32_e32 vcc, 8, v11
	v_cndmask_b32_e32 v10, v19, v10, vcc
	v_cndmask_b32_e32 v11, v16, v20, vcc
	v_lshlrev_b32_e32 v16, 16, v12
	v_bfrev_b32_e32 v19, 60
	v_lshlrev_b32_e32 v11, 20, v11
	v_and_b32_e32 v16, 0x80000000, v16
	v_lshl_add_u32 v10, v10, 23, v19
	v_or3_b32 v19, v16, v10, v11
.LBB427_562:
	s_or_b64 exec, exec, s[8:9]
.LBB427_563:
	s_or_b64 exec, exec, s[6:7]
.LBB427_564:
	s_or_b64 exec, exec, s[4:5]
	s_movk_i32 s3, 0xff
	v_and_b32_sdwa v11, v12, s3 dst_sel:DWORD dst_unused:UNUSED_PAD src0_sel:WORD_1 src1_sel:DWORD
	v_lshrrev_b32_e32 v10, 16, v12
	v_cmp_ne_u16_e32 vcc, 0, v11
	s_and_saveexec_b64 s[4:5], vcc
	s_cbranch_execz .LBB427_570
; %bb.565:
	s_movk_i32 s3, 0x80
	v_cmp_ne_u16_e32 vcc, s3, v11
	v_bfrev_b32_e32 v17, 1
	s_and_saveexec_b64 s[6:7], vcc
	s_cbranch_execz .LBB427_569
; %bb.566:
	v_bfe_u32 v11, v12, 16, 7
	s_movk_i32 s3, 0x7f
	v_cmp_ne_u32_e32 vcc, s3, v11
	v_mov_b32_e32 v17, 0x7f800001
	s_and_saveexec_b64 s[8:9], vcc
	s_cbranch_execz .LBB427_568
; %bb.567:
	v_and_b32_e32 v20, 7, v10
	v_ffbh_u32_e32 v16, v20
	v_min_u32_e32 v22, 32, v16
	v_subrev_u32_e32 v16, 28, v22
	v_lshlrev_b64 v[16:17], v16, v[10:11]
	v_and_b32_e32 v16, 7, v16
	v_cmp_gt_u32_e32 vcc, 8, v11
	v_lshrrev_b32_e32 v21, 3, v11
	v_sub_u32_e32 v10, 29, v22
	v_cndmask_b32_e32 v11, v20, v16, vcc
	v_mov_b32_e32 v16, 24
	v_cndmask_b32_e32 v10, v21, v10, vcc
	v_lshlrev_b32_sdwa v16, v16, v12 dst_sel:DWORD dst_unused:UNUSED_PAD src0_sel:DWORD src1_sel:WORD_1
	v_bfrev_b32_e32 v17, 60
	v_lshlrev_b32_e32 v11, 20, v11
	v_and_b32_e32 v16, 0x80000000, v16
	v_lshl_add_u32 v10, v10, 23, v17
	v_or3_b32 v17, v16, v10, v11
.LBB427_568:
	s_or_b64 exec, exec, s[8:9]
.LBB427_569:
	s_or_b64 exec, exec, s[6:7]
.LBB427_570:
	s_or_b64 exec, exec, s[4:5]
	s_mov_b32 s3, 0xffffff
	v_cmp_lt_u32_e32 vcc, s3, v12
	v_mov_b32_e32 v11, 0
	v_mov_b32_e32 v20, 0
	s_and_saveexec_b64 s[4:5], vcc
	s_cbranch_execz .LBB427_576
; %bb.571:
	v_lshrrev_b32_e32 v10, 24, v12
	s_movk_i32 s3, 0x80
	v_cmp_ne_u32_e32 vcc, s3, v10
	v_bfrev_b32_e32 v20, 1
	s_and_saveexec_b64 s[6:7], vcc
	s_cbranch_execz .LBB427_575
; %bb.572:
	v_bfe_u32 v16, v12, 24, 7
	s_movk_i32 s3, 0x7f
	v_cmp_ne_u32_e32 vcc, s3, v16
	v_mov_b32_e32 v20, 0x7f800001
	s_and_saveexec_b64 s[8:9], vcc
	s_cbranch_execz .LBB427_574
; %bb.573:
	v_and_b32_e32 v22, 7, v10
	v_ffbh_u32_e32 v20, v22
	v_min_u32_e32 v24, 32, v20
	v_subrev_u32_e32 v20, 28, v24
	v_lshlrev_b64 v[20:21], v20, v[10:11]
	v_lshrrev_b32_e32 v23, 3, v16
	v_sub_u32_e32 v21, 29, v24
	v_and_b32_e32 v20, 7, v20
	v_cmp_gt_u32_e32 vcc, 8, v16
	v_cndmask_b32_e32 v16, v23, v21, vcc
	v_cndmask_b32_e32 v20, v22, v20, vcc
	v_lshlrev_b32_e32 v10, 24, v10
	v_bfrev_b32_e32 v21, 60
	v_lshlrev_b32_e32 v20, 20, v20
	v_and_b32_e32 v10, 0x80000000, v10
	v_lshl_add_u32 v16, v16, 23, v21
	v_or3_b32 v20, v10, v16, v20
.LBB427_574:
	s_or_b64 exec, exec, s[8:9]
.LBB427_575:
	s_or_b64 exec, exec, s[6:7]
.LBB427_576:
	s_or_b64 exec, exec, s[4:5]
	v_mov_b32_e32 v10, v13
	v_cmp_ne_u16_sdwa s[6:7], v13, v11 src0_sel:BYTE_0 src1_sel:DWORD
	s_and_saveexec_b64 s[4:5], s[6:7]
	s_cbranch_execz .LBB427_582
; %bb.577:
	s_movk_i32 s3, 0x80
	v_cmp_ne_u16_sdwa s[8:9], v13, s3 src0_sel:BYTE_0 src1_sel:DWORD
	v_bfrev_b32_e32 v16, 1
	s_and_saveexec_b64 s[6:7], s[8:9]
	s_cbranch_execz .LBB427_581
; %bb.578:
	s_movk_i32 s3, 0x7f
	v_and_b32_e32 v21, 0x7f, v13
	v_cmp_ne_u32_e32 vcc, s3, v21
	v_mov_b32_e32 v16, 0x7f800001
	s_and_saveexec_b64 s[8:9], vcc
	s_cbranch_execz .LBB427_580
; %bb.579:
	v_and_b32_e32 v16, 7, v13
	v_ffbh_u32_e32 v16, v16
	v_min_u32_e32 v16, 32, v16
	v_subrev_u32_e32 v23, 28, v16
	v_cmp_gt_u32_e32 vcc, 8, v21
	v_lshrrev_b32_e32 v22, 3, v21
	v_sub_u32_e32 v16, 29, v16
	v_cndmask_b32_e32 v21, 0, v23, vcc
	v_cndmask_b32_e32 v16, v22, v16, vcc
	v_lshlrev_b64 v[22:23], v21, v[10:11]
	v_lshlrev_b32_e32 v11, 20, v22
	v_lshlrev_b32_e32 v21, 24, v10
	v_bfrev_b32_e32 v22, 60
	v_and_b32_e32 v11, 0x700000, v11
	v_and_b32_e32 v21, 0x80000000, v21
	v_lshl_add_u32 v16, v16, 23, v22
	v_or3_b32 v16, v21, v16, v11
.LBB427_580:
	s_or_b64 exec, exec, s[8:9]
.LBB427_581:
	s_or_b64 exec, exec, s[6:7]
	v_mov_b32_e32 v11, v16
.LBB427_582:
	s_or_b64 exec, exec, s[4:5]
	v_lshrrev_b16_e32 v16, 8, v10
	v_cmp_ne_u16_e32 vcc, 0, v16
	v_mov_b32_e32 v21, 0
	v_mov_b32_e32 v22, 0
	s_and_saveexec_b64 s[4:5], vcc
	s_cbranch_execz .LBB427_588
; %bb.583:
	s_movk_i32 s3, 0x80
	v_cmp_ne_u16_e32 vcc, s3, v16
	v_bfrev_b32_e32 v22, 1
	s_and_saveexec_b64 s[6:7], vcc
	s_cbranch_execz .LBB427_587
; %bb.584:
	s_movk_i32 s3, 0x7f
	v_and_b32_e32 v23, 0x7f, v16
	v_cmp_ne_u32_e32 vcc, s3, v23
	v_mov_b32_e32 v22, 0x7f800001
	s_and_saveexec_b64 s[8:9], vcc
	s_cbranch_execz .LBB427_586
; %bb.585:
	v_and_b32_e32 v22, 7, v16
	v_ffbh_u32_e32 v26, v22
	v_min_u32_e32 v28, 32, v26
	v_subrev_u32_e32 v26, 28, v28
	v_lshlrev_b64 v[26:27], v26, v[16:17]
	v_lshrrev_b32_e32 v24, 3, v23
	v_sub_u32_e32 v16, 29, v28
	v_and_b32_e32 v26, 7, v26
	v_cmp_gt_u32_e32 vcc, 8, v23
	v_cndmask_b32_e32 v16, v24, v16, vcc
	v_cndmask_b32_e32 v22, v22, v26, vcc
	v_lshlrev_b32_e32 v10, 16, v10
	v_bfrev_b32_e32 v23, 60
	v_lshlrev_b32_e32 v22, 20, v22
	v_and_b32_e32 v10, 0x80000000, v10
	v_lshl_add_u32 v16, v16, 23, v23
	v_or3_b32 v22, v10, v16, v22
.LBB427_586:
	s_or_b64 exec, exec, s[8:9]
.LBB427_587:
	s_or_b64 exec, exec, s[6:7]
.LBB427_588:
	s_or_b64 exec, exec, s[4:5]
	s_movk_i32 s3, 0xff
	v_and_b32_sdwa v16, v13, s3 dst_sel:DWORD dst_unused:UNUSED_PAD src0_sel:WORD_1 src1_sel:DWORD
	v_lshrrev_b32_e32 v10, 16, v13
	v_cmp_ne_u16_e32 vcc, 0, v16
	s_and_saveexec_b64 s[4:5], vcc
	s_cbranch_execz .LBB427_594
; %bb.589:
	s_movk_i32 s3, 0x80
	v_cmp_ne_u16_e32 vcc, s3, v16
	v_bfrev_b32_e32 v21, 1
	s_and_saveexec_b64 s[6:7], vcc
	s_cbranch_execz .LBB427_593
; %bb.590:
	v_bfe_u32 v16, v13, 16, 7
	s_movk_i32 s3, 0x7f
	v_cmp_ne_u32_e32 vcc, s3, v16
	v_mov_b32_e32 v21, 0x7f800001
	s_and_saveexec_b64 s[8:9], vcc
	s_cbranch_execz .LBB427_592
; %bb.591:
	v_and_b32_e32 v21, 7, v10
	v_ffbh_u32_e32 v24, v21
	v_min_u32_e32 v24, 32, v24
	v_subrev_u32_e32 v26, 28, v24
	v_lshlrev_b64 v[26:27], v26, v[10:11]
	v_sub_u32_e32 v10, 29, v24
	v_and_b32_e32 v24, 7, v26
	v_cmp_gt_u32_e32 vcc, 8, v16
	v_lshrrev_b32_e32 v23, 3, v16
	v_cndmask_b32_e32 v16, v21, v24, vcc
	v_mov_b32_e32 v21, 24
	v_cndmask_b32_e32 v10, v23, v10, vcc
	v_lshlrev_b32_sdwa v21, v21, v13 dst_sel:DWORD dst_unused:UNUSED_PAD src0_sel:DWORD src1_sel:WORD_1
	v_bfrev_b32_e32 v23, 60
	v_lshlrev_b32_e32 v16, 20, v16
	v_and_b32_e32 v21, 0x80000000, v21
	v_lshl_add_u32 v10, v10, 23, v23
	v_or3_b32 v21, v21, v10, v16
.LBB427_592:
	s_or_b64 exec, exec, s[8:9]
.LBB427_593:
	s_or_b64 exec, exec, s[6:7]
.LBB427_594:
	s_or_b64 exec, exec, s[4:5]
	s_mov_b32 s4, -1
	s_mov_b32 s5, 0xffffff
	v_cmp_lt_u64_e32 vcc, s[4:5], v[12:13]
	v_mov_b32_e32 v16, 0
	v_mov_b32_e32 v12, 0
	s_and_saveexec_b64 s[4:5], vcc
	s_cbranch_execz .LBB427_600
; %bb.595:
	v_lshrrev_b32_e32 v10, 24, v13
	s_movk_i32 s3, 0x80
	v_cmp_ne_u32_e32 vcc, s3, v10
	v_bfrev_b32_e32 v12, 1
	s_and_saveexec_b64 s[6:7], vcc
	s_cbranch_execz .LBB427_599
; %bb.596:
	v_bfe_u32 v13, v13, 24, 7
	s_movk_i32 s3, 0x7f
	v_cmp_ne_u32_e32 vcc, s3, v13
	v_mov_b32_e32 v12, 0x7f800001
	s_and_saveexec_b64 s[8:9], vcc
	s_cbranch_execz .LBB427_598
; %bb.597:
	v_and_b32_e32 v12, 7, v10
	v_ffbh_u32_e32 v24, v12
	v_min_u32_e32 v24, 32, v24
	v_subrev_u32_e32 v26, 28, v24
	v_lshlrev_b64 v[26:27], v26, v[10:11]
	v_lshrrev_b32_e32 v23, 3, v13
	v_sub_u32_e32 v24, 29, v24
	v_and_b32_e32 v26, 7, v26
	v_cmp_gt_u32_e32 vcc, 8, v13
	v_cndmask_b32_e32 v13, v23, v24, vcc
	v_cndmask_b32_e32 v12, v12, v26, vcc
	v_lshlrev_b32_e32 v10, 24, v10
	v_bfrev_b32_e32 v23, 60
	v_lshlrev_b32_e32 v12, 20, v12
	v_and_b32_e32 v10, 0x80000000, v10
	v_lshl_add_u32 v13, v13, 23, v23
	v_or3_b32 v12, v10, v13, v12
.LBB427_598:
	s_or_b64 exec, exec, s[8:9]
.LBB427_599:
	s_or_b64 exec, exec, s[6:7]
.LBB427_600:
	s_or_b64 exec, exec, s[4:5]
	v_cvt_pkrtz_f16_f32 v18, v18, v19
	v_cvt_pkrtz_f16_f32 v19, v17, v20
	;; [unrolled: 1-line block ×4, first 2 shown]
	v_mfma_f32_4x4x4f16 a[0:3], v[14:15], v[18:19], a[0:3] cbsz:4 abid:6
	s_waitcnt vmcnt(0)
	v_cmp_ne_u16_sdwa s[6:7], v6, v16 src0_sel:BYTE_0 src1_sel:DWORD
	v_mfma_f32_4x4x4f16 a[0:3], v[14:15], v[10:11], a[0:3] cbsz:4 abid:7
	s_and_saveexec_b64 s[4:5], s[6:7]
	s_cbranch_execz .LBB427_606
; %bb.601:
	s_movk_i32 s3, 0x80
	v_cmp_ne_u16_sdwa s[8:9], v6, s3 src0_sel:BYTE_0 src1_sel:DWORD
	v_bfrev_b32_e32 v16, 1
	s_and_saveexec_b64 s[6:7], s[8:9]
	s_cbranch_execz .LBB427_605
; %bb.602:
	s_movk_i32 s3, 0x7f
	v_and_b32_e32 v10, 0x7f, v6
	v_cmp_ne_u32_e32 vcc, s3, v10
	v_mov_b32_e32 v16, 0x7f800001
	s_and_saveexec_b64 s[8:9], vcc
	s_cbranch_execz .LBB427_604
; %bb.603:
	v_and_b32_e32 v11, 7, v6
	v_ffbh_u32_e32 v11, v11
	v_min_u32_e32 v11, 32, v11
	v_subrev_u32_e32 v13, 28, v11
	v_cmp_gt_u32_e32 vcc, 8, v10
	v_lshrrev_b32_e32 v12, 3, v10
	v_sub_u32_e32 v11, 29, v11
	v_cndmask_b32_e32 v10, 0, v13, vcc
	v_cndmask_b32_e32 v12, v12, v11, vcc
	v_lshlrev_b64 v[10:11], v10, v[6:7]
	v_lshlrev_b32_e32 v10, 20, v10
	v_lshlrev_b32_e32 v11, 24, v6
	v_bfrev_b32_e32 v13, 60
	v_and_b32_e32 v10, 0x700000, v10
	v_and_b32_e32 v11, 0x80000000, v11
	v_lshl_add_u32 v12, v12, 23, v13
	v_or3_b32 v16, v11, v12, v10
.LBB427_604:
	s_or_b64 exec, exec, s[8:9]
.LBB427_605:
	s_or_b64 exec, exec, s[6:7]
.LBB427_606:
	s_or_b64 exec, exec, s[4:5]
	v_lshrrev_b16_e32 v10, 8, v6
	v_cmp_ne_u16_e32 vcc, 0, v10
	v_mov_b32_e32 v13, 0
	v_mov_b32_e32 v17, 0
	s_and_saveexec_b64 s[4:5], vcc
	s_cbranch_execz .LBB427_612
; %bb.607:
	s_movk_i32 s3, 0x80
	v_cmp_ne_u16_e32 vcc, s3, v10
	v_bfrev_b32_e32 v17, 1
	s_and_saveexec_b64 s[6:7], vcc
	s_cbranch_execz .LBB427_611
; %bb.608:
	s_movk_i32 s3, 0x7f
	v_and_b32_e32 v11, 0x7f, v10
	v_cmp_ne_u32_e32 vcc, s3, v11
	v_mov_b32_e32 v17, 0x7f800001
	s_and_saveexec_b64 s[8:9], vcc
	s_cbranch_execz .LBB427_610
; %bb.609:
	v_and_b32_e32 v12, 7, v10
	v_ffbh_u32_e32 v18, v12
	v_min_u32_e32 v20, 32, v18
	v_subrev_u32_e32 v18, 28, v20
	v_lshlrev_b64 v[18:19], v18, v[10:11]
	v_lshrrev_b32_e32 v17, 3, v11
	v_sub_u32_e32 v10, 29, v20
	v_and_b32_e32 v18, 7, v18
	v_cmp_gt_u32_e32 vcc, 8, v11
	v_cndmask_b32_e32 v10, v17, v10, vcc
	v_cndmask_b32_e32 v11, v12, v18, vcc
	v_lshlrev_b32_e32 v12, 16, v6
	v_bfrev_b32_e32 v17, 60
	v_lshlrev_b32_e32 v11, 20, v11
	v_and_b32_e32 v12, 0x80000000, v12
	v_lshl_add_u32 v10, v10, 23, v17
	v_or3_b32 v17, v12, v10, v11
.LBB427_610:
	s_or_b64 exec, exec, s[8:9]
.LBB427_611:
	s_or_b64 exec, exec, s[6:7]
.LBB427_612:
	s_or_b64 exec, exec, s[4:5]
	s_movk_i32 s3, 0xff
	v_and_b32_sdwa v11, v6, s3 dst_sel:DWORD dst_unused:UNUSED_PAD src0_sel:WORD_1 src1_sel:DWORD
	v_lshrrev_b32_e32 v10, 16, v6
	v_cmp_ne_u16_e32 vcc, 0, v11
	s_and_saveexec_b64 s[4:5], vcc
	s_cbranch_execz .LBB427_618
; %bb.613:
	s_movk_i32 s3, 0x80
	v_cmp_ne_u16_e32 vcc, s3, v11
	v_bfrev_b32_e32 v13, 1
	s_and_saveexec_b64 s[6:7], vcc
	s_cbranch_execz .LBB427_617
; %bb.614:
	v_bfe_u32 v11, v6, 16, 7
	s_movk_i32 s3, 0x7f
	v_cmp_ne_u32_e32 vcc, s3, v11
	v_mov_b32_e32 v13, 0x7f800001
	s_and_saveexec_b64 s[8:9], vcc
	s_cbranch_execz .LBB427_616
; %bb.615:
	v_and_b32_e32 v18, 7, v10
	v_ffbh_u32_e32 v12, v18
	v_min_u32_e32 v20, 32, v12
	v_subrev_u32_e32 v12, 28, v20
	v_lshlrev_b64 v[12:13], v12, v[10:11]
	v_and_b32_e32 v12, 7, v12
	v_cmp_gt_u32_e32 vcc, 8, v11
	v_lshrrev_b32_e32 v19, 3, v11
	v_sub_u32_e32 v10, 29, v20
	v_cndmask_b32_e32 v11, v18, v12, vcc
	v_mov_b32_e32 v12, 24
	v_cndmask_b32_e32 v10, v19, v10, vcc
	v_lshlrev_b32_sdwa v12, v12, v6 dst_sel:DWORD dst_unused:UNUSED_PAD src0_sel:DWORD src1_sel:WORD_1
	v_bfrev_b32_e32 v13, 60
	v_lshlrev_b32_e32 v11, 20, v11
	v_and_b32_e32 v12, 0x80000000, v12
	v_lshl_add_u32 v10, v10, 23, v13
	v_or3_b32 v13, v12, v10, v11
.LBB427_616:
	s_or_b64 exec, exec, s[8:9]
.LBB427_617:
	s_or_b64 exec, exec, s[6:7]
.LBB427_618:
	s_or_b64 exec, exec, s[4:5]
	s_mov_b32 s3, 0xffffff
	v_cmp_lt_u32_e32 vcc, s3, v6
	v_mov_b32_e32 v11, 0
	v_mov_b32_e32 v18, 0
	s_and_saveexec_b64 s[4:5], vcc
	s_cbranch_execz .LBB427_624
; %bb.619:
	v_lshrrev_b32_e32 v10, 24, v6
	s_movk_i32 s3, 0x80
	v_cmp_ne_u32_e32 vcc, s3, v10
	v_bfrev_b32_e32 v18, 1
	s_and_saveexec_b64 s[6:7], vcc
	s_cbranch_execz .LBB427_623
; %bb.620:
	v_bfe_u32 v12, v6, 24, 7
	s_movk_i32 s3, 0x7f
	v_cmp_ne_u32_e32 vcc, s3, v12
	v_mov_b32_e32 v18, 0x7f800001
	s_and_saveexec_b64 s[8:9], vcc
	s_cbranch_execz .LBB427_622
; %bb.621:
	v_and_b32_e32 v20, 7, v10
	v_ffbh_u32_e32 v18, v20
	v_min_u32_e32 v22, 32, v18
	v_subrev_u32_e32 v18, 28, v22
	v_lshlrev_b64 v[18:19], v18, v[10:11]
	v_lshrrev_b32_e32 v21, 3, v12
	v_sub_u32_e32 v19, 29, v22
	v_and_b32_e32 v18, 7, v18
	v_cmp_gt_u32_e32 vcc, 8, v12
	v_cndmask_b32_e32 v12, v21, v19, vcc
	v_cndmask_b32_e32 v18, v20, v18, vcc
	v_lshlrev_b32_e32 v10, 24, v10
	v_bfrev_b32_e32 v19, 60
	v_lshlrev_b32_e32 v18, 20, v18
	v_and_b32_e32 v10, 0x80000000, v10
	v_lshl_add_u32 v12, v12, 23, v19
	v_or3_b32 v18, v10, v12, v18
.LBB427_622:
	s_or_b64 exec, exec, s[8:9]
.LBB427_623:
	s_or_b64 exec, exec, s[6:7]
.LBB427_624:
	s_or_b64 exec, exec, s[4:5]
	v_mov_b32_e32 v10, v7
	v_cmp_ne_u16_sdwa s[6:7], v7, v11 src0_sel:BYTE_0 src1_sel:DWORD
	s_and_saveexec_b64 s[4:5], s[6:7]
	s_cbranch_execz .LBB427_630
; %bb.625:
	s_movk_i32 s3, 0x80
	v_cmp_ne_u16_sdwa s[8:9], v7, s3 src0_sel:BYTE_0 src1_sel:DWORD
	v_bfrev_b32_e32 v12, 1
	s_and_saveexec_b64 s[6:7], s[8:9]
	s_cbranch_execz .LBB427_629
; %bb.626:
	s_movk_i32 s3, 0x7f
	v_and_b32_e32 v19, 0x7f, v7
	v_cmp_ne_u32_e32 vcc, s3, v19
	v_mov_b32_e32 v12, 0x7f800001
	s_and_saveexec_b64 s[8:9], vcc
	s_cbranch_execz .LBB427_628
; %bb.627:
	v_and_b32_e32 v12, 7, v7
	v_ffbh_u32_e32 v12, v12
	v_min_u32_e32 v12, 32, v12
	v_subrev_u32_e32 v21, 28, v12
	v_cmp_gt_u32_e32 vcc, 8, v19
	v_lshrrev_b32_e32 v20, 3, v19
	v_sub_u32_e32 v12, 29, v12
	v_cndmask_b32_e32 v19, 0, v21, vcc
	v_cndmask_b32_e32 v12, v20, v12, vcc
	v_lshlrev_b64 v[20:21], v19, v[10:11]
	v_lshlrev_b32_e32 v11, 20, v20
	v_lshlrev_b32_e32 v19, 24, v10
	v_bfrev_b32_e32 v20, 60
	v_and_b32_e32 v11, 0x700000, v11
	v_and_b32_e32 v19, 0x80000000, v19
	v_lshl_add_u32 v12, v12, 23, v20
	v_or3_b32 v12, v19, v12, v11
.LBB427_628:
	s_or_b64 exec, exec, s[8:9]
.LBB427_629:
	s_or_b64 exec, exec, s[6:7]
	v_mov_b32_e32 v11, v12
.LBB427_630:
	s_or_b64 exec, exec, s[4:5]
	v_lshrrev_b16_e32 v12, 8, v10
	v_cmp_ne_u16_e32 vcc, 0, v12
	v_mov_b32_e32 v19, 0
	v_mov_b32_e32 v20, 0
	s_and_saveexec_b64 s[4:5], vcc
	s_cbranch_execz .LBB427_636
; %bb.631:
	s_movk_i32 s3, 0x80
	v_cmp_ne_u16_e32 vcc, s3, v12
	v_bfrev_b32_e32 v20, 1
	s_and_saveexec_b64 s[6:7], vcc
	s_cbranch_execz .LBB427_635
; %bb.632:
	s_movk_i32 s3, 0x7f
	v_and_b32_e32 v21, 0x7f, v12
	v_cmp_ne_u32_e32 vcc, s3, v21
	v_mov_b32_e32 v20, 0x7f800001
	s_and_saveexec_b64 s[8:9], vcc
	s_cbranch_execz .LBB427_634
; %bb.633:
	v_and_b32_e32 v20, 7, v12
	v_ffbh_u32_e32 v22, v20
	v_min_u32_e32 v26, 32, v22
	v_subrev_u32_e32 v22, 28, v26
	v_lshlrev_b64 v[22:23], v22, v[12:13]
	v_lshrrev_b32_e32 v24, 3, v21
	v_sub_u32_e32 v12, 29, v26
	v_and_b32_e32 v22, 7, v22
	v_cmp_gt_u32_e32 vcc, 8, v21
	v_cndmask_b32_e32 v12, v24, v12, vcc
	v_cndmask_b32_e32 v20, v20, v22, vcc
	v_lshlrev_b32_e32 v10, 16, v10
	v_bfrev_b32_e32 v21, 60
	v_lshlrev_b32_e32 v20, 20, v20
	v_and_b32_e32 v10, 0x80000000, v10
	v_lshl_add_u32 v12, v12, 23, v21
	v_or3_b32 v20, v10, v12, v20
.LBB427_634:
	s_or_b64 exec, exec, s[8:9]
.LBB427_635:
	s_or_b64 exec, exec, s[6:7]
.LBB427_636:
	s_or_b64 exec, exec, s[4:5]
	s_movk_i32 s3, 0xff
	v_and_b32_sdwa v12, v7, s3 dst_sel:DWORD dst_unused:UNUSED_PAD src0_sel:WORD_1 src1_sel:DWORD
	v_lshrrev_b32_e32 v10, 16, v7
	v_cmp_ne_u16_e32 vcc, 0, v12
	s_and_saveexec_b64 s[4:5], vcc
	s_cbranch_execz .LBB427_642
; %bb.637:
	s_movk_i32 s3, 0x80
	v_cmp_ne_u16_e32 vcc, s3, v12
	v_bfrev_b32_e32 v19, 1
	s_and_saveexec_b64 s[6:7], vcc
	s_cbranch_execz .LBB427_641
; %bb.638:
	v_bfe_u32 v12, v7, 16, 7
	s_movk_i32 s3, 0x7f
	v_cmp_ne_u32_e32 vcc, s3, v12
	v_mov_b32_e32 v19, 0x7f800001
	s_and_saveexec_b64 s[8:9], vcc
	s_cbranch_execz .LBB427_640
; %bb.639:
	v_and_b32_e32 v19, 7, v10
	v_ffbh_u32_e32 v22, v19
	v_min_u32_e32 v24, 32, v22
	v_subrev_u32_e32 v22, 28, v24
	v_lshlrev_b64 v[22:23], v22, v[10:11]
	v_and_b32_e32 v22, 7, v22
	v_cmp_gt_u32_e32 vcc, 8, v12
	v_lshrrev_b32_e32 v21, 3, v12
	v_sub_u32_e32 v10, 29, v24
	v_cndmask_b32_e32 v12, v19, v22, vcc
	v_mov_b32_e32 v19, 24
	v_cndmask_b32_e32 v10, v21, v10, vcc
	v_lshlrev_b32_sdwa v19, v19, v7 dst_sel:DWORD dst_unused:UNUSED_PAD src0_sel:DWORD src1_sel:WORD_1
	v_bfrev_b32_e32 v21, 60
	v_lshlrev_b32_e32 v12, 20, v12
	v_and_b32_e32 v19, 0x80000000, v19
	v_lshl_add_u32 v10, v10, 23, v21
	v_or3_b32 v19, v19, v10, v12
.LBB427_640:
	s_or_b64 exec, exec, s[8:9]
.LBB427_641:
	s_or_b64 exec, exec, s[6:7]
.LBB427_642:
	s_or_b64 exec, exec, s[4:5]
	s_mov_b32 s4, -1
	s_mov_b32 s5, 0xffffff
	v_cmp_lt_u64_e32 vcc, s[4:5], v[6:7]
	v_mov_b32_e32 v12, 0
	v_mov_b32_e32 v10, 0
	s_and_saveexec_b64 s[4:5], vcc
	s_cbranch_execz .LBB427_648
; %bb.643:
	v_lshrrev_b32_e32 v6, 24, v7
	s_movk_i32 s3, 0x80
	v_cmp_ne_u32_e32 vcc, s3, v6
	v_bfrev_b32_e32 v10, 1
	s_and_saveexec_b64 s[6:7], vcc
	s_cbranch_execz .LBB427_647
; %bb.644:
	v_bfe_u32 v7, v7, 24, 7
	s_movk_i32 s3, 0x7f
	v_cmp_ne_u32_e32 vcc, s3, v7
	v_mov_b32_e32 v10, 0x7f800001
	s_and_saveexec_b64 s[8:9], vcc
	s_cbranch_execz .LBB427_646
; %bb.645:
	v_and_b32_e32 v10, 7, v6
	v_ffbh_u32_e32 v22, v10
	v_min_u32_e32 v24, 32, v22
	v_subrev_u32_e32 v22, 28, v24
	v_lshlrev_b64 v[22:23], v22, v[6:7]
	v_lshrrev_b32_e32 v21, 3, v7
	v_sub_u32_e32 v23, 29, v24
	v_and_b32_e32 v22, 7, v22
	v_cmp_gt_u32_e32 vcc, 8, v7
	v_cndmask_b32_e32 v7, v21, v23, vcc
	v_cndmask_b32_e32 v10, v10, v22, vcc
	v_lshlrev_b32_e32 v6, 24, v6
	v_bfrev_b32_e32 v21, 60
	v_lshlrev_b32_e32 v10, 20, v10
	v_and_b32_e32 v6, 0x80000000, v6
	v_lshl_add_u32 v7, v7, 23, v21
	v_or3_b32 v10, v6, v7, v10
.LBB427_646:
	s_or_b64 exec, exec, s[8:9]
.LBB427_647:
	s_or_b64 exec, exec, s[6:7]
.LBB427_648:
	s_or_b64 exec, exec, s[4:5]
	v_cvt_pkrtz_f16_f32 v6, v16, v17
	v_cvt_pkrtz_f16_f32 v7, v13, v18
	;; [unrolled: 1-line block ×4, first 2 shown]
	v_mfma_f32_4x4x4f16 a[0:3], v[14:15], v[6:7], a[0:3] cbsz:4 abid:8
	v_cmp_ne_u16_sdwa s[6:7], v8, v12 src0_sel:BYTE_0 src1_sel:DWORD
	v_mfma_f32_4x4x4f16 a[0:3], v[14:15], v[16:17], a[0:3] cbsz:4 abid:9
	s_and_saveexec_b64 s[4:5], s[6:7]
	s_cbranch_execz .LBB427_654
; %bb.649:
	s_movk_i32 s3, 0x80
	v_cmp_ne_u16_sdwa s[8:9], v8, s3 src0_sel:BYTE_0 src1_sel:DWORD
	v_bfrev_b32_e32 v12, 1
	s_and_saveexec_b64 s[6:7], s[8:9]
	s_cbranch_execz .LBB427_653
; %bb.650:
	s_movk_i32 s3, 0x7f
	v_and_b32_e32 v6, 0x7f, v8
	v_cmp_ne_u32_e32 vcc, s3, v6
	v_mov_b32_e32 v12, 0x7f800001
	s_and_saveexec_b64 s[8:9], vcc
	s_cbranch_execz .LBB427_652
; %bb.651:
	v_and_b32_e32 v7, 7, v8
	v_ffbh_u32_e32 v7, v7
	v_min_u32_e32 v7, 32, v7
	v_subrev_u32_e32 v11, 28, v7
	v_cmp_gt_u32_e32 vcc, 8, v6
	v_lshrrev_b32_e32 v10, 3, v6
	v_sub_u32_e32 v7, 29, v7
	v_cndmask_b32_e32 v6, 0, v11, vcc
	v_cndmask_b32_e32 v10, v10, v7, vcc
	v_lshlrev_b64 v[6:7], v6, v[8:9]
	v_lshlrev_b32_e32 v6, 20, v6
	v_lshlrev_b32_e32 v7, 24, v8
	v_bfrev_b32_e32 v11, 60
	v_and_b32_e32 v6, 0x700000, v6
	v_and_b32_e32 v7, 0x80000000, v7
	v_lshl_add_u32 v10, v10, 23, v11
	v_or3_b32 v12, v7, v10, v6
.LBB427_652:
	s_or_b64 exec, exec, s[8:9]
.LBB427_653:
	s_or_b64 exec, exec, s[6:7]
.LBB427_654:
	s_or_b64 exec, exec, s[4:5]
	v_lshrrev_b16_e32 v6, 8, v8
	v_cmp_ne_u16_e32 vcc, 0, v6
	v_mov_b32_e32 v11, 0
	v_mov_b32_e32 v13, 0
	s_and_saveexec_b64 s[4:5], vcc
	s_cbranch_execz .LBB427_660
; %bb.655:
	s_movk_i32 s3, 0x80
	v_cmp_ne_u16_e32 vcc, s3, v6
	v_bfrev_b32_e32 v13, 1
	s_and_saveexec_b64 s[6:7], vcc
	s_cbranch_execz .LBB427_659
; %bb.656:
	s_movk_i32 s3, 0x7f
	v_and_b32_e32 v7, 0x7f, v6
	v_cmp_ne_u32_e32 vcc, s3, v7
	v_mov_b32_e32 v13, 0x7f800001
	s_and_saveexec_b64 s[8:9], vcc
	s_cbranch_execz .LBB427_658
; %bb.657:
	v_and_b32_e32 v10, 7, v6
	v_ffbh_u32_e32 v16, v10
	v_min_u32_e32 v18, 32, v16
	v_subrev_u32_e32 v16, 28, v18
	v_lshlrev_b64 v[16:17], v16, v[6:7]
	v_lshrrev_b32_e32 v13, 3, v7
	v_sub_u32_e32 v6, 29, v18
	v_and_b32_e32 v16, 7, v16
	v_cmp_gt_u32_e32 vcc, 8, v7
	v_cndmask_b32_e32 v6, v13, v6, vcc
	v_cndmask_b32_e32 v7, v10, v16, vcc
	v_lshlrev_b32_e32 v10, 16, v8
	v_bfrev_b32_e32 v13, 60
	v_lshlrev_b32_e32 v7, 20, v7
	v_and_b32_e32 v10, 0x80000000, v10
	v_lshl_add_u32 v6, v6, 23, v13
	v_or3_b32 v13, v10, v6, v7
.LBB427_658:
	s_or_b64 exec, exec, s[8:9]
.LBB427_659:
	s_or_b64 exec, exec, s[6:7]
.LBB427_660:
	s_or_b64 exec, exec, s[4:5]
	s_movk_i32 s3, 0xff
	v_and_b32_sdwa v7, v8, s3 dst_sel:DWORD dst_unused:UNUSED_PAD src0_sel:WORD_1 src1_sel:DWORD
	v_lshrrev_b32_e32 v6, 16, v8
	v_cmp_ne_u16_e32 vcc, 0, v7
	s_and_saveexec_b64 s[4:5], vcc
	s_cbranch_execz .LBB427_666
; %bb.661:
	s_movk_i32 s3, 0x80
	v_cmp_ne_u16_e32 vcc, s3, v7
	v_bfrev_b32_e32 v11, 1
	s_and_saveexec_b64 s[6:7], vcc
	s_cbranch_execz .LBB427_665
; %bb.662:
	v_bfe_u32 v7, v8, 16, 7
	s_movk_i32 s3, 0x7f
	v_cmp_ne_u32_e32 vcc, s3, v7
	v_mov_b32_e32 v11, 0x7f800001
	s_and_saveexec_b64 s[8:9], vcc
	s_cbranch_execz .LBB427_664
; %bb.663:
	v_and_b32_e32 v16, 7, v6
	v_ffbh_u32_e32 v10, v16
	v_min_u32_e32 v18, 32, v10
	v_subrev_u32_e32 v10, 28, v18
	v_lshlrev_b64 v[10:11], v10, v[6:7]
	v_and_b32_e32 v10, 7, v10
	v_cmp_gt_u32_e32 vcc, 8, v7
	v_lshrrev_b32_e32 v17, 3, v7
	v_sub_u32_e32 v6, 29, v18
	v_cndmask_b32_e32 v7, v16, v10, vcc
	v_mov_b32_e32 v10, 24
	v_cndmask_b32_e32 v6, v17, v6, vcc
	v_lshlrev_b32_sdwa v10, v10, v8 dst_sel:DWORD dst_unused:UNUSED_PAD src0_sel:DWORD src1_sel:WORD_1
	v_bfrev_b32_e32 v11, 60
	v_lshlrev_b32_e32 v7, 20, v7
	v_and_b32_e32 v10, 0x80000000, v10
	v_lshl_add_u32 v6, v6, 23, v11
	v_or3_b32 v11, v10, v6, v7
.LBB427_664:
	s_or_b64 exec, exec, s[8:9]
.LBB427_665:
	s_or_b64 exec, exec, s[6:7]
.LBB427_666:
	s_or_b64 exec, exec, s[4:5]
	s_mov_b32 s3, 0xffffff
	v_cmp_lt_u32_e32 vcc, s3, v8
	v_mov_b32_e32 v7, 0
	v_mov_b32_e32 v16, 0
	s_and_saveexec_b64 s[4:5], vcc
	s_cbranch_execz .LBB427_672
; %bb.667:
	v_lshrrev_b32_e32 v6, 24, v8
	s_movk_i32 s3, 0x80
	v_cmp_ne_u32_e32 vcc, s3, v6
	v_bfrev_b32_e32 v16, 1
	s_and_saveexec_b64 s[6:7], vcc
	s_cbranch_execz .LBB427_671
; %bb.668:
	v_bfe_u32 v10, v8, 24, 7
	s_movk_i32 s3, 0x7f
	v_cmp_ne_u32_e32 vcc, s3, v10
	v_mov_b32_e32 v16, 0x7f800001
	s_and_saveexec_b64 s[8:9], vcc
	s_cbranch_execz .LBB427_670
; %bb.669:
	v_and_b32_e32 v18, 7, v6
	v_ffbh_u32_e32 v16, v18
	v_min_u32_e32 v20, 32, v16
	v_subrev_u32_e32 v16, 28, v20
	v_lshlrev_b64 v[16:17], v16, v[6:7]
	v_lshrrev_b32_e32 v19, 3, v10
	v_sub_u32_e32 v17, 29, v20
	v_and_b32_e32 v16, 7, v16
	v_cmp_gt_u32_e32 vcc, 8, v10
	v_cndmask_b32_e32 v10, v19, v17, vcc
	v_cndmask_b32_e32 v16, v18, v16, vcc
	v_lshlrev_b32_e32 v6, 24, v6
	v_bfrev_b32_e32 v17, 60
	v_lshlrev_b32_e32 v16, 20, v16
	v_and_b32_e32 v6, 0x80000000, v6
	v_lshl_add_u32 v10, v10, 23, v17
	v_or3_b32 v16, v6, v10, v16
.LBB427_670:
	s_or_b64 exec, exec, s[8:9]
.LBB427_671:
	s_or_b64 exec, exec, s[6:7]
.LBB427_672:
	s_or_b64 exec, exec, s[4:5]
	v_mov_b32_e32 v6, v9
	v_cmp_ne_u16_sdwa s[6:7], v9, v7 src0_sel:BYTE_0 src1_sel:DWORD
	s_and_saveexec_b64 s[4:5], s[6:7]
	s_cbranch_execz .LBB427_678
; %bb.673:
	s_movk_i32 s3, 0x80
	v_cmp_ne_u16_sdwa s[8:9], v9, s3 src0_sel:BYTE_0 src1_sel:DWORD
	v_bfrev_b32_e32 v10, 1
	s_and_saveexec_b64 s[6:7], s[8:9]
	s_cbranch_execz .LBB427_677
; %bb.674:
	s_movk_i32 s3, 0x7f
	v_and_b32_e32 v17, 0x7f, v9
	v_cmp_ne_u32_e32 vcc, s3, v17
	v_mov_b32_e32 v10, 0x7f800001
	s_and_saveexec_b64 s[8:9], vcc
	s_cbranch_execz .LBB427_676
; %bb.675:
	v_and_b32_e32 v10, 7, v9
	v_ffbh_u32_e32 v10, v10
	v_min_u32_e32 v10, 32, v10
	v_subrev_u32_e32 v19, 28, v10
	v_cmp_gt_u32_e32 vcc, 8, v17
	v_lshrrev_b32_e32 v18, 3, v17
	v_sub_u32_e32 v10, 29, v10
	v_cndmask_b32_e32 v17, 0, v19, vcc
	v_cndmask_b32_e32 v10, v18, v10, vcc
	v_lshlrev_b64 v[18:19], v17, v[6:7]
	v_lshlrev_b32_e32 v7, 20, v18
	v_lshlrev_b32_e32 v17, 24, v6
	v_bfrev_b32_e32 v18, 60
	v_and_b32_e32 v7, 0x700000, v7
	v_and_b32_e32 v17, 0x80000000, v17
	v_lshl_add_u32 v10, v10, 23, v18
	v_or3_b32 v10, v17, v10, v7
.LBB427_676:
	s_or_b64 exec, exec, s[8:9]
.LBB427_677:
	s_or_b64 exec, exec, s[6:7]
	v_mov_b32_e32 v7, v10
.LBB427_678:
	s_or_b64 exec, exec, s[4:5]
	v_lshrrev_b16_e32 v10, 8, v6
	v_cmp_ne_u16_e32 vcc, 0, v10
	v_mov_b32_e32 v17, 0
	v_mov_b32_e32 v18, 0
	s_and_saveexec_b64 s[4:5], vcc
	s_cbranch_execz .LBB427_684
; %bb.679:
	s_movk_i32 s3, 0x80
	v_cmp_ne_u16_e32 vcc, s3, v10
	v_bfrev_b32_e32 v18, 1
	s_and_saveexec_b64 s[6:7], vcc
	s_cbranch_execz .LBB427_683
; %bb.680:
	s_movk_i32 s3, 0x7f
	v_and_b32_e32 v19, 0x7f, v10
	v_cmp_ne_u32_e32 vcc, s3, v19
	v_mov_b32_e32 v18, 0x7f800001
	s_and_saveexec_b64 s[8:9], vcc
	s_cbranch_execz .LBB427_682
; %bb.681:
	v_and_b32_e32 v18, 7, v10
	v_ffbh_u32_e32 v20, v18
	v_min_u32_e32 v23, 32, v20
	v_subrev_u32_e32 v20, 28, v23
	v_lshlrev_b64 v[20:21], v20, v[10:11]
	v_lshrrev_b32_e32 v22, 3, v19
	v_sub_u32_e32 v10, 29, v23
	v_and_b32_e32 v20, 7, v20
	v_cmp_gt_u32_e32 vcc, 8, v19
	v_cndmask_b32_e32 v10, v22, v10, vcc
	v_cndmask_b32_e32 v18, v18, v20, vcc
	v_lshlrev_b32_e32 v6, 16, v6
	v_bfrev_b32_e32 v19, 60
	v_lshlrev_b32_e32 v18, 20, v18
	v_and_b32_e32 v6, 0x80000000, v6
	v_lshl_add_u32 v10, v10, 23, v19
	v_or3_b32 v18, v6, v10, v18
.LBB427_682:
	s_or_b64 exec, exec, s[8:9]
.LBB427_683:
	s_or_b64 exec, exec, s[6:7]
.LBB427_684:
	s_or_b64 exec, exec, s[4:5]
	s_movk_i32 s3, 0xff
	v_and_b32_sdwa v10, v9, s3 dst_sel:DWORD dst_unused:UNUSED_PAD src0_sel:WORD_1 src1_sel:DWORD
	v_lshrrev_b32_e32 v6, 16, v9
	v_cmp_ne_u16_e32 vcc, 0, v10
	s_and_saveexec_b64 s[4:5], vcc
	s_cbranch_execz .LBB427_690
; %bb.685:
	s_movk_i32 s3, 0x80
	v_cmp_ne_u16_e32 vcc, s3, v10
	v_bfrev_b32_e32 v17, 1
	s_and_saveexec_b64 s[6:7], vcc
	s_cbranch_execz .LBB427_689
; %bb.686:
	v_bfe_u32 v10, v9, 16, 7
	s_movk_i32 s3, 0x7f
	v_cmp_ne_u32_e32 vcc, s3, v10
	v_mov_b32_e32 v17, 0x7f800001
	s_and_saveexec_b64 s[8:9], vcc
	s_cbranch_execz .LBB427_688
; %bb.687:
	v_and_b32_e32 v17, 7, v6
	v_ffbh_u32_e32 v20, v17
	v_min_u32_e32 v22, 32, v20
	v_subrev_u32_e32 v20, 28, v22
	v_lshlrev_b64 v[20:21], v20, v[6:7]
	v_and_b32_e32 v20, 7, v20
	v_cmp_gt_u32_e32 vcc, 8, v10
	v_lshrrev_b32_e32 v19, 3, v10
	v_sub_u32_e32 v6, 29, v22
	v_cndmask_b32_e32 v10, v17, v20, vcc
	v_mov_b32_e32 v17, 24
	v_cndmask_b32_e32 v6, v19, v6, vcc
	v_lshlrev_b32_sdwa v17, v17, v9 dst_sel:DWORD dst_unused:UNUSED_PAD src0_sel:DWORD src1_sel:WORD_1
	v_bfrev_b32_e32 v19, 60
	v_lshlrev_b32_e32 v10, 20, v10
	v_and_b32_e32 v17, 0x80000000, v17
	v_lshl_add_u32 v6, v6, 23, v19
	v_or3_b32 v17, v17, v6, v10
.LBB427_688:
	s_or_b64 exec, exec, s[8:9]
.LBB427_689:
	s_or_b64 exec, exec, s[6:7]
.LBB427_690:
	s_or_b64 exec, exec, s[4:5]
	s_mov_b32 s4, -1
	s_mov_b32 s5, 0xffffff
	v_cmp_lt_u64_e32 vcc, s[4:5], v[8:9]
	v_mov_b32_e32 v10, 0
	v_mov_b32_e32 v8, 0
	s_and_saveexec_b64 s[4:5], vcc
	s_cbranch_execz .LBB427_696
; %bb.691:
	v_lshrrev_b32_e32 v6, 24, v9
	s_movk_i32 s3, 0x80
	v_cmp_ne_u32_e32 vcc, s3, v6
	v_bfrev_b32_e32 v8, 1
	s_and_saveexec_b64 s[6:7], vcc
	s_cbranch_execz .LBB427_695
; %bb.692:
	v_bfe_u32 v9, v9, 24, 7
	s_movk_i32 s3, 0x7f
	v_cmp_ne_u32_e32 vcc, s3, v9
	v_mov_b32_e32 v8, 0x7f800001
	s_and_saveexec_b64 s[8:9], vcc
	s_cbranch_execz .LBB427_694
; %bb.693:
	v_and_b32_e32 v8, 7, v6
	v_ffbh_u32_e32 v20, v8
	v_min_u32_e32 v22, 32, v20
	v_subrev_u32_e32 v20, 28, v22
	v_lshlrev_b64 v[20:21], v20, v[6:7]
	v_lshrrev_b32_e32 v19, 3, v9
	v_sub_u32_e32 v21, 29, v22
	v_and_b32_e32 v20, 7, v20
	v_cmp_gt_u32_e32 vcc, 8, v9
	v_cndmask_b32_e32 v9, v19, v21, vcc
	v_cndmask_b32_e32 v8, v8, v20, vcc
	v_lshlrev_b32_e32 v6, 24, v6
	v_bfrev_b32_e32 v19, 60
	v_lshlrev_b32_e32 v8, 20, v8
	v_and_b32_e32 v6, 0x80000000, v6
	v_lshl_add_u32 v9, v9, 23, v19
	v_or3_b32 v8, v6, v9, v8
.LBB427_694:
	s_or_b64 exec, exec, s[8:9]
.LBB427_695:
	s_or_b64 exec, exec, s[6:7]
.LBB427_696:
	s_or_b64 exec, exec, s[4:5]
	v_cvt_pkrtz_f16_f32 v12, v12, v13
	v_cvt_pkrtz_f16_f32 v13, v11, v16
	;; [unrolled: 1-line block ×4, first 2 shown]
	v_mfma_f32_4x4x4f16 a[0:3], v[14:15], v[12:13], a[0:3] cbsz:4 abid:10
	v_cmp_ne_u16_sdwa s[6:7], v2, v10 src0_sel:BYTE_0 src1_sel:DWORD
	v_mfma_f32_4x4x4f16 a[0:3], v[14:15], v[6:7], a[0:3] cbsz:4 abid:11
	s_and_saveexec_b64 s[4:5], s[6:7]
	s_cbranch_execz .LBB427_702
; %bb.697:
	s_movk_i32 s3, 0x80
	v_cmp_ne_u16_sdwa s[8:9], v2, s3 src0_sel:BYTE_0 src1_sel:DWORD
	v_bfrev_b32_e32 v10, 1
	s_and_saveexec_b64 s[6:7], s[8:9]
	s_cbranch_execz .LBB427_701
; %bb.698:
	s_movk_i32 s3, 0x7f
	v_and_b32_e32 v6, 0x7f, v2
	v_cmp_ne_u32_e32 vcc, s3, v6
	v_mov_b32_e32 v10, 0x7f800001
	s_and_saveexec_b64 s[8:9], vcc
	s_cbranch_execz .LBB427_700
; %bb.699:
	v_and_b32_e32 v7, 7, v2
	v_ffbh_u32_e32 v7, v7
	v_min_u32_e32 v7, 32, v7
	v_subrev_u32_e32 v9, 28, v7
	v_cmp_gt_u32_e32 vcc, 8, v6
	v_lshrrev_b32_e32 v8, 3, v6
	v_sub_u32_e32 v7, 29, v7
	v_cndmask_b32_e32 v6, 0, v9, vcc
	v_cndmask_b32_e32 v8, v8, v7, vcc
	v_lshlrev_b64 v[6:7], v6, v[2:3]
	v_lshlrev_b32_e32 v6, 20, v6
	v_lshlrev_b32_e32 v7, 24, v2
	v_bfrev_b32_e32 v9, 60
	v_and_b32_e32 v6, 0x700000, v6
	v_and_b32_e32 v7, 0x80000000, v7
	v_lshl_add_u32 v8, v8, 23, v9
	v_or3_b32 v10, v7, v8, v6
.LBB427_700:
	s_or_b64 exec, exec, s[8:9]
.LBB427_701:
	s_or_b64 exec, exec, s[6:7]
.LBB427_702:
	s_or_b64 exec, exec, s[4:5]
	v_lshrrev_b16_e32 v6, 8, v2
	v_cmp_ne_u16_e32 vcc, 0, v6
	v_mov_b32_e32 v9, 0
	v_mov_b32_e32 v11, 0
	s_and_saveexec_b64 s[4:5], vcc
	s_cbranch_execz .LBB427_708
; %bb.703:
	s_movk_i32 s3, 0x80
	v_cmp_ne_u16_e32 vcc, s3, v6
	v_bfrev_b32_e32 v11, 1
	s_and_saveexec_b64 s[6:7], vcc
	s_cbranch_execz .LBB427_707
; %bb.704:
	s_movk_i32 s3, 0x7f
	v_and_b32_e32 v7, 0x7f, v6
	v_cmp_ne_u32_e32 vcc, s3, v7
	v_mov_b32_e32 v11, 0x7f800001
	s_and_saveexec_b64 s[8:9], vcc
	s_cbranch_execz .LBB427_706
; %bb.705:
	v_and_b32_e32 v8, 7, v6
	v_ffbh_u32_e32 v12, v8
	v_min_u32_e32 v16, 32, v12
	v_subrev_u32_e32 v12, 28, v16
	v_lshlrev_b64 v[12:13], v12, v[6:7]
	v_lshrrev_b32_e32 v11, 3, v7
	v_sub_u32_e32 v6, 29, v16
	v_and_b32_e32 v12, 7, v12
	v_cmp_gt_u32_e32 vcc, 8, v7
	v_cndmask_b32_e32 v6, v11, v6, vcc
	v_cndmask_b32_e32 v7, v8, v12, vcc
	v_lshlrev_b32_e32 v8, 16, v2
	v_bfrev_b32_e32 v11, 60
	v_lshlrev_b32_e32 v7, 20, v7
	v_and_b32_e32 v8, 0x80000000, v8
	v_lshl_add_u32 v6, v6, 23, v11
	v_or3_b32 v11, v8, v6, v7
.LBB427_706:
	s_or_b64 exec, exec, s[8:9]
.LBB427_707:
	s_or_b64 exec, exec, s[6:7]
.LBB427_708:
	s_or_b64 exec, exec, s[4:5]
	s_movk_i32 s3, 0xff
	v_and_b32_sdwa v7, v2, s3 dst_sel:DWORD dst_unused:UNUSED_PAD src0_sel:WORD_1 src1_sel:DWORD
	v_lshrrev_b32_e32 v6, 16, v2
	v_cmp_ne_u16_e32 vcc, 0, v7
	s_and_saveexec_b64 s[4:5], vcc
	s_cbranch_execz .LBB427_714
; %bb.709:
	s_movk_i32 s3, 0x80
	v_cmp_ne_u16_e32 vcc, s3, v7
	v_bfrev_b32_e32 v9, 1
	s_and_saveexec_b64 s[6:7], vcc
	s_cbranch_execz .LBB427_713
; %bb.710:
	v_bfe_u32 v7, v2, 16, 7
	s_movk_i32 s3, 0x7f
	v_cmp_ne_u32_e32 vcc, s3, v7
	v_mov_b32_e32 v9, 0x7f800001
	s_and_saveexec_b64 s[8:9], vcc
	s_cbranch_execz .LBB427_712
; %bb.711:
	v_and_b32_e32 v12, 7, v6
	v_ffbh_u32_e32 v8, v12
	v_min_u32_e32 v16, 32, v8
	v_subrev_u32_e32 v8, 28, v16
	v_lshlrev_b64 v[8:9], v8, v[6:7]
	v_and_b32_e32 v8, 7, v8
	v_cmp_gt_u32_e32 vcc, 8, v7
	v_lshrrev_b32_e32 v13, 3, v7
	v_sub_u32_e32 v6, 29, v16
	v_cndmask_b32_e32 v7, v12, v8, vcc
	v_mov_b32_e32 v8, 24
	v_cndmask_b32_e32 v6, v13, v6, vcc
	v_lshlrev_b32_sdwa v8, v8, v2 dst_sel:DWORD dst_unused:UNUSED_PAD src0_sel:DWORD src1_sel:WORD_1
	v_bfrev_b32_e32 v9, 60
	v_lshlrev_b32_e32 v7, 20, v7
	v_and_b32_e32 v8, 0x80000000, v8
	v_lshl_add_u32 v6, v6, 23, v9
	v_or3_b32 v9, v8, v6, v7
.LBB427_712:
	s_or_b64 exec, exec, s[8:9]
.LBB427_713:
	s_or_b64 exec, exec, s[6:7]
.LBB427_714:
	s_or_b64 exec, exec, s[4:5]
	s_mov_b32 s3, 0xffffff
	v_cmp_lt_u32_e32 vcc, s3, v2
	v_mov_b32_e32 v7, 0
	v_mov_b32_e32 v12, 0
	s_and_saveexec_b64 s[4:5], vcc
	s_cbranch_execz .LBB427_720
; %bb.715:
	v_lshrrev_b32_e32 v6, 24, v2
	s_movk_i32 s3, 0x80
	v_cmp_ne_u32_e32 vcc, s3, v6
	v_bfrev_b32_e32 v12, 1
	s_and_saveexec_b64 s[6:7], vcc
	s_cbranch_execz .LBB427_719
; %bb.716:
	v_bfe_u32 v8, v2, 24, 7
	s_movk_i32 s3, 0x7f
	v_cmp_ne_u32_e32 vcc, s3, v8
	v_mov_b32_e32 v12, 0x7f800001
	s_and_saveexec_b64 s[8:9], vcc
	s_cbranch_execz .LBB427_718
; %bb.717:
	v_and_b32_e32 v16, 7, v6
	v_ffbh_u32_e32 v12, v16
	v_min_u32_e32 v18, 32, v12
	v_subrev_u32_e32 v12, 28, v18
	v_lshlrev_b64 v[12:13], v12, v[6:7]
	v_lshrrev_b32_e32 v17, 3, v8
	v_sub_u32_e32 v13, 29, v18
	v_and_b32_e32 v12, 7, v12
	v_cmp_gt_u32_e32 vcc, 8, v8
	v_cndmask_b32_e32 v8, v17, v13, vcc
	v_cndmask_b32_e32 v12, v16, v12, vcc
	v_lshlrev_b32_e32 v6, 24, v6
	v_bfrev_b32_e32 v13, 60
	v_lshlrev_b32_e32 v12, 20, v12
	v_and_b32_e32 v6, 0x80000000, v6
	v_lshl_add_u32 v8, v8, 23, v13
	v_or3_b32 v12, v6, v8, v12
.LBB427_718:
	s_or_b64 exec, exec, s[8:9]
.LBB427_719:
	s_or_b64 exec, exec, s[6:7]
.LBB427_720:
	s_or_b64 exec, exec, s[4:5]
	v_mov_b32_e32 v6, v3
	v_cmp_ne_u16_sdwa s[6:7], v3, v7 src0_sel:BYTE_0 src1_sel:DWORD
	s_and_saveexec_b64 s[4:5], s[6:7]
	s_cbranch_execz .LBB427_726
; %bb.721:
	s_movk_i32 s3, 0x80
	v_cmp_ne_u16_sdwa s[8:9], v3, s3 src0_sel:BYTE_0 src1_sel:DWORD
	v_bfrev_b32_e32 v8, 1
	s_and_saveexec_b64 s[6:7], s[8:9]
	s_cbranch_execz .LBB427_725
; %bb.722:
	s_movk_i32 s3, 0x7f
	v_and_b32_e32 v13, 0x7f, v3
	v_cmp_ne_u32_e32 vcc, s3, v13
	v_mov_b32_e32 v8, 0x7f800001
	s_and_saveexec_b64 s[8:9], vcc
	s_cbranch_execz .LBB427_724
; %bb.723:
	v_and_b32_e32 v8, 7, v3
	v_ffbh_u32_e32 v8, v8
	v_min_u32_e32 v8, 32, v8
	v_subrev_u32_e32 v17, 28, v8
	v_cmp_gt_u32_e32 vcc, 8, v13
	v_lshrrev_b32_e32 v16, 3, v13
	v_sub_u32_e32 v8, 29, v8
	v_cndmask_b32_e32 v13, 0, v17, vcc
	v_cndmask_b32_e32 v8, v16, v8, vcc
	v_lshlrev_b64 v[16:17], v13, v[6:7]
	v_lshlrev_b32_e32 v7, 20, v16
	v_lshlrev_b32_e32 v13, 24, v6
	v_bfrev_b32_e32 v16, 60
	v_and_b32_e32 v7, 0x700000, v7
	v_and_b32_e32 v13, 0x80000000, v13
	v_lshl_add_u32 v8, v8, 23, v16
	v_or3_b32 v8, v13, v8, v7
.LBB427_724:
	s_or_b64 exec, exec, s[8:9]
.LBB427_725:
	s_or_b64 exec, exec, s[6:7]
	v_mov_b32_e32 v7, v8
.LBB427_726:
	s_or_b64 exec, exec, s[4:5]
	v_lshrrev_b16_e32 v8, 8, v6
	v_cmp_ne_u16_e32 vcc, 0, v8
	v_mov_b32_e32 v13, 0
	v_mov_b32_e32 v16, 0
	s_and_saveexec_b64 s[4:5], vcc
	s_cbranch_execz .LBB427_732
; %bb.727:
	s_movk_i32 s3, 0x80
	v_cmp_ne_u16_e32 vcc, s3, v8
	v_bfrev_b32_e32 v16, 1
	s_and_saveexec_b64 s[6:7], vcc
	s_cbranch_execz .LBB427_731
; %bb.728:
	s_movk_i32 s3, 0x7f
	v_and_b32_e32 v17, 0x7f, v8
	v_cmp_ne_u32_e32 vcc, s3, v17
	v_mov_b32_e32 v16, 0x7f800001
	s_and_saveexec_b64 s[8:9], vcc
	s_cbranch_execz .LBB427_730
; %bb.729:
	v_and_b32_e32 v16, 7, v8
	v_ffbh_u32_e32 v18, v16
	v_min_u32_e32 v21, 32, v18
	v_subrev_u32_e32 v18, 28, v21
	v_lshlrev_b64 v[18:19], v18, v[8:9]
	v_lshrrev_b32_e32 v20, 3, v17
	v_sub_u32_e32 v8, 29, v21
	v_and_b32_e32 v18, 7, v18
	v_cmp_gt_u32_e32 vcc, 8, v17
	v_cndmask_b32_e32 v8, v20, v8, vcc
	v_cndmask_b32_e32 v16, v16, v18, vcc
	v_lshlrev_b32_e32 v6, 16, v6
	v_bfrev_b32_e32 v17, 60
	v_lshlrev_b32_e32 v16, 20, v16
	v_and_b32_e32 v6, 0x80000000, v6
	v_lshl_add_u32 v8, v8, 23, v17
	v_or3_b32 v16, v6, v8, v16
.LBB427_730:
	s_or_b64 exec, exec, s[8:9]
.LBB427_731:
	s_or_b64 exec, exec, s[6:7]
.LBB427_732:
	s_or_b64 exec, exec, s[4:5]
	s_movk_i32 s3, 0xff
	v_and_b32_sdwa v8, v3, s3 dst_sel:DWORD dst_unused:UNUSED_PAD src0_sel:WORD_1 src1_sel:DWORD
	v_lshrrev_b32_e32 v6, 16, v3
	v_cmp_ne_u16_e32 vcc, 0, v8
	s_and_saveexec_b64 s[4:5], vcc
	s_cbranch_execz .LBB427_738
; %bb.733:
	s_movk_i32 s3, 0x80
	v_cmp_ne_u16_e32 vcc, s3, v8
	v_bfrev_b32_e32 v13, 1
	s_and_saveexec_b64 s[6:7], vcc
	s_cbranch_execz .LBB427_737
; %bb.734:
	v_bfe_u32 v8, v3, 16, 7
	s_movk_i32 s3, 0x7f
	v_cmp_ne_u32_e32 vcc, s3, v8
	v_mov_b32_e32 v13, 0x7f800001
	s_and_saveexec_b64 s[8:9], vcc
	s_cbranch_execz .LBB427_736
; %bb.735:
	v_and_b32_e32 v13, 7, v6
	v_ffbh_u32_e32 v18, v13
	v_min_u32_e32 v20, 32, v18
	v_subrev_u32_e32 v18, 28, v20
	v_lshlrev_b64 v[18:19], v18, v[6:7]
	v_and_b32_e32 v18, 7, v18
	v_cmp_gt_u32_e32 vcc, 8, v8
	v_lshrrev_b32_e32 v17, 3, v8
	v_sub_u32_e32 v6, 29, v20
	v_cndmask_b32_e32 v8, v13, v18, vcc
	v_mov_b32_e32 v13, 24
	v_cndmask_b32_e32 v6, v17, v6, vcc
	v_lshlrev_b32_sdwa v13, v13, v3 dst_sel:DWORD dst_unused:UNUSED_PAD src0_sel:DWORD src1_sel:WORD_1
	v_bfrev_b32_e32 v17, 60
	v_lshlrev_b32_e32 v8, 20, v8
	v_and_b32_e32 v13, 0x80000000, v13
	v_lshl_add_u32 v6, v6, 23, v17
	v_or3_b32 v13, v13, v6, v8
.LBB427_736:
	s_or_b64 exec, exec, s[8:9]
.LBB427_737:
	s_or_b64 exec, exec, s[6:7]
.LBB427_738:
	s_or_b64 exec, exec, s[4:5]
	s_mov_b32 s4, -1
	s_mov_b32 s5, 0xffffff
	v_cmp_lt_u64_e32 vcc, s[4:5], v[2:3]
	v_mov_b32_e32 v8, 0
	v_mov_b32_e32 v6, 0
	s_and_saveexec_b64 s[4:5], vcc
	s_cbranch_execz .LBB427_744
; %bb.739:
	v_lshrrev_b32_e32 v2, 24, v3
	s_movk_i32 s3, 0x80
	v_cmp_ne_u32_e32 vcc, s3, v2
	v_bfrev_b32_e32 v6, 1
	s_and_saveexec_b64 s[6:7], vcc
	s_cbranch_execz .LBB427_743
; %bb.740:
	v_bfe_u32 v3, v3, 24, 7
	s_movk_i32 s3, 0x7f
	v_cmp_ne_u32_e32 vcc, s3, v3
	v_mov_b32_e32 v6, 0x7f800001
	s_and_saveexec_b64 s[8:9], vcc
	s_cbranch_execz .LBB427_742
; %bb.741:
	v_and_b32_e32 v6, 7, v2
	v_ffbh_u32_e32 v18, v6
	v_min_u32_e32 v20, 32, v18
	v_subrev_u32_e32 v18, 28, v20
	v_lshlrev_b64 v[18:19], v18, v[2:3]
	v_lshrrev_b32_e32 v17, 3, v3
	v_sub_u32_e32 v19, 29, v20
	v_and_b32_e32 v18, 7, v18
	v_cmp_gt_u32_e32 vcc, 8, v3
	v_cndmask_b32_e32 v3, v17, v19, vcc
	v_cndmask_b32_e32 v6, v6, v18, vcc
	v_lshlrev_b32_e32 v2, 24, v2
	v_bfrev_b32_e32 v17, 60
	v_lshlrev_b32_e32 v6, 20, v6
	v_and_b32_e32 v2, 0x80000000, v2
	v_lshl_add_u32 v3, v3, 23, v17
	v_or3_b32 v6, v2, v3, v6
.LBB427_742:
	s_or_b64 exec, exec, s[8:9]
.LBB427_743:
	s_or_b64 exec, exec, s[6:7]
.LBB427_744:
	s_or_b64 exec, exec, s[4:5]
	v_cvt_pkrtz_f16_f32 v2, v10, v11
	v_cvt_pkrtz_f16_f32 v3, v9, v12
	;; [unrolled: 1-line block ×4, first 2 shown]
	v_mfma_f32_4x4x4f16 a[0:3], v[14:15], v[2:3], a[0:3] cbsz:4 abid:12
	v_cmp_ne_u16_sdwa s[6:7], v4, v8 src0_sel:BYTE_0 src1_sel:DWORD
	v_mfma_f32_4x4x4f16 a[0:3], v[14:15], v[10:11], a[0:3] cbsz:4 abid:13
	s_and_saveexec_b64 s[4:5], s[6:7]
	s_cbranch_execz .LBB427_750
; %bb.745:
	s_movk_i32 s3, 0x80
	v_cmp_ne_u16_sdwa s[8:9], v4, s3 src0_sel:BYTE_0 src1_sel:DWORD
	v_bfrev_b32_e32 v8, 1
	s_and_saveexec_b64 s[6:7], s[8:9]
	s_cbranch_execz .LBB427_749
; %bb.746:
	s_movk_i32 s3, 0x7f
	v_and_b32_e32 v2, 0x7f, v4
	v_cmp_ne_u32_e32 vcc, s3, v2
	v_mov_b32_e32 v8, 0x7f800001
	s_and_saveexec_b64 s[8:9], vcc
	s_cbranch_execz .LBB427_748
; %bb.747:
	v_and_b32_e32 v3, 7, v4
	v_ffbh_u32_e32 v3, v3
	v_min_u32_e32 v3, 32, v3
	v_subrev_u32_e32 v7, 28, v3
	v_cmp_gt_u32_e32 vcc, 8, v2
	v_lshrrev_b32_e32 v6, 3, v2
	v_sub_u32_e32 v3, 29, v3
	v_cndmask_b32_e32 v2, 0, v7, vcc
	v_cndmask_b32_e32 v6, v6, v3, vcc
	v_lshlrev_b64 v[2:3], v2, v[4:5]
	v_lshlrev_b32_e32 v2, 20, v2
	v_lshlrev_b32_e32 v3, 24, v4
	v_bfrev_b32_e32 v7, 60
	v_and_b32_e32 v2, 0x700000, v2
	v_and_b32_e32 v3, 0x80000000, v3
	v_lshl_add_u32 v6, v6, 23, v7
	v_or3_b32 v8, v3, v6, v2
.LBB427_748:
	s_or_b64 exec, exec, s[8:9]
.LBB427_749:
	s_or_b64 exec, exec, s[6:7]
.LBB427_750:
	s_or_b64 exec, exec, s[4:5]
	v_lshrrev_b16_e32 v2, 8, v4
	v_cmp_ne_u16_e32 vcc, 0, v2
	v_mov_b32_e32 v7, 0
	v_mov_b32_e32 v9, 0
	s_and_saveexec_b64 s[4:5], vcc
	s_cbranch_execz .LBB427_756
; %bb.751:
	s_movk_i32 s3, 0x80
	v_cmp_ne_u16_e32 vcc, s3, v2
	v_bfrev_b32_e32 v9, 1
	s_and_saveexec_b64 s[6:7], vcc
	s_cbranch_execz .LBB427_755
; %bb.752:
	s_movk_i32 s3, 0x7f
	v_and_b32_e32 v3, 0x7f, v2
	v_cmp_ne_u32_e32 vcc, s3, v3
	v_mov_b32_e32 v9, 0x7f800001
	s_and_saveexec_b64 s[8:9], vcc
	s_cbranch_execz .LBB427_754
; %bb.753:
	v_and_b32_e32 v6, 7, v2
	v_ffbh_u32_e32 v10, v6
	v_min_u32_e32 v12, 32, v10
	v_subrev_u32_e32 v10, 28, v12
	v_lshlrev_b64 v[10:11], v10, v[2:3]
	v_lshrrev_b32_e32 v9, 3, v3
	v_sub_u32_e32 v2, 29, v12
	v_and_b32_e32 v10, 7, v10
	v_cmp_gt_u32_e32 vcc, 8, v3
	v_cndmask_b32_e32 v2, v9, v2, vcc
	v_cndmask_b32_e32 v3, v6, v10, vcc
	v_lshlrev_b32_e32 v6, 16, v4
	v_bfrev_b32_e32 v9, 60
	v_lshlrev_b32_e32 v3, 20, v3
	v_and_b32_e32 v6, 0x80000000, v6
	v_lshl_add_u32 v2, v2, 23, v9
	v_or3_b32 v9, v6, v2, v3
.LBB427_754:
	s_or_b64 exec, exec, s[8:9]
.LBB427_755:
	s_or_b64 exec, exec, s[6:7]
.LBB427_756:
	s_or_b64 exec, exec, s[4:5]
	s_movk_i32 s3, 0xff
	v_and_b32_sdwa v3, v4, s3 dst_sel:DWORD dst_unused:UNUSED_PAD src0_sel:WORD_1 src1_sel:DWORD
	v_lshrrev_b32_e32 v2, 16, v4
	v_cmp_ne_u16_e32 vcc, 0, v3
	s_and_saveexec_b64 s[4:5], vcc
	s_cbranch_execz .LBB427_762
; %bb.757:
	s_movk_i32 s3, 0x80
	v_cmp_ne_u16_e32 vcc, s3, v3
	v_bfrev_b32_e32 v7, 1
	s_and_saveexec_b64 s[6:7], vcc
	s_cbranch_execz .LBB427_761
; %bb.758:
	v_bfe_u32 v3, v4, 16, 7
	s_movk_i32 s3, 0x7f
	v_cmp_ne_u32_e32 vcc, s3, v3
	v_mov_b32_e32 v7, 0x7f800001
	s_and_saveexec_b64 s[8:9], vcc
	s_cbranch_execz .LBB427_760
; %bb.759:
	v_and_b32_e32 v10, 7, v2
	v_ffbh_u32_e32 v6, v10
	v_min_u32_e32 v12, 32, v6
	v_subrev_u32_e32 v6, 28, v12
	v_lshlrev_b64 v[6:7], v6, v[2:3]
	v_and_b32_e32 v6, 7, v6
	v_cmp_gt_u32_e32 vcc, 8, v3
	v_lshrrev_b32_e32 v11, 3, v3
	v_sub_u32_e32 v2, 29, v12
	v_cndmask_b32_e32 v3, v10, v6, vcc
	v_mov_b32_e32 v6, 24
	v_cndmask_b32_e32 v2, v11, v2, vcc
	v_lshlrev_b32_sdwa v6, v6, v4 dst_sel:DWORD dst_unused:UNUSED_PAD src0_sel:DWORD src1_sel:WORD_1
	v_bfrev_b32_e32 v7, 60
	v_lshlrev_b32_e32 v3, 20, v3
	v_and_b32_e32 v6, 0x80000000, v6
	v_lshl_add_u32 v2, v2, 23, v7
	v_or3_b32 v7, v6, v2, v3
.LBB427_760:
	s_or_b64 exec, exec, s[8:9]
.LBB427_761:
	s_or_b64 exec, exec, s[6:7]
.LBB427_762:
	s_or_b64 exec, exec, s[4:5]
	s_mov_b32 s3, 0xffffff
	v_cmp_lt_u32_e32 vcc, s3, v4
	v_mov_b32_e32 v3, 0
	v_mov_b32_e32 v10, 0
	s_and_saveexec_b64 s[4:5], vcc
	s_cbranch_execz .LBB427_768
; %bb.763:
	v_lshrrev_b32_e32 v2, 24, v4
	s_movk_i32 s3, 0x80
	v_cmp_ne_u32_e32 vcc, s3, v2
	v_bfrev_b32_e32 v10, 1
	s_and_saveexec_b64 s[6:7], vcc
	s_cbranch_execz .LBB427_767
; %bb.764:
	v_bfe_u32 v6, v4, 24, 7
	s_movk_i32 s3, 0x7f
	v_cmp_ne_u32_e32 vcc, s3, v6
	v_mov_b32_e32 v10, 0x7f800001
	s_and_saveexec_b64 s[8:9], vcc
	s_cbranch_execz .LBB427_766
; %bb.765:
	v_and_b32_e32 v12, 7, v2
	v_ffbh_u32_e32 v10, v12
	v_min_u32_e32 v16, 32, v10
	v_subrev_u32_e32 v10, 28, v16
	v_lshlrev_b64 v[10:11], v10, v[2:3]
	v_lshrrev_b32_e32 v13, 3, v6
	v_sub_u32_e32 v11, 29, v16
	v_and_b32_e32 v10, 7, v10
	v_cmp_gt_u32_e32 vcc, 8, v6
	v_cndmask_b32_e32 v6, v13, v11, vcc
	v_cndmask_b32_e32 v10, v12, v10, vcc
	v_lshlrev_b32_e32 v2, 24, v2
	v_bfrev_b32_e32 v11, 60
	v_lshlrev_b32_e32 v10, 20, v10
	v_and_b32_e32 v2, 0x80000000, v2
	v_lshl_add_u32 v6, v6, 23, v11
	v_or3_b32 v10, v2, v6, v10
.LBB427_766:
	s_or_b64 exec, exec, s[8:9]
.LBB427_767:
	s_or_b64 exec, exec, s[6:7]
.LBB427_768:
	s_or_b64 exec, exec, s[4:5]
	v_mov_b32_e32 v2, v5
	v_cmp_ne_u16_sdwa s[6:7], v5, v3 src0_sel:BYTE_0 src1_sel:DWORD
	s_and_saveexec_b64 s[4:5], s[6:7]
	s_cbranch_execz .LBB427_774
; %bb.769:
	s_movk_i32 s3, 0x80
	v_cmp_ne_u16_sdwa s[8:9], v5, s3 src0_sel:BYTE_0 src1_sel:DWORD
	v_bfrev_b32_e32 v6, 1
	s_and_saveexec_b64 s[6:7], s[8:9]
	s_cbranch_execz .LBB427_773
; %bb.770:
	s_movk_i32 s3, 0x7f
	v_and_b32_e32 v11, 0x7f, v5
	v_cmp_ne_u32_e32 vcc, s3, v11
	v_mov_b32_e32 v6, 0x7f800001
	s_and_saveexec_b64 s[8:9], vcc
	s_cbranch_execz .LBB427_772
; %bb.771:
	v_and_b32_e32 v6, 7, v5
	v_ffbh_u32_e32 v6, v6
	v_min_u32_e32 v6, 32, v6
	v_subrev_u32_e32 v13, 28, v6
	v_cmp_gt_u32_e32 vcc, 8, v11
	v_lshrrev_b32_e32 v12, 3, v11
	v_sub_u32_e32 v6, 29, v6
	v_cndmask_b32_e32 v11, 0, v13, vcc
	v_cndmask_b32_e32 v6, v12, v6, vcc
	v_lshlrev_b64 v[12:13], v11, v[2:3]
	v_lshlrev_b32_e32 v3, 20, v12
	v_lshlrev_b32_e32 v11, 24, v2
	v_bfrev_b32_e32 v12, 60
	v_and_b32_e32 v3, 0x700000, v3
	v_and_b32_e32 v11, 0x80000000, v11
	v_lshl_add_u32 v6, v6, 23, v12
	v_or3_b32 v6, v11, v6, v3
.LBB427_772:
	s_or_b64 exec, exec, s[8:9]
.LBB427_773:
	s_or_b64 exec, exec, s[6:7]
	v_mov_b32_e32 v3, v6
.LBB427_774:
	s_or_b64 exec, exec, s[4:5]
	v_lshrrev_b16_e32 v6, 8, v2
	v_cmp_ne_u16_e32 vcc, 0, v6
	v_mov_b32_e32 v11, 0
	v_mov_b32_e32 v12, 0
	s_and_saveexec_b64 s[4:5], vcc
	s_cbranch_execz .LBB427_780
; %bb.775:
	s_movk_i32 s3, 0x80
	v_cmp_ne_u16_e32 vcc, s3, v6
	v_bfrev_b32_e32 v12, 1
	s_and_saveexec_b64 s[6:7], vcc
	s_cbranch_execz .LBB427_779
; %bb.776:
	s_movk_i32 s3, 0x7f
	v_and_b32_e32 v13, 0x7f, v6
	v_cmp_ne_u32_e32 vcc, s3, v13
	v_mov_b32_e32 v12, 0x7f800001
	s_and_saveexec_b64 s[8:9], vcc
	s_cbranch_execz .LBB427_778
; %bb.777:
	v_and_b32_e32 v12, 7, v6
	v_ffbh_u32_e32 v16, v12
	v_min_u32_e32 v19, 32, v16
	v_subrev_u32_e32 v16, 28, v19
	v_lshlrev_b64 v[16:17], v16, v[6:7]
	v_lshrrev_b32_e32 v18, 3, v13
	v_sub_u32_e32 v6, 29, v19
	v_and_b32_e32 v16, 7, v16
	v_cmp_gt_u32_e32 vcc, 8, v13
	v_cndmask_b32_e32 v6, v18, v6, vcc
	v_cndmask_b32_e32 v12, v12, v16, vcc
	v_lshlrev_b32_e32 v2, 16, v2
	v_bfrev_b32_e32 v13, 60
	v_lshlrev_b32_e32 v12, 20, v12
	v_and_b32_e32 v2, 0x80000000, v2
	v_lshl_add_u32 v6, v6, 23, v13
	v_or3_b32 v12, v2, v6, v12
.LBB427_778:
	s_or_b64 exec, exec, s[8:9]
.LBB427_779:
	s_or_b64 exec, exec, s[6:7]
.LBB427_780:
	s_or_b64 exec, exec, s[4:5]
	s_movk_i32 s3, 0xff
	v_and_b32_sdwa v6, v5, s3 dst_sel:DWORD dst_unused:UNUSED_PAD src0_sel:WORD_1 src1_sel:DWORD
	v_lshrrev_b32_e32 v2, 16, v5
	v_cmp_ne_u16_e32 vcc, 0, v6
	s_and_saveexec_b64 s[4:5], vcc
	s_cbranch_execz .LBB427_786
; %bb.781:
	s_movk_i32 s3, 0x80
	v_cmp_ne_u16_e32 vcc, s3, v6
	v_bfrev_b32_e32 v11, 1
	s_and_saveexec_b64 s[6:7], vcc
	s_cbranch_execz .LBB427_785
; %bb.782:
	v_bfe_u32 v6, v5, 16, 7
	s_movk_i32 s3, 0x7f
	v_cmp_ne_u32_e32 vcc, s3, v6
	v_mov_b32_e32 v11, 0x7f800001
	s_and_saveexec_b64 s[8:9], vcc
	s_cbranch_execz .LBB427_784
; %bb.783:
	v_and_b32_e32 v11, 7, v2
	v_ffbh_u32_e32 v16, v11
	v_min_u32_e32 v18, 32, v16
	v_subrev_u32_e32 v16, 28, v18
	v_lshlrev_b64 v[16:17], v16, v[2:3]
	v_and_b32_e32 v16, 7, v16
	v_cmp_gt_u32_e32 vcc, 8, v6
	v_lshrrev_b32_e32 v13, 3, v6
	v_sub_u32_e32 v2, 29, v18
	v_cndmask_b32_e32 v6, v11, v16, vcc
	v_mov_b32_e32 v11, 24
	v_cndmask_b32_e32 v2, v13, v2, vcc
	v_lshlrev_b32_sdwa v11, v11, v5 dst_sel:DWORD dst_unused:UNUSED_PAD src0_sel:DWORD src1_sel:WORD_1
	v_bfrev_b32_e32 v13, 60
	v_lshlrev_b32_e32 v6, 20, v6
	v_and_b32_e32 v11, 0x80000000, v11
	v_lshl_add_u32 v2, v2, 23, v13
	v_or3_b32 v11, v11, v2, v6
.LBB427_784:
	s_or_b64 exec, exec, s[8:9]
.LBB427_785:
	s_or_b64 exec, exec, s[6:7]
.LBB427_786:
	s_or_b64 exec, exec, s[4:5]
	s_mov_b32 s4, -1
	s_mov_b32 s5, 0xffffff
	v_cmp_lt_u64_e32 vcc, s[4:5], v[4:5]
	v_mov_b32_e32 v4, 0
	s_and_saveexec_b64 s[4:5], vcc
	s_cbranch_execz .LBB427_792
; %bb.787:
	v_lshrrev_b32_e32 v2, 24, v5
	s_movk_i32 s3, 0x80
	v_cmp_ne_u32_e32 vcc, s3, v2
	v_bfrev_b32_e32 v4, 1
	s_and_saveexec_b64 s[6:7], vcc
	s_cbranch_execz .LBB427_791
; %bb.788:
	v_bfe_u32 v5, v5, 24, 7
	s_movk_i32 s3, 0x7f
	v_cmp_ne_u32_e32 vcc, s3, v5
	v_mov_b32_e32 v4, 0x7f800001
	s_and_saveexec_b64 s[8:9], vcc
	s_cbranch_execz .LBB427_790
; %bb.789:
	v_and_b32_e32 v4, 7, v2
	v_ffbh_u32_e32 v13, v4
	v_min_u32_e32 v13, 32, v13
	v_subrev_u32_e32 v16, 28, v13
	v_lshlrev_b64 v[16:17], v16, v[2:3]
	v_lshrrev_b32_e32 v6, 3, v5
	v_sub_u32_e32 v13, 29, v13
	v_and_b32_e32 v16, 7, v16
	v_cmp_gt_u32_e32 vcc, 8, v5
	v_cndmask_b32_e32 v5, v6, v13, vcc
	v_cndmask_b32_e32 v4, v4, v16, vcc
	v_lshlrev_b32_e32 v2, 24, v2
	v_bfrev_b32_e32 v6, 60
	v_lshlrev_b32_e32 v4, 20, v4
	v_and_b32_e32 v2, 0x80000000, v2
	v_lshl_add_u32 v5, v5, 23, v6
	v_or3_b32 v4, v2, v5, v4
.LBB427_790:
	s_or_b64 exec, exec, s[8:9]
.LBB427_791:
	s_or_b64 exec, exec, s[6:7]
.LBB427_792:
	s_or_b64 exec, exec, s[4:5]
	v_cvt_pkrtz_f16_f32 v6, v8, v9
	v_cvt_pkrtz_f16_f32 v7, v7, v10
	v_cvt_pkrtz_f16_f32 v2, v3, v12
	v_cvt_pkrtz_f16_f32 v3, v11, v4
	v_mfma_f32_4x4x4f16 a[0:3], v[14:15], v[6:7], a[0:3] cbsz:4 abid:14
	s_load_dword s4, s[14:15], 0x0
	v_mfma_f32_4x4x4f16 a[0:3], v[14:15], v[2:3], a[0:3] cbsz:4 abid:15
	s_nop 4
	v_accvgpr_read_b32 v5, a1
	v_accvgpr_read_b32 v3, a3
	;; [unrolled: 1-line block ×4, first 2 shown]
	s_waitcnt lgkmcnt(0)
	v_pk_mul_f32 v[2:3], v[2:3], s[4:5] op_sel_hi:[1,0]
	v_pk_mul_f32 v[4:5], v[4:5], s[4:5] op_sel_hi:[1,0]
	v_cvt_f16_f32_e32 v4, v4
	v_cvt_f16_f32_e32 v5, v5
	;; [unrolled: 1-line block ×4, first 2 shown]
	v_pack_b32_f16 v2, v4, v5
	v_mad_u32_u24 v4, v1, 40, v25
	v_pack_b32_f16 v3, v6, v3
	ds_write_b64 v4, v[2:3]
.LBB427_793:
	s_or_b64 exec, exec, s[0:1]
	v_cmp_gt_u32_e32 vcc, 64, v0
	s_waitcnt lgkmcnt(0)
	s_barrier
	s_and_saveexec_b64 s[0:1], vcc
	s_cbranch_execz .LBB427_795
; %bb.794:
	s_mov_b32 s1, 0
	s_lshl_b32 s0, s2, 6
	v_mul_u32_u24_e32 v1, 40, v1
	s_lshl_b64 s[2:3], s[0:1], 1
	s_waitcnt vmcnt(1)
	ds_read2_b64 v[2:5], v1 offset1:1
	s_waitcnt vmcnt(0)
	ds_read2_b64 v[6:9], v1 offset0:2 offset1:3
	s_add_u32 s2, s24, s2
	s_addc_u32 s3, s25, s3
	s_lshl_b32 s0, s10, 6
	s_lshl_b64 s[0:1], s[0:1], 1
	s_add_u32 s0, s2, s0
	s_addc_u32 s1, s3, s1
	s_lshl_b32 s2, s33, 6
	s_waitcnt lgkmcnt(1)
	v_pk_add_f16 v1, v2, 0
	s_mul_i32 s3, s2, s38
	v_pk_add_f16 v1, v1, v4
	v_or_b32_e32 v2, s3, v0
	v_mov_b32_e32 v3, 0
	s_waitcnt lgkmcnt(0)
	v_pk_add_f16 v1, v1, v6
	v_lshlrev_b64 v[4:5], 1, v[2:3]
	s_add_i32 s3, s3, s2
	v_pk_add_f16 v6, v1, v8
	v_mov_b32_e32 v1, s1
	v_add_co_u32_e32 v4, vcc, s0, v4
	v_or_b32_e32 v2, s3, v0
	v_addc_co_u32_e32 v5, vcc, v1, v5, vcc
	v_lshlrev_b64 v[0:1], 1, v[2:3]
	v_mov_b32_e32 v2, s1
	v_add_co_u32_e32 v0, vcc, s0, v0
	v_addc_co_u32_e32 v1, vcc, v2, v1, vcc
	global_store_short v[4:5], v6, off
	global_store_short_d16_hi v[0:1], v6, off
.LBB427_795:
	s_endpgm
	.section	.rodata,"a",@progbits
	.p2align	6, 0x0
	.amdhsa_kernel _Z38paged_attention_ll4mi_QKV_mfma4_kernelIDF16_hLN4vllm18Fp8KVCacheDataTypeE1EDF16_Li32ELi64ELi256ELb1ELi2EEvPKT_PKT0_S7_ifPKiS9_S9_iPKfiiiPfSC_PS2_PT2_iSB_SB_
		.amdhsa_group_segment_fixed_size 2720
		.amdhsa_private_segment_fixed_size 0
		.amdhsa_kernarg_size 400
		.amdhsa_user_sgpr_count 6
		.amdhsa_user_sgpr_private_segment_buffer 1
		.amdhsa_user_sgpr_dispatch_ptr 0
		.amdhsa_user_sgpr_queue_ptr 0
		.amdhsa_user_sgpr_kernarg_segment_ptr 1
		.amdhsa_user_sgpr_dispatch_id 0
		.amdhsa_user_sgpr_flat_scratch_init 0
		.amdhsa_user_sgpr_kernarg_preload_length 0
		.amdhsa_user_sgpr_kernarg_preload_offset 0
		.amdhsa_user_sgpr_private_segment_size 0
		.amdhsa_uses_dynamic_stack 0
		.amdhsa_system_sgpr_private_segment_wavefront_offset 0
		.amdhsa_system_sgpr_workgroup_id_x 1
		.amdhsa_system_sgpr_workgroup_id_y 1
		.amdhsa_system_sgpr_workgroup_id_z 1
		.amdhsa_system_sgpr_workgroup_info 0
		.amdhsa_system_vgpr_workitem_id 0
		.amdhsa_next_free_vgpr 60
		.amdhsa_next_free_sgpr 44
		.amdhsa_accum_offset 56
		.amdhsa_reserve_vcc 1
		.amdhsa_reserve_flat_scratch 0
		.amdhsa_float_round_mode_32 0
		.amdhsa_float_round_mode_16_64 0
		.amdhsa_float_denorm_mode_32 3
		.amdhsa_float_denorm_mode_16_64 3
		.amdhsa_dx10_clamp 1
		.amdhsa_ieee_mode 1
		.amdhsa_fp16_overflow 0
		.amdhsa_tg_split 0
		.amdhsa_exception_fp_ieee_invalid_op 0
		.amdhsa_exception_fp_denorm_src 0
		.amdhsa_exception_fp_ieee_div_zero 0
		.amdhsa_exception_fp_ieee_overflow 0
		.amdhsa_exception_fp_ieee_underflow 0
		.amdhsa_exception_fp_ieee_inexact 0
		.amdhsa_exception_int_div_zero 0
	.end_amdhsa_kernel
	.section	.text._Z38paged_attention_ll4mi_QKV_mfma4_kernelIDF16_hLN4vllm18Fp8KVCacheDataTypeE1EDF16_Li32ELi64ELi256ELb1ELi2EEvPKT_PKT0_S7_ifPKiS9_S9_iPKfiiiPfSC_PS2_PT2_iSB_SB_,"axG",@progbits,_Z38paged_attention_ll4mi_QKV_mfma4_kernelIDF16_hLN4vllm18Fp8KVCacheDataTypeE1EDF16_Li32ELi64ELi256ELb1ELi2EEvPKT_PKT0_S7_ifPKiS9_S9_iPKfiiiPfSC_PS2_PT2_iSB_SB_,comdat
.Lfunc_end427:
	.size	_Z38paged_attention_ll4mi_QKV_mfma4_kernelIDF16_hLN4vllm18Fp8KVCacheDataTypeE1EDF16_Li32ELi64ELi256ELb1ELi2EEvPKT_PKT0_S7_ifPKiS9_S9_iPKfiiiPfSC_PS2_PT2_iSB_SB_, .Lfunc_end427-_Z38paged_attention_ll4mi_QKV_mfma4_kernelIDF16_hLN4vllm18Fp8KVCacheDataTypeE1EDF16_Li32ELi64ELi256ELb1ELi2EEvPKT_PKT0_S7_ifPKiS9_S9_iPKfiiiPfSC_PS2_PT2_iSB_SB_
                                        ; -- End function
	.section	.AMDGPU.csdata,"",@progbits
; Kernel info:
; codeLenInByte = 26376
; NumSgprs: 48
; NumVgprs: 56
; NumAgprs: 4
; TotalNumVgprs: 60
; ScratchSize: 0
; MemoryBound: 0
; FloatMode: 240
; IeeeMode: 1
; LDSByteSize: 2720 bytes/workgroup (compile time only)
; SGPRBlocks: 5
; VGPRBlocks: 7
; NumSGPRsForWavesPerEU: 48
; NumVGPRsForWavesPerEU: 60
; AccumOffset: 56
; Occupancy: 8
; WaveLimiterHint : 1
; COMPUTE_PGM_RSRC2:SCRATCH_EN: 0
; COMPUTE_PGM_RSRC2:USER_SGPR: 6
; COMPUTE_PGM_RSRC2:TRAP_HANDLER: 0
; COMPUTE_PGM_RSRC2:TGID_X_EN: 1
; COMPUTE_PGM_RSRC2:TGID_Y_EN: 1
; COMPUTE_PGM_RSRC2:TGID_Z_EN: 1
; COMPUTE_PGM_RSRC2:TIDIG_COMP_CNT: 0
; COMPUTE_PGM_RSRC3_GFX90A:ACCUM_OFFSET: 13
; COMPUTE_PGM_RSRC3_GFX90A:TG_SPLIT: 0
	.section	.text._Z38paged_attention_ll4mi_QKV_mfma4_kernelIDF16_hLN4vllm18Fp8KVCacheDataTypeE1EDF16_Li32ELi64ELi256ELb1ELi3EEvPKT_PKT0_S7_ifPKiS9_S9_iPKfiiiPfSC_PS2_PT2_iSB_SB_,"axG",@progbits,_Z38paged_attention_ll4mi_QKV_mfma4_kernelIDF16_hLN4vllm18Fp8KVCacheDataTypeE1EDF16_Li32ELi64ELi256ELb1ELi3EEvPKT_PKT0_S7_ifPKiS9_S9_iPKfiiiPfSC_PS2_PT2_iSB_SB_,comdat
	.protected	_Z38paged_attention_ll4mi_QKV_mfma4_kernelIDF16_hLN4vllm18Fp8KVCacheDataTypeE1EDF16_Li32ELi64ELi256ELb1ELi3EEvPKT_PKT0_S7_ifPKiS9_S9_iPKfiiiPfSC_PS2_PT2_iSB_SB_ ; -- Begin function _Z38paged_attention_ll4mi_QKV_mfma4_kernelIDF16_hLN4vllm18Fp8KVCacheDataTypeE1EDF16_Li32ELi64ELi256ELb1ELi3EEvPKT_PKT0_S7_ifPKiS9_S9_iPKfiiiPfSC_PS2_PT2_iSB_SB_
	.globl	_Z38paged_attention_ll4mi_QKV_mfma4_kernelIDF16_hLN4vllm18Fp8KVCacheDataTypeE1EDF16_Li32ELi64ELi256ELb1ELi3EEvPKT_PKT0_S7_ifPKiS9_S9_iPKfiiiPfSC_PS2_PT2_iSB_SB_
	.p2align	8
	.type	_Z38paged_attention_ll4mi_QKV_mfma4_kernelIDF16_hLN4vllm18Fp8KVCacheDataTypeE1EDF16_Li32ELi64ELi256ELb1ELi3EEvPKT_PKT0_S7_ifPKiS9_S9_iPKfiiiPfSC_PS2_PT2_iSB_SB_,@function
_Z38paged_attention_ll4mi_QKV_mfma4_kernelIDF16_hLN4vllm18Fp8KVCacheDataTypeE1EDF16_Li32ELi64ELi256ELb1ELi3EEvPKT_PKT0_S7_ifPKiS9_S9_iPKfiiiPfSC_PS2_PT2_iSB_SB_: ; @_Z38paged_attention_ll4mi_QKV_mfma4_kernelIDF16_hLN4vllm18Fp8KVCacheDataTypeE1EDF16_Li32ELi64ELi256ELb1ELi3EEvPKT_PKT0_S7_ifPKiS9_S9_iPKfiiiPfSC_PS2_PT2_iSB_SB_
; %bb.0:
	s_load_dwordx2 s[2:3], s[4:5], 0x30
	s_mov_b32 s10, s7
	s_mov_b64 s[0:1], 0
	s_waitcnt lgkmcnt(0)
	s_cmp_lg_u64 s[2:3], 0
	s_cselect_b64 s[20:21], -1, 0
	s_and_b64 vcc, exec, s[20:21]
	s_cbranch_vccz .LBB428_10
; %bb.1:
	s_add_i32 s12, s6, 1
	s_mov_b32 s13, 0
	s_lshl_b64 s[14:15], s[12:13], 2
	s_add_u32 s14, s2, s14
	s_mov_b32 s7, s13
	s_addc_u32 s15, s3, s15
	s_lshl_b64 s[12:13], s[6:7], 2
	s_add_u32 s12, s2, s12
	s_addc_u32 s13, s3, s13
	s_load_dword s9, s[14:15], 0x0
	s_load_dword s11, s[12:13], 0x0
	s_waitcnt lgkmcnt(0)
	s_sub_i32 s9, s9, s11
	s_cmp_eq_u32 s9, 1
	s_cselect_b64 s[12:13], -1, 0
	s_andn2_b64 vcc, exec, s[0:1]
	s_cbranch_vccnz .LBB428_3
.LBB428_2:
	s_mov_b32 s7, 0
	s_mov_b64 s[12:13], -1
.LBB428_3:
	s_andn2_b64 vcc, exec, s[12:13]
	s_cbranch_vccnz .LBB428_795
; %bb.4:
	s_load_dword s9, s[4:5], 0x9c
	s_load_dwordx2 s[0:1], s[4:5], 0x28
	s_add_u32 s26, s4, 0x90
	s_addc_u32 s27, s5, 0
	s_lshl_b64 s[22:23], s[6:7], 2
	s_waitcnt lgkmcnt(0)
	s_and_b32 s9, s9, 0xffff
	s_add_u32 s0, s0, s22
	s_addc_u32 s1, s1, s23
	s_load_dword s7, s[0:1], 0x0
	s_mul_i32 s9, s10, s9
	s_waitcnt lgkmcnt(0)
	s_cmp_ge_i32 s9, s7
	s_cbranch_scc1 .LBB428_795
; %bb.5:
	v_and_b32_e32 v1, 0xc0, v0
	v_add_u32_e32 v4, s9, v1
	v_lshrrev_b32_e32 v42, 6, v0
	v_cmp_le_i32_e64 s[0:1], s7, v4
                                        ; implicit-def: $sgpr30
                                        ; implicit-def: $sgpr11
	s_and_saveexec_b64 s[12:13], s[0:1]
	s_xor_b64 s[12:13], exec, s[12:13]
	s_cbranch_execz .LBB428_7
; %bb.6:
	v_mul_u32_u24_e32 v1, 20, v42
	v_or_b32_e32 v1, 0xa00, v1
	v_mov_b32_e32 v2, 0xa50
	v_mov_b32_e32 v3, 0xff7fffff
	v_mad_u32_u24 v2, v42, 20, v2
	ds_write2_b32 v1, v3, v3 offset1:1
	v_mov_b32_e32 v1, 0
	ds_write2_b32 v2, v1, v1 offset1:1
	v_mov_b32_e32 v2, 0xa08
	v_mov_b32_e32 v4, 0xa58
	s_mov_b32 s11, 0xff7fffff
	s_mov_b32 s30, 0
	v_mad_u32_u24 v2, v42, 20, v2
	v_mad_u32_u24 v4, v42, 20, v4
	ds_write2_b32 v2, v3, v3 offset1:1
	ds_write2_b32 v4, v1, v1 offset1:1
                                        ; implicit-def: $vgpr4
.LBB428_7:
	s_or_saveexec_b64 s[28:29], s[12:13]
	s_load_dwordx2 s[24:25], s[4:5], 0x68
	s_load_dwordx4 s[16:19], s[4:5], 0x58
	s_load_dword s33, s[26:27], 0x4
	s_load_dwordx4 s[12:15], s[4:5], 0x80
	v_and_b32_e32 v1, 63, v0
	v_and_b32_e32 v43, 3, v0
	s_mul_i32 s40, s8, 3
	v_mov_b32_e32 v21, s30
	v_mov_b32_e32 v26, s11
	v_mov_b32_e32 v20, s30
	v_mov_b32_e32 v19, s30
	v_mov_b32_e32 v18, s30
                                        ; implicit-def: $vgpr14_vgpr15
                                        ; implicit-def: $vgpr10_vgpr11
                                        ; implicit-def: $vgpr6_vgpr7
                                        ; implicit-def: $vgpr2_vgpr3
	s_xor_b64 exec, exec, s[28:29]
	s_cbranch_execz .LBB428_403
; %bb.8:
	s_add_i32 s34, s7, 31
	s_ashr_i32 s35, s34, 31
	s_load_dwordx2 s[30:31], s[4:5], 0x20
	s_load_dword s11, s[4:5], 0x38
	s_lshr_b32 s35, s35, 27
	v_add_u32_e32 v44, s9, v0
	s_add_i32 s34, s34, s35
	v_ashrrev_i32_e32 v2, 31, v44
	s_ashr_i32 s34, s34, 5
	v_lshrrev_b32_e32 v2, 27, v2
	s_add_i32 s36, s34, -1
	v_add_u32_e32 v2, v44, v2
	v_ashrrev_i32_e32 v2, 5, v2
	v_mov_b32_e32 v3, s36
	v_cmp_gt_i32_e32 vcc, s7, v44
	s_waitcnt lgkmcnt(0)
	s_mul_i32 s34, s6, s11
	s_mov_b32 s35, 0
	v_cndmask_b32_e32 v2, v3, v2, vcc
	s_lshl_b64 s[34:35], s[34:35], 2
	v_ashrrev_i32_e32 v3, 31, v2
	s_add_u32 s11, s30, s34
	v_lshlrev_b64 v[2:3], 2, v[2:3]
	v_add_co_u32_e32 v6, vcc, s11, v2
	v_ashrrev_i32_e32 v2, 31, v4
	v_lshrrev_b32_e32 v2, 27, v2
	v_add_u32_e32 v2, v4, v2
	s_addc_u32 s30, s31, s35
	v_ashrrev_i32_e32 v4, 5, v2
	v_mov_b32_e32 v5, s30
	v_min_i32_e32 v2, s36, v4
	v_addc_co_u32_e32 v7, vcc, v5, v3, vcc
	v_ashrrev_i32_e32 v3, 31, v2
	v_lshlrev_b64 v[2:3], 2, v[2:3]
	v_add_co_u32_e32 v8, vcc, s11, v2
	v_add_u32_e32 v2, 1, v4
	v_min_i32_e32 v2, s36, v2
	v_addc_co_u32_e32 v9, vcc, v5, v3, vcc
	v_ashrrev_i32_e32 v3, 31, v2
	v_lshlrev_b64 v[2:3], 2, v[2:3]
	v_mov_b32_e32 v4, s30
	v_add_co_u32_e32 v10, vcc, s11, v2
	v_addc_co_u32_e32 v11, vcc, v4, v3, vcc
	global_load_dword v4, v[6:7], off
	global_load_dword v3, v[8:9], off
	;; [unrolled: 1-line block ×3, first 2 shown]
	s_load_dwordx2 s[34:35], s[4:5], 0x8
	s_andn2_b64 vcc, exec, s[20:21]
	s_cbranch_vccnz .LBB428_11
; %bb.9:
	s_add_u32 s2, s2, s22
	s_addc_u32 s3, s3, s23
	s_load_dword s9, s[2:3], 0x0
	s_branch .LBB428_12
.LBB428_10:
	s_mov_b64 s[12:13], 0
	s_branch .LBB428_2
.LBB428_11:
	s_mov_b32 s9, s6
.LBB428_12:
	s_load_dwordx2 s[30:31], s[4:5], 0x10
	s_load_dwordx4 s[20:23], s[4:5], 0x48
	v_cmp_eq_u32_e32 vcc, 3, v43
	v_cmp_ne_u32_e64 s[2:3], 3, v43
	s_mov_b32 s39, 0
	v_mov_b32_e32 v46, 0
	v_mov_b32_e32 v18, 0
	;; [unrolled: 1-line block ×5, first 2 shown]
	s_and_saveexec_b64 s[36:37], s[2:3]
	s_cbranch_execz .LBB428_14
; %bb.13:
	s_load_dwordx2 s[42:43], s[4:5], 0x0
	s_waitcnt lgkmcnt(0)
	s_ashr_i32 s11, s20, 31
	s_mul_hi_u32 s23, s9, s20
	s_mul_i32 s11, s9, s11
	s_add_i32 s45, s23, s11
	s_mul_i32 s44, s9, s20
	s_lshl_b64 s[44:45], s[44:45], 1
	s_add_u32 s9, s42, s44
	s_mul_i32 s38, s8, 0xc0
	s_addc_u32 s11, s43, s45
	s_lshl_b64 s[38:39], s[38:39], 1
	s_add_u32 s38, s9, s38
	v_lshlrev_b32_e32 v5, 3, v43
	v_lshrrev_b32_e32 v6, 2, v1
	s_addc_u32 s39, s11, s39
	v_add_lshl_u32 v5, v5, v6, 4
	global_load_dwordx4 v[18:21], v5, s[38:39]
.LBB428_14:
	s_or_b64 exec, exec, s[36:37]
	s_waitcnt lgkmcnt(0)
	s_mul_i32 s11, s8, s22
	s_add_u32 s8, s11, s34
	s_addc_u32 s9, 0, s35
	v_pk_mov_b32 v[6:7], s[8:9], s[8:9] op_sel:[0,1]
	s_waitcnt vmcnt(2)
	v_mad_i64_i32 v[4:5], s[8:9], v4, s21, v[6:7]
	v_lshlrev_b32_e32 v6, 4, v0
	v_and_b32_e32 v6, 0x1f0, v6
	v_add_co_u32_e64 v4, s[8:9], v4, v6
	v_addc_co_u32_e64 v5, s[8:9], 0, v5, s[8:9]
	global_load_dwordx4 v[34:37], v[4:5], off
	global_load_dwordx4 v[30:33], v[4:5], off offset:512
	global_load_dwordx4 v[26:29], v[4:5], off offset:1024
	;; [unrolled: 1-line block ×3, first 2 shown]
	v_mov_b32_e32 v45, 0
	s_and_saveexec_b64 s[8:9], s[2:3]
	s_cbranch_execz .LBB428_16
; %bb.15:
	s_load_dwordx2 s[2:3], s[4:5], 0x40
	v_add_u32_e32 v4, s40, v43
	v_mov_b32_e32 v5, 0
	v_lshlrev_b64 v[4:5], 2, v[4:5]
	s_waitcnt lgkmcnt(0)
	v_mov_b32_e32 v6, s3
	v_add_co_u32_e64 v4, s[2:3], s2, v4
	v_addc_co_u32_e64 v5, s[2:3], v6, v5, s[2:3]
	global_load_dword v45, v[4:5], off
.LBB428_16:
	s_or_b64 exec, exec, s[8:9]
	s_add_u32 s2, s30, s11
	s_addc_u32 s3, s31, 0
	v_lshlrev_b32_e32 v4, 5, v1
	v_mov_b32_e32 v5, s3
	v_add_co_u32_e64 v6, s[2:3], s2, v4
	s_waitcnt vmcnt(5)
	v_mul_hi_i32 v4, v3, s21
	v_ashrrev_i32_e32 v4, 31, v4
	v_lshrrev_b32_e32 v38, 29, v4
	v_mov_b32_e32 v39, 0
	v_addc_co_u32_e64 v7, s[2:3], 0, v5, s[2:3]
	v_mad_i64_i32 v[4:5], s[2:3], v3, s21, v[38:39]
	v_and_b32_e32 v3, -8, v4
	v_add_co_u32_e64 v4, s[2:3], v6, v3
	s_waitcnt vmcnt(4)
	v_mul_hi_i32 v3, v2, s21
	v_ashrrev_i32_e32 v3, 31, v3
	v_lshrrev_b32_e32 v38, 29, v3
	v_addc_co_u32_e64 v5, s[2:3], v7, v5, s[2:3]
	v_mad_i64_i32 v[2:3], s[2:3], v2, s21, v[38:39]
	v_and_b32_e32 v2, -8, v2
	v_add_co_u32_e64 v40, s[2:3], v6, v2
	v_addc_co_u32_e64 v41, s[2:3], v7, v3, s[2:3]
	global_load_dwordx4 v[10:13], v[4:5], off offset:16
	global_load_dwordx4 v[14:17], v[4:5], off
	s_nop 0
	global_load_dwordx4 v[2:5], v[40:41], off offset:16
	global_load_dwordx4 v[6:9], v[40:41], off
	s_waitcnt vmcnt(7)
	v_cmp_ne_u16_sdwa s[2:3], v34, v39 src0_sel:BYTE_0 src1_sel:DWORD
	s_and_saveexec_b64 s[8:9], s[2:3]
	s_cbranch_execz .LBB428_22
; %bb.17:
	s_movk_i32 s2, 0x80
	v_cmp_ne_u16_sdwa s[2:3], v34, s2 src0_sel:BYTE_0 src1_sel:DWORD
	v_bfrev_b32_e32 v46, 1
	s_and_saveexec_b64 s[20:21], s[2:3]
	s_cbranch_execz .LBB428_21
; %bb.18:
	s_movk_i32 s2, 0x7f
	v_and_b32_e32 v38, 0x7f, v34
	v_cmp_ne_u32_e64 s[2:3], s2, v38
	v_mov_b32_e32 v46, 0x7f800001
	s_and_saveexec_b64 s[22:23], s[2:3]
	s_cbranch_execz .LBB428_20
; %bb.19:
	v_and_b32_e32 v40, 7, v34
	v_ffbh_u32_e32 v40, v40
	v_min_u32_e32 v40, 32, v40
	v_lshrrev_b32_e32 v41, 3, v38
	v_subrev_u32_e32 v46, 28, v40
	v_sub_u32_e32 v40, 29, v40
	v_cmp_gt_u32_e64 s[2:3], 8, v38
	v_cndmask_b32_e64 v38, v41, v40, s[2:3]
	v_cndmask_b32_e64 v40, 0, v46, s[2:3]
	v_lshlrev_b64 v[40:41], v40, v[34:35]
	v_lshlrev_b32_e32 v40, 20, v40
	v_lshlrev_b32_e32 v41, 24, v34
	v_bfrev_b32_e32 v46, 60
	v_and_b32_e32 v40, 0x700000, v40
	v_and_b32_e32 v41, 0x80000000, v41
	v_lshl_add_u32 v38, v38, 23, v46
	v_or3_b32 v46, v41, v38, v40
.LBB428_20:
	s_or_b64 exec, exec, s[22:23]
.LBB428_21:
	s_or_b64 exec, exec, s[20:21]
.LBB428_22:
	s_or_b64 exec, exec, s[8:9]
	v_lshrrev_b16_e32 v38, 8, v34
	v_cmp_ne_u16_e64 s[2:3], 0, v38
	v_mov_b32_e32 v47, 0
	s_and_saveexec_b64 s[8:9], s[2:3]
	s_cbranch_execz .LBB428_28
; %bb.23:
	s_movk_i32 s2, 0x80
	v_cmp_ne_u16_e64 s[2:3], s2, v38
	v_bfrev_b32_e32 v47, 1
	s_and_saveexec_b64 s[20:21], s[2:3]
	s_cbranch_execz .LBB428_27
; %bb.24:
	s_movk_i32 s2, 0x7f
	v_and_b32_e32 v40, 0x7f, v38
	v_cmp_ne_u32_e64 s[2:3], s2, v40
	v_mov_b32_e32 v47, 0x7f800001
	s_and_saveexec_b64 s[22:23], s[2:3]
	s_cbranch_execz .LBB428_26
; %bb.25:
	v_and_b32_e32 v41, 7, v38
	v_ffbh_u32_e32 v48, v41
	v_min_u32_e32 v50, 32, v48
	v_subrev_u32_e32 v48, 28, v50
	v_lshlrev_b64 v[48:49], v48, v[38:39]
	v_lshrrev_b32_e32 v47, 3, v40
	v_sub_u32_e32 v38, 29, v50
	v_and_b32_e32 v48, 7, v48
	v_cmp_gt_u32_e64 s[2:3], 8, v40
	v_cndmask_b32_e64 v38, v47, v38, s[2:3]
	v_cndmask_b32_e64 v40, v41, v48, s[2:3]
	v_lshlrev_b32_e32 v41, 16, v34
	v_bfrev_b32_e32 v47, 60
	v_lshlrev_b32_e32 v40, 20, v40
	v_and_b32_e32 v41, 0x80000000, v41
	v_lshl_add_u32 v38, v38, 23, v47
	v_or3_b32 v47, v41, v38, v40
.LBB428_26:
	s_or_b64 exec, exec, s[22:23]
.LBB428_27:
	s_or_b64 exec, exec, s[20:21]
.LBB428_28:
	s_or_b64 exec, exec, s[8:9]
	s_movk_i32 s2, 0xff
	v_and_b32_sdwa v40, v34, s2 dst_sel:DWORD dst_unused:UNUSED_PAD src0_sel:WORD_1 src1_sel:DWORD
	v_lshrrev_b32_e32 v38, 16, v34
	v_cmp_ne_u16_e64 s[2:3], 0, v40
	s_and_saveexec_b64 s[8:9], s[2:3]
	s_cbranch_execz .LBB428_34
; %bb.29:
	s_movk_i32 s2, 0x80
	v_cmp_ne_u16_e64 s[2:3], s2, v40
	v_bfrev_b32_e32 v39, 1
	s_and_saveexec_b64 s[20:21], s[2:3]
	s_cbranch_execz .LBB428_33
; %bb.30:
	v_bfe_u32 v40, v34, 16, 7
	s_movk_i32 s2, 0x7f
	v_cmp_ne_u32_e64 s[2:3], s2, v40
	v_mov_b32_e32 v39, 0x7f800001
	s_and_saveexec_b64 s[22:23], s[2:3]
	s_cbranch_execz .LBB428_32
; %bb.31:
	v_and_b32_e32 v41, 7, v38
	v_ffbh_u32_e32 v39, v41
	v_min_u32_e32 v49, 32, v39
	v_subrev_u32_e32 v39, 28, v49
	v_lshlrev_b64 v[38:39], v39, v[38:39]
	v_lshrrev_b32_e32 v48, 3, v40
	v_sub_u32_e32 v39, 29, v49
	v_and_b32_e32 v38, 7, v38
	v_cmp_gt_u32_e64 s[2:3], 8, v40
	v_mov_b32_e32 v40, 24
	v_cndmask_b32_e64 v39, v48, v39, s[2:3]
	v_cndmask_b32_e64 v38, v41, v38, s[2:3]
	v_lshlrev_b32_sdwa v40, v40, v34 dst_sel:DWORD dst_unused:UNUSED_PAD src0_sel:DWORD src1_sel:WORD_1
	v_bfrev_b32_e32 v41, 60
	v_lshlrev_b32_e32 v38, 20, v38
	v_and_b32_e32 v40, 0x80000000, v40
	v_lshl_add_u32 v39, v39, 23, v41
	v_or3_b32 v39, v40, v39, v38
.LBB428_32:
	s_or_b64 exec, exec, s[22:23]
.LBB428_33:
	s_or_b64 exec, exec, s[20:21]
.LBB428_34:
	s_or_b64 exec, exec, s[8:9]
	s_mov_b32 s2, 0xffffff
	v_cmp_lt_u32_e64 s[2:3], s2, v34
	v_mov_b32_e32 v41, 0
	v_mov_b32_e32 v48, 0
	s_and_saveexec_b64 s[8:9], s[2:3]
	s_cbranch_execz .LBB428_40
; %bb.35:
	v_lshrrev_b32_e32 v38, 24, v34
	s_movk_i32 s2, 0x80
	v_cmp_ne_u32_e64 s[2:3], s2, v38
	v_bfrev_b32_e32 v48, 1
	s_and_saveexec_b64 s[20:21], s[2:3]
	s_cbranch_execz .LBB428_39
; %bb.36:
	v_bfe_u32 v40, v34, 24, 7
	s_movk_i32 s2, 0x7f
	v_cmp_ne_u32_e64 s[2:3], s2, v40
	v_mov_b32_e32 v48, 0x7f800001
	s_and_saveexec_b64 s[22:23], s[2:3]
	s_cbranch_execz .LBB428_38
; %bb.37:
	v_and_b32_e32 v50, 7, v38
	v_ffbh_u32_e32 v48, v50
	v_min_u32_e32 v52, 32, v48
	v_subrev_u32_e32 v48, 28, v52
	v_lshlrev_b64 v[48:49], v48, v[38:39]
	v_lshrrev_b32_e32 v51, 3, v40
	v_sub_u32_e32 v49, 29, v52
	v_and_b32_e32 v48, 7, v48
	v_cmp_gt_u32_e64 s[2:3], 8, v40
	v_cndmask_b32_e64 v40, v51, v49, s[2:3]
	v_cndmask_b32_e64 v48, v50, v48, s[2:3]
	v_lshlrev_b32_e32 v38, 24, v38
	v_bfrev_b32_e32 v49, 60
	v_lshlrev_b32_e32 v48, 20, v48
	v_and_b32_e32 v38, 0x80000000, v38
	v_lshl_add_u32 v40, v40, 23, v49
	v_or3_b32 v48, v38, v40, v48
.LBB428_38:
	s_or_b64 exec, exec, s[22:23]
.LBB428_39:
	s_or_b64 exec, exec, s[20:21]
.LBB428_40:
	s_or_b64 exec, exec, s[8:9]
	v_mov_b32_e32 v40, v35
	v_cmp_ne_u16_sdwa s[2:3], v35, v41 src0_sel:BYTE_0 src1_sel:DWORD
	s_and_saveexec_b64 s[8:9], s[2:3]
	s_cbranch_execz .LBB428_46
; %bb.41:
	s_movk_i32 s2, 0x80
	v_cmp_ne_u16_sdwa s[2:3], v35, s2 src0_sel:BYTE_0 src1_sel:DWORD
	v_bfrev_b32_e32 v38, 1
	s_and_saveexec_b64 s[20:21], s[2:3]
	s_cbranch_execz .LBB428_45
; %bb.42:
	s_movk_i32 s2, 0x7f
	v_and_b32_e32 v49, 0x7f, v35
	v_cmp_ne_u32_e64 s[2:3], s2, v49
	v_mov_b32_e32 v38, 0x7f800001
	s_and_saveexec_b64 s[22:23], s[2:3]
	s_cbranch_execz .LBB428_44
; %bb.43:
	v_and_b32_e32 v38, 7, v35
	v_ffbh_u32_e32 v38, v38
	v_min_u32_e32 v38, 32, v38
	v_subrev_u32_e32 v51, 28, v38
	v_cmp_gt_u32_e64 s[2:3], 8, v49
	v_lshrrev_b32_e32 v50, 3, v49
	v_sub_u32_e32 v38, 29, v38
	v_cndmask_b32_e64 v49, 0, v51, s[2:3]
	v_cndmask_b32_e64 v38, v50, v38, s[2:3]
	v_lshlrev_b64 v[50:51], v49, v[40:41]
	v_lshlrev_b32_e32 v41, 20, v50
	v_lshlrev_b32_e32 v49, 24, v40
	v_bfrev_b32_e32 v50, 60
	v_and_b32_e32 v41, 0x700000, v41
	v_and_b32_e32 v49, 0x80000000, v49
	v_lshl_add_u32 v38, v38, 23, v50
	v_or3_b32 v38, v49, v38, v41
.LBB428_44:
	s_or_b64 exec, exec, s[22:23]
.LBB428_45:
	s_or_b64 exec, exec, s[20:21]
	v_mov_b32_e32 v41, v38
.LBB428_46:
	s_or_b64 exec, exec, s[8:9]
	v_lshrrev_b16_e32 v38, 8, v40
	v_cmp_ne_u16_e64 s[2:3], 0, v38
	v_mov_b32_e32 v49, 0
	v_mov_b32_e32 v50, 0
	s_and_saveexec_b64 s[8:9], s[2:3]
	s_cbranch_execz .LBB428_52
; %bb.47:
	s_movk_i32 s2, 0x80
	v_cmp_ne_u16_e64 s[2:3], s2, v38
	v_bfrev_b32_e32 v50, 1
	s_and_saveexec_b64 s[20:21], s[2:3]
	s_cbranch_execz .LBB428_51
; %bb.48:
	s_movk_i32 s2, 0x7f
	v_and_b32_e32 v51, 0x7f, v38
	v_cmp_ne_u32_e64 s[2:3], s2, v51
	v_mov_b32_e32 v50, 0x7f800001
	s_and_saveexec_b64 s[22:23], s[2:3]
	s_cbranch_execz .LBB428_50
; %bb.49:
	v_and_b32_e32 v50, 7, v38
	v_ffbh_u32_e32 v52, v50
	v_min_u32_e32 v55, 32, v52
	v_subrev_u32_e32 v52, 28, v55
	v_lshlrev_b64 v[52:53], v52, v[38:39]
	v_lshrrev_b32_e32 v54, 3, v51
	v_sub_u32_e32 v38, 29, v55
	v_and_b32_e32 v52, 7, v52
	v_cmp_gt_u32_e64 s[2:3], 8, v51
	v_cndmask_b32_e64 v38, v54, v38, s[2:3]
	v_cndmask_b32_e64 v50, v50, v52, s[2:3]
	v_lshlrev_b32_e32 v40, 16, v40
	v_bfrev_b32_e32 v51, 60
	v_lshlrev_b32_e32 v50, 20, v50
	v_and_b32_e32 v40, 0x80000000, v40
	v_lshl_add_u32 v38, v38, 23, v51
	v_or3_b32 v50, v40, v38, v50
.LBB428_50:
	s_or_b64 exec, exec, s[22:23]
.LBB428_51:
	s_or_b64 exec, exec, s[20:21]
.LBB428_52:
	s_or_b64 exec, exec, s[8:9]
	s_movk_i32 s2, 0xff
	v_and_b32_sdwa v40, v35, s2 dst_sel:DWORD dst_unused:UNUSED_PAD src0_sel:WORD_1 src1_sel:DWORD
	v_lshrrev_b32_e32 v38, 16, v35
	v_cmp_ne_u16_e64 s[2:3], 0, v40
	s_and_saveexec_b64 s[8:9], s[2:3]
	s_cbranch_execz .LBB428_58
; %bb.53:
	s_movk_i32 s2, 0x80
	v_cmp_ne_u16_e64 s[2:3], s2, v40
	v_bfrev_b32_e32 v49, 1
	s_and_saveexec_b64 s[20:21], s[2:3]
	s_cbranch_execz .LBB428_57
; %bb.54:
	v_bfe_u32 v40, v35, 16, 7
	s_movk_i32 s2, 0x7f
	v_cmp_ne_u32_e64 s[2:3], s2, v40
	v_mov_b32_e32 v49, 0x7f800001
	s_and_saveexec_b64 s[22:23], s[2:3]
	s_cbranch_execz .LBB428_56
; %bb.55:
	v_and_b32_e32 v49, 7, v38
	v_ffbh_u32_e32 v52, v49
	v_min_u32_e32 v54, 32, v52
	v_subrev_u32_e32 v52, 28, v54
	v_lshlrev_b64 v[52:53], v52, v[38:39]
	v_and_b32_e32 v52, 7, v52
	v_cmp_gt_u32_e64 s[2:3], 8, v40
	v_lshrrev_b32_e32 v51, 3, v40
	v_sub_u32_e32 v38, 29, v54
	v_cndmask_b32_e64 v40, v49, v52, s[2:3]
	v_mov_b32_e32 v49, 24
	v_cndmask_b32_e64 v38, v51, v38, s[2:3]
	v_lshlrev_b32_sdwa v49, v49, v35 dst_sel:DWORD dst_unused:UNUSED_PAD src0_sel:DWORD src1_sel:WORD_1
	v_bfrev_b32_e32 v51, 60
	v_lshlrev_b32_e32 v40, 20, v40
	v_and_b32_e32 v49, 0x80000000, v49
	v_lshl_add_u32 v38, v38, 23, v51
	v_or3_b32 v49, v49, v38, v40
.LBB428_56:
	s_or_b64 exec, exec, s[22:23]
.LBB428_57:
	s_or_b64 exec, exec, s[20:21]
.LBB428_58:
	s_or_b64 exec, exec, s[8:9]
	s_mov_b32 s2, -1
	s_mov_b32 s3, 0xffffff
	v_cmp_lt_u64_e64 s[2:3], s[2:3], v[34:35]
	v_mov_b32_e32 v40, 0
	v_mov_b32_e32 v38, 0
	s_and_saveexec_b64 s[8:9], s[2:3]
	s_cbranch_execz .LBB428_64
; %bb.59:
	v_lshrrev_b32_e32 v34, 24, v35
	s_movk_i32 s2, 0x80
	v_cmp_ne_u32_e64 s[2:3], s2, v34
	v_bfrev_b32_e32 v38, 1
	s_and_saveexec_b64 s[20:21], s[2:3]
	s_cbranch_execz .LBB428_63
; %bb.60:
	v_bfe_u32 v35, v35, 24, 7
	s_movk_i32 s2, 0x7f
	v_cmp_ne_u32_e64 s[2:3], s2, v35
	v_mov_b32_e32 v38, 0x7f800001
	s_and_saveexec_b64 s[22:23], s[2:3]
	s_cbranch_execz .LBB428_62
; %bb.61:
	v_and_b32_e32 v38, 7, v34
	v_ffbh_u32_e32 v52, v38
	v_min_u32_e32 v54, 32, v52
	v_subrev_u32_e32 v52, 28, v54
	v_lshlrev_b64 v[52:53], v52, v[34:35]
	v_lshrrev_b32_e32 v51, 3, v35
	v_sub_u32_e32 v53, 29, v54
	v_and_b32_e32 v52, 7, v52
	v_cmp_gt_u32_e64 s[2:3], 8, v35
	v_cndmask_b32_e64 v35, v51, v53, s[2:3]
	v_cndmask_b32_e64 v38, v38, v52, s[2:3]
	v_lshlrev_b32_e32 v34, 24, v34
	v_bfrev_b32_e32 v51, 60
	v_lshlrev_b32_e32 v38, 20, v38
	v_and_b32_e32 v34, 0x80000000, v34
	v_lshl_add_u32 v35, v35, 23, v51
	v_or3_b32 v38, v34, v35, v38
.LBB428_62:
	s_or_b64 exec, exec, s[22:23]
.LBB428_63:
	s_or_b64 exec, exec, s[20:21]
.LBB428_64:
	s_or_b64 exec, exec, s[8:9]
	v_cvt_pkrtz_f16_f32 v34, v46, v47
	v_cvt_pkrtz_f16_f32 v35, v39, v48
	;; [unrolled: 1-line block ×4, first 2 shown]
	v_mfma_f32_4x4x4f16 a[0:3], v[18:19], v[34:35], 0 cbsz:4
	v_cmp_ne_u16_sdwa s[2:3], v36, v40 src0_sel:BYTE_0 src1_sel:DWORD
	v_mfma_f32_4x4x4f16 a[0:3], v[20:21], v[46:47], a[0:3] cbsz:4
	s_and_saveexec_b64 s[8:9], s[2:3]
	s_cbranch_execz .LBB428_70
; %bb.65:
	s_movk_i32 s2, 0x80
	v_cmp_ne_u16_sdwa s[2:3], v36, s2 src0_sel:BYTE_0 src1_sel:DWORD
	v_bfrev_b32_e32 v40, 1
	s_and_saveexec_b64 s[20:21], s[2:3]
	s_cbranch_execz .LBB428_69
; %bb.66:
	s_movk_i32 s2, 0x7f
	v_and_b32_e32 v34, 0x7f, v36
	v_cmp_ne_u32_e64 s[2:3], s2, v34
	v_mov_b32_e32 v40, 0x7f800001
	s_and_saveexec_b64 s[22:23], s[2:3]
	s_cbranch_execz .LBB428_68
; %bb.67:
	v_and_b32_e32 v35, 7, v36
	v_ffbh_u32_e32 v35, v35
	v_min_u32_e32 v35, 32, v35
	v_subrev_u32_e32 v39, 28, v35
	v_cmp_gt_u32_e64 s[2:3], 8, v34
	v_lshrrev_b32_e32 v38, 3, v34
	v_sub_u32_e32 v35, 29, v35
	v_cndmask_b32_e64 v34, 0, v39, s[2:3]
	v_cndmask_b32_e64 v38, v38, v35, s[2:3]
	v_lshlrev_b64 v[34:35], v34, v[36:37]
	v_lshlrev_b32_e32 v34, 20, v34
	v_lshlrev_b32_e32 v35, 24, v36
	v_bfrev_b32_e32 v39, 60
	v_and_b32_e32 v34, 0x700000, v34
	v_and_b32_e32 v35, 0x80000000, v35
	v_lshl_add_u32 v38, v38, 23, v39
	v_or3_b32 v40, v35, v38, v34
.LBB428_68:
	s_or_b64 exec, exec, s[22:23]
.LBB428_69:
	s_or_b64 exec, exec, s[20:21]
.LBB428_70:
	s_or_b64 exec, exec, s[8:9]
	v_lshrrev_b16_e32 v34, 8, v36
	v_cmp_ne_u16_e64 s[2:3], 0, v34
	v_mov_b32_e32 v39, 0
	v_mov_b32_e32 v41, 0
	s_and_saveexec_b64 s[8:9], s[2:3]
	s_cbranch_execz .LBB428_76
; %bb.71:
	s_movk_i32 s2, 0x80
	v_cmp_ne_u16_e64 s[2:3], s2, v34
	v_bfrev_b32_e32 v41, 1
	s_and_saveexec_b64 s[20:21], s[2:3]
	s_cbranch_execz .LBB428_75
; %bb.72:
	s_movk_i32 s2, 0x7f
	v_and_b32_e32 v35, 0x7f, v34
	v_cmp_ne_u32_e64 s[2:3], s2, v35
	v_mov_b32_e32 v41, 0x7f800001
	s_and_saveexec_b64 s[22:23], s[2:3]
	s_cbranch_execz .LBB428_74
; %bb.73:
	v_and_b32_e32 v38, 7, v34
	v_ffbh_u32_e32 v46, v38
	v_min_u32_e32 v48, 32, v46
	v_subrev_u32_e32 v46, 28, v48
	v_lshlrev_b64 v[46:47], v46, v[34:35]
	v_lshrrev_b32_e32 v41, 3, v35
	v_sub_u32_e32 v34, 29, v48
	v_and_b32_e32 v46, 7, v46
	v_cmp_gt_u32_e64 s[2:3], 8, v35
	v_cndmask_b32_e64 v34, v41, v34, s[2:3]
	v_cndmask_b32_e64 v35, v38, v46, s[2:3]
	v_lshlrev_b32_e32 v38, 16, v36
	v_bfrev_b32_e32 v41, 60
	v_lshlrev_b32_e32 v35, 20, v35
	v_and_b32_e32 v38, 0x80000000, v38
	v_lshl_add_u32 v34, v34, 23, v41
	v_or3_b32 v41, v38, v34, v35
.LBB428_74:
	s_or_b64 exec, exec, s[22:23]
.LBB428_75:
	s_or_b64 exec, exec, s[20:21]
.LBB428_76:
	s_or_b64 exec, exec, s[8:9]
	s_movk_i32 s2, 0xff
	v_and_b32_sdwa v35, v36, s2 dst_sel:DWORD dst_unused:UNUSED_PAD src0_sel:WORD_1 src1_sel:DWORD
	v_lshrrev_b32_e32 v34, 16, v36
	v_cmp_ne_u16_e64 s[2:3], 0, v35
	s_and_saveexec_b64 s[8:9], s[2:3]
	s_cbranch_execz .LBB428_82
; %bb.77:
	s_movk_i32 s2, 0x80
	v_cmp_ne_u16_e64 s[2:3], s2, v35
	v_bfrev_b32_e32 v39, 1
	s_and_saveexec_b64 s[20:21], s[2:3]
	s_cbranch_execz .LBB428_81
; %bb.78:
	v_bfe_u32 v35, v36, 16, 7
	s_movk_i32 s2, 0x7f
	v_cmp_ne_u32_e64 s[2:3], s2, v35
	v_mov_b32_e32 v39, 0x7f800001
	s_and_saveexec_b64 s[22:23], s[2:3]
	s_cbranch_execz .LBB428_80
; %bb.79:
	v_and_b32_e32 v46, 7, v34
	v_ffbh_u32_e32 v38, v46
	v_min_u32_e32 v48, 32, v38
	v_subrev_u32_e32 v38, 28, v48
	v_lshlrev_b64 v[38:39], v38, v[34:35]
	v_and_b32_e32 v38, 7, v38
	v_cmp_gt_u32_e64 s[2:3], 8, v35
	v_lshrrev_b32_e32 v47, 3, v35
	v_sub_u32_e32 v34, 29, v48
	v_cndmask_b32_e64 v35, v46, v38, s[2:3]
	v_mov_b32_e32 v38, 24
	v_cndmask_b32_e64 v34, v47, v34, s[2:3]
	v_lshlrev_b32_sdwa v38, v38, v36 dst_sel:DWORD dst_unused:UNUSED_PAD src0_sel:DWORD src1_sel:WORD_1
	v_bfrev_b32_e32 v39, 60
	v_lshlrev_b32_e32 v35, 20, v35
	v_and_b32_e32 v38, 0x80000000, v38
	v_lshl_add_u32 v34, v34, 23, v39
	v_or3_b32 v39, v38, v34, v35
.LBB428_80:
	s_or_b64 exec, exec, s[22:23]
.LBB428_81:
	s_or_b64 exec, exec, s[20:21]
.LBB428_82:
	s_or_b64 exec, exec, s[8:9]
	s_mov_b32 s2, 0xffffff
	v_cmp_lt_u32_e64 s[2:3], s2, v36
	v_mov_b32_e32 v35, 0
	v_mov_b32_e32 v46, 0
	s_and_saveexec_b64 s[8:9], s[2:3]
	s_cbranch_execz .LBB428_88
; %bb.83:
	v_lshrrev_b32_e32 v34, 24, v36
	s_movk_i32 s2, 0x80
	v_cmp_ne_u32_e64 s[2:3], s2, v34
	v_bfrev_b32_e32 v46, 1
	s_and_saveexec_b64 s[20:21], s[2:3]
	s_cbranch_execz .LBB428_87
; %bb.84:
	v_bfe_u32 v38, v36, 24, 7
	s_movk_i32 s2, 0x7f
	v_cmp_ne_u32_e64 s[2:3], s2, v38
	v_mov_b32_e32 v46, 0x7f800001
	s_and_saveexec_b64 s[22:23], s[2:3]
	s_cbranch_execz .LBB428_86
; %bb.85:
	v_and_b32_e32 v48, 7, v34
	v_ffbh_u32_e32 v46, v48
	v_min_u32_e32 v50, 32, v46
	v_subrev_u32_e32 v46, 28, v50
	v_lshlrev_b64 v[46:47], v46, v[34:35]
	v_lshrrev_b32_e32 v49, 3, v38
	v_sub_u32_e32 v47, 29, v50
	v_and_b32_e32 v46, 7, v46
	v_cmp_gt_u32_e64 s[2:3], 8, v38
	v_cndmask_b32_e64 v38, v49, v47, s[2:3]
	v_cndmask_b32_e64 v46, v48, v46, s[2:3]
	v_lshlrev_b32_e32 v34, 24, v34
	v_bfrev_b32_e32 v47, 60
	v_lshlrev_b32_e32 v46, 20, v46
	v_and_b32_e32 v34, 0x80000000, v34
	v_lshl_add_u32 v38, v38, 23, v47
	v_or3_b32 v46, v34, v38, v46
.LBB428_86:
	s_or_b64 exec, exec, s[22:23]
.LBB428_87:
	s_or_b64 exec, exec, s[20:21]
.LBB428_88:
	s_or_b64 exec, exec, s[8:9]
	v_mov_b32_e32 v34, v37
	v_cmp_ne_u16_sdwa s[2:3], v37, v35 src0_sel:BYTE_0 src1_sel:DWORD
	s_and_saveexec_b64 s[8:9], s[2:3]
	s_cbranch_execz .LBB428_94
; %bb.89:
	s_movk_i32 s2, 0x80
	v_cmp_ne_u16_sdwa s[2:3], v37, s2 src0_sel:BYTE_0 src1_sel:DWORD
	v_bfrev_b32_e32 v38, 1
	s_and_saveexec_b64 s[20:21], s[2:3]
	s_cbranch_execz .LBB428_93
; %bb.90:
	s_movk_i32 s2, 0x7f
	v_and_b32_e32 v47, 0x7f, v37
	v_cmp_ne_u32_e64 s[2:3], s2, v47
	v_mov_b32_e32 v38, 0x7f800001
	s_and_saveexec_b64 s[22:23], s[2:3]
	s_cbranch_execz .LBB428_92
; %bb.91:
	v_and_b32_e32 v38, 7, v37
	v_ffbh_u32_e32 v38, v38
	v_min_u32_e32 v38, 32, v38
	v_subrev_u32_e32 v49, 28, v38
	v_cmp_gt_u32_e64 s[2:3], 8, v47
	v_lshrrev_b32_e32 v48, 3, v47
	v_sub_u32_e32 v38, 29, v38
	v_cndmask_b32_e64 v47, 0, v49, s[2:3]
	v_cndmask_b32_e64 v38, v48, v38, s[2:3]
	v_lshlrev_b64 v[48:49], v47, v[34:35]
	v_lshlrev_b32_e32 v35, 20, v48
	v_lshlrev_b32_e32 v47, 24, v34
	v_bfrev_b32_e32 v48, 60
	v_and_b32_e32 v35, 0x700000, v35
	v_and_b32_e32 v47, 0x80000000, v47
	v_lshl_add_u32 v38, v38, 23, v48
	v_or3_b32 v38, v47, v38, v35
.LBB428_92:
	s_or_b64 exec, exec, s[22:23]
.LBB428_93:
	s_or_b64 exec, exec, s[20:21]
	v_mov_b32_e32 v35, v38
.LBB428_94:
	s_or_b64 exec, exec, s[8:9]
	v_lshrrev_b16_e32 v38, 8, v34
	v_cmp_ne_u16_e64 s[2:3], 0, v38
	v_mov_b32_e32 v47, 0
	v_mov_b32_e32 v48, 0
	s_and_saveexec_b64 s[8:9], s[2:3]
	s_cbranch_execz .LBB428_100
; %bb.95:
	s_movk_i32 s2, 0x80
	v_cmp_ne_u16_e64 s[2:3], s2, v38
	v_bfrev_b32_e32 v48, 1
	s_and_saveexec_b64 s[20:21], s[2:3]
	s_cbranch_execz .LBB428_99
; %bb.96:
	s_movk_i32 s2, 0x7f
	v_and_b32_e32 v49, 0x7f, v38
	v_cmp_ne_u32_e64 s[2:3], s2, v49
	v_mov_b32_e32 v48, 0x7f800001
	s_and_saveexec_b64 s[22:23], s[2:3]
	s_cbranch_execz .LBB428_98
; %bb.97:
	v_and_b32_e32 v48, 7, v38
	v_ffbh_u32_e32 v50, v48
	v_min_u32_e32 v53, 32, v50
	v_subrev_u32_e32 v50, 28, v53
	v_lshlrev_b64 v[50:51], v50, v[38:39]
	v_lshrrev_b32_e32 v52, 3, v49
	v_sub_u32_e32 v38, 29, v53
	v_and_b32_e32 v50, 7, v50
	v_cmp_gt_u32_e64 s[2:3], 8, v49
	v_cndmask_b32_e64 v38, v52, v38, s[2:3]
	v_cndmask_b32_e64 v48, v48, v50, s[2:3]
	v_lshlrev_b32_e32 v34, 16, v34
	v_bfrev_b32_e32 v49, 60
	v_lshlrev_b32_e32 v48, 20, v48
	v_and_b32_e32 v34, 0x80000000, v34
	v_lshl_add_u32 v38, v38, 23, v49
	v_or3_b32 v48, v34, v38, v48
.LBB428_98:
	s_or_b64 exec, exec, s[22:23]
.LBB428_99:
	s_or_b64 exec, exec, s[20:21]
.LBB428_100:
	s_or_b64 exec, exec, s[8:9]
	s_movk_i32 s2, 0xff
	v_and_b32_sdwa v38, v37, s2 dst_sel:DWORD dst_unused:UNUSED_PAD src0_sel:WORD_1 src1_sel:DWORD
	v_lshrrev_b32_e32 v34, 16, v37
	v_cmp_ne_u16_e64 s[2:3], 0, v38
	s_and_saveexec_b64 s[8:9], s[2:3]
	s_cbranch_execz .LBB428_106
; %bb.101:
	s_movk_i32 s2, 0x80
	v_cmp_ne_u16_e64 s[2:3], s2, v38
	v_bfrev_b32_e32 v47, 1
	s_and_saveexec_b64 s[20:21], s[2:3]
	s_cbranch_execz .LBB428_105
; %bb.102:
	v_bfe_u32 v38, v37, 16, 7
	s_movk_i32 s2, 0x7f
	v_cmp_ne_u32_e64 s[2:3], s2, v38
	v_mov_b32_e32 v47, 0x7f800001
	s_and_saveexec_b64 s[22:23], s[2:3]
	s_cbranch_execz .LBB428_104
; %bb.103:
	v_and_b32_e32 v47, 7, v34
	v_ffbh_u32_e32 v50, v47
	v_min_u32_e32 v52, 32, v50
	v_subrev_u32_e32 v50, 28, v52
	v_lshlrev_b64 v[50:51], v50, v[34:35]
	v_and_b32_e32 v50, 7, v50
	v_cmp_gt_u32_e64 s[2:3], 8, v38
	v_lshrrev_b32_e32 v49, 3, v38
	v_sub_u32_e32 v34, 29, v52
	v_cndmask_b32_e64 v38, v47, v50, s[2:3]
	v_mov_b32_e32 v47, 24
	v_cndmask_b32_e64 v34, v49, v34, s[2:3]
	v_lshlrev_b32_sdwa v47, v47, v37 dst_sel:DWORD dst_unused:UNUSED_PAD src0_sel:DWORD src1_sel:WORD_1
	v_bfrev_b32_e32 v49, 60
	v_lshlrev_b32_e32 v38, 20, v38
	v_and_b32_e32 v47, 0x80000000, v47
	v_lshl_add_u32 v34, v34, 23, v49
	v_or3_b32 v47, v47, v34, v38
.LBB428_104:
	s_or_b64 exec, exec, s[22:23]
.LBB428_105:
	s_or_b64 exec, exec, s[20:21]
.LBB428_106:
	s_or_b64 exec, exec, s[8:9]
	s_mov_b32 s2, -1
	s_mov_b32 s3, 0xffffff
	v_cmp_lt_u64_e64 s[2:3], s[2:3], v[36:37]
	v_mov_b32_e32 v38, 0
	v_mov_b32_e32 v36, 0
	s_and_saveexec_b64 s[8:9], s[2:3]
	s_cbranch_execz .LBB428_112
; %bb.107:
	v_lshrrev_b32_e32 v34, 24, v37
	s_movk_i32 s2, 0x80
	v_cmp_ne_u32_e64 s[2:3], s2, v34
	v_bfrev_b32_e32 v36, 1
	s_and_saveexec_b64 s[20:21], s[2:3]
	s_cbranch_execz .LBB428_111
; %bb.108:
	v_bfe_u32 v37, v37, 24, 7
	s_movk_i32 s2, 0x7f
	v_cmp_ne_u32_e64 s[2:3], s2, v37
	v_mov_b32_e32 v36, 0x7f800001
	s_and_saveexec_b64 s[22:23], s[2:3]
	s_cbranch_execz .LBB428_110
; %bb.109:
	v_and_b32_e32 v36, 7, v34
	v_ffbh_u32_e32 v50, v36
	v_min_u32_e32 v52, 32, v50
	v_subrev_u32_e32 v50, 28, v52
	v_lshlrev_b64 v[50:51], v50, v[34:35]
	v_lshrrev_b32_e32 v49, 3, v37
	v_sub_u32_e32 v51, 29, v52
	v_and_b32_e32 v50, 7, v50
	v_cmp_gt_u32_e64 s[2:3], 8, v37
	v_cndmask_b32_e64 v37, v49, v51, s[2:3]
	v_cndmask_b32_e64 v36, v36, v50, s[2:3]
	v_lshlrev_b32_e32 v34, 24, v34
	v_bfrev_b32_e32 v49, 60
	v_lshlrev_b32_e32 v36, 20, v36
	v_and_b32_e32 v34, 0x80000000, v34
	v_lshl_add_u32 v37, v37, 23, v49
	v_or3_b32 v36, v34, v37, v36
.LBB428_110:
	s_or_b64 exec, exec, s[22:23]
.LBB428_111:
	s_or_b64 exec, exec, s[20:21]
.LBB428_112:
	s_or_b64 exec, exec, s[8:9]
	v_cvt_pkrtz_f16_f32 v40, v40, v41
	v_cvt_pkrtz_f16_f32 v41, v39, v46
	;; [unrolled: 1-line block ×4, first 2 shown]
	v_mfma_f32_4x4x4f16 a[0:3], v[18:19], v[40:41], a[0:3] cbsz:4 abid:1
	s_waitcnt vmcnt(6)
	v_cmp_ne_u16_sdwa s[2:3], v30, v38 src0_sel:BYTE_0 src1_sel:DWORD
	v_mfma_f32_4x4x4f16 a[0:3], v[20:21], v[34:35], a[0:3] cbsz:4 abid:1
	s_and_saveexec_b64 s[8:9], s[2:3]
	s_cbranch_execz .LBB428_118
; %bb.113:
	s_movk_i32 s2, 0x80
	v_cmp_ne_u16_sdwa s[2:3], v30, s2 src0_sel:BYTE_0 src1_sel:DWORD
	v_bfrev_b32_e32 v38, 1
	s_and_saveexec_b64 s[20:21], s[2:3]
	s_cbranch_execz .LBB428_117
; %bb.114:
	s_movk_i32 s2, 0x7f
	v_and_b32_e32 v34, 0x7f, v30
	v_cmp_ne_u32_e64 s[2:3], s2, v34
	v_mov_b32_e32 v38, 0x7f800001
	s_and_saveexec_b64 s[22:23], s[2:3]
	s_cbranch_execz .LBB428_116
; %bb.115:
	v_and_b32_e32 v35, 7, v30
	v_ffbh_u32_e32 v35, v35
	v_min_u32_e32 v35, 32, v35
	v_subrev_u32_e32 v37, 28, v35
	v_cmp_gt_u32_e64 s[2:3], 8, v34
	v_lshrrev_b32_e32 v36, 3, v34
	v_sub_u32_e32 v35, 29, v35
	v_cndmask_b32_e64 v34, 0, v37, s[2:3]
	v_cndmask_b32_e64 v36, v36, v35, s[2:3]
	v_lshlrev_b64 v[34:35], v34, v[30:31]
	v_lshlrev_b32_e32 v34, 20, v34
	v_lshlrev_b32_e32 v35, 24, v30
	v_bfrev_b32_e32 v37, 60
	v_and_b32_e32 v34, 0x700000, v34
	v_and_b32_e32 v35, 0x80000000, v35
	v_lshl_add_u32 v36, v36, 23, v37
	v_or3_b32 v38, v35, v36, v34
.LBB428_116:
	s_or_b64 exec, exec, s[22:23]
.LBB428_117:
	s_or_b64 exec, exec, s[20:21]
.LBB428_118:
	s_or_b64 exec, exec, s[8:9]
	v_lshrrev_b16_e32 v34, 8, v30
	v_cmp_ne_u16_e64 s[2:3], 0, v34
	v_mov_b32_e32 v37, 0
	v_mov_b32_e32 v39, 0
	s_and_saveexec_b64 s[8:9], s[2:3]
	s_cbranch_execz .LBB428_124
; %bb.119:
	s_movk_i32 s2, 0x80
	v_cmp_ne_u16_e64 s[2:3], s2, v34
	v_bfrev_b32_e32 v39, 1
	s_and_saveexec_b64 s[20:21], s[2:3]
	s_cbranch_execz .LBB428_123
; %bb.120:
	s_movk_i32 s2, 0x7f
	v_and_b32_e32 v35, 0x7f, v34
	v_cmp_ne_u32_e64 s[2:3], s2, v35
	v_mov_b32_e32 v39, 0x7f800001
	s_and_saveexec_b64 s[22:23], s[2:3]
	s_cbranch_execz .LBB428_122
; %bb.121:
	v_and_b32_e32 v36, 7, v34
	v_ffbh_u32_e32 v40, v36
	v_min_u32_e32 v46, 32, v40
	v_subrev_u32_e32 v40, 28, v46
	v_lshlrev_b64 v[40:41], v40, v[34:35]
	v_lshrrev_b32_e32 v39, 3, v35
	v_sub_u32_e32 v34, 29, v46
	v_and_b32_e32 v40, 7, v40
	v_cmp_gt_u32_e64 s[2:3], 8, v35
	v_cndmask_b32_e64 v34, v39, v34, s[2:3]
	v_cndmask_b32_e64 v35, v36, v40, s[2:3]
	v_lshlrev_b32_e32 v36, 16, v30
	v_bfrev_b32_e32 v39, 60
	v_lshlrev_b32_e32 v35, 20, v35
	v_and_b32_e32 v36, 0x80000000, v36
	v_lshl_add_u32 v34, v34, 23, v39
	v_or3_b32 v39, v36, v34, v35
.LBB428_122:
	s_or_b64 exec, exec, s[22:23]
.LBB428_123:
	s_or_b64 exec, exec, s[20:21]
.LBB428_124:
	s_or_b64 exec, exec, s[8:9]
	s_movk_i32 s2, 0xff
	v_and_b32_sdwa v35, v30, s2 dst_sel:DWORD dst_unused:UNUSED_PAD src0_sel:WORD_1 src1_sel:DWORD
	v_lshrrev_b32_e32 v34, 16, v30
	v_cmp_ne_u16_e64 s[2:3], 0, v35
	s_and_saveexec_b64 s[8:9], s[2:3]
	s_cbranch_execz .LBB428_130
; %bb.125:
	s_movk_i32 s2, 0x80
	v_cmp_ne_u16_e64 s[2:3], s2, v35
	v_bfrev_b32_e32 v37, 1
	s_and_saveexec_b64 s[20:21], s[2:3]
	s_cbranch_execz .LBB428_129
; %bb.126:
	v_bfe_u32 v35, v30, 16, 7
	s_movk_i32 s2, 0x7f
	v_cmp_ne_u32_e64 s[2:3], s2, v35
	v_mov_b32_e32 v37, 0x7f800001
	s_and_saveexec_b64 s[22:23], s[2:3]
	s_cbranch_execz .LBB428_128
; %bb.127:
	v_and_b32_e32 v40, 7, v34
	v_ffbh_u32_e32 v36, v40
	v_min_u32_e32 v46, 32, v36
	v_subrev_u32_e32 v36, 28, v46
	v_lshlrev_b64 v[36:37], v36, v[34:35]
	v_and_b32_e32 v36, 7, v36
	v_cmp_gt_u32_e64 s[2:3], 8, v35
	v_lshrrev_b32_e32 v41, 3, v35
	v_sub_u32_e32 v34, 29, v46
	v_cndmask_b32_e64 v35, v40, v36, s[2:3]
	v_mov_b32_e32 v36, 24
	v_cndmask_b32_e64 v34, v41, v34, s[2:3]
	v_lshlrev_b32_sdwa v36, v36, v30 dst_sel:DWORD dst_unused:UNUSED_PAD src0_sel:DWORD src1_sel:WORD_1
	v_bfrev_b32_e32 v37, 60
	v_lshlrev_b32_e32 v35, 20, v35
	v_and_b32_e32 v36, 0x80000000, v36
	v_lshl_add_u32 v34, v34, 23, v37
	v_or3_b32 v37, v36, v34, v35
.LBB428_128:
	s_or_b64 exec, exec, s[22:23]
.LBB428_129:
	s_or_b64 exec, exec, s[20:21]
.LBB428_130:
	s_or_b64 exec, exec, s[8:9]
	s_mov_b32 s2, 0xffffff
	v_cmp_lt_u32_e64 s[2:3], s2, v30
	v_mov_b32_e32 v35, 0
	v_mov_b32_e32 v40, 0
	s_and_saveexec_b64 s[8:9], s[2:3]
	s_cbranch_execz .LBB428_136
; %bb.131:
	v_lshrrev_b32_e32 v34, 24, v30
	s_movk_i32 s2, 0x80
	v_cmp_ne_u32_e64 s[2:3], s2, v34
	v_bfrev_b32_e32 v40, 1
	s_and_saveexec_b64 s[20:21], s[2:3]
	s_cbranch_execz .LBB428_135
; %bb.132:
	v_bfe_u32 v36, v30, 24, 7
	s_movk_i32 s2, 0x7f
	v_cmp_ne_u32_e64 s[2:3], s2, v36
	v_mov_b32_e32 v40, 0x7f800001
	s_and_saveexec_b64 s[22:23], s[2:3]
	s_cbranch_execz .LBB428_134
; %bb.133:
	v_and_b32_e32 v46, 7, v34
	v_ffbh_u32_e32 v40, v46
	v_min_u32_e32 v48, 32, v40
	v_subrev_u32_e32 v40, 28, v48
	v_lshlrev_b64 v[40:41], v40, v[34:35]
	v_lshrrev_b32_e32 v47, 3, v36
	v_sub_u32_e32 v41, 29, v48
	v_and_b32_e32 v40, 7, v40
	v_cmp_gt_u32_e64 s[2:3], 8, v36
	v_cndmask_b32_e64 v36, v47, v41, s[2:3]
	v_cndmask_b32_e64 v40, v46, v40, s[2:3]
	v_lshlrev_b32_e32 v34, 24, v34
	v_bfrev_b32_e32 v41, 60
	v_lshlrev_b32_e32 v40, 20, v40
	v_and_b32_e32 v34, 0x80000000, v34
	v_lshl_add_u32 v36, v36, 23, v41
	v_or3_b32 v40, v34, v36, v40
.LBB428_134:
	s_or_b64 exec, exec, s[22:23]
.LBB428_135:
	s_or_b64 exec, exec, s[20:21]
.LBB428_136:
	s_or_b64 exec, exec, s[8:9]
	v_mov_b32_e32 v34, v31
	v_cmp_ne_u16_sdwa s[2:3], v31, v35 src0_sel:BYTE_0 src1_sel:DWORD
	s_and_saveexec_b64 s[8:9], s[2:3]
	s_cbranch_execz .LBB428_142
; %bb.137:
	s_movk_i32 s2, 0x80
	v_cmp_ne_u16_sdwa s[2:3], v31, s2 src0_sel:BYTE_0 src1_sel:DWORD
	v_bfrev_b32_e32 v36, 1
	s_and_saveexec_b64 s[20:21], s[2:3]
	s_cbranch_execz .LBB428_141
; %bb.138:
	s_movk_i32 s2, 0x7f
	v_and_b32_e32 v41, 0x7f, v31
	v_cmp_ne_u32_e64 s[2:3], s2, v41
	v_mov_b32_e32 v36, 0x7f800001
	s_and_saveexec_b64 s[22:23], s[2:3]
	s_cbranch_execz .LBB428_140
; %bb.139:
	v_and_b32_e32 v36, 7, v31
	v_ffbh_u32_e32 v36, v36
	v_min_u32_e32 v36, 32, v36
	v_subrev_u32_e32 v47, 28, v36
	v_cmp_gt_u32_e64 s[2:3], 8, v41
	v_lshrrev_b32_e32 v46, 3, v41
	v_sub_u32_e32 v36, 29, v36
	v_cndmask_b32_e64 v41, 0, v47, s[2:3]
	v_cndmask_b32_e64 v36, v46, v36, s[2:3]
	v_lshlrev_b64 v[46:47], v41, v[34:35]
	v_lshlrev_b32_e32 v35, 20, v46
	v_lshlrev_b32_e32 v41, 24, v34
	v_bfrev_b32_e32 v46, 60
	v_and_b32_e32 v35, 0x700000, v35
	v_and_b32_e32 v41, 0x80000000, v41
	v_lshl_add_u32 v36, v36, 23, v46
	v_or3_b32 v36, v41, v36, v35
.LBB428_140:
	s_or_b64 exec, exec, s[22:23]
.LBB428_141:
	s_or_b64 exec, exec, s[20:21]
	v_mov_b32_e32 v35, v36
.LBB428_142:
	s_or_b64 exec, exec, s[8:9]
	v_lshrrev_b16_e32 v36, 8, v34
	v_cmp_ne_u16_e64 s[2:3], 0, v36
	v_mov_b32_e32 v41, 0
	v_mov_b32_e32 v46, 0
	s_and_saveexec_b64 s[8:9], s[2:3]
	s_cbranch_execz .LBB428_148
; %bb.143:
	s_movk_i32 s2, 0x80
	v_cmp_ne_u16_e64 s[2:3], s2, v36
	v_bfrev_b32_e32 v46, 1
	s_and_saveexec_b64 s[20:21], s[2:3]
	s_cbranch_execz .LBB428_147
; %bb.144:
	s_movk_i32 s2, 0x7f
	v_and_b32_e32 v47, 0x7f, v36
	v_cmp_ne_u32_e64 s[2:3], s2, v47
	v_mov_b32_e32 v46, 0x7f800001
	s_and_saveexec_b64 s[22:23], s[2:3]
	s_cbranch_execz .LBB428_146
; %bb.145:
	v_and_b32_e32 v46, 7, v36
	v_ffbh_u32_e32 v48, v46
	v_min_u32_e32 v51, 32, v48
	v_subrev_u32_e32 v48, 28, v51
	v_lshlrev_b64 v[48:49], v48, v[36:37]
	v_lshrrev_b32_e32 v50, 3, v47
	v_sub_u32_e32 v36, 29, v51
	v_and_b32_e32 v48, 7, v48
	v_cmp_gt_u32_e64 s[2:3], 8, v47
	v_cndmask_b32_e64 v36, v50, v36, s[2:3]
	v_cndmask_b32_e64 v46, v46, v48, s[2:3]
	v_lshlrev_b32_e32 v34, 16, v34
	v_bfrev_b32_e32 v47, 60
	v_lshlrev_b32_e32 v46, 20, v46
	v_and_b32_e32 v34, 0x80000000, v34
	v_lshl_add_u32 v36, v36, 23, v47
	v_or3_b32 v46, v34, v36, v46
.LBB428_146:
	s_or_b64 exec, exec, s[22:23]
.LBB428_147:
	s_or_b64 exec, exec, s[20:21]
.LBB428_148:
	s_or_b64 exec, exec, s[8:9]
	s_movk_i32 s2, 0xff
	v_and_b32_sdwa v36, v31, s2 dst_sel:DWORD dst_unused:UNUSED_PAD src0_sel:WORD_1 src1_sel:DWORD
	v_lshrrev_b32_e32 v34, 16, v31
	v_cmp_ne_u16_e64 s[2:3], 0, v36
	s_and_saveexec_b64 s[8:9], s[2:3]
	s_cbranch_execz .LBB428_154
; %bb.149:
	s_movk_i32 s2, 0x80
	v_cmp_ne_u16_e64 s[2:3], s2, v36
	v_bfrev_b32_e32 v41, 1
	s_and_saveexec_b64 s[20:21], s[2:3]
	s_cbranch_execz .LBB428_153
; %bb.150:
	v_bfe_u32 v36, v31, 16, 7
	s_movk_i32 s2, 0x7f
	v_cmp_ne_u32_e64 s[2:3], s2, v36
	v_mov_b32_e32 v41, 0x7f800001
	s_and_saveexec_b64 s[22:23], s[2:3]
	s_cbranch_execz .LBB428_152
; %bb.151:
	v_and_b32_e32 v41, 7, v34
	v_ffbh_u32_e32 v48, v41
	v_min_u32_e32 v50, 32, v48
	v_subrev_u32_e32 v48, 28, v50
	v_lshlrev_b64 v[48:49], v48, v[34:35]
	v_and_b32_e32 v48, 7, v48
	v_cmp_gt_u32_e64 s[2:3], 8, v36
	v_lshrrev_b32_e32 v47, 3, v36
	v_sub_u32_e32 v34, 29, v50
	v_cndmask_b32_e64 v36, v41, v48, s[2:3]
	v_mov_b32_e32 v41, 24
	v_cndmask_b32_e64 v34, v47, v34, s[2:3]
	v_lshlrev_b32_sdwa v41, v41, v31 dst_sel:DWORD dst_unused:UNUSED_PAD src0_sel:DWORD src1_sel:WORD_1
	v_bfrev_b32_e32 v47, 60
	v_lshlrev_b32_e32 v36, 20, v36
	v_and_b32_e32 v41, 0x80000000, v41
	v_lshl_add_u32 v34, v34, 23, v47
	v_or3_b32 v41, v41, v34, v36
.LBB428_152:
	s_or_b64 exec, exec, s[22:23]
.LBB428_153:
	s_or_b64 exec, exec, s[20:21]
.LBB428_154:
	s_or_b64 exec, exec, s[8:9]
	s_mov_b32 s2, -1
	s_mov_b32 s3, 0xffffff
	v_cmp_lt_u64_e64 s[2:3], s[2:3], v[30:31]
	v_mov_b32_e32 v36, 0
	v_mov_b32_e32 v34, 0
	s_and_saveexec_b64 s[8:9], s[2:3]
	s_cbranch_execz .LBB428_160
; %bb.155:
	v_lshrrev_b32_e32 v30, 24, v31
	s_movk_i32 s2, 0x80
	v_cmp_ne_u32_e64 s[2:3], s2, v30
	v_bfrev_b32_e32 v34, 1
	s_and_saveexec_b64 s[20:21], s[2:3]
	s_cbranch_execz .LBB428_159
; %bb.156:
	v_bfe_u32 v31, v31, 24, 7
	s_movk_i32 s2, 0x7f
	v_cmp_ne_u32_e64 s[2:3], s2, v31
	v_mov_b32_e32 v34, 0x7f800001
	s_and_saveexec_b64 s[22:23], s[2:3]
	s_cbranch_execz .LBB428_158
; %bb.157:
	v_and_b32_e32 v34, 7, v30
	v_ffbh_u32_e32 v48, v34
	v_min_u32_e32 v50, 32, v48
	v_subrev_u32_e32 v48, 28, v50
	v_lshlrev_b64 v[48:49], v48, v[30:31]
	v_lshrrev_b32_e32 v47, 3, v31
	v_sub_u32_e32 v49, 29, v50
	v_and_b32_e32 v48, 7, v48
	v_cmp_gt_u32_e64 s[2:3], 8, v31
	v_cndmask_b32_e64 v31, v47, v49, s[2:3]
	v_cndmask_b32_e64 v34, v34, v48, s[2:3]
	v_lshlrev_b32_e32 v30, 24, v30
	v_bfrev_b32_e32 v47, 60
	v_lshlrev_b32_e32 v34, 20, v34
	v_and_b32_e32 v30, 0x80000000, v30
	v_lshl_add_u32 v31, v31, 23, v47
	v_or3_b32 v34, v30, v31, v34
.LBB428_158:
	s_or_b64 exec, exec, s[22:23]
.LBB428_159:
	s_or_b64 exec, exec, s[20:21]
.LBB428_160:
	s_or_b64 exec, exec, s[8:9]
	v_cvt_pkrtz_f16_f32 v30, v38, v39
	v_cvt_pkrtz_f16_f32 v31, v37, v40
	v_cvt_pkrtz_f16_f32 v38, v35, v46
	v_cvt_pkrtz_f16_f32 v39, v41, v34
	v_mfma_f32_4x4x4f16 a[0:3], v[18:19], v[30:31], a[0:3] cbsz:4 abid:2
	v_cmp_ne_u16_sdwa s[2:3], v32, v36 src0_sel:BYTE_0 src1_sel:DWORD
	v_mfma_f32_4x4x4f16 a[0:3], v[20:21], v[38:39], a[0:3] cbsz:4 abid:2
	s_and_saveexec_b64 s[8:9], s[2:3]
	s_cbranch_execz .LBB428_166
; %bb.161:
	s_movk_i32 s2, 0x80
	v_cmp_ne_u16_sdwa s[2:3], v32, s2 src0_sel:BYTE_0 src1_sel:DWORD
	v_bfrev_b32_e32 v36, 1
	s_and_saveexec_b64 s[20:21], s[2:3]
	s_cbranch_execz .LBB428_165
; %bb.162:
	s_movk_i32 s2, 0x7f
	v_and_b32_e32 v30, 0x7f, v32
	v_cmp_ne_u32_e64 s[2:3], s2, v30
	v_mov_b32_e32 v36, 0x7f800001
	s_and_saveexec_b64 s[22:23], s[2:3]
	s_cbranch_execz .LBB428_164
; %bb.163:
	v_and_b32_e32 v31, 7, v32
	v_ffbh_u32_e32 v31, v31
	v_min_u32_e32 v31, 32, v31
	v_subrev_u32_e32 v35, 28, v31
	v_cmp_gt_u32_e64 s[2:3], 8, v30
	v_lshrrev_b32_e32 v34, 3, v30
	v_sub_u32_e32 v31, 29, v31
	v_cndmask_b32_e64 v30, 0, v35, s[2:3]
	v_cndmask_b32_e64 v34, v34, v31, s[2:3]
	v_lshlrev_b64 v[30:31], v30, v[32:33]
	v_lshlrev_b32_e32 v30, 20, v30
	v_lshlrev_b32_e32 v31, 24, v32
	v_bfrev_b32_e32 v35, 60
	v_and_b32_e32 v30, 0x700000, v30
	v_and_b32_e32 v31, 0x80000000, v31
	v_lshl_add_u32 v34, v34, 23, v35
	v_or3_b32 v36, v31, v34, v30
.LBB428_164:
	s_or_b64 exec, exec, s[22:23]
.LBB428_165:
	s_or_b64 exec, exec, s[20:21]
.LBB428_166:
	s_or_b64 exec, exec, s[8:9]
	v_lshrrev_b16_e32 v30, 8, v32
	v_cmp_ne_u16_e64 s[2:3], 0, v30
	v_mov_b32_e32 v35, 0
	v_mov_b32_e32 v37, 0
	s_and_saveexec_b64 s[8:9], s[2:3]
	s_cbranch_execz .LBB428_172
; %bb.167:
	s_movk_i32 s2, 0x80
	v_cmp_ne_u16_e64 s[2:3], s2, v30
	v_bfrev_b32_e32 v37, 1
	s_and_saveexec_b64 s[20:21], s[2:3]
	s_cbranch_execz .LBB428_171
; %bb.168:
	s_movk_i32 s2, 0x7f
	v_and_b32_e32 v31, 0x7f, v30
	v_cmp_ne_u32_e64 s[2:3], s2, v31
	v_mov_b32_e32 v37, 0x7f800001
	s_and_saveexec_b64 s[22:23], s[2:3]
	s_cbranch_execz .LBB428_170
; %bb.169:
	v_and_b32_e32 v34, 7, v30
	v_ffbh_u32_e32 v38, v34
	v_min_u32_e32 v40, 32, v38
	v_subrev_u32_e32 v38, 28, v40
	v_lshlrev_b64 v[38:39], v38, v[30:31]
	v_lshrrev_b32_e32 v37, 3, v31
	v_sub_u32_e32 v30, 29, v40
	v_and_b32_e32 v38, 7, v38
	v_cmp_gt_u32_e64 s[2:3], 8, v31
	v_cndmask_b32_e64 v30, v37, v30, s[2:3]
	v_cndmask_b32_e64 v31, v34, v38, s[2:3]
	v_lshlrev_b32_e32 v34, 16, v32
	v_bfrev_b32_e32 v37, 60
	v_lshlrev_b32_e32 v31, 20, v31
	v_and_b32_e32 v34, 0x80000000, v34
	v_lshl_add_u32 v30, v30, 23, v37
	v_or3_b32 v37, v34, v30, v31
.LBB428_170:
	s_or_b64 exec, exec, s[22:23]
.LBB428_171:
	s_or_b64 exec, exec, s[20:21]
.LBB428_172:
	s_or_b64 exec, exec, s[8:9]
	s_movk_i32 s2, 0xff
	v_and_b32_sdwa v31, v32, s2 dst_sel:DWORD dst_unused:UNUSED_PAD src0_sel:WORD_1 src1_sel:DWORD
	v_lshrrev_b32_e32 v30, 16, v32
	v_cmp_ne_u16_e64 s[2:3], 0, v31
	s_and_saveexec_b64 s[8:9], s[2:3]
	s_cbranch_execz .LBB428_178
; %bb.173:
	s_movk_i32 s2, 0x80
	v_cmp_ne_u16_e64 s[2:3], s2, v31
	v_bfrev_b32_e32 v35, 1
	s_and_saveexec_b64 s[20:21], s[2:3]
	s_cbranch_execz .LBB428_177
; %bb.174:
	v_bfe_u32 v31, v32, 16, 7
	s_movk_i32 s2, 0x7f
	v_cmp_ne_u32_e64 s[2:3], s2, v31
	v_mov_b32_e32 v35, 0x7f800001
	s_and_saveexec_b64 s[22:23], s[2:3]
	s_cbranch_execz .LBB428_176
; %bb.175:
	v_and_b32_e32 v38, 7, v30
	v_ffbh_u32_e32 v34, v38
	v_min_u32_e32 v40, 32, v34
	v_subrev_u32_e32 v34, 28, v40
	v_lshlrev_b64 v[34:35], v34, v[30:31]
	v_and_b32_e32 v34, 7, v34
	v_cmp_gt_u32_e64 s[2:3], 8, v31
	v_lshrrev_b32_e32 v39, 3, v31
	v_sub_u32_e32 v30, 29, v40
	v_cndmask_b32_e64 v31, v38, v34, s[2:3]
	v_mov_b32_e32 v34, 24
	v_cndmask_b32_e64 v30, v39, v30, s[2:3]
	v_lshlrev_b32_sdwa v34, v34, v32 dst_sel:DWORD dst_unused:UNUSED_PAD src0_sel:DWORD src1_sel:WORD_1
	v_bfrev_b32_e32 v35, 60
	v_lshlrev_b32_e32 v31, 20, v31
	v_and_b32_e32 v34, 0x80000000, v34
	v_lshl_add_u32 v30, v30, 23, v35
	v_or3_b32 v35, v34, v30, v31
.LBB428_176:
	s_or_b64 exec, exec, s[22:23]
.LBB428_177:
	s_or_b64 exec, exec, s[20:21]
.LBB428_178:
	s_or_b64 exec, exec, s[8:9]
	s_mov_b32 s2, 0xffffff
	v_cmp_lt_u32_e64 s[2:3], s2, v32
	v_mov_b32_e32 v31, 0
	v_mov_b32_e32 v38, 0
	s_and_saveexec_b64 s[8:9], s[2:3]
	s_cbranch_execz .LBB428_184
; %bb.179:
	v_lshrrev_b32_e32 v30, 24, v32
	s_movk_i32 s2, 0x80
	v_cmp_ne_u32_e64 s[2:3], s2, v30
	v_bfrev_b32_e32 v38, 1
	s_and_saveexec_b64 s[20:21], s[2:3]
	s_cbranch_execz .LBB428_183
; %bb.180:
	v_bfe_u32 v34, v32, 24, 7
	s_movk_i32 s2, 0x7f
	v_cmp_ne_u32_e64 s[2:3], s2, v34
	v_mov_b32_e32 v38, 0x7f800001
	s_and_saveexec_b64 s[22:23], s[2:3]
	s_cbranch_execz .LBB428_182
; %bb.181:
	v_and_b32_e32 v40, 7, v30
	v_ffbh_u32_e32 v38, v40
	v_min_u32_e32 v46, 32, v38
	v_subrev_u32_e32 v38, 28, v46
	v_lshlrev_b64 v[38:39], v38, v[30:31]
	v_lshrrev_b32_e32 v41, 3, v34
	v_sub_u32_e32 v39, 29, v46
	v_and_b32_e32 v38, 7, v38
	v_cmp_gt_u32_e64 s[2:3], 8, v34
	v_cndmask_b32_e64 v34, v41, v39, s[2:3]
	v_cndmask_b32_e64 v38, v40, v38, s[2:3]
	v_lshlrev_b32_e32 v30, 24, v30
	v_bfrev_b32_e32 v39, 60
	v_lshlrev_b32_e32 v38, 20, v38
	v_and_b32_e32 v30, 0x80000000, v30
	v_lshl_add_u32 v34, v34, 23, v39
	v_or3_b32 v38, v30, v34, v38
.LBB428_182:
	s_or_b64 exec, exec, s[22:23]
.LBB428_183:
	s_or_b64 exec, exec, s[20:21]
.LBB428_184:
	s_or_b64 exec, exec, s[8:9]
	v_mov_b32_e32 v30, v33
	v_cmp_ne_u16_sdwa s[2:3], v33, v31 src0_sel:BYTE_0 src1_sel:DWORD
	s_and_saveexec_b64 s[8:9], s[2:3]
	s_cbranch_execz .LBB428_190
; %bb.185:
	s_movk_i32 s2, 0x80
	v_cmp_ne_u16_sdwa s[2:3], v33, s2 src0_sel:BYTE_0 src1_sel:DWORD
	v_bfrev_b32_e32 v34, 1
	s_and_saveexec_b64 s[20:21], s[2:3]
	s_cbranch_execz .LBB428_189
; %bb.186:
	s_movk_i32 s2, 0x7f
	v_and_b32_e32 v39, 0x7f, v33
	v_cmp_ne_u32_e64 s[2:3], s2, v39
	v_mov_b32_e32 v34, 0x7f800001
	s_and_saveexec_b64 s[22:23], s[2:3]
	s_cbranch_execz .LBB428_188
; %bb.187:
	v_and_b32_e32 v34, 7, v33
	v_ffbh_u32_e32 v34, v34
	v_min_u32_e32 v34, 32, v34
	v_subrev_u32_e32 v41, 28, v34
	v_cmp_gt_u32_e64 s[2:3], 8, v39
	v_lshrrev_b32_e32 v40, 3, v39
	v_sub_u32_e32 v34, 29, v34
	v_cndmask_b32_e64 v39, 0, v41, s[2:3]
	v_cndmask_b32_e64 v34, v40, v34, s[2:3]
	v_lshlrev_b64 v[40:41], v39, v[30:31]
	v_lshlrev_b32_e32 v31, 20, v40
	v_lshlrev_b32_e32 v39, 24, v30
	v_bfrev_b32_e32 v40, 60
	v_and_b32_e32 v31, 0x700000, v31
	v_and_b32_e32 v39, 0x80000000, v39
	v_lshl_add_u32 v34, v34, 23, v40
	v_or3_b32 v34, v39, v34, v31
.LBB428_188:
	s_or_b64 exec, exec, s[22:23]
.LBB428_189:
	s_or_b64 exec, exec, s[20:21]
	v_mov_b32_e32 v31, v34
.LBB428_190:
	s_or_b64 exec, exec, s[8:9]
	v_lshrrev_b16_e32 v34, 8, v30
	v_cmp_ne_u16_e64 s[2:3], 0, v34
	v_mov_b32_e32 v39, 0
	v_mov_b32_e32 v40, 0
	s_and_saveexec_b64 s[8:9], s[2:3]
	s_cbranch_execz .LBB428_196
; %bb.191:
	s_movk_i32 s2, 0x80
	v_cmp_ne_u16_e64 s[2:3], s2, v34
	v_bfrev_b32_e32 v40, 1
	s_and_saveexec_b64 s[20:21], s[2:3]
	s_cbranch_execz .LBB428_195
; %bb.192:
	s_movk_i32 s2, 0x7f
	v_and_b32_e32 v41, 0x7f, v34
	v_cmp_ne_u32_e64 s[2:3], s2, v41
	v_mov_b32_e32 v40, 0x7f800001
	s_and_saveexec_b64 s[22:23], s[2:3]
	s_cbranch_execz .LBB428_194
; %bb.193:
	v_and_b32_e32 v40, 7, v34
	v_ffbh_u32_e32 v46, v40
	v_min_u32_e32 v49, 32, v46
	v_subrev_u32_e32 v46, 28, v49
	v_lshlrev_b64 v[46:47], v46, v[34:35]
	v_lshrrev_b32_e32 v48, 3, v41
	v_sub_u32_e32 v34, 29, v49
	v_and_b32_e32 v46, 7, v46
	v_cmp_gt_u32_e64 s[2:3], 8, v41
	v_cndmask_b32_e64 v34, v48, v34, s[2:3]
	v_cndmask_b32_e64 v40, v40, v46, s[2:3]
	v_lshlrev_b32_e32 v30, 16, v30
	v_bfrev_b32_e32 v41, 60
	v_lshlrev_b32_e32 v40, 20, v40
	v_and_b32_e32 v30, 0x80000000, v30
	v_lshl_add_u32 v34, v34, 23, v41
	v_or3_b32 v40, v30, v34, v40
.LBB428_194:
	s_or_b64 exec, exec, s[22:23]
.LBB428_195:
	s_or_b64 exec, exec, s[20:21]
.LBB428_196:
	s_or_b64 exec, exec, s[8:9]
	s_movk_i32 s2, 0xff
	v_and_b32_sdwa v34, v33, s2 dst_sel:DWORD dst_unused:UNUSED_PAD src0_sel:WORD_1 src1_sel:DWORD
	v_lshrrev_b32_e32 v30, 16, v33
	v_cmp_ne_u16_e64 s[2:3], 0, v34
	s_and_saveexec_b64 s[8:9], s[2:3]
	s_cbranch_execz .LBB428_202
; %bb.197:
	s_movk_i32 s2, 0x80
	v_cmp_ne_u16_e64 s[2:3], s2, v34
	v_bfrev_b32_e32 v39, 1
	s_and_saveexec_b64 s[20:21], s[2:3]
	s_cbranch_execz .LBB428_201
; %bb.198:
	v_bfe_u32 v34, v33, 16, 7
	s_movk_i32 s2, 0x7f
	v_cmp_ne_u32_e64 s[2:3], s2, v34
	v_mov_b32_e32 v39, 0x7f800001
	s_and_saveexec_b64 s[22:23], s[2:3]
	s_cbranch_execz .LBB428_200
; %bb.199:
	v_and_b32_e32 v39, 7, v30
	v_ffbh_u32_e32 v46, v39
	v_min_u32_e32 v48, 32, v46
	v_subrev_u32_e32 v46, 28, v48
	v_lshlrev_b64 v[46:47], v46, v[30:31]
	v_and_b32_e32 v46, 7, v46
	v_cmp_gt_u32_e64 s[2:3], 8, v34
	v_lshrrev_b32_e32 v41, 3, v34
	v_sub_u32_e32 v30, 29, v48
	v_cndmask_b32_e64 v34, v39, v46, s[2:3]
	v_mov_b32_e32 v39, 24
	v_cndmask_b32_e64 v30, v41, v30, s[2:3]
	v_lshlrev_b32_sdwa v39, v39, v33 dst_sel:DWORD dst_unused:UNUSED_PAD src0_sel:DWORD src1_sel:WORD_1
	v_bfrev_b32_e32 v41, 60
	v_lshlrev_b32_e32 v34, 20, v34
	v_and_b32_e32 v39, 0x80000000, v39
	v_lshl_add_u32 v30, v30, 23, v41
	v_or3_b32 v39, v39, v30, v34
.LBB428_200:
	s_or_b64 exec, exec, s[22:23]
.LBB428_201:
	s_or_b64 exec, exec, s[20:21]
.LBB428_202:
	s_or_b64 exec, exec, s[8:9]
	s_mov_b32 s2, -1
	s_mov_b32 s3, 0xffffff
	v_cmp_lt_u64_e64 s[2:3], s[2:3], v[32:33]
	v_mov_b32_e32 v34, 0
	v_mov_b32_e32 v32, 0
	s_and_saveexec_b64 s[8:9], s[2:3]
	s_cbranch_execz .LBB428_208
; %bb.203:
	v_lshrrev_b32_e32 v30, 24, v33
	s_movk_i32 s2, 0x80
	v_cmp_ne_u32_e64 s[2:3], s2, v30
	v_bfrev_b32_e32 v32, 1
	s_and_saveexec_b64 s[20:21], s[2:3]
	s_cbranch_execz .LBB428_207
; %bb.204:
	v_bfe_u32 v33, v33, 24, 7
	s_movk_i32 s2, 0x7f
	v_cmp_ne_u32_e64 s[2:3], s2, v33
	v_mov_b32_e32 v32, 0x7f800001
	s_and_saveexec_b64 s[22:23], s[2:3]
	s_cbranch_execz .LBB428_206
; %bb.205:
	v_and_b32_e32 v32, 7, v30
	v_ffbh_u32_e32 v46, v32
	v_min_u32_e32 v48, 32, v46
	v_subrev_u32_e32 v46, 28, v48
	v_lshlrev_b64 v[46:47], v46, v[30:31]
	v_lshrrev_b32_e32 v41, 3, v33
	v_sub_u32_e32 v47, 29, v48
	v_and_b32_e32 v46, 7, v46
	v_cmp_gt_u32_e64 s[2:3], 8, v33
	v_cndmask_b32_e64 v33, v41, v47, s[2:3]
	v_cndmask_b32_e64 v32, v32, v46, s[2:3]
	v_lshlrev_b32_e32 v30, 24, v30
	v_bfrev_b32_e32 v41, 60
	v_lshlrev_b32_e32 v32, 20, v32
	v_and_b32_e32 v30, 0x80000000, v30
	v_lshl_add_u32 v33, v33, 23, v41
	v_or3_b32 v32, v30, v33, v32
.LBB428_206:
	s_or_b64 exec, exec, s[22:23]
.LBB428_207:
	s_or_b64 exec, exec, s[20:21]
.LBB428_208:
	s_or_b64 exec, exec, s[8:9]
	v_cvt_pkrtz_f16_f32 v36, v36, v37
	v_cvt_pkrtz_f16_f32 v37, v35, v38
	;; [unrolled: 1-line block ×4, first 2 shown]
	v_mfma_f32_4x4x4f16 a[0:3], v[18:19], v[36:37], a[0:3] cbsz:4 abid:3
	s_waitcnt vmcnt(5)
	v_cmp_ne_u16_sdwa s[2:3], v26, v34 src0_sel:BYTE_0 src1_sel:DWORD
	v_mfma_f32_4x4x4f16 a[0:3], v[20:21], v[30:31], a[0:3] cbsz:4 abid:3
	s_and_saveexec_b64 s[8:9], s[2:3]
	s_cbranch_execz .LBB428_214
; %bb.209:
	s_movk_i32 s2, 0x80
	v_cmp_ne_u16_sdwa s[2:3], v26, s2 src0_sel:BYTE_0 src1_sel:DWORD
	v_bfrev_b32_e32 v34, 1
	s_and_saveexec_b64 s[20:21], s[2:3]
	s_cbranch_execz .LBB428_213
; %bb.210:
	s_movk_i32 s2, 0x7f
	v_and_b32_e32 v30, 0x7f, v26
	v_cmp_ne_u32_e64 s[2:3], s2, v30
	v_mov_b32_e32 v34, 0x7f800001
	s_and_saveexec_b64 s[22:23], s[2:3]
	s_cbranch_execz .LBB428_212
; %bb.211:
	v_and_b32_e32 v31, 7, v26
	v_ffbh_u32_e32 v31, v31
	v_min_u32_e32 v31, 32, v31
	v_subrev_u32_e32 v33, 28, v31
	v_cmp_gt_u32_e64 s[2:3], 8, v30
	v_lshrrev_b32_e32 v32, 3, v30
	v_sub_u32_e32 v31, 29, v31
	v_cndmask_b32_e64 v30, 0, v33, s[2:3]
	v_cndmask_b32_e64 v32, v32, v31, s[2:3]
	v_lshlrev_b64 v[30:31], v30, v[26:27]
	v_lshlrev_b32_e32 v30, 20, v30
	v_lshlrev_b32_e32 v31, 24, v26
	v_bfrev_b32_e32 v33, 60
	v_and_b32_e32 v30, 0x700000, v30
	v_and_b32_e32 v31, 0x80000000, v31
	v_lshl_add_u32 v32, v32, 23, v33
	v_or3_b32 v34, v31, v32, v30
.LBB428_212:
	s_or_b64 exec, exec, s[22:23]
.LBB428_213:
	s_or_b64 exec, exec, s[20:21]
.LBB428_214:
	s_or_b64 exec, exec, s[8:9]
	v_lshrrev_b16_e32 v30, 8, v26
	v_cmp_ne_u16_e64 s[2:3], 0, v30
	v_mov_b32_e32 v33, 0
	v_mov_b32_e32 v35, 0
	s_and_saveexec_b64 s[8:9], s[2:3]
	s_cbranch_execz .LBB428_220
; %bb.215:
	s_movk_i32 s2, 0x80
	v_cmp_ne_u16_e64 s[2:3], s2, v30
	v_bfrev_b32_e32 v35, 1
	s_and_saveexec_b64 s[20:21], s[2:3]
	s_cbranch_execz .LBB428_219
; %bb.216:
	s_movk_i32 s2, 0x7f
	v_and_b32_e32 v31, 0x7f, v30
	v_cmp_ne_u32_e64 s[2:3], s2, v31
	v_mov_b32_e32 v35, 0x7f800001
	s_and_saveexec_b64 s[22:23], s[2:3]
	s_cbranch_execz .LBB428_218
; %bb.217:
	v_and_b32_e32 v32, 7, v30
	v_ffbh_u32_e32 v36, v32
	v_min_u32_e32 v38, 32, v36
	v_subrev_u32_e32 v36, 28, v38
	v_lshlrev_b64 v[36:37], v36, v[30:31]
	v_lshrrev_b32_e32 v35, 3, v31
	v_sub_u32_e32 v30, 29, v38
	v_and_b32_e32 v36, 7, v36
	v_cmp_gt_u32_e64 s[2:3], 8, v31
	v_cndmask_b32_e64 v30, v35, v30, s[2:3]
	v_cndmask_b32_e64 v31, v32, v36, s[2:3]
	v_lshlrev_b32_e32 v32, 16, v26
	v_bfrev_b32_e32 v35, 60
	v_lshlrev_b32_e32 v31, 20, v31
	v_and_b32_e32 v32, 0x80000000, v32
	v_lshl_add_u32 v30, v30, 23, v35
	v_or3_b32 v35, v32, v30, v31
.LBB428_218:
	s_or_b64 exec, exec, s[22:23]
.LBB428_219:
	s_or_b64 exec, exec, s[20:21]
.LBB428_220:
	s_or_b64 exec, exec, s[8:9]
	s_movk_i32 s2, 0xff
	v_and_b32_sdwa v31, v26, s2 dst_sel:DWORD dst_unused:UNUSED_PAD src0_sel:WORD_1 src1_sel:DWORD
	v_lshrrev_b32_e32 v30, 16, v26
	v_cmp_ne_u16_e64 s[2:3], 0, v31
	s_and_saveexec_b64 s[8:9], s[2:3]
	s_cbranch_execz .LBB428_226
; %bb.221:
	s_movk_i32 s2, 0x80
	v_cmp_ne_u16_e64 s[2:3], s2, v31
	v_bfrev_b32_e32 v33, 1
	s_and_saveexec_b64 s[20:21], s[2:3]
	s_cbranch_execz .LBB428_225
; %bb.222:
	v_bfe_u32 v31, v26, 16, 7
	s_movk_i32 s2, 0x7f
	v_cmp_ne_u32_e64 s[2:3], s2, v31
	v_mov_b32_e32 v33, 0x7f800001
	s_and_saveexec_b64 s[22:23], s[2:3]
	s_cbranch_execz .LBB428_224
; %bb.223:
	v_and_b32_e32 v36, 7, v30
	v_ffbh_u32_e32 v32, v36
	v_min_u32_e32 v38, 32, v32
	v_subrev_u32_e32 v32, 28, v38
	v_lshlrev_b64 v[32:33], v32, v[30:31]
	v_and_b32_e32 v32, 7, v32
	v_cmp_gt_u32_e64 s[2:3], 8, v31
	v_lshrrev_b32_e32 v37, 3, v31
	v_sub_u32_e32 v30, 29, v38
	v_cndmask_b32_e64 v31, v36, v32, s[2:3]
	v_mov_b32_e32 v32, 24
	v_cndmask_b32_e64 v30, v37, v30, s[2:3]
	v_lshlrev_b32_sdwa v32, v32, v26 dst_sel:DWORD dst_unused:UNUSED_PAD src0_sel:DWORD src1_sel:WORD_1
	v_bfrev_b32_e32 v33, 60
	v_lshlrev_b32_e32 v31, 20, v31
	v_and_b32_e32 v32, 0x80000000, v32
	v_lshl_add_u32 v30, v30, 23, v33
	v_or3_b32 v33, v32, v30, v31
.LBB428_224:
	s_or_b64 exec, exec, s[22:23]
.LBB428_225:
	s_or_b64 exec, exec, s[20:21]
.LBB428_226:
	s_or_b64 exec, exec, s[8:9]
	s_mov_b32 s2, 0xffffff
	v_cmp_lt_u32_e64 s[2:3], s2, v26
	v_mov_b32_e32 v31, 0
	v_mov_b32_e32 v36, 0
	s_and_saveexec_b64 s[8:9], s[2:3]
	s_cbranch_execz .LBB428_232
; %bb.227:
	v_lshrrev_b32_e32 v30, 24, v26
	s_movk_i32 s2, 0x80
	v_cmp_ne_u32_e64 s[2:3], s2, v30
	v_bfrev_b32_e32 v36, 1
	s_and_saveexec_b64 s[20:21], s[2:3]
	s_cbranch_execz .LBB428_231
; %bb.228:
	v_bfe_u32 v32, v26, 24, 7
	s_movk_i32 s2, 0x7f
	v_cmp_ne_u32_e64 s[2:3], s2, v32
	v_mov_b32_e32 v36, 0x7f800001
	s_and_saveexec_b64 s[22:23], s[2:3]
	s_cbranch_execz .LBB428_230
; %bb.229:
	v_and_b32_e32 v38, 7, v30
	v_ffbh_u32_e32 v36, v38
	v_min_u32_e32 v40, 32, v36
	v_subrev_u32_e32 v36, 28, v40
	v_lshlrev_b64 v[36:37], v36, v[30:31]
	v_lshrrev_b32_e32 v39, 3, v32
	v_sub_u32_e32 v37, 29, v40
	v_and_b32_e32 v36, 7, v36
	v_cmp_gt_u32_e64 s[2:3], 8, v32
	v_cndmask_b32_e64 v32, v39, v37, s[2:3]
	v_cndmask_b32_e64 v36, v38, v36, s[2:3]
	v_lshlrev_b32_e32 v30, 24, v30
	v_bfrev_b32_e32 v37, 60
	v_lshlrev_b32_e32 v36, 20, v36
	v_and_b32_e32 v30, 0x80000000, v30
	v_lshl_add_u32 v32, v32, 23, v37
	v_or3_b32 v36, v30, v32, v36
.LBB428_230:
	s_or_b64 exec, exec, s[22:23]
.LBB428_231:
	s_or_b64 exec, exec, s[20:21]
.LBB428_232:
	s_or_b64 exec, exec, s[8:9]
	v_mov_b32_e32 v30, v27
	v_cmp_ne_u16_sdwa s[2:3], v27, v31 src0_sel:BYTE_0 src1_sel:DWORD
	s_and_saveexec_b64 s[8:9], s[2:3]
	s_cbranch_execz .LBB428_238
; %bb.233:
	s_movk_i32 s2, 0x80
	v_cmp_ne_u16_sdwa s[2:3], v27, s2 src0_sel:BYTE_0 src1_sel:DWORD
	v_bfrev_b32_e32 v32, 1
	s_and_saveexec_b64 s[20:21], s[2:3]
	s_cbranch_execz .LBB428_237
; %bb.234:
	s_movk_i32 s2, 0x7f
	v_and_b32_e32 v37, 0x7f, v27
	v_cmp_ne_u32_e64 s[2:3], s2, v37
	v_mov_b32_e32 v32, 0x7f800001
	s_and_saveexec_b64 s[22:23], s[2:3]
	s_cbranch_execz .LBB428_236
; %bb.235:
	v_and_b32_e32 v32, 7, v27
	v_ffbh_u32_e32 v32, v32
	v_min_u32_e32 v32, 32, v32
	v_subrev_u32_e32 v39, 28, v32
	v_cmp_gt_u32_e64 s[2:3], 8, v37
	v_lshrrev_b32_e32 v38, 3, v37
	v_sub_u32_e32 v32, 29, v32
	v_cndmask_b32_e64 v37, 0, v39, s[2:3]
	v_cndmask_b32_e64 v32, v38, v32, s[2:3]
	v_lshlrev_b64 v[38:39], v37, v[30:31]
	v_lshlrev_b32_e32 v31, 20, v38
	v_lshlrev_b32_e32 v37, 24, v30
	v_bfrev_b32_e32 v38, 60
	v_and_b32_e32 v31, 0x700000, v31
	v_and_b32_e32 v37, 0x80000000, v37
	v_lshl_add_u32 v32, v32, 23, v38
	v_or3_b32 v32, v37, v32, v31
.LBB428_236:
	s_or_b64 exec, exec, s[22:23]
.LBB428_237:
	s_or_b64 exec, exec, s[20:21]
	v_mov_b32_e32 v31, v32
.LBB428_238:
	s_or_b64 exec, exec, s[8:9]
	v_lshrrev_b16_e32 v32, 8, v30
	v_cmp_ne_u16_e64 s[2:3], 0, v32
	v_mov_b32_e32 v37, 0
	v_mov_b32_e32 v38, 0
	s_and_saveexec_b64 s[8:9], s[2:3]
	s_cbranch_execz .LBB428_244
; %bb.239:
	s_movk_i32 s2, 0x80
	v_cmp_ne_u16_e64 s[2:3], s2, v32
	v_bfrev_b32_e32 v38, 1
	s_and_saveexec_b64 s[20:21], s[2:3]
	s_cbranch_execz .LBB428_243
; %bb.240:
	s_movk_i32 s2, 0x7f
	v_and_b32_e32 v39, 0x7f, v32
	v_cmp_ne_u32_e64 s[2:3], s2, v39
	v_mov_b32_e32 v38, 0x7f800001
	s_and_saveexec_b64 s[22:23], s[2:3]
	s_cbranch_execz .LBB428_242
; %bb.241:
	v_and_b32_e32 v38, 7, v32
	v_ffbh_u32_e32 v40, v38
	v_min_u32_e32 v47, 32, v40
	v_subrev_u32_e32 v40, 28, v47
	v_lshlrev_b64 v[40:41], v40, v[32:33]
	v_lshrrev_b32_e32 v46, 3, v39
	v_sub_u32_e32 v32, 29, v47
	v_and_b32_e32 v40, 7, v40
	v_cmp_gt_u32_e64 s[2:3], 8, v39
	v_cndmask_b32_e64 v32, v46, v32, s[2:3]
	v_cndmask_b32_e64 v38, v38, v40, s[2:3]
	v_lshlrev_b32_e32 v30, 16, v30
	v_bfrev_b32_e32 v39, 60
	v_lshlrev_b32_e32 v38, 20, v38
	v_and_b32_e32 v30, 0x80000000, v30
	v_lshl_add_u32 v32, v32, 23, v39
	v_or3_b32 v38, v30, v32, v38
.LBB428_242:
	s_or_b64 exec, exec, s[22:23]
.LBB428_243:
	s_or_b64 exec, exec, s[20:21]
.LBB428_244:
	s_or_b64 exec, exec, s[8:9]
	s_movk_i32 s2, 0xff
	v_and_b32_sdwa v32, v27, s2 dst_sel:DWORD dst_unused:UNUSED_PAD src0_sel:WORD_1 src1_sel:DWORD
	v_lshrrev_b32_e32 v30, 16, v27
	v_cmp_ne_u16_e64 s[2:3], 0, v32
	s_and_saveexec_b64 s[8:9], s[2:3]
	s_cbranch_execz .LBB428_250
; %bb.245:
	s_movk_i32 s2, 0x80
	v_cmp_ne_u16_e64 s[2:3], s2, v32
	v_bfrev_b32_e32 v37, 1
	s_and_saveexec_b64 s[20:21], s[2:3]
	s_cbranch_execz .LBB428_249
; %bb.246:
	v_bfe_u32 v32, v27, 16, 7
	s_movk_i32 s2, 0x7f
	v_cmp_ne_u32_e64 s[2:3], s2, v32
	v_mov_b32_e32 v37, 0x7f800001
	s_and_saveexec_b64 s[22:23], s[2:3]
	s_cbranch_execz .LBB428_248
; %bb.247:
	v_and_b32_e32 v37, 7, v30
	v_ffbh_u32_e32 v40, v37
	v_min_u32_e32 v46, 32, v40
	v_subrev_u32_e32 v40, 28, v46
	v_lshlrev_b64 v[40:41], v40, v[30:31]
	v_and_b32_e32 v40, 7, v40
	v_cmp_gt_u32_e64 s[2:3], 8, v32
	v_lshrrev_b32_e32 v39, 3, v32
	v_sub_u32_e32 v30, 29, v46
	v_cndmask_b32_e64 v32, v37, v40, s[2:3]
	v_mov_b32_e32 v37, 24
	v_cndmask_b32_e64 v30, v39, v30, s[2:3]
	v_lshlrev_b32_sdwa v37, v37, v27 dst_sel:DWORD dst_unused:UNUSED_PAD src0_sel:DWORD src1_sel:WORD_1
	v_bfrev_b32_e32 v39, 60
	v_lshlrev_b32_e32 v32, 20, v32
	v_and_b32_e32 v37, 0x80000000, v37
	v_lshl_add_u32 v30, v30, 23, v39
	v_or3_b32 v37, v37, v30, v32
.LBB428_248:
	s_or_b64 exec, exec, s[22:23]
.LBB428_249:
	s_or_b64 exec, exec, s[20:21]
.LBB428_250:
	s_or_b64 exec, exec, s[8:9]
	s_mov_b32 s2, -1
	s_mov_b32 s3, 0xffffff
	v_cmp_lt_u64_e64 s[2:3], s[2:3], v[26:27]
	v_mov_b32_e32 v32, 0
	v_mov_b32_e32 v30, 0
	s_and_saveexec_b64 s[8:9], s[2:3]
	s_cbranch_execz .LBB428_256
; %bb.251:
	v_lshrrev_b32_e32 v26, 24, v27
	s_movk_i32 s2, 0x80
	v_cmp_ne_u32_e64 s[2:3], s2, v26
	v_bfrev_b32_e32 v30, 1
	s_and_saveexec_b64 s[20:21], s[2:3]
	s_cbranch_execz .LBB428_255
; %bb.252:
	v_bfe_u32 v27, v27, 24, 7
	s_movk_i32 s2, 0x7f
	v_cmp_ne_u32_e64 s[2:3], s2, v27
	v_mov_b32_e32 v30, 0x7f800001
	s_and_saveexec_b64 s[22:23], s[2:3]
	s_cbranch_execz .LBB428_254
; %bb.253:
	v_and_b32_e32 v30, 7, v26
	v_ffbh_u32_e32 v40, v30
	v_min_u32_e32 v46, 32, v40
	v_subrev_u32_e32 v40, 28, v46
	v_lshlrev_b64 v[40:41], v40, v[26:27]
	v_lshrrev_b32_e32 v39, 3, v27
	v_sub_u32_e32 v41, 29, v46
	v_and_b32_e32 v40, 7, v40
	v_cmp_gt_u32_e64 s[2:3], 8, v27
	v_cndmask_b32_e64 v27, v39, v41, s[2:3]
	v_cndmask_b32_e64 v30, v30, v40, s[2:3]
	v_lshlrev_b32_e32 v26, 24, v26
	v_bfrev_b32_e32 v39, 60
	v_lshlrev_b32_e32 v30, 20, v30
	v_and_b32_e32 v26, 0x80000000, v26
	v_lshl_add_u32 v27, v27, 23, v39
	v_or3_b32 v30, v26, v27, v30
.LBB428_254:
	s_or_b64 exec, exec, s[22:23]
.LBB428_255:
	s_or_b64 exec, exec, s[20:21]
.LBB428_256:
	s_or_b64 exec, exec, s[8:9]
	v_cvt_pkrtz_f16_f32 v26, v34, v35
	v_cvt_pkrtz_f16_f32 v27, v33, v36
	;; [unrolled: 1-line block ×4, first 2 shown]
	v_mfma_f32_4x4x4f16 a[0:3], v[18:19], v[26:27], a[0:3] cbsz:4 abid:4
	v_cmp_ne_u16_sdwa s[2:3], v28, v32 src0_sel:BYTE_0 src1_sel:DWORD
	v_mfma_f32_4x4x4f16 a[0:3], v[20:21], v[34:35], a[0:3] cbsz:4 abid:4
	s_and_saveexec_b64 s[8:9], s[2:3]
	s_cbranch_execz .LBB428_262
; %bb.257:
	s_movk_i32 s2, 0x80
	v_cmp_ne_u16_sdwa s[2:3], v28, s2 src0_sel:BYTE_0 src1_sel:DWORD
	v_bfrev_b32_e32 v32, 1
	s_and_saveexec_b64 s[20:21], s[2:3]
	s_cbranch_execz .LBB428_261
; %bb.258:
	s_movk_i32 s2, 0x7f
	v_and_b32_e32 v26, 0x7f, v28
	v_cmp_ne_u32_e64 s[2:3], s2, v26
	v_mov_b32_e32 v32, 0x7f800001
	s_and_saveexec_b64 s[22:23], s[2:3]
	s_cbranch_execz .LBB428_260
; %bb.259:
	v_and_b32_e32 v27, 7, v28
	v_ffbh_u32_e32 v27, v27
	v_min_u32_e32 v27, 32, v27
	v_subrev_u32_e32 v31, 28, v27
	v_cmp_gt_u32_e64 s[2:3], 8, v26
	v_lshrrev_b32_e32 v30, 3, v26
	v_sub_u32_e32 v27, 29, v27
	v_cndmask_b32_e64 v26, 0, v31, s[2:3]
	v_cndmask_b32_e64 v30, v30, v27, s[2:3]
	v_lshlrev_b64 v[26:27], v26, v[28:29]
	v_lshlrev_b32_e32 v26, 20, v26
	v_lshlrev_b32_e32 v27, 24, v28
	v_bfrev_b32_e32 v31, 60
	v_and_b32_e32 v26, 0x700000, v26
	v_and_b32_e32 v27, 0x80000000, v27
	v_lshl_add_u32 v30, v30, 23, v31
	v_or3_b32 v32, v27, v30, v26
.LBB428_260:
	s_or_b64 exec, exec, s[22:23]
.LBB428_261:
	s_or_b64 exec, exec, s[20:21]
.LBB428_262:
	s_or_b64 exec, exec, s[8:9]
	v_lshrrev_b16_e32 v26, 8, v28
	v_cmp_ne_u16_e64 s[2:3], 0, v26
	v_mov_b32_e32 v31, 0
	v_mov_b32_e32 v33, 0
	s_and_saveexec_b64 s[8:9], s[2:3]
	s_cbranch_execz .LBB428_268
; %bb.263:
	s_movk_i32 s2, 0x80
	v_cmp_ne_u16_e64 s[2:3], s2, v26
	v_bfrev_b32_e32 v33, 1
	s_and_saveexec_b64 s[20:21], s[2:3]
	s_cbranch_execz .LBB428_267
; %bb.264:
	s_movk_i32 s2, 0x7f
	v_and_b32_e32 v27, 0x7f, v26
	v_cmp_ne_u32_e64 s[2:3], s2, v27
	v_mov_b32_e32 v33, 0x7f800001
	s_and_saveexec_b64 s[22:23], s[2:3]
	s_cbranch_execz .LBB428_266
; %bb.265:
	v_and_b32_e32 v30, 7, v26
	v_ffbh_u32_e32 v34, v30
	v_min_u32_e32 v36, 32, v34
	v_subrev_u32_e32 v34, 28, v36
	v_lshlrev_b64 v[34:35], v34, v[26:27]
	v_lshrrev_b32_e32 v33, 3, v27
	v_sub_u32_e32 v26, 29, v36
	v_and_b32_e32 v34, 7, v34
	v_cmp_gt_u32_e64 s[2:3], 8, v27
	v_cndmask_b32_e64 v26, v33, v26, s[2:3]
	v_cndmask_b32_e64 v27, v30, v34, s[2:3]
	v_lshlrev_b32_e32 v30, 16, v28
	v_bfrev_b32_e32 v33, 60
	v_lshlrev_b32_e32 v27, 20, v27
	v_and_b32_e32 v30, 0x80000000, v30
	v_lshl_add_u32 v26, v26, 23, v33
	v_or3_b32 v33, v30, v26, v27
.LBB428_266:
	s_or_b64 exec, exec, s[22:23]
.LBB428_267:
	s_or_b64 exec, exec, s[20:21]
.LBB428_268:
	s_or_b64 exec, exec, s[8:9]
	s_movk_i32 s2, 0xff
	v_and_b32_sdwa v27, v28, s2 dst_sel:DWORD dst_unused:UNUSED_PAD src0_sel:WORD_1 src1_sel:DWORD
	v_lshrrev_b32_e32 v26, 16, v28
	v_cmp_ne_u16_e64 s[2:3], 0, v27
	s_and_saveexec_b64 s[8:9], s[2:3]
	s_cbranch_execz .LBB428_274
; %bb.269:
	s_movk_i32 s2, 0x80
	v_cmp_ne_u16_e64 s[2:3], s2, v27
	v_bfrev_b32_e32 v31, 1
	s_and_saveexec_b64 s[20:21], s[2:3]
	s_cbranch_execz .LBB428_273
; %bb.270:
	v_bfe_u32 v27, v28, 16, 7
	s_movk_i32 s2, 0x7f
	v_cmp_ne_u32_e64 s[2:3], s2, v27
	v_mov_b32_e32 v31, 0x7f800001
	s_and_saveexec_b64 s[22:23], s[2:3]
	s_cbranch_execz .LBB428_272
; %bb.271:
	v_and_b32_e32 v34, 7, v26
	v_ffbh_u32_e32 v30, v34
	v_min_u32_e32 v36, 32, v30
	v_subrev_u32_e32 v30, 28, v36
	v_lshlrev_b64 v[30:31], v30, v[26:27]
	v_and_b32_e32 v30, 7, v30
	v_cmp_gt_u32_e64 s[2:3], 8, v27
	v_lshrrev_b32_e32 v35, 3, v27
	v_sub_u32_e32 v26, 29, v36
	v_cndmask_b32_e64 v27, v34, v30, s[2:3]
	v_mov_b32_e32 v30, 24
	v_cndmask_b32_e64 v26, v35, v26, s[2:3]
	v_lshlrev_b32_sdwa v30, v30, v28 dst_sel:DWORD dst_unused:UNUSED_PAD src0_sel:DWORD src1_sel:WORD_1
	v_bfrev_b32_e32 v31, 60
	v_lshlrev_b32_e32 v27, 20, v27
	v_and_b32_e32 v30, 0x80000000, v30
	v_lshl_add_u32 v26, v26, 23, v31
	v_or3_b32 v31, v30, v26, v27
.LBB428_272:
	s_or_b64 exec, exec, s[22:23]
.LBB428_273:
	s_or_b64 exec, exec, s[20:21]
.LBB428_274:
	s_or_b64 exec, exec, s[8:9]
	s_mov_b32 s2, 0xffffff
	v_cmp_lt_u32_e64 s[2:3], s2, v28
	v_mov_b32_e32 v27, 0
	v_mov_b32_e32 v34, 0
	s_and_saveexec_b64 s[8:9], s[2:3]
	s_cbranch_execz .LBB428_280
; %bb.275:
	v_lshrrev_b32_e32 v26, 24, v28
	s_movk_i32 s2, 0x80
	v_cmp_ne_u32_e64 s[2:3], s2, v26
	v_bfrev_b32_e32 v34, 1
	s_and_saveexec_b64 s[20:21], s[2:3]
	s_cbranch_execz .LBB428_279
; %bb.276:
	v_bfe_u32 v30, v28, 24, 7
	s_movk_i32 s2, 0x7f
	v_cmp_ne_u32_e64 s[2:3], s2, v30
	v_mov_b32_e32 v34, 0x7f800001
	s_and_saveexec_b64 s[22:23], s[2:3]
	s_cbranch_execz .LBB428_278
; %bb.277:
	v_and_b32_e32 v36, 7, v26
	v_ffbh_u32_e32 v34, v36
	v_min_u32_e32 v38, 32, v34
	v_subrev_u32_e32 v34, 28, v38
	v_lshlrev_b64 v[34:35], v34, v[26:27]
	v_lshrrev_b32_e32 v37, 3, v30
	v_sub_u32_e32 v35, 29, v38
	v_and_b32_e32 v34, 7, v34
	v_cmp_gt_u32_e64 s[2:3], 8, v30
	v_cndmask_b32_e64 v30, v37, v35, s[2:3]
	v_cndmask_b32_e64 v34, v36, v34, s[2:3]
	v_lshlrev_b32_e32 v26, 24, v26
	v_bfrev_b32_e32 v35, 60
	v_lshlrev_b32_e32 v34, 20, v34
	v_and_b32_e32 v26, 0x80000000, v26
	v_lshl_add_u32 v30, v30, 23, v35
	v_or3_b32 v34, v26, v30, v34
.LBB428_278:
	s_or_b64 exec, exec, s[22:23]
.LBB428_279:
	s_or_b64 exec, exec, s[20:21]
.LBB428_280:
	s_or_b64 exec, exec, s[8:9]
	v_mov_b32_e32 v26, v29
	v_cmp_ne_u16_sdwa s[2:3], v29, v27 src0_sel:BYTE_0 src1_sel:DWORD
	s_and_saveexec_b64 s[8:9], s[2:3]
	s_cbranch_execz .LBB428_286
; %bb.281:
	s_movk_i32 s2, 0x80
	v_cmp_ne_u16_sdwa s[2:3], v29, s2 src0_sel:BYTE_0 src1_sel:DWORD
	v_bfrev_b32_e32 v30, 1
	s_and_saveexec_b64 s[20:21], s[2:3]
	s_cbranch_execz .LBB428_285
; %bb.282:
	s_movk_i32 s2, 0x7f
	v_and_b32_e32 v35, 0x7f, v29
	v_cmp_ne_u32_e64 s[2:3], s2, v35
	v_mov_b32_e32 v30, 0x7f800001
	s_and_saveexec_b64 s[22:23], s[2:3]
	s_cbranch_execz .LBB428_284
; %bb.283:
	v_and_b32_e32 v30, 7, v29
	v_ffbh_u32_e32 v30, v30
	v_min_u32_e32 v30, 32, v30
	v_subrev_u32_e32 v37, 28, v30
	v_cmp_gt_u32_e64 s[2:3], 8, v35
	v_lshrrev_b32_e32 v36, 3, v35
	v_sub_u32_e32 v30, 29, v30
	v_cndmask_b32_e64 v35, 0, v37, s[2:3]
	v_cndmask_b32_e64 v30, v36, v30, s[2:3]
	v_lshlrev_b64 v[36:37], v35, v[26:27]
	v_lshlrev_b32_e32 v27, 20, v36
	v_lshlrev_b32_e32 v35, 24, v26
	v_bfrev_b32_e32 v36, 60
	v_and_b32_e32 v27, 0x700000, v27
	v_and_b32_e32 v35, 0x80000000, v35
	v_lshl_add_u32 v30, v30, 23, v36
	v_or3_b32 v30, v35, v30, v27
.LBB428_284:
	s_or_b64 exec, exec, s[22:23]
.LBB428_285:
	s_or_b64 exec, exec, s[20:21]
	v_mov_b32_e32 v27, v30
.LBB428_286:
	s_or_b64 exec, exec, s[8:9]
	v_lshrrev_b16_e32 v30, 8, v26
	v_cmp_ne_u16_e64 s[2:3], 0, v30
	v_mov_b32_e32 v35, 0
	v_mov_b32_e32 v36, 0
	s_and_saveexec_b64 s[8:9], s[2:3]
	s_cbranch_execz .LBB428_292
; %bb.287:
	s_movk_i32 s2, 0x80
	v_cmp_ne_u16_e64 s[2:3], s2, v30
	v_bfrev_b32_e32 v36, 1
	s_and_saveexec_b64 s[20:21], s[2:3]
	s_cbranch_execz .LBB428_291
; %bb.288:
	s_movk_i32 s2, 0x7f
	v_and_b32_e32 v37, 0x7f, v30
	v_cmp_ne_u32_e64 s[2:3], s2, v37
	v_mov_b32_e32 v36, 0x7f800001
	s_and_saveexec_b64 s[22:23], s[2:3]
	s_cbranch_execz .LBB428_290
; %bb.289:
	v_and_b32_e32 v36, 7, v30
	v_ffbh_u32_e32 v38, v36
	v_min_u32_e32 v41, 32, v38
	v_subrev_u32_e32 v38, 28, v41
	v_lshlrev_b64 v[38:39], v38, v[30:31]
	v_lshrrev_b32_e32 v40, 3, v37
	v_sub_u32_e32 v30, 29, v41
	v_and_b32_e32 v38, 7, v38
	v_cmp_gt_u32_e64 s[2:3], 8, v37
	v_cndmask_b32_e64 v30, v40, v30, s[2:3]
	v_cndmask_b32_e64 v36, v36, v38, s[2:3]
	v_lshlrev_b32_e32 v26, 16, v26
	v_bfrev_b32_e32 v37, 60
	v_lshlrev_b32_e32 v36, 20, v36
	v_and_b32_e32 v26, 0x80000000, v26
	v_lshl_add_u32 v30, v30, 23, v37
	v_or3_b32 v36, v26, v30, v36
.LBB428_290:
	s_or_b64 exec, exec, s[22:23]
.LBB428_291:
	s_or_b64 exec, exec, s[20:21]
.LBB428_292:
	s_or_b64 exec, exec, s[8:9]
	s_movk_i32 s2, 0xff
	v_and_b32_sdwa v30, v29, s2 dst_sel:DWORD dst_unused:UNUSED_PAD src0_sel:WORD_1 src1_sel:DWORD
	v_lshrrev_b32_e32 v26, 16, v29
	v_cmp_ne_u16_e64 s[2:3], 0, v30
	s_and_saveexec_b64 s[8:9], s[2:3]
	s_cbranch_execz .LBB428_298
; %bb.293:
	s_movk_i32 s2, 0x80
	v_cmp_ne_u16_e64 s[2:3], s2, v30
	v_bfrev_b32_e32 v35, 1
	s_and_saveexec_b64 s[20:21], s[2:3]
	s_cbranch_execz .LBB428_297
; %bb.294:
	v_bfe_u32 v30, v29, 16, 7
	s_movk_i32 s2, 0x7f
	v_cmp_ne_u32_e64 s[2:3], s2, v30
	v_mov_b32_e32 v35, 0x7f800001
	s_and_saveexec_b64 s[22:23], s[2:3]
	s_cbranch_execz .LBB428_296
; %bb.295:
	v_and_b32_e32 v35, 7, v26
	v_ffbh_u32_e32 v38, v35
	v_min_u32_e32 v40, 32, v38
	v_subrev_u32_e32 v38, 28, v40
	v_lshlrev_b64 v[38:39], v38, v[26:27]
	v_and_b32_e32 v38, 7, v38
	v_cmp_gt_u32_e64 s[2:3], 8, v30
	v_lshrrev_b32_e32 v37, 3, v30
	v_sub_u32_e32 v26, 29, v40
	v_cndmask_b32_e64 v30, v35, v38, s[2:3]
	v_mov_b32_e32 v35, 24
	v_cndmask_b32_e64 v26, v37, v26, s[2:3]
	v_lshlrev_b32_sdwa v35, v35, v29 dst_sel:DWORD dst_unused:UNUSED_PAD src0_sel:DWORD src1_sel:WORD_1
	v_bfrev_b32_e32 v37, 60
	v_lshlrev_b32_e32 v30, 20, v30
	v_and_b32_e32 v35, 0x80000000, v35
	v_lshl_add_u32 v26, v26, 23, v37
	v_or3_b32 v35, v35, v26, v30
.LBB428_296:
	s_or_b64 exec, exec, s[22:23]
.LBB428_297:
	s_or_b64 exec, exec, s[20:21]
.LBB428_298:
	s_or_b64 exec, exec, s[8:9]
	s_mov_b32 s2, -1
	s_mov_b32 s3, 0xffffff
	v_cmp_lt_u64_e64 s[2:3], s[2:3], v[28:29]
	v_mov_b32_e32 v30, 0
	v_mov_b32_e32 v28, 0
	s_and_saveexec_b64 s[8:9], s[2:3]
	s_cbranch_execz .LBB428_304
; %bb.299:
	v_lshrrev_b32_e32 v26, 24, v29
	s_movk_i32 s2, 0x80
	v_cmp_ne_u32_e64 s[2:3], s2, v26
	v_bfrev_b32_e32 v28, 1
	s_and_saveexec_b64 s[20:21], s[2:3]
	s_cbranch_execz .LBB428_303
; %bb.300:
	v_bfe_u32 v29, v29, 24, 7
	s_movk_i32 s2, 0x7f
	v_cmp_ne_u32_e64 s[2:3], s2, v29
	v_mov_b32_e32 v28, 0x7f800001
	s_and_saveexec_b64 s[22:23], s[2:3]
	s_cbranch_execz .LBB428_302
; %bb.301:
	v_and_b32_e32 v28, 7, v26
	v_ffbh_u32_e32 v38, v28
	v_min_u32_e32 v40, 32, v38
	v_subrev_u32_e32 v38, 28, v40
	v_lshlrev_b64 v[38:39], v38, v[26:27]
	v_lshrrev_b32_e32 v37, 3, v29
	v_sub_u32_e32 v39, 29, v40
	v_and_b32_e32 v38, 7, v38
	v_cmp_gt_u32_e64 s[2:3], 8, v29
	v_cndmask_b32_e64 v29, v37, v39, s[2:3]
	v_cndmask_b32_e64 v28, v28, v38, s[2:3]
	v_lshlrev_b32_e32 v26, 24, v26
	v_bfrev_b32_e32 v37, 60
	v_lshlrev_b32_e32 v28, 20, v28
	v_and_b32_e32 v26, 0x80000000, v26
	v_lshl_add_u32 v29, v29, 23, v37
	v_or3_b32 v28, v26, v29, v28
.LBB428_302:
	s_or_b64 exec, exec, s[22:23]
.LBB428_303:
	s_or_b64 exec, exec, s[20:21]
.LBB428_304:
	s_or_b64 exec, exec, s[8:9]
	v_cvt_pkrtz_f16_f32 v32, v32, v33
	v_cvt_pkrtz_f16_f32 v33, v31, v34
	v_cvt_pkrtz_f16_f32 v26, v27, v36
	v_cvt_pkrtz_f16_f32 v27, v35, v28
	v_mfma_f32_4x4x4f16 a[0:3], v[18:19], v[32:33], a[0:3] cbsz:4 abid:5
	s_waitcnt vmcnt(4)
	v_cmp_ne_u16_sdwa s[2:3], v22, v30 src0_sel:BYTE_0 src1_sel:DWORD
	v_mfma_f32_4x4x4f16 a[0:3], v[20:21], v[26:27], a[0:3] cbsz:4 abid:5
	s_and_saveexec_b64 s[8:9], s[2:3]
	s_cbranch_execz .LBB428_310
; %bb.305:
	s_movk_i32 s2, 0x80
	v_cmp_ne_u16_sdwa s[2:3], v22, s2 src0_sel:BYTE_0 src1_sel:DWORD
	v_bfrev_b32_e32 v30, 1
	s_and_saveexec_b64 s[20:21], s[2:3]
	s_cbranch_execz .LBB428_309
; %bb.306:
	s_movk_i32 s2, 0x7f
	v_and_b32_e32 v26, 0x7f, v22
	v_cmp_ne_u32_e64 s[2:3], s2, v26
	v_mov_b32_e32 v30, 0x7f800001
	s_and_saveexec_b64 s[22:23], s[2:3]
	s_cbranch_execz .LBB428_308
; %bb.307:
	v_and_b32_e32 v27, 7, v22
	v_ffbh_u32_e32 v27, v27
	v_min_u32_e32 v27, 32, v27
	v_subrev_u32_e32 v29, 28, v27
	v_cmp_gt_u32_e64 s[2:3], 8, v26
	v_lshrrev_b32_e32 v28, 3, v26
	v_sub_u32_e32 v27, 29, v27
	v_cndmask_b32_e64 v26, 0, v29, s[2:3]
	v_cndmask_b32_e64 v28, v28, v27, s[2:3]
	v_lshlrev_b64 v[26:27], v26, v[22:23]
	v_lshlrev_b32_e32 v26, 20, v26
	v_lshlrev_b32_e32 v27, 24, v22
	v_bfrev_b32_e32 v29, 60
	v_and_b32_e32 v26, 0x700000, v26
	v_and_b32_e32 v27, 0x80000000, v27
	v_lshl_add_u32 v28, v28, 23, v29
	v_or3_b32 v30, v27, v28, v26
.LBB428_308:
	s_or_b64 exec, exec, s[22:23]
.LBB428_309:
	s_or_b64 exec, exec, s[20:21]
.LBB428_310:
	s_or_b64 exec, exec, s[8:9]
	v_lshrrev_b16_e32 v26, 8, v22
	v_cmp_ne_u16_e64 s[2:3], 0, v26
	v_mov_b32_e32 v29, 0
	v_mov_b32_e32 v31, 0
	s_and_saveexec_b64 s[8:9], s[2:3]
	s_cbranch_execz .LBB428_316
; %bb.311:
	s_movk_i32 s2, 0x80
	v_cmp_ne_u16_e64 s[2:3], s2, v26
	v_bfrev_b32_e32 v31, 1
	s_and_saveexec_b64 s[20:21], s[2:3]
	s_cbranch_execz .LBB428_315
; %bb.312:
	s_movk_i32 s2, 0x7f
	v_and_b32_e32 v27, 0x7f, v26
	v_cmp_ne_u32_e64 s[2:3], s2, v27
	v_mov_b32_e32 v31, 0x7f800001
	s_and_saveexec_b64 s[22:23], s[2:3]
	s_cbranch_execz .LBB428_314
; %bb.313:
	v_and_b32_e32 v28, 7, v26
	v_ffbh_u32_e32 v32, v28
	v_min_u32_e32 v34, 32, v32
	v_subrev_u32_e32 v32, 28, v34
	v_lshlrev_b64 v[32:33], v32, v[26:27]
	v_lshrrev_b32_e32 v31, 3, v27
	v_sub_u32_e32 v26, 29, v34
	v_and_b32_e32 v32, 7, v32
	v_cmp_gt_u32_e64 s[2:3], 8, v27
	v_cndmask_b32_e64 v26, v31, v26, s[2:3]
	v_cndmask_b32_e64 v27, v28, v32, s[2:3]
	v_lshlrev_b32_e32 v28, 16, v22
	v_bfrev_b32_e32 v31, 60
	v_lshlrev_b32_e32 v27, 20, v27
	v_and_b32_e32 v28, 0x80000000, v28
	v_lshl_add_u32 v26, v26, 23, v31
	v_or3_b32 v31, v28, v26, v27
.LBB428_314:
	s_or_b64 exec, exec, s[22:23]
.LBB428_315:
	s_or_b64 exec, exec, s[20:21]
.LBB428_316:
	s_or_b64 exec, exec, s[8:9]
	s_movk_i32 s2, 0xff
	v_and_b32_sdwa v27, v22, s2 dst_sel:DWORD dst_unused:UNUSED_PAD src0_sel:WORD_1 src1_sel:DWORD
	v_lshrrev_b32_e32 v26, 16, v22
	v_cmp_ne_u16_e64 s[2:3], 0, v27
	s_and_saveexec_b64 s[8:9], s[2:3]
	s_cbranch_execz .LBB428_322
; %bb.317:
	s_movk_i32 s2, 0x80
	v_cmp_ne_u16_e64 s[2:3], s2, v27
	v_bfrev_b32_e32 v29, 1
	s_and_saveexec_b64 s[20:21], s[2:3]
	s_cbranch_execz .LBB428_321
; %bb.318:
	v_bfe_u32 v27, v22, 16, 7
	s_movk_i32 s2, 0x7f
	v_cmp_ne_u32_e64 s[2:3], s2, v27
	v_mov_b32_e32 v29, 0x7f800001
	s_and_saveexec_b64 s[22:23], s[2:3]
	s_cbranch_execz .LBB428_320
; %bb.319:
	v_and_b32_e32 v32, 7, v26
	v_ffbh_u32_e32 v28, v32
	v_min_u32_e32 v34, 32, v28
	v_subrev_u32_e32 v28, 28, v34
	v_lshlrev_b64 v[28:29], v28, v[26:27]
	v_and_b32_e32 v28, 7, v28
	v_cmp_gt_u32_e64 s[2:3], 8, v27
	v_lshrrev_b32_e32 v33, 3, v27
	v_sub_u32_e32 v26, 29, v34
	v_cndmask_b32_e64 v27, v32, v28, s[2:3]
	v_mov_b32_e32 v28, 24
	v_cndmask_b32_e64 v26, v33, v26, s[2:3]
	v_lshlrev_b32_sdwa v28, v28, v22 dst_sel:DWORD dst_unused:UNUSED_PAD src0_sel:DWORD src1_sel:WORD_1
	v_bfrev_b32_e32 v29, 60
	v_lshlrev_b32_e32 v27, 20, v27
	v_and_b32_e32 v28, 0x80000000, v28
	v_lshl_add_u32 v26, v26, 23, v29
	v_or3_b32 v29, v28, v26, v27
.LBB428_320:
	s_or_b64 exec, exec, s[22:23]
.LBB428_321:
	s_or_b64 exec, exec, s[20:21]
.LBB428_322:
	s_or_b64 exec, exec, s[8:9]
	s_mov_b32 s2, 0xffffff
	v_cmp_lt_u32_e64 s[2:3], s2, v22
	v_mov_b32_e32 v27, 0
	v_mov_b32_e32 v32, 0
	s_and_saveexec_b64 s[8:9], s[2:3]
	s_cbranch_execz .LBB428_328
; %bb.323:
	v_lshrrev_b32_e32 v26, 24, v22
	s_movk_i32 s2, 0x80
	v_cmp_ne_u32_e64 s[2:3], s2, v26
	v_bfrev_b32_e32 v32, 1
	s_and_saveexec_b64 s[20:21], s[2:3]
	s_cbranch_execz .LBB428_327
; %bb.324:
	v_bfe_u32 v28, v22, 24, 7
	s_movk_i32 s2, 0x7f
	v_cmp_ne_u32_e64 s[2:3], s2, v28
	v_mov_b32_e32 v32, 0x7f800001
	s_and_saveexec_b64 s[22:23], s[2:3]
	s_cbranch_execz .LBB428_326
; %bb.325:
	v_and_b32_e32 v34, 7, v26
	v_ffbh_u32_e32 v32, v34
	v_min_u32_e32 v36, 32, v32
	v_subrev_u32_e32 v32, 28, v36
	v_lshlrev_b64 v[32:33], v32, v[26:27]
	v_lshrrev_b32_e32 v35, 3, v28
	v_sub_u32_e32 v33, 29, v36
	v_and_b32_e32 v32, 7, v32
	v_cmp_gt_u32_e64 s[2:3], 8, v28
	v_cndmask_b32_e64 v28, v35, v33, s[2:3]
	v_cndmask_b32_e64 v32, v34, v32, s[2:3]
	v_lshlrev_b32_e32 v26, 24, v26
	v_bfrev_b32_e32 v33, 60
	v_lshlrev_b32_e32 v32, 20, v32
	v_and_b32_e32 v26, 0x80000000, v26
	v_lshl_add_u32 v28, v28, 23, v33
	v_or3_b32 v32, v26, v28, v32
.LBB428_326:
	s_or_b64 exec, exec, s[22:23]
.LBB428_327:
	s_or_b64 exec, exec, s[20:21]
.LBB428_328:
	s_or_b64 exec, exec, s[8:9]
	v_mov_b32_e32 v26, v23
	v_cmp_ne_u16_sdwa s[2:3], v23, v27 src0_sel:BYTE_0 src1_sel:DWORD
	s_and_saveexec_b64 s[8:9], s[2:3]
	s_cbranch_execz .LBB428_334
; %bb.329:
	s_movk_i32 s2, 0x80
	v_cmp_ne_u16_sdwa s[2:3], v23, s2 src0_sel:BYTE_0 src1_sel:DWORD
	v_bfrev_b32_e32 v28, 1
	s_and_saveexec_b64 s[20:21], s[2:3]
	s_cbranch_execz .LBB428_333
; %bb.330:
	s_movk_i32 s2, 0x7f
	v_and_b32_e32 v33, 0x7f, v23
	v_cmp_ne_u32_e64 s[2:3], s2, v33
	v_mov_b32_e32 v28, 0x7f800001
	s_and_saveexec_b64 s[22:23], s[2:3]
	s_cbranch_execz .LBB428_332
; %bb.331:
	v_and_b32_e32 v28, 7, v23
	v_ffbh_u32_e32 v28, v28
	v_min_u32_e32 v28, 32, v28
	v_subrev_u32_e32 v35, 28, v28
	v_cmp_gt_u32_e64 s[2:3], 8, v33
	v_lshrrev_b32_e32 v34, 3, v33
	v_sub_u32_e32 v28, 29, v28
	v_cndmask_b32_e64 v33, 0, v35, s[2:3]
	v_cndmask_b32_e64 v28, v34, v28, s[2:3]
	v_lshlrev_b64 v[34:35], v33, v[26:27]
	v_lshlrev_b32_e32 v27, 20, v34
	v_lshlrev_b32_e32 v33, 24, v26
	v_bfrev_b32_e32 v34, 60
	v_and_b32_e32 v27, 0x700000, v27
	v_and_b32_e32 v33, 0x80000000, v33
	v_lshl_add_u32 v28, v28, 23, v34
	v_or3_b32 v28, v33, v28, v27
.LBB428_332:
	s_or_b64 exec, exec, s[22:23]
.LBB428_333:
	s_or_b64 exec, exec, s[20:21]
	v_mov_b32_e32 v27, v28
.LBB428_334:
	s_or_b64 exec, exec, s[8:9]
	v_lshrrev_b16_e32 v28, 8, v26
	v_cmp_ne_u16_e64 s[2:3], 0, v28
	v_mov_b32_e32 v33, 0
	v_mov_b32_e32 v34, 0
	s_and_saveexec_b64 s[8:9], s[2:3]
	s_cbranch_execz .LBB428_340
; %bb.335:
	s_movk_i32 s2, 0x80
	v_cmp_ne_u16_e64 s[2:3], s2, v28
	v_bfrev_b32_e32 v34, 1
	s_and_saveexec_b64 s[20:21], s[2:3]
	s_cbranch_execz .LBB428_339
; %bb.336:
	s_movk_i32 s2, 0x7f
	v_and_b32_e32 v35, 0x7f, v28
	v_cmp_ne_u32_e64 s[2:3], s2, v35
	v_mov_b32_e32 v34, 0x7f800001
	s_and_saveexec_b64 s[22:23], s[2:3]
	s_cbranch_execz .LBB428_338
; %bb.337:
	v_and_b32_e32 v34, 7, v28
	v_ffbh_u32_e32 v36, v34
	v_min_u32_e32 v39, 32, v36
	v_subrev_u32_e32 v36, 28, v39
	v_lshlrev_b64 v[36:37], v36, v[28:29]
	v_lshrrev_b32_e32 v38, 3, v35
	v_sub_u32_e32 v28, 29, v39
	v_and_b32_e32 v36, 7, v36
	v_cmp_gt_u32_e64 s[2:3], 8, v35
	v_cndmask_b32_e64 v28, v38, v28, s[2:3]
	v_cndmask_b32_e64 v34, v34, v36, s[2:3]
	v_lshlrev_b32_e32 v26, 16, v26
	v_bfrev_b32_e32 v35, 60
	v_lshlrev_b32_e32 v34, 20, v34
	v_and_b32_e32 v26, 0x80000000, v26
	v_lshl_add_u32 v28, v28, 23, v35
	v_or3_b32 v34, v26, v28, v34
.LBB428_338:
	s_or_b64 exec, exec, s[22:23]
.LBB428_339:
	s_or_b64 exec, exec, s[20:21]
.LBB428_340:
	s_or_b64 exec, exec, s[8:9]
	s_movk_i32 s2, 0xff
	v_and_b32_sdwa v28, v23, s2 dst_sel:DWORD dst_unused:UNUSED_PAD src0_sel:WORD_1 src1_sel:DWORD
	v_lshrrev_b32_e32 v26, 16, v23
	v_cmp_ne_u16_e64 s[2:3], 0, v28
	s_and_saveexec_b64 s[8:9], s[2:3]
	s_cbranch_execz .LBB428_346
; %bb.341:
	s_movk_i32 s2, 0x80
	v_cmp_ne_u16_e64 s[2:3], s2, v28
	v_bfrev_b32_e32 v33, 1
	s_and_saveexec_b64 s[20:21], s[2:3]
	s_cbranch_execz .LBB428_345
; %bb.342:
	v_bfe_u32 v28, v23, 16, 7
	s_movk_i32 s2, 0x7f
	v_cmp_ne_u32_e64 s[2:3], s2, v28
	v_mov_b32_e32 v33, 0x7f800001
	s_and_saveexec_b64 s[22:23], s[2:3]
	s_cbranch_execz .LBB428_344
; %bb.343:
	v_and_b32_e32 v33, 7, v26
	v_ffbh_u32_e32 v36, v33
	v_min_u32_e32 v38, 32, v36
	v_subrev_u32_e32 v36, 28, v38
	v_lshlrev_b64 v[36:37], v36, v[26:27]
	v_and_b32_e32 v36, 7, v36
	v_cmp_gt_u32_e64 s[2:3], 8, v28
	v_lshrrev_b32_e32 v35, 3, v28
	v_sub_u32_e32 v26, 29, v38
	v_cndmask_b32_e64 v28, v33, v36, s[2:3]
	v_mov_b32_e32 v33, 24
	v_cndmask_b32_e64 v26, v35, v26, s[2:3]
	v_lshlrev_b32_sdwa v33, v33, v23 dst_sel:DWORD dst_unused:UNUSED_PAD src0_sel:DWORD src1_sel:WORD_1
	v_bfrev_b32_e32 v35, 60
	v_lshlrev_b32_e32 v28, 20, v28
	v_and_b32_e32 v33, 0x80000000, v33
	v_lshl_add_u32 v26, v26, 23, v35
	v_or3_b32 v33, v33, v26, v28
.LBB428_344:
	s_or_b64 exec, exec, s[22:23]
.LBB428_345:
	s_or_b64 exec, exec, s[20:21]
.LBB428_346:
	s_or_b64 exec, exec, s[8:9]
	s_mov_b32 s2, -1
	s_mov_b32 s3, 0xffffff
	v_cmp_lt_u64_e64 s[2:3], s[2:3], v[22:23]
	v_mov_b32_e32 v28, 0
	v_mov_b32_e32 v26, 0
	s_and_saveexec_b64 s[8:9], s[2:3]
	s_cbranch_execz .LBB428_352
; %bb.347:
	v_lshrrev_b32_e32 v22, 24, v23
	s_movk_i32 s2, 0x80
	v_cmp_ne_u32_e64 s[2:3], s2, v22
	v_bfrev_b32_e32 v26, 1
	s_and_saveexec_b64 s[20:21], s[2:3]
	s_cbranch_execz .LBB428_351
; %bb.348:
	v_bfe_u32 v23, v23, 24, 7
	s_movk_i32 s2, 0x7f
	v_cmp_ne_u32_e64 s[2:3], s2, v23
	v_mov_b32_e32 v26, 0x7f800001
	s_and_saveexec_b64 s[22:23], s[2:3]
	s_cbranch_execz .LBB428_350
; %bb.349:
	v_and_b32_e32 v26, 7, v22
	v_ffbh_u32_e32 v36, v26
	v_min_u32_e32 v38, 32, v36
	v_subrev_u32_e32 v36, 28, v38
	v_lshlrev_b64 v[36:37], v36, v[22:23]
	v_lshrrev_b32_e32 v35, 3, v23
	v_sub_u32_e32 v37, 29, v38
	v_and_b32_e32 v36, 7, v36
	v_cmp_gt_u32_e64 s[2:3], 8, v23
	v_cndmask_b32_e64 v23, v35, v37, s[2:3]
	v_cndmask_b32_e64 v26, v26, v36, s[2:3]
	v_lshlrev_b32_e32 v22, 24, v22
	v_bfrev_b32_e32 v35, 60
	v_lshlrev_b32_e32 v26, 20, v26
	v_and_b32_e32 v22, 0x80000000, v22
	v_lshl_add_u32 v23, v23, 23, v35
	v_or3_b32 v26, v22, v23, v26
.LBB428_350:
	s_or_b64 exec, exec, s[22:23]
.LBB428_351:
	s_or_b64 exec, exec, s[20:21]
.LBB428_352:
	s_or_b64 exec, exec, s[8:9]
	v_cvt_pkrtz_f16_f32 v22, v30, v31
	v_cvt_pkrtz_f16_f32 v23, v29, v32
	;; [unrolled: 1-line block ×4, first 2 shown]
	v_mfma_f32_4x4x4f16 a[0:3], v[18:19], v[22:23], a[0:3] cbsz:4 abid:6
	v_cmp_ne_u16_sdwa s[2:3], v24, v28 src0_sel:BYTE_0 src1_sel:DWORD
	v_mfma_f32_4x4x4f16 a[0:3], v[20:21], v[30:31], a[0:3] cbsz:4 abid:6
	s_and_saveexec_b64 s[8:9], s[2:3]
	s_cbranch_execz .LBB428_358
; %bb.353:
	s_movk_i32 s2, 0x80
	v_cmp_ne_u16_sdwa s[2:3], v24, s2 src0_sel:BYTE_0 src1_sel:DWORD
	v_bfrev_b32_e32 v28, 1
	s_and_saveexec_b64 s[20:21], s[2:3]
	s_cbranch_execz .LBB428_357
; %bb.354:
	s_movk_i32 s2, 0x7f
	v_and_b32_e32 v22, 0x7f, v24
	v_cmp_ne_u32_e64 s[2:3], s2, v22
	v_mov_b32_e32 v28, 0x7f800001
	s_and_saveexec_b64 s[22:23], s[2:3]
	s_cbranch_execz .LBB428_356
; %bb.355:
	v_and_b32_e32 v23, 7, v24
	v_ffbh_u32_e32 v23, v23
	v_min_u32_e32 v23, 32, v23
	v_subrev_u32_e32 v27, 28, v23
	v_cmp_gt_u32_e64 s[2:3], 8, v22
	v_lshrrev_b32_e32 v26, 3, v22
	v_sub_u32_e32 v23, 29, v23
	v_cndmask_b32_e64 v22, 0, v27, s[2:3]
	v_cndmask_b32_e64 v26, v26, v23, s[2:3]
	v_lshlrev_b64 v[22:23], v22, v[24:25]
	v_lshlrev_b32_e32 v22, 20, v22
	v_lshlrev_b32_e32 v23, 24, v24
	v_bfrev_b32_e32 v27, 60
	v_and_b32_e32 v22, 0x700000, v22
	v_and_b32_e32 v23, 0x80000000, v23
	v_lshl_add_u32 v26, v26, 23, v27
	v_or3_b32 v28, v23, v26, v22
.LBB428_356:
	s_or_b64 exec, exec, s[22:23]
.LBB428_357:
	s_or_b64 exec, exec, s[20:21]
.LBB428_358:
	s_or_b64 exec, exec, s[8:9]
	v_lshrrev_b16_e32 v22, 8, v24
	v_cmp_ne_u16_e64 s[2:3], 0, v22
	v_mov_b32_e32 v27, 0
	v_mov_b32_e32 v29, 0
	s_and_saveexec_b64 s[8:9], s[2:3]
	s_cbranch_execz .LBB428_364
; %bb.359:
	s_movk_i32 s2, 0x80
	v_cmp_ne_u16_e64 s[2:3], s2, v22
	v_bfrev_b32_e32 v29, 1
	s_and_saveexec_b64 s[20:21], s[2:3]
	s_cbranch_execz .LBB428_363
; %bb.360:
	s_movk_i32 s2, 0x7f
	v_and_b32_e32 v23, 0x7f, v22
	v_cmp_ne_u32_e64 s[2:3], s2, v23
	v_mov_b32_e32 v29, 0x7f800001
	s_and_saveexec_b64 s[22:23], s[2:3]
	s_cbranch_execz .LBB428_362
; %bb.361:
	v_and_b32_e32 v26, 7, v22
	v_ffbh_u32_e32 v30, v26
	v_min_u32_e32 v32, 32, v30
	v_subrev_u32_e32 v30, 28, v32
	v_lshlrev_b64 v[30:31], v30, v[22:23]
	v_lshrrev_b32_e32 v29, 3, v23
	v_sub_u32_e32 v22, 29, v32
	v_and_b32_e32 v30, 7, v30
	v_cmp_gt_u32_e64 s[2:3], 8, v23
	v_cndmask_b32_e64 v22, v29, v22, s[2:3]
	v_cndmask_b32_e64 v23, v26, v30, s[2:3]
	v_lshlrev_b32_e32 v26, 16, v24
	v_bfrev_b32_e32 v29, 60
	v_lshlrev_b32_e32 v23, 20, v23
	v_and_b32_e32 v26, 0x80000000, v26
	v_lshl_add_u32 v22, v22, 23, v29
	v_or3_b32 v29, v26, v22, v23
.LBB428_362:
	s_or_b64 exec, exec, s[22:23]
.LBB428_363:
	s_or_b64 exec, exec, s[20:21]
.LBB428_364:
	s_or_b64 exec, exec, s[8:9]
	s_movk_i32 s2, 0xff
	v_and_b32_sdwa v23, v24, s2 dst_sel:DWORD dst_unused:UNUSED_PAD src0_sel:WORD_1 src1_sel:DWORD
	v_lshrrev_b32_e32 v22, 16, v24
	v_cmp_ne_u16_e64 s[2:3], 0, v23
	s_and_saveexec_b64 s[8:9], s[2:3]
	s_cbranch_execz .LBB428_370
; %bb.365:
	s_movk_i32 s2, 0x80
	v_cmp_ne_u16_e64 s[2:3], s2, v23
	v_bfrev_b32_e32 v27, 1
	s_and_saveexec_b64 s[20:21], s[2:3]
	s_cbranch_execz .LBB428_369
; %bb.366:
	v_bfe_u32 v23, v24, 16, 7
	s_movk_i32 s2, 0x7f
	v_cmp_ne_u32_e64 s[2:3], s2, v23
	v_mov_b32_e32 v27, 0x7f800001
	s_and_saveexec_b64 s[22:23], s[2:3]
	s_cbranch_execz .LBB428_368
; %bb.367:
	v_and_b32_e32 v30, 7, v22
	v_ffbh_u32_e32 v26, v30
	v_min_u32_e32 v32, 32, v26
	v_subrev_u32_e32 v26, 28, v32
	v_lshlrev_b64 v[26:27], v26, v[22:23]
	v_and_b32_e32 v26, 7, v26
	v_cmp_gt_u32_e64 s[2:3], 8, v23
	v_lshrrev_b32_e32 v31, 3, v23
	v_sub_u32_e32 v22, 29, v32
	v_cndmask_b32_e64 v23, v30, v26, s[2:3]
	v_mov_b32_e32 v26, 24
	v_cndmask_b32_e64 v22, v31, v22, s[2:3]
	v_lshlrev_b32_sdwa v26, v26, v24 dst_sel:DWORD dst_unused:UNUSED_PAD src0_sel:DWORD src1_sel:WORD_1
	v_bfrev_b32_e32 v27, 60
	v_lshlrev_b32_e32 v23, 20, v23
	v_and_b32_e32 v26, 0x80000000, v26
	v_lshl_add_u32 v22, v22, 23, v27
	v_or3_b32 v27, v26, v22, v23
.LBB428_368:
	s_or_b64 exec, exec, s[22:23]
.LBB428_369:
	s_or_b64 exec, exec, s[20:21]
.LBB428_370:
	s_or_b64 exec, exec, s[8:9]
	s_mov_b32 s2, 0xffffff
	v_cmp_lt_u32_e64 s[2:3], s2, v24
	v_mov_b32_e32 v23, 0
	v_mov_b32_e32 v30, 0
	s_and_saveexec_b64 s[8:9], s[2:3]
	s_cbranch_execz .LBB428_376
; %bb.371:
	v_lshrrev_b32_e32 v22, 24, v24
	s_movk_i32 s2, 0x80
	v_cmp_ne_u32_e64 s[2:3], s2, v22
	v_bfrev_b32_e32 v30, 1
	s_and_saveexec_b64 s[20:21], s[2:3]
	s_cbranch_execz .LBB428_375
; %bb.372:
	v_bfe_u32 v26, v24, 24, 7
	s_movk_i32 s2, 0x7f
	v_cmp_ne_u32_e64 s[2:3], s2, v26
	v_mov_b32_e32 v30, 0x7f800001
	s_and_saveexec_b64 s[22:23], s[2:3]
	s_cbranch_execz .LBB428_374
; %bb.373:
	v_and_b32_e32 v32, 7, v22
	v_ffbh_u32_e32 v30, v32
	v_min_u32_e32 v34, 32, v30
	v_subrev_u32_e32 v30, 28, v34
	v_lshlrev_b64 v[30:31], v30, v[22:23]
	v_lshrrev_b32_e32 v33, 3, v26
	v_sub_u32_e32 v31, 29, v34
	v_and_b32_e32 v30, 7, v30
	v_cmp_gt_u32_e64 s[2:3], 8, v26
	v_cndmask_b32_e64 v26, v33, v31, s[2:3]
	v_cndmask_b32_e64 v30, v32, v30, s[2:3]
	v_lshlrev_b32_e32 v22, 24, v22
	v_bfrev_b32_e32 v31, 60
	v_lshlrev_b32_e32 v30, 20, v30
	v_and_b32_e32 v22, 0x80000000, v22
	v_lshl_add_u32 v26, v26, 23, v31
	v_or3_b32 v30, v22, v26, v30
.LBB428_374:
	s_or_b64 exec, exec, s[22:23]
.LBB428_375:
	s_or_b64 exec, exec, s[20:21]
.LBB428_376:
	s_or_b64 exec, exec, s[8:9]
	v_mov_b32_e32 v22, v25
	v_cmp_ne_u16_sdwa s[2:3], v25, v23 src0_sel:BYTE_0 src1_sel:DWORD
	s_and_saveexec_b64 s[8:9], s[2:3]
	s_cbranch_execz .LBB428_382
; %bb.377:
	s_movk_i32 s2, 0x80
	v_cmp_ne_u16_sdwa s[2:3], v25, s2 src0_sel:BYTE_0 src1_sel:DWORD
	v_bfrev_b32_e32 v26, 1
	s_and_saveexec_b64 s[20:21], s[2:3]
	s_cbranch_execz .LBB428_381
; %bb.378:
	s_movk_i32 s2, 0x7f
	v_and_b32_e32 v31, 0x7f, v25
	v_cmp_ne_u32_e64 s[2:3], s2, v31
	v_mov_b32_e32 v26, 0x7f800001
	s_and_saveexec_b64 s[22:23], s[2:3]
	s_cbranch_execz .LBB428_380
; %bb.379:
	v_and_b32_e32 v26, 7, v25
	v_ffbh_u32_e32 v26, v26
	v_min_u32_e32 v26, 32, v26
	v_subrev_u32_e32 v33, 28, v26
	v_cmp_gt_u32_e64 s[2:3], 8, v31
	v_lshrrev_b32_e32 v32, 3, v31
	v_sub_u32_e32 v26, 29, v26
	v_cndmask_b32_e64 v31, 0, v33, s[2:3]
	v_cndmask_b32_e64 v26, v32, v26, s[2:3]
	v_lshlrev_b64 v[32:33], v31, v[22:23]
	v_lshlrev_b32_e32 v23, 20, v32
	v_lshlrev_b32_e32 v31, 24, v22
	v_bfrev_b32_e32 v32, 60
	v_and_b32_e32 v23, 0x700000, v23
	v_and_b32_e32 v31, 0x80000000, v31
	v_lshl_add_u32 v26, v26, 23, v32
	v_or3_b32 v26, v31, v26, v23
.LBB428_380:
	s_or_b64 exec, exec, s[22:23]
.LBB428_381:
	s_or_b64 exec, exec, s[20:21]
	v_mov_b32_e32 v23, v26
.LBB428_382:
	s_or_b64 exec, exec, s[8:9]
	v_lshrrev_b16_e32 v26, 8, v22
	v_cmp_ne_u16_e64 s[2:3], 0, v26
	v_mov_b32_e32 v31, 0
	v_mov_b32_e32 v32, 0
	s_and_saveexec_b64 s[8:9], s[2:3]
	s_cbranch_execz .LBB428_388
; %bb.383:
	s_movk_i32 s2, 0x80
	v_cmp_ne_u16_e64 s[2:3], s2, v26
	v_bfrev_b32_e32 v32, 1
	s_and_saveexec_b64 s[20:21], s[2:3]
	s_cbranch_execz .LBB428_387
; %bb.384:
	s_movk_i32 s2, 0x7f
	v_and_b32_e32 v33, 0x7f, v26
	v_cmp_ne_u32_e64 s[2:3], s2, v33
	v_mov_b32_e32 v32, 0x7f800001
	s_and_saveexec_b64 s[22:23], s[2:3]
	s_cbranch_execz .LBB428_386
; %bb.385:
	v_and_b32_e32 v32, 7, v26
	v_ffbh_u32_e32 v34, v32
	v_min_u32_e32 v37, 32, v34
	v_subrev_u32_e32 v34, 28, v37
	v_lshlrev_b64 v[34:35], v34, v[26:27]
	v_lshrrev_b32_e32 v36, 3, v33
	v_sub_u32_e32 v26, 29, v37
	v_and_b32_e32 v34, 7, v34
	v_cmp_gt_u32_e64 s[2:3], 8, v33
	v_cndmask_b32_e64 v26, v36, v26, s[2:3]
	v_cndmask_b32_e64 v32, v32, v34, s[2:3]
	v_lshlrev_b32_e32 v22, 16, v22
	v_bfrev_b32_e32 v33, 60
	v_lshlrev_b32_e32 v32, 20, v32
	v_and_b32_e32 v22, 0x80000000, v22
	v_lshl_add_u32 v26, v26, 23, v33
	v_or3_b32 v32, v22, v26, v32
.LBB428_386:
	s_or_b64 exec, exec, s[22:23]
.LBB428_387:
	s_or_b64 exec, exec, s[20:21]
.LBB428_388:
	s_or_b64 exec, exec, s[8:9]
	s_movk_i32 s2, 0xff
	v_and_b32_sdwa v26, v25, s2 dst_sel:DWORD dst_unused:UNUSED_PAD src0_sel:WORD_1 src1_sel:DWORD
	v_lshrrev_b32_e32 v22, 16, v25
	v_cmp_ne_u16_e64 s[2:3], 0, v26
	s_and_saveexec_b64 s[8:9], s[2:3]
	s_cbranch_execz .LBB428_394
; %bb.389:
	s_movk_i32 s2, 0x80
	v_cmp_ne_u16_e64 s[2:3], s2, v26
	v_bfrev_b32_e32 v31, 1
	s_and_saveexec_b64 s[20:21], s[2:3]
	s_cbranch_execz .LBB428_393
; %bb.390:
	v_bfe_u32 v26, v25, 16, 7
	s_movk_i32 s2, 0x7f
	v_cmp_ne_u32_e64 s[2:3], s2, v26
	v_mov_b32_e32 v31, 0x7f800001
	s_and_saveexec_b64 s[22:23], s[2:3]
	s_cbranch_execz .LBB428_392
; %bb.391:
	v_and_b32_e32 v31, 7, v22
	v_ffbh_u32_e32 v34, v31
	v_min_u32_e32 v36, 32, v34
	v_subrev_u32_e32 v34, 28, v36
	v_lshlrev_b64 v[34:35], v34, v[22:23]
	v_and_b32_e32 v34, 7, v34
	v_cmp_gt_u32_e64 s[2:3], 8, v26
	v_lshrrev_b32_e32 v33, 3, v26
	v_sub_u32_e32 v22, 29, v36
	v_cndmask_b32_e64 v26, v31, v34, s[2:3]
	v_mov_b32_e32 v31, 24
	v_cndmask_b32_e64 v22, v33, v22, s[2:3]
	v_lshlrev_b32_sdwa v31, v31, v25 dst_sel:DWORD dst_unused:UNUSED_PAD src0_sel:DWORD src1_sel:WORD_1
	v_bfrev_b32_e32 v33, 60
	v_lshlrev_b32_e32 v26, 20, v26
	v_and_b32_e32 v31, 0x80000000, v31
	v_lshl_add_u32 v22, v22, 23, v33
	v_or3_b32 v31, v31, v22, v26
.LBB428_392:
	s_or_b64 exec, exec, s[22:23]
.LBB428_393:
	s_or_b64 exec, exec, s[20:21]
.LBB428_394:
	s_or_b64 exec, exec, s[8:9]
	s_mov_b32 s2, -1
	s_mov_b32 s3, 0xffffff
	v_cmp_lt_u64_e64 s[2:3], s[2:3], v[24:25]
	v_mov_b32_e32 v24, 0
	s_and_saveexec_b64 s[8:9], s[2:3]
	s_cbranch_execz .LBB428_400
; %bb.395:
	v_lshrrev_b32_e32 v22, 24, v25
	s_movk_i32 s2, 0x80
	v_cmp_ne_u32_e64 s[2:3], s2, v22
	v_bfrev_b32_e32 v24, 1
	s_and_saveexec_b64 s[20:21], s[2:3]
	s_cbranch_execz .LBB428_399
; %bb.396:
	v_bfe_u32 v25, v25, 24, 7
	s_movk_i32 s2, 0x7f
	v_cmp_ne_u32_e64 s[2:3], s2, v25
	v_mov_b32_e32 v24, 0x7f800001
	s_and_saveexec_b64 s[22:23], s[2:3]
	s_cbranch_execz .LBB428_398
; %bb.397:
	v_and_b32_e32 v24, 7, v22
	v_ffbh_u32_e32 v33, v24
	v_min_u32_e32 v33, 32, v33
	v_subrev_u32_e32 v34, 28, v33
	v_lshlrev_b64 v[34:35], v34, v[22:23]
	v_lshrrev_b32_e32 v26, 3, v25
	v_sub_u32_e32 v33, 29, v33
	v_and_b32_e32 v34, 7, v34
	v_cmp_gt_u32_e64 s[2:3], 8, v25
	v_cndmask_b32_e64 v25, v26, v33, s[2:3]
	v_cndmask_b32_e64 v24, v24, v34, s[2:3]
	v_lshlrev_b32_e32 v22, 24, v22
	v_bfrev_b32_e32 v26, 60
	v_lshlrev_b32_e32 v24, 20, v24
	v_and_b32_e32 v22, 0x80000000, v22
	v_lshl_add_u32 v25, v25, 23, v26
	v_or3_b32 v24, v22, v25, v24
.LBB428_398:
	s_or_b64 exec, exec, s[22:23]
.LBB428_399:
	s_or_b64 exec, exec, s[20:21]
.LBB428_400:
	s_or_b64 exec, exec, s[8:9]
	s_load_dword s2, s[4:5], 0x1c
	v_cvt_pkrtz_f16_f32 v26, v28, v29
	v_cvt_pkrtz_f16_f32 v27, v27, v30
	s_load_dword s3, s[12:13], 0x0
	v_cvt_pkrtz_f16_f32 v22, v23, v32
	v_mfma_f32_4x4x4f16 a[0:3], v[18:19], v[26:27], a[0:3] cbsz:4 abid:7
	v_cvt_pkrtz_f16_f32 v23, v31, v24
	s_waitcnt lgkmcnt(0)
	v_mov_b32_e32 v18, s2
	v_mov_b32_e32 v25, 0xff7fffff
	v_mfma_f32_4x4x4f16 a[0:3], v[20:21], v[22:23], a[0:3] cbsz:4 abid:7
	v_mul_f32_e32 v20, s3, v18
	v_cmp_eq_u32_e64 s[2:3], 0, v43
	s_nop 2
	v_accvgpr_read_b32 v23, a1
	v_accvgpr_read_b32 v22, a0
	v_pk_mul_f32 v[22:23], v[22:23], v[20:21] op_sel_hi:[1,0]
	v_accvgpr_read_b32 v19, a3
	v_accvgpr_read_b32 v18, a2
	v_pk_mul_f32 v[18:19], v[18:19], v[20:21] op_sel_hi:[1,0]
	v_cndmask_b32_e64 v20, 0, 1.0, s[2:3]
	v_cmp_eq_u32_e64 s[2:3], 1, v43
	s_nop 0
	v_mfma_f32_4x4x1f32 a[0:3], v22, v20, 0
	v_cndmask_b32_e64 v20, 0, 1.0, s[2:3]
	v_cmp_eq_u32_e64 s[2:3], 2, v43
	s_nop 0
	v_mfma_f32_4x4x1f32 a[0:3], v23, v20, a[0:3]
	v_cndmask_b32_e64 v20, 0, 1.0, s[2:3]
	s_nop 1
	v_mfma_f32_4x4x1f32 a[0:3], v18, v20, a[0:3]
	v_cndmask_b32_e64 v18, 0, 1.0, vcc
	s_nop 1
	v_mfma_f32_4x4x1f32 a[0:3], v19, v18, a[0:3]
	v_and_b32_e32 v18, -4, v44
	v_subrev_u32_e32 v19, s7, v18
	v_add_u32_e32 v20, 1, v19
	v_cvt_f32_i32_e32 v20, v20
	v_add_u32_e32 v21, 2, v19
	v_cvt_f32_i32_e32 v21, v21
	v_accvgpr_read_b32 v22, a0
	v_fma_f32 v20, v45, v20, v22
	v_accvgpr_read_b32 v22, a1
	v_fma_f32 v21, v45, v21, v22
	v_add_u32_e32 v22, 3, v19
	v_cvt_f32_i32_e32 v22, v22
	v_add_u32_e32 v19, 4, v19
	v_max_f32_e32 v24, 0xff7fffff, v20
	v_cmp_gt_i32_e32 vcc, s7, v18
	v_cvt_f32_i32_e32 v19, v19
	v_cndmask_b32_e32 v24, v25, v24, vcc
	v_or_b32_e32 v25, 1, v18
	v_accvgpr_read_b32 v23, a2
	v_max_f32_e32 v26, v24, v21
	v_cmp_gt_i32_e64 s[2:3], s7, v25
	v_fma_f32 v22, v45, v22, v23
	v_cndmask_b32_e64 v24, v24, v26, s[2:3]
	v_or_b32_e32 v18, 2, v18
	v_accvgpr_read_b32 v23, a3
	v_max_f32_e32 v25, v24, v22
	v_cmp_gt_i32_e64 s[4:5], s7, v18
	v_fmac_f32_e32 v23, v45, v19
	v_cndmask_b32_e64 v18, v24, v25, s[4:5]
	v_or_b32_e32 v24, 3, v44
	v_max_f32_e32 v25, v18, v23
	v_cmp_gt_i32_e64 s[8:9], s7, v24
	v_lshlrev_b32_e32 v19, 2, v0
	v_cndmask_b32_e64 v18, v18, v25, s[8:9]
	v_and_or_b32 v19, v19, 48, v43
	;;#ASMSTART
	v_nop
 v_nop
 v_max_f32_dpp v18, v18, v18 row_ror:4
	;;#ASMEND
	v_lshlrev_b32_e32 v24, 2, v19
	;;#ASMSTART
	v_nop
 v_nop
 v_max_f32_dpp v18, v18, v18 row_ror:8
	;;#ASMEND
	ds_bpermute_b32 v18, v24, v18
	s_waitcnt lgkmcnt(0)
	;;#ASMSTART
	v_nop
 v_nop
 v_max_f32_dpp v18, v18, v18 row_ror:4
	;;#ASMEND
	;;#ASMSTART
	v_nop
 v_nop
 v_max_f32_dpp v26, v18, v18 row_ror:8
	;;#ASMEND
	v_sub_f32_e32 v18, v20, v26
	v_mul_f32_e32 v18, 0x3fb8aa3b, v18
	v_sub_f32_e32 v19, v21, v26
	v_exp_f32_e32 v18, v18
	v_mul_f32_e32 v19, 0x3fb8aa3b, v19
	v_sub_f32_e32 v21, v22, v26
	v_exp_f32_e32 v19, v19
	v_mul_f32_e32 v21, 0x3fb8aa3b, v21
	v_sub_f32_e32 v22, v23, v26
	v_exp_f32_e32 v21, v21
	v_mul_f32_e32 v22, 0x3fb8aa3b, v22
	v_exp_f32_e32 v22, v22
	v_cndmask_b32_e32 v18, 0, v18, vcc
	v_add_f32_e32 v20, 0, v18
	v_cndmask_b32_e64 v19, 0, v19, s[2:3]
	v_add_f32_e32 v23, v20, v19
	v_cndmask_b32_e64 v20, 0, v21, s[4:5]
	;; [unrolled: 2-line block ×3, first 2 shown]
	v_add_f32_e32 v22, v23, v21
	;;#ASMSTART
	v_nop
 v_nop
 v_add_f32_dpp v22, v22, v22 row_ror:4
	;;#ASMEND
	;;#ASMSTART
	v_nop
 v_nop
 v_add_f32_dpp v22, v22, v22 row_ror:8
	;;#ASMEND
	ds_bpermute_b32 v22, v24, v22
	s_waitcnt lgkmcnt(0)
	;;#ASMSTART
	v_nop
 v_nop
 v_add_f32_dpp v22, v22, v22 row_ror:4
	;;#ASMEND
	v_cmp_gt_u32_e32 vcc, 4, v1
	;;#ASMSTART
	v_nop
 v_nop
 v_add_f32_dpp v22, v22, v22 row_ror:8
	;;#ASMEND
	s_and_saveexec_b64 s[2:3], vcc
	s_cbranch_execz .LBB428_402
; %bb.401:
	v_mul_u32_u24_e32 v23, 20, v42
	v_lshl_add_u32 v23, v43, 2, v23
	v_add_u32_e32 v23, 0x800, v23
	ds_write2_b32 v23, v26, v22 offset0:128 offset1:148
.LBB428_402:
	s_or_b64 exec, exec, s[2:3]
.LBB428_403:
	s_or_b64 exec, exec, s[28:29]
	s_waitcnt lgkmcnt(0)
	s_barrier
	s_load_dword s2, s[26:27], 0x8
	v_lshlrev_b32_e32 v22, 2, v43
	v_add_u32_e32 v30, 0x800, v22
	ds_read2_b32 v[22:23], v30 offset0:128 offset1:133
	ds_read2_b32 v[24:25], v30 offset0:138 offset1:143
	s_mul_i32 s3, s6, s33
	s_waitcnt lgkmcnt(0)
	s_mul_i32 s2, s3, s2
	s_mov_b32 s3, 0xff7fffff
	v_max3_f32 v27, v22, s3, v23
	v_max3_f32 v27, v27, v24, v25
	v_sub_f32_e32 v22, v22, v27
	v_mul_f32_e32 v22, 0x3fb8aa3b, v22
	ds_read2_b32 v[28:29], v30 offset0:148 offset1:153
	v_exp_f32_e32 v31, v22
	v_sub_f32_e32 v22, v23, v27
	v_mul_f32_e32 v22, 0x3fb8aa3b, v22
	v_sub_f32_e32 v24, v24, v27
	v_exp_f32_e32 v32, v22
	ds_read2_b32 v[22:23], v30 offset0:158 offset1:163
	v_mul_f32_e32 v24, 0x3fb8aa3b, v24
	v_sub_f32_e32 v25, v25, v27
	v_exp_f32_e32 v24, v24
	v_mul_f32_e32 v25, 0x3fb8aa3b, v25
	v_exp_f32_e32 v25, v25
	s_waitcnt lgkmcnt(1)
	v_fma_f32 v28, v31, v28, 0
	v_fmac_f32_e32 v28, v32, v29
	s_waitcnt lgkmcnt(0)
	v_fmac_f32_e32 v28, v24, v22
	s_mul_i32 s2, s2, 3
	v_fmac_f32_e32 v28, v25, v23
	v_cmp_ne_u32_e32 vcc, 3, v43
	s_and_saveexec_b64 s[4:5], vcc
	s_cbranch_execz .LBB428_405
; %bb.404:
	s_mov_b32 s3, 0
	s_lshl_b64 s[6:7], s[2:3], 2
	s_add_u32 s12, s16, s6
	s_mov_b32 s11, s3
	s_addc_u32 s13, s17, s7
	s_lshl_b64 s[8:9], s[10:11], 2
	s_add_u32 s3, s12, s8
	s_addc_u32 s11, s13, s9
	v_add_u32_e32 v22, s40, v43
	s_add_u32 s6, s18, s6
	v_mul_lo_u32 v22, s33, v22
	v_mov_b32_e32 v23, 0
	s_addc_u32 s7, s19, s7
	v_lshlrev_b64 v[22:23], 2, v[22:23]
	s_add_u32 s6, s6, s8
	v_mov_b32_e32 v25, s11
	v_add_co_u32_e32 v24, vcc, s3, v22
	s_addc_u32 s7, s7, s9
	v_addc_co_u32_e32 v25, vcc, v25, v23, vcc
	v_mov_b32_e32 v29, s7
	v_add_co_u32_e32 v22, vcc, s6, v22
	v_addc_co_u32_e32 v23, vcc, v29, v23, vcc
	global_store_dword v[22:23], v27, off
	global_store_dword v[24:25], v28, off
.LBB428_405:
	s_or_b64 exec, exec, s[4:5]
	v_lshlrev_b32_e32 v25, 3, v42
	s_and_saveexec_b64 s[4:5], s[0:1]
	s_xor_b64 s[0:1], exec, s[4:5]
	s_cbranch_execz .LBB428_407
; %bb.406:
	s_waitcnt vmcnt(1)
	v_mov_b32_e32 v2, 0
	v_mad_u32_u24 v4, v1, 40, v25
	v_mov_b32_e32 v3, v2
	ds_write_b64 v4, v[2:3]
                                        ; implicit-def: $vgpr21
                                        ; implicit-def: $vgpr19
                                        ; implicit-def: $vgpr26
                                        ; implicit-def: $vgpr14_vgpr15
                                        ; implicit-def: $vgpr10_vgpr11
                                        ; implicit-def: $vgpr6_vgpr7
                                        ; implicit-def: $vgpr2_vgpr3
                                        ; implicit-def: $vgpr27
                                        ; implicit-def: $vgpr28
                                        ; implicit-def: $vgpr25
.LBB428_407:
	s_andn2_saveexec_b64 s[0:1], s[0:1]
	s_cbranch_execz .LBB428_793
; %bb.408:
	v_mov_b32_e32 v29, 0
	s_waitcnt vmcnt(2)
	v_cmp_ne_u16_sdwa s[6:7], v14, v29 src0_sel:BYTE_0 src1_sel:DWORD
	v_mov_b32_e32 v30, 0
	s_and_saveexec_b64 s[4:5], s[6:7]
	s_cbranch_execz .LBB428_414
; %bb.409:
	s_movk_i32 s3, 0x80
	v_cmp_ne_u16_sdwa s[8:9], v14, s3 src0_sel:BYTE_0 src1_sel:DWORD
	v_bfrev_b32_e32 v30, 1
	s_and_saveexec_b64 s[6:7], s[8:9]
	s_cbranch_execz .LBB428_413
; %bb.410:
	s_movk_i32 s3, 0x7f
	v_and_b32_e32 v22, 0x7f, v14
	v_cmp_ne_u32_e32 vcc, s3, v22
	v_mov_b32_e32 v30, 0x7f800001
	s_and_saveexec_b64 s[8:9], vcc
	s_cbranch_execz .LBB428_412
; %bb.411:
	v_and_b32_e32 v23, 7, v14
	v_ffbh_u32_e32 v23, v23
	v_min_u32_e32 v23, 32, v23
	v_subrev_u32_e32 v30, 28, v23
	v_cmp_gt_u32_e32 vcc, 8, v22
	v_lshrrev_b32_e32 v24, 3, v22
	v_sub_u32_e32 v23, 29, v23
	v_cndmask_b32_e32 v22, 0, v30, vcc
	v_cndmask_b32_e32 v24, v24, v23, vcc
	v_lshlrev_b64 v[22:23], v22, v[14:15]
	v_lshlrev_b32_e32 v22, 20, v22
	v_lshlrev_b32_e32 v23, 24, v14
	v_bfrev_b32_e32 v30, 60
	v_and_b32_e32 v22, 0x700000, v22
	v_and_b32_e32 v23, 0x80000000, v23
	v_lshl_add_u32 v24, v24, 23, v30
	v_or3_b32 v30, v23, v24, v22
.LBB428_412:
	s_or_b64 exec, exec, s[8:9]
.LBB428_413:
	s_or_b64 exec, exec, s[6:7]
.LBB428_414:
	s_or_b64 exec, exec, s[4:5]
	v_lshrrev_b16_e32 v22, 8, v14
	v_cmp_ne_u16_e32 vcc, 0, v22
	s_and_saveexec_b64 s[4:5], vcc
	s_cbranch_execz .LBB428_420
; %bb.415:
	s_movk_i32 s3, 0x80
	v_cmp_ne_u16_e32 vcc, s3, v22
	v_bfrev_b32_e32 v29, 1
	s_and_saveexec_b64 s[6:7], vcc
	s_cbranch_execz .LBB428_419
; %bb.416:
	s_movk_i32 s3, 0x7f
	v_and_b32_e32 v23, 0x7f, v22
	v_cmp_ne_u32_e32 vcc, s3, v23
	v_mov_b32_e32 v29, 0x7f800001
	s_and_saveexec_b64 s[8:9], vcc
	s_cbranch_execz .LBB428_418
; %bb.417:
	v_and_b32_e32 v24, 7, v22
	v_ffbh_u32_e32 v31, v24
	v_min_u32_e32 v31, 32, v31
	v_subrev_u32_e32 v32, 28, v31
	v_lshlrev_b64 v[32:33], v32, v[22:23]
	v_lshrrev_b32_e32 v29, 3, v23
	v_sub_u32_e32 v22, 29, v31
	v_and_b32_e32 v31, 7, v32
	v_cmp_gt_u32_e32 vcc, 8, v23
	v_cndmask_b32_e32 v22, v29, v22, vcc
	v_cndmask_b32_e32 v23, v24, v31, vcc
	v_lshlrev_b32_e32 v24, 16, v14
	v_bfrev_b32_e32 v29, 60
	v_lshlrev_b32_e32 v23, 20, v23
	v_and_b32_e32 v24, 0x80000000, v24
	v_lshl_add_u32 v22, v22, 23, v29
	v_or3_b32 v29, v24, v22, v23
.LBB428_418:
	s_or_b64 exec, exec, s[8:9]
.LBB428_419:
	s_or_b64 exec, exec, s[6:7]
.LBB428_420:
	s_or_b64 exec, exec, s[4:5]
	s_movk_i32 s3, 0xff
	v_and_b32_sdwa v23, v14, s3 dst_sel:DWORD dst_unused:UNUSED_PAD src0_sel:WORD_1 src1_sel:DWORD
	v_lshrrev_b32_e32 v22, 16, v14
	v_cmp_ne_u16_e32 vcc, 0, v23
	v_mov_b32_e32 v31, 0
	v_mov_b32_e32 v32, 0
	s_and_saveexec_b64 s[4:5], vcc
	s_cbranch_execz .LBB428_426
; %bb.421:
	s_movk_i32 s3, 0x80
	v_cmp_ne_u16_e32 vcc, s3, v23
	v_bfrev_b32_e32 v32, 1
	s_and_saveexec_b64 s[6:7], vcc
	s_cbranch_execz .LBB428_425
; %bb.422:
	v_bfe_u32 v23, v14, 16, 7
	s_movk_i32 s3, 0x7f
	v_cmp_ne_u32_e32 vcc, s3, v23
	v_mov_b32_e32 v32, 0x7f800001
	s_and_saveexec_b64 s[8:9], vcc
	s_cbranch_execz .LBB428_424
; %bb.423:
	v_and_b32_e32 v24, 7, v22
	v_ffbh_u32_e32 v32, v24
	v_min_u32_e32 v35, 32, v32
	v_subrev_u32_e32 v32, 28, v35
	v_lshlrev_b64 v[32:33], v32, v[22:23]
	v_and_b32_e32 v32, 7, v32
	v_cmp_gt_u32_e32 vcc, 8, v23
	v_lshrrev_b32_e32 v34, 3, v23
	v_sub_u32_e32 v22, 29, v35
	v_cndmask_b32_e32 v23, v24, v32, vcc
	v_mov_b32_e32 v24, 24
	v_cndmask_b32_e32 v22, v34, v22, vcc
	v_lshlrev_b32_sdwa v24, v24, v14 dst_sel:DWORD dst_unused:UNUSED_PAD src0_sel:DWORD src1_sel:WORD_1
	v_bfrev_b32_e32 v32, 60
	v_lshlrev_b32_e32 v23, 20, v23
	v_and_b32_e32 v24, 0x80000000, v24
	v_lshl_add_u32 v22, v22, 23, v32
	v_or3_b32 v32, v24, v22, v23
.LBB428_424:
	s_or_b64 exec, exec, s[8:9]
.LBB428_425:
	s_or_b64 exec, exec, s[6:7]
.LBB428_426:
	s_or_b64 exec, exec, s[4:5]
	s_mov_b32 s3, 0xffffff
	v_cmp_lt_u32_e32 vcc, s3, v14
	s_and_saveexec_b64 s[4:5], vcc
	s_cbranch_execz .LBB428_432
; %bb.427:
	v_lshrrev_b32_e32 v22, 24, v14
	s_movk_i32 s3, 0x80
	v_cmp_ne_u32_e32 vcc, s3, v22
	v_bfrev_b32_e32 v31, 1
	s_and_saveexec_b64 s[6:7], vcc
	s_cbranch_execz .LBB428_431
; %bb.428:
	v_bfe_u32 v23, v14, 24, 7
	s_movk_i32 s3, 0x7f
	v_cmp_ne_u32_e32 vcc, s3, v23
	v_mov_b32_e32 v31, 0x7f800001
	s_and_saveexec_b64 s[8:9], vcc
	s_cbranch_execz .LBB428_430
; %bb.429:
	v_and_b32_e32 v24, 7, v22
	v_ffbh_u32_e32 v33, v24
	v_min_u32_e32 v33, 32, v33
	v_subrev_u32_e32 v34, 28, v33
	v_lshlrev_b64 v[34:35], v34, v[22:23]
	v_lshrrev_b32_e32 v31, 3, v23
	v_sub_u32_e32 v33, 29, v33
	v_and_b32_e32 v34, 7, v34
	v_cmp_gt_u32_e32 vcc, 8, v23
	v_cndmask_b32_e32 v23, v31, v33, vcc
	v_cndmask_b32_e32 v24, v24, v34, vcc
	v_lshlrev_b32_e32 v22, 24, v22
	v_bfrev_b32_e32 v31, 60
	v_lshlrev_b32_e32 v24, 20, v24
	v_and_b32_e32 v22, 0x80000000, v22
	v_lshl_add_u32 v23, v23, 23, v31
	v_or3_b32 v31, v22, v23, v24
.LBB428_430:
	s_or_b64 exec, exec, s[8:9]
.LBB428_431:
	s_or_b64 exec, exec, s[6:7]
.LBB428_432:
	s_or_b64 exec, exec, s[4:5]
	v_mov_b32_e32 v23, 0
	v_mov_b32_e32 v22, v15
	v_cmp_ne_u16_sdwa s[6:7], v15, v23 src0_sel:BYTE_0 src1_sel:DWORD
	v_mov_b32_e32 v33, v23
	s_and_saveexec_b64 s[4:5], s[6:7]
	s_cbranch_execz .LBB428_438
; %bb.433:
	s_movk_i32 s3, 0x80
	v_cmp_ne_u16_sdwa s[8:9], v15, s3 src0_sel:BYTE_0 src1_sel:DWORD
	v_bfrev_b32_e32 v33, 1
	s_and_saveexec_b64 s[6:7], s[8:9]
	s_cbranch_execz .LBB428_437
; %bb.434:
	s_movk_i32 s3, 0x7f
	v_and_b32_e32 v24, 0x7f, v15
	v_cmp_ne_u32_e32 vcc, s3, v24
	v_mov_b32_e32 v33, 0x7f800001
	s_and_saveexec_b64 s[8:9], vcc
	s_cbranch_execz .LBB428_436
; %bb.435:
	v_and_b32_e32 v33, 7, v15
	v_ffbh_u32_e32 v33, v33
	v_min_u32_e32 v33, 32, v33
	v_lshrrev_b32_e32 v34, 3, v24
	v_subrev_u32_e32 v35, 28, v33
	v_sub_u32_e32 v33, 29, v33
	v_cmp_gt_u32_e32 vcc, 8, v24
	v_cndmask_b32_e32 v24, v34, v33, vcc
	v_cndmask_b32_e32 v33, 0, v35, vcc
	v_lshlrev_b64 v[34:35], v33, v[22:23]
	v_lshlrev_b32_e32 v33, 20, v34
	v_lshlrev_b32_e32 v34, 24, v22
	v_bfrev_b32_e32 v35, 60
	v_and_b32_e32 v33, 0x700000, v33
	v_and_b32_e32 v34, 0x80000000, v34
	v_lshl_add_u32 v24, v24, 23, v35
	v_or3_b32 v33, v34, v24, v33
.LBB428_436:
	s_or_b64 exec, exec, s[8:9]
.LBB428_437:
	s_or_b64 exec, exec, s[6:7]
.LBB428_438:
	s_or_b64 exec, exec, s[4:5]
	v_lshrrev_b16_e32 v24, 8, v22
	v_cmp_ne_u16_e32 vcc, 0, v24
	s_and_saveexec_b64 s[4:5], vcc
	s_cbranch_execz .LBB428_444
; %bb.439:
	s_movk_i32 s3, 0x80
	v_cmp_ne_u16_e32 vcc, s3, v24
	v_bfrev_b32_e32 v23, 1
	s_and_saveexec_b64 s[6:7], vcc
	s_cbranch_execz .LBB428_443
; %bb.440:
	s_movk_i32 s3, 0x7f
	v_and_b32_e32 v34, 0x7f, v24
	v_cmp_ne_u32_e32 vcc, s3, v34
	v_mov_b32_e32 v23, 0x7f800001
	s_and_saveexec_b64 s[8:9], vcc
	s_cbranch_execz .LBB428_442
; %bb.441:
	v_and_b32_e32 v23, 7, v24
	v_ffbh_u32_e32 v36, v23
	v_min_u32_e32 v38, 32, v36
	v_subrev_u32_e32 v36, 28, v38
	v_lshlrev_b64 v[36:37], v36, v[24:25]
	v_lshrrev_b32_e32 v35, 3, v34
	v_sub_u32_e32 v24, 29, v38
	v_and_b32_e32 v36, 7, v36
	v_cmp_gt_u32_e32 vcc, 8, v34
	v_cndmask_b32_e32 v24, v35, v24, vcc
	v_cndmask_b32_e32 v23, v23, v36, vcc
	v_lshlrev_b32_e32 v22, 16, v22
	v_bfrev_b32_e32 v34, 60
	v_lshlrev_b32_e32 v23, 20, v23
	v_and_b32_e32 v22, 0x80000000, v22
	v_lshl_add_u32 v24, v24, 23, v34
	v_or3_b32 v23, v22, v24, v23
.LBB428_442:
	s_or_b64 exec, exec, s[8:9]
.LBB428_443:
	s_or_b64 exec, exec, s[6:7]
.LBB428_444:
	s_or_b64 exec, exec, s[4:5]
	s_movk_i32 s3, 0xff
	v_and_b32_sdwa v35, v15, s3 dst_sel:DWORD dst_unused:UNUSED_PAD src0_sel:WORD_1 src1_sel:DWORD
	v_lshrrev_b32_e32 v22, 16, v15
	v_cmp_ne_u16_e32 vcc, 0, v35
	v_mov_b32_e32 v24, 0
	v_mov_b32_e32 v34, 0
	s_and_saveexec_b64 s[4:5], vcc
	s_cbranch_execz .LBB428_450
; %bb.445:
	s_movk_i32 s3, 0x80
	v_cmp_ne_u16_e32 vcc, s3, v35
	v_bfrev_b32_e32 v34, 1
	s_and_saveexec_b64 s[6:7], vcc
	s_cbranch_execz .LBB428_449
; %bb.446:
	v_bfe_u32 v35, v15, 16, 7
	s_movk_i32 s3, 0x7f
	v_cmp_ne_u32_e32 vcc, s3, v35
	v_mov_b32_e32 v34, 0x7f800001
	s_and_saveexec_b64 s[8:9], vcc
	s_cbranch_execz .LBB428_448
; %bb.447:
	v_and_b32_e32 v34, 7, v22
	v_ffbh_u32_e32 v36, v34
	v_min_u32_e32 v39, 32, v36
	v_subrev_u32_e32 v36, 28, v39
	v_lshlrev_b64 v[36:37], v36, v[22:23]
	v_lshrrev_b32_e32 v38, 3, v35
	v_sub_u32_e32 v22, 29, v39
	v_and_b32_e32 v36, 7, v36
	v_cmp_gt_u32_e32 vcc, 8, v35
	v_mov_b32_e32 v35, 24
	v_cndmask_b32_e32 v22, v38, v22, vcc
	v_cndmask_b32_e32 v34, v34, v36, vcc
	v_lshlrev_b32_sdwa v35, v35, v15 dst_sel:DWORD dst_unused:UNUSED_PAD src0_sel:DWORD src1_sel:WORD_1
	v_bfrev_b32_e32 v36, 60
	v_lshlrev_b32_e32 v34, 20, v34
	v_and_b32_e32 v35, 0x80000000, v35
	v_lshl_add_u32 v22, v22, 23, v36
	v_or3_b32 v34, v35, v22, v34
.LBB428_448:
	s_or_b64 exec, exec, s[8:9]
.LBB428_449:
	s_or_b64 exec, exec, s[6:7]
.LBB428_450:
	s_or_b64 exec, exec, s[4:5]
	s_mov_b32 s4, -1
	s_mov_b32 s5, 0xffffff
	v_cmp_lt_u64_e32 vcc, s[4:5], v[14:15]
	s_and_saveexec_b64 s[4:5], vcc
	s_cbranch_execz .LBB428_456
; %bb.451:
	v_lshrrev_b32_e32 v14, 24, v15
	s_movk_i32 s3, 0x80
	v_cmp_ne_u32_e32 vcc, s3, v14
	v_bfrev_b32_e32 v24, 1
	s_and_saveexec_b64 s[6:7], vcc
	s_cbranch_execz .LBB428_455
; %bb.452:
	v_bfe_u32 v15, v15, 24, 7
	s_movk_i32 s3, 0x7f
	v_cmp_ne_u32_e32 vcc, s3, v15
	v_mov_b32_e32 v24, 0x7f800001
	s_and_saveexec_b64 s[8:9], vcc
	s_cbranch_execz .LBB428_454
; %bb.453:
	v_and_b32_e32 v22, 7, v14
	v_ffbh_u32_e32 v35, v22
	v_min_u32_e32 v35, 32, v35
	v_subrev_u32_e32 v36, 28, v35
	v_lshlrev_b64 v[36:37], v36, v[14:15]
	v_lshrrev_b32_e32 v24, 3, v15
	v_sub_u32_e32 v35, 29, v35
	v_and_b32_e32 v36, 7, v36
	v_cmp_gt_u32_e32 vcc, 8, v15
	v_cndmask_b32_e32 v15, v24, v35, vcc
	v_cndmask_b32_e32 v22, v22, v36, vcc
	v_lshlrev_b32_e32 v14, 24, v14
	v_bfrev_b32_e32 v24, 60
	v_lshlrev_b32_e32 v22, 20, v22
	v_and_b32_e32 v14, 0x80000000, v14
	v_lshl_add_u32 v15, v15, 23, v24
	v_or3_b32 v24, v14, v15, v22
.LBB428_454:
	s_or_b64 exec, exec, s[8:9]
.LBB428_455:
	s_or_b64 exec, exec, s[6:7]
.LBB428_456:
	s_or_b64 exec, exec, s[4:5]
	v_add_f32_e32 v14, 0x358637bd, v28
	v_div_scale_f32 v15, s[4:5], v14, v14, 1.0
	v_rcp_f32_e32 v22, v15
	v_div_scale_f32 v28, vcc, 1.0, v14, 1.0
	v_sub_f32_e32 v26, v26, v27
	v_fma_f32 v35, -v15, v22, 1.0
	v_fmac_f32_e32 v22, v35, v22
	v_mul_f32_e32 v35, v28, v22
	v_fma_f32 v36, -v15, v35, v28
	v_mul_f32_e32 v26, 0x3fb8aa3b, v26
	v_fmac_f32_e32 v35, v36, v22
	v_exp_f32_e32 v26, v26
	v_fma_f32 v15, -v15, v35, v28
	v_div_fmas_f32 v15, v15, v22, v35
	v_div_fixup_f32 v14, v15, v14, 1.0
	v_mul_f32_e32 v14, v26, v14
	v_pk_mul_f32 v[20:21], v[20:21], v[14:15] op_sel_hi:[1,0]
	v_pk_mul_f32 v[14:15], v[18:19], v[14:15] op_sel_hi:[1,0]
	v_cvt_f16_f32_e32 v14, v14
	v_cvt_f16_f32_e32 v15, v15
	;; [unrolled: 1-line block ×4, first 2 shown]
	v_cvt_pkrtz_f16_f32 v22, v33, v23
	v_pack_b32_f16 v14, v14, v15
	v_cvt_pkrtz_f16_f32 v23, v34, v24
	v_pack_b32_f16 v15, v18, v19
	v_cvt_pkrtz_f16_f32 v18, v30, v29
	v_cvt_pkrtz_f16_f32 v19, v32, v31
	v_mov_b32_e32 v21, 0
	s_nop 0
	v_mfma_f32_4x4x4f16 a[0:3], v[14:15], v[18:19], 0 cbsz:4
	v_mfma_f32_4x4x4f16 a[0:3], v[14:15], v[22:23], a[0:3] cbsz:4 abid:1
	v_mov_b32_e32 v22, 0
	v_cmp_ne_u16_sdwa s[6:7], v16, v22 src0_sel:BYTE_0 src1_sel:DWORD
	s_and_saveexec_b64 s[4:5], s[6:7]
	s_cbranch_execz .LBB428_462
; %bb.457:
	s_movk_i32 s3, 0x80
	v_cmp_ne_u16_sdwa s[8:9], v16, s3 src0_sel:BYTE_0 src1_sel:DWORD
	v_bfrev_b32_e32 v21, 1
	s_and_saveexec_b64 s[6:7], s[8:9]
	s_cbranch_execz .LBB428_461
; %bb.458:
	s_movk_i32 s3, 0x7f
	v_and_b32_e32 v18, 0x7f, v16
	v_cmp_ne_u32_e32 vcc, s3, v18
	v_mov_b32_e32 v21, 0x7f800001
	s_and_saveexec_b64 s[8:9], vcc
	s_cbranch_execz .LBB428_460
; %bb.459:
	v_and_b32_e32 v19, 7, v16
	v_ffbh_u32_e32 v19, v19
	v_min_u32_e32 v19, 32, v19
	v_subrev_u32_e32 v21, 28, v19
	v_cmp_gt_u32_e32 vcc, 8, v18
	v_lshrrev_b32_e32 v20, 3, v18
	v_sub_u32_e32 v19, 29, v19
	v_cndmask_b32_e32 v18, 0, v21, vcc
	v_cndmask_b32_e32 v20, v20, v19, vcc
	v_lshlrev_b64 v[18:19], v18, v[16:17]
	v_lshlrev_b32_e32 v18, 20, v18
	v_lshlrev_b32_e32 v19, 24, v16
	v_bfrev_b32_e32 v21, 60
	v_and_b32_e32 v18, 0x700000, v18
	v_and_b32_e32 v19, 0x80000000, v19
	v_lshl_add_u32 v20, v20, 23, v21
	v_or3_b32 v21, v19, v20, v18
.LBB428_460:
	s_or_b64 exec, exec, s[8:9]
.LBB428_461:
	s_or_b64 exec, exec, s[6:7]
.LBB428_462:
	s_or_b64 exec, exec, s[4:5]
	v_lshrrev_b16_e32 v18, 8, v16
	v_cmp_ne_u16_e32 vcc, 0, v18
	v_mov_b32_e32 v23, 0
	s_and_saveexec_b64 s[4:5], vcc
	s_cbranch_execz .LBB428_468
; %bb.463:
	s_movk_i32 s3, 0x80
	v_cmp_ne_u16_e32 vcc, s3, v18
	v_bfrev_b32_e32 v23, 1
	s_and_saveexec_b64 s[6:7], vcc
	s_cbranch_execz .LBB428_467
; %bb.464:
	s_movk_i32 s3, 0x7f
	v_and_b32_e32 v19, 0x7f, v18
	v_cmp_ne_u32_e32 vcc, s3, v19
	v_mov_b32_e32 v23, 0x7f800001
	s_and_saveexec_b64 s[8:9], vcc
	s_cbranch_execz .LBB428_466
; %bb.465:
	v_and_b32_e32 v20, 7, v18
	v_ffbh_u32_e32 v24, v20
	v_min_u32_e32 v24, 32, v24
	v_subrev_u32_e32 v26, 28, v24
	v_lshlrev_b64 v[26:27], v26, v[18:19]
	v_lshrrev_b32_e32 v23, 3, v19
	v_sub_u32_e32 v18, 29, v24
	v_and_b32_e32 v24, 7, v26
	v_cmp_gt_u32_e32 vcc, 8, v19
	v_cndmask_b32_e32 v18, v23, v18, vcc
	v_cndmask_b32_e32 v19, v20, v24, vcc
	v_lshlrev_b32_e32 v20, 16, v16
	v_bfrev_b32_e32 v23, 60
	v_lshlrev_b32_e32 v19, 20, v19
	v_and_b32_e32 v20, 0x80000000, v20
	v_lshl_add_u32 v18, v18, 23, v23
	v_or3_b32 v23, v20, v18, v19
.LBB428_466:
	s_or_b64 exec, exec, s[8:9]
.LBB428_467:
	s_or_b64 exec, exec, s[6:7]
.LBB428_468:
	s_or_b64 exec, exec, s[4:5]
	s_movk_i32 s3, 0xff
	v_and_b32_sdwa v19, v16, s3 dst_sel:DWORD dst_unused:UNUSED_PAD src0_sel:WORD_1 src1_sel:DWORD
	v_lshrrev_b32_e32 v18, 16, v16
	v_cmp_ne_u16_e32 vcc, 0, v19
	s_and_saveexec_b64 s[4:5], vcc
	s_cbranch_execz .LBB428_474
; %bb.469:
	s_movk_i32 s3, 0x80
	v_cmp_ne_u16_e32 vcc, s3, v19
	v_bfrev_b32_e32 v22, 1
	s_and_saveexec_b64 s[6:7], vcc
	s_cbranch_execz .LBB428_473
; %bb.470:
	v_bfe_u32 v19, v16, 16, 7
	s_movk_i32 s3, 0x7f
	v_cmp_ne_u32_e32 vcc, s3, v19
	v_mov_b32_e32 v22, 0x7f800001
	s_and_saveexec_b64 s[8:9], vcc
	s_cbranch_execz .LBB428_472
; %bb.471:
	v_and_b32_e32 v20, 7, v18
	v_ffbh_u32_e32 v24, v20
	v_min_u32_e32 v24, 32, v24
	v_subrev_u32_e32 v26, 28, v24
	v_lshlrev_b64 v[26:27], v26, v[18:19]
	v_sub_u32_e32 v18, 29, v24
	v_and_b32_e32 v24, 7, v26
	v_cmp_gt_u32_e32 vcc, 8, v19
	v_lshrrev_b32_e32 v22, 3, v19
	v_cndmask_b32_e32 v19, v20, v24, vcc
	v_mov_b32_e32 v20, 24
	v_cndmask_b32_e32 v18, v22, v18, vcc
	v_lshlrev_b32_sdwa v20, v20, v16 dst_sel:DWORD dst_unused:UNUSED_PAD src0_sel:DWORD src1_sel:WORD_1
	v_bfrev_b32_e32 v22, 60
	v_lshlrev_b32_e32 v19, 20, v19
	v_and_b32_e32 v20, 0x80000000, v20
	v_lshl_add_u32 v18, v18, 23, v22
	v_or3_b32 v22, v20, v18, v19
.LBB428_472:
	s_or_b64 exec, exec, s[8:9]
.LBB428_473:
	s_or_b64 exec, exec, s[6:7]
.LBB428_474:
	s_or_b64 exec, exec, s[4:5]
	s_mov_b32 s3, 0xffffff
	v_cmp_lt_u32_e32 vcc, s3, v16
	v_mov_b32_e32 v19, 0
	v_mov_b32_e32 v24, 0
	s_and_saveexec_b64 s[4:5], vcc
	s_cbranch_execz .LBB428_480
; %bb.475:
	v_lshrrev_b32_e32 v18, 24, v16
	s_movk_i32 s3, 0x80
	v_cmp_ne_u32_e32 vcc, s3, v18
	v_bfrev_b32_e32 v24, 1
	s_and_saveexec_b64 s[6:7], vcc
	s_cbranch_execz .LBB428_479
; %bb.476:
	v_bfe_u32 v20, v16, 24, 7
	s_movk_i32 s3, 0x7f
	v_cmp_ne_u32_e32 vcc, s3, v20
	v_mov_b32_e32 v24, 0x7f800001
	s_and_saveexec_b64 s[8:9], vcc
	s_cbranch_execz .LBB428_478
; %bb.477:
	v_and_b32_e32 v24, 7, v18
	v_ffbh_u32_e32 v26, v24
	v_min_u32_e32 v29, 32, v26
	v_subrev_u32_e32 v26, 28, v29
	v_lshlrev_b64 v[26:27], v26, v[18:19]
	v_lshrrev_b32_e32 v28, 3, v20
	v_sub_u32_e32 v27, 29, v29
	v_and_b32_e32 v26, 7, v26
	v_cmp_gt_u32_e32 vcc, 8, v20
	v_cndmask_b32_e32 v20, v28, v27, vcc
	v_cndmask_b32_e32 v24, v24, v26, vcc
	v_lshlrev_b32_e32 v18, 24, v18
	v_bfrev_b32_e32 v26, 60
	v_lshlrev_b32_e32 v24, 20, v24
	v_and_b32_e32 v18, 0x80000000, v18
	v_lshl_add_u32 v20, v20, 23, v26
	v_or3_b32 v24, v18, v20, v24
.LBB428_478:
	s_or_b64 exec, exec, s[8:9]
.LBB428_479:
	s_or_b64 exec, exec, s[6:7]
.LBB428_480:
	s_or_b64 exec, exec, s[4:5]
	v_mov_b32_e32 v18, v17
	v_cmp_ne_u16_sdwa s[6:7], v17, v19 src0_sel:BYTE_0 src1_sel:DWORD
	s_and_saveexec_b64 s[4:5], s[6:7]
	s_cbranch_execz .LBB428_486
; %bb.481:
	s_movk_i32 s3, 0x80
	v_cmp_ne_u16_sdwa s[8:9], v17, s3 src0_sel:BYTE_0 src1_sel:DWORD
	v_bfrev_b32_e32 v20, 1
	s_and_saveexec_b64 s[6:7], s[8:9]
	s_cbranch_execz .LBB428_485
; %bb.482:
	s_movk_i32 s3, 0x7f
	v_and_b32_e32 v26, 0x7f, v17
	v_cmp_ne_u32_e32 vcc, s3, v26
	v_mov_b32_e32 v20, 0x7f800001
	s_and_saveexec_b64 s[8:9], vcc
	s_cbranch_execz .LBB428_484
; %bb.483:
	v_and_b32_e32 v20, 7, v17
	v_ffbh_u32_e32 v20, v20
	v_min_u32_e32 v20, 32, v20
	v_subrev_u32_e32 v28, 28, v20
	v_cmp_gt_u32_e32 vcc, 8, v26
	v_lshrrev_b32_e32 v27, 3, v26
	v_sub_u32_e32 v20, 29, v20
	v_cndmask_b32_e32 v26, 0, v28, vcc
	v_cndmask_b32_e32 v20, v27, v20, vcc
	v_lshlrev_b64 v[26:27], v26, v[18:19]
	v_lshlrev_b32_e32 v19, 20, v26
	v_lshlrev_b32_e32 v26, 24, v18
	v_bfrev_b32_e32 v27, 60
	v_and_b32_e32 v19, 0x700000, v19
	v_and_b32_e32 v26, 0x80000000, v26
	v_lshl_add_u32 v20, v20, 23, v27
	v_or3_b32 v20, v26, v20, v19
.LBB428_484:
	s_or_b64 exec, exec, s[8:9]
.LBB428_485:
	s_or_b64 exec, exec, s[6:7]
	v_mov_b32_e32 v19, v20
.LBB428_486:
	s_or_b64 exec, exec, s[4:5]
	v_lshrrev_b16_e32 v20, 8, v18
	v_cmp_ne_u16_e32 vcc, 0, v20
	v_mov_b32_e32 v26, 0
	v_mov_b32_e32 v27, 0
	s_and_saveexec_b64 s[4:5], vcc
	s_cbranch_execz .LBB428_492
; %bb.487:
	s_movk_i32 s3, 0x80
	v_cmp_ne_u16_e32 vcc, s3, v20
	v_bfrev_b32_e32 v27, 1
	s_and_saveexec_b64 s[6:7], vcc
	s_cbranch_execz .LBB428_491
; %bb.488:
	s_movk_i32 s3, 0x7f
	v_and_b32_e32 v28, 0x7f, v20
	v_cmp_ne_u32_e32 vcc, s3, v28
	v_mov_b32_e32 v27, 0x7f800001
	s_and_saveexec_b64 s[8:9], vcc
	s_cbranch_execz .LBB428_490
; %bb.489:
	v_and_b32_e32 v27, 7, v20
	v_ffbh_u32_e32 v30, v27
	v_min_u32_e32 v32, 32, v30
	v_subrev_u32_e32 v30, 28, v32
	v_lshlrev_b64 v[30:31], v30, v[20:21]
	v_lshrrev_b32_e32 v29, 3, v28
	v_sub_u32_e32 v20, 29, v32
	v_and_b32_e32 v30, 7, v30
	v_cmp_gt_u32_e32 vcc, 8, v28
	v_cndmask_b32_e32 v20, v29, v20, vcc
	v_cndmask_b32_e32 v27, v27, v30, vcc
	v_lshlrev_b32_e32 v18, 16, v18
	v_bfrev_b32_e32 v28, 60
	v_lshlrev_b32_e32 v27, 20, v27
	v_and_b32_e32 v18, 0x80000000, v18
	v_lshl_add_u32 v20, v20, 23, v28
	v_or3_b32 v27, v18, v20, v27
.LBB428_490:
	s_or_b64 exec, exec, s[8:9]
.LBB428_491:
	s_or_b64 exec, exec, s[6:7]
.LBB428_492:
	s_or_b64 exec, exec, s[4:5]
	s_movk_i32 s3, 0xff
	v_and_b32_sdwa v20, v17, s3 dst_sel:DWORD dst_unused:UNUSED_PAD src0_sel:WORD_1 src1_sel:DWORD
	v_lshrrev_b32_e32 v18, 16, v17
	v_cmp_ne_u16_e32 vcc, 0, v20
	s_and_saveexec_b64 s[4:5], vcc
	s_cbranch_execz .LBB428_498
; %bb.493:
	s_movk_i32 s3, 0x80
	v_cmp_ne_u16_e32 vcc, s3, v20
	v_bfrev_b32_e32 v26, 1
	s_and_saveexec_b64 s[6:7], vcc
	s_cbranch_execz .LBB428_497
; %bb.494:
	v_bfe_u32 v20, v17, 16, 7
	s_movk_i32 s3, 0x7f
	v_cmp_ne_u32_e32 vcc, s3, v20
	v_mov_b32_e32 v26, 0x7f800001
	s_and_saveexec_b64 s[8:9], vcc
	s_cbranch_execz .LBB428_496
; %bb.495:
	v_and_b32_e32 v26, 7, v18
	v_ffbh_u32_e32 v28, v26
	v_min_u32_e32 v31, 32, v28
	v_subrev_u32_e32 v28, 28, v31
	v_lshlrev_b64 v[28:29], v28, v[18:19]
	v_and_b32_e32 v28, 7, v28
	v_cmp_gt_u32_e32 vcc, 8, v20
	v_lshrrev_b32_e32 v30, 3, v20
	v_sub_u32_e32 v18, 29, v31
	v_cndmask_b32_e32 v20, v26, v28, vcc
	v_mov_b32_e32 v26, 24
	v_cndmask_b32_e32 v18, v30, v18, vcc
	v_lshlrev_b32_sdwa v26, v26, v17 dst_sel:DWORD dst_unused:UNUSED_PAD src0_sel:DWORD src1_sel:WORD_1
	v_bfrev_b32_e32 v28, 60
	v_lshlrev_b32_e32 v20, 20, v20
	v_and_b32_e32 v26, 0x80000000, v26
	v_lshl_add_u32 v18, v18, 23, v28
	v_or3_b32 v26, v26, v18, v20
.LBB428_496:
	s_or_b64 exec, exec, s[8:9]
.LBB428_497:
	s_or_b64 exec, exec, s[6:7]
.LBB428_498:
	s_or_b64 exec, exec, s[4:5]
	s_mov_b32 s4, -1
	s_mov_b32 s5, 0xffffff
	v_cmp_lt_u64_e32 vcc, s[4:5], v[16:17]
	v_mov_b32_e32 v20, 0
	v_mov_b32_e32 v18, 0
	s_and_saveexec_b64 s[4:5], vcc
	s_cbranch_execz .LBB428_504
; %bb.499:
	v_lshrrev_b32_e32 v16, 24, v17
	s_movk_i32 s3, 0x80
	v_cmp_ne_u32_e32 vcc, s3, v16
	v_bfrev_b32_e32 v18, 1
	s_and_saveexec_b64 s[6:7], vcc
	s_cbranch_execz .LBB428_503
; %bb.500:
	v_bfe_u32 v17, v17, 24, 7
	s_movk_i32 s3, 0x7f
	v_cmp_ne_u32_e32 vcc, s3, v17
	v_mov_b32_e32 v18, 0x7f800001
	s_and_saveexec_b64 s[8:9], vcc
	s_cbranch_execz .LBB428_502
; %bb.501:
	v_and_b32_e32 v18, 7, v16
	v_ffbh_u32_e32 v28, v18
	v_min_u32_e32 v31, 32, v28
	v_subrev_u32_e32 v28, 28, v31
	v_lshlrev_b64 v[28:29], v28, v[16:17]
	v_lshrrev_b32_e32 v30, 3, v17
	v_sub_u32_e32 v29, 29, v31
	v_and_b32_e32 v28, 7, v28
	v_cmp_gt_u32_e32 vcc, 8, v17
	v_cndmask_b32_e32 v17, v30, v29, vcc
	v_cndmask_b32_e32 v18, v18, v28, vcc
	v_lshlrev_b32_e32 v16, 24, v16
	v_bfrev_b32_e32 v28, 60
	v_lshlrev_b32_e32 v18, 20, v18
	v_and_b32_e32 v16, 0x80000000, v16
	v_lshl_add_u32 v17, v17, 23, v28
	v_or3_b32 v18, v16, v17, v18
.LBB428_502:
	s_or_b64 exec, exec, s[8:9]
.LBB428_503:
	s_or_b64 exec, exec, s[6:7]
.LBB428_504:
	s_or_b64 exec, exec, s[4:5]
	v_cvt_pkrtz_f16_f32 v16, v21, v23
	v_cvt_pkrtz_f16_f32 v17, v22, v24
	;; [unrolled: 1-line block ×4, first 2 shown]
	v_mfma_f32_4x4x4f16 a[0:3], v[14:15], v[16:17], a[0:3] cbsz:4 abid:2
	v_cmp_ne_u16_sdwa s[6:7], v10, v20 src0_sel:BYTE_0 src1_sel:DWORD
	v_mfma_f32_4x4x4f16 a[0:3], v[14:15], v[22:23], a[0:3] cbsz:4 abid:3
	s_and_saveexec_b64 s[4:5], s[6:7]
	s_cbranch_execz .LBB428_510
; %bb.505:
	s_movk_i32 s3, 0x80
	v_cmp_ne_u16_sdwa s[8:9], v10, s3 src0_sel:BYTE_0 src1_sel:DWORD
	v_bfrev_b32_e32 v20, 1
	s_and_saveexec_b64 s[6:7], s[8:9]
	s_cbranch_execz .LBB428_509
; %bb.506:
	s_movk_i32 s3, 0x7f
	v_and_b32_e32 v16, 0x7f, v10
	v_cmp_ne_u32_e32 vcc, s3, v16
	v_mov_b32_e32 v20, 0x7f800001
	s_and_saveexec_b64 s[8:9], vcc
	s_cbranch_execz .LBB428_508
; %bb.507:
	v_and_b32_e32 v17, 7, v10
	v_ffbh_u32_e32 v17, v17
	v_min_u32_e32 v17, 32, v17
	v_subrev_u32_e32 v19, 28, v17
	v_cmp_gt_u32_e32 vcc, 8, v16
	v_lshrrev_b32_e32 v18, 3, v16
	v_sub_u32_e32 v17, 29, v17
	v_cndmask_b32_e32 v16, 0, v19, vcc
	v_cndmask_b32_e32 v18, v18, v17, vcc
	v_lshlrev_b64 v[16:17], v16, v[10:11]
	v_lshlrev_b32_e32 v16, 20, v16
	v_lshlrev_b32_e32 v17, 24, v10
	v_bfrev_b32_e32 v19, 60
	v_and_b32_e32 v16, 0x700000, v16
	v_and_b32_e32 v17, 0x80000000, v17
	v_lshl_add_u32 v18, v18, 23, v19
	v_or3_b32 v20, v17, v18, v16
.LBB428_508:
	s_or_b64 exec, exec, s[8:9]
.LBB428_509:
	s_or_b64 exec, exec, s[6:7]
.LBB428_510:
	s_or_b64 exec, exec, s[4:5]
	v_lshrrev_b16_e32 v16, 8, v10
	v_cmp_ne_u16_e32 vcc, 0, v16
	v_mov_b32_e32 v19, 0
	v_mov_b32_e32 v21, 0
	s_and_saveexec_b64 s[4:5], vcc
	s_cbranch_execz .LBB428_516
; %bb.511:
	s_movk_i32 s3, 0x80
	v_cmp_ne_u16_e32 vcc, s3, v16
	v_bfrev_b32_e32 v21, 1
	s_and_saveexec_b64 s[6:7], vcc
	s_cbranch_execz .LBB428_515
; %bb.512:
	s_movk_i32 s3, 0x7f
	v_and_b32_e32 v17, 0x7f, v16
	v_cmp_ne_u32_e32 vcc, s3, v17
	v_mov_b32_e32 v21, 0x7f800001
	s_and_saveexec_b64 s[8:9], vcc
	s_cbranch_execz .LBB428_514
; %bb.513:
	v_and_b32_e32 v18, 7, v16
	v_ffbh_u32_e32 v22, v18
	v_min_u32_e32 v24, 32, v22
	v_subrev_u32_e32 v22, 28, v24
	v_lshlrev_b64 v[22:23], v22, v[16:17]
	v_lshrrev_b32_e32 v21, 3, v17
	v_sub_u32_e32 v16, 29, v24
	v_and_b32_e32 v22, 7, v22
	v_cmp_gt_u32_e32 vcc, 8, v17
	v_cndmask_b32_e32 v16, v21, v16, vcc
	v_cndmask_b32_e32 v17, v18, v22, vcc
	v_lshlrev_b32_e32 v18, 16, v10
	v_bfrev_b32_e32 v21, 60
	v_lshlrev_b32_e32 v17, 20, v17
	v_and_b32_e32 v18, 0x80000000, v18
	v_lshl_add_u32 v16, v16, 23, v21
	v_or3_b32 v21, v18, v16, v17
.LBB428_514:
	s_or_b64 exec, exec, s[8:9]
.LBB428_515:
	s_or_b64 exec, exec, s[6:7]
.LBB428_516:
	s_or_b64 exec, exec, s[4:5]
	s_movk_i32 s3, 0xff
	v_and_b32_sdwa v17, v10, s3 dst_sel:DWORD dst_unused:UNUSED_PAD src0_sel:WORD_1 src1_sel:DWORD
	v_lshrrev_b32_e32 v16, 16, v10
	v_cmp_ne_u16_e32 vcc, 0, v17
	s_and_saveexec_b64 s[4:5], vcc
	s_cbranch_execz .LBB428_522
; %bb.517:
	s_movk_i32 s3, 0x80
	v_cmp_ne_u16_e32 vcc, s3, v17
	v_bfrev_b32_e32 v19, 1
	s_and_saveexec_b64 s[6:7], vcc
	s_cbranch_execz .LBB428_521
; %bb.518:
	v_bfe_u32 v17, v10, 16, 7
	s_movk_i32 s3, 0x7f
	v_cmp_ne_u32_e32 vcc, s3, v17
	v_mov_b32_e32 v19, 0x7f800001
	s_and_saveexec_b64 s[8:9], vcc
	s_cbranch_execz .LBB428_520
; %bb.519:
	v_and_b32_e32 v22, 7, v16
	v_ffbh_u32_e32 v18, v22
	v_min_u32_e32 v24, 32, v18
	v_subrev_u32_e32 v18, 28, v24
	v_lshlrev_b64 v[18:19], v18, v[16:17]
	v_and_b32_e32 v18, 7, v18
	v_cmp_gt_u32_e32 vcc, 8, v17
	v_lshrrev_b32_e32 v23, 3, v17
	v_sub_u32_e32 v16, 29, v24
	v_cndmask_b32_e32 v17, v22, v18, vcc
	v_mov_b32_e32 v18, 24
	v_cndmask_b32_e32 v16, v23, v16, vcc
	v_lshlrev_b32_sdwa v18, v18, v10 dst_sel:DWORD dst_unused:UNUSED_PAD src0_sel:DWORD src1_sel:WORD_1
	v_bfrev_b32_e32 v19, 60
	v_lshlrev_b32_e32 v17, 20, v17
	v_and_b32_e32 v18, 0x80000000, v18
	v_lshl_add_u32 v16, v16, 23, v19
	v_or3_b32 v19, v18, v16, v17
.LBB428_520:
	s_or_b64 exec, exec, s[8:9]
.LBB428_521:
	s_or_b64 exec, exec, s[6:7]
.LBB428_522:
	s_or_b64 exec, exec, s[4:5]
	s_mov_b32 s3, 0xffffff
	v_cmp_lt_u32_e32 vcc, s3, v10
	v_mov_b32_e32 v17, 0
	v_mov_b32_e32 v22, 0
	s_and_saveexec_b64 s[4:5], vcc
	s_cbranch_execz .LBB428_528
; %bb.523:
	v_lshrrev_b32_e32 v16, 24, v10
	s_movk_i32 s3, 0x80
	v_cmp_ne_u32_e32 vcc, s3, v16
	v_bfrev_b32_e32 v22, 1
	s_and_saveexec_b64 s[6:7], vcc
	s_cbranch_execz .LBB428_527
; %bb.524:
	v_bfe_u32 v18, v10, 24, 7
	s_movk_i32 s3, 0x7f
	v_cmp_ne_u32_e32 vcc, s3, v18
	v_mov_b32_e32 v22, 0x7f800001
	s_and_saveexec_b64 s[8:9], vcc
	s_cbranch_execz .LBB428_526
; %bb.525:
	v_and_b32_e32 v24, 7, v16
	v_ffbh_u32_e32 v22, v24
	v_min_u32_e32 v27, 32, v22
	v_subrev_u32_e32 v22, 28, v27
	v_lshlrev_b64 v[22:23], v22, v[16:17]
	v_lshrrev_b32_e32 v26, 3, v18
	v_sub_u32_e32 v23, 29, v27
	v_and_b32_e32 v22, 7, v22
	v_cmp_gt_u32_e32 vcc, 8, v18
	v_cndmask_b32_e32 v18, v26, v23, vcc
	v_cndmask_b32_e32 v22, v24, v22, vcc
	v_lshlrev_b32_e32 v16, 24, v16
	v_bfrev_b32_e32 v23, 60
	v_lshlrev_b32_e32 v22, 20, v22
	v_and_b32_e32 v16, 0x80000000, v16
	v_lshl_add_u32 v18, v18, 23, v23
	v_or3_b32 v22, v16, v18, v22
.LBB428_526:
	s_or_b64 exec, exec, s[8:9]
.LBB428_527:
	s_or_b64 exec, exec, s[6:7]
.LBB428_528:
	s_or_b64 exec, exec, s[4:5]
	v_mov_b32_e32 v16, v11
	v_cmp_ne_u16_sdwa s[6:7], v11, v17 src0_sel:BYTE_0 src1_sel:DWORD
	s_and_saveexec_b64 s[4:5], s[6:7]
	s_cbranch_execz .LBB428_534
; %bb.529:
	s_movk_i32 s3, 0x80
	v_cmp_ne_u16_sdwa s[8:9], v11, s3 src0_sel:BYTE_0 src1_sel:DWORD
	v_bfrev_b32_e32 v18, 1
	s_and_saveexec_b64 s[6:7], s[8:9]
	s_cbranch_execz .LBB428_533
; %bb.530:
	s_movk_i32 s3, 0x7f
	v_and_b32_e32 v23, 0x7f, v11
	v_cmp_ne_u32_e32 vcc, s3, v23
	v_mov_b32_e32 v18, 0x7f800001
	s_and_saveexec_b64 s[8:9], vcc
	s_cbranch_execz .LBB428_532
; %bb.531:
	v_and_b32_e32 v18, 7, v11
	v_ffbh_u32_e32 v18, v18
	v_min_u32_e32 v18, 32, v18
	v_subrev_u32_e32 v26, 28, v18
	v_cmp_gt_u32_e32 vcc, 8, v23
	v_lshrrev_b32_e32 v24, 3, v23
	v_cndmask_b32_e32 v23, 0, v26, vcc
	v_sub_u32_e32 v18, 29, v18
	v_lshlrev_b64 v[26:27], v23, v[16:17]
	v_cndmask_b32_e32 v18, v24, v18, vcc
	v_lshlrev_b32_e32 v17, 20, v26
	v_lshlrev_b32_e32 v23, 24, v16
	v_bfrev_b32_e32 v24, 60
	v_and_b32_e32 v17, 0x700000, v17
	v_and_b32_e32 v23, 0x80000000, v23
	v_lshl_add_u32 v18, v18, 23, v24
	v_or3_b32 v18, v23, v18, v17
.LBB428_532:
	s_or_b64 exec, exec, s[8:9]
.LBB428_533:
	s_or_b64 exec, exec, s[6:7]
	v_mov_b32_e32 v17, v18
.LBB428_534:
	s_or_b64 exec, exec, s[4:5]
	v_lshrrev_b16_e32 v18, 8, v16
	v_cmp_ne_u16_e32 vcc, 0, v18
	v_mov_b32_e32 v23, 0
	v_mov_b32_e32 v24, 0
	s_and_saveexec_b64 s[4:5], vcc
	s_cbranch_execz .LBB428_540
; %bb.535:
	s_movk_i32 s3, 0x80
	v_cmp_ne_u16_e32 vcc, s3, v18
	v_bfrev_b32_e32 v24, 1
	s_and_saveexec_b64 s[6:7], vcc
	s_cbranch_execz .LBB428_539
; %bb.536:
	s_movk_i32 s3, 0x7f
	v_and_b32_e32 v26, 0x7f, v18
	v_cmp_ne_u32_e32 vcc, s3, v26
	v_mov_b32_e32 v24, 0x7f800001
	s_and_saveexec_b64 s[8:9], vcc
	s_cbranch_execz .LBB428_538
; %bb.537:
	v_and_b32_e32 v24, 7, v18
	v_ffbh_u32_e32 v28, v24
	v_min_u32_e32 v30, 32, v28
	v_subrev_u32_e32 v28, 28, v30
	v_lshlrev_b64 v[28:29], v28, v[18:19]
	v_lshrrev_b32_e32 v27, 3, v26
	v_sub_u32_e32 v18, 29, v30
	v_and_b32_e32 v28, 7, v28
	v_cmp_gt_u32_e32 vcc, 8, v26
	v_cndmask_b32_e32 v18, v27, v18, vcc
	v_cndmask_b32_e32 v24, v24, v28, vcc
	v_lshlrev_b32_e32 v16, 16, v16
	v_bfrev_b32_e32 v26, 60
	v_lshlrev_b32_e32 v24, 20, v24
	v_and_b32_e32 v16, 0x80000000, v16
	v_lshl_add_u32 v18, v18, 23, v26
	v_or3_b32 v24, v16, v18, v24
.LBB428_538:
	s_or_b64 exec, exec, s[8:9]
.LBB428_539:
	s_or_b64 exec, exec, s[6:7]
.LBB428_540:
	s_or_b64 exec, exec, s[4:5]
	s_movk_i32 s3, 0xff
	v_and_b32_sdwa v18, v11, s3 dst_sel:DWORD dst_unused:UNUSED_PAD src0_sel:WORD_1 src1_sel:DWORD
	v_lshrrev_b32_e32 v16, 16, v11
	v_cmp_ne_u16_e32 vcc, 0, v18
	s_and_saveexec_b64 s[4:5], vcc
	s_cbranch_execz .LBB428_546
; %bb.541:
	s_movk_i32 s3, 0x80
	v_cmp_ne_u16_e32 vcc, s3, v18
	v_bfrev_b32_e32 v23, 1
	s_and_saveexec_b64 s[6:7], vcc
	s_cbranch_execz .LBB428_545
; %bb.542:
	v_bfe_u32 v18, v11, 16, 7
	s_movk_i32 s3, 0x7f
	v_cmp_ne_u32_e32 vcc, s3, v18
	v_mov_b32_e32 v23, 0x7f800001
	s_and_saveexec_b64 s[8:9], vcc
	s_cbranch_execz .LBB428_544
; %bb.543:
	v_and_b32_e32 v23, 7, v16
	v_ffbh_u32_e32 v26, v23
	v_min_u32_e32 v29, 32, v26
	v_subrev_u32_e32 v26, 28, v29
	v_lshlrev_b64 v[26:27], v26, v[16:17]
	v_and_b32_e32 v26, 7, v26
	v_cmp_gt_u32_e32 vcc, 8, v18
	v_lshrrev_b32_e32 v28, 3, v18
	v_sub_u32_e32 v16, 29, v29
	v_cndmask_b32_e32 v18, v23, v26, vcc
	v_mov_b32_e32 v23, 24
	v_cndmask_b32_e32 v16, v28, v16, vcc
	v_lshlrev_b32_sdwa v23, v23, v11 dst_sel:DWORD dst_unused:UNUSED_PAD src0_sel:DWORD src1_sel:WORD_1
	v_bfrev_b32_e32 v26, 60
	v_lshlrev_b32_e32 v18, 20, v18
	v_and_b32_e32 v23, 0x80000000, v23
	v_lshl_add_u32 v16, v16, 23, v26
	v_or3_b32 v23, v23, v16, v18
.LBB428_544:
	s_or_b64 exec, exec, s[8:9]
.LBB428_545:
	s_or_b64 exec, exec, s[6:7]
.LBB428_546:
	s_or_b64 exec, exec, s[4:5]
	s_mov_b32 s4, -1
	s_mov_b32 s5, 0xffffff
	v_cmp_lt_u64_e32 vcc, s[4:5], v[10:11]
	v_mov_b32_e32 v18, 0
	v_mov_b32_e32 v16, 0
	s_and_saveexec_b64 s[4:5], vcc
	s_cbranch_execz .LBB428_552
; %bb.547:
	v_lshrrev_b32_e32 v10, 24, v11
	s_movk_i32 s3, 0x80
	v_cmp_ne_u32_e32 vcc, s3, v10
	v_bfrev_b32_e32 v16, 1
	s_and_saveexec_b64 s[6:7], vcc
	s_cbranch_execz .LBB428_551
; %bb.548:
	v_bfe_u32 v11, v11, 24, 7
	s_movk_i32 s3, 0x7f
	v_cmp_ne_u32_e32 vcc, s3, v11
	v_mov_b32_e32 v16, 0x7f800001
	s_and_saveexec_b64 s[8:9], vcc
	s_cbranch_execz .LBB428_550
; %bb.549:
	v_and_b32_e32 v16, 7, v10
	v_ffbh_u32_e32 v26, v16
	v_min_u32_e32 v29, 32, v26
	v_subrev_u32_e32 v26, 28, v29
	v_lshlrev_b64 v[26:27], v26, v[10:11]
	v_lshrrev_b32_e32 v28, 3, v11
	v_sub_u32_e32 v27, 29, v29
	v_and_b32_e32 v26, 7, v26
	v_cmp_gt_u32_e32 vcc, 8, v11
	v_cndmask_b32_e32 v11, v28, v27, vcc
	v_cndmask_b32_e32 v16, v16, v26, vcc
	v_lshlrev_b32_e32 v10, 24, v10
	v_bfrev_b32_e32 v26, 60
	v_lshlrev_b32_e32 v16, 20, v16
	v_and_b32_e32 v10, 0x80000000, v10
	v_lshl_add_u32 v11, v11, 23, v26
	v_or3_b32 v16, v10, v11, v16
.LBB428_550:
	s_or_b64 exec, exec, s[8:9]
.LBB428_551:
	s_or_b64 exec, exec, s[6:7]
.LBB428_552:
	s_or_b64 exec, exec, s[4:5]
	v_cvt_pkrtz_f16_f32 v10, v20, v21
	v_cvt_pkrtz_f16_f32 v11, v19, v22
	;; [unrolled: 1-line block ×4, first 2 shown]
	v_mfma_f32_4x4x4f16 a[0:3], v[14:15], v[10:11], a[0:3] cbsz:4 abid:4
	v_cmp_ne_u16_sdwa s[6:7], v12, v18 src0_sel:BYTE_0 src1_sel:DWORD
	v_mfma_f32_4x4x4f16 a[0:3], v[14:15], v[20:21], a[0:3] cbsz:4 abid:5
	s_and_saveexec_b64 s[4:5], s[6:7]
	s_cbranch_execz .LBB428_558
; %bb.553:
	s_movk_i32 s3, 0x80
	v_cmp_ne_u16_sdwa s[8:9], v12, s3 src0_sel:BYTE_0 src1_sel:DWORD
	v_bfrev_b32_e32 v18, 1
	s_and_saveexec_b64 s[6:7], s[8:9]
	s_cbranch_execz .LBB428_557
; %bb.554:
	s_movk_i32 s3, 0x7f
	v_and_b32_e32 v10, 0x7f, v12
	v_cmp_ne_u32_e32 vcc, s3, v10
	v_mov_b32_e32 v18, 0x7f800001
	s_and_saveexec_b64 s[8:9], vcc
	s_cbranch_execz .LBB428_556
; %bb.555:
	v_and_b32_e32 v11, 7, v12
	v_ffbh_u32_e32 v11, v11
	v_min_u32_e32 v11, 32, v11
	v_subrev_u32_e32 v17, 28, v11
	v_cmp_gt_u32_e32 vcc, 8, v10
	v_lshrrev_b32_e32 v16, 3, v10
	v_sub_u32_e32 v11, 29, v11
	v_cndmask_b32_e32 v10, 0, v17, vcc
	v_cndmask_b32_e32 v16, v16, v11, vcc
	v_lshlrev_b64 v[10:11], v10, v[12:13]
	v_lshlrev_b32_e32 v10, 20, v10
	v_lshlrev_b32_e32 v11, 24, v12
	v_bfrev_b32_e32 v17, 60
	v_and_b32_e32 v10, 0x700000, v10
	v_and_b32_e32 v11, 0x80000000, v11
	v_lshl_add_u32 v16, v16, 23, v17
	v_or3_b32 v18, v11, v16, v10
.LBB428_556:
	s_or_b64 exec, exec, s[8:9]
.LBB428_557:
	s_or_b64 exec, exec, s[6:7]
.LBB428_558:
	s_or_b64 exec, exec, s[4:5]
	v_lshrrev_b16_e32 v10, 8, v12
	v_cmp_ne_u16_e32 vcc, 0, v10
	v_mov_b32_e32 v17, 0
	v_mov_b32_e32 v19, 0
	s_and_saveexec_b64 s[4:5], vcc
	s_cbranch_execz .LBB428_564
; %bb.559:
	s_movk_i32 s3, 0x80
	v_cmp_ne_u16_e32 vcc, s3, v10
	v_bfrev_b32_e32 v19, 1
	s_and_saveexec_b64 s[6:7], vcc
	s_cbranch_execz .LBB428_563
; %bb.560:
	s_movk_i32 s3, 0x7f
	v_and_b32_e32 v11, 0x7f, v10
	v_cmp_ne_u32_e32 vcc, s3, v11
	v_mov_b32_e32 v19, 0x7f800001
	s_and_saveexec_b64 s[8:9], vcc
	s_cbranch_execz .LBB428_562
; %bb.561:
	v_and_b32_e32 v16, 7, v10
	v_ffbh_u32_e32 v20, v16
	v_min_u32_e32 v22, 32, v20
	v_subrev_u32_e32 v20, 28, v22
	v_lshlrev_b64 v[20:21], v20, v[10:11]
	v_lshrrev_b32_e32 v19, 3, v11
	v_sub_u32_e32 v10, 29, v22
	v_and_b32_e32 v20, 7, v20
	v_cmp_gt_u32_e32 vcc, 8, v11
	v_cndmask_b32_e32 v10, v19, v10, vcc
	v_cndmask_b32_e32 v11, v16, v20, vcc
	v_lshlrev_b32_e32 v16, 16, v12
	v_bfrev_b32_e32 v19, 60
	v_lshlrev_b32_e32 v11, 20, v11
	v_and_b32_e32 v16, 0x80000000, v16
	v_lshl_add_u32 v10, v10, 23, v19
	v_or3_b32 v19, v16, v10, v11
.LBB428_562:
	s_or_b64 exec, exec, s[8:9]
.LBB428_563:
	s_or_b64 exec, exec, s[6:7]
.LBB428_564:
	s_or_b64 exec, exec, s[4:5]
	s_movk_i32 s3, 0xff
	v_and_b32_sdwa v11, v12, s3 dst_sel:DWORD dst_unused:UNUSED_PAD src0_sel:WORD_1 src1_sel:DWORD
	v_lshrrev_b32_e32 v10, 16, v12
	v_cmp_ne_u16_e32 vcc, 0, v11
	s_and_saveexec_b64 s[4:5], vcc
	s_cbranch_execz .LBB428_570
; %bb.565:
	s_movk_i32 s3, 0x80
	v_cmp_ne_u16_e32 vcc, s3, v11
	v_bfrev_b32_e32 v17, 1
	s_and_saveexec_b64 s[6:7], vcc
	s_cbranch_execz .LBB428_569
; %bb.566:
	v_bfe_u32 v11, v12, 16, 7
	s_movk_i32 s3, 0x7f
	v_cmp_ne_u32_e32 vcc, s3, v11
	v_mov_b32_e32 v17, 0x7f800001
	s_and_saveexec_b64 s[8:9], vcc
	s_cbranch_execz .LBB428_568
; %bb.567:
	v_and_b32_e32 v20, 7, v10
	v_ffbh_u32_e32 v16, v20
	v_min_u32_e32 v22, 32, v16
	v_subrev_u32_e32 v16, 28, v22
	v_lshlrev_b64 v[16:17], v16, v[10:11]
	v_and_b32_e32 v16, 7, v16
	v_cmp_gt_u32_e32 vcc, 8, v11
	v_lshrrev_b32_e32 v21, 3, v11
	v_sub_u32_e32 v10, 29, v22
	v_cndmask_b32_e32 v11, v20, v16, vcc
	v_mov_b32_e32 v16, 24
	v_cndmask_b32_e32 v10, v21, v10, vcc
	v_lshlrev_b32_sdwa v16, v16, v12 dst_sel:DWORD dst_unused:UNUSED_PAD src0_sel:DWORD src1_sel:WORD_1
	v_bfrev_b32_e32 v17, 60
	v_lshlrev_b32_e32 v11, 20, v11
	v_and_b32_e32 v16, 0x80000000, v16
	v_lshl_add_u32 v10, v10, 23, v17
	v_or3_b32 v17, v16, v10, v11
.LBB428_568:
	s_or_b64 exec, exec, s[8:9]
.LBB428_569:
	s_or_b64 exec, exec, s[6:7]
.LBB428_570:
	s_or_b64 exec, exec, s[4:5]
	s_mov_b32 s3, 0xffffff
	v_cmp_lt_u32_e32 vcc, s3, v12
	v_mov_b32_e32 v11, 0
	v_mov_b32_e32 v20, 0
	s_and_saveexec_b64 s[4:5], vcc
	s_cbranch_execz .LBB428_576
; %bb.571:
	v_lshrrev_b32_e32 v10, 24, v12
	s_movk_i32 s3, 0x80
	v_cmp_ne_u32_e32 vcc, s3, v10
	v_bfrev_b32_e32 v20, 1
	s_and_saveexec_b64 s[6:7], vcc
	s_cbranch_execz .LBB428_575
; %bb.572:
	v_bfe_u32 v16, v12, 24, 7
	s_movk_i32 s3, 0x7f
	v_cmp_ne_u32_e32 vcc, s3, v16
	v_mov_b32_e32 v20, 0x7f800001
	s_and_saveexec_b64 s[8:9], vcc
	s_cbranch_execz .LBB428_574
; %bb.573:
	v_and_b32_e32 v22, 7, v10
	v_ffbh_u32_e32 v20, v22
	v_min_u32_e32 v24, 32, v20
	v_subrev_u32_e32 v20, 28, v24
	v_lshlrev_b64 v[20:21], v20, v[10:11]
	v_lshrrev_b32_e32 v23, 3, v16
	v_sub_u32_e32 v21, 29, v24
	v_and_b32_e32 v20, 7, v20
	v_cmp_gt_u32_e32 vcc, 8, v16
	v_cndmask_b32_e32 v16, v23, v21, vcc
	v_cndmask_b32_e32 v20, v22, v20, vcc
	v_lshlrev_b32_e32 v10, 24, v10
	v_bfrev_b32_e32 v21, 60
	v_lshlrev_b32_e32 v20, 20, v20
	v_and_b32_e32 v10, 0x80000000, v10
	v_lshl_add_u32 v16, v16, 23, v21
	v_or3_b32 v20, v10, v16, v20
.LBB428_574:
	s_or_b64 exec, exec, s[8:9]
.LBB428_575:
	s_or_b64 exec, exec, s[6:7]
.LBB428_576:
	s_or_b64 exec, exec, s[4:5]
	v_mov_b32_e32 v10, v13
	v_cmp_ne_u16_sdwa s[6:7], v13, v11 src0_sel:BYTE_0 src1_sel:DWORD
	s_and_saveexec_b64 s[4:5], s[6:7]
	s_cbranch_execz .LBB428_582
; %bb.577:
	s_movk_i32 s3, 0x80
	v_cmp_ne_u16_sdwa s[8:9], v13, s3 src0_sel:BYTE_0 src1_sel:DWORD
	v_bfrev_b32_e32 v16, 1
	s_and_saveexec_b64 s[6:7], s[8:9]
	s_cbranch_execz .LBB428_581
; %bb.578:
	s_movk_i32 s3, 0x7f
	v_and_b32_e32 v21, 0x7f, v13
	v_cmp_ne_u32_e32 vcc, s3, v21
	v_mov_b32_e32 v16, 0x7f800001
	s_and_saveexec_b64 s[8:9], vcc
	s_cbranch_execz .LBB428_580
; %bb.579:
	v_and_b32_e32 v16, 7, v13
	v_ffbh_u32_e32 v16, v16
	v_min_u32_e32 v16, 32, v16
	v_subrev_u32_e32 v23, 28, v16
	v_cmp_gt_u32_e32 vcc, 8, v21
	v_lshrrev_b32_e32 v22, 3, v21
	v_sub_u32_e32 v16, 29, v16
	v_cndmask_b32_e32 v21, 0, v23, vcc
	v_cndmask_b32_e32 v16, v22, v16, vcc
	v_lshlrev_b64 v[22:23], v21, v[10:11]
	v_lshlrev_b32_e32 v11, 20, v22
	v_lshlrev_b32_e32 v21, 24, v10
	v_bfrev_b32_e32 v22, 60
	v_and_b32_e32 v11, 0x700000, v11
	v_and_b32_e32 v21, 0x80000000, v21
	v_lshl_add_u32 v16, v16, 23, v22
	v_or3_b32 v16, v21, v16, v11
.LBB428_580:
	s_or_b64 exec, exec, s[8:9]
.LBB428_581:
	s_or_b64 exec, exec, s[6:7]
	v_mov_b32_e32 v11, v16
.LBB428_582:
	s_or_b64 exec, exec, s[4:5]
	v_lshrrev_b16_e32 v16, 8, v10
	v_cmp_ne_u16_e32 vcc, 0, v16
	v_mov_b32_e32 v21, 0
	v_mov_b32_e32 v22, 0
	s_and_saveexec_b64 s[4:5], vcc
	s_cbranch_execz .LBB428_588
; %bb.583:
	s_movk_i32 s3, 0x80
	v_cmp_ne_u16_e32 vcc, s3, v16
	v_bfrev_b32_e32 v22, 1
	s_and_saveexec_b64 s[6:7], vcc
	s_cbranch_execz .LBB428_587
; %bb.584:
	s_movk_i32 s3, 0x7f
	v_and_b32_e32 v23, 0x7f, v16
	v_cmp_ne_u32_e32 vcc, s3, v23
	v_mov_b32_e32 v22, 0x7f800001
	s_and_saveexec_b64 s[8:9], vcc
	s_cbranch_execz .LBB428_586
; %bb.585:
	v_and_b32_e32 v22, 7, v16
	v_ffbh_u32_e32 v26, v22
	v_min_u32_e32 v28, 32, v26
	v_subrev_u32_e32 v26, 28, v28
	v_lshlrev_b64 v[26:27], v26, v[16:17]
	v_lshrrev_b32_e32 v24, 3, v23
	v_sub_u32_e32 v16, 29, v28
	v_and_b32_e32 v26, 7, v26
	v_cmp_gt_u32_e32 vcc, 8, v23
	v_cndmask_b32_e32 v16, v24, v16, vcc
	v_cndmask_b32_e32 v22, v22, v26, vcc
	v_lshlrev_b32_e32 v10, 16, v10
	v_bfrev_b32_e32 v23, 60
	v_lshlrev_b32_e32 v22, 20, v22
	v_and_b32_e32 v10, 0x80000000, v10
	v_lshl_add_u32 v16, v16, 23, v23
	v_or3_b32 v22, v10, v16, v22
.LBB428_586:
	s_or_b64 exec, exec, s[8:9]
.LBB428_587:
	s_or_b64 exec, exec, s[6:7]
.LBB428_588:
	s_or_b64 exec, exec, s[4:5]
	s_movk_i32 s3, 0xff
	v_and_b32_sdwa v16, v13, s3 dst_sel:DWORD dst_unused:UNUSED_PAD src0_sel:WORD_1 src1_sel:DWORD
	v_lshrrev_b32_e32 v10, 16, v13
	v_cmp_ne_u16_e32 vcc, 0, v16
	s_and_saveexec_b64 s[4:5], vcc
	s_cbranch_execz .LBB428_594
; %bb.589:
	s_movk_i32 s3, 0x80
	v_cmp_ne_u16_e32 vcc, s3, v16
	v_bfrev_b32_e32 v21, 1
	s_and_saveexec_b64 s[6:7], vcc
	s_cbranch_execz .LBB428_593
; %bb.590:
	v_bfe_u32 v16, v13, 16, 7
	s_movk_i32 s3, 0x7f
	v_cmp_ne_u32_e32 vcc, s3, v16
	v_mov_b32_e32 v21, 0x7f800001
	s_and_saveexec_b64 s[8:9], vcc
	s_cbranch_execz .LBB428_592
; %bb.591:
	v_and_b32_e32 v21, 7, v10
	v_ffbh_u32_e32 v24, v21
	v_min_u32_e32 v24, 32, v24
	v_subrev_u32_e32 v26, 28, v24
	v_lshlrev_b64 v[26:27], v26, v[10:11]
	v_sub_u32_e32 v10, 29, v24
	v_and_b32_e32 v24, 7, v26
	v_cmp_gt_u32_e32 vcc, 8, v16
	v_lshrrev_b32_e32 v23, 3, v16
	v_cndmask_b32_e32 v16, v21, v24, vcc
	v_mov_b32_e32 v21, 24
	v_cndmask_b32_e32 v10, v23, v10, vcc
	v_lshlrev_b32_sdwa v21, v21, v13 dst_sel:DWORD dst_unused:UNUSED_PAD src0_sel:DWORD src1_sel:WORD_1
	v_bfrev_b32_e32 v23, 60
	v_lshlrev_b32_e32 v16, 20, v16
	v_and_b32_e32 v21, 0x80000000, v21
	v_lshl_add_u32 v10, v10, 23, v23
	v_or3_b32 v21, v21, v10, v16
.LBB428_592:
	s_or_b64 exec, exec, s[8:9]
.LBB428_593:
	s_or_b64 exec, exec, s[6:7]
.LBB428_594:
	s_or_b64 exec, exec, s[4:5]
	s_mov_b32 s4, -1
	s_mov_b32 s5, 0xffffff
	v_cmp_lt_u64_e32 vcc, s[4:5], v[12:13]
	v_mov_b32_e32 v16, 0
	v_mov_b32_e32 v12, 0
	s_and_saveexec_b64 s[4:5], vcc
	s_cbranch_execz .LBB428_600
; %bb.595:
	v_lshrrev_b32_e32 v10, 24, v13
	s_movk_i32 s3, 0x80
	v_cmp_ne_u32_e32 vcc, s3, v10
	v_bfrev_b32_e32 v12, 1
	s_and_saveexec_b64 s[6:7], vcc
	s_cbranch_execz .LBB428_599
; %bb.596:
	v_bfe_u32 v13, v13, 24, 7
	s_movk_i32 s3, 0x7f
	v_cmp_ne_u32_e32 vcc, s3, v13
	v_mov_b32_e32 v12, 0x7f800001
	s_and_saveexec_b64 s[8:9], vcc
	s_cbranch_execz .LBB428_598
; %bb.597:
	v_and_b32_e32 v12, 7, v10
	v_ffbh_u32_e32 v24, v12
	v_min_u32_e32 v24, 32, v24
	v_subrev_u32_e32 v26, 28, v24
	v_lshlrev_b64 v[26:27], v26, v[10:11]
	v_lshrrev_b32_e32 v23, 3, v13
	v_sub_u32_e32 v24, 29, v24
	v_and_b32_e32 v26, 7, v26
	v_cmp_gt_u32_e32 vcc, 8, v13
	v_cndmask_b32_e32 v13, v23, v24, vcc
	v_cndmask_b32_e32 v12, v12, v26, vcc
	v_lshlrev_b32_e32 v10, 24, v10
	v_bfrev_b32_e32 v23, 60
	v_lshlrev_b32_e32 v12, 20, v12
	v_and_b32_e32 v10, 0x80000000, v10
	v_lshl_add_u32 v13, v13, 23, v23
	v_or3_b32 v12, v10, v13, v12
.LBB428_598:
	s_or_b64 exec, exec, s[8:9]
.LBB428_599:
	s_or_b64 exec, exec, s[6:7]
.LBB428_600:
	s_or_b64 exec, exec, s[4:5]
	v_cvt_pkrtz_f16_f32 v18, v18, v19
	v_cvt_pkrtz_f16_f32 v19, v17, v20
	;; [unrolled: 1-line block ×4, first 2 shown]
	v_mfma_f32_4x4x4f16 a[0:3], v[14:15], v[18:19], a[0:3] cbsz:4 abid:6
	s_waitcnt vmcnt(0)
	v_cmp_ne_u16_sdwa s[6:7], v6, v16 src0_sel:BYTE_0 src1_sel:DWORD
	v_mfma_f32_4x4x4f16 a[0:3], v[14:15], v[10:11], a[0:3] cbsz:4 abid:7
	s_and_saveexec_b64 s[4:5], s[6:7]
	s_cbranch_execz .LBB428_606
; %bb.601:
	s_movk_i32 s3, 0x80
	v_cmp_ne_u16_sdwa s[8:9], v6, s3 src0_sel:BYTE_0 src1_sel:DWORD
	v_bfrev_b32_e32 v16, 1
	s_and_saveexec_b64 s[6:7], s[8:9]
	s_cbranch_execz .LBB428_605
; %bb.602:
	s_movk_i32 s3, 0x7f
	v_and_b32_e32 v10, 0x7f, v6
	v_cmp_ne_u32_e32 vcc, s3, v10
	v_mov_b32_e32 v16, 0x7f800001
	s_and_saveexec_b64 s[8:9], vcc
	s_cbranch_execz .LBB428_604
; %bb.603:
	v_and_b32_e32 v11, 7, v6
	v_ffbh_u32_e32 v11, v11
	v_min_u32_e32 v11, 32, v11
	v_subrev_u32_e32 v13, 28, v11
	v_cmp_gt_u32_e32 vcc, 8, v10
	v_lshrrev_b32_e32 v12, 3, v10
	v_sub_u32_e32 v11, 29, v11
	v_cndmask_b32_e32 v10, 0, v13, vcc
	v_cndmask_b32_e32 v12, v12, v11, vcc
	v_lshlrev_b64 v[10:11], v10, v[6:7]
	v_lshlrev_b32_e32 v10, 20, v10
	v_lshlrev_b32_e32 v11, 24, v6
	v_bfrev_b32_e32 v13, 60
	v_and_b32_e32 v10, 0x700000, v10
	v_and_b32_e32 v11, 0x80000000, v11
	v_lshl_add_u32 v12, v12, 23, v13
	v_or3_b32 v16, v11, v12, v10
.LBB428_604:
	s_or_b64 exec, exec, s[8:9]
.LBB428_605:
	s_or_b64 exec, exec, s[6:7]
.LBB428_606:
	s_or_b64 exec, exec, s[4:5]
	v_lshrrev_b16_e32 v10, 8, v6
	v_cmp_ne_u16_e32 vcc, 0, v10
	v_mov_b32_e32 v13, 0
	v_mov_b32_e32 v17, 0
	s_and_saveexec_b64 s[4:5], vcc
	s_cbranch_execz .LBB428_612
; %bb.607:
	s_movk_i32 s3, 0x80
	v_cmp_ne_u16_e32 vcc, s3, v10
	v_bfrev_b32_e32 v17, 1
	s_and_saveexec_b64 s[6:7], vcc
	s_cbranch_execz .LBB428_611
; %bb.608:
	s_movk_i32 s3, 0x7f
	v_and_b32_e32 v11, 0x7f, v10
	v_cmp_ne_u32_e32 vcc, s3, v11
	v_mov_b32_e32 v17, 0x7f800001
	s_and_saveexec_b64 s[8:9], vcc
	s_cbranch_execz .LBB428_610
; %bb.609:
	v_and_b32_e32 v12, 7, v10
	v_ffbh_u32_e32 v18, v12
	v_min_u32_e32 v20, 32, v18
	v_subrev_u32_e32 v18, 28, v20
	v_lshlrev_b64 v[18:19], v18, v[10:11]
	v_lshrrev_b32_e32 v17, 3, v11
	v_sub_u32_e32 v10, 29, v20
	v_and_b32_e32 v18, 7, v18
	v_cmp_gt_u32_e32 vcc, 8, v11
	v_cndmask_b32_e32 v10, v17, v10, vcc
	v_cndmask_b32_e32 v11, v12, v18, vcc
	v_lshlrev_b32_e32 v12, 16, v6
	v_bfrev_b32_e32 v17, 60
	v_lshlrev_b32_e32 v11, 20, v11
	v_and_b32_e32 v12, 0x80000000, v12
	v_lshl_add_u32 v10, v10, 23, v17
	v_or3_b32 v17, v12, v10, v11
.LBB428_610:
	s_or_b64 exec, exec, s[8:9]
.LBB428_611:
	s_or_b64 exec, exec, s[6:7]
.LBB428_612:
	s_or_b64 exec, exec, s[4:5]
	s_movk_i32 s3, 0xff
	v_and_b32_sdwa v11, v6, s3 dst_sel:DWORD dst_unused:UNUSED_PAD src0_sel:WORD_1 src1_sel:DWORD
	v_lshrrev_b32_e32 v10, 16, v6
	v_cmp_ne_u16_e32 vcc, 0, v11
	s_and_saveexec_b64 s[4:5], vcc
	s_cbranch_execz .LBB428_618
; %bb.613:
	s_movk_i32 s3, 0x80
	v_cmp_ne_u16_e32 vcc, s3, v11
	v_bfrev_b32_e32 v13, 1
	s_and_saveexec_b64 s[6:7], vcc
	s_cbranch_execz .LBB428_617
; %bb.614:
	v_bfe_u32 v11, v6, 16, 7
	s_movk_i32 s3, 0x7f
	v_cmp_ne_u32_e32 vcc, s3, v11
	v_mov_b32_e32 v13, 0x7f800001
	s_and_saveexec_b64 s[8:9], vcc
	s_cbranch_execz .LBB428_616
; %bb.615:
	v_and_b32_e32 v18, 7, v10
	v_ffbh_u32_e32 v12, v18
	v_min_u32_e32 v20, 32, v12
	v_subrev_u32_e32 v12, 28, v20
	v_lshlrev_b64 v[12:13], v12, v[10:11]
	v_and_b32_e32 v12, 7, v12
	v_cmp_gt_u32_e32 vcc, 8, v11
	v_lshrrev_b32_e32 v19, 3, v11
	v_sub_u32_e32 v10, 29, v20
	v_cndmask_b32_e32 v11, v18, v12, vcc
	v_mov_b32_e32 v12, 24
	v_cndmask_b32_e32 v10, v19, v10, vcc
	v_lshlrev_b32_sdwa v12, v12, v6 dst_sel:DWORD dst_unused:UNUSED_PAD src0_sel:DWORD src1_sel:WORD_1
	v_bfrev_b32_e32 v13, 60
	v_lshlrev_b32_e32 v11, 20, v11
	v_and_b32_e32 v12, 0x80000000, v12
	v_lshl_add_u32 v10, v10, 23, v13
	v_or3_b32 v13, v12, v10, v11
.LBB428_616:
	s_or_b64 exec, exec, s[8:9]
.LBB428_617:
	s_or_b64 exec, exec, s[6:7]
.LBB428_618:
	s_or_b64 exec, exec, s[4:5]
	s_mov_b32 s3, 0xffffff
	v_cmp_lt_u32_e32 vcc, s3, v6
	v_mov_b32_e32 v11, 0
	v_mov_b32_e32 v18, 0
	s_and_saveexec_b64 s[4:5], vcc
	s_cbranch_execz .LBB428_624
; %bb.619:
	v_lshrrev_b32_e32 v10, 24, v6
	s_movk_i32 s3, 0x80
	v_cmp_ne_u32_e32 vcc, s3, v10
	v_bfrev_b32_e32 v18, 1
	s_and_saveexec_b64 s[6:7], vcc
	s_cbranch_execz .LBB428_623
; %bb.620:
	v_bfe_u32 v12, v6, 24, 7
	s_movk_i32 s3, 0x7f
	v_cmp_ne_u32_e32 vcc, s3, v12
	v_mov_b32_e32 v18, 0x7f800001
	s_and_saveexec_b64 s[8:9], vcc
	s_cbranch_execz .LBB428_622
; %bb.621:
	v_and_b32_e32 v20, 7, v10
	v_ffbh_u32_e32 v18, v20
	v_min_u32_e32 v22, 32, v18
	v_subrev_u32_e32 v18, 28, v22
	v_lshlrev_b64 v[18:19], v18, v[10:11]
	v_lshrrev_b32_e32 v21, 3, v12
	v_sub_u32_e32 v19, 29, v22
	v_and_b32_e32 v18, 7, v18
	v_cmp_gt_u32_e32 vcc, 8, v12
	v_cndmask_b32_e32 v12, v21, v19, vcc
	v_cndmask_b32_e32 v18, v20, v18, vcc
	v_lshlrev_b32_e32 v10, 24, v10
	v_bfrev_b32_e32 v19, 60
	v_lshlrev_b32_e32 v18, 20, v18
	v_and_b32_e32 v10, 0x80000000, v10
	v_lshl_add_u32 v12, v12, 23, v19
	v_or3_b32 v18, v10, v12, v18
.LBB428_622:
	s_or_b64 exec, exec, s[8:9]
.LBB428_623:
	s_or_b64 exec, exec, s[6:7]
.LBB428_624:
	s_or_b64 exec, exec, s[4:5]
	v_mov_b32_e32 v10, v7
	v_cmp_ne_u16_sdwa s[6:7], v7, v11 src0_sel:BYTE_0 src1_sel:DWORD
	s_and_saveexec_b64 s[4:5], s[6:7]
	s_cbranch_execz .LBB428_630
; %bb.625:
	s_movk_i32 s3, 0x80
	v_cmp_ne_u16_sdwa s[8:9], v7, s3 src0_sel:BYTE_0 src1_sel:DWORD
	v_bfrev_b32_e32 v12, 1
	s_and_saveexec_b64 s[6:7], s[8:9]
	s_cbranch_execz .LBB428_629
; %bb.626:
	s_movk_i32 s3, 0x7f
	v_and_b32_e32 v19, 0x7f, v7
	v_cmp_ne_u32_e32 vcc, s3, v19
	v_mov_b32_e32 v12, 0x7f800001
	s_and_saveexec_b64 s[8:9], vcc
	s_cbranch_execz .LBB428_628
; %bb.627:
	v_and_b32_e32 v12, 7, v7
	v_ffbh_u32_e32 v12, v12
	v_min_u32_e32 v12, 32, v12
	v_subrev_u32_e32 v21, 28, v12
	v_cmp_gt_u32_e32 vcc, 8, v19
	v_lshrrev_b32_e32 v20, 3, v19
	v_sub_u32_e32 v12, 29, v12
	v_cndmask_b32_e32 v19, 0, v21, vcc
	v_cndmask_b32_e32 v12, v20, v12, vcc
	v_lshlrev_b64 v[20:21], v19, v[10:11]
	v_lshlrev_b32_e32 v11, 20, v20
	v_lshlrev_b32_e32 v19, 24, v10
	v_bfrev_b32_e32 v20, 60
	v_and_b32_e32 v11, 0x700000, v11
	v_and_b32_e32 v19, 0x80000000, v19
	v_lshl_add_u32 v12, v12, 23, v20
	v_or3_b32 v12, v19, v12, v11
.LBB428_628:
	s_or_b64 exec, exec, s[8:9]
.LBB428_629:
	s_or_b64 exec, exec, s[6:7]
	v_mov_b32_e32 v11, v12
.LBB428_630:
	s_or_b64 exec, exec, s[4:5]
	v_lshrrev_b16_e32 v12, 8, v10
	v_cmp_ne_u16_e32 vcc, 0, v12
	v_mov_b32_e32 v19, 0
	v_mov_b32_e32 v20, 0
	s_and_saveexec_b64 s[4:5], vcc
	s_cbranch_execz .LBB428_636
; %bb.631:
	s_movk_i32 s3, 0x80
	v_cmp_ne_u16_e32 vcc, s3, v12
	v_bfrev_b32_e32 v20, 1
	s_and_saveexec_b64 s[6:7], vcc
	s_cbranch_execz .LBB428_635
; %bb.632:
	s_movk_i32 s3, 0x7f
	v_and_b32_e32 v21, 0x7f, v12
	v_cmp_ne_u32_e32 vcc, s3, v21
	v_mov_b32_e32 v20, 0x7f800001
	s_and_saveexec_b64 s[8:9], vcc
	s_cbranch_execz .LBB428_634
; %bb.633:
	v_and_b32_e32 v20, 7, v12
	v_ffbh_u32_e32 v22, v20
	v_min_u32_e32 v26, 32, v22
	v_subrev_u32_e32 v22, 28, v26
	v_lshlrev_b64 v[22:23], v22, v[12:13]
	v_lshrrev_b32_e32 v24, 3, v21
	v_sub_u32_e32 v12, 29, v26
	v_and_b32_e32 v22, 7, v22
	v_cmp_gt_u32_e32 vcc, 8, v21
	v_cndmask_b32_e32 v12, v24, v12, vcc
	v_cndmask_b32_e32 v20, v20, v22, vcc
	v_lshlrev_b32_e32 v10, 16, v10
	v_bfrev_b32_e32 v21, 60
	v_lshlrev_b32_e32 v20, 20, v20
	v_and_b32_e32 v10, 0x80000000, v10
	v_lshl_add_u32 v12, v12, 23, v21
	v_or3_b32 v20, v10, v12, v20
.LBB428_634:
	s_or_b64 exec, exec, s[8:9]
.LBB428_635:
	s_or_b64 exec, exec, s[6:7]
.LBB428_636:
	s_or_b64 exec, exec, s[4:5]
	s_movk_i32 s3, 0xff
	v_and_b32_sdwa v12, v7, s3 dst_sel:DWORD dst_unused:UNUSED_PAD src0_sel:WORD_1 src1_sel:DWORD
	v_lshrrev_b32_e32 v10, 16, v7
	v_cmp_ne_u16_e32 vcc, 0, v12
	s_and_saveexec_b64 s[4:5], vcc
	s_cbranch_execz .LBB428_642
; %bb.637:
	s_movk_i32 s3, 0x80
	v_cmp_ne_u16_e32 vcc, s3, v12
	v_bfrev_b32_e32 v19, 1
	s_and_saveexec_b64 s[6:7], vcc
	s_cbranch_execz .LBB428_641
; %bb.638:
	v_bfe_u32 v12, v7, 16, 7
	s_movk_i32 s3, 0x7f
	v_cmp_ne_u32_e32 vcc, s3, v12
	v_mov_b32_e32 v19, 0x7f800001
	s_and_saveexec_b64 s[8:9], vcc
	s_cbranch_execz .LBB428_640
; %bb.639:
	v_and_b32_e32 v19, 7, v10
	v_ffbh_u32_e32 v22, v19
	v_min_u32_e32 v24, 32, v22
	v_subrev_u32_e32 v22, 28, v24
	v_lshlrev_b64 v[22:23], v22, v[10:11]
	v_and_b32_e32 v22, 7, v22
	v_cmp_gt_u32_e32 vcc, 8, v12
	v_lshrrev_b32_e32 v21, 3, v12
	v_sub_u32_e32 v10, 29, v24
	v_cndmask_b32_e32 v12, v19, v22, vcc
	v_mov_b32_e32 v19, 24
	v_cndmask_b32_e32 v10, v21, v10, vcc
	v_lshlrev_b32_sdwa v19, v19, v7 dst_sel:DWORD dst_unused:UNUSED_PAD src0_sel:DWORD src1_sel:WORD_1
	v_bfrev_b32_e32 v21, 60
	v_lshlrev_b32_e32 v12, 20, v12
	v_and_b32_e32 v19, 0x80000000, v19
	v_lshl_add_u32 v10, v10, 23, v21
	v_or3_b32 v19, v19, v10, v12
.LBB428_640:
	s_or_b64 exec, exec, s[8:9]
.LBB428_641:
	s_or_b64 exec, exec, s[6:7]
.LBB428_642:
	s_or_b64 exec, exec, s[4:5]
	s_mov_b32 s4, -1
	s_mov_b32 s5, 0xffffff
	v_cmp_lt_u64_e32 vcc, s[4:5], v[6:7]
	v_mov_b32_e32 v12, 0
	v_mov_b32_e32 v10, 0
	s_and_saveexec_b64 s[4:5], vcc
	s_cbranch_execz .LBB428_648
; %bb.643:
	v_lshrrev_b32_e32 v6, 24, v7
	s_movk_i32 s3, 0x80
	v_cmp_ne_u32_e32 vcc, s3, v6
	v_bfrev_b32_e32 v10, 1
	s_and_saveexec_b64 s[6:7], vcc
	s_cbranch_execz .LBB428_647
; %bb.644:
	v_bfe_u32 v7, v7, 24, 7
	s_movk_i32 s3, 0x7f
	v_cmp_ne_u32_e32 vcc, s3, v7
	v_mov_b32_e32 v10, 0x7f800001
	s_and_saveexec_b64 s[8:9], vcc
	s_cbranch_execz .LBB428_646
; %bb.645:
	v_and_b32_e32 v10, 7, v6
	v_ffbh_u32_e32 v22, v10
	v_min_u32_e32 v24, 32, v22
	v_subrev_u32_e32 v22, 28, v24
	v_lshlrev_b64 v[22:23], v22, v[6:7]
	v_lshrrev_b32_e32 v21, 3, v7
	v_sub_u32_e32 v23, 29, v24
	v_and_b32_e32 v22, 7, v22
	v_cmp_gt_u32_e32 vcc, 8, v7
	v_cndmask_b32_e32 v7, v21, v23, vcc
	v_cndmask_b32_e32 v10, v10, v22, vcc
	v_lshlrev_b32_e32 v6, 24, v6
	v_bfrev_b32_e32 v21, 60
	v_lshlrev_b32_e32 v10, 20, v10
	v_and_b32_e32 v6, 0x80000000, v6
	v_lshl_add_u32 v7, v7, 23, v21
	v_or3_b32 v10, v6, v7, v10
.LBB428_646:
	s_or_b64 exec, exec, s[8:9]
.LBB428_647:
	s_or_b64 exec, exec, s[6:7]
.LBB428_648:
	s_or_b64 exec, exec, s[4:5]
	v_cvt_pkrtz_f16_f32 v6, v16, v17
	v_cvt_pkrtz_f16_f32 v7, v13, v18
	;; [unrolled: 1-line block ×4, first 2 shown]
	v_mfma_f32_4x4x4f16 a[0:3], v[14:15], v[6:7], a[0:3] cbsz:4 abid:8
	v_cmp_ne_u16_sdwa s[6:7], v8, v12 src0_sel:BYTE_0 src1_sel:DWORD
	v_mfma_f32_4x4x4f16 a[0:3], v[14:15], v[16:17], a[0:3] cbsz:4 abid:9
	s_and_saveexec_b64 s[4:5], s[6:7]
	s_cbranch_execz .LBB428_654
; %bb.649:
	s_movk_i32 s3, 0x80
	v_cmp_ne_u16_sdwa s[8:9], v8, s3 src0_sel:BYTE_0 src1_sel:DWORD
	v_bfrev_b32_e32 v12, 1
	s_and_saveexec_b64 s[6:7], s[8:9]
	s_cbranch_execz .LBB428_653
; %bb.650:
	s_movk_i32 s3, 0x7f
	v_and_b32_e32 v6, 0x7f, v8
	v_cmp_ne_u32_e32 vcc, s3, v6
	v_mov_b32_e32 v12, 0x7f800001
	s_and_saveexec_b64 s[8:9], vcc
	s_cbranch_execz .LBB428_652
; %bb.651:
	v_and_b32_e32 v7, 7, v8
	v_ffbh_u32_e32 v7, v7
	v_min_u32_e32 v7, 32, v7
	v_subrev_u32_e32 v11, 28, v7
	v_cmp_gt_u32_e32 vcc, 8, v6
	v_lshrrev_b32_e32 v10, 3, v6
	v_sub_u32_e32 v7, 29, v7
	v_cndmask_b32_e32 v6, 0, v11, vcc
	v_cndmask_b32_e32 v10, v10, v7, vcc
	v_lshlrev_b64 v[6:7], v6, v[8:9]
	v_lshlrev_b32_e32 v6, 20, v6
	v_lshlrev_b32_e32 v7, 24, v8
	v_bfrev_b32_e32 v11, 60
	v_and_b32_e32 v6, 0x700000, v6
	v_and_b32_e32 v7, 0x80000000, v7
	v_lshl_add_u32 v10, v10, 23, v11
	v_or3_b32 v12, v7, v10, v6
.LBB428_652:
	s_or_b64 exec, exec, s[8:9]
.LBB428_653:
	s_or_b64 exec, exec, s[6:7]
.LBB428_654:
	s_or_b64 exec, exec, s[4:5]
	v_lshrrev_b16_e32 v6, 8, v8
	v_cmp_ne_u16_e32 vcc, 0, v6
	v_mov_b32_e32 v11, 0
	v_mov_b32_e32 v13, 0
	s_and_saveexec_b64 s[4:5], vcc
	s_cbranch_execz .LBB428_660
; %bb.655:
	s_movk_i32 s3, 0x80
	v_cmp_ne_u16_e32 vcc, s3, v6
	v_bfrev_b32_e32 v13, 1
	s_and_saveexec_b64 s[6:7], vcc
	s_cbranch_execz .LBB428_659
; %bb.656:
	s_movk_i32 s3, 0x7f
	v_and_b32_e32 v7, 0x7f, v6
	v_cmp_ne_u32_e32 vcc, s3, v7
	v_mov_b32_e32 v13, 0x7f800001
	s_and_saveexec_b64 s[8:9], vcc
	s_cbranch_execz .LBB428_658
; %bb.657:
	v_and_b32_e32 v10, 7, v6
	v_ffbh_u32_e32 v16, v10
	v_min_u32_e32 v18, 32, v16
	v_subrev_u32_e32 v16, 28, v18
	v_lshlrev_b64 v[16:17], v16, v[6:7]
	v_lshrrev_b32_e32 v13, 3, v7
	v_sub_u32_e32 v6, 29, v18
	v_and_b32_e32 v16, 7, v16
	v_cmp_gt_u32_e32 vcc, 8, v7
	v_cndmask_b32_e32 v6, v13, v6, vcc
	v_cndmask_b32_e32 v7, v10, v16, vcc
	v_lshlrev_b32_e32 v10, 16, v8
	v_bfrev_b32_e32 v13, 60
	v_lshlrev_b32_e32 v7, 20, v7
	v_and_b32_e32 v10, 0x80000000, v10
	v_lshl_add_u32 v6, v6, 23, v13
	v_or3_b32 v13, v10, v6, v7
.LBB428_658:
	s_or_b64 exec, exec, s[8:9]
.LBB428_659:
	s_or_b64 exec, exec, s[6:7]
.LBB428_660:
	s_or_b64 exec, exec, s[4:5]
	s_movk_i32 s3, 0xff
	v_and_b32_sdwa v7, v8, s3 dst_sel:DWORD dst_unused:UNUSED_PAD src0_sel:WORD_1 src1_sel:DWORD
	v_lshrrev_b32_e32 v6, 16, v8
	v_cmp_ne_u16_e32 vcc, 0, v7
	s_and_saveexec_b64 s[4:5], vcc
	s_cbranch_execz .LBB428_666
; %bb.661:
	s_movk_i32 s3, 0x80
	v_cmp_ne_u16_e32 vcc, s3, v7
	v_bfrev_b32_e32 v11, 1
	s_and_saveexec_b64 s[6:7], vcc
	s_cbranch_execz .LBB428_665
; %bb.662:
	v_bfe_u32 v7, v8, 16, 7
	s_movk_i32 s3, 0x7f
	v_cmp_ne_u32_e32 vcc, s3, v7
	v_mov_b32_e32 v11, 0x7f800001
	s_and_saveexec_b64 s[8:9], vcc
	s_cbranch_execz .LBB428_664
; %bb.663:
	v_and_b32_e32 v16, 7, v6
	v_ffbh_u32_e32 v10, v16
	v_min_u32_e32 v18, 32, v10
	v_subrev_u32_e32 v10, 28, v18
	v_lshlrev_b64 v[10:11], v10, v[6:7]
	v_and_b32_e32 v10, 7, v10
	v_cmp_gt_u32_e32 vcc, 8, v7
	v_lshrrev_b32_e32 v17, 3, v7
	v_sub_u32_e32 v6, 29, v18
	v_cndmask_b32_e32 v7, v16, v10, vcc
	v_mov_b32_e32 v10, 24
	v_cndmask_b32_e32 v6, v17, v6, vcc
	v_lshlrev_b32_sdwa v10, v10, v8 dst_sel:DWORD dst_unused:UNUSED_PAD src0_sel:DWORD src1_sel:WORD_1
	v_bfrev_b32_e32 v11, 60
	v_lshlrev_b32_e32 v7, 20, v7
	v_and_b32_e32 v10, 0x80000000, v10
	v_lshl_add_u32 v6, v6, 23, v11
	v_or3_b32 v11, v10, v6, v7
.LBB428_664:
	s_or_b64 exec, exec, s[8:9]
.LBB428_665:
	s_or_b64 exec, exec, s[6:7]
.LBB428_666:
	s_or_b64 exec, exec, s[4:5]
	s_mov_b32 s3, 0xffffff
	v_cmp_lt_u32_e32 vcc, s3, v8
	v_mov_b32_e32 v7, 0
	v_mov_b32_e32 v16, 0
	s_and_saveexec_b64 s[4:5], vcc
	s_cbranch_execz .LBB428_672
; %bb.667:
	v_lshrrev_b32_e32 v6, 24, v8
	s_movk_i32 s3, 0x80
	v_cmp_ne_u32_e32 vcc, s3, v6
	v_bfrev_b32_e32 v16, 1
	s_and_saveexec_b64 s[6:7], vcc
	s_cbranch_execz .LBB428_671
; %bb.668:
	v_bfe_u32 v10, v8, 24, 7
	s_movk_i32 s3, 0x7f
	v_cmp_ne_u32_e32 vcc, s3, v10
	v_mov_b32_e32 v16, 0x7f800001
	s_and_saveexec_b64 s[8:9], vcc
	s_cbranch_execz .LBB428_670
; %bb.669:
	v_and_b32_e32 v18, 7, v6
	v_ffbh_u32_e32 v16, v18
	v_min_u32_e32 v20, 32, v16
	v_subrev_u32_e32 v16, 28, v20
	v_lshlrev_b64 v[16:17], v16, v[6:7]
	v_lshrrev_b32_e32 v19, 3, v10
	v_sub_u32_e32 v17, 29, v20
	v_and_b32_e32 v16, 7, v16
	v_cmp_gt_u32_e32 vcc, 8, v10
	v_cndmask_b32_e32 v10, v19, v17, vcc
	v_cndmask_b32_e32 v16, v18, v16, vcc
	v_lshlrev_b32_e32 v6, 24, v6
	v_bfrev_b32_e32 v17, 60
	v_lshlrev_b32_e32 v16, 20, v16
	v_and_b32_e32 v6, 0x80000000, v6
	v_lshl_add_u32 v10, v10, 23, v17
	v_or3_b32 v16, v6, v10, v16
.LBB428_670:
	s_or_b64 exec, exec, s[8:9]
.LBB428_671:
	s_or_b64 exec, exec, s[6:7]
.LBB428_672:
	s_or_b64 exec, exec, s[4:5]
	v_mov_b32_e32 v6, v9
	v_cmp_ne_u16_sdwa s[6:7], v9, v7 src0_sel:BYTE_0 src1_sel:DWORD
	s_and_saveexec_b64 s[4:5], s[6:7]
	s_cbranch_execz .LBB428_678
; %bb.673:
	s_movk_i32 s3, 0x80
	v_cmp_ne_u16_sdwa s[8:9], v9, s3 src0_sel:BYTE_0 src1_sel:DWORD
	v_bfrev_b32_e32 v10, 1
	s_and_saveexec_b64 s[6:7], s[8:9]
	s_cbranch_execz .LBB428_677
; %bb.674:
	s_movk_i32 s3, 0x7f
	v_and_b32_e32 v17, 0x7f, v9
	v_cmp_ne_u32_e32 vcc, s3, v17
	v_mov_b32_e32 v10, 0x7f800001
	s_and_saveexec_b64 s[8:9], vcc
	s_cbranch_execz .LBB428_676
; %bb.675:
	v_and_b32_e32 v10, 7, v9
	v_ffbh_u32_e32 v10, v10
	v_min_u32_e32 v10, 32, v10
	v_subrev_u32_e32 v19, 28, v10
	v_cmp_gt_u32_e32 vcc, 8, v17
	v_lshrrev_b32_e32 v18, 3, v17
	v_sub_u32_e32 v10, 29, v10
	v_cndmask_b32_e32 v17, 0, v19, vcc
	v_cndmask_b32_e32 v10, v18, v10, vcc
	v_lshlrev_b64 v[18:19], v17, v[6:7]
	v_lshlrev_b32_e32 v7, 20, v18
	v_lshlrev_b32_e32 v17, 24, v6
	v_bfrev_b32_e32 v18, 60
	v_and_b32_e32 v7, 0x700000, v7
	v_and_b32_e32 v17, 0x80000000, v17
	v_lshl_add_u32 v10, v10, 23, v18
	v_or3_b32 v10, v17, v10, v7
.LBB428_676:
	s_or_b64 exec, exec, s[8:9]
.LBB428_677:
	s_or_b64 exec, exec, s[6:7]
	v_mov_b32_e32 v7, v10
.LBB428_678:
	s_or_b64 exec, exec, s[4:5]
	v_lshrrev_b16_e32 v10, 8, v6
	v_cmp_ne_u16_e32 vcc, 0, v10
	v_mov_b32_e32 v17, 0
	v_mov_b32_e32 v18, 0
	s_and_saveexec_b64 s[4:5], vcc
	s_cbranch_execz .LBB428_684
; %bb.679:
	s_movk_i32 s3, 0x80
	v_cmp_ne_u16_e32 vcc, s3, v10
	v_bfrev_b32_e32 v18, 1
	s_and_saveexec_b64 s[6:7], vcc
	s_cbranch_execz .LBB428_683
; %bb.680:
	s_movk_i32 s3, 0x7f
	v_and_b32_e32 v19, 0x7f, v10
	v_cmp_ne_u32_e32 vcc, s3, v19
	v_mov_b32_e32 v18, 0x7f800001
	s_and_saveexec_b64 s[8:9], vcc
	s_cbranch_execz .LBB428_682
; %bb.681:
	v_and_b32_e32 v18, 7, v10
	v_ffbh_u32_e32 v20, v18
	v_min_u32_e32 v23, 32, v20
	v_subrev_u32_e32 v20, 28, v23
	v_lshlrev_b64 v[20:21], v20, v[10:11]
	v_lshrrev_b32_e32 v22, 3, v19
	v_sub_u32_e32 v10, 29, v23
	v_and_b32_e32 v20, 7, v20
	v_cmp_gt_u32_e32 vcc, 8, v19
	v_cndmask_b32_e32 v10, v22, v10, vcc
	v_cndmask_b32_e32 v18, v18, v20, vcc
	v_lshlrev_b32_e32 v6, 16, v6
	v_bfrev_b32_e32 v19, 60
	v_lshlrev_b32_e32 v18, 20, v18
	v_and_b32_e32 v6, 0x80000000, v6
	v_lshl_add_u32 v10, v10, 23, v19
	v_or3_b32 v18, v6, v10, v18
.LBB428_682:
	s_or_b64 exec, exec, s[8:9]
.LBB428_683:
	s_or_b64 exec, exec, s[6:7]
.LBB428_684:
	s_or_b64 exec, exec, s[4:5]
	s_movk_i32 s3, 0xff
	v_and_b32_sdwa v10, v9, s3 dst_sel:DWORD dst_unused:UNUSED_PAD src0_sel:WORD_1 src1_sel:DWORD
	v_lshrrev_b32_e32 v6, 16, v9
	v_cmp_ne_u16_e32 vcc, 0, v10
	s_and_saveexec_b64 s[4:5], vcc
	s_cbranch_execz .LBB428_690
; %bb.685:
	s_movk_i32 s3, 0x80
	v_cmp_ne_u16_e32 vcc, s3, v10
	v_bfrev_b32_e32 v17, 1
	s_and_saveexec_b64 s[6:7], vcc
	s_cbranch_execz .LBB428_689
; %bb.686:
	v_bfe_u32 v10, v9, 16, 7
	s_movk_i32 s3, 0x7f
	v_cmp_ne_u32_e32 vcc, s3, v10
	v_mov_b32_e32 v17, 0x7f800001
	s_and_saveexec_b64 s[8:9], vcc
	s_cbranch_execz .LBB428_688
; %bb.687:
	v_and_b32_e32 v17, 7, v6
	v_ffbh_u32_e32 v20, v17
	v_min_u32_e32 v22, 32, v20
	v_subrev_u32_e32 v20, 28, v22
	v_lshlrev_b64 v[20:21], v20, v[6:7]
	v_and_b32_e32 v20, 7, v20
	v_cmp_gt_u32_e32 vcc, 8, v10
	v_lshrrev_b32_e32 v19, 3, v10
	v_sub_u32_e32 v6, 29, v22
	v_cndmask_b32_e32 v10, v17, v20, vcc
	v_mov_b32_e32 v17, 24
	v_cndmask_b32_e32 v6, v19, v6, vcc
	v_lshlrev_b32_sdwa v17, v17, v9 dst_sel:DWORD dst_unused:UNUSED_PAD src0_sel:DWORD src1_sel:WORD_1
	v_bfrev_b32_e32 v19, 60
	v_lshlrev_b32_e32 v10, 20, v10
	v_and_b32_e32 v17, 0x80000000, v17
	v_lshl_add_u32 v6, v6, 23, v19
	v_or3_b32 v17, v17, v6, v10
.LBB428_688:
	s_or_b64 exec, exec, s[8:9]
.LBB428_689:
	s_or_b64 exec, exec, s[6:7]
.LBB428_690:
	s_or_b64 exec, exec, s[4:5]
	s_mov_b32 s4, -1
	s_mov_b32 s5, 0xffffff
	v_cmp_lt_u64_e32 vcc, s[4:5], v[8:9]
	v_mov_b32_e32 v10, 0
	v_mov_b32_e32 v8, 0
	s_and_saveexec_b64 s[4:5], vcc
	s_cbranch_execz .LBB428_696
; %bb.691:
	v_lshrrev_b32_e32 v6, 24, v9
	s_movk_i32 s3, 0x80
	v_cmp_ne_u32_e32 vcc, s3, v6
	v_bfrev_b32_e32 v8, 1
	s_and_saveexec_b64 s[6:7], vcc
	s_cbranch_execz .LBB428_695
; %bb.692:
	v_bfe_u32 v9, v9, 24, 7
	s_movk_i32 s3, 0x7f
	v_cmp_ne_u32_e32 vcc, s3, v9
	v_mov_b32_e32 v8, 0x7f800001
	s_and_saveexec_b64 s[8:9], vcc
	s_cbranch_execz .LBB428_694
; %bb.693:
	v_and_b32_e32 v8, 7, v6
	v_ffbh_u32_e32 v20, v8
	v_min_u32_e32 v22, 32, v20
	v_subrev_u32_e32 v20, 28, v22
	v_lshlrev_b64 v[20:21], v20, v[6:7]
	v_lshrrev_b32_e32 v19, 3, v9
	v_sub_u32_e32 v21, 29, v22
	v_and_b32_e32 v20, 7, v20
	v_cmp_gt_u32_e32 vcc, 8, v9
	v_cndmask_b32_e32 v9, v19, v21, vcc
	v_cndmask_b32_e32 v8, v8, v20, vcc
	v_lshlrev_b32_e32 v6, 24, v6
	v_bfrev_b32_e32 v19, 60
	v_lshlrev_b32_e32 v8, 20, v8
	v_and_b32_e32 v6, 0x80000000, v6
	v_lshl_add_u32 v9, v9, 23, v19
	v_or3_b32 v8, v6, v9, v8
.LBB428_694:
	s_or_b64 exec, exec, s[8:9]
.LBB428_695:
	s_or_b64 exec, exec, s[6:7]
.LBB428_696:
	s_or_b64 exec, exec, s[4:5]
	v_cvt_pkrtz_f16_f32 v12, v12, v13
	v_cvt_pkrtz_f16_f32 v13, v11, v16
	v_cvt_pkrtz_f16_f32 v6, v7, v18
	v_cvt_pkrtz_f16_f32 v7, v17, v8
	v_mfma_f32_4x4x4f16 a[0:3], v[14:15], v[12:13], a[0:3] cbsz:4 abid:10
	v_cmp_ne_u16_sdwa s[6:7], v2, v10 src0_sel:BYTE_0 src1_sel:DWORD
	v_mfma_f32_4x4x4f16 a[0:3], v[14:15], v[6:7], a[0:3] cbsz:4 abid:11
	s_and_saveexec_b64 s[4:5], s[6:7]
	s_cbranch_execz .LBB428_702
; %bb.697:
	s_movk_i32 s3, 0x80
	v_cmp_ne_u16_sdwa s[8:9], v2, s3 src0_sel:BYTE_0 src1_sel:DWORD
	v_bfrev_b32_e32 v10, 1
	s_and_saveexec_b64 s[6:7], s[8:9]
	s_cbranch_execz .LBB428_701
; %bb.698:
	s_movk_i32 s3, 0x7f
	v_and_b32_e32 v6, 0x7f, v2
	v_cmp_ne_u32_e32 vcc, s3, v6
	v_mov_b32_e32 v10, 0x7f800001
	s_and_saveexec_b64 s[8:9], vcc
	s_cbranch_execz .LBB428_700
; %bb.699:
	v_and_b32_e32 v7, 7, v2
	v_ffbh_u32_e32 v7, v7
	v_min_u32_e32 v7, 32, v7
	v_subrev_u32_e32 v9, 28, v7
	v_cmp_gt_u32_e32 vcc, 8, v6
	v_lshrrev_b32_e32 v8, 3, v6
	v_sub_u32_e32 v7, 29, v7
	v_cndmask_b32_e32 v6, 0, v9, vcc
	v_cndmask_b32_e32 v8, v8, v7, vcc
	v_lshlrev_b64 v[6:7], v6, v[2:3]
	v_lshlrev_b32_e32 v6, 20, v6
	v_lshlrev_b32_e32 v7, 24, v2
	v_bfrev_b32_e32 v9, 60
	v_and_b32_e32 v6, 0x700000, v6
	v_and_b32_e32 v7, 0x80000000, v7
	v_lshl_add_u32 v8, v8, 23, v9
	v_or3_b32 v10, v7, v8, v6
.LBB428_700:
	s_or_b64 exec, exec, s[8:9]
.LBB428_701:
	s_or_b64 exec, exec, s[6:7]
.LBB428_702:
	s_or_b64 exec, exec, s[4:5]
	v_lshrrev_b16_e32 v6, 8, v2
	v_cmp_ne_u16_e32 vcc, 0, v6
	v_mov_b32_e32 v9, 0
	v_mov_b32_e32 v11, 0
	s_and_saveexec_b64 s[4:5], vcc
	s_cbranch_execz .LBB428_708
; %bb.703:
	s_movk_i32 s3, 0x80
	v_cmp_ne_u16_e32 vcc, s3, v6
	v_bfrev_b32_e32 v11, 1
	s_and_saveexec_b64 s[6:7], vcc
	s_cbranch_execz .LBB428_707
; %bb.704:
	s_movk_i32 s3, 0x7f
	v_and_b32_e32 v7, 0x7f, v6
	v_cmp_ne_u32_e32 vcc, s3, v7
	v_mov_b32_e32 v11, 0x7f800001
	s_and_saveexec_b64 s[8:9], vcc
	s_cbranch_execz .LBB428_706
; %bb.705:
	v_and_b32_e32 v8, 7, v6
	v_ffbh_u32_e32 v12, v8
	v_min_u32_e32 v16, 32, v12
	v_subrev_u32_e32 v12, 28, v16
	v_lshlrev_b64 v[12:13], v12, v[6:7]
	v_lshrrev_b32_e32 v11, 3, v7
	v_sub_u32_e32 v6, 29, v16
	v_and_b32_e32 v12, 7, v12
	v_cmp_gt_u32_e32 vcc, 8, v7
	v_cndmask_b32_e32 v6, v11, v6, vcc
	v_cndmask_b32_e32 v7, v8, v12, vcc
	v_lshlrev_b32_e32 v8, 16, v2
	v_bfrev_b32_e32 v11, 60
	v_lshlrev_b32_e32 v7, 20, v7
	v_and_b32_e32 v8, 0x80000000, v8
	v_lshl_add_u32 v6, v6, 23, v11
	v_or3_b32 v11, v8, v6, v7
.LBB428_706:
	s_or_b64 exec, exec, s[8:9]
.LBB428_707:
	s_or_b64 exec, exec, s[6:7]
.LBB428_708:
	s_or_b64 exec, exec, s[4:5]
	s_movk_i32 s3, 0xff
	v_and_b32_sdwa v7, v2, s3 dst_sel:DWORD dst_unused:UNUSED_PAD src0_sel:WORD_1 src1_sel:DWORD
	v_lshrrev_b32_e32 v6, 16, v2
	v_cmp_ne_u16_e32 vcc, 0, v7
	s_and_saveexec_b64 s[4:5], vcc
	s_cbranch_execz .LBB428_714
; %bb.709:
	s_movk_i32 s3, 0x80
	v_cmp_ne_u16_e32 vcc, s3, v7
	v_bfrev_b32_e32 v9, 1
	s_and_saveexec_b64 s[6:7], vcc
	s_cbranch_execz .LBB428_713
; %bb.710:
	v_bfe_u32 v7, v2, 16, 7
	s_movk_i32 s3, 0x7f
	v_cmp_ne_u32_e32 vcc, s3, v7
	v_mov_b32_e32 v9, 0x7f800001
	s_and_saveexec_b64 s[8:9], vcc
	s_cbranch_execz .LBB428_712
; %bb.711:
	v_and_b32_e32 v12, 7, v6
	v_ffbh_u32_e32 v8, v12
	v_min_u32_e32 v16, 32, v8
	v_subrev_u32_e32 v8, 28, v16
	v_lshlrev_b64 v[8:9], v8, v[6:7]
	v_and_b32_e32 v8, 7, v8
	v_cmp_gt_u32_e32 vcc, 8, v7
	v_lshrrev_b32_e32 v13, 3, v7
	v_sub_u32_e32 v6, 29, v16
	v_cndmask_b32_e32 v7, v12, v8, vcc
	v_mov_b32_e32 v8, 24
	v_cndmask_b32_e32 v6, v13, v6, vcc
	v_lshlrev_b32_sdwa v8, v8, v2 dst_sel:DWORD dst_unused:UNUSED_PAD src0_sel:DWORD src1_sel:WORD_1
	v_bfrev_b32_e32 v9, 60
	v_lshlrev_b32_e32 v7, 20, v7
	v_and_b32_e32 v8, 0x80000000, v8
	v_lshl_add_u32 v6, v6, 23, v9
	v_or3_b32 v9, v8, v6, v7
.LBB428_712:
	s_or_b64 exec, exec, s[8:9]
.LBB428_713:
	s_or_b64 exec, exec, s[6:7]
.LBB428_714:
	s_or_b64 exec, exec, s[4:5]
	s_mov_b32 s3, 0xffffff
	v_cmp_lt_u32_e32 vcc, s3, v2
	v_mov_b32_e32 v7, 0
	v_mov_b32_e32 v12, 0
	s_and_saveexec_b64 s[4:5], vcc
	s_cbranch_execz .LBB428_720
; %bb.715:
	v_lshrrev_b32_e32 v6, 24, v2
	s_movk_i32 s3, 0x80
	v_cmp_ne_u32_e32 vcc, s3, v6
	v_bfrev_b32_e32 v12, 1
	s_and_saveexec_b64 s[6:7], vcc
	s_cbranch_execz .LBB428_719
; %bb.716:
	v_bfe_u32 v8, v2, 24, 7
	s_movk_i32 s3, 0x7f
	v_cmp_ne_u32_e32 vcc, s3, v8
	v_mov_b32_e32 v12, 0x7f800001
	s_and_saveexec_b64 s[8:9], vcc
	s_cbranch_execz .LBB428_718
; %bb.717:
	v_and_b32_e32 v16, 7, v6
	v_ffbh_u32_e32 v12, v16
	v_min_u32_e32 v18, 32, v12
	v_subrev_u32_e32 v12, 28, v18
	v_lshlrev_b64 v[12:13], v12, v[6:7]
	v_lshrrev_b32_e32 v17, 3, v8
	v_sub_u32_e32 v13, 29, v18
	v_and_b32_e32 v12, 7, v12
	v_cmp_gt_u32_e32 vcc, 8, v8
	v_cndmask_b32_e32 v8, v17, v13, vcc
	v_cndmask_b32_e32 v12, v16, v12, vcc
	v_lshlrev_b32_e32 v6, 24, v6
	v_bfrev_b32_e32 v13, 60
	v_lshlrev_b32_e32 v12, 20, v12
	v_and_b32_e32 v6, 0x80000000, v6
	v_lshl_add_u32 v8, v8, 23, v13
	v_or3_b32 v12, v6, v8, v12
.LBB428_718:
	s_or_b64 exec, exec, s[8:9]
.LBB428_719:
	s_or_b64 exec, exec, s[6:7]
.LBB428_720:
	s_or_b64 exec, exec, s[4:5]
	v_mov_b32_e32 v6, v3
	v_cmp_ne_u16_sdwa s[6:7], v3, v7 src0_sel:BYTE_0 src1_sel:DWORD
	s_and_saveexec_b64 s[4:5], s[6:7]
	s_cbranch_execz .LBB428_726
; %bb.721:
	s_movk_i32 s3, 0x80
	v_cmp_ne_u16_sdwa s[8:9], v3, s3 src0_sel:BYTE_0 src1_sel:DWORD
	v_bfrev_b32_e32 v8, 1
	s_and_saveexec_b64 s[6:7], s[8:9]
	s_cbranch_execz .LBB428_725
; %bb.722:
	s_movk_i32 s3, 0x7f
	v_and_b32_e32 v13, 0x7f, v3
	v_cmp_ne_u32_e32 vcc, s3, v13
	v_mov_b32_e32 v8, 0x7f800001
	s_and_saveexec_b64 s[8:9], vcc
	s_cbranch_execz .LBB428_724
; %bb.723:
	v_and_b32_e32 v8, 7, v3
	v_ffbh_u32_e32 v8, v8
	v_min_u32_e32 v8, 32, v8
	v_subrev_u32_e32 v17, 28, v8
	v_cmp_gt_u32_e32 vcc, 8, v13
	v_lshrrev_b32_e32 v16, 3, v13
	v_sub_u32_e32 v8, 29, v8
	v_cndmask_b32_e32 v13, 0, v17, vcc
	v_cndmask_b32_e32 v8, v16, v8, vcc
	v_lshlrev_b64 v[16:17], v13, v[6:7]
	v_lshlrev_b32_e32 v7, 20, v16
	v_lshlrev_b32_e32 v13, 24, v6
	v_bfrev_b32_e32 v16, 60
	v_and_b32_e32 v7, 0x700000, v7
	v_and_b32_e32 v13, 0x80000000, v13
	v_lshl_add_u32 v8, v8, 23, v16
	v_or3_b32 v8, v13, v8, v7
.LBB428_724:
	s_or_b64 exec, exec, s[8:9]
.LBB428_725:
	s_or_b64 exec, exec, s[6:7]
	v_mov_b32_e32 v7, v8
.LBB428_726:
	s_or_b64 exec, exec, s[4:5]
	v_lshrrev_b16_e32 v8, 8, v6
	v_cmp_ne_u16_e32 vcc, 0, v8
	v_mov_b32_e32 v13, 0
	v_mov_b32_e32 v16, 0
	s_and_saveexec_b64 s[4:5], vcc
	s_cbranch_execz .LBB428_732
; %bb.727:
	s_movk_i32 s3, 0x80
	v_cmp_ne_u16_e32 vcc, s3, v8
	v_bfrev_b32_e32 v16, 1
	s_and_saveexec_b64 s[6:7], vcc
	s_cbranch_execz .LBB428_731
; %bb.728:
	s_movk_i32 s3, 0x7f
	v_and_b32_e32 v17, 0x7f, v8
	v_cmp_ne_u32_e32 vcc, s3, v17
	v_mov_b32_e32 v16, 0x7f800001
	s_and_saveexec_b64 s[8:9], vcc
	s_cbranch_execz .LBB428_730
; %bb.729:
	v_and_b32_e32 v16, 7, v8
	v_ffbh_u32_e32 v18, v16
	v_min_u32_e32 v21, 32, v18
	v_subrev_u32_e32 v18, 28, v21
	v_lshlrev_b64 v[18:19], v18, v[8:9]
	v_lshrrev_b32_e32 v20, 3, v17
	v_sub_u32_e32 v8, 29, v21
	v_and_b32_e32 v18, 7, v18
	v_cmp_gt_u32_e32 vcc, 8, v17
	v_cndmask_b32_e32 v8, v20, v8, vcc
	v_cndmask_b32_e32 v16, v16, v18, vcc
	v_lshlrev_b32_e32 v6, 16, v6
	v_bfrev_b32_e32 v17, 60
	v_lshlrev_b32_e32 v16, 20, v16
	v_and_b32_e32 v6, 0x80000000, v6
	v_lshl_add_u32 v8, v8, 23, v17
	v_or3_b32 v16, v6, v8, v16
.LBB428_730:
	s_or_b64 exec, exec, s[8:9]
.LBB428_731:
	s_or_b64 exec, exec, s[6:7]
.LBB428_732:
	s_or_b64 exec, exec, s[4:5]
	s_movk_i32 s3, 0xff
	v_and_b32_sdwa v8, v3, s3 dst_sel:DWORD dst_unused:UNUSED_PAD src0_sel:WORD_1 src1_sel:DWORD
	v_lshrrev_b32_e32 v6, 16, v3
	v_cmp_ne_u16_e32 vcc, 0, v8
	s_and_saveexec_b64 s[4:5], vcc
	s_cbranch_execz .LBB428_738
; %bb.733:
	s_movk_i32 s3, 0x80
	v_cmp_ne_u16_e32 vcc, s3, v8
	v_bfrev_b32_e32 v13, 1
	s_and_saveexec_b64 s[6:7], vcc
	s_cbranch_execz .LBB428_737
; %bb.734:
	v_bfe_u32 v8, v3, 16, 7
	s_movk_i32 s3, 0x7f
	v_cmp_ne_u32_e32 vcc, s3, v8
	v_mov_b32_e32 v13, 0x7f800001
	s_and_saveexec_b64 s[8:9], vcc
	s_cbranch_execz .LBB428_736
; %bb.735:
	v_and_b32_e32 v13, 7, v6
	v_ffbh_u32_e32 v18, v13
	v_min_u32_e32 v20, 32, v18
	v_subrev_u32_e32 v18, 28, v20
	v_lshlrev_b64 v[18:19], v18, v[6:7]
	v_and_b32_e32 v18, 7, v18
	v_cmp_gt_u32_e32 vcc, 8, v8
	v_lshrrev_b32_e32 v17, 3, v8
	v_sub_u32_e32 v6, 29, v20
	v_cndmask_b32_e32 v8, v13, v18, vcc
	v_mov_b32_e32 v13, 24
	v_cndmask_b32_e32 v6, v17, v6, vcc
	v_lshlrev_b32_sdwa v13, v13, v3 dst_sel:DWORD dst_unused:UNUSED_PAD src0_sel:DWORD src1_sel:WORD_1
	v_bfrev_b32_e32 v17, 60
	v_lshlrev_b32_e32 v8, 20, v8
	v_and_b32_e32 v13, 0x80000000, v13
	v_lshl_add_u32 v6, v6, 23, v17
	v_or3_b32 v13, v13, v6, v8
.LBB428_736:
	s_or_b64 exec, exec, s[8:9]
.LBB428_737:
	s_or_b64 exec, exec, s[6:7]
.LBB428_738:
	s_or_b64 exec, exec, s[4:5]
	s_mov_b32 s4, -1
	s_mov_b32 s5, 0xffffff
	v_cmp_lt_u64_e32 vcc, s[4:5], v[2:3]
	v_mov_b32_e32 v8, 0
	v_mov_b32_e32 v6, 0
	s_and_saveexec_b64 s[4:5], vcc
	s_cbranch_execz .LBB428_744
; %bb.739:
	v_lshrrev_b32_e32 v2, 24, v3
	s_movk_i32 s3, 0x80
	v_cmp_ne_u32_e32 vcc, s3, v2
	v_bfrev_b32_e32 v6, 1
	s_and_saveexec_b64 s[6:7], vcc
	s_cbranch_execz .LBB428_743
; %bb.740:
	v_bfe_u32 v3, v3, 24, 7
	s_movk_i32 s3, 0x7f
	v_cmp_ne_u32_e32 vcc, s3, v3
	v_mov_b32_e32 v6, 0x7f800001
	s_and_saveexec_b64 s[8:9], vcc
	s_cbranch_execz .LBB428_742
; %bb.741:
	v_and_b32_e32 v6, 7, v2
	v_ffbh_u32_e32 v18, v6
	v_min_u32_e32 v20, 32, v18
	v_subrev_u32_e32 v18, 28, v20
	v_lshlrev_b64 v[18:19], v18, v[2:3]
	v_lshrrev_b32_e32 v17, 3, v3
	v_sub_u32_e32 v19, 29, v20
	v_and_b32_e32 v18, 7, v18
	v_cmp_gt_u32_e32 vcc, 8, v3
	v_cndmask_b32_e32 v3, v17, v19, vcc
	v_cndmask_b32_e32 v6, v6, v18, vcc
	v_lshlrev_b32_e32 v2, 24, v2
	v_bfrev_b32_e32 v17, 60
	v_lshlrev_b32_e32 v6, 20, v6
	v_and_b32_e32 v2, 0x80000000, v2
	v_lshl_add_u32 v3, v3, 23, v17
	v_or3_b32 v6, v2, v3, v6
.LBB428_742:
	s_or_b64 exec, exec, s[8:9]
.LBB428_743:
	s_or_b64 exec, exec, s[6:7]
.LBB428_744:
	s_or_b64 exec, exec, s[4:5]
	v_cvt_pkrtz_f16_f32 v2, v10, v11
	v_cvt_pkrtz_f16_f32 v3, v9, v12
	;; [unrolled: 1-line block ×4, first 2 shown]
	v_mfma_f32_4x4x4f16 a[0:3], v[14:15], v[2:3], a[0:3] cbsz:4 abid:12
	v_cmp_ne_u16_sdwa s[6:7], v4, v8 src0_sel:BYTE_0 src1_sel:DWORD
	v_mfma_f32_4x4x4f16 a[0:3], v[14:15], v[10:11], a[0:3] cbsz:4 abid:13
	s_and_saveexec_b64 s[4:5], s[6:7]
	s_cbranch_execz .LBB428_750
; %bb.745:
	s_movk_i32 s3, 0x80
	v_cmp_ne_u16_sdwa s[8:9], v4, s3 src0_sel:BYTE_0 src1_sel:DWORD
	v_bfrev_b32_e32 v8, 1
	s_and_saveexec_b64 s[6:7], s[8:9]
	s_cbranch_execz .LBB428_749
; %bb.746:
	s_movk_i32 s3, 0x7f
	v_and_b32_e32 v2, 0x7f, v4
	v_cmp_ne_u32_e32 vcc, s3, v2
	v_mov_b32_e32 v8, 0x7f800001
	s_and_saveexec_b64 s[8:9], vcc
	s_cbranch_execz .LBB428_748
; %bb.747:
	v_and_b32_e32 v3, 7, v4
	v_ffbh_u32_e32 v3, v3
	v_min_u32_e32 v3, 32, v3
	v_subrev_u32_e32 v7, 28, v3
	v_cmp_gt_u32_e32 vcc, 8, v2
	v_lshrrev_b32_e32 v6, 3, v2
	v_sub_u32_e32 v3, 29, v3
	v_cndmask_b32_e32 v2, 0, v7, vcc
	v_cndmask_b32_e32 v6, v6, v3, vcc
	v_lshlrev_b64 v[2:3], v2, v[4:5]
	v_lshlrev_b32_e32 v2, 20, v2
	v_lshlrev_b32_e32 v3, 24, v4
	v_bfrev_b32_e32 v7, 60
	v_and_b32_e32 v2, 0x700000, v2
	v_and_b32_e32 v3, 0x80000000, v3
	v_lshl_add_u32 v6, v6, 23, v7
	v_or3_b32 v8, v3, v6, v2
.LBB428_748:
	s_or_b64 exec, exec, s[8:9]
.LBB428_749:
	s_or_b64 exec, exec, s[6:7]
.LBB428_750:
	s_or_b64 exec, exec, s[4:5]
	v_lshrrev_b16_e32 v2, 8, v4
	v_cmp_ne_u16_e32 vcc, 0, v2
	v_mov_b32_e32 v7, 0
	v_mov_b32_e32 v9, 0
	s_and_saveexec_b64 s[4:5], vcc
	s_cbranch_execz .LBB428_756
; %bb.751:
	s_movk_i32 s3, 0x80
	v_cmp_ne_u16_e32 vcc, s3, v2
	v_bfrev_b32_e32 v9, 1
	s_and_saveexec_b64 s[6:7], vcc
	s_cbranch_execz .LBB428_755
; %bb.752:
	s_movk_i32 s3, 0x7f
	v_and_b32_e32 v3, 0x7f, v2
	v_cmp_ne_u32_e32 vcc, s3, v3
	v_mov_b32_e32 v9, 0x7f800001
	s_and_saveexec_b64 s[8:9], vcc
	s_cbranch_execz .LBB428_754
; %bb.753:
	v_and_b32_e32 v6, 7, v2
	v_ffbh_u32_e32 v10, v6
	v_min_u32_e32 v12, 32, v10
	v_subrev_u32_e32 v10, 28, v12
	v_lshlrev_b64 v[10:11], v10, v[2:3]
	v_lshrrev_b32_e32 v9, 3, v3
	v_sub_u32_e32 v2, 29, v12
	v_and_b32_e32 v10, 7, v10
	v_cmp_gt_u32_e32 vcc, 8, v3
	v_cndmask_b32_e32 v2, v9, v2, vcc
	v_cndmask_b32_e32 v3, v6, v10, vcc
	v_lshlrev_b32_e32 v6, 16, v4
	v_bfrev_b32_e32 v9, 60
	v_lshlrev_b32_e32 v3, 20, v3
	v_and_b32_e32 v6, 0x80000000, v6
	v_lshl_add_u32 v2, v2, 23, v9
	v_or3_b32 v9, v6, v2, v3
.LBB428_754:
	s_or_b64 exec, exec, s[8:9]
.LBB428_755:
	s_or_b64 exec, exec, s[6:7]
.LBB428_756:
	s_or_b64 exec, exec, s[4:5]
	s_movk_i32 s3, 0xff
	v_and_b32_sdwa v3, v4, s3 dst_sel:DWORD dst_unused:UNUSED_PAD src0_sel:WORD_1 src1_sel:DWORD
	v_lshrrev_b32_e32 v2, 16, v4
	v_cmp_ne_u16_e32 vcc, 0, v3
	s_and_saveexec_b64 s[4:5], vcc
	s_cbranch_execz .LBB428_762
; %bb.757:
	s_movk_i32 s3, 0x80
	v_cmp_ne_u16_e32 vcc, s3, v3
	v_bfrev_b32_e32 v7, 1
	s_and_saveexec_b64 s[6:7], vcc
	s_cbranch_execz .LBB428_761
; %bb.758:
	v_bfe_u32 v3, v4, 16, 7
	s_movk_i32 s3, 0x7f
	v_cmp_ne_u32_e32 vcc, s3, v3
	v_mov_b32_e32 v7, 0x7f800001
	s_and_saveexec_b64 s[8:9], vcc
	s_cbranch_execz .LBB428_760
; %bb.759:
	v_and_b32_e32 v10, 7, v2
	v_ffbh_u32_e32 v6, v10
	v_min_u32_e32 v12, 32, v6
	v_subrev_u32_e32 v6, 28, v12
	v_lshlrev_b64 v[6:7], v6, v[2:3]
	v_and_b32_e32 v6, 7, v6
	v_cmp_gt_u32_e32 vcc, 8, v3
	v_lshrrev_b32_e32 v11, 3, v3
	v_sub_u32_e32 v2, 29, v12
	v_cndmask_b32_e32 v3, v10, v6, vcc
	v_mov_b32_e32 v6, 24
	v_cndmask_b32_e32 v2, v11, v2, vcc
	v_lshlrev_b32_sdwa v6, v6, v4 dst_sel:DWORD dst_unused:UNUSED_PAD src0_sel:DWORD src1_sel:WORD_1
	v_bfrev_b32_e32 v7, 60
	v_lshlrev_b32_e32 v3, 20, v3
	v_and_b32_e32 v6, 0x80000000, v6
	v_lshl_add_u32 v2, v2, 23, v7
	v_or3_b32 v7, v6, v2, v3
.LBB428_760:
	s_or_b64 exec, exec, s[8:9]
.LBB428_761:
	s_or_b64 exec, exec, s[6:7]
.LBB428_762:
	s_or_b64 exec, exec, s[4:5]
	s_mov_b32 s3, 0xffffff
	v_cmp_lt_u32_e32 vcc, s3, v4
	v_mov_b32_e32 v3, 0
	v_mov_b32_e32 v10, 0
	s_and_saveexec_b64 s[4:5], vcc
	s_cbranch_execz .LBB428_768
; %bb.763:
	v_lshrrev_b32_e32 v2, 24, v4
	s_movk_i32 s3, 0x80
	v_cmp_ne_u32_e32 vcc, s3, v2
	v_bfrev_b32_e32 v10, 1
	s_and_saveexec_b64 s[6:7], vcc
	s_cbranch_execz .LBB428_767
; %bb.764:
	v_bfe_u32 v6, v4, 24, 7
	s_movk_i32 s3, 0x7f
	v_cmp_ne_u32_e32 vcc, s3, v6
	v_mov_b32_e32 v10, 0x7f800001
	s_and_saveexec_b64 s[8:9], vcc
	s_cbranch_execz .LBB428_766
; %bb.765:
	v_and_b32_e32 v12, 7, v2
	v_ffbh_u32_e32 v10, v12
	v_min_u32_e32 v16, 32, v10
	v_subrev_u32_e32 v10, 28, v16
	v_lshlrev_b64 v[10:11], v10, v[2:3]
	v_lshrrev_b32_e32 v13, 3, v6
	v_sub_u32_e32 v11, 29, v16
	v_and_b32_e32 v10, 7, v10
	v_cmp_gt_u32_e32 vcc, 8, v6
	v_cndmask_b32_e32 v6, v13, v11, vcc
	v_cndmask_b32_e32 v10, v12, v10, vcc
	v_lshlrev_b32_e32 v2, 24, v2
	v_bfrev_b32_e32 v11, 60
	v_lshlrev_b32_e32 v10, 20, v10
	v_and_b32_e32 v2, 0x80000000, v2
	v_lshl_add_u32 v6, v6, 23, v11
	v_or3_b32 v10, v2, v6, v10
.LBB428_766:
	s_or_b64 exec, exec, s[8:9]
.LBB428_767:
	s_or_b64 exec, exec, s[6:7]
.LBB428_768:
	s_or_b64 exec, exec, s[4:5]
	v_mov_b32_e32 v2, v5
	v_cmp_ne_u16_sdwa s[6:7], v5, v3 src0_sel:BYTE_0 src1_sel:DWORD
	s_and_saveexec_b64 s[4:5], s[6:7]
	s_cbranch_execz .LBB428_774
; %bb.769:
	s_movk_i32 s3, 0x80
	v_cmp_ne_u16_sdwa s[8:9], v5, s3 src0_sel:BYTE_0 src1_sel:DWORD
	v_bfrev_b32_e32 v6, 1
	s_and_saveexec_b64 s[6:7], s[8:9]
	s_cbranch_execz .LBB428_773
; %bb.770:
	s_movk_i32 s3, 0x7f
	v_and_b32_e32 v11, 0x7f, v5
	v_cmp_ne_u32_e32 vcc, s3, v11
	v_mov_b32_e32 v6, 0x7f800001
	s_and_saveexec_b64 s[8:9], vcc
	s_cbranch_execz .LBB428_772
; %bb.771:
	v_and_b32_e32 v6, 7, v5
	v_ffbh_u32_e32 v6, v6
	v_min_u32_e32 v6, 32, v6
	v_subrev_u32_e32 v13, 28, v6
	v_cmp_gt_u32_e32 vcc, 8, v11
	v_lshrrev_b32_e32 v12, 3, v11
	v_sub_u32_e32 v6, 29, v6
	v_cndmask_b32_e32 v11, 0, v13, vcc
	v_cndmask_b32_e32 v6, v12, v6, vcc
	v_lshlrev_b64 v[12:13], v11, v[2:3]
	v_lshlrev_b32_e32 v3, 20, v12
	v_lshlrev_b32_e32 v11, 24, v2
	v_bfrev_b32_e32 v12, 60
	v_and_b32_e32 v3, 0x700000, v3
	v_and_b32_e32 v11, 0x80000000, v11
	v_lshl_add_u32 v6, v6, 23, v12
	v_or3_b32 v6, v11, v6, v3
.LBB428_772:
	s_or_b64 exec, exec, s[8:9]
.LBB428_773:
	s_or_b64 exec, exec, s[6:7]
	v_mov_b32_e32 v3, v6
.LBB428_774:
	s_or_b64 exec, exec, s[4:5]
	v_lshrrev_b16_e32 v6, 8, v2
	v_cmp_ne_u16_e32 vcc, 0, v6
	v_mov_b32_e32 v11, 0
	v_mov_b32_e32 v12, 0
	s_and_saveexec_b64 s[4:5], vcc
	s_cbranch_execz .LBB428_780
; %bb.775:
	s_movk_i32 s3, 0x80
	v_cmp_ne_u16_e32 vcc, s3, v6
	v_bfrev_b32_e32 v12, 1
	s_and_saveexec_b64 s[6:7], vcc
	s_cbranch_execz .LBB428_779
; %bb.776:
	s_movk_i32 s3, 0x7f
	v_and_b32_e32 v13, 0x7f, v6
	v_cmp_ne_u32_e32 vcc, s3, v13
	v_mov_b32_e32 v12, 0x7f800001
	s_and_saveexec_b64 s[8:9], vcc
	s_cbranch_execz .LBB428_778
; %bb.777:
	v_and_b32_e32 v12, 7, v6
	v_ffbh_u32_e32 v16, v12
	v_min_u32_e32 v19, 32, v16
	v_subrev_u32_e32 v16, 28, v19
	v_lshlrev_b64 v[16:17], v16, v[6:7]
	v_lshrrev_b32_e32 v18, 3, v13
	v_sub_u32_e32 v6, 29, v19
	v_and_b32_e32 v16, 7, v16
	v_cmp_gt_u32_e32 vcc, 8, v13
	v_cndmask_b32_e32 v6, v18, v6, vcc
	v_cndmask_b32_e32 v12, v12, v16, vcc
	v_lshlrev_b32_e32 v2, 16, v2
	v_bfrev_b32_e32 v13, 60
	v_lshlrev_b32_e32 v12, 20, v12
	v_and_b32_e32 v2, 0x80000000, v2
	v_lshl_add_u32 v6, v6, 23, v13
	v_or3_b32 v12, v2, v6, v12
.LBB428_778:
	s_or_b64 exec, exec, s[8:9]
.LBB428_779:
	s_or_b64 exec, exec, s[6:7]
.LBB428_780:
	s_or_b64 exec, exec, s[4:5]
	s_movk_i32 s3, 0xff
	v_and_b32_sdwa v6, v5, s3 dst_sel:DWORD dst_unused:UNUSED_PAD src0_sel:WORD_1 src1_sel:DWORD
	v_lshrrev_b32_e32 v2, 16, v5
	v_cmp_ne_u16_e32 vcc, 0, v6
	s_and_saveexec_b64 s[4:5], vcc
	s_cbranch_execz .LBB428_786
; %bb.781:
	s_movk_i32 s3, 0x80
	v_cmp_ne_u16_e32 vcc, s3, v6
	v_bfrev_b32_e32 v11, 1
	s_and_saveexec_b64 s[6:7], vcc
	s_cbranch_execz .LBB428_785
; %bb.782:
	v_bfe_u32 v6, v5, 16, 7
	s_movk_i32 s3, 0x7f
	v_cmp_ne_u32_e32 vcc, s3, v6
	v_mov_b32_e32 v11, 0x7f800001
	s_and_saveexec_b64 s[8:9], vcc
	s_cbranch_execz .LBB428_784
; %bb.783:
	v_and_b32_e32 v11, 7, v2
	v_ffbh_u32_e32 v16, v11
	v_min_u32_e32 v18, 32, v16
	v_subrev_u32_e32 v16, 28, v18
	v_lshlrev_b64 v[16:17], v16, v[2:3]
	v_and_b32_e32 v16, 7, v16
	v_cmp_gt_u32_e32 vcc, 8, v6
	v_lshrrev_b32_e32 v13, 3, v6
	v_sub_u32_e32 v2, 29, v18
	v_cndmask_b32_e32 v6, v11, v16, vcc
	v_mov_b32_e32 v11, 24
	v_cndmask_b32_e32 v2, v13, v2, vcc
	v_lshlrev_b32_sdwa v11, v11, v5 dst_sel:DWORD dst_unused:UNUSED_PAD src0_sel:DWORD src1_sel:WORD_1
	v_bfrev_b32_e32 v13, 60
	v_lshlrev_b32_e32 v6, 20, v6
	v_and_b32_e32 v11, 0x80000000, v11
	v_lshl_add_u32 v2, v2, 23, v13
	v_or3_b32 v11, v11, v2, v6
.LBB428_784:
	s_or_b64 exec, exec, s[8:9]
.LBB428_785:
	s_or_b64 exec, exec, s[6:7]
.LBB428_786:
	s_or_b64 exec, exec, s[4:5]
	s_mov_b32 s4, -1
	s_mov_b32 s5, 0xffffff
	v_cmp_lt_u64_e32 vcc, s[4:5], v[4:5]
	v_mov_b32_e32 v4, 0
	s_and_saveexec_b64 s[4:5], vcc
	s_cbranch_execz .LBB428_792
; %bb.787:
	v_lshrrev_b32_e32 v2, 24, v5
	s_movk_i32 s3, 0x80
	v_cmp_ne_u32_e32 vcc, s3, v2
	v_bfrev_b32_e32 v4, 1
	s_and_saveexec_b64 s[6:7], vcc
	s_cbranch_execz .LBB428_791
; %bb.788:
	v_bfe_u32 v5, v5, 24, 7
	s_movk_i32 s3, 0x7f
	v_cmp_ne_u32_e32 vcc, s3, v5
	v_mov_b32_e32 v4, 0x7f800001
	s_and_saveexec_b64 s[8:9], vcc
	s_cbranch_execz .LBB428_790
; %bb.789:
	v_and_b32_e32 v4, 7, v2
	v_ffbh_u32_e32 v13, v4
	v_min_u32_e32 v13, 32, v13
	v_subrev_u32_e32 v16, 28, v13
	v_lshlrev_b64 v[16:17], v16, v[2:3]
	v_lshrrev_b32_e32 v6, 3, v5
	v_sub_u32_e32 v13, 29, v13
	v_and_b32_e32 v16, 7, v16
	v_cmp_gt_u32_e32 vcc, 8, v5
	v_cndmask_b32_e32 v5, v6, v13, vcc
	v_cndmask_b32_e32 v4, v4, v16, vcc
	v_lshlrev_b32_e32 v2, 24, v2
	v_bfrev_b32_e32 v6, 60
	v_lshlrev_b32_e32 v4, 20, v4
	v_and_b32_e32 v2, 0x80000000, v2
	v_lshl_add_u32 v5, v5, 23, v6
	v_or3_b32 v4, v2, v5, v4
.LBB428_790:
	s_or_b64 exec, exec, s[8:9]
.LBB428_791:
	s_or_b64 exec, exec, s[6:7]
.LBB428_792:
	s_or_b64 exec, exec, s[4:5]
	v_cvt_pkrtz_f16_f32 v6, v8, v9
	v_cvt_pkrtz_f16_f32 v7, v7, v10
	;; [unrolled: 1-line block ×4, first 2 shown]
	v_mfma_f32_4x4x4f16 a[0:3], v[14:15], v[6:7], a[0:3] cbsz:4 abid:14
	s_load_dword s4, s[14:15], 0x0
	v_mfma_f32_4x4x4f16 a[0:3], v[14:15], v[2:3], a[0:3] cbsz:4 abid:15
	s_nop 4
	v_accvgpr_read_b32 v5, a1
	v_accvgpr_read_b32 v3, a3
	;; [unrolled: 1-line block ×4, first 2 shown]
	s_waitcnt lgkmcnt(0)
	v_pk_mul_f32 v[2:3], v[2:3], s[4:5] op_sel_hi:[1,0]
	v_pk_mul_f32 v[4:5], v[4:5], s[4:5] op_sel_hi:[1,0]
	v_cvt_f16_f32_e32 v4, v4
	v_cvt_f16_f32_e32 v5, v5
	;; [unrolled: 1-line block ×4, first 2 shown]
	v_pack_b32_f16 v2, v4, v5
	v_mad_u32_u24 v4, v1, 40, v25
	v_pack_b32_f16 v3, v6, v3
	ds_write_b64 v4, v[2:3]
.LBB428_793:
	s_or_b64 exec, exec, s[0:1]
	v_cmp_gt_u32_e32 vcc, 64, v0
	s_waitcnt lgkmcnt(0)
	s_barrier
	s_and_saveexec_b64 s[0:1], vcc
	s_cbranch_execz .LBB428_795
; %bb.794:
	v_mul_u32_u24_e32 v1, 40, v1
	s_waitcnt vmcnt(1)
	ds_read2_b64 v[2:5], v1 offset1:1
	s_waitcnt vmcnt(0)
	ds_read2_b64 v[6:9], v1 offset0:2 offset1:3
	s_mov_b32 s1, 0
	s_lshl_b32 s0, s2, 6
	s_lshl_b64 s[2:3], s[0:1], 1
	s_add_u32 s2, s24, s2
	s_addc_u32 s3, s25, s3
	s_lshl_b32 s0, s10, 6
	s_lshl_b64 s[0:1], s[0:1], 1
	s_waitcnt lgkmcnt(1)
	v_pk_add_f16 v1, v2, 0
	v_pk_add_f16 v2, v3, 0
	s_add_u32 s0, s2, s0
	v_pk_add_f16 v2, v2, v5
	s_addc_u32 s1, s3, s1
	s_lshl_b32 s2, s33, 6
	v_pk_add_f16 v1, v1, v4
	s_waitcnt lgkmcnt(0)
	v_pk_add_f16 v2, v2, v7
	s_mul_i32 s3, s2, s40
	v_pk_add_f16 v1, v1, v6
	v_pk_add_f16 v6, v2, v9
	v_or_b32_e32 v2, s3, v0
	v_mov_b32_e32 v3, 0
	v_lshlrev_b64 v[4:5], 1, v[2:3]
	v_mov_b32_e32 v2, s1
	v_add_co_u32_e32 v4, vcc, s0, v4
	s_add_i32 s3, s3, s2
	v_pk_add_f16 v1, v1, v8
	v_addc_co_u32_e32 v5, vcc, v2, v5, vcc
	v_or_b32_e32 v2, s3, v0
	global_store_short v[4:5], v1, off
	v_lshlrev_b64 v[4:5], 1, v[2:3]
	v_mov_b32_e32 v2, s1
	v_add_co_u32_e32 v4, vcc, s0, v4
	s_add_i32 s3, s3, s2
	v_addc_co_u32_e32 v5, vcc, v2, v5, vcc
	v_or_b32_e32 v2, s3, v0
	global_store_short_d16_hi v[4:5], v1, off
	v_lshlrev_b64 v[0:1], 1, v[2:3]
	v_mov_b32_e32 v2, s1
	v_add_co_u32_e32 v0, vcc, s0, v0
	v_addc_co_u32_e32 v1, vcc, v2, v1, vcc
	global_store_short v[0:1], v6, off
.LBB428_795:
	s_endpgm
	.section	.rodata,"a",@progbits
	.p2align	6, 0x0
	.amdhsa_kernel _Z38paged_attention_ll4mi_QKV_mfma4_kernelIDF16_hLN4vllm18Fp8KVCacheDataTypeE1EDF16_Li32ELi64ELi256ELb1ELi3EEvPKT_PKT0_S7_ifPKiS9_S9_iPKfiiiPfSC_PS2_PT2_iSB_SB_
		.amdhsa_group_segment_fixed_size 2720
		.amdhsa_private_segment_fixed_size 0
		.amdhsa_kernarg_size 400
		.amdhsa_user_sgpr_count 6
		.amdhsa_user_sgpr_private_segment_buffer 1
		.amdhsa_user_sgpr_dispatch_ptr 0
		.amdhsa_user_sgpr_queue_ptr 0
		.amdhsa_user_sgpr_kernarg_segment_ptr 1
		.amdhsa_user_sgpr_dispatch_id 0
		.amdhsa_user_sgpr_flat_scratch_init 0
		.amdhsa_user_sgpr_kernarg_preload_length 0
		.amdhsa_user_sgpr_kernarg_preload_offset 0
		.amdhsa_user_sgpr_private_segment_size 0
		.amdhsa_uses_dynamic_stack 0
		.amdhsa_system_sgpr_private_segment_wavefront_offset 0
		.amdhsa_system_sgpr_workgroup_id_x 1
		.amdhsa_system_sgpr_workgroup_id_y 1
		.amdhsa_system_sgpr_workgroup_id_z 1
		.amdhsa_system_sgpr_workgroup_info 0
		.amdhsa_system_vgpr_workitem_id 0
		.amdhsa_next_free_vgpr 60
		.amdhsa_next_free_sgpr 46
		.amdhsa_accum_offset 56
		.amdhsa_reserve_vcc 1
		.amdhsa_reserve_flat_scratch 0
		.amdhsa_float_round_mode_32 0
		.amdhsa_float_round_mode_16_64 0
		.amdhsa_float_denorm_mode_32 3
		.amdhsa_float_denorm_mode_16_64 3
		.amdhsa_dx10_clamp 1
		.amdhsa_ieee_mode 1
		.amdhsa_fp16_overflow 0
		.amdhsa_tg_split 0
		.amdhsa_exception_fp_ieee_invalid_op 0
		.amdhsa_exception_fp_denorm_src 0
		.amdhsa_exception_fp_ieee_div_zero 0
		.amdhsa_exception_fp_ieee_overflow 0
		.amdhsa_exception_fp_ieee_underflow 0
		.amdhsa_exception_fp_ieee_inexact 0
		.amdhsa_exception_int_div_zero 0
	.end_amdhsa_kernel
	.section	.text._Z38paged_attention_ll4mi_QKV_mfma4_kernelIDF16_hLN4vllm18Fp8KVCacheDataTypeE1EDF16_Li32ELi64ELi256ELb1ELi3EEvPKT_PKT0_S7_ifPKiS9_S9_iPKfiiiPfSC_PS2_PT2_iSB_SB_,"axG",@progbits,_Z38paged_attention_ll4mi_QKV_mfma4_kernelIDF16_hLN4vllm18Fp8KVCacheDataTypeE1EDF16_Li32ELi64ELi256ELb1ELi3EEvPKT_PKT0_S7_ifPKiS9_S9_iPKfiiiPfSC_PS2_PT2_iSB_SB_,comdat
.Lfunc_end428:
	.size	_Z38paged_attention_ll4mi_QKV_mfma4_kernelIDF16_hLN4vllm18Fp8KVCacheDataTypeE1EDF16_Li32ELi64ELi256ELb1ELi3EEvPKT_PKT0_S7_ifPKiS9_S9_iPKfiiiPfSC_PS2_PT2_iSB_SB_, .Lfunc_end428-_Z38paged_attention_ll4mi_QKV_mfma4_kernelIDF16_hLN4vllm18Fp8KVCacheDataTypeE1EDF16_Li32ELi64ELi256ELb1ELi3EEvPKT_PKT0_S7_ifPKiS9_S9_iPKfiiiPfSC_PS2_PT2_iSB_SB_
                                        ; -- End function
	.section	.AMDGPU.csdata,"",@progbits
; Kernel info:
; codeLenInByte = 27904
; NumSgprs: 50
; NumVgprs: 56
; NumAgprs: 4
; TotalNumVgprs: 60
; ScratchSize: 0
; MemoryBound: 0
; FloatMode: 240
; IeeeMode: 1
; LDSByteSize: 2720 bytes/workgroup (compile time only)
; SGPRBlocks: 6
; VGPRBlocks: 7
; NumSGPRsForWavesPerEU: 50
; NumVGPRsForWavesPerEU: 60
; AccumOffset: 56
; Occupancy: 8
; WaveLimiterHint : 1
; COMPUTE_PGM_RSRC2:SCRATCH_EN: 0
; COMPUTE_PGM_RSRC2:USER_SGPR: 6
; COMPUTE_PGM_RSRC2:TRAP_HANDLER: 0
; COMPUTE_PGM_RSRC2:TGID_X_EN: 1
; COMPUTE_PGM_RSRC2:TGID_Y_EN: 1
; COMPUTE_PGM_RSRC2:TGID_Z_EN: 1
; COMPUTE_PGM_RSRC2:TIDIG_COMP_CNT: 0
; COMPUTE_PGM_RSRC3_GFX90A:ACCUM_OFFSET: 13
; COMPUTE_PGM_RSRC3_GFX90A:TG_SPLIT: 0
	.section	.text._Z38paged_attention_ll4mi_QKV_mfma4_kernelIDF16_hLN4vllm18Fp8KVCacheDataTypeE1EDF16_Li32ELi64ELi256ELb1ELi4EEvPKT_PKT0_S7_ifPKiS9_S9_iPKfiiiPfSC_PS2_PT2_iSB_SB_,"axG",@progbits,_Z38paged_attention_ll4mi_QKV_mfma4_kernelIDF16_hLN4vllm18Fp8KVCacheDataTypeE1EDF16_Li32ELi64ELi256ELb1ELi4EEvPKT_PKT0_S7_ifPKiS9_S9_iPKfiiiPfSC_PS2_PT2_iSB_SB_,comdat
	.protected	_Z38paged_attention_ll4mi_QKV_mfma4_kernelIDF16_hLN4vllm18Fp8KVCacheDataTypeE1EDF16_Li32ELi64ELi256ELb1ELi4EEvPKT_PKT0_S7_ifPKiS9_S9_iPKfiiiPfSC_PS2_PT2_iSB_SB_ ; -- Begin function _Z38paged_attention_ll4mi_QKV_mfma4_kernelIDF16_hLN4vllm18Fp8KVCacheDataTypeE1EDF16_Li32ELi64ELi256ELb1ELi4EEvPKT_PKT0_S7_ifPKiS9_S9_iPKfiiiPfSC_PS2_PT2_iSB_SB_
	.globl	_Z38paged_attention_ll4mi_QKV_mfma4_kernelIDF16_hLN4vllm18Fp8KVCacheDataTypeE1EDF16_Li32ELi64ELi256ELb1ELi4EEvPKT_PKT0_S7_ifPKiS9_S9_iPKfiiiPfSC_PS2_PT2_iSB_SB_
	.p2align	8
	.type	_Z38paged_attention_ll4mi_QKV_mfma4_kernelIDF16_hLN4vllm18Fp8KVCacheDataTypeE1EDF16_Li32ELi64ELi256ELb1ELi4EEvPKT_PKT0_S7_ifPKiS9_S9_iPKfiiiPfSC_PS2_PT2_iSB_SB_,@function
_Z38paged_attention_ll4mi_QKV_mfma4_kernelIDF16_hLN4vllm18Fp8KVCacheDataTypeE1EDF16_Li32ELi64ELi256ELb1ELi4EEvPKT_PKT0_S7_ifPKiS9_S9_iPKfiiiPfSC_PS2_PT2_iSB_SB_: ; @_Z38paged_attention_ll4mi_QKV_mfma4_kernelIDF16_hLN4vllm18Fp8KVCacheDataTypeE1EDF16_Li32ELi64ELi256ELb1ELi4EEvPKT_PKT0_S7_ifPKiS9_S9_iPKfiiiPfSC_PS2_PT2_iSB_SB_
; %bb.0:
	s_load_dwordx2 s[2:3], s[4:5], 0x30
	s_mov_b32 s10, s7
	s_mov_b64 s[0:1], 0
	s_waitcnt lgkmcnt(0)
	s_cmp_lg_u64 s[2:3], 0
	s_cselect_b64 s[20:21], -1, 0
	s_and_b64 vcc, exec, s[20:21]
	s_cbranch_vccz .LBB429_788
; %bb.1:
	s_add_i32 s12, s6, 1
	s_mov_b32 s13, 0
	s_lshl_b64 s[14:15], s[12:13], 2
	s_add_u32 s14, s2, s14
	s_mov_b32 s7, s13
	s_addc_u32 s15, s3, s15
	s_lshl_b64 s[12:13], s[6:7], 2
	s_add_u32 s12, s2, s12
	s_addc_u32 s13, s3, s13
	s_load_dword s9, s[14:15], 0x0
	s_load_dword s11, s[12:13], 0x0
	s_mov_b64 s[36:37], s[6:7]
	s_waitcnt lgkmcnt(0)
	s_sub_i32 s9, s9, s11
	s_cmp_eq_u32 s9, 1
	s_cselect_b64 s[12:13], -1, 0
	s_andn2_b64 vcc, exec, s[0:1]
	s_cbranch_vccnz .LBB429_3
.LBB429_2:
	s_mov_b32 s7, 0
	s_mov_b64 s[12:13], -1
	s_mov_b64 s[36:37], s[6:7]
.LBB429_3:
	s_andn2_b64 vcc, exec, s[12:13]
	s_cbranch_vccnz .LBB429_787
; %bb.4:
	s_load_dword s7, s[4:5], 0x9c
	s_load_dwordx2 s[0:1], s[4:5], 0x28
	s_add_u32 s30, s4, 0x90
	s_addc_u32 s31, s5, 0
	s_lshl_b64 s[22:23], s[36:37], 2
	s_waitcnt lgkmcnt(0)
	s_and_b32 s9, s7, 0xffff
	s_add_u32 s0, s0, s22
	s_addc_u32 s1, s1, s23
	s_load_dword s7, s[0:1], 0x0
	s_mul_i32 s9, s10, s9
	s_waitcnt lgkmcnt(0)
	s_cmp_ge_i32 s9, s7
	s_cbranch_scc1 .LBB429_787
; %bb.5:
	v_and_b32_e32 v1, 0xc0, v0
	v_and_b32_e32 v44, 3, v0
	s_lshl_b32 s33, s8, 2
	v_add_u32_e32 v4, s9, v1
	v_lshrrev_b32_e32 v43, 6, v0
	v_cmp_le_i32_e64 s[0:1], s7, v4
	v_or_b32_e32 v38, s33, v44
                                        ; implicit-def: $sgpr24
                                        ; implicit-def: $sgpr11
	s_and_saveexec_b64 s[12:13], s[0:1]
	s_xor_b64 s[12:13], exec, s[12:13]
	s_cbranch_execz .LBB429_7
; %bb.6:
	v_mul_u32_u24_e32 v1, 20, v43
	v_or_b32_e32 v1, 0xa00, v1
	v_mov_b32_e32 v2, 0xa50
	v_mov_b32_e32 v3, 0xff7fffff
	v_mad_u32_u24 v2, v43, 20, v2
	ds_write2_b32 v1, v3, v3 offset1:1
	v_mov_b32_e32 v1, 0
	ds_write2_b32 v2, v1, v1 offset1:1
	v_mov_b32_e32 v2, 0xa08
	v_mov_b32_e32 v4, 0xa58
	s_mov_b32 s11, 0xff7fffff
	s_mov_b32 s24, 0
	v_mad_u32_u24 v2, v43, 20, v2
	v_mad_u32_u24 v4, v43, 20, v4
	v_or_b32_e32 v38, s33, v44
	ds_write2_b32 v2, v3, v3 offset1:1
	ds_write2_b32 v4, v1, v1 offset1:1
                                        ; implicit-def: $vgpr4
.LBB429_7:
	s_or_saveexec_b64 s[34:35], s[12:13]
	s_load_dwordx2 s[28:29], s[4:5], 0x68
	s_load_dwordx4 s[16:19], s[4:5], 0x58
	s_load_dword s44, s[30:31], 0x4
	s_load_dwordx4 s[12:15], s[4:5], 0x80
	v_and_b32_e32 v1, 63, v0
	v_mov_b32_e32 v21, s24
	v_mov_b32_e32 v26, s11
	;; [unrolled: 1-line block ×5, first 2 shown]
                                        ; implicit-def: $vgpr14_vgpr15
                                        ; implicit-def: $vgpr10_vgpr11
                                        ; implicit-def: $vgpr6_vgpr7
                                        ; implicit-def: $vgpr2_vgpr3
	s_xor_b64 exec, exec, s[34:35]
	s_cbranch_execz .LBB429_397
; %bb.8:
	s_add_i32 s26, s7, 31
	s_ashr_i32 s27, s26, 31
	s_load_dwordx2 s[24:25], s[4:5], 0x20
	s_load_dword s11, s[4:5], 0x38
	s_lshr_b32 s27, s27, 27
	v_add_u32_e32 v45, s9, v0
	s_add_i32 s26, s26, s27
	v_ashrrev_i32_e32 v2, 31, v45
	s_ashr_i32 s26, s26, 5
	v_lshrrev_b32_e32 v2, 27, v2
	s_add_i32 s40, s26, -1
	v_add_u32_e32 v2, v45, v2
	v_ashrrev_i32_e32 v2, 5, v2
	v_mov_b32_e32 v3, s40
	v_cmp_gt_i32_e32 vcc, s7, v45
	s_waitcnt lgkmcnt(0)
	s_mul_i32 s38, s6, s11
	s_mov_b32 s39, 0
	v_cndmask_b32_e32 v2, v3, v2, vcc
	s_lshl_b64 s[26:27], s[38:39], 2
	v_ashrrev_i32_e32 v3, 31, v2
	s_add_u32 s11, s24, s26
	v_lshlrev_b64 v[2:3], 2, v[2:3]
	v_add_co_u32_e32 v6, vcc, s11, v2
	v_ashrrev_i32_e32 v2, 31, v4
	v_lshrrev_b32_e32 v2, 27, v2
	v_add_u32_e32 v2, v4, v2
	s_addc_u32 s24, s25, s27
	v_ashrrev_i32_e32 v4, 5, v2
	v_mov_b32_e32 v5, s24
	v_min_i32_e32 v2, s40, v4
	v_addc_co_u32_e32 v7, vcc, v5, v3, vcc
	v_ashrrev_i32_e32 v3, 31, v2
	v_lshlrev_b64 v[2:3], 2, v[2:3]
	v_add_co_u32_e32 v8, vcc, s11, v2
	v_add_u32_e32 v2, 1, v4
	v_min_i32_e32 v2, s40, v2
	v_addc_co_u32_e32 v9, vcc, v5, v3, vcc
	v_ashrrev_i32_e32 v3, 31, v2
	v_lshlrev_b64 v[2:3], 2, v[2:3]
	v_mov_b32_e32 v4, s24
	v_add_co_u32_e32 v10, vcc, s11, v2
	v_addc_co_u32_e32 v11, vcc, v4, v3, vcc
	global_load_dword v4, v[6:7], off
	global_load_dword v3, v[8:9], off
	;; [unrolled: 1-line block ×3, first 2 shown]
	s_load_dwordx2 s[42:43], s[4:5], 0x40
	s_load_dwordx4 s[24:27], s[4:5], 0x0
	s_load_dwordx2 s[40:41], s[4:5], 0x10
	s_andn2_b64 vcc, exec, s[20:21]
	s_cbranch_vccnz .LBB429_10
; %bb.9:
	s_add_u32 s2, s2, s22
	s_addc_u32 s3, s3, s23
	s_load_dword s38, s[2:3], 0x0
	s_waitcnt lgkmcnt(0)
	s_mov_b64 s[36:37], s[38:39]
.LBB429_10:
	s_load_dwordx4 s[20:23], s[4:5], 0x48
	v_lshrrev_b32_e32 v5, 2, v1
	v_lshlrev_b32_e32 v6, 3, v44
	v_add_lshl_u32 v5, v6, v5, 4
	v_mov_b32_e32 v39, 0
	s_waitcnt lgkmcnt(0)
	s_ashr_i32 s3, s20, 31
	s_mul_hi_u32 s9, s36, s20
	s_mul_i32 s3, s36, s3
	s_mul_i32 s11, s37, s20
	s_add_i32 s3, s9, s3
	s_mul_i32 s2, s36, s20
	s_add_i32 s3, s3, s11
	s_lshl_b64 s[2:3], s[2:3], 1
	s_add_u32 s9, s24, s2
	s_addc_u32 s11, s25, s3
	s_lshl_b32 s38, s8, 8
	s_lshl_b64 s[2:3], s[38:39], 1
	s_add_u32 s2, s9, s2
	s_addc_u32 s3, s11, s3
	s_mul_i32 s8, s8, s22
	global_load_dwordx4 v[18:21], v5, s[2:3]
	s_add_u32 s2, s8, s26
	s_addc_u32 s3, 0, s27
	v_pk_mov_b32 v[6:7], s[2:3], s[2:3] op_sel:[0,1]
	s_waitcnt vmcnt(3)
	v_mad_i64_i32 v[4:5], s[2:3], v4, s21, v[6:7]
	v_lshlrev_b32_e32 v6, 4, v0
	v_and_b32_e32 v6, 0x1f0, v6
	v_add_co_u32_e32 v4, vcc, v4, v6
	v_addc_co_u32_e32 v5, vcc, 0, v5, vcc
	global_load_dwordx4 v[34:37], v[4:5], off
	global_load_dwordx4 v[30:33], v[4:5], off offset:512
	global_load_dwordx4 v[26:29], v[4:5], off offset:1024
	;; [unrolled: 1-line block ×3, first 2 shown]
	v_lshlrev_b64 v[4:5], 2, v[38:39]
	v_mov_b32_e32 v6, s43
	v_add_co_u32_e32 v4, vcc, s42, v4
	v_addc_co_u32_e32 v5, vcc, v6, v5, vcc
	global_load_dword v46, v[4:5], off
	s_add_u32 s2, s40, s8
	v_lshlrev_b32_e32 v4, 5, v1
	s_addc_u32 s3, s41, 0
	v_add_co_u32_e32 v6, vcc, s2, v4
	s_waitcnt vmcnt(7)
	v_mul_hi_i32 v4, v3, s21
	v_mov_b32_e32 v5, s3
	v_ashrrev_i32_e32 v4, 31, v4
	v_addc_co_u32_e32 v7, vcc, 0, v5, vcc
	v_lshrrev_b32_e32 v4, 29, v4
	v_mov_b32_e32 v5, v39
	v_mad_i64_i32 v[4:5], s[2:3], v3, s21, v[4:5]
	v_and_b32_e32 v3, -8, v4
	v_add_co_u32_e32 v4, vcc, v6, v3
	s_waitcnt vmcnt(6)
	v_mul_hi_i32 v3, v2, s21
	v_addc_co_u32_e32 v5, vcc, v7, v5, vcc
	v_ashrrev_i32_e32 v3, 31, v3
	global_load_dwordx4 v[10:13], v[4:5], off offset:16
	global_load_dwordx4 v[14:17], v[4:5], off
	v_lshrrev_b32_e32 v4, 29, v3
	v_mov_b32_e32 v5, v39
	v_mad_i64_i32 v[2:3], s[2:3], v2, s21, v[4:5]
	v_and_b32_e32 v2, -8, v2
	v_add_co_u32_e32 v40, vcc, v6, v2
	v_addc_co_u32_e32 v41, vcc, v7, v3, vcc
	global_load_dwordx4 v[2:5], v[40:41], off offset:16
	global_load_dwordx4 v[6:9], v[40:41], off
	v_mov_b32_e32 v47, 0
	s_waitcnt vmcnt(8)
	v_cmp_ne_u16_sdwa s[8:9], v34, v39 src0_sel:BYTE_0 src1_sel:DWORD
	s_and_saveexec_b64 s[2:3], s[8:9]
	s_cbranch_execz .LBB429_16
; %bb.11:
	s_movk_i32 s8, 0x80
	v_cmp_ne_u16_sdwa s[20:21], v34, s8 src0_sel:BYTE_0 src1_sel:DWORD
	v_bfrev_b32_e32 v47, 1
	s_and_saveexec_b64 s[8:9], s[20:21]
	s_cbranch_execz .LBB429_15
; %bb.12:
	s_movk_i32 s11, 0x7f
	v_and_b32_e32 v40, 0x7f, v34
	v_cmp_ne_u32_e32 vcc, s11, v40
	v_mov_b32_e32 v47, 0x7f800001
	s_and_saveexec_b64 s[20:21], vcc
	s_cbranch_execz .LBB429_14
; %bb.13:
	v_and_b32_e32 v41, 7, v34
	v_ffbh_u32_e32 v41, v41
	v_min_u32_e32 v41, 32, v41
	v_subrev_u32_e32 v47, 28, v41
	v_cmp_gt_u32_e32 vcc, 8, v40
	v_lshrrev_b32_e32 v42, 3, v40
	v_sub_u32_e32 v41, 29, v41
	v_cndmask_b32_e32 v40, 0, v47, vcc
	v_cndmask_b32_e32 v42, v42, v41, vcc
	v_lshlrev_b64 v[40:41], v40, v[34:35]
	v_lshlrev_b32_e32 v40, 20, v40
	v_lshlrev_b32_e32 v41, 24, v34
	v_bfrev_b32_e32 v47, 60
	v_and_b32_e32 v40, 0x700000, v40
	v_and_b32_e32 v41, 0x80000000, v41
	v_lshl_add_u32 v42, v42, 23, v47
	v_or3_b32 v47, v41, v42, v40
.LBB429_14:
	s_or_b64 exec, exec, s[20:21]
.LBB429_15:
	s_or_b64 exec, exec, s[8:9]
.LBB429_16:
	s_or_b64 exec, exec, s[2:3]
	v_lshrrev_b16_e32 v40, 8, v34
	v_cmp_ne_u16_e32 vcc, 0, v40
	s_and_saveexec_b64 s[2:3], vcc
	s_cbranch_execz .LBB429_22
; %bb.17:
	s_movk_i32 s8, 0x80
	v_cmp_ne_u16_sdwa s[20:21], v34, s8 src0_sel:BYTE_1 src1_sel:DWORD
	v_bfrev_b32_e32 v39, 1
	s_and_saveexec_b64 s[8:9], s[20:21]
	s_cbranch_execz .LBB429_21
; %bb.18:
	s_movk_i32 s11, 0x7f
	v_and_b32_e32 v41, 0x7f, v40
	v_cmp_ne_u32_e32 vcc, s11, v41
	v_mov_b32_e32 v39, 0x7f800001
	s_and_saveexec_b64 s[20:21], vcc
	s_cbranch_execz .LBB429_20
; %bb.19:
	v_and_b32_e32 v39, 7, v40
	v_ffbh_u32_e32 v48, v39
	v_min_u32_e32 v50, 32, v48
	v_subrev_u32_e32 v48, 28, v50
	v_lshlrev_b64 v[48:49], v48, v[40:41]
	v_lshrrev_b32_e32 v42, 3, v41
	v_sub_u32_e32 v40, 29, v50
	v_and_b32_e32 v48, 7, v48
	v_cmp_gt_u32_e32 vcc, 8, v41
	v_cndmask_b32_e32 v40, v42, v40, vcc
	v_cndmask_b32_e32 v39, v39, v48, vcc
	v_lshlrev_b32_e32 v41, 16, v34
	v_bfrev_b32_e32 v42, 60
	v_lshlrev_b32_e32 v39, 20, v39
	v_and_b32_e32 v41, 0x80000000, v41
	v_lshl_add_u32 v40, v40, 23, v42
	v_or3_b32 v39, v41, v40, v39
.LBB429_20:
	s_or_b64 exec, exec, s[20:21]
.LBB429_21:
	s_or_b64 exec, exec, s[8:9]
.LBB429_22:
	s_or_b64 exec, exec, s[2:3]
	s_movk_i32 s2, 0xff
	v_and_b32_sdwa v41, v34, s2 dst_sel:DWORD dst_unused:UNUSED_PAD src0_sel:WORD_1 src1_sel:DWORD
	v_lshrrev_b32_e32 v40, 16, v34
	v_cmp_ne_u16_e32 vcc, 0, v41
	v_mov_b32_e32 v48, 0
	v_mov_b32_e32 v49, 0
	s_and_saveexec_b64 s[2:3], vcc
	s_cbranch_execz .LBB429_28
; %bb.23:
	s_movk_i32 s8, 0x80
	v_cmp_ne_u16_e32 vcc, s8, v41
	v_bfrev_b32_e32 v49, 1
	s_and_saveexec_b64 s[8:9], vcc
	s_cbranch_execz .LBB429_27
; %bb.24:
	v_bfe_u32 v41, v34, 16, 7
	s_movk_i32 s11, 0x7f
	v_cmp_ne_u32_e32 vcc, s11, v41
	v_mov_b32_e32 v49, 0x7f800001
	s_and_saveexec_b64 s[20:21], vcc
	s_cbranch_execz .LBB429_26
; %bb.25:
	v_and_b32_e32 v42, 7, v40
	v_ffbh_u32_e32 v50, v42
	v_min_u32_e32 v52, 32, v50
	v_subrev_u32_e32 v50, 28, v52
	v_lshlrev_b64 v[50:51], v50, v[40:41]
	v_and_b32_e32 v50, 7, v50
	v_cmp_gt_u32_e32 vcc, 8, v41
	v_lshrrev_b32_e32 v49, 3, v41
	v_sub_u32_e32 v40, 29, v52
	v_cndmask_b32_e32 v41, v42, v50, vcc
	v_mov_b32_e32 v42, 24
	v_cndmask_b32_e32 v40, v49, v40, vcc
	v_lshlrev_b32_sdwa v42, v42, v34 dst_sel:DWORD dst_unused:UNUSED_PAD src0_sel:DWORD src1_sel:WORD_1
	v_bfrev_b32_e32 v49, 60
	v_lshlrev_b32_e32 v41, 20, v41
	v_and_b32_e32 v42, 0x80000000, v42
	v_lshl_add_u32 v40, v40, 23, v49
	v_or3_b32 v49, v42, v40, v41
.LBB429_26:
	s_or_b64 exec, exec, s[20:21]
.LBB429_27:
	s_or_b64 exec, exec, s[8:9]
.LBB429_28:
	s_or_b64 exec, exec, s[2:3]
	s_mov_b32 s2, 0xffffff
	v_cmp_lt_u32_e32 vcc, s2, v34
	s_and_saveexec_b64 s[2:3], vcc
	s_cbranch_execz .LBB429_34
; %bb.29:
	v_lshrrev_b32_e32 v40, 24, v34
	s_movk_i32 s8, 0x80
	v_cmp_ne_u32_e32 vcc, s8, v40
	v_bfrev_b32_e32 v48, 1
	s_and_saveexec_b64 s[8:9], vcc
	s_cbranch_execz .LBB429_33
; %bb.30:
	v_bfe_u32 v41, v34, 24, 7
	s_movk_i32 s11, 0x7f
	v_cmp_ne_u32_e32 vcc, s11, v41
	v_mov_b32_e32 v48, 0x7f800001
	s_and_saveexec_b64 s[20:21], vcc
	s_cbranch_execz .LBB429_32
; %bb.31:
	v_and_b32_e32 v42, 7, v40
	v_ffbh_u32_e32 v50, v42
	v_min_u32_e32 v52, 32, v50
	v_subrev_u32_e32 v50, 28, v52
	v_lshlrev_b64 v[50:51], v50, v[40:41]
	v_lshrrev_b32_e32 v48, 3, v41
	v_sub_u32_e32 v51, 29, v52
	v_and_b32_e32 v50, 7, v50
	v_cmp_gt_u32_e32 vcc, 8, v41
	v_cndmask_b32_e32 v41, v48, v51, vcc
	v_cndmask_b32_e32 v42, v42, v50, vcc
	v_lshlrev_b32_e32 v40, 24, v40
	v_bfrev_b32_e32 v48, 60
	v_lshlrev_b32_e32 v42, 20, v42
	v_and_b32_e32 v40, 0x80000000, v40
	v_lshl_add_u32 v41, v41, 23, v48
	v_or3_b32 v48, v40, v41, v42
.LBB429_32:
	s_or_b64 exec, exec, s[20:21]
.LBB429_33:
	s_or_b64 exec, exec, s[8:9]
.LBB429_34:
	s_or_b64 exec, exec, s[2:3]
	v_mov_b32_e32 v41, 0
	v_mov_b32_e32 v40, v35
	v_cmp_ne_u16_sdwa s[8:9], v35, v41 src0_sel:BYTE_0 src1_sel:DWORD
	v_mov_b32_e32 v50, v41
	s_and_saveexec_b64 s[2:3], s[8:9]
	s_cbranch_execz .LBB429_40
; %bb.35:
	s_movk_i32 s8, 0x80
	v_cmp_ne_u16_sdwa s[20:21], v35, s8 src0_sel:BYTE_0 src1_sel:DWORD
	v_bfrev_b32_e32 v50, 1
	s_and_saveexec_b64 s[8:9], s[20:21]
	s_cbranch_execz .LBB429_39
; %bb.36:
	s_movk_i32 s11, 0x7f
	v_and_b32_e32 v42, 0x7f, v35
	v_cmp_ne_u32_e32 vcc, s11, v42
	v_mov_b32_e32 v50, 0x7f800001
	s_and_saveexec_b64 s[20:21], vcc
	s_cbranch_execz .LBB429_38
; %bb.37:
	v_and_b32_e32 v50, 7, v35
	v_ffbh_u32_e32 v50, v50
	v_min_u32_e32 v50, 32, v50
	v_lshrrev_b32_e32 v51, 3, v42
	v_subrev_u32_e32 v52, 28, v50
	v_sub_u32_e32 v50, 29, v50
	v_cmp_gt_u32_e32 vcc, 8, v42
	v_cndmask_b32_e32 v42, v51, v50, vcc
	v_cndmask_b32_e32 v50, 0, v52, vcc
	v_lshlrev_b64 v[50:51], v50, v[40:41]
	v_lshlrev_b32_e32 v50, 20, v50
	v_lshlrev_b32_e32 v51, 24, v40
	v_bfrev_b32_e32 v52, 60
	v_and_b32_e32 v50, 0x700000, v50
	v_and_b32_e32 v51, 0x80000000, v51
	v_lshl_add_u32 v42, v42, 23, v52
	v_or3_b32 v50, v51, v42, v50
.LBB429_38:
	s_or_b64 exec, exec, s[20:21]
.LBB429_39:
	s_or_b64 exec, exec, s[8:9]
.LBB429_40:
	s_or_b64 exec, exec, s[2:3]
	v_lshrrev_b16_e32 v42, 8, v40
	v_cmp_ne_u16_e32 vcc, 0, v42
	s_and_saveexec_b64 s[2:3], vcc
	s_cbranch_execz .LBB429_46
; %bb.41:
	s_movk_i32 s8, 0x80
	v_cmp_ne_u16_e32 vcc, s8, v42
	v_bfrev_b32_e32 v41, 1
	s_and_saveexec_b64 s[8:9], vcc
	s_cbranch_execz .LBB429_45
; %bb.42:
	s_movk_i32 s11, 0x7f
	v_and_b32_e32 v51, 0x7f, v42
	v_cmp_ne_u32_e32 vcc, s11, v51
	v_mov_b32_e32 v41, 0x7f800001
	s_and_saveexec_b64 s[20:21], vcc
	s_cbranch_execz .LBB429_44
; %bb.43:
	v_and_b32_e32 v41, 7, v42
	v_ffbh_u32_e32 v52, v41
	v_min_u32_e32 v55, 32, v52
	v_subrev_u32_e32 v52, 28, v55
	v_lshlrev_b64 v[52:53], v52, v[42:43]
	v_lshrrev_b32_e32 v54, 3, v51
	v_sub_u32_e32 v42, 29, v55
	v_and_b32_e32 v52, 7, v52
	v_cmp_gt_u32_e32 vcc, 8, v51
	v_cndmask_b32_e32 v42, v54, v42, vcc
	v_cndmask_b32_e32 v41, v41, v52, vcc
	v_lshlrev_b32_e32 v40, 16, v40
	v_bfrev_b32_e32 v51, 60
	v_lshlrev_b32_e32 v41, 20, v41
	v_and_b32_e32 v40, 0x80000000, v40
	v_lshl_add_u32 v42, v42, 23, v51
	v_or3_b32 v41, v40, v42, v41
.LBB429_44:
	s_or_b64 exec, exec, s[20:21]
.LBB429_45:
	s_or_b64 exec, exec, s[8:9]
.LBB429_46:
	s_or_b64 exec, exec, s[2:3]
	s_movk_i32 s2, 0xff
	v_and_b32_sdwa v52, v35, s2 dst_sel:DWORD dst_unused:UNUSED_PAD src0_sel:WORD_1 src1_sel:DWORD
	v_lshrrev_b32_e32 v40, 16, v35
	v_cmp_ne_u16_e32 vcc, 0, v52
	v_mov_b32_e32 v42, 0
	v_mov_b32_e32 v51, 0
	s_and_saveexec_b64 s[2:3], vcc
	s_cbranch_execz .LBB429_52
; %bb.47:
	s_movk_i32 s8, 0x80
	v_cmp_ne_u16_e32 vcc, s8, v52
	v_bfrev_b32_e32 v51, 1
	s_and_saveexec_b64 s[8:9], vcc
	s_cbranch_execz .LBB429_51
; %bb.48:
	v_bfe_u32 v52, v35, 16, 7
	s_movk_i32 s11, 0x7f
	v_cmp_ne_u32_e32 vcc, s11, v52
	v_mov_b32_e32 v51, 0x7f800001
	s_and_saveexec_b64 s[20:21], vcc
	s_cbranch_execz .LBB429_50
; %bb.49:
	v_and_b32_e32 v51, 7, v40
	v_ffbh_u32_e32 v54, v51
	v_min_u32_e32 v56, 32, v54
	v_subrev_u32_e32 v54, 28, v56
	v_lshlrev_b64 v[54:55], v54, v[40:41]
	v_lshrrev_b32_e32 v53, 3, v52
	v_sub_u32_e32 v40, 29, v56
	v_and_b32_e32 v54, 7, v54
	v_cmp_gt_u32_e32 vcc, 8, v52
	v_mov_b32_e32 v52, 24
	v_cndmask_b32_e32 v40, v53, v40, vcc
	v_cndmask_b32_e32 v51, v51, v54, vcc
	v_lshlrev_b32_sdwa v52, v52, v35 dst_sel:DWORD dst_unused:UNUSED_PAD src0_sel:DWORD src1_sel:WORD_1
	v_bfrev_b32_e32 v53, 60
	v_lshlrev_b32_e32 v51, 20, v51
	v_and_b32_e32 v52, 0x80000000, v52
	v_lshl_add_u32 v40, v40, 23, v53
	v_or3_b32 v51, v52, v40, v51
.LBB429_50:
	s_or_b64 exec, exec, s[20:21]
.LBB429_51:
	s_or_b64 exec, exec, s[8:9]
.LBB429_52:
	s_or_b64 exec, exec, s[2:3]
	s_mov_b32 s2, -1
	s_mov_b32 s3, 0xffffff
	v_cmp_lt_u64_e32 vcc, s[2:3], v[34:35]
	s_and_saveexec_b64 s[2:3], vcc
	s_cbranch_execz .LBB429_58
; %bb.53:
	v_lshrrev_b32_e32 v34, 24, v35
	s_movk_i32 s8, 0x80
	v_cmp_ne_u32_e32 vcc, s8, v34
	v_bfrev_b32_e32 v42, 1
	s_and_saveexec_b64 s[8:9], vcc
	s_cbranch_execz .LBB429_57
; %bb.54:
	v_bfe_u32 v35, v35, 24, 7
	s_movk_i32 s11, 0x7f
	v_cmp_ne_u32_e32 vcc, s11, v35
	v_mov_b32_e32 v42, 0x7f800001
	s_and_saveexec_b64 s[20:21], vcc
	s_cbranch_execz .LBB429_56
; %bb.55:
	v_and_b32_e32 v40, 7, v34
	v_ffbh_u32_e32 v52, v40
	v_min_u32_e32 v54, 32, v52
	v_subrev_u32_e32 v52, 28, v54
	v_lshlrev_b64 v[52:53], v52, v[34:35]
	v_lshrrev_b32_e32 v42, 3, v35
	v_sub_u32_e32 v53, 29, v54
	v_and_b32_e32 v52, 7, v52
	v_cmp_gt_u32_e32 vcc, 8, v35
	v_cndmask_b32_e32 v35, v42, v53, vcc
	v_cndmask_b32_e32 v40, v40, v52, vcc
	v_lshlrev_b32_e32 v34, 24, v34
	v_bfrev_b32_e32 v42, 60
	v_lshlrev_b32_e32 v40, 20, v40
	v_and_b32_e32 v34, 0x80000000, v34
	v_lshl_add_u32 v35, v35, 23, v42
	v_or3_b32 v42, v34, v35, v40
.LBB429_56:
	s_or_b64 exec, exec, s[20:21]
.LBB429_57:
	s_or_b64 exec, exec, s[8:9]
.LBB429_58:
	s_or_b64 exec, exec, s[2:3]
	v_cvt_pkrtz_f16_f32 v34, v47, v39
	v_cvt_pkrtz_f16_f32 v35, v49, v48
	;; [unrolled: 1-line block ×4, first 2 shown]
	v_mfma_f32_4x4x4f16 a[0:3], v[18:19], v[34:35], 0 cbsz:4
	v_mov_b32_e32 v42, 0
	v_mfma_f32_4x4x4f16 a[0:3], v[20:21], v[48:49], a[0:3] cbsz:4
	v_mov_b32_e32 v41, 0
	v_cmp_ne_u16_sdwa s[8:9], v36, v42 src0_sel:BYTE_0 src1_sel:DWORD
	s_and_saveexec_b64 s[2:3], s[8:9]
	s_cbranch_execz .LBB429_64
; %bb.59:
	s_movk_i32 s8, 0x80
	v_cmp_ne_u16_sdwa s[20:21], v36, s8 src0_sel:BYTE_0 src1_sel:DWORD
	v_bfrev_b32_e32 v41, 1
	s_and_saveexec_b64 s[8:9], s[20:21]
	s_cbranch_execz .LBB429_63
; %bb.60:
	s_movk_i32 s11, 0x7f
	v_and_b32_e32 v34, 0x7f, v36
	v_cmp_ne_u32_e32 vcc, s11, v34
	v_mov_b32_e32 v41, 0x7f800001
	s_and_saveexec_b64 s[20:21], vcc
	s_cbranch_execz .LBB429_62
; %bb.61:
	v_and_b32_e32 v35, 7, v36
	v_ffbh_u32_e32 v35, v35
	v_min_u32_e32 v35, 32, v35
	v_subrev_u32_e32 v40, 28, v35
	v_cmp_gt_u32_e32 vcc, 8, v34
	v_lshrrev_b32_e32 v39, 3, v34
	v_sub_u32_e32 v35, 29, v35
	v_cndmask_b32_e32 v34, 0, v40, vcc
	v_cndmask_b32_e32 v39, v39, v35, vcc
	v_lshlrev_b64 v[34:35], v34, v[36:37]
	v_lshlrev_b32_e32 v34, 20, v34
	v_lshlrev_b32_e32 v35, 24, v36
	v_bfrev_b32_e32 v40, 60
	v_and_b32_e32 v34, 0x700000, v34
	v_and_b32_e32 v35, 0x80000000, v35
	v_lshl_add_u32 v39, v39, 23, v40
	v_or3_b32 v41, v35, v39, v34
.LBB429_62:
	s_or_b64 exec, exec, s[20:21]
.LBB429_63:
	s_or_b64 exec, exec, s[8:9]
.LBB429_64:
	s_or_b64 exec, exec, s[2:3]
	v_lshrrev_b16_e32 v34, 8, v36
	v_cmp_ne_u16_e32 vcc, 0, v34
	v_mov_b32_e32 v47, 0
	s_and_saveexec_b64 s[2:3], vcc
	s_cbranch_execz .LBB429_70
; %bb.65:
	s_movk_i32 s8, 0x80
	v_cmp_ne_u16_e32 vcc, s8, v34
	v_bfrev_b32_e32 v47, 1
	s_and_saveexec_b64 s[8:9], vcc
	s_cbranch_execz .LBB429_69
; %bb.66:
	s_movk_i32 s11, 0x7f
	v_and_b32_e32 v35, 0x7f, v34
	v_cmp_ne_u32_e32 vcc, s11, v35
	v_mov_b32_e32 v47, 0x7f800001
	s_and_saveexec_b64 s[20:21], vcc
	s_cbranch_execz .LBB429_68
; %bb.67:
	v_and_b32_e32 v39, 7, v34
	v_ffbh_u32_e32 v47, v39
	v_min_u32_e32 v47, 32, v47
	v_subrev_u32_e32 v48, 28, v47
	v_lshlrev_b64 v[48:49], v48, v[34:35]
	v_lshrrev_b32_e32 v40, 3, v35
	v_sub_u32_e32 v34, 29, v47
	v_and_b32_e32 v47, 7, v48
	v_cmp_gt_u32_e32 vcc, 8, v35
	v_cndmask_b32_e32 v34, v40, v34, vcc
	v_cndmask_b32_e32 v35, v39, v47, vcc
	v_lshlrev_b32_e32 v39, 16, v36
	v_bfrev_b32_e32 v40, 60
	v_lshlrev_b32_e32 v35, 20, v35
	v_and_b32_e32 v39, 0x80000000, v39
	v_lshl_add_u32 v34, v34, 23, v40
	v_or3_b32 v47, v39, v34, v35
.LBB429_68:
	s_or_b64 exec, exec, s[20:21]
.LBB429_69:
	s_or_b64 exec, exec, s[8:9]
.LBB429_70:
	s_or_b64 exec, exec, s[2:3]
	s_movk_i32 s2, 0xff
	v_and_b32_sdwa v35, v36, s2 dst_sel:DWORD dst_unused:UNUSED_PAD src0_sel:WORD_1 src1_sel:DWORD
	v_lshrrev_b32_e32 v34, 16, v36
	v_cmp_ne_u16_e32 vcc, 0, v35
	s_and_saveexec_b64 s[2:3], vcc
	s_cbranch_execz .LBB429_76
; %bb.71:
	s_movk_i32 s8, 0x80
	v_cmp_ne_u16_e32 vcc, s8, v35
	v_bfrev_b32_e32 v42, 1
	s_and_saveexec_b64 s[8:9], vcc
	s_cbranch_execz .LBB429_75
; %bb.72:
	v_bfe_u32 v35, v36, 16, 7
	s_movk_i32 s11, 0x7f
	v_cmp_ne_u32_e32 vcc, s11, v35
	v_mov_b32_e32 v42, 0x7f800001
	s_and_saveexec_b64 s[20:21], vcc
	s_cbranch_execz .LBB429_74
; %bb.73:
	v_and_b32_e32 v39, 7, v34
	v_ffbh_u32_e32 v42, v39
	v_min_u32_e32 v42, 32, v42
	v_subrev_u32_e32 v48, 28, v42
	v_lshlrev_b64 v[48:49], v48, v[34:35]
	v_sub_u32_e32 v34, 29, v42
	v_and_b32_e32 v42, 7, v48
	v_cmp_gt_u32_e32 vcc, 8, v35
	v_lshrrev_b32_e32 v40, 3, v35
	v_cndmask_b32_e32 v35, v39, v42, vcc
	v_mov_b32_e32 v39, 24
	v_cndmask_b32_e32 v34, v40, v34, vcc
	v_lshlrev_b32_sdwa v39, v39, v36 dst_sel:DWORD dst_unused:UNUSED_PAD src0_sel:DWORD src1_sel:WORD_1
	v_bfrev_b32_e32 v40, 60
	v_lshlrev_b32_e32 v35, 20, v35
	v_and_b32_e32 v39, 0x80000000, v39
	v_lshl_add_u32 v34, v34, 23, v40
	v_or3_b32 v42, v39, v34, v35
.LBB429_74:
	s_or_b64 exec, exec, s[20:21]
.LBB429_75:
	s_or_b64 exec, exec, s[8:9]
.LBB429_76:
	s_or_b64 exec, exec, s[2:3]
	s_mov_b32 s2, 0xffffff
	v_cmp_lt_u32_e32 vcc, s2, v36
	v_mov_b32_e32 v35, 0
	v_mov_b32_e32 v48, 0
	s_and_saveexec_b64 s[2:3], vcc
	s_cbranch_execz .LBB429_82
; %bb.77:
	v_lshrrev_b32_e32 v34, 24, v36
	s_movk_i32 s8, 0x80
	v_cmp_ne_u32_e32 vcc, s8, v34
	v_bfrev_b32_e32 v48, 1
	s_and_saveexec_b64 s[8:9], vcc
	s_cbranch_execz .LBB429_81
; %bb.78:
	v_bfe_u32 v39, v36, 24, 7
	s_movk_i32 s11, 0x7f
	v_cmp_ne_u32_e32 vcc, s11, v39
	v_mov_b32_e32 v48, 0x7f800001
	s_and_saveexec_b64 s[20:21], vcc
	s_cbranch_execz .LBB429_80
; %bb.79:
	v_and_b32_e32 v40, 7, v34
	v_ffbh_u32_e32 v48, v40
	v_min_u32_e32 v51, 32, v48
	v_subrev_u32_e32 v48, 28, v51
	v_lshlrev_b64 v[48:49], v48, v[34:35]
	v_lshrrev_b32_e32 v50, 3, v39
	v_sub_u32_e32 v49, 29, v51
	v_and_b32_e32 v48, 7, v48
	v_cmp_gt_u32_e32 vcc, 8, v39
	v_cndmask_b32_e32 v39, v50, v49, vcc
	v_cndmask_b32_e32 v40, v40, v48, vcc
	v_lshlrev_b32_e32 v34, 24, v34
	v_bfrev_b32_e32 v48, 60
	v_lshlrev_b32_e32 v40, 20, v40
	v_and_b32_e32 v34, 0x80000000, v34
	v_lshl_add_u32 v39, v39, 23, v48
	v_or3_b32 v48, v34, v39, v40
.LBB429_80:
	s_or_b64 exec, exec, s[20:21]
.LBB429_81:
	s_or_b64 exec, exec, s[8:9]
.LBB429_82:
	s_or_b64 exec, exec, s[2:3]
	v_mov_b32_e32 v34, v37
	v_cmp_ne_u16_sdwa s[8:9], v37, v35 src0_sel:BYTE_0 src1_sel:DWORD
	s_and_saveexec_b64 s[2:3], s[8:9]
	s_cbranch_execz .LBB429_88
; %bb.83:
	s_movk_i32 s8, 0x80
	v_cmp_ne_u16_sdwa s[20:21], v37, s8 src0_sel:BYTE_0 src1_sel:DWORD
	v_bfrev_b32_e32 v39, 1
	s_and_saveexec_b64 s[8:9], s[20:21]
	s_cbranch_execz .LBB429_87
; %bb.84:
	s_movk_i32 s11, 0x7f
	v_and_b32_e32 v40, 0x7f, v37
	v_cmp_ne_u32_e32 vcc, s11, v40
	v_mov_b32_e32 v39, 0x7f800001
	s_and_saveexec_b64 s[20:21], vcc
	s_cbranch_execz .LBB429_86
; %bb.85:
	v_and_b32_e32 v39, 7, v37
	v_ffbh_u32_e32 v39, v39
	v_min_u32_e32 v39, 32, v39
	v_subrev_u32_e32 v50, 28, v39
	v_cmp_gt_u32_e32 vcc, 8, v40
	v_lshrrev_b32_e32 v49, 3, v40
	v_cndmask_b32_e32 v40, 0, v50, vcc
	v_sub_u32_e32 v39, 29, v39
	v_lshlrev_b64 v[50:51], v40, v[34:35]
	v_cndmask_b32_e32 v39, v49, v39, vcc
	v_lshlrev_b32_e32 v35, 20, v50
	v_lshlrev_b32_e32 v40, 24, v34
	v_bfrev_b32_e32 v49, 60
	v_and_b32_e32 v35, 0x700000, v35
	v_and_b32_e32 v40, 0x80000000, v40
	v_lshl_add_u32 v39, v39, 23, v49
	v_or3_b32 v39, v40, v39, v35
.LBB429_86:
	s_or_b64 exec, exec, s[20:21]
.LBB429_87:
	s_or_b64 exec, exec, s[8:9]
	v_mov_b32_e32 v35, v39
.LBB429_88:
	s_or_b64 exec, exec, s[2:3]
	v_lshrrev_b16_e32 v40, 8, v34
	v_cmp_ne_u16_e32 vcc, 0, v40
	v_mov_b32_e32 v49, 0
	v_mov_b32_e32 v50, 0
	s_and_saveexec_b64 s[2:3], vcc
	s_cbranch_execz .LBB429_94
; %bb.89:
	s_movk_i32 s8, 0x80
	v_cmp_ne_u16_e32 vcc, s8, v40
	v_bfrev_b32_e32 v50, 1
	s_and_saveexec_b64 s[8:9], vcc
	s_cbranch_execz .LBB429_93
; %bb.90:
	s_movk_i32 s11, 0x7f
	v_and_b32_e32 v39, 0x7f, v40
	v_cmp_ne_u32_e32 vcc, s11, v39
	v_mov_b32_e32 v50, 0x7f800001
	s_and_saveexec_b64 s[20:21], vcc
	s_cbranch_execz .LBB429_92
; %bb.91:
	v_and_b32_e32 v52, 7, v40
	v_ffbh_u32_e32 v50, v52
	v_min_u32_e32 v54, 32, v50
	v_subrev_u32_e32 v50, 28, v54
	v_lshlrev_b64 v[50:51], v50, v[40:41]
	v_lshrrev_b32_e32 v53, 3, v39
	v_sub_u32_e32 v40, 29, v54
	v_and_b32_e32 v50, 7, v50
	v_cmp_gt_u32_e32 vcc, 8, v39
	v_cndmask_b32_e32 v39, v53, v40, vcc
	v_cndmask_b32_e32 v40, v52, v50, vcc
	v_lshlrev_b32_e32 v34, 16, v34
	v_bfrev_b32_e32 v50, 60
	v_lshlrev_b32_e32 v40, 20, v40
	v_and_b32_e32 v34, 0x80000000, v34
	v_lshl_add_u32 v39, v39, 23, v50
	v_or3_b32 v50, v34, v39, v40
.LBB429_92:
	s_or_b64 exec, exec, s[20:21]
.LBB429_93:
	s_or_b64 exec, exec, s[8:9]
.LBB429_94:
	s_or_b64 exec, exec, s[2:3]
	s_movk_i32 s2, 0xff
	v_and_b32_sdwa v39, v37, s2 dst_sel:DWORD dst_unused:UNUSED_PAD src0_sel:WORD_1 src1_sel:DWORD
	v_lshrrev_b32_e32 v34, 16, v37
	v_cmp_ne_u16_e32 vcc, 0, v39
	s_and_saveexec_b64 s[2:3], vcc
	s_cbranch_execz .LBB429_100
; %bb.95:
	s_movk_i32 s8, 0x80
	v_cmp_ne_u16_e32 vcc, s8, v39
	v_bfrev_b32_e32 v49, 1
	s_and_saveexec_b64 s[8:9], vcc
	s_cbranch_execz .LBB429_99
; %bb.96:
	v_bfe_u32 v39, v37, 16, 7
	s_movk_i32 s11, 0x7f
	v_cmp_ne_u32_e32 vcc, s11, v39
	v_mov_b32_e32 v49, 0x7f800001
	s_and_saveexec_b64 s[20:21], vcc
	s_cbranch_execz .LBB429_98
; %bb.97:
	v_and_b32_e32 v40, 7, v34
	v_ffbh_u32_e32 v51, v40
	v_min_u32_e32 v51, 32, v51
	v_subrev_u32_e32 v52, 28, v51
	v_lshlrev_b64 v[52:53], v52, v[34:35]
	v_sub_u32_e32 v34, 29, v51
	v_and_b32_e32 v51, 7, v52
	v_cmp_gt_u32_e32 vcc, 8, v39
	v_lshrrev_b32_e32 v49, 3, v39
	v_cndmask_b32_e32 v39, v40, v51, vcc
	v_mov_b32_e32 v40, 24
	v_cndmask_b32_e32 v34, v49, v34, vcc
	v_lshlrev_b32_sdwa v40, v40, v37 dst_sel:DWORD dst_unused:UNUSED_PAD src0_sel:DWORD src1_sel:WORD_1
	v_bfrev_b32_e32 v49, 60
	v_lshlrev_b32_e32 v39, 20, v39
	v_and_b32_e32 v40, 0x80000000, v40
	v_lshl_add_u32 v34, v34, 23, v49
	v_or3_b32 v49, v40, v34, v39
.LBB429_98:
	s_or_b64 exec, exec, s[20:21]
.LBB429_99:
	s_or_b64 exec, exec, s[8:9]
.LBB429_100:
	s_or_b64 exec, exec, s[2:3]
	s_mov_b32 s2, -1
	s_mov_b32 s3, 0xffffff
	v_cmp_lt_u64_e32 vcc, s[2:3], v[36:37]
	v_mov_b32_e32 v39, 0
	v_mov_b32_e32 v36, 0
	s_and_saveexec_b64 s[2:3], vcc
	s_cbranch_execz .LBB429_106
; %bb.101:
	v_lshrrev_b32_e32 v34, 24, v37
	s_movk_i32 s8, 0x80
	v_cmp_ne_u32_e32 vcc, s8, v34
	v_bfrev_b32_e32 v36, 1
	s_and_saveexec_b64 s[8:9], vcc
	s_cbranch_execz .LBB429_105
; %bb.102:
	v_bfe_u32 v37, v37, 24, 7
	s_movk_i32 s11, 0x7f
	v_cmp_ne_u32_e32 vcc, s11, v37
	v_mov_b32_e32 v36, 0x7f800001
	s_and_saveexec_b64 s[20:21], vcc
	s_cbranch_execz .LBB429_104
; %bb.103:
	v_and_b32_e32 v36, 7, v34
	v_ffbh_u32_e32 v51, v36
	v_min_u32_e32 v51, 32, v51
	v_subrev_u32_e32 v52, 28, v51
	v_lshlrev_b64 v[52:53], v52, v[34:35]
	v_lshrrev_b32_e32 v40, 3, v37
	v_sub_u32_e32 v51, 29, v51
	v_and_b32_e32 v52, 7, v52
	v_cmp_gt_u32_e32 vcc, 8, v37
	v_cndmask_b32_e32 v37, v40, v51, vcc
	v_cndmask_b32_e32 v36, v36, v52, vcc
	v_lshlrev_b32_e32 v34, 24, v34
	v_bfrev_b32_e32 v40, 60
	v_lshlrev_b32_e32 v36, 20, v36
	v_and_b32_e32 v34, 0x80000000, v34
	v_lshl_add_u32 v37, v37, 23, v40
	v_or3_b32 v36, v34, v37, v36
.LBB429_104:
	s_or_b64 exec, exec, s[20:21]
.LBB429_105:
	s_or_b64 exec, exec, s[8:9]
.LBB429_106:
	s_or_b64 exec, exec, s[2:3]
	v_cvt_pkrtz_f16_f32 v40, v41, v47
	v_cvt_pkrtz_f16_f32 v41, v42, v48
	;; [unrolled: 1-line block ×4, first 2 shown]
	v_mfma_f32_4x4x4f16 a[0:3], v[18:19], v[40:41], a[0:3] cbsz:4 abid:1
	s_waitcnt vmcnt(7)
	v_cmp_ne_u16_sdwa s[8:9], v30, v39 src0_sel:BYTE_0 src1_sel:DWORD
	v_mfma_f32_4x4x4f16 a[0:3], v[20:21], v[34:35], a[0:3] cbsz:4 abid:1
	s_and_saveexec_b64 s[2:3], s[8:9]
	s_cbranch_execz .LBB429_112
; %bb.107:
	s_movk_i32 s8, 0x80
	v_cmp_ne_u16_sdwa s[20:21], v30, s8 src0_sel:BYTE_0 src1_sel:DWORD
	v_bfrev_b32_e32 v39, 1
	s_and_saveexec_b64 s[8:9], s[20:21]
	s_cbranch_execz .LBB429_111
; %bb.108:
	s_movk_i32 s11, 0x7f
	v_and_b32_e32 v34, 0x7f, v30
	v_cmp_ne_u32_e32 vcc, s11, v34
	v_mov_b32_e32 v39, 0x7f800001
	s_and_saveexec_b64 s[20:21], vcc
	s_cbranch_execz .LBB429_110
; %bb.109:
	v_and_b32_e32 v35, 7, v30
	v_ffbh_u32_e32 v35, v35
	v_min_u32_e32 v35, 32, v35
	v_subrev_u32_e32 v37, 28, v35
	v_cmp_gt_u32_e32 vcc, 8, v34
	v_lshrrev_b32_e32 v36, 3, v34
	v_sub_u32_e32 v35, 29, v35
	v_cndmask_b32_e32 v34, 0, v37, vcc
	v_cndmask_b32_e32 v36, v36, v35, vcc
	v_lshlrev_b64 v[34:35], v34, v[30:31]
	v_lshlrev_b32_e32 v34, 20, v34
	v_lshlrev_b32_e32 v35, 24, v30
	v_bfrev_b32_e32 v37, 60
	v_and_b32_e32 v34, 0x700000, v34
	v_and_b32_e32 v35, 0x80000000, v35
	v_lshl_add_u32 v36, v36, 23, v37
	v_or3_b32 v39, v35, v36, v34
.LBB429_110:
	s_or_b64 exec, exec, s[20:21]
.LBB429_111:
	s_or_b64 exec, exec, s[8:9]
.LBB429_112:
	s_or_b64 exec, exec, s[2:3]
	v_lshrrev_b16_e32 v34, 8, v30
	v_cmp_ne_u16_e32 vcc, 0, v34
	v_mov_b32_e32 v37, 0
	v_mov_b32_e32 v40, 0
	s_and_saveexec_b64 s[2:3], vcc
	s_cbranch_execz .LBB429_118
; %bb.113:
	s_movk_i32 s8, 0x80
	v_cmp_ne_u16_e32 vcc, s8, v34
	v_bfrev_b32_e32 v40, 1
	s_and_saveexec_b64 s[8:9], vcc
	s_cbranch_execz .LBB429_117
; %bb.114:
	s_movk_i32 s11, 0x7f
	v_and_b32_e32 v35, 0x7f, v34
	v_cmp_ne_u32_e32 vcc, s11, v35
	v_mov_b32_e32 v40, 0x7f800001
	s_and_saveexec_b64 s[20:21], vcc
	s_cbranch_execz .LBB429_116
; %bb.115:
	v_and_b32_e32 v36, 7, v34
	v_ffbh_u32_e32 v40, v36
	v_min_u32_e32 v47, 32, v40
	v_subrev_u32_e32 v40, 28, v47
	v_lshlrev_b64 v[40:41], v40, v[34:35]
	v_lshrrev_b32_e32 v42, 3, v35
	v_sub_u32_e32 v34, 29, v47
	v_and_b32_e32 v40, 7, v40
	v_cmp_gt_u32_e32 vcc, 8, v35
	v_cndmask_b32_e32 v34, v42, v34, vcc
	v_cndmask_b32_e32 v35, v36, v40, vcc
	v_lshlrev_b32_e32 v36, 16, v30
	v_bfrev_b32_e32 v40, 60
	v_lshlrev_b32_e32 v35, 20, v35
	v_and_b32_e32 v36, 0x80000000, v36
	v_lshl_add_u32 v34, v34, 23, v40
	v_or3_b32 v40, v36, v34, v35
.LBB429_116:
	s_or_b64 exec, exec, s[20:21]
.LBB429_117:
	s_or_b64 exec, exec, s[8:9]
.LBB429_118:
	s_or_b64 exec, exec, s[2:3]
	s_movk_i32 s2, 0xff
	v_and_b32_sdwa v35, v30, s2 dst_sel:DWORD dst_unused:UNUSED_PAD src0_sel:WORD_1 src1_sel:DWORD
	v_lshrrev_b32_e32 v34, 16, v30
	v_cmp_ne_u16_e32 vcc, 0, v35
	s_and_saveexec_b64 s[2:3], vcc
	s_cbranch_execz .LBB429_124
; %bb.119:
	s_movk_i32 s8, 0x80
	v_cmp_ne_u16_e32 vcc, s8, v35
	v_bfrev_b32_e32 v37, 1
	s_and_saveexec_b64 s[8:9], vcc
	s_cbranch_execz .LBB429_123
; %bb.120:
	v_bfe_u32 v35, v30, 16, 7
	s_movk_i32 s11, 0x7f
	v_cmp_ne_u32_e32 vcc, s11, v35
	v_mov_b32_e32 v37, 0x7f800001
	s_and_saveexec_b64 s[20:21], vcc
	s_cbranch_execz .LBB429_122
; %bb.121:
	v_and_b32_e32 v41, 7, v34
	v_ffbh_u32_e32 v36, v41
	v_min_u32_e32 v47, 32, v36
	v_subrev_u32_e32 v36, 28, v47
	v_lshlrev_b64 v[36:37], v36, v[34:35]
	v_and_b32_e32 v36, 7, v36
	v_cmp_gt_u32_e32 vcc, 8, v35
	v_lshrrev_b32_e32 v42, 3, v35
	v_sub_u32_e32 v34, 29, v47
	v_cndmask_b32_e32 v35, v41, v36, vcc
	v_mov_b32_e32 v36, 24
	v_cndmask_b32_e32 v34, v42, v34, vcc
	v_lshlrev_b32_sdwa v36, v36, v30 dst_sel:DWORD dst_unused:UNUSED_PAD src0_sel:DWORD src1_sel:WORD_1
	v_bfrev_b32_e32 v37, 60
	v_lshlrev_b32_e32 v35, 20, v35
	v_and_b32_e32 v36, 0x80000000, v36
	v_lshl_add_u32 v34, v34, 23, v37
	v_or3_b32 v37, v36, v34, v35
.LBB429_122:
	s_or_b64 exec, exec, s[20:21]
.LBB429_123:
	s_or_b64 exec, exec, s[8:9]
.LBB429_124:
	s_or_b64 exec, exec, s[2:3]
	s_mov_b32 s2, 0xffffff
	v_cmp_lt_u32_e32 vcc, s2, v30
	v_mov_b32_e32 v35, 0
	v_mov_b32_e32 v41, 0
	s_and_saveexec_b64 s[2:3], vcc
	s_cbranch_execz .LBB429_130
; %bb.125:
	v_lshrrev_b32_e32 v34, 24, v30
	s_movk_i32 s8, 0x80
	v_cmp_ne_u32_e32 vcc, s8, v34
	v_bfrev_b32_e32 v41, 1
	s_and_saveexec_b64 s[8:9], vcc
	s_cbranch_execz .LBB429_129
; %bb.126:
	v_bfe_u32 v36, v30, 24, 7
	s_movk_i32 s11, 0x7f
	v_cmp_ne_u32_e32 vcc, s11, v36
	v_mov_b32_e32 v41, 0x7f800001
	s_and_saveexec_b64 s[20:21], vcc
	s_cbranch_execz .LBB429_128
; %bb.127:
	v_and_b32_e32 v41, 7, v34
	v_ffbh_u32_e32 v47, v41
	v_min_u32_e32 v47, 32, v47
	v_subrev_u32_e32 v48, 28, v47
	v_lshlrev_b64 v[48:49], v48, v[34:35]
	v_lshrrev_b32_e32 v42, 3, v36
	v_sub_u32_e32 v47, 29, v47
	v_and_b32_e32 v48, 7, v48
	v_cmp_gt_u32_e32 vcc, 8, v36
	v_cndmask_b32_e32 v36, v42, v47, vcc
	v_cndmask_b32_e32 v41, v41, v48, vcc
	v_lshlrev_b32_e32 v34, 24, v34
	v_bfrev_b32_e32 v42, 60
	v_lshlrev_b32_e32 v41, 20, v41
	v_and_b32_e32 v34, 0x80000000, v34
	v_lshl_add_u32 v36, v36, 23, v42
	v_or3_b32 v41, v34, v36, v41
.LBB429_128:
	s_or_b64 exec, exec, s[20:21]
.LBB429_129:
	s_or_b64 exec, exec, s[8:9]
.LBB429_130:
	s_or_b64 exec, exec, s[2:3]
	v_mov_b32_e32 v34, v31
	v_cmp_ne_u16_sdwa s[8:9], v31, v35 src0_sel:BYTE_0 src1_sel:DWORD
	s_and_saveexec_b64 s[2:3], s[8:9]
	s_cbranch_execz .LBB429_136
; %bb.131:
	s_movk_i32 s8, 0x80
	v_cmp_ne_u16_sdwa s[20:21], v31, s8 src0_sel:BYTE_0 src1_sel:DWORD
	v_bfrev_b32_e32 v36, 1
	s_and_saveexec_b64 s[8:9], s[20:21]
	s_cbranch_execz .LBB429_135
; %bb.132:
	s_movk_i32 s11, 0x7f
	v_and_b32_e32 v42, 0x7f, v31
	v_cmp_ne_u32_e32 vcc, s11, v42
	v_mov_b32_e32 v36, 0x7f800001
	s_and_saveexec_b64 s[20:21], vcc
	s_cbranch_execz .LBB429_134
; %bb.133:
	v_and_b32_e32 v36, 7, v31
	v_ffbh_u32_e32 v36, v36
	v_min_u32_e32 v36, 32, v36
	v_subrev_u32_e32 v48, 28, v36
	v_cmp_gt_u32_e32 vcc, 8, v42
	v_lshrrev_b32_e32 v47, 3, v42
	v_cndmask_b32_e32 v42, 0, v48, vcc
	v_sub_u32_e32 v36, 29, v36
	v_lshlrev_b64 v[48:49], v42, v[34:35]
	v_cndmask_b32_e32 v36, v47, v36, vcc
	v_lshlrev_b32_e32 v35, 20, v48
	v_lshlrev_b32_e32 v42, 24, v34
	v_bfrev_b32_e32 v47, 60
	v_and_b32_e32 v35, 0x700000, v35
	v_and_b32_e32 v42, 0x80000000, v42
	v_lshl_add_u32 v36, v36, 23, v47
	v_or3_b32 v36, v42, v36, v35
.LBB429_134:
	s_or_b64 exec, exec, s[20:21]
.LBB429_135:
	s_or_b64 exec, exec, s[8:9]
	v_mov_b32_e32 v35, v36
.LBB429_136:
	s_or_b64 exec, exec, s[2:3]
	v_lshrrev_b16_e32 v36, 8, v34
	v_cmp_ne_u16_e32 vcc, 0, v36
	v_mov_b32_e32 v42, 0
	v_mov_b32_e32 v47, 0
	s_and_saveexec_b64 s[2:3], vcc
	s_cbranch_execz .LBB429_142
; %bb.137:
	s_movk_i32 s8, 0x80
	v_cmp_ne_u16_e32 vcc, s8, v36
	v_bfrev_b32_e32 v47, 1
	s_and_saveexec_b64 s[8:9], vcc
	s_cbranch_execz .LBB429_141
; %bb.138:
	s_movk_i32 s11, 0x7f
	v_and_b32_e32 v48, 0x7f, v36
	v_cmp_ne_u32_e32 vcc, s11, v48
	v_mov_b32_e32 v47, 0x7f800001
	s_and_saveexec_b64 s[20:21], vcc
	s_cbranch_execz .LBB429_140
; %bb.139:
	v_and_b32_e32 v47, 7, v36
	v_ffbh_u32_e32 v50, v47
	v_min_u32_e32 v52, 32, v50
	v_subrev_u32_e32 v50, 28, v52
	v_lshlrev_b64 v[50:51], v50, v[36:37]
	v_lshrrev_b32_e32 v49, 3, v48
	v_sub_u32_e32 v36, 29, v52
	v_and_b32_e32 v50, 7, v50
	v_cmp_gt_u32_e32 vcc, 8, v48
	v_cndmask_b32_e32 v36, v49, v36, vcc
	v_cndmask_b32_e32 v47, v47, v50, vcc
	v_lshlrev_b32_e32 v34, 16, v34
	v_bfrev_b32_e32 v48, 60
	v_lshlrev_b32_e32 v47, 20, v47
	v_and_b32_e32 v34, 0x80000000, v34
	v_lshl_add_u32 v36, v36, 23, v48
	v_or3_b32 v47, v34, v36, v47
.LBB429_140:
	s_or_b64 exec, exec, s[20:21]
.LBB429_141:
	s_or_b64 exec, exec, s[8:9]
.LBB429_142:
	s_or_b64 exec, exec, s[2:3]
	s_movk_i32 s2, 0xff
	v_and_b32_sdwa v36, v31, s2 dst_sel:DWORD dst_unused:UNUSED_PAD src0_sel:WORD_1 src1_sel:DWORD
	v_lshrrev_b32_e32 v34, 16, v31
	v_cmp_ne_u16_e32 vcc, 0, v36
	s_and_saveexec_b64 s[2:3], vcc
	s_cbranch_execz .LBB429_148
; %bb.143:
	s_movk_i32 s8, 0x80
	v_cmp_ne_u16_e32 vcc, s8, v36
	v_bfrev_b32_e32 v42, 1
	s_and_saveexec_b64 s[8:9], vcc
	s_cbranch_execz .LBB429_147
; %bb.144:
	v_bfe_u32 v36, v31, 16, 7
	s_movk_i32 s11, 0x7f
	v_cmp_ne_u32_e32 vcc, s11, v36
	v_mov_b32_e32 v42, 0x7f800001
	s_and_saveexec_b64 s[20:21], vcc
	s_cbranch_execz .LBB429_146
; %bb.145:
	v_and_b32_e32 v42, 7, v34
	v_ffbh_u32_e32 v48, v42
	v_min_u32_e32 v51, 32, v48
	v_subrev_u32_e32 v48, 28, v51
	v_lshlrev_b64 v[48:49], v48, v[34:35]
	v_and_b32_e32 v48, 7, v48
	v_cmp_gt_u32_e32 vcc, 8, v36
	v_lshrrev_b32_e32 v50, 3, v36
	v_sub_u32_e32 v34, 29, v51
	v_cndmask_b32_e32 v36, v42, v48, vcc
	v_mov_b32_e32 v42, 24
	v_cndmask_b32_e32 v34, v50, v34, vcc
	v_lshlrev_b32_sdwa v42, v42, v31 dst_sel:DWORD dst_unused:UNUSED_PAD src0_sel:DWORD src1_sel:WORD_1
	v_bfrev_b32_e32 v48, 60
	v_lshlrev_b32_e32 v36, 20, v36
	v_and_b32_e32 v42, 0x80000000, v42
	v_lshl_add_u32 v34, v34, 23, v48
	v_or3_b32 v42, v42, v34, v36
.LBB429_146:
	s_or_b64 exec, exec, s[20:21]
.LBB429_147:
	s_or_b64 exec, exec, s[8:9]
.LBB429_148:
	s_or_b64 exec, exec, s[2:3]
	s_mov_b32 s2, -1
	s_mov_b32 s3, 0xffffff
	v_cmp_lt_u64_e32 vcc, s[2:3], v[30:31]
	v_mov_b32_e32 v36, 0
	v_mov_b32_e32 v34, 0
	s_and_saveexec_b64 s[2:3], vcc
	s_cbranch_execz .LBB429_154
; %bb.149:
	v_lshrrev_b32_e32 v30, 24, v31
	s_movk_i32 s8, 0x80
	v_cmp_ne_u32_e32 vcc, s8, v30
	v_bfrev_b32_e32 v34, 1
	s_and_saveexec_b64 s[8:9], vcc
	s_cbranch_execz .LBB429_153
; %bb.150:
	v_bfe_u32 v31, v31, 24, 7
	s_movk_i32 s11, 0x7f
	v_cmp_ne_u32_e32 vcc, s11, v31
	v_mov_b32_e32 v34, 0x7f800001
	s_and_saveexec_b64 s[20:21], vcc
	s_cbranch_execz .LBB429_152
; %bb.151:
	v_and_b32_e32 v34, 7, v30
	v_ffbh_u32_e32 v48, v34
	v_min_u32_e32 v51, 32, v48
	v_subrev_u32_e32 v48, 28, v51
	v_lshlrev_b64 v[48:49], v48, v[30:31]
	v_lshrrev_b32_e32 v50, 3, v31
	v_sub_u32_e32 v49, 29, v51
	v_and_b32_e32 v48, 7, v48
	v_cmp_gt_u32_e32 vcc, 8, v31
	v_cndmask_b32_e32 v31, v50, v49, vcc
	v_cndmask_b32_e32 v34, v34, v48, vcc
	v_lshlrev_b32_e32 v30, 24, v30
	v_bfrev_b32_e32 v48, 60
	v_lshlrev_b32_e32 v34, 20, v34
	v_and_b32_e32 v30, 0x80000000, v30
	v_lshl_add_u32 v31, v31, 23, v48
	v_or3_b32 v34, v30, v31, v34
.LBB429_152:
	s_or_b64 exec, exec, s[20:21]
.LBB429_153:
	s_or_b64 exec, exec, s[8:9]
.LBB429_154:
	s_or_b64 exec, exec, s[2:3]
	v_cvt_pkrtz_f16_f32 v30, v39, v40
	v_cvt_pkrtz_f16_f32 v31, v37, v41
	;; [unrolled: 1-line block ×4, first 2 shown]
	v_mfma_f32_4x4x4f16 a[0:3], v[18:19], v[30:31], a[0:3] cbsz:4 abid:2
	v_cmp_ne_u16_sdwa s[8:9], v32, v36 src0_sel:BYTE_0 src1_sel:DWORD
	v_mfma_f32_4x4x4f16 a[0:3], v[20:21], v[40:41], a[0:3] cbsz:4 abid:2
	s_and_saveexec_b64 s[2:3], s[8:9]
	s_cbranch_execz .LBB429_160
; %bb.155:
	s_movk_i32 s8, 0x80
	v_cmp_ne_u16_sdwa s[20:21], v32, s8 src0_sel:BYTE_0 src1_sel:DWORD
	v_bfrev_b32_e32 v36, 1
	s_and_saveexec_b64 s[8:9], s[20:21]
	s_cbranch_execz .LBB429_159
; %bb.156:
	s_movk_i32 s11, 0x7f
	v_and_b32_e32 v30, 0x7f, v32
	v_cmp_ne_u32_e32 vcc, s11, v30
	v_mov_b32_e32 v36, 0x7f800001
	s_and_saveexec_b64 s[20:21], vcc
	s_cbranch_execz .LBB429_158
; %bb.157:
	v_and_b32_e32 v31, 7, v32
	v_ffbh_u32_e32 v31, v31
	v_min_u32_e32 v31, 32, v31
	v_subrev_u32_e32 v35, 28, v31
	v_cmp_gt_u32_e32 vcc, 8, v30
	v_lshrrev_b32_e32 v34, 3, v30
	v_sub_u32_e32 v31, 29, v31
	v_cndmask_b32_e32 v30, 0, v35, vcc
	v_cndmask_b32_e32 v34, v34, v31, vcc
	v_lshlrev_b64 v[30:31], v30, v[32:33]
	v_lshlrev_b32_e32 v30, 20, v30
	v_lshlrev_b32_e32 v31, 24, v32
	v_bfrev_b32_e32 v35, 60
	v_and_b32_e32 v30, 0x700000, v30
	v_and_b32_e32 v31, 0x80000000, v31
	v_lshl_add_u32 v34, v34, 23, v35
	v_or3_b32 v36, v31, v34, v30
.LBB429_158:
	s_or_b64 exec, exec, s[20:21]
.LBB429_159:
	s_or_b64 exec, exec, s[8:9]
.LBB429_160:
	s_or_b64 exec, exec, s[2:3]
	v_lshrrev_b16_e32 v30, 8, v32
	v_cmp_ne_u16_e32 vcc, 0, v30
	v_mov_b32_e32 v35, 0
	v_mov_b32_e32 v37, 0
	s_and_saveexec_b64 s[2:3], vcc
	s_cbranch_execz .LBB429_166
; %bb.161:
	s_movk_i32 s8, 0x80
	v_cmp_ne_u16_e32 vcc, s8, v30
	v_bfrev_b32_e32 v37, 1
	s_and_saveexec_b64 s[8:9], vcc
	s_cbranch_execz .LBB429_165
; %bb.162:
	s_movk_i32 s11, 0x7f
	v_and_b32_e32 v31, 0x7f, v30
	v_cmp_ne_u32_e32 vcc, s11, v31
	v_mov_b32_e32 v37, 0x7f800001
	s_and_saveexec_b64 s[20:21], vcc
	s_cbranch_execz .LBB429_164
; %bb.163:
	v_and_b32_e32 v34, 7, v30
	v_ffbh_u32_e32 v39, v34
	v_min_u32_e32 v39, 32, v39
	v_subrev_u32_e32 v40, 28, v39
	v_lshlrev_b64 v[40:41], v40, v[30:31]
	v_lshrrev_b32_e32 v37, 3, v31
	v_sub_u32_e32 v30, 29, v39
	v_and_b32_e32 v39, 7, v40
	v_cmp_gt_u32_e32 vcc, 8, v31
	v_cndmask_b32_e32 v30, v37, v30, vcc
	v_cndmask_b32_e32 v31, v34, v39, vcc
	v_lshlrev_b32_e32 v34, 16, v32
	v_bfrev_b32_e32 v37, 60
	v_lshlrev_b32_e32 v31, 20, v31
	v_and_b32_e32 v34, 0x80000000, v34
	v_lshl_add_u32 v30, v30, 23, v37
	v_or3_b32 v37, v34, v30, v31
.LBB429_164:
	s_or_b64 exec, exec, s[20:21]
.LBB429_165:
	s_or_b64 exec, exec, s[8:9]
.LBB429_166:
	s_or_b64 exec, exec, s[2:3]
	s_movk_i32 s2, 0xff
	v_and_b32_sdwa v31, v32, s2 dst_sel:DWORD dst_unused:UNUSED_PAD src0_sel:WORD_1 src1_sel:DWORD
	v_lshrrev_b32_e32 v30, 16, v32
	v_cmp_ne_u16_e32 vcc, 0, v31
	s_and_saveexec_b64 s[2:3], vcc
	s_cbranch_execz .LBB429_172
; %bb.167:
	s_movk_i32 s8, 0x80
	v_cmp_ne_u16_e32 vcc, s8, v31
	v_bfrev_b32_e32 v35, 1
	s_and_saveexec_b64 s[8:9], vcc
	s_cbranch_execz .LBB429_171
; %bb.168:
	v_bfe_u32 v31, v32, 16, 7
	s_movk_i32 s11, 0x7f
	v_cmp_ne_u32_e32 vcc, s11, v31
	v_mov_b32_e32 v35, 0x7f800001
	s_and_saveexec_b64 s[20:21], vcc
	s_cbranch_execz .LBB429_170
; %bb.169:
	v_and_b32_e32 v39, 7, v30
	v_ffbh_u32_e32 v34, v39
	v_min_u32_e32 v41, 32, v34
	v_subrev_u32_e32 v34, 28, v41
	v_lshlrev_b64 v[34:35], v34, v[30:31]
	v_and_b32_e32 v34, 7, v34
	v_cmp_gt_u32_e32 vcc, 8, v31
	v_lshrrev_b32_e32 v40, 3, v31
	v_sub_u32_e32 v30, 29, v41
	v_cndmask_b32_e32 v31, v39, v34, vcc
	v_mov_b32_e32 v34, 24
	v_cndmask_b32_e32 v30, v40, v30, vcc
	v_lshlrev_b32_sdwa v34, v34, v32 dst_sel:DWORD dst_unused:UNUSED_PAD src0_sel:DWORD src1_sel:WORD_1
	v_bfrev_b32_e32 v35, 60
	v_lshlrev_b32_e32 v31, 20, v31
	v_and_b32_e32 v34, 0x80000000, v34
	v_lshl_add_u32 v30, v30, 23, v35
	v_or3_b32 v35, v34, v30, v31
.LBB429_170:
	s_or_b64 exec, exec, s[20:21]
.LBB429_171:
	s_or_b64 exec, exec, s[8:9]
.LBB429_172:
	s_or_b64 exec, exec, s[2:3]
	s_mov_b32 s2, 0xffffff
	v_cmp_lt_u32_e32 vcc, s2, v32
	v_mov_b32_e32 v31, 0
	v_mov_b32_e32 v39, 0
	s_and_saveexec_b64 s[2:3], vcc
	s_cbranch_execz .LBB429_178
; %bb.173:
	v_lshrrev_b32_e32 v30, 24, v32
	s_movk_i32 s8, 0x80
	v_cmp_ne_u32_e32 vcc, s8, v30
	v_bfrev_b32_e32 v39, 1
	s_and_saveexec_b64 s[8:9], vcc
	s_cbranch_execz .LBB429_177
; %bb.174:
	v_bfe_u32 v34, v32, 24, 7
	s_movk_i32 s11, 0x7f
	v_cmp_ne_u32_e32 vcc, s11, v34
	v_mov_b32_e32 v39, 0x7f800001
	s_and_saveexec_b64 s[20:21], vcc
	s_cbranch_execz .LBB429_176
; %bb.175:
	v_and_b32_e32 v39, 7, v30
	v_ffbh_u32_e32 v40, v39
	v_min_u32_e32 v47, 32, v40
	v_subrev_u32_e32 v40, 28, v47
	v_lshlrev_b64 v[40:41], v40, v[30:31]
	v_lshrrev_b32_e32 v42, 3, v34
	v_sub_u32_e32 v41, 29, v47
	v_and_b32_e32 v40, 7, v40
	v_cmp_gt_u32_e32 vcc, 8, v34
	v_cndmask_b32_e32 v34, v42, v41, vcc
	v_cndmask_b32_e32 v39, v39, v40, vcc
	v_lshlrev_b32_e32 v30, 24, v30
	v_bfrev_b32_e32 v40, 60
	v_lshlrev_b32_e32 v39, 20, v39
	v_and_b32_e32 v30, 0x80000000, v30
	v_lshl_add_u32 v34, v34, 23, v40
	v_or3_b32 v39, v30, v34, v39
.LBB429_176:
	s_or_b64 exec, exec, s[20:21]
.LBB429_177:
	s_or_b64 exec, exec, s[8:9]
.LBB429_178:
	s_or_b64 exec, exec, s[2:3]
	v_mov_b32_e32 v30, v33
	v_cmp_ne_u16_sdwa s[8:9], v33, v31 src0_sel:BYTE_0 src1_sel:DWORD
	s_and_saveexec_b64 s[2:3], s[8:9]
	s_cbranch_execz .LBB429_184
; %bb.179:
	s_movk_i32 s8, 0x80
	v_cmp_ne_u16_sdwa s[20:21], v33, s8 src0_sel:BYTE_0 src1_sel:DWORD
	v_bfrev_b32_e32 v34, 1
	s_and_saveexec_b64 s[8:9], s[20:21]
	s_cbranch_execz .LBB429_183
; %bb.180:
	s_movk_i32 s11, 0x7f
	v_and_b32_e32 v40, 0x7f, v33
	v_cmp_ne_u32_e32 vcc, s11, v40
	v_mov_b32_e32 v34, 0x7f800001
	s_and_saveexec_b64 s[20:21], vcc
	s_cbranch_execz .LBB429_182
; %bb.181:
	v_and_b32_e32 v34, 7, v33
	v_ffbh_u32_e32 v34, v34
	v_min_u32_e32 v34, 32, v34
	v_subrev_u32_e32 v42, 28, v34
	v_cmp_gt_u32_e32 vcc, 8, v40
	v_lshrrev_b32_e32 v41, 3, v40
	v_sub_u32_e32 v34, 29, v34
	v_cndmask_b32_e32 v40, 0, v42, vcc
	v_cndmask_b32_e32 v34, v41, v34, vcc
	v_lshlrev_b64 v[40:41], v40, v[30:31]
	v_lshlrev_b32_e32 v31, 20, v40
	v_lshlrev_b32_e32 v40, 24, v30
	v_bfrev_b32_e32 v41, 60
	v_and_b32_e32 v31, 0x700000, v31
	v_and_b32_e32 v40, 0x80000000, v40
	v_lshl_add_u32 v34, v34, 23, v41
	v_or3_b32 v34, v40, v34, v31
.LBB429_182:
	s_or_b64 exec, exec, s[20:21]
.LBB429_183:
	s_or_b64 exec, exec, s[8:9]
	v_mov_b32_e32 v31, v34
.LBB429_184:
	s_or_b64 exec, exec, s[2:3]
	v_lshrrev_b16_e32 v34, 8, v30
	v_cmp_ne_u16_e32 vcc, 0, v34
	v_mov_b32_e32 v40, 0
	v_mov_b32_e32 v41, 0
	s_and_saveexec_b64 s[2:3], vcc
	s_cbranch_execz .LBB429_190
; %bb.185:
	s_movk_i32 s8, 0x80
	v_cmp_ne_u16_e32 vcc, s8, v34
	v_bfrev_b32_e32 v41, 1
	s_and_saveexec_b64 s[8:9], vcc
	s_cbranch_execz .LBB429_189
; %bb.186:
	s_movk_i32 s11, 0x7f
	v_and_b32_e32 v42, 0x7f, v34
	v_cmp_ne_u32_e32 vcc, s11, v42
	v_mov_b32_e32 v41, 0x7f800001
	s_and_saveexec_b64 s[20:21], vcc
	s_cbranch_execz .LBB429_188
; %bb.187:
	v_and_b32_e32 v41, 7, v34
	v_ffbh_u32_e32 v48, v41
	v_min_u32_e32 v50, 32, v48
	v_subrev_u32_e32 v48, 28, v50
	v_lshlrev_b64 v[48:49], v48, v[34:35]
	v_lshrrev_b32_e32 v47, 3, v42
	v_sub_u32_e32 v34, 29, v50
	v_and_b32_e32 v48, 7, v48
	v_cmp_gt_u32_e32 vcc, 8, v42
	v_cndmask_b32_e32 v34, v47, v34, vcc
	v_cndmask_b32_e32 v41, v41, v48, vcc
	v_lshlrev_b32_e32 v30, 16, v30
	v_bfrev_b32_e32 v42, 60
	v_lshlrev_b32_e32 v41, 20, v41
	v_and_b32_e32 v30, 0x80000000, v30
	v_lshl_add_u32 v34, v34, 23, v42
	v_or3_b32 v41, v30, v34, v41
.LBB429_188:
	s_or_b64 exec, exec, s[20:21]
.LBB429_189:
	s_or_b64 exec, exec, s[8:9]
.LBB429_190:
	s_or_b64 exec, exec, s[2:3]
	s_movk_i32 s2, 0xff
	v_and_b32_sdwa v34, v33, s2 dst_sel:DWORD dst_unused:UNUSED_PAD src0_sel:WORD_1 src1_sel:DWORD
	v_lshrrev_b32_e32 v30, 16, v33
	v_cmp_ne_u16_e32 vcc, 0, v34
	s_and_saveexec_b64 s[2:3], vcc
	s_cbranch_execz .LBB429_196
; %bb.191:
	s_movk_i32 s8, 0x80
	v_cmp_ne_u16_e32 vcc, s8, v34
	v_bfrev_b32_e32 v40, 1
	s_and_saveexec_b64 s[8:9], vcc
	s_cbranch_execz .LBB429_195
; %bb.192:
	v_bfe_u32 v34, v33, 16, 7
	s_movk_i32 s11, 0x7f
	v_cmp_ne_u32_e32 vcc, s11, v34
	v_mov_b32_e32 v40, 0x7f800001
	s_and_saveexec_b64 s[20:21], vcc
	s_cbranch_execz .LBB429_194
; %bb.193:
	v_and_b32_e32 v40, 7, v30
	v_ffbh_u32_e32 v47, v40
	v_min_u32_e32 v47, 32, v47
	v_subrev_u32_e32 v48, 28, v47
	v_lshlrev_b64 v[48:49], v48, v[30:31]
	v_sub_u32_e32 v30, 29, v47
	v_and_b32_e32 v47, 7, v48
	v_cmp_gt_u32_e32 vcc, 8, v34
	v_lshrrev_b32_e32 v42, 3, v34
	v_cndmask_b32_e32 v34, v40, v47, vcc
	v_mov_b32_e32 v40, 24
	v_cndmask_b32_e32 v30, v42, v30, vcc
	v_lshlrev_b32_sdwa v40, v40, v33 dst_sel:DWORD dst_unused:UNUSED_PAD src0_sel:DWORD src1_sel:WORD_1
	v_bfrev_b32_e32 v42, 60
	v_lshlrev_b32_e32 v34, 20, v34
	v_and_b32_e32 v40, 0x80000000, v40
	v_lshl_add_u32 v30, v30, 23, v42
	v_or3_b32 v40, v40, v30, v34
.LBB429_194:
	s_or_b64 exec, exec, s[20:21]
.LBB429_195:
	s_or_b64 exec, exec, s[8:9]
.LBB429_196:
	s_or_b64 exec, exec, s[2:3]
	s_mov_b32 s2, -1
	s_mov_b32 s3, 0xffffff
	v_cmp_lt_u64_e32 vcc, s[2:3], v[32:33]
	v_mov_b32_e32 v34, 0
	v_mov_b32_e32 v32, 0
	s_and_saveexec_b64 s[2:3], vcc
	s_cbranch_execz .LBB429_202
; %bb.197:
	v_lshrrev_b32_e32 v30, 24, v33
	s_movk_i32 s8, 0x80
	v_cmp_ne_u32_e32 vcc, s8, v30
	v_bfrev_b32_e32 v32, 1
	s_and_saveexec_b64 s[8:9], vcc
	s_cbranch_execz .LBB429_201
; %bb.198:
	v_bfe_u32 v33, v33, 24, 7
	s_movk_i32 s11, 0x7f
	v_cmp_ne_u32_e32 vcc, s11, v33
	v_mov_b32_e32 v32, 0x7f800001
	s_and_saveexec_b64 s[20:21], vcc
	s_cbranch_execz .LBB429_200
; %bb.199:
	v_and_b32_e32 v32, 7, v30
	v_ffbh_u32_e32 v47, v32
	v_min_u32_e32 v47, 32, v47
	v_subrev_u32_e32 v48, 28, v47
	v_lshlrev_b64 v[48:49], v48, v[30:31]
	v_lshrrev_b32_e32 v42, 3, v33
	v_sub_u32_e32 v47, 29, v47
	v_and_b32_e32 v48, 7, v48
	v_cmp_gt_u32_e32 vcc, 8, v33
	v_cndmask_b32_e32 v33, v42, v47, vcc
	v_cndmask_b32_e32 v32, v32, v48, vcc
	v_lshlrev_b32_e32 v30, 24, v30
	v_bfrev_b32_e32 v42, 60
	v_lshlrev_b32_e32 v32, 20, v32
	v_and_b32_e32 v30, 0x80000000, v30
	v_lshl_add_u32 v33, v33, 23, v42
	v_or3_b32 v32, v30, v33, v32
.LBB429_200:
	s_or_b64 exec, exec, s[20:21]
.LBB429_201:
	s_or_b64 exec, exec, s[8:9]
.LBB429_202:
	s_or_b64 exec, exec, s[2:3]
	v_cvt_pkrtz_f16_f32 v36, v36, v37
	v_cvt_pkrtz_f16_f32 v37, v35, v39
	;; [unrolled: 1-line block ×4, first 2 shown]
	v_mfma_f32_4x4x4f16 a[0:3], v[18:19], v[36:37], a[0:3] cbsz:4 abid:3
	s_waitcnt vmcnt(6)
	v_cmp_ne_u16_sdwa s[8:9], v26, v34 src0_sel:BYTE_0 src1_sel:DWORD
	v_mfma_f32_4x4x4f16 a[0:3], v[20:21], v[30:31], a[0:3] cbsz:4 abid:3
	s_and_saveexec_b64 s[2:3], s[8:9]
	s_cbranch_execz .LBB429_208
; %bb.203:
	s_movk_i32 s8, 0x80
	v_cmp_ne_u16_sdwa s[20:21], v26, s8 src0_sel:BYTE_0 src1_sel:DWORD
	v_bfrev_b32_e32 v34, 1
	s_and_saveexec_b64 s[8:9], s[20:21]
	s_cbranch_execz .LBB429_207
; %bb.204:
	s_movk_i32 s11, 0x7f
	v_and_b32_e32 v30, 0x7f, v26
	v_cmp_ne_u32_e32 vcc, s11, v30
	v_mov_b32_e32 v34, 0x7f800001
	s_and_saveexec_b64 s[20:21], vcc
	s_cbranch_execz .LBB429_206
; %bb.205:
	v_and_b32_e32 v31, 7, v26
	v_ffbh_u32_e32 v31, v31
	v_min_u32_e32 v31, 32, v31
	v_subrev_u32_e32 v33, 28, v31
	v_cmp_gt_u32_e32 vcc, 8, v30
	v_lshrrev_b32_e32 v32, 3, v30
	v_sub_u32_e32 v31, 29, v31
	v_cndmask_b32_e32 v30, 0, v33, vcc
	v_cndmask_b32_e32 v32, v32, v31, vcc
	v_lshlrev_b64 v[30:31], v30, v[26:27]
	v_lshlrev_b32_e32 v30, 20, v30
	v_lshlrev_b32_e32 v31, 24, v26
	v_bfrev_b32_e32 v33, 60
	v_and_b32_e32 v30, 0x700000, v30
	v_and_b32_e32 v31, 0x80000000, v31
	v_lshl_add_u32 v32, v32, 23, v33
	v_or3_b32 v34, v31, v32, v30
.LBB429_206:
	s_or_b64 exec, exec, s[20:21]
.LBB429_207:
	s_or_b64 exec, exec, s[8:9]
.LBB429_208:
	s_or_b64 exec, exec, s[2:3]
	v_lshrrev_b16_e32 v30, 8, v26
	v_cmp_ne_u16_e32 vcc, 0, v30
	v_mov_b32_e32 v33, 0
	v_mov_b32_e32 v35, 0
	s_and_saveexec_b64 s[2:3], vcc
	s_cbranch_execz .LBB429_214
; %bb.209:
	s_movk_i32 s8, 0x80
	v_cmp_ne_u16_e32 vcc, s8, v30
	v_bfrev_b32_e32 v35, 1
	s_and_saveexec_b64 s[8:9], vcc
	s_cbranch_execz .LBB429_213
; %bb.210:
	s_movk_i32 s11, 0x7f
	v_and_b32_e32 v31, 0x7f, v30
	v_cmp_ne_u32_e32 vcc, s11, v31
	v_mov_b32_e32 v35, 0x7f800001
	s_and_saveexec_b64 s[20:21], vcc
	s_cbranch_execz .LBB429_212
; %bb.211:
	v_and_b32_e32 v32, 7, v30
	v_ffbh_u32_e32 v36, v32
	v_min_u32_e32 v39, 32, v36
	v_subrev_u32_e32 v36, 28, v39
	v_lshlrev_b64 v[36:37], v36, v[30:31]
	v_lshrrev_b32_e32 v35, 3, v31
	v_sub_u32_e32 v30, 29, v39
	v_and_b32_e32 v36, 7, v36
	v_cmp_gt_u32_e32 vcc, 8, v31
	v_cndmask_b32_e32 v30, v35, v30, vcc
	v_cndmask_b32_e32 v31, v32, v36, vcc
	v_lshlrev_b32_e32 v32, 16, v26
	v_bfrev_b32_e32 v35, 60
	v_lshlrev_b32_e32 v31, 20, v31
	v_and_b32_e32 v32, 0x80000000, v32
	v_lshl_add_u32 v30, v30, 23, v35
	v_or3_b32 v35, v32, v30, v31
.LBB429_212:
	s_or_b64 exec, exec, s[20:21]
.LBB429_213:
	s_or_b64 exec, exec, s[8:9]
.LBB429_214:
	s_or_b64 exec, exec, s[2:3]
	s_movk_i32 s2, 0xff
	v_and_b32_sdwa v31, v26, s2 dst_sel:DWORD dst_unused:UNUSED_PAD src0_sel:WORD_1 src1_sel:DWORD
	v_lshrrev_b32_e32 v30, 16, v26
	v_cmp_ne_u16_e32 vcc, 0, v31
	s_and_saveexec_b64 s[2:3], vcc
	s_cbranch_execz .LBB429_220
; %bb.215:
	s_movk_i32 s8, 0x80
	v_cmp_ne_u16_e32 vcc, s8, v31
	v_bfrev_b32_e32 v33, 1
	s_and_saveexec_b64 s[8:9], vcc
	s_cbranch_execz .LBB429_219
; %bb.216:
	v_bfe_u32 v31, v26, 16, 7
	s_movk_i32 s11, 0x7f
	v_cmp_ne_u32_e32 vcc, s11, v31
	v_mov_b32_e32 v33, 0x7f800001
	s_and_saveexec_b64 s[20:21], vcc
	s_cbranch_execz .LBB429_218
; %bb.217:
	v_and_b32_e32 v36, 7, v30
	v_ffbh_u32_e32 v32, v36
	v_min_u32_e32 v39, 32, v32
	v_subrev_u32_e32 v32, 28, v39
	v_lshlrev_b64 v[32:33], v32, v[30:31]
	v_and_b32_e32 v32, 7, v32
	v_cmp_gt_u32_e32 vcc, 8, v31
	v_lshrrev_b32_e32 v37, 3, v31
	v_sub_u32_e32 v30, 29, v39
	v_cndmask_b32_e32 v31, v36, v32, vcc
	v_mov_b32_e32 v32, 24
	v_cndmask_b32_e32 v30, v37, v30, vcc
	v_lshlrev_b32_sdwa v32, v32, v26 dst_sel:DWORD dst_unused:UNUSED_PAD src0_sel:DWORD src1_sel:WORD_1
	v_bfrev_b32_e32 v33, 60
	v_lshlrev_b32_e32 v31, 20, v31
	v_and_b32_e32 v32, 0x80000000, v32
	v_lshl_add_u32 v30, v30, 23, v33
	v_or3_b32 v33, v32, v30, v31
.LBB429_218:
	s_or_b64 exec, exec, s[20:21]
.LBB429_219:
	s_or_b64 exec, exec, s[8:9]
.LBB429_220:
	s_or_b64 exec, exec, s[2:3]
	s_mov_b32 s2, 0xffffff
	v_cmp_lt_u32_e32 vcc, s2, v26
	v_mov_b32_e32 v31, 0
	v_mov_b32_e32 v36, 0
	s_and_saveexec_b64 s[2:3], vcc
	s_cbranch_execz .LBB429_226
; %bb.221:
	v_lshrrev_b32_e32 v30, 24, v26
	s_movk_i32 s8, 0x80
	v_cmp_ne_u32_e32 vcc, s8, v30
	v_bfrev_b32_e32 v36, 1
	s_and_saveexec_b64 s[8:9], vcc
	s_cbranch_execz .LBB429_225
; %bb.222:
	v_bfe_u32 v32, v26, 24, 7
	s_movk_i32 s11, 0x7f
	v_cmp_ne_u32_e32 vcc, s11, v32
	v_mov_b32_e32 v36, 0x7f800001
	s_and_saveexec_b64 s[20:21], vcc
	s_cbranch_execz .LBB429_224
; %bb.223:
	v_and_b32_e32 v39, 7, v30
	v_ffbh_u32_e32 v36, v39
	v_min_u32_e32 v41, 32, v36
	v_subrev_u32_e32 v36, 28, v41
	v_lshlrev_b64 v[36:37], v36, v[30:31]
	v_lshrrev_b32_e32 v40, 3, v32
	v_sub_u32_e32 v37, 29, v41
	v_and_b32_e32 v36, 7, v36
	v_cmp_gt_u32_e32 vcc, 8, v32
	v_cndmask_b32_e32 v32, v40, v37, vcc
	v_cndmask_b32_e32 v36, v39, v36, vcc
	v_lshlrev_b32_e32 v30, 24, v30
	v_bfrev_b32_e32 v37, 60
	v_lshlrev_b32_e32 v36, 20, v36
	v_and_b32_e32 v30, 0x80000000, v30
	v_lshl_add_u32 v32, v32, 23, v37
	v_or3_b32 v36, v30, v32, v36
.LBB429_224:
	s_or_b64 exec, exec, s[20:21]
.LBB429_225:
	s_or_b64 exec, exec, s[8:9]
.LBB429_226:
	s_or_b64 exec, exec, s[2:3]
	v_mov_b32_e32 v30, v27
	v_cmp_ne_u16_sdwa s[8:9], v27, v31 src0_sel:BYTE_0 src1_sel:DWORD
	s_and_saveexec_b64 s[2:3], s[8:9]
	s_cbranch_execz .LBB429_232
; %bb.227:
	s_movk_i32 s8, 0x80
	v_cmp_ne_u16_sdwa s[20:21], v27, s8 src0_sel:BYTE_0 src1_sel:DWORD
	v_bfrev_b32_e32 v32, 1
	s_and_saveexec_b64 s[8:9], s[20:21]
	s_cbranch_execz .LBB429_231
; %bb.228:
	s_movk_i32 s11, 0x7f
	v_and_b32_e32 v37, 0x7f, v27
	v_cmp_ne_u32_e32 vcc, s11, v37
	v_mov_b32_e32 v32, 0x7f800001
	s_and_saveexec_b64 s[20:21], vcc
	s_cbranch_execz .LBB429_230
; %bb.229:
	v_and_b32_e32 v32, 7, v27
	v_ffbh_u32_e32 v32, v32
	v_min_u32_e32 v32, 32, v32
	v_subrev_u32_e32 v40, 28, v32
	v_cmp_gt_u32_e32 vcc, 8, v37
	v_lshrrev_b32_e32 v39, 3, v37
	v_cndmask_b32_e32 v37, 0, v40, vcc
	v_sub_u32_e32 v32, 29, v32
	v_lshlrev_b64 v[40:41], v37, v[30:31]
	v_cndmask_b32_e32 v32, v39, v32, vcc
	v_lshlrev_b32_e32 v31, 20, v40
	v_lshlrev_b32_e32 v37, 24, v30
	v_bfrev_b32_e32 v39, 60
	v_and_b32_e32 v31, 0x700000, v31
	v_and_b32_e32 v37, 0x80000000, v37
	v_lshl_add_u32 v32, v32, 23, v39
	v_or3_b32 v32, v37, v32, v31
.LBB429_230:
	s_or_b64 exec, exec, s[20:21]
.LBB429_231:
	s_or_b64 exec, exec, s[8:9]
	v_mov_b32_e32 v31, v32
.LBB429_232:
	s_or_b64 exec, exec, s[2:3]
	v_lshrrev_b16_e32 v32, 8, v30
	v_cmp_ne_u16_e32 vcc, 0, v32
	v_mov_b32_e32 v37, 0
	v_mov_b32_e32 v39, 0
	s_and_saveexec_b64 s[2:3], vcc
	s_cbranch_execz .LBB429_238
; %bb.233:
	s_movk_i32 s8, 0x80
	v_cmp_ne_u16_e32 vcc, s8, v32
	v_bfrev_b32_e32 v39, 1
	s_and_saveexec_b64 s[8:9], vcc
	s_cbranch_execz .LBB429_237
; %bb.234:
	s_movk_i32 s11, 0x7f
	v_and_b32_e32 v40, 0x7f, v32
	v_cmp_ne_u32_e32 vcc, s11, v40
	v_mov_b32_e32 v39, 0x7f800001
	s_and_saveexec_b64 s[20:21], vcc
	s_cbranch_execz .LBB429_236
; %bb.235:
	v_and_b32_e32 v39, 7, v32
	v_ffbh_u32_e32 v42, v39
	v_min_u32_e32 v42, 32, v42
	v_subrev_u32_e32 v47, 28, v42
	v_lshlrev_b64 v[48:49], v47, v[32:33]
	v_lshrrev_b32_e32 v41, 3, v40
	v_sub_u32_e32 v32, 29, v42
	v_and_b32_e32 v42, 7, v48
	v_cmp_gt_u32_e32 vcc, 8, v40
	v_cndmask_b32_e32 v32, v41, v32, vcc
	v_cndmask_b32_e32 v39, v39, v42, vcc
	v_lshlrev_b32_e32 v30, 16, v30
	v_bfrev_b32_e32 v40, 60
	v_lshlrev_b32_e32 v39, 20, v39
	v_and_b32_e32 v30, 0x80000000, v30
	v_lshl_add_u32 v32, v32, 23, v40
	v_or3_b32 v39, v30, v32, v39
.LBB429_236:
	s_or_b64 exec, exec, s[20:21]
.LBB429_237:
	s_or_b64 exec, exec, s[8:9]
.LBB429_238:
	s_or_b64 exec, exec, s[2:3]
	s_movk_i32 s2, 0xff
	v_and_b32_sdwa v32, v27, s2 dst_sel:DWORD dst_unused:UNUSED_PAD src0_sel:WORD_1 src1_sel:DWORD
	v_lshrrev_b32_e32 v30, 16, v27
	v_cmp_ne_u16_e32 vcc, 0, v32
	s_and_saveexec_b64 s[2:3], vcc
	s_cbranch_execz .LBB429_244
; %bb.239:
	s_movk_i32 s8, 0x80
	v_cmp_ne_u16_e32 vcc, s8, v32
	v_bfrev_b32_e32 v37, 1
	s_and_saveexec_b64 s[8:9], vcc
	s_cbranch_execz .LBB429_243
; %bb.240:
	v_bfe_u32 v32, v27, 16, 7
	s_movk_i32 s11, 0x7f
	v_cmp_ne_u32_e32 vcc, s11, v32
	v_mov_b32_e32 v37, 0x7f800001
	s_and_saveexec_b64 s[20:21], vcc
	s_cbranch_execz .LBB429_242
; %bb.241:
	v_and_b32_e32 v37, 7, v30
	v_ffbh_u32_e32 v40, v37
	v_min_u32_e32 v47, 32, v40
	v_subrev_u32_e32 v40, 28, v47
	v_lshlrev_b64 v[40:41], v40, v[30:31]
	v_and_b32_e32 v40, 7, v40
	v_cmp_gt_u32_e32 vcc, 8, v32
	v_lshrrev_b32_e32 v42, 3, v32
	v_sub_u32_e32 v30, 29, v47
	v_cndmask_b32_e32 v32, v37, v40, vcc
	v_mov_b32_e32 v37, 24
	v_cndmask_b32_e32 v30, v42, v30, vcc
	v_lshlrev_b32_sdwa v37, v37, v27 dst_sel:DWORD dst_unused:UNUSED_PAD src0_sel:DWORD src1_sel:WORD_1
	v_bfrev_b32_e32 v40, 60
	v_lshlrev_b32_e32 v32, 20, v32
	v_and_b32_e32 v37, 0x80000000, v37
	v_lshl_add_u32 v30, v30, 23, v40
	v_or3_b32 v37, v37, v30, v32
.LBB429_242:
	s_or_b64 exec, exec, s[20:21]
.LBB429_243:
	s_or_b64 exec, exec, s[8:9]
.LBB429_244:
	s_or_b64 exec, exec, s[2:3]
	s_mov_b32 s2, -1
	s_mov_b32 s3, 0xffffff
	v_cmp_lt_u64_e32 vcc, s[2:3], v[26:27]
	v_mov_b32_e32 v32, 0
	v_mov_b32_e32 v30, 0
	s_and_saveexec_b64 s[2:3], vcc
	s_cbranch_execz .LBB429_250
; %bb.245:
	v_lshrrev_b32_e32 v26, 24, v27
	s_movk_i32 s8, 0x80
	v_cmp_ne_u32_e32 vcc, s8, v26
	v_bfrev_b32_e32 v30, 1
	s_and_saveexec_b64 s[8:9], vcc
	s_cbranch_execz .LBB429_249
; %bb.246:
	v_bfe_u32 v27, v27, 24, 7
	s_movk_i32 s11, 0x7f
	v_cmp_ne_u32_e32 vcc, s11, v27
	v_mov_b32_e32 v30, 0x7f800001
	s_and_saveexec_b64 s[20:21], vcc
	s_cbranch_execz .LBB429_248
; %bb.247:
	v_and_b32_e32 v30, 7, v26
	v_ffbh_u32_e32 v40, v30
	v_min_u32_e32 v47, 32, v40
	v_subrev_u32_e32 v40, 28, v47
	v_lshlrev_b64 v[40:41], v40, v[26:27]
	v_lshrrev_b32_e32 v42, 3, v27
	v_sub_u32_e32 v41, 29, v47
	v_and_b32_e32 v40, 7, v40
	v_cmp_gt_u32_e32 vcc, 8, v27
	v_cndmask_b32_e32 v27, v42, v41, vcc
	v_cndmask_b32_e32 v30, v30, v40, vcc
	v_lshlrev_b32_e32 v26, 24, v26
	v_bfrev_b32_e32 v40, 60
	v_lshlrev_b32_e32 v30, 20, v30
	v_and_b32_e32 v26, 0x80000000, v26
	v_lshl_add_u32 v27, v27, 23, v40
	v_or3_b32 v30, v26, v27, v30
.LBB429_248:
	s_or_b64 exec, exec, s[20:21]
.LBB429_249:
	s_or_b64 exec, exec, s[8:9]
.LBB429_250:
	s_or_b64 exec, exec, s[2:3]
	v_cvt_pkrtz_f16_f32 v26, v34, v35
	v_cvt_pkrtz_f16_f32 v27, v33, v36
	;; [unrolled: 1-line block ×4, first 2 shown]
	v_mfma_f32_4x4x4f16 a[0:3], v[18:19], v[26:27], a[0:3] cbsz:4 abid:4
	v_cmp_ne_u16_sdwa s[8:9], v28, v32 src0_sel:BYTE_0 src1_sel:DWORD
	v_mfma_f32_4x4x4f16 a[0:3], v[20:21], v[34:35], a[0:3] cbsz:4 abid:4
	s_and_saveexec_b64 s[2:3], s[8:9]
	s_cbranch_execz .LBB429_256
; %bb.251:
	s_movk_i32 s8, 0x80
	v_cmp_ne_u16_sdwa s[20:21], v28, s8 src0_sel:BYTE_0 src1_sel:DWORD
	v_bfrev_b32_e32 v32, 1
	s_and_saveexec_b64 s[8:9], s[20:21]
	s_cbranch_execz .LBB429_255
; %bb.252:
	s_movk_i32 s11, 0x7f
	v_and_b32_e32 v26, 0x7f, v28
	v_cmp_ne_u32_e32 vcc, s11, v26
	v_mov_b32_e32 v32, 0x7f800001
	s_and_saveexec_b64 s[20:21], vcc
	s_cbranch_execz .LBB429_254
; %bb.253:
	v_and_b32_e32 v27, 7, v28
	v_ffbh_u32_e32 v27, v27
	v_min_u32_e32 v27, 32, v27
	v_subrev_u32_e32 v31, 28, v27
	v_cmp_gt_u32_e32 vcc, 8, v26
	v_lshrrev_b32_e32 v30, 3, v26
	v_sub_u32_e32 v27, 29, v27
	v_cndmask_b32_e32 v26, 0, v31, vcc
	v_cndmask_b32_e32 v30, v30, v27, vcc
	v_lshlrev_b64 v[26:27], v26, v[28:29]
	v_lshlrev_b32_e32 v26, 20, v26
	v_lshlrev_b32_e32 v27, 24, v28
	v_bfrev_b32_e32 v31, 60
	v_and_b32_e32 v26, 0x700000, v26
	v_and_b32_e32 v27, 0x80000000, v27
	v_lshl_add_u32 v30, v30, 23, v31
	v_or3_b32 v32, v27, v30, v26
.LBB429_254:
	s_or_b64 exec, exec, s[20:21]
.LBB429_255:
	s_or_b64 exec, exec, s[8:9]
.LBB429_256:
	s_or_b64 exec, exec, s[2:3]
	v_lshrrev_b16_e32 v26, 8, v28
	v_cmp_ne_u16_e32 vcc, 0, v26
	v_mov_b32_e32 v31, 0
	v_mov_b32_e32 v33, 0
	s_and_saveexec_b64 s[2:3], vcc
	s_cbranch_execz .LBB429_262
; %bb.257:
	s_movk_i32 s8, 0x80
	v_cmp_ne_u16_e32 vcc, s8, v26
	v_bfrev_b32_e32 v33, 1
	s_and_saveexec_b64 s[8:9], vcc
	s_cbranch_execz .LBB429_261
; %bb.258:
	s_movk_i32 s11, 0x7f
	v_and_b32_e32 v27, 0x7f, v26
	v_cmp_ne_u32_e32 vcc, s11, v27
	v_mov_b32_e32 v33, 0x7f800001
	s_and_saveexec_b64 s[20:21], vcc
	s_cbranch_execz .LBB429_260
; %bb.259:
	v_and_b32_e32 v30, 7, v26
	v_ffbh_u32_e32 v34, v30
	v_min_u32_e32 v36, 32, v34
	v_subrev_u32_e32 v34, 28, v36
	v_lshlrev_b64 v[34:35], v34, v[26:27]
	v_lshrrev_b32_e32 v33, 3, v27
	v_sub_u32_e32 v26, 29, v36
	v_and_b32_e32 v34, 7, v34
	v_cmp_gt_u32_e32 vcc, 8, v27
	v_cndmask_b32_e32 v26, v33, v26, vcc
	v_cndmask_b32_e32 v27, v30, v34, vcc
	v_lshlrev_b32_e32 v30, 16, v28
	v_bfrev_b32_e32 v33, 60
	v_lshlrev_b32_e32 v27, 20, v27
	v_and_b32_e32 v30, 0x80000000, v30
	v_lshl_add_u32 v26, v26, 23, v33
	v_or3_b32 v33, v30, v26, v27
.LBB429_260:
	s_or_b64 exec, exec, s[20:21]
.LBB429_261:
	s_or_b64 exec, exec, s[8:9]
.LBB429_262:
	s_or_b64 exec, exec, s[2:3]
	s_movk_i32 s2, 0xff
	v_and_b32_sdwa v27, v28, s2 dst_sel:DWORD dst_unused:UNUSED_PAD src0_sel:WORD_1 src1_sel:DWORD
	v_lshrrev_b32_e32 v26, 16, v28
	v_cmp_ne_u16_e32 vcc, 0, v27
	s_and_saveexec_b64 s[2:3], vcc
	s_cbranch_execz .LBB429_268
; %bb.263:
	s_movk_i32 s8, 0x80
	v_cmp_ne_u16_e32 vcc, s8, v27
	v_bfrev_b32_e32 v31, 1
	s_and_saveexec_b64 s[8:9], vcc
	s_cbranch_execz .LBB429_267
; %bb.264:
	v_bfe_u32 v27, v28, 16, 7
	s_movk_i32 s11, 0x7f
	v_cmp_ne_u32_e32 vcc, s11, v27
	v_mov_b32_e32 v31, 0x7f800001
	s_and_saveexec_b64 s[20:21], vcc
	s_cbranch_execz .LBB429_266
; %bb.265:
	v_and_b32_e32 v34, 7, v26
	v_ffbh_u32_e32 v30, v34
	v_min_u32_e32 v36, 32, v30
	v_subrev_u32_e32 v30, 28, v36
	v_lshlrev_b64 v[30:31], v30, v[26:27]
	v_and_b32_e32 v30, 7, v30
	v_cmp_gt_u32_e32 vcc, 8, v27
	v_lshrrev_b32_e32 v35, 3, v27
	v_sub_u32_e32 v26, 29, v36
	v_cndmask_b32_e32 v27, v34, v30, vcc
	v_mov_b32_e32 v30, 24
	v_cndmask_b32_e32 v26, v35, v26, vcc
	v_lshlrev_b32_sdwa v30, v30, v28 dst_sel:DWORD dst_unused:UNUSED_PAD src0_sel:DWORD src1_sel:WORD_1
	v_bfrev_b32_e32 v31, 60
	v_lshlrev_b32_e32 v27, 20, v27
	v_and_b32_e32 v30, 0x80000000, v30
	v_lshl_add_u32 v26, v26, 23, v31
	v_or3_b32 v31, v30, v26, v27
.LBB429_266:
	s_or_b64 exec, exec, s[20:21]
.LBB429_267:
	s_or_b64 exec, exec, s[8:9]
.LBB429_268:
	s_or_b64 exec, exec, s[2:3]
	s_mov_b32 s2, 0xffffff
	v_cmp_lt_u32_e32 vcc, s2, v28
	v_mov_b32_e32 v27, 0
	v_mov_b32_e32 v34, 0
	s_and_saveexec_b64 s[2:3], vcc
	s_cbranch_execz .LBB429_274
; %bb.269:
	v_lshrrev_b32_e32 v26, 24, v28
	s_movk_i32 s8, 0x80
	v_cmp_ne_u32_e32 vcc, s8, v26
	v_bfrev_b32_e32 v34, 1
	s_and_saveexec_b64 s[8:9], vcc
	s_cbranch_execz .LBB429_273
; %bb.270:
	v_bfe_u32 v30, v28, 24, 7
	s_movk_i32 s11, 0x7f
	v_cmp_ne_u32_e32 vcc, s11, v30
	v_mov_b32_e32 v34, 0x7f800001
	s_and_saveexec_b64 s[20:21], vcc
	s_cbranch_execz .LBB429_272
; %bb.271:
	v_and_b32_e32 v36, 7, v26
	v_ffbh_u32_e32 v34, v36
	v_min_u32_e32 v39, 32, v34
	v_subrev_u32_e32 v34, 28, v39
	v_lshlrev_b64 v[34:35], v34, v[26:27]
	v_lshrrev_b32_e32 v37, 3, v30
	v_sub_u32_e32 v35, 29, v39
	v_and_b32_e32 v34, 7, v34
	v_cmp_gt_u32_e32 vcc, 8, v30
	v_cndmask_b32_e32 v30, v37, v35, vcc
	v_cndmask_b32_e32 v34, v36, v34, vcc
	v_lshlrev_b32_e32 v26, 24, v26
	v_bfrev_b32_e32 v35, 60
	v_lshlrev_b32_e32 v34, 20, v34
	v_and_b32_e32 v26, 0x80000000, v26
	v_lshl_add_u32 v30, v30, 23, v35
	v_or3_b32 v34, v26, v30, v34
.LBB429_272:
	s_or_b64 exec, exec, s[20:21]
.LBB429_273:
	s_or_b64 exec, exec, s[8:9]
.LBB429_274:
	s_or_b64 exec, exec, s[2:3]
	v_mov_b32_e32 v26, v29
	v_cmp_ne_u16_sdwa s[8:9], v29, v27 src0_sel:BYTE_0 src1_sel:DWORD
	s_and_saveexec_b64 s[2:3], s[8:9]
	s_cbranch_execz .LBB429_280
; %bb.275:
	s_movk_i32 s8, 0x80
	v_cmp_ne_u16_sdwa s[20:21], v29, s8 src0_sel:BYTE_0 src1_sel:DWORD
	v_bfrev_b32_e32 v30, 1
	s_and_saveexec_b64 s[8:9], s[20:21]
	s_cbranch_execz .LBB429_279
; %bb.276:
	s_movk_i32 s11, 0x7f
	v_and_b32_e32 v35, 0x7f, v29
	v_cmp_ne_u32_e32 vcc, s11, v35
	v_mov_b32_e32 v30, 0x7f800001
	s_and_saveexec_b64 s[20:21], vcc
	s_cbranch_execz .LBB429_278
; %bb.277:
	v_and_b32_e32 v30, 7, v29
	v_ffbh_u32_e32 v30, v30
	v_min_u32_e32 v30, 32, v30
	v_subrev_u32_e32 v37, 28, v30
	v_cmp_gt_u32_e32 vcc, 8, v35
	v_lshrrev_b32_e32 v36, 3, v35
	v_sub_u32_e32 v30, 29, v30
	v_cndmask_b32_e32 v35, 0, v37, vcc
	v_cndmask_b32_e32 v30, v36, v30, vcc
	v_lshlrev_b64 v[36:37], v35, v[26:27]
	v_lshlrev_b32_e32 v27, 20, v36
	v_lshlrev_b32_e32 v35, 24, v26
	v_bfrev_b32_e32 v36, 60
	v_and_b32_e32 v27, 0x700000, v27
	v_and_b32_e32 v35, 0x80000000, v35
	v_lshl_add_u32 v30, v30, 23, v36
	v_or3_b32 v30, v35, v30, v27
.LBB429_278:
	s_or_b64 exec, exec, s[20:21]
.LBB429_279:
	s_or_b64 exec, exec, s[8:9]
	v_mov_b32_e32 v27, v30
.LBB429_280:
	s_or_b64 exec, exec, s[2:3]
	v_lshrrev_b16_e32 v30, 8, v26
	v_cmp_ne_u16_e32 vcc, 0, v30
	v_mov_b32_e32 v35, 0
	v_mov_b32_e32 v36, 0
	s_and_saveexec_b64 s[2:3], vcc
	s_cbranch_execz .LBB429_286
; %bb.281:
	s_movk_i32 s8, 0x80
	v_cmp_ne_u16_e32 vcc, s8, v30
	v_bfrev_b32_e32 v36, 1
	s_and_saveexec_b64 s[8:9], vcc
	s_cbranch_execz .LBB429_285
; %bb.282:
	s_movk_i32 s11, 0x7f
	v_and_b32_e32 v37, 0x7f, v30
	v_cmp_ne_u32_e32 vcc, s11, v37
	v_mov_b32_e32 v36, 0x7f800001
	s_and_saveexec_b64 s[20:21], vcc
	s_cbranch_execz .LBB429_284
; %bb.283:
	v_and_b32_e32 v36, 7, v30
	v_ffbh_u32_e32 v40, v36
	v_min_u32_e32 v42, 32, v40
	v_subrev_u32_e32 v40, 28, v42
	v_lshlrev_b64 v[40:41], v40, v[30:31]
	v_lshrrev_b32_e32 v39, 3, v37
	v_sub_u32_e32 v30, 29, v42
	v_and_b32_e32 v40, 7, v40
	v_cmp_gt_u32_e32 vcc, 8, v37
	v_cndmask_b32_e32 v30, v39, v30, vcc
	v_cndmask_b32_e32 v36, v36, v40, vcc
	v_lshlrev_b32_e32 v26, 16, v26
	v_bfrev_b32_e32 v37, 60
	v_lshlrev_b32_e32 v36, 20, v36
	v_and_b32_e32 v26, 0x80000000, v26
	v_lshl_add_u32 v30, v30, 23, v37
	v_or3_b32 v36, v26, v30, v36
.LBB429_284:
	s_or_b64 exec, exec, s[20:21]
.LBB429_285:
	s_or_b64 exec, exec, s[8:9]
.LBB429_286:
	s_or_b64 exec, exec, s[2:3]
	s_movk_i32 s2, 0xff
	v_and_b32_sdwa v30, v29, s2 dst_sel:DWORD dst_unused:UNUSED_PAD src0_sel:WORD_1 src1_sel:DWORD
	v_lshrrev_b32_e32 v26, 16, v29
	v_cmp_ne_u16_e32 vcc, 0, v30
	s_and_saveexec_b64 s[2:3], vcc
	s_cbranch_execz .LBB429_292
; %bb.287:
	s_movk_i32 s8, 0x80
	v_cmp_ne_u16_e32 vcc, s8, v30
	v_bfrev_b32_e32 v35, 1
	s_and_saveexec_b64 s[8:9], vcc
	s_cbranch_execz .LBB429_291
; %bb.288:
	v_bfe_u32 v30, v29, 16, 7
	s_movk_i32 s11, 0x7f
	v_cmp_ne_u32_e32 vcc, s11, v30
	v_mov_b32_e32 v35, 0x7f800001
	s_and_saveexec_b64 s[20:21], vcc
	s_cbranch_execz .LBB429_290
; %bb.289:
	v_and_b32_e32 v35, 7, v26
	v_ffbh_u32_e32 v39, v35
	v_min_u32_e32 v39, 32, v39
	v_subrev_u32_e32 v40, 28, v39
	v_lshlrev_b64 v[40:41], v40, v[26:27]
	v_sub_u32_e32 v26, 29, v39
	v_and_b32_e32 v39, 7, v40
	v_cmp_gt_u32_e32 vcc, 8, v30
	v_lshrrev_b32_e32 v37, 3, v30
	v_cndmask_b32_e32 v30, v35, v39, vcc
	v_mov_b32_e32 v35, 24
	v_cndmask_b32_e32 v26, v37, v26, vcc
	v_lshlrev_b32_sdwa v35, v35, v29 dst_sel:DWORD dst_unused:UNUSED_PAD src0_sel:DWORD src1_sel:WORD_1
	v_bfrev_b32_e32 v37, 60
	v_lshlrev_b32_e32 v30, 20, v30
	v_and_b32_e32 v35, 0x80000000, v35
	v_lshl_add_u32 v26, v26, 23, v37
	v_or3_b32 v35, v35, v26, v30
.LBB429_290:
	s_or_b64 exec, exec, s[20:21]
.LBB429_291:
	s_or_b64 exec, exec, s[8:9]
.LBB429_292:
	s_or_b64 exec, exec, s[2:3]
	s_mov_b32 s2, -1
	s_mov_b32 s3, 0xffffff
	v_cmp_lt_u64_e32 vcc, s[2:3], v[28:29]
	v_mov_b32_e32 v30, 0
	v_mov_b32_e32 v28, 0
	s_and_saveexec_b64 s[2:3], vcc
	s_cbranch_execz .LBB429_298
; %bb.293:
	v_lshrrev_b32_e32 v26, 24, v29
	s_movk_i32 s8, 0x80
	v_cmp_ne_u32_e32 vcc, s8, v26
	v_bfrev_b32_e32 v28, 1
	s_and_saveexec_b64 s[8:9], vcc
	s_cbranch_execz .LBB429_297
; %bb.294:
	v_bfe_u32 v29, v29, 24, 7
	s_movk_i32 s11, 0x7f
	v_cmp_ne_u32_e32 vcc, s11, v29
	v_mov_b32_e32 v28, 0x7f800001
	s_and_saveexec_b64 s[20:21], vcc
	s_cbranch_execz .LBB429_296
; %bb.295:
	v_and_b32_e32 v28, 7, v26
	v_ffbh_u32_e32 v39, v28
	v_min_u32_e32 v39, 32, v39
	v_subrev_u32_e32 v40, 28, v39
	v_lshlrev_b64 v[40:41], v40, v[26:27]
	v_lshrrev_b32_e32 v37, 3, v29
	v_sub_u32_e32 v39, 29, v39
	v_and_b32_e32 v40, 7, v40
	v_cmp_gt_u32_e32 vcc, 8, v29
	v_cndmask_b32_e32 v29, v37, v39, vcc
	v_cndmask_b32_e32 v28, v28, v40, vcc
	v_lshlrev_b32_e32 v26, 24, v26
	v_bfrev_b32_e32 v37, 60
	v_lshlrev_b32_e32 v28, 20, v28
	v_and_b32_e32 v26, 0x80000000, v26
	v_lshl_add_u32 v29, v29, 23, v37
	v_or3_b32 v28, v26, v29, v28
.LBB429_296:
	s_or_b64 exec, exec, s[20:21]
.LBB429_297:
	s_or_b64 exec, exec, s[8:9]
.LBB429_298:
	s_or_b64 exec, exec, s[2:3]
	v_cvt_pkrtz_f16_f32 v32, v32, v33
	v_cvt_pkrtz_f16_f32 v33, v31, v34
	;; [unrolled: 1-line block ×4, first 2 shown]
	v_mfma_f32_4x4x4f16 a[0:3], v[18:19], v[32:33], a[0:3] cbsz:4 abid:5
	s_waitcnt vmcnt(5)
	v_cmp_ne_u16_sdwa s[8:9], v22, v30 src0_sel:BYTE_0 src1_sel:DWORD
	v_mfma_f32_4x4x4f16 a[0:3], v[20:21], v[26:27], a[0:3] cbsz:4 abid:5
	s_and_saveexec_b64 s[2:3], s[8:9]
	s_cbranch_execz .LBB429_304
; %bb.299:
	s_movk_i32 s8, 0x80
	v_cmp_ne_u16_sdwa s[20:21], v22, s8 src0_sel:BYTE_0 src1_sel:DWORD
	v_bfrev_b32_e32 v30, 1
	s_and_saveexec_b64 s[8:9], s[20:21]
	s_cbranch_execz .LBB429_303
; %bb.300:
	s_movk_i32 s11, 0x7f
	v_and_b32_e32 v26, 0x7f, v22
	v_cmp_ne_u32_e32 vcc, s11, v26
	v_mov_b32_e32 v30, 0x7f800001
	s_and_saveexec_b64 s[20:21], vcc
	s_cbranch_execz .LBB429_302
; %bb.301:
	v_and_b32_e32 v27, 7, v22
	v_ffbh_u32_e32 v27, v27
	v_min_u32_e32 v27, 32, v27
	v_subrev_u32_e32 v29, 28, v27
	v_cmp_gt_u32_e32 vcc, 8, v26
	v_lshrrev_b32_e32 v28, 3, v26
	v_sub_u32_e32 v27, 29, v27
	v_cndmask_b32_e32 v26, 0, v29, vcc
	v_cndmask_b32_e32 v28, v28, v27, vcc
	v_lshlrev_b64 v[26:27], v26, v[22:23]
	v_lshlrev_b32_e32 v26, 20, v26
	v_lshlrev_b32_e32 v27, 24, v22
	v_bfrev_b32_e32 v29, 60
	v_and_b32_e32 v26, 0x700000, v26
	v_and_b32_e32 v27, 0x80000000, v27
	v_lshl_add_u32 v28, v28, 23, v29
	v_or3_b32 v30, v27, v28, v26
.LBB429_302:
	s_or_b64 exec, exec, s[20:21]
.LBB429_303:
	s_or_b64 exec, exec, s[8:9]
.LBB429_304:
	s_or_b64 exec, exec, s[2:3]
	v_lshrrev_b16_e32 v26, 8, v22
	v_cmp_ne_u16_e32 vcc, 0, v26
	v_mov_b32_e32 v29, 0
	v_mov_b32_e32 v31, 0
	s_and_saveexec_b64 s[2:3], vcc
	s_cbranch_execz .LBB429_310
; %bb.305:
	s_movk_i32 s8, 0x80
	v_cmp_ne_u16_e32 vcc, s8, v26
	v_bfrev_b32_e32 v31, 1
	s_and_saveexec_b64 s[8:9], vcc
	s_cbranch_execz .LBB429_309
; %bb.306:
	s_movk_i32 s11, 0x7f
	v_and_b32_e32 v27, 0x7f, v26
	v_cmp_ne_u32_e32 vcc, s11, v27
	v_mov_b32_e32 v31, 0x7f800001
	s_and_saveexec_b64 s[20:21], vcc
	s_cbranch_execz .LBB429_308
; %bb.307:
	v_and_b32_e32 v28, 7, v26
	v_ffbh_u32_e32 v32, v28
	v_min_u32_e32 v34, 32, v32
	v_subrev_u32_e32 v32, 28, v34
	v_lshlrev_b64 v[32:33], v32, v[26:27]
	v_lshrrev_b32_e32 v31, 3, v27
	v_sub_u32_e32 v26, 29, v34
	v_and_b32_e32 v32, 7, v32
	v_cmp_gt_u32_e32 vcc, 8, v27
	v_cndmask_b32_e32 v26, v31, v26, vcc
	v_cndmask_b32_e32 v27, v28, v32, vcc
	v_lshlrev_b32_e32 v28, 16, v22
	v_bfrev_b32_e32 v31, 60
	v_lshlrev_b32_e32 v27, 20, v27
	v_and_b32_e32 v28, 0x80000000, v28
	v_lshl_add_u32 v26, v26, 23, v31
	v_or3_b32 v31, v28, v26, v27
.LBB429_308:
	s_or_b64 exec, exec, s[20:21]
.LBB429_309:
	s_or_b64 exec, exec, s[8:9]
.LBB429_310:
	s_or_b64 exec, exec, s[2:3]
	s_movk_i32 s2, 0xff
	v_and_b32_sdwa v27, v22, s2 dst_sel:DWORD dst_unused:UNUSED_PAD src0_sel:WORD_1 src1_sel:DWORD
	v_lshrrev_b32_e32 v26, 16, v22
	v_cmp_ne_u16_e32 vcc, 0, v27
	s_and_saveexec_b64 s[2:3], vcc
	s_cbranch_execz .LBB429_316
; %bb.311:
	s_movk_i32 s8, 0x80
	v_cmp_ne_u16_e32 vcc, s8, v27
	v_bfrev_b32_e32 v29, 1
	s_and_saveexec_b64 s[8:9], vcc
	s_cbranch_execz .LBB429_315
; %bb.312:
	v_bfe_u32 v27, v22, 16, 7
	s_movk_i32 s11, 0x7f
	v_cmp_ne_u32_e32 vcc, s11, v27
	v_mov_b32_e32 v29, 0x7f800001
	s_and_saveexec_b64 s[20:21], vcc
	s_cbranch_execz .LBB429_314
; %bb.313:
	v_and_b32_e32 v32, 7, v26
	v_ffbh_u32_e32 v28, v32
	v_min_u32_e32 v34, 32, v28
	v_subrev_u32_e32 v28, 28, v34
	v_lshlrev_b64 v[28:29], v28, v[26:27]
	v_and_b32_e32 v28, 7, v28
	v_cmp_gt_u32_e32 vcc, 8, v27
	v_lshrrev_b32_e32 v33, 3, v27
	v_sub_u32_e32 v26, 29, v34
	v_cndmask_b32_e32 v27, v32, v28, vcc
	v_mov_b32_e32 v28, 24
	v_cndmask_b32_e32 v26, v33, v26, vcc
	v_lshlrev_b32_sdwa v28, v28, v22 dst_sel:DWORD dst_unused:UNUSED_PAD src0_sel:DWORD src1_sel:WORD_1
	v_bfrev_b32_e32 v29, 60
	v_lshlrev_b32_e32 v27, 20, v27
	v_and_b32_e32 v28, 0x80000000, v28
	v_lshl_add_u32 v26, v26, 23, v29
	v_or3_b32 v29, v28, v26, v27
.LBB429_314:
	s_or_b64 exec, exec, s[20:21]
.LBB429_315:
	s_or_b64 exec, exec, s[8:9]
.LBB429_316:
	s_or_b64 exec, exec, s[2:3]
	s_mov_b32 s2, 0xffffff
	v_cmp_lt_u32_e32 vcc, s2, v22
	v_mov_b32_e32 v27, 0
	v_mov_b32_e32 v32, 0
	s_and_saveexec_b64 s[2:3], vcc
	s_cbranch_execz .LBB429_322
; %bb.317:
	v_lshrrev_b32_e32 v26, 24, v22
	s_movk_i32 s8, 0x80
	v_cmp_ne_u32_e32 vcc, s8, v26
	v_bfrev_b32_e32 v32, 1
	s_and_saveexec_b64 s[8:9], vcc
	s_cbranch_execz .LBB429_321
; %bb.318:
	v_bfe_u32 v28, v22, 24, 7
	s_movk_i32 s11, 0x7f
	v_cmp_ne_u32_e32 vcc, s11, v28
	v_mov_b32_e32 v32, 0x7f800001
	s_and_saveexec_b64 s[20:21], vcc
	s_cbranch_execz .LBB429_320
; %bb.319:
	v_and_b32_e32 v34, 7, v26
	v_ffbh_u32_e32 v32, v34
	v_min_u32_e32 v36, 32, v32
	v_subrev_u32_e32 v32, 28, v36
	v_lshlrev_b64 v[32:33], v32, v[26:27]
	v_lshrrev_b32_e32 v35, 3, v28
	v_sub_u32_e32 v33, 29, v36
	v_and_b32_e32 v32, 7, v32
	v_cmp_gt_u32_e32 vcc, 8, v28
	v_cndmask_b32_e32 v28, v35, v33, vcc
	v_cndmask_b32_e32 v32, v34, v32, vcc
	v_lshlrev_b32_e32 v26, 24, v26
	v_bfrev_b32_e32 v33, 60
	v_lshlrev_b32_e32 v32, 20, v32
	v_and_b32_e32 v26, 0x80000000, v26
	v_lshl_add_u32 v28, v28, 23, v33
	v_or3_b32 v32, v26, v28, v32
.LBB429_320:
	s_or_b64 exec, exec, s[20:21]
.LBB429_321:
	s_or_b64 exec, exec, s[8:9]
.LBB429_322:
	s_or_b64 exec, exec, s[2:3]
	v_mov_b32_e32 v26, v23
	v_cmp_ne_u16_sdwa s[8:9], v23, v27 src0_sel:BYTE_0 src1_sel:DWORD
	s_and_saveexec_b64 s[2:3], s[8:9]
	s_cbranch_execz .LBB429_328
; %bb.323:
	s_movk_i32 s8, 0x80
	v_cmp_ne_u16_sdwa s[20:21], v23, s8 src0_sel:BYTE_0 src1_sel:DWORD
	v_bfrev_b32_e32 v28, 1
	s_and_saveexec_b64 s[8:9], s[20:21]
	s_cbranch_execz .LBB429_327
; %bb.324:
	s_movk_i32 s11, 0x7f
	v_and_b32_e32 v33, 0x7f, v23
	v_cmp_ne_u32_e32 vcc, s11, v33
	v_mov_b32_e32 v28, 0x7f800001
	s_and_saveexec_b64 s[20:21], vcc
	s_cbranch_execz .LBB429_326
; %bb.325:
	v_and_b32_e32 v28, 7, v23
	v_ffbh_u32_e32 v28, v28
	v_min_u32_e32 v28, 32, v28
	v_subrev_u32_e32 v35, 28, v28
	v_cmp_gt_u32_e32 vcc, 8, v33
	v_lshrrev_b32_e32 v34, 3, v33
	v_sub_u32_e32 v28, 29, v28
	v_cndmask_b32_e32 v33, 0, v35, vcc
	v_cndmask_b32_e32 v28, v34, v28, vcc
	v_lshlrev_b64 v[34:35], v33, v[26:27]
	v_lshlrev_b32_e32 v27, 20, v34
	v_lshlrev_b32_e32 v33, 24, v26
	v_bfrev_b32_e32 v34, 60
	v_and_b32_e32 v27, 0x700000, v27
	v_and_b32_e32 v33, 0x80000000, v33
	v_lshl_add_u32 v28, v28, 23, v34
	v_or3_b32 v28, v33, v28, v27
.LBB429_326:
	s_or_b64 exec, exec, s[20:21]
.LBB429_327:
	s_or_b64 exec, exec, s[8:9]
	v_mov_b32_e32 v27, v28
.LBB429_328:
	s_or_b64 exec, exec, s[2:3]
	v_lshrrev_b16_e32 v28, 8, v26
	v_cmp_ne_u16_e32 vcc, 0, v28
	v_mov_b32_e32 v33, 0
	v_mov_b32_e32 v34, 0
	s_and_saveexec_b64 s[2:3], vcc
	s_cbranch_execz .LBB429_334
; %bb.329:
	s_movk_i32 s8, 0x80
	v_cmp_ne_u16_e32 vcc, s8, v28
	v_bfrev_b32_e32 v34, 1
	s_and_saveexec_b64 s[8:9], vcc
	s_cbranch_execz .LBB429_333
; %bb.330:
	s_movk_i32 s11, 0x7f
	v_and_b32_e32 v35, 0x7f, v28
	v_cmp_ne_u32_e32 vcc, s11, v35
	v_mov_b32_e32 v34, 0x7f800001
	s_and_saveexec_b64 s[20:21], vcc
	s_cbranch_execz .LBB429_332
; %bb.331:
	v_and_b32_e32 v34, 7, v28
	v_ffbh_u32_e32 v36, v34
	v_min_u32_e32 v40, 32, v36
	v_subrev_u32_e32 v36, 28, v40
	v_lshlrev_b64 v[36:37], v36, v[28:29]
	v_lshrrev_b32_e32 v39, 3, v35
	v_sub_u32_e32 v28, 29, v40
	v_and_b32_e32 v36, 7, v36
	v_cmp_gt_u32_e32 vcc, 8, v35
	v_cndmask_b32_e32 v28, v39, v28, vcc
	v_cndmask_b32_e32 v34, v34, v36, vcc
	v_lshlrev_b32_e32 v26, 16, v26
	v_bfrev_b32_e32 v35, 60
	v_lshlrev_b32_e32 v34, 20, v34
	v_and_b32_e32 v26, 0x80000000, v26
	v_lshl_add_u32 v28, v28, 23, v35
	v_or3_b32 v34, v26, v28, v34
.LBB429_332:
	s_or_b64 exec, exec, s[20:21]
.LBB429_333:
	s_or_b64 exec, exec, s[8:9]
.LBB429_334:
	s_or_b64 exec, exec, s[2:3]
	s_movk_i32 s2, 0xff
	v_and_b32_sdwa v28, v23, s2 dst_sel:DWORD dst_unused:UNUSED_PAD src0_sel:WORD_1 src1_sel:DWORD
	v_lshrrev_b32_e32 v26, 16, v23
	v_cmp_ne_u16_e32 vcc, 0, v28
	s_and_saveexec_b64 s[2:3], vcc
	s_cbranch_execz .LBB429_340
; %bb.335:
	s_movk_i32 s8, 0x80
	v_cmp_ne_u16_e32 vcc, s8, v28
	v_bfrev_b32_e32 v33, 1
	s_and_saveexec_b64 s[8:9], vcc
	s_cbranch_execz .LBB429_339
; %bb.336:
	v_bfe_u32 v28, v23, 16, 7
	s_movk_i32 s11, 0x7f
	v_cmp_ne_u32_e32 vcc, s11, v28
	v_mov_b32_e32 v33, 0x7f800001
	s_and_saveexec_b64 s[20:21], vcc
	s_cbranch_execz .LBB429_338
; %bb.337:
	v_and_b32_e32 v33, 7, v26
	v_ffbh_u32_e32 v36, v33
	v_min_u32_e32 v39, 32, v36
	v_subrev_u32_e32 v36, 28, v39
	v_lshlrev_b64 v[36:37], v36, v[26:27]
	v_and_b32_e32 v36, 7, v36
	v_cmp_gt_u32_e32 vcc, 8, v28
	v_lshrrev_b32_e32 v35, 3, v28
	v_sub_u32_e32 v26, 29, v39
	v_cndmask_b32_e32 v28, v33, v36, vcc
	v_mov_b32_e32 v33, 24
	v_cndmask_b32_e32 v26, v35, v26, vcc
	v_lshlrev_b32_sdwa v33, v33, v23 dst_sel:DWORD dst_unused:UNUSED_PAD src0_sel:DWORD src1_sel:WORD_1
	v_bfrev_b32_e32 v35, 60
	v_lshlrev_b32_e32 v28, 20, v28
	v_and_b32_e32 v33, 0x80000000, v33
	v_lshl_add_u32 v26, v26, 23, v35
	v_or3_b32 v33, v33, v26, v28
.LBB429_338:
	s_or_b64 exec, exec, s[20:21]
.LBB429_339:
	s_or_b64 exec, exec, s[8:9]
.LBB429_340:
	s_or_b64 exec, exec, s[2:3]
	s_mov_b32 s2, -1
	s_mov_b32 s3, 0xffffff
	v_cmp_lt_u64_e32 vcc, s[2:3], v[22:23]
	v_mov_b32_e32 v28, 0
	v_mov_b32_e32 v26, 0
	s_and_saveexec_b64 s[2:3], vcc
	s_cbranch_execz .LBB429_346
; %bb.341:
	v_lshrrev_b32_e32 v22, 24, v23
	s_movk_i32 s8, 0x80
	v_cmp_ne_u32_e32 vcc, s8, v22
	v_bfrev_b32_e32 v26, 1
	s_and_saveexec_b64 s[8:9], vcc
	s_cbranch_execz .LBB429_345
; %bb.342:
	v_bfe_u32 v23, v23, 24, 7
	s_movk_i32 s11, 0x7f
	v_cmp_ne_u32_e32 vcc, s11, v23
	v_mov_b32_e32 v26, 0x7f800001
	s_and_saveexec_b64 s[20:21], vcc
	s_cbranch_execz .LBB429_344
; %bb.343:
	v_and_b32_e32 v26, 7, v22
	v_ffbh_u32_e32 v36, v26
	v_min_u32_e32 v39, 32, v36
	v_subrev_u32_e32 v36, 28, v39
	v_lshlrev_b64 v[36:37], v36, v[22:23]
	v_lshrrev_b32_e32 v35, 3, v23
	v_sub_u32_e32 v37, 29, v39
	v_and_b32_e32 v36, 7, v36
	v_cmp_gt_u32_e32 vcc, 8, v23
	v_cndmask_b32_e32 v23, v35, v37, vcc
	v_cndmask_b32_e32 v26, v26, v36, vcc
	v_lshlrev_b32_e32 v22, 24, v22
	v_bfrev_b32_e32 v35, 60
	v_lshlrev_b32_e32 v26, 20, v26
	v_and_b32_e32 v22, 0x80000000, v22
	v_lshl_add_u32 v23, v23, 23, v35
	v_or3_b32 v26, v22, v23, v26
.LBB429_344:
	s_or_b64 exec, exec, s[20:21]
.LBB429_345:
	s_or_b64 exec, exec, s[8:9]
.LBB429_346:
	s_or_b64 exec, exec, s[2:3]
	v_cvt_pkrtz_f16_f32 v22, v30, v31
	v_cvt_pkrtz_f16_f32 v23, v29, v32
	;; [unrolled: 1-line block ×4, first 2 shown]
	v_mfma_f32_4x4x4f16 a[0:3], v[18:19], v[22:23], a[0:3] cbsz:4 abid:6
	v_cmp_ne_u16_sdwa s[8:9], v24, v28 src0_sel:BYTE_0 src1_sel:DWORD
	v_mfma_f32_4x4x4f16 a[0:3], v[20:21], v[30:31], a[0:3] cbsz:4 abid:6
	s_and_saveexec_b64 s[2:3], s[8:9]
	s_cbranch_execz .LBB429_352
; %bb.347:
	s_movk_i32 s8, 0x80
	v_cmp_ne_u16_sdwa s[20:21], v24, s8 src0_sel:BYTE_0 src1_sel:DWORD
	v_bfrev_b32_e32 v28, 1
	s_and_saveexec_b64 s[8:9], s[20:21]
	s_cbranch_execz .LBB429_351
; %bb.348:
	s_movk_i32 s11, 0x7f
	v_and_b32_e32 v22, 0x7f, v24
	v_cmp_ne_u32_e32 vcc, s11, v22
	v_mov_b32_e32 v28, 0x7f800001
	s_and_saveexec_b64 s[20:21], vcc
	s_cbranch_execz .LBB429_350
; %bb.349:
	v_and_b32_e32 v23, 7, v24
	v_ffbh_u32_e32 v23, v23
	v_min_u32_e32 v23, 32, v23
	v_subrev_u32_e32 v27, 28, v23
	v_cmp_gt_u32_e32 vcc, 8, v22
	v_lshrrev_b32_e32 v26, 3, v22
	v_sub_u32_e32 v23, 29, v23
	v_cndmask_b32_e32 v22, 0, v27, vcc
	v_cndmask_b32_e32 v26, v26, v23, vcc
	v_lshlrev_b64 v[22:23], v22, v[24:25]
	v_lshlrev_b32_e32 v22, 20, v22
	v_lshlrev_b32_e32 v23, 24, v24
	v_bfrev_b32_e32 v27, 60
	v_and_b32_e32 v22, 0x700000, v22
	v_and_b32_e32 v23, 0x80000000, v23
	v_lshl_add_u32 v26, v26, 23, v27
	v_or3_b32 v28, v23, v26, v22
.LBB429_350:
	s_or_b64 exec, exec, s[20:21]
.LBB429_351:
	s_or_b64 exec, exec, s[8:9]
.LBB429_352:
	s_or_b64 exec, exec, s[2:3]
	v_lshrrev_b16_e32 v22, 8, v24
	v_cmp_ne_u16_e32 vcc, 0, v22
	v_mov_b32_e32 v27, 0
	v_mov_b32_e32 v29, 0
	s_and_saveexec_b64 s[2:3], vcc
	s_cbranch_execz .LBB429_358
; %bb.353:
	s_movk_i32 s8, 0x80
	v_cmp_ne_u16_e32 vcc, s8, v22
	v_bfrev_b32_e32 v29, 1
	s_and_saveexec_b64 s[8:9], vcc
	s_cbranch_execz .LBB429_357
; %bb.354:
	s_movk_i32 s11, 0x7f
	v_and_b32_e32 v23, 0x7f, v22
	v_cmp_ne_u32_e32 vcc, s11, v23
	v_mov_b32_e32 v29, 0x7f800001
	s_and_saveexec_b64 s[20:21], vcc
	s_cbranch_execz .LBB429_356
; %bb.355:
	v_and_b32_e32 v26, 7, v22
	v_ffbh_u32_e32 v30, v26
	v_min_u32_e32 v32, 32, v30
	v_subrev_u32_e32 v30, 28, v32
	v_lshlrev_b64 v[30:31], v30, v[22:23]
	v_lshrrev_b32_e32 v29, 3, v23
	v_sub_u32_e32 v22, 29, v32
	v_and_b32_e32 v30, 7, v30
	v_cmp_gt_u32_e32 vcc, 8, v23
	v_cndmask_b32_e32 v22, v29, v22, vcc
	v_cndmask_b32_e32 v23, v26, v30, vcc
	v_lshlrev_b32_e32 v26, 16, v24
	v_bfrev_b32_e32 v29, 60
	v_lshlrev_b32_e32 v23, 20, v23
	v_and_b32_e32 v26, 0x80000000, v26
	v_lshl_add_u32 v22, v22, 23, v29
	v_or3_b32 v29, v26, v22, v23
.LBB429_356:
	s_or_b64 exec, exec, s[20:21]
.LBB429_357:
	s_or_b64 exec, exec, s[8:9]
.LBB429_358:
	s_or_b64 exec, exec, s[2:3]
	s_movk_i32 s2, 0xff
	v_and_b32_sdwa v23, v24, s2 dst_sel:DWORD dst_unused:UNUSED_PAD src0_sel:WORD_1 src1_sel:DWORD
	v_lshrrev_b32_e32 v22, 16, v24
	v_cmp_ne_u16_e32 vcc, 0, v23
	s_and_saveexec_b64 s[2:3], vcc
	s_cbranch_execz .LBB429_364
; %bb.359:
	s_movk_i32 s8, 0x80
	v_cmp_ne_u16_e32 vcc, s8, v23
	v_bfrev_b32_e32 v27, 1
	s_and_saveexec_b64 s[8:9], vcc
	s_cbranch_execz .LBB429_363
; %bb.360:
	v_bfe_u32 v23, v24, 16, 7
	s_movk_i32 s11, 0x7f
	v_cmp_ne_u32_e32 vcc, s11, v23
	v_mov_b32_e32 v27, 0x7f800001
	s_and_saveexec_b64 s[20:21], vcc
	s_cbranch_execz .LBB429_362
; %bb.361:
	v_and_b32_e32 v30, 7, v22
	v_ffbh_u32_e32 v26, v30
	v_min_u32_e32 v32, 32, v26
	v_subrev_u32_e32 v26, 28, v32
	v_lshlrev_b64 v[26:27], v26, v[22:23]
	v_and_b32_e32 v26, 7, v26
	v_cmp_gt_u32_e32 vcc, 8, v23
	v_lshrrev_b32_e32 v31, 3, v23
	v_sub_u32_e32 v22, 29, v32
	v_cndmask_b32_e32 v23, v30, v26, vcc
	v_mov_b32_e32 v26, 24
	v_cndmask_b32_e32 v22, v31, v22, vcc
	v_lshlrev_b32_sdwa v26, v26, v24 dst_sel:DWORD dst_unused:UNUSED_PAD src0_sel:DWORD src1_sel:WORD_1
	v_bfrev_b32_e32 v27, 60
	v_lshlrev_b32_e32 v23, 20, v23
	v_and_b32_e32 v26, 0x80000000, v26
	v_lshl_add_u32 v22, v22, 23, v27
	v_or3_b32 v27, v26, v22, v23
.LBB429_362:
	s_or_b64 exec, exec, s[20:21]
.LBB429_363:
	s_or_b64 exec, exec, s[8:9]
.LBB429_364:
	s_or_b64 exec, exec, s[2:3]
	s_mov_b32 s2, 0xffffff
	v_cmp_lt_u32_e32 vcc, s2, v24
	v_mov_b32_e32 v23, 0
	v_mov_b32_e32 v30, 0
	s_and_saveexec_b64 s[2:3], vcc
	s_cbranch_execz .LBB429_370
; %bb.365:
	v_lshrrev_b32_e32 v22, 24, v24
	s_movk_i32 s8, 0x80
	v_cmp_ne_u32_e32 vcc, s8, v22
	v_bfrev_b32_e32 v30, 1
	s_and_saveexec_b64 s[8:9], vcc
	s_cbranch_execz .LBB429_369
; %bb.366:
	v_bfe_u32 v26, v24, 24, 7
	s_movk_i32 s11, 0x7f
	v_cmp_ne_u32_e32 vcc, s11, v26
	v_mov_b32_e32 v30, 0x7f800001
	s_and_saveexec_b64 s[20:21], vcc
	s_cbranch_execz .LBB429_368
; %bb.367:
	v_and_b32_e32 v32, 7, v22
	v_ffbh_u32_e32 v30, v32
	v_min_u32_e32 v34, 32, v30
	v_subrev_u32_e32 v30, 28, v34
	v_lshlrev_b64 v[30:31], v30, v[22:23]
	v_lshrrev_b32_e32 v33, 3, v26
	v_sub_u32_e32 v31, 29, v34
	v_and_b32_e32 v30, 7, v30
	v_cmp_gt_u32_e32 vcc, 8, v26
	v_cndmask_b32_e32 v26, v33, v31, vcc
	v_cndmask_b32_e32 v30, v32, v30, vcc
	v_lshlrev_b32_e32 v22, 24, v22
	v_bfrev_b32_e32 v31, 60
	v_lshlrev_b32_e32 v30, 20, v30
	v_and_b32_e32 v22, 0x80000000, v22
	v_lshl_add_u32 v26, v26, 23, v31
	v_or3_b32 v30, v22, v26, v30
.LBB429_368:
	s_or_b64 exec, exec, s[20:21]
.LBB429_369:
	s_or_b64 exec, exec, s[8:9]
.LBB429_370:
	s_or_b64 exec, exec, s[2:3]
	v_mov_b32_e32 v22, v25
	v_cmp_ne_u16_sdwa s[8:9], v25, v23 src0_sel:BYTE_0 src1_sel:DWORD
	s_and_saveexec_b64 s[2:3], s[8:9]
	s_cbranch_execz .LBB429_376
; %bb.371:
	s_movk_i32 s8, 0x80
	v_cmp_ne_u16_sdwa s[20:21], v25, s8 src0_sel:BYTE_0 src1_sel:DWORD
	v_bfrev_b32_e32 v26, 1
	s_and_saveexec_b64 s[8:9], s[20:21]
	s_cbranch_execz .LBB429_375
; %bb.372:
	s_movk_i32 s11, 0x7f
	v_and_b32_e32 v31, 0x7f, v25
	v_cmp_ne_u32_e32 vcc, s11, v31
	v_mov_b32_e32 v26, 0x7f800001
	s_and_saveexec_b64 s[20:21], vcc
	s_cbranch_execz .LBB429_374
; %bb.373:
	v_and_b32_e32 v26, 7, v25
	v_ffbh_u32_e32 v26, v26
	v_min_u32_e32 v26, 32, v26
	v_subrev_u32_e32 v33, 28, v26
	v_cmp_gt_u32_e32 vcc, 8, v31
	v_lshrrev_b32_e32 v32, 3, v31
	v_sub_u32_e32 v26, 29, v26
	v_cndmask_b32_e32 v31, 0, v33, vcc
	v_cndmask_b32_e32 v26, v32, v26, vcc
	v_lshlrev_b64 v[32:33], v31, v[22:23]
	v_lshlrev_b32_e32 v23, 20, v32
	v_lshlrev_b32_e32 v31, 24, v22
	v_bfrev_b32_e32 v32, 60
	v_and_b32_e32 v23, 0x700000, v23
	v_and_b32_e32 v31, 0x80000000, v31
	v_lshl_add_u32 v26, v26, 23, v32
	v_or3_b32 v26, v31, v26, v23
.LBB429_374:
	s_or_b64 exec, exec, s[20:21]
.LBB429_375:
	s_or_b64 exec, exec, s[8:9]
	v_mov_b32_e32 v23, v26
.LBB429_376:
	s_or_b64 exec, exec, s[2:3]
	v_lshrrev_b16_e32 v26, 8, v22
	v_cmp_ne_u16_e32 vcc, 0, v26
	v_mov_b32_e32 v31, 0
	v_mov_b32_e32 v32, 0
	s_and_saveexec_b64 s[2:3], vcc
	s_cbranch_execz .LBB429_382
; %bb.377:
	s_movk_i32 s8, 0x80
	v_cmp_ne_u16_e32 vcc, s8, v26
	v_bfrev_b32_e32 v32, 1
	s_and_saveexec_b64 s[8:9], vcc
	s_cbranch_execz .LBB429_381
; %bb.378:
	s_movk_i32 s11, 0x7f
	v_and_b32_e32 v33, 0x7f, v26
	v_cmp_ne_u32_e32 vcc, s11, v33
	v_mov_b32_e32 v32, 0x7f800001
	s_and_saveexec_b64 s[20:21], vcc
	s_cbranch_execz .LBB429_380
; %bb.379:
	v_and_b32_e32 v32, 7, v26
	v_ffbh_u32_e32 v34, v32
	v_min_u32_e32 v37, 32, v34
	v_subrev_u32_e32 v34, 28, v37
	v_lshlrev_b64 v[34:35], v34, v[26:27]
	v_lshrrev_b32_e32 v36, 3, v33
	v_sub_u32_e32 v26, 29, v37
	v_and_b32_e32 v34, 7, v34
	v_cmp_gt_u32_e32 vcc, 8, v33
	v_cndmask_b32_e32 v26, v36, v26, vcc
	v_cndmask_b32_e32 v32, v32, v34, vcc
	v_lshlrev_b32_e32 v22, 16, v22
	v_bfrev_b32_e32 v33, 60
	v_lshlrev_b32_e32 v32, 20, v32
	v_and_b32_e32 v22, 0x80000000, v22
	v_lshl_add_u32 v26, v26, 23, v33
	v_or3_b32 v32, v22, v26, v32
.LBB429_380:
	s_or_b64 exec, exec, s[20:21]
.LBB429_381:
	s_or_b64 exec, exec, s[8:9]
.LBB429_382:
	s_or_b64 exec, exec, s[2:3]
	s_movk_i32 s2, 0xff
	v_and_b32_sdwa v26, v25, s2 dst_sel:DWORD dst_unused:UNUSED_PAD src0_sel:WORD_1 src1_sel:DWORD
	v_lshrrev_b32_e32 v22, 16, v25
	v_cmp_ne_u16_e32 vcc, 0, v26
	s_and_saveexec_b64 s[2:3], vcc
	s_cbranch_execz .LBB429_388
; %bb.383:
	s_movk_i32 s8, 0x80
	v_cmp_ne_u16_e32 vcc, s8, v26
	v_bfrev_b32_e32 v31, 1
	s_and_saveexec_b64 s[8:9], vcc
	s_cbranch_execz .LBB429_387
; %bb.384:
	v_bfe_u32 v26, v25, 16, 7
	s_movk_i32 s11, 0x7f
	v_cmp_ne_u32_e32 vcc, s11, v26
	v_mov_b32_e32 v31, 0x7f800001
	s_and_saveexec_b64 s[20:21], vcc
	s_cbranch_execz .LBB429_386
; %bb.385:
	v_and_b32_e32 v31, 7, v22
	v_ffbh_u32_e32 v34, v31
	v_min_u32_e32 v36, 32, v34
	v_subrev_u32_e32 v34, 28, v36
	v_lshlrev_b64 v[34:35], v34, v[22:23]
	v_and_b32_e32 v34, 7, v34
	v_cmp_gt_u32_e32 vcc, 8, v26
	v_lshrrev_b32_e32 v33, 3, v26
	v_sub_u32_e32 v22, 29, v36
	v_cndmask_b32_e32 v26, v31, v34, vcc
	v_mov_b32_e32 v31, 24
	v_cndmask_b32_e32 v22, v33, v22, vcc
	v_lshlrev_b32_sdwa v31, v31, v25 dst_sel:DWORD dst_unused:UNUSED_PAD src0_sel:DWORD src1_sel:WORD_1
	v_bfrev_b32_e32 v33, 60
	v_lshlrev_b32_e32 v26, 20, v26
	v_and_b32_e32 v31, 0x80000000, v31
	v_lshl_add_u32 v22, v22, 23, v33
	v_or3_b32 v31, v31, v22, v26
.LBB429_386:
	s_or_b64 exec, exec, s[20:21]
.LBB429_387:
	s_or_b64 exec, exec, s[8:9]
.LBB429_388:
	s_or_b64 exec, exec, s[2:3]
	s_mov_b32 s2, -1
	s_mov_b32 s3, 0xffffff
	v_cmp_lt_u64_e32 vcc, s[2:3], v[24:25]
	v_mov_b32_e32 v24, 0
	s_and_saveexec_b64 s[2:3], vcc
	s_cbranch_execz .LBB429_394
; %bb.389:
	v_lshrrev_b32_e32 v22, 24, v25
	s_movk_i32 s8, 0x80
	v_cmp_ne_u32_e32 vcc, s8, v22
	v_bfrev_b32_e32 v24, 1
	s_and_saveexec_b64 s[8:9], vcc
	s_cbranch_execz .LBB429_393
; %bb.390:
	v_bfe_u32 v25, v25, 24, 7
	s_movk_i32 s11, 0x7f
	v_cmp_ne_u32_e32 vcc, s11, v25
	v_mov_b32_e32 v24, 0x7f800001
	s_and_saveexec_b64 s[20:21], vcc
	s_cbranch_execz .LBB429_392
; %bb.391:
	v_and_b32_e32 v24, 7, v22
	v_ffbh_u32_e32 v33, v24
	v_min_u32_e32 v33, 32, v33
	v_subrev_u32_e32 v34, 28, v33
	v_lshlrev_b64 v[34:35], v34, v[22:23]
	v_lshrrev_b32_e32 v26, 3, v25
	v_sub_u32_e32 v33, 29, v33
	v_and_b32_e32 v34, 7, v34
	v_cmp_gt_u32_e32 vcc, 8, v25
	v_cndmask_b32_e32 v25, v26, v33, vcc
	v_cndmask_b32_e32 v24, v24, v34, vcc
	v_lshlrev_b32_e32 v22, 24, v22
	v_bfrev_b32_e32 v26, 60
	v_lshlrev_b32_e32 v24, 20, v24
	v_and_b32_e32 v22, 0x80000000, v22
	v_lshl_add_u32 v25, v25, 23, v26
	v_or3_b32 v24, v22, v25, v24
.LBB429_392:
	s_or_b64 exec, exec, s[20:21]
.LBB429_393:
	s_or_b64 exec, exec, s[8:9]
.LBB429_394:
	s_or_b64 exec, exec, s[2:3]
	s_load_dword s2, s[4:5], 0x1c
	v_cvt_pkrtz_f16_f32 v26, v28, v29
	v_cvt_pkrtz_f16_f32 v27, v27, v30
	s_load_dword s3, s[12:13], 0x0
	v_cvt_pkrtz_f16_f32 v22, v23, v32
	v_mfma_f32_4x4x4f16 a[0:3], v[18:19], v[26:27], a[0:3] cbsz:4 abid:7
	v_cvt_pkrtz_f16_f32 v23, v31, v24
	s_waitcnt lgkmcnt(0)
	v_mov_b32_e32 v18, s2
	v_cmp_eq_u32_e32 vcc, 0, v44
	v_mfma_f32_4x4x4f16 a[0:3], v[20:21], v[22:23], a[0:3] cbsz:4 abid:7
	v_mul_f32_e32 v20, s3, v18
	v_mov_b32_e32 v25, 0xff7fffff
	s_nop 2
	v_accvgpr_read_b32 v23, a1
	v_accvgpr_read_b32 v22, a0
	v_pk_mul_f32 v[22:23], v[22:23], v[20:21] op_sel_hi:[1,0]
	v_accvgpr_read_b32 v19, a3
	v_accvgpr_read_b32 v18, a2
	v_pk_mul_f32 v[18:19], v[18:19], v[20:21] op_sel_hi:[1,0]
	v_cndmask_b32_e64 v20, 0, 1.0, vcc
	v_cmp_eq_u32_e32 vcc, 1, v44
	s_nop 0
	v_mfma_f32_4x4x1f32 a[0:3], v22, v20, 0
	v_cndmask_b32_e64 v20, 0, 1.0, vcc
	v_cmp_eq_u32_e32 vcc, 2, v44
	s_nop 0
	v_mfma_f32_4x4x1f32 a[0:3], v23, v20, a[0:3]
	;; [unrolled: 4-line block ×3, first 2 shown]
	v_cndmask_b32_e64 v18, 0, 1.0, vcc
	s_nop 1
	v_mfma_f32_4x4x1f32 a[0:3], v19, v18, a[0:3]
	v_and_b32_e32 v18, -4, v45
	v_subrev_u32_e32 v19, s7, v18
	v_add_u32_e32 v20, 1, v19
	v_cvt_f32_i32_e32 v20, v20
	v_add_u32_e32 v21, 2, v19
	v_cvt_f32_i32_e32 v21, v21
	v_accvgpr_read_b32 v22, a0
	s_waitcnt vmcnt(4)
	v_fma_f32 v20, v46, v20, v22
	v_accvgpr_read_b32 v22, a1
	v_fma_f32 v21, v46, v21, v22
	v_add_u32_e32 v22, 3, v19
	v_cvt_f32_i32_e32 v22, v22
	v_add_u32_e32 v19, 4, v19
	v_max_f32_e32 v24, 0xff7fffff, v20
	v_cmp_gt_i32_e32 vcc, s7, v18
	v_cvt_f32_i32_e32 v19, v19
	v_cndmask_b32_e32 v24, v25, v24, vcc
	v_or_b32_e32 v25, 1, v18
	v_accvgpr_read_b32 v23, a2
	v_max_f32_e32 v26, v24, v21
	v_cmp_gt_i32_e64 s[2:3], s7, v25
	v_fma_f32 v22, v46, v22, v23
	v_cndmask_b32_e64 v24, v24, v26, s[2:3]
	v_or_b32_e32 v18, 2, v18
	v_accvgpr_read_b32 v23, a3
	v_max_f32_e32 v25, v24, v22
	v_cmp_gt_i32_e64 s[4:5], s7, v18
	v_fmac_f32_e32 v23, v46, v19
	v_cndmask_b32_e64 v18, v24, v25, s[4:5]
	v_or_b32_e32 v24, 3, v45
	v_max_f32_e32 v25, v18, v23
	v_cmp_gt_i32_e64 s[8:9], s7, v24
	v_lshlrev_b32_e32 v19, 2, v0
	v_cndmask_b32_e64 v18, v18, v25, s[8:9]
	v_and_or_b32 v19, v19, 48, v44
	;;#ASMSTART
	v_nop
 v_nop
 v_max_f32_dpp v18, v18, v18 row_ror:4
	;;#ASMEND
	v_lshlrev_b32_e32 v24, 2, v19
	;;#ASMSTART
	v_nop
 v_nop
 v_max_f32_dpp v18, v18, v18 row_ror:8
	;;#ASMEND
	ds_bpermute_b32 v18, v24, v18
	s_waitcnt lgkmcnt(0)
	;;#ASMSTART
	v_nop
 v_nop
 v_max_f32_dpp v18, v18, v18 row_ror:4
	;;#ASMEND
	;;#ASMSTART
	v_nop
 v_nop
 v_max_f32_dpp v26, v18, v18 row_ror:8
	;;#ASMEND
	v_sub_f32_e32 v18, v20, v26
	v_mul_f32_e32 v18, 0x3fb8aa3b, v18
	v_sub_f32_e32 v19, v21, v26
	v_exp_f32_e32 v18, v18
	v_mul_f32_e32 v19, 0x3fb8aa3b, v19
	v_sub_f32_e32 v21, v22, v26
	v_exp_f32_e32 v19, v19
	v_mul_f32_e32 v21, 0x3fb8aa3b, v21
	v_sub_f32_e32 v22, v23, v26
	v_exp_f32_e32 v21, v21
	v_mul_f32_e32 v22, 0x3fb8aa3b, v22
	v_exp_f32_e32 v22, v22
	v_cndmask_b32_e32 v18, 0, v18, vcc
	v_add_f32_e32 v20, 0, v18
	v_cndmask_b32_e64 v19, 0, v19, s[2:3]
	v_add_f32_e32 v23, v20, v19
	v_cndmask_b32_e64 v20, 0, v21, s[4:5]
	;; [unrolled: 2-line block ×3, first 2 shown]
	v_add_f32_e32 v22, v23, v21
	;;#ASMSTART
	v_nop
 v_nop
 v_add_f32_dpp v22, v22, v22 row_ror:4
	;;#ASMEND
	;;#ASMSTART
	v_nop
 v_nop
 v_add_f32_dpp v22, v22, v22 row_ror:8
	;;#ASMEND
	ds_bpermute_b32 v22, v24, v22
	s_waitcnt lgkmcnt(0)
	;;#ASMSTART
	v_nop
 v_nop
 v_add_f32_dpp v22, v22, v22 row_ror:4
	;;#ASMEND
	v_cmp_gt_u32_e32 vcc, 4, v1
	;;#ASMSTART
	v_nop
 v_nop
 v_add_f32_dpp v22, v22, v22 row_ror:8
	;;#ASMEND
	s_and_saveexec_b64 s[2:3], vcc
	s_cbranch_execz .LBB429_396
; %bb.395:
	v_mul_u32_u24_e32 v23, 20, v43
	v_lshl_add_u32 v23, v44, 2, v23
	v_add_u32_e32 v23, 0x800, v23
	ds_write2_b32 v23, v26, v22 offset0:128 offset1:148
.LBB429_396:
	s_or_b64 exec, exec, s[2:3]
.LBB429_397:
	s_or_b64 exec, exec, s[34:35]
	v_lshlrev_b32_e32 v22, 2, v44
	v_add_u32_e32 v30, 0x800, v22
	s_waitcnt lgkmcnt(0)
	s_barrier
	s_load_dword s2, s[30:31], 0x8
	ds_read2_b32 v[22:23], v30 offset0:128 offset1:133
	ds_read2_b32 v[24:25], v30 offset0:138 offset1:143
	s_mov_b32 s7, 0xff7fffff
	s_mul_i32 s3, s6, s44
	ds_read2_b32 v[28:29], v30 offset0:148 offset1:153
	s_waitcnt lgkmcnt(0)
	v_max3_f32 v27, v22, s7, v23
	v_max3_f32 v27, v27, v24, v25
	v_sub_f32_e32 v22, v22, v27
	v_mul_f32_e32 v22, 0x3fb8aa3b, v22
	v_exp_f32_e32 v31, v22
	v_sub_f32_e32 v22, v23, v27
	s_mul_i32 s3, s3, s2
	v_mul_f32_e32 v22, 0x3fb8aa3b, v22
	v_sub_f32_e32 v24, v24, v27
	s_lshl_b32 s2, s3, 2
	s_mov_b32 s3, 0
	v_exp_f32_e32 v32, v22
	ds_read2_b32 v[22:23], v30 offset0:158 offset1:163
	v_mul_f32_e32 v24, 0x3fb8aa3b, v24
	v_sub_f32_e32 v25, v25, v27
	s_lshl_b64 s[4:5], s[2:3], 2
	v_exp_f32_e32 v24, v24
	v_mul_f32_e32 v25, 0x3fb8aa3b, v25
	s_mov_b32 s11, s3
	s_add_u32 s3, s16, s4
	v_exp_f32_e32 v25, v25
	s_addc_u32 s6, s17, s5
	v_fma_f32 v28, v31, v28, 0
	s_add_u32 s7, s18, s4
	v_fmac_f32_e32 v28, v32, v29
	s_addc_u32 s8, s19, s5
	s_lshl_b64 s[4:5], s[10:11], 2
	s_waitcnt lgkmcnt(0)
	v_fmac_f32_e32 v28, v24, v22
	s_add_u32 s7, s7, s4
	v_fmac_f32_e32 v28, v25, v23
	v_mul_lo_u32 v22, s44, v38
	v_mov_b32_e32 v23, 0
	s_addc_u32 s8, s8, s5
	v_lshlrev_b64 v[24:25], 2, v[22:23]
	s_add_u32 s3, s3, s4
	v_mov_b32_e32 v22, s8
	v_add_co_u32_e32 v30, vcc, s7, v24
	s_addc_u32 s4, s6, s5
	v_addc_co_u32_e32 v31, vcc, v22, v25, vcc
	v_mov_b32_e32 v22, s4
	v_add_co_u32_e32 v24, vcc, s3, v24
	v_addc_co_u32_e32 v25, vcc, v22, v25, vcc
	global_store_dword v[24:25], v28, off
	v_lshlrev_b32_e32 v25, 3, v43
	global_store_dword v[30:31], v27, off
	s_and_saveexec_b64 s[4:5], s[0:1]
	s_xor_b64 s[0:1], exec, s[4:5]
	s_cbranch_execz .LBB429_399
; %bb.398:
	s_waitcnt vmcnt(3)
	v_mad_u32_u24 v2, v1, 40, v25
	v_mov_b32_e32 v22, v23
	ds_write_b64 v2, v[22:23]
                                        ; implicit-def: $vgpr21
                                        ; implicit-def: $vgpr19
                                        ; implicit-def: $vgpr26
                                        ; implicit-def: $vgpr14_vgpr15
                                        ; implicit-def: $vgpr10_vgpr11
                                        ; implicit-def: $vgpr6_vgpr7
                                        ; implicit-def: $vgpr2_vgpr3
                                        ; implicit-def: $vgpr27
                                        ; implicit-def: $vgpr28
                                        ; implicit-def: $vgpr25
.LBB429_399:
	s_andn2_saveexec_b64 s[0:1], s[0:1]
	s_cbranch_execz .LBB429_785
; %bb.400:
	v_mov_b32_e32 v29, 0
	s_waitcnt vmcnt(4)
	v_cmp_ne_u16_sdwa s[6:7], v14, v29 src0_sel:BYTE_0 src1_sel:DWORD
	v_mov_b32_e32 v30, 0
	s_and_saveexec_b64 s[4:5], s[6:7]
	s_cbranch_execz .LBB429_406
; %bb.401:
	s_movk_i32 s3, 0x80
	v_cmp_ne_u16_sdwa s[8:9], v14, s3 src0_sel:BYTE_0 src1_sel:DWORD
	v_bfrev_b32_e32 v30, 1
	s_and_saveexec_b64 s[6:7], s[8:9]
	s_cbranch_execz .LBB429_405
; %bb.402:
	s_movk_i32 s3, 0x7f
	v_and_b32_e32 v22, 0x7f, v14
	v_cmp_ne_u32_e32 vcc, s3, v22
	v_mov_b32_e32 v30, 0x7f800001
	s_and_saveexec_b64 s[8:9], vcc
	s_cbranch_execz .LBB429_404
; %bb.403:
	v_and_b32_e32 v23, 7, v14
	v_ffbh_u32_e32 v23, v23
	v_min_u32_e32 v23, 32, v23
	v_subrev_u32_e32 v30, 28, v23
	v_cmp_gt_u32_e32 vcc, 8, v22
	v_lshrrev_b32_e32 v24, 3, v22
	v_sub_u32_e32 v23, 29, v23
	v_cndmask_b32_e32 v22, 0, v30, vcc
	v_cndmask_b32_e32 v24, v24, v23, vcc
	v_lshlrev_b64 v[22:23], v22, v[14:15]
	v_lshlrev_b32_e32 v22, 20, v22
	v_lshlrev_b32_e32 v23, 24, v14
	v_bfrev_b32_e32 v30, 60
	v_and_b32_e32 v22, 0x700000, v22
	v_and_b32_e32 v23, 0x80000000, v23
	v_lshl_add_u32 v24, v24, 23, v30
	v_or3_b32 v30, v23, v24, v22
.LBB429_404:
	s_or_b64 exec, exec, s[8:9]
.LBB429_405:
	s_or_b64 exec, exec, s[6:7]
.LBB429_406:
	s_or_b64 exec, exec, s[4:5]
	v_lshrrev_b16_e32 v22, 8, v14
	v_cmp_ne_u16_e32 vcc, 0, v22
	s_and_saveexec_b64 s[4:5], vcc
	s_cbranch_execz .LBB429_412
; %bb.407:
	s_movk_i32 s3, 0x80
	v_cmp_ne_u16_e32 vcc, s3, v22
	v_bfrev_b32_e32 v29, 1
	s_and_saveexec_b64 s[6:7], vcc
	s_cbranch_execz .LBB429_411
; %bb.408:
	s_movk_i32 s3, 0x7f
	v_and_b32_e32 v23, 0x7f, v22
	v_cmp_ne_u32_e32 vcc, s3, v23
	v_mov_b32_e32 v29, 0x7f800001
	s_and_saveexec_b64 s[8:9], vcc
	s_cbranch_execz .LBB429_410
; %bb.409:
	v_and_b32_e32 v24, 7, v22
	v_ffbh_u32_e32 v31, v24
	v_min_u32_e32 v31, 32, v31
	v_subrev_u32_e32 v32, 28, v31
	v_lshlrev_b64 v[32:33], v32, v[22:23]
	v_lshrrev_b32_e32 v29, 3, v23
	v_sub_u32_e32 v22, 29, v31
	v_and_b32_e32 v31, 7, v32
	v_cmp_gt_u32_e32 vcc, 8, v23
	v_cndmask_b32_e32 v22, v29, v22, vcc
	v_cndmask_b32_e32 v23, v24, v31, vcc
	v_lshlrev_b32_e32 v24, 16, v14
	v_bfrev_b32_e32 v29, 60
	v_lshlrev_b32_e32 v23, 20, v23
	v_and_b32_e32 v24, 0x80000000, v24
	v_lshl_add_u32 v22, v22, 23, v29
	v_or3_b32 v29, v24, v22, v23
.LBB429_410:
	s_or_b64 exec, exec, s[8:9]
.LBB429_411:
	s_or_b64 exec, exec, s[6:7]
.LBB429_412:
	s_or_b64 exec, exec, s[4:5]
	s_movk_i32 s3, 0xff
	v_and_b32_sdwa v23, v14, s3 dst_sel:DWORD dst_unused:UNUSED_PAD src0_sel:WORD_1 src1_sel:DWORD
	v_lshrrev_b32_e32 v22, 16, v14
	v_cmp_ne_u16_e32 vcc, 0, v23
	v_mov_b32_e32 v31, 0
	v_mov_b32_e32 v32, 0
	s_and_saveexec_b64 s[4:5], vcc
	s_cbranch_execz .LBB429_418
; %bb.413:
	s_movk_i32 s3, 0x80
	v_cmp_ne_u16_e32 vcc, s3, v23
	v_bfrev_b32_e32 v32, 1
	s_and_saveexec_b64 s[6:7], vcc
	s_cbranch_execz .LBB429_417
; %bb.414:
	v_bfe_u32 v23, v14, 16, 7
	s_movk_i32 s3, 0x7f
	v_cmp_ne_u32_e32 vcc, s3, v23
	v_mov_b32_e32 v32, 0x7f800001
	s_and_saveexec_b64 s[8:9], vcc
	s_cbranch_execz .LBB429_416
; %bb.415:
	v_and_b32_e32 v24, 7, v22
	v_ffbh_u32_e32 v32, v24
	v_min_u32_e32 v35, 32, v32
	v_subrev_u32_e32 v32, 28, v35
	v_lshlrev_b64 v[32:33], v32, v[22:23]
	v_and_b32_e32 v32, 7, v32
	v_cmp_gt_u32_e32 vcc, 8, v23
	v_lshrrev_b32_e32 v34, 3, v23
	v_sub_u32_e32 v22, 29, v35
	v_cndmask_b32_e32 v23, v24, v32, vcc
	v_mov_b32_e32 v24, 24
	v_cndmask_b32_e32 v22, v34, v22, vcc
	v_lshlrev_b32_sdwa v24, v24, v14 dst_sel:DWORD dst_unused:UNUSED_PAD src0_sel:DWORD src1_sel:WORD_1
	v_bfrev_b32_e32 v32, 60
	v_lshlrev_b32_e32 v23, 20, v23
	v_and_b32_e32 v24, 0x80000000, v24
	v_lshl_add_u32 v22, v22, 23, v32
	v_or3_b32 v32, v24, v22, v23
.LBB429_416:
	s_or_b64 exec, exec, s[8:9]
.LBB429_417:
	s_or_b64 exec, exec, s[6:7]
.LBB429_418:
	s_or_b64 exec, exec, s[4:5]
	s_mov_b32 s3, 0xffffff
	v_cmp_lt_u32_e32 vcc, s3, v14
	s_and_saveexec_b64 s[4:5], vcc
	s_cbranch_execz .LBB429_424
; %bb.419:
	v_lshrrev_b32_e32 v22, 24, v14
	s_movk_i32 s3, 0x80
	v_cmp_ne_u32_e32 vcc, s3, v22
	v_bfrev_b32_e32 v31, 1
	s_and_saveexec_b64 s[6:7], vcc
	s_cbranch_execz .LBB429_423
; %bb.420:
	v_bfe_u32 v23, v14, 24, 7
	s_movk_i32 s3, 0x7f
	v_cmp_ne_u32_e32 vcc, s3, v23
	v_mov_b32_e32 v31, 0x7f800001
	s_and_saveexec_b64 s[8:9], vcc
	s_cbranch_execz .LBB429_422
; %bb.421:
	v_and_b32_e32 v24, 7, v22
	v_ffbh_u32_e32 v33, v24
	v_min_u32_e32 v33, 32, v33
	v_subrev_u32_e32 v34, 28, v33
	v_lshlrev_b64 v[34:35], v34, v[22:23]
	v_lshrrev_b32_e32 v31, 3, v23
	v_sub_u32_e32 v33, 29, v33
	v_and_b32_e32 v34, 7, v34
	v_cmp_gt_u32_e32 vcc, 8, v23
	v_cndmask_b32_e32 v23, v31, v33, vcc
	v_cndmask_b32_e32 v24, v24, v34, vcc
	v_lshlrev_b32_e32 v22, 24, v22
	v_bfrev_b32_e32 v31, 60
	v_lshlrev_b32_e32 v24, 20, v24
	v_and_b32_e32 v22, 0x80000000, v22
	v_lshl_add_u32 v23, v23, 23, v31
	v_or3_b32 v31, v22, v23, v24
.LBB429_422:
	s_or_b64 exec, exec, s[8:9]
.LBB429_423:
	s_or_b64 exec, exec, s[6:7]
.LBB429_424:
	s_or_b64 exec, exec, s[4:5]
	v_mov_b32_e32 v23, 0
	v_mov_b32_e32 v22, v15
	v_cmp_ne_u16_sdwa s[6:7], v15, v23 src0_sel:BYTE_0 src1_sel:DWORD
	v_mov_b32_e32 v33, v23
	s_and_saveexec_b64 s[4:5], s[6:7]
	s_cbranch_execz .LBB429_430
; %bb.425:
	s_movk_i32 s3, 0x80
	v_cmp_ne_u16_sdwa s[8:9], v15, s3 src0_sel:BYTE_0 src1_sel:DWORD
	v_bfrev_b32_e32 v33, 1
	s_and_saveexec_b64 s[6:7], s[8:9]
	s_cbranch_execz .LBB429_429
; %bb.426:
	s_movk_i32 s3, 0x7f
	v_and_b32_e32 v24, 0x7f, v15
	v_cmp_ne_u32_e32 vcc, s3, v24
	v_mov_b32_e32 v33, 0x7f800001
	s_and_saveexec_b64 s[8:9], vcc
	s_cbranch_execz .LBB429_428
; %bb.427:
	v_and_b32_e32 v33, 7, v15
	v_ffbh_u32_e32 v33, v33
	v_min_u32_e32 v33, 32, v33
	v_lshrrev_b32_e32 v34, 3, v24
	v_subrev_u32_e32 v35, 28, v33
	v_sub_u32_e32 v33, 29, v33
	v_cmp_gt_u32_e32 vcc, 8, v24
	v_cndmask_b32_e32 v24, v34, v33, vcc
	v_cndmask_b32_e32 v33, 0, v35, vcc
	v_lshlrev_b64 v[34:35], v33, v[22:23]
	v_lshlrev_b32_e32 v33, 20, v34
	v_lshlrev_b32_e32 v34, 24, v22
	v_bfrev_b32_e32 v35, 60
	v_and_b32_e32 v33, 0x700000, v33
	v_and_b32_e32 v34, 0x80000000, v34
	v_lshl_add_u32 v24, v24, 23, v35
	v_or3_b32 v33, v34, v24, v33
.LBB429_428:
	s_or_b64 exec, exec, s[8:9]
.LBB429_429:
	s_or_b64 exec, exec, s[6:7]
.LBB429_430:
	s_or_b64 exec, exec, s[4:5]
	v_lshrrev_b16_e32 v24, 8, v22
	v_cmp_ne_u16_e32 vcc, 0, v24
	s_and_saveexec_b64 s[4:5], vcc
	s_cbranch_execz .LBB429_436
; %bb.431:
	s_movk_i32 s3, 0x80
	v_cmp_ne_u16_e32 vcc, s3, v24
	v_bfrev_b32_e32 v23, 1
	s_and_saveexec_b64 s[6:7], vcc
	s_cbranch_execz .LBB429_435
; %bb.432:
	s_movk_i32 s3, 0x7f
	v_and_b32_e32 v34, 0x7f, v24
	v_cmp_ne_u32_e32 vcc, s3, v34
	v_mov_b32_e32 v23, 0x7f800001
	s_and_saveexec_b64 s[8:9], vcc
	s_cbranch_execz .LBB429_434
; %bb.433:
	v_and_b32_e32 v23, 7, v24
	v_ffbh_u32_e32 v36, v23
	v_min_u32_e32 v38, 32, v36
	v_subrev_u32_e32 v36, 28, v38
	v_lshlrev_b64 v[36:37], v36, v[24:25]
	v_lshrrev_b32_e32 v35, 3, v34
	v_sub_u32_e32 v24, 29, v38
	v_and_b32_e32 v36, 7, v36
	v_cmp_gt_u32_e32 vcc, 8, v34
	v_cndmask_b32_e32 v24, v35, v24, vcc
	v_cndmask_b32_e32 v23, v23, v36, vcc
	v_lshlrev_b32_e32 v22, 16, v22
	v_bfrev_b32_e32 v34, 60
	v_lshlrev_b32_e32 v23, 20, v23
	v_and_b32_e32 v22, 0x80000000, v22
	v_lshl_add_u32 v24, v24, 23, v34
	v_or3_b32 v23, v22, v24, v23
.LBB429_434:
	s_or_b64 exec, exec, s[8:9]
.LBB429_435:
	s_or_b64 exec, exec, s[6:7]
.LBB429_436:
	s_or_b64 exec, exec, s[4:5]
	s_movk_i32 s3, 0xff
	v_and_b32_sdwa v35, v15, s3 dst_sel:DWORD dst_unused:UNUSED_PAD src0_sel:WORD_1 src1_sel:DWORD
	v_lshrrev_b32_e32 v22, 16, v15
	v_cmp_ne_u16_e32 vcc, 0, v35
	v_mov_b32_e32 v24, 0
	v_mov_b32_e32 v34, 0
	s_and_saveexec_b64 s[4:5], vcc
	s_cbranch_execz .LBB429_442
; %bb.437:
	s_movk_i32 s3, 0x80
	v_cmp_ne_u16_e32 vcc, s3, v35
	v_bfrev_b32_e32 v34, 1
	s_and_saveexec_b64 s[6:7], vcc
	s_cbranch_execz .LBB429_441
; %bb.438:
	v_bfe_u32 v35, v15, 16, 7
	s_movk_i32 s3, 0x7f
	v_cmp_ne_u32_e32 vcc, s3, v35
	v_mov_b32_e32 v34, 0x7f800001
	s_and_saveexec_b64 s[8:9], vcc
	s_cbranch_execz .LBB429_440
; %bb.439:
	v_and_b32_e32 v34, 7, v22
	v_ffbh_u32_e32 v36, v34
	v_min_u32_e32 v39, 32, v36
	v_subrev_u32_e32 v36, 28, v39
	v_lshlrev_b64 v[36:37], v36, v[22:23]
	v_lshrrev_b32_e32 v38, 3, v35
	v_sub_u32_e32 v22, 29, v39
	v_and_b32_e32 v36, 7, v36
	v_cmp_gt_u32_e32 vcc, 8, v35
	v_mov_b32_e32 v35, 24
	v_cndmask_b32_e32 v22, v38, v22, vcc
	v_cndmask_b32_e32 v34, v34, v36, vcc
	v_lshlrev_b32_sdwa v35, v35, v15 dst_sel:DWORD dst_unused:UNUSED_PAD src0_sel:DWORD src1_sel:WORD_1
	v_bfrev_b32_e32 v36, 60
	v_lshlrev_b32_e32 v34, 20, v34
	v_and_b32_e32 v35, 0x80000000, v35
	v_lshl_add_u32 v22, v22, 23, v36
	v_or3_b32 v34, v35, v22, v34
.LBB429_440:
	s_or_b64 exec, exec, s[8:9]
.LBB429_441:
	s_or_b64 exec, exec, s[6:7]
.LBB429_442:
	s_or_b64 exec, exec, s[4:5]
	s_mov_b32 s4, -1
	s_mov_b32 s5, 0xffffff
	v_cmp_lt_u64_e32 vcc, s[4:5], v[14:15]
	s_and_saveexec_b64 s[4:5], vcc
	s_cbranch_execz .LBB429_448
; %bb.443:
	v_lshrrev_b32_e32 v14, 24, v15
	s_movk_i32 s3, 0x80
	v_cmp_ne_u32_e32 vcc, s3, v14
	v_bfrev_b32_e32 v24, 1
	s_and_saveexec_b64 s[6:7], vcc
	s_cbranch_execz .LBB429_447
; %bb.444:
	v_bfe_u32 v15, v15, 24, 7
	s_movk_i32 s3, 0x7f
	v_cmp_ne_u32_e32 vcc, s3, v15
	v_mov_b32_e32 v24, 0x7f800001
	s_and_saveexec_b64 s[8:9], vcc
	s_cbranch_execz .LBB429_446
; %bb.445:
	v_and_b32_e32 v22, 7, v14
	v_ffbh_u32_e32 v35, v22
	v_min_u32_e32 v35, 32, v35
	v_subrev_u32_e32 v36, 28, v35
	v_lshlrev_b64 v[36:37], v36, v[14:15]
	v_lshrrev_b32_e32 v24, 3, v15
	v_sub_u32_e32 v35, 29, v35
	v_and_b32_e32 v36, 7, v36
	v_cmp_gt_u32_e32 vcc, 8, v15
	v_cndmask_b32_e32 v15, v24, v35, vcc
	v_cndmask_b32_e32 v22, v22, v36, vcc
	v_lshlrev_b32_e32 v14, 24, v14
	v_bfrev_b32_e32 v24, 60
	v_lshlrev_b32_e32 v22, 20, v22
	v_and_b32_e32 v14, 0x80000000, v14
	v_lshl_add_u32 v15, v15, 23, v24
	v_or3_b32 v24, v14, v15, v22
.LBB429_446:
	s_or_b64 exec, exec, s[8:9]
.LBB429_447:
	s_or_b64 exec, exec, s[6:7]
.LBB429_448:
	s_or_b64 exec, exec, s[4:5]
	v_add_f32_e32 v14, 0x358637bd, v28
	v_div_scale_f32 v15, s[4:5], v14, v14, 1.0
	v_rcp_f32_e32 v22, v15
	v_div_scale_f32 v28, vcc, 1.0, v14, 1.0
	v_sub_f32_e32 v26, v26, v27
	v_fma_f32 v35, -v15, v22, 1.0
	v_fmac_f32_e32 v22, v35, v22
	v_mul_f32_e32 v35, v28, v22
	v_fma_f32 v36, -v15, v35, v28
	v_mul_f32_e32 v26, 0x3fb8aa3b, v26
	v_fmac_f32_e32 v35, v36, v22
	v_exp_f32_e32 v26, v26
	v_fma_f32 v15, -v15, v35, v28
	v_div_fmas_f32 v15, v15, v22, v35
	v_div_fixup_f32 v14, v15, v14, 1.0
	v_mul_f32_e32 v14, v26, v14
	v_pk_mul_f32 v[20:21], v[20:21], v[14:15] op_sel_hi:[1,0]
	v_pk_mul_f32 v[14:15], v[18:19], v[14:15] op_sel_hi:[1,0]
	v_cvt_f16_f32_e32 v14, v14
	v_cvt_f16_f32_e32 v15, v15
	;; [unrolled: 1-line block ×4, first 2 shown]
	v_cvt_pkrtz_f16_f32 v22, v33, v23
	v_pack_b32_f16 v14, v14, v15
	v_cvt_pkrtz_f16_f32 v23, v34, v24
	v_pack_b32_f16 v15, v18, v19
	v_cvt_pkrtz_f16_f32 v18, v30, v29
	v_cvt_pkrtz_f16_f32 v19, v32, v31
	v_mov_b32_e32 v21, 0
	s_nop 0
	v_mfma_f32_4x4x4f16 a[0:3], v[14:15], v[18:19], 0 cbsz:4
	v_mfma_f32_4x4x4f16 a[0:3], v[14:15], v[22:23], a[0:3] cbsz:4 abid:1
	v_mov_b32_e32 v22, 0
	v_cmp_ne_u16_sdwa s[6:7], v16, v22 src0_sel:BYTE_0 src1_sel:DWORD
	s_and_saveexec_b64 s[4:5], s[6:7]
	s_cbranch_execz .LBB429_454
; %bb.449:
	s_movk_i32 s3, 0x80
	v_cmp_ne_u16_sdwa s[8:9], v16, s3 src0_sel:BYTE_0 src1_sel:DWORD
	v_bfrev_b32_e32 v21, 1
	s_and_saveexec_b64 s[6:7], s[8:9]
	s_cbranch_execz .LBB429_453
; %bb.450:
	s_movk_i32 s3, 0x7f
	v_and_b32_e32 v18, 0x7f, v16
	v_cmp_ne_u32_e32 vcc, s3, v18
	v_mov_b32_e32 v21, 0x7f800001
	s_and_saveexec_b64 s[8:9], vcc
	s_cbranch_execz .LBB429_452
; %bb.451:
	v_and_b32_e32 v19, 7, v16
	v_ffbh_u32_e32 v19, v19
	v_min_u32_e32 v19, 32, v19
	v_subrev_u32_e32 v21, 28, v19
	v_cmp_gt_u32_e32 vcc, 8, v18
	v_lshrrev_b32_e32 v20, 3, v18
	v_sub_u32_e32 v19, 29, v19
	v_cndmask_b32_e32 v18, 0, v21, vcc
	v_cndmask_b32_e32 v20, v20, v19, vcc
	v_lshlrev_b64 v[18:19], v18, v[16:17]
	v_lshlrev_b32_e32 v18, 20, v18
	v_lshlrev_b32_e32 v19, 24, v16
	v_bfrev_b32_e32 v21, 60
	v_and_b32_e32 v18, 0x700000, v18
	v_and_b32_e32 v19, 0x80000000, v19
	v_lshl_add_u32 v20, v20, 23, v21
	v_or3_b32 v21, v19, v20, v18
.LBB429_452:
	s_or_b64 exec, exec, s[8:9]
.LBB429_453:
	s_or_b64 exec, exec, s[6:7]
.LBB429_454:
	s_or_b64 exec, exec, s[4:5]
	v_lshrrev_b16_e32 v18, 8, v16
	v_cmp_ne_u16_e32 vcc, 0, v18
	v_mov_b32_e32 v23, 0
	s_and_saveexec_b64 s[4:5], vcc
	s_cbranch_execz .LBB429_460
; %bb.455:
	s_movk_i32 s3, 0x80
	v_cmp_ne_u16_e32 vcc, s3, v18
	v_bfrev_b32_e32 v23, 1
	s_and_saveexec_b64 s[6:7], vcc
	s_cbranch_execz .LBB429_459
; %bb.456:
	s_movk_i32 s3, 0x7f
	v_and_b32_e32 v19, 0x7f, v18
	v_cmp_ne_u32_e32 vcc, s3, v19
	v_mov_b32_e32 v23, 0x7f800001
	s_and_saveexec_b64 s[8:9], vcc
	s_cbranch_execz .LBB429_458
; %bb.457:
	v_and_b32_e32 v20, 7, v18
	v_ffbh_u32_e32 v24, v20
	v_min_u32_e32 v24, 32, v24
	v_subrev_u32_e32 v26, 28, v24
	v_lshlrev_b64 v[26:27], v26, v[18:19]
	v_lshrrev_b32_e32 v23, 3, v19
	v_sub_u32_e32 v18, 29, v24
	v_and_b32_e32 v24, 7, v26
	v_cmp_gt_u32_e32 vcc, 8, v19
	v_cndmask_b32_e32 v18, v23, v18, vcc
	v_cndmask_b32_e32 v19, v20, v24, vcc
	v_lshlrev_b32_e32 v20, 16, v16
	v_bfrev_b32_e32 v23, 60
	v_lshlrev_b32_e32 v19, 20, v19
	v_and_b32_e32 v20, 0x80000000, v20
	v_lshl_add_u32 v18, v18, 23, v23
	v_or3_b32 v23, v20, v18, v19
.LBB429_458:
	s_or_b64 exec, exec, s[8:9]
.LBB429_459:
	s_or_b64 exec, exec, s[6:7]
.LBB429_460:
	s_or_b64 exec, exec, s[4:5]
	s_movk_i32 s3, 0xff
	v_and_b32_sdwa v19, v16, s3 dst_sel:DWORD dst_unused:UNUSED_PAD src0_sel:WORD_1 src1_sel:DWORD
	v_lshrrev_b32_e32 v18, 16, v16
	v_cmp_ne_u16_e32 vcc, 0, v19
	s_and_saveexec_b64 s[4:5], vcc
	s_cbranch_execz .LBB429_466
; %bb.461:
	s_movk_i32 s3, 0x80
	v_cmp_ne_u16_e32 vcc, s3, v19
	v_bfrev_b32_e32 v22, 1
	s_and_saveexec_b64 s[6:7], vcc
	s_cbranch_execz .LBB429_465
; %bb.462:
	v_bfe_u32 v19, v16, 16, 7
	s_movk_i32 s3, 0x7f
	v_cmp_ne_u32_e32 vcc, s3, v19
	v_mov_b32_e32 v22, 0x7f800001
	s_and_saveexec_b64 s[8:9], vcc
	s_cbranch_execz .LBB429_464
; %bb.463:
	v_and_b32_e32 v20, 7, v18
	v_ffbh_u32_e32 v24, v20
	v_min_u32_e32 v24, 32, v24
	v_subrev_u32_e32 v26, 28, v24
	v_lshlrev_b64 v[26:27], v26, v[18:19]
	v_sub_u32_e32 v18, 29, v24
	v_and_b32_e32 v24, 7, v26
	v_cmp_gt_u32_e32 vcc, 8, v19
	v_lshrrev_b32_e32 v22, 3, v19
	v_cndmask_b32_e32 v19, v20, v24, vcc
	v_mov_b32_e32 v20, 24
	v_cndmask_b32_e32 v18, v22, v18, vcc
	v_lshlrev_b32_sdwa v20, v20, v16 dst_sel:DWORD dst_unused:UNUSED_PAD src0_sel:DWORD src1_sel:WORD_1
	v_bfrev_b32_e32 v22, 60
	v_lshlrev_b32_e32 v19, 20, v19
	v_and_b32_e32 v20, 0x80000000, v20
	v_lshl_add_u32 v18, v18, 23, v22
	v_or3_b32 v22, v20, v18, v19
.LBB429_464:
	s_or_b64 exec, exec, s[8:9]
.LBB429_465:
	s_or_b64 exec, exec, s[6:7]
.LBB429_466:
	s_or_b64 exec, exec, s[4:5]
	s_mov_b32 s3, 0xffffff
	v_cmp_lt_u32_e32 vcc, s3, v16
	v_mov_b32_e32 v19, 0
	v_mov_b32_e32 v24, 0
	s_and_saveexec_b64 s[4:5], vcc
	s_cbranch_execz .LBB429_472
; %bb.467:
	v_lshrrev_b32_e32 v18, 24, v16
	s_movk_i32 s3, 0x80
	v_cmp_ne_u32_e32 vcc, s3, v18
	v_bfrev_b32_e32 v24, 1
	s_and_saveexec_b64 s[6:7], vcc
	s_cbranch_execz .LBB429_471
; %bb.468:
	v_bfe_u32 v20, v16, 24, 7
	s_movk_i32 s3, 0x7f
	v_cmp_ne_u32_e32 vcc, s3, v20
	v_mov_b32_e32 v24, 0x7f800001
	s_and_saveexec_b64 s[8:9], vcc
	s_cbranch_execz .LBB429_470
; %bb.469:
	v_and_b32_e32 v24, 7, v18
	v_ffbh_u32_e32 v26, v24
	v_min_u32_e32 v29, 32, v26
	v_subrev_u32_e32 v26, 28, v29
	v_lshlrev_b64 v[26:27], v26, v[18:19]
	v_lshrrev_b32_e32 v28, 3, v20
	v_sub_u32_e32 v27, 29, v29
	v_and_b32_e32 v26, 7, v26
	v_cmp_gt_u32_e32 vcc, 8, v20
	v_cndmask_b32_e32 v20, v28, v27, vcc
	v_cndmask_b32_e32 v24, v24, v26, vcc
	v_lshlrev_b32_e32 v18, 24, v18
	v_bfrev_b32_e32 v26, 60
	v_lshlrev_b32_e32 v24, 20, v24
	v_and_b32_e32 v18, 0x80000000, v18
	v_lshl_add_u32 v20, v20, 23, v26
	v_or3_b32 v24, v18, v20, v24
.LBB429_470:
	s_or_b64 exec, exec, s[8:9]
.LBB429_471:
	s_or_b64 exec, exec, s[6:7]
.LBB429_472:
	s_or_b64 exec, exec, s[4:5]
	v_mov_b32_e32 v18, v17
	v_cmp_ne_u16_sdwa s[6:7], v17, v19 src0_sel:BYTE_0 src1_sel:DWORD
	s_and_saveexec_b64 s[4:5], s[6:7]
	s_cbranch_execz .LBB429_478
; %bb.473:
	s_movk_i32 s3, 0x80
	v_cmp_ne_u16_sdwa s[8:9], v17, s3 src0_sel:BYTE_0 src1_sel:DWORD
	v_bfrev_b32_e32 v20, 1
	s_and_saveexec_b64 s[6:7], s[8:9]
	s_cbranch_execz .LBB429_477
; %bb.474:
	s_movk_i32 s3, 0x7f
	v_and_b32_e32 v26, 0x7f, v17
	v_cmp_ne_u32_e32 vcc, s3, v26
	v_mov_b32_e32 v20, 0x7f800001
	s_and_saveexec_b64 s[8:9], vcc
	s_cbranch_execz .LBB429_476
; %bb.475:
	v_and_b32_e32 v20, 7, v17
	v_ffbh_u32_e32 v20, v20
	v_min_u32_e32 v20, 32, v20
	v_subrev_u32_e32 v28, 28, v20
	v_cmp_gt_u32_e32 vcc, 8, v26
	v_lshrrev_b32_e32 v27, 3, v26
	v_sub_u32_e32 v20, 29, v20
	v_cndmask_b32_e32 v26, 0, v28, vcc
	v_cndmask_b32_e32 v20, v27, v20, vcc
	v_lshlrev_b64 v[26:27], v26, v[18:19]
	v_lshlrev_b32_e32 v19, 20, v26
	v_lshlrev_b32_e32 v26, 24, v18
	v_bfrev_b32_e32 v27, 60
	v_and_b32_e32 v19, 0x700000, v19
	v_and_b32_e32 v26, 0x80000000, v26
	v_lshl_add_u32 v20, v20, 23, v27
	v_or3_b32 v20, v26, v20, v19
.LBB429_476:
	s_or_b64 exec, exec, s[8:9]
.LBB429_477:
	s_or_b64 exec, exec, s[6:7]
	v_mov_b32_e32 v19, v20
.LBB429_478:
	s_or_b64 exec, exec, s[4:5]
	v_lshrrev_b16_e32 v20, 8, v18
	v_cmp_ne_u16_e32 vcc, 0, v20
	v_mov_b32_e32 v26, 0
	v_mov_b32_e32 v27, 0
	s_and_saveexec_b64 s[4:5], vcc
	s_cbranch_execz .LBB429_484
; %bb.479:
	s_movk_i32 s3, 0x80
	v_cmp_ne_u16_e32 vcc, s3, v20
	v_bfrev_b32_e32 v27, 1
	s_and_saveexec_b64 s[6:7], vcc
	s_cbranch_execz .LBB429_483
; %bb.480:
	s_movk_i32 s3, 0x7f
	v_and_b32_e32 v28, 0x7f, v20
	v_cmp_ne_u32_e32 vcc, s3, v28
	v_mov_b32_e32 v27, 0x7f800001
	s_and_saveexec_b64 s[8:9], vcc
	s_cbranch_execz .LBB429_482
; %bb.481:
	v_and_b32_e32 v27, 7, v20
	v_ffbh_u32_e32 v30, v27
	v_min_u32_e32 v32, 32, v30
	v_subrev_u32_e32 v30, 28, v32
	v_lshlrev_b64 v[30:31], v30, v[20:21]
	v_lshrrev_b32_e32 v29, 3, v28
	v_sub_u32_e32 v20, 29, v32
	v_and_b32_e32 v30, 7, v30
	v_cmp_gt_u32_e32 vcc, 8, v28
	v_cndmask_b32_e32 v20, v29, v20, vcc
	v_cndmask_b32_e32 v27, v27, v30, vcc
	v_lshlrev_b32_e32 v18, 16, v18
	v_bfrev_b32_e32 v28, 60
	v_lshlrev_b32_e32 v27, 20, v27
	v_and_b32_e32 v18, 0x80000000, v18
	v_lshl_add_u32 v20, v20, 23, v28
	v_or3_b32 v27, v18, v20, v27
.LBB429_482:
	s_or_b64 exec, exec, s[8:9]
.LBB429_483:
	s_or_b64 exec, exec, s[6:7]
.LBB429_484:
	s_or_b64 exec, exec, s[4:5]
	s_movk_i32 s3, 0xff
	v_and_b32_sdwa v20, v17, s3 dst_sel:DWORD dst_unused:UNUSED_PAD src0_sel:WORD_1 src1_sel:DWORD
	v_lshrrev_b32_e32 v18, 16, v17
	v_cmp_ne_u16_e32 vcc, 0, v20
	s_and_saveexec_b64 s[4:5], vcc
	s_cbranch_execz .LBB429_490
; %bb.485:
	s_movk_i32 s3, 0x80
	v_cmp_ne_u16_e32 vcc, s3, v20
	v_bfrev_b32_e32 v26, 1
	s_and_saveexec_b64 s[6:7], vcc
	s_cbranch_execz .LBB429_489
; %bb.486:
	v_bfe_u32 v20, v17, 16, 7
	s_movk_i32 s3, 0x7f
	v_cmp_ne_u32_e32 vcc, s3, v20
	v_mov_b32_e32 v26, 0x7f800001
	s_and_saveexec_b64 s[8:9], vcc
	s_cbranch_execz .LBB429_488
; %bb.487:
	v_and_b32_e32 v26, 7, v18
	v_ffbh_u32_e32 v28, v26
	v_min_u32_e32 v31, 32, v28
	v_subrev_u32_e32 v28, 28, v31
	v_lshlrev_b64 v[28:29], v28, v[18:19]
	v_and_b32_e32 v28, 7, v28
	v_cmp_gt_u32_e32 vcc, 8, v20
	v_lshrrev_b32_e32 v30, 3, v20
	v_sub_u32_e32 v18, 29, v31
	v_cndmask_b32_e32 v20, v26, v28, vcc
	v_mov_b32_e32 v26, 24
	v_cndmask_b32_e32 v18, v30, v18, vcc
	v_lshlrev_b32_sdwa v26, v26, v17 dst_sel:DWORD dst_unused:UNUSED_PAD src0_sel:DWORD src1_sel:WORD_1
	v_bfrev_b32_e32 v28, 60
	v_lshlrev_b32_e32 v20, 20, v20
	v_and_b32_e32 v26, 0x80000000, v26
	v_lshl_add_u32 v18, v18, 23, v28
	v_or3_b32 v26, v26, v18, v20
.LBB429_488:
	s_or_b64 exec, exec, s[8:9]
.LBB429_489:
	s_or_b64 exec, exec, s[6:7]
.LBB429_490:
	s_or_b64 exec, exec, s[4:5]
	s_mov_b32 s4, -1
	s_mov_b32 s5, 0xffffff
	v_cmp_lt_u64_e32 vcc, s[4:5], v[16:17]
	v_mov_b32_e32 v20, 0
	v_mov_b32_e32 v18, 0
	s_and_saveexec_b64 s[4:5], vcc
	s_cbranch_execz .LBB429_496
; %bb.491:
	v_lshrrev_b32_e32 v16, 24, v17
	s_movk_i32 s3, 0x80
	v_cmp_ne_u32_e32 vcc, s3, v16
	v_bfrev_b32_e32 v18, 1
	s_and_saveexec_b64 s[6:7], vcc
	s_cbranch_execz .LBB429_495
; %bb.492:
	v_bfe_u32 v17, v17, 24, 7
	s_movk_i32 s3, 0x7f
	v_cmp_ne_u32_e32 vcc, s3, v17
	v_mov_b32_e32 v18, 0x7f800001
	s_and_saveexec_b64 s[8:9], vcc
	s_cbranch_execz .LBB429_494
; %bb.493:
	v_and_b32_e32 v18, 7, v16
	v_ffbh_u32_e32 v28, v18
	v_min_u32_e32 v31, 32, v28
	v_subrev_u32_e32 v28, 28, v31
	v_lshlrev_b64 v[28:29], v28, v[16:17]
	v_lshrrev_b32_e32 v30, 3, v17
	v_sub_u32_e32 v29, 29, v31
	v_and_b32_e32 v28, 7, v28
	v_cmp_gt_u32_e32 vcc, 8, v17
	v_cndmask_b32_e32 v17, v30, v29, vcc
	v_cndmask_b32_e32 v18, v18, v28, vcc
	v_lshlrev_b32_e32 v16, 24, v16
	v_bfrev_b32_e32 v28, 60
	v_lshlrev_b32_e32 v18, 20, v18
	v_and_b32_e32 v16, 0x80000000, v16
	v_lshl_add_u32 v17, v17, 23, v28
	v_or3_b32 v18, v16, v17, v18
.LBB429_494:
	s_or_b64 exec, exec, s[8:9]
.LBB429_495:
	s_or_b64 exec, exec, s[6:7]
.LBB429_496:
	s_or_b64 exec, exec, s[4:5]
	v_cvt_pkrtz_f16_f32 v16, v21, v23
	v_cvt_pkrtz_f16_f32 v17, v22, v24
	;; [unrolled: 1-line block ×4, first 2 shown]
	v_mfma_f32_4x4x4f16 a[0:3], v[14:15], v[16:17], a[0:3] cbsz:4 abid:2
	v_cmp_ne_u16_sdwa s[6:7], v10, v20 src0_sel:BYTE_0 src1_sel:DWORD
	v_mfma_f32_4x4x4f16 a[0:3], v[14:15], v[22:23], a[0:3] cbsz:4 abid:3
	s_and_saveexec_b64 s[4:5], s[6:7]
	s_cbranch_execz .LBB429_502
; %bb.497:
	s_movk_i32 s3, 0x80
	v_cmp_ne_u16_sdwa s[8:9], v10, s3 src0_sel:BYTE_0 src1_sel:DWORD
	v_bfrev_b32_e32 v20, 1
	s_and_saveexec_b64 s[6:7], s[8:9]
	s_cbranch_execz .LBB429_501
; %bb.498:
	s_movk_i32 s3, 0x7f
	v_and_b32_e32 v16, 0x7f, v10
	v_cmp_ne_u32_e32 vcc, s3, v16
	v_mov_b32_e32 v20, 0x7f800001
	s_and_saveexec_b64 s[8:9], vcc
	s_cbranch_execz .LBB429_500
; %bb.499:
	v_and_b32_e32 v17, 7, v10
	v_ffbh_u32_e32 v17, v17
	v_min_u32_e32 v17, 32, v17
	v_subrev_u32_e32 v19, 28, v17
	v_cmp_gt_u32_e32 vcc, 8, v16
	v_lshrrev_b32_e32 v18, 3, v16
	v_sub_u32_e32 v17, 29, v17
	v_cndmask_b32_e32 v16, 0, v19, vcc
	v_cndmask_b32_e32 v18, v18, v17, vcc
	v_lshlrev_b64 v[16:17], v16, v[10:11]
	v_lshlrev_b32_e32 v16, 20, v16
	v_lshlrev_b32_e32 v17, 24, v10
	v_bfrev_b32_e32 v19, 60
	v_and_b32_e32 v16, 0x700000, v16
	v_and_b32_e32 v17, 0x80000000, v17
	v_lshl_add_u32 v18, v18, 23, v19
	v_or3_b32 v20, v17, v18, v16
.LBB429_500:
	s_or_b64 exec, exec, s[8:9]
.LBB429_501:
	s_or_b64 exec, exec, s[6:7]
.LBB429_502:
	s_or_b64 exec, exec, s[4:5]
	v_lshrrev_b16_e32 v16, 8, v10
	v_cmp_ne_u16_e32 vcc, 0, v16
	v_mov_b32_e32 v19, 0
	v_mov_b32_e32 v21, 0
	s_and_saveexec_b64 s[4:5], vcc
	s_cbranch_execz .LBB429_508
; %bb.503:
	s_movk_i32 s3, 0x80
	v_cmp_ne_u16_e32 vcc, s3, v16
	v_bfrev_b32_e32 v21, 1
	s_and_saveexec_b64 s[6:7], vcc
	s_cbranch_execz .LBB429_507
; %bb.504:
	s_movk_i32 s3, 0x7f
	v_and_b32_e32 v17, 0x7f, v16
	v_cmp_ne_u32_e32 vcc, s3, v17
	v_mov_b32_e32 v21, 0x7f800001
	s_and_saveexec_b64 s[8:9], vcc
	s_cbranch_execz .LBB429_506
; %bb.505:
	v_and_b32_e32 v18, 7, v16
	v_ffbh_u32_e32 v22, v18
	v_min_u32_e32 v24, 32, v22
	v_subrev_u32_e32 v22, 28, v24
	v_lshlrev_b64 v[22:23], v22, v[16:17]
	v_lshrrev_b32_e32 v21, 3, v17
	v_sub_u32_e32 v16, 29, v24
	v_and_b32_e32 v22, 7, v22
	v_cmp_gt_u32_e32 vcc, 8, v17
	v_cndmask_b32_e32 v16, v21, v16, vcc
	v_cndmask_b32_e32 v17, v18, v22, vcc
	v_lshlrev_b32_e32 v18, 16, v10
	v_bfrev_b32_e32 v21, 60
	v_lshlrev_b32_e32 v17, 20, v17
	v_and_b32_e32 v18, 0x80000000, v18
	v_lshl_add_u32 v16, v16, 23, v21
	v_or3_b32 v21, v18, v16, v17
.LBB429_506:
	s_or_b64 exec, exec, s[8:9]
.LBB429_507:
	s_or_b64 exec, exec, s[6:7]
.LBB429_508:
	s_or_b64 exec, exec, s[4:5]
	s_movk_i32 s3, 0xff
	v_and_b32_sdwa v17, v10, s3 dst_sel:DWORD dst_unused:UNUSED_PAD src0_sel:WORD_1 src1_sel:DWORD
	v_lshrrev_b32_e32 v16, 16, v10
	v_cmp_ne_u16_e32 vcc, 0, v17
	s_and_saveexec_b64 s[4:5], vcc
	s_cbranch_execz .LBB429_514
; %bb.509:
	s_movk_i32 s3, 0x80
	v_cmp_ne_u16_e32 vcc, s3, v17
	v_bfrev_b32_e32 v19, 1
	s_and_saveexec_b64 s[6:7], vcc
	s_cbranch_execz .LBB429_513
; %bb.510:
	v_bfe_u32 v17, v10, 16, 7
	s_movk_i32 s3, 0x7f
	v_cmp_ne_u32_e32 vcc, s3, v17
	v_mov_b32_e32 v19, 0x7f800001
	s_and_saveexec_b64 s[8:9], vcc
	s_cbranch_execz .LBB429_512
; %bb.511:
	v_and_b32_e32 v22, 7, v16
	v_ffbh_u32_e32 v18, v22
	v_min_u32_e32 v24, 32, v18
	v_subrev_u32_e32 v18, 28, v24
	v_lshlrev_b64 v[18:19], v18, v[16:17]
	v_and_b32_e32 v18, 7, v18
	v_cmp_gt_u32_e32 vcc, 8, v17
	v_lshrrev_b32_e32 v23, 3, v17
	v_sub_u32_e32 v16, 29, v24
	v_cndmask_b32_e32 v17, v22, v18, vcc
	v_mov_b32_e32 v18, 24
	v_cndmask_b32_e32 v16, v23, v16, vcc
	v_lshlrev_b32_sdwa v18, v18, v10 dst_sel:DWORD dst_unused:UNUSED_PAD src0_sel:DWORD src1_sel:WORD_1
	v_bfrev_b32_e32 v19, 60
	v_lshlrev_b32_e32 v17, 20, v17
	v_and_b32_e32 v18, 0x80000000, v18
	v_lshl_add_u32 v16, v16, 23, v19
	v_or3_b32 v19, v18, v16, v17
.LBB429_512:
	s_or_b64 exec, exec, s[8:9]
.LBB429_513:
	s_or_b64 exec, exec, s[6:7]
.LBB429_514:
	s_or_b64 exec, exec, s[4:5]
	s_mov_b32 s3, 0xffffff
	v_cmp_lt_u32_e32 vcc, s3, v10
	v_mov_b32_e32 v17, 0
	v_mov_b32_e32 v22, 0
	s_and_saveexec_b64 s[4:5], vcc
	s_cbranch_execz .LBB429_520
; %bb.515:
	v_lshrrev_b32_e32 v16, 24, v10
	s_movk_i32 s3, 0x80
	v_cmp_ne_u32_e32 vcc, s3, v16
	v_bfrev_b32_e32 v22, 1
	s_and_saveexec_b64 s[6:7], vcc
	s_cbranch_execz .LBB429_519
; %bb.516:
	v_bfe_u32 v18, v10, 24, 7
	s_movk_i32 s3, 0x7f
	v_cmp_ne_u32_e32 vcc, s3, v18
	v_mov_b32_e32 v22, 0x7f800001
	s_and_saveexec_b64 s[8:9], vcc
	s_cbranch_execz .LBB429_518
; %bb.517:
	v_and_b32_e32 v24, 7, v16
	v_ffbh_u32_e32 v22, v24
	v_min_u32_e32 v27, 32, v22
	v_subrev_u32_e32 v22, 28, v27
	v_lshlrev_b64 v[22:23], v22, v[16:17]
	v_lshrrev_b32_e32 v26, 3, v18
	v_sub_u32_e32 v23, 29, v27
	v_and_b32_e32 v22, 7, v22
	v_cmp_gt_u32_e32 vcc, 8, v18
	v_cndmask_b32_e32 v18, v26, v23, vcc
	v_cndmask_b32_e32 v22, v24, v22, vcc
	v_lshlrev_b32_e32 v16, 24, v16
	v_bfrev_b32_e32 v23, 60
	v_lshlrev_b32_e32 v22, 20, v22
	v_and_b32_e32 v16, 0x80000000, v16
	v_lshl_add_u32 v18, v18, 23, v23
	v_or3_b32 v22, v16, v18, v22
.LBB429_518:
	s_or_b64 exec, exec, s[8:9]
.LBB429_519:
	s_or_b64 exec, exec, s[6:7]
.LBB429_520:
	s_or_b64 exec, exec, s[4:5]
	v_mov_b32_e32 v16, v11
	v_cmp_ne_u16_sdwa s[6:7], v11, v17 src0_sel:BYTE_0 src1_sel:DWORD
	s_and_saveexec_b64 s[4:5], s[6:7]
	s_cbranch_execz .LBB429_526
; %bb.521:
	s_movk_i32 s3, 0x80
	v_cmp_ne_u16_sdwa s[8:9], v11, s3 src0_sel:BYTE_0 src1_sel:DWORD
	v_bfrev_b32_e32 v18, 1
	s_and_saveexec_b64 s[6:7], s[8:9]
	s_cbranch_execz .LBB429_525
; %bb.522:
	s_movk_i32 s3, 0x7f
	v_and_b32_e32 v23, 0x7f, v11
	v_cmp_ne_u32_e32 vcc, s3, v23
	v_mov_b32_e32 v18, 0x7f800001
	s_and_saveexec_b64 s[8:9], vcc
	s_cbranch_execz .LBB429_524
; %bb.523:
	v_and_b32_e32 v18, 7, v11
	v_ffbh_u32_e32 v18, v18
	v_min_u32_e32 v18, 32, v18
	v_subrev_u32_e32 v26, 28, v18
	v_cmp_gt_u32_e32 vcc, 8, v23
	v_lshrrev_b32_e32 v24, 3, v23
	v_cndmask_b32_e32 v23, 0, v26, vcc
	v_sub_u32_e32 v18, 29, v18
	v_lshlrev_b64 v[26:27], v23, v[16:17]
	v_cndmask_b32_e32 v18, v24, v18, vcc
	v_lshlrev_b32_e32 v17, 20, v26
	v_lshlrev_b32_e32 v23, 24, v16
	v_bfrev_b32_e32 v24, 60
	v_and_b32_e32 v17, 0x700000, v17
	v_and_b32_e32 v23, 0x80000000, v23
	v_lshl_add_u32 v18, v18, 23, v24
	v_or3_b32 v18, v23, v18, v17
.LBB429_524:
	s_or_b64 exec, exec, s[8:9]
.LBB429_525:
	s_or_b64 exec, exec, s[6:7]
	v_mov_b32_e32 v17, v18
.LBB429_526:
	s_or_b64 exec, exec, s[4:5]
	v_lshrrev_b16_e32 v18, 8, v16
	v_cmp_ne_u16_e32 vcc, 0, v18
	v_mov_b32_e32 v23, 0
	v_mov_b32_e32 v24, 0
	s_and_saveexec_b64 s[4:5], vcc
	s_cbranch_execz .LBB429_532
; %bb.527:
	s_movk_i32 s3, 0x80
	v_cmp_ne_u16_e32 vcc, s3, v18
	v_bfrev_b32_e32 v24, 1
	s_and_saveexec_b64 s[6:7], vcc
	s_cbranch_execz .LBB429_531
; %bb.528:
	s_movk_i32 s3, 0x7f
	v_and_b32_e32 v26, 0x7f, v18
	v_cmp_ne_u32_e32 vcc, s3, v26
	v_mov_b32_e32 v24, 0x7f800001
	s_and_saveexec_b64 s[8:9], vcc
	s_cbranch_execz .LBB429_530
; %bb.529:
	v_and_b32_e32 v24, 7, v18
	v_ffbh_u32_e32 v28, v24
	v_min_u32_e32 v30, 32, v28
	v_subrev_u32_e32 v28, 28, v30
	v_lshlrev_b64 v[28:29], v28, v[18:19]
	v_lshrrev_b32_e32 v27, 3, v26
	v_sub_u32_e32 v18, 29, v30
	v_and_b32_e32 v28, 7, v28
	v_cmp_gt_u32_e32 vcc, 8, v26
	v_cndmask_b32_e32 v18, v27, v18, vcc
	v_cndmask_b32_e32 v24, v24, v28, vcc
	v_lshlrev_b32_e32 v16, 16, v16
	v_bfrev_b32_e32 v26, 60
	v_lshlrev_b32_e32 v24, 20, v24
	v_and_b32_e32 v16, 0x80000000, v16
	v_lshl_add_u32 v18, v18, 23, v26
	v_or3_b32 v24, v16, v18, v24
.LBB429_530:
	s_or_b64 exec, exec, s[8:9]
.LBB429_531:
	s_or_b64 exec, exec, s[6:7]
.LBB429_532:
	s_or_b64 exec, exec, s[4:5]
	s_movk_i32 s3, 0xff
	v_and_b32_sdwa v18, v11, s3 dst_sel:DWORD dst_unused:UNUSED_PAD src0_sel:WORD_1 src1_sel:DWORD
	v_lshrrev_b32_e32 v16, 16, v11
	v_cmp_ne_u16_e32 vcc, 0, v18
	s_and_saveexec_b64 s[4:5], vcc
	s_cbranch_execz .LBB429_538
; %bb.533:
	s_movk_i32 s3, 0x80
	v_cmp_ne_u16_e32 vcc, s3, v18
	v_bfrev_b32_e32 v23, 1
	s_and_saveexec_b64 s[6:7], vcc
	s_cbranch_execz .LBB429_537
; %bb.534:
	v_bfe_u32 v18, v11, 16, 7
	s_movk_i32 s3, 0x7f
	v_cmp_ne_u32_e32 vcc, s3, v18
	v_mov_b32_e32 v23, 0x7f800001
	s_and_saveexec_b64 s[8:9], vcc
	s_cbranch_execz .LBB429_536
; %bb.535:
	v_and_b32_e32 v23, 7, v16
	v_ffbh_u32_e32 v26, v23
	v_min_u32_e32 v29, 32, v26
	v_subrev_u32_e32 v26, 28, v29
	v_lshlrev_b64 v[26:27], v26, v[16:17]
	v_and_b32_e32 v26, 7, v26
	v_cmp_gt_u32_e32 vcc, 8, v18
	v_lshrrev_b32_e32 v28, 3, v18
	v_sub_u32_e32 v16, 29, v29
	v_cndmask_b32_e32 v18, v23, v26, vcc
	v_mov_b32_e32 v23, 24
	v_cndmask_b32_e32 v16, v28, v16, vcc
	v_lshlrev_b32_sdwa v23, v23, v11 dst_sel:DWORD dst_unused:UNUSED_PAD src0_sel:DWORD src1_sel:WORD_1
	v_bfrev_b32_e32 v26, 60
	v_lshlrev_b32_e32 v18, 20, v18
	v_and_b32_e32 v23, 0x80000000, v23
	v_lshl_add_u32 v16, v16, 23, v26
	v_or3_b32 v23, v23, v16, v18
.LBB429_536:
	s_or_b64 exec, exec, s[8:9]
.LBB429_537:
	s_or_b64 exec, exec, s[6:7]
.LBB429_538:
	s_or_b64 exec, exec, s[4:5]
	s_mov_b32 s4, -1
	s_mov_b32 s5, 0xffffff
	v_cmp_lt_u64_e32 vcc, s[4:5], v[10:11]
	v_mov_b32_e32 v18, 0
	v_mov_b32_e32 v16, 0
	s_and_saveexec_b64 s[4:5], vcc
	s_cbranch_execz .LBB429_544
; %bb.539:
	v_lshrrev_b32_e32 v10, 24, v11
	s_movk_i32 s3, 0x80
	v_cmp_ne_u32_e32 vcc, s3, v10
	v_bfrev_b32_e32 v16, 1
	s_and_saveexec_b64 s[6:7], vcc
	s_cbranch_execz .LBB429_543
; %bb.540:
	v_bfe_u32 v11, v11, 24, 7
	s_movk_i32 s3, 0x7f
	v_cmp_ne_u32_e32 vcc, s3, v11
	v_mov_b32_e32 v16, 0x7f800001
	s_and_saveexec_b64 s[8:9], vcc
	s_cbranch_execz .LBB429_542
; %bb.541:
	v_and_b32_e32 v16, 7, v10
	v_ffbh_u32_e32 v26, v16
	v_min_u32_e32 v29, 32, v26
	v_subrev_u32_e32 v26, 28, v29
	v_lshlrev_b64 v[26:27], v26, v[10:11]
	v_lshrrev_b32_e32 v28, 3, v11
	v_sub_u32_e32 v27, 29, v29
	v_and_b32_e32 v26, 7, v26
	v_cmp_gt_u32_e32 vcc, 8, v11
	v_cndmask_b32_e32 v11, v28, v27, vcc
	v_cndmask_b32_e32 v16, v16, v26, vcc
	v_lshlrev_b32_e32 v10, 24, v10
	v_bfrev_b32_e32 v26, 60
	v_lshlrev_b32_e32 v16, 20, v16
	v_and_b32_e32 v10, 0x80000000, v10
	v_lshl_add_u32 v11, v11, 23, v26
	v_or3_b32 v16, v10, v11, v16
.LBB429_542:
	s_or_b64 exec, exec, s[8:9]
.LBB429_543:
	s_or_b64 exec, exec, s[6:7]
.LBB429_544:
	s_or_b64 exec, exec, s[4:5]
	v_cvt_pkrtz_f16_f32 v10, v20, v21
	v_cvt_pkrtz_f16_f32 v11, v19, v22
	;; [unrolled: 1-line block ×4, first 2 shown]
	v_mfma_f32_4x4x4f16 a[0:3], v[14:15], v[10:11], a[0:3] cbsz:4 abid:4
	v_cmp_ne_u16_sdwa s[6:7], v12, v18 src0_sel:BYTE_0 src1_sel:DWORD
	v_mfma_f32_4x4x4f16 a[0:3], v[14:15], v[20:21], a[0:3] cbsz:4 abid:5
	s_and_saveexec_b64 s[4:5], s[6:7]
	s_cbranch_execz .LBB429_550
; %bb.545:
	s_movk_i32 s3, 0x80
	v_cmp_ne_u16_sdwa s[8:9], v12, s3 src0_sel:BYTE_0 src1_sel:DWORD
	v_bfrev_b32_e32 v18, 1
	s_and_saveexec_b64 s[6:7], s[8:9]
	s_cbranch_execz .LBB429_549
; %bb.546:
	s_movk_i32 s3, 0x7f
	v_and_b32_e32 v10, 0x7f, v12
	v_cmp_ne_u32_e32 vcc, s3, v10
	v_mov_b32_e32 v18, 0x7f800001
	s_and_saveexec_b64 s[8:9], vcc
	s_cbranch_execz .LBB429_548
; %bb.547:
	v_and_b32_e32 v11, 7, v12
	v_ffbh_u32_e32 v11, v11
	v_min_u32_e32 v11, 32, v11
	v_subrev_u32_e32 v17, 28, v11
	v_cmp_gt_u32_e32 vcc, 8, v10
	v_lshrrev_b32_e32 v16, 3, v10
	v_sub_u32_e32 v11, 29, v11
	v_cndmask_b32_e32 v10, 0, v17, vcc
	v_cndmask_b32_e32 v16, v16, v11, vcc
	v_lshlrev_b64 v[10:11], v10, v[12:13]
	v_lshlrev_b32_e32 v10, 20, v10
	v_lshlrev_b32_e32 v11, 24, v12
	v_bfrev_b32_e32 v17, 60
	v_and_b32_e32 v10, 0x700000, v10
	v_and_b32_e32 v11, 0x80000000, v11
	v_lshl_add_u32 v16, v16, 23, v17
	v_or3_b32 v18, v11, v16, v10
.LBB429_548:
	s_or_b64 exec, exec, s[8:9]
.LBB429_549:
	s_or_b64 exec, exec, s[6:7]
.LBB429_550:
	s_or_b64 exec, exec, s[4:5]
	v_lshrrev_b16_e32 v10, 8, v12
	v_cmp_ne_u16_e32 vcc, 0, v10
	v_mov_b32_e32 v17, 0
	v_mov_b32_e32 v19, 0
	s_and_saveexec_b64 s[4:5], vcc
	s_cbranch_execz .LBB429_556
; %bb.551:
	s_movk_i32 s3, 0x80
	v_cmp_ne_u16_e32 vcc, s3, v10
	v_bfrev_b32_e32 v19, 1
	s_and_saveexec_b64 s[6:7], vcc
	s_cbranch_execz .LBB429_555
; %bb.552:
	s_movk_i32 s3, 0x7f
	v_and_b32_e32 v11, 0x7f, v10
	v_cmp_ne_u32_e32 vcc, s3, v11
	v_mov_b32_e32 v19, 0x7f800001
	s_and_saveexec_b64 s[8:9], vcc
	s_cbranch_execz .LBB429_554
; %bb.553:
	v_and_b32_e32 v16, 7, v10
	v_ffbh_u32_e32 v20, v16
	v_min_u32_e32 v22, 32, v20
	v_subrev_u32_e32 v20, 28, v22
	v_lshlrev_b64 v[20:21], v20, v[10:11]
	v_lshrrev_b32_e32 v19, 3, v11
	v_sub_u32_e32 v10, 29, v22
	v_and_b32_e32 v20, 7, v20
	v_cmp_gt_u32_e32 vcc, 8, v11
	v_cndmask_b32_e32 v10, v19, v10, vcc
	v_cndmask_b32_e32 v11, v16, v20, vcc
	v_lshlrev_b32_e32 v16, 16, v12
	v_bfrev_b32_e32 v19, 60
	v_lshlrev_b32_e32 v11, 20, v11
	v_and_b32_e32 v16, 0x80000000, v16
	v_lshl_add_u32 v10, v10, 23, v19
	v_or3_b32 v19, v16, v10, v11
.LBB429_554:
	s_or_b64 exec, exec, s[8:9]
.LBB429_555:
	s_or_b64 exec, exec, s[6:7]
.LBB429_556:
	s_or_b64 exec, exec, s[4:5]
	s_movk_i32 s3, 0xff
	v_and_b32_sdwa v11, v12, s3 dst_sel:DWORD dst_unused:UNUSED_PAD src0_sel:WORD_1 src1_sel:DWORD
	v_lshrrev_b32_e32 v10, 16, v12
	v_cmp_ne_u16_e32 vcc, 0, v11
	s_and_saveexec_b64 s[4:5], vcc
	s_cbranch_execz .LBB429_562
; %bb.557:
	s_movk_i32 s3, 0x80
	v_cmp_ne_u16_e32 vcc, s3, v11
	v_bfrev_b32_e32 v17, 1
	s_and_saveexec_b64 s[6:7], vcc
	s_cbranch_execz .LBB429_561
; %bb.558:
	v_bfe_u32 v11, v12, 16, 7
	s_movk_i32 s3, 0x7f
	v_cmp_ne_u32_e32 vcc, s3, v11
	v_mov_b32_e32 v17, 0x7f800001
	s_and_saveexec_b64 s[8:9], vcc
	s_cbranch_execz .LBB429_560
; %bb.559:
	v_and_b32_e32 v20, 7, v10
	v_ffbh_u32_e32 v16, v20
	v_min_u32_e32 v22, 32, v16
	v_subrev_u32_e32 v16, 28, v22
	v_lshlrev_b64 v[16:17], v16, v[10:11]
	v_and_b32_e32 v16, 7, v16
	v_cmp_gt_u32_e32 vcc, 8, v11
	v_lshrrev_b32_e32 v21, 3, v11
	v_sub_u32_e32 v10, 29, v22
	v_cndmask_b32_e32 v11, v20, v16, vcc
	v_mov_b32_e32 v16, 24
	v_cndmask_b32_e32 v10, v21, v10, vcc
	v_lshlrev_b32_sdwa v16, v16, v12 dst_sel:DWORD dst_unused:UNUSED_PAD src0_sel:DWORD src1_sel:WORD_1
	v_bfrev_b32_e32 v17, 60
	v_lshlrev_b32_e32 v11, 20, v11
	v_and_b32_e32 v16, 0x80000000, v16
	v_lshl_add_u32 v10, v10, 23, v17
	v_or3_b32 v17, v16, v10, v11
.LBB429_560:
	s_or_b64 exec, exec, s[8:9]
.LBB429_561:
	s_or_b64 exec, exec, s[6:7]
.LBB429_562:
	s_or_b64 exec, exec, s[4:5]
	s_mov_b32 s3, 0xffffff
	v_cmp_lt_u32_e32 vcc, s3, v12
	v_mov_b32_e32 v11, 0
	v_mov_b32_e32 v20, 0
	s_and_saveexec_b64 s[4:5], vcc
	s_cbranch_execz .LBB429_568
; %bb.563:
	v_lshrrev_b32_e32 v10, 24, v12
	s_movk_i32 s3, 0x80
	v_cmp_ne_u32_e32 vcc, s3, v10
	v_bfrev_b32_e32 v20, 1
	s_and_saveexec_b64 s[6:7], vcc
	s_cbranch_execz .LBB429_567
; %bb.564:
	v_bfe_u32 v16, v12, 24, 7
	s_movk_i32 s3, 0x7f
	v_cmp_ne_u32_e32 vcc, s3, v16
	v_mov_b32_e32 v20, 0x7f800001
	s_and_saveexec_b64 s[8:9], vcc
	s_cbranch_execz .LBB429_566
; %bb.565:
	v_and_b32_e32 v22, 7, v10
	v_ffbh_u32_e32 v20, v22
	v_min_u32_e32 v24, 32, v20
	v_subrev_u32_e32 v20, 28, v24
	v_lshlrev_b64 v[20:21], v20, v[10:11]
	v_lshrrev_b32_e32 v23, 3, v16
	v_sub_u32_e32 v21, 29, v24
	v_and_b32_e32 v20, 7, v20
	v_cmp_gt_u32_e32 vcc, 8, v16
	v_cndmask_b32_e32 v16, v23, v21, vcc
	v_cndmask_b32_e32 v20, v22, v20, vcc
	v_lshlrev_b32_e32 v10, 24, v10
	v_bfrev_b32_e32 v21, 60
	v_lshlrev_b32_e32 v20, 20, v20
	v_and_b32_e32 v10, 0x80000000, v10
	v_lshl_add_u32 v16, v16, 23, v21
	v_or3_b32 v20, v10, v16, v20
.LBB429_566:
	s_or_b64 exec, exec, s[8:9]
.LBB429_567:
	s_or_b64 exec, exec, s[6:7]
.LBB429_568:
	s_or_b64 exec, exec, s[4:5]
	v_mov_b32_e32 v10, v13
	v_cmp_ne_u16_sdwa s[6:7], v13, v11 src0_sel:BYTE_0 src1_sel:DWORD
	s_and_saveexec_b64 s[4:5], s[6:7]
	s_cbranch_execz .LBB429_574
; %bb.569:
	s_movk_i32 s3, 0x80
	v_cmp_ne_u16_sdwa s[8:9], v13, s3 src0_sel:BYTE_0 src1_sel:DWORD
	v_bfrev_b32_e32 v16, 1
	s_and_saveexec_b64 s[6:7], s[8:9]
	s_cbranch_execz .LBB429_573
; %bb.570:
	s_movk_i32 s3, 0x7f
	v_and_b32_e32 v21, 0x7f, v13
	v_cmp_ne_u32_e32 vcc, s3, v21
	v_mov_b32_e32 v16, 0x7f800001
	s_and_saveexec_b64 s[8:9], vcc
	s_cbranch_execz .LBB429_572
; %bb.571:
	v_and_b32_e32 v16, 7, v13
	v_ffbh_u32_e32 v16, v16
	v_min_u32_e32 v16, 32, v16
	v_subrev_u32_e32 v23, 28, v16
	v_cmp_gt_u32_e32 vcc, 8, v21
	v_lshrrev_b32_e32 v22, 3, v21
	v_sub_u32_e32 v16, 29, v16
	v_cndmask_b32_e32 v21, 0, v23, vcc
	v_cndmask_b32_e32 v16, v22, v16, vcc
	v_lshlrev_b64 v[22:23], v21, v[10:11]
	v_lshlrev_b32_e32 v11, 20, v22
	v_lshlrev_b32_e32 v21, 24, v10
	v_bfrev_b32_e32 v22, 60
	v_and_b32_e32 v11, 0x700000, v11
	v_and_b32_e32 v21, 0x80000000, v21
	v_lshl_add_u32 v16, v16, 23, v22
	v_or3_b32 v16, v21, v16, v11
.LBB429_572:
	s_or_b64 exec, exec, s[8:9]
.LBB429_573:
	s_or_b64 exec, exec, s[6:7]
	v_mov_b32_e32 v11, v16
.LBB429_574:
	s_or_b64 exec, exec, s[4:5]
	v_lshrrev_b16_e32 v16, 8, v10
	v_cmp_ne_u16_e32 vcc, 0, v16
	v_mov_b32_e32 v21, 0
	v_mov_b32_e32 v22, 0
	s_and_saveexec_b64 s[4:5], vcc
	s_cbranch_execz .LBB429_580
; %bb.575:
	s_movk_i32 s3, 0x80
	v_cmp_ne_u16_e32 vcc, s3, v16
	v_bfrev_b32_e32 v22, 1
	s_and_saveexec_b64 s[6:7], vcc
	s_cbranch_execz .LBB429_579
; %bb.576:
	s_movk_i32 s3, 0x7f
	v_and_b32_e32 v23, 0x7f, v16
	v_cmp_ne_u32_e32 vcc, s3, v23
	v_mov_b32_e32 v22, 0x7f800001
	s_and_saveexec_b64 s[8:9], vcc
	s_cbranch_execz .LBB429_578
; %bb.577:
	v_and_b32_e32 v22, 7, v16
	v_ffbh_u32_e32 v26, v22
	v_min_u32_e32 v28, 32, v26
	v_subrev_u32_e32 v26, 28, v28
	v_lshlrev_b64 v[26:27], v26, v[16:17]
	v_lshrrev_b32_e32 v24, 3, v23
	v_sub_u32_e32 v16, 29, v28
	v_and_b32_e32 v26, 7, v26
	v_cmp_gt_u32_e32 vcc, 8, v23
	v_cndmask_b32_e32 v16, v24, v16, vcc
	v_cndmask_b32_e32 v22, v22, v26, vcc
	v_lshlrev_b32_e32 v10, 16, v10
	v_bfrev_b32_e32 v23, 60
	v_lshlrev_b32_e32 v22, 20, v22
	v_and_b32_e32 v10, 0x80000000, v10
	v_lshl_add_u32 v16, v16, 23, v23
	v_or3_b32 v22, v10, v16, v22
.LBB429_578:
	s_or_b64 exec, exec, s[8:9]
.LBB429_579:
	s_or_b64 exec, exec, s[6:7]
.LBB429_580:
	s_or_b64 exec, exec, s[4:5]
	s_movk_i32 s3, 0xff
	v_and_b32_sdwa v16, v13, s3 dst_sel:DWORD dst_unused:UNUSED_PAD src0_sel:WORD_1 src1_sel:DWORD
	v_lshrrev_b32_e32 v10, 16, v13
	v_cmp_ne_u16_e32 vcc, 0, v16
	s_and_saveexec_b64 s[4:5], vcc
	s_cbranch_execz .LBB429_586
; %bb.581:
	s_movk_i32 s3, 0x80
	v_cmp_ne_u16_e32 vcc, s3, v16
	v_bfrev_b32_e32 v21, 1
	s_and_saveexec_b64 s[6:7], vcc
	s_cbranch_execz .LBB429_585
; %bb.582:
	v_bfe_u32 v16, v13, 16, 7
	s_movk_i32 s3, 0x7f
	v_cmp_ne_u32_e32 vcc, s3, v16
	v_mov_b32_e32 v21, 0x7f800001
	s_and_saveexec_b64 s[8:9], vcc
	s_cbranch_execz .LBB429_584
; %bb.583:
	v_and_b32_e32 v21, 7, v10
	v_ffbh_u32_e32 v24, v21
	v_min_u32_e32 v24, 32, v24
	v_subrev_u32_e32 v26, 28, v24
	v_lshlrev_b64 v[26:27], v26, v[10:11]
	v_sub_u32_e32 v10, 29, v24
	v_and_b32_e32 v24, 7, v26
	v_cmp_gt_u32_e32 vcc, 8, v16
	v_lshrrev_b32_e32 v23, 3, v16
	v_cndmask_b32_e32 v16, v21, v24, vcc
	v_mov_b32_e32 v21, 24
	v_cndmask_b32_e32 v10, v23, v10, vcc
	v_lshlrev_b32_sdwa v21, v21, v13 dst_sel:DWORD dst_unused:UNUSED_PAD src0_sel:DWORD src1_sel:WORD_1
	v_bfrev_b32_e32 v23, 60
	v_lshlrev_b32_e32 v16, 20, v16
	v_and_b32_e32 v21, 0x80000000, v21
	v_lshl_add_u32 v10, v10, 23, v23
	v_or3_b32 v21, v21, v10, v16
.LBB429_584:
	s_or_b64 exec, exec, s[8:9]
.LBB429_585:
	s_or_b64 exec, exec, s[6:7]
.LBB429_586:
	s_or_b64 exec, exec, s[4:5]
	s_mov_b32 s4, -1
	s_mov_b32 s5, 0xffffff
	v_cmp_lt_u64_e32 vcc, s[4:5], v[12:13]
	v_mov_b32_e32 v16, 0
	v_mov_b32_e32 v12, 0
	s_and_saveexec_b64 s[4:5], vcc
	s_cbranch_execz .LBB429_592
; %bb.587:
	v_lshrrev_b32_e32 v10, 24, v13
	s_movk_i32 s3, 0x80
	v_cmp_ne_u32_e32 vcc, s3, v10
	v_bfrev_b32_e32 v12, 1
	s_and_saveexec_b64 s[6:7], vcc
	s_cbranch_execz .LBB429_591
; %bb.588:
	v_bfe_u32 v13, v13, 24, 7
	s_movk_i32 s3, 0x7f
	v_cmp_ne_u32_e32 vcc, s3, v13
	v_mov_b32_e32 v12, 0x7f800001
	s_and_saveexec_b64 s[8:9], vcc
	s_cbranch_execz .LBB429_590
; %bb.589:
	v_and_b32_e32 v12, 7, v10
	v_ffbh_u32_e32 v24, v12
	v_min_u32_e32 v24, 32, v24
	v_subrev_u32_e32 v26, 28, v24
	v_lshlrev_b64 v[26:27], v26, v[10:11]
	v_lshrrev_b32_e32 v23, 3, v13
	v_sub_u32_e32 v24, 29, v24
	v_and_b32_e32 v26, 7, v26
	v_cmp_gt_u32_e32 vcc, 8, v13
	v_cndmask_b32_e32 v13, v23, v24, vcc
	v_cndmask_b32_e32 v12, v12, v26, vcc
	v_lshlrev_b32_e32 v10, 24, v10
	v_bfrev_b32_e32 v23, 60
	v_lshlrev_b32_e32 v12, 20, v12
	v_and_b32_e32 v10, 0x80000000, v10
	v_lshl_add_u32 v13, v13, 23, v23
	v_or3_b32 v12, v10, v13, v12
.LBB429_590:
	s_or_b64 exec, exec, s[8:9]
.LBB429_591:
	s_or_b64 exec, exec, s[6:7]
.LBB429_592:
	s_or_b64 exec, exec, s[4:5]
	v_cvt_pkrtz_f16_f32 v18, v18, v19
	v_cvt_pkrtz_f16_f32 v19, v17, v20
	;; [unrolled: 1-line block ×4, first 2 shown]
	v_mfma_f32_4x4x4f16 a[0:3], v[14:15], v[18:19], a[0:3] cbsz:4 abid:6
	s_waitcnt vmcnt(2)
	v_cmp_ne_u16_sdwa s[6:7], v6, v16 src0_sel:BYTE_0 src1_sel:DWORD
	v_mfma_f32_4x4x4f16 a[0:3], v[14:15], v[10:11], a[0:3] cbsz:4 abid:7
	s_and_saveexec_b64 s[4:5], s[6:7]
	s_cbranch_execz .LBB429_598
; %bb.593:
	s_movk_i32 s3, 0x80
	v_cmp_ne_u16_sdwa s[8:9], v6, s3 src0_sel:BYTE_0 src1_sel:DWORD
	v_bfrev_b32_e32 v16, 1
	s_and_saveexec_b64 s[6:7], s[8:9]
	s_cbranch_execz .LBB429_597
; %bb.594:
	s_movk_i32 s3, 0x7f
	v_and_b32_e32 v10, 0x7f, v6
	v_cmp_ne_u32_e32 vcc, s3, v10
	v_mov_b32_e32 v16, 0x7f800001
	s_and_saveexec_b64 s[8:9], vcc
	s_cbranch_execz .LBB429_596
; %bb.595:
	v_and_b32_e32 v11, 7, v6
	v_ffbh_u32_e32 v11, v11
	v_min_u32_e32 v11, 32, v11
	v_subrev_u32_e32 v13, 28, v11
	v_cmp_gt_u32_e32 vcc, 8, v10
	v_lshrrev_b32_e32 v12, 3, v10
	v_sub_u32_e32 v11, 29, v11
	v_cndmask_b32_e32 v10, 0, v13, vcc
	v_cndmask_b32_e32 v12, v12, v11, vcc
	v_lshlrev_b64 v[10:11], v10, v[6:7]
	v_lshlrev_b32_e32 v10, 20, v10
	v_lshlrev_b32_e32 v11, 24, v6
	v_bfrev_b32_e32 v13, 60
	v_and_b32_e32 v10, 0x700000, v10
	v_and_b32_e32 v11, 0x80000000, v11
	v_lshl_add_u32 v12, v12, 23, v13
	v_or3_b32 v16, v11, v12, v10
.LBB429_596:
	s_or_b64 exec, exec, s[8:9]
.LBB429_597:
	s_or_b64 exec, exec, s[6:7]
.LBB429_598:
	s_or_b64 exec, exec, s[4:5]
	v_lshrrev_b16_e32 v10, 8, v6
	v_cmp_ne_u16_e32 vcc, 0, v10
	v_mov_b32_e32 v13, 0
	v_mov_b32_e32 v17, 0
	s_and_saveexec_b64 s[4:5], vcc
	s_cbranch_execz .LBB429_604
; %bb.599:
	s_movk_i32 s3, 0x80
	v_cmp_ne_u16_e32 vcc, s3, v10
	v_bfrev_b32_e32 v17, 1
	s_and_saveexec_b64 s[6:7], vcc
	s_cbranch_execz .LBB429_603
; %bb.600:
	s_movk_i32 s3, 0x7f
	v_and_b32_e32 v11, 0x7f, v10
	v_cmp_ne_u32_e32 vcc, s3, v11
	v_mov_b32_e32 v17, 0x7f800001
	s_and_saveexec_b64 s[8:9], vcc
	s_cbranch_execz .LBB429_602
; %bb.601:
	v_and_b32_e32 v12, 7, v10
	v_ffbh_u32_e32 v18, v12
	v_min_u32_e32 v20, 32, v18
	v_subrev_u32_e32 v18, 28, v20
	v_lshlrev_b64 v[18:19], v18, v[10:11]
	v_lshrrev_b32_e32 v17, 3, v11
	v_sub_u32_e32 v10, 29, v20
	v_and_b32_e32 v18, 7, v18
	v_cmp_gt_u32_e32 vcc, 8, v11
	v_cndmask_b32_e32 v10, v17, v10, vcc
	v_cndmask_b32_e32 v11, v12, v18, vcc
	v_lshlrev_b32_e32 v12, 16, v6
	v_bfrev_b32_e32 v17, 60
	v_lshlrev_b32_e32 v11, 20, v11
	v_and_b32_e32 v12, 0x80000000, v12
	v_lshl_add_u32 v10, v10, 23, v17
	v_or3_b32 v17, v12, v10, v11
.LBB429_602:
	s_or_b64 exec, exec, s[8:9]
.LBB429_603:
	s_or_b64 exec, exec, s[6:7]
.LBB429_604:
	s_or_b64 exec, exec, s[4:5]
	s_movk_i32 s3, 0xff
	v_and_b32_sdwa v11, v6, s3 dst_sel:DWORD dst_unused:UNUSED_PAD src0_sel:WORD_1 src1_sel:DWORD
	v_lshrrev_b32_e32 v10, 16, v6
	v_cmp_ne_u16_e32 vcc, 0, v11
	s_and_saveexec_b64 s[4:5], vcc
	s_cbranch_execz .LBB429_610
; %bb.605:
	s_movk_i32 s3, 0x80
	v_cmp_ne_u16_e32 vcc, s3, v11
	v_bfrev_b32_e32 v13, 1
	s_and_saveexec_b64 s[6:7], vcc
	s_cbranch_execz .LBB429_609
; %bb.606:
	v_bfe_u32 v11, v6, 16, 7
	s_movk_i32 s3, 0x7f
	v_cmp_ne_u32_e32 vcc, s3, v11
	v_mov_b32_e32 v13, 0x7f800001
	s_and_saveexec_b64 s[8:9], vcc
	s_cbranch_execz .LBB429_608
; %bb.607:
	v_and_b32_e32 v18, 7, v10
	v_ffbh_u32_e32 v12, v18
	v_min_u32_e32 v20, 32, v12
	v_subrev_u32_e32 v12, 28, v20
	v_lshlrev_b64 v[12:13], v12, v[10:11]
	v_and_b32_e32 v12, 7, v12
	v_cmp_gt_u32_e32 vcc, 8, v11
	v_lshrrev_b32_e32 v19, 3, v11
	v_sub_u32_e32 v10, 29, v20
	v_cndmask_b32_e32 v11, v18, v12, vcc
	v_mov_b32_e32 v12, 24
	v_cndmask_b32_e32 v10, v19, v10, vcc
	v_lshlrev_b32_sdwa v12, v12, v6 dst_sel:DWORD dst_unused:UNUSED_PAD src0_sel:DWORD src1_sel:WORD_1
	v_bfrev_b32_e32 v13, 60
	v_lshlrev_b32_e32 v11, 20, v11
	v_and_b32_e32 v12, 0x80000000, v12
	v_lshl_add_u32 v10, v10, 23, v13
	v_or3_b32 v13, v12, v10, v11
.LBB429_608:
	s_or_b64 exec, exec, s[8:9]
.LBB429_609:
	s_or_b64 exec, exec, s[6:7]
.LBB429_610:
	s_or_b64 exec, exec, s[4:5]
	s_mov_b32 s3, 0xffffff
	v_cmp_lt_u32_e32 vcc, s3, v6
	v_mov_b32_e32 v11, 0
	v_mov_b32_e32 v18, 0
	s_and_saveexec_b64 s[4:5], vcc
	s_cbranch_execz .LBB429_616
; %bb.611:
	v_lshrrev_b32_e32 v10, 24, v6
	s_movk_i32 s3, 0x80
	v_cmp_ne_u32_e32 vcc, s3, v10
	v_bfrev_b32_e32 v18, 1
	s_and_saveexec_b64 s[6:7], vcc
	s_cbranch_execz .LBB429_615
; %bb.612:
	v_bfe_u32 v12, v6, 24, 7
	s_movk_i32 s3, 0x7f
	v_cmp_ne_u32_e32 vcc, s3, v12
	v_mov_b32_e32 v18, 0x7f800001
	s_and_saveexec_b64 s[8:9], vcc
	s_cbranch_execz .LBB429_614
; %bb.613:
	v_and_b32_e32 v20, 7, v10
	v_ffbh_u32_e32 v18, v20
	v_min_u32_e32 v22, 32, v18
	v_subrev_u32_e32 v18, 28, v22
	v_lshlrev_b64 v[18:19], v18, v[10:11]
	v_lshrrev_b32_e32 v21, 3, v12
	v_sub_u32_e32 v19, 29, v22
	v_and_b32_e32 v18, 7, v18
	v_cmp_gt_u32_e32 vcc, 8, v12
	v_cndmask_b32_e32 v12, v21, v19, vcc
	v_cndmask_b32_e32 v18, v20, v18, vcc
	v_lshlrev_b32_e32 v10, 24, v10
	v_bfrev_b32_e32 v19, 60
	v_lshlrev_b32_e32 v18, 20, v18
	v_and_b32_e32 v10, 0x80000000, v10
	v_lshl_add_u32 v12, v12, 23, v19
	v_or3_b32 v18, v10, v12, v18
.LBB429_614:
	s_or_b64 exec, exec, s[8:9]
.LBB429_615:
	s_or_b64 exec, exec, s[6:7]
.LBB429_616:
	s_or_b64 exec, exec, s[4:5]
	v_mov_b32_e32 v10, v7
	v_cmp_ne_u16_sdwa s[6:7], v7, v11 src0_sel:BYTE_0 src1_sel:DWORD
	s_and_saveexec_b64 s[4:5], s[6:7]
	s_cbranch_execz .LBB429_622
; %bb.617:
	s_movk_i32 s3, 0x80
	v_cmp_ne_u16_sdwa s[8:9], v7, s3 src0_sel:BYTE_0 src1_sel:DWORD
	v_bfrev_b32_e32 v12, 1
	s_and_saveexec_b64 s[6:7], s[8:9]
	s_cbranch_execz .LBB429_621
; %bb.618:
	s_movk_i32 s3, 0x7f
	v_and_b32_e32 v19, 0x7f, v7
	v_cmp_ne_u32_e32 vcc, s3, v19
	v_mov_b32_e32 v12, 0x7f800001
	s_and_saveexec_b64 s[8:9], vcc
	s_cbranch_execz .LBB429_620
; %bb.619:
	v_and_b32_e32 v12, 7, v7
	v_ffbh_u32_e32 v12, v12
	v_min_u32_e32 v12, 32, v12
	v_subrev_u32_e32 v21, 28, v12
	v_cmp_gt_u32_e32 vcc, 8, v19
	v_lshrrev_b32_e32 v20, 3, v19
	v_sub_u32_e32 v12, 29, v12
	v_cndmask_b32_e32 v19, 0, v21, vcc
	v_cndmask_b32_e32 v12, v20, v12, vcc
	v_lshlrev_b64 v[20:21], v19, v[10:11]
	v_lshlrev_b32_e32 v11, 20, v20
	v_lshlrev_b32_e32 v19, 24, v10
	v_bfrev_b32_e32 v20, 60
	v_and_b32_e32 v11, 0x700000, v11
	v_and_b32_e32 v19, 0x80000000, v19
	v_lshl_add_u32 v12, v12, 23, v20
	v_or3_b32 v12, v19, v12, v11
.LBB429_620:
	s_or_b64 exec, exec, s[8:9]
.LBB429_621:
	s_or_b64 exec, exec, s[6:7]
	v_mov_b32_e32 v11, v12
.LBB429_622:
	s_or_b64 exec, exec, s[4:5]
	v_lshrrev_b16_e32 v12, 8, v10
	v_cmp_ne_u16_e32 vcc, 0, v12
	v_mov_b32_e32 v19, 0
	v_mov_b32_e32 v20, 0
	s_and_saveexec_b64 s[4:5], vcc
	s_cbranch_execz .LBB429_628
; %bb.623:
	s_movk_i32 s3, 0x80
	v_cmp_ne_u16_e32 vcc, s3, v12
	v_bfrev_b32_e32 v20, 1
	s_and_saveexec_b64 s[6:7], vcc
	s_cbranch_execz .LBB429_627
; %bb.624:
	s_movk_i32 s3, 0x7f
	v_and_b32_e32 v21, 0x7f, v12
	v_cmp_ne_u32_e32 vcc, s3, v21
	v_mov_b32_e32 v20, 0x7f800001
	s_and_saveexec_b64 s[8:9], vcc
	s_cbranch_execz .LBB429_626
; %bb.625:
	v_and_b32_e32 v20, 7, v12
	v_ffbh_u32_e32 v22, v20
	v_min_u32_e32 v26, 32, v22
	v_subrev_u32_e32 v22, 28, v26
	v_lshlrev_b64 v[22:23], v22, v[12:13]
	v_lshrrev_b32_e32 v24, 3, v21
	v_sub_u32_e32 v12, 29, v26
	v_and_b32_e32 v22, 7, v22
	v_cmp_gt_u32_e32 vcc, 8, v21
	v_cndmask_b32_e32 v12, v24, v12, vcc
	v_cndmask_b32_e32 v20, v20, v22, vcc
	v_lshlrev_b32_e32 v10, 16, v10
	v_bfrev_b32_e32 v21, 60
	v_lshlrev_b32_e32 v20, 20, v20
	v_and_b32_e32 v10, 0x80000000, v10
	v_lshl_add_u32 v12, v12, 23, v21
	v_or3_b32 v20, v10, v12, v20
.LBB429_626:
	s_or_b64 exec, exec, s[8:9]
.LBB429_627:
	s_or_b64 exec, exec, s[6:7]
.LBB429_628:
	s_or_b64 exec, exec, s[4:5]
	s_movk_i32 s3, 0xff
	v_and_b32_sdwa v12, v7, s3 dst_sel:DWORD dst_unused:UNUSED_PAD src0_sel:WORD_1 src1_sel:DWORD
	v_lshrrev_b32_e32 v10, 16, v7
	v_cmp_ne_u16_e32 vcc, 0, v12
	s_and_saveexec_b64 s[4:5], vcc
	s_cbranch_execz .LBB429_634
; %bb.629:
	s_movk_i32 s3, 0x80
	v_cmp_ne_u16_e32 vcc, s3, v12
	v_bfrev_b32_e32 v19, 1
	s_and_saveexec_b64 s[6:7], vcc
	s_cbranch_execz .LBB429_633
; %bb.630:
	v_bfe_u32 v12, v7, 16, 7
	s_movk_i32 s3, 0x7f
	v_cmp_ne_u32_e32 vcc, s3, v12
	v_mov_b32_e32 v19, 0x7f800001
	s_and_saveexec_b64 s[8:9], vcc
	s_cbranch_execz .LBB429_632
; %bb.631:
	v_and_b32_e32 v19, 7, v10
	v_ffbh_u32_e32 v22, v19
	v_min_u32_e32 v24, 32, v22
	v_subrev_u32_e32 v22, 28, v24
	v_lshlrev_b64 v[22:23], v22, v[10:11]
	v_and_b32_e32 v22, 7, v22
	v_cmp_gt_u32_e32 vcc, 8, v12
	v_lshrrev_b32_e32 v21, 3, v12
	v_sub_u32_e32 v10, 29, v24
	v_cndmask_b32_e32 v12, v19, v22, vcc
	v_mov_b32_e32 v19, 24
	v_cndmask_b32_e32 v10, v21, v10, vcc
	v_lshlrev_b32_sdwa v19, v19, v7 dst_sel:DWORD dst_unused:UNUSED_PAD src0_sel:DWORD src1_sel:WORD_1
	v_bfrev_b32_e32 v21, 60
	v_lshlrev_b32_e32 v12, 20, v12
	v_and_b32_e32 v19, 0x80000000, v19
	v_lshl_add_u32 v10, v10, 23, v21
	v_or3_b32 v19, v19, v10, v12
.LBB429_632:
	s_or_b64 exec, exec, s[8:9]
.LBB429_633:
	s_or_b64 exec, exec, s[6:7]
.LBB429_634:
	s_or_b64 exec, exec, s[4:5]
	s_mov_b32 s4, -1
	s_mov_b32 s5, 0xffffff
	v_cmp_lt_u64_e32 vcc, s[4:5], v[6:7]
	v_mov_b32_e32 v12, 0
	v_mov_b32_e32 v10, 0
	s_and_saveexec_b64 s[4:5], vcc
	s_cbranch_execz .LBB429_640
; %bb.635:
	v_lshrrev_b32_e32 v6, 24, v7
	s_movk_i32 s3, 0x80
	v_cmp_ne_u32_e32 vcc, s3, v6
	v_bfrev_b32_e32 v10, 1
	s_and_saveexec_b64 s[6:7], vcc
	s_cbranch_execz .LBB429_639
; %bb.636:
	v_bfe_u32 v7, v7, 24, 7
	s_movk_i32 s3, 0x7f
	v_cmp_ne_u32_e32 vcc, s3, v7
	v_mov_b32_e32 v10, 0x7f800001
	s_and_saveexec_b64 s[8:9], vcc
	s_cbranch_execz .LBB429_638
; %bb.637:
	v_and_b32_e32 v10, 7, v6
	v_ffbh_u32_e32 v22, v10
	v_min_u32_e32 v24, 32, v22
	v_subrev_u32_e32 v22, 28, v24
	v_lshlrev_b64 v[22:23], v22, v[6:7]
	v_lshrrev_b32_e32 v21, 3, v7
	v_sub_u32_e32 v23, 29, v24
	v_and_b32_e32 v22, 7, v22
	v_cmp_gt_u32_e32 vcc, 8, v7
	v_cndmask_b32_e32 v7, v21, v23, vcc
	v_cndmask_b32_e32 v10, v10, v22, vcc
	v_lshlrev_b32_e32 v6, 24, v6
	v_bfrev_b32_e32 v21, 60
	v_lshlrev_b32_e32 v10, 20, v10
	v_and_b32_e32 v6, 0x80000000, v6
	v_lshl_add_u32 v7, v7, 23, v21
	v_or3_b32 v10, v6, v7, v10
.LBB429_638:
	s_or_b64 exec, exec, s[8:9]
.LBB429_639:
	s_or_b64 exec, exec, s[6:7]
.LBB429_640:
	s_or_b64 exec, exec, s[4:5]
	v_cvt_pkrtz_f16_f32 v6, v16, v17
	v_cvt_pkrtz_f16_f32 v7, v13, v18
	;; [unrolled: 1-line block ×4, first 2 shown]
	v_mfma_f32_4x4x4f16 a[0:3], v[14:15], v[6:7], a[0:3] cbsz:4 abid:8
	v_cmp_ne_u16_sdwa s[6:7], v8, v12 src0_sel:BYTE_0 src1_sel:DWORD
	v_mfma_f32_4x4x4f16 a[0:3], v[14:15], v[16:17], a[0:3] cbsz:4 abid:9
	s_and_saveexec_b64 s[4:5], s[6:7]
	s_cbranch_execz .LBB429_646
; %bb.641:
	s_movk_i32 s3, 0x80
	v_cmp_ne_u16_sdwa s[8:9], v8, s3 src0_sel:BYTE_0 src1_sel:DWORD
	v_bfrev_b32_e32 v12, 1
	s_and_saveexec_b64 s[6:7], s[8:9]
	s_cbranch_execz .LBB429_645
; %bb.642:
	s_movk_i32 s3, 0x7f
	v_and_b32_e32 v6, 0x7f, v8
	v_cmp_ne_u32_e32 vcc, s3, v6
	v_mov_b32_e32 v12, 0x7f800001
	s_and_saveexec_b64 s[8:9], vcc
	s_cbranch_execz .LBB429_644
; %bb.643:
	v_and_b32_e32 v7, 7, v8
	v_ffbh_u32_e32 v7, v7
	v_min_u32_e32 v7, 32, v7
	v_subrev_u32_e32 v11, 28, v7
	v_cmp_gt_u32_e32 vcc, 8, v6
	v_lshrrev_b32_e32 v10, 3, v6
	v_sub_u32_e32 v7, 29, v7
	v_cndmask_b32_e32 v6, 0, v11, vcc
	v_cndmask_b32_e32 v10, v10, v7, vcc
	v_lshlrev_b64 v[6:7], v6, v[8:9]
	v_lshlrev_b32_e32 v6, 20, v6
	v_lshlrev_b32_e32 v7, 24, v8
	v_bfrev_b32_e32 v11, 60
	v_and_b32_e32 v6, 0x700000, v6
	v_and_b32_e32 v7, 0x80000000, v7
	v_lshl_add_u32 v10, v10, 23, v11
	v_or3_b32 v12, v7, v10, v6
.LBB429_644:
	s_or_b64 exec, exec, s[8:9]
.LBB429_645:
	s_or_b64 exec, exec, s[6:7]
.LBB429_646:
	s_or_b64 exec, exec, s[4:5]
	v_lshrrev_b16_e32 v6, 8, v8
	v_cmp_ne_u16_e32 vcc, 0, v6
	v_mov_b32_e32 v11, 0
	v_mov_b32_e32 v13, 0
	s_and_saveexec_b64 s[4:5], vcc
	s_cbranch_execz .LBB429_652
; %bb.647:
	s_movk_i32 s3, 0x80
	v_cmp_ne_u16_e32 vcc, s3, v6
	v_bfrev_b32_e32 v13, 1
	s_and_saveexec_b64 s[6:7], vcc
	s_cbranch_execz .LBB429_651
; %bb.648:
	s_movk_i32 s3, 0x7f
	v_and_b32_e32 v7, 0x7f, v6
	v_cmp_ne_u32_e32 vcc, s3, v7
	v_mov_b32_e32 v13, 0x7f800001
	s_and_saveexec_b64 s[8:9], vcc
	s_cbranch_execz .LBB429_650
; %bb.649:
	v_and_b32_e32 v10, 7, v6
	v_ffbh_u32_e32 v16, v10
	v_min_u32_e32 v18, 32, v16
	v_subrev_u32_e32 v16, 28, v18
	v_lshlrev_b64 v[16:17], v16, v[6:7]
	v_lshrrev_b32_e32 v13, 3, v7
	v_sub_u32_e32 v6, 29, v18
	v_and_b32_e32 v16, 7, v16
	v_cmp_gt_u32_e32 vcc, 8, v7
	v_cndmask_b32_e32 v6, v13, v6, vcc
	v_cndmask_b32_e32 v7, v10, v16, vcc
	v_lshlrev_b32_e32 v10, 16, v8
	v_bfrev_b32_e32 v13, 60
	v_lshlrev_b32_e32 v7, 20, v7
	v_and_b32_e32 v10, 0x80000000, v10
	v_lshl_add_u32 v6, v6, 23, v13
	v_or3_b32 v13, v10, v6, v7
.LBB429_650:
	s_or_b64 exec, exec, s[8:9]
.LBB429_651:
	s_or_b64 exec, exec, s[6:7]
.LBB429_652:
	s_or_b64 exec, exec, s[4:5]
	s_movk_i32 s3, 0xff
	v_and_b32_sdwa v7, v8, s3 dst_sel:DWORD dst_unused:UNUSED_PAD src0_sel:WORD_1 src1_sel:DWORD
	v_lshrrev_b32_e32 v6, 16, v8
	v_cmp_ne_u16_e32 vcc, 0, v7
	s_and_saveexec_b64 s[4:5], vcc
	s_cbranch_execz .LBB429_658
; %bb.653:
	s_movk_i32 s3, 0x80
	v_cmp_ne_u16_e32 vcc, s3, v7
	v_bfrev_b32_e32 v11, 1
	s_and_saveexec_b64 s[6:7], vcc
	s_cbranch_execz .LBB429_657
; %bb.654:
	v_bfe_u32 v7, v8, 16, 7
	s_movk_i32 s3, 0x7f
	v_cmp_ne_u32_e32 vcc, s3, v7
	v_mov_b32_e32 v11, 0x7f800001
	s_and_saveexec_b64 s[8:9], vcc
	s_cbranch_execz .LBB429_656
; %bb.655:
	v_and_b32_e32 v16, 7, v6
	v_ffbh_u32_e32 v10, v16
	v_min_u32_e32 v18, 32, v10
	v_subrev_u32_e32 v10, 28, v18
	v_lshlrev_b64 v[10:11], v10, v[6:7]
	v_and_b32_e32 v10, 7, v10
	v_cmp_gt_u32_e32 vcc, 8, v7
	v_lshrrev_b32_e32 v17, 3, v7
	v_sub_u32_e32 v6, 29, v18
	v_cndmask_b32_e32 v7, v16, v10, vcc
	v_mov_b32_e32 v10, 24
	v_cndmask_b32_e32 v6, v17, v6, vcc
	v_lshlrev_b32_sdwa v10, v10, v8 dst_sel:DWORD dst_unused:UNUSED_PAD src0_sel:DWORD src1_sel:WORD_1
	v_bfrev_b32_e32 v11, 60
	v_lshlrev_b32_e32 v7, 20, v7
	v_and_b32_e32 v10, 0x80000000, v10
	v_lshl_add_u32 v6, v6, 23, v11
	v_or3_b32 v11, v10, v6, v7
.LBB429_656:
	s_or_b64 exec, exec, s[8:9]
.LBB429_657:
	s_or_b64 exec, exec, s[6:7]
.LBB429_658:
	s_or_b64 exec, exec, s[4:5]
	s_mov_b32 s3, 0xffffff
	v_cmp_lt_u32_e32 vcc, s3, v8
	v_mov_b32_e32 v7, 0
	v_mov_b32_e32 v16, 0
	s_and_saveexec_b64 s[4:5], vcc
	s_cbranch_execz .LBB429_664
; %bb.659:
	v_lshrrev_b32_e32 v6, 24, v8
	s_movk_i32 s3, 0x80
	v_cmp_ne_u32_e32 vcc, s3, v6
	v_bfrev_b32_e32 v16, 1
	s_and_saveexec_b64 s[6:7], vcc
	s_cbranch_execz .LBB429_663
; %bb.660:
	v_bfe_u32 v10, v8, 24, 7
	s_movk_i32 s3, 0x7f
	v_cmp_ne_u32_e32 vcc, s3, v10
	v_mov_b32_e32 v16, 0x7f800001
	s_and_saveexec_b64 s[8:9], vcc
	s_cbranch_execz .LBB429_662
; %bb.661:
	v_and_b32_e32 v18, 7, v6
	v_ffbh_u32_e32 v16, v18
	v_min_u32_e32 v20, 32, v16
	v_subrev_u32_e32 v16, 28, v20
	v_lshlrev_b64 v[16:17], v16, v[6:7]
	v_lshrrev_b32_e32 v19, 3, v10
	v_sub_u32_e32 v17, 29, v20
	v_and_b32_e32 v16, 7, v16
	v_cmp_gt_u32_e32 vcc, 8, v10
	v_cndmask_b32_e32 v10, v19, v17, vcc
	v_cndmask_b32_e32 v16, v18, v16, vcc
	v_lshlrev_b32_e32 v6, 24, v6
	v_bfrev_b32_e32 v17, 60
	v_lshlrev_b32_e32 v16, 20, v16
	v_and_b32_e32 v6, 0x80000000, v6
	v_lshl_add_u32 v10, v10, 23, v17
	v_or3_b32 v16, v6, v10, v16
.LBB429_662:
	s_or_b64 exec, exec, s[8:9]
.LBB429_663:
	s_or_b64 exec, exec, s[6:7]
.LBB429_664:
	s_or_b64 exec, exec, s[4:5]
	v_mov_b32_e32 v6, v9
	v_cmp_ne_u16_sdwa s[6:7], v9, v7 src0_sel:BYTE_0 src1_sel:DWORD
	s_and_saveexec_b64 s[4:5], s[6:7]
	s_cbranch_execz .LBB429_670
; %bb.665:
	s_movk_i32 s3, 0x80
	v_cmp_ne_u16_sdwa s[8:9], v9, s3 src0_sel:BYTE_0 src1_sel:DWORD
	v_bfrev_b32_e32 v10, 1
	s_and_saveexec_b64 s[6:7], s[8:9]
	s_cbranch_execz .LBB429_669
; %bb.666:
	s_movk_i32 s3, 0x7f
	v_and_b32_e32 v17, 0x7f, v9
	v_cmp_ne_u32_e32 vcc, s3, v17
	v_mov_b32_e32 v10, 0x7f800001
	s_and_saveexec_b64 s[8:9], vcc
	s_cbranch_execz .LBB429_668
; %bb.667:
	v_and_b32_e32 v10, 7, v9
	v_ffbh_u32_e32 v10, v10
	v_min_u32_e32 v10, 32, v10
	v_subrev_u32_e32 v19, 28, v10
	v_cmp_gt_u32_e32 vcc, 8, v17
	v_lshrrev_b32_e32 v18, 3, v17
	v_sub_u32_e32 v10, 29, v10
	v_cndmask_b32_e32 v17, 0, v19, vcc
	v_cndmask_b32_e32 v10, v18, v10, vcc
	v_lshlrev_b64 v[18:19], v17, v[6:7]
	v_lshlrev_b32_e32 v7, 20, v18
	v_lshlrev_b32_e32 v17, 24, v6
	v_bfrev_b32_e32 v18, 60
	v_and_b32_e32 v7, 0x700000, v7
	v_and_b32_e32 v17, 0x80000000, v17
	v_lshl_add_u32 v10, v10, 23, v18
	v_or3_b32 v10, v17, v10, v7
.LBB429_668:
	s_or_b64 exec, exec, s[8:9]
.LBB429_669:
	s_or_b64 exec, exec, s[6:7]
	v_mov_b32_e32 v7, v10
.LBB429_670:
	s_or_b64 exec, exec, s[4:5]
	v_lshrrev_b16_e32 v10, 8, v6
	v_cmp_ne_u16_e32 vcc, 0, v10
	v_mov_b32_e32 v17, 0
	v_mov_b32_e32 v18, 0
	s_and_saveexec_b64 s[4:5], vcc
	s_cbranch_execz .LBB429_676
; %bb.671:
	s_movk_i32 s3, 0x80
	v_cmp_ne_u16_e32 vcc, s3, v10
	v_bfrev_b32_e32 v18, 1
	s_and_saveexec_b64 s[6:7], vcc
	s_cbranch_execz .LBB429_675
; %bb.672:
	s_movk_i32 s3, 0x7f
	v_and_b32_e32 v19, 0x7f, v10
	v_cmp_ne_u32_e32 vcc, s3, v19
	v_mov_b32_e32 v18, 0x7f800001
	s_and_saveexec_b64 s[8:9], vcc
	s_cbranch_execz .LBB429_674
; %bb.673:
	v_and_b32_e32 v18, 7, v10
	v_ffbh_u32_e32 v20, v18
	v_min_u32_e32 v23, 32, v20
	v_subrev_u32_e32 v20, 28, v23
	v_lshlrev_b64 v[20:21], v20, v[10:11]
	v_lshrrev_b32_e32 v22, 3, v19
	v_sub_u32_e32 v10, 29, v23
	v_and_b32_e32 v20, 7, v20
	v_cmp_gt_u32_e32 vcc, 8, v19
	v_cndmask_b32_e32 v10, v22, v10, vcc
	v_cndmask_b32_e32 v18, v18, v20, vcc
	v_lshlrev_b32_e32 v6, 16, v6
	v_bfrev_b32_e32 v19, 60
	v_lshlrev_b32_e32 v18, 20, v18
	v_and_b32_e32 v6, 0x80000000, v6
	v_lshl_add_u32 v10, v10, 23, v19
	v_or3_b32 v18, v6, v10, v18
.LBB429_674:
	s_or_b64 exec, exec, s[8:9]
.LBB429_675:
	s_or_b64 exec, exec, s[6:7]
.LBB429_676:
	s_or_b64 exec, exec, s[4:5]
	s_movk_i32 s3, 0xff
	v_and_b32_sdwa v10, v9, s3 dst_sel:DWORD dst_unused:UNUSED_PAD src0_sel:WORD_1 src1_sel:DWORD
	v_lshrrev_b32_e32 v6, 16, v9
	v_cmp_ne_u16_e32 vcc, 0, v10
	s_and_saveexec_b64 s[4:5], vcc
	s_cbranch_execz .LBB429_682
; %bb.677:
	s_movk_i32 s3, 0x80
	v_cmp_ne_u16_e32 vcc, s3, v10
	v_bfrev_b32_e32 v17, 1
	s_and_saveexec_b64 s[6:7], vcc
	s_cbranch_execz .LBB429_681
; %bb.678:
	v_bfe_u32 v10, v9, 16, 7
	s_movk_i32 s3, 0x7f
	v_cmp_ne_u32_e32 vcc, s3, v10
	v_mov_b32_e32 v17, 0x7f800001
	s_and_saveexec_b64 s[8:9], vcc
	s_cbranch_execz .LBB429_680
; %bb.679:
	v_and_b32_e32 v17, 7, v6
	v_ffbh_u32_e32 v20, v17
	v_min_u32_e32 v22, 32, v20
	v_subrev_u32_e32 v20, 28, v22
	v_lshlrev_b64 v[20:21], v20, v[6:7]
	v_and_b32_e32 v20, 7, v20
	v_cmp_gt_u32_e32 vcc, 8, v10
	v_lshrrev_b32_e32 v19, 3, v10
	v_sub_u32_e32 v6, 29, v22
	v_cndmask_b32_e32 v10, v17, v20, vcc
	v_mov_b32_e32 v17, 24
	v_cndmask_b32_e32 v6, v19, v6, vcc
	v_lshlrev_b32_sdwa v17, v17, v9 dst_sel:DWORD dst_unused:UNUSED_PAD src0_sel:DWORD src1_sel:WORD_1
	v_bfrev_b32_e32 v19, 60
	v_lshlrev_b32_e32 v10, 20, v10
	v_and_b32_e32 v17, 0x80000000, v17
	v_lshl_add_u32 v6, v6, 23, v19
	v_or3_b32 v17, v17, v6, v10
.LBB429_680:
	s_or_b64 exec, exec, s[8:9]
.LBB429_681:
	s_or_b64 exec, exec, s[6:7]
.LBB429_682:
	s_or_b64 exec, exec, s[4:5]
	s_mov_b32 s4, -1
	s_mov_b32 s5, 0xffffff
	v_cmp_lt_u64_e32 vcc, s[4:5], v[8:9]
	v_mov_b32_e32 v10, 0
	v_mov_b32_e32 v8, 0
	s_and_saveexec_b64 s[4:5], vcc
	s_cbranch_execz .LBB429_688
; %bb.683:
	v_lshrrev_b32_e32 v6, 24, v9
	s_movk_i32 s3, 0x80
	v_cmp_ne_u32_e32 vcc, s3, v6
	v_bfrev_b32_e32 v8, 1
	s_and_saveexec_b64 s[6:7], vcc
	s_cbranch_execz .LBB429_687
; %bb.684:
	v_bfe_u32 v9, v9, 24, 7
	s_movk_i32 s3, 0x7f
	v_cmp_ne_u32_e32 vcc, s3, v9
	v_mov_b32_e32 v8, 0x7f800001
	s_and_saveexec_b64 s[8:9], vcc
	s_cbranch_execz .LBB429_686
; %bb.685:
	v_and_b32_e32 v8, 7, v6
	v_ffbh_u32_e32 v20, v8
	v_min_u32_e32 v22, 32, v20
	v_subrev_u32_e32 v20, 28, v22
	v_lshlrev_b64 v[20:21], v20, v[6:7]
	v_lshrrev_b32_e32 v19, 3, v9
	v_sub_u32_e32 v21, 29, v22
	v_and_b32_e32 v20, 7, v20
	v_cmp_gt_u32_e32 vcc, 8, v9
	v_cndmask_b32_e32 v9, v19, v21, vcc
	v_cndmask_b32_e32 v8, v8, v20, vcc
	v_lshlrev_b32_e32 v6, 24, v6
	v_bfrev_b32_e32 v19, 60
	v_lshlrev_b32_e32 v8, 20, v8
	v_and_b32_e32 v6, 0x80000000, v6
	v_lshl_add_u32 v9, v9, 23, v19
	v_or3_b32 v8, v6, v9, v8
.LBB429_686:
	s_or_b64 exec, exec, s[8:9]
.LBB429_687:
	s_or_b64 exec, exec, s[6:7]
.LBB429_688:
	s_or_b64 exec, exec, s[4:5]
	v_cvt_pkrtz_f16_f32 v12, v12, v13
	v_cvt_pkrtz_f16_f32 v13, v11, v16
	;; [unrolled: 1-line block ×4, first 2 shown]
	v_mfma_f32_4x4x4f16 a[0:3], v[14:15], v[12:13], a[0:3] cbsz:4 abid:10
	v_cmp_ne_u16_sdwa s[6:7], v2, v10 src0_sel:BYTE_0 src1_sel:DWORD
	v_mfma_f32_4x4x4f16 a[0:3], v[14:15], v[6:7], a[0:3] cbsz:4 abid:11
	s_and_saveexec_b64 s[4:5], s[6:7]
	s_cbranch_execz .LBB429_694
; %bb.689:
	s_movk_i32 s3, 0x80
	v_cmp_ne_u16_sdwa s[8:9], v2, s3 src0_sel:BYTE_0 src1_sel:DWORD
	v_bfrev_b32_e32 v10, 1
	s_and_saveexec_b64 s[6:7], s[8:9]
	s_cbranch_execz .LBB429_693
; %bb.690:
	s_movk_i32 s3, 0x7f
	v_and_b32_e32 v6, 0x7f, v2
	v_cmp_ne_u32_e32 vcc, s3, v6
	v_mov_b32_e32 v10, 0x7f800001
	s_and_saveexec_b64 s[8:9], vcc
	s_cbranch_execz .LBB429_692
; %bb.691:
	v_and_b32_e32 v7, 7, v2
	v_ffbh_u32_e32 v7, v7
	v_min_u32_e32 v7, 32, v7
	v_subrev_u32_e32 v9, 28, v7
	v_cmp_gt_u32_e32 vcc, 8, v6
	v_lshrrev_b32_e32 v8, 3, v6
	v_sub_u32_e32 v7, 29, v7
	v_cndmask_b32_e32 v6, 0, v9, vcc
	v_cndmask_b32_e32 v8, v8, v7, vcc
	v_lshlrev_b64 v[6:7], v6, v[2:3]
	v_lshlrev_b32_e32 v6, 20, v6
	v_lshlrev_b32_e32 v7, 24, v2
	v_bfrev_b32_e32 v9, 60
	v_and_b32_e32 v6, 0x700000, v6
	v_and_b32_e32 v7, 0x80000000, v7
	v_lshl_add_u32 v8, v8, 23, v9
	v_or3_b32 v10, v7, v8, v6
.LBB429_692:
	s_or_b64 exec, exec, s[8:9]
.LBB429_693:
	s_or_b64 exec, exec, s[6:7]
.LBB429_694:
	s_or_b64 exec, exec, s[4:5]
	v_lshrrev_b16_e32 v6, 8, v2
	v_cmp_ne_u16_e32 vcc, 0, v6
	v_mov_b32_e32 v9, 0
	v_mov_b32_e32 v11, 0
	s_and_saveexec_b64 s[4:5], vcc
	s_cbranch_execz .LBB429_700
; %bb.695:
	s_movk_i32 s3, 0x80
	v_cmp_ne_u16_e32 vcc, s3, v6
	v_bfrev_b32_e32 v11, 1
	s_and_saveexec_b64 s[6:7], vcc
	s_cbranch_execz .LBB429_699
; %bb.696:
	s_movk_i32 s3, 0x7f
	v_and_b32_e32 v7, 0x7f, v6
	v_cmp_ne_u32_e32 vcc, s3, v7
	v_mov_b32_e32 v11, 0x7f800001
	s_and_saveexec_b64 s[8:9], vcc
	s_cbranch_execz .LBB429_698
; %bb.697:
	v_and_b32_e32 v8, 7, v6
	v_ffbh_u32_e32 v12, v8
	v_min_u32_e32 v16, 32, v12
	v_subrev_u32_e32 v12, 28, v16
	v_lshlrev_b64 v[12:13], v12, v[6:7]
	v_lshrrev_b32_e32 v11, 3, v7
	v_sub_u32_e32 v6, 29, v16
	v_and_b32_e32 v12, 7, v12
	v_cmp_gt_u32_e32 vcc, 8, v7
	v_cndmask_b32_e32 v6, v11, v6, vcc
	v_cndmask_b32_e32 v7, v8, v12, vcc
	v_lshlrev_b32_e32 v8, 16, v2
	v_bfrev_b32_e32 v11, 60
	v_lshlrev_b32_e32 v7, 20, v7
	v_and_b32_e32 v8, 0x80000000, v8
	v_lshl_add_u32 v6, v6, 23, v11
	v_or3_b32 v11, v8, v6, v7
.LBB429_698:
	s_or_b64 exec, exec, s[8:9]
.LBB429_699:
	s_or_b64 exec, exec, s[6:7]
.LBB429_700:
	s_or_b64 exec, exec, s[4:5]
	s_movk_i32 s3, 0xff
	v_and_b32_sdwa v7, v2, s3 dst_sel:DWORD dst_unused:UNUSED_PAD src0_sel:WORD_1 src1_sel:DWORD
	v_lshrrev_b32_e32 v6, 16, v2
	v_cmp_ne_u16_e32 vcc, 0, v7
	s_and_saveexec_b64 s[4:5], vcc
	s_cbranch_execz .LBB429_706
; %bb.701:
	s_movk_i32 s3, 0x80
	v_cmp_ne_u16_e32 vcc, s3, v7
	v_bfrev_b32_e32 v9, 1
	s_and_saveexec_b64 s[6:7], vcc
	s_cbranch_execz .LBB429_705
; %bb.702:
	v_bfe_u32 v7, v2, 16, 7
	s_movk_i32 s3, 0x7f
	v_cmp_ne_u32_e32 vcc, s3, v7
	v_mov_b32_e32 v9, 0x7f800001
	s_and_saveexec_b64 s[8:9], vcc
	s_cbranch_execz .LBB429_704
; %bb.703:
	v_and_b32_e32 v12, 7, v6
	v_ffbh_u32_e32 v8, v12
	v_min_u32_e32 v16, 32, v8
	v_subrev_u32_e32 v8, 28, v16
	v_lshlrev_b64 v[8:9], v8, v[6:7]
	v_and_b32_e32 v8, 7, v8
	v_cmp_gt_u32_e32 vcc, 8, v7
	v_lshrrev_b32_e32 v13, 3, v7
	v_sub_u32_e32 v6, 29, v16
	v_cndmask_b32_e32 v7, v12, v8, vcc
	v_mov_b32_e32 v8, 24
	v_cndmask_b32_e32 v6, v13, v6, vcc
	v_lshlrev_b32_sdwa v8, v8, v2 dst_sel:DWORD dst_unused:UNUSED_PAD src0_sel:DWORD src1_sel:WORD_1
	v_bfrev_b32_e32 v9, 60
	v_lshlrev_b32_e32 v7, 20, v7
	v_and_b32_e32 v8, 0x80000000, v8
	v_lshl_add_u32 v6, v6, 23, v9
	v_or3_b32 v9, v8, v6, v7
.LBB429_704:
	s_or_b64 exec, exec, s[8:9]
.LBB429_705:
	s_or_b64 exec, exec, s[6:7]
.LBB429_706:
	s_or_b64 exec, exec, s[4:5]
	s_mov_b32 s3, 0xffffff
	v_cmp_lt_u32_e32 vcc, s3, v2
	v_mov_b32_e32 v7, 0
	v_mov_b32_e32 v12, 0
	s_and_saveexec_b64 s[4:5], vcc
	s_cbranch_execz .LBB429_712
; %bb.707:
	v_lshrrev_b32_e32 v6, 24, v2
	s_movk_i32 s3, 0x80
	v_cmp_ne_u32_e32 vcc, s3, v6
	v_bfrev_b32_e32 v12, 1
	s_and_saveexec_b64 s[6:7], vcc
	s_cbranch_execz .LBB429_711
; %bb.708:
	v_bfe_u32 v8, v2, 24, 7
	s_movk_i32 s3, 0x7f
	v_cmp_ne_u32_e32 vcc, s3, v8
	v_mov_b32_e32 v12, 0x7f800001
	s_and_saveexec_b64 s[8:9], vcc
	s_cbranch_execz .LBB429_710
; %bb.709:
	v_and_b32_e32 v16, 7, v6
	v_ffbh_u32_e32 v12, v16
	v_min_u32_e32 v18, 32, v12
	v_subrev_u32_e32 v12, 28, v18
	v_lshlrev_b64 v[12:13], v12, v[6:7]
	v_lshrrev_b32_e32 v17, 3, v8
	v_sub_u32_e32 v13, 29, v18
	v_and_b32_e32 v12, 7, v12
	v_cmp_gt_u32_e32 vcc, 8, v8
	v_cndmask_b32_e32 v8, v17, v13, vcc
	v_cndmask_b32_e32 v12, v16, v12, vcc
	v_lshlrev_b32_e32 v6, 24, v6
	v_bfrev_b32_e32 v13, 60
	v_lshlrev_b32_e32 v12, 20, v12
	v_and_b32_e32 v6, 0x80000000, v6
	v_lshl_add_u32 v8, v8, 23, v13
	v_or3_b32 v12, v6, v8, v12
.LBB429_710:
	s_or_b64 exec, exec, s[8:9]
.LBB429_711:
	s_or_b64 exec, exec, s[6:7]
.LBB429_712:
	s_or_b64 exec, exec, s[4:5]
	v_mov_b32_e32 v6, v3
	v_cmp_ne_u16_sdwa s[6:7], v3, v7 src0_sel:BYTE_0 src1_sel:DWORD
	s_and_saveexec_b64 s[4:5], s[6:7]
	s_cbranch_execz .LBB429_718
; %bb.713:
	s_movk_i32 s3, 0x80
	v_cmp_ne_u16_sdwa s[8:9], v3, s3 src0_sel:BYTE_0 src1_sel:DWORD
	v_bfrev_b32_e32 v8, 1
	s_and_saveexec_b64 s[6:7], s[8:9]
	s_cbranch_execz .LBB429_717
; %bb.714:
	s_movk_i32 s3, 0x7f
	v_and_b32_e32 v13, 0x7f, v3
	v_cmp_ne_u32_e32 vcc, s3, v13
	v_mov_b32_e32 v8, 0x7f800001
	s_and_saveexec_b64 s[8:9], vcc
	s_cbranch_execz .LBB429_716
; %bb.715:
	v_and_b32_e32 v8, 7, v3
	v_ffbh_u32_e32 v8, v8
	v_min_u32_e32 v8, 32, v8
	v_subrev_u32_e32 v17, 28, v8
	v_cmp_gt_u32_e32 vcc, 8, v13
	v_lshrrev_b32_e32 v16, 3, v13
	v_sub_u32_e32 v8, 29, v8
	v_cndmask_b32_e32 v13, 0, v17, vcc
	v_cndmask_b32_e32 v8, v16, v8, vcc
	v_lshlrev_b64 v[16:17], v13, v[6:7]
	v_lshlrev_b32_e32 v7, 20, v16
	v_lshlrev_b32_e32 v13, 24, v6
	v_bfrev_b32_e32 v16, 60
	v_and_b32_e32 v7, 0x700000, v7
	v_and_b32_e32 v13, 0x80000000, v13
	v_lshl_add_u32 v8, v8, 23, v16
	v_or3_b32 v8, v13, v8, v7
.LBB429_716:
	s_or_b64 exec, exec, s[8:9]
.LBB429_717:
	s_or_b64 exec, exec, s[6:7]
	v_mov_b32_e32 v7, v8
.LBB429_718:
	s_or_b64 exec, exec, s[4:5]
	v_lshrrev_b16_e32 v8, 8, v6
	v_cmp_ne_u16_e32 vcc, 0, v8
	v_mov_b32_e32 v13, 0
	v_mov_b32_e32 v16, 0
	s_and_saveexec_b64 s[4:5], vcc
	s_cbranch_execz .LBB429_724
; %bb.719:
	s_movk_i32 s3, 0x80
	v_cmp_ne_u16_e32 vcc, s3, v8
	v_bfrev_b32_e32 v16, 1
	s_and_saveexec_b64 s[6:7], vcc
	s_cbranch_execz .LBB429_723
; %bb.720:
	s_movk_i32 s3, 0x7f
	v_and_b32_e32 v17, 0x7f, v8
	v_cmp_ne_u32_e32 vcc, s3, v17
	v_mov_b32_e32 v16, 0x7f800001
	s_and_saveexec_b64 s[8:9], vcc
	s_cbranch_execz .LBB429_722
; %bb.721:
	v_and_b32_e32 v16, 7, v8
	v_ffbh_u32_e32 v18, v16
	v_min_u32_e32 v21, 32, v18
	v_subrev_u32_e32 v18, 28, v21
	v_lshlrev_b64 v[18:19], v18, v[8:9]
	v_lshrrev_b32_e32 v20, 3, v17
	v_sub_u32_e32 v8, 29, v21
	v_and_b32_e32 v18, 7, v18
	v_cmp_gt_u32_e32 vcc, 8, v17
	v_cndmask_b32_e32 v8, v20, v8, vcc
	v_cndmask_b32_e32 v16, v16, v18, vcc
	v_lshlrev_b32_e32 v6, 16, v6
	v_bfrev_b32_e32 v17, 60
	v_lshlrev_b32_e32 v16, 20, v16
	v_and_b32_e32 v6, 0x80000000, v6
	v_lshl_add_u32 v8, v8, 23, v17
	v_or3_b32 v16, v6, v8, v16
.LBB429_722:
	s_or_b64 exec, exec, s[8:9]
.LBB429_723:
	s_or_b64 exec, exec, s[6:7]
.LBB429_724:
	s_or_b64 exec, exec, s[4:5]
	s_movk_i32 s3, 0xff
	v_and_b32_sdwa v8, v3, s3 dst_sel:DWORD dst_unused:UNUSED_PAD src0_sel:WORD_1 src1_sel:DWORD
	v_lshrrev_b32_e32 v6, 16, v3
	v_cmp_ne_u16_e32 vcc, 0, v8
	s_and_saveexec_b64 s[4:5], vcc
	s_cbranch_execz .LBB429_730
; %bb.725:
	s_movk_i32 s3, 0x80
	v_cmp_ne_u16_e32 vcc, s3, v8
	v_bfrev_b32_e32 v13, 1
	s_and_saveexec_b64 s[6:7], vcc
	s_cbranch_execz .LBB429_729
; %bb.726:
	v_bfe_u32 v8, v3, 16, 7
	s_movk_i32 s3, 0x7f
	v_cmp_ne_u32_e32 vcc, s3, v8
	v_mov_b32_e32 v13, 0x7f800001
	s_and_saveexec_b64 s[8:9], vcc
	s_cbranch_execz .LBB429_728
; %bb.727:
	v_and_b32_e32 v13, 7, v6
	v_ffbh_u32_e32 v18, v13
	v_min_u32_e32 v20, 32, v18
	v_subrev_u32_e32 v18, 28, v20
	v_lshlrev_b64 v[18:19], v18, v[6:7]
	v_and_b32_e32 v18, 7, v18
	v_cmp_gt_u32_e32 vcc, 8, v8
	v_lshrrev_b32_e32 v17, 3, v8
	v_sub_u32_e32 v6, 29, v20
	v_cndmask_b32_e32 v8, v13, v18, vcc
	v_mov_b32_e32 v13, 24
	v_cndmask_b32_e32 v6, v17, v6, vcc
	v_lshlrev_b32_sdwa v13, v13, v3 dst_sel:DWORD dst_unused:UNUSED_PAD src0_sel:DWORD src1_sel:WORD_1
	v_bfrev_b32_e32 v17, 60
	v_lshlrev_b32_e32 v8, 20, v8
	v_and_b32_e32 v13, 0x80000000, v13
	v_lshl_add_u32 v6, v6, 23, v17
	v_or3_b32 v13, v13, v6, v8
.LBB429_728:
	s_or_b64 exec, exec, s[8:9]
.LBB429_729:
	s_or_b64 exec, exec, s[6:7]
.LBB429_730:
	s_or_b64 exec, exec, s[4:5]
	s_mov_b32 s4, -1
	s_mov_b32 s5, 0xffffff
	v_cmp_lt_u64_e32 vcc, s[4:5], v[2:3]
	v_mov_b32_e32 v8, 0
	v_mov_b32_e32 v6, 0
	s_and_saveexec_b64 s[4:5], vcc
	s_cbranch_execz .LBB429_736
; %bb.731:
	v_lshrrev_b32_e32 v2, 24, v3
	s_movk_i32 s3, 0x80
	v_cmp_ne_u32_e32 vcc, s3, v2
	v_bfrev_b32_e32 v6, 1
	s_and_saveexec_b64 s[6:7], vcc
	s_cbranch_execz .LBB429_735
; %bb.732:
	v_bfe_u32 v3, v3, 24, 7
	s_movk_i32 s3, 0x7f
	v_cmp_ne_u32_e32 vcc, s3, v3
	v_mov_b32_e32 v6, 0x7f800001
	s_and_saveexec_b64 s[8:9], vcc
	s_cbranch_execz .LBB429_734
; %bb.733:
	v_and_b32_e32 v6, 7, v2
	v_ffbh_u32_e32 v18, v6
	v_min_u32_e32 v20, 32, v18
	v_subrev_u32_e32 v18, 28, v20
	v_lshlrev_b64 v[18:19], v18, v[2:3]
	v_lshrrev_b32_e32 v17, 3, v3
	v_sub_u32_e32 v19, 29, v20
	v_and_b32_e32 v18, 7, v18
	v_cmp_gt_u32_e32 vcc, 8, v3
	v_cndmask_b32_e32 v3, v17, v19, vcc
	v_cndmask_b32_e32 v6, v6, v18, vcc
	v_lshlrev_b32_e32 v2, 24, v2
	v_bfrev_b32_e32 v17, 60
	v_lshlrev_b32_e32 v6, 20, v6
	v_and_b32_e32 v2, 0x80000000, v2
	v_lshl_add_u32 v3, v3, 23, v17
	v_or3_b32 v6, v2, v3, v6
.LBB429_734:
	s_or_b64 exec, exec, s[8:9]
.LBB429_735:
	s_or_b64 exec, exec, s[6:7]
.LBB429_736:
	s_or_b64 exec, exec, s[4:5]
	v_cvt_pkrtz_f16_f32 v2, v10, v11
	v_cvt_pkrtz_f16_f32 v3, v9, v12
	;; [unrolled: 1-line block ×4, first 2 shown]
	v_mfma_f32_4x4x4f16 a[0:3], v[14:15], v[2:3], a[0:3] cbsz:4 abid:12
	v_cmp_ne_u16_sdwa s[6:7], v4, v8 src0_sel:BYTE_0 src1_sel:DWORD
	v_mfma_f32_4x4x4f16 a[0:3], v[14:15], v[10:11], a[0:3] cbsz:4 abid:13
	s_and_saveexec_b64 s[4:5], s[6:7]
	s_cbranch_execz .LBB429_742
; %bb.737:
	s_movk_i32 s3, 0x80
	v_cmp_ne_u16_sdwa s[8:9], v4, s3 src0_sel:BYTE_0 src1_sel:DWORD
	v_bfrev_b32_e32 v8, 1
	s_and_saveexec_b64 s[6:7], s[8:9]
	s_cbranch_execz .LBB429_741
; %bb.738:
	s_movk_i32 s3, 0x7f
	v_and_b32_e32 v2, 0x7f, v4
	v_cmp_ne_u32_e32 vcc, s3, v2
	v_mov_b32_e32 v8, 0x7f800001
	s_and_saveexec_b64 s[8:9], vcc
	s_cbranch_execz .LBB429_740
; %bb.739:
	v_and_b32_e32 v3, 7, v4
	v_ffbh_u32_e32 v3, v3
	v_min_u32_e32 v3, 32, v3
	v_subrev_u32_e32 v7, 28, v3
	v_cmp_gt_u32_e32 vcc, 8, v2
	v_lshrrev_b32_e32 v6, 3, v2
	v_sub_u32_e32 v3, 29, v3
	v_cndmask_b32_e32 v2, 0, v7, vcc
	v_cndmask_b32_e32 v6, v6, v3, vcc
	v_lshlrev_b64 v[2:3], v2, v[4:5]
	v_lshlrev_b32_e32 v2, 20, v2
	v_lshlrev_b32_e32 v3, 24, v4
	v_bfrev_b32_e32 v7, 60
	v_and_b32_e32 v2, 0x700000, v2
	v_and_b32_e32 v3, 0x80000000, v3
	v_lshl_add_u32 v6, v6, 23, v7
	v_or3_b32 v8, v3, v6, v2
.LBB429_740:
	s_or_b64 exec, exec, s[8:9]
.LBB429_741:
	s_or_b64 exec, exec, s[6:7]
.LBB429_742:
	s_or_b64 exec, exec, s[4:5]
	v_lshrrev_b16_e32 v2, 8, v4
	v_cmp_ne_u16_e32 vcc, 0, v2
	v_mov_b32_e32 v7, 0
	v_mov_b32_e32 v9, 0
	s_and_saveexec_b64 s[4:5], vcc
	s_cbranch_execz .LBB429_748
; %bb.743:
	s_movk_i32 s3, 0x80
	v_cmp_ne_u16_e32 vcc, s3, v2
	v_bfrev_b32_e32 v9, 1
	s_and_saveexec_b64 s[6:7], vcc
	s_cbranch_execz .LBB429_747
; %bb.744:
	s_movk_i32 s3, 0x7f
	v_and_b32_e32 v3, 0x7f, v2
	v_cmp_ne_u32_e32 vcc, s3, v3
	v_mov_b32_e32 v9, 0x7f800001
	s_and_saveexec_b64 s[8:9], vcc
	s_cbranch_execz .LBB429_746
; %bb.745:
	v_and_b32_e32 v6, 7, v2
	v_ffbh_u32_e32 v10, v6
	v_min_u32_e32 v12, 32, v10
	v_subrev_u32_e32 v10, 28, v12
	v_lshlrev_b64 v[10:11], v10, v[2:3]
	v_lshrrev_b32_e32 v9, 3, v3
	v_sub_u32_e32 v2, 29, v12
	v_and_b32_e32 v10, 7, v10
	v_cmp_gt_u32_e32 vcc, 8, v3
	v_cndmask_b32_e32 v2, v9, v2, vcc
	v_cndmask_b32_e32 v3, v6, v10, vcc
	v_lshlrev_b32_e32 v6, 16, v4
	v_bfrev_b32_e32 v9, 60
	v_lshlrev_b32_e32 v3, 20, v3
	v_and_b32_e32 v6, 0x80000000, v6
	v_lshl_add_u32 v2, v2, 23, v9
	v_or3_b32 v9, v6, v2, v3
.LBB429_746:
	s_or_b64 exec, exec, s[8:9]
.LBB429_747:
	s_or_b64 exec, exec, s[6:7]
.LBB429_748:
	s_or_b64 exec, exec, s[4:5]
	s_movk_i32 s3, 0xff
	v_and_b32_sdwa v3, v4, s3 dst_sel:DWORD dst_unused:UNUSED_PAD src0_sel:WORD_1 src1_sel:DWORD
	v_lshrrev_b32_e32 v2, 16, v4
	v_cmp_ne_u16_e32 vcc, 0, v3
	s_and_saveexec_b64 s[4:5], vcc
	s_cbranch_execz .LBB429_754
; %bb.749:
	s_movk_i32 s3, 0x80
	v_cmp_ne_u16_e32 vcc, s3, v3
	v_bfrev_b32_e32 v7, 1
	s_and_saveexec_b64 s[6:7], vcc
	s_cbranch_execz .LBB429_753
; %bb.750:
	v_bfe_u32 v3, v4, 16, 7
	s_movk_i32 s3, 0x7f
	v_cmp_ne_u32_e32 vcc, s3, v3
	v_mov_b32_e32 v7, 0x7f800001
	s_and_saveexec_b64 s[8:9], vcc
	s_cbranch_execz .LBB429_752
; %bb.751:
	v_and_b32_e32 v10, 7, v2
	v_ffbh_u32_e32 v6, v10
	v_min_u32_e32 v12, 32, v6
	v_subrev_u32_e32 v6, 28, v12
	v_lshlrev_b64 v[6:7], v6, v[2:3]
	v_and_b32_e32 v6, 7, v6
	v_cmp_gt_u32_e32 vcc, 8, v3
	v_lshrrev_b32_e32 v11, 3, v3
	v_sub_u32_e32 v2, 29, v12
	v_cndmask_b32_e32 v3, v10, v6, vcc
	v_mov_b32_e32 v6, 24
	v_cndmask_b32_e32 v2, v11, v2, vcc
	v_lshlrev_b32_sdwa v6, v6, v4 dst_sel:DWORD dst_unused:UNUSED_PAD src0_sel:DWORD src1_sel:WORD_1
	v_bfrev_b32_e32 v7, 60
	v_lshlrev_b32_e32 v3, 20, v3
	v_and_b32_e32 v6, 0x80000000, v6
	v_lshl_add_u32 v2, v2, 23, v7
	v_or3_b32 v7, v6, v2, v3
.LBB429_752:
	s_or_b64 exec, exec, s[8:9]
.LBB429_753:
	s_or_b64 exec, exec, s[6:7]
.LBB429_754:
	s_or_b64 exec, exec, s[4:5]
	s_mov_b32 s3, 0xffffff
	v_cmp_lt_u32_e32 vcc, s3, v4
	v_mov_b32_e32 v3, 0
	v_mov_b32_e32 v10, 0
	s_and_saveexec_b64 s[4:5], vcc
	s_cbranch_execz .LBB429_760
; %bb.755:
	v_lshrrev_b32_e32 v2, 24, v4
	s_movk_i32 s3, 0x80
	v_cmp_ne_u32_e32 vcc, s3, v2
	v_bfrev_b32_e32 v10, 1
	s_and_saveexec_b64 s[6:7], vcc
	s_cbranch_execz .LBB429_759
; %bb.756:
	v_bfe_u32 v6, v4, 24, 7
	s_movk_i32 s3, 0x7f
	v_cmp_ne_u32_e32 vcc, s3, v6
	v_mov_b32_e32 v10, 0x7f800001
	s_and_saveexec_b64 s[8:9], vcc
	s_cbranch_execz .LBB429_758
; %bb.757:
	v_and_b32_e32 v12, 7, v2
	v_ffbh_u32_e32 v10, v12
	v_min_u32_e32 v16, 32, v10
	v_subrev_u32_e32 v10, 28, v16
	v_lshlrev_b64 v[10:11], v10, v[2:3]
	v_lshrrev_b32_e32 v13, 3, v6
	v_sub_u32_e32 v11, 29, v16
	v_and_b32_e32 v10, 7, v10
	v_cmp_gt_u32_e32 vcc, 8, v6
	v_cndmask_b32_e32 v6, v13, v11, vcc
	v_cndmask_b32_e32 v10, v12, v10, vcc
	v_lshlrev_b32_e32 v2, 24, v2
	v_bfrev_b32_e32 v11, 60
	v_lshlrev_b32_e32 v10, 20, v10
	v_and_b32_e32 v2, 0x80000000, v2
	v_lshl_add_u32 v6, v6, 23, v11
	v_or3_b32 v10, v2, v6, v10
.LBB429_758:
	s_or_b64 exec, exec, s[8:9]
.LBB429_759:
	s_or_b64 exec, exec, s[6:7]
.LBB429_760:
	s_or_b64 exec, exec, s[4:5]
	v_mov_b32_e32 v2, v5
	v_cmp_ne_u16_sdwa s[6:7], v5, v3 src0_sel:BYTE_0 src1_sel:DWORD
	s_and_saveexec_b64 s[4:5], s[6:7]
	s_cbranch_execz .LBB429_766
; %bb.761:
	s_movk_i32 s3, 0x80
	v_cmp_ne_u16_sdwa s[8:9], v5, s3 src0_sel:BYTE_0 src1_sel:DWORD
	v_bfrev_b32_e32 v6, 1
	s_and_saveexec_b64 s[6:7], s[8:9]
	s_cbranch_execz .LBB429_765
; %bb.762:
	s_movk_i32 s3, 0x7f
	v_and_b32_e32 v11, 0x7f, v5
	v_cmp_ne_u32_e32 vcc, s3, v11
	v_mov_b32_e32 v6, 0x7f800001
	s_and_saveexec_b64 s[8:9], vcc
	s_cbranch_execz .LBB429_764
; %bb.763:
	v_and_b32_e32 v6, 7, v5
	v_ffbh_u32_e32 v6, v6
	v_min_u32_e32 v6, 32, v6
	v_subrev_u32_e32 v13, 28, v6
	v_cmp_gt_u32_e32 vcc, 8, v11
	v_lshrrev_b32_e32 v12, 3, v11
	v_sub_u32_e32 v6, 29, v6
	v_cndmask_b32_e32 v11, 0, v13, vcc
	v_cndmask_b32_e32 v6, v12, v6, vcc
	v_lshlrev_b64 v[12:13], v11, v[2:3]
	v_lshlrev_b32_e32 v3, 20, v12
	v_lshlrev_b32_e32 v11, 24, v2
	v_bfrev_b32_e32 v12, 60
	v_and_b32_e32 v3, 0x700000, v3
	v_and_b32_e32 v11, 0x80000000, v11
	v_lshl_add_u32 v6, v6, 23, v12
	v_or3_b32 v6, v11, v6, v3
.LBB429_764:
	s_or_b64 exec, exec, s[8:9]
.LBB429_765:
	s_or_b64 exec, exec, s[6:7]
	v_mov_b32_e32 v3, v6
.LBB429_766:
	s_or_b64 exec, exec, s[4:5]
	v_lshrrev_b16_e32 v6, 8, v2
	v_cmp_ne_u16_e32 vcc, 0, v6
	v_mov_b32_e32 v11, 0
	v_mov_b32_e32 v12, 0
	s_and_saveexec_b64 s[4:5], vcc
	s_cbranch_execz .LBB429_772
; %bb.767:
	s_movk_i32 s3, 0x80
	v_cmp_ne_u16_e32 vcc, s3, v6
	v_bfrev_b32_e32 v12, 1
	s_and_saveexec_b64 s[6:7], vcc
	s_cbranch_execz .LBB429_771
; %bb.768:
	s_movk_i32 s3, 0x7f
	v_and_b32_e32 v13, 0x7f, v6
	v_cmp_ne_u32_e32 vcc, s3, v13
	v_mov_b32_e32 v12, 0x7f800001
	s_and_saveexec_b64 s[8:9], vcc
	s_cbranch_execz .LBB429_770
; %bb.769:
	v_and_b32_e32 v12, 7, v6
	v_ffbh_u32_e32 v16, v12
	v_min_u32_e32 v19, 32, v16
	v_subrev_u32_e32 v16, 28, v19
	v_lshlrev_b64 v[16:17], v16, v[6:7]
	v_lshrrev_b32_e32 v18, 3, v13
	v_sub_u32_e32 v6, 29, v19
	v_and_b32_e32 v16, 7, v16
	v_cmp_gt_u32_e32 vcc, 8, v13
	v_cndmask_b32_e32 v6, v18, v6, vcc
	v_cndmask_b32_e32 v12, v12, v16, vcc
	v_lshlrev_b32_e32 v2, 16, v2
	v_bfrev_b32_e32 v13, 60
	v_lshlrev_b32_e32 v12, 20, v12
	v_and_b32_e32 v2, 0x80000000, v2
	v_lshl_add_u32 v6, v6, 23, v13
	v_or3_b32 v12, v2, v6, v12
.LBB429_770:
	s_or_b64 exec, exec, s[8:9]
.LBB429_771:
	s_or_b64 exec, exec, s[6:7]
.LBB429_772:
	s_or_b64 exec, exec, s[4:5]
	s_movk_i32 s3, 0xff
	v_and_b32_sdwa v6, v5, s3 dst_sel:DWORD dst_unused:UNUSED_PAD src0_sel:WORD_1 src1_sel:DWORD
	v_lshrrev_b32_e32 v2, 16, v5
	v_cmp_ne_u16_e32 vcc, 0, v6
	s_and_saveexec_b64 s[4:5], vcc
	s_cbranch_execz .LBB429_778
; %bb.773:
	s_movk_i32 s3, 0x80
	v_cmp_ne_u16_e32 vcc, s3, v6
	v_bfrev_b32_e32 v11, 1
	s_and_saveexec_b64 s[6:7], vcc
	s_cbranch_execz .LBB429_777
; %bb.774:
	v_bfe_u32 v6, v5, 16, 7
	s_movk_i32 s3, 0x7f
	v_cmp_ne_u32_e32 vcc, s3, v6
	v_mov_b32_e32 v11, 0x7f800001
	s_and_saveexec_b64 s[8:9], vcc
	s_cbranch_execz .LBB429_776
; %bb.775:
	v_and_b32_e32 v11, 7, v2
	v_ffbh_u32_e32 v16, v11
	v_min_u32_e32 v18, 32, v16
	v_subrev_u32_e32 v16, 28, v18
	v_lshlrev_b64 v[16:17], v16, v[2:3]
	v_and_b32_e32 v16, 7, v16
	v_cmp_gt_u32_e32 vcc, 8, v6
	v_lshrrev_b32_e32 v13, 3, v6
	v_sub_u32_e32 v2, 29, v18
	v_cndmask_b32_e32 v6, v11, v16, vcc
	v_mov_b32_e32 v11, 24
	v_cndmask_b32_e32 v2, v13, v2, vcc
	v_lshlrev_b32_sdwa v11, v11, v5 dst_sel:DWORD dst_unused:UNUSED_PAD src0_sel:DWORD src1_sel:WORD_1
	v_bfrev_b32_e32 v13, 60
	v_lshlrev_b32_e32 v6, 20, v6
	v_and_b32_e32 v11, 0x80000000, v11
	v_lshl_add_u32 v2, v2, 23, v13
	v_or3_b32 v11, v11, v2, v6
.LBB429_776:
	s_or_b64 exec, exec, s[8:9]
.LBB429_777:
	s_or_b64 exec, exec, s[6:7]
.LBB429_778:
	s_or_b64 exec, exec, s[4:5]
	s_mov_b32 s4, -1
	s_mov_b32 s5, 0xffffff
	v_cmp_lt_u64_e32 vcc, s[4:5], v[4:5]
	v_mov_b32_e32 v4, 0
	s_and_saveexec_b64 s[4:5], vcc
	s_cbranch_execz .LBB429_784
; %bb.779:
	v_lshrrev_b32_e32 v2, 24, v5
	s_movk_i32 s3, 0x80
	v_cmp_ne_u32_e32 vcc, s3, v2
	v_bfrev_b32_e32 v4, 1
	s_and_saveexec_b64 s[6:7], vcc
	s_cbranch_execz .LBB429_783
; %bb.780:
	v_bfe_u32 v5, v5, 24, 7
	s_movk_i32 s3, 0x7f
	v_cmp_ne_u32_e32 vcc, s3, v5
	v_mov_b32_e32 v4, 0x7f800001
	s_and_saveexec_b64 s[8:9], vcc
	s_cbranch_execz .LBB429_782
; %bb.781:
	v_and_b32_e32 v4, 7, v2
	v_ffbh_u32_e32 v13, v4
	v_min_u32_e32 v13, 32, v13
	v_subrev_u32_e32 v16, 28, v13
	v_lshlrev_b64 v[16:17], v16, v[2:3]
	v_lshrrev_b32_e32 v6, 3, v5
	v_sub_u32_e32 v13, 29, v13
	v_and_b32_e32 v16, 7, v16
	v_cmp_gt_u32_e32 vcc, 8, v5
	v_cndmask_b32_e32 v5, v6, v13, vcc
	v_cndmask_b32_e32 v4, v4, v16, vcc
	v_lshlrev_b32_e32 v2, 24, v2
	v_bfrev_b32_e32 v6, 60
	v_lshlrev_b32_e32 v4, 20, v4
	v_and_b32_e32 v2, 0x80000000, v2
	v_lshl_add_u32 v5, v5, 23, v6
	v_or3_b32 v4, v2, v5, v4
.LBB429_782:
	s_or_b64 exec, exec, s[8:9]
.LBB429_783:
	s_or_b64 exec, exec, s[6:7]
.LBB429_784:
	s_or_b64 exec, exec, s[4:5]
	v_cvt_pkrtz_f16_f32 v6, v8, v9
	v_cvt_pkrtz_f16_f32 v7, v7, v10
	;; [unrolled: 1-line block ×4, first 2 shown]
	v_mfma_f32_4x4x4f16 a[0:3], v[14:15], v[6:7], a[0:3] cbsz:4 abid:14
	s_load_dword s4, s[14:15], 0x0
	v_mfma_f32_4x4x4f16 a[0:3], v[14:15], v[2:3], a[0:3] cbsz:4 abid:15
	s_nop 4
	v_accvgpr_read_b32 v5, a1
	v_accvgpr_read_b32 v3, a3
	;; [unrolled: 1-line block ×4, first 2 shown]
	s_waitcnt lgkmcnt(0)
	v_pk_mul_f32 v[2:3], v[2:3], s[4:5] op_sel_hi:[1,0]
	v_pk_mul_f32 v[4:5], v[4:5], s[4:5] op_sel_hi:[1,0]
	v_cvt_f16_f32_e32 v4, v4
	v_cvt_f16_f32_e32 v5, v5
	v_cvt_f16_f32_e32 v6, v2
	v_cvt_f16_f32_e32 v3, v3
	v_pack_b32_f16 v2, v4, v5
	v_mad_u32_u24 v4, v1, 40, v25
	v_pack_b32_f16 v3, v6, v3
	ds_write_b64 v4, v[2:3]
.LBB429_785:
	s_or_b64 exec, exec, s[0:1]
	v_cmp_gt_u32_e32 vcc, 64, v0
	s_waitcnt lgkmcnt(0)
	s_barrier
	s_and_saveexec_b64 s[0:1], vcc
	s_cbranch_execz .LBB429_787
; %bb.786:
	v_mul_u32_u24_e32 v1, 40, v1
	s_waitcnt vmcnt(3)
	ds_read2_b64 v[2:5], v1 offset1:1
	s_waitcnt vmcnt(2)
	ds_read2_b64 v[6:9], v1 offset0:2 offset1:3
	s_mov_b32 s1, 0
	s_lshl_b32 s0, s2, 6
	s_lshl_b64 s[2:3], s[0:1], 1
	s_add_u32 s2, s28, s2
	s_addc_u32 s3, s29, s3
	s_lshl_b32 s0, s10, 6
	s_lshl_b64 s[0:1], s[0:1], 1
	s_waitcnt lgkmcnt(1)
	v_pk_add_f16 v1, v2, 0
	v_pk_add_f16 v2, v3, 0
	s_add_u32 s0, s2, s0
	v_pk_add_f16 v2, v2, v5
	s_addc_u32 s1, s3, s1
	s_lshl_b32 s2, s44, 6
	v_pk_add_f16 v1, v1, v4
	s_waitcnt lgkmcnt(0)
	v_pk_add_f16 v2, v2, v7
	s_mul_i32 s3, s2, s33
	v_pk_add_f16 v1, v1, v6
	v_pk_add_f16 v6, v2, v9
	v_or_b32_e32 v2, s3, v0
	v_mov_b32_e32 v3, 0
	v_lshlrev_b64 v[4:5], 1, v[2:3]
	v_mov_b32_e32 v2, s1
	v_add_co_u32_e32 v4, vcc, s0, v4
	s_add_i32 s3, s3, s2
	v_pk_add_f16 v1, v1, v8
	v_addc_co_u32_e32 v5, vcc, v2, v5, vcc
	v_or_b32_e32 v2, s3, v0
	global_store_short v[4:5], v1, off
	v_lshlrev_b64 v[4:5], 1, v[2:3]
	v_mov_b32_e32 v2, s1
	v_add_co_u32_e32 v4, vcc, s0, v4
	s_add_i32 s3, s3, s2
	v_addc_co_u32_e32 v5, vcc, v2, v5, vcc
	v_or_b32_e32 v2, s3, v0
	global_store_short_d16_hi v[4:5], v1, off
	v_lshlrev_b64 v[4:5], 1, v[2:3]
	s_add_i32 s3, s3, s2
	v_mov_b32_e32 v1, s1
	v_add_co_u32_e32 v4, vcc, s0, v4
	v_or_b32_e32 v2, s3, v0
	v_addc_co_u32_e32 v5, vcc, v1, v5, vcc
	v_lshlrev_b64 v[0:1], 1, v[2:3]
	v_mov_b32_e32 v2, s1
	v_add_co_u32_e32 v0, vcc, s0, v0
	v_addc_co_u32_e32 v1, vcc, v2, v1, vcc
	global_store_short v[4:5], v6, off
	global_store_short_d16_hi v[0:1], v6, off
.LBB429_787:
	s_endpgm
.LBB429_788:
	s_mov_b64 s[12:13], 0
                                        ; implicit-def: $sgpr36_sgpr37
	s_branch .LBB429_2
	.section	.rodata,"a",@progbits
	.p2align	6, 0x0
	.amdhsa_kernel _Z38paged_attention_ll4mi_QKV_mfma4_kernelIDF16_hLN4vllm18Fp8KVCacheDataTypeE1EDF16_Li32ELi64ELi256ELb1ELi4EEvPKT_PKT0_S7_ifPKiS9_S9_iPKfiiiPfSC_PS2_PT2_iSB_SB_
		.amdhsa_group_segment_fixed_size 2720
		.amdhsa_private_segment_fixed_size 0
		.amdhsa_kernarg_size 400
		.amdhsa_user_sgpr_count 6
		.amdhsa_user_sgpr_private_segment_buffer 1
		.amdhsa_user_sgpr_dispatch_ptr 0
		.amdhsa_user_sgpr_queue_ptr 0
		.amdhsa_user_sgpr_kernarg_segment_ptr 1
		.amdhsa_user_sgpr_dispatch_id 0
		.amdhsa_user_sgpr_flat_scratch_init 0
		.amdhsa_user_sgpr_kernarg_preload_length 0
		.amdhsa_user_sgpr_kernarg_preload_offset 0
		.amdhsa_user_sgpr_private_segment_size 0
		.amdhsa_uses_dynamic_stack 0
		.amdhsa_system_sgpr_private_segment_wavefront_offset 0
		.amdhsa_system_sgpr_workgroup_id_x 1
		.amdhsa_system_sgpr_workgroup_id_y 1
		.amdhsa_system_sgpr_workgroup_id_z 1
		.amdhsa_system_sgpr_workgroup_info 0
		.amdhsa_system_vgpr_workitem_id 0
		.amdhsa_next_free_vgpr 64
		.amdhsa_next_free_sgpr 45
		.amdhsa_accum_offset 60
		.amdhsa_reserve_vcc 1
		.amdhsa_reserve_flat_scratch 0
		.amdhsa_float_round_mode_32 0
		.amdhsa_float_round_mode_16_64 0
		.amdhsa_float_denorm_mode_32 3
		.amdhsa_float_denorm_mode_16_64 3
		.amdhsa_dx10_clamp 1
		.amdhsa_ieee_mode 1
		.amdhsa_fp16_overflow 0
		.amdhsa_tg_split 0
		.amdhsa_exception_fp_ieee_invalid_op 0
		.amdhsa_exception_fp_denorm_src 0
		.amdhsa_exception_fp_ieee_div_zero 0
		.amdhsa_exception_fp_ieee_overflow 0
		.amdhsa_exception_fp_ieee_underflow 0
		.amdhsa_exception_fp_ieee_inexact 0
		.amdhsa_exception_int_div_zero 0
	.end_amdhsa_kernel
	.section	.text._Z38paged_attention_ll4mi_QKV_mfma4_kernelIDF16_hLN4vllm18Fp8KVCacheDataTypeE1EDF16_Li32ELi64ELi256ELb1ELi4EEvPKT_PKT0_S7_ifPKiS9_S9_iPKfiiiPfSC_PS2_PT2_iSB_SB_,"axG",@progbits,_Z38paged_attention_ll4mi_QKV_mfma4_kernelIDF16_hLN4vllm18Fp8KVCacheDataTypeE1EDF16_Li32ELi64ELi256ELb1ELi4EEvPKT_PKT0_S7_ifPKiS9_S9_iPKfiiiPfSC_PS2_PT2_iSB_SB_,comdat
.Lfunc_end429:
	.size	_Z38paged_attention_ll4mi_QKV_mfma4_kernelIDF16_hLN4vllm18Fp8KVCacheDataTypeE1EDF16_Li32ELi64ELi256ELb1ELi4EEvPKT_PKT0_S7_ifPKiS9_S9_iPKfiiiPfSC_PS2_PT2_iSB_SB_, .Lfunc_end429-_Z38paged_attention_ll4mi_QKV_mfma4_kernelIDF16_hLN4vllm18Fp8KVCacheDataTypeE1EDF16_Li32ELi64ELi256ELb1ELi4EEvPKT_PKT0_S7_ifPKiS9_S9_iPKfiiiPfSC_PS2_PT2_iSB_SB_
                                        ; -- End function
	.section	.AMDGPU.csdata,"",@progbits
; Kernel info:
; codeLenInByte = 26400
; NumSgprs: 49
; NumVgprs: 57
; NumAgprs: 4
; TotalNumVgprs: 64
; ScratchSize: 0
; MemoryBound: 0
; FloatMode: 240
; IeeeMode: 1
; LDSByteSize: 2720 bytes/workgroup (compile time only)
; SGPRBlocks: 6
; VGPRBlocks: 7
; NumSGPRsForWavesPerEU: 49
; NumVGPRsForWavesPerEU: 64
; AccumOffset: 60
; Occupancy: 8
; WaveLimiterHint : 1
; COMPUTE_PGM_RSRC2:SCRATCH_EN: 0
; COMPUTE_PGM_RSRC2:USER_SGPR: 6
; COMPUTE_PGM_RSRC2:TRAP_HANDLER: 0
; COMPUTE_PGM_RSRC2:TGID_X_EN: 1
; COMPUTE_PGM_RSRC2:TGID_Y_EN: 1
; COMPUTE_PGM_RSRC2:TGID_Z_EN: 1
; COMPUTE_PGM_RSRC2:TIDIG_COMP_CNT: 0
; COMPUTE_PGM_RSRC3_GFX90A:ACCUM_OFFSET: 14
; COMPUTE_PGM_RSRC3_GFX90A:TG_SPLIT: 0
	.section	.text._Z39paged_attention_ll4mi_QKV_mfma16_kernelIDF16_hLN4vllm18Fp8KVCacheDataTypeE1EDF16_Li32ELi64ELi256ELb1ELi5EL8MFMAType1EEvPKT_PKT0_S8_ifPKiSA_SA_iPKfiiiPfSD_PS3_PT2_iSC_SC_,"axG",@progbits,_Z39paged_attention_ll4mi_QKV_mfma16_kernelIDF16_hLN4vllm18Fp8KVCacheDataTypeE1EDF16_Li32ELi64ELi256ELb1ELi5EL8MFMAType1EEvPKT_PKT0_S8_ifPKiSA_SA_iPKfiiiPfSD_PS3_PT2_iSC_SC_,comdat
	.protected	_Z39paged_attention_ll4mi_QKV_mfma16_kernelIDF16_hLN4vllm18Fp8KVCacheDataTypeE1EDF16_Li32ELi64ELi256ELb1ELi5EL8MFMAType1EEvPKT_PKT0_S8_ifPKiSA_SA_iPKfiiiPfSD_PS3_PT2_iSC_SC_ ; -- Begin function _Z39paged_attention_ll4mi_QKV_mfma16_kernelIDF16_hLN4vllm18Fp8KVCacheDataTypeE1EDF16_Li32ELi64ELi256ELb1ELi5EL8MFMAType1EEvPKT_PKT0_S8_ifPKiSA_SA_iPKfiiiPfSD_PS3_PT2_iSC_SC_
	.globl	_Z39paged_attention_ll4mi_QKV_mfma16_kernelIDF16_hLN4vllm18Fp8KVCacheDataTypeE1EDF16_Li32ELi64ELi256ELb1ELi5EL8MFMAType1EEvPKT_PKT0_S8_ifPKiSA_SA_iPKfiiiPfSD_PS3_PT2_iSC_SC_
	.p2align	8
	.type	_Z39paged_attention_ll4mi_QKV_mfma16_kernelIDF16_hLN4vllm18Fp8KVCacheDataTypeE1EDF16_Li32ELi64ELi256ELb1ELi5EL8MFMAType1EEvPKT_PKT0_S8_ifPKiSA_SA_iPKfiiiPfSD_PS3_PT2_iSC_SC_,@function
_Z39paged_attention_ll4mi_QKV_mfma16_kernelIDF16_hLN4vllm18Fp8KVCacheDataTypeE1EDF16_Li32ELi64ELi256ELb1ELi5EL8MFMAType1EEvPKT_PKT0_S8_ifPKiSA_SA_iPKfiiiPfSD_PS3_PT2_iSC_SC_: ; @_Z39paged_attention_ll4mi_QKV_mfma16_kernelIDF16_hLN4vllm18Fp8KVCacheDataTypeE1EDF16_Li32ELi64ELi256ELb1ELi5EL8MFMAType1EEvPKT_PKT0_S8_ifPKiSA_SA_iPKfiiiPfSD_PS3_PT2_iSC_SC_
; %bb.0:
	s_load_dwordx2 s[12:13], s[4:5], 0x30
	s_add_u32 flat_scratch_lo, s6, s11
	s_addc_u32 flat_scratch_hi, s7, 0
	s_add_u32 s0, s0, s11
	s_addc_u32 s1, s1, 0
	s_waitcnt lgkmcnt(0)
	s_cmp_lg_u64 s[12:13], 0
	s_cselect_b64 s[14:15], -1, 0
	s_mov_b32 s6, s9
	s_mov_b64 s[16:17], 0
	s_and_b64 vcc, exec, s[14:15]
	s_mov_b32 s32, 0
	s_cbranch_vccz .LBB430_11
; %bb.1:
	s_add_i32 s18, s8, 1
	s_mov_b32 s19, 0
	s_lshl_b64 s[20:21], s[18:19], 2
	s_add_u32 s20, s12, s20
	s_mov_b32 s9, s19
	s_addc_u32 s21, s13, s21
	s_lshl_b64 s[18:19], s[8:9], 2
	s_add_u32 s18, s12, s18
	s_addc_u32 s19, s13, s19
	s_load_dword s7, s[20:21], 0x0
	s_load_dword s11, s[18:19], 0x0
	s_waitcnt lgkmcnt(0)
	s_sub_i32 s7, s7, s11
	s_cmp_eq_u32 s7, 1
	s_cselect_b64 s[18:19], -1, 0
	s_andn2_b64 vcc, exec, s[16:17]
	s_cbranch_vccnz .LBB430_3
.LBB430_2:
	s_mov_b32 s9, 0
	s_mov_b64 s[18:19], -1
.LBB430_3:
	s_andn2_b64 vcc, exec, s[18:19]
	s_cbranch_vccnz .LBB430_10
; %bb.4:
	s_load_dwordx2 s[18:19], s[4:5], 0x28
	s_lshl_b64 s[16:17], s[8:9], 2
	s_waitcnt lgkmcnt(0)
	s_add_u32 s18, s18, s16
	s_addc_u32 s19, s19, s17
	s_load_dword s7, s[18:19], 0x0
	s_lshl_b32 s6, s6, 8
	s_waitcnt lgkmcnt(0)
	s_cmp_ge_i32 s6, s7
	s_cbranch_scc1 .LBB430_10
; %bb.5:
	s_andn2_b64 vcc, exec, s[14:15]
	s_cbranch_vccnz .LBB430_7
; %bb.6:
	s_add_u32 s6, s12, s16
	s_addc_u32 s7, s13, s17
	s_load_dword s8, s[6:7], 0x0
.LBB430_7:
	v_and_b32_e32 v1, 15, v0
	s_movk_i32 s6, 0x50
	v_cmp_gt_u32_e32 vcc, s6, v0
	v_cmp_gt_u32_e64 s[6:7], 8, v1
	s_and_b64 s[12:13], s[6:7], vcc
	s_and_saveexec_b64 s[6:7], s[12:13]
	s_cbranch_execz .LBB430_9
; %bb.8:
	s_load_dword s11, s[4:5], 0x48
	s_load_dwordx2 s[12:13], s[4:5], 0x0
	v_lshrrev_b32_e32 v6, 4, v0
	s_mul_i32 s10, s10, 5
	v_add_lshl_u32 v2, v6, s10, 6
	s_waitcnt lgkmcnt(0)
	s_ashr_i32 s9, s11, 31
	s_mul_hi_u32 s14, s8, s11
	s_mul_i32 s9, s8, s9
	s_add_i32 s9, s14, s9
	s_mul_i32 s8, s8, s11
	s_lshl_b64 s[8:9], s[8:9], 1
	s_add_u32 s8, s12, s8
	v_ashrrev_i32_e32 v3, 31, v2
	s_addc_u32 s9, s13, s9
	v_lshlrev_b64 v[2:3], 1, v[2:3]
	v_mov_b32_e32 v4, s9
	v_add_co_u32_e32 v2, vcc, s8, v2
	v_addc_co_u32_e32 v3, vcc, v4, v3, vcc
	v_lshlrev_b32_e32 v4, 4, v1
	v_add_co_u32_e32 v2, vcc, v2, v4
	v_addc_co_u32_e32 v3, vcc, 0, v3, vcc
	global_load_dwordx4 v[2:5], v[2:3], off
	v_lshlrev_b32_e32 v0, 4, v0
	v_lshlrev_b32_e32 v1, 8, v1
	v_and_b32_e32 v0, 16, v0
	v_lshlrev_b32_e32 v6, 5, v6
	v_and_b32_e32 v1, 0xe00, v1
	v_or3_b32 v0, v1, v6, v0
	s_waitcnt vmcnt(0)
	ds_write_b128 v0, v[2:5]
.LBB430_9:
	s_or_b64 exec, exec, s[6:7]
	s_waitcnt lgkmcnt(0)
	s_add_u32 s8, s4, 0x90
	s_addc_u32 s9, s5, 0
	s_getpc_b64 s[4:5]
	s_add_u32 s4, s4, __PRETTY_FUNCTION__._Z39paged_attention_ll4mi_QKV_mfma16_kernelIDF16_hLN4vllm18Fp8KVCacheDataTypeE1EDF16_Li32ELi64ELi256ELb1ELi5EL8MFMAType1EEvPKT_PKT0_S8_ifPKiSA_SA_iPKfiiiPfSD_PS3_PT2_iSC_SC_@rel32@lo+4
	s_addc_u32 s5, s5, __PRETTY_FUNCTION__._Z39paged_attention_ll4mi_QKV_mfma16_kernelIDF16_hLN4vllm18Fp8KVCacheDataTypeE1EDF16_Li32ELi64ELi256ELb1ELi5EL8MFMAType1EEvPKT_PKT0_S8_ifPKiSA_SA_iPKfiiiPfSD_PS3_PT2_iSC_SC_@rel32@hi+12
	v_mov_b32_e32 v0, 0x288
	v_mov_b32_e32 v1, s4
	;; [unrolled: 1-line block ×3, first 2 shown]
	s_barrier
	s_getpc_b64 s[6:7]
	s_add_u32 s6, s6, __assert_fail@rel32@lo+4
	s_addc_u32 s7, s7, __assert_fail@rel32@hi+12
	s_swappc_b64 s[30:31], s[6:7]
	; divergent unreachable
.LBB430_10:
	s_endpgm
.LBB430_11:
	s_mov_b64 s[18:19], 0
	s_branch .LBB430_2
	.section	.rodata,"a",@progbits
	.p2align	6, 0x0
	.amdhsa_kernel _Z39paged_attention_ll4mi_QKV_mfma16_kernelIDF16_hLN4vllm18Fp8KVCacheDataTypeE1EDF16_Li32ELi64ELi256ELb1ELi5EL8MFMAType1EEvPKT_PKT0_S8_ifPKiSA_SA_iPKfiiiPfSD_PS3_PT2_iSC_SC_
		.amdhsa_group_segment_fixed_size 8192
		.amdhsa_private_segment_fixed_size 64
		.amdhsa_kernarg_size 400
		.amdhsa_user_sgpr_count 8
		.amdhsa_user_sgpr_private_segment_buffer 1
		.amdhsa_user_sgpr_dispatch_ptr 0
		.amdhsa_user_sgpr_queue_ptr 0
		.amdhsa_user_sgpr_kernarg_segment_ptr 1
		.amdhsa_user_sgpr_dispatch_id 0
		.amdhsa_user_sgpr_flat_scratch_init 1
		.amdhsa_user_sgpr_kernarg_preload_length 0
		.amdhsa_user_sgpr_kernarg_preload_offset 0
		.amdhsa_user_sgpr_private_segment_size 0
		.amdhsa_uses_dynamic_stack 0
		.amdhsa_system_sgpr_private_segment_wavefront_offset 1
		.amdhsa_system_sgpr_workgroup_id_x 1
		.amdhsa_system_sgpr_workgroup_id_y 1
		.amdhsa_system_sgpr_workgroup_id_z 1
		.amdhsa_system_sgpr_workgroup_info 0
		.amdhsa_system_vgpr_workitem_id 0
		.amdhsa_next_free_vgpr 45
		.amdhsa_next_free_sgpr 34
		.amdhsa_accum_offset 44
		.amdhsa_reserve_vcc 1
		.amdhsa_reserve_flat_scratch 1
		.amdhsa_float_round_mode_32 0
		.amdhsa_float_round_mode_16_64 0
		.amdhsa_float_denorm_mode_32 3
		.amdhsa_float_denorm_mode_16_64 3
		.amdhsa_dx10_clamp 1
		.amdhsa_ieee_mode 1
		.amdhsa_fp16_overflow 0
		.amdhsa_tg_split 0
		.amdhsa_exception_fp_ieee_invalid_op 0
		.amdhsa_exception_fp_denorm_src 0
		.amdhsa_exception_fp_ieee_div_zero 0
		.amdhsa_exception_fp_ieee_overflow 0
		.amdhsa_exception_fp_ieee_underflow 0
		.amdhsa_exception_fp_ieee_inexact 0
		.amdhsa_exception_int_div_zero 0
	.end_amdhsa_kernel
	.section	.text._Z39paged_attention_ll4mi_QKV_mfma16_kernelIDF16_hLN4vllm18Fp8KVCacheDataTypeE1EDF16_Li32ELi64ELi256ELb1ELi5EL8MFMAType1EEvPKT_PKT0_S8_ifPKiSA_SA_iPKfiiiPfSD_PS3_PT2_iSC_SC_,"axG",@progbits,_Z39paged_attention_ll4mi_QKV_mfma16_kernelIDF16_hLN4vllm18Fp8KVCacheDataTypeE1EDF16_Li32ELi64ELi256ELb1ELi5EL8MFMAType1EEvPKT_PKT0_S8_ifPKiSA_SA_iPKfiiiPfSD_PS3_PT2_iSC_SC_,comdat
.Lfunc_end430:
	.size	_Z39paged_attention_ll4mi_QKV_mfma16_kernelIDF16_hLN4vllm18Fp8KVCacheDataTypeE1EDF16_Li32ELi64ELi256ELb1ELi5EL8MFMAType1EEvPKT_PKT0_S8_ifPKiSA_SA_iPKfiiiPfSD_PS3_PT2_iSC_SC_, .Lfunc_end430-_Z39paged_attention_ll4mi_QKV_mfma16_kernelIDF16_hLN4vllm18Fp8KVCacheDataTypeE1EDF16_Li32ELi64ELi256ELb1ELi5EL8MFMAType1EEvPKT_PKT0_S8_ifPKiSA_SA_iPKfiiiPfSD_PS3_PT2_iSC_SC_
                                        ; -- End function
	.section	.AMDGPU.csdata,"",@progbits
; Kernel info:
; codeLenInByte = 504
; NumSgprs: 40
; NumVgprs: 42
; NumAgprs: 1
; TotalNumVgprs: 45
; ScratchSize: 64
; MemoryBound: 0
; FloatMode: 240
; IeeeMode: 1
; LDSByteSize: 8192 bytes/workgroup (compile time only)
; SGPRBlocks: 4
; VGPRBlocks: 5
; NumSGPRsForWavesPerEU: 40
; NumVGPRsForWavesPerEU: 45
; AccumOffset: 44
; Occupancy: 8
; WaveLimiterHint : 1
; COMPUTE_PGM_RSRC2:SCRATCH_EN: 1
; COMPUTE_PGM_RSRC2:USER_SGPR: 8
; COMPUTE_PGM_RSRC2:TRAP_HANDLER: 0
; COMPUTE_PGM_RSRC2:TGID_X_EN: 1
; COMPUTE_PGM_RSRC2:TGID_Y_EN: 1
; COMPUTE_PGM_RSRC2:TGID_Z_EN: 1
; COMPUTE_PGM_RSRC2:TIDIG_COMP_CNT: 0
; COMPUTE_PGM_RSRC3_GFX90A:ACCUM_OFFSET: 10
; COMPUTE_PGM_RSRC3_GFX90A:TG_SPLIT: 0
	.section	.text._Z39paged_attention_ll4mi_QKV_mfma16_kernelIDF16_hLN4vllm18Fp8KVCacheDataTypeE1EDF16_Li32ELi64ELi256ELb1ELi6EL8MFMAType1EEvPKT_PKT0_S8_ifPKiSA_SA_iPKfiiiPfSD_PS3_PT2_iSC_SC_,"axG",@progbits,_Z39paged_attention_ll4mi_QKV_mfma16_kernelIDF16_hLN4vllm18Fp8KVCacheDataTypeE1EDF16_Li32ELi64ELi256ELb1ELi6EL8MFMAType1EEvPKT_PKT0_S8_ifPKiSA_SA_iPKfiiiPfSD_PS3_PT2_iSC_SC_,comdat
	.protected	_Z39paged_attention_ll4mi_QKV_mfma16_kernelIDF16_hLN4vllm18Fp8KVCacheDataTypeE1EDF16_Li32ELi64ELi256ELb1ELi6EL8MFMAType1EEvPKT_PKT0_S8_ifPKiSA_SA_iPKfiiiPfSD_PS3_PT2_iSC_SC_ ; -- Begin function _Z39paged_attention_ll4mi_QKV_mfma16_kernelIDF16_hLN4vllm18Fp8KVCacheDataTypeE1EDF16_Li32ELi64ELi256ELb1ELi6EL8MFMAType1EEvPKT_PKT0_S8_ifPKiSA_SA_iPKfiiiPfSD_PS3_PT2_iSC_SC_
	.globl	_Z39paged_attention_ll4mi_QKV_mfma16_kernelIDF16_hLN4vllm18Fp8KVCacheDataTypeE1EDF16_Li32ELi64ELi256ELb1ELi6EL8MFMAType1EEvPKT_PKT0_S8_ifPKiSA_SA_iPKfiiiPfSD_PS3_PT2_iSC_SC_
	.p2align	8
	.type	_Z39paged_attention_ll4mi_QKV_mfma16_kernelIDF16_hLN4vllm18Fp8KVCacheDataTypeE1EDF16_Li32ELi64ELi256ELb1ELi6EL8MFMAType1EEvPKT_PKT0_S8_ifPKiSA_SA_iPKfiiiPfSD_PS3_PT2_iSC_SC_,@function
_Z39paged_attention_ll4mi_QKV_mfma16_kernelIDF16_hLN4vllm18Fp8KVCacheDataTypeE1EDF16_Li32ELi64ELi256ELb1ELi6EL8MFMAType1EEvPKT_PKT0_S8_ifPKiSA_SA_iPKfiiiPfSD_PS3_PT2_iSC_SC_: ; @_Z39paged_attention_ll4mi_QKV_mfma16_kernelIDF16_hLN4vllm18Fp8KVCacheDataTypeE1EDF16_Li32ELi64ELi256ELb1ELi6EL8MFMAType1EEvPKT_PKT0_S8_ifPKiSA_SA_iPKfiiiPfSD_PS3_PT2_iSC_SC_
; %bb.0:
	s_load_dwordx2 s[12:13], s[4:5], 0x30
	s_add_u32 flat_scratch_lo, s6, s11
	s_addc_u32 flat_scratch_hi, s7, 0
	s_add_u32 s0, s0, s11
	s_addc_u32 s1, s1, 0
	s_waitcnt lgkmcnt(0)
	s_cmp_lg_u64 s[12:13], 0
	s_cselect_b64 s[14:15], -1, 0
	s_mov_b32 s6, s9
	s_mov_b64 s[16:17], 0
	s_and_b64 vcc, exec, s[14:15]
	s_mov_b32 s32, 0
	s_cbranch_vccz .LBB431_11
; %bb.1:
	s_add_i32 s18, s8, 1
	s_mov_b32 s19, 0
	s_lshl_b64 s[20:21], s[18:19], 2
	s_add_u32 s20, s12, s20
	s_mov_b32 s9, s19
	s_addc_u32 s21, s13, s21
	s_lshl_b64 s[18:19], s[8:9], 2
	s_add_u32 s18, s12, s18
	s_addc_u32 s19, s13, s19
	s_load_dword s7, s[20:21], 0x0
	s_load_dword s11, s[18:19], 0x0
	s_waitcnt lgkmcnt(0)
	s_sub_i32 s7, s7, s11
	s_cmp_eq_u32 s7, 1
	s_cselect_b64 s[18:19], -1, 0
	s_andn2_b64 vcc, exec, s[16:17]
	s_cbranch_vccnz .LBB431_3
.LBB431_2:
	s_mov_b32 s9, 0
	s_mov_b64 s[18:19], -1
.LBB431_3:
	s_andn2_b64 vcc, exec, s[18:19]
	s_cbranch_vccnz .LBB431_10
; %bb.4:
	s_load_dwordx2 s[18:19], s[4:5], 0x28
	s_lshl_b64 s[16:17], s[8:9], 2
	s_waitcnt lgkmcnt(0)
	s_add_u32 s18, s18, s16
	s_addc_u32 s19, s19, s17
	s_load_dword s7, s[18:19], 0x0
	s_lshl_b32 s6, s6, 8
	s_waitcnt lgkmcnt(0)
	s_cmp_ge_i32 s6, s7
	s_cbranch_scc1 .LBB431_10
; %bb.5:
	s_andn2_b64 vcc, exec, s[14:15]
	s_cbranch_vccnz .LBB431_7
; %bb.6:
	s_add_u32 s6, s12, s16
	s_addc_u32 s7, s13, s17
	s_load_dword s8, s[6:7], 0x0
.LBB431_7:
	v_and_b32_e32 v1, 15, v0
	s_movk_i32 s6, 0x60
	v_cmp_gt_u32_e32 vcc, s6, v0
	v_cmp_gt_u32_e64 s[6:7], 8, v1
	s_and_b64 s[12:13], s[6:7], vcc
	s_and_saveexec_b64 s[6:7], s[12:13]
	s_cbranch_execz .LBB431_9
; %bb.8:
	s_load_dword s11, s[4:5], 0x48
	s_load_dwordx2 s[12:13], s[4:5], 0x0
	v_lshrrev_b32_e32 v6, 4, v0
	s_mul_i32 s10, s10, 6
	v_add_lshl_u32 v2, v6, s10, 6
	s_waitcnt lgkmcnt(0)
	s_ashr_i32 s9, s11, 31
	s_mul_hi_u32 s14, s8, s11
	s_mul_i32 s9, s8, s9
	s_add_i32 s9, s14, s9
	s_mul_i32 s8, s8, s11
	s_lshl_b64 s[8:9], s[8:9], 1
	s_add_u32 s8, s12, s8
	v_ashrrev_i32_e32 v3, 31, v2
	s_addc_u32 s9, s13, s9
	v_lshlrev_b64 v[2:3], 1, v[2:3]
	v_mov_b32_e32 v4, s9
	v_add_co_u32_e32 v2, vcc, s8, v2
	v_addc_co_u32_e32 v3, vcc, v4, v3, vcc
	v_lshlrev_b32_e32 v4, 4, v1
	v_add_co_u32_e32 v2, vcc, v2, v4
	v_addc_co_u32_e32 v3, vcc, 0, v3, vcc
	global_load_dwordx4 v[2:5], v[2:3], off
	v_lshlrev_b32_e32 v0, 4, v0
	v_lshlrev_b32_e32 v1, 8, v1
	v_and_b32_e32 v0, 16, v0
	v_lshlrev_b32_e32 v6, 5, v6
	v_and_b32_e32 v1, 0xe00, v1
	v_or3_b32 v0, v1, v6, v0
	s_waitcnt vmcnt(0)
	ds_write_b128 v0, v[2:5]
.LBB431_9:
	s_or_b64 exec, exec, s[6:7]
	s_waitcnt lgkmcnt(0)
	s_add_u32 s8, s4, 0x90
	s_addc_u32 s9, s5, 0
	s_getpc_b64 s[4:5]
	s_add_u32 s4, s4, __PRETTY_FUNCTION__._Z39paged_attention_ll4mi_QKV_mfma16_kernelIDF16_hLN4vllm18Fp8KVCacheDataTypeE1EDF16_Li32ELi64ELi256ELb1ELi6EL8MFMAType1EEvPKT_PKT0_S8_ifPKiSA_SA_iPKfiiiPfSD_PS3_PT2_iSC_SC_@rel32@lo+4
	s_addc_u32 s5, s5, __PRETTY_FUNCTION__._Z39paged_attention_ll4mi_QKV_mfma16_kernelIDF16_hLN4vllm18Fp8KVCacheDataTypeE1EDF16_Li32ELi64ELi256ELb1ELi6EL8MFMAType1EEvPKT_PKT0_S8_ifPKiSA_SA_iPKfiiiPfSD_PS3_PT2_iSC_SC_@rel32@hi+12
	v_mov_b32_e32 v0, 0x288
	v_mov_b32_e32 v1, s4
	;; [unrolled: 1-line block ×3, first 2 shown]
	s_barrier
	s_getpc_b64 s[6:7]
	s_add_u32 s6, s6, __assert_fail@rel32@lo+4
	s_addc_u32 s7, s7, __assert_fail@rel32@hi+12
	s_swappc_b64 s[30:31], s[6:7]
	; divergent unreachable
.LBB431_10:
	s_endpgm
.LBB431_11:
	s_mov_b64 s[18:19], 0
	s_branch .LBB431_2
	.section	.rodata,"a",@progbits
	.p2align	6, 0x0
	.amdhsa_kernel _Z39paged_attention_ll4mi_QKV_mfma16_kernelIDF16_hLN4vllm18Fp8KVCacheDataTypeE1EDF16_Li32ELi64ELi256ELb1ELi6EL8MFMAType1EEvPKT_PKT0_S8_ifPKiSA_SA_iPKfiiiPfSD_PS3_PT2_iSC_SC_
		.amdhsa_group_segment_fixed_size 8192
		.amdhsa_private_segment_fixed_size 64
		.amdhsa_kernarg_size 400
		.amdhsa_user_sgpr_count 8
		.amdhsa_user_sgpr_private_segment_buffer 1
		.amdhsa_user_sgpr_dispatch_ptr 0
		.amdhsa_user_sgpr_queue_ptr 0
		.amdhsa_user_sgpr_kernarg_segment_ptr 1
		.amdhsa_user_sgpr_dispatch_id 0
		.amdhsa_user_sgpr_flat_scratch_init 1
		.amdhsa_user_sgpr_kernarg_preload_length 0
		.amdhsa_user_sgpr_kernarg_preload_offset 0
		.amdhsa_user_sgpr_private_segment_size 0
		.amdhsa_uses_dynamic_stack 0
		.amdhsa_system_sgpr_private_segment_wavefront_offset 1
		.amdhsa_system_sgpr_workgroup_id_x 1
		.amdhsa_system_sgpr_workgroup_id_y 1
		.amdhsa_system_sgpr_workgroup_id_z 1
		.amdhsa_system_sgpr_workgroup_info 0
		.amdhsa_system_vgpr_workitem_id 0
		.amdhsa_next_free_vgpr 45
		.amdhsa_next_free_sgpr 34
		.amdhsa_accum_offset 44
		.amdhsa_reserve_vcc 1
		.amdhsa_reserve_flat_scratch 1
		.amdhsa_float_round_mode_32 0
		.amdhsa_float_round_mode_16_64 0
		.amdhsa_float_denorm_mode_32 3
		.amdhsa_float_denorm_mode_16_64 3
		.amdhsa_dx10_clamp 1
		.amdhsa_ieee_mode 1
		.amdhsa_fp16_overflow 0
		.amdhsa_tg_split 0
		.amdhsa_exception_fp_ieee_invalid_op 0
		.amdhsa_exception_fp_denorm_src 0
		.amdhsa_exception_fp_ieee_div_zero 0
		.amdhsa_exception_fp_ieee_overflow 0
		.amdhsa_exception_fp_ieee_underflow 0
		.amdhsa_exception_fp_ieee_inexact 0
		.amdhsa_exception_int_div_zero 0
	.end_amdhsa_kernel
	.section	.text._Z39paged_attention_ll4mi_QKV_mfma16_kernelIDF16_hLN4vllm18Fp8KVCacheDataTypeE1EDF16_Li32ELi64ELi256ELb1ELi6EL8MFMAType1EEvPKT_PKT0_S8_ifPKiSA_SA_iPKfiiiPfSD_PS3_PT2_iSC_SC_,"axG",@progbits,_Z39paged_attention_ll4mi_QKV_mfma16_kernelIDF16_hLN4vllm18Fp8KVCacheDataTypeE1EDF16_Li32ELi64ELi256ELb1ELi6EL8MFMAType1EEvPKT_PKT0_S8_ifPKiSA_SA_iPKfiiiPfSD_PS3_PT2_iSC_SC_,comdat
.Lfunc_end431:
	.size	_Z39paged_attention_ll4mi_QKV_mfma16_kernelIDF16_hLN4vllm18Fp8KVCacheDataTypeE1EDF16_Li32ELi64ELi256ELb1ELi6EL8MFMAType1EEvPKT_PKT0_S8_ifPKiSA_SA_iPKfiiiPfSD_PS3_PT2_iSC_SC_, .Lfunc_end431-_Z39paged_attention_ll4mi_QKV_mfma16_kernelIDF16_hLN4vllm18Fp8KVCacheDataTypeE1EDF16_Li32ELi64ELi256ELb1ELi6EL8MFMAType1EEvPKT_PKT0_S8_ifPKiSA_SA_iPKfiiiPfSD_PS3_PT2_iSC_SC_
                                        ; -- End function
	.section	.AMDGPU.csdata,"",@progbits
; Kernel info:
; codeLenInByte = 504
; NumSgprs: 40
; NumVgprs: 42
; NumAgprs: 1
; TotalNumVgprs: 45
; ScratchSize: 64
; MemoryBound: 0
; FloatMode: 240
; IeeeMode: 1
; LDSByteSize: 8192 bytes/workgroup (compile time only)
; SGPRBlocks: 4
; VGPRBlocks: 5
; NumSGPRsForWavesPerEU: 40
; NumVGPRsForWavesPerEU: 45
; AccumOffset: 44
; Occupancy: 8
; WaveLimiterHint : 1
; COMPUTE_PGM_RSRC2:SCRATCH_EN: 1
; COMPUTE_PGM_RSRC2:USER_SGPR: 8
; COMPUTE_PGM_RSRC2:TRAP_HANDLER: 0
; COMPUTE_PGM_RSRC2:TGID_X_EN: 1
; COMPUTE_PGM_RSRC2:TGID_Y_EN: 1
; COMPUTE_PGM_RSRC2:TGID_Z_EN: 1
; COMPUTE_PGM_RSRC2:TIDIG_COMP_CNT: 0
; COMPUTE_PGM_RSRC3_GFX90A:ACCUM_OFFSET: 10
; COMPUTE_PGM_RSRC3_GFX90A:TG_SPLIT: 0
	.section	.text._Z39paged_attention_ll4mi_QKV_mfma16_kernelIDF16_hLN4vllm18Fp8KVCacheDataTypeE1EDF16_Li32ELi64ELi256ELb1ELi7EL8MFMAType1EEvPKT_PKT0_S8_ifPKiSA_SA_iPKfiiiPfSD_PS3_PT2_iSC_SC_,"axG",@progbits,_Z39paged_attention_ll4mi_QKV_mfma16_kernelIDF16_hLN4vllm18Fp8KVCacheDataTypeE1EDF16_Li32ELi64ELi256ELb1ELi7EL8MFMAType1EEvPKT_PKT0_S8_ifPKiSA_SA_iPKfiiiPfSD_PS3_PT2_iSC_SC_,comdat
	.protected	_Z39paged_attention_ll4mi_QKV_mfma16_kernelIDF16_hLN4vllm18Fp8KVCacheDataTypeE1EDF16_Li32ELi64ELi256ELb1ELi7EL8MFMAType1EEvPKT_PKT0_S8_ifPKiSA_SA_iPKfiiiPfSD_PS3_PT2_iSC_SC_ ; -- Begin function _Z39paged_attention_ll4mi_QKV_mfma16_kernelIDF16_hLN4vllm18Fp8KVCacheDataTypeE1EDF16_Li32ELi64ELi256ELb1ELi7EL8MFMAType1EEvPKT_PKT0_S8_ifPKiSA_SA_iPKfiiiPfSD_PS3_PT2_iSC_SC_
	.globl	_Z39paged_attention_ll4mi_QKV_mfma16_kernelIDF16_hLN4vllm18Fp8KVCacheDataTypeE1EDF16_Li32ELi64ELi256ELb1ELi7EL8MFMAType1EEvPKT_PKT0_S8_ifPKiSA_SA_iPKfiiiPfSD_PS3_PT2_iSC_SC_
	.p2align	8
	.type	_Z39paged_attention_ll4mi_QKV_mfma16_kernelIDF16_hLN4vllm18Fp8KVCacheDataTypeE1EDF16_Li32ELi64ELi256ELb1ELi7EL8MFMAType1EEvPKT_PKT0_S8_ifPKiSA_SA_iPKfiiiPfSD_PS3_PT2_iSC_SC_,@function
_Z39paged_attention_ll4mi_QKV_mfma16_kernelIDF16_hLN4vllm18Fp8KVCacheDataTypeE1EDF16_Li32ELi64ELi256ELb1ELi7EL8MFMAType1EEvPKT_PKT0_S8_ifPKiSA_SA_iPKfiiiPfSD_PS3_PT2_iSC_SC_: ; @_Z39paged_attention_ll4mi_QKV_mfma16_kernelIDF16_hLN4vllm18Fp8KVCacheDataTypeE1EDF16_Li32ELi64ELi256ELb1ELi7EL8MFMAType1EEvPKT_PKT0_S8_ifPKiSA_SA_iPKfiiiPfSD_PS3_PT2_iSC_SC_
; %bb.0:
	s_load_dwordx2 s[12:13], s[4:5], 0x30
	s_add_u32 flat_scratch_lo, s6, s11
	s_addc_u32 flat_scratch_hi, s7, 0
	s_add_u32 s0, s0, s11
	s_addc_u32 s1, s1, 0
	s_waitcnt lgkmcnt(0)
	s_cmp_lg_u64 s[12:13], 0
	s_cselect_b64 s[14:15], -1, 0
	s_mov_b32 s6, s9
	s_mov_b64 s[16:17], 0
	s_and_b64 vcc, exec, s[14:15]
	s_mov_b32 s32, 0
	s_cbranch_vccz .LBB432_11
; %bb.1:
	s_add_i32 s18, s8, 1
	s_mov_b32 s19, 0
	s_lshl_b64 s[20:21], s[18:19], 2
	s_add_u32 s20, s12, s20
	s_mov_b32 s9, s19
	s_addc_u32 s21, s13, s21
	s_lshl_b64 s[18:19], s[8:9], 2
	s_add_u32 s18, s12, s18
	s_addc_u32 s19, s13, s19
	s_load_dword s7, s[20:21], 0x0
	s_load_dword s11, s[18:19], 0x0
	s_waitcnt lgkmcnt(0)
	s_sub_i32 s7, s7, s11
	s_cmp_eq_u32 s7, 1
	s_cselect_b64 s[18:19], -1, 0
	s_andn2_b64 vcc, exec, s[16:17]
	s_cbranch_vccnz .LBB432_3
.LBB432_2:
	s_mov_b32 s9, 0
	s_mov_b64 s[18:19], -1
.LBB432_3:
	s_andn2_b64 vcc, exec, s[18:19]
	s_cbranch_vccnz .LBB432_10
; %bb.4:
	s_load_dwordx2 s[18:19], s[4:5], 0x28
	s_lshl_b64 s[16:17], s[8:9], 2
	s_waitcnt lgkmcnt(0)
	s_add_u32 s18, s18, s16
	s_addc_u32 s19, s19, s17
	s_load_dword s7, s[18:19], 0x0
	s_lshl_b32 s6, s6, 8
	s_waitcnt lgkmcnt(0)
	s_cmp_ge_i32 s6, s7
	s_cbranch_scc1 .LBB432_10
; %bb.5:
	s_andn2_b64 vcc, exec, s[14:15]
	s_cbranch_vccnz .LBB432_7
; %bb.6:
	s_add_u32 s6, s12, s16
	s_addc_u32 s7, s13, s17
	s_load_dword s8, s[6:7], 0x0
.LBB432_7:
	v_and_b32_e32 v1, 15, v0
	s_movk_i32 s6, 0x70
	v_cmp_gt_u32_e32 vcc, s6, v0
	v_cmp_gt_u32_e64 s[6:7], 8, v1
	s_and_b64 s[12:13], s[6:7], vcc
	s_and_saveexec_b64 s[6:7], s[12:13]
	s_cbranch_execz .LBB432_9
; %bb.8:
	s_load_dword s11, s[4:5], 0x48
	s_load_dwordx2 s[12:13], s[4:5], 0x0
	v_lshrrev_b32_e32 v6, 4, v0
	s_mul_i32 s10, s10, 7
	v_add_lshl_u32 v2, v6, s10, 6
	s_waitcnt lgkmcnt(0)
	s_ashr_i32 s9, s11, 31
	s_mul_hi_u32 s14, s8, s11
	s_mul_i32 s9, s8, s9
	s_add_i32 s9, s14, s9
	s_mul_i32 s8, s8, s11
	s_lshl_b64 s[8:9], s[8:9], 1
	s_add_u32 s8, s12, s8
	v_ashrrev_i32_e32 v3, 31, v2
	s_addc_u32 s9, s13, s9
	v_lshlrev_b64 v[2:3], 1, v[2:3]
	v_mov_b32_e32 v4, s9
	v_add_co_u32_e32 v2, vcc, s8, v2
	v_addc_co_u32_e32 v3, vcc, v4, v3, vcc
	v_lshlrev_b32_e32 v4, 4, v1
	v_add_co_u32_e32 v2, vcc, v2, v4
	v_addc_co_u32_e32 v3, vcc, 0, v3, vcc
	global_load_dwordx4 v[2:5], v[2:3], off
	v_lshlrev_b32_e32 v0, 4, v0
	v_lshlrev_b32_e32 v1, 8, v1
	v_and_b32_e32 v0, 16, v0
	v_lshlrev_b32_e32 v6, 5, v6
	v_and_b32_e32 v1, 0xe00, v1
	v_or3_b32 v0, v1, v6, v0
	s_waitcnt vmcnt(0)
	ds_write_b128 v0, v[2:5]
.LBB432_9:
	s_or_b64 exec, exec, s[6:7]
	s_waitcnt lgkmcnt(0)
	s_add_u32 s8, s4, 0x90
	s_addc_u32 s9, s5, 0
	s_getpc_b64 s[4:5]
	s_add_u32 s4, s4, __PRETTY_FUNCTION__._Z39paged_attention_ll4mi_QKV_mfma16_kernelIDF16_hLN4vllm18Fp8KVCacheDataTypeE1EDF16_Li32ELi64ELi256ELb1ELi7EL8MFMAType1EEvPKT_PKT0_S8_ifPKiSA_SA_iPKfiiiPfSD_PS3_PT2_iSC_SC_@rel32@lo+4
	s_addc_u32 s5, s5, __PRETTY_FUNCTION__._Z39paged_attention_ll4mi_QKV_mfma16_kernelIDF16_hLN4vllm18Fp8KVCacheDataTypeE1EDF16_Li32ELi64ELi256ELb1ELi7EL8MFMAType1EEvPKT_PKT0_S8_ifPKiSA_SA_iPKfiiiPfSD_PS3_PT2_iSC_SC_@rel32@hi+12
	v_mov_b32_e32 v0, 0x288
	v_mov_b32_e32 v1, s4
	;; [unrolled: 1-line block ×3, first 2 shown]
	s_barrier
	s_getpc_b64 s[6:7]
	s_add_u32 s6, s6, __assert_fail@rel32@lo+4
	s_addc_u32 s7, s7, __assert_fail@rel32@hi+12
	s_swappc_b64 s[30:31], s[6:7]
	; divergent unreachable
.LBB432_10:
	s_endpgm
.LBB432_11:
	s_mov_b64 s[18:19], 0
	s_branch .LBB432_2
	.section	.rodata,"a",@progbits
	.p2align	6, 0x0
	.amdhsa_kernel _Z39paged_attention_ll4mi_QKV_mfma16_kernelIDF16_hLN4vllm18Fp8KVCacheDataTypeE1EDF16_Li32ELi64ELi256ELb1ELi7EL8MFMAType1EEvPKT_PKT0_S8_ifPKiSA_SA_iPKfiiiPfSD_PS3_PT2_iSC_SC_
		.amdhsa_group_segment_fixed_size 8192
		.amdhsa_private_segment_fixed_size 64
		.amdhsa_kernarg_size 400
		.amdhsa_user_sgpr_count 8
		.amdhsa_user_sgpr_private_segment_buffer 1
		.amdhsa_user_sgpr_dispatch_ptr 0
		.amdhsa_user_sgpr_queue_ptr 0
		.amdhsa_user_sgpr_kernarg_segment_ptr 1
		.amdhsa_user_sgpr_dispatch_id 0
		.amdhsa_user_sgpr_flat_scratch_init 1
		.amdhsa_user_sgpr_kernarg_preload_length 0
		.amdhsa_user_sgpr_kernarg_preload_offset 0
		.amdhsa_user_sgpr_private_segment_size 0
		.amdhsa_uses_dynamic_stack 0
		.amdhsa_system_sgpr_private_segment_wavefront_offset 1
		.amdhsa_system_sgpr_workgroup_id_x 1
		.amdhsa_system_sgpr_workgroup_id_y 1
		.amdhsa_system_sgpr_workgroup_id_z 1
		.amdhsa_system_sgpr_workgroup_info 0
		.amdhsa_system_vgpr_workitem_id 0
		.amdhsa_next_free_vgpr 45
		.amdhsa_next_free_sgpr 34
		.amdhsa_accum_offset 44
		.amdhsa_reserve_vcc 1
		.amdhsa_reserve_flat_scratch 1
		.amdhsa_float_round_mode_32 0
		.amdhsa_float_round_mode_16_64 0
		.amdhsa_float_denorm_mode_32 3
		.amdhsa_float_denorm_mode_16_64 3
		.amdhsa_dx10_clamp 1
		.amdhsa_ieee_mode 1
		.amdhsa_fp16_overflow 0
		.amdhsa_tg_split 0
		.amdhsa_exception_fp_ieee_invalid_op 0
		.amdhsa_exception_fp_denorm_src 0
		.amdhsa_exception_fp_ieee_div_zero 0
		.amdhsa_exception_fp_ieee_overflow 0
		.amdhsa_exception_fp_ieee_underflow 0
		.amdhsa_exception_fp_ieee_inexact 0
		.amdhsa_exception_int_div_zero 0
	.end_amdhsa_kernel
	.section	.text._Z39paged_attention_ll4mi_QKV_mfma16_kernelIDF16_hLN4vllm18Fp8KVCacheDataTypeE1EDF16_Li32ELi64ELi256ELb1ELi7EL8MFMAType1EEvPKT_PKT0_S8_ifPKiSA_SA_iPKfiiiPfSD_PS3_PT2_iSC_SC_,"axG",@progbits,_Z39paged_attention_ll4mi_QKV_mfma16_kernelIDF16_hLN4vllm18Fp8KVCacheDataTypeE1EDF16_Li32ELi64ELi256ELb1ELi7EL8MFMAType1EEvPKT_PKT0_S8_ifPKiSA_SA_iPKfiiiPfSD_PS3_PT2_iSC_SC_,comdat
.Lfunc_end432:
	.size	_Z39paged_attention_ll4mi_QKV_mfma16_kernelIDF16_hLN4vllm18Fp8KVCacheDataTypeE1EDF16_Li32ELi64ELi256ELb1ELi7EL8MFMAType1EEvPKT_PKT0_S8_ifPKiSA_SA_iPKfiiiPfSD_PS3_PT2_iSC_SC_, .Lfunc_end432-_Z39paged_attention_ll4mi_QKV_mfma16_kernelIDF16_hLN4vllm18Fp8KVCacheDataTypeE1EDF16_Li32ELi64ELi256ELb1ELi7EL8MFMAType1EEvPKT_PKT0_S8_ifPKiSA_SA_iPKfiiiPfSD_PS3_PT2_iSC_SC_
                                        ; -- End function
	.section	.AMDGPU.csdata,"",@progbits
; Kernel info:
; codeLenInByte = 504
; NumSgprs: 40
; NumVgprs: 42
; NumAgprs: 1
; TotalNumVgprs: 45
; ScratchSize: 64
; MemoryBound: 0
; FloatMode: 240
; IeeeMode: 1
; LDSByteSize: 8192 bytes/workgroup (compile time only)
; SGPRBlocks: 4
; VGPRBlocks: 5
; NumSGPRsForWavesPerEU: 40
; NumVGPRsForWavesPerEU: 45
; AccumOffset: 44
; Occupancy: 8
; WaveLimiterHint : 1
; COMPUTE_PGM_RSRC2:SCRATCH_EN: 1
; COMPUTE_PGM_RSRC2:USER_SGPR: 8
; COMPUTE_PGM_RSRC2:TRAP_HANDLER: 0
; COMPUTE_PGM_RSRC2:TGID_X_EN: 1
; COMPUTE_PGM_RSRC2:TGID_Y_EN: 1
; COMPUTE_PGM_RSRC2:TGID_Z_EN: 1
; COMPUTE_PGM_RSRC2:TIDIG_COMP_CNT: 0
; COMPUTE_PGM_RSRC3_GFX90A:ACCUM_OFFSET: 10
; COMPUTE_PGM_RSRC3_GFX90A:TG_SPLIT: 0
	.section	.text._Z39paged_attention_ll4mi_QKV_mfma16_kernelIDF16_hLN4vllm18Fp8KVCacheDataTypeE1EDF16_Li32ELi64ELi256ELb1ELi8EL8MFMAType1EEvPKT_PKT0_S8_ifPKiSA_SA_iPKfiiiPfSD_PS3_PT2_iSC_SC_,"axG",@progbits,_Z39paged_attention_ll4mi_QKV_mfma16_kernelIDF16_hLN4vllm18Fp8KVCacheDataTypeE1EDF16_Li32ELi64ELi256ELb1ELi8EL8MFMAType1EEvPKT_PKT0_S8_ifPKiSA_SA_iPKfiiiPfSD_PS3_PT2_iSC_SC_,comdat
	.protected	_Z39paged_attention_ll4mi_QKV_mfma16_kernelIDF16_hLN4vllm18Fp8KVCacheDataTypeE1EDF16_Li32ELi64ELi256ELb1ELi8EL8MFMAType1EEvPKT_PKT0_S8_ifPKiSA_SA_iPKfiiiPfSD_PS3_PT2_iSC_SC_ ; -- Begin function _Z39paged_attention_ll4mi_QKV_mfma16_kernelIDF16_hLN4vllm18Fp8KVCacheDataTypeE1EDF16_Li32ELi64ELi256ELb1ELi8EL8MFMAType1EEvPKT_PKT0_S8_ifPKiSA_SA_iPKfiiiPfSD_PS3_PT2_iSC_SC_
	.globl	_Z39paged_attention_ll4mi_QKV_mfma16_kernelIDF16_hLN4vllm18Fp8KVCacheDataTypeE1EDF16_Li32ELi64ELi256ELb1ELi8EL8MFMAType1EEvPKT_PKT0_S8_ifPKiSA_SA_iPKfiiiPfSD_PS3_PT2_iSC_SC_
	.p2align	8
	.type	_Z39paged_attention_ll4mi_QKV_mfma16_kernelIDF16_hLN4vllm18Fp8KVCacheDataTypeE1EDF16_Li32ELi64ELi256ELb1ELi8EL8MFMAType1EEvPKT_PKT0_S8_ifPKiSA_SA_iPKfiiiPfSD_PS3_PT2_iSC_SC_,@function
_Z39paged_attention_ll4mi_QKV_mfma16_kernelIDF16_hLN4vllm18Fp8KVCacheDataTypeE1EDF16_Li32ELi64ELi256ELb1ELi8EL8MFMAType1EEvPKT_PKT0_S8_ifPKiSA_SA_iPKfiiiPfSD_PS3_PT2_iSC_SC_: ; @_Z39paged_attention_ll4mi_QKV_mfma16_kernelIDF16_hLN4vllm18Fp8KVCacheDataTypeE1EDF16_Li32ELi64ELi256ELb1ELi8EL8MFMAType1EEvPKT_PKT0_S8_ifPKiSA_SA_iPKfiiiPfSD_PS3_PT2_iSC_SC_
; %bb.0:
	s_load_dwordx2 s[12:13], s[4:5], 0x30
	s_add_u32 flat_scratch_lo, s6, s11
	s_addc_u32 flat_scratch_hi, s7, 0
	s_add_u32 s0, s0, s11
	s_addc_u32 s1, s1, 0
	s_waitcnt lgkmcnt(0)
	s_cmp_lg_u64 s[12:13], 0
	s_cselect_b64 s[14:15], -1, 0
	s_mov_b32 s6, s9
	s_mov_b64 s[16:17], 0
	s_and_b64 vcc, exec, s[14:15]
	s_mov_b32 s32, 0
	s_cbranch_vccz .LBB433_11
; %bb.1:
	s_add_i32 s18, s8, 1
	s_mov_b32 s19, 0
	s_lshl_b64 s[20:21], s[18:19], 2
	s_add_u32 s20, s12, s20
	s_mov_b32 s9, s19
	s_addc_u32 s21, s13, s21
	s_lshl_b64 s[18:19], s[8:9], 2
	s_add_u32 s18, s12, s18
	s_addc_u32 s19, s13, s19
	s_load_dword s7, s[20:21], 0x0
	s_load_dword s11, s[18:19], 0x0
	s_waitcnt lgkmcnt(0)
	s_sub_i32 s7, s7, s11
	s_cmp_eq_u32 s7, 1
	s_cselect_b64 s[18:19], -1, 0
	s_andn2_b64 vcc, exec, s[16:17]
	s_cbranch_vccnz .LBB433_3
.LBB433_2:
	s_mov_b32 s9, 0
	s_mov_b64 s[18:19], -1
.LBB433_3:
	s_andn2_b64 vcc, exec, s[18:19]
	s_cbranch_vccnz .LBB433_10
; %bb.4:
	s_load_dwordx2 s[18:19], s[4:5], 0x28
	s_lshl_b64 s[16:17], s[8:9], 2
	s_waitcnt lgkmcnt(0)
	s_add_u32 s18, s18, s16
	s_addc_u32 s19, s19, s17
	s_load_dword s7, s[18:19], 0x0
	s_lshl_b32 s6, s6, 8
	s_waitcnt lgkmcnt(0)
	s_cmp_ge_i32 s6, s7
	s_cbranch_scc1 .LBB433_10
; %bb.5:
	s_andn2_b64 vcc, exec, s[14:15]
	s_cbranch_vccnz .LBB433_7
; %bb.6:
	s_add_u32 s6, s12, s16
	s_addc_u32 s7, s13, s17
	s_load_dword s8, s[6:7], 0x0
.LBB433_7:
	v_and_b32_e32 v1, 15, v0
	s_movk_i32 s6, 0x80
	v_cmp_gt_u32_e32 vcc, s6, v0
	v_cmp_gt_u32_e64 s[6:7], 8, v1
	s_and_b64 s[12:13], vcc, s[6:7]
	s_and_saveexec_b64 s[6:7], s[12:13]
	s_cbranch_execz .LBB433_9
; %bb.8:
	s_load_dword s9, s[4:5], 0x48
	s_load_dwordx2 s[12:13], s[4:5], 0x0
	v_lshrrev_b32_e32 v6, 4, v0
	v_lshlrev_b32_e32 v2, 6, v6
	v_lshl_or_b32 v2, s10, 9, v2
	s_waitcnt lgkmcnt(0)
	s_ashr_i32 s11, s9, 31
	s_mul_hi_u32 s15, s8, s9
	s_mul_i32 s14, s8, s9
	s_mul_i32 s8, s8, s11
	s_add_i32 s15, s15, s8
	s_lshl_b64 s[8:9], s[14:15], 1
	s_add_u32 s8, s12, s8
	v_ashrrev_i32_e32 v3, 31, v2
	s_addc_u32 s9, s13, s9
	v_lshlrev_b64 v[2:3], 1, v[2:3]
	v_mov_b32_e32 v4, s9
	v_add_co_u32_e32 v2, vcc, s8, v2
	v_addc_co_u32_e32 v3, vcc, v4, v3, vcc
	v_lshlrev_b32_e32 v4, 4, v1
	v_add_co_u32_e32 v2, vcc, v2, v4
	v_addc_co_u32_e32 v3, vcc, 0, v3, vcc
	global_load_dwordx4 v[2:5], v[2:3], off
	v_lshlrev_b32_e32 v0, 4, v0
	v_lshlrev_b32_e32 v1, 8, v1
	v_and_b32_e32 v0, 16, v0
	v_lshlrev_b32_e32 v6, 5, v6
	v_and_b32_e32 v1, 0xe00, v1
	v_or3_b32 v0, v1, v6, v0
	s_waitcnt vmcnt(0)
	ds_write_b128 v0, v[2:5]
.LBB433_9:
	s_or_b64 exec, exec, s[6:7]
	s_waitcnt lgkmcnt(0)
	s_add_u32 s8, s4, 0x90
	s_addc_u32 s9, s5, 0
	s_getpc_b64 s[4:5]
	s_add_u32 s4, s4, __PRETTY_FUNCTION__._Z39paged_attention_ll4mi_QKV_mfma16_kernelIDF16_hLN4vllm18Fp8KVCacheDataTypeE1EDF16_Li32ELi64ELi256ELb1ELi8EL8MFMAType1EEvPKT_PKT0_S8_ifPKiSA_SA_iPKfiiiPfSD_PS3_PT2_iSC_SC_@rel32@lo+4
	s_addc_u32 s5, s5, __PRETTY_FUNCTION__._Z39paged_attention_ll4mi_QKV_mfma16_kernelIDF16_hLN4vllm18Fp8KVCacheDataTypeE1EDF16_Li32ELi64ELi256ELb1ELi8EL8MFMAType1EEvPKT_PKT0_S8_ifPKiSA_SA_iPKfiiiPfSD_PS3_PT2_iSC_SC_@rel32@hi+12
	v_mov_b32_e32 v0, 0x288
	v_mov_b32_e32 v1, s4
	;; [unrolled: 1-line block ×3, first 2 shown]
	s_barrier
	s_getpc_b64 s[6:7]
	s_add_u32 s6, s6, __assert_fail@rel32@lo+4
	s_addc_u32 s7, s7, __assert_fail@rel32@hi+12
	s_swappc_b64 s[30:31], s[6:7]
	; divergent unreachable
.LBB433_10:
	s_endpgm
.LBB433_11:
	s_mov_b64 s[18:19], 0
	s_branch .LBB433_2
	.section	.rodata,"a",@progbits
	.p2align	6, 0x0
	.amdhsa_kernel _Z39paged_attention_ll4mi_QKV_mfma16_kernelIDF16_hLN4vllm18Fp8KVCacheDataTypeE1EDF16_Li32ELi64ELi256ELb1ELi8EL8MFMAType1EEvPKT_PKT0_S8_ifPKiSA_SA_iPKfiiiPfSD_PS3_PT2_iSC_SC_
		.amdhsa_group_segment_fixed_size 8192
		.amdhsa_private_segment_fixed_size 64
		.amdhsa_kernarg_size 400
		.amdhsa_user_sgpr_count 8
		.amdhsa_user_sgpr_private_segment_buffer 1
		.amdhsa_user_sgpr_dispatch_ptr 0
		.amdhsa_user_sgpr_queue_ptr 0
		.amdhsa_user_sgpr_kernarg_segment_ptr 1
		.amdhsa_user_sgpr_dispatch_id 0
		.amdhsa_user_sgpr_flat_scratch_init 1
		.amdhsa_user_sgpr_kernarg_preload_length 0
		.amdhsa_user_sgpr_kernarg_preload_offset 0
		.amdhsa_user_sgpr_private_segment_size 0
		.amdhsa_uses_dynamic_stack 0
		.amdhsa_system_sgpr_private_segment_wavefront_offset 1
		.amdhsa_system_sgpr_workgroup_id_x 1
		.amdhsa_system_sgpr_workgroup_id_y 1
		.amdhsa_system_sgpr_workgroup_id_z 1
		.amdhsa_system_sgpr_workgroup_info 0
		.amdhsa_system_vgpr_workitem_id 0
		.amdhsa_next_free_vgpr 45
		.amdhsa_next_free_sgpr 34
		.amdhsa_accum_offset 44
		.amdhsa_reserve_vcc 1
		.amdhsa_reserve_flat_scratch 1
		.amdhsa_float_round_mode_32 0
		.amdhsa_float_round_mode_16_64 0
		.amdhsa_float_denorm_mode_32 3
		.amdhsa_float_denorm_mode_16_64 3
		.amdhsa_dx10_clamp 1
		.amdhsa_ieee_mode 1
		.amdhsa_fp16_overflow 0
		.amdhsa_tg_split 0
		.amdhsa_exception_fp_ieee_invalid_op 0
		.amdhsa_exception_fp_denorm_src 0
		.amdhsa_exception_fp_ieee_div_zero 0
		.amdhsa_exception_fp_ieee_overflow 0
		.amdhsa_exception_fp_ieee_underflow 0
		.amdhsa_exception_fp_ieee_inexact 0
		.amdhsa_exception_int_div_zero 0
	.end_amdhsa_kernel
	.section	.text._Z39paged_attention_ll4mi_QKV_mfma16_kernelIDF16_hLN4vllm18Fp8KVCacheDataTypeE1EDF16_Li32ELi64ELi256ELb1ELi8EL8MFMAType1EEvPKT_PKT0_S8_ifPKiSA_SA_iPKfiiiPfSD_PS3_PT2_iSC_SC_,"axG",@progbits,_Z39paged_attention_ll4mi_QKV_mfma16_kernelIDF16_hLN4vllm18Fp8KVCacheDataTypeE1EDF16_Li32ELi64ELi256ELb1ELi8EL8MFMAType1EEvPKT_PKT0_S8_ifPKiSA_SA_iPKfiiiPfSD_PS3_PT2_iSC_SC_,comdat
.Lfunc_end433:
	.size	_Z39paged_attention_ll4mi_QKV_mfma16_kernelIDF16_hLN4vllm18Fp8KVCacheDataTypeE1EDF16_Li32ELi64ELi256ELb1ELi8EL8MFMAType1EEvPKT_PKT0_S8_ifPKiSA_SA_iPKfiiiPfSD_PS3_PT2_iSC_SC_, .Lfunc_end433-_Z39paged_attention_ll4mi_QKV_mfma16_kernelIDF16_hLN4vllm18Fp8KVCacheDataTypeE1EDF16_Li32ELi64ELi256ELb1ELi8EL8MFMAType1EEvPKT_PKT0_S8_ifPKiSA_SA_iPKfiiiPfSD_PS3_PT2_iSC_SC_
                                        ; -- End function
	.section	.AMDGPU.csdata,"",@progbits
; Kernel info:
; codeLenInByte = 504
; NumSgprs: 40
; NumVgprs: 42
; NumAgprs: 1
; TotalNumVgprs: 45
; ScratchSize: 64
; MemoryBound: 0
; FloatMode: 240
; IeeeMode: 1
; LDSByteSize: 8192 bytes/workgroup (compile time only)
; SGPRBlocks: 4
; VGPRBlocks: 5
; NumSGPRsForWavesPerEU: 40
; NumVGPRsForWavesPerEU: 45
; AccumOffset: 44
; Occupancy: 8
; WaveLimiterHint : 1
; COMPUTE_PGM_RSRC2:SCRATCH_EN: 1
; COMPUTE_PGM_RSRC2:USER_SGPR: 8
; COMPUTE_PGM_RSRC2:TRAP_HANDLER: 0
; COMPUTE_PGM_RSRC2:TGID_X_EN: 1
; COMPUTE_PGM_RSRC2:TGID_Y_EN: 1
; COMPUTE_PGM_RSRC2:TGID_Z_EN: 1
; COMPUTE_PGM_RSRC2:TIDIG_COMP_CNT: 0
; COMPUTE_PGM_RSRC3_GFX90A:ACCUM_OFFSET: 10
; COMPUTE_PGM_RSRC3_GFX90A:TG_SPLIT: 0
	.section	.text._Z39paged_attention_ll4mi_QKV_mfma16_kernelIDF16_hLN4vllm18Fp8KVCacheDataTypeE1EDF16_Li32ELi64ELi256ELb1ELi9EL8MFMAType1EEvPKT_PKT0_S8_ifPKiSA_SA_iPKfiiiPfSD_PS3_PT2_iSC_SC_,"axG",@progbits,_Z39paged_attention_ll4mi_QKV_mfma16_kernelIDF16_hLN4vllm18Fp8KVCacheDataTypeE1EDF16_Li32ELi64ELi256ELb1ELi9EL8MFMAType1EEvPKT_PKT0_S8_ifPKiSA_SA_iPKfiiiPfSD_PS3_PT2_iSC_SC_,comdat
	.protected	_Z39paged_attention_ll4mi_QKV_mfma16_kernelIDF16_hLN4vllm18Fp8KVCacheDataTypeE1EDF16_Li32ELi64ELi256ELb1ELi9EL8MFMAType1EEvPKT_PKT0_S8_ifPKiSA_SA_iPKfiiiPfSD_PS3_PT2_iSC_SC_ ; -- Begin function _Z39paged_attention_ll4mi_QKV_mfma16_kernelIDF16_hLN4vllm18Fp8KVCacheDataTypeE1EDF16_Li32ELi64ELi256ELb1ELi9EL8MFMAType1EEvPKT_PKT0_S8_ifPKiSA_SA_iPKfiiiPfSD_PS3_PT2_iSC_SC_
	.globl	_Z39paged_attention_ll4mi_QKV_mfma16_kernelIDF16_hLN4vllm18Fp8KVCacheDataTypeE1EDF16_Li32ELi64ELi256ELb1ELi9EL8MFMAType1EEvPKT_PKT0_S8_ifPKiSA_SA_iPKfiiiPfSD_PS3_PT2_iSC_SC_
	.p2align	8
	.type	_Z39paged_attention_ll4mi_QKV_mfma16_kernelIDF16_hLN4vllm18Fp8KVCacheDataTypeE1EDF16_Li32ELi64ELi256ELb1ELi9EL8MFMAType1EEvPKT_PKT0_S8_ifPKiSA_SA_iPKfiiiPfSD_PS3_PT2_iSC_SC_,@function
_Z39paged_attention_ll4mi_QKV_mfma16_kernelIDF16_hLN4vllm18Fp8KVCacheDataTypeE1EDF16_Li32ELi64ELi256ELb1ELi9EL8MFMAType1EEvPKT_PKT0_S8_ifPKiSA_SA_iPKfiiiPfSD_PS3_PT2_iSC_SC_: ; @_Z39paged_attention_ll4mi_QKV_mfma16_kernelIDF16_hLN4vllm18Fp8KVCacheDataTypeE1EDF16_Li32ELi64ELi256ELb1ELi9EL8MFMAType1EEvPKT_PKT0_S8_ifPKiSA_SA_iPKfiiiPfSD_PS3_PT2_iSC_SC_
; %bb.0:
	s_load_dwordx2 s[12:13], s[4:5], 0x30
	s_add_u32 flat_scratch_lo, s6, s11
	s_addc_u32 flat_scratch_hi, s7, 0
	s_add_u32 s0, s0, s11
	s_addc_u32 s1, s1, 0
	s_waitcnt lgkmcnt(0)
	s_cmp_lg_u64 s[12:13], 0
	s_cselect_b64 s[14:15], -1, 0
	s_mov_b32 s6, s9
	s_mov_b64 s[16:17], 0
	s_and_b64 vcc, exec, s[14:15]
	s_mov_b32 s32, 0
	s_cbranch_vccz .LBB434_11
; %bb.1:
	s_add_i32 s18, s8, 1
	s_mov_b32 s19, 0
	s_lshl_b64 s[20:21], s[18:19], 2
	s_add_u32 s20, s12, s20
	s_mov_b32 s9, s19
	s_addc_u32 s21, s13, s21
	s_lshl_b64 s[18:19], s[8:9], 2
	s_add_u32 s18, s12, s18
	s_addc_u32 s19, s13, s19
	s_load_dword s7, s[20:21], 0x0
	s_load_dword s11, s[18:19], 0x0
	s_waitcnt lgkmcnt(0)
	s_sub_i32 s7, s7, s11
	s_cmp_eq_u32 s7, 1
	s_cselect_b64 s[18:19], -1, 0
	s_andn2_b64 vcc, exec, s[16:17]
	s_cbranch_vccnz .LBB434_3
.LBB434_2:
	s_mov_b32 s9, 0
	s_mov_b64 s[18:19], -1
.LBB434_3:
	s_andn2_b64 vcc, exec, s[18:19]
	s_cbranch_vccnz .LBB434_10
; %bb.4:
	s_load_dwordx2 s[18:19], s[4:5], 0x28
	s_lshl_b64 s[16:17], s[8:9], 2
	s_waitcnt lgkmcnt(0)
	s_add_u32 s18, s18, s16
	s_addc_u32 s19, s19, s17
	s_load_dword s7, s[18:19], 0x0
	s_lshl_b32 s6, s6, 8
	s_waitcnt lgkmcnt(0)
	s_cmp_ge_i32 s6, s7
	s_cbranch_scc1 .LBB434_10
; %bb.5:
	s_andn2_b64 vcc, exec, s[14:15]
	s_cbranch_vccnz .LBB434_7
; %bb.6:
	s_add_u32 s6, s12, s16
	s_addc_u32 s7, s13, s17
	s_load_dword s8, s[6:7], 0x0
.LBB434_7:
	v_and_b32_e32 v1, 15, v0
	s_movk_i32 s6, 0x90
	v_cmp_gt_u32_e32 vcc, s6, v0
	v_cmp_gt_u32_e64 s[6:7], 8, v1
	s_and_b64 s[12:13], s[6:7], vcc
	s_and_saveexec_b64 s[6:7], s[12:13]
	s_cbranch_execz .LBB434_9
; %bb.8:
	s_load_dword s11, s[4:5], 0x48
	s_load_dwordx2 s[12:13], s[4:5], 0x0
	v_lshrrev_b32_e32 v6, 4, v0
	s_mul_i32 s10, s10, 9
	v_add_lshl_u32 v2, v6, s10, 6
	s_waitcnt lgkmcnt(0)
	s_ashr_i32 s9, s11, 31
	s_mul_hi_u32 s14, s8, s11
	s_mul_i32 s9, s8, s9
	s_add_i32 s9, s14, s9
	s_mul_i32 s8, s8, s11
	s_lshl_b64 s[8:9], s[8:9], 1
	s_add_u32 s8, s12, s8
	v_ashrrev_i32_e32 v3, 31, v2
	s_addc_u32 s9, s13, s9
	v_lshlrev_b64 v[2:3], 1, v[2:3]
	v_mov_b32_e32 v4, s9
	v_add_co_u32_e32 v2, vcc, s8, v2
	v_addc_co_u32_e32 v3, vcc, v4, v3, vcc
	v_lshlrev_b32_e32 v4, 4, v1
	v_add_co_u32_e32 v2, vcc, v2, v4
	v_addc_co_u32_e32 v3, vcc, 0, v3, vcc
	global_load_dwordx4 v[2:5], v[2:3], off
	v_lshlrev_b32_e32 v0, 4, v0
	v_lshlrev_b32_e32 v1, 8, v1
	v_and_b32_e32 v0, 16, v0
	v_lshlrev_b32_e32 v6, 5, v6
	v_and_b32_e32 v1, 0xe00, v1
	v_or3_b32 v0, v1, v6, v0
	s_waitcnt vmcnt(0)
	ds_write_b128 v0, v[2:5]
.LBB434_9:
	s_or_b64 exec, exec, s[6:7]
	s_waitcnt lgkmcnt(0)
	s_add_u32 s8, s4, 0x90
	s_addc_u32 s9, s5, 0
	s_getpc_b64 s[4:5]
	s_add_u32 s4, s4, __PRETTY_FUNCTION__._Z39paged_attention_ll4mi_QKV_mfma16_kernelIDF16_hLN4vllm18Fp8KVCacheDataTypeE1EDF16_Li32ELi64ELi256ELb1ELi9EL8MFMAType1EEvPKT_PKT0_S8_ifPKiSA_SA_iPKfiiiPfSD_PS3_PT2_iSC_SC_@rel32@lo+4
	s_addc_u32 s5, s5, __PRETTY_FUNCTION__._Z39paged_attention_ll4mi_QKV_mfma16_kernelIDF16_hLN4vllm18Fp8KVCacheDataTypeE1EDF16_Li32ELi64ELi256ELb1ELi9EL8MFMAType1EEvPKT_PKT0_S8_ifPKiSA_SA_iPKfiiiPfSD_PS3_PT2_iSC_SC_@rel32@hi+12
	v_mov_b32_e32 v0, 0x288
	v_mov_b32_e32 v1, s4
	;; [unrolled: 1-line block ×3, first 2 shown]
	s_barrier
	s_getpc_b64 s[6:7]
	s_add_u32 s6, s6, __assert_fail@rel32@lo+4
	s_addc_u32 s7, s7, __assert_fail@rel32@hi+12
	s_swappc_b64 s[30:31], s[6:7]
	; divergent unreachable
.LBB434_10:
	s_endpgm
.LBB434_11:
	s_mov_b64 s[18:19], 0
	s_branch .LBB434_2
	.section	.rodata,"a",@progbits
	.p2align	6, 0x0
	.amdhsa_kernel _Z39paged_attention_ll4mi_QKV_mfma16_kernelIDF16_hLN4vllm18Fp8KVCacheDataTypeE1EDF16_Li32ELi64ELi256ELb1ELi9EL8MFMAType1EEvPKT_PKT0_S8_ifPKiSA_SA_iPKfiiiPfSD_PS3_PT2_iSC_SC_
		.amdhsa_group_segment_fixed_size 8192
		.amdhsa_private_segment_fixed_size 64
		.amdhsa_kernarg_size 400
		.amdhsa_user_sgpr_count 8
		.amdhsa_user_sgpr_private_segment_buffer 1
		.amdhsa_user_sgpr_dispatch_ptr 0
		.amdhsa_user_sgpr_queue_ptr 0
		.amdhsa_user_sgpr_kernarg_segment_ptr 1
		.amdhsa_user_sgpr_dispatch_id 0
		.amdhsa_user_sgpr_flat_scratch_init 1
		.amdhsa_user_sgpr_kernarg_preload_length 0
		.amdhsa_user_sgpr_kernarg_preload_offset 0
		.amdhsa_user_sgpr_private_segment_size 0
		.amdhsa_uses_dynamic_stack 0
		.amdhsa_system_sgpr_private_segment_wavefront_offset 1
		.amdhsa_system_sgpr_workgroup_id_x 1
		.amdhsa_system_sgpr_workgroup_id_y 1
		.amdhsa_system_sgpr_workgroup_id_z 1
		.amdhsa_system_sgpr_workgroup_info 0
		.amdhsa_system_vgpr_workitem_id 0
		.amdhsa_next_free_vgpr 45
		.amdhsa_next_free_sgpr 34
		.amdhsa_accum_offset 44
		.amdhsa_reserve_vcc 1
		.amdhsa_reserve_flat_scratch 1
		.amdhsa_float_round_mode_32 0
		.amdhsa_float_round_mode_16_64 0
		.amdhsa_float_denorm_mode_32 3
		.amdhsa_float_denorm_mode_16_64 3
		.amdhsa_dx10_clamp 1
		.amdhsa_ieee_mode 1
		.amdhsa_fp16_overflow 0
		.amdhsa_tg_split 0
		.amdhsa_exception_fp_ieee_invalid_op 0
		.amdhsa_exception_fp_denorm_src 0
		.amdhsa_exception_fp_ieee_div_zero 0
		.amdhsa_exception_fp_ieee_overflow 0
		.amdhsa_exception_fp_ieee_underflow 0
		.amdhsa_exception_fp_ieee_inexact 0
		.amdhsa_exception_int_div_zero 0
	.end_amdhsa_kernel
	.section	.text._Z39paged_attention_ll4mi_QKV_mfma16_kernelIDF16_hLN4vllm18Fp8KVCacheDataTypeE1EDF16_Li32ELi64ELi256ELb1ELi9EL8MFMAType1EEvPKT_PKT0_S8_ifPKiSA_SA_iPKfiiiPfSD_PS3_PT2_iSC_SC_,"axG",@progbits,_Z39paged_attention_ll4mi_QKV_mfma16_kernelIDF16_hLN4vllm18Fp8KVCacheDataTypeE1EDF16_Li32ELi64ELi256ELb1ELi9EL8MFMAType1EEvPKT_PKT0_S8_ifPKiSA_SA_iPKfiiiPfSD_PS3_PT2_iSC_SC_,comdat
.Lfunc_end434:
	.size	_Z39paged_attention_ll4mi_QKV_mfma16_kernelIDF16_hLN4vllm18Fp8KVCacheDataTypeE1EDF16_Li32ELi64ELi256ELb1ELi9EL8MFMAType1EEvPKT_PKT0_S8_ifPKiSA_SA_iPKfiiiPfSD_PS3_PT2_iSC_SC_, .Lfunc_end434-_Z39paged_attention_ll4mi_QKV_mfma16_kernelIDF16_hLN4vllm18Fp8KVCacheDataTypeE1EDF16_Li32ELi64ELi256ELb1ELi9EL8MFMAType1EEvPKT_PKT0_S8_ifPKiSA_SA_iPKfiiiPfSD_PS3_PT2_iSC_SC_
                                        ; -- End function
	.section	.AMDGPU.csdata,"",@progbits
; Kernel info:
; codeLenInByte = 504
; NumSgprs: 40
; NumVgprs: 42
; NumAgprs: 1
; TotalNumVgprs: 45
; ScratchSize: 64
; MemoryBound: 0
; FloatMode: 240
; IeeeMode: 1
; LDSByteSize: 8192 bytes/workgroup (compile time only)
; SGPRBlocks: 4
; VGPRBlocks: 5
; NumSGPRsForWavesPerEU: 40
; NumVGPRsForWavesPerEU: 45
; AccumOffset: 44
; Occupancy: 8
; WaveLimiterHint : 1
; COMPUTE_PGM_RSRC2:SCRATCH_EN: 1
; COMPUTE_PGM_RSRC2:USER_SGPR: 8
; COMPUTE_PGM_RSRC2:TRAP_HANDLER: 0
; COMPUTE_PGM_RSRC2:TGID_X_EN: 1
; COMPUTE_PGM_RSRC2:TGID_Y_EN: 1
; COMPUTE_PGM_RSRC2:TGID_Z_EN: 1
; COMPUTE_PGM_RSRC2:TIDIG_COMP_CNT: 0
; COMPUTE_PGM_RSRC3_GFX90A:ACCUM_OFFSET: 10
; COMPUTE_PGM_RSRC3_GFX90A:TG_SPLIT: 0
	.section	.text._Z39paged_attention_ll4mi_QKV_mfma16_kernelIDF16_hLN4vllm18Fp8KVCacheDataTypeE1EDF16_Li32ELi64ELi256ELb1ELi10EL8MFMAType1EEvPKT_PKT0_S8_ifPKiSA_SA_iPKfiiiPfSD_PS3_PT2_iSC_SC_,"axG",@progbits,_Z39paged_attention_ll4mi_QKV_mfma16_kernelIDF16_hLN4vllm18Fp8KVCacheDataTypeE1EDF16_Li32ELi64ELi256ELb1ELi10EL8MFMAType1EEvPKT_PKT0_S8_ifPKiSA_SA_iPKfiiiPfSD_PS3_PT2_iSC_SC_,comdat
	.protected	_Z39paged_attention_ll4mi_QKV_mfma16_kernelIDF16_hLN4vllm18Fp8KVCacheDataTypeE1EDF16_Li32ELi64ELi256ELb1ELi10EL8MFMAType1EEvPKT_PKT0_S8_ifPKiSA_SA_iPKfiiiPfSD_PS3_PT2_iSC_SC_ ; -- Begin function _Z39paged_attention_ll4mi_QKV_mfma16_kernelIDF16_hLN4vllm18Fp8KVCacheDataTypeE1EDF16_Li32ELi64ELi256ELb1ELi10EL8MFMAType1EEvPKT_PKT0_S8_ifPKiSA_SA_iPKfiiiPfSD_PS3_PT2_iSC_SC_
	.globl	_Z39paged_attention_ll4mi_QKV_mfma16_kernelIDF16_hLN4vllm18Fp8KVCacheDataTypeE1EDF16_Li32ELi64ELi256ELb1ELi10EL8MFMAType1EEvPKT_PKT0_S8_ifPKiSA_SA_iPKfiiiPfSD_PS3_PT2_iSC_SC_
	.p2align	8
	.type	_Z39paged_attention_ll4mi_QKV_mfma16_kernelIDF16_hLN4vllm18Fp8KVCacheDataTypeE1EDF16_Li32ELi64ELi256ELb1ELi10EL8MFMAType1EEvPKT_PKT0_S8_ifPKiSA_SA_iPKfiiiPfSD_PS3_PT2_iSC_SC_,@function
_Z39paged_attention_ll4mi_QKV_mfma16_kernelIDF16_hLN4vllm18Fp8KVCacheDataTypeE1EDF16_Li32ELi64ELi256ELb1ELi10EL8MFMAType1EEvPKT_PKT0_S8_ifPKiSA_SA_iPKfiiiPfSD_PS3_PT2_iSC_SC_: ; @_Z39paged_attention_ll4mi_QKV_mfma16_kernelIDF16_hLN4vllm18Fp8KVCacheDataTypeE1EDF16_Li32ELi64ELi256ELb1ELi10EL8MFMAType1EEvPKT_PKT0_S8_ifPKiSA_SA_iPKfiiiPfSD_PS3_PT2_iSC_SC_
; %bb.0:
	s_load_dwordx2 s[12:13], s[4:5], 0x30
	s_add_u32 flat_scratch_lo, s6, s11
	s_addc_u32 flat_scratch_hi, s7, 0
	s_add_u32 s0, s0, s11
	s_addc_u32 s1, s1, 0
	s_waitcnt lgkmcnt(0)
	s_cmp_lg_u64 s[12:13], 0
	s_cselect_b64 s[14:15], -1, 0
	s_mov_b32 s6, s9
	s_mov_b64 s[16:17], 0
	s_and_b64 vcc, exec, s[14:15]
	s_mov_b32 s32, 0
	s_cbranch_vccz .LBB435_11
; %bb.1:
	s_add_i32 s18, s8, 1
	s_mov_b32 s19, 0
	s_lshl_b64 s[20:21], s[18:19], 2
	s_add_u32 s20, s12, s20
	s_mov_b32 s9, s19
	s_addc_u32 s21, s13, s21
	s_lshl_b64 s[18:19], s[8:9], 2
	s_add_u32 s18, s12, s18
	s_addc_u32 s19, s13, s19
	s_load_dword s7, s[20:21], 0x0
	s_load_dword s11, s[18:19], 0x0
	s_waitcnt lgkmcnt(0)
	s_sub_i32 s7, s7, s11
	s_cmp_eq_u32 s7, 1
	s_cselect_b64 s[18:19], -1, 0
	s_andn2_b64 vcc, exec, s[16:17]
	s_cbranch_vccnz .LBB435_3
.LBB435_2:
	s_mov_b32 s9, 0
	s_mov_b64 s[18:19], -1
.LBB435_3:
	s_andn2_b64 vcc, exec, s[18:19]
	s_cbranch_vccnz .LBB435_10
; %bb.4:
	s_load_dwordx2 s[18:19], s[4:5], 0x28
	s_lshl_b64 s[16:17], s[8:9], 2
	s_waitcnt lgkmcnt(0)
	s_add_u32 s18, s18, s16
	s_addc_u32 s19, s19, s17
	s_load_dword s7, s[18:19], 0x0
	s_lshl_b32 s6, s6, 8
	s_waitcnt lgkmcnt(0)
	s_cmp_ge_i32 s6, s7
	s_cbranch_scc1 .LBB435_10
; %bb.5:
	s_andn2_b64 vcc, exec, s[14:15]
	s_cbranch_vccnz .LBB435_7
; %bb.6:
	s_add_u32 s6, s12, s16
	s_addc_u32 s7, s13, s17
	s_load_dword s8, s[6:7], 0x0
.LBB435_7:
	v_and_b32_e32 v1, 15, v0
	s_movk_i32 s6, 0xa0
	v_cmp_gt_u32_e32 vcc, s6, v0
	v_cmp_gt_u32_e64 s[6:7], 8, v1
	s_and_b64 s[12:13], s[6:7], vcc
	s_and_saveexec_b64 s[6:7], s[12:13]
	s_cbranch_execz .LBB435_9
; %bb.8:
	s_load_dword s11, s[4:5], 0x48
	s_load_dwordx2 s[12:13], s[4:5], 0x0
	v_lshrrev_b32_e32 v6, 4, v0
	s_mul_i32 s10, s10, 10
	v_add_lshl_u32 v2, v6, s10, 6
	s_waitcnt lgkmcnt(0)
	s_ashr_i32 s9, s11, 31
	s_mul_hi_u32 s14, s8, s11
	s_mul_i32 s9, s8, s9
	s_add_i32 s9, s14, s9
	s_mul_i32 s8, s8, s11
	s_lshl_b64 s[8:9], s[8:9], 1
	s_add_u32 s8, s12, s8
	v_ashrrev_i32_e32 v3, 31, v2
	s_addc_u32 s9, s13, s9
	v_lshlrev_b64 v[2:3], 1, v[2:3]
	v_mov_b32_e32 v4, s9
	v_add_co_u32_e32 v2, vcc, s8, v2
	v_addc_co_u32_e32 v3, vcc, v4, v3, vcc
	v_lshlrev_b32_e32 v4, 4, v1
	v_add_co_u32_e32 v2, vcc, v2, v4
	v_addc_co_u32_e32 v3, vcc, 0, v3, vcc
	global_load_dwordx4 v[2:5], v[2:3], off
	v_lshlrev_b32_e32 v0, 4, v0
	v_lshlrev_b32_e32 v1, 8, v1
	v_and_b32_e32 v0, 16, v0
	v_lshlrev_b32_e32 v6, 5, v6
	v_and_b32_e32 v1, 0xe00, v1
	v_or3_b32 v0, v1, v6, v0
	s_waitcnt vmcnt(0)
	ds_write_b128 v0, v[2:5]
.LBB435_9:
	s_or_b64 exec, exec, s[6:7]
	s_waitcnt lgkmcnt(0)
	s_add_u32 s8, s4, 0x90
	s_addc_u32 s9, s5, 0
	s_getpc_b64 s[4:5]
	s_add_u32 s4, s4, __PRETTY_FUNCTION__._Z39paged_attention_ll4mi_QKV_mfma16_kernelIDF16_hLN4vllm18Fp8KVCacheDataTypeE1EDF16_Li32ELi64ELi256ELb1ELi10EL8MFMAType1EEvPKT_PKT0_S8_ifPKiSA_SA_iPKfiiiPfSD_PS3_PT2_iSC_SC_@rel32@lo+4
	s_addc_u32 s5, s5, __PRETTY_FUNCTION__._Z39paged_attention_ll4mi_QKV_mfma16_kernelIDF16_hLN4vllm18Fp8KVCacheDataTypeE1EDF16_Li32ELi64ELi256ELb1ELi10EL8MFMAType1EEvPKT_PKT0_S8_ifPKiSA_SA_iPKfiiiPfSD_PS3_PT2_iSC_SC_@rel32@hi+12
	v_mov_b32_e32 v0, 0x288
	v_mov_b32_e32 v1, s4
	;; [unrolled: 1-line block ×3, first 2 shown]
	s_barrier
	s_getpc_b64 s[6:7]
	s_add_u32 s6, s6, __assert_fail@rel32@lo+4
	s_addc_u32 s7, s7, __assert_fail@rel32@hi+12
	s_swappc_b64 s[30:31], s[6:7]
	; divergent unreachable
.LBB435_10:
	s_endpgm
.LBB435_11:
	s_mov_b64 s[18:19], 0
	s_branch .LBB435_2
	.section	.rodata,"a",@progbits
	.p2align	6, 0x0
	.amdhsa_kernel _Z39paged_attention_ll4mi_QKV_mfma16_kernelIDF16_hLN4vllm18Fp8KVCacheDataTypeE1EDF16_Li32ELi64ELi256ELb1ELi10EL8MFMAType1EEvPKT_PKT0_S8_ifPKiSA_SA_iPKfiiiPfSD_PS3_PT2_iSC_SC_
		.amdhsa_group_segment_fixed_size 8192
		.amdhsa_private_segment_fixed_size 64
		.amdhsa_kernarg_size 400
		.amdhsa_user_sgpr_count 8
		.amdhsa_user_sgpr_private_segment_buffer 1
		.amdhsa_user_sgpr_dispatch_ptr 0
		.amdhsa_user_sgpr_queue_ptr 0
		.amdhsa_user_sgpr_kernarg_segment_ptr 1
		.amdhsa_user_sgpr_dispatch_id 0
		.amdhsa_user_sgpr_flat_scratch_init 1
		.amdhsa_user_sgpr_kernarg_preload_length 0
		.amdhsa_user_sgpr_kernarg_preload_offset 0
		.amdhsa_user_sgpr_private_segment_size 0
		.amdhsa_uses_dynamic_stack 0
		.amdhsa_system_sgpr_private_segment_wavefront_offset 1
		.amdhsa_system_sgpr_workgroup_id_x 1
		.amdhsa_system_sgpr_workgroup_id_y 1
		.amdhsa_system_sgpr_workgroup_id_z 1
		.amdhsa_system_sgpr_workgroup_info 0
		.amdhsa_system_vgpr_workitem_id 0
		.amdhsa_next_free_vgpr 45
		.amdhsa_next_free_sgpr 34
		.amdhsa_accum_offset 44
		.amdhsa_reserve_vcc 1
		.amdhsa_reserve_flat_scratch 1
		.amdhsa_float_round_mode_32 0
		.amdhsa_float_round_mode_16_64 0
		.amdhsa_float_denorm_mode_32 3
		.amdhsa_float_denorm_mode_16_64 3
		.amdhsa_dx10_clamp 1
		.amdhsa_ieee_mode 1
		.amdhsa_fp16_overflow 0
		.amdhsa_tg_split 0
		.amdhsa_exception_fp_ieee_invalid_op 0
		.amdhsa_exception_fp_denorm_src 0
		.amdhsa_exception_fp_ieee_div_zero 0
		.amdhsa_exception_fp_ieee_overflow 0
		.amdhsa_exception_fp_ieee_underflow 0
		.amdhsa_exception_fp_ieee_inexact 0
		.amdhsa_exception_int_div_zero 0
	.end_amdhsa_kernel
	.section	.text._Z39paged_attention_ll4mi_QKV_mfma16_kernelIDF16_hLN4vllm18Fp8KVCacheDataTypeE1EDF16_Li32ELi64ELi256ELb1ELi10EL8MFMAType1EEvPKT_PKT0_S8_ifPKiSA_SA_iPKfiiiPfSD_PS3_PT2_iSC_SC_,"axG",@progbits,_Z39paged_attention_ll4mi_QKV_mfma16_kernelIDF16_hLN4vllm18Fp8KVCacheDataTypeE1EDF16_Li32ELi64ELi256ELb1ELi10EL8MFMAType1EEvPKT_PKT0_S8_ifPKiSA_SA_iPKfiiiPfSD_PS3_PT2_iSC_SC_,comdat
.Lfunc_end435:
	.size	_Z39paged_attention_ll4mi_QKV_mfma16_kernelIDF16_hLN4vllm18Fp8KVCacheDataTypeE1EDF16_Li32ELi64ELi256ELb1ELi10EL8MFMAType1EEvPKT_PKT0_S8_ifPKiSA_SA_iPKfiiiPfSD_PS3_PT2_iSC_SC_, .Lfunc_end435-_Z39paged_attention_ll4mi_QKV_mfma16_kernelIDF16_hLN4vllm18Fp8KVCacheDataTypeE1EDF16_Li32ELi64ELi256ELb1ELi10EL8MFMAType1EEvPKT_PKT0_S8_ifPKiSA_SA_iPKfiiiPfSD_PS3_PT2_iSC_SC_
                                        ; -- End function
	.section	.AMDGPU.csdata,"",@progbits
; Kernel info:
; codeLenInByte = 504
; NumSgprs: 40
; NumVgprs: 42
; NumAgprs: 1
; TotalNumVgprs: 45
; ScratchSize: 64
; MemoryBound: 0
; FloatMode: 240
; IeeeMode: 1
; LDSByteSize: 8192 bytes/workgroup (compile time only)
; SGPRBlocks: 4
; VGPRBlocks: 5
; NumSGPRsForWavesPerEU: 40
; NumVGPRsForWavesPerEU: 45
; AccumOffset: 44
; Occupancy: 8
; WaveLimiterHint : 1
; COMPUTE_PGM_RSRC2:SCRATCH_EN: 1
; COMPUTE_PGM_RSRC2:USER_SGPR: 8
; COMPUTE_PGM_RSRC2:TRAP_HANDLER: 0
; COMPUTE_PGM_RSRC2:TGID_X_EN: 1
; COMPUTE_PGM_RSRC2:TGID_Y_EN: 1
; COMPUTE_PGM_RSRC2:TGID_Z_EN: 1
; COMPUTE_PGM_RSRC2:TIDIG_COMP_CNT: 0
; COMPUTE_PGM_RSRC3_GFX90A:ACCUM_OFFSET: 10
; COMPUTE_PGM_RSRC3_GFX90A:TG_SPLIT: 0
	.section	.text._Z39paged_attention_ll4mi_QKV_mfma16_kernelIDF16_hLN4vllm18Fp8KVCacheDataTypeE1EDF16_Li32ELi64ELi256ELb1ELi11EL8MFMAType1EEvPKT_PKT0_S8_ifPKiSA_SA_iPKfiiiPfSD_PS3_PT2_iSC_SC_,"axG",@progbits,_Z39paged_attention_ll4mi_QKV_mfma16_kernelIDF16_hLN4vllm18Fp8KVCacheDataTypeE1EDF16_Li32ELi64ELi256ELb1ELi11EL8MFMAType1EEvPKT_PKT0_S8_ifPKiSA_SA_iPKfiiiPfSD_PS3_PT2_iSC_SC_,comdat
	.protected	_Z39paged_attention_ll4mi_QKV_mfma16_kernelIDF16_hLN4vllm18Fp8KVCacheDataTypeE1EDF16_Li32ELi64ELi256ELb1ELi11EL8MFMAType1EEvPKT_PKT0_S8_ifPKiSA_SA_iPKfiiiPfSD_PS3_PT2_iSC_SC_ ; -- Begin function _Z39paged_attention_ll4mi_QKV_mfma16_kernelIDF16_hLN4vllm18Fp8KVCacheDataTypeE1EDF16_Li32ELi64ELi256ELb1ELi11EL8MFMAType1EEvPKT_PKT0_S8_ifPKiSA_SA_iPKfiiiPfSD_PS3_PT2_iSC_SC_
	.globl	_Z39paged_attention_ll4mi_QKV_mfma16_kernelIDF16_hLN4vllm18Fp8KVCacheDataTypeE1EDF16_Li32ELi64ELi256ELb1ELi11EL8MFMAType1EEvPKT_PKT0_S8_ifPKiSA_SA_iPKfiiiPfSD_PS3_PT2_iSC_SC_
	.p2align	8
	.type	_Z39paged_attention_ll4mi_QKV_mfma16_kernelIDF16_hLN4vllm18Fp8KVCacheDataTypeE1EDF16_Li32ELi64ELi256ELb1ELi11EL8MFMAType1EEvPKT_PKT0_S8_ifPKiSA_SA_iPKfiiiPfSD_PS3_PT2_iSC_SC_,@function
_Z39paged_attention_ll4mi_QKV_mfma16_kernelIDF16_hLN4vllm18Fp8KVCacheDataTypeE1EDF16_Li32ELi64ELi256ELb1ELi11EL8MFMAType1EEvPKT_PKT0_S8_ifPKiSA_SA_iPKfiiiPfSD_PS3_PT2_iSC_SC_: ; @_Z39paged_attention_ll4mi_QKV_mfma16_kernelIDF16_hLN4vllm18Fp8KVCacheDataTypeE1EDF16_Li32ELi64ELi256ELb1ELi11EL8MFMAType1EEvPKT_PKT0_S8_ifPKiSA_SA_iPKfiiiPfSD_PS3_PT2_iSC_SC_
; %bb.0:
	s_load_dwordx2 s[12:13], s[4:5], 0x30
	s_add_u32 flat_scratch_lo, s6, s11
	s_addc_u32 flat_scratch_hi, s7, 0
	s_add_u32 s0, s0, s11
	s_addc_u32 s1, s1, 0
	s_waitcnt lgkmcnt(0)
	s_cmp_lg_u64 s[12:13], 0
	s_cselect_b64 s[14:15], -1, 0
	s_mov_b32 s6, s9
	s_mov_b64 s[16:17], 0
	s_and_b64 vcc, exec, s[14:15]
	s_mov_b32 s32, 0
	s_cbranch_vccz .LBB436_11
; %bb.1:
	s_add_i32 s18, s8, 1
	s_mov_b32 s19, 0
	s_lshl_b64 s[20:21], s[18:19], 2
	s_add_u32 s20, s12, s20
	s_mov_b32 s9, s19
	s_addc_u32 s21, s13, s21
	s_lshl_b64 s[18:19], s[8:9], 2
	s_add_u32 s18, s12, s18
	s_addc_u32 s19, s13, s19
	s_load_dword s7, s[20:21], 0x0
	s_load_dword s11, s[18:19], 0x0
	s_waitcnt lgkmcnt(0)
	s_sub_i32 s7, s7, s11
	s_cmp_eq_u32 s7, 1
	s_cselect_b64 s[18:19], -1, 0
	s_andn2_b64 vcc, exec, s[16:17]
	s_cbranch_vccnz .LBB436_3
.LBB436_2:
	s_mov_b32 s9, 0
	s_mov_b64 s[18:19], -1
.LBB436_3:
	s_andn2_b64 vcc, exec, s[18:19]
	s_cbranch_vccnz .LBB436_10
; %bb.4:
	s_load_dwordx2 s[18:19], s[4:5], 0x28
	s_lshl_b64 s[16:17], s[8:9], 2
	s_waitcnt lgkmcnt(0)
	s_add_u32 s18, s18, s16
	s_addc_u32 s19, s19, s17
	s_load_dword s7, s[18:19], 0x0
	s_lshl_b32 s6, s6, 8
	s_waitcnt lgkmcnt(0)
	s_cmp_ge_i32 s6, s7
	s_cbranch_scc1 .LBB436_10
; %bb.5:
	s_andn2_b64 vcc, exec, s[14:15]
	s_cbranch_vccnz .LBB436_7
; %bb.6:
	s_add_u32 s6, s12, s16
	s_addc_u32 s7, s13, s17
	s_load_dword s8, s[6:7], 0x0
.LBB436_7:
	v_and_b32_e32 v1, 15, v0
	s_movk_i32 s6, 0xb0
	v_cmp_gt_u32_e32 vcc, s6, v0
	v_cmp_gt_u32_e64 s[6:7], 8, v1
	s_and_b64 s[12:13], s[6:7], vcc
	s_and_saveexec_b64 s[6:7], s[12:13]
	s_cbranch_execz .LBB436_9
; %bb.8:
	s_load_dword s11, s[4:5], 0x48
	s_load_dwordx2 s[12:13], s[4:5], 0x0
	v_lshrrev_b32_e32 v6, 4, v0
	s_mul_i32 s10, s10, 11
	v_add_lshl_u32 v2, v6, s10, 6
	s_waitcnt lgkmcnt(0)
	s_ashr_i32 s9, s11, 31
	s_mul_hi_u32 s14, s8, s11
	s_mul_i32 s9, s8, s9
	s_add_i32 s9, s14, s9
	s_mul_i32 s8, s8, s11
	s_lshl_b64 s[8:9], s[8:9], 1
	s_add_u32 s8, s12, s8
	v_ashrrev_i32_e32 v3, 31, v2
	s_addc_u32 s9, s13, s9
	v_lshlrev_b64 v[2:3], 1, v[2:3]
	v_mov_b32_e32 v4, s9
	v_add_co_u32_e32 v2, vcc, s8, v2
	v_addc_co_u32_e32 v3, vcc, v4, v3, vcc
	v_lshlrev_b32_e32 v4, 4, v1
	v_add_co_u32_e32 v2, vcc, v2, v4
	v_addc_co_u32_e32 v3, vcc, 0, v3, vcc
	global_load_dwordx4 v[2:5], v[2:3], off
	v_lshlrev_b32_e32 v0, 4, v0
	v_lshlrev_b32_e32 v1, 8, v1
	v_and_b32_e32 v0, 16, v0
	v_lshlrev_b32_e32 v6, 5, v6
	v_and_b32_e32 v1, 0xe00, v1
	v_or3_b32 v0, v1, v6, v0
	s_waitcnt vmcnt(0)
	ds_write_b128 v0, v[2:5]
.LBB436_9:
	s_or_b64 exec, exec, s[6:7]
	s_waitcnt lgkmcnt(0)
	s_add_u32 s8, s4, 0x90
	s_addc_u32 s9, s5, 0
	s_getpc_b64 s[4:5]
	s_add_u32 s4, s4, __PRETTY_FUNCTION__._Z39paged_attention_ll4mi_QKV_mfma16_kernelIDF16_hLN4vllm18Fp8KVCacheDataTypeE1EDF16_Li32ELi64ELi256ELb1ELi11EL8MFMAType1EEvPKT_PKT0_S8_ifPKiSA_SA_iPKfiiiPfSD_PS3_PT2_iSC_SC_@rel32@lo+4
	s_addc_u32 s5, s5, __PRETTY_FUNCTION__._Z39paged_attention_ll4mi_QKV_mfma16_kernelIDF16_hLN4vllm18Fp8KVCacheDataTypeE1EDF16_Li32ELi64ELi256ELb1ELi11EL8MFMAType1EEvPKT_PKT0_S8_ifPKiSA_SA_iPKfiiiPfSD_PS3_PT2_iSC_SC_@rel32@hi+12
	v_mov_b32_e32 v0, 0x288
	v_mov_b32_e32 v1, s4
	;; [unrolled: 1-line block ×3, first 2 shown]
	s_barrier
	s_getpc_b64 s[6:7]
	s_add_u32 s6, s6, __assert_fail@rel32@lo+4
	s_addc_u32 s7, s7, __assert_fail@rel32@hi+12
	s_swappc_b64 s[30:31], s[6:7]
	; divergent unreachable
.LBB436_10:
	s_endpgm
.LBB436_11:
	s_mov_b64 s[18:19], 0
	s_branch .LBB436_2
	.section	.rodata,"a",@progbits
	.p2align	6, 0x0
	.amdhsa_kernel _Z39paged_attention_ll4mi_QKV_mfma16_kernelIDF16_hLN4vllm18Fp8KVCacheDataTypeE1EDF16_Li32ELi64ELi256ELb1ELi11EL8MFMAType1EEvPKT_PKT0_S8_ifPKiSA_SA_iPKfiiiPfSD_PS3_PT2_iSC_SC_
		.amdhsa_group_segment_fixed_size 8192
		.amdhsa_private_segment_fixed_size 64
		.amdhsa_kernarg_size 400
		.amdhsa_user_sgpr_count 8
		.amdhsa_user_sgpr_private_segment_buffer 1
		.amdhsa_user_sgpr_dispatch_ptr 0
		.amdhsa_user_sgpr_queue_ptr 0
		.amdhsa_user_sgpr_kernarg_segment_ptr 1
		.amdhsa_user_sgpr_dispatch_id 0
		.amdhsa_user_sgpr_flat_scratch_init 1
		.amdhsa_user_sgpr_kernarg_preload_length 0
		.amdhsa_user_sgpr_kernarg_preload_offset 0
		.amdhsa_user_sgpr_private_segment_size 0
		.amdhsa_uses_dynamic_stack 0
		.amdhsa_system_sgpr_private_segment_wavefront_offset 1
		.amdhsa_system_sgpr_workgroup_id_x 1
		.amdhsa_system_sgpr_workgroup_id_y 1
		.amdhsa_system_sgpr_workgroup_id_z 1
		.amdhsa_system_sgpr_workgroup_info 0
		.amdhsa_system_vgpr_workitem_id 0
		.amdhsa_next_free_vgpr 45
		.amdhsa_next_free_sgpr 34
		.amdhsa_accum_offset 44
		.amdhsa_reserve_vcc 1
		.amdhsa_reserve_flat_scratch 1
		.amdhsa_float_round_mode_32 0
		.amdhsa_float_round_mode_16_64 0
		.amdhsa_float_denorm_mode_32 3
		.amdhsa_float_denorm_mode_16_64 3
		.amdhsa_dx10_clamp 1
		.amdhsa_ieee_mode 1
		.amdhsa_fp16_overflow 0
		.amdhsa_tg_split 0
		.amdhsa_exception_fp_ieee_invalid_op 0
		.amdhsa_exception_fp_denorm_src 0
		.amdhsa_exception_fp_ieee_div_zero 0
		.amdhsa_exception_fp_ieee_overflow 0
		.amdhsa_exception_fp_ieee_underflow 0
		.amdhsa_exception_fp_ieee_inexact 0
		.amdhsa_exception_int_div_zero 0
	.end_amdhsa_kernel
	.section	.text._Z39paged_attention_ll4mi_QKV_mfma16_kernelIDF16_hLN4vllm18Fp8KVCacheDataTypeE1EDF16_Li32ELi64ELi256ELb1ELi11EL8MFMAType1EEvPKT_PKT0_S8_ifPKiSA_SA_iPKfiiiPfSD_PS3_PT2_iSC_SC_,"axG",@progbits,_Z39paged_attention_ll4mi_QKV_mfma16_kernelIDF16_hLN4vllm18Fp8KVCacheDataTypeE1EDF16_Li32ELi64ELi256ELb1ELi11EL8MFMAType1EEvPKT_PKT0_S8_ifPKiSA_SA_iPKfiiiPfSD_PS3_PT2_iSC_SC_,comdat
.Lfunc_end436:
	.size	_Z39paged_attention_ll4mi_QKV_mfma16_kernelIDF16_hLN4vllm18Fp8KVCacheDataTypeE1EDF16_Li32ELi64ELi256ELb1ELi11EL8MFMAType1EEvPKT_PKT0_S8_ifPKiSA_SA_iPKfiiiPfSD_PS3_PT2_iSC_SC_, .Lfunc_end436-_Z39paged_attention_ll4mi_QKV_mfma16_kernelIDF16_hLN4vllm18Fp8KVCacheDataTypeE1EDF16_Li32ELi64ELi256ELb1ELi11EL8MFMAType1EEvPKT_PKT0_S8_ifPKiSA_SA_iPKfiiiPfSD_PS3_PT2_iSC_SC_
                                        ; -- End function
	.section	.AMDGPU.csdata,"",@progbits
; Kernel info:
; codeLenInByte = 504
; NumSgprs: 40
; NumVgprs: 42
; NumAgprs: 1
; TotalNumVgprs: 45
; ScratchSize: 64
; MemoryBound: 0
; FloatMode: 240
; IeeeMode: 1
; LDSByteSize: 8192 bytes/workgroup (compile time only)
; SGPRBlocks: 4
; VGPRBlocks: 5
; NumSGPRsForWavesPerEU: 40
; NumVGPRsForWavesPerEU: 45
; AccumOffset: 44
; Occupancy: 8
; WaveLimiterHint : 1
; COMPUTE_PGM_RSRC2:SCRATCH_EN: 1
; COMPUTE_PGM_RSRC2:USER_SGPR: 8
; COMPUTE_PGM_RSRC2:TRAP_HANDLER: 0
; COMPUTE_PGM_RSRC2:TGID_X_EN: 1
; COMPUTE_PGM_RSRC2:TGID_Y_EN: 1
; COMPUTE_PGM_RSRC2:TGID_Z_EN: 1
; COMPUTE_PGM_RSRC2:TIDIG_COMP_CNT: 0
; COMPUTE_PGM_RSRC3_GFX90A:ACCUM_OFFSET: 10
; COMPUTE_PGM_RSRC3_GFX90A:TG_SPLIT: 0
	.section	.text._Z39paged_attention_ll4mi_QKV_mfma16_kernelIDF16_hLN4vllm18Fp8KVCacheDataTypeE1EDF16_Li32ELi64ELi256ELb1ELi12EL8MFMAType1EEvPKT_PKT0_S8_ifPKiSA_SA_iPKfiiiPfSD_PS3_PT2_iSC_SC_,"axG",@progbits,_Z39paged_attention_ll4mi_QKV_mfma16_kernelIDF16_hLN4vllm18Fp8KVCacheDataTypeE1EDF16_Li32ELi64ELi256ELb1ELi12EL8MFMAType1EEvPKT_PKT0_S8_ifPKiSA_SA_iPKfiiiPfSD_PS3_PT2_iSC_SC_,comdat
	.protected	_Z39paged_attention_ll4mi_QKV_mfma16_kernelIDF16_hLN4vllm18Fp8KVCacheDataTypeE1EDF16_Li32ELi64ELi256ELb1ELi12EL8MFMAType1EEvPKT_PKT0_S8_ifPKiSA_SA_iPKfiiiPfSD_PS3_PT2_iSC_SC_ ; -- Begin function _Z39paged_attention_ll4mi_QKV_mfma16_kernelIDF16_hLN4vllm18Fp8KVCacheDataTypeE1EDF16_Li32ELi64ELi256ELb1ELi12EL8MFMAType1EEvPKT_PKT0_S8_ifPKiSA_SA_iPKfiiiPfSD_PS3_PT2_iSC_SC_
	.globl	_Z39paged_attention_ll4mi_QKV_mfma16_kernelIDF16_hLN4vllm18Fp8KVCacheDataTypeE1EDF16_Li32ELi64ELi256ELb1ELi12EL8MFMAType1EEvPKT_PKT0_S8_ifPKiSA_SA_iPKfiiiPfSD_PS3_PT2_iSC_SC_
	.p2align	8
	.type	_Z39paged_attention_ll4mi_QKV_mfma16_kernelIDF16_hLN4vllm18Fp8KVCacheDataTypeE1EDF16_Li32ELi64ELi256ELb1ELi12EL8MFMAType1EEvPKT_PKT0_S8_ifPKiSA_SA_iPKfiiiPfSD_PS3_PT2_iSC_SC_,@function
_Z39paged_attention_ll4mi_QKV_mfma16_kernelIDF16_hLN4vllm18Fp8KVCacheDataTypeE1EDF16_Li32ELi64ELi256ELb1ELi12EL8MFMAType1EEvPKT_PKT0_S8_ifPKiSA_SA_iPKfiiiPfSD_PS3_PT2_iSC_SC_: ; @_Z39paged_attention_ll4mi_QKV_mfma16_kernelIDF16_hLN4vllm18Fp8KVCacheDataTypeE1EDF16_Li32ELi64ELi256ELb1ELi12EL8MFMAType1EEvPKT_PKT0_S8_ifPKiSA_SA_iPKfiiiPfSD_PS3_PT2_iSC_SC_
; %bb.0:
	s_load_dwordx2 s[12:13], s[4:5], 0x30
	s_add_u32 flat_scratch_lo, s6, s11
	s_addc_u32 flat_scratch_hi, s7, 0
	s_add_u32 s0, s0, s11
	s_addc_u32 s1, s1, 0
	s_waitcnt lgkmcnt(0)
	s_cmp_lg_u64 s[12:13], 0
	s_cselect_b64 s[14:15], -1, 0
	s_mov_b32 s6, s9
	s_mov_b64 s[16:17], 0
	s_and_b64 vcc, exec, s[14:15]
	s_mov_b32 s32, 0
	s_cbranch_vccz .LBB437_11
; %bb.1:
	s_add_i32 s18, s8, 1
	s_mov_b32 s19, 0
	s_lshl_b64 s[20:21], s[18:19], 2
	s_add_u32 s20, s12, s20
	s_mov_b32 s9, s19
	s_addc_u32 s21, s13, s21
	s_lshl_b64 s[18:19], s[8:9], 2
	s_add_u32 s18, s12, s18
	s_addc_u32 s19, s13, s19
	s_load_dword s7, s[20:21], 0x0
	s_load_dword s11, s[18:19], 0x0
	s_waitcnt lgkmcnt(0)
	s_sub_i32 s7, s7, s11
	s_cmp_eq_u32 s7, 1
	s_cselect_b64 s[18:19], -1, 0
	s_andn2_b64 vcc, exec, s[16:17]
	s_cbranch_vccnz .LBB437_3
.LBB437_2:
	s_mov_b32 s9, 0
	s_mov_b64 s[18:19], -1
.LBB437_3:
	s_andn2_b64 vcc, exec, s[18:19]
	s_cbranch_vccnz .LBB437_10
; %bb.4:
	s_load_dwordx2 s[18:19], s[4:5], 0x28
	s_lshl_b64 s[16:17], s[8:9], 2
	s_waitcnt lgkmcnt(0)
	s_add_u32 s18, s18, s16
	s_addc_u32 s19, s19, s17
	s_load_dword s7, s[18:19], 0x0
	s_lshl_b32 s6, s6, 8
	s_waitcnt lgkmcnt(0)
	s_cmp_ge_i32 s6, s7
	s_cbranch_scc1 .LBB437_10
; %bb.5:
	s_andn2_b64 vcc, exec, s[14:15]
	s_cbranch_vccnz .LBB437_7
; %bb.6:
	s_add_u32 s6, s12, s16
	s_addc_u32 s7, s13, s17
	s_load_dword s8, s[6:7], 0x0
.LBB437_7:
	v_and_b32_e32 v1, 15, v0
	s_movk_i32 s6, 0xc0
	v_cmp_gt_u32_e32 vcc, s6, v0
	v_cmp_gt_u32_e64 s[6:7], 8, v1
	s_and_b64 s[12:13], vcc, s[6:7]
	s_and_saveexec_b64 s[6:7], s[12:13]
	s_cbranch_execz .LBB437_9
; %bb.8:
	s_load_dword s11, s[4:5], 0x48
	s_load_dwordx2 s[12:13], s[4:5], 0x0
	v_lshrrev_b32_e32 v6, 4, v0
	s_mul_i32 s10, s10, 12
	v_add_lshl_u32 v2, v6, s10, 6
	s_waitcnt lgkmcnt(0)
	s_ashr_i32 s9, s11, 31
	s_mul_hi_u32 s14, s8, s11
	s_mul_i32 s9, s8, s9
	s_add_i32 s9, s14, s9
	s_mul_i32 s8, s8, s11
	s_lshl_b64 s[8:9], s[8:9], 1
	s_add_u32 s8, s12, s8
	v_ashrrev_i32_e32 v3, 31, v2
	s_addc_u32 s9, s13, s9
	v_lshlrev_b64 v[2:3], 1, v[2:3]
	v_mov_b32_e32 v4, s9
	v_add_co_u32_e32 v2, vcc, s8, v2
	v_addc_co_u32_e32 v3, vcc, v4, v3, vcc
	v_lshlrev_b32_e32 v4, 4, v1
	v_add_co_u32_e32 v2, vcc, v2, v4
	v_addc_co_u32_e32 v3, vcc, 0, v3, vcc
	global_load_dwordx4 v[2:5], v[2:3], off
	v_lshlrev_b32_e32 v0, 4, v0
	v_lshlrev_b32_e32 v1, 8, v1
	v_and_b32_e32 v0, 16, v0
	v_lshlrev_b32_e32 v6, 5, v6
	v_and_b32_e32 v1, 0xe00, v1
	v_or3_b32 v0, v1, v6, v0
	s_waitcnt vmcnt(0)
	ds_write_b128 v0, v[2:5]
.LBB437_9:
	s_or_b64 exec, exec, s[6:7]
	s_waitcnt lgkmcnt(0)
	s_add_u32 s8, s4, 0x90
	s_addc_u32 s9, s5, 0
	s_getpc_b64 s[4:5]
	s_add_u32 s4, s4, __PRETTY_FUNCTION__._Z39paged_attention_ll4mi_QKV_mfma16_kernelIDF16_hLN4vllm18Fp8KVCacheDataTypeE1EDF16_Li32ELi64ELi256ELb1ELi12EL8MFMAType1EEvPKT_PKT0_S8_ifPKiSA_SA_iPKfiiiPfSD_PS3_PT2_iSC_SC_@rel32@lo+4
	s_addc_u32 s5, s5, __PRETTY_FUNCTION__._Z39paged_attention_ll4mi_QKV_mfma16_kernelIDF16_hLN4vllm18Fp8KVCacheDataTypeE1EDF16_Li32ELi64ELi256ELb1ELi12EL8MFMAType1EEvPKT_PKT0_S8_ifPKiSA_SA_iPKfiiiPfSD_PS3_PT2_iSC_SC_@rel32@hi+12
	v_mov_b32_e32 v0, 0x288
	v_mov_b32_e32 v1, s4
	;; [unrolled: 1-line block ×3, first 2 shown]
	s_barrier
	s_getpc_b64 s[6:7]
	s_add_u32 s6, s6, __assert_fail@rel32@lo+4
	s_addc_u32 s7, s7, __assert_fail@rel32@hi+12
	s_swappc_b64 s[30:31], s[6:7]
	; divergent unreachable
.LBB437_10:
	s_endpgm
.LBB437_11:
	s_mov_b64 s[18:19], 0
	s_branch .LBB437_2
	.section	.rodata,"a",@progbits
	.p2align	6, 0x0
	.amdhsa_kernel _Z39paged_attention_ll4mi_QKV_mfma16_kernelIDF16_hLN4vllm18Fp8KVCacheDataTypeE1EDF16_Li32ELi64ELi256ELb1ELi12EL8MFMAType1EEvPKT_PKT0_S8_ifPKiSA_SA_iPKfiiiPfSD_PS3_PT2_iSC_SC_
		.amdhsa_group_segment_fixed_size 8192
		.amdhsa_private_segment_fixed_size 64
		.amdhsa_kernarg_size 400
		.amdhsa_user_sgpr_count 8
		.amdhsa_user_sgpr_private_segment_buffer 1
		.amdhsa_user_sgpr_dispatch_ptr 0
		.amdhsa_user_sgpr_queue_ptr 0
		.amdhsa_user_sgpr_kernarg_segment_ptr 1
		.amdhsa_user_sgpr_dispatch_id 0
		.amdhsa_user_sgpr_flat_scratch_init 1
		.amdhsa_user_sgpr_kernarg_preload_length 0
		.amdhsa_user_sgpr_kernarg_preload_offset 0
		.amdhsa_user_sgpr_private_segment_size 0
		.amdhsa_uses_dynamic_stack 0
		.amdhsa_system_sgpr_private_segment_wavefront_offset 1
		.amdhsa_system_sgpr_workgroup_id_x 1
		.amdhsa_system_sgpr_workgroup_id_y 1
		.amdhsa_system_sgpr_workgroup_id_z 1
		.amdhsa_system_sgpr_workgroup_info 0
		.amdhsa_system_vgpr_workitem_id 0
		.amdhsa_next_free_vgpr 45
		.amdhsa_next_free_sgpr 34
		.amdhsa_accum_offset 44
		.amdhsa_reserve_vcc 1
		.amdhsa_reserve_flat_scratch 1
		.amdhsa_float_round_mode_32 0
		.amdhsa_float_round_mode_16_64 0
		.amdhsa_float_denorm_mode_32 3
		.amdhsa_float_denorm_mode_16_64 3
		.amdhsa_dx10_clamp 1
		.amdhsa_ieee_mode 1
		.amdhsa_fp16_overflow 0
		.amdhsa_tg_split 0
		.amdhsa_exception_fp_ieee_invalid_op 0
		.amdhsa_exception_fp_denorm_src 0
		.amdhsa_exception_fp_ieee_div_zero 0
		.amdhsa_exception_fp_ieee_overflow 0
		.amdhsa_exception_fp_ieee_underflow 0
		.amdhsa_exception_fp_ieee_inexact 0
		.amdhsa_exception_int_div_zero 0
	.end_amdhsa_kernel
	.section	.text._Z39paged_attention_ll4mi_QKV_mfma16_kernelIDF16_hLN4vllm18Fp8KVCacheDataTypeE1EDF16_Li32ELi64ELi256ELb1ELi12EL8MFMAType1EEvPKT_PKT0_S8_ifPKiSA_SA_iPKfiiiPfSD_PS3_PT2_iSC_SC_,"axG",@progbits,_Z39paged_attention_ll4mi_QKV_mfma16_kernelIDF16_hLN4vllm18Fp8KVCacheDataTypeE1EDF16_Li32ELi64ELi256ELb1ELi12EL8MFMAType1EEvPKT_PKT0_S8_ifPKiSA_SA_iPKfiiiPfSD_PS3_PT2_iSC_SC_,comdat
.Lfunc_end437:
	.size	_Z39paged_attention_ll4mi_QKV_mfma16_kernelIDF16_hLN4vllm18Fp8KVCacheDataTypeE1EDF16_Li32ELi64ELi256ELb1ELi12EL8MFMAType1EEvPKT_PKT0_S8_ifPKiSA_SA_iPKfiiiPfSD_PS3_PT2_iSC_SC_, .Lfunc_end437-_Z39paged_attention_ll4mi_QKV_mfma16_kernelIDF16_hLN4vllm18Fp8KVCacheDataTypeE1EDF16_Li32ELi64ELi256ELb1ELi12EL8MFMAType1EEvPKT_PKT0_S8_ifPKiSA_SA_iPKfiiiPfSD_PS3_PT2_iSC_SC_
                                        ; -- End function
	.section	.AMDGPU.csdata,"",@progbits
; Kernel info:
; codeLenInByte = 504
; NumSgprs: 40
; NumVgprs: 42
; NumAgprs: 1
; TotalNumVgprs: 45
; ScratchSize: 64
; MemoryBound: 0
; FloatMode: 240
; IeeeMode: 1
; LDSByteSize: 8192 bytes/workgroup (compile time only)
; SGPRBlocks: 4
; VGPRBlocks: 5
; NumSGPRsForWavesPerEU: 40
; NumVGPRsForWavesPerEU: 45
; AccumOffset: 44
; Occupancy: 8
; WaveLimiterHint : 1
; COMPUTE_PGM_RSRC2:SCRATCH_EN: 1
; COMPUTE_PGM_RSRC2:USER_SGPR: 8
; COMPUTE_PGM_RSRC2:TRAP_HANDLER: 0
; COMPUTE_PGM_RSRC2:TGID_X_EN: 1
; COMPUTE_PGM_RSRC2:TGID_Y_EN: 1
; COMPUTE_PGM_RSRC2:TGID_Z_EN: 1
; COMPUTE_PGM_RSRC2:TIDIG_COMP_CNT: 0
; COMPUTE_PGM_RSRC3_GFX90A:ACCUM_OFFSET: 10
; COMPUTE_PGM_RSRC3_GFX90A:TG_SPLIT: 0
	.section	.text._Z39paged_attention_ll4mi_QKV_mfma16_kernelIDF16_hLN4vllm18Fp8KVCacheDataTypeE1EDF16_Li32ELi64ELi256ELb1ELi13EL8MFMAType1EEvPKT_PKT0_S8_ifPKiSA_SA_iPKfiiiPfSD_PS3_PT2_iSC_SC_,"axG",@progbits,_Z39paged_attention_ll4mi_QKV_mfma16_kernelIDF16_hLN4vllm18Fp8KVCacheDataTypeE1EDF16_Li32ELi64ELi256ELb1ELi13EL8MFMAType1EEvPKT_PKT0_S8_ifPKiSA_SA_iPKfiiiPfSD_PS3_PT2_iSC_SC_,comdat
	.protected	_Z39paged_attention_ll4mi_QKV_mfma16_kernelIDF16_hLN4vllm18Fp8KVCacheDataTypeE1EDF16_Li32ELi64ELi256ELb1ELi13EL8MFMAType1EEvPKT_PKT0_S8_ifPKiSA_SA_iPKfiiiPfSD_PS3_PT2_iSC_SC_ ; -- Begin function _Z39paged_attention_ll4mi_QKV_mfma16_kernelIDF16_hLN4vllm18Fp8KVCacheDataTypeE1EDF16_Li32ELi64ELi256ELb1ELi13EL8MFMAType1EEvPKT_PKT0_S8_ifPKiSA_SA_iPKfiiiPfSD_PS3_PT2_iSC_SC_
	.globl	_Z39paged_attention_ll4mi_QKV_mfma16_kernelIDF16_hLN4vllm18Fp8KVCacheDataTypeE1EDF16_Li32ELi64ELi256ELb1ELi13EL8MFMAType1EEvPKT_PKT0_S8_ifPKiSA_SA_iPKfiiiPfSD_PS3_PT2_iSC_SC_
	.p2align	8
	.type	_Z39paged_attention_ll4mi_QKV_mfma16_kernelIDF16_hLN4vllm18Fp8KVCacheDataTypeE1EDF16_Li32ELi64ELi256ELb1ELi13EL8MFMAType1EEvPKT_PKT0_S8_ifPKiSA_SA_iPKfiiiPfSD_PS3_PT2_iSC_SC_,@function
_Z39paged_attention_ll4mi_QKV_mfma16_kernelIDF16_hLN4vllm18Fp8KVCacheDataTypeE1EDF16_Li32ELi64ELi256ELb1ELi13EL8MFMAType1EEvPKT_PKT0_S8_ifPKiSA_SA_iPKfiiiPfSD_PS3_PT2_iSC_SC_: ; @_Z39paged_attention_ll4mi_QKV_mfma16_kernelIDF16_hLN4vllm18Fp8KVCacheDataTypeE1EDF16_Li32ELi64ELi256ELb1ELi13EL8MFMAType1EEvPKT_PKT0_S8_ifPKiSA_SA_iPKfiiiPfSD_PS3_PT2_iSC_SC_
; %bb.0:
	s_load_dwordx2 s[12:13], s[4:5], 0x30
	s_add_u32 flat_scratch_lo, s6, s11
	s_addc_u32 flat_scratch_hi, s7, 0
	s_add_u32 s0, s0, s11
	s_addc_u32 s1, s1, 0
	s_waitcnt lgkmcnt(0)
	s_cmp_lg_u64 s[12:13], 0
	s_cselect_b64 s[14:15], -1, 0
	s_mov_b32 s6, s9
	s_mov_b64 s[16:17], 0
	s_and_b64 vcc, exec, s[14:15]
	s_mov_b32 s32, 0
	s_cbranch_vccz .LBB438_11
; %bb.1:
	s_add_i32 s18, s8, 1
	s_mov_b32 s19, 0
	s_lshl_b64 s[20:21], s[18:19], 2
	s_add_u32 s20, s12, s20
	s_mov_b32 s9, s19
	s_addc_u32 s21, s13, s21
	s_lshl_b64 s[18:19], s[8:9], 2
	s_add_u32 s18, s12, s18
	s_addc_u32 s19, s13, s19
	s_load_dword s7, s[20:21], 0x0
	s_load_dword s11, s[18:19], 0x0
	s_waitcnt lgkmcnt(0)
	s_sub_i32 s7, s7, s11
	s_cmp_eq_u32 s7, 1
	s_cselect_b64 s[18:19], -1, 0
	s_andn2_b64 vcc, exec, s[16:17]
	s_cbranch_vccnz .LBB438_3
.LBB438_2:
	s_mov_b32 s9, 0
	s_mov_b64 s[18:19], -1
.LBB438_3:
	s_andn2_b64 vcc, exec, s[18:19]
	s_cbranch_vccnz .LBB438_10
; %bb.4:
	s_load_dwordx2 s[18:19], s[4:5], 0x28
	s_lshl_b64 s[16:17], s[8:9], 2
	s_waitcnt lgkmcnt(0)
	s_add_u32 s18, s18, s16
	s_addc_u32 s19, s19, s17
	s_load_dword s7, s[18:19], 0x0
	s_lshl_b32 s6, s6, 8
	s_waitcnt lgkmcnt(0)
	s_cmp_ge_i32 s6, s7
	s_cbranch_scc1 .LBB438_10
; %bb.5:
	s_andn2_b64 vcc, exec, s[14:15]
	s_cbranch_vccnz .LBB438_7
; %bb.6:
	s_add_u32 s6, s12, s16
	s_addc_u32 s7, s13, s17
	s_load_dword s8, s[6:7], 0x0
.LBB438_7:
	v_and_b32_e32 v1, 15, v0
	s_movk_i32 s6, 0xd0
	v_cmp_gt_u32_e32 vcc, s6, v0
	v_cmp_gt_u32_e64 s[6:7], 8, v1
	s_and_b64 s[12:13], s[6:7], vcc
	s_and_saveexec_b64 s[6:7], s[12:13]
	s_cbranch_execz .LBB438_9
; %bb.8:
	s_load_dword s11, s[4:5], 0x48
	s_load_dwordx2 s[12:13], s[4:5], 0x0
	v_lshrrev_b32_e32 v6, 4, v0
	s_mul_i32 s10, s10, 13
	v_add_lshl_u32 v2, v6, s10, 6
	s_waitcnt lgkmcnt(0)
	s_ashr_i32 s9, s11, 31
	s_mul_hi_u32 s14, s8, s11
	s_mul_i32 s9, s8, s9
	s_add_i32 s9, s14, s9
	s_mul_i32 s8, s8, s11
	s_lshl_b64 s[8:9], s[8:9], 1
	s_add_u32 s8, s12, s8
	v_ashrrev_i32_e32 v3, 31, v2
	s_addc_u32 s9, s13, s9
	v_lshlrev_b64 v[2:3], 1, v[2:3]
	v_mov_b32_e32 v4, s9
	v_add_co_u32_e32 v2, vcc, s8, v2
	v_addc_co_u32_e32 v3, vcc, v4, v3, vcc
	v_lshlrev_b32_e32 v4, 4, v1
	v_add_co_u32_e32 v2, vcc, v2, v4
	v_addc_co_u32_e32 v3, vcc, 0, v3, vcc
	global_load_dwordx4 v[2:5], v[2:3], off
	v_lshlrev_b32_e32 v0, 4, v0
	v_lshlrev_b32_e32 v1, 8, v1
	v_and_b32_e32 v0, 16, v0
	v_lshlrev_b32_e32 v6, 5, v6
	v_and_b32_e32 v1, 0xe00, v1
	v_or3_b32 v0, v1, v6, v0
	s_waitcnt vmcnt(0)
	ds_write_b128 v0, v[2:5]
.LBB438_9:
	s_or_b64 exec, exec, s[6:7]
	s_waitcnt lgkmcnt(0)
	s_add_u32 s8, s4, 0x90
	s_addc_u32 s9, s5, 0
	s_getpc_b64 s[4:5]
	s_add_u32 s4, s4, __PRETTY_FUNCTION__._Z39paged_attention_ll4mi_QKV_mfma16_kernelIDF16_hLN4vllm18Fp8KVCacheDataTypeE1EDF16_Li32ELi64ELi256ELb1ELi13EL8MFMAType1EEvPKT_PKT0_S8_ifPKiSA_SA_iPKfiiiPfSD_PS3_PT2_iSC_SC_@rel32@lo+4
	s_addc_u32 s5, s5, __PRETTY_FUNCTION__._Z39paged_attention_ll4mi_QKV_mfma16_kernelIDF16_hLN4vllm18Fp8KVCacheDataTypeE1EDF16_Li32ELi64ELi256ELb1ELi13EL8MFMAType1EEvPKT_PKT0_S8_ifPKiSA_SA_iPKfiiiPfSD_PS3_PT2_iSC_SC_@rel32@hi+12
	v_mov_b32_e32 v0, 0x288
	v_mov_b32_e32 v1, s4
	;; [unrolled: 1-line block ×3, first 2 shown]
	s_barrier
	s_getpc_b64 s[6:7]
	s_add_u32 s6, s6, __assert_fail@rel32@lo+4
	s_addc_u32 s7, s7, __assert_fail@rel32@hi+12
	s_swappc_b64 s[30:31], s[6:7]
	; divergent unreachable
.LBB438_10:
	s_endpgm
.LBB438_11:
	s_mov_b64 s[18:19], 0
	s_branch .LBB438_2
	.section	.rodata,"a",@progbits
	.p2align	6, 0x0
	.amdhsa_kernel _Z39paged_attention_ll4mi_QKV_mfma16_kernelIDF16_hLN4vllm18Fp8KVCacheDataTypeE1EDF16_Li32ELi64ELi256ELb1ELi13EL8MFMAType1EEvPKT_PKT0_S8_ifPKiSA_SA_iPKfiiiPfSD_PS3_PT2_iSC_SC_
		.amdhsa_group_segment_fixed_size 8192
		.amdhsa_private_segment_fixed_size 64
		.amdhsa_kernarg_size 400
		.amdhsa_user_sgpr_count 8
		.amdhsa_user_sgpr_private_segment_buffer 1
		.amdhsa_user_sgpr_dispatch_ptr 0
		.amdhsa_user_sgpr_queue_ptr 0
		.amdhsa_user_sgpr_kernarg_segment_ptr 1
		.amdhsa_user_sgpr_dispatch_id 0
		.amdhsa_user_sgpr_flat_scratch_init 1
		.amdhsa_user_sgpr_kernarg_preload_length 0
		.amdhsa_user_sgpr_kernarg_preload_offset 0
		.amdhsa_user_sgpr_private_segment_size 0
		.amdhsa_uses_dynamic_stack 0
		.amdhsa_system_sgpr_private_segment_wavefront_offset 1
		.amdhsa_system_sgpr_workgroup_id_x 1
		.amdhsa_system_sgpr_workgroup_id_y 1
		.amdhsa_system_sgpr_workgroup_id_z 1
		.amdhsa_system_sgpr_workgroup_info 0
		.amdhsa_system_vgpr_workitem_id 0
		.amdhsa_next_free_vgpr 45
		.amdhsa_next_free_sgpr 34
		.amdhsa_accum_offset 44
		.amdhsa_reserve_vcc 1
		.amdhsa_reserve_flat_scratch 1
		.amdhsa_float_round_mode_32 0
		.amdhsa_float_round_mode_16_64 0
		.amdhsa_float_denorm_mode_32 3
		.amdhsa_float_denorm_mode_16_64 3
		.amdhsa_dx10_clamp 1
		.amdhsa_ieee_mode 1
		.amdhsa_fp16_overflow 0
		.amdhsa_tg_split 0
		.amdhsa_exception_fp_ieee_invalid_op 0
		.amdhsa_exception_fp_denorm_src 0
		.amdhsa_exception_fp_ieee_div_zero 0
		.amdhsa_exception_fp_ieee_overflow 0
		.amdhsa_exception_fp_ieee_underflow 0
		.amdhsa_exception_fp_ieee_inexact 0
		.amdhsa_exception_int_div_zero 0
	.end_amdhsa_kernel
	.section	.text._Z39paged_attention_ll4mi_QKV_mfma16_kernelIDF16_hLN4vllm18Fp8KVCacheDataTypeE1EDF16_Li32ELi64ELi256ELb1ELi13EL8MFMAType1EEvPKT_PKT0_S8_ifPKiSA_SA_iPKfiiiPfSD_PS3_PT2_iSC_SC_,"axG",@progbits,_Z39paged_attention_ll4mi_QKV_mfma16_kernelIDF16_hLN4vllm18Fp8KVCacheDataTypeE1EDF16_Li32ELi64ELi256ELb1ELi13EL8MFMAType1EEvPKT_PKT0_S8_ifPKiSA_SA_iPKfiiiPfSD_PS3_PT2_iSC_SC_,comdat
.Lfunc_end438:
	.size	_Z39paged_attention_ll4mi_QKV_mfma16_kernelIDF16_hLN4vllm18Fp8KVCacheDataTypeE1EDF16_Li32ELi64ELi256ELb1ELi13EL8MFMAType1EEvPKT_PKT0_S8_ifPKiSA_SA_iPKfiiiPfSD_PS3_PT2_iSC_SC_, .Lfunc_end438-_Z39paged_attention_ll4mi_QKV_mfma16_kernelIDF16_hLN4vllm18Fp8KVCacheDataTypeE1EDF16_Li32ELi64ELi256ELb1ELi13EL8MFMAType1EEvPKT_PKT0_S8_ifPKiSA_SA_iPKfiiiPfSD_PS3_PT2_iSC_SC_
                                        ; -- End function
	.section	.AMDGPU.csdata,"",@progbits
; Kernel info:
; codeLenInByte = 504
; NumSgprs: 40
; NumVgprs: 42
; NumAgprs: 1
; TotalNumVgprs: 45
; ScratchSize: 64
; MemoryBound: 0
; FloatMode: 240
; IeeeMode: 1
; LDSByteSize: 8192 bytes/workgroup (compile time only)
; SGPRBlocks: 4
; VGPRBlocks: 5
; NumSGPRsForWavesPerEU: 40
; NumVGPRsForWavesPerEU: 45
; AccumOffset: 44
; Occupancy: 8
; WaveLimiterHint : 1
; COMPUTE_PGM_RSRC2:SCRATCH_EN: 1
; COMPUTE_PGM_RSRC2:USER_SGPR: 8
; COMPUTE_PGM_RSRC2:TRAP_HANDLER: 0
; COMPUTE_PGM_RSRC2:TGID_X_EN: 1
; COMPUTE_PGM_RSRC2:TGID_Y_EN: 1
; COMPUTE_PGM_RSRC2:TGID_Z_EN: 1
; COMPUTE_PGM_RSRC2:TIDIG_COMP_CNT: 0
; COMPUTE_PGM_RSRC3_GFX90A:ACCUM_OFFSET: 10
; COMPUTE_PGM_RSRC3_GFX90A:TG_SPLIT: 0
	.section	.text._Z39paged_attention_ll4mi_QKV_mfma16_kernelIDF16_hLN4vllm18Fp8KVCacheDataTypeE1EDF16_Li32ELi64ELi256ELb1ELi14EL8MFMAType1EEvPKT_PKT0_S8_ifPKiSA_SA_iPKfiiiPfSD_PS3_PT2_iSC_SC_,"axG",@progbits,_Z39paged_attention_ll4mi_QKV_mfma16_kernelIDF16_hLN4vllm18Fp8KVCacheDataTypeE1EDF16_Li32ELi64ELi256ELb1ELi14EL8MFMAType1EEvPKT_PKT0_S8_ifPKiSA_SA_iPKfiiiPfSD_PS3_PT2_iSC_SC_,comdat
	.protected	_Z39paged_attention_ll4mi_QKV_mfma16_kernelIDF16_hLN4vllm18Fp8KVCacheDataTypeE1EDF16_Li32ELi64ELi256ELb1ELi14EL8MFMAType1EEvPKT_PKT0_S8_ifPKiSA_SA_iPKfiiiPfSD_PS3_PT2_iSC_SC_ ; -- Begin function _Z39paged_attention_ll4mi_QKV_mfma16_kernelIDF16_hLN4vllm18Fp8KVCacheDataTypeE1EDF16_Li32ELi64ELi256ELb1ELi14EL8MFMAType1EEvPKT_PKT0_S8_ifPKiSA_SA_iPKfiiiPfSD_PS3_PT2_iSC_SC_
	.globl	_Z39paged_attention_ll4mi_QKV_mfma16_kernelIDF16_hLN4vllm18Fp8KVCacheDataTypeE1EDF16_Li32ELi64ELi256ELb1ELi14EL8MFMAType1EEvPKT_PKT0_S8_ifPKiSA_SA_iPKfiiiPfSD_PS3_PT2_iSC_SC_
	.p2align	8
	.type	_Z39paged_attention_ll4mi_QKV_mfma16_kernelIDF16_hLN4vllm18Fp8KVCacheDataTypeE1EDF16_Li32ELi64ELi256ELb1ELi14EL8MFMAType1EEvPKT_PKT0_S8_ifPKiSA_SA_iPKfiiiPfSD_PS3_PT2_iSC_SC_,@function
_Z39paged_attention_ll4mi_QKV_mfma16_kernelIDF16_hLN4vllm18Fp8KVCacheDataTypeE1EDF16_Li32ELi64ELi256ELb1ELi14EL8MFMAType1EEvPKT_PKT0_S8_ifPKiSA_SA_iPKfiiiPfSD_PS3_PT2_iSC_SC_: ; @_Z39paged_attention_ll4mi_QKV_mfma16_kernelIDF16_hLN4vllm18Fp8KVCacheDataTypeE1EDF16_Li32ELi64ELi256ELb1ELi14EL8MFMAType1EEvPKT_PKT0_S8_ifPKiSA_SA_iPKfiiiPfSD_PS3_PT2_iSC_SC_
; %bb.0:
	s_load_dwordx2 s[12:13], s[4:5], 0x30
	s_add_u32 flat_scratch_lo, s6, s11
	s_addc_u32 flat_scratch_hi, s7, 0
	s_add_u32 s0, s0, s11
	s_addc_u32 s1, s1, 0
	s_waitcnt lgkmcnt(0)
	s_cmp_lg_u64 s[12:13], 0
	s_cselect_b64 s[14:15], -1, 0
	s_mov_b32 s6, s9
	s_mov_b64 s[16:17], 0
	s_and_b64 vcc, exec, s[14:15]
	s_mov_b32 s32, 0
	s_cbranch_vccz .LBB439_11
; %bb.1:
	s_add_i32 s18, s8, 1
	s_mov_b32 s19, 0
	s_lshl_b64 s[20:21], s[18:19], 2
	s_add_u32 s20, s12, s20
	s_mov_b32 s9, s19
	s_addc_u32 s21, s13, s21
	s_lshl_b64 s[18:19], s[8:9], 2
	s_add_u32 s18, s12, s18
	s_addc_u32 s19, s13, s19
	s_load_dword s7, s[20:21], 0x0
	s_load_dword s11, s[18:19], 0x0
	s_waitcnt lgkmcnt(0)
	s_sub_i32 s7, s7, s11
	s_cmp_eq_u32 s7, 1
	s_cselect_b64 s[18:19], -1, 0
	s_andn2_b64 vcc, exec, s[16:17]
	s_cbranch_vccnz .LBB439_3
.LBB439_2:
	s_mov_b32 s9, 0
	s_mov_b64 s[18:19], -1
.LBB439_3:
	s_andn2_b64 vcc, exec, s[18:19]
	s_cbranch_vccnz .LBB439_10
; %bb.4:
	s_load_dwordx2 s[18:19], s[4:5], 0x28
	s_lshl_b64 s[16:17], s[8:9], 2
	s_waitcnt lgkmcnt(0)
	s_add_u32 s18, s18, s16
	s_addc_u32 s19, s19, s17
	s_load_dword s7, s[18:19], 0x0
	s_lshl_b32 s6, s6, 8
	s_waitcnt lgkmcnt(0)
	s_cmp_ge_i32 s6, s7
	s_cbranch_scc1 .LBB439_10
; %bb.5:
	s_andn2_b64 vcc, exec, s[14:15]
	s_cbranch_vccnz .LBB439_7
; %bb.6:
	s_add_u32 s6, s12, s16
	s_addc_u32 s7, s13, s17
	s_load_dword s8, s[6:7], 0x0
.LBB439_7:
	v_and_b32_e32 v1, 15, v0
	s_movk_i32 s6, 0xe0
	v_cmp_gt_u32_e32 vcc, s6, v0
	v_cmp_gt_u32_e64 s[6:7], 8, v1
	s_and_b64 s[12:13], s[6:7], vcc
	s_and_saveexec_b64 s[6:7], s[12:13]
	s_cbranch_execz .LBB439_9
; %bb.8:
	s_load_dword s11, s[4:5], 0x48
	s_load_dwordx2 s[12:13], s[4:5], 0x0
	v_lshrrev_b32_e32 v6, 4, v0
	s_mul_i32 s10, s10, 14
	v_add_lshl_u32 v2, v6, s10, 6
	s_waitcnt lgkmcnt(0)
	s_ashr_i32 s9, s11, 31
	s_mul_hi_u32 s14, s8, s11
	s_mul_i32 s9, s8, s9
	s_add_i32 s9, s14, s9
	s_mul_i32 s8, s8, s11
	s_lshl_b64 s[8:9], s[8:9], 1
	s_add_u32 s8, s12, s8
	v_ashrrev_i32_e32 v3, 31, v2
	s_addc_u32 s9, s13, s9
	v_lshlrev_b64 v[2:3], 1, v[2:3]
	v_mov_b32_e32 v4, s9
	v_add_co_u32_e32 v2, vcc, s8, v2
	v_addc_co_u32_e32 v3, vcc, v4, v3, vcc
	v_lshlrev_b32_e32 v4, 4, v1
	v_add_co_u32_e32 v2, vcc, v2, v4
	v_addc_co_u32_e32 v3, vcc, 0, v3, vcc
	global_load_dwordx4 v[2:5], v[2:3], off
	v_lshlrev_b32_e32 v0, 4, v0
	v_lshlrev_b32_e32 v1, 8, v1
	v_and_b32_e32 v0, 16, v0
	v_lshlrev_b32_e32 v6, 5, v6
	v_and_b32_e32 v1, 0xe00, v1
	v_or3_b32 v0, v1, v6, v0
	s_waitcnt vmcnt(0)
	ds_write_b128 v0, v[2:5]
.LBB439_9:
	s_or_b64 exec, exec, s[6:7]
	s_waitcnt lgkmcnt(0)
	s_add_u32 s8, s4, 0x90
	s_addc_u32 s9, s5, 0
	s_getpc_b64 s[4:5]
	s_add_u32 s4, s4, __PRETTY_FUNCTION__._Z39paged_attention_ll4mi_QKV_mfma16_kernelIDF16_hLN4vllm18Fp8KVCacheDataTypeE1EDF16_Li32ELi64ELi256ELb1ELi14EL8MFMAType1EEvPKT_PKT0_S8_ifPKiSA_SA_iPKfiiiPfSD_PS3_PT2_iSC_SC_@rel32@lo+4
	s_addc_u32 s5, s5, __PRETTY_FUNCTION__._Z39paged_attention_ll4mi_QKV_mfma16_kernelIDF16_hLN4vllm18Fp8KVCacheDataTypeE1EDF16_Li32ELi64ELi256ELb1ELi14EL8MFMAType1EEvPKT_PKT0_S8_ifPKiSA_SA_iPKfiiiPfSD_PS3_PT2_iSC_SC_@rel32@hi+12
	v_mov_b32_e32 v0, 0x288
	v_mov_b32_e32 v1, s4
	;; [unrolled: 1-line block ×3, first 2 shown]
	s_barrier
	s_getpc_b64 s[6:7]
	s_add_u32 s6, s6, __assert_fail@rel32@lo+4
	s_addc_u32 s7, s7, __assert_fail@rel32@hi+12
	s_swappc_b64 s[30:31], s[6:7]
	; divergent unreachable
.LBB439_10:
	s_endpgm
.LBB439_11:
	s_mov_b64 s[18:19], 0
	s_branch .LBB439_2
	.section	.rodata,"a",@progbits
	.p2align	6, 0x0
	.amdhsa_kernel _Z39paged_attention_ll4mi_QKV_mfma16_kernelIDF16_hLN4vllm18Fp8KVCacheDataTypeE1EDF16_Li32ELi64ELi256ELb1ELi14EL8MFMAType1EEvPKT_PKT0_S8_ifPKiSA_SA_iPKfiiiPfSD_PS3_PT2_iSC_SC_
		.amdhsa_group_segment_fixed_size 8192
		.amdhsa_private_segment_fixed_size 64
		.amdhsa_kernarg_size 400
		.amdhsa_user_sgpr_count 8
		.amdhsa_user_sgpr_private_segment_buffer 1
		.amdhsa_user_sgpr_dispatch_ptr 0
		.amdhsa_user_sgpr_queue_ptr 0
		.amdhsa_user_sgpr_kernarg_segment_ptr 1
		.amdhsa_user_sgpr_dispatch_id 0
		.amdhsa_user_sgpr_flat_scratch_init 1
		.amdhsa_user_sgpr_kernarg_preload_length 0
		.amdhsa_user_sgpr_kernarg_preload_offset 0
		.amdhsa_user_sgpr_private_segment_size 0
		.amdhsa_uses_dynamic_stack 0
		.amdhsa_system_sgpr_private_segment_wavefront_offset 1
		.amdhsa_system_sgpr_workgroup_id_x 1
		.amdhsa_system_sgpr_workgroup_id_y 1
		.amdhsa_system_sgpr_workgroup_id_z 1
		.amdhsa_system_sgpr_workgroup_info 0
		.amdhsa_system_vgpr_workitem_id 0
		.amdhsa_next_free_vgpr 45
		.amdhsa_next_free_sgpr 34
		.amdhsa_accum_offset 44
		.amdhsa_reserve_vcc 1
		.amdhsa_reserve_flat_scratch 1
		.amdhsa_float_round_mode_32 0
		.amdhsa_float_round_mode_16_64 0
		.amdhsa_float_denorm_mode_32 3
		.amdhsa_float_denorm_mode_16_64 3
		.amdhsa_dx10_clamp 1
		.amdhsa_ieee_mode 1
		.amdhsa_fp16_overflow 0
		.amdhsa_tg_split 0
		.amdhsa_exception_fp_ieee_invalid_op 0
		.amdhsa_exception_fp_denorm_src 0
		.amdhsa_exception_fp_ieee_div_zero 0
		.amdhsa_exception_fp_ieee_overflow 0
		.amdhsa_exception_fp_ieee_underflow 0
		.amdhsa_exception_fp_ieee_inexact 0
		.amdhsa_exception_int_div_zero 0
	.end_amdhsa_kernel
	.section	.text._Z39paged_attention_ll4mi_QKV_mfma16_kernelIDF16_hLN4vllm18Fp8KVCacheDataTypeE1EDF16_Li32ELi64ELi256ELb1ELi14EL8MFMAType1EEvPKT_PKT0_S8_ifPKiSA_SA_iPKfiiiPfSD_PS3_PT2_iSC_SC_,"axG",@progbits,_Z39paged_attention_ll4mi_QKV_mfma16_kernelIDF16_hLN4vllm18Fp8KVCacheDataTypeE1EDF16_Li32ELi64ELi256ELb1ELi14EL8MFMAType1EEvPKT_PKT0_S8_ifPKiSA_SA_iPKfiiiPfSD_PS3_PT2_iSC_SC_,comdat
.Lfunc_end439:
	.size	_Z39paged_attention_ll4mi_QKV_mfma16_kernelIDF16_hLN4vllm18Fp8KVCacheDataTypeE1EDF16_Li32ELi64ELi256ELb1ELi14EL8MFMAType1EEvPKT_PKT0_S8_ifPKiSA_SA_iPKfiiiPfSD_PS3_PT2_iSC_SC_, .Lfunc_end439-_Z39paged_attention_ll4mi_QKV_mfma16_kernelIDF16_hLN4vllm18Fp8KVCacheDataTypeE1EDF16_Li32ELi64ELi256ELb1ELi14EL8MFMAType1EEvPKT_PKT0_S8_ifPKiSA_SA_iPKfiiiPfSD_PS3_PT2_iSC_SC_
                                        ; -- End function
	.section	.AMDGPU.csdata,"",@progbits
; Kernel info:
; codeLenInByte = 504
; NumSgprs: 40
; NumVgprs: 42
; NumAgprs: 1
; TotalNumVgprs: 45
; ScratchSize: 64
; MemoryBound: 0
; FloatMode: 240
; IeeeMode: 1
; LDSByteSize: 8192 bytes/workgroup (compile time only)
; SGPRBlocks: 4
; VGPRBlocks: 5
; NumSGPRsForWavesPerEU: 40
; NumVGPRsForWavesPerEU: 45
; AccumOffset: 44
; Occupancy: 8
; WaveLimiterHint : 1
; COMPUTE_PGM_RSRC2:SCRATCH_EN: 1
; COMPUTE_PGM_RSRC2:USER_SGPR: 8
; COMPUTE_PGM_RSRC2:TRAP_HANDLER: 0
; COMPUTE_PGM_RSRC2:TGID_X_EN: 1
; COMPUTE_PGM_RSRC2:TGID_Y_EN: 1
; COMPUTE_PGM_RSRC2:TGID_Z_EN: 1
; COMPUTE_PGM_RSRC2:TIDIG_COMP_CNT: 0
; COMPUTE_PGM_RSRC3_GFX90A:ACCUM_OFFSET: 10
; COMPUTE_PGM_RSRC3_GFX90A:TG_SPLIT: 0
	.section	.text._Z39paged_attention_ll4mi_QKV_mfma16_kernelIDF16_hLN4vllm18Fp8KVCacheDataTypeE1EDF16_Li32ELi64ELi256ELb1ELi15EL8MFMAType1EEvPKT_PKT0_S8_ifPKiSA_SA_iPKfiiiPfSD_PS3_PT2_iSC_SC_,"axG",@progbits,_Z39paged_attention_ll4mi_QKV_mfma16_kernelIDF16_hLN4vllm18Fp8KVCacheDataTypeE1EDF16_Li32ELi64ELi256ELb1ELi15EL8MFMAType1EEvPKT_PKT0_S8_ifPKiSA_SA_iPKfiiiPfSD_PS3_PT2_iSC_SC_,comdat
	.protected	_Z39paged_attention_ll4mi_QKV_mfma16_kernelIDF16_hLN4vllm18Fp8KVCacheDataTypeE1EDF16_Li32ELi64ELi256ELb1ELi15EL8MFMAType1EEvPKT_PKT0_S8_ifPKiSA_SA_iPKfiiiPfSD_PS3_PT2_iSC_SC_ ; -- Begin function _Z39paged_attention_ll4mi_QKV_mfma16_kernelIDF16_hLN4vllm18Fp8KVCacheDataTypeE1EDF16_Li32ELi64ELi256ELb1ELi15EL8MFMAType1EEvPKT_PKT0_S8_ifPKiSA_SA_iPKfiiiPfSD_PS3_PT2_iSC_SC_
	.globl	_Z39paged_attention_ll4mi_QKV_mfma16_kernelIDF16_hLN4vllm18Fp8KVCacheDataTypeE1EDF16_Li32ELi64ELi256ELb1ELi15EL8MFMAType1EEvPKT_PKT0_S8_ifPKiSA_SA_iPKfiiiPfSD_PS3_PT2_iSC_SC_
	.p2align	8
	.type	_Z39paged_attention_ll4mi_QKV_mfma16_kernelIDF16_hLN4vllm18Fp8KVCacheDataTypeE1EDF16_Li32ELi64ELi256ELb1ELi15EL8MFMAType1EEvPKT_PKT0_S8_ifPKiSA_SA_iPKfiiiPfSD_PS3_PT2_iSC_SC_,@function
_Z39paged_attention_ll4mi_QKV_mfma16_kernelIDF16_hLN4vllm18Fp8KVCacheDataTypeE1EDF16_Li32ELi64ELi256ELb1ELi15EL8MFMAType1EEvPKT_PKT0_S8_ifPKiSA_SA_iPKfiiiPfSD_PS3_PT2_iSC_SC_: ; @_Z39paged_attention_ll4mi_QKV_mfma16_kernelIDF16_hLN4vllm18Fp8KVCacheDataTypeE1EDF16_Li32ELi64ELi256ELb1ELi15EL8MFMAType1EEvPKT_PKT0_S8_ifPKiSA_SA_iPKfiiiPfSD_PS3_PT2_iSC_SC_
; %bb.0:
	s_load_dwordx2 s[12:13], s[4:5], 0x30
	s_add_u32 flat_scratch_lo, s6, s11
	s_addc_u32 flat_scratch_hi, s7, 0
	s_add_u32 s0, s0, s11
	s_addc_u32 s1, s1, 0
	s_waitcnt lgkmcnt(0)
	s_cmp_lg_u64 s[12:13], 0
	s_cselect_b64 s[14:15], -1, 0
	s_mov_b32 s6, s9
	s_mov_b64 s[16:17], 0
	s_and_b64 vcc, exec, s[14:15]
	s_mov_b32 s32, 0
	s_cbranch_vccz .LBB440_11
; %bb.1:
	s_add_i32 s18, s8, 1
	s_mov_b32 s19, 0
	s_lshl_b64 s[20:21], s[18:19], 2
	s_add_u32 s20, s12, s20
	s_mov_b32 s9, s19
	s_addc_u32 s21, s13, s21
	s_lshl_b64 s[18:19], s[8:9], 2
	s_add_u32 s18, s12, s18
	s_addc_u32 s19, s13, s19
	s_load_dword s7, s[20:21], 0x0
	s_load_dword s11, s[18:19], 0x0
	s_waitcnt lgkmcnt(0)
	s_sub_i32 s7, s7, s11
	s_cmp_eq_u32 s7, 1
	s_cselect_b64 s[18:19], -1, 0
	s_andn2_b64 vcc, exec, s[16:17]
	s_cbranch_vccnz .LBB440_3
.LBB440_2:
	s_mov_b32 s9, 0
	s_mov_b64 s[18:19], -1
.LBB440_3:
	s_andn2_b64 vcc, exec, s[18:19]
	s_cbranch_vccnz .LBB440_10
; %bb.4:
	s_load_dwordx2 s[18:19], s[4:5], 0x28
	s_lshl_b64 s[16:17], s[8:9], 2
	s_waitcnt lgkmcnt(0)
	s_add_u32 s18, s18, s16
	s_addc_u32 s19, s19, s17
	s_load_dword s7, s[18:19], 0x0
	s_lshl_b32 s6, s6, 8
	s_waitcnt lgkmcnt(0)
	s_cmp_ge_i32 s6, s7
	s_cbranch_scc1 .LBB440_10
; %bb.5:
	s_andn2_b64 vcc, exec, s[14:15]
	s_cbranch_vccnz .LBB440_7
; %bb.6:
	s_add_u32 s6, s12, s16
	s_addc_u32 s7, s13, s17
	s_load_dword s8, s[6:7], 0x0
.LBB440_7:
	v_and_b32_e32 v1, 15, v0
	s_movk_i32 s6, 0xf0
	v_cmp_gt_u32_e32 vcc, s6, v0
	v_cmp_gt_u32_e64 s[6:7], 8, v1
	s_and_b64 s[12:13], s[6:7], vcc
	s_and_saveexec_b64 s[6:7], s[12:13]
	s_cbranch_execz .LBB440_9
; %bb.8:
	s_load_dword s11, s[4:5], 0x48
	s_load_dwordx2 s[12:13], s[4:5], 0x0
	v_lshrrev_b32_e32 v6, 4, v0
	s_mul_i32 s10, s10, 15
	v_add_lshl_u32 v2, v6, s10, 6
	s_waitcnt lgkmcnt(0)
	s_ashr_i32 s9, s11, 31
	s_mul_hi_u32 s14, s8, s11
	s_mul_i32 s9, s8, s9
	s_add_i32 s9, s14, s9
	s_mul_i32 s8, s8, s11
	s_lshl_b64 s[8:9], s[8:9], 1
	s_add_u32 s8, s12, s8
	v_ashrrev_i32_e32 v3, 31, v2
	s_addc_u32 s9, s13, s9
	v_lshlrev_b64 v[2:3], 1, v[2:3]
	v_mov_b32_e32 v4, s9
	v_add_co_u32_e32 v2, vcc, s8, v2
	v_addc_co_u32_e32 v3, vcc, v4, v3, vcc
	v_lshlrev_b32_e32 v4, 4, v1
	v_add_co_u32_e32 v2, vcc, v2, v4
	v_addc_co_u32_e32 v3, vcc, 0, v3, vcc
	global_load_dwordx4 v[2:5], v[2:3], off
	v_lshlrev_b32_e32 v0, 4, v0
	v_lshlrev_b32_e32 v1, 8, v1
	v_and_b32_e32 v0, 16, v0
	v_lshlrev_b32_e32 v6, 5, v6
	v_and_b32_e32 v1, 0xe00, v1
	v_or3_b32 v0, v1, v6, v0
	s_waitcnt vmcnt(0)
	ds_write_b128 v0, v[2:5]
.LBB440_9:
	s_or_b64 exec, exec, s[6:7]
	s_waitcnt lgkmcnt(0)
	s_add_u32 s8, s4, 0x90
	s_addc_u32 s9, s5, 0
	s_getpc_b64 s[4:5]
	s_add_u32 s4, s4, __PRETTY_FUNCTION__._Z39paged_attention_ll4mi_QKV_mfma16_kernelIDF16_hLN4vllm18Fp8KVCacheDataTypeE1EDF16_Li32ELi64ELi256ELb1ELi15EL8MFMAType1EEvPKT_PKT0_S8_ifPKiSA_SA_iPKfiiiPfSD_PS3_PT2_iSC_SC_@rel32@lo+4
	s_addc_u32 s5, s5, __PRETTY_FUNCTION__._Z39paged_attention_ll4mi_QKV_mfma16_kernelIDF16_hLN4vllm18Fp8KVCacheDataTypeE1EDF16_Li32ELi64ELi256ELb1ELi15EL8MFMAType1EEvPKT_PKT0_S8_ifPKiSA_SA_iPKfiiiPfSD_PS3_PT2_iSC_SC_@rel32@hi+12
	v_mov_b32_e32 v0, 0x288
	v_mov_b32_e32 v1, s4
	;; [unrolled: 1-line block ×3, first 2 shown]
	s_barrier
	s_getpc_b64 s[6:7]
	s_add_u32 s6, s6, __assert_fail@rel32@lo+4
	s_addc_u32 s7, s7, __assert_fail@rel32@hi+12
	s_swappc_b64 s[30:31], s[6:7]
	; divergent unreachable
.LBB440_10:
	s_endpgm
.LBB440_11:
	s_mov_b64 s[18:19], 0
	s_branch .LBB440_2
	.section	.rodata,"a",@progbits
	.p2align	6, 0x0
	.amdhsa_kernel _Z39paged_attention_ll4mi_QKV_mfma16_kernelIDF16_hLN4vllm18Fp8KVCacheDataTypeE1EDF16_Li32ELi64ELi256ELb1ELi15EL8MFMAType1EEvPKT_PKT0_S8_ifPKiSA_SA_iPKfiiiPfSD_PS3_PT2_iSC_SC_
		.amdhsa_group_segment_fixed_size 8192
		.amdhsa_private_segment_fixed_size 64
		.amdhsa_kernarg_size 400
		.amdhsa_user_sgpr_count 8
		.amdhsa_user_sgpr_private_segment_buffer 1
		.amdhsa_user_sgpr_dispatch_ptr 0
		.amdhsa_user_sgpr_queue_ptr 0
		.amdhsa_user_sgpr_kernarg_segment_ptr 1
		.amdhsa_user_sgpr_dispatch_id 0
		.amdhsa_user_sgpr_flat_scratch_init 1
		.amdhsa_user_sgpr_kernarg_preload_length 0
		.amdhsa_user_sgpr_kernarg_preload_offset 0
		.amdhsa_user_sgpr_private_segment_size 0
		.amdhsa_uses_dynamic_stack 0
		.amdhsa_system_sgpr_private_segment_wavefront_offset 1
		.amdhsa_system_sgpr_workgroup_id_x 1
		.amdhsa_system_sgpr_workgroup_id_y 1
		.amdhsa_system_sgpr_workgroup_id_z 1
		.amdhsa_system_sgpr_workgroup_info 0
		.amdhsa_system_vgpr_workitem_id 0
		.amdhsa_next_free_vgpr 45
		.amdhsa_next_free_sgpr 34
		.amdhsa_accum_offset 44
		.amdhsa_reserve_vcc 1
		.amdhsa_reserve_flat_scratch 1
		.amdhsa_float_round_mode_32 0
		.amdhsa_float_round_mode_16_64 0
		.amdhsa_float_denorm_mode_32 3
		.amdhsa_float_denorm_mode_16_64 3
		.amdhsa_dx10_clamp 1
		.amdhsa_ieee_mode 1
		.amdhsa_fp16_overflow 0
		.amdhsa_tg_split 0
		.amdhsa_exception_fp_ieee_invalid_op 0
		.amdhsa_exception_fp_denorm_src 0
		.amdhsa_exception_fp_ieee_div_zero 0
		.amdhsa_exception_fp_ieee_overflow 0
		.amdhsa_exception_fp_ieee_underflow 0
		.amdhsa_exception_fp_ieee_inexact 0
		.amdhsa_exception_int_div_zero 0
	.end_amdhsa_kernel
	.section	.text._Z39paged_attention_ll4mi_QKV_mfma16_kernelIDF16_hLN4vllm18Fp8KVCacheDataTypeE1EDF16_Li32ELi64ELi256ELb1ELi15EL8MFMAType1EEvPKT_PKT0_S8_ifPKiSA_SA_iPKfiiiPfSD_PS3_PT2_iSC_SC_,"axG",@progbits,_Z39paged_attention_ll4mi_QKV_mfma16_kernelIDF16_hLN4vllm18Fp8KVCacheDataTypeE1EDF16_Li32ELi64ELi256ELb1ELi15EL8MFMAType1EEvPKT_PKT0_S8_ifPKiSA_SA_iPKfiiiPfSD_PS3_PT2_iSC_SC_,comdat
.Lfunc_end440:
	.size	_Z39paged_attention_ll4mi_QKV_mfma16_kernelIDF16_hLN4vllm18Fp8KVCacheDataTypeE1EDF16_Li32ELi64ELi256ELb1ELi15EL8MFMAType1EEvPKT_PKT0_S8_ifPKiSA_SA_iPKfiiiPfSD_PS3_PT2_iSC_SC_, .Lfunc_end440-_Z39paged_attention_ll4mi_QKV_mfma16_kernelIDF16_hLN4vllm18Fp8KVCacheDataTypeE1EDF16_Li32ELi64ELi256ELb1ELi15EL8MFMAType1EEvPKT_PKT0_S8_ifPKiSA_SA_iPKfiiiPfSD_PS3_PT2_iSC_SC_
                                        ; -- End function
	.section	.AMDGPU.csdata,"",@progbits
; Kernel info:
; codeLenInByte = 504
; NumSgprs: 40
; NumVgprs: 42
; NumAgprs: 1
; TotalNumVgprs: 45
; ScratchSize: 64
; MemoryBound: 0
; FloatMode: 240
; IeeeMode: 1
; LDSByteSize: 8192 bytes/workgroup (compile time only)
; SGPRBlocks: 4
; VGPRBlocks: 5
; NumSGPRsForWavesPerEU: 40
; NumVGPRsForWavesPerEU: 45
; AccumOffset: 44
; Occupancy: 8
; WaveLimiterHint : 1
; COMPUTE_PGM_RSRC2:SCRATCH_EN: 1
; COMPUTE_PGM_RSRC2:USER_SGPR: 8
; COMPUTE_PGM_RSRC2:TRAP_HANDLER: 0
; COMPUTE_PGM_RSRC2:TGID_X_EN: 1
; COMPUTE_PGM_RSRC2:TGID_Y_EN: 1
; COMPUTE_PGM_RSRC2:TGID_Z_EN: 1
; COMPUTE_PGM_RSRC2:TIDIG_COMP_CNT: 0
; COMPUTE_PGM_RSRC3_GFX90A:ACCUM_OFFSET: 10
; COMPUTE_PGM_RSRC3_GFX90A:TG_SPLIT: 0
	.section	.text._Z39paged_attention_ll4mi_QKV_mfma16_kernelIDF16_hLN4vllm18Fp8KVCacheDataTypeE1EDF16_Li32ELi64ELi256ELb1ELi16EL8MFMAType1EEvPKT_PKT0_S8_ifPKiSA_SA_iPKfiiiPfSD_PS3_PT2_iSC_SC_,"axG",@progbits,_Z39paged_attention_ll4mi_QKV_mfma16_kernelIDF16_hLN4vllm18Fp8KVCacheDataTypeE1EDF16_Li32ELi64ELi256ELb1ELi16EL8MFMAType1EEvPKT_PKT0_S8_ifPKiSA_SA_iPKfiiiPfSD_PS3_PT2_iSC_SC_,comdat
	.protected	_Z39paged_attention_ll4mi_QKV_mfma16_kernelIDF16_hLN4vllm18Fp8KVCacheDataTypeE1EDF16_Li32ELi64ELi256ELb1ELi16EL8MFMAType1EEvPKT_PKT0_S8_ifPKiSA_SA_iPKfiiiPfSD_PS3_PT2_iSC_SC_ ; -- Begin function _Z39paged_attention_ll4mi_QKV_mfma16_kernelIDF16_hLN4vllm18Fp8KVCacheDataTypeE1EDF16_Li32ELi64ELi256ELb1ELi16EL8MFMAType1EEvPKT_PKT0_S8_ifPKiSA_SA_iPKfiiiPfSD_PS3_PT2_iSC_SC_
	.globl	_Z39paged_attention_ll4mi_QKV_mfma16_kernelIDF16_hLN4vllm18Fp8KVCacheDataTypeE1EDF16_Li32ELi64ELi256ELb1ELi16EL8MFMAType1EEvPKT_PKT0_S8_ifPKiSA_SA_iPKfiiiPfSD_PS3_PT2_iSC_SC_
	.p2align	8
	.type	_Z39paged_attention_ll4mi_QKV_mfma16_kernelIDF16_hLN4vllm18Fp8KVCacheDataTypeE1EDF16_Li32ELi64ELi256ELb1ELi16EL8MFMAType1EEvPKT_PKT0_S8_ifPKiSA_SA_iPKfiiiPfSD_PS3_PT2_iSC_SC_,@function
_Z39paged_attention_ll4mi_QKV_mfma16_kernelIDF16_hLN4vllm18Fp8KVCacheDataTypeE1EDF16_Li32ELi64ELi256ELb1ELi16EL8MFMAType1EEvPKT_PKT0_S8_ifPKiSA_SA_iPKfiiiPfSD_PS3_PT2_iSC_SC_: ; @_Z39paged_attention_ll4mi_QKV_mfma16_kernelIDF16_hLN4vllm18Fp8KVCacheDataTypeE1EDF16_Li32ELi64ELi256ELb1ELi16EL8MFMAType1EEvPKT_PKT0_S8_ifPKiSA_SA_iPKfiiiPfSD_PS3_PT2_iSC_SC_
; %bb.0:
	s_load_dwordx2 s[12:13], s[4:5], 0x30
	s_add_u32 flat_scratch_lo, s6, s11
	s_addc_u32 flat_scratch_hi, s7, 0
	s_add_u32 s0, s0, s11
	s_addc_u32 s1, s1, 0
	s_waitcnt lgkmcnt(0)
	s_cmp_lg_u64 s[12:13], 0
	s_cselect_b64 s[14:15], -1, 0
	s_mov_b32 s6, s9
	s_mov_b64 s[16:17], 0
	s_and_b64 vcc, exec, s[14:15]
	s_mov_b32 s32, 0
	s_cbranch_vccz .LBB441_11
; %bb.1:
	s_add_i32 s18, s8, 1
	s_mov_b32 s19, 0
	s_lshl_b64 s[20:21], s[18:19], 2
	s_add_u32 s20, s12, s20
	s_mov_b32 s9, s19
	s_addc_u32 s21, s13, s21
	s_lshl_b64 s[18:19], s[8:9], 2
	s_add_u32 s18, s12, s18
	s_addc_u32 s19, s13, s19
	s_load_dword s7, s[20:21], 0x0
	s_load_dword s11, s[18:19], 0x0
	s_waitcnt lgkmcnt(0)
	s_sub_i32 s7, s7, s11
	s_cmp_eq_u32 s7, 1
	s_cselect_b64 s[18:19], -1, 0
	s_andn2_b64 vcc, exec, s[16:17]
	s_cbranch_vccnz .LBB441_3
.LBB441_2:
	s_mov_b32 s9, 0
	s_mov_b64 s[18:19], -1
.LBB441_3:
	s_andn2_b64 vcc, exec, s[18:19]
	s_cbranch_vccnz .LBB441_10
; %bb.4:
	s_load_dwordx2 s[18:19], s[4:5], 0x28
	s_lshl_b64 s[16:17], s[8:9], 2
	s_waitcnt lgkmcnt(0)
	s_add_u32 s18, s18, s16
	s_addc_u32 s19, s19, s17
	s_load_dword s7, s[18:19], 0x0
	s_lshl_b32 s6, s6, 8
	s_waitcnt lgkmcnt(0)
	s_cmp_ge_i32 s6, s7
	s_cbranch_scc1 .LBB441_10
; %bb.5:
	s_andn2_b64 vcc, exec, s[14:15]
	s_cbranch_vccnz .LBB441_7
; %bb.6:
	s_add_u32 s6, s12, s16
	s_addc_u32 s7, s13, s17
	s_load_dword s8, s[6:7], 0x0
.LBB441_7:
	v_and_b32_e32 v1, 15, v0
	s_movk_i32 s6, 0x100
	v_cmp_gt_u32_e32 vcc, s6, v0
	v_cmp_gt_u32_e64 s[6:7], 8, v1
	s_and_b64 s[12:13], vcc, s[6:7]
	s_and_saveexec_b64 s[6:7], s[12:13]
	s_cbranch_execz .LBB441_9
; %bb.8:
	s_load_dword s9, s[4:5], 0x48
	s_load_dwordx2 s[12:13], s[4:5], 0x0
	v_lshrrev_b32_e32 v6, 4, v0
	v_lshlrev_b32_e32 v2, 6, v6
	v_lshl_or_b32 v2, s10, 10, v2
	s_waitcnt lgkmcnt(0)
	s_ashr_i32 s11, s9, 31
	s_mul_hi_u32 s15, s8, s9
	s_mul_i32 s14, s8, s9
	s_mul_i32 s8, s8, s11
	s_add_i32 s15, s15, s8
	s_lshl_b64 s[8:9], s[14:15], 1
	s_add_u32 s8, s12, s8
	v_ashrrev_i32_e32 v3, 31, v2
	s_addc_u32 s9, s13, s9
	v_lshlrev_b64 v[2:3], 1, v[2:3]
	v_mov_b32_e32 v4, s9
	v_add_co_u32_e32 v2, vcc, s8, v2
	v_addc_co_u32_e32 v3, vcc, v4, v3, vcc
	v_lshlrev_b32_e32 v4, 4, v1
	v_add_co_u32_e32 v2, vcc, v2, v4
	v_addc_co_u32_e32 v3, vcc, 0, v3, vcc
	global_load_dwordx4 v[2:5], v[2:3], off
	v_lshlrev_b32_e32 v0, 4, v0
	v_lshlrev_b32_e32 v1, 8, v1
	v_and_b32_e32 v0, 16, v0
	v_lshlrev_b32_e32 v6, 5, v6
	v_and_b32_e32 v1, 0xe00, v1
	v_or3_b32 v0, v1, v6, v0
	s_waitcnt vmcnt(0)
	ds_write_b128 v0, v[2:5]
.LBB441_9:
	s_or_b64 exec, exec, s[6:7]
	s_waitcnt lgkmcnt(0)
	s_add_u32 s8, s4, 0x90
	s_addc_u32 s9, s5, 0
	s_getpc_b64 s[4:5]
	s_add_u32 s4, s4, __PRETTY_FUNCTION__._Z39paged_attention_ll4mi_QKV_mfma16_kernelIDF16_hLN4vllm18Fp8KVCacheDataTypeE1EDF16_Li32ELi64ELi256ELb1ELi16EL8MFMAType1EEvPKT_PKT0_S8_ifPKiSA_SA_iPKfiiiPfSD_PS3_PT2_iSC_SC_@rel32@lo+4
	s_addc_u32 s5, s5, __PRETTY_FUNCTION__._Z39paged_attention_ll4mi_QKV_mfma16_kernelIDF16_hLN4vllm18Fp8KVCacheDataTypeE1EDF16_Li32ELi64ELi256ELb1ELi16EL8MFMAType1EEvPKT_PKT0_S8_ifPKiSA_SA_iPKfiiiPfSD_PS3_PT2_iSC_SC_@rel32@hi+12
	v_mov_b32_e32 v0, 0x288
	v_mov_b32_e32 v1, s4
	;; [unrolled: 1-line block ×3, first 2 shown]
	s_barrier
	s_getpc_b64 s[6:7]
	s_add_u32 s6, s6, __assert_fail@rel32@lo+4
	s_addc_u32 s7, s7, __assert_fail@rel32@hi+12
	s_swappc_b64 s[30:31], s[6:7]
	; divergent unreachable
.LBB441_10:
	s_endpgm
.LBB441_11:
	s_mov_b64 s[18:19], 0
	s_branch .LBB441_2
	.section	.rodata,"a",@progbits
	.p2align	6, 0x0
	.amdhsa_kernel _Z39paged_attention_ll4mi_QKV_mfma16_kernelIDF16_hLN4vllm18Fp8KVCacheDataTypeE1EDF16_Li32ELi64ELi256ELb1ELi16EL8MFMAType1EEvPKT_PKT0_S8_ifPKiSA_SA_iPKfiiiPfSD_PS3_PT2_iSC_SC_
		.amdhsa_group_segment_fixed_size 8192
		.amdhsa_private_segment_fixed_size 64
		.amdhsa_kernarg_size 400
		.amdhsa_user_sgpr_count 8
		.amdhsa_user_sgpr_private_segment_buffer 1
		.amdhsa_user_sgpr_dispatch_ptr 0
		.amdhsa_user_sgpr_queue_ptr 0
		.amdhsa_user_sgpr_kernarg_segment_ptr 1
		.amdhsa_user_sgpr_dispatch_id 0
		.amdhsa_user_sgpr_flat_scratch_init 1
		.amdhsa_user_sgpr_kernarg_preload_length 0
		.amdhsa_user_sgpr_kernarg_preload_offset 0
		.amdhsa_user_sgpr_private_segment_size 0
		.amdhsa_uses_dynamic_stack 0
		.amdhsa_system_sgpr_private_segment_wavefront_offset 1
		.amdhsa_system_sgpr_workgroup_id_x 1
		.amdhsa_system_sgpr_workgroup_id_y 1
		.amdhsa_system_sgpr_workgroup_id_z 1
		.amdhsa_system_sgpr_workgroup_info 0
		.amdhsa_system_vgpr_workitem_id 0
		.amdhsa_next_free_vgpr 45
		.amdhsa_next_free_sgpr 34
		.amdhsa_accum_offset 44
		.amdhsa_reserve_vcc 1
		.amdhsa_reserve_flat_scratch 1
		.amdhsa_float_round_mode_32 0
		.amdhsa_float_round_mode_16_64 0
		.amdhsa_float_denorm_mode_32 3
		.amdhsa_float_denorm_mode_16_64 3
		.amdhsa_dx10_clamp 1
		.amdhsa_ieee_mode 1
		.amdhsa_fp16_overflow 0
		.amdhsa_tg_split 0
		.amdhsa_exception_fp_ieee_invalid_op 0
		.amdhsa_exception_fp_denorm_src 0
		.amdhsa_exception_fp_ieee_div_zero 0
		.amdhsa_exception_fp_ieee_overflow 0
		.amdhsa_exception_fp_ieee_underflow 0
		.amdhsa_exception_fp_ieee_inexact 0
		.amdhsa_exception_int_div_zero 0
	.end_amdhsa_kernel
	.section	.text._Z39paged_attention_ll4mi_QKV_mfma16_kernelIDF16_hLN4vllm18Fp8KVCacheDataTypeE1EDF16_Li32ELi64ELi256ELb1ELi16EL8MFMAType1EEvPKT_PKT0_S8_ifPKiSA_SA_iPKfiiiPfSD_PS3_PT2_iSC_SC_,"axG",@progbits,_Z39paged_attention_ll4mi_QKV_mfma16_kernelIDF16_hLN4vllm18Fp8KVCacheDataTypeE1EDF16_Li32ELi64ELi256ELb1ELi16EL8MFMAType1EEvPKT_PKT0_S8_ifPKiSA_SA_iPKfiiiPfSD_PS3_PT2_iSC_SC_,comdat
.Lfunc_end441:
	.size	_Z39paged_attention_ll4mi_QKV_mfma16_kernelIDF16_hLN4vllm18Fp8KVCacheDataTypeE1EDF16_Li32ELi64ELi256ELb1ELi16EL8MFMAType1EEvPKT_PKT0_S8_ifPKiSA_SA_iPKfiiiPfSD_PS3_PT2_iSC_SC_, .Lfunc_end441-_Z39paged_attention_ll4mi_QKV_mfma16_kernelIDF16_hLN4vllm18Fp8KVCacheDataTypeE1EDF16_Li32ELi64ELi256ELb1ELi16EL8MFMAType1EEvPKT_PKT0_S8_ifPKiSA_SA_iPKfiiiPfSD_PS3_PT2_iSC_SC_
                                        ; -- End function
	.section	.AMDGPU.csdata,"",@progbits
; Kernel info:
; codeLenInByte = 504
; NumSgprs: 40
; NumVgprs: 42
; NumAgprs: 1
; TotalNumVgprs: 45
; ScratchSize: 64
; MemoryBound: 0
; FloatMode: 240
; IeeeMode: 1
; LDSByteSize: 8192 bytes/workgroup (compile time only)
; SGPRBlocks: 4
; VGPRBlocks: 5
; NumSGPRsForWavesPerEU: 40
; NumVGPRsForWavesPerEU: 45
; AccumOffset: 44
; Occupancy: 8
; WaveLimiterHint : 1
; COMPUTE_PGM_RSRC2:SCRATCH_EN: 1
; COMPUTE_PGM_RSRC2:USER_SGPR: 8
; COMPUTE_PGM_RSRC2:TRAP_HANDLER: 0
; COMPUTE_PGM_RSRC2:TGID_X_EN: 1
; COMPUTE_PGM_RSRC2:TGID_Y_EN: 1
; COMPUTE_PGM_RSRC2:TGID_Z_EN: 1
; COMPUTE_PGM_RSRC2:TIDIG_COMP_CNT: 0
; COMPUTE_PGM_RSRC3_GFX90A:ACCUM_OFFSET: 10
; COMPUTE_PGM_RSRC3_GFX90A:TG_SPLIT: 0
	.section	.text._Z39paged_attention_ll4mi_QKV_mfma16_kernelIDF16_hLN4vllm18Fp8KVCacheDataTypeE1EDF16_Li32ELi64ELi256ELb1ELi1EL8MFMAType1EEvPKT_PKT0_S8_ifPKiSA_SA_iPKfiiiPfSD_PS3_PT2_iSC_SC_,"axG",@progbits,_Z39paged_attention_ll4mi_QKV_mfma16_kernelIDF16_hLN4vllm18Fp8KVCacheDataTypeE1EDF16_Li32ELi64ELi256ELb1ELi1EL8MFMAType1EEvPKT_PKT0_S8_ifPKiSA_SA_iPKfiiiPfSD_PS3_PT2_iSC_SC_,comdat
	.protected	_Z39paged_attention_ll4mi_QKV_mfma16_kernelIDF16_hLN4vllm18Fp8KVCacheDataTypeE1EDF16_Li32ELi64ELi256ELb1ELi1EL8MFMAType1EEvPKT_PKT0_S8_ifPKiSA_SA_iPKfiiiPfSD_PS3_PT2_iSC_SC_ ; -- Begin function _Z39paged_attention_ll4mi_QKV_mfma16_kernelIDF16_hLN4vllm18Fp8KVCacheDataTypeE1EDF16_Li32ELi64ELi256ELb1ELi1EL8MFMAType1EEvPKT_PKT0_S8_ifPKiSA_SA_iPKfiiiPfSD_PS3_PT2_iSC_SC_
	.globl	_Z39paged_attention_ll4mi_QKV_mfma16_kernelIDF16_hLN4vllm18Fp8KVCacheDataTypeE1EDF16_Li32ELi64ELi256ELb1ELi1EL8MFMAType1EEvPKT_PKT0_S8_ifPKiSA_SA_iPKfiiiPfSD_PS3_PT2_iSC_SC_
	.p2align	8
	.type	_Z39paged_attention_ll4mi_QKV_mfma16_kernelIDF16_hLN4vllm18Fp8KVCacheDataTypeE1EDF16_Li32ELi64ELi256ELb1ELi1EL8MFMAType1EEvPKT_PKT0_S8_ifPKiSA_SA_iPKfiiiPfSD_PS3_PT2_iSC_SC_,@function
_Z39paged_attention_ll4mi_QKV_mfma16_kernelIDF16_hLN4vllm18Fp8KVCacheDataTypeE1EDF16_Li32ELi64ELi256ELb1ELi1EL8MFMAType1EEvPKT_PKT0_S8_ifPKiSA_SA_iPKfiiiPfSD_PS3_PT2_iSC_SC_: ; @_Z39paged_attention_ll4mi_QKV_mfma16_kernelIDF16_hLN4vllm18Fp8KVCacheDataTypeE1EDF16_Li32ELi64ELi256ELb1ELi1EL8MFMAType1EEvPKT_PKT0_S8_ifPKiSA_SA_iPKfiiiPfSD_PS3_PT2_iSC_SC_
; %bb.0:
	s_load_dwordx2 s[12:13], s[4:5], 0x30
	s_add_u32 flat_scratch_lo, s6, s11
	s_addc_u32 flat_scratch_hi, s7, 0
	s_add_u32 s0, s0, s11
	s_addc_u32 s1, s1, 0
	s_waitcnt lgkmcnt(0)
	s_cmp_lg_u64 s[12:13], 0
	s_cselect_b64 s[14:15], -1, 0
	s_mov_b32 s6, s9
	s_mov_b64 s[16:17], 0
	s_and_b64 vcc, exec, s[14:15]
	s_mov_b32 s32, 0
	s_cbranch_vccz .LBB442_11
; %bb.1:
	s_add_i32 s18, s8, 1
	s_mov_b32 s19, 0
	s_lshl_b64 s[20:21], s[18:19], 2
	s_add_u32 s20, s12, s20
	s_mov_b32 s9, s19
	s_addc_u32 s21, s13, s21
	s_lshl_b64 s[18:19], s[8:9], 2
	s_add_u32 s18, s12, s18
	s_addc_u32 s19, s13, s19
	s_load_dword s7, s[20:21], 0x0
	s_load_dword s11, s[18:19], 0x0
	s_waitcnt lgkmcnt(0)
	s_sub_i32 s7, s7, s11
	s_cmp_eq_u32 s7, 1
	s_cselect_b64 s[18:19], -1, 0
	s_andn2_b64 vcc, exec, s[16:17]
	s_cbranch_vccnz .LBB442_3
.LBB442_2:
	s_mov_b32 s9, 0
	s_mov_b64 s[18:19], -1
.LBB442_3:
	s_andn2_b64 vcc, exec, s[18:19]
	s_cbranch_vccnz .LBB442_10
; %bb.4:
	s_load_dwordx2 s[18:19], s[4:5], 0x28
	s_lshl_b64 s[16:17], s[8:9], 2
	s_waitcnt lgkmcnt(0)
	s_add_u32 s18, s18, s16
	s_addc_u32 s19, s19, s17
	s_load_dword s7, s[18:19], 0x0
	s_lshl_b32 s6, s6, 8
	s_waitcnt lgkmcnt(0)
	s_cmp_ge_i32 s6, s7
	s_cbranch_scc1 .LBB442_10
; %bb.5:
	s_andn2_b64 vcc, exec, s[14:15]
	s_cbranch_vccnz .LBB442_7
; %bb.6:
	s_add_u32 s6, s12, s16
	s_addc_u32 s7, s13, s17
	s_load_dword s8, s[6:7], 0x0
.LBB442_7:
	v_cmp_gt_u32_e32 vcc, 8, v0
	s_and_saveexec_b64 s[6:7], vcc
	s_cbranch_execz .LBB442_9
; %bb.8:
	s_load_dword s9, s[4:5], 0x48
	s_load_dwordx2 s[12:13], s[4:5], 0x0
	v_lshlrev_b32_e32 v1, 4, v0
	v_lshlrev_b32_e32 v0, 8, v0
	s_waitcnt lgkmcnt(0)
	s_ashr_i32 s11, s9, 31
	s_mul_hi_u32 s15, s8, s9
	s_mul_i32 s14, s8, s9
	s_mul_i32 s8, s8, s11
	s_add_i32 s15, s15, s8
	s_lshl_b64 s[8:9], s[14:15], 1
	s_add_u32 s11, s12, s8
	s_addc_u32 s12, s13, s9
	s_lshl_b32 s8, s10, 6
	s_ashr_i32 s9, s8, 31
	s_lshl_b64 s[8:9], s[8:9], 1
	s_add_u32 s8, s11, s8
	s_addc_u32 s9, s12, s9
	global_load_dwordx4 v[2:5], v1, s[8:9]
	v_and_b32_e32 v1, 16, v1
	s_mov_b32 s8, 0xfe00
	v_and_or_b32 v0, v0, s8, v1
	s_waitcnt vmcnt(0)
	ds_write_b128 v0, v[2:5]
.LBB442_9:
	s_or_b64 exec, exec, s[6:7]
	s_waitcnt lgkmcnt(0)
	s_add_u32 s8, s4, 0x90
	s_addc_u32 s9, s5, 0
	s_getpc_b64 s[4:5]
	s_add_u32 s4, s4, __PRETTY_FUNCTION__._Z39paged_attention_ll4mi_QKV_mfma16_kernelIDF16_hLN4vllm18Fp8KVCacheDataTypeE1EDF16_Li32ELi64ELi256ELb1ELi1EL8MFMAType1EEvPKT_PKT0_S8_ifPKiSA_SA_iPKfiiiPfSD_PS3_PT2_iSC_SC_@rel32@lo+4
	s_addc_u32 s5, s5, __PRETTY_FUNCTION__._Z39paged_attention_ll4mi_QKV_mfma16_kernelIDF16_hLN4vllm18Fp8KVCacheDataTypeE1EDF16_Li32ELi64ELi256ELb1ELi1EL8MFMAType1EEvPKT_PKT0_S8_ifPKiSA_SA_iPKfiiiPfSD_PS3_PT2_iSC_SC_@rel32@hi+12
	v_mov_b32_e32 v0, 0x288
	v_mov_b32_e32 v1, s4
	;; [unrolled: 1-line block ×3, first 2 shown]
	s_barrier
	s_getpc_b64 s[6:7]
	s_add_u32 s6, s6, __assert_fail@rel32@lo+4
	s_addc_u32 s7, s7, __assert_fail@rel32@hi+12
	s_swappc_b64 s[30:31], s[6:7]
	; divergent unreachable
.LBB442_10:
	s_endpgm
.LBB442_11:
	s_mov_b64 s[18:19], 0
	s_branch .LBB442_2
	.section	.rodata,"a",@progbits
	.p2align	6, 0x0
	.amdhsa_kernel _Z39paged_attention_ll4mi_QKV_mfma16_kernelIDF16_hLN4vllm18Fp8KVCacheDataTypeE1EDF16_Li32ELi64ELi256ELb1ELi1EL8MFMAType1EEvPKT_PKT0_S8_ifPKiSA_SA_iPKfiiiPfSD_PS3_PT2_iSC_SC_
		.amdhsa_group_segment_fixed_size 8192
		.amdhsa_private_segment_fixed_size 64
		.amdhsa_kernarg_size 400
		.amdhsa_user_sgpr_count 8
		.amdhsa_user_sgpr_private_segment_buffer 1
		.amdhsa_user_sgpr_dispatch_ptr 0
		.amdhsa_user_sgpr_queue_ptr 0
		.amdhsa_user_sgpr_kernarg_segment_ptr 1
		.amdhsa_user_sgpr_dispatch_id 0
		.amdhsa_user_sgpr_flat_scratch_init 1
		.amdhsa_user_sgpr_kernarg_preload_length 0
		.amdhsa_user_sgpr_kernarg_preload_offset 0
		.amdhsa_user_sgpr_private_segment_size 0
		.amdhsa_uses_dynamic_stack 0
		.amdhsa_system_sgpr_private_segment_wavefront_offset 1
		.amdhsa_system_sgpr_workgroup_id_x 1
		.amdhsa_system_sgpr_workgroup_id_y 1
		.amdhsa_system_sgpr_workgroup_id_z 1
		.amdhsa_system_sgpr_workgroup_info 0
		.amdhsa_system_vgpr_workitem_id 0
		.amdhsa_next_free_vgpr 45
		.amdhsa_next_free_sgpr 34
		.amdhsa_accum_offset 44
		.amdhsa_reserve_vcc 1
		.amdhsa_reserve_flat_scratch 1
		.amdhsa_float_round_mode_32 0
		.amdhsa_float_round_mode_16_64 0
		.amdhsa_float_denorm_mode_32 3
		.amdhsa_float_denorm_mode_16_64 3
		.amdhsa_dx10_clamp 1
		.amdhsa_ieee_mode 1
		.amdhsa_fp16_overflow 0
		.amdhsa_tg_split 0
		.amdhsa_exception_fp_ieee_invalid_op 0
		.amdhsa_exception_fp_denorm_src 0
		.amdhsa_exception_fp_ieee_div_zero 0
		.amdhsa_exception_fp_ieee_overflow 0
		.amdhsa_exception_fp_ieee_underflow 0
		.amdhsa_exception_fp_ieee_inexact 0
		.amdhsa_exception_int_div_zero 0
	.end_amdhsa_kernel
	.section	.text._Z39paged_attention_ll4mi_QKV_mfma16_kernelIDF16_hLN4vllm18Fp8KVCacheDataTypeE1EDF16_Li32ELi64ELi256ELb1ELi1EL8MFMAType1EEvPKT_PKT0_S8_ifPKiSA_SA_iPKfiiiPfSD_PS3_PT2_iSC_SC_,"axG",@progbits,_Z39paged_attention_ll4mi_QKV_mfma16_kernelIDF16_hLN4vllm18Fp8KVCacheDataTypeE1EDF16_Li32ELi64ELi256ELb1ELi1EL8MFMAType1EEvPKT_PKT0_S8_ifPKiSA_SA_iPKfiiiPfSD_PS3_PT2_iSC_SC_,comdat
.Lfunc_end442:
	.size	_Z39paged_attention_ll4mi_QKV_mfma16_kernelIDF16_hLN4vllm18Fp8KVCacheDataTypeE1EDF16_Li32ELi64ELi256ELb1ELi1EL8MFMAType1EEvPKT_PKT0_S8_ifPKiSA_SA_iPKfiiiPfSD_PS3_PT2_iSC_SC_, .Lfunc_end442-_Z39paged_attention_ll4mi_QKV_mfma16_kernelIDF16_hLN4vllm18Fp8KVCacheDataTypeE1EDF16_Li32ELi64ELi256ELb1ELi1EL8MFMAType1EEvPKT_PKT0_S8_ifPKiSA_SA_iPKfiiiPfSD_PS3_PT2_iSC_SC_
                                        ; -- End function
	.section	.AMDGPU.csdata,"",@progbits
; Kernel info:
; codeLenInByte = 448
; NumSgprs: 40
; NumVgprs: 42
; NumAgprs: 1
; TotalNumVgprs: 45
; ScratchSize: 64
; MemoryBound: 0
; FloatMode: 240
; IeeeMode: 1
; LDSByteSize: 8192 bytes/workgroup (compile time only)
; SGPRBlocks: 4
; VGPRBlocks: 5
; NumSGPRsForWavesPerEU: 40
; NumVGPRsForWavesPerEU: 45
; AccumOffset: 44
; Occupancy: 8
; WaveLimiterHint : 1
; COMPUTE_PGM_RSRC2:SCRATCH_EN: 1
; COMPUTE_PGM_RSRC2:USER_SGPR: 8
; COMPUTE_PGM_RSRC2:TRAP_HANDLER: 0
; COMPUTE_PGM_RSRC2:TGID_X_EN: 1
; COMPUTE_PGM_RSRC2:TGID_Y_EN: 1
; COMPUTE_PGM_RSRC2:TGID_Z_EN: 1
; COMPUTE_PGM_RSRC2:TIDIG_COMP_CNT: 0
; COMPUTE_PGM_RSRC3_GFX90A:ACCUM_OFFSET: 10
; COMPUTE_PGM_RSRC3_GFX90A:TG_SPLIT: 0
	.section	.text._Z39paged_attention_ll4mi_QKV_mfma16_kernelIDF16_hLN4vllm18Fp8KVCacheDataTypeE1EDF16_Li32ELi64ELi256ELb1ELi2EL8MFMAType1EEvPKT_PKT0_S8_ifPKiSA_SA_iPKfiiiPfSD_PS3_PT2_iSC_SC_,"axG",@progbits,_Z39paged_attention_ll4mi_QKV_mfma16_kernelIDF16_hLN4vllm18Fp8KVCacheDataTypeE1EDF16_Li32ELi64ELi256ELb1ELi2EL8MFMAType1EEvPKT_PKT0_S8_ifPKiSA_SA_iPKfiiiPfSD_PS3_PT2_iSC_SC_,comdat
	.protected	_Z39paged_attention_ll4mi_QKV_mfma16_kernelIDF16_hLN4vllm18Fp8KVCacheDataTypeE1EDF16_Li32ELi64ELi256ELb1ELi2EL8MFMAType1EEvPKT_PKT0_S8_ifPKiSA_SA_iPKfiiiPfSD_PS3_PT2_iSC_SC_ ; -- Begin function _Z39paged_attention_ll4mi_QKV_mfma16_kernelIDF16_hLN4vllm18Fp8KVCacheDataTypeE1EDF16_Li32ELi64ELi256ELb1ELi2EL8MFMAType1EEvPKT_PKT0_S8_ifPKiSA_SA_iPKfiiiPfSD_PS3_PT2_iSC_SC_
	.globl	_Z39paged_attention_ll4mi_QKV_mfma16_kernelIDF16_hLN4vllm18Fp8KVCacheDataTypeE1EDF16_Li32ELi64ELi256ELb1ELi2EL8MFMAType1EEvPKT_PKT0_S8_ifPKiSA_SA_iPKfiiiPfSD_PS3_PT2_iSC_SC_
	.p2align	8
	.type	_Z39paged_attention_ll4mi_QKV_mfma16_kernelIDF16_hLN4vllm18Fp8KVCacheDataTypeE1EDF16_Li32ELi64ELi256ELb1ELi2EL8MFMAType1EEvPKT_PKT0_S8_ifPKiSA_SA_iPKfiiiPfSD_PS3_PT2_iSC_SC_,@function
_Z39paged_attention_ll4mi_QKV_mfma16_kernelIDF16_hLN4vllm18Fp8KVCacheDataTypeE1EDF16_Li32ELi64ELi256ELb1ELi2EL8MFMAType1EEvPKT_PKT0_S8_ifPKiSA_SA_iPKfiiiPfSD_PS3_PT2_iSC_SC_: ; @_Z39paged_attention_ll4mi_QKV_mfma16_kernelIDF16_hLN4vllm18Fp8KVCacheDataTypeE1EDF16_Li32ELi64ELi256ELb1ELi2EL8MFMAType1EEvPKT_PKT0_S8_ifPKiSA_SA_iPKfiiiPfSD_PS3_PT2_iSC_SC_
; %bb.0:
	s_load_dwordx2 s[12:13], s[4:5], 0x30
	s_add_u32 flat_scratch_lo, s6, s11
	s_addc_u32 flat_scratch_hi, s7, 0
	s_add_u32 s0, s0, s11
	s_addc_u32 s1, s1, 0
	s_waitcnt lgkmcnt(0)
	s_cmp_lg_u64 s[12:13], 0
	s_cselect_b64 s[14:15], -1, 0
	s_mov_b32 s6, s9
	s_mov_b64 s[16:17], 0
	s_and_b64 vcc, exec, s[14:15]
	s_mov_b32 s32, 0
	s_cbranch_vccz .LBB443_11
; %bb.1:
	s_add_i32 s18, s8, 1
	s_mov_b32 s19, 0
	s_lshl_b64 s[20:21], s[18:19], 2
	s_add_u32 s20, s12, s20
	s_mov_b32 s9, s19
	s_addc_u32 s21, s13, s21
	s_lshl_b64 s[18:19], s[8:9], 2
	s_add_u32 s18, s12, s18
	s_addc_u32 s19, s13, s19
	s_load_dword s7, s[20:21], 0x0
	s_load_dword s11, s[18:19], 0x0
	s_waitcnt lgkmcnt(0)
	s_sub_i32 s7, s7, s11
	s_cmp_eq_u32 s7, 1
	s_cselect_b64 s[18:19], -1, 0
	s_andn2_b64 vcc, exec, s[16:17]
	s_cbranch_vccnz .LBB443_3
.LBB443_2:
	s_mov_b32 s9, 0
	s_mov_b64 s[18:19], -1
.LBB443_3:
	s_andn2_b64 vcc, exec, s[18:19]
	s_cbranch_vccnz .LBB443_10
; %bb.4:
	s_load_dwordx2 s[18:19], s[4:5], 0x28
	s_lshl_b64 s[16:17], s[8:9], 2
	s_waitcnt lgkmcnt(0)
	s_add_u32 s18, s18, s16
	s_addc_u32 s19, s19, s17
	s_load_dword s7, s[18:19], 0x0
	s_lshl_b32 s6, s6, 8
	s_waitcnt lgkmcnt(0)
	s_cmp_ge_i32 s6, s7
	s_cbranch_scc1 .LBB443_10
; %bb.5:
	s_andn2_b64 vcc, exec, s[14:15]
	s_cbranch_vccnz .LBB443_7
; %bb.6:
	s_add_u32 s6, s12, s16
	s_addc_u32 s7, s13, s17
	s_load_dword s8, s[6:7], 0x0
.LBB443_7:
	v_and_b32_e32 v1, 15, v0
	v_cmp_gt_u32_e32 vcc, 32, v0
	v_cmp_gt_u32_e64 s[6:7], 8, v1
	s_and_b64 s[12:13], s[6:7], vcc
	s_and_saveexec_b64 s[6:7], s[12:13]
	s_cbranch_execz .LBB443_9
; %bb.8:
	s_load_dword s9, s[4:5], 0x48
	s_load_dwordx2 s[12:13], s[4:5], 0x0
	v_lshrrev_b32_e32 v6, 4, v0
	v_lshlrev_b32_e32 v2, 6, v6
	v_lshl_or_b32 v2, s10, 7, v2
	s_waitcnt lgkmcnt(0)
	s_ashr_i32 s11, s9, 31
	s_mul_hi_u32 s15, s8, s9
	s_mul_i32 s14, s8, s9
	s_mul_i32 s8, s8, s11
	s_add_i32 s15, s15, s8
	s_lshl_b64 s[8:9], s[14:15], 1
	s_add_u32 s8, s12, s8
	v_ashrrev_i32_e32 v3, 31, v2
	s_addc_u32 s9, s13, s9
	v_lshlrev_b64 v[2:3], 1, v[2:3]
	v_mov_b32_e32 v4, s9
	v_add_co_u32_e32 v2, vcc, s8, v2
	v_addc_co_u32_e32 v3, vcc, v4, v3, vcc
	v_lshlrev_b32_e32 v4, 4, v1
	v_add_co_u32_e32 v2, vcc, v2, v4
	v_addc_co_u32_e32 v3, vcc, 0, v3, vcc
	global_load_dwordx4 v[2:5], v[2:3], off
	v_lshlrev_b32_e32 v0, 4, v0
	v_lshlrev_b32_e32 v1, 8, v1
	v_and_b32_e32 v0, 16, v0
	v_lshlrev_b32_e32 v6, 5, v6
	v_and_b32_e32 v1, 0xe00, v1
	v_or3_b32 v0, v1, v6, v0
	s_waitcnt vmcnt(0)
	ds_write_b128 v0, v[2:5]
.LBB443_9:
	s_or_b64 exec, exec, s[6:7]
	s_waitcnt lgkmcnt(0)
	s_add_u32 s8, s4, 0x90
	s_addc_u32 s9, s5, 0
	s_getpc_b64 s[4:5]
	s_add_u32 s4, s4, __PRETTY_FUNCTION__._Z39paged_attention_ll4mi_QKV_mfma16_kernelIDF16_hLN4vllm18Fp8KVCacheDataTypeE1EDF16_Li32ELi64ELi256ELb1ELi2EL8MFMAType1EEvPKT_PKT0_S8_ifPKiSA_SA_iPKfiiiPfSD_PS3_PT2_iSC_SC_@rel32@lo+4
	s_addc_u32 s5, s5, __PRETTY_FUNCTION__._Z39paged_attention_ll4mi_QKV_mfma16_kernelIDF16_hLN4vllm18Fp8KVCacheDataTypeE1EDF16_Li32ELi64ELi256ELb1ELi2EL8MFMAType1EEvPKT_PKT0_S8_ifPKiSA_SA_iPKfiiiPfSD_PS3_PT2_iSC_SC_@rel32@hi+12
	v_mov_b32_e32 v0, 0x288
	v_mov_b32_e32 v1, s4
	;; [unrolled: 1-line block ×3, first 2 shown]
	s_barrier
	s_getpc_b64 s[6:7]
	s_add_u32 s6, s6, __assert_fail@rel32@lo+4
	s_addc_u32 s7, s7, __assert_fail@rel32@hi+12
	s_swappc_b64 s[30:31], s[6:7]
	; divergent unreachable
.LBB443_10:
	s_endpgm
.LBB443_11:
	s_mov_b64 s[18:19], 0
	s_branch .LBB443_2
	.section	.rodata,"a",@progbits
	.p2align	6, 0x0
	.amdhsa_kernel _Z39paged_attention_ll4mi_QKV_mfma16_kernelIDF16_hLN4vllm18Fp8KVCacheDataTypeE1EDF16_Li32ELi64ELi256ELb1ELi2EL8MFMAType1EEvPKT_PKT0_S8_ifPKiSA_SA_iPKfiiiPfSD_PS3_PT2_iSC_SC_
		.amdhsa_group_segment_fixed_size 8192
		.amdhsa_private_segment_fixed_size 64
		.amdhsa_kernarg_size 400
		.amdhsa_user_sgpr_count 8
		.amdhsa_user_sgpr_private_segment_buffer 1
		.amdhsa_user_sgpr_dispatch_ptr 0
		.amdhsa_user_sgpr_queue_ptr 0
		.amdhsa_user_sgpr_kernarg_segment_ptr 1
		.amdhsa_user_sgpr_dispatch_id 0
		.amdhsa_user_sgpr_flat_scratch_init 1
		.amdhsa_user_sgpr_kernarg_preload_length 0
		.amdhsa_user_sgpr_kernarg_preload_offset 0
		.amdhsa_user_sgpr_private_segment_size 0
		.amdhsa_uses_dynamic_stack 0
		.amdhsa_system_sgpr_private_segment_wavefront_offset 1
		.amdhsa_system_sgpr_workgroup_id_x 1
		.amdhsa_system_sgpr_workgroup_id_y 1
		.amdhsa_system_sgpr_workgroup_id_z 1
		.amdhsa_system_sgpr_workgroup_info 0
		.amdhsa_system_vgpr_workitem_id 0
		.amdhsa_next_free_vgpr 45
		.amdhsa_next_free_sgpr 34
		.amdhsa_accum_offset 44
		.amdhsa_reserve_vcc 1
		.amdhsa_reserve_flat_scratch 1
		.amdhsa_float_round_mode_32 0
		.amdhsa_float_round_mode_16_64 0
		.amdhsa_float_denorm_mode_32 3
		.amdhsa_float_denorm_mode_16_64 3
		.amdhsa_dx10_clamp 1
		.amdhsa_ieee_mode 1
		.amdhsa_fp16_overflow 0
		.amdhsa_tg_split 0
		.amdhsa_exception_fp_ieee_invalid_op 0
		.amdhsa_exception_fp_denorm_src 0
		.amdhsa_exception_fp_ieee_div_zero 0
		.amdhsa_exception_fp_ieee_overflow 0
		.amdhsa_exception_fp_ieee_underflow 0
		.amdhsa_exception_fp_ieee_inexact 0
		.amdhsa_exception_int_div_zero 0
	.end_amdhsa_kernel
	.section	.text._Z39paged_attention_ll4mi_QKV_mfma16_kernelIDF16_hLN4vllm18Fp8KVCacheDataTypeE1EDF16_Li32ELi64ELi256ELb1ELi2EL8MFMAType1EEvPKT_PKT0_S8_ifPKiSA_SA_iPKfiiiPfSD_PS3_PT2_iSC_SC_,"axG",@progbits,_Z39paged_attention_ll4mi_QKV_mfma16_kernelIDF16_hLN4vllm18Fp8KVCacheDataTypeE1EDF16_Li32ELi64ELi256ELb1ELi2EL8MFMAType1EEvPKT_PKT0_S8_ifPKiSA_SA_iPKfiiiPfSD_PS3_PT2_iSC_SC_,comdat
.Lfunc_end443:
	.size	_Z39paged_attention_ll4mi_QKV_mfma16_kernelIDF16_hLN4vllm18Fp8KVCacheDataTypeE1EDF16_Li32ELi64ELi256ELb1ELi2EL8MFMAType1EEvPKT_PKT0_S8_ifPKiSA_SA_iPKfiiiPfSD_PS3_PT2_iSC_SC_, .Lfunc_end443-_Z39paged_attention_ll4mi_QKV_mfma16_kernelIDF16_hLN4vllm18Fp8KVCacheDataTypeE1EDF16_Li32ELi64ELi256ELb1ELi2EL8MFMAType1EEvPKT_PKT0_S8_ifPKiSA_SA_iPKfiiiPfSD_PS3_PT2_iSC_SC_
                                        ; -- End function
	.section	.AMDGPU.csdata,"",@progbits
; Kernel info:
; codeLenInByte = 500
; NumSgprs: 40
; NumVgprs: 42
; NumAgprs: 1
; TotalNumVgprs: 45
; ScratchSize: 64
; MemoryBound: 0
; FloatMode: 240
; IeeeMode: 1
; LDSByteSize: 8192 bytes/workgroup (compile time only)
; SGPRBlocks: 4
; VGPRBlocks: 5
; NumSGPRsForWavesPerEU: 40
; NumVGPRsForWavesPerEU: 45
; AccumOffset: 44
; Occupancy: 8
; WaveLimiterHint : 1
; COMPUTE_PGM_RSRC2:SCRATCH_EN: 1
; COMPUTE_PGM_RSRC2:USER_SGPR: 8
; COMPUTE_PGM_RSRC2:TRAP_HANDLER: 0
; COMPUTE_PGM_RSRC2:TGID_X_EN: 1
; COMPUTE_PGM_RSRC2:TGID_Y_EN: 1
; COMPUTE_PGM_RSRC2:TGID_Z_EN: 1
; COMPUTE_PGM_RSRC2:TIDIG_COMP_CNT: 0
; COMPUTE_PGM_RSRC3_GFX90A:ACCUM_OFFSET: 10
; COMPUTE_PGM_RSRC3_GFX90A:TG_SPLIT: 0
	.section	.text._Z39paged_attention_ll4mi_QKV_mfma16_kernelIDF16_hLN4vllm18Fp8KVCacheDataTypeE1EDF16_Li32ELi64ELi256ELb1ELi3EL8MFMAType1EEvPKT_PKT0_S8_ifPKiSA_SA_iPKfiiiPfSD_PS3_PT2_iSC_SC_,"axG",@progbits,_Z39paged_attention_ll4mi_QKV_mfma16_kernelIDF16_hLN4vllm18Fp8KVCacheDataTypeE1EDF16_Li32ELi64ELi256ELb1ELi3EL8MFMAType1EEvPKT_PKT0_S8_ifPKiSA_SA_iPKfiiiPfSD_PS3_PT2_iSC_SC_,comdat
	.protected	_Z39paged_attention_ll4mi_QKV_mfma16_kernelIDF16_hLN4vllm18Fp8KVCacheDataTypeE1EDF16_Li32ELi64ELi256ELb1ELi3EL8MFMAType1EEvPKT_PKT0_S8_ifPKiSA_SA_iPKfiiiPfSD_PS3_PT2_iSC_SC_ ; -- Begin function _Z39paged_attention_ll4mi_QKV_mfma16_kernelIDF16_hLN4vllm18Fp8KVCacheDataTypeE1EDF16_Li32ELi64ELi256ELb1ELi3EL8MFMAType1EEvPKT_PKT0_S8_ifPKiSA_SA_iPKfiiiPfSD_PS3_PT2_iSC_SC_
	.globl	_Z39paged_attention_ll4mi_QKV_mfma16_kernelIDF16_hLN4vllm18Fp8KVCacheDataTypeE1EDF16_Li32ELi64ELi256ELb1ELi3EL8MFMAType1EEvPKT_PKT0_S8_ifPKiSA_SA_iPKfiiiPfSD_PS3_PT2_iSC_SC_
	.p2align	8
	.type	_Z39paged_attention_ll4mi_QKV_mfma16_kernelIDF16_hLN4vllm18Fp8KVCacheDataTypeE1EDF16_Li32ELi64ELi256ELb1ELi3EL8MFMAType1EEvPKT_PKT0_S8_ifPKiSA_SA_iPKfiiiPfSD_PS3_PT2_iSC_SC_,@function
_Z39paged_attention_ll4mi_QKV_mfma16_kernelIDF16_hLN4vllm18Fp8KVCacheDataTypeE1EDF16_Li32ELi64ELi256ELb1ELi3EL8MFMAType1EEvPKT_PKT0_S8_ifPKiSA_SA_iPKfiiiPfSD_PS3_PT2_iSC_SC_: ; @_Z39paged_attention_ll4mi_QKV_mfma16_kernelIDF16_hLN4vllm18Fp8KVCacheDataTypeE1EDF16_Li32ELi64ELi256ELb1ELi3EL8MFMAType1EEvPKT_PKT0_S8_ifPKiSA_SA_iPKfiiiPfSD_PS3_PT2_iSC_SC_
; %bb.0:
	s_load_dwordx2 s[12:13], s[4:5], 0x30
	s_add_u32 flat_scratch_lo, s6, s11
	s_addc_u32 flat_scratch_hi, s7, 0
	s_add_u32 s0, s0, s11
	s_addc_u32 s1, s1, 0
	s_waitcnt lgkmcnt(0)
	s_cmp_lg_u64 s[12:13], 0
	s_cselect_b64 s[14:15], -1, 0
	s_mov_b32 s6, s9
	s_mov_b64 s[16:17], 0
	s_and_b64 vcc, exec, s[14:15]
	s_mov_b32 s32, 0
	s_cbranch_vccz .LBB444_11
; %bb.1:
	s_add_i32 s18, s8, 1
	s_mov_b32 s19, 0
	s_lshl_b64 s[20:21], s[18:19], 2
	s_add_u32 s20, s12, s20
	s_mov_b32 s9, s19
	s_addc_u32 s21, s13, s21
	s_lshl_b64 s[18:19], s[8:9], 2
	s_add_u32 s18, s12, s18
	s_addc_u32 s19, s13, s19
	s_load_dword s7, s[20:21], 0x0
	s_load_dword s11, s[18:19], 0x0
	s_waitcnt lgkmcnt(0)
	s_sub_i32 s7, s7, s11
	s_cmp_eq_u32 s7, 1
	s_cselect_b64 s[18:19], -1, 0
	s_andn2_b64 vcc, exec, s[16:17]
	s_cbranch_vccnz .LBB444_3
.LBB444_2:
	s_mov_b32 s9, 0
	s_mov_b64 s[18:19], -1
.LBB444_3:
	s_andn2_b64 vcc, exec, s[18:19]
	s_cbranch_vccnz .LBB444_10
; %bb.4:
	s_load_dwordx2 s[18:19], s[4:5], 0x28
	s_lshl_b64 s[16:17], s[8:9], 2
	s_waitcnt lgkmcnt(0)
	s_add_u32 s18, s18, s16
	s_addc_u32 s19, s19, s17
	s_load_dword s7, s[18:19], 0x0
	s_lshl_b32 s6, s6, 8
	s_waitcnt lgkmcnt(0)
	s_cmp_ge_i32 s6, s7
	s_cbranch_scc1 .LBB444_10
; %bb.5:
	s_andn2_b64 vcc, exec, s[14:15]
	s_cbranch_vccnz .LBB444_7
; %bb.6:
	s_add_u32 s6, s12, s16
	s_addc_u32 s7, s13, s17
	s_load_dword s8, s[6:7], 0x0
.LBB444_7:
	v_and_b32_e32 v1, 15, v0
	v_cmp_gt_u32_e32 vcc, 48, v0
	v_cmp_gt_u32_e64 s[6:7], 8, v1
	s_and_b64 s[12:13], s[6:7], vcc
	s_and_saveexec_b64 s[6:7], s[12:13]
	s_cbranch_execz .LBB444_9
; %bb.8:
	s_load_dword s11, s[4:5], 0x48
	s_load_dwordx2 s[12:13], s[4:5], 0x0
	v_lshrrev_b32_e32 v6, 4, v0
	s_mul_i32 s10, s10, 3
	v_add_lshl_u32 v2, v6, s10, 6
	s_waitcnt lgkmcnt(0)
	s_ashr_i32 s9, s11, 31
	s_mul_hi_u32 s14, s8, s11
	s_mul_i32 s9, s8, s9
	s_add_i32 s9, s14, s9
	s_mul_i32 s8, s8, s11
	s_lshl_b64 s[8:9], s[8:9], 1
	s_add_u32 s8, s12, s8
	v_ashrrev_i32_e32 v3, 31, v2
	s_addc_u32 s9, s13, s9
	v_lshlrev_b64 v[2:3], 1, v[2:3]
	v_mov_b32_e32 v4, s9
	v_add_co_u32_e32 v2, vcc, s8, v2
	v_addc_co_u32_e32 v3, vcc, v4, v3, vcc
	v_lshlrev_b32_e32 v4, 4, v1
	v_add_co_u32_e32 v2, vcc, v2, v4
	v_addc_co_u32_e32 v3, vcc, 0, v3, vcc
	global_load_dwordx4 v[2:5], v[2:3], off
	v_lshlrev_b32_e32 v0, 4, v0
	v_lshlrev_b32_e32 v1, 8, v1
	v_and_b32_e32 v0, 16, v0
	v_lshlrev_b32_e32 v6, 5, v6
	v_and_b32_e32 v1, 0xe00, v1
	v_or3_b32 v0, v1, v6, v0
	s_waitcnt vmcnt(0)
	ds_write_b128 v0, v[2:5]
.LBB444_9:
	s_or_b64 exec, exec, s[6:7]
	s_waitcnt lgkmcnt(0)
	s_add_u32 s8, s4, 0x90
	s_addc_u32 s9, s5, 0
	s_getpc_b64 s[4:5]
	s_add_u32 s4, s4, __PRETTY_FUNCTION__._Z39paged_attention_ll4mi_QKV_mfma16_kernelIDF16_hLN4vllm18Fp8KVCacheDataTypeE1EDF16_Li32ELi64ELi256ELb1ELi3EL8MFMAType1EEvPKT_PKT0_S8_ifPKiSA_SA_iPKfiiiPfSD_PS3_PT2_iSC_SC_@rel32@lo+4
	s_addc_u32 s5, s5, __PRETTY_FUNCTION__._Z39paged_attention_ll4mi_QKV_mfma16_kernelIDF16_hLN4vllm18Fp8KVCacheDataTypeE1EDF16_Li32ELi64ELi256ELb1ELi3EL8MFMAType1EEvPKT_PKT0_S8_ifPKiSA_SA_iPKfiiiPfSD_PS3_PT2_iSC_SC_@rel32@hi+12
	v_mov_b32_e32 v0, 0x288
	v_mov_b32_e32 v1, s4
	;; [unrolled: 1-line block ×3, first 2 shown]
	s_barrier
	s_getpc_b64 s[6:7]
	s_add_u32 s6, s6, __assert_fail@rel32@lo+4
	s_addc_u32 s7, s7, __assert_fail@rel32@hi+12
	s_swappc_b64 s[30:31], s[6:7]
	; divergent unreachable
.LBB444_10:
	s_endpgm
.LBB444_11:
	s_mov_b64 s[18:19], 0
	s_branch .LBB444_2
	.section	.rodata,"a",@progbits
	.p2align	6, 0x0
	.amdhsa_kernel _Z39paged_attention_ll4mi_QKV_mfma16_kernelIDF16_hLN4vllm18Fp8KVCacheDataTypeE1EDF16_Li32ELi64ELi256ELb1ELi3EL8MFMAType1EEvPKT_PKT0_S8_ifPKiSA_SA_iPKfiiiPfSD_PS3_PT2_iSC_SC_
		.amdhsa_group_segment_fixed_size 8192
		.amdhsa_private_segment_fixed_size 64
		.amdhsa_kernarg_size 400
		.amdhsa_user_sgpr_count 8
		.amdhsa_user_sgpr_private_segment_buffer 1
		.amdhsa_user_sgpr_dispatch_ptr 0
		.amdhsa_user_sgpr_queue_ptr 0
		.amdhsa_user_sgpr_kernarg_segment_ptr 1
		.amdhsa_user_sgpr_dispatch_id 0
		.amdhsa_user_sgpr_flat_scratch_init 1
		.amdhsa_user_sgpr_kernarg_preload_length 0
		.amdhsa_user_sgpr_kernarg_preload_offset 0
		.amdhsa_user_sgpr_private_segment_size 0
		.amdhsa_uses_dynamic_stack 0
		.amdhsa_system_sgpr_private_segment_wavefront_offset 1
		.amdhsa_system_sgpr_workgroup_id_x 1
		.amdhsa_system_sgpr_workgroup_id_y 1
		.amdhsa_system_sgpr_workgroup_id_z 1
		.amdhsa_system_sgpr_workgroup_info 0
		.amdhsa_system_vgpr_workitem_id 0
		.amdhsa_next_free_vgpr 45
		.amdhsa_next_free_sgpr 34
		.amdhsa_accum_offset 44
		.amdhsa_reserve_vcc 1
		.amdhsa_reserve_flat_scratch 1
		.amdhsa_float_round_mode_32 0
		.amdhsa_float_round_mode_16_64 0
		.amdhsa_float_denorm_mode_32 3
		.amdhsa_float_denorm_mode_16_64 3
		.amdhsa_dx10_clamp 1
		.amdhsa_ieee_mode 1
		.amdhsa_fp16_overflow 0
		.amdhsa_tg_split 0
		.amdhsa_exception_fp_ieee_invalid_op 0
		.amdhsa_exception_fp_denorm_src 0
		.amdhsa_exception_fp_ieee_div_zero 0
		.amdhsa_exception_fp_ieee_overflow 0
		.amdhsa_exception_fp_ieee_underflow 0
		.amdhsa_exception_fp_ieee_inexact 0
		.amdhsa_exception_int_div_zero 0
	.end_amdhsa_kernel
	.section	.text._Z39paged_attention_ll4mi_QKV_mfma16_kernelIDF16_hLN4vllm18Fp8KVCacheDataTypeE1EDF16_Li32ELi64ELi256ELb1ELi3EL8MFMAType1EEvPKT_PKT0_S8_ifPKiSA_SA_iPKfiiiPfSD_PS3_PT2_iSC_SC_,"axG",@progbits,_Z39paged_attention_ll4mi_QKV_mfma16_kernelIDF16_hLN4vllm18Fp8KVCacheDataTypeE1EDF16_Li32ELi64ELi256ELb1ELi3EL8MFMAType1EEvPKT_PKT0_S8_ifPKiSA_SA_iPKfiiiPfSD_PS3_PT2_iSC_SC_,comdat
.Lfunc_end444:
	.size	_Z39paged_attention_ll4mi_QKV_mfma16_kernelIDF16_hLN4vllm18Fp8KVCacheDataTypeE1EDF16_Li32ELi64ELi256ELb1ELi3EL8MFMAType1EEvPKT_PKT0_S8_ifPKiSA_SA_iPKfiiiPfSD_PS3_PT2_iSC_SC_, .Lfunc_end444-_Z39paged_attention_ll4mi_QKV_mfma16_kernelIDF16_hLN4vllm18Fp8KVCacheDataTypeE1EDF16_Li32ELi64ELi256ELb1ELi3EL8MFMAType1EEvPKT_PKT0_S8_ifPKiSA_SA_iPKfiiiPfSD_PS3_PT2_iSC_SC_
                                        ; -- End function
	.section	.AMDGPU.csdata,"",@progbits
; Kernel info:
; codeLenInByte = 500
; NumSgprs: 40
; NumVgprs: 42
; NumAgprs: 1
; TotalNumVgprs: 45
; ScratchSize: 64
; MemoryBound: 0
; FloatMode: 240
; IeeeMode: 1
; LDSByteSize: 8192 bytes/workgroup (compile time only)
; SGPRBlocks: 4
; VGPRBlocks: 5
; NumSGPRsForWavesPerEU: 40
; NumVGPRsForWavesPerEU: 45
; AccumOffset: 44
; Occupancy: 8
; WaveLimiterHint : 1
; COMPUTE_PGM_RSRC2:SCRATCH_EN: 1
; COMPUTE_PGM_RSRC2:USER_SGPR: 8
; COMPUTE_PGM_RSRC2:TRAP_HANDLER: 0
; COMPUTE_PGM_RSRC2:TGID_X_EN: 1
; COMPUTE_PGM_RSRC2:TGID_Y_EN: 1
; COMPUTE_PGM_RSRC2:TGID_Z_EN: 1
; COMPUTE_PGM_RSRC2:TIDIG_COMP_CNT: 0
; COMPUTE_PGM_RSRC3_GFX90A:ACCUM_OFFSET: 10
; COMPUTE_PGM_RSRC3_GFX90A:TG_SPLIT: 0
	.section	.text._Z39paged_attention_ll4mi_QKV_mfma16_kernelIDF16_hLN4vllm18Fp8KVCacheDataTypeE1EDF16_Li32ELi64ELi256ELb1ELi4EL8MFMAType1EEvPKT_PKT0_S8_ifPKiSA_SA_iPKfiiiPfSD_PS3_PT2_iSC_SC_,"axG",@progbits,_Z39paged_attention_ll4mi_QKV_mfma16_kernelIDF16_hLN4vllm18Fp8KVCacheDataTypeE1EDF16_Li32ELi64ELi256ELb1ELi4EL8MFMAType1EEvPKT_PKT0_S8_ifPKiSA_SA_iPKfiiiPfSD_PS3_PT2_iSC_SC_,comdat
	.protected	_Z39paged_attention_ll4mi_QKV_mfma16_kernelIDF16_hLN4vllm18Fp8KVCacheDataTypeE1EDF16_Li32ELi64ELi256ELb1ELi4EL8MFMAType1EEvPKT_PKT0_S8_ifPKiSA_SA_iPKfiiiPfSD_PS3_PT2_iSC_SC_ ; -- Begin function _Z39paged_attention_ll4mi_QKV_mfma16_kernelIDF16_hLN4vllm18Fp8KVCacheDataTypeE1EDF16_Li32ELi64ELi256ELb1ELi4EL8MFMAType1EEvPKT_PKT0_S8_ifPKiSA_SA_iPKfiiiPfSD_PS3_PT2_iSC_SC_
	.globl	_Z39paged_attention_ll4mi_QKV_mfma16_kernelIDF16_hLN4vllm18Fp8KVCacheDataTypeE1EDF16_Li32ELi64ELi256ELb1ELi4EL8MFMAType1EEvPKT_PKT0_S8_ifPKiSA_SA_iPKfiiiPfSD_PS3_PT2_iSC_SC_
	.p2align	8
	.type	_Z39paged_attention_ll4mi_QKV_mfma16_kernelIDF16_hLN4vllm18Fp8KVCacheDataTypeE1EDF16_Li32ELi64ELi256ELb1ELi4EL8MFMAType1EEvPKT_PKT0_S8_ifPKiSA_SA_iPKfiiiPfSD_PS3_PT2_iSC_SC_,@function
_Z39paged_attention_ll4mi_QKV_mfma16_kernelIDF16_hLN4vllm18Fp8KVCacheDataTypeE1EDF16_Li32ELi64ELi256ELb1ELi4EL8MFMAType1EEvPKT_PKT0_S8_ifPKiSA_SA_iPKfiiiPfSD_PS3_PT2_iSC_SC_: ; @_Z39paged_attention_ll4mi_QKV_mfma16_kernelIDF16_hLN4vllm18Fp8KVCacheDataTypeE1EDF16_Li32ELi64ELi256ELb1ELi4EL8MFMAType1EEvPKT_PKT0_S8_ifPKiSA_SA_iPKfiiiPfSD_PS3_PT2_iSC_SC_
; %bb.0:
	s_load_dwordx2 s[12:13], s[4:5], 0x30
	s_add_u32 flat_scratch_lo, s6, s11
	s_addc_u32 flat_scratch_hi, s7, 0
	s_add_u32 s0, s0, s11
	s_addc_u32 s1, s1, 0
	s_waitcnt lgkmcnt(0)
	s_cmp_lg_u64 s[12:13], 0
	s_cselect_b64 s[14:15], -1, 0
	s_mov_b32 s6, s9
	s_mov_b64 s[16:17], 0
	s_and_b64 vcc, exec, s[14:15]
	s_mov_b32 s32, 0
	s_cbranch_vccz .LBB445_11
; %bb.1:
	s_add_i32 s18, s8, 1
	s_mov_b32 s19, 0
	s_lshl_b64 s[20:21], s[18:19], 2
	s_add_u32 s20, s12, s20
	s_mov_b32 s9, s19
	s_addc_u32 s21, s13, s21
	s_lshl_b64 s[18:19], s[8:9], 2
	s_add_u32 s18, s12, s18
	s_addc_u32 s19, s13, s19
	s_load_dword s7, s[20:21], 0x0
	s_load_dword s11, s[18:19], 0x0
	s_waitcnt lgkmcnt(0)
	s_sub_i32 s7, s7, s11
	s_cmp_eq_u32 s7, 1
	s_cselect_b64 s[18:19], -1, 0
	s_andn2_b64 vcc, exec, s[16:17]
	s_cbranch_vccnz .LBB445_3
.LBB445_2:
	s_mov_b32 s9, 0
	s_mov_b64 s[18:19], -1
.LBB445_3:
	s_andn2_b64 vcc, exec, s[18:19]
	s_cbranch_vccnz .LBB445_10
; %bb.4:
	s_load_dwordx2 s[18:19], s[4:5], 0x28
	s_lshl_b64 s[16:17], s[8:9], 2
	s_waitcnt lgkmcnt(0)
	s_add_u32 s18, s18, s16
	s_addc_u32 s19, s19, s17
	s_load_dword s7, s[18:19], 0x0
	s_lshl_b32 s6, s6, 8
	s_waitcnt lgkmcnt(0)
	s_cmp_ge_i32 s6, s7
	s_cbranch_scc1 .LBB445_10
; %bb.5:
	s_andn2_b64 vcc, exec, s[14:15]
	s_cbranch_vccnz .LBB445_7
; %bb.6:
	s_add_u32 s6, s12, s16
	s_addc_u32 s7, s13, s17
	s_load_dword s8, s[6:7], 0x0
.LBB445_7:
	v_and_b32_e32 v1, 15, v0
	v_cmp_gt_u32_e32 vcc, 64, v0
	v_cmp_gt_u32_e64 s[6:7], 8, v1
	s_and_b64 s[12:13], vcc, s[6:7]
	s_and_saveexec_b64 s[6:7], s[12:13]
	s_cbranch_execz .LBB445_9
; %bb.8:
	s_load_dword s9, s[4:5], 0x48
	s_load_dwordx2 s[12:13], s[4:5], 0x0
	v_lshrrev_b32_e32 v6, 4, v0
	v_lshlrev_b32_e32 v2, 6, v6
	v_lshl_or_b32 v2, s10, 8, v2
	s_waitcnt lgkmcnt(0)
	s_ashr_i32 s11, s9, 31
	s_mul_hi_u32 s15, s8, s9
	s_mul_i32 s14, s8, s9
	s_mul_i32 s8, s8, s11
	s_add_i32 s15, s15, s8
	s_lshl_b64 s[8:9], s[14:15], 1
	s_add_u32 s8, s12, s8
	v_ashrrev_i32_e32 v3, 31, v2
	s_addc_u32 s9, s13, s9
	v_lshlrev_b64 v[2:3], 1, v[2:3]
	v_mov_b32_e32 v4, s9
	v_add_co_u32_e32 v2, vcc, s8, v2
	v_addc_co_u32_e32 v3, vcc, v4, v3, vcc
	v_lshlrev_b32_e32 v4, 4, v1
	v_add_co_u32_e32 v2, vcc, v2, v4
	v_addc_co_u32_e32 v3, vcc, 0, v3, vcc
	global_load_dwordx4 v[2:5], v[2:3], off
	v_lshlrev_b32_e32 v0, 4, v0
	v_lshlrev_b32_e32 v1, 8, v1
	v_and_b32_e32 v0, 16, v0
	v_lshlrev_b32_e32 v6, 5, v6
	v_and_b32_e32 v1, 0xe00, v1
	v_or3_b32 v0, v1, v6, v0
	s_waitcnt vmcnt(0)
	ds_write_b128 v0, v[2:5]
.LBB445_9:
	s_or_b64 exec, exec, s[6:7]
	s_waitcnt lgkmcnt(0)
	s_add_u32 s8, s4, 0x90
	s_addc_u32 s9, s5, 0
	s_getpc_b64 s[4:5]
	s_add_u32 s4, s4, __PRETTY_FUNCTION__._Z39paged_attention_ll4mi_QKV_mfma16_kernelIDF16_hLN4vllm18Fp8KVCacheDataTypeE1EDF16_Li32ELi64ELi256ELb1ELi4EL8MFMAType1EEvPKT_PKT0_S8_ifPKiSA_SA_iPKfiiiPfSD_PS3_PT2_iSC_SC_@rel32@lo+4
	s_addc_u32 s5, s5, __PRETTY_FUNCTION__._Z39paged_attention_ll4mi_QKV_mfma16_kernelIDF16_hLN4vllm18Fp8KVCacheDataTypeE1EDF16_Li32ELi64ELi256ELb1ELi4EL8MFMAType1EEvPKT_PKT0_S8_ifPKiSA_SA_iPKfiiiPfSD_PS3_PT2_iSC_SC_@rel32@hi+12
	v_mov_b32_e32 v0, 0x288
	v_mov_b32_e32 v1, s4
	v_mov_b32_e32 v2, s5
	s_barrier
	s_getpc_b64 s[6:7]
	s_add_u32 s6, s6, __assert_fail@rel32@lo+4
	s_addc_u32 s7, s7, __assert_fail@rel32@hi+12
	s_swappc_b64 s[30:31], s[6:7]
	; divergent unreachable
.LBB445_10:
	s_endpgm
.LBB445_11:
	s_mov_b64 s[18:19], 0
	s_branch .LBB445_2
	.section	.rodata,"a",@progbits
	.p2align	6, 0x0
	.amdhsa_kernel _Z39paged_attention_ll4mi_QKV_mfma16_kernelIDF16_hLN4vllm18Fp8KVCacheDataTypeE1EDF16_Li32ELi64ELi256ELb1ELi4EL8MFMAType1EEvPKT_PKT0_S8_ifPKiSA_SA_iPKfiiiPfSD_PS3_PT2_iSC_SC_
		.amdhsa_group_segment_fixed_size 8192
		.amdhsa_private_segment_fixed_size 64
		.amdhsa_kernarg_size 400
		.amdhsa_user_sgpr_count 8
		.amdhsa_user_sgpr_private_segment_buffer 1
		.amdhsa_user_sgpr_dispatch_ptr 0
		.amdhsa_user_sgpr_queue_ptr 0
		.amdhsa_user_sgpr_kernarg_segment_ptr 1
		.amdhsa_user_sgpr_dispatch_id 0
		.amdhsa_user_sgpr_flat_scratch_init 1
		.amdhsa_user_sgpr_kernarg_preload_length 0
		.amdhsa_user_sgpr_kernarg_preload_offset 0
		.amdhsa_user_sgpr_private_segment_size 0
		.amdhsa_uses_dynamic_stack 0
		.amdhsa_system_sgpr_private_segment_wavefront_offset 1
		.amdhsa_system_sgpr_workgroup_id_x 1
		.amdhsa_system_sgpr_workgroup_id_y 1
		.amdhsa_system_sgpr_workgroup_id_z 1
		.amdhsa_system_sgpr_workgroup_info 0
		.amdhsa_system_vgpr_workitem_id 0
		.amdhsa_next_free_vgpr 45
		.amdhsa_next_free_sgpr 34
		.amdhsa_accum_offset 44
		.amdhsa_reserve_vcc 1
		.amdhsa_reserve_flat_scratch 1
		.amdhsa_float_round_mode_32 0
		.amdhsa_float_round_mode_16_64 0
		.amdhsa_float_denorm_mode_32 3
		.amdhsa_float_denorm_mode_16_64 3
		.amdhsa_dx10_clamp 1
		.amdhsa_ieee_mode 1
		.amdhsa_fp16_overflow 0
		.amdhsa_tg_split 0
		.amdhsa_exception_fp_ieee_invalid_op 0
		.amdhsa_exception_fp_denorm_src 0
		.amdhsa_exception_fp_ieee_div_zero 0
		.amdhsa_exception_fp_ieee_overflow 0
		.amdhsa_exception_fp_ieee_underflow 0
		.amdhsa_exception_fp_ieee_inexact 0
		.amdhsa_exception_int_div_zero 0
	.end_amdhsa_kernel
	.section	.text._Z39paged_attention_ll4mi_QKV_mfma16_kernelIDF16_hLN4vllm18Fp8KVCacheDataTypeE1EDF16_Li32ELi64ELi256ELb1ELi4EL8MFMAType1EEvPKT_PKT0_S8_ifPKiSA_SA_iPKfiiiPfSD_PS3_PT2_iSC_SC_,"axG",@progbits,_Z39paged_attention_ll4mi_QKV_mfma16_kernelIDF16_hLN4vllm18Fp8KVCacheDataTypeE1EDF16_Li32ELi64ELi256ELb1ELi4EL8MFMAType1EEvPKT_PKT0_S8_ifPKiSA_SA_iPKfiiiPfSD_PS3_PT2_iSC_SC_,comdat
.Lfunc_end445:
	.size	_Z39paged_attention_ll4mi_QKV_mfma16_kernelIDF16_hLN4vllm18Fp8KVCacheDataTypeE1EDF16_Li32ELi64ELi256ELb1ELi4EL8MFMAType1EEvPKT_PKT0_S8_ifPKiSA_SA_iPKfiiiPfSD_PS3_PT2_iSC_SC_, .Lfunc_end445-_Z39paged_attention_ll4mi_QKV_mfma16_kernelIDF16_hLN4vllm18Fp8KVCacheDataTypeE1EDF16_Li32ELi64ELi256ELb1ELi4EL8MFMAType1EEvPKT_PKT0_S8_ifPKiSA_SA_iPKfiiiPfSD_PS3_PT2_iSC_SC_
                                        ; -- End function
	.section	.AMDGPU.csdata,"",@progbits
; Kernel info:
; codeLenInByte = 500
; NumSgprs: 40
; NumVgprs: 42
; NumAgprs: 1
; TotalNumVgprs: 45
; ScratchSize: 64
; MemoryBound: 0
; FloatMode: 240
; IeeeMode: 1
; LDSByteSize: 8192 bytes/workgroup (compile time only)
; SGPRBlocks: 4
; VGPRBlocks: 5
; NumSGPRsForWavesPerEU: 40
; NumVGPRsForWavesPerEU: 45
; AccumOffset: 44
; Occupancy: 8
; WaveLimiterHint : 1
; COMPUTE_PGM_RSRC2:SCRATCH_EN: 1
; COMPUTE_PGM_RSRC2:USER_SGPR: 8
; COMPUTE_PGM_RSRC2:TRAP_HANDLER: 0
; COMPUTE_PGM_RSRC2:TGID_X_EN: 1
; COMPUTE_PGM_RSRC2:TGID_Y_EN: 1
; COMPUTE_PGM_RSRC2:TGID_Z_EN: 1
; COMPUTE_PGM_RSRC2:TIDIG_COMP_CNT: 0
; COMPUTE_PGM_RSRC3_GFX90A:ACCUM_OFFSET: 10
; COMPUTE_PGM_RSRC3_GFX90A:TG_SPLIT: 0
	.section	.text._Z38paged_attention_ll4mi_QKV_mfma4_kernelIDF16_hLN4vllm18Fp8KVCacheDataTypeE1EDF16_Li32ELi64ELi256ELb0ELi1EEvPKT_PKT0_S7_ifPKiS9_S9_iPKfiiiPfSC_PS2_PT2_iSB_SB_,"axG",@progbits,_Z38paged_attention_ll4mi_QKV_mfma4_kernelIDF16_hLN4vllm18Fp8KVCacheDataTypeE1EDF16_Li32ELi64ELi256ELb0ELi1EEvPKT_PKT0_S7_ifPKiS9_S9_iPKfiiiPfSC_PS2_PT2_iSB_SB_,comdat
	.protected	_Z38paged_attention_ll4mi_QKV_mfma4_kernelIDF16_hLN4vllm18Fp8KVCacheDataTypeE1EDF16_Li32ELi64ELi256ELb0ELi1EEvPKT_PKT0_S7_ifPKiS9_S9_iPKfiiiPfSC_PS2_PT2_iSB_SB_ ; -- Begin function _Z38paged_attention_ll4mi_QKV_mfma4_kernelIDF16_hLN4vllm18Fp8KVCacheDataTypeE1EDF16_Li32ELi64ELi256ELb0ELi1EEvPKT_PKT0_S7_ifPKiS9_S9_iPKfiiiPfSC_PS2_PT2_iSB_SB_
	.globl	_Z38paged_attention_ll4mi_QKV_mfma4_kernelIDF16_hLN4vllm18Fp8KVCacheDataTypeE1EDF16_Li32ELi64ELi256ELb0ELi1EEvPKT_PKT0_S7_ifPKiS9_S9_iPKfiiiPfSC_PS2_PT2_iSB_SB_
	.p2align	8
	.type	_Z38paged_attention_ll4mi_QKV_mfma4_kernelIDF16_hLN4vllm18Fp8KVCacheDataTypeE1EDF16_Li32ELi64ELi256ELb0ELi1EEvPKT_PKT0_S7_ifPKiS9_S9_iPKfiiiPfSC_PS2_PT2_iSB_SB_,@function
_Z38paged_attention_ll4mi_QKV_mfma4_kernelIDF16_hLN4vllm18Fp8KVCacheDataTypeE1EDF16_Li32ELi64ELi256ELb0ELi1EEvPKT_PKT0_S7_ifPKiS9_S9_iPKfiiiPfSC_PS2_PT2_iSB_SB_: ; @_Z38paged_attention_ll4mi_QKV_mfma4_kernelIDF16_hLN4vllm18Fp8KVCacheDataTypeE1EDF16_Li32ELi64ELi256ELb0ELi1EEvPKT_PKT0_S7_ifPKiS9_S9_iPKfiiiPfSC_PS2_PT2_iSB_SB_
; %bb.0:
	s_load_dwordx2 s[2:3], s[4:5], 0x30
	s_mov_b32 s28, s7
	s_mov_b64 s[0:1], 0
	s_waitcnt lgkmcnt(0)
	s_cmp_lg_u64 s[2:3], 0
	s_cselect_b64 s[10:11], -1, 0
	s_and_b64 vcc, exec, s[10:11]
	s_cbranch_vccz .LBB446_10
; %bb.1:
	s_add_i32 s12, s6, 1
	s_mov_b32 s13, 0
	s_lshl_b64 s[14:15], s[12:13], 2
	s_add_u32 s14, s2, s14
	s_mov_b32 s7, s13
	s_addc_u32 s15, s3, s15
	s_lshl_b64 s[12:13], s[6:7], 2
	s_add_u32 s12, s2, s12
	s_addc_u32 s13, s3, s13
	s_load_dword s9, s[14:15], 0x0
	s_load_dword s16, s[12:13], 0x0
	s_waitcnt lgkmcnt(0)
	s_sub_i32 s9, s9, s16
	s_cmp_eq_u32 s9, 1
	s_cselect_b64 s[12:13], -1, 0
	s_andn2_b64 vcc, exec, s[0:1]
	s_cbranch_vccnz .LBB446_3
.LBB446_2:
	s_mov_b32 s7, 0
	s_mov_b64 s[12:13], -1
.LBB446_3:
	s_andn2_b64 vcc, exec, s[12:13]
	s_cbranch_vccnz .LBB446_793
; %bb.4:
	s_load_dword s9, s[4:5], 0x9c
	s_load_dwordx2 s[0:1], s[4:5], 0x28
	s_add_u32 s34, s4, 0x90
	s_addc_u32 s35, s5, 0
	s_lshl_b64 s[20:21], s[6:7], 2
	s_waitcnt lgkmcnt(0)
	s_and_b32 s9, s9, 0xffff
	s_add_u32 s0, s0, s20
	s_addc_u32 s1, s1, s21
	s_load_dword s7, s[0:1], 0x0
	s_mul_i32 s22, s28, s9
	s_waitcnt lgkmcnt(0)
	s_cmp_ge_i32 s22, s7
	s_cbranch_scc1 .LBB446_793
; %bb.5:
	v_and_b32_e32 v1, 0xc0, v0
	v_add_u32_e32 v4, s22, v1
	v_lshrrev_b32_e32 v42, 6, v0
	v_cmp_le_i32_e64 s[0:1], s7, v4
                                        ; implicit-def: $sgpr24
                                        ; implicit-def: $sgpr23
	s_and_saveexec_b64 s[12:13], s[0:1]
	s_xor_b64 s[12:13], exec, s[12:13]
	s_cbranch_execz .LBB446_7
; %bb.6:
	v_mul_u32_u24_e32 v1, 20, v42
	v_or_b32_e32 v1, 0xa00, v1
	v_mov_b32_e32 v2, 0xa50
	v_mov_b32_e32 v3, 0xff7fffff
	v_mad_u32_u24 v2, v42, 20, v2
	ds_write2_b32 v1, v3, v3 offset1:1
	v_mov_b32_e32 v1, 0
	ds_write2_b32 v2, v1, v1 offset1:1
	v_mov_b32_e32 v2, 0xa08
	v_mov_b32_e32 v4, 0xa58
	s_mov_b32 s23, 0xff7fffff
	s_mov_b32 s24, 0
	v_mad_u32_u24 v2, v42, 20, v2
	v_mad_u32_u24 v4, v42, 20, v4
	ds_write2_b32 v2, v3, v3 offset1:1
	ds_write2_b32 v4, v1, v1 offset1:1
                                        ; implicit-def: $vgpr4
.LBB446_7:
	s_or_saveexec_b64 s[36:37], s[12:13]
	s_load_dwordx2 s[30:31], s[4:5], 0x68
	s_load_dwordx4 s[16:19], s[4:5], 0x58
	s_load_dword s9, s[34:35], 0x4
	s_load_dwordx4 s[12:15], s[4:5], 0x80
	v_and_b32_e32 v1, 63, v0
	v_and_b32_e32 v43, 3, v0
	v_mov_b32_e32 v21, s24
	v_mov_b32_e32 v26, s23
	;; [unrolled: 1-line block ×5, first 2 shown]
                                        ; implicit-def: $vgpr14_vgpr15
                                        ; implicit-def: $vgpr10_vgpr11
                                        ; implicit-def: $vgpr6_vgpr7
                                        ; implicit-def: $vgpr2_vgpr3
	s_xor_b64 exec, exec, s[36:37]
	s_cbranch_execz .LBB446_401
; %bb.8:
	s_add_i32 s26, s7, 31
	s_ashr_i32 s27, s26, 31
	s_load_dwordx2 s[24:25], s[4:5], 0x20
	s_load_dword s23, s[4:5], 0x38
	s_lshr_b32 s27, s27, 27
	v_add_u32_e32 v44, s22, v0
	s_add_i32 s26, s26, s27
	v_ashrrev_i32_e32 v2, 31, v44
	s_ashr_i32 s26, s26, 5
	v_lshrrev_b32_e32 v2, 27, v2
	s_add_i32 s29, s26, -1
	v_add_u32_e32 v2, v44, v2
	v_ashrrev_i32_e32 v2, 5, v2
	v_mov_b32_e32 v3, s29
	v_cmp_gt_i32_e32 vcc, s7, v44
	s_waitcnt lgkmcnt(0)
	s_mul_i32 s26, s6, s23
	s_mov_b32 s27, 0
	v_cndmask_b32_e32 v2, v3, v2, vcc
	s_lshl_b64 s[26:27], s[26:27], 2
	v_ashrrev_i32_e32 v3, 31, v2
	s_add_u32 s23, s24, s26
	v_lshlrev_b64 v[2:3], 2, v[2:3]
	v_add_co_u32_e32 v6, vcc, s23, v2
	v_ashrrev_i32_e32 v2, 31, v4
	v_lshrrev_b32_e32 v2, 27, v2
	v_add_u32_e32 v2, v4, v2
	s_addc_u32 s24, s25, s27
	v_ashrrev_i32_e32 v4, 5, v2
	v_mov_b32_e32 v5, s24
	v_min_i32_e32 v2, s29, v4
	v_addc_co_u32_e32 v7, vcc, v5, v3, vcc
	v_ashrrev_i32_e32 v3, 31, v2
	v_lshlrev_b64 v[2:3], 2, v[2:3]
	v_add_co_u32_e32 v8, vcc, s23, v2
	v_add_u32_e32 v2, 1, v4
	v_min_i32_e32 v2, s29, v2
	v_addc_co_u32_e32 v9, vcc, v5, v3, vcc
	v_ashrrev_i32_e32 v3, 31, v2
	v_lshlrev_b64 v[2:3], 2, v[2:3]
	v_mov_b32_e32 v4, s24
	v_add_co_u32_e32 v10, vcc, s23, v2
	v_addc_co_u32_e32 v11, vcc, v4, v3, vcc
	global_load_dword v4, v[6:7], off
	global_load_dword v3, v[8:9], off
	;; [unrolled: 1-line block ×3, first 2 shown]
	s_load_dwordx4 s[24:27], s[4:5], 0x8
	s_andn2_b64 vcc, exec, s[10:11]
	s_cbranch_vccnz .LBB446_11
; %bb.9:
	s_add_u32 s2, s2, s20
	s_addc_u32 s3, s3, s21
	s_load_dword s10, s[2:3], 0x0
	s_branch .LBB446_12
.LBB446_10:
	s_mov_b64 s[12:13], 0
	s_branch .LBB446_2
.LBB446_11:
	s_mov_b32 s10, s6
.LBB446_12:
	s_load_dwordx4 s[20:23], s[4:5], 0x48
	v_cmp_eq_u32_e32 vcc, 0, v43
	s_mov_b32 s11, 0
	v_mov_b32_e32 v39, 0
	v_mov_b32_e32 v18, 0
	;; [unrolled: 1-line block ×5, first 2 shown]
	s_and_saveexec_b64 s[2:3], vcc
	s_cbranch_execz .LBB446_14
; %bb.13:
	s_load_dwordx2 s[38:39], s[4:5], 0x0
	s_waitcnt lgkmcnt(0)
	s_ashr_i32 s23, s20, 31
	s_mul_hi_u32 s29, s10, s20
	s_mul_i32 s23, s10, s23
	s_add_i32 s41, s29, s23
	s_mul_i32 s40, s10, s20
	s_lshl_b64 s[40:41], s[40:41], 1
	s_add_u32 s20, s38, s40
	s_addc_u32 s23, s39, s41
	s_lshl_b32 s10, s8, 6
	s_lshl_b64 s[10:11], s[10:11], 1
	s_add_u32 s10, s20, s10
	s_addc_u32 s11, s23, s11
	v_lshlrev_b32_e32 v5, 2, v1
	global_load_dwordx4 v[18:21], v5, s[10:11]
.LBB446_14:
	s_or_b64 exec, exec, s[2:3]
	s_waitcnt lgkmcnt(0)
	s_mul_i32 s10, s8, s22
	s_add_u32 s2, s10, s24
	s_addc_u32 s3, 0, s25
	v_pk_mov_b32 v[6:7], s[2:3], s[2:3] op_sel:[0,1]
	s_waitcnt vmcnt(2)
	v_mad_i64_i32 v[4:5], s[2:3], v4, s21, v[6:7]
	v_lshlrev_b32_e32 v6, 4, v0
	v_and_b32_e32 v6, 0x1f0, v6
	v_add_co_u32_e64 v4, s[2:3], v4, v6
	v_addc_co_u32_e64 v5, s[2:3], 0, v5, s[2:3]
	s_add_u32 s2, s26, s10
	global_load_dwordx4 v[34:37], v[4:5], off
	global_load_dwordx4 v[30:33], v[4:5], off offset:512
	global_load_dwordx4 v[26:29], v[4:5], off offset:1024
	global_load_dwordx4 v[22:25], v[4:5], off offset:1536
	s_addc_u32 s3, s27, 0
	v_lshlrev_b32_e32 v4, 5, v1
	v_mov_b32_e32 v5, s3
	v_add_co_u32_e64 v6, s[2:3], s2, v4
	s_waitcnt vmcnt(5)
	v_mul_hi_i32 v4, v3, s21
	v_ashrrev_i32_e32 v4, 31, v4
	v_lshrrev_b32_e32 v38, 29, v4
	v_addc_co_u32_e64 v7, s[2:3], 0, v5, s[2:3]
	v_mad_i64_i32 v[4:5], s[2:3], v3, s21, v[38:39]
	v_and_b32_e32 v3, -8, v4
	v_add_co_u32_e64 v4, s[2:3], v6, v3
	s_waitcnt vmcnt(4)
	v_mul_hi_i32 v3, v2, s21
	v_ashrrev_i32_e32 v3, 31, v3
	v_lshrrev_b32_e32 v38, 29, v3
	v_addc_co_u32_e64 v5, s[2:3], v7, v5, s[2:3]
	v_mad_i64_i32 v[2:3], s[2:3], v2, s21, v[38:39]
	v_and_b32_e32 v2, -8, v2
	v_add_co_u32_e64 v40, s[2:3], v6, v2
	v_addc_co_u32_e64 v41, s[2:3], v7, v3, s[2:3]
	global_load_dwordx4 v[10:13], v[4:5], off offset:16
	global_load_dwordx4 v[14:17], v[4:5], off
	s_nop 0
	global_load_dwordx4 v[2:5], v[40:41], off offset:16
	global_load_dwordx4 v[6:9], v[40:41], off
	v_mov_b32_e32 v45, 0
	s_waitcnt vmcnt(7)
	v_cmp_ne_u16_sdwa s[2:3], v34, v39 src0_sel:BYTE_0 src1_sel:DWORD
	s_and_saveexec_b64 s[10:11], s[2:3]
	s_cbranch_execz .LBB446_20
; %bb.15:
	s_movk_i32 s2, 0x80
	v_cmp_ne_u16_sdwa s[2:3], v34, s2 src0_sel:BYTE_0 src1_sel:DWORD
	v_bfrev_b32_e32 v45, 1
	s_and_saveexec_b64 s[20:21], s[2:3]
	s_cbranch_execz .LBB446_19
; %bb.16:
	s_movk_i32 s2, 0x7f
	v_and_b32_e32 v38, 0x7f, v34
	v_cmp_ne_u32_e64 s[2:3], s2, v38
	v_mov_b32_e32 v45, 0x7f800001
	s_and_saveexec_b64 s[22:23], s[2:3]
	s_cbranch_execz .LBB446_18
; %bb.17:
	v_and_b32_e32 v40, 7, v34
	v_ffbh_u32_e32 v40, v40
	v_min_u32_e32 v40, 32, v40
	v_lshrrev_b32_e32 v41, 3, v38
	v_subrev_u32_e32 v45, 28, v40
	v_sub_u32_e32 v40, 29, v40
	v_cmp_gt_u32_e64 s[2:3], 8, v38
	v_cndmask_b32_e64 v38, v41, v40, s[2:3]
	v_cndmask_b32_e64 v40, 0, v45, s[2:3]
	v_lshlrev_b64 v[40:41], v40, v[34:35]
	v_lshlrev_b32_e32 v40, 20, v40
	v_lshlrev_b32_e32 v41, 24, v34
	v_bfrev_b32_e32 v45, 60
	v_and_b32_e32 v40, 0x700000, v40
	v_and_b32_e32 v41, 0x80000000, v41
	v_lshl_add_u32 v38, v38, 23, v45
	v_or3_b32 v45, v41, v38, v40
.LBB446_18:
	s_or_b64 exec, exec, s[22:23]
.LBB446_19:
	s_or_b64 exec, exec, s[20:21]
.LBB446_20:
	s_or_b64 exec, exec, s[10:11]
	v_lshrrev_b16_e32 v38, 8, v34
	v_cmp_ne_u16_e64 s[2:3], 0, v38
	s_and_saveexec_b64 s[10:11], s[2:3]
	s_cbranch_execz .LBB446_26
; %bb.21:
	s_movk_i32 s2, 0x80
	v_cmp_ne_u16_e64 s[2:3], s2, v38
	v_bfrev_b32_e32 v39, 1
	s_and_saveexec_b64 s[20:21], s[2:3]
	s_cbranch_execz .LBB446_25
; %bb.22:
	s_movk_i32 s2, 0x7f
	v_and_b32_e32 v40, 0x7f, v38
	v_cmp_ne_u32_e64 s[2:3], s2, v40
	v_mov_b32_e32 v39, 0x7f800001
	s_and_saveexec_b64 s[22:23], s[2:3]
	s_cbranch_execz .LBB446_24
; %bb.23:
	v_and_b32_e32 v41, 7, v38
	v_ffbh_u32_e32 v39, v41
	v_min_u32_e32 v47, 32, v39
	v_subrev_u32_e32 v39, 28, v47
	v_lshlrev_b64 v[38:39], v39, v[38:39]
	v_lshrrev_b32_e32 v46, 3, v40
	v_sub_u32_e32 v39, 29, v47
	v_and_b32_e32 v38, 7, v38
	v_cmp_gt_u32_e64 s[2:3], 8, v40
	v_cndmask_b32_e64 v39, v46, v39, s[2:3]
	v_cndmask_b32_e64 v38, v41, v38, s[2:3]
	v_lshlrev_b32_e32 v40, 16, v34
	v_bfrev_b32_e32 v41, 60
	v_lshlrev_b32_e32 v38, 20, v38
	v_and_b32_e32 v40, 0x80000000, v40
	v_lshl_add_u32 v39, v39, 23, v41
	v_or3_b32 v39, v40, v39, v38
.LBB446_24:
	s_or_b64 exec, exec, s[22:23]
.LBB446_25:
	s_or_b64 exec, exec, s[20:21]
.LBB446_26:
	s_or_b64 exec, exec, s[10:11]
	s_movk_i32 s2, 0xff
	v_and_b32_sdwa v40, v34, s2 dst_sel:DWORD dst_unused:UNUSED_PAD src0_sel:WORD_1 src1_sel:DWORD
	v_lshrrev_b32_e32 v38, 16, v34
	v_cmp_ne_u16_e64 s[2:3], 0, v40
	v_mov_b32_e32 v46, 0
	v_mov_b32_e32 v47, 0
	s_and_saveexec_b64 s[10:11], s[2:3]
	s_cbranch_execz .LBB446_32
; %bb.27:
	s_movk_i32 s2, 0x80
	v_cmp_ne_u16_e64 s[2:3], s2, v40
	v_bfrev_b32_e32 v47, 1
	s_and_saveexec_b64 s[20:21], s[2:3]
	s_cbranch_execz .LBB446_31
; %bb.28:
	v_bfe_u32 v40, v34, 16, 7
	s_movk_i32 s2, 0x7f
	v_cmp_ne_u32_e64 s[2:3], s2, v40
	v_mov_b32_e32 v47, 0x7f800001
	s_and_saveexec_b64 s[22:23], s[2:3]
	s_cbranch_execz .LBB446_30
; %bb.29:
	v_and_b32_e32 v41, 7, v38
	v_ffbh_u32_e32 v48, v41
	v_min_u32_e32 v50, 32, v48
	v_subrev_u32_e32 v48, 28, v50
	v_lshlrev_b64 v[48:49], v48, v[38:39]
	v_and_b32_e32 v48, 7, v48
	v_cmp_gt_u32_e64 s[2:3], 8, v40
	v_lshrrev_b32_e32 v47, 3, v40
	v_sub_u32_e32 v38, 29, v50
	v_cndmask_b32_e64 v40, v41, v48, s[2:3]
	v_mov_b32_e32 v41, 24
	v_cndmask_b32_e64 v38, v47, v38, s[2:3]
	v_lshlrev_b32_sdwa v41, v41, v34 dst_sel:DWORD dst_unused:UNUSED_PAD src0_sel:DWORD src1_sel:WORD_1
	v_bfrev_b32_e32 v47, 60
	v_lshlrev_b32_e32 v40, 20, v40
	v_and_b32_e32 v41, 0x80000000, v41
	v_lshl_add_u32 v38, v38, 23, v47
	v_or3_b32 v47, v41, v38, v40
.LBB446_30:
	s_or_b64 exec, exec, s[22:23]
.LBB446_31:
	s_or_b64 exec, exec, s[20:21]
.LBB446_32:
	s_or_b64 exec, exec, s[10:11]
	s_mov_b32 s2, 0xffffff
	v_cmp_lt_u32_e64 s[2:3], s2, v34
	s_and_saveexec_b64 s[10:11], s[2:3]
	s_cbranch_execz .LBB446_38
; %bb.33:
	v_lshrrev_b32_e32 v38, 24, v34
	s_movk_i32 s2, 0x80
	v_cmp_ne_u32_e64 s[2:3], s2, v38
	v_bfrev_b32_e32 v46, 1
	s_and_saveexec_b64 s[20:21], s[2:3]
	s_cbranch_execz .LBB446_37
; %bb.34:
	v_bfe_u32 v40, v34, 24, 7
	s_movk_i32 s2, 0x7f
	v_cmp_ne_u32_e64 s[2:3], s2, v40
	v_mov_b32_e32 v46, 0x7f800001
	s_and_saveexec_b64 s[22:23], s[2:3]
	s_cbranch_execz .LBB446_36
; %bb.35:
	v_and_b32_e32 v41, 7, v38
	v_ffbh_u32_e32 v48, v41
	v_min_u32_e32 v50, 32, v48
	v_subrev_u32_e32 v48, 28, v50
	v_lshlrev_b64 v[48:49], v48, v[38:39]
	v_lshrrev_b32_e32 v46, 3, v40
	v_sub_u32_e32 v49, 29, v50
	v_and_b32_e32 v48, 7, v48
	v_cmp_gt_u32_e64 s[2:3], 8, v40
	v_cndmask_b32_e64 v40, v46, v49, s[2:3]
	v_cndmask_b32_e64 v41, v41, v48, s[2:3]
	v_lshlrev_b32_e32 v38, 24, v38
	v_bfrev_b32_e32 v46, 60
	v_lshlrev_b32_e32 v41, 20, v41
	v_and_b32_e32 v38, 0x80000000, v38
	v_lshl_add_u32 v40, v40, 23, v46
	v_or3_b32 v46, v38, v40, v41
.LBB446_36:
	s_or_b64 exec, exec, s[22:23]
.LBB446_37:
	s_or_b64 exec, exec, s[20:21]
.LBB446_38:
	s_or_b64 exec, exec, s[10:11]
	v_mov_b32_e32 v41, 0
	v_mov_b32_e32 v40, v35
	v_cmp_ne_u16_sdwa s[2:3], v35, v41 src0_sel:BYTE_0 src1_sel:DWORD
	v_mov_b32_e32 v48, v41
	s_and_saveexec_b64 s[10:11], s[2:3]
	s_cbranch_execz .LBB446_44
; %bb.39:
	s_movk_i32 s2, 0x80
	v_cmp_ne_u16_sdwa s[2:3], v35, s2 src0_sel:BYTE_0 src1_sel:DWORD
	v_bfrev_b32_e32 v48, 1
	s_and_saveexec_b64 s[20:21], s[2:3]
	s_cbranch_execz .LBB446_43
; %bb.40:
	s_movk_i32 s2, 0x7f
	v_and_b32_e32 v38, 0x7f, v35
	v_cmp_ne_u32_e64 s[2:3], s2, v38
	v_mov_b32_e32 v48, 0x7f800001
	s_and_saveexec_b64 s[22:23], s[2:3]
	s_cbranch_execz .LBB446_42
; %bb.41:
	v_and_b32_e32 v48, 7, v35
	v_ffbh_u32_e32 v48, v48
	v_min_u32_e32 v48, 32, v48
	v_lshrrev_b32_e32 v49, 3, v38
	v_subrev_u32_e32 v50, 28, v48
	v_sub_u32_e32 v48, 29, v48
	v_cmp_gt_u32_e64 s[2:3], 8, v38
	v_cndmask_b32_e64 v38, v49, v48, s[2:3]
	v_cndmask_b32_e64 v48, 0, v50, s[2:3]
	v_lshlrev_b64 v[48:49], v48, v[40:41]
	v_lshlrev_b32_e32 v48, 20, v48
	v_lshlrev_b32_e32 v49, 24, v40
	v_bfrev_b32_e32 v50, 60
	v_and_b32_e32 v48, 0x700000, v48
	v_and_b32_e32 v49, 0x80000000, v49
	v_lshl_add_u32 v38, v38, 23, v50
	v_or3_b32 v48, v49, v38, v48
.LBB446_42:
	s_or_b64 exec, exec, s[22:23]
.LBB446_43:
	s_or_b64 exec, exec, s[20:21]
.LBB446_44:
	s_or_b64 exec, exec, s[10:11]
	v_lshrrev_b16_e32 v38, 8, v40
	v_cmp_ne_u16_e64 s[2:3], 0, v38
	s_and_saveexec_b64 s[10:11], s[2:3]
	s_cbranch_execz .LBB446_50
; %bb.45:
	s_movk_i32 s2, 0x80
	v_cmp_ne_u16_e64 s[2:3], s2, v38
	v_bfrev_b32_e32 v41, 1
	s_and_saveexec_b64 s[20:21], s[2:3]
	s_cbranch_execz .LBB446_49
; %bb.46:
	s_movk_i32 s2, 0x7f
	v_and_b32_e32 v49, 0x7f, v38
	v_cmp_ne_u32_e64 s[2:3], s2, v49
	v_mov_b32_e32 v41, 0x7f800001
	s_and_saveexec_b64 s[22:23], s[2:3]
	s_cbranch_execz .LBB446_48
; %bb.47:
	v_and_b32_e32 v41, 7, v38
	v_ffbh_u32_e32 v50, v41
	v_min_u32_e32 v53, 32, v50
	v_subrev_u32_e32 v50, 28, v53
	v_lshlrev_b64 v[50:51], v50, v[38:39]
	v_lshrrev_b32_e32 v52, 3, v49
	v_sub_u32_e32 v38, 29, v53
	v_and_b32_e32 v50, 7, v50
	v_cmp_gt_u32_e64 s[2:3], 8, v49
	v_cndmask_b32_e64 v38, v52, v38, s[2:3]
	v_cndmask_b32_e64 v41, v41, v50, s[2:3]
	v_lshlrev_b32_e32 v40, 16, v40
	v_bfrev_b32_e32 v49, 60
	v_lshlrev_b32_e32 v41, 20, v41
	v_and_b32_e32 v40, 0x80000000, v40
	v_lshl_add_u32 v38, v38, 23, v49
	v_or3_b32 v41, v40, v38, v41
.LBB446_48:
	s_or_b64 exec, exec, s[22:23]
.LBB446_49:
	s_or_b64 exec, exec, s[20:21]
.LBB446_50:
	s_or_b64 exec, exec, s[10:11]
	s_movk_i32 s2, 0xff
	v_and_b32_sdwa v50, v35, s2 dst_sel:DWORD dst_unused:UNUSED_PAD src0_sel:WORD_1 src1_sel:DWORD
	v_lshrrev_b32_e32 v38, 16, v35
	v_cmp_ne_u16_e64 s[2:3], 0, v50
	v_mov_b32_e32 v40, 0
	v_mov_b32_e32 v49, 0
	s_and_saveexec_b64 s[10:11], s[2:3]
	s_cbranch_execz .LBB446_56
; %bb.51:
	s_movk_i32 s2, 0x80
	v_cmp_ne_u16_e64 s[2:3], s2, v50
	v_bfrev_b32_e32 v49, 1
	s_and_saveexec_b64 s[20:21], s[2:3]
	s_cbranch_execz .LBB446_55
; %bb.52:
	v_bfe_u32 v50, v35, 16, 7
	s_movk_i32 s2, 0x7f
	v_cmp_ne_u32_e64 s[2:3], s2, v50
	v_mov_b32_e32 v49, 0x7f800001
	s_and_saveexec_b64 s[22:23], s[2:3]
	s_cbranch_execz .LBB446_54
; %bb.53:
	v_and_b32_e32 v49, 7, v38
	v_ffbh_u32_e32 v52, v49
	v_min_u32_e32 v54, 32, v52
	v_subrev_u32_e32 v52, 28, v54
	v_lshlrev_b64 v[52:53], v52, v[38:39]
	v_lshrrev_b32_e32 v51, 3, v50
	v_sub_u32_e32 v38, 29, v54
	v_and_b32_e32 v52, 7, v52
	v_cmp_gt_u32_e64 s[2:3], 8, v50
	v_mov_b32_e32 v50, 24
	v_cndmask_b32_e64 v38, v51, v38, s[2:3]
	v_cndmask_b32_e64 v49, v49, v52, s[2:3]
	v_lshlrev_b32_sdwa v50, v50, v35 dst_sel:DWORD dst_unused:UNUSED_PAD src0_sel:DWORD src1_sel:WORD_1
	v_bfrev_b32_e32 v51, 60
	v_lshlrev_b32_e32 v49, 20, v49
	v_and_b32_e32 v50, 0x80000000, v50
	v_lshl_add_u32 v38, v38, 23, v51
	v_or3_b32 v49, v50, v38, v49
.LBB446_54:
	s_or_b64 exec, exec, s[22:23]
.LBB446_55:
	s_or_b64 exec, exec, s[20:21]
.LBB446_56:
	s_or_b64 exec, exec, s[10:11]
	s_mov_b32 s2, -1
	s_mov_b32 s3, 0xffffff
	v_cmp_lt_u64_e64 s[2:3], s[2:3], v[34:35]
	s_and_saveexec_b64 s[10:11], s[2:3]
	s_cbranch_execz .LBB446_62
; %bb.57:
	v_lshrrev_b32_e32 v34, 24, v35
	s_movk_i32 s2, 0x80
	v_cmp_ne_u32_e64 s[2:3], s2, v34
	v_bfrev_b32_e32 v40, 1
	s_and_saveexec_b64 s[20:21], s[2:3]
	s_cbranch_execz .LBB446_61
; %bb.58:
	v_bfe_u32 v35, v35, 24, 7
	s_movk_i32 s2, 0x7f
	v_cmp_ne_u32_e64 s[2:3], s2, v35
	v_mov_b32_e32 v40, 0x7f800001
	s_and_saveexec_b64 s[22:23], s[2:3]
	s_cbranch_execz .LBB446_60
; %bb.59:
	v_and_b32_e32 v38, 7, v34
	v_ffbh_u32_e32 v50, v38
	v_min_u32_e32 v52, 32, v50
	v_subrev_u32_e32 v50, 28, v52
	v_lshlrev_b64 v[50:51], v50, v[34:35]
	v_lshrrev_b32_e32 v40, 3, v35
	v_sub_u32_e32 v51, 29, v52
	v_and_b32_e32 v50, 7, v50
	v_cmp_gt_u32_e64 s[2:3], 8, v35
	v_cndmask_b32_e64 v35, v40, v51, s[2:3]
	v_cndmask_b32_e64 v38, v38, v50, s[2:3]
	v_lshlrev_b32_e32 v34, 24, v34
	v_bfrev_b32_e32 v40, 60
	v_lshlrev_b32_e32 v38, 20, v38
	v_and_b32_e32 v34, 0x80000000, v34
	v_lshl_add_u32 v35, v35, 23, v40
	v_or3_b32 v40, v34, v35, v38
.LBB446_60:
	s_or_b64 exec, exec, s[22:23]
.LBB446_61:
	s_or_b64 exec, exec, s[20:21]
.LBB446_62:
	s_or_b64 exec, exec, s[10:11]
	v_cvt_pkrtz_f16_f32 v34, v45, v39
	v_cvt_pkrtz_f16_f32 v35, v47, v46
	;; [unrolled: 1-line block ×4, first 2 shown]
	v_mfma_f32_4x4x4f16 a[0:3], v[18:19], v[34:35], 0 cbsz:4
	v_mov_b32_e32 v40, 0
	v_mfma_f32_4x4x4f16 a[0:3], v[20:21], v[46:47], a[0:3] cbsz:4
	v_mov_b32_e32 v39, 0
	v_cmp_ne_u16_sdwa s[2:3], v36, v40 src0_sel:BYTE_0 src1_sel:DWORD
	s_and_saveexec_b64 s[10:11], s[2:3]
	s_cbranch_execz .LBB446_68
; %bb.63:
	s_movk_i32 s2, 0x80
	v_cmp_ne_u16_sdwa s[2:3], v36, s2 src0_sel:BYTE_0 src1_sel:DWORD
	v_bfrev_b32_e32 v39, 1
	s_and_saveexec_b64 s[20:21], s[2:3]
	s_cbranch_execz .LBB446_67
; %bb.64:
	s_movk_i32 s2, 0x7f
	v_and_b32_e32 v34, 0x7f, v36
	v_cmp_ne_u32_e64 s[2:3], s2, v34
	v_mov_b32_e32 v39, 0x7f800001
	s_and_saveexec_b64 s[22:23], s[2:3]
	s_cbranch_execz .LBB446_66
; %bb.65:
	v_and_b32_e32 v35, 7, v36
	v_ffbh_u32_e32 v35, v35
	v_min_u32_e32 v35, 32, v35
	v_subrev_u32_e32 v39, 28, v35
	v_cmp_gt_u32_e64 s[2:3], 8, v34
	v_lshrrev_b32_e32 v38, 3, v34
	v_sub_u32_e32 v35, 29, v35
	v_cndmask_b32_e64 v34, 0, v39, s[2:3]
	v_cndmask_b32_e64 v38, v38, v35, s[2:3]
	v_lshlrev_b64 v[34:35], v34, v[36:37]
	v_lshlrev_b32_e32 v34, 20, v34
	v_lshlrev_b32_e32 v35, 24, v36
	v_bfrev_b32_e32 v39, 60
	v_and_b32_e32 v34, 0x700000, v34
	v_and_b32_e32 v35, 0x80000000, v35
	v_lshl_add_u32 v38, v38, 23, v39
	v_or3_b32 v39, v35, v38, v34
.LBB446_66:
	s_or_b64 exec, exec, s[22:23]
.LBB446_67:
	s_or_b64 exec, exec, s[20:21]
.LBB446_68:
	s_or_b64 exec, exec, s[10:11]
	v_lshrrev_b16_e32 v34, 8, v36
	v_cmp_ne_u16_e64 s[2:3], 0, v34
	v_mov_b32_e32 v41, 0
	s_and_saveexec_b64 s[10:11], s[2:3]
	s_cbranch_execz .LBB446_74
; %bb.69:
	s_movk_i32 s2, 0x80
	v_cmp_ne_u16_e64 s[2:3], s2, v34
	v_bfrev_b32_e32 v41, 1
	s_and_saveexec_b64 s[20:21], s[2:3]
	s_cbranch_execz .LBB446_73
; %bb.70:
	s_movk_i32 s2, 0x7f
	v_and_b32_e32 v35, 0x7f, v34
	v_cmp_ne_u32_e64 s[2:3], s2, v35
	v_mov_b32_e32 v41, 0x7f800001
	s_and_saveexec_b64 s[22:23], s[2:3]
	s_cbranch_execz .LBB446_72
; %bb.71:
	v_and_b32_e32 v38, 7, v34
	v_ffbh_u32_e32 v45, v38
	v_min_u32_e32 v45, 32, v45
	v_subrev_u32_e32 v46, 28, v45
	v_lshlrev_b64 v[46:47], v46, v[34:35]
	v_lshrrev_b32_e32 v41, 3, v35
	v_sub_u32_e32 v34, 29, v45
	v_and_b32_e32 v45, 7, v46
	v_cmp_gt_u32_e64 s[2:3], 8, v35
	v_cndmask_b32_e64 v34, v41, v34, s[2:3]
	v_cndmask_b32_e64 v35, v38, v45, s[2:3]
	v_lshlrev_b32_e32 v38, 16, v36
	v_bfrev_b32_e32 v41, 60
	v_lshlrev_b32_e32 v35, 20, v35
	v_and_b32_e32 v38, 0x80000000, v38
	v_lshl_add_u32 v34, v34, 23, v41
	v_or3_b32 v41, v38, v34, v35
.LBB446_72:
	s_or_b64 exec, exec, s[22:23]
.LBB446_73:
	s_or_b64 exec, exec, s[20:21]
.LBB446_74:
	s_or_b64 exec, exec, s[10:11]
	s_movk_i32 s2, 0xff
	v_and_b32_sdwa v35, v36, s2 dst_sel:DWORD dst_unused:UNUSED_PAD src0_sel:WORD_1 src1_sel:DWORD
	v_lshrrev_b32_e32 v34, 16, v36
	v_cmp_ne_u16_e64 s[2:3], 0, v35
	s_and_saveexec_b64 s[10:11], s[2:3]
	s_cbranch_execz .LBB446_80
; %bb.75:
	s_movk_i32 s2, 0x80
	v_cmp_ne_u16_e64 s[2:3], s2, v35
	v_bfrev_b32_e32 v40, 1
	s_and_saveexec_b64 s[20:21], s[2:3]
	s_cbranch_execz .LBB446_79
; %bb.76:
	v_bfe_u32 v35, v36, 16, 7
	s_movk_i32 s2, 0x7f
	v_cmp_ne_u32_e64 s[2:3], s2, v35
	v_mov_b32_e32 v40, 0x7f800001
	s_and_saveexec_b64 s[22:23], s[2:3]
	s_cbranch_execz .LBB446_78
; %bb.77:
	v_and_b32_e32 v38, 7, v34
	v_ffbh_u32_e32 v45, v38
	v_min_u32_e32 v45, 32, v45
	v_subrev_u32_e32 v46, 28, v45
	v_lshlrev_b64 v[46:47], v46, v[34:35]
	v_sub_u32_e32 v34, 29, v45
	v_and_b32_e32 v45, 7, v46
	v_cmp_gt_u32_e64 s[2:3], 8, v35
	v_lshrrev_b32_e32 v40, 3, v35
	v_cndmask_b32_e64 v35, v38, v45, s[2:3]
	v_mov_b32_e32 v38, 24
	v_cndmask_b32_e64 v34, v40, v34, s[2:3]
	v_lshlrev_b32_sdwa v38, v38, v36 dst_sel:DWORD dst_unused:UNUSED_PAD src0_sel:DWORD src1_sel:WORD_1
	v_bfrev_b32_e32 v40, 60
	v_lshlrev_b32_e32 v35, 20, v35
	v_and_b32_e32 v38, 0x80000000, v38
	v_lshl_add_u32 v34, v34, 23, v40
	v_or3_b32 v40, v38, v34, v35
.LBB446_78:
	s_or_b64 exec, exec, s[22:23]
.LBB446_79:
	s_or_b64 exec, exec, s[20:21]
.LBB446_80:
	s_or_b64 exec, exec, s[10:11]
	s_mov_b32 s2, 0xffffff
	v_cmp_lt_u32_e64 s[2:3], s2, v36
	v_mov_b32_e32 v35, 0
	v_mov_b32_e32 v45, 0
	s_and_saveexec_b64 s[10:11], s[2:3]
	s_cbranch_execz .LBB446_86
; %bb.81:
	v_lshrrev_b32_e32 v34, 24, v36
	s_movk_i32 s2, 0x80
	v_cmp_ne_u32_e64 s[2:3], s2, v34
	v_bfrev_b32_e32 v45, 1
	s_and_saveexec_b64 s[20:21], s[2:3]
	s_cbranch_execz .LBB446_85
; %bb.82:
	v_bfe_u32 v38, v36, 24, 7
	s_movk_i32 s2, 0x7f
	v_cmp_ne_u32_e64 s[2:3], s2, v38
	v_mov_b32_e32 v45, 0x7f800001
	s_and_saveexec_b64 s[22:23], s[2:3]
	s_cbranch_execz .LBB446_84
; %bb.83:
	v_and_b32_e32 v45, 7, v34
	v_ffbh_u32_e32 v46, v45
	v_min_u32_e32 v49, 32, v46
	v_subrev_u32_e32 v46, 28, v49
	v_lshlrev_b64 v[46:47], v46, v[34:35]
	v_lshrrev_b32_e32 v48, 3, v38
	v_sub_u32_e32 v47, 29, v49
	v_and_b32_e32 v46, 7, v46
	v_cmp_gt_u32_e64 s[2:3], 8, v38
	v_cndmask_b32_e64 v38, v48, v47, s[2:3]
	v_cndmask_b32_e64 v45, v45, v46, s[2:3]
	v_lshlrev_b32_e32 v34, 24, v34
	v_bfrev_b32_e32 v46, 60
	v_lshlrev_b32_e32 v45, 20, v45
	v_and_b32_e32 v34, 0x80000000, v34
	v_lshl_add_u32 v38, v38, 23, v46
	v_or3_b32 v45, v34, v38, v45
.LBB446_84:
	s_or_b64 exec, exec, s[22:23]
.LBB446_85:
	s_or_b64 exec, exec, s[20:21]
.LBB446_86:
	s_or_b64 exec, exec, s[10:11]
	v_mov_b32_e32 v34, v37
	v_cmp_ne_u16_sdwa s[2:3], v37, v35 src0_sel:BYTE_0 src1_sel:DWORD
	s_and_saveexec_b64 s[10:11], s[2:3]
	s_cbranch_execz .LBB446_92
; %bb.87:
	s_movk_i32 s2, 0x80
	v_cmp_ne_u16_sdwa s[2:3], v37, s2 src0_sel:BYTE_0 src1_sel:DWORD
	v_bfrev_b32_e32 v38, 1
	s_and_saveexec_b64 s[20:21], s[2:3]
	s_cbranch_execz .LBB446_91
; %bb.88:
	s_movk_i32 s2, 0x7f
	v_and_b32_e32 v46, 0x7f, v37
	v_cmp_ne_u32_e64 s[2:3], s2, v46
	v_mov_b32_e32 v38, 0x7f800001
	s_and_saveexec_b64 s[22:23], s[2:3]
	s_cbranch_execz .LBB446_90
; %bb.89:
	v_and_b32_e32 v38, 7, v37
	v_ffbh_u32_e32 v38, v38
	v_min_u32_e32 v38, 32, v38
	v_subrev_u32_e32 v48, 28, v38
	v_cmp_gt_u32_e64 s[2:3], 8, v46
	v_lshrrev_b32_e32 v47, 3, v46
	v_sub_u32_e32 v38, 29, v38
	v_cndmask_b32_e64 v46, 0, v48, s[2:3]
	v_cndmask_b32_e64 v38, v47, v38, s[2:3]
	v_lshlrev_b64 v[46:47], v46, v[34:35]
	v_lshlrev_b32_e32 v35, 20, v46
	v_lshlrev_b32_e32 v46, 24, v34
	v_bfrev_b32_e32 v47, 60
	v_and_b32_e32 v35, 0x700000, v35
	v_and_b32_e32 v46, 0x80000000, v46
	v_lshl_add_u32 v38, v38, 23, v47
	v_or3_b32 v38, v46, v38, v35
.LBB446_90:
	s_or_b64 exec, exec, s[22:23]
.LBB446_91:
	s_or_b64 exec, exec, s[20:21]
	v_mov_b32_e32 v35, v38
.LBB446_92:
	s_or_b64 exec, exec, s[10:11]
	v_lshrrev_b16_e32 v38, 8, v34
	v_cmp_ne_u16_e64 s[2:3], 0, v38
	v_mov_b32_e32 v46, 0
	v_mov_b32_e32 v47, 0
	s_and_saveexec_b64 s[10:11], s[2:3]
	s_cbranch_execz .LBB446_98
; %bb.93:
	s_movk_i32 s2, 0x80
	v_cmp_ne_u16_e64 s[2:3], s2, v38
	v_bfrev_b32_e32 v47, 1
	s_and_saveexec_b64 s[20:21], s[2:3]
	s_cbranch_execz .LBB446_97
; %bb.94:
	s_movk_i32 s2, 0x7f
	v_and_b32_e32 v48, 0x7f, v38
	v_cmp_ne_u32_e64 s[2:3], s2, v48
	v_mov_b32_e32 v47, 0x7f800001
	s_and_saveexec_b64 s[22:23], s[2:3]
	s_cbranch_execz .LBB446_96
; %bb.95:
	v_and_b32_e32 v47, 7, v38
	v_ffbh_u32_e32 v50, v47
	v_min_u32_e32 v52, 32, v50
	v_subrev_u32_e32 v50, 28, v52
	v_lshlrev_b64 v[50:51], v50, v[38:39]
	v_lshrrev_b32_e32 v49, 3, v48
	v_sub_u32_e32 v38, 29, v52
	v_and_b32_e32 v50, 7, v50
	v_cmp_gt_u32_e64 s[2:3], 8, v48
	v_cndmask_b32_e64 v38, v49, v38, s[2:3]
	v_cndmask_b32_e64 v47, v47, v50, s[2:3]
	v_lshlrev_b32_e32 v34, 16, v34
	v_bfrev_b32_e32 v48, 60
	v_lshlrev_b32_e32 v47, 20, v47
	v_and_b32_e32 v34, 0x80000000, v34
	v_lshl_add_u32 v38, v38, 23, v48
	v_or3_b32 v47, v34, v38, v47
.LBB446_96:
	s_or_b64 exec, exec, s[22:23]
.LBB446_97:
	s_or_b64 exec, exec, s[20:21]
.LBB446_98:
	s_or_b64 exec, exec, s[10:11]
	s_movk_i32 s2, 0xff
	v_and_b32_sdwa v38, v37, s2 dst_sel:DWORD dst_unused:UNUSED_PAD src0_sel:WORD_1 src1_sel:DWORD
	v_lshrrev_b32_e32 v34, 16, v37
	v_cmp_ne_u16_e64 s[2:3], 0, v38
	s_and_saveexec_b64 s[10:11], s[2:3]
	s_cbranch_execz .LBB446_104
; %bb.99:
	s_movk_i32 s2, 0x80
	v_cmp_ne_u16_e64 s[2:3], s2, v38
	v_bfrev_b32_e32 v46, 1
	s_and_saveexec_b64 s[20:21], s[2:3]
	s_cbranch_execz .LBB446_103
; %bb.100:
	v_bfe_u32 v38, v37, 16, 7
	s_movk_i32 s2, 0x7f
	v_cmp_ne_u32_e64 s[2:3], s2, v38
	v_mov_b32_e32 v46, 0x7f800001
	s_and_saveexec_b64 s[22:23], s[2:3]
	s_cbranch_execz .LBB446_102
; %bb.101:
	v_and_b32_e32 v46, 7, v34
	v_ffbh_u32_e32 v48, v46
	v_min_u32_e32 v51, 32, v48
	v_subrev_u32_e32 v48, 28, v51
	v_lshlrev_b64 v[48:49], v48, v[34:35]
	v_and_b32_e32 v48, 7, v48
	v_cmp_gt_u32_e64 s[2:3], 8, v38
	v_lshrrev_b32_e32 v50, 3, v38
	v_sub_u32_e32 v34, 29, v51
	v_cndmask_b32_e64 v38, v46, v48, s[2:3]
	v_mov_b32_e32 v46, 24
	v_cndmask_b32_e64 v34, v50, v34, s[2:3]
	v_lshlrev_b32_sdwa v46, v46, v37 dst_sel:DWORD dst_unused:UNUSED_PAD src0_sel:DWORD src1_sel:WORD_1
	v_bfrev_b32_e32 v48, 60
	v_lshlrev_b32_e32 v38, 20, v38
	v_and_b32_e32 v46, 0x80000000, v46
	v_lshl_add_u32 v34, v34, 23, v48
	v_or3_b32 v46, v46, v34, v38
.LBB446_102:
	s_or_b64 exec, exec, s[22:23]
.LBB446_103:
	s_or_b64 exec, exec, s[20:21]
.LBB446_104:
	s_or_b64 exec, exec, s[10:11]
	s_mov_b32 s2, -1
	s_mov_b32 s3, 0xffffff
	v_cmp_lt_u64_e64 s[2:3], s[2:3], v[36:37]
	v_mov_b32_e32 v38, 0
	v_mov_b32_e32 v36, 0
	s_and_saveexec_b64 s[10:11], s[2:3]
	s_cbranch_execz .LBB446_110
; %bb.105:
	v_lshrrev_b32_e32 v34, 24, v37
	s_movk_i32 s2, 0x80
	v_cmp_ne_u32_e64 s[2:3], s2, v34
	v_bfrev_b32_e32 v36, 1
	s_and_saveexec_b64 s[20:21], s[2:3]
	s_cbranch_execz .LBB446_109
; %bb.106:
	v_bfe_u32 v37, v37, 24, 7
	s_movk_i32 s2, 0x7f
	v_cmp_ne_u32_e64 s[2:3], s2, v37
	v_mov_b32_e32 v36, 0x7f800001
	s_and_saveexec_b64 s[22:23], s[2:3]
	s_cbranch_execz .LBB446_108
; %bb.107:
	v_and_b32_e32 v36, 7, v34
	v_ffbh_u32_e32 v48, v36
	v_min_u32_e32 v51, 32, v48
	v_subrev_u32_e32 v48, 28, v51
	v_lshlrev_b64 v[48:49], v48, v[34:35]
	v_lshrrev_b32_e32 v50, 3, v37
	v_sub_u32_e32 v49, 29, v51
	v_and_b32_e32 v48, 7, v48
	v_cmp_gt_u32_e64 s[2:3], 8, v37
	v_cndmask_b32_e64 v37, v50, v49, s[2:3]
	v_cndmask_b32_e64 v36, v36, v48, s[2:3]
	v_lshlrev_b32_e32 v34, 24, v34
	v_bfrev_b32_e32 v48, 60
	v_lshlrev_b32_e32 v36, 20, v36
	v_and_b32_e32 v34, 0x80000000, v34
	v_lshl_add_u32 v37, v37, 23, v48
	v_or3_b32 v36, v34, v37, v36
.LBB446_108:
	s_or_b64 exec, exec, s[22:23]
.LBB446_109:
	s_or_b64 exec, exec, s[20:21]
.LBB446_110:
	s_or_b64 exec, exec, s[10:11]
	v_cvt_pkrtz_f16_f32 v48, v39, v41
	v_cvt_pkrtz_f16_f32 v49, v40, v45
	;; [unrolled: 1-line block ×4, first 2 shown]
	v_mfma_f32_4x4x4f16 a[0:3], v[18:19], v[48:49], a[0:3] cbsz:4 abid:1
	s_waitcnt vmcnt(6)
	v_cmp_ne_u16_sdwa s[2:3], v30, v38 src0_sel:BYTE_0 src1_sel:DWORD
	v_mfma_f32_4x4x4f16 a[0:3], v[20:21], v[34:35], a[0:3] cbsz:4 abid:1
	s_and_saveexec_b64 s[10:11], s[2:3]
	s_cbranch_execz .LBB446_116
; %bb.111:
	s_movk_i32 s2, 0x80
	v_cmp_ne_u16_sdwa s[2:3], v30, s2 src0_sel:BYTE_0 src1_sel:DWORD
	v_bfrev_b32_e32 v38, 1
	s_and_saveexec_b64 s[20:21], s[2:3]
	s_cbranch_execz .LBB446_115
; %bb.112:
	s_movk_i32 s2, 0x7f
	v_and_b32_e32 v34, 0x7f, v30
	v_cmp_ne_u32_e64 s[2:3], s2, v34
	v_mov_b32_e32 v38, 0x7f800001
	s_and_saveexec_b64 s[22:23], s[2:3]
	s_cbranch_execz .LBB446_114
; %bb.113:
	v_and_b32_e32 v35, 7, v30
	v_ffbh_u32_e32 v35, v35
	v_min_u32_e32 v35, 32, v35
	v_subrev_u32_e32 v37, 28, v35
	v_cmp_gt_u32_e64 s[2:3], 8, v34
	v_lshrrev_b32_e32 v36, 3, v34
	v_sub_u32_e32 v35, 29, v35
	v_cndmask_b32_e64 v34, 0, v37, s[2:3]
	v_cndmask_b32_e64 v36, v36, v35, s[2:3]
	v_lshlrev_b64 v[34:35], v34, v[30:31]
	v_lshlrev_b32_e32 v34, 20, v34
	v_lshlrev_b32_e32 v35, 24, v30
	v_bfrev_b32_e32 v37, 60
	v_and_b32_e32 v34, 0x700000, v34
	v_and_b32_e32 v35, 0x80000000, v35
	v_lshl_add_u32 v36, v36, 23, v37
	v_or3_b32 v38, v35, v36, v34
.LBB446_114:
	s_or_b64 exec, exec, s[22:23]
.LBB446_115:
	s_or_b64 exec, exec, s[20:21]
.LBB446_116:
	s_or_b64 exec, exec, s[10:11]
	v_lshrrev_b16_e32 v34, 8, v30
	v_cmp_ne_u16_e64 s[2:3], 0, v34
	v_mov_b32_e32 v37, 0
	v_mov_b32_e32 v39, 0
	s_and_saveexec_b64 s[10:11], s[2:3]
	s_cbranch_execz .LBB446_122
; %bb.117:
	s_movk_i32 s2, 0x80
	v_cmp_ne_u16_e64 s[2:3], s2, v34
	v_bfrev_b32_e32 v39, 1
	s_and_saveexec_b64 s[20:21], s[2:3]
	s_cbranch_execz .LBB446_121
; %bb.118:
	s_movk_i32 s2, 0x7f
	v_and_b32_e32 v35, 0x7f, v34
	v_cmp_ne_u32_e64 s[2:3], s2, v35
	v_mov_b32_e32 v39, 0x7f800001
	s_and_saveexec_b64 s[22:23], s[2:3]
	s_cbranch_execz .LBB446_120
; %bb.119:
	v_and_b32_e32 v36, 7, v34
	v_ffbh_u32_e32 v40, v36
	v_min_u32_e32 v45, 32, v40
	v_subrev_u32_e32 v40, 28, v45
	v_lshlrev_b64 v[40:41], v40, v[34:35]
	v_lshrrev_b32_e32 v39, 3, v35
	v_sub_u32_e32 v34, 29, v45
	v_and_b32_e32 v40, 7, v40
	v_cmp_gt_u32_e64 s[2:3], 8, v35
	v_cndmask_b32_e64 v34, v39, v34, s[2:3]
	v_cndmask_b32_e64 v35, v36, v40, s[2:3]
	v_lshlrev_b32_e32 v36, 16, v30
	v_bfrev_b32_e32 v39, 60
	v_lshlrev_b32_e32 v35, 20, v35
	v_and_b32_e32 v36, 0x80000000, v36
	v_lshl_add_u32 v34, v34, 23, v39
	v_or3_b32 v39, v36, v34, v35
.LBB446_120:
	s_or_b64 exec, exec, s[22:23]
.LBB446_121:
	s_or_b64 exec, exec, s[20:21]
.LBB446_122:
	s_or_b64 exec, exec, s[10:11]
	s_movk_i32 s2, 0xff
	v_and_b32_sdwa v35, v30, s2 dst_sel:DWORD dst_unused:UNUSED_PAD src0_sel:WORD_1 src1_sel:DWORD
	v_lshrrev_b32_e32 v34, 16, v30
	v_cmp_ne_u16_e64 s[2:3], 0, v35
	s_and_saveexec_b64 s[10:11], s[2:3]
	s_cbranch_execz .LBB446_128
; %bb.123:
	s_movk_i32 s2, 0x80
	v_cmp_ne_u16_e64 s[2:3], s2, v35
	v_bfrev_b32_e32 v37, 1
	s_and_saveexec_b64 s[20:21], s[2:3]
	s_cbranch_execz .LBB446_127
; %bb.124:
	v_bfe_u32 v35, v30, 16, 7
	s_movk_i32 s2, 0x7f
	v_cmp_ne_u32_e64 s[2:3], s2, v35
	v_mov_b32_e32 v37, 0x7f800001
	s_and_saveexec_b64 s[22:23], s[2:3]
	s_cbranch_execz .LBB446_126
; %bb.125:
	v_and_b32_e32 v40, 7, v34
	v_ffbh_u32_e32 v36, v40
	v_min_u32_e32 v45, 32, v36
	v_subrev_u32_e32 v36, 28, v45
	v_lshlrev_b64 v[36:37], v36, v[34:35]
	v_and_b32_e32 v36, 7, v36
	v_cmp_gt_u32_e64 s[2:3], 8, v35
	v_lshrrev_b32_e32 v41, 3, v35
	v_sub_u32_e32 v34, 29, v45
	v_cndmask_b32_e64 v35, v40, v36, s[2:3]
	v_mov_b32_e32 v36, 24
	v_cndmask_b32_e64 v34, v41, v34, s[2:3]
	v_lshlrev_b32_sdwa v36, v36, v30 dst_sel:DWORD dst_unused:UNUSED_PAD src0_sel:DWORD src1_sel:WORD_1
	v_bfrev_b32_e32 v37, 60
	v_lshlrev_b32_e32 v35, 20, v35
	v_and_b32_e32 v36, 0x80000000, v36
	v_lshl_add_u32 v34, v34, 23, v37
	v_or3_b32 v37, v36, v34, v35
.LBB446_126:
	s_or_b64 exec, exec, s[22:23]
.LBB446_127:
	s_or_b64 exec, exec, s[20:21]
.LBB446_128:
	s_or_b64 exec, exec, s[10:11]
	s_mov_b32 s2, 0xffffff
	v_cmp_lt_u32_e64 s[2:3], s2, v30
	v_mov_b32_e32 v35, 0
	v_mov_b32_e32 v40, 0
	s_and_saveexec_b64 s[10:11], s[2:3]
	s_cbranch_execz .LBB446_134
; %bb.129:
	v_lshrrev_b32_e32 v34, 24, v30
	s_movk_i32 s2, 0x80
	v_cmp_ne_u32_e64 s[2:3], s2, v34
	v_bfrev_b32_e32 v40, 1
	s_and_saveexec_b64 s[20:21], s[2:3]
	s_cbranch_execz .LBB446_133
; %bb.130:
	v_bfe_u32 v36, v30, 24, 7
	s_movk_i32 s2, 0x7f
	v_cmp_ne_u32_e64 s[2:3], s2, v36
	v_mov_b32_e32 v40, 0x7f800001
	s_and_saveexec_b64 s[22:23], s[2:3]
	s_cbranch_execz .LBB446_132
; %bb.131:
	v_and_b32_e32 v45, 7, v34
	v_ffbh_u32_e32 v40, v45
	v_min_u32_e32 v47, 32, v40
	v_subrev_u32_e32 v40, 28, v47
	v_lshlrev_b64 v[40:41], v40, v[34:35]
	v_lshrrev_b32_e32 v46, 3, v36
	v_sub_u32_e32 v41, 29, v47
	v_and_b32_e32 v40, 7, v40
	v_cmp_gt_u32_e64 s[2:3], 8, v36
	v_cndmask_b32_e64 v36, v46, v41, s[2:3]
	v_cndmask_b32_e64 v40, v45, v40, s[2:3]
	v_lshlrev_b32_e32 v34, 24, v34
	v_bfrev_b32_e32 v41, 60
	v_lshlrev_b32_e32 v40, 20, v40
	v_and_b32_e32 v34, 0x80000000, v34
	v_lshl_add_u32 v36, v36, 23, v41
	v_or3_b32 v40, v34, v36, v40
.LBB446_132:
	s_or_b64 exec, exec, s[22:23]
.LBB446_133:
	s_or_b64 exec, exec, s[20:21]
.LBB446_134:
	s_or_b64 exec, exec, s[10:11]
	v_mov_b32_e32 v34, v31
	v_cmp_ne_u16_sdwa s[2:3], v31, v35 src0_sel:BYTE_0 src1_sel:DWORD
	s_and_saveexec_b64 s[10:11], s[2:3]
	s_cbranch_execz .LBB446_140
; %bb.135:
	s_movk_i32 s2, 0x80
	v_cmp_ne_u16_sdwa s[2:3], v31, s2 src0_sel:BYTE_0 src1_sel:DWORD
	v_bfrev_b32_e32 v36, 1
	s_and_saveexec_b64 s[20:21], s[2:3]
	s_cbranch_execz .LBB446_139
; %bb.136:
	s_movk_i32 s2, 0x7f
	v_and_b32_e32 v41, 0x7f, v31
	v_cmp_ne_u32_e64 s[2:3], s2, v41
	v_mov_b32_e32 v36, 0x7f800001
	s_and_saveexec_b64 s[22:23], s[2:3]
	s_cbranch_execz .LBB446_138
; %bb.137:
	v_and_b32_e32 v36, 7, v31
	v_ffbh_u32_e32 v36, v36
	v_min_u32_e32 v36, 32, v36
	v_subrev_u32_e32 v46, 28, v36
	v_cmp_gt_u32_e64 s[2:3], 8, v41
	v_lshrrev_b32_e32 v45, 3, v41
	v_cndmask_b32_e64 v41, 0, v46, s[2:3]
	v_sub_u32_e32 v36, 29, v36
	v_lshlrev_b64 v[46:47], v41, v[34:35]
	v_cndmask_b32_e64 v36, v45, v36, s[2:3]
	v_lshlrev_b32_e32 v35, 20, v46
	v_lshlrev_b32_e32 v41, 24, v34
	v_bfrev_b32_e32 v45, 60
	v_and_b32_e32 v35, 0x700000, v35
	v_and_b32_e32 v41, 0x80000000, v41
	v_lshl_add_u32 v36, v36, 23, v45
	v_or3_b32 v36, v41, v36, v35
.LBB446_138:
	s_or_b64 exec, exec, s[22:23]
.LBB446_139:
	s_or_b64 exec, exec, s[20:21]
	v_mov_b32_e32 v35, v36
.LBB446_140:
	s_or_b64 exec, exec, s[10:11]
	v_lshrrev_b16_e32 v36, 8, v34
	v_cmp_ne_u16_e64 s[2:3], 0, v36
	v_mov_b32_e32 v41, 0
	v_mov_b32_e32 v45, 0
	s_and_saveexec_b64 s[10:11], s[2:3]
	s_cbranch_execz .LBB446_146
; %bb.141:
	s_movk_i32 s2, 0x80
	v_cmp_ne_u16_e64 s[2:3], s2, v36
	v_bfrev_b32_e32 v45, 1
	s_and_saveexec_b64 s[20:21], s[2:3]
	s_cbranch_execz .LBB446_145
; %bb.142:
	s_movk_i32 s2, 0x7f
	v_and_b32_e32 v46, 0x7f, v36
	v_cmp_ne_u32_e64 s[2:3], s2, v46
	v_mov_b32_e32 v45, 0x7f800001
	s_and_saveexec_b64 s[22:23], s[2:3]
	s_cbranch_execz .LBB446_144
; %bb.143:
	v_and_b32_e32 v45, 7, v36
	v_ffbh_u32_e32 v48, v45
	v_min_u32_e32 v50, 32, v48
	v_subrev_u32_e32 v48, 28, v50
	v_lshlrev_b64 v[48:49], v48, v[36:37]
	v_lshrrev_b32_e32 v47, 3, v46
	v_sub_u32_e32 v36, 29, v50
	v_and_b32_e32 v48, 7, v48
	v_cmp_gt_u32_e64 s[2:3], 8, v46
	v_cndmask_b32_e64 v36, v47, v36, s[2:3]
	v_cndmask_b32_e64 v45, v45, v48, s[2:3]
	v_lshlrev_b32_e32 v34, 16, v34
	v_bfrev_b32_e32 v46, 60
	v_lshlrev_b32_e32 v45, 20, v45
	v_and_b32_e32 v34, 0x80000000, v34
	v_lshl_add_u32 v36, v36, 23, v46
	v_or3_b32 v45, v34, v36, v45
.LBB446_144:
	s_or_b64 exec, exec, s[22:23]
.LBB446_145:
	s_or_b64 exec, exec, s[20:21]
.LBB446_146:
	s_or_b64 exec, exec, s[10:11]
	s_movk_i32 s2, 0xff
	v_and_b32_sdwa v36, v31, s2 dst_sel:DWORD dst_unused:UNUSED_PAD src0_sel:WORD_1 src1_sel:DWORD
	v_lshrrev_b32_e32 v34, 16, v31
	v_cmp_ne_u16_e64 s[2:3], 0, v36
	s_and_saveexec_b64 s[10:11], s[2:3]
	s_cbranch_execz .LBB446_152
; %bb.147:
	s_movk_i32 s2, 0x80
	v_cmp_ne_u16_e64 s[2:3], s2, v36
	v_bfrev_b32_e32 v41, 1
	s_and_saveexec_b64 s[20:21], s[2:3]
	s_cbranch_execz .LBB446_151
; %bb.148:
	v_bfe_u32 v36, v31, 16, 7
	s_movk_i32 s2, 0x7f
	v_cmp_ne_u32_e64 s[2:3], s2, v36
	v_mov_b32_e32 v41, 0x7f800001
	s_and_saveexec_b64 s[22:23], s[2:3]
	s_cbranch_execz .LBB446_150
; %bb.149:
	v_and_b32_e32 v41, 7, v34
	v_ffbh_u32_e32 v46, v41
	v_min_u32_e32 v49, 32, v46
	v_subrev_u32_e32 v46, 28, v49
	v_lshlrev_b64 v[46:47], v46, v[34:35]
	v_and_b32_e32 v46, 7, v46
	v_cmp_gt_u32_e64 s[2:3], 8, v36
	v_lshrrev_b32_e32 v48, 3, v36
	v_sub_u32_e32 v34, 29, v49
	v_cndmask_b32_e64 v36, v41, v46, s[2:3]
	v_mov_b32_e32 v41, 24
	v_cndmask_b32_e64 v34, v48, v34, s[2:3]
	v_lshlrev_b32_sdwa v41, v41, v31 dst_sel:DWORD dst_unused:UNUSED_PAD src0_sel:DWORD src1_sel:WORD_1
	v_bfrev_b32_e32 v46, 60
	v_lshlrev_b32_e32 v36, 20, v36
	v_and_b32_e32 v41, 0x80000000, v41
	v_lshl_add_u32 v34, v34, 23, v46
	v_or3_b32 v41, v41, v34, v36
.LBB446_150:
	s_or_b64 exec, exec, s[22:23]
.LBB446_151:
	s_or_b64 exec, exec, s[20:21]
.LBB446_152:
	s_or_b64 exec, exec, s[10:11]
	s_mov_b32 s2, -1
	s_mov_b32 s3, 0xffffff
	v_cmp_lt_u64_e64 s[2:3], s[2:3], v[30:31]
	v_mov_b32_e32 v36, 0
	v_mov_b32_e32 v34, 0
	s_and_saveexec_b64 s[10:11], s[2:3]
	s_cbranch_execz .LBB446_158
; %bb.153:
	v_lshrrev_b32_e32 v30, 24, v31
	s_movk_i32 s2, 0x80
	v_cmp_ne_u32_e64 s[2:3], s2, v30
	v_bfrev_b32_e32 v34, 1
	s_and_saveexec_b64 s[20:21], s[2:3]
	s_cbranch_execz .LBB446_157
; %bb.154:
	v_bfe_u32 v31, v31, 24, 7
	s_movk_i32 s2, 0x7f
	v_cmp_ne_u32_e64 s[2:3], s2, v31
	v_mov_b32_e32 v34, 0x7f800001
	s_and_saveexec_b64 s[22:23], s[2:3]
	s_cbranch_execz .LBB446_156
; %bb.155:
	v_and_b32_e32 v34, 7, v30
	v_ffbh_u32_e32 v46, v34
	v_min_u32_e32 v49, 32, v46
	v_subrev_u32_e32 v46, 28, v49
	v_lshlrev_b64 v[46:47], v46, v[30:31]
	v_lshrrev_b32_e32 v48, 3, v31
	v_sub_u32_e32 v47, 29, v49
	v_and_b32_e32 v46, 7, v46
	v_cmp_gt_u32_e64 s[2:3], 8, v31
	v_cndmask_b32_e64 v31, v48, v47, s[2:3]
	v_cndmask_b32_e64 v34, v34, v46, s[2:3]
	v_lshlrev_b32_e32 v30, 24, v30
	v_bfrev_b32_e32 v46, 60
	v_lshlrev_b32_e32 v34, 20, v34
	v_and_b32_e32 v30, 0x80000000, v30
	v_lshl_add_u32 v31, v31, 23, v46
	v_or3_b32 v34, v30, v31, v34
.LBB446_156:
	s_or_b64 exec, exec, s[22:23]
.LBB446_157:
	s_or_b64 exec, exec, s[20:21]
.LBB446_158:
	s_or_b64 exec, exec, s[10:11]
	v_cvt_pkrtz_f16_f32 v30, v38, v39
	v_cvt_pkrtz_f16_f32 v31, v37, v40
	;; [unrolled: 1-line block ×4, first 2 shown]
	v_mfma_f32_4x4x4f16 a[0:3], v[18:19], v[30:31], a[0:3] cbsz:4 abid:2
	v_cmp_ne_u16_sdwa s[2:3], v32, v36 src0_sel:BYTE_0 src1_sel:DWORD
	v_mfma_f32_4x4x4f16 a[0:3], v[20:21], v[38:39], a[0:3] cbsz:4 abid:2
	s_and_saveexec_b64 s[10:11], s[2:3]
	s_cbranch_execz .LBB446_164
; %bb.159:
	s_movk_i32 s2, 0x80
	v_cmp_ne_u16_sdwa s[2:3], v32, s2 src0_sel:BYTE_0 src1_sel:DWORD
	v_bfrev_b32_e32 v36, 1
	s_and_saveexec_b64 s[20:21], s[2:3]
	s_cbranch_execz .LBB446_163
; %bb.160:
	s_movk_i32 s2, 0x7f
	v_and_b32_e32 v30, 0x7f, v32
	v_cmp_ne_u32_e64 s[2:3], s2, v30
	v_mov_b32_e32 v36, 0x7f800001
	s_and_saveexec_b64 s[22:23], s[2:3]
	s_cbranch_execz .LBB446_162
; %bb.161:
	v_and_b32_e32 v31, 7, v32
	v_ffbh_u32_e32 v31, v31
	v_min_u32_e32 v31, 32, v31
	v_subrev_u32_e32 v35, 28, v31
	v_cmp_gt_u32_e64 s[2:3], 8, v30
	v_lshrrev_b32_e32 v34, 3, v30
	v_sub_u32_e32 v31, 29, v31
	v_cndmask_b32_e64 v30, 0, v35, s[2:3]
	v_cndmask_b32_e64 v34, v34, v31, s[2:3]
	v_lshlrev_b64 v[30:31], v30, v[32:33]
	v_lshlrev_b32_e32 v30, 20, v30
	v_lshlrev_b32_e32 v31, 24, v32
	v_bfrev_b32_e32 v35, 60
	v_and_b32_e32 v30, 0x700000, v30
	v_and_b32_e32 v31, 0x80000000, v31
	v_lshl_add_u32 v34, v34, 23, v35
	v_or3_b32 v36, v31, v34, v30
.LBB446_162:
	s_or_b64 exec, exec, s[22:23]
.LBB446_163:
	s_or_b64 exec, exec, s[20:21]
.LBB446_164:
	s_or_b64 exec, exec, s[10:11]
	v_lshrrev_b16_e32 v30, 8, v32
	v_cmp_ne_u16_e64 s[2:3], 0, v30
	v_mov_b32_e32 v35, 0
	v_mov_b32_e32 v37, 0
	s_and_saveexec_b64 s[10:11], s[2:3]
	s_cbranch_execz .LBB446_170
; %bb.165:
	s_movk_i32 s2, 0x80
	v_cmp_ne_u16_e64 s[2:3], s2, v30
	v_bfrev_b32_e32 v37, 1
	s_and_saveexec_b64 s[20:21], s[2:3]
	s_cbranch_execz .LBB446_169
; %bb.166:
	s_movk_i32 s2, 0x7f
	v_and_b32_e32 v31, 0x7f, v30
	v_cmp_ne_u32_e64 s[2:3], s2, v31
	v_mov_b32_e32 v37, 0x7f800001
	s_and_saveexec_b64 s[22:23], s[2:3]
	s_cbranch_execz .LBB446_168
; %bb.167:
	v_and_b32_e32 v34, 7, v30
	v_ffbh_u32_e32 v38, v34
	v_min_u32_e32 v40, 32, v38
	v_subrev_u32_e32 v38, 28, v40
	v_lshlrev_b64 v[38:39], v38, v[30:31]
	v_lshrrev_b32_e32 v37, 3, v31
	v_sub_u32_e32 v30, 29, v40
	v_and_b32_e32 v38, 7, v38
	v_cmp_gt_u32_e64 s[2:3], 8, v31
	v_cndmask_b32_e64 v30, v37, v30, s[2:3]
	v_cndmask_b32_e64 v31, v34, v38, s[2:3]
	v_lshlrev_b32_e32 v34, 16, v32
	v_bfrev_b32_e32 v37, 60
	v_lshlrev_b32_e32 v31, 20, v31
	v_and_b32_e32 v34, 0x80000000, v34
	v_lshl_add_u32 v30, v30, 23, v37
	v_or3_b32 v37, v34, v30, v31
.LBB446_168:
	s_or_b64 exec, exec, s[22:23]
.LBB446_169:
	s_or_b64 exec, exec, s[20:21]
.LBB446_170:
	s_or_b64 exec, exec, s[10:11]
	s_movk_i32 s2, 0xff
	v_and_b32_sdwa v31, v32, s2 dst_sel:DWORD dst_unused:UNUSED_PAD src0_sel:WORD_1 src1_sel:DWORD
	v_lshrrev_b32_e32 v30, 16, v32
	v_cmp_ne_u16_e64 s[2:3], 0, v31
	s_and_saveexec_b64 s[10:11], s[2:3]
	s_cbranch_execz .LBB446_176
; %bb.171:
	s_movk_i32 s2, 0x80
	v_cmp_ne_u16_e64 s[2:3], s2, v31
	v_bfrev_b32_e32 v35, 1
	s_and_saveexec_b64 s[20:21], s[2:3]
	s_cbranch_execz .LBB446_175
; %bb.172:
	v_bfe_u32 v31, v32, 16, 7
	s_movk_i32 s2, 0x7f
	v_cmp_ne_u32_e64 s[2:3], s2, v31
	v_mov_b32_e32 v35, 0x7f800001
	s_and_saveexec_b64 s[22:23], s[2:3]
	s_cbranch_execz .LBB446_174
; %bb.173:
	v_and_b32_e32 v38, 7, v30
	v_ffbh_u32_e32 v34, v38
	v_min_u32_e32 v40, 32, v34
	v_subrev_u32_e32 v34, 28, v40
	v_lshlrev_b64 v[34:35], v34, v[30:31]
	v_and_b32_e32 v34, 7, v34
	v_cmp_gt_u32_e64 s[2:3], 8, v31
	v_lshrrev_b32_e32 v39, 3, v31
	v_sub_u32_e32 v30, 29, v40
	v_cndmask_b32_e64 v31, v38, v34, s[2:3]
	v_mov_b32_e32 v34, 24
	v_cndmask_b32_e64 v30, v39, v30, s[2:3]
	v_lshlrev_b32_sdwa v34, v34, v32 dst_sel:DWORD dst_unused:UNUSED_PAD src0_sel:DWORD src1_sel:WORD_1
	v_bfrev_b32_e32 v35, 60
	v_lshlrev_b32_e32 v31, 20, v31
	v_and_b32_e32 v34, 0x80000000, v34
	v_lshl_add_u32 v30, v30, 23, v35
	v_or3_b32 v35, v34, v30, v31
.LBB446_174:
	s_or_b64 exec, exec, s[22:23]
.LBB446_175:
	s_or_b64 exec, exec, s[20:21]
.LBB446_176:
	s_or_b64 exec, exec, s[10:11]
	s_mov_b32 s2, 0xffffff
	v_cmp_lt_u32_e64 s[2:3], s2, v32
	v_mov_b32_e32 v31, 0
	v_mov_b32_e32 v38, 0
	s_and_saveexec_b64 s[10:11], s[2:3]
	s_cbranch_execz .LBB446_182
; %bb.177:
	v_lshrrev_b32_e32 v30, 24, v32
	s_movk_i32 s2, 0x80
	v_cmp_ne_u32_e64 s[2:3], s2, v30
	v_bfrev_b32_e32 v38, 1
	s_and_saveexec_b64 s[20:21], s[2:3]
	s_cbranch_execz .LBB446_181
; %bb.178:
	v_bfe_u32 v34, v32, 24, 7
	s_movk_i32 s2, 0x7f
	v_cmp_ne_u32_e64 s[2:3], s2, v34
	v_mov_b32_e32 v38, 0x7f800001
	s_and_saveexec_b64 s[22:23], s[2:3]
	s_cbranch_execz .LBB446_180
; %bb.179:
	v_and_b32_e32 v40, 7, v30
	v_ffbh_u32_e32 v38, v40
	v_min_u32_e32 v45, 32, v38
	v_subrev_u32_e32 v38, 28, v45
	v_lshlrev_b64 v[38:39], v38, v[30:31]
	v_lshrrev_b32_e32 v41, 3, v34
	v_sub_u32_e32 v39, 29, v45
	v_and_b32_e32 v38, 7, v38
	v_cmp_gt_u32_e64 s[2:3], 8, v34
	v_cndmask_b32_e64 v34, v41, v39, s[2:3]
	v_cndmask_b32_e64 v38, v40, v38, s[2:3]
	v_lshlrev_b32_e32 v30, 24, v30
	v_bfrev_b32_e32 v39, 60
	v_lshlrev_b32_e32 v38, 20, v38
	v_and_b32_e32 v30, 0x80000000, v30
	v_lshl_add_u32 v34, v34, 23, v39
	v_or3_b32 v38, v30, v34, v38
.LBB446_180:
	s_or_b64 exec, exec, s[22:23]
.LBB446_181:
	s_or_b64 exec, exec, s[20:21]
.LBB446_182:
	s_or_b64 exec, exec, s[10:11]
	v_mov_b32_e32 v30, v33
	v_cmp_ne_u16_sdwa s[2:3], v33, v31 src0_sel:BYTE_0 src1_sel:DWORD
	s_and_saveexec_b64 s[10:11], s[2:3]
	s_cbranch_execz .LBB446_188
; %bb.183:
	s_movk_i32 s2, 0x80
	v_cmp_ne_u16_sdwa s[2:3], v33, s2 src0_sel:BYTE_0 src1_sel:DWORD
	v_bfrev_b32_e32 v34, 1
	s_and_saveexec_b64 s[20:21], s[2:3]
	s_cbranch_execz .LBB446_187
; %bb.184:
	s_movk_i32 s2, 0x7f
	v_and_b32_e32 v39, 0x7f, v33
	v_cmp_ne_u32_e64 s[2:3], s2, v39
	v_mov_b32_e32 v34, 0x7f800001
	s_and_saveexec_b64 s[22:23], s[2:3]
	s_cbranch_execz .LBB446_186
; %bb.185:
	v_and_b32_e32 v34, 7, v33
	v_ffbh_u32_e32 v34, v34
	v_min_u32_e32 v34, 32, v34
	v_subrev_u32_e32 v41, 28, v34
	v_cmp_gt_u32_e64 s[2:3], 8, v39
	v_lshrrev_b32_e32 v40, 3, v39
	v_sub_u32_e32 v34, 29, v34
	v_cndmask_b32_e64 v39, 0, v41, s[2:3]
	v_cndmask_b32_e64 v34, v40, v34, s[2:3]
	v_lshlrev_b64 v[40:41], v39, v[30:31]
	v_lshlrev_b32_e32 v31, 20, v40
	v_lshlrev_b32_e32 v39, 24, v30
	v_bfrev_b32_e32 v40, 60
	v_and_b32_e32 v31, 0x700000, v31
	v_and_b32_e32 v39, 0x80000000, v39
	v_lshl_add_u32 v34, v34, 23, v40
	v_or3_b32 v34, v39, v34, v31
.LBB446_186:
	s_or_b64 exec, exec, s[22:23]
.LBB446_187:
	s_or_b64 exec, exec, s[20:21]
	v_mov_b32_e32 v31, v34
.LBB446_188:
	s_or_b64 exec, exec, s[10:11]
	v_lshrrev_b16_e32 v34, 8, v30
	v_cmp_ne_u16_e64 s[2:3], 0, v34
	v_mov_b32_e32 v39, 0
	v_mov_b32_e32 v40, 0
	s_and_saveexec_b64 s[10:11], s[2:3]
	s_cbranch_execz .LBB446_194
; %bb.189:
	s_movk_i32 s2, 0x80
	v_cmp_ne_u16_e64 s[2:3], s2, v34
	v_bfrev_b32_e32 v40, 1
	s_and_saveexec_b64 s[20:21], s[2:3]
	s_cbranch_execz .LBB446_193
; %bb.190:
	s_movk_i32 s2, 0x7f
	v_and_b32_e32 v41, 0x7f, v34
	v_cmp_ne_u32_e64 s[2:3], s2, v41
	v_mov_b32_e32 v40, 0x7f800001
	s_and_saveexec_b64 s[22:23], s[2:3]
	s_cbranch_execz .LBB446_192
; %bb.191:
	v_and_b32_e32 v40, 7, v34
	v_ffbh_u32_e32 v46, v40
	v_min_u32_e32 v48, 32, v46
	v_subrev_u32_e32 v46, 28, v48
	v_lshlrev_b64 v[46:47], v46, v[34:35]
	v_lshrrev_b32_e32 v45, 3, v41
	v_sub_u32_e32 v34, 29, v48
	v_and_b32_e32 v46, 7, v46
	v_cmp_gt_u32_e64 s[2:3], 8, v41
	v_cndmask_b32_e64 v34, v45, v34, s[2:3]
	v_cndmask_b32_e64 v40, v40, v46, s[2:3]
	v_lshlrev_b32_e32 v30, 16, v30
	v_bfrev_b32_e32 v41, 60
	v_lshlrev_b32_e32 v40, 20, v40
	v_and_b32_e32 v30, 0x80000000, v30
	v_lshl_add_u32 v34, v34, 23, v41
	v_or3_b32 v40, v30, v34, v40
.LBB446_192:
	s_or_b64 exec, exec, s[22:23]
.LBB446_193:
	s_or_b64 exec, exec, s[20:21]
.LBB446_194:
	s_or_b64 exec, exec, s[10:11]
	s_movk_i32 s2, 0xff
	v_and_b32_sdwa v34, v33, s2 dst_sel:DWORD dst_unused:UNUSED_PAD src0_sel:WORD_1 src1_sel:DWORD
	v_lshrrev_b32_e32 v30, 16, v33
	v_cmp_ne_u16_e64 s[2:3], 0, v34
	s_and_saveexec_b64 s[10:11], s[2:3]
	s_cbranch_execz .LBB446_200
; %bb.195:
	s_movk_i32 s2, 0x80
	v_cmp_ne_u16_e64 s[2:3], s2, v34
	v_bfrev_b32_e32 v39, 1
	s_and_saveexec_b64 s[20:21], s[2:3]
	s_cbranch_execz .LBB446_199
; %bb.196:
	v_bfe_u32 v34, v33, 16, 7
	s_movk_i32 s2, 0x7f
	v_cmp_ne_u32_e64 s[2:3], s2, v34
	v_mov_b32_e32 v39, 0x7f800001
	s_and_saveexec_b64 s[22:23], s[2:3]
	s_cbranch_execz .LBB446_198
; %bb.197:
	v_and_b32_e32 v39, 7, v30
	v_ffbh_u32_e32 v45, v39
	v_min_u32_e32 v45, 32, v45
	v_subrev_u32_e32 v46, 28, v45
	v_lshlrev_b64 v[46:47], v46, v[30:31]
	v_sub_u32_e32 v30, 29, v45
	v_and_b32_e32 v45, 7, v46
	v_cmp_gt_u32_e64 s[2:3], 8, v34
	v_lshrrev_b32_e32 v41, 3, v34
	v_cndmask_b32_e64 v34, v39, v45, s[2:3]
	v_mov_b32_e32 v39, 24
	v_cndmask_b32_e64 v30, v41, v30, s[2:3]
	v_lshlrev_b32_sdwa v39, v39, v33 dst_sel:DWORD dst_unused:UNUSED_PAD src0_sel:DWORD src1_sel:WORD_1
	v_bfrev_b32_e32 v41, 60
	v_lshlrev_b32_e32 v34, 20, v34
	v_and_b32_e32 v39, 0x80000000, v39
	v_lshl_add_u32 v30, v30, 23, v41
	v_or3_b32 v39, v39, v30, v34
.LBB446_198:
	s_or_b64 exec, exec, s[22:23]
.LBB446_199:
	s_or_b64 exec, exec, s[20:21]
.LBB446_200:
	s_or_b64 exec, exec, s[10:11]
	s_mov_b32 s2, -1
	s_mov_b32 s3, 0xffffff
	v_cmp_lt_u64_e64 s[2:3], s[2:3], v[32:33]
	v_mov_b32_e32 v34, 0
	v_mov_b32_e32 v32, 0
	s_and_saveexec_b64 s[10:11], s[2:3]
	s_cbranch_execz .LBB446_206
; %bb.201:
	v_lshrrev_b32_e32 v30, 24, v33
	s_movk_i32 s2, 0x80
	v_cmp_ne_u32_e64 s[2:3], s2, v30
	v_bfrev_b32_e32 v32, 1
	s_and_saveexec_b64 s[20:21], s[2:3]
	s_cbranch_execz .LBB446_205
; %bb.202:
	v_bfe_u32 v33, v33, 24, 7
	s_movk_i32 s2, 0x7f
	v_cmp_ne_u32_e64 s[2:3], s2, v33
	v_mov_b32_e32 v32, 0x7f800001
	s_and_saveexec_b64 s[22:23], s[2:3]
	s_cbranch_execz .LBB446_204
; %bb.203:
	v_and_b32_e32 v32, 7, v30
	v_ffbh_u32_e32 v45, v32
	v_min_u32_e32 v45, 32, v45
	v_subrev_u32_e32 v46, 28, v45
	v_lshlrev_b64 v[46:47], v46, v[30:31]
	v_lshrrev_b32_e32 v41, 3, v33
	v_sub_u32_e32 v45, 29, v45
	v_and_b32_e32 v46, 7, v46
	v_cmp_gt_u32_e64 s[2:3], 8, v33
	v_cndmask_b32_e64 v33, v41, v45, s[2:3]
	v_cndmask_b32_e64 v32, v32, v46, s[2:3]
	v_lshlrev_b32_e32 v30, 24, v30
	v_bfrev_b32_e32 v41, 60
	v_lshlrev_b32_e32 v32, 20, v32
	v_and_b32_e32 v30, 0x80000000, v30
	v_lshl_add_u32 v33, v33, 23, v41
	v_or3_b32 v32, v30, v33, v32
.LBB446_204:
	s_or_b64 exec, exec, s[22:23]
.LBB446_205:
	s_or_b64 exec, exec, s[20:21]
.LBB446_206:
	s_or_b64 exec, exec, s[10:11]
	v_cvt_pkrtz_f16_f32 v36, v36, v37
	v_cvt_pkrtz_f16_f32 v37, v35, v38
	;; [unrolled: 1-line block ×4, first 2 shown]
	v_mfma_f32_4x4x4f16 a[0:3], v[18:19], v[36:37], a[0:3] cbsz:4 abid:3
	s_waitcnt vmcnt(5)
	v_cmp_ne_u16_sdwa s[2:3], v26, v34 src0_sel:BYTE_0 src1_sel:DWORD
	v_mfma_f32_4x4x4f16 a[0:3], v[20:21], v[30:31], a[0:3] cbsz:4 abid:3
	s_and_saveexec_b64 s[10:11], s[2:3]
	s_cbranch_execz .LBB446_212
; %bb.207:
	s_movk_i32 s2, 0x80
	v_cmp_ne_u16_sdwa s[2:3], v26, s2 src0_sel:BYTE_0 src1_sel:DWORD
	v_bfrev_b32_e32 v34, 1
	s_and_saveexec_b64 s[20:21], s[2:3]
	s_cbranch_execz .LBB446_211
; %bb.208:
	s_movk_i32 s2, 0x7f
	v_and_b32_e32 v30, 0x7f, v26
	v_cmp_ne_u32_e64 s[2:3], s2, v30
	v_mov_b32_e32 v34, 0x7f800001
	s_and_saveexec_b64 s[22:23], s[2:3]
	s_cbranch_execz .LBB446_210
; %bb.209:
	v_and_b32_e32 v31, 7, v26
	v_ffbh_u32_e32 v31, v31
	v_min_u32_e32 v31, 32, v31
	v_subrev_u32_e32 v33, 28, v31
	v_cmp_gt_u32_e64 s[2:3], 8, v30
	v_lshrrev_b32_e32 v32, 3, v30
	v_sub_u32_e32 v31, 29, v31
	v_cndmask_b32_e64 v30, 0, v33, s[2:3]
	v_cndmask_b32_e64 v32, v32, v31, s[2:3]
	v_lshlrev_b64 v[30:31], v30, v[26:27]
	v_lshlrev_b32_e32 v30, 20, v30
	v_lshlrev_b32_e32 v31, 24, v26
	v_bfrev_b32_e32 v33, 60
	v_and_b32_e32 v30, 0x700000, v30
	v_and_b32_e32 v31, 0x80000000, v31
	v_lshl_add_u32 v32, v32, 23, v33
	v_or3_b32 v34, v31, v32, v30
.LBB446_210:
	s_or_b64 exec, exec, s[22:23]
.LBB446_211:
	s_or_b64 exec, exec, s[20:21]
.LBB446_212:
	s_or_b64 exec, exec, s[10:11]
	v_lshrrev_b16_e32 v30, 8, v26
	v_cmp_ne_u16_e64 s[2:3], 0, v30
	v_mov_b32_e32 v33, 0
	v_mov_b32_e32 v35, 0
	s_and_saveexec_b64 s[10:11], s[2:3]
	s_cbranch_execz .LBB446_218
; %bb.213:
	s_movk_i32 s2, 0x80
	v_cmp_ne_u16_e64 s[2:3], s2, v30
	v_bfrev_b32_e32 v35, 1
	s_and_saveexec_b64 s[20:21], s[2:3]
	s_cbranch_execz .LBB446_217
; %bb.214:
	s_movk_i32 s2, 0x7f
	v_and_b32_e32 v31, 0x7f, v30
	v_cmp_ne_u32_e64 s[2:3], s2, v31
	v_mov_b32_e32 v35, 0x7f800001
	s_and_saveexec_b64 s[22:23], s[2:3]
	s_cbranch_execz .LBB446_216
; %bb.215:
	v_and_b32_e32 v32, 7, v30
	v_ffbh_u32_e32 v36, v32
	v_min_u32_e32 v38, 32, v36
	v_subrev_u32_e32 v36, 28, v38
	v_lshlrev_b64 v[36:37], v36, v[30:31]
	v_lshrrev_b32_e32 v35, 3, v31
	v_sub_u32_e32 v30, 29, v38
	v_and_b32_e32 v36, 7, v36
	v_cmp_gt_u32_e64 s[2:3], 8, v31
	v_cndmask_b32_e64 v30, v35, v30, s[2:3]
	v_cndmask_b32_e64 v31, v32, v36, s[2:3]
	v_lshlrev_b32_e32 v32, 16, v26
	v_bfrev_b32_e32 v35, 60
	v_lshlrev_b32_e32 v31, 20, v31
	v_and_b32_e32 v32, 0x80000000, v32
	v_lshl_add_u32 v30, v30, 23, v35
	v_or3_b32 v35, v32, v30, v31
.LBB446_216:
	s_or_b64 exec, exec, s[22:23]
.LBB446_217:
	s_or_b64 exec, exec, s[20:21]
.LBB446_218:
	s_or_b64 exec, exec, s[10:11]
	s_movk_i32 s2, 0xff
	v_and_b32_sdwa v31, v26, s2 dst_sel:DWORD dst_unused:UNUSED_PAD src0_sel:WORD_1 src1_sel:DWORD
	v_lshrrev_b32_e32 v30, 16, v26
	v_cmp_ne_u16_e64 s[2:3], 0, v31
	s_and_saveexec_b64 s[10:11], s[2:3]
	s_cbranch_execz .LBB446_224
; %bb.219:
	s_movk_i32 s2, 0x80
	v_cmp_ne_u16_e64 s[2:3], s2, v31
	v_bfrev_b32_e32 v33, 1
	s_and_saveexec_b64 s[20:21], s[2:3]
	s_cbranch_execz .LBB446_223
; %bb.220:
	v_bfe_u32 v31, v26, 16, 7
	s_movk_i32 s2, 0x7f
	v_cmp_ne_u32_e64 s[2:3], s2, v31
	v_mov_b32_e32 v33, 0x7f800001
	s_and_saveexec_b64 s[22:23], s[2:3]
	s_cbranch_execz .LBB446_222
; %bb.221:
	v_and_b32_e32 v36, 7, v30
	v_ffbh_u32_e32 v32, v36
	v_min_u32_e32 v38, 32, v32
	v_subrev_u32_e32 v32, 28, v38
	v_lshlrev_b64 v[32:33], v32, v[30:31]
	v_and_b32_e32 v32, 7, v32
	v_cmp_gt_u32_e64 s[2:3], 8, v31
	v_lshrrev_b32_e32 v37, 3, v31
	v_sub_u32_e32 v30, 29, v38
	v_cndmask_b32_e64 v31, v36, v32, s[2:3]
	v_mov_b32_e32 v32, 24
	v_cndmask_b32_e64 v30, v37, v30, s[2:3]
	v_lshlrev_b32_sdwa v32, v32, v26 dst_sel:DWORD dst_unused:UNUSED_PAD src0_sel:DWORD src1_sel:WORD_1
	v_bfrev_b32_e32 v33, 60
	v_lshlrev_b32_e32 v31, 20, v31
	v_and_b32_e32 v32, 0x80000000, v32
	v_lshl_add_u32 v30, v30, 23, v33
	v_or3_b32 v33, v32, v30, v31
.LBB446_222:
	s_or_b64 exec, exec, s[22:23]
.LBB446_223:
	s_or_b64 exec, exec, s[20:21]
.LBB446_224:
	s_or_b64 exec, exec, s[10:11]
	s_mov_b32 s2, 0xffffff
	v_cmp_lt_u32_e64 s[2:3], s2, v26
	v_mov_b32_e32 v31, 0
	v_mov_b32_e32 v36, 0
	s_and_saveexec_b64 s[10:11], s[2:3]
	s_cbranch_execz .LBB446_230
; %bb.225:
	v_lshrrev_b32_e32 v30, 24, v26
	s_movk_i32 s2, 0x80
	v_cmp_ne_u32_e64 s[2:3], s2, v30
	v_bfrev_b32_e32 v36, 1
	s_and_saveexec_b64 s[20:21], s[2:3]
	s_cbranch_execz .LBB446_229
; %bb.226:
	v_bfe_u32 v32, v26, 24, 7
	s_movk_i32 s2, 0x7f
	v_cmp_ne_u32_e64 s[2:3], s2, v32
	v_mov_b32_e32 v36, 0x7f800001
	s_and_saveexec_b64 s[22:23], s[2:3]
	s_cbranch_execz .LBB446_228
; %bb.227:
	v_and_b32_e32 v38, 7, v30
	v_ffbh_u32_e32 v36, v38
	v_min_u32_e32 v40, 32, v36
	v_subrev_u32_e32 v36, 28, v40
	v_lshlrev_b64 v[36:37], v36, v[30:31]
	v_lshrrev_b32_e32 v39, 3, v32
	v_sub_u32_e32 v37, 29, v40
	v_and_b32_e32 v36, 7, v36
	v_cmp_gt_u32_e64 s[2:3], 8, v32
	v_cndmask_b32_e64 v32, v39, v37, s[2:3]
	v_cndmask_b32_e64 v36, v38, v36, s[2:3]
	v_lshlrev_b32_e32 v30, 24, v30
	v_bfrev_b32_e32 v37, 60
	v_lshlrev_b32_e32 v36, 20, v36
	v_and_b32_e32 v30, 0x80000000, v30
	v_lshl_add_u32 v32, v32, 23, v37
	v_or3_b32 v36, v30, v32, v36
.LBB446_228:
	s_or_b64 exec, exec, s[22:23]
.LBB446_229:
	s_or_b64 exec, exec, s[20:21]
.LBB446_230:
	s_or_b64 exec, exec, s[10:11]
	v_mov_b32_e32 v30, v27
	v_cmp_ne_u16_sdwa s[2:3], v27, v31 src0_sel:BYTE_0 src1_sel:DWORD
	s_and_saveexec_b64 s[10:11], s[2:3]
	s_cbranch_execz .LBB446_236
; %bb.231:
	s_movk_i32 s2, 0x80
	v_cmp_ne_u16_sdwa s[2:3], v27, s2 src0_sel:BYTE_0 src1_sel:DWORD
	v_bfrev_b32_e32 v32, 1
	s_and_saveexec_b64 s[20:21], s[2:3]
	s_cbranch_execz .LBB446_235
; %bb.232:
	s_movk_i32 s2, 0x7f
	v_and_b32_e32 v37, 0x7f, v27
	v_cmp_ne_u32_e64 s[2:3], s2, v37
	v_mov_b32_e32 v32, 0x7f800001
	s_and_saveexec_b64 s[22:23], s[2:3]
	s_cbranch_execz .LBB446_234
; %bb.233:
	v_and_b32_e32 v32, 7, v27
	v_ffbh_u32_e32 v32, v32
	v_min_u32_e32 v32, 32, v32
	v_subrev_u32_e32 v39, 28, v32
	v_cmp_gt_u32_e64 s[2:3], 8, v37
	v_lshrrev_b32_e32 v38, 3, v37
	v_sub_u32_e32 v32, 29, v32
	v_cndmask_b32_e64 v37, 0, v39, s[2:3]
	v_cndmask_b32_e64 v32, v38, v32, s[2:3]
	v_lshlrev_b64 v[38:39], v37, v[30:31]
	v_lshlrev_b32_e32 v31, 20, v38
	v_lshlrev_b32_e32 v37, 24, v30
	v_bfrev_b32_e32 v38, 60
	v_and_b32_e32 v31, 0x700000, v31
	v_and_b32_e32 v37, 0x80000000, v37
	v_lshl_add_u32 v32, v32, 23, v38
	v_or3_b32 v32, v37, v32, v31
.LBB446_234:
	s_or_b64 exec, exec, s[22:23]
.LBB446_235:
	s_or_b64 exec, exec, s[20:21]
	v_mov_b32_e32 v31, v32
.LBB446_236:
	s_or_b64 exec, exec, s[10:11]
	v_lshrrev_b16_e32 v32, 8, v30
	v_cmp_ne_u16_e64 s[2:3], 0, v32
	v_mov_b32_e32 v37, 0
	v_mov_b32_e32 v38, 0
	s_and_saveexec_b64 s[10:11], s[2:3]
	s_cbranch_execz .LBB446_242
; %bb.237:
	s_movk_i32 s2, 0x80
	v_cmp_ne_u16_e64 s[2:3], s2, v32
	v_bfrev_b32_e32 v38, 1
	s_and_saveexec_b64 s[20:21], s[2:3]
	s_cbranch_execz .LBB446_241
; %bb.238:
	s_movk_i32 s2, 0x7f
	v_and_b32_e32 v39, 0x7f, v32
	v_cmp_ne_u32_e64 s[2:3], s2, v39
	v_mov_b32_e32 v38, 0x7f800001
	s_and_saveexec_b64 s[22:23], s[2:3]
	s_cbranch_execz .LBB446_240
; %bb.239:
	v_and_b32_e32 v38, 7, v32
	v_ffbh_u32_e32 v40, v38
	v_min_u32_e32 v46, 32, v40
	v_subrev_u32_e32 v40, 28, v46
	v_lshlrev_b64 v[40:41], v40, v[32:33]
	v_lshrrev_b32_e32 v45, 3, v39
	v_sub_u32_e32 v32, 29, v46
	v_and_b32_e32 v40, 7, v40
	v_cmp_gt_u32_e64 s[2:3], 8, v39
	v_cndmask_b32_e64 v32, v45, v32, s[2:3]
	v_cndmask_b32_e64 v38, v38, v40, s[2:3]
	v_lshlrev_b32_e32 v30, 16, v30
	v_bfrev_b32_e32 v39, 60
	v_lshlrev_b32_e32 v38, 20, v38
	v_and_b32_e32 v30, 0x80000000, v30
	v_lshl_add_u32 v32, v32, 23, v39
	v_or3_b32 v38, v30, v32, v38
.LBB446_240:
	s_or_b64 exec, exec, s[22:23]
.LBB446_241:
	s_or_b64 exec, exec, s[20:21]
.LBB446_242:
	s_or_b64 exec, exec, s[10:11]
	s_movk_i32 s2, 0xff
	v_and_b32_sdwa v32, v27, s2 dst_sel:DWORD dst_unused:UNUSED_PAD src0_sel:WORD_1 src1_sel:DWORD
	v_lshrrev_b32_e32 v30, 16, v27
	v_cmp_ne_u16_e64 s[2:3], 0, v32
	s_and_saveexec_b64 s[10:11], s[2:3]
	s_cbranch_execz .LBB446_248
; %bb.243:
	s_movk_i32 s2, 0x80
	v_cmp_ne_u16_e64 s[2:3], s2, v32
	v_bfrev_b32_e32 v37, 1
	s_and_saveexec_b64 s[20:21], s[2:3]
	s_cbranch_execz .LBB446_247
; %bb.244:
	v_bfe_u32 v32, v27, 16, 7
	s_movk_i32 s2, 0x7f
	v_cmp_ne_u32_e64 s[2:3], s2, v32
	v_mov_b32_e32 v37, 0x7f800001
	s_and_saveexec_b64 s[22:23], s[2:3]
	s_cbranch_execz .LBB446_246
; %bb.245:
	v_and_b32_e32 v37, 7, v30
	v_ffbh_u32_e32 v40, v37
	v_min_u32_e32 v45, 32, v40
	v_subrev_u32_e32 v40, 28, v45
	v_lshlrev_b64 v[40:41], v40, v[30:31]
	v_and_b32_e32 v40, 7, v40
	v_cmp_gt_u32_e64 s[2:3], 8, v32
	v_lshrrev_b32_e32 v39, 3, v32
	v_sub_u32_e32 v30, 29, v45
	v_cndmask_b32_e64 v32, v37, v40, s[2:3]
	v_mov_b32_e32 v37, 24
	v_cndmask_b32_e64 v30, v39, v30, s[2:3]
	v_lshlrev_b32_sdwa v37, v37, v27 dst_sel:DWORD dst_unused:UNUSED_PAD src0_sel:DWORD src1_sel:WORD_1
	v_bfrev_b32_e32 v39, 60
	v_lshlrev_b32_e32 v32, 20, v32
	v_and_b32_e32 v37, 0x80000000, v37
	v_lshl_add_u32 v30, v30, 23, v39
	v_or3_b32 v37, v37, v30, v32
.LBB446_246:
	s_or_b64 exec, exec, s[22:23]
.LBB446_247:
	s_or_b64 exec, exec, s[20:21]
.LBB446_248:
	s_or_b64 exec, exec, s[10:11]
	s_mov_b32 s2, -1
	s_mov_b32 s3, 0xffffff
	v_cmp_lt_u64_e64 s[2:3], s[2:3], v[26:27]
	v_mov_b32_e32 v32, 0
	v_mov_b32_e32 v30, 0
	s_and_saveexec_b64 s[10:11], s[2:3]
	s_cbranch_execz .LBB446_254
; %bb.249:
	v_lshrrev_b32_e32 v26, 24, v27
	s_movk_i32 s2, 0x80
	v_cmp_ne_u32_e64 s[2:3], s2, v26
	v_bfrev_b32_e32 v30, 1
	s_and_saveexec_b64 s[20:21], s[2:3]
	s_cbranch_execz .LBB446_253
; %bb.250:
	v_bfe_u32 v27, v27, 24, 7
	s_movk_i32 s2, 0x7f
	v_cmp_ne_u32_e64 s[2:3], s2, v27
	v_mov_b32_e32 v30, 0x7f800001
	s_and_saveexec_b64 s[22:23], s[2:3]
	s_cbranch_execz .LBB446_252
; %bb.251:
	v_and_b32_e32 v30, 7, v26
	v_ffbh_u32_e32 v40, v30
	v_min_u32_e32 v45, 32, v40
	v_subrev_u32_e32 v40, 28, v45
	v_lshlrev_b64 v[40:41], v40, v[26:27]
	v_lshrrev_b32_e32 v39, 3, v27
	v_sub_u32_e32 v41, 29, v45
	v_and_b32_e32 v40, 7, v40
	v_cmp_gt_u32_e64 s[2:3], 8, v27
	v_cndmask_b32_e64 v27, v39, v41, s[2:3]
	v_cndmask_b32_e64 v30, v30, v40, s[2:3]
	v_lshlrev_b32_e32 v26, 24, v26
	v_bfrev_b32_e32 v39, 60
	v_lshlrev_b32_e32 v30, 20, v30
	v_and_b32_e32 v26, 0x80000000, v26
	v_lshl_add_u32 v27, v27, 23, v39
	v_or3_b32 v30, v26, v27, v30
.LBB446_252:
	s_or_b64 exec, exec, s[22:23]
.LBB446_253:
	s_or_b64 exec, exec, s[20:21]
.LBB446_254:
	s_or_b64 exec, exec, s[10:11]
	v_cvt_pkrtz_f16_f32 v26, v34, v35
	v_cvt_pkrtz_f16_f32 v27, v33, v36
	;; [unrolled: 1-line block ×4, first 2 shown]
	v_mfma_f32_4x4x4f16 a[0:3], v[18:19], v[26:27], a[0:3] cbsz:4 abid:4
	v_cmp_ne_u16_sdwa s[2:3], v28, v32 src0_sel:BYTE_0 src1_sel:DWORD
	v_mfma_f32_4x4x4f16 a[0:3], v[20:21], v[34:35], a[0:3] cbsz:4 abid:4
	s_and_saveexec_b64 s[10:11], s[2:3]
	s_cbranch_execz .LBB446_260
; %bb.255:
	s_movk_i32 s2, 0x80
	v_cmp_ne_u16_sdwa s[2:3], v28, s2 src0_sel:BYTE_0 src1_sel:DWORD
	v_bfrev_b32_e32 v32, 1
	s_and_saveexec_b64 s[20:21], s[2:3]
	s_cbranch_execz .LBB446_259
; %bb.256:
	s_movk_i32 s2, 0x7f
	v_and_b32_e32 v26, 0x7f, v28
	v_cmp_ne_u32_e64 s[2:3], s2, v26
	v_mov_b32_e32 v32, 0x7f800001
	s_and_saveexec_b64 s[22:23], s[2:3]
	s_cbranch_execz .LBB446_258
; %bb.257:
	v_and_b32_e32 v27, 7, v28
	v_ffbh_u32_e32 v27, v27
	v_min_u32_e32 v27, 32, v27
	v_subrev_u32_e32 v31, 28, v27
	v_cmp_gt_u32_e64 s[2:3], 8, v26
	v_lshrrev_b32_e32 v30, 3, v26
	v_sub_u32_e32 v27, 29, v27
	v_cndmask_b32_e64 v26, 0, v31, s[2:3]
	v_cndmask_b32_e64 v30, v30, v27, s[2:3]
	v_lshlrev_b64 v[26:27], v26, v[28:29]
	v_lshlrev_b32_e32 v26, 20, v26
	v_lshlrev_b32_e32 v27, 24, v28
	v_bfrev_b32_e32 v31, 60
	v_and_b32_e32 v26, 0x700000, v26
	v_and_b32_e32 v27, 0x80000000, v27
	v_lshl_add_u32 v30, v30, 23, v31
	v_or3_b32 v32, v27, v30, v26
.LBB446_258:
	s_or_b64 exec, exec, s[22:23]
.LBB446_259:
	s_or_b64 exec, exec, s[20:21]
.LBB446_260:
	s_or_b64 exec, exec, s[10:11]
	v_lshrrev_b16_e32 v26, 8, v28
	v_cmp_ne_u16_e64 s[2:3], 0, v26
	v_mov_b32_e32 v31, 0
	v_mov_b32_e32 v33, 0
	s_and_saveexec_b64 s[10:11], s[2:3]
	s_cbranch_execz .LBB446_266
; %bb.261:
	s_movk_i32 s2, 0x80
	v_cmp_ne_u16_e64 s[2:3], s2, v26
	v_bfrev_b32_e32 v33, 1
	s_and_saveexec_b64 s[20:21], s[2:3]
	s_cbranch_execz .LBB446_265
; %bb.262:
	s_movk_i32 s2, 0x7f
	v_and_b32_e32 v27, 0x7f, v26
	v_cmp_ne_u32_e64 s[2:3], s2, v27
	v_mov_b32_e32 v33, 0x7f800001
	s_and_saveexec_b64 s[22:23], s[2:3]
	s_cbranch_execz .LBB446_264
; %bb.263:
	v_and_b32_e32 v30, 7, v26
	v_ffbh_u32_e32 v34, v30
	v_min_u32_e32 v36, 32, v34
	v_subrev_u32_e32 v34, 28, v36
	v_lshlrev_b64 v[34:35], v34, v[26:27]
	v_lshrrev_b32_e32 v33, 3, v27
	v_sub_u32_e32 v26, 29, v36
	v_and_b32_e32 v34, 7, v34
	v_cmp_gt_u32_e64 s[2:3], 8, v27
	v_cndmask_b32_e64 v26, v33, v26, s[2:3]
	v_cndmask_b32_e64 v27, v30, v34, s[2:3]
	v_lshlrev_b32_e32 v30, 16, v28
	v_bfrev_b32_e32 v33, 60
	v_lshlrev_b32_e32 v27, 20, v27
	v_and_b32_e32 v30, 0x80000000, v30
	v_lshl_add_u32 v26, v26, 23, v33
	v_or3_b32 v33, v30, v26, v27
.LBB446_264:
	s_or_b64 exec, exec, s[22:23]
.LBB446_265:
	s_or_b64 exec, exec, s[20:21]
.LBB446_266:
	s_or_b64 exec, exec, s[10:11]
	s_movk_i32 s2, 0xff
	v_and_b32_sdwa v27, v28, s2 dst_sel:DWORD dst_unused:UNUSED_PAD src0_sel:WORD_1 src1_sel:DWORD
	v_lshrrev_b32_e32 v26, 16, v28
	v_cmp_ne_u16_e64 s[2:3], 0, v27
	s_and_saveexec_b64 s[10:11], s[2:3]
	s_cbranch_execz .LBB446_272
; %bb.267:
	s_movk_i32 s2, 0x80
	v_cmp_ne_u16_e64 s[2:3], s2, v27
	v_bfrev_b32_e32 v31, 1
	s_and_saveexec_b64 s[20:21], s[2:3]
	s_cbranch_execz .LBB446_271
; %bb.268:
	v_bfe_u32 v27, v28, 16, 7
	s_movk_i32 s2, 0x7f
	v_cmp_ne_u32_e64 s[2:3], s2, v27
	v_mov_b32_e32 v31, 0x7f800001
	s_and_saveexec_b64 s[22:23], s[2:3]
	s_cbranch_execz .LBB446_270
; %bb.269:
	v_and_b32_e32 v34, 7, v26
	v_ffbh_u32_e32 v30, v34
	v_min_u32_e32 v36, 32, v30
	v_subrev_u32_e32 v30, 28, v36
	v_lshlrev_b64 v[30:31], v30, v[26:27]
	v_and_b32_e32 v30, 7, v30
	v_cmp_gt_u32_e64 s[2:3], 8, v27
	v_lshrrev_b32_e32 v35, 3, v27
	v_sub_u32_e32 v26, 29, v36
	v_cndmask_b32_e64 v27, v34, v30, s[2:3]
	v_mov_b32_e32 v30, 24
	v_cndmask_b32_e64 v26, v35, v26, s[2:3]
	v_lshlrev_b32_sdwa v30, v30, v28 dst_sel:DWORD dst_unused:UNUSED_PAD src0_sel:DWORD src1_sel:WORD_1
	v_bfrev_b32_e32 v31, 60
	v_lshlrev_b32_e32 v27, 20, v27
	v_and_b32_e32 v30, 0x80000000, v30
	v_lshl_add_u32 v26, v26, 23, v31
	v_or3_b32 v31, v30, v26, v27
.LBB446_270:
	s_or_b64 exec, exec, s[22:23]
.LBB446_271:
	s_or_b64 exec, exec, s[20:21]
.LBB446_272:
	s_or_b64 exec, exec, s[10:11]
	s_mov_b32 s2, 0xffffff
	v_cmp_lt_u32_e64 s[2:3], s2, v28
	v_mov_b32_e32 v27, 0
	v_mov_b32_e32 v34, 0
	s_and_saveexec_b64 s[10:11], s[2:3]
	s_cbranch_execz .LBB446_278
; %bb.273:
	v_lshrrev_b32_e32 v26, 24, v28
	s_movk_i32 s2, 0x80
	v_cmp_ne_u32_e64 s[2:3], s2, v26
	v_bfrev_b32_e32 v34, 1
	s_and_saveexec_b64 s[20:21], s[2:3]
	s_cbranch_execz .LBB446_277
; %bb.274:
	v_bfe_u32 v30, v28, 24, 7
	s_movk_i32 s2, 0x7f
	v_cmp_ne_u32_e64 s[2:3], s2, v30
	v_mov_b32_e32 v34, 0x7f800001
	s_and_saveexec_b64 s[22:23], s[2:3]
	s_cbranch_execz .LBB446_276
; %bb.275:
	v_and_b32_e32 v36, 7, v26
	v_ffbh_u32_e32 v34, v36
	v_min_u32_e32 v38, 32, v34
	v_subrev_u32_e32 v34, 28, v38
	v_lshlrev_b64 v[34:35], v34, v[26:27]
	v_lshrrev_b32_e32 v37, 3, v30
	v_sub_u32_e32 v35, 29, v38
	v_and_b32_e32 v34, 7, v34
	v_cmp_gt_u32_e64 s[2:3], 8, v30
	v_cndmask_b32_e64 v30, v37, v35, s[2:3]
	v_cndmask_b32_e64 v34, v36, v34, s[2:3]
	v_lshlrev_b32_e32 v26, 24, v26
	v_bfrev_b32_e32 v35, 60
	v_lshlrev_b32_e32 v34, 20, v34
	v_and_b32_e32 v26, 0x80000000, v26
	v_lshl_add_u32 v30, v30, 23, v35
	v_or3_b32 v34, v26, v30, v34
.LBB446_276:
	s_or_b64 exec, exec, s[22:23]
.LBB446_277:
	s_or_b64 exec, exec, s[20:21]
.LBB446_278:
	s_or_b64 exec, exec, s[10:11]
	v_mov_b32_e32 v26, v29
	v_cmp_ne_u16_sdwa s[2:3], v29, v27 src0_sel:BYTE_0 src1_sel:DWORD
	s_and_saveexec_b64 s[10:11], s[2:3]
	s_cbranch_execz .LBB446_284
; %bb.279:
	s_movk_i32 s2, 0x80
	v_cmp_ne_u16_sdwa s[2:3], v29, s2 src0_sel:BYTE_0 src1_sel:DWORD
	v_bfrev_b32_e32 v30, 1
	s_and_saveexec_b64 s[20:21], s[2:3]
	s_cbranch_execz .LBB446_283
; %bb.280:
	s_movk_i32 s2, 0x7f
	v_and_b32_e32 v35, 0x7f, v29
	v_cmp_ne_u32_e64 s[2:3], s2, v35
	v_mov_b32_e32 v30, 0x7f800001
	s_and_saveexec_b64 s[22:23], s[2:3]
	s_cbranch_execz .LBB446_282
; %bb.281:
	v_and_b32_e32 v30, 7, v29
	v_ffbh_u32_e32 v30, v30
	v_min_u32_e32 v30, 32, v30
	v_subrev_u32_e32 v37, 28, v30
	v_cmp_gt_u32_e64 s[2:3], 8, v35
	v_lshrrev_b32_e32 v36, 3, v35
	v_sub_u32_e32 v30, 29, v30
	v_cndmask_b32_e64 v35, 0, v37, s[2:3]
	v_cndmask_b32_e64 v30, v36, v30, s[2:3]
	v_lshlrev_b64 v[36:37], v35, v[26:27]
	v_lshlrev_b32_e32 v27, 20, v36
	v_lshlrev_b32_e32 v35, 24, v26
	v_bfrev_b32_e32 v36, 60
	v_and_b32_e32 v27, 0x700000, v27
	v_and_b32_e32 v35, 0x80000000, v35
	v_lshl_add_u32 v30, v30, 23, v36
	v_or3_b32 v30, v35, v30, v27
.LBB446_282:
	s_or_b64 exec, exec, s[22:23]
.LBB446_283:
	s_or_b64 exec, exec, s[20:21]
	v_mov_b32_e32 v27, v30
.LBB446_284:
	s_or_b64 exec, exec, s[10:11]
	v_lshrrev_b16_e32 v30, 8, v26
	v_cmp_ne_u16_e64 s[2:3], 0, v30
	v_mov_b32_e32 v35, 0
	v_mov_b32_e32 v36, 0
	s_and_saveexec_b64 s[10:11], s[2:3]
	s_cbranch_execz .LBB446_290
; %bb.285:
	s_movk_i32 s2, 0x80
	v_cmp_ne_u16_e64 s[2:3], s2, v30
	v_bfrev_b32_e32 v36, 1
	s_and_saveexec_b64 s[20:21], s[2:3]
	s_cbranch_execz .LBB446_289
; %bb.286:
	s_movk_i32 s2, 0x7f
	v_and_b32_e32 v37, 0x7f, v30
	v_cmp_ne_u32_e64 s[2:3], s2, v37
	v_mov_b32_e32 v36, 0x7f800001
	s_and_saveexec_b64 s[22:23], s[2:3]
	s_cbranch_execz .LBB446_288
; %bb.287:
	v_and_b32_e32 v36, 7, v30
	v_ffbh_u32_e32 v38, v36
	v_min_u32_e32 v41, 32, v38
	v_subrev_u32_e32 v38, 28, v41
	v_lshlrev_b64 v[38:39], v38, v[30:31]
	v_lshrrev_b32_e32 v40, 3, v37
	v_sub_u32_e32 v30, 29, v41
	v_and_b32_e32 v38, 7, v38
	v_cmp_gt_u32_e64 s[2:3], 8, v37
	v_cndmask_b32_e64 v30, v40, v30, s[2:3]
	v_cndmask_b32_e64 v36, v36, v38, s[2:3]
	v_lshlrev_b32_e32 v26, 16, v26
	v_bfrev_b32_e32 v37, 60
	v_lshlrev_b32_e32 v36, 20, v36
	v_and_b32_e32 v26, 0x80000000, v26
	v_lshl_add_u32 v30, v30, 23, v37
	v_or3_b32 v36, v26, v30, v36
.LBB446_288:
	s_or_b64 exec, exec, s[22:23]
.LBB446_289:
	s_or_b64 exec, exec, s[20:21]
.LBB446_290:
	s_or_b64 exec, exec, s[10:11]
	s_movk_i32 s2, 0xff
	v_and_b32_sdwa v30, v29, s2 dst_sel:DWORD dst_unused:UNUSED_PAD src0_sel:WORD_1 src1_sel:DWORD
	v_lshrrev_b32_e32 v26, 16, v29
	v_cmp_ne_u16_e64 s[2:3], 0, v30
	s_and_saveexec_b64 s[10:11], s[2:3]
	s_cbranch_execz .LBB446_296
; %bb.291:
	s_movk_i32 s2, 0x80
	v_cmp_ne_u16_e64 s[2:3], s2, v30
	v_bfrev_b32_e32 v35, 1
	s_and_saveexec_b64 s[20:21], s[2:3]
	s_cbranch_execz .LBB446_295
; %bb.292:
	v_bfe_u32 v30, v29, 16, 7
	s_movk_i32 s2, 0x7f
	v_cmp_ne_u32_e64 s[2:3], s2, v30
	v_mov_b32_e32 v35, 0x7f800001
	s_and_saveexec_b64 s[22:23], s[2:3]
	s_cbranch_execz .LBB446_294
; %bb.293:
	v_and_b32_e32 v35, 7, v26
	v_ffbh_u32_e32 v38, v35
	v_min_u32_e32 v40, 32, v38
	v_subrev_u32_e32 v38, 28, v40
	v_lshlrev_b64 v[38:39], v38, v[26:27]
	v_and_b32_e32 v38, 7, v38
	v_cmp_gt_u32_e64 s[2:3], 8, v30
	v_lshrrev_b32_e32 v37, 3, v30
	v_sub_u32_e32 v26, 29, v40
	v_cndmask_b32_e64 v30, v35, v38, s[2:3]
	v_mov_b32_e32 v35, 24
	v_cndmask_b32_e64 v26, v37, v26, s[2:3]
	v_lshlrev_b32_sdwa v35, v35, v29 dst_sel:DWORD dst_unused:UNUSED_PAD src0_sel:DWORD src1_sel:WORD_1
	v_bfrev_b32_e32 v37, 60
	v_lshlrev_b32_e32 v30, 20, v30
	v_and_b32_e32 v35, 0x80000000, v35
	v_lshl_add_u32 v26, v26, 23, v37
	v_or3_b32 v35, v35, v26, v30
.LBB446_294:
	s_or_b64 exec, exec, s[22:23]
.LBB446_295:
	s_or_b64 exec, exec, s[20:21]
.LBB446_296:
	s_or_b64 exec, exec, s[10:11]
	s_mov_b32 s2, -1
	s_mov_b32 s3, 0xffffff
	v_cmp_lt_u64_e64 s[2:3], s[2:3], v[28:29]
	v_mov_b32_e32 v30, 0
	v_mov_b32_e32 v28, 0
	s_and_saveexec_b64 s[10:11], s[2:3]
	s_cbranch_execz .LBB446_302
; %bb.297:
	v_lshrrev_b32_e32 v26, 24, v29
	s_movk_i32 s2, 0x80
	v_cmp_ne_u32_e64 s[2:3], s2, v26
	v_bfrev_b32_e32 v28, 1
	s_and_saveexec_b64 s[20:21], s[2:3]
	s_cbranch_execz .LBB446_301
; %bb.298:
	v_bfe_u32 v29, v29, 24, 7
	s_movk_i32 s2, 0x7f
	v_cmp_ne_u32_e64 s[2:3], s2, v29
	v_mov_b32_e32 v28, 0x7f800001
	s_and_saveexec_b64 s[22:23], s[2:3]
	s_cbranch_execz .LBB446_300
; %bb.299:
	v_and_b32_e32 v28, 7, v26
	v_ffbh_u32_e32 v38, v28
	v_min_u32_e32 v40, 32, v38
	v_subrev_u32_e32 v38, 28, v40
	v_lshlrev_b64 v[38:39], v38, v[26:27]
	v_lshrrev_b32_e32 v37, 3, v29
	v_sub_u32_e32 v39, 29, v40
	v_and_b32_e32 v38, 7, v38
	v_cmp_gt_u32_e64 s[2:3], 8, v29
	v_cndmask_b32_e64 v29, v37, v39, s[2:3]
	v_cndmask_b32_e64 v28, v28, v38, s[2:3]
	v_lshlrev_b32_e32 v26, 24, v26
	v_bfrev_b32_e32 v37, 60
	v_lshlrev_b32_e32 v28, 20, v28
	v_and_b32_e32 v26, 0x80000000, v26
	v_lshl_add_u32 v29, v29, 23, v37
	v_or3_b32 v28, v26, v29, v28
.LBB446_300:
	s_or_b64 exec, exec, s[22:23]
.LBB446_301:
	s_or_b64 exec, exec, s[20:21]
.LBB446_302:
	s_or_b64 exec, exec, s[10:11]
	v_cvt_pkrtz_f16_f32 v32, v32, v33
	v_cvt_pkrtz_f16_f32 v33, v31, v34
	;; [unrolled: 1-line block ×4, first 2 shown]
	v_mfma_f32_4x4x4f16 a[0:3], v[18:19], v[32:33], a[0:3] cbsz:4 abid:5
	s_waitcnt vmcnt(4)
	v_cmp_ne_u16_sdwa s[2:3], v22, v30 src0_sel:BYTE_0 src1_sel:DWORD
	v_mfma_f32_4x4x4f16 a[0:3], v[20:21], v[26:27], a[0:3] cbsz:4 abid:5
	s_and_saveexec_b64 s[10:11], s[2:3]
	s_cbranch_execz .LBB446_308
; %bb.303:
	s_movk_i32 s2, 0x80
	v_cmp_ne_u16_sdwa s[2:3], v22, s2 src0_sel:BYTE_0 src1_sel:DWORD
	v_bfrev_b32_e32 v30, 1
	s_and_saveexec_b64 s[20:21], s[2:3]
	s_cbranch_execz .LBB446_307
; %bb.304:
	s_movk_i32 s2, 0x7f
	v_and_b32_e32 v26, 0x7f, v22
	v_cmp_ne_u32_e64 s[2:3], s2, v26
	v_mov_b32_e32 v30, 0x7f800001
	s_and_saveexec_b64 s[22:23], s[2:3]
	s_cbranch_execz .LBB446_306
; %bb.305:
	v_and_b32_e32 v27, 7, v22
	v_ffbh_u32_e32 v27, v27
	v_min_u32_e32 v27, 32, v27
	v_subrev_u32_e32 v29, 28, v27
	v_cmp_gt_u32_e64 s[2:3], 8, v26
	v_lshrrev_b32_e32 v28, 3, v26
	v_sub_u32_e32 v27, 29, v27
	v_cndmask_b32_e64 v26, 0, v29, s[2:3]
	v_cndmask_b32_e64 v28, v28, v27, s[2:3]
	v_lshlrev_b64 v[26:27], v26, v[22:23]
	v_lshlrev_b32_e32 v26, 20, v26
	v_lshlrev_b32_e32 v27, 24, v22
	v_bfrev_b32_e32 v29, 60
	v_and_b32_e32 v26, 0x700000, v26
	v_and_b32_e32 v27, 0x80000000, v27
	v_lshl_add_u32 v28, v28, 23, v29
	v_or3_b32 v30, v27, v28, v26
.LBB446_306:
	s_or_b64 exec, exec, s[22:23]
.LBB446_307:
	s_or_b64 exec, exec, s[20:21]
.LBB446_308:
	s_or_b64 exec, exec, s[10:11]
	v_lshrrev_b16_e32 v26, 8, v22
	v_cmp_ne_u16_e64 s[2:3], 0, v26
	v_mov_b32_e32 v29, 0
	v_mov_b32_e32 v31, 0
	s_and_saveexec_b64 s[10:11], s[2:3]
	s_cbranch_execz .LBB446_314
; %bb.309:
	s_movk_i32 s2, 0x80
	v_cmp_ne_u16_e64 s[2:3], s2, v26
	v_bfrev_b32_e32 v31, 1
	s_and_saveexec_b64 s[20:21], s[2:3]
	s_cbranch_execz .LBB446_313
; %bb.310:
	s_movk_i32 s2, 0x7f
	v_and_b32_e32 v27, 0x7f, v26
	v_cmp_ne_u32_e64 s[2:3], s2, v27
	v_mov_b32_e32 v31, 0x7f800001
	s_and_saveexec_b64 s[22:23], s[2:3]
	s_cbranch_execz .LBB446_312
; %bb.311:
	v_and_b32_e32 v28, 7, v26
	v_ffbh_u32_e32 v32, v28
	v_min_u32_e32 v34, 32, v32
	v_subrev_u32_e32 v32, 28, v34
	v_lshlrev_b64 v[32:33], v32, v[26:27]
	v_lshrrev_b32_e32 v31, 3, v27
	v_sub_u32_e32 v26, 29, v34
	v_and_b32_e32 v32, 7, v32
	v_cmp_gt_u32_e64 s[2:3], 8, v27
	v_cndmask_b32_e64 v26, v31, v26, s[2:3]
	v_cndmask_b32_e64 v27, v28, v32, s[2:3]
	v_lshlrev_b32_e32 v28, 16, v22
	v_bfrev_b32_e32 v31, 60
	v_lshlrev_b32_e32 v27, 20, v27
	v_and_b32_e32 v28, 0x80000000, v28
	v_lshl_add_u32 v26, v26, 23, v31
	v_or3_b32 v31, v28, v26, v27
.LBB446_312:
	s_or_b64 exec, exec, s[22:23]
.LBB446_313:
	s_or_b64 exec, exec, s[20:21]
.LBB446_314:
	s_or_b64 exec, exec, s[10:11]
	s_movk_i32 s2, 0xff
	v_and_b32_sdwa v27, v22, s2 dst_sel:DWORD dst_unused:UNUSED_PAD src0_sel:WORD_1 src1_sel:DWORD
	v_lshrrev_b32_e32 v26, 16, v22
	v_cmp_ne_u16_e64 s[2:3], 0, v27
	s_and_saveexec_b64 s[10:11], s[2:3]
	s_cbranch_execz .LBB446_320
; %bb.315:
	s_movk_i32 s2, 0x80
	v_cmp_ne_u16_e64 s[2:3], s2, v27
	v_bfrev_b32_e32 v29, 1
	s_and_saveexec_b64 s[20:21], s[2:3]
	s_cbranch_execz .LBB446_319
; %bb.316:
	v_bfe_u32 v27, v22, 16, 7
	s_movk_i32 s2, 0x7f
	v_cmp_ne_u32_e64 s[2:3], s2, v27
	v_mov_b32_e32 v29, 0x7f800001
	s_and_saveexec_b64 s[22:23], s[2:3]
	s_cbranch_execz .LBB446_318
; %bb.317:
	v_and_b32_e32 v32, 7, v26
	v_ffbh_u32_e32 v28, v32
	v_min_u32_e32 v34, 32, v28
	v_subrev_u32_e32 v28, 28, v34
	v_lshlrev_b64 v[28:29], v28, v[26:27]
	v_and_b32_e32 v28, 7, v28
	v_cmp_gt_u32_e64 s[2:3], 8, v27
	v_lshrrev_b32_e32 v33, 3, v27
	v_sub_u32_e32 v26, 29, v34
	v_cndmask_b32_e64 v27, v32, v28, s[2:3]
	v_mov_b32_e32 v28, 24
	v_cndmask_b32_e64 v26, v33, v26, s[2:3]
	v_lshlrev_b32_sdwa v28, v28, v22 dst_sel:DWORD dst_unused:UNUSED_PAD src0_sel:DWORD src1_sel:WORD_1
	v_bfrev_b32_e32 v29, 60
	v_lshlrev_b32_e32 v27, 20, v27
	v_and_b32_e32 v28, 0x80000000, v28
	v_lshl_add_u32 v26, v26, 23, v29
	v_or3_b32 v29, v28, v26, v27
.LBB446_318:
	s_or_b64 exec, exec, s[22:23]
.LBB446_319:
	s_or_b64 exec, exec, s[20:21]
.LBB446_320:
	s_or_b64 exec, exec, s[10:11]
	s_mov_b32 s2, 0xffffff
	v_cmp_lt_u32_e64 s[2:3], s2, v22
	v_mov_b32_e32 v27, 0
	v_mov_b32_e32 v32, 0
	s_and_saveexec_b64 s[10:11], s[2:3]
	s_cbranch_execz .LBB446_326
; %bb.321:
	v_lshrrev_b32_e32 v26, 24, v22
	s_movk_i32 s2, 0x80
	v_cmp_ne_u32_e64 s[2:3], s2, v26
	v_bfrev_b32_e32 v32, 1
	s_and_saveexec_b64 s[20:21], s[2:3]
	s_cbranch_execz .LBB446_325
; %bb.322:
	v_bfe_u32 v28, v22, 24, 7
	s_movk_i32 s2, 0x7f
	v_cmp_ne_u32_e64 s[2:3], s2, v28
	v_mov_b32_e32 v32, 0x7f800001
	s_and_saveexec_b64 s[22:23], s[2:3]
	s_cbranch_execz .LBB446_324
; %bb.323:
	v_and_b32_e32 v34, 7, v26
	v_ffbh_u32_e32 v32, v34
	v_min_u32_e32 v36, 32, v32
	v_subrev_u32_e32 v32, 28, v36
	v_lshlrev_b64 v[32:33], v32, v[26:27]
	v_lshrrev_b32_e32 v35, 3, v28
	v_sub_u32_e32 v33, 29, v36
	v_and_b32_e32 v32, 7, v32
	v_cmp_gt_u32_e64 s[2:3], 8, v28
	v_cndmask_b32_e64 v28, v35, v33, s[2:3]
	v_cndmask_b32_e64 v32, v34, v32, s[2:3]
	v_lshlrev_b32_e32 v26, 24, v26
	v_bfrev_b32_e32 v33, 60
	v_lshlrev_b32_e32 v32, 20, v32
	v_and_b32_e32 v26, 0x80000000, v26
	v_lshl_add_u32 v28, v28, 23, v33
	v_or3_b32 v32, v26, v28, v32
.LBB446_324:
	s_or_b64 exec, exec, s[22:23]
.LBB446_325:
	s_or_b64 exec, exec, s[20:21]
.LBB446_326:
	s_or_b64 exec, exec, s[10:11]
	v_mov_b32_e32 v26, v23
	v_cmp_ne_u16_sdwa s[2:3], v23, v27 src0_sel:BYTE_0 src1_sel:DWORD
	s_and_saveexec_b64 s[10:11], s[2:3]
	s_cbranch_execz .LBB446_332
; %bb.327:
	s_movk_i32 s2, 0x80
	v_cmp_ne_u16_sdwa s[2:3], v23, s2 src0_sel:BYTE_0 src1_sel:DWORD
	v_bfrev_b32_e32 v28, 1
	s_and_saveexec_b64 s[20:21], s[2:3]
	s_cbranch_execz .LBB446_331
; %bb.328:
	s_movk_i32 s2, 0x7f
	v_and_b32_e32 v33, 0x7f, v23
	v_cmp_ne_u32_e64 s[2:3], s2, v33
	v_mov_b32_e32 v28, 0x7f800001
	s_and_saveexec_b64 s[22:23], s[2:3]
	s_cbranch_execz .LBB446_330
; %bb.329:
	v_and_b32_e32 v28, 7, v23
	v_ffbh_u32_e32 v28, v28
	v_min_u32_e32 v28, 32, v28
	v_subrev_u32_e32 v35, 28, v28
	v_cmp_gt_u32_e64 s[2:3], 8, v33
	v_lshrrev_b32_e32 v34, 3, v33
	v_sub_u32_e32 v28, 29, v28
	v_cndmask_b32_e64 v33, 0, v35, s[2:3]
	v_cndmask_b32_e64 v28, v34, v28, s[2:3]
	v_lshlrev_b64 v[34:35], v33, v[26:27]
	v_lshlrev_b32_e32 v27, 20, v34
	v_lshlrev_b32_e32 v33, 24, v26
	v_bfrev_b32_e32 v34, 60
	v_and_b32_e32 v27, 0x700000, v27
	v_and_b32_e32 v33, 0x80000000, v33
	v_lshl_add_u32 v28, v28, 23, v34
	v_or3_b32 v28, v33, v28, v27
.LBB446_330:
	s_or_b64 exec, exec, s[22:23]
.LBB446_331:
	s_or_b64 exec, exec, s[20:21]
	v_mov_b32_e32 v27, v28
.LBB446_332:
	s_or_b64 exec, exec, s[10:11]
	v_lshrrev_b16_e32 v28, 8, v26
	v_cmp_ne_u16_e64 s[2:3], 0, v28
	v_mov_b32_e32 v33, 0
	v_mov_b32_e32 v34, 0
	s_and_saveexec_b64 s[10:11], s[2:3]
	s_cbranch_execz .LBB446_338
; %bb.333:
	s_movk_i32 s2, 0x80
	v_cmp_ne_u16_e64 s[2:3], s2, v28
	v_bfrev_b32_e32 v34, 1
	s_and_saveexec_b64 s[20:21], s[2:3]
	s_cbranch_execz .LBB446_337
; %bb.334:
	s_movk_i32 s2, 0x7f
	v_and_b32_e32 v35, 0x7f, v28
	v_cmp_ne_u32_e64 s[2:3], s2, v35
	v_mov_b32_e32 v34, 0x7f800001
	s_and_saveexec_b64 s[22:23], s[2:3]
	s_cbranch_execz .LBB446_336
; %bb.335:
	v_and_b32_e32 v34, 7, v28
	v_ffbh_u32_e32 v36, v34
	v_min_u32_e32 v39, 32, v36
	v_subrev_u32_e32 v36, 28, v39
	v_lshlrev_b64 v[36:37], v36, v[28:29]
	v_lshrrev_b32_e32 v38, 3, v35
	v_sub_u32_e32 v28, 29, v39
	v_and_b32_e32 v36, 7, v36
	v_cmp_gt_u32_e64 s[2:3], 8, v35
	v_cndmask_b32_e64 v28, v38, v28, s[2:3]
	v_cndmask_b32_e64 v34, v34, v36, s[2:3]
	v_lshlrev_b32_e32 v26, 16, v26
	v_bfrev_b32_e32 v35, 60
	v_lshlrev_b32_e32 v34, 20, v34
	v_and_b32_e32 v26, 0x80000000, v26
	v_lshl_add_u32 v28, v28, 23, v35
	v_or3_b32 v34, v26, v28, v34
.LBB446_336:
	s_or_b64 exec, exec, s[22:23]
.LBB446_337:
	s_or_b64 exec, exec, s[20:21]
.LBB446_338:
	s_or_b64 exec, exec, s[10:11]
	s_movk_i32 s2, 0xff
	v_and_b32_sdwa v28, v23, s2 dst_sel:DWORD dst_unused:UNUSED_PAD src0_sel:WORD_1 src1_sel:DWORD
	v_lshrrev_b32_e32 v26, 16, v23
	v_cmp_ne_u16_e64 s[2:3], 0, v28
	s_and_saveexec_b64 s[10:11], s[2:3]
	s_cbranch_execz .LBB446_344
; %bb.339:
	s_movk_i32 s2, 0x80
	v_cmp_ne_u16_e64 s[2:3], s2, v28
	v_bfrev_b32_e32 v33, 1
	s_and_saveexec_b64 s[20:21], s[2:3]
	s_cbranch_execz .LBB446_343
; %bb.340:
	v_bfe_u32 v28, v23, 16, 7
	s_movk_i32 s2, 0x7f
	v_cmp_ne_u32_e64 s[2:3], s2, v28
	v_mov_b32_e32 v33, 0x7f800001
	s_and_saveexec_b64 s[22:23], s[2:3]
	s_cbranch_execz .LBB446_342
; %bb.341:
	v_and_b32_e32 v33, 7, v26
	v_ffbh_u32_e32 v36, v33
	v_min_u32_e32 v38, 32, v36
	v_subrev_u32_e32 v36, 28, v38
	v_lshlrev_b64 v[36:37], v36, v[26:27]
	v_and_b32_e32 v36, 7, v36
	v_cmp_gt_u32_e64 s[2:3], 8, v28
	v_lshrrev_b32_e32 v35, 3, v28
	v_sub_u32_e32 v26, 29, v38
	v_cndmask_b32_e64 v28, v33, v36, s[2:3]
	v_mov_b32_e32 v33, 24
	v_cndmask_b32_e64 v26, v35, v26, s[2:3]
	v_lshlrev_b32_sdwa v33, v33, v23 dst_sel:DWORD dst_unused:UNUSED_PAD src0_sel:DWORD src1_sel:WORD_1
	v_bfrev_b32_e32 v35, 60
	v_lshlrev_b32_e32 v28, 20, v28
	v_and_b32_e32 v33, 0x80000000, v33
	v_lshl_add_u32 v26, v26, 23, v35
	v_or3_b32 v33, v33, v26, v28
.LBB446_342:
	s_or_b64 exec, exec, s[22:23]
.LBB446_343:
	s_or_b64 exec, exec, s[20:21]
.LBB446_344:
	s_or_b64 exec, exec, s[10:11]
	s_mov_b32 s2, -1
	s_mov_b32 s3, 0xffffff
	v_cmp_lt_u64_e64 s[2:3], s[2:3], v[22:23]
	v_mov_b32_e32 v28, 0
	v_mov_b32_e32 v26, 0
	s_and_saveexec_b64 s[10:11], s[2:3]
	s_cbranch_execz .LBB446_350
; %bb.345:
	v_lshrrev_b32_e32 v22, 24, v23
	s_movk_i32 s2, 0x80
	v_cmp_ne_u32_e64 s[2:3], s2, v22
	v_bfrev_b32_e32 v26, 1
	s_and_saveexec_b64 s[20:21], s[2:3]
	s_cbranch_execz .LBB446_349
; %bb.346:
	v_bfe_u32 v23, v23, 24, 7
	s_movk_i32 s2, 0x7f
	v_cmp_ne_u32_e64 s[2:3], s2, v23
	v_mov_b32_e32 v26, 0x7f800001
	s_and_saveexec_b64 s[22:23], s[2:3]
	s_cbranch_execz .LBB446_348
; %bb.347:
	v_and_b32_e32 v26, 7, v22
	v_ffbh_u32_e32 v36, v26
	v_min_u32_e32 v38, 32, v36
	v_subrev_u32_e32 v36, 28, v38
	v_lshlrev_b64 v[36:37], v36, v[22:23]
	v_lshrrev_b32_e32 v35, 3, v23
	v_sub_u32_e32 v37, 29, v38
	v_and_b32_e32 v36, 7, v36
	v_cmp_gt_u32_e64 s[2:3], 8, v23
	v_cndmask_b32_e64 v23, v35, v37, s[2:3]
	v_cndmask_b32_e64 v26, v26, v36, s[2:3]
	v_lshlrev_b32_e32 v22, 24, v22
	v_bfrev_b32_e32 v35, 60
	v_lshlrev_b32_e32 v26, 20, v26
	v_and_b32_e32 v22, 0x80000000, v22
	v_lshl_add_u32 v23, v23, 23, v35
	v_or3_b32 v26, v22, v23, v26
.LBB446_348:
	s_or_b64 exec, exec, s[22:23]
.LBB446_349:
	s_or_b64 exec, exec, s[20:21]
.LBB446_350:
	s_or_b64 exec, exec, s[10:11]
	v_cvt_pkrtz_f16_f32 v22, v30, v31
	v_cvt_pkrtz_f16_f32 v23, v29, v32
	;; [unrolled: 1-line block ×4, first 2 shown]
	v_mfma_f32_4x4x4f16 a[0:3], v[18:19], v[22:23], a[0:3] cbsz:4 abid:6
	v_cmp_ne_u16_sdwa s[2:3], v24, v28 src0_sel:BYTE_0 src1_sel:DWORD
	v_mfma_f32_4x4x4f16 a[0:3], v[20:21], v[30:31], a[0:3] cbsz:4 abid:6
	s_and_saveexec_b64 s[10:11], s[2:3]
	s_cbranch_execz .LBB446_356
; %bb.351:
	s_movk_i32 s2, 0x80
	v_cmp_ne_u16_sdwa s[2:3], v24, s2 src0_sel:BYTE_0 src1_sel:DWORD
	v_bfrev_b32_e32 v28, 1
	s_and_saveexec_b64 s[20:21], s[2:3]
	s_cbranch_execz .LBB446_355
; %bb.352:
	s_movk_i32 s2, 0x7f
	v_and_b32_e32 v22, 0x7f, v24
	v_cmp_ne_u32_e64 s[2:3], s2, v22
	v_mov_b32_e32 v28, 0x7f800001
	s_and_saveexec_b64 s[22:23], s[2:3]
	s_cbranch_execz .LBB446_354
; %bb.353:
	v_and_b32_e32 v23, 7, v24
	v_ffbh_u32_e32 v23, v23
	v_min_u32_e32 v23, 32, v23
	v_subrev_u32_e32 v27, 28, v23
	v_cmp_gt_u32_e64 s[2:3], 8, v22
	v_lshrrev_b32_e32 v26, 3, v22
	v_sub_u32_e32 v23, 29, v23
	v_cndmask_b32_e64 v22, 0, v27, s[2:3]
	v_cndmask_b32_e64 v26, v26, v23, s[2:3]
	v_lshlrev_b64 v[22:23], v22, v[24:25]
	v_lshlrev_b32_e32 v22, 20, v22
	v_lshlrev_b32_e32 v23, 24, v24
	v_bfrev_b32_e32 v27, 60
	v_and_b32_e32 v22, 0x700000, v22
	v_and_b32_e32 v23, 0x80000000, v23
	v_lshl_add_u32 v26, v26, 23, v27
	v_or3_b32 v28, v23, v26, v22
.LBB446_354:
	s_or_b64 exec, exec, s[22:23]
.LBB446_355:
	s_or_b64 exec, exec, s[20:21]
.LBB446_356:
	s_or_b64 exec, exec, s[10:11]
	v_lshrrev_b16_e32 v22, 8, v24
	v_cmp_ne_u16_e64 s[2:3], 0, v22
	v_mov_b32_e32 v27, 0
	v_mov_b32_e32 v29, 0
	s_and_saveexec_b64 s[10:11], s[2:3]
	s_cbranch_execz .LBB446_362
; %bb.357:
	s_movk_i32 s2, 0x80
	v_cmp_ne_u16_e64 s[2:3], s2, v22
	v_bfrev_b32_e32 v29, 1
	s_and_saveexec_b64 s[20:21], s[2:3]
	s_cbranch_execz .LBB446_361
; %bb.358:
	s_movk_i32 s2, 0x7f
	v_and_b32_e32 v23, 0x7f, v22
	v_cmp_ne_u32_e64 s[2:3], s2, v23
	v_mov_b32_e32 v29, 0x7f800001
	s_and_saveexec_b64 s[22:23], s[2:3]
	s_cbranch_execz .LBB446_360
; %bb.359:
	v_and_b32_e32 v26, 7, v22
	v_ffbh_u32_e32 v30, v26
	v_min_u32_e32 v32, 32, v30
	v_subrev_u32_e32 v30, 28, v32
	v_lshlrev_b64 v[30:31], v30, v[22:23]
	v_lshrrev_b32_e32 v29, 3, v23
	v_sub_u32_e32 v22, 29, v32
	v_and_b32_e32 v30, 7, v30
	v_cmp_gt_u32_e64 s[2:3], 8, v23
	v_cndmask_b32_e64 v22, v29, v22, s[2:3]
	v_cndmask_b32_e64 v23, v26, v30, s[2:3]
	v_lshlrev_b32_e32 v26, 16, v24
	v_bfrev_b32_e32 v29, 60
	v_lshlrev_b32_e32 v23, 20, v23
	v_and_b32_e32 v26, 0x80000000, v26
	v_lshl_add_u32 v22, v22, 23, v29
	v_or3_b32 v29, v26, v22, v23
.LBB446_360:
	s_or_b64 exec, exec, s[22:23]
.LBB446_361:
	s_or_b64 exec, exec, s[20:21]
.LBB446_362:
	s_or_b64 exec, exec, s[10:11]
	s_movk_i32 s2, 0xff
	v_and_b32_sdwa v23, v24, s2 dst_sel:DWORD dst_unused:UNUSED_PAD src0_sel:WORD_1 src1_sel:DWORD
	v_lshrrev_b32_e32 v22, 16, v24
	v_cmp_ne_u16_e64 s[2:3], 0, v23
	s_and_saveexec_b64 s[10:11], s[2:3]
	s_cbranch_execz .LBB446_368
; %bb.363:
	s_movk_i32 s2, 0x80
	v_cmp_ne_u16_e64 s[2:3], s2, v23
	v_bfrev_b32_e32 v27, 1
	s_and_saveexec_b64 s[20:21], s[2:3]
	s_cbranch_execz .LBB446_367
; %bb.364:
	v_bfe_u32 v23, v24, 16, 7
	s_movk_i32 s2, 0x7f
	v_cmp_ne_u32_e64 s[2:3], s2, v23
	v_mov_b32_e32 v27, 0x7f800001
	s_and_saveexec_b64 s[22:23], s[2:3]
	s_cbranch_execz .LBB446_366
; %bb.365:
	v_and_b32_e32 v30, 7, v22
	v_ffbh_u32_e32 v26, v30
	v_min_u32_e32 v32, 32, v26
	v_subrev_u32_e32 v26, 28, v32
	v_lshlrev_b64 v[26:27], v26, v[22:23]
	v_and_b32_e32 v26, 7, v26
	v_cmp_gt_u32_e64 s[2:3], 8, v23
	v_lshrrev_b32_e32 v31, 3, v23
	v_sub_u32_e32 v22, 29, v32
	v_cndmask_b32_e64 v23, v30, v26, s[2:3]
	v_mov_b32_e32 v26, 24
	v_cndmask_b32_e64 v22, v31, v22, s[2:3]
	v_lshlrev_b32_sdwa v26, v26, v24 dst_sel:DWORD dst_unused:UNUSED_PAD src0_sel:DWORD src1_sel:WORD_1
	v_bfrev_b32_e32 v27, 60
	v_lshlrev_b32_e32 v23, 20, v23
	v_and_b32_e32 v26, 0x80000000, v26
	v_lshl_add_u32 v22, v22, 23, v27
	v_or3_b32 v27, v26, v22, v23
.LBB446_366:
	s_or_b64 exec, exec, s[22:23]
.LBB446_367:
	s_or_b64 exec, exec, s[20:21]
.LBB446_368:
	s_or_b64 exec, exec, s[10:11]
	s_mov_b32 s2, 0xffffff
	v_cmp_lt_u32_e64 s[2:3], s2, v24
	v_mov_b32_e32 v23, 0
	v_mov_b32_e32 v30, 0
	s_and_saveexec_b64 s[10:11], s[2:3]
	s_cbranch_execz .LBB446_374
; %bb.369:
	v_lshrrev_b32_e32 v22, 24, v24
	s_movk_i32 s2, 0x80
	v_cmp_ne_u32_e64 s[2:3], s2, v22
	v_bfrev_b32_e32 v30, 1
	s_and_saveexec_b64 s[20:21], s[2:3]
	s_cbranch_execz .LBB446_373
; %bb.370:
	v_bfe_u32 v26, v24, 24, 7
	s_movk_i32 s2, 0x7f
	v_cmp_ne_u32_e64 s[2:3], s2, v26
	v_mov_b32_e32 v30, 0x7f800001
	s_and_saveexec_b64 s[22:23], s[2:3]
	s_cbranch_execz .LBB446_372
; %bb.371:
	v_and_b32_e32 v32, 7, v22
	v_ffbh_u32_e32 v30, v32
	v_min_u32_e32 v34, 32, v30
	v_subrev_u32_e32 v30, 28, v34
	v_lshlrev_b64 v[30:31], v30, v[22:23]
	v_lshrrev_b32_e32 v33, 3, v26
	v_sub_u32_e32 v31, 29, v34
	v_and_b32_e32 v30, 7, v30
	v_cmp_gt_u32_e64 s[2:3], 8, v26
	v_cndmask_b32_e64 v26, v33, v31, s[2:3]
	v_cndmask_b32_e64 v30, v32, v30, s[2:3]
	v_lshlrev_b32_e32 v22, 24, v22
	v_bfrev_b32_e32 v31, 60
	v_lshlrev_b32_e32 v30, 20, v30
	v_and_b32_e32 v22, 0x80000000, v22
	v_lshl_add_u32 v26, v26, 23, v31
	v_or3_b32 v30, v22, v26, v30
.LBB446_372:
	s_or_b64 exec, exec, s[22:23]
.LBB446_373:
	s_or_b64 exec, exec, s[20:21]
.LBB446_374:
	s_or_b64 exec, exec, s[10:11]
	v_mov_b32_e32 v22, v25
	v_cmp_ne_u16_sdwa s[2:3], v25, v23 src0_sel:BYTE_0 src1_sel:DWORD
	s_and_saveexec_b64 s[10:11], s[2:3]
	s_cbranch_execz .LBB446_380
; %bb.375:
	s_movk_i32 s2, 0x80
	v_cmp_ne_u16_sdwa s[2:3], v25, s2 src0_sel:BYTE_0 src1_sel:DWORD
	v_bfrev_b32_e32 v26, 1
	s_and_saveexec_b64 s[20:21], s[2:3]
	s_cbranch_execz .LBB446_379
; %bb.376:
	s_movk_i32 s2, 0x7f
	v_and_b32_e32 v31, 0x7f, v25
	v_cmp_ne_u32_e64 s[2:3], s2, v31
	v_mov_b32_e32 v26, 0x7f800001
	s_and_saveexec_b64 s[22:23], s[2:3]
	s_cbranch_execz .LBB446_378
; %bb.377:
	v_and_b32_e32 v26, 7, v25
	v_ffbh_u32_e32 v26, v26
	v_min_u32_e32 v26, 32, v26
	v_subrev_u32_e32 v33, 28, v26
	v_cmp_gt_u32_e64 s[2:3], 8, v31
	v_lshrrev_b32_e32 v32, 3, v31
	v_sub_u32_e32 v26, 29, v26
	v_cndmask_b32_e64 v31, 0, v33, s[2:3]
	v_cndmask_b32_e64 v26, v32, v26, s[2:3]
	v_lshlrev_b64 v[32:33], v31, v[22:23]
	v_lshlrev_b32_e32 v23, 20, v32
	v_lshlrev_b32_e32 v31, 24, v22
	v_bfrev_b32_e32 v32, 60
	v_and_b32_e32 v23, 0x700000, v23
	v_and_b32_e32 v31, 0x80000000, v31
	v_lshl_add_u32 v26, v26, 23, v32
	v_or3_b32 v26, v31, v26, v23
.LBB446_378:
	s_or_b64 exec, exec, s[22:23]
.LBB446_379:
	s_or_b64 exec, exec, s[20:21]
	v_mov_b32_e32 v23, v26
.LBB446_380:
	s_or_b64 exec, exec, s[10:11]
	v_lshrrev_b16_e32 v26, 8, v22
	v_cmp_ne_u16_e64 s[2:3], 0, v26
	v_mov_b32_e32 v31, 0
	v_mov_b32_e32 v32, 0
	s_and_saveexec_b64 s[10:11], s[2:3]
	s_cbranch_execz .LBB446_386
; %bb.381:
	s_movk_i32 s2, 0x80
	v_cmp_ne_u16_e64 s[2:3], s2, v26
	v_bfrev_b32_e32 v32, 1
	s_and_saveexec_b64 s[20:21], s[2:3]
	s_cbranch_execz .LBB446_385
; %bb.382:
	s_movk_i32 s2, 0x7f
	v_and_b32_e32 v33, 0x7f, v26
	v_cmp_ne_u32_e64 s[2:3], s2, v33
	v_mov_b32_e32 v32, 0x7f800001
	s_and_saveexec_b64 s[22:23], s[2:3]
	s_cbranch_execz .LBB446_384
; %bb.383:
	v_and_b32_e32 v32, 7, v26
	v_ffbh_u32_e32 v34, v32
	v_min_u32_e32 v37, 32, v34
	v_subrev_u32_e32 v34, 28, v37
	v_lshlrev_b64 v[34:35], v34, v[26:27]
	v_lshrrev_b32_e32 v36, 3, v33
	v_sub_u32_e32 v26, 29, v37
	v_and_b32_e32 v34, 7, v34
	v_cmp_gt_u32_e64 s[2:3], 8, v33
	v_cndmask_b32_e64 v26, v36, v26, s[2:3]
	v_cndmask_b32_e64 v32, v32, v34, s[2:3]
	v_lshlrev_b32_e32 v22, 16, v22
	v_bfrev_b32_e32 v33, 60
	v_lshlrev_b32_e32 v32, 20, v32
	v_and_b32_e32 v22, 0x80000000, v22
	v_lshl_add_u32 v26, v26, 23, v33
	v_or3_b32 v32, v22, v26, v32
.LBB446_384:
	s_or_b64 exec, exec, s[22:23]
.LBB446_385:
	s_or_b64 exec, exec, s[20:21]
.LBB446_386:
	s_or_b64 exec, exec, s[10:11]
	s_movk_i32 s2, 0xff
	v_and_b32_sdwa v26, v25, s2 dst_sel:DWORD dst_unused:UNUSED_PAD src0_sel:WORD_1 src1_sel:DWORD
	v_lshrrev_b32_e32 v22, 16, v25
	v_cmp_ne_u16_e64 s[2:3], 0, v26
	s_and_saveexec_b64 s[10:11], s[2:3]
	s_cbranch_execz .LBB446_392
; %bb.387:
	s_movk_i32 s2, 0x80
	v_cmp_ne_u16_e64 s[2:3], s2, v26
	v_bfrev_b32_e32 v31, 1
	s_and_saveexec_b64 s[20:21], s[2:3]
	s_cbranch_execz .LBB446_391
; %bb.388:
	v_bfe_u32 v26, v25, 16, 7
	s_movk_i32 s2, 0x7f
	v_cmp_ne_u32_e64 s[2:3], s2, v26
	v_mov_b32_e32 v31, 0x7f800001
	s_and_saveexec_b64 s[22:23], s[2:3]
	s_cbranch_execz .LBB446_390
; %bb.389:
	v_and_b32_e32 v31, 7, v22
	v_ffbh_u32_e32 v34, v31
	v_min_u32_e32 v36, 32, v34
	v_subrev_u32_e32 v34, 28, v36
	v_lshlrev_b64 v[34:35], v34, v[22:23]
	v_and_b32_e32 v34, 7, v34
	v_cmp_gt_u32_e64 s[2:3], 8, v26
	v_lshrrev_b32_e32 v33, 3, v26
	v_sub_u32_e32 v22, 29, v36
	v_cndmask_b32_e64 v26, v31, v34, s[2:3]
	v_mov_b32_e32 v31, 24
	v_cndmask_b32_e64 v22, v33, v22, s[2:3]
	v_lshlrev_b32_sdwa v31, v31, v25 dst_sel:DWORD dst_unused:UNUSED_PAD src0_sel:DWORD src1_sel:WORD_1
	v_bfrev_b32_e32 v33, 60
	v_lshlrev_b32_e32 v26, 20, v26
	v_and_b32_e32 v31, 0x80000000, v31
	v_lshl_add_u32 v22, v22, 23, v33
	v_or3_b32 v31, v31, v22, v26
.LBB446_390:
	s_or_b64 exec, exec, s[22:23]
.LBB446_391:
	s_or_b64 exec, exec, s[20:21]
.LBB446_392:
	s_or_b64 exec, exec, s[10:11]
	s_mov_b32 s2, -1
	s_mov_b32 s3, 0xffffff
	v_cmp_lt_u64_e64 s[2:3], s[2:3], v[24:25]
	v_mov_b32_e32 v24, 0
	s_and_saveexec_b64 s[10:11], s[2:3]
	s_cbranch_execz .LBB446_398
; %bb.393:
	v_lshrrev_b32_e32 v22, 24, v25
	s_movk_i32 s2, 0x80
	v_cmp_ne_u32_e64 s[2:3], s2, v22
	v_bfrev_b32_e32 v24, 1
	s_and_saveexec_b64 s[20:21], s[2:3]
	s_cbranch_execz .LBB446_397
; %bb.394:
	v_bfe_u32 v25, v25, 24, 7
	s_movk_i32 s2, 0x7f
	v_cmp_ne_u32_e64 s[2:3], s2, v25
	v_mov_b32_e32 v24, 0x7f800001
	s_and_saveexec_b64 s[22:23], s[2:3]
	s_cbranch_execz .LBB446_396
; %bb.395:
	v_and_b32_e32 v24, 7, v22
	v_ffbh_u32_e32 v33, v24
	v_min_u32_e32 v33, 32, v33
	v_subrev_u32_e32 v34, 28, v33
	v_lshlrev_b64 v[34:35], v34, v[22:23]
	v_lshrrev_b32_e32 v26, 3, v25
	v_sub_u32_e32 v33, 29, v33
	v_and_b32_e32 v34, 7, v34
	v_cmp_gt_u32_e64 s[2:3], 8, v25
	v_cndmask_b32_e64 v25, v26, v33, s[2:3]
	v_cndmask_b32_e64 v24, v24, v34, s[2:3]
	v_lshlrev_b32_e32 v22, 24, v22
	v_bfrev_b32_e32 v26, 60
	v_lshlrev_b32_e32 v24, 20, v24
	v_and_b32_e32 v22, 0x80000000, v22
	v_lshl_add_u32 v25, v25, 23, v26
	v_or3_b32 v24, v22, v25, v24
.LBB446_396:
	s_or_b64 exec, exec, s[22:23]
.LBB446_397:
	s_or_b64 exec, exec, s[20:21]
.LBB446_398:
	s_or_b64 exec, exec, s[10:11]
	s_load_dword s2, s[4:5], 0x1c
	v_cvt_pkrtz_f16_f32 v26, v28, v29
	v_cvt_pkrtz_f16_f32 v27, v27, v30
	s_load_dword s3, s[12:13], 0x0
	v_cvt_pkrtz_f16_f32 v22, v23, v32
	v_mfma_f32_4x4x4f16 a[0:3], v[18:19], v[26:27], a[0:3] cbsz:4 abid:7
	v_cvt_pkrtz_f16_f32 v23, v31, v24
	s_waitcnt lgkmcnt(0)
	v_mov_b32_e32 v18, s2
	v_mul_f32_e32 v18, s3, v18
	v_mfma_f32_4x4x4f16 a[0:3], v[20:21], v[22:23], a[0:3] cbsz:4 abid:7
	s_nop 4
	v_accvgpr_read_b32 v21, a1
	v_accvgpr_read_b32 v20, a0
	v_pk_mul_f32 v[20:21], v[20:21], v[18:19] op_sel_hi:[1,0]
	v_accvgpr_read_b32 v23, a3
	v_accvgpr_read_b32 v22, a2
	v_pk_mul_f32 v[18:19], v[22:23], v[18:19] op_sel_hi:[1,0]
	v_cndmask_b32_e64 v22, 0, 1.0, vcc
	v_cmp_eq_u32_e32 vcc, 1, v43
	s_nop 0
	v_mfma_f32_4x4x1f32 a[0:3], v20, v22, 0
	v_cndmask_b32_e64 v20, 0, 1.0, vcc
	v_cmp_eq_u32_e32 vcc, 2, v43
	v_mov_b32_e32 v22, 0xff7fffff
	v_mfma_f32_4x4x1f32 a[0:3], v21, v20, a[0:3]
	v_cndmask_b32_e64 v20, 0, 1.0, vcc
	v_cmp_eq_u32_e32 vcc, 3, v43
	s_nop 0
	v_mfma_f32_4x4x1f32 a[0:3], v18, v20, a[0:3]
	v_cndmask_b32_e64 v18, 0, 1.0, vcc
	s_nop 1
	v_mfma_f32_4x4x1f32 a[0:3], v19, v18, a[0:3]
	v_and_b32_e32 v18, -4, v44
	v_cmp_gt_i32_e32 vcc, s7, v18
	v_lshlrev_b32_e32 v19, 2, v0
	v_and_or_b32 v19, v19, 48, v43
	s_nop 0
	v_accvgpr_read_b32 v20, a0
	v_max_f32_e32 v21, v20, v20
	v_max_f32_e32 v21, 0xff7fffff, v21
	v_accvgpr_read_b32 v23, a1
	v_cndmask_b32_e32 v21, v22, v21, vcc
	v_or_b32_e32 v22, 1, v18
	v_max_f32_e32 v24, v23, v23
	v_max_f32_e32 v24, v21, v24
	v_cmp_gt_i32_e64 s[2:3], s7, v22
	v_accvgpr_read_b32 v22, a2
	v_cndmask_b32_e64 v21, v21, v24, s[2:3]
	v_or_b32_e32 v18, 2, v18
	v_max_f32_e32 v24, v22, v22
	v_max_f32_e32 v24, v21, v24
	v_cmp_gt_i32_e64 s[4:5], s7, v18
	v_cndmask_b32_e64 v18, v21, v24, s[4:5]
	v_accvgpr_read_b32 v24, a3
	v_or_b32_e32 v21, 3, v44
	v_max_f32_e32 v25, v24, v24
	v_max_f32_e32 v25, v18, v25
	v_cmp_gt_i32_e64 s[10:11], s7, v21
	v_cndmask_b32_e64 v18, v18, v25, s[10:11]
	;;#ASMSTART
	v_nop
 v_nop
 v_max_f32_dpp v18, v18, v18 row_ror:4
	;;#ASMEND
	v_lshlrev_b32_e32 v25, 2, v19
	;;#ASMSTART
	v_nop
 v_nop
 v_max_f32_dpp v18, v18, v18 row_ror:8
	;;#ASMEND
	ds_bpermute_b32 v18, v25, v18
	s_waitcnt lgkmcnt(0)
	;;#ASMSTART
	v_nop
 v_nop
 v_max_f32_dpp v18, v18, v18 row_ror:4
	;;#ASMEND
	;;#ASMSTART
	v_nop
 v_nop
 v_max_f32_dpp v26, v18, v18 row_ror:8
	;;#ASMEND
	v_sub_f32_e32 v18, v20, v26
	v_mul_f32_e32 v18, 0x3fb8aa3b, v18
	v_sub_f32_e32 v19, v23, v26
	v_exp_f32_e32 v18, v18
	v_mul_f32_e32 v19, 0x3fb8aa3b, v19
	v_sub_f32_e32 v21, v22, v26
	v_exp_f32_e32 v19, v19
	;; [unrolled: 3-line block ×3, first 2 shown]
	v_mul_f32_e32 v22, 0x3fb8aa3b, v22
	v_exp_f32_e32 v22, v22
	v_cndmask_b32_e32 v18, 0, v18, vcc
	v_add_f32_e32 v20, 0, v18
	v_cndmask_b32_e64 v19, 0, v19, s[2:3]
	v_add_f32_e32 v23, v20, v19
	v_cndmask_b32_e64 v20, 0, v21, s[4:5]
	v_add_f32_e32 v23, v23, v20
	v_cndmask_b32_e64 v21, 0, v22, s[10:11]
	v_add_f32_e32 v22, v23, v21
	;;#ASMSTART
	v_nop
 v_nop
 v_add_f32_dpp v22, v22, v22 row_ror:4
	;;#ASMEND
	;;#ASMSTART
	v_nop
 v_nop
 v_add_f32_dpp v22, v22, v22 row_ror:8
	;;#ASMEND
	ds_bpermute_b32 v22, v25, v22
	s_waitcnt lgkmcnt(0)
	;;#ASMSTART
	v_nop
 v_nop
 v_add_f32_dpp v22, v22, v22 row_ror:4
	;;#ASMEND
	v_cmp_gt_u32_e32 vcc, 4, v1
	;;#ASMSTART
	v_nop
 v_nop
 v_add_f32_dpp v22, v22, v22 row_ror:8
	;;#ASMEND
	s_and_saveexec_b64 s[2:3], vcc
	s_cbranch_execz .LBB446_400
; %bb.399:
	v_mul_u32_u24_e32 v23, 20, v42
	v_lshl_add_u32 v23, v43, 2, v23
	v_add_u32_e32 v23, 0x800, v23
	ds_write2_b32 v23, v26, v22 offset0:128 offset1:148
.LBB446_400:
	s_or_b64 exec, exec, s[2:3]
.LBB446_401:
	s_or_b64 exec, exec, s[36:37]
	s_waitcnt lgkmcnt(0)
	s_barrier
	s_load_dword s2, s[34:35], 0x8
	v_lshlrev_b32_e32 v22, 2, v43
	v_add_u32_e32 v30, 0x800, v22
	ds_read2_b32 v[22:23], v30 offset0:128 offset1:133
	ds_read2_b32 v[24:25], v30 offset0:138 offset1:143
	s_mul_i32 s3, s9, s6
	s_waitcnt lgkmcnt(0)
	s_mul_i32 s2, s3, s2
	s_mov_b32 s3, 0xff7fffff
	v_max3_f32 v27, v22, s3, v23
	v_max3_f32 v27, v27, v24, v25
	v_sub_f32_e32 v22, v22, v27
	ds_read2_b32 v[28:29], v30 offset0:148 offset1:153
	v_mul_f32_e32 v22, 0x3fb8aa3b, v22
	v_sub_f32_e32 v23, v23, v27
	v_exp_f32_e32 v32, v22
	v_mul_f32_e32 v23, 0x3fb8aa3b, v23
	v_sub_f32_e32 v24, v24, v27
	v_exp_f32_e32 v23, v23
	ds_read2_b32 v[30:31], v30 offset0:158 offset1:163
	v_mul_f32_e32 v24, 0x3fb8aa3b, v24
	v_sub_f32_e32 v25, v25, v27
	v_exp_f32_e32 v24, v24
	v_mul_f32_e32 v25, 0x3fb8aa3b, v25
	v_exp_f32_e32 v25, v25
	s_waitcnt lgkmcnt(1)
	v_fma_f32 v28, v32, v28, 0
	v_fmac_f32_e32 v28, v23, v29
	s_waitcnt lgkmcnt(0)
	v_fmac_f32_e32 v28, v24, v30
	v_mov_b32_e32 v22, 0
	v_fmac_f32_e32 v28, v25, v31
	s_mov_b32 s3, 0
	v_cmp_eq_u32_e32 vcc, 0, v43
	s_and_saveexec_b64 s[4:5], vcc
	s_cbranch_execz .LBB446_403
; %bb.402:
	s_lshl_b64 s[6:7], s[2:3], 2
	s_add_u32 s12, s16, s6
	s_mov_b32 s29, s3
	s_addc_u32 s13, s17, s7
	s_lshl_b64 s[10:11], s[28:29], 2
	s_add_u32 s12, s12, s10
	s_addc_u32 s13, s13, s11
	s_add_u32 s6, s18, s6
	s_addc_u32 s7, s19, s7
	;; [unrolled: 2-line block ×3, first 2 shown]
	s_mul_i32 s6, s9, s8
	s_mov_b32 s7, s3
	s_lshl_b64 s[6:7], s[6:7], 2
	s_add_u32 s10, s12, s6
	s_addc_u32 s11, s13, s7
	s_add_u32 s6, s16, s6
	s_addc_u32 s7, s17, s7
	global_store_dword v22, v27, s[6:7]
	global_store_dword v22, v28, s[10:11]
.LBB446_403:
	s_or_b64 exec, exec, s[4:5]
	v_lshlrev_b32_e32 v25, 3, v42
	s_and_saveexec_b64 s[4:5], s[0:1]
	s_xor_b64 s[0:1], exec, s[4:5]
	s_cbranch_execz .LBB446_405
; %bb.404:
	s_waitcnt vmcnt(1)
	v_mov_b32_e32 v2, 0
	v_mad_u32_u24 v4, v1, 40, v25
	v_mov_b32_e32 v3, v2
	ds_write_b64 v4, v[2:3]
                                        ; implicit-def: $vgpr21
                                        ; implicit-def: $vgpr19
                                        ; implicit-def: $vgpr26
                                        ; implicit-def: $vgpr14_vgpr15
                                        ; implicit-def: $vgpr10_vgpr11
                                        ; implicit-def: $vgpr6_vgpr7
                                        ; implicit-def: $vgpr2_vgpr3
                                        ; implicit-def: $vgpr27
                                        ; implicit-def: $vgpr28
                                        ; implicit-def: $vgpr25
.LBB446_405:
	s_andn2_saveexec_b64 s[0:1], s[0:1]
	s_cbranch_execz .LBB446_791
; %bb.406:
	v_mov_b32_e32 v29, 0
	s_waitcnt vmcnt(2)
	v_cmp_ne_u16_sdwa s[6:7], v14, v29 src0_sel:BYTE_0 src1_sel:DWORD
	v_mov_b32_e32 v30, 0
	s_and_saveexec_b64 s[4:5], s[6:7]
	s_cbranch_execz .LBB446_412
; %bb.407:
	s_movk_i32 s3, 0x80
	v_cmp_ne_u16_sdwa s[10:11], v14, s3 src0_sel:BYTE_0 src1_sel:DWORD
	v_bfrev_b32_e32 v30, 1
	s_and_saveexec_b64 s[6:7], s[10:11]
	s_cbranch_execz .LBB446_411
; %bb.408:
	s_movk_i32 s3, 0x7f
	v_and_b32_e32 v22, 0x7f, v14
	v_cmp_ne_u32_e32 vcc, s3, v22
	v_mov_b32_e32 v30, 0x7f800001
	s_and_saveexec_b64 s[10:11], vcc
	s_cbranch_execz .LBB446_410
; %bb.409:
	v_and_b32_e32 v23, 7, v14
	v_ffbh_u32_e32 v23, v23
	v_min_u32_e32 v23, 32, v23
	v_subrev_u32_e32 v30, 28, v23
	v_cmp_gt_u32_e32 vcc, 8, v22
	v_lshrrev_b32_e32 v24, 3, v22
	v_sub_u32_e32 v23, 29, v23
	v_cndmask_b32_e32 v22, 0, v30, vcc
	v_cndmask_b32_e32 v24, v24, v23, vcc
	v_lshlrev_b64 v[22:23], v22, v[14:15]
	v_lshlrev_b32_e32 v22, 20, v22
	v_lshlrev_b32_e32 v23, 24, v14
	v_bfrev_b32_e32 v30, 60
	v_and_b32_e32 v22, 0x700000, v22
	v_and_b32_e32 v23, 0x80000000, v23
	v_lshl_add_u32 v24, v24, 23, v30
	v_or3_b32 v30, v23, v24, v22
.LBB446_410:
	s_or_b64 exec, exec, s[10:11]
.LBB446_411:
	s_or_b64 exec, exec, s[6:7]
.LBB446_412:
	s_or_b64 exec, exec, s[4:5]
	v_lshrrev_b16_e32 v22, 8, v14
	v_cmp_ne_u16_e32 vcc, 0, v22
	s_and_saveexec_b64 s[4:5], vcc
	s_cbranch_execz .LBB446_418
; %bb.413:
	s_movk_i32 s3, 0x80
	v_cmp_ne_u16_e32 vcc, s3, v22
	v_bfrev_b32_e32 v29, 1
	s_and_saveexec_b64 s[6:7], vcc
	s_cbranch_execz .LBB446_417
; %bb.414:
	s_movk_i32 s3, 0x7f
	v_and_b32_e32 v23, 0x7f, v22
	v_cmp_ne_u32_e32 vcc, s3, v23
	v_mov_b32_e32 v29, 0x7f800001
	s_and_saveexec_b64 s[10:11], vcc
	s_cbranch_execz .LBB446_416
; %bb.415:
	v_and_b32_e32 v24, 7, v22
	v_ffbh_u32_e32 v31, v24
	v_min_u32_e32 v31, 32, v31
	v_subrev_u32_e32 v32, 28, v31
	v_lshlrev_b64 v[32:33], v32, v[22:23]
	v_lshrrev_b32_e32 v29, 3, v23
	v_sub_u32_e32 v22, 29, v31
	v_and_b32_e32 v31, 7, v32
	v_cmp_gt_u32_e32 vcc, 8, v23
	v_cndmask_b32_e32 v22, v29, v22, vcc
	v_cndmask_b32_e32 v23, v24, v31, vcc
	v_lshlrev_b32_e32 v24, 16, v14
	v_bfrev_b32_e32 v29, 60
	v_lshlrev_b32_e32 v23, 20, v23
	v_and_b32_e32 v24, 0x80000000, v24
	v_lshl_add_u32 v22, v22, 23, v29
	v_or3_b32 v29, v24, v22, v23
.LBB446_416:
	s_or_b64 exec, exec, s[10:11]
.LBB446_417:
	s_or_b64 exec, exec, s[6:7]
.LBB446_418:
	s_or_b64 exec, exec, s[4:5]
	s_movk_i32 s3, 0xff
	v_and_b32_sdwa v23, v14, s3 dst_sel:DWORD dst_unused:UNUSED_PAD src0_sel:WORD_1 src1_sel:DWORD
	v_lshrrev_b32_e32 v22, 16, v14
	v_cmp_ne_u16_e32 vcc, 0, v23
	v_mov_b32_e32 v31, 0
	v_mov_b32_e32 v32, 0
	s_and_saveexec_b64 s[4:5], vcc
	s_cbranch_execz .LBB446_424
; %bb.419:
	s_movk_i32 s3, 0x80
	v_cmp_ne_u16_e32 vcc, s3, v23
	v_bfrev_b32_e32 v32, 1
	s_and_saveexec_b64 s[6:7], vcc
	s_cbranch_execz .LBB446_423
; %bb.420:
	v_bfe_u32 v23, v14, 16, 7
	s_movk_i32 s3, 0x7f
	v_cmp_ne_u32_e32 vcc, s3, v23
	v_mov_b32_e32 v32, 0x7f800001
	s_and_saveexec_b64 s[10:11], vcc
	s_cbranch_execz .LBB446_422
; %bb.421:
	v_and_b32_e32 v24, 7, v22
	v_ffbh_u32_e32 v32, v24
	v_min_u32_e32 v35, 32, v32
	v_subrev_u32_e32 v32, 28, v35
	v_lshlrev_b64 v[32:33], v32, v[22:23]
	v_and_b32_e32 v32, 7, v32
	v_cmp_gt_u32_e32 vcc, 8, v23
	v_lshrrev_b32_e32 v34, 3, v23
	v_sub_u32_e32 v22, 29, v35
	v_cndmask_b32_e32 v23, v24, v32, vcc
	v_mov_b32_e32 v24, 24
	v_cndmask_b32_e32 v22, v34, v22, vcc
	v_lshlrev_b32_sdwa v24, v24, v14 dst_sel:DWORD dst_unused:UNUSED_PAD src0_sel:DWORD src1_sel:WORD_1
	v_bfrev_b32_e32 v32, 60
	v_lshlrev_b32_e32 v23, 20, v23
	v_and_b32_e32 v24, 0x80000000, v24
	v_lshl_add_u32 v22, v22, 23, v32
	v_or3_b32 v32, v24, v22, v23
.LBB446_422:
	s_or_b64 exec, exec, s[10:11]
.LBB446_423:
	s_or_b64 exec, exec, s[6:7]
.LBB446_424:
	s_or_b64 exec, exec, s[4:5]
	s_mov_b32 s3, 0xffffff
	v_cmp_lt_u32_e32 vcc, s3, v14
	s_and_saveexec_b64 s[4:5], vcc
	s_cbranch_execz .LBB446_430
; %bb.425:
	v_lshrrev_b32_e32 v22, 24, v14
	s_movk_i32 s3, 0x80
	v_cmp_ne_u32_e32 vcc, s3, v22
	v_bfrev_b32_e32 v31, 1
	s_and_saveexec_b64 s[6:7], vcc
	s_cbranch_execz .LBB446_429
; %bb.426:
	v_bfe_u32 v23, v14, 24, 7
	s_movk_i32 s3, 0x7f
	v_cmp_ne_u32_e32 vcc, s3, v23
	v_mov_b32_e32 v31, 0x7f800001
	s_and_saveexec_b64 s[10:11], vcc
	s_cbranch_execz .LBB446_428
; %bb.427:
	v_and_b32_e32 v24, 7, v22
	v_ffbh_u32_e32 v33, v24
	v_min_u32_e32 v33, 32, v33
	v_subrev_u32_e32 v34, 28, v33
	v_lshlrev_b64 v[34:35], v34, v[22:23]
	v_lshrrev_b32_e32 v31, 3, v23
	v_sub_u32_e32 v33, 29, v33
	v_and_b32_e32 v34, 7, v34
	v_cmp_gt_u32_e32 vcc, 8, v23
	v_cndmask_b32_e32 v23, v31, v33, vcc
	v_cndmask_b32_e32 v24, v24, v34, vcc
	v_lshlrev_b32_e32 v22, 24, v22
	v_bfrev_b32_e32 v31, 60
	v_lshlrev_b32_e32 v24, 20, v24
	v_and_b32_e32 v22, 0x80000000, v22
	v_lshl_add_u32 v23, v23, 23, v31
	v_or3_b32 v31, v22, v23, v24
.LBB446_428:
	s_or_b64 exec, exec, s[10:11]
.LBB446_429:
	s_or_b64 exec, exec, s[6:7]
.LBB446_430:
	s_or_b64 exec, exec, s[4:5]
	v_mov_b32_e32 v23, 0
	v_mov_b32_e32 v22, v15
	v_cmp_ne_u16_sdwa s[6:7], v15, v23 src0_sel:BYTE_0 src1_sel:DWORD
	v_mov_b32_e32 v33, v23
	s_and_saveexec_b64 s[4:5], s[6:7]
	s_cbranch_execz .LBB446_436
; %bb.431:
	s_movk_i32 s3, 0x80
	v_cmp_ne_u16_sdwa s[10:11], v15, s3 src0_sel:BYTE_0 src1_sel:DWORD
	v_bfrev_b32_e32 v33, 1
	s_and_saveexec_b64 s[6:7], s[10:11]
	s_cbranch_execz .LBB446_435
; %bb.432:
	s_movk_i32 s3, 0x7f
	v_and_b32_e32 v24, 0x7f, v15
	v_cmp_ne_u32_e32 vcc, s3, v24
	v_mov_b32_e32 v33, 0x7f800001
	s_and_saveexec_b64 s[10:11], vcc
	s_cbranch_execz .LBB446_434
; %bb.433:
	v_and_b32_e32 v33, 7, v15
	v_ffbh_u32_e32 v33, v33
	v_min_u32_e32 v33, 32, v33
	v_lshrrev_b32_e32 v34, 3, v24
	v_subrev_u32_e32 v35, 28, v33
	v_sub_u32_e32 v33, 29, v33
	v_cmp_gt_u32_e32 vcc, 8, v24
	v_cndmask_b32_e32 v24, v34, v33, vcc
	v_cndmask_b32_e32 v33, 0, v35, vcc
	v_lshlrev_b64 v[34:35], v33, v[22:23]
	v_lshlrev_b32_e32 v33, 20, v34
	v_lshlrev_b32_e32 v34, 24, v22
	v_bfrev_b32_e32 v35, 60
	v_and_b32_e32 v33, 0x700000, v33
	v_and_b32_e32 v34, 0x80000000, v34
	v_lshl_add_u32 v24, v24, 23, v35
	v_or3_b32 v33, v34, v24, v33
.LBB446_434:
	s_or_b64 exec, exec, s[10:11]
.LBB446_435:
	s_or_b64 exec, exec, s[6:7]
.LBB446_436:
	s_or_b64 exec, exec, s[4:5]
	v_lshrrev_b16_e32 v24, 8, v22
	v_cmp_ne_u16_e32 vcc, 0, v24
	s_and_saveexec_b64 s[4:5], vcc
	s_cbranch_execz .LBB446_442
; %bb.437:
	s_movk_i32 s3, 0x80
	v_cmp_ne_u16_e32 vcc, s3, v24
	v_bfrev_b32_e32 v23, 1
	s_and_saveexec_b64 s[6:7], vcc
	s_cbranch_execz .LBB446_441
; %bb.438:
	s_movk_i32 s3, 0x7f
	v_and_b32_e32 v34, 0x7f, v24
	v_cmp_ne_u32_e32 vcc, s3, v34
	v_mov_b32_e32 v23, 0x7f800001
	s_and_saveexec_b64 s[10:11], vcc
	s_cbranch_execz .LBB446_440
; %bb.439:
	v_and_b32_e32 v23, 7, v24
	v_ffbh_u32_e32 v36, v23
	v_min_u32_e32 v38, 32, v36
	v_subrev_u32_e32 v36, 28, v38
	v_lshlrev_b64 v[36:37], v36, v[24:25]
	v_lshrrev_b32_e32 v35, 3, v34
	v_sub_u32_e32 v24, 29, v38
	v_and_b32_e32 v36, 7, v36
	v_cmp_gt_u32_e32 vcc, 8, v34
	v_cndmask_b32_e32 v24, v35, v24, vcc
	v_cndmask_b32_e32 v23, v23, v36, vcc
	v_lshlrev_b32_e32 v22, 16, v22
	v_bfrev_b32_e32 v34, 60
	v_lshlrev_b32_e32 v23, 20, v23
	v_and_b32_e32 v22, 0x80000000, v22
	v_lshl_add_u32 v24, v24, 23, v34
	v_or3_b32 v23, v22, v24, v23
.LBB446_440:
	s_or_b64 exec, exec, s[10:11]
.LBB446_441:
	s_or_b64 exec, exec, s[6:7]
.LBB446_442:
	s_or_b64 exec, exec, s[4:5]
	s_movk_i32 s3, 0xff
	v_and_b32_sdwa v35, v15, s3 dst_sel:DWORD dst_unused:UNUSED_PAD src0_sel:WORD_1 src1_sel:DWORD
	v_lshrrev_b32_e32 v22, 16, v15
	v_cmp_ne_u16_e32 vcc, 0, v35
	v_mov_b32_e32 v24, 0
	v_mov_b32_e32 v34, 0
	s_and_saveexec_b64 s[4:5], vcc
	s_cbranch_execz .LBB446_448
; %bb.443:
	s_movk_i32 s3, 0x80
	v_cmp_ne_u16_e32 vcc, s3, v35
	v_bfrev_b32_e32 v34, 1
	s_and_saveexec_b64 s[6:7], vcc
	s_cbranch_execz .LBB446_447
; %bb.444:
	v_bfe_u32 v35, v15, 16, 7
	s_movk_i32 s3, 0x7f
	v_cmp_ne_u32_e32 vcc, s3, v35
	v_mov_b32_e32 v34, 0x7f800001
	s_and_saveexec_b64 s[10:11], vcc
	s_cbranch_execz .LBB446_446
; %bb.445:
	v_and_b32_e32 v34, 7, v22
	v_ffbh_u32_e32 v36, v34
	v_min_u32_e32 v39, 32, v36
	v_subrev_u32_e32 v36, 28, v39
	v_lshlrev_b64 v[36:37], v36, v[22:23]
	v_lshrrev_b32_e32 v38, 3, v35
	v_sub_u32_e32 v22, 29, v39
	v_and_b32_e32 v36, 7, v36
	v_cmp_gt_u32_e32 vcc, 8, v35
	v_mov_b32_e32 v35, 24
	v_cndmask_b32_e32 v22, v38, v22, vcc
	v_cndmask_b32_e32 v34, v34, v36, vcc
	v_lshlrev_b32_sdwa v35, v35, v15 dst_sel:DWORD dst_unused:UNUSED_PAD src0_sel:DWORD src1_sel:WORD_1
	v_bfrev_b32_e32 v36, 60
	v_lshlrev_b32_e32 v34, 20, v34
	v_and_b32_e32 v35, 0x80000000, v35
	v_lshl_add_u32 v22, v22, 23, v36
	v_or3_b32 v34, v35, v22, v34
.LBB446_446:
	s_or_b64 exec, exec, s[10:11]
.LBB446_447:
	s_or_b64 exec, exec, s[6:7]
.LBB446_448:
	s_or_b64 exec, exec, s[4:5]
	s_mov_b32 s4, -1
	s_mov_b32 s5, 0xffffff
	v_cmp_lt_u64_e32 vcc, s[4:5], v[14:15]
	s_and_saveexec_b64 s[4:5], vcc
	s_cbranch_execz .LBB446_454
; %bb.449:
	v_lshrrev_b32_e32 v14, 24, v15
	s_movk_i32 s3, 0x80
	v_cmp_ne_u32_e32 vcc, s3, v14
	v_bfrev_b32_e32 v24, 1
	s_and_saveexec_b64 s[6:7], vcc
	s_cbranch_execz .LBB446_453
; %bb.450:
	v_bfe_u32 v15, v15, 24, 7
	s_movk_i32 s3, 0x7f
	v_cmp_ne_u32_e32 vcc, s3, v15
	v_mov_b32_e32 v24, 0x7f800001
	s_and_saveexec_b64 s[10:11], vcc
	s_cbranch_execz .LBB446_452
; %bb.451:
	v_and_b32_e32 v22, 7, v14
	v_ffbh_u32_e32 v35, v22
	v_min_u32_e32 v35, 32, v35
	v_subrev_u32_e32 v36, 28, v35
	v_lshlrev_b64 v[36:37], v36, v[14:15]
	v_lshrrev_b32_e32 v24, 3, v15
	v_sub_u32_e32 v35, 29, v35
	v_and_b32_e32 v36, 7, v36
	v_cmp_gt_u32_e32 vcc, 8, v15
	v_cndmask_b32_e32 v15, v24, v35, vcc
	v_cndmask_b32_e32 v22, v22, v36, vcc
	v_lshlrev_b32_e32 v14, 24, v14
	v_bfrev_b32_e32 v24, 60
	v_lshlrev_b32_e32 v22, 20, v22
	v_and_b32_e32 v14, 0x80000000, v14
	v_lshl_add_u32 v15, v15, 23, v24
	v_or3_b32 v24, v14, v15, v22
.LBB446_452:
	s_or_b64 exec, exec, s[10:11]
.LBB446_453:
	s_or_b64 exec, exec, s[6:7]
.LBB446_454:
	s_or_b64 exec, exec, s[4:5]
	v_add_f32_e32 v14, 0x358637bd, v28
	v_div_scale_f32 v15, s[4:5], v14, v14, 1.0
	v_rcp_f32_e32 v22, v15
	v_div_scale_f32 v28, vcc, 1.0, v14, 1.0
	v_sub_f32_e32 v26, v26, v27
	v_fma_f32 v35, -v15, v22, 1.0
	v_fmac_f32_e32 v22, v35, v22
	v_mul_f32_e32 v35, v28, v22
	v_fma_f32 v36, -v15, v35, v28
	v_mul_f32_e32 v26, 0x3fb8aa3b, v26
	v_fmac_f32_e32 v35, v36, v22
	v_exp_f32_e32 v26, v26
	v_fma_f32 v15, -v15, v35, v28
	v_div_fmas_f32 v15, v15, v22, v35
	v_div_fixup_f32 v14, v15, v14, 1.0
	v_mul_f32_e32 v14, v26, v14
	v_pk_mul_f32 v[20:21], v[20:21], v[14:15] op_sel_hi:[1,0]
	v_pk_mul_f32 v[14:15], v[18:19], v[14:15] op_sel_hi:[1,0]
	v_cvt_f16_f32_e32 v14, v14
	v_cvt_f16_f32_e32 v15, v15
	v_cvt_f16_f32_e32 v18, v20
	v_cvt_f16_f32_e32 v19, v21
	v_cvt_pkrtz_f16_f32 v22, v33, v23
	v_pack_b32_f16 v14, v14, v15
	v_cvt_pkrtz_f16_f32 v23, v34, v24
	v_pack_b32_f16 v15, v18, v19
	v_cvt_pkrtz_f16_f32 v18, v30, v29
	v_cvt_pkrtz_f16_f32 v19, v32, v31
	v_mov_b32_e32 v21, 0
	s_nop 0
	v_mfma_f32_4x4x4f16 a[0:3], v[14:15], v[18:19], 0 cbsz:4
	v_mfma_f32_4x4x4f16 a[0:3], v[14:15], v[22:23], a[0:3] cbsz:4 abid:1
	v_mov_b32_e32 v22, 0
	v_cmp_ne_u16_sdwa s[6:7], v16, v22 src0_sel:BYTE_0 src1_sel:DWORD
	s_and_saveexec_b64 s[4:5], s[6:7]
	s_cbranch_execz .LBB446_460
; %bb.455:
	s_movk_i32 s3, 0x80
	v_cmp_ne_u16_sdwa s[10:11], v16, s3 src0_sel:BYTE_0 src1_sel:DWORD
	v_bfrev_b32_e32 v21, 1
	s_and_saveexec_b64 s[6:7], s[10:11]
	s_cbranch_execz .LBB446_459
; %bb.456:
	s_movk_i32 s3, 0x7f
	v_and_b32_e32 v18, 0x7f, v16
	v_cmp_ne_u32_e32 vcc, s3, v18
	v_mov_b32_e32 v21, 0x7f800001
	s_and_saveexec_b64 s[10:11], vcc
	s_cbranch_execz .LBB446_458
; %bb.457:
	v_and_b32_e32 v19, 7, v16
	v_ffbh_u32_e32 v19, v19
	v_min_u32_e32 v19, 32, v19
	v_subrev_u32_e32 v21, 28, v19
	v_cmp_gt_u32_e32 vcc, 8, v18
	v_lshrrev_b32_e32 v20, 3, v18
	v_sub_u32_e32 v19, 29, v19
	v_cndmask_b32_e32 v18, 0, v21, vcc
	v_cndmask_b32_e32 v20, v20, v19, vcc
	v_lshlrev_b64 v[18:19], v18, v[16:17]
	v_lshlrev_b32_e32 v18, 20, v18
	v_lshlrev_b32_e32 v19, 24, v16
	v_bfrev_b32_e32 v21, 60
	v_and_b32_e32 v18, 0x700000, v18
	v_and_b32_e32 v19, 0x80000000, v19
	v_lshl_add_u32 v20, v20, 23, v21
	v_or3_b32 v21, v19, v20, v18
.LBB446_458:
	s_or_b64 exec, exec, s[10:11]
.LBB446_459:
	s_or_b64 exec, exec, s[6:7]
.LBB446_460:
	s_or_b64 exec, exec, s[4:5]
	v_lshrrev_b16_e32 v18, 8, v16
	v_cmp_ne_u16_e32 vcc, 0, v18
	v_mov_b32_e32 v23, 0
	s_and_saveexec_b64 s[4:5], vcc
	s_cbranch_execz .LBB446_466
; %bb.461:
	s_movk_i32 s3, 0x80
	v_cmp_ne_u16_e32 vcc, s3, v18
	v_bfrev_b32_e32 v23, 1
	s_and_saveexec_b64 s[6:7], vcc
	s_cbranch_execz .LBB446_465
; %bb.462:
	s_movk_i32 s3, 0x7f
	v_and_b32_e32 v19, 0x7f, v18
	v_cmp_ne_u32_e32 vcc, s3, v19
	v_mov_b32_e32 v23, 0x7f800001
	s_and_saveexec_b64 s[10:11], vcc
	s_cbranch_execz .LBB446_464
; %bb.463:
	v_and_b32_e32 v20, 7, v18
	v_ffbh_u32_e32 v24, v20
	v_min_u32_e32 v24, 32, v24
	v_subrev_u32_e32 v26, 28, v24
	v_lshlrev_b64 v[26:27], v26, v[18:19]
	v_lshrrev_b32_e32 v23, 3, v19
	v_sub_u32_e32 v18, 29, v24
	v_and_b32_e32 v24, 7, v26
	v_cmp_gt_u32_e32 vcc, 8, v19
	v_cndmask_b32_e32 v18, v23, v18, vcc
	v_cndmask_b32_e32 v19, v20, v24, vcc
	v_lshlrev_b32_e32 v20, 16, v16
	v_bfrev_b32_e32 v23, 60
	v_lshlrev_b32_e32 v19, 20, v19
	v_and_b32_e32 v20, 0x80000000, v20
	v_lshl_add_u32 v18, v18, 23, v23
	v_or3_b32 v23, v20, v18, v19
.LBB446_464:
	s_or_b64 exec, exec, s[10:11]
.LBB446_465:
	s_or_b64 exec, exec, s[6:7]
.LBB446_466:
	s_or_b64 exec, exec, s[4:5]
	s_movk_i32 s3, 0xff
	v_and_b32_sdwa v19, v16, s3 dst_sel:DWORD dst_unused:UNUSED_PAD src0_sel:WORD_1 src1_sel:DWORD
	v_lshrrev_b32_e32 v18, 16, v16
	v_cmp_ne_u16_e32 vcc, 0, v19
	s_and_saveexec_b64 s[4:5], vcc
	s_cbranch_execz .LBB446_472
; %bb.467:
	s_movk_i32 s3, 0x80
	v_cmp_ne_u16_e32 vcc, s3, v19
	v_bfrev_b32_e32 v22, 1
	s_and_saveexec_b64 s[6:7], vcc
	s_cbranch_execz .LBB446_471
; %bb.468:
	v_bfe_u32 v19, v16, 16, 7
	s_movk_i32 s3, 0x7f
	v_cmp_ne_u32_e32 vcc, s3, v19
	v_mov_b32_e32 v22, 0x7f800001
	s_and_saveexec_b64 s[10:11], vcc
	s_cbranch_execz .LBB446_470
; %bb.469:
	v_and_b32_e32 v20, 7, v18
	v_ffbh_u32_e32 v24, v20
	v_min_u32_e32 v24, 32, v24
	v_subrev_u32_e32 v26, 28, v24
	v_lshlrev_b64 v[26:27], v26, v[18:19]
	v_sub_u32_e32 v18, 29, v24
	v_and_b32_e32 v24, 7, v26
	v_cmp_gt_u32_e32 vcc, 8, v19
	v_lshrrev_b32_e32 v22, 3, v19
	v_cndmask_b32_e32 v19, v20, v24, vcc
	v_mov_b32_e32 v20, 24
	v_cndmask_b32_e32 v18, v22, v18, vcc
	v_lshlrev_b32_sdwa v20, v20, v16 dst_sel:DWORD dst_unused:UNUSED_PAD src0_sel:DWORD src1_sel:WORD_1
	v_bfrev_b32_e32 v22, 60
	v_lshlrev_b32_e32 v19, 20, v19
	v_and_b32_e32 v20, 0x80000000, v20
	v_lshl_add_u32 v18, v18, 23, v22
	v_or3_b32 v22, v20, v18, v19
.LBB446_470:
	s_or_b64 exec, exec, s[10:11]
.LBB446_471:
	s_or_b64 exec, exec, s[6:7]
.LBB446_472:
	s_or_b64 exec, exec, s[4:5]
	s_mov_b32 s3, 0xffffff
	v_cmp_lt_u32_e32 vcc, s3, v16
	v_mov_b32_e32 v19, 0
	v_mov_b32_e32 v24, 0
	s_and_saveexec_b64 s[4:5], vcc
	s_cbranch_execz .LBB446_478
; %bb.473:
	v_lshrrev_b32_e32 v18, 24, v16
	s_movk_i32 s3, 0x80
	v_cmp_ne_u32_e32 vcc, s3, v18
	v_bfrev_b32_e32 v24, 1
	s_and_saveexec_b64 s[6:7], vcc
	s_cbranch_execz .LBB446_477
; %bb.474:
	v_bfe_u32 v20, v16, 24, 7
	s_movk_i32 s3, 0x7f
	v_cmp_ne_u32_e32 vcc, s3, v20
	v_mov_b32_e32 v24, 0x7f800001
	s_and_saveexec_b64 s[10:11], vcc
	s_cbranch_execz .LBB446_476
; %bb.475:
	v_and_b32_e32 v24, 7, v18
	v_ffbh_u32_e32 v26, v24
	v_min_u32_e32 v29, 32, v26
	v_subrev_u32_e32 v26, 28, v29
	v_lshlrev_b64 v[26:27], v26, v[18:19]
	v_lshrrev_b32_e32 v28, 3, v20
	v_sub_u32_e32 v27, 29, v29
	v_and_b32_e32 v26, 7, v26
	v_cmp_gt_u32_e32 vcc, 8, v20
	v_cndmask_b32_e32 v20, v28, v27, vcc
	v_cndmask_b32_e32 v24, v24, v26, vcc
	v_lshlrev_b32_e32 v18, 24, v18
	v_bfrev_b32_e32 v26, 60
	v_lshlrev_b32_e32 v24, 20, v24
	v_and_b32_e32 v18, 0x80000000, v18
	v_lshl_add_u32 v20, v20, 23, v26
	v_or3_b32 v24, v18, v20, v24
.LBB446_476:
	s_or_b64 exec, exec, s[10:11]
.LBB446_477:
	s_or_b64 exec, exec, s[6:7]
.LBB446_478:
	s_or_b64 exec, exec, s[4:5]
	v_mov_b32_e32 v18, v17
	v_cmp_ne_u16_sdwa s[6:7], v17, v19 src0_sel:BYTE_0 src1_sel:DWORD
	s_and_saveexec_b64 s[4:5], s[6:7]
	s_cbranch_execz .LBB446_484
; %bb.479:
	s_movk_i32 s3, 0x80
	v_cmp_ne_u16_sdwa s[10:11], v17, s3 src0_sel:BYTE_0 src1_sel:DWORD
	v_bfrev_b32_e32 v20, 1
	s_and_saveexec_b64 s[6:7], s[10:11]
	s_cbranch_execz .LBB446_483
; %bb.480:
	s_movk_i32 s3, 0x7f
	v_and_b32_e32 v26, 0x7f, v17
	v_cmp_ne_u32_e32 vcc, s3, v26
	v_mov_b32_e32 v20, 0x7f800001
	s_and_saveexec_b64 s[10:11], vcc
	s_cbranch_execz .LBB446_482
; %bb.481:
	v_and_b32_e32 v20, 7, v17
	v_ffbh_u32_e32 v20, v20
	v_min_u32_e32 v20, 32, v20
	v_subrev_u32_e32 v28, 28, v20
	v_cmp_gt_u32_e32 vcc, 8, v26
	v_lshrrev_b32_e32 v27, 3, v26
	v_sub_u32_e32 v20, 29, v20
	v_cndmask_b32_e32 v26, 0, v28, vcc
	v_cndmask_b32_e32 v20, v27, v20, vcc
	v_lshlrev_b64 v[26:27], v26, v[18:19]
	v_lshlrev_b32_e32 v19, 20, v26
	v_lshlrev_b32_e32 v26, 24, v18
	v_bfrev_b32_e32 v27, 60
	v_and_b32_e32 v19, 0x700000, v19
	v_and_b32_e32 v26, 0x80000000, v26
	v_lshl_add_u32 v20, v20, 23, v27
	v_or3_b32 v20, v26, v20, v19
.LBB446_482:
	s_or_b64 exec, exec, s[10:11]
.LBB446_483:
	s_or_b64 exec, exec, s[6:7]
	v_mov_b32_e32 v19, v20
.LBB446_484:
	s_or_b64 exec, exec, s[4:5]
	v_lshrrev_b16_e32 v20, 8, v18
	v_cmp_ne_u16_e32 vcc, 0, v20
	v_mov_b32_e32 v26, 0
	v_mov_b32_e32 v27, 0
	s_and_saveexec_b64 s[4:5], vcc
	s_cbranch_execz .LBB446_490
; %bb.485:
	s_movk_i32 s3, 0x80
	v_cmp_ne_u16_e32 vcc, s3, v20
	v_bfrev_b32_e32 v27, 1
	s_and_saveexec_b64 s[6:7], vcc
	s_cbranch_execz .LBB446_489
; %bb.486:
	s_movk_i32 s3, 0x7f
	v_and_b32_e32 v28, 0x7f, v20
	v_cmp_ne_u32_e32 vcc, s3, v28
	v_mov_b32_e32 v27, 0x7f800001
	s_and_saveexec_b64 s[10:11], vcc
	s_cbranch_execz .LBB446_488
; %bb.487:
	v_and_b32_e32 v27, 7, v20
	v_ffbh_u32_e32 v30, v27
	v_min_u32_e32 v32, 32, v30
	v_subrev_u32_e32 v30, 28, v32
	v_lshlrev_b64 v[30:31], v30, v[20:21]
	v_lshrrev_b32_e32 v29, 3, v28
	v_sub_u32_e32 v20, 29, v32
	v_and_b32_e32 v30, 7, v30
	v_cmp_gt_u32_e32 vcc, 8, v28
	v_cndmask_b32_e32 v20, v29, v20, vcc
	v_cndmask_b32_e32 v27, v27, v30, vcc
	v_lshlrev_b32_e32 v18, 16, v18
	v_bfrev_b32_e32 v28, 60
	v_lshlrev_b32_e32 v27, 20, v27
	v_and_b32_e32 v18, 0x80000000, v18
	v_lshl_add_u32 v20, v20, 23, v28
	v_or3_b32 v27, v18, v20, v27
.LBB446_488:
	s_or_b64 exec, exec, s[10:11]
.LBB446_489:
	s_or_b64 exec, exec, s[6:7]
.LBB446_490:
	s_or_b64 exec, exec, s[4:5]
	s_movk_i32 s3, 0xff
	v_and_b32_sdwa v20, v17, s3 dst_sel:DWORD dst_unused:UNUSED_PAD src0_sel:WORD_1 src1_sel:DWORD
	v_lshrrev_b32_e32 v18, 16, v17
	v_cmp_ne_u16_e32 vcc, 0, v20
	s_and_saveexec_b64 s[4:5], vcc
	s_cbranch_execz .LBB446_496
; %bb.491:
	s_movk_i32 s3, 0x80
	v_cmp_ne_u16_e32 vcc, s3, v20
	v_bfrev_b32_e32 v26, 1
	s_and_saveexec_b64 s[6:7], vcc
	s_cbranch_execz .LBB446_495
; %bb.492:
	v_bfe_u32 v20, v17, 16, 7
	s_movk_i32 s3, 0x7f
	v_cmp_ne_u32_e32 vcc, s3, v20
	v_mov_b32_e32 v26, 0x7f800001
	s_and_saveexec_b64 s[10:11], vcc
	s_cbranch_execz .LBB446_494
; %bb.493:
	v_and_b32_e32 v26, 7, v18
	v_ffbh_u32_e32 v28, v26
	v_min_u32_e32 v31, 32, v28
	v_subrev_u32_e32 v28, 28, v31
	v_lshlrev_b64 v[28:29], v28, v[18:19]
	v_and_b32_e32 v28, 7, v28
	v_cmp_gt_u32_e32 vcc, 8, v20
	v_lshrrev_b32_e32 v30, 3, v20
	v_sub_u32_e32 v18, 29, v31
	v_cndmask_b32_e32 v20, v26, v28, vcc
	v_mov_b32_e32 v26, 24
	v_cndmask_b32_e32 v18, v30, v18, vcc
	v_lshlrev_b32_sdwa v26, v26, v17 dst_sel:DWORD dst_unused:UNUSED_PAD src0_sel:DWORD src1_sel:WORD_1
	v_bfrev_b32_e32 v28, 60
	v_lshlrev_b32_e32 v20, 20, v20
	v_and_b32_e32 v26, 0x80000000, v26
	v_lshl_add_u32 v18, v18, 23, v28
	v_or3_b32 v26, v26, v18, v20
.LBB446_494:
	s_or_b64 exec, exec, s[10:11]
.LBB446_495:
	s_or_b64 exec, exec, s[6:7]
.LBB446_496:
	s_or_b64 exec, exec, s[4:5]
	s_mov_b32 s4, -1
	s_mov_b32 s5, 0xffffff
	v_cmp_lt_u64_e32 vcc, s[4:5], v[16:17]
	v_mov_b32_e32 v20, 0
	v_mov_b32_e32 v18, 0
	s_and_saveexec_b64 s[4:5], vcc
	s_cbranch_execz .LBB446_502
; %bb.497:
	v_lshrrev_b32_e32 v16, 24, v17
	s_movk_i32 s3, 0x80
	v_cmp_ne_u32_e32 vcc, s3, v16
	v_bfrev_b32_e32 v18, 1
	s_and_saveexec_b64 s[6:7], vcc
	s_cbranch_execz .LBB446_501
; %bb.498:
	v_bfe_u32 v17, v17, 24, 7
	s_movk_i32 s3, 0x7f
	v_cmp_ne_u32_e32 vcc, s3, v17
	v_mov_b32_e32 v18, 0x7f800001
	s_and_saveexec_b64 s[10:11], vcc
	s_cbranch_execz .LBB446_500
; %bb.499:
	v_and_b32_e32 v18, 7, v16
	v_ffbh_u32_e32 v28, v18
	v_min_u32_e32 v31, 32, v28
	v_subrev_u32_e32 v28, 28, v31
	v_lshlrev_b64 v[28:29], v28, v[16:17]
	v_lshrrev_b32_e32 v30, 3, v17
	v_sub_u32_e32 v29, 29, v31
	v_and_b32_e32 v28, 7, v28
	v_cmp_gt_u32_e32 vcc, 8, v17
	v_cndmask_b32_e32 v17, v30, v29, vcc
	v_cndmask_b32_e32 v18, v18, v28, vcc
	v_lshlrev_b32_e32 v16, 24, v16
	v_bfrev_b32_e32 v28, 60
	v_lshlrev_b32_e32 v18, 20, v18
	v_and_b32_e32 v16, 0x80000000, v16
	v_lshl_add_u32 v17, v17, 23, v28
	v_or3_b32 v18, v16, v17, v18
.LBB446_500:
	s_or_b64 exec, exec, s[10:11]
.LBB446_501:
	s_or_b64 exec, exec, s[6:7]
.LBB446_502:
	s_or_b64 exec, exec, s[4:5]
	v_cvt_pkrtz_f16_f32 v16, v21, v23
	v_cvt_pkrtz_f16_f32 v17, v22, v24
	;; [unrolled: 1-line block ×4, first 2 shown]
	v_mfma_f32_4x4x4f16 a[0:3], v[14:15], v[16:17], a[0:3] cbsz:4 abid:2
	v_cmp_ne_u16_sdwa s[6:7], v10, v20 src0_sel:BYTE_0 src1_sel:DWORD
	v_mfma_f32_4x4x4f16 a[0:3], v[14:15], v[22:23], a[0:3] cbsz:4 abid:3
	s_and_saveexec_b64 s[4:5], s[6:7]
	s_cbranch_execz .LBB446_508
; %bb.503:
	s_movk_i32 s3, 0x80
	v_cmp_ne_u16_sdwa s[10:11], v10, s3 src0_sel:BYTE_0 src1_sel:DWORD
	v_bfrev_b32_e32 v20, 1
	s_and_saveexec_b64 s[6:7], s[10:11]
	s_cbranch_execz .LBB446_507
; %bb.504:
	s_movk_i32 s3, 0x7f
	v_and_b32_e32 v16, 0x7f, v10
	v_cmp_ne_u32_e32 vcc, s3, v16
	v_mov_b32_e32 v20, 0x7f800001
	s_and_saveexec_b64 s[10:11], vcc
	s_cbranch_execz .LBB446_506
; %bb.505:
	v_and_b32_e32 v17, 7, v10
	v_ffbh_u32_e32 v17, v17
	v_min_u32_e32 v17, 32, v17
	v_subrev_u32_e32 v19, 28, v17
	v_cmp_gt_u32_e32 vcc, 8, v16
	v_lshrrev_b32_e32 v18, 3, v16
	v_sub_u32_e32 v17, 29, v17
	v_cndmask_b32_e32 v16, 0, v19, vcc
	v_cndmask_b32_e32 v18, v18, v17, vcc
	v_lshlrev_b64 v[16:17], v16, v[10:11]
	v_lshlrev_b32_e32 v16, 20, v16
	v_lshlrev_b32_e32 v17, 24, v10
	v_bfrev_b32_e32 v19, 60
	v_and_b32_e32 v16, 0x700000, v16
	v_and_b32_e32 v17, 0x80000000, v17
	v_lshl_add_u32 v18, v18, 23, v19
	v_or3_b32 v20, v17, v18, v16
.LBB446_506:
	s_or_b64 exec, exec, s[10:11]
.LBB446_507:
	s_or_b64 exec, exec, s[6:7]
.LBB446_508:
	s_or_b64 exec, exec, s[4:5]
	v_lshrrev_b16_e32 v16, 8, v10
	v_cmp_ne_u16_e32 vcc, 0, v16
	v_mov_b32_e32 v19, 0
	v_mov_b32_e32 v21, 0
	s_and_saveexec_b64 s[4:5], vcc
	s_cbranch_execz .LBB446_514
; %bb.509:
	s_movk_i32 s3, 0x80
	v_cmp_ne_u16_e32 vcc, s3, v16
	v_bfrev_b32_e32 v21, 1
	s_and_saveexec_b64 s[6:7], vcc
	s_cbranch_execz .LBB446_513
; %bb.510:
	s_movk_i32 s3, 0x7f
	v_and_b32_e32 v17, 0x7f, v16
	v_cmp_ne_u32_e32 vcc, s3, v17
	v_mov_b32_e32 v21, 0x7f800001
	s_and_saveexec_b64 s[10:11], vcc
	s_cbranch_execz .LBB446_512
; %bb.511:
	v_and_b32_e32 v18, 7, v16
	v_ffbh_u32_e32 v22, v18
	v_min_u32_e32 v24, 32, v22
	v_subrev_u32_e32 v22, 28, v24
	v_lshlrev_b64 v[22:23], v22, v[16:17]
	v_lshrrev_b32_e32 v21, 3, v17
	v_sub_u32_e32 v16, 29, v24
	v_and_b32_e32 v22, 7, v22
	v_cmp_gt_u32_e32 vcc, 8, v17
	v_cndmask_b32_e32 v16, v21, v16, vcc
	v_cndmask_b32_e32 v17, v18, v22, vcc
	v_lshlrev_b32_e32 v18, 16, v10
	v_bfrev_b32_e32 v21, 60
	v_lshlrev_b32_e32 v17, 20, v17
	v_and_b32_e32 v18, 0x80000000, v18
	v_lshl_add_u32 v16, v16, 23, v21
	v_or3_b32 v21, v18, v16, v17
.LBB446_512:
	s_or_b64 exec, exec, s[10:11]
.LBB446_513:
	s_or_b64 exec, exec, s[6:7]
.LBB446_514:
	s_or_b64 exec, exec, s[4:5]
	s_movk_i32 s3, 0xff
	v_and_b32_sdwa v17, v10, s3 dst_sel:DWORD dst_unused:UNUSED_PAD src0_sel:WORD_1 src1_sel:DWORD
	v_lshrrev_b32_e32 v16, 16, v10
	v_cmp_ne_u16_e32 vcc, 0, v17
	s_and_saveexec_b64 s[4:5], vcc
	s_cbranch_execz .LBB446_520
; %bb.515:
	s_movk_i32 s3, 0x80
	v_cmp_ne_u16_e32 vcc, s3, v17
	v_bfrev_b32_e32 v19, 1
	s_and_saveexec_b64 s[6:7], vcc
	s_cbranch_execz .LBB446_519
; %bb.516:
	v_bfe_u32 v17, v10, 16, 7
	s_movk_i32 s3, 0x7f
	v_cmp_ne_u32_e32 vcc, s3, v17
	v_mov_b32_e32 v19, 0x7f800001
	s_and_saveexec_b64 s[10:11], vcc
	s_cbranch_execz .LBB446_518
; %bb.517:
	v_and_b32_e32 v22, 7, v16
	v_ffbh_u32_e32 v18, v22
	v_min_u32_e32 v24, 32, v18
	v_subrev_u32_e32 v18, 28, v24
	v_lshlrev_b64 v[18:19], v18, v[16:17]
	v_and_b32_e32 v18, 7, v18
	v_cmp_gt_u32_e32 vcc, 8, v17
	v_lshrrev_b32_e32 v23, 3, v17
	v_sub_u32_e32 v16, 29, v24
	v_cndmask_b32_e32 v17, v22, v18, vcc
	v_mov_b32_e32 v18, 24
	v_cndmask_b32_e32 v16, v23, v16, vcc
	v_lshlrev_b32_sdwa v18, v18, v10 dst_sel:DWORD dst_unused:UNUSED_PAD src0_sel:DWORD src1_sel:WORD_1
	v_bfrev_b32_e32 v19, 60
	v_lshlrev_b32_e32 v17, 20, v17
	v_and_b32_e32 v18, 0x80000000, v18
	v_lshl_add_u32 v16, v16, 23, v19
	v_or3_b32 v19, v18, v16, v17
.LBB446_518:
	s_or_b64 exec, exec, s[10:11]
.LBB446_519:
	s_or_b64 exec, exec, s[6:7]
.LBB446_520:
	s_or_b64 exec, exec, s[4:5]
	s_mov_b32 s3, 0xffffff
	v_cmp_lt_u32_e32 vcc, s3, v10
	v_mov_b32_e32 v17, 0
	v_mov_b32_e32 v22, 0
	s_and_saveexec_b64 s[4:5], vcc
	s_cbranch_execz .LBB446_526
; %bb.521:
	v_lshrrev_b32_e32 v16, 24, v10
	s_movk_i32 s3, 0x80
	v_cmp_ne_u32_e32 vcc, s3, v16
	v_bfrev_b32_e32 v22, 1
	s_and_saveexec_b64 s[6:7], vcc
	s_cbranch_execz .LBB446_525
; %bb.522:
	v_bfe_u32 v18, v10, 24, 7
	s_movk_i32 s3, 0x7f
	v_cmp_ne_u32_e32 vcc, s3, v18
	v_mov_b32_e32 v22, 0x7f800001
	s_and_saveexec_b64 s[10:11], vcc
	s_cbranch_execz .LBB446_524
; %bb.523:
	v_and_b32_e32 v24, 7, v16
	v_ffbh_u32_e32 v22, v24
	v_min_u32_e32 v27, 32, v22
	v_subrev_u32_e32 v22, 28, v27
	v_lshlrev_b64 v[22:23], v22, v[16:17]
	v_lshrrev_b32_e32 v26, 3, v18
	v_sub_u32_e32 v23, 29, v27
	v_and_b32_e32 v22, 7, v22
	v_cmp_gt_u32_e32 vcc, 8, v18
	v_cndmask_b32_e32 v18, v26, v23, vcc
	v_cndmask_b32_e32 v22, v24, v22, vcc
	v_lshlrev_b32_e32 v16, 24, v16
	v_bfrev_b32_e32 v23, 60
	v_lshlrev_b32_e32 v22, 20, v22
	v_and_b32_e32 v16, 0x80000000, v16
	v_lshl_add_u32 v18, v18, 23, v23
	v_or3_b32 v22, v16, v18, v22
.LBB446_524:
	s_or_b64 exec, exec, s[10:11]
.LBB446_525:
	s_or_b64 exec, exec, s[6:7]
.LBB446_526:
	s_or_b64 exec, exec, s[4:5]
	v_mov_b32_e32 v16, v11
	v_cmp_ne_u16_sdwa s[6:7], v11, v17 src0_sel:BYTE_0 src1_sel:DWORD
	s_and_saveexec_b64 s[4:5], s[6:7]
	s_cbranch_execz .LBB446_532
; %bb.527:
	s_movk_i32 s3, 0x80
	v_cmp_ne_u16_sdwa s[10:11], v11, s3 src0_sel:BYTE_0 src1_sel:DWORD
	v_bfrev_b32_e32 v18, 1
	s_and_saveexec_b64 s[6:7], s[10:11]
	s_cbranch_execz .LBB446_531
; %bb.528:
	s_movk_i32 s3, 0x7f
	v_and_b32_e32 v23, 0x7f, v11
	v_cmp_ne_u32_e32 vcc, s3, v23
	v_mov_b32_e32 v18, 0x7f800001
	s_and_saveexec_b64 s[10:11], vcc
	s_cbranch_execz .LBB446_530
; %bb.529:
	v_and_b32_e32 v18, 7, v11
	v_ffbh_u32_e32 v18, v18
	v_min_u32_e32 v18, 32, v18
	v_subrev_u32_e32 v26, 28, v18
	v_cmp_gt_u32_e32 vcc, 8, v23
	v_lshrrev_b32_e32 v24, 3, v23
	v_cndmask_b32_e32 v23, 0, v26, vcc
	v_sub_u32_e32 v18, 29, v18
	v_lshlrev_b64 v[26:27], v23, v[16:17]
	v_cndmask_b32_e32 v18, v24, v18, vcc
	v_lshlrev_b32_e32 v17, 20, v26
	v_lshlrev_b32_e32 v23, 24, v16
	v_bfrev_b32_e32 v24, 60
	v_and_b32_e32 v17, 0x700000, v17
	v_and_b32_e32 v23, 0x80000000, v23
	v_lshl_add_u32 v18, v18, 23, v24
	v_or3_b32 v18, v23, v18, v17
.LBB446_530:
	s_or_b64 exec, exec, s[10:11]
.LBB446_531:
	s_or_b64 exec, exec, s[6:7]
	v_mov_b32_e32 v17, v18
.LBB446_532:
	s_or_b64 exec, exec, s[4:5]
	v_lshrrev_b16_e32 v18, 8, v16
	v_cmp_ne_u16_e32 vcc, 0, v18
	v_mov_b32_e32 v23, 0
	v_mov_b32_e32 v24, 0
	s_and_saveexec_b64 s[4:5], vcc
	s_cbranch_execz .LBB446_538
; %bb.533:
	s_movk_i32 s3, 0x80
	v_cmp_ne_u16_e32 vcc, s3, v18
	v_bfrev_b32_e32 v24, 1
	s_and_saveexec_b64 s[6:7], vcc
	s_cbranch_execz .LBB446_537
; %bb.534:
	s_movk_i32 s3, 0x7f
	v_and_b32_e32 v26, 0x7f, v18
	v_cmp_ne_u32_e32 vcc, s3, v26
	v_mov_b32_e32 v24, 0x7f800001
	s_and_saveexec_b64 s[10:11], vcc
	s_cbranch_execz .LBB446_536
; %bb.535:
	v_and_b32_e32 v24, 7, v18
	v_ffbh_u32_e32 v28, v24
	v_min_u32_e32 v30, 32, v28
	v_subrev_u32_e32 v28, 28, v30
	v_lshlrev_b64 v[28:29], v28, v[18:19]
	v_lshrrev_b32_e32 v27, 3, v26
	v_sub_u32_e32 v18, 29, v30
	v_and_b32_e32 v28, 7, v28
	v_cmp_gt_u32_e32 vcc, 8, v26
	v_cndmask_b32_e32 v18, v27, v18, vcc
	v_cndmask_b32_e32 v24, v24, v28, vcc
	v_lshlrev_b32_e32 v16, 16, v16
	v_bfrev_b32_e32 v26, 60
	v_lshlrev_b32_e32 v24, 20, v24
	v_and_b32_e32 v16, 0x80000000, v16
	v_lshl_add_u32 v18, v18, 23, v26
	v_or3_b32 v24, v16, v18, v24
.LBB446_536:
	s_or_b64 exec, exec, s[10:11]
.LBB446_537:
	s_or_b64 exec, exec, s[6:7]
.LBB446_538:
	s_or_b64 exec, exec, s[4:5]
	s_movk_i32 s3, 0xff
	v_and_b32_sdwa v18, v11, s3 dst_sel:DWORD dst_unused:UNUSED_PAD src0_sel:WORD_1 src1_sel:DWORD
	v_lshrrev_b32_e32 v16, 16, v11
	v_cmp_ne_u16_e32 vcc, 0, v18
	s_and_saveexec_b64 s[4:5], vcc
	s_cbranch_execz .LBB446_544
; %bb.539:
	s_movk_i32 s3, 0x80
	v_cmp_ne_u16_e32 vcc, s3, v18
	v_bfrev_b32_e32 v23, 1
	s_and_saveexec_b64 s[6:7], vcc
	s_cbranch_execz .LBB446_543
; %bb.540:
	v_bfe_u32 v18, v11, 16, 7
	s_movk_i32 s3, 0x7f
	v_cmp_ne_u32_e32 vcc, s3, v18
	v_mov_b32_e32 v23, 0x7f800001
	s_and_saveexec_b64 s[10:11], vcc
	s_cbranch_execz .LBB446_542
; %bb.541:
	v_and_b32_e32 v23, 7, v16
	v_ffbh_u32_e32 v26, v23
	v_min_u32_e32 v29, 32, v26
	v_subrev_u32_e32 v26, 28, v29
	v_lshlrev_b64 v[26:27], v26, v[16:17]
	v_and_b32_e32 v26, 7, v26
	v_cmp_gt_u32_e32 vcc, 8, v18
	v_lshrrev_b32_e32 v28, 3, v18
	v_sub_u32_e32 v16, 29, v29
	v_cndmask_b32_e32 v18, v23, v26, vcc
	v_mov_b32_e32 v23, 24
	v_cndmask_b32_e32 v16, v28, v16, vcc
	v_lshlrev_b32_sdwa v23, v23, v11 dst_sel:DWORD dst_unused:UNUSED_PAD src0_sel:DWORD src1_sel:WORD_1
	v_bfrev_b32_e32 v26, 60
	v_lshlrev_b32_e32 v18, 20, v18
	v_and_b32_e32 v23, 0x80000000, v23
	v_lshl_add_u32 v16, v16, 23, v26
	v_or3_b32 v23, v23, v16, v18
.LBB446_542:
	s_or_b64 exec, exec, s[10:11]
.LBB446_543:
	s_or_b64 exec, exec, s[6:7]
.LBB446_544:
	s_or_b64 exec, exec, s[4:5]
	s_mov_b32 s4, -1
	s_mov_b32 s5, 0xffffff
	v_cmp_lt_u64_e32 vcc, s[4:5], v[10:11]
	v_mov_b32_e32 v18, 0
	v_mov_b32_e32 v16, 0
	s_and_saveexec_b64 s[4:5], vcc
	s_cbranch_execz .LBB446_550
; %bb.545:
	v_lshrrev_b32_e32 v10, 24, v11
	s_movk_i32 s3, 0x80
	v_cmp_ne_u32_e32 vcc, s3, v10
	v_bfrev_b32_e32 v16, 1
	s_and_saveexec_b64 s[6:7], vcc
	s_cbranch_execz .LBB446_549
; %bb.546:
	v_bfe_u32 v11, v11, 24, 7
	s_movk_i32 s3, 0x7f
	v_cmp_ne_u32_e32 vcc, s3, v11
	v_mov_b32_e32 v16, 0x7f800001
	s_and_saveexec_b64 s[10:11], vcc
	s_cbranch_execz .LBB446_548
; %bb.547:
	v_and_b32_e32 v16, 7, v10
	v_ffbh_u32_e32 v26, v16
	v_min_u32_e32 v29, 32, v26
	v_subrev_u32_e32 v26, 28, v29
	v_lshlrev_b64 v[26:27], v26, v[10:11]
	v_lshrrev_b32_e32 v28, 3, v11
	v_sub_u32_e32 v27, 29, v29
	v_and_b32_e32 v26, 7, v26
	v_cmp_gt_u32_e32 vcc, 8, v11
	v_cndmask_b32_e32 v11, v28, v27, vcc
	v_cndmask_b32_e32 v16, v16, v26, vcc
	v_lshlrev_b32_e32 v10, 24, v10
	v_bfrev_b32_e32 v26, 60
	v_lshlrev_b32_e32 v16, 20, v16
	v_and_b32_e32 v10, 0x80000000, v10
	v_lshl_add_u32 v11, v11, 23, v26
	v_or3_b32 v16, v10, v11, v16
.LBB446_548:
	s_or_b64 exec, exec, s[10:11]
.LBB446_549:
	s_or_b64 exec, exec, s[6:7]
.LBB446_550:
	s_or_b64 exec, exec, s[4:5]
	v_cvt_pkrtz_f16_f32 v10, v20, v21
	v_cvt_pkrtz_f16_f32 v11, v19, v22
	;; [unrolled: 1-line block ×4, first 2 shown]
	v_mfma_f32_4x4x4f16 a[0:3], v[14:15], v[10:11], a[0:3] cbsz:4 abid:4
	v_cmp_ne_u16_sdwa s[6:7], v12, v18 src0_sel:BYTE_0 src1_sel:DWORD
	v_mfma_f32_4x4x4f16 a[0:3], v[14:15], v[20:21], a[0:3] cbsz:4 abid:5
	s_and_saveexec_b64 s[4:5], s[6:7]
	s_cbranch_execz .LBB446_556
; %bb.551:
	s_movk_i32 s3, 0x80
	v_cmp_ne_u16_sdwa s[10:11], v12, s3 src0_sel:BYTE_0 src1_sel:DWORD
	v_bfrev_b32_e32 v18, 1
	s_and_saveexec_b64 s[6:7], s[10:11]
	s_cbranch_execz .LBB446_555
; %bb.552:
	s_movk_i32 s3, 0x7f
	v_and_b32_e32 v10, 0x7f, v12
	v_cmp_ne_u32_e32 vcc, s3, v10
	v_mov_b32_e32 v18, 0x7f800001
	s_and_saveexec_b64 s[10:11], vcc
	s_cbranch_execz .LBB446_554
; %bb.553:
	v_and_b32_e32 v11, 7, v12
	v_ffbh_u32_e32 v11, v11
	v_min_u32_e32 v11, 32, v11
	v_subrev_u32_e32 v17, 28, v11
	v_cmp_gt_u32_e32 vcc, 8, v10
	v_lshrrev_b32_e32 v16, 3, v10
	v_sub_u32_e32 v11, 29, v11
	v_cndmask_b32_e32 v10, 0, v17, vcc
	v_cndmask_b32_e32 v16, v16, v11, vcc
	v_lshlrev_b64 v[10:11], v10, v[12:13]
	v_lshlrev_b32_e32 v10, 20, v10
	v_lshlrev_b32_e32 v11, 24, v12
	v_bfrev_b32_e32 v17, 60
	v_and_b32_e32 v10, 0x700000, v10
	v_and_b32_e32 v11, 0x80000000, v11
	v_lshl_add_u32 v16, v16, 23, v17
	v_or3_b32 v18, v11, v16, v10
.LBB446_554:
	s_or_b64 exec, exec, s[10:11]
.LBB446_555:
	s_or_b64 exec, exec, s[6:7]
.LBB446_556:
	s_or_b64 exec, exec, s[4:5]
	v_lshrrev_b16_e32 v10, 8, v12
	v_cmp_ne_u16_e32 vcc, 0, v10
	v_mov_b32_e32 v17, 0
	v_mov_b32_e32 v19, 0
	s_and_saveexec_b64 s[4:5], vcc
	s_cbranch_execz .LBB446_562
; %bb.557:
	s_movk_i32 s3, 0x80
	v_cmp_ne_u16_e32 vcc, s3, v10
	v_bfrev_b32_e32 v19, 1
	s_and_saveexec_b64 s[6:7], vcc
	s_cbranch_execz .LBB446_561
; %bb.558:
	s_movk_i32 s3, 0x7f
	v_and_b32_e32 v11, 0x7f, v10
	v_cmp_ne_u32_e32 vcc, s3, v11
	v_mov_b32_e32 v19, 0x7f800001
	s_and_saveexec_b64 s[10:11], vcc
	s_cbranch_execz .LBB446_560
; %bb.559:
	v_and_b32_e32 v16, 7, v10
	v_ffbh_u32_e32 v20, v16
	v_min_u32_e32 v22, 32, v20
	v_subrev_u32_e32 v20, 28, v22
	v_lshlrev_b64 v[20:21], v20, v[10:11]
	v_lshrrev_b32_e32 v19, 3, v11
	v_sub_u32_e32 v10, 29, v22
	v_and_b32_e32 v20, 7, v20
	v_cmp_gt_u32_e32 vcc, 8, v11
	v_cndmask_b32_e32 v10, v19, v10, vcc
	v_cndmask_b32_e32 v11, v16, v20, vcc
	v_lshlrev_b32_e32 v16, 16, v12
	v_bfrev_b32_e32 v19, 60
	v_lshlrev_b32_e32 v11, 20, v11
	v_and_b32_e32 v16, 0x80000000, v16
	v_lshl_add_u32 v10, v10, 23, v19
	v_or3_b32 v19, v16, v10, v11
.LBB446_560:
	s_or_b64 exec, exec, s[10:11]
.LBB446_561:
	s_or_b64 exec, exec, s[6:7]
.LBB446_562:
	s_or_b64 exec, exec, s[4:5]
	s_movk_i32 s3, 0xff
	v_and_b32_sdwa v11, v12, s3 dst_sel:DWORD dst_unused:UNUSED_PAD src0_sel:WORD_1 src1_sel:DWORD
	v_lshrrev_b32_e32 v10, 16, v12
	v_cmp_ne_u16_e32 vcc, 0, v11
	s_and_saveexec_b64 s[4:5], vcc
	s_cbranch_execz .LBB446_568
; %bb.563:
	s_movk_i32 s3, 0x80
	v_cmp_ne_u16_e32 vcc, s3, v11
	v_bfrev_b32_e32 v17, 1
	s_and_saveexec_b64 s[6:7], vcc
	s_cbranch_execz .LBB446_567
; %bb.564:
	v_bfe_u32 v11, v12, 16, 7
	s_movk_i32 s3, 0x7f
	v_cmp_ne_u32_e32 vcc, s3, v11
	v_mov_b32_e32 v17, 0x7f800001
	s_and_saveexec_b64 s[10:11], vcc
	s_cbranch_execz .LBB446_566
; %bb.565:
	v_and_b32_e32 v20, 7, v10
	v_ffbh_u32_e32 v16, v20
	v_min_u32_e32 v22, 32, v16
	v_subrev_u32_e32 v16, 28, v22
	v_lshlrev_b64 v[16:17], v16, v[10:11]
	v_and_b32_e32 v16, 7, v16
	v_cmp_gt_u32_e32 vcc, 8, v11
	v_lshrrev_b32_e32 v21, 3, v11
	v_sub_u32_e32 v10, 29, v22
	v_cndmask_b32_e32 v11, v20, v16, vcc
	v_mov_b32_e32 v16, 24
	v_cndmask_b32_e32 v10, v21, v10, vcc
	v_lshlrev_b32_sdwa v16, v16, v12 dst_sel:DWORD dst_unused:UNUSED_PAD src0_sel:DWORD src1_sel:WORD_1
	v_bfrev_b32_e32 v17, 60
	v_lshlrev_b32_e32 v11, 20, v11
	v_and_b32_e32 v16, 0x80000000, v16
	v_lshl_add_u32 v10, v10, 23, v17
	v_or3_b32 v17, v16, v10, v11
.LBB446_566:
	s_or_b64 exec, exec, s[10:11]
.LBB446_567:
	s_or_b64 exec, exec, s[6:7]
.LBB446_568:
	s_or_b64 exec, exec, s[4:5]
	s_mov_b32 s3, 0xffffff
	v_cmp_lt_u32_e32 vcc, s3, v12
	v_mov_b32_e32 v11, 0
	v_mov_b32_e32 v20, 0
	s_and_saveexec_b64 s[4:5], vcc
	s_cbranch_execz .LBB446_574
; %bb.569:
	v_lshrrev_b32_e32 v10, 24, v12
	s_movk_i32 s3, 0x80
	v_cmp_ne_u32_e32 vcc, s3, v10
	v_bfrev_b32_e32 v20, 1
	s_and_saveexec_b64 s[6:7], vcc
	s_cbranch_execz .LBB446_573
; %bb.570:
	v_bfe_u32 v16, v12, 24, 7
	s_movk_i32 s3, 0x7f
	v_cmp_ne_u32_e32 vcc, s3, v16
	v_mov_b32_e32 v20, 0x7f800001
	s_and_saveexec_b64 s[10:11], vcc
	s_cbranch_execz .LBB446_572
; %bb.571:
	v_and_b32_e32 v22, 7, v10
	v_ffbh_u32_e32 v20, v22
	v_min_u32_e32 v24, 32, v20
	v_subrev_u32_e32 v20, 28, v24
	v_lshlrev_b64 v[20:21], v20, v[10:11]
	v_lshrrev_b32_e32 v23, 3, v16
	v_sub_u32_e32 v21, 29, v24
	v_and_b32_e32 v20, 7, v20
	v_cmp_gt_u32_e32 vcc, 8, v16
	v_cndmask_b32_e32 v16, v23, v21, vcc
	v_cndmask_b32_e32 v20, v22, v20, vcc
	v_lshlrev_b32_e32 v10, 24, v10
	v_bfrev_b32_e32 v21, 60
	v_lshlrev_b32_e32 v20, 20, v20
	v_and_b32_e32 v10, 0x80000000, v10
	v_lshl_add_u32 v16, v16, 23, v21
	v_or3_b32 v20, v10, v16, v20
.LBB446_572:
	s_or_b64 exec, exec, s[10:11]
.LBB446_573:
	s_or_b64 exec, exec, s[6:7]
.LBB446_574:
	s_or_b64 exec, exec, s[4:5]
	v_mov_b32_e32 v10, v13
	v_cmp_ne_u16_sdwa s[6:7], v13, v11 src0_sel:BYTE_0 src1_sel:DWORD
	s_and_saveexec_b64 s[4:5], s[6:7]
	s_cbranch_execz .LBB446_580
; %bb.575:
	s_movk_i32 s3, 0x80
	v_cmp_ne_u16_sdwa s[10:11], v13, s3 src0_sel:BYTE_0 src1_sel:DWORD
	v_bfrev_b32_e32 v16, 1
	s_and_saveexec_b64 s[6:7], s[10:11]
	s_cbranch_execz .LBB446_579
; %bb.576:
	s_movk_i32 s3, 0x7f
	v_and_b32_e32 v21, 0x7f, v13
	v_cmp_ne_u32_e32 vcc, s3, v21
	v_mov_b32_e32 v16, 0x7f800001
	s_and_saveexec_b64 s[10:11], vcc
	s_cbranch_execz .LBB446_578
; %bb.577:
	v_and_b32_e32 v16, 7, v13
	v_ffbh_u32_e32 v16, v16
	v_min_u32_e32 v16, 32, v16
	v_subrev_u32_e32 v23, 28, v16
	v_cmp_gt_u32_e32 vcc, 8, v21
	v_lshrrev_b32_e32 v22, 3, v21
	v_sub_u32_e32 v16, 29, v16
	v_cndmask_b32_e32 v21, 0, v23, vcc
	v_cndmask_b32_e32 v16, v22, v16, vcc
	v_lshlrev_b64 v[22:23], v21, v[10:11]
	v_lshlrev_b32_e32 v11, 20, v22
	v_lshlrev_b32_e32 v21, 24, v10
	v_bfrev_b32_e32 v22, 60
	v_and_b32_e32 v11, 0x700000, v11
	v_and_b32_e32 v21, 0x80000000, v21
	v_lshl_add_u32 v16, v16, 23, v22
	v_or3_b32 v16, v21, v16, v11
.LBB446_578:
	s_or_b64 exec, exec, s[10:11]
.LBB446_579:
	s_or_b64 exec, exec, s[6:7]
	v_mov_b32_e32 v11, v16
.LBB446_580:
	s_or_b64 exec, exec, s[4:5]
	v_lshrrev_b16_e32 v16, 8, v10
	v_cmp_ne_u16_e32 vcc, 0, v16
	v_mov_b32_e32 v21, 0
	v_mov_b32_e32 v22, 0
	s_and_saveexec_b64 s[4:5], vcc
	s_cbranch_execz .LBB446_586
; %bb.581:
	s_movk_i32 s3, 0x80
	v_cmp_ne_u16_e32 vcc, s3, v16
	v_bfrev_b32_e32 v22, 1
	s_and_saveexec_b64 s[6:7], vcc
	s_cbranch_execz .LBB446_585
; %bb.582:
	s_movk_i32 s3, 0x7f
	v_and_b32_e32 v23, 0x7f, v16
	v_cmp_ne_u32_e32 vcc, s3, v23
	v_mov_b32_e32 v22, 0x7f800001
	s_and_saveexec_b64 s[10:11], vcc
	s_cbranch_execz .LBB446_584
; %bb.583:
	v_and_b32_e32 v22, 7, v16
	v_ffbh_u32_e32 v26, v22
	v_min_u32_e32 v28, 32, v26
	v_subrev_u32_e32 v26, 28, v28
	v_lshlrev_b64 v[26:27], v26, v[16:17]
	v_lshrrev_b32_e32 v24, 3, v23
	v_sub_u32_e32 v16, 29, v28
	v_and_b32_e32 v26, 7, v26
	v_cmp_gt_u32_e32 vcc, 8, v23
	v_cndmask_b32_e32 v16, v24, v16, vcc
	v_cndmask_b32_e32 v22, v22, v26, vcc
	v_lshlrev_b32_e32 v10, 16, v10
	v_bfrev_b32_e32 v23, 60
	v_lshlrev_b32_e32 v22, 20, v22
	v_and_b32_e32 v10, 0x80000000, v10
	v_lshl_add_u32 v16, v16, 23, v23
	v_or3_b32 v22, v10, v16, v22
.LBB446_584:
	s_or_b64 exec, exec, s[10:11]
.LBB446_585:
	s_or_b64 exec, exec, s[6:7]
.LBB446_586:
	s_or_b64 exec, exec, s[4:5]
	s_movk_i32 s3, 0xff
	v_and_b32_sdwa v16, v13, s3 dst_sel:DWORD dst_unused:UNUSED_PAD src0_sel:WORD_1 src1_sel:DWORD
	v_lshrrev_b32_e32 v10, 16, v13
	v_cmp_ne_u16_e32 vcc, 0, v16
	s_and_saveexec_b64 s[4:5], vcc
	s_cbranch_execz .LBB446_592
; %bb.587:
	s_movk_i32 s3, 0x80
	v_cmp_ne_u16_e32 vcc, s3, v16
	v_bfrev_b32_e32 v21, 1
	s_and_saveexec_b64 s[6:7], vcc
	s_cbranch_execz .LBB446_591
; %bb.588:
	v_bfe_u32 v16, v13, 16, 7
	s_movk_i32 s3, 0x7f
	v_cmp_ne_u32_e32 vcc, s3, v16
	v_mov_b32_e32 v21, 0x7f800001
	s_and_saveexec_b64 s[10:11], vcc
	s_cbranch_execz .LBB446_590
; %bb.589:
	v_and_b32_e32 v21, 7, v10
	v_ffbh_u32_e32 v24, v21
	v_min_u32_e32 v24, 32, v24
	v_subrev_u32_e32 v26, 28, v24
	v_lshlrev_b64 v[26:27], v26, v[10:11]
	v_sub_u32_e32 v10, 29, v24
	v_and_b32_e32 v24, 7, v26
	v_cmp_gt_u32_e32 vcc, 8, v16
	v_lshrrev_b32_e32 v23, 3, v16
	v_cndmask_b32_e32 v16, v21, v24, vcc
	v_mov_b32_e32 v21, 24
	v_cndmask_b32_e32 v10, v23, v10, vcc
	v_lshlrev_b32_sdwa v21, v21, v13 dst_sel:DWORD dst_unused:UNUSED_PAD src0_sel:DWORD src1_sel:WORD_1
	v_bfrev_b32_e32 v23, 60
	v_lshlrev_b32_e32 v16, 20, v16
	v_and_b32_e32 v21, 0x80000000, v21
	v_lshl_add_u32 v10, v10, 23, v23
	v_or3_b32 v21, v21, v10, v16
.LBB446_590:
	s_or_b64 exec, exec, s[10:11]
.LBB446_591:
	s_or_b64 exec, exec, s[6:7]
.LBB446_592:
	s_or_b64 exec, exec, s[4:5]
	s_mov_b32 s4, -1
	s_mov_b32 s5, 0xffffff
	v_cmp_lt_u64_e32 vcc, s[4:5], v[12:13]
	v_mov_b32_e32 v16, 0
	v_mov_b32_e32 v12, 0
	s_and_saveexec_b64 s[4:5], vcc
	s_cbranch_execz .LBB446_598
; %bb.593:
	v_lshrrev_b32_e32 v10, 24, v13
	s_movk_i32 s3, 0x80
	v_cmp_ne_u32_e32 vcc, s3, v10
	v_bfrev_b32_e32 v12, 1
	s_and_saveexec_b64 s[6:7], vcc
	s_cbranch_execz .LBB446_597
; %bb.594:
	v_bfe_u32 v13, v13, 24, 7
	s_movk_i32 s3, 0x7f
	v_cmp_ne_u32_e32 vcc, s3, v13
	v_mov_b32_e32 v12, 0x7f800001
	s_and_saveexec_b64 s[10:11], vcc
	s_cbranch_execz .LBB446_596
; %bb.595:
	v_and_b32_e32 v12, 7, v10
	v_ffbh_u32_e32 v24, v12
	v_min_u32_e32 v24, 32, v24
	v_subrev_u32_e32 v26, 28, v24
	v_lshlrev_b64 v[26:27], v26, v[10:11]
	v_lshrrev_b32_e32 v23, 3, v13
	v_sub_u32_e32 v24, 29, v24
	v_and_b32_e32 v26, 7, v26
	v_cmp_gt_u32_e32 vcc, 8, v13
	v_cndmask_b32_e32 v13, v23, v24, vcc
	v_cndmask_b32_e32 v12, v12, v26, vcc
	v_lshlrev_b32_e32 v10, 24, v10
	v_bfrev_b32_e32 v23, 60
	v_lshlrev_b32_e32 v12, 20, v12
	v_and_b32_e32 v10, 0x80000000, v10
	v_lshl_add_u32 v13, v13, 23, v23
	v_or3_b32 v12, v10, v13, v12
.LBB446_596:
	s_or_b64 exec, exec, s[10:11]
.LBB446_597:
	s_or_b64 exec, exec, s[6:7]
.LBB446_598:
	s_or_b64 exec, exec, s[4:5]
	v_cvt_pkrtz_f16_f32 v18, v18, v19
	v_cvt_pkrtz_f16_f32 v19, v17, v20
	;; [unrolled: 1-line block ×4, first 2 shown]
	v_mfma_f32_4x4x4f16 a[0:3], v[14:15], v[18:19], a[0:3] cbsz:4 abid:6
	s_waitcnt vmcnt(0)
	v_cmp_ne_u16_sdwa s[6:7], v6, v16 src0_sel:BYTE_0 src1_sel:DWORD
	v_mfma_f32_4x4x4f16 a[0:3], v[14:15], v[10:11], a[0:3] cbsz:4 abid:7
	s_and_saveexec_b64 s[4:5], s[6:7]
	s_cbranch_execz .LBB446_604
; %bb.599:
	s_movk_i32 s3, 0x80
	v_cmp_ne_u16_sdwa s[10:11], v6, s3 src0_sel:BYTE_0 src1_sel:DWORD
	v_bfrev_b32_e32 v16, 1
	s_and_saveexec_b64 s[6:7], s[10:11]
	s_cbranch_execz .LBB446_603
; %bb.600:
	s_movk_i32 s3, 0x7f
	v_and_b32_e32 v10, 0x7f, v6
	v_cmp_ne_u32_e32 vcc, s3, v10
	v_mov_b32_e32 v16, 0x7f800001
	s_and_saveexec_b64 s[10:11], vcc
	s_cbranch_execz .LBB446_602
; %bb.601:
	v_and_b32_e32 v11, 7, v6
	v_ffbh_u32_e32 v11, v11
	v_min_u32_e32 v11, 32, v11
	v_subrev_u32_e32 v13, 28, v11
	v_cmp_gt_u32_e32 vcc, 8, v10
	v_lshrrev_b32_e32 v12, 3, v10
	v_sub_u32_e32 v11, 29, v11
	v_cndmask_b32_e32 v10, 0, v13, vcc
	v_cndmask_b32_e32 v12, v12, v11, vcc
	v_lshlrev_b64 v[10:11], v10, v[6:7]
	v_lshlrev_b32_e32 v10, 20, v10
	v_lshlrev_b32_e32 v11, 24, v6
	v_bfrev_b32_e32 v13, 60
	v_and_b32_e32 v10, 0x700000, v10
	v_and_b32_e32 v11, 0x80000000, v11
	v_lshl_add_u32 v12, v12, 23, v13
	v_or3_b32 v16, v11, v12, v10
.LBB446_602:
	s_or_b64 exec, exec, s[10:11]
.LBB446_603:
	s_or_b64 exec, exec, s[6:7]
.LBB446_604:
	s_or_b64 exec, exec, s[4:5]
	v_lshrrev_b16_e32 v10, 8, v6
	v_cmp_ne_u16_e32 vcc, 0, v10
	v_mov_b32_e32 v13, 0
	v_mov_b32_e32 v17, 0
	s_and_saveexec_b64 s[4:5], vcc
	s_cbranch_execz .LBB446_610
; %bb.605:
	s_movk_i32 s3, 0x80
	v_cmp_ne_u16_e32 vcc, s3, v10
	v_bfrev_b32_e32 v17, 1
	s_and_saveexec_b64 s[6:7], vcc
	s_cbranch_execz .LBB446_609
; %bb.606:
	s_movk_i32 s3, 0x7f
	v_and_b32_e32 v11, 0x7f, v10
	v_cmp_ne_u32_e32 vcc, s3, v11
	v_mov_b32_e32 v17, 0x7f800001
	s_and_saveexec_b64 s[10:11], vcc
	s_cbranch_execz .LBB446_608
; %bb.607:
	v_and_b32_e32 v12, 7, v10
	v_ffbh_u32_e32 v18, v12
	v_min_u32_e32 v20, 32, v18
	v_subrev_u32_e32 v18, 28, v20
	v_lshlrev_b64 v[18:19], v18, v[10:11]
	v_lshrrev_b32_e32 v17, 3, v11
	v_sub_u32_e32 v10, 29, v20
	v_and_b32_e32 v18, 7, v18
	v_cmp_gt_u32_e32 vcc, 8, v11
	v_cndmask_b32_e32 v10, v17, v10, vcc
	v_cndmask_b32_e32 v11, v12, v18, vcc
	v_lshlrev_b32_e32 v12, 16, v6
	v_bfrev_b32_e32 v17, 60
	v_lshlrev_b32_e32 v11, 20, v11
	v_and_b32_e32 v12, 0x80000000, v12
	v_lshl_add_u32 v10, v10, 23, v17
	v_or3_b32 v17, v12, v10, v11
.LBB446_608:
	s_or_b64 exec, exec, s[10:11]
.LBB446_609:
	s_or_b64 exec, exec, s[6:7]
.LBB446_610:
	s_or_b64 exec, exec, s[4:5]
	s_movk_i32 s3, 0xff
	v_and_b32_sdwa v11, v6, s3 dst_sel:DWORD dst_unused:UNUSED_PAD src0_sel:WORD_1 src1_sel:DWORD
	v_lshrrev_b32_e32 v10, 16, v6
	v_cmp_ne_u16_e32 vcc, 0, v11
	s_and_saveexec_b64 s[4:5], vcc
	s_cbranch_execz .LBB446_616
; %bb.611:
	s_movk_i32 s3, 0x80
	v_cmp_ne_u16_e32 vcc, s3, v11
	v_bfrev_b32_e32 v13, 1
	s_and_saveexec_b64 s[6:7], vcc
	s_cbranch_execz .LBB446_615
; %bb.612:
	v_bfe_u32 v11, v6, 16, 7
	s_movk_i32 s3, 0x7f
	v_cmp_ne_u32_e32 vcc, s3, v11
	v_mov_b32_e32 v13, 0x7f800001
	s_and_saveexec_b64 s[10:11], vcc
	s_cbranch_execz .LBB446_614
; %bb.613:
	v_and_b32_e32 v18, 7, v10
	v_ffbh_u32_e32 v12, v18
	v_min_u32_e32 v20, 32, v12
	v_subrev_u32_e32 v12, 28, v20
	v_lshlrev_b64 v[12:13], v12, v[10:11]
	v_and_b32_e32 v12, 7, v12
	v_cmp_gt_u32_e32 vcc, 8, v11
	v_lshrrev_b32_e32 v19, 3, v11
	v_sub_u32_e32 v10, 29, v20
	v_cndmask_b32_e32 v11, v18, v12, vcc
	v_mov_b32_e32 v12, 24
	v_cndmask_b32_e32 v10, v19, v10, vcc
	v_lshlrev_b32_sdwa v12, v12, v6 dst_sel:DWORD dst_unused:UNUSED_PAD src0_sel:DWORD src1_sel:WORD_1
	v_bfrev_b32_e32 v13, 60
	v_lshlrev_b32_e32 v11, 20, v11
	v_and_b32_e32 v12, 0x80000000, v12
	v_lshl_add_u32 v10, v10, 23, v13
	v_or3_b32 v13, v12, v10, v11
.LBB446_614:
	s_or_b64 exec, exec, s[10:11]
.LBB446_615:
	s_or_b64 exec, exec, s[6:7]
.LBB446_616:
	s_or_b64 exec, exec, s[4:5]
	s_mov_b32 s3, 0xffffff
	v_cmp_lt_u32_e32 vcc, s3, v6
	v_mov_b32_e32 v11, 0
	v_mov_b32_e32 v18, 0
	s_and_saveexec_b64 s[4:5], vcc
	s_cbranch_execz .LBB446_622
; %bb.617:
	v_lshrrev_b32_e32 v10, 24, v6
	s_movk_i32 s3, 0x80
	v_cmp_ne_u32_e32 vcc, s3, v10
	v_bfrev_b32_e32 v18, 1
	s_and_saveexec_b64 s[6:7], vcc
	s_cbranch_execz .LBB446_621
; %bb.618:
	v_bfe_u32 v12, v6, 24, 7
	s_movk_i32 s3, 0x7f
	v_cmp_ne_u32_e32 vcc, s3, v12
	v_mov_b32_e32 v18, 0x7f800001
	s_and_saveexec_b64 s[10:11], vcc
	s_cbranch_execz .LBB446_620
; %bb.619:
	v_and_b32_e32 v20, 7, v10
	v_ffbh_u32_e32 v18, v20
	v_min_u32_e32 v22, 32, v18
	v_subrev_u32_e32 v18, 28, v22
	v_lshlrev_b64 v[18:19], v18, v[10:11]
	v_lshrrev_b32_e32 v21, 3, v12
	v_sub_u32_e32 v19, 29, v22
	v_and_b32_e32 v18, 7, v18
	v_cmp_gt_u32_e32 vcc, 8, v12
	v_cndmask_b32_e32 v12, v21, v19, vcc
	v_cndmask_b32_e32 v18, v20, v18, vcc
	v_lshlrev_b32_e32 v10, 24, v10
	v_bfrev_b32_e32 v19, 60
	v_lshlrev_b32_e32 v18, 20, v18
	v_and_b32_e32 v10, 0x80000000, v10
	v_lshl_add_u32 v12, v12, 23, v19
	v_or3_b32 v18, v10, v12, v18
.LBB446_620:
	s_or_b64 exec, exec, s[10:11]
.LBB446_621:
	s_or_b64 exec, exec, s[6:7]
.LBB446_622:
	s_or_b64 exec, exec, s[4:5]
	v_mov_b32_e32 v10, v7
	v_cmp_ne_u16_sdwa s[6:7], v7, v11 src0_sel:BYTE_0 src1_sel:DWORD
	s_and_saveexec_b64 s[4:5], s[6:7]
	s_cbranch_execz .LBB446_628
; %bb.623:
	s_movk_i32 s3, 0x80
	v_cmp_ne_u16_sdwa s[10:11], v7, s3 src0_sel:BYTE_0 src1_sel:DWORD
	v_bfrev_b32_e32 v12, 1
	s_and_saveexec_b64 s[6:7], s[10:11]
	s_cbranch_execz .LBB446_627
; %bb.624:
	s_movk_i32 s3, 0x7f
	v_and_b32_e32 v19, 0x7f, v7
	v_cmp_ne_u32_e32 vcc, s3, v19
	v_mov_b32_e32 v12, 0x7f800001
	s_and_saveexec_b64 s[10:11], vcc
	s_cbranch_execz .LBB446_626
; %bb.625:
	v_and_b32_e32 v12, 7, v7
	v_ffbh_u32_e32 v12, v12
	v_min_u32_e32 v12, 32, v12
	v_subrev_u32_e32 v21, 28, v12
	v_cmp_gt_u32_e32 vcc, 8, v19
	v_lshrrev_b32_e32 v20, 3, v19
	v_sub_u32_e32 v12, 29, v12
	v_cndmask_b32_e32 v19, 0, v21, vcc
	v_cndmask_b32_e32 v12, v20, v12, vcc
	v_lshlrev_b64 v[20:21], v19, v[10:11]
	v_lshlrev_b32_e32 v11, 20, v20
	v_lshlrev_b32_e32 v19, 24, v10
	v_bfrev_b32_e32 v20, 60
	v_and_b32_e32 v11, 0x700000, v11
	v_and_b32_e32 v19, 0x80000000, v19
	v_lshl_add_u32 v12, v12, 23, v20
	v_or3_b32 v12, v19, v12, v11
.LBB446_626:
	s_or_b64 exec, exec, s[10:11]
.LBB446_627:
	s_or_b64 exec, exec, s[6:7]
	v_mov_b32_e32 v11, v12
.LBB446_628:
	s_or_b64 exec, exec, s[4:5]
	v_lshrrev_b16_e32 v12, 8, v10
	v_cmp_ne_u16_e32 vcc, 0, v12
	v_mov_b32_e32 v19, 0
	v_mov_b32_e32 v20, 0
	s_and_saveexec_b64 s[4:5], vcc
	s_cbranch_execz .LBB446_634
; %bb.629:
	s_movk_i32 s3, 0x80
	v_cmp_ne_u16_e32 vcc, s3, v12
	v_bfrev_b32_e32 v20, 1
	s_and_saveexec_b64 s[6:7], vcc
	s_cbranch_execz .LBB446_633
; %bb.630:
	s_movk_i32 s3, 0x7f
	v_and_b32_e32 v21, 0x7f, v12
	v_cmp_ne_u32_e32 vcc, s3, v21
	v_mov_b32_e32 v20, 0x7f800001
	s_and_saveexec_b64 s[10:11], vcc
	s_cbranch_execz .LBB446_632
; %bb.631:
	v_and_b32_e32 v20, 7, v12
	v_ffbh_u32_e32 v22, v20
	v_min_u32_e32 v26, 32, v22
	v_subrev_u32_e32 v22, 28, v26
	v_lshlrev_b64 v[22:23], v22, v[12:13]
	v_lshrrev_b32_e32 v24, 3, v21
	v_sub_u32_e32 v12, 29, v26
	v_and_b32_e32 v22, 7, v22
	v_cmp_gt_u32_e32 vcc, 8, v21
	v_cndmask_b32_e32 v12, v24, v12, vcc
	v_cndmask_b32_e32 v20, v20, v22, vcc
	v_lshlrev_b32_e32 v10, 16, v10
	v_bfrev_b32_e32 v21, 60
	v_lshlrev_b32_e32 v20, 20, v20
	v_and_b32_e32 v10, 0x80000000, v10
	v_lshl_add_u32 v12, v12, 23, v21
	v_or3_b32 v20, v10, v12, v20
.LBB446_632:
	s_or_b64 exec, exec, s[10:11]
.LBB446_633:
	s_or_b64 exec, exec, s[6:7]
.LBB446_634:
	s_or_b64 exec, exec, s[4:5]
	s_movk_i32 s3, 0xff
	v_and_b32_sdwa v12, v7, s3 dst_sel:DWORD dst_unused:UNUSED_PAD src0_sel:WORD_1 src1_sel:DWORD
	v_lshrrev_b32_e32 v10, 16, v7
	v_cmp_ne_u16_e32 vcc, 0, v12
	s_and_saveexec_b64 s[4:5], vcc
	s_cbranch_execz .LBB446_640
; %bb.635:
	s_movk_i32 s3, 0x80
	v_cmp_ne_u16_e32 vcc, s3, v12
	v_bfrev_b32_e32 v19, 1
	s_and_saveexec_b64 s[6:7], vcc
	s_cbranch_execz .LBB446_639
; %bb.636:
	v_bfe_u32 v12, v7, 16, 7
	s_movk_i32 s3, 0x7f
	v_cmp_ne_u32_e32 vcc, s3, v12
	v_mov_b32_e32 v19, 0x7f800001
	s_and_saveexec_b64 s[10:11], vcc
	s_cbranch_execz .LBB446_638
; %bb.637:
	v_and_b32_e32 v19, 7, v10
	v_ffbh_u32_e32 v22, v19
	v_min_u32_e32 v24, 32, v22
	v_subrev_u32_e32 v22, 28, v24
	v_lshlrev_b64 v[22:23], v22, v[10:11]
	v_and_b32_e32 v22, 7, v22
	v_cmp_gt_u32_e32 vcc, 8, v12
	v_lshrrev_b32_e32 v21, 3, v12
	v_sub_u32_e32 v10, 29, v24
	v_cndmask_b32_e32 v12, v19, v22, vcc
	v_mov_b32_e32 v19, 24
	v_cndmask_b32_e32 v10, v21, v10, vcc
	v_lshlrev_b32_sdwa v19, v19, v7 dst_sel:DWORD dst_unused:UNUSED_PAD src0_sel:DWORD src1_sel:WORD_1
	v_bfrev_b32_e32 v21, 60
	v_lshlrev_b32_e32 v12, 20, v12
	v_and_b32_e32 v19, 0x80000000, v19
	v_lshl_add_u32 v10, v10, 23, v21
	v_or3_b32 v19, v19, v10, v12
.LBB446_638:
	s_or_b64 exec, exec, s[10:11]
.LBB446_639:
	s_or_b64 exec, exec, s[6:7]
.LBB446_640:
	s_or_b64 exec, exec, s[4:5]
	s_mov_b32 s4, -1
	s_mov_b32 s5, 0xffffff
	v_cmp_lt_u64_e32 vcc, s[4:5], v[6:7]
	v_mov_b32_e32 v12, 0
	v_mov_b32_e32 v10, 0
	s_and_saveexec_b64 s[4:5], vcc
	s_cbranch_execz .LBB446_646
; %bb.641:
	v_lshrrev_b32_e32 v6, 24, v7
	s_movk_i32 s3, 0x80
	v_cmp_ne_u32_e32 vcc, s3, v6
	v_bfrev_b32_e32 v10, 1
	s_and_saveexec_b64 s[6:7], vcc
	s_cbranch_execz .LBB446_645
; %bb.642:
	v_bfe_u32 v7, v7, 24, 7
	s_movk_i32 s3, 0x7f
	v_cmp_ne_u32_e32 vcc, s3, v7
	v_mov_b32_e32 v10, 0x7f800001
	s_and_saveexec_b64 s[10:11], vcc
	s_cbranch_execz .LBB446_644
; %bb.643:
	v_and_b32_e32 v10, 7, v6
	v_ffbh_u32_e32 v22, v10
	v_min_u32_e32 v24, 32, v22
	v_subrev_u32_e32 v22, 28, v24
	v_lshlrev_b64 v[22:23], v22, v[6:7]
	v_lshrrev_b32_e32 v21, 3, v7
	v_sub_u32_e32 v23, 29, v24
	v_and_b32_e32 v22, 7, v22
	v_cmp_gt_u32_e32 vcc, 8, v7
	v_cndmask_b32_e32 v7, v21, v23, vcc
	v_cndmask_b32_e32 v10, v10, v22, vcc
	v_lshlrev_b32_e32 v6, 24, v6
	v_bfrev_b32_e32 v21, 60
	v_lshlrev_b32_e32 v10, 20, v10
	v_and_b32_e32 v6, 0x80000000, v6
	v_lshl_add_u32 v7, v7, 23, v21
	v_or3_b32 v10, v6, v7, v10
.LBB446_644:
	s_or_b64 exec, exec, s[10:11]
.LBB446_645:
	s_or_b64 exec, exec, s[6:7]
.LBB446_646:
	s_or_b64 exec, exec, s[4:5]
	v_cvt_pkrtz_f16_f32 v6, v16, v17
	v_cvt_pkrtz_f16_f32 v7, v13, v18
	;; [unrolled: 1-line block ×4, first 2 shown]
	v_mfma_f32_4x4x4f16 a[0:3], v[14:15], v[6:7], a[0:3] cbsz:4 abid:8
	v_cmp_ne_u16_sdwa s[6:7], v8, v12 src0_sel:BYTE_0 src1_sel:DWORD
	v_mfma_f32_4x4x4f16 a[0:3], v[14:15], v[16:17], a[0:3] cbsz:4 abid:9
	s_and_saveexec_b64 s[4:5], s[6:7]
	s_cbranch_execz .LBB446_652
; %bb.647:
	s_movk_i32 s3, 0x80
	v_cmp_ne_u16_sdwa s[10:11], v8, s3 src0_sel:BYTE_0 src1_sel:DWORD
	v_bfrev_b32_e32 v12, 1
	s_and_saveexec_b64 s[6:7], s[10:11]
	s_cbranch_execz .LBB446_651
; %bb.648:
	s_movk_i32 s3, 0x7f
	v_and_b32_e32 v6, 0x7f, v8
	v_cmp_ne_u32_e32 vcc, s3, v6
	v_mov_b32_e32 v12, 0x7f800001
	s_and_saveexec_b64 s[10:11], vcc
	s_cbranch_execz .LBB446_650
; %bb.649:
	v_and_b32_e32 v7, 7, v8
	v_ffbh_u32_e32 v7, v7
	v_min_u32_e32 v7, 32, v7
	v_subrev_u32_e32 v11, 28, v7
	v_cmp_gt_u32_e32 vcc, 8, v6
	v_lshrrev_b32_e32 v10, 3, v6
	v_sub_u32_e32 v7, 29, v7
	v_cndmask_b32_e32 v6, 0, v11, vcc
	v_cndmask_b32_e32 v10, v10, v7, vcc
	v_lshlrev_b64 v[6:7], v6, v[8:9]
	v_lshlrev_b32_e32 v6, 20, v6
	v_lshlrev_b32_e32 v7, 24, v8
	v_bfrev_b32_e32 v11, 60
	v_and_b32_e32 v6, 0x700000, v6
	v_and_b32_e32 v7, 0x80000000, v7
	v_lshl_add_u32 v10, v10, 23, v11
	v_or3_b32 v12, v7, v10, v6
.LBB446_650:
	s_or_b64 exec, exec, s[10:11]
.LBB446_651:
	s_or_b64 exec, exec, s[6:7]
.LBB446_652:
	s_or_b64 exec, exec, s[4:5]
	v_lshrrev_b16_e32 v6, 8, v8
	v_cmp_ne_u16_e32 vcc, 0, v6
	v_mov_b32_e32 v11, 0
	v_mov_b32_e32 v13, 0
	s_and_saveexec_b64 s[4:5], vcc
	s_cbranch_execz .LBB446_658
; %bb.653:
	s_movk_i32 s3, 0x80
	v_cmp_ne_u16_e32 vcc, s3, v6
	v_bfrev_b32_e32 v13, 1
	s_and_saveexec_b64 s[6:7], vcc
	s_cbranch_execz .LBB446_657
; %bb.654:
	s_movk_i32 s3, 0x7f
	v_and_b32_e32 v7, 0x7f, v6
	v_cmp_ne_u32_e32 vcc, s3, v7
	v_mov_b32_e32 v13, 0x7f800001
	s_and_saveexec_b64 s[10:11], vcc
	s_cbranch_execz .LBB446_656
; %bb.655:
	v_and_b32_e32 v10, 7, v6
	v_ffbh_u32_e32 v16, v10
	v_min_u32_e32 v18, 32, v16
	v_subrev_u32_e32 v16, 28, v18
	v_lshlrev_b64 v[16:17], v16, v[6:7]
	v_lshrrev_b32_e32 v13, 3, v7
	v_sub_u32_e32 v6, 29, v18
	v_and_b32_e32 v16, 7, v16
	v_cmp_gt_u32_e32 vcc, 8, v7
	v_cndmask_b32_e32 v6, v13, v6, vcc
	v_cndmask_b32_e32 v7, v10, v16, vcc
	v_lshlrev_b32_e32 v10, 16, v8
	v_bfrev_b32_e32 v13, 60
	v_lshlrev_b32_e32 v7, 20, v7
	v_and_b32_e32 v10, 0x80000000, v10
	v_lshl_add_u32 v6, v6, 23, v13
	v_or3_b32 v13, v10, v6, v7
.LBB446_656:
	s_or_b64 exec, exec, s[10:11]
.LBB446_657:
	s_or_b64 exec, exec, s[6:7]
.LBB446_658:
	s_or_b64 exec, exec, s[4:5]
	s_movk_i32 s3, 0xff
	v_and_b32_sdwa v7, v8, s3 dst_sel:DWORD dst_unused:UNUSED_PAD src0_sel:WORD_1 src1_sel:DWORD
	v_lshrrev_b32_e32 v6, 16, v8
	v_cmp_ne_u16_e32 vcc, 0, v7
	s_and_saveexec_b64 s[4:5], vcc
	s_cbranch_execz .LBB446_664
; %bb.659:
	s_movk_i32 s3, 0x80
	v_cmp_ne_u16_e32 vcc, s3, v7
	v_bfrev_b32_e32 v11, 1
	s_and_saveexec_b64 s[6:7], vcc
	s_cbranch_execz .LBB446_663
; %bb.660:
	v_bfe_u32 v7, v8, 16, 7
	s_movk_i32 s3, 0x7f
	v_cmp_ne_u32_e32 vcc, s3, v7
	v_mov_b32_e32 v11, 0x7f800001
	s_and_saveexec_b64 s[10:11], vcc
	s_cbranch_execz .LBB446_662
; %bb.661:
	v_and_b32_e32 v16, 7, v6
	v_ffbh_u32_e32 v10, v16
	v_min_u32_e32 v18, 32, v10
	v_subrev_u32_e32 v10, 28, v18
	v_lshlrev_b64 v[10:11], v10, v[6:7]
	v_and_b32_e32 v10, 7, v10
	v_cmp_gt_u32_e32 vcc, 8, v7
	v_lshrrev_b32_e32 v17, 3, v7
	v_sub_u32_e32 v6, 29, v18
	v_cndmask_b32_e32 v7, v16, v10, vcc
	v_mov_b32_e32 v10, 24
	v_cndmask_b32_e32 v6, v17, v6, vcc
	v_lshlrev_b32_sdwa v10, v10, v8 dst_sel:DWORD dst_unused:UNUSED_PAD src0_sel:DWORD src1_sel:WORD_1
	v_bfrev_b32_e32 v11, 60
	v_lshlrev_b32_e32 v7, 20, v7
	v_and_b32_e32 v10, 0x80000000, v10
	v_lshl_add_u32 v6, v6, 23, v11
	v_or3_b32 v11, v10, v6, v7
.LBB446_662:
	s_or_b64 exec, exec, s[10:11]
.LBB446_663:
	s_or_b64 exec, exec, s[6:7]
.LBB446_664:
	s_or_b64 exec, exec, s[4:5]
	s_mov_b32 s3, 0xffffff
	v_cmp_lt_u32_e32 vcc, s3, v8
	v_mov_b32_e32 v7, 0
	v_mov_b32_e32 v16, 0
	s_and_saveexec_b64 s[4:5], vcc
	s_cbranch_execz .LBB446_670
; %bb.665:
	v_lshrrev_b32_e32 v6, 24, v8
	s_movk_i32 s3, 0x80
	v_cmp_ne_u32_e32 vcc, s3, v6
	v_bfrev_b32_e32 v16, 1
	s_and_saveexec_b64 s[6:7], vcc
	s_cbranch_execz .LBB446_669
; %bb.666:
	v_bfe_u32 v10, v8, 24, 7
	s_movk_i32 s3, 0x7f
	v_cmp_ne_u32_e32 vcc, s3, v10
	v_mov_b32_e32 v16, 0x7f800001
	s_and_saveexec_b64 s[10:11], vcc
	s_cbranch_execz .LBB446_668
; %bb.667:
	v_and_b32_e32 v18, 7, v6
	v_ffbh_u32_e32 v16, v18
	v_min_u32_e32 v20, 32, v16
	v_subrev_u32_e32 v16, 28, v20
	v_lshlrev_b64 v[16:17], v16, v[6:7]
	v_lshrrev_b32_e32 v19, 3, v10
	v_sub_u32_e32 v17, 29, v20
	v_and_b32_e32 v16, 7, v16
	v_cmp_gt_u32_e32 vcc, 8, v10
	v_cndmask_b32_e32 v10, v19, v17, vcc
	v_cndmask_b32_e32 v16, v18, v16, vcc
	v_lshlrev_b32_e32 v6, 24, v6
	v_bfrev_b32_e32 v17, 60
	v_lshlrev_b32_e32 v16, 20, v16
	v_and_b32_e32 v6, 0x80000000, v6
	v_lshl_add_u32 v10, v10, 23, v17
	v_or3_b32 v16, v6, v10, v16
.LBB446_668:
	s_or_b64 exec, exec, s[10:11]
.LBB446_669:
	s_or_b64 exec, exec, s[6:7]
.LBB446_670:
	s_or_b64 exec, exec, s[4:5]
	v_mov_b32_e32 v6, v9
	v_cmp_ne_u16_sdwa s[6:7], v9, v7 src0_sel:BYTE_0 src1_sel:DWORD
	s_and_saveexec_b64 s[4:5], s[6:7]
	s_cbranch_execz .LBB446_676
; %bb.671:
	s_movk_i32 s3, 0x80
	v_cmp_ne_u16_sdwa s[10:11], v9, s3 src0_sel:BYTE_0 src1_sel:DWORD
	v_bfrev_b32_e32 v10, 1
	s_and_saveexec_b64 s[6:7], s[10:11]
	s_cbranch_execz .LBB446_675
; %bb.672:
	s_movk_i32 s3, 0x7f
	v_and_b32_e32 v17, 0x7f, v9
	v_cmp_ne_u32_e32 vcc, s3, v17
	v_mov_b32_e32 v10, 0x7f800001
	s_and_saveexec_b64 s[10:11], vcc
	s_cbranch_execz .LBB446_674
; %bb.673:
	v_and_b32_e32 v10, 7, v9
	v_ffbh_u32_e32 v10, v10
	v_min_u32_e32 v10, 32, v10
	v_subrev_u32_e32 v19, 28, v10
	v_cmp_gt_u32_e32 vcc, 8, v17
	v_lshrrev_b32_e32 v18, 3, v17
	v_sub_u32_e32 v10, 29, v10
	v_cndmask_b32_e32 v17, 0, v19, vcc
	v_cndmask_b32_e32 v10, v18, v10, vcc
	v_lshlrev_b64 v[18:19], v17, v[6:7]
	v_lshlrev_b32_e32 v7, 20, v18
	v_lshlrev_b32_e32 v17, 24, v6
	v_bfrev_b32_e32 v18, 60
	v_and_b32_e32 v7, 0x700000, v7
	v_and_b32_e32 v17, 0x80000000, v17
	v_lshl_add_u32 v10, v10, 23, v18
	v_or3_b32 v10, v17, v10, v7
.LBB446_674:
	s_or_b64 exec, exec, s[10:11]
.LBB446_675:
	s_or_b64 exec, exec, s[6:7]
	v_mov_b32_e32 v7, v10
.LBB446_676:
	s_or_b64 exec, exec, s[4:5]
	v_lshrrev_b16_e32 v10, 8, v6
	v_cmp_ne_u16_e32 vcc, 0, v10
	v_mov_b32_e32 v17, 0
	v_mov_b32_e32 v18, 0
	s_and_saveexec_b64 s[4:5], vcc
	s_cbranch_execz .LBB446_682
; %bb.677:
	s_movk_i32 s3, 0x80
	v_cmp_ne_u16_e32 vcc, s3, v10
	v_bfrev_b32_e32 v18, 1
	s_and_saveexec_b64 s[6:7], vcc
	s_cbranch_execz .LBB446_681
; %bb.678:
	s_movk_i32 s3, 0x7f
	v_and_b32_e32 v19, 0x7f, v10
	v_cmp_ne_u32_e32 vcc, s3, v19
	v_mov_b32_e32 v18, 0x7f800001
	s_and_saveexec_b64 s[10:11], vcc
	s_cbranch_execz .LBB446_680
; %bb.679:
	v_and_b32_e32 v18, 7, v10
	v_ffbh_u32_e32 v20, v18
	v_min_u32_e32 v23, 32, v20
	v_subrev_u32_e32 v20, 28, v23
	v_lshlrev_b64 v[20:21], v20, v[10:11]
	v_lshrrev_b32_e32 v22, 3, v19
	v_sub_u32_e32 v10, 29, v23
	v_and_b32_e32 v20, 7, v20
	v_cmp_gt_u32_e32 vcc, 8, v19
	v_cndmask_b32_e32 v10, v22, v10, vcc
	v_cndmask_b32_e32 v18, v18, v20, vcc
	v_lshlrev_b32_e32 v6, 16, v6
	v_bfrev_b32_e32 v19, 60
	v_lshlrev_b32_e32 v18, 20, v18
	v_and_b32_e32 v6, 0x80000000, v6
	v_lshl_add_u32 v10, v10, 23, v19
	v_or3_b32 v18, v6, v10, v18
.LBB446_680:
	s_or_b64 exec, exec, s[10:11]
.LBB446_681:
	s_or_b64 exec, exec, s[6:7]
.LBB446_682:
	s_or_b64 exec, exec, s[4:5]
	s_movk_i32 s3, 0xff
	v_and_b32_sdwa v10, v9, s3 dst_sel:DWORD dst_unused:UNUSED_PAD src0_sel:WORD_1 src1_sel:DWORD
	v_lshrrev_b32_e32 v6, 16, v9
	v_cmp_ne_u16_e32 vcc, 0, v10
	s_and_saveexec_b64 s[4:5], vcc
	s_cbranch_execz .LBB446_688
; %bb.683:
	s_movk_i32 s3, 0x80
	v_cmp_ne_u16_e32 vcc, s3, v10
	v_bfrev_b32_e32 v17, 1
	s_and_saveexec_b64 s[6:7], vcc
	s_cbranch_execz .LBB446_687
; %bb.684:
	v_bfe_u32 v10, v9, 16, 7
	s_movk_i32 s3, 0x7f
	v_cmp_ne_u32_e32 vcc, s3, v10
	v_mov_b32_e32 v17, 0x7f800001
	s_and_saveexec_b64 s[10:11], vcc
	s_cbranch_execz .LBB446_686
; %bb.685:
	v_and_b32_e32 v17, 7, v6
	v_ffbh_u32_e32 v20, v17
	v_min_u32_e32 v22, 32, v20
	v_subrev_u32_e32 v20, 28, v22
	v_lshlrev_b64 v[20:21], v20, v[6:7]
	v_and_b32_e32 v20, 7, v20
	v_cmp_gt_u32_e32 vcc, 8, v10
	v_lshrrev_b32_e32 v19, 3, v10
	v_sub_u32_e32 v6, 29, v22
	v_cndmask_b32_e32 v10, v17, v20, vcc
	v_mov_b32_e32 v17, 24
	v_cndmask_b32_e32 v6, v19, v6, vcc
	v_lshlrev_b32_sdwa v17, v17, v9 dst_sel:DWORD dst_unused:UNUSED_PAD src0_sel:DWORD src1_sel:WORD_1
	v_bfrev_b32_e32 v19, 60
	v_lshlrev_b32_e32 v10, 20, v10
	v_and_b32_e32 v17, 0x80000000, v17
	v_lshl_add_u32 v6, v6, 23, v19
	v_or3_b32 v17, v17, v6, v10
.LBB446_686:
	s_or_b64 exec, exec, s[10:11]
.LBB446_687:
	s_or_b64 exec, exec, s[6:7]
.LBB446_688:
	s_or_b64 exec, exec, s[4:5]
	s_mov_b32 s4, -1
	s_mov_b32 s5, 0xffffff
	v_cmp_lt_u64_e32 vcc, s[4:5], v[8:9]
	v_mov_b32_e32 v10, 0
	v_mov_b32_e32 v8, 0
	s_and_saveexec_b64 s[4:5], vcc
	s_cbranch_execz .LBB446_694
; %bb.689:
	v_lshrrev_b32_e32 v6, 24, v9
	s_movk_i32 s3, 0x80
	v_cmp_ne_u32_e32 vcc, s3, v6
	v_bfrev_b32_e32 v8, 1
	s_and_saveexec_b64 s[6:7], vcc
	s_cbranch_execz .LBB446_693
; %bb.690:
	v_bfe_u32 v9, v9, 24, 7
	s_movk_i32 s3, 0x7f
	v_cmp_ne_u32_e32 vcc, s3, v9
	v_mov_b32_e32 v8, 0x7f800001
	s_and_saveexec_b64 s[10:11], vcc
	s_cbranch_execz .LBB446_692
; %bb.691:
	v_and_b32_e32 v8, 7, v6
	v_ffbh_u32_e32 v20, v8
	v_min_u32_e32 v22, 32, v20
	v_subrev_u32_e32 v20, 28, v22
	v_lshlrev_b64 v[20:21], v20, v[6:7]
	v_lshrrev_b32_e32 v19, 3, v9
	v_sub_u32_e32 v21, 29, v22
	v_and_b32_e32 v20, 7, v20
	v_cmp_gt_u32_e32 vcc, 8, v9
	v_cndmask_b32_e32 v9, v19, v21, vcc
	v_cndmask_b32_e32 v8, v8, v20, vcc
	v_lshlrev_b32_e32 v6, 24, v6
	v_bfrev_b32_e32 v19, 60
	v_lshlrev_b32_e32 v8, 20, v8
	v_and_b32_e32 v6, 0x80000000, v6
	v_lshl_add_u32 v9, v9, 23, v19
	v_or3_b32 v8, v6, v9, v8
.LBB446_692:
	s_or_b64 exec, exec, s[10:11]
.LBB446_693:
	s_or_b64 exec, exec, s[6:7]
.LBB446_694:
	s_or_b64 exec, exec, s[4:5]
	v_cvt_pkrtz_f16_f32 v12, v12, v13
	v_cvt_pkrtz_f16_f32 v13, v11, v16
	;; [unrolled: 1-line block ×4, first 2 shown]
	v_mfma_f32_4x4x4f16 a[0:3], v[14:15], v[12:13], a[0:3] cbsz:4 abid:10
	v_cmp_ne_u16_sdwa s[6:7], v2, v10 src0_sel:BYTE_0 src1_sel:DWORD
	v_mfma_f32_4x4x4f16 a[0:3], v[14:15], v[6:7], a[0:3] cbsz:4 abid:11
	s_and_saveexec_b64 s[4:5], s[6:7]
	s_cbranch_execz .LBB446_700
; %bb.695:
	s_movk_i32 s3, 0x80
	v_cmp_ne_u16_sdwa s[10:11], v2, s3 src0_sel:BYTE_0 src1_sel:DWORD
	v_bfrev_b32_e32 v10, 1
	s_and_saveexec_b64 s[6:7], s[10:11]
	s_cbranch_execz .LBB446_699
; %bb.696:
	s_movk_i32 s3, 0x7f
	v_and_b32_e32 v6, 0x7f, v2
	v_cmp_ne_u32_e32 vcc, s3, v6
	v_mov_b32_e32 v10, 0x7f800001
	s_and_saveexec_b64 s[10:11], vcc
	s_cbranch_execz .LBB446_698
; %bb.697:
	v_and_b32_e32 v7, 7, v2
	v_ffbh_u32_e32 v7, v7
	v_min_u32_e32 v7, 32, v7
	v_subrev_u32_e32 v9, 28, v7
	v_cmp_gt_u32_e32 vcc, 8, v6
	v_lshrrev_b32_e32 v8, 3, v6
	v_sub_u32_e32 v7, 29, v7
	v_cndmask_b32_e32 v6, 0, v9, vcc
	v_cndmask_b32_e32 v8, v8, v7, vcc
	v_lshlrev_b64 v[6:7], v6, v[2:3]
	v_lshlrev_b32_e32 v6, 20, v6
	v_lshlrev_b32_e32 v7, 24, v2
	v_bfrev_b32_e32 v9, 60
	v_and_b32_e32 v6, 0x700000, v6
	v_and_b32_e32 v7, 0x80000000, v7
	v_lshl_add_u32 v8, v8, 23, v9
	v_or3_b32 v10, v7, v8, v6
.LBB446_698:
	s_or_b64 exec, exec, s[10:11]
.LBB446_699:
	s_or_b64 exec, exec, s[6:7]
.LBB446_700:
	s_or_b64 exec, exec, s[4:5]
	v_lshrrev_b16_e32 v6, 8, v2
	v_cmp_ne_u16_e32 vcc, 0, v6
	v_mov_b32_e32 v9, 0
	v_mov_b32_e32 v11, 0
	s_and_saveexec_b64 s[4:5], vcc
	s_cbranch_execz .LBB446_706
; %bb.701:
	s_movk_i32 s3, 0x80
	v_cmp_ne_u16_e32 vcc, s3, v6
	v_bfrev_b32_e32 v11, 1
	s_and_saveexec_b64 s[6:7], vcc
	s_cbranch_execz .LBB446_705
; %bb.702:
	s_movk_i32 s3, 0x7f
	v_and_b32_e32 v7, 0x7f, v6
	v_cmp_ne_u32_e32 vcc, s3, v7
	v_mov_b32_e32 v11, 0x7f800001
	s_and_saveexec_b64 s[10:11], vcc
	s_cbranch_execz .LBB446_704
; %bb.703:
	v_and_b32_e32 v8, 7, v6
	v_ffbh_u32_e32 v12, v8
	v_min_u32_e32 v16, 32, v12
	v_subrev_u32_e32 v12, 28, v16
	v_lshlrev_b64 v[12:13], v12, v[6:7]
	v_lshrrev_b32_e32 v11, 3, v7
	v_sub_u32_e32 v6, 29, v16
	v_and_b32_e32 v12, 7, v12
	v_cmp_gt_u32_e32 vcc, 8, v7
	v_cndmask_b32_e32 v6, v11, v6, vcc
	v_cndmask_b32_e32 v7, v8, v12, vcc
	v_lshlrev_b32_e32 v8, 16, v2
	v_bfrev_b32_e32 v11, 60
	v_lshlrev_b32_e32 v7, 20, v7
	v_and_b32_e32 v8, 0x80000000, v8
	v_lshl_add_u32 v6, v6, 23, v11
	v_or3_b32 v11, v8, v6, v7
.LBB446_704:
	s_or_b64 exec, exec, s[10:11]
.LBB446_705:
	s_or_b64 exec, exec, s[6:7]
.LBB446_706:
	s_or_b64 exec, exec, s[4:5]
	s_movk_i32 s3, 0xff
	v_and_b32_sdwa v7, v2, s3 dst_sel:DWORD dst_unused:UNUSED_PAD src0_sel:WORD_1 src1_sel:DWORD
	v_lshrrev_b32_e32 v6, 16, v2
	v_cmp_ne_u16_e32 vcc, 0, v7
	s_and_saveexec_b64 s[4:5], vcc
	s_cbranch_execz .LBB446_712
; %bb.707:
	s_movk_i32 s3, 0x80
	v_cmp_ne_u16_e32 vcc, s3, v7
	v_bfrev_b32_e32 v9, 1
	s_and_saveexec_b64 s[6:7], vcc
	s_cbranch_execz .LBB446_711
; %bb.708:
	v_bfe_u32 v7, v2, 16, 7
	s_movk_i32 s3, 0x7f
	v_cmp_ne_u32_e32 vcc, s3, v7
	v_mov_b32_e32 v9, 0x7f800001
	s_and_saveexec_b64 s[10:11], vcc
	s_cbranch_execz .LBB446_710
; %bb.709:
	v_and_b32_e32 v12, 7, v6
	v_ffbh_u32_e32 v8, v12
	v_min_u32_e32 v16, 32, v8
	v_subrev_u32_e32 v8, 28, v16
	v_lshlrev_b64 v[8:9], v8, v[6:7]
	v_and_b32_e32 v8, 7, v8
	v_cmp_gt_u32_e32 vcc, 8, v7
	v_lshrrev_b32_e32 v13, 3, v7
	v_sub_u32_e32 v6, 29, v16
	v_cndmask_b32_e32 v7, v12, v8, vcc
	v_mov_b32_e32 v8, 24
	v_cndmask_b32_e32 v6, v13, v6, vcc
	v_lshlrev_b32_sdwa v8, v8, v2 dst_sel:DWORD dst_unused:UNUSED_PAD src0_sel:DWORD src1_sel:WORD_1
	v_bfrev_b32_e32 v9, 60
	v_lshlrev_b32_e32 v7, 20, v7
	v_and_b32_e32 v8, 0x80000000, v8
	v_lshl_add_u32 v6, v6, 23, v9
	v_or3_b32 v9, v8, v6, v7
.LBB446_710:
	s_or_b64 exec, exec, s[10:11]
.LBB446_711:
	s_or_b64 exec, exec, s[6:7]
.LBB446_712:
	s_or_b64 exec, exec, s[4:5]
	s_mov_b32 s3, 0xffffff
	v_cmp_lt_u32_e32 vcc, s3, v2
	v_mov_b32_e32 v7, 0
	v_mov_b32_e32 v12, 0
	s_and_saveexec_b64 s[4:5], vcc
	s_cbranch_execz .LBB446_718
; %bb.713:
	v_lshrrev_b32_e32 v6, 24, v2
	s_movk_i32 s3, 0x80
	v_cmp_ne_u32_e32 vcc, s3, v6
	v_bfrev_b32_e32 v12, 1
	s_and_saveexec_b64 s[6:7], vcc
	s_cbranch_execz .LBB446_717
; %bb.714:
	v_bfe_u32 v8, v2, 24, 7
	s_movk_i32 s3, 0x7f
	v_cmp_ne_u32_e32 vcc, s3, v8
	v_mov_b32_e32 v12, 0x7f800001
	s_and_saveexec_b64 s[10:11], vcc
	s_cbranch_execz .LBB446_716
; %bb.715:
	v_and_b32_e32 v16, 7, v6
	v_ffbh_u32_e32 v12, v16
	v_min_u32_e32 v18, 32, v12
	v_subrev_u32_e32 v12, 28, v18
	v_lshlrev_b64 v[12:13], v12, v[6:7]
	v_lshrrev_b32_e32 v17, 3, v8
	v_sub_u32_e32 v13, 29, v18
	v_and_b32_e32 v12, 7, v12
	v_cmp_gt_u32_e32 vcc, 8, v8
	v_cndmask_b32_e32 v8, v17, v13, vcc
	v_cndmask_b32_e32 v12, v16, v12, vcc
	v_lshlrev_b32_e32 v6, 24, v6
	v_bfrev_b32_e32 v13, 60
	v_lshlrev_b32_e32 v12, 20, v12
	v_and_b32_e32 v6, 0x80000000, v6
	v_lshl_add_u32 v8, v8, 23, v13
	v_or3_b32 v12, v6, v8, v12
.LBB446_716:
	s_or_b64 exec, exec, s[10:11]
.LBB446_717:
	s_or_b64 exec, exec, s[6:7]
.LBB446_718:
	s_or_b64 exec, exec, s[4:5]
	v_mov_b32_e32 v6, v3
	v_cmp_ne_u16_sdwa s[6:7], v3, v7 src0_sel:BYTE_0 src1_sel:DWORD
	s_and_saveexec_b64 s[4:5], s[6:7]
	s_cbranch_execz .LBB446_724
; %bb.719:
	s_movk_i32 s3, 0x80
	v_cmp_ne_u16_sdwa s[10:11], v3, s3 src0_sel:BYTE_0 src1_sel:DWORD
	v_bfrev_b32_e32 v8, 1
	s_and_saveexec_b64 s[6:7], s[10:11]
	s_cbranch_execz .LBB446_723
; %bb.720:
	s_movk_i32 s3, 0x7f
	v_and_b32_e32 v13, 0x7f, v3
	v_cmp_ne_u32_e32 vcc, s3, v13
	v_mov_b32_e32 v8, 0x7f800001
	s_and_saveexec_b64 s[10:11], vcc
	s_cbranch_execz .LBB446_722
; %bb.721:
	v_and_b32_e32 v8, 7, v3
	v_ffbh_u32_e32 v8, v8
	v_min_u32_e32 v8, 32, v8
	v_subrev_u32_e32 v17, 28, v8
	v_cmp_gt_u32_e32 vcc, 8, v13
	v_lshrrev_b32_e32 v16, 3, v13
	v_sub_u32_e32 v8, 29, v8
	v_cndmask_b32_e32 v13, 0, v17, vcc
	v_cndmask_b32_e32 v8, v16, v8, vcc
	v_lshlrev_b64 v[16:17], v13, v[6:7]
	v_lshlrev_b32_e32 v7, 20, v16
	v_lshlrev_b32_e32 v13, 24, v6
	v_bfrev_b32_e32 v16, 60
	v_and_b32_e32 v7, 0x700000, v7
	v_and_b32_e32 v13, 0x80000000, v13
	v_lshl_add_u32 v8, v8, 23, v16
	v_or3_b32 v8, v13, v8, v7
.LBB446_722:
	s_or_b64 exec, exec, s[10:11]
.LBB446_723:
	s_or_b64 exec, exec, s[6:7]
	v_mov_b32_e32 v7, v8
.LBB446_724:
	s_or_b64 exec, exec, s[4:5]
	v_lshrrev_b16_e32 v8, 8, v6
	v_cmp_ne_u16_e32 vcc, 0, v8
	v_mov_b32_e32 v13, 0
	v_mov_b32_e32 v16, 0
	s_and_saveexec_b64 s[4:5], vcc
	s_cbranch_execz .LBB446_730
; %bb.725:
	s_movk_i32 s3, 0x80
	v_cmp_ne_u16_e32 vcc, s3, v8
	v_bfrev_b32_e32 v16, 1
	s_and_saveexec_b64 s[6:7], vcc
	s_cbranch_execz .LBB446_729
; %bb.726:
	s_movk_i32 s3, 0x7f
	v_and_b32_e32 v17, 0x7f, v8
	v_cmp_ne_u32_e32 vcc, s3, v17
	v_mov_b32_e32 v16, 0x7f800001
	s_and_saveexec_b64 s[10:11], vcc
	s_cbranch_execz .LBB446_728
; %bb.727:
	v_and_b32_e32 v16, 7, v8
	v_ffbh_u32_e32 v18, v16
	v_min_u32_e32 v21, 32, v18
	v_subrev_u32_e32 v18, 28, v21
	v_lshlrev_b64 v[18:19], v18, v[8:9]
	v_lshrrev_b32_e32 v20, 3, v17
	v_sub_u32_e32 v8, 29, v21
	v_and_b32_e32 v18, 7, v18
	v_cmp_gt_u32_e32 vcc, 8, v17
	v_cndmask_b32_e32 v8, v20, v8, vcc
	v_cndmask_b32_e32 v16, v16, v18, vcc
	v_lshlrev_b32_e32 v6, 16, v6
	v_bfrev_b32_e32 v17, 60
	v_lshlrev_b32_e32 v16, 20, v16
	v_and_b32_e32 v6, 0x80000000, v6
	v_lshl_add_u32 v8, v8, 23, v17
	v_or3_b32 v16, v6, v8, v16
.LBB446_728:
	s_or_b64 exec, exec, s[10:11]
.LBB446_729:
	s_or_b64 exec, exec, s[6:7]
.LBB446_730:
	s_or_b64 exec, exec, s[4:5]
	s_movk_i32 s3, 0xff
	v_and_b32_sdwa v8, v3, s3 dst_sel:DWORD dst_unused:UNUSED_PAD src0_sel:WORD_1 src1_sel:DWORD
	v_lshrrev_b32_e32 v6, 16, v3
	v_cmp_ne_u16_e32 vcc, 0, v8
	s_and_saveexec_b64 s[4:5], vcc
	s_cbranch_execz .LBB446_736
; %bb.731:
	s_movk_i32 s3, 0x80
	v_cmp_ne_u16_e32 vcc, s3, v8
	v_bfrev_b32_e32 v13, 1
	s_and_saveexec_b64 s[6:7], vcc
	s_cbranch_execz .LBB446_735
; %bb.732:
	v_bfe_u32 v8, v3, 16, 7
	s_movk_i32 s3, 0x7f
	v_cmp_ne_u32_e32 vcc, s3, v8
	v_mov_b32_e32 v13, 0x7f800001
	s_and_saveexec_b64 s[10:11], vcc
	s_cbranch_execz .LBB446_734
; %bb.733:
	v_and_b32_e32 v13, 7, v6
	v_ffbh_u32_e32 v18, v13
	v_min_u32_e32 v20, 32, v18
	v_subrev_u32_e32 v18, 28, v20
	v_lshlrev_b64 v[18:19], v18, v[6:7]
	v_and_b32_e32 v18, 7, v18
	v_cmp_gt_u32_e32 vcc, 8, v8
	v_lshrrev_b32_e32 v17, 3, v8
	v_sub_u32_e32 v6, 29, v20
	v_cndmask_b32_e32 v8, v13, v18, vcc
	v_mov_b32_e32 v13, 24
	v_cndmask_b32_e32 v6, v17, v6, vcc
	v_lshlrev_b32_sdwa v13, v13, v3 dst_sel:DWORD dst_unused:UNUSED_PAD src0_sel:DWORD src1_sel:WORD_1
	v_bfrev_b32_e32 v17, 60
	v_lshlrev_b32_e32 v8, 20, v8
	v_and_b32_e32 v13, 0x80000000, v13
	v_lshl_add_u32 v6, v6, 23, v17
	v_or3_b32 v13, v13, v6, v8
.LBB446_734:
	s_or_b64 exec, exec, s[10:11]
.LBB446_735:
	s_or_b64 exec, exec, s[6:7]
.LBB446_736:
	s_or_b64 exec, exec, s[4:5]
	s_mov_b32 s4, -1
	s_mov_b32 s5, 0xffffff
	v_cmp_lt_u64_e32 vcc, s[4:5], v[2:3]
	v_mov_b32_e32 v8, 0
	v_mov_b32_e32 v6, 0
	s_and_saveexec_b64 s[4:5], vcc
	s_cbranch_execz .LBB446_742
; %bb.737:
	v_lshrrev_b32_e32 v2, 24, v3
	s_movk_i32 s3, 0x80
	v_cmp_ne_u32_e32 vcc, s3, v2
	v_bfrev_b32_e32 v6, 1
	s_and_saveexec_b64 s[6:7], vcc
	s_cbranch_execz .LBB446_741
; %bb.738:
	v_bfe_u32 v3, v3, 24, 7
	s_movk_i32 s3, 0x7f
	v_cmp_ne_u32_e32 vcc, s3, v3
	v_mov_b32_e32 v6, 0x7f800001
	s_and_saveexec_b64 s[10:11], vcc
	s_cbranch_execz .LBB446_740
; %bb.739:
	v_and_b32_e32 v6, 7, v2
	v_ffbh_u32_e32 v18, v6
	v_min_u32_e32 v20, 32, v18
	v_subrev_u32_e32 v18, 28, v20
	v_lshlrev_b64 v[18:19], v18, v[2:3]
	v_lshrrev_b32_e32 v17, 3, v3
	v_sub_u32_e32 v19, 29, v20
	v_and_b32_e32 v18, 7, v18
	v_cmp_gt_u32_e32 vcc, 8, v3
	v_cndmask_b32_e32 v3, v17, v19, vcc
	v_cndmask_b32_e32 v6, v6, v18, vcc
	v_lshlrev_b32_e32 v2, 24, v2
	v_bfrev_b32_e32 v17, 60
	v_lshlrev_b32_e32 v6, 20, v6
	v_and_b32_e32 v2, 0x80000000, v2
	v_lshl_add_u32 v3, v3, 23, v17
	v_or3_b32 v6, v2, v3, v6
.LBB446_740:
	s_or_b64 exec, exec, s[10:11]
.LBB446_741:
	s_or_b64 exec, exec, s[6:7]
.LBB446_742:
	s_or_b64 exec, exec, s[4:5]
	v_cvt_pkrtz_f16_f32 v2, v10, v11
	v_cvt_pkrtz_f16_f32 v3, v9, v12
	;; [unrolled: 1-line block ×4, first 2 shown]
	v_mfma_f32_4x4x4f16 a[0:3], v[14:15], v[2:3], a[0:3] cbsz:4 abid:12
	v_cmp_ne_u16_sdwa s[6:7], v4, v8 src0_sel:BYTE_0 src1_sel:DWORD
	v_mfma_f32_4x4x4f16 a[0:3], v[14:15], v[10:11], a[0:3] cbsz:4 abid:13
	s_and_saveexec_b64 s[4:5], s[6:7]
	s_cbranch_execz .LBB446_748
; %bb.743:
	s_movk_i32 s3, 0x80
	v_cmp_ne_u16_sdwa s[10:11], v4, s3 src0_sel:BYTE_0 src1_sel:DWORD
	v_bfrev_b32_e32 v8, 1
	s_and_saveexec_b64 s[6:7], s[10:11]
	s_cbranch_execz .LBB446_747
; %bb.744:
	s_movk_i32 s3, 0x7f
	v_and_b32_e32 v2, 0x7f, v4
	v_cmp_ne_u32_e32 vcc, s3, v2
	v_mov_b32_e32 v8, 0x7f800001
	s_and_saveexec_b64 s[10:11], vcc
	s_cbranch_execz .LBB446_746
; %bb.745:
	v_and_b32_e32 v3, 7, v4
	v_ffbh_u32_e32 v3, v3
	v_min_u32_e32 v3, 32, v3
	v_subrev_u32_e32 v7, 28, v3
	v_cmp_gt_u32_e32 vcc, 8, v2
	v_lshrrev_b32_e32 v6, 3, v2
	v_sub_u32_e32 v3, 29, v3
	v_cndmask_b32_e32 v2, 0, v7, vcc
	v_cndmask_b32_e32 v6, v6, v3, vcc
	v_lshlrev_b64 v[2:3], v2, v[4:5]
	v_lshlrev_b32_e32 v2, 20, v2
	v_lshlrev_b32_e32 v3, 24, v4
	v_bfrev_b32_e32 v7, 60
	v_and_b32_e32 v2, 0x700000, v2
	v_and_b32_e32 v3, 0x80000000, v3
	v_lshl_add_u32 v6, v6, 23, v7
	v_or3_b32 v8, v3, v6, v2
.LBB446_746:
	s_or_b64 exec, exec, s[10:11]
.LBB446_747:
	s_or_b64 exec, exec, s[6:7]
.LBB446_748:
	s_or_b64 exec, exec, s[4:5]
	v_lshrrev_b16_e32 v2, 8, v4
	v_cmp_ne_u16_e32 vcc, 0, v2
	v_mov_b32_e32 v7, 0
	v_mov_b32_e32 v9, 0
	s_and_saveexec_b64 s[4:5], vcc
	s_cbranch_execz .LBB446_754
; %bb.749:
	s_movk_i32 s3, 0x80
	v_cmp_ne_u16_e32 vcc, s3, v2
	v_bfrev_b32_e32 v9, 1
	s_and_saveexec_b64 s[6:7], vcc
	s_cbranch_execz .LBB446_753
; %bb.750:
	s_movk_i32 s3, 0x7f
	v_and_b32_e32 v3, 0x7f, v2
	v_cmp_ne_u32_e32 vcc, s3, v3
	v_mov_b32_e32 v9, 0x7f800001
	s_and_saveexec_b64 s[10:11], vcc
	s_cbranch_execz .LBB446_752
; %bb.751:
	v_and_b32_e32 v6, 7, v2
	v_ffbh_u32_e32 v10, v6
	v_min_u32_e32 v12, 32, v10
	v_subrev_u32_e32 v10, 28, v12
	v_lshlrev_b64 v[10:11], v10, v[2:3]
	v_lshrrev_b32_e32 v9, 3, v3
	v_sub_u32_e32 v2, 29, v12
	v_and_b32_e32 v10, 7, v10
	v_cmp_gt_u32_e32 vcc, 8, v3
	v_cndmask_b32_e32 v2, v9, v2, vcc
	v_cndmask_b32_e32 v3, v6, v10, vcc
	v_lshlrev_b32_e32 v6, 16, v4
	v_bfrev_b32_e32 v9, 60
	v_lshlrev_b32_e32 v3, 20, v3
	v_and_b32_e32 v6, 0x80000000, v6
	v_lshl_add_u32 v2, v2, 23, v9
	v_or3_b32 v9, v6, v2, v3
.LBB446_752:
	s_or_b64 exec, exec, s[10:11]
.LBB446_753:
	s_or_b64 exec, exec, s[6:7]
.LBB446_754:
	s_or_b64 exec, exec, s[4:5]
	s_movk_i32 s3, 0xff
	v_and_b32_sdwa v3, v4, s3 dst_sel:DWORD dst_unused:UNUSED_PAD src0_sel:WORD_1 src1_sel:DWORD
	v_lshrrev_b32_e32 v2, 16, v4
	v_cmp_ne_u16_e32 vcc, 0, v3
	s_and_saveexec_b64 s[4:5], vcc
	s_cbranch_execz .LBB446_760
; %bb.755:
	s_movk_i32 s3, 0x80
	v_cmp_ne_u16_e32 vcc, s3, v3
	v_bfrev_b32_e32 v7, 1
	s_and_saveexec_b64 s[6:7], vcc
	s_cbranch_execz .LBB446_759
; %bb.756:
	v_bfe_u32 v3, v4, 16, 7
	s_movk_i32 s3, 0x7f
	v_cmp_ne_u32_e32 vcc, s3, v3
	v_mov_b32_e32 v7, 0x7f800001
	s_and_saveexec_b64 s[10:11], vcc
	s_cbranch_execz .LBB446_758
; %bb.757:
	v_and_b32_e32 v10, 7, v2
	v_ffbh_u32_e32 v6, v10
	v_min_u32_e32 v12, 32, v6
	v_subrev_u32_e32 v6, 28, v12
	v_lshlrev_b64 v[6:7], v6, v[2:3]
	v_and_b32_e32 v6, 7, v6
	v_cmp_gt_u32_e32 vcc, 8, v3
	v_lshrrev_b32_e32 v11, 3, v3
	v_sub_u32_e32 v2, 29, v12
	v_cndmask_b32_e32 v3, v10, v6, vcc
	v_mov_b32_e32 v6, 24
	v_cndmask_b32_e32 v2, v11, v2, vcc
	v_lshlrev_b32_sdwa v6, v6, v4 dst_sel:DWORD dst_unused:UNUSED_PAD src0_sel:DWORD src1_sel:WORD_1
	v_bfrev_b32_e32 v7, 60
	v_lshlrev_b32_e32 v3, 20, v3
	v_and_b32_e32 v6, 0x80000000, v6
	v_lshl_add_u32 v2, v2, 23, v7
	v_or3_b32 v7, v6, v2, v3
.LBB446_758:
	s_or_b64 exec, exec, s[10:11]
.LBB446_759:
	s_or_b64 exec, exec, s[6:7]
.LBB446_760:
	s_or_b64 exec, exec, s[4:5]
	s_mov_b32 s3, 0xffffff
	v_cmp_lt_u32_e32 vcc, s3, v4
	v_mov_b32_e32 v3, 0
	v_mov_b32_e32 v10, 0
	s_and_saveexec_b64 s[4:5], vcc
	s_cbranch_execz .LBB446_766
; %bb.761:
	v_lshrrev_b32_e32 v2, 24, v4
	s_movk_i32 s3, 0x80
	v_cmp_ne_u32_e32 vcc, s3, v2
	v_bfrev_b32_e32 v10, 1
	s_and_saveexec_b64 s[6:7], vcc
	s_cbranch_execz .LBB446_765
; %bb.762:
	v_bfe_u32 v6, v4, 24, 7
	s_movk_i32 s3, 0x7f
	v_cmp_ne_u32_e32 vcc, s3, v6
	v_mov_b32_e32 v10, 0x7f800001
	s_and_saveexec_b64 s[10:11], vcc
	s_cbranch_execz .LBB446_764
; %bb.763:
	v_and_b32_e32 v12, 7, v2
	v_ffbh_u32_e32 v10, v12
	v_min_u32_e32 v16, 32, v10
	v_subrev_u32_e32 v10, 28, v16
	v_lshlrev_b64 v[10:11], v10, v[2:3]
	v_lshrrev_b32_e32 v13, 3, v6
	v_sub_u32_e32 v11, 29, v16
	v_and_b32_e32 v10, 7, v10
	v_cmp_gt_u32_e32 vcc, 8, v6
	v_cndmask_b32_e32 v6, v13, v11, vcc
	v_cndmask_b32_e32 v10, v12, v10, vcc
	v_lshlrev_b32_e32 v2, 24, v2
	v_bfrev_b32_e32 v11, 60
	v_lshlrev_b32_e32 v10, 20, v10
	v_and_b32_e32 v2, 0x80000000, v2
	v_lshl_add_u32 v6, v6, 23, v11
	v_or3_b32 v10, v2, v6, v10
.LBB446_764:
	s_or_b64 exec, exec, s[10:11]
.LBB446_765:
	s_or_b64 exec, exec, s[6:7]
.LBB446_766:
	s_or_b64 exec, exec, s[4:5]
	v_mov_b32_e32 v2, v5
	v_cmp_ne_u16_sdwa s[6:7], v5, v3 src0_sel:BYTE_0 src1_sel:DWORD
	s_and_saveexec_b64 s[4:5], s[6:7]
	s_cbranch_execz .LBB446_772
; %bb.767:
	s_movk_i32 s3, 0x80
	v_cmp_ne_u16_sdwa s[10:11], v5, s3 src0_sel:BYTE_0 src1_sel:DWORD
	v_bfrev_b32_e32 v6, 1
	s_and_saveexec_b64 s[6:7], s[10:11]
	s_cbranch_execz .LBB446_771
; %bb.768:
	s_movk_i32 s3, 0x7f
	v_and_b32_e32 v11, 0x7f, v5
	v_cmp_ne_u32_e32 vcc, s3, v11
	v_mov_b32_e32 v6, 0x7f800001
	s_and_saveexec_b64 s[10:11], vcc
	s_cbranch_execz .LBB446_770
; %bb.769:
	v_and_b32_e32 v6, 7, v5
	v_ffbh_u32_e32 v6, v6
	v_min_u32_e32 v6, 32, v6
	v_subrev_u32_e32 v13, 28, v6
	v_cmp_gt_u32_e32 vcc, 8, v11
	v_lshrrev_b32_e32 v12, 3, v11
	v_sub_u32_e32 v6, 29, v6
	v_cndmask_b32_e32 v11, 0, v13, vcc
	v_cndmask_b32_e32 v6, v12, v6, vcc
	v_lshlrev_b64 v[12:13], v11, v[2:3]
	v_lshlrev_b32_e32 v3, 20, v12
	v_lshlrev_b32_e32 v11, 24, v2
	v_bfrev_b32_e32 v12, 60
	v_and_b32_e32 v3, 0x700000, v3
	v_and_b32_e32 v11, 0x80000000, v11
	v_lshl_add_u32 v6, v6, 23, v12
	v_or3_b32 v6, v11, v6, v3
.LBB446_770:
	s_or_b64 exec, exec, s[10:11]
.LBB446_771:
	s_or_b64 exec, exec, s[6:7]
	v_mov_b32_e32 v3, v6
.LBB446_772:
	s_or_b64 exec, exec, s[4:5]
	v_lshrrev_b16_e32 v6, 8, v2
	v_cmp_ne_u16_e32 vcc, 0, v6
	v_mov_b32_e32 v11, 0
	v_mov_b32_e32 v12, 0
	s_and_saveexec_b64 s[4:5], vcc
	s_cbranch_execz .LBB446_778
; %bb.773:
	s_movk_i32 s3, 0x80
	v_cmp_ne_u16_e32 vcc, s3, v6
	v_bfrev_b32_e32 v12, 1
	s_and_saveexec_b64 s[6:7], vcc
	s_cbranch_execz .LBB446_777
; %bb.774:
	s_movk_i32 s3, 0x7f
	v_and_b32_e32 v13, 0x7f, v6
	v_cmp_ne_u32_e32 vcc, s3, v13
	v_mov_b32_e32 v12, 0x7f800001
	s_and_saveexec_b64 s[10:11], vcc
	s_cbranch_execz .LBB446_776
; %bb.775:
	v_and_b32_e32 v12, 7, v6
	v_ffbh_u32_e32 v16, v12
	v_min_u32_e32 v19, 32, v16
	v_subrev_u32_e32 v16, 28, v19
	v_lshlrev_b64 v[16:17], v16, v[6:7]
	v_lshrrev_b32_e32 v18, 3, v13
	v_sub_u32_e32 v6, 29, v19
	v_and_b32_e32 v16, 7, v16
	v_cmp_gt_u32_e32 vcc, 8, v13
	v_cndmask_b32_e32 v6, v18, v6, vcc
	v_cndmask_b32_e32 v12, v12, v16, vcc
	v_lshlrev_b32_e32 v2, 16, v2
	v_bfrev_b32_e32 v13, 60
	v_lshlrev_b32_e32 v12, 20, v12
	v_and_b32_e32 v2, 0x80000000, v2
	v_lshl_add_u32 v6, v6, 23, v13
	v_or3_b32 v12, v2, v6, v12
.LBB446_776:
	s_or_b64 exec, exec, s[10:11]
.LBB446_777:
	s_or_b64 exec, exec, s[6:7]
.LBB446_778:
	s_or_b64 exec, exec, s[4:5]
	s_movk_i32 s3, 0xff
	v_and_b32_sdwa v6, v5, s3 dst_sel:DWORD dst_unused:UNUSED_PAD src0_sel:WORD_1 src1_sel:DWORD
	v_lshrrev_b32_e32 v2, 16, v5
	v_cmp_ne_u16_e32 vcc, 0, v6
	s_and_saveexec_b64 s[4:5], vcc
	s_cbranch_execz .LBB446_784
; %bb.779:
	s_movk_i32 s3, 0x80
	v_cmp_ne_u16_e32 vcc, s3, v6
	v_bfrev_b32_e32 v11, 1
	s_and_saveexec_b64 s[6:7], vcc
	s_cbranch_execz .LBB446_783
; %bb.780:
	v_bfe_u32 v6, v5, 16, 7
	s_movk_i32 s3, 0x7f
	v_cmp_ne_u32_e32 vcc, s3, v6
	v_mov_b32_e32 v11, 0x7f800001
	s_and_saveexec_b64 s[10:11], vcc
	s_cbranch_execz .LBB446_782
; %bb.781:
	v_and_b32_e32 v11, 7, v2
	v_ffbh_u32_e32 v16, v11
	v_min_u32_e32 v18, 32, v16
	v_subrev_u32_e32 v16, 28, v18
	v_lshlrev_b64 v[16:17], v16, v[2:3]
	v_and_b32_e32 v16, 7, v16
	v_cmp_gt_u32_e32 vcc, 8, v6
	v_lshrrev_b32_e32 v13, 3, v6
	v_sub_u32_e32 v2, 29, v18
	v_cndmask_b32_e32 v6, v11, v16, vcc
	v_mov_b32_e32 v11, 24
	v_cndmask_b32_e32 v2, v13, v2, vcc
	v_lshlrev_b32_sdwa v11, v11, v5 dst_sel:DWORD dst_unused:UNUSED_PAD src0_sel:DWORD src1_sel:WORD_1
	v_bfrev_b32_e32 v13, 60
	v_lshlrev_b32_e32 v6, 20, v6
	v_and_b32_e32 v11, 0x80000000, v11
	v_lshl_add_u32 v2, v2, 23, v13
	v_or3_b32 v11, v11, v2, v6
.LBB446_782:
	s_or_b64 exec, exec, s[10:11]
.LBB446_783:
	s_or_b64 exec, exec, s[6:7]
.LBB446_784:
	s_or_b64 exec, exec, s[4:5]
	s_mov_b32 s4, -1
	s_mov_b32 s5, 0xffffff
	v_cmp_lt_u64_e32 vcc, s[4:5], v[4:5]
	v_mov_b32_e32 v4, 0
	s_and_saveexec_b64 s[4:5], vcc
	s_cbranch_execz .LBB446_790
; %bb.785:
	v_lshrrev_b32_e32 v2, 24, v5
	s_movk_i32 s3, 0x80
	v_cmp_ne_u32_e32 vcc, s3, v2
	v_bfrev_b32_e32 v4, 1
	s_and_saveexec_b64 s[6:7], vcc
	s_cbranch_execz .LBB446_789
; %bb.786:
	v_bfe_u32 v5, v5, 24, 7
	s_movk_i32 s3, 0x7f
	v_cmp_ne_u32_e32 vcc, s3, v5
	v_mov_b32_e32 v4, 0x7f800001
	s_and_saveexec_b64 s[10:11], vcc
	s_cbranch_execz .LBB446_788
; %bb.787:
	v_and_b32_e32 v4, 7, v2
	v_ffbh_u32_e32 v13, v4
	v_min_u32_e32 v13, 32, v13
	v_subrev_u32_e32 v16, 28, v13
	v_lshlrev_b64 v[16:17], v16, v[2:3]
	v_lshrrev_b32_e32 v6, 3, v5
	v_sub_u32_e32 v13, 29, v13
	v_and_b32_e32 v16, 7, v16
	v_cmp_gt_u32_e32 vcc, 8, v5
	v_cndmask_b32_e32 v5, v6, v13, vcc
	v_cndmask_b32_e32 v4, v4, v16, vcc
	v_lshlrev_b32_e32 v2, 24, v2
	v_bfrev_b32_e32 v6, 60
	v_lshlrev_b32_e32 v4, 20, v4
	v_and_b32_e32 v2, 0x80000000, v2
	v_lshl_add_u32 v5, v5, 23, v6
	v_or3_b32 v4, v2, v5, v4
.LBB446_788:
	s_or_b64 exec, exec, s[10:11]
.LBB446_789:
	s_or_b64 exec, exec, s[6:7]
.LBB446_790:
	s_or_b64 exec, exec, s[4:5]
	v_cvt_pkrtz_f16_f32 v6, v8, v9
	v_cvt_pkrtz_f16_f32 v7, v7, v10
	;; [unrolled: 1-line block ×4, first 2 shown]
	v_mfma_f32_4x4x4f16 a[0:3], v[14:15], v[6:7], a[0:3] cbsz:4 abid:14
	s_load_dword s4, s[14:15], 0x0
	v_mfma_f32_4x4x4f16 a[0:3], v[14:15], v[2:3], a[0:3] cbsz:4 abid:15
	s_nop 4
	v_accvgpr_read_b32 v5, a1
	v_accvgpr_read_b32 v3, a3
	;; [unrolled: 1-line block ×4, first 2 shown]
	s_waitcnt lgkmcnt(0)
	v_pk_mul_f32 v[2:3], v[2:3], s[4:5] op_sel_hi:[1,0]
	v_pk_mul_f32 v[4:5], v[4:5], s[4:5] op_sel_hi:[1,0]
	v_cvt_f16_f32_e32 v4, v4
	v_cvt_f16_f32_e32 v5, v5
	;; [unrolled: 1-line block ×4, first 2 shown]
	v_pack_b32_f16 v2, v4, v5
	v_mad_u32_u24 v4, v1, 40, v25
	v_pack_b32_f16 v3, v6, v3
	ds_write_b64 v4, v[2:3]
.LBB446_791:
	s_or_b64 exec, exec, s[0:1]
	v_cmp_gt_u32_e32 vcc, 64, v0
	s_waitcnt lgkmcnt(0)
	s_barrier
	s_and_saveexec_b64 s[0:1], vcc
	s_cbranch_execz .LBB446_793
; %bb.792:
	s_mul_i32 s8, s8, s9
	s_lshl_b32 s0, s2, 6
	s_mov_b32 s1, 0
	s_waitcnt vmcnt(1)
	v_lshl_or_b32 v2, s8, 6, v0
	v_mov_b32_e32 v3, 0
	v_mul_u32_u24_e32 v4, 40, v1
	s_lshl_b64 s[2:3], s[0:1], 1
	s_waitcnt vmcnt(0)
	v_lshlrev_b64 v[8:9], 1, v[2:3]
	ds_read2_b64 v[0:3], v4 offset1:1
	ds_read2_b64 v[4:7], v4 offset0:2 offset1:3
	s_add_u32 s2, s30, s2
	s_addc_u32 s3, s31, s3
	s_lshl_b32 s0, s28, 6
	s_lshl_b64 s[0:1], s[0:1], 1
	s_add_u32 s0, s2, s0
	s_waitcnt lgkmcnt(1)
	v_pk_add_f16 v0, v0, 0
	s_addc_u32 s1, s3, s1
	v_pk_add_f16 v0, v0, v2
	v_mov_b32_e32 v10, s1
	v_add_co_u32_e32 v8, vcc, s0, v8
	s_waitcnt lgkmcnt(0)
	v_pk_add_f16 v0, v0, v4
	v_addc_co_u32_e32 v9, vcc, v10, v9, vcc
	v_pk_add_f16 v0, v0, v6
	global_store_short v[8:9], v0, off
.LBB446_793:
	s_endpgm
	.section	.rodata,"a",@progbits
	.p2align	6, 0x0
	.amdhsa_kernel _Z38paged_attention_ll4mi_QKV_mfma4_kernelIDF16_hLN4vllm18Fp8KVCacheDataTypeE1EDF16_Li32ELi64ELi256ELb0ELi1EEvPKT_PKT0_S7_ifPKiS9_S9_iPKfiiiPfSC_PS2_PT2_iSB_SB_
		.amdhsa_group_segment_fixed_size 2720
		.amdhsa_private_segment_fixed_size 0
		.amdhsa_kernarg_size 400
		.amdhsa_user_sgpr_count 6
		.amdhsa_user_sgpr_private_segment_buffer 1
		.amdhsa_user_sgpr_dispatch_ptr 0
		.amdhsa_user_sgpr_queue_ptr 0
		.amdhsa_user_sgpr_kernarg_segment_ptr 1
		.amdhsa_user_sgpr_dispatch_id 0
		.amdhsa_user_sgpr_flat_scratch_init 0
		.amdhsa_user_sgpr_kernarg_preload_length 0
		.amdhsa_user_sgpr_kernarg_preload_offset 0
		.amdhsa_user_sgpr_private_segment_size 0
		.amdhsa_uses_dynamic_stack 0
		.amdhsa_system_sgpr_private_segment_wavefront_offset 0
		.amdhsa_system_sgpr_workgroup_id_x 1
		.amdhsa_system_sgpr_workgroup_id_y 1
		.amdhsa_system_sgpr_workgroup_id_z 1
		.amdhsa_system_sgpr_workgroup_info 0
		.amdhsa_system_vgpr_workitem_id 0
		.amdhsa_next_free_vgpr 60
		.amdhsa_next_free_sgpr 42
		.amdhsa_accum_offset 56
		.amdhsa_reserve_vcc 1
		.amdhsa_reserve_flat_scratch 0
		.amdhsa_float_round_mode_32 0
		.amdhsa_float_round_mode_16_64 0
		.amdhsa_float_denorm_mode_32 3
		.amdhsa_float_denorm_mode_16_64 3
		.amdhsa_dx10_clamp 1
		.amdhsa_ieee_mode 1
		.amdhsa_fp16_overflow 0
		.amdhsa_tg_split 0
		.amdhsa_exception_fp_ieee_invalid_op 0
		.amdhsa_exception_fp_denorm_src 0
		.amdhsa_exception_fp_ieee_div_zero 0
		.amdhsa_exception_fp_ieee_overflow 0
		.amdhsa_exception_fp_ieee_underflow 0
		.amdhsa_exception_fp_ieee_inexact 0
		.amdhsa_exception_int_div_zero 0
	.end_amdhsa_kernel
	.section	.text._Z38paged_attention_ll4mi_QKV_mfma4_kernelIDF16_hLN4vllm18Fp8KVCacheDataTypeE1EDF16_Li32ELi64ELi256ELb0ELi1EEvPKT_PKT0_S7_ifPKiS9_S9_iPKfiiiPfSC_PS2_PT2_iSB_SB_,"axG",@progbits,_Z38paged_attention_ll4mi_QKV_mfma4_kernelIDF16_hLN4vllm18Fp8KVCacheDataTypeE1EDF16_Li32ELi64ELi256ELb0ELi1EEvPKT_PKT0_S7_ifPKiS9_S9_iPKfiiiPfSC_PS2_PT2_iSB_SB_,comdat
.Lfunc_end446:
	.size	_Z38paged_attention_ll4mi_QKV_mfma4_kernelIDF16_hLN4vllm18Fp8KVCacheDataTypeE1EDF16_Li32ELi64ELi256ELb0ELi1EEvPKT_PKT0_S7_ifPKiS9_S9_iPKfiiiPfSC_PS2_PT2_iSB_SB_, .Lfunc_end446-_Z38paged_attention_ll4mi_QKV_mfma4_kernelIDF16_hLN4vllm18Fp8KVCacheDataTypeE1EDF16_Li32ELi64ELi256ELb0ELi1EEvPKT_PKT0_S7_ifPKiS9_S9_iPKfiiiPfSC_PS2_PT2_iSB_SB_
                                        ; -- End function
	.section	.AMDGPU.csdata,"",@progbits
; Kernel info:
; codeLenInByte = 27608
; NumSgprs: 46
; NumVgprs: 55
; NumAgprs: 4
; TotalNumVgprs: 60
; ScratchSize: 0
; MemoryBound: 0
; FloatMode: 240
; IeeeMode: 1
; LDSByteSize: 2720 bytes/workgroup (compile time only)
; SGPRBlocks: 5
; VGPRBlocks: 7
; NumSGPRsForWavesPerEU: 46
; NumVGPRsForWavesPerEU: 60
; AccumOffset: 56
; Occupancy: 8
; WaveLimiterHint : 1
; COMPUTE_PGM_RSRC2:SCRATCH_EN: 0
; COMPUTE_PGM_RSRC2:USER_SGPR: 6
; COMPUTE_PGM_RSRC2:TRAP_HANDLER: 0
; COMPUTE_PGM_RSRC2:TGID_X_EN: 1
; COMPUTE_PGM_RSRC2:TGID_Y_EN: 1
; COMPUTE_PGM_RSRC2:TGID_Z_EN: 1
; COMPUTE_PGM_RSRC2:TIDIG_COMP_CNT: 0
; COMPUTE_PGM_RSRC3_GFX90A:ACCUM_OFFSET: 13
; COMPUTE_PGM_RSRC3_GFX90A:TG_SPLIT: 0
	.section	.text._Z38paged_attention_ll4mi_QKV_mfma4_kernelIDF16_hLN4vllm18Fp8KVCacheDataTypeE1EDF16_Li32ELi64ELi256ELb0ELi2EEvPKT_PKT0_S7_ifPKiS9_S9_iPKfiiiPfSC_PS2_PT2_iSB_SB_,"axG",@progbits,_Z38paged_attention_ll4mi_QKV_mfma4_kernelIDF16_hLN4vllm18Fp8KVCacheDataTypeE1EDF16_Li32ELi64ELi256ELb0ELi2EEvPKT_PKT0_S7_ifPKiS9_S9_iPKfiiiPfSC_PS2_PT2_iSB_SB_,comdat
	.protected	_Z38paged_attention_ll4mi_QKV_mfma4_kernelIDF16_hLN4vllm18Fp8KVCacheDataTypeE1EDF16_Li32ELi64ELi256ELb0ELi2EEvPKT_PKT0_S7_ifPKiS9_S9_iPKfiiiPfSC_PS2_PT2_iSB_SB_ ; -- Begin function _Z38paged_attention_ll4mi_QKV_mfma4_kernelIDF16_hLN4vllm18Fp8KVCacheDataTypeE1EDF16_Li32ELi64ELi256ELb0ELi2EEvPKT_PKT0_S7_ifPKiS9_S9_iPKfiiiPfSC_PS2_PT2_iSB_SB_
	.globl	_Z38paged_attention_ll4mi_QKV_mfma4_kernelIDF16_hLN4vllm18Fp8KVCacheDataTypeE1EDF16_Li32ELi64ELi256ELb0ELi2EEvPKT_PKT0_S7_ifPKiS9_S9_iPKfiiiPfSC_PS2_PT2_iSB_SB_
	.p2align	8
	.type	_Z38paged_attention_ll4mi_QKV_mfma4_kernelIDF16_hLN4vllm18Fp8KVCacheDataTypeE1EDF16_Li32ELi64ELi256ELb0ELi2EEvPKT_PKT0_S7_ifPKiS9_S9_iPKfiiiPfSC_PS2_PT2_iSB_SB_,@function
_Z38paged_attention_ll4mi_QKV_mfma4_kernelIDF16_hLN4vllm18Fp8KVCacheDataTypeE1EDF16_Li32ELi64ELi256ELb0ELi2EEvPKT_PKT0_S7_ifPKiS9_S9_iPKfiiiPfSC_PS2_PT2_iSB_SB_: ; @_Z38paged_attention_ll4mi_QKV_mfma4_kernelIDF16_hLN4vllm18Fp8KVCacheDataTypeE1EDF16_Li32ELi64ELi256ELb0ELi2EEvPKT_PKT0_S7_ifPKiS9_S9_iPKfiiiPfSC_PS2_PT2_iSB_SB_
; %bb.0:
	s_load_dwordx2 s[2:3], s[4:5], 0x30
	s_mov_b32 s28, s7
	s_mov_b64 s[0:1], 0
	s_waitcnt lgkmcnt(0)
	s_cmp_lg_u64 s[2:3], 0
	s_cselect_b64 s[10:11], -1, 0
	s_and_b64 vcc, exec, s[10:11]
	s_cbranch_vccz .LBB447_10
; %bb.1:
	s_add_i32 s12, s6, 1
	s_mov_b32 s13, 0
	s_lshl_b64 s[14:15], s[12:13], 2
	s_add_u32 s14, s2, s14
	s_mov_b32 s7, s13
	s_addc_u32 s15, s3, s15
	s_lshl_b64 s[12:13], s[6:7], 2
	s_add_u32 s12, s2, s12
	s_addc_u32 s13, s3, s13
	s_load_dword s9, s[14:15], 0x0
	s_load_dword s16, s[12:13], 0x0
	s_waitcnt lgkmcnt(0)
	s_sub_i32 s9, s9, s16
	s_cmp_eq_u32 s9, 1
	s_cselect_b64 s[12:13], -1, 0
	s_andn2_b64 vcc, exec, s[0:1]
	s_cbranch_vccnz .LBB447_3
.LBB447_2:
	s_mov_b32 s7, 0
	s_mov_b64 s[12:13], -1
.LBB447_3:
	s_andn2_b64 vcc, exec, s[12:13]
	s_cbranch_vccnz .LBB447_793
; %bb.4:
	s_load_dword s9, s[4:5], 0x9c
	s_load_dwordx2 s[0:1], s[4:5], 0x28
	s_add_u32 s34, s4, 0x90
	s_addc_u32 s35, s5, 0
	s_lshl_b64 s[20:21], s[6:7], 2
	s_waitcnt lgkmcnt(0)
	s_and_b32 s9, s9, 0xffff
	s_add_u32 s0, s0, s20
	s_addc_u32 s1, s1, s21
	s_load_dword s7, s[0:1], 0x0
	s_mul_i32 s9, s28, s9
	s_waitcnt lgkmcnt(0)
	s_cmp_ge_i32 s9, s7
	s_cbranch_scc1 .LBB447_793
; %bb.5:
	v_and_b32_e32 v1, 0xc0, v0
	v_add_u32_e32 v4, s9, v1
	v_lshrrev_b32_e32 v42, 6, v0
	v_cmp_le_i32_e64 s[0:1], s7, v4
                                        ; implicit-def: $sgpr23
                                        ; implicit-def: $sgpr22
	s_and_saveexec_b64 s[12:13], s[0:1]
	s_xor_b64 s[12:13], exec, s[12:13]
	s_cbranch_execz .LBB447_7
; %bb.6:
	v_mul_u32_u24_e32 v1, 20, v42
	v_or_b32_e32 v1, 0xa00, v1
	v_mov_b32_e32 v2, 0xa50
	v_mov_b32_e32 v3, 0xff7fffff
	v_mad_u32_u24 v2, v42, 20, v2
	ds_write2_b32 v1, v3, v3 offset1:1
	v_mov_b32_e32 v1, 0
	ds_write2_b32 v2, v1, v1 offset1:1
	v_mov_b32_e32 v2, 0xa08
	v_mov_b32_e32 v4, 0xa58
	s_mov_b32 s22, 0xff7fffff
	s_mov_b32 s23, 0
	v_mad_u32_u24 v2, v42, 20, v2
	v_mad_u32_u24 v4, v42, 20, v4
	ds_write2_b32 v2, v3, v3 offset1:1
	ds_write2_b32 v4, v1, v1 offset1:1
                                        ; implicit-def: $vgpr4
.LBB447_7:
	s_or_saveexec_b64 s[36:37], s[12:13]
	s_load_dwordx2 s[30:31], s[4:5], 0x68
	s_load_dwordx4 s[16:19], s[4:5], 0x58
	s_load_dword s33, s[34:35], 0x4
	s_load_dwordx4 s[12:15], s[4:5], 0x80
	v_and_b32_e32 v1, 63, v0
	v_and_b32_e32 v43, 3, v0
	v_mov_b32_e32 v21, s23
	v_mov_b32_e32 v26, s22
	;; [unrolled: 1-line block ×5, first 2 shown]
                                        ; implicit-def: $vgpr14_vgpr15
                                        ; implicit-def: $vgpr10_vgpr11
                                        ; implicit-def: $vgpr6_vgpr7
                                        ; implicit-def: $vgpr2_vgpr3
	s_xor_b64 exec, exec, s[36:37]
	s_cbranch_execz .LBB447_401
; %bb.8:
	s_add_i32 s25, s7, 31
	s_ashr_i32 s26, s25, 31
	s_load_dwordx2 s[22:23], s[4:5], 0x20
	s_load_dword s24, s[4:5], 0x38
	s_lshr_b32 s26, s26, 27
	v_add_u32_e32 v44, s9, v0
	s_add_i32 s25, s25, s26
	v_ashrrev_i32_e32 v2, 31, v44
	s_ashr_i32 s25, s25, 5
	v_lshrrev_b32_e32 v2, 27, v2
	s_add_i32 s26, s25, -1
	v_add_u32_e32 v2, v44, v2
	v_ashrrev_i32_e32 v2, 5, v2
	v_mov_b32_e32 v3, s26
	v_cmp_gt_i32_e32 vcc, s7, v44
	s_waitcnt lgkmcnt(0)
	s_mul_i32 s24, s6, s24
	s_mov_b32 s25, 0
	v_cndmask_b32_e32 v2, v3, v2, vcc
	s_lshl_b64 s[24:25], s[24:25], 2
	v_ashrrev_i32_e32 v3, 31, v2
	s_add_u32 s22, s22, s24
	v_lshlrev_b64 v[2:3], 2, v[2:3]
	v_add_co_u32_e32 v6, vcc, s22, v2
	v_ashrrev_i32_e32 v2, 31, v4
	v_lshrrev_b32_e32 v2, 27, v2
	v_add_u32_e32 v2, v4, v2
	s_addc_u32 s23, s23, s25
	v_ashrrev_i32_e32 v4, 5, v2
	v_mov_b32_e32 v5, s23
	v_min_i32_e32 v2, s26, v4
	v_addc_co_u32_e32 v7, vcc, v5, v3, vcc
	v_ashrrev_i32_e32 v3, 31, v2
	v_lshlrev_b64 v[2:3], 2, v[2:3]
	v_add_co_u32_e32 v8, vcc, s22, v2
	v_add_u32_e32 v2, 1, v4
	v_min_i32_e32 v2, s26, v2
	v_addc_co_u32_e32 v9, vcc, v5, v3, vcc
	v_ashrrev_i32_e32 v3, 31, v2
	v_lshlrev_b64 v[2:3], 2, v[2:3]
	v_mov_b32_e32 v4, s23
	v_add_co_u32_e32 v10, vcc, s22, v2
	v_addc_co_u32_e32 v11, vcc, v4, v3, vcc
	global_load_dword v4, v[6:7], off
	global_load_dword v3, v[8:9], off
	;; [unrolled: 1-line block ×3, first 2 shown]
	s_load_dwordx4 s[24:27], s[4:5], 0x8
	s_andn2_b64 vcc, exec, s[10:11]
	s_cbranch_vccnz .LBB447_11
; %bb.9:
	s_add_u32 s2, s2, s20
	s_addc_u32 s3, s3, s21
	s_load_dword s9, s[2:3], 0x0
	s_branch .LBB447_12
.LBB447_10:
	s_mov_b64 s[12:13], 0
	s_branch .LBB447_2
.LBB447_11:
	s_mov_b32 s9, s6
.LBB447_12:
	s_load_dwordx4 s[20:23], s[4:5], 0x48
	v_cmp_gt_u32_e32 vcc, 2, v43
	s_mov_b32 s11, 0
	v_mov_b32_e32 v39, 0
	v_mov_b32_e32 v18, 0
	;; [unrolled: 1-line block ×5, first 2 shown]
	s_and_saveexec_b64 s[2:3], vcc
	s_cbranch_execz .LBB447_14
; %bb.13:
	s_load_dwordx2 s[38:39], s[4:5], 0x0
	s_waitcnt lgkmcnt(0)
	s_ashr_i32 s10, s20, 31
	s_mul_hi_u32 s23, s9, s20
	s_mul_i32 s10, s9, s10
	s_add_i32 s41, s23, s10
	s_mul_i32 s40, s9, s20
	s_lshl_b64 s[40:41], s[40:41], 1
	s_add_u32 s9, s38, s40
	s_addc_u32 s20, s39, s41
	s_lshl_b32 s10, s8, 7
	s_lshl_b64 s[10:11], s[10:11], 1
	s_add_u32 s10, s9, s10
	v_lshlrev_b32_e32 v5, 3, v43
	v_lshrrev_b32_e32 v6, 2, v1
	s_addc_u32 s11, s20, s11
	v_add_lshl_u32 v5, v5, v6, 4
	global_load_dwordx4 v[18:21], v5, s[10:11]
.LBB447_14:
	s_or_b64 exec, exec, s[2:3]
	s_waitcnt lgkmcnt(0)
	s_mul_i32 s9, s8, s22
	s_add_u32 s2, s9, s24
	s_addc_u32 s3, 0, s25
	v_pk_mov_b32 v[6:7], s[2:3], s[2:3] op_sel:[0,1]
	s_waitcnt vmcnt(2)
	v_mad_i64_i32 v[4:5], s[2:3], v4, s21, v[6:7]
	v_lshlrev_b32_e32 v6, 4, v0
	v_and_b32_e32 v6, 0x1f0, v6
	v_add_co_u32_e32 v4, vcc, v4, v6
	v_addc_co_u32_e32 v5, vcc, 0, v5, vcc
	global_load_dwordx4 v[34:37], v[4:5], off
	global_load_dwordx4 v[30:33], v[4:5], off offset:512
	global_load_dwordx4 v[26:29], v[4:5], off offset:1024
	;; [unrolled: 1-line block ×3, first 2 shown]
	s_add_u32 s2, s26, s9
	v_lshlrev_b32_e32 v4, 5, v1
	v_add_co_u32_e32 v6, vcc, s2, v4
	s_waitcnt vmcnt(5)
	v_mul_hi_i32 v4, v3, s21
	s_addc_u32 s3, s27, 0
	v_ashrrev_i32_e32 v4, 31, v4
	v_mov_b32_e32 v5, s3
	v_lshrrev_b32_e32 v38, 29, v4
	v_addc_co_u32_e32 v7, vcc, 0, v5, vcc
	v_mad_i64_i32 v[4:5], s[2:3], v3, s21, v[38:39]
	v_and_b32_e32 v3, -8, v4
	v_add_co_u32_e32 v4, vcc, v6, v3
	s_waitcnt vmcnt(4)
	v_mul_hi_i32 v3, v2, s21
	v_ashrrev_i32_e32 v3, 31, v3
	v_lshrrev_b32_e32 v38, 29, v3
	v_mad_i64_i32 v[2:3], s[2:3], v2, s21, v[38:39]
	v_addc_co_u32_e32 v5, vcc, v7, v5, vcc
	v_and_b32_e32 v2, -8, v2
	v_add_co_u32_e32 v40, vcc, v6, v2
	v_addc_co_u32_e32 v41, vcc, v7, v3, vcc
	global_load_dwordx4 v[10:13], v[4:5], off offset:16
	global_load_dwordx4 v[14:17], v[4:5], off
	s_nop 0
	global_load_dwordx4 v[2:5], v[40:41], off offset:16
	global_load_dwordx4 v[6:9], v[40:41], off
	v_mov_b32_e32 v45, 0
	s_waitcnt vmcnt(7)
	v_cmp_ne_u16_sdwa s[10:11], v34, v39 src0_sel:BYTE_0 src1_sel:DWORD
	s_and_saveexec_b64 s[2:3], s[10:11]
	s_cbranch_execz .LBB447_20
; %bb.15:
	s_movk_i32 s9, 0x80
	v_cmp_ne_u16_sdwa s[20:21], v34, s9 src0_sel:BYTE_0 src1_sel:DWORD
	v_bfrev_b32_e32 v45, 1
	s_and_saveexec_b64 s[10:11], s[20:21]
	s_cbranch_execz .LBB447_19
; %bb.16:
	s_movk_i32 s9, 0x7f
	v_and_b32_e32 v38, 0x7f, v34
	v_cmp_ne_u32_e32 vcc, s9, v38
	v_mov_b32_e32 v45, 0x7f800001
	s_and_saveexec_b64 s[20:21], vcc
	s_cbranch_execz .LBB447_18
; %bb.17:
	v_and_b32_e32 v40, 7, v34
	v_ffbh_u32_e32 v40, v40
	v_min_u32_e32 v40, 32, v40
	v_lshrrev_b32_e32 v41, 3, v38
	v_subrev_u32_e32 v45, 28, v40
	v_sub_u32_e32 v40, 29, v40
	v_cmp_gt_u32_e32 vcc, 8, v38
	v_cndmask_b32_e32 v38, v41, v40, vcc
	v_cndmask_b32_e32 v40, 0, v45, vcc
	v_lshlrev_b64 v[40:41], v40, v[34:35]
	v_lshlrev_b32_e32 v40, 20, v40
	v_lshlrev_b32_e32 v41, 24, v34
	v_bfrev_b32_e32 v45, 60
	v_and_b32_e32 v40, 0x700000, v40
	v_and_b32_e32 v41, 0x80000000, v41
	v_lshl_add_u32 v38, v38, 23, v45
	v_or3_b32 v45, v41, v38, v40
.LBB447_18:
	s_or_b64 exec, exec, s[20:21]
.LBB447_19:
	s_or_b64 exec, exec, s[10:11]
.LBB447_20:
	s_or_b64 exec, exec, s[2:3]
	v_lshrrev_b16_e32 v38, 8, v34
	v_cmp_ne_u16_e32 vcc, 0, v38
	s_and_saveexec_b64 s[2:3], vcc
	s_cbranch_execz .LBB447_26
; %bb.21:
	s_movk_i32 s9, 0x80
	v_cmp_ne_u16_e32 vcc, s9, v38
	v_bfrev_b32_e32 v39, 1
	s_and_saveexec_b64 s[10:11], vcc
	s_cbranch_execz .LBB447_25
; %bb.22:
	s_movk_i32 s9, 0x7f
	v_and_b32_e32 v40, 0x7f, v38
	v_cmp_ne_u32_e32 vcc, s9, v40
	v_mov_b32_e32 v39, 0x7f800001
	s_and_saveexec_b64 s[20:21], vcc
	s_cbranch_execz .LBB447_24
; %bb.23:
	v_and_b32_e32 v41, 7, v38
	v_ffbh_u32_e32 v39, v41
	v_min_u32_e32 v47, 32, v39
	v_subrev_u32_e32 v39, 28, v47
	v_lshlrev_b64 v[38:39], v39, v[38:39]
	v_lshrrev_b32_e32 v46, 3, v40
	v_sub_u32_e32 v39, 29, v47
	v_and_b32_e32 v38, 7, v38
	v_cmp_gt_u32_e32 vcc, 8, v40
	v_cndmask_b32_e32 v39, v46, v39, vcc
	v_cndmask_b32_e32 v38, v41, v38, vcc
	v_lshlrev_b32_e32 v40, 16, v34
	v_bfrev_b32_e32 v41, 60
	v_lshlrev_b32_e32 v38, 20, v38
	v_and_b32_e32 v40, 0x80000000, v40
	v_lshl_add_u32 v39, v39, 23, v41
	v_or3_b32 v39, v40, v39, v38
.LBB447_24:
	s_or_b64 exec, exec, s[20:21]
.LBB447_25:
	s_or_b64 exec, exec, s[10:11]
.LBB447_26:
	s_or_b64 exec, exec, s[2:3]
	s_movk_i32 s2, 0xff
	v_and_b32_sdwa v40, v34, s2 dst_sel:DWORD dst_unused:UNUSED_PAD src0_sel:WORD_1 src1_sel:DWORD
	v_lshrrev_b32_e32 v38, 16, v34
	v_cmp_ne_u16_e32 vcc, 0, v40
	v_mov_b32_e32 v46, 0
	v_mov_b32_e32 v47, 0
	s_and_saveexec_b64 s[2:3], vcc
	s_cbranch_execz .LBB447_32
; %bb.27:
	s_movk_i32 s9, 0x80
	v_cmp_ne_u16_e32 vcc, s9, v40
	v_bfrev_b32_e32 v47, 1
	s_and_saveexec_b64 s[10:11], vcc
	s_cbranch_execz .LBB447_31
; %bb.28:
	v_bfe_u32 v40, v34, 16, 7
	s_movk_i32 s9, 0x7f
	v_cmp_ne_u32_e32 vcc, s9, v40
	v_mov_b32_e32 v47, 0x7f800001
	s_and_saveexec_b64 s[20:21], vcc
	s_cbranch_execz .LBB447_30
; %bb.29:
	v_and_b32_e32 v41, 7, v38
	v_ffbh_u32_e32 v48, v41
	v_min_u32_e32 v50, 32, v48
	v_subrev_u32_e32 v48, 28, v50
	v_lshlrev_b64 v[48:49], v48, v[38:39]
	v_and_b32_e32 v48, 7, v48
	v_cmp_gt_u32_e32 vcc, 8, v40
	v_lshrrev_b32_e32 v47, 3, v40
	v_sub_u32_e32 v38, 29, v50
	v_cndmask_b32_e32 v40, v41, v48, vcc
	v_mov_b32_e32 v41, 24
	v_cndmask_b32_e32 v38, v47, v38, vcc
	v_lshlrev_b32_sdwa v41, v41, v34 dst_sel:DWORD dst_unused:UNUSED_PAD src0_sel:DWORD src1_sel:WORD_1
	v_bfrev_b32_e32 v47, 60
	v_lshlrev_b32_e32 v40, 20, v40
	v_and_b32_e32 v41, 0x80000000, v41
	v_lshl_add_u32 v38, v38, 23, v47
	v_or3_b32 v47, v41, v38, v40
.LBB447_30:
	s_or_b64 exec, exec, s[20:21]
.LBB447_31:
	s_or_b64 exec, exec, s[10:11]
.LBB447_32:
	s_or_b64 exec, exec, s[2:3]
	s_mov_b32 s2, 0xffffff
	v_cmp_lt_u32_e32 vcc, s2, v34
	s_and_saveexec_b64 s[2:3], vcc
	s_cbranch_execz .LBB447_38
; %bb.33:
	v_lshrrev_b32_e32 v38, 24, v34
	s_movk_i32 s9, 0x80
	v_cmp_ne_u32_e32 vcc, s9, v38
	v_bfrev_b32_e32 v46, 1
	s_and_saveexec_b64 s[10:11], vcc
	s_cbranch_execz .LBB447_37
; %bb.34:
	v_bfe_u32 v40, v34, 24, 7
	s_movk_i32 s9, 0x7f
	v_cmp_ne_u32_e32 vcc, s9, v40
	v_mov_b32_e32 v46, 0x7f800001
	s_and_saveexec_b64 s[20:21], vcc
	s_cbranch_execz .LBB447_36
; %bb.35:
	v_and_b32_e32 v41, 7, v38
	v_ffbh_u32_e32 v48, v41
	v_min_u32_e32 v50, 32, v48
	v_subrev_u32_e32 v48, 28, v50
	v_lshlrev_b64 v[48:49], v48, v[38:39]
	v_lshrrev_b32_e32 v46, 3, v40
	v_sub_u32_e32 v49, 29, v50
	v_and_b32_e32 v48, 7, v48
	v_cmp_gt_u32_e32 vcc, 8, v40
	v_cndmask_b32_e32 v40, v46, v49, vcc
	v_cndmask_b32_e32 v41, v41, v48, vcc
	v_lshlrev_b32_e32 v38, 24, v38
	v_bfrev_b32_e32 v46, 60
	v_lshlrev_b32_e32 v41, 20, v41
	v_and_b32_e32 v38, 0x80000000, v38
	v_lshl_add_u32 v40, v40, 23, v46
	v_or3_b32 v46, v38, v40, v41
.LBB447_36:
	s_or_b64 exec, exec, s[20:21]
.LBB447_37:
	s_or_b64 exec, exec, s[10:11]
.LBB447_38:
	s_or_b64 exec, exec, s[2:3]
	v_mov_b32_e32 v41, 0
	v_mov_b32_e32 v40, v35
	v_cmp_ne_u16_sdwa s[10:11], v35, v41 src0_sel:BYTE_0 src1_sel:DWORD
	v_mov_b32_e32 v48, v41
	s_and_saveexec_b64 s[2:3], s[10:11]
	s_cbranch_execz .LBB447_44
; %bb.39:
	s_movk_i32 s9, 0x80
	v_cmp_ne_u16_sdwa s[20:21], v35, s9 src0_sel:BYTE_0 src1_sel:DWORD
	v_bfrev_b32_e32 v48, 1
	s_and_saveexec_b64 s[10:11], s[20:21]
	s_cbranch_execz .LBB447_43
; %bb.40:
	s_movk_i32 s9, 0x7f
	v_and_b32_e32 v38, 0x7f, v35
	v_cmp_ne_u32_e32 vcc, s9, v38
	v_mov_b32_e32 v48, 0x7f800001
	s_and_saveexec_b64 s[20:21], vcc
	s_cbranch_execz .LBB447_42
; %bb.41:
	v_and_b32_e32 v48, 7, v35
	v_ffbh_u32_e32 v48, v48
	v_min_u32_e32 v48, 32, v48
	v_lshrrev_b32_e32 v49, 3, v38
	v_subrev_u32_e32 v50, 28, v48
	v_sub_u32_e32 v48, 29, v48
	v_cmp_gt_u32_e32 vcc, 8, v38
	v_cndmask_b32_e32 v38, v49, v48, vcc
	v_cndmask_b32_e32 v48, 0, v50, vcc
	v_lshlrev_b64 v[48:49], v48, v[40:41]
	v_lshlrev_b32_e32 v48, 20, v48
	v_lshlrev_b32_e32 v49, 24, v40
	v_bfrev_b32_e32 v50, 60
	v_and_b32_e32 v48, 0x700000, v48
	v_and_b32_e32 v49, 0x80000000, v49
	v_lshl_add_u32 v38, v38, 23, v50
	v_or3_b32 v48, v49, v38, v48
.LBB447_42:
	s_or_b64 exec, exec, s[20:21]
.LBB447_43:
	s_or_b64 exec, exec, s[10:11]
.LBB447_44:
	s_or_b64 exec, exec, s[2:3]
	v_lshrrev_b16_e32 v38, 8, v40
	v_cmp_ne_u16_e32 vcc, 0, v38
	s_and_saveexec_b64 s[2:3], vcc
	s_cbranch_execz .LBB447_50
; %bb.45:
	s_movk_i32 s9, 0x80
	v_cmp_ne_u16_e32 vcc, s9, v38
	v_bfrev_b32_e32 v41, 1
	s_and_saveexec_b64 s[10:11], vcc
	s_cbranch_execz .LBB447_49
; %bb.46:
	s_movk_i32 s9, 0x7f
	v_and_b32_e32 v49, 0x7f, v38
	v_cmp_ne_u32_e32 vcc, s9, v49
	v_mov_b32_e32 v41, 0x7f800001
	s_and_saveexec_b64 s[20:21], vcc
	s_cbranch_execz .LBB447_48
; %bb.47:
	v_and_b32_e32 v41, 7, v38
	v_ffbh_u32_e32 v50, v41
	v_min_u32_e32 v53, 32, v50
	v_subrev_u32_e32 v50, 28, v53
	v_lshlrev_b64 v[50:51], v50, v[38:39]
	v_lshrrev_b32_e32 v52, 3, v49
	v_sub_u32_e32 v38, 29, v53
	v_and_b32_e32 v50, 7, v50
	v_cmp_gt_u32_e32 vcc, 8, v49
	v_cndmask_b32_e32 v38, v52, v38, vcc
	v_cndmask_b32_e32 v41, v41, v50, vcc
	v_lshlrev_b32_e32 v40, 16, v40
	v_bfrev_b32_e32 v49, 60
	v_lshlrev_b32_e32 v41, 20, v41
	v_and_b32_e32 v40, 0x80000000, v40
	v_lshl_add_u32 v38, v38, 23, v49
	v_or3_b32 v41, v40, v38, v41
.LBB447_48:
	s_or_b64 exec, exec, s[20:21]
.LBB447_49:
	s_or_b64 exec, exec, s[10:11]
.LBB447_50:
	s_or_b64 exec, exec, s[2:3]
	s_movk_i32 s2, 0xff
	v_and_b32_sdwa v50, v35, s2 dst_sel:DWORD dst_unused:UNUSED_PAD src0_sel:WORD_1 src1_sel:DWORD
	v_lshrrev_b32_e32 v38, 16, v35
	v_cmp_ne_u16_e32 vcc, 0, v50
	v_mov_b32_e32 v40, 0
	v_mov_b32_e32 v49, 0
	s_and_saveexec_b64 s[2:3], vcc
	s_cbranch_execz .LBB447_56
; %bb.51:
	s_movk_i32 s9, 0x80
	v_cmp_ne_u16_e32 vcc, s9, v50
	v_bfrev_b32_e32 v49, 1
	s_and_saveexec_b64 s[10:11], vcc
	s_cbranch_execz .LBB447_55
; %bb.52:
	v_bfe_u32 v50, v35, 16, 7
	s_movk_i32 s9, 0x7f
	v_cmp_ne_u32_e32 vcc, s9, v50
	v_mov_b32_e32 v49, 0x7f800001
	s_and_saveexec_b64 s[20:21], vcc
	s_cbranch_execz .LBB447_54
; %bb.53:
	v_and_b32_e32 v49, 7, v38
	v_ffbh_u32_e32 v52, v49
	v_min_u32_e32 v54, 32, v52
	v_subrev_u32_e32 v52, 28, v54
	v_lshlrev_b64 v[52:53], v52, v[38:39]
	v_lshrrev_b32_e32 v51, 3, v50
	v_sub_u32_e32 v38, 29, v54
	v_and_b32_e32 v52, 7, v52
	v_cmp_gt_u32_e32 vcc, 8, v50
	v_mov_b32_e32 v50, 24
	v_cndmask_b32_e32 v38, v51, v38, vcc
	v_cndmask_b32_e32 v49, v49, v52, vcc
	v_lshlrev_b32_sdwa v50, v50, v35 dst_sel:DWORD dst_unused:UNUSED_PAD src0_sel:DWORD src1_sel:WORD_1
	v_bfrev_b32_e32 v51, 60
	v_lshlrev_b32_e32 v49, 20, v49
	v_and_b32_e32 v50, 0x80000000, v50
	v_lshl_add_u32 v38, v38, 23, v51
	v_or3_b32 v49, v50, v38, v49
.LBB447_54:
	s_or_b64 exec, exec, s[20:21]
.LBB447_55:
	s_or_b64 exec, exec, s[10:11]
.LBB447_56:
	s_or_b64 exec, exec, s[2:3]
	s_mov_b32 s2, -1
	s_mov_b32 s3, 0xffffff
	v_cmp_lt_u64_e32 vcc, s[2:3], v[34:35]
	s_and_saveexec_b64 s[2:3], vcc
	s_cbranch_execz .LBB447_62
; %bb.57:
	v_lshrrev_b32_e32 v34, 24, v35
	s_movk_i32 s9, 0x80
	v_cmp_ne_u32_e32 vcc, s9, v34
	v_bfrev_b32_e32 v40, 1
	s_and_saveexec_b64 s[10:11], vcc
	s_cbranch_execz .LBB447_61
; %bb.58:
	v_bfe_u32 v35, v35, 24, 7
	s_movk_i32 s9, 0x7f
	v_cmp_ne_u32_e32 vcc, s9, v35
	v_mov_b32_e32 v40, 0x7f800001
	s_and_saveexec_b64 s[20:21], vcc
	s_cbranch_execz .LBB447_60
; %bb.59:
	v_and_b32_e32 v38, 7, v34
	v_ffbh_u32_e32 v50, v38
	v_min_u32_e32 v52, 32, v50
	v_subrev_u32_e32 v50, 28, v52
	v_lshlrev_b64 v[50:51], v50, v[34:35]
	v_lshrrev_b32_e32 v40, 3, v35
	v_sub_u32_e32 v51, 29, v52
	v_and_b32_e32 v50, 7, v50
	v_cmp_gt_u32_e32 vcc, 8, v35
	v_cndmask_b32_e32 v35, v40, v51, vcc
	v_cndmask_b32_e32 v38, v38, v50, vcc
	v_lshlrev_b32_e32 v34, 24, v34
	v_bfrev_b32_e32 v40, 60
	v_lshlrev_b32_e32 v38, 20, v38
	v_and_b32_e32 v34, 0x80000000, v34
	v_lshl_add_u32 v35, v35, 23, v40
	v_or3_b32 v40, v34, v35, v38
.LBB447_60:
	s_or_b64 exec, exec, s[20:21]
.LBB447_61:
	s_or_b64 exec, exec, s[10:11]
.LBB447_62:
	s_or_b64 exec, exec, s[2:3]
	v_cvt_pkrtz_f16_f32 v34, v45, v39
	v_cvt_pkrtz_f16_f32 v35, v47, v46
	;; [unrolled: 1-line block ×4, first 2 shown]
	v_mfma_f32_4x4x4f16 a[0:3], v[18:19], v[34:35], 0 cbsz:4
	v_mov_b32_e32 v40, 0
	v_mfma_f32_4x4x4f16 a[0:3], v[20:21], v[46:47], a[0:3] cbsz:4
	v_mov_b32_e32 v39, 0
	v_cmp_ne_u16_sdwa s[10:11], v36, v40 src0_sel:BYTE_0 src1_sel:DWORD
	s_and_saveexec_b64 s[2:3], s[10:11]
	s_cbranch_execz .LBB447_68
; %bb.63:
	s_movk_i32 s9, 0x80
	v_cmp_ne_u16_sdwa s[20:21], v36, s9 src0_sel:BYTE_0 src1_sel:DWORD
	v_bfrev_b32_e32 v39, 1
	s_and_saveexec_b64 s[10:11], s[20:21]
	s_cbranch_execz .LBB447_67
; %bb.64:
	s_movk_i32 s9, 0x7f
	v_and_b32_e32 v34, 0x7f, v36
	v_cmp_ne_u32_e32 vcc, s9, v34
	v_mov_b32_e32 v39, 0x7f800001
	s_and_saveexec_b64 s[20:21], vcc
	s_cbranch_execz .LBB447_66
; %bb.65:
	v_and_b32_e32 v35, 7, v36
	v_ffbh_u32_e32 v35, v35
	v_min_u32_e32 v35, 32, v35
	v_subrev_u32_e32 v39, 28, v35
	v_cmp_gt_u32_e32 vcc, 8, v34
	v_lshrrev_b32_e32 v38, 3, v34
	v_sub_u32_e32 v35, 29, v35
	v_cndmask_b32_e32 v34, 0, v39, vcc
	v_cndmask_b32_e32 v38, v38, v35, vcc
	v_lshlrev_b64 v[34:35], v34, v[36:37]
	v_lshlrev_b32_e32 v34, 20, v34
	v_lshlrev_b32_e32 v35, 24, v36
	v_bfrev_b32_e32 v39, 60
	v_and_b32_e32 v34, 0x700000, v34
	v_and_b32_e32 v35, 0x80000000, v35
	v_lshl_add_u32 v38, v38, 23, v39
	v_or3_b32 v39, v35, v38, v34
.LBB447_66:
	s_or_b64 exec, exec, s[20:21]
.LBB447_67:
	s_or_b64 exec, exec, s[10:11]
.LBB447_68:
	s_or_b64 exec, exec, s[2:3]
	v_lshrrev_b16_e32 v34, 8, v36
	v_cmp_ne_u16_e32 vcc, 0, v34
	v_mov_b32_e32 v41, 0
	s_and_saveexec_b64 s[2:3], vcc
	s_cbranch_execz .LBB447_74
; %bb.69:
	s_movk_i32 s9, 0x80
	v_cmp_ne_u16_e32 vcc, s9, v34
	v_bfrev_b32_e32 v41, 1
	s_and_saveexec_b64 s[10:11], vcc
	s_cbranch_execz .LBB447_73
; %bb.70:
	s_movk_i32 s9, 0x7f
	v_and_b32_e32 v35, 0x7f, v34
	v_cmp_ne_u32_e32 vcc, s9, v35
	v_mov_b32_e32 v41, 0x7f800001
	s_and_saveexec_b64 s[20:21], vcc
	s_cbranch_execz .LBB447_72
; %bb.71:
	v_and_b32_e32 v38, 7, v34
	v_ffbh_u32_e32 v45, v38
	v_min_u32_e32 v45, 32, v45
	v_subrev_u32_e32 v46, 28, v45
	v_lshlrev_b64 v[46:47], v46, v[34:35]
	v_lshrrev_b32_e32 v41, 3, v35
	v_sub_u32_e32 v34, 29, v45
	v_and_b32_e32 v45, 7, v46
	v_cmp_gt_u32_e32 vcc, 8, v35
	v_cndmask_b32_e32 v34, v41, v34, vcc
	v_cndmask_b32_e32 v35, v38, v45, vcc
	v_lshlrev_b32_e32 v38, 16, v36
	v_bfrev_b32_e32 v41, 60
	v_lshlrev_b32_e32 v35, 20, v35
	v_and_b32_e32 v38, 0x80000000, v38
	v_lshl_add_u32 v34, v34, 23, v41
	v_or3_b32 v41, v38, v34, v35
.LBB447_72:
	s_or_b64 exec, exec, s[20:21]
.LBB447_73:
	s_or_b64 exec, exec, s[10:11]
.LBB447_74:
	s_or_b64 exec, exec, s[2:3]
	s_movk_i32 s2, 0xff
	v_and_b32_sdwa v35, v36, s2 dst_sel:DWORD dst_unused:UNUSED_PAD src0_sel:WORD_1 src1_sel:DWORD
	v_lshrrev_b32_e32 v34, 16, v36
	v_cmp_ne_u16_e32 vcc, 0, v35
	s_and_saveexec_b64 s[2:3], vcc
	s_cbranch_execz .LBB447_80
; %bb.75:
	s_movk_i32 s9, 0x80
	v_cmp_ne_u16_e32 vcc, s9, v35
	v_bfrev_b32_e32 v40, 1
	s_and_saveexec_b64 s[10:11], vcc
	s_cbranch_execz .LBB447_79
; %bb.76:
	v_bfe_u32 v35, v36, 16, 7
	s_movk_i32 s9, 0x7f
	v_cmp_ne_u32_e32 vcc, s9, v35
	v_mov_b32_e32 v40, 0x7f800001
	s_and_saveexec_b64 s[20:21], vcc
	s_cbranch_execz .LBB447_78
; %bb.77:
	v_and_b32_e32 v38, 7, v34
	v_ffbh_u32_e32 v45, v38
	v_min_u32_e32 v45, 32, v45
	v_subrev_u32_e32 v46, 28, v45
	v_lshlrev_b64 v[46:47], v46, v[34:35]
	v_sub_u32_e32 v34, 29, v45
	v_and_b32_e32 v45, 7, v46
	v_cmp_gt_u32_e32 vcc, 8, v35
	v_lshrrev_b32_e32 v40, 3, v35
	v_cndmask_b32_e32 v35, v38, v45, vcc
	v_mov_b32_e32 v38, 24
	v_cndmask_b32_e32 v34, v40, v34, vcc
	v_lshlrev_b32_sdwa v38, v38, v36 dst_sel:DWORD dst_unused:UNUSED_PAD src0_sel:DWORD src1_sel:WORD_1
	v_bfrev_b32_e32 v40, 60
	v_lshlrev_b32_e32 v35, 20, v35
	v_and_b32_e32 v38, 0x80000000, v38
	v_lshl_add_u32 v34, v34, 23, v40
	v_or3_b32 v40, v38, v34, v35
.LBB447_78:
	s_or_b64 exec, exec, s[20:21]
.LBB447_79:
	s_or_b64 exec, exec, s[10:11]
.LBB447_80:
	s_or_b64 exec, exec, s[2:3]
	s_mov_b32 s2, 0xffffff
	v_cmp_lt_u32_e32 vcc, s2, v36
	v_mov_b32_e32 v35, 0
	v_mov_b32_e32 v45, 0
	s_and_saveexec_b64 s[2:3], vcc
	s_cbranch_execz .LBB447_86
; %bb.81:
	v_lshrrev_b32_e32 v34, 24, v36
	s_movk_i32 s9, 0x80
	v_cmp_ne_u32_e32 vcc, s9, v34
	v_bfrev_b32_e32 v45, 1
	s_and_saveexec_b64 s[10:11], vcc
	s_cbranch_execz .LBB447_85
; %bb.82:
	v_bfe_u32 v38, v36, 24, 7
	s_movk_i32 s9, 0x7f
	v_cmp_ne_u32_e32 vcc, s9, v38
	v_mov_b32_e32 v45, 0x7f800001
	s_and_saveexec_b64 s[20:21], vcc
	s_cbranch_execz .LBB447_84
; %bb.83:
	v_and_b32_e32 v45, 7, v34
	v_ffbh_u32_e32 v46, v45
	v_min_u32_e32 v49, 32, v46
	v_subrev_u32_e32 v46, 28, v49
	v_lshlrev_b64 v[46:47], v46, v[34:35]
	v_lshrrev_b32_e32 v48, 3, v38
	v_sub_u32_e32 v47, 29, v49
	v_and_b32_e32 v46, 7, v46
	v_cmp_gt_u32_e32 vcc, 8, v38
	v_cndmask_b32_e32 v38, v48, v47, vcc
	v_cndmask_b32_e32 v45, v45, v46, vcc
	v_lshlrev_b32_e32 v34, 24, v34
	v_bfrev_b32_e32 v46, 60
	v_lshlrev_b32_e32 v45, 20, v45
	v_and_b32_e32 v34, 0x80000000, v34
	v_lshl_add_u32 v38, v38, 23, v46
	v_or3_b32 v45, v34, v38, v45
.LBB447_84:
	s_or_b64 exec, exec, s[20:21]
.LBB447_85:
	s_or_b64 exec, exec, s[10:11]
.LBB447_86:
	s_or_b64 exec, exec, s[2:3]
	v_mov_b32_e32 v34, v37
	v_cmp_ne_u16_sdwa s[10:11], v37, v35 src0_sel:BYTE_0 src1_sel:DWORD
	s_and_saveexec_b64 s[2:3], s[10:11]
	s_cbranch_execz .LBB447_92
; %bb.87:
	s_movk_i32 s9, 0x80
	v_cmp_ne_u16_sdwa s[20:21], v37, s9 src0_sel:BYTE_0 src1_sel:DWORD
	v_bfrev_b32_e32 v38, 1
	s_and_saveexec_b64 s[10:11], s[20:21]
	s_cbranch_execz .LBB447_91
; %bb.88:
	s_movk_i32 s9, 0x7f
	v_and_b32_e32 v46, 0x7f, v37
	v_cmp_ne_u32_e32 vcc, s9, v46
	v_mov_b32_e32 v38, 0x7f800001
	s_and_saveexec_b64 s[20:21], vcc
	s_cbranch_execz .LBB447_90
; %bb.89:
	v_and_b32_e32 v38, 7, v37
	v_ffbh_u32_e32 v38, v38
	v_min_u32_e32 v38, 32, v38
	v_subrev_u32_e32 v48, 28, v38
	v_cmp_gt_u32_e32 vcc, 8, v46
	v_lshrrev_b32_e32 v47, 3, v46
	v_sub_u32_e32 v38, 29, v38
	v_cndmask_b32_e32 v46, 0, v48, vcc
	v_cndmask_b32_e32 v38, v47, v38, vcc
	v_lshlrev_b64 v[46:47], v46, v[34:35]
	v_lshlrev_b32_e32 v35, 20, v46
	v_lshlrev_b32_e32 v46, 24, v34
	v_bfrev_b32_e32 v47, 60
	v_and_b32_e32 v35, 0x700000, v35
	v_and_b32_e32 v46, 0x80000000, v46
	v_lshl_add_u32 v38, v38, 23, v47
	v_or3_b32 v38, v46, v38, v35
.LBB447_90:
	s_or_b64 exec, exec, s[20:21]
.LBB447_91:
	s_or_b64 exec, exec, s[10:11]
	v_mov_b32_e32 v35, v38
.LBB447_92:
	s_or_b64 exec, exec, s[2:3]
	v_lshrrev_b16_e32 v38, 8, v34
	v_cmp_ne_u16_e32 vcc, 0, v38
	v_mov_b32_e32 v46, 0
	v_mov_b32_e32 v47, 0
	s_and_saveexec_b64 s[2:3], vcc
	s_cbranch_execz .LBB447_98
; %bb.93:
	s_movk_i32 s9, 0x80
	v_cmp_ne_u16_e32 vcc, s9, v38
	v_bfrev_b32_e32 v47, 1
	s_and_saveexec_b64 s[10:11], vcc
	s_cbranch_execz .LBB447_97
; %bb.94:
	s_movk_i32 s9, 0x7f
	v_and_b32_e32 v48, 0x7f, v38
	v_cmp_ne_u32_e32 vcc, s9, v48
	v_mov_b32_e32 v47, 0x7f800001
	s_and_saveexec_b64 s[20:21], vcc
	s_cbranch_execz .LBB447_96
; %bb.95:
	v_and_b32_e32 v47, 7, v38
	v_ffbh_u32_e32 v50, v47
	v_min_u32_e32 v52, 32, v50
	v_subrev_u32_e32 v50, 28, v52
	v_lshlrev_b64 v[50:51], v50, v[38:39]
	v_lshrrev_b32_e32 v49, 3, v48
	v_sub_u32_e32 v38, 29, v52
	v_and_b32_e32 v50, 7, v50
	v_cmp_gt_u32_e32 vcc, 8, v48
	v_cndmask_b32_e32 v38, v49, v38, vcc
	v_cndmask_b32_e32 v47, v47, v50, vcc
	v_lshlrev_b32_e32 v34, 16, v34
	v_bfrev_b32_e32 v48, 60
	v_lshlrev_b32_e32 v47, 20, v47
	v_and_b32_e32 v34, 0x80000000, v34
	v_lshl_add_u32 v38, v38, 23, v48
	v_or3_b32 v47, v34, v38, v47
.LBB447_96:
	s_or_b64 exec, exec, s[20:21]
.LBB447_97:
	s_or_b64 exec, exec, s[10:11]
.LBB447_98:
	s_or_b64 exec, exec, s[2:3]
	s_movk_i32 s2, 0xff
	v_and_b32_sdwa v38, v37, s2 dst_sel:DWORD dst_unused:UNUSED_PAD src0_sel:WORD_1 src1_sel:DWORD
	v_lshrrev_b32_e32 v34, 16, v37
	v_cmp_ne_u16_e32 vcc, 0, v38
	s_and_saveexec_b64 s[2:3], vcc
	s_cbranch_execz .LBB447_104
; %bb.99:
	s_movk_i32 s9, 0x80
	v_cmp_ne_u16_e32 vcc, s9, v38
	v_bfrev_b32_e32 v46, 1
	s_and_saveexec_b64 s[10:11], vcc
	s_cbranch_execz .LBB447_103
; %bb.100:
	v_bfe_u32 v38, v37, 16, 7
	s_movk_i32 s9, 0x7f
	v_cmp_ne_u32_e32 vcc, s9, v38
	v_mov_b32_e32 v46, 0x7f800001
	s_and_saveexec_b64 s[20:21], vcc
	s_cbranch_execz .LBB447_102
; %bb.101:
	v_and_b32_e32 v46, 7, v34
	v_ffbh_u32_e32 v48, v46
	v_min_u32_e32 v51, 32, v48
	v_subrev_u32_e32 v48, 28, v51
	v_lshlrev_b64 v[48:49], v48, v[34:35]
	v_and_b32_e32 v48, 7, v48
	v_cmp_gt_u32_e32 vcc, 8, v38
	v_lshrrev_b32_e32 v50, 3, v38
	v_sub_u32_e32 v34, 29, v51
	v_cndmask_b32_e32 v38, v46, v48, vcc
	v_mov_b32_e32 v46, 24
	v_cndmask_b32_e32 v34, v50, v34, vcc
	v_lshlrev_b32_sdwa v46, v46, v37 dst_sel:DWORD dst_unused:UNUSED_PAD src0_sel:DWORD src1_sel:WORD_1
	v_bfrev_b32_e32 v48, 60
	v_lshlrev_b32_e32 v38, 20, v38
	v_and_b32_e32 v46, 0x80000000, v46
	v_lshl_add_u32 v34, v34, 23, v48
	v_or3_b32 v46, v46, v34, v38
.LBB447_102:
	s_or_b64 exec, exec, s[20:21]
.LBB447_103:
	s_or_b64 exec, exec, s[10:11]
.LBB447_104:
	s_or_b64 exec, exec, s[2:3]
	s_mov_b32 s2, -1
	s_mov_b32 s3, 0xffffff
	v_cmp_lt_u64_e32 vcc, s[2:3], v[36:37]
	v_mov_b32_e32 v38, 0
	v_mov_b32_e32 v36, 0
	s_and_saveexec_b64 s[2:3], vcc
	s_cbranch_execz .LBB447_110
; %bb.105:
	v_lshrrev_b32_e32 v34, 24, v37
	s_movk_i32 s9, 0x80
	v_cmp_ne_u32_e32 vcc, s9, v34
	v_bfrev_b32_e32 v36, 1
	s_and_saveexec_b64 s[10:11], vcc
	s_cbranch_execz .LBB447_109
; %bb.106:
	v_bfe_u32 v37, v37, 24, 7
	s_movk_i32 s9, 0x7f
	v_cmp_ne_u32_e32 vcc, s9, v37
	v_mov_b32_e32 v36, 0x7f800001
	s_and_saveexec_b64 s[20:21], vcc
	s_cbranch_execz .LBB447_108
; %bb.107:
	v_and_b32_e32 v36, 7, v34
	v_ffbh_u32_e32 v48, v36
	v_min_u32_e32 v51, 32, v48
	v_subrev_u32_e32 v48, 28, v51
	v_lshlrev_b64 v[48:49], v48, v[34:35]
	v_lshrrev_b32_e32 v50, 3, v37
	v_sub_u32_e32 v49, 29, v51
	v_and_b32_e32 v48, 7, v48
	v_cmp_gt_u32_e32 vcc, 8, v37
	v_cndmask_b32_e32 v37, v50, v49, vcc
	v_cndmask_b32_e32 v36, v36, v48, vcc
	v_lshlrev_b32_e32 v34, 24, v34
	v_bfrev_b32_e32 v48, 60
	v_lshlrev_b32_e32 v36, 20, v36
	v_and_b32_e32 v34, 0x80000000, v34
	v_lshl_add_u32 v37, v37, 23, v48
	v_or3_b32 v36, v34, v37, v36
.LBB447_108:
	s_or_b64 exec, exec, s[20:21]
.LBB447_109:
	s_or_b64 exec, exec, s[10:11]
.LBB447_110:
	s_or_b64 exec, exec, s[2:3]
	v_cvt_pkrtz_f16_f32 v48, v39, v41
	v_cvt_pkrtz_f16_f32 v49, v40, v45
	;; [unrolled: 1-line block ×4, first 2 shown]
	v_mfma_f32_4x4x4f16 a[0:3], v[18:19], v[48:49], a[0:3] cbsz:4 abid:1
	s_waitcnt vmcnt(6)
	v_cmp_ne_u16_sdwa s[10:11], v30, v38 src0_sel:BYTE_0 src1_sel:DWORD
	v_mfma_f32_4x4x4f16 a[0:3], v[20:21], v[34:35], a[0:3] cbsz:4 abid:1
	s_and_saveexec_b64 s[2:3], s[10:11]
	s_cbranch_execz .LBB447_116
; %bb.111:
	s_movk_i32 s9, 0x80
	v_cmp_ne_u16_sdwa s[20:21], v30, s9 src0_sel:BYTE_0 src1_sel:DWORD
	v_bfrev_b32_e32 v38, 1
	s_and_saveexec_b64 s[10:11], s[20:21]
	s_cbranch_execz .LBB447_115
; %bb.112:
	s_movk_i32 s9, 0x7f
	v_and_b32_e32 v34, 0x7f, v30
	v_cmp_ne_u32_e32 vcc, s9, v34
	v_mov_b32_e32 v38, 0x7f800001
	s_and_saveexec_b64 s[20:21], vcc
	s_cbranch_execz .LBB447_114
; %bb.113:
	v_and_b32_e32 v35, 7, v30
	v_ffbh_u32_e32 v35, v35
	v_min_u32_e32 v35, 32, v35
	v_subrev_u32_e32 v37, 28, v35
	v_cmp_gt_u32_e32 vcc, 8, v34
	v_lshrrev_b32_e32 v36, 3, v34
	v_sub_u32_e32 v35, 29, v35
	v_cndmask_b32_e32 v34, 0, v37, vcc
	v_cndmask_b32_e32 v36, v36, v35, vcc
	v_lshlrev_b64 v[34:35], v34, v[30:31]
	v_lshlrev_b32_e32 v34, 20, v34
	v_lshlrev_b32_e32 v35, 24, v30
	v_bfrev_b32_e32 v37, 60
	v_and_b32_e32 v34, 0x700000, v34
	v_and_b32_e32 v35, 0x80000000, v35
	v_lshl_add_u32 v36, v36, 23, v37
	v_or3_b32 v38, v35, v36, v34
.LBB447_114:
	s_or_b64 exec, exec, s[20:21]
.LBB447_115:
	s_or_b64 exec, exec, s[10:11]
.LBB447_116:
	s_or_b64 exec, exec, s[2:3]
	v_lshrrev_b16_e32 v34, 8, v30
	v_cmp_ne_u16_e32 vcc, 0, v34
	v_mov_b32_e32 v37, 0
	v_mov_b32_e32 v39, 0
	s_and_saveexec_b64 s[2:3], vcc
	s_cbranch_execz .LBB447_122
; %bb.117:
	s_movk_i32 s9, 0x80
	v_cmp_ne_u16_e32 vcc, s9, v34
	v_bfrev_b32_e32 v39, 1
	s_and_saveexec_b64 s[10:11], vcc
	s_cbranch_execz .LBB447_121
; %bb.118:
	s_movk_i32 s9, 0x7f
	v_and_b32_e32 v35, 0x7f, v34
	v_cmp_ne_u32_e32 vcc, s9, v35
	v_mov_b32_e32 v39, 0x7f800001
	s_and_saveexec_b64 s[20:21], vcc
	s_cbranch_execz .LBB447_120
; %bb.119:
	v_and_b32_e32 v36, 7, v34
	v_ffbh_u32_e32 v40, v36
	v_min_u32_e32 v45, 32, v40
	v_subrev_u32_e32 v40, 28, v45
	v_lshlrev_b64 v[40:41], v40, v[34:35]
	v_lshrrev_b32_e32 v39, 3, v35
	v_sub_u32_e32 v34, 29, v45
	v_and_b32_e32 v40, 7, v40
	v_cmp_gt_u32_e32 vcc, 8, v35
	v_cndmask_b32_e32 v34, v39, v34, vcc
	v_cndmask_b32_e32 v35, v36, v40, vcc
	v_lshlrev_b32_e32 v36, 16, v30
	v_bfrev_b32_e32 v39, 60
	v_lshlrev_b32_e32 v35, 20, v35
	v_and_b32_e32 v36, 0x80000000, v36
	v_lshl_add_u32 v34, v34, 23, v39
	v_or3_b32 v39, v36, v34, v35
.LBB447_120:
	s_or_b64 exec, exec, s[20:21]
.LBB447_121:
	s_or_b64 exec, exec, s[10:11]
.LBB447_122:
	s_or_b64 exec, exec, s[2:3]
	s_movk_i32 s2, 0xff
	v_and_b32_sdwa v35, v30, s2 dst_sel:DWORD dst_unused:UNUSED_PAD src0_sel:WORD_1 src1_sel:DWORD
	v_lshrrev_b32_e32 v34, 16, v30
	v_cmp_ne_u16_e32 vcc, 0, v35
	s_and_saveexec_b64 s[2:3], vcc
	s_cbranch_execz .LBB447_128
; %bb.123:
	s_movk_i32 s9, 0x80
	v_cmp_ne_u16_e32 vcc, s9, v35
	v_bfrev_b32_e32 v37, 1
	s_and_saveexec_b64 s[10:11], vcc
	s_cbranch_execz .LBB447_127
; %bb.124:
	v_bfe_u32 v35, v30, 16, 7
	s_movk_i32 s9, 0x7f
	v_cmp_ne_u32_e32 vcc, s9, v35
	v_mov_b32_e32 v37, 0x7f800001
	s_and_saveexec_b64 s[20:21], vcc
	s_cbranch_execz .LBB447_126
; %bb.125:
	v_and_b32_e32 v40, 7, v34
	v_ffbh_u32_e32 v36, v40
	v_min_u32_e32 v45, 32, v36
	v_subrev_u32_e32 v36, 28, v45
	v_lshlrev_b64 v[36:37], v36, v[34:35]
	v_and_b32_e32 v36, 7, v36
	v_cmp_gt_u32_e32 vcc, 8, v35
	v_lshrrev_b32_e32 v41, 3, v35
	v_sub_u32_e32 v34, 29, v45
	v_cndmask_b32_e32 v35, v40, v36, vcc
	v_mov_b32_e32 v36, 24
	v_cndmask_b32_e32 v34, v41, v34, vcc
	v_lshlrev_b32_sdwa v36, v36, v30 dst_sel:DWORD dst_unused:UNUSED_PAD src0_sel:DWORD src1_sel:WORD_1
	v_bfrev_b32_e32 v37, 60
	v_lshlrev_b32_e32 v35, 20, v35
	v_and_b32_e32 v36, 0x80000000, v36
	v_lshl_add_u32 v34, v34, 23, v37
	v_or3_b32 v37, v36, v34, v35
.LBB447_126:
	s_or_b64 exec, exec, s[20:21]
.LBB447_127:
	s_or_b64 exec, exec, s[10:11]
.LBB447_128:
	s_or_b64 exec, exec, s[2:3]
	s_mov_b32 s2, 0xffffff
	v_cmp_lt_u32_e32 vcc, s2, v30
	v_mov_b32_e32 v35, 0
	v_mov_b32_e32 v40, 0
	s_and_saveexec_b64 s[2:3], vcc
	s_cbranch_execz .LBB447_134
; %bb.129:
	v_lshrrev_b32_e32 v34, 24, v30
	s_movk_i32 s9, 0x80
	v_cmp_ne_u32_e32 vcc, s9, v34
	v_bfrev_b32_e32 v40, 1
	s_and_saveexec_b64 s[10:11], vcc
	s_cbranch_execz .LBB447_133
; %bb.130:
	v_bfe_u32 v36, v30, 24, 7
	s_movk_i32 s9, 0x7f
	v_cmp_ne_u32_e32 vcc, s9, v36
	v_mov_b32_e32 v40, 0x7f800001
	s_and_saveexec_b64 s[20:21], vcc
	s_cbranch_execz .LBB447_132
; %bb.131:
	v_and_b32_e32 v45, 7, v34
	v_ffbh_u32_e32 v40, v45
	v_min_u32_e32 v47, 32, v40
	v_subrev_u32_e32 v40, 28, v47
	v_lshlrev_b64 v[40:41], v40, v[34:35]
	v_lshrrev_b32_e32 v46, 3, v36
	v_sub_u32_e32 v41, 29, v47
	v_and_b32_e32 v40, 7, v40
	v_cmp_gt_u32_e32 vcc, 8, v36
	v_cndmask_b32_e32 v36, v46, v41, vcc
	v_cndmask_b32_e32 v40, v45, v40, vcc
	v_lshlrev_b32_e32 v34, 24, v34
	v_bfrev_b32_e32 v41, 60
	v_lshlrev_b32_e32 v40, 20, v40
	v_and_b32_e32 v34, 0x80000000, v34
	v_lshl_add_u32 v36, v36, 23, v41
	v_or3_b32 v40, v34, v36, v40
.LBB447_132:
	s_or_b64 exec, exec, s[20:21]
.LBB447_133:
	s_or_b64 exec, exec, s[10:11]
.LBB447_134:
	s_or_b64 exec, exec, s[2:3]
	v_mov_b32_e32 v34, v31
	v_cmp_ne_u16_sdwa s[10:11], v31, v35 src0_sel:BYTE_0 src1_sel:DWORD
	s_and_saveexec_b64 s[2:3], s[10:11]
	s_cbranch_execz .LBB447_140
; %bb.135:
	s_movk_i32 s9, 0x80
	v_cmp_ne_u16_sdwa s[20:21], v31, s9 src0_sel:BYTE_0 src1_sel:DWORD
	v_bfrev_b32_e32 v36, 1
	s_and_saveexec_b64 s[10:11], s[20:21]
	s_cbranch_execz .LBB447_139
; %bb.136:
	s_movk_i32 s9, 0x7f
	v_and_b32_e32 v41, 0x7f, v31
	v_cmp_ne_u32_e32 vcc, s9, v41
	v_mov_b32_e32 v36, 0x7f800001
	s_and_saveexec_b64 s[20:21], vcc
	s_cbranch_execz .LBB447_138
; %bb.137:
	v_and_b32_e32 v36, 7, v31
	v_ffbh_u32_e32 v36, v36
	v_min_u32_e32 v36, 32, v36
	v_subrev_u32_e32 v46, 28, v36
	v_cmp_gt_u32_e32 vcc, 8, v41
	v_lshrrev_b32_e32 v45, 3, v41
	v_cndmask_b32_e32 v41, 0, v46, vcc
	v_sub_u32_e32 v36, 29, v36
	v_lshlrev_b64 v[46:47], v41, v[34:35]
	v_cndmask_b32_e32 v36, v45, v36, vcc
	v_lshlrev_b32_e32 v35, 20, v46
	v_lshlrev_b32_e32 v41, 24, v34
	v_bfrev_b32_e32 v45, 60
	v_and_b32_e32 v35, 0x700000, v35
	v_and_b32_e32 v41, 0x80000000, v41
	v_lshl_add_u32 v36, v36, 23, v45
	v_or3_b32 v36, v41, v36, v35
.LBB447_138:
	s_or_b64 exec, exec, s[20:21]
.LBB447_139:
	s_or_b64 exec, exec, s[10:11]
	v_mov_b32_e32 v35, v36
.LBB447_140:
	s_or_b64 exec, exec, s[2:3]
	v_lshrrev_b16_e32 v36, 8, v34
	v_cmp_ne_u16_e32 vcc, 0, v36
	v_mov_b32_e32 v41, 0
	v_mov_b32_e32 v45, 0
	s_and_saveexec_b64 s[2:3], vcc
	s_cbranch_execz .LBB447_146
; %bb.141:
	s_movk_i32 s9, 0x80
	v_cmp_ne_u16_e32 vcc, s9, v36
	v_bfrev_b32_e32 v45, 1
	s_and_saveexec_b64 s[10:11], vcc
	s_cbranch_execz .LBB447_145
; %bb.142:
	s_movk_i32 s9, 0x7f
	v_and_b32_e32 v46, 0x7f, v36
	v_cmp_ne_u32_e32 vcc, s9, v46
	v_mov_b32_e32 v45, 0x7f800001
	s_and_saveexec_b64 s[20:21], vcc
	s_cbranch_execz .LBB447_144
; %bb.143:
	v_and_b32_e32 v45, 7, v36
	v_ffbh_u32_e32 v48, v45
	v_min_u32_e32 v50, 32, v48
	v_subrev_u32_e32 v48, 28, v50
	v_lshlrev_b64 v[48:49], v48, v[36:37]
	v_lshrrev_b32_e32 v47, 3, v46
	v_sub_u32_e32 v36, 29, v50
	v_and_b32_e32 v48, 7, v48
	v_cmp_gt_u32_e32 vcc, 8, v46
	v_cndmask_b32_e32 v36, v47, v36, vcc
	v_cndmask_b32_e32 v45, v45, v48, vcc
	v_lshlrev_b32_e32 v34, 16, v34
	v_bfrev_b32_e32 v46, 60
	v_lshlrev_b32_e32 v45, 20, v45
	v_and_b32_e32 v34, 0x80000000, v34
	v_lshl_add_u32 v36, v36, 23, v46
	v_or3_b32 v45, v34, v36, v45
.LBB447_144:
	s_or_b64 exec, exec, s[20:21]
.LBB447_145:
	s_or_b64 exec, exec, s[10:11]
.LBB447_146:
	s_or_b64 exec, exec, s[2:3]
	s_movk_i32 s2, 0xff
	v_and_b32_sdwa v36, v31, s2 dst_sel:DWORD dst_unused:UNUSED_PAD src0_sel:WORD_1 src1_sel:DWORD
	v_lshrrev_b32_e32 v34, 16, v31
	v_cmp_ne_u16_e32 vcc, 0, v36
	s_and_saveexec_b64 s[2:3], vcc
	s_cbranch_execz .LBB447_152
; %bb.147:
	s_movk_i32 s9, 0x80
	v_cmp_ne_u16_e32 vcc, s9, v36
	v_bfrev_b32_e32 v41, 1
	s_and_saveexec_b64 s[10:11], vcc
	s_cbranch_execz .LBB447_151
; %bb.148:
	v_bfe_u32 v36, v31, 16, 7
	s_movk_i32 s9, 0x7f
	v_cmp_ne_u32_e32 vcc, s9, v36
	v_mov_b32_e32 v41, 0x7f800001
	s_and_saveexec_b64 s[20:21], vcc
	s_cbranch_execz .LBB447_150
; %bb.149:
	v_and_b32_e32 v41, 7, v34
	v_ffbh_u32_e32 v46, v41
	v_min_u32_e32 v49, 32, v46
	v_subrev_u32_e32 v46, 28, v49
	v_lshlrev_b64 v[46:47], v46, v[34:35]
	v_and_b32_e32 v46, 7, v46
	v_cmp_gt_u32_e32 vcc, 8, v36
	v_lshrrev_b32_e32 v48, 3, v36
	v_sub_u32_e32 v34, 29, v49
	v_cndmask_b32_e32 v36, v41, v46, vcc
	v_mov_b32_e32 v41, 24
	v_cndmask_b32_e32 v34, v48, v34, vcc
	v_lshlrev_b32_sdwa v41, v41, v31 dst_sel:DWORD dst_unused:UNUSED_PAD src0_sel:DWORD src1_sel:WORD_1
	v_bfrev_b32_e32 v46, 60
	v_lshlrev_b32_e32 v36, 20, v36
	v_and_b32_e32 v41, 0x80000000, v41
	v_lshl_add_u32 v34, v34, 23, v46
	v_or3_b32 v41, v41, v34, v36
.LBB447_150:
	s_or_b64 exec, exec, s[20:21]
.LBB447_151:
	s_or_b64 exec, exec, s[10:11]
.LBB447_152:
	s_or_b64 exec, exec, s[2:3]
	s_mov_b32 s2, -1
	s_mov_b32 s3, 0xffffff
	v_cmp_lt_u64_e32 vcc, s[2:3], v[30:31]
	v_mov_b32_e32 v36, 0
	v_mov_b32_e32 v34, 0
	s_and_saveexec_b64 s[2:3], vcc
	s_cbranch_execz .LBB447_158
; %bb.153:
	v_lshrrev_b32_e32 v30, 24, v31
	s_movk_i32 s9, 0x80
	v_cmp_ne_u32_e32 vcc, s9, v30
	v_bfrev_b32_e32 v34, 1
	s_and_saveexec_b64 s[10:11], vcc
	s_cbranch_execz .LBB447_157
; %bb.154:
	v_bfe_u32 v31, v31, 24, 7
	s_movk_i32 s9, 0x7f
	v_cmp_ne_u32_e32 vcc, s9, v31
	v_mov_b32_e32 v34, 0x7f800001
	s_and_saveexec_b64 s[20:21], vcc
	s_cbranch_execz .LBB447_156
; %bb.155:
	v_and_b32_e32 v34, 7, v30
	v_ffbh_u32_e32 v46, v34
	v_min_u32_e32 v49, 32, v46
	v_subrev_u32_e32 v46, 28, v49
	v_lshlrev_b64 v[46:47], v46, v[30:31]
	v_lshrrev_b32_e32 v48, 3, v31
	v_sub_u32_e32 v47, 29, v49
	v_and_b32_e32 v46, 7, v46
	v_cmp_gt_u32_e32 vcc, 8, v31
	v_cndmask_b32_e32 v31, v48, v47, vcc
	v_cndmask_b32_e32 v34, v34, v46, vcc
	v_lshlrev_b32_e32 v30, 24, v30
	v_bfrev_b32_e32 v46, 60
	v_lshlrev_b32_e32 v34, 20, v34
	v_and_b32_e32 v30, 0x80000000, v30
	v_lshl_add_u32 v31, v31, 23, v46
	v_or3_b32 v34, v30, v31, v34
.LBB447_156:
	s_or_b64 exec, exec, s[20:21]
.LBB447_157:
	s_or_b64 exec, exec, s[10:11]
.LBB447_158:
	s_or_b64 exec, exec, s[2:3]
	v_cvt_pkrtz_f16_f32 v30, v38, v39
	v_cvt_pkrtz_f16_f32 v31, v37, v40
	;; [unrolled: 1-line block ×4, first 2 shown]
	v_mfma_f32_4x4x4f16 a[0:3], v[18:19], v[30:31], a[0:3] cbsz:4 abid:2
	v_cmp_ne_u16_sdwa s[10:11], v32, v36 src0_sel:BYTE_0 src1_sel:DWORD
	v_mfma_f32_4x4x4f16 a[0:3], v[20:21], v[38:39], a[0:3] cbsz:4 abid:2
	s_and_saveexec_b64 s[2:3], s[10:11]
	s_cbranch_execz .LBB447_164
; %bb.159:
	s_movk_i32 s9, 0x80
	v_cmp_ne_u16_sdwa s[20:21], v32, s9 src0_sel:BYTE_0 src1_sel:DWORD
	v_bfrev_b32_e32 v36, 1
	s_and_saveexec_b64 s[10:11], s[20:21]
	s_cbranch_execz .LBB447_163
; %bb.160:
	s_movk_i32 s9, 0x7f
	v_and_b32_e32 v30, 0x7f, v32
	v_cmp_ne_u32_e32 vcc, s9, v30
	v_mov_b32_e32 v36, 0x7f800001
	s_and_saveexec_b64 s[20:21], vcc
	s_cbranch_execz .LBB447_162
; %bb.161:
	v_and_b32_e32 v31, 7, v32
	v_ffbh_u32_e32 v31, v31
	v_min_u32_e32 v31, 32, v31
	v_subrev_u32_e32 v35, 28, v31
	v_cmp_gt_u32_e32 vcc, 8, v30
	v_lshrrev_b32_e32 v34, 3, v30
	v_sub_u32_e32 v31, 29, v31
	v_cndmask_b32_e32 v30, 0, v35, vcc
	v_cndmask_b32_e32 v34, v34, v31, vcc
	v_lshlrev_b64 v[30:31], v30, v[32:33]
	v_lshlrev_b32_e32 v30, 20, v30
	v_lshlrev_b32_e32 v31, 24, v32
	v_bfrev_b32_e32 v35, 60
	v_and_b32_e32 v30, 0x700000, v30
	v_and_b32_e32 v31, 0x80000000, v31
	v_lshl_add_u32 v34, v34, 23, v35
	v_or3_b32 v36, v31, v34, v30
.LBB447_162:
	s_or_b64 exec, exec, s[20:21]
.LBB447_163:
	s_or_b64 exec, exec, s[10:11]
.LBB447_164:
	s_or_b64 exec, exec, s[2:3]
	v_lshrrev_b16_e32 v30, 8, v32
	v_cmp_ne_u16_e32 vcc, 0, v30
	v_mov_b32_e32 v35, 0
	v_mov_b32_e32 v37, 0
	s_and_saveexec_b64 s[2:3], vcc
	s_cbranch_execz .LBB447_170
; %bb.165:
	s_movk_i32 s9, 0x80
	v_cmp_ne_u16_e32 vcc, s9, v30
	v_bfrev_b32_e32 v37, 1
	s_and_saveexec_b64 s[10:11], vcc
	s_cbranch_execz .LBB447_169
; %bb.166:
	s_movk_i32 s9, 0x7f
	v_and_b32_e32 v31, 0x7f, v30
	v_cmp_ne_u32_e32 vcc, s9, v31
	v_mov_b32_e32 v37, 0x7f800001
	s_and_saveexec_b64 s[20:21], vcc
	s_cbranch_execz .LBB447_168
; %bb.167:
	v_and_b32_e32 v34, 7, v30
	v_ffbh_u32_e32 v38, v34
	v_min_u32_e32 v40, 32, v38
	v_subrev_u32_e32 v38, 28, v40
	v_lshlrev_b64 v[38:39], v38, v[30:31]
	v_lshrrev_b32_e32 v37, 3, v31
	v_sub_u32_e32 v30, 29, v40
	v_and_b32_e32 v38, 7, v38
	v_cmp_gt_u32_e32 vcc, 8, v31
	v_cndmask_b32_e32 v30, v37, v30, vcc
	v_cndmask_b32_e32 v31, v34, v38, vcc
	v_lshlrev_b32_e32 v34, 16, v32
	v_bfrev_b32_e32 v37, 60
	v_lshlrev_b32_e32 v31, 20, v31
	v_and_b32_e32 v34, 0x80000000, v34
	v_lshl_add_u32 v30, v30, 23, v37
	v_or3_b32 v37, v34, v30, v31
.LBB447_168:
	s_or_b64 exec, exec, s[20:21]
.LBB447_169:
	s_or_b64 exec, exec, s[10:11]
.LBB447_170:
	s_or_b64 exec, exec, s[2:3]
	s_movk_i32 s2, 0xff
	v_and_b32_sdwa v31, v32, s2 dst_sel:DWORD dst_unused:UNUSED_PAD src0_sel:WORD_1 src1_sel:DWORD
	v_lshrrev_b32_e32 v30, 16, v32
	v_cmp_ne_u16_e32 vcc, 0, v31
	s_and_saveexec_b64 s[2:3], vcc
	s_cbranch_execz .LBB447_176
; %bb.171:
	s_movk_i32 s9, 0x80
	v_cmp_ne_u16_e32 vcc, s9, v31
	v_bfrev_b32_e32 v35, 1
	s_and_saveexec_b64 s[10:11], vcc
	s_cbranch_execz .LBB447_175
; %bb.172:
	v_bfe_u32 v31, v32, 16, 7
	s_movk_i32 s9, 0x7f
	v_cmp_ne_u32_e32 vcc, s9, v31
	v_mov_b32_e32 v35, 0x7f800001
	s_and_saveexec_b64 s[20:21], vcc
	s_cbranch_execz .LBB447_174
; %bb.173:
	v_and_b32_e32 v38, 7, v30
	v_ffbh_u32_e32 v34, v38
	v_min_u32_e32 v40, 32, v34
	v_subrev_u32_e32 v34, 28, v40
	v_lshlrev_b64 v[34:35], v34, v[30:31]
	v_and_b32_e32 v34, 7, v34
	v_cmp_gt_u32_e32 vcc, 8, v31
	v_lshrrev_b32_e32 v39, 3, v31
	v_sub_u32_e32 v30, 29, v40
	v_cndmask_b32_e32 v31, v38, v34, vcc
	v_mov_b32_e32 v34, 24
	v_cndmask_b32_e32 v30, v39, v30, vcc
	v_lshlrev_b32_sdwa v34, v34, v32 dst_sel:DWORD dst_unused:UNUSED_PAD src0_sel:DWORD src1_sel:WORD_1
	v_bfrev_b32_e32 v35, 60
	v_lshlrev_b32_e32 v31, 20, v31
	v_and_b32_e32 v34, 0x80000000, v34
	v_lshl_add_u32 v30, v30, 23, v35
	v_or3_b32 v35, v34, v30, v31
.LBB447_174:
	s_or_b64 exec, exec, s[20:21]
.LBB447_175:
	s_or_b64 exec, exec, s[10:11]
.LBB447_176:
	s_or_b64 exec, exec, s[2:3]
	s_mov_b32 s2, 0xffffff
	v_cmp_lt_u32_e32 vcc, s2, v32
	v_mov_b32_e32 v31, 0
	v_mov_b32_e32 v38, 0
	s_and_saveexec_b64 s[2:3], vcc
	s_cbranch_execz .LBB447_182
; %bb.177:
	v_lshrrev_b32_e32 v30, 24, v32
	s_movk_i32 s9, 0x80
	v_cmp_ne_u32_e32 vcc, s9, v30
	v_bfrev_b32_e32 v38, 1
	s_and_saveexec_b64 s[10:11], vcc
	s_cbranch_execz .LBB447_181
; %bb.178:
	v_bfe_u32 v34, v32, 24, 7
	s_movk_i32 s9, 0x7f
	v_cmp_ne_u32_e32 vcc, s9, v34
	v_mov_b32_e32 v38, 0x7f800001
	s_and_saveexec_b64 s[20:21], vcc
	s_cbranch_execz .LBB447_180
; %bb.179:
	v_and_b32_e32 v40, 7, v30
	v_ffbh_u32_e32 v38, v40
	v_min_u32_e32 v45, 32, v38
	v_subrev_u32_e32 v38, 28, v45
	v_lshlrev_b64 v[38:39], v38, v[30:31]
	v_lshrrev_b32_e32 v41, 3, v34
	v_sub_u32_e32 v39, 29, v45
	v_and_b32_e32 v38, 7, v38
	v_cmp_gt_u32_e32 vcc, 8, v34
	v_cndmask_b32_e32 v34, v41, v39, vcc
	v_cndmask_b32_e32 v38, v40, v38, vcc
	v_lshlrev_b32_e32 v30, 24, v30
	v_bfrev_b32_e32 v39, 60
	v_lshlrev_b32_e32 v38, 20, v38
	v_and_b32_e32 v30, 0x80000000, v30
	v_lshl_add_u32 v34, v34, 23, v39
	v_or3_b32 v38, v30, v34, v38
.LBB447_180:
	s_or_b64 exec, exec, s[20:21]
.LBB447_181:
	s_or_b64 exec, exec, s[10:11]
.LBB447_182:
	s_or_b64 exec, exec, s[2:3]
	v_mov_b32_e32 v30, v33
	v_cmp_ne_u16_sdwa s[10:11], v33, v31 src0_sel:BYTE_0 src1_sel:DWORD
	s_and_saveexec_b64 s[2:3], s[10:11]
	s_cbranch_execz .LBB447_188
; %bb.183:
	s_movk_i32 s9, 0x80
	v_cmp_ne_u16_sdwa s[20:21], v33, s9 src0_sel:BYTE_0 src1_sel:DWORD
	v_bfrev_b32_e32 v34, 1
	s_and_saveexec_b64 s[10:11], s[20:21]
	s_cbranch_execz .LBB447_187
; %bb.184:
	s_movk_i32 s9, 0x7f
	v_and_b32_e32 v39, 0x7f, v33
	v_cmp_ne_u32_e32 vcc, s9, v39
	v_mov_b32_e32 v34, 0x7f800001
	s_and_saveexec_b64 s[20:21], vcc
	s_cbranch_execz .LBB447_186
; %bb.185:
	v_and_b32_e32 v34, 7, v33
	v_ffbh_u32_e32 v34, v34
	v_min_u32_e32 v34, 32, v34
	v_subrev_u32_e32 v41, 28, v34
	v_cmp_gt_u32_e32 vcc, 8, v39
	v_lshrrev_b32_e32 v40, 3, v39
	v_sub_u32_e32 v34, 29, v34
	v_cndmask_b32_e32 v39, 0, v41, vcc
	v_cndmask_b32_e32 v34, v40, v34, vcc
	v_lshlrev_b64 v[40:41], v39, v[30:31]
	v_lshlrev_b32_e32 v31, 20, v40
	v_lshlrev_b32_e32 v39, 24, v30
	v_bfrev_b32_e32 v40, 60
	v_and_b32_e32 v31, 0x700000, v31
	v_and_b32_e32 v39, 0x80000000, v39
	v_lshl_add_u32 v34, v34, 23, v40
	v_or3_b32 v34, v39, v34, v31
.LBB447_186:
	s_or_b64 exec, exec, s[20:21]
.LBB447_187:
	s_or_b64 exec, exec, s[10:11]
	v_mov_b32_e32 v31, v34
.LBB447_188:
	s_or_b64 exec, exec, s[2:3]
	v_lshrrev_b16_e32 v34, 8, v30
	v_cmp_ne_u16_e32 vcc, 0, v34
	v_mov_b32_e32 v39, 0
	v_mov_b32_e32 v40, 0
	s_and_saveexec_b64 s[2:3], vcc
	s_cbranch_execz .LBB447_194
; %bb.189:
	s_movk_i32 s9, 0x80
	v_cmp_ne_u16_e32 vcc, s9, v34
	v_bfrev_b32_e32 v40, 1
	s_and_saveexec_b64 s[10:11], vcc
	s_cbranch_execz .LBB447_193
; %bb.190:
	s_movk_i32 s9, 0x7f
	v_and_b32_e32 v41, 0x7f, v34
	v_cmp_ne_u32_e32 vcc, s9, v41
	v_mov_b32_e32 v40, 0x7f800001
	s_and_saveexec_b64 s[20:21], vcc
	s_cbranch_execz .LBB447_192
; %bb.191:
	v_and_b32_e32 v40, 7, v34
	v_ffbh_u32_e32 v46, v40
	v_min_u32_e32 v48, 32, v46
	v_subrev_u32_e32 v46, 28, v48
	v_lshlrev_b64 v[46:47], v46, v[34:35]
	v_lshrrev_b32_e32 v45, 3, v41
	v_sub_u32_e32 v34, 29, v48
	v_and_b32_e32 v46, 7, v46
	v_cmp_gt_u32_e32 vcc, 8, v41
	v_cndmask_b32_e32 v34, v45, v34, vcc
	v_cndmask_b32_e32 v40, v40, v46, vcc
	v_lshlrev_b32_e32 v30, 16, v30
	v_bfrev_b32_e32 v41, 60
	v_lshlrev_b32_e32 v40, 20, v40
	v_and_b32_e32 v30, 0x80000000, v30
	v_lshl_add_u32 v34, v34, 23, v41
	v_or3_b32 v40, v30, v34, v40
.LBB447_192:
	s_or_b64 exec, exec, s[20:21]
.LBB447_193:
	s_or_b64 exec, exec, s[10:11]
.LBB447_194:
	s_or_b64 exec, exec, s[2:3]
	s_movk_i32 s2, 0xff
	v_and_b32_sdwa v34, v33, s2 dst_sel:DWORD dst_unused:UNUSED_PAD src0_sel:WORD_1 src1_sel:DWORD
	v_lshrrev_b32_e32 v30, 16, v33
	v_cmp_ne_u16_e32 vcc, 0, v34
	s_and_saveexec_b64 s[2:3], vcc
	s_cbranch_execz .LBB447_200
; %bb.195:
	s_movk_i32 s9, 0x80
	v_cmp_ne_u16_e32 vcc, s9, v34
	v_bfrev_b32_e32 v39, 1
	s_and_saveexec_b64 s[10:11], vcc
	s_cbranch_execz .LBB447_199
; %bb.196:
	v_bfe_u32 v34, v33, 16, 7
	s_movk_i32 s9, 0x7f
	v_cmp_ne_u32_e32 vcc, s9, v34
	v_mov_b32_e32 v39, 0x7f800001
	s_and_saveexec_b64 s[20:21], vcc
	s_cbranch_execz .LBB447_198
; %bb.197:
	v_and_b32_e32 v39, 7, v30
	v_ffbh_u32_e32 v45, v39
	v_min_u32_e32 v45, 32, v45
	v_subrev_u32_e32 v46, 28, v45
	v_lshlrev_b64 v[46:47], v46, v[30:31]
	v_sub_u32_e32 v30, 29, v45
	v_and_b32_e32 v45, 7, v46
	v_cmp_gt_u32_e32 vcc, 8, v34
	v_lshrrev_b32_e32 v41, 3, v34
	v_cndmask_b32_e32 v34, v39, v45, vcc
	v_mov_b32_e32 v39, 24
	v_cndmask_b32_e32 v30, v41, v30, vcc
	v_lshlrev_b32_sdwa v39, v39, v33 dst_sel:DWORD dst_unused:UNUSED_PAD src0_sel:DWORD src1_sel:WORD_1
	v_bfrev_b32_e32 v41, 60
	v_lshlrev_b32_e32 v34, 20, v34
	v_and_b32_e32 v39, 0x80000000, v39
	v_lshl_add_u32 v30, v30, 23, v41
	v_or3_b32 v39, v39, v30, v34
.LBB447_198:
	s_or_b64 exec, exec, s[20:21]
.LBB447_199:
	s_or_b64 exec, exec, s[10:11]
.LBB447_200:
	s_or_b64 exec, exec, s[2:3]
	s_mov_b32 s2, -1
	s_mov_b32 s3, 0xffffff
	v_cmp_lt_u64_e32 vcc, s[2:3], v[32:33]
	v_mov_b32_e32 v34, 0
	v_mov_b32_e32 v32, 0
	s_and_saveexec_b64 s[2:3], vcc
	s_cbranch_execz .LBB447_206
; %bb.201:
	v_lshrrev_b32_e32 v30, 24, v33
	s_movk_i32 s9, 0x80
	v_cmp_ne_u32_e32 vcc, s9, v30
	v_bfrev_b32_e32 v32, 1
	s_and_saveexec_b64 s[10:11], vcc
	s_cbranch_execz .LBB447_205
; %bb.202:
	v_bfe_u32 v33, v33, 24, 7
	s_movk_i32 s9, 0x7f
	v_cmp_ne_u32_e32 vcc, s9, v33
	v_mov_b32_e32 v32, 0x7f800001
	s_and_saveexec_b64 s[20:21], vcc
	s_cbranch_execz .LBB447_204
; %bb.203:
	v_and_b32_e32 v32, 7, v30
	v_ffbh_u32_e32 v45, v32
	v_min_u32_e32 v45, 32, v45
	v_subrev_u32_e32 v46, 28, v45
	v_lshlrev_b64 v[46:47], v46, v[30:31]
	v_lshrrev_b32_e32 v41, 3, v33
	v_sub_u32_e32 v45, 29, v45
	v_and_b32_e32 v46, 7, v46
	v_cmp_gt_u32_e32 vcc, 8, v33
	v_cndmask_b32_e32 v33, v41, v45, vcc
	v_cndmask_b32_e32 v32, v32, v46, vcc
	v_lshlrev_b32_e32 v30, 24, v30
	v_bfrev_b32_e32 v41, 60
	v_lshlrev_b32_e32 v32, 20, v32
	v_and_b32_e32 v30, 0x80000000, v30
	v_lshl_add_u32 v33, v33, 23, v41
	v_or3_b32 v32, v30, v33, v32
.LBB447_204:
	s_or_b64 exec, exec, s[20:21]
.LBB447_205:
	s_or_b64 exec, exec, s[10:11]
.LBB447_206:
	s_or_b64 exec, exec, s[2:3]
	v_cvt_pkrtz_f16_f32 v36, v36, v37
	v_cvt_pkrtz_f16_f32 v37, v35, v38
	v_cvt_pkrtz_f16_f32 v30, v31, v40
	v_cvt_pkrtz_f16_f32 v31, v39, v32
	v_mfma_f32_4x4x4f16 a[0:3], v[18:19], v[36:37], a[0:3] cbsz:4 abid:3
	s_waitcnt vmcnt(5)
	v_cmp_ne_u16_sdwa s[10:11], v26, v34 src0_sel:BYTE_0 src1_sel:DWORD
	v_mfma_f32_4x4x4f16 a[0:3], v[20:21], v[30:31], a[0:3] cbsz:4 abid:3
	s_and_saveexec_b64 s[2:3], s[10:11]
	s_cbranch_execz .LBB447_212
; %bb.207:
	s_movk_i32 s9, 0x80
	v_cmp_ne_u16_sdwa s[20:21], v26, s9 src0_sel:BYTE_0 src1_sel:DWORD
	v_bfrev_b32_e32 v34, 1
	s_and_saveexec_b64 s[10:11], s[20:21]
	s_cbranch_execz .LBB447_211
; %bb.208:
	s_movk_i32 s9, 0x7f
	v_and_b32_e32 v30, 0x7f, v26
	v_cmp_ne_u32_e32 vcc, s9, v30
	v_mov_b32_e32 v34, 0x7f800001
	s_and_saveexec_b64 s[20:21], vcc
	s_cbranch_execz .LBB447_210
; %bb.209:
	v_and_b32_e32 v31, 7, v26
	v_ffbh_u32_e32 v31, v31
	v_min_u32_e32 v31, 32, v31
	v_subrev_u32_e32 v33, 28, v31
	v_cmp_gt_u32_e32 vcc, 8, v30
	v_lshrrev_b32_e32 v32, 3, v30
	v_sub_u32_e32 v31, 29, v31
	v_cndmask_b32_e32 v30, 0, v33, vcc
	v_cndmask_b32_e32 v32, v32, v31, vcc
	v_lshlrev_b64 v[30:31], v30, v[26:27]
	v_lshlrev_b32_e32 v30, 20, v30
	v_lshlrev_b32_e32 v31, 24, v26
	v_bfrev_b32_e32 v33, 60
	v_and_b32_e32 v30, 0x700000, v30
	v_and_b32_e32 v31, 0x80000000, v31
	v_lshl_add_u32 v32, v32, 23, v33
	v_or3_b32 v34, v31, v32, v30
.LBB447_210:
	s_or_b64 exec, exec, s[20:21]
.LBB447_211:
	s_or_b64 exec, exec, s[10:11]
.LBB447_212:
	s_or_b64 exec, exec, s[2:3]
	v_lshrrev_b16_e32 v30, 8, v26
	v_cmp_ne_u16_e32 vcc, 0, v30
	v_mov_b32_e32 v33, 0
	v_mov_b32_e32 v35, 0
	s_and_saveexec_b64 s[2:3], vcc
	s_cbranch_execz .LBB447_218
; %bb.213:
	s_movk_i32 s9, 0x80
	v_cmp_ne_u16_e32 vcc, s9, v30
	v_bfrev_b32_e32 v35, 1
	s_and_saveexec_b64 s[10:11], vcc
	s_cbranch_execz .LBB447_217
; %bb.214:
	s_movk_i32 s9, 0x7f
	v_and_b32_e32 v31, 0x7f, v30
	v_cmp_ne_u32_e32 vcc, s9, v31
	v_mov_b32_e32 v35, 0x7f800001
	s_and_saveexec_b64 s[20:21], vcc
	s_cbranch_execz .LBB447_216
; %bb.215:
	v_and_b32_e32 v32, 7, v30
	v_ffbh_u32_e32 v36, v32
	v_min_u32_e32 v38, 32, v36
	v_subrev_u32_e32 v36, 28, v38
	v_lshlrev_b64 v[36:37], v36, v[30:31]
	v_lshrrev_b32_e32 v35, 3, v31
	v_sub_u32_e32 v30, 29, v38
	v_and_b32_e32 v36, 7, v36
	v_cmp_gt_u32_e32 vcc, 8, v31
	v_cndmask_b32_e32 v30, v35, v30, vcc
	v_cndmask_b32_e32 v31, v32, v36, vcc
	v_lshlrev_b32_e32 v32, 16, v26
	v_bfrev_b32_e32 v35, 60
	v_lshlrev_b32_e32 v31, 20, v31
	v_and_b32_e32 v32, 0x80000000, v32
	v_lshl_add_u32 v30, v30, 23, v35
	v_or3_b32 v35, v32, v30, v31
.LBB447_216:
	s_or_b64 exec, exec, s[20:21]
.LBB447_217:
	s_or_b64 exec, exec, s[10:11]
.LBB447_218:
	s_or_b64 exec, exec, s[2:3]
	s_movk_i32 s2, 0xff
	v_and_b32_sdwa v31, v26, s2 dst_sel:DWORD dst_unused:UNUSED_PAD src0_sel:WORD_1 src1_sel:DWORD
	v_lshrrev_b32_e32 v30, 16, v26
	v_cmp_ne_u16_e32 vcc, 0, v31
	s_and_saveexec_b64 s[2:3], vcc
	s_cbranch_execz .LBB447_224
; %bb.219:
	s_movk_i32 s9, 0x80
	v_cmp_ne_u16_e32 vcc, s9, v31
	v_bfrev_b32_e32 v33, 1
	s_and_saveexec_b64 s[10:11], vcc
	s_cbranch_execz .LBB447_223
; %bb.220:
	v_bfe_u32 v31, v26, 16, 7
	s_movk_i32 s9, 0x7f
	v_cmp_ne_u32_e32 vcc, s9, v31
	v_mov_b32_e32 v33, 0x7f800001
	s_and_saveexec_b64 s[20:21], vcc
	s_cbranch_execz .LBB447_222
; %bb.221:
	v_and_b32_e32 v36, 7, v30
	v_ffbh_u32_e32 v32, v36
	v_min_u32_e32 v38, 32, v32
	v_subrev_u32_e32 v32, 28, v38
	v_lshlrev_b64 v[32:33], v32, v[30:31]
	v_and_b32_e32 v32, 7, v32
	v_cmp_gt_u32_e32 vcc, 8, v31
	v_lshrrev_b32_e32 v37, 3, v31
	v_sub_u32_e32 v30, 29, v38
	v_cndmask_b32_e32 v31, v36, v32, vcc
	v_mov_b32_e32 v32, 24
	v_cndmask_b32_e32 v30, v37, v30, vcc
	v_lshlrev_b32_sdwa v32, v32, v26 dst_sel:DWORD dst_unused:UNUSED_PAD src0_sel:DWORD src1_sel:WORD_1
	v_bfrev_b32_e32 v33, 60
	v_lshlrev_b32_e32 v31, 20, v31
	v_and_b32_e32 v32, 0x80000000, v32
	v_lshl_add_u32 v30, v30, 23, v33
	v_or3_b32 v33, v32, v30, v31
.LBB447_222:
	s_or_b64 exec, exec, s[20:21]
.LBB447_223:
	s_or_b64 exec, exec, s[10:11]
.LBB447_224:
	s_or_b64 exec, exec, s[2:3]
	s_mov_b32 s2, 0xffffff
	v_cmp_lt_u32_e32 vcc, s2, v26
	v_mov_b32_e32 v31, 0
	v_mov_b32_e32 v36, 0
	s_and_saveexec_b64 s[2:3], vcc
	s_cbranch_execz .LBB447_230
; %bb.225:
	v_lshrrev_b32_e32 v30, 24, v26
	s_movk_i32 s9, 0x80
	v_cmp_ne_u32_e32 vcc, s9, v30
	v_bfrev_b32_e32 v36, 1
	s_and_saveexec_b64 s[10:11], vcc
	s_cbranch_execz .LBB447_229
; %bb.226:
	v_bfe_u32 v32, v26, 24, 7
	s_movk_i32 s9, 0x7f
	v_cmp_ne_u32_e32 vcc, s9, v32
	v_mov_b32_e32 v36, 0x7f800001
	s_and_saveexec_b64 s[20:21], vcc
	s_cbranch_execz .LBB447_228
; %bb.227:
	v_and_b32_e32 v38, 7, v30
	v_ffbh_u32_e32 v36, v38
	v_min_u32_e32 v40, 32, v36
	v_subrev_u32_e32 v36, 28, v40
	v_lshlrev_b64 v[36:37], v36, v[30:31]
	v_lshrrev_b32_e32 v39, 3, v32
	v_sub_u32_e32 v37, 29, v40
	v_and_b32_e32 v36, 7, v36
	v_cmp_gt_u32_e32 vcc, 8, v32
	v_cndmask_b32_e32 v32, v39, v37, vcc
	v_cndmask_b32_e32 v36, v38, v36, vcc
	v_lshlrev_b32_e32 v30, 24, v30
	v_bfrev_b32_e32 v37, 60
	v_lshlrev_b32_e32 v36, 20, v36
	v_and_b32_e32 v30, 0x80000000, v30
	v_lshl_add_u32 v32, v32, 23, v37
	v_or3_b32 v36, v30, v32, v36
.LBB447_228:
	s_or_b64 exec, exec, s[20:21]
.LBB447_229:
	s_or_b64 exec, exec, s[10:11]
.LBB447_230:
	s_or_b64 exec, exec, s[2:3]
	v_mov_b32_e32 v30, v27
	v_cmp_ne_u16_sdwa s[10:11], v27, v31 src0_sel:BYTE_0 src1_sel:DWORD
	s_and_saveexec_b64 s[2:3], s[10:11]
	s_cbranch_execz .LBB447_236
; %bb.231:
	s_movk_i32 s9, 0x80
	v_cmp_ne_u16_sdwa s[20:21], v27, s9 src0_sel:BYTE_0 src1_sel:DWORD
	v_bfrev_b32_e32 v32, 1
	s_and_saveexec_b64 s[10:11], s[20:21]
	s_cbranch_execz .LBB447_235
; %bb.232:
	s_movk_i32 s9, 0x7f
	v_and_b32_e32 v37, 0x7f, v27
	v_cmp_ne_u32_e32 vcc, s9, v37
	v_mov_b32_e32 v32, 0x7f800001
	s_and_saveexec_b64 s[20:21], vcc
	s_cbranch_execz .LBB447_234
; %bb.233:
	v_and_b32_e32 v32, 7, v27
	v_ffbh_u32_e32 v32, v32
	v_min_u32_e32 v32, 32, v32
	v_subrev_u32_e32 v39, 28, v32
	v_cmp_gt_u32_e32 vcc, 8, v37
	v_lshrrev_b32_e32 v38, 3, v37
	v_sub_u32_e32 v32, 29, v32
	v_cndmask_b32_e32 v37, 0, v39, vcc
	v_cndmask_b32_e32 v32, v38, v32, vcc
	v_lshlrev_b64 v[38:39], v37, v[30:31]
	v_lshlrev_b32_e32 v31, 20, v38
	v_lshlrev_b32_e32 v37, 24, v30
	v_bfrev_b32_e32 v38, 60
	v_and_b32_e32 v31, 0x700000, v31
	v_and_b32_e32 v37, 0x80000000, v37
	v_lshl_add_u32 v32, v32, 23, v38
	v_or3_b32 v32, v37, v32, v31
.LBB447_234:
	s_or_b64 exec, exec, s[20:21]
.LBB447_235:
	s_or_b64 exec, exec, s[10:11]
	v_mov_b32_e32 v31, v32
.LBB447_236:
	s_or_b64 exec, exec, s[2:3]
	v_lshrrev_b16_e32 v32, 8, v30
	v_cmp_ne_u16_e32 vcc, 0, v32
	v_mov_b32_e32 v37, 0
	v_mov_b32_e32 v38, 0
	s_and_saveexec_b64 s[2:3], vcc
	s_cbranch_execz .LBB447_242
; %bb.237:
	s_movk_i32 s9, 0x80
	v_cmp_ne_u16_e32 vcc, s9, v32
	v_bfrev_b32_e32 v38, 1
	s_and_saveexec_b64 s[10:11], vcc
	s_cbranch_execz .LBB447_241
; %bb.238:
	s_movk_i32 s9, 0x7f
	v_and_b32_e32 v39, 0x7f, v32
	v_cmp_ne_u32_e32 vcc, s9, v39
	v_mov_b32_e32 v38, 0x7f800001
	s_and_saveexec_b64 s[20:21], vcc
	s_cbranch_execz .LBB447_240
; %bb.239:
	v_and_b32_e32 v38, 7, v32
	v_ffbh_u32_e32 v40, v38
	v_min_u32_e32 v46, 32, v40
	v_subrev_u32_e32 v40, 28, v46
	v_lshlrev_b64 v[40:41], v40, v[32:33]
	v_lshrrev_b32_e32 v45, 3, v39
	v_sub_u32_e32 v32, 29, v46
	v_and_b32_e32 v40, 7, v40
	v_cmp_gt_u32_e32 vcc, 8, v39
	v_cndmask_b32_e32 v32, v45, v32, vcc
	v_cndmask_b32_e32 v38, v38, v40, vcc
	v_lshlrev_b32_e32 v30, 16, v30
	v_bfrev_b32_e32 v39, 60
	v_lshlrev_b32_e32 v38, 20, v38
	v_and_b32_e32 v30, 0x80000000, v30
	v_lshl_add_u32 v32, v32, 23, v39
	v_or3_b32 v38, v30, v32, v38
.LBB447_240:
	s_or_b64 exec, exec, s[20:21]
.LBB447_241:
	s_or_b64 exec, exec, s[10:11]
.LBB447_242:
	s_or_b64 exec, exec, s[2:3]
	s_movk_i32 s2, 0xff
	v_and_b32_sdwa v32, v27, s2 dst_sel:DWORD dst_unused:UNUSED_PAD src0_sel:WORD_1 src1_sel:DWORD
	v_lshrrev_b32_e32 v30, 16, v27
	v_cmp_ne_u16_e32 vcc, 0, v32
	s_and_saveexec_b64 s[2:3], vcc
	s_cbranch_execz .LBB447_248
; %bb.243:
	s_movk_i32 s9, 0x80
	v_cmp_ne_u16_e32 vcc, s9, v32
	v_bfrev_b32_e32 v37, 1
	s_and_saveexec_b64 s[10:11], vcc
	s_cbranch_execz .LBB447_247
; %bb.244:
	v_bfe_u32 v32, v27, 16, 7
	s_movk_i32 s9, 0x7f
	v_cmp_ne_u32_e32 vcc, s9, v32
	v_mov_b32_e32 v37, 0x7f800001
	s_and_saveexec_b64 s[20:21], vcc
	s_cbranch_execz .LBB447_246
; %bb.245:
	v_and_b32_e32 v37, 7, v30
	v_ffbh_u32_e32 v40, v37
	v_min_u32_e32 v45, 32, v40
	v_subrev_u32_e32 v40, 28, v45
	v_lshlrev_b64 v[40:41], v40, v[30:31]
	v_and_b32_e32 v40, 7, v40
	v_cmp_gt_u32_e32 vcc, 8, v32
	v_lshrrev_b32_e32 v39, 3, v32
	v_sub_u32_e32 v30, 29, v45
	v_cndmask_b32_e32 v32, v37, v40, vcc
	v_mov_b32_e32 v37, 24
	v_cndmask_b32_e32 v30, v39, v30, vcc
	v_lshlrev_b32_sdwa v37, v37, v27 dst_sel:DWORD dst_unused:UNUSED_PAD src0_sel:DWORD src1_sel:WORD_1
	v_bfrev_b32_e32 v39, 60
	v_lshlrev_b32_e32 v32, 20, v32
	v_and_b32_e32 v37, 0x80000000, v37
	v_lshl_add_u32 v30, v30, 23, v39
	v_or3_b32 v37, v37, v30, v32
.LBB447_246:
	s_or_b64 exec, exec, s[20:21]
.LBB447_247:
	s_or_b64 exec, exec, s[10:11]
.LBB447_248:
	s_or_b64 exec, exec, s[2:3]
	s_mov_b32 s2, -1
	s_mov_b32 s3, 0xffffff
	v_cmp_lt_u64_e32 vcc, s[2:3], v[26:27]
	v_mov_b32_e32 v32, 0
	v_mov_b32_e32 v30, 0
	s_and_saveexec_b64 s[2:3], vcc
	s_cbranch_execz .LBB447_254
; %bb.249:
	v_lshrrev_b32_e32 v26, 24, v27
	s_movk_i32 s9, 0x80
	v_cmp_ne_u32_e32 vcc, s9, v26
	v_bfrev_b32_e32 v30, 1
	s_and_saveexec_b64 s[10:11], vcc
	s_cbranch_execz .LBB447_253
; %bb.250:
	v_bfe_u32 v27, v27, 24, 7
	s_movk_i32 s9, 0x7f
	v_cmp_ne_u32_e32 vcc, s9, v27
	v_mov_b32_e32 v30, 0x7f800001
	s_and_saveexec_b64 s[20:21], vcc
	s_cbranch_execz .LBB447_252
; %bb.251:
	v_and_b32_e32 v30, 7, v26
	v_ffbh_u32_e32 v40, v30
	v_min_u32_e32 v45, 32, v40
	v_subrev_u32_e32 v40, 28, v45
	v_lshlrev_b64 v[40:41], v40, v[26:27]
	v_lshrrev_b32_e32 v39, 3, v27
	v_sub_u32_e32 v41, 29, v45
	v_and_b32_e32 v40, 7, v40
	v_cmp_gt_u32_e32 vcc, 8, v27
	v_cndmask_b32_e32 v27, v39, v41, vcc
	v_cndmask_b32_e32 v30, v30, v40, vcc
	v_lshlrev_b32_e32 v26, 24, v26
	v_bfrev_b32_e32 v39, 60
	v_lshlrev_b32_e32 v30, 20, v30
	v_and_b32_e32 v26, 0x80000000, v26
	v_lshl_add_u32 v27, v27, 23, v39
	v_or3_b32 v30, v26, v27, v30
.LBB447_252:
	s_or_b64 exec, exec, s[20:21]
.LBB447_253:
	s_or_b64 exec, exec, s[10:11]
.LBB447_254:
	s_or_b64 exec, exec, s[2:3]
	v_cvt_pkrtz_f16_f32 v26, v34, v35
	v_cvt_pkrtz_f16_f32 v27, v33, v36
	;; [unrolled: 1-line block ×4, first 2 shown]
	v_mfma_f32_4x4x4f16 a[0:3], v[18:19], v[26:27], a[0:3] cbsz:4 abid:4
	v_cmp_ne_u16_sdwa s[10:11], v28, v32 src0_sel:BYTE_0 src1_sel:DWORD
	v_mfma_f32_4x4x4f16 a[0:3], v[20:21], v[34:35], a[0:3] cbsz:4 abid:4
	s_and_saveexec_b64 s[2:3], s[10:11]
	s_cbranch_execz .LBB447_260
; %bb.255:
	s_movk_i32 s9, 0x80
	v_cmp_ne_u16_sdwa s[20:21], v28, s9 src0_sel:BYTE_0 src1_sel:DWORD
	v_bfrev_b32_e32 v32, 1
	s_and_saveexec_b64 s[10:11], s[20:21]
	s_cbranch_execz .LBB447_259
; %bb.256:
	s_movk_i32 s9, 0x7f
	v_and_b32_e32 v26, 0x7f, v28
	v_cmp_ne_u32_e32 vcc, s9, v26
	v_mov_b32_e32 v32, 0x7f800001
	s_and_saveexec_b64 s[20:21], vcc
	s_cbranch_execz .LBB447_258
; %bb.257:
	v_and_b32_e32 v27, 7, v28
	v_ffbh_u32_e32 v27, v27
	v_min_u32_e32 v27, 32, v27
	v_subrev_u32_e32 v31, 28, v27
	v_cmp_gt_u32_e32 vcc, 8, v26
	v_lshrrev_b32_e32 v30, 3, v26
	v_sub_u32_e32 v27, 29, v27
	v_cndmask_b32_e32 v26, 0, v31, vcc
	v_cndmask_b32_e32 v30, v30, v27, vcc
	v_lshlrev_b64 v[26:27], v26, v[28:29]
	v_lshlrev_b32_e32 v26, 20, v26
	v_lshlrev_b32_e32 v27, 24, v28
	v_bfrev_b32_e32 v31, 60
	v_and_b32_e32 v26, 0x700000, v26
	v_and_b32_e32 v27, 0x80000000, v27
	v_lshl_add_u32 v30, v30, 23, v31
	v_or3_b32 v32, v27, v30, v26
.LBB447_258:
	s_or_b64 exec, exec, s[20:21]
.LBB447_259:
	s_or_b64 exec, exec, s[10:11]
.LBB447_260:
	s_or_b64 exec, exec, s[2:3]
	v_lshrrev_b16_e32 v26, 8, v28
	v_cmp_ne_u16_e32 vcc, 0, v26
	v_mov_b32_e32 v31, 0
	v_mov_b32_e32 v33, 0
	s_and_saveexec_b64 s[2:3], vcc
	s_cbranch_execz .LBB447_266
; %bb.261:
	s_movk_i32 s9, 0x80
	v_cmp_ne_u16_e32 vcc, s9, v26
	v_bfrev_b32_e32 v33, 1
	s_and_saveexec_b64 s[10:11], vcc
	s_cbranch_execz .LBB447_265
; %bb.262:
	s_movk_i32 s9, 0x7f
	v_and_b32_e32 v27, 0x7f, v26
	v_cmp_ne_u32_e32 vcc, s9, v27
	v_mov_b32_e32 v33, 0x7f800001
	s_and_saveexec_b64 s[20:21], vcc
	s_cbranch_execz .LBB447_264
; %bb.263:
	v_and_b32_e32 v30, 7, v26
	v_ffbh_u32_e32 v34, v30
	v_min_u32_e32 v36, 32, v34
	v_subrev_u32_e32 v34, 28, v36
	v_lshlrev_b64 v[34:35], v34, v[26:27]
	v_lshrrev_b32_e32 v33, 3, v27
	v_sub_u32_e32 v26, 29, v36
	v_and_b32_e32 v34, 7, v34
	v_cmp_gt_u32_e32 vcc, 8, v27
	v_cndmask_b32_e32 v26, v33, v26, vcc
	v_cndmask_b32_e32 v27, v30, v34, vcc
	v_lshlrev_b32_e32 v30, 16, v28
	v_bfrev_b32_e32 v33, 60
	v_lshlrev_b32_e32 v27, 20, v27
	v_and_b32_e32 v30, 0x80000000, v30
	v_lshl_add_u32 v26, v26, 23, v33
	v_or3_b32 v33, v30, v26, v27
.LBB447_264:
	s_or_b64 exec, exec, s[20:21]
.LBB447_265:
	s_or_b64 exec, exec, s[10:11]
.LBB447_266:
	s_or_b64 exec, exec, s[2:3]
	s_movk_i32 s2, 0xff
	v_and_b32_sdwa v27, v28, s2 dst_sel:DWORD dst_unused:UNUSED_PAD src0_sel:WORD_1 src1_sel:DWORD
	v_lshrrev_b32_e32 v26, 16, v28
	v_cmp_ne_u16_e32 vcc, 0, v27
	s_and_saveexec_b64 s[2:3], vcc
	s_cbranch_execz .LBB447_272
; %bb.267:
	s_movk_i32 s9, 0x80
	v_cmp_ne_u16_e32 vcc, s9, v27
	v_bfrev_b32_e32 v31, 1
	s_and_saveexec_b64 s[10:11], vcc
	s_cbranch_execz .LBB447_271
; %bb.268:
	v_bfe_u32 v27, v28, 16, 7
	s_movk_i32 s9, 0x7f
	v_cmp_ne_u32_e32 vcc, s9, v27
	v_mov_b32_e32 v31, 0x7f800001
	s_and_saveexec_b64 s[20:21], vcc
	s_cbranch_execz .LBB447_270
; %bb.269:
	v_and_b32_e32 v34, 7, v26
	v_ffbh_u32_e32 v30, v34
	v_min_u32_e32 v36, 32, v30
	v_subrev_u32_e32 v30, 28, v36
	v_lshlrev_b64 v[30:31], v30, v[26:27]
	v_and_b32_e32 v30, 7, v30
	v_cmp_gt_u32_e32 vcc, 8, v27
	v_lshrrev_b32_e32 v35, 3, v27
	v_sub_u32_e32 v26, 29, v36
	v_cndmask_b32_e32 v27, v34, v30, vcc
	v_mov_b32_e32 v30, 24
	v_cndmask_b32_e32 v26, v35, v26, vcc
	v_lshlrev_b32_sdwa v30, v30, v28 dst_sel:DWORD dst_unused:UNUSED_PAD src0_sel:DWORD src1_sel:WORD_1
	v_bfrev_b32_e32 v31, 60
	v_lshlrev_b32_e32 v27, 20, v27
	v_and_b32_e32 v30, 0x80000000, v30
	v_lshl_add_u32 v26, v26, 23, v31
	v_or3_b32 v31, v30, v26, v27
.LBB447_270:
	s_or_b64 exec, exec, s[20:21]
.LBB447_271:
	s_or_b64 exec, exec, s[10:11]
.LBB447_272:
	s_or_b64 exec, exec, s[2:3]
	s_mov_b32 s2, 0xffffff
	v_cmp_lt_u32_e32 vcc, s2, v28
	v_mov_b32_e32 v27, 0
	v_mov_b32_e32 v34, 0
	s_and_saveexec_b64 s[2:3], vcc
	s_cbranch_execz .LBB447_278
; %bb.273:
	v_lshrrev_b32_e32 v26, 24, v28
	s_movk_i32 s9, 0x80
	v_cmp_ne_u32_e32 vcc, s9, v26
	v_bfrev_b32_e32 v34, 1
	s_and_saveexec_b64 s[10:11], vcc
	s_cbranch_execz .LBB447_277
; %bb.274:
	v_bfe_u32 v30, v28, 24, 7
	s_movk_i32 s9, 0x7f
	v_cmp_ne_u32_e32 vcc, s9, v30
	v_mov_b32_e32 v34, 0x7f800001
	s_and_saveexec_b64 s[20:21], vcc
	s_cbranch_execz .LBB447_276
; %bb.275:
	v_and_b32_e32 v36, 7, v26
	v_ffbh_u32_e32 v34, v36
	v_min_u32_e32 v38, 32, v34
	v_subrev_u32_e32 v34, 28, v38
	v_lshlrev_b64 v[34:35], v34, v[26:27]
	v_lshrrev_b32_e32 v37, 3, v30
	v_sub_u32_e32 v35, 29, v38
	v_and_b32_e32 v34, 7, v34
	v_cmp_gt_u32_e32 vcc, 8, v30
	v_cndmask_b32_e32 v30, v37, v35, vcc
	v_cndmask_b32_e32 v34, v36, v34, vcc
	v_lshlrev_b32_e32 v26, 24, v26
	v_bfrev_b32_e32 v35, 60
	v_lshlrev_b32_e32 v34, 20, v34
	v_and_b32_e32 v26, 0x80000000, v26
	v_lshl_add_u32 v30, v30, 23, v35
	v_or3_b32 v34, v26, v30, v34
.LBB447_276:
	s_or_b64 exec, exec, s[20:21]
.LBB447_277:
	s_or_b64 exec, exec, s[10:11]
.LBB447_278:
	s_or_b64 exec, exec, s[2:3]
	v_mov_b32_e32 v26, v29
	v_cmp_ne_u16_sdwa s[10:11], v29, v27 src0_sel:BYTE_0 src1_sel:DWORD
	s_and_saveexec_b64 s[2:3], s[10:11]
	s_cbranch_execz .LBB447_284
; %bb.279:
	s_movk_i32 s9, 0x80
	v_cmp_ne_u16_sdwa s[20:21], v29, s9 src0_sel:BYTE_0 src1_sel:DWORD
	v_bfrev_b32_e32 v30, 1
	s_and_saveexec_b64 s[10:11], s[20:21]
	s_cbranch_execz .LBB447_283
; %bb.280:
	s_movk_i32 s9, 0x7f
	v_and_b32_e32 v35, 0x7f, v29
	v_cmp_ne_u32_e32 vcc, s9, v35
	v_mov_b32_e32 v30, 0x7f800001
	s_and_saveexec_b64 s[20:21], vcc
	s_cbranch_execz .LBB447_282
; %bb.281:
	v_and_b32_e32 v30, 7, v29
	v_ffbh_u32_e32 v30, v30
	v_min_u32_e32 v30, 32, v30
	v_subrev_u32_e32 v37, 28, v30
	v_cmp_gt_u32_e32 vcc, 8, v35
	v_lshrrev_b32_e32 v36, 3, v35
	v_sub_u32_e32 v30, 29, v30
	v_cndmask_b32_e32 v35, 0, v37, vcc
	v_cndmask_b32_e32 v30, v36, v30, vcc
	v_lshlrev_b64 v[36:37], v35, v[26:27]
	v_lshlrev_b32_e32 v27, 20, v36
	v_lshlrev_b32_e32 v35, 24, v26
	v_bfrev_b32_e32 v36, 60
	v_and_b32_e32 v27, 0x700000, v27
	v_and_b32_e32 v35, 0x80000000, v35
	v_lshl_add_u32 v30, v30, 23, v36
	v_or3_b32 v30, v35, v30, v27
.LBB447_282:
	s_or_b64 exec, exec, s[20:21]
.LBB447_283:
	s_or_b64 exec, exec, s[10:11]
	v_mov_b32_e32 v27, v30
.LBB447_284:
	s_or_b64 exec, exec, s[2:3]
	v_lshrrev_b16_e32 v30, 8, v26
	v_cmp_ne_u16_e32 vcc, 0, v30
	v_mov_b32_e32 v35, 0
	v_mov_b32_e32 v36, 0
	s_and_saveexec_b64 s[2:3], vcc
	s_cbranch_execz .LBB447_290
; %bb.285:
	s_movk_i32 s9, 0x80
	v_cmp_ne_u16_e32 vcc, s9, v30
	v_bfrev_b32_e32 v36, 1
	s_and_saveexec_b64 s[10:11], vcc
	s_cbranch_execz .LBB447_289
; %bb.286:
	s_movk_i32 s9, 0x7f
	v_and_b32_e32 v37, 0x7f, v30
	v_cmp_ne_u32_e32 vcc, s9, v37
	v_mov_b32_e32 v36, 0x7f800001
	s_and_saveexec_b64 s[20:21], vcc
	s_cbranch_execz .LBB447_288
; %bb.287:
	v_and_b32_e32 v36, 7, v30
	v_ffbh_u32_e32 v38, v36
	v_min_u32_e32 v41, 32, v38
	v_subrev_u32_e32 v38, 28, v41
	v_lshlrev_b64 v[38:39], v38, v[30:31]
	v_lshrrev_b32_e32 v40, 3, v37
	v_sub_u32_e32 v30, 29, v41
	v_and_b32_e32 v38, 7, v38
	v_cmp_gt_u32_e32 vcc, 8, v37
	v_cndmask_b32_e32 v30, v40, v30, vcc
	v_cndmask_b32_e32 v36, v36, v38, vcc
	v_lshlrev_b32_e32 v26, 16, v26
	v_bfrev_b32_e32 v37, 60
	v_lshlrev_b32_e32 v36, 20, v36
	v_and_b32_e32 v26, 0x80000000, v26
	v_lshl_add_u32 v30, v30, 23, v37
	v_or3_b32 v36, v26, v30, v36
.LBB447_288:
	s_or_b64 exec, exec, s[20:21]
.LBB447_289:
	s_or_b64 exec, exec, s[10:11]
.LBB447_290:
	s_or_b64 exec, exec, s[2:3]
	s_movk_i32 s2, 0xff
	v_and_b32_sdwa v30, v29, s2 dst_sel:DWORD dst_unused:UNUSED_PAD src0_sel:WORD_1 src1_sel:DWORD
	v_lshrrev_b32_e32 v26, 16, v29
	v_cmp_ne_u16_e32 vcc, 0, v30
	s_and_saveexec_b64 s[2:3], vcc
	s_cbranch_execz .LBB447_296
; %bb.291:
	s_movk_i32 s9, 0x80
	v_cmp_ne_u16_e32 vcc, s9, v30
	v_bfrev_b32_e32 v35, 1
	s_and_saveexec_b64 s[10:11], vcc
	s_cbranch_execz .LBB447_295
; %bb.292:
	v_bfe_u32 v30, v29, 16, 7
	s_movk_i32 s9, 0x7f
	v_cmp_ne_u32_e32 vcc, s9, v30
	v_mov_b32_e32 v35, 0x7f800001
	s_and_saveexec_b64 s[20:21], vcc
	s_cbranch_execz .LBB447_294
; %bb.293:
	v_and_b32_e32 v35, 7, v26
	v_ffbh_u32_e32 v38, v35
	v_min_u32_e32 v40, 32, v38
	v_subrev_u32_e32 v38, 28, v40
	v_lshlrev_b64 v[38:39], v38, v[26:27]
	v_and_b32_e32 v38, 7, v38
	v_cmp_gt_u32_e32 vcc, 8, v30
	v_lshrrev_b32_e32 v37, 3, v30
	v_sub_u32_e32 v26, 29, v40
	v_cndmask_b32_e32 v30, v35, v38, vcc
	v_mov_b32_e32 v35, 24
	v_cndmask_b32_e32 v26, v37, v26, vcc
	v_lshlrev_b32_sdwa v35, v35, v29 dst_sel:DWORD dst_unused:UNUSED_PAD src0_sel:DWORD src1_sel:WORD_1
	v_bfrev_b32_e32 v37, 60
	v_lshlrev_b32_e32 v30, 20, v30
	v_and_b32_e32 v35, 0x80000000, v35
	v_lshl_add_u32 v26, v26, 23, v37
	v_or3_b32 v35, v35, v26, v30
.LBB447_294:
	s_or_b64 exec, exec, s[20:21]
.LBB447_295:
	s_or_b64 exec, exec, s[10:11]
.LBB447_296:
	s_or_b64 exec, exec, s[2:3]
	s_mov_b32 s2, -1
	s_mov_b32 s3, 0xffffff
	v_cmp_lt_u64_e32 vcc, s[2:3], v[28:29]
	v_mov_b32_e32 v30, 0
	v_mov_b32_e32 v28, 0
	s_and_saveexec_b64 s[2:3], vcc
	s_cbranch_execz .LBB447_302
; %bb.297:
	v_lshrrev_b32_e32 v26, 24, v29
	s_movk_i32 s9, 0x80
	v_cmp_ne_u32_e32 vcc, s9, v26
	v_bfrev_b32_e32 v28, 1
	s_and_saveexec_b64 s[10:11], vcc
	s_cbranch_execz .LBB447_301
; %bb.298:
	v_bfe_u32 v29, v29, 24, 7
	s_movk_i32 s9, 0x7f
	v_cmp_ne_u32_e32 vcc, s9, v29
	v_mov_b32_e32 v28, 0x7f800001
	s_and_saveexec_b64 s[20:21], vcc
	s_cbranch_execz .LBB447_300
; %bb.299:
	v_and_b32_e32 v28, 7, v26
	v_ffbh_u32_e32 v38, v28
	v_min_u32_e32 v40, 32, v38
	v_subrev_u32_e32 v38, 28, v40
	v_lshlrev_b64 v[38:39], v38, v[26:27]
	v_lshrrev_b32_e32 v37, 3, v29
	v_sub_u32_e32 v39, 29, v40
	v_and_b32_e32 v38, 7, v38
	v_cmp_gt_u32_e32 vcc, 8, v29
	v_cndmask_b32_e32 v29, v37, v39, vcc
	v_cndmask_b32_e32 v28, v28, v38, vcc
	v_lshlrev_b32_e32 v26, 24, v26
	v_bfrev_b32_e32 v37, 60
	v_lshlrev_b32_e32 v28, 20, v28
	v_and_b32_e32 v26, 0x80000000, v26
	v_lshl_add_u32 v29, v29, 23, v37
	v_or3_b32 v28, v26, v29, v28
.LBB447_300:
	s_or_b64 exec, exec, s[20:21]
.LBB447_301:
	s_or_b64 exec, exec, s[10:11]
.LBB447_302:
	s_or_b64 exec, exec, s[2:3]
	v_cvt_pkrtz_f16_f32 v32, v32, v33
	v_cvt_pkrtz_f16_f32 v33, v31, v34
	;; [unrolled: 1-line block ×4, first 2 shown]
	v_mfma_f32_4x4x4f16 a[0:3], v[18:19], v[32:33], a[0:3] cbsz:4 abid:5
	s_waitcnt vmcnt(4)
	v_cmp_ne_u16_sdwa s[10:11], v22, v30 src0_sel:BYTE_0 src1_sel:DWORD
	v_mfma_f32_4x4x4f16 a[0:3], v[20:21], v[26:27], a[0:3] cbsz:4 abid:5
	s_and_saveexec_b64 s[2:3], s[10:11]
	s_cbranch_execz .LBB447_308
; %bb.303:
	s_movk_i32 s9, 0x80
	v_cmp_ne_u16_sdwa s[20:21], v22, s9 src0_sel:BYTE_0 src1_sel:DWORD
	v_bfrev_b32_e32 v30, 1
	s_and_saveexec_b64 s[10:11], s[20:21]
	s_cbranch_execz .LBB447_307
; %bb.304:
	s_movk_i32 s9, 0x7f
	v_and_b32_e32 v26, 0x7f, v22
	v_cmp_ne_u32_e32 vcc, s9, v26
	v_mov_b32_e32 v30, 0x7f800001
	s_and_saveexec_b64 s[20:21], vcc
	s_cbranch_execz .LBB447_306
; %bb.305:
	v_and_b32_e32 v27, 7, v22
	v_ffbh_u32_e32 v27, v27
	v_min_u32_e32 v27, 32, v27
	v_subrev_u32_e32 v29, 28, v27
	v_cmp_gt_u32_e32 vcc, 8, v26
	v_lshrrev_b32_e32 v28, 3, v26
	v_sub_u32_e32 v27, 29, v27
	v_cndmask_b32_e32 v26, 0, v29, vcc
	v_cndmask_b32_e32 v28, v28, v27, vcc
	v_lshlrev_b64 v[26:27], v26, v[22:23]
	v_lshlrev_b32_e32 v26, 20, v26
	v_lshlrev_b32_e32 v27, 24, v22
	v_bfrev_b32_e32 v29, 60
	v_and_b32_e32 v26, 0x700000, v26
	v_and_b32_e32 v27, 0x80000000, v27
	v_lshl_add_u32 v28, v28, 23, v29
	v_or3_b32 v30, v27, v28, v26
.LBB447_306:
	s_or_b64 exec, exec, s[20:21]
.LBB447_307:
	s_or_b64 exec, exec, s[10:11]
.LBB447_308:
	s_or_b64 exec, exec, s[2:3]
	v_lshrrev_b16_e32 v26, 8, v22
	v_cmp_ne_u16_e32 vcc, 0, v26
	v_mov_b32_e32 v29, 0
	v_mov_b32_e32 v31, 0
	s_and_saveexec_b64 s[2:3], vcc
	s_cbranch_execz .LBB447_314
; %bb.309:
	s_movk_i32 s9, 0x80
	v_cmp_ne_u16_e32 vcc, s9, v26
	v_bfrev_b32_e32 v31, 1
	s_and_saveexec_b64 s[10:11], vcc
	s_cbranch_execz .LBB447_313
; %bb.310:
	s_movk_i32 s9, 0x7f
	v_and_b32_e32 v27, 0x7f, v26
	v_cmp_ne_u32_e32 vcc, s9, v27
	v_mov_b32_e32 v31, 0x7f800001
	s_and_saveexec_b64 s[20:21], vcc
	s_cbranch_execz .LBB447_312
; %bb.311:
	v_and_b32_e32 v28, 7, v26
	v_ffbh_u32_e32 v32, v28
	v_min_u32_e32 v34, 32, v32
	v_subrev_u32_e32 v32, 28, v34
	v_lshlrev_b64 v[32:33], v32, v[26:27]
	v_lshrrev_b32_e32 v31, 3, v27
	v_sub_u32_e32 v26, 29, v34
	v_and_b32_e32 v32, 7, v32
	v_cmp_gt_u32_e32 vcc, 8, v27
	v_cndmask_b32_e32 v26, v31, v26, vcc
	v_cndmask_b32_e32 v27, v28, v32, vcc
	v_lshlrev_b32_e32 v28, 16, v22
	v_bfrev_b32_e32 v31, 60
	v_lshlrev_b32_e32 v27, 20, v27
	v_and_b32_e32 v28, 0x80000000, v28
	v_lshl_add_u32 v26, v26, 23, v31
	v_or3_b32 v31, v28, v26, v27
.LBB447_312:
	s_or_b64 exec, exec, s[20:21]
.LBB447_313:
	s_or_b64 exec, exec, s[10:11]
.LBB447_314:
	s_or_b64 exec, exec, s[2:3]
	s_movk_i32 s2, 0xff
	v_and_b32_sdwa v27, v22, s2 dst_sel:DWORD dst_unused:UNUSED_PAD src0_sel:WORD_1 src1_sel:DWORD
	v_lshrrev_b32_e32 v26, 16, v22
	v_cmp_ne_u16_e32 vcc, 0, v27
	s_and_saveexec_b64 s[2:3], vcc
	s_cbranch_execz .LBB447_320
; %bb.315:
	s_movk_i32 s9, 0x80
	v_cmp_ne_u16_e32 vcc, s9, v27
	v_bfrev_b32_e32 v29, 1
	s_and_saveexec_b64 s[10:11], vcc
	s_cbranch_execz .LBB447_319
; %bb.316:
	v_bfe_u32 v27, v22, 16, 7
	s_movk_i32 s9, 0x7f
	v_cmp_ne_u32_e32 vcc, s9, v27
	v_mov_b32_e32 v29, 0x7f800001
	s_and_saveexec_b64 s[20:21], vcc
	s_cbranch_execz .LBB447_318
; %bb.317:
	v_and_b32_e32 v32, 7, v26
	v_ffbh_u32_e32 v28, v32
	v_min_u32_e32 v34, 32, v28
	v_subrev_u32_e32 v28, 28, v34
	v_lshlrev_b64 v[28:29], v28, v[26:27]
	v_and_b32_e32 v28, 7, v28
	v_cmp_gt_u32_e32 vcc, 8, v27
	v_lshrrev_b32_e32 v33, 3, v27
	v_sub_u32_e32 v26, 29, v34
	v_cndmask_b32_e32 v27, v32, v28, vcc
	v_mov_b32_e32 v28, 24
	v_cndmask_b32_e32 v26, v33, v26, vcc
	v_lshlrev_b32_sdwa v28, v28, v22 dst_sel:DWORD dst_unused:UNUSED_PAD src0_sel:DWORD src1_sel:WORD_1
	v_bfrev_b32_e32 v29, 60
	v_lshlrev_b32_e32 v27, 20, v27
	v_and_b32_e32 v28, 0x80000000, v28
	v_lshl_add_u32 v26, v26, 23, v29
	v_or3_b32 v29, v28, v26, v27
.LBB447_318:
	s_or_b64 exec, exec, s[20:21]
.LBB447_319:
	s_or_b64 exec, exec, s[10:11]
.LBB447_320:
	s_or_b64 exec, exec, s[2:3]
	s_mov_b32 s2, 0xffffff
	v_cmp_lt_u32_e32 vcc, s2, v22
	v_mov_b32_e32 v27, 0
	v_mov_b32_e32 v32, 0
	s_and_saveexec_b64 s[2:3], vcc
	s_cbranch_execz .LBB447_326
; %bb.321:
	v_lshrrev_b32_e32 v26, 24, v22
	s_movk_i32 s9, 0x80
	v_cmp_ne_u32_e32 vcc, s9, v26
	v_bfrev_b32_e32 v32, 1
	s_and_saveexec_b64 s[10:11], vcc
	s_cbranch_execz .LBB447_325
; %bb.322:
	v_bfe_u32 v28, v22, 24, 7
	s_movk_i32 s9, 0x7f
	v_cmp_ne_u32_e32 vcc, s9, v28
	v_mov_b32_e32 v32, 0x7f800001
	s_and_saveexec_b64 s[20:21], vcc
	s_cbranch_execz .LBB447_324
; %bb.323:
	v_and_b32_e32 v34, 7, v26
	v_ffbh_u32_e32 v32, v34
	v_min_u32_e32 v36, 32, v32
	v_subrev_u32_e32 v32, 28, v36
	v_lshlrev_b64 v[32:33], v32, v[26:27]
	v_lshrrev_b32_e32 v35, 3, v28
	v_sub_u32_e32 v33, 29, v36
	v_and_b32_e32 v32, 7, v32
	v_cmp_gt_u32_e32 vcc, 8, v28
	v_cndmask_b32_e32 v28, v35, v33, vcc
	v_cndmask_b32_e32 v32, v34, v32, vcc
	v_lshlrev_b32_e32 v26, 24, v26
	v_bfrev_b32_e32 v33, 60
	v_lshlrev_b32_e32 v32, 20, v32
	v_and_b32_e32 v26, 0x80000000, v26
	v_lshl_add_u32 v28, v28, 23, v33
	v_or3_b32 v32, v26, v28, v32
.LBB447_324:
	s_or_b64 exec, exec, s[20:21]
.LBB447_325:
	s_or_b64 exec, exec, s[10:11]
.LBB447_326:
	s_or_b64 exec, exec, s[2:3]
	v_mov_b32_e32 v26, v23
	v_cmp_ne_u16_sdwa s[10:11], v23, v27 src0_sel:BYTE_0 src1_sel:DWORD
	s_and_saveexec_b64 s[2:3], s[10:11]
	s_cbranch_execz .LBB447_332
; %bb.327:
	s_movk_i32 s9, 0x80
	v_cmp_ne_u16_sdwa s[20:21], v23, s9 src0_sel:BYTE_0 src1_sel:DWORD
	v_bfrev_b32_e32 v28, 1
	s_and_saveexec_b64 s[10:11], s[20:21]
	s_cbranch_execz .LBB447_331
; %bb.328:
	s_movk_i32 s9, 0x7f
	v_and_b32_e32 v33, 0x7f, v23
	v_cmp_ne_u32_e32 vcc, s9, v33
	v_mov_b32_e32 v28, 0x7f800001
	s_and_saveexec_b64 s[20:21], vcc
	s_cbranch_execz .LBB447_330
; %bb.329:
	v_and_b32_e32 v28, 7, v23
	v_ffbh_u32_e32 v28, v28
	v_min_u32_e32 v28, 32, v28
	v_subrev_u32_e32 v35, 28, v28
	v_cmp_gt_u32_e32 vcc, 8, v33
	v_lshrrev_b32_e32 v34, 3, v33
	v_sub_u32_e32 v28, 29, v28
	v_cndmask_b32_e32 v33, 0, v35, vcc
	v_cndmask_b32_e32 v28, v34, v28, vcc
	v_lshlrev_b64 v[34:35], v33, v[26:27]
	v_lshlrev_b32_e32 v27, 20, v34
	v_lshlrev_b32_e32 v33, 24, v26
	v_bfrev_b32_e32 v34, 60
	v_and_b32_e32 v27, 0x700000, v27
	v_and_b32_e32 v33, 0x80000000, v33
	v_lshl_add_u32 v28, v28, 23, v34
	v_or3_b32 v28, v33, v28, v27
.LBB447_330:
	s_or_b64 exec, exec, s[20:21]
.LBB447_331:
	s_or_b64 exec, exec, s[10:11]
	v_mov_b32_e32 v27, v28
.LBB447_332:
	s_or_b64 exec, exec, s[2:3]
	v_lshrrev_b16_e32 v28, 8, v26
	v_cmp_ne_u16_e32 vcc, 0, v28
	v_mov_b32_e32 v33, 0
	v_mov_b32_e32 v34, 0
	s_and_saveexec_b64 s[2:3], vcc
	s_cbranch_execz .LBB447_338
; %bb.333:
	s_movk_i32 s9, 0x80
	v_cmp_ne_u16_e32 vcc, s9, v28
	v_bfrev_b32_e32 v34, 1
	s_and_saveexec_b64 s[10:11], vcc
	s_cbranch_execz .LBB447_337
; %bb.334:
	s_movk_i32 s9, 0x7f
	v_and_b32_e32 v35, 0x7f, v28
	v_cmp_ne_u32_e32 vcc, s9, v35
	v_mov_b32_e32 v34, 0x7f800001
	s_and_saveexec_b64 s[20:21], vcc
	s_cbranch_execz .LBB447_336
; %bb.335:
	v_and_b32_e32 v34, 7, v28
	v_ffbh_u32_e32 v36, v34
	v_min_u32_e32 v39, 32, v36
	v_subrev_u32_e32 v36, 28, v39
	v_lshlrev_b64 v[36:37], v36, v[28:29]
	v_lshrrev_b32_e32 v38, 3, v35
	v_sub_u32_e32 v28, 29, v39
	v_and_b32_e32 v36, 7, v36
	v_cmp_gt_u32_e32 vcc, 8, v35
	v_cndmask_b32_e32 v28, v38, v28, vcc
	v_cndmask_b32_e32 v34, v34, v36, vcc
	v_lshlrev_b32_e32 v26, 16, v26
	v_bfrev_b32_e32 v35, 60
	v_lshlrev_b32_e32 v34, 20, v34
	v_and_b32_e32 v26, 0x80000000, v26
	v_lshl_add_u32 v28, v28, 23, v35
	v_or3_b32 v34, v26, v28, v34
.LBB447_336:
	s_or_b64 exec, exec, s[20:21]
.LBB447_337:
	s_or_b64 exec, exec, s[10:11]
.LBB447_338:
	s_or_b64 exec, exec, s[2:3]
	s_movk_i32 s2, 0xff
	v_and_b32_sdwa v28, v23, s2 dst_sel:DWORD dst_unused:UNUSED_PAD src0_sel:WORD_1 src1_sel:DWORD
	v_lshrrev_b32_e32 v26, 16, v23
	v_cmp_ne_u16_e32 vcc, 0, v28
	s_and_saveexec_b64 s[2:3], vcc
	s_cbranch_execz .LBB447_344
; %bb.339:
	s_movk_i32 s9, 0x80
	v_cmp_ne_u16_e32 vcc, s9, v28
	v_bfrev_b32_e32 v33, 1
	s_and_saveexec_b64 s[10:11], vcc
	s_cbranch_execz .LBB447_343
; %bb.340:
	v_bfe_u32 v28, v23, 16, 7
	s_movk_i32 s9, 0x7f
	v_cmp_ne_u32_e32 vcc, s9, v28
	v_mov_b32_e32 v33, 0x7f800001
	s_and_saveexec_b64 s[20:21], vcc
	s_cbranch_execz .LBB447_342
; %bb.341:
	v_and_b32_e32 v33, 7, v26
	v_ffbh_u32_e32 v36, v33
	v_min_u32_e32 v38, 32, v36
	v_subrev_u32_e32 v36, 28, v38
	v_lshlrev_b64 v[36:37], v36, v[26:27]
	v_and_b32_e32 v36, 7, v36
	v_cmp_gt_u32_e32 vcc, 8, v28
	v_lshrrev_b32_e32 v35, 3, v28
	v_sub_u32_e32 v26, 29, v38
	v_cndmask_b32_e32 v28, v33, v36, vcc
	v_mov_b32_e32 v33, 24
	v_cndmask_b32_e32 v26, v35, v26, vcc
	v_lshlrev_b32_sdwa v33, v33, v23 dst_sel:DWORD dst_unused:UNUSED_PAD src0_sel:DWORD src1_sel:WORD_1
	v_bfrev_b32_e32 v35, 60
	v_lshlrev_b32_e32 v28, 20, v28
	v_and_b32_e32 v33, 0x80000000, v33
	v_lshl_add_u32 v26, v26, 23, v35
	v_or3_b32 v33, v33, v26, v28
.LBB447_342:
	s_or_b64 exec, exec, s[20:21]
.LBB447_343:
	s_or_b64 exec, exec, s[10:11]
.LBB447_344:
	s_or_b64 exec, exec, s[2:3]
	s_mov_b32 s2, -1
	s_mov_b32 s3, 0xffffff
	v_cmp_lt_u64_e32 vcc, s[2:3], v[22:23]
	v_mov_b32_e32 v28, 0
	v_mov_b32_e32 v26, 0
	s_and_saveexec_b64 s[2:3], vcc
	s_cbranch_execz .LBB447_350
; %bb.345:
	v_lshrrev_b32_e32 v22, 24, v23
	s_movk_i32 s9, 0x80
	v_cmp_ne_u32_e32 vcc, s9, v22
	v_bfrev_b32_e32 v26, 1
	s_and_saveexec_b64 s[10:11], vcc
	s_cbranch_execz .LBB447_349
; %bb.346:
	v_bfe_u32 v23, v23, 24, 7
	s_movk_i32 s9, 0x7f
	v_cmp_ne_u32_e32 vcc, s9, v23
	v_mov_b32_e32 v26, 0x7f800001
	s_and_saveexec_b64 s[20:21], vcc
	s_cbranch_execz .LBB447_348
; %bb.347:
	v_and_b32_e32 v26, 7, v22
	v_ffbh_u32_e32 v36, v26
	v_min_u32_e32 v38, 32, v36
	v_subrev_u32_e32 v36, 28, v38
	v_lshlrev_b64 v[36:37], v36, v[22:23]
	v_lshrrev_b32_e32 v35, 3, v23
	v_sub_u32_e32 v37, 29, v38
	v_and_b32_e32 v36, 7, v36
	v_cmp_gt_u32_e32 vcc, 8, v23
	v_cndmask_b32_e32 v23, v35, v37, vcc
	v_cndmask_b32_e32 v26, v26, v36, vcc
	v_lshlrev_b32_e32 v22, 24, v22
	v_bfrev_b32_e32 v35, 60
	v_lshlrev_b32_e32 v26, 20, v26
	v_and_b32_e32 v22, 0x80000000, v22
	v_lshl_add_u32 v23, v23, 23, v35
	v_or3_b32 v26, v22, v23, v26
.LBB447_348:
	s_or_b64 exec, exec, s[20:21]
.LBB447_349:
	s_or_b64 exec, exec, s[10:11]
.LBB447_350:
	s_or_b64 exec, exec, s[2:3]
	v_cvt_pkrtz_f16_f32 v22, v30, v31
	v_cvt_pkrtz_f16_f32 v23, v29, v32
	;; [unrolled: 1-line block ×4, first 2 shown]
	v_mfma_f32_4x4x4f16 a[0:3], v[18:19], v[22:23], a[0:3] cbsz:4 abid:6
	v_cmp_ne_u16_sdwa s[10:11], v24, v28 src0_sel:BYTE_0 src1_sel:DWORD
	v_mfma_f32_4x4x4f16 a[0:3], v[20:21], v[30:31], a[0:3] cbsz:4 abid:6
	s_and_saveexec_b64 s[2:3], s[10:11]
	s_cbranch_execz .LBB447_356
; %bb.351:
	s_movk_i32 s9, 0x80
	v_cmp_ne_u16_sdwa s[20:21], v24, s9 src0_sel:BYTE_0 src1_sel:DWORD
	v_bfrev_b32_e32 v28, 1
	s_and_saveexec_b64 s[10:11], s[20:21]
	s_cbranch_execz .LBB447_355
; %bb.352:
	s_movk_i32 s9, 0x7f
	v_and_b32_e32 v22, 0x7f, v24
	v_cmp_ne_u32_e32 vcc, s9, v22
	v_mov_b32_e32 v28, 0x7f800001
	s_and_saveexec_b64 s[20:21], vcc
	s_cbranch_execz .LBB447_354
; %bb.353:
	v_and_b32_e32 v23, 7, v24
	v_ffbh_u32_e32 v23, v23
	v_min_u32_e32 v23, 32, v23
	v_subrev_u32_e32 v27, 28, v23
	v_cmp_gt_u32_e32 vcc, 8, v22
	v_lshrrev_b32_e32 v26, 3, v22
	v_sub_u32_e32 v23, 29, v23
	v_cndmask_b32_e32 v22, 0, v27, vcc
	v_cndmask_b32_e32 v26, v26, v23, vcc
	v_lshlrev_b64 v[22:23], v22, v[24:25]
	v_lshlrev_b32_e32 v22, 20, v22
	v_lshlrev_b32_e32 v23, 24, v24
	v_bfrev_b32_e32 v27, 60
	v_and_b32_e32 v22, 0x700000, v22
	v_and_b32_e32 v23, 0x80000000, v23
	v_lshl_add_u32 v26, v26, 23, v27
	v_or3_b32 v28, v23, v26, v22
.LBB447_354:
	s_or_b64 exec, exec, s[20:21]
.LBB447_355:
	s_or_b64 exec, exec, s[10:11]
.LBB447_356:
	s_or_b64 exec, exec, s[2:3]
	v_lshrrev_b16_e32 v22, 8, v24
	v_cmp_ne_u16_e32 vcc, 0, v22
	v_mov_b32_e32 v27, 0
	v_mov_b32_e32 v29, 0
	s_and_saveexec_b64 s[2:3], vcc
	s_cbranch_execz .LBB447_362
; %bb.357:
	s_movk_i32 s9, 0x80
	v_cmp_ne_u16_e32 vcc, s9, v22
	v_bfrev_b32_e32 v29, 1
	s_and_saveexec_b64 s[10:11], vcc
	s_cbranch_execz .LBB447_361
; %bb.358:
	s_movk_i32 s9, 0x7f
	v_and_b32_e32 v23, 0x7f, v22
	v_cmp_ne_u32_e32 vcc, s9, v23
	v_mov_b32_e32 v29, 0x7f800001
	s_and_saveexec_b64 s[20:21], vcc
	s_cbranch_execz .LBB447_360
; %bb.359:
	v_and_b32_e32 v26, 7, v22
	v_ffbh_u32_e32 v30, v26
	v_min_u32_e32 v32, 32, v30
	v_subrev_u32_e32 v30, 28, v32
	v_lshlrev_b64 v[30:31], v30, v[22:23]
	v_lshrrev_b32_e32 v29, 3, v23
	v_sub_u32_e32 v22, 29, v32
	v_and_b32_e32 v30, 7, v30
	v_cmp_gt_u32_e32 vcc, 8, v23
	v_cndmask_b32_e32 v22, v29, v22, vcc
	v_cndmask_b32_e32 v23, v26, v30, vcc
	v_lshlrev_b32_e32 v26, 16, v24
	v_bfrev_b32_e32 v29, 60
	v_lshlrev_b32_e32 v23, 20, v23
	v_and_b32_e32 v26, 0x80000000, v26
	v_lshl_add_u32 v22, v22, 23, v29
	v_or3_b32 v29, v26, v22, v23
.LBB447_360:
	s_or_b64 exec, exec, s[20:21]
.LBB447_361:
	s_or_b64 exec, exec, s[10:11]
.LBB447_362:
	s_or_b64 exec, exec, s[2:3]
	s_movk_i32 s2, 0xff
	v_and_b32_sdwa v23, v24, s2 dst_sel:DWORD dst_unused:UNUSED_PAD src0_sel:WORD_1 src1_sel:DWORD
	v_lshrrev_b32_e32 v22, 16, v24
	v_cmp_ne_u16_e32 vcc, 0, v23
	s_and_saveexec_b64 s[2:3], vcc
	s_cbranch_execz .LBB447_368
; %bb.363:
	s_movk_i32 s9, 0x80
	v_cmp_ne_u16_e32 vcc, s9, v23
	v_bfrev_b32_e32 v27, 1
	s_and_saveexec_b64 s[10:11], vcc
	s_cbranch_execz .LBB447_367
; %bb.364:
	v_bfe_u32 v23, v24, 16, 7
	s_movk_i32 s9, 0x7f
	v_cmp_ne_u32_e32 vcc, s9, v23
	v_mov_b32_e32 v27, 0x7f800001
	s_and_saveexec_b64 s[20:21], vcc
	s_cbranch_execz .LBB447_366
; %bb.365:
	v_and_b32_e32 v30, 7, v22
	v_ffbh_u32_e32 v26, v30
	v_min_u32_e32 v32, 32, v26
	v_subrev_u32_e32 v26, 28, v32
	v_lshlrev_b64 v[26:27], v26, v[22:23]
	v_and_b32_e32 v26, 7, v26
	v_cmp_gt_u32_e32 vcc, 8, v23
	v_lshrrev_b32_e32 v31, 3, v23
	v_sub_u32_e32 v22, 29, v32
	v_cndmask_b32_e32 v23, v30, v26, vcc
	v_mov_b32_e32 v26, 24
	v_cndmask_b32_e32 v22, v31, v22, vcc
	v_lshlrev_b32_sdwa v26, v26, v24 dst_sel:DWORD dst_unused:UNUSED_PAD src0_sel:DWORD src1_sel:WORD_1
	v_bfrev_b32_e32 v27, 60
	v_lshlrev_b32_e32 v23, 20, v23
	v_and_b32_e32 v26, 0x80000000, v26
	v_lshl_add_u32 v22, v22, 23, v27
	v_or3_b32 v27, v26, v22, v23
.LBB447_366:
	s_or_b64 exec, exec, s[20:21]
.LBB447_367:
	s_or_b64 exec, exec, s[10:11]
.LBB447_368:
	s_or_b64 exec, exec, s[2:3]
	s_mov_b32 s2, 0xffffff
	v_cmp_lt_u32_e32 vcc, s2, v24
	v_mov_b32_e32 v23, 0
	v_mov_b32_e32 v30, 0
	s_and_saveexec_b64 s[2:3], vcc
	s_cbranch_execz .LBB447_374
; %bb.369:
	v_lshrrev_b32_e32 v22, 24, v24
	s_movk_i32 s9, 0x80
	v_cmp_ne_u32_e32 vcc, s9, v22
	v_bfrev_b32_e32 v30, 1
	s_and_saveexec_b64 s[10:11], vcc
	s_cbranch_execz .LBB447_373
; %bb.370:
	v_bfe_u32 v26, v24, 24, 7
	s_movk_i32 s9, 0x7f
	v_cmp_ne_u32_e32 vcc, s9, v26
	v_mov_b32_e32 v30, 0x7f800001
	s_and_saveexec_b64 s[20:21], vcc
	s_cbranch_execz .LBB447_372
; %bb.371:
	v_and_b32_e32 v32, 7, v22
	v_ffbh_u32_e32 v30, v32
	v_min_u32_e32 v34, 32, v30
	v_subrev_u32_e32 v30, 28, v34
	v_lshlrev_b64 v[30:31], v30, v[22:23]
	v_lshrrev_b32_e32 v33, 3, v26
	v_sub_u32_e32 v31, 29, v34
	v_and_b32_e32 v30, 7, v30
	v_cmp_gt_u32_e32 vcc, 8, v26
	v_cndmask_b32_e32 v26, v33, v31, vcc
	v_cndmask_b32_e32 v30, v32, v30, vcc
	v_lshlrev_b32_e32 v22, 24, v22
	v_bfrev_b32_e32 v31, 60
	v_lshlrev_b32_e32 v30, 20, v30
	v_and_b32_e32 v22, 0x80000000, v22
	v_lshl_add_u32 v26, v26, 23, v31
	v_or3_b32 v30, v22, v26, v30
.LBB447_372:
	s_or_b64 exec, exec, s[20:21]
.LBB447_373:
	s_or_b64 exec, exec, s[10:11]
.LBB447_374:
	s_or_b64 exec, exec, s[2:3]
	v_mov_b32_e32 v22, v25
	v_cmp_ne_u16_sdwa s[10:11], v25, v23 src0_sel:BYTE_0 src1_sel:DWORD
	s_and_saveexec_b64 s[2:3], s[10:11]
	s_cbranch_execz .LBB447_380
; %bb.375:
	s_movk_i32 s9, 0x80
	v_cmp_ne_u16_sdwa s[20:21], v25, s9 src0_sel:BYTE_0 src1_sel:DWORD
	v_bfrev_b32_e32 v26, 1
	s_and_saveexec_b64 s[10:11], s[20:21]
	s_cbranch_execz .LBB447_379
; %bb.376:
	s_movk_i32 s9, 0x7f
	v_and_b32_e32 v31, 0x7f, v25
	v_cmp_ne_u32_e32 vcc, s9, v31
	v_mov_b32_e32 v26, 0x7f800001
	s_and_saveexec_b64 s[20:21], vcc
	s_cbranch_execz .LBB447_378
; %bb.377:
	v_and_b32_e32 v26, 7, v25
	v_ffbh_u32_e32 v26, v26
	v_min_u32_e32 v26, 32, v26
	v_subrev_u32_e32 v33, 28, v26
	v_cmp_gt_u32_e32 vcc, 8, v31
	v_lshrrev_b32_e32 v32, 3, v31
	v_sub_u32_e32 v26, 29, v26
	v_cndmask_b32_e32 v31, 0, v33, vcc
	v_cndmask_b32_e32 v26, v32, v26, vcc
	v_lshlrev_b64 v[32:33], v31, v[22:23]
	v_lshlrev_b32_e32 v23, 20, v32
	v_lshlrev_b32_e32 v31, 24, v22
	v_bfrev_b32_e32 v32, 60
	v_and_b32_e32 v23, 0x700000, v23
	v_and_b32_e32 v31, 0x80000000, v31
	v_lshl_add_u32 v26, v26, 23, v32
	v_or3_b32 v26, v31, v26, v23
.LBB447_378:
	s_or_b64 exec, exec, s[20:21]
.LBB447_379:
	s_or_b64 exec, exec, s[10:11]
	v_mov_b32_e32 v23, v26
.LBB447_380:
	s_or_b64 exec, exec, s[2:3]
	v_lshrrev_b16_e32 v26, 8, v22
	v_cmp_ne_u16_e32 vcc, 0, v26
	v_mov_b32_e32 v31, 0
	v_mov_b32_e32 v32, 0
	s_and_saveexec_b64 s[2:3], vcc
	s_cbranch_execz .LBB447_386
; %bb.381:
	s_movk_i32 s9, 0x80
	v_cmp_ne_u16_e32 vcc, s9, v26
	v_bfrev_b32_e32 v32, 1
	s_and_saveexec_b64 s[10:11], vcc
	s_cbranch_execz .LBB447_385
; %bb.382:
	s_movk_i32 s9, 0x7f
	v_and_b32_e32 v33, 0x7f, v26
	v_cmp_ne_u32_e32 vcc, s9, v33
	v_mov_b32_e32 v32, 0x7f800001
	s_and_saveexec_b64 s[20:21], vcc
	s_cbranch_execz .LBB447_384
; %bb.383:
	v_and_b32_e32 v32, 7, v26
	v_ffbh_u32_e32 v34, v32
	v_min_u32_e32 v37, 32, v34
	v_subrev_u32_e32 v34, 28, v37
	v_lshlrev_b64 v[34:35], v34, v[26:27]
	v_lshrrev_b32_e32 v36, 3, v33
	v_sub_u32_e32 v26, 29, v37
	v_and_b32_e32 v34, 7, v34
	v_cmp_gt_u32_e32 vcc, 8, v33
	v_cndmask_b32_e32 v26, v36, v26, vcc
	v_cndmask_b32_e32 v32, v32, v34, vcc
	v_lshlrev_b32_e32 v22, 16, v22
	v_bfrev_b32_e32 v33, 60
	v_lshlrev_b32_e32 v32, 20, v32
	v_and_b32_e32 v22, 0x80000000, v22
	v_lshl_add_u32 v26, v26, 23, v33
	v_or3_b32 v32, v22, v26, v32
.LBB447_384:
	s_or_b64 exec, exec, s[20:21]
.LBB447_385:
	s_or_b64 exec, exec, s[10:11]
.LBB447_386:
	s_or_b64 exec, exec, s[2:3]
	s_movk_i32 s2, 0xff
	v_and_b32_sdwa v26, v25, s2 dst_sel:DWORD dst_unused:UNUSED_PAD src0_sel:WORD_1 src1_sel:DWORD
	v_lshrrev_b32_e32 v22, 16, v25
	v_cmp_ne_u16_e32 vcc, 0, v26
	s_and_saveexec_b64 s[2:3], vcc
	s_cbranch_execz .LBB447_392
; %bb.387:
	s_movk_i32 s9, 0x80
	v_cmp_ne_u16_e32 vcc, s9, v26
	v_bfrev_b32_e32 v31, 1
	s_and_saveexec_b64 s[10:11], vcc
	s_cbranch_execz .LBB447_391
; %bb.388:
	v_bfe_u32 v26, v25, 16, 7
	s_movk_i32 s9, 0x7f
	v_cmp_ne_u32_e32 vcc, s9, v26
	v_mov_b32_e32 v31, 0x7f800001
	s_and_saveexec_b64 s[20:21], vcc
	s_cbranch_execz .LBB447_390
; %bb.389:
	v_and_b32_e32 v31, 7, v22
	v_ffbh_u32_e32 v34, v31
	v_min_u32_e32 v36, 32, v34
	v_subrev_u32_e32 v34, 28, v36
	v_lshlrev_b64 v[34:35], v34, v[22:23]
	v_and_b32_e32 v34, 7, v34
	v_cmp_gt_u32_e32 vcc, 8, v26
	v_lshrrev_b32_e32 v33, 3, v26
	v_sub_u32_e32 v22, 29, v36
	v_cndmask_b32_e32 v26, v31, v34, vcc
	v_mov_b32_e32 v31, 24
	v_cndmask_b32_e32 v22, v33, v22, vcc
	v_lshlrev_b32_sdwa v31, v31, v25 dst_sel:DWORD dst_unused:UNUSED_PAD src0_sel:DWORD src1_sel:WORD_1
	v_bfrev_b32_e32 v33, 60
	v_lshlrev_b32_e32 v26, 20, v26
	v_and_b32_e32 v31, 0x80000000, v31
	v_lshl_add_u32 v22, v22, 23, v33
	v_or3_b32 v31, v31, v22, v26
.LBB447_390:
	s_or_b64 exec, exec, s[20:21]
.LBB447_391:
	s_or_b64 exec, exec, s[10:11]
.LBB447_392:
	s_or_b64 exec, exec, s[2:3]
	s_mov_b32 s2, -1
	s_mov_b32 s3, 0xffffff
	v_cmp_lt_u64_e32 vcc, s[2:3], v[24:25]
	v_mov_b32_e32 v24, 0
	s_and_saveexec_b64 s[2:3], vcc
	s_cbranch_execz .LBB447_398
; %bb.393:
	v_lshrrev_b32_e32 v22, 24, v25
	s_movk_i32 s9, 0x80
	v_cmp_ne_u32_e32 vcc, s9, v22
	v_bfrev_b32_e32 v24, 1
	s_and_saveexec_b64 s[10:11], vcc
	s_cbranch_execz .LBB447_397
; %bb.394:
	v_bfe_u32 v25, v25, 24, 7
	s_movk_i32 s9, 0x7f
	v_cmp_ne_u32_e32 vcc, s9, v25
	v_mov_b32_e32 v24, 0x7f800001
	s_and_saveexec_b64 s[20:21], vcc
	s_cbranch_execz .LBB447_396
; %bb.395:
	v_and_b32_e32 v24, 7, v22
	v_ffbh_u32_e32 v33, v24
	v_min_u32_e32 v33, 32, v33
	v_subrev_u32_e32 v34, 28, v33
	v_lshlrev_b64 v[34:35], v34, v[22:23]
	v_lshrrev_b32_e32 v26, 3, v25
	v_sub_u32_e32 v33, 29, v33
	v_and_b32_e32 v34, 7, v34
	v_cmp_gt_u32_e32 vcc, 8, v25
	v_cndmask_b32_e32 v25, v26, v33, vcc
	v_cndmask_b32_e32 v24, v24, v34, vcc
	v_lshlrev_b32_e32 v22, 24, v22
	v_bfrev_b32_e32 v26, 60
	v_lshlrev_b32_e32 v24, 20, v24
	v_and_b32_e32 v22, 0x80000000, v22
	v_lshl_add_u32 v25, v25, 23, v26
	v_or3_b32 v24, v22, v25, v24
.LBB447_396:
	s_or_b64 exec, exec, s[20:21]
.LBB447_397:
	s_or_b64 exec, exec, s[10:11]
.LBB447_398:
	s_or_b64 exec, exec, s[2:3]
	s_load_dword s2, s[4:5], 0x1c
	v_cvt_pkrtz_f16_f32 v26, v28, v29
	v_cvt_pkrtz_f16_f32 v27, v27, v30
	s_load_dword s3, s[12:13], 0x0
	v_cvt_pkrtz_f16_f32 v22, v23, v32
	v_mfma_f32_4x4x4f16 a[0:3], v[18:19], v[26:27], a[0:3] cbsz:4 abid:7
	v_cvt_pkrtz_f16_f32 v23, v31, v24
	s_waitcnt lgkmcnt(0)
	v_mov_b32_e32 v18, s2
	v_cmp_eq_u32_e32 vcc, 0, v43
	v_mfma_f32_4x4x4f16 a[0:3], v[20:21], v[22:23], a[0:3] cbsz:4 abid:7
	v_mul_f32_e32 v20, s3, v18
	s_nop 3
	v_accvgpr_read_b32 v23, a1
	v_accvgpr_read_b32 v22, a0
	v_pk_mul_f32 v[22:23], v[22:23], v[20:21] op_sel_hi:[1,0]
	v_accvgpr_read_b32 v19, a3
	v_accvgpr_read_b32 v18, a2
	v_pk_mul_f32 v[18:19], v[18:19], v[20:21] op_sel_hi:[1,0]
	v_cndmask_b32_e64 v20, 0, 1.0, vcc
	v_cmp_eq_u32_e32 vcc, 1, v43
	s_nop 0
	v_mfma_f32_4x4x1f32 a[0:3], v22, v20, 0
	v_cndmask_b32_e64 v20, 0, 1.0, vcc
	v_cmp_eq_u32_e32 vcc, 2, v43
	v_mov_b32_e32 v22, 0xff7fffff
	v_mfma_f32_4x4x1f32 a[0:3], v23, v20, a[0:3]
	v_cndmask_b32_e64 v20, 0, 1.0, vcc
	v_cmp_eq_u32_e32 vcc, 3, v43
	s_nop 0
	v_mfma_f32_4x4x1f32 a[0:3], v18, v20, a[0:3]
	v_cndmask_b32_e64 v18, 0, 1.0, vcc
	s_nop 1
	v_mfma_f32_4x4x1f32 a[0:3], v19, v18, a[0:3]
	v_and_b32_e32 v18, -4, v44
	v_cmp_gt_i32_e32 vcc, s7, v18
	v_lshlrev_b32_e32 v19, 2, v0
	v_and_or_b32 v19, v19, 48, v43
	s_nop 0
	v_accvgpr_read_b32 v20, a0
	v_max_f32_e32 v21, v20, v20
	v_max_f32_e32 v21, 0xff7fffff, v21
	v_accvgpr_read_b32 v23, a1
	v_cndmask_b32_e32 v21, v22, v21, vcc
	v_or_b32_e32 v22, 1, v18
	v_max_f32_e32 v24, v23, v23
	v_max_f32_e32 v24, v21, v24
	v_cmp_gt_i32_e64 s[2:3], s7, v22
	v_accvgpr_read_b32 v22, a2
	v_cndmask_b32_e64 v21, v21, v24, s[2:3]
	v_or_b32_e32 v18, 2, v18
	v_max_f32_e32 v24, v22, v22
	v_max_f32_e32 v24, v21, v24
	v_cmp_gt_i32_e64 s[4:5], s7, v18
	v_cndmask_b32_e64 v18, v21, v24, s[4:5]
	v_accvgpr_read_b32 v24, a3
	v_or_b32_e32 v21, 3, v44
	v_max_f32_e32 v25, v24, v24
	v_max_f32_e32 v25, v18, v25
	v_cmp_gt_i32_e64 s[10:11], s7, v21
	v_cndmask_b32_e64 v18, v18, v25, s[10:11]
	;;#ASMSTART
	v_nop
 v_nop
 v_max_f32_dpp v18, v18, v18 row_ror:4
	;;#ASMEND
	v_lshlrev_b32_e32 v25, 2, v19
	;;#ASMSTART
	v_nop
 v_nop
 v_max_f32_dpp v18, v18, v18 row_ror:8
	;;#ASMEND
	ds_bpermute_b32 v18, v25, v18
	s_waitcnt lgkmcnt(0)
	;;#ASMSTART
	v_nop
 v_nop
 v_max_f32_dpp v18, v18, v18 row_ror:4
	;;#ASMEND
	;;#ASMSTART
	v_nop
 v_nop
 v_max_f32_dpp v26, v18, v18 row_ror:8
	;;#ASMEND
	v_sub_f32_e32 v18, v20, v26
	v_mul_f32_e32 v18, 0x3fb8aa3b, v18
	v_sub_f32_e32 v19, v23, v26
	v_exp_f32_e32 v18, v18
	v_mul_f32_e32 v19, 0x3fb8aa3b, v19
	v_sub_f32_e32 v21, v22, v26
	v_exp_f32_e32 v19, v19
	;; [unrolled: 3-line block ×3, first 2 shown]
	v_mul_f32_e32 v22, 0x3fb8aa3b, v22
	v_exp_f32_e32 v22, v22
	v_cndmask_b32_e32 v18, 0, v18, vcc
	v_add_f32_e32 v20, 0, v18
	v_cndmask_b32_e64 v19, 0, v19, s[2:3]
	v_add_f32_e32 v23, v20, v19
	v_cndmask_b32_e64 v20, 0, v21, s[4:5]
	;; [unrolled: 2-line block ×3, first 2 shown]
	v_add_f32_e32 v22, v23, v21
	;;#ASMSTART
	v_nop
 v_nop
 v_add_f32_dpp v22, v22, v22 row_ror:4
	;;#ASMEND
	;;#ASMSTART
	v_nop
 v_nop
 v_add_f32_dpp v22, v22, v22 row_ror:8
	;;#ASMEND
	ds_bpermute_b32 v22, v25, v22
	s_waitcnt lgkmcnt(0)
	;;#ASMSTART
	v_nop
 v_nop
 v_add_f32_dpp v22, v22, v22 row_ror:4
	;;#ASMEND
	v_cmp_gt_u32_e32 vcc, 4, v1
	;;#ASMSTART
	v_nop
 v_nop
 v_add_f32_dpp v22, v22, v22 row_ror:8
	;;#ASMEND
	s_and_saveexec_b64 s[2:3], vcc
	s_cbranch_execz .LBB447_400
; %bb.399:
	v_mul_u32_u24_e32 v23, 20, v42
	v_lshl_add_u32 v23, v43, 2, v23
	v_add_u32_e32 v23, 0x800, v23
	ds_write2_b32 v23, v26, v22 offset0:128 offset1:148
.LBB447_400:
	s_or_b64 exec, exec, s[2:3]
.LBB447_401:
	s_or_b64 exec, exec, s[36:37]
	s_waitcnt lgkmcnt(0)
	s_barrier
	s_load_dword s2, s[34:35], 0x8
	v_lshlrev_b32_e32 v22, 2, v43
	v_add_u32_e32 v30, 0x800, v22
	ds_read2_b32 v[22:23], v30 offset0:128 offset1:133
	ds_read2_b32 v[24:25], v30 offset0:138 offset1:143
	s_mul_i32 s3, s6, s33
	s_waitcnt lgkmcnt(0)
	s_mul_i32 s3, s3, s2
	s_lshl_b32 s2, s3, 1
	s_mov_b32 s3, 0xff7fffff
	v_max3_f32 v27, v22, s3, v23
	v_max3_f32 v27, v27, v24, v25
	v_sub_f32_e32 v22, v22, v27
	v_mul_f32_e32 v22, 0x3fb8aa3b, v22
	ds_read2_b32 v[28:29], v30 offset0:148 offset1:153
	v_exp_f32_e32 v31, v22
	v_sub_f32_e32 v22, v23, v27
	v_mul_f32_e32 v22, 0x3fb8aa3b, v22
	v_sub_f32_e32 v24, v24, v27
	v_exp_f32_e32 v32, v22
	ds_read2_b32 v[22:23], v30 offset0:158 offset1:163
	v_mul_f32_e32 v24, 0x3fb8aa3b, v24
	v_sub_f32_e32 v25, v25, v27
	v_exp_f32_e32 v24, v24
	v_mul_f32_e32 v25, 0x3fb8aa3b, v25
	v_exp_f32_e32 v25, v25
	s_waitcnt lgkmcnt(1)
	v_fma_f32 v28, v31, v28, 0
	v_fmac_f32_e32 v28, v32, v29
	s_waitcnt lgkmcnt(0)
	v_fmac_f32_e32 v28, v24, v22
	s_lshl_b32 s10, s8, 1
	v_fmac_f32_e32 v28, v25, v23
	v_cmp_gt_u32_e32 vcc, 2, v43
	s_and_saveexec_b64 s[4:5], vcc
	s_cbranch_execz .LBB447_403
; %bb.402:
	s_mov_b32 s3, 0
	s_lshl_b64 s[6:7], s[2:3], 2
	s_add_u32 s11, s16, s6
	s_mov_b32 s29, s3
	s_addc_u32 s12, s17, s7
	s_lshl_b64 s[8:9], s[28:29], 2
	s_add_u32 s3, s11, s8
	s_addc_u32 s11, s12, s9
	v_or_b32_e32 v22, s10, v43
	s_add_u32 s6, s18, s6
	v_mul_lo_u32 v22, s33, v22
	v_mov_b32_e32 v23, 0
	s_addc_u32 s7, s19, s7
	v_lshlrev_b64 v[22:23], 2, v[22:23]
	s_add_u32 s6, s6, s8
	v_mov_b32_e32 v25, s11
	v_add_co_u32_e32 v24, vcc, s3, v22
	s_addc_u32 s7, s7, s9
	v_addc_co_u32_e32 v25, vcc, v25, v23, vcc
	v_mov_b32_e32 v29, s7
	v_add_co_u32_e32 v22, vcc, s6, v22
	v_addc_co_u32_e32 v23, vcc, v29, v23, vcc
	global_store_dword v[22:23], v27, off
	global_store_dword v[24:25], v28, off
.LBB447_403:
	s_or_b64 exec, exec, s[4:5]
	v_lshlrev_b32_e32 v25, 3, v42
	s_and_saveexec_b64 s[4:5], s[0:1]
	s_xor_b64 s[0:1], exec, s[4:5]
	s_cbranch_execz .LBB447_405
; %bb.404:
	s_waitcnt vmcnt(1)
	v_mov_b32_e32 v2, 0
	v_mad_u32_u24 v4, v1, 40, v25
	v_mov_b32_e32 v3, v2
	ds_write_b64 v4, v[2:3]
                                        ; implicit-def: $vgpr21
                                        ; implicit-def: $vgpr19
                                        ; implicit-def: $vgpr26
                                        ; implicit-def: $vgpr14_vgpr15
                                        ; implicit-def: $vgpr10_vgpr11
                                        ; implicit-def: $vgpr6_vgpr7
                                        ; implicit-def: $vgpr2_vgpr3
                                        ; implicit-def: $vgpr27
                                        ; implicit-def: $vgpr28
                                        ; implicit-def: $vgpr25
.LBB447_405:
	s_andn2_saveexec_b64 s[0:1], s[0:1]
	s_cbranch_execz .LBB447_791
; %bb.406:
	v_mov_b32_e32 v29, 0
	s_waitcnt vmcnt(2)
	v_cmp_ne_u16_sdwa s[6:7], v14, v29 src0_sel:BYTE_0 src1_sel:DWORD
	v_mov_b32_e32 v30, 0
	s_and_saveexec_b64 s[4:5], s[6:7]
	s_cbranch_execz .LBB447_412
; %bb.407:
	s_movk_i32 s3, 0x80
	v_cmp_ne_u16_sdwa s[8:9], v14, s3 src0_sel:BYTE_0 src1_sel:DWORD
	v_bfrev_b32_e32 v30, 1
	s_and_saveexec_b64 s[6:7], s[8:9]
	s_cbranch_execz .LBB447_411
; %bb.408:
	s_movk_i32 s3, 0x7f
	v_and_b32_e32 v22, 0x7f, v14
	v_cmp_ne_u32_e32 vcc, s3, v22
	v_mov_b32_e32 v30, 0x7f800001
	s_and_saveexec_b64 s[8:9], vcc
	s_cbranch_execz .LBB447_410
; %bb.409:
	v_and_b32_e32 v23, 7, v14
	v_ffbh_u32_e32 v23, v23
	v_min_u32_e32 v23, 32, v23
	v_subrev_u32_e32 v30, 28, v23
	v_cmp_gt_u32_e32 vcc, 8, v22
	v_lshrrev_b32_e32 v24, 3, v22
	v_sub_u32_e32 v23, 29, v23
	v_cndmask_b32_e32 v22, 0, v30, vcc
	v_cndmask_b32_e32 v24, v24, v23, vcc
	v_lshlrev_b64 v[22:23], v22, v[14:15]
	v_lshlrev_b32_e32 v22, 20, v22
	v_lshlrev_b32_e32 v23, 24, v14
	v_bfrev_b32_e32 v30, 60
	v_and_b32_e32 v22, 0x700000, v22
	v_and_b32_e32 v23, 0x80000000, v23
	v_lshl_add_u32 v24, v24, 23, v30
	v_or3_b32 v30, v23, v24, v22
.LBB447_410:
	s_or_b64 exec, exec, s[8:9]
.LBB447_411:
	s_or_b64 exec, exec, s[6:7]
.LBB447_412:
	s_or_b64 exec, exec, s[4:5]
	v_lshrrev_b16_e32 v22, 8, v14
	v_cmp_ne_u16_e32 vcc, 0, v22
	s_and_saveexec_b64 s[4:5], vcc
	s_cbranch_execz .LBB447_418
; %bb.413:
	s_movk_i32 s3, 0x80
	v_cmp_ne_u16_e32 vcc, s3, v22
	v_bfrev_b32_e32 v29, 1
	s_and_saveexec_b64 s[6:7], vcc
	s_cbranch_execz .LBB447_417
; %bb.414:
	s_movk_i32 s3, 0x7f
	v_and_b32_e32 v23, 0x7f, v22
	v_cmp_ne_u32_e32 vcc, s3, v23
	v_mov_b32_e32 v29, 0x7f800001
	s_and_saveexec_b64 s[8:9], vcc
	s_cbranch_execz .LBB447_416
; %bb.415:
	v_and_b32_e32 v24, 7, v22
	v_ffbh_u32_e32 v31, v24
	v_min_u32_e32 v31, 32, v31
	v_subrev_u32_e32 v32, 28, v31
	v_lshlrev_b64 v[32:33], v32, v[22:23]
	v_lshrrev_b32_e32 v29, 3, v23
	v_sub_u32_e32 v22, 29, v31
	v_and_b32_e32 v31, 7, v32
	v_cmp_gt_u32_e32 vcc, 8, v23
	v_cndmask_b32_e32 v22, v29, v22, vcc
	v_cndmask_b32_e32 v23, v24, v31, vcc
	v_lshlrev_b32_e32 v24, 16, v14
	v_bfrev_b32_e32 v29, 60
	v_lshlrev_b32_e32 v23, 20, v23
	v_and_b32_e32 v24, 0x80000000, v24
	v_lshl_add_u32 v22, v22, 23, v29
	v_or3_b32 v29, v24, v22, v23
.LBB447_416:
	s_or_b64 exec, exec, s[8:9]
.LBB447_417:
	s_or_b64 exec, exec, s[6:7]
.LBB447_418:
	s_or_b64 exec, exec, s[4:5]
	s_movk_i32 s3, 0xff
	v_and_b32_sdwa v23, v14, s3 dst_sel:DWORD dst_unused:UNUSED_PAD src0_sel:WORD_1 src1_sel:DWORD
	v_lshrrev_b32_e32 v22, 16, v14
	v_cmp_ne_u16_e32 vcc, 0, v23
	v_mov_b32_e32 v31, 0
	v_mov_b32_e32 v32, 0
	s_and_saveexec_b64 s[4:5], vcc
	s_cbranch_execz .LBB447_424
; %bb.419:
	s_movk_i32 s3, 0x80
	v_cmp_ne_u16_e32 vcc, s3, v23
	v_bfrev_b32_e32 v32, 1
	s_and_saveexec_b64 s[6:7], vcc
	s_cbranch_execz .LBB447_423
; %bb.420:
	v_bfe_u32 v23, v14, 16, 7
	s_movk_i32 s3, 0x7f
	v_cmp_ne_u32_e32 vcc, s3, v23
	v_mov_b32_e32 v32, 0x7f800001
	s_and_saveexec_b64 s[8:9], vcc
	s_cbranch_execz .LBB447_422
; %bb.421:
	v_and_b32_e32 v24, 7, v22
	v_ffbh_u32_e32 v32, v24
	v_min_u32_e32 v35, 32, v32
	v_subrev_u32_e32 v32, 28, v35
	v_lshlrev_b64 v[32:33], v32, v[22:23]
	v_and_b32_e32 v32, 7, v32
	v_cmp_gt_u32_e32 vcc, 8, v23
	v_lshrrev_b32_e32 v34, 3, v23
	v_sub_u32_e32 v22, 29, v35
	v_cndmask_b32_e32 v23, v24, v32, vcc
	v_mov_b32_e32 v24, 24
	v_cndmask_b32_e32 v22, v34, v22, vcc
	v_lshlrev_b32_sdwa v24, v24, v14 dst_sel:DWORD dst_unused:UNUSED_PAD src0_sel:DWORD src1_sel:WORD_1
	v_bfrev_b32_e32 v32, 60
	v_lshlrev_b32_e32 v23, 20, v23
	v_and_b32_e32 v24, 0x80000000, v24
	v_lshl_add_u32 v22, v22, 23, v32
	v_or3_b32 v32, v24, v22, v23
.LBB447_422:
	s_or_b64 exec, exec, s[8:9]
.LBB447_423:
	s_or_b64 exec, exec, s[6:7]
.LBB447_424:
	s_or_b64 exec, exec, s[4:5]
	s_mov_b32 s3, 0xffffff
	v_cmp_lt_u32_e32 vcc, s3, v14
	s_and_saveexec_b64 s[4:5], vcc
	s_cbranch_execz .LBB447_430
; %bb.425:
	v_lshrrev_b32_e32 v22, 24, v14
	s_movk_i32 s3, 0x80
	v_cmp_ne_u32_e32 vcc, s3, v22
	v_bfrev_b32_e32 v31, 1
	s_and_saveexec_b64 s[6:7], vcc
	s_cbranch_execz .LBB447_429
; %bb.426:
	v_bfe_u32 v23, v14, 24, 7
	s_movk_i32 s3, 0x7f
	v_cmp_ne_u32_e32 vcc, s3, v23
	v_mov_b32_e32 v31, 0x7f800001
	s_and_saveexec_b64 s[8:9], vcc
	s_cbranch_execz .LBB447_428
; %bb.427:
	v_and_b32_e32 v24, 7, v22
	v_ffbh_u32_e32 v33, v24
	v_min_u32_e32 v33, 32, v33
	v_subrev_u32_e32 v34, 28, v33
	v_lshlrev_b64 v[34:35], v34, v[22:23]
	v_lshrrev_b32_e32 v31, 3, v23
	v_sub_u32_e32 v33, 29, v33
	v_and_b32_e32 v34, 7, v34
	v_cmp_gt_u32_e32 vcc, 8, v23
	v_cndmask_b32_e32 v23, v31, v33, vcc
	v_cndmask_b32_e32 v24, v24, v34, vcc
	v_lshlrev_b32_e32 v22, 24, v22
	v_bfrev_b32_e32 v31, 60
	v_lshlrev_b32_e32 v24, 20, v24
	v_and_b32_e32 v22, 0x80000000, v22
	v_lshl_add_u32 v23, v23, 23, v31
	v_or3_b32 v31, v22, v23, v24
.LBB447_428:
	s_or_b64 exec, exec, s[8:9]
.LBB447_429:
	s_or_b64 exec, exec, s[6:7]
.LBB447_430:
	s_or_b64 exec, exec, s[4:5]
	v_mov_b32_e32 v23, 0
	v_mov_b32_e32 v22, v15
	v_cmp_ne_u16_sdwa s[6:7], v15, v23 src0_sel:BYTE_0 src1_sel:DWORD
	v_mov_b32_e32 v33, v23
	s_and_saveexec_b64 s[4:5], s[6:7]
	s_cbranch_execz .LBB447_436
; %bb.431:
	s_movk_i32 s3, 0x80
	v_cmp_ne_u16_sdwa s[8:9], v15, s3 src0_sel:BYTE_0 src1_sel:DWORD
	v_bfrev_b32_e32 v33, 1
	s_and_saveexec_b64 s[6:7], s[8:9]
	s_cbranch_execz .LBB447_435
; %bb.432:
	s_movk_i32 s3, 0x7f
	v_and_b32_e32 v24, 0x7f, v15
	v_cmp_ne_u32_e32 vcc, s3, v24
	v_mov_b32_e32 v33, 0x7f800001
	s_and_saveexec_b64 s[8:9], vcc
	s_cbranch_execz .LBB447_434
; %bb.433:
	v_and_b32_e32 v33, 7, v15
	v_ffbh_u32_e32 v33, v33
	v_min_u32_e32 v33, 32, v33
	v_lshrrev_b32_e32 v34, 3, v24
	v_subrev_u32_e32 v35, 28, v33
	v_sub_u32_e32 v33, 29, v33
	v_cmp_gt_u32_e32 vcc, 8, v24
	v_cndmask_b32_e32 v24, v34, v33, vcc
	v_cndmask_b32_e32 v33, 0, v35, vcc
	v_lshlrev_b64 v[34:35], v33, v[22:23]
	v_lshlrev_b32_e32 v33, 20, v34
	v_lshlrev_b32_e32 v34, 24, v22
	v_bfrev_b32_e32 v35, 60
	v_and_b32_e32 v33, 0x700000, v33
	v_and_b32_e32 v34, 0x80000000, v34
	v_lshl_add_u32 v24, v24, 23, v35
	v_or3_b32 v33, v34, v24, v33
.LBB447_434:
	s_or_b64 exec, exec, s[8:9]
.LBB447_435:
	s_or_b64 exec, exec, s[6:7]
.LBB447_436:
	s_or_b64 exec, exec, s[4:5]
	v_lshrrev_b16_e32 v24, 8, v22
	v_cmp_ne_u16_e32 vcc, 0, v24
	s_and_saveexec_b64 s[4:5], vcc
	s_cbranch_execz .LBB447_442
; %bb.437:
	s_movk_i32 s3, 0x80
	v_cmp_ne_u16_e32 vcc, s3, v24
	v_bfrev_b32_e32 v23, 1
	s_and_saveexec_b64 s[6:7], vcc
	s_cbranch_execz .LBB447_441
; %bb.438:
	s_movk_i32 s3, 0x7f
	v_and_b32_e32 v34, 0x7f, v24
	v_cmp_ne_u32_e32 vcc, s3, v34
	v_mov_b32_e32 v23, 0x7f800001
	s_and_saveexec_b64 s[8:9], vcc
	s_cbranch_execz .LBB447_440
; %bb.439:
	v_and_b32_e32 v23, 7, v24
	v_ffbh_u32_e32 v36, v23
	v_min_u32_e32 v38, 32, v36
	v_subrev_u32_e32 v36, 28, v38
	v_lshlrev_b64 v[36:37], v36, v[24:25]
	v_lshrrev_b32_e32 v35, 3, v34
	v_sub_u32_e32 v24, 29, v38
	v_and_b32_e32 v36, 7, v36
	v_cmp_gt_u32_e32 vcc, 8, v34
	v_cndmask_b32_e32 v24, v35, v24, vcc
	v_cndmask_b32_e32 v23, v23, v36, vcc
	v_lshlrev_b32_e32 v22, 16, v22
	v_bfrev_b32_e32 v34, 60
	v_lshlrev_b32_e32 v23, 20, v23
	v_and_b32_e32 v22, 0x80000000, v22
	v_lshl_add_u32 v24, v24, 23, v34
	v_or3_b32 v23, v22, v24, v23
.LBB447_440:
	s_or_b64 exec, exec, s[8:9]
.LBB447_441:
	s_or_b64 exec, exec, s[6:7]
.LBB447_442:
	s_or_b64 exec, exec, s[4:5]
	s_movk_i32 s3, 0xff
	v_and_b32_sdwa v35, v15, s3 dst_sel:DWORD dst_unused:UNUSED_PAD src0_sel:WORD_1 src1_sel:DWORD
	v_lshrrev_b32_e32 v22, 16, v15
	v_cmp_ne_u16_e32 vcc, 0, v35
	v_mov_b32_e32 v24, 0
	v_mov_b32_e32 v34, 0
	s_and_saveexec_b64 s[4:5], vcc
	s_cbranch_execz .LBB447_448
; %bb.443:
	s_movk_i32 s3, 0x80
	v_cmp_ne_u16_e32 vcc, s3, v35
	v_bfrev_b32_e32 v34, 1
	s_and_saveexec_b64 s[6:7], vcc
	s_cbranch_execz .LBB447_447
; %bb.444:
	v_bfe_u32 v35, v15, 16, 7
	s_movk_i32 s3, 0x7f
	v_cmp_ne_u32_e32 vcc, s3, v35
	v_mov_b32_e32 v34, 0x7f800001
	s_and_saveexec_b64 s[8:9], vcc
	s_cbranch_execz .LBB447_446
; %bb.445:
	v_and_b32_e32 v34, 7, v22
	v_ffbh_u32_e32 v36, v34
	v_min_u32_e32 v39, 32, v36
	v_subrev_u32_e32 v36, 28, v39
	v_lshlrev_b64 v[36:37], v36, v[22:23]
	v_lshrrev_b32_e32 v38, 3, v35
	v_sub_u32_e32 v22, 29, v39
	v_and_b32_e32 v36, 7, v36
	v_cmp_gt_u32_e32 vcc, 8, v35
	v_mov_b32_e32 v35, 24
	v_cndmask_b32_e32 v22, v38, v22, vcc
	v_cndmask_b32_e32 v34, v34, v36, vcc
	v_lshlrev_b32_sdwa v35, v35, v15 dst_sel:DWORD dst_unused:UNUSED_PAD src0_sel:DWORD src1_sel:WORD_1
	v_bfrev_b32_e32 v36, 60
	v_lshlrev_b32_e32 v34, 20, v34
	v_and_b32_e32 v35, 0x80000000, v35
	v_lshl_add_u32 v22, v22, 23, v36
	v_or3_b32 v34, v35, v22, v34
.LBB447_446:
	s_or_b64 exec, exec, s[8:9]
.LBB447_447:
	s_or_b64 exec, exec, s[6:7]
.LBB447_448:
	s_or_b64 exec, exec, s[4:5]
	s_mov_b32 s4, -1
	s_mov_b32 s5, 0xffffff
	v_cmp_lt_u64_e32 vcc, s[4:5], v[14:15]
	s_and_saveexec_b64 s[4:5], vcc
	s_cbranch_execz .LBB447_454
; %bb.449:
	v_lshrrev_b32_e32 v14, 24, v15
	s_movk_i32 s3, 0x80
	v_cmp_ne_u32_e32 vcc, s3, v14
	v_bfrev_b32_e32 v24, 1
	s_and_saveexec_b64 s[6:7], vcc
	s_cbranch_execz .LBB447_453
; %bb.450:
	v_bfe_u32 v15, v15, 24, 7
	s_movk_i32 s3, 0x7f
	v_cmp_ne_u32_e32 vcc, s3, v15
	v_mov_b32_e32 v24, 0x7f800001
	s_and_saveexec_b64 s[8:9], vcc
	s_cbranch_execz .LBB447_452
; %bb.451:
	v_and_b32_e32 v22, 7, v14
	v_ffbh_u32_e32 v35, v22
	v_min_u32_e32 v35, 32, v35
	v_subrev_u32_e32 v36, 28, v35
	v_lshlrev_b64 v[36:37], v36, v[14:15]
	v_lshrrev_b32_e32 v24, 3, v15
	v_sub_u32_e32 v35, 29, v35
	v_and_b32_e32 v36, 7, v36
	v_cmp_gt_u32_e32 vcc, 8, v15
	v_cndmask_b32_e32 v15, v24, v35, vcc
	v_cndmask_b32_e32 v22, v22, v36, vcc
	v_lshlrev_b32_e32 v14, 24, v14
	v_bfrev_b32_e32 v24, 60
	v_lshlrev_b32_e32 v22, 20, v22
	v_and_b32_e32 v14, 0x80000000, v14
	v_lshl_add_u32 v15, v15, 23, v24
	v_or3_b32 v24, v14, v15, v22
.LBB447_452:
	s_or_b64 exec, exec, s[8:9]
.LBB447_453:
	s_or_b64 exec, exec, s[6:7]
.LBB447_454:
	s_or_b64 exec, exec, s[4:5]
	v_add_f32_e32 v14, 0x358637bd, v28
	v_div_scale_f32 v15, s[4:5], v14, v14, 1.0
	v_rcp_f32_e32 v22, v15
	v_div_scale_f32 v28, vcc, 1.0, v14, 1.0
	v_sub_f32_e32 v26, v26, v27
	v_fma_f32 v35, -v15, v22, 1.0
	v_fmac_f32_e32 v22, v35, v22
	v_mul_f32_e32 v35, v28, v22
	v_fma_f32 v36, -v15, v35, v28
	v_mul_f32_e32 v26, 0x3fb8aa3b, v26
	v_fmac_f32_e32 v35, v36, v22
	v_exp_f32_e32 v26, v26
	v_fma_f32 v15, -v15, v35, v28
	v_div_fmas_f32 v15, v15, v22, v35
	v_div_fixup_f32 v14, v15, v14, 1.0
	v_mul_f32_e32 v14, v26, v14
	v_pk_mul_f32 v[20:21], v[20:21], v[14:15] op_sel_hi:[1,0]
	v_pk_mul_f32 v[14:15], v[18:19], v[14:15] op_sel_hi:[1,0]
	v_cvt_f16_f32_e32 v14, v14
	v_cvt_f16_f32_e32 v15, v15
	;; [unrolled: 1-line block ×4, first 2 shown]
	v_cvt_pkrtz_f16_f32 v22, v33, v23
	v_pack_b32_f16 v14, v14, v15
	v_cvt_pkrtz_f16_f32 v23, v34, v24
	v_pack_b32_f16 v15, v18, v19
	v_cvt_pkrtz_f16_f32 v18, v30, v29
	v_cvt_pkrtz_f16_f32 v19, v32, v31
	v_mov_b32_e32 v21, 0
	s_nop 0
	v_mfma_f32_4x4x4f16 a[0:3], v[14:15], v[18:19], 0 cbsz:4
	v_mfma_f32_4x4x4f16 a[0:3], v[14:15], v[22:23], a[0:3] cbsz:4 abid:1
	v_mov_b32_e32 v22, 0
	v_cmp_ne_u16_sdwa s[6:7], v16, v22 src0_sel:BYTE_0 src1_sel:DWORD
	s_and_saveexec_b64 s[4:5], s[6:7]
	s_cbranch_execz .LBB447_460
; %bb.455:
	s_movk_i32 s3, 0x80
	v_cmp_ne_u16_sdwa s[8:9], v16, s3 src0_sel:BYTE_0 src1_sel:DWORD
	v_bfrev_b32_e32 v21, 1
	s_and_saveexec_b64 s[6:7], s[8:9]
	s_cbranch_execz .LBB447_459
; %bb.456:
	s_movk_i32 s3, 0x7f
	v_and_b32_e32 v18, 0x7f, v16
	v_cmp_ne_u32_e32 vcc, s3, v18
	v_mov_b32_e32 v21, 0x7f800001
	s_and_saveexec_b64 s[8:9], vcc
	s_cbranch_execz .LBB447_458
; %bb.457:
	v_and_b32_e32 v19, 7, v16
	v_ffbh_u32_e32 v19, v19
	v_min_u32_e32 v19, 32, v19
	v_subrev_u32_e32 v21, 28, v19
	v_cmp_gt_u32_e32 vcc, 8, v18
	v_lshrrev_b32_e32 v20, 3, v18
	v_sub_u32_e32 v19, 29, v19
	v_cndmask_b32_e32 v18, 0, v21, vcc
	v_cndmask_b32_e32 v20, v20, v19, vcc
	v_lshlrev_b64 v[18:19], v18, v[16:17]
	v_lshlrev_b32_e32 v18, 20, v18
	v_lshlrev_b32_e32 v19, 24, v16
	v_bfrev_b32_e32 v21, 60
	v_and_b32_e32 v18, 0x700000, v18
	v_and_b32_e32 v19, 0x80000000, v19
	v_lshl_add_u32 v20, v20, 23, v21
	v_or3_b32 v21, v19, v20, v18
.LBB447_458:
	s_or_b64 exec, exec, s[8:9]
.LBB447_459:
	s_or_b64 exec, exec, s[6:7]
.LBB447_460:
	s_or_b64 exec, exec, s[4:5]
	v_lshrrev_b16_e32 v18, 8, v16
	v_cmp_ne_u16_e32 vcc, 0, v18
	v_mov_b32_e32 v23, 0
	s_and_saveexec_b64 s[4:5], vcc
	s_cbranch_execz .LBB447_466
; %bb.461:
	s_movk_i32 s3, 0x80
	v_cmp_ne_u16_e32 vcc, s3, v18
	v_bfrev_b32_e32 v23, 1
	s_and_saveexec_b64 s[6:7], vcc
	s_cbranch_execz .LBB447_465
; %bb.462:
	s_movk_i32 s3, 0x7f
	v_and_b32_e32 v19, 0x7f, v18
	v_cmp_ne_u32_e32 vcc, s3, v19
	v_mov_b32_e32 v23, 0x7f800001
	s_and_saveexec_b64 s[8:9], vcc
	s_cbranch_execz .LBB447_464
; %bb.463:
	v_and_b32_e32 v20, 7, v18
	v_ffbh_u32_e32 v24, v20
	v_min_u32_e32 v24, 32, v24
	v_subrev_u32_e32 v26, 28, v24
	v_lshlrev_b64 v[26:27], v26, v[18:19]
	v_lshrrev_b32_e32 v23, 3, v19
	v_sub_u32_e32 v18, 29, v24
	v_and_b32_e32 v24, 7, v26
	v_cmp_gt_u32_e32 vcc, 8, v19
	v_cndmask_b32_e32 v18, v23, v18, vcc
	v_cndmask_b32_e32 v19, v20, v24, vcc
	v_lshlrev_b32_e32 v20, 16, v16
	v_bfrev_b32_e32 v23, 60
	v_lshlrev_b32_e32 v19, 20, v19
	v_and_b32_e32 v20, 0x80000000, v20
	v_lshl_add_u32 v18, v18, 23, v23
	v_or3_b32 v23, v20, v18, v19
.LBB447_464:
	s_or_b64 exec, exec, s[8:9]
.LBB447_465:
	s_or_b64 exec, exec, s[6:7]
.LBB447_466:
	s_or_b64 exec, exec, s[4:5]
	s_movk_i32 s3, 0xff
	v_and_b32_sdwa v19, v16, s3 dst_sel:DWORD dst_unused:UNUSED_PAD src0_sel:WORD_1 src1_sel:DWORD
	v_lshrrev_b32_e32 v18, 16, v16
	v_cmp_ne_u16_e32 vcc, 0, v19
	s_and_saveexec_b64 s[4:5], vcc
	s_cbranch_execz .LBB447_472
; %bb.467:
	s_movk_i32 s3, 0x80
	v_cmp_ne_u16_e32 vcc, s3, v19
	v_bfrev_b32_e32 v22, 1
	s_and_saveexec_b64 s[6:7], vcc
	s_cbranch_execz .LBB447_471
; %bb.468:
	v_bfe_u32 v19, v16, 16, 7
	s_movk_i32 s3, 0x7f
	v_cmp_ne_u32_e32 vcc, s3, v19
	v_mov_b32_e32 v22, 0x7f800001
	s_and_saveexec_b64 s[8:9], vcc
	s_cbranch_execz .LBB447_470
; %bb.469:
	v_and_b32_e32 v20, 7, v18
	v_ffbh_u32_e32 v24, v20
	v_min_u32_e32 v24, 32, v24
	v_subrev_u32_e32 v26, 28, v24
	v_lshlrev_b64 v[26:27], v26, v[18:19]
	v_sub_u32_e32 v18, 29, v24
	v_and_b32_e32 v24, 7, v26
	v_cmp_gt_u32_e32 vcc, 8, v19
	v_lshrrev_b32_e32 v22, 3, v19
	v_cndmask_b32_e32 v19, v20, v24, vcc
	v_mov_b32_e32 v20, 24
	v_cndmask_b32_e32 v18, v22, v18, vcc
	v_lshlrev_b32_sdwa v20, v20, v16 dst_sel:DWORD dst_unused:UNUSED_PAD src0_sel:DWORD src1_sel:WORD_1
	v_bfrev_b32_e32 v22, 60
	v_lshlrev_b32_e32 v19, 20, v19
	v_and_b32_e32 v20, 0x80000000, v20
	v_lshl_add_u32 v18, v18, 23, v22
	v_or3_b32 v22, v20, v18, v19
.LBB447_470:
	s_or_b64 exec, exec, s[8:9]
.LBB447_471:
	s_or_b64 exec, exec, s[6:7]
.LBB447_472:
	s_or_b64 exec, exec, s[4:5]
	s_mov_b32 s3, 0xffffff
	v_cmp_lt_u32_e32 vcc, s3, v16
	v_mov_b32_e32 v19, 0
	v_mov_b32_e32 v24, 0
	s_and_saveexec_b64 s[4:5], vcc
	s_cbranch_execz .LBB447_478
; %bb.473:
	v_lshrrev_b32_e32 v18, 24, v16
	s_movk_i32 s3, 0x80
	v_cmp_ne_u32_e32 vcc, s3, v18
	v_bfrev_b32_e32 v24, 1
	s_and_saveexec_b64 s[6:7], vcc
	s_cbranch_execz .LBB447_477
; %bb.474:
	v_bfe_u32 v20, v16, 24, 7
	s_movk_i32 s3, 0x7f
	v_cmp_ne_u32_e32 vcc, s3, v20
	v_mov_b32_e32 v24, 0x7f800001
	s_and_saveexec_b64 s[8:9], vcc
	s_cbranch_execz .LBB447_476
; %bb.475:
	v_and_b32_e32 v24, 7, v18
	v_ffbh_u32_e32 v26, v24
	v_min_u32_e32 v29, 32, v26
	v_subrev_u32_e32 v26, 28, v29
	v_lshlrev_b64 v[26:27], v26, v[18:19]
	v_lshrrev_b32_e32 v28, 3, v20
	v_sub_u32_e32 v27, 29, v29
	v_and_b32_e32 v26, 7, v26
	v_cmp_gt_u32_e32 vcc, 8, v20
	v_cndmask_b32_e32 v20, v28, v27, vcc
	v_cndmask_b32_e32 v24, v24, v26, vcc
	v_lshlrev_b32_e32 v18, 24, v18
	v_bfrev_b32_e32 v26, 60
	v_lshlrev_b32_e32 v24, 20, v24
	v_and_b32_e32 v18, 0x80000000, v18
	v_lshl_add_u32 v20, v20, 23, v26
	v_or3_b32 v24, v18, v20, v24
.LBB447_476:
	s_or_b64 exec, exec, s[8:9]
.LBB447_477:
	s_or_b64 exec, exec, s[6:7]
.LBB447_478:
	s_or_b64 exec, exec, s[4:5]
	v_mov_b32_e32 v18, v17
	v_cmp_ne_u16_sdwa s[6:7], v17, v19 src0_sel:BYTE_0 src1_sel:DWORD
	s_and_saveexec_b64 s[4:5], s[6:7]
	s_cbranch_execz .LBB447_484
; %bb.479:
	s_movk_i32 s3, 0x80
	v_cmp_ne_u16_sdwa s[8:9], v17, s3 src0_sel:BYTE_0 src1_sel:DWORD
	v_bfrev_b32_e32 v20, 1
	s_and_saveexec_b64 s[6:7], s[8:9]
	s_cbranch_execz .LBB447_483
; %bb.480:
	s_movk_i32 s3, 0x7f
	v_and_b32_e32 v26, 0x7f, v17
	v_cmp_ne_u32_e32 vcc, s3, v26
	v_mov_b32_e32 v20, 0x7f800001
	s_and_saveexec_b64 s[8:9], vcc
	s_cbranch_execz .LBB447_482
; %bb.481:
	v_and_b32_e32 v20, 7, v17
	v_ffbh_u32_e32 v20, v20
	v_min_u32_e32 v20, 32, v20
	v_subrev_u32_e32 v28, 28, v20
	v_cmp_gt_u32_e32 vcc, 8, v26
	v_lshrrev_b32_e32 v27, 3, v26
	v_sub_u32_e32 v20, 29, v20
	v_cndmask_b32_e32 v26, 0, v28, vcc
	v_cndmask_b32_e32 v20, v27, v20, vcc
	v_lshlrev_b64 v[26:27], v26, v[18:19]
	v_lshlrev_b32_e32 v19, 20, v26
	v_lshlrev_b32_e32 v26, 24, v18
	v_bfrev_b32_e32 v27, 60
	v_and_b32_e32 v19, 0x700000, v19
	v_and_b32_e32 v26, 0x80000000, v26
	v_lshl_add_u32 v20, v20, 23, v27
	v_or3_b32 v20, v26, v20, v19
.LBB447_482:
	s_or_b64 exec, exec, s[8:9]
.LBB447_483:
	s_or_b64 exec, exec, s[6:7]
	v_mov_b32_e32 v19, v20
.LBB447_484:
	s_or_b64 exec, exec, s[4:5]
	v_lshrrev_b16_e32 v20, 8, v18
	v_cmp_ne_u16_e32 vcc, 0, v20
	v_mov_b32_e32 v26, 0
	v_mov_b32_e32 v27, 0
	s_and_saveexec_b64 s[4:5], vcc
	s_cbranch_execz .LBB447_490
; %bb.485:
	s_movk_i32 s3, 0x80
	v_cmp_ne_u16_e32 vcc, s3, v20
	v_bfrev_b32_e32 v27, 1
	s_and_saveexec_b64 s[6:7], vcc
	s_cbranch_execz .LBB447_489
; %bb.486:
	s_movk_i32 s3, 0x7f
	v_and_b32_e32 v28, 0x7f, v20
	v_cmp_ne_u32_e32 vcc, s3, v28
	v_mov_b32_e32 v27, 0x7f800001
	s_and_saveexec_b64 s[8:9], vcc
	s_cbranch_execz .LBB447_488
; %bb.487:
	v_and_b32_e32 v27, 7, v20
	v_ffbh_u32_e32 v30, v27
	v_min_u32_e32 v32, 32, v30
	v_subrev_u32_e32 v30, 28, v32
	v_lshlrev_b64 v[30:31], v30, v[20:21]
	v_lshrrev_b32_e32 v29, 3, v28
	v_sub_u32_e32 v20, 29, v32
	v_and_b32_e32 v30, 7, v30
	v_cmp_gt_u32_e32 vcc, 8, v28
	v_cndmask_b32_e32 v20, v29, v20, vcc
	v_cndmask_b32_e32 v27, v27, v30, vcc
	v_lshlrev_b32_e32 v18, 16, v18
	v_bfrev_b32_e32 v28, 60
	v_lshlrev_b32_e32 v27, 20, v27
	v_and_b32_e32 v18, 0x80000000, v18
	v_lshl_add_u32 v20, v20, 23, v28
	v_or3_b32 v27, v18, v20, v27
.LBB447_488:
	s_or_b64 exec, exec, s[8:9]
.LBB447_489:
	s_or_b64 exec, exec, s[6:7]
.LBB447_490:
	s_or_b64 exec, exec, s[4:5]
	s_movk_i32 s3, 0xff
	v_and_b32_sdwa v20, v17, s3 dst_sel:DWORD dst_unused:UNUSED_PAD src0_sel:WORD_1 src1_sel:DWORD
	v_lshrrev_b32_e32 v18, 16, v17
	v_cmp_ne_u16_e32 vcc, 0, v20
	s_and_saveexec_b64 s[4:5], vcc
	s_cbranch_execz .LBB447_496
; %bb.491:
	s_movk_i32 s3, 0x80
	v_cmp_ne_u16_e32 vcc, s3, v20
	v_bfrev_b32_e32 v26, 1
	s_and_saveexec_b64 s[6:7], vcc
	s_cbranch_execz .LBB447_495
; %bb.492:
	v_bfe_u32 v20, v17, 16, 7
	s_movk_i32 s3, 0x7f
	v_cmp_ne_u32_e32 vcc, s3, v20
	v_mov_b32_e32 v26, 0x7f800001
	s_and_saveexec_b64 s[8:9], vcc
	s_cbranch_execz .LBB447_494
; %bb.493:
	v_and_b32_e32 v26, 7, v18
	v_ffbh_u32_e32 v28, v26
	v_min_u32_e32 v31, 32, v28
	v_subrev_u32_e32 v28, 28, v31
	v_lshlrev_b64 v[28:29], v28, v[18:19]
	v_and_b32_e32 v28, 7, v28
	v_cmp_gt_u32_e32 vcc, 8, v20
	v_lshrrev_b32_e32 v30, 3, v20
	v_sub_u32_e32 v18, 29, v31
	v_cndmask_b32_e32 v20, v26, v28, vcc
	v_mov_b32_e32 v26, 24
	v_cndmask_b32_e32 v18, v30, v18, vcc
	v_lshlrev_b32_sdwa v26, v26, v17 dst_sel:DWORD dst_unused:UNUSED_PAD src0_sel:DWORD src1_sel:WORD_1
	v_bfrev_b32_e32 v28, 60
	v_lshlrev_b32_e32 v20, 20, v20
	v_and_b32_e32 v26, 0x80000000, v26
	v_lshl_add_u32 v18, v18, 23, v28
	v_or3_b32 v26, v26, v18, v20
.LBB447_494:
	s_or_b64 exec, exec, s[8:9]
.LBB447_495:
	s_or_b64 exec, exec, s[6:7]
.LBB447_496:
	s_or_b64 exec, exec, s[4:5]
	s_mov_b32 s4, -1
	s_mov_b32 s5, 0xffffff
	v_cmp_lt_u64_e32 vcc, s[4:5], v[16:17]
	v_mov_b32_e32 v20, 0
	v_mov_b32_e32 v18, 0
	s_and_saveexec_b64 s[4:5], vcc
	s_cbranch_execz .LBB447_502
; %bb.497:
	v_lshrrev_b32_e32 v16, 24, v17
	s_movk_i32 s3, 0x80
	v_cmp_ne_u32_e32 vcc, s3, v16
	v_bfrev_b32_e32 v18, 1
	s_and_saveexec_b64 s[6:7], vcc
	s_cbranch_execz .LBB447_501
; %bb.498:
	v_bfe_u32 v17, v17, 24, 7
	s_movk_i32 s3, 0x7f
	v_cmp_ne_u32_e32 vcc, s3, v17
	v_mov_b32_e32 v18, 0x7f800001
	s_and_saveexec_b64 s[8:9], vcc
	s_cbranch_execz .LBB447_500
; %bb.499:
	v_and_b32_e32 v18, 7, v16
	v_ffbh_u32_e32 v28, v18
	v_min_u32_e32 v31, 32, v28
	v_subrev_u32_e32 v28, 28, v31
	v_lshlrev_b64 v[28:29], v28, v[16:17]
	v_lshrrev_b32_e32 v30, 3, v17
	v_sub_u32_e32 v29, 29, v31
	v_and_b32_e32 v28, 7, v28
	v_cmp_gt_u32_e32 vcc, 8, v17
	v_cndmask_b32_e32 v17, v30, v29, vcc
	v_cndmask_b32_e32 v18, v18, v28, vcc
	v_lshlrev_b32_e32 v16, 24, v16
	v_bfrev_b32_e32 v28, 60
	v_lshlrev_b32_e32 v18, 20, v18
	v_and_b32_e32 v16, 0x80000000, v16
	v_lshl_add_u32 v17, v17, 23, v28
	v_or3_b32 v18, v16, v17, v18
.LBB447_500:
	s_or_b64 exec, exec, s[8:9]
.LBB447_501:
	s_or_b64 exec, exec, s[6:7]
.LBB447_502:
	s_or_b64 exec, exec, s[4:5]
	v_cvt_pkrtz_f16_f32 v16, v21, v23
	v_cvt_pkrtz_f16_f32 v17, v22, v24
	;; [unrolled: 1-line block ×4, first 2 shown]
	v_mfma_f32_4x4x4f16 a[0:3], v[14:15], v[16:17], a[0:3] cbsz:4 abid:2
	v_cmp_ne_u16_sdwa s[6:7], v10, v20 src0_sel:BYTE_0 src1_sel:DWORD
	v_mfma_f32_4x4x4f16 a[0:3], v[14:15], v[22:23], a[0:3] cbsz:4 abid:3
	s_and_saveexec_b64 s[4:5], s[6:7]
	s_cbranch_execz .LBB447_508
; %bb.503:
	s_movk_i32 s3, 0x80
	v_cmp_ne_u16_sdwa s[8:9], v10, s3 src0_sel:BYTE_0 src1_sel:DWORD
	v_bfrev_b32_e32 v20, 1
	s_and_saveexec_b64 s[6:7], s[8:9]
	s_cbranch_execz .LBB447_507
; %bb.504:
	s_movk_i32 s3, 0x7f
	v_and_b32_e32 v16, 0x7f, v10
	v_cmp_ne_u32_e32 vcc, s3, v16
	v_mov_b32_e32 v20, 0x7f800001
	s_and_saveexec_b64 s[8:9], vcc
	s_cbranch_execz .LBB447_506
; %bb.505:
	v_and_b32_e32 v17, 7, v10
	v_ffbh_u32_e32 v17, v17
	v_min_u32_e32 v17, 32, v17
	v_subrev_u32_e32 v19, 28, v17
	v_cmp_gt_u32_e32 vcc, 8, v16
	v_lshrrev_b32_e32 v18, 3, v16
	v_sub_u32_e32 v17, 29, v17
	v_cndmask_b32_e32 v16, 0, v19, vcc
	v_cndmask_b32_e32 v18, v18, v17, vcc
	v_lshlrev_b64 v[16:17], v16, v[10:11]
	v_lshlrev_b32_e32 v16, 20, v16
	v_lshlrev_b32_e32 v17, 24, v10
	v_bfrev_b32_e32 v19, 60
	v_and_b32_e32 v16, 0x700000, v16
	v_and_b32_e32 v17, 0x80000000, v17
	v_lshl_add_u32 v18, v18, 23, v19
	v_or3_b32 v20, v17, v18, v16
.LBB447_506:
	s_or_b64 exec, exec, s[8:9]
.LBB447_507:
	s_or_b64 exec, exec, s[6:7]
.LBB447_508:
	s_or_b64 exec, exec, s[4:5]
	v_lshrrev_b16_e32 v16, 8, v10
	v_cmp_ne_u16_e32 vcc, 0, v16
	v_mov_b32_e32 v19, 0
	v_mov_b32_e32 v21, 0
	s_and_saveexec_b64 s[4:5], vcc
	s_cbranch_execz .LBB447_514
; %bb.509:
	s_movk_i32 s3, 0x80
	v_cmp_ne_u16_e32 vcc, s3, v16
	v_bfrev_b32_e32 v21, 1
	s_and_saveexec_b64 s[6:7], vcc
	s_cbranch_execz .LBB447_513
; %bb.510:
	s_movk_i32 s3, 0x7f
	v_and_b32_e32 v17, 0x7f, v16
	v_cmp_ne_u32_e32 vcc, s3, v17
	v_mov_b32_e32 v21, 0x7f800001
	s_and_saveexec_b64 s[8:9], vcc
	s_cbranch_execz .LBB447_512
; %bb.511:
	v_and_b32_e32 v18, 7, v16
	v_ffbh_u32_e32 v22, v18
	v_min_u32_e32 v24, 32, v22
	v_subrev_u32_e32 v22, 28, v24
	v_lshlrev_b64 v[22:23], v22, v[16:17]
	v_lshrrev_b32_e32 v21, 3, v17
	v_sub_u32_e32 v16, 29, v24
	v_and_b32_e32 v22, 7, v22
	v_cmp_gt_u32_e32 vcc, 8, v17
	v_cndmask_b32_e32 v16, v21, v16, vcc
	v_cndmask_b32_e32 v17, v18, v22, vcc
	v_lshlrev_b32_e32 v18, 16, v10
	v_bfrev_b32_e32 v21, 60
	v_lshlrev_b32_e32 v17, 20, v17
	v_and_b32_e32 v18, 0x80000000, v18
	v_lshl_add_u32 v16, v16, 23, v21
	v_or3_b32 v21, v18, v16, v17
.LBB447_512:
	s_or_b64 exec, exec, s[8:9]
.LBB447_513:
	s_or_b64 exec, exec, s[6:7]
.LBB447_514:
	s_or_b64 exec, exec, s[4:5]
	s_movk_i32 s3, 0xff
	v_and_b32_sdwa v17, v10, s3 dst_sel:DWORD dst_unused:UNUSED_PAD src0_sel:WORD_1 src1_sel:DWORD
	v_lshrrev_b32_e32 v16, 16, v10
	v_cmp_ne_u16_e32 vcc, 0, v17
	s_and_saveexec_b64 s[4:5], vcc
	s_cbranch_execz .LBB447_520
; %bb.515:
	s_movk_i32 s3, 0x80
	v_cmp_ne_u16_e32 vcc, s3, v17
	v_bfrev_b32_e32 v19, 1
	s_and_saveexec_b64 s[6:7], vcc
	s_cbranch_execz .LBB447_519
; %bb.516:
	v_bfe_u32 v17, v10, 16, 7
	s_movk_i32 s3, 0x7f
	v_cmp_ne_u32_e32 vcc, s3, v17
	v_mov_b32_e32 v19, 0x7f800001
	s_and_saveexec_b64 s[8:9], vcc
	s_cbranch_execz .LBB447_518
; %bb.517:
	v_and_b32_e32 v22, 7, v16
	v_ffbh_u32_e32 v18, v22
	v_min_u32_e32 v24, 32, v18
	v_subrev_u32_e32 v18, 28, v24
	v_lshlrev_b64 v[18:19], v18, v[16:17]
	v_and_b32_e32 v18, 7, v18
	v_cmp_gt_u32_e32 vcc, 8, v17
	v_lshrrev_b32_e32 v23, 3, v17
	v_sub_u32_e32 v16, 29, v24
	v_cndmask_b32_e32 v17, v22, v18, vcc
	v_mov_b32_e32 v18, 24
	v_cndmask_b32_e32 v16, v23, v16, vcc
	v_lshlrev_b32_sdwa v18, v18, v10 dst_sel:DWORD dst_unused:UNUSED_PAD src0_sel:DWORD src1_sel:WORD_1
	v_bfrev_b32_e32 v19, 60
	v_lshlrev_b32_e32 v17, 20, v17
	v_and_b32_e32 v18, 0x80000000, v18
	v_lshl_add_u32 v16, v16, 23, v19
	v_or3_b32 v19, v18, v16, v17
.LBB447_518:
	s_or_b64 exec, exec, s[8:9]
.LBB447_519:
	s_or_b64 exec, exec, s[6:7]
.LBB447_520:
	s_or_b64 exec, exec, s[4:5]
	s_mov_b32 s3, 0xffffff
	v_cmp_lt_u32_e32 vcc, s3, v10
	v_mov_b32_e32 v17, 0
	v_mov_b32_e32 v22, 0
	s_and_saveexec_b64 s[4:5], vcc
	s_cbranch_execz .LBB447_526
; %bb.521:
	v_lshrrev_b32_e32 v16, 24, v10
	s_movk_i32 s3, 0x80
	v_cmp_ne_u32_e32 vcc, s3, v16
	v_bfrev_b32_e32 v22, 1
	s_and_saveexec_b64 s[6:7], vcc
	s_cbranch_execz .LBB447_525
; %bb.522:
	v_bfe_u32 v18, v10, 24, 7
	s_movk_i32 s3, 0x7f
	v_cmp_ne_u32_e32 vcc, s3, v18
	v_mov_b32_e32 v22, 0x7f800001
	s_and_saveexec_b64 s[8:9], vcc
	s_cbranch_execz .LBB447_524
; %bb.523:
	v_and_b32_e32 v24, 7, v16
	v_ffbh_u32_e32 v22, v24
	v_min_u32_e32 v27, 32, v22
	v_subrev_u32_e32 v22, 28, v27
	v_lshlrev_b64 v[22:23], v22, v[16:17]
	v_lshrrev_b32_e32 v26, 3, v18
	v_sub_u32_e32 v23, 29, v27
	v_and_b32_e32 v22, 7, v22
	v_cmp_gt_u32_e32 vcc, 8, v18
	v_cndmask_b32_e32 v18, v26, v23, vcc
	v_cndmask_b32_e32 v22, v24, v22, vcc
	v_lshlrev_b32_e32 v16, 24, v16
	v_bfrev_b32_e32 v23, 60
	v_lshlrev_b32_e32 v22, 20, v22
	v_and_b32_e32 v16, 0x80000000, v16
	v_lshl_add_u32 v18, v18, 23, v23
	v_or3_b32 v22, v16, v18, v22
.LBB447_524:
	s_or_b64 exec, exec, s[8:9]
.LBB447_525:
	s_or_b64 exec, exec, s[6:7]
.LBB447_526:
	s_or_b64 exec, exec, s[4:5]
	v_mov_b32_e32 v16, v11
	v_cmp_ne_u16_sdwa s[6:7], v11, v17 src0_sel:BYTE_0 src1_sel:DWORD
	s_and_saveexec_b64 s[4:5], s[6:7]
	s_cbranch_execz .LBB447_532
; %bb.527:
	s_movk_i32 s3, 0x80
	v_cmp_ne_u16_sdwa s[8:9], v11, s3 src0_sel:BYTE_0 src1_sel:DWORD
	v_bfrev_b32_e32 v18, 1
	s_and_saveexec_b64 s[6:7], s[8:9]
	s_cbranch_execz .LBB447_531
; %bb.528:
	s_movk_i32 s3, 0x7f
	v_and_b32_e32 v23, 0x7f, v11
	v_cmp_ne_u32_e32 vcc, s3, v23
	v_mov_b32_e32 v18, 0x7f800001
	s_and_saveexec_b64 s[8:9], vcc
	s_cbranch_execz .LBB447_530
; %bb.529:
	v_and_b32_e32 v18, 7, v11
	v_ffbh_u32_e32 v18, v18
	v_min_u32_e32 v18, 32, v18
	v_subrev_u32_e32 v26, 28, v18
	v_cmp_gt_u32_e32 vcc, 8, v23
	v_lshrrev_b32_e32 v24, 3, v23
	v_cndmask_b32_e32 v23, 0, v26, vcc
	v_sub_u32_e32 v18, 29, v18
	v_lshlrev_b64 v[26:27], v23, v[16:17]
	v_cndmask_b32_e32 v18, v24, v18, vcc
	v_lshlrev_b32_e32 v17, 20, v26
	v_lshlrev_b32_e32 v23, 24, v16
	v_bfrev_b32_e32 v24, 60
	v_and_b32_e32 v17, 0x700000, v17
	v_and_b32_e32 v23, 0x80000000, v23
	v_lshl_add_u32 v18, v18, 23, v24
	v_or3_b32 v18, v23, v18, v17
.LBB447_530:
	s_or_b64 exec, exec, s[8:9]
.LBB447_531:
	s_or_b64 exec, exec, s[6:7]
	v_mov_b32_e32 v17, v18
.LBB447_532:
	s_or_b64 exec, exec, s[4:5]
	v_lshrrev_b16_e32 v18, 8, v16
	v_cmp_ne_u16_e32 vcc, 0, v18
	v_mov_b32_e32 v23, 0
	v_mov_b32_e32 v24, 0
	s_and_saveexec_b64 s[4:5], vcc
	s_cbranch_execz .LBB447_538
; %bb.533:
	s_movk_i32 s3, 0x80
	v_cmp_ne_u16_e32 vcc, s3, v18
	v_bfrev_b32_e32 v24, 1
	s_and_saveexec_b64 s[6:7], vcc
	s_cbranch_execz .LBB447_537
; %bb.534:
	s_movk_i32 s3, 0x7f
	v_and_b32_e32 v26, 0x7f, v18
	v_cmp_ne_u32_e32 vcc, s3, v26
	v_mov_b32_e32 v24, 0x7f800001
	s_and_saveexec_b64 s[8:9], vcc
	s_cbranch_execz .LBB447_536
; %bb.535:
	v_and_b32_e32 v24, 7, v18
	v_ffbh_u32_e32 v28, v24
	v_min_u32_e32 v30, 32, v28
	v_subrev_u32_e32 v28, 28, v30
	v_lshlrev_b64 v[28:29], v28, v[18:19]
	v_lshrrev_b32_e32 v27, 3, v26
	v_sub_u32_e32 v18, 29, v30
	v_and_b32_e32 v28, 7, v28
	v_cmp_gt_u32_e32 vcc, 8, v26
	v_cndmask_b32_e32 v18, v27, v18, vcc
	v_cndmask_b32_e32 v24, v24, v28, vcc
	v_lshlrev_b32_e32 v16, 16, v16
	v_bfrev_b32_e32 v26, 60
	v_lshlrev_b32_e32 v24, 20, v24
	v_and_b32_e32 v16, 0x80000000, v16
	v_lshl_add_u32 v18, v18, 23, v26
	v_or3_b32 v24, v16, v18, v24
.LBB447_536:
	s_or_b64 exec, exec, s[8:9]
.LBB447_537:
	s_or_b64 exec, exec, s[6:7]
.LBB447_538:
	s_or_b64 exec, exec, s[4:5]
	s_movk_i32 s3, 0xff
	v_and_b32_sdwa v18, v11, s3 dst_sel:DWORD dst_unused:UNUSED_PAD src0_sel:WORD_1 src1_sel:DWORD
	v_lshrrev_b32_e32 v16, 16, v11
	v_cmp_ne_u16_e32 vcc, 0, v18
	s_and_saveexec_b64 s[4:5], vcc
	s_cbranch_execz .LBB447_544
; %bb.539:
	s_movk_i32 s3, 0x80
	v_cmp_ne_u16_e32 vcc, s3, v18
	v_bfrev_b32_e32 v23, 1
	s_and_saveexec_b64 s[6:7], vcc
	s_cbranch_execz .LBB447_543
; %bb.540:
	v_bfe_u32 v18, v11, 16, 7
	s_movk_i32 s3, 0x7f
	v_cmp_ne_u32_e32 vcc, s3, v18
	v_mov_b32_e32 v23, 0x7f800001
	s_and_saveexec_b64 s[8:9], vcc
	s_cbranch_execz .LBB447_542
; %bb.541:
	v_and_b32_e32 v23, 7, v16
	v_ffbh_u32_e32 v26, v23
	v_min_u32_e32 v29, 32, v26
	v_subrev_u32_e32 v26, 28, v29
	v_lshlrev_b64 v[26:27], v26, v[16:17]
	v_and_b32_e32 v26, 7, v26
	v_cmp_gt_u32_e32 vcc, 8, v18
	v_lshrrev_b32_e32 v28, 3, v18
	v_sub_u32_e32 v16, 29, v29
	v_cndmask_b32_e32 v18, v23, v26, vcc
	v_mov_b32_e32 v23, 24
	v_cndmask_b32_e32 v16, v28, v16, vcc
	v_lshlrev_b32_sdwa v23, v23, v11 dst_sel:DWORD dst_unused:UNUSED_PAD src0_sel:DWORD src1_sel:WORD_1
	v_bfrev_b32_e32 v26, 60
	v_lshlrev_b32_e32 v18, 20, v18
	v_and_b32_e32 v23, 0x80000000, v23
	v_lshl_add_u32 v16, v16, 23, v26
	v_or3_b32 v23, v23, v16, v18
.LBB447_542:
	s_or_b64 exec, exec, s[8:9]
.LBB447_543:
	s_or_b64 exec, exec, s[6:7]
.LBB447_544:
	s_or_b64 exec, exec, s[4:5]
	s_mov_b32 s4, -1
	s_mov_b32 s5, 0xffffff
	v_cmp_lt_u64_e32 vcc, s[4:5], v[10:11]
	v_mov_b32_e32 v18, 0
	v_mov_b32_e32 v16, 0
	s_and_saveexec_b64 s[4:5], vcc
	s_cbranch_execz .LBB447_550
; %bb.545:
	v_lshrrev_b32_e32 v10, 24, v11
	s_movk_i32 s3, 0x80
	v_cmp_ne_u32_e32 vcc, s3, v10
	v_bfrev_b32_e32 v16, 1
	s_and_saveexec_b64 s[6:7], vcc
	s_cbranch_execz .LBB447_549
; %bb.546:
	v_bfe_u32 v11, v11, 24, 7
	s_movk_i32 s3, 0x7f
	v_cmp_ne_u32_e32 vcc, s3, v11
	v_mov_b32_e32 v16, 0x7f800001
	s_and_saveexec_b64 s[8:9], vcc
	s_cbranch_execz .LBB447_548
; %bb.547:
	v_and_b32_e32 v16, 7, v10
	v_ffbh_u32_e32 v26, v16
	v_min_u32_e32 v29, 32, v26
	v_subrev_u32_e32 v26, 28, v29
	v_lshlrev_b64 v[26:27], v26, v[10:11]
	v_lshrrev_b32_e32 v28, 3, v11
	v_sub_u32_e32 v27, 29, v29
	v_and_b32_e32 v26, 7, v26
	v_cmp_gt_u32_e32 vcc, 8, v11
	v_cndmask_b32_e32 v11, v28, v27, vcc
	v_cndmask_b32_e32 v16, v16, v26, vcc
	v_lshlrev_b32_e32 v10, 24, v10
	v_bfrev_b32_e32 v26, 60
	v_lshlrev_b32_e32 v16, 20, v16
	v_and_b32_e32 v10, 0x80000000, v10
	v_lshl_add_u32 v11, v11, 23, v26
	v_or3_b32 v16, v10, v11, v16
.LBB447_548:
	s_or_b64 exec, exec, s[8:9]
.LBB447_549:
	s_or_b64 exec, exec, s[6:7]
.LBB447_550:
	s_or_b64 exec, exec, s[4:5]
	v_cvt_pkrtz_f16_f32 v10, v20, v21
	v_cvt_pkrtz_f16_f32 v11, v19, v22
	;; [unrolled: 1-line block ×4, first 2 shown]
	v_mfma_f32_4x4x4f16 a[0:3], v[14:15], v[10:11], a[0:3] cbsz:4 abid:4
	v_cmp_ne_u16_sdwa s[6:7], v12, v18 src0_sel:BYTE_0 src1_sel:DWORD
	v_mfma_f32_4x4x4f16 a[0:3], v[14:15], v[20:21], a[0:3] cbsz:4 abid:5
	s_and_saveexec_b64 s[4:5], s[6:7]
	s_cbranch_execz .LBB447_556
; %bb.551:
	s_movk_i32 s3, 0x80
	v_cmp_ne_u16_sdwa s[8:9], v12, s3 src0_sel:BYTE_0 src1_sel:DWORD
	v_bfrev_b32_e32 v18, 1
	s_and_saveexec_b64 s[6:7], s[8:9]
	s_cbranch_execz .LBB447_555
; %bb.552:
	s_movk_i32 s3, 0x7f
	v_and_b32_e32 v10, 0x7f, v12
	v_cmp_ne_u32_e32 vcc, s3, v10
	v_mov_b32_e32 v18, 0x7f800001
	s_and_saveexec_b64 s[8:9], vcc
	s_cbranch_execz .LBB447_554
; %bb.553:
	v_and_b32_e32 v11, 7, v12
	v_ffbh_u32_e32 v11, v11
	v_min_u32_e32 v11, 32, v11
	v_subrev_u32_e32 v17, 28, v11
	v_cmp_gt_u32_e32 vcc, 8, v10
	v_lshrrev_b32_e32 v16, 3, v10
	v_sub_u32_e32 v11, 29, v11
	v_cndmask_b32_e32 v10, 0, v17, vcc
	v_cndmask_b32_e32 v16, v16, v11, vcc
	v_lshlrev_b64 v[10:11], v10, v[12:13]
	v_lshlrev_b32_e32 v10, 20, v10
	v_lshlrev_b32_e32 v11, 24, v12
	v_bfrev_b32_e32 v17, 60
	v_and_b32_e32 v10, 0x700000, v10
	v_and_b32_e32 v11, 0x80000000, v11
	v_lshl_add_u32 v16, v16, 23, v17
	v_or3_b32 v18, v11, v16, v10
.LBB447_554:
	s_or_b64 exec, exec, s[8:9]
.LBB447_555:
	s_or_b64 exec, exec, s[6:7]
.LBB447_556:
	s_or_b64 exec, exec, s[4:5]
	v_lshrrev_b16_e32 v10, 8, v12
	v_cmp_ne_u16_e32 vcc, 0, v10
	v_mov_b32_e32 v17, 0
	v_mov_b32_e32 v19, 0
	s_and_saveexec_b64 s[4:5], vcc
	s_cbranch_execz .LBB447_562
; %bb.557:
	s_movk_i32 s3, 0x80
	v_cmp_ne_u16_e32 vcc, s3, v10
	v_bfrev_b32_e32 v19, 1
	s_and_saveexec_b64 s[6:7], vcc
	s_cbranch_execz .LBB447_561
; %bb.558:
	s_movk_i32 s3, 0x7f
	v_and_b32_e32 v11, 0x7f, v10
	v_cmp_ne_u32_e32 vcc, s3, v11
	v_mov_b32_e32 v19, 0x7f800001
	s_and_saveexec_b64 s[8:9], vcc
	s_cbranch_execz .LBB447_560
; %bb.559:
	v_and_b32_e32 v16, 7, v10
	v_ffbh_u32_e32 v20, v16
	v_min_u32_e32 v22, 32, v20
	v_subrev_u32_e32 v20, 28, v22
	v_lshlrev_b64 v[20:21], v20, v[10:11]
	v_lshrrev_b32_e32 v19, 3, v11
	v_sub_u32_e32 v10, 29, v22
	v_and_b32_e32 v20, 7, v20
	v_cmp_gt_u32_e32 vcc, 8, v11
	v_cndmask_b32_e32 v10, v19, v10, vcc
	v_cndmask_b32_e32 v11, v16, v20, vcc
	v_lshlrev_b32_e32 v16, 16, v12
	v_bfrev_b32_e32 v19, 60
	v_lshlrev_b32_e32 v11, 20, v11
	v_and_b32_e32 v16, 0x80000000, v16
	v_lshl_add_u32 v10, v10, 23, v19
	v_or3_b32 v19, v16, v10, v11
.LBB447_560:
	s_or_b64 exec, exec, s[8:9]
.LBB447_561:
	s_or_b64 exec, exec, s[6:7]
.LBB447_562:
	s_or_b64 exec, exec, s[4:5]
	s_movk_i32 s3, 0xff
	v_and_b32_sdwa v11, v12, s3 dst_sel:DWORD dst_unused:UNUSED_PAD src0_sel:WORD_1 src1_sel:DWORD
	v_lshrrev_b32_e32 v10, 16, v12
	v_cmp_ne_u16_e32 vcc, 0, v11
	s_and_saveexec_b64 s[4:5], vcc
	s_cbranch_execz .LBB447_568
; %bb.563:
	s_movk_i32 s3, 0x80
	v_cmp_ne_u16_e32 vcc, s3, v11
	v_bfrev_b32_e32 v17, 1
	s_and_saveexec_b64 s[6:7], vcc
	s_cbranch_execz .LBB447_567
; %bb.564:
	v_bfe_u32 v11, v12, 16, 7
	s_movk_i32 s3, 0x7f
	v_cmp_ne_u32_e32 vcc, s3, v11
	v_mov_b32_e32 v17, 0x7f800001
	s_and_saveexec_b64 s[8:9], vcc
	s_cbranch_execz .LBB447_566
; %bb.565:
	v_and_b32_e32 v20, 7, v10
	v_ffbh_u32_e32 v16, v20
	v_min_u32_e32 v22, 32, v16
	v_subrev_u32_e32 v16, 28, v22
	v_lshlrev_b64 v[16:17], v16, v[10:11]
	v_and_b32_e32 v16, 7, v16
	v_cmp_gt_u32_e32 vcc, 8, v11
	v_lshrrev_b32_e32 v21, 3, v11
	v_sub_u32_e32 v10, 29, v22
	v_cndmask_b32_e32 v11, v20, v16, vcc
	v_mov_b32_e32 v16, 24
	v_cndmask_b32_e32 v10, v21, v10, vcc
	v_lshlrev_b32_sdwa v16, v16, v12 dst_sel:DWORD dst_unused:UNUSED_PAD src0_sel:DWORD src1_sel:WORD_1
	v_bfrev_b32_e32 v17, 60
	v_lshlrev_b32_e32 v11, 20, v11
	v_and_b32_e32 v16, 0x80000000, v16
	v_lshl_add_u32 v10, v10, 23, v17
	v_or3_b32 v17, v16, v10, v11
.LBB447_566:
	s_or_b64 exec, exec, s[8:9]
.LBB447_567:
	s_or_b64 exec, exec, s[6:7]
.LBB447_568:
	s_or_b64 exec, exec, s[4:5]
	s_mov_b32 s3, 0xffffff
	v_cmp_lt_u32_e32 vcc, s3, v12
	v_mov_b32_e32 v11, 0
	v_mov_b32_e32 v20, 0
	s_and_saveexec_b64 s[4:5], vcc
	s_cbranch_execz .LBB447_574
; %bb.569:
	v_lshrrev_b32_e32 v10, 24, v12
	s_movk_i32 s3, 0x80
	v_cmp_ne_u32_e32 vcc, s3, v10
	v_bfrev_b32_e32 v20, 1
	s_and_saveexec_b64 s[6:7], vcc
	s_cbranch_execz .LBB447_573
; %bb.570:
	v_bfe_u32 v16, v12, 24, 7
	s_movk_i32 s3, 0x7f
	v_cmp_ne_u32_e32 vcc, s3, v16
	v_mov_b32_e32 v20, 0x7f800001
	s_and_saveexec_b64 s[8:9], vcc
	s_cbranch_execz .LBB447_572
; %bb.571:
	v_and_b32_e32 v22, 7, v10
	v_ffbh_u32_e32 v20, v22
	v_min_u32_e32 v24, 32, v20
	v_subrev_u32_e32 v20, 28, v24
	v_lshlrev_b64 v[20:21], v20, v[10:11]
	v_lshrrev_b32_e32 v23, 3, v16
	v_sub_u32_e32 v21, 29, v24
	v_and_b32_e32 v20, 7, v20
	v_cmp_gt_u32_e32 vcc, 8, v16
	v_cndmask_b32_e32 v16, v23, v21, vcc
	v_cndmask_b32_e32 v20, v22, v20, vcc
	v_lshlrev_b32_e32 v10, 24, v10
	v_bfrev_b32_e32 v21, 60
	v_lshlrev_b32_e32 v20, 20, v20
	v_and_b32_e32 v10, 0x80000000, v10
	v_lshl_add_u32 v16, v16, 23, v21
	v_or3_b32 v20, v10, v16, v20
.LBB447_572:
	s_or_b64 exec, exec, s[8:9]
.LBB447_573:
	s_or_b64 exec, exec, s[6:7]
.LBB447_574:
	s_or_b64 exec, exec, s[4:5]
	v_mov_b32_e32 v10, v13
	v_cmp_ne_u16_sdwa s[6:7], v13, v11 src0_sel:BYTE_0 src1_sel:DWORD
	s_and_saveexec_b64 s[4:5], s[6:7]
	s_cbranch_execz .LBB447_580
; %bb.575:
	s_movk_i32 s3, 0x80
	v_cmp_ne_u16_sdwa s[8:9], v13, s3 src0_sel:BYTE_0 src1_sel:DWORD
	v_bfrev_b32_e32 v16, 1
	s_and_saveexec_b64 s[6:7], s[8:9]
	s_cbranch_execz .LBB447_579
; %bb.576:
	s_movk_i32 s3, 0x7f
	v_and_b32_e32 v21, 0x7f, v13
	v_cmp_ne_u32_e32 vcc, s3, v21
	v_mov_b32_e32 v16, 0x7f800001
	s_and_saveexec_b64 s[8:9], vcc
	s_cbranch_execz .LBB447_578
; %bb.577:
	v_and_b32_e32 v16, 7, v13
	v_ffbh_u32_e32 v16, v16
	v_min_u32_e32 v16, 32, v16
	v_subrev_u32_e32 v23, 28, v16
	v_cmp_gt_u32_e32 vcc, 8, v21
	v_lshrrev_b32_e32 v22, 3, v21
	v_sub_u32_e32 v16, 29, v16
	v_cndmask_b32_e32 v21, 0, v23, vcc
	v_cndmask_b32_e32 v16, v22, v16, vcc
	v_lshlrev_b64 v[22:23], v21, v[10:11]
	v_lshlrev_b32_e32 v11, 20, v22
	v_lshlrev_b32_e32 v21, 24, v10
	v_bfrev_b32_e32 v22, 60
	v_and_b32_e32 v11, 0x700000, v11
	v_and_b32_e32 v21, 0x80000000, v21
	v_lshl_add_u32 v16, v16, 23, v22
	v_or3_b32 v16, v21, v16, v11
.LBB447_578:
	s_or_b64 exec, exec, s[8:9]
.LBB447_579:
	s_or_b64 exec, exec, s[6:7]
	v_mov_b32_e32 v11, v16
.LBB447_580:
	s_or_b64 exec, exec, s[4:5]
	v_lshrrev_b16_e32 v16, 8, v10
	v_cmp_ne_u16_e32 vcc, 0, v16
	v_mov_b32_e32 v21, 0
	v_mov_b32_e32 v22, 0
	s_and_saveexec_b64 s[4:5], vcc
	s_cbranch_execz .LBB447_586
; %bb.581:
	s_movk_i32 s3, 0x80
	v_cmp_ne_u16_e32 vcc, s3, v16
	v_bfrev_b32_e32 v22, 1
	s_and_saveexec_b64 s[6:7], vcc
	s_cbranch_execz .LBB447_585
; %bb.582:
	s_movk_i32 s3, 0x7f
	v_and_b32_e32 v23, 0x7f, v16
	v_cmp_ne_u32_e32 vcc, s3, v23
	v_mov_b32_e32 v22, 0x7f800001
	s_and_saveexec_b64 s[8:9], vcc
	s_cbranch_execz .LBB447_584
; %bb.583:
	v_and_b32_e32 v22, 7, v16
	v_ffbh_u32_e32 v26, v22
	v_min_u32_e32 v28, 32, v26
	v_subrev_u32_e32 v26, 28, v28
	v_lshlrev_b64 v[26:27], v26, v[16:17]
	v_lshrrev_b32_e32 v24, 3, v23
	v_sub_u32_e32 v16, 29, v28
	v_and_b32_e32 v26, 7, v26
	v_cmp_gt_u32_e32 vcc, 8, v23
	v_cndmask_b32_e32 v16, v24, v16, vcc
	v_cndmask_b32_e32 v22, v22, v26, vcc
	v_lshlrev_b32_e32 v10, 16, v10
	v_bfrev_b32_e32 v23, 60
	v_lshlrev_b32_e32 v22, 20, v22
	v_and_b32_e32 v10, 0x80000000, v10
	v_lshl_add_u32 v16, v16, 23, v23
	v_or3_b32 v22, v10, v16, v22
.LBB447_584:
	s_or_b64 exec, exec, s[8:9]
.LBB447_585:
	s_or_b64 exec, exec, s[6:7]
.LBB447_586:
	s_or_b64 exec, exec, s[4:5]
	s_movk_i32 s3, 0xff
	v_and_b32_sdwa v16, v13, s3 dst_sel:DWORD dst_unused:UNUSED_PAD src0_sel:WORD_1 src1_sel:DWORD
	v_lshrrev_b32_e32 v10, 16, v13
	v_cmp_ne_u16_e32 vcc, 0, v16
	s_and_saveexec_b64 s[4:5], vcc
	s_cbranch_execz .LBB447_592
; %bb.587:
	s_movk_i32 s3, 0x80
	v_cmp_ne_u16_e32 vcc, s3, v16
	v_bfrev_b32_e32 v21, 1
	s_and_saveexec_b64 s[6:7], vcc
	s_cbranch_execz .LBB447_591
; %bb.588:
	v_bfe_u32 v16, v13, 16, 7
	s_movk_i32 s3, 0x7f
	v_cmp_ne_u32_e32 vcc, s3, v16
	v_mov_b32_e32 v21, 0x7f800001
	s_and_saveexec_b64 s[8:9], vcc
	s_cbranch_execz .LBB447_590
; %bb.589:
	v_and_b32_e32 v21, 7, v10
	v_ffbh_u32_e32 v24, v21
	v_min_u32_e32 v24, 32, v24
	v_subrev_u32_e32 v26, 28, v24
	v_lshlrev_b64 v[26:27], v26, v[10:11]
	v_sub_u32_e32 v10, 29, v24
	v_and_b32_e32 v24, 7, v26
	v_cmp_gt_u32_e32 vcc, 8, v16
	v_lshrrev_b32_e32 v23, 3, v16
	v_cndmask_b32_e32 v16, v21, v24, vcc
	v_mov_b32_e32 v21, 24
	v_cndmask_b32_e32 v10, v23, v10, vcc
	v_lshlrev_b32_sdwa v21, v21, v13 dst_sel:DWORD dst_unused:UNUSED_PAD src0_sel:DWORD src1_sel:WORD_1
	v_bfrev_b32_e32 v23, 60
	v_lshlrev_b32_e32 v16, 20, v16
	v_and_b32_e32 v21, 0x80000000, v21
	v_lshl_add_u32 v10, v10, 23, v23
	v_or3_b32 v21, v21, v10, v16
.LBB447_590:
	s_or_b64 exec, exec, s[8:9]
.LBB447_591:
	s_or_b64 exec, exec, s[6:7]
.LBB447_592:
	s_or_b64 exec, exec, s[4:5]
	s_mov_b32 s4, -1
	s_mov_b32 s5, 0xffffff
	v_cmp_lt_u64_e32 vcc, s[4:5], v[12:13]
	v_mov_b32_e32 v16, 0
	v_mov_b32_e32 v12, 0
	s_and_saveexec_b64 s[4:5], vcc
	s_cbranch_execz .LBB447_598
; %bb.593:
	v_lshrrev_b32_e32 v10, 24, v13
	s_movk_i32 s3, 0x80
	v_cmp_ne_u32_e32 vcc, s3, v10
	v_bfrev_b32_e32 v12, 1
	s_and_saveexec_b64 s[6:7], vcc
	s_cbranch_execz .LBB447_597
; %bb.594:
	v_bfe_u32 v13, v13, 24, 7
	s_movk_i32 s3, 0x7f
	v_cmp_ne_u32_e32 vcc, s3, v13
	v_mov_b32_e32 v12, 0x7f800001
	s_and_saveexec_b64 s[8:9], vcc
	s_cbranch_execz .LBB447_596
; %bb.595:
	v_and_b32_e32 v12, 7, v10
	v_ffbh_u32_e32 v24, v12
	v_min_u32_e32 v24, 32, v24
	v_subrev_u32_e32 v26, 28, v24
	v_lshlrev_b64 v[26:27], v26, v[10:11]
	v_lshrrev_b32_e32 v23, 3, v13
	v_sub_u32_e32 v24, 29, v24
	v_and_b32_e32 v26, 7, v26
	v_cmp_gt_u32_e32 vcc, 8, v13
	v_cndmask_b32_e32 v13, v23, v24, vcc
	v_cndmask_b32_e32 v12, v12, v26, vcc
	v_lshlrev_b32_e32 v10, 24, v10
	v_bfrev_b32_e32 v23, 60
	v_lshlrev_b32_e32 v12, 20, v12
	v_and_b32_e32 v10, 0x80000000, v10
	v_lshl_add_u32 v13, v13, 23, v23
	v_or3_b32 v12, v10, v13, v12
.LBB447_596:
	s_or_b64 exec, exec, s[8:9]
.LBB447_597:
	s_or_b64 exec, exec, s[6:7]
.LBB447_598:
	s_or_b64 exec, exec, s[4:5]
	v_cvt_pkrtz_f16_f32 v18, v18, v19
	v_cvt_pkrtz_f16_f32 v19, v17, v20
	;; [unrolled: 1-line block ×4, first 2 shown]
	v_mfma_f32_4x4x4f16 a[0:3], v[14:15], v[18:19], a[0:3] cbsz:4 abid:6
	s_waitcnt vmcnt(0)
	v_cmp_ne_u16_sdwa s[6:7], v6, v16 src0_sel:BYTE_0 src1_sel:DWORD
	v_mfma_f32_4x4x4f16 a[0:3], v[14:15], v[10:11], a[0:3] cbsz:4 abid:7
	s_and_saveexec_b64 s[4:5], s[6:7]
	s_cbranch_execz .LBB447_604
; %bb.599:
	s_movk_i32 s3, 0x80
	v_cmp_ne_u16_sdwa s[8:9], v6, s3 src0_sel:BYTE_0 src1_sel:DWORD
	v_bfrev_b32_e32 v16, 1
	s_and_saveexec_b64 s[6:7], s[8:9]
	s_cbranch_execz .LBB447_603
; %bb.600:
	s_movk_i32 s3, 0x7f
	v_and_b32_e32 v10, 0x7f, v6
	v_cmp_ne_u32_e32 vcc, s3, v10
	v_mov_b32_e32 v16, 0x7f800001
	s_and_saveexec_b64 s[8:9], vcc
	s_cbranch_execz .LBB447_602
; %bb.601:
	v_and_b32_e32 v11, 7, v6
	v_ffbh_u32_e32 v11, v11
	v_min_u32_e32 v11, 32, v11
	v_subrev_u32_e32 v13, 28, v11
	v_cmp_gt_u32_e32 vcc, 8, v10
	v_lshrrev_b32_e32 v12, 3, v10
	v_sub_u32_e32 v11, 29, v11
	v_cndmask_b32_e32 v10, 0, v13, vcc
	v_cndmask_b32_e32 v12, v12, v11, vcc
	v_lshlrev_b64 v[10:11], v10, v[6:7]
	v_lshlrev_b32_e32 v10, 20, v10
	v_lshlrev_b32_e32 v11, 24, v6
	v_bfrev_b32_e32 v13, 60
	v_and_b32_e32 v10, 0x700000, v10
	v_and_b32_e32 v11, 0x80000000, v11
	v_lshl_add_u32 v12, v12, 23, v13
	v_or3_b32 v16, v11, v12, v10
.LBB447_602:
	s_or_b64 exec, exec, s[8:9]
.LBB447_603:
	s_or_b64 exec, exec, s[6:7]
.LBB447_604:
	s_or_b64 exec, exec, s[4:5]
	v_lshrrev_b16_e32 v10, 8, v6
	v_cmp_ne_u16_e32 vcc, 0, v10
	v_mov_b32_e32 v13, 0
	v_mov_b32_e32 v17, 0
	s_and_saveexec_b64 s[4:5], vcc
	s_cbranch_execz .LBB447_610
; %bb.605:
	s_movk_i32 s3, 0x80
	v_cmp_ne_u16_e32 vcc, s3, v10
	v_bfrev_b32_e32 v17, 1
	s_and_saveexec_b64 s[6:7], vcc
	s_cbranch_execz .LBB447_609
; %bb.606:
	s_movk_i32 s3, 0x7f
	v_and_b32_e32 v11, 0x7f, v10
	v_cmp_ne_u32_e32 vcc, s3, v11
	v_mov_b32_e32 v17, 0x7f800001
	s_and_saveexec_b64 s[8:9], vcc
	s_cbranch_execz .LBB447_608
; %bb.607:
	v_and_b32_e32 v12, 7, v10
	v_ffbh_u32_e32 v18, v12
	v_min_u32_e32 v20, 32, v18
	v_subrev_u32_e32 v18, 28, v20
	v_lshlrev_b64 v[18:19], v18, v[10:11]
	v_lshrrev_b32_e32 v17, 3, v11
	v_sub_u32_e32 v10, 29, v20
	v_and_b32_e32 v18, 7, v18
	v_cmp_gt_u32_e32 vcc, 8, v11
	v_cndmask_b32_e32 v10, v17, v10, vcc
	v_cndmask_b32_e32 v11, v12, v18, vcc
	v_lshlrev_b32_e32 v12, 16, v6
	v_bfrev_b32_e32 v17, 60
	v_lshlrev_b32_e32 v11, 20, v11
	v_and_b32_e32 v12, 0x80000000, v12
	v_lshl_add_u32 v10, v10, 23, v17
	v_or3_b32 v17, v12, v10, v11
.LBB447_608:
	s_or_b64 exec, exec, s[8:9]
.LBB447_609:
	s_or_b64 exec, exec, s[6:7]
.LBB447_610:
	s_or_b64 exec, exec, s[4:5]
	s_movk_i32 s3, 0xff
	v_and_b32_sdwa v11, v6, s3 dst_sel:DWORD dst_unused:UNUSED_PAD src0_sel:WORD_1 src1_sel:DWORD
	v_lshrrev_b32_e32 v10, 16, v6
	v_cmp_ne_u16_e32 vcc, 0, v11
	s_and_saveexec_b64 s[4:5], vcc
	s_cbranch_execz .LBB447_616
; %bb.611:
	s_movk_i32 s3, 0x80
	v_cmp_ne_u16_e32 vcc, s3, v11
	v_bfrev_b32_e32 v13, 1
	s_and_saveexec_b64 s[6:7], vcc
	s_cbranch_execz .LBB447_615
; %bb.612:
	v_bfe_u32 v11, v6, 16, 7
	s_movk_i32 s3, 0x7f
	v_cmp_ne_u32_e32 vcc, s3, v11
	v_mov_b32_e32 v13, 0x7f800001
	s_and_saveexec_b64 s[8:9], vcc
	s_cbranch_execz .LBB447_614
; %bb.613:
	v_and_b32_e32 v18, 7, v10
	v_ffbh_u32_e32 v12, v18
	v_min_u32_e32 v20, 32, v12
	v_subrev_u32_e32 v12, 28, v20
	v_lshlrev_b64 v[12:13], v12, v[10:11]
	v_and_b32_e32 v12, 7, v12
	v_cmp_gt_u32_e32 vcc, 8, v11
	v_lshrrev_b32_e32 v19, 3, v11
	v_sub_u32_e32 v10, 29, v20
	v_cndmask_b32_e32 v11, v18, v12, vcc
	v_mov_b32_e32 v12, 24
	v_cndmask_b32_e32 v10, v19, v10, vcc
	v_lshlrev_b32_sdwa v12, v12, v6 dst_sel:DWORD dst_unused:UNUSED_PAD src0_sel:DWORD src1_sel:WORD_1
	v_bfrev_b32_e32 v13, 60
	v_lshlrev_b32_e32 v11, 20, v11
	v_and_b32_e32 v12, 0x80000000, v12
	v_lshl_add_u32 v10, v10, 23, v13
	v_or3_b32 v13, v12, v10, v11
.LBB447_614:
	s_or_b64 exec, exec, s[8:9]
.LBB447_615:
	s_or_b64 exec, exec, s[6:7]
.LBB447_616:
	s_or_b64 exec, exec, s[4:5]
	s_mov_b32 s3, 0xffffff
	v_cmp_lt_u32_e32 vcc, s3, v6
	v_mov_b32_e32 v11, 0
	v_mov_b32_e32 v18, 0
	s_and_saveexec_b64 s[4:5], vcc
	s_cbranch_execz .LBB447_622
; %bb.617:
	v_lshrrev_b32_e32 v10, 24, v6
	s_movk_i32 s3, 0x80
	v_cmp_ne_u32_e32 vcc, s3, v10
	v_bfrev_b32_e32 v18, 1
	s_and_saveexec_b64 s[6:7], vcc
	s_cbranch_execz .LBB447_621
; %bb.618:
	v_bfe_u32 v12, v6, 24, 7
	s_movk_i32 s3, 0x7f
	v_cmp_ne_u32_e32 vcc, s3, v12
	v_mov_b32_e32 v18, 0x7f800001
	s_and_saveexec_b64 s[8:9], vcc
	s_cbranch_execz .LBB447_620
; %bb.619:
	v_and_b32_e32 v20, 7, v10
	v_ffbh_u32_e32 v18, v20
	v_min_u32_e32 v22, 32, v18
	v_subrev_u32_e32 v18, 28, v22
	v_lshlrev_b64 v[18:19], v18, v[10:11]
	v_lshrrev_b32_e32 v21, 3, v12
	v_sub_u32_e32 v19, 29, v22
	v_and_b32_e32 v18, 7, v18
	v_cmp_gt_u32_e32 vcc, 8, v12
	v_cndmask_b32_e32 v12, v21, v19, vcc
	v_cndmask_b32_e32 v18, v20, v18, vcc
	v_lshlrev_b32_e32 v10, 24, v10
	v_bfrev_b32_e32 v19, 60
	v_lshlrev_b32_e32 v18, 20, v18
	v_and_b32_e32 v10, 0x80000000, v10
	v_lshl_add_u32 v12, v12, 23, v19
	v_or3_b32 v18, v10, v12, v18
.LBB447_620:
	s_or_b64 exec, exec, s[8:9]
.LBB447_621:
	s_or_b64 exec, exec, s[6:7]
.LBB447_622:
	s_or_b64 exec, exec, s[4:5]
	v_mov_b32_e32 v10, v7
	v_cmp_ne_u16_sdwa s[6:7], v7, v11 src0_sel:BYTE_0 src1_sel:DWORD
	s_and_saveexec_b64 s[4:5], s[6:7]
	s_cbranch_execz .LBB447_628
; %bb.623:
	s_movk_i32 s3, 0x80
	v_cmp_ne_u16_sdwa s[8:9], v7, s3 src0_sel:BYTE_0 src1_sel:DWORD
	v_bfrev_b32_e32 v12, 1
	s_and_saveexec_b64 s[6:7], s[8:9]
	s_cbranch_execz .LBB447_627
; %bb.624:
	s_movk_i32 s3, 0x7f
	v_and_b32_e32 v19, 0x7f, v7
	v_cmp_ne_u32_e32 vcc, s3, v19
	v_mov_b32_e32 v12, 0x7f800001
	s_and_saveexec_b64 s[8:9], vcc
	s_cbranch_execz .LBB447_626
; %bb.625:
	v_and_b32_e32 v12, 7, v7
	v_ffbh_u32_e32 v12, v12
	v_min_u32_e32 v12, 32, v12
	v_subrev_u32_e32 v21, 28, v12
	v_cmp_gt_u32_e32 vcc, 8, v19
	v_lshrrev_b32_e32 v20, 3, v19
	v_sub_u32_e32 v12, 29, v12
	v_cndmask_b32_e32 v19, 0, v21, vcc
	v_cndmask_b32_e32 v12, v20, v12, vcc
	v_lshlrev_b64 v[20:21], v19, v[10:11]
	v_lshlrev_b32_e32 v11, 20, v20
	v_lshlrev_b32_e32 v19, 24, v10
	v_bfrev_b32_e32 v20, 60
	v_and_b32_e32 v11, 0x700000, v11
	v_and_b32_e32 v19, 0x80000000, v19
	v_lshl_add_u32 v12, v12, 23, v20
	v_or3_b32 v12, v19, v12, v11
.LBB447_626:
	s_or_b64 exec, exec, s[8:9]
.LBB447_627:
	s_or_b64 exec, exec, s[6:7]
	v_mov_b32_e32 v11, v12
.LBB447_628:
	s_or_b64 exec, exec, s[4:5]
	v_lshrrev_b16_e32 v12, 8, v10
	v_cmp_ne_u16_e32 vcc, 0, v12
	v_mov_b32_e32 v19, 0
	v_mov_b32_e32 v20, 0
	s_and_saveexec_b64 s[4:5], vcc
	s_cbranch_execz .LBB447_634
; %bb.629:
	s_movk_i32 s3, 0x80
	v_cmp_ne_u16_e32 vcc, s3, v12
	v_bfrev_b32_e32 v20, 1
	s_and_saveexec_b64 s[6:7], vcc
	s_cbranch_execz .LBB447_633
; %bb.630:
	s_movk_i32 s3, 0x7f
	v_and_b32_e32 v21, 0x7f, v12
	v_cmp_ne_u32_e32 vcc, s3, v21
	v_mov_b32_e32 v20, 0x7f800001
	s_and_saveexec_b64 s[8:9], vcc
	s_cbranch_execz .LBB447_632
; %bb.631:
	v_and_b32_e32 v20, 7, v12
	v_ffbh_u32_e32 v22, v20
	v_min_u32_e32 v26, 32, v22
	v_subrev_u32_e32 v22, 28, v26
	v_lshlrev_b64 v[22:23], v22, v[12:13]
	v_lshrrev_b32_e32 v24, 3, v21
	v_sub_u32_e32 v12, 29, v26
	v_and_b32_e32 v22, 7, v22
	v_cmp_gt_u32_e32 vcc, 8, v21
	v_cndmask_b32_e32 v12, v24, v12, vcc
	v_cndmask_b32_e32 v20, v20, v22, vcc
	v_lshlrev_b32_e32 v10, 16, v10
	v_bfrev_b32_e32 v21, 60
	v_lshlrev_b32_e32 v20, 20, v20
	v_and_b32_e32 v10, 0x80000000, v10
	v_lshl_add_u32 v12, v12, 23, v21
	v_or3_b32 v20, v10, v12, v20
.LBB447_632:
	s_or_b64 exec, exec, s[8:9]
.LBB447_633:
	s_or_b64 exec, exec, s[6:7]
.LBB447_634:
	s_or_b64 exec, exec, s[4:5]
	s_movk_i32 s3, 0xff
	v_and_b32_sdwa v12, v7, s3 dst_sel:DWORD dst_unused:UNUSED_PAD src0_sel:WORD_1 src1_sel:DWORD
	v_lshrrev_b32_e32 v10, 16, v7
	v_cmp_ne_u16_e32 vcc, 0, v12
	s_and_saveexec_b64 s[4:5], vcc
	s_cbranch_execz .LBB447_640
; %bb.635:
	s_movk_i32 s3, 0x80
	v_cmp_ne_u16_e32 vcc, s3, v12
	v_bfrev_b32_e32 v19, 1
	s_and_saveexec_b64 s[6:7], vcc
	s_cbranch_execz .LBB447_639
; %bb.636:
	v_bfe_u32 v12, v7, 16, 7
	s_movk_i32 s3, 0x7f
	v_cmp_ne_u32_e32 vcc, s3, v12
	v_mov_b32_e32 v19, 0x7f800001
	s_and_saveexec_b64 s[8:9], vcc
	s_cbranch_execz .LBB447_638
; %bb.637:
	v_and_b32_e32 v19, 7, v10
	v_ffbh_u32_e32 v22, v19
	v_min_u32_e32 v24, 32, v22
	v_subrev_u32_e32 v22, 28, v24
	v_lshlrev_b64 v[22:23], v22, v[10:11]
	v_and_b32_e32 v22, 7, v22
	v_cmp_gt_u32_e32 vcc, 8, v12
	v_lshrrev_b32_e32 v21, 3, v12
	v_sub_u32_e32 v10, 29, v24
	v_cndmask_b32_e32 v12, v19, v22, vcc
	v_mov_b32_e32 v19, 24
	v_cndmask_b32_e32 v10, v21, v10, vcc
	v_lshlrev_b32_sdwa v19, v19, v7 dst_sel:DWORD dst_unused:UNUSED_PAD src0_sel:DWORD src1_sel:WORD_1
	v_bfrev_b32_e32 v21, 60
	v_lshlrev_b32_e32 v12, 20, v12
	v_and_b32_e32 v19, 0x80000000, v19
	v_lshl_add_u32 v10, v10, 23, v21
	v_or3_b32 v19, v19, v10, v12
.LBB447_638:
	s_or_b64 exec, exec, s[8:9]
.LBB447_639:
	s_or_b64 exec, exec, s[6:7]
.LBB447_640:
	s_or_b64 exec, exec, s[4:5]
	s_mov_b32 s4, -1
	s_mov_b32 s5, 0xffffff
	v_cmp_lt_u64_e32 vcc, s[4:5], v[6:7]
	v_mov_b32_e32 v12, 0
	v_mov_b32_e32 v10, 0
	s_and_saveexec_b64 s[4:5], vcc
	s_cbranch_execz .LBB447_646
; %bb.641:
	v_lshrrev_b32_e32 v6, 24, v7
	s_movk_i32 s3, 0x80
	v_cmp_ne_u32_e32 vcc, s3, v6
	v_bfrev_b32_e32 v10, 1
	s_and_saveexec_b64 s[6:7], vcc
	s_cbranch_execz .LBB447_645
; %bb.642:
	v_bfe_u32 v7, v7, 24, 7
	s_movk_i32 s3, 0x7f
	v_cmp_ne_u32_e32 vcc, s3, v7
	v_mov_b32_e32 v10, 0x7f800001
	s_and_saveexec_b64 s[8:9], vcc
	s_cbranch_execz .LBB447_644
; %bb.643:
	v_and_b32_e32 v10, 7, v6
	v_ffbh_u32_e32 v22, v10
	v_min_u32_e32 v24, 32, v22
	v_subrev_u32_e32 v22, 28, v24
	v_lshlrev_b64 v[22:23], v22, v[6:7]
	v_lshrrev_b32_e32 v21, 3, v7
	v_sub_u32_e32 v23, 29, v24
	v_and_b32_e32 v22, 7, v22
	v_cmp_gt_u32_e32 vcc, 8, v7
	v_cndmask_b32_e32 v7, v21, v23, vcc
	v_cndmask_b32_e32 v10, v10, v22, vcc
	v_lshlrev_b32_e32 v6, 24, v6
	v_bfrev_b32_e32 v21, 60
	v_lshlrev_b32_e32 v10, 20, v10
	v_and_b32_e32 v6, 0x80000000, v6
	v_lshl_add_u32 v7, v7, 23, v21
	v_or3_b32 v10, v6, v7, v10
.LBB447_644:
	s_or_b64 exec, exec, s[8:9]
.LBB447_645:
	s_or_b64 exec, exec, s[6:7]
.LBB447_646:
	s_or_b64 exec, exec, s[4:5]
	v_cvt_pkrtz_f16_f32 v6, v16, v17
	v_cvt_pkrtz_f16_f32 v7, v13, v18
	;; [unrolled: 1-line block ×4, first 2 shown]
	v_mfma_f32_4x4x4f16 a[0:3], v[14:15], v[6:7], a[0:3] cbsz:4 abid:8
	v_cmp_ne_u16_sdwa s[6:7], v8, v12 src0_sel:BYTE_0 src1_sel:DWORD
	v_mfma_f32_4x4x4f16 a[0:3], v[14:15], v[16:17], a[0:3] cbsz:4 abid:9
	s_and_saveexec_b64 s[4:5], s[6:7]
	s_cbranch_execz .LBB447_652
; %bb.647:
	s_movk_i32 s3, 0x80
	v_cmp_ne_u16_sdwa s[8:9], v8, s3 src0_sel:BYTE_0 src1_sel:DWORD
	v_bfrev_b32_e32 v12, 1
	s_and_saveexec_b64 s[6:7], s[8:9]
	s_cbranch_execz .LBB447_651
; %bb.648:
	s_movk_i32 s3, 0x7f
	v_and_b32_e32 v6, 0x7f, v8
	v_cmp_ne_u32_e32 vcc, s3, v6
	v_mov_b32_e32 v12, 0x7f800001
	s_and_saveexec_b64 s[8:9], vcc
	s_cbranch_execz .LBB447_650
; %bb.649:
	v_and_b32_e32 v7, 7, v8
	v_ffbh_u32_e32 v7, v7
	v_min_u32_e32 v7, 32, v7
	v_subrev_u32_e32 v11, 28, v7
	v_cmp_gt_u32_e32 vcc, 8, v6
	v_lshrrev_b32_e32 v10, 3, v6
	v_sub_u32_e32 v7, 29, v7
	v_cndmask_b32_e32 v6, 0, v11, vcc
	v_cndmask_b32_e32 v10, v10, v7, vcc
	v_lshlrev_b64 v[6:7], v6, v[8:9]
	v_lshlrev_b32_e32 v6, 20, v6
	v_lshlrev_b32_e32 v7, 24, v8
	v_bfrev_b32_e32 v11, 60
	v_and_b32_e32 v6, 0x700000, v6
	v_and_b32_e32 v7, 0x80000000, v7
	v_lshl_add_u32 v10, v10, 23, v11
	v_or3_b32 v12, v7, v10, v6
.LBB447_650:
	s_or_b64 exec, exec, s[8:9]
.LBB447_651:
	s_or_b64 exec, exec, s[6:7]
.LBB447_652:
	s_or_b64 exec, exec, s[4:5]
	v_lshrrev_b16_e32 v6, 8, v8
	v_cmp_ne_u16_e32 vcc, 0, v6
	v_mov_b32_e32 v11, 0
	v_mov_b32_e32 v13, 0
	s_and_saveexec_b64 s[4:5], vcc
	s_cbranch_execz .LBB447_658
; %bb.653:
	s_movk_i32 s3, 0x80
	v_cmp_ne_u16_e32 vcc, s3, v6
	v_bfrev_b32_e32 v13, 1
	s_and_saveexec_b64 s[6:7], vcc
	s_cbranch_execz .LBB447_657
; %bb.654:
	s_movk_i32 s3, 0x7f
	v_and_b32_e32 v7, 0x7f, v6
	v_cmp_ne_u32_e32 vcc, s3, v7
	v_mov_b32_e32 v13, 0x7f800001
	s_and_saveexec_b64 s[8:9], vcc
	s_cbranch_execz .LBB447_656
; %bb.655:
	v_and_b32_e32 v10, 7, v6
	v_ffbh_u32_e32 v16, v10
	v_min_u32_e32 v18, 32, v16
	v_subrev_u32_e32 v16, 28, v18
	v_lshlrev_b64 v[16:17], v16, v[6:7]
	v_lshrrev_b32_e32 v13, 3, v7
	v_sub_u32_e32 v6, 29, v18
	v_and_b32_e32 v16, 7, v16
	v_cmp_gt_u32_e32 vcc, 8, v7
	v_cndmask_b32_e32 v6, v13, v6, vcc
	v_cndmask_b32_e32 v7, v10, v16, vcc
	v_lshlrev_b32_e32 v10, 16, v8
	v_bfrev_b32_e32 v13, 60
	v_lshlrev_b32_e32 v7, 20, v7
	v_and_b32_e32 v10, 0x80000000, v10
	v_lshl_add_u32 v6, v6, 23, v13
	v_or3_b32 v13, v10, v6, v7
.LBB447_656:
	s_or_b64 exec, exec, s[8:9]
.LBB447_657:
	s_or_b64 exec, exec, s[6:7]
.LBB447_658:
	s_or_b64 exec, exec, s[4:5]
	s_movk_i32 s3, 0xff
	v_and_b32_sdwa v7, v8, s3 dst_sel:DWORD dst_unused:UNUSED_PAD src0_sel:WORD_1 src1_sel:DWORD
	v_lshrrev_b32_e32 v6, 16, v8
	v_cmp_ne_u16_e32 vcc, 0, v7
	s_and_saveexec_b64 s[4:5], vcc
	s_cbranch_execz .LBB447_664
; %bb.659:
	s_movk_i32 s3, 0x80
	v_cmp_ne_u16_e32 vcc, s3, v7
	v_bfrev_b32_e32 v11, 1
	s_and_saveexec_b64 s[6:7], vcc
	s_cbranch_execz .LBB447_663
; %bb.660:
	v_bfe_u32 v7, v8, 16, 7
	s_movk_i32 s3, 0x7f
	v_cmp_ne_u32_e32 vcc, s3, v7
	v_mov_b32_e32 v11, 0x7f800001
	s_and_saveexec_b64 s[8:9], vcc
	s_cbranch_execz .LBB447_662
; %bb.661:
	v_and_b32_e32 v16, 7, v6
	v_ffbh_u32_e32 v10, v16
	v_min_u32_e32 v18, 32, v10
	v_subrev_u32_e32 v10, 28, v18
	v_lshlrev_b64 v[10:11], v10, v[6:7]
	v_and_b32_e32 v10, 7, v10
	v_cmp_gt_u32_e32 vcc, 8, v7
	v_lshrrev_b32_e32 v17, 3, v7
	v_sub_u32_e32 v6, 29, v18
	v_cndmask_b32_e32 v7, v16, v10, vcc
	v_mov_b32_e32 v10, 24
	v_cndmask_b32_e32 v6, v17, v6, vcc
	v_lshlrev_b32_sdwa v10, v10, v8 dst_sel:DWORD dst_unused:UNUSED_PAD src0_sel:DWORD src1_sel:WORD_1
	v_bfrev_b32_e32 v11, 60
	v_lshlrev_b32_e32 v7, 20, v7
	v_and_b32_e32 v10, 0x80000000, v10
	v_lshl_add_u32 v6, v6, 23, v11
	v_or3_b32 v11, v10, v6, v7
.LBB447_662:
	s_or_b64 exec, exec, s[8:9]
.LBB447_663:
	s_or_b64 exec, exec, s[6:7]
.LBB447_664:
	s_or_b64 exec, exec, s[4:5]
	s_mov_b32 s3, 0xffffff
	v_cmp_lt_u32_e32 vcc, s3, v8
	v_mov_b32_e32 v7, 0
	v_mov_b32_e32 v16, 0
	s_and_saveexec_b64 s[4:5], vcc
	s_cbranch_execz .LBB447_670
; %bb.665:
	v_lshrrev_b32_e32 v6, 24, v8
	s_movk_i32 s3, 0x80
	v_cmp_ne_u32_e32 vcc, s3, v6
	v_bfrev_b32_e32 v16, 1
	s_and_saveexec_b64 s[6:7], vcc
	s_cbranch_execz .LBB447_669
; %bb.666:
	v_bfe_u32 v10, v8, 24, 7
	s_movk_i32 s3, 0x7f
	v_cmp_ne_u32_e32 vcc, s3, v10
	v_mov_b32_e32 v16, 0x7f800001
	s_and_saveexec_b64 s[8:9], vcc
	s_cbranch_execz .LBB447_668
; %bb.667:
	v_and_b32_e32 v18, 7, v6
	v_ffbh_u32_e32 v16, v18
	v_min_u32_e32 v20, 32, v16
	v_subrev_u32_e32 v16, 28, v20
	v_lshlrev_b64 v[16:17], v16, v[6:7]
	v_lshrrev_b32_e32 v19, 3, v10
	v_sub_u32_e32 v17, 29, v20
	v_and_b32_e32 v16, 7, v16
	v_cmp_gt_u32_e32 vcc, 8, v10
	v_cndmask_b32_e32 v10, v19, v17, vcc
	v_cndmask_b32_e32 v16, v18, v16, vcc
	v_lshlrev_b32_e32 v6, 24, v6
	v_bfrev_b32_e32 v17, 60
	v_lshlrev_b32_e32 v16, 20, v16
	v_and_b32_e32 v6, 0x80000000, v6
	v_lshl_add_u32 v10, v10, 23, v17
	v_or3_b32 v16, v6, v10, v16
.LBB447_668:
	s_or_b64 exec, exec, s[8:9]
.LBB447_669:
	s_or_b64 exec, exec, s[6:7]
.LBB447_670:
	s_or_b64 exec, exec, s[4:5]
	v_mov_b32_e32 v6, v9
	v_cmp_ne_u16_sdwa s[6:7], v9, v7 src0_sel:BYTE_0 src1_sel:DWORD
	s_and_saveexec_b64 s[4:5], s[6:7]
	s_cbranch_execz .LBB447_676
; %bb.671:
	s_movk_i32 s3, 0x80
	v_cmp_ne_u16_sdwa s[8:9], v9, s3 src0_sel:BYTE_0 src1_sel:DWORD
	v_bfrev_b32_e32 v10, 1
	s_and_saveexec_b64 s[6:7], s[8:9]
	s_cbranch_execz .LBB447_675
; %bb.672:
	s_movk_i32 s3, 0x7f
	v_and_b32_e32 v17, 0x7f, v9
	v_cmp_ne_u32_e32 vcc, s3, v17
	v_mov_b32_e32 v10, 0x7f800001
	s_and_saveexec_b64 s[8:9], vcc
	s_cbranch_execz .LBB447_674
; %bb.673:
	v_and_b32_e32 v10, 7, v9
	v_ffbh_u32_e32 v10, v10
	v_min_u32_e32 v10, 32, v10
	v_subrev_u32_e32 v19, 28, v10
	v_cmp_gt_u32_e32 vcc, 8, v17
	v_lshrrev_b32_e32 v18, 3, v17
	v_sub_u32_e32 v10, 29, v10
	v_cndmask_b32_e32 v17, 0, v19, vcc
	v_cndmask_b32_e32 v10, v18, v10, vcc
	v_lshlrev_b64 v[18:19], v17, v[6:7]
	v_lshlrev_b32_e32 v7, 20, v18
	v_lshlrev_b32_e32 v17, 24, v6
	v_bfrev_b32_e32 v18, 60
	v_and_b32_e32 v7, 0x700000, v7
	v_and_b32_e32 v17, 0x80000000, v17
	v_lshl_add_u32 v10, v10, 23, v18
	v_or3_b32 v10, v17, v10, v7
.LBB447_674:
	s_or_b64 exec, exec, s[8:9]
.LBB447_675:
	s_or_b64 exec, exec, s[6:7]
	v_mov_b32_e32 v7, v10
.LBB447_676:
	s_or_b64 exec, exec, s[4:5]
	v_lshrrev_b16_e32 v10, 8, v6
	v_cmp_ne_u16_e32 vcc, 0, v10
	v_mov_b32_e32 v17, 0
	v_mov_b32_e32 v18, 0
	s_and_saveexec_b64 s[4:5], vcc
	s_cbranch_execz .LBB447_682
; %bb.677:
	s_movk_i32 s3, 0x80
	v_cmp_ne_u16_e32 vcc, s3, v10
	v_bfrev_b32_e32 v18, 1
	s_and_saveexec_b64 s[6:7], vcc
	s_cbranch_execz .LBB447_681
; %bb.678:
	s_movk_i32 s3, 0x7f
	v_and_b32_e32 v19, 0x7f, v10
	v_cmp_ne_u32_e32 vcc, s3, v19
	v_mov_b32_e32 v18, 0x7f800001
	s_and_saveexec_b64 s[8:9], vcc
	s_cbranch_execz .LBB447_680
; %bb.679:
	v_and_b32_e32 v18, 7, v10
	v_ffbh_u32_e32 v20, v18
	v_min_u32_e32 v23, 32, v20
	v_subrev_u32_e32 v20, 28, v23
	v_lshlrev_b64 v[20:21], v20, v[10:11]
	v_lshrrev_b32_e32 v22, 3, v19
	v_sub_u32_e32 v10, 29, v23
	v_and_b32_e32 v20, 7, v20
	v_cmp_gt_u32_e32 vcc, 8, v19
	v_cndmask_b32_e32 v10, v22, v10, vcc
	v_cndmask_b32_e32 v18, v18, v20, vcc
	v_lshlrev_b32_e32 v6, 16, v6
	v_bfrev_b32_e32 v19, 60
	v_lshlrev_b32_e32 v18, 20, v18
	v_and_b32_e32 v6, 0x80000000, v6
	v_lshl_add_u32 v10, v10, 23, v19
	v_or3_b32 v18, v6, v10, v18
.LBB447_680:
	s_or_b64 exec, exec, s[8:9]
.LBB447_681:
	s_or_b64 exec, exec, s[6:7]
.LBB447_682:
	s_or_b64 exec, exec, s[4:5]
	s_movk_i32 s3, 0xff
	v_and_b32_sdwa v10, v9, s3 dst_sel:DWORD dst_unused:UNUSED_PAD src0_sel:WORD_1 src1_sel:DWORD
	v_lshrrev_b32_e32 v6, 16, v9
	v_cmp_ne_u16_e32 vcc, 0, v10
	s_and_saveexec_b64 s[4:5], vcc
	s_cbranch_execz .LBB447_688
; %bb.683:
	s_movk_i32 s3, 0x80
	v_cmp_ne_u16_e32 vcc, s3, v10
	v_bfrev_b32_e32 v17, 1
	s_and_saveexec_b64 s[6:7], vcc
	s_cbranch_execz .LBB447_687
; %bb.684:
	v_bfe_u32 v10, v9, 16, 7
	s_movk_i32 s3, 0x7f
	v_cmp_ne_u32_e32 vcc, s3, v10
	v_mov_b32_e32 v17, 0x7f800001
	s_and_saveexec_b64 s[8:9], vcc
	s_cbranch_execz .LBB447_686
; %bb.685:
	v_and_b32_e32 v17, 7, v6
	v_ffbh_u32_e32 v20, v17
	v_min_u32_e32 v22, 32, v20
	v_subrev_u32_e32 v20, 28, v22
	v_lshlrev_b64 v[20:21], v20, v[6:7]
	v_and_b32_e32 v20, 7, v20
	v_cmp_gt_u32_e32 vcc, 8, v10
	v_lshrrev_b32_e32 v19, 3, v10
	v_sub_u32_e32 v6, 29, v22
	v_cndmask_b32_e32 v10, v17, v20, vcc
	v_mov_b32_e32 v17, 24
	v_cndmask_b32_e32 v6, v19, v6, vcc
	v_lshlrev_b32_sdwa v17, v17, v9 dst_sel:DWORD dst_unused:UNUSED_PAD src0_sel:DWORD src1_sel:WORD_1
	v_bfrev_b32_e32 v19, 60
	v_lshlrev_b32_e32 v10, 20, v10
	v_and_b32_e32 v17, 0x80000000, v17
	v_lshl_add_u32 v6, v6, 23, v19
	v_or3_b32 v17, v17, v6, v10
.LBB447_686:
	s_or_b64 exec, exec, s[8:9]
.LBB447_687:
	s_or_b64 exec, exec, s[6:7]
.LBB447_688:
	s_or_b64 exec, exec, s[4:5]
	s_mov_b32 s4, -1
	s_mov_b32 s5, 0xffffff
	v_cmp_lt_u64_e32 vcc, s[4:5], v[8:9]
	v_mov_b32_e32 v10, 0
	v_mov_b32_e32 v8, 0
	s_and_saveexec_b64 s[4:5], vcc
	s_cbranch_execz .LBB447_694
; %bb.689:
	v_lshrrev_b32_e32 v6, 24, v9
	s_movk_i32 s3, 0x80
	v_cmp_ne_u32_e32 vcc, s3, v6
	v_bfrev_b32_e32 v8, 1
	s_and_saveexec_b64 s[6:7], vcc
	s_cbranch_execz .LBB447_693
; %bb.690:
	v_bfe_u32 v9, v9, 24, 7
	s_movk_i32 s3, 0x7f
	v_cmp_ne_u32_e32 vcc, s3, v9
	v_mov_b32_e32 v8, 0x7f800001
	s_and_saveexec_b64 s[8:9], vcc
	s_cbranch_execz .LBB447_692
; %bb.691:
	v_and_b32_e32 v8, 7, v6
	v_ffbh_u32_e32 v20, v8
	v_min_u32_e32 v22, 32, v20
	v_subrev_u32_e32 v20, 28, v22
	v_lshlrev_b64 v[20:21], v20, v[6:7]
	v_lshrrev_b32_e32 v19, 3, v9
	v_sub_u32_e32 v21, 29, v22
	v_and_b32_e32 v20, 7, v20
	v_cmp_gt_u32_e32 vcc, 8, v9
	v_cndmask_b32_e32 v9, v19, v21, vcc
	v_cndmask_b32_e32 v8, v8, v20, vcc
	v_lshlrev_b32_e32 v6, 24, v6
	v_bfrev_b32_e32 v19, 60
	v_lshlrev_b32_e32 v8, 20, v8
	v_and_b32_e32 v6, 0x80000000, v6
	v_lshl_add_u32 v9, v9, 23, v19
	v_or3_b32 v8, v6, v9, v8
.LBB447_692:
	s_or_b64 exec, exec, s[8:9]
.LBB447_693:
	s_or_b64 exec, exec, s[6:7]
.LBB447_694:
	s_or_b64 exec, exec, s[4:5]
	v_cvt_pkrtz_f16_f32 v12, v12, v13
	v_cvt_pkrtz_f16_f32 v13, v11, v16
	;; [unrolled: 1-line block ×4, first 2 shown]
	v_mfma_f32_4x4x4f16 a[0:3], v[14:15], v[12:13], a[0:3] cbsz:4 abid:10
	v_cmp_ne_u16_sdwa s[6:7], v2, v10 src0_sel:BYTE_0 src1_sel:DWORD
	v_mfma_f32_4x4x4f16 a[0:3], v[14:15], v[6:7], a[0:3] cbsz:4 abid:11
	s_and_saveexec_b64 s[4:5], s[6:7]
	s_cbranch_execz .LBB447_700
; %bb.695:
	s_movk_i32 s3, 0x80
	v_cmp_ne_u16_sdwa s[8:9], v2, s3 src0_sel:BYTE_0 src1_sel:DWORD
	v_bfrev_b32_e32 v10, 1
	s_and_saveexec_b64 s[6:7], s[8:9]
	s_cbranch_execz .LBB447_699
; %bb.696:
	s_movk_i32 s3, 0x7f
	v_and_b32_e32 v6, 0x7f, v2
	v_cmp_ne_u32_e32 vcc, s3, v6
	v_mov_b32_e32 v10, 0x7f800001
	s_and_saveexec_b64 s[8:9], vcc
	s_cbranch_execz .LBB447_698
; %bb.697:
	v_and_b32_e32 v7, 7, v2
	v_ffbh_u32_e32 v7, v7
	v_min_u32_e32 v7, 32, v7
	v_subrev_u32_e32 v9, 28, v7
	v_cmp_gt_u32_e32 vcc, 8, v6
	v_lshrrev_b32_e32 v8, 3, v6
	v_sub_u32_e32 v7, 29, v7
	v_cndmask_b32_e32 v6, 0, v9, vcc
	v_cndmask_b32_e32 v8, v8, v7, vcc
	v_lshlrev_b64 v[6:7], v6, v[2:3]
	v_lshlrev_b32_e32 v6, 20, v6
	v_lshlrev_b32_e32 v7, 24, v2
	v_bfrev_b32_e32 v9, 60
	v_and_b32_e32 v6, 0x700000, v6
	v_and_b32_e32 v7, 0x80000000, v7
	v_lshl_add_u32 v8, v8, 23, v9
	v_or3_b32 v10, v7, v8, v6
.LBB447_698:
	s_or_b64 exec, exec, s[8:9]
.LBB447_699:
	s_or_b64 exec, exec, s[6:7]
.LBB447_700:
	s_or_b64 exec, exec, s[4:5]
	v_lshrrev_b16_e32 v6, 8, v2
	v_cmp_ne_u16_e32 vcc, 0, v6
	v_mov_b32_e32 v9, 0
	v_mov_b32_e32 v11, 0
	s_and_saveexec_b64 s[4:5], vcc
	s_cbranch_execz .LBB447_706
; %bb.701:
	s_movk_i32 s3, 0x80
	v_cmp_ne_u16_e32 vcc, s3, v6
	v_bfrev_b32_e32 v11, 1
	s_and_saveexec_b64 s[6:7], vcc
	s_cbranch_execz .LBB447_705
; %bb.702:
	s_movk_i32 s3, 0x7f
	v_and_b32_e32 v7, 0x7f, v6
	v_cmp_ne_u32_e32 vcc, s3, v7
	v_mov_b32_e32 v11, 0x7f800001
	s_and_saveexec_b64 s[8:9], vcc
	s_cbranch_execz .LBB447_704
; %bb.703:
	v_and_b32_e32 v8, 7, v6
	v_ffbh_u32_e32 v12, v8
	v_min_u32_e32 v16, 32, v12
	v_subrev_u32_e32 v12, 28, v16
	v_lshlrev_b64 v[12:13], v12, v[6:7]
	v_lshrrev_b32_e32 v11, 3, v7
	v_sub_u32_e32 v6, 29, v16
	v_and_b32_e32 v12, 7, v12
	v_cmp_gt_u32_e32 vcc, 8, v7
	v_cndmask_b32_e32 v6, v11, v6, vcc
	v_cndmask_b32_e32 v7, v8, v12, vcc
	v_lshlrev_b32_e32 v8, 16, v2
	v_bfrev_b32_e32 v11, 60
	v_lshlrev_b32_e32 v7, 20, v7
	v_and_b32_e32 v8, 0x80000000, v8
	v_lshl_add_u32 v6, v6, 23, v11
	v_or3_b32 v11, v8, v6, v7
.LBB447_704:
	s_or_b64 exec, exec, s[8:9]
.LBB447_705:
	s_or_b64 exec, exec, s[6:7]
.LBB447_706:
	s_or_b64 exec, exec, s[4:5]
	s_movk_i32 s3, 0xff
	v_and_b32_sdwa v7, v2, s3 dst_sel:DWORD dst_unused:UNUSED_PAD src0_sel:WORD_1 src1_sel:DWORD
	v_lshrrev_b32_e32 v6, 16, v2
	v_cmp_ne_u16_e32 vcc, 0, v7
	s_and_saveexec_b64 s[4:5], vcc
	s_cbranch_execz .LBB447_712
; %bb.707:
	s_movk_i32 s3, 0x80
	v_cmp_ne_u16_e32 vcc, s3, v7
	v_bfrev_b32_e32 v9, 1
	s_and_saveexec_b64 s[6:7], vcc
	s_cbranch_execz .LBB447_711
; %bb.708:
	v_bfe_u32 v7, v2, 16, 7
	s_movk_i32 s3, 0x7f
	v_cmp_ne_u32_e32 vcc, s3, v7
	v_mov_b32_e32 v9, 0x7f800001
	s_and_saveexec_b64 s[8:9], vcc
	s_cbranch_execz .LBB447_710
; %bb.709:
	v_and_b32_e32 v12, 7, v6
	v_ffbh_u32_e32 v8, v12
	v_min_u32_e32 v16, 32, v8
	v_subrev_u32_e32 v8, 28, v16
	v_lshlrev_b64 v[8:9], v8, v[6:7]
	v_and_b32_e32 v8, 7, v8
	v_cmp_gt_u32_e32 vcc, 8, v7
	v_lshrrev_b32_e32 v13, 3, v7
	v_sub_u32_e32 v6, 29, v16
	v_cndmask_b32_e32 v7, v12, v8, vcc
	v_mov_b32_e32 v8, 24
	v_cndmask_b32_e32 v6, v13, v6, vcc
	v_lshlrev_b32_sdwa v8, v8, v2 dst_sel:DWORD dst_unused:UNUSED_PAD src0_sel:DWORD src1_sel:WORD_1
	v_bfrev_b32_e32 v9, 60
	v_lshlrev_b32_e32 v7, 20, v7
	v_and_b32_e32 v8, 0x80000000, v8
	v_lshl_add_u32 v6, v6, 23, v9
	v_or3_b32 v9, v8, v6, v7
.LBB447_710:
	s_or_b64 exec, exec, s[8:9]
.LBB447_711:
	s_or_b64 exec, exec, s[6:7]
.LBB447_712:
	s_or_b64 exec, exec, s[4:5]
	s_mov_b32 s3, 0xffffff
	v_cmp_lt_u32_e32 vcc, s3, v2
	v_mov_b32_e32 v7, 0
	v_mov_b32_e32 v12, 0
	s_and_saveexec_b64 s[4:5], vcc
	s_cbranch_execz .LBB447_718
; %bb.713:
	v_lshrrev_b32_e32 v6, 24, v2
	s_movk_i32 s3, 0x80
	v_cmp_ne_u32_e32 vcc, s3, v6
	v_bfrev_b32_e32 v12, 1
	s_and_saveexec_b64 s[6:7], vcc
	s_cbranch_execz .LBB447_717
; %bb.714:
	v_bfe_u32 v8, v2, 24, 7
	s_movk_i32 s3, 0x7f
	v_cmp_ne_u32_e32 vcc, s3, v8
	v_mov_b32_e32 v12, 0x7f800001
	s_and_saveexec_b64 s[8:9], vcc
	s_cbranch_execz .LBB447_716
; %bb.715:
	v_and_b32_e32 v16, 7, v6
	v_ffbh_u32_e32 v12, v16
	v_min_u32_e32 v18, 32, v12
	v_subrev_u32_e32 v12, 28, v18
	v_lshlrev_b64 v[12:13], v12, v[6:7]
	v_lshrrev_b32_e32 v17, 3, v8
	v_sub_u32_e32 v13, 29, v18
	v_and_b32_e32 v12, 7, v12
	v_cmp_gt_u32_e32 vcc, 8, v8
	v_cndmask_b32_e32 v8, v17, v13, vcc
	v_cndmask_b32_e32 v12, v16, v12, vcc
	v_lshlrev_b32_e32 v6, 24, v6
	v_bfrev_b32_e32 v13, 60
	v_lshlrev_b32_e32 v12, 20, v12
	v_and_b32_e32 v6, 0x80000000, v6
	v_lshl_add_u32 v8, v8, 23, v13
	v_or3_b32 v12, v6, v8, v12
.LBB447_716:
	s_or_b64 exec, exec, s[8:9]
.LBB447_717:
	s_or_b64 exec, exec, s[6:7]
.LBB447_718:
	s_or_b64 exec, exec, s[4:5]
	v_mov_b32_e32 v6, v3
	v_cmp_ne_u16_sdwa s[6:7], v3, v7 src0_sel:BYTE_0 src1_sel:DWORD
	s_and_saveexec_b64 s[4:5], s[6:7]
	s_cbranch_execz .LBB447_724
; %bb.719:
	s_movk_i32 s3, 0x80
	v_cmp_ne_u16_sdwa s[8:9], v3, s3 src0_sel:BYTE_0 src1_sel:DWORD
	v_bfrev_b32_e32 v8, 1
	s_and_saveexec_b64 s[6:7], s[8:9]
	s_cbranch_execz .LBB447_723
; %bb.720:
	s_movk_i32 s3, 0x7f
	v_and_b32_e32 v13, 0x7f, v3
	v_cmp_ne_u32_e32 vcc, s3, v13
	v_mov_b32_e32 v8, 0x7f800001
	s_and_saveexec_b64 s[8:9], vcc
	s_cbranch_execz .LBB447_722
; %bb.721:
	v_and_b32_e32 v8, 7, v3
	v_ffbh_u32_e32 v8, v8
	v_min_u32_e32 v8, 32, v8
	v_subrev_u32_e32 v17, 28, v8
	v_cmp_gt_u32_e32 vcc, 8, v13
	v_lshrrev_b32_e32 v16, 3, v13
	v_sub_u32_e32 v8, 29, v8
	v_cndmask_b32_e32 v13, 0, v17, vcc
	v_cndmask_b32_e32 v8, v16, v8, vcc
	v_lshlrev_b64 v[16:17], v13, v[6:7]
	v_lshlrev_b32_e32 v7, 20, v16
	v_lshlrev_b32_e32 v13, 24, v6
	v_bfrev_b32_e32 v16, 60
	v_and_b32_e32 v7, 0x700000, v7
	v_and_b32_e32 v13, 0x80000000, v13
	v_lshl_add_u32 v8, v8, 23, v16
	v_or3_b32 v8, v13, v8, v7
.LBB447_722:
	s_or_b64 exec, exec, s[8:9]
.LBB447_723:
	s_or_b64 exec, exec, s[6:7]
	v_mov_b32_e32 v7, v8
.LBB447_724:
	s_or_b64 exec, exec, s[4:5]
	v_lshrrev_b16_e32 v8, 8, v6
	v_cmp_ne_u16_e32 vcc, 0, v8
	v_mov_b32_e32 v13, 0
	v_mov_b32_e32 v16, 0
	s_and_saveexec_b64 s[4:5], vcc
	s_cbranch_execz .LBB447_730
; %bb.725:
	s_movk_i32 s3, 0x80
	v_cmp_ne_u16_e32 vcc, s3, v8
	v_bfrev_b32_e32 v16, 1
	s_and_saveexec_b64 s[6:7], vcc
	s_cbranch_execz .LBB447_729
; %bb.726:
	s_movk_i32 s3, 0x7f
	v_and_b32_e32 v17, 0x7f, v8
	v_cmp_ne_u32_e32 vcc, s3, v17
	v_mov_b32_e32 v16, 0x7f800001
	s_and_saveexec_b64 s[8:9], vcc
	s_cbranch_execz .LBB447_728
; %bb.727:
	v_and_b32_e32 v16, 7, v8
	v_ffbh_u32_e32 v18, v16
	v_min_u32_e32 v21, 32, v18
	v_subrev_u32_e32 v18, 28, v21
	v_lshlrev_b64 v[18:19], v18, v[8:9]
	v_lshrrev_b32_e32 v20, 3, v17
	v_sub_u32_e32 v8, 29, v21
	v_and_b32_e32 v18, 7, v18
	v_cmp_gt_u32_e32 vcc, 8, v17
	v_cndmask_b32_e32 v8, v20, v8, vcc
	v_cndmask_b32_e32 v16, v16, v18, vcc
	v_lshlrev_b32_e32 v6, 16, v6
	v_bfrev_b32_e32 v17, 60
	v_lshlrev_b32_e32 v16, 20, v16
	v_and_b32_e32 v6, 0x80000000, v6
	v_lshl_add_u32 v8, v8, 23, v17
	v_or3_b32 v16, v6, v8, v16
.LBB447_728:
	s_or_b64 exec, exec, s[8:9]
.LBB447_729:
	s_or_b64 exec, exec, s[6:7]
.LBB447_730:
	s_or_b64 exec, exec, s[4:5]
	s_movk_i32 s3, 0xff
	v_and_b32_sdwa v8, v3, s3 dst_sel:DWORD dst_unused:UNUSED_PAD src0_sel:WORD_1 src1_sel:DWORD
	v_lshrrev_b32_e32 v6, 16, v3
	v_cmp_ne_u16_e32 vcc, 0, v8
	s_and_saveexec_b64 s[4:5], vcc
	s_cbranch_execz .LBB447_736
; %bb.731:
	s_movk_i32 s3, 0x80
	v_cmp_ne_u16_e32 vcc, s3, v8
	v_bfrev_b32_e32 v13, 1
	s_and_saveexec_b64 s[6:7], vcc
	s_cbranch_execz .LBB447_735
; %bb.732:
	v_bfe_u32 v8, v3, 16, 7
	s_movk_i32 s3, 0x7f
	v_cmp_ne_u32_e32 vcc, s3, v8
	v_mov_b32_e32 v13, 0x7f800001
	s_and_saveexec_b64 s[8:9], vcc
	s_cbranch_execz .LBB447_734
; %bb.733:
	v_and_b32_e32 v13, 7, v6
	v_ffbh_u32_e32 v18, v13
	v_min_u32_e32 v20, 32, v18
	v_subrev_u32_e32 v18, 28, v20
	v_lshlrev_b64 v[18:19], v18, v[6:7]
	v_and_b32_e32 v18, 7, v18
	v_cmp_gt_u32_e32 vcc, 8, v8
	v_lshrrev_b32_e32 v17, 3, v8
	v_sub_u32_e32 v6, 29, v20
	v_cndmask_b32_e32 v8, v13, v18, vcc
	v_mov_b32_e32 v13, 24
	v_cndmask_b32_e32 v6, v17, v6, vcc
	v_lshlrev_b32_sdwa v13, v13, v3 dst_sel:DWORD dst_unused:UNUSED_PAD src0_sel:DWORD src1_sel:WORD_1
	v_bfrev_b32_e32 v17, 60
	v_lshlrev_b32_e32 v8, 20, v8
	v_and_b32_e32 v13, 0x80000000, v13
	v_lshl_add_u32 v6, v6, 23, v17
	v_or3_b32 v13, v13, v6, v8
.LBB447_734:
	s_or_b64 exec, exec, s[8:9]
.LBB447_735:
	s_or_b64 exec, exec, s[6:7]
.LBB447_736:
	s_or_b64 exec, exec, s[4:5]
	s_mov_b32 s4, -1
	s_mov_b32 s5, 0xffffff
	v_cmp_lt_u64_e32 vcc, s[4:5], v[2:3]
	v_mov_b32_e32 v8, 0
	v_mov_b32_e32 v6, 0
	s_and_saveexec_b64 s[4:5], vcc
	s_cbranch_execz .LBB447_742
; %bb.737:
	v_lshrrev_b32_e32 v2, 24, v3
	s_movk_i32 s3, 0x80
	v_cmp_ne_u32_e32 vcc, s3, v2
	v_bfrev_b32_e32 v6, 1
	s_and_saveexec_b64 s[6:7], vcc
	s_cbranch_execz .LBB447_741
; %bb.738:
	v_bfe_u32 v3, v3, 24, 7
	s_movk_i32 s3, 0x7f
	v_cmp_ne_u32_e32 vcc, s3, v3
	v_mov_b32_e32 v6, 0x7f800001
	s_and_saveexec_b64 s[8:9], vcc
	s_cbranch_execz .LBB447_740
; %bb.739:
	v_and_b32_e32 v6, 7, v2
	v_ffbh_u32_e32 v18, v6
	v_min_u32_e32 v20, 32, v18
	v_subrev_u32_e32 v18, 28, v20
	v_lshlrev_b64 v[18:19], v18, v[2:3]
	v_lshrrev_b32_e32 v17, 3, v3
	v_sub_u32_e32 v19, 29, v20
	v_and_b32_e32 v18, 7, v18
	v_cmp_gt_u32_e32 vcc, 8, v3
	v_cndmask_b32_e32 v3, v17, v19, vcc
	v_cndmask_b32_e32 v6, v6, v18, vcc
	v_lshlrev_b32_e32 v2, 24, v2
	v_bfrev_b32_e32 v17, 60
	v_lshlrev_b32_e32 v6, 20, v6
	v_and_b32_e32 v2, 0x80000000, v2
	v_lshl_add_u32 v3, v3, 23, v17
	v_or3_b32 v6, v2, v3, v6
.LBB447_740:
	s_or_b64 exec, exec, s[8:9]
.LBB447_741:
	s_or_b64 exec, exec, s[6:7]
.LBB447_742:
	s_or_b64 exec, exec, s[4:5]
	v_cvt_pkrtz_f16_f32 v2, v10, v11
	v_cvt_pkrtz_f16_f32 v3, v9, v12
	;; [unrolled: 1-line block ×4, first 2 shown]
	v_mfma_f32_4x4x4f16 a[0:3], v[14:15], v[2:3], a[0:3] cbsz:4 abid:12
	v_cmp_ne_u16_sdwa s[6:7], v4, v8 src0_sel:BYTE_0 src1_sel:DWORD
	v_mfma_f32_4x4x4f16 a[0:3], v[14:15], v[10:11], a[0:3] cbsz:4 abid:13
	s_and_saveexec_b64 s[4:5], s[6:7]
	s_cbranch_execz .LBB447_748
; %bb.743:
	s_movk_i32 s3, 0x80
	v_cmp_ne_u16_sdwa s[8:9], v4, s3 src0_sel:BYTE_0 src1_sel:DWORD
	v_bfrev_b32_e32 v8, 1
	s_and_saveexec_b64 s[6:7], s[8:9]
	s_cbranch_execz .LBB447_747
; %bb.744:
	s_movk_i32 s3, 0x7f
	v_and_b32_e32 v2, 0x7f, v4
	v_cmp_ne_u32_e32 vcc, s3, v2
	v_mov_b32_e32 v8, 0x7f800001
	s_and_saveexec_b64 s[8:9], vcc
	s_cbranch_execz .LBB447_746
; %bb.745:
	v_and_b32_e32 v3, 7, v4
	v_ffbh_u32_e32 v3, v3
	v_min_u32_e32 v3, 32, v3
	v_subrev_u32_e32 v7, 28, v3
	v_cmp_gt_u32_e32 vcc, 8, v2
	v_lshrrev_b32_e32 v6, 3, v2
	v_sub_u32_e32 v3, 29, v3
	v_cndmask_b32_e32 v2, 0, v7, vcc
	v_cndmask_b32_e32 v6, v6, v3, vcc
	v_lshlrev_b64 v[2:3], v2, v[4:5]
	v_lshlrev_b32_e32 v2, 20, v2
	v_lshlrev_b32_e32 v3, 24, v4
	v_bfrev_b32_e32 v7, 60
	v_and_b32_e32 v2, 0x700000, v2
	v_and_b32_e32 v3, 0x80000000, v3
	v_lshl_add_u32 v6, v6, 23, v7
	v_or3_b32 v8, v3, v6, v2
.LBB447_746:
	s_or_b64 exec, exec, s[8:9]
.LBB447_747:
	s_or_b64 exec, exec, s[6:7]
.LBB447_748:
	s_or_b64 exec, exec, s[4:5]
	v_lshrrev_b16_e32 v2, 8, v4
	v_cmp_ne_u16_e32 vcc, 0, v2
	v_mov_b32_e32 v7, 0
	v_mov_b32_e32 v9, 0
	s_and_saveexec_b64 s[4:5], vcc
	s_cbranch_execz .LBB447_754
; %bb.749:
	s_movk_i32 s3, 0x80
	v_cmp_ne_u16_e32 vcc, s3, v2
	v_bfrev_b32_e32 v9, 1
	s_and_saveexec_b64 s[6:7], vcc
	s_cbranch_execz .LBB447_753
; %bb.750:
	s_movk_i32 s3, 0x7f
	v_and_b32_e32 v3, 0x7f, v2
	v_cmp_ne_u32_e32 vcc, s3, v3
	v_mov_b32_e32 v9, 0x7f800001
	s_and_saveexec_b64 s[8:9], vcc
	s_cbranch_execz .LBB447_752
; %bb.751:
	v_and_b32_e32 v6, 7, v2
	v_ffbh_u32_e32 v10, v6
	v_min_u32_e32 v12, 32, v10
	v_subrev_u32_e32 v10, 28, v12
	v_lshlrev_b64 v[10:11], v10, v[2:3]
	v_lshrrev_b32_e32 v9, 3, v3
	v_sub_u32_e32 v2, 29, v12
	v_and_b32_e32 v10, 7, v10
	v_cmp_gt_u32_e32 vcc, 8, v3
	v_cndmask_b32_e32 v2, v9, v2, vcc
	v_cndmask_b32_e32 v3, v6, v10, vcc
	v_lshlrev_b32_e32 v6, 16, v4
	v_bfrev_b32_e32 v9, 60
	v_lshlrev_b32_e32 v3, 20, v3
	v_and_b32_e32 v6, 0x80000000, v6
	v_lshl_add_u32 v2, v2, 23, v9
	v_or3_b32 v9, v6, v2, v3
.LBB447_752:
	s_or_b64 exec, exec, s[8:9]
.LBB447_753:
	s_or_b64 exec, exec, s[6:7]
.LBB447_754:
	s_or_b64 exec, exec, s[4:5]
	s_movk_i32 s3, 0xff
	v_and_b32_sdwa v3, v4, s3 dst_sel:DWORD dst_unused:UNUSED_PAD src0_sel:WORD_1 src1_sel:DWORD
	v_lshrrev_b32_e32 v2, 16, v4
	v_cmp_ne_u16_e32 vcc, 0, v3
	s_and_saveexec_b64 s[4:5], vcc
	s_cbranch_execz .LBB447_760
; %bb.755:
	s_movk_i32 s3, 0x80
	v_cmp_ne_u16_e32 vcc, s3, v3
	v_bfrev_b32_e32 v7, 1
	s_and_saveexec_b64 s[6:7], vcc
	s_cbranch_execz .LBB447_759
; %bb.756:
	v_bfe_u32 v3, v4, 16, 7
	s_movk_i32 s3, 0x7f
	v_cmp_ne_u32_e32 vcc, s3, v3
	v_mov_b32_e32 v7, 0x7f800001
	s_and_saveexec_b64 s[8:9], vcc
	s_cbranch_execz .LBB447_758
; %bb.757:
	v_and_b32_e32 v10, 7, v2
	v_ffbh_u32_e32 v6, v10
	v_min_u32_e32 v12, 32, v6
	v_subrev_u32_e32 v6, 28, v12
	v_lshlrev_b64 v[6:7], v6, v[2:3]
	v_and_b32_e32 v6, 7, v6
	v_cmp_gt_u32_e32 vcc, 8, v3
	v_lshrrev_b32_e32 v11, 3, v3
	v_sub_u32_e32 v2, 29, v12
	v_cndmask_b32_e32 v3, v10, v6, vcc
	v_mov_b32_e32 v6, 24
	v_cndmask_b32_e32 v2, v11, v2, vcc
	v_lshlrev_b32_sdwa v6, v6, v4 dst_sel:DWORD dst_unused:UNUSED_PAD src0_sel:DWORD src1_sel:WORD_1
	v_bfrev_b32_e32 v7, 60
	v_lshlrev_b32_e32 v3, 20, v3
	v_and_b32_e32 v6, 0x80000000, v6
	v_lshl_add_u32 v2, v2, 23, v7
	v_or3_b32 v7, v6, v2, v3
.LBB447_758:
	s_or_b64 exec, exec, s[8:9]
.LBB447_759:
	s_or_b64 exec, exec, s[6:7]
.LBB447_760:
	s_or_b64 exec, exec, s[4:5]
	s_mov_b32 s3, 0xffffff
	v_cmp_lt_u32_e32 vcc, s3, v4
	v_mov_b32_e32 v3, 0
	v_mov_b32_e32 v10, 0
	s_and_saveexec_b64 s[4:5], vcc
	s_cbranch_execz .LBB447_766
; %bb.761:
	v_lshrrev_b32_e32 v2, 24, v4
	s_movk_i32 s3, 0x80
	v_cmp_ne_u32_e32 vcc, s3, v2
	v_bfrev_b32_e32 v10, 1
	s_and_saveexec_b64 s[6:7], vcc
	s_cbranch_execz .LBB447_765
; %bb.762:
	v_bfe_u32 v6, v4, 24, 7
	s_movk_i32 s3, 0x7f
	v_cmp_ne_u32_e32 vcc, s3, v6
	v_mov_b32_e32 v10, 0x7f800001
	s_and_saveexec_b64 s[8:9], vcc
	s_cbranch_execz .LBB447_764
; %bb.763:
	v_and_b32_e32 v12, 7, v2
	v_ffbh_u32_e32 v10, v12
	v_min_u32_e32 v16, 32, v10
	v_subrev_u32_e32 v10, 28, v16
	v_lshlrev_b64 v[10:11], v10, v[2:3]
	v_lshrrev_b32_e32 v13, 3, v6
	v_sub_u32_e32 v11, 29, v16
	v_and_b32_e32 v10, 7, v10
	v_cmp_gt_u32_e32 vcc, 8, v6
	v_cndmask_b32_e32 v6, v13, v11, vcc
	v_cndmask_b32_e32 v10, v12, v10, vcc
	v_lshlrev_b32_e32 v2, 24, v2
	v_bfrev_b32_e32 v11, 60
	v_lshlrev_b32_e32 v10, 20, v10
	v_and_b32_e32 v2, 0x80000000, v2
	v_lshl_add_u32 v6, v6, 23, v11
	v_or3_b32 v10, v2, v6, v10
.LBB447_764:
	s_or_b64 exec, exec, s[8:9]
.LBB447_765:
	s_or_b64 exec, exec, s[6:7]
.LBB447_766:
	s_or_b64 exec, exec, s[4:5]
	v_mov_b32_e32 v2, v5
	v_cmp_ne_u16_sdwa s[6:7], v5, v3 src0_sel:BYTE_0 src1_sel:DWORD
	s_and_saveexec_b64 s[4:5], s[6:7]
	s_cbranch_execz .LBB447_772
; %bb.767:
	s_movk_i32 s3, 0x80
	v_cmp_ne_u16_sdwa s[8:9], v5, s3 src0_sel:BYTE_0 src1_sel:DWORD
	v_bfrev_b32_e32 v6, 1
	s_and_saveexec_b64 s[6:7], s[8:9]
	s_cbranch_execz .LBB447_771
; %bb.768:
	s_movk_i32 s3, 0x7f
	v_and_b32_e32 v11, 0x7f, v5
	v_cmp_ne_u32_e32 vcc, s3, v11
	v_mov_b32_e32 v6, 0x7f800001
	s_and_saveexec_b64 s[8:9], vcc
	s_cbranch_execz .LBB447_770
; %bb.769:
	v_and_b32_e32 v6, 7, v5
	v_ffbh_u32_e32 v6, v6
	v_min_u32_e32 v6, 32, v6
	v_subrev_u32_e32 v13, 28, v6
	v_cmp_gt_u32_e32 vcc, 8, v11
	v_lshrrev_b32_e32 v12, 3, v11
	v_sub_u32_e32 v6, 29, v6
	v_cndmask_b32_e32 v11, 0, v13, vcc
	v_cndmask_b32_e32 v6, v12, v6, vcc
	v_lshlrev_b64 v[12:13], v11, v[2:3]
	v_lshlrev_b32_e32 v3, 20, v12
	v_lshlrev_b32_e32 v11, 24, v2
	v_bfrev_b32_e32 v12, 60
	v_and_b32_e32 v3, 0x700000, v3
	v_and_b32_e32 v11, 0x80000000, v11
	v_lshl_add_u32 v6, v6, 23, v12
	v_or3_b32 v6, v11, v6, v3
.LBB447_770:
	s_or_b64 exec, exec, s[8:9]
.LBB447_771:
	s_or_b64 exec, exec, s[6:7]
	v_mov_b32_e32 v3, v6
.LBB447_772:
	s_or_b64 exec, exec, s[4:5]
	v_lshrrev_b16_e32 v6, 8, v2
	v_cmp_ne_u16_e32 vcc, 0, v6
	v_mov_b32_e32 v11, 0
	v_mov_b32_e32 v12, 0
	s_and_saveexec_b64 s[4:5], vcc
	s_cbranch_execz .LBB447_778
; %bb.773:
	s_movk_i32 s3, 0x80
	v_cmp_ne_u16_e32 vcc, s3, v6
	v_bfrev_b32_e32 v12, 1
	s_and_saveexec_b64 s[6:7], vcc
	s_cbranch_execz .LBB447_777
; %bb.774:
	s_movk_i32 s3, 0x7f
	v_and_b32_e32 v13, 0x7f, v6
	v_cmp_ne_u32_e32 vcc, s3, v13
	v_mov_b32_e32 v12, 0x7f800001
	s_and_saveexec_b64 s[8:9], vcc
	s_cbranch_execz .LBB447_776
; %bb.775:
	v_and_b32_e32 v12, 7, v6
	v_ffbh_u32_e32 v16, v12
	v_min_u32_e32 v19, 32, v16
	v_subrev_u32_e32 v16, 28, v19
	v_lshlrev_b64 v[16:17], v16, v[6:7]
	v_lshrrev_b32_e32 v18, 3, v13
	v_sub_u32_e32 v6, 29, v19
	v_and_b32_e32 v16, 7, v16
	v_cmp_gt_u32_e32 vcc, 8, v13
	v_cndmask_b32_e32 v6, v18, v6, vcc
	v_cndmask_b32_e32 v12, v12, v16, vcc
	v_lshlrev_b32_e32 v2, 16, v2
	v_bfrev_b32_e32 v13, 60
	v_lshlrev_b32_e32 v12, 20, v12
	v_and_b32_e32 v2, 0x80000000, v2
	v_lshl_add_u32 v6, v6, 23, v13
	v_or3_b32 v12, v2, v6, v12
.LBB447_776:
	s_or_b64 exec, exec, s[8:9]
.LBB447_777:
	s_or_b64 exec, exec, s[6:7]
.LBB447_778:
	s_or_b64 exec, exec, s[4:5]
	s_movk_i32 s3, 0xff
	v_and_b32_sdwa v6, v5, s3 dst_sel:DWORD dst_unused:UNUSED_PAD src0_sel:WORD_1 src1_sel:DWORD
	v_lshrrev_b32_e32 v2, 16, v5
	v_cmp_ne_u16_e32 vcc, 0, v6
	s_and_saveexec_b64 s[4:5], vcc
	s_cbranch_execz .LBB447_784
; %bb.779:
	s_movk_i32 s3, 0x80
	v_cmp_ne_u16_e32 vcc, s3, v6
	v_bfrev_b32_e32 v11, 1
	s_and_saveexec_b64 s[6:7], vcc
	s_cbranch_execz .LBB447_783
; %bb.780:
	v_bfe_u32 v6, v5, 16, 7
	s_movk_i32 s3, 0x7f
	v_cmp_ne_u32_e32 vcc, s3, v6
	v_mov_b32_e32 v11, 0x7f800001
	s_and_saveexec_b64 s[8:9], vcc
	s_cbranch_execz .LBB447_782
; %bb.781:
	v_and_b32_e32 v11, 7, v2
	v_ffbh_u32_e32 v16, v11
	v_min_u32_e32 v18, 32, v16
	v_subrev_u32_e32 v16, 28, v18
	v_lshlrev_b64 v[16:17], v16, v[2:3]
	v_and_b32_e32 v16, 7, v16
	v_cmp_gt_u32_e32 vcc, 8, v6
	v_lshrrev_b32_e32 v13, 3, v6
	v_sub_u32_e32 v2, 29, v18
	v_cndmask_b32_e32 v6, v11, v16, vcc
	v_mov_b32_e32 v11, 24
	v_cndmask_b32_e32 v2, v13, v2, vcc
	v_lshlrev_b32_sdwa v11, v11, v5 dst_sel:DWORD dst_unused:UNUSED_PAD src0_sel:DWORD src1_sel:WORD_1
	v_bfrev_b32_e32 v13, 60
	v_lshlrev_b32_e32 v6, 20, v6
	v_and_b32_e32 v11, 0x80000000, v11
	v_lshl_add_u32 v2, v2, 23, v13
	v_or3_b32 v11, v11, v2, v6
.LBB447_782:
	s_or_b64 exec, exec, s[8:9]
.LBB447_783:
	s_or_b64 exec, exec, s[6:7]
.LBB447_784:
	s_or_b64 exec, exec, s[4:5]
	s_mov_b32 s4, -1
	s_mov_b32 s5, 0xffffff
	v_cmp_lt_u64_e32 vcc, s[4:5], v[4:5]
	v_mov_b32_e32 v4, 0
	s_and_saveexec_b64 s[4:5], vcc
	s_cbranch_execz .LBB447_790
; %bb.785:
	v_lshrrev_b32_e32 v2, 24, v5
	s_movk_i32 s3, 0x80
	v_cmp_ne_u32_e32 vcc, s3, v2
	v_bfrev_b32_e32 v4, 1
	s_and_saveexec_b64 s[6:7], vcc
	s_cbranch_execz .LBB447_789
; %bb.786:
	v_bfe_u32 v5, v5, 24, 7
	s_movk_i32 s3, 0x7f
	v_cmp_ne_u32_e32 vcc, s3, v5
	v_mov_b32_e32 v4, 0x7f800001
	s_and_saveexec_b64 s[8:9], vcc
	s_cbranch_execz .LBB447_788
; %bb.787:
	v_and_b32_e32 v4, 7, v2
	v_ffbh_u32_e32 v13, v4
	v_min_u32_e32 v13, 32, v13
	v_subrev_u32_e32 v16, 28, v13
	v_lshlrev_b64 v[16:17], v16, v[2:3]
	v_lshrrev_b32_e32 v6, 3, v5
	v_sub_u32_e32 v13, 29, v13
	v_and_b32_e32 v16, 7, v16
	v_cmp_gt_u32_e32 vcc, 8, v5
	v_cndmask_b32_e32 v5, v6, v13, vcc
	v_cndmask_b32_e32 v4, v4, v16, vcc
	v_lshlrev_b32_e32 v2, 24, v2
	v_bfrev_b32_e32 v6, 60
	v_lshlrev_b32_e32 v4, 20, v4
	v_and_b32_e32 v2, 0x80000000, v2
	v_lshl_add_u32 v5, v5, 23, v6
	v_or3_b32 v4, v2, v5, v4
.LBB447_788:
	s_or_b64 exec, exec, s[8:9]
.LBB447_789:
	s_or_b64 exec, exec, s[6:7]
.LBB447_790:
	s_or_b64 exec, exec, s[4:5]
	v_cvt_pkrtz_f16_f32 v6, v8, v9
	v_cvt_pkrtz_f16_f32 v7, v7, v10
	;; [unrolled: 1-line block ×4, first 2 shown]
	v_mfma_f32_4x4x4f16 a[0:3], v[14:15], v[6:7], a[0:3] cbsz:4 abid:14
	s_load_dword s4, s[14:15], 0x0
	v_mfma_f32_4x4x4f16 a[0:3], v[14:15], v[2:3], a[0:3] cbsz:4 abid:15
	s_nop 4
	v_accvgpr_read_b32 v5, a1
	v_accvgpr_read_b32 v3, a3
	;; [unrolled: 1-line block ×4, first 2 shown]
	s_waitcnt lgkmcnt(0)
	v_pk_mul_f32 v[2:3], v[2:3], s[4:5] op_sel_hi:[1,0]
	v_pk_mul_f32 v[4:5], v[4:5], s[4:5] op_sel_hi:[1,0]
	v_cvt_f16_f32_e32 v4, v4
	v_cvt_f16_f32_e32 v5, v5
	v_cvt_f16_f32_e32 v6, v2
	v_cvt_f16_f32_e32 v3, v3
	v_pack_b32_f16 v2, v4, v5
	v_mad_u32_u24 v4, v1, 40, v25
	v_pack_b32_f16 v3, v6, v3
	ds_write_b64 v4, v[2:3]
.LBB447_791:
	s_or_b64 exec, exec, s[0:1]
	v_cmp_gt_u32_e32 vcc, 64, v0
	s_waitcnt lgkmcnt(0)
	s_barrier
	s_and_saveexec_b64 s[0:1], vcc
	s_cbranch_execz .LBB447_793
; %bb.792:
	s_mov_b32 s1, 0
	s_lshl_b32 s0, s2, 6
	v_mul_u32_u24_e32 v1, 40, v1
	s_lshl_b64 s[2:3], s[0:1], 1
	s_waitcnt vmcnt(1)
	ds_read2_b64 v[2:5], v1 offset1:1
	s_waitcnt vmcnt(0)
	ds_read2_b64 v[6:9], v1 offset0:2 offset1:3
	s_add_u32 s2, s30, s2
	s_addc_u32 s3, s31, s3
	s_lshl_b32 s0, s28, 6
	s_lshl_b64 s[0:1], s[0:1], 1
	s_add_u32 s0, s2, s0
	s_addc_u32 s1, s3, s1
	s_lshl_b32 s2, s33, 6
	s_waitcnt lgkmcnt(1)
	v_pk_add_f16 v1, v2, 0
	s_mul_i32 s3, s2, s10
	v_pk_add_f16 v1, v1, v4
	v_or_b32_e32 v2, s3, v0
	v_mov_b32_e32 v3, 0
	s_waitcnt lgkmcnt(0)
	v_pk_add_f16 v1, v1, v6
	v_lshlrev_b64 v[4:5], 1, v[2:3]
	s_add_i32 s3, s3, s2
	v_pk_add_f16 v6, v1, v8
	v_mov_b32_e32 v1, s1
	v_add_co_u32_e32 v4, vcc, s0, v4
	v_or_b32_e32 v2, s3, v0
	v_addc_co_u32_e32 v5, vcc, v1, v5, vcc
	v_lshlrev_b64 v[0:1], 1, v[2:3]
	v_mov_b32_e32 v2, s1
	v_add_co_u32_e32 v0, vcc, s0, v0
	v_addc_co_u32_e32 v1, vcc, v2, v1, vcc
	global_store_short v[4:5], v6, off
	global_store_short_d16_hi v[0:1], v6, off
.LBB447_793:
	s_endpgm
	.section	.rodata,"a",@progbits
	.p2align	6, 0x0
	.amdhsa_kernel _Z38paged_attention_ll4mi_QKV_mfma4_kernelIDF16_hLN4vllm18Fp8KVCacheDataTypeE1EDF16_Li32ELi64ELi256ELb0ELi2EEvPKT_PKT0_S7_ifPKiS9_S9_iPKfiiiPfSC_PS2_PT2_iSB_SB_
		.amdhsa_group_segment_fixed_size 2720
		.amdhsa_private_segment_fixed_size 0
		.amdhsa_kernarg_size 400
		.amdhsa_user_sgpr_count 6
		.amdhsa_user_sgpr_private_segment_buffer 1
		.amdhsa_user_sgpr_dispatch_ptr 0
		.amdhsa_user_sgpr_queue_ptr 0
		.amdhsa_user_sgpr_kernarg_segment_ptr 1
		.amdhsa_user_sgpr_dispatch_id 0
		.amdhsa_user_sgpr_flat_scratch_init 0
		.amdhsa_user_sgpr_kernarg_preload_length 0
		.amdhsa_user_sgpr_kernarg_preload_offset 0
		.amdhsa_user_sgpr_private_segment_size 0
		.amdhsa_uses_dynamic_stack 0
		.amdhsa_system_sgpr_private_segment_wavefront_offset 0
		.amdhsa_system_sgpr_workgroup_id_x 1
		.amdhsa_system_sgpr_workgroup_id_y 1
		.amdhsa_system_sgpr_workgroup_id_z 1
		.amdhsa_system_sgpr_workgroup_info 0
		.amdhsa_system_vgpr_workitem_id 0
		.amdhsa_next_free_vgpr 60
		.amdhsa_next_free_sgpr 42
		.amdhsa_accum_offset 56
		.amdhsa_reserve_vcc 1
		.amdhsa_reserve_flat_scratch 0
		.amdhsa_float_round_mode_32 0
		.amdhsa_float_round_mode_16_64 0
		.amdhsa_float_denorm_mode_32 3
		.amdhsa_float_denorm_mode_16_64 3
		.amdhsa_dx10_clamp 1
		.amdhsa_ieee_mode 1
		.amdhsa_fp16_overflow 0
		.amdhsa_tg_split 0
		.amdhsa_exception_fp_ieee_invalid_op 0
		.amdhsa_exception_fp_denorm_src 0
		.amdhsa_exception_fp_ieee_div_zero 0
		.amdhsa_exception_fp_ieee_overflow 0
		.amdhsa_exception_fp_ieee_underflow 0
		.amdhsa_exception_fp_ieee_inexact 0
		.amdhsa_exception_int_div_zero 0
	.end_amdhsa_kernel
	.section	.text._Z38paged_attention_ll4mi_QKV_mfma4_kernelIDF16_hLN4vllm18Fp8KVCacheDataTypeE1EDF16_Li32ELi64ELi256ELb0ELi2EEvPKT_PKT0_S7_ifPKiS9_S9_iPKfiiiPfSC_PS2_PT2_iSB_SB_,"axG",@progbits,_Z38paged_attention_ll4mi_QKV_mfma4_kernelIDF16_hLN4vllm18Fp8KVCacheDataTypeE1EDF16_Li32ELi64ELi256ELb0ELi2EEvPKT_PKT0_S7_ifPKiS9_S9_iPKfiiiPfSC_PS2_PT2_iSB_SB_,comdat
.Lfunc_end447:
	.size	_Z38paged_attention_ll4mi_QKV_mfma4_kernelIDF16_hLN4vllm18Fp8KVCacheDataTypeE1EDF16_Li32ELi64ELi256ELb0ELi2EEvPKT_PKT0_S7_ifPKiS9_S9_iPKfiiiPfSC_PS2_PT2_iSB_SB_, .Lfunc_end447-_Z38paged_attention_ll4mi_QKV_mfma4_kernelIDF16_hLN4vllm18Fp8KVCacheDataTypeE1EDF16_Li32ELi64ELi256ELb0ELi2EEvPKT_PKT0_S7_ifPKiS9_S9_iPKfiiiPfSC_PS2_PT2_iSB_SB_
                                        ; -- End function
	.section	.AMDGPU.csdata,"",@progbits
; Kernel info:
; codeLenInByte = 26244
; NumSgprs: 46
; NumVgprs: 55
; NumAgprs: 4
; TotalNumVgprs: 60
; ScratchSize: 0
; MemoryBound: 0
; FloatMode: 240
; IeeeMode: 1
; LDSByteSize: 2720 bytes/workgroup (compile time only)
; SGPRBlocks: 5
; VGPRBlocks: 7
; NumSGPRsForWavesPerEU: 46
; NumVGPRsForWavesPerEU: 60
; AccumOffset: 56
; Occupancy: 8
; WaveLimiterHint : 1
; COMPUTE_PGM_RSRC2:SCRATCH_EN: 0
; COMPUTE_PGM_RSRC2:USER_SGPR: 6
; COMPUTE_PGM_RSRC2:TRAP_HANDLER: 0
; COMPUTE_PGM_RSRC2:TGID_X_EN: 1
; COMPUTE_PGM_RSRC2:TGID_Y_EN: 1
; COMPUTE_PGM_RSRC2:TGID_Z_EN: 1
; COMPUTE_PGM_RSRC2:TIDIG_COMP_CNT: 0
; COMPUTE_PGM_RSRC3_GFX90A:ACCUM_OFFSET: 13
; COMPUTE_PGM_RSRC3_GFX90A:TG_SPLIT: 0
	.section	.text._Z38paged_attention_ll4mi_QKV_mfma4_kernelIDF16_hLN4vllm18Fp8KVCacheDataTypeE1EDF16_Li32ELi64ELi256ELb0ELi3EEvPKT_PKT0_S7_ifPKiS9_S9_iPKfiiiPfSC_PS2_PT2_iSB_SB_,"axG",@progbits,_Z38paged_attention_ll4mi_QKV_mfma4_kernelIDF16_hLN4vllm18Fp8KVCacheDataTypeE1EDF16_Li32ELi64ELi256ELb0ELi3EEvPKT_PKT0_S7_ifPKiS9_S9_iPKfiiiPfSC_PS2_PT2_iSB_SB_,comdat
	.protected	_Z38paged_attention_ll4mi_QKV_mfma4_kernelIDF16_hLN4vllm18Fp8KVCacheDataTypeE1EDF16_Li32ELi64ELi256ELb0ELi3EEvPKT_PKT0_S7_ifPKiS9_S9_iPKfiiiPfSC_PS2_PT2_iSB_SB_ ; -- Begin function _Z38paged_attention_ll4mi_QKV_mfma4_kernelIDF16_hLN4vllm18Fp8KVCacheDataTypeE1EDF16_Li32ELi64ELi256ELb0ELi3EEvPKT_PKT0_S7_ifPKiS9_S9_iPKfiiiPfSC_PS2_PT2_iSB_SB_
	.globl	_Z38paged_attention_ll4mi_QKV_mfma4_kernelIDF16_hLN4vllm18Fp8KVCacheDataTypeE1EDF16_Li32ELi64ELi256ELb0ELi3EEvPKT_PKT0_S7_ifPKiS9_S9_iPKfiiiPfSC_PS2_PT2_iSB_SB_
	.p2align	8
	.type	_Z38paged_attention_ll4mi_QKV_mfma4_kernelIDF16_hLN4vllm18Fp8KVCacheDataTypeE1EDF16_Li32ELi64ELi256ELb0ELi3EEvPKT_PKT0_S7_ifPKiS9_S9_iPKfiiiPfSC_PS2_PT2_iSB_SB_,@function
_Z38paged_attention_ll4mi_QKV_mfma4_kernelIDF16_hLN4vllm18Fp8KVCacheDataTypeE1EDF16_Li32ELi64ELi256ELb0ELi3EEvPKT_PKT0_S7_ifPKiS9_S9_iPKfiiiPfSC_PS2_PT2_iSB_SB_: ; @_Z38paged_attention_ll4mi_QKV_mfma4_kernelIDF16_hLN4vllm18Fp8KVCacheDataTypeE1EDF16_Li32ELi64ELi256ELb0ELi3EEvPKT_PKT0_S7_ifPKiS9_S9_iPKfiiiPfSC_PS2_PT2_iSB_SB_
; %bb.0:
	s_load_dwordx2 s[2:3], s[4:5], 0x30
	s_mov_b32 s28, s7
	s_mov_b64 s[0:1], 0
	s_waitcnt lgkmcnt(0)
	s_cmp_lg_u64 s[2:3], 0
	s_cselect_b64 s[10:11], -1, 0
	s_and_b64 vcc, exec, s[10:11]
	s_cbranch_vccz .LBB448_10
; %bb.1:
	s_add_i32 s12, s6, 1
	s_mov_b32 s13, 0
	s_lshl_b64 s[14:15], s[12:13], 2
	s_add_u32 s14, s2, s14
	s_mov_b32 s7, s13
	s_addc_u32 s15, s3, s15
	s_lshl_b64 s[12:13], s[6:7], 2
	s_add_u32 s12, s2, s12
	s_addc_u32 s13, s3, s13
	s_load_dword s9, s[14:15], 0x0
	s_load_dword s16, s[12:13], 0x0
	s_waitcnt lgkmcnt(0)
	s_sub_i32 s9, s9, s16
	s_cmp_eq_u32 s9, 1
	s_cselect_b64 s[12:13], -1, 0
	s_andn2_b64 vcc, exec, s[0:1]
	s_cbranch_vccnz .LBB448_3
.LBB448_2:
	s_mov_b32 s7, 0
	s_mov_b64 s[12:13], -1
.LBB448_3:
	s_andn2_b64 vcc, exec, s[12:13]
	s_cbranch_vccnz .LBB448_793
; %bb.4:
	s_load_dword s9, s[4:5], 0x9c
	s_load_dwordx2 s[0:1], s[4:5], 0x28
	s_add_u32 s34, s4, 0x90
	s_addc_u32 s35, s5, 0
	s_lshl_b64 s[20:21], s[6:7], 2
	s_waitcnt lgkmcnt(0)
	s_and_b32 s9, s9, 0xffff
	s_add_u32 s0, s0, s20
	s_addc_u32 s1, s1, s21
	s_load_dword s7, s[0:1], 0x0
	s_mul_i32 s9, s28, s9
	s_waitcnt lgkmcnt(0)
	s_cmp_ge_i32 s9, s7
	s_cbranch_scc1 .LBB448_793
; %bb.5:
	v_and_b32_e32 v1, 0xc0, v0
	v_add_u32_e32 v4, s9, v1
	v_lshrrev_b32_e32 v42, 6, v0
	v_cmp_le_i32_e64 s[0:1], s7, v4
                                        ; implicit-def: $sgpr23
                                        ; implicit-def: $sgpr22
	s_and_saveexec_b64 s[12:13], s[0:1]
	s_xor_b64 s[12:13], exec, s[12:13]
	s_cbranch_execz .LBB448_7
; %bb.6:
	v_mul_u32_u24_e32 v1, 20, v42
	v_or_b32_e32 v1, 0xa00, v1
	v_mov_b32_e32 v2, 0xa50
	v_mov_b32_e32 v3, 0xff7fffff
	v_mad_u32_u24 v2, v42, 20, v2
	ds_write2_b32 v1, v3, v3 offset1:1
	v_mov_b32_e32 v1, 0
	ds_write2_b32 v2, v1, v1 offset1:1
	v_mov_b32_e32 v2, 0xa08
	v_mov_b32_e32 v4, 0xa58
	s_mov_b32 s22, 0xff7fffff
	s_mov_b32 s23, 0
	v_mad_u32_u24 v2, v42, 20, v2
	v_mad_u32_u24 v4, v42, 20, v4
	ds_write2_b32 v2, v3, v3 offset1:1
	ds_write2_b32 v4, v1, v1 offset1:1
                                        ; implicit-def: $vgpr4
.LBB448_7:
	s_or_saveexec_b64 s[36:37], s[12:13]
	s_load_dwordx2 s[30:31], s[4:5], 0x68
	s_load_dwordx4 s[16:19], s[4:5], 0x58
	s_load_dword s33, s[34:35], 0x4
	s_load_dwordx4 s[12:15], s[4:5], 0x80
	v_and_b32_e32 v1, 63, v0
	v_and_b32_e32 v43, 3, v0
	v_mov_b32_e32 v21, s23
	v_mov_b32_e32 v26, s22
	;; [unrolled: 1-line block ×5, first 2 shown]
                                        ; implicit-def: $vgpr14_vgpr15
                                        ; implicit-def: $vgpr10_vgpr11
                                        ; implicit-def: $vgpr6_vgpr7
                                        ; implicit-def: $vgpr2_vgpr3
	s_xor_b64 exec, exec, s[36:37]
	s_cbranch_execz .LBB448_401
; %bb.8:
	s_add_i32 s25, s7, 31
	s_ashr_i32 s26, s25, 31
	s_load_dwordx2 s[22:23], s[4:5], 0x20
	s_load_dword s24, s[4:5], 0x38
	s_lshr_b32 s26, s26, 27
	v_add_u32_e32 v44, s9, v0
	s_add_i32 s25, s25, s26
	v_ashrrev_i32_e32 v2, 31, v44
	s_ashr_i32 s25, s25, 5
	v_lshrrev_b32_e32 v2, 27, v2
	s_add_i32 s26, s25, -1
	v_add_u32_e32 v2, v44, v2
	v_ashrrev_i32_e32 v2, 5, v2
	v_mov_b32_e32 v3, s26
	v_cmp_gt_i32_e32 vcc, s7, v44
	s_waitcnt lgkmcnt(0)
	s_mul_i32 s24, s6, s24
	s_mov_b32 s25, 0
	v_cndmask_b32_e32 v2, v3, v2, vcc
	s_lshl_b64 s[24:25], s[24:25], 2
	v_ashrrev_i32_e32 v3, 31, v2
	s_add_u32 s22, s22, s24
	v_lshlrev_b64 v[2:3], 2, v[2:3]
	v_add_co_u32_e32 v6, vcc, s22, v2
	v_ashrrev_i32_e32 v2, 31, v4
	v_lshrrev_b32_e32 v2, 27, v2
	v_add_u32_e32 v2, v4, v2
	s_addc_u32 s23, s23, s25
	v_ashrrev_i32_e32 v4, 5, v2
	v_mov_b32_e32 v5, s23
	v_min_i32_e32 v2, s26, v4
	v_addc_co_u32_e32 v7, vcc, v5, v3, vcc
	v_ashrrev_i32_e32 v3, 31, v2
	v_lshlrev_b64 v[2:3], 2, v[2:3]
	v_add_co_u32_e32 v8, vcc, s22, v2
	v_add_u32_e32 v2, 1, v4
	v_min_i32_e32 v2, s26, v2
	v_addc_co_u32_e32 v9, vcc, v5, v3, vcc
	v_ashrrev_i32_e32 v3, 31, v2
	v_lshlrev_b64 v[2:3], 2, v[2:3]
	v_mov_b32_e32 v4, s23
	v_add_co_u32_e32 v10, vcc, s22, v2
	v_addc_co_u32_e32 v11, vcc, v4, v3, vcc
	global_load_dword v4, v[6:7], off
	global_load_dword v3, v[8:9], off
	;; [unrolled: 1-line block ×3, first 2 shown]
	s_load_dwordx4 s[24:27], s[4:5], 0x8
	s_andn2_b64 vcc, exec, s[10:11]
	s_cbranch_vccnz .LBB448_11
; %bb.9:
	s_add_u32 s2, s2, s20
	s_addc_u32 s3, s3, s21
	s_load_dword s9, s[2:3], 0x0
	s_branch .LBB448_12
.LBB448_10:
	s_mov_b64 s[12:13], 0
	s_branch .LBB448_2
.LBB448_11:
	s_mov_b32 s9, s6
.LBB448_12:
	s_load_dwordx4 s[20:23], s[4:5], 0x48
	v_cmp_eq_u32_e32 vcc, 3, v43
	v_cmp_ne_u32_e64 s[2:3], 3, v43
	s_mov_b32 s39, 0
	v_mov_b32_e32 v39, 0
	v_mov_b32_e32 v18, 0
	;; [unrolled: 1-line block ×5, first 2 shown]
	s_and_saveexec_b64 s[10:11], s[2:3]
	s_cbranch_execz .LBB448_14
; %bb.13:
	s_load_dwordx2 s[2:3], s[4:5], 0x0
	s_waitcnt lgkmcnt(0)
	s_ashr_i32 s23, s20, 31
	s_mul_hi_u32 s29, s9, s20
	s_mul_i32 s23, s9, s23
	s_add_i32 s41, s29, s23
	s_mul_i32 s40, s9, s20
	s_lshl_b64 s[40:41], s[40:41], 1
	s_add_u32 s9, s2, s40
	s_mul_i32 s38, s8, 0xc0
	s_addc_u32 s20, s3, s41
	s_lshl_b64 s[2:3], s[38:39], 1
	s_add_u32 s2, s9, s2
	v_lshlrev_b32_e32 v5, 3, v43
	v_lshrrev_b32_e32 v6, 2, v1
	s_addc_u32 s3, s20, s3
	v_add_lshl_u32 v5, v5, v6, 4
	global_load_dwordx4 v[18:21], v5, s[2:3]
.LBB448_14:
	s_or_b64 exec, exec, s[10:11]
	s_waitcnt lgkmcnt(0)
	s_mul_i32 s9, s8, s22
	s_add_u32 s2, s9, s24
	s_addc_u32 s3, 0, s25
	v_pk_mov_b32 v[6:7], s[2:3], s[2:3] op_sel:[0,1]
	s_waitcnt vmcnt(2)
	v_mad_i64_i32 v[4:5], s[2:3], v4, s21, v[6:7]
	v_lshlrev_b32_e32 v6, 4, v0
	v_and_b32_e32 v6, 0x1f0, v6
	v_add_co_u32_e64 v4, s[2:3], v4, v6
	v_addc_co_u32_e64 v5, s[2:3], 0, v5, s[2:3]
	s_add_u32 s2, s26, s9
	global_load_dwordx4 v[34:37], v[4:5], off
	global_load_dwordx4 v[30:33], v[4:5], off offset:512
	global_load_dwordx4 v[26:29], v[4:5], off offset:1024
	global_load_dwordx4 v[22:25], v[4:5], off offset:1536
	s_addc_u32 s3, s27, 0
	v_lshlrev_b32_e32 v4, 5, v1
	v_mov_b32_e32 v5, s3
	v_add_co_u32_e64 v6, s[2:3], s2, v4
	s_waitcnt vmcnt(5)
	v_mul_hi_i32 v4, v3, s21
	v_ashrrev_i32_e32 v4, 31, v4
	v_lshrrev_b32_e32 v38, 29, v4
	v_addc_co_u32_e64 v7, s[2:3], 0, v5, s[2:3]
	v_mad_i64_i32 v[4:5], s[2:3], v3, s21, v[38:39]
	v_and_b32_e32 v3, -8, v4
	v_add_co_u32_e64 v4, s[2:3], v6, v3
	s_waitcnt vmcnt(4)
	v_mul_hi_i32 v3, v2, s21
	v_ashrrev_i32_e32 v3, 31, v3
	v_lshrrev_b32_e32 v38, 29, v3
	v_addc_co_u32_e64 v5, s[2:3], v7, v5, s[2:3]
	v_mad_i64_i32 v[2:3], s[2:3], v2, s21, v[38:39]
	v_and_b32_e32 v2, -8, v2
	v_add_co_u32_e64 v40, s[2:3], v6, v2
	v_addc_co_u32_e64 v41, s[2:3], v7, v3, s[2:3]
	global_load_dwordx4 v[10:13], v[4:5], off offset:16
	global_load_dwordx4 v[14:17], v[4:5], off
	s_nop 0
	global_load_dwordx4 v[2:5], v[40:41], off offset:16
	global_load_dwordx4 v[6:9], v[40:41], off
	v_mov_b32_e32 v45, 0
	s_waitcnt vmcnt(7)
	v_cmp_ne_u16_sdwa s[2:3], v34, v39 src0_sel:BYTE_0 src1_sel:DWORD
	s_and_saveexec_b64 s[10:11], s[2:3]
	s_cbranch_execz .LBB448_20
; %bb.15:
	s_movk_i32 s2, 0x80
	v_cmp_ne_u16_sdwa s[2:3], v34, s2 src0_sel:BYTE_0 src1_sel:DWORD
	v_bfrev_b32_e32 v45, 1
	s_and_saveexec_b64 s[20:21], s[2:3]
	s_cbranch_execz .LBB448_19
; %bb.16:
	s_movk_i32 s2, 0x7f
	v_and_b32_e32 v38, 0x7f, v34
	v_cmp_ne_u32_e64 s[2:3], s2, v38
	v_mov_b32_e32 v45, 0x7f800001
	s_and_saveexec_b64 s[22:23], s[2:3]
	s_cbranch_execz .LBB448_18
; %bb.17:
	v_and_b32_e32 v40, 7, v34
	v_ffbh_u32_e32 v40, v40
	v_min_u32_e32 v40, 32, v40
	v_lshrrev_b32_e32 v41, 3, v38
	v_subrev_u32_e32 v45, 28, v40
	v_sub_u32_e32 v40, 29, v40
	v_cmp_gt_u32_e64 s[2:3], 8, v38
	v_cndmask_b32_e64 v38, v41, v40, s[2:3]
	v_cndmask_b32_e64 v40, 0, v45, s[2:3]
	v_lshlrev_b64 v[40:41], v40, v[34:35]
	v_lshlrev_b32_e32 v40, 20, v40
	v_lshlrev_b32_e32 v41, 24, v34
	v_bfrev_b32_e32 v45, 60
	v_and_b32_e32 v40, 0x700000, v40
	v_and_b32_e32 v41, 0x80000000, v41
	v_lshl_add_u32 v38, v38, 23, v45
	v_or3_b32 v45, v41, v38, v40
.LBB448_18:
	s_or_b64 exec, exec, s[22:23]
.LBB448_19:
	s_or_b64 exec, exec, s[20:21]
.LBB448_20:
	s_or_b64 exec, exec, s[10:11]
	v_lshrrev_b16_e32 v38, 8, v34
	v_cmp_ne_u16_e64 s[2:3], 0, v38
	s_and_saveexec_b64 s[10:11], s[2:3]
	s_cbranch_execz .LBB448_26
; %bb.21:
	s_movk_i32 s2, 0x80
	v_cmp_ne_u16_e64 s[2:3], s2, v38
	v_bfrev_b32_e32 v39, 1
	s_and_saveexec_b64 s[20:21], s[2:3]
	s_cbranch_execz .LBB448_25
; %bb.22:
	s_movk_i32 s2, 0x7f
	v_and_b32_e32 v40, 0x7f, v38
	v_cmp_ne_u32_e64 s[2:3], s2, v40
	v_mov_b32_e32 v39, 0x7f800001
	s_and_saveexec_b64 s[22:23], s[2:3]
	s_cbranch_execz .LBB448_24
; %bb.23:
	v_and_b32_e32 v41, 7, v38
	v_ffbh_u32_e32 v39, v41
	v_min_u32_e32 v47, 32, v39
	v_subrev_u32_e32 v39, 28, v47
	v_lshlrev_b64 v[38:39], v39, v[38:39]
	v_lshrrev_b32_e32 v46, 3, v40
	v_sub_u32_e32 v39, 29, v47
	v_and_b32_e32 v38, 7, v38
	v_cmp_gt_u32_e64 s[2:3], 8, v40
	v_cndmask_b32_e64 v39, v46, v39, s[2:3]
	v_cndmask_b32_e64 v38, v41, v38, s[2:3]
	v_lshlrev_b32_e32 v40, 16, v34
	v_bfrev_b32_e32 v41, 60
	v_lshlrev_b32_e32 v38, 20, v38
	v_and_b32_e32 v40, 0x80000000, v40
	v_lshl_add_u32 v39, v39, 23, v41
	v_or3_b32 v39, v40, v39, v38
.LBB448_24:
	s_or_b64 exec, exec, s[22:23]
.LBB448_25:
	s_or_b64 exec, exec, s[20:21]
.LBB448_26:
	s_or_b64 exec, exec, s[10:11]
	s_movk_i32 s2, 0xff
	v_and_b32_sdwa v40, v34, s2 dst_sel:DWORD dst_unused:UNUSED_PAD src0_sel:WORD_1 src1_sel:DWORD
	v_lshrrev_b32_e32 v38, 16, v34
	v_cmp_ne_u16_e64 s[2:3], 0, v40
	v_mov_b32_e32 v46, 0
	v_mov_b32_e32 v47, 0
	s_and_saveexec_b64 s[10:11], s[2:3]
	s_cbranch_execz .LBB448_32
; %bb.27:
	s_movk_i32 s2, 0x80
	v_cmp_ne_u16_e64 s[2:3], s2, v40
	v_bfrev_b32_e32 v47, 1
	s_and_saveexec_b64 s[20:21], s[2:3]
	s_cbranch_execz .LBB448_31
; %bb.28:
	v_bfe_u32 v40, v34, 16, 7
	s_movk_i32 s2, 0x7f
	v_cmp_ne_u32_e64 s[2:3], s2, v40
	v_mov_b32_e32 v47, 0x7f800001
	s_and_saveexec_b64 s[22:23], s[2:3]
	s_cbranch_execz .LBB448_30
; %bb.29:
	v_and_b32_e32 v41, 7, v38
	v_ffbh_u32_e32 v48, v41
	v_min_u32_e32 v50, 32, v48
	v_subrev_u32_e32 v48, 28, v50
	v_lshlrev_b64 v[48:49], v48, v[38:39]
	v_and_b32_e32 v48, 7, v48
	v_cmp_gt_u32_e64 s[2:3], 8, v40
	v_lshrrev_b32_e32 v47, 3, v40
	v_sub_u32_e32 v38, 29, v50
	v_cndmask_b32_e64 v40, v41, v48, s[2:3]
	v_mov_b32_e32 v41, 24
	v_cndmask_b32_e64 v38, v47, v38, s[2:3]
	v_lshlrev_b32_sdwa v41, v41, v34 dst_sel:DWORD dst_unused:UNUSED_PAD src0_sel:DWORD src1_sel:WORD_1
	v_bfrev_b32_e32 v47, 60
	v_lshlrev_b32_e32 v40, 20, v40
	v_and_b32_e32 v41, 0x80000000, v41
	v_lshl_add_u32 v38, v38, 23, v47
	v_or3_b32 v47, v41, v38, v40
.LBB448_30:
	s_or_b64 exec, exec, s[22:23]
.LBB448_31:
	s_or_b64 exec, exec, s[20:21]
.LBB448_32:
	s_or_b64 exec, exec, s[10:11]
	s_mov_b32 s2, 0xffffff
	v_cmp_lt_u32_e64 s[2:3], s2, v34
	s_and_saveexec_b64 s[10:11], s[2:3]
	s_cbranch_execz .LBB448_38
; %bb.33:
	v_lshrrev_b32_e32 v38, 24, v34
	s_movk_i32 s2, 0x80
	v_cmp_ne_u32_e64 s[2:3], s2, v38
	v_bfrev_b32_e32 v46, 1
	s_and_saveexec_b64 s[20:21], s[2:3]
	s_cbranch_execz .LBB448_37
; %bb.34:
	v_bfe_u32 v40, v34, 24, 7
	s_movk_i32 s2, 0x7f
	v_cmp_ne_u32_e64 s[2:3], s2, v40
	v_mov_b32_e32 v46, 0x7f800001
	s_and_saveexec_b64 s[22:23], s[2:3]
	s_cbranch_execz .LBB448_36
; %bb.35:
	v_and_b32_e32 v41, 7, v38
	v_ffbh_u32_e32 v48, v41
	v_min_u32_e32 v50, 32, v48
	v_subrev_u32_e32 v48, 28, v50
	v_lshlrev_b64 v[48:49], v48, v[38:39]
	v_lshrrev_b32_e32 v46, 3, v40
	v_sub_u32_e32 v49, 29, v50
	v_and_b32_e32 v48, 7, v48
	v_cmp_gt_u32_e64 s[2:3], 8, v40
	v_cndmask_b32_e64 v40, v46, v49, s[2:3]
	v_cndmask_b32_e64 v41, v41, v48, s[2:3]
	v_lshlrev_b32_e32 v38, 24, v38
	v_bfrev_b32_e32 v46, 60
	v_lshlrev_b32_e32 v41, 20, v41
	v_and_b32_e32 v38, 0x80000000, v38
	v_lshl_add_u32 v40, v40, 23, v46
	v_or3_b32 v46, v38, v40, v41
.LBB448_36:
	s_or_b64 exec, exec, s[22:23]
.LBB448_37:
	s_or_b64 exec, exec, s[20:21]
.LBB448_38:
	s_or_b64 exec, exec, s[10:11]
	v_mov_b32_e32 v41, 0
	v_mov_b32_e32 v40, v35
	v_cmp_ne_u16_sdwa s[2:3], v35, v41 src0_sel:BYTE_0 src1_sel:DWORD
	v_mov_b32_e32 v48, v41
	s_and_saveexec_b64 s[10:11], s[2:3]
	s_cbranch_execz .LBB448_44
; %bb.39:
	s_movk_i32 s2, 0x80
	v_cmp_ne_u16_sdwa s[2:3], v35, s2 src0_sel:BYTE_0 src1_sel:DWORD
	v_bfrev_b32_e32 v48, 1
	s_and_saveexec_b64 s[20:21], s[2:3]
	s_cbranch_execz .LBB448_43
; %bb.40:
	s_movk_i32 s2, 0x7f
	v_and_b32_e32 v38, 0x7f, v35
	v_cmp_ne_u32_e64 s[2:3], s2, v38
	v_mov_b32_e32 v48, 0x7f800001
	s_and_saveexec_b64 s[22:23], s[2:3]
	s_cbranch_execz .LBB448_42
; %bb.41:
	v_and_b32_e32 v48, 7, v35
	v_ffbh_u32_e32 v48, v48
	v_min_u32_e32 v48, 32, v48
	v_lshrrev_b32_e32 v49, 3, v38
	v_subrev_u32_e32 v50, 28, v48
	v_sub_u32_e32 v48, 29, v48
	v_cmp_gt_u32_e64 s[2:3], 8, v38
	v_cndmask_b32_e64 v38, v49, v48, s[2:3]
	v_cndmask_b32_e64 v48, 0, v50, s[2:3]
	v_lshlrev_b64 v[48:49], v48, v[40:41]
	v_lshlrev_b32_e32 v48, 20, v48
	v_lshlrev_b32_e32 v49, 24, v40
	v_bfrev_b32_e32 v50, 60
	v_and_b32_e32 v48, 0x700000, v48
	v_and_b32_e32 v49, 0x80000000, v49
	v_lshl_add_u32 v38, v38, 23, v50
	v_or3_b32 v48, v49, v38, v48
.LBB448_42:
	s_or_b64 exec, exec, s[22:23]
.LBB448_43:
	s_or_b64 exec, exec, s[20:21]
.LBB448_44:
	s_or_b64 exec, exec, s[10:11]
	v_lshrrev_b16_e32 v38, 8, v40
	v_cmp_ne_u16_e64 s[2:3], 0, v38
	s_and_saveexec_b64 s[10:11], s[2:3]
	s_cbranch_execz .LBB448_50
; %bb.45:
	s_movk_i32 s2, 0x80
	v_cmp_ne_u16_e64 s[2:3], s2, v38
	v_bfrev_b32_e32 v41, 1
	s_and_saveexec_b64 s[20:21], s[2:3]
	s_cbranch_execz .LBB448_49
; %bb.46:
	s_movk_i32 s2, 0x7f
	v_and_b32_e32 v49, 0x7f, v38
	v_cmp_ne_u32_e64 s[2:3], s2, v49
	v_mov_b32_e32 v41, 0x7f800001
	s_and_saveexec_b64 s[22:23], s[2:3]
	s_cbranch_execz .LBB448_48
; %bb.47:
	v_and_b32_e32 v41, 7, v38
	v_ffbh_u32_e32 v50, v41
	v_min_u32_e32 v53, 32, v50
	v_subrev_u32_e32 v50, 28, v53
	v_lshlrev_b64 v[50:51], v50, v[38:39]
	v_lshrrev_b32_e32 v52, 3, v49
	v_sub_u32_e32 v38, 29, v53
	v_and_b32_e32 v50, 7, v50
	v_cmp_gt_u32_e64 s[2:3], 8, v49
	v_cndmask_b32_e64 v38, v52, v38, s[2:3]
	v_cndmask_b32_e64 v41, v41, v50, s[2:3]
	v_lshlrev_b32_e32 v40, 16, v40
	v_bfrev_b32_e32 v49, 60
	v_lshlrev_b32_e32 v41, 20, v41
	v_and_b32_e32 v40, 0x80000000, v40
	v_lshl_add_u32 v38, v38, 23, v49
	v_or3_b32 v41, v40, v38, v41
.LBB448_48:
	s_or_b64 exec, exec, s[22:23]
.LBB448_49:
	s_or_b64 exec, exec, s[20:21]
.LBB448_50:
	s_or_b64 exec, exec, s[10:11]
	s_movk_i32 s2, 0xff
	v_and_b32_sdwa v50, v35, s2 dst_sel:DWORD dst_unused:UNUSED_PAD src0_sel:WORD_1 src1_sel:DWORD
	v_lshrrev_b32_e32 v38, 16, v35
	v_cmp_ne_u16_e64 s[2:3], 0, v50
	v_mov_b32_e32 v40, 0
	v_mov_b32_e32 v49, 0
	s_and_saveexec_b64 s[10:11], s[2:3]
	s_cbranch_execz .LBB448_56
; %bb.51:
	s_movk_i32 s2, 0x80
	v_cmp_ne_u16_e64 s[2:3], s2, v50
	v_bfrev_b32_e32 v49, 1
	s_and_saveexec_b64 s[20:21], s[2:3]
	s_cbranch_execz .LBB448_55
; %bb.52:
	v_bfe_u32 v50, v35, 16, 7
	s_movk_i32 s2, 0x7f
	v_cmp_ne_u32_e64 s[2:3], s2, v50
	v_mov_b32_e32 v49, 0x7f800001
	s_and_saveexec_b64 s[22:23], s[2:3]
	s_cbranch_execz .LBB448_54
; %bb.53:
	v_and_b32_e32 v49, 7, v38
	v_ffbh_u32_e32 v52, v49
	v_min_u32_e32 v54, 32, v52
	v_subrev_u32_e32 v52, 28, v54
	v_lshlrev_b64 v[52:53], v52, v[38:39]
	v_lshrrev_b32_e32 v51, 3, v50
	v_sub_u32_e32 v38, 29, v54
	v_and_b32_e32 v52, 7, v52
	v_cmp_gt_u32_e64 s[2:3], 8, v50
	v_mov_b32_e32 v50, 24
	v_cndmask_b32_e64 v38, v51, v38, s[2:3]
	v_cndmask_b32_e64 v49, v49, v52, s[2:3]
	v_lshlrev_b32_sdwa v50, v50, v35 dst_sel:DWORD dst_unused:UNUSED_PAD src0_sel:DWORD src1_sel:WORD_1
	v_bfrev_b32_e32 v51, 60
	v_lshlrev_b32_e32 v49, 20, v49
	v_and_b32_e32 v50, 0x80000000, v50
	v_lshl_add_u32 v38, v38, 23, v51
	v_or3_b32 v49, v50, v38, v49
.LBB448_54:
	s_or_b64 exec, exec, s[22:23]
.LBB448_55:
	s_or_b64 exec, exec, s[20:21]
.LBB448_56:
	s_or_b64 exec, exec, s[10:11]
	s_mov_b32 s2, -1
	s_mov_b32 s3, 0xffffff
	v_cmp_lt_u64_e64 s[2:3], s[2:3], v[34:35]
	s_and_saveexec_b64 s[10:11], s[2:3]
	s_cbranch_execz .LBB448_62
; %bb.57:
	v_lshrrev_b32_e32 v34, 24, v35
	s_movk_i32 s2, 0x80
	v_cmp_ne_u32_e64 s[2:3], s2, v34
	v_bfrev_b32_e32 v40, 1
	s_and_saveexec_b64 s[20:21], s[2:3]
	s_cbranch_execz .LBB448_61
; %bb.58:
	v_bfe_u32 v35, v35, 24, 7
	s_movk_i32 s2, 0x7f
	v_cmp_ne_u32_e64 s[2:3], s2, v35
	v_mov_b32_e32 v40, 0x7f800001
	s_and_saveexec_b64 s[22:23], s[2:3]
	s_cbranch_execz .LBB448_60
; %bb.59:
	v_and_b32_e32 v38, 7, v34
	v_ffbh_u32_e32 v50, v38
	v_min_u32_e32 v52, 32, v50
	v_subrev_u32_e32 v50, 28, v52
	v_lshlrev_b64 v[50:51], v50, v[34:35]
	v_lshrrev_b32_e32 v40, 3, v35
	v_sub_u32_e32 v51, 29, v52
	v_and_b32_e32 v50, 7, v50
	v_cmp_gt_u32_e64 s[2:3], 8, v35
	v_cndmask_b32_e64 v35, v40, v51, s[2:3]
	v_cndmask_b32_e64 v38, v38, v50, s[2:3]
	v_lshlrev_b32_e32 v34, 24, v34
	v_bfrev_b32_e32 v40, 60
	v_lshlrev_b32_e32 v38, 20, v38
	v_and_b32_e32 v34, 0x80000000, v34
	v_lshl_add_u32 v35, v35, 23, v40
	v_or3_b32 v40, v34, v35, v38
.LBB448_60:
	s_or_b64 exec, exec, s[22:23]
.LBB448_61:
	s_or_b64 exec, exec, s[20:21]
.LBB448_62:
	s_or_b64 exec, exec, s[10:11]
	v_cvt_pkrtz_f16_f32 v34, v45, v39
	v_cvt_pkrtz_f16_f32 v35, v47, v46
	;; [unrolled: 1-line block ×4, first 2 shown]
	v_mfma_f32_4x4x4f16 a[0:3], v[18:19], v[34:35], 0 cbsz:4
	v_mov_b32_e32 v40, 0
	v_mfma_f32_4x4x4f16 a[0:3], v[20:21], v[46:47], a[0:3] cbsz:4
	v_mov_b32_e32 v39, 0
	v_cmp_ne_u16_sdwa s[2:3], v36, v40 src0_sel:BYTE_0 src1_sel:DWORD
	s_and_saveexec_b64 s[10:11], s[2:3]
	s_cbranch_execz .LBB448_68
; %bb.63:
	s_movk_i32 s2, 0x80
	v_cmp_ne_u16_sdwa s[2:3], v36, s2 src0_sel:BYTE_0 src1_sel:DWORD
	v_bfrev_b32_e32 v39, 1
	s_and_saveexec_b64 s[20:21], s[2:3]
	s_cbranch_execz .LBB448_67
; %bb.64:
	s_movk_i32 s2, 0x7f
	v_and_b32_e32 v34, 0x7f, v36
	v_cmp_ne_u32_e64 s[2:3], s2, v34
	v_mov_b32_e32 v39, 0x7f800001
	s_and_saveexec_b64 s[22:23], s[2:3]
	s_cbranch_execz .LBB448_66
; %bb.65:
	v_and_b32_e32 v35, 7, v36
	v_ffbh_u32_e32 v35, v35
	v_min_u32_e32 v35, 32, v35
	v_subrev_u32_e32 v39, 28, v35
	v_cmp_gt_u32_e64 s[2:3], 8, v34
	v_lshrrev_b32_e32 v38, 3, v34
	v_sub_u32_e32 v35, 29, v35
	v_cndmask_b32_e64 v34, 0, v39, s[2:3]
	v_cndmask_b32_e64 v38, v38, v35, s[2:3]
	v_lshlrev_b64 v[34:35], v34, v[36:37]
	v_lshlrev_b32_e32 v34, 20, v34
	v_lshlrev_b32_e32 v35, 24, v36
	v_bfrev_b32_e32 v39, 60
	v_and_b32_e32 v34, 0x700000, v34
	v_and_b32_e32 v35, 0x80000000, v35
	v_lshl_add_u32 v38, v38, 23, v39
	v_or3_b32 v39, v35, v38, v34
.LBB448_66:
	s_or_b64 exec, exec, s[22:23]
.LBB448_67:
	s_or_b64 exec, exec, s[20:21]
.LBB448_68:
	s_or_b64 exec, exec, s[10:11]
	v_lshrrev_b16_e32 v34, 8, v36
	v_cmp_ne_u16_e64 s[2:3], 0, v34
	v_mov_b32_e32 v41, 0
	s_and_saveexec_b64 s[10:11], s[2:3]
	s_cbranch_execz .LBB448_74
; %bb.69:
	s_movk_i32 s2, 0x80
	v_cmp_ne_u16_e64 s[2:3], s2, v34
	v_bfrev_b32_e32 v41, 1
	s_and_saveexec_b64 s[20:21], s[2:3]
	s_cbranch_execz .LBB448_73
; %bb.70:
	s_movk_i32 s2, 0x7f
	v_and_b32_e32 v35, 0x7f, v34
	v_cmp_ne_u32_e64 s[2:3], s2, v35
	v_mov_b32_e32 v41, 0x7f800001
	s_and_saveexec_b64 s[22:23], s[2:3]
	s_cbranch_execz .LBB448_72
; %bb.71:
	v_and_b32_e32 v38, 7, v34
	v_ffbh_u32_e32 v45, v38
	v_min_u32_e32 v45, 32, v45
	v_subrev_u32_e32 v46, 28, v45
	v_lshlrev_b64 v[46:47], v46, v[34:35]
	v_lshrrev_b32_e32 v41, 3, v35
	v_sub_u32_e32 v34, 29, v45
	v_and_b32_e32 v45, 7, v46
	v_cmp_gt_u32_e64 s[2:3], 8, v35
	v_cndmask_b32_e64 v34, v41, v34, s[2:3]
	v_cndmask_b32_e64 v35, v38, v45, s[2:3]
	v_lshlrev_b32_e32 v38, 16, v36
	v_bfrev_b32_e32 v41, 60
	v_lshlrev_b32_e32 v35, 20, v35
	v_and_b32_e32 v38, 0x80000000, v38
	v_lshl_add_u32 v34, v34, 23, v41
	v_or3_b32 v41, v38, v34, v35
.LBB448_72:
	s_or_b64 exec, exec, s[22:23]
.LBB448_73:
	s_or_b64 exec, exec, s[20:21]
.LBB448_74:
	s_or_b64 exec, exec, s[10:11]
	s_movk_i32 s2, 0xff
	v_and_b32_sdwa v35, v36, s2 dst_sel:DWORD dst_unused:UNUSED_PAD src0_sel:WORD_1 src1_sel:DWORD
	v_lshrrev_b32_e32 v34, 16, v36
	v_cmp_ne_u16_e64 s[2:3], 0, v35
	s_and_saveexec_b64 s[10:11], s[2:3]
	s_cbranch_execz .LBB448_80
; %bb.75:
	s_movk_i32 s2, 0x80
	v_cmp_ne_u16_e64 s[2:3], s2, v35
	v_bfrev_b32_e32 v40, 1
	s_and_saveexec_b64 s[20:21], s[2:3]
	s_cbranch_execz .LBB448_79
; %bb.76:
	v_bfe_u32 v35, v36, 16, 7
	s_movk_i32 s2, 0x7f
	v_cmp_ne_u32_e64 s[2:3], s2, v35
	v_mov_b32_e32 v40, 0x7f800001
	s_and_saveexec_b64 s[22:23], s[2:3]
	s_cbranch_execz .LBB448_78
; %bb.77:
	v_and_b32_e32 v38, 7, v34
	v_ffbh_u32_e32 v45, v38
	v_min_u32_e32 v45, 32, v45
	v_subrev_u32_e32 v46, 28, v45
	v_lshlrev_b64 v[46:47], v46, v[34:35]
	v_sub_u32_e32 v34, 29, v45
	v_and_b32_e32 v45, 7, v46
	v_cmp_gt_u32_e64 s[2:3], 8, v35
	v_lshrrev_b32_e32 v40, 3, v35
	v_cndmask_b32_e64 v35, v38, v45, s[2:3]
	v_mov_b32_e32 v38, 24
	v_cndmask_b32_e64 v34, v40, v34, s[2:3]
	v_lshlrev_b32_sdwa v38, v38, v36 dst_sel:DWORD dst_unused:UNUSED_PAD src0_sel:DWORD src1_sel:WORD_1
	v_bfrev_b32_e32 v40, 60
	v_lshlrev_b32_e32 v35, 20, v35
	v_and_b32_e32 v38, 0x80000000, v38
	v_lshl_add_u32 v34, v34, 23, v40
	v_or3_b32 v40, v38, v34, v35
.LBB448_78:
	s_or_b64 exec, exec, s[22:23]
.LBB448_79:
	s_or_b64 exec, exec, s[20:21]
.LBB448_80:
	s_or_b64 exec, exec, s[10:11]
	s_mov_b32 s2, 0xffffff
	v_cmp_lt_u32_e64 s[2:3], s2, v36
	v_mov_b32_e32 v35, 0
	v_mov_b32_e32 v45, 0
	s_and_saveexec_b64 s[10:11], s[2:3]
	s_cbranch_execz .LBB448_86
; %bb.81:
	v_lshrrev_b32_e32 v34, 24, v36
	s_movk_i32 s2, 0x80
	v_cmp_ne_u32_e64 s[2:3], s2, v34
	v_bfrev_b32_e32 v45, 1
	s_and_saveexec_b64 s[20:21], s[2:3]
	s_cbranch_execz .LBB448_85
; %bb.82:
	v_bfe_u32 v38, v36, 24, 7
	s_movk_i32 s2, 0x7f
	v_cmp_ne_u32_e64 s[2:3], s2, v38
	v_mov_b32_e32 v45, 0x7f800001
	s_and_saveexec_b64 s[22:23], s[2:3]
	s_cbranch_execz .LBB448_84
; %bb.83:
	v_and_b32_e32 v45, 7, v34
	v_ffbh_u32_e32 v46, v45
	v_min_u32_e32 v49, 32, v46
	v_subrev_u32_e32 v46, 28, v49
	v_lshlrev_b64 v[46:47], v46, v[34:35]
	v_lshrrev_b32_e32 v48, 3, v38
	v_sub_u32_e32 v47, 29, v49
	v_and_b32_e32 v46, 7, v46
	v_cmp_gt_u32_e64 s[2:3], 8, v38
	v_cndmask_b32_e64 v38, v48, v47, s[2:3]
	v_cndmask_b32_e64 v45, v45, v46, s[2:3]
	v_lshlrev_b32_e32 v34, 24, v34
	v_bfrev_b32_e32 v46, 60
	v_lshlrev_b32_e32 v45, 20, v45
	v_and_b32_e32 v34, 0x80000000, v34
	v_lshl_add_u32 v38, v38, 23, v46
	v_or3_b32 v45, v34, v38, v45
.LBB448_84:
	s_or_b64 exec, exec, s[22:23]
.LBB448_85:
	s_or_b64 exec, exec, s[20:21]
.LBB448_86:
	s_or_b64 exec, exec, s[10:11]
	v_mov_b32_e32 v34, v37
	v_cmp_ne_u16_sdwa s[2:3], v37, v35 src0_sel:BYTE_0 src1_sel:DWORD
	s_and_saveexec_b64 s[10:11], s[2:3]
	s_cbranch_execz .LBB448_92
; %bb.87:
	s_movk_i32 s2, 0x80
	v_cmp_ne_u16_sdwa s[2:3], v37, s2 src0_sel:BYTE_0 src1_sel:DWORD
	v_bfrev_b32_e32 v38, 1
	s_and_saveexec_b64 s[20:21], s[2:3]
	s_cbranch_execz .LBB448_91
; %bb.88:
	s_movk_i32 s2, 0x7f
	v_and_b32_e32 v46, 0x7f, v37
	v_cmp_ne_u32_e64 s[2:3], s2, v46
	v_mov_b32_e32 v38, 0x7f800001
	s_and_saveexec_b64 s[22:23], s[2:3]
	s_cbranch_execz .LBB448_90
; %bb.89:
	v_and_b32_e32 v38, 7, v37
	v_ffbh_u32_e32 v38, v38
	v_min_u32_e32 v38, 32, v38
	v_subrev_u32_e32 v48, 28, v38
	v_cmp_gt_u32_e64 s[2:3], 8, v46
	v_lshrrev_b32_e32 v47, 3, v46
	v_sub_u32_e32 v38, 29, v38
	v_cndmask_b32_e64 v46, 0, v48, s[2:3]
	v_cndmask_b32_e64 v38, v47, v38, s[2:3]
	v_lshlrev_b64 v[46:47], v46, v[34:35]
	v_lshlrev_b32_e32 v35, 20, v46
	v_lshlrev_b32_e32 v46, 24, v34
	v_bfrev_b32_e32 v47, 60
	v_and_b32_e32 v35, 0x700000, v35
	v_and_b32_e32 v46, 0x80000000, v46
	v_lshl_add_u32 v38, v38, 23, v47
	v_or3_b32 v38, v46, v38, v35
.LBB448_90:
	s_or_b64 exec, exec, s[22:23]
.LBB448_91:
	s_or_b64 exec, exec, s[20:21]
	v_mov_b32_e32 v35, v38
.LBB448_92:
	s_or_b64 exec, exec, s[10:11]
	v_lshrrev_b16_e32 v38, 8, v34
	v_cmp_ne_u16_e64 s[2:3], 0, v38
	v_mov_b32_e32 v46, 0
	v_mov_b32_e32 v47, 0
	s_and_saveexec_b64 s[10:11], s[2:3]
	s_cbranch_execz .LBB448_98
; %bb.93:
	s_movk_i32 s2, 0x80
	v_cmp_ne_u16_e64 s[2:3], s2, v38
	v_bfrev_b32_e32 v47, 1
	s_and_saveexec_b64 s[20:21], s[2:3]
	s_cbranch_execz .LBB448_97
; %bb.94:
	s_movk_i32 s2, 0x7f
	v_and_b32_e32 v48, 0x7f, v38
	v_cmp_ne_u32_e64 s[2:3], s2, v48
	v_mov_b32_e32 v47, 0x7f800001
	s_and_saveexec_b64 s[22:23], s[2:3]
	s_cbranch_execz .LBB448_96
; %bb.95:
	v_and_b32_e32 v47, 7, v38
	v_ffbh_u32_e32 v50, v47
	v_min_u32_e32 v52, 32, v50
	v_subrev_u32_e32 v50, 28, v52
	v_lshlrev_b64 v[50:51], v50, v[38:39]
	v_lshrrev_b32_e32 v49, 3, v48
	v_sub_u32_e32 v38, 29, v52
	v_and_b32_e32 v50, 7, v50
	v_cmp_gt_u32_e64 s[2:3], 8, v48
	v_cndmask_b32_e64 v38, v49, v38, s[2:3]
	v_cndmask_b32_e64 v47, v47, v50, s[2:3]
	v_lshlrev_b32_e32 v34, 16, v34
	v_bfrev_b32_e32 v48, 60
	v_lshlrev_b32_e32 v47, 20, v47
	v_and_b32_e32 v34, 0x80000000, v34
	v_lshl_add_u32 v38, v38, 23, v48
	v_or3_b32 v47, v34, v38, v47
.LBB448_96:
	s_or_b64 exec, exec, s[22:23]
.LBB448_97:
	s_or_b64 exec, exec, s[20:21]
.LBB448_98:
	s_or_b64 exec, exec, s[10:11]
	s_movk_i32 s2, 0xff
	v_and_b32_sdwa v38, v37, s2 dst_sel:DWORD dst_unused:UNUSED_PAD src0_sel:WORD_1 src1_sel:DWORD
	v_lshrrev_b32_e32 v34, 16, v37
	v_cmp_ne_u16_e64 s[2:3], 0, v38
	s_and_saveexec_b64 s[10:11], s[2:3]
	s_cbranch_execz .LBB448_104
; %bb.99:
	s_movk_i32 s2, 0x80
	v_cmp_ne_u16_e64 s[2:3], s2, v38
	v_bfrev_b32_e32 v46, 1
	s_and_saveexec_b64 s[20:21], s[2:3]
	s_cbranch_execz .LBB448_103
; %bb.100:
	v_bfe_u32 v38, v37, 16, 7
	s_movk_i32 s2, 0x7f
	v_cmp_ne_u32_e64 s[2:3], s2, v38
	v_mov_b32_e32 v46, 0x7f800001
	s_and_saveexec_b64 s[22:23], s[2:3]
	s_cbranch_execz .LBB448_102
; %bb.101:
	v_and_b32_e32 v46, 7, v34
	v_ffbh_u32_e32 v48, v46
	v_min_u32_e32 v51, 32, v48
	v_subrev_u32_e32 v48, 28, v51
	v_lshlrev_b64 v[48:49], v48, v[34:35]
	v_and_b32_e32 v48, 7, v48
	v_cmp_gt_u32_e64 s[2:3], 8, v38
	v_lshrrev_b32_e32 v50, 3, v38
	v_sub_u32_e32 v34, 29, v51
	v_cndmask_b32_e64 v38, v46, v48, s[2:3]
	v_mov_b32_e32 v46, 24
	v_cndmask_b32_e64 v34, v50, v34, s[2:3]
	v_lshlrev_b32_sdwa v46, v46, v37 dst_sel:DWORD dst_unused:UNUSED_PAD src0_sel:DWORD src1_sel:WORD_1
	v_bfrev_b32_e32 v48, 60
	v_lshlrev_b32_e32 v38, 20, v38
	v_and_b32_e32 v46, 0x80000000, v46
	v_lshl_add_u32 v34, v34, 23, v48
	v_or3_b32 v46, v46, v34, v38
.LBB448_102:
	s_or_b64 exec, exec, s[22:23]
.LBB448_103:
	s_or_b64 exec, exec, s[20:21]
.LBB448_104:
	s_or_b64 exec, exec, s[10:11]
	s_mov_b32 s2, -1
	s_mov_b32 s3, 0xffffff
	v_cmp_lt_u64_e64 s[2:3], s[2:3], v[36:37]
	v_mov_b32_e32 v38, 0
	v_mov_b32_e32 v36, 0
	s_and_saveexec_b64 s[10:11], s[2:3]
	s_cbranch_execz .LBB448_110
; %bb.105:
	v_lshrrev_b32_e32 v34, 24, v37
	s_movk_i32 s2, 0x80
	v_cmp_ne_u32_e64 s[2:3], s2, v34
	v_bfrev_b32_e32 v36, 1
	s_and_saveexec_b64 s[20:21], s[2:3]
	s_cbranch_execz .LBB448_109
; %bb.106:
	v_bfe_u32 v37, v37, 24, 7
	s_movk_i32 s2, 0x7f
	v_cmp_ne_u32_e64 s[2:3], s2, v37
	v_mov_b32_e32 v36, 0x7f800001
	s_and_saveexec_b64 s[22:23], s[2:3]
	s_cbranch_execz .LBB448_108
; %bb.107:
	v_and_b32_e32 v36, 7, v34
	v_ffbh_u32_e32 v48, v36
	v_min_u32_e32 v51, 32, v48
	v_subrev_u32_e32 v48, 28, v51
	v_lshlrev_b64 v[48:49], v48, v[34:35]
	v_lshrrev_b32_e32 v50, 3, v37
	v_sub_u32_e32 v49, 29, v51
	v_and_b32_e32 v48, 7, v48
	v_cmp_gt_u32_e64 s[2:3], 8, v37
	v_cndmask_b32_e64 v37, v50, v49, s[2:3]
	v_cndmask_b32_e64 v36, v36, v48, s[2:3]
	v_lshlrev_b32_e32 v34, 24, v34
	v_bfrev_b32_e32 v48, 60
	v_lshlrev_b32_e32 v36, 20, v36
	v_and_b32_e32 v34, 0x80000000, v34
	v_lshl_add_u32 v37, v37, 23, v48
	v_or3_b32 v36, v34, v37, v36
.LBB448_108:
	s_or_b64 exec, exec, s[22:23]
.LBB448_109:
	s_or_b64 exec, exec, s[20:21]
.LBB448_110:
	s_or_b64 exec, exec, s[10:11]
	v_cvt_pkrtz_f16_f32 v48, v39, v41
	v_cvt_pkrtz_f16_f32 v49, v40, v45
	v_cvt_pkrtz_f16_f32 v34, v35, v47
	v_cvt_pkrtz_f16_f32 v35, v46, v36
	v_mfma_f32_4x4x4f16 a[0:3], v[18:19], v[48:49], a[0:3] cbsz:4 abid:1
	s_waitcnt vmcnt(6)
	v_cmp_ne_u16_sdwa s[2:3], v30, v38 src0_sel:BYTE_0 src1_sel:DWORD
	v_mfma_f32_4x4x4f16 a[0:3], v[20:21], v[34:35], a[0:3] cbsz:4 abid:1
	s_and_saveexec_b64 s[10:11], s[2:3]
	s_cbranch_execz .LBB448_116
; %bb.111:
	s_movk_i32 s2, 0x80
	v_cmp_ne_u16_sdwa s[2:3], v30, s2 src0_sel:BYTE_0 src1_sel:DWORD
	v_bfrev_b32_e32 v38, 1
	s_and_saveexec_b64 s[20:21], s[2:3]
	s_cbranch_execz .LBB448_115
; %bb.112:
	s_movk_i32 s2, 0x7f
	v_and_b32_e32 v34, 0x7f, v30
	v_cmp_ne_u32_e64 s[2:3], s2, v34
	v_mov_b32_e32 v38, 0x7f800001
	s_and_saveexec_b64 s[22:23], s[2:3]
	s_cbranch_execz .LBB448_114
; %bb.113:
	v_and_b32_e32 v35, 7, v30
	v_ffbh_u32_e32 v35, v35
	v_min_u32_e32 v35, 32, v35
	v_subrev_u32_e32 v37, 28, v35
	v_cmp_gt_u32_e64 s[2:3], 8, v34
	v_lshrrev_b32_e32 v36, 3, v34
	v_sub_u32_e32 v35, 29, v35
	v_cndmask_b32_e64 v34, 0, v37, s[2:3]
	v_cndmask_b32_e64 v36, v36, v35, s[2:3]
	v_lshlrev_b64 v[34:35], v34, v[30:31]
	v_lshlrev_b32_e32 v34, 20, v34
	v_lshlrev_b32_e32 v35, 24, v30
	v_bfrev_b32_e32 v37, 60
	v_and_b32_e32 v34, 0x700000, v34
	v_and_b32_e32 v35, 0x80000000, v35
	v_lshl_add_u32 v36, v36, 23, v37
	v_or3_b32 v38, v35, v36, v34
.LBB448_114:
	s_or_b64 exec, exec, s[22:23]
.LBB448_115:
	s_or_b64 exec, exec, s[20:21]
.LBB448_116:
	s_or_b64 exec, exec, s[10:11]
	v_lshrrev_b16_e32 v34, 8, v30
	v_cmp_ne_u16_e64 s[2:3], 0, v34
	v_mov_b32_e32 v37, 0
	v_mov_b32_e32 v39, 0
	s_and_saveexec_b64 s[10:11], s[2:3]
	s_cbranch_execz .LBB448_122
; %bb.117:
	s_movk_i32 s2, 0x80
	v_cmp_ne_u16_e64 s[2:3], s2, v34
	v_bfrev_b32_e32 v39, 1
	s_and_saveexec_b64 s[20:21], s[2:3]
	s_cbranch_execz .LBB448_121
; %bb.118:
	s_movk_i32 s2, 0x7f
	v_and_b32_e32 v35, 0x7f, v34
	v_cmp_ne_u32_e64 s[2:3], s2, v35
	v_mov_b32_e32 v39, 0x7f800001
	s_and_saveexec_b64 s[22:23], s[2:3]
	s_cbranch_execz .LBB448_120
; %bb.119:
	v_and_b32_e32 v36, 7, v34
	v_ffbh_u32_e32 v40, v36
	v_min_u32_e32 v45, 32, v40
	v_subrev_u32_e32 v40, 28, v45
	v_lshlrev_b64 v[40:41], v40, v[34:35]
	v_lshrrev_b32_e32 v39, 3, v35
	v_sub_u32_e32 v34, 29, v45
	v_and_b32_e32 v40, 7, v40
	v_cmp_gt_u32_e64 s[2:3], 8, v35
	v_cndmask_b32_e64 v34, v39, v34, s[2:3]
	v_cndmask_b32_e64 v35, v36, v40, s[2:3]
	v_lshlrev_b32_e32 v36, 16, v30
	v_bfrev_b32_e32 v39, 60
	v_lshlrev_b32_e32 v35, 20, v35
	v_and_b32_e32 v36, 0x80000000, v36
	v_lshl_add_u32 v34, v34, 23, v39
	v_or3_b32 v39, v36, v34, v35
.LBB448_120:
	s_or_b64 exec, exec, s[22:23]
.LBB448_121:
	s_or_b64 exec, exec, s[20:21]
.LBB448_122:
	s_or_b64 exec, exec, s[10:11]
	s_movk_i32 s2, 0xff
	v_and_b32_sdwa v35, v30, s2 dst_sel:DWORD dst_unused:UNUSED_PAD src0_sel:WORD_1 src1_sel:DWORD
	v_lshrrev_b32_e32 v34, 16, v30
	v_cmp_ne_u16_e64 s[2:3], 0, v35
	s_and_saveexec_b64 s[10:11], s[2:3]
	s_cbranch_execz .LBB448_128
; %bb.123:
	s_movk_i32 s2, 0x80
	v_cmp_ne_u16_e64 s[2:3], s2, v35
	v_bfrev_b32_e32 v37, 1
	s_and_saveexec_b64 s[20:21], s[2:3]
	s_cbranch_execz .LBB448_127
; %bb.124:
	v_bfe_u32 v35, v30, 16, 7
	s_movk_i32 s2, 0x7f
	v_cmp_ne_u32_e64 s[2:3], s2, v35
	v_mov_b32_e32 v37, 0x7f800001
	s_and_saveexec_b64 s[22:23], s[2:3]
	s_cbranch_execz .LBB448_126
; %bb.125:
	v_and_b32_e32 v40, 7, v34
	v_ffbh_u32_e32 v36, v40
	v_min_u32_e32 v45, 32, v36
	v_subrev_u32_e32 v36, 28, v45
	v_lshlrev_b64 v[36:37], v36, v[34:35]
	v_and_b32_e32 v36, 7, v36
	v_cmp_gt_u32_e64 s[2:3], 8, v35
	v_lshrrev_b32_e32 v41, 3, v35
	v_sub_u32_e32 v34, 29, v45
	v_cndmask_b32_e64 v35, v40, v36, s[2:3]
	v_mov_b32_e32 v36, 24
	v_cndmask_b32_e64 v34, v41, v34, s[2:3]
	v_lshlrev_b32_sdwa v36, v36, v30 dst_sel:DWORD dst_unused:UNUSED_PAD src0_sel:DWORD src1_sel:WORD_1
	v_bfrev_b32_e32 v37, 60
	v_lshlrev_b32_e32 v35, 20, v35
	v_and_b32_e32 v36, 0x80000000, v36
	v_lshl_add_u32 v34, v34, 23, v37
	v_or3_b32 v37, v36, v34, v35
.LBB448_126:
	s_or_b64 exec, exec, s[22:23]
.LBB448_127:
	s_or_b64 exec, exec, s[20:21]
.LBB448_128:
	s_or_b64 exec, exec, s[10:11]
	s_mov_b32 s2, 0xffffff
	v_cmp_lt_u32_e64 s[2:3], s2, v30
	v_mov_b32_e32 v35, 0
	v_mov_b32_e32 v40, 0
	s_and_saveexec_b64 s[10:11], s[2:3]
	s_cbranch_execz .LBB448_134
; %bb.129:
	v_lshrrev_b32_e32 v34, 24, v30
	s_movk_i32 s2, 0x80
	v_cmp_ne_u32_e64 s[2:3], s2, v34
	v_bfrev_b32_e32 v40, 1
	s_and_saveexec_b64 s[20:21], s[2:3]
	s_cbranch_execz .LBB448_133
; %bb.130:
	v_bfe_u32 v36, v30, 24, 7
	s_movk_i32 s2, 0x7f
	v_cmp_ne_u32_e64 s[2:3], s2, v36
	v_mov_b32_e32 v40, 0x7f800001
	s_and_saveexec_b64 s[22:23], s[2:3]
	s_cbranch_execz .LBB448_132
; %bb.131:
	v_and_b32_e32 v45, 7, v34
	v_ffbh_u32_e32 v40, v45
	v_min_u32_e32 v47, 32, v40
	v_subrev_u32_e32 v40, 28, v47
	v_lshlrev_b64 v[40:41], v40, v[34:35]
	v_lshrrev_b32_e32 v46, 3, v36
	v_sub_u32_e32 v41, 29, v47
	v_and_b32_e32 v40, 7, v40
	v_cmp_gt_u32_e64 s[2:3], 8, v36
	v_cndmask_b32_e64 v36, v46, v41, s[2:3]
	v_cndmask_b32_e64 v40, v45, v40, s[2:3]
	v_lshlrev_b32_e32 v34, 24, v34
	v_bfrev_b32_e32 v41, 60
	v_lshlrev_b32_e32 v40, 20, v40
	v_and_b32_e32 v34, 0x80000000, v34
	v_lshl_add_u32 v36, v36, 23, v41
	v_or3_b32 v40, v34, v36, v40
.LBB448_132:
	s_or_b64 exec, exec, s[22:23]
.LBB448_133:
	s_or_b64 exec, exec, s[20:21]
.LBB448_134:
	s_or_b64 exec, exec, s[10:11]
	v_mov_b32_e32 v34, v31
	v_cmp_ne_u16_sdwa s[2:3], v31, v35 src0_sel:BYTE_0 src1_sel:DWORD
	s_and_saveexec_b64 s[10:11], s[2:3]
	s_cbranch_execz .LBB448_140
; %bb.135:
	s_movk_i32 s2, 0x80
	v_cmp_ne_u16_sdwa s[2:3], v31, s2 src0_sel:BYTE_0 src1_sel:DWORD
	v_bfrev_b32_e32 v36, 1
	s_and_saveexec_b64 s[20:21], s[2:3]
	s_cbranch_execz .LBB448_139
; %bb.136:
	s_movk_i32 s2, 0x7f
	v_and_b32_e32 v41, 0x7f, v31
	v_cmp_ne_u32_e64 s[2:3], s2, v41
	v_mov_b32_e32 v36, 0x7f800001
	s_and_saveexec_b64 s[22:23], s[2:3]
	s_cbranch_execz .LBB448_138
; %bb.137:
	v_and_b32_e32 v36, 7, v31
	v_ffbh_u32_e32 v36, v36
	v_min_u32_e32 v36, 32, v36
	v_subrev_u32_e32 v46, 28, v36
	v_cmp_gt_u32_e64 s[2:3], 8, v41
	v_lshrrev_b32_e32 v45, 3, v41
	v_cndmask_b32_e64 v41, 0, v46, s[2:3]
	v_sub_u32_e32 v36, 29, v36
	v_lshlrev_b64 v[46:47], v41, v[34:35]
	v_cndmask_b32_e64 v36, v45, v36, s[2:3]
	v_lshlrev_b32_e32 v35, 20, v46
	v_lshlrev_b32_e32 v41, 24, v34
	v_bfrev_b32_e32 v45, 60
	v_and_b32_e32 v35, 0x700000, v35
	v_and_b32_e32 v41, 0x80000000, v41
	v_lshl_add_u32 v36, v36, 23, v45
	v_or3_b32 v36, v41, v36, v35
.LBB448_138:
	s_or_b64 exec, exec, s[22:23]
.LBB448_139:
	s_or_b64 exec, exec, s[20:21]
	v_mov_b32_e32 v35, v36
.LBB448_140:
	s_or_b64 exec, exec, s[10:11]
	v_lshrrev_b16_e32 v36, 8, v34
	v_cmp_ne_u16_e64 s[2:3], 0, v36
	v_mov_b32_e32 v41, 0
	v_mov_b32_e32 v45, 0
	s_and_saveexec_b64 s[10:11], s[2:3]
	s_cbranch_execz .LBB448_146
; %bb.141:
	s_movk_i32 s2, 0x80
	v_cmp_ne_u16_e64 s[2:3], s2, v36
	v_bfrev_b32_e32 v45, 1
	s_and_saveexec_b64 s[20:21], s[2:3]
	s_cbranch_execz .LBB448_145
; %bb.142:
	s_movk_i32 s2, 0x7f
	v_and_b32_e32 v46, 0x7f, v36
	v_cmp_ne_u32_e64 s[2:3], s2, v46
	v_mov_b32_e32 v45, 0x7f800001
	s_and_saveexec_b64 s[22:23], s[2:3]
	s_cbranch_execz .LBB448_144
; %bb.143:
	v_and_b32_e32 v45, 7, v36
	v_ffbh_u32_e32 v48, v45
	v_min_u32_e32 v50, 32, v48
	v_subrev_u32_e32 v48, 28, v50
	v_lshlrev_b64 v[48:49], v48, v[36:37]
	v_lshrrev_b32_e32 v47, 3, v46
	v_sub_u32_e32 v36, 29, v50
	v_and_b32_e32 v48, 7, v48
	v_cmp_gt_u32_e64 s[2:3], 8, v46
	v_cndmask_b32_e64 v36, v47, v36, s[2:3]
	v_cndmask_b32_e64 v45, v45, v48, s[2:3]
	v_lshlrev_b32_e32 v34, 16, v34
	v_bfrev_b32_e32 v46, 60
	v_lshlrev_b32_e32 v45, 20, v45
	v_and_b32_e32 v34, 0x80000000, v34
	v_lshl_add_u32 v36, v36, 23, v46
	v_or3_b32 v45, v34, v36, v45
.LBB448_144:
	s_or_b64 exec, exec, s[22:23]
.LBB448_145:
	s_or_b64 exec, exec, s[20:21]
.LBB448_146:
	s_or_b64 exec, exec, s[10:11]
	s_movk_i32 s2, 0xff
	v_and_b32_sdwa v36, v31, s2 dst_sel:DWORD dst_unused:UNUSED_PAD src0_sel:WORD_1 src1_sel:DWORD
	v_lshrrev_b32_e32 v34, 16, v31
	v_cmp_ne_u16_e64 s[2:3], 0, v36
	s_and_saveexec_b64 s[10:11], s[2:3]
	s_cbranch_execz .LBB448_152
; %bb.147:
	s_movk_i32 s2, 0x80
	v_cmp_ne_u16_e64 s[2:3], s2, v36
	v_bfrev_b32_e32 v41, 1
	s_and_saveexec_b64 s[20:21], s[2:3]
	s_cbranch_execz .LBB448_151
; %bb.148:
	v_bfe_u32 v36, v31, 16, 7
	s_movk_i32 s2, 0x7f
	v_cmp_ne_u32_e64 s[2:3], s2, v36
	v_mov_b32_e32 v41, 0x7f800001
	s_and_saveexec_b64 s[22:23], s[2:3]
	s_cbranch_execz .LBB448_150
; %bb.149:
	v_and_b32_e32 v41, 7, v34
	v_ffbh_u32_e32 v46, v41
	v_min_u32_e32 v49, 32, v46
	v_subrev_u32_e32 v46, 28, v49
	v_lshlrev_b64 v[46:47], v46, v[34:35]
	v_and_b32_e32 v46, 7, v46
	v_cmp_gt_u32_e64 s[2:3], 8, v36
	v_lshrrev_b32_e32 v48, 3, v36
	v_sub_u32_e32 v34, 29, v49
	v_cndmask_b32_e64 v36, v41, v46, s[2:3]
	v_mov_b32_e32 v41, 24
	v_cndmask_b32_e64 v34, v48, v34, s[2:3]
	v_lshlrev_b32_sdwa v41, v41, v31 dst_sel:DWORD dst_unused:UNUSED_PAD src0_sel:DWORD src1_sel:WORD_1
	v_bfrev_b32_e32 v46, 60
	v_lshlrev_b32_e32 v36, 20, v36
	v_and_b32_e32 v41, 0x80000000, v41
	v_lshl_add_u32 v34, v34, 23, v46
	v_or3_b32 v41, v41, v34, v36
.LBB448_150:
	s_or_b64 exec, exec, s[22:23]
.LBB448_151:
	s_or_b64 exec, exec, s[20:21]
.LBB448_152:
	s_or_b64 exec, exec, s[10:11]
	s_mov_b32 s2, -1
	s_mov_b32 s3, 0xffffff
	v_cmp_lt_u64_e64 s[2:3], s[2:3], v[30:31]
	v_mov_b32_e32 v36, 0
	v_mov_b32_e32 v34, 0
	s_and_saveexec_b64 s[10:11], s[2:3]
	s_cbranch_execz .LBB448_158
; %bb.153:
	v_lshrrev_b32_e32 v30, 24, v31
	s_movk_i32 s2, 0x80
	v_cmp_ne_u32_e64 s[2:3], s2, v30
	v_bfrev_b32_e32 v34, 1
	s_and_saveexec_b64 s[20:21], s[2:3]
	s_cbranch_execz .LBB448_157
; %bb.154:
	v_bfe_u32 v31, v31, 24, 7
	s_movk_i32 s2, 0x7f
	v_cmp_ne_u32_e64 s[2:3], s2, v31
	v_mov_b32_e32 v34, 0x7f800001
	s_and_saveexec_b64 s[22:23], s[2:3]
	s_cbranch_execz .LBB448_156
; %bb.155:
	v_and_b32_e32 v34, 7, v30
	v_ffbh_u32_e32 v46, v34
	v_min_u32_e32 v49, 32, v46
	v_subrev_u32_e32 v46, 28, v49
	v_lshlrev_b64 v[46:47], v46, v[30:31]
	v_lshrrev_b32_e32 v48, 3, v31
	v_sub_u32_e32 v47, 29, v49
	v_and_b32_e32 v46, 7, v46
	v_cmp_gt_u32_e64 s[2:3], 8, v31
	v_cndmask_b32_e64 v31, v48, v47, s[2:3]
	v_cndmask_b32_e64 v34, v34, v46, s[2:3]
	v_lshlrev_b32_e32 v30, 24, v30
	v_bfrev_b32_e32 v46, 60
	v_lshlrev_b32_e32 v34, 20, v34
	v_and_b32_e32 v30, 0x80000000, v30
	v_lshl_add_u32 v31, v31, 23, v46
	v_or3_b32 v34, v30, v31, v34
.LBB448_156:
	s_or_b64 exec, exec, s[22:23]
.LBB448_157:
	s_or_b64 exec, exec, s[20:21]
.LBB448_158:
	s_or_b64 exec, exec, s[10:11]
	v_cvt_pkrtz_f16_f32 v30, v38, v39
	v_cvt_pkrtz_f16_f32 v31, v37, v40
	;; [unrolled: 1-line block ×4, first 2 shown]
	v_mfma_f32_4x4x4f16 a[0:3], v[18:19], v[30:31], a[0:3] cbsz:4 abid:2
	v_cmp_ne_u16_sdwa s[2:3], v32, v36 src0_sel:BYTE_0 src1_sel:DWORD
	v_mfma_f32_4x4x4f16 a[0:3], v[20:21], v[38:39], a[0:3] cbsz:4 abid:2
	s_and_saveexec_b64 s[10:11], s[2:3]
	s_cbranch_execz .LBB448_164
; %bb.159:
	s_movk_i32 s2, 0x80
	v_cmp_ne_u16_sdwa s[2:3], v32, s2 src0_sel:BYTE_0 src1_sel:DWORD
	v_bfrev_b32_e32 v36, 1
	s_and_saveexec_b64 s[20:21], s[2:3]
	s_cbranch_execz .LBB448_163
; %bb.160:
	s_movk_i32 s2, 0x7f
	v_and_b32_e32 v30, 0x7f, v32
	v_cmp_ne_u32_e64 s[2:3], s2, v30
	v_mov_b32_e32 v36, 0x7f800001
	s_and_saveexec_b64 s[22:23], s[2:3]
	s_cbranch_execz .LBB448_162
; %bb.161:
	v_and_b32_e32 v31, 7, v32
	v_ffbh_u32_e32 v31, v31
	v_min_u32_e32 v31, 32, v31
	v_subrev_u32_e32 v35, 28, v31
	v_cmp_gt_u32_e64 s[2:3], 8, v30
	v_lshrrev_b32_e32 v34, 3, v30
	v_sub_u32_e32 v31, 29, v31
	v_cndmask_b32_e64 v30, 0, v35, s[2:3]
	v_cndmask_b32_e64 v34, v34, v31, s[2:3]
	v_lshlrev_b64 v[30:31], v30, v[32:33]
	v_lshlrev_b32_e32 v30, 20, v30
	v_lshlrev_b32_e32 v31, 24, v32
	v_bfrev_b32_e32 v35, 60
	v_and_b32_e32 v30, 0x700000, v30
	v_and_b32_e32 v31, 0x80000000, v31
	v_lshl_add_u32 v34, v34, 23, v35
	v_or3_b32 v36, v31, v34, v30
.LBB448_162:
	s_or_b64 exec, exec, s[22:23]
.LBB448_163:
	s_or_b64 exec, exec, s[20:21]
.LBB448_164:
	s_or_b64 exec, exec, s[10:11]
	v_lshrrev_b16_e32 v30, 8, v32
	v_cmp_ne_u16_e64 s[2:3], 0, v30
	v_mov_b32_e32 v35, 0
	v_mov_b32_e32 v37, 0
	s_and_saveexec_b64 s[10:11], s[2:3]
	s_cbranch_execz .LBB448_170
; %bb.165:
	s_movk_i32 s2, 0x80
	v_cmp_ne_u16_e64 s[2:3], s2, v30
	v_bfrev_b32_e32 v37, 1
	s_and_saveexec_b64 s[20:21], s[2:3]
	s_cbranch_execz .LBB448_169
; %bb.166:
	s_movk_i32 s2, 0x7f
	v_and_b32_e32 v31, 0x7f, v30
	v_cmp_ne_u32_e64 s[2:3], s2, v31
	v_mov_b32_e32 v37, 0x7f800001
	s_and_saveexec_b64 s[22:23], s[2:3]
	s_cbranch_execz .LBB448_168
; %bb.167:
	v_and_b32_e32 v34, 7, v30
	v_ffbh_u32_e32 v38, v34
	v_min_u32_e32 v40, 32, v38
	v_subrev_u32_e32 v38, 28, v40
	v_lshlrev_b64 v[38:39], v38, v[30:31]
	v_lshrrev_b32_e32 v37, 3, v31
	v_sub_u32_e32 v30, 29, v40
	v_and_b32_e32 v38, 7, v38
	v_cmp_gt_u32_e64 s[2:3], 8, v31
	v_cndmask_b32_e64 v30, v37, v30, s[2:3]
	v_cndmask_b32_e64 v31, v34, v38, s[2:3]
	v_lshlrev_b32_e32 v34, 16, v32
	v_bfrev_b32_e32 v37, 60
	v_lshlrev_b32_e32 v31, 20, v31
	v_and_b32_e32 v34, 0x80000000, v34
	v_lshl_add_u32 v30, v30, 23, v37
	v_or3_b32 v37, v34, v30, v31
.LBB448_168:
	s_or_b64 exec, exec, s[22:23]
.LBB448_169:
	s_or_b64 exec, exec, s[20:21]
.LBB448_170:
	s_or_b64 exec, exec, s[10:11]
	s_movk_i32 s2, 0xff
	v_and_b32_sdwa v31, v32, s2 dst_sel:DWORD dst_unused:UNUSED_PAD src0_sel:WORD_1 src1_sel:DWORD
	v_lshrrev_b32_e32 v30, 16, v32
	v_cmp_ne_u16_e64 s[2:3], 0, v31
	s_and_saveexec_b64 s[10:11], s[2:3]
	s_cbranch_execz .LBB448_176
; %bb.171:
	s_movk_i32 s2, 0x80
	v_cmp_ne_u16_e64 s[2:3], s2, v31
	v_bfrev_b32_e32 v35, 1
	s_and_saveexec_b64 s[20:21], s[2:3]
	s_cbranch_execz .LBB448_175
; %bb.172:
	v_bfe_u32 v31, v32, 16, 7
	s_movk_i32 s2, 0x7f
	v_cmp_ne_u32_e64 s[2:3], s2, v31
	v_mov_b32_e32 v35, 0x7f800001
	s_and_saveexec_b64 s[22:23], s[2:3]
	s_cbranch_execz .LBB448_174
; %bb.173:
	v_and_b32_e32 v38, 7, v30
	v_ffbh_u32_e32 v34, v38
	v_min_u32_e32 v40, 32, v34
	v_subrev_u32_e32 v34, 28, v40
	v_lshlrev_b64 v[34:35], v34, v[30:31]
	v_and_b32_e32 v34, 7, v34
	v_cmp_gt_u32_e64 s[2:3], 8, v31
	v_lshrrev_b32_e32 v39, 3, v31
	v_sub_u32_e32 v30, 29, v40
	v_cndmask_b32_e64 v31, v38, v34, s[2:3]
	v_mov_b32_e32 v34, 24
	v_cndmask_b32_e64 v30, v39, v30, s[2:3]
	v_lshlrev_b32_sdwa v34, v34, v32 dst_sel:DWORD dst_unused:UNUSED_PAD src0_sel:DWORD src1_sel:WORD_1
	v_bfrev_b32_e32 v35, 60
	v_lshlrev_b32_e32 v31, 20, v31
	v_and_b32_e32 v34, 0x80000000, v34
	v_lshl_add_u32 v30, v30, 23, v35
	v_or3_b32 v35, v34, v30, v31
.LBB448_174:
	s_or_b64 exec, exec, s[22:23]
.LBB448_175:
	s_or_b64 exec, exec, s[20:21]
.LBB448_176:
	s_or_b64 exec, exec, s[10:11]
	s_mov_b32 s2, 0xffffff
	v_cmp_lt_u32_e64 s[2:3], s2, v32
	v_mov_b32_e32 v31, 0
	v_mov_b32_e32 v38, 0
	s_and_saveexec_b64 s[10:11], s[2:3]
	s_cbranch_execz .LBB448_182
; %bb.177:
	v_lshrrev_b32_e32 v30, 24, v32
	s_movk_i32 s2, 0x80
	v_cmp_ne_u32_e64 s[2:3], s2, v30
	v_bfrev_b32_e32 v38, 1
	s_and_saveexec_b64 s[20:21], s[2:3]
	s_cbranch_execz .LBB448_181
; %bb.178:
	v_bfe_u32 v34, v32, 24, 7
	s_movk_i32 s2, 0x7f
	v_cmp_ne_u32_e64 s[2:3], s2, v34
	v_mov_b32_e32 v38, 0x7f800001
	s_and_saveexec_b64 s[22:23], s[2:3]
	s_cbranch_execz .LBB448_180
; %bb.179:
	v_and_b32_e32 v40, 7, v30
	v_ffbh_u32_e32 v38, v40
	v_min_u32_e32 v45, 32, v38
	v_subrev_u32_e32 v38, 28, v45
	v_lshlrev_b64 v[38:39], v38, v[30:31]
	v_lshrrev_b32_e32 v41, 3, v34
	v_sub_u32_e32 v39, 29, v45
	v_and_b32_e32 v38, 7, v38
	v_cmp_gt_u32_e64 s[2:3], 8, v34
	v_cndmask_b32_e64 v34, v41, v39, s[2:3]
	v_cndmask_b32_e64 v38, v40, v38, s[2:3]
	v_lshlrev_b32_e32 v30, 24, v30
	v_bfrev_b32_e32 v39, 60
	v_lshlrev_b32_e32 v38, 20, v38
	v_and_b32_e32 v30, 0x80000000, v30
	v_lshl_add_u32 v34, v34, 23, v39
	v_or3_b32 v38, v30, v34, v38
.LBB448_180:
	s_or_b64 exec, exec, s[22:23]
.LBB448_181:
	s_or_b64 exec, exec, s[20:21]
.LBB448_182:
	s_or_b64 exec, exec, s[10:11]
	v_mov_b32_e32 v30, v33
	v_cmp_ne_u16_sdwa s[2:3], v33, v31 src0_sel:BYTE_0 src1_sel:DWORD
	s_and_saveexec_b64 s[10:11], s[2:3]
	s_cbranch_execz .LBB448_188
; %bb.183:
	s_movk_i32 s2, 0x80
	v_cmp_ne_u16_sdwa s[2:3], v33, s2 src0_sel:BYTE_0 src1_sel:DWORD
	v_bfrev_b32_e32 v34, 1
	s_and_saveexec_b64 s[20:21], s[2:3]
	s_cbranch_execz .LBB448_187
; %bb.184:
	s_movk_i32 s2, 0x7f
	v_and_b32_e32 v39, 0x7f, v33
	v_cmp_ne_u32_e64 s[2:3], s2, v39
	v_mov_b32_e32 v34, 0x7f800001
	s_and_saveexec_b64 s[22:23], s[2:3]
	s_cbranch_execz .LBB448_186
; %bb.185:
	v_and_b32_e32 v34, 7, v33
	v_ffbh_u32_e32 v34, v34
	v_min_u32_e32 v34, 32, v34
	v_subrev_u32_e32 v41, 28, v34
	v_cmp_gt_u32_e64 s[2:3], 8, v39
	v_lshrrev_b32_e32 v40, 3, v39
	v_sub_u32_e32 v34, 29, v34
	v_cndmask_b32_e64 v39, 0, v41, s[2:3]
	v_cndmask_b32_e64 v34, v40, v34, s[2:3]
	v_lshlrev_b64 v[40:41], v39, v[30:31]
	v_lshlrev_b32_e32 v31, 20, v40
	v_lshlrev_b32_e32 v39, 24, v30
	v_bfrev_b32_e32 v40, 60
	v_and_b32_e32 v31, 0x700000, v31
	v_and_b32_e32 v39, 0x80000000, v39
	v_lshl_add_u32 v34, v34, 23, v40
	v_or3_b32 v34, v39, v34, v31
.LBB448_186:
	s_or_b64 exec, exec, s[22:23]
.LBB448_187:
	s_or_b64 exec, exec, s[20:21]
	v_mov_b32_e32 v31, v34
.LBB448_188:
	s_or_b64 exec, exec, s[10:11]
	v_lshrrev_b16_e32 v34, 8, v30
	v_cmp_ne_u16_e64 s[2:3], 0, v34
	v_mov_b32_e32 v39, 0
	v_mov_b32_e32 v40, 0
	s_and_saveexec_b64 s[10:11], s[2:3]
	s_cbranch_execz .LBB448_194
; %bb.189:
	s_movk_i32 s2, 0x80
	v_cmp_ne_u16_e64 s[2:3], s2, v34
	v_bfrev_b32_e32 v40, 1
	s_and_saveexec_b64 s[20:21], s[2:3]
	s_cbranch_execz .LBB448_193
; %bb.190:
	s_movk_i32 s2, 0x7f
	v_and_b32_e32 v41, 0x7f, v34
	v_cmp_ne_u32_e64 s[2:3], s2, v41
	v_mov_b32_e32 v40, 0x7f800001
	s_and_saveexec_b64 s[22:23], s[2:3]
	s_cbranch_execz .LBB448_192
; %bb.191:
	v_and_b32_e32 v40, 7, v34
	v_ffbh_u32_e32 v46, v40
	v_min_u32_e32 v48, 32, v46
	v_subrev_u32_e32 v46, 28, v48
	v_lshlrev_b64 v[46:47], v46, v[34:35]
	v_lshrrev_b32_e32 v45, 3, v41
	v_sub_u32_e32 v34, 29, v48
	v_and_b32_e32 v46, 7, v46
	v_cmp_gt_u32_e64 s[2:3], 8, v41
	v_cndmask_b32_e64 v34, v45, v34, s[2:3]
	v_cndmask_b32_e64 v40, v40, v46, s[2:3]
	v_lshlrev_b32_e32 v30, 16, v30
	v_bfrev_b32_e32 v41, 60
	v_lshlrev_b32_e32 v40, 20, v40
	v_and_b32_e32 v30, 0x80000000, v30
	v_lshl_add_u32 v34, v34, 23, v41
	v_or3_b32 v40, v30, v34, v40
.LBB448_192:
	s_or_b64 exec, exec, s[22:23]
.LBB448_193:
	s_or_b64 exec, exec, s[20:21]
.LBB448_194:
	s_or_b64 exec, exec, s[10:11]
	s_movk_i32 s2, 0xff
	v_and_b32_sdwa v34, v33, s2 dst_sel:DWORD dst_unused:UNUSED_PAD src0_sel:WORD_1 src1_sel:DWORD
	v_lshrrev_b32_e32 v30, 16, v33
	v_cmp_ne_u16_e64 s[2:3], 0, v34
	s_and_saveexec_b64 s[10:11], s[2:3]
	s_cbranch_execz .LBB448_200
; %bb.195:
	s_movk_i32 s2, 0x80
	v_cmp_ne_u16_e64 s[2:3], s2, v34
	v_bfrev_b32_e32 v39, 1
	s_and_saveexec_b64 s[20:21], s[2:3]
	s_cbranch_execz .LBB448_199
; %bb.196:
	v_bfe_u32 v34, v33, 16, 7
	s_movk_i32 s2, 0x7f
	v_cmp_ne_u32_e64 s[2:3], s2, v34
	v_mov_b32_e32 v39, 0x7f800001
	s_and_saveexec_b64 s[22:23], s[2:3]
	s_cbranch_execz .LBB448_198
; %bb.197:
	v_and_b32_e32 v39, 7, v30
	v_ffbh_u32_e32 v45, v39
	v_min_u32_e32 v45, 32, v45
	v_subrev_u32_e32 v46, 28, v45
	v_lshlrev_b64 v[46:47], v46, v[30:31]
	v_sub_u32_e32 v30, 29, v45
	v_and_b32_e32 v45, 7, v46
	v_cmp_gt_u32_e64 s[2:3], 8, v34
	v_lshrrev_b32_e32 v41, 3, v34
	v_cndmask_b32_e64 v34, v39, v45, s[2:3]
	v_mov_b32_e32 v39, 24
	v_cndmask_b32_e64 v30, v41, v30, s[2:3]
	v_lshlrev_b32_sdwa v39, v39, v33 dst_sel:DWORD dst_unused:UNUSED_PAD src0_sel:DWORD src1_sel:WORD_1
	v_bfrev_b32_e32 v41, 60
	v_lshlrev_b32_e32 v34, 20, v34
	v_and_b32_e32 v39, 0x80000000, v39
	v_lshl_add_u32 v30, v30, 23, v41
	v_or3_b32 v39, v39, v30, v34
.LBB448_198:
	s_or_b64 exec, exec, s[22:23]
.LBB448_199:
	s_or_b64 exec, exec, s[20:21]
.LBB448_200:
	s_or_b64 exec, exec, s[10:11]
	s_mov_b32 s2, -1
	s_mov_b32 s3, 0xffffff
	v_cmp_lt_u64_e64 s[2:3], s[2:3], v[32:33]
	v_mov_b32_e32 v34, 0
	v_mov_b32_e32 v32, 0
	s_and_saveexec_b64 s[10:11], s[2:3]
	s_cbranch_execz .LBB448_206
; %bb.201:
	v_lshrrev_b32_e32 v30, 24, v33
	s_movk_i32 s2, 0x80
	v_cmp_ne_u32_e64 s[2:3], s2, v30
	v_bfrev_b32_e32 v32, 1
	s_and_saveexec_b64 s[20:21], s[2:3]
	s_cbranch_execz .LBB448_205
; %bb.202:
	v_bfe_u32 v33, v33, 24, 7
	s_movk_i32 s2, 0x7f
	v_cmp_ne_u32_e64 s[2:3], s2, v33
	v_mov_b32_e32 v32, 0x7f800001
	s_and_saveexec_b64 s[22:23], s[2:3]
	s_cbranch_execz .LBB448_204
; %bb.203:
	v_and_b32_e32 v32, 7, v30
	v_ffbh_u32_e32 v45, v32
	v_min_u32_e32 v45, 32, v45
	v_subrev_u32_e32 v46, 28, v45
	v_lshlrev_b64 v[46:47], v46, v[30:31]
	v_lshrrev_b32_e32 v41, 3, v33
	v_sub_u32_e32 v45, 29, v45
	v_and_b32_e32 v46, 7, v46
	v_cmp_gt_u32_e64 s[2:3], 8, v33
	v_cndmask_b32_e64 v33, v41, v45, s[2:3]
	v_cndmask_b32_e64 v32, v32, v46, s[2:3]
	v_lshlrev_b32_e32 v30, 24, v30
	v_bfrev_b32_e32 v41, 60
	v_lshlrev_b32_e32 v32, 20, v32
	v_and_b32_e32 v30, 0x80000000, v30
	v_lshl_add_u32 v33, v33, 23, v41
	v_or3_b32 v32, v30, v33, v32
.LBB448_204:
	s_or_b64 exec, exec, s[22:23]
.LBB448_205:
	s_or_b64 exec, exec, s[20:21]
.LBB448_206:
	s_or_b64 exec, exec, s[10:11]
	v_cvt_pkrtz_f16_f32 v36, v36, v37
	v_cvt_pkrtz_f16_f32 v37, v35, v38
	;; [unrolled: 1-line block ×4, first 2 shown]
	v_mfma_f32_4x4x4f16 a[0:3], v[18:19], v[36:37], a[0:3] cbsz:4 abid:3
	s_waitcnt vmcnt(5)
	v_cmp_ne_u16_sdwa s[2:3], v26, v34 src0_sel:BYTE_0 src1_sel:DWORD
	v_mfma_f32_4x4x4f16 a[0:3], v[20:21], v[30:31], a[0:3] cbsz:4 abid:3
	s_and_saveexec_b64 s[10:11], s[2:3]
	s_cbranch_execz .LBB448_212
; %bb.207:
	s_movk_i32 s2, 0x80
	v_cmp_ne_u16_sdwa s[2:3], v26, s2 src0_sel:BYTE_0 src1_sel:DWORD
	v_bfrev_b32_e32 v34, 1
	s_and_saveexec_b64 s[20:21], s[2:3]
	s_cbranch_execz .LBB448_211
; %bb.208:
	s_movk_i32 s2, 0x7f
	v_and_b32_e32 v30, 0x7f, v26
	v_cmp_ne_u32_e64 s[2:3], s2, v30
	v_mov_b32_e32 v34, 0x7f800001
	s_and_saveexec_b64 s[22:23], s[2:3]
	s_cbranch_execz .LBB448_210
; %bb.209:
	v_and_b32_e32 v31, 7, v26
	v_ffbh_u32_e32 v31, v31
	v_min_u32_e32 v31, 32, v31
	v_subrev_u32_e32 v33, 28, v31
	v_cmp_gt_u32_e64 s[2:3], 8, v30
	v_lshrrev_b32_e32 v32, 3, v30
	v_sub_u32_e32 v31, 29, v31
	v_cndmask_b32_e64 v30, 0, v33, s[2:3]
	v_cndmask_b32_e64 v32, v32, v31, s[2:3]
	v_lshlrev_b64 v[30:31], v30, v[26:27]
	v_lshlrev_b32_e32 v30, 20, v30
	v_lshlrev_b32_e32 v31, 24, v26
	v_bfrev_b32_e32 v33, 60
	v_and_b32_e32 v30, 0x700000, v30
	v_and_b32_e32 v31, 0x80000000, v31
	v_lshl_add_u32 v32, v32, 23, v33
	v_or3_b32 v34, v31, v32, v30
.LBB448_210:
	s_or_b64 exec, exec, s[22:23]
.LBB448_211:
	s_or_b64 exec, exec, s[20:21]
.LBB448_212:
	s_or_b64 exec, exec, s[10:11]
	v_lshrrev_b16_e32 v30, 8, v26
	v_cmp_ne_u16_e64 s[2:3], 0, v30
	v_mov_b32_e32 v33, 0
	v_mov_b32_e32 v35, 0
	s_and_saveexec_b64 s[10:11], s[2:3]
	s_cbranch_execz .LBB448_218
; %bb.213:
	s_movk_i32 s2, 0x80
	v_cmp_ne_u16_e64 s[2:3], s2, v30
	v_bfrev_b32_e32 v35, 1
	s_and_saveexec_b64 s[20:21], s[2:3]
	s_cbranch_execz .LBB448_217
; %bb.214:
	s_movk_i32 s2, 0x7f
	v_and_b32_e32 v31, 0x7f, v30
	v_cmp_ne_u32_e64 s[2:3], s2, v31
	v_mov_b32_e32 v35, 0x7f800001
	s_and_saveexec_b64 s[22:23], s[2:3]
	s_cbranch_execz .LBB448_216
; %bb.215:
	v_and_b32_e32 v32, 7, v30
	v_ffbh_u32_e32 v36, v32
	v_min_u32_e32 v38, 32, v36
	v_subrev_u32_e32 v36, 28, v38
	v_lshlrev_b64 v[36:37], v36, v[30:31]
	v_lshrrev_b32_e32 v35, 3, v31
	v_sub_u32_e32 v30, 29, v38
	v_and_b32_e32 v36, 7, v36
	v_cmp_gt_u32_e64 s[2:3], 8, v31
	v_cndmask_b32_e64 v30, v35, v30, s[2:3]
	v_cndmask_b32_e64 v31, v32, v36, s[2:3]
	v_lshlrev_b32_e32 v32, 16, v26
	v_bfrev_b32_e32 v35, 60
	v_lshlrev_b32_e32 v31, 20, v31
	v_and_b32_e32 v32, 0x80000000, v32
	v_lshl_add_u32 v30, v30, 23, v35
	v_or3_b32 v35, v32, v30, v31
.LBB448_216:
	s_or_b64 exec, exec, s[22:23]
.LBB448_217:
	s_or_b64 exec, exec, s[20:21]
.LBB448_218:
	s_or_b64 exec, exec, s[10:11]
	s_movk_i32 s2, 0xff
	v_and_b32_sdwa v31, v26, s2 dst_sel:DWORD dst_unused:UNUSED_PAD src0_sel:WORD_1 src1_sel:DWORD
	v_lshrrev_b32_e32 v30, 16, v26
	v_cmp_ne_u16_e64 s[2:3], 0, v31
	s_and_saveexec_b64 s[10:11], s[2:3]
	s_cbranch_execz .LBB448_224
; %bb.219:
	s_movk_i32 s2, 0x80
	v_cmp_ne_u16_e64 s[2:3], s2, v31
	v_bfrev_b32_e32 v33, 1
	s_and_saveexec_b64 s[20:21], s[2:3]
	s_cbranch_execz .LBB448_223
; %bb.220:
	v_bfe_u32 v31, v26, 16, 7
	s_movk_i32 s2, 0x7f
	v_cmp_ne_u32_e64 s[2:3], s2, v31
	v_mov_b32_e32 v33, 0x7f800001
	s_and_saveexec_b64 s[22:23], s[2:3]
	s_cbranch_execz .LBB448_222
; %bb.221:
	v_and_b32_e32 v36, 7, v30
	v_ffbh_u32_e32 v32, v36
	v_min_u32_e32 v38, 32, v32
	v_subrev_u32_e32 v32, 28, v38
	v_lshlrev_b64 v[32:33], v32, v[30:31]
	v_and_b32_e32 v32, 7, v32
	v_cmp_gt_u32_e64 s[2:3], 8, v31
	v_lshrrev_b32_e32 v37, 3, v31
	v_sub_u32_e32 v30, 29, v38
	v_cndmask_b32_e64 v31, v36, v32, s[2:3]
	v_mov_b32_e32 v32, 24
	v_cndmask_b32_e64 v30, v37, v30, s[2:3]
	v_lshlrev_b32_sdwa v32, v32, v26 dst_sel:DWORD dst_unused:UNUSED_PAD src0_sel:DWORD src1_sel:WORD_1
	v_bfrev_b32_e32 v33, 60
	v_lshlrev_b32_e32 v31, 20, v31
	v_and_b32_e32 v32, 0x80000000, v32
	v_lshl_add_u32 v30, v30, 23, v33
	v_or3_b32 v33, v32, v30, v31
.LBB448_222:
	s_or_b64 exec, exec, s[22:23]
.LBB448_223:
	s_or_b64 exec, exec, s[20:21]
.LBB448_224:
	s_or_b64 exec, exec, s[10:11]
	s_mov_b32 s2, 0xffffff
	v_cmp_lt_u32_e64 s[2:3], s2, v26
	v_mov_b32_e32 v31, 0
	v_mov_b32_e32 v36, 0
	s_and_saveexec_b64 s[10:11], s[2:3]
	s_cbranch_execz .LBB448_230
; %bb.225:
	v_lshrrev_b32_e32 v30, 24, v26
	s_movk_i32 s2, 0x80
	v_cmp_ne_u32_e64 s[2:3], s2, v30
	v_bfrev_b32_e32 v36, 1
	s_and_saveexec_b64 s[20:21], s[2:3]
	s_cbranch_execz .LBB448_229
; %bb.226:
	v_bfe_u32 v32, v26, 24, 7
	s_movk_i32 s2, 0x7f
	v_cmp_ne_u32_e64 s[2:3], s2, v32
	v_mov_b32_e32 v36, 0x7f800001
	s_and_saveexec_b64 s[22:23], s[2:3]
	s_cbranch_execz .LBB448_228
; %bb.227:
	v_and_b32_e32 v38, 7, v30
	v_ffbh_u32_e32 v36, v38
	v_min_u32_e32 v40, 32, v36
	v_subrev_u32_e32 v36, 28, v40
	v_lshlrev_b64 v[36:37], v36, v[30:31]
	v_lshrrev_b32_e32 v39, 3, v32
	v_sub_u32_e32 v37, 29, v40
	v_and_b32_e32 v36, 7, v36
	v_cmp_gt_u32_e64 s[2:3], 8, v32
	v_cndmask_b32_e64 v32, v39, v37, s[2:3]
	v_cndmask_b32_e64 v36, v38, v36, s[2:3]
	v_lshlrev_b32_e32 v30, 24, v30
	v_bfrev_b32_e32 v37, 60
	v_lshlrev_b32_e32 v36, 20, v36
	v_and_b32_e32 v30, 0x80000000, v30
	v_lshl_add_u32 v32, v32, 23, v37
	v_or3_b32 v36, v30, v32, v36
.LBB448_228:
	s_or_b64 exec, exec, s[22:23]
.LBB448_229:
	s_or_b64 exec, exec, s[20:21]
.LBB448_230:
	s_or_b64 exec, exec, s[10:11]
	v_mov_b32_e32 v30, v27
	v_cmp_ne_u16_sdwa s[2:3], v27, v31 src0_sel:BYTE_0 src1_sel:DWORD
	s_and_saveexec_b64 s[10:11], s[2:3]
	s_cbranch_execz .LBB448_236
; %bb.231:
	s_movk_i32 s2, 0x80
	v_cmp_ne_u16_sdwa s[2:3], v27, s2 src0_sel:BYTE_0 src1_sel:DWORD
	v_bfrev_b32_e32 v32, 1
	s_and_saveexec_b64 s[20:21], s[2:3]
	s_cbranch_execz .LBB448_235
; %bb.232:
	s_movk_i32 s2, 0x7f
	v_and_b32_e32 v37, 0x7f, v27
	v_cmp_ne_u32_e64 s[2:3], s2, v37
	v_mov_b32_e32 v32, 0x7f800001
	s_and_saveexec_b64 s[22:23], s[2:3]
	s_cbranch_execz .LBB448_234
; %bb.233:
	v_and_b32_e32 v32, 7, v27
	v_ffbh_u32_e32 v32, v32
	v_min_u32_e32 v32, 32, v32
	v_subrev_u32_e32 v39, 28, v32
	v_cmp_gt_u32_e64 s[2:3], 8, v37
	v_lshrrev_b32_e32 v38, 3, v37
	v_sub_u32_e32 v32, 29, v32
	v_cndmask_b32_e64 v37, 0, v39, s[2:3]
	v_cndmask_b32_e64 v32, v38, v32, s[2:3]
	v_lshlrev_b64 v[38:39], v37, v[30:31]
	v_lshlrev_b32_e32 v31, 20, v38
	v_lshlrev_b32_e32 v37, 24, v30
	v_bfrev_b32_e32 v38, 60
	v_and_b32_e32 v31, 0x700000, v31
	v_and_b32_e32 v37, 0x80000000, v37
	v_lshl_add_u32 v32, v32, 23, v38
	v_or3_b32 v32, v37, v32, v31
.LBB448_234:
	s_or_b64 exec, exec, s[22:23]
.LBB448_235:
	s_or_b64 exec, exec, s[20:21]
	v_mov_b32_e32 v31, v32
.LBB448_236:
	s_or_b64 exec, exec, s[10:11]
	v_lshrrev_b16_e32 v32, 8, v30
	v_cmp_ne_u16_e64 s[2:3], 0, v32
	v_mov_b32_e32 v37, 0
	v_mov_b32_e32 v38, 0
	s_and_saveexec_b64 s[10:11], s[2:3]
	s_cbranch_execz .LBB448_242
; %bb.237:
	s_movk_i32 s2, 0x80
	v_cmp_ne_u16_e64 s[2:3], s2, v32
	v_bfrev_b32_e32 v38, 1
	s_and_saveexec_b64 s[20:21], s[2:3]
	s_cbranch_execz .LBB448_241
; %bb.238:
	s_movk_i32 s2, 0x7f
	v_and_b32_e32 v39, 0x7f, v32
	v_cmp_ne_u32_e64 s[2:3], s2, v39
	v_mov_b32_e32 v38, 0x7f800001
	s_and_saveexec_b64 s[22:23], s[2:3]
	s_cbranch_execz .LBB448_240
; %bb.239:
	v_and_b32_e32 v38, 7, v32
	v_ffbh_u32_e32 v40, v38
	v_min_u32_e32 v46, 32, v40
	v_subrev_u32_e32 v40, 28, v46
	v_lshlrev_b64 v[40:41], v40, v[32:33]
	v_lshrrev_b32_e32 v45, 3, v39
	v_sub_u32_e32 v32, 29, v46
	v_and_b32_e32 v40, 7, v40
	v_cmp_gt_u32_e64 s[2:3], 8, v39
	v_cndmask_b32_e64 v32, v45, v32, s[2:3]
	v_cndmask_b32_e64 v38, v38, v40, s[2:3]
	v_lshlrev_b32_e32 v30, 16, v30
	v_bfrev_b32_e32 v39, 60
	v_lshlrev_b32_e32 v38, 20, v38
	v_and_b32_e32 v30, 0x80000000, v30
	v_lshl_add_u32 v32, v32, 23, v39
	v_or3_b32 v38, v30, v32, v38
.LBB448_240:
	s_or_b64 exec, exec, s[22:23]
.LBB448_241:
	s_or_b64 exec, exec, s[20:21]
.LBB448_242:
	s_or_b64 exec, exec, s[10:11]
	s_movk_i32 s2, 0xff
	v_and_b32_sdwa v32, v27, s2 dst_sel:DWORD dst_unused:UNUSED_PAD src0_sel:WORD_1 src1_sel:DWORD
	v_lshrrev_b32_e32 v30, 16, v27
	v_cmp_ne_u16_e64 s[2:3], 0, v32
	s_and_saveexec_b64 s[10:11], s[2:3]
	s_cbranch_execz .LBB448_248
; %bb.243:
	s_movk_i32 s2, 0x80
	v_cmp_ne_u16_e64 s[2:3], s2, v32
	v_bfrev_b32_e32 v37, 1
	s_and_saveexec_b64 s[20:21], s[2:3]
	s_cbranch_execz .LBB448_247
; %bb.244:
	v_bfe_u32 v32, v27, 16, 7
	s_movk_i32 s2, 0x7f
	v_cmp_ne_u32_e64 s[2:3], s2, v32
	v_mov_b32_e32 v37, 0x7f800001
	s_and_saveexec_b64 s[22:23], s[2:3]
	s_cbranch_execz .LBB448_246
; %bb.245:
	v_and_b32_e32 v37, 7, v30
	v_ffbh_u32_e32 v40, v37
	v_min_u32_e32 v45, 32, v40
	v_subrev_u32_e32 v40, 28, v45
	v_lshlrev_b64 v[40:41], v40, v[30:31]
	v_and_b32_e32 v40, 7, v40
	v_cmp_gt_u32_e64 s[2:3], 8, v32
	v_lshrrev_b32_e32 v39, 3, v32
	v_sub_u32_e32 v30, 29, v45
	v_cndmask_b32_e64 v32, v37, v40, s[2:3]
	v_mov_b32_e32 v37, 24
	v_cndmask_b32_e64 v30, v39, v30, s[2:3]
	v_lshlrev_b32_sdwa v37, v37, v27 dst_sel:DWORD dst_unused:UNUSED_PAD src0_sel:DWORD src1_sel:WORD_1
	v_bfrev_b32_e32 v39, 60
	v_lshlrev_b32_e32 v32, 20, v32
	v_and_b32_e32 v37, 0x80000000, v37
	v_lshl_add_u32 v30, v30, 23, v39
	v_or3_b32 v37, v37, v30, v32
.LBB448_246:
	s_or_b64 exec, exec, s[22:23]
.LBB448_247:
	s_or_b64 exec, exec, s[20:21]
.LBB448_248:
	s_or_b64 exec, exec, s[10:11]
	s_mov_b32 s2, -1
	s_mov_b32 s3, 0xffffff
	v_cmp_lt_u64_e64 s[2:3], s[2:3], v[26:27]
	v_mov_b32_e32 v32, 0
	v_mov_b32_e32 v30, 0
	s_and_saveexec_b64 s[10:11], s[2:3]
	s_cbranch_execz .LBB448_254
; %bb.249:
	v_lshrrev_b32_e32 v26, 24, v27
	s_movk_i32 s2, 0x80
	v_cmp_ne_u32_e64 s[2:3], s2, v26
	v_bfrev_b32_e32 v30, 1
	s_and_saveexec_b64 s[20:21], s[2:3]
	s_cbranch_execz .LBB448_253
; %bb.250:
	v_bfe_u32 v27, v27, 24, 7
	s_movk_i32 s2, 0x7f
	v_cmp_ne_u32_e64 s[2:3], s2, v27
	v_mov_b32_e32 v30, 0x7f800001
	s_and_saveexec_b64 s[22:23], s[2:3]
	s_cbranch_execz .LBB448_252
; %bb.251:
	v_and_b32_e32 v30, 7, v26
	v_ffbh_u32_e32 v40, v30
	v_min_u32_e32 v45, 32, v40
	v_subrev_u32_e32 v40, 28, v45
	v_lshlrev_b64 v[40:41], v40, v[26:27]
	v_lshrrev_b32_e32 v39, 3, v27
	v_sub_u32_e32 v41, 29, v45
	v_and_b32_e32 v40, 7, v40
	v_cmp_gt_u32_e64 s[2:3], 8, v27
	v_cndmask_b32_e64 v27, v39, v41, s[2:3]
	v_cndmask_b32_e64 v30, v30, v40, s[2:3]
	v_lshlrev_b32_e32 v26, 24, v26
	v_bfrev_b32_e32 v39, 60
	v_lshlrev_b32_e32 v30, 20, v30
	v_and_b32_e32 v26, 0x80000000, v26
	v_lshl_add_u32 v27, v27, 23, v39
	v_or3_b32 v30, v26, v27, v30
.LBB448_252:
	s_or_b64 exec, exec, s[22:23]
.LBB448_253:
	s_or_b64 exec, exec, s[20:21]
.LBB448_254:
	s_or_b64 exec, exec, s[10:11]
	v_cvt_pkrtz_f16_f32 v26, v34, v35
	v_cvt_pkrtz_f16_f32 v27, v33, v36
	;; [unrolled: 1-line block ×4, first 2 shown]
	v_mfma_f32_4x4x4f16 a[0:3], v[18:19], v[26:27], a[0:3] cbsz:4 abid:4
	v_cmp_ne_u16_sdwa s[2:3], v28, v32 src0_sel:BYTE_0 src1_sel:DWORD
	v_mfma_f32_4x4x4f16 a[0:3], v[20:21], v[34:35], a[0:3] cbsz:4 abid:4
	s_and_saveexec_b64 s[10:11], s[2:3]
	s_cbranch_execz .LBB448_260
; %bb.255:
	s_movk_i32 s2, 0x80
	v_cmp_ne_u16_sdwa s[2:3], v28, s2 src0_sel:BYTE_0 src1_sel:DWORD
	v_bfrev_b32_e32 v32, 1
	s_and_saveexec_b64 s[20:21], s[2:3]
	s_cbranch_execz .LBB448_259
; %bb.256:
	s_movk_i32 s2, 0x7f
	v_and_b32_e32 v26, 0x7f, v28
	v_cmp_ne_u32_e64 s[2:3], s2, v26
	v_mov_b32_e32 v32, 0x7f800001
	s_and_saveexec_b64 s[22:23], s[2:3]
	s_cbranch_execz .LBB448_258
; %bb.257:
	v_and_b32_e32 v27, 7, v28
	v_ffbh_u32_e32 v27, v27
	v_min_u32_e32 v27, 32, v27
	v_subrev_u32_e32 v31, 28, v27
	v_cmp_gt_u32_e64 s[2:3], 8, v26
	v_lshrrev_b32_e32 v30, 3, v26
	v_sub_u32_e32 v27, 29, v27
	v_cndmask_b32_e64 v26, 0, v31, s[2:3]
	v_cndmask_b32_e64 v30, v30, v27, s[2:3]
	v_lshlrev_b64 v[26:27], v26, v[28:29]
	v_lshlrev_b32_e32 v26, 20, v26
	v_lshlrev_b32_e32 v27, 24, v28
	v_bfrev_b32_e32 v31, 60
	v_and_b32_e32 v26, 0x700000, v26
	v_and_b32_e32 v27, 0x80000000, v27
	v_lshl_add_u32 v30, v30, 23, v31
	v_or3_b32 v32, v27, v30, v26
.LBB448_258:
	s_or_b64 exec, exec, s[22:23]
.LBB448_259:
	s_or_b64 exec, exec, s[20:21]
.LBB448_260:
	s_or_b64 exec, exec, s[10:11]
	v_lshrrev_b16_e32 v26, 8, v28
	v_cmp_ne_u16_e64 s[2:3], 0, v26
	v_mov_b32_e32 v31, 0
	v_mov_b32_e32 v33, 0
	s_and_saveexec_b64 s[10:11], s[2:3]
	s_cbranch_execz .LBB448_266
; %bb.261:
	s_movk_i32 s2, 0x80
	v_cmp_ne_u16_e64 s[2:3], s2, v26
	v_bfrev_b32_e32 v33, 1
	s_and_saveexec_b64 s[20:21], s[2:3]
	s_cbranch_execz .LBB448_265
; %bb.262:
	s_movk_i32 s2, 0x7f
	v_and_b32_e32 v27, 0x7f, v26
	v_cmp_ne_u32_e64 s[2:3], s2, v27
	v_mov_b32_e32 v33, 0x7f800001
	s_and_saveexec_b64 s[22:23], s[2:3]
	s_cbranch_execz .LBB448_264
; %bb.263:
	v_and_b32_e32 v30, 7, v26
	v_ffbh_u32_e32 v34, v30
	v_min_u32_e32 v36, 32, v34
	v_subrev_u32_e32 v34, 28, v36
	v_lshlrev_b64 v[34:35], v34, v[26:27]
	v_lshrrev_b32_e32 v33, 3, v27
	v_sub_u32_e32 v26, 29, v36
	v_and_b32_e32 v34, 7, v34
	v_cmp_gt_u32_e64 s[2:3], 8, v27
	v_cndmask_b32_e64 v26, v33, v26, s[2:3]
	v_cndmask_b32_e64 v27, v30, v34, s[2:3]
	v_lshlrev_b32_e32 v30, 16, v28
	v_bfrev_b32_e32 v33, 60
	v_lshlrev_b32_e32 v27, 20, v27
	v_and_b32_e32 v30, 0x80000000, v30
	v_lshl_add_u32 v26, v26, 23, v33
	v_or3_b32 v33, v30, v26, v27
.LBB448_264:
	s_or_b64 exec, exec, s[22:23]
.LBB448_265:
	s_or_b64 exec, exec, s[20:21]
.LBB448_266:
	s_or_b64 exec, exec, s[10:11]
	s_movk_i32 s2, 0xff
	v_and_b32_sdwa v27, v28, s2 dst_sel:DWORD dst_unused:UNUSED_PAD src0_sel:WORD_1 src1_sel:DWORD
	v_lshrrev_b32_e32 v26, 16, v28
	v_cmp_ne_u16_e64 s[2:3], 0, v27
	s_and_saveexec_b64 s[10:11], s[2:3]
	s_cbranch_execz .LBB448_272
; %bb.267:
	s_movk_i32 s2, 0x80
	v_cmp_ne_u16_e64 s[2:3], s2, v27
	v_bfrev_b32_e32 v31, 1
	s_and_saveexec_b64 s[20:21], s[2:3]
	s_cbranch_execz .LBB448_271
; %bb.268:
	v_bfe_u32 v27, v28, 16, 7
	s_movk_i32 s2, 0x7f
	v_cmp_ne_u32_e64 s[2:3], s2, v27
	v_mov_b32_e32 v31, 0x7f800001
	s_and_saveexec_b64 s[22:23], s[2:3]
	s_cbranch_execz .LBB448_270
; %bb.269:
	v_and_b32_e32 v34, 7, v26
	v_ffbh_u32_e32 v30, v34
	v_min_u32_e32 v36, 32, v30
	v_subrev_u32_e32 v30, 28, v36
	v_lshlrev_b64 v[30:31], v30, v[26:27]
	v_and_b32_e32 v30, 7, v30
	v_cmp_gt_u32_e64 s[2:3], 8, v27
	v_lshrrev_b32_e32 v35, 3, v27
	v_sub_u32_e32 v26, 29, v36
	v_cndmask_b32_e64 v27, v34, v30, s[2:3]
	v_mov_b32_e32 v30, 24
	v_cndmask_b32_e64 v26, v35, v26, s[2:3]
	v_lshlrev_b32_sdwa v30, v30, v28 dst_sel:DWORD dst_unused:UNUSED_PAD src0_sel:DWORD src1_sel:WORD_1
	v_bfrev_b32_e32 v31, 60
	v_lshlrev_b32_e32 v27, 20, v27
	v_and_b32_e32 v30, 0x80000000, v30
	v_lshl_add_u32 v26, v26, 23, v31
	v_or3_b32 v31, v30, v26, v27
.LBB448_270:
	s_or_b64 exec, exec, s[22:23]
.LBB448_271:
	s_or_b64 exec, exec, s[20:21]
.LBB448_272:
	s_or_b64 exec, exec, s[10:11]
	s_mov_b32 s2, 0xffffff
	v_cmp_lt_u32_e64 s[2:3], s2, v28
	v_mov_b32_e32 v27, 0
	v_mov_b32_e32 v34, 0
	s_and_saveexec_b64 s[10:11], s[2:3]
	s_cbranch_execz .LBB448_278
; %bb.273:
	v_lshrrev_b32_e32 v26, 24, v28
	s_movk_i32 s2, 0x80
	v_cmp_ne_u32_e64 s[2:3], s2, v26
	v_bfrev_b32_e32 v34, 1
	s_and_saveexec_b64 s[20:21], s[2:3]
	s_cbranch_execz .LBB448_277
; %bb.274:
	v_bfe_u32 v30, v28, 24, 7
	s_movk_i32 s2, 0x7f
	v_cmp_ne_u32_e64 s[2:3], s2, v30
	v_mov_b32_e32 v34, 0x7f800001
	s_and_saveexec_b64 s[22:23], s[2:3]
	s_cbranch_execz .LBB448_276
; %bb.275:
	v_and_b32_e32 v36, 7, v26
	v_ffbh_u32_e32 v34, v36
	v_min_u32_e32 v38, 32, v34
	v_subrev_u32_e32 v34, 28, v38
	v_lshlrev_b64 v[34:35], v34, v[26:27]
	v_lshrrev_b32_e32 v37, 3, v30
	v_sub_u32_e32 v35, 29, v38
	v_and_b32_e32 v34, 7, v34
	v_cmp_gt_u32_e64 s[2:3], 8, v30
	v_cndmask_b32_e64 v30, v37, v35, s[2:3]
	v_cndmask_b32_e64 v34, v36, v34, s[2:3]
	v_lshlrev_b32_e32 v26, 24, v26
	v_bfrev_b32_e32 v35, 60
	v_lshlrev_b32_e32 v34, 20, v34
	v_and_b32_e32 v26, 0x80000000, v26
	v_lshl_add_u32 v30, v30, 23, v35
	v_or3_b32 v34, v26, v30, v34
.LBB448_276:
	s_or_b64 exec, exec, s[22:23]
.LBB448_277:
	s_or_b64 exec, exec, s[20:21]
.LBB448_278:
	s_or_b64 exec, exec, s[10:11]
	v_mov_b32_e32 v26, v29
	v_cmp_ne_u16_sdwa s[2:3], v29, v27 src0_sel:BYTE_0 src1_sel:DWORD
	s_and_saveexec_b64 s[10:11], s[2:3]
	s_cbranch_execz .LBB448_284
; %bb.279:
	s_movk_i32 s2, 0x80
	v_cmp_ne_u16_sdwa s[2:3], v29, s2 src0_sel:BYTE_0 src1_sel:DWORD
	v_bfrev_b32_e32 v30, 1
	s_and_saveexec_b64 s[20:21], s[2:3]
	s_cbranch_execz .LBB448_283
; %bb.280:
	s_movk_i32 s2, 0x7f
	v_and_b32_e32 v35, 0x7f, v29
	v_cmp_ne_u32_e64 s[2:3], s2, v35
	v_mov_b32_e32 v30, 0x7f800001
	s_and_saveexec_b64 s[22:23], s[2:3]
	s_cbranch_execz .LBB448_282
; %bb.281:
	v_and_b32_e32 v30, 7, v29
	v_ffbh_u32_e32 v30, v30
	v_min_u32_e32 v30, 32, v30
	v_subrev_u32_e32 v37, 28, v30
	v_cmp_gt_u32_e64 s[2:3], 8, v35
	v_lshrrev_b32_e32 v36, 3, v35
	v_sub_u32_e32 v30, 29, v30
	v_cndmask_b32_e64 v35, 0, v37, s[2:3]
	v_cndmask_b32_e64 v30, v36, v30, s[2:3]
	v_lshlrev_b64 v[36:37], v35, v[26:27]
	v_lshlrev_b32_e32 v27, 20, v36
	v_lshlrev_b32_e32 v35, 24, v26
	v_bfrev_b32_e32 v36, 60
	v_and_b32_e32 v27, 0x700000, v27
	v_and_b32_e32 v35, 0x80000000, v35
	v_lshl_add_u32 v30, v30, 23, v36
	v_or3_b32 v30, v35, v30, v27
.LBB448_282:
	s_or_b64 exec, exec, s[22:23]
.LBB448_283:
	s_or_b64 exec, exec, s[20:21]
	v_mov_b32_e32 v27, v30
.LBB448_284:
	s_or_b64 exec, exec, s[10:11]
	v_lshrrev_b16_e32 v30, 8, v26
	v_cmp_ne_u16_e64 s[2:3], 0, v30
	v_mov_b32_e32 v35, 0
	v_mov_b32_e32 v36, 0
	s_and_saveexec_b64 s[10:11], s[2:3]
	s_cbranch_execz .LBB448_290
; %bb.285:
	s_movk_i32 s2, 0x80
	v_cmp_ne_u16_e64 s[2:3], s2, v30
	v_bfrev_b32_e32 v36, 1
	s_and_saveexec_b64 s[20:21], s[2:3]
	s_cbranch_execz .LBB448_289
; %bb.286:
	s_movk_i32 s2, 0x7f
	v_and_b32_e32 v37, 0x7f, v30
	v_cmp_ne_u32_e64 s[2:3], s2, v37
	v_mov_b32_e32 v36, 0x7f800001
	s_and_saveexec_b64 s[22:23], s[2:3]
	s_cbranch_execz .LBB448_288
; %bb.287:
	v_and_b32_e32 v36, 7, v30
	v_ffbh_u32_e32 v38, v36
	v_min_u32_e32 v41, 32, v38
	v_subrev_u32_e32 v38, 28, v41
	v_lshlrev_b64 v[38:39], v38, v[30:31]
	v_lshrrev_b32_e32 v40, 3, v37
	v_sub_u32_e32 v30, 29, v41
	v_and_b32_e32 v38, 7, v38
	v_cmp_gt_u32_e64 s[2:3], 8, v37
	v_cndmask_b32_e64 v30, v40, v30, s[2:3]
	v_cndmask_b32_e64 v36, v36, v38, s[2:3]
	v_lshlrev_b32_e32 v26, 16, v26
	v_bfrev_b32_e32 v37, 60
	v_lshlrev_b32_e32 v36, 20, v36
	v_and_b32_e32 v26, 0x80000000, v26
	v_lshl_add_u32 v30, v30, 23, v37
	v_or3_b32 v36, v26, v30, v36
.LBB448_288:
	s_or_b64 exec, exec, s[22:23]
.LBB448_289:
	s_or_b64 exec, exec, s[20:21]
.LBB448_290:
	s_or_b64 exec, exec, s[10:11]
	s_movk_i32 s2, 0xff
	v_and_b32_sdwa v30, v29, s2 dst_sel:DWORD dst_unused:UNUSED_PAD src0_sel:WORD_1 src1_sel:DWORD
	v_lshrrev_b32_e32 v26, 16, v29
	v_cmp_ne_u16_e64 s[2:3], 0, v30
	s_and_saveexec_b64 s[10:11], s[2:3]
	s_cbranch_execz .LBB448_296
; %bb.291:
	s_movk_i32 s2, 0x80
	v_cmp_ne_u16_e64 s[2:3], s2, v30
	v_bfrev_b32_e32 v35, 1
	s_and_saveexec_b64 s[20:21], s[2:3]
	s_cbranch_execz .LBB448_295
; %bb.292:
	v_bfe_u32 v30, v29, 16, 7
	s_movk_i32 s2, 0x7f
	v_cmp_ne_u32_e64 s[2:3], s2, v30
	v_mov_b32_e32 v35, 0x7f800001
	s_and_saveexec_b64 s[22:23], s[2:3]
	s_cbranch_execz .LBB448_294
; %bb.293:
	v_and_b32_e32 v35, 7, v26
	v_ffbh_u32_e32 v38, v35
	v_min_u32_e32 v40, 32, v38
	v_subrev_u32_e32 v38, 28, v40
	v_lshlrev_b64 v[38:39], v38, v[26:27]
	v_and_b32_e32 v38, 7, v38
	v_cmp_gt_u32_e64 s[2:3], 8, v30
	v_lshrrev_b32_e32 v37, 3, v30
	v_sub_u32_e32 v26, 29, v40
	v_cndmask_b32_e64 v30, v35, v38, s[2:3]
	v_mov_b32_e32 v35, 24
	v_cndmask_b32_e64 v26, v37, v26, s[2:3]
	v_lshlrev_b32_sdwa v35, v35, v29 dst_sel:DWORD dst_unused:UNUSED_PAD src0_sel:DWORD src1_sel:WORD_1
	v_bfrev_b32_e32 v37, 60
	v_lshlrev_b32_e32 v30, 20, v30
	v_and_b32_e32 v35, 0x80000000, v35
	v_lshl_add_u32 v26, v26, 23, v37
	v_or3_b32 v35, v35, v26, v30
.LBB448_294:
	s_or_b64 exec, exec, s[22:23]
.LBB448_295:
	s_or_b64 exec, exec, s[20:21]
.LBB448_296:
	s_or_b64 exec, exec, s[10:11]
	s_mov_b32 s2, -1
	s_mov_b32 s3, 0xffffff
	v_cmp_lt_u64_e64 s[2:3], s[2:3], v[28:29]
	v_mov_b32_e32 v30, 0
	v_mov_b32_e32 v28, 0
	s_and_saveexec_b64 s[10:11], s[2:3]
	s_cbranch_execz .LBB448_302
; %bb.297:
	v_lshrrev_b32_e32 v26, 24, v29
	s_movk_i32 s2, 0x80
	v_cmp_ne_u32_e64 s[2:3], s2, v26
	v_bfrev_b32_e32 v28, 1
	s_and_saveexec_b64 s[20:21], s[2:3]
	s_cbranch_execz .LBB448_301
; %bb.298:
	v_bfe_u32 v29, v29, 24, 7
	s_movk_i32 s2, 0x7f
	v_cmp_ne_u32_e64 s[2:3], s2, v29
	v_mov_b32_e32 v28, 0x7f800001
	s_and_saveexec_b64 s[22:23], s[2:3]
	s_cbranch_execz .LBB448_300
; %bb.299:
	v_and_b32_e32 v28, 7, v26
	v_ffbh_u32_e32 v38, v28
	v_min_u32_e32 v40, 32, v38
	v_subrev_u32_e32 v38, 28, v40
	v_lshlrev_b64 v[38:39], v38, v[26:27]
	v_lshrrev_b32_e32 v37, 3, v29
	v_sub_u32_e32 v39, 29, v40
	v_and_b32_e32 v38, 7, v38
	v_cmp_gt_u32_e64 s[2:3], 8, v29
	v_cndmask_b32_e64 v29, v37, v39, s[2:3]
	v_cndmask_b32_e64 v28, v28, v38, s[2:3]
	v_lshlrev_b32_e32 v26, 24, v26
	v_bfrev_b32_e32 v37, 60
	v_lshlrev_b32_e32 v28, 20, v28
	v_and_b32_e32 v26, 0x80000000, v26
	v_lshl_add_u32 v29, v29, 23, v37
	v_or3_b32 v28, v26, v29, v28
.LBB448_300:
	s_or_b64 exec, exec, s[22:23]
.LBB448_301:
	s_or_b64 exec, exec, s[20:21]
.LBB448_302:
	s_or_b64 exec, exec, s[10:11]
	v_cvt_pkrtz_f16_f32 v32, v32, v33
	v_cvt_pkrtz_f16_f32 v33, v31, v34
	;; [unrolled: 1-line block ×4, first 2 shown]
	v_mfma_f32_4x4x4f16 a[0:3], v[18:19], v[32:33], a[0:3] cbsz:4 abid:5
	s_waitcnt vmcnt(4)
	v_cmp_ne_u16_sdwa s[2:3], v22, v30 src0_sel:BYTE_0 src1_sel:DWORD
	v_mfma_f32_4x4x4f16 a[0:3], v[20:21], v[26:27], a[0:3] cbsz:4 abid:5
	s_and_saveexec_b64 s[10:11], s[2:3]
	s_cbranch_execz .LBB448_308
; %bb.303:
	s_movk_i32 s2, 0x80
	v_cmp_ne_u16_sdwa s[2:3], v22, s2 src0_sel:BYTE_0 src1_sel:DWORD
	v_bfrev_b32_e32 v30, 1
	s_and_saveexec_b64 s[20:21], s[2:3]
	s_cbranch_execz .LBB448_307
; %bb.304:
	s_movk_i32 s2, 0x7f
	v_and_b32_e32 v26, 0x7f, v22
	v_cmp_ne_u32_e64 s[2:3], s2, v26
	v_mov_b32_e32 v30, 0x7f800001
	s_and_saveexec_b64 s[22:23], s[2:3]
	s_cbranch_execz .LBB448_306
; %bb.305:
	v_and_b32_e32 v27, 7, v22
	v_ffbh_u32_e32 v27, v27
	v_min_u32_e32 v27, 32, v27
	v_subrev_u32_e32 v29, 28, v27
	v_cmp_gt_u32_e64 s[2:3], 8, v26
	v_lshrrev_b32_e32 v28, 3, v26
	v_sub_u32_e32 v27, 29, v27
	v_cndmask_b32_e64 v26, 0, v29, s[2:3]
	v_cndmask_b32_e64 v28, v28, v27, s[2:3]
	v_lshlrev_b64 v[26:27], v26, v[22:23]
	v_lshlrev_b32_e32 v26, 20, v26
	v_lshlrev_b32_e32 v27, 24, v22
	v_bfrev_b32_e32 v29, 60
	v_and_b32_e32 v26, 0x700000, v26
	v_and_b32_e32 v27, 0x80000000, v27
	v_lshl_add_u32 v28, v28, 23, v29
	v_or3_b32 v30, v27, v28, v26
.LBB448_306:
	s_or_b64 exec, exec, s[22:23]
.LBB448_307:
	s_or_b64 exec, exec, s[20:21]
.LBB448_308:
	s_or_b64 exec, exec, s[10:11]
	v_lshrrev_b16_e32 v26, 8, v22
	v_cmp_ne_u16_e64 s[2:3], 0, v26
	v_mov_b32_e32 v29, 0
	v_mov_b32_e32 v31, 0
	s_and_saveexec_b64 s[10:11], s[2:3]
	s_cbranch_execz .LBB448_314
; %bb.309:
	s_movk_i32 s2, 0x80
	v_cmp_ne_u16_e64 s[2:3], s2, v26
	v_bfrev_b32_e32 v31, 1
	s_and_saveexec_b64 s[20:21], s[2:3]
	s_cbranch_execz .LBB448_313
; %bb.310:
	s_movk_i32 s2, 0x7f
	v_and_b32_e32 v27, 0x7f, v26
	v_cmp_ne_u32_e64 s[2:3], s2, v27
	v_mov_b32_e32 v31, 0x7f800001
	s_and_saveexec_b64 s[22:23], s[2:3]
	s_cbranch_execz .LBB448_312
; %bb.311:
	v_and_b32_e32 v28, 7, v26
	v_ffbh_u32_e32 v32, v28
	v_min_u32_e32 v34, 32, v32
	v_subrev_u32_e32 v32, 28, v34
	v_lshlrev_b64 v[32:33], v32, v[26:27]
	v_lshrrev_b32_e32 v31, 3, v27
	v_sub_u32_e32 v26, 29, v34
	v_and_b32_e32 v32, 7, v32
	v_cmp_gt_u32_e64 s[2:3], 8, v27
	v_cndmask_b32_e64 v26, v31, v26, s[2:3]
	v_cndmask_b32_e64 v27, v28, v32, s[2:3]
	v_lshlrev_b32_e32 v28, 16, v22
	v_bfrev_b32_e32 v31, 60
	v_lshlrev_b32_e32 v27, 20, v27
	v_and_b32_e32 v28, 0x80000000, v28
	v_lshl_add_u32 v26, v26, 23, v31
	v_or3_b32 v31, v28, v26, v27
.LBB448_312:
	s_or_b64 exec, exec, s[22:23]
.LBB448_313:
	s_or_b64 exec, exec, s[20:21]
.LBB448_314:
	s_or_b64 exec, exec, s[10:11]
	s_movk_i32 s2, 0xff
	v_and_b32_sdwa v27, v22, s2 dst_sel:DWORD dst_unused:UNUSED_PAD src0_sel:WORD_1 src1_sel:DWORD
	v_lshrrev_b32_e32 v26, 16, v22
	v_cmp_ne_u16_e64 s[2:3], 0, v27
	s_and_saveexec_b64 s[10:11], s[2:3]
	s_cbranch_execz .LBB448_320
; %bb.315:
	s_movk_i32 s2, 0x80
	v_cmp_ne_u16_e64 s[2:3], s2, v27
	v_bfrev_b32_e32 v29, 1
	s_and_saveexec_b64 s[20:21], s[2:3]
	s_cbranch_execz .LBB448_319
; %bb.316:
	v_bfe_u32 v27, v22, 16, 7
	s_movk_i32 s2, 0x7f
	v_cmp_ne_u32_e64 s[2:3], s2, v27
	v_mov_b32_e32 v29, 0x7f800001
	s_and_saveexec_b64 s[22:23], s[2:3]
	s_cbranch_execz .LBB448_318
; %bb.317:
	v_and_b32_e32 v32, 7, v26
	v_ffbh_u32_e32 v28, v32
	v_min_u32_e32 v34, 32, v28
	v_subrev_u32_e32 v28, 28, v34
	v_lshlrev_b64 v[28:29], v28, v[26:27]
	v_and_b32_e32 v28, 7, v28
	v_cmp_gt_u32_e64 s[2:3], 8, v27
	v_lshrrev_b32_e32 v33, 3, v27
	v_sub_u32_e32 v26, 29, v34
	v_cndmask_b32_e64 v27, v32, v28, s[2:3]
	v_mov_b32_e32 v28, 24
	v_cndmask_b32_e64 v26, v33, v26, s[2:3]
	v_lshlrev_b32_sdwa v28, v28, v22 dst_sel:DWORD dst_unused:UNUSED_PAD src0_sel:DWORD src1_sel:WORD_1
	v_bfrev_b32_e32 v29, 60
	v_lshlrev_b32_e32 v27, 20, v27
	v_and_b32_e32 v28, 0x80000000, v28
	v_lshl_add_u32 v26, v26, 23, v29
	v_or3_b32 v29, v28, v26, v27
.LBB448_318:
	s_or_b64 exec, exec, s[22:23]
.LBB448_319:
	s_or_b64 exec, exec, s[20:21]
.LBB448_320:
	s_or_b64 exec, exec, s[10:11]
	s_mov_b32 s2, 0xffffff
	v_cmp_lt_u32_e64 s[2:3], s2, v22
	v_mov_b32_e32 v27, 0
	v_mov_b32_e32 v32, 0
	s_and_saveexec_b64 s[10:11], s[2:3]
	s_cbranch_execz .LBB448_326
; %bb.321:
	v_lshrrev_b32_e32 v26, 24, v22
	s_movk_i32 s2, 0x80
	v_cmp_ne_u32_e64 s[2:3], s2, v26
	v_bfrev_b32_e32 v32, 1
	s_and_saveexec_b64 s[20:21], s[2:3]
	s_cbranch_execz .LBB448_325
; %bb.322:
	v_bfe_u32 v28, v22, 24, 7
	s_movk_i32 s2, 0x7f
	v_cmp_ne_u32_e64 s[2:3], s2, v28
	v_mov_b32_e32 v32, 0x7f800001
	s_and_saveexec_b64 s[22:23], s[2:3]
	s_cbranch_execz .LBB448_324
; %bb.323:
	v_and_b32_e32 v34, 7, v26
	v_ffbh_u32_e32 v32, v34
	v_min_u32_e32 v36, 32, v32
	v_subrev_u32_e32 v32, 28, v36
	v_lshlrev_b64 v[32:33], v32, v[26:27]
	v_lshrrev_b32_e32 v35, 3, v28
	v_sub_u32_e32 v33, 29, v36
	v_and_b32_e32 v32, 7, v32
	v_cmp_gt_u32_e64 s[2:3], 8, v28
	v_cndmask_b32_e64 v28, v35, v33, s[2:3]
	v_cndmask_b32_e64 v32, v34, v32, s[2:3]
	v_lshlrev_b32_e32 v26, 24, v26
	v_bfrev_b32_e32 v33, 60
	v_lshlrev_b32_e32 v32, 20, v32
	v_and_b32_e32 v26, 0x80000000, v26
	v_lshl_add_u32 v28, v28, 23, v33
	v_or3_b32 v32, v26, v28, v32
.LBB448_324:
	s_or_b64 exec, exec, s[22:23]
.LBB448_325:
	s_or_b64 exec, exec, s[20:21]
.LBB448_326:
	s_or_b64 exec, exec, s[10:11]
	v_mov_b32_e32 v26, v23
	v_cmp_ne_u16_sdwa s[2:3], v23, v27 src0_sel:BYTE_0 src1_sel:DWORD
	s_and_saveexec_b64 s[10:11], s[2:3]
	s_cbranch_execz .LBB448_332
; %bb.327:
	s_movk_i32 s2, 0x80
	v_cmp_ne_u16_sdwa s[2:3], v23, s2 src0_sel:BYTE_0 src1_sel:DWORD
	v_bfrev_b32_e32 v28, 1
	s_and_saveexec_b64 s[20:21], s[2:3]
	s_cbranch_execz .LBB448_331
; %bb.328:
	s_movk_i32 s2, 0x7f
	v_and_b32_e32 v33, 0x7f, v23
	v_cmp_ne_u32_e64 s[2:3], s2, v33
	v_mov_b32_e32 v28, 0x7f800001
	s_and_saveexec_b64 s[22:23], s[2:3]
	s_cbranch_execz .LBB448_330
; %bb.329:
	v_and_b32_e32 v28, 7, v23
	v_ffbh_u32_e32 v28, v28
	v_min_u32_e32 v28, 32, v28
	v_subrev_u32_e32 v35, 28, v28
	v_cmp_gt_u32_e64 s[2:3], 8, v33
	v_lshrrev_b32_e32 v34, 3, v33
	v_sub_u32_e32 v28, 29, v28
	v_cndmask_b32_e64 v33, 0, v35, s[2:3]
	v_cndmask_b32_e64 v28, v34, v28, s[2:3]
	v_lshlrev_b64 v[34:35], v33, v[26:27]
	v_lshlrev_b32_e32 v27, 20, v34
	v_lshlrev_b32_e32 v33, 24, v26
	v_bfrev_b32_e32 v34, 60
	v_and_b32_e32 v27, 0x700000, v27
	v_and_b32_e32 v33, 0x80000000, v33
	v_lshl_add_u32 v28, v28, 23, v34
	v_or3_b32 v28, v33, v28, v27
.LBB448_330:
	s_or_b64 exec, exec, s[22:23]
.LBB448_331:
	s_or_b64 exec, exec, s[20:21]
	v_mov_b32_e32 v27, v28
.LBB448_332:
	s_or_b64 exec, exec, s[10:11]
	v_lshrrev_b16_e32 v28, 8, v26
	v_cmp_ne_u16_e64 s[2:3], 0, v28
	v_mov_b32_e32 v33, 0
	v_mov_b32_e32 v34, 0
	s_and_saveexec_b64 s[10:11], s[2:3]
	s_cbranch_execz .LBB448_338
; %bb.333:
	s_movk_i32 s2, 0x80
	v_cmp_ne_u16_e64 s[2:3], s2, v28
	v_bfrev_b32_e32 v34, 1
	s_and_saveexec_b64 s[20:21], s[2:3]
	s_cbranch_execz .LBB448_337
; %bb.334:
	s_movk_i32 s2, 0x7f
	v_and_b32_e32 v35, 0x7f, v28
	v_cmp_ne_u32_e64 s[2:3], s2, v35
	v_mov_b32_e32 v34, 0x7f800001
	s_and_saveexec_b64 s[22:23], s[2:3]
	s_cbranch_execz .LBB448_336
; %bb.335:
	v_and_b32_e32 v34, 7, v28
	v_ffbh_u32_e32 v36, v34
	v_min_u32_e32 v39, 32, v36
	v_subrev_u32_e32 v36, 28, v39
	v_lshlrev_b64 v[36:37], v36, v[28:29]
	v_lshrrev_b32_e32 v38, 3, v35
	v_sub_u32_e32 v28, 29, v39
	v_and_b32_e32 v36, 7, v36
	v_cmp_gt_u32_e64 s[2:3], 8, v35
	v_cndmask_b32_e64 v28, v38, v28, s[2:3]
	v_cndmask_b32_e64 v34, v34, v36, s[2:3]
	v_lshlrev_b32_e32 v26, 16, v26
	v_bfrev_b32_e32 v35, 60
	v_lshlrev_b32_e32 v34, 20, v34
	v_and_b32_e32 v26, 0x80000000, v26
	v_lshl_add_u32 v28, v28, 23, v35
	v_or3_b32 v34, v26, v28, v34
.LBB448_336:
	s_or_b64 exec, exec, s[22:23]
.LBB448_337:
	s_or_b64 exec, exec, s[20:21]
.LBB448_338:
	s_or_b64 exec, exec, s[10:11]
	s_movk_i32 s2, 0xff
	v_and_b32_sdwa v28, v23, s2 dst_sel:DWORD dst_unused:UNUSED_PAD src0_sel:WORD_1 src1_sel:DWORD
	v_lshrrev_b32_e32 v26, 16, v23
	v_cmp_ne_u16_e64 s[2:3], 0, v28
	s_and_saveexec_b64 s[10:11], s[2:3]
	s_cbranch_execz .LBB448_344
; %bb.339:
	s_movk_i32 s2, 0x80
	v_cmp_ne_u16_e64 s[2:3], s2, v28
	v_bfrev_b32_e32 v33, 1
	s_and_saveexec_b64 s[20:21], s[2:3]
	s_cbranch_execz .LBB448_343
; %bb.340:
	v_bfe_u32 v28, v23, 16, 7
	s_movk_i32 s2, 0x7f
	v_cmp_ne_u32_e64 s[2:3], s2, v28
	v_mov_b32_e32 v33, 0x7f800001
	s_and_saveexec_b64 s[22:23], s[2:3]
	s_cbranch_execz .LBB448_342
; %bb.341:
	v_and_b32_e32 v33, 7, v26
	v_ffbh_u32_e32 v36, v33
	v_min_u32_e32 v38, 32, v36
	v_subrev_u32_e32 v36, 28, v38
	v_lshlrev_b64 v[36:37], v36, v[26:27]
	v_and_b32_e32 v36, 7, v36
	v_cmp_gt_u32_e64 s[2:3], 8, v28
	v_lshrrev_b32_e32 v35, 3, v28
	v_sub_u32_e32 v26, 29, v38
	v_cndmask_b32_e64 v28, v33, v36, s[2:3]
	v_mov_b32_e32 v33, 24
	v_cndmask_b32_e64 v26, v35, v26, s[2:3]
	v_lshlrev_b32_sdwa v33, v33, v23 dst_sel:DWORD dst_unused:UNUSED_PAD src0_sel:DWORD src1_sel:WORD_1
	v_bfrev_b32_e32 v35, 60
	v_lshlrev_b32_e32 v28, 20, v28
	v_and_b32_e32 v33, 0x80000000, v33
	v_lshl_add_u32 v26, v26, 23, v35
	v_or3_b32 v33, v33, v26, v28
.LBB448_342:
	s_or_b64 exec, exec, s[22:23]
.LBB448_343:
	s_or_b64 exec, exec, s[20:21]
.LBB448_344:
	s_or_b64 exec, exec, s[10:11]
	s_mov_b32 s2, -1
	s_mov_b32 s3, 0xffffff
	v_cmp_lt_u64_e64 s[2:3], s[2:3], v[22:23]
	v_mov_b32_e32 v28, 0
	v_mov_b32_e32 v26, 0
	s_and_saveexec_b64 s[10:11], s[2:3]
	s_cbranch_execz .LBB448_350
; %bb.345:
	v_lshrrev_b32_e32 v22, 24, v23
	s_movk_i32 s2, 0x80
	v_cmp_ne_u32_e64 s[2:3], s2, v22
	v_bfrev_b32_e32 v26, 1
	s_and_saveexec_b64 s[20:21], s[2:3]
	s_cbranch_execz .LBB448_349
; %bb.346:
	v_bfe_u32 v23, v23, 24, 7
	s_movk_i32 s2, 0x7f
	v_cmp_ne_u32_e64 s[2:3], s2, v23
	v_mov_b32_e32 v26, 0x7f800001
	s_and_saveexec_b64 s[22:23], s[2:3]
	s_cbranch_execz .LBB448_348
; %bb.347:
	v_and_b32_e32 v26, 7, v22
	v_ffbh_u32_e32 v36, v26
	v_min_u32_e32 v38, 32, v36
	v_subrev_u32_e32 v36, 28, v38
	v_lshlrev_b64 v[36:37], v36, v[22:23]
	v_lshrrev_b32_e32 v35, 3, v23
	v_sub_u32_e32 v37, 29, v38
	v_and_b32_e32 v36, 7, v36
	v_cmp_gt_u32_e64 s[2:3], 8, v23
	v_cndmask_b32_e64 v23, v35, v37, s[2:3]
	v_cndmask_b32_e64 v26, v26, v36, s[2:3]
	v_lshlrev_b32_e32 v22, 24, v22
	v_bfrev_b32_e32 v35, 60
	v_lshlrev_b32_e32 v26, 20, v26
	v_and_b32_e32 v22, 0x80000000, v22
	v_lshl_add_u32 v23, v23, 23, v35
	v_or3_b32 v26, v22, v23, v26
.LBB448_348:
	s_or_b64 exec, exec, s[22:23]
.LBB448_349:
	s_or_b64 exec, exec, s[20:21]
.LBB448_350:
	s_or_b64 exec, exec, s[10:11]
	v_cvt_pkrtz_f16_f32 v22, v30, v31
	v_cvt_pkrtz_f16_f32 v23, v29, v32
	v_cvt_pkrtz_f16_f32 v30, v27, v34
	v_cvt_pkrtz_f16_f32 v31, v33, v26
	v_mfma_f32_4x4x4f16 a[0:3], v[18:19], v[22:23], a[0:3] cbsz:4 abid:6
	v_cmp_ne_u16_sdwa s[2:3], v24, v28 src0_sel:BYTE_0 src1_sel:DWORD
	v_mfma_f32_4x4x4f16 a[0:3], v[20:21], v[30:31], a[0:3] cbsz:4 abid:6
	s_and_saveexec_b64 s[10:11], s[2:3]
	s_cbranch_execz .LBB448_356
; %bb.351:
	s_movk_i32 s2, 0x80
	v_cmp_ne_u16_sdwa s[2:3], v24, s2 src0_sel:BYTE_0 src1_sel:DWORD
	v_bfrev_b32_e32 v28, 1
	s_and_saveexec_b64 s[20:21], s[2:3]
	s_cbranch_execz .LBB448_355
; %bb.352:
	s_movk_i32 s2, 0x7f
	v_and_b32_e32 v22, 0x7f, v24
	v_cmp_ne_u32_e64 s[2:3], s2, v22
	v_mov_b32_e32 v28, 0x7f800001
	s_and_saveexec_b64 s[22:23], s[2:3]
	s_cbranch_execz .LBB448_354
; %bb.353:
	v_and_b32_e32 v23, 7, v24
	v_ffbh_u32_e32 v23, v23
	v_min_u32_e32 v23, 32, v23
	v_subrev_u32_e32 v27, 28, v23
	v_cmp_gt_u32_e64 s[2:3], 8, v22
	v_lshrrev_b32_e32 v26, 3, v22
	v_sub_u32_e32 v23, 29, v23
	v_cndmask_b32_e64 v22, 0, v27, s[2:3]
	v_cndmask_b32_e64 v26, v26, v23, s[2:3]
	v_lshlrev_b64 v[22:23], v22, v[24:25]
	v_lshlrev_b32_e32 v22, 20, v22
	v_lshlrev_b32_e32 v23, 24, v24
	v_bfrev_b32_e32 v27, 60
	v_and_b32_e32 v22, 0x700000, v22
	v_and_b32_e32 v23, 0x80000000, v23
	v_lshl_add_u32 v26, v26, 23, v27
	v_or3_b32 v28, v23, v26, v22
.LBB448_354:
	s_or_b64 exec, exec, s[22:23]
.LBB448_355:
	s_or_b64 exec, exec, s[20:21]
.LBB448_356:
	s_or_b64 exec, exec, s[10:11]
	v_lshrrev_b16_e32 v22, 8, v24
	v_cmp_ne_u16_e64 s[2:3], 0, v22
	v_mov_b32_e32 v27, 0
	v_mov_b32_e32 v29, 0
	s_and_saveexec_b64 s[10:11], s[2:3]
	s_cbranch_execz .LBB448_362
; %bb.357:
	s_movk_i32 s2, 0x80
	v_cmp_ne_u16_e64 s[2:3], s2, v22
	v_bfrev_b32_e32 v29, 1
	s_and_saveexec_b64 s[20:21], s[2:3]
	s_cbranch_execz .LBB448_361
; %bb.358:
	s_movk_i32 s2, 0x7f
	v_and_b32_e32 v23, 0x7f, v22
	v_cmp_ne_u32_e64 s[2:3], s2, v23
	v_mov_b32_e32 v29, 0x7f800001
	s_and_saveexec_b64 s[22:23], s[2:3]
	s_cbranch_execz .LBB448_360
; %bb.359:
	v_and_b32_e32 v26, 7, v22
	v_ffbh_u32_e32 v30, v26
	v_min_u32_e32 v32, 32, v30
	v_subrev_u32_e32 v30, 28, v32
	v_lshlrev_b64 v[30:31], v30, v[22:23]
	v_lshrrev_b32_e32 v29, 3, v23
	v_sub_u32_e32 v22, 29, v32
	v_and_b32_e32 v30, 7, v30
	v_cmp_gt_u32_e64 s[2:3], 8, v23
	v_cndmask_b32_e64 v22, v29, v22, s[2:3]
	v_cndmask_b32_e64 v23, v26, v30, s[2:3]
	v_lshlrev_b32_e32 v26, 16, v24
	v_bfrev_b32_e32 v29, 60
	v_lshlrev_b32_e32 v23, 20, v23
	v_and_b32_e32 v26, 0x80000000, v26
	v_lshl_add_u32 v22, v22, 23, v29
	v_or3_b32 v29, v26, v22, v23
.LBB448_360:
	s_or_b64 exec, exec, s[22:23]
.LBB448_361:
	s_or_b64 exec, exec, s[20:21]
.LBB448_362:
	s_or_b64 exec, exec, s[10:11]
	s_movk_i32 s2, 0xff
	v_and_b32_sdwa v23, v24, s2 dst_sel:DWORD dst_unused:UNUSED_PAD src0_sel:WORD_1 src1_sel:DWORD
	v_lshrrev_b32_e32 v22, 16, v24
	v_cmp_ne_u16_e64 s[2:3], 0, v23
	s_and_saveexec_b64 s[10:11], s[2:3]
	s_cbranch_execz .LBB448_368
; %bb.363:
	s_movk_i32 s2, 0x80
	v_cmp_ne_u16_e64 s[2:3], s2, v23
	v_bfrev_b32_e32 v27, 1
	s_and_saveexec_b64 s[20:21], s[2:3]
	s_cbranch_execz .LBB448_367
; %bb.364:
	v_bfe_u32 v23, v24, 16, 7
	s_movk_i32 s2, 0x7f
	v_cmp_ne_u32_e64 s[2:3], s2, v23
	v_mov_b32_e32 v27, 0x7f800001
	s_and_saveexec_b64 s[22:23], s[2:3]
	s_cbranch_execz .LBB448_366
; %bb.365:
	v_and_b32_e32 v30, 7, v22
	v_ffbh_u32_e32 v26, v30
	v_min_u32_e32 v32, 32, v26
	v_subrev_u32_e32 v26, 28, v32
	v_lshlrev_b64 v[26:27], v26, v[22:23]
	v_and_b32_e32 v26, 7, v26
	v_cmp_gt_u32_e64 s[2:3], 8, v23
	v_lshrrev_b32_e32 v31, 3, v23
	v_sub_u32_e32 v22, 29, v32
	v_cndmask_b32_e64 v23, v30, v26, s[2:3]
	v_mov_b32_e32 v26, 24
	v_cndmask_b32_e64 v22, v31, v22, s[2:3]
	v_lshlrev_b32_sdwa v26, v26, v24 dst_sel:DWORD dst_unused:UNUSED_PAD src0_sel:DWORD src1_sel:WORD_1
	v_bfrev_b32_e32 v27, 60
	v_lshlrev_b32_e32 v23, 20, v23
	v_and_b32_e32 v26, 0x80000000, v26
	v_lshl_add_u32 v22, v22, 23, v27
	v_or3_b32 v27, v26, v22, v23
.LBB448_366:
	s_or_b64 exec, exec, s[22:23]
.LBB448_367:
	s_or_b64 exec, exec, s[20:21]
.LBB448_368:
	s_or_b64 exec, exec, s[10:11]
	s_mov_b32 s2, 0xffffff
	v_cmp_lt_u32_e64 s[2:3], s2, v24
	v_mov_b32_e32 v23, 0
	v_mov_b32_e32 v30, 0
	s_and_saveexec_b64 s[10:11], s[2:3]
	s_cbranch_execz .LBB448_374
; %bb.369:
	v_lshrrev_b32_e32 v22, 24, v24
	s_movk_i32 s2, 0x80
	v_cmp_ne_u32_e64 s[2:3], s2, v22
	v_bfrev_b32_e32 v30, 1
	s_and_saveexec_b64 s[20:21], s[2:3]
	s_cbranch_execz .LBB448_373
; %bb.370:
	v_bfe_u32 v26, v24, 24, 7
	s_movk_i32 s2, 0x7f
	v_cmp_ne_u32_e64 s[2:3], s2, v26
	v_mov_b32_e32 v30, 0x7f800001
	s_and_saveexec_b64 s[22:23], s[2:3]
	s_cbranch_execz .LBB448_372
; %bb.371:
	v_and_b32_e32 v32, 7, v22
	v_ffbh_u32_e32 v30, v32
	v_min_u32_e32 v34, 32, v30
	v_subrev_u32_e32 v30, 28, v34
	v_lshlrev_b64 v[30:31], v30, v[22:23]
	v_lshrrev_b32_e32 v33, 3, v26
	v_sub_u32_e32 v31, 29, v34
	v_and_b32_e32 v30, 7, v30
	v_cmp_gt_u32_e64 s[2:3], 8, v26
	v_cndmask_b32_e64 v26, v33, v31, s[2:3]
	v_cndmask_b32_e64 v30, v32, v30, s[2:3]
	v_lshlrev_b32_e32 v22, 24, v22
	v_bfrev_b32_e32 v31, 60
	v_lshlrev_b32_e32 v30, 20, v30
	v_and_b32_e32 v22, 0x80000000, v22
	v_lshl_add_u32 v26, v26, 23, v31
	v_or3_b32 v30, v22, v26, v30
.LBB448_372:
	s_or_b64 exec, exec, s[22:23]
.LBB448_373:
	s_or_b64 exec, exec, s[20:21]
.LBB448_374:
	s_or_b64 exec, exec, s[10:11]
	v_mov_b32_e32 v22, v25
	v_cmp_ne_u16_sdwa s[2:3], v25, v23 src0_sel:BYTE_0 src1_sel:DWORD
	s_and_saveexec_b64 s[10:11], s[2:3]
	s_cbranch_execz .LBB448_380
; %bb.375:
	s_movk_i32 s2, 0x80
	v_cmp_ne_u16_sdwa s[2:3], v25, s2 src0_sel:BYTE_0 src1_sel:DWORD
	v_bfrev_b32_e32 v26, 1
	s_and_saveexec_b64 s[20:21], s[2:3]
	s_cbranch_execz .LBB448_379
; %bb.376:
	s_movk_i32 s2, 0x7f
	v_and_b32_e32 v31, 0x7f, v25
	v_cmp_ne_u32_e64 s[2:3], s2, v31
	v_mov_b32_e32 v26, 0x7f800001
	s_and_saveexec_b64 s[22:23], s[2:3]
	s_cbranch_execz .LBB448_378
; %bb.377:
	v_and_b32_e32 v26, 7, v25
	v_ffbh_u32_e32 v26, v26
	v_min_u32_e32 v26, 32, v26
	v_subrev_u32_e32 v33, 28, v26
	v_cmp_gt_u32_e64 s[2:3], 8, v31
	v_lshrrev_b32_e32 v32, 3, v31
	v_sub_u32_e32 v26, 29, v26
	v_cndmask_b32_e64 v31, 0, v33, s[2:3]
	v_cndmask_b32_e64 v26, v32, v26, s[2:3]
	v_lshlrev_b64 v[32:33], v31, v[22:23]
	v_lshlrev_b32_e32 v23, 20, v32
	v_lshlrev_b32_e32 v31, 24, v22
	v_bfrev_b32_e32 v32, 60
	v_and_b32_e32 v23, 0x700000, v23
	v_and_b32_e32 v31, 0x80000000, v31
	v_lshl_add_u32 v26, v26, 23, v32
	v_or3_b32 v26, v31, v26, v23
.LBB448_378:
	s_or_b64 exec, exec, s[22:23]
.LBB448_379:
	s_or_b64 exec, exec, s[20:21]
	v_mov_b32_e32 v23, v26
.LBB448_380:
	s_or_b64 exec, exec, s[10:11]
	v_lshrrev_b16_e32 v26, 8, v22
	v_cmp_ne_u16_e64 s[2:3], 0, v26
	v_mov_b32_e32 v31, 0
	v_mov_b32_e32 v32, 0
	s_and_saveexec_b64 s[10:11], s[2:3]
	s_cbranch_execz .LBB448_386
; %bb.381:
	s_movk_i32 s2, 0x80
	v_cmp_ne_u16_e64 s[2:3], s2, v26
	v_bfrev_b32_e32 v32, 1
	s_and_saveexec_b64 s[20:21], s[2:3]
	s_cbranch_execz .LBB448_385
; %bb.382:
	s_movk_i32 s2, 0x7f
	v_and_b32_e32 v33, 0x7f, v26
	v_cmp_ne_u32_e64 s[2:3], s2, v33
	v_mov_b32_e32 v32, 0x7f800001
	s_and_saveexec_b64 s[22:23], s[2:3]
	s_cbranch_execz .LBB448_384
; %bb.383:
	v_and_b32_e32 v32, 7, v26
	v_ffbh_u32_e32 v34, v32
	v_min_u32_e32 v37, 32, v34
	v_subrev_u32_e32 v34, 28, v37
	v_lshlrev_b64 v[34:35], v34, v[26:27]
	v_lshrrev_b32_e32 v36, 3, v33
	v_sub_u32_e32 v26, 29, v37
	v_and_b32_e32 v34, 7, v34
	v_cmp_gt_u32_e64 s[2:3], 8, v33
	v_cndmask_b32_e64 v26, v36, v26, s[2:3]
	v_cndmask_b32_e64 v32, v32, v34, s[2:3]
	v_lshlrev_b32_e32 v22, 16, v22
	v_bfrev_b32_e32 v33, 60
	v_lshlrev_b32_e32 v32, 20, v32
	v_and_b32_e32 v22, 0x80000000, v22
	v_lshl_add_u32 v26, v26, 23, v33
	v_or3_b32 v32, v22, v26, v32
.LBB448_384:
	s_or_b64 exec, exec, s[22:23]
.LBB448_385:
	s_or_b64 exec, exec, s[20:21]
.LBB448_386:
	s_or_b64 exec, exec, s[10:11]
	s_movk_i32 s2, 0xff
	v_and_b32_sdwa v26, v25, s2 dst_sel:DWORD dst_unused:UNUSED_PAD src0_sel:WORD_1 src1_sel:DWORD
	v_lshrrev_b32_e32 v22, 16, v25
	v_cmp_ne_u16_e64 s[2:3], 0, v26
	s_and_saveexec_b64 s[10:11], s[2:3]
	s_cbranch_execz .LBB448_392
; %bb.387:
	s_movk_i32 s2, 0x80
	v_cmp_ne_u16_e64 s[2:3], s2, v26
	v_bfrev_b32_e32 v31, 1
	s_and_saveexec_b64 s[20:21], s[2:3]
	s_cbranch_execz .LBB448_391
; %bb.388:
	v_bfe_u32 v26, v25, 16, 7
	s_movk_i32 s2, 0x7f
	v_cmp_ne_u32_e64 s[2:3], s2, v26
	v_mov_b32_e32 v31, 0x7f800001
	s_and_saveexec_b64 s[22:23], s[2:3]
	s_cbranch_execz .LBB448_390
; %bb.389:
	v_and_b32_e32 v31, 7, v22
	v_ffbh_u32_e32 v34, v31
	v_min_u32_e32 v36, 32, v34
	v_subrev_u32_e32 v34, 28, v36
	v_lshlrev_b64 v[34:35], v34, v[22:23]
	v_and_b32_e32 v34, 7, v34
	v_cmp_gt_u32_e64 s[2:3], 8, v26
	v_lshrrev_b32_e32 v33, 3, v26
	v_sub_u32_e32 v22, 29, v36
	v_cndmask_b32_e64 v26, v31, v34, s[2:3]
	v_mov_b32_e32 v31, 24
	v_cndmask_b32_e64 v22, v33, v22, s[2:3]
	v_lshlrev_b32_sdwa v31, v31, v25 dst_sel:DWORD dst_unused:UNUSED_PAD src0_sel:DWORD src1_sel:WORD_1
	v_bfrev_b32_e32 v33, 60
	v_lshlrev_b32_e32 v26, 20, v26
	v_and_b32_e32 v31, 0x80000000, v31
	v_lshl_add_u32 v22, v22, 23, v33
	v_or3_b32 v31, v31, v22, v26
.LBB448_390:
	s_or_b64 exec, exec, s[22:23]
.LBB448_391:
	s_or_b64 exec, exec, s[20:21]
.LBB448_392:
	s_or_b64 exec, exec, s[10:11]
	s_mov_b32 s2, -1
	s_mov_b32 s3, 0xffffff
	v_cmp_lt_u64_e64 s[2:3], s[2:3], v[24:25]
	v_mov_b32_e32 v24, 0
	s_and_saveexec_b64 s[10:11], s[2:3]
	s_cbranch_execz .LBB448_398
; %bb.393:
	v_lshrrev_b32_e32 v22, 24, v25
	s_movk_i32 s2, 0x80
	v_cmp_ne_u32_e64 s[2:3], s2, v22
	v_bfrev_b32_e32 v24, 1
	s_and_saveexec_b64 s[20:21], s[2:3]
	s_cbranch_execz .LBB448_397
; %bb.394:
	v_bfe_u32 v25, v25, 24, 7
	s_movk_i32 s2, 0x7f
	v_cmp_ne_u32_e64 s[2:3], s2, v25
	v_mov_b32_e32 v24, 0x7f800001
	s_and_saveexec_b64 s[22:23], s[2:3]
	s_cbranch_execz .LBB448_396
; %bb.395:
	v_and_b32_e32 v24, 7, v22
	v_ffbh_u32_e32 v33, v24
	v_min_u32_e32 v33, 32, v33
	v_subrev_u32_e32 v34, 28, v33
	v_lshlrev_b64 v[34:35], v34, v[22:23]
	v_lshrrev_b32_e32 v26, 3, v25
	v_sub_u32_e32 v33, 29, v33
	v_and_b32_e32 v34, 7, v34
	v_cmp_gt_u32_e64 s[2:3], 8, v25
	v_cndmask_b32_e64 v25, v26, v33, s[2:3]
	v_cndmask_b32_e64 v24, v24, v34, s[2:3]
	v_lshlrev_b32_e32 v22, 24, v22
	v_bfrev_b32_e32 v26, 60
	v_lshlrev_b32_e32 v24, 20, v24
	v_and_b32_e32 v22, 0x80000000, v22
	v_lshl_add_u32 v25, v25, 23, v26
	v_or3_b32 v24, v22, v25, v24
.LBB448_396:
	s_or_b64 exec, exec, s[22:23]
.LBB448_397:
	s_or_b64 exec, exec, s[20:21]
.LBB448_398:
	s_or_b64 exec, exec, s[10:11]
	s_load_dword s2, s[4:5], 0x1c
	v_cvt_pkrtz_f16_f32 v26, v28, v29
	v_cvt_pkrtz_f16_f32 v27, v27, v30
	s_load_dword s3, s[12:13], 0x0
	v_cvt_pkrtz_f16_f32 v22, v23, v32
	v_mfma_f32_4x4x4f16 a[0:3], v[18:19], v[26:27], a[0:3] cbsz:4 abid:7
	v_cvt_pkrtz_f16_f32 v23, v31, v24
	s_waitcnt lgkmcnt(0)
	v_mov_b32_e32 v18, s2
	v_mfma_f32_4x4x4f16 a[0:3], v[20:21], v[22:23], a[0:3] cbsz:4 abid:7
	v_mul_f32_e32 v20, s3, v18
	v_cmp_eq_u32_e64 s[2:3], 0, v43
	s_nop 2
	v_accvgpr_read_b32 v23, a1
	v_accvgpr_read_b32 v22, a0
	v_pk_mul_f32 v[22:23], v[22:23], v[20:21] op_sel_hi:[1,0]
	v_accvgpr_read_b32 v19, a3
	v_accvgpr_read_b32 v18, a2
	v_pk_mul_f32 v[18:19], v[18:19], v[20:21] op_sel_hi:[1,0]
	v_cndmask_b32_e64 v20, 0, 1.0, s[2:3]
	v_cmp_eq_u32_e64 s[2:3], 1, v43
	s_nop 0
	v_mfma_f32_4x4x1f32 a[0:3], v22, v20, 0
	v_cndmask_b32_e64 v20, 0, 1.0, s[2:3]
	v_cmp_eq_u32_e64 s[2:3], 2, v43
	v_mov_b32_e32 v22, 0xff7fffff
	v_mfma_f32_4x4x1f32 a[0:3], v23, v20, a[0:3]
	v_cndmask_b32_e64 v20, 0, 1.0, s[2:3]
	s_nop 1
	v_mfma_f32_4x4x1f32 a[0:3], v18, v20, a[0:3]
	v_cndmask_b32_e64 v18, 0, 1.0, vcc
	s_nop 1
	v_mfma_f32_4x4x1f32 a[0:3], v19, v18, a[0:3]
	v_and_b32_e32 v18, -4, v44
	v_cmp_gt_i32_e32 vcc, s7, v18
	v_lshlrev_b32_e32 v19, 2, v0
	v_and_or_b32 v19, v19, 48, v43
	s_nop 0
	v_accvgpr_read_b32 v20, a0
	v_max_f32_e32 v21, v20, v20
	v_max_f32_e32 v21, 0xff7fffff, v21
	v_accvgpr_read_b32 v23, a1
	v_cndmask_b32_e32 v21, v22, v21, vcc
	v_or_b32_e32 v22, 1, v18
	v_max_f32_e32 v24, v23, v23
	v_max_f32_e32 v24, v21, v24
	v_cmp_gt_i32_e64 s[2:3], s7, v22
	v_accvgpr_read_b32 v22, a2
	v_cndmask_b32_e64 v21, v21, v24, s[2:3]
	v_or_b32_e32 v18, 2, v18
	v_max_f32_e32 v24, v22, v22
	v_max_f32_e32 v24, v21, v24
	v_cmp_gt_i32_e64 s[4:5], s7, v18
	v_cndmask_b32_e64 v18, v21, v24, s[4:5]
	v_accvgpr_read_b32 v24, a3
	v_or_b32_e32 v21, 3, v44
	v_max_f32_e32 v25, v24, v24
	v_max_f32_e32 v25, v18, v25
	v_cmp_gt_i32_e64 s[10:11], s7, v21
	v_cndmask_b32_e64 v18, v18, v25, s[10:11]
	;;#ASMSTART
	v_nop
 v_nop
 v_max_f32_dpp v18, v18, v18 row_ror:4
	;;#ASMEND
	v_lshlrev_b32_e32 v25, 2, v19
	;;#ASMSTART
	v_nop
 v_nop
 v_max_f32_dpp v18, v18, v18 row_ror:8
	;;#ASMEND
	ds_bpermute_b32 v18, v25, v18
	s_waitcnt lgkmcnt(0)
	;;#ASMSTART
	v_nop
 v_nop
 v_max_f32_dpp v18, v18, v18 row_ror:4
	;;#ASMEND
	;;#ASMSTART
	v_nop
 v_nop
 v_max_f32_dpp v26, v18, v18 row_ror:8
	;;#ASMEND
	v_sub_f32_e32 v18, v20, v26
	v_mul_f32_e32 v18, 0x3fb8aa3b, v18
	v_sub_f32_e32 v19, v23, v26
	v_exp_f32_e32 v18, v18
	v_mul_f32_e32 v19, 0x3fb8aa3b, v19
	v_sub_f32_e32 v21, v22, v26
	v_exp_f32_e32 v19, v19
	;; [unrolled: 3-line block ×3, first 2 shown]
	v_mul_f32_e32 v22, 0x3fb8aa3b, v22
	v_exp_f32_e32 v22, v22
	v_cndmask_b32_e32 v18, 0, v18, vcc
	v_add_f32_e32 v20, 0, v18
	v_cndmask_b32_e64 v19, 0, v19, s[2:3]
	v_add_f32_e32 v23, v20, v19
	v_cndmask_b32_e64 v20, 0, v21, s[4:5]
	;; [unrolled: 2-line block ×3, first 2 shown]
	v_add_f32_e32 v22, v23, v21
	;;#ASMSTART
	v_nop
 v_nop
 v_add_f32_dpp v22, v22, v22 row_ror:4
	;;#ASMEND
	;;#ASMSTART
	v_nop
 v_nop
 v_add_f32_dpp v22, v22, v22 row_ror:8
	;;#ASMEND
	ds_bpermute_b32 v22, v25, v22
	s_waitcnt lgkmcnt(0)
	;;#ASMSTART
	v_nop
 v_nop
 v_add_f32_dpp v22, v22, v22 row_ror:4
	;;#ASMEND
	v_cmp_gt_u32_e32 vcc, 4, v1
	;;#ASMSTART
	v_nop
 v_nop
 v_add_f32_dpp v22, v22, v22 row_ror:8
	;;#ASMEND
	s_and_saveexec_b64 s[2:3], vcc
	s_cbranch_execz .LBB448_400
; %bb.399:
	v_mul_u32_u24_e32 v23, 20, v42
	v_lshl_add_u32 v23, v43, 2, v23
	v_add_u32_e32 v23, 0x800, v23
	ds_write2_b32 v23, v26, v22 offset0:128 offset1:148
.LBB448_400:
	s_or_b64 exec, exec, s[2:3]
.LBB448_401:
	s_or_b64 exec, exec, s[36:37]
	s_waitcnt lgkmcnt(0)
	s_barrier
	s_load_dword s2, s[34:35], 0x8
	v_lshlrev_b32_e32 v22, 2, v43
	v_add_u32_e32 v30, 0x800, v22
	ds_read2_b32 v[22:23], v30 offset0:128 offset1:133
	ds_read2_b32 v[24:25], v30 offset0:138 offset1:143
	s_mul_i32 s3, s6, s33
	s_waitcnt lgkmcnt(0)
	s_mul_i32 s2, s3, s2
	s_mov_b32 s3, 0xff7fffff
	v_max3_f32 v27, v22, s3, v23
	v_max3_f32 v27, v27, v24, v25
	v_sub_f32_e32 v22, v22, v27
	v_mul_f32_e32 v22, 0x3fb8aa3b, v22
	ds_read2_b32 v[28:29], v30 offset0:148 offset1:153
	v_exp_f32_e32 v31, v22
	v_sub_f32_e32 v22, v23, v27
	v_mul_f32_e32 v22, 0x3fb8aa3b, v22
	v_sub_f32_e32 v24, v24, v27
	v_exp_f32_e32 v32, v22
	ds_read2_b32 v[22:23], v30 offset0:158 offset1:163
	v_mul_f32_e32 v24, 0x3fb8aa3b, v24
	v_sub_f32_e32 v25, v25, v27
	v_exp_f32_e32 v24, v24
	v_mul_f32_e32 v25, 0x3fb8aa3b, v25
	v_exp_f32_e32 v25, v25
	s_waitcnt lgkmcnt(1)
	v_fma_f32 v28, v31, v28, 0
	v_fmac_f32_e32 v28, v32, v29
	s_waitcnt lgkmcnt(0)
	v_fmac_f32_e32 v28, v24, v22
	s_mul_i32 s10, s8, 3
	s_mul_i32 s2, s2, 3
	v_fmac_f32_e32 v28, v25, v23
	v_cmp_ne_u32_e32 vcc, 3, v43
	s_and_saveexec_b64 s[4:5], vcc
	s_cbranch_execz .LBB448_403
; %bb.402:
	s_mov_b32 s3, 0
	s_lshl_b64 s[6:7], s[2:3], 2
	s_add_u32 s11, s16, s6
	s_mov_b32 s29, s3
	s_addc_u32 s12, s17, s7
	s_lshl_b64 s[8:9], s[28:29], 2
	s_add_u32 s3, s11, s8
	s_addc_u32 s11, s12, s9
	v_add_u32_e32 v22, s10, v43
	s_add_u32 s6, s18, s6
	v_mul_lo_u32 v22, s33, v22
	v_mov_b32_e32 v23, 0
	s_addc_u32 s7, s19, s7
	v_lshlrev_b64 v[22:23], 2, v[22:23]
	s_add_u32 s6, s6, s8
	v_mov_b32_e32 v25, s11
	v_add_co_u32_e32 v24, vcc, s3, v22
	s_addc_u32 s7, s7, s9
	v_addc_co_u32_e32 v25, vcc, v25, v23, vcc
	v_mov_b32_e32 v29, s7
	v_add_co_u32_e32 v22, vcc, s6, v22
	v_addc_co_u32_e32 v23, vcc, v29, v23, vcc
	global_store_dword v[22:23], v27, off
	global_store_dword v[24:25], v28, off
.LBB448_403:
	s_or_b64 exec, exec, s[4:5]
	v_lshlrev_b32_e32 v25, 3, v42
	s_and_saveexec_b64 s[4:5], s[0:1]
	s_xor_b64 s[0:1], exec, s[4:5]
	s_cbranch_execz .LBB448_405
; %bb.404:
	s_waitcnt vmcnt(1)
	v_mov_b32_e32 v2, 0
	v_mad_u32_u24 v4, v1, 40, v25
	v_mov_b32_e32 v3, v2
	ds_write_b64 v4, v[2:3]
                                        ; implicit-def: $vgpr21
                                        ; implicit-def: $vgpr19
                                        ; implicit-def: $vgpr26
                                        ; implicit-def: $vgpr14_vgpr15
                                        ; implicit-def: $vgpr10_vgpr11
                                        ; implicit-def: $vgpr6_vgpr7
                                        ; implicit-def: $vgpr2_vgpr3
                                        ; implicit-def: $vgpr27
                                        ; implicit-def: $vgpr28
                                        ; implicit-def: $vgpr25
.LBB448_405:
	s_andn2_saveexec_b64 s[0:1], s[0:1]
	s_cbranch_execz .LBB448_791
; %bb.406:
	v_mov_b32_e32 v29, 0
	s_waitcnt vmcnt(2)
	v_cmp_ne_u16_sdwa s[6:7], v14, v29 src0_sel:BYTE_0 src1_sel:DWORD
	v_mov_b32_e32 v30, 0
	s_and_saveexec_b64 s[4:5], s[6:7]
	s_cbranch_execz .LBB448_412
; %bb.407:
	s_movk_i32 s3, 0x80
	v_cmp_ne_u16_sdwa s[8:9], v14, s3 src0_sel:BYTE_0 src1_sel:DWORD
	v_bfrev_b32_e32 v30, 1
	s_and_saveexec_b64 s[6:7], s[8:9]
	s_cbranch_execz .LBB448_411
; %bb.408:
	s_movk_i32 s3, 0x7f
	v_and_b32_e32 v22, 0x7f, v14
	v_cmp_ne_u32_e32 vcc, s3, v22
	v_mov_b32_e32 v30, 0x7f800001
	s_and_saveexec_b64 s[8:9], vcc
	s_cbranch_execz .LBB448_410
; %bb.409:
	v_and_b32_e32 v23, 7, v14
	v_ffbh_u32_e32 v23, v23
	v_min_u32_e32 v23, 32, v23
	v_subrev_u32_e32 v30, 28, v23
	v_cmp_gt_u32_e32 vcc, 8, v22
	v_lshrrev_b32_e32 v24, 3, v22
	v_sub_u32_e32 v23, 29, v23
	v_cndmask_b32_e32 v22, 0, v30, vcc
	v_cndmask_b32_e32 v24, v24, v23, vcc
	v_lshlrev_b64 v[22:23], v22, v[14:15]
	v_lshlrev_b32_e32 v22, 20, v22
	v_lshlrev_b32_e32 v23, 24, v14
	v_bfrev_b32_e32 v30, 60
	v_and_b32_e32 v22, 0x700000, v22
	v_and_b32_e32 v23, 0x80000000, v23
	v_lshl_add_u32 v24, v24, 23, v30
	v_or3_b32 v30, v23, v24, v22
.LBB448_410:
	s_or_b64 exec, exec, s[8:9]
.LBB448_411:
	s_or_b64 exec, exec, s[6:7]
.LBB448_412:
	s_or_b64 exec, exec, s[4:5]
	v_lshrrev_b16_e32 v22, 8, v14
	v_cmp_ne_u16_e32 vcc, 0, v22
	s_and_saveexec_b64 s[4:5], vcc
	s_cbranch_execz .LBB448_418
; %bb.413:
	s_movk_i32 s3, 0x80
	v_cmp_ne_u16_e32 vcc, s3, v22
	v_bfrev_b32_e32 v29, 1
	s_and_saveexec_b64 s[6:7], vcc
	s_cbranch_execz .LBB448_417
; %bb.414:
	s_movk_i32 s3, 0x7f
	v_and_b32_e32 v23, 0x7f, v22
	v_cmp_ne_u32_e32 vcc, s3, v23
	v_mov_b32_e32 v29, 0x7f800001
	s_and_saveexec_b64 s[8:9], vcc
	s_cbranch_execz .LBB448_416
; %bb.415:
	v_and_b32_e32 v24, 7, v22
	v_ffbh_u32_e32 v31, v24
	v_min_u32_e32 v31, 32, v31
	v_subrev_u32_e32 v32, 28, v31
	v_lshlrev_b64 v[32:33], v32, v[22:23]
	v_lshrrev_b32_e32 v29, 3, v23
	v_sub_u32_e32 v22, 29, v31
	v_and_b32_e32 v31, 7, v32
	v_cmp_gt_u32_e32 vcc, 8, v23
	v_cndmask_b32_e32 v22, v29, v22, vcc
	v_cndmask_b32_e32 v23, v24, v31, vcc
	v_lshlrev_b32_e32 v24, 16, v14
	v_bfrev_b32_e32 v29, 60
	v_lshlrev_b32_e32 v23, 20, v23
	v_and_b32_e32 v24, 0x80000000, v24
	v_lshl_add_u32 v22, v22, 23, v29
	v_or3_b32 v29, v24, v22, v23
.LBB448_416:
	s_or_b64 exec, exec, s[8:9]
.LBB448_417:
	s_or_b64 exec, exec, s[6:7]
.LBB448_418:
	s_or_b64 exec, exec, s[4:5]
	s_movk_i32 s3, 0xff
	v_and_b32_sdwa v23, v14, s3 dst_sel:DWORD dst_unused:UNUSED_PAD src0_sel:WORD_1 src1_sel:DWORD
	v_lshrrev_b32_e32 v22, 16, v14
	v_cmp_ne_u16_e32 vcc, 0, v23
	v_mov_b32_e32 v31, 0
	v_mov_b32_e32 v32, 0
	s_and_saveexec_b64 s[4:5], vcc
	s_cbranch_execz .LBB448_424
; %bb.419:
	s_movk_i32 s3, 0x80
	v_cmp_ne_u16_e32 vcc, s3, v23
	v_bfrev_b32_e32 v32, 1
	s_and_saveexec_b64 s[6:7], vcc
	s_cbranch_execz .LBB448_423
; %bb.420:
	v_bfe_u32 v23, v14, 16, 7
	s_movk_i32 s3, 0x7f
	v_cmp_ne_u32_e32 vcc, s3, v23
	v_mov_b32_e32 v32, 0x7f800001
	s_and_saveexec_b64 s[8:9], vcc
	s_cbranch_execz .LBB448_422
; %bb.421:
	v_and_b32_e32 v24, 7, v22
	v_ffbh_u32_e32 v32, v24
	v_min_u32_e32 v35, 32, v32
	v_subrev_u32_e32 v32, 28, v35
	v_lshlrev_b64 v[32:33], v32, v[22:23]
	v_and_b32_e32 v32, 7, v32
	v_cmp_gt_u32_e32 vcc, 8, v23
	v_lshrrev_b32_e32 v34, 3, v23
	v_sub_u32_e32 v22, 29, v35
	v_cndmask_b32_e32 v23, v24, v32, vcc
	v_mov_b32_e32 v24, 24
	v_cndmask_b32_e32 v22, v34, v22, vcc
	v_lshlrev_b32_sdwa v24, v24, v14 dst_sel:DWORD dst_unused:UNUSED_PAD src0_sel:DWORD src1_sel:WORD_1
	v_bfrev_b32_e32 v32, 60
	v_lshlrev_b32_e32 v23, 20, v23
	v_and_b32_e32 v24, 0x80000000, v24
	v_lshl_add_u32 v22, v22, 23, v32
	v_or3_b32 v32, v24, v22, v23
.LBB448_422:
	s_or_b64 exec, exec, s[8:9]
.LBB448_423:
	s_or_b64 exec, exec, s[6:7]
.LBB448_424:
	s_or_b64 exec, exec, s[4:5]
	s_mov_b32 s3, 0xffffff
	v_cmp_lt_u32_e32 vcc, s3, v14
	s_and_saveexec_b64 s[4:5], vcc
	s_cbranch_execz .LBB448_430
; %bb.425:
	v_lshrrev_b32_e32 v22, 24, v14
	s_movk_i32 s3, 0x80
	v_cmp_ne_u32_e32 vcc, s3, v22
	v_bfrev_b32_e32 v31, 1
	s_and_saveexec_b64 s[6:7], vcc
	s_cbranch_execz .LBB448_429
; %bb.426:
	v_bfe_u32 v23, v14, 24, 7
	s_movk_i32 s3, 0x7f
	v_cmp_ne_u32_e32 vcc, s3, v23
	v_mov_b32_e32 v31, 0x7f800001
	s_and_saveexec_b64 s[8:9], vcc
	s_cbranch_execz .LBB448_428
; %bb.427:
	v_and_b32_e32 v24, 7, v22
	v_ffbh_u32_e32 v33, v24
	v_min_u32_e32 v33, 32, v33
	v_subrev_u32_e32 v34, 28, v33
	v_lshlrev_b64 v[34:35], v34, v[22:23]
	v_lshrrev_b32_e32 v31, 3, v23
	v_sub_u32_e32 v33, 29, v33
	v_and_b32_e32 v34, 7, v34
	v_cmp_gt_u32_e32 vcc, 8, v23
	v_cndmask_b32_e32 v23, v31, v33, vcc
	v_cndmask_b32_e32 v24, v24, v34, vcc
	v_lshlrev_b32_e32 v22, 24, v22
	v_bfrev_b32_e32 v31, 60
	v_lshlrev_b32_e32 v24, 20, v24
	v_and_b32_e32 v22, 0x80000000, v22
	v_lshl_add_u32 v23, v23, 23, v31
	v_or3_b32 v31, v22, v23, v24
.LBB448_428:
	s_or_b64 exec, exec, s[8:9]
.LBB448_429:
	s_or_b64 exec, exec, s[6:7]
.LBB448_430:
	s_or_b64 exec, exec, s[4:5]
	v_mov_b32_e32 v23, 0
	v_mov_b32_e32 v22, v15
	v_cmp_ne_u16_sdwa s[6:7], v15, v23 src0_sel:BYTE_0 src1_sel:DWORD
	v_mov_b32_e32 v33, v23
	s_and_saveexec_b64 s[4:5], s[6:7]
	s_cbranch_execz .LBB448_436
; %bb.431:
	s_movk_i32 s3, 0x80
	v_cmp_ne_u16_sdwa s[8:9], v15, s3 src0_sel:BYTE_0 src1_sel:DWORD
	v_bfrev_b32_e32 v33, 1
	s_and_saveexec_b64 s[6:7], s[8:9]
	s_cbranch_execz .LBB448_435
; %bb.432:
	s_movk_i32 s3, 0x7f
	v_and_b32_e32 v24, 0x7f, v15
	v_cmp_ne_u32_e32 vcc, s3, v24
	v_mov_b32_e32 v33, 0x7f800001
	s_and_saveexec_b64 s[8:9], vcc
	s_cbranch_execz .LBB448_434
; %bb.433:
	v_and_b32_e32 v33, 7, v15
	v_ffbh_u32_e32 v33, v33
	v_min_u32_e32 v33, 32, v33
	v_lshrrev_b32_e32 v34, 3, v24
	v_subrev_u32_e32 v35, 28, v33
	v_sub_u32_e32 v33, 29, v33
	v_cmp_gt_u32_e32 vcc, 8, v24
	v_cndmask_b32_e32 v24, v34, v33, vcc
	v_cndmask_b32_e32 v33, 0, v35, vcc
	v_lshlrev_b64 v[34:35], v33, v[22:23]
	v_lshlrev_b32_e32 v33, 20, v34
	v_lshlrev_b32_e32 v34, 24, v22
	v_bfrev_b32_e32 v35, 60
	v_and_b32_e32 v33, 0x700000, v33
	v_and_b32_e32 v34, 0x80000000, v34
	v_lshl_add_u32 v24, v24, 23, v35
	v_or3_b32 v33, v34, v24, v33
.LBB448_434:
	s_or_b64 exec, exec, s[8:9]
.LBB448_435:
	s_or_b64 exec, exec, s[6:7]
.LBB448_436:
	s_or_b64 exec, exec, s[4:5]
	v_lshrrev_b16_e32 v24, 8, v22
	v_cmp_ne_u16_e32 vcc, 0, v24
	s_and_saveexec_b64 s[4:5], vcc
	s_cbranch_execz .LBB448_442
; %bb.437:
	s_movk_i32 s3, 0x80
	v_cmp_ne_u16_e32 vcc, s3, v24
	v_bfrev_b32_e32 v23, 1
	s_and_saveexec_b64 s[6:7], vcc
	s_cbranch_execz .LBB448_441
; %bb.438:
	s_movk_i32 s3, 0x7f
	v_and_b32_e32 v34, 0x7f, v24
	v_cmp_ne_u32_e32 vcc, s3, v34
	v_mov_b32_e32 v23, 0x7f800001
	s_and_saveexec_b64 s[8:9], vcc
	s_cbranch_execz .LBB448_440
; %bb.439:
	v_and_b32_e32 v23, 7, v24
	v_ffbh_u32_e32 v36, v23
	v_min_u32_e32 v38, 32, v36
	v_subrev_u32_e32 v36, 28, v38
	v_lshlrev_b64 v[36:37], v36, v[24:25]
	v_lshrrev_b32_e32 v35, 3, v34
	v_sub_u32_e32 v24, 29, v38
	v_and_b32_e32 v36, 7, v36
	v_cmp_gt_u32_e32 vcc, 8, v34
	v_cndmask_b32_e32 v24, v35, v24, vcc
	v_cndmask_b32_e32 v23, v23, v36, vcc
	v_lshlrev_b32_e32 v22, 16, v22
	v_bfrev_b32_e32 v34, 60
	v_lshlrev_b32_e32 v23, 20, v23
	v_and_b32_e32 v22, 0x80000000, v22
	v_lshl_add_u32 v24, v24, 23, v34
	v_or3_b32 v23, v22, v24, v23
.LBB448_440:
	s_or_b64 exec, exec, s[8:9]
.LBB448_441:
	s_or_b64 exec, exec, s[6:7]
.LBB448_442:
	s_or_b64 exec, exec, s[4:5]
	s_movk_i32 s3, 0xff
	v_and_b32_sdwa v35, v15, s3 dst_sel:DWORD dst_unused:UNUSED_PAD src0_sel:WORD_1 src1_sel:DWORD
	v_lshrrev_b32_e32 v22, 16, v15
	v_cmp_ne_u16_e32 vcc, 0, v35
	v_mov_b32_e32 v24, 0
	v_mov_b32_e32 v34, 0
	s_and_saveexec_b64 s[4:5], vcc
	s_cbranch_execz .LBB448_448
; %bb.443:
	s_movk_i32 s3, 0x80
	v_cmp_ne_u16_e32 vcc, s3, v35
	v_bfrev_b32_e32 v34, 1
	s_and_saveexec_b64 s[6:7], vcc
	s_cbranch_execz .LBB448_447
; %bb.444:
	v_bfe_u32 v35, v15, 16, 7
	s_movk_i32 s3, 0x7f
	v_cmp_ne_u32_e32 vcc, s3, v35
	v_mov_b32_e32 v34, 0x7f800001
	s_and_saveexec_b64 s[8:9], vcc
	s_cbranch_execz .LBB448_446
; %bb.445:
	v_and_b32_e32 v34, 7, v22
	v_ffbh_u32_e32 v36, v34
	v_min_u32_e32 v39, 32, v36
	v_subrev_u32_e32 v36, 28, v39
	v_lshlrev_b64 v[36:37], v36, v[22:23]
	v_lshrrev_b32_e32 v38, 3, v35
	v_sub_u32_e32 v22, 29, v39
	v_and_b32_e32 v36, 7, v36
	v_cmp_gt_u32_e32 vcc, 8, v35
	v_mov_b32_e32 v35, 24
	v_cndmask_b32_e32 v22, v38, v22, vcc
	v_cndmask_b32_e32 v34, v34, v36, vcc
	v_lshlrev_b32_sdwa v35, v35, v15 dst_sel:DWORD dst_unused:UNUSED_PAD src0_sel:DWORD src1_sel:WORD_1
	v_bfrev_b32_e32 v36, 60
	v_lshlrev_b32_e32 v34, 20, v34
	v_and_b32_e32 v35, 0x80000000, v35
	v_lshl_add_u32 v22, v22, 23, v36
	v_or3_b32 v34, v35, v22, v34
.LBB448_446:
	s_or_b64 exec, exec, s[8:9]
.LBB448_447:
	s_or_b64 exec, exec, s[6:7]
.LBB448_448:
	s_or_b64 exec, exec, s[4:5]
	s_mov_b32 s4, -1
	s_mov_b32 s5, 0xffffff
	v_cmp_lt_u64_e32 vcc, s[4:5], v[14:15]
	s_and_saveexec_b64 s[4:5], vcc
	s_cbranch_execz .LBB448_454
; %bb.449:
	v_lshrrev_b32_e32 v14, 24, v15
	s_movk_i32 s3, 0x80
	v_cmp_ne_u32_e32 vcc, s3, v14
	v_bfrev_b32_e32 v24, 1
	s_and_saveexec_b64 s[6:7], vcc
	s_cbranch_execz .LBB448_453
; %bb.450:
	v_bfe_u32 v15, v15, 24, 7
	s_movk_i32 s3, 0x7f
	v_cmp_ne_u32_e32 vcc, s3, v15
	v_mov_b32_e32 v24, 0x7f800001
	s_and_saveexec_b64 s[8:9], vcc
	s_cbranch_execz .LBB448_452
; %bb.451:
	v_and_b32_e32 v22, 7, v14
	v_ffbh_u32_e32 v35, v22
	v_min_u32_e32 v35, 32, v35
	v_subrev_u32_e32 v36, 28, v35
	v_lshlrev_b64 v[36:37], v36, v[14:15]
	v_lshrrev_b32_e32 v24, 3, v15
	v_sub_u32_e32 v35, 29, v35
	v_and_b32_e32 v36, 7, v36
	v_cmp_gt_u32_e32 vcc, 8, v15
	v_cndmask_b32_e32 v15, v24, v35, vcc
	v_cndmask_b32_e32 v22, v22, v36, vcc
	v_lshlrev_b32_e32 v14, 24, v14
	v_bfrev_b32_e32 v24, 60
	v_lshlrev_b32_e32 v22, 20, v22
	v_and_b32_e32 v14, 0x80000000, v14
	v_lshl_add_u32 v15, v15, 23, v24
	v_or3_b32 v24, v14, v15, v22
.LBB448_452:
	s_or_b64 exec, exec, s[8:9]
.LBB448_453:
	s_or_b64 exec, exec, s[6:7]
.LBB448_454:
	s_or_b64 exec, exec, s[4:5]
	v_add_f32_e32 v14, 0x358637bd, v28
	v_div_scale_f32 v15, s[4:5], v14, v14, 1.0
	v_rcp_f32_e32 v22, v15
	v_div_scale_f32 v28, vcc, 1.0, v14, 1.0
	v_sub_f32_e32 v26, v26, v27
	v_fma_f32 v35, -v15, v22, 1.0
	v_fmac_f32_e32 v22, v35, v22
	v_mul_f32_e32 v35, v28, v22
	v_fma_f32 v36, -v15, v35, v28
	v_mul_f32_e32 v26, 0x3fb8aa3b, v26
	v_fmac_f32_e32 v35, v36, v22
	v_exp_f32_e32 v26, v26
	v_fma_f32 v15, -v15, v35, v28
	v_div_fmas_f32 v15, v15, v22, v35
	v_div_fixup_f32 v14, v15, v14, 1.0
	v_mul_f32_e32 v14, v26, v14
	v_pk_mul_f32 v[20:21], v[20:21], v[14:15] op_sel_hi:[1,0]
	v_pk_mul_f32 v[14:15], v[18:19], v[14:15] op_sel_hi:[1,0]
	v_cvt_f16_f32_e32 v14, v14
	v_cvt_f16_f32_e32 v15, v15
	;; [unrolled: 1-line block ×4, first 2 shown]
	v_cvt_pkrtz_f16_f32 v22, v33, v23
	v_pack_b32_f16 v14, v14, v15
	v_cvt_pkrtz_f16_f32 v23, v34, v24
	v_pack_b32_f16 v15, v18, v19
	v_cvt_pkrtz_f16_f32 v18, v30, v29
	v_cvt_pkrtz_f16_f32 v19, v32, v31
	v_mov_b32_e32 v21, 0
	s_nop 0
	v_mfma_f32_4x4x4f16 a[0:3], v[14:15], v[18:19], 0 cbsz:4
	v_mfma_f32_4x4x4f16 a[0:3], v[14:15], v[22:23], a[0:3] cbsz:4 abid:1
	v_mov_b32_e32 v22, 0
	v_cmp_ne_u16_sdwa s[6:7], v16, v22 src0_sel:BYTE_0 src1_sel:DWORD
	s_and_saveexec_b64 s[4:5], s[6:7]
	s_cbranch_execz .LBB448_460
; %bb.455:
	s_movk_i32 s3, 0x80
	v_cmp_ne_u16_sdwa s[8:9], v16, s3 src0_sel:BYTE_0 src1_sel:DWORD
	v_bfrev_b32_e32 v21, 1
	s_and_saveexec_b64 s[6:7], s[8:9]
	s_cbranch_execz .LBB448_459
; %bb.456:
	s_movk_i32 s3, 0x7f
	v_and_b32_e32 v18, 0x7f, v16
	v_cmp_ne_u32_e32 vcc, s3, v18
	v_mov_b32_e32 v21, 0x7f800001
	s_and_saveexec_b64 s[8:9], vcc
	s_cbranch_execz .LBB448_458
; %bb.457:
	v_and_b32_e32 v19, 7, v16
	v_ffbh_u32_e32 v19, v19
	v_min_u32_e32 v19, 32, v19
	v_subrev_u32_e32 v21, 28, v19
	v_cmp_gt_u32_e32 vcc, 8, v18
	v_lshrrev_b32_e32 v20, 3, v18
	v_sub_u32_e32 v19, 29, v19
	v_cndmask_b32_e32 v18, 0, v21, vcc
	v_cndmask_b32_e32 v20, v20, v19, vcc
	v_lshlrev_b64 v[18:19], v18, v[16:17]
	v_lshlrev_b32_e32 v18, 20, v18
	v_lshlrev_b32_e32 v19, 24, v16
	v_bfrev_b32_e32 v21, 60
	v_and_b32_e32 v18, 0x700000, v18
	v_and_b32_e32 v19, 0x80000000, v19
	v_lshl_add_u32 v20, v20, 23, v21
	v_or3_b32 v21, v19, v20, v18
.LBB448_458:
	s_or_b64 exec, exec, s[8:9]
.LBB448_459:
	s_or_b64 exec, exec, s[6:7]
.LBB448_460:
	s_or_b64 exec, exec, s[4:5]
	v_lshrrev_b16_e32 v18, 8, v16
	v_cmp_ne_u16_e32 vcc, 0, v18
	v_mov_b32_e32 v23, 0
	s_and_saveexec_b64 s[4:5], vcc
	s_cbranch_execz .LBB448_466
; %bb.461:
	s_movk_i32 s3, 0x80
	v_cmp_ne_u16_e32 vcc, s3, v18
	v_bfrev_b32_e32 v23, 1
	s_and_saveexec_b64 s[6:7], vcc
	s_cbranch_execz .LBB448_465
; %bb.462:
	s_movk_i32 s3, 0x7f
	v_and_b32_e32 v19, 0x7f, v18
	v_cmp_ne_u32_e32 vcc, s3, v19
	v_mov_b32_e32 v23, 0x7f800001
	s_and_saveexec_b64 s[8:9], vcc
	s_cbranch_execz .LBB448_464
; %bb.463:
	v_and_b32_e32 v20, 7, v18
	v_ffbh_u32_e32 v24, v20
	v_min_u32_e32 v24, 32, v24
	v_subrev_u32_e32 v26, 28, v24
	v_lshlrev_b64 v[26:27], v26, v[18:19]
	v_lshrrev_b32_e32 v23, 3, v19
	v_sub_u32_e32 v18, 29, v24
	v_and_b32_e32 v24, 7, v26
	v_cmp_gt_u32_e32 vcc, 8, v19
	v_cndmask_b32_e32 v18, v23, v18, vcc
	v_cndmask_b32_e32 v19, v20, v24, vcc
	v_lshlrev_b32_e32 v20, 16, v16
	v_bfrev_b32_e32 v23, 60
	v_lshlrev_b32_e32 v19, 20, v19
	v_and_b32_e32 v20, 0x80000000, v20
	v_lshl_add_u32 v18, v18, 23, v23
	v_or3_b32 v23, v20, v18, v19
.LBB448_464:
	s_or_b64 exec, exec, s[8:9]
.LBB448_465:
	s_or_b64 exec, exec, s[6:7]
.LBB448_466:
	s_or_b64 exec, exec, s[4:5]
	s_movk_i32 s3, 0xff
	v_and_b32_sdwa v19, v16, s3 dst_sel:DWORD dst_unused:UNUSED_PAD src0_sel:WORD_1 src1_sel:DWORD
	v_lshrrev_b32_e32 v18, 16, v16
	v_cmp_ne_u16_e32 vcc, 0, v19
	s_and_saveexec_b64 s[4:5], vcc
	s_cbranch_execz .LBB448_472
; %bb.467:
	s_movk_i32 s3, 0x80
	v_cmp_ne_u16_e32 vcc, s3, v19
	v_bfrev_b32_e32 v22, 1
	s_and_saveexec_b64 s[6:7], vcc
	s_cbranch_execz .LBB448_471
; %bb.468:
	v_bfe_u32 v19, v16, 16, 7
	s_movk_i32 s3, 0x7f
	v_cmp_ne_u32_e32 vcc, s3, v19
	v_mov_b32_e32 v22, 0x7f800001
	s_and_saveexec_b64 s[8:9], vcc
	s_cbranch_execz .LBB448_470
; %bb.469:
	v_and_b32_e32 v20, 7, v18
	v_ffbh_u32_e32 v24, v20
	v_min_u32_e32 v24, 32, v24
	v_subrev_u32_e32 v26, 28, v24
	v_lshlrev_b64 v[26:27], v26, v[18:19]
	v_sub_u32_e32 v18, 29, v24
	v_and_b32_e32 v24, 7, v26
	v_cmp_gt_u32_e32 vcc, 8, v19
	v_lshrrev_b32_e32 v22, 3, v19
	v_cndmask_b32_e32 v19, v20, v24, vcc
	v_mov_b32_e32 v20, 24
	v_cndmask_b32_e32 v18, v22, v18, vcc
	v_lshlrev_b32_sdwa v20, v20, v16 dst_sel:DWORD dst_unused:UNUSED_PAD src0_sel:DWORD src1_sel:WORD_1
	v_bfrev_b32_e32 v22, 60
	v_lshlrev_b32_e32 v19, 20, v19
	v_and_b32_e32 v20, 0x80000000, v20
	v_lshl_add_u32 v18, v18, 23, v22
	v_or3_b32 v22, v20, v18, v19
.LBB448_470:
	s_or_b64 exec, exec, s[8:9]
.LBB448_471:
	s_or_b64 exec, exec, s[6:7]
.LBB448_472:
	s_or_b64 exec, exec, s[4:5]
	s_mov_b32 s3, 0xffffff
	v_cmp_lt_u32_e32 vcc, s3, v16
	v_mov_b32_e32 v19, 0
	v_mov_b32_e32 v24, 0
	s_and_saveexec_b64 s[4:5], vcc
	s_cbranch_execz .LBB448_478
; %bb.473:
	v_lshrrev_b32_e32 v18, 24, v16
	s_movk_i32 s3, 0x80
	v_cmp_ne_u32_e32 vcc, s3, v18
	v_bfrev_b32_e32 v24, 1
	s_and_saveexec_b64 s[6:7], vcc
	s_cbranch_execz .LBB448_477
; %bb.474:
	v_bfe_u32 v20, v16, 24, 7
	s_movk_i32 s3, 0x7f
	v_cmp_ne_u32_e32 vcc, s3, v20
	v_mov_b32_e32 v24, 0x7f800001
	s_and_saveexec_b64 s[8:9], vcc
	s_cbranch_execz .LBB448_476
; %bb.475:
	v_and_b32_e32 v24, 7, v18
	v_ffbh_u32_e32 v26, v24
	v_min_u32_e32 v29, 32, v26
	v_subrev_u32_e32 v26, 28, v29
	v_lshlrev_b64 v[26:27], v26, v[18:19]
	v_lshrrev_b32_e32 v28, 3, v20
	v_sub_u32_e32 v27, 29, v29
	v_and_b32_e32 v26, 7, v26
	v_cmp_gt_u32_e32 vcc, 8, v20
	v_cndmask_b32_e32 v20, v28, v27, vcc
	v_cndmask_b32_e32 v24, v24, v26, vcc
	v_lshlrev_b32_e32 v18, 24, v18
	v_bfrev_b32_e32 v26, 60
	v_lshlrev_b32_e32 v24, 20, v24
	v_and_b32_e32 v18, 0x80000000, v18
	v_lshl_add_u32 v20, v20, 23, v26
	v_or3_b32 v24, v18, v20, v24
.LBB448_476:
	s_or_b64 exec, exec, s[8:9]
.LBB448_477:
	s_or_b64 exec, exec, s[6:7]
.LBB448_478:
	s_or_b64 exec, exec, s[4:5]
	v_mov_b32_e32 v18, v17
	v_cmp_ne_u16_sdwa s[6:7], v17, v19 src0_sel:BYTE_0 src1_sel:DWORD
	s_and_saveexec_b64 s[4:5], s[6:7]
	s_cbranch_execz .LBB448_484
; %bb.479:
	s_movk_i32 s3, 0x80
	v_cmp_ne_u16_sdwa s[8:9], v17, s3 src0_sel:BYTE_0 src1_sel:DWORD
	v_bfrev_b32_e32 v20, 1
	s_and_saveexec_b64 s[6:7], s[8:9]
	s_cbranch_execz .LBB448_483
; %bb.480:
	s_movk_i32 s3, 0x7f
	v_and_b32_e32 v26, 0x7f, v17
	v_cmp_ne_u32_e32 vcc, s3, v26
	v_mov_b32_e32 v20, 0x7f800001
	s_and_saveexec_b64 s[8:9], vcc
	s_cbranch_execz .LBB448_482
; %bb.481:
	v_and_b32_e32 v20, 7, v17
	v_ffbh_u32_e32 v20, v20
	v_min_u32_e32 v20, 32, v20
	v_subrev_u32_e32 v28, 28, v20
	v_cmp_gt_u32_e32 vcc, 8, v26
	v_lshrrev_b32_e32 v27, 3, v26
	v_sub_u32_e32 v20, 29, v20
	v_cndmask_b32_e32 v26, 0, v28, vcc
	v_cndmask_b32_e32 v20, v27, v20, vcc
	v_lshlrev_b64 v[26:27], v26, v[18:19]
	v_lshlrev_b32_e32 v19, 20, v26
	v_lshlrev_b32_e32 v26, 24, v18
	v_bfrev_b32_e32 v27, 60
	v_and_b32_e32 v19, 0x700000, v19
	v_and_b32_e32 v26, 0x80000000, v26
	v_lshl_add_u32 v20, v20, 23, v27
	v_or3_b32 v20, v26, v20, v19
.LBB448_482:
	s_or_b64 exec, exec, s[8:9]
.LBB448_483:
	s_or_b64 exec, exec, s[6:7]
	v_mov_b32_e32 v19, v20
.LBB448_484:
	s_or_b64 exec, exec, s[4:5]
	v_lshrrev_b16_e32 v20, 8, v18
	v_cmp_ne_u16_e32 vcc, 0, v20
	v_mov_b32_e32 v26, 0
	v_mov_b32_e32 v27, 0
	s_and_saveexec_b64 s[4:5], vcc
	s_cbranch_execz .LBB448_490
; %bb.485:
	s_movk_i32 s3, 0x80
	v_cmp_ne_u16_e32 vcc, s3, v20
	v_bfrev_b32_e32 v27, 1
	s_and_saveexec_b64 s[6:7], vcc
	s_cbranch_execz .LBB448_489
; %bb.486:
	s_movk_i32 s3, 0x7f
	v_and_b32_e32 v28, 0x7f, v20
	v_cmp_ne_u32_e32 vcc, s3, v28
	v_mov_b32_e32 v27, 0x7f800001
	s_and_saveexec_b64 s[8:9], vcc
	s_cbranch_execz .LBB448_488
; %bb.487:
	v_and_b32_e32 v27, 7, v20
	v_ffbh_u32_e32 v30, v27
	v_min_u32_e32 v32, 32, v30
	v_subrev_u32_e32 v30, 28, v32
	v_lshlrev_b64 v[30:31], v30, v[20:21]
	v_lshrrev_b32_e32 v29, 3, v28
	v_sub_u32_e32 v20, 29, v32
	v_and_b32_e32 v30, 7, v30
	v_cmp_gt_u32_e32 vcc, 8, v28
	v_cndmask_b32_e32 v20, v29, v20, vcc
	v_cndmask_b32_e32 v27, v27, v30, vcc
	v_lshlrev_b32_e32 v18, 16, v18
	v_bfrev_b32_e32 v28, 60
	v_lshlrev_b32_e32 v27, 20, v27
	v_and_b32_e32 v18, 0x80000000, v18
	v_lshl_add_u32 v20, v20, 23, v28
	v_or3_b32 v27, v18, v20, v27
.LBB448_488:
	s_or_b64 exec, exec, s[8:9]
.LBB448_489:
	s_or_b64 exec, exec, s[6:7]
.LBB448_490:
	s_or_b64 exec, exec, s[4:5]
	s_movk_i32 s3, 0xff
	v_and_b32_sdwa v20, v17, s3 dst_sel:DWORD dst_unused:UNUSED_PAD src0_sel:WORD_1 src1_sel:DWORD
	v_lshrrev_b32_e32 v18, 16, v17
	v_cmp_ne_u16_e32 vcc, 0, v20
	s_and_saveexec_b64 s[4:5], vcc
	s_cbranch_execz .LBB448_496
; %bb.491:
	s_movk_i32 s3, 0x80
	v_cmp_ne_u16_e32 vcc, s3, v20
	v_bfrev_b32_e32 v26, 1
	s_and_saveexec_b64 s[6:7], vcc
	s_cbranch_execz .LBB448_495
; %bb.492:
	v_bfe_u32 v20, v17, 16, 7
	s_movk_i32 s3, 0x7f
	v_cmp_ne_u32_e32 vcc, s3, v20
	v_mov_b32_e32 v26, 0x7f800001
	s_and_saveexec_b64 s[8:9], vcc
	s_cbranch_execz .LBB448_494
; %bb.493:
	v_and_b32_e32 v26, 7, v18
	v_ffbh_u32_e32 v28, v26
	v_min_u32_e32 v31, 32, v28
	v_subrev_u32_e32 v28, 28, v31
	v_lshlrev_b64 v[28:29], v28, v[18:19]
	v_and_b32_e32 v28, 7, v28
	v_cmp_gt_u32_e32 vcc, 8, v20
	v_lshrrev_b32_e32 v30, 3, v20
	v_sub_u32_e32 v18, 29, v31
	v_cndmask_b32_e32 v20, v26, v28, vcc
	v_mov_b32_e32 v26, 24
	v_cndmask_b32_e32 v18, v30, v18, vcc
	v_lshlrev_b32_sdwa v26, v26, v17 dst_sel:DWORD dst_unused:UNUSED_PAD src0_sel:DWORD src1_sel:WORD_1
	v_bfrev_b32_e32 v28, 60
	v_lshlrev_b32_e32 v20, 20, v20
	v_and_b32_e32 v26, 0x80000000, v26
	v_lshl_add_u32 v18, v18, 23, v28
	v_or3_b32 v26, v26, v18, v20
.LBB448_494:
	s_or_b64 exec, exec, s[8:9]
.LBB448_495:
	s_or_b64 exec, exec, s[6:7]
.LBB448_496:
	s_or_b64 exec, exec, s[4:5]
	s_mov_b32 s4, -1
	s_mov_b32 s5, 0xffffff
	v_cmp_lt_u64_e32 vcc, s[4:5], v[16:17]
	v_mov_b32_e32 v20, 0
	v_mov_b32_e32 v18, 0
	s_and_saveexec_b64 s[4:5], vcc
	s_cbranch_execz .LBB448_502
; %bb.497:
	v_lshrrev_b32_e32 v16, 24, v17
	s_movk_i32 s3, 0x80
	v_cmp_ne_u32_e32 vcc, s3, v16
	v_bfrev_b32_e32 v18, 1
	s_and_saveexec_b64 s[6:7], vcc
	s_cbranch_execz .LBB448_501
; %bb.498:
	v_bfe_u32 v17, v17, 24, 7
	s_movk_i32 s3, 0x7f
	v_cmp_ne_u32_e32 vcc, s3, v17
	v_mov_b32_e32 v18, 0x7f800001
	s_and_saveexec_b64 s[8:9], vcc
	s_cbranch_execz .LBB448_500
; %bb.499:
	v_and_b32_e32 v18, 7, v16
	v_ffbh_u32_e32 v28, v18
	v_min_u32_e32 v31, 32, v28
	v_subrev_u32_e32 v28, 28, v31
	v_lshlrev_b64 v[28:29], v28, v[16:17]
	v_lshrrev_b32_e32 v30, 3, v17
	v_sub_u32_e32 v29, 29, v31
	v_and_b32_e32 v28, 7, v28
	v_cmp_gt_u32_e32 vcc, 8, v17
	v_cndmask_b32_e32 v17, v30, v29, vcc
	v_cndmask_b32_e32 v18, v18, v28, vcc
	v_lshlrev_b32_e32 v16, 24, v16
	v_bfrev_b32_e32 v28, 60
	v_lshlrev_b32_e32 v18, 20, v18
	v_and_b32_e32 v16, 0x80000000, v16
	v_lshl_add_u32 v17, v17, 23, v28
	v_or3_b32 v18, v16, v17, v18
.LBB448_500:
	s_or_b64 exec, exec, s[8:9]
.LBB448_501:
	s_or_b64 exec, exec, s[6:7]
.LBB448_502:
	s_or_b64 exec, exec, s[4:5]
	v_cvt_pkrtz_f16_f32 v16, v21, v23
	v_cvt_pkrtz_f16_f32 v17, v22, v24
	;; [unrolled: 1-line block ×4, first 2 shown]
	v_mfma_f32_4x4x4f16 a[0:3], v[14:15], v[16:17], a[0:3] cbsz:4 abid:2
	v_cmp_ne_u16_sdwa s[6:7], v10, v20 src0_sel:BYTE_0 src1_sel:DWORD
	v_mfma_f32_4x4x4f16 a[0:3], v[14:15], v[22:23], a[0:3] cbsz:4 abid:3
	s_and_saveexec_b64 s[4:5], s[6:7]
	s_cbranch_execz .LBB448_508
; %bb.503:
	s_movk_i32 s3, 0x80
	v_cmp_ne_u16_sdwa s[8:9], v10, s3 src0_sel:BYTE_0 src1_sel:DWORD
	v_bfrev_b32_e32 v20, 1
	s_and_saveexec_b64 s[6:7], s[8:9]
	s_cbranch_execz .LBB448_507
; %bb.504:
	s_movk_i32 s3, 0x7f
	v_and_b32_e32 v16, 0x7f, v10
	v_cmp_ne_u32_e32 vcc, s3, v16
	v_mov_b32_e32 v20, 0x7f800001
	s_and_saveexec_b64 s[8:9], vcc
	s_cbranch_execz .LBB448_506
; %bb.505:
	v_and_b32_e32 v17, 7, v10
	v_ffbh_u32_e32 v17, v17
	v_min_u32_e32 v17, 32, v17
	v_subrev_u32_e32 v19, 28, v17
	v_cmp_gt_u32_e32 vcc, 8, v16
	v_lshrrev_b32_e32 v18, 3, v16
	v_sub_u32_e32 v17, 29, v17
	v_cndmask_b32_e32 v16, 0, v19, vcc
	v_cndmask_b32_e32 v18, v18, v17, vcc
	v_lshlrev_b64 v[16:17], v16, v[10:11]
	v_lshlrev_b32_e32 v16, 20, v16
	v_lshlrev_b32_e32 v17, 24, v10
	v_bfrev_b32_e32 v19, 60
	v_and_b32_e32 v16, 0x700000, v16
	v_and_b32_e32 v17, 0x80000000, v17
	v_lshl_add_u32 v18, v18, 23, v19
	v_or3_b32 v20, v17, v18, v16
.LBB448_506:
	s_or_b64 exec, exec, s[8:9]
.LBB448_507:
	s_or_b64 exec, exec, s[6:7]
.LBB448_508:
	s_or_b64 exec, exec, s[4:5]
	v_lshrrev_b16_e32 v16, 8, v10
	v_cmp_ne_u16_e32 vcc, 0, v16
	v_mov_b32_e32 v19, 0
	v_mov_b32_e32 v21, 0
	s_and_saveexec_b64 s[4:5], vcc
	s_cbranch_execz .LBB448_514
; %bb.509:
	s_movk_i32 s3, 0x80
	v_cmp_ne_u16_e32 vcc, s3, v16
	v_bfrev_b32_e32 v21, 1
	s_and_saveexec_b64 s[6:7], vcc
	s_cbranch_execz .LBB448_513
; %bb.510:
	s_movk_i32 s3, 0x7f
	v_and_b32_e32 v17, 0x7f, v16
	v_cmp_ne_u32_e32 vcc, s3, v17
	v_mov_b32_e32 v21, 0x7f800001
	s_and_saveexec_b64 s[8:9], vcc
	s_cbranch_execz .LBB448_512
; %bb.511:
	v_and_b32_e32 v18, 7, v16
	v_ffbh_u32_e32 v22, v18
	v_min_u32_e32 v24, 32, v22
	v_subrev_u32_e32 v22, 28, v24
	v_lshlrev_b64 v[22:23], v22, v[16:17]
	v_lshrrev_b32_e32 v21, 3, v17
	v_sub_u32_e32 v16, 29, v24
	v_and_b32_e32 v22, 7, v22
	v_cmp_gt_u32_e32 vcc, 8, v17
	v_cndmask_b32_e32 v16, v21, v16, vcc
	v_cndmask_b32_e32 v17, v18, v22, vcc
	v_lshlrev_b32_e32 v18, 16, v10
	v_bfrev_b32_e32 v21, 60
	v_lshlrev_b32_e32 v17, 20, v17
	v_and_b32_e32 v18, 0x80000000, v18
	v_lshl_add_u32 v16, v16, 23, v21
	v_or3_b32 v21, v18, v16, v17
.LBB448_512:
	s_or_b64 exec, exec, s[8:9]
.LBB448_513:
	s_or_b64 exec, exec, s[6:7]
.LBB448_514:
	s_or_b64 exec, exec, s[4:5]
	s_movk_i32 s3, 0xff
	v_and_b32_sdwa v17, v10, s3 dst_sel:DWORD dst_unused:UNUSED_PAD src0_sel:WORD_1 src1_sel:DWORD
	v_lshrrev_b32_e32 v16, 16, v10
	v_cmp_ne_u16_e32 vcc, 0, v17
	s_and_saveexec_b64 s[4:5], vcc
	s_cbranch_execz .LBB448_520
; %bb.515:
	s_movk_i32 s3, 0x80
	v_cmp_ne_u16_e32 vcc, s3, v17
	v_bfrev_b32_e32 v19, 1
	s_and_saveexec_b64 s[6:7], vcc
	s_cbranch_execz .LBB448_519
; %bb.516:
	v_bfe_u32 v17, v10, 16, 7
	s_movk_i32 s3, 0x7f
	v_cmp_ne_u32_e32 vcc, s3, v17
	v_mov_b32_e32 v19, 0x7f800001
	s_and_saveexec_b64 s[8:9], vcc
	s_cbranch_execz .LBB448_518
; %bb.517:
	v_and_b32_e32 v22, 7, v16
	v_ffbh_u32_e32 v18, v22
	v_min_u32_e32 v24, 32, v18
	v_subrev_u32_e32 v18, 28, v24
	v_lshlrev_b64 v[18:19], v18, v[16:17]
	v_and_b32_e32 v18, 7, v18
	v_cmp_gt_u32_e32 vcc, 8, v17
	v_lshrrev_b32_e32 v23, 3, v17
	v_sub_u32_e32 v16, 29, v24
	v_cndmask_b32_e32 v17, v22, v18, vcc
	v_mov_b32_e32 v18, 24
	v_cndmask_b32_e32 v16, v23, v16, vcc
	v_lshlrev_b32_sdwa v18, v18, v10 dst_sel:DWORD dst_unused:UNUSED_PAD src0_sel:DWORD src1_sel:WORD_1
	v_bfrev_b32_e32 v19, 60
	v_lshlrev_b32_e32 v17, 20, v17
	v_and_b32_e32 v18, 0x80000000, v18
	v_lshl_add_u32 v16, v16, 23, v19
	v_or3_b32 v19, v18, v16, v17
.LBB448_518:
	s_or_b64 exec, exec, s[8:9]
.LBB448_519:
	s_or_b64 exec, exec, s[6:7]
.LBB448_520:
	s_or_b64 exec, exec, s[4:5]
	s_mov_b32 s3, 0xffffff
	v_cmp_lt_u32_e32 vcc, s3, v10
	v_mov_b32_e32 v17, 0
	v_mov_b32_e32 v22, 0
	s_and_saveexec_b64 s[4:5], vcc
	s_cbranch_execz .LBB448_526
; %bb.521:
	v_lshrrev_b32_e32 v16, 24, v10
	s_movk_i32 s3, 0x80
	v_cmp_ne_u32_e32 vcc, s3, v16
	v_bfrev_b32_e32 v22, 1
	s_and_saveexec_b64 s[6:7], vcc
	s_cbranch_execz .LBB448_525
; %bb.522:
	v_bfe_u32 v18, v10, 24, 7
	s_movk_i32 s3, 0x7f
	v_cmp_ne_u32_e32 vcc, s3, v18
	v_mov_b32_e32 v22, 0x7f800001
	s_and_saveexec_b64 s[8:9], vcc
	s_cbranch_execz .LBB448_524
; %bb.523:
	v_and_b32_e32 v24, 7, v16
	v_ffbh_u32_e32 v22, v24
	v_min_u32_e32 v27, 32, v22
	v_subrev_u32_e32 v22, 28, v27
	v_lshlrev_b64 v[22:23], v22, v[16:17]
	v_lshrrev_b32_e32 v26, 3, v18
	v_sub_u32_e32 v23, 29, v27
	v_and_b32_e32 v22, 7, v22
	v_cmp_gt_u32_e32 vcc, 8, v18
	v_cndmask_b32_e32 v18, v26, v23, vcc
	v_cndmask_b32_e32 v22, v24, v22, vcc
	v_lshlrev_b32_e32 v16, 24, v16
	v_bfrev_b32_e32 v23, 60
	v_lshlrev_b32_e32 v22, 20, v22
	v_and_b32_e32 v16, 0x80000000, v16
	v_lshl_add_u32 v18, v18, 23, v23
	v_or3_b32 v22, v16, v18, v22
.LBB448_524:
	s_or_b64 exec, exec, s[8:9]
.LBB448_525:
	s_or_b64 exec, exec, s[6:7]
.LBB448_526:
	s_or_b64 exec, exec, s[4:5]
	v_mov_b32_e32 v16, v11
	v_cmp_ne_u16_sdwa s[6:7], v11, v17 src0_sel:BYTE_0 src1_sel:DWORD
	s_and_saveexec_b64 s[4:5], s[6:7]
	s_cbranch_execz .LBB448_532
; %bb.527:
	s_movk_i32 s3, 0x80
	v_cmp_ne_u16_sdwa s[8:9], v11, s3 src0_sel:BYTE_0 src1_sel:DWORD
	v_bfrev_b32_e32 v18, 1
	s_and_saveexec_b64 s[6:7], s[8:9]
	s_cbranch_execz .LBB448_531
; %bb.528:
	s_movk_i32 s3, 0x7f
	v_and_b32_e32 v23, 0x7f, v11
	v_cmp_ne_u32_e32 vcc, s3, v23
	v_mov_b32_e32 v18, 0x7f800001
	s_and_saveexec_b64 s[8:9], vcc
	s_cbranch_execz .LBB448_530
; %bb.529:
	v_and_b32_e32 v18, 7, v11
	v_ffbh_u32_e32 v18, v18
	v_min_u32_e32 v18, 32, v18
	v_subrev_u32_e32 v26, 28, v18
	v_cmp_gt_u32_e32 vcc, 8, v23
	v_lshrrev_b32_e32 v24, 3, v23
	v_cndmask_b32_e32 v23, 0, v26, vcc
	v_sub_u32_e32 v18, 29, v18
	v_lshlrev_b64 v[26:27], v23, v[16:17]
	v_cndmask_b32_e32 v18, v24, v18, vcc
	v_lshlrev_b32_e32 v17, 20, v26
	v_lshlrev_b32_e32 v23, 24, v16
	v_bfrev_b32_e32 v24, 60
	v_and_b32_e32 v17, 0x700000, v17
	v_and_b32_e32 v23, 0x80000000, v23
	v_lshl_add_u32 v18, v18, 23, v24
	v_or3_b32 v18, v23, v18, v17
.LBB448_530:
	s_or_b64 exec, exec, s[8:9]
.LBB448_531:
	s_or_b64 exec, exec, s[6:7]
	v_mov_b32_e32 v17, v18
.LBB448_532:
	s_or_b64 exec, exec, s[4:5]
	v_lshrrev_b16_e32 v18, 8, v16
	v_cmp_ne_u16_e32 vcc, 0, v18
	v_mov_b32_e32 v23, 0
	v_mov_b32_e32 v24, 0
	s_and_saveexec_b64 s[4:5], vcc
	s_cbranch_execz .LBB448_538
; %bb.533:
	s_movk_i32 s3, 0x80
	v_cmp_ne_u16_e32 vcc, s3, v18
	v_bfrev_b32_e32 v24, 1
	s_and_saveexec_b64 s[6:7], vcc
	s_cbranch_execz .LBB448_537
; %bb.534:
	s_movk_i32 s3, 0x7f
	v_and_b32_e32 v26, 0x7f, v18
	v_cmp_ne_u32_e32 vcc, s3, v26
	v_mov_b32_e32 v24, 0x7f800001
	s_and_saveexec_b64 s[8:9], vcc
	s_cbranch_execz .LBB448_536
; %bb.535:
	v_and_b32_e32 v24, 7, v18
	v_ffbh_u32_e32 v28, v24
	v_min_u32_e32 v30, 32, v28
	v_subrev_u32_e32 v28, 28, v30
	v_lshlrev_b64 v[28:29], v28, v[18:19]
	v_lshrrev_b32_e32 v27, 3, v26
	v_sub_u32_e32 v18, 29, v30
	v_and_b32_e32 v28, 7, v28
	v_cmp_gt_u32_e32 vcc, 8, v26
	v_cndmask_b32_e32 v18, v27, v18, vcc
	v_cndmask_b32_e32 v24, v24, v28, vcc
	v_lshlrev_b32_e32 v16, 16, v16
	v_bfrev_b32_e32 v26, 60
	v_lshlrev_b32_e32 v24, 20, v24
	v_and_b32_e32 v16, 0x80000000, v16
	v_lshl_add_u32 v18, v18, 23, v26
	v_or3_b32 v24, v16, v18, v24
.LBB448_536:
	s_or_b64 exec, exec, s[8:9]
.LBB448_537:
	s_or_b64 exec, exec, s[6:7]
.LBB448_538:
	s_or_b64 exec, exec, s[4:5]
	s_movk_i32 s3, 0xff
	v_and_b32_sdwa v18, v11, s3 dst_sel:DWORD dst_unused:UNUSED_PAD src0_sel:WORD_1 src1_sel:DWORD
	v_lshrrev_b32_e32 v16, 16, v11
	v_cmp_ne_u16_e32 vcc, 0, v18
	s_and_saveexec_b64 s[4:5], vcc
	s_cbranch_execz .LBB448_544
; %bb.539:
	s_movk_i32 s3, 0x80
	v_cmp_ne_u16_e32 vcc, s3, v18
	v_bfrev_b32_e32 v23, 1
	s_and_saveexec_b64 s[6:7], vcc
	s_cbranch_execz .LBB448_543
; %bb.540:
	v_bfe_u32 v18, v11, 16, 7
	s_movk_i32 s3, 0x7f
	v_cmp_ne_u32_e32 vcc, s3, v18
	v_mov_b32_e32 v23, 0x7f800001
	s_and_saveexec_b64 s[8:9], vcc
	s_cbranch_execz .LBB448_542
; %bb.541:
	v_and_b32_e32 v23, 7, v16
	v_ffbh_u32_e32 v26, v23
	v_min_u32_e32 v29, 32, v26
	v_subrev_u32_e32 v26, 28, v29
	v_lshlrev_b64 v[26:27], v26, v[16:17]
	v_and_b32_e32 v26, 7, v26
	v_cmp_gt_u32_e32 vcc, 8, v18
	v_lshrrev_b32_e32 v28, 3, v18
	v_sub_u32_e32 v16, 29, v29
	v_cndmask_b32_e32 v18, v23, v26, vcc
	v_mov_b32_e32 v23, 24
	v_cndmask_b32_e32 v16, v28, v16, vcc
	v_lshlrev_b32_sdwa v23, v23, v11 dst_sel:DWORD dst_unused:UNUSED_PAD src0_sel:DWORD src1_sel:WORD_1
	v_bfrev_b32_e32 v26, 60
	v_lshlrev_b32_e32 v18, 20, v18
	v_and_b32_e32 v23, 0x80000000, v23
	v_lshl_add_u32 v16, v16, 23, v26
	v_or3_b32 v23, v23, v16, v18
.LBB448_542:
	s_or_b64 exec, exec, s[8:9]
.LBB448_543:
	s_or_b64 exec, exec, s[6:7]
.LBB448_544:
	s_or_b64 exec, exec, s[4:5]
	s_mov_b32 s4, -1
	s_mov_b32 s5, 0xffffff
	v_cmp_lt_u64_e32 vcc, s[4:5], v[10:11]
	v_mov_b32_e32 v18, 0
	v_mov_b32_e32 v16, 0
	s_and_saveexec_b64 s[4:5], vcc
	s_cbranch_execz .LBB448_550
; %bb.545:
	v_lshrrev_b32_e32 v10, 24, v11
	s_movk_i32 s3, 0x80
	v_cmp_ne_u32_e32 vcc, s3, v10
	v_bfrev_b32_e32 v16, 1
	s_and_saveexec_b64 s[6:7], vcc
	s_cbranch_execz .LBB448_549
; %bb.546:
	v_bfe_u32 v11, v11, 24, 7
	s_movk_i32 s3, 0x7f
	v_cmp_ne_u32_e32 vcc, s3, v11
	v_mov_b32_e32 v16, 0x7f800001
	s_and_saveexec_b64 s[8:9], vcc
	s_cbranch_execz .LBB448_548
; %bb.547:
	v_and_b32_e32 v16, 7, v10
	v_ffbh_u32_e32 v26, v16
	v_min_u32_e32 v29, 32, v26
	v_subrev_u32_e32 v26, 28, v29
	v_lshlrev_b64 v[26:27], v26, v[10:11]
	v_lshrrev_b32_e32 v28, 3, v11
	v_sub_u32_e32 v27, 29, v29
	v_and_b32_e32 v26, 7, v26
	v_cmp_gt_u32_e32 vcc, 8, v11
	v_cndmask_b32_e32 v11, v28, v27, vcc
	v_cndmask_b32_e32 v16, v16, v26, vcc
	v_lshlrev_b32_e32 v10, 24, v10
	v_bfrev_b32_e32 v26, 60
	v_lshlrev_b32_e32 v16, 20, v16
	v_and_b32_e32 v10, 0x80000000, v10
	v_lshl_add_u32 v11, v11, 23, v26
	v_or3_b32 v16, v10, v11, v16
.LBB448_548:
	s_or_b64 exec, exec, s[8:9]
.LBB448_549:
	s_or_b64 exec, exec, s[6:7]
.LBB448_550:
	s_or_b64 exec, exec, s[4:5]
	v_cvt_pkrtz_f16_f32 v10, v20, v21
	v_cvt_pkrtz_f16_f32 v11, v19, v22
	;; [unrolled: 1-line block ×4, first 2 shown]
	v_mfma_f32_4x4x4f16 a[0:3], v[14:15], v[10:11], a[0:3] cbsz:4 abid:4
	v_cmp_ne_u16_sdwa s[6:7], v12, v18 src0_sel:BYTE_0 src1_sel:DWORD
	v_mfma_f32_4x4x4f16 a[0:3], v[14:15], v[20:21], a[0:3] cbsz:4 abid:5
	s_and_saveexec_b64 s[4:5], s[6:7]
	s_cbranch_execz .LBB448_556
; %bb.551:
	s_movk_i32 s3, 0x80
	v_cmp_ne_u16_sdwa s[8:9], v12, s3 src0_sel:BYTE_0 src1_sel:DWORD
	v_bfrev_b32_e32 v18, 1
	s_and_saveexec_b64 s[6:7], s[8:9]
	s_cbranch_execz .LBB448_555
; %bb.552:
	s_movk_i32 s3, 0x7f
	v_and_b32_e32 v10, 0x7f, v12
	v_cmp_ne_u32_e32 vcc, s3, v10
	v_mov_b32_e32 v18, 0x7f800001
	s_and_saveexec_b64 s[8:9], vcc
	s_cbranch_execz .LBB448_554
; %bb.553:
	v_and_b32_e32 v11, 7, v12
	v_ffbh_u32_e32 v11, v11
	v_min_u32_e32 v11, 32, v11
	v_subrev_u32_e32 v17, 28, v11
	v_cmp_gt_u32_e32 vcc, 8, v10
	v_lshrrev_b32_e32 v16, 3, v10
	v_sub_u32_e32 v11, 29, v11
	v_cndmask_b32_e32 v10, 0, v17, vcc
	v_cndmask_b32_e32 v16, v16, v11, vcc
	v_lshlrev_b64 v[10:11], v10, v[12:13]
	v_lshlrev_b32_e32 v10, 20, v10
	v_lshlrev_b32_e32 v11, 24, v12
	v_bfrev_b32_e32 v17, 60
	v_and_b32_e32 v10, 0x700000, v10
	v_and_b32_e32 v11, 0x80000000, v11
	v_lshl_add_u32 v16, v16, 23, v17
	v_or3_b32 v18, v11, v16, v10
.LBB448_554:
	s_or_b64 exec, exec, s[8:9]
.LBB448_555:
	s_or_b64 exec, exec, s[6:7]
.LBB448_556:
	s_or_b64 exec, exec, s[4:5]
	v_lshrrev_b16_e32 v10, 8, v12
	v_cmp_ne_u16_e32 vcc, 0, v10
	v_mov_b32_e32 v17, 0
	v_mov_b32_e32 v19, 0
	s_and_saveexec_b64 s[4:5], vcc
	s_cbranch_execz .LBB448_562
; %bb.557:
	s_movk_i32 s3, 0x80
	v_cmp_ne_u16_e32 vcc, s3, v10
	v_bfrev_b32_e32 v19, 1
	s_and_saveexec_b64 s[6:7], vcc
	s_cbranch_execz .LBB448_561
; %bb.558:
	s_movk_i32 s3, 0x7f
	v_and_b32_e32 v11, 0x7f, v10
	v_cmp_ne_u32_e32 vcc, s3, v11
	v_mov_b32_e32 v19, 0x7f800001
	s_and_saveexec_b64 s[8:9], vcc
	s_cbranch_execz .LBB448_560
; %bb.559:
	v_and_b32_e32 v16, 7, v10
	v_ffbh_u32_e32 v20, v16
	v_min_u32_e32 v22, 32, v20
	v_subrev_u32_e32 v20, 28, v22
	v_lshlrev_b64 v[20:21], v20, v[10:11]
	v_lshrrev_b32_e32 v19, 3, v11
	v_sub_u32_e32 v10, 29, v22
	v_and_b32_e32 v20, 7, v20
	v_cmp_gt_u32_e32 vcc, 8, v11
	v_cndmask_b32_e32 v10, v19, v10, vcc
	v_cndmask_b32_e32 v11, v16, v20, vcc
	v_lshlrev_b32_e32 v16, 16, v12
	v_bfrev_b32_e32 v19, 60
	v_lshlrev_b32_e32 v11, 20, v11
	v_and_b32_e32 v16, 0x80000000, v16
	v_lshl_add_u32 v10, v10, 23, v19
	v_or3_b32 v19, v16, v10, v11
.LBB448_560:
	s_or_b64 exec, exec, s[8:9]
.LBB448_561:
	s_or_b64 exec, exec, s[6:7]
.LBB448_562:
	s_or_b64 exec, exec, s[4:5]
	s_movk_i32 s3, 0xff
	v_and_b32_sdwa v11, v12, s3 dst_sel:DWORD dst_unused:UNUSED_PAD src0_sel:WORD_1 src1_sel:DWORD
	v_lshrrev_b32_e32 v10, 16, v12
	v_cmp_ne_u16_e32 vcc, 0, v11
	s_and_saveexec_b64 s[4:5], vcc
	s_cbranch_execz .LBB448_568
; %bb.563:
	s_movk_i32 s3, 0x80
	v_cmp_ne_u16_e32 vcc, s3, v11
	v_bfrev_b32_e32 v17, 1
	s_and_saveexec_b64 s[6:7], vcc
	s_cbranch_execz .LBB448_567
; %bb.564:
	v_bfe_u32 v11, v12, 16, 7
	s_movk_i32 s3, 0x7f
	v_cmp_ne_u32_e32 vcc, s3, v11
	v_mov_b32_e32 v17, 0x7f800001
	s_and_saveexec_b64 s[8:9], vcc
	s_cbranch_execz .LBB448_566
; %bb.565:
	v_and_b32_e32 v20, 7, v10
	v_ffbh_u32_e32 v16, v20
	v_min_u32_e32 v22, 32, v16
	v_subrev_u32_e32 v16, 28, v22
	v_lshlrev_b64 v[16:17], v16, v[10:11]
	v_and_b32_e32 v16, 7, v16
	v_cmp_gt_u32_e32 vcc, 8, v11
	v_lshrrev_b32_e32 v21, 3, v11
	v_sub_u32_e32 v10, 29, v22
	v_cndmask_b32_e32 v11, v20, v16, vcc
	v_mov_b32_e32 v16, 24
	v_cndmask_b32_e32 v10, v21, v10, vcc
	v_lshlrev_b32_sdwa v16, v16, v12 dst_sel:DWORD dst_unused:UNUSED_PAD src0_sel:DWORD src1_sel:WORD_1
	v_bfrev_b32_e32 v17, 60
	v_lshlrev_b32_e32 v11, 20, v11
	v_and_b32_e32 v16, 0x80000000, v16
	v_lshl_add_u32 v10, v10, 23, v17
	v_or3_b32 v17, v16, v10, v11
.LBB448_566:
	s_or_b64 exec, exec, s[8:9]
.LBB448_567:
	s_or_b64 exec, exec, s[6:7]
.LBB448_568:
	s_or_b64 exec, exec, s[4:5]
	s_mov_b32 s3, 0xffffff
	v_cmp_lt_u32_e32 vcc, s3, v12
	v_mov_b32_e32 v11, 0
	v_mov_b32_e32 v20, 0
	s_and_saveexec_b64 s[4:5], vcc
	s_cbranch_execz .LBB448_574
; %bb.569:
	v_lshrrev_b32_e32 v10, 24, v12
	s_movk_i32 s3, 0x80
	v_cmp_ne_u32_e32 vcc, s3, v10
	v_bfrev_b32_e32 v20, 1
	s_and_saveexec_b64 s[6:7], vcc
	s_cbranch_execz .LBB448_573
; %bb.570:
	v_bfe_u32 v16, v12, 24, 7
	s_movk_i32 s3, 0x7f
	v_cmp_ne_u32_e32 vcc, s3, v16
	v_mov_b32_e32 v20, 0x7f800001
	s_and_saveexec_b64 s[8:9], vcc
	s_cbranch_execz .LBB448_572
; %bb.571:
	v_and_b32_e32 v22, 7, v10
	v_ffbh_u32_e32 v20, v22
	v_min_u32_e32 v24, 32, v20
	v_subrev_u32_e32 v20, 28, v24
	v_lshlrev_b64 v[20:21], v20, v[10:11]
	v_lshrrev_b32_e32 v23, 3, v16
	v_sub_u32_e32 v21, 29, v24
	v_and_b32_e32 v20, 7, v20
	v_cmp_gt_u32_e32 vcc, 8, v16
	v_cndmask_b32_e32 v16, v23, v21, vcc
	v_cndmask_b32_e32 v20, v22, v20, vcc
	v_lshlrev_b32_e32 v10, 24, v10
	v_bfrev_b32_e32 v21, 60
	v_lshlrev_b32_e32 v20, 20, v20
	v_and_b32_e32 v10, 0x80000000, v10
	v_lshl_add_u32 v16, v16, 23, v21
	v_or3_b32 v20, v10, v16, v20
.LBB448_572:
	s_or_b64 exec, exec, s[8:9]
.LBB448_573:
	s_or_b64 exec, exec, s[6:7]
.LBB448_574:
	s_or_b64 exec, exec, s[4:5]
	v_mov_b32_e32 v10, v13
	v_cmp_ne_u16_sdwa s[6:7], v13, v11 src0_sel:BYTE_0 src1_sel:DWORD
	s_and_saveexec_b64 s[4:5], s[6:7]
	s_cbranch_execz .LBB448_580
; %bb.575:
	s_movk_i32 s3, 0x80
	v_cmp_ne_u16_sdwa s[8:9], v13, s3 src0_sel:BYTE_0 src1_sel:DWORD
	v_bfrev_b32_e32 v16, 1
	s_and_saveexec_b64 s[6:7], s[8:9]
	s_cbranch_execz .LBB448_579
; %bb.576:
	s_movk_i32 s3, 0x7f
	v_and_b32_e32 v21, 0x7f, v13
	v_cmp_ne_u32_e32 vcc, s3, v21
	v_mov_b32_e32 v16, 0x7f800001
	s_and_saveexec_b64 s[8:9], vcc
	s_cbranch_execz .LBB448_578
; %bb.577:
	v_and_b32_e32 v16, 7, v13
	v_ffbh_u32_e32 v16, v16
	v_min_u32_e32 v16, 32, v16
	v_subrev_u32_e32 v23, 28, v16
	v_cmp_gt_u32_e32 vcc, 8, v21
	v_lshrrev_b32_e32 v22, 3, v21
	v_sub_u32_e32 v16, 29, v16
	v_cndmask_b32_e32 v21, 0, v23, vcc
	v_cndmask_b32_e32 v16, v22, v16, vcc
	v_lshlrev_b64 v[22:23], v21, v[10:11]
	v_lshlrev_b32_e32 v11, 20, v22
	v_lshlrev_b32_e32 v21, 24, v10
	v_bfrev_b32_e32 v22, 60
	v_and_b32_e32 v11, 0x700000, v11
	v_and_b32_e32 v21, 0x80000000, v21
	v_lshl_add_u32 v16, v16, 23, v22
	v_or3_b32 v16, v21, v16, v11
.LBB448_578:
	s_or_b64 exec, exec, s[8:9]
.LBB448_579:
	s_or_b64 exec, exec, s[6:7]
	v_mov_b32_e32 v11, v16
.LBB448_580:
	s_or_b64 exec, exec, s[4:5]
	v_lshrrev_b16_e32 v16, 8, v10
	v_cmp_ne_u16_e32 vcc, 0, v16
	v_mov_b32_e32 v21, 0
	v_mov_b32_e32 v22, 0
	s_and_saveexec_b64 s[4:5], vcc
	s_cbranch_execz .LBB448_586
; %bb.581:
	s_movk_i32 s3, 0x80
	v_cmp_ne_u16_e32 vcc, s3, v16
	v_bfrev_b32_e32 v22, 1
	s_and_saveexec_b64 s[6:7], vcc
	s_cbranch_execz .LBB448_585
; %bb.582:
	s_movk_i32 s3, 0x7f
	v_and_b32_e32 v23, 0x7f, v16
	v_cmp_ne_u32_e32 vcc, s3, v23
	v_mov_b32_e32 v22, 0x7f800001
	s_and_saveexec_b64 s[8:9], vcc
	s_cbranch_execz .LBB448_584
; %bb.583:
	v_and_b32_e32 v22, 7, v16
	v_ffbh_u32_e32 v26, v22
	v_min_u32_e32 v28, 32, v26
	v_subrev_u32_e32 v26, 28, v28
	v_lshlrev_b64 v[26:27], v26, v[16:17]
	v_lshrrev_b32_e32 v24, 3, v23
	v_sub_u32_e32 v16, 29, v28
	v_and_b32_e32 v26, 7, v26
	v_cmp_gt_u32_e32 vcc, 8, v23
	v_cndmask_b32_e32 v16, v24, v16, vcc
	v_cndmask_b32_e32 v22, v22, v26, vcc
	v_lshlrev_b32_e32 v10, 16, v10
	v_bfrev_b32_e32 v23, 60
	v_lshlrev_b32_e32 v22, 20, v22
	v_and_b32_e32 v10, 0x80000000, v10
	v_lshl_add_u32 v16, v16, 23, v23
	v_or3_b32 v22, v10, v16, v22
.LBB448_584:
	s_or_b64 exec, exec, s[8:9]
.LBB448_585:
	s_or_b64 exec, exec, s[6:7]
.LBB448_586:
	s_or_b64 exec, exec, s[4:5]
	s_movk_i32 s3, 0xff
	v_and_b32_sdwa v16, v13, s3 dst_sel:DWORD dst_unused:UNUSED_PAD src0_sel:WORD_1 src1_sel:DWORD
	v_lshrrev_b32_e32 v10, 16, v13
	v_cmp_ne_u16_e32 vcc, 0, v16
	s_and_saveexec_b64 s[4:5], vcc
	s_cbranch_execz .LBB448_592
; %bb.587:
	s_movk_i32 s3, 0x80
	v_cmp_ne_u16_e32 vcc, s3, v16
	v_bfrev_b32_e32 v21, 1
	s_and_saveexec_b64 s[6:7], vcc
	s_cbranch_execz .LBB448_591
; %bb.588:
	v_bfe_u32 v16, v13, 16, 7
	s_movk_i32 s3, 0x7f
	v_cmp_ne_u32_e32 vcc, s3, v16
	v_mov_b32_e32 v21, 0x7f800001
	s_and_saveexec_b64 s[8:9], vcc
	s_cbranch_execz .LBB448_590
; %bb.589:
	v_and_b32_e32 v21, 7, v10
	v_ffbh_u32_e32 v24, v21
	v_min_u32_e32 v24, 32, v24
	v_subrev_u32_e32 v26, 28, v24
	v_lshlrev_b64 v[26:27], v26, v[10:11]
	v_sub_u32_e32 v10, 29, v24
	v_and_b32_e32 v24, 7, v26
	v_cmp_gt_u32_e32 vcc, 8, v16
	v_lshrrev_b32_e32 v23, 3, v16
	v_cndmask_b32_e32 v16, v21, v24, vcc
	v_mov_b32_e32 v21, 24
	v_cndmask_b32_e32 v10, v23, v10, vcc
	v_lshlrev_b32_sdwa v21, v21, v13 dst_sel:DWORD dst_unused:UNUSED_PAD src0_sel:DWORD src1_sel:WORD_1
	v_bfrev_b32_e32 v23, 60
	v_lshlrev_b32_e32 v16, 20, v16
	v_and_b32_e32 v21, 0x80000000, v21
	v_lshl_add_u32 v10, v10, 23, v23
	v_or3_b32 v21, v21, v10, v16
.LBB448_590:
	s_or_b64 exec, exec, s[8:9]
.LBB448_591:
	s_or_b64 exec, exec, s[6:7]
.LBB448_592:
	s_or_b64 exec, exec, s[4:5]
	s_mov_b32 s4, -1
	s_mov_b32 s5, 0xffffff
	v_cmp_lt_u64_e32 vcc, s[4:5], v[12:13]
	v_mov_b32_e32 v16, 0
	v_mov_b32_e32 v12, 0
	s_and_saveexec_b64 s[4:5], vcc
	s_cbranch_execz .LBB448_598
; %bb.593:
	v_lshrrev_b32_e32 v10, 24, v13
	s_movk_i32 s3, 0x80
	v_cmp_ne_u32_e32 vcc, s3, v10
	v_bfrev_b32_e32 v12, 1
	s_and_saveexec_b64 s[6:7], vcc
	s_cbranch_execz .LBB448_597
; %bb.594:
	v_bfe_u32 v13, v13, 24, 7
	s_movk_i32 s3, 0x7f
	v_cmp_ne_u32_e32 vcc, s3, v13
	v_mov_b32_e32 v12, 0x7f800001
	s_and_saveexec_b64 s[8:9], vcc
	s_cbranch_execz .LBB448_596
; %bb.595:
	v_and_b32_e32 v12, 7, v10
	v_ffbh_u32_e32 v24, v12
	v_min_u32_e32 v24, 32, v24
	v_subrev_u32_e32 v26, 28, v24
	v_lshlrev_b64 v[26:27], v26, v[10:11]
	v_lshrrev_b32_e32 v23, 3, v13
	v_sub_u32_e32 v24, 29, v24
	v_and_b32_e32 v26, 7, v26
	v_cmp_gt_u32_e32 vcc, 8, v13
	v_cndmask_b32_e32 v13, v23, v24, vcc
	v_cndmask_b32_e32 v12, v12, v26, vcc
	v_lshlrev_b32_e32 v10, 24, v10
	v_bfrev_b32_e32 v23, 60
	v_lshlrev_b32_e32 v12, 20, v12
	v_and_b32_e32 v10, 0x80000000, v10
	v_lshl_add_u32 v13, v13, 23, v23
	v_or3_b32 v12, v10, v13, v12
.LBB448_596:
	s_or_b64 exec, exec, s[8:9]
.LBB448_597:
	s_or_b64 exec, exec, s[6:7]
.LBB448_598:
	s_or_b64 exec, exec, s[4:5]
	v_cvt_pkrtz_f16_f32 v18, v18, v19
	v_cvt_pkrtz_f16_f32 v19, v17, v20
	;; [unrolled: 1-line block ×4, first 2 shown]
	v_mfma_f32_4x4x4f16 a[0:3], v[14:15], v[18:19], a[0:3] cbsz:4 abid:6
	s_waitcnt vmcnt(0)
	v_cmp_ne_u16_sdwa s[6:7], v6, v16 src0_sel:BYTE_0 src1_sel:DWORD
	v_mfma_f32_4x4x4f16 a[0:3], v[14:15], v[10:11], a[0:3] cbsz:4 abid:7
	s_and_saveexec_b64 s[4:5], s[6:7]
	s_cbranch_execz .LBB448_604
; %bb.599:
	s_movk_i32 s3, 0x80
	v_cmp_ne_u16_sdwa s[8:9], v6, s3 src0_sel:BYTE_0 src1_sel:DWORD
	v_bfrev_b32_e32 v16, 1
	s_and_saveexec_b64 s[6:7], s[8:9]
	s_cbranch_execz .LBB448_603
; %bb.600:
	s_movk_i32 s3, 0x7f
	v_and_b32_e32 v10, 0x7f, v6
	v_cmp_ne_u32_e32 vcc, s3, v10
	v_mov_b32_e32 v16, 0x7f800001
	s_and_saveexec_b64 s[8:9], vcc
	s_cbranch_execz .LBB448_602
; %bb.601:
	v_and_b32_e32 v11, 7, v6
	v_ffbh_u32_e32 v11, v11
	v_min_u32_e32 v11, 32, v11
	v_subrev_u32_e32 v13, 28, v11
	v_cmp_gt_u32_e32 vcc, 8, v10
	v_lshrrev_b32_e32 v12, 3, v10
	v_sub_u32_e32 v11, 29, v11
	v_cndmask_b32_e32 v10, 0, v13, vcc
	v_cndmask_b32_e32 v12, v12, v11, vcc
	v_lshlrev_b64 v[10:11], v10, v[6:7]
	v_lshlrev_b32_e32 v10, 20, v10
	v_lshlrev_b32_e32 v11, 24, v6
	v_bfrev_b32_e32 v13, 60
	v_and_b32_e32 v10, 0x700000, v10
	v_and_b32_e32 v11, 0x80000000, v11
	v_lshl_add_u32 v12, v12, 23, v13
	v_or3_b32 v16, v11, v12, v10
.LBB448_602:
	s_or_b64 exec, exec, s[8:9]
.LBB448_603:
	s_or_b64 exec, exec, s[6:7]
.LBB448_604:
	s_or_b64 exec, exec, s[4:5]
	v_lshrrev_b16_e32 v10, 8, v6
	v_cmp_ne_u16_e32 vcc, 0, v10
	v_mov_b32_e32 v13, 0
	v_mov_b32_e32 v17, 0
	s_and_saveexec_b64 s[4:5], vcc
	s_cbranch_execz .LBB448_610
; %bb.605:
	s_movk_i32 s3, 0x80
	v_cmp_ne_u16_e32 vcc, s3, v10
	v_bfrev_b32_e32 v17, 1
	s_and_saveexec_b64 s[6:7], vcc
	s_cbranch_execz .LBB448_609
; %bb.606:
	s_movk_i32 s3, 0x7f
	v_and_b32_e32 v11, 0x7f, v10
	v_cmp_ne_u32_e32 vcc, s3, v11
	v_mov_b32_e32 v17, 0x7f800001
	s_and_saveexec_b64 s[8:9], vcc
	s_cbranch_execz .LBB448_608
; %bb.607:
	v_and_b32_e32 v12, 7, v10
	v_ffbh_u32_e32 v18, v12
	v_min_u32_e32 v20, 32, v18
	v_subrev_u32_e32 v18, 28, v20
	v_lshlrev_b64 v[18:19], v18, v[10:11]
	v_lshrrev_b32_e32 v17, 3, v11
	v_sub_u32_e32 v10, 29, v20
	v_and_b32_e32 v18, 7, v18
	v_cmp_gt_u32_e32 vcc, 8, v11
	v_cndmask_b32_e32 v10, v17, v10, vcc
	v_cndmask_b32_e32 v11, v12, v18, vcc
	v_lshlrev_b32_e32 v12, 16, v6
	v_bfrev_b32_e32 v17, 60
	v_lshlrev_b32_e32 v11, 20, v11
	v_and_b32_e32 v12, 0x80000000, v12
	v_lshl_add_u32 v10, v10, 23, v17
	v_or3_b32 v17, v12, v10, v11
.LBB448_608:
	s_or_b64 exec, exec, s[8:9]
.LBB448_609:
	s_or_b64 exec, exec, s[6:7]
.LBB448_610:
	s_or_b64 exec, exec, s[4:5]
	s_movk_i32 s3, 0xff
	v_and_b32_sdwa v11, v6, s3 dst_sel:DWORD dst_unused:UNUSED_PAD src0_sel:WORD_1 src1_sel:DWORD
	v_lshrrev_b32_e32 v10, 16, v6
	v_cmp_ne_u16_e32 vcc, 0, v11
	s_and_saveexec_b64 s[4:5], vcc
	s_cbranch_execz .LBB448_616
; %bb.611:
	s_movk_i32 s3, 0x80
	v_cmp_ne_u16_e32 vcc, s3, v11
	v_bfrev_b32_e32 v13, 1
	s_and_saveexec_b64 s[6:7], vcc
	s_cbranch_execz .LBB448_615
; %bb.612:
	v_bfe_u32 v11, v6, 16, 7
	s_movk_i32 s3, 0x7f
	v_cmp_ne_u32_e32 vcc, s3, v11
	v_mov_b32_e32 v13, 0x7f800001
	s_and_saveexec_b64 s[8:9], vcc
	s_cbranch_execz .LBB448_614
; %bb.613:
	v_and_b32_e32 v18, 7, v10
	v_ffbh_u32_e32 v12, v18
	v_min_u32_e32 v20, 32, v12
	v_subrev_u32_e32 v12, 28, v20
	v_lshlrev_b64 v[12:13], v12, v[10:11]
	v_and_b32_e32 v12, 7, v12
	v_cmp_gt_u32_e32 vcc, 8, v11
	v_lshrrev_b32_e32 v19, 3, v11
	v_sub_u32_e32 v10, 29, v20
	v_cndmask_b32_e32 v11, v18, v12, vcc
	v_mov_b32_e32 v12, 24
	v_cndmask_b32_e32 v10, v19, v10, vcc
	v_lshlrev_b32_sdwa v12, v12, v6 dst_sel:DWORD dst_unused:UNUSED_PAD src0_sel:DWORD src1_sel:WORD_1
	v_bfrev_b32_e32 v13, 60
	v_lshlrev_b32_e32 v11, 20, v11
	v_and_b32_e32 v12, 0x80000000, v12
	v_lshl_add_u32 v10, v10, 23, v13
	v_or3_b32 v13, v12, v10, v11
.LBB448_614:
	s_or_b64 exec, exec, s[8:9]
.LBB448_615:
	s_or_b64 exec, exec, s[6:7]
.LBB448_616:
	s_or_b64 exec, exec, s[4:5]
	s_mov_b32 s3, 0xffffff
	v_cmp_lt_u32_e32 vcc, s3, v6
	v_mov_b32_e32 v11, 0
	v_mov_b32_e32 v18, 0
	s_and_saveexec_b64 s[4:5], vcc
	s_cbranch_execz .LBB448_622
; %bb.617:
	v_lshrrev_b32_e32 v10, 24, v6
	s_movk_i32 s3, 0x80
	v_cmp_ne_u32_e32 vcc, s3, v10
	v_bfrev_b32_e32 v18, 1
	s_and_saveexec_b64 s[6:7], vcc
	s_cbranch_execz .LBB448_621
; %bb.618:
	v_bfe_u32 v12, v6, 24, 7
	s_movk_i32 s3, 0x7f
	v_cmp_ne_u32_e32 vcc, s3, v12
	v_mov_b32_e32 v18, 0x7f800001
	s_and_saveexec_b64 s[8:9], vcc
	s_cbranch_execz .LBB448_620
; %bb.619:
	v_and_b32_e32 v20, 7, v10
	v_ffbh_u32_e32 v18, v20
	v_min_u32_e32 v22, 32, v18
	v_subrev_u32_e32 v18, 28, v22
	v_lshlrev_b64 v[18:19], v18, v[10:11]
	v_lshrrev_b32_e32 v21, 3, v12
	v_sub_u32_e32 v19, 29, v22
	v_and_b32_e32 v18, 7, v18
	v_cmp_gt_u32_e32 vcc, 8, v12
	v_cndmask_b32_e32 v12, v21, v19, vcc
	v_cndmask_b32_e32 v18, v20, v18, vcc
	v_lshlrev_b32_e32 v10, 24, v10
	v_bfrev_b32_e32 v19, 60
	v_lshlrev_b32_e32 v18, 20, v18
	v_and_b32_e32 v10, 0x80000000, v10
	v_lshl_add_u32 v12, v12, 23, v19
	v_or3_b32 v18, v10, v12, v18
.LBB448_620:
	s_or_b64 exec, exec, s[8:9]
.LBB448_621:
	s_or_b64 exec, exec, s[6:7]
.LBB448_622:
	s_or_b64 exec, exec, s[4:5]
	v_mov_b32_e32 v10, v7
	v_cmp_ne_u16_sdwa s[6:7], v7, v11 src0_sel:BYTE_0 src1_sel:DWORD
	s_and_saveexec_b64 s[4:5], s[6:7]
	s_cbranch_execz .LBB448_628
; %bb.623:
	s_movk_i32 s3, 0x80
	v_cmp_ne_u16_sdwa s[8:9], v7, s3 src0_sel:BYTE_0 src1_sel:DWORD
	v_bfrev_b32_e32 v12, 1
	s_and_saveexec_b64 s[6:7], s[8:9]
	s_cbranch_execz .LBB448_627
; %bb.624:
	s_movk_i32 s3, 0x7f
	v_and_b32_e32 v19, 0x7f, v7
	v_cmp_ne_u32_e32 vcc, s3, v19
	v_mov_b32_e32 v12, 0x7f800001
	s_and_saveexec_b64 s[8:9], vcc
	s_cbranch_execz .LBB448_626
; %bb.625:
	v_and_b32_e32 v12, 7, v7
	v_ffbh_u32_e32 v12, v12
	v_min_u32_e32 v12, 32, v12
	v_subrev_u32_e32 v21, 28, v12
	v_cmp_gt_u32_e32 vcc, 8, v19
	v_lshrrev_b32_e32 v20, 3, v19
	v_sub_u32_e32 v12, 29, v12
	v_cndmask_b32_e32 v19, 0, v21, vcc
	v_cndmask_b32_e32 v12, v20, v12, vcc
	v_lshlrev_b64 v[20:21], v19, v[10:11]
	v_lshlrev_b32_e32 v11, 20, v20
	v_lshlrev_b32_e32 v19, 24, v10
	v_bfrev_b32_e32 v20, 60
	v_and_b32_e32 v11, 0x700000, v11
	v_and_b32_e32 v19, 0x80000000, v19
	v_lshl_add_u32 v12, v12, 23, v20
	v_or3_b32 v12, v19, v12, v11
.LBB448_626:
	s_or_b64 exec, exec, s[8:9]
.LBB448_627:
	s_or_b64 exec, exec, s[6:7]
	v_mov_b32_e32 v11, v12
.LBB448_628:
	s_or_b64 exec, exec, s[4:5]
	v_lshrrev_b16_e32 v12, 8, v10
	v_cmp_ne_u16_e32 vcc, 0, v12
	v_mov_b32_e32 v19, 0
	v_mov_b32_e32 v20, 0
	s_and_saveexec_b64 s[4:5], vcc
	s_cbranch_execz .LBB448_634
; %bb.629:
	s_movk_i32 s3, 0x80
	v_cmp_ne_u16_e32 vcc, s3, v12
	v_bfrev_b32_e32 v20, 1
	s_and_saveexec_b64 s[6:7], vcc
	s_cbranch_execz .LBB448_633
; %bb.630:
	s_movk_i32 s3, 0x7f
	v_and_b32_e32 v21, 0x7f, v12
	v_cmp_ne_u32_e32 vcc, s3, v21
	v_mov_b32_e32 v20, 0x7f800001
	s_and_saveexec_b64 s[8:9], vcc
	s_cbranch_execz .LBB448_632
; %bb.631:
	v_and_b32_e32 v20, 7, v12
	v_ffbh_u32_e32 v22, v20
	v_min_u32_e32 v26, 32, v22
	v_subrev_u32_e32 v22, 28, v26
	v_lshlrev_b64 v[22:23], v22, v[12:13]
	v_lshrrev_b32_e32 v24, 3, v21
	v_sub_u32_e32 v12, 29, v26
	v_and_b32_e32 v22, 7, v22
	v_cmp_gt_u32_e32 vcc, 8, v21
	v_cndmask_b32_e32 v12, v24, v12, vcc
	v_cndmask_b32_e32 v20, v20, v22, vcc
	v_lshlrev_b32_e32 v10, 16, v10
	v_bfrev_b32_e32 v21, 60
	v_lshlrev_b32_e32 v20, 20, v20
	v_and_b32_e32 v10, 0x80000000, v10
	v_lshl_add_u32 v12, v12, 23, v21
	v_or3_b32 v20, v10, v12, v20
.LBB448_632:
	s_or_b64 exec, exec, s[8:9]
.LBB448_633:
	s_or_b64 exec, exec, s[6:7]
.LBB448_634:
	s_or_b64 exec, exec, s[4:5]
	s_movk_i32 s3, 0xff
	v_and_b32_sdwa v12, v7, s3 dst_sel:DWORD dst_unused:UNUSED_PAD src0_sel:WORD_1 src1_sel:DWORD
	v_lshrrev_b32_e32 v10, 16, v7
	v_cmp_ne_u16_e32 vcc, 0, v12
	s_and_saveexec_b64 s[4:5], vcc
	s_cbranch_execz .LBB448_640
; %bb.635:
	s_movk_i32 s3, 0x80
	v_cmp_ne_u16_e32 vcc, s3, v12
	v_bfrev_b32_e32 v19, 1
	s_and_saveexec_b64 s[6:7], vcc
	s_cbranch_execz .LBB448_639
; %bb.636:
	v_bfe_u32 v12, v7, 16, 7
	s_movk_i32 s3, 0x7f
	v_cmp_ne_u32_e32 vcc, s3, v12
	v_mov_b32_e32 v19, 0x7f800001
	s_and_saveexec_b64 s[8:9], vcc
	s_cbranch_execz .LBB448_638
; %bb.637:
	v_and_b32_e32 v19, 7, v10
	v_ffbh_u32_e32 v22, v19
	v_min_u32_e32 v24, 32, v22
	v_subrev_u32_e32 v22, 28, v24
	v_lshlrev_b64 v[22:23], v22, v[10:11]
	v_and_b32_e32 v22, 7, v22
	v_cmp_gt_u32_e32 vcc, 8, v12
	v_lshrrev_b32_e32 v21, 3, v12
	v_sub_u32_e32 v10, 29, v24
	v_cndmask_b32_e32 v12, v19, v22, vcc
	v_mov_b32_e32 v19, 24
	v_cndmask_b32_e32 v10, v21, v10, vcc
	v_lshlrev_b32_sdwa v19, v19, v7 dst_sel:DWORD dst_unused:UNUSED_PAD src0_sel:DWORD src1_sel:WORD_1
	v_bfrev_b32_e32 v21, 60
	v_lshlrev_b32_e32 v12, 20, v12
	v_and_b32_e32 v19, 0x80000000, v19
	v_lshl_add_u32 v10, v10, 23, v21
	v_or3_b32 v19, v19, v10, v12
.LBB448_638:
	s_or_b64 exec, exec, s[8:9]
.LBB448_639:
	s_or_b64 exec, exec, s[6:7]
.LBB448_640:
	s_or_b64 exec, exec, s[4:5]
	s_mov_b32 s4, -1
	s_mov_b32 s5, 0xffffff
	v_cmp_lt_u64_e32 vcc, s[4:5], v[6:7]
	v_mov_b32_e32 v12, 0
	v_mov_b32_e32 v10, 0
	s_and_saveexec_b64 s[4:5], vcc
	s_cbranch_execz .LBB448_646
; %bb.641:
	v_lshrrev_b32_e32 v6, 24, v7
	s_movk_i32 s3, 0x80
	v_cmp_ne_u32_e32 vcc, s3, v6
	v_bfrev_b32_e32 v10, 1
	s_and_saveexec_b64 s[6:7], vcc
	s_cbranch_execz .LBB448_645
; %bb.642:
	v_bfe_u32 v7, v7, 24, 7
	s_movk_i32 s3, 0x7f
	v_cmp_ne_u32_e32 vcc, s3, v7
	v_mov_b32_e32 v10, 0x7f800001
	s_and_saveexec_b64 s[8:9], vcc
	s_cbranch_execz .LBB448_644
; %bb.643:
	v_and_b32_e32 v10, 7, v6
	v_ffbh_u32_e32 v22, v10
	v_min_u32_e32 v24, 32, v22
	v_subrev_u32_e32 v22, 28, v24
	v_lshlrev_b64 v[22:23], v22, v[6:7]
	v_lshrrev_b32_e32 v21, 3, v7
	v_sub_u32_e32 v23, 29, v24
	v_and_b32_e32 v22, 7, v22
	v_cmp_gt_u32_e32 vcc, 8, v7
	v_cndmask_b32_e32 v7, v21, v23, vcc
	v_cndmask_b32_e32 v10, v10, v22, vcc
	v_lshlrev_b32_e32 v6, 24, v6
	v_bfrev_b32_e32 v21, 60
	v_lshlrev_b32_e32 v10, 20, v10
	v_and_b32_e32 v6, 0x80000000, v6
	v_lshl_add_u32 v7, v7, 23, v21
	v_or3_b32 v10, v6, v7, v10
.LBB448_644:
	s_or_b64 exec, exec, s[8:9]
.LBB448_645:
	s_or_b64 exec, exec, s[6:7]
.LBB448_646:
	s_or_b64 exec, exec, s[4:5]
	v_cvt_pkrtz_f16_f32 v6, v16, v17
	v_cvt_pkrtz_f16_f32 v7, v13, v18
	;; [unrolled: 1-line block ×4, first 2 shown]
	v_mfma_f32_4x4x4f16 a[0:3], v[14:15], v[6:7], a[0:3] cbsz:4 abid:8
	v_cmp_ne_u16_sdwa s[6:7], v8, v12 src0_sel:BYTE_0 src1_sel:DWORD
	v_mfma_f32_4x4x4f16 a[0:3], v[14:15], v[16:17], a[0:3] cbsz:4 abid:9
	s_and_saveexec_b64 s[4:5], s[6:7]
	s_cbranch_execz .LBB448_652
; %bb.647:
	s_movk_i32 s3, 0x80
	v_cmp_ne_u16_sdwa s[8:9], v8, s3 src0_sel:BYTE_0 src1_sel:DWORD
	v_bfrev_b32_e32 v12, 1
	s_and_saveexec_b64 s[6:7], s[8:9]
	s_cbranch_execz .LBB448_651
; %bb.648:
	s_movk_i32 s3, 0x7f
	v_and_b32_e32 v6, 0x7f, v8
	v_cmp_ne_u32_e32 vcc, s3, v6
	v_mov_b32_e32 v12, 0x7f800001
	s_and_saveexec_b64 s[8:9], vcc
	s_cbranch_execz .LBB448_650
; %bb.649:
	v_and_b32_e32 v7, 7, v8
	v_ffbh_u32_e32 v7, v7
	v_min_u32_e32 v7, 32, v7
	v_subrev_u32_e32 v11, 28, v7
	v_cmp_gt_u32_e32 vcc, 8, v6
	v_lshrrev_b32_e32 v10, 3, v6
	v_sub_u32_e32 v7, 29, v7
	v_cndmask_b32_e32 v6, 0, v11, vcc
	v_cndmask_b32_e32 v10, v10, v7, vcc
	v_lshlrev_b64 v[6:7], v6, v[8:9]
	v_lshlrev_b32_e32 v6, 20, v6
	v_lshlrev_b32_e32 v7, 24, v8
	v_bfrev_b32_e32 v11, 60
	v_and_b32_e32 v6, 0x700000, v6
	v_and_b32_e32 v7, 0x80000000, v7
	v_lshl_add_u32 v10, v10, 23, v11
	v_or3_b32 v12, v7, v10, v6
.LBB448_650:
	s_or_b64 exec, exec, s[8:9]
.LBB448_651:
	s_or_b64 exec, exec, s[6:7]
.LBB448_652:
	s_or_b64 exec, exec, s[4:5]
	v_lshrrev_b16_e32 v6, 8, v8
	v_cmp_ne_u16_e32 vcc, 0, v6
	v_mov_b32_e32 v11, 0
	v_mov_b32_e32 v13, 0
	s_and_saveexec_b64 s[4:5], vcc
	s_cbranch_execz .LBB448_658
; %bb.653:
	s_movk_i32 s3, 0x80
	v_cmp_ne_u16_e32 vcc, s3, v6
	v_bfrev_b32_e32 v13, 1
	s_and_saveexec_b64 s[6:7], vcc
	s_cbranch_execz .LBB448_657
; %bb.654:
	s_movk_i32 s3, 0x7f
	v_and_b32_e32 v7, 0x7f, v6
	v_cmp_ne_u32_e32 vcc, s3, v7
	v_mov_b32_e32 v13, 0x7f800001
	s_and_saveexec_b64 s[8:9], vcc
	s_cbranch_execz .LBB448_656
; %bb.655:
	v_and_b32_e32 v10, 7, v6
	v_ffbh_u32_e32 v16, v10
	v_min_u32_e32 v18, 32, v16
	v_subrev_u32_e32 v16, 28, v18
	v_lshlrev_b64 v[16:17], v16, v[6:7]
	v_lshrrev_b32_e32 v13, 3, v7
	v_sub_u32_e32 v6, 29, v18
	v_and_b32_e32 v16, 7, v16
	v_cmp_gt_u32_e32 vcc, 8, v7
	v_cndmask_b32_e32 v6, v13, v6, vcc
	v_cndmask_b32_e32 v7, v10, v16, vcc
	v_lshlrev_b32_e32 v10, 16, v8
	v_bfrev_b32_e32 v13, 60
	v_lshlrev_b32_e32 v7, 20, v7
	v_and_b32_e32 v10, 0x80000000, v10
	v_lshl_add_u32 v6, v6, 23, v13
	v_or3_b32 v13, v10, v6, v7
.LBB448_656:
	s_or_b64 exec, exec, s[8:9]
.LBB448_657:
	s_or_b64 exec, exec, s[6:7]
.LBB448_658:
	s_or_b64 exec, exec, s[4:5]
	s_movk_i32 s3, 0xff
	v_and_b32_sdwa v7, v8, s3 dst_sel:DWORD dst_unused:UNUSED_PAD src0_sel:WORD_1 src1_sel:DWORD
	v_lshrrev_b32_e32 v6, 16, v8
	v_cmp_ne_u16_e32 vcc, 0, v7
	s_and_saveexec_b64 s[4:5], vcc
	s_cbranch_execz .LBB448_664
; %bb.659:
	s_movk_i32 s3, 0x80
	v_cmp_ne_u16_e32 vcc, s3, v7
	v_bfrev_b32_e32 v11, 1
	s_and_saveexec_b64 s[6:7], vcc
	s_cbranch_execz .LBB448_663
; %bb.660:
	v_bfe_u32 v7, v8, 16, 7
	s_movk_i32 s3, 0x7f
	v_cmp_ne_u32_e32 vcc, s3, v7
	v_mov_b32_e32 v11, 0x7f800001
	s_and_saveexec_b64 s[8:9], vcc
	s_cbranch_execz .LBB448_662
; %bb.661:
	v_and_b32_e32 v16, 7, v6
	v_ffbh_u32_e32 v10, v16
	v_min_u32_e32 v18, 32, v10
	v_subrev_u32_e32 v10, 28, v18
	v_lshlrev_b64 v[10:11], v10, v[6:7]
	v_and_b32_e32 v10, 7, v10
	v_cmp_gt_u32_e32 vcc, 8, v7
	v_lshrrev_b32_e32 v17, 3, v7
	v_sub_u32_e32 v6, 29, v18
	v_cndmask_b32_e32 v7, v16, v10, vcc
	v_mov_b32_e32 v10, 24
	v_cndmask_b32_e32 v6, v17, v6, vcc
	v_lshlrev_b32_sdwa v10, v10, v8 dst_sel:DWORD dst_unused:UNUSED_PAD src0_sel:DWORD src1_sel:WORD_1
	v_bfrev_b32_e32 v11, 60
	v_lshlrev_b32_e32 v7, 20, v7
	v_and_b32_e32 v10, 0x80000000, v10
	v_lshl_add_u32 v6, v6, 23, v11
	v_or3_b32 v11, v10, v6, v7
.LBB448_662:
	s_or_b64 exec, exec, s[8:9]
.LBB448_663:
	s_or_b64 exec, exec, s[6:7]
.LBB448_664:
	s_or_b64 exec, exec, s[4:5]
	s_mov_b32 s3, 0xffffff
	v_cmp_lt_u32_e32 vcc, s3, v8
	v_mov_b32_e32 v7, 0
	v_mov_b32_e32 v16, 0
	s_and_saveexec_b64 s[4:5], vcc
	s_cbranch_execz .LBB448_670
; %bb.665:
	v_lshrrev_b32_e32 v6, 24, v8
	s_movk_i32 s3, 0x80
	v_cmp_ne_u32_e32 vcc, s3, v6
	v_bfrev_b32_e32 v16, 1
	s_and_saveexec_b64 s[6:7], vcc
	s_cbranch_execz .LBB448_669
; %bb.666:
	v_bfe_u32 v10, v8, 24, 7
	s_movk_i32 s3, 0x7f
	v_cmp_ne_u32_e32 vcc, s3, v10
	v_mov_b32_e32 v16, 0x7f800001
	s_and_saveexec_b64 s[8:9], vcc
	s_cbranch_execz .LBB448_668
; %bb.667:
	v_and_b32_e32 v18, 7, v6
	v_ffbh_u32_e32 v16, v18
	v_min_u32_e32 v20, 32, v16
	v_subrev_u32_e32 v16, 28, v20
	v_lshlrev_b64 v[16:17], v16, v[6:7]
	v_lshrrev_b32_e32 v19, 3, v10
	v_sub_u32_e32 v17, 29, v20
	v_and_b32_e32 v16, 7, v16
	v_cmp_gt_u32_e32 vcc, 8, v10
	v_cndmask_b32_e32 v10, v19, v17, vcc
	v_cndmask_b32_e32 v16, v18, v16, vcc
	v_lshlrev_b32_e32 v6, 24, v6
	v_bfrev_b32_e32 v17, 60
	v_lshlrev_b32_e32 v16, 20, v16
	v_and_b32_e32 v6, 0x80000000, v6
	v_lshl_add_u32 v10, v10, 23, v17
	v_or3_b32 v16, v6, v10, v16
.LBB448_668:
	s_or_b64 exec, exec, s[8:9]
.LBB448_669:
	s_or_b64 exec, exec, s[6:7]
.LBB448_670:
	s_or_b64 exec, exec, s[4:5]
	v_mov_b32_e32 v6, v9
	v_cmp_ne_u16_sdwa s[6:7], v9, v7 src0_sel:BYTE_0 src1_sel:DWORD
	s_and_saveexec_b64 s[4:5], s[6:7]
	s_cbranch_execz .LBB448_676
; %bb.671:
	s_movk_i32 s3, 0x80
	v_cmp_ne_u16_sdwa s[8:9], v9, s3 src0_sel:BYTE_0 src1_sel:DWORD
	v_bfrev_b32_e32 v10, 1
	s_and_saveexec_b64 s[6:7], s[8:9]
	s_cbranch_execz .LBB448_675
; %bb.672:
	s_movk_i32 s3, 0x7f
	v_and_b32_e32 v17, 0x7f, v9
	v_cmp_ne_u32_e32 vcc, s3, v17
	v_mov_b32_e32 v10, 0x7f800001
	s_and_saveexec_b64 s[8:9], vcc
	s_cbranch_execz .LBB448_674
; %bb.673:
	v_and_b32_e32 v10, 7, v9
	v_ffbh_u32_e32 v10, v10
	v_min_u32_e32 v10, 32, v10
	v_subrev_u32_e32 v19, 28, v10
	v_cmp_gt_u32_e32 vcc, 8, v17
	v_lshrrev_b32_e32 v18, 3, v17
	v_sub_u32_e32 v10, 29, v10
	v_cndmask_b32_e32 v17, 0, v19, vcc
	v_cndmask_b32_e32 v10, v18, v10, vcc
	v_lshlrev_b64 v[18:19], v17, v[6:7]
	v_lshlrev_b32_e32 v7, 20, v18
	v_lshlrev_b32_e32 v17, 24, v6
	v_bfrev_b32_e32 v18, 60
	v_and_b32_e32 v7, 0x700000, v7
	v_and_b32_e32 v17, 0x80000000, v17
	v_lshl_add_u32 v10, v10, 23, v18
	v_or3_b32 v10, v17, v10, v7
.LBB448_674:
	s_or_b64 exec, exec, s[8:9]
.LBB448_675:
	s_or_b64 exec, exec, s[6:7]
	v_mov_b32_e32 v7, v10
.LBB448_676:
	s_or_b64 exec, exec, s[4:5]
	v_lshrrev_b16_e32 v10, 8, v6
	v_cmp_ne_u16_e32 vcc, 0, v10
	v_mov_b32_e32 v17, 0
	v_mov_b32_e32 v18, 0
	s_and_saveexec_b64 s[4:5], vcc
	s_cbranch_execz .LBB448_682
; %bb.677:
	s_movk_i32 s3, 0x80
	v_cmp_ne_u16_e32 vcc, s3, v10
	v_bfrev_b32_e32 v18, 1
	s_and_saveexec_b64 s[6:7], vcc
	s_cbranch_execz .LBB448_681
; %bb.678:
	s_movk_i32 s3, 0x7f
	v_and_b32_e32 v19, 0x7f, v10
	v_cmp_ne_u32_e32 vcc, s3, v19
	v_mov_b32_e32 v18, 0x7f800001
	s_and_saveexec_b64 s[8:9], vcc
	s_cbranch_execz .LBB448_680
; %bb.679:
	v_and_b32_e32 v18, 7, v10
	v_ffbh_u32_e32 v20, v18
	v_min_u32_e32 v23, 32, v20
	v_subrev_u32_e32 v20, 28, v23
	v_lshlrev_b64 v[20:21], v20, v[10:11]
	v_lshrrev_b32_e32 v22, 3, v19
	v_sub_u32_e32 v10, 29, v23
	v_and_b32_e32 v20, 7, v20
	v_cmp_gt_u32_e32 vcc, 8, v19
	v_cndmask_b32_e32 v10, v22, v10, vcc
	v_cndmask_b32_e32 v18, v18, v20, vcc
	v_lshlrev_b32_e32 v6, 16, v6
	v_bfrev_b32_e32 v19, 60
	v_lshlrev_b32_e32 v18, 20, v18
	v_and_b32_e32 v6, 0x80000000, v6
	v_lshl_add_u32 v10, v10, 23, v19
	v_or3_b32 v18, v6, v10, v18
.LBB448_680:
	s_or_b64 exec, exec, s[8:9]
.LBB448_681:
	s_or_b64 exec, exec, s[6:7]
.LBB448_682:
	s_or_b64 exec, exec, s[4:5]
	s_movk_i32 s3, 0xff
	v_and_b32_sdwa v10, v9, s3 dst_sel:DWORD dst_unused:UNUSED_PAD src0_sel:WORD_1 src1_sel:DWORD
	v_lshrrev_b32_e32 v6, 16, v9
	v_cmp_ne_u16_e32 vcc, 0, v10
	s_and_saveexec_b64 s[4:5], vcc
	s_cbranch_execz .LBB448_688
; %bb.683:
	s_movk_i32 s3, 0x80
	v_cmp_ne_u16_e32 vcc, s3, v10
	v_bfrev_b32_e32 v17, 1
	s_and_saveexec_b64 s[6:7], vcc
	s_cbranch_execz .LBB448_687
; %bb.684:
	v_bfe_u32 v10, v9, 16, 7
	s_movk_i32 s3, 0x7f
	v_cmp_ne_u32_e32 vcc, s3, v10
	v_mov_b32_e32 v17, 0x7f800001
	s_and_saveexec_b64 s[8:9], vcc
	s_cbranch_execz .LBB448_686
; %bb.685:
	v_and_b32_e32 v17, 7, v6
	v_ffbh_u32_e32 v20, v17
	v_min_u32_e32 v22, 32, v20
	v_subrev_u32_e32 v20, 28, v22
	v_lshlrev_b64 v[20:21], v20, v[6:7]
	v_and_b32_e32 v20, 7, v20
	v_cmp_gt_u32_e32 vcc, 8, v10
	v_lshrrev_b32_e32 v19, 3, v10
	v_sub_u32_e32 v6, 29, v22
	v_cndmask_b32_e32 v10, v17, v20, vcc
	v_mov_b32_e32 v17, 24
	v_cndmask_b32_e32 v6, v19, v6, vcc
	v_lshlrev_b32_sdwa v17, v17, v9 dst_sel:DWORD dst_unused:UNUSED_PAD src0_sel:DWORD src1_sel:WORD_1
	v_bfrev_b32_e32 v19, 60
	v_lshlrev_b32_e32 v10, 20, v10
	v_and_b32_e32 v17, 0x80000000, v17
	v_lshl_add_u32 v6, v6, 23, v19
	v_or3_b32 v17, v17, v6, v10
.LBB448_686:
	s_or_b64 exec, exec, s[8:9]
.LBB448_687:
	s_or_b64 exec, exec, s[6:7]
.LBB448_688:
	s_or_b64 exec, exec, s[4:5]
	s_mov_b32 s4, -1
	s_mov_b32 s5, 0xffffff
	v_cmp_lt_u64_e32 vcc, s[4:5], v[8:9]
	v_mov_b32_e32 v10, 0
	v_mov_b32_e32 v8, 0
	s_and_saveexec_b64 s[4:5], vcc
	s_cbranch_execz .LBB448_694
; %bb.689:
	v_lshrrev_b32_e32 v6, 24, v9
	s_movk_i32 s3, 0x80
	v_cmp_ne_u32_e32 vcc, s3, v6
	v_bfrev_b32_e32 v8, 1
	s_and_saveexec_b64 s[6:7], vcc
	s_cbranch_execz .LBB448_693
; %bb.690:
	v_bfe_u32 v9, v9, 24, 7
	s_movk_i32 s3, 0x7f
	v_cmp_ne_u32_e32 vcc, s3, v9
	v_mov_b32_e32 v8, 0x7f800001
	s_and_saveexec_b64 s[8:9], vcc
	s_cbranch_execz .LBB448_692
; %bb.691:
	v_and_b32_e32 v8, 7, v6
	v_ffbh_u32_e32 v20, v8
	v_min_u32_e32 v22, 32, v20
	v_subrev_u32_e32 v20, 28, v22
	v_lshlrev_b64 v[20:21], v20, v[6:7]
	v_lshrrev_b32_e32 v19, 3, v9
	v_sub_u32_e32 v21, 29, v22
	v_and_b32_e32 v20, 7, v20
	v_cmp_gt_u32_e32 vcc, 8, v9
	v_cndmask_b32_e32 v9, v19, v21, vcc
	v_cndmask_b32_e32 v8, v8, v20, vcc
	v_lshlrev_b32_e32 v6, 24, v6
	v_bfrev_b32_e32 v19, 60
	v_lshlrev_b32_e32 v8, 20, v8
	v_and_b32_e32 v6, 0x80000000, v6
	v_lshl_add_u32 v9, v9, 23, v19
	v_or3_b32 v8, v6, v9, v8
.LBB448_692:
	s_or_b64 exec, exec, s[8:9]
.LBB448_693:
	s_or_b64 exec, exec, s[6:7]
.LBB448_694:
	s_or_b64 exec, exec, s[4:5]
	v_cvt_pkrtz_f16_f32 v12, v12, v13
	v_cvt_pkrtz_f16_f32 v13, v11, v16
	v_cvt_pkrtz_f16_f32 v6, v7, v18
	v_cvt_pkrtz_f16_f32 v7, v17, v8
	v_mfma_f32_4x4x4f16 a[0:3], v[14:15], v[12:13], a[0:3] cbsz:4 abid:10
	v_cmp_ne_u16_sdwa s[6:7], v2, v10 src0_sel:BYTE_0 src1_sel:DWORD
	v_mfma_f32_4x4x4f16 a[0:3], v[14:15], v[6:7], a[0:3] cbsz:4 abid:11
	s_and_saveexec_b64 s[4:5], s[6:7]
	s_cbranch_execz .LBB448_700
; %bb.695:
	s_movk_i32 s3, 0x80
	v_cmp_ne_u16_sdwa s[8:9], v2, s3 src0_sel:BYTE_0 src1_sel:DWORD
	v_bfrev_b32_e32 v10, 1
	s_and_saveexec_b64 s[6:7], s[8:9]
	s_cbranch_execz .LBB448_699
; %bb.696:
	s_movk_i32 s3, 0x7f
	v_and_b32_e32 v6, 0x7f, v2
	v_cmp_ne_u32_e32 vcc, s3, v6
	v_mov_b32_e32 v10, 0x7f800001
	s_and_saveexec_b64 s[8:9], vcc
	s_cbranch_execz .LBB448_698
; %bb.697:
	v_and_b32_e32 v7, 7, v2
	v_ffbh_u32_e32 v7, v7
	v_min_u32_e32 v7, 32, v7
	v_subrev_u32_e32 v9, 28, v7
	v_cmp_gt_u32_e32 vcc, 8, v6
	v_lshrrev_b32_e32 v8, 3, v6
	v_sub_u32_e32 v7, 29, v7
	v_cndmask_b32_e32 v6, 0, v9, vcc
	v_cndmask_b32_e32 v8, v8, v7, vcc
	v_lshlrev_b64 v[6:7], v6, v[2:3]
	v_lshlrev_b32_e32 v6, 20, v6
	v_lshlrev_b32_e32 v7, 24, v2
	v_bfrev_b32_e32 v9, 60
	v_and_b32_e32 v6, 0x700000, v6
	v_and_b32_e32 v7, 0x80000000, v7
	v_lshl_add_u32 v8, v8, 23, v9
	v_or3_b32 v10, v7, v8, v6
.LBB448_698:
	s_or_b64 exec, exec, s[8:9]
.LBB448_699:
	s_or_b64 exec, exec, s[6:7]
.LBB448_700:
	s_or_b64 exec, exec, s[4:5]
	v_lshrrev_b16_e32 v6, 8, v2
	v_cmp_ne_u16_e32 vcc, 0, v6
	v_mov_b32_e32 v9, 0
	v_mov_b32_e32 v11, 0
	s_and_saveexec_b64 s[4:5], vcc
	s_cbranch_execz .LBB448_706
; %bb.701:
	s_movk_i32 s3, 0x80
	v_cmp_ne_u16_e32 vcc, s3, v6
	v_bfrev_b32_e32 v11, 1
	s_and_saveexec_b64 s[6:7], vcc
	s_cbranch_execz .LBB448_705
; %bb.702:
	s_movk_i32 s3, 0x7f
	v_and_b32_e32 v7, 0x7f, v6
	v_cmp_ne_u32_e32 vcc, s3, v7
	v_mov_b32_e32 v11, 0x7f800001
	s_and_saveexec_b64 s[8:9], vcc
	s_cbranch_execz .LBB448_704
; %bb.703:
	v_and_b32_e32 v8, 7, v6
	v_ffbh_u32_e32 v12, v8
	v_min_u32_e32 v16, 32, v12
	v_subrev_u32_e32 v12, 28, v16
	v_lshlrev_b64 v[12:13], v12, v[6:7]
	v_lshrrev_b32_e32 v11, 3, v7
	v_sub_u32_e32 v6, 29, v16
	v_and_b32_e32 v12, 7, v12
	v_cmp_gt_u32_e32 vcc, 8, v7
	v_cndmask_b32_e32 v6, v11, v6, vcc
	v_cndmask_b32_e32 v7, v8, v12, vcc
	v_lshlrev_b32_e32 v8, 16, v2
	v_bfrev_b32_e32 v11, 60
	v_lshlrev_b32_e32 v7, 20, v7
	v_and_b32_e32 v8, 0x80000000, v8
	v_lshl_add_u32 v6, v6, 23, v11
	v_or3_b32 v11, v8, v6, v7
.LBB448_704:
	s_or_b64 exec, exec, s[8:9]
.LBB448_705:
	s_or_b64 exec, exec, s[6:7]
.LBB448_706:
	s_or_b64 exec, exec, s[4:5]
	s_movk_i32 s3, 0xff
	v_and_b32_sdwa v7, v2, s3 dst_sel:DWORD dst_unused:UNUSED_PAD src0_sel:WORD_1 src1_sel:DWORD
	v_lshrrev_b32_e32 v6, 16, v2
	v_cmp_ne_u16_e32 vcc, 0, v7
	s_and_saveexec_b64 s[4:5], vcc
	s_cbranch_execz .LBB448_712
; %bb.707:
	s_movk_i32 s3, 0x80
	v_cmp_ne_u16_e32 vcc, s3, v7
	v_bfrev_b32_e32 v9, 1
	s_and_saveexec_b64 s[6:7], vcc
	s_cbranch_execz .LBB448_711
; %bb.708:
	v_bfe_u32 v7, v2, 16, 7
	s_movk_i32 s3, 0x7f
	v_cmp_ne_u32_e32 vcc, s3, v7
	v_mov_b32_e32 v9, 0x7f800001
	s_and_saveexec_b64 s[8:9], vcc
	s_cbranch_execz .LBB448_710
; %bb.709:
	v_and_b32_e32 v12, 7, v6
	v_ffbh_u32_e32 v8, v12
	v_min_u32_e32 v16, 32, v8
	v_subrev_u32_e32 v8, 28, v16
	v_lshlrev_b64 v[8:9], v8, v[6:7]
	v_and_b32_e32 v8, 7, v8
	v_cmp_gt_u32_e32 vcc, 8, v7
	v_lshrrev_b32_e32 v13, 3, v7
	v_sub_u32_e32 v6, 29, v16
	v_cndmask_b32_e32 v7, v12, v8, vcc
	v_mov_b32_e32 v8, 24
	v_cndmask_b32_e32 v6, v13, v6, vcc
	v_lshlrev_b32_sdwa v8, v8, v2 dst_sel:DWORD dst_unused:UNUSED_PAD src0_sel:DWORD src1_sel:WORD_1
	v_bfrev_b32_e32 v9, 60
	v_lshlrev_b32_e32 v7, 20, v7
	v_and_b32_e32 v8, 0x80000000, v8
	v_lshl_add_u32 v6, v6, 23, v9
	v_or3_b32 v9, v8, v6, v7
.LBB448_710:
	s_or_b64 exec, exec, s[8:9]
.LBB448_711:
	s_or_b64 exec, exec, s[6:7]
.LBB448_712:
	s_or_b64 exec, exec, s[4:5]
	s_mov_b32 s3, 0xffffff
	v_cmp_lt_u32_e32 vcc, s3, v2
	v_mov_b32_e32 v7, 0
	v_mov_b32_e32 v12, 0
	s_and_saveexec_b64 s[4:5], vcc
	s_cbranch_execz .LBB448_718
; %bb.713:
	v_lshrrev_b32_e32 v6, 24, v2
	s_movk_i32 s3, 0x80
	v_cmp_ne_u32_e32 vcc, s3, v6
	v_bfrev_b32_e32 v12, 1
	s_and_saveexec_b64 s[6:7], vcc
	s_cbranch_execz .LBB448_717
; %bb.714:
	v_bfe_u32 v8, v2, 24, 7
	s_movk_i32 s3, 0x7f
	v_cmp_ne_u32_e32 vcc, s3, v8
	v_mov_b32_e32 v12, 0x7f800001
	s_and_saveexec_b64 s[8:9], vcc
	s_cbranch_execz .LBB448_716
; %bb.715:
	v_and_b32_e32 v16, 7, v6
	v_ffbh_u32_e32 v12, v16
	v_min_u32_e32 v18, 32, v12
	v_subrev_u32_e32 v12, 28, v18
	v_lshlrev_b64 v[12:13], v12, v[6:7]
	v_lshrrev_b32_e32 v17, 3, v8
	v_sub_u32_e32 v13, 29, v18
	v_and_b32_e32 v12, 7, v12
	v_cmp_gt_u32_e32 vcc, 8, v8
	v_cndmask_b32_e32 v8, v17, v13, vcc
	v_cndmask_b32_e32 v12, v16, v12, vcc
	v_lshlrev_b32_e32 v6, 24, v6
	v_bfrev_b32_e32 v13, 60
	v_lshlrev_b32_e32 v12, 20, v12
	v_and_b32_e32 v6, 0x80000000, v6
	v_lshl_add_u32 v8, v8, 23, v13
	v_or3_b32 v12, v6, v8, v12
.LBB448_716:
	s_or_b64 exec, exec, s[8:9]
.LBB448_717:
	s_or_b64 exec, exec, s[6:7]
.LBB448_718:
	s_or_b64 exec, exec, s[4:5]
	v_mov_b32_e32 v6, v3
	v_cmp_ne_u16_sdwa s[6:7], v3, v7 src0_sel:BYTE_0 src1_sel:DWORD
	s_and_saveexec_b64 s[4:5], s[6:7]
	s_cbranch_execz .LBB448_724
; %bb.719:
	s_movk_i32 s3, 0x80
	v_cmp_ne_u16_sdwa s[8:9], v3, s3 src0_sel:BYTE_0 src1_sel:DWORD
	v_bfrev_b32_e32 v8, 1
	s_and_saveexec_b64 s[6:7], s[8:9]
	s_cbranch_execz .LBB448_723
; %bb.720:
	s_movk_i32 s3, 0x7f
	v_and_b32_e32 v13, 0x7f, v3
	v_cmp_ne_u32_e32 vcc, s3, v13
	v_mov_b32_e32 v8, 0x7f800001
	s_and_saveexec_b64 s[8:9], vcc
	s_cbranch_execz .LBB448_722
; %bb.721:
	v_and_b32_e32 v8, 7, v3
	v_ffbh_u32_e32 v8, v8
	v_min_u32_e32 v8, 32, v8
	v_subrev_u32_e32 v17, 28, v8
	v_cmp_gt_u32_e32 vcc, 8, v13
	v_lshrrev_b32_e32 v16, 3, v13
	v_sub_u32_e32 v8, 29, v8
	v_cndmask_b32_e32 v13, 0, v17, vcc
	v_cndmask_b32_e32 v8, v16, v8, vcc
	v_lshlrev_b64 v[16:17], v13, v[6:7]
	v_lshlrev_b32_e32 v7, 20, v16
	v_lshlrev_b32_e32 v13, 24, v6
	v_bfrev_b32_e32 v16, 60
	v_and_b32_e32 v7, 0x700000, v7
	v_and_b32_e32 v13, 0x80000000, v13
	v_lshl_add_u32 v8, v8, 23, v16
	v_or3_b32 v8, v13, v8, v7
.LBB448_722:
	s_or_b64 exec, exec, s[8:9]
.LBB448_723:
	s_or_b64 exec, exec, s[6:7]
	v_mov_b32_e32 v7, v8
.LBB448_724:
	s_or_b64 exec, exec, s[4:5]
	v_lshrrev_b16_e32 v8, 8, v6
	v_cmp_ne_u16_e32 vcc, 0, v8
	v_mov_b32_e32 v13, 0
	v_mov_b32_e32 v16, 0
	s_and_saveexec_b64 s[4:5], vcc
	s_cbranch_execz .LBB448_730
; %bb.725:
	s_movk_i32 s3, 0x80
	v_cmp_ne_u16_e32 vcc, s3, v8
	v_bfrev_b32_e32 v16, 1
	s_and_saveexec_b64 s[6:7], vcc
	s_cbranch_execz .LBB448_729
; %bb.726:
	s_movk_i32 s3, 0x7f
	v_and_b32_e32 v17, 0x7f, v8
	v_cmp_ne_u32_e32 vcc, s3, v17
	v_mov_b32_e32 v16, 0x7f800001
	s_and_saveexec_b64 s[8:9], vcc
	s_cbranch_execz .LBB448_728
; %bb.727:
	v_and_b32_e32 v16, 7, v8
	v_ffbh_u32_e32 v18, v16
	v_min_u32_e32 v21, 32, v18
	v_subrev_u32_e32 v18, 28, v21
	v_lshlrev_b64 v[18:19], v18, v[8:9]
	v_lshrrev_b32_e32 v20, 3, v17
	v_sub_u32_e32 v8, 29, v21
	v_and_b32_e32 v18, 7, v18
	v_cmp_gt_u32_e32 vcc, 8, v17
	v_cndmask_b32_e32 v8, v20, v8, vcc
	v_cndmask_b32_e32 v16, v16, v18, vcc
	v_lshlrev_b32_e32 v6, 16, v6
	v_bfrev_b32_e32 v17, 60
	v_lshlrev_b32_e32 v16, 20, v16
	v_and_b32_e32 v6, 0x80000000, v6
	v_lshl_add_u32 v8, v8, 23, v17
	v_or3_b32 v16, v6, v8, v16
.LBB448_728:
	s_or_b64 exec, exec, s[8:9]
.LBB448_729:
	s_or_b64 exec, exec, s[6:7]
.LBB448_730:
	s_or_b64 exec, exec, s[4:5]
	s_movk_i32 s3, 0xff
	v_and_b32_sdwa v8, v3, s3 dst_sel:DWORD dst_unused:UNUSED_PAD src0_sel:WORD_1 src1_sel:DWORD
	v_lshrrev_b32_e32 v6, 16, v3
	v_cmp_ne_u16_e32 vcc, 0, v8
	s_and_saveexec_b64 s[4:5], vcc
	s_cbranch_execz .LBB448_736
; %bb.731:
	s_movk_i32 s3, 0x80
	v_cmp_ne_u16_e32 vcc, s3, v8
	v_bfrev_b32_e32 v13, 1
	s_and_saveexec_b64 s[6:7], vcc
	s_cbranch_execz .LBB448_735
; %bb.732:
	v_bfe_u32 v8, v3, 16, 7
	s_movk_i32 s3, 0x7f
	v_cmp_ne_u32_e32 vcc, s3, v8
	v_mov_b32_e32 v13, 0x7f800001
	s_and_saveexec_b64 s[8:9], vcc
	s_cbranch_execz .LBB448_734
; %bb.733:
	v_and_b32_e32 v13, 7, v6
	v_ffbh_u32_e32 v18, v13
	v_min_u32_e32 v20, 32, v18
	v_subrev_u32_e32 v18, 28, v20
	v_lshlrev_b64 v[18:19], v18, v[6:7]
	v_and_b32_e32 v18, 7, v18
	v_cmp_gt_u32_e32 vcc, 8, v8
	v_lshrrev_b32_e32 v17, 3, v8
	v_sub_u32_e32 v6, 29, v20
	v_cndmask_b32_e32 v8, v13, v18, vcc
	v_mov_b32_e32 v13, 24
	v_cndmask_b32_e32 v6, v17, v6, vcc
	v_lshlrev_b32_sdwa v13, v13, v3 dst_sel:DWORD dst_unused:UNUSED_PAD src0_sel:DWORD src1_sel:WORD_1
	v_bfrev_b32_e32 v17, 60
	v_lshlrev_b32_e32 v8, 20, v8
	v_and_b32_e32 v13, 0x80000000, v13
	v_lshl_add_u32 v6, v6, 23, v17
	v_or3_b32 v13, v13, v6, v8
.LBB448_734:
	s_or_b64 exec, exec, s[8:9]
.LBB448_735:
	s_or_b64 exec, exec, s[6:7]
.LBB448_736:
	s_or_b64 exec, exec, s[4:5]
	s_mov_b32 s4, -1
	s_mov_b32 s5, 0xffffff
	v_cmp_lt_u64_e32 vcc, s[4:5], v[2:3]
	v_mov_b32_e32 v8, 0
	v_mov_b32_e32 v6, 0
	s_and_saveexec_b64 s[4:5], vcc
	s_cbranch_execz .LBB448_742
; %bb.737:
	v_lshrrev_b32_e32 v2, 24, v3
	s_movk_i32 s3, 0x80
	v_cmp_ne_u32_e32 vcc, s3, v2
	v_bfrev_b32_e32 v6, 1
	s_and_saveexec_b64 s[6:7], vcc
	s_cbranch_execz .LBB448_741
; %bb.738:
	v_bfe_u32 v3, v3, 24, 7
	s_movk_i32 s3, 0x7f
	v_cmp_ne_u32_e32 vcc, s3, v3
	v_mov_b32_e32 v6, 0x7f800001
	s_and_saveexec_b64 s[8:9], vcc
	s_cbranch_execz .LBB448_740
; %bb.739:
	v_and_b32_e32 v6, 7, v2
	v_ffbh_u32_e32 v18, v6
	v_min_u32_e32 v20, 32, v18
	v_subrev_u32_e32 v18, 28, v20
	v_lshlrev_b64 v[18:19], v18, v[2:3]
	v_lshrrev_b32_e32 v17, 3, v3
	v_sub_u32_e32 v19, 29, v20
	v_and_b32_e32 v18, 7, v18
	v_cmp_gt_u32_e32 vcc, 8, v3
	v_cndmask_b32_e32 v3, v17, v19, vcc
	v_cndmask_b32_e32 v6, v6, v18, vcc
	v_lshlrev_b32_e32 v2, 24, v2
	v_bfrev_b32_e32 v17, 60
	v_lshlrev_b32_e32 v6, 20, v6
	v_and_b32_e32 v2, 0x80000000, v2
	v_lshl_add_u32 v3, v3, 23, v17
	v_or3_b32 v6, v2, v3, v6
.LBB448_740:
	s_or_b64 exec, exec, s[8:9]
.LBB448_741:
	s_or_b64 exec, exec, s[6:7]
.LBB448_742:
	s_or_b64 exec, exec, s[4:5]
	v_cvt_pkrtz_f16_f32 v2, v10, v11
	v_cvt_pkrtz_f16_f32 v3, v9, v12
	v_cvt_pkrtz_f16_f32 v10, v7, v16
	v_cvt_pkrtz_f16_f32 v11, v13, v6
	v_mfma_f32_4x4x4f16 a[0:3], v[14:15], v[2:3], a[0:3] cbsz:4 abid:12
	v_cmp_ne_u16_sdwa s[6:7], v4, v8 src0_sel:BYTE_0 src1_sel:DWORD
	v_mfma_f32_4x4x4f16 a[0:3], v[14:15], v[10:11], a[0:3] cbsz:4 abid:13
	s_and_saveexec_b64 s[4:5], s[6:7]
	s_cbranch_execz .LBB448_748
; %bb.743:
	s_movk_i32 s3, 0x80
	v_cmp_ne_u16_sdwa s[8:9], v4, s3 src0_sel:BYTE_0 src1_sel:DWORD
	v_bfrev_b32_e32 v8, 1
	s_and_saveexec_b64 s[6:7], s[8:9]
	s_cbranch_execz .LBB448_747
; %bb.744:
	s_movk_i32 s3, 0x7f
	v_and_b32_e32 v2, 0x7f, v4
	v_cmp_ne_u32_e32 vcc, s3, v2
	v_mov_b32_e32 v8, 0x7f800001
	s_and_saveexec_b64 s[8:9], vcc
	s_cbranch_execz .LBB448_746
; %bb.745:
	v_and_b32_e32 v3, 7, v4
	v_ffbh_u32_e32 v3, v3
	v_min_u32_e32 v3, 32, v3
	v_subrev_u32_e32 v7, 28, v3
	v_cmp_gt_u32_e32 vcc, 8, v2
	v_lshrrev_b32_e32 v6, 3, v2
	v_sub_u32_e32 v3, 29, v3
	v_cndmask_b32_e32 v2, 0, v7, vcc
	v_cndmask_b32_e32 v6, v6, v3, vcc
	v_lshlrev_b64 v[2:3], v2, v[4:5]
	v_lshlrev_b32_e32 v2, 20, v2
	v_lshlrev_b32_e32 v3, 24, v4
	v_bfrev_b32_e32 v7, 60
	v_and_b32_e32 v2, 0x700000, v2
	v_and_b32_e32 v3, 0x80000000, v3
	v_lshl_add_u32 v6, v6, 23, v7
	v_or3_b32 v8, v3, v6, v2
.LBB448_746:
	s_or_b64 exec, exec, s[8:9]
.LBB448_747:
	s_or_b64 exec, exec, s[6:7]
.LBB448_748:
	s_or_b64 exec, exec, s[4:5]
	v_lshrrev_b16_e32 v2, 8, v4
	v_cmp_ne_u16_e32 vcc, 0, v2
	v_mov_b32_e32 v7, 0
	v_mov_b32_e32 v9, 0
	s_and_saveexec_b64 s[4:5], vcc
	s_cbranch_execz .LBB448_754
; %bb.749:
	s_movk_i32 s3, 0x80
	v_cmp_ne_u16_e32 vcc, s3, v2
	v_bfrev_b32_e32 v9, 1
	s_and_saveexec_b64 s[6:7], vcc
	s_cbranch_execz .LBB448_753
; %bb.750:
	s_movk_i32 s3, 0x7f
	v_and_b32_e32 v3, 0x7f, v2
	v_cmp_ne_u32_e32 vcc, s3, v3
	v_mov_b32_e32 v9, 0x7f800001
	s_and_saveexec_b64 s[8:9], vcc
	s_cbranch_execz .LBB448_752
; %bb.751:
	v_and_b32_e32 v6, 7, v2
	v_ffbh_u32_e32 v10, v6
	v_min_u32_e32 v12, 32, v10
	v_subrev_u32_e32 v10, 28, v12
	v_lshlrev_b64 v[10:11], v10, v[2:3]
	v_lshrrev_b32_e32 v9, 3, v3
	v_sub_u32_e32 v2, 29, v12
	v_and_b32_e32 v10, 7, v10
	v_cmp_gt_u32_e32 vcc, 8, v3
	v_cndmask_b32_e32 v2, v9, v2, vcc
	v_cndmask_b32_e32 v3, v6, v10, vcc
	v_lshlrev_b32_e32 v6, 16, v4
	v_bfrev_b32_e32 v9, 60
	v_lshlrev_b32_e32 v3, 20, v3
	v_and_b32_e32 v6, 0x80000000, v6
	v_lshl_add_u32 v2, v2, 23, v9
	v_or3_b32 v9, v6, v2, v3
.LBB448_752:
	s_or_b64 exec, exec, s[8:9]
.LBB448_753:
	s_or_b64 exec, exec, s[6:7]
.LBB448_754:
	s_or_b64 exec, exec, s[4:5]
	s_movk_i32 s3, 0xff
	v_and_b32_sdwa v3, v4, s3 dst_sel:DWORD dst_unused:UNUSED_PAD src0_sel:WORD_1 src1_sel:DWORD
	v_lshrrev_b32_e32 v2, 16, v4
	v_cmp_ne_u16_e32 vcc, 0, v3
	s_and_saveexec_b64 s[4:5], vcc
	s_cbranch_execz .LBB448_760
; %bb.755:
	s_movk_i32 s3, 0x80
	v_cmp_ne_u16_e32 vcc, s3, v3
	v_bfrev_b32_e32 v7, 1
	s_and_saveexec_b64 s[6:7], vcc
	s_cbranch_execz .LBB448_759
; %bb.756:
	v_bfe_u32 v3, v4, 16, 7
	s_movk_i32 s3, 0x7f
	v_cmp_ne_u32_e32 vcc, s3, v3
	v_mov_b32_e32 v7, 0x7f800001
	s_and_saveexec_b64 s[8:9], vcc
	s_cbranch_execz .LBB448_758
; %bb.757:
	v_and_b32_e32 v10, 7, v2
	v_ffbh_u32_e32 v6, v10
	v_min_u32_e32 v12, 32, v6
	v_subrev_u32_e32 v6, 28, v12
	v_lshlrev_b64 v[6:7], v6, v[2:3]
	v_and_b32_e32 v6, 7, v6
	v_cmp_gt_u32_e32 vcc, 8, v3
	v_lshrrev_b32_e32 v11, 3, v3
	v_sub_u32_e32 v2, 29, v12
	v_cndmask_b32_e32 v3, v10, v6, vcc
	v_mov_b32_e32 v6, 24
	v_cndmask_b32_e32 v2, v11, v2, vcc
	v_lshlrev_b32_sdwa v6, v6, v4 dst_sel:DWORD dst_unused:UNUSED_PAD src0_sel:DWORD src1_sel:WORD_1
	v_bfrev_b32_e32 v7, 60
	v_lshlrev_b32_e32 v3, 20, v3
	v_and_b32_e32 v6, 0x80000000, v6
	v_lshl_add_u32 v2, v2, 23, v7
	v_or3_b32 v7, v6, v2, v3
.LBB448_758:
	s_or_b64 exec, exec, s[8:9]
.LBB448_759:
	s_or_b64 exec, exec, s[6:7]
.LBB448_760:
	s_or_b64 exec, exec, s[4:5]
	s_mov_b32 s3, 0xffffff
	v_cmp_lt_u32_e32 vcc, s3, v4
	v_mov_b32_e32 v3, 0
	v_mov_b32_e32 v10, 0
	s_and_saveexec_b64 s[4:5], vcc
	s_cbranch_execz .LBB448_766
; %bb.761:
	v_lshrrev_b32_e32 v2, 24, v4
	s_movk_i32 s3, 0x80
	v_cmp_ne_u32_e32 vcc, s3, v2
	v_bfrev_b32_e32 v10, 1
	s_and_saveexec_b64 s[6:7], vcc
	s_cbranch_execz .LBB448_765
; %bb.762:
	v_bfe_u32 v6, v4, 24, 7
	s_movk_i32 s3, 0x7f
	v_cmp_ne_u32_e32 vcc, s3, v6
	v_mov_b32_e32 v10, 0x7f800001
	s_and_saveexec_b64 s[8:9], vcc
	s_cbranch_execz .LBB448_764
; %bb.763:
	v_and_b32_e32 v12, 7, v2
	v_ffbh_u32_e32 v10, v12
	v_min_u32_e32 v16, 32, v10
	v_subrev_u32_e32 v10, 28, v16
	v_lshlrev_b64 v[10:11], v10, v[2:3]
	v_lshrrev_b32_e32 v13, 3, v6
	v_sub_u32_e32 v11, 29, v16
	v_and_b32_e32 v10, 7, v10
	v_cmp_gt_u32_e32 vcc, 8, v6
	v_cndmask_b32_e32 v6, v13, v11, vcc
	v_cndmask_b32_e32 v10, v12, v10, vcc
	v_lshlrev_b32_e32 v2, 24, v2
	v_bfrev_b32_e32 v11, 60
	v_lshlrev_b32_e32 v10, 20, v10
	v_and_b32_e32 v2, 0x80000000, v2
	v_lshl_add_u32 v6, v6, 23, v11
	v_or3_b32 v10, v2, v6, v10
.LBB448_764:
	s_or_b64 exec, exec, s[8:9]
.LBB448_765:
	s_or_b64 exec, exec, s[6:7]
.LBB448_766:
	s_or_b64 exec, exec, s[4:5]
	v_mov_b32_e32 v2, v5
	v_cmp_ne_u16_sdwa s[6:7], v5, v3 src0_sel:BYTE_0 src1_sel:DWORD
	s_and_saveexec_b64 s[4:5], s[6:7]
	s_cbranch_execz .LBB448_772
; %bb.767:
	s_movk_i32 s3, 0x80
	v_cmp_ne_u16_sdwa s[8:9], v5, s3 src0_sel:BYTE_0 src1_sel:DWORD
	v_bfrev_b32_e32 v6, 1
	s_and_saveexec_b64 s[6:7], s[8:9]
	s_cbranch_execz .LBB448_771
; %bb.768:
	s_movk_i32 s3, 0x7f
	v_and_b32_e32 v11, 0x7f, v5
	v_cmp_ne_u32_e32 vcc, s3, v11
	v_mov_b32_e32 v6, 0x7f800001
	s_and_saveexec_b64 s[8:9], vcc
	s_cbranch_execz .LBB448_770
; %bb.769:
	v_and_b32_e32 v6, 7, v5
	v_ffbh_u32_e32 v6, v6
	v_min_u32_e32 v6, 32, v6
	v_subrev_u32_e32 v13, 28, v6
	v_cmp_gt_u32_e32 vcc, 8, v11
	v_lshrrev_b32_e32 v12, 3, v11
	v_sub_u32_e32 v6, 29, v6
	v_cndmask_b32_e32 v11, 0, v13, vcc
	v_cndmask_b32_e32 v6, v12, v6, vcc
	v_lshlrev_b64 v[12:13], v11, v[2:3]
	v_lshlrev_b32_e32 v3, 20, v12
	v_lshlrev_b32_e32 v11, 24, v2
	v_bfrev_b32_e32 v12, 60
	v_and_b32_e32 v3, 0x700000, v3
	v_and_b32_e32 v11, 0x80000000, v11
	v_lshl_add_u32 v6, v6, 23, v12
	v_or3_b32 v6, v11, v6, v3
.LBB448_770:
	s_or_b64 exec, exec, s[8:9]
.LBB448_771:
	s_or_b64 exec, exec, s[6:7]
	v_mov_b32_e32 v3, v6
.LBB448_772:
	s_or_b64 exec, exec, s[4:5]
	v_lshrrev_b16_e32 v6, 8, v2
	v_cmp_ne_u16_e32 vcc, 0, v6
	v_mov_b32_e32 v11, 0
	v_mov_b32_e32 v12, 0
	s_and_saveexec_b64 s[4:5], vcc
	s_cbranch_execz .LBB448_778
; %bb.773:
	s_movk_i32 s3, 0x80
	v_cmp_ne_u16_e32 vcc, s3, v6
	v_bfrev_b32_e32 v12, 1
	s_and_saveexec_b64 s[6:7], vcc
	s_cbranch_execz .LBB448_777
; %bb.774:
	s_movk_i32 s3, 0x7f
	v_and_b32_e32 v13, 0x7f, v6
	v_cmp_ne_u32_e32 vcc, s3, v13
	v_mov_b32_e32 v12, 0x7f800001
	s_and_saveexec_b64 s[8:9], vcc
	s_cbranch_execz .LBB448_776
; %bb.775:
	v_and_b32_e32 v12, 7, v6
	v_ffbh_u32_e32 v16, v12
	v_min_u32_e32 v19, 32, v16
	v_subrev_u32_e32 v16, 28, v19
	v_lshlrev_b64 v[16:17], v16, v[6:7]
	v_lshrrev_b32_e32 v18, 3, v13
	v_sub_u32_e32 v6, 29, v19
	v_and_b32_e32 v16, 7, v16
	v_cmp_gt_u32_e32 vcc, 8, v13
	v_cndmask_b32_e32 v6, v18, v6, vcc
	v_cndmask_b32_e32 v12, v12, v16, vcc
	v_lshlrev_b32_e32 v2, 16, v2
	v_bfrev_b32_e32 v13, 60
	v_lshlrev_b32_e32 v12, 20, v12
	v_and_b32_e32 v2, 0x80000000, v2
	v_lshl_add_u32 v6, v6, 23, v13
	v_or3_b32 v12, v2, v6, v12
.LBB448_776:
	s_or_b64 exec, exec, s[8:9]
.LBB448_777:
	s_or_b64 exec, exec, s[6:7]
.LBB448_778:
	s_or_b64 exec, exec, s[4:5]
	s_movk_i32 s3, 0xff
	v_and_b32_sdwa v6, v5, s3 dst_sel:DWORD dst_unused:UNUSED_PAD src0_sel:WORD_1 src1_sel:DWORD
	v_lshrrev_b32_e32 v2, 16, v5
	v_cmp_ne_u16_e32 vcc, 0, v6
	s_and_saveexec_b64 s[4:5], vcc
	s_cbranch_execz .LBB448_784
; %bb.779:
	s_movk_i32 s3, 0x80
	v_cmp_ne_u16_e32 vcc, s3, v6
	v_bfrev_b32_e32 v11, 1
	s_and_saveexec_b64 s[6:7], vcc
	s_cbranch_execz .LBB448_783
; %bb.780:
	v_bfe_u32 v6, v5, 16, 7
	s_movk_i32 s3, 0x7f
	v_cmp_ne_u32_e32 vcc, s3, v6
	v_mov_b32_e32 v11, 0x7f800001
	s_and_saveexec_b64 s[8:9], vcc
	s_cbranch_execz .LBB448_782
; %bb.781:
	v_and_b32_e32 v11, 7, v2
	v_ffbh_u32_e32 v16, v11
	v_min_u32_e32 v18, 32, v16
	v_subrev_u32_e32 v16, 28, v18
	v_lshlrev_b64 v[16:17], v16, v[2:3]
	v_and_b32_e32 v16, 7, v16
	v_cmp_gt_u32_e32 vcc, 8, v6
	v_lshrrev_b32_e32 v13, 3, v6
	v_sub_u32_e32 v2, 29, v18
	v_cndmask_b32_e32 v6, v11, v16, vcc
	v_mov_b32_e32 v11, 24
	v_cndmask_b32_e32 v2, v13, v2, vcc
	v_lshlrev_b32_sdwa v11, v11, v5 dst_sel:DWORD dst_unused:UNUSED_PAD src0_sel:DWORD src1_sel:WORD_1
	v_bfrev_b32_e32 v13, 60
	v_lshlrev_b32_e32 v6, 20, v6
	v_and_b32_e32 v11, 0x80000000, v11
	v_lshl_add_u32 v2, v2, 23, v13
	v_or3_b32 v11, v11, v2, v6
.LBB448_782:
	s_or_b64 exec, exec, s[8:9]
.LBB448_783:
	s_or_b64 exec, exec, s[6:7]
.LBB448_784:
	s_or_b64 exec, exec, s[4:5]
	s_mov_b32 s4, -1
	s_mov_b32 s5, 0xffffff
	v_cmp_lt_u64_e32 vcc, s[4:5], v[4:5]
	v_mov_b32_e32 v4, 0
	s_and_saveexec_b64 s[4:5], vcc
	s_cbranch_execz .LBB448_790
; %bb.785:
	v_lshrrev_b32_e32 v2, 24, v5
	s_movk_i32 s3, 0x80
	v_cmp_ne_u32_e32 vcc, s3, v2
	v_bfrev_b32_e32 v4, 1
	s_and_saveexec_b64 s[6:7], vcc
	s_cbranch_execz .LBB448_789
; %bb.786:
	v_bfe_u32 v5, v5, 24, 7
	s_movk_i32 s3, 0x7f
	v_cmp_ne_u32_e32 vcc, s3, v5
	v_mov_b32_e32 v4, 0x7f800001
	s_and_saveexec_b64 s[8:9], vcc
	s_cbranch_execz .LBB448_788
; %bb.787:
	v_and_b32_e32 v4, 7, v2
	v_ffbh_u32_e32 v13, v4
	v_min_u32_e32 v13, 32, v13
	v_subrev_u32_e32 v16, 28, v13
	v_lshlrev_b64 v[16:17], v16, v[2:3]
	v_lshrrev_b32_e32 v6, 3, v5
	v_sub_u32_e32 v13, 29, v13
	v_and_b32_e32 v16, 7, v16
	v_cmp_gt_u32_e32 vcc, 8, v5
	v_cndmask_b32_e32 v5, v6, v13, vcc
	v_cndmask_b32_e32 v4, v4, v16, vcc
	v_lshlrev_b32_e32 v2, 24, v2
	v_bfrev_b32_e32 v6, 60
	v_lshlrev_b32_e32 v4, 20, v4
	v_and_b32_e32 v2, 0x80000000, v2
	v_lshl_add_u32 v5, v5, 23, v6
	v_or3_b32 v4, v2, v5, v4
.LBB448_788:
	s_or_b64 exec, exec, s[8:9]
.LBB448_789:
	s_or_b64 exec, exec, s[6:7]
.LBB448_790:
	s_or_b64 exec, exec, s[4:5]
	v_cvt_pkrtz_f16_f32 v6, v8, v9
	v_cvt_pkrtz_f16_f32 v7, v7, v10
	v_cvt_pkrtz_f16_f32 v2, v3, v12
	v_cvt_pkrtz_f16_f32 v3, v11, v4
	v_mfma_f32_4x4x4f16 a[0:3], v[14:15], v[6:7], a[0:3] cbsz:4 abid:14
	s_load_dword s4, s[14:15], 0x0
	v_mfma_f32_4x4x4f16 a[0:3], v[14:15], v[2:3], a[0:3] cbsz:4 abid:15
	s_nop 4
	v_accvgpr_read_b32 v5, a1
	v_accvgpr_read_b32 v3, a3
	v_accvgpr_read_b32 v2, a2
	v_accvgpr_read_b32 v4, a0
	s_waitcnt lgkmcnt(0)
	v_pk_mul_f32 v[2:3], v[2:3], s[4:5] op_sel_hi:[1,0]
	v_pk_mul_f32 v[4:5], v[4:5], s[4:5] op_sel_hi:[1,0]
	v_cvt_f16_f32_e32 v4, v4
	v_cvt_f16_f32_e32 v5, v5
	;; [unrolled: 1-line block ×4, first 2 shown]
	v_pack_b32_f16 v2, v4, v5
	v_mad_u32_u24 v4, v1, 40, v25
	v_pack_b32_f16 v3, v6, v3
	ds_write_b64 v4, v[2:3]
.LBB448_791:
	s_or_b64 exec, exec, s[0:1]
	v_cmp_gt_u32_e32 vcc, 64, v0
	s_waitcnt lgkmcnt(0)
	s_barrier
	s_and_saveexec_b64 s[0:1], vcc
	s_cbranch_execz .LBB448_793
; %bb.792:
	v_mul_u32_u24_e32 v1, 40, v1
	s_waitcnt vmcnt(1)
	ds_read2_b64 v[2:5], v1 offset1:1
	s_waitcnt vmcnt(0)
	ds_read2_b64 v[6:9], v1 offset0:2 offset1:3
	s_mov_b32 s1, 0
	s_lshl_b32 s0, s2, 6
	s_lshl_b64 s[2:3], s[0:1], 1
	s_add_u32 s2, s30, s2
	s_addc_u32 s3, s31, s3
	s_lshl_b32 s0, s28, 6
	s_lshl_b64 s[0:1], s[0:1], 1
	s_waitcnt lgkmcnt(1)
	v_pk_add_f16 v1, v2, 0
	v_pk_add_f16 v2, v3, 0
	s_add_u32 s0, s2, s0
	v_pk_add_f16 v2, v2, v5
	s_addc_u32 s1, s3, s1
	s_lshl_b32 s2, s33, 6
	v_pk_add_f16 v1, v1, v4
	s_waitcnt lgkmcnt(0)
	v_pk_add_f16 v2, v2, v7
	s_mul_i32 s3, s2, s10
	v_pk_add_f16 v1, v1, v6
	v_pk_add_f16 v6, v2, v9
	v_or_b32_e32 v2, s3, v0
	v_mov_b32_e32 v3, 0
	v_lshlrev_b64 v[4:5], 1, v[2:3]
	v_mov_b32_e32 v2, s1
	v_add_co_u32_e32 v4, vcc, s0, v4
	s_add_i32 s3, s3, s2
	v_pk_add_f16 v1, v1, v8
	v_addc_co_u32_e32 v5, vcc, v2, v5, vcc
	v_or_b32_e32 v2, s3, v0
	global_store_short v[4:5], v1, off
	v_lshlrev_b64 v[4:5], 1, v[2:3]
	v_mov_b32_e32 v2, s1
	v_add_co_u32_e32 v4, vcc, s0, v4
	s_add_i32 s3, s3, s2
	v_addc_co_u32_e32 v5, vcc, v2, v5, vcc
	v_or_b32_e32 v2, s3, v0
	global_store_short_d16_hi v[4:5], v1, off
	v_lshlrev_b64 v[0:1], 1, v[2:3]
	v_mov_b32_e32 v2, s1
	v_add_co_u32_e32 v0, vcc, s0, v0
	v_addc_co_u32_e32 v1, vcc, v2, v1, vcc
	global_store_short v[0:1], v6, off
.LBB448_793:
	s_endpgm
	.section	.rodata,"a",@progbits
	.p2align	6, 0x0
	.amdhsa_kernel _Z38paged_attention_ll4mi_QKV_mfma4_kernelIDF16_hLN4vllm18Fp8KVCacheDataTypeE1EDF16_Li32ELi64ELi256ELb0ELi3EEvPKT_PKT0_S7_ifPKiS9_S9_iPKfiiiPfSC_PS2_PT2_iSB_SB_
		.amdhsa_group_segment_fixed_size 2720
		.amdhsa_private_segment_fixed_size 0
		.amdhsa_kernarg_size 400
		.amdhsa_user_sgpr_count 6
		.amdhsa_user_sgpr_private_segment_buffer 1
		.amdhsa_user_sgpr_dispatch_ptr 0
		.amdhsa_user_sgpr_queue_ptr 0
		.amdhsa_user_sgpr_kernarg_segment_ptr 1
		.amdhsa_user_sgpr_dispatch_id 0
		.amdhsa_user_sgpr_flat_scratch_init 0
		.amdhsa_user_sgpr_kernarg_preload_length 0
		.amdhsa_user_sgpr_kernarg_preload_offset 0
		.amdhsa_user_sgpr_private_segment_size 0
		.amdhsa_uses_dynamic_stack 0
		.amdhsa_system_sgpr_private_segment_wavefront_offset 0
		.amdhsa_system_sgpr_workgroup_id_x 1
		.amdhsa_system_sgpr_workgroup_id_y 1
		.amdhsa_system_sgpr_workgroup_id_z 1
		.amdhsa_system_sgpr_workgroup_info 0
		.amdhsa_system_vgpr_workitem_id 0
		.amdhsa_next_free_vgpr 60
		.amdhsa_next_free_sgpr 42
		.amdhsa_accum_offset 56
		.amdhsa_reserve_vcc 1
		.amdhsa_reserve_flat_scratch 0
		.amdhsa_float_round_mode_32 0
		.amdhsa_float_round_mode_16_64 0
		.amdhsa_float_denorm_mode_32 3
		.amdhsa_float_denorm_mode_16_64 3
		.amdhsa_dx10_clamp 1
		.amdhsa_ieee_mode 1
		.amdhsa_fp16_overflow 0
		.amdhsa_tg_split 0
		.amdhsa_exception_fp_ieee_invalid_op 0
		.amdhsa_exception_fp_denorm_src 0
		.amdhsa_exception_fp_ieee_div_zero 0
		.amdhsa_exception_fp_ieee_overflow 0
		.amdhsa_exception_fp_ieee_underflow 0
		.amdhsa_exception_fp_ieee_inexact 0
		.amdhsa_exception_int_div_zero 0
	.end_amdhsa_kernel
	.section	.text._Z38paged_attention_ll4mi_QKV_mfma4_kernelIDF16_hLN4vllm18Fp8KVCacheDataTypeE1EDF16_Li32ELi64ELi256ELb0ELi3EEvPKT_PKT0_S7_ifPKiS9_S9_iPKfiiiPfSC_PS2_PT2_iSB_SB_,"axG",@progbits,_Z38paged_attention_ll4mi_QKV_mfma4_kernelIDF16_hLN4vllm18Fp8KVCacheDataTypeE1EDF16_Li32ELi64ELi256ELb0ELi3EEvPKT_PKT0_S7_ifPKiS9_S9_iPKfiiiPfSC_PS2_PT2_iSB_SB_,comdat
.Lfunc_end448:
	.size	_Z38paged_attention_ll4mi_QKV_mfma4_kernelIDF16_hLN4vllm18Fp8KVCacheDataTypeE1EDF16_Li32ELi64ELi256ELb0ELi3EEvPKT_PKT0_S7_ifPKiS9_S9_iPKfiiiPfSC_PS2_PT2_iSB_SB_, .Lfunc_end448-_Z38paged_attention_ll4mi_QKV_mfma4_kernelIDF16_hLN4vllm18Fp8KVCacheDataTypeE1EDF16_Li32ELi64ELi256ELb0ELi3EEvPKT_PKT0_S7_ifPKiS9_S9_iPKfiiiPfSC_PS2_PT2_iSB_SB_
                                        ; -- End function
	.section	.AMDGPU.csdata,"",@progbits
; Kernel info:
; codeLenInByte = 27772
; NumSgprs: 46
; NumVgprs: 55
; NumAgprs: 4
; TotalNumVgprs: 60
; ScratchSize: 0
; MemoryBound: 0
; FloatMode: 240
; IeeeMode: 1
; LDSByteSize: 2720 bytes/workgroup (compile time only)
; SGPRBlocks: 5
; VGPRBlocks: 7
; NumSGPRsForWavesPerEU: 46
; NumVGPRsForWavesPerEU: 60
; AccumOffset: 56
; Occupancy: 8
; WaveLimiterHint : 1
; COMPUTE_PGM_RSRC2:SCRATCH_EN: 0
; COMPUTE_PGM_RSRC2:USER_SGPR: 6
; COMPUTE_PGM_RSRC2:TRAP_HANDLER: 0
; COMPUTE_PGM_RSRC2:TGID_X_EN: 1
; COMPUTE_PGM_RSRC2:TGID_Y_EN: 1
; COMPUTE_PGM_RSRC2:TGID_Z_EN: 1
; COMPUTE_PGM_RSRC2:TIDIG_COMP_CNT: 0
; COMPUTE_PGM_RSRC3_GFX90A:ACCUM_OFFSET: 13
; COMPUTE_PGM_RSRC3_GFX90A:TG_SPLIT: 0
	.section	.text._Z38paged_attention_ll4mi_QKV_mfma4_kernelIDF16_hLN4vllm18Fp8KVCacheDataTypeE1EDF16_Li32ELi64ELi256ELb0ELi4EEvPKT_PKT0_S7_ifPKiS9_S9_iPKfiiiPfSC_PS2_PT2_iSB_SB_,"axG",@progbits,_Z38paged_attention_ll4mi_QKV_mfma4_kernelIDF16_hLN4vllm18Fp8KVCacheDataTypeE1EDF16_Li32ELi64ELi256ELb0ELi4EEvPKT_PKT0_S7_ifPKiS9_S9_iPKfiiiPfSC_PS2_PT2_iSB_SB_,comdat
	.protected	_Z38paged_attention_ll4mi_QKV_mfma4_kernelIDF16_hLN4vllm18Fp8KVCacheDataTypeE1EDF16_Li32ELi64ELi256ELb0ELi4EEvPKT_PKT0_S7_ifPKiS9_S9_iPKfiiiPfSC_PS2_PT2_iSB_SB_ ; -- Begin function _Z38paged_attention_ll4mi_QKV_mfma4_kernelIDF16_hLN4vllm18Fp8KVCacheDataTypeE1EDF16_Li32ELi64ELi256ELb0ELi4EEvPKT_PKT0_S7_ifPKiS9_S9_iPKfiiiPfSC_PS2_PT2_iSB_SB_
	.globl	_Z38paged_attention_ll4mi_QKV_mfma4_kernelIDF16_hLN4vllm18Fp8KVCacheDataTypeE1EDF16_Li32ELi64ELi256ELb0ELi4EEvPKT_PKT0_S7_ifPKiS9_S9_iPKfiiiPfSC_PS2_PT2_iSB_SB_
	.p2align	8
	.type	_Z38paged_attention_ll4mi_QKV_mfma4_kernelIDF16_hLN4vllm18Fp8KVCacheDataTypeE1EDF16_Li32ELi64ELi256ELb0ELi4EEvPKT_PKT0_S7_ifPKiS9_S9_iPKfiiiPfSC_PS2_PT2_iSB_SB_,@function
_Z38paged_attention_ll4mi_QKV_mfma4_kernelIDF16_hLN4vllm18Fp8KVCacheDataTypeE1EDF16_Li32ELi64ELi256ELb0ELi4EEvPKT_PKT0_S7_ifPKiS9_S9_iPKfiiiPfSC_PS2_PT2_iSB_SB_: ; @_Z38paged_attention_ll4mi_QKV_mfma4_kernelIDF16_hLN4vllm18Fp8KVCacheDataTypeE1EDF16_Li32ELi64ELi256ELb0ELi4EEvPKT_PKT0_S7_ifPKiS9_S9_iPKfiiiPfSC_PS2_PT2_iSB_SB_
; %bb.0:
	s_load_dwordx2 s[2:3], s[4:5], 0x30
	s_mov_b32 s28, s7
	s_mov_b64 s[0:1], 0
	s_waitcnt lgkmcnt(0)
	s_cmp_lg_u64 s[2:3], 0
	s_cselect_b64 s[10:11], -1, 0
	s_and_b64 vcc, exec, s[10:11]
	s_cbranch_vccz .LBB449_788
; %bb.1:
	s_add_i32 s12, s6, 1
	s_mov_b32 s13, 0
	s_lshl_b64 s[14:15], s[12:13], 2
	s_add_u32 s14, s2, s14
	s_mov_b32 s7, s13
	s_addc_u32 s15, s3, s15
	s_lshl_b64 s[12:13], s[6:7], 2
	s_add_u32 s12, s2, s12
	s_addc_u32 s13, s3, s13
	s_load_dword s9, s[14:15], 0x0
	s_load_dword s16, s[12:13], 0x0
	s_mov_b64 s[38:39], s[6:7]
	s_waitcnt lgkmcnt(0)
	s_sub_i32 s9, s9, s16
	s_cmp_eq_u32 s9, 1
	s_cselect_b64 s[12:13], -1, 0
	s_andn2_b64 vcc, exec, s[0:1]
	s_cbranch_vccnz .LBB449_3
.LBB449_2:
	s_mov_b32 s7, 0
	s_mov_b64 s[12:13], -1
	s_mov_b64 s[38:39], s[6:7]
.LBB449_3:
	s_andn2_b64 vcc, exec, s[12:13]
	s_cbranch_vccnz .LBB449_787
; %bb.4:
	s_load_dword s7, s[4:5], 0x9c
	s_load_dwordx2 s[0:1], s[4:5], 0x28
	s_add_u32 s34, s4, 0x90
	s_addc_u32 s35, s5, 0
	s_lshl_b64 s[20:21], s[38:39], 2
	s_waitcnt lgkmcnt(0)
	s_and_b32 s9, s7, 0xffff
	s_add_u32 s0, s0, s20
	s_addc_u32 s1, s1, s21
	s_load_dword s7, s[0:1], 0x0
	s_mul_i32 s9, s28, s9
	s_waitcnt lgkmcnt(0)
	s_cmp_ge_i32 s9, s7
	s_cbranch_scc1 .LBB449_787
; %bb.5:
	v_and_b32_e32 v1, 0xc0, v0
	v_add_u32_e32 v4, s9, v1
	v_lshrrev_b32_e32 v42, 6, v0
	v_cmp_le_i32_e64 s[0:1], s7, v4
                                        ; implicit-def: $sgpr23
                                        ; implicit-def: $sgpr22
	s_and_saveexec_b64 s[12:13], s[0:1]
	s_xor_b64 s[12:13], exec, s[12:13]
	s_cbranch_execz .LBB449_7
; %bb.6:
	v_mul_u32_u24_e32 v1, 20, v42
	v_or_b32_e32 v1, 0xa00, v1
	v_mov_b32_e32 v2, 0xa50
	v_mov_b32_e32 v3, 0xff7fffff
	v_mad_u32_u24 v2, v42, 20, v2
	ds_write2_b32 v1, v3, v3 offset1:1
	v_mov_b32_e32 v1, 0
	ds_write2_b32 v2, v1, v1 offset1:1
	v_mov_b32_e32 v2, 0xa08
	v_mov_b32_e32 v4, 0xa58
	s_mov_b32 s22, 0xff7fffff
	s_mov_b32 s23, 0
	v_mad_u32_u24 v2, v42, 20, v2
	v_mad_u32_u24 v4, v42, 20, v4
	ds_write2_b32 v2, v3, v3 offset1:1
	ds_write2_b32 v4, v1, v1 offset1:1
                                        ; implicit-def: $vgpr4
.LBB449_7:
	s_or_saveexec_b64 s[36:37], s[12:13]
	s_load_dwordx2 s[30:31], s[4:5], 0x68
	s_load_dwordx4 s[16:19], s[4:5], 0x58
	s_load_dword s33, s[34:35], 0x4
	s_load_dwordx4 s[12:15], s[4:5], 0x80
	v_and_b32_e32 v1, 63, v0
	v_and_b32_e32 v43, 3, v0
	v_mov_b32_e32 v21, s23
	v_mov_b32_e32 v26, s22
	;; [unrolled: 1-line block ×5, first 2 shown]
                                        ; implicit-def: $vgpr14_vgpr15
                                        ; implicit-def: $vgpr10_vgpr11
                                        ; implicit-def: $vgpr6_vgpr7
                                        ; implicit-def: $vgpr2_vgpr3
	s_xor_b64 exec, exec, s[36:37]
	s_cbranch_execz .LBB449_397
; %bb.8:
	s_add_i32 s25, s7, 31
	s_ashr_i32 s26, s25, 31
	s_load_dwordx2 s[22:23], s[4:5], 0x20
	s_load_dword s24, s[4:5], 0x38
	s_lshr_b32 s26, s26, 27
	v_add_u32_e32 v44, s9, v0
	s_add_i32 s25, s25, s26
	v_ashrrev_i32_e32 v2, 31, v44
	s_ashr_i32 s25, s25, 5
	v_lshrrev_b32_e32 v2, 27, v2
	s_add_i32 s26, s25, -1
	v_add_u32_e32 v2, v44, v2
	v_ashrrev_i32_e32 v2, 5, v2
	v_mov_b32_e32 v3, s26
	v_cmp_gt_i32_e32 vcc, s7, v44
	s_waitcnt lgkmcnt(0)
	s_mul_i32 s40, s6, s24
	s_mov_b32 s41, 0
	v_cndmask_b32_e32 v2, v3, v2, vcc
	s_lshl_b64 s[24:25], s[40:41], 2
	v_ashrrev_i32_e32 v3, 31, v2
	s_add_u32 s22, s22, s24
	v_lshlrev_b64 v[2:3], 2, v[2:3]
	v_add_co_u32_e32 v6, vcc, s22, v2
	v_ashrrev_i32_e32 v2, 31, v4
	v_lshrrev_b32_e32 v2, 27, v2
	v_add_u32_e32 v2, v4, v2
	s_addc_u32 s23, s23, s25
	v_ashrrev_i32_e32 v4, 5, v2
	v_mov_b32_e32 v5, s23
	v_min_i32_e32 v2, s26, v4
	v_addc_co_u32_e32 v7, vcc, v5, v3, vcc
	v_ashrrev_i32_e32 v3, 31, v2
	v_lshlrev_b64 v[2:3], 2, v[2:3]
	v_add_co_u32_e32 v8, vcc, s22, v2
	v_add_u32_e32 v2, 1, v4
	v_min_i32_e32 v2, s26, v2
	v_addc_co_u32_e32 v9, vcc, v5, v3, vcc
	v_ashrrev_i32_e32 v3, 31, v2
	v_lshlrev_b64 v[2:3], 2, v[2:3]
	v_mov_b32_e32 v4, s23
	v_add_co_u32_e32 v10, vcc, s22, v2
	v_addc_co_u32_e32 v11, vcc, v4, v3, vcc
	global_load_dword v4, v[6:7], off
	global_load_dword v3, v[8:9], off
	;; [unrolled: 1-line block ×3, first 2 shown]
	s_load_dwordx4 s[24:27], s[4:5], 0x0
	s_load_dwordx2 s[42:43], s[4:5], 0x10
	s_andn2_b64 vcc, exec, s[10:11]
	s_cbranch_vccnz .LBB449_10
; %bb.9:
	s_add_u32 s2, s2, s20
	s_addc_u32 s3, s3, s21
	s_load_dword s40, s[2:3], 0x0
	s_waitcnt lgkmcnt(0)
	s_mov_b64 s[38:39], s[40:41]
.LBB449_10:
	s_load_dwordx4 s[20:23], s[4:5], 0x48
	v_lshrrev_b32_e32 v5, 2, v1
	v_lshlrev_b32_e32 v6, 3, v43
	v_add_lshl_u32 v5, v6, v5, 4
	v_mov_b32_e32 v39, 0
	s_waitcnt lgkmcnt(0)
	s_ashr_i32 s3, s20, 31
	s_mul_hi_u32 s9, s38, s20
	s_mul_i32 s3, s38, s3
	s_mul_i32 s10, s39, s20
	s_add_i32 s3, s9, s3
	s_mul_i32 s2, s38, s20
	s_add_i32 s3, s3, s10
	s_lshl_b64 s[2:3], s[2:3], 1
	s_add_u32 s9, s24, s2
	s_addc_u32 s10, s25, s3
	s_lshl_b32 s40, s8, 8
	s_lshl_b64 s[2:3], s[40:41], 1
	s_add_u32 s2, s9, s2
	s_addc_u32 s3, s10, s3
	s_mul_i32 s9, s8, s22
	global_load_dwordx4 v[18:21], v5, s[2:3]
	s_add_u32 s2, s9, s26
	s_addc_u32 s3, 0, s27
	v_pk_mov_b32 v[6:7], s[2:3], s[2:3] op_sel:[0,1]
	s_waitcnt vmcnt(3)
	v_mad_i64_i32 v[4:5], s[2:3], v4, s21, v[6:7]
	v_lshlrev_b32_e32 v6, 4, v0
	v_and_b32_e32 v6, 0x1f0, v6
	v_add_co_u32_e32 v4, vcc, v4, v6
	v_addc_co_u32_e32 v5, vcc, 0, v5, vcc
	global_load_dwordx4 v[34:37], v[4:5], off
	global_load_dwordx4 v[30:33], v[4:5], off offset:512
	global_load_dwordx4 v[26:29], v[4:5], off offset:1024
	;; [unrolled: 1-line block ×3, first 2 shown]
	s_add_u32 s2, s42, s9
	v_lshlrev_b32_e32 v4, 5, v1
	v_add_co_u32_e32 v6, vcc, s2, v4
	s_waitcnt vmcnt(6)
	v_mul_hi_i32 v4, v3, s21
	s_addc_u32 s3, s43, 0
	v_ashrrev_i32_e32 v4, 31, v4
	v_mov_b32_e32 v5, s3
	v_lshrrev_b32_e32 v38, 29, v4
	v_addc_co_u32_e32 v7, vcc, 0, v5, vcc
	v_mad_i64_i32 v[4:5], s[2:3], v3, s21, v[38:39]
	v_and_b32_e32 v3, -8, v4
	v_add_co_u32_e32 v4, vcc, v6, v3
	s_waitcnt vmcnt(5)
	v_mul_hi_i32 v3, v2, s21
	v_ashrrev_i32_e32 v3, 31, v3
	v_lshrrev_b32_e32 v38, 29, v3
	v_mad_i64_i32 v[2:3], s[2:3], v2, s21, v[38:39]
	v_addc_co_u32_e32 v5, vcc, v7, v5, vcc
	v_and_b32_e32 v2, -8, v2
	v_add_co_u32_e32 v40, vcc, v6, v2
	v_addc_co_u32_e32 v41, vcc, v7, v3, vcc
	global_load_dwordx4 v[10:13], v[4:5], off offset:16
	global_load_dwordx4 v[14:17], v[4:5], off
	s_nop 0
	global_load_dwordx4 v[2:5], v[40:41], off offset:16
	global_load_dwordx4 v[6:9], v[40:41], off
	v_mov_b32_e32 v45, 0
	s_waitcnt vmcnt(7)
	v_cmp_ne_u16_sdwa s[10:11], v34, v39 src0_sel:BYTE_0 src1_sel:DWORD
	s_and_saveexec_b64 s[2:3], s[10:11]
	s_cbranch_execz .LBB449_16
; %bb.11:
	s_movk_i32 s9, 0x80
	v_cmp_ne_u16_sdwa s[20:21], v34, s9 src0_sel:BYTE_0 src1_sel:DWORD
	v_bfrev_b32_e32 v45, 1
	s_and_saveexec_b64 s[10:11], s[20:21]
	s_cbranch_execz .LBB449_15
; %bb.12:
	s_movk_i32 s9, 0x7f
	v_and_b32_e32 v38, 0x7f, v34
	v_cmp_ne_u32_e32 vcc, s9, v38
	v_mov_b32_e32 v45, 0x7f800001
	s_and_saveexec_b64 s[20:21], vcc
	s_cbranch_execz .LBB449_14
; %bb.13:
	v_and_b32_e32 v40, 7, v34
	v_ffbh_u32_e32 v40, v40
	v_min_u32_e32 v40, 32, v40
	v_lshrrev_b32_e32 v41, 3, v38
	v_subrev_u32_e32 v45, 28, v40
	v_sub_u32_e32 v40, 29, v40
	v_cmp_gt_u32_e32 vcc, 8, v38
	v_cndmask_b32_e32 v38, v41, v40, vcc
	v_cndmask_b32_e32 v40, 0, v45, vcc
	v_lshlrev_b64 v[40:41], v40, v[34:35]
	v_lshlrev_b32_e32 v40, 20, v40
	v_lshlrev_b32_e32 v41, 24, v34
	v_bfrev_b32_e32 v45, 60
	v_and_b32_e32 v40, 0x700000, v40
	v_and_b32_e32 v41, 0x80000000, v41
	v_lshl_add_u32 v38, v38, 23, v45
	v_or3_b32 v45, v41, v38, v40
.LBB449_14:
	s_or_b64 exec, exec, s[20:21]
.LBB449_15:
	s_or_b64 exec, exec, s[10:11]
.LBB449_16:
	s_or_b64 exec, exec, s[2:3]
	v_lshrrev_b16_e32 v38, 8, v34
	v_cmp_ne_u16_e32 vcc, 0, v38
	s_and_saveexec_b64 s[2:3], vcc
	s_cbranch_execz .LBB449_22
; %bb.17:
	s_movk_i32 s9, 0x80
	v_cmp_ne_u16_sdwa s[20:21], v34, s9 src0_sel:BYTE_1 src1_sel:DWORD
	v_bfrev_b32_e32 v39, 1
	s_and_saveexec_b64 s[10:11], s[20:21]
	s_cbranch_execz .LBB449_21
; %bb.18:
	s_movk_i32 s9, 0x7f
	v_and_b32_e32 v40, 0x7f, v38
	v_cmp_ne_u32_e32 vcc, s9, v40
	v_mov_b32_e32 v39, 0x7f800001
	s_and_saveexec_b64 s[20:21], vcc
	s_cbranch_execz .LBB449_20
; %bb.19:
	v_and_b32_e32 v41, 7, v38
	v_ffbh_u32_e32 v39, v41
	v_min_u32_e32 v47, 32, v39
	v_subrev_u32_e32 v39, 28, v47
	v_lshlrev_b64 v[38:39], v39, v[38:39]
	v_lshrrev_b32_e32 v46, 3, v40
	v_sub_u32_e32 v39, 29, v47
	v_and_b32_e32 v38, 7, v38
	v_cmp_gt_u32_e32 vcc, 8, v40
	v_cndmask_b32_e32 v39, v46, v39, vcc
	v_cndmask_b32_e32 v38, v41, v38, vcc
	v_lshlrev_b32_e32 v40, 16, v34
	v_bfrev_b32_e32 v41, 60
	v_lshlrev_b32_e32 v38, 20, v38
	v_and_b32_e32 v40, 0x80000000, v40
	v_lshl_add_u32 v39, v39, 23, v41
	v_or3_b32 v39, v40, v39, v38
.LBB449_20:
	s_or_b64 exec, exec, s[20:21]
.LBB449_21:
	s_or_b64 exec, exec, s[10:11]
.LBB449_22:
	s_or_b64 exec, exec, s[2:3]
	s_movk_i32 s2, 0xff
	v_and_b32_sdwa v40, v34, s2 dst_sel:DWORD dst_unused:UNUSED_PAD src0_sel:WORD_1 src1_sel:DWORD
	v_lshrrev_b32_e32 v38, 16, v34
	v_cmp_ne_u16_e32 vcc, 0, v40
	v_mov_b32_e32 v46, 0
	v_mov_b32_e32 v47, 0
	s_and_saveexec_b64 s[2:3], vcc
	s_cbranch_execz .LBB449_28
; %bb.23:
	s_movk_i32 s9, 0x80
	v_cmp_ne_u16_e32 vcc, s9, v40
	v_bfrev_b32_e32 v47, 1
	s_and_saveexec_b64 s[10:11], vcc
	s_cbranch_execz .LBB449_27
; %bb.24:
	v_bfe_u32 v40, v34, 16, 7
	s_movk_i32 s9, 0x7f
	v_cmp_ne_u32_e32 vcc, s9, v40
	v_mov_b32_e32 v47, 0x7f800001
	s_and_saveexec_b64 s[20:21], vcc
	s_cbranch_execz .LBB449_26
; %bb.25:
	v_and_b32_e32 v41, 7, v38
	v_ffbh_u32_e32 v48, v41
	v_min_u32_e32 v50, 32, v48
	v_subrev_u32_e32 v48, 28, v50
	v_lshlrev_b64 v[48:49], v48, v[38:39]
	v_and_b32_e32 v48, 7, v48
	v_cmp_gt_u32_e32 vcc, 8, v40
	v_lshrrev_b32_e32 v47, 3, v40
	v_sub_u32_e32 v38, 29, v50
	v_cndmask_b32_e32 v40, v41, v48, vcc
	v_mov_b32_e32 v41, 24
	v_cndmask_b32_e32 v38, v47, v38, vcc
	v_lshlrev_b32_sdwa v41, v41, v34 dst_sel:DWORD dst_unused:UNUSED_PAD src0_sel:DWORD src1_sel:WORD_1
	v_bfrev_b32_e32 v47, 60
	v_lshlrev_b32_e32 v40, 20, v40
	v_and_b32_e32 v41, 0x80000000, v41
	v_lshl_add_u32 v38, v38, 23, v47
	v_or3_b32 v47, v41, v38, v40
.LBB449_26:
	s_or_b64 exec, exec, s[20:21]
.LBB449_27:
	s_or_b64 exec, exec, s[10:11]
.LBB449_28:
	s_or_b64 exec, exec, s[2:3]
	s_mov_b32 s2, 0xffffff
	v_cmp_lt_u32_e32 vcc, s2, v34
	s_and_saveexec_b64 s[2:3], vcc
	s_cbranch_execz .LBB449_34
; %bb.29:
	v_lshrrev_b32_e32 v38, 24, v34
	s_movk_i32 s9, 0x80
	v_cmp_ne_u32_e32 vcc, s9, v38
	v_bfrev_b32_e32 v46, 1
	s_and_saveexec_b64 s[10:11], vcc
	s_cbranch_execz .LBB449_33
; %bb.30:
	v_bfe_u32 v40, v34, 24, 7
	s_movk_i32 s9, 0x7f
	v_cmp_ne_u32_e32 vcc, s9, v40
	v_mov_b32_e32 v46, 0x7f800001
	s_and_saveexec_b64 s[20:21], vcc
	s_cbranch_execz .LBB449_32
; %bb.31:
	v_and_b32_e32 v41, 7, v38
	v_ffbh_u32_e32 v48, v41
	v_min_u32_e32 v50, 32, v48
	v_subrev_u32_e32 v48, 28, v50
	v_lshlrev_b64 v[48:49], v48, v[38:39]
	v_lshrrev_b32_e32 v46, 3, v40
	v_sub_u32_e32 v49, 29, v50
	v_and_b32_e32 v48, 7, v48
	v_cmp_gt_u32_e32 vcc, 8, v40
	v_cndmask_b32_e32 v40, v46, v49, vcc
	v_cndmask_b32_e32 v41, v41, v48, vcc
	v_lshlrev_b32_e32 v38, 24, v38
	v_bfrev_b32_e32 v46, 60
	v_lshlrev_b32_e32 v41, 20, v41
	v_and_b32_e32 v38, 0x80000000, v38
	v_lshl_add_u32 v40, v40, 23, v46
	v_or3_b32 v46, v38, v40, v41
.LBB449_32:
	s_or_b64 exec, exec, s[20:21]
.LBB449_33:
	s_or_b64 exec, exec, s[10:11]
.LBB449_34:
	s_or_b64 exec, exec, s[2:3]
	v_mov_b32_e32 v41, 0
	v_mov_b32_e32 v40, v35
	v_cmp_ne_u16_sdwa s[10:11], v35, v41 src0_sel:BYTE_0 src1_sel:DWORD
	v_mov_b32_e32 v48, v41
	s_and_saveexec_b64 s[2:3], s[10:11]
	s_cbranch_execz .LBB449_40
; %bb.35:
	s_movk_i32 s9, 0x80
	v_cmp_ne_u16_sdwa s[20:21], v35, s9 src0_sel:BYTE_0 src1_sel:DWORD
	v_bfrev_b32_e32 v48, 1
	s_and_saveexec_b64 s[10:11], s[20:21]
	s_cbranch_execz .LBB449_39
; %bb.36:
	s_movk_i32 s9, 0x7f
	v_and_b32_e32 v38, 0x7f, v35
	v_cmp_ne_u32_e32 vcc, s9, v38
	v_mov_b32_e32 v48, 0x7f800001
	s_and_saveexec_b64 s[20:21], vcc
	s_cbranch_execz .LBB449_38
; %bb.37:
	v_and_b32_e32 v48, 7, v35
	v_ffbh_u32_e32 v48, v48
	v_min_u32_e32 v48, 32, v48
	v_lshrrev_b32_e32 v49, 3, v38
	v_subrev_u32_e32 v50, 28, v48
	v_sub_u32_e32 v48, 29, v48
	v_cmp_gt_u32_e32 vcc, 8, v38
	v_cndmask_b32_e32 v38, v49, v48, vcc
	v_cndmask_b32_e32 v48, 0, v50, vcc
	v_lshlrev_b64 v[48:49], v48, v[40:41]
	v_lshlrev_b32_e32 v48, 20, v48
	v_lshlrev_b32_e32 v49, 24, v40
	v_bfrev_b32_e32 v50, 60
	v_and_b32_e32 v48, 0x700000, v48
	v_and_b32_e32 v49, 0x80000000, v49
	v_lshl_add_u32 v38, v38, 23, v50
	v_or3_b32 v48, v49, v38, v48
.LBB449_38:
	s_or_b64 exec, exec, s[20:21]
.LBB449_39:
	s_or_b64 exec, exec, s[10:11]
.LBB449_40:
	s_or_b64 exec, exec, s[2:3]
	v_lshrrev_b16_e32 v38, 8, v40
	v_cmp_ne_u16_e32 vcc, 0, v38
	s_and_saveexec_b64 s[2:3], vcc
	s_cbranch_execz .LBB449_46
; %bb.41:
	s_movk_i32 s9, 0x80
	v_cmp_ne_u16_e32 vcc, s9, v38
	v_bfrev_b32_e32 v41, 1
	s_and_saveexec_b64 s[10:11], vcc
	s_cbranch_execz .LBB449_45
; %bb.42:
	s_movk_i32 s9, 0x7f
	v_and_b32_e32 v49, 0x7f, v38
	v_cmp_ne_u32_e32 vcc, s9, v49
	v_mov_b32_e32 v41, 0x7f800001
	s_and_saveexec_b64 s[20:21], vcc
	s_cbranch_execz .LBB449_44
; %bb.43:
	v_and_b32_e32 v41, 7, v38
	v_ffbh_u32_e32 v50, v41
	v_min_u32_e32 v53, 32, v50
	v_subrev_u32_e32 v50, 28, v53
	v_lshlrev_b64 v[50:51], v50, v[38:39]
	v_lshrrev_b32_e32 v52, 3, v49
	v_sub_u32_e32 v38, 29, v53
	v_and_b32_e32 v50, 7, v50
	v_cmp_gt_u32_e32 vcc, 8, v49
	v_cndmask_b32_e32 v38, v52, v38, vcc
	v_cndmask_b32_e32 v41, v41, v50, vcc
	v_lshlrev_b32_e32 v40, 16, v40
	v_bfrev_b32_e32 v49, 60
	v_lshlrev_b32_e32 v41, 20, v41
	v_and_b32_e32 v40, 0x80000000, v40
	v_lshl_add_u32 v38, v38, 23, v49
	v_or3_b32 v41, v40, v38, v41
.LBB449_44:
	s_or_b64 exec, exec, s[20:21]
.LBB449_45:
	s_or_b64 exec, exec, s[10:11]
.LBB449_46:
	s_or_b64 exec, exec, s[2:3]
	s_movk_i32 s2, 0xff
	v_and_b32_sdwa v50, v35, s2 dst_sel:DWORD dst_unused:UNUSED_PAD src0_sel:WORD_1 src1_sel:DWORD
	v_lshrrev_b32_e32 v38, 16, v35
	v_cmp_ne_u16_e32 vcc, 0, v50
	v_mov_b32_e32 v40, 0
	v_mov_b32_e32 v49, 0
	s_and_saveexec_b64 s[2:3], vcc
	s_cbranch_execz .LBB449_52
; %bb.47:
	s_movk_i32 s9, 0x80
	v_cmp_ne_u16_e32 vcc, s9, v50
	v_bfrev_b32_e32 v49, 1
	s_and_saveexec_b64 s[10:11], vcc
	s_cbranch_execz .LBB449_51
; %bb.48:
	v_bfe_u32 v50, v35, 16, 7
	s_movk_i32 s9, 0x7f
	v_cmp_ne_u32_e32 vcc, s9, v50
	v_mov_b32_e32 v49, 0x7f800001
	s_and_saveexec_b64 s[20:21], vcc
	s_cbranch_execz .LBB449_50
; %bb.49:
	v_and_b32_e32 v49, 7, v38
	v_ffbh_u32_e32 v52, v49
	v_min_u32_e32 v54, 32, v52
	v_subrev_u32_e32 v52, 28, v54
	v_lshlrev_b64 v[52:53], v52, v[38:39]
	v_lshrrev_b32_e32 v51, 3, v50
	v_sub_u32_e32 v38, 29, v54
	v_and_b32_e32 v52, 7, v52
	v_cmp_gt_u32_e32 vcc, 8, v50
	v_mov_b32_e32 v50, 24
	v_cndmask_b32_e32 v38, v51, v38, vcc
	v_cndmask_b32_e32 v49, v49, v52, vcc
	v_lshlrev_b32_sdwa v50, v50, v35 dst_sel:DWORD dst_unused:UNUSED_PAD src0_sel:DWORD src1_sel:WORD_1
	v_bfrev_b32_e32 v51, 60
	v_lshlrev_b32_e32 v49, 20, v49
	v_and_b32_e32 v50, 0x80000000, v50
	v_lshl_add_u32 v38, v38, 23, v51
	v_or3_b32 v49, v50, v38, v49
.LBB449_50:
	s_or_b64 exec, exec, s[20:21]
.LBB449_51:
	s_or_b64 exec, exec, s[10:11]
.LBB449_52:
	s_or_b64 exec, exec, s[2:3]
	s_mov_b32 s2, -1
	s_mov_b32 s3, 0xffffff
	v_cmp_lt_u64_e32 vcc, s[2:3], v[34:35]
	s_and_saveexec_b64 s[2:3], vcc
	s_cbranch_execz .LBB449_58
; %bb.53:
	v_lshrrev_b32_e32 v34, 24, v35
	s_movk_i32 s9, 0x80
	v_cmp_ne_u32_e32 vcc, s9, v34
	v_bfrev_b32_e32 v40, 1
	s_and_saveexec_b64 s[10:11], vcc
	s_cbranch_execz .LBB449_57
; %bb.54:
	v_bfe_u32 v35, v35, 24, 7
	s_movk_i32 s9, 0x7f
	v_cmp_ne_u32_e32 vcc, s9, v35
	v_mov_b32_e32 v40, 0x7f800001
	s_and_saveexec_b64 s[20:21], vcc
	s_cbranch_execz .LBB449_56
; %bb.55:
	v_and_b32_e32 v38, 7, v34
	v_ffbh_u32_e32 v50, v38
	v_min_u32_e32 v52, 32, v50
	v_subrev_u32_e32 v50, 28, v52
	v_lshlrev_b64 v[50:51], v50, v[34:35]
	v_lshrrev_b32_e32 v40, 3, v35
	v_sub_u32_e32 v51, 29, v52
	v_and_b32_e32 v50, 7, v50
	v_cmp_gt_u32_e32 vcc, 8, v35
	v_cndmask_b32_e32 v35, v40, v51, vcc
	v_cndmask_b32_e32 v38, v38, v50, vcc
	v_lshlrev_b32_e32 v34, 24, v34
	v_bfrev_b32_e32 v40, 60
	v_lshlrev_b32_e32 v38, 20, v38
	v_and_b32_e32 v34, 0x80000000, v34
	v_lshl_add_u32 v35, v35, 23, v40
	v_or3_b32 v40, v34, v35, v38
.LBB449_56:
	s_or_b64 exec, exec, s[20:21]
.LBB449_57:
	s_or_b64 exec, exec, s[10:11]
.LBB449_58:
	s_or_b64 exec, exec, s[2:3]
	v_cvt_pkrtz_f16_f32 v34, v45, v39
	v_cvt_pkrtz_f16_f32 v35, v47, v46
	;; [unrolled: 1-line block ×4, first 2 shown]
	v_mfma_f32_4x4x4f16 a[0:3], v[18:19], v[34:35], 0 cbsz:4
	v_mov_b32_e32 v40, 0
	v_mfma_f32_4x4x4f16 a[0:3], v[20:21], v[46:47], a[0:3] cbsz:4
	v_mov_b32_e32 v39, 0
	v_cmp_ne_u16_sdwa s[10:11], v36, v40 src0_sel:BYTE_0 src1_sel:DWORD
	s_and_saveexec_b64 s[2:3], s[10:11]
	s_cbranch_execz .LBB449_64
; %bb.59:
	s_movk_i32 s9, 0x80
	v_cmp_ne_u16_sdwa s[20:21], v36, s9 src0_sel:BYTE_0 src1_sel:DWORD
	v_bfrev_b32_e32 v39, 1
	s_and_saveexec_b64 s[10:11], s[20:21]
	s_cbranch_execz .LBB449_63
; %bb.60:
	s_movk_i32 s9, 0x7f
	v_and_b32_e32 v34, 0x7f, v36
	v_cmp_ne_u32_e32 vcc, s9, v34
	v_mov_b32_e32 v39, 0x7f800001
	s_and_saveexec_b64 s[20:21], vcc
	s_cbranch_execz .LBB449_62
; %bb.61:
	v_and_b32_e32 v35, 7, v36
	v_ffbh_u32_e32 v35, v35
	v_min_u32_e32 v35, 32, v35
	v_subrev_u32_e32 v39, 28, v35
	v_cmp_gt_u32_e32 vcc, 8, v34
	v_lshrrev_b32_e32 v38, 3, v34
	v_sub_u32_e32 v35, 29, v35
	v_cndmask_b32_e32 v34, 0, v39, vcc
	v_cndmask_b32_e32 v38, v38, v35, vcc
	v_lshlrev_b64 v[34:35], v34, v[36:37]
	v_lshlrev_b32_e32 v34, 20, v34
	v_lshlrev_b32_e32 v35, 24, v36
	v_bfrev_b32_e32 v39, 60
	v_and_b32_e32 v34, 0x700000, v34
	v_and_b32_e32 v35, 0x80000000, v35
	v_lshl_add_u32 v38, v38, 23, v39
	v_or3_b32 v39, v35, v38, v34
.LBB449_62:
	s_or_b64 exec, exec, s[20:21]
.LBB449_63:
	s_or_b64 exec, exec, s[10:11]
.LBB449_64:
	s_or_b64 exec, exec, s[2:3]
	v_lshrrev_b16_e32 v34, 8, v36
	v_cmp_ne_u16_e32 vcc, 0, v34
	v_mov_b32_e32 v41, 0
	s_and_saveexec_b64 s[2:3], vcc
	s_cbranch_execz .LBB449_70
; %bb.65:
	s_movk_i32 s9, 0x80
	v_cmp_ne_u16_e32 vcc, s9, v34
	v_bfrev_b32_e32 v41, 1
	s_and_saveexec_b64 s[10:11], vcc
	s_cbranch_execz .LBB449_69
; %bb.66:
	s_movk_i32 s9, 0x7f
	v_and_b32_e32 v35, 0x7f, v34
	v_cmp_ne_u32_e32 vcc, s9, v35
	v_mov_b32_e32 v41, 0x7f800001
	s_and_saveexec_b64 s[20:21], vcc
	s_cbranch_execz .LBB449_68
; %bb.67:
	v_and_b32_e32 v38, 7, v34
	v_ffbh_u32_e32 v45, v38
	v_min_u32_e32 v45, 32, v45
	v_subrev_u32_e32 v46, 28, v45
	v_lshlrev_b64 v[46:47], v46, v[34:35]
	v_lshrrev_b32_e32 v41, 3, v35
	v_sub_u32_e32 v34, 29, v45
	v_and_b32_e32 v45, 7, v46
	v_cmp_gt_u32_e32 vcc, 8, v35
	v_cndmask_b32_e32 v34, v41, v34, vcc
	v_cndmask_b32_e32 v35, v38, v45, vcc
	v_lshlrev_b32_e32 v38, 16, v36
	v_bfrev_b32_e32 v41, 60
	v_lshlrev_b32_e32 v35, 20, v35
	v_and_b32_e32 v38, 0x80000000, v38
	v_lshl_add_u32 v34, v34, 23, v41
	v_or3_b32 v41, v38, v34, v35
.LBB449_68:
	s_or_b64 exec, exec, s[20:21]
.LBB449_69:
	s_or_b64 exec, exec, s[10:11]
.LBB449_70:
	s_or_b64 exec, exec, s[2:3]
	s_movk_i32 s2, 0xff
	v_and_b32_sdwa v35, v36, s2 dst_sel:DWORD dst_unused:UNUSED_PAD src0_sel:WORD_1 src1_sel:DWORD
	v_lshrrev_b32_e32 v34, 16, v36
	v_cmp_ne_u16_e32 vcc, 0, v35
	s_and_saveexec_b64 s[2:3], vcc
	s_cbranch_execz .LBB449_76
; %bb.71:
	s_movk_i32 s9, 0x80
	v_cmp_ne_u16_e32 vcc, s9, v35
	v_bfrev_b32_e32 v40, 1
	s_and_saveexec_b64 s[10:11], vcc
	s_cbranch_execz .LBB449_75
; %bb.72:
	v_bfe_u32 v35, v36, 16, 7
	s_movk_i32 s9, 0x7f
	v_cmp_ne_u32_e32 vcc, s9, v35
	v_mov_b32_e32 v40, 0x7f800001
	s_and_saveexec_b64 s[20:21], vcc
	s_cbranch_execz .LBB449_74
; %bb.73:
	v_and_b32_e32 v38, 7, v34
	v_ffbh_u32_e32 v45, v38
	v_min_u32_e32 v45, 32, v45
	v_subrev_u32_e32 v46, 28, v45
	v_lshlrev_b64 v[46:47], v46, v[34:35]
	v_sub_u32_e32 v34, 29, v45
	v_and_b32_e32 v45, 7, v46
	v_cmp_gt_u32_e32 vcc, 8, v35
	v_lshrrev_b32_e32 v40, 3, v35
	v_cndmask_b32_e32 v35, v38, v45, vcc
	v_mov_b32_e32 v38, 24
	v_cndmask_b32_e32 v34, v40, v34, vcc
	v_lshlrev_b32_sdwa v38, v38, v36 dst_sel:DWORD dst_unused:UNUSED_PAD src0_sel:DWORD src1_sel:WORD_1
	v_bfrev_b32_e32 v40, 60
	v_lshlrev_b32_e32 v35, 20, v35
	v_and_b32_e32 v38, 0x80000000, v38
	v_lshl_add_u32 v34, v34, 23, v40
	v_or3_b32 v40, v38, v34, v35
.LBB449_74:
	s_or_b64 exec, exec, s[20:21]
.LBB449_75:
	s_or_b64 exec, exec, s[10:11]
.LBB449_76:
	s_or_b64 exec, exec, s[2:3]
	s_mov_b32 s2, 0xffffff
	v_cmp_lt_u32_e32 vcc, s2, v36
	v_mov_b32_e32 v35, 0
	v_mov_b32_e32 v45, 0
	s_and_saveexec_b64 s[2:3], vcc
	s_cbranch_execz .LBB449_82
; %bb.77:
	v_lshrrev_b32_e32 v34, 24, v36
	s_movk_i32 s9, 0x80
	v_cmp_ne_u32_e32 vcc, s9, v34
	v_bfrev_b32_e32 v45, 1
	s_and_saveexec_b64 s[10:11], vcc
	s_cbranch_execz .LBB449_81
; %bb.78:
	v_bfe_u32 v38, v36, 24, 7
	s_movk_i32 s9, 0x7f
	v_cmp_ne_u32_e32 vcc, s9, v38
	v_mov_b32_e32 v45, 0x7f800001
	s_and_saveexec_b64 s[20:21], vcc
	s_cbranch_execz .LBB449_80
; %bb.79:
	v_and_b32_e32 v45, 7, v34
	v_ffbh_u32_e32 v46, v45
	v_min_u32_e32 v49, 32, v46
	v_subrev_u32_e32 v46, 28, v49
	v_lshlrev_b64 v[46:47], v46, v[34:35]
	v_lshrrev_b32_e32 v48, 3, v38
	v_sub_u32_e32 v47, 29, v49
	v_and_b32_e32 v46, 7, v46
	v_cmp_gt_u32_e32 vcc, 8, v38
	v_cndmask_b32_e32 v38, v48, v47, vcc
	v_cndmask_b32_e32 v45, v45, v46, vcc
	v_lshlrev_b32_e32 v34, 24, v34
	v_bfrev_b32_e32 v46, 60
	v_lshlrev_b32_e32 v45, 20, v45
	v_and_b32_e32 v34, 0x80000000, v34
	v_lshl_add_u32 v38, v38, 23, v46
	v_or3_b32 v45, v34, v38, v45
.LBB449_80:
	s_or_b64 exec, exec, s[20:21]
.LBB449_81:
	s_or_b64 exec, exec, s[10:11]
.LBB449_82:
	s_or_b64 exec, exec, s[2:3]
	v_mov_b32_e32 v34, v37
	v_cmp_ne_u16_sdwa s[10:11], v37, v35 src0_sel:BYTE_0 src1_sel:DWORD
	s_and_saveexec_b64 s[2:3], s[10:11]
	s_cbranch_execz .LBB449_88
; %bb.83:
	s_movk_i32 s9, 0x80
	v_cmp_ne_u16_sdwa s[20:21], v37, s9 src0_sel:BYTE_0 src1_sel:DWORD
	v_bfrev_b32_e32 v38, 1
	s_and_saveexec_b64 s[10:11], s[20:21]
	s_cbranch_execz .LBB449_87
; %bb.84:
	s_movk_i32 s9, 0x7f
	v_and_b32_e32 v46, 0x7f, v37
	v_cmp_ne_u32_e32 vcc, s9, v46
	v_mov_b32_e32 v38, 0x7f800001
	s_and_saveexec_b64 s[20:21], vcc
	s_cbranch_execz .LBB449_86
; %bb.85:
	v_and_b32_e32 v38, 7, v37
	v_ffbh_u32_e32 v38, v38
	v_min_u32_e32 v38, 32, v38
	v_subrev_u32_e32 v48, 28, v38
	v_cmp_gt_u32_e32 vcc, 8, v46
	v_lshrrev_b32_e32 v47, 3, v46
	v_sub_u32_e32 v38, 29, v38
	v_cndmask_b32_e32 v46, 0, v48, vcc
	v_cndmask_b32_e32 v38, v47, v38, vcc
	v_lshlrev_b64 v[46:47], v46, v[34:35]
	v_lshlrev_b32_e32 v35, 20, v46
	v_lshlrev_b32_e32 v46, 24, v34
	v_bfrev_b32_e32 v47, 60
	v_and_b32_e32 v35, 0x700000, v35
	v_and_b32_e32 v46, 0x80000000, v46
	v_lshl_add_u32 v38, v38, 23, v47
	v_or3_b32 v38, v46, v38, v35
.LBB449_86:
	s_or_b64 exec, exec, s[20:21]
.LBB449_87:
	s_or_b64 exec, exec, s[10:11]
	v_mov_b32_e32 v35, v38
.LBB449_88:
	s_or_b64 exec, exec, s[2:3]
	v_lshrrev_b16_e32 v38, 8, v34
	v_cmp_ne_u16_e32 vcc, 0, v38
	v_mov_b32_e32 v46, 0
	v_mov_b32_e32 v47, 0
	s_and_saveexec_b64 s[2:3], vcc
	s_cbranch_execz .LBB449_94
; %bb.89:
	s_movk_i32 s9, 0x80
	v_cmp_ne_u16_e32 vcc, s9, v38
	v_bfrev_b32_e32 v47, 1
	s_and_saveexec_b64 s[10:11], vcc
	s_cbranch_execz .LBB449_93
; %bb.90:
	s_movk_i32 s9, 0x7f
	v_and_b32_e32 v48, 0x7f, v38
	v_cmp_ne_u32_e32 vcc, s9, v48
	v_mov_b32_e32 v47, 0x7f800001
	s_and_saveexec_b64 s[20:21], vcc
	s_cbranch_execz .LBB449_92
; %bb.91:
	v_and_b32_e32 v47, 7, v38
	v_ffbh_u32_e32 v50, v47
	v_min_u32_e32 v52, 32, v50
	v_subrev_u32_e32 v50, 28, v52
	v_lshlrev_b64 v[50:51], v50, v[38:39]
	v_lshrrev_b32_e32 v49, 3, v48
	v_sub_u32_e32 v38, 29, v52
	v_and_b32_e32 v50, 7, v50
	v_cmp_gt_u32_e32 vcc, 8, v48
	v_cndmask_b32_e32 v38, v49, v38, vcc
	v_cndmask_b32_e32 v47, v47, v50, vcc
	v_lshlrev_b32_e32 v34, 16, v34
	v_bfrev_b32_e32 v48, 60
	v_lshlrev_b32_e32 v47, 20, v47
	v_and_b32_e32 v34, 0x80000000, v34
	v_lshl_add_u32 v38, v38, 23, v48
	v_or3_b32 v47, v34, v38, v47
.LBB449_92:
	s_or_b64 exec, exec, s[20:21]
.LBB449_93:
	s_or_b64 exec, exec, s[10:11]
.LBB449_94:
	s_or_b64 exec, exec, s[2:3]
	s_movk_i32 s2, 0xff
	v_and_b32_sdwa v38, v37, s2 dst_sel:DWORD dst_unused:UNUSED_PAD src0_sel:WORD_1 src1_sel:DWORD
	v_lshrrev_b32_e32 v34, 16, v37
	v_cmp_ne_u16_e32 vcc, 0, v38
	s_and_saveexec_b64 s[2:3], vcc
	s_cbranch_execz .LBB449_100
; %bb.95:
	s_movk_i32 s9, 0x80
	v_cmp_ne_u16_e32 vcc, s9, v38
	v_bfrev_b32_e32 v46, 1
	s_and_saveexec_b64 s[10:11], vcc
	s_cbranch_execz .LBB449_99
; %bb.96:
	v_bfe_u32 v38, v37, 16, 7
	s_movk_i32 s9, 0x7f
	v_cmp_ne_u32_e32 vcc, s9, v38
	v_mov_b32_e32 v46, 0x7f800001
	s_and_saveexec_b64 s[20:21], vcc
	s_cbranch_execz .LBB449_98
; %bb.97:
	v_and_b32_e32 v46, 7, v34
	v_ffbh_u32_e32 v48, v46
	v_min_u32_e32 v51, 32, v48
	v_subrev_u32_e32 v48, 28, v51
	v_lshlrev_b64 v[48:49], v48, v[34:35]
	v_and_b32_e32 v48, 7, v48
	v_cmp_gt_u32_e32 vcc, 8, v38
	v_lshrrev_b32_e32 v50, 3, v38
	v_sub_u32_e32 v34, 29, v51
	v_cndmask_b32_e32 v38, v46, v48, vcc
	v_mov_b32_e32 v46, 24
	v_cndmask_b32_e32 v34, v50, v34, vcc
	v_lshlrev_b32_sdwa v46, v46, v37 dst_sel:DWORD dst_unused:UNUSED_PAD src0_sel:DWORD src1_sel:WORD_1
	v_bfrev_b32_e32 v48, 60
	v_lshlrev_b32_e32 v38, 20, v38
	v_and_b32_e32 v46, 0x80000000, v46
	v_lshl_add_u32 v34, v34, 23, v48
	v_or3_b32 v46, v46, v34, v38
.LBB449_98:
	s_or_b64 exec, exec, s[20:21]
.LBB449_99:
	s_or_b64 exec, exec, s[10:11]
.LBB449_100:
	s_or_b64 exec, exec, s[2:3]
	s_mov_b32 s2, -1
	s_mov_b32 s3, 0xffffff
	v_cmp_lt_u64_e32 vcc, s[2:3], v[36:37]
	v_mov_b32_e32 v38, 0
	v_mov_b32_e32 v36, 0
	s_and_saveexec_b64 s[2:3], vcc
	s_cbranch_execz .LBB449_106
; %bb.101:
	v_lshrrev_b32_e32 v34, 24, v37
	s_movk_i32 s9, 0x80
	v_cmp_ne_u32_e32 vcc, s9, v34
	v_bfrev_b32_e32 v36, 1
	s_and_saveexec_b64 s[10:11], vcc
	s_cbranch_execz .LBB449_105
; %bb.102:
	v_bfe_u32 v37, v37, 24, 7
	s_movk_i32 s9, 0x7f
	v_cmp_ne_u32_e32 vcc, s9, v37
	v_mov_b32_e32 v36, 0x7f800001
	s_and_saveexec_b64 s[20:21], vcc
	s_cbranch_execz .LBB449_104
; %bb.103:
	v_and_b32_e32 v36, 7, v34
	v_ffbh_u32_e32 v48, v36
	v_min_u32_e32 v51, 32, v48
	v_subrev_u32_e32 v48, 28, v51
	v_lshlrev_b64 v[48:49], v48, v[34:35]
	v_lshrrev_b32_e32 v50, 3, v37
	v_sub_u32_e32 v49, 29, v51
	v_and_b32_e32 v48, 7, v48
	v_cmp_gt_u32_e32 vcc, 8, v37
	v_cndmask_b32_e32 v37, v50, v49, vcc
	v_cndmask_b32_e32 v36, v36, v48, vcc
	v_lshlrev_b32_e32 v34, 24, v34
	v_bfrev_b32_e32 v48, 60
	v_lshlrev_b32_e32 v36, 20, v36
	v_and_b32_e32 v34, 0x80000000, v34
	v_lshl_add_u32 v37, v37, 23, v48
	v_or3_b32 v36, v34, v37, v36
.LBB449_104:
	s_or_b64 exec, exec, s[20:21]
.LBB449_105:
	s_or_b64 exec, exec, s[10:11]
.LBB449_106:
	s_or_b64 exec, exec, s[2:3]
	v_cvt_pkrtz_f16_f32 v48, v39, v41
	v_cvt_pkrtz_f16_f32 v49, v40, v45
	;; [unrolled: 1-line block ×4, first 2 shown]
	v_mfma_f32_4x4x4f16 a[0:3], v[18:19], v[48:49], a[0:3] cbsz:4 abid:1
	s_waitcnt vmcnt(6)
	v_cmp_ne_u16_sdwa s[10:11], v30, v38 src0_sel:BYTE_0 src1_sel:DWORD
	v_mfma_f32_4x4x4f16 a[0:3], v[20:21], v[34:35], a[0:3] cbsz:4 abid:1
	s_and_saveexec_b64 s[2:3], s[10:11]
	s_cbranch_execz .LBB449_112
; %bb.107:
	s_movk_i32 s9, 0x80
	v_cmp_ne_u16_sdwa s[20:21], v30, s9 src0_sel:BYTE_0 src1_sel:DWORD
	v_bfrev_b32_e32 v38, 1
	s_and_saveexec_b64 s[10:11], s[20:21]
	s_cbranch_execz .LBB449_111
; %bb.108:
	s_movk_i32 s9, 0x7f
	v_and_b32_e32 v34, 0x7f, v30
	v_cmp_ne_u32_e32 vcc, s9, v34
	v_mov_b32_e32 v38, 0x7f800001
	s_and_saveexec_b64 s[20:21], vcc
	s_cbranch_execz .LBB449_110
; %bb.109:
	v_and_b32_e32 v35, 7, v30
	v_ffbh_u32_e32 v35, v35
	v_min_u32_e32 v35, 32, v35
	v_subrev_u32_e32 v37, 28, v35
	v_cmp_gt_u32_e32 vcc, 8, v34
	v_lshrrev_b32_e32 v36, 3, v34
	v_sub_u32_e32 v35, 29, v35
	v_cndmask_b32_e32 v34, 0, v37, vcc
	v_cndmask_b32_e32 v36, v36, v35, vcc
	v_lshlrev_b64 v[34:35], v34, v[30:31]
	v_lshlrev_b32_e32 v34, 20, v34
	v_lshlrev_b32_e32 v35, 24, v30
	v_bfrev_b32_e32 v37, 60
	v_and_b32_e32 v34, 0x700000, v34
	v_and_b32_e32 v35, 0x80000000, v35
	v_lshl_add_u32 v36, v36, 23, v37
	v_or3_b32 v38, v35, v36, v34
.LBB449_110:
	s_or_b64 exec, exec, s[20:21]
.LBB449_111:
	s_or_b64 exec, exec, s[10:11]
.LBB449_112:
	s_or_b64 exec, exec, s[2:3]
	v_lshrrev_b16_e32 v34, 8, v30
	v_cmp_ne_u16_e32 vcc, 0, v34
	v_mov_b32_e32 v37, 0
	v_mov_b32_e32 v39, 0
	s_and_saveexec_b64 s[2:3], vcc
	s_cbranch_execz .LBB449_118
; %bb.113:
	s_movk_i32 s9, 0x80
	v_cmp_ne_u16_e32 vcc, s9, v34
	v_bfrev_b32_e32 v39, 1
	s_and_saveexec_b64 s[10:11], vcc
	s_cbranch_execz .LBB449_117
; %bb.114:
	s_movk_i32 s9, 0x7f
	v_and_b32_e32 v35, 0x7f, v34
	v_cmp_ne_u32_e32 vcc, s9, v35
	v_mov_b32_e32 v39, 0x7f800001
	s_and_saveexec_b64 s[20:21], vcc
	s_cbranch_execz .LBB449_116
; %bb.115:
	v_and_b32_e32 v36, 7, v34
	v_ffbh_u32_e32 v40, v36
	v_min_u32_e32 v45, 32, v40
	v_subrev_u32_e32 v40, 28, v45
	v_lshlrev_b64 v[40:41], v40, v[34:35]
	v_lshrrev_b32_e32 v39, 3, v35
	v_sub_u32_e32 v34, 29, v45
	v_and_b32_e32 v40, 7, v40
	v_cmp_gt_u32_e32 vcc, 8, v35
	v_cndmask_b32_e32 v34, v39, v34, vcc
	v_cndmask_b32_e32 v35, v36, v40, vcc
	v_lshlrev_b32_e32 v36, 16, v30
	v_bfrev_b32_e32 v39, 60
	v_lshlrev_b32_e32 v35, 20, v35
	v_and_b32_e32 v36, 0x80000000, v36
	v_lshl_add_u32 v34, v34, 23, v39
	v_or3_b32 v39, v36, v34, v35
.LBB449_116:
	s_or_b64 exec, exec, s[20:21]
.LBB449_117:
	s_or_b64 exec, exec, s[10:11]
.LBB449_118:
	s_or_b64 exec, exec, s[2:3]
	s_movk_i32 s2, 0xff
	v_and_b32_sdwa v35, v30, s2 dst_sel:DWORD dst_unused:UNUSED_PAD src0_sel:WORD_1 src1_sel:DWORD
	v_lshrrev_b32_e32 v34, 16, v30
	v_cmp_ne_u16_e32 vcc, 0, v35
	s_and_saveexec_b64 s[2:3], vcc
	s_cbranch_execz .LBB449_124
; %bb.119:
	s_movk_i32 s9, 0x80
	v_cmp_ne_u16_e32 vcc, s9, v35
	v_bfrev_b32_e32 v37, 1
	s_and_saveexec_b64 s[10:11], vcc
	s_cbranch_execz .LBB449_123
; %bb.120:
	v_bfe_u32 v35, v30, 16, 7
	s_movk_i32 s9, 0x7f
	v_cmp_ne_u32_e32 vcc, s9, v35
	v_mov_b32_e32 v37, 0x7f800001
	s_and_saveexec_b64 s[20:21], vcc
	s_cbranch_execz .LBB449_122
; %bb.121:
	v_and_b32_e32 v40, 7, v34
	v_ffbh_u32_e32 v36, v40
	v_min_u32_e32 v45, 32, v36
	v_subrev_u32_e32 v36, 28, v45
	v_lshlrev_b64 v[36:37], v36, v[34:35]
	v_and_b32_e32 v36, 7, v36
	v_cmp_gt_u32_e32 vcc, 8, v35
	v_lshrrev_b32_e32 v41, 3, v35
	v_sub_u32_e32 v34, 29, v45
	v_cndmask_b32_e32 v35, v40, v36, vcc
	v_mov_b32_e32 v36, 24
	v_cndmask_b32_e32 v34, v41, v34, vcc
	v_lshlrev_b32_sdwa v36, v36, v30 dst_sel:DWORD dst_unused:UNUSED_PAD src0_sel:DWORD src1_sel:WORD_1
	v_bfrev_b32_e32 v37, 60
	v_lshlrev_b32_e32 v35, 20, v35
	v_and_b32_e32 v36, 0x80000000, v36
	v_lshl_add_u32 v34, v34, 23, v37
	v_or3_b32 v37, v36, v34, v35
.LBB449_122:
	s_or_b64 exec, exec, s[20:21]
.LBB449_123:
	s_or_b64 exec, exec, s[10:11]
.LBB449_124:
	s_or_b64 exec, exec, s[2:3]
	s_mov_b32 s2, 0xffffff
	v_cmp_lt_u32_e32 vcc, s2, v30
	v_mov_b32_e32 v35, 0
	v_mov_b32_e32 v40, 0
	s_and_saveexec_b64 s[2:3], vcc
	s_cbranch_execz .LBB449_130
; %bb.125:
	v_lshrrev_b32_e32 v34, 24, v30
	s_movk_i32 s9, 0x80
	v_cmp_ne_u32_e32 vcc, s9, v34
	v_bfrev_b32_e32 v40, 1
	s_and_saveexec_b64 s[10:11], vcc
	s_cbranch_execz .LBB449_129
; %bb.126:
	v_bfe_u32 v36, v30, 24, 7
	s_movk_i32 s9, 0x7f
	v_cmp_ne_u32_e32 vcc, s9, v36
	v_mov_b32_e32 v40, 0x7f800001
	s_and_saveexec_b64 s[20:21], vcc
	s_cbranch_execz .LBB449_128
; %bb.127:
	v_and_b32_e32 v45, 7, v34
	v_ffbh_u32_e32 v40, v45
	v_min_u32_e32 v47, 32, v40
	v_subrev_u32_e32 v40, 28, v47
	v_lshlrev_b64 v[40:41], v40, v[34:35]
	v_lshrrev_b32_e32 v46, 3, v36
	v_sub_u32_e32 v41, 29, v47
	v_and_b32_e32 v40, 7, v40
	v_cmp_gt_u32_e32 vcc, 8, v36
	v_cndmask_b32_e32 v36, v46, v41, vcc
	v_cndmask_b32_e32 v40, v45, v40, vcc
	v_lshlrev_b32_e32 v34, 24, v34
	v_bfrev_b32_e32 v41, 60
	v_lshlrev_b32_e32 v40, 20, v40
	v_and_b32_e32 v34, 0x80000000, v34
	v_lshl_add_u32 v36, v36, 23, v41
	v_or3_b32 v40, v34, v36, v40
.LBB449_128:
	s_or_b64 exec, exec, s[20:21]
.LBB449_129:
	s_or_b64 exec, exec, s[10:11]
.LBB449_130:
	s_or_b64 exec, exec, s[2:3]
	v_mov_b32_e32 v34, v31
	v_cmp_ne_u16_sdwa s[10:11], v31, v35 src0_sel:BYTE_0 src1_sel:DWORD
	s_and_saveexec_b64 s[2:3], s[10:11]
	s_cbranch_execz .LBB449_136
; %bb.131:
	s_movk_i32 s9, 0x80
	v_cmp_ne_u16_sdwa s[20:21], v31, s9 src0_sel:BYTE_0 src1_sel:DWORD
	v_bfrev_b32_e32 v36, 1
	s_and_saveexec_b64 s[10:11], s[20:21]
	s_cbranch_execz .LBB449_135
; %bb.132:
	s_movk_i32 s9, 0x7f
	v_and_b32_e32 v41, 0x7f, v31
	v_cmp_ne_u32_e32 vcc, s9, v41
	v_mov_b32_e32 v36, 0x7f800001
	s_and_saveexec_b64 s[20:21], vcc
	s_cbranch_execz .LBB449_134
; %bb.133:
	v_and_b32_e32 v36, 7, v31
	v_ffbh_u32_e32 v36, v36
	v_min_u32_e32 v36, 32, v36
	v_subrev_u32_e32 v46, 28, v36
	v_cmp_gt_u32_e32 vcc, 8, v41
	v_lshrrev_b32_e32 v45, 3, v41
	v_cndmask_b32_e32 v41, 0, v46, vcc
	v_sub_u32_e32 v36, 29, v36
	v_lshlrev_b64 v[46:47], v41, v[34:35]
	v_cndmask_b32_e32 v36, v45, v36, vcc
	v_lshlrev_b32_e32 v35, 20, v46
	v_lshlrev_b32_e32 v41, 24, v34
	v_bfrev_b32_e32 v45, 60
	v_and_b32_e32 v35, 0x700000, v35
	v_and_b32_e32 v41, 0x80000000, v41
	v_lshl_add_u32 v36, v36, 23, v45
	v_or3_b32 v36, v41, v36, v35
.LBB449_134:
	s_or_b64 exec, exec, s[20:21]
.LBB449_135:
	s_or_b64 exec, exec, s[10:11]
	v_mov_b32_e32 v35, v36
.LBB449_136:
	s_or_b64 exec, exec, s[2:3]
	v_lshrrev_b16_e32 v36, 8, v34
	v_cmp_ne_u16_e32 vcc, 0, v36
	v_mov_b32_e32 v41, 0
	v_mov_b32_e32 v45, 0
	s_and_saveexec_b64 s[2:3], vcc
	s_cbranch_execz .LBB449_142
; %bb.137:
	s_movk_i32 s9, 0x80
	v_cmp_ne_u16_e32 vcc, s9, v36
	v_bfrev_b32_e32 v45, 1
	s_and_saveexec_b64 s[10:11], vcc
	s_cbranch_execz .LBB449_141
; %bb.138:
	s_movk_i32 s9, 0x7f
	v_and_b32_e32 v46, 0x7f, v36
	v_cmp_ne_u32_e32 vcc, s9, v46
	v_mov_b32_e32 v45, 0x7f800001
	s_and_saveexec_b64 s[20:21], vcc
	s_cbranch_execz .LBB449_140
; %bb.139:
	v_and_b32_e32 v45, 7, v36
	v_ffbh_u32_e32 v48, v45
	v_min_u32_e32 v50, 32, v48
	v_subrev_u32_e32 v48, 28, v50
	v_lshlrev_b64 v[48:49], v48, v[36:37]
	v_lshrrev_b32_e32 v47, 3, v46
	v_sub_u32_e32 v36, 29, v50
	v_and_b32_e32 v48, 7, v48
	v_cmp_gt_u32_e32 vcc, 8, v46
	v_cndmask_b32_e32 v36, v47, v36, vcc
	v_cndmask_b32_e32 v45, v45, v48, vcc
	v_lshlrev_b32_e32 v34, 16, v34
	v_bfrev_b32_e32 v46, 60
	v_lshlrev_b32_e32 v45, 20, v45
	v_and_b32_e32 v34, 0x80000000, v34
	v_lshl_add_u32 v36, v36, 23, v46
	v_or3_b32 v45, v34, v36, v45
.LBB449_140:
	s_or_b64 exec, exec, s[20:21]
.LBB449_141:
	s_or_b64 exec, exec, s[10:11]
.LBB449_142:
	s_or_b64 exec, exec, s[2:3]
	s_movk_i32 s2, 0xff
	v_and_b32_sdwa v36, v31, s2 dst_sel:DWORD dst_unused:UNUSED_PAD src0_sel:WORD_1 src1_sel:DWORD
	v_lshrrev_b32_e32 v34, 16, v31
	v_cmp_ne_u16_e32 vcc, 0, v36
	s_and_saveexec_b64 s[2:3], vcc
	s_cbranch_execz .LBB449_148
; %bb.143:
	s_movk_i32 s9, 0x80
	v_cmp_ne_u16_e32 vcc, s9, v36
	v_bfrev_b32_e32 v41, 1
	s_and_saveexec_b64 s[10:11], vcc
	s_cbranch_execz .LBB449_147
; %bb.144:
	v_bfe_u32 v36, v31, 16, 7
	s_movk_i32 s9, 0x7f
	v_cmp_ne_u32_e32 vcc, s9, v36
	v_mov_b32_e32 v41, 0x7f800001
	s_and_saveexec_b64 s[20:21], vcc
	s_cbranch_execz .LBB449_146
; %bb.145:
	v_and_b32_e32 v41, 7, v34
	v_ffbh_u32_e32 v46, v41
	v_min_u32_e32 v49, 32, v46
	v_subrev_u32_e32 v46, 28, v49
	v_lshlrev_b64 v[46:47], v46, v[34:35]
	v_and_b32_e32 v46, 7, v46
	v_cmp_gt_u32_e32 vcc, 8, v36
	v_lshrrev_b32_e32 v48, 3, v36
	v_sub_u32_e32 v34, 29, v49
	v_cndmask_b32_e32 v36, v41, v46, vcc
	v_mov_b32_e32 v41, 24
	v_cndmask_b32_e32 v34, v48, v34, vcc
	v_lshlrev_b32_sdwa v41, v41, v31 dst_sel:DWORD dst_unused:UNUSED_PAD src0_sel:DWORD src1_sel:WORD_1
	v_bfrev_b32_e32 v46, 60
	v_lshlrev_b32_e32 v36, 20, v36
	v_and_b32_e32 v41, 0x80000000, v41
	v_lshl_add_u32 v34, v34, 23, v46
	v_or3_b32 v41, v41, v34, v36
.LBB449_146:
	s_or_b64 exec, exec, s[20:21]
.LBB449_147:
	s_or_b64 exec, exec, s[10:11]
.LBB449_148:
	s_or_b64 exec, exec, s[2:3]
	s_mov_b32 s2, -1
	s_mov_b32 s3, 0xffffff
	v_cmp_lt_u64_e32 vcc, s[2:3], v[30:31]
	v_mov_b32_e32 v36, 0
	v_mov_b32_e32 v34, 0
	s_and_saveexec_b64 s[2:3], vcc
	s_cbranch_execz .LBB449_154
; %bb.149:
	v_lshrrev_b32_e32 v30, 24, v31
	s_movk_i32 s9, 0x80
	v_cmp_ne_u32_e32 vcc, s9, v30
	v_bfrev_b32_e32 v34, 1
	s_and_saveexec_b64 s[10:11], vcc
	s_cbranch_execz .LBB449_153
; %bb.150:
	v_bfe_u32 v31, v31, 24, 7
	s_movk_i32 s9, 0x7f
	v_cmp_ne_u32_e32 vcc, s9, v31
	v_mov_b32_e32 v34, 0x7f800001
	s_and_saveexec_b64 s[20:21], vcc
	s_cbranch_execz .LBB449_152
; %bb.151:
	v_and_b32_e32 v34, 7, v30
	v_ffbh_u32_e32 v46, v34
	v_min_u32_e32 v49, 32, v46
	v_subrev_u32_e32 v46, 28, v49
	v_lshlrev_b64 v[46:47], v46, v[30:31]
	v_lshrrev_b32_e32 v48, 3, v31
	v_sub_u32_e32 v47, 29, v49
	v_and_b32_e32 v46, 7, v46
	v_cmp_gt_u32_e32 vcc, 8, v31
	v_cndmask_b32_e32 v31, v48, v47, vcc
	v_cndmask_b32_e32 v34, v34, v46, vcc
	v_lshlrev_b32_e32 v30, 24, v30
	v_bfrev_b32_e32 v46, 60
	v_lshlrev_b32_e32 v34, 20, v34
	v_and_b32_e32 v30, 0x80000000, v30
	v_lshl_add_u32 v31, v31, 23, v46
	v_or3_b32 v34, v30, v31, v34
.LBB449_152:
	s_or_b64 exec, exec, s[20:21]
.LBB449_153:
	s_or_b64 exec, exec, s[10:11]
.LBB449_154:
	s_or_b64 exec, exec, s[2:3]
	v_cvt_pkrtz_f16_f32 v30, v38, v39
	v_cvt_pkrtz_f16_f32 v31, v37, v40
	;; [unrolled: 1-line block ×4, first 2 shown]
	v_mfma_f32_4x4x4f16 a[0:3], v[18:19], v[30:31], a[0:3] cbsz:4 abid:2
	v_cmp_ne_u16_sdwa s[10:11], v32, v36 src0_sel:BYTE_0 src1_sel:DWORD
	v_mfma_f32_4x4x4f16 a[0:3], v[20:21], v[38:39], a[0:3] cbsz:4 abid:2
	s_and_saveexec_b64 s[2:3], s[10:11]
	s_cbranch_execz .LBB449_160
; %bb.155:
	s_movk_i32 s9, 0x80
	v_cmp_ne_u16_sdwa s[20:21], v32, s9 src0_sel:BYTE_0 src1_sel:DWORD
	v_bfrev_b32_e32 v36, 1
	s_and_saveexec_b64 s[10:11], s[20:21]
	s_cbranch_execz .LBB449_159
; %bb.156:
	s_movk_i32 s9, 0x7f
	v_and_b32_e32 v30, 0x7f, v32
	v_cmp_ne_u32_e32 vcc, s9, v30
	v_mov_b32_e32 v36, 0x7f800001
	s_and_saveexec_b64 s[20:21], vcc
	s_cbranch_execz .LBB449_158
; %bb.157:
	v_and_b32_e32 v31, 7, v32
	v_ffbh_u32_e32 v31, v31
	v_min_u32_e32 v31, 32, v31
	v_subrev_u32_e32 v35, 28, v31
	v_cmp_gt_u32_e32 vcc, 8, v30
	v_lshrrev_b32_e32 v34, 3, v30
	v_sub_u32_e32 v31, 29, v31
	v_cndmask_b32_e32 v30, 0, v35, vcc
	v_cndmask_b32_e32 v34, v34, v31, vcc
	v_lshlrev_b64 v[30:31], v30, v[32:33]
	v_lshlrev_b32_e32 v30, 20, v30
	v_lshlrev_b32_e32 v31, 24, v32
	v_bfrev_b32_e32 v35, 60
	v_and_b32_e32 v30, 0x700000, v30
	v_and_b32_e32 v31, 0x80000000, v31
	v_lshl_add_u32 v34, v34, 23, v35
	v_or3_b32 v36, v31, v34, v30
.LBB449_158:
	s_or_b64 exec, exec, s[20:21]
.LBB449_159:
	s_or_b64 exec, exec, s[10:11]
.LBB449_160:
	s_or_b64 exec, exec, s[2:3]
	v_lshrrev_b16_e32 v30, 8, v32
	v_cmp_ne_u16_e32 vcc, 0, v30
	v_mov_b32_e32 v35, 0
	v_mov_b32_e32 v37, 0
	s_and_saveexec_b64 s[2:3], vcc
	s_cbranch_execz .LBB449_166
; %bb.161:
	s_movk_i32 s9, 0x80
	v_cmp_ne_u16_e32 vcc, s9, v30
	v_bfrev_b32_e32 v37, 1
	s_and_saveexec_b64 s[10:11], vcc
	s_cbranch_execz .LBB449_165
; %bb.162:
	s_movk_i32 s9, 0x7f
	v_and_b32_e32 v31, 0x7f, v30
	v_cmp_ne_u32_e32 vcc, s9, v31
	v_mov_b32_e32 v37, 0x7f800001
	s_and_saveexec_b64 s[20:21], vcc
	s_cbranch_execz .LBB449_164
; %bb.163:
	v_and_b32_e32 v34, 7, v30
	v_ffbh_u32_e32 v38, v34
	v_min_u32_e32 v40, 32, v38
	v_subrev_u32_e32 v38, 28, v40
	v_lshlrev_b64 v[38:39], v38, v[30:31]
	v_lshrrev_b32_e32 v37, 3, v31
	v_sub_u32_e32 v30, 29, v40
	v_and_b32_e32 v38, 7, v38
	v_cmp_gt_u32_e32 vcc, 8, v31
	v_cndmask_b32_e32 v30, v37, v30, vcc
	v_cndmask_b32_e32 v31, v34, v38, vcc
	v_lshlrev_b32_e32 v34, 16, v32
	v_bfrev_b32_e32 v37, 60
	v_lshlrev_b32_e32 v31, 20, v31
	v_and_b32_e32 v34, 0x80000000, v34
	v_lshl_add_u32 v30, v30, 23, v37
	v_or3_b32 v37, v34, v30, v31
.LBB449_164:
	s_or_b64 exec, exec, s[20:21]
.LBB449_165:
	s_or_b64 exec, exec, s[10:11]
.LBB449_166:
	s_or_b64 exec, exec, s[2:3]
	s_movk_i32 s2, 0xff
	v_and_b32_sdwa v31, v32, s2 dst_sel:DWORD dst_unused:UNUSED_PAD src0_sel:WORD_1 src1_sel:DWORD
	v_lshrrev_b32_e32 v30, 16, v32
	v_cmp_ne_u16_e32 vcc, 0, v31
	s_and_saveexec_b64 s[2:3], vcc
	s_cbranch_execz .LBB449_172
; %bb.167:
	s_movk_i32 s9, 0x80
	v_cmp_ne_u16_e32 vcc, s9, v31
	v_bfrev_b32_e32 v35, 1
	s_and_saveexec_b64 s[10:11], vcc
	s_cbranch_execz .LBB449_171
; %bb.168:
	v_bfe_u32 v31, v32, 16, 7
	s_movk_i32 s9, 0x7f
	v_cmp_ne_u32_e32 vcc, s9, v31
	v_mov_b32_e32 v35, 0x7f800001
	s_and_saveexec_b64 s[20:21], vcc
	s_cbranch_execz .LBB449_170
; %bb.169:
	v_and_b32_e32 v38, 7, v30
	v_ffbh_u32_e32 v34, v38
	v_min_u32_e32 v40, 32, v34
	v_subrev_u32_e32 v34, 28, v40
	v_lshlrev_b64 v[34:35], v34, v[30:31]
	v_and_b32_e32 v34, 7, v34
	v_cmp_gt_u32_e32 vcc, 8, v31
	v_lshrrev_b32_e32 v39, 3, v31
	v_sub_u32_e32 v30, 29, v40
	v_cndmask_b32_e32 v31, v38, v34, vcc
	v_mov_b32_e32 v34, 24
	v_cndmask_b32_e32 v30, v39, v30, vcc
	v_lshlrev_b32_sdwa v34, v34, v32 dst_sel:DWORD dst_unused:UNUSED_PAD src0_sel:DWORD src1_sel:WORD_1
	v_bfrev_b32_e32 v35, 60
	v_lshlrev_b32_e32 v31, 20, v31
	v_and_b32_e32 v34, 0x80000000, v34
	v_lshl_add_u32 v30, v30, 23, v35
	v_or3_b32 v35, v34, v30, v31
.LBB449_170:
	s_or_b64 exec, exec, s[20:21]
.LBB449_171:
	s_or_b64 exec, exec, s[10:11]
.LBB449_172:
	s_or_b64 exec, exec, s[2:3]
	s_mov_b32 s2, 0xffffff
	v_cmp_lt_u32_e32 vcc, s2, v32
	v_mov_b32_e32 v31, 0
	v_mov_b32_e32 v38, 0
	s_and_saveexec_b64 s[2:3], vcc
	s_cbranch_execz .LBB449_178
; %bb.173:
	v_lshrrev_b32_e32 v30, 24, v32
	s_movk_i32 s9, 0x80
	v_cmp_ne_u32_e32 vcc, s9, v30
	v_bfrev_b32_e32 v38, 1
	s_and_saveexec_b64 s[10:11], vcc
	s_cbranch_execz .LBB449_177
; %bb.174:
	v_bfe_u32 v34, v32, 24, 7
	s_movk_i32 s9, 0x7f
	v_cmp_ne_u32_e32 vcc, s9, v34
	v_mov_b32_e32 v38, 0x7f800001
	s_and_saveexec_b64 s[20:21], vcc
	s_cbranch_execz .LBB449_176
; %bb.175:
	v_and_b32_e32 v40, 7, v30
	v_ffbh_u32_e32 v38, v40
	v_min_u32_e32 v45, 32, v38
	v_subrev_u32_e32 v38, 28, v45
	v_lshlrev_b64 v[38:39], v38, v[30:31]
	v_lshrrev_b32_e32 v41, 3, v34
	v_sub_u32_e32 v39, 29, v45
	v_and_b32_e32 v38, 7, v38
	v_cmp_gt_u32_e32 vcc, 8, v34
	v_cndmask_b32_e32 v34, v41, v39, vcc
	v_cndmask_b32_e32 v38, v40, v38, vcc
	v_lshlrev_b32_e32 v30, 24, v30
	v_bfrev_b32_e32 v39, 60
	v_lshlrev_b32_e32 v38, 20, v38
	v_and_b32_e32 v30, 0x80000000, v30
	v_lshl_add_u32 v34, v34, 23, v39
	v_or3_b32 v38, v30, v34, v38
.LBB449_176:
	s_or_b64 exec, exec, s[20:21]
.LBB449_177:
	s_or_b64 exec, exec, s[10:11]
.LBB449_178:
	s_or_b64 exec, exec, s[2:3]
	v_mov_b32_e32 v30, v33
	v_cmp_ne_u16_sdwa s[10:11], v33, v31 src0_sel:BYTE_0 src1_sel:DWORD
	s_and_saveexec_b64 s[2:3], s[10:11]
	s_cbranch_execz .LBB449_184
; %bb.179:
	s_movk_i32 s9, 0x80
	v_cmp_ne_u16_sdwa s[20:21], v33, s9 src0_sel:BYTE_0 src1_sel:DWORD
	v_bfrev_b32_e32 v34, 1
	s_and_saveexec_b64 s[10:11], s[20:21]
	s_cbranch_execz .LBB449_183
; %bb.180:
	s_movk_i32 s9, 0x7f
	v_and_b32_e32 v39, 0x7f, v33
	v_cmp_ne_u32_e32 vcc, s9, v39
	v_mov_b32_e32 v34, 0x7f800001
	s_and_saveexec_b64 s[20:21], vcc
	s_cbranch_execz .LBB449_182
; %bb.181:
	v_and_b32_e32 v34, 7, v33
	v_ffbh_u32_e32 v34, v34
	v_min_u32_e32 v34, 32, v34
	v_subrev_u32_e32 v41, 28, v34
	v_cmp_gt_u32_e32 vcc, 8, v39
	v_lshrrev_b32_e32 v40, 3, v39
	v_sub_u32_e32 v34, 29, v34
	v_cndmask_b32_e32 v39, 0, v41, vcc
	v_cndmask_b32_e32 v34, v40, v34, vcc
	v_lshlrev_b64 v[40:41], v39, v[30:31]
	v_lshlrev_b32_e32 v31, 20, v40
	v_lshlrev_b32_e32 v39, 24, v30
	v_bfrev_b32_e32 v40, 60
	v_and_b32_e32 v31, 0x700000, v31
	v_and_b32_e32 v39, 0x80000000, v39
	v_lshl_add_u32 v34, v34, 23, v40
	v_or3_b32 v34, v39, v34, v31
.LBB449_182:
	s_or_b64 exec, exec, s[20:21]
.LBB449_183:
	s_or_b64 exec, exec, s[10:11]
	v_mov_b32_e32 v31, v34
.LBB449_184:
	s_or_b64 exec, exec, s[2:3]
	v_lshrrev_b16_e32 v34, 8, v30
	v_cmp_ne_u16_e32 vcc, 0, v34
	v_mov_b32_e32 v39, 0
	v_mov_b32_e32 v40, 0
	s_and_saveexec_b64 s[2:3], vcc
	s_cbranch_execz .LBB449_190
; %bb.185:
	s_movk_i32 s9, 0x80
	v_cmp_ne_u16_e32 vcc, s9, v34
	v_bfrev_b32_e32 v40, 1
	s_and_saveexec_b64 s[10:11], vcc
	s_cbranch_execz .LBB449_189
; %bb.186:
	s_movk_i32 s9, 0x7f
	v_and_b32_e32 v41, 0x7f, v34
	v_cmp_ne_u32_e32 vcc, s9, v41
	v_mov_b32_e32 v40, 0x7f800001
	s_and_saveexec_b64 s[20:21], vcc
	s_cbranch_execz .LBB449_188
; %bb.187:
	v_and_b32_e32 v40, 7, v34
	v_ffbh_u32_e32 v46, v40
	v_min_u32_e32 v48, 32, v46
	v_subrev_u32_e32 v46, 28, v48
	v_lshlrev_b64 v[46:47], v46, v[34:35]
	v_lshrrev_b32_e32 v45, 3, v41
	v_sub_u32_e32 v34, 29, v48
	v_and_b32_e32 v46, 7, v46
	v_cmp_gt_u32_e32 vcc, 8, v41
	v_cndmask_b32_e32 v34, v45, v34, vcc
	v_cndmask_b32_e32 v40, v40, v46, vcc
	v_lshlrev_b32_e32 v30, 16, v30
	v_bfrev_b32_e32 v41, 60
	v_lshlrev_b32_e32 v40, 20, v40
	v_and_b32_e32 v30, 0x80000000, v30
	v_lshl_add_u32 v34, v34, 23, v41
	v_or3_b32 v40, v30, v34, v40
.LBB449_188:
	s_or_b64 exec, exec, s[20:21]
.LBB449_189:
	s_or_b64 exec, exec, s[10:11]
.LBB449_190:
	s_or_b64 exec, exec, s[2:3]
	s_movk_i32 s2, 0xff
	v_and_b32_sdwa v34, v33, s2 dst_sel:DWORD dst_unused:UNUSED_PAD src0_sel:WORD_1 src1_sel:DWORD
	v_lshrrev_b32_e32 v30, 16, v33
	v_cmp_ne_u16_e32 vcc, 0, v34
	s_and_saveexec_b64 s[2:3], vcc
	s_cbranch_execz .LBB449_196
; %bb.191:
	s_movk_i32 s9, 0x80
	v_cmp_ne_u16_e32 vcc, s9, v34
	v_bfrev_b32_e32 v39, 1
	s_and_saveexec_b64 s[10:11], vcc
	s_cbranch_execz .LBB449_195
; %bb.192:
	v_bfe_u32 v34, v33, 16, 7
	s_movk_i32 s9, 0x7f
	v_cmp_ne_u32_e32 vcc, s9, v34
	v_mov_b32_e32 v39, 0x7f800001
	s_and_saveexec_b64 s[20:21], vcc
	s_cbranch_execz .LBB449_194
; %bb.193:
	v_and_b32_e32 v39, 7, v30
	v_ffbh_u32_e32 v45, v39
	v_min_u32_e32 v45, 32, v45
	v_subrev_u32_e32 v46, 28, v45
	v_lshlrev_b64 v[46:47], v46, v[30:31]
	v_sub_u32_e32 v30, 29, v45
	v_and_b32_e32 v45, 7, v46
	v_cmp_gt_u32_e32 vcc, 8, v34
	v_lshrrev_b32_e32 v41, 3, v34
	v_cndmask_b32_e32 v34, v39, v45, vcc
	v_mov_b32_e32 v39, 24
	v_cndmask_b32_e32 v30, v41, v30, vcc
	v_lshlrev_b32_sdwa v39, v39, v33 dst_sel:DWORD dst_unused:UNUSED_PAD src0_sel:DWORD src1_sel:WORD_1
	v_bfrev_b32_e32 v41, 60
	v_lshlrev_b32_e32 v34, 20, v34
	v_and_b32_e32 v39, 0x80000000, v39
	v_lshl_add_u32 v30, v30, 23, v41
	v_or3_b32 v39, v39, v30, v34
.LBB449_194:
	s_or_b64 exec, exec, s[20:21]
.LBB449_195:
	s_or_b64 exec, exec, s[10:11]
.LBB449_196:
	s_or_b64 exec, exec, s[2:3]
	s_mov_b32 s2, -1
	s_mov_b32 s3, 0xffffff
	v_cmp_lt_u64_e32 vcc, s[2:3], v[32:33]
	v_mov_b32_e32 v34, 0
	v_mov_b32_e32 v32, 0
	s_and_saveexec_b64 s[2:3], vcc
	s_cbranch_execz .LBB449_202
; %bb.197:
	v_lshrrev_b32_e32 v30, 24, v33
	s_movk_i32 s9, 0x80
	v_cmp_ne_u32_e32 vcc, s9, v30
	v_bfrev_b32_e32 v32, 1
	s_and_saveexec_b64 s[10:11], vcc
	s_cbranch_execz .LBB449_201
; %bb.198:
	v_bfe_u32 v33, v33, 24, 7
	s_movk_i32 s9, 0x7f
	v_cmp_ne_u32_e32 vcc, s9, v33
	v_mov_b32_e32 v32, 0x7f800001
	s_and_saveexec_b64 s[20:21], vcc
	s_cbranch_execz .LBB449_200
; %bb.199:
	v_and_b32_e32 v32, 7, v30
	v_ffbh_u32_e32 v45, v32
	v_min_u32_e32 v45, 32, v45
	v_subrev_u32_e32 v46, 28, v45
	v_lshlrev_b64 v[46:47], v46, v[30:31]
	v_lshrrev_b32_e32 v41, 3, v33
	v_sub_u32_e32 v45, 29, v45
	v_and_b32_e32 v46, 7, v46
	v_cmp_gt_u32_e32 vcc, 8, v33
	v_cndmask_b32_e32 v33, v41, v45, vcc
	v_cndmask_b32_e32 v32, v32, v46, vcc
	v_lshlrev_b32_e32 v30, 24, v30
	v_bfrev_b32_e32 v41, 60
	v_lshlrev_b32_e32 v32, 20, v32
	v_and_b32_e32 v30, 0x80000000, v30
	v_lshl_add_u32 v33, v33, 23, v41
	v_or3_b32 v32, v30, v33, v32
.LBB449_200:
	s_or_b64 exec, exec, s[20:21]
.LBB449_201:
	s_or_b64 exec, exec, s[10:11]
.LBB449_202:
	s_or_b64 exec, exec, s[2:3]
	v_cvt_pkrtz_f16_f32 v36, v36, v37
	v_cvt_pkrtz_f16_f32 v37, v35, v38
	;; [unrolled: 1-line block ×4, first 2 shown]
	v_mfma_f32_4x4x4f16 a[0:3], v[18:19], v[36:37], a[0:3] cbsz:4 abid:3
	s_waitcnt vmcnt(5)
	v_cmp_ne_u16_sdwa s[10:11], v26, v34 src0_sel:BYTE_0 src1_sel:DWORD
	v_mfma_f32_4x4x4f16 a[0:3], v[20:21], v[30:31], a[0:3] cbsz:4 abid:3
	s_and_saveexec_b64 s[2:3], s[10:11]
	s_cbranch_execz .LBB449_208
; %bb.203:
	s_movk_i32 s9, 0x80
	v_cmp_ne_u16_sdwa s[20:21], v26, s9 src0_sel:BYTE_0 src1_sel:DWORD
	v_bfrev_b32_e32 v34, 1
	s_and_saveexec_b64 s[10:11], s[20:21]
	s_cbranch_execz .LBB449_207
; %bb.204:
	s_movk_i32 s9, 0x7f
	v_and_b32_e32 v30, 0x7f, v26
	v_cmp_ne_u32_e32 vcc, s9, v30
	v_mov_b32_e32 v34, 0x7f800001
	s_and_saveexec_b64 s[20:21], vcc
	s_cbranch_execz .LBB449_206
; %bb.205:
	v_and_b32_e32 v31, 7, v26
	v_ffbh_u32_e32 v31, v31
	v_min_u32_e32 v31, 32, v31
	v_subrev_u32_e32 v33, 28, v31
	v_cmp_gt_u32_e32 vcc, 8, v30
	v_lshrrev_b32_e32 v32, 3, v30
	v_sub_u32_e32 v31, 29, v31
	v_cndmask_b32_e32 v30, 0, v33, vcc
	v_cndmask_b32_e32 v32, v32, v31, vcc
	v_lshlrev_b64 v[30:31], v30, v[26:27]
	v_lshlrev_b32_e32 v30, 20, v30
	v_lshlrev_b32_e32 v31, 24, v26
	v_bfrev_b32_e32 v33, 60
	v_and_b32_e32 v30, 0x700000, v30
	v_and_b32_e32 v31, 0x80000000, v31
	v_lshl_add_u32 v32, v32, 23, v33
	v_or3_b32 v34, v31, v32, v30
.LBB449_206:
	s_or_b64 exec, exec, s[20:21]
.LBB449_207:
	s_or_b64 exec, exec, s[10:11]
.LBB449_208:
	s_or_b64 exec, exec, s[2:3]
	v_lshrrev_b16_e32 v30, 8, v26
	v_cmp_ne_u16_e32 vcc, 0, v30
	v_mov_b32_e32 v33, 0
	v_mov_b32_e32 v35, 0
	s_and_saveexec_b64 s[2:3], vcc
	s_cbranch_execz .LBB449_214
; %bb.209:
	s_movk_i32 s9, 0x80
	v_cmp_ne_u16_e32 vcc, s9, v30
	v_bfrev_b32_e32 v35, 1
	s_and_saveexec_b64 s[10:11], vcc
	s_cbranch_execz .LBB449_213
; %bb.210:
	s_movk_i32 s9, 0x7f
	v_and_b32_e32 v31, 0x7f, v30
	v_cmp_ne_u32_e32 vcc, s9, v31
	v_mov_b32_e32 v35, 0x7f800001
	s_and_saveexec_b64 s[20:21], vcc
	s_cbranch_execz .LBB449_212
; %bb.211:
	v_and_b32_e32 v32, 7, v30
	v_ffbh_u32_e32 v36, v32
	v_min_u32_e32 v38, 32, v36
	v_subrev_u32_e32 v36, 28, v38
	v_lshlrev_b64 v[36:37], v36, v[30:31]
	v_lshrrev_b32_e32 v35, 3, v31
	v_sub_u32_e32 v30, 29, v38
	v_and_b32_e32 v36, 7, v36
	v_cmp_gt_u32_e32 vcc, 8, v31
	v_cndmask_b32_e32 v30, v35, v30, vcc
	v_cndmask_b32_e32 v31, v32, v36, vcc
	v_lshlrev_b32_e32 v32, 16, v26
	v_bfrev_b32_e32 v35, 60
	v_lshlrev_b32_e32 v31, 20, v31
	v_and_b32_e32 v32, 0x80000000, v32
	v_lshl_add_u32 v30, v30, 23, v35
	v_or3_b32 v35, v32, v30, v31
.LBB449_212:
	s_or_b64 exec, exec, s[20:21]
.LBB449_213:
	s_or_b64 exec, exec, s[10:11]
.LBB449_214:
	s_or_b64 exec, exec, s[2:3]
	s_movk_i32 s2, 0xff
	v_and_b32_sdwa v31, v26, s2 dst_sel:DWORD dst_unused:UNUSED_PAD src0_sel:WORD_1 src1_sel:DWORD
	v_lshrrev_b32_e32 v30, 16, v26
	v_cmp_ne_u16_e32 vcc, 0, v31
	s_and_saveexec_b64 s[2:3], vcc
	s_cbranch_execz .LBB449_220
; %bb.215:
	s_movk_i32 s9, 0x80
	v_cmp_ne_u16_e32 vcc, s9, v31
	v_bfrev_b32_e32 v33, 1
	s_and_saveexec_b64 s[10:11], vcc
	s_cbranch_execz .LBB449_219
; %bb.216:
	v_bfe_u32 v31, v26, 16, 7
	s_movk_i32 s9, 0x7f
	v_cmp_ne_u32_e32 vcc, s9, v31
	v_mov_b32_e32 v33, 0x7f800001
	s_and_saveexec_b64 s[20:21], vcc
	s_cbranch_execz .LBB449_218
; %bb.217:
	v_and_b32_e32 v36, 7, v30
	v_ffbh_u32_e32 v32, v36
	v_min_u32_e32 v38, 32, v32
	v_subrev_u32_e32 v32, 28, v38
	v_lshlrev_b64 v[32:33], v32, v[30:31]
	v_and_b32_e32 v32, 7, v32
	v_cmp_gt_u32_e32 vcc, 8, v31
	v_lshrrev_b32_e32 v37, 3, v31
	v_sub_u32_e32 v30, 29, v38
	v_cndmask_b32_e32 v31, v36, v32, vcc
	v_mov_b32_e32 v32, 24
	v_cndmask_b32_e32 v30, v37, v30, vcc
	v_lshlrev_b32_sdwa v32, v32, v26 dst_sel:DWORD dst_unused:UNUSED_PAD src0_sel:DWORD src1_sel:WORD_1
	v_bfrev_b32_e32 v33, 60
	v_lshlrev_b32_e32 v31, 20, v31
	v_and_b32_e32 v32, 0x80000000, v32
	v_lshl_add_u32 v30, v30, 23, v33
	v_or3_b32 v33, v32, v30, v31
.LBB449_218:
	s_or_b64 exec, exec, s[20:21]
.LBB449_219:
	s_or_b64 exec, exec, s[10:11]
.LBB449_220:
	s_or_b64 exec, exec, s[2:3]
	s_mov_b32 s2, 0xffffff
	v_cmp_lt_u32_e32 vcc, s2, v26
	v_mov_b32_e32 v31, 0
	v_mov_b32_e32 v36, 0
	s_and_saveexec_b64 s[2:3], vcc
	s_cbranch_execz .LBB449_226
; %bb.221:
	v_lshrrev_b32_e32 v30, 24, v26
	s_movk_i32 s9, 0x80
	v_cmp_ne_u32_e32 vcc, s9, v30
	v_bfrev_b32_e32 v36, 1
	s_and_saveexec_b64 s[10:11], vcc
	s_cbranch_execz .LBB449_225
; %bb.222:
	v_bfe_u32 v32, v26, 24, 7
	s_movk_i32 s9, 0x7f
	v_cmp_ne_u32_e32 vcc, s9, v32
	v_mov_b32_e32 v36, 0x7f800001
	s_and_saveexec_b64 s[20:21], vcc
	s_cbranch_execz .LBB449_224
; %bb.223:
	v_and_b32_e32 v38, 7, v30
	v_ffbh_u32_e32 v36, v38
	v_min_u32_e32 v40, 32, v36
	v_subrev_u32_e32 v36, 28, v40
	v_lshlrev_b64 v[36:37], v36, v[30:31]
	v_lshrrev_b32_e32 v39, 3, v32
	v_sub_u32_e32 v37, 29, v40
	v_and_b32_e32 v36, 7, v36
	v_cmp_gt_u32_e32 vcc, 8, v32
	v_cndmask_b32_e32 v32, v39, v37, vcc
	v_cndmask_b32_e32 v36, v38, v36, vcc
	v_lshlrev_b32_e32 v30, 24, v30
	v_bfrev_b32_e32 v37, 60
	v_lshlrev_b32_e32 v36, 20, v36
	v_and_b32_e32 v30, 0x80000000, v30
	v_lshl_add_u32 v32, v32, 23, v37
	v_or3_b32 v36, v30, v32, v36
.LBB449_224:
	s_or_b64 exec, exec, s[20:21]
.LBB449_225:
	s_or_b64 exec, exec, s[10:11]
.LBB449_226:
	s_or_b64 exec, exec, s[2:3]
	v_mov_b32_e32 v30, v27
	v_cmp_ne_u16_sdwa s[10:11], v27, v31 src0_sel:BYTE_0 src1_sel:DWORD
	s_and_saveexec_b64 s[2:3], s[10:11]
	s_cbranch_execz .LBB449_232
; %bb.227:
	s_movk_i32 s9, 0x80
	v_cmp_ne_u16_sdwa s[20:21], v27, s9 src0_sel:BYTE_0 src1_sel:DWORD
	v_bfrev_b32_e32 v32, 1
	s_and_saveexec_b64 s[10:11], s[20:21]
	s_cbranch_execz .LBB449_231
; %bb.228:
	s_movk_i32 s9, 0x7f
	v_and_b32_e32 v37, 0x7f, v27
	v_cmp_ne_u32_e32 vcc, s9, v37
	v_mov_b32_e32 v32, 0x7f800001
	s_and_saveexec_b64 s[20:21], vcc
	s_cbranch_execz .LBB449_230
; %bb.229:
	v_and_b32_e32 v32, 7, v27
	v_ffbh_u32_e32 v32, v32
	v_min_u32_e32 v32, 32, v32
	v_subrev_u32_e32 v39, 28, v32
	v_cmp_gt_u32_e32 vcc, 8, v37
	v_lshrrev_b32_e32 v38, 3, v37
	v_sub_u32_e32 v32, 29, v32
	v_cndmask_b32_e32 v37, 0, v39, vcc
	v_cndmask_b32_e32 v32, v38, v32, vcc
	v_lshlrev_b64 v[38:39], v37, v[30:31]
	v_lshlrev_b32_e32 v31, 20, v38
	v_lshlrev_b32_e32 v37, 24, v30
	v_bfrev_b32_e32 v38, 60
	v_and_b32_e32 v31, 0x700000, v31
	v_and_b32_e32 v37, 0x80000000, v37
	v_lshl_add_u32 v32, v32, 23, v38
	v_or3_b32 v32, v37, v32, v31
.LBB449_230:
	s_or_b64 exec, exec, s[20:21]
.LBB449_231:
	s_or_b64 exec, exec, s[10:11]
	v_mov_b32_e32 v31, v32
.LBB449_232:
	s_or_b64 exec, exec, s[2:3]
	v_lshrrev_b16_e32 v32, 8, v30
	v_cmp_ne_u16_e32 vcc, 0, v32
	v_mov_b32_e32 v37, 0
	v_mov_b32_e32 v38, 0
	s_and_saveexec_b64 s[2:3], vcc
	s_cbranch_execz .LBB449_238
; %bb.233:
	s_movk_i32 s9, 0x80
	v_cmp_ne_u16_e32 vcc, s9, v32
	v_bfrev_b32_e32 v38, 1
	s_and_saveexec_b64 s[10:11], vcc
	s_cbranch_execz .LBB449_237
; %bb.234:
	s_movk_i32 s9, 0x7f
	v_and_b32_e32 v39, 0x7f, v32
	v_cmp_ne_u32_e32 vcc, s9, v39
	v_mov_b32_e32 v38, 0x7f800001
	s_and_saveexec_b64 s[20:21], vcc
	s_cbranch_execz .LBB449_236
; %bb.235:
	v_and_b32_e32 v38, 7, v32
	v_ffbh_u32_e32 v40, v38
	v_min_u32_e32 v46, 32, v40
	v_subrev_u32_e32 v40, 28, v46
	v_lshlrev_b64 v[40:41], v40, v[32:33]
	v_lshrrev_b32_e32 v45, 3, v39
	v_sub_u32_e32 v32, 29, v46
	v_and_b32_e32 v40, 7, v40
	v_cmp_gt_u32_e32 vcc, 8, v39
	v_cndmask_b32_e32 v32, v45, v32, vcc
	v_cndmask_b32_e32 v38, v38, v40, vcc
	v_lshlrev_b32_e32 v30, 16, v30
	v_bfrev_b32_e32 v39, 60
	v_lshlrev_b32_e32 v38, 20, v38
	v_and_b32_e32 v30, 0x80000000, v30
	v_lshl_add_u32 v32, v32, 23, v39
	v_or3_b32 v38, v30, v32, v38
.LBB449_236:
	s_or_b64 exec, exec, s[20:21]
.LBB449_237:
	s_or_b64 exec, exec, s[10:11]
.LBB449_238:
	s_or_b64 exec, exec, s[2:3]
	s_movk_i32 s2, 0xff
	v_and_b32_sdwa v32, v27, s2 dst_sel:DWORD dst_unused:UNUSED_PAD src0_sel:WORD_1 src1_sel:DWORD
	v_lshrrev_b32_e32 v30, 16, v27
	v_cmp_ne_u16_e32 vcc, 0, v32
	s_and_saveexec_b64 s[2:3], vcc
	s_cbranch_execz .LBB449_244
; %bb.239:
	s_movk_i32 s9, 0x80
	v_cmp_ne_u16_e32 vcc, s9, v32
	v_bfrev_b32_e32 v37, 1
	s_and_saveexec_b64 s[10:11], vcc
	s_cbranch_execz .LBB449_243
; %bb.240:
	v_bfe_u32 v32, v27, 16, 7
	s_movk_i32 s9, 0x7f
	v_cmp_ne_u32_e32 vcc, s9, v32
	v_mov_b32_e32 v37, 0x7f800001
	s_and_saveexec_b64 s[20:21], vcc
	s_cbranch_execz .LBB449_242
; %bb.241:
	v_and_b32_e32 v37, 7, v30
	v_ffbh_u32_e32 v40, v37
	v_min_u32_e32 v45, 32, v40
	v_subrev_u32_e32 v40, 28, v45
	v_lshlrev_b64 v[40:41], v40, v[30:31]
	v_and_b32_e32 v40, 7, v40
	v_cmp_gt_u32_e32 vcc, 8, v32
	v_lshrrev_b32_e32 v39, 3, v32
	v_sub_u32_e32 v30, 29, v45
	v_cndmask_b32_e32 v32, v37, v40, vcc
	v_mov_b32_e32 v37, 24
	v_cndmask_b32_e32 v30, v39, v30, vcc
	v_lshlrev_b32_sdwa v37, v37, v27 dst_sel:DWORD dst_unused:UNUSED_PAD src0_sel:DWORD src1_sel:WORD_1
	v_bfrev_b32_e32 v39, 60
	v_lshlrev_b32_e32 v32, 20, v32
	v_and_b32_e32 v37, 0x80000000, v37
	v_lshl_add_u32 v30, v30, 23, v39
	v_or3_b32 v37, v37, v30, v32
.LBB449_242:
	s_or_b64 exec, exec, s[20:21]
.LBB449_243:
	s_or_b64 exec, exec, s[10:11]
.LBB449_244:
	s_or_b64 exec, exec, s[2:3]
	s_mov_b32 s2, -1
	s_mov_b32 s3, 0xffffff
	v_cmp_lt_u64_e32 vcc, s[2:3], v[26:27]
	v_mov_b32_e32 v32, 0
	v_mov_b32_e32 v30, 0
	s_and_saveexec_b64 s[2:3], vcc
	s_cbranch_execz .LBB449_250
; %bb.245:
	v_lshrrev_b32_e32 v26, 24, v27
	s_movk_i32 s9, 0x80
	v_cmp_ne_u32_e32 vcc, s9, v26
	v_bfrev_b32_e32 v30, 1
	s_and_saveexec_b64 s[10:11], vcc
	s_cbranch_execz .LBB449_249
; %bb.246:
	v_bfe_u32 v27, v27, 24, 7
	s_movk_i32 s9, 0x7f
	v_cmp_ne_u32_e32 vcc, s9, v27
	v_mov_b32_e32 v30, 0x7f800001
	s_and_saveexec_b64 s[20:21], vcc
	s_cbranch_execz .LBB449_248
; %bb.247:
	v_and_b32_e32 v30, 7, v26
	v_ffbh_u32_e32 v40, v30
	v_min_u32_e32 v45, 32, v40
	v_subrev_u32_e32 v40, 28, v45
	v_lshlrev_b64 v[40:41], v40, v[26:27]
	v_lshrrev_b32_e32 v39, 3, v27
	v_sub_u32_e32 v41, 29, v45
	v_and_b32_e32 v40, 7, v40
	v_cmp_gt_u32_e32 vcc, 8, v27
	v_cndmask_b32_e32 v27, v39, v41, vcc
	v_cndmask_b32_e32 v30, v30, v40, vcc
	v_lshlrev_b32_e32 v26, 24, v26
	v_bfrev_b32_e32 v39, 60
	v_lshlrev_b32_e32 v30, 20, v30
	v_and_b32_e32 v26, 0x80000000, v26
	v_lshl_add_u32 v27, v27, 23, v39
	v_or3_b32 v30, v26, v27, v30
.LBB449_248:
	s_or_b64 exec, exec, s[20:21]
.LBB449_249:
	s_or_b64 exec, exec, s[10:11]
.LBB449_250:
	s_or_b64 exec, exec, s[2:3]
	v_cvt_pkrtz_f16_f32 v26, v34, v35
	v_cvt_pkrtz_f16_f32 v27, v33, v36
	;; [unrolled: 1-line block ×4, first 2 shown]
	v_mfma_f32_4x4x4f16 a[0:3], v[18:19], v[26:27], a[0:3] cbsz:4 abid:4
	v_cmp_ne_u16_sdwa s[10:11], v28, v32 src0_sel:BYTE_0 src1_sel:DWORD
	v_mfma_f32_4x4x4f16 a[0:3], v[20:21], v[34:35], a[0:3] cbsz:4 abid:4
	s_and_saveexec_b64 s[2:3], s[10:11]
	s_cbranch_execz .LBB449_256
; %bb.251:
	s_movk_i32 s9, 0x80
	v_cmp_ne_u16_sdwa s[20:21], v28, s9 src0_sel:BYTE_0 src1_sel:DWORD
	v_bfrev_b32_e32 v32, 1
	s_and_saveexec_b64 s[10:11], s[20:21]
	s_cbranch_execz .LBB449_255
; %bb.252:
	s_movk_i32 s9, 0x7f
	v_and_b32_e32 v26, 0x7f, v28
	v_cmp_ne_u32_e32 vcc, s9, v26
	v_mov_b32_e32 v32, 0x7f800001
	s_and_saveexec_b64 s[20:21], vcc
	s_cbranch_execz .LBB449_254
; %bb.253:
	v_and_b32_e32 v27, 7, v28
	v_ffbh_u32_e32 v27, v27
	v_min_u32_e32 v27, 32, v27
	v_subrev_u32_e32 v31, 28, v27
	v_cmp_gt_u32_e32 vcc, 8, v26
	v_lshrrev_b32_e32 v30, 3, v26
	v_sub_u32_e32 v27, 29, v27
	v_cndmask_b32_e32 v26, 0, v31, vcc
	v_cndmask_b32_e32 v30, v30, v27, vcc
	v_lshlrev_b64 v[26:27], v26, v[28:29]
	v_lshlrev_b32_e32 v26, 20, v26
	v_lshlrev_b32_e32 v27, 24, v28
	v_bfrev_b32_e32 v31, 60
	v_and_b32_e32 v26, 0x700000, v26
	v_and_b32_e32 v27, 0x80000000, v27
	v_lshl_add_u32 v30, v30, 23, v31
	v_or3_b32 v32, v27, v30, v26
.LBB449_254:
	s_or_b64 exec, exec, s[20:21]
.LBB449_255:
	s_or_b64 exec, exec, s[10:11]
.LBB449_256:
	s_or_b64 exec, exec, s[2:3]
	v_lshrrev_b16_e32 v26, 8, v28
	v_cmp_ne_u16_e32 vcc, 0, v26
	v_mov_b32_e32 v31, 0
	v_mov_b32_e32 v33, 0
	s_and_saveexec_b64 s[2:3], vcc
	s_cbranch_execz .LBB449_262
; %bb.257:
	s_movk_i32 s9, 0x80
	v_cmp_ne_u16_e32 vcc, s9, v26
	v_bfrev_b32_e32 v33, 1
	s_and_saveexec_b64 s[10:11], vcc
	s_cbranch_execz .LBB449_261
; %bb.258:
	s_movk_i32 s9, 0x7f
	v_and_b32_e32 v27, 0x7f, v26
	v_cmp_ne_u32_e32 vcc, s9, v27
	v_mov_b32_e32 v33, 0x7f800001
	s_and_saveexec_b64 s[20:21], vcc
	s_cbranch_execz .LBB449_260
; %bb.259:
	v_and_b32_e32 v30, 7, v26
	v_ffbh_u32_e32 v34, v30
	v_min_u32_e32 v36, 32, v34
	v_subrev_u32_e32 v34, 28, v36
	v_lshlrev_b64 v[34:35], v34, v[26:27]
	v_lshrrev_b32_e32 v33, 3, v27
	v_sub_u32_e32 v26, 29, v36
	v_and_b32_e32 v34, 7, v34
	v_cmp_gt_u32_e32 vcc, 8, v27
	v_cndmask_b32_e32 v26, v33, v26, vcc
	v_cndmask_b32_e32 v27, v30, v34, vcc
	v_lshlrev_b32_e32 v30, 16, v28
	v_bfrev_b32_e32 v33, 60
	v_lshlrev_b32_e32 v27, 20, v27
	v_and_b32_e32 v30, 0x80000000, v30
	v_lshl_add_u32 v26, v26, 23, v33
	v_or3_b32 v33, v30, v26, v27
.LBB449_260:
	s_or_b64 exec, exec, s[20:21]
.LBB449_261:
	s_or_b64 exec, exec, s[10:11]
.LBB449_262:
	s_or_b64 exec, exec, s[2:3]
	s_movk_i32 s2, 0xff
	v_and_b32_sdwa v27, v28, s2 dst_sel:DWORD dst_unused:UNUSED_PAD src0_sel:WORD_1 src1_sel:DWORD
	v_lshrrev_b32_e32 v26, 16, v28
	v_cmp_ne_u16_e32 vcc, 0, v27
	s_and_saveexec_b64 s[2:3], vcc
	s_cbranch_execz .LBB449_268
; %bb.263:
	s_movk_i32 s9, 0x80
	v_cmp_ne_u16_e32 vcc, s9, v27
	v_bfrev_b32_e32 v31, 1
	s_and_saveexec_b64 s[10:11], vcc
	s_cbranch_execz .LBB449_267
; %bb.264:
	v_bfe_u32 v27, v28, 16, 7
	s_movk_i32 s9, 0x7f
	v_cmp_ne_u32_e32 vcc, s9, v27
	v_mov_b32_e32 v31, 0x7f800001
	s_and_saveexec_b64 s[20:21], vcc
	s_cbranch_execz .LBB449_266
; %bb.265:
	v_and_b32_e32 v34, 7, v26
	v_ffbh_u32_e32 v30, v34
	v_min_u32_e32 v36, 32, v30
	v_subrev_u32_e32 v30, 28, v36
	v_lshlrev_b64 v[30:31], v30, v[26:27]
	v_and_b32_e32 v30, 7, v30
	v_cmp_gt_u32_e32 vcc, 8, v27
	v_lshrrev_b32_e32 v35, 3, v27
	v_sub_u32_e32 v26, 29, v36
	v_cndmask_b32_e32 v27, v34, v30, vcc
	v_mov_b32_e32 v30, 24
	v_cndmask_b32_e32 v26, v35, v26, vcc
	v_lshlrev_b32_sdwa v30, v30, v28 dst_sel:DWORD dst_unused:UNUSED_PAD src0_sel:DWORD src1_sel:WORD_1
	v_bfrev_b32_e32 v31, 60
	v_lshlrev_b32_e32 v27, 20, v27
	v_and_b32_e32 v30, 0x80000000, v30
	v_lshl_add_u32 v26, v26, 23, v31
	v_or3_b32 v31, v30, v26, v27
.LBB449_266:
	s_or_b64 exec, exec, s[20:21]
.LBB449_267:
	s_or_b64 exec, exec, s[10:11]
.LBB449_268:
	s_or_b64 exec, exec, s[2:3]
	s_mov_b32 s2, 0xffffff
	v_cmp_lt_u32_e32 vcc, s2, v28
	v_mov_b32_e32 v27, 0
	v_mov_b32_e32 v34, 0
	s_and_saveexec_b64 s[2:3], vcc
	s_cbranch_execz .LBB449_274
; %bb.269:
	v_lshrrev_b32_e32 v26, 24, v28
	s_movk_i32 s9, 0x80
	v_cmp_ne_u32_e32 vcc, s9, v26
	v_bfrev_b32_e32 v34, 1
	s_and_saveexec_b64 s[10:11], vcc
	s_cbranch_execz .LBB449_273
; %bb.270:
	v_bfe_u32 v30, v28, 24, 7
	s_movk_i32 s9, 0x7f
	v_cmp_ne_u32_e32 vcc, s9, v30
	v_mov_b32_e32 v34, 0x7f800001
	s_and_saveexec_b64 s[20:21], vcc
	s_cbranch_execz .LBB449_272
; %bb.271:
	v_and_b32_e32 v36, 7, v26
	v_ffbh_u32_e32 v34, v36
	v_min_u32_e32 v38, 32, v34
	v_subrev_u32_e32 v34, 28, v38
	v_lshlrev_b64 v[34:35], v34, v[26:27]
	v_lshrrev_b32_e32 v37, 3, v30
	v_sub_u32_e32 v35, 29, v38
	v_and_b32_e32 v34, 7, v34
	v_cmp_gt_u32_e32 vcc, 8, v30
	v_cndmask_b32_e32 v30, v37, v35, vcc
	v_cndmask_b32_e32 v34, v36, v34, vcc
	v_lshlrev_b32_e32 v26, 24, v26
	v_bfrev_b32_e32 v35, 60
	v_lshlrev_b32_e32 v34, 20, v34
	v_and_b32_e32 v26, 0x80000000, v26
	v_lshl_add_u32 v30, v30, 23, v35
	v_or3_b32 v34, v26, v30, v34
.LBB449_272:
	s_or_b64 exec, exec, s[20:21]
.LBB449_273:
	s_or_b64 exec, exec, s[10:11]
.LBB449_274:
	s_or_b64 exec, exec, s[2:3]
	v_mov_b32_e32 v26, v29
	v_cmp_ne_u16_sdwa s[10:11], v29, v27 src0_sel:BYTE_0 src1_sel:DWORD
	s_and_saveexec_b64 s[2:3], s[10:11]
	s_cbranch_execz .LBB449_280
; %bb.275:
	s_movk_i32 s9, 0x80
	v_cmp_ne_u16_sdwa s[20:21], v29, s9 src0_sel:BYTE_0 src1_sel:DWORD
	v_bfrev_b32_e32 v30, 1
	s_and_saveexec_b64 s[10:11], s[20:21]
	s_cbranch_execz .LBB449_279
; %bb.276:
	s_movk_i32 s9, 0x7f
	v_and_b32_e32 v35, 0x7f, v29
	v_cmp_ne_u32_e32 vcc, s9, v35
	v_mov_b32_e32 v30, 0x7f800001
	s_and_saveexec_b64 s[20:21], vcc
	s_cbranch_execz .LBB449_278
; %bb.277:
	v_and_b32_e32 v30, 7, v29
	v_ffbh_u32_e32 v30, v30
	v_min_u32_e32 v30, 32, v30
	v_subrev_u32_e32 v37, 28, v30
	v_cmp_gt_u32_e32 vcc, 8, v35
	v_lshrrev_b32_e32 v36, 3, v35
	v_sub_u32_e32 v30, 29, v30
	v_cndmask_b32_e32 v35, 0, v37, vcc
	v_cndmask_b32_e32 v30, v36, v30, vcc
	v_lshlrev_b64 v[36:37], v35, v[26:27]
	v_lshlrev_b32_e32 v27, 20, v36
	v_lshlrev_b32_e32 v35, 24, v26
	v_bfrev_b32_e32 v36, 60
	v_and_b32_e32 v27, 0x700000, v27
	v_and_b32_e32 v35, 0x80000000, v35
	v_lshl_add_u32 v30, v30, 23, v36
	v_or3_b32 v30, v35, v30, v27
.LBB449_278:
	s_or_b64 exec, exec, s[20:21]
.LBB449_279:
	s_or_b64 exec, exec, s[10:11]
	v_mov_b32_e32 v27, v30
.LBB449_280:
	s_or_b64 exec, exec, s[2:3]
	v_lshrrev_b16_e32 v30, 8, v26
	v_cmp_ne_u16_e32 vcc, 0, v30
	v_mov_b32_e32 v35, 0
	v_mov_b32_e32 v36, 0
	s_and_saveexec_b64 s[2:3], vcc
	s_cbranch_execz .LBB449_286
; %bb.281:
	s_movk_i32 s9, 0x80
	v_cmp_ne_u16_e32 vcc, s9, v30
	v_bfrev_b32_e32 v36, 1
	s_and_saveexec_b64 s[10:11], vcc
	s_cbranch_execz .LBB449_285
; %bb.282:
	s_movk_i32 s9, 0x7f
	v_and_b32_e32 v37, 0x7f, v30
	v_cmp_ne_u32_e32 vcc, s9, v37
	v_mov_b32_e32 v36, 0x7f800001
	s_and_saveexec_b64 s[20:21], vcc
	s_cbranch_execz .LBB449_284
; %bb.283:
	v_and_b32_e32 v36, 7, v30
	v_ffbh_u32_e32 v38, v36
	v_min_u32_e32 v41, 32, v38
	v_subrev_u32_e32 v38, 28, v41
	v_lshlrev_b64 v[38:39], v38, v[30:31]
	v_lshrrev_b32_e32 v40, 3, v37
	v_sub_u32_e32 v30, 29, v41
	v_and_b32_e32 v38, 7, v38
	v_cmp_gt_u32_e32 vcc, 8, v37
	v_cndmask_b32_e32 v30, v40, v30, vcc
	v_cndmask_b32_e32 v36, v36, v38, vcc
	v_lshlrev_b32_e32 v26, 16, v26
	v_bfrev_b32_e32 v37, 60
	v_lshlrev_b32_e32 v36, 20, v36
	v_and_b32_e32 v26, 0x80000000, v26
	v_lshl_add_u32 v30, v30, 23, v37
	v_or3_b32 v36, v26, v30, v36
.LBB449_284:
	s_or_b64 exec, exec, s[20:21]
.LBB449_285:
	s_or_b64 exec, exec, s[10:11]
.LBB449_286:
	s_or_b64 exec, exec, s[2:3]
	s_movk_i32 s2, 0xff
	v_and_b32_sdwa v30, v29, s2 dst_sel:DWORD dst_unused:UNUSED_PAD src0_sel:WORD_1 src1_sel:DWORD
	v_lshrrev_b32_e32 v26, 16, v29
	v_cmp_ne_u16_e32 vcc, 0, v30
	s_and_saveexec_b64 s[2:3], vcc
	s_cbranch_execz .LBB449_292
; %bb.287:
	s_movk_i32 s9, 0x80
	v_cmp_ne_u16_e32 vcc, s9, v30
	v_bfrev_b32_e32 v35, 1
	s_and_saveexec_b64 s[10:11], vcc
	s_cbranch_execz .LBB449_291
; %bb.288:
	v_bfe_u32 v30, v29, 16, 7
	s_movk_i32 s9, 0x7f
	v_cmp_ne_u32_e32 vcc, s9, v30
	v_mov_b32_e32 v35, 0x7f800001
	s_and_saveexec_b64 s[20:21], vcc
	s_cbranch_execz .LBB449_290
; %bb.289:
	v_and_b32_e32 v35, 7, v26
	v_ffbh_u32_e32 v38, v35
	v_min_u32_e32 v40, 32, v38
	v_subrev_u32_e32 v38, 28, v40
	v_lshlrev_b64 v[38:39], v38, v[26:27]
	v_and_b32_e32 v38, 7, v38
	v_cmp_gt_u32_e32 vcc, 8, v30
	v_lshrrev_b32_e32 v37, 3, v30
	v_sub_u32_e32 v26, 29, v40
	v_cndmask_b32_e32 v30, v35, v38, vcc
	v_mov_b32_e32 v35, 24
	v_cndmask_b32_e32 v26, v37, v26, vcc
	v_lshlrev_b32_sdwa v35, v35, v29 dst_sel:DWORD dst_unused:UNUSED_PAD src0_sel:DWORD src1_sel:WORD_1
	v_bfrev_b32_e32 v37, 60
	v_lshlrev_b32_e32 v30, 20, v30
	v_and_b32_e32 v35, 0x80000000, v35
	v_lshl_add_u32 v26, v26, 23, v37
	v_or3_b32 v35, v35, v26, v30
.LBB449_290:
	s_or_b64 exec, exec, s[20:21]
.LBB449_291:
	s_or_b64 exec, exec, s[10:11]
.LBB449_292:
	s_or_b64 exec, exec, s[2:3]
	s_mov_b32 s2, -1
	s_mov_b32 s3, 0xffffff
	v_cmp_lt_u64_e32 vcc, s[2:3], v[28:29]
	v_mov_b32_e32 v30, 0
	v_mov_b32_e32 v28, 0
	s_and_saveexec_b64 s[2:3], vcc
	s_cbranch_execz .LBB449_298
; %bb.293:
	v_lshrrev_b32_e32 v26, 24, v29
	s_movk_i32 s9, 0x80
	v_cmp_ne_u32_e32 vcc, s9, v26
	v_bfrev_b32_e32 v28, 1
	s_and_saveexec_b64 s[10:11], vcc
	s_cbranch_execz .LBB449_297
; %bb.294:
	v_bfe_u32 v29, v29, 24, 7
	s_movk_i32 s9, 0x7f
	v_cmp_ne_u32_e32 vcc, s9, v29
	v_mov_b32_e32 v28, 0x7f800001
	s_and_saveexec_b64 s[20:21], vcc
	s_cbranch_execz .LBB449_296
; %bb.295:
	v_and_b32_e32 v28, 7, v26
	v_ffbh_u32_e32 v38, v28
	v_min_u32_e32 v40, 32, v38
	v_subrev_u32_e32 v38, 28, v40
	v_lshlrev_b64 v[38:39], v38, v[26:27]
	v_lshrrev_b32_e32 v37, 3, v29
	v_sub_u32_e32 v39, 29, v40
	v_and_b32_e32 v38, 7, v38
	v_cmp_gt_u32_e32 vcc, 8, v29
	v_cndmask_b32_e32 v29, v37, v39, vcc
	v_cndmask_b32_e32 v28, v28, v38, vcc
	v_lshlrev_b32_e32 v26, 24, v26
	v_bfrev_b32_e32 v37, 60
	v_lshlrev_b32_e32 v28, 20, v28
	v_and_b32_e32 v26, 0x80000000, v26
	v_lshl_add_u32 v29, v29, 23, v37
	v_or3_b32 v28, v26, v29, v28
.LBB449_296:
	s_or_b64 exec, exec, s[20:21]
.LBB449_297:
	s_or_b64 exec, exec, s[10:11]
.LBB449_298:
	s_or_b64 exec, exec, s[2:3]
	v_cvt_pkrtz_f16_f32 v32, v32, v33
	v_cvt_pkrtz_f16_f32 v33, v31, v34
	;; [unrolled: 1-line block ×4, first 2 shown]
	v_mfma_f32_4x4x4f16 a[0:3], v[18:19], v[32:33], a[0:3] cbsz:4 abid:5
	s_waitcnt vmcnt(4)
	v_cmp_ne_u16_sdwa s[10:11], v22, v30 src0_sel:BYTE_0 src1_sel:DWORD
	v_mfma_f32_4x4x4f16 a[0:3], v[20:21], v[26:27], a[0:3] cbsz:4 abid:5
	s_and_saveexec_b64 s[2:3], s[10:11]
	s_cbranch_execz .LBB449_304
; %bb.299:
	s_movk_i32 s9, 0x80
	v_cmp_ne_u16_sdwa s[20:21], v22, s9 src0_sel:BYTE_0 src1_sel:DWORD
	v_bfrev_b32_e32 v30, 1
	s_and_saveexec_b64 s[10:11], s[20:21]
	s_cbranch_execz .LBB449_303
; %bb.300:
	s_movk_i32 s9, 0x7f
	v_and_b32_e32 v26, 0x7f, v22
	v_cmp_ne_u32_e32 vcc, s9, v26
	v_mov_b32_e32 v30, 0x7f800001
	s_and_saveexec_b64 s[20:21], vcc
	s_cbranch_execz .LBB449_302
; %bb.301:
	v_and_b32_e32 v27, 7, v22
	v_ffbh_u32_e32 v27, v27
	v_min_u32_e32 v27, 32, v27
	v_subrev_u32_e32 v29, 28, v27
	v_cmp_gt_u32_e32 vcc, 8, v26
	v_lshrrev_b32_e32 v28, 3, v26
	v_sub_u32_e32 v27, 29, v27
	v_cndmask_b32_e32 v26, 0, v29, vcc
	v_cndmask_b32_e32 v28, v28, v27, vcc
	v_lshlrev_b64 v[26:27], v26, v[22:23]
	v_lshlrev_b32_e32 v26, 20, v26
	v_lshlrev_b32_e32 v27, 24, v22
	v_bfrev_b32_e32 v29, 60
	v_and_b32_e32 v26, 0x700000, v26
	v_and_b32_e32 v27, 0x80000000, v27
	v_lshl_add_u32 v28, v28, 23, v29
	v_or3_b32 v30, v27, v28, v26
.LBB449_302:
	s_or_b64 exec, exec, s[20:21]
.LBB449_303:
	s_or_b64 exec, exec, s[10:11]
.LBB449_304:
	s_or_b64 exec, exec, s[2:3]
	v_lshrrev_b16_e32 v26, 8, v22
	v_cmp_ne_u16_e32 vcc, 0, v26
	v_mov_b32_e32 v29, 0
	v_mov_b32_e32 v31, 0
	s_and_saveexec_b64 s[2:3], vcc
	s_cbranch_execz .LBB449_310
; %bb.305:
	s_movk_i32 s9, 0x80
	v_cmp_ne_u16_e32 vcc, s9, v26
	v_bfrev_b32_e32 v31, 1
	s_and_saveexec_b64 s[10:11], vcc
	s_cbranch_execz .LBB449_309
; %bb.306:
	s_movk_i32 s9, 0x7f
	v_and_b32_e32 v27, 0x7f, v26
	v_cmp_ne_u32_e32 vcc, s9, v27
	v_mov_b32_e32 v31, 0x7f800001
	s_and_saveexec_b64 s[20:21], vcc
	s_cbranch_execz .LBB449_308
; %bb.307:
	v_and_b32_e32 v28, 7, v26
	v_ffbh_u32_e32 v32, v28
	v_min_u32_e32 v34, 32, v32
	v_subrev_u32_e32 v32, 28, v34
	v_lshlrev_b64 v[32:33], v32, v[26:27]
	v_lshrrev_b32_e32 v31, 3, v27
	v_sub_u32_e32 v26, 29, v34
	v_and_b32_e32 v32, 7, v32
	v_cmp_gt_u32_e32 vcc, 8, v27
	v_cndmask_b32_e32 v26, v31, v26, vcc
	v_cndmask_b32_e32 v27, v28, v32, vcc
	v_lshlrev_b32_e32 v28, 16, v22
	v_bfrev_b32_e32 v31, 60
	v_lshlrev_b32_e32 v27, 20, v27
	v_and_b32_e32 v28, 0x80000000, v28
	v_lshl_add_u32 v26, v26, 23, v31
	v_or3_b32 v31, v28, v26, v27
.LBB449_308:
	s_or_b64 exec, exec, s[20:21]
.LBB449_309:
	s_or_b64 exec, exec, s[10:11]
.LBB449_310:
	s_or_b64 exec, exec, s[2:3]
	s_movk_i32 s2, 0xff
	v_and_b32_sdwa v27, v22, s2 dst_sel:DWORD dst_unused:UNUSED_PAD src0_sel:WORD_1 src1_sel:DWORD
	v_lshrrev_b32_e32 v26, 16, v22
	v_cmp_ne_u16_e32 vcc, 0, v27
	s_and_saveexec_b64 s[2:3], vcc
	s_cbranch_execz .LBB449_316
; %bb.311:
	s_movk_i32 s9, 0x80
	v_cmp_ne_u16_e32 vcc, s9, v27
	v_bfrev_b32_e32 v29, 1
	s_and_saveexec_b64 s[10:11], vcc
	s_cbranch_execz .LBB449_315
; %bb.312:
	v_bfe_u32 v27, v22, 16, 7
	s_movk_i32 s9, 0x7f
	v_cmp_ne_u32_e32 vcc, s9, v27
	v_mov_b32_e32 v29, 0x7f800001
	s_and_saveexec_b64 s[20:21], vcc
	s_cbranch_execz .LBB449_314
; %bb.313:
	v_and_b32_e32 v32, 7, v26
	v_ffbh_u32_e32 v28, v32
	v_min_u32_e32 v34, 32, v28
	v_subrev_u32_e32 v28, 28, v34
	v_lshlrev_b64 v[28:29], v28, v[26:27]
	v_and_b32_e32 v28, 7, v28
	v_cmp_gt_u32_e32 vcc, 8, v27
	v_lshrrev_b32_e32 v33, 3, v27
	v_sub_u32_e32 v26, 29, v34
	v_cndmask_b32_e32 v27, v32, v28, vcc
	v_mov_b32_e32 v28, 24
	v_cndmask_b32_e32 v26, v33, v26, vcc
	v_lshlrev_b32_sdwa v28, v28, v22 dst_sel:DWORD dst_unused:UNUSED_PAD src0_sel:DWORD src1_sel:WORD_1
	v_bfrev_b32_e32 v29, 60
	v_lshlrev_b32_e32 v27, 20, v27
	v_and_b32_e32 v28, 0x80000000, v28
	v_lshl_add_u32 v26, v26, 23, v29
	v_or3_b32 v29, v28, v26, v27
.LBB449_314:
	s_or_b64 exec, exec, s[20:21]
.LBB449_315:
	s_or_b64 exec, exec, s[10:11]
.LBB449_316:
	s_or_b64 exec, exec, s[2:3]
	s_mov_b32 s2, 0xffffff
	v_cmp_lt_u32_e32 vcc, s2, v22
	v_mov_b32_e32 v27, 0
	v_mov_b32_e32 v32, 0
	s_and_saveexec_b64 s[2:3], vcc
	s_cbranch_execz .LBB449_322
; %bb.317:
	v_lshrrev_b32_e32 v26, 24, v22
	s_movk_i32 s9, 0x80
	v_cmp_ne_u32_e32 vcc, s9, v26
	v_bfrev_b32_e32 v32, 1
	s_and_saveexec_b64 s[10:11], vcc
	s_cbranch_execz .LBB449_321
; %bb.318:
	v_bfe_u32 v28, v22, 24, 7
	s_movk_i32 s9, 0x7f
	v_cmp_ne_u32_e32 vcc, s9, v28
	v_mov_b32_e32 v32, 0x7f800001
	s_and_saveexec_b64 s[20:21], vcc
	s_cbranch_execz .LBB449_320
; %bb.319:
	v_and_b32_e32 v34, 7, v26
	v_ffbh_u32_e32 v32, v34
	v_min_u32_e32 v36, 32, v32
	v_subrev_u32_e32 v32, 28, v36
	v_lshlrev_b64 v[32:33], v32, v[26:27]
	v_lshrrev_b32_e32 v35, 3, v28
	v_sub_u32_e32 v33, 29, v36
	v_and_b32_e32 v32, 7, v32
	v_cmp_gt_u32_e32 vcc, 8, v28
	v_cndmask_b32_e32 v28, v35, v33, vcc
	v_cndmask_b32_e32 v32, v34, v32, vcc
	v_lshlrev_b32_e32 v26, 24, v26
	v_bfrev_b32_e32 v33, 60
	v_lshlrev_b32_e32 v32, 20, v32
	v_and_b32_e32 v26, 0x80000000, v26
	v_lshl_add_u32 v28, v28, 23, v33
	v_or3_b32 v32, v26, v28, v32
.LBB449_320:
	s_or_b64 exec, exec, s[20:21]
.LBB449_321:
	s_or_b64 exec, exec, s[10:11]
.LBB449_322:
	s_or_b64 exec, exec, s[2:3]
	v_mov_b32_e32 v26, v23
	v_cmp_ne_u16_sdwa s[10:11], v23, v27 src0_sel:BYTE_0 src1_sel:DWORD
	s_and_saveexec_b64 s[2:3], s[10:11]
	s_cbranch_execz .LBB449_328
; %bb.323:
	s_movk_i32 s9, 0x80
	v_cmp_ne_u16_sdwa s[20:21], v23, s9 src0_sel:BYTE_0 src1_sel:DWORD
	v_bfrev_b32_e32 v28, 1
	s_and_saveexec_b64 s[10:11], s[20:21]
	s_cbranch_execz .LBB449_327
; %bb.324:
	s_movk_i32 s9, 0x7f
	v_and_b32_e32 v33, 0x7f, v23
	v_cmp_ne_u32_e32 vcc, s9, v33
	v_mov_b32_e32 v28, 0x7f800001
	s_and_saveexec_b64 s[20:21], vcc
	s_cbranch_execz .LBB449_326
; %bb.325:
	v_and_b32_e32 v28, 7, v23
	v_ffbh_u32_e32 v28, v28
	v_min_u32_e32 v28, 32, v28
	v_subrev_u32_e32 v35, 28, v28
	v_cmp_gt_u32_e32 vcc, 8, v33
	v_lshrrev_b32_e32 v34, 3, v33
	v_sub_u32_e32 v28, 29, v28
	v_cndmask_b32_e32 v33, 0, v35, vcc
	v_cndmask_b32_e32 v28, v34, v28, vcc
	v_lshlrev_b64 v[34:35], v33, v[26:27]
	v_lshlrev_b32_e32 v27, 20, v34
	v_lshlrev_b32_e32 v33, 24, v26
	v_bfrev_b32_e32 v34, 60
	v_and_b32_e32 v27, 0x700000, v27
	v_and_b32_e32 v33, 0x80000000, v33
	v_lshl_add_u32 v28, v28, 23, v34
	v_or3_b32 v28, v33, v28, v27
.LBB449_326:
	s_or_b64 exec, exec, s[20:21]
.LBB449_327:
	s_or_b64 exec, exec, s[10:11]
	v_mov_b32_e32 v27, v28
.LBB449_328:
	s_or_b64 exec, exec, s[2:3]
	v_lshrrev_b16_e32 v28, 8, v26
	v_cmp_ne_u16_e32 vcc, 0, v28
	v_mov_b32_e32 v33, 0
	v_mov_b32_e32 v34, 0
	s_and_saveexec_b64 s[2:3], vcc
	s_cbranch_execz .LBB449_334
; %bb.329:
	s_movk_i32 s9, 0x80
	v_cmp_ne_u16_e32 vcc, s9, v28
	v_bfrev_b32_e32 v34, 1
	s_and_saveexec_b64 s[10:11], vcc
	s_cbranch_execz .LBB449_333
; %bb.330:
	s_movk_i32 s9, 0x7f
	v_and_b32_e32 v35, 0x7f, v28
	v_cmp_ne_u32_e32 vcc, s9, v35
	v_mov_b32_e32 v34, 0x7f800001
	s_and_saveexec_b64 s[20:21], vcc
	s_cbranch_execz .LBB449_332
; %bb.331:
	v_and_b32_e32 v34, 7, v28
	v_ffbh_u32_e32 v36, v34
	v_min_u32_e32 v39, 32, v36
	v_subrev_u32_e32 v36, 28, v39
	v_lshlrev_b64 v[36:37], v36, v[28:29]
	v_lshrrev_b32_e32 v38, 3, v35
	v_sub_u32_e32 v28, 29, v39
	v_and_b32_e32 v36, 7, v36
	v_cmp_gt_u32_e32 vcc, 8, v35
	v_cndmask_b32_e32 v28, v38, v28, vcc
	v_cndmask_b32_e32 v34, v34, v36, vcc
	v_lshlrev_b32_e32 v26, 16, v26
	v_bfrev_b32_e32 v35, 60
	v_lshlrev_b32_e32 v34, 20, v34
	v_and_b32_e32 v26, 0x80000000, v26
	v_lshl_add_u32 v28, v28, 23, v35
	v_or3_b32 v34, v26, v28, v34
.LBB449_332:
	s_or_b64 exec, exec, s[20:21]
.LBB449_333:
	s_or_b64 exec, exec, s[10:11]
.LBB449_334:
	s_or_b64 exec, exec, s[2:3]
	s_movk_i32 s2, 0xff
	v_and_b32_sdwa v28, v23, s2 dst_sel:DWORD dst_unused:UNUSED_PAD src0_sel:WORD_1 src1_sel:DWORD
	v_lshrrev_b32_e32 v26, 16, v23
	v_cmp_ne_u16_e32 vcc, 0, v28
	s_and_saveexec_b64 s[2:3], vcc
	s_cbranch_execz .LBB449_340
; %bb.335:
	s_movk_i32 s9, 0x80
	v_cmp_ne_u16_e32 vcc, s9, v28
	v_bfrev_b32_e32 v33, 1
	s_and_saveexec_b64 s[10:11], vcc
	s_cbranch_execz .LBB449_339
; %bb.336:
	v_bfe_u32 v28, v23, 16, 7
	s_movk_i32 s9, 0x7f
	v_cmp_ne_u32_e32 vcc, s9, v28
	v_mov_b32_e32 v33, 0x7f800001
	s_and_saveexec_b64 s[20:21], vcc
	s_cbranch_execz .LBB449_338
; %bb.337:
	v_and_b32_e32 v33, 7, v26
	v_ffbh_u32_e32 v36, v33
	v_min_u32_e32 v38, 32, v36
	v_subrev_u32_e32 v36, 28, v38
	v_lshlrev_b64 v[36:37], v36, v[26:27]
	v_and_b32_e32 v36, 7, v36
	v_cmp_gt_u32_e32 vcc, 8, v28
	v_lshrrev_b32_e32 v35, 3, v28
	v_sub_u32_e32 v26, 29, v38
	v_cndmask_b32_e32 v28, v33, v36, vcc
	v_mov_b32_e32 v33, 24
	v_cndmask_b32_e32 v26, v35, v26, vcc
	v_lshlrev_b32_sdwa v33, v33, v23 dst_sel:DWORD dst_unused:UNUSED_PAD src0_sel:DWORD src1_sel:WORD_1
	v_bfrev_b32_e32 v35, 60
	v_lshlrev_b32_e32 v28, 20, v28
	v_and_b32_e32 v33, 0x80000000, v33
	v_lshl_add_u32 v26, v26, 23, v35
	v_or3_b32 v33, v33, v26, v28
.LBB449_338:
	s_or_b64 exec, exec, s[20:21]
.LBB449_339:
	s_or_b64 exec, exec, s[10:11]
.LBB449_340:
	s_or_b64 exec, exec, s[2:3]
	s_mov_b32 s2, -1
	s_mov_b32 s3, 0xffffff
	v_cmp_lt_u64_e32 vcc, s[2:3], v[22:23]
	v_mov_b32_e32 v28, 0
	v_mov_b32_e32 v26, 0
	s_and_saveexec_b64 s[2:3], vcc
	s_cbranch_execz .LBB449_346
; %bb.341:
	v_lshrrev_b32_e32 v22, 24, v23
	s_movk_i32 s9, 0x80
	v_cmp_ne_u32_e32 vcc, s9, v22
	v_bfrev_b32_e32 v26, 1
	s_and_saveexec_b64 s[10:11], vcc
	s_cbranch_execz .LBB449_345
; %bb.342:
	v_bfe_u32 v23, v23, 24, 7
	s_movk_i32 s9, 0x7f
	v_cmp_ne_u32_e32 vcc, s9, v23
	v_mov_b32_e32 v26, 0x7f800001
	s_and_saveexec_b64 s[20:21], vcc
	s_cbranch_execz .LBB449_344
; %bb.343:
	v_and_b32_e32 v26, 7, v22
	v_ffbh_u32_e32 v36, v26
	v_min_u32_e32 v38, 32, v36
	v_subrev_u32_e32 v36, 28, v38
	v_lshlrev_b64 v[36:37], v36, v[22:23]
	v_lshrrev_b32_e32 v35, 3, v23
	v_sub_u32_e32 v37, 29, v38
	v_and_b32_e32 v36, 7, v36
	v_cmp_gt_u32_e32 vcc, 8, v23
	v_cndmask_b32_e32 v23, v35, v37, vcc
	v_cndmask_b32_e32 v26, v26, v36, vcc
	v_lshlrev_b32_e32 v22, 24, v22
	v_bfrev_b32_e32 v35, 60
	v_lshlrev_b32_e32 v26, 20, v26
	v_and_b32_e32 v22, 0x80000000, v22
	v_lshl_add_u32 v23, v23, 23, v35
	v_or3_b32 v26, v22, v23, v26
.LBB449_344:
	s_or_b64 exec, exec, s[20:21]
.LBB449_345:
	s_or_b64 exec, exec, s[10:11]
.LBB449_346:
	s_or_b64 exec, exec, s[2:3]
	v_cvt_pkrtz_f16_f32 v22, v30, v31
	v_cvt_pkrtz_f16_f32 v23, v29, v32
	;; [unrolled: 1-line block ×4, first 2 shown]
	v_mfma_f32_4x4x4f16 a[0:3], v[18:19], v[22:23], a[0:3] cbsz:4 abid:6
	v_cmp_ne_u16_sdwa s[10:11], v24, v28 src0_sel:BYTE_0 src1_sel:DWORD
	v_mfma_f32_4x4x4f16 a[0:3], v[20:21], v[30:31], a[0:3] cbsz:4 abid:6
	s_and_saveexec_b64 s[2:3], s[10:11]
	s_cbranch_execz .LBB449_352
; %bb.347:
	s_movk_i32 s9, 0x80
	v_cmp_ne_u16_sdwa s[20:21], v24, s9 src0_sel:BYTE_0 src1_sel:DWORD
	v_bfrev_b32_e32 v28, 1
	s_and_saveexec_b64 s[10:11], s[20:21]
	s_cbranch_execz .LBB449_351
; %bb.348:
	s_movk_i32 s9, 0x7f
	v_and_b32_e32 v22, 0x7f, v24
	v_cmp_ne_u32_e32 vcc, s9, v22
	v_mov_b32_e32 v28, 0x7f800001
	s_and_saveexec_b64 s[20:21], vcc
	s_cbranch_execz .LBB449_350
; %bb.349:
	v_and_b32_e32 v23, 7, v24
	v_ffbh_u32_e32 v23, v23
	v_min_u32_e32 v23, 32, v23
	v_subrev_u32_e32 v27, 28, v23
	v_cmp_gt_u32_e32 vcc, 8, v22
	v_lshrrev_b32_e32 v26, 3, v22
	v_sub_u32_e32 v23, 29, v23
	v_cndmask_b32_e32 v22, 0, v27, vcc
	v_cndmask_b32_e32 v26, v26, v23, vcc
	v_lshlrev_b64 v[22:23], v22, v[24:25]
	v_lshlrev_b32_e32 v22, 20, v22
	v_lshlrev_b32_e32 v23, 24, v24
	v_bfrev_b32_e32 v27, 60
	v_and_b32_e32 v22, 0x700000, v22
	v_and_b32_e32 v23, 0x80000000, v23
	v_lshl_add_u32 v26, v26, 23, v27
	v_or3_b32 v28, v23, v26, v22
.LBB449_350:
	s_or_b64 exec, exec, s[20:21]
.LBB449_351:
	s_or_b64 exec, exec, s[10:11]
.LBB449_352:
	s_or_b64 exec, exec, s[2:3]
	v_lshrrev_b16_e32 v22, 8, v24
	v_cmp_ne_u16_e32 vcc, 0, v22
	v_mov_b32_e32 v27, 0
	v_mov_b32_e32 v29, 0
	s_and_saveexec_b64 s[2:3], vcc
	s_cbranch_execz .LBB449_358
; %bb.353:
	s_movk_i32 s9, 0x80
	v_cmp_ne_u16_e32 vcc, s9, v22
	v_bfrev_b32_e32 v29, 1
	s_and_saveexec_b64 s[10:11], vcc
	s_cbranch_execz .LBB449_357
; %bb.354:
	s_movk_i32 s9, 0x7f
	v_and_b32_e32 v23, 0x7f, v22
	v_cmp_ne_u32_e32 vcc, s9, v23
	v_mov_b32_e32 v29, 0x7f800001
	s_and_saveexec_b64 s[20:21], vcc
	s_cbranch_execz .LBB449_356
; %bb.355:
	v_and_b32_e32 v26, 7, v22
	v_ffbh_u32_e32 v30, v26
	v_min_u32_e32 v32, 32, v30
	v_subrev_u32_e32 v30, 28, v32
	v_lshlrev_b64 v[30:31], v30, v[22:23]
	v_lshrrev_b32_e32 v29, 3, v23
	v_sub_u32_e32 v22, 29, v32
	v_and_b32_e32 v30, 7, v30
	v_cmp_gt_u32_e32 vcc, 8, v23
	v_cndmask_b32_e32 v22, v29, v22, vcc
	v_cndmask_b32_e32 v23, v26, v30, vcc
	v_lshlrev_b32_e32 v26, 16, v24
	v_bfrev_b32_e32 v29, 60
	v_lshlrev_b32_e32 v23, 20, v23
	v_and_b32_e32 v26, 0x80000000, v26
	v_lshl_add_u32 v22, v22, 23, v29
	v_or3_b32 v29, v26, v22, v23
.LBB449_356:
	s_or_b64 exec, exec, s[20:21]
.LBB449_357:
	s_or_b64 exec, exec, s[10:11]
.LBB449_358:
	s_or_b64 exec, exec, s[2:3]
	s_movk_i32 s2, 0xff
	v_and_b32_sdwa v23, v24, s2 dst_sel:DWORD dst_unused:UNUSED_PAD src0_sel:WORD_1 src1_sel:DWORD
	v_lshrrev_b32_e32 v22, 16, v24
	v_cmp_ne_u16_e32 vcc, 0, v23
	s_and_saveexec_b64 s[2:3], vcc
	s_cbranch_execz .LBB449_364
; %bb.359:
	s_movk_i32 s9, 0x80
	v_cmp_ne_u16_e32 vcc, s9, v23
	v_bfrev_b32_e32 v27, 1
	s_and_saveexec_b64 s[10:11], vcc
	s_cbranch_execz .LBB449_363
; %bb.360:
	v_bfe_u32 v23, v24, 16, 7
	s_movk_i32 s9, 0x7f
	v_cmp_ne_u32_e32 vcc, s9, v23
	v_mov_b32_e32 v27, 0x7f800001
	s_and_saveexec_b64 s[20:21], vcc
	s_cbranch_execz .LBB449_362
; %bb.361:
	v_and_b32_e32 v30, 7, v22
	v_ffbh_u32_e32 v26, v30
	v_min_u32_e32 v32, 32, v26
	v_subrev_u32_e32 v26, 28, v32
	v_lshlrev_b64 v[26:27], v26, v[22:23]
	v_and_b32_e32 v26, 7, v26
	v_cmp_gt_u32_e32 vcc, 8, v23
	v_lshrrev_b32_e32 v31, 3, v23
	v_sub_u32_e32 v22, 29, v32
	v_cndmask_b32_e32 v23, v30, v26, vcc
	v_mov_b32_e32 v26, 24
	v_cndmask_b32_e32 v22, v31, v22, vcc
	v_lshlrev_b32_sdwa v26, v26, v24 dst_sel:DWORD dst_unused:UNUSED_PAD src0_sel:DWORD src1_sel:WORD_1
	v_bfrev_b32_e32 v27, 60
	v_lshlrev_b32_e32 v23, 20, v23
	v_and_b32_e32 v26, 0x80000000, v26
	v_lshl_add_u32 v22, v22, 23, v27
	v_or3_b32 v27, v26, v22, v23
.LBB449_362:
	s_or_b64 exec, exec, s[20:21]
.LBB449_363:
	s_or_b64 exec, exec, s[10:11]
.LBB449_364:
	s_or_b64 exec, exec, s[2:3]
	s_mov_b32 s2, 0xffffff
	v_cmp_lt_u32_e32 vcc, s2, v24
	v_mov_b32_e32 v23, 0
	v_mov_b32_e32 v30, 0
	s_and_saveexec_b64 s[2:3], vcc
	s_cbranch_execz .LBB449_370
; %bb.365:
	v_lshrrev_b32_e32 v22, 24, v24
	s_movk_i32 s9, 0x80
	v_cmp_ne_u32_e32 vcc, s9, v22
	v_bfrev_b32_e32 v30, 1
	s_and_saveexec_b64 s[10:11], vcc
	s_cbranch_execz .LBB449_369
; %bb.366:
	v_bfe_u32 v26, v24, 24, 7
	s_movk_i32 s9, 0x7f
	v_cmp_ne_u32_e32 vcc, s9, v26
	v_mov_b32_e32 v30, 0x7f800001
	s_and_saveexec_b64 s[20:21], vcc
	s_cbranch_execz .LBB449_368
; %bb.367:
	v_and_b32_e32 v32, 7, v22
	v_ffbh_u32_e32 v30, v32
	v_min_u32_e32 v34, 32, v30
	v_subrev_u32_e32 v30, 28, v34
	v_lshlrev_b64 v[30:31], v30, v[22:23]
	v_lshrrev_b32_e32 v33, 3, v26
	v_sub_u32_e32 v31, 29, v34
	v_and_b32_e32 v30, 7, v30
	v_cmp_gt_u32_e32 vcc, 8, v26
	v_cndmask_b32_e32 v26, v33, v31, vcc
	v_cndmask_b32_e32 v30, v32, v30, vcc
	v_lshlrev_b32_e32 v22, 24, v22
	v_bfrev_b32_e32 v31, 60
	v_lshlrev_b32_e32 v30, 20, v30
	v_and_b32_e32 v22, 0x80000000, v22
	v_lshl_add_u32 v26, v26, 23, v31
	v_or3_b32 v30, v22, v26, v30
.LBB449_368:
	s_or_b64 exec, exec, s[20:21]
.LBB449_369:
	s_or_b64 exec, exec, s[10:11]
.LBB449_370:
	s_or_b64 exec, exec, s[2:3]
	v_mov_b32_e32 v22, v25
	v_cmp_ne_u16_sdwa s[10:11], v25, v23 src0_sel:BYTE_0 src1_sel:DWORD
	s_and_saveexec_b64 s[2:3], s[10:11]
	s_cbranch_execz .LBB449_376
; %bb.371:
	s_movk_i32 s9, 0x80
	v_cmp_ne_u16_sdwa s[20:21], v25, s9 src0_sel:BYTE_0 src1_sel:DWORD
	v_bfrev_b32_e32 v26, 1
	s_and_saveexec_b64 s[10:11], s[20:21]
	s_cbranch_execz .LBB449_375
; %bb.372:
	s_movk_i32 s9, 0x7f
	v_and_b32_e32 v31, 0x7f, v25
	v_cmp_ne_u32_e32 vcc, s9, v31
	v_mov_b32_e32 v26, 0x7f800001
	s_and_saveexec_b64 s[20:21], vcc
	s_cbranch_execz .LBB449_374
; %bb.373:
	v_and_b32_e32 v26, 7, v25
	v_ffbh_u32_e32 v26, v26
	v_min_u32_e32 v26, 32, v26
	v_subrev_u32_e32 v33, 28, v26
	v_cmp_gt_u32_e32 vcc, 8, v31
	v_lshrrev_b32_e32 v32, 3, v31
	v_sub_u32_e32 v26, 29, v26
	v_cndmask_b32_e32 v31, 0, v33, vcc
	v_cndmask_b32_e32 v26, v32, v26, vcc
	v_lshlrev_b64 v[32:33], v31, v[22:23]
	v_lshlrev_b32_e32 v23, 20, v32
	v_lshlrev_b32_e32 v31, 24, v22
	v_bfrev_b32_e32 v32, 60
	v_and_b32_e32 v23, 0x700000, v23
	v_and_b32_e32 v31, 0x80000000, v31
	v_lshl_add_u32 v26, v26, 23, v32
	v_or3_b32 v26, v31, v26, v23
.LBB449_374:
	s_or_b64 exec, exec, s[20:21]
.LBB449_375:
	s_or_b64 exec, exec, s[10:11]
	v_mov_b32_e32 v23, v26
.LBB449_376:
	s_or_b64 exec, exec, s[2:3]
	v_lshrrev_b16_e32 v26, 8, v22
	v_cmp_ne_u16_e32 vcc, 0, v26
	v_mov_b32_e32 v31, 0
	v_mov_b32_e32 v32, 0
	s_and_saveexec_b64 s[2:3], vcc
	s_cbranch_execz .LBB449_382
; %bb.377:
	s_movk_i32 s9, 0x80
	v_cmp_ne_u16_e32 vcc, s9, v26
	v_bfrev_b32_e32 v32, 1
	s_and_saveexec_b64 s[10:11], vcc
	s_cbranch_execz .LBB449_381
; %bb.378:
	s_movk_i32 s9, 0x7f
	v_and_b32_e32 v33, 0x7f, v26
	v_cmp_ne_u32_e32 vcc, s9, v33
	v_mov_b32_e32 v32, 0x7f800001
	s_and_saveexec_b64 s[20:21], vcc
	s_cbranch_execz .LBB449_380
; %bb.379:
	v_and_b32_e32 v32, 7, v26
	v_ffbh_u32_e32 v34, v32
	v_min_u32_e32 v37, 32, v34
	v_subrev_u32_e32 v34, 28, v37
	v_lshlrev_b64 v[34:35], v34, v[26:27]
	v_lshrrev_b32_e32 v36, 3, v33
	v_sub_u32_e32 v26, 29, v37
	v_and_b32_e32 v34, 7, v34
	v_cmp_gt_u32_e32 vcc, 8, v33
	v_cndmask_b32_e32 v26, v36, v26, vcc
	v_cndmask_b32_e32 v32, v32, v34, vcc
	v_lshlrev_b32_e32 v22, 16, v22
	v_bfrev_b32_e32 v33, 60
	v_lshlrev_b32_e32 v32, 20, v32
	v_and_b32_e32 v22, 0x80000000, v22
	v_lshl_add_u32 v26, v26, 23, v33
	v_or3_b32 v32, v22, v26, v32
.LBB449_380:
	s_or_b64 exec, exec, s[20:21]
.LBB449_381:
	s_or_b64 exec, exec, s[10:11]
.LBB449_382:
	s_or_b64 exec, exec, s[2:3]
	s_movk_i32 s2, 0xff
	v_and_b32_sdwa v26, v25, s2 dst_sel:DWORD dst_unused:UNUSED_PAD src0_sel:WORD_1 src1_sel:DWORD
	v_lshrrev_b32_e32 v22, 16, v25
	v_cmp_ne_u16_e32 vcc, 0, v26
	s_and_saveexec_b64 s[2:3], vcc
	s_cbranch_execz .LBB449_388
; %bb.383:
	s_movk_i32 s9, 0x80
	v_cmp_ne_u16_e32 vcc, s9, v26
	v_bfrev_b32_e32 v31, 1
	s_and_saveexec_b64 s[10:11], vcc
	s_cbranch_execz .LBB449_387
; %bb.384:
	v_bfe_u32 v26, v25, 16, 7
	s_movk_i32 s9, 0x7f
	v_cmp_ne_u32_e32 vcc, s9, v26
	v_mov_b32_e32 v31, 0x7f800001
	s_and_saveexec_b64 s[20:21], vcc
	s_cbranch_execz .LBB449_386
; %bb.385:
	v_and_b32_e32 v31, 7, v22
	v_ffbh_u32_e32 v34, v31
	v_min_u32_e32 v36, 32, v34
	v_subrev_u32_e32 v34, 28, v36
	v_lshlrev_b64 v[34:35], v34, v[22:23]
	v_and_b32_e32 v34, 7, v34
	v_cmp_gt_u32_e32 vcc, 8, v26
	v_lshrrev_b32_e32 v33, 3, v26
	v_sub_u32_e32 v22, 29, v36
	v_cndmask_b32_e32 v26, v31, v34, vcc
	v_mov_b32_e32 v31, 24
	v_cndmask_b32_e32 v22, v33, v22, vcc
	v_lshlrev_b32_sdwa v31, v31, v25 dst_sel:DWORD dst_unused:UNUSED_PAD src0_sel:DWORD src1_sel:WORD_1
	v_bfrev_b32_e32 v33, 60
	v_lshlrev_b32_e32 v26, 20, v26
	v_and_b32_e32 v31, 0x80000000, v31
	v_lshl_add_u32 v22, v22, 23, v33
	v_or3_b32 v31, v31, v22, v26
.LBB449_386:
	s_or_b64 exec, exec, s[20:21]
.LBB449_387:
	s_or_b64 exec, exec, s[10:11]
.LBB449_388:
	s_or_b64 exec, exec, s[2:3]
	s_mov_b32 s2, -1
	s_mov_b32 s3, 0xffffff
	v_cmp_lt_u64_e32 vcc, s[2:3], v[24:25]
	v_mov_b32_e32 v24, 0
	s_and_saveexec_b64 s[2:3], vcc
	s_cbranch_execz .LBB449_394
; %bb.389:
	v_lshrrev_b32_e32 v22, 24, v25
	s_movk_i32 s9, 0x80
	v_cmp_ne_u32_e32 vcc, s9, v22
	v_bfrev_b32_e32 v24, 1
	s_and_saveexec_b64 s[10:11], vcc
	s_cbranch_execz .LBB449_393
; %bb.390:
	v_bfe_u32 v25, v25, 24, 7
	s_movk_i32 s9, 0x7f
	v_cmp_ne_u32_e32 vcc, s9, v25
	v_mov_b32_e32 v24, 0x7f800001
	s_and_saveexec_b64 s[20:21], vcc
	s_cbranch_execz .LBB449_392
; %bb.391:
	v_and_b32_e32 v24, 7, v22
	v_ffbh_u32_e32 v33, v24
	v_min_u32_e32 v33, 32, v33
	v_subrev_u32_e32 v34, 28, v33
	v_lshlrev_b64 v[34:35], v34, v[22:23]
	v_lshrrev_b32_e32 v26, 3, v25
	v_sub_u32_e32 v33, 29, v33
	v_and_b32_e32 v34, 7, v34
	v_cmp_gt_u32_e32 vcc, 8, v25
	v_cndmask_b32_e32 v25, v26, v33, vcc
	v_cndmask_b32_e32 v24, v24, v34, vcc
	v_lshlrev_b32_e32 v22, 24, v22
	v_bfrev_b32_e32 v26, 60
	v_lshlrev_b32_e32 v24, 20, v24
	v_and_b32_e32 v22, 0x80000000, v22
	v_lshl_add_u32 v25, v25, 23, v26
	v_or3_b32 v24, v22, v25, v24
.LBB449_392:
	s_or_b64 exec, exec, s[20:21]
.LBB449_393:
	s_or_b64 exec, exec, s[10:11]
.LBB449_394:
	s_or_b64 exec, exec, s[2:3]
	s_load_dword s2, s[4:5], 0x1c
	v_cvt_pkrtz_f16_f32 v26, v28, v29
	v_cvt_pkrtz_f16_f32 v27, v27, v30
	s_load_dword s3, s[12:13], 0x0
	v_cvt_pkrtz_f16_f32 v22, v23, v32
	v_mfma_f32_4x4x4f16 a[0:3], v[18:19], v[26:27], a[0:3] cbsz:4 abid:7
	v_cvt_pkrtz_f16_f32 v23, v31, v24
	s_waitcnt lgkmcnt(0)
	v_mov_b32_e32 v18, s2
	v_cmp_eq_u32_e32 vcc, 0, v43
	v_mfma_f32_4x4x4f16 a[0:3], v[20:21], v[22:23], a[0:3] cbsz:4 abid:7
	v_mul_f32_e32 v20, s3, v18
	s_nop 3
	v_accvgpr_read_b32 v23, a1
	v_accvgpr_read_b32 v22, a0
	v_pk_mul_f32 v[22:23], v[22:23], v[20:21] op_sel_hi:[1,0]
	v_accvgpr_read_b32 v19, a3
	v_accvgpr_read_b32 v18, a2
	v_pk_mul_f32 v[18:19], v[18:19], v[20:21] op_sel_hi:[1,0]
	v_cndmask_b32_e64 v20, 0, 1.0, vcc
	v_cmp_eq_u32_e32 vcc, 1, v43
	s_nop 0
	v_mfma_f32_4x4x1f32 a[0:3], v22, v20, 0
	v_cndmask_b32_e64 v20, 0, 1.0, vcc
	v_cmp_eq_u32_e32 vcc, 2, v43
	v_mov_b32_e32 v22, 0xff7fffff
	v_mfma_f32_4x4x1f32 a[0:3], v23, v20, a[0:3]
	v_cndmask_b32_e64 v20, 0, 1.0, vcc
	v_cmp_eq_u32_e32 vcc, 3, v43
	s_nop 0
	v_mfma_f32_4x4x1f32 a[0:3], v18, v20, a[0:3]
	v_cndmask_b32_e64 v18, 0, 1.0, vcc
	s_nop 1
	v_mfma_f32_4x4x1f32 a[0:3], v19, v18, a[0:3]
	v_and_b32_e32 v18, -4, v44
	v_cmp_gt_i32_e32 vcc, s7, v18
	v_lshlrev_b32_e32 v19, 2, v0
	v_and_or_b32 v19, v19, 48, v43
	s_nop 0
	v_accvgpr_read_b32 v20, a0
	v_max_f32_e32 v21, v20, v20
	v_max_f32_e32 v21, 0xff7fffff, v21
	v_accvgpr_read_b32 v23, a1
	v_cndmask_b32_e32 v21, v22, v21, vcc
	v_or_b32_e32 v22, 1, v18
	v_max_f32_e32 v24, v23, v23
	v_max_f32_e32 v24, v21, v24
	v_cmp_gt_i32_e64 s[2:3], s7, v22
	v_accvgpr_read_b32 v22, a2
	v_cndmask_b32_e64 v21, v21, v24, s[2:3]
	v_or_b32_e32 v18, 2, v18
	v_max_f32_e32 v24, v22, v22
	v_max_f32_e32 v24, v21, v24
	v_cmp_gt_i32_e64 s[4:5], s7, v18
	v_cndmask_b32_e64 v18, v21, v24, s[4:5]
	v_accvgpr_read_b32 v24, a3
	v_or_b32_e32 v21, 3, v44
	v_max_f32_e32 v25, v24, v24
	v_max_f32_e32 v25, v18, v25
	v_cmp_gt_i32_e64 s[10:11], s7, v21
	v_cndmask_b32_e64 v18, v18, v25, s[10:11]
	;;#ASMSTART
	v_nop
 v_nop
 v_max_f32_dpp v18, v18, v18 row_ror:4
	;;#ASMEND
	v_lshlrev_b32_e32 v25, 2, v19
	;;#ASMSTART
	v_nop
 v_nop
 v_max_f32_dpp v18, v18, v18 row_ror:8
	;;#ASMEND
	ds_bpermute_b32 v18, v25, v18
	s_waitcnt lgkmcnt(0)
	;;#ASMSTART
	v_nop
 v_nop
 v_max_f32_dpp v18, v18, v18 row_ror:4
	;;#ASMEND
	;;#ASMSTART
	v_nop
 v_nop
 v_max_f32_dpp v26, v18, v18 row_ror:8
	;;#ASMEND
	v_sub_f32_e32 v18, v20, v26
	v_mul_f32_e32 v18, 0x3fb8aa3b, v18
	v_sub_f32_e32 v19, v23, v26
	v_exp_f32_e32 v18, v18
	v_mul_f32_e32 v19, 0x3fb8aa3b, v19
	v_sub_f32_e32 v21, v22, v26
	v_exp_f32_e32 v19, v19
	;; [unrolled: 3-line block ×3, first 2 shown]
	v_mul_f32_e32 v22, 0x3fb8aa3b, v22
	v_exp_f32_e32 v22, v22
	v_cndmask_b32_e32 v18, 0, v18, vcc
	v_add_f32_e32 v20, 0, v18
	v_cndmask_b32_e64 v19, 0, v19, s[2:3]
	v_add_f32_e32 v23, v20, v19
	v_cndmask_b32_e64 v20, 0, v21, s[4:5]
	;; [unrolled: 2-line block ×3, first 2 shown]
	v_add_f32_e32 v22, v23, v21
	;;#ASMSTART
	v_nop
 v_nop
 v_add_f32_dpp v22, v22, v22 row_ror:4
	;;#ASMEND
	;;#ASMSTART
	v_nop
 v_nop
 v_add_f32_dpp v22, v22, v22 row_ror:8
	;;#ASMEND
	ds_bpermute_b32 v22, v25, v22
	s_waitcnt lgkmcnt(0)
	;;#ASMSTART
	v_nop
 v_nop
 v_add_f32_dpp v22, v22, v22 row_ror:4
	;;#ASMEND
	v_cmp_gt_u32_e32 vcc, 4, v1
	;;#ASMSTART
	v_nop
 v_nop
 v_add_f32_dpp v22, v22, v22 row_ror:8
	;;#ASMEND
	s_and_saveexec_b64 s[2:3], vcc
	s_cbranch_execz .LBB449_396
; %bb.395:
	v_mul_u32_u24_e32 v23, 20, v42
	v_lshl_add_u32 v23, v43, 2, v23
	v_add_u32_e32 v23, 0x800, v23
	ds_write2_b32 v23, v26, v22 offset0:128 offset1:148
.LBB449_396:
	s_or_b64 exec, exec, s[2:3]
.LBB449_397:
	s_or_b64 exec, exec, s[36:37]
	v_lshlrev_b32_e32 v22, 2, v43
	v_add_u32_e32 v30, 0x800, v22
	s_waitcnt lgkmcnt(0)
	s_barrier
	s_load_dword s2, s[34:35], 0x8
	ds_read2_b32 v[22:23], v30 offset0:128 offset1:133
	ds_read2_b32 v[24:25], v30 offset0:138 offset1:143
	s_mov_b32 s7, 0xff7fffff
	s_mul_i32 s3, s6, s33
	ds_read2_b32 v[28:29], v30 offset0:148 offset1:153
	s_waitcnt lgkmcnt(0)
	v_max3_f32 v27, v22, s7, v23
	v_max3_f32 v27, v27, v24, v25
	v_sub_f32_e32 v22, v22, v27
	v_mul_f32_e32 v22, 0x3fb8aa3b, v22
	v_exp_f32_e32 v31, v22
	v_sub_f32_e32 v22, v23, v27
	s_mul_i32 s3, s3, s2
	v_mul_f32_e32 v22, 0x3fb8aa3b, v22
	v_sub_f32_e32 v24, v24, v27
	s_lshl_b32 s2, s3, 2
	s_mov_b32 s3, 0
	v_exp_f32_e32 v32, v22
	ds_read2_b32 v[22:23], v30 offset0:158 offset1:163
	v_mul_f32_e32 v24, 0x3fb8aa3b, v24
	v_sub_f32_e32 v25, v25, v27
	s_lshl_b32 s10, s8, 2
	s_lshl_b64 s[4:5], s[2:3], 2
	v_exp_f32_e32 v24, v24
	v_mul_f32_e32 v25, 0x3fb8aa3b, v25
	s_mov_b32 s29, s3
	s_add_u32 s3, s16, s4
	v_exp_f32_e32 v25, v25
	s_addc_u32 s6, s17, s5
	v_fma_f32 v28, v31, v28, 0
	s_add_u32 s7, s18, s4
	v_fmac_f32_e32 v28, v32, v29
	s_addc_u32 s8, s19, s5
	s_lshl_b64 s[4:5], s[28:29], 2
	s_waitcnt lgkmcnt(0)
	v_fmac_f32_e32 v28, v24, v22
	v_or_b32_e32 v22, s10, v43
	s_add_u32 s7, s7, s4
	v_fmac_f32_e32 v28, v25, v23
	v_mul_lo_u32 v22, s33, v22
	v_mov_b32_e32 v23, 0
	s_addc_u32 s8, s8, s5
	v_lshlrev_b64 v[24:25], 2, v[22:23]
	s_add_u32 s3, s3, s4
	v_mov_b32_e32 v22, s8
	v_add_co_u32_e32 v30, vcc, s7, v24
	s_addc_u32 s4, s6, s5
	v_addc_co_u32_e32 v31, vcc, v22, v25, vcc
	v_mov_b32_e32 v22, s4
	v_add_co_u32_e32 v24, vcc, s3, v24
	v_addc_co_u32_e32 v25, vcc, v22, v25, vcc
	global_store_dword v[24:25], v28, off
	v_lshlrev_b32_e32 v25, 3, v42
	global_store_dword v[30:31], v27, off
	s_and_saveexec_b64 s[4:5], s[0:1]
	s_xor_b64 s[0:1], exec, s[4:5]
	s_cbranch_execz .LBB449_399
; %bb.398:
	s_waitcnt vmcnt(3)
	v_mad_u32_u24 v2, v1, 40, v25
	v_mov_b32_e32 v22, v23
	ds_write_b64 v2, v[22:23]
                                        ; implicit-def: $vgpr21
                                        ; implicit-def: $vgpr19
                                        ; implicit-def: $vgpr26
                                        ; implicit-def: $vgpr14_vgpr15
                                        ; implicit-def: $vgpr10_vgpr11
                                        ; implicit-def: $vgpr6_vgpr7
                                        ; implicit-def: $vgpr2_vgpr3
                                        ; implicit-def: $vgpr27
                                        ; implicit-def: $vgpr28
                                        ; implicit-def: $vgpr25
.LBB449_399:
	s_andn2_saveexec_b64 s[0:1], s[0:1]
	s_cbranch_execz .LBB449_785
; %bb.400:
	v_mov_b32_e32 v29, 0
	s_waitcnt vmcnt(4)
	v_cmp_ne_u16_sdwa s[6:7], v14, v29 src0_sel:BYTE_0 src1_sel:DWORD
	v_mov_b32_e32 v30, 0
	s_and_saveexec_b64 s[4:5], s[6:7]
	s_cbranch_execz .LBB449_406
; %bb.401:
	s_movk_i32 s3, 0x80
	v_cmp_ne_u16_sdwa s[8:9], v14, s3 src0_sel:BYTE_0 src1_sel:DWORD
	v_bfrev_b32_e32 v30, 1
	s_and_saveexec_b64 s[6:7], s[8:9]
	s_cbranch_execz .LBB449_405
; %bb.402:
	s_movk_i32 s3, 0x7f
	v_and_b32_e32 v22, 0x7f, v14
	v_cmp_ne_u32_e32 vcc, s3, v22
	v_mov_b32_e32 v30, 0x7f800001
	s_and_saveexec_b64 s[8:9], vcc
	s_cbranch_execz .LBB449_404
; %bb.403:
	v_and_b32_e32 v23, 7, v14
	v_ffbh_u32_e32 v23, v23
	v_min_u32_e32 v23, 32, v23
	v_subrev_u32_e32 v30, 28, v23
	v_cmp_gt_u32_e32 vcc, 8, v22
	v_lshrrev_b32_e32 v24, 3, v22
	v_sub_u32_e32 v23, 29, v23
	v_cndmask_b32_e32 v22, 0, v30, vcc
	v_cndmask_b32_e32 v24, v24, v23, vcc
	v_lshlrev_b64 v[22:23], v22, v[14:15]
	v_lshlrev_b32_e32 v22, 20, v22
	v_lshlrev_b32_e32 v23, 24, v14
	v_bfrev_b32_e32 v30, 60
	v_and_b32_e32 v22, 0x700000, v22
	v_and_b32_e32 v23, 0x80000000, v23
	v_lshl_add_u32 v24, v24, 23, v30
	v_or3_b32 v30, v23, v24, v22
.LBB449_404:
	s_or_b64 exec, exec, s[8:9]
.LBB449_405:
	s_or_b64 exec, exec, s[6:7]
.LBB449_406:
	s_or_b64 exec, exec, s[4:5]
	v_lshrrev_b16_e32 v22, 8, v14
	v_cmp_ne_u16_e32 vcc, 0, v22
	s_and_saveexec_b64 s[4:5], vcc
	s_cbranch_execz .LBB449_412
; %bb.407:
	s_movk_i32 s3, 0x80
	v_cmp_ne_u16_e32 vcc, s3, v22
	v_bfrev_b32_e32 v29, 1
	s_and_saveexec_b64 s[6:7], vcc
	s_cbranch_execz .LBB449_411
; %bb.408:
	s_movk_i32 s3, 0x7f
	v_and_b32_e32 v23, 0x7f, v22
	v_cmp_ne_u32_e32 vcc, s3, v23
	v_mov_b32_e32 v29, 0x7f800001
	s_and_saveexec_b64 s[8:9], vcc
	s_cbranch_execz .LBB449_410
; %bb.409:
	v_and_b32_e32 v24, 7, v22
	v_ffbh_u32_e32 v31, v24
	v_min_u32_e32 v31, 32, v31
	v_subrev_u32_e32 v32, 28, v31
	v_lshlrev_b64 v[32:33], v32, v[22:23]
	v_lshrrev_b32_e32 v29, 3, v23
	v_sub_u32_e32 v22, 29, v31
	v_and_b32_e32 v31, 7, v32
	v_cmp_gt_u32_e32 vcc, 8, v23
	v_cndmask_b32_e32 v22, v29, v22, vcc
	v_cndmask_b32_e32 v23, v24, v31, vcc
	v_lshlrev_b32_e32 v24, 16, v14
	v_bfrev_b32_e32 v29, 60
	v_lshlrev_b32_e32 v23, 20, v23
	v_and_b32_e32 v24, 0x80000000, v24
	v_lshl_add_u32 v22, v22, 23, v29
	v_or3_b32 v29, v24, v22, v23
.LBB449_410:
	s_or_b64 exec, exec, s[8:9]
.LBB449_411:
	s_or_b64 exec, exec, s[6:7]
.LBB449_412:
	s_or_b64 exec, exec, s[4:5]
	s_movk_i32 s3, 0xff
	v_and_b32_sdwa v23, v14, s3 dst_sel:DWORD dst_unused:UNUSED_PAD src0_sel:WORD_1 src1_sel:DWORD
	v_lshrrev_b32_e32 v22, 16, v14
	v_cmp_ne_u16_e32 vcc, 0, v23
	v_mov_b32_e32 v31, 0
	v_mov_b32_e32 v32, 0
	s_and_saveexec_b64 s[4:5], vcc
	s_cbranch_execz .LBB449_418
; %bb.413:
	s_movk_i32 s3, 0x80
	v_cmp_ne_u16_e32 vcc, s3, v23
	v_bfrev_b32_e32 v32, 1
	s_and_saveexec_b64 s[6:7], vcc
	s_cbranch_execz .LBB449_417
; %bb.414:
	v_bfe_u32 v23, v14, 16, 7
	s_movk_i32 s3, 0x7f
	v_cmp_ne_u32_e32 vcc, s3, v23
	v_mov_b32_e32 v32, 0x7f800001
	s_and_saveexec_b64 s[8:9], vcc
	s_cbranch_execz .LBB449_416
; %bb.415:
	v_and_b32_e32 v24, 7, v22
	v_ffbh_u32_e32 v32, v24
	v_min_u32_e32 v35, 32, v32
	v_subrev_u32_e32 v32, 28, v35
	v_lshlrev_b64 v[32:33], v32, v[22:23]
	v_and_b32_e32 v32, 7, v32
	v_cmp_gt_u32_e32 vcc, 8, v23
	v_lshrrev_b32_e32 v34, 3, v23
	v_sub_u32_e32 v22, 29, v35
	v_cndmask_b32_e32 v23, v24, v32, vcc
	v_mov_b32_e32 v24, 24
	v_cndmask_b32_e32 v22, v34, v22, vcc
	v_lshlrev_b32_sdwa v24, v24, v14 dst_sel:DWORD dst_unused:UNUSED_PAD src0_sel:DWORD src1_sel:WORD_1
	v_bfrev_b32_e32 v32, 60
	v_lshlrev_b32_e32 v23, 20, v23
	v_and_b32_e32 v24, 0x80000000, v24
	v_lshl_add_u32 v22, v22, 23, v32
	v_or3_b32 v32, v24, v22, v23
.LBB449_416:
	s_or_b64 exec, exec, s[8:9]
.LBB449_417:
	s_or_b64 exec, exec, s[6:7]
.LBB449_418:
	s_or_b64 exec, exec, s[4:5]
	s_mov_b32 s3, 0xffffff
	v_cmp_lt_u32_e32 vcc, s3, v14
	s_and_saveexec_b64 s[4:5], vcc
	s_cbranch_execz .LBB449_424
; %bb.419:
	v_lshrrev_b32_e32 v22, 24, v14
	s_movk_i32 s3, 0x80
	v_cmp_ne_u32_e32 vcc, s3, v22
	v_bfrev_b32_e32 v31, 1
	s_and_saveexec_b64 s[6:7], vcc
	s_cbranch_execz .LBB449_423
; %bb.420:
	v_bfe_u32 v23, v14, 24, 7
	s_movk_i32 s3, 0x7f
	v_cmp_ne_u32_e32 vcc, s3, v23
	v_mov_b32_e32 v31, 0x7f800001
	s_and_saveexec_b64 s[8:9], vcc
	s_cbranch_execz .LBB449_422
; %bb.421:
	v_and_b32_e32 v24, 7, v22
	v_ffbh_u32_e32 v33, v24
	v_min_u32_e32 v33, 32, v33
	v_subrev_u32_e32 v34, 28, v33
	v_lshlrev_b64 v[34:35], v34, v[22:23]
	v_lshrrev_b32_e32 v31, 3, v23
	v_sub_u32_e32 v33, 29, v33
	v_and_b32_e32 v34, 7, v34
	v_cmp_gt_u32_e32 vcc, 8, v23
	v_cndmask_b32_e32 v23, v31, v33, vcc
	v_cndmask_b32_e32 v24, v24, v34, vcc
	v_lshlrev_b32_e32 v22, 24, v22
	v_bfrev_b32_e32 v31, 60
	v_lshlrev_b32_e32 v24, 20, v24
	v_and_b32_e32 v22, 0x80000000, v22
	v_lshl_add_u32 v23, v23, 23, v31
	v_or3_b32 v31, v22, v23, v24
.LBB449_422:
	s_or_b64 exec, exec, s[8:9]
.LBB449_423:
	s_or_b64 exec, exec, s[6:7]
.LBB449_424:
	s_or_b64 exec, exec, s[4:5]
	v_mov_b32_e32 v23, 0
	v_mov_b32_e32 v22, v15
	v_cmp_ne_u16_sdwa s[6:7], v15, v23 src0_sel:BYTE_0 src1_sel:DWORD
	v_mov_b32_e32 v33, v23
	s_and_saveexec_b64 s[4:5], s[6:7]
	s_cbranch_execz .LBB449_430
; %bb.425:
	s_movk_i32 s3, 0x80
	v_cmp_ne_u16_sdwa s[8:9], v15, s3 src0_sel:BYTE_0 src1_sel:DWORD
	v_bfrev_b32_e32 v33, 1
	s_and_saveexec_b64 s[6:7], s[8:9]
	s_cbranch_execz .LBB449_429
; %bb.426:
	s_movk_i32 s3, 0x7f
	v_and_b32_e32 v24, 0x7f, v15
	v_cmp_ne_u32_e32 vcc, s3, v24
	v_mov_b32_e32 v33, 0x7f800001
	s_and_saveexec_b64 s[8:9], vcc
	s_cbranch_execz .LBB449_428
; %bb.427:
	v_and_b32_e32 v33, 7, v15
	v_ffbh_u32_e32 v33, v33
	v_min_u32_e32 v33, 32, v33
	v_lshrrev_b32_e32 v34, 3, v24
	v_subrev_u32_e32 v35, 28, v33
	v_sub_u32_e32 v33, 29, v33
	v_cmp_gt_u32_e32 vcc, 8, v24
	v_cndmask_b32_e32 v24, v34, v33, vcc
	v_cndmask_b32_e32 v33, 0, v35, vcc
	v_lshlrev_b64 v[34:35], v33, v[22:23]
	v_lshlrev_b32_e32 v33, 20, v34
	v_lshlrev_b32_e32 v34, 24, v22
	v_bfrev_b32_e32 v35, 60
	v_and_b32_e32 v33, 0x700000, v33
	v_and_b32_e32 v34, 0x80000000, v34
	v_lshl_add_u32 v24, v24, 23, v35
	v_or3_b32 v33, v34, v24, v33
.LBB449_428:
	s_or_b64 exec, exec, s[8:9]
.LBB449_429:
	s_or_b64 exec, exec, s[6:7]
.LBB449_430:
	s_or_b64 exec, exec, s[4:5]
	v_lshrrev_b16_e32 v24, 8, v22
	v_cmp_ne_u16_e32 vcc, 0, v24
	s_and_saveexec_b64 s[4:5], vcc
	s_cbranch_execz .LBB449_436
; %bb.431:
	s_movk_i32 s3, 0x80
	v_cmp_ne_u16_e32 vcc, s3, v24
	v_bfrev_b32_e32 v23, 1
	s_and_saveexec_b64 s[6:7], vcc
	s_cbranch_execz .LBB449_435
; %bb.432:
	s_movk_i32 s3, 0x7f
	v_and_b32_e32 v34, 0x7f, v24
	v_cmp_ne_u32_e32 vcc, s3, v34
	v_mov_b32_e32 v23, 0x7f800001
	s_and_saveexec_b64 s[8:9], vcc
	s_cbranch_execz .LBB449_434
; %bb.433:
	v_and_b32_e32 v23, 7, v24
	v_ffbh_u32_e32 v36, v23
	v_min_u32_e32 v38, 32, v36
	v_subrev_u32_e32 v36, 28, v38
	v_lshlrev_b64 v[36:37], v36, v[24:25]
	v_lshrrev_b32_e32 v35, 3, v34
	v_sub_u32_e32 v24, 29, v38
	v_and_b32_e32 v36, 7, v36
	v_cmp_gt_u32_e32 vcc, 8, v34
	v_cndmask_b32_e32 v24, v35, v24, vcc
	v_cndmask_b32_e32 v23, v23, v36, vcc
	v_lshlrev_b32_e32 v22, 16, v22
	v_bfrev_b32_e32 v34, 60
	v_lshlrev_b32_e32 v23, 20, v23
	v_and_b32_e32 v22, 0x80000000, v22
	v_lshl_add_u32 v24, v24, 23, v34
	v_or3_b32 v23, v22, v24, v23
.LBB449_434:
	s_or_b64 exec, exec, s[8:9]
.LBB449_435:
	s_or_b64 exec, exec, s[6:7]
.LBB449_436:
	s_or_b64 exec, exec, s[4:5]
	s_movk_i32 s3, 0xff
	v_and_b32_sdwa v35, v15, s3 dst_sel:DWORD dst_unused:UNUSED_PAD src0_sel:WORD_1 src1_sel:DWORD
	v_lshrrev_b32_e32 v22, 16, v15
	v_cmp_ne_u16_e32 vcc, 0, v35
	v_mov_b32_e32 v24, 0
	v_mov_b32_e32 v34, 0
	s_and_saveexec_b64 s[4:5], vcc
	s_cbranch_execz .LBB449_442
; %bb.437:
	s_movk_i32 s3, 0x80
	v_cmp_ne_u16_e32 vcc, s3, v35
	v_bfrev_b32_e32 v34, 1
	s_and_saveexec_b64 s[6:7], vcc
	s_cbranch_execz .LBB449_441
; %bb.438:
	v_bfe_u32 v35, v15, 16, 7
	s_movk_i32 s3, 0x7f
	v_cmp_ne_u32_e32 vcc, s3, v35
	v_mov_b32_e32 v34, 0x7f800001
	s_and_saveexec_b64 s[8:9], vcc
	s_cbranch_execz .LBB449_440
; %bb.439:
	v_and_b32_e32 v34, 7, v22
	v_ffbh_u32_e32 v36, v34
	v_min_u32_e32 v39, 32, v36
	v_subrev_u32_e32 v36, 28, v39
	v_lshlrev_b64 v[36:37], v36, v[22:23]
	v_lshrrev_b32_e32 v38, 3, v35
	v_sub_u32_e32 v22, 29, v39
	v_and_b32_e32 v36, 7, v36
	v_cmp_gt_u32_e32 vcc, 8, v35
	v_mov_b32_e32 v35, 24
	v_cndmask_b32_e32 v22, v38, v22, vcc
	v_cndmask_b32_e32 v34, v34, v36, vcc
	v_lshlrev_b32_sdwa v35, v35, v15 dst_sel:DWORD dst_unused:UNUSED_PAD src0_sel:DWORD src1_sel:WORD_1
	v_bfrev_b32_e32 v36, 60
	v_lshlrev_b32_e32 v34, 20, v34
	v_and_b32_e32 v35, 0x80000000, v35
	v_lshl_add_u32 v22, v22, 23, v36
	v_or3_b32 v34, v35, v22, v34
.LBB449_440:
	s_or_b64 exec, exec, s[8:9]
.LBB449_441:
	s_or_b64 exec, exec, s[6:7]
.LBB449_442:
	s_or_b64 exec, exec, s[4:5]
	s_mov_b32 s4, -1
	s_mov_b32 s5, 0xffffff
	v_cmp_lt_u64_e32 vcc, s[4:5], v[14:15]
	s_and_saveexec_b64 s[4:5], vcc
	s_cbranch_execz .LBB449_448
; %bb.443:
	v_lshrrev_b32_e32 v14, 24, v15
	s_movk_i32 s3, 0x80
	v_cmp_ne_u32_e32 vcc, s3, v14
	v_bfrev_b32_e32 v24, 1
	s_and_saveexec_b64 s[6:7], vcc
	s_cbranch_execz .LBB449_447
; %bb.444:
	v_bfe_u32 v15, v15, 24, 7
	s_movk_i32 s3, 0x7f
	v_cmp_ne_u32_e32 vcc, s3, v15
	v_mov_b32_e32 v24, 0x7f800001
	s_and_saveexec_b64 s[8:9], vcc
	s_cbranch_execz .LBB449_446
; %bb.445:
	v_and_b32_e32 v22, 7, v14
	v_ffbh_u32_e32 v35, v22
	v_min_u32_e32 v35, 32, v35
	v_subrev_u32_e32 v36, 28, v35
	v_lshlrev_b64 v[36:37], v36, v[14:15]
	v_lshrrev_b32_e32 v24, 3, v15
	v_sub_u32_e32 v35, 29, v35
	v_and_b32_e32 v36, 7, v36
	v_cmp_gt_u32_e32 vcc, 8, v15
	v_cndmask_b32_e32 v15, v24, v35, vcc
	v_cndmask_b32_e32 v22, v22, v36, vcc
	v_lshlrev_b32_e32 v14, 24, v14
	v_bfrev_b32_e32 v24, 60
	v_lshlrev_b32_e32 v22, 20, v22
	v_and_b32_e32 v14, 0x80000000, v14
	v_lshl_add_u32 v15, v15, 23, v24
	v_or3_b32 v24, v14, v15, v22
.LBB449_446:
	s_or_b64 exec, exec, s[8:9]
.LBB449_447:
	s_or_b64 exec, exec, s[6:7]
.LBB449_448:
	s_or_b64 exec, exec, s[4:5]
	v_add_f32_e32 v14, 0x358637bd, v28
	v_div_scale_f32 v15, s[4:5], v14, v14, 1.0
	v_rcp_f32_e32 v22, v15
	v_div_scale_f32 v28, vcc, 1.0, v14, 1.0
	v_sub_f32_e32 v26, v26, v27
	v_fma_f32 v35, -v15, v22, 1.0
	v_fmac_f32_e32 v22, v35, v22
	v_mul_f32_e32 v35, v28, v22
	v_fma_f32 v36, -v15, v35, v28
	v_mul_f32_e32 v26, 0x3fb8aa3b, v26
	v_fmac_f32_e32 v35, v36, v22
	v_exp_f32_e32 v26, v26
	v_fma_f32 v15, -v15, v35, v28
	v_div_fmas_f32 v15, v15, v22, v35
	v_div_fixup_f32 v14, v15, v14, 1.0
	v_mul_f32_e32 v14, v26, v14
	v_pk_mul_f32 v[20:21], v[20:21], v[14:15] op_sel_hi:[1,0]
	v_pk_mul_f32 v[14:15], v[18:19], v[14:15] op_sel_hi:[1,0]
	v_cvt_f16_f32_e32 v14, v14
	v_cvt_f16_f32_e32 v15, v15
	;; [unrolled: 1-line block ×4, first 2 shown]
	v_cvt_pkrtz_f16_f32 v22, v33, v23
	v_pack_b32_f16 v14, v14, v15
	v_cvt_pkrtz_f16_f32 v23, v34, v24
	v_pack_b32_f16 v15, v18, v19
	v_cvt_pkrtz_f16_f32 v18, v30, v29
	v_cvt_pkrtz_f16_f32 v19, v32, v31
	v_mov_b32_e32 v21, 0
	s_nop 0
	v_mfma_f32_4x4x4f16 a[0:3], v[14:15], v[18:19], 0 cbsz:4
	v_mfma_f32_4x4x4f16 a[0:3], v[14:15], v[22:23], a[0:3] cbsz:4 abid:1
	v_mov_b32_e32 v22, 0
	v_cmp_ne_u16_sdwa s[6:7], v16, v22 src0_sel:BYTE_0 src1_sel:DWORD
	s_and_saveexec_b64 s[4:5], s[6:7]
	s_cbranch_execz .LBB449_454
; %bb.449:
	s_movk_i32 s3, 0x80
	v_cmp_ne_u16_sdwa s[8:9], v16, s3 src0_sel:BYTE_0 src1_sel:DWORD
	v_bfrev_b32_e32 v21, 1
	s_and_saveexec_b64 s[6:7], s[8:9]
	s_cbranch_execz .LBB449_453
; %bb.450:
	s_movk_i32 s3, 0x7f
	v_and_b32_e32 v18, 0x7f, v16
	v_cmp_ne_u32_e32 vcc, s3, v18
	v_mov_b32_e32 v21, 0x7f800001
	s_and_saveexec_b64 s[8:9], vcc
	s_cbranch_execz .LBB449_452
; %bb.451:
	v_and_b32_e32 v19, 7, v16
	v_ffbh_u32_e32 v19, v19
	v_min_u32_e32 v19, 32, v19
	v_subrev_u32_e32 v21, 28, v19
	v_cmp_gt_u32_e32 vcc, 8, v18
	v_lshrrev_b32_e32 v20, 3, v18
	v_sub_u32_e32 v19, 29, v19
	v_cndmask_b32_e32 v18, 0, v21, vcc
	v_cndmask_b32_e32 v20, v20, v19, vcc
	v_lshlrev_b64 v[18:19], v18, v[16:17]
	v_lshlrev_b32_e32 v18, 20, v18
	v_lshlrev_b32_e32 v19, 24, v16
	v_bfrev_b32_e32 v21, 60
	v_and_b32_e32 v18, 0x700000, v18
	v_and_b32_e32 v19, 0x80000000, v19
	v_lshl_add_u32 v20, v20, 23, v21
	v_or3_b32 v21, v19, v20, v18
.LBB449_452:
	s_or_b64 exec, exec, s[8:9]
.LBB449_453:
	s_or_b64 exec, exec, s[6:7]
.LBB449_454:
	s_or_b64 exec, exec, s[4:5]
	v_lshrrev_b16_e32 v18, 8, v16
	v_cmp_ne_u16_e32 vcc, 0, v18
	v_mov_b32_e32 v23, 0
	s_and_saveexec_b64 s[4:5], vcc
	s_cbranch_execz .LBB449_460
; %bb.455:
	s_movk_i32 s3, 0x80
	v_cmp_ne_u16_e32 vcc, s3, v18
	v_bfrev_b32_e32 v23, 1
	s_and_saveexec_b64 s[6:7], vcc
	s_cbranch_execz .LBB449_459
; %bb.456:
	s_movk_i32 s3, 0x7f
	v_and_b32_e32 v19, 0x7f, v18
	v_cmp_ne_u32_e32 vcc, s3, v19
	v_mov_b32_e32 v23, 0x7f800001
	s_and_saveexec_b64 s[8:9], vcc
	s_cbranch_execz .LBB449_458
; %bb.457:
	v_and_b32_e32 v20, 7, v18
	v_ffbh_u32_e32 v24, v20
	v_min_u32_e32 v24, 32, v24
	v_subrev_u32_e32 v26, 28, v24
	v_lshlrev_b64 v[26:27], v26, v[18:19]
	v_lshrrev_b32_e32 v23, 3, v19
	v_sub_u32_e32 v18, 29, v24
	v_and_b32_e32 v24, 7, v26
	v_cmp_gt_u32_e32 vcc, 8, v19
	v_cndmask_b32_e32 v18, v23, v18, vcc
	v_cndmask_b32_e32 v19, v20, v24, vcc
	v_lshlrev_b32_e32 v20, 16, v16
	v_bfrev_b32_e32 v23, 60
	v_lshlrev_b32_e32 v19, 20, v19
	v_and_b32_e32 v20, 0x80000000, v20
	v_lshl_add_u32 v18, v18, 23, v23
	v_or3_b32 v23, v20, v18, v19
.LBB449_458:
	s_or_b64 exec, exec, s[8:9]
.LBB449_459:
	s_or_b64 exec, exec, s[6:7]
.LBB449_460:
	s_or_b64 exec, exec, s[4:5]
	s_movk_i32 s3, 0xff
	v_and_b32_sdwa v19, v16, s3 dst_sel:DWORD dst_unused:UNUSED_PAD src0_sel:WORD_1 src1_sel:DWORD
	v_lshrrev_b32_e32 v18, 16, v16
	v_cmp_ne_u16_e32 vcc, 0, v19
	s_and_saveexec_b64 s[4:5], vcc
	s_cbranch_execz .LBB449_466
; %bb.461:
	s_movk_i32 s3, 0x80
	v_cmp_ne_u16_e32 vcc, s3, v19
	v_bfrev_b32_e32 v22, 1
	s_and_saveexec_b64 s[6:7], vcc
	s_cbranch_execz .LBB449_465
; %bb.462:
	v_bfe_u32 v19, v16, 16, 7
	s_movk_i32 s3, 0x7f
	v_cmp_ne_u32_e32 vcc, s3, v19
	v_mov_b32_e32 v22, 0x7f800001
	s_and_saveexec_b64 s[8:9], vcc
	s_cbranch_execz .LBB449_464
; %bb.463:
	v_and_b32_e32 v20, 7, v18
	v_ffbh_u32_e32 v24, v20
	v_min_u32_e32 v24, 32, v24
	v_subrev_u32_e32 v26, 28, v24
	v_lshlrev_b64 v[26:27], v26, v[18:19]
	v_sub_u32_e32 v18, 29, v24
	v_and_b32_e32 v24, 7, v26
	v_cmp_gt_u32_e32 vcc, 8, v19
	v_lshrrev_b32_e32 v22, 3, v19
	v_cndmask_b32_e32 v19, v20, v24, vcc
	v_mov_b32_e32 v20, 24
	v_cndmask_b32_e32 v18, v22, v18, vcc
	v_lshlrev_b32_sdwa v20, v20, v16 dst_sel:DWORD dst_unused:UNUSED_PAD src0_sel:DWORD src1_sel:WORD_1
	v_bfrev_b32_e32 v22, 60
	v_lshlrev_b32_e32 v19, 20, v19
	v_and_b32_e32 v20, 0x80000000, v20
	v_lshl_add_u32 v18, v18, 23, v22
	v_or3_b32 v22, v20, v18, v19
.LBB449_464:
	s_or_b64 exec, exec, s[8:9]
.LBB449_465:
	s_or_b64 exec, exec, s[6:7]
.LBB449_466:
	s_or_b64 exec, exec, s[4:5]
	s_mov_b32 s3, 0xffffff
	v_cmp_lt_u32_e32 vcc, s3, v16
	v_mov_b32_e32 v19, 0
	v_mov_b32_e32 v24, 0
	s_and_saveexec_b64 s[4:5], vcc
	s_cbranch_execz .LBB449_472
; %bb.467:
	v_lshrrev_b32_e32 v18, 24, v16
	s_movk_i32 s3, 0x80
	v_cmp_ne_u32_e32 vcc, s3, v18
	v_bfrev_b32_e32 v24, 1
	s_and_saveexec_b64 s[6:7], vcc
	s_cbranch_execz .LBB449_471
; %bb.468:
	v_bfe_u32 v20, v16, 24, 7
	s_movk_i32 s3, 0x7f
	v_cmp_ne_u32_e32 vcc, s3, v20
	v_mov_b32_e32 v24, 0x7f800001
	s_and_saveexec_b64 s[8:9], vcc
	s_cbranch_execz .LBB449_470
; %bb.469:
	v_and_b32_e32 v24, 7, v18
	v_ffbh_u32_e32 v26, v24
	v_min_u32_e32 v29, 32, v26
	v_subrev_u32_e32 v26, 28, v29
	v_lshlrev_b64 v[26:27], v26, v[18:19]
	v_lshrrev_b32_e32 v28, 3, v20
	v_sub_u32_e32 v27, 29, v29
	v_and_b32_e32 v26, 7, v26
	v_cmp_gt_u32_e32 vcc, 8, v20
	v_cndmask_b32_e32 v20, v28, v27, vcc
	v_cndmask_b32_e32 v24, v24, v26, vcc
	v_lshlrev_b32_e32 v18, 24, v18
	v_bfrev_b32_e32 v26, 60
	v_lshlrev_b32_e32 v24, 20, v24
	v_and_b32_e32 v18, 0x80000000, v18
	v_lshl_add_u32 v20, v20, 23, v26
	v_or3_b32 v24, v18, v20, v24
.LBB449_470:
	s_or_b64 exec, exec, s[8:9]
.LBB449_471:
	s_or_b64 exec, exec, s[6:7]
.LBB449_472:
	s_or_b64 exec, exec, s[4:5]
	v_mov_b32_e32 v18, v17
	v_cmp_ne_u16_sdwa s[6:7], v17, v19 src0_sel:BYTE_0 src1_sel:DWORD
	s_and_saveexec_b64 s[4:5], s[6:7]
	s_cbranch_execz .LBB449_478
; %bb.473:
	s_movk_i32 s3, 0x80
	v_cmp_ne_u16_sdwa s[8:9], v17, s3 src0_sel:BYTE_0 src1_sel:DWORD
	v_bfrev_b32_e32 v20, 1
	s_and_saveexec_b64 s[6:7], s[8:9]
	s_cbranch_execz .LBB449_477
; %bb.474:
	s_movk_i32 s3, 0x7f
	v_and_b32_e32 v26, 0x7f, v17
	v_cmp_ne_u32_e32 vcc, s3, v26
	v_mov_b32_e32 v20, 0x7f800001
	s_and_saveexec_b64 s[8:9], vcc
	s_cbranch_execz .LBB449_476
; %bb.475:
	v_and_b32_e32 v20, 7, v17
	v_ffbh_u32_e32 v20, v20
	v_min_u32_e32 v20, 32, v20
	v_subrev_u32_e32 v28, 28, v20
	v_cmp_gt_u32_e32 vcc, 8, v26
	v_lshrrev_b32_e32 v27, 3, v26
	v_sub_u32_e32 v20, 29, v20
	v_cndmask_b32_e32 v26, 0, v28, vcc
	v_cndmask_b32_e32 v20, v27, v20, vcc
	v_lshlrev_b64 v[26:27], v26, v[18:19]
	v_lshlrev_b32_e32 v19, 20, v26
	v_lshlrev_b32_e32 v26, 24, v18
	v_bfrev_b32_e32 v27, 60
	v_and_b32_e32 v19, 0x700000, v19
	v_and_b32_e32 v26, 0x80000000, v26
	v_lshl_add_u32 v20, v20, 23, v27
	v_or3_b32 v20, v26, v20, v19
.LBB449_476:
	s_or_b64 exec, exec, s[8:9]
.LBB449_477:
	s_or_b64 exec, exec, s[6:7]
	v_mov_b32_e32 v19, v20
.LBB449_478:
	s_or_b64 exec, exec, s[4:5]
	v_lshrrev_b16_e32 v20, 8, v18
	v_cmp_ne_u16_e32 vcc, 0, v20
	v_mov_b32_e32 v26, 0
	v_mov_b32_e32 v27, 0
	s_and_saveexec_b64 s[4:5], vcc
	s_cbranch_execz .LBB449_484
; %bb.479:
	s_movk_i32 s3, 0x80
	v_cmp_ne_u16_e32 vcc, s3, v20
	v_bfrev_b32_e32 v27, 1
	s_and_saveexec_b64 s[6:7], vcc
	s_cbranch_execz .LBB449_483
; %bb.480:
	s_movk_i32 s3, 0x7f
	v_and_b32_e32 v28, 0x7f, v20
	v_cmp_ne_u32_e32 vcc, s3, v28
	v_mov_b32_e32 v27, 0x7f800001
	s_and_saveexec_b64 s[8:9], vcc
	s_cbranch_execz .LBB449_482
; %bb.481:
	v_and_b32_e32 v27, 7, v20
	v_ffbh_u32_e32 v30, v27
	v_min_u32_e32 v32, 32, v30
	v_subrev_u32_e32 v30, 28, v32
	v_lshlrev_b64 v[30:31], v30, v[20:21]
	v_lshrrev_b32_e32 v29, 3, v28
	v_sub_u32_e32 v20, 29, v32
	v_and_b32_e32 v30, 7, v30
	v_cmp_gt_u32_e32 vcc, 8, v28
	v_cndmask_b32_e32 v20, v29, v20, vcc
	v_cndmask_b32_e32 v27, v27, v30, vcc
	v_lshlrev_b32_e32 v18, 16, v18
	v_bfrev_b32_e32 v28, 60
	v_lshlrev_b32_e32 v27, 20, v27
	v_and_b32_e32 v18, 0x80000000, v18
	v_lshl_add_u32 v20, v20, 23, v28
	v_or3_b32 v27, v18, v20, v27
.LBB449_482:
	s_or_b64 exec, exec, s[8:9]
.LBB449_483:
	s_or_b64 exec, exec, s[6:7]
.LBB449_484:
	s_or_b64 exec, exec, s[4:5]
	s_movk_i32 s3, 0xff
	v_and_b32_sdwa v20, v17, s3 dst_sel:DWORD dst_unused:UNUSED_PAD src0_sel:WORD_1 src1_sel:DWORD
	v_lshrrev_b32_e32 v18, 16, v17
	v_cmp_ne_u16_e32 vcc, 0, v20
	s_and_saveexec_b64 s[4:5], vcc
	s_cbranch_execz .LBB449_490
; %bb.485:
	s_movk_i32 s3, 0x80
	v_cmp_ne_u16_e32 vcc, s3, v20
	v_bfrev_b32_e32 v26, 1
	s_and_saveexec_b64 s[6:7], vcc
	s_cbranch_execz .LBB449_489
; %bb.486:
	v_bfe_u32 v20, v17, 16, 7
	s_movk_i32 s3, 0x7f
	v_cmp_ne_u32_e32 vcc, s3, v20
	v_mov_b32_e32 v26, 0x7f800001
	s_and_saveexec_b64 s[8:9], vcc
	s_cbranch_execz .LBB449_488
; %bb.487:
	v_and_b32_e32 v26, 7, v18
	v_ffbh_u32_e32 v28, v26
	v_min_u32_e32 v31, 32, v28
	v_subrev_u32_e32 v28, 28, v31
	v_lshlrev_b64 v[28:29], v28, v[18:19]
	v_and_b32_e32 v28, 7, v28
	v_cmp_gt_u32_e32 vcc, 8, v20
	v_lshrrev_b32_e32 v30, 3, v20
	v_sub_u32_e32 v18, 29, v31
	v_cndmask_b32_e32 v20, v26, v28, vcc
	v_mov_b32_e32 v26, 24
	v_cndmask_b32_e32 v18, v30, v18, vcc
	v_lshlrev_b32_sdwa v26, v26, v17 dst_sel:DWORD dst_unused:UNUSED_PAD src0_sel:DWORD src1_sel:WORD_1
	v_bfrev_b32_e32 v28, 60
	v_lshlrev_b32_e32 v20, 20, v20
	v_and_b32_e32 v26, 0x80000000, v26
	v_lshl_add_u32 v18, v18, 23, v28
	v_or3_b32 v26, v26, v18, v20
.LBB449_488:
	s_or_b64 exec, exec, s[8:9]
.LBB449_489:
	s_or_b64 exec, exec, s[6:7]
.LBB449_490:
	s_or_b64 exec, exec, s[4:5]
	s_mov_b32 s4, -1
	s_mov_b32 s5, 0xffffff
	v_cmp_lt_u64_e32 vcc, s[4:5], v[16:17]
	v_mov_b32_e32 v20, 0
	v_mov_b32_e32 v18, 0
	s_and_saveexec_b64 s[4:5], vcc
	s_cbranch_execz .LBB449_496
; %bb.491:
	v_lshrrev_b32_e32 v16, 24, v17
	s_movk_i32 s3, 0x80
	v_cmp_ne_u32_e32 vcc, s3, v16
	v_bfrev_b32_e32 v18, 1
	s_and_saveexec_b64 s[6:7], vcc
	s_cbranch_execz .LBB449_495
; %bb.492:
	v_bfe_u32 v17, v17, 24, 7
	s_movk_i32 s3, 0x7f
	v_cmp_ne_u32_e32 vcc, s3, v17
	v_mov_b32_e32 v18, 0x7f800001
	s_and_saveexec_b64 s[8:9], vcc
	s_cbranch_execz .LBB449_494
; %bb.493:
	v_and_b32_e32 v18, 7, v16
	v_ffbh_u32_e32 v28, v18
	v_min_u32_e32 v31, 32, v28
	v_subrev_u32_e32 v28, 28, v31
	v_lshlrev_b64 v[28:29], v28, v[16:17]
	v_lshrrev_b32_e32 v30, 3, v17
	v_sub_u32_e32 v29, 29, v31
	v_and_b32_e32 v28, 7, v28
	v_cmp_gt_u32_e32 vcc, 8, v17
	v_cndmask_b32_e32 v17, v30, v29, vcc
	v_cndmask_b32_e32 v18, v18, v28, vcc
	v_lshlrev_b32_e32 v16, 24, v16
	v_bfrev_b32_e32 v28, 60
	v_lshlrev_b32_e32 v18, 20, v18
	v_and_b32_e32 v16, 0x80000000, v16
	v_lshl_add_u32 v17, v17, 23, v28
	v_or3_b32 v18, v16, v17, v18
.LBB449_494:
	s_or_b64 exec, exec, s[8:9]
.LBB449_495:
	s_or_b64 exec, exec, s[6:7]
.LBB449_496:
	s_or_b64 exec, exec, s[4:5]
	v_cvt_pkrtz_f16_f32 v16, v21, v23
	v_cvt_pkrtz_f16_f32 v17, v22, v24
	;; [unrolled: 1-line block ×4, first 2 shown]
	v_mfma_f32_4x4x4f16 a[0:3], v[14:15], v[16:17], a[0:3] cbsz:4 abid:2
	v_cmp_ne_u16_sdwa s[6:7], v10, v20 src0_sel:BYTE_0 src1_sel:DWORD
	v_mfma_f32_4x4x4f16 a[0:3], v[14:15], v[22:23], a[0:3] cbsz:4 abid:3
	s_and_saveexec_b64 s[4:5], s[6:7]
	s_cbranch_execz .LBB449_502
; %bb.497:
	s_movk_i32 s3, 0x80
	v_cmp_ne_u16_sdwa s[8:9], v10, s3 src0_sel:BYTE_0 src1_sel:DWORD
	v_bfrev_b32_e32 v20, 1
	s_and_saveexec_b64 s[6:7], s[8:9]
	s_cbranch_execz .LBB449_501
; %bb.498:
	s_movk_i32 s3, 0x7f
	v_and_b32_e32 v16, 0x7f, v10
	v_cmp_ne_u32_e32 vcc, s3, v16
	v_mov_b32_e32 v20, 0x7f800001
	s_and_saveexec_b64 s[8:9], vcc
	s_cbranch_execz .LBB449_500
; %bb.499:
	v_and_b32_e32 v17, 7, v10
	v_ffbh_u32_e32 v17, v17
	v_min_u32_e32 v17, 32, v17
	v_subrev_u32_e32 v19, 28, v17
	v_cmp_gt_u32_e32 vcc, 8, v16
	v_lshrrev_b32_e32 v18, 3, v16
	v_sub_u32_e32 v17, 29, v17
	v_cndmask_b32_e32 v16, 0, v19, vcc
	v_cndmask_b32_e32 v18, v18, v17, vcc
	v_lshlrev_b64 v[16:17], v16, v[10:11]
	v_lshlrev_b32_e32 v16, 20, v16
	v_lshlrev_b32_e32 v17, 24, v10
	v_bfrev_b32_e32 v19, 60
	v_and_b32_e32 v16, 0x700000, v16
	v_and_b32_e32 v17, 0x80000000, v17
	v_lshl_add_u32 v18, v18, 23, v19
	v_or3_b32 v20, v17, v18, v16
.LBB449_500:
	s_or_b64 exec, exec, s[8:9]
.LBB449_501:
	s_or_b64 exec, exec, s[6:7]
.LBB449_502:
	s_or_b64 exec, exec, s[4:5]
	v_lshrrev_b16_e32 v16, 8, v10
	v_cmp_ne_u16_e32 vcc, 0, v16
	v_mov_b32_e32 v19, 0
	v_mov_b32_e32 v21, 0
	s_and_saveexec_b64 s[4:5], vcc
	s_cbranch_execz .LBB449_508
; %bb.503:
	s_movk_i32 s3, 0x80
	v_cmp_ne_u16_e32 vcc, s3, v16
	v_bfrev_b32_e32 v21, 1
	s_and_saveexec_b64 s[6:7], vcc
	s_cbranch_execz .LBB449_507
; %bb.504:
	s_movk_i32 s3, 0x7f
	v_and_b32_e32 v17, 0x7f, v16
	v_cmp_ne_u32_e32 vcc, s3, v17
	v_mov_b32_e32 v21, 0x7f800001
	s_and_saveexec_b64 s[8:9], vcc
	s_cbranch_execz .LBB449_506
; %bb.505:
	v_and_b32_e32 v18, 7, v16
	v_ffbh_u32_e32 v22, v18
	v_min_u32_e32 v24, 32, v22
	v_subrev_u32_e32 v22, 28, v24
	v_lshlrev_b64 v[22:23], v22, v[16:17]
	v_lshrrev_b32_e32 v21, 3, v17
	v_sub_u32_e32 v16, 29, v24
	v_and_b32_e32 v22, 7, v22
	v_cmp_gt_u32_e32 vcc, 8, v17
	v_cndmask_b32_e32 v16, v21, v16, vcc
	v_cndmask_b32_e32 v17, v18, v22, vcc
	v_lshlrev_b32_e32 v18, 16, v10
	v_bfrev_b32_e32 v21, 60
	v_lshlrev_b32_e32 v17, 20, v17
	v_and_b32_e32 v18, 0x80000000, v18
	v_lshl_add_u32 v16, v16, 23, v21
	v_or3_b32 v21, v18, v16, v17
.LBB449_506:
	s_or_b64 exec, exec, s[8:9]
.LBB449_507:
	s_or_b64 exec, exec, s[6:7]
.LBB449_508:
	s_or_b64 exec, exec, s[4:5]
	s_movk_i32 s3, 0xff
	v_and_b32_sdwa v17, v10, s3 dst_sel:DWORD dst_unused:UNUSED_PAD src0_sel:WORD_1 src1_sel:DWORD
	v_lshrrev_b32_e32 v16, 16, v10
	v_cmp_ne_u16_e32 vcc, 0, v17
	s_and_saveexec_b64 s[4:5], vcc
	s_cbranch_execz .LBB449_514
; %bb.509:
	s_movk_i32 s3, 0x80
	v_cmp_ne_u16_e32 vcc, s3, v17
	v_bfrev_b32_e32 v19, 1
	s_and_saveexec_b64 s[6:7], vcc
	s_cbranch_execz .LBB449_513
; %bb.510:
	v_bfe_u32 v17, v10, 16, 7
	s_movk_i32 s3, 0x7f
	v_cmp_ne_u32_e32 vcc, s3, v17
	v_mov_b32_e32 v19, 0x7f800001
	s_and_saveexec_b64 s[8:9], vcc
	s_cbranch_execz .LBB449_512
; %bb.511:
	v_and_b32_e32 v22, 7, v16
	v_ffbh_u32_e32 v18, v22
	v_min_u32_e32 v24, 32, v18
	v_subrev_u32_e32 v18, 28, v24
	v_lshlrev_b64 v[18:19], v18, v[16:17]
	v_and_b32_e32 v18, 7, v18
	v_cmp_gt_u32_e32 vcc, 8, v17
	v_lshrrev_b32_e32 v23, 3, v17
	v_sub_u32_e32 v16, 29, v24
	v_cndmask_b32_e32 v17, v22, v18, vcc
	v_mov_b32_e32 v18, 24
	v_cndmask_b32_e32 v16, v23, v16, vcc
	v_lshlrev_b32_sdwa v18, v18, v10 dst_sel:DWORD dst_unused:UNUSED_PAD src0_sel:DWORD src1_sel:WORD_1
	v_bfrev_b32_e32 v19, 60
	v_lshlrev_b32_e32 v17, 20, v17
	v_and_b32_e32 v18, 0x80000000, v18
	v_lshl_add_u32 v16, v16, 23, v19
	v_or3_b32 v19, v18, v16, v17
.LBB449_512:
	s_or_b64 exec, exec, s[8:9]
.LBB449_513:
	s_or_b64 exec, exec, s[6:7]
.LBB449_514:
	s_or_b64 exec, exec, s[4:5]
	s_mov_b32 s3, 0xffffff
	v_cmp_lt_u32_e32 vcc, s3, v10
	v_mov_b32_e32 v17, 0
	v_mov_b32_e32 v22, 0
	s_and_saveexec_b64 s[4:5], vcc
	s_cbranch_execz .LBB449_520
; %bb.515:
	v_lshrrev_b32_e32 v16, 24, v10
	s_movk_i32 s3, 0x80
	v_cmp_ne_u32_e32 vcc, s3, v16
	v_bfrev_b32_e32 v22, 1
	s_and_saveexec_b64 s[6:7], vcc
	s_cbranch_execz .LBB449_519
; %bb.516:
	v_bfe_u32 v18, v10, 24, 7
	s_movk_i32 s3, 0x7f
	v_cmp_ne_u32_e32 vcc, s3, v18
	v_mov_b32_e32 v22, 0x7f800001
	s_and_saveexec_b64 s[8:9], vcc
	s_cbranch_execz .LBB449_518
; %bb.517:
	v_and_b32_e32 v24, 7, v16
	v_ffbh_u32_e32 v22, v24
	v_min_u32_e32 v27, 32, v22
	v_subrev_u32_e32 v22, 28, v27
	v_lshlrev_b64 v[22:23], v22, v[16:17]
	v_lshrrev_b32_e32 v26, 3, v18
	v_sub_u32_e32 v23, 29, v27
	v_and_b32_e32 v22, 7, v22
	v_cmp_gt_u32_e32 vcc, 8, v18
	v_cndmask_b32_e32 v18, v26, v23, vcc
	v_cndmask_b32_e32 v22, v24, v22, vcc
	v_lshlrev_b32_e32 v16, 24, v16
	v_bfrev_b32_e32 v23, 60
	v_lshlrev_b32_e32 v22, 20, v22
	v_and_b32_e32 v16, 0x80000000, v16
	v_lshl_add_u32 v18, v18, 23, v23
	v_or3_b32 v22, v16, v18, v22
.LBB449_518:
	s_or_b64 exec, exec, s[8:9]
.LBB449_519:
	s_or_b64 exec, exec, s[6:7]
.LBB449_520:
	s_or_b64 exec, exec, s[4:5]
	v_mov_b32_e32 v16, v11
	v_cmp_ne_u16_sdwa s[6:7], v11, v17 src0_sel:BYTE_0 src1_sel:DWORD
	s_and_saveexec_b64 s[4:5], s[6:7]
	s_cbranch_execz .LBB449_526
; %bb.521:
	s_movk_i32 s3, 0x80
	v_cmp_ne_u16_sdwa s[8:9], v11, s3 src0_sel:BYTE_0 src1_sel:DWORD
	v_bfrev_b32_e32 v18, 1
	s_and_saveexec_b64 s[6:7], s[8:9]
	s_cbranch_execz .LBB449_525
; %bb.522:
	s_movk_i32 s3, 0x7f
	v_and_b32_e32 v23, 0x7f, v11
	v_cmp_ne_u32_e32 vcc, s3, v23
	v_mov_b32_e32 v18, 0x7f800001
	s_and_saveexec_b64 s[8:9], vcc
	s_cbranch_execz .LBB449_524
; %bb.523:
	v_and_b32_e32 v18, 7, v11
	v_ffbh_u32_e32 v18, v18
	v_min_u32_e32 v18, 32, v18
	v_subrev_u32_e32 v26, 28, v18
	v_cmp_gt_u32_e32 vcc, 8, v23
	v_lshrrev_b32_e32 v24, 3, v23
	v_cndmask_b32_e32 v23, 0, v26, vcc
	v_sub_u32_e32 v18, 29, v18
	v_lshlrev_b64 v[26:27], v23, v[16:17]
	v_cndmask_b32_e32 v18, v24, v18, vcc
	v_lshlrev_b32_e32 v17, 20, v26
	v_lshlrev_b32_e32 v23, 24, v16
	v_bfrev_b32_e32 v24, 60
	v_and_b32_e32 v17, 0x700000, v17
	v_and_b32_e32 v23, 0x80000000, v23
	v_lshl_add_u32 v18, v18, 23, v24
	v_or3_b32 v18, v23, v18, v17
.LBB449_524:
	s_or_b64 exec, exec, s[8:9]
.LBB449_525:
	s_or_b64 exec, exec, s[6:7]
	v_mov_b32_e32 v17, v18
.LBB449_526:
	s_or_b64 exec, exec, s[4:5]
	v_lshrrev_b16_e32 v18, 8, v16
	v_cmp_ne_u16_e32 vcc, 0, v18
	v_mov_b32_e32 v23, 0
	v_mov_b32_e32 v24, 0
	s_and_saveexec_b64 s[4:5], vcc
	s_cbranch_execz .LBB449_532
; %bb.527:
	s_movk_i32 s3, 0x80
	v_cmp_ne_u16_e32 vcc, s3, v18
	v_bfrev_b32_e32 v24, 1
	s_and_saveexec_b64 s[6:7], vcc
	s_cbranch_execz .LBB449_531
; %bb.528:
	s_movk_i32 s3, 0x7f
	v_and_b32_e32 v26, 0x7f, v18
	v_cmp_ne_u32_e32 vcc, s3, v26
	v_mov_b32_e32 v24, 0x7f800001
	s_and_saveexec_b64 s[8:9], vcc
	s_cbranch_execz .LBB449_530
; %bb.529:
	v_and_b32_e32 v24, 7, v18
	v_ffbh_u32_e32 v28, v24
	v_min_u32_e32 v30, 32, v28
	v_subrev_u32_e32 v28, 28, v30
	v_lshlrev_b64 v[28:29], v28, v[18:19]
	v_lshrrev_b32_e32 v27, 3, v26
	v_sub_u32_e32 v18, 29, v30
	v_and_b32_e32 v28, 7, v28
	v_cmp_gt_u32_e32 vcc, 8, v26
	v_cndmask_b32_e32 v18, v27, v18, vcc
	v_cndmask_b32_e32 v24, v24, v28, vcc
	v_lshlrev_b32_e32 v16, 16, v16
	v_bfrev_b32_e32 v26, 60
	v_lshlrev_b32_e32 v24, 20, v24
	v_and_b32_e32 v16, 0x80000000, v16
	v_lshl_add_u32 v18, v18, 23, v26
	v_or3_b32 v24, v16, v18, v24
.LBB449_530:
	s_or_b64 exec, exec, s[8:9]
.LBB449_531:
	s_or_b64 exec, exec, s[6:7]
.LBB449_532:
	s_or_b64 exec, exec, s[4:5]
	s_movk_i32 s3, 0xff
	v_and_b32_sdwa v18, v11, s3 dst_sel:DWORD dst_unused:UNUSED_PAD src0_sel:WORD_1 src1_sel:DWORD
	v_lshrrev_b32_e32 v16, 16, v11
	v_cmp_ne_u16_e32 vcc, 0, v18
	s_and_saveexec_b64 s[4:5], vcc
	s_cbranch_execz .LBB449_538
; %bb.533:
	s_movk_i32 s3, 0x80
	v_cmp_ne_u16_e32 vcc, s3, v18
	v_bfrev_b32_e32 v23, 1
	s_and_saveexec_b64 s[6:7], vcc
	s_cbranch_execz .LBB449_537
; %bb.534:
	v_bfe_u32 v18, v11, 16, 7
	s_movk_i32 s3, 0x7f
	v_cmp_ne_u32_e32 vcc, s3, v18
	v_mov_b32_e32 v23, 0x7f800001
	s_and_saveexec_b64 s[8:9], vcc
	s_cbranch_execz .LBB449_536
; %bb.535:
	v_and_b32_e32 v23, 7, v16
	v_ffbh_u32_e32 v26, v23
	v_min_u32_e32 v29, 32, v26
	v_subrev_u32_e32 v26, 28, v29
	v_lshlrev_b64 v[26:27], v26, v[16:17]
	v_and_b32_e32 v26, 7, v26
	v_cmp_gt_u32_e32 vcc, 8, v18
	v_lshrrev_b32_e32 v28, 3, v18
	v_sub_u32_e32 v16, 29, v29
	v_cndmask_b32_e32 v18, v23, v26, vcc
	v_mov_b32_e32 v23, 24
	v_cndmask_b32_e32 v16, v28, v16, vcc
	v_lshlrev_b32_sdwa v23, v23, v11 dst_sel:DWORD dst_unused:UNUSED_PAD src0_sel:DWORD src1_sel:WORD_1
	v_bfrev_b32_e32 v26, 60
	v_lshlrev_b32_e32 v18, 20, v18
	v_and_b32_e32 v23, 0x80000000, v23
	v_lshl_add_u32 v16, v16, 23, v26
	v_or3_b32 v23, v23, v16, v18
.LBB449_536:
	s_or_b64 exec, exec, s[8:9]
.LBB449_537:
	s_or_b64 exec, exec, s[6:7]
.LBB449_538:
	s_or_b64 exec, exec, s[4:5]
	s_mov_b32 s4, -1
	s_mov_b32 s5, 0xffffff
	v_cmp_lt_u64_e32 vcc, s[4:5], v[10:11]
	v_mov_b32_e32 v18, 0
	v_mov_b32_e32 v16, 0
	s_and_saveexec_b64 s[4:5], vcc
	s_cbranch_execz .LBB449_544
; %bb.539:
	v_lshrrev_b32_e32 v10, 24, v11
	s_movk_i32 s3, 0x80
	v_cmp_ne_u32_e32 vcc, s3, v10
	v_bfrev_b32_e32 v16, 1
	s_and_saveexec_b64 s[6:7], vcc
	s_cbranch_execz .LBB449_543
; %bb.540:
	v_bfe_u32 v11, v11, 24, 7
	s_movk_i32 s3, 0x7f
	v_cmp_ne_u32_e32 vcc, s3, v11
	v_mov_b32_e32 v16, 0x7f800001
	s_and_saveexec_b64 s[8:9], vcc
	s_cbranch_execz .LBB449_542
; %bb.541:
	v_and_b32_e32 v16, 7, v10
	v_ffbh_u32_e32 v26, v16
	v_min_u32_e32 v29, 32, v26
	v_subrev_u32_e32 v26, 28, v29
	v_lshlrev_b64 v[26:27], v26, v[10:11]
	v_lshrrev_b32_e32 v28, 3, v11
	v_sub_u32_e32 v27, 29, v29
	v_and_b32_e32 v26, 7, v26
	v_cmp_gt_u32_e32 vcc, 8, v11
	v_cndmask_b32_e32 v11, v28, v27, vcc
	v_cndmask_b32_e32 v16, v16, v26, vcc
	v_lshlrev_b32_e32 v10, 24, v10
	v_bfrev_b32_e32 v26, 60
	v_lshlrev_b32_e32 v16, 20, v16
	v_and_b32_e32 v10, 0x80000000, v10
	v_lshl_add_u32 v11, v11, 23, v26
	v_or3_b32 v16, v10, v11, v16
.LBB449_542:
	s_or_b64 exec, exec, s[8:9]
.LBB449_543:
	s_or_b64 exec, exec, s[6:7]
.LBB449_544:
	s_or_b64 exec, exec, s[4:5]
	v_cvt_pkrtz_f16_f32 v10, v20, v21
	v_cvt_pkrtz_f16_f32 v11, v19, v22
	;; [unrolled: 1-line block ×4, first 2 shown]
	v_mfma_f32_4x4x4f16 a[0:3], v[14:15], v[10:11], a[0:3] cbsz:4 abid:4
	v_cmp_ne_u16_sdwa s[6:7], v12, v18 src0_sel:BYTE_0 src1_sel:DWORD
	v_mfma_f32_4x4x4f16 a[0:3], v[14:15], v[20:21], a[0:3] cbsz:4 abid:5
	s_and_saveexec_b64 s[4:5], s[6:7]
	s_cbranch_execz .LBB449_550
; %bb.545:
	s_movk_i32 s3, 0x80
	v_cmp_ne_u16_sdwa s[8:9], v12, s3 src0_sel:BYTE_0 src1_sel:DWORD
	v_bfrev_b32_e32 v18, 1
	s_and_saveexec_b64 s[6:7], s[8:9]
	s_cbranch_execz .LBB449_549
; %bb.546:
	s_movk_i32 s3, 0x7f
	v_and_b32_e32 v10, 0x7f, v12
	v_cmp_ne_u32_e32 vcc, s3, v10
	v_mov_b32_e32 v18, 0x7f800001
	s_and_saveexec_b64 s[8:9], vcc
	s_cbranch_execz .LBB449_548
; %bb.547:
	v_and_b32_e32 v11, 7, v12
	v_ffbh_u32_e32 v11, v11
	v_min_u32_e32 v11, 32, v11
	v_subrev_u32_e32 v17, 28, v11
	v_cmp_gt_u32_e32 vcc, 8, v10
	v_lshrrev_b32_e32 v16, 3, v10
	v_sub_u32_e32 v11, 29, v11
	v_cndmask_b32_e32 v10, 0, v17, vcc
	v_cndmask_b32_e32 v16, v16, v11, vcc
	v_lshlrev_b64 v[10:11], v10, v[12:13]
	v_lshlrev_b32_e32 v10, 20, v10
	v_lshlrev_b32_e32 v11, 24, v12
	v_bfrev_b32_e32 v17, 60
	v_and_b32_e32 v10, 0x700000, v10
	v_and_b32_e32 v11, 0x80000000, v11
	v_lshl_add_u32 v16, v16, 23, v17
	v_or3_b32 v18, v11, v16, v10
.LBB449_548:
	s_or_b64 exec, exec, s[8:9]
.LBB449_549:
	s_or_b64 exec, exec, s[6:7]
.LBB449_550:
	s_or_b64 exec, exec, s[4:5]
	v_lshrrev_b16_e32 v10, 8, v12
	v_cmp_ne_u16_e32 vcc, 0, v10
	v_mov_b32_e32 v17, 0
	v_mov_b32_e32 v19, 0
	s_and_saveexec_b64 s[4:5], vcc
	s_cbranch_execz .LBB449_556
; %bb.551:
	s_movk_i32 s3, 0x80
	v_cmp_ne_u16_e32 vcc, s3, v10
	v_bfrev_b32_e32 v19, 1
	s_and_saveexec_b64 s[6:7], vcc
	s_cbranch_execz .LBB449_555
; %bb.552:
	s_movk_i32 s3, 0x7f
	v_and_b32_e32 v11, 0x7f, v10
	v_cmp_ne_u32_e32 vcc, s3, v11
	v_mov_b32_e32 v19, 0x7f800001
	s_and_saveexec_b64 s[8:9], vcc
	s_cbranch_execz .LBB449_554
; %bb.553:
	v_and_b32_e32 v16, 7, v10
	v_ffbh_u32_e32 v20, v16
	v_min_u32_e32 v22, 32, v20
	v_subrev_u32_e32 v20, 28, v22
	v_lshlrev_b64 v[20:21], v20, v[10:11]
	v_lshrrev_b32_e32 v19, 3, v11
	v_sub_u32_e32 v10, 29, v22
	v_and_b32_e32 v20, 7, v20
	v_cmp_gt_u32_e32 vcc, 8, v11
	v_cndmask_b32_e32 v10, v19, v10, vcc
	v_cndmask_b32_e32 v11, v16, v20, vcc
	v_lshlrev_b32_e32 v16, 16, v12
	v_bfrev_b32_e32 v19, 60
	v_lshlrev_b32_e32 v11, 20, v11
	v_and_b32_e32 v16, 0x80000000, v16
	v_lshl_add_u32 v10, v10, 23, v19
	v_or3_b32 v19, v16, v10, v11
.LBB449_554:
	s_or_b64 exec, exec, s[8:9]
.LBB449_555:
	s_or_b64 exec, exec, s[6:7]
.LBB449_556:
	s_or_b64 exec, exec, s[4:5]
	s_movk_i32 s3, 0xff
	v_and_b32_sdwa v11, v12, s3 dst_sel:DWORD dst_unused:UNUSED_PAD src0_sel:WORD_1 src1_sel:DWORD
	v_lshrrev_b32_e32 v10, 16, v12
	v_cmp_ne_u16_e32 vcc, 0, v11
	s_and_saveexec_b64 s[4:5], vcc
	s_cbranch_execz .LBB449_562
; %bb.557:
	s_movk_i32 s3, 0x80
	v_cmp_ne_u16_e32 vcc, s3, v11
	v_bfrev_b32_e32 v17, 1
	s_and_saveexec_b64 s[6:7], vcc
	s_cbranch_execz .LBB449_561
; %bb.558:
	v_bfe_u32 v11, v12, 16, 7
	s_movk_i32 s3, 0x7f
	v_cmp_ne_u32_e32 vcc, s3, v11
	v_mov_b32_e32 v17, 0x7f800001
	s_and_saveexec_b64 s[8:9], vcc
	s_cbranch_execz .LBB449_560
; %bb.559:
	v_and_b32_e32 v20, 7, v10
	v_ffbh_u32_e32 v16, v20
	v_min_u32_e32 v22, 32, v16
	v_subrev_u32_e32 v16, 28, v22
	v_lshlrev_b64 v[16:17], v16, v[10:11]
	v_and_b32_e32 v16, 7, v16
	v_cmp_gt_u32_e32 vcc, 8, v11
	v_lshrrev_b32_e32 v21, 3, v11
	v_sub_u32_e32 v10, 29, v22
	v_cndmask_b32_e32 v11, v20, v16, vcc
	v_mov_b32_e32 v16, 24
	v_cndmask_b32_e32 v10, v21, v10, vcc
	v_lshlrev_b32_sdwa v16, v16, v12 dst_sel:DWORD dst_unused:UNUSED_PAD src0_sel:DWORD src1_sel:WORD_1
	v_bfrev_b32_e32 v17, 60
	v_lshlrev_b32_e32 v11, 20, v11
	v_and_b32_e32 v16, 0x80000000, v16
	v_lshl_add_u32 v10, v10, 23, v17
	v_or3_b32 v17, v16, v10, v11
.LBB449_560:
	s_or_b64 exec, exec, s[8:9]
.LBB449_561:
	s_or_b64 exec, exec, s[6:7]
.LBB449_562:
	s_or_b64 exec, exec, s[4:5]
	s_mov_b32 s3, 0xffffff
	v_cmp_lt_u32_e32 vcc, s3, v12
	v_mov_b32_e32 v11, 0
	v_mov_b32_e32 v20, 0
	s_and_saveexec_b64 s[4:5], vcc
	s_cbranch_execz .LBB449_568
; %bb.563:
	v_lshrrev_b32_e32 v10, 24, v12
	s_movk_i32 s3, 0x80
	v_cmp_ne_u32_e32 vcc, s3, v10
	v_bfrev_b32_e32 v20, 1
	s_and_saveexec_b64 s[6:7], vcc
	s_cbranch_execz .LBB449_567
; %bb.564:
	v_bfe_u32 v16, v12, 24, 7
	s_movk_i32 s3, 0x7f
	v_cmp_ne_u32_e32 vcc, s3, v16
	v_mov_b32_e32 v20, 0x7f800001
	s_and_saveexec_b64 s[8:9], vcc
	s_cbranch_execz .LBB449_566
; %bb.565:
	v_and_b32_e32 v22, 7, v10
	v_ffbh_u32_e32 v20, v22
	v_min_u32_e32 v24, 32, v20
	v_subrev_u32_e32 v20, 28, v24
	v_lshlrev_b64 v[20:21], v20, v[10:11]
	v_lshrrev_b32_e32 v23, 3, v16
	v_sub_u32_e32 v21, 29, v24
	v_and_b32_e32 v20, 7, v20
	v_cmp_gt_u32_e32 vcc, 8, v16
	v_cndmask_b32_e32 v16, v23, v21, vcc
	v_cndmask_b32_e32 v20, v22, v20, vcc
	v_lshlrev_b32_e32 v10, 24, v10
	v_bfrev_b32_e32 v21, 60
	v_lshlrev_b32_e32 v20, 20, v20
	v_and_b32_e32 v10, 0x80000000, v10
	v_lshl_add_u32 v16, v16, 23, v21
	v_or3_b32 v20, v10, v16, v20
.LBB449_566:
	s_or_b64 exec, exec, s[8:9]
.LBB449_567:
	s_or_b64 exec, exec, s[6:7]
.LBB449_568:
	s_or_b64 exec, exec, s[4:5]
	v_mov_b32_e32 v10, v13
	v_cmp_ne_u16_sdwa s[6:7], v13, v11 src0_sel:BYTE_0 src1_sel:DWORD
	s_and_saveexec_b64 s[4:5], s[6:7]
	s_cbranch_execz .LBB449_574
; %bb.569:
	s_movk_i32 s3, 0x80
	v_cmp_ne_u16_sdwa s[8:9], v13, s3 src0_sel:BYTE_0 src1_sel:DWORD
	v_bfrev_b32_e32 v16, 1
	s_and_saveexec_b64 s[6:7], s[8:9]
	s_cbranch_execz .LBB449_573
; %bb.570:
	s_movk_i32 s3, 0x7f
	v_and_b32_e32 v21, 0x7f, v13
	v_cmp_ne_u32_e32 vcc, s3, v21
	v_mov_b32_e32 v16, 0x7f800001
	s_and_saveexec_b64 s[8:9], vcc
	s_cbranch_execz .LBB449_572
; %bb.571:
	v_and_b32_e32 v16, 7, v13
	v_ffbh_u32_e32 v16, v16
	v_min_u32_e32 v16, 32, v16
	v_subrev_u32_e32 v23, 28, v16
	v_cmp_gt_u32_e32 vcc, 8, v21
	v_lshrrev_b32_e32 v22, 3, v21
	v_sub_u32_e32 v16, 29, v16
	v_cndmask_b32_e32 v21, 0, v23, vcc
	v_cndmask_b32_e32 v16, v22, v16, vcc
	v_lshlrev_b64 v[22:23], v21, v[10:11]
	v_lshlrev_b32_e32 v11, 20, v22
	v_lshlrev_b32_e32 v21, 24, v10
	v_bfrev_b32_e32 v22, 60
	v_and_b32_e32 v11, 0x700000, v11
	v_and_b32_e32 v21, 0x80000000, v21
	v_lshl_add_u32 v16, v16, 23, v22
	v_or3_b32 v16, v21, v16, v11
.LBB449_572:
	s_or_b64 exec, exec, s[8:9]
.LBB449_573:
	s_or_b64 exec, exec, s[6:7]
	v_mov_b32_e32 v11, v16
.LBB449_574:
	s_or_b64 exec, exec, s[4:5]
	v_lshrrev_b16_e32 v16, 8, v10
	v_cmp_ne_u16_e32 vcc, 0, v16
	v_mov_b32_e32 v21, 0
	v_mov_b32_e32 v22, 0
	s_and_saveexec_b64 s[4:5], vcc
	s_cbranch_execz .LBB449_580
; %bb.575:
	s_movk_i32 s3, 0x80
	v_cmp_ne_u16_e32 vcc, s3, v16
	v_bfrev_b32_e32 v22, 1
	s_and_saveexec_b64 s[6:7], vcc
	s_cbranch_execz .LBB449_579
; %bb.576:
	s_movk_i32 s3, 0x7f
	v_and_b32_e32 v23, 0x7f, v16
	v_cmp_ne_u32_e32 vcc, s3, v23
	v_mov_b32_e32 v22, 0x7f800001
	s_and_saveexec_b64 s[8:9], vcc
	s_cbranch_execz .LBB449_578
; %bb.577:
	v_and_b32_e32 v22, 7, v16
	v_ffbh_u32_e32 v26, v22
	v_min_u32_e32 v28, 32, v26
	v_subrev_u32_e32 v26, 28, v28
	v_lshlrev_b64 v[26:27], v26, v[16:17]
	v_lshrrev_b32_e32 v24, 3, v23
	v_sub_u32_e32 v16, 29, v28
	v_and_b32_e32 v26, 7, v26
	v_cmp_gt_u32_e32 vcc, 8, v23
	v_cndmask_b32_e32 v16, v24, v16, vcc
	v_cndmask_b32_e32 v22, v22, v26, vcc
	v_lshlrev_b32_e32 v10, 16, v10
	v_bfrev_b32_e32 v23, 60
	v_lshlrev_b32_e32 v22, 20, v22
	v_and_b32_e32 v10, 0x80000000, v10
	v_lshl_add_u32 v16, v16, 23, v23
	v_or3_b32 v22, v10, v16, v22
.LBB449_578:
	s_or_b64 exec, exec, s[8:9]
.LBB449_579:
	s_or_b64 exec, exec, s[6:7]
.LBB449_580:
	s_or_b64 exec, exec, s[4:5]
	s_movk_i32 s3, 0xff
	v_and_b32_sdwa v16, v13, s3 dst_sel:DWORD dst_unused:UNUSED_PAD src0_sel:WORD_1 src1_sel:DWORD
	v_lshrrev_b32_e32 v10, 16, v13
	v_cmp_ne_u16_e32 vcc, 0, v16
	s_and_saveexec_b64 s[4:5], vcc
	s_cbranch_execz .LBB449_586
; %bb.581:
	s_movk_i32 s3, 0x80
	v_cmp_ne_u16_e32 vcc, s3, v16
	v_bfrev_b32_e32 v21, 1
	s_and_saveexec_b64 s[6:7], vcc
	s_cbranch_execz .LBB449_585
; %bb.582:
	v_bfe_u32 v16, v13, 16, 7
	s_movk_i32 s3, 0x7f
	v_cmp_ne_u32_e32 vcc, s3, v16
	v_mov_b32_e32 v21, 0x7f800001
	s_and_saveexec_b64 s[8:9], vcc
	s_cbranch_execz .LBB449_584
; %bb.583:
	v_and_b32_e32 v21, 7, v10
	v_ffbh_u32_e32 v24, v21
	v_min_u32_e32 v24, 32, v24
	v_subrev_u32_e32 v26, 28, v24
	v_lshlrev_b64 v[26:27], v26, v[10:11]
	v_sub_u32_e32 v10, 29, v24
	v_and_b32_e32 v24, 7, v26
	v_cmp_gt_u32_e32 vcc, 8, v16
	v_lshrrev_b32_e32 v23, 3, v16
	v_cndmask_b32_e32 v16, v21, v24, vcc
	v_mov_b32_e32 v21, 24
	v_cndmask_b32_e32 v10, v23, v10, vcc
	v_lshlrev_b32_sdwa v21, v21, v13 dst_sel:DWORD dst_unused:UNUSED_PAD src0_sel:DWORD src1_sel:WORD_1
	v_bfrev_b32_e32 v23, 60
	v_lshlrev_b32_e32 v16, 20, v16
	v_and_b32_e32 v21, 0x80000000, v21
	v_lshl_add_u32 v10, v10, 23, v23
	v_or3_b32 v21, v21, v10, v16
.LBB449_584:
	s_or_b64 exec, exec, s[8:9]
.LBB449_585:
	s_or_b64 exec, exec, s[6:7]
.LBB449_586:
	s_or_b64 exec, exec, s[4:5]
	s_mov_b32 s4, -1
	s_mov_b32 s5, 0xffffff
	v_cmp_lt_u64_e32 vcc, s[4:5], v[12:13]
	v_mov_b32_e32 v16, 0
	v_mov_b32_e32 v12, 0
	s_and_saveexec_b64 s[4:5], vcc
	s_cbranch_execz .LBB449_592
; %bb.587:
	v_lshrrev_b32_e32 v10, 24, v13
	s_movk_i32 s3, 0x80
	v_cmp_ne_u32_e32 vcc, s3, v10
	v_bfrev_b32_e32 v12, 1
	s_and_saveexec_b64 s[6:7], vcc
	s_cbranch_execz .LBB449_591
; %bb.588:
	v_bfe_u32 v13, v13, 24, 7
	s_movk_i32 s3, 0x7f
	v_cmp_ne_u32_e32 vcc, s3, v13
	v_mov_b32_e32 v12, 0x7f800001
	s_and_saveexec_b64 s[8:9], vcc
	s_cbranch_execz .LBB449_590
; %bb.589:
	v_and_b32_e32 v12, 7, v10
	v_ffbh_u32_e32 v24, v12
	v_min_u32_e32 v24, 32, v24
	v_subrev_u32_e32 v26, 28, v24
	v_lshlrev_b64 v[26:27], v26, v[10:11]
	v_lshrrev_b32_e32 v23, 3, v13
	v_sub_u32_e32 v24, 29, v24
	v_and_b32_e32 v26, 7, v26
	v_cmp_gt_u32_e32 vcc, 8, v13
	v_cndmask_b32_e32 v13, v23, v24, vcc
	v_cndmask_b32_e32 v12, v12, v26, vcc
	v_lshlrev_b32_e32 v10, 24, v10
	v_bfrev_b32_e32 v23, 60
	v_lshlrev_b32_e32 v12, 20, v12
	v_and_b32_e32 v10, 0x80000000, v10
	v_lshl_add_u32 v13, v13, 23, v23
	v_or3_b32 v12, v10, v13, v12
.LBB449_590:
	s_or_b64 exec, exec, s[8:9]
.LBB449_591:
	s_or_b64 exec, exec, s[6:7]
.LBB449_592:
	s_or_b64 exec, exec, s[4:5]
	v_cvt_pkrtz_f16_f32 v18, v18, v19
	v_cvt_pkrtz_f16_f32 v19, v17, v20
	;; [unrolled: 1-line block ×4, first 2 shown]
	v_mfma_f32_4x4x4f16 a[0:3], v[14:15], v[18:19], a[0:3] cbsz:4 abid:6
	s_waitcnt vmcnt(2)
	v_cmp_ne_u16_sdwa s[6:7], v6, v16 src0_sel:BYTE_0 src1_sel:DWORD
	v_mfma_f32_4x4x4f16 a[0:3], v[14:15], v[10:11], a[0:3] cbsz:4 abid:7
	s_and_saveexec_b64 s[4:5], s[6:7]
	s_cbranch_execz .LBB449_598
; %bb.593:
	s_movk_i32 s3, 0x80
	v_cmp_ne_u16_sdwa s[8:9], v6, s3 src0_sel:BYTE_0 src1_sel:DWORD
	v_bfrev_b32_e32 v16, 1
	s_and_saveexec_b64 s[6:7], s[8:9]
	s_cbranch_execz .LBB449_597
; %bb.594:
	s_movk_i32 s3, 0x7f
	v_and_b32_e32 v10, 0x7f, v6
	v_cmp_ne_u32_e32 vcc, s3, v10
	v_mov_b32_e32 v16, 0x7f800001
	s_and_saveexec_b64 s[8:9], vcc
	s_cbranch_execz .LBB449_596
; %bb.595:
	v_and_b32_e32 v11, 7, v6
	v_ffbh_u32_e32 v11, v11
	v_min_u32_e32 v11, 32, v11
	v_subrev_u32_e32 v13, 28, v11
	v_cmp_gt_u32_e32 vcc, 8, v10
	v_lshrrev_b32_e32 v12, 3, v10
	v_sub_u32_e32 v11, 29, v11
	v_cndmask_b32_e32 v10, 0, v13, vcc
	v_cndmask_b32_e32 v12, v12, v11, vcc
	v_lshlrev_b64 v[10:11], v10, v[6:7]
	v_lshlrev_b32_e32 v10, 20, v10
	v_lshlrev_b32_e32 v11, 24, v6
	v_bfrev_b32_e32 v13, 60
	v_and_b32_e32 v10, 0x700000, v10
	v_and_b32_e32 v11, 0x80000000, v11
	v_lshl_add_u32 v12, v12, 23, v13
	v_or3_b32 v16, v11, v12, v10
.LBB449_596:
	s_or_b64 exec, exec, s[8:9]
.LBB449_597:
	s_or_b64 exec, exec, s[6:7]
.LBB449_598:
	s_or_b64 exec, exec, s[4:5]
	v_lshrrev_b16_e32 v10, 8, v6
	v_cmp_ne_u16_e32 vcc, 0, v10
	v_mov_b32_e32 v13, 0
	v_mov_b32_e32 v17, 0
	s_and_saveexec_b64 s[4:5], vcc
	s_cbranch_execz .LBB449_604
; %bb.599:
	s_movk_i32 s3, 0x80
	v_cmp_ne_u16_e32 vcc, s3, v10
	v_bfrev_b32_e32 v17, 1
	s_and_saveexec_b64 s[6:7], vcc
	s_cbranch_execz .LBB449_603
; %bb.600:
	s_movk_i32 s3, 0x7f
	v_and_b32_e32 v11, 0x7f, v10
	v_cmp_ne_u32_e32 vcc, s3, v11
	v_mov_b32_e32 v17, 0x7f800001
	s_and_saveexec_b64 s[8:9], vcc
	s_cbranch_execz .LBB449_602
; %bb.601:
	v_and_b32_e32 v12, 7, v10
	v_ffbh_u32_e32 v18, v12
	v_min_u32_e32 v20, 32, v18
	v_subrev_u32_e32 v18, 28, v20
	v_lshlrev_b64 v[18:19], v18, v[10:11]
	v_lshrrev_b32_e32 v17, 3, v11
	v_sub_u32_e32 v10, 29, v20
	v_and_b32_e32 v18, 7, v18
	v_cmp_gt_u32_e32 vcc, 8, v11
	v_cndmask_b32_e32 v10, v17, v10, vcc
	v_cndmask_b32_e32 v11, v12, v18, vcc
	v_lshlrev_b32_e32 v12, 16, v6
	v_bfrev_b32_e32 v17, 60
	v_lshlrev_b32_e32 v11, 20, v11
	v_and_b32_e32 v12, 0x80000000, v12
	v_lshl_add_u32 v10, v10, 23, v17
	v_or3_b32 v17, v12, v10, v11
.LBB449_602:
	s_or_b64 exec, exec, s[8:9]
.LBB449_603:
	s_or_b64 exec, exec, s[6:7]
.LBB449_604:
	s_or_b64 exec, exec, s[4:5]
	s_movk_i32 s3, 0xff
	v_and_b32_sdwa v11, v6, s3 dst_sel:DWORD dst_unused:UNUSED_PAD src0_sel:WORD_1 src1_sel:DWORD
	v_lshrrev_b32_e32 v10, 16, v6
	v_cmp_ne_u16_e32 vcc, 0, v11
	s_and_saveexec_b64 s[4:5], vcc
	s_cbranch_execz .LBB449_610
; %bb.605:
	s_movk_i32 s3, 0x80
	v_cmp_ne_u16_e32 vcc, s3, v11
	v_bfrev_b32_e32 v13, 1
	s_and_saveexec_b64 s[6:7], vcc
	s_cbranch_execz .LBB449_609
; %bb.606:
	v_bfe_u32 v11, v6, 16, 7
	s_movk_i32 s3, 0x7f
	v_cmp_ne_u32_e32 vcc, s3, v11
	v_mov_b32_e32 v13, 0x7f800001
	s_and_saveexec_b64 s[8:9], vcc
	s_cbranch_execz .LBB449_608
; %bb.607:
	v_and_b32_e32 v18, 7, v10
	v_ffbh_u32_e32 v12, v18
	v_min_u32_e32 v20, 32, v12
	v_subrev_u32_e32 v12, 28, v20
	v_lshlrev_b64 v[12:13], v12, v[10:11]
	v_and_b32_e32 v12, 7, v12
	v_cmp_gt_u32_e32 vcc, 8, v11
	v_lshrrev_b32_e32 v19, 3, v11
	v_sub_u32_e32 v10, 29, v20
	v_cndmask_b32_e32 v11, v18, v12, vcc
	v_mov_b32_e32 v12, 24
	v_cndmask_b32_e32 v10, v19, v10, vcc
	v_lshlrev_b32_sdwa v12, v12, v6 dst_sel:DWORD dst_unused:UNUSED_PAD src0_sel:DWORD src1_sel:WORD_1
	v_bfrev_b32_e32 v13, 60
	v_lshlrev_b32_e32 v11, 20, v11
	v_and_b32_e32 v12, 0x80000000, v12
	v_lshl_add_u32 v10, v10, 23, v13
	v_or3_b32 v13, v12, v10, v11
.LBB449_608:
	s_or_b64 exec, exec, s[8:9]
.LBB449_609:
	s_or_b64 exec, exec, s[6:7]
.LBB449_610:
	s_or_b64 exec, exec, s[4:5]
	s_mov_b32 s3, 0xffffff
	v_cmp_lt_u32_e32 vcc, s3, v6
	v_mov_b32_e32 v11, 0
	v_mov_b32_e32 v18, 0
	s_and_saveexec_b64 s[4:5], vcc
	s_cbranch_execz .LBB449_616
; %bb.611:
	v_lshrrev_b32_e32 v10, 24, v6
	s_movk_i32 s3, 0x80
	v_cmp_ne_u32_e32 vcc, s3, v10
	v_bfrev_b32_e32 v18, 1
	s_and_saveexec_b64 s[6:7], vcc
	s_cbranch_execz .LBB449_615
; %bb.612:
	v_bfe_u32 v12, v6, 24, 7
	s_movk_i32 s3, 0x7f
	v_cmp_ne_u32_e32 vcc, s3, v12
	v_mov_b32_e32 v18, 0x7f800001
	s_and_saveexec_b64 s[8:9], vcc
	s_cbranch_execz .LBB449_614
; %bb.613:
	v_and_b32_e32 v20, 7, v10
	v_ffbh_u32_e32 v18, v20
	v_min_u32_e32 v22, 32, v18
	v_subrev_u32_e32 v18, 28, v22
	v_lshlrev_b64 v[18:19], v18, v[10:11]
	v_lshrrev_b32_e32 v21, 3, v12
	v_sub_u32_e32 v19, 29, v22
	v_and_b32_e32 v18, 7, v18
	v_cmp_gt_u32_e32 vcc, 8, v12
	v_cndmask_b32_e32 v12, v21, v19, vcc
	v_cndmask_b32_e32 v18, v20, v18, vcc
	v_lshlrev_b32_e32 v10, 24, v10
	v_bfrev_b32_e32 v19, 60
	v_lshlrev_b32_e32 v18, 20, v18
	v_and_b32_e32 v10, 0x80000000, v10
	v_lshl_add_u32 v12, v12, 23, v19
	v_or3_b32 v18, v10, v12, v18
.LBB449_614:
	s_or_b64 exec, exec, s[8:9]
.LBB449_615:
	s_or_b64 exec, exec, s[6:7]
.LBB449_616:
	s_or_b64 exec, exec, s[4:5]
	v_mov_b32_e32 v10, v7
	v_cmp_ne_u16_sdwa s[6:7], v7, v11 src0_sel:BYTE_0 src1_sel:DWORD
	s_and_saveexec_b64 s[4:5], s[6:7]
	s_cbranch_execz .LBB449_622
; %bb.617:
	s_movk_i32 s3, 0x80
	v_cmp_ne_u16_sdwa s[8:9], v7, s3 src0_sel:BYTE_0 src1_sel:DWORD
	v_bfrev_b32_e32 v12, 1
	s_and_saveexec_b64 s[6:7], s[8:9]
	s_cbranch_execz .LBB449_621
; %bb.618:
	s_movk_i32 s3, 0x7f
	v_and_b32_e32 v19, 0x7f, v7
	v_cmp_ne_u32_e32 vcc, s3, v19
	v_mov_b32_e32 v12, 0x7f800001
	s_and_saveexec_b64 s[8:9], vcc
	s_cbranch_execz .LBB449_620
; %bb.619:
	v_and_b32_e32 v12, 7, v7
	v_ffbh_u32_e32 v12, v12
	v_min_u32_e32 v12, 32, v12
	v_subrev_u32_e32 v21, 28, v12
	v_cmp_gt_u32_e32 vcc, 8, v19
	v_lshrrev_b32_e32 v20, 3, v19
	v_sub_u32_e32 v12, 29, v12
	v_cndmask_b32_e32 v19, 0, v21, vcc
	v_cndmask_b32_e32 v12, v20, v12, vcc
	v_lshlrev_b64 v[20:21], v19, v[10:11]
	v_lshlrev_b32_e32 v11, 20, v20
	v_lshlrev_b32_e32 v19, 24, v10
	v_bfrev_b32_e32 v20, 60
	v_and_b32_e32 v11, 0x700000, v11
	v_and_b32_e32 v19, 0x80000000, v19
	v_lshl_add_u32 v12, v12, 23, v20
	v_or3_b32 v12, v19, v12, v11
.LBB449_620:
	s_or_b64 exec, exec, s[8:9]
.LBB449_621:
	s_or_b64 exec, exec, s[6:7]
	v_mov_b32_e32 v11, v12
.LBB449_622:
	s_or_b64 exec, exec, s[4:5]
	v_lshrrev_b16_e32 v12, 8, v10
	v_cmp_ne_u16_e32 vcc, 0, v12
	v_mov_b32_e32 v19, 0
	v_mov_b32_e32 v20, 0
	s_and_saveexec_b64 s[4:5], vcc
	s_cbranch_execz .LBB449_628
; %bb.623:
	s_movk_i32 s3, 0x80
	v_cmp_ne_u16_e32 vcc, s3, v12
	v_bfrev_b32_e32 v20, 1
	s_and_saveexec_b64 s[6:7], vcc
	s_cbranch_execz .LBB449_627
; %bb.624:
	s_movk_i32 s3, 0x7f
	v_and_b32_e32 v21, 0x7f, v12
	v_cmp_ne_u32_e32 vcc, s3, v21
	v_mov_b32_e32 v20, 0x7f800001
	s_and_saveexec_b64 s[8:9], vcc
	s_cbranch_execz .LBB449_626
; %bb.625:
	v_and_b32_e32 v20, 7, v12
	v_ffbh_u32_e32 v22, v20
	v_min_u32_e32 v26, 32, v22
	v_subrev_u32_e32 v22, 28, v26
	v_lshlrev_b64 v[22:23], v22, v[12:13]
	v_lshrrev_b32_e32 v24, 3, v21
	v_sub_u32_e32 v12, 29, v26
	v_and_b32_e32 v22, 7, v22
	v_cmp_gt_u32_e32 vcc, 8, v21
	v_cndmask_b32_e32 v12, v24, v12, vcc
	v_cndmask_b32_e32 v20, v20, v22, vcc
	v_lshlrev_b32_e32 v10, 16, v10
	v_bfrev_b32_e32 v21, 60
	v_lshlrev_b32_e32 v20, 20, v20
	v_and_b32_e32 v10, 0x80000000, v10
	v_lshl_add_u32 v12, v12, 23, v21
	v_or3_b32 v20, v10, v12, v20
.LBB449_626:
	s_or_b64 exec, exec, s[8:9]
.LBB449_627:
	s_or_b64 exec, exec, s[6:7]
.LBB449_628:
	s_or_b64 exec, exec, s[4:5]
	s_movk_i32 s3, 0xff
	v_and_b32_sdwa v12, v7, s3 dst_sel:DWORD dst_unused:UNUSED_PAD src0_sel:WORD_1 src1_sel:DWORD
	v_lshrrev_b32_e32 v10, 16, v7
	v_cmp_ne_u16_e32 vcc, 0, v12
	s_and_saveexec_b64 s[4:5], vcc
	s_cbranch_execz .LBB449_634
; %bb.629:
	s_movk_i32 s3, 0x80
	v_cmp_ne_u16_e32 vcc, s3, v12
	v_bfrev_b32_e32 v19, 1
	s_and_saveexec_b64 s[6:7], vcc
	s_cbranch_execz .LBB449_633
; %bb.630:
	v_bfe_u32 v12, v7, 16, 7
	s_movk_i32 s3, 0x7f
	v_cmp_ne_u32_e32 vcc, s3, v12
	v_mov_b32_e32 v19, 0x7f800001
	s_and_saveexec_b64 s[8:9], vcc
	s_cbranch_execz .LBB449_632
; %bb.631:
	v_and_b32_e32 v19, 7, v10
	v_ffbh_u32_e32 v22, v19
	v_min_u32_e32 v24, 32, v22
	v_subrev_u32_e32 v22, 28, v24
	v_lshlrev_b64 v[22:23], v22, v[10:11]
	v_and_b32_e32 v22, 7, v22
	v_cmp_gt_u32_e32 vcc, 8, v12
	v_lshrrev_b32_e32 v21, 3, v12
	v_sub_u32_e32 v10, 29, v24
	v_cndmask_b32_e32 v12, v19, v22, vcc
	v_mov_b32_e32 v19, 24
	v_cndmask_b32_e32 v10, v21, v10, vcc
	v_lshlrev_b32_sdwa v19, v19, v7 dst_sel:DWORD dst_unused:UNUSED_PAD src0_sel:DWORD src1_sel:WORD_1
	v_bfrev_b32_e32 v21, 60
	v_lshlrev_b32_e32 v12, 20, v12
	v_and_b32_e32 v19, 0x80000000, v19
	v_lshl_add_u32 v10, v10, 23, v21
	v_or3_b32 v19, v19, v10, v12
.LBB449_632:
	s_or_b64 exec, exec, s[8:9]
.LBB449_633:
	s_or_b64 exec, exec, s[6:7]
.LBB449_634:
	s_or_b64 exec, exec, s[4:5]
	s_mov_b32 s4, -1
	s_mov_b32 s5, 0xffffff
	v_cmp_lt_u64_e32 vcc, s[4:5], v[6:7]
	v_mov_b32_e32 v12, 0
	v_mov_b32_e32 v10, 0
	s_and_saveexec_b64 s[4:5], vcc
	s_cbranch_execz .LBB449_640
; %bb.635:
	v_lshrrev_b32_e32 v6, 24, v7
	s_movk_i32 s3, 0x80
	v_cmp_ne_u32_e32 vcc, s3, v6
	v_bfrev_b32_e32 v10, 1
	s_and_saveexec_b64 s[6:7], vcc
	s_cbranch_execz .LBB449_639
; %bb.636:
	v_bfe_u32 v7, v7, 24, 7
	s_movk_i32 s3, 0x7f
	v_cmp_ne_u32_e32 vcc, s3, v7
	v_mov_b32_e32 v10, 0x7f800001
	s_and_saveexec_b64 s[8:9], vcc
	s_cbranch_execz .LBB449_638
; %bb.637:
	v_and_b32_e32 v10, 7, v6
	v_ffbh_u32_e32 v22, v10
	v_min_u32_e32 v24, 32, v22
	v_subrev_u32_e32 v22, 28, v24
	v_lshlrev_b64 v[22:23], v22, v[6:7]
	v_lshrrev_b32_e32 v21, 3, v7
	v_sub_u32_e32 v23, 29, v24
	v_and_b32_e32 v22, 7, v22
	v_cmp_gt_u32_e32 vcc, 8, v7
	v_cndmask_b32_e32 v7, v21, v23, vcc
	v_cndmask_b32_e32 v10, v10, v22, vcc
	v_lshlrev_b32_e32 v6, 24, v6
	v_bfrev_b32_e32 v21, 60
	v_lshlrev_b32_e32 v10, 20, v10
	v_and_b32_e32 v6, 0x80000000, v6
	v_lshl_add_u32 v7, v7, 23, v21
	v_or3_b32 v10, v6, v7, v10
.LBB449_638:
	s_or_b64 exec, exec, s[8:9]
.LBB449_639:
	s_or_b64 exec, exec, s[6:7]
.LBB449_640:
	s_or_b64 exec, exec, s[4:5]
	v_cvt_pkrtz_f16_f32 v6, v16, v17
	v_cvt_pkrtz_f16_f32 v7, v13, v18
	;; [unrolled: 1-line block ×4, first 2 shown]
	v_mfma_f32_4x4x4f16 a[0:3], v[14:15], v[6:7], a[0:3] cbsz:4 abid:8
	v_cmp_ne_u16_sdwa s[6:7], v8, v12 src0_sel:BYTE_0 src1_sel:DWORD
	v_mfma_f32_4x4x4f16 a[0:3], v[14:15], v[16:17], a[0:3] cbsz:4 abid:9
	s_and_saveexec_b64 s[4:5], s[6:7]
	s_cbranch_execz .LBB449_646
; %bb.641:
	s_movk_i32 s3, 0x80
	v_cmp_ne_u16_sdwa s[8:9], v8, s3 src0_sel:BYTE_0 src1_sel:DWORD
	v_bfrev_b32_e32 v12, 1
	s_and_saveexec_b64 s[6:7], s[8:9]
	s_cbranch_execz .LBB449_645
; %bb.642:
	s_movk_i32 s3, 0x7f
	v_and_b32_e32 v6, 0x7f, v8
	v_cmp_ne_u32_e32 vcc, s3, v6
	v_mov_b32_e32 v12, 0x7f800001
	s_and_saveexec_b64 s[8:9], vcc
	s_cbranch_execz .LBB449_644
; %bb.643:
	v_and_b32_e32 v7, 7, v8
	v_ffbh_u32_e32 v7, v7
	v_min_u32_e32 v7, 32, v7
	v_subrev_u32_e32 v11, 28, v7
	v_cmp_gt_u32_e32 vcc, 8, v6
	v_lshrrev_b32_e32 v10, 3, v6
	v_sub_u32_e32 v7, 29, v7
	v_cndmask_b32_e32 v6, 0, v11, vcc
	v_cndmask_b32_e32 v10, v10, v7, vcc
	v_lshlrev_b64 v[6:7], v6, v[8:9]
	v_lshlrev_b32_e32 v6, 20, v6
	v_lshlrev_b32_e32 v7, 24, v8
	v_bfrev_b32_e32 v11, 60
	v_and_b32_e32 v6, 0x700000, v6
	v_and_b32_e32 v7, 0x80000000, v7
	v_lshl_add_u32 v10, v10, 23, v11
	v_or3_b32 v12, v7, v10, v6
.LBB449_644:
	s_or_b64 exec, exec, s[8:9]
.LBB449_645:
	s_or_b64 exec, exec, s[6:7]
.LBB449_646:
	s_or_b64 exec, exec, s[4:5]
	v_lshrrev_b16_e32 v6, 8, v8
	v_cmp_ne_u16_e32 vcc, 0, v6
	v_mov_b32_e32 v11, 0
	v_mov_b32_e32 v13, 0
	s_and_saveexec_b64 s[4:5], vcc
	s_cbranch_execz .LBB449_652
; %bb.647:
	s_movk_i32 s3, 0x80
	v_cmp_ne_u16_e32 vcc, s3, v6
	v_bfrev_b32_e32 v13, 1
	s_and_saveexec_b64 s[6:7], vcc
	s_cbranch_execz .LBB449_651
; %bb.648:
	s_movk_i32 s3, 0x7f
	v_and_b32_e32 v7, 0x7f, v6
	v_cmp_ne_u32_e32 vcc, s3, v7
	v_mov_b32_e32 v13, 0x7f800001
	s_and_saveexec_b64 s[8:9], vcc
	s_cbranch_execz .LBB449_650
; %bb.649:
	v_and_b32_e32 v10, 7, v6
	v_ffbh_u32_e32 v16, v10
	v_min_u32_e32 v18, 32, v16
	v_subrev_u32_e32 v16, 28, v18
	v_lshlrev_b64 v[16:17], v16, v[6:7]
	v_lshrrev_b32_e32 v13, 3, v7
	v_sub_u32_e32 v6, 29, v18
	v_and_b32_e32 v16, 7, v16
	v_cmp_gt_u32_e32 vcc, 8, v7
	v_cndmask_b32_e32 v6, v13, v6, vcc
	v_cndmask_b32_e32 v7, v10, v16, vcc
	v_lshlrev_b32_e32 v10, 16, v8
	v_bfrev_b32_e32 v13, 60
	v_lshlrev_b32_e32 v7, 20, v7
	v_and_b32_e32 v10, 0x80000000, v10
	v_lshl_add_u32 v6, v6, 23, v13
	v_or3_b32 v13, v10, v6, v7
.LBB449_650:
	s_or_b64 exec, exec, s[8:9]
.LBB449_651:
	s_or_b64 exec, exec, s[6:7]
.LBB449_652:
	s_or_b64 exec, exec, s[4:5]
	s_movk_i32 s3, 0xff
	v_and_b32_sdwa v7, v8, s3 dst_sel:DWORD dst_unused:UNUSED_PAD src0_sel:WORD_1 src1_sel:DWORD
	v_lshrrev_b32_e32 v6, 16, v8
	v_cmp_ne_u16_e32 vcc, 0, v7
	s_and_saveexec_b64 s[4:5], vcc
	s_cbranch_execz .LBB449_658
; %bb.653:
	s_movk_i32 s3, 0x80
	v_cmp_ne_u16_e32 vcc, s3, v7
	v_bfrev_b32_e32 v11, 1
	s_and_saveexec_b64 s[6:7], vcc
	s_cbranch_execz .LBB449_657
; %bb.654:
	v_bfe_u32 v7, v8, 16, 7
	s_movk_i32 s3, 0x7f
	v_cmp_ne_u32_e32 vcc, s3, v7
	v_mov_b32_e32 v11, 0x7f800001
	s_and_saveexec_b64 s[8:9], vcc
	s_cbranch_execz .LBB449_656
; %bb.655:
	v_and_b32_e32 v16, 7, v6
	v_ffbh_u32_e32 v10, v16
	v_min_u32_e32 v18, 32, v10
	v_subrev_u32_e32 v10, 28, v18
	v_lshlrev_b64 v[10:11], v10, v[6:7]
	v_and_b32_e32 v10, 7, v10
	v_cmp_gt_u32_e32 vcc, 8, v7
	v_lshrrev_b32_e32 v17, 3, v7
	v_sub_u32_e32 v6, 29, v18
	v_cndmask_b32_e32 v7, v16, v10, vcc
	v_mov_b32_e32 v10, 24
	v_cndmask_b32_e32 v6, v17, v6, vcc
	v_lshlrev_b32_sdwa v10, v10, v8 dst_sel:DWORD dst_unused:UNUSED_PAD src0_sel:DWORD src1_sel:WORD_1
	v_bfrev_b32_e32 v11, 60
	v_lshlrev_b32_e32 v7, 20, v7
	v_and_b32_e32 v10, 0x80000000, v10
	v_lshl_add_u32 v6, v6, 23, v11
	v_or3_b32 v11, v10, v6, v7
.LBB449_656:
	s_or_b64 exec, exec, s[8:9]
.LBB449_657:
	s_or_b64 exec, exec, s[6:7]
.LBB449_658:
	s_or_b64 exec, exec, s[4:5]
	s_mov_b32 s3, 0xffffff
	v_cmp_lt_u32_e32 vcc, s3, v8
	v_mov_b32_e32 v7, 0
	v_mov_b32_e32 v16, 0
	s_and_saveexec_b64 s[4:5], vcc
	s_cbranch_execz .LBB449_664
; %bb.659:
	v_lshrrev_b32_e32 v6, 24, v8
	s_movk_i32 s3, 0x80
	v_cmp_ne_u32_e32 vcc, s3, v6
	v_bfrev_b32_e32 v16, 1
	s_and_saveexec_b64 s[6:7], vcc
	s_cbranch_execz .LBB449_663
; %bb.660:
	v_bfe_u32 v10, v8, 24, 7
	s_movk_i32 s3, 0x7f
	v_cmp_ne_u32_e32 vcc, s3, v10
	v_mov_b32_e32 v16, 0x7f800001
	s_and_saveexec_b64 s[8:9], vcc
	s_cbranch_execz .LBB449_662
; %bb.661:
	v_and_b32_e32 v18, 7, v6
	v_ffbh_u32_e32 v16, v18
	v_min_u32_e32 v20, 32, v16
	v_subrev_u32_e32 v16, 28, v20
	v_lshlrev_b64 v[16:17], v16, v[6:7]
	v_lshrrev_b32_e32 v19, 3, v10
	v_sub_u32_e32 v17, 29, v20
	v_and_b32_e32 v16, 7, v16
	v_cmp_gt_u32_e32 vcc, 8, v10
	v_cndmask_b32_e32 v10, v19, v17, vcc
	v_cndmask_b32_e32 v16, v18, v16, vcc
	v_lshlrev_b32_e32 v6, 24, v6
	v_bfrev_b32_e32 v17, 60
	v_lshlrev_b32_e32 v16, 20, v16
	v_and_b32_e32 v6, 0x80000000, v6
	v_lshl_add_u32 v10, v10, 23, v17
	v_or3_b32 v16, v6, v10, v16
.LBB449_662:
	s_or_b64 exec, exec, s[8:9]
.LBB449_663:
	s_or_b64 exec, exec, s[6:7]
.LBB449_664:
	s_or_b64 exec, exec, s[4:5]
	v_mov_b32_e32 v6, v9
	v_cmp_ne_u16_sdwa s[6:7], v9, v7 src0_sel:BYTE_0 src1_sel:DWORD
	s_and_saveexec_b64 s[4:5], s[6:7]
	s_cbranch_execz .LBB449_670
; %bb.665:
	s_movk_i32 s3, 0x80
	v_cmp_ne_u16_sdwa s[8:9], v9, s3 src0_sel:BYTE_0 src1_sel:DWORD
	v_bfrev_b32_e32 v10, 1
	s_and_saveexec_b64 s[6:7], s[8:9]
	s_cbranch_execz .LBB449_669
; %bb.666:
	s_movk_i32 s3, 0x7f
	v_and_b32_e32 v17, 0x7f, v9
	v_cmp_ne_u32_e32 vcc, s3, v17
	v_mov_b32_e32 v10, 0x7f800001
	s_and_saveexec_b64 s[8:9], vcc
	s_cbranch_execz .LBB449_668
; %bb.667:
	v_and_b32_e32 v10, 7, v9
	v_ffbh_u32_e32 v10, v10
	v_min_u32_e32 v10, 32, v10
	v_subrev_u32_e32 v19, 28, v10
	v_cmp_gt_u32_e32 vcc, 8, v17
	v_lshrrev_b32_e32 v18, 3, v17
	v_sub_u32_e32 v10, 29, v10
	v_cndmask_b32_e32 v17, 0, v19, vcc
	v_cndmask_b32_e32 v10, v18, v10, vcc
	v_lshlrev_b64 v[18:19], v17, v[6:7]
	v_lshlrev_b32_e32 v7, 20, v18
	v_lshlrev_b32_e32 v17, 24, v6
	v_bfrev_b32_e32 v18, 60
	v_and_b32_e32 v7, 0x700000, v7
	v_and_b32_e32 v17, 0x80000000, v17
	v_lshl_add_u32 v10, v10, 23, v18
	v_or3_b32 v10, v17, v10, v7
.LBB449_668:
	s_or_b64 exec, exec, s[8:9]
.LBB449_669:
	s_or_b64 exec, exec, s[6:7]
	v_mov_b32_e32 v7, v10
.LBB449_670:
	s_or_b64 exec, exec, s[4:5]
	v_lshrrev_b16_e32 v10, 8, v6
	v_cmp_ne_u16_e32 vcc, 0, v10
	v_mov_b32_e32 v17, 0
	v_mov_b32_e32 v18, 0
	s_and_saveexec_b64 s[4:5], vcc
	s_cbranch_execz .LBB449_676
; %bb.671:
	s_movk_i32 s3, 0x80
	v_cmp_ne_u16_e32 vcc, s3, v10
	v_bfrev_b32_e32 v18, 1
	s_and_saveexec_b64 s[6:7], vcc
	s_cbranch_execz .LBB449_675
; %bb.672:
	s_movk_i32 s3, 0x7f
	v_and_b32_e32 v19, 0x7f, v10
	v_cmp_ne_u32_e32 vcc, s3, v19
	v_mov_b32_e32 v18, 0x7f800001
	s_and_saveexec_b64 s[8:9], vcc
	s_cbranch_execz .LBB449_674
; %bb.673:
	v_and_b32_e32 v18, 7, v10
	v_ffbh_u32_e32 v20, v18
	v_min_u32_e32 v23, 32, v20
	v_subrev_u32_e32 v20, 28, v23
	v_lshlrev_b64 v[20:21], v20, v[10:11]
	v_lshrrev_b32_e32 v22, 3, v19
	v_sub_u32_e32 v10, 29, v23
	v_and_b32_e32 v20, 7, v20
	v_cmp_gt_u32_e32 vcc, 8, v19
	v_cndmask_b32_e32 v10, v22, v10, vcc
	v_cndmask_b32_e32 v18, v18, v20, vcc
	v_lshlrev_b32_e32 v6, 16, v6
	v_bfrev_b32_e32 v19, 60
	v_lshlrev_b32_e32 v18, 20, v18
	v_and_b32_e32 v6, 0x80000000, v6
	v_lshl_add_u32 v10, v10, 23, v19
	v_or3_b32 v18, v6, v10, v18
.LBB449_674:
	s_or_b64 exec, exec, s[8:9]
.LBB449_675:
	s_or_b64 exec, exec, s[6:7]
.LBB449_676:
	s_or_b64 exec, exec, s[4:5]
	s_movk_i32 s3, 0xff
	v_and_b32_sdwa v10, v9, s3 dst_sel:DWORD dst_unused:UNUSED_PAD src0_sel:WORD_1 src1_sel:DWORD
	v_lshrrev_b32_e32 v6, 16, v9
	v_cmp_ne_u16_e32 vcc, 0, v10
	s_and_saveexec_b64 s[4:5], vcc
	s_cbranch_execz .LBB449_682
; %bb.677:
	s_movk_i32 s3, 0x80
	v_cmp_ne_u16_e32 vcc, s3, v10
	v_bfrev_b32_e32 v17, 1
	s_and_saveexec_b64 s[6:7], vcc
	s_cbranch_execz .LBB449_681
; %bb.678:
	v_bfe_u32 v10, v9, 16, 7
	s_movk_i32 s3, 0x7f
	v_cmp_ne_u32_e32 vcc, s3, v10
	v_mov_b32_e32 v17, 0x7f800001
	s_and_saveexec_b64 s[8:9], vcc
	s_cbranch_execz .LBB449_680
; %bb.679:
	v_and_b32_e32 v17, 7, v6
	v_ffbh_u32_e32 v20, v17
	v_min_u32_e32 v22, 32, v20
	v_subrev_u32_e32 v20, 28, v22
	v_lshlrev_b64 v[20:21], v20, v[6:7]
	v_and_b32_e32 v20, 7, v20
	v_cmp_gt_u32_e32 vcc, 8, v10
	v_lshrrev_b32_e32 v19, 3, v10
	v_sub_u32_e32 v6, 29, v22
	v_cndmask_b32_e32 v10, v17, v20, vcc
	v_mov_b32_e32 v17, 24
	v_cndmask_b32_e32 v6, v19, v6, vcc
	v_lshlrev_b32_sdwa v17, v17, v9 dst_sel:DWORD dst_unused:UNUSED_PAD src0_sel:DWORD src1_sel:WORD_1
	v_bfrev_b32_e32 v19, 60
	v_lshlrev_b32_e32 v10, 20, v10
	v_and_b32_e32 v17, 0x80000000, v17
	v_lshl_add_u32 v6, v6, 23, v19
	v_or3_b32 v17, v17, v6, v10
.LBB449_680:
	s_or_b64 exec, exec, s[8:9]
.LBB449_681:
	s_or_b64 exec, exec, s[6:7]
.LBB449_682:
	s_or_b64 exec, exec, s[4:5]
	s_mov_b32 s4, -1
	s_mov_b32 s5, 0xffffff
	v_cmp_lt_u64_e32 vcc, s[4:5], v[8:9]
	v_mov_b32_e32 v10, 0
	v_mov_b32_e32 v8, 0
	s_and_saveexec_b64 s[4:5], vcc
	s_cbranch_execz .LBB449_688
; %bb.683:
	v_lshrrev_b32_e32 v6, 24, v9
	s_movk_i32 s3, 0x80
	v_cmp_ne_u32_e32 vcc, s3, v6
	v_bfrev_b32_e32 v8, 1
	s_and_saveexec_b64 s[6:7], vcc
	s_cbranch_execz .LBB449_687
; %bb.684:
	v_bfe_u32 v9, v9, 24, 7
	s_movk_i32 s3, 0x7f
	v_cmp_ne_u32_e32 vcc, s3, v9
	v_mov_b32_e32 v8, 0x7f800001
	s_and_saveexec_b64 s[8:9], vcc
	s_cbranch_execz .LBB449_686
; %bb.685:
	v_and_b32_e32 v8, 7, v6
	v_ffbh_u32_e32 v20, v8
	v_min_u32_e32 v22, 32, v20
	v_subrev_u32_e32 v20, 28, v22
	v_lshlrev_b64 v[20:21], v20, v[6:7]
	v_lshrrev_b32_e32 v19, 3, v9
	v_sub_u32_e32 v21, 29, v22
	v_and_b32_e32 v20, 7, v20
	v_cmp_gt_u32_e32 vcc, 8, v9
	v_cndmask_b32_e32 v9, v19, v21, vcc
	v_cndmask_b32_e32 v8, v8, v20, vcc
	v_lshlrev_b32_e32 v6, 24, v6
	v_bfrev_b32_e32 v19, 60
	v_lshlrev_b32_e32 v8, 20, v8
	v_and_b32_e32 v6, 0x80000000, v6
	v_lshl_add_u32 v9, v9, 23, v19
	v_or3_b32 v8, v6, v9, v8
.LBB449_686:
	s_or_b64 exec, exec, s[8:9]
.LBB449_687:
	s_or_b64 exec, exec, s[6:7]
.LBB449_688:
	s_or_b64 exec, exec, s[4:5]
	v_cvt_pkrtz_f16_f32 v12, v12, v13
	v_cvt_pkrtz_f16_f32 v13, v11, v16
	;; [unrolled: 1-line block ×4, first 2 shown]
	v_mfma_f32_4x4x4f16 a[0:3], v[14:15], v[12:13], a[0:3] cbsz:4 abid:10
	v_cmp_ne_u16_sdwa s[6:7], v2, v10 src0_sel:BYTE_0 src1_sel:DWORD
	v_mfma_f32_4x4x4f16 a[0:3], v[14:15], v[6:7], a[0:3] cbsz:4 abid:11
	s_and_saveexec_b64 s[4:5], s[6:7]
	s_cbranch_execz .LBB449_694
; %bb.689:
	s_movk_i32 s3, 0x80
	v_cmp_ne_u16_sdwa s[8:9], v2, s3 src0_sel:BYTE_0 src1_sel:DWORD
	v_bfrev_b32_e32 v10, 1
	s_and_saveexec_b64 s[6:7], s[8:9]
	s_cbranch_execz .LBB449_693
; %bb.690:
	s_movk_i32 s3, 0x7f
	v_and_b32_e32 v6, 0x7f, v2
	v_cmp_ne_u32_e32 vcc, s3, v6
	v_mov_b32_e32 v10, 0x7f800001
	s_and_saveexec_b64 s[8:9], vcc
	s_cbranch_execz .LBB449_692
; %bb.691:
	v_and_b32_e32 v7, 7, v2
	v_ffbh_u32_e32 v7, v7
	v_min_u32_e32 v7, 32, v7
	v_subrev_u32_e32 v9, 28, v7
	v_cmp_gt_u32_e32 vcc, 8, v6
	v_lshrrev_b32_e32 v8, 3, v6
	v_sub_u32_e32 v7, 29, v7
	v_cndmask_b32_e32 v6, 0, v9, vcc
	v_cndmask_b32_e32 v8, v8, v7, vcc
	v_lshlrev_b64 v[6:7], v6, v[2:3]
	v_lshlrev_b32_e32 v6, 20, v6
	v_lshlrev_b32_e32 v7, 24, v2
	v_bfrev_b32_e32 v9, 60
	v_and_b32_e32 v6, 0x700000, v6
	v_and_b32_e32 v7, 0x80000000, v7
	v_lshl_add_u32 v8, v8, 23, v9
	v_or3_b32 v10, v7, v8, v6
.LBB449_692:
	s_or_b64 exec, exec, s[8:9]
.LBB449_693:
	s_or_b64 exec, exec, s[6:7]
.LBB449_694:
	s_or_b64 exec, exec, s[4:5]
	v_lshrrev_b16_e32 v6, 8, v2
	v_cmp_ne_u16_e32 vcc, 0, v6
	v_mov_b32_e32 v9, 0
	v_mov_b32_e32 v11, 0
	s_and_saveexec_b64 s[4:5], vcc
	s_cbranch_execz .LBB449_700
; %bb.695:
	s_movk_i32 s3, 0x80
	v_cmp_ne_u16_e32 vcc, s3, v6
	v_bfrev_b32_e32 v11, 1
	s_and_saveexec_b64 s[6:7], vcc
	s_cbranch_execz .LBB449_699
; %bb.696:
	s_movk_i32 s3, 0x7f
	v_and_b32_e32 v7, 0x7f, v6
	v_cmp_ne_u32_e32 vcc, s3, v7
	v_mov_b32_e32 v11, 0x7f800001
	s_and_saveexec_b64 s[8:9], vcc
	s_cbranch_execz .LBB449_698
; %bb.697:
	v_and_b32_e32 v8, 7, v6
	v_ffbh_u32_e32 v12, v8
	v_min_u32_e32 v16, 32, v12
	v_subrev_u32_e32 v12, 28, v16
	v_lshlrev_b64 v[12:13], v12, v[6:7]
	v_lshrrev_b32_e32 v11, 3, v7
	v_sub_u32_e32 v6, 29, v16
	v_and_b32_e32 v12, 7, v12
	v_cmp_gt_u32_e32 vcc, 8, v7
	v_cndmask_b32_e32 v6, v11, v6, vcc
	v_cndmask_b32_e32 v7, v8, v12, vcc
	v_lshlrev_b32_e32 v8, 16, v2
	v_bfrev_b32_e32 v11, 60
	v_lshlrev_b32_e32 v7, 20, v7
	v_and_b32_e32 v8, 0x80000000, v8
	v_lshl_add_u32 v6, v6, 23, v11
	v_or3_b32 v11, v8, v6, v7
.LBB449_698:
	s_or_b64 exec, exec, s[8:9]
.LBB449_699:
	s_or_b64 exec, exec, s[6:7]
.LBB449_700:
	s_or_b64 exec, exec, s[4:5]
	s_movk_i32 s3, 0xff
	v_and_b32_sdwa v7, v2, s3 dst_sel:DWORD dst_unused:UNUSED_PAD src0_sel:WORD_1 src1_sel:DWORD
	v_lshrrev_b32_e32 v6, 16, v2
	v_cmp_ne_u16_e32 vcc, 0, v7
	s_and_saveexec_b64 s[4:5], vcc
	s_cbranch_execz .LBB449_706
; %bb.701:
	s_movk_i32 s3, 0x80
	v_cmp_ne_u16_e32 vcc, s3, v7
	v_bfrev_b32_e32 v9, 1
	s_and_saveexec_b64 s[6:7], vcc
	s_cbranch_execz .LBB449_705
; %bb.702:
	v_bfe_u32 v7, v2, 16, 7
	s_movk_i32 s3, 0x7f
	v_cmp_ne_u32_e32 vcc, s3, v7
	v_mov_b32_e32 v9, 0x7f800001
	s_and_saveexec_b64 s[8:9], vcc
	s_cbranch_execz .LBB449_704
; %bb.703:
	v_and_b32_e32 v12, 7, v6
	v_ffbh_u32_e32 v8, v12
	v_min_u32_e32 v16, 32, v8
	v_subrev_u32_e32 v8, 28, v16
	v_lshlrev_b64 v[8:9], v8, v[6:7]
	v_and_b32_e32 v8, 7, v8
	v_cmp_gt_u32_e32 vcc, 8, v7
	v_lshrrev_b32_e32 v13, 3, v7
	v_sub_u32_e32 v6, 29, v16
	v_cndmask_b32_e32 v7, v12, v8, vcc
	v_mov_b32_e32 v8, 24
	v_cndmask_b32_e32 v6, v13, v6, vcc
	v_lshlrev_b32_sdwa v8, v8, v2 dst_sel:DWORD dst_unused:UNUSED_PAD src0_sel:DWORD src1_sel:WORD_1
	v_bfrev_b32_e32 v9, 60
	v_lshlrev_b32_e32 v7, 20, v7
	v_and_b32_e32 v8, 0x80000000, v8
	v_lshl_add_u32 v6, v6, 23, v9
	v_or3_b32 v9, v8, v6, v7
.LBB449_704:
	s_or_b64 exec, exec, s[8:9]
.LBB449_705:
	s_or_b64 exec, exec, s[6:7]
.LBB449_706:
	s_or_b64 exec, exec, s[4:5]
	s_mov_b32 s3, 0xffffff
	v_cmp_lt_u32_e32 vcc, s3, v2
	v_mov_b32_e32 v7, 0
	v_mov_b32_e32 v12, 0
	s_and_saveexec_b64 s[4:5], vcc
	s_cbranch_execz .LBB449_712
; %bb.707:
	v_lshrrev_b32_e32 v6, 24, v2
	s_movk_i32 s3, 0x80
	v_cmp_ne_u32_e32 vcc, s3, v6
	v_bfrev_b32_e32 v12, 1
	s_and_saveexec_b64 s[6:7], vcc
	s_cbranch_execz .LBB449_711
; %bb.708:
	v_bfe_u32 v8, v2, 24, 7
	s_movk_i32 s3, 0x7f
	v_cmp_ne_u32_e32 vcc, s3, v8
	v_mov_b32_e32 v12, 0x7f800001
	s_and_saveexec_b64 s[8:9], vcc
	s_cbranch_execz .LBB449_710
; %bb.709:
	v_and_b32_e32 v16, 7, v6
	v_ffbh_u32_e32 v12, v16
	v_min_u32_e32 v18, 32, v12
	v_subrev_u32_e32 v12, 28, v18
	v_lshlrev_b64 v[12:13], v12, v[6:7]
	v_lshrrev_b32_e32 v17, 3, v8
	v_sub_u32_e32 v13, 29, v18
	v_and_b32_e32 v12, 7, v12
	v_cmp_gt_u32_e32 vcc, 8, v8
	v_cndmask_b32_e32 v8, v17, v13, vcc
	v_cndmask_b32_e32 v12, v16, v12, vcc
	v_lshlrev_b32_e32 v6, 24, v6
	v_bfrev_b32_e32 v13, 60
	v_lshlrev_b32_e32 v12, 20, v12
	v_and_b32_e32 v6, 0x80000000, v6
	v_lshl_add_u32 v8, v8, 23, v13
	v_or3_b32 v12, v6, v8, v12
.LBB449_710:
	s_or_b64 exec, exec, s[8:9]
.LBB449_711:
	s_or_b64 exec, exec, s[6:7]
.LBB449_712:
	s_or_b64 exec, exec, s[4:5]
	v_mov_b32_e32 v6, v3
	v_cmp_ne_u16_sdwa s[6:7], v3, v7 src0_sel:BYTE_0 src1_sel:DWORD
	s_and_saveexec_b64 s[4:5], s[6:7]
	s_cbranch_execz .LBB449_718
; %bb.713:
	s_movk_i32 s3, 0x80
	v_cmp_ne_u16_sdwa s[8:9], v3, s3 src0_sel:BYTE_0 src1_sel:DWORD
	v_bfrev_b32_e32 v8, 1
	s_and_saveexec_b64 s[6:7], s[8:9]
	s_cbranch_execz .LBB449_717
; %bb.714:
	s_movk_i32 s3, 0x7f
	v_and_b32_e32 v13, 0x7f, v3
	v_cmp_ne_u32_e32 vcc, s3, v13
	v_mov_b32_e32 v8, 0x7f800001
	s_and_saveexec_b64 s[8:9], vcc
	s_cbranch_execz .LBB449_716
; %bb.715:
	v_and_b32_e32 v8, 7, v3
	v_ffbh_u32_e32 v8, v8
	v_min_u32_e32 v8, 32, v8
	v_subrev_u32_e32 v17, 28, v8
	v_cmp_gt_u32_e32 vcc, 8, v13
	v_lshrrev_b32_e32 v16, 3, v13
	v_sub_u32_e32 v8, 29, v8
	v_cndmask_b32_e32 v13, 0, v17, vcc
	v_cndmask_b32_e32 v8, v16, v8, vcc
	v_lshlrev_b64 v[16:17], v13, v[6:7]
	v_lshlrev_b32_e32 v7, 20, v16
	v_lshlrev_b32_e32 v13, 24, v6
	v_bfrev_b32_e32 v16, 60
	v_and_b32_e32 v7, 0x700000, v7
	v_and_b32_e32 v13, 0x80000000, v13
	v_lshl_add_u32 v8, v8, 23, v16
	v_or3_b32 v8, v13, v8, v7
.LBB449_716:
	s_or_b64 exec, exec, s[8:9]
.LBB449_717:
	s_or_b64 exec, exec, s[6:7]
	v_mov_b32_e32 v7, v8
.LBB449_718:
	s_or_b64 exec, exec, s[4:5]
	v_lshrrev_b16_e32 v8, 8, v6
	v_cmp_ne_u16_e32 vcc, 0, v8
	v_mov_b32_e32 v13, 0
	v_mov_b32_e32 v16, 0
	s_and_saveexec_b64 s[4:5], vcc
	s_cbranch_execz .LBB449_724
; %bb.719:
	s_movk_i32 s3, 0x80
	v_cmp_ne_u16_e32 vcc, s3, v8
	v_bfrev_b32_e32 v16, 1
	s_and_saveexec_b64 s[6:7], vcc
	s_cbranch_execz .LBB449_723
; %bb.720:
	s_movk_i32 s3, 0x7f
	v_and_b32_e32 v17, 0x7f, v8
	v_cmp_ne_u32_e32 vcc, s3, v17
	v_mov_b32_e32 v16, 0x7f800001
	s_and_saveexec_b64 s[8:9], vcc
	s_cbranch_execz .LBB449_722
; %bb.721:
	v_and_b32_e32 v16, 7, v8
	v_ffbh_u32_e32 v18, v16
	v_min_u32_e32 v21, 32, v18
	v_subrev_u32_e32 v18, 28, v21
	v_lshlrev_b64 v[18:19], v18, v[8:9]
	v_lshrrev_b32_e32 v20, 3, v17
	v_sub_u32_e32 v8, 29, v21
	v_and_b32_e32 v18, 7, v18
	v_cmp_gt_u32_e32 vcc, 8, v17
	v_cndmask_b32_e32 v8, v20, v8, vcc
	v_cndmask_b32_e32 v16, v16, v18, vcc
	v_lshlrev_b32_e32 v6, 16, v6
	v_bfrev_b32_e32 v17, 60
	v_lshlrev_b32_e32 v16, 20, v16
	v_and_b32_e32 v6, 0x80000000, v6
	v_lshl_add_u32 v8, v8, 23, v17
	v_or3_b32 v16, v6, v8, v16
.LBB449_722:
	s_or_b64 exec, exec, s[8:9]
.LBB449_723:
	s_or_b64 exec, exec, s[6:7]
.LBB449_724:
	s_or_b64 exec, exec, s[4:5]
	s_movk_i32 s3, 0xff
	v_and_b32_sdwa v8, v3, s3 dst_sel:DWORD dst_unused:UNUSED_PAD src0_sel:WORD_1 src1_sel:DWORD
	v_lshrrev_b32_e32 v6, 16, v3
	v_cmp_ne_u16_e32 vcc, 0, v8
	s_and_saveexec_b64 s[4:5], vcc
	s_cbranch_execz .LBB449_730
; %bb.725:
	s_movk_i32 s3, 0x80
	v_cmp_ne_u16_e32 vcc, s3, v8
	v_bfrev_b32_e32 v13, 1
	s_and_saveexec_b64 s[6:7], vcc
	s_cbranch_execz .LBB449_729
; %bb.726:
	v_bfe_u32 v8, v3, 16, 7
	s_movk_i32 s3, 0x7f
	v_cmp_ne_u32_e32 vcc, s3, v8
	v_mov_b32_e32 v13, 0x7f800001
	s_and_saveexec_b64 s[8:9], vcc
	s_cbranch_execz .LBB449_728
; %bb.727:
	v_and_b32_e32 v13, 7, v6
	v_ffbh_u32_e32 v18, v13
	v_min_u32_e32 v20, 32, v18
	v_subrev_u32_e32 v18, 28, v20
	v_lshlrev_b64 v[18:19], v18, v[6:7]
	v_and_b32_e32 v18, 7, v18
	v_cmp_gt_u32_e32 vcc, 8, v8
	v_lshrrev_b32_e32 v17, 3, v8
	v_sub_u32_e32 v6, 29, v20
	v_cndmask_b32_e32 v8, v13, v18, vcc
	v_mov_b32_e32 v13, 24
	v_cndmask_b32_e32 v6, v17, v6, vcc
	v_lshlrev_b32_sdwa v13, v13, v3 dst_sel:DWORD dst_unused:UNUSED_PAD src0_sel:DWORD src1_sel:WORD_1
	v_bfrev_b32_e32 v17, 60
	v_lshlrev_b32_e32 v8, 20, v8
	v_and_b32_e32 v13, 0x80000000, v13
	v_lshl_add_u32 v6, v6, 23, v17
	v_or3_b32 v13, v13, v6, v8
.LBB449_728:
	s_or_b64 exec, exec, s[8:9]
.LBB449_729:
	s_or_b64 exec, exec, s[6:7]
.LBB449_730:
	s_or_b64 exec, exec, s[4:5]
	s_mov_b32 s4, -1
	s_mov_b32 s5, 0xffffff
	v_cmp_lt_u64_e32 vcc, s[4:5], v[2:3]
	v_mov_b32_e32 v8, 0
	v_mov_b32_e32 v6, 0
	s_and_saveexec_b64 s[4:5], vcc
	s_cbranch_execz .LBB449_736
; %bb.731:
	v_lshrrev_b32_e32 v2, 24, v3
	s_movk_i32 s3, 0x80
	v_cmp_ne_u32_e32 vcc, s3, v2
	v_bfrev_b32_e32 v6, 1
	s_and_saveexec_b64 s[6:7], vcc
	s_cbranch_execz .LBB449_735
; %bb.732:
	v_bfe_u32 v3, v3, 24, 7
	s_movk_i32 s3, 0x7f
	v_cmp_ne_u32_e32 vcc, s3, v3
	v_mov_b32_e32 v6, 0x7f800001
	s_and_saveexec_b64 s[8:9], vcc
	s_cbranch_execz .LBB449_734
; %bb.733:
	v_and_b32_e32 v6, 7, v2
	v_ffbh_u32_e32 v18, v6
	v_min_u32_e32 v20, 32, v18
	v_subrev_u32_e32 v18, 28, v20
	v_lshlrev_b64 v[18:19], v18, v[2:3]
	v_lshrrev_b32_e32 v17, 3, v3
	v_sub_u32_e32 v19, 29, v20
	v_and_b32_e32 v18, 7, v18
	v_cmp_gt_u32_e32 vcc, 8, v3
	v_cndmask_b32_e32 v3, v17, v19, vcc
	v_cndmask_b32_e32 v6, v6, v18, vcc
	v_lshlrev_b32_e32 v2, 24, v2
	v_bfrev_b32_e32 v17, 60
	v_lshlrev_b32_e32 v6, 20, v6
	v_and_b32_e32 v2, 0x80000000, v2
	v_lshl_add_u32 v3, v3, 23, v17
	v_or3_b32 v6, v2, v3, v6
.LBB449_734:
	s_or_b64 exec, exec, s[8:9]
.LBB449_735:
	s_or_b64 exec, exec, s[6:7]
.LBB449_736:
	s_or_b64 exec, exec, s[4:5]
	v_cvt_pkrtz_f16_f32 v2, v10, v11
	v_cvt_pkrtz_f16_f32 v3, v9, v12
	;; [unrolled: 1-line block ×4, first 2 shown]
	v_mfma_f32_4x4x4f16 a[0:3], v[14:15], v[2:3], a[0:3] cbsz:4 abid:12
	v_cmp_ne_u16_sdwa s[6:7], v4, v8 src0_sel:BYTE_0 src1_sel:DWORD
	v_mfma_f32_4x4x4f16 a[0:3], v[14:15], v[10:11], a[0:3] cbsz:4 abid:13
	s_and_saveexec_b64 s[4:5], s[6:7]
	s_cbranch_execz .LBB449_742
; %bb.737:
	s_movk_i32 s3, 0x80
	v_cmp_ne_u16_sdwa s[8:9], v4, s3 src0_sel:BYTE_0 src1_sel:DWORD
	v_bfrev_b32_e32 v8, 1
	s_and_saveexec_b64 s[6:7], s[8:9]
	s_cbranch_execz .LBB449_741
; %bb.738:
	s_movk_i32 s3, 0x7f
	v_and_b32_e32 v2, 0x7f, v4
	v_cmp_ne_u32_e32 vcc, s3, v2
	v_mov_b32_e32 v8, 0x7f800001
	s_and_saveexec_b64 s[8:9], vcc
	s_cbranch_execz .LBB449_740
; %bb.739:
	v_and_b32_e32 v3, 7, v4
	v_ffbh_u32_e32 v3, v3
	v_min_u32_e32 v3, 32, v3
	v_subrev_u32_e32 v7, 28, v3
	v_cmp_gt_u32_e32 vcc, 8, v2
	v_lshrrev_b32_e32 v6, 3, v2
	v_sub_u32_e32 v3, 29, v3
	v_cndmask_b32_e32 v2, 0, v7, vcc
	v_cndmask_b32_e32 v6, v6, v3, vcc
	v_lshlrev_b64 v[2:3], v2, v[4:5]
	v_lshlrev_b32_e32 v2, 20, v2
	v_lshlrev_b32_e32 v3, 24, v4
	v_bfrev_b32_e32 v7, 60
	v_and_b32_e32 v2, 0x700000, v2
	v_and_b32_e32 v3, 0x80000000, v3
	v_lshl_add_u32 v6, v6, 23, v7
	v_or3_b32 v8, v3, v6, v2
.LBB449_740:
	s_or_b64 exec, exec, s[8:9]
.LBB449_741:
	s_or_b64 exec, exec, s[6:7]
.LBB449_742:
	s_or_b64 exec, exec, s[4:5]
	v_lshrrev_b16_e32 v2, 8, v4
	v_cmp_ne_u16_e32 vcc, 0, v2
	v_mov_b32_e32 v7, 0
	v_mov_b32_e32 v9, 0
	s_and_saveexec_b64 s[4:5], vcc
	s_cbranch_execz .LBB449_748
; %bb.743:
	s_movk_i32 s3, 0x80
	v_cmp_ne_u16_e32 vcc, s3, v2
	v_bfrev_b32_e32 v9, 1
	s_and_saveexec_b64 s[6:7], vcc
	s_cbranch_execz .LBB449_747
; %bb.744:
	s_movk_i32 s3, 0x7f
	v_and_b32_e32 v3, 0x7f, v2
	v_cmp_ne_u32_e32 vcc, s3, v3
	v_mov_b32_e32 v9, 0x7f800001
	s_and_saveexec_b64 s[8:9], vcc
	s_cbranch_execz .LBB449_746
; %bb.745:
	v_and_b32_e32 v6, 7, v2
	v_ffbh_u32_e32 v10, v6
	v_min_u32_e32 v12, 32, v10
	v_subrev_u32_e32 v10, 28, v12
	v_lshlrev_b64 v[10:11], v10, v[2:3]
	v_lshrrev_b32_e32 v9, 3, v3
	v_sub_u32_e32 v2, 29, v12
	v_and_b32_e32 v10, 7, v10
	v_cmp_gt_u32_e32 vcc, 8, v3
	v_cndmask_b32_e32 v2, v9, v2, vcc
	v_cndmask_b32_e32 v3, v6, v10, vcc
	v_lshlrev_b32_e32 v6, 16, v4
	v_bfrev_b32_e32 v9, 60
	v_lshlrev_b32_e32 v3, 20, v3
	v_and_b32_e32 v6, 0x80000000, v6
	v_lshl_add_u32 v2, v2, 23, v9
	v_or3_b32 v9, v6, v2, v3
.LBB449_746:
	s_or_b64 exec, exec, s[8:9]
.LBB449_747:
	s_or_b64 exec, exec, s[6:7]
.LBB449_748:
	s_or_b64 exec, exec, s[4:5]
	s_movk_i32 s3, 0xff
	v_and_b32_sdwa v3, v4, s3 dst_sel:DWORD dst_unused:UNUSED_PAD src0_sel:WORD_1 src1_sel:DWORD
	v_lshrrev_b32_e32 v2, 16, v4
	v_cmp_ne_u16_e32 vcc, 0, v3
	s_and_saveexec_b64 s[4:5], vcc
	s_cbranch_execz .LBB449_754
; %bb.749:
	s_movk_i32 s3, 0x80
	v_cmp_ne_u16_e32 vcc, s3, v3
	v_bfrev_b32_e32 v7, 1
	s_and_saveexec_b64 s[6:7], vcc
	s_cbranch_execz .LBB449_753
; %bb.750:
	v_bfe_u32 v3, v4, 16, 7
	s_movk_i32 s3, 0x7f
	v_cmp_ne_u32_e32 vcc, s3, v3
	v_mov_b32_e32 v7, 0x7f800001
	s_and_saveexec_b64 s[8:9], vcc
	s_cbranch_execz .LBB449_752
; %bb.751:
	v_and_b32_e32 v10, 7, v2
	v_ffbh_u32_e32 v6, v10
	v_min_u32_e32 v12, 32, v6
	v_subrev_u32_e32 v6, 28, v12
	v_lshlrev_b64 v[6:7], v6, v[2:3]
	v_and_b32_e32 v6, 7, v6
	v_cmp_gt_u32_e32 vcc, 8, v3
	v_lshrrev_b32_e32 v11, 3, v3
	v_sub_u32_e32 v2, 29, v12
	v_cndmask_b32_e32 v3, v10, v6, vcc
	v_mov_b32_e32 v6, 24
	v_cndmask_b32_e32 v2, v11, v2, vcc
	v_lshlrev_b32_sdwa v6, v6, v4 dst_sel:DWORD dst_unused:UNUSED_PAD src0_sel:DWORD src1_sel:WORD_1
	v_bfrev_b32_e32 v7, 60
	v_lshlrev_b32_e32 v3, 20, v3
	v_and_b32_e32 v6, 0x80000000, v6
	v_lshl_add_u32 v2, v2, 23, v7
	v_or3_b32 v7, v6, v2, v3
.LBB449_752:
	s_or_b64 exec, exec, s[8:9]
.LBB449_753:
	s_or_b64 exec, exec, s[6:7]
.LBB449_754:
	s_or_b64 exec, exec, s[4:5]
	s_mov_b32 s3, 0xffffff
	v_cmp_lt_u32_e32 vcc, s3, v4
	v_mov_b32_e32 v3, 0
	v_mov_b32_e32 v10, 0
	s_and_saveexec_b64 s[4:5], vcc
	s_cbranch_execz .LBB449_760
; %bb.755:
	v_lshrrev_b32_e32 v2, 24, v4
	s_movk_i32 s3, 0x80
	v_cmp_ne_u32_e32 vcc, s3, v2
	v_bfrev_b32_e32 v10, 1
	s_and_saveexec_b64 s[6:7], vcc
	s_cbranch_execz .LBB449_759
; %bb.756:
	v_bfe_u32 v6, v4, 24, 7
	s_movk_i32 s3, 0x7f
	v_cmp_ne_u32_e32 vcc, s3, v6
	v_mov_b32_e32 v10, 0x7f800001
	s_and_saveexec_b64 s[8:9], vcc
	s_cbranch_execz .LBB449_758
; %bb.757:
	v_and_b32_e32 v12, 7, v2
	v_ffbh_u32_e32 v10, v12
	v_min_u32_e32 v16, 32, v10
	v_subrev_u32_e32 v10, 28, v16
	v_lshlrev_b64 v[10:11], v10, v[2:3]
	v_lshrrev_b32_e32 v13, 3, v6
	v_sub_u32_e32 v11, 29, v16
	v_and_b32_e32 v10, 7, v10
	v_cmp_gt_u32_e32 vcc, 8, v6
	v_cndmask_b32_e32 v6, v13, v11, vcc
	v_cndmask_b32_e32 v10, v12, v10, vcc
	v_lshlrev_b32_e32 v2, 24, v2
	v_bfrev_b32_e32 v11, 60
	v_lshlrev_b32_e32 v10, 20, v10
	v_and_b32_e32 v2, 0x80000000, v2
	v_lshl_add_u32 v6, v6, 23, v11
	v_or3_b32 v10, v2, v6, v10
.LBB449_758:
	s_or_b64 exec, exec, s[8:9]
.LBB449_759:
	s_or_b64 exec, exec, s[6:7]
.LBB449_760:
	s_or_b64 exec, exec, s[4:5]
	v_mov_b32_e32 v2, v5
	v_cmp_ne_u16_sdwa s[6:7], v5, v3 src0_sel:BYTE_0 src1_sel:DWORD
	s_and_saveexec_b64 s[4:5], s[6:7]
	s_cbranch_execz .LBB449_766
; %bb.761:
	s_movk_i32 s3, 0x80
	v_cmp_ne_u16_sdwa s[8:9], v5, s3 src0_sel:BYTE_0 src1_sel:DWORD
	v_bfrev_b32_e32 v6, 1
	s_and_saveexec_b64 s[6:7], s[8:9]
	s_cbranch_execz .LBB449_765
; %bb.762:
	s_movk_i32 s3, 0x7f
	v_and_b32_e32 v11, 0x7f, v5
	v_cmp_ne_u32_e32 vcc, s3, v11
	v_mov_b32_e32 v6, 0x7f800001
	s_and_saveexec_b64 s[8:9], vcc
	s_cbranch_execz .LBB449_764
; %bb.763:
	v_and_b32_e32 v6, 7, v5
	v_ffbh_u32_e32 v6, v6
	v_min_u32_e32 v6, 32, v6
	v_subrev_u32_e32 v13, 28, v6
	v_cmp_gt_u32_e32 vcc, 8, v11
	v_lshrrev_b32_e32 v12, 3, v11
	v_sub_u32_e32 v6, 29, v6
	v_cndmask_b32_e32 v11, 0, v13, vcc
	v_cndmask_b32_e32 v6, v12, v6, vcc
	v_lshlrev_b64 v[12:13], v11, v[2:3]
	v_lshlrev_b32_e32 v3, 20, v12
	v_lshlrev_b32_e32 v11, 24, v2
	v_bfrev_b32_e32 v12, 60
	v_and_b32_e32 v3, 0x700000, v3
	v_and_b32_e32 v11, 0x80000000, v11
	v_lshl_add_u32 v6, v6, 23, v12
	v_or3_b32 v6, v11, v6, v3
.LBB449_764:
	s_or_b64 exec, exec, s[8:9]
.LBB449_765:
	s_or_b64 exec, exec, s[6:7]
	v_mov_b32_e32 v3, v6
.LBB449_766:
	s_or_b64 exec, exec, s[4:5]
	v_lshrrev_b16_e32 v6, 8, v2
	v_cmp_ne_u16_e32 vcc, 0, v6
	v_mov_b32_e32 v11, 0
	v_mov_b32_e32 v12, 0
	s_and_saveexec_b64 s[4:5], vcc
	s_cbranch_execz .LBB449_772
; %bb.767:
	s_movk_i32 s3, 0x80
	v_cmp_ne_u16_e32 vcc, s3, v6
	v_bfrev_b32_e32 v12, 1
	s_and_saveexec_b64 s[6:7], vcc
	s_cbranch_execz .LBB449_771
; %bb.768:
	s_movk_i32 s3, 0x7f
	v_and_b32_e32 v13, 0x7f, v6
	v_cmp_ne_u32_e32 vcc, s3, v13
	v_mov_b32_e32 v12, 0x7f800001
	s_and_saveexec_b64 s[8:9], vcc
	s_cbranch_execz .LBB449_770
; %bb.769:
	v_and_b32_e32 v12, 7, v6
	v_ffbh_u32_e32 v16, v12
	v_min_u32_e32 v19, 32, v16
	v_subrev_u32_e32 v16, 28, v19
	v_lshlrev_b64 v[16:17], v16, v[6:7]
	v_lshrrev_b32_e32 v18, 3, v13
	v_sub_u32_e32 v6, 29, v19
	v_and_b32_e32 v16, 7, v16
	v_cmp_gt_u32_e32 vcc, 8, v13
	v_cndmask_b32_e32 v6, v18, v6, vcc
	v_cndmask_b32_e32 v12, v12, v16, vcc
	v_lshlrev_b32_e32 v2, 16, v2
	v_bfrev_b32_e32 v13, 60
	v_lshlrev_b32_e32 v12, 20, v12
	v_and_b32_e32 v2, 0x80000000, v2
	v_lshl_add_u32 v6, v6, 23, v13
	v_or3_b32 v12, v2, v6, v12
.LBB449_770:
	s_or_b64 exec, exec, s[8:9]
.LBB449_771:
	s_or_b64 exec, exec, s[6:7]
.LBB449_772:
	s_or_b64 exec, exec, s[4:5]
	s_movk_i32 s3, 0xff
	v_and_b32_sdwa v6, v5, s3 dst_sel:DWORD dst_unused:UNUSED_PAD src0_sel:WORD_1 src1_sel:DWORD
	v_lshrrev_b32_e32 v2, 16, v5
	v_cmp_ne_u16_e32 vcc, 0, v6
	s_and_saveexec_b64 s[4:5], vcc
	s_cbranch_execz .LBB449_778
; %bb.773:
	s_movk_i32 s3, 0x80
	v_cmp_ne_u16_e32 vcc, s3, v6
	v_bfrev_b32_e32 v11, 1
	s_and_saveexec_b64 s[6:7], vcc
	s_cbranch_execz .LBB449_777
; %bb.774:
	v_bfe_u32 v6, v5, 16, 7
	s_movk_i32 s3, 0x7f
	v_cmp_ne_u32_e32 vcc, s3, v6
	v_mov_b32_e32 v11, 0x7f800001
	s_and_saveexec_b64 s[8:9], vcc
	s_cbranch_execz .LBB449_776
; %bb.775:
	v_and_b32_e32 v11, 7, v2
	v_ffbh_u32_e32 v16, v11
	v_min_u32_e32 v18, 32, v16
	v_subrev_u32_e32 v16, 28, v18
	v_lshlrev_b64 v[16:17], v16, v[2:3]
	v_and_b32_e32 v16, 7, v16
	v_cmp_gt_u32_e32 vcc, 8, v6
	v_lshrrev_b32_e32 v13, 3, v6
	v_sub_u32_e32 v2, 29, v18
	v_cndmask_b32_e32 v6, v11, v16, vcc
	v_mov_b32_e32 v11, 24
	v_cndmask_b32_e32 v2, v13, v2, vcc
	v_lshlrev_b32_sdwa v11, v11, v5 dst_sel:DWORD dst_unused:UNUSED_PAD src0_sel:DWORD src1_sel:WORD_1
	v_bfrev_b32_e32 v13, 60
	v_lshlrev_b32_e32 v6, 20, v6
	v_and_b32_e32 v11, 0x80000000, v11
	v_lshl_add_u32 v2, v2, 23, v13
	v_or3_b32 v11, v11, v2, v6
.LBB449_776:
	s_or_b64 exec, exec, s[8:9]
.LBB449_777:
	s_or_b64 exec, exec, s[6:7]
.LBB449_778:
	s_or_b64 exec, exec, s[4:5]
	s_mov_b32 s4, -1
	s_mov_b32 s5, 0xffffff
	v_cmp_lt_u64_e32 vcc, s[4:5], v[4:5]
	v_mov_b32_e32 v4, 0
	s_and_saveexec_b64 s[4:5], vcc
	s_cbranch_execz .LBB449_784
; %bb.779:
	v_lshrrev_b32_e32 v2, 24, v5
	s_movk_i32 s3, 0x80
	v_cmp_ne_u32_e32 vcc, s3, v2
	v_bfrev_b32_e32 v4, 1
	s_and_saveexec_b64 s[6:7], vcc
	s_cbranch_execz .LBB449_783
; %bb.780:
	v_bfe_u32 v5, v5, 24, 7
	s_movk_i32 s3, 0x7f
	v_cmp_ne_u32_e32 vcc, s3, v5
	v_mov_b32_e32 v4, 0x7f800001
	s_and_saveexec_b64 s[8:9], vcc
	s_cbranch_execz .LBB449_782
; %bb.781:
	v_and_b32_e32 v4, 7, v2
	v_ffbh_u32_e32 v13, v4
	v_min_u32_e32 v13, 32, v13
	v_subrev_u32_e32 v16, 28, v13
	v_lshlrev_b64 v[16:17], v16, v[2:3]
	v_lshrrev_b32_e32 v6, 3, v5
	v_sub_u32_e32 v13, 29, v13
	v_and_b32_e32 v16, 7, v16
	v_cmp_gt_u32_e32 vcc, 8, v5
	v_cndmask_b32_e32 v5, v6, v13, vcc
	v_cndmask_b32_e32 v4, v4, v16, vcc
	v_lshlrev_b32_e32 v2, 24, v2
	v_bfrev_b32_e32 v6, 60
	v_lshlrev_b32_e32 v4, 20, v4
	v_and_b32_e32 v2, 0x80000000, v2
	v_lshl_add_u32 v5, v5, 23, v6
	v_or3_b32 v4, v2, v5, v4
.LBB449_782:
	s_or_b64 exec, exec, s[8:9]
.LBB449_783:
	s_or_b64 exec, exec, s[6:7]
.LBB449_784:
	s_or_b64 exec, exec, s[4:5]
	v_cvt_pkrtz_f16_f32 v6, v8, v9
	v_cvt_pkrtz_f16_f32 v7, v7, v10
	;; [unrolled: 1-line block ×4, first 2 shown]
	v_mfma_f32_4x4x4f16 a[0:3], v[14:15], v[6:7], a[0:3] cbsz:4 abid:14
	s_load_dword s4, s[14:15], 0x0
	v_mfma_f32_4x4x4f16 a[0:3], v[14:15], v[2:3], a[0:3] cbsz:4 abid:15
	s_nop 4
	v_accvgpr_read_b32 v5, a1
	v_accvgpr_read_b32 v3, a3
	;; [unrolled: 1-line block ×4, first 2 shown]
	s_waitcnt lgkmcnt(0)
	v_pk_mul_f32 v[2:3], v[2:3], s[4:5] op_sel_hi:[1,0]
	v_pk_mul_f32 v[4:5], v[4:5], s[4:5] op_sel_hi:[1,0]
	v_cvt_f16_f32_e32 v4, v4
	v_cvt_f16_f32_e32 v5, v5
	;; [unrolled: 1-line block ×4, first 2 shown]
	v_pack_b32_f16 v2, v4, v5
	v_mad_u32_u24 v4, v1, 40, v25
	v_pack_b32_f16 v3, v6, v3
	ds_write_b64 v4, v[2:3]
.LBB449_785:
	s_or_b64 exec, exec, s[0:1]
	v_cmp_gt_u32_e32 vcc, 64, v0
	s_waitcnt lgkmcnt(0)
	s_barrier
	s_and_saveexec_b64 s[0:1], vcc
	s_cbranch_execz .LBB449_787
; %bb.786:
	v_mul_u32_u24_e32 v1, 40, v1
	s_waitcnt vmcnt(3)
	ds_read2_b64 v[2:5], v1 offset1:1
	s_waitcnt vmcnt(2)
	ds_read2_b64 v[6:9], v1 offset0:2 offset1:3
	s_mov_b32 s1, 0
	s_lshl_b32 s0, s2, 6
	s_lshl_b64 s[2:3], s[0:1], 1
	s_add_u32 s2, s30, s2
	s_addc_u32 s3, s31, s3
	s_lshl_b32 s0, s28, 6
	s_lshl_b64 s[0:1], s[0:1], 1
	s_waitcnt lgkmcnt(1)
	v_pk_add_f16 v1, v2, 0
	v_pk_add_f16 v2, v3, 0
	s_add_u32 s0, s2, s0
	v_pk_add_f16 v2, v2, v5
	s_addc_u32 s1, s3, s1
	s_lshl_b32 s2, s33, 6
	v_pk_add_f16 v1, v1, v4
	s_waitcnt lgkmcnt(0)
	v_pk_add_f16 v2, v2, v7
	s_mul_i32 s3, s2, s10
	v_pk_add_f16 v1, v1, v6
	v_pk_add_f16 v6, v2, v9
	v_or_b32_e32 v2, s3, v0
	v_mov_b32_e32 v3, 0
	v_lshlrev_b64 v[4:5], 1, v[2:3]
	v_mov_b32_e32 v2, s1
	v_add_co_u32_e32 v4, vcc, s0, v4
	s_add_i32 s3, s3, s2
	v_pk_add_f16 v1, v1, v8
	v_addc_co_u32_e32 v5, vcc, v2, v5, vcc
	v_or_b32_e32 v2, s3, v0
	global_store_short v[4:5], v1, off
	v_lshlrev_b64 v[4:5], 1, v[2:3]
	v_mov_b32_e32 v2, s1
	v_add_co_u32_e32 v4, vcc, s0, v4
	s_add_i32 s3, s3, s2
	v_addc_co_u32_e32 v5, vcc, v2, v5, vcc
	v_or_b32_e32 v2, s3, v0
	global_store_short_d16_hi v[4:5], v1, off
	v_lshlrev_b64 v[4:5], 1, v[2:3]
	s_add_i32 s3, s3, s2
	v_mov_b32_e32 v1, s1
	v_add_co_u32_e32 v4, vcc, s0, v4
	v_or_b32_e32 v2, s3, v0
	v_addc_co_u32_e32 v5, vcc, v1, v5, vcc
	v_lshlrev_b64 v[0:1], 1, v[2:3]
	v_mov_b32_e32 v2, s1
	v_add_co_u32_e32 v0, vcc, s0, v0
	v_addc_co_u32_e32 v1, vcc, v2, v1, vcc
	global_store_short v[4:5], v6, off
	global_store_short_d16_hi v[0:1], v6, off
.LBB449_787:
	s_endpgm
.LBB449_788:
	s_mov_b64 s[12:13], 0
                                        ; implicit-def: $sgpr38_sgpr39
	s_branch .LBB449_2
	.section	.rodata,"a",@progbits
	.p2align	6, 0x0
	.amdhsa_kernel _Z38paged_attention_ll4mi_QKV_mfma4_kernelIDF16_hLN4vllm18Fp8KVCacheDataTypeE1EDF16_Li32ELi64ELi256ELb0ELi4EEvPKT_PKT0_S7_ifPKiS9_S9_iPKfiiiPfSC_PS2_PT2_iSB_SB_
		.amdhsa_group_segment_fixed_size 2720
		.amdhsa_private_segment_fixed_size 0
		.amdhsa_kernarg_size 400
		.amdhsa_user_sgpr_count 6
		.amdhsa_user_sgpr_private_segment_buffer 1
		.amdhsa_user_sgpr_dispatch_ptr 0
		.amdhsa_user_sgpr_queue_ptr 0
		.amdhsa_user_sgpr_kernarg_segment_ptr 1
		.amdhsa_user_sgpr_dispatch_id 0
		.amdhsa_user_sgpr_flat_scratch_init 0
		.amdhsa_user_sgpr_kernarg_preload_length 0
		.amdhsa_user_sgpr_kernarg_preload_offset 0
		.amdhsa_user_sgpr_private_segment_size 0
		.amdhsa_uses_dynamic_stack 0
		.amdhsa_system_sgpr_private_segment_wavefront_offset 0
		.amdhsa_system_sgpr_workgroup_id_x 1
		.amdhsa_system_sgpr_workgroup_id_y 1
		.amdhsa_system_sgpr_workgroup_id_z 1
		.amdhsa_system_sgpr_workgroup_info 0
		.amdhsa_system_vgpr_workitem_id 0
		.amdhsa_next_free_vgpr 60
		.amdhsa_next_free_sgpr 44
		.amdhsa_accum_offset 56
		.amdhsa_reserve_vcc 1
		.amdhsa_reserve_flat_scratch 0
		.amdhsa_float_round_mode_32 0
		.amdhsa_float_round_mode_16_64 0
		.amdhsa_float_denorm_mode_32 3
		.amdhsa_float_denorm_mode_16_64 3
		.amdhsa_dx10_clamp 1
		.amdhsa_ieee_mode 1
		.amdhsa_fp16_overflow 0
		.amdhsa_tg_split 0
		.amdhsa_exception_fp_ieee_invalid_op 0
		.amdhsa_exception_fp_denorm_src 0
		.amdhsa_exception_fp_ieee_div_zero 0
		.amdhsa_exception_fp_ieee_overflow 0
		.amdhsa_exception_fp_ieee_underflow 0
		.amdhsa_exception_fp_ieee_inexact 0
		.amdhsa_exception_int_div_zero 0
	.end_amdhsa_kernel
	.section	.text._Z38paged_attention_ll4mi_QKV_mfma4_kernelIDF16_hLN4vllm18Fp8KVCacheDataTypeE1EDF16_Li32ELi64ELi256ELb0ELi4EEvPKT_PKT0_S7_ifPKiS9_S9_iPKfiiiPfSC_PS2_PT2_iSB_SB_,"axG",@progbits,_Z38paged_attention_ll4mi_QKV_mfma4_kernelIDF16_hLN4vllm18Fp8KVCacheDataTypeE1EDF16_Li32ELi64ELi256ELb0ELi4EEvPKT_PKT0_S7_ifPKiS9_S9_iPKfiiiPfSC_PS2_PT2_iSB_SB_,comdat
.Lfunc_end449:
	.size	_Z38paged_attention_ll4mi_QKV_mfma4_kernelIDF16_hLN4vllm18Fp8KVCacheDataTypeE1EDF16_Li32ELi64ELi256ELb0ELi4EEvPKT_PKT0_S7_ifPKiS9_S9_iPKfiiiPfSC_PS2_PT2_iSB_SB_, .Lfunc_end449-_Z38paged_attention_ll4mi_QKV_mfma4_kernelIDF16_hLN4vllm18Fp8KVCacheDataTypeE1EDF16_Li32ELi64ELi256ELb0ELi4EEvPKT_PKT0_S7_ifPKiS9_S9_iPKfiiiPfSC_PS2_PT2_iSB_SB_
                                        ; -- End function
	.section	.AMDGPU.csdata,"",@progbits
; Kernel info:
; codeLenInByte = 26304
; NumSgprs: 48
; NumVgprs: 55
; NumAgprs: 4
; TotalNumVgprs: 60
; ScratchSize: 0
; MemoryBound: 0
; FloatMode: 240
; IeeeMode: 1
; LDSByteSize: 2720 bytes/workgroup (compile time only)
; SGPRBlocks: 5
; VGPRBlocks: 7
; NumSGPRsForWavesPerEU: 48
; NumVGPRsForWavesPerEU: 60
; AccumOffset: 56
; Occupancy: 8
; WaveLimiterHint : 1
; COMPUTE_PGM_RSRC2:SCRATCH_EN: 0
; COMPUTE_PGM_RSRC2:USER_SGPR: 6
; COMPUTE_PGM_RSRC2:TRAP_HANDLER: 0
; COMPUTE_PGM_RSRC2:TGID_X_EN: 1
; COMPUTE_PGM_RSRC2:TGID_Y_EN: 1
; COMPUTE_PGM_RSRC2:TGID_Z_EN: 1
; COMPUTE_PGM_RSRC2:TIDIG_COMP_CNT: 0
; COMPUTE_PGM_RSRC3_GFX90A:ACCUM_OFFSET: 13
; COMPUTE_PGM_RSRC3_GFX90A:TG_SPLIT: 0
	.section	.text._Z39paged_attention_ll4mi_QKV_mfma16_kernelIDF16_hLN4vllm18Fp8KVCacheDataTypeE1EDF16_Li32ELi64ELi256ELb0ELi5EL8MFMAType1EEvPKT_PKT0_S8_ifPKiSA_SA_iPKfiiiPfSD_PS3_PT2_iSC_SC_,"axG",@progbits,_Z39paged_attention_ll4mi_QKV_mfma16_kernelIDF16_hLN4vllm18Fp8KVCacheDataTypeE1EDF16_Li32ELi64ELi256ELb0ELi5EL8MFMAType1EEvPKT_PKT0_S8_ifPKiSA_SA_iPKfiiiPfSD_PS3_PT2_iSC_SC_,comdat
	.protected	_Z39paged_attention_ll4mi_QKV_mfma16_kernelIDF16_hLN4vllm18Fp8KVCacheDataTypeE1EDF16_Li32ELi64ELi256ELb0ELi5EL8MFMAType1EEvPKT_PKT0_S8_ifPKiSA_SA_iPKfiiiPfSD_PS3_PT2_iSC_SC_ ; -- Begin function _Z39paged_attention_ll4mi_QKV_mfma16_kernelIDF16_hLN4vllm18Fp8KVCacheDataTypeE1EDF16_Li32ELi64ELi256ELb0ELi5EL8MFMAType1EEvPKT_PKT0_S8_ifPKiSA_SA_iPKfiiiPfSD_PS3_PT2_iSC_SC_
	.globl	_Z39paged_attention_ll4mi_QKV_mfma16_kernelIDF16_hLN4vllm18Fp8KVCacheDataTypeE1EDF16_Li32ELi64ELi256ELb0ELi5EL8MFMAType1EEvPKT_PKT0_S8_ifPKiSA_SA_iPKfiiiPfSD_PS3_PT2_iSC_SC_
	.p2align	8
	.type	_Z39paged_attention_ll4mi_QKV_mfma16_kernelIDF16_hLN4vllm18Fp8KVCacheDataTypeE1EDF16_Li32ELi64ELi256ELb0ELi5EL8MFMAType1EEvPKT_PKT0_S8_ifPKiSA_SA_iPKfiiiPfSD_PS3_PT2_iSC_SC_,@function
_Z39paged_attention_ll4mi_QKV_mfma16_kernelIDF16_hLN4vllm18Fp8KVCacheDataTypeE1EDF16_Li32ELi64ELi256ELb0ELi5EL8MFMAType1EEvPKT_PKT0_S8_ifPKiSA_SA_iPKfiiiPfSD_PS3_PT2_iSC_SC_: ; @_Z39paged_attention_ll4mi_QKV_mfma16_kernelIDF16_hLN4vllm18Fp8KVCacheDataTypeE1EDF16_Li32ELi64ELi256ELb0ELi5EL8MFMAType1EEvPKT_PKT0_S8_ifPKiSA_SA_iPKfiiiPfSD_PS3_PT2_iSC_SC_
; %bb.0:
	s_load_dwordx2 s[12:13], s[4:5], 0x30
	s_add_u32 flat_scratch_lo, s6, s11
	s_addc_u32 flat_scratch_hi, s7, 0
	s_add_u32 s0, s0, s11
	s_addc_u32 s1, s1, 0
	s_waitcnt lgkmcnt(0)
	s_cmp_lg_u64 s[12:13], 0
	s_cselect_b64 s[14:15], -1, 0
	s_mov_b32 s6, s9
	s_mov_b64 s[16:17], 0
	s_and_b64 vcc, exec, s[14:15]
	s_mov_b32 s32, 0
	s_cbranch_vccz .LBB450_11
; %bb.1:
	s_add_i32 s18, s8, 1
	s_mov_b32 s19, 0
	s_lshl_b64 s[20:21], s[18:19], 2
	s_add_u32 s20, s12, s20
	s_mov_b32 s9, s19
	s_addc_u32 s21, s13, s21
	s_lshl_b64 s[18:19], s[8:9], 2
	s_add_u32 s18, s12, s18
	s_addc_u32 s19, s13, s19
	s_load_dword s7, s[20:21], 0x0
	s_load_dword s11, s[18:19], 0x0
	s_waitcnt lgkmcnt(0)
	s_sub_i32 s7, s7, s11
	s_cmp_eq_u32 s7, 1
	s_cselect_b64 s[18:19], -1, 0
	s_andn2_b64 vcc, exec, s[16:17]
	s_cbranch_vccnz .LBB450_3
.LBB450_2:
	s_mov_b32 s9, 0
	s_mov_b64 s[18:19], -1
.LBB450_3:
	s_andn2_b64 vcc, exec, s[18:19]
	s_cbranch_vccnz .LBB450_10
; %bb.4:
	s_load_dwordx2 s[18:19], s[4:5], 0x28
	s_lshl_b64 s[16:17], s[8:9], 2
	s_waitcnt lgkmcnt(0)
	s_add_u32 s18, s18, s16
	s_addc_u32 s19, s19, s17
	s_load_dword s7, s[18:19], 0x0
	s_lshl_b32 s6, s6, 8
	s_waitcnt lgkmcnt(0)
	s_cmp_ge_i32 s6, s7
	s_cbranch_scc1 .LBB450_10
; %bb.5:
	s_andn2_b64 vcc, exec, s[14:15]
	s_cbranch_vccnz .LBB450_7
; %bb.6:
	s_add_u32 s6, s12, s16
	s_addc_u32 s7, s13, s17
	s_load_dword s8, s[6:7], 0x0
.LBB450_7:
	v_and_b32_e32 v1, 15, v0
	s_movk_i32 s6, 0x50
	v_cmp_gt_u32_e32 vcc, s6, v0
	v_cmp_gt_u32_e64 s[6:7], 8, v1
	s_and_b64 s[12:13], s[6:7], vcc
	s_and_saveexec_b64 s[6:7], s[12:13]
	s_cbranch_execz .LBB450_9
; %bb.8:
	s_load_dword s11, s[4:5], 0x48
	s_load_dwordx2 s[12:13], s[4:5], 0x0
	v_lshrrev_b32_e32 v6, 4, v0
	s_mul_i32 s10, s10, 5
	v_add_lshl_u32 v2, v6, s10, 6
	s_waitcnt lgkmcnt(0)
	s_ashr_i32 s9, s11, 31
	s_mul_hi_u32 s14, s8, s11
	s_mul_i32 s9, s8, s9
	s_add_i32 s9, s14, s9
	s_mul_i32 s8, s8, s11
	s_lshl_b64 s[8:9], s[8:9], 1
	s_add_u32 s8, s12, s8
	v_ashrrev_i32_e32 v3, 31, v2
	s_addc_u32 s9, s13, s9
	v_lshlrev_b64 v[2:3], 1, v[2:3]
	v_mov_b32_e32 v4, s9
	v_add_co_u32_e32 v2, vcc, s8, v2
	v_addc_co_u32_e32 v3, vcc, v4, v3, vcc
	v_lshlrev_b32_e32 v4, 4, v1
	v_add_co_u32_e32 v2, vcc, v2, v4
	v_addc_co_u32_e32 v3, vcc, 0, v3, vcc
	global_load_dwordx4 v[2:5], v[2:3], off
	v_lshlrev_b32_e32 v0, 4, v0
	v_lshlrev_b32_e32 v1, 8, v1
	v_and_b32_e32 v0, 16, v0
	v_lshlrev_b32_e32 v6, 5, v6
	v_and_b32_e32 v1, 0xe00, v1
	v_or3_b32 v0, v1, v6, v0
	s_waitcnt vmcnt(0)
	ds_write_b128 v0, v[2:5]
.LBB450_9:
	s_or_b64 exec, exec, s[6:7]
	s_waitcnt lgkmcnt(0)
	s_add_u32 s8, s4, 0x90
	s_addc_u32 s9, s5, 0
	s_getpc_b64 s[4:5]
	s_add_u32 s4, s4, __PRETTY_FUNCTION__._Z39paged_attention_ll4mi_QKV_mfma16_kernelIDF16_hLN4vllm18Fp8KVCacheDataTypeE1EDF16_Li32ELi64ELi256ELb0ELi5EL8MFMAType1EEvPKT_PKT0_S8_ifPKiSA_SA_iPKfiiiPfSD_PS3_PT2_iSC_SC_@rel32@lo+4
	s_addc_u32 s5, s5, __PRETTY_FUNCTION__._Z39paged_attention_ll4mi_QKV_mfma16_kernelIDF16_hLN4vllm18Fp8KVCacheDataTypeE1EDF16_Li32ELi64ELi256ELb0ELi5EL8MFMAType1EEvPKT_PKT0_S8_ifPKiSA_SA_iPKfiiiPfSD_PS3_PT2_iSC_SC_@rel32@hi+12
	v_mov_b32_e32 v0, 0x288
	v_mov_b32_e32 v1, s4
	;; [unrolled: 1-line block ×3, first 2 shown]
	s_barrier
	s_getpc_b64 s[6:7]
	s_add_u32 s6, s6, __assert_fail@rel32@lo+4
	s_addc_u32 s7, s7, __assert_fail@rel32@hi+12
	s_swappc_b64 s[30:31], s[6:7]
	; divergent unreachable
.LBB450_10:
	s_endpgm
.LBB450_11:
	s_mov_b64 s[18:19], 0
	s_branch .LBB450_2
	.section	.rodata,"a",@progbits
	.p2align	6, 0x0
	.amdhsa_kernel _Z39paged_attention_ll4mi_QKV_mfma16_kernelIDF16_hLN4vllm18Fp8KVCacheDataTypeE1EDF16_Li32ELi64ELi256ELb0ELi5EL8MFMAType1EEvPKT_PKT0_S8_ifPKiSA_SA_iPKfiiiPfSD_PS3_PT2_iSC_SC_
		.amdhsa_group_segment_fixed_size 8192
		.amdhsa_private_segment_fixed_size 64
		.amdhsa_kernarg_size 400
		.amdhsa_user_sgpr_count 8
		.amdhsa_user_sgpr_private_segment_buffer 1
		.amdhsa_user_sgpr_dispatch_ptr 0
		.amdhsa_user_sgpr_queue_ptr 0
		.amdhsa_user_sgpr_kernarg_segment_ptr 1
		.amdhsa_user_sgpr_dispatch_id 0
		.amdhsa_user_sgpr_flat_scratch_init 1
		.amdhsa_user_sgpr_kernarg_preload_length 0
		.amdhsa_user_sgpr_kernarg_preload_offset 0
		.amdhsa_user_sgpr_private_segment_size 0
		.amdhsa_uses_dynamic_stack 0
		.amdhsa_system_sgpr_private_segment_wavefront_offset 1
		.amdhsa_system_sgpr_workgroup_id_x 1
		.amdhsa_system_sgpr_workgroup_id_y 1
		.amdhsa_system_sgpr_workgroup_id_z 1
		.amdhsa_system_sgpr_workgroup_info 0
		.amdhsa_system_vgpr_workitem_id 0
		.amdhsa_next_free_vgpr 45
		.amdhsa_next_free_sgpr 34
		.amdhsa_accum_offset 44
		.amdhsa_reserve_vcc 1
		.amdhsa_reserve_flat_scratch 1
		.amdhsa_float_round_mode_32 0
		.amdhsa_float_round_mode_16_64 0
		.amdhsa_float_denorm_mode_32 3
		.amdhsa_float_denorm_mode_16_64 3
		.amdhsa_dx10_clamp 1
		.amdhsa_ieee_mode 1
		.amdhsa_fp16_overflow 0
		.amdhsa_tg_split 0
		.amdhsa_exception_fp_ieee_invalid_op 0
		.amdhsa_exception_fp_denorm_src 0
		.amdhsa_exception_fp_ieee_div_zero 0
		.amdhsa_exception_fp_ieee_overflow 0
		.amdhsa_exception_fp_ieee_underflow 0
		.amdhsa_exception_fp_ieee_inexact 0
		.amdhsa_exception_int_div_zero 0
	.end_amdhsa_kernel
	.section	.text._Z39paged_attention_ll4mi_QKV_mfma16_kernelIDF16_hLN4vllm18Fp8KVCacheDataTypeE1EDF16_Li32ELi64ELi256ELb0ELi5EL8MFMAType1EEvPKT_PKT0_S8_ifPKiSA_SA_iPKfiiiPfSD_PS3_PT2_iSC_SC_,"axG",@progbits,_Z39paged_attention_ll4mi_QKV_mfma16_kernelIDF16_hLN4vllm18Fp8KVCacheDataTypeE1EDF16_Li32ELi64ELi256ELb0ELi5EL8MFMAType1EEvPKT_PKT0_S8_ifPKiSA_SA_iPKfiiiPfSD_PS3_PT2_iSC_SC_,comdat
.Lfunc_end450:
	.size	_Z39paged_attention_ll4mi_QKV_mfma16_kernelIDF16_hLN4vllm18Fp8KVCacheDataTypeE1EDF16_Li32ELi64ELi256ELb0ELi5EL8MFMAType1EEvPKT_PKT0_S8_ifPKiSA_SA_iPKfiiiPfSD_PS3_PT2_iSC_SC_, .Lfunc_end450-_Z39paged_attention_ll4mi_QKV_mfma16_kernelIDF16_hLN4vllm18Fp8KVCacheDataTypeE1EDF16_Li32ELi64ELi256ELb0ELi5EL8MFMAType1EEvPKT_PKT0_S8_ifPKiSA_SA_iPKfiiiPfSD_PS3_PT2_iSC_SC_
                                        ; -- End function
	.section	.AMDGPU.csdata,"",@progbits
; Kernel info:
; codeLenInByte = 504
; NumSgprs: 40
; NumVgprs: 42
; NumAgprs: 1
; TotalNumVgprs: 45
; ScratchSize: 64
; MemoryBound: 0
; FloatMode: 240
; IeeeMode: 1
; LDSByteSize: 8192 bytes/workgroup (compile time only)
; SGPRBlocks: 4
; VGPRBlocks: 5
; NumSGPRsForWavesPerEU: 40
; NumVGPRsForWavesPerEU: 45
; AccumOffset: 44
; Occupancy: 8
; WaveLimiterHint : 1
; COMPUTE_PGM_RSRC2:SCRATCH_EN: 1
; COMPUTE_PGM_RSRC2:USER_SGPR: 8
; COMPUTE_PGM_RSRC2:TRAP_HANDLER: 0
; COMPUTE_PGM_RSRC2:TGID_X_EN: 1
; COMPUTE_PGM_RSRC2:TGID_Y_EN: 1
; COMPUTE_PGM_RSRC2:TGID_Z_EN: 1
; COMPUTE_PGM_RSRC2:TIDIG_COMP_CNT: 0
; COMPUTE_PGM_RSRC3_GFX90A:ACCUM_OFFSET: 10
; COMPUTE_PGM_RSRC3_GFX90A:TG_SPLIT: 0
	.section	.text._Z39paged_attention_ll4mi_QKV_mfma16_kernelIDF16_hLN4vllm18Fp8KVCacheDataTypeE1EDF16_Li32ELi64ELi256ELb0ELi6EL8MFMAType1EEvPKT_PKT0_S8_ifPKiSA_SA_iPKfiiiPfSD_PS3_PT2_iSC_SC_,"axG",@progbits,_Z39paged_attention_ll4mi_QKV_mfma16_kernelIDF16_hLN4vllm18Fp8KVCacheDataTypeE1EDF16_Li32ELi64ELi256ELb0ELi6EL8MFMAType1EEvPKT_PKT0_S8_ifPKiSA_SA_iPKfiiiPfSD_PS3_PT2_iSC_SC_,comdat
	.protected	_Z39paged_attention_ll4mi_QKV_mfma16_kernelIDF16_hLN4vllm18Fp8KVCacheDataTypeE1EDF16_Li32ELi64ELi256ELb0ELi6EL8MFMAType1EEvPKT_PKT0_S8_ifPKiSA_SA_iPKfiiiPfSD_PS3_PT2_iSC_SC_ ; -- Begin function _Z39paged_attention_ll4mi_QKV_mfma16_kernelIDF16_hLN4vllm18Fp8KVCacheDataTypeE1EDF16_Li32ELi64ELi256ELb0ELi6EL8MFMAType1EEvPKT_PKT0_S8_ifPKiSA_SA_iPKfiiiPfSD_PS3_PT2_iSC_SC_
	.globl	_Z39paged_attention_ll4mi_QKV_mfma16_kernelIDF16_hLN4vllm18Fp8KVCacheDataTypeE1EDF16_Li32ELi64ELi256ELb0ELi6EL8MFMAType1EEvPKT_PKT0_S8_ifPKiSA_SA_iPKfiiiPfSD_PS3_PT2_iSC_SC_
	.p2align	8
	.type	_Z39paged_attention_ll4mi_QKV_mfma16_kernelIDF16_hLN4vllm18Fp8KVCacheDataTypeE1EDF16_Li32ELi64ELi256ELb0ELi6EL8MFMAType1EEvPKT_PKT0_S8_ifPKiSA_SA_iPKfiiiPfSD_PS3_PT2_iSC_SC_,@function
_Z39paged_attention_ll4mi_QKV_mfma16_kernelIDF16_hLN4vllm18Fp8KVCacheDataTypeE1EDF16_Li32ELi64ELi256ELb0ELi6EL8MFMAType1EEvPKT_PKT0_S8_ifPKiSA_SA_iPKfiiiPfSD_PS3_PT2_iSC_SC_: ; @_Z39paged_attention_ll4mi_QKV_mfma16_kernelIDF16_hLN4vllm18Fp8KVCacheDataTypeE1EDF16_Li32ELi64ELi256ELb0ELi6EL8MFMAType1EEvPKT_PKT0_S8_ifPKiSA_SA_iPKfiiiPfSD_PS3_PT2_iSC_SC_
; %bb.0:
	s_load_dwordx2 s[12:13], s[4:5], 0x30
	s_add_u32 flat_scratch_lo, s6, s11
	s_addc_u32 flat_scratch_hi, s7, 0
	s_add_u32 s0, s0, s11
	s_addc_u32 s1, s1, 0
	s_waitcnt lgkmcnt(0)
	s_cmp_lg_u64 s[12:13], 0
	s_cselect_b64 s[14:15], -1, 0
	s_mov_b32 s6, s9
	s_mov_b64 s[16:17], 0
	s_and_b64 vcc, exec, s[14:15]
	s_mov_b32 s32, 0
	s_cbranch_vccz .LBB451_11
; %bb.1:
	s_add_i32 s18, s8, 1
	s_mov_b32 s19, 0
	s_lshl_b64 s[20:21], s[18:19], 2
	s_add_u32 s20, s12, s20
	s_mov_b32 s9, s19
	s_addc_u32 s21, s13, s21
	s_lshl_b64 s[18:19], s[8:9], 2
	s_add_u32 s18, s12, s18
	s_addc_u32 s19, s13, s19
	s_load_dword s7, s[20:21], 0x0
	s_load_dword s11, s[18:19], 0x0
	s_waitcnt lgkmcnt(0)
	s_sub_i32 s7, s7, s11
	s_cmp_eq_u32 s7, 1
	s_cselect_b64 s[18:19], -1, 0
	s_andn2_b64 vcc, exec, s[16:17]
	s_cbranch_vccnz .LBB451_3
.LBB451_2:
	s_mov_b32 s9, 0
	s_mov_b64 s[18:19], -1
.LBB451_3:
	s_andn2_b64 vcc, exec, s[18:19]
	s_cbranch_vccnz .LBB451_10
; %bb.4:
	s_load_dwordx2 s[18:19], s[4:5], 0x28
	s_lshl_b64 s[16:17], s[8:9], 2
	s_waitcnt lgkmcnt(0)
	s_add_u32 s18, s18, s16
	s_addc_u32 s19, s19, s17
	s_load_dword s7, s[18:19], 0x0
	s_lshl_b32 s6, s6, 8
	s_waitcnt lgkmcnt(0)
	s_cmp_ge_i32 s6, s7
	s_cbranch_scc1 .LBB451_10
; %bb.5:
	s_andn2_b64 vcc, exec, s[14:15]
	s_cbranch_vccnz .LBB451_7
; %bb.6:
	s_add_u32 s6, s12, s16
	s_addc_u32 s7, s13, s17
	s_load_dword s8, s[6:7], 0x0
.LBB451_7:
	v_and_b32_e32 v1, 15, v0
	s_movk_i32 s6, 0x60
	v_cmp_gt_u32_e32 vcc, s6, v0
	v_cmp_gt_u32_e64 s[6:7], 8, v1
	s_and_b64 s[12:13], s[6:7], vcc
	s_and_saveexec_b64 s[6:7], s[12:13]
	s_cbranch_execz .LBB451_9
; %bb.8:
	s_load_dword s11, s[4:5], 0x48
	s_load_dwordx2 s[12:13], s[4:5], 0x0
	v_lshrrev_b32_e32 v6, 4, v0
	s_mul_i32 s10, s10, 6
	v_add_lshl_u32 v2, v6, s10, 6
	s_waitcnt lgkmcnt(0)
	s_ashr_i32 s9, s11, 31
	s_mul_hi_u32 s14, s8, s11
	s_mul_i32 s9, s8, s9
	s_add_i32 s9, s14, s9
	s_mul_i32 s8, s8, s11
	s_lshl_b64 s[8:9], s[8:9], 1
	s_add_u32 s8, s12, s8
	v_ashrrev_i32_e32 v3, 31, v2
	s_addc_u32 s9, s13, s9
	v_lshlrev_b64 v[2:3], 1, v[2:3]
	v_mov_b32_e32 v4, s9
	v_add_co_u32_e32 v2, vcc, s8, v2
	v_addc_co_u32_e32 v3, vcc, v4, v3, vcc
	v_lshlrev_b32_e32 v4, 4, v1
	v_add_co_u32_e32 v2, vcc, v2, v4
	v_addc_co_u32_e32 v3, vcc, 0, v3, vcc
	global_load_dwordx4 v[2:5], v[2:3], off
	v_lshlrev_b32_e32 v0, 4, v0
	v_lshlrev_b32_e32 v1, 8, v1
	v_and_b32_e32 v0, 16, v0
	v_lshlrev_b32_e32 v6, 5, v6
	v_and_b32_e32 v1, 0xe00, v1
	v_or3_b32 v0, v1, v6, v0
	s_waitcnt vmcnt(0)
	ds_write_b128 v0, v[2:5]
.LBB451_9:
	s_or_b64 exec, exec, s[6:7]
	s_waitcnt lgkmcnt(0)
	s_add_u32 s8, s4, 0x90
	s_addc_u32 s9, s5, 0
	s_getpc_b64 s[4:5]
	s_add_u32 s4, s4, __PRETTY_FUNCTION__._Z39paged_attention_ll4mi_QKV_mfma16_kernelIDF16_hLN4vllm18Fp8KVCacheDataTypeE1EDF16_Li32ELi64ELi256ELb0ELi6EL8MFMAType1EEvPKT_PKT0_S8_ifPKiSA_SA_iPKfiiiPfSD_PS3_PT2_iSC_SC_@rel32@lo+4
	s_addc_u32 s5, s5, __PRETTY_FUNCTION__._Z39paged_attention_ll4mi_QKV_mfma16_kernelIDF16_hLN4vllm18Fp8KVCacheDataTypeE1EDF16_Li32ELi64ELi256ELb0ELi6EL8MFMAType1EEvPKT_PKT0_S8_ifPKiSA_SA_iPKfiiiPfSD_PS3_PT2_iSC_SC_@rel32@hi+12
	v_mov_b32_e32 v0, 0x288
	v_mov_b32_e32 v1, s4
	v_mov_b32_e32 v2, s5
	s_barrier
	s_getpc_b64 s[6:7]
	s_add_u32 s6, s6, __assert_fail@rel32@lo+4
	s_addc_u32 s7, s7, __assert_fail@rel32@hi+12
	s_swappc_b64 s[30:31], s[6:7]
	; divergent unreachable
.LBB451_10:
	s_endpgm
.LBB451_11:
	s_mov_b64 s[18:19], 0
	s_branch .LBB451_2
	.section	.rodata,"a",@progbits
	.p2align	6, 0x0
	.amdhsa_kernel _Z39paged_attention_ll4mi_QKV_mfma16_kernelIDF16_hLN4vllm18Fp8KVCacheDataTypeE1EDF16_Li32ELi64ELi256ELb0ELi6EL8MFMAType1EEvPKT_PKT0_S8_ifPKiSA_SA_iPKfiiiPfSD_PS3_PT2_iSC_SC_
		.amdhsa_group_segment_fixed_size 8192
		.amdhsa_private_segment_fixed_size 64
		.amdhsa_kernarg_size 400
		.amdhsa_user_sgpr_count 8
		.amdhsa_user_sgpr_private_segment_buffer 1
		.amdhsa_user_sgpr_dispatch_ptr 0
		.amdhsa_user_sgpr_queue_ptr 0
		.amdhsa_user_sgpr_kernarg_segment_ptr 1
		.amdhsa_user_sgpr_dispatch_id 0
		.amdhsa_user_sgpr_flat_scratch_init 1
		.amdhsa_user_sgpr_kernarg_preload_length 0
		.amdhsa_user_sgpr_kernarg_preload_offset 0
		.amdhsa_user_sgpr_private_segment_size 0
		.amdhsa_uses_dynamic_stack 0
		.amdhsa_system_sgpr_private_segment_wavefront_offset 1
		.amdhsa_system_sgpr_workgroup_id_x 1
		.amdhsa_system_sgpr_workgroup_id_y 1
		.amdhsa_system_sgpr_workgroup_id_z 1
		.amdhsa_system_sgpr_workgroup_info 0
		.amdhsa_system_vgpr_workitem_id 0
		.amdhsa_next_free_vgpr 45
		.amdhsa_next_free_sgpr 34
		.amdhsa_accum_offset 44
		.amdhsa_reserve_vcc 1
		.amdhsa_reserve_flat_scratch 1
		.amdhsa_float_round_mode_32 0
		.amdhsa_float_round_mode_16_64 0
		.amdhsa_float_denorm_mode_32 3
		.amdhsa_float_denorm_mode_16_64 3
		.amdhsa_dx10_clamp 1
		.amdhsa_ieee_mode 1
		.amdhsa_fp16_overflow 0
		.amdhsa_tg_split 0
		.amdhsa_exception_fp_ieee_invalid_op 0
		.amdhsa_exception_fp_denorm_src 0
		.amdhsa_exception_fp_ieee_div_zero 0
		.amdhsa_exception_fp_ieee_overflow 0
		.amdhsa_exception_fp_ieee_underflow 0
		.amdhsa_exception_fp_ieee_inexact 0
		.amdhsa_exception_int_div_zero 0
	.end_amdhsa_kernel
	.section	.text._Z39paged_attention_ll4mi_QKV_mfma16_kernelIDF16_hLN4vllm18Fp8KVCacheDataTypeE1EDF16_Li32ELi64ELi256ELb0ELi6EL8MFMAType1EEvPKT_PKT0_S8_ifPKiSA_SA_iPKfiiiPfSD_PS3_PT2_iSC_SC_,"axG",@progbits,_Z39paged_attention_ll4mi_QKV_mfma16_kernelIDF16_hLN4vllm18Fp8KVCacheDataTypeE1EDF16_Li32ELi64ELi256ELb0ELi6EL8MFMAType1EEvPKT_PKT0_S8_ifPKiSA_SA_iPKfiiiPfSD_PS3_PT2_iSC_SC_,comdat
.Lfunc_end451:
	.size	_Z39paged_attention_ll4mi_QKV_mfma16_kernelIDF16_hLN4vllm18Fp8KVCacheDataTypeE1EDF16_Li32ELi64ELi256ELb0ELi6EL8MFMAType1EEvPKT_PKT0_S8_ifPKiSA_SA_iPKfiiiPfSD_PS3_PT2_iSC_SC_, .Lfunc_end451-_Z39paged_attention_ll4mi_QKV_mfma16_kernelIDF16_hLN4vllm18Fp8KVCacheDataTypeE1EDF16_Li32ELi64ELi256ELb0ELi6EL8MFMAType1EEvPKT_PKT0_S8_ifPKiSA_SA_iPKfiiiPfSD_PS3_PT2_iSC_SC_
                                        ; -- End function
	.section	.AMDGPU.csdata,"",@progbits
; Kernel info:
; codeLenInByte = 504
; NumSgprs: 40
; NumVgprs: 42
; NumAgprs: 1
; TotalNumVgprs: 45
; ScratchSize: 64
; MemoryBound: 0
; FloatMode: 240
; IeeeMode: 1
; LDSByteSize: 8192 bytes/workgroup (compile time only)
; SGPRBlocks: 4
; VGPRBlocks: 5
; NumSGPRsForWavesPerEU: 40
; NumVGPRsForWavesPerEU: 45
; AccumOffset: 44
; Occupancy: 8
; WaveLimiterHint : 1
; COMPUTE_PGM_RSRC2:SCRATCH_EN: 1
; COMPUTE_PGM_RSRC2:USER_SGPR: 8
; COMPUTE_PGM_RSRC2:TRAP_HANDLER: 0
; COMPUTE_PGM_RSRC2:TGID_X_EN: 1
; COMPUTE_PGM_RSRC2:TGID_Y_EN: 1
; COMPUTE_PGM_RSRC2:TGID_Z_EN: 1
; COMPUTE_PGM_RSRC2:TIDIG_COMP_CNT: 0
; COMPUTE_PGM_RSRC3_GFX90A:ACCUM_OFFSET: 10
; COMPUTE_PGM_RSRC3_GFX90A:TG_SPLIT: 0
	.section	.text._Z39paged_attention_ll4mi_QKV_mfma16_kernelIDF16_hLN4vllm18Fp8KVCacheDataTypeE1EDF16_Li32ELi64ELi256ELb0ELi7EL8MFMAType1EEvPKT_PKT0_S8_ifPKiSA_SA_iPKfiiiPfSD_PS3_PT2_iSC_SC_,"axG",@progbits,_Z39paged_attention_ll4mi_QKV_mfma16_kernelIDF16_hLN4vllm18Fp8KVCacheDataTypeE1EDF16_Li32ELi64ELi256ELb0ELi7EL8MFMAType1EEvPKT_PKT0_S8_ifPKiSA_SA_iPKfiiiPfSD_PS3_PT2_iSC_SC_,comdat
	.protected	_Z39paged_attention_ll4mi_QKV_mfma16_kernelIDF16_hLN4vllm18Fp8KVCacheDataTypeE1EDF16_Li32ELi64ELi256ELb0ELi7EL8MFMAType1EEvPKT_PKT0_S8_ifPKiSA_SA_iPKfiiiPfSD_PS3_PT2_iSC_SC_ ; -- Begin function _Z39paged_attention_ll4mi_QKV_mfma16_kernelIDF16_hLN4vllm18Fp8KVCacheDataTypeE1EDF16_Li32ELi64ELi256ELb0ELi7EL8MFMAType1EEvPKT_PKT0_S8_ifPKiSA_SA_iPKfiiiPfSD_PS3_PT2_iSC_SC_
	.globl	_Z39paged_attention_ll4mi_QKV_mfma16_kernelIDF16_hLN4vllm18Fp8KVCacheDataTypeE1EDF16_Li32ELi64ELi256ELb0ELi7EL8MFMAType1EEvPKT_PKT0_S8_ifPKiSA_SA_iPKfiiiPfSD_PS3_PT2_iSC_SC_
	.p2align	8
	.type	_Z39paged_attention_ll4mi_QKV_mfma16_kernelIDF16_hLN4vllm18Fp8KVCacheDataTypeE1EDF16_Li32ELi64ELi256ELb0ELi7EL8MFMAType1EEvPKT_PKT0_S8_ifPKiSA_SA_iPKfiiiPfSD_PS3_PT2_iSC_SC_,@function
_Z39paged_attention_ll4mi_QKV_mfma16_kernelIDF16_hLN4vllm18Fp8KVCacheDataTypeE1EDF16_Li32ELi64ELi256ELb0ELi7EL8MFMAType1EEvPKT_PKT0_S8_ifPKiSA_SA_iPKfiiiPfSD_PS3_PT2_iSC_SC_: ; @_Z39paged_attention_ll4mi_QKV_mfma16_kernelIDF16_hLN4vllm18Fp8KVCacheDataTypeE1EDF16_Li32ELi64ELi256ELb0ELi7EL8MFMAType1EEvPKT_PKT0_S8_ifPKiSA_SA_iPKfiiiPfSD_PS3_PT2_iSC_SC_
; %bb.0:
	s_load_dwordx2 s[12:13], s[4:5], 0x30
	s_add_u32 flat_scratch_lo, s6, s11
	s_addc_u32 flat_scratch_hi, s7, 0
	s_add_u32 s0, s0, s11
	s_addc_u32 s1, s1, 0
	s_waitcnt lgkmcnt(0)
	s_cmp_lg_u64 s[12:13], 0
	s_cselect_b64 s[14:15], -1, 0
	s_mov_b32 s6, s9
	s_mov_b64 s[16:17], 0
	s_and_b64 vcc, exec, s[14:15]
	s_mov_b32 s32, 0
	s_cbranch_vccz .LBB452_11
; %bb.1:
	s_add_i32 s18, s8, 1
	s_mov_b32 s19, 0
	s_lshl_b64 s[20:21], s[18:19], 2
	s_add_u32 s20, s12, s20
	s_mov_b32 s9, s19
	s_addc_u32 s21, s13, s21
	s_lshl_b64 s[18:19], s[8:9], 2
	s_add_u32 s18, s12, s18
	s_addc_u32 s19, s13, s19
	s_load_dword s7, s[20:21], 0x0
	s_load_dword s11, s[18:19], 0x0
	s_waitcnt lgkmcnt(0)
	s_sub_i32 s7, s7, s11
	s_cmp_eq_u32 s7, 1
	s_cselect_b64 s[18:19], -1, 0
	s_andn2_b64 vcc, exec, s[16:17]
	s_cbranch_vccnz .LBB452_3
.LBB452_2:
	s_mov_b32 s9, 0
	s_mov_b64 s[18:19], -1
.LBB452_3:
	s_andn2_b64 vcc, exec, s[18:19]
	s_cbranch_vccnz .LBB452_10
; %bb.4:
	s_load_dwordx2 s[18:19], s[4:5], 0x28
	s_lshl_b64 s[16:17], s[8:9], 2
	s_waitcnt lgkmcnt(0)
	s_add_u32 s18, s18, s16
	s_addc_u32 s19, s19, s17
	s_load_dword s7, s[18:19], 0x0
	s_lshl_b32 s6, s6, 8
	s_waitcnt lgkmcnt(0)
	s_cmp_ge_i32 s6, s7
	s_cbranch_scc1 .LBB452_10
; %bb.5:
	s_andn2_b64 vcc, exec, s[14:15]
	s_cbranch_vccnz .LBB452_7
; %bb.6:
	s_add_u32 s6, s12, s16
	s_addc_u32 s7, s13, s17
	s_load_dword s8, s[6:7], 0x0
.LBB452_7:
	v_and_b32_e32 v1, 15, v0
	s_movk_i32 s6, 0x70
	v_cmp_gt_u32_e32 vcc, s6, v0
	v_cmp_gt_u32_e64 s[6:7], 8, v1
	s_and_b64 s[12:13], s[6:7], vcc
	s_and_saveexec_b64 s[6:7], s[12:13]
	s_cbranch_execz .LBB452_9
; %bb.8:
	s_load_dword s11, s[4:5], 0x48
	s_load_dwordx2 s[12:13], s[4:5], 0x0
	v_lshrrev_b32_e32 v6, 4, v0
	s_mul_i32 s10, s10, 7
	v_add_lshl_u32 v2, v6, s10, 6
	s_waitcnt lgkmcnt(0)
	s_ashr_i32 s9, s11, 31
	s_mul_hi_u32 s14, s8, s11
	s_mul_i32 s9, s8, s9
	s_add_i32 s9, s14, s9
	s_mul_i32 s8, s8, s11
	s_lshl_b64 s[8:9], s[8:9], 1
	s_add_u32 s8, s12, s8
	v_ashrrev_i32_e32 v3, 31, v2
	s_addc_u32 s9, s13, s9
	v_lshlrev_b64 v[2:3], 1, v[2:3]
	v_mov_b32_e32 v4, s9
	v_add_co_u32_e32 v2, vcc, s8, v2
	v_addc_co_u32_e32 v3, vcc, v4, v3, vcc
	v_lshlrev_b32_e32 v4, 4, v1
	v_add_co_u32_e32 v2, vcc, v2, v4
	v_addc_co_u32_e32 v3, vcc, 0, v3, vcc
	global_load_dwordx4 v[2:5], v[2:3], off
	v_lshlrev_b32_e32 v0, 4, v0
	v_lshlrev_b32_e32 v1, 8, v1
	v_and_b32_e32 v0, 16, v0
	v_lshlrev_b32_e32 v6, 5, v6
	v_and_b32_e32 v1, 0xe00, v1
	v_or3_b32 v0, v1, v6, v0
	s_waitcnt vmcnt(0)
	ds_write_b128 v0, v[2:5]
.LBB452_9:
	s_or_b64 exec, exec, s[6:7]
	s_waitcnt lgkmcnt(0)
	s_add_u32 s8, s4, 0x90
	s_addc_u32 s9, s5, 0
	s_getpc_b64 s[4:5]
	s_add_u32 s4, s4, __PRETTY_FUNCTION__._Z39paged_attention_ll4mi_QKV_mfma16_kernelIDF16_hLN4vllm18Fp8KVCacheDataTypeE1EDF16_Li32ELi64ELi256ELb0ELi7EL8MFMAType1EEvPKT_PKT0_S8_ifPKiSA_SA_iPKfiiiPfSD_PS3_PT2_iSC_SC_@rel32@lo+4
	s_addc_u32 s5, s5, __PRETTY_FUNCTION__._Z39paged_attention_ll4mi_QKV_mfma16_kernelIDF16_hLN4vllm18Fp8KVCacheDataTypeE1EDF16_Li32ELi64ELi256ELb0ELi7EL8MFMAType1EEvPKT_PKT0_S8_ifPKiSA_SA_iPKfiiiPfSD_PS3_PT2_iSC_SC_@rel32@hi+12
	v_mov_b32_e32 v0, 0x288
	v_mov_b32_e32 v1, s4
	v_mov_b32_e32 v2, s5
	s_barrier
	s_getpc_b64 s[6:7]
	s_add_u32 s6, s6, __assert_fail@rel32@lo+4
	s_addc_u32 s7, s7, __assert_fail@rel32@hi+12
	s_swappc_b64 s[30:31], s[6:7]
	; divergent unreachable
.LBB452_10:
	s_endpgm
.LBB452_11:
	s_mov_b64 s[18:19], 0
	s_branch .LBB452_2
	.section	.rodata,"a",@progbits
	.p2align	6, 0x0
	.amdhsa_kernel _Z39paged_attention_ll4mi_QKV_mfma16_kernelIDF16_hLN4vllm18Fp8KVCacheDataTypeE1EDF16_Li32ELi64ELi256ELb0ELi7EL8MFMAType1EEvPKT_PKT0_S8_ifPKiSA_SA_iPKfiiiPfSD_PS3_PT2_iSC_SC_
		.amdhsa_group_segment_fixed_size 8192
		.amdhsa_private_segment_fixed_size 64
		.amdhsa_kernarg_size 400
		.amdhsa_user_sgpr_count 8
		.amdhsa_user_sgpr_private_segment_buffer 1
		.amdhsa_user_sgpr_dispatch_ptr 0
		.amdhsa_user_sgpr_queue_ptr 0
		.amdhsa_user_sgpr_kernarg_segment_ptr 1
		.amdhsa_user_sgpr_dispatch_id 0
		.amdhsa_user_sgpr_flat_scratch_init 1
		.amdhsa_user_sgpr_kernarg_preload_length 0
		.amdhsa_user_sgpr_kernarg_preload_offset 0
		.amdhsa_user_sgpr_private_segment_size 0
		.amdhsa_uses_dynamic_stack 0
		.amdhsa_system_sgpr_private_segment_wavefront_offset 1
		.amdhsa_system_sgpr_workgroup_id_x 1
		.amdhsa_system_sgpr_workgroup_id_y 1
		.amdhsa_system_sgpr_workgroup_id_z 1
		.amdhsa_system_sgpr_workgroup_info 0
		.amdhsa_system_vgpr_workitem_id 0
		.amdhsa_next_free_vgpr 45
		.amdhsa_next_free_sgpr 34
		.amdhsa_accum_offset 44
		.amdhsa_reserve_vcc 1
		.amdhsa_reserve_flat_scratch 1
		.amdhsa_float_round_mode_32 0
		.amdhsa_float_round_mode_16_64 0
		.amdhsa_float_denorm_mode_32 3
		.amdhsa_float_denorm_mode_16_64 3
		.amdhsa_dx10_clamp 1
		.amdhsa_ieee_mode 1
		.amdhsa_fp16_overflow 0
		.amdhsa_tg_split 0
		.amdhsa_exception_fp_ieee_invalid_op 0
		.amdhsa_exception_fp_denorm_src 0
		.amdhsa_exception_fp_ieee_div_zero 0
		.amdhsa_exception_fp_ieee_overflow 0
		.amdhsa_exception_fp_ieee_underflow 0
		.amdhsa_exception_fp_ieee_inexact 0
		.amdhsa_exception_int_div_zero 0
	.end_amdhsa_kernel
	.section	.text._Z39paged_attention_ll4mi_QKV_mfma16_kernelIDF16_hLN4vllm18Fp8KVCacheDataTypeE1EDF16_Li32ELi64ELi256ELb0ELi7EL8MFMAType1EEvPKT_PKT0_S8_ifPKiSA_SA_iPKfiiiPfSD_PS3_PT2_iSC_SC_,"axG",@progbits,_Z39paged_attention_ll4mi_QKV_mfma16_kernelIDF16_hLN4vllm18Fp8KVCacheDataTypeE1EDF16_Li32ELi64ELi256ELb0ELi7EL8MFMAType1EEvPKT_PKT0_S8_ifPKiSA_SA_iPKfiiiPfSD_PS3_PT2_iSC_SC_,comdat
.Lfunc_end452:
	.size	_Z39paged_attention_ll4mi_QKV_mfma16_kernelIDF16_hLN4vllm18Fp8KVCacheDataTypeE1EDF16_Li32ELi64ELi256ELb0ELi7EL8MFMAType1EEvPKT_PKT0_S8_ifPKiSA_SA_iPKfiiiPfSD_PS3_PT2_iSC_SC_, .Lfunc_end452-_Z39paged_attention_ll4mi_QKV_mfma16_kernelIDF16_hLN4vllm18Fp8KVCacheDataTypeE1EDF16_Li32ELi64ELi256ELb0ELi7EL8MFMAType1EEvPKT_PKT0_S8_ifPKiSA_SA_iPKfiiiPfSD_PS3_PT2_iSC_SC_
                                        ; -- End function
	.section	.AMDGPU.csdata,"",@progbits
; Kernel info:
; codeLenInByte = 504
; NumSgprs: 40
; NumVgprs: 42
; NumAgprs: 1
; TotalNumVgprs: 45
; ScratchSize: 64
; MemoryBound: 0
; FloatMode: 240
; IeeeMode: 1
; LDSByteSize: 8192 bytes/workgroup (compile time only)
; SGPRBlocks: 4
; VGPRBlocks: 5
; NumSGPRsForWavesPerEU: 40
; NumVGPRsForWavesPerEU: 45
; AccumOffset: 44
; Occupancy: 8
; WaveLimiterHint : 1
; COMPUTE_PGM_RSRC2:SCRATCH_EN: 1
; COMPUTE_PGM_RSRC2:USER_SGPR: 8
; COMPUTE_PGM_RSRC2:TRAP_HANDLER: 0
; COMPUTE_PGM_RSRC2:TGID_X_EN: 1
; COMPUTE_PGM_RSRC2:TGID_Y_EN: 1
; COMPUTE_PGM_RSRC2:TGID_Z_EN: 1
; COMPUTE_PGM_RSRC2:TIDIG_COMP_CNT: 0
; COMPUTE_PGM_RSRC3_GFX90A:ACCUM_OFFSET: 10
; COMPUTE_PGM_RSRC3_GFX90A:TG_SPLIT: 0
	.section	.text._Z39paged_attention_ll4mi_QKV_mfma16_kernelIDF16_hLN4vllm18Fp8KVCacheDataTypeE1EDF16_Li32ELi64ELi256ELb0ELi8EL8MFMAType1EEvPKT_PKT0_S8_ifPKiSA_SA_iPKfiiiPfSD_PS3_PT2_iSC_SC_,"axG",@progbits,_Z39paged_attention_ll4mi_QKV_mfma16_kernelIDF16_hLN4vllm18Fp8KVCacheDataTypeE1EDF16_Li32ELi64ELi256ELb0ELi8EL8MFMAType1EEvPKT_PKT0_S8_ifPKiSA_SA_iPKfiiiPfSD_PS3_PT2_iSC_SC_,comdat
	.protected	_Z39paged_attention_ll4mi_QKV_mfma16_kernelIDF16_hLN4vllm18Fp8KVCacheDataTypeE1EDF16_Li32ELi64ELi256ELb0ELi8EL8MFMAType1EEvPKT_PKT0_S8_ifPKiSA_SA_iPKfiiiPfSD_PS3_PT2_iSC_SC_ ; -- Begin function _Z39paged_attention_ll4mi_QKV_mfma16_kernelIDF16_hLN4vllm18Fp8KVCacheDataTypeE1EDF16_Li32ELi64ELi256ELb0ELi8EL8MFMAType1EEvPKT_PKT0_S8_ifPKiSA_SA_iPKfiiiPfSD_PS3_PT2_iSC_SC_
	.globl	_Z39paged_attention_ll4mi_QKV_mfma16_kernelIDF16_hLN4vllm18Fp8KVCacheDataTypeE1EDF16_Li32ELi64ELi256ELb0ELi8EL8MFMAType1EEvPKT_PKT0_S8_ifPKiSA_SA_iPKfiiiPfSD_PS3_PT2_iSC_SC_
	.p2align	8
	.type	_Z39paged_attention_ll4mi_QKV_mfma16_kernelIDF16_hLN4vllm18Fp8KVCacheDataTypeE1EDF16_Li32ELi64ELi256ELb0ELi8EL8MFMAType1EEvPKT_PKT0_S8_ifPKiSA_SA_iPKfiiiPfSD_PS3_PT2_iSC_SC_,@function
_Z39paged_attention_ll4mi_QKV_mfma16_kernelIDF16_hLN4vllm18Fp8KVCacheDataTypeE1EDF16_Li32ELi64ELi256ELb0ELi8EL8MFMAType1EEvPKT_PKT0_S8_ifPKiSA_SA_iPKfiiiPfSD_PS3_PT2_iSC_SC_: ; @_Z39paged_attention_ll4mi_QKV_mfma16_kernelIDF16_hLN4vllm18Fp8KVCacheDataTypeE1EDF16_Li32ELi64ELi256ELb0ELi8EL8MFMAType1EEvPKT_PKT0_S8_ifPKiSA_SA_iPKfiiiPfSD_PS3_PT2_iSC_SC_
; %bb.0:
	s_load_dwordx2 s[12:13], s[4:5], 0x30
	s_add_u32 flat_scratch_lo, s6, s11
	s_addc_u32 flat_scratch_hi, s7, 0
	s_add_u32 s0, s0, s11
	s_addc_u32 s1, s1, 0
	s_waitcnt lgkmcnt(0)
	s_cmp_lg_u64 s[12:13], 0
	s_cselect_b64 s[14:15], -1, 0
	s_mov_b32 s6, s9
	s_mov_b64 s[16:17], 0
	s_and_b64 vcc, exec, s[14:15]
	s_mov_b32 s32, 0
	s_cbranch_vccz .LBB453_11
; %bb.1:
	s_add_i32 s18, s8, 1
	s_mov_b32 s19, 0
	s_lshl_b64 s[20:21], s[18:19], 2
	s_add_u32 s20, s12, s20
	s_mov_b32 s9, s19
	s_addc_u32 s21, s13, s21
	s_lshl_b64 s[18:19], s[8:9], 2
	s_add_u32 s18, s12, s18
	s_addc_u32 s19, s13, s19
	s_load_dword s7, s[20:21], 0x0
	s_load_dword s11, s[18:19], 0x0
	s_waitcnt lgkmcnt(0)
	s_sub_i32 s7, s7, s11
	s_cmp_eq_u32 s7, 1
	s_cselect_b64 s[18:19], -1, 0
	s_andn2_b64 vcc, exec, s[16:17]
	s_cbranch_vccnz .LBB453_3
.LBB453_2:
	s_mov_b32 s9, 0
	s_mov_b64 s[18:19], -1
.LBB453_3:
	s_andn2_b64 vcc, exec, s[18:19]
	s_cbranch_vccnz .LBB453_10
; %bb.4:
	s_load_dwordx2 s[18:19], s[4:5], 0x28
	s_lshl_b64 s[16:17], s[8:9], 2
	s_waitcnt lgkmcnt(0)
	s_add_u32 s18, s18, s16
	s_addc_u32 s19, s19, s17
	s_load_dword s7, s[18:19], 0x0
	s_lshl_b32 s6, s6, 8
	s_waitcnt lgkmcnt(0)
	s_cmp_ge_i32 s6, s7
	s_cbranch_scc1 .LBB453_10
; %bb.5:
	s_andn2_b64 vcc, exec, s[14:15]
	s_cbranch_vccnz .LBB453_7
; %bb.6:
	s_add_u32 s6, s12, s16
	s_addc_u32 s7, s13, s17
	s_load_dword s8, s[6:7], 0x0
.LBB453_7:
	v_and_b32_e32 v1, 15, v0
	s_movk_i32 s6, 0x80
	v_cmp_gt_u32_e32 vcc, s6, v0
	v_cmp_gt_u32_e64 s[6:7], 8, v1
	s_and_b64 s[12:13], vcc, s[6:7]
	s_and_saveexec_b64 s[6:7], s[12:13]
	s_cbranch_execz .LBB453_9
; %bb.8:
	s_load_dword s9, s[4:5], 0x48
	s_load_dwordx2 s[12:13], s[4:5], 0x0
	v_lshrrev_b32_e32 v6, 4, v0
	v_lshlrev_b32_e32 v0, 4, v0
	v_and_b32_e32 v0, 16, v0
	s_waitcnt lgkmcnt(0)
	s_ashr_i32 s11, s9, 31
	s_mul_hi_u32 s15, s8, s9
	s_mul_i32 s14, s8, s9
	s_mul_i32 s8, s8, s11
	s_add_i32 s15, s15, s8
	s_lshl_b64 s[8:9], s[14:15], 1
	s_add_u32 s8, s12, s8
	s_addc_u32 s9, s13, s9
	s_lshl_b32 s10, s10, 9
	v_lshl_or_b32 v2, v6, 6, s10
	v_ashrrev_i32_e32 v3, 31, v2
	v_lshlrev_b64 v[2:3], 1, v[2:3]
	v_mov_b32_e32 v4, s9
	v_add_co_u32_e32 v2, vcc, s8, v2
	v_addc_co_u32_e32 v3, vcc, v4, v3, vcc
	v_lshlrev_b32_e32 v4, 4, v1
	v_add_co_u32_e32 v2, vcc, v2, v4
	v_addc_co_u32_e32 v3, vcc, 0, v3, vcc
	global_load_dwordx4 v[2:5], v[2:3], off
	v_lshlrev_b32_e32 v1, 8, v1
	v_lshlrev_b32_e32 v6, 5, v6
	v_and_b32_e32 v1, 0xe00, v1
	v_or3_b32 v0, v1, v6, v0
	s_waitcnt vmcnt(0)
	ds_write_b128 v0, v[2:5]
.LBB453_9:
	s_or_b64 exec, exec, s[6:7]
	s_waitcnt lgkmcnt(0)
	s_add_u32 s8, s4, 0x90
	s_addc_u32 s9, s5, 0
	s_getpc_b64 s[4:5]
	s_add_u32 s4, s4, __PRETTY_FUNCTION__._Z39paged_attention_ll4mi_QKV_mfma16_kernelIDF16_hLN4vllm18Fp8KVCacheDataTypeE1EDF16_Li32ELi64ELi256ELb0ELi8EL8MFMAType1EEvPKT_PKT0_S8_ifPKiSA_SA_iPKfiiiPfSD_PS3_PT2_iSC_SC_@rel32@lo+4
	s_addc_u32 s5, s5, __PRETTY_FUNCTION__._Z39paged_attention_ll4mi_QKV_mfma16_kernelIDF16_hLN4vllm18Fp8KVCacheDataTypeE1EDF16_Li32ELi64ELi256ELb0ELi8EL8MFMAType1EEvPKT_PKT0_S8_ifPKiSA_SA_iPKfiiiPfSD_PS3_PT2_iSC_SC_@rel32@hi+12
	v_mov_b32_e32 v0, 0x288
	v_mov_b32_e32 v1, s4
	v_mov_b32_e32 v2, s5
	s_barrier
	s_getpc_b64 s[6:7]
	s_add_u32 s6, s6, __assert_fail@rel32@lo+4
	s_addc_u32 s7, s7, __assert_fail@rel32@hi+12
	s_swappc_b64 s[30:31], s[6:7]
	; divergent unreachable
.LBB453_10:
	s_endpgm
.LBB453_11:
	s_mov_b64 s[18:19], 0
	s_branch .LBB453_2
	.section	.rodata,"a",@progbits
	.p2align	6, 0x0
	.amdhsa_kernel _Z39paged_attention_ll4mi_QKV_mfma16_kernelIDF16_hLN4vllm18Fp8KVCacheDataTypeE1EDF16_Li32ELi64ELi256ELb0ELi8EL8MFMAType1EEvPKT_PKT0_S8_ifPKiSA_SA_iPKfiiiPfSD_PS3_PT2_iSC_SC_
		.amdhsa_group_segment_fixed_size 8192
		.amdhsa_private_segment_fixed_size 64
		.amdhsa_kernarg_size 400
		.amdhsa_user_sgpr_count 8
		.amdhsa_user_sgpr_private_segment_buffer 1
		.amdhsa_user_sgpr_dispatch_ptr 0
		.amdhsa_user_sgpr_queue_ptr 0
		.amdhsa_user_sgpr_kernarg_segment_ptr 1
		.amdhsa_user_sgpr_dispatch_id 0
		.amdhsa_user_sgpr_flat_scratch_init 1
		.amdhsa_user_sgpr_kernarg_preload_length 0
		.amdhsa_user_sgpr_kernarg_preload_offset 0
		.amdhsa_user_sgpr_private_segment_size 0
		.amdhsa_uses_dynamic_stack 0
		.amdhsa_system_sgpr_private_segment_wavefront_offset 1
		.amdhsa_system_sgpr_workgroup_id_x 1
		.amdhsa_system_sgpr_workgroup_id_y 1
		.amdhsa_system_sgpr_workgroup_id_z 1
		.amdhsa_system_sgpr_workgroup_info 0
		.amdhsa_system_vgpr_workitem_id 0
		.amdhsa_next_free_vgpr 45
		.amdhsa_next_free_sgpr 34
		.amdhsa_accum_offset 44
		.amdhsa_reserve_vcc 1
		.amdhsa_reserve_flat_scratch 1
		.amdhsa_float_round_mode_32 0
		.amdhsa_float_round_mode_16_64 0
		.amdhsa_float_denorm_mode_32 3
		.amdhsa_float_denorm_mode_16_64 3
		.amdhsa_dx10_clamp 1
		.amdhsa_ieee_mode 1
		.amdhsa_fp16_overflow 0
		.amdhsa_tg_split 0
		.amdhsa_exception_fp_ieee_invalid_op 0
		.amdhsa_exception_fp_denorm_src 0
		.amdhsa_exception_fp_ieee_div_zero 0
		.amdhsa_exception_fp_ieee_overflow 0
		.amdhsa_exception_fp_ieee_underflow 0
		.amdhsa_exception_fp_ieee_inexact 0
		.amdhsa_exception_int_div_zero 0
	.end_amdhsa_kernel
	.section	.text._Z39paged_attention_ll4mi_QKV_mfma16_kernelIDF16_hLN4vllm18Fp8KVCacheDataTypeE1EDF16_Li32ELi64ELi256ELb0ELi8EL8MFMAType1EEvPKT_PKT0_S8_ifPKiSA_SA_iPKfiiiPfSD_PS3_PT2_iSC_SC_,"axG",@progbits,_Z39paged_attention_ll4mi_QKV_mfma16_kernelIDF16_hLN4vllm18Fp8KVCacheDataTypeE1EDF16_Li32ELi64ELi256ELb0ELi8EL8MFMAType1EEvPKT_PKT0_S8_ifPKiSA_SA_iPKfiiiPfSD_PS3_PT2_iSC_SC_,comdat
.Lfunc_end453:
	.size	_Z39paged_attention_ll4mi_QKV_mfma16_kernelIDF16_hLN4vllm18Fp8KVCacheDataTypeE1EDF16_Li32ELi64ELi256ELb0ELi8EL8MFMAType1EEvPKT_PKT0_S8_ifPKiSA_SA_iPKfiiiPfSD_PS3_PT2_iSC_SC_, .Lfunc_end453-_Z39paged_attention_ll4mi_QKV_mfma16_kernelIDF16_hLN4vllm18Fp8KVCacheDataTypeE1EDF16_Li32ELi64ELi256ELb0ELi8EL8MFMAType1EEvPKT_PKT0_S8_ifPKiSA_SA_iPKfiiiPfSD_PS3_PT2_iSC_SC_
                                        ; -- End function
	.section	.AMDGPU.csdata,"",@progbits
; Kernel info:
; codeLenInByte = 504
; NumSgprs: 40
; NumVgprs: 42
; NumAgprs: 1
; TotalNumVgprs: 45
; ScratchSize: 64
; MemoryBound: 0
; FloatMode: 240
; IeeeMode: 1
; LDSByteSize: 8192 bytes/workgroup (compile time only)
; SGPRBlocks: 4
; VGPRBlocks: 5
; NumSGPRsForWavesPerEU: 40
; NumVGPRsForWavesPerEU: 45
; AccumOffset: 44
; Occupancy: 8
; WaveLimiterHint : 1
; COMPUTE_PGM_RSRC2:SCRATCH_EN: 1
; COMPUTE_PGM_RSRC2:USER_SGPR: 8
; COMPUTE_PGM_RSRC2:TRAP_HANDLER: 0
; COMPUTE_PGM_RSRC2:TGID_X_EN: 1
; COMPUTE_PGM_RSRC2:TGID_Y_EN: 1
; COMPUTE_PGM_RSRC2:TGID_Z_EN: 1
; COMPUTE_PGM_RSRC2:TIDIG_COMP_CNT: 0
; COMPUTE_PGM_RSRC3_GFX90A:ACCUM_OFFSET: 10
; COMPUTE_PGM_RSRC3_GFX90A:TG_SPLIT: 0
	.section	.text._Z39paged_attention_ll4mi_QKV_mfma16_kernelIDF16_hLN4vllm18Fp8KVCacheDataTypeE1EDF16_Li32ELi64ELi256ELb0ELi9EL8MFMAType1EEvPKT_PKT0_S8_ifPKiSA_SA_iPKfiiiPfSD_PS3_PT2_iSC_SC_,"axG",@progbits,_Z39paged_attention_ll4mi_QKV_mfma16_kernelIDF16_hLN4vllm18Fp8KVCacheDataTypeE1EDF16_Li32ELi64ELi256ELb0ELi9EL8MFMAType1EEvPKT_PKT0_S8_ifPKiSA_SA_iPKfiiiPfSD_PS3_PT2_iSC_SC_,comdat
	.protected	_Z39paged_attention_ll4mi_QKV_mfma16_kernelIDF16_hLN4vllm18Fp8KVCacheDataTypeE1EDF16_Li32ELi64ELi256ELb0ELi9EL8MFMAType1EEvPKT_PKT0_S8_ifPKiSA_SA_iPKfiiiPfSD_PS3_PT2_iSC_SC_ ; -- Begin function _Z39paged_attention_ll4mi_QKV_mfma16_kernelIDF16_hLN4vllm18Fp8KVCacheDataTypeE1EDF16_Li32ELi64ELi256ELb0ELi9EL8MFMAType1EEvPKT_PKT0_S8_ifPKiSA_SA_iPKfiiiPfSD_PS3_PT2_iSC_SC_
	.globl	_Z39paged_attention_ll4mi_QKV_mfma16_kernelIDF16_hLN4vllm18Fp8KVCacheDataTypeE1EDF16_Li32ELi64ELi256ELb0ELi9EL8MFMAType1EEvPKT_PKT0_S8_ifPKiSA_SA_iPKfiiiPfSD_PS3_PT2_iSC_SC_
	.p2align	8
	.type	_Z39paged_attention_ll4mi_QKV_mfma16_kernelIDF16_hLN4vllm18Fp8KVCacheDataTypeE1EDF16_Li32ELi64ELi256ELb0ELi9EL8MFMAType1EEvPKT_PKT0_S8_ifPKiSA_SA_iPKfiiiPfSD_PS3_PT2_iSC_SC_,@function
_Z39paged_attention_ll4mi_QKV_mfma16_kernelIDF16_hLN4vllm18Fp8KVCacheDataTypeE1EDF16_Li32ELi64ELi256ELb0ELi9EL8MFMAType1EEvPKT_PKT0_S8_ifPKiSA_SA_iPKfiiiPfSD_PS3_PT2_iSC_SC_: ; @_Z39paged_attention_ll4mi_QKV_mfma16_kernelIDF16_hLN4vllm18Fp8KVCacheDataTypeE1EDF16_Li32ELi64ELi256ELb0ELi9EL8MFMAType1EEvPKT_PKT0_S8_ifPKiSA_SA_iPKfiiiPfSD_PS3_PT2_iSC_SC_
; %bb.0:
	s_load_dwordx2 s[12:13], s[4:5], 0x30
	s_add_u32 flat_scratch_lo, s6, s11
	s_addc_u32 flat_scratch_hi, s7, 0
	s_add_u32 s0, s0, s11
	s_addc_u32 s1, s1, 0
	s_waitcnt lgkmcnt(0)
	s_cmp_lg_u64 s[12:13], 0
	s_cselect_b64 s[14:15], -1, 0
	s_mov_b32 s6, s9
	s_mov_b64 s[16:17], 0
	s_and_b64 vcc, exec, s[14:15]
	s_mov_b32 s32, 0
	s_cbranch_vccz .LBB454_11
; %bb.1:
	s_add_i32 s18, s8, 1
	s_mov_b32 s19, 0
	s_lshl_b64 s[20:21], s[18:19], 2
	s_add_u32 s20, s12, s20
	s_mov_b32 s9, s19
	s_addc_u32 s21, s13, s21
	s_lshl_b64 s[18:19], s[8:9], 2
	s_add_u32 s18, s12, s18
	s_addc_u32 s19, s13, s19
	s_load_dword s7, s[20:21], 0x0
	s_load_dword s11, s[18:19], 0x0
	s_waitcnt lgkmcnt(0)
	s_sub_i32 s7, s7, s11
	s_cmp_eq_u32 s7, 1
	s_cselect_b64 s[18:19], -1, 0
	s_andn2_b64 vcc, exec, s[16:17]
	s_cbranch_vccnz .LBB454_3
.LBB454_2:
	s_mov_b32 s9, 0
	s_mov_b64 s[18:19], -1
.LBB454_3:
	s_andn2_b64 vcc, exec, s[18:19]
	s_cbranch_vccnz .LBB454_10
; %bb.4:
	s_load_dwordx2 s[18:19], s[4:5], 0x28
	s_lshl_b64 s[16:17], s[8:9], 2
	s_waitcnt lgkmcnt(0)
	s_add_u32 s18, s18, s16
	s_addc_u32 s19, s19, s17
	s_load_dword s7, s[18:19], 0x0
	s_lshl_b32 s6, s6, 8
	s_waitcnt lgkmcnt(0)
	s_cmp_ge_i32 s6, s7
	s_cbranch_scc1 .LBB454_10
; %bb.5:
	s_andn2_b64 vcc, exec, s[14:15]
	s_cbranch_vccnz .LBB454_7
; %bb.6:
	s_add_u32 s6, s12, s16
	s_addc_u32 s7, s13, s17
	s_load_dword s8, s[6:7], 0x0
.LBB454_7:
	v_and_b32_e32 v1, 15, v0
	s_movk_i32 s6, 0x90
	v_cmp_gt_u32_e32 vcc, s6, v0
	v_cmp_gt_u32_e64 s[6:7], 8, v1
	s_and_b64 s[12:13], s[6:7], vcc
	s_and_saveexec_b64 s[6:7], s[12:13]
	s_cbranch_execz .LBB454_9
; %bb.8:
	s_load_dword s11, s[4:5], 0x48
	s_load_dwordx2 s[12:13], s[4:5], 0x0
	v_lshrrev_b32_e32 v6, 4, v0
	s_mul_i32 s10, s10, 9
	v_add_lshl_u32 v2, v6, s10, 6
	s_waitcnt lgkmcnt(0)
	s_ashr_i32 s9, s11, 31
	s_mul_hi_u32 s14, s8, s11
	s_mul_i32 s9, s8, s9
	s_add_i32 s9, s14, s9
	s_mul_i32 s8, s8, s11
	s_lshl_b64 s[8:9], s[8:9], 1
	s_add_u32 s8, s12, s8
	v_ashrrev_i32_e32 v3, 31, v2
	s_addc_u32 s9, s13, s9
	v_lshlrev_b64 v[2:3], 1, v[2:3]
	v_mov_b32_e32 v4, s9
	v_add_co_u32_e32 v2, vcc, s8, v2
	v_addc_co_u32_e32 v3, vcc, v4, v3, vcc
	v_lshlrev_b32_e32 v4, 4, v1
	v_add_co_u32_e32 v2, vcc, v2, v4
	v_addc_co_u32_e32 v3, vcc, 0, v3, vcc
	global_load_dwordx4 v[2:5], v[2:3], off
	v_lshlrev_b32_e32 v0, 4, v0
	v_lshlrev_b32_e32 v1, 8, v1
	v_and_b32_e32 v0, 16, v0
	v_lshlrev_b32_e32 v6, 5, v6
	v_and_b32_e32 v1, 0xe00, v1
	v_or3_b32 v0, v1, v6, v0
	s_waitcnt vmcnt(0)
	ds_write_b128 v0, v[2:5]
.LBB454_9:
	s_or_b64 exec, exec, s[6:7]
	s_waitcnt lgkmcnt(0)
	s_add_u32 s8, s4, 0x90
	s_addc_u32 s9, s5, 0
	s_getpc_b64 s[4:5]
	s_add_u32 s4, s4, __PRETTY_FUNCTION__._Z39paged_attention_ll4mi_QKV_mfma16_kernelIDF16_hLN4vllm18Fp8KVCacheDataTypeE1EDF16_Li32ELi64ELi256ELb0ELi9EL8MFMAType1EEvPKT_PKT0_S8_ifPKiSA_SA_iPKfiiiPfSD_PS3_PT2_iSC_SC_@rel32@lo+4
	s_addc_u32 s5, s5, __PRETTY_FUNCTION__._Z39paged_attention_ll4mi_QKV_mfma16_kernelIDF16_hLN4vllm18Fp8KVCacheDataTypeE1EDF16_Li32ELi64ELi256ELb0ELi9EL8MFMAType1EEvPKT_PKT0_S8_ifPKiSA_SA_iPKfiiiPfSD_PS3_PT2_iSC_SC_@rel32@hi+12
	v_mov_b32_e32 v0, 0x288
	v_mov_b32_e32 v1, s4
	;; [unrolled: 1-line block ×3, first 2 shown]
	s_barrier
	s_getpc_b64 s[6:7]
	s_add_u32 s6, s6, __assert_fail@rel32@lo+4
	s_addc_u32 s7, s7, __assert_fail@rel32@hi+12
	s_swappc_b64 s[30:31], s[6:7]
	; divergent unreachable
.LBB454_10:
	s_endpgm
.LBB454_11:
	s_mov_b64 s[18:19], 0
	s_branch .LBB454_2
	.section	.rodata,"a",@progbits
	.p2align	6, 0x0
	.amdhsa_kernel _Z39paged_attention_ll4mi_QKV_mfma16_kernelIDF16_hLN4vllm18Fp8KVCacheDataTypeE1EDF16_Li32ELi64ELi256ELb0ELi9EL8MFMAType1EEvPKT_PKT0_S8_ifPKiSA_SA_iPKfiiiPfSD_PS3_PT2_iSC_SC_
		.amdhsa_group_segment_fixed_size 8192
		.amdhsa_private_segment_fixed_size 64
		.amdhsa_kernarg_size 400
		.amdhsa_user_sgpr_count 8
		.amdhsa_user_sgpr_private_segment_buffer 1
		.amdhsa_user_sgpr_dispatch_ptr 0
		.amdhsa_user_sgpr_queue_ptr 0
		.amdhsa_user_sgpr_kernarg_segment_ptr 1
		.amdhsa_user_sgpr_dispatch_id 0
		.amdhsa_user_sgpr_flat_scratch_init 1
		.amdhsa_user_sgpr_kernarg_preload_length 0
		.amdhsa_user_sgpr_kernarg_preload_offset 0
		.amdhsa_user_sgpr_private_segment_size 0
		.amdhsa_uses_dynamic_stack 0
		.amdhsa_system_sgpr_private_segment_wavefront_offset 1
		.amdhsa_system_sgpr_workgroup_id_x 1
		.amdhsa_system_sgpr_workgroup_id_y 1
		.amdhsa_system_sgpr_workgroup_id_z 1
		.amdhsa_system_sgpr_workgroup_info 0
		.amdhsa_system_vgpr_workitem_id 0
		.amdhsa_next_free_vgpr 45
		.amdhsa_next_free_sgpr 34
		.amdhsa_accum_offset 44
		.amdhsa_reserve_vcc 1
		.amdhsa_reserve_flat_scratch 1
		.amdhsa_float_round_mode_32 0
		.amdhsa_float_round_mode_16_64 0
		.amdhsa_float_denorm_mode_32 3
		.amdhsa_float_denorm_mode_16_64 3
		.amdhsa_dx10_clamp 1
		.amdhsa_ieee_mode 1
		.amdhsa_fp16_overflow 0
		.amdhsa_tg_split 0
		.amdhsa_exception_fp_ieee_invalid_op 0
		.amdhsa_exception_fp_denorm_src 0
		.amdhsa_exception_fp_ieee_div_zero 0
		.amdhsa_exception_fp_ieee_overflow 0
		.amdhsa_exception_fp_ieee_underflow 0
		.amdhsa_exception_fp_ieee_inexact 0
		.amdhsa_exception_int_div_zero 0
	.end_amdhsa_kernel
	.section	.text._Z39paged_attention_ll4mi_QKV_mfma16_kernelIDF16_hLN4vllm18Fp8KVCacheDataTypeE1EDF16_Li32ELi64ELi256ELb0ELi9EL8MFMAType1EEvPKT_PKT0_S8_ifPKiSA_SA_iPKfiiiPfSD_PS3_PT2_iSC_SC_,"axG",@progbits,_Z39paged_attention_ll4mi_QKV_mfma16_kernelIDF16_hLN4vllm18Fp8KVCacheDataTypeE1EDF16_Li32ELi64ELi256ELb0ELi9EL8MFMAType1EEvPKT_PKT0_S8_ifPKiSA_SA_iPKfiiiPfSD_PS3_PT2_iSC_SC_,comdat
.Lfunc_end454:
	.size	_Z39paged_attention_ll4mi_QKV_mfma16_kernelIDF16_hLN4vllm18Fp8KVCacheDataTypeE1EDF16_Li32ELi64ELi256ELb0ELi9EL8MFMAType1EEvPKT_PKT0_S8_ifPKiSA_SA_iPKfiiiPfSD_PS3_PT2_iSC_SC_, .Lfunc_end454-_Z39paged_attention_ll4mi_QKV_mfma16_kernelIDF16_hLN4vllm18Fp8KVCacheDataTypeE1EDF16_Li32ELi64ELi256ELb0ELi9EL8MFMAType1EEvPKT_PKT0_S8_ifPKiSA_SA_iPKfiiiPfSD_PS3_PT2_iSC_SC_
                                        ; -- End function
	.section	.AMDGPU.csdata,"",@progbits
; Kernel info:
; codeLenInByte = 504
; NumSgprs: 40
; NumVgprs: 42
; NumAgprs: 1
; TotalNumVgprs: 45
; ScratchSize: 64
; MemoryBound: 0
; FloatMode: 240
; IeeeMode: 1
; LDSByteSize: 8192 bytes/workgroup (compile time only)
; SGPRBlocks: 4
; VGPRBlocks: 5
; NumSGPRsForWavesPerEU: 40
; NumVGPRsForWavesPerEU: 45
; AccumOffset: 44
; Occupancy: 8
; WaveLimiterHint : 1
; COMPUTE_PGM_RSRC2:SCRATCH_EN: 1
; COMPUTE_PGM_RSRC2:USER_SGPR: 8
; COMPUTE_PGM_RSRC2:TRAP_HANDLER: 0
; COMPUTE_PGM_RSRC2:TGID_X_EN: 1
; COMPUTE_PGM_RSRC2:TGID_Y_EN: 1
; COMPUTE_PGM_RSRC2:TGID_Z_EN: 1
; COMPUTE_PGM_RSRC2:TIDIG_COMP_CNT: 0
; COMPUTE_PGM_RSRC3_GFX90A:ACCUM_OFFSET: 10
; COMPUTE_PGM_RSRC3_GFX90A:TG_SPLIT: 0
	.section	.text._Z39paged_attention_ll4mi_QKV_mfma16_kernelIDF16_hLN4vllm18Fp8KVCacheDataTypeE1EDF16_Li32ELi64ELi256ELb0ELi10EL8MFMAType1EEvPKT_PKT0_S8_ifPKiSA_SA_iPKfiiiPfSD_PS3_PT2_iSC_SC_,"axG",@progbits,_Z39paged_attention_ll4mi_QKV_mfma16_kernelIDF16_hLN4vllm18Fp8KVCacheDataTypeE1EDF16_Li32ELi64ELi256ELb0ELi10EL8MFMAType1EEvPKT_PKT0_S8_ifPKiSA_SA_iPKfiiiPfSD_PS3_PT2_iSC_SC_,comdat
	.protected	_Z39paged_attention_ll4mi_QKV_mfma16_kernelIDF16_hLN4vllm18Fp8KVCacheDataTypeE1EDF16_Li32ELi64ELi256ELb0ELi10EL8MFMAType1EEvPKT_PKT0_S8_ifPKiSA_SA_iPKfiiiPfSD_PS3_PT2_iSC_SC_ ; -- Begin function _Z39paged_attention_ll4mi_QKV_mfma16_kernelIDF16_hLN4vllm18Fp8KVCacheDataTypeE1EDF16_Li32ELi64ELi256ELb0ELi10EL8MFMAType1EEvPKT_PKT0_S8_ifPKiSA_SA_iPKfiiiPfSD_PS3_PT2_iSC_SC_
	.globl	_Z39paged_attention_ll4mi_QKV_mfma16_kernelIDF16_hLN4vllm18Fp8KVCacheDataTypeE1EDF16_Li32ELi64ELi256ELb0ELi10EL8MFMAType1EEvPKT_PKT0_S8_ifPKiSA_SA_iPKfiiiPfSD_PS3_PT2_iSC_SC_
	.p2align	8
	.type	_Z39paged_attention_ll4mi_QKV_mfma16_kernelIDF16_hLN4vllm18Fp8KVCacheDataTypeE1EDF16_Li32ELi64ELi256ELb0ELi10EL8MFMAType1EEvPKT_PKT0_S8_ifPKiSA_SA_iPKfiiiPfSD_PS3_PT2_iSC_SC_,@function
_Z39paged_attention_ll4mi_QKV_mfma16_kernelIDF16_hLN4vllm18Fp8KVCacheDataTypeE1EDF16_Li32ELi64ELi256ELb0ELi10EL8MFMAType1EEvPKT_PKT0_S8_ifPKiSA_SA_iPKfiiiPfSD_PS3_PT2_iSC_SC_: ; @_Z39paged_attention_ll4mi_QKV_mfma16_kernelIDF16_hLN4vllm18Fp8KVCacheDataTypeE1EDF16_Li32ELi64ELi256ELb0ELi10EL8MFMAType1EEvPKT_PKT0_S8_ifPKiSA_SA_iPKfiiiPfSD_PS3_PT2_iSC_SC_
; %bb.0:
	s_load_dwordx2 s[12:13], s[4:5], 0x30
	s_add_u32 flat_scratch_lo, s6, s11
	s_addc_u32 flat_scratch_hi, s7, 0
	s_add_u32 s0, s0, s11
	s_addc_u32 s1, s1, 0
	s_waitcnt lgkmcnt(0)
	s_cmp_lg_u64 s[12:13], 0
	s_cselect_b64 s[14:15], -1, 0
	s_mov_b32 s6, s9
	s_mov_b64 s[16:17], 0
	s_and_b64 vcc, exec, s[14:15]
	s_mov_b32 s32, 0
	s_cbranch_vccz .LBB455_11
; %bb.1:
	s_add_i32 s18, s8, 1
	s_mov_b32 s19, 0
	s_lshl_b64 s[20:21], s[18:19], 2
	s_add_u32 s20, s12, s20
	s_mov_b32 s9, s19
	s_addc_u32 s21, s13, s21
	s_lshl_b64 s[18:19], s[8:9], 2
	s_add_u32 s18, s12, s18
	s_addc_u32 s19, s13, s19
	s_load_dword s7, s[20:21], 0x0
	s_load_dword s11, s[18:19], 0x0
	s_waitcnt lgkmcnt(0)
	s_sub_i32 s7, s7, s11
	s_cmp_eq_u32 s7, 1
	s_cselect_b64 s[18:19], -1, 0
	s_andn2_b64 vcc, exec, s[16:17]
	s_cbranch_vccnz .LBB455_3
.LBB455_2:
	s_mov_b32 s9, 0
	s_mov_b64 s[18:19], -1
.LBB455_3:
	s_andn2_b64 vcc, exec, s[18:19]
	s_cbranch_vccnz .LBB455_10
; %bb.4:
	s_load_dwordx2 s[18:19], s[4:5], 0x28
	s_lshl_b64 s[16:17], s[8:9], 2
	s_waitcnt lgkmcnt(0)
	s_add_u32 s18, s18, s16
	s_addc_u32 s19, s19, s17
	s_load_dword s7, s[18:19], 0x0
	s_lshl_b32 s6, s6, 8
	s_waitcnt lgkmcnt(0)
	s_cmp_ge_i32 s6, s7
	s_cbranch_scc1 .LBB455_10
; %bb.5:
	s_andn2_b64 vcc, exec, s[14:15]
	s_cbranch_vccnz .LBB455_7
; %bb.6:
	s_add_u32 s6, s12, s16
	s_addc_u32 s7, s13, s17
	s_load_dword s8, s[6:7], 0x0
.LBB455_7:
	v_and_b32_e32 v1, 15, v0
	s_movk_i32 s6, 0xa0
	v_cmp_gt_u32_e32 vcc, s6, v0
	v_cmp_gt_u32_e64 s[6:7], 8, v1
	s_and_b64 s[12:13], s[6:7], vcc
	s_and_saveexec_b64 s[6:7], s[12:13]
	s_cbranch_execz .LBB455_9
; %bb.8:
	s_load_dword s11, s[4:5], 0x48
	s_load_dwordx2 s[12:13], s[4:5], 0x0
	v_lshrrev_b32_e32 v6, 4, v0
	s_mul_i32 s10, s10, 10
	v_add_lshl_u32 v2, v6, s10, 6
	s_waitcnt lgkmcnt(0)
	s_ashr_i32 s9, s11, 31
	s_mul_hi_u32 s14, s8, s11
	s_mul_i32 s9, s8, s9
	s_add_i32 s9, s14, s9
	s_mul_i32 s8, s8, s11
	s_lshl_b64 s[8:9], s[8:9], 1
	s_add_u32 s8, s12, s8
	v_ashrrev_i32_e32 v3, 31, v2
	s_addc_u32 s9, s13, s9
	v_lshlrev_b64 v[2:3], 1, v[2:3]
	v_mov_b32_e32 v4, s9
	v_add_co_u32_e32 v2, vcc, s8, v2
	v_addc_co_u32_e32 v3, vcc, v4, v3, vcc
	v_lshlrev_b32_e32 v4, 4, v1
	v_add_co_u32_e32 v2, vcc, v2, v4
	v_addc_co_u32_e32 v3, vcc, 0, v3, vcc
	global_load_dwordx4 v[2:5], v[2:3], off
	v_lshlrev_b32_e32 v0, 4, v0
	v_lshlrev_b32_e32 v1, 8, v1
	v_and_b32_e32 v0, 16, v0
	v_lshlrev_b32_e32 v6, 5, v6
	v_and_b32_e32 v1, 0xe00, v1
	v_or3_b32 v0, v1, v6, v0
	s_waitcnt vmcnt(0)
	ds_write_b128 v0, v[2:5]
.LBB455_9:
	s_or_b64 exec, exec, s[6:7]
	s_waitcnt lgkmcnt(0)
	s_add_u32 s8, s4, 0x90
	s_addc_u32 s9, s5, 0
	s_getpc_b64 s[4:5]
	s_add_u32 s4, s4, __PRETTY_FUNCTION__._Z39paged_attention_ll4mi_QKV_mfma16_kernelIDF16_hLN4vllm18Fp8KVCacheDataTypeE1EDF16_Li32ELi64ELi256ELb0ELi10EL8MFMAType1EEvPKT_PKT0_S8_ifPKiSA_SA_iPKfiiiPfSD_PS3_PT2_iSC_SC_@rel32@lo+4
	s_addc_u32 s5, s5, __PRETTY_FUNCTION__._Z39paged_attention_ll4mi_QKV_mfma16_kernelIDF16_hLN4vllm18Fp8KVCacheDataTypeE1EDF16_Li32ELi64ELi256ELb0ELi10EL8MFMAType1EEvPKT_PKT0_S8_ifPKiSA_SA_iPKfiiiPfSD_PS3_PT2_iSC_SC_@rel32@hi+12
	v_mov_b32_e32 v0, 0x288
	v_mov_b32_e32 v1, s4
	;; [unrolled: 1-line block ×3, first 2 shown]
	s_barrier
	s_getpc_b64 s[6:7]
	s_add_u32 s6, s6, __assert_fail@rel32@lo+4
	s_addc_u32 s7, s7, __assert_fail@rel32@hi+12
	s_swappc_b64 s[30:31], s[6:7]
	; divergent unreachable
.LBB455_10:
	s_endpgm
.LBB455_11:
	s_mov_b64 s[18:19], 0
	s_branch .LBB455_2
	.section	.rodata,"a",@progbits
	.p2align	6, 0x0
	.amdhsa_kernel _Z39paged_attention_ll4mi_QKV_mfma16_kernelIDF16_hLN4vllm18Fp8KVCacheDataTypeE1EDF16_Li32ELi64ELi256ELb0ELi10EL8MFMAType1EEvPKT_PKT0_S8_ifPKiSA_SA_iPKfiiiPfSD_PS3_PT2_iSC_SC_
		.amdhsa_group_segment_fixed_size 8192
		.amdhsa_private_segment_fixed_size 64
		.amdhsa_kernarg_size 400
		.amdhsa_user_sgpr_count 8
		.amdhsa_user_sgpr_private_segment_buffer 1
		.amdhsa_user_sgpr_dispatch_ptr 0
		.amdhsa_user_sgpr_queue_ptr 0
		.amdhsa_user_sgpr_kernarg_segment_ptr 1
		.amdhsa_user_sgpr_dispatch_id 0
		.amdhsa_user_sgpr_flat_scratch_init 1
		.amdhsa_user_sgpr_kernarg_preload_length 0
		.amdhsa_user_sgpr_kernarg_preload_offset 0
		.amdhsa_user_sgpr_private_segment_size 0
		.amdhsa_uses_dynamic_stack 0
		.amdhsa_system_sgpr_private_segment_wavefront_offset 1
		.amdhsa_system_sgpr_workgroup_id_x 1
		.amdhsa_system_sgpr_workgroup_id_y 1
		.amdhsa_system_sgpr_workgroup_id_z 1
		.amdhsa_system_sgpr_workgroup_info 0
		.amdhsa_system_vgpr_workitem_id 0
		.amdhsa_next_free_vgpr 45
		.amdhsa_next_free_sgpr 34
		.amdhsa_accum_offset 44
		.amdhsa_reserve_vcc 1
		.amdhsa_reserve_flat_scratch 1
		.amdhsa_float_round_mode_32 0
		.amdhsa_float_round_mode_16_64 0
		.amdhsa_float_denorm_mode_32 3
		.amdhsa_float_denorm_mode_16_64 3
		.amdhsa_dx10_clamp 1
		.amdhsa_ieee_mode 1
		.amdhsa_fp16_overflow 0
		.amdhsa_tg_split 0
		.amdhsa_exception_fp_ieee_invalid_op 0
		.amdhsa_exception_fp_denorm_src 0
		.amdhsa_exception_fp_ieee_div_zero 0
		.amdhsa_exception_fp_ieee_overflow 0
		.amdhsa_exception_fp_ieee_underflow 0
		.amdhsa_exception_fp_ieee_inexact 0
		.amdhsa_exception_int_div_zero 0
	.end_amdhsa_kernel
	.section	.text._Z39paged_attention_ll4mi_QKV_mfma16_kernelIDF16_hLN4vllm18Fp8KVCacheDataTypeE1EDF16_Li32ELi64ELi256ELb0ELi10EL8MFMAType1EEvPKT_PKT0_S8_ifPKiSA_SA_iPKfiiiPfSD_PS3_PT2_iSC_SC_,"axG",@progbits,_Z39paged_attention_ll4mi_QKV_mfma16_kernelIDF16_hLN4vllm18Fp8KVCacheDataTypeE1EDF16_Li32ELi64ELi256ELb0ELi10EL8MFMAType1EEvPKT_PKT0_S8_ifPKiSA_SA_iPKfiiiPfSD_PS3_PT2_iSC_SC_,comdat
.Lfunc_end455:
	.size	_Z39paged_attention_ll4mi_QKV_mfma16_kernelIDF16_hLN4vllm18Fp8KVCacheDataTypeE1EDF16_Li32ELi64ELi256ELb0ELi10EL8MFMAType1EEvPKT_PKT0_S8_ifPKiSA_SA_iPKfiiiPfSD_PS3_PT2_iSC_SC_, .Lfunc_end455-_Z39paged_attention_ll4mi_QKV_mfma16_kernelIDF16_hLN4vllm18Fp8KVCacheDataTypeE1EDF16_Li32ELi64ELi256ELb0ELi10EL8MFMAType1EEvPKT_PKT0_S8_ifPKiSA_SA_iPKfiiiPfSD_PS3_PT2_iSC_SC_
                                        ; -- End function
	.section	.AMDGPU.csdata,"",@progbits
; Kernel info:
; codeLenInByte = 504
; NumSgprs: 40
; NumVgprs: 42
; NumAgprs: 1
; TotalNumVgprs: 45
; ScratchSize: 64
; MemoryBound: 0
; FloatMode: 240
; IeeeMode: 1
; LDSByteSize: 8192 bytes/workgroup (compile time only)
; SGPRBlocks: 4
; VGPRBlocks: 5
; NumSGPRsForWavesPerEU: 40
; NumVGPRsForWavesPerEU: 45
; AccumOffset: 44
; Occupancy: 8
; WaveLimiterHint : 1
; COMPUTE_PGM_RSRC2:SCRATCH_EN: 1
; COMPUTE_PGM_RSRC2:USER_SGPR: 8
; COMPUTE_PGM_RSRC2:TRAP_HANDLER: 0
; COMPUTE_PGM_RSRC2:TGID_X_EN: 1
; COMPUTE_PGM_RSRC2:TGID_Y_EN: 1
; COMPUTE_PGM_RSRC2:TGID_Z_EN: 1
; COMPUTE_PGM_RSRC2:TIDIG_COMP_CNT: 0
; COMPUTE_PGM_RSRC3_GFX90A:ACCUM_OFFSET: 10
; COMPUTE_PGM_RSRC3_GFX90A:TG_SPLIT: 0
	.section	.text._Z39paged_attention_ll4mi_QKV_mfma16_kernelIDF16_hLN4vllm18Fp8KVCacheDataTypeE1EDF16_Li32ELi64ELi256ELb0ELi11EL8MFMAType1EEvPKT_PKT0_S8_ifPKiSA_SA_iPKfiiiPfSD_PS3_PT2_iSC_SC_,"axG",@progbits,_Z39paged_attention_ll4mi_QKV_mfma16_kernelIDF16_hLN4vllm18Fp8KVCacheDataTypeE1EDF16_Li32ELi64ELi256ELb0ELi11EL8MFMAType1EEvPKT_PKT0_S8_ifPKiSA_SA_iPKfiiiPfSD_PS3_PT2_iSC_SC_,comdat
	.protected	_Z39paged_attention_ll4mi_QKV_mfma16_kernelIDF16_hLN4vllm18Fp8KVCacheDataTypeE1EDF16_Li32ELi64ELi256ELb0ELi11EL8MFMAType1EEvPKT_PKT0_S8_ifPKiSA_SA_iPKfiiiPfSD_PS3_PT2_iSC_SC_ ; -- Begin function _Z39paged_attention_ll4mi_QKV_mfma16_kernelIDF16_hLN4vllm18Fp8KVCacheDataTypeE1EDF16_Li32ELi64ELi256ELb0ELi11EL8MFMAType1EEvPKT_PKT0_S8_ifPKiSA_SA_iPKfiiiPfSD_PS3_PT2_iSC_SC_
	.globl	_Z39paged_attention_ll4mi_QKV_mfma16_kernelIDF16_hLN4vllm18Fp8KVCacheDataTypeE1EDF16_Li32ELi64ELi256ELb0ELi11EL8MFMAType1EEvPKT_PKT0_S8_ifPKiSA_SA_iPKfiiiPfSD_PS3_PT2_iSC_SC_
	.p2align	8
	.type	_Z39paged_attention_ll4mi_QKV_mfma16_kernelIDF16_hLN4vllm18Fp8KVCacheDataTypeE1EDF16_Li32ELi64ELi256ELb0ELi11EL8MFMAType1EEvPKT_PKT0_S8_ifPKiSA_SA_iPKfiiiPfSD_PS3_PT2_iSC_SC_,@function
_Z39paged_attention_ll4mi_QKV_mfma16_kernelIDF16_hLN4vllm18Fp8KVCacheDataTypeE1EDF16_Li32ELi64ELi256ELb0ELi11EL8MFMAType1EEvPKT_PKT0_S8_ifPKiSA_SA_iPKfiiiPfSD_PS3_PT2_iSC_SC_: ; @_Z39paged_attention_ll4mi_QKV_mfma16_kernelIDF16_hLN4vllm18Fp8KVCacheDataTypeE1EDF16_Li32ELi64ELi256ELb0ELi11EL8MFMAType1EEvPKT_PKT0_S8_ifPKiSA_SA_iPKfiiiPfSD_PS3_PT2_iSC_SC_
; %bb.0:
	s_load_dwordx2 s[12:13], s[4:5], 0x30
	s_add_u32 flat_scratch_lo, s6, s11
	s_addc_u32 flat_scratch_hi, s7, 0
	s_add_u32 s0, s0, s11
	s_addc_u32 s1, s1, 0
	s_waitcnt lgkmcnt(0)
	s_cmp_lg_u64 s[12:13], 0
	s_cselect_b64 s[14:15], -1, 0
	s_mov_b32 s6, s9
	s_mov_b64 s[16:17], 0
	s_and_b64 vcc, exec, s[14:15]
	s_mov_b32 s32, 0
	s_cbranch_vccz .LBB456_11
; %bb.1:
	s_add_i32 s18, s8, 1
	s_mov_b32 s19, 0
	s_lshl_b64 s[20:21], s[18:19], 2
	s_add_u32 s20, s12, s20
	s_mov_b32 s9, s19
	s_addc_u32 s21, s13, s21
	s_lshl_b64 s[18:19], s[8:9], 2
	s_add_u32 s18, s12, s18
	s_addc_u32 s19, s13, s19
	s_load_dword s7, s[20:21], 0x0
	s_load_dword s11, s[18:19], 0x0
	s_waitcnt lgkmcnt(0)
	s_sub_i32 s7, s7, s11
	s_cmp_eq_u32 s7, 1
	s_cselect_b64 s[18:19], -1, 0
	s_andn2_b64 vcc, exec, s[16:17]
	s_cbranch_vccnz .LBB456_3
.LBB456_2:
	s_mov_b32 s9, 0
	s_mov_b64 s[18:19], -1
.LBB456_3:
	s_andn2_b64 vcc, exec, s[18:19]
	s_cbranch_vccnz .LBB456_10
; %bb.4:
	s_load_dwordx2 s[18:19], s[4:5], 0x28
	s_lshl_b64 s[16:17], s[8:9], 2
	s_waitcnt lgkmcnt(0)
	s_add_u32 s18, s18, s16
	s_addc_u32 s19, s19, s17
	s_load_dword s7, s[18:19], 0x0
	s_lshl_b32 s6, s6, 8
	s_waitcnt lgkmcnt(0)
	s_cmp_ge_i32 s6, s7
	s_cbranch_scc1 .LBB456_10
; %bb.5:
	s_andn2_b64 vcc, exec, s[14:15]
	s_cbranch_vccnz .LBB456_7
; %bb.6:
	s_add_u32 s6, s12, s16
	s_addc_u32 s7, s13, s17
	s_load_dword s8, s[6:7], 0x0
.LBB456_7:
	v_and_b32_e32 v1, 15, v0
	s_movk_i32 s6, 0xb0
	v_cmp_gt_u32_e32 vcc, s6, v0
	v_cmp_gt_u32_e64 s[6:7], 8, v1
	s_and_b64 s[12:13], s[6:7], vcc
	s_and_saveexec_b64 s[6:7], s[12:13]
	s_cbranch_execz .LBB456_9
; %bb.8:
	s_load_dword s11, s[4:5], 0x48
	s_load_dwordx2 s[12:13], s[4:5], 0x0
	v_lshrrev_b32_e32 v6, 4, v0
	s_mul_i32 s10, s10, 11
	v_add_lshl_u32 v2, v6, s10, 6
	s_waitcnt lgkmcnt(0)
	s_ashr_i32 s9, s11, 31
	s_mul_hi_u32 s14, s8, s11
	s_mul_i32 s9, s8, s9
	s_add_i32 s9, s14, s9
	s_mul_i32 s8, s8, s11
	s_lshl_b64 s[8:9], s[8:9], 1
	s_add_u32 s8, s12, s8
	v_ashrrev_i32_e32 v3, 31, v2
	s_addc_u32 s9, s13, s9
	v_lshlrev_b64 v[2:3], 1, v[2:3]
	v_mov_b32_e32 v4, s9
	v_add_co_u32_e32 v2, vcc, s8, v2
	v_addc_co_u32_e32 v3, vcc, v4, v3, vcc
	v_lshlrev_b32_e32 v4, 4, v1
	v_add_co_u32_e32 v2, vcc, v2, v4
	v_addc_co_u32_e32 v3, vcc, 0, v3, vcc
	global_load_dwordx4 v[2:5], v[2:3], off
	v_lshlrev_b32_e32 v0, 4, v0
	v_lshlrev_b32_e32 v1, 8, v1
	v_and_b32_e32 v0, 16, v0
	v_lshlrev_b32_e32 v6, 5, v6
	v_and_b32_e32 v1, 0xe00, v1
	v_or3_b32 v0, v1, v6, v0
	s_waitcnt vmcnt(0)
	ds_write_b128 v0, v[2:5]
.LBB456_9:
	s_or_b64 exec, exec, s[6:7]
	s_waitcnt lgkmcnt(0)
	s_add_u32 s8, s4, 0x90
	s_addc_u32 s9, s5, 0
	s_getpc_b64 s[4:5]
	s_add_u32 s4, s4, __PRETTY_FUNCTION__._Z39paged_attention_ll4mi_QKV_mfma16_kernelIDF16_hLN4vllm18Fp8KVCacheDataTypeE1EDF16_Li32ELi64ELi256ELb0ELi11EL8MFMAType1EEvPKT_PKT0_S8_ifPKiSA_SA_iPKfiiiPfSD_PS3_PT2_iSC_SC_@rel32@lo+4
	s_addc_u32 s5, s5, __PRETTY_FUNCTION__._Z39paged_attention_ll4mi_QKV_mfma16_kernelIDF16_hLN4vllm18Fp8KVCacheDataTypeE1EDF16_Li32ELi64ELi256ELb0ELi11EL8MFMAType1EEvPKT_PKT0_S8_ifPKiSA_SA_iPKfiiiPfSD_PS3_PT2_iSC_SC_@rel32@hi+12
	v_mov_b32_e32 v0, 0x288
	v_mov_b32_e32 v1, s4
	;; [unrolled: 1-line block ×3, first 2 shown]
	s_barrier
	s_getpc_b64 s[6:7]
	s_add_u32 s6, s6, __assert_fail@rel32@lo+4
	s_addc_u32 s7, s7, __assert_fail@rel32@hi+12
	s_swappc_b64 s[30:31], s[6:7]
	; divergent unreachable
.LBB456_10:
	s_endpgm
.LBB456_11:
	s_mov_b64 s[18:19], 0
	s_branch .LBB456_2
	.section	.rodata,"a",@progbits
	.p2align	6, 0x0
	.amdhsa_kernel _Z39paged_attention_ll4mi_QKV_mfma16_kernelIDF16_hLN4vllm18Fp8KVCacheDataTypeE1EDF16_Li32ELi64ELi256ELb0ELi11EL8MFMAType1EEvPKT_PKT0_S8_ifPKiSA_SA_iPKfiiiPfSD_PS3_PT2_iSC_SC_
		.amdhsa_group_segment_fixed_size 8192
		.amdhsa_private_segment_fixed_size 64
		.amdhsa_kernarg_size 400
		.amdhsa_user_sgpr_count 8
		.amdhsa_user_sgpr_private_segment_buffer 1
		.amdhsa_user_sgpr_dispatch_ptr 0
		.amdhsa_user_sgpr_queue_ptr 0
		.amdhsa_user_sgpr_kernarg_segment_ptr 1
		.amdhsa_user_sgpr_dispatch_id 0
		.amdhsa_user_sgpr_flat_scratch_init 1
		.amdhsa_user_sgpr_kernarg_preload_length 0
		.amdhsa_user_sgpr_kernarg_preload_offset 0
		.amdhsa_user_sgpr_private_segment_size 0
		.amdhsa_uses_dynamic_stack 0
		.amdhsa_system_sgpr_private_segment_wavefront_offset 1
		.amdhsa_system_sgpr_workgroup_id_x 1
		.amdhsa_system_sgpr_workgroup_id_y 1
		.amdhsa_system_sgpr_workgroup_id_z 1
		.amdhsa_system_sgpr_workgroup_info 0
		.amdhsa_system_vgpr_workitem_id 0
		.amdhsa_next_free_vgpr 45
		.amdhsa_next_free_sgpr 34
		.amdhsa_accum_offset 44
		.amdhsa_reserve_vcc 1
		.amdhsa_reserve_flat_scratch 1
		.amdhsa_float_round_mode_32 0
		.amdhsa_float_round_mode_16_64 0
		.amdhsa_float_denorm_mode_32 3
		.amdhsa_float_denorm_mode_16_64 3
		.amdhsa_dx10_clamp 1
		.amdhsa_ieee_mode 1
		.amdhsa_fp16_overflow 0
		.amdhsa_tg_split 0
		.amdhsa_exception_fp_ieee_invalid_op 0
		.amdhsa_exception_fp_denorm_src 0
		.amdhsa_exception_fp_ieee_div_zero 0
		.amdhsa_exception_fp_ieee_overflow 0
		.amdhsa_exception_fp_ieee_underflow 0
		.amdhsa_exception_fp_ieee_inexact 0
		.amdhsa_exception_int_div_zero 0
	.end_amdhsa_kernel
	.section	.text._Z39paged_attention_ll4mi_QKV_mfma16_kernelIDF16_hLN4vllm18Fp8KVCacheDataTypeE1EDF16_Li32ELi64ELi256ELb0ELi11EL8MFMAType1EEvPKT_PKT0_S8_ifPKiSA_SA_iPKfiiiPfSD_PS3_PT2_iSC_SC_,"axG",@progbits,_Z39paged_attention_ll4mi_QKV_mfma16_kernelIDF16_hLN4vllm18Fp8KVCacheDataTypeE1EDF16_Li32ELi64ELi256ELb0ELi11EL8MFMAType1EEvPKT_PKT0_S8_ifPKiSA_SA_iPKfiiiPfSD_PS3_PT2_iSC_SC_,comdat
.Lfunc_end456:
	.size	_Z39paged_attention_ll4mi_QKV_mfma16_kernelIDF16_hLN4vllm18Fp8KVCacheDataTypeE1EDF16_Li32ELi64ELi256ELb0ELi11EL8MFMAType1EEvPKT_PKT0_S8_ifPKiSA_SA_iPKfiiiPfSD_PS3_PT2_iSC_SC_, .Lfunc_end456-_Z39paged_attention_ll4mi_QKV_mfma16_kernelIDF16_hLN4vllm18Fp8KVCacheDataTypeE1EDF16_Li32ELi64ELi256ELb0ELi11EL8MFMAType1EEvPKT_PKT0_S8_ifPKiSA_SA_iPKfiiiPfSD_PS3_PT2_iSC_SC_
                                        ; -- End function
	.section	.AMDGPU.csdata,"",@progbits
; Kernel info:
; codeLenInByte = 504
; NumSgprs: 40
; NumVgprs: 42
; NumAgprs: 1
; TotalNumVgprs: 45
; ScratchSize: 64
; MemoryBound: 0
; FloatMode: 240
; IeeeMode: 1
; LDSByteSize: 8192 bytes/workgroup (compile time only)
; SGPRBlocks: 4
; VGPRBlocks: 5
; NumSGPRsForWavesPerEU: 40
; NumVGPRsForWavesPerEU: 45
; AccumOffset: 44
; Occupancy: 8
; WaveLimiterHint : 1
; COMPUTE_PGM_RSRC2:SCRATCH_EN: 1
; COMPUTE_PGM_RSRC2:USER_SGPR: 8
; COMPUTE_PGM_RSRC2:TRAP_HANDLER: 0
; COMPUTE_PGM_RSRC2:TGID_X_EN: 1
; COMPUTE_PGM_RSRC2:TGID_Y_EN: 1
; COMPUTE_PGM_RSRC2:TGID_Z_EN: 1
; COMPUTE_PGM_RSRC2:TIDIG_COMP_CNT: 0
; COMPUTE_PGM_RSRC3_GFX90A:ACCUM_OFFSET: 10
; COMPUTE_PGM_RSRC3_GFX90A:TG_SPLIT: 0
	.section	.text._Z39paged_attention_ll4mi_QKV_mfma16_kernelIDF16_hLN4vllm18Fp8KVCacheDataTypeE1EDF16_Li32ELi64ELi256ELb0ELi12EL8MFMAType1EEvPKT_PKT0_S8_ifPKiSA_SA_iPKfiiiPfSD_PS3_PT2_iSC_SC_,"axG",@progbits,_Z39paged_attention_ll4mi_QKV_mfma16_kernelIDF16_hLN4vllm18Fp8KVCacheDataTypeE1EDF16_Li32ELi64ELi256ELb0ELi12EL8MFMAType1EEvPKT_PKT0_S8_ifPKiSA_SA_iPKfiiiPfSD_PS3_PT2_iSC_SC_,comdat
	.protected	_Z39paged_attention_ll4mi_QKV_mfma16_kernelIDF16_hLN4vllm18Fp8KVCacheDataTypeE1EDF16_Li32ELi64ELi256ELb0ELi12EL8MFMAType1EEvPKT_PKT0_S8_ifPKiSA_SA_iPKfiiiPfSD_PS3_PT2_iSC_SC_ ; -- Begin function _Z39paged_attention_ll4mi_QKV_mfma16_kernelIDF16_hLN4vllm18Fp8KVCacheDataTypeE1EDF16_Li32ELi64ELi256ELb0ELi12EL8MFMAType1EEvPKT_PKT0_S8_ifPKiSA_SA_iPKfiiiPfSD_PS3_PT2_iSC_SC_
	.globl	_Z39paged_attention_ll4mi_QKV_mfma16_kernelIDF16_hLN4vllm18Fp8KVCacheDataTypeE1EDF16_Li32ELi64ELi256ELb0ELi12EL8MFMAType1EEvPKT_PKT0_S8_ifPKiSA_SA_iPKfiiiPfSD_PS3_PT2_iSC_SC_
	.p2align	8
	.type	_Z39paged_attention_ll4mi_QKV_mfma16_kernelIDF16_hLN4vllm18Fp8KVCacheDataTypeE1EDF16_Li32ELi64ELi256ELb0ELi12EL8MFMAType1EEvPKT_PKT0_S8_ifPKiSA_SA_iPKfiiiPfSD_PS3_PT2_iSC_SC_,@function
_Z39paged_attention_ll4mi_QKV_mfma16_kernelIDF16_hLN4vllm18Fp8KVCacheDataTypeE1EDF16_Li32ELi64ELi256ELb0ELi12EL8MFMAType1EEvPKT_PKT0_S8_ifPKiSA_SA_iPKfiiiPfSD_PS3_PT2_iSC_SC_: ; @_Z39paged_attention_ll4mi_QKV_mfma16_kernelIDF16_hLN4vllm18Fp8KVCacheDataTypeE1EDF16_Li32ELi64ELi256ELb0ELi12EL8MFMAType1EEvPKT_PKT0_S8_ifPKiSA_SA_iPKfiiiPfSD_PS3_PT2_iSC_SC_
; %bb.0:
	s_load_dwordx2 s[12:13], s[4:5], 0x30
	s_add_u32 flat_scratch_lo, s6, s11
	s_addc_u32 flat_scratch_hi, s7, 0
	s_add_u32 s0, s0, s11
	s_addc_u32 s1, s1, 0
	s_waitcnt lgkmcnt(0)
	s_cmp_lg_u64 s[12:13], 0
	s_cselect_b64 s[14:15], -1, 0
	s_mov_b32 s6, s9
	s_mov_b64 s[16:17], 0
	s_and_b64 vcc, exec, s[14:15]
	s_mov_b32 s32, 0
	s_cbranch_vccz .LBB457_11
; %bb.1:
	s_add_i32 s18, s8, 1
	s_mov_b32 s19, 0
	s_lshl_b64 s[20:21], s[18:19], 2
	s_add_u32 s20, s12, s20
	s_mov_b32 s9, s19
	s_addc_u32 s21, s13, s21
	s_lshl_b64 s[18:19], s[8:9], 2
	s_add_u32 s18, s12, s18
	s_addc_u32 s19, s13, s19
	s_load_dword s7, s[20:21], 0x0
	s_load_dword s11, s[18:19], 0x0
	s_waitcnt lgkmcnt(0)
	s_sub_i32 s7, s7, s11
	s_cmp_eq_u32 s7, 1
	s_cselect_b64 s[18:19], -1, 0
	s_andn2_b64 vcc, exec, s[16:17]
	s_cbranch_vccnz .LBB457_3
.LBB457_2:
	s_mov_b32 s9, 0
	s_mov_b64 s[18:19], -1
.LBB457_3:
	s_andn2_b64 vcc, exec, s[18:19]
	s_cbranch_vccnz .LBB457_10
; %bb.4:
	s_load_dwordx2 s[18:19], s[4:5], 0x28
	s_lshl_b64 s[16:17], s[8:9], 2
	s_waitcnt lgkmcnt(0)
	s_add_u32 s18, s18, s16
	s_addc_u32 s19, s19, s17
	s_load_dword s7, s[18:19], 0x0
	s_lshl_b32 s6, s6, 8
	s_waitcnt lgkmcnt(0)
	s_cmp_ge_i32 s6, s7
	s_cbranch_scc1 .LBB457_10
; %bb.5:
	s_andn2_b64 vcc, exec, s[14:15]
	s_cbranch_vccnz .LBB457_7
; %bb.6:
	s_add_u32 s6, s12, s16
	s_addc_u32 s7, s13, s17
	s_load_dword s8, s[6:7], 0x0
.LBB457_7:
	v_and_b32_e32 v1, 15, v0
	s_movk_i32 s6, 0xc0
	v_cmp_gt_u32_e32 vcc, s6, v0
	v_cmp_gt_u32_e64 s[6:7], 8, v1
	s_and_b64 s[12:13], vcc, s[6:7]
	s_and_saveexec_b64 s[6:7], s[12:13]
	s_cbranch_execz .LBB457_9
; %bb.8:
	s_load_dword s11, s[4:5], 0x48
	s_load_dwordx2 s[12:13], s[4:5], 0x0
	v_lshrrev_b32_e32 v6, 4, v0
	s_mul_i32 s10, s10, 12
	v_add_lshl_u32 v2, v6, s10, 6
	s_waitcnt lgkmcnt(0)
	s_ashr_i32 s9, s11, 31
	s_mul_hi_u32 s14, s8, s11
	s_mul_i32 s9, s8, s9
	s_add_i32 s9, s14, s9
	s_mul_i32 s8, s8, s11
	s_lshl_b64 s[8:9], s[8:9], 1
	s_add_u32 s8, s12, s8
	v_ashrrev_i32_e32 v3, 31, v2
	s_addc_u32 s9, s13, s9
	v_lshlrev_b64 v[2:3], 1, v[2:3]
	v_mov_b32_e32 v4, s9
	v_add_co_u32_e32 v2, vcc, s8, v2
	v_addc_co_u32_e32 v3, vcc, v4, v3, vcc
	v_lshlrev_b32_e32 v4, 4, v1
	v_add_co_u32_e32 v2, vcc, v2, v4
	v_addc_co_u32_e32 v3, vcc, 0, v3, vcc
	global_load_dwordx4 v[2:5], v[2:3], off
	v_lshlrev_b32_e32 v0, 4, v0
	v_lshlrev_b32_e32 v1, 8, v1
	v_and_b32_e32 v0, 16, v0
	v_lshlrev_b32_e32 v6, 5, v6
	v_and_b32_e32 v1, 0xe00, v1
	v_or3_b32 v0, v1, v6, v0
	s_waitcnt vmcnt(0)
	ds_write_b128 v0, v[2:5]
.LBB457_9:
	s_or_b64 exec, exec, s[6:7]
	s_waitcnt lgkmcnt(0)
	s_add_u32 s8, s4, 0x90
	s_addc_u32 s9, s5, 0
	s_getpc_b64 s[4:5]
	s_add_u32 s4, s4, __PRETTY_FUNCTION__._Z39paged_attention_ll4mi_QKV_mfma16_kernelIDF16_hLN4vllm18Fp8KVCacheDataTypeE1EDF16_Li32ELi64ELi256ELb0ELi12EL8MFMAType1EEvPKT_PKT0_S8_ifPKiSA_SA_iPKfiiiPfSD_PS3_PT2_iSC_SC_@rel32@lo+4
	s_addc_u32 s5, s5, __PRETTY_FUNCTION__._Z39paged_attention_ll4mi_QKV_mfma16_kernelIDF16_hLN4vllm18Fp8KVCacheDataTypeE1EDF16_Li32ELi64ELi256ELb0ELi12EL8MFMAType1EEvPKT_PKT0_S8_ifPKiSA_SA_iPKfiiiPfSD_PS3_PT2_iSC_SC_@rel32@hi+12
	v_mov_b32_e32 v0, 0x288
	v_mov_b32_e32 v1, s4
	;; [unrolled: 1-line block ×3, first 2 shown]
	s_barrier
	s_getpc_b64 s[6:7]
	s_add_u32 s6, s6, __assert_fail@rel32@lo+4
	s_addc_u32 s7, s7, __assert_fail@rel32@hi+12
	s_swappc_b64 s[30:31], s[6:7]
	; divergent unreachable
.LBB457_10:
	s_endpgm
.LBB457_11:
	s_mov_b64 s[18:19], 0
	s_branch .LBB457_2
	.section	.rodata,"a",@progbits
	.p2align	6, 0x0
	.amdhsa_kernel _Z39paged_attention_ll4mi_QKV_mfma16_kernelIDF16_hLN4vllm18Fp8KVCacheDataTypeE1EDF16_Li32ELi64ELi256ELb0ELi12EL8MFMAType1EEvPKT_PKT0_S8_ifPKiSA_SA_iPKfiiiPfSD_PS3_PT2_iSC_SC_
		.amdhsa_group_segment_fixed_size 8192
		.amdhsa_private_segment_fixed_size 64
		.amdhsa_kernarg_size 400
		.amdhsa_user_sgpr_count 8
		.amdhsa_user_sgpr_private_segment_buffer 1
		.amdhsa_user_sgpr_dispatch_ptr 0
		.amdhsa_user_sgpr_queue_ptr 0
		.amdhsa_user_sgpr_kernarg_segment_ptr 1
		.amdhsa_user_sgpr_dispatch_id 0
		.amdhsa_user_sgpr_flat_scratch_init 1
		.amdhsa_user_sgpr_kernarg_preload_length 0
		.amdhsa_user_sgpr_kernarg_preload_offset 0
		.amdhsa_user_sgpr_private_segment_size 0
		.amdhsa_uses_dynamic_stack 0
		.amdhsa_system_sgpr_private_segment_wavefront_offset 1
		.amdhsa_system_sgpr_workgroup_id_x 1
		.amdhsa_system_sgpr_workgroup_id_y 1
		.amdhsa_system_sgpr_workgroup_id_z 1
		.amdhsa_system_sgpr_workgroup_info 0
		.amdhsa_system_vgpr_workitem_id 0
		.amdhsa_next_free_vgpr 45
		.amdhsa_next_free_sgpr 34
		.amdhsa_accum_offset 44
		.amdhsa_reserve_vcc 1
		.amdhsa_reserve_flat_scratch 1
		.amdhsa_float_round_mode_32 0
		.amdhsa_float_round_mode_16_64 0
		.amdhsa_float_denorm_mode_32 3
		.amdhsa_float_denorm_mode_16_64 3
		.amdhsa_dx10_clamp 1
		.amdhsa_ieee_mode 1
		.amdhsa_fp16_overflow 0
		.amdhsa_tg_split 0
		.amdhsa_exception_fp_ieee_invalid_op 0
		.amdhsa_exception_fp_denorm_src 0
		.amdhsa_exception_fp_ieee_div_zero 0
		.amdhsa_exception_fp_ieee_overflow 0
		.amdhsa_exception_fp_ieee_underflow 0
		.amdhsa_exception_fp_ieee_inexact 0
		.amdhsa_exception_int_div_zero 0
	.end_amdhsa_kernel
	.section	.text._Z39paged_attention_ll4mi_QKV_mfma16_kernelIDF16_hLN4vllm18Fp8KVCacheDataTypeE1EDF16_Li32ELi64ELi256ELb0ELi12EL8MFMAType1EEvPKT_PKT0_S8_ifPKiSA_SA_iPKfiiiPfSD_PS3_PT2_iSC_SC_,"axG",@progbits,_Z39paged_attention_ll4mi_QKV_mfma16_kernelIDF16_hLN4vllm18Fp8KVCacheDataTypeE1EDF16_Li32ELi64ELi256ELb0ELi12EL8MFMAType1EEvPKT_PKT0_S8_ifPKiSA_SA_iPKfiiiPfSD_PS3_PT2_iSC_SC_,comdat
.Lfunc_end457:
	.size	_Z39paged_attention_ll4mi_QKV_mfma16_kernelIDF16_hLN4vllm18Fp8KVCacheDataTypeE1EDF16_Li32ELi64ELi256ELb0ELi12EL8MFMAType1EEvPKT_PKT0_S8_ifPKiSA_SA_iPKfiiiPfSD_PS3_PT2_iSC_SC_, .Lfunc_end457-_Z39paged_attention_ll4mi_QKV_mfma16_kernelIDF16_hLN4vllm18Fp8KVCacheDataTypeE1EDF16_Li32ELi64ELi256ELb0ELi12EL8MFMAType1EEvPKT_PKT0_S8_ifPKiSA_SA_iPKfiiiPfSD_PS3_PT2_iSC_SC_
                                        ; -- End function
	.section	.AMDGPU.csdata,"",@progbits
; Kernel info:
; codeLenInByte = 504
; NumSgprs: 40
; NumVgprs: 42
; NumAgprs: 1
; TotalNumVgprs: 45
; ScratchSize: 64
; MemoryBound: 0
; FloatMode: 240
; IeeeMode: 1
; LDSByteSize: 8192 bytes/workgroup (compile time only)
; SGPRBlocks: 4
; VGPRBlocks: 5
; NumSGPRsForWavesPerEU: 40
; NumVGPRsForWavesPerEU: 45
; AccumOffset: 44
; Occupancy: 8
; WaveLimiterHint : 1
; COMPUTE_PGM_RSRC2:SCRATCH_EN: 1
; COMPUTE_PGM_RSRC2:USER_SGPR: 8
; COMPUTE_PGM_RSRC2:TRAP_HANDLER: 0
; COMPUTE_PGM_RSRC2:TGID_X_EN: 1
; COMPUTE_PGM_RSRC2:TGID_Y_EN: 1
; COMPUTE_PGM_RSRC2:TGID_Z_EN: 1
; COMPUTE_PGM_RSRC2:TIDIG_COMP_CNT: 0
; COMPUTE_PGM_RSRC3_GFX90A:ACCUM_OFFSET: 10
; COMPUTE_PGM_RSRC3_GFX90A:TG_SPLIT: 0
	.section	.text._Z39paged_attention_ll4mi_QKV_mfma16_kernelIDF16_hLN4vllm18Fp8KVCacheDataTypeE1EDF16_Li32ELi64ELi256ELb0ELi13EL8MFMAType1EEvPKT_PKT0_S8_ifPKiSA_SA_iPKfiiiPfSD_PS3_PT2_iSC_SC_,"axG",@progbits,_Z39paged_attention_ll4mi_QKV_mfma16_kernelIDF16_hLN4vllm18Fp8KVCacheDataTypeE1EDF16_Li32ELi64ELi256ELb0ELi13EL8MFMAType1EEvPKT_PKT0_S8_ifPKiSA_SA_iPKfiiiPfSD_PS3_PT2_iSC_SC_,comdat
	.protected	_Z39paged_attention_ll4mi_QKV_mfma16_kernelIDF16_hLN4vllm18Fp8KVCacheDataTypeE1EDF16_Li32ELi64ELi256ELb0ELi13EL8MFMAType1EEvPKT_PKT0_S8_ifPKiSA_SA_iPKfiiiPfSD_PS3_PT2_iSC_SC_ ; -- Begin function _Z39paged_attention_ll4mi_QKV_mfma16_kernelIDF16_hLN4vllm18Fp8KVCacheDataTypeE1EDF16_Li32ELi64ELi256ELb0ELi13EL8MFMAType1EEvPKT_PKT0_S8_ifPKiSA_SA_iPKfiiiPfSD_PS3_PT2_iSC_SC_
	.globl	_Z39paged_attention_ll4mi_QKV_mfma16_kernelIDF16_hLN4vllm18Fp8KVCacheDataTypeE1EDF16_Li32ELi64ELi256ELb0ELi13EL8MFMAType1EEvPKT_PKT0_S8_ifPKiSA_SA_iPKfiiiPfSD_PS3_PT2_iSC_SC_
	.p2align	8
	.type	_Z39paged_attention_ll4mi_QKV_mfma16_kernelIDF16_hLN4vllm18Fp8KVCacheDataTypeE1EDF16_Li32ELi64ELi256ELb0ELi13EL8MFMAType1EEvPKT_PKT0_S8_ifPKiSA_SA_iPKfiiiPfSD_PS3_PT2_iSC_SC_,@function
_Z39paged_attention_ll4mi_QKV_mfma16_kernelIDF16_hLN4vllm18Fp8KVCacheDataTypeE1EDF16_Li32ELi64ELi256ELb0ELi13EL8MFMAType1EEvPKT_PKT0_S8_ifPKiSA_SA_iPKfiiiPfSD_PS3_PT2_iSC_SC_: ; @_Z39paged_attention_ll4mi_QKV_mfma16_kernelIDF16_hLN4vllm18Fp8KVCacheDataTypeE1EDF16_Li32ELi64ELi256ELb0ELi13EL8MFMAType1EEvPKT_PKT0_S8_ifPKiSA_SA_iPKfiiiPfSD_PS3_PT2_iSC_SC_
; %bb.0:
	s_load_dwordx2 s[12:13], s[4:5], 0x30
	s_add_u32 flat_scratch_lo, s6, s11
	s_addc_u32 flat_scratch_hi, s7, 0
	s_add_u32 s0, s0, s11
	s_addc_u32 s1, s1, 0
	s_waitcnt lgkmcnt(0)
	s_cmp_lg_u64 s[12:13], 0
	s_cselect_b64 s[14:15], -1, 0
	s_mov_b32 s6, s9
	s_mov_b64 s[16:17], 0
	s_and_b64 vcc, exec, s[14:15]
	s_mov_b32 s32, 0
	s_cbranch_vccz .LBB458_11
; %bb.1:
	s_add_i32 s18, s8, 1
	s_mov_b32 s19, 0
	s_lshl_b64 s[20:21], s[18:19], 2
	s_add_u32 s20, s12, s20
	s_mov_b32 s9, s19
	s_addc_u32 s21, s13, s21
	s_lshl_b64 s[18:19], s[8:9], 2
	s_add_u32 s18, s12, s18
	s_addc_u32 s19, s13, s19
	s_load_dword s7, s[20:21], 0x0
	s_load_dword s11, s[18:19], 0x0
	s_waitcnt lgkmcnt(0)
	s_sub_i32 s7, s7, s11
	s_cmp_eq_u32 s7, 1
	s_cselect_b64 s[18:19], -1, 0
	s_andn2_b64 vcc, exec, s[16:17]
	s_cbranch_vccnz .LBB458_3
.LBB458_2:
	s_mov_b32 s9, 0
	s_mov_b64 s[18:19], -1
.LBB458_3:
	s_andn2_b64 vcc, exec, s[18:19]
	s_cbranch_vccnz .LBB458_10
; %bb.4:
	s_load_dwordx2 s[18:19], s[4:5], 0x28
	s_lshl_b64 s[16:17], s[8:9], 2
	s_waitcnt lgkmcnt(0)
	s_add_u32 s18, s18, s16
	s_addc_u32 s19, s19, s17
	s_load_dword s7, s[18:19], 0x0
	s_lshl_b32 s6, s6, 8
	s_waitcnt lgkmcnt(0)
	s_cmp_ge_i32 s6, s7
	s_cbranch_scc1 .LBB458_10
; %bb.5:
	s_andn2_b64 vcc, exec, s[14:15]
	s_cbranch_vccnz .LBB458_7
; %bb.6:
	s_add_u32 s6, s12, s16
	s_addc_u32 s7, s13, s17
	s_load_dword s8, s[6:7], 0x0
.LBB458_7:
	v_and_b32_e32 v1, 15, v0
	s_movk_i32 s6, 0xd0
	v_cmp_gt_u32_e32 vcc, s6, v0
	v_cmp_gt_u32_e64 s[6:7], 8, v1
	s_and_b64 s[12:13], s[6:7], vcc
	s_and_saveexec_b64 s[6:7], s[12:13]
	s_cbranch_execz .LBB458_9
; %bb.8:
	s_load_dword s11, s[4:5], 0x48
	s_load_dwordx2 s[12:13], s[4:5], 0x0
	v_lshrrev_b32_e32 v6, 4, v0
	s_mul_i32 s10, s10, 13
	v_add_lshl_u32 v2, v6, s10, 6
	s_waitcnt lgkmcnt(0)
	s_ashr_i32 s9, s11, 31
	s_mul_hi_u32 s14, s8, s11
	s_mul_i32 s9, s8, s9
	s_add_i32 s9, s14, s9
	s_mul_i32 s8, s8, s11
	s_lshl_b64 s[8:9], s[8:9], 1
	s_add_u32 s8, s12, s8
	v_ashrrev_i32_e32 v3, 31, v2
	s_addc_u32 s9, s13, s9
	v_lshlrev_b64 v[2:3], 1, v[2:3]
	v_mov_b32_e32 v4, s9
	v_add_co_u32_e32 v2, vcc, s8, v2
	v_addc_co_u32_e32 v3, vcc, v4, v3, vcc
	v_lshlrev_b32_e32 v4, 4, v1
	v_add_co_u32_e32 v2, vcc, v2, v4
	v_addc_co_u32_e32 v3, vcc, 0, v3, vcc
	global_load_dwordx4 v[2:5], v[2:3], off
	v_lshlrev_b32_e32 v0, 4, v0
	v_lshlrev_b32_e32 v1, 8, v1
	v_and_b32_e32 v0, 16, v0
	v_lshlrev_b32_e32 v6, 5, v6
	v_and_b32_e32 v1, 0xe00, v1
	v_or3_b32 v0, v1, v6, v0
	s_waitcnt vmcnt(0)
	ds_write_b128 v0, v[2:5]
.LBB458_9:
	s_or_b64 exec, exec, s[6:7]
	s_waitcnt lgkmcnt(0)
	s_add_u32 s8, s4, 0x90
	s_addc_u32 s9, s5, 0
	s_getpc_b64 s[4:5]
	s_add_u32 s4, s4, __PRETTY_FUNCTION__._Z39paged_attention_ll4mi_QKV_mfma16_kernelIDF16_hLN4vllm18Fp8KVCacheDataTypeE1EDF16_Li32ELi64ELi256ELb0ELi13EL8MFMAType1EEvPKT_PKT0_S8_ifPKiSA_SA_iPKfiiiPfSD_PS3_PT2_iSC_SC_@rel32@lo+4
	s_addc_u32 s5, s5, __PRETTY_FUNCTION__._Z39paged_attention_ll4mi_QKV_mfma16_kernelIDF16_hLN4vllm18Fp8KVCacheDataTypeE1EDF16_Li32ELi64ELi256ELb0ELi13EL8MFMAType1EEvPKT_PKT0_S8_ifPKiSA_SA_iPKfiiiPfSD_PS3_PT2_iSC_SC_@rel32@hi+12
	v_mov_b32_e32 v0, 0x288
	v_mov_b32_e32 v1, s4
	;; [unrolled: 1-line block ×3, first 2 shown]
	s_barrier
	s_getpc_b64 s[6:7]
	s_add_u32 s6, s6, __assert_fail@rel32@lo+4
	s_addc_u32 s7, s7, __assert_fail@rel32@hi+12
	s_swappc_b64 s[30:31], s[6:7]
	; divergent unreachable
.LBB458_10:
	s_endpgm
.LBB458_11:
	s_mov_b64 s[18:19], 0
	s_branch .LBB458_2
	.section	.rodata,"a",@progbits
	.p2align	6, 0x0
	.amdhsa_kernel _Z39paged_attention_ll4mi_QKV_mfma16_kernelIDF16_hLN4vllm18Fp8KVCacheDataTypeE1EDF16_Li32ELi64ELi256ELb0ELi13EL8MFMAType1EEvPKT_PKT0_S8_ifPKiSA_SA_iPKfiiiPfSD_PS3_PT2_iSC_SC_
		.amdhsa_group_segment_fixed_size 8192
		.amdhsa_private_segment_fixed_size 64
		.amdhsa_kernarg_size 400
		.amdhsa_user_sgpr_count 8
		.amdhsa_user_sgpr_private_segment_buffer 1
		.amdhsa_user_sgpr_dispatch_ptr 0
		.amdhsa_user_sgpr_queue_ptr 0
		.amdhsa_user_sgpr_kernarg_segment_ptr 1
		.amdhsa_user_sgpr_dispatch_id 0
		.amdhsa_user_sgpr_flat_scratch_init 1
		.amdhsa_user_sgpr_kernarg_preload_length 0
		.amdhsa_user_sgpr_kernarg_preload_offset 0
		.amdhsa_user_sgpr_private_segment_size 0
		.amdhsa_uses_dynamic_stack 0
		.amdhsa_system_sgpr_private_segment_wavefront_offset 1
		.amdhsa_system_sgpr_workgroup_id_x 1
		.amdhsa_system_sgpr_workgroup_id_y 1
		.amdhsa_system_sgpr_workgroup_id_z 1
		.amdhsa_system_sgpr_workgroup_info 0
		.amdhsa_system_vgpr_workitem_id 0
		.amdhsa_next_free_vgpr 45
		.amdhsa_next_free_sgpr 34
		.amdhsa_accum_offset 44
		.amdhsa_reserve_vcc 1
		.amdhsa_reserve_flat_scratch 1
		.amdhsa_float_round_mode_32 0
		.amdhsa_float_round_mode_16_64 0
		.amdhsa_float_denorm_mode_32 3
		.amdhsa_float_denorm_mode_16_64 3
		.amdhsa_dx10_clamp 1
		.amdhsa_ieee_mode 1
		.amdhsa_fp16_overflow 0
		.amdhsa_tg_split 0
		.amdhsa_exception_fp_ieee_invalid_op 0
		.amdhsa_exception_fp_denorm_src 0
		.amdhsa_exception_fp_ieee_div_zero 0
		.amdhsa_exception_fp_ieee_overflow 0
		.amdhsa_exception_fp_ieee_underflow 0
		.amdhsa_exception_fp_ieee_inexact 0
		.amdhsa_exception_int_div_zero 0
	.end_amdhsa_kernel
	.section	.text._Z39paged_attention_ll4mi_QKV_mfma16_kernelIDF16_hLN4vllm18Fp8KVCacheDataTypeE1EDF16_Li32ELi64ELi256ELb0ELi13EL8MFMAType1EEvPKT_PKT0_S8_ifPKiSA_SA_iPKfiiiPfSD_PS3_PT2_iSC_SC_,"axG",@progbits,_Z39paged_attention_ll4mi_QKV_mfma16_kernelIDF16_hLN4vllm18Fp8KVCacheDataTypeE1EDF16_Li32ELi64ELi256ELb0ELi13EL8MFMAType1EEvPKT_PKT0_S8_ifPKiSA_SA_iPKfiiiPfSD_PS3_PT2_iSC_SC_,comdat
.Lfunc_end458:
	.size	_Z39paged_attention_ll4mi_QKV_mfma16_kernelIDF16_hLN4vllm18Fp8KVCacheDataTypeE1EDF16_Li32ELi64ELi256ELb0ELi13EL8MFMAType1EEvPKT_PKT0_S8_ifPKiSA_SA_iPKfiiiPfSD_PS3_PT2_iSC_SC_, .Lfunc_end458-_Z39paged_attention_ll4mi_QKV_mfma16_kernelIDF16_hLN4vllm18Fp8KVCacheDataTypeE1EDF16_Li32ELi64ELi256ELb0ELi13EL8MFMAType1EEvPKT_PKT0_S8_ifPKiSA_SA_iPKfiiiPfSD_PS3_PT2_iSC_SC_
                                        ; -- End function
	.section	.AMDGPU.csdata,"",@progbits
; Kernel info:
; codeLenInByte = 504
; NumSgprs: 40
; NumVgprs: 42
; NumAgprs: 1
; TotalNumVgprs: 45
; ScratchSize: 64
; MemoryBound: 0
; FloatMode: 240
; IeeeMode: 1
; LDSByteSize: 8192 bytes/workgroup (compile time only)
; SGPRBlocks: 4
; VGPRBlocks: 5
; NumSGPRsForWavesPerEU: 40
; NumVGPRsForWavesPerEU: 45
; AccumOffset: 44
; Occupancy: 8
; WaveLimiterHint : 1
; COMPUTE_PGM_RSRC2:SCRATCH_EN: 1
; COMPUTE_PGM_RSRC2:USER_SGPR: 8
; COMPUTE_PGM_RSRC2:TRAP_HANDLER: 0
; COMPUTE_PGM_RSRC2:TGID_X_EN: 1
; COMPUTE_PGM_RSRC2:TGID_Y_EN: 1
; COMPUTE_PGM_RSRC2:TGID_Z_EN: 1
; COMPUTE_PGM_RSRC2:TIDIG_COMP_CNT: 0
; COMPUTE_PGM_RSRC3_GFX90A:ACCUM_OFFSET: 10
; COMPUTE_PGM_RSRC3_GFX90A:TG_SPLIT: 0
	.section	.text._Z39paged_attention_ll4mi_QKV_mfma16_kernelIDF16_hLN4vllm18Fp8KVCacheDataTypeE1EDF16_Li32ELi64ELi256ELb0ELi14EL8MFMAType1EEvPKT_PKT0_S8_ifPKiSA_SA_iPKfiiiPfSD_PS3_PT2_iSC_SC_,"axG",@progbits,_Z39paged_attention_ll4mi_QKV_mfma16_kernelIDF16_hLN4vllm18Fp8KVCacheDataTypeE1EDF16_Li32ELi64ELi256ELb0ELi14EL8MFMAType1EEvPKT_PKT0_S8_ifPKiSA_SA_iPKfiiiPfSD_PS3_PT2_iSC_SC_,comdat
	.protected	_Z39paged_attention_ll4mi_QKV_mfma16_kernelIDF16_hLN4vllm18Fp8KVCacheDataTypeE1EDF16_Li32ELi64ELi256ELb0ELi14EL8MFMAType1EEvPKT_PKT0_S8_ifPKiSA_SA_iPKfiiiPfSD_PS3_PT2_iSC_SC_ ; -- Begin function _Z39paged_attention_ll4mi_QKV_mfma16_kernelIDF16_hLN4vllm18Fp8KVCacheDataTypeE1EDF16_Li32ELi64ELi256ELb0ELi14EL8MFMAType1EEvPKT_PKT0_S8_ifPKiSA_SA_iPKfiiiPfSD_PS3_PT2_iSC_SC_
	.globl	_Z39paged_attention_ll4mi_QKV_mfma16_kernelIDF16_hLN4vllm18Fp8KVCacheDataTypeE1EDF16_Li32ELi64ELi256ELb0ELi14EL8MFMAType1EEvPKT_PKT0_S8_ifPKiSA_SA_iPKfiiiPfSD_PS3_PT2_iSC_SC_
	.p2align	8
	.type	_Z39paged_attention_ll4mi_QKV_mfma16_kernelIDF16_hLN4vllm18Fp8KVCacheDataTypeE1EDF16_Li32ELi64ELi256ELb0ELi14EL8MFMAType1EEvPKT_PKT0_S8_ifPKiSA_SA_iPKfiiiPfSD_PS3_PT2_iSC_SC_,@function
_Z39paged_attention_ll4mi_QKV_mfma16_kernelIDF16_hLN4vllm18Fp8KVCacheDataTypeE1EDF16_Li32ELi64ELi256ELb0ELi14EL8MFMAType1EEvPKT_PKT0_S8_ifPKiSA_SA_iPKfiiiPfSD_PS3_PT2_iSC_SC_: ; @_Z39paged_attention_ll4mi_QKV_mfma16_kernelIDF16_hLN4vllm18Fp8KVCacheDataTypeE1EDF16_Li32ELi64ELi256ELb0ELi14EL8MFMAType1EEvPKT_PKT0_S8_ifPKiSA_SA_iPKfiiiPfSD_PS3_PT2_iSC_SC_
; %bb.0:
	s_load_dwordx2 s[12:13], s[4:5], 0x30
	s_add_u32 flat_scratch_lo, s6, s11
	s_addc_u32 flat_scratch_hi, s7, 0
	s_add_u32 s0, s0, s11
	s_addc_u32 s1, s1, 0
	s_waitcnt lgkmcnt(0)
	s_cmp_lg_u64 s[12:13], 0
	s_cselect_b64 s[14:15], -1, 0
	s_mov_b32 s6, s9
	s_mov_b64 s[16:17], 0
	s_and_b64 vcc, exec, s[14:15]
	s_mov_b32 s32, 0
	s_cbranch_vccz .LBB459_11
; %bb.1:
	s_add_i32 s18, s8, 1
	s_mov_b32 s19, 0
	s_lshl_b64 s[20:21], s[18:19], 2
	s_add_u32 s20, s12, s20
	s_mov_b32 s9, s19
	s_addc_u32 s21, s13, s21
	s_lshl_b64 s[18:19], s[8:9], 2
	s_add_u32 s18, s12, s18
	s_addc_u32 s19, s13, s19
	s_load_dword s7, s[20:21], 0x0
	s_load_dword s11, s[18:19], 0x0
	s_waitcnt lgkmcnt(0)
	s_sub_i32 s7, s7, s11
	s_cmp_eq_u32 s7, 1
	s_cselect_b64 s[18:19], -1, 0
	s_andn2_b64 vcc, exec, s[16:17]
	s_cbranch_vccnz .LBB459_3
.LBB459_2:
	s_mov_b32 s9, 0
	s_mov_b64 s[18:19], -1
.LBB459_3:
	s_andn2_b64 vcc, exec, s[18:19]
	s_cbranch_vccnz .LBB459_10
; %bb.4:
	s_load_dwordx2 s[18:19], s[4:5], 0x28
	s_lshl_b64 s[16:17], s[8:9], 2
	s_waitcnt lgkmcnt(0)
	s_add_u32 s18, s18, s16
	s_addc_u32 s19, s19, s17
	s_load_dword s7, s[18:19], 0x0
	s_lshl_b32 s6, s6, 8
	s_waitcnt lgkmcnt(0)
	s_cmp_ge_i32 s6, s7
	s_cbranch_scc1 .LBB459_10
; %bb.5:
	s_andn2_b64 vcc, exec, s[14:15]
	s_cbranch_vccnz .LBB459_7
; %bb.6:
	s_add_u32 s6, s12, s16
	s_addc_u32 s7, s13, s17
	s_load_dword s8, s[6:7], 0x0
.LBB459_7:
	v_and_b32_e32 v1, 15, v0
	s_movk_i32 s6, 0xe0
	v_cmp_gt_u32_e32 vcc, s6, v0
	v_cmp_gt_u32_e64 s[6:7], 8, v1
	s_and_b64 s[12:13], s[6:7], vcc
	s_and_saveexec_b64 s[6:7], s[12:13]
	s_cbranch_execz .LBB459_9
; %bb.8:
	s_load_dword s11, s[4:5], 0x48
	s_load_dwordx2 s[12:13], s[4:5], 0x0
	v_lshrrev_b32_e32 v6, 4, v0
	s_mul_i32 s10, s10, 14
	v_add_lshl_u32 v2, v6, s10, 6
	s_waitcnt lgkmcnt(0)
	s_ashr_i32 s9, s11, 31
	s_mul_hi_u32 s14, s8, s11
	s_mul_i32 s9, s8, s9
	s_add_i32 s9, s14, s9
	s_mul_i32 s8, s8, s11
	s_lshl_b64 s[8:9], s[8:9], 1
	s_add_u32 s8, s12, s8
	v_ashrrev_i32_e32 v3, 31, v2
	s_addc_u32 s9, s13, s9
	v_lshlrev_b64 v[2:3], 1, v[2:3]
	v_mov_b32_e32 v4, s9
	v_add_co_u32_e32 v2, vcc, s8, v2
	v_addc_co_u32_e32 v3, vcc, v4, v3, vcc
	v_lshlrev_b32_e32 v4, 4, v1
	v_add_co_u32_e32 v2, vcc, v2, v4
	v_addc_co_u32_e32 v3, vcc, 0, v3, vcc
	global_load_dwordx4 v[2:5], v[2:3], off
	v_lshlrev_b32_e32 v0, 4, v0
	v_lshlrev_b32_e32 v1, 8, v1
	v_and_b32_e32 v0, 16, v0
	v_lshlrev_b32_e32 v6, 5, v6
	v_and_b32_e32 v1, 0xe00, v1
	v_or3_b32 v0, v1, v6, v0
	s_waitcnt vmcnt(0)
	ds_write_b128 v0, v[2:5]
.LBB459_9:
	s_or_b64 exec, exec, s[6:7]
	s_waitcnt lgkmcnt(0)
	s_add_u32 s8, s4, 0x90
	s_addc_u32 s9, s5, 0
	s_getpc_b64 s[4:5]
	s_add_u32 s4, s4, __PRETTY_FUNCTION__._Z39paged_attention_ll4mi_QKV_mfma16_kernelIDF16_hLN4vllm18Fp8KVCacheDataTypeE1EDF16_Li32ELi64ELi256ELb0ELi14EL8MFMAType1EEvPKT_PKT0_S8_ifPKiSA_SA_iPKfiiiPfSD_PS3_PT2_iSC_SC_@rel32@lo+4
	s_addc_u32 s5, s5, __PRETTY_FUNCTION__._Z39paged_attention_ll4mi_QKV_mfma16_kernelIDF16_hLN4vllm18Fp8KVCacheDataTypeE1EDF16_Li32ELi64ELi256ELb0ELi14EL8MFMAType1EEvPKT_PKT0_S8_ifPKiSA_SA_iPKfiiiPfSD_PS3_PT2_iSC_SC_@rel32@hi+12
	v_mov_b32_e32 v0, 0x288
	v_mov_b32_e32 v1, s4
	;; [unrolled: 1-line block ×3, first 2 shown]
	s_barrier
	s_getpc_b64 s[6:7]
	s_add_u32 s6, s6, __assert_fail@rel32@lo+4
	s_addc_u32 s7, s7, __assert_fail@rel32@hi+12
	s_swappc_b64 s[30:31], s[6:7]
	; divergent unreachable
.LBB459_10:
	s_endpgm
.LBB459_11:
	s_mov_b64 s[18:19], 0
	s_branch .LBB459_2
	.section	.rodata,"a",@progbits
	.p2align	6, 0x0
	.amdhsa_kernel _Z39paged_attention_ll4mi_QKV_mfma16_kernelIDF16_hLN4vllm18Fp8KVCacheDataTypeE1EDF16_Li32ELi64ELi256ELb0ELi14EL8MFMAType1EEvPKT_PKT0_S8_ifPKiSA_SA_iPKfiiiPfSD_PS3_PT2_iSC_SC_
		.amdhsa_group_segment_fixed_size 8192
		.amdhsa_private_segment_fixed_size 64
		.amdhsa_kernarg_size 400
		.amdhsa_user_sgpr_count 8
		.amdhsa_user_sgpr_private_segment_buffer 1
		.amdhsa_user_sgpr_dispatch_ptr 0
		.amdhsa_user_sgpr_queue_ptr 0
		.amdhsa_user_sgpr_kernarg_segment_ptr 1
		.amdhsa_user_sgpr_dispatch_id 0
		.amdhsa_user_sgpr_flat_scratch_init 1
		.amdhsa_user_sgpr_kernarg_preload_length 0
		.amdhsa_user_sgpr_kernarg_preload_offset 0
		.amdhsa_user_sgpr_private_segment_size 0
		.amdhsa_uses_dynamic_stack 0
		.amdhsa_system_sgpr_private_segment_wavefront_offset 1
		.amdhsa_system_sgpr_workgroup_id_x 1
		.amdhsa_system_sgpr_workgroup_id_y 1
		.amdhsa_system_sgpr_workgroup_id_z 1
		.amdhsa_system_sgpr_workgroup_info 0
		.amdhsa_system_vgpr_workitem_id 0
		.amdhsa_next_free_vgpr 45
		.amdhsa_next_free_sgpr 34
		.amdhsa_accum_offset 44
		.amdhsa_reserve_vcc 1
		.amdhsa_reserve_flat_scratch 1
		.amdhsa_float_round_mode_32 0
		.amdhsa_float_round_mode_16_64 0
		.amdhsa_float_denorm_mode_32 3
		.amdhsa_float_denorm_mode_16_64 3
		.amdhsa_dx10_clamp 1
		.amdhsa_ieee_mode 1
		.amdhsa_fp16_overflow 0
		.amdhsa_tg_split 0
		.amdhsa_exception_fp_ieee_invalid_op 0
		.amdhsa_exception_fp_denorm_src 0
		.amdhsa_exception_fp_ieee_div_zero 0
		.amdhsa_exception_fp_ieee_overflow 0
		.amdhsa_exception_fp_ieee_underflow 0
		.amdhsa_exception_fp_ieee_inexact 0
		.amdhsa_exception_int_div_zero 0
	.end_amdhsa_kernel
	.section	.text._Z39paged_attention_ll4mi_QKV_mfma16_kernelIDF16_hLN4vllm18Fp8KVCacheDataTypeE1EDF16_Li32ELi64ELi256ELb0ELi14EL8MFMAType1EEvPKT_PKT0_S8_ifPKiSA_SA_iPKfiiiPfSD_PS3_PT2_iSC_SC_,"axG",@progbits,_Z39paged_attention_ll4mi_QKV_mfma16_kernelIDF16_hLN4vllm18Fp8KVCacheDataTypeE1EDF16_Li32ELi64ELi256ELb0ELi14EL8MFMAType1EEvPKT_PKT0_S8_ifPKiSA_SA_iPKfiiiPfSD_PS3_PT2_iSC_SC_,comdat
.Lfunc_end459:
	.size	_Z39paged_attention_ll4mi_QKV_mfma16_kernelIDF16_hLN4vllm18Fp8KVCacheDataTypeE1EDF16_Li32ELi64ELi256ELb0ELi14EL8MFMAType1EEvPKT_PKT0_S8_ifPKiSA_SA_iPKfiiiPfSD_PS3_PT2_iSC_SC_, .Lfunc_end459-_Z39paged_attention_ll4mi_QKV_mfma16_kernelIDF16_hLN4vllm18Fp8KVCacheDataTypeE1EDF16_Li32ELi64ELi256ELb0ELi14EL8MFMAType1EEvPKT_PKT0_S8_ifPKiSA_SA_iPKfiiiPfSD_PS3_PT2_iSC_SC_
                                        ; -- End function
	.section	.AMDGPU.csdata,"",@progbits
; Kernel info:
; codeLenInByte = 504
; NumSgprs: 40
; NumVgprs: 42
; NumAgprs: 1
; TotalNumVgprs: 45
; ScratchSize: 64
; MemoryBound: 0
; FloatMode: 240
; IeeeMode: 1
; LDSByteSize: 8192 bytes/workgroup (compile time only)
; SGPRBlocks: 4
; VGPRBlocks: 5
; NumSGPRsForWavesPerEU: 40
; NumVGPRsForWavesPerEU: 45
; AccumOffset: 44
; Occupancy: 8
; WaveLimiterHint : 1
; COMPUTE_PGM_RSRC2:SCRATCH_EN: 1
; COMPUTE_PGM_RSRC2:USER_SGPR: 8
; COMPUTE_PGM_RSRC2:TRAP_HANDLER: 0
; COMPUTE_PGM_RSRC2:TGID_X_EN: 1
; COMPUTE_PGM_RSRC2:TGID_Y_EN: 1
; COMPUTE_PGM_RSRC2:TGID_Z_EN: 1
; COMPUTE_PGM_RSRC2:TIDIG_COMP_CNT: 0
; COMPUTE_PGM_RSRC3_GFX90A:ACCUM_OFFSET: 10
; COMPUTE_PGM_RSRC3_GFX90A:TG_SPLIT: 0
	.section	.text._Z39paged_attention_ll4mi_QKV_mfma16_kernelIDF16_hLN4vllm18Fp8KVCacheDataTypeE1EDF16_Li32ELi64ELi256ELb0ELi15EL8MFMAType1EEvPKT_PKT0_S8_ifPKiSA_SA_iPKfiiiPfSD_PS3_PT2_iSC_SC_,"axG",@progbits,_Z39paged_attention_ll4mi_QKV_mfma16_kernelIDF16_hLN4vllm18Fp8KVCacheDataTypeE1EDF16_Li32ELi64ELi256ELb0ELi15EL8MFMAType1EEvPKT_PKT0_S8_ifPKiSA_SA_iPKfiiiPfSD_PS3_PT2_iSC_SC_,comdat
	.protected	_Z39paged_attention_ll4mi_QKV_mfma16_kernelIDF16_hLN4vllm18Fp8KVCacheDataTypeE1EDF16_Li32ELi64ELi256ELb0ELi15EL8MFMAType1EEvPKT_PKT0_S8_ifPKiSA_SA_iPKfiiiPfSD_PS3_PT2_iSC_SC_ ; -- Begin function _Z39paged_attention_ll4mi_QKV_mfma16_kernelIDF16_hLN4vllm18Fp8KVCacheDataTypeE1EDF16_Li32ELi64ELi256ELb0ELi15EL8MFMAType1EEvPKT_PKT0_S8_ifPKiSA_SA_iPKfiiiPfSD_PS3_PT2_iSC_SC_
	.globl	_Z39paged_attention_ll4mi_QKV_mfma16_kernelIDF16_hLN4vllm18Fp8KVCacheDataTypeE1EDF16_Li32ELi64ELi256ELb0ELi15EL8MFMAType1EEvPKT_PKT0_S8_ifPKiSA_SA_iPKfiiiPfSD_PS3_PT2_iSC_SC_
	.p2align	8
	.type	_Z39paged_attention_ll4mi_QKV_mfma16_kernelIDF16_hLN4vllm18Fp8KVCacheDataTypeE1EDF16_Li32ELi64ELi256ELb0ELi15EL8MFMAType1EEvPKT_PKT0_S8_ifPKiSA_SA_iPKfiiiPfSD_PS3_PT2_iSC_SC_,@function
_Z39paged_attention_ll4mi_QKV_mfma16_kernelIDF16_hLN4vllm18Fp8KVCacheDataTypeE1EDF16_Li32ELi64ELi256ELb0ELi15EL8MFMAType1EEvPKT_PKT0_S8_ifPKiSA_SA_iPKfiiiPfSD_PS3_PT2_iSC_SC_: ; @_Z39paged_attention_ll4mi_QKV_mfma16_kernelIDF16_hLN4vllm18Fp8KVCacheDataTypeE1EDF16_Li32ELi64ELi256ELb0ELi15EL8MFMAType1EEvPKT_PKT0_S8_ifPKiSA_SA_iPKfiiiPfSD_PS3_PT2_iSC_SC_
; %bb.0:
	s_load_dwordx2 s[12:13], s[4:5], 0x30
	s_add_u32 flat_scratch_lo, s6, s11
	s_addc_u32 flat_scratch_hi, s7, 0
	s_add_u32 s0, s0, s11
	s_addc_u32 s1, s1, 0
	s_waitcnt lgkmcnt(0)
	s_cmp_lg_u64 s[12:13], 0
	s_cselect_b64 s[14:15], -1, 0
	s_mov_b32 s6, s9
	s_mov_b64 s[16:17], 0
	s_and_b64 vcc, exec, s[14:15]
	s_mov_b32 s32, 0
	s_cbranch_vccz .LBB460_11
; %bb.1:
	s_add_i32 s18, s8, 1
	s_mov_b32 s19, 0
	s_lshl_b64 s[20:21], s[18:19], 2
	s_add_u32 s20, s12, s20
	s_mov_b32 s9, s19
	s_addc_u32 s21, s13, s21
	s_lshl_b64 s[18:19], s[8:9], 2
	s_add_u32 s18, s12, s18
	s_addc_u32 s19, s13, s19
	s_load_dword s7, s[20:21], 0x0
	s_load_dword s11, s[18:19], 0x0
	s_waitcnt lgkmcnt(0)
	s_sub_i32 s7, s7, s11
	s_cmp_eq_u32 s7, 1
	s_cselect_b64 s[18:19], -1, 0
	s_andn2_b64 vcc, exec, s[16:17]
	s_cbranch_vccnz .LBB460_3
.LBB460_2:
	s_mov_b32 s9, 0
	s_mov_b64 s[18:19], -1
.LBB460_3:
	s_andn2_b64 vcc, exec, s[18:19]
	s_cbranch_vccnz .LBB460_10
; %bb.4:
	s_load_dwordx2 s[18:19], s[4:5], 0x28
	s_lshl_b64 s[16:17], s[8:9], 2
	s_waitcnt lgkmcnt(0)
	s_add_u32 s18, s18, s16
	s_addc_u32 s19, s19, s17
	s_load_dword s7, s[18:19], 0x0
	s_lshl_b32 s6, s6, 8
	s_waitcnt lgkmcnt(0)
	s_cmp_ge_i32 s6, s7
	s_cbranch_scc1 .LBB460_10
; %bb.5:
	s_andn2_b64 vcc, exec, s[14:15]
	s_cbranch_vccnz .LBB460_7
; %bb.6:
	s_add_u32 s6, s12, s16
	s_addc_u32 s7, s13, s17
	s_load_dword s8, s[6:7], 0x0
.LBB460_7:
	v_and_b32_e32 v1, 15, v0
	s_movk_i32 s6, 0xf0
	v_cmp_gt_u32_e32 vcc, s6, v0
	v_cmp_gt_u32_e64 s[6:7], 8, v1
	s_and_b64 s[12:13], s[6:7], vcc
	s_and_saveexec_b64 s[6:7], s[12:13]
	s_cbranch_execz .LBB460_9
; %bb.8:
	s_load_dword s11, s[4:5], 0x48
	s_load_dwordx2 s[12:13], s[4:5], 0x0
	v_lshrrev_b32_e32 v6, 4, v0
	s_mul_i32 s10, s10, 15
	v_add_lshl_u32 v2, v6, s10, 6
	s_waitcnt lgkmcnt(0)
	s_ashr_i32 s9, s11, 31
	s_mul_hi_u32 s14, s8, s11
	s_mul_i32 s9, s8, s9
	s_add_i32 s9, s14, s9
	s_mul_i32 s8, s8, s11
	s_lshl_b64 s[8:9], s[8:9], 1
	s_add_u32 s8, s12, s8
	v_ashrrev_i32_e32 v3, 31, v2
	s_addc_u32 s9, s13, s9
	v_lshlrev_b64 v[2:3], 1, v[2:3]
	v_mov_b32_e32 v4, s9
	v_add_co_u32_e32 v2, vcc, s8, v2
	v_addc_co_u32_e32 v3, vcc, v4, v3, vcc
	v_lshlrev_b32_e32 v4, 4, v1
	v_add_co_u32_e32 v2, vcc, v2, v4
	v_addc_co_u32_e32 v3, vcc, 0, v3, vcc
	global_load_dwordx4 v[2:5], v[2:3], off
	v_lshlrev_b32_e32 v0, 4, v0
	v_lshlrev_b32_e32 v1, 8, v1
	v_and_b32_e32 v0, 16, v0
	v_lshlrev_b32_e32 v6, 5, v6
	v_and_b32_e32 v1, 0xe00, v1
	v_or3_b32 v0, v1, v6, v0
	s_waitcnt vmcnt(0)
	ds_write_b128 v0, v[2:5]
.LBB460_9:
	s_or_b64 exec, exec, s[6:7]
	s_waitcnt lgkmcnt(0)
	s_add_u32 s8, s4, 0x90
	s_addc_u32 s9, s5, 0
	s_getpc_b64 s[4:5]
	s_add_u32 s4, s4, __PRETTY_FUNCTION__._Z39paged_attention_ll4mi_QKV_mfma16_kernelIDF16_hLN4vllm18Fp8KVCacheDataTypeE1EDF16_Li32ELi64ELi256ELb0ELi15EL8MFMAType1EEvPKT_PKT0_S8_ifPKiSA_SA_iPKfiiiPfSD_PS3_PT2_iSC_SC_@rel32@lo+4
	s_addc_u32 s5, s5, __PRETTY_FUNCTION__._Z39paged_attention_ll4mi_QKV_mfma16_kernelIDF16_hLN4vllm18Fp8KVCacheDataTypeE1EDF16_Li32ELi64ELi256ELb0ELi15EL8MFMAType1EEvPKT_PKT0_S8_ifPKiSA_SA_iPKfiiiPfSD_PS3_PT2_iSC_SC_@rel32@hi+12
	v_mov_b32_e32 v0, 0x288
	v_mov_b32_e32 v1, s4
	;; [unrolled: 1-line block ×3, first 2 shown]
	s_barrier
	s_getpc_b64 s[6:7]
	s_add_u32 s6, s6, __assert_fail@rel32@lo+4
	s_addc_u32 s7, s7, __assert_fail@rel32@hi+12
	s_swappc_b64 s[30:31], s[6:7]
	; divergent unreachable
.LBB460_10:
	s_endpgm
.LBB460_11:
	s_mov_b64 s[18:19], 0
	s_branch .LBB460_2
	.section	.rodata,"a",@progbits
	.p2align	6, 0x0
	.amdhsa_kernel _Z39paged_attention_ll4mi_QKV_mfma16_kernelIDF16_hLN4vllm18Fp8KVCacheDataTypeE1EDF16_Li32ELi64ELi256ELb0ELi15EL8MFMAType1EEvPKT_PKT0_S8_ifPKiSA_SA_iPKfiiiPfSD_PS3_PT2_iSC_SC_
		.amdhsa_group_segment_fixed_size 8192
		.amdhsa_private_segment_fixed_size 64
		.amdhsa_kernarg_size 400
		.amdhsa_user_sgpr_count 8
		.amdhsa_user_sgpr_private_segment_buffer 1
		.amdhsa_user_sgpr_dispatch_ptr 0
		.amdhsa_user_sgpr_queue_ptr 0
		.amdhsa_user_sgpr_kernarg_segment_ptr 1
		.amdhsa_user_sgpr_dispatch_id 0
		.amdhsa_user_sgpr_flat_scratch_init 1
		.amdhsa_user_sgpr_kernarg_preload_length 0
		.amdhsa_user_sgpr_kernarg_preload_offset 0
		.amdhsa_user_sgpr_private_segment_size 0
		.amdhsa_uses_dynamic_stack 0
		.amdhsa_system_sgpr_private_segment_wavefront_offset 1
		.amdhsa_system_sgpr_workgroup_id_x 1
		.amdhsa_system_sgpr_workgroup_id_y 1
		.amdhsa_system_sgpr_workgroup_id_z 1
		.amdhsa_system_sgpr_workgroup_info 0
		.amdhsa_system_vgpr_workitem_id 0
		.amdhsa_next_free_vgpr 45
		.amdhsa_next_free_sgpr 34
		.amdhsa_accum_offset 44
		.amdhsa_reserve_vcc 1
		.amdhsa_reserve_flat_scratch 1
		.amdhsa_float_round_mode_32 0
		.amdhsa_float_round_mode_16_64 0
		.amdhsa_float_denorm_mode_32 3
		.amdhsa_float_denorm_mode_16_64 3
		.amdhsa_dx10_clamp 1
		.amdhsa_ieee_mode 1
		.amdhsa_fp16_overflow 0
		.amdhsa_tg_split 0
		.amdhsa_exception_fp_ieee_invalid_op 0
		.amdhsa_exception_fp_denorm_src 0
		.amdhsa_exception_fp_ieee_div_zero 0
		.amdhsa_exception_fp_ieee_overflow 0
		.amdhsa_exception_fp_ieee_underflow 0
		.amdhsa_exception_fp_ieee_inexact 0
		.amdhsa_exception_int_div_zero 0
	.end_amdhsa_kernel
	.section	.text._Z39paged_attention_ll4mi_QKV_mfma16_kernelIDF16_hLN4vllm18Fp8KVCacheDataTypeE1EDF16_Li32ELi64ELi256ELb0ELi15EL8MFMAType1EEvPKT_PKT0_S8_ifPKiSA_SA_iPKfiiiPfSD_PS3_PT2_iSC_SC_,"axG",@progbits,_Z39paged_attention_ll4mi_QKV_mfma16_kernelIDF16_hLN4vllm18Fp8KVCacheDataTypeE1EDF16_Li32ELi64ELi256ELb0ELi15EL8MFMAType1EEvPKT_PKT0_S8_ifPKiSA_SA_iPKfiiiPfSD_PS3_PT2_iSC_SC_,comdat
.Lfunc_end460:
	.size	_Z39paged_attention_ll4mi_QKV_mfma16_kernelIDF16_hLN4vllm18Fp8KVCacheDataTypeE1EDF16_Li32ELi64ELi256ELb0ELi15EL8MFMAType1EEvPKT_PKT0_S8_ifPKiSA_SA_iPKfiiiPfSD_PS3_PT2_iSC_SC_, .Lfunc_end460-_Z39paged_attention_ll4mi_QKV_mfma16_kernelIDF16_hLN4vllm18Fp8KVCacheDataTypeE1EDF16_Li32ELi64ELi256ELb0ELi15EL8MFMAType1EEvPKT_PKT0_S8_ifPKiSA_SA_iPKfiiiPfSD_PS3_PT2_iSC_SC_
                                        ; -- End function
	.section	.AMDGPU.csdata,"",@progbits
; Kernel info:
; codeLenInByte = 504
; NumSgprs: 40
; NumVgprs: 42
; NumAgprs: 1
; TotalNumVgprs: 45
; ScratchSize: 64
; MemoryBound: 0
; FloatMode: 240
; IeeeMode: 1
; LDSByteSize: 8192 bytes/workgroup (compile time only)
; SGPRBlocks: 4
; VGPRBlocks: 5
; NumSGPRsForWavesPerEU: 40
; NumVGPRsForWavesPerEU: 45
; AccumOffset: 44
; Occupancy: 8
; WaveLimiterHint : 1
; COMPUTE_PGM_RSRC2:SCRATCH_EN: 1
; COMPUTE_PGM_RSRC2:USER_SGPR: 8
; COMPUTE_PGM_RSRC2:TRAP_HANDLER: 0
; COMPUTE_PGM_RSRC2:TGID_X_EN: 1
; COMPUTE_PGM_RSRC2:TGID_Y_EN: 1
; COMPUTE_PGM_RSRC2:TGID_Z_EN: 1
; COMPUTE_PGM_RSRC2:TIDIG_COMP_CNT: 0
; COMPUTE_PGM_RSRC3_GFX90A:ACCUM_OFFSET: 10
; COMPUTE_PGM_RSRC3_GFX90A:TG_SPLIT: 0
	.section	.text._Z39paged_attention_ll4mi_QKV_mfma16_kernelIDF16_hLN4vllm18Fp8KVCacheDataTypeE1EDF16_Li32ELi64ELi256ELb0ELi16EL8MFMAType1EEvPKT_PKT0_S8_ifPKiSA_SA_iPKfiiiPfSD_PS3_PT2_iSC_SC_,"axG",@progbits,_Z39paged_attention_ll4mi_QKV_mfma16_kernelIDF16_hLN4vllm18Fp8KVCacheDataTypeE1EDF16_Li32ELi64ELi256ELb0ELi16EL8MFMAType1EEvPKT_PKT0_S8_ifPKiSA_SA_iPKfiiiPfSD_PS3_PT2_iSC_SC_,comdat
	.protected	_Z39paged_attention_ll4mi_QKV_mfma16_kernelIDF16_hLN4vllm18Fp8KVCacheDataTypeE1EDF16_Li32ELi64ELi256ELb0ELi16EL8MFMAType1EEvPKT_PKT0_S8_ifPKiSA_SA_iPKfiiiPfSD_PS3_PT2_iSC_SC_ ; -- Begin function _Z39paged_attention_ll4mi_QKV_mfma16_kernelIDF16_hLN4vllm18Fp8KVCacheDataTypeE1EDF16_Li32ELi64ELi256ELb0ELi16EL8MFMAType1EEvPKT_PKT0_S8_ifPKiSA_SA_iPKfiiiPfSD_PS3_PT2_iSC_SC_
	.globl	_Z39paged_attention_ll4mi_QKV_mfma16_kernelIDF16_hLN4vllm18Fp8KVCacheDataTypeE1EDF16_Li32ELi64ELi256ELb0ELi16EL8MFMAType1EEvPKT_PKT0_S8_ifPKiSA_SA_iPKfiiiPfSD_PS3_PT2_iSC_SC_
	.p2align	8
	.type	_Z39paged_attention_ll4mi_QKV_mfma16_kernelIDF16_hLN4vllm18Fp8KVCacheDataTypeE1EDF16_Li32ELi64ELi256ELb0ELi16EL8MFMAType1EEvPKT_PKT0_S8_ifPKiSA_SA_iPKfiiiPfSD_PS3_PT2_iSC_SC_,@function
_Z39paged_attention_ll4mi_QKV_mfma16_kernelIDF16_hLN4vllm18Fp8KVCacheDataTypeE1EDF16_Li32ELi64ELi256ELb0ELi16EL8MFMAType1EEvPKT_PKT0_S8_ifPKiSA_SA_iPKfiiiPfSD_PS3_PT2_iSC_SC_: ; @_Z39paged_attention_ll4mi_QKV_mfma16_kernelIDF16_hLN4vllm18Fp8KVCacheDataTypeE1EDF16_Li32ELi64ELi256ELb0ELi16EL8MFMAType1EEvPKT_PKT0_S8_ifPKiSA_SA_iPKfiiiPfSD_PS3_PT2_iSC_SC_
; %bb.0:
	s_load_dwordx2 s[12:13], s[4:5], 0x30
	s_add_u32 flat_scratch_lo, s6, s11
	s_addc_u32 flat_scratch_hi, s7, 0
	s_add_u32 s0, s0, s11
	s_addc_u32 s1, s1, 0
	s_waitcnt lgkmcnt(0)
	s_cmp_lg_u64 s[12:13], 0
	s_cselect_b64 s[14:15], -1, 0
	s_mov_b32 s6, s9
	s_mov_b64 s[16:17], 0
	s_and_b64 vcc, exec, s[14:15]
	s_mov_b32 s32, 0
	s_cbranch_vccz .LBB461_11
; %bb.1:
	s_add_i32 s18, s8, 1
	s_mov_b32 s19, 0
	s_lshl_b64 s[20:21], s[18:19], 2
	s_add_u32 s20, s12, s20
	s_mov_b32 s9, s19
	s_addc_u32 s21, s13, s21
	s_lshl_b64 s[18:19], s[8:9], 2
	s_add_u32 s18, s12, s18
	s_addc_u32 s19, s13, s19
	s_load_dword s7, s[20:21], 0x0
	s_load_dword s11, s[18:19], 0x0
	s_waitcnt lgkmcnt(0)
	s_sub_i32 s7, s7, s11
	s_cmp_eq_u32 s7, 1
	s_cselect_b64 s[18:19], -1, 0
	s_andn2_b64 vcc, exec, s[16:17]
	s_cbranch_vccnz .LBB461_3
.LBB461_2:
	s_mov_b32 s9, 0
	s_mov_b64 s[18:19], -1
.LBB461_3:
	s_andn2_b64 vcc, exec, s[18:19]
	s_cbranch_vccnz .LBB461_10
; %bb.4:
	s_load_dwordx2 s[18:19], s[4:5], 0x28
	s_lshl_b64 s[16:17], s[8:9], 2
	s_waitcnt lgkmcnt(0)
	s_add_u32 s18, s18, s16
	s_addc_u32 s19, s19, s17
	s_load_dword s7, s[18:19], 0x0
	s_lshl_b32 s6, s6, 8
	s_waitcnt lgkmcnt(0)
	s_cmp_ge_i32 s6, s7
	s_cbranch_scc1 .LBB461_10
; %bb.5:
	s_andn2_b64 vcc, exec, s[14:15]
	s_cbranch_vccnz .LBB461_7
; %bb.6:
	s_add_u32 s6, s12, s16
	s_addc_u32 s7, s13, s17
	s_load_dword s8, s[6:7], 0x0
.LBB461_7:
	v_and_b32_e32 v1, 15, v0
	s_movk_i32 s6, 0x100
	v_cmp_gt_u32_e32 vcc, s6, v0
	v_cmp_gt_u32_e64 s[6:7], 8, v1
	s_and_b64 s[12:13], vcc, s[6:7]
	s_and_saveexec_b64 s[6:7], s[12:13]
	s_cbranch_execz .LBB461_9
; %bb.8:
	s_load_dword s9, s[4:5], 0x48
	s_load_dwordx2 s[12:13], s[4:5], 0x0
	v_lshrrev_b32_e32 v6, 4, v0
	v_lshlrev_b32_e32 v0, 4, v0
	v_and_b32_e32 v0, 16, v0
	s_waitcnt lgkmcnt(0)
	s_ashr_i32 s11, s9, 31
	s_mul_hi_u32 s15, s8, s9
	s_mul_i32 s14, s8, s9
	s_mul_i32 s8, s8, s11
	s_add_i32 s15, s15, s8
	s_lshl_b64 s[8:9], s[14:15], 1
	s_add_u32 s8, s12, s8
	s_addc_u32 s9, s13, s9
	s_lshl_b32 s10, s10, 10
	v_lshl_or_b32 v2, v6, 6, s10
	v_ashrrev_i32_e32 v3, 31, v2
	v_lshlrev_b64 v[2:3], 1, v[2:3]
	v_mov_b32_e32 v4, s9
	v_add_co_u32_e32 v2, vcc, s8, v2
	v_addc_co_u32_e32 v3, vcc, v4, v3, vcc
	v_lshlrev_b32_e32 v4, 4, v1
	v_add_co_u32_e32 v2, vcc, v2, v4
	v_addc_co_u32_e32 v3, vcc, 0, v3, vcc
	global_load_dwordx4 v[2:5], v[2:3], off
	v_lshlrev_b32_e32 v1, 8, v1
	v_lshlrev_b32_e32 v6, 5, v6
	v_and_b32_e32 v1, 0xe00, v1
	v_or3_b32 v0, v1, v6, v0
	s_waitcnt vmcnt(0)
	ds_write_b128 v0, v[2:5]
.LBB461_9:
	s_or_b64 exec, exec, s[6:7]
	s_waitcnt lgkmcnt(0)
	s_add_u32 s8, s4, 0x90
	s_addc_u32 s9, s5, 0
	s_getpc_b64 s[4:5]
	s_add_u32 s4, s4, __PRETTY_FUNCTION__._Z39paged_attention_ll4mi_QKV_mfma16_kernelIDF16_hLN4vllm18Fp8KVCacheDataTypeE1EDF16_Li32ELi64ELi256ELb0ELi16EL8MFMAType1EEvPKT_PKT0_S8_ifPKiSA_SA_iPKfiiiPfSD_PS3_PT2_iSC_SC_@rel32@lo+4
	s_addc_u32 s5, s5, __PRETTY_FUNCTION__._Z39paged_attention_ll4mi_QKV_mfma16_kernelIDF16_hLN4vllm18Fp8KVCacheDataTypeE1EDF16_Li32ELi64ELi256ELb0ELi16EL8MFMAType1EEvPKT_PKT0_S8_ifPKiSA_SA_iPKfiiiPfSD_PS3_PT2_iSC_SC_@rel32@hi+12
	v_mov_b32_e32 v0, 0x288
	v_mov_b32_e32 v1, s4
	;; [unrolled: 1-line block ×3, first 2 shown]
	s_barrier
	s_getpc_b64 s[6:7]
	s_add_u32 s6, s6, __assert_fail@rel32@lo+4
	s_addc_u32 s7, s7, __assert_fail@rel32@hi+12
	s_swappc_b64 s[30:31], s[6:7]
	; divergent unreachable
.LBB461_10:
	s_endpgm
.LBB461_11:
	s_mov_b64 s[18:19], 0
	s_branch .LBB461_2
	.section	.rodata,"a",@progbits
	.p2align	6, 0x0
	.amdhsa_kernel _Z39paged_attention_ll4mi_QKV_mfma16_kernelIDF16_hLN4vllm18Fp8KVCacheDataTypeE1EDF16_Li32ELi64ELi256ELb0ELi16EL8MFMAType1EEvPKT_PKT0_S8_ifPKiSA_SA_iPKfiiiPfSD_PS3_PT2_iSC_SC_
		.amdhsa_group_segment_fixed_size 8192
		.amdhsa_private_segment_fixed_size 64
		.amdhsa_kernarg_size 400
		.amdhsa_user_sgpr_count 8
		.amdhsa_user_sgpr_private_segment_buffer 1
		.amdhsa_user_sgpr_dispatch_ptr 0
		.amdhsa_user_sgpr_queue_ptr 0
		.amdhsa_user_sgpr_kernarg_segment_ptr 1
		.amdhsa_user_sgpr_dispatch_id 0
		.amdhsa_user_sgpr_flat_scratch_init 1
		.amdhsa_user_sgpr_kernarg_preload_length 0
		.amdhsa_user_sgpr_kernarg_preload_offset 0
		.amdhsa_user_sgpr_private_segment_size 0
		.amdhsa_uses_dynamic_stack 0
		.amdhsa_system_sgpr_private_segment_wavefront_offset 1
		.amdhsa_system_sgpr_workgroup_id_x 1
		.amdhsa_system_sgpr_workgroup_id_y 1
		.amdhsa_system_sgpr_workgroup_id_z 1
		.amdhsa_system_sgpr_workgroup_info 0
		.amdhsa_system_vgpr_workitem_id 0
		.amdhsa_next_free_vgpr 45
		.amdhsa_next_free_sgpr 34
		.amdhsa_accum_offset 44
		.amdhsa_reserve_vcc 1
		.amdhsa_reserve_flat_scratch 1
		.amdhsa_float_round_mode_32 0
		.amdhsa_float_round_mode_16_64 0
		.amdhsa_float_denorm_mode_32 3
		.amdhsa_float_denorm_mode_16_64 3
		.amdhsa_dx10_clamp 1
		.amdhsa_ieee_mode 1
		.amdhsa_fp16_overflow 0
		.amdhsa_tg_split 0
		.amdhsa_exception_fp_ieee_invalid_op 0
		.amdhsa_exception_fp_denorm_src 0
		.amdhsa_exception_fp_ieee_div_zero 0
		.amdhsa_exception_fp_ieee_overflow 0
		.amdhsa_exception_fp_ieee_underflow 0
		.amdhsa_exception_fp_ieee_inexact 0
		.amdhsa_exception_int_div_zero 0
	.end_amdhsa_kernel
	.section	.text._Z39paged_attention_ll4mi_QKV_mfma16_kernelIDF16_hLN4vllm18Fp8KVCacheDataTypeE1EDF16_Li32ELi64ELi256ELb0ELi16EL8MFMAType1EEvPKT_PKT0_S8_ifPKiSA_SA_iPKfiiiPfSD_PS3_PT2_iSC_SC_,"axG",@progbits,_Z39paged_attention_ll4mi_QKV_mfma16_kernelIDF16_hLN4vllm18Fp8KVCacheDataTypeE1EDF16_Li32ELi64ELi256ELb0ELi16EL8MFMAType1EEvPKT_PKT0_S8_ifPKiSA_SA_iPKfiiiPfSD_PS3_PT2_iSC_SC_,comdat
.Lfunc_end461:
	.size	_Z39paged_attention_ll4mi_QKV_mfma16_kernelIDF16_hLN4vllm18Fp8KVCacheDataTypeE1EDF16_Li32ELi64ELi256ELb0ELi16EL8MFMAType1EEvPKT_PKT0_S8_ifPKiSA_SA_iPKfiiiPfSD_PS3_PT2_iSC_SC_, .Lfunc_end461-_Z39paged_attention_ll4mi_QKV_mfma16_kernelIDF16_hLN4vllm18Fp8KVCacheDataTypeE1EDF16_Li32ELi64ELi256ELb0ELi16EL8MFMAType1EEvPKT_PKT0_S8_ifPKiSA_SA_iPKfiiiPfSD_PS3_PT2_iSC_SC_
                                        ; -- End function
	.section	.AMDGPU.csdata,"",@progbits
; Kernel info:
; codeLenInByte = 504
; NumSgprs: 40
; NumVgprs: 42
; NumAgprs: 1
; TotalNumVgprs: 45
; ScratchSize: 64
; MemoryBound: 0
; FloatMode: 240
; IeeeMode: 1
; LDSByteSize: 8192 bytes/workgroup (compile time only)
; SGPRBlocks: 4
; VGPRBlocks: 5
; NumSGPRsForWavesPerEU: 40
; NumVGPRsForWavesPerEU: 45
; AccumOffset: 44
; Occupancy: 8
; WaveLimiterHint : 1
; COMPUTE_PGM_RSRC2:SCRATCH_EN: 1
; COMPUTE_PGM_RSRC2:USER_SGPR: 8
; COMPUTE_PGM_RSRC2:TRAP_HANDLER: 0
; COMPUTE_PGM_RSRC2:TGID_X_EN: 1
; COMPUTE_PGM_RSRC2:TGID_Y_EN: 1
; COMPUTE_PGM_RSRC2:TGID_Z_EN: 1
; COMPUTE_PGM_RSRC2:TIDIG_COMP_CNT: 0
; COMPUTE_PGM_RSRC3_GFX90A:ACCUM_OFFSET: 10
; COMPUTE_PGM_RSRC3_GFX90A:TG_SPLIT: 0
	.section	.text._Z39paged_attention_ll4mi_QKV_mfma16_kernelIDF16_hLN4vllm18Fp8KVCacheDataTypeE1EDF16_Li32ELi64ELi256ELb0ELi1EL8MFMAType1EEvPKT_PKT0_S8_ifPKiSA_SA_iPKfiiiPfSD_PS3_PT2_iSC_SC_,"axG",@progbits,_Z39paged_attention_ll4mi_QKV_mfma16_kernelIDF16_hLN4vllm18Fp8KVCacheDataTypeE1EDF16_Li32ELi64ELi256ELb0ELi1EL8MFMAType1EEvPKT_PKT0_S8_ifPKiSA_SA_iPKfiiiPfSD_PS3_PT2_iSC_SC_,comdat
	.protected	_Z39paged_attention_ll4mi_QKV_mfma16_kernelIDF16_hLN4vllm18Fp8KVCacheDataTypeE1EDF16_Li32ELi64ELi256ELb0ELi1EL8MFMAType1EEvPKT_PKT0_S8_ifPKiSA_SA_iPKfiiiPfSD_PS3_PT2_iSC_SC_ ; -- Begin function _Z39paged_attention_ll4mi_QKV_mfma16_kernelIDF16_hLN4vllm18Fp8KVCacheDataTypeE1EDF16_Li32ELi64ELi256ELb0ELi1EL8MFMAType1EEvPKT_PKT0_S8_ifPKiSA_SA_iPKfiiiPfSD_PS3_PT2_iSC_SC_
	.globl	_Z39paged_attention_ll4mi_QKV_mfma16_kernelIDF16_hLN4vllm18Fp8KVCacheDataTypeE1EDF16_Li32ELi64ELi256ELb0ELi1EL8MFMAType1EEvPKT_PKT0_S8_ifPKiSA_SA_iPKfiiiPfSD_PS3_PT2_iSC_SC_
	.p2align	8
	.type	_Z39paged_attention_ll4mi_QKV_mfma16_kernelIDF16_hLN4vllm18Fp8KVCacheDataTypeE1EDF16_Li32ELi64ELi256ELb0ELi1EL8MFMAType1EEvPKT_PKT0_S8_ifPKiSA_SA_iPKfiiiPfSD_PS3_PT2_iSC_SC_,@function
_Z39paged_attention_ll4mi_QKV_mfma16_kernelIDF16_hLN4vllm18Fp8KVCacheDataTypeE1EDF16_Li32ELi64ELi256ELb0ELi1EL8MFMAType1EEvPKT_PKT0_S8_ifPKiSA_SA_iPKfiiiPfSD_PS3_PT2_iSC_SC_: ; @_Z39paged_attention_ll4mi_QKV_mfma16_kernelIDF16_hLN4vllm18Fp8KVCacheDataTypeE1EDF16_Li32ELi64ELi256ELb0ELi1EL8MFMAType1EEvPKT_PKT0_S8_ifPKiSA_SA_iPKfiiiPfSD_PS3_PT2_iSC_SC_
; %bb.0:
	s_load_dwordx2 s[12:13], s[4:5], 0x30
	s_add_u32 flat_scratch_lo, s6, s11
	s_addc_u32 flat_scratch_hi, s7, 0
	s_add_u32 s0, s0, s11
	s_addc_u32 s1, s1, 0
	s_waitcnt lgkmcnt(0)
	s_cmp_lg_u64 s[12:13], 0
	s_cselect_b64 s[14:15], -1, 0
	s_mov_b32 s6, s9
	s_mov_b64 s[16:17], 0
	s_and_b64 vcc, exec, s[14:15]
	s_mov_b32 s32, 0
	s_cbranch_vccz .LBB462_11
; %bb.1:
	s_add_i32 s18, s8, 1
	s_mov_b32 s19, 0
	s_lshl_b64 s[20:21], s[18:19], 2
	s_add_u32 s20, s12, s20
	s_mov_b32 s9, s19
	s_addc_u32 s21, s13, s21
	s_lshl_b64 s[18:19], s[8:9], 2
	s_add_u32 s18, s12, s18
	s_addc_u32 s19, s13, s19
	s_load_dword s7, s[20:21], 0x0
	s_load_dword s11, s[18:19], 0x0
	s_waitcnt lgkmcnt(0)
	s_sub_i32 s7, s7, s11
	s_cmp_eq_u32 s7, 1
	s_cselect_b64 s[18:19], -1, 0
	s_andn2_b64 vcc, exec, s[16:17]
	s_cbranch_vccnz .LBB462_3
.LBB462_2:
	s_mov_b32 s9, 0
	s_mov_b64 s[18:19], -1
.LBB462_3:
	s_andn2_b64 vcc, exec, s[18:19]
	s_cbranch_vccnz .LBB462_10
; %bb.4:
	s_load_dwordx2 s[18:19], s[4:5], 0x28
	s_lshl_b64 s[16:17], s[8:9], 2
	s_waitcnt lgkmcnt(0)
	s_add_u32 s18, s18, s16
	s_addc_u32 s19, s19, s17
	s_load_dword s7, s[18:19], 0x0
	s_lshl_b32 s6, s6, 8
	s_waitcnt lgkmcnt(0)
	s_cmp_ge_i32 s6, s7
	s_cbranch_scc1 .LBB462_10
; %bb.5:
	s_andn2_b64 vcc, exec, s[14:15]
	s_cbranch_vccnz .LBB462_7
; %bb.6:
	s_add_u32 s6, s12, s16
	s_addc_u32 s7, s13, s17
	s_load_dword s8, s[6:7], 0x0
.LBB462_7:
	v_cmp_gt_u32_e32 vcc, 8, v0
	s_and_saveexec_b64 s[6:7], vcc
	s_cbranch_execz .LBB462_9
; %bb.8:
	s_load_dword s9, s[4:5], 0x48
	s_load_dwordx2 s[12:13], s[4:5], 0x0
	v_lshlrev_b32_e32 v1, 4, v0
	v_lshlrev_b32_e32 v0, 8, v0
	s_waitcnt lgkmcnt(0)
	s_ashr_i32 s11, s9, 31
	s_mul_hi_u32 s15, s8, s9
	s_mul_i32 s14, s8, s9
	s_mul_i32 s8, s8, s11
	s_add_i32 s15, s15, s8
	s_lshl_b64 s[8:9], s[14:15], 1
	s_add_u32 s11, s12, s8
	s_addc_u32 s12, s13, s9
	s_lshl_b32 s8, s10, 6
	s_ashr_i32 s9, s8, 31
	s_lshl_b64 s[8:9], s[8:9], 1
	s_add_u32 s8, s11, s8
	s_addc_u32 s9, s12, s9
	global_load_dwordx4 v[2:5], v1, s[8:9]
	v_and_b32_e32 v1, 16, v1
	s_mov_b32 s8, 0xfe00
	v_and_or_b32 v0, v0, s8, v1
	s_waitcnt vmcnt(0)
	ds_write_b128 v0, v[2:5]
.LBB462_9:
	s_or_b64 exec, exec, s[6:7]
	s_waitcnt lgkmcnt(0)
	s_add_u32 s8, s4, 0x90
	s_addc_u32 s9, s5, 0
	s_getpc_b64 s[4:5]
	s_add_u32 s4, s4, __PRETTY_FUNCTION__._Z39paged_attention_ll4mi_QKV_mfma16_kernelIDF16_hLN4vllm18Fp8KVCacheDataTypeE1EDF16_Li32ELi64ELi256ELb0ELi1EL8MFMAType1EEvPKT_PKT0_S8_ifPKiSA_SA_iPKfiiiPfSD_PS3_PT2_iSC_SC_@rel32@lo+4
	s_addc_u32 s5, s5, __PRETTY_FUNCTION__._Z39paged_attention_ll4mi_QKV_mfma16_kernelIDF16_hLN4vllm18Fp8KVCacheDataTypeE1EDF16_Li32ELi64ELi256ELb0ELi1EL8MFMAType1EEvPKT_PKT0_S8_ifPKiSA_SA_iPKfiiiPfSD_PS3_PT2_iSC_SC_@rel32@hi+12
	v_mov_b32_e32 v0, 0x288
	v_mov_b32_e32 v1, s4
	;; [unrolled: 1-line block ×3, first 2 shown]
	s_barrier
	s_getpc_b64 s[6:7]
	s_add_u32 s6, s6, __assert_fail@rel32@lo+4
	s_addc_u32 s7, s7, __assert_fail@rel32@hi+12
	s_swappc_b64 s[30:31], s[6:7]
	; divergent unreachable
.LBB462_10:
	s_endpgm
.LBB462_11:
	s_mov_b64 s[18:19], 0
	s_branch .LBB462_2
	.section	.rodata,"a",@progbits
	.p2align	6, 0x0
	.amdhsa_kernel _Z39paged_attention_ll4mi_QKV_mfma16_kernelIDF16_hLN4vllm18Fp8KVCacheDataTypeE1EDF16_Li32ELi64ELi256ELb0ELi1EL8MFMAType1EEvPKT_PKT0_S8_ifPKiSA_SA_iPKfiiiPfSD_PS3_PT2_iSC_SC_
		.amdhsa_group_segment_fixed_size 8192
		.amdhsa_private_segment_fixed_size 64
		.amdhsa_kernarg_size 400
		.amdhsa_user_sgpr_count 8
		.amdhsa_user_sgpr_private_segment_buffer 1
		.amdhsa_user_sgpr_dispatch_ptr 0
		.amdhsa_user_sgpr_queue_ptr 0
		.amdhsa_user_sgpr_kernarg_segment_ptr 1
		.amdhsa_user_sgpr_dispatch_id 0
		.amdhsa_user_sgpr_flat_scratch_init 1
		.amdhsa_user_sgpr_kernarg_preload_length 0
		.amdhsa_user_sgpr_kernarg_preload_offset 0
		.amdhsa_user_sgpr_private_segment_size 0
		.amdhsa_uses_dynamic_stack 0
		.amdhsa_system_sgpr_private_segment_wavefront_offset 1
		.amdhsa_system_sgpr_workgroup_id_x 1
		.amdhsa_system_sgpr_workgroup_id_y 1
		.amdhsa_system_sgpr_workgroup_id_z 1
		.amdhsa_system_sgpr_workgroup_info 0
		.amdhsa_system_vgpr_workitem_id 0
		.amdhsa_next_free_vgpr 45
		.amdhsa_next_free_sgpr 34
		.amdhsa_accum_offset 44
		.amdhsa_reserve_vcc 1
		.amdhsa_reserve_flat_scratch 1
		.amdhsa_float_round_mode_32 0
		.amdhsa_float_round_mode_16_64 0
		.amdhsa_float_denorm_mode_32 3
		.amdhsa_float_denorm_mode_16_64 3
		.amdhsa_dx10_clamp 1
		.amdhsa_ieee_mode 1
		.amdhsa_fp16_overflow 0
		.amdhsa_tg_split 0
		.amdhsa_exception_fp_ieee_invalid_op 0
		.amdhsa_exception_fp_denorm_src 0
		.amdhsa_exception_fp_ieee_div_zero 0
		.amdhsa_exception_fp_ieee_overflow 0
		.amdhsa_exception_fp_ieee_underflow 0
		.amdhsa_exception_fp_ieee_inexact 0
		.amdhsa_exception_int_div_zero 0
	.end_amdhsa_kernel
	.section	.text._Z39paged_attention_ll4mi_QKV_mfma16_kernelIDF16_hLN4vllm18Fp8KVCacheDataTypeE1EDF16_Li32ELi64ELi256ELb0ELi1EL8MFMAType1EEvPKT_PKT0_S8_ifPKiSA_SA_iPKfiiiPfSD_PS3_PT2_iSC_SC_,"axG",@progbits,_Z39paged_attention_ll4mi_QKV_mfma16_kernelIDF16_hLN4vllm18Fp8KVCacheDataTypeE1EDF16_Li32ELi64ELi256ELb0ELi1EL8MFMAType1EEvPKT_PKT0_S8_ifPKiSA_SA_iPKfiiiPfSD_PS3_PT2_iSC_SC_,comdat
.Lfunc_end462:
	.size	_Z39paged_attention_ll4mi_QKV_mfma16_kernelIDF16_hLN4vllm18Fp8KVCacheDataTypeE1EDF16_Li32ELi64ELi256ELb0ELi1EL8MFMAType1EEvPKT_PKT0_S8_ifPKiSA_SA_iPKfiiiPfSD_PS3_PT2_iSC_SC_, .Lfunc_end462-_Z39paged_attention_ll4mi_QKV_mfma16_kernelIDF16_hLN4vllm18Fp8KVCacheDataTypeE1EDF16_Li32ELi64ELi256ELb0ELi1EL8MFMAType1EEvPKT_PKT0_S8_ifPKiSA_SA_iPKfiiiPfSD_PS3_PT2_iSC_SC_
                                        ; -- End function
	.section	.AMDGPU.csdata,"",@progbits
; Kernel info:
; codeLenInByte = 448
; NumSgprs: 40
; NumVgprs: 42
; NumAgprs: 1
; TotalNumVgprs: 45
; ScratchSize: 64
; MemoryBound: 0
; FloatMode: 240
; IeeeMode: 1
; LDSByteSize: 8192 bytes/workgroup (compile time only)
; SGPRBlocks: 4
; VGPRBlocks: 5
; NumSGPRsForWavesPerEU: 40
; NumVGPRsForWavesPerEU: 45
; AccumOffset: 44
; Occupancy: 8
; WaveLimiterHint : 1
; COMPUTE_PGM_RSRC2:SCRATCH_EN: 1
; COMPUTE_PGM_RSRC2:USER_SGPR: 8
; COMPUTE_PGM_RSRC2:TRAP_HANDLER: 0
; COMPUTE_PGM_RSRC2:TGID_X_EN: 1
; COMPUTE_PGM_RSRC2:TGID_Y_EN: 1
; COMPUTE_PGM_RSRC2:TGID_Z_EN: 1
; COMPUTE_PGM_RSRC2:TIDIG_COMP_CNT: 0
; COMPUTE_PGM_RSRC3_GFX90A:ACCUM_OFFSET: 10
; COMPUTE_PGM_RSRC3_GFX90A:TG_SPLIT: 0
	.section	.text._Z39paged_attention_ll4mi_QKV_mfma16_kernelIDF16_hLN4vllm18Fp8KVCacheDataTypeE1EDF16_Li32ELi64ELi256ELb0ELi2EL8MFMAType1EEvPKT_PKT0_S8_ifPKiSA_SA_iPKfiiiPfSD_PS3_PT2_iSC_SC_,"axG",@progbits,_Z39paged_attention_ll4mi_QKV_mfma16_kernelIDF16_hLN4vllm18Fp8KVCacheDataTypeE1EDF16_Li32ELi64ELi256ELb0ELi2EL8MFMAType1EEvPKT_PKT0_S8_ifPKiSA_SA_iPKfiiiPfSD_PS3_PT2_iSC_SC_,comdat
	.protected	_Z39paged_attention_ll4mi_QKV_mfma16_kernelIDF16_hLN4vllm18Fp8KVCacheDataTypeE1EDF16_Li32ELi64ELi256ELb0ELi2EL8MFMAType1EEvPKT_PKT0_S8_ifPKiSA_SA_iPKfiiiPfSD_PS3_PT2_iSC_SC_ ; -- Begin function _Z39paged_attention_ll4mi_QKV_mfma16_kernelIDF16_hLN4vllm18Fp8KVCacheDataTypeE1EDF16_Li32ELi64ELi256ELb0ELi2EL8MFMAType1EEvPKT_PKT0_S8_ifPKiSA_SA_iPKfiiiPfSD_PS3_PT2_iSC_SC_
	.globl	_Z39paged_attention_ll4mi_QKV_mfma16_kernelIDF16_hLN4vllm18Fp8KVCacheDataTypeE1EDF16_Li32ELi64ELi256ELb0ELi2EL8MFMAType1EEvPKT_PKT0_S8_ifPKiSA_SA_iPKfiiiPfSD_PS3_PT2_iSC_SC_
	.p2align	8
	.type	_Z39paged_attention_ll4mi_QKV_mfma16_kernelIDF16_hLN4vllm18Fp8KVCacheDataTypeE1EDF16_Li32ELi64ELi256ELb0ELi2EL8MFMAType1EEvPKT_PKT0_S8_ifPKiSA_SA_iPKfiiiPfSD_PS3_PT2_iSC_SC_,@function
_Z39paged_attention_ll4mi_QKV_mfma16_kernelIDF16_hLN4vllm18Fp8KVCacheDataTypeE1EDF16_Li32ELi64ELi256ELb0ELi2EL8MFMAType1EEvPKT_PKT0_S8_ifPKiSA_SA_iPKfiiiPfSD_PS3_PT2_iSC_SC_: ; @_Z39paged_attention_ll4mi_QKV_mfma16_kernelIDF16_hLN4vllm18Fp8KVCacheDataTypeE1EDF16_Li32ELi64ELi256ELb0ELi2EL8MFMAType1EEvPKT_PKT0_S8_ifPKiSA_SA_iPKfiiiPfSD_PS3_PT2_iSC_SC_
; %bb.0:
	s_load_dwordx2 s[12:13], s[4:5], 0x30
	s_add_u32 flat_scratch_lo, s6, s11
	s_addc_u32 flat_scratch_hi, s7, 0
	s_add_u32 s0, s0, s11
	s_addc_u32 s1, s1, 0
	s_waitcnt lgkmcnt(0)
	s_cmp_lg_u64 s[12:13], 0
	s_cselect_b64 s[14:15], -1, 0
	s_mov_b32 s6, s9
	s_mov_b64 s[16:17], 0
	s_and_b64 vcc, exec, s[14:15]
	s_mov_b32 s32, 0
	s_cbranch_vccz .LBB463_11
; %bb.1:
	s_add_i32 s18, s8, 1
	s_mov_b32 s19, 0
	s_lshl_b64 s[20:21], s[18:19], 2
	s_add_u32 s20, s12, s20
	s_mov_b32 s9, s19
	s_addc_u32 s21, s13, s21
	s_lshl_b64 s[18:19], s[8:9], 2
	s_add_u32 s18, s12, s18
	s_addc_u32 s19, s13, s19
	s_load_dword s7, s[20:21], 0x0
	s_load_dword s11, s[18:19], 0x0
	s_waitcnt lgkmcnt(0)
	s_sub_i32 s7, s7, s11
	s_cmp_eq_u32 s7, 1
	s_cselect_b64 s[18:19], -1, 0
	s_andn2_b64 vcc, exec, s[16:17]
	s_cbranch_vccnz .LBB463_3
.LBB463_2:
	s_mov_b32 s9, 0
	s_mov_b64 s[18:19], -1
.LBB463_3:
	s_andn2_b64 vcc, exec, s[18:19]
	s_cbranch_vccnz .LBB463_10
; %bb.4:
	s_load_dwordx2 s[18:19], s[4:5], 0x28
	s_lshl_b64 s[16:17], s[8:9], 2
	s_waitcnt lgkmcnt(0)
	s_add_u32 s18, s18, s16
	s_addc_u32 s19, s19, s17
	s_load_dword s7, s[18:19], 0x0
	s_lshl_b32 s6, s6, 8
	s_waitcnt lgkmcnt(0)
	s_cmp_ge_i32 s6, s7
	s_cbranch_scc1 .LBB463_10
; %bb.5:
	s_andn2_b64 vcc, exec, s[14:15]
	s_cbranch_vccnz .LBB463_7
; %bb.6:
	s_add_u32 s6, s12, s16
	s_addc_u32 s7, s13, s17
	s_load_dword s8, s[6:7], 0x0
.LBB463_7:
	v_and_b32_e32 v1, 15, v0
	v_cmp_gt_u32_e32 vcc, 32, v0
	v_cmp_gt_u32_e64 s[6:7], 8, v1
	s_and_b64 s[12:13], s[6:7], vcc
	s_and_saveexec_b64 s[6:7], s[12:13]
	s_cbranch_execz .LBB463_9
; %bb.8:
	s_load_dword s9, s[4:5], 0x48
	s_load_dwordx2 s[12:13], s[4:5], 0x0
	v_lshrrev_b32_e32 v6, 4, v0
	v_lshlrev_b32_e32 v0, 4, v0
	v_and_b32_e32 v0, 16, v0
	s_waitcnt lgkmcnt(0)
	s_ashr_i32 s11, s9, 31
	s_mul_hi_u32 s15, s8, s9
	s_mul_i32 s14, s8, s9
	s_mul_i32 s8, s8, s11
	s_add_i32 s15, s15, s8
	s_lshl_b64 s[8:9], s[14:15], 1
	s_add_u32 s8, s12, s8
	s_addc_u32 s9, s13, s9
	s_lshl_b32 s10, s10, 7
	v_lshl_or_b32 v2, v6, 6, s10
	v_ashrrev_i32_e32 v3, 31, v2
	v_lshlrev_b64 v[2:3], 1, v[2:3]
	v_mov_b32_e32 v4, s9
	v_add_co_u32_e32 v2, vcc, s8, v2
	v_addc_co_u32_e32 v3, vcc, v4, v3, vcc
	v_lshlrev_b32_e32 v4, 4, v1
	v_add_co_u32_e32 v2, vcc, v2, v4
	v_addc_co_u32_e32 v3, vcc, 0, v3, vcc
	global_load_dwordx4 v[2:5], v[2:3], off
	v_lshlrev_b32_e32 v1, 8, v1
	v_lshlrev_b32_e32 v6, 5, v6
	v_and_b32_e32 v1, 0xe00, v1
	v_or3_b32 v0, v1, v6, v0
	s_waitcnt vmcnt(0)
	ds_write_b128 v0, v[2:5]
.LBB463_9:
	s_or_b64 exec, exec, s[6:7]
	s_waitcnt lgkmcnt(0)
	s_add_u32 s8, s4, 0x90
	s_addc_u32 s9, s5, 0
	s_getpc_b64 s[4:5]
	s_add_u32 s4, s4, __PRETTY_FUNCTION__._Z39paged_attention_ll4mi_QKV_mfma16_kernelIDF16_hLN4vllm18Fp8KVCacheDataTypeE1EDF16_Li32ELi64ELi256ELb0ELi2EL8MFMAType1EEvPKT_PKT0_S8_ifPKiSA_SA_iPKfiiiPfSD_PS3_PT2_iSC_SC_@rel32@lo+4
	s_addc_u32 s5, s5, __PRETTY_FUNCTION__._Z39paged_attention_ll4mi_QKV_mfma16_kernelIDF16_hLN4vllm18Fp8KVCacheDataTypeE1EDF16_Li32ELi64ELi256ELb0ELi2EL8MFMAType1EEvPKT_PKT0_S8_ifPKiSA_SA_iPKfiiiPfSD_PS3_PT2_iSC_SC_@rel32@hi+12
	v_mov_b32_e32 v0, 0x288
	v_mov_b32_e32 v1, s4
	;; [unrolled: 1-line block ×3, first 2 shown]
	s_barrier
	s_getpc_b64 s[6:7]
	s_add_u32 s6, s6, __assert_fail@rel32@lo+4
	s_addc_u32 s7, s7, __assert_fail@rel32@hi+12
	s_swappc_b64 s[30:31], s[6:7]
	; divergent unreachable
.LBB463_10:
	s_endpgm
.LBB463_11:
	s_mov_b64 s[18:19], 0
	s_branch .LBB463_2
	.section	.rodata,"a",@progbits
	.p2align	6, 0x0
	.amdhsa_kernel _Z39paged_attention_ll4mi_QKV_mfma16_kernelIDF16_hLN4vllm18Fp8KVCacheDataTypeE1EDF16_Li32ELi64ELi256ELb0ELi2EL8MFMAType1EEvPKT_PKT0_S8_ifPKiSA_SA_iPKfiiiPfSD_PS3_PT2_iSC_SC_
		.amdhsa_group_segment_fixed_size 8192
		.amdhsa_private_segment_fixed_size 64
		.amdhsa_kernarg_size 400
		.amdhsa_user_sgpr_count 8
		.amdhsa_user_sgpr_private_segment_buffer 1
		.amdhsa_user_sgpr_dispatch_ptr 0
		.amdhsa_user_sgpr_queue_ptr 0
		.amdhsa_user_sgpr_kernarg_segment_ptr 1
		.amdhsa_user_sgpr_dispatch_id 0
		.amdhsa_user_sgpr_flat_scratch_init 1
		.amdhsa_user_sgpr_kernarg_preload_length 0
		.amdhsa_user_sgpr_kernarg_preload_offset 0
		.amdhsa_user_sgpr_private_segment_size 0
		.amdhsa_uses_dynamic_stack 0
		.amdhsa_system_sgpr_private_segment_wavefront_offset 1
		.amdhsa_system_sgpr_workgroup_id_x 1
		.amdhsa_system_sgpr_workgroup_id_y 1
		.amdhsa_system_sgpr_workgroup_id_z 1
		.amdhsa_system_sgpr_workgroup_info 0
		.amdhsa_system_vgpr_workitem_id 0
		.amdhsa_next_free_vgpr 45
		.amdhsa_next_free_sgpr 34
		.amdhsa_accum_offset 44
		.amdhsa_reserve_vcc 1
		.amdhsa_reserve_flat_scratch 1
		.amdhsa_float_round_mode_32 0
		.amdhsa_float_round_mode_16_64 0
		.amdhsa_float_denorm_mode_32 3
		.amdhsa_float_denorm_mode_16_64 3
		.amdhsa_dx10_clamp 1
		.amdhsa_ieee_mode 1
		.amdhsa_fp16_overflow 0
		.amdhsa_tg_split 0
		.amdhsa_exception_fp_ieee_invalid_op 0
		.amdhsa_exception_fp_denorm_src 0
		.amdhsa_exception_fp_ieee_div_zero 0
		.amdhsa_exception_fp_ieee_overflow 0
		.amdhsa_exception_fp_ieee_underflow 0
		.amdhsa_exception_fp_ieee_inexact 0
		.amdhsa_exception_int_div_zero 0
	.end_amdhsa_kernel
	.section	.text._Z39paged_attention_ll4mi_QKV_mfma16_kernelIDF16_hLN4vllm18Fp8KVCacheDataTypeE1EDF16_Li32ELi64ELi256ELb0ELi2EL8MFMAType1EEvPKT_PKT0_S8_ifPKiSA_SA_iPKfiiiPfSD_PS3_PT2_iSC_SC_,"axG",@progbits,_Z39paged_attention_ll4mi_QKV_mfma16_kernelIDF16_hLN4vllm18Fp8KVCacheDataTypeE1EDF16_Li32ELi64ELi256ELb0ELi2EL8MFMAType1EEvPKT_PKT0_S8_ifPKiSA_SA_iPKfiiiPfSD_PS3_PT2_iSC_SC_,comdat
.Lfunc_end463:
	.size	_Z39paged_attention_ll4mi_QKV_mfma16_kernelIDF16_hLN4vllm18Fp8KVCacheDataTypeE1EDF16_Li32ELi64ELi256ELb0ELi2EL8MFMAType1EEvPKT_PKT0_S8_ifPKiSA_SA_iPKfiiiPfSD_PS3_PT2_iSC_SC_, .Lfunc_end463-_Z39paged_attention_ll4mi_QKV_mfma16_kernelIDF16_hLN4vllm18Fp8KVCacheDataTypeE1EDF16_Li32ELi64ELi256ELb0ELi2EL8MFMAType1EEvPKT_PKT0_S8_ifPKiSA_SA_iPKfiiiPfSD_PS3_PT2_iSC_SC_
                                        ; -- End function
	.section	.AMDGPU.csdata,"",@progbits
; Kernel info:
; codeLenInByte = 500
; NumSgprs: 40
; NumVgprs: 42
; NumAgprs: 1
; TotalNumVgprs: 45
; ScratchSize: 64
; MemoryBound: 0
; FloatMode: 240
; IeeeMode: 1
; LDSByteSize: 8192 bytes/workgroup (compile time only)
; SGPRBlocks: 4
; VGPRBlocks: 5
; NumSGPRsForWavesPerEU: 40
; NumVGPRsForWavesPerEU: 45
; AccumOffset: 44
; Occupancy: 8
; WaveLimiterHint : 1
; COMPUTE_PGM_RSRC2:SCRATCH_EN: 1
; COMPUTE_PGM_RSRC2:USER_SGPR: 8
; COMPUTE_PGM_RSRC2:TRAP_HANDLER: 0
; COMPUTE_PGM_RSRC2:TGID_X_EN: 1
; COMPUTE_PGM_RSRC2:TGID_Y_EN: 1
; COMPUTE_PGM_RSRC2:TGID_Z_EN: 1
; COMPUTE_PGM_RSRC2:TIDIG_COMP_CNT: 0
; COMPUTE_PGM_RSRC3_GFX90A:ACCUM_OFFSET: 10
; COMPUTE_PGM_RSRC3_GFX90A:TG_SPLIT: 0
	.section	.text._Z39paged_attention_ll4mi_QKV_mfma16_kernelIDF16_hLN4vllm18Fp8KVCacheDataTypeE1EDF16_Li32ELi64ELi256ELb0ELi3EL8MFMAType1EEvPKT_PKT0_S8_ifPKiSA_SA_iPKfiiiPfSD_PS3_PT2_iSC_SC_,"axG",@progbits,_Z39paged_attention_ll4mi_QKV_mfma16_kernelIDF16_hLN4vllm18Fp8KVCacheDataTypeE1EDF16_Li32ELi64ELi256ELb0ELi3EL8MFMAType1EEvPKT_PKT0_S8_ifPKiSA_SA_iPKfiiiPfSD_PS3_PT2_iSC_SC_,comdat
	.protected	_Z39paged_attention_ll4mi_QKV_mfma16_kernelIDF16_hLN4vllm18Fp8KVCacheDataTypeE1EDF16_Li32ELi64ELi256ELb0ELi3EL8MFMAType1EEvPKT_PKT0_S8_ifPKiSA_SA_iPKfiiiPfSD_PS3_PT2_iSC_SC_ ; -- Begin function _Z39paged_attention_ll4mi_QKV_mfma16_kernelIDF16_hLN4vllm18Fp8KVCacheDataTypeE1EDF16_Li32ELi64ELi256ELb0ELi3EL8MFMAType1EEvPKT_PKT0_S8_ifPKiSA_SA_iPKfiiiPfSD_PS3_PT2_iSC_SC_
	.globl	_Z39paged_attention_ll4mi_QKV_mfma16_kernelIDF16_hLN4vllm18Fp8KVCacheDataTypeE1EDF16_Li32ELi64ELi256ELb0ELi3EL8MFMAType1EEvPKT_PKT0_S8_ifPKiSA_SA_iPKfiiiPfSD_PS3_PT2_iSC_SC_
	.p2align	8
	.type	_Z39paged_attention_ll4mi_QKV_mfma16_kernelIDF16_hLN4vllm18Fp8KVCacheDataTypeE1EDF16_Li32ELi64ELi256ELb0ELi3EL8MFMAType1EEvPKT_PKT0_S8_ifPKiSA_SA_iPKfiiiPfSD_PS3_PT2_iSC_SC_,@function
_Z39paged_attention_ll4mi_QKV_mfma16_kernelIDF16_hLN4vllm18Fp8KVCacheDataTypeE1EDF16_Li32ELi64ELi256ELb0ELi3EL8MFMAType1EEvPKT_PKT0_S8_ifPKiSA_SA_iPKfiiiPfSD_PS3_PT2_iSC_SC_: ; @_Z39paged_attention_ll4mi_QKV_mfma16_kernelIDF16_hLN4vllm18Fp8KVCacheDataTypeE1EDF16_Li32ELi64ELi256ELb0ELi3EL8MFMAType1EEvPKT_PKT0_S8_ifPKiSA_SA_iPKfiiiPfSD_PS3_PT2_iSC_SC_
; %bb.0:
	s_load_dwordx2 s[12:13], s[4:5], 0x30
	s_add_u32 flat_scratch_lo, s6, s11
	s_addc_u32 flat_scratch_hi, s7, 0
	s_add_u32 s0, s0, s11
	s_addc_u32 s1, s1, 0
	s_waitcnt lgkmcnt(0)
	s_cmp_lg_u64 s[12:13], 0
	s_cselect_b64 s[14:15], -1, 0
	s_mov_b32 s6, s9
	s_mov_b64 s[16:17], 0
	s_and_b64 vcc, exec, s[14:15]
	s_mov_b32 s32, 0
	s_cbranch_vccz .LBB464_11
; %bb.1:
	s_add_i32 s18, s8, 1
	s_mov_b32 s19, 0
	s_lshl_b64 s[20:21], s[18:19], 2
	s_add_u32 s20, s12, s20
	s_mov_b32 s9, s19
	s_addc_u32 s21, s13, s21
	s_lshl_b64 s[18:19], s[8:9], 2
	s_add_u32 s18, s12, s18
	s_addc_u32 s19, s13, s19
	s_load_dword s7, s[20:21], 0x0
	s_load_dword s11, s[18:19], 0x0
	s_waitcnt lgkmcnt(0)
	s_sub_i32 s7, s7, s11
	s_cmp_eq_u32 s7, 1
	s_cselect_b64 s[18:19], -1, 0
	s_andn2_b64 vcc, exec, s[16:17]
	s_cbranch_vccnz .LBB464_3
.LBB464_2:
	s_mov_b32 s9, 0
	s_mov_b64 s[18:19], -1
.LBB464_3:
	s_andn2_b64 vcc, exec, s[18:19]
	s_cbranch_vccnz .LBB464_10
; %bb.4:
	s_load_dwordx2 s[18:19], s[4:5], 0x28
	s_lshl_b64 s[16:17], s[8:9], 2
	s_waitcnt lgkmcnt(0)
	s_add_u32 s18, s18, s16
	s_addc_u32 s19, s19, s17
	s_load_dword s7, s[18:19], 0x0
	s_lshl_b32 s6, s6, 8
	s_waitcnt lgkmcnt(0)
	s_cmp_ge_i32 s6, s7
	s_cbranch_scc1 .LBB464_10
; %bb.5:
	s_andn2_b64 vcc, exec, s[14:15]
	s_cbranch_vccnz .LBB464_7
; %bb.6:
	s_add_u32 s6, s12, s16
	s_addc_u32 s7, s13, s17
	s_load_dword s8, s[6:7], 0x0
.LBB464_7:
	v_and_b32_e32 v1, 15, v0
	v_cmp_gt_u32_e32 vcc, 48, v0
	v_cmp_gt_u32_e64 s[6:7], 8, v1
	s_and_b64 s[12:13], s[6:7], vcc
	s_and_saveexec_b64 s[6:7], s[12:13]
	s_cbranch_execz .LBB464_9
; %bb.8:
	s_load_dword s11, s[4:5], 0x48
	s_load_dwordx2 s[12:13], s[4:5], 0x0
	v_lshrrev_b32_e32 v6, 4, v0
	s_mul_i32 s10, s10, 3
	v_add_lshl_u32 v2, v6, s10, 6
	s_waitcnt lgkmcnt(0)
	s_ashr_i32 s9, s11, 31
	s_mul_hi_u32 s14, s8, s11
	s_mul_i32 s9, s8, s9
	s_add_i32 s9, s14, s9
	s_mul_i32 s8, s8, s11
	s_lshl_b64 s[8:9], s[8:9], 1
	s_add_u32 s8, s12, s8
	v_ashrrev_i32_e32 v3, 31, v2
	s_addc_u32 s9, s13, s9
	v_lshlrev_b64 v[2:3], 1, v[2:3]
	v_mov_b32_e32 v4, s9
	v_add_co_u32_e32 v2, vcc, s8, v2
	v_addc_co_u32_e32 v3, vcc, v4, v3, vcc
	v_lshlrev_b32_e32 v4, 4, v1
	v_add_co_u32_e32 v2, vcc, v2, v4
	v_addc_co_u32_e32 v3, vcc, 0, v3, vcc
	global_load_dwordx4 v[2:5], v[2:3], off
	v_lshlrev_b32_e32 v0, 4, v0
	v_lshlrev_b32_e32 v1, 8, v1
	v_and_b32_e32 v0, 16, v0
	v_lshlrev_b32_e32 v6, 5, v6
	v_and_b32_e32 v1, 0xe00, v1
	v_or3_b32 v0, v1, v6, v0
	s_waitcnt vmcnt(0)
	ds_write_b128 v0, v[2:5]
.LBB464_9:
	s_or_b64 exec, exec, s[6:7]
	s_waitcnt lgkmcnt(0)
	s_add_u32 s8, s4, 0x90
	s_addc_u32 s9, s5, 0
	s_getpc_b64 s[4:5]
	s_add_u32 s4, s4, __PRETTY_FUNCTION__._Z39paged_attention_ll4mi_QKV_mfma16_kernelIDF16_hLN4vllm18Fp8KVCacheDataTypeE1EDF16_Li32ELi64ELi256ELb0ELi3EL8MFMAType1EEvPKT_PKT0_S8_ifPKiSA_SA_iPKfiiiPfSD_PS3_PT2_iSC_SC_@rel32@lo+4
	s_addc_u32 s5, s5, __PRETTY_FUNCTION__._Z39paged_attention_ll4mi_QKV_mfma16_kernelIDF16_hLN4vllm18Fp8KVCacheDataTypeE1EDF16_Li32ELi64ELi256ELb0ELi3EL8MFMAType1EEvPKT_PKT0_S8_ifPKiSA_SA_iPKfiiiPfSD_PS3_PT2_iSC_SC_@rel32@hi+12
	v_mov_b32_e32 v0, 0x288
	v_mov_b32_e32 v1, s4
	;; [unrolled: 1-line block ×3, first 2 shown]
	s_barrier
	s_getpc_b64 s[6:7]
	s_add_u32 s6, s6, __assert_fail@rel32@lo+4
	s_addc_u32 s7, s7, __assert_fail@rel32@hi+12
	s_swappc_b64 s[30:31], s[6:7]
	; divergent unreachable
.LBB464_10:
	s_endpgm
.LBB464_11:
	s_mov_b64 s[18:19], 0
	s_branch .LBB464_2
	.section	.rodata,"a",@progbits
	.p2align	6, 0x0
	.amdhsa_kernel _Z39paged_attention_ll4mi_QKV_mfma16_kernelIDF16_hLN4vllm18Fp8KVCacheDataTypeE1EDF16_Li32ELi64ELi256ELb0ELi3EL8MFMAType1EEvPKT_PKT0_S8_ifPKiSA_SA_iPKfiiiPfSD_PS3_PT2_iSC_SC_
		.amdhsa_group_segment_fixed_size 8192
		.amdhsa_private_segment_fixed_size 64
		.amdhsa_kernarg_size 400
		.amdhsa_user_sgpr_count 8
		.amdhsa_user_sgpr_private_segment_buffer 1
		.amdhsa_user_sgpr_dispatch_ptr 0
		.amdhsa_user_sgpr_queue_ptr 0
		.amdhsa_user_sgpr_kernarg_segment_ptr 1
		.amdhsa_user_sgpr_dispatch_id 0
		.amdhsa_user_sgpr_flat_scratch_init 1
		.amdhsa_user_sgpr_kernarg_preload_length 0
		.amdhsa_user_sgpr_kernarg_preload_offset 0
		.amdhsa_user_sgpr_private_segment_size 0
		.amdhsa_uses_dynamic_stack 0
		.amdhsa_system_sgpr_private_segment_wavefront_offset 1
		.amdhsa_system_sgpr_workgroup_id_x 1
		.amdhsa_system_sgpr_workgroup_id_y 1
		.amdhsa_system_sgpr_workgroup_id_z 1
		.amdhsa_system_sgpr_workgroup_info 0
		.amdhsa_system_vgpr_workitem_id 0
		.amdhsa_next_free_vgpr 45
		.amdhsa_next_free_sgpr 34
		.amdhsa_accum_offset 44
		.amdhsa_reserve_vcc 1
		.amdhsa_reserve_flat_scratch 1
		.amdhsa_float_round_mode_32 0
		.amdhsa_float_round_mode_16_64 0
		.amdhsa_float_denorm_mode_32 3
		.amdhsa_float_denorm_mode_16_64 3
		.amdhsa_dx10_clamp 1
		.amdhsa_ieee_mode 1
		.amdhsa_fp16_overflow 0
		.amdhsa_tg_split 0
		.amdhsa_exception_fp_ieee_invalid_op 0
		.amdhsa_exception_fp_denorm_src 0
		.amdhsa_exception_fp_ieee_div_zero 0
		.amdhsa_exception_fp_ieee_overflow 0
		.amdhsa_exception_fp_ieee_underflow 0
		.amdhsa_exception_fp_ieee_inexact 0
		.amdhsa_exception_int_div_zero 0
	.end_amdhsa_kernel
	.section	.text._Z39paged_attention_ll4mi_QKV_mfma16_kernelIDF16_hLN4vllm18Fp8KVCacheDataTypeE1EDF16_Li32ELi64ELi256ELb0ELi3EL8MFMAType1EEvPKT_PKT0_S8_ifPKiSA_SA_iPKfiiiPfSD_PS3_PT2_iSC_SC_,"axG",@progbits,_Z39paged_attention_ll4mi_QKV_mfma16_kernelIDF16_hLN4vllm18Fp8KVCacheDataTypeE1EDF16_Li32ELi64ELi256ELb0ELi3EL8MFMAType1EEvPKT_PKT0_S8_ifPKiSA_SA_iPKfiiiPfSD_PS3_PT2_iSC_SC_,comdat
.Lfunc_end464:
	.size	_Z39paged_attention_ll4mi_QKV_mfma16_kernelIDF16_hLN4vllm18Fp8KVCacheDataTypeE1EDF16_Li32ELi64ELi256ELb0ELi3EL8MFMAType1EEvPKT_PKT0_S8_ifPKiSA_SA_iPKfiiiPfSD_PS3_PT2_iSC_SC_, .Lfunc_end464-_Z39paged_attention_ll4mi_QKV_mfma16_kernelIDF16_hLN4vllm18Fp8KVCacheDataTypeE1EDF16_Li32ELi64ELi256ELb0ELi3EL8MFMAType1EEvPKT_PKT0_S8_ifPKiSA_SA_iPKfiiiPfSD_PS3_PT2_iSC_SC_
                                        ; -- End function
	.section	.AMDGPU.csdata,"",@progbits
; Kernel info:
; codeLenInByte = 500
; NumSgprs: 40
; NumVgprs: 42
; NumAgprs: 1
; TotalNumVgprs: 45
; ScratchSize: 64
; MemoryBound: 0
; FloatMode: 240
; IeeeMode: 1
; LDSByteSize: 8192 bytes/workgroup (compile time only)
; SGPRBlocks: 4
; VGPRBlocks: 5
; NumSGPRsForWavesPerEU: 40
; NumVGPRsForWavesPerEU: 45
; AccumOffset: 44
; Occupancy: 8
; WaveLimiterHint : 1
; COMPUTE_PGM_RSRC2:SCRATCH_EN: 1
; COMPUTE_PGM_RSRC2:USER_SGPR: 8
; COMPUTE_PGM_RSRC2:TRAP_HANDLER: 0
; COMPUTE_PGM_RSRC2:TGID_X_EN: 1
; COMPUTE_PGM_RSRC2:TGID_Y_EN: 1
; COMPUTE_PGM_RSRC2:TGID_Z_EN: 1
; COMPUTE_PGM_RSRC2:TIDIG_COMP_CNT: 0
; COMPUTE_PGM_RSRC3_GFX90A:ACCUM_OFFSET: 10
; COMPUTE_PGM_RSRC3_GFX90A:TG_SPLIT: 0
	.section	.text._Z39paged_attention_ll4mi_QKV_mfma16_kernelIDF16_hLN4vllm18Fp8KVCacheDataTypeE1EDF16_Li32ELi64ELi256ELb0ELi4EL8MFMAType1EEvPKT_PKT0_S8_ifPKiSA_SA_iPKfiiiPfSD_PS3_PT2_iSC_SC_,"axG",@progbits,_Z39paged_attention_ll4mi_QKV_mfma16_kernelIDF16_hLN4vllm18Fp8KVCacheDataTypeE1EDF16_Li32ELi64ELi256ELb0ELi4EL8MFMAType1EEvPKT_PKT0_S8_ifPKiSA_SA_iPKfiiiPfSD_PS3_PT2_iSC_SC_,comdat
	.protected	_Z39paged_attention_ll4mi_QKV_mfma16_kernelIDF16_hLN4vllm18Fp8KVCacheDataTypeE1EDF16_Li32ELi64ELi256ELb0ELi4EL8MFMAType1EEvPKT_PKT0_S8_ifPKiSA_SA_iPKfiiiPfSD_PS3_PT2_iSC_SC_ ; -- Begin function _Z39paged_attention_ll4mi_QKV_mfma16_kernelIDF16_hLN4vllm18Fp8KVCacheDataTypeE1EDF16_Li32ELi64ELi256ELb0ELi4EL8MFMAType1EEvPKT_PKT0_S8_ifPKiSA_SA_iPKfiiiPfSD_PS3_PT2_iSC_SC_
	.globl	_Z39paged_attention_ll4mi_QKV_mfma16_kernelIDF16_hLN4vllm18Fp8KVCacheDataTypeE1EDF16_Li32ELi64ELi256ELb0ELi4EL8MFMAType1EEvPKT_PKT0_S8_ifPKiSA_SA_iPKfiiiPfSD_PS3_PT2_iSC_SC_
	.p2align	8
	.type	_Z39paged_attention_ll4mi_QKV_mfma16_kernelIDF16_hLN4vllm18Fp8KVCacheDataTypeE1EDF16_Li32ELi64ELi256ELb0ELi4EL8MFMAType1EEvPKT_PKT0_S8_ifPKiSA_SA_iPKfiiiPfSD_PS3_PT2_iSC_SC_,@function
_Z39paged_attention_ll4mi_QKV_mfma16_kernelIDF16_hLN4vllm18Fp8KVCacheDataTypeE1EDF16_Li32ELi64ELi256ELb0ELi4EL8MFMAType1EEvPKT_PKT0_S8_ifPKiSA_SA_iPKfiiiPfSD_PS3_PT2_iSC_SC_: ; @_Z39paged_attention_ll4mi_QKV_mfma16_kernelIDF16_hLN4vllm18Fp8KVCacheDataTypeE1EDF16_Li32ELi64ELi256ELb0ELi4EL8MFMAType1EEvPKT_PKT0_S8_ifPKiSA_SA_iPKfiiiPfSD_PS3_PT2_iSC_SC_
; %bb.0:
	s_load_dwordx2 s[12:13], s[4:5], 0x30
	s_add_u32 flat_scratch_lo, s6, s11
	s_addc_u32 flat_scratch_hi, s7, 0
	s_add_u32 s0, s0, s11
	s_addc_u32 s1, s1, 0
	s_waitcnt lgkmcnt(0)
	s_cmp_lg_u64 s[12:13], 0
	s_cselect_b64 s[14:15], -1, 0
	s_mov_b32 s6, s9
	s_mov_b64 s[16:17], 0
	s_and_b64 vcc, exec, s[14:15]
	s_mov_b32 s32, 0
	s_cbranch_vccz .LBB465_11
; %bb.1:
	s_add_i32 s18, s8, 1
	s_mov_b32 s19, 0
	s_lshl_b64 s[20:21], s[18:19], 2
	s_add_u32 s20, s12, s20
	s_mov_b32 s9, s19
	s_addc_u32 s21, s13, s21
	s_lshl_b64 s[18:19], s[8:9], 2
	s_add_u32 s18, s12, s18
	s_addc_u32 s19, s13, s19
	s_load_dword s7, s[20:21], 0x0
	s_load_dword s11, s[18:19], 0x0
	s_waitcnt lgkmcnt(0)
	s_sub_i32 s7, s7, s11
	s_cmp_eq_u32 s7, 1
	s_cselect_b64 s[18:19], -1, 0
	s_andn2_b64 vcc, exec, s[16:17]
	s_cbranch_vccnz .LBB465_3
.LBB465_2:
	s_mov_b32 s9, 0
	s_mov_b64 s[18:19], -1
.LBB465_3:
	s_andn2_b64 vcc, exec, s[18:19]
	s_cbranch_vccnz .LBB465_10
; %bb.4:
	s_load_dwordx2 s[18:19], s[4:5], 0x28
	s_lshl_b64 s[16:17], s[8:9], 2
	s_waitcnt lgkmcnt(0)
	s_add_u32 s18, s18, s16
	s_addc_u32 s19, s19, s17
	s_load_dword s7, s[18:19], 0x0
	s_lshl_b32 s6, s6, 8
	s_waitcnt lgkmcnt(0)
	s_cmp_ge_i32 s6, s7
	s_cbranch_scc1 .LBB465_10
; %bb.5:
	s_andn2_b64 vcc, exec, s[14:15]
	s_cbranch_vccnz .LBB465_7
; %bb.6:
	s_add_u32 s6, s12, s16
	s_addc_u32 s7, s13, s17
	s_load_dword s8, s[6:7], 0x0
.LBB465_7:
	v_and_b32_e32 v1, 15, v0
	v_cmp_gt_u32_e32 vcc, 64, v0
	v_cmp_gt_u32_e64 s[6:7], 8, v1
	s_and_b64 s[12:13], vcc, s[6:7]
	s_and_saveexec_b64 s[6:7], s[12:13]
	s_cbranch_execz .LBB465_9
; %bb.8:
	s_load_dword s9, s[4:5], 0x48
	s_load_dwordx2 s[12:13], s[4:5], 0x0
	v_lshrrev_b32_e32 v6, 4, v0
	v_lshlrev_b32_e32 v0, 4, v0
	v_and_b32_e32 v0, 16, v0
	s_waitcnt lgkmcnt(0)
	s_ashr_i32 s11, s9, 31
	s_mul_hi_u32 s15, s8, s9
	s_mul_i32 s14, s8, s9
	s_mul_i32 s8, s8, s11
	s_add_i32 s15, s15, s8
	s_lshl_b64 s[8:9], s[14:15], 1
	s_add_u32 s8, s12, s8
	s_addc_u32 s9, s13, s9
	s_lshl_b32 s10, s10, 8
	v_lshl_or_b32 v2, v6, 6, s10
	v_ashrrev_i32_e32 v3, 31, v2
	v_lshlrev_b64 v[2:3], 1, v[2:3]
	v_mov_b32_e32 v4, s9
	v_add_co_u32_e32 v2, vcc, s8, v2
	v_addc_co_u32_e32 v3, vcc, v4, v3, vcc
	v_lshlrev_b32_e32 v4, 4, v1
	v_add_co_u32_e32 v2, vcc, v2, v4
	v_addc_co_u32_e32 v3, vcc, 0, v3, vcc
	global_load_dwordx4 v[2:5], v[2:3], off
	v_lshlrev_b32_e32 v1, 8, v1
	v_lshlrev_b32_e32 v6, 5, v6
	v_and_b32_e32 v1, 0xe00, v1
	v_or3_b32 v0, v1, v6, v0
	s_waitcnt vmcnt(0)
	ds_write_b128 v0, v[2:5]
.LBB465_9:
	s_or_b64 exec, exec, s[6:7]
	s_waitcnt lgkmcnt(0)
	s_add_u32 s8, s4, 0x90
	s_addc_u32 s9, s5, 0
	s_getpc_b64 s[4:5]
	s_add_u32 s4, s4, __PRETTY_FUNCTION__._Z39paged_attention_ll4mi_QKV_mfma16_kernelIDF16_hLN4vllm18Fp8KVCacheDataTypeE1EDF16_Li32ELi64ELi256ELb0ELi4EL8MFMAType1EEvPKT_PKT0_S8_ifPKiSA_SA_iPKfiiiPfSD_PS3_PT2_iSC_SC_@rel32@lo+4
	s_addc_u32 s5, s5, __PRETTY_FUNCTION__._Z39paged_attention_ll4mi_QKV_mfma16_kernelIDF16_hLN4vllm18Fp8KVCacheDataTypeE1EDF16_Li32ELi64ELi256ELb0ELi4EL8MFMAType1EEvPKT_PKT0_S8_ifPKiSA_SA_iPKfiiiPfSD_PS3_PT2_iSC_SC_@rel32@hi+12
	v_mov_b32_e32 v0, 0x288
	v_mov_b32_e32 v1, s4
	;; [unrolled: 1-line block ×3, first 2 shown]
	s_barrier
	s_getpc_b64 s[6:7]
	s_add_u32 s6, s6, __assert_fail@rel32@lo+4
	s_addc_u32 s7, s7, __assert_fail@rel32@hi+12
	s_swappc_b64 s[30:31], s[6:7]
	; divergent unreachable
.LBB465_10:
	s_endpgm
.LBB465_11:
	s_mov_b64 s[18:19], 0
	s_branch .LBB465_2
	.section	.rodata,"a",@progbits
	.p2align	6, 0x0
	.amdhsa_kernel _Z39paged_attention_ll4mi_QKV_mfma16_kernelIDF16_hLN4vllm18Fp8KVCacheDataTypeE1EDF16_Li32ELi64ELi256ELb0ELi4EL8MFMAType1EEvPKT_PKT0_S8_ifPKiSA_SA_iPKfiiiPfSD_PS3_PT2_iSC_SC_
		.amdhsa_group_segment_fixed_size 8192
		.amdhsa_private_segment_fixed_size 64
		.amdhsa_kernarg_size 400
		.amdhsa_user_sgpr_count 8
		.amdhsa_user_sgpr_private_segment_buffer 1
		.amdhsa_user_sgpr_dispatch_ptr 0
		.amdhsa_user_sgpr_queue_ptr 0
		.amdhsa_user_sgpr_kernarg_segment_ptr 1
		.amdhsa_user_sgpr_dispatch_id 0
		.amdhsa_user_sgpr_flat_scratch_init 1
		.amdhsa_user_sgpr_kernarg_preload_length 0
		.amdhsa_user_sgpr_kernarg_preload_offset 0
		.amdhsa_user_sgpr_private_segment_size 0
		.amdhsa_uses_dynamic_stack 0
		.amdhsa_system_sgpr_private_segment_wavefront_offset 1
		.amdhsa_system_sgpr_workgroup_id_x 1
		.amdhsa_system_sgpr_workgroup_id_y 1
		.amdhsa_system_sgpr_workgroup_id_z 1
		.amdhsa_system_sgpr_workgroup_info 0
		.amdhsa_system_vgpr_workitem_id 0
		.amdhsa_next_free_vgpr 45
		.amdhsa_next_free_sgpr 34
		.amdhsa_accum_offset 44
		.amdhsa_reserve_vcc 1
		.amdhsa_reserve_flat_scratch 1
		.amdhsa_float_round_mode_32 0
		.amdhsa_float_round_mode_16_64 0
		.amdhsa_float_denorm_mode_32 3
		.amdhsa_float_denorm_mode_16_64 3
		.amdhsa_dx10_clamp 1
		.amdhsa_ieee_mode 1
		.amdhsa_fp16_overflow 0
		.amdhsa_tg_split 0
		.amdhsa_exception_fp_ieee_invalid_op 0
		.amdhsa_exception_fp_denorm_src 0
		.amdhsa_exception_fp_ieee_div_zero 0
		.amdhsa_exception_fp_ieee_overflow 0
		.amdhsa_exception_fp_ieee_underflow 0
		.amdhsa_exception_fp_ieee_inexact 0
		.amdhsa_exception_int_div_zero 0
	.end_amdhsa_kernel
	.section	.text._Z39paged_attention_ll4mi_QKV_mfma16_kernelIDF16_hLN4vllm18Fp8KVCacheDataTypeE1EDF16_Li32ELi64ELi256ELb0ELi4EL8MFMAType1EEvPKT_PKT0_S8_ifPKiSA_SA_iPKfiiiPfSD_PS3_PT2_iSC_SC_,"axG",@progbits,_Z39paged_attention_ll4mi_QKV_mfma16_kernelIDF16_hLN4vllm18Fp8KVCacheDataTypeE1EDF16_Li32ELi64ELi256ELb0ELi4EL8MFMAType1EEvPKT_PKT0_S8_ifPKiSA_SA_iPKfiiiPfSD_PS3_PT2_iSC_SC_,comdat
.Lfunc_end465:
	.size	_Z39paged_attention_ll4mi_QKV_mfma16_kernelIDF16_hLN4vllm18Fp8KVCacheDataTypeE1EDF16_Li32ELi64ELi256ELb0ELi4EL8MFMAType1EEvPKT_PKT0_S8_ifPKiSA_SA_iPKfiiiPfSD_PS3_PT2_iSC_SC_, .Lfunc_end465-_Z39paged_attention_ll4mi_QKV_mfma16_kernelIDF16_hLN4vllm18Fp8KVCacheDataTypeE1EDF16_Li32ELi64ELi256ELb0ELi4EL8MFMAType1EEvPKT_PKT0_S8_ifPKiSA_SA_iPKfiiiPfSD_PS3_PT2_iSC_SC_
                                        ; -- End function
	.section	.AMDGPU.csdata,"",@progbits
; Kernel info:
; codeLenInByte = 500
; NumSgprs: 40
; NumVgprs: 42
; NumAgprs: 1
; TotalNumVgprs: 45
; ScratchSize: 64
; MemoryBound: 0
; FloatMode: 240
; IeeeMode: 1
; LDSByteSize: 8192 bytes/workgroup (compile time only)
; SGPRBlocks: 4
; VGPRBlocks: 5
; NumSGPRsForWavesPerEU: 40
; NumVGPRsForWavesPerEU: 45
; AccumOffset: 44
; Occupancy: 8
; WaveLimiterHint : 1
; COMPUTE_PGM_RSRC2:SCRATCH_EN: 1
; COMPUTE_PGM_RSRC2:USER_SGPR: 8
; COMPUTE_PGM_RSRC2:TRAP_HANDLER: 0
; COMPUTE_PGM_RSRC2:TGID_X_EN: 1
; COMPUTE_PGM_RSRC2:TGID_Y_EN: 1
; COMPUTE_PGM_RSRC2:TGID_Z_EN: 1
; COMPUTE_PGM_RSRC2:TIDIG_COMP_CNT: 0
; COMPUTE_PGM_RSRC3_GFX90A:ACCUM_OFFSET: 10
; COMPUTE_PGM_RSRC3_GFX90A:TG_SPLIT: 0
	.section	.text._Z38paged_attention_ll4mi_QKV_mfma4_kernelIDF16_hLN4vllm18Fp8KVCacheDataTypeE1EDF16_Li16ELi128ELi256ELb1ELi1EEvPKT_PKT0_S7_ifPKiS9_S9_iPKfiiiPfSC_PS2_PT2_iSB_SB_,"axG",@progbits,_Z38paged_attention_ll4mi_QKV_mfma4_kernelIDF16_hLN4vllm18Fp8KVCacheDataTypeE1EDF16_Li16ELi128ELi256ELb1ELi1EEvPKT_PKT0_S7_ifPKiS9_S9_iPKfiiiPfSC_PS2_PT2_iSB_SB_,comdat
	.protected	_Z38paged_attention_ll4mi_QKV_mfma4_kernelIDF16_hLN4vllm18Fp8KVCacheDataTypeE1EDF16_Li16ELi128ELi256ELb1ELi1EEvPKT_PKT0_S7_ifPKiS9_S9_iPKfiiiPfSC_PS2_PT2_iSB_SB_ ; -- Begin function _Z38paged_attention_ll4mi_QKV_mfma4_kernelIDF16_hLN4vllm18Fp8KVCacheDataTypeE1EDF16_Li16ELi128ELi256ELb1ELi1EEvPKT_PKT0_S7_ifPKiS9_S9_iPKfiiiPfSC_PS2_PT2_iSB_SB_
	.globl	_Z38paged_attention_ll4mi_QKV_mfma4_kernelIDF16_hLN4vllm18Fp8KVCacheDataTypeE1EDF16_Li16ELi128ELi256ELb1ELi1EEvPKT_PKT0_S7_ifPKiS9_S9_iPKfiiiPfSC_PS2_PT2_iSB_SB_
	.p2align	8
	.type	_Z38paged_attention_ll4mi_QKV_mfma4_kernelIDF16_hLN4vllm18Fp8KVCacheDataTypeE1EDF16_Li16ELi128ELi256ELb1ELi1EEvPKT_PKT0_S7_ifPKiS9_S9_iPKfiiiPfSC_PS2_PT2_iSB_SB_,@function
_Z38paged_attention_ll4mi_QKV_mfma4_kernelIDF16_hLN4vllm18Fp8KVCacheDataTypeE1EDF16_Li16ELi128ELi256ELb1ELi1EEvPKT_PKT0_S7_ifPKiS9_S9_iPKfiiiPfSC_PS2_PT2_iSB_SB_: ; @_Z38paged_attention_ll4mi_QKV_mfma4_kernelIDF16_hLN4vllm18Fp8KVCacheDataTypeE1EDF16_Li16ELi128ELi256ELb1ELi1EEvPKT_PKT0_S7_ifPKiS9_S9_iPKfiiiPfSC_PS2_PT2_iSB_SB_
; %bb.0:
	s_load_dwordx2 s[12:13], s[4:5], 0x30
	s_add_u32 s0, s0, s11
	s_addc_u32 s1, s1, 0
	s_mov_b32 s28, s9
	s_mov_b64 s[6:7], 0
	s_waitcnt lgkmcnt(0)
	s_cmp_lg_u64 s[12:13], 0
	s_cselect_b64 s[14:15], -1, 0
	s_and_b64 vcc, exec, s[14:15]
	s_cbranch_vccz .LBB466_10
; %bb.1:
	s_add_i32 s16, s8, 1
	s_mov_b32 s17, 0
	s_lshl_b64 s[18:19], s[16:17], 2
	s_add_u32 s18, s12, s18
	s_mov_b32 s9, s17
	s_addc_u32 s19, s13, s19
	s_lshl_b64 s[16:17], s[8:9], 2
	s_add_u32 s16, s12, s16
	s_addc_u32 s17, s13, s17
	s_load_dword s11, s[18:19], 0x0
	s_load_dword s20, s[16:17], 0x0
	s_waitcnt lgkmcnt(0)
	s_sub_i32 s11, s11, s20
	s_cmp_eq_u32 s11, 1
	s_cselect_b64 s[16:17], -1, 0
	s_andn2_b64 vcc, exec, s[6:7]
	s_cbranch_vccnz .LBB466_3
.LBB466_2:
	s_mov_b32 s9, 0
	s_mov_b64 s[16:17], -1
.LBB466_3:
	s_andn2_b64 vcc, exec, s[16:17]
	s_cbranch_vccnz .LBB466_1180
; %bb.4:
	s_load_dword s11, s[4:5], 0x9c
	s_load_dwordx2 s[6:7], s[4:5], 0x28
	s_add_u32 s34, s4, 0x90
	s_addc_u32 s35, s5, 0
	s_lshl_b64 s[24:25], s[8:9], 2
	s_waitcnt lgkmcnt(0)
	s_and_b32 s11, s11, 0xffff
	s_add_u32 s6, s6, s24
	s_addc_u32 s7, s7, s25
	s_load_dword s9, s[6:7], 0x0
	s_mul_i32 s11, s28, s11
	s_waitcnt lgkmcnt(0)
	s_cmp_ge_i32 s11, s9
	s_cbranch_scc1 .LBB466_1180
; %bb.5:
	v_and_b32_e32 v1, 0xc0, v0
	v_add_u32_e32 v7, s11, v1
	v_lshrrev_b32_e32 v42, 6, v0
	v_cmp_le_i32_e64 s[6:7], s9, v7
                                        ; implicit-def: $sgpr27
                                        ; implicit-def: $sgpr26
	s_and_saveexec_b64 s[16:17], s[6:7]
	s_xor_b64 s[16:17], exec, s[16:17]
	s_cbranch_execz .LBB466_7
; %bb.6:
	v_mul_u32_u24_e32 v1, 20, v42
	v_or_b32_e32 v1, 0x1400, v1
	v_mov_b32_e32 v2, 0x1450
	v_mov_b32_e32 v3, 0xff7fffff
	v_mad_u32_u24 v2, v42, 20, v2
	ds_write2_b32 v1, v3, v3 offset1:1
	v_mov_b32_e32 v1, 0
	ds_write2_b32 v2, v1, v1 offset1:1
	v_mov_b32_e32 v2, 0x1408
	s_mov_b32 s26, 0xff7fffff
	s_mov_b32 s27, 0
	v_mad_u32_u24 v2, v42, 20, v2
	v_mov_b32_e32 v4, 0x1458
	v_mad_u32_u24 v4, v42, 20, v4
	ds_write2_b32 v2, v3, v3 offset1:1
	ds_write2_b32 v4, v1, v1 offset1:1
                                        ; implicit-def: $vgpr7
.LBB466_7:
	s_or_saveexec_b64 s[36:37], s[16:17]
	s_load_dwordx2 s[30:31], s[4:5], 0x68
	s_load_dwordx4 s[20:23], s[4:5], 0x58
	s_load_dword s33, s[34:35], 0x4
	s_load_dwordx4 s[16:19], s[4:5], 0x80
	v_and_b32_e32 v1, 63, v0
	v_and_b32_e32 v43, 3, v0
	v_mov_b32_e32 v5, s27
	v_mov_b32_e32 v6, s26
	;; [unrolled: 1-line block ×5, first 2 shown]
	s_xor_b64 exec, exec, s[36:37]
	s_cbranch_execz .LBB466_787
; %bb.8:
	s_add_i32 s38, s9, 15
	s_load_dwordx2 s[26:27], s[4:5], 0x20
	s_load_dword s29, s[4:5], 0x38
	s_ashr_i32 s39, s38, 31
	s_lshr_b32 s39, s39, 28
	v_add_u32_e32 v44, s11, v0
	s_add_i32 s38, s38, s39
	v_ashrrev_i32_e32 v2, 31, v44
	s_ashr_i32 s38, s38, 4
	v_lshrrev_b32_e32 v2, 28, v2
	s_add_i32 s40, s38, -1
	v_add_u32_e32 v2, v44, v2
	s_waitcnt lgkmcnt(0)
	s_mul_i32 s38, s8, s29
	s_mov_b32 s39, 0
	v_ashrrev_i32_e32 v2, 4, v2
	v_mov_b32_e32 v3, s40
	v_cmp_gt_i32_e32 vcc, s9, v44
	s_lshl_b64 s[38:39], s[38:39], 2
	v_cndmask_b32_e32 v2, v3, v2, vcc
	s_add_u32 s26, s26, s38
	v_ashrrev_i32_e32 v3, 31, v2
	s_addc_u32 s27, s27, s39
	v_lshlrev_b64 v[2:3], 2, v[2:3]
	v_mov_b32_e32 v4, s27
	v_add_co_u32_e32 v2, vcc, s26, v2
	v_addc_co_u32_e32 v3, vcc, v4, v3, vcc
	v_ashrrev_i32_e32 v4, 31, v7
	v_lshrrev_b32_e32 v4, 28, v4
	v_add_u32_e32 v4, v7, v4
	v_ashrrev_i32_e32 v12, 4, v4
	v_min_i32_e32 v4, s40, v12
	v_ashrrev_i32_e32 v5, 31, v4
	v_lshlrev_b64 v[4:5], 2, v[4:5]
	v_mov_b32_e32 v6, s27
	v_add_co_u32_e32 v4, vcc, s26, v4
	v_addc_co_u32_e32 v5, vcc, v6, v5, vcc
	v_add_u32_e32 v6, 1, v12
	v_min_i32_e32 v6, s40, v6
	v_ashrrev_i32_e32 v7, 31, v6
	v_lshlrev_b64 v[6:7], 2, v[6:7]
	v_add_co_u32_e32 v8, vcc, s26, v6
	v_add_u32_e32 v6, 2, v12
	v_mov_b32_e32 v9, s27
	v_min_i32_e32 v6, s40, v6
	v_addc_co_u32_e32 v9, vcc, v9, v7, vcc
	v_ashrrev_i32_e32 v7, 31, v6
	v_lshlrev_b64 v[6:7], 2, v[6:7]
	v_add_co_u32_e32 v10, vcc, s26, v6
	v_add_u32_e32 v6, 3, v12
	v_mov_b32_e32 v11, s27
	v_min_i32_e32 v6, s40, v6
	v_addc_co_u32_e32 v11, vcc, v11, v7, vcc
	v_ashrrev_i32_e32 v7, 31, v6
	v_lshlrev_b64 v[6:7], 2, v[6:7]
	v_mov_b32_e32 v13, s27
	v_add_co_u32_e32 v12, vcc, s26, v6
	v_addc_co_u32_e32 v13, vcc, v13, v7, vcc
	global_load_dword v6, v[2:3], off
	global_load_dword v48, v[4:5], off
	;; [unrolled: 1-line block ×5, first 2 shown]
	s_load_dwordx2 s[38:39], s[4:5], 0x8
	s_andn2_b64 vcc, exec, s[14:15]
	s_cbranch_vccnz .LBB466_11
; %bb.9:
	s_add_u32 s12, s12, s24
	s_addc_u32 s13, s13, s25
	s_load_dword s11, s[12:13], 0x0
	s_branch .LBB466_12
.LBB466_10:
	s_mov_b64 s[16:17], 0
	s_branch .LBB466_2
.LBB466_11:
	s_mov_b32 s11, s8
.LBB466_12:
	s_load_dwordx2 s[14:15], s[4:5], 0x10
	s_load_dwordx4 s[24:27], s[4:5], 0x48
	v_cmp_eq_u32_e32 vcc, 0, v43
	s_mov_b32 s41, 0
	v_mov_b32_e32 v46, 0
	v_mov_b32_e32 v2, 0
	;; [unrolled: 1-line block ×5, first 2 shown]
	s_and_saveexec_b64 s[12:13], vcc
	s_cbranch_execz .LBB466_14
; %bb.13:
	s_load_dwordx2 s[42:43], s[4:5], 0x0
	s_waitcnt lgkmcnt(0)
	s_ashr_i32 s27, s24, 31
	s_mul_hi_u32 s29, s11, s24
	s_mul_i32 s27, s11, s27
	s_add_i32 s45, s29, s27
	s_mul_i32 s44, s11, s24
	s_lshl_b64 s[44:45], s[44:45], 1
	s_add_u32 s11, s42, s44
	s_addc_u32 s24, s43, s45
	s_lshl_b32 s40, s10, 7
	s_lshl_b64 s[40:41], s[40:41], 1
	s_add_u32 s40, s11, s40
	s_addc_u32 s41, s24, s41
	v_lshlrev_b32_e32 v2, 2, v1
	global_load_dwordx4 v[2:5], v2, s[40:41]
.LBB466_14:
	s_or_b64 exec, exec, s[12:13]
	s_waitcnt lgkmcnt(0)
	s_mul_i32 s24, s10, s26
	s_add_u32 s12, s24, s38
	s_addc_u32 s13, 0, s39
	v_pk_mov_b32 v[8:9], s[12:13], s[12:13] op_sel:[0,1]
	s_waitcnt vmcnt(4)
	v_mad_i64_i32 v[6:7], s[12:13], v6, s25, v[8:9]
	v_lshlrev_b32_e32 v8, 4, v0
	v_and_b32_e32 v8, 0xf0, v8
	v_add_co_u32_e64 v38, s[12:13], v6, v8
	v_addc_co_u32_e64 v39, s[12:13], 0, v7, s[12:13]
	global_load_dwordx4 v[34:37], v[38:39], off
	global_load_dwordx4 v[30:33], v[38:39], off offset:256
	global_load_dwordx4 v[26:29], v[38:39], off offset:512
	;; [unrolled: 1-line block ×7, first 2 shown]
	v_mov_b32_e32 v45, 0
	s_and_saveexec_b64 s[12:13], vcc
	s_cbranch_execz .LBB466_16
; %bb.15:
	s_load_dwordx2 s[26:27], s[4:5], 0x40
	s_mov_b32 s11, 0
	s_lshl_b64 s[38:39], s[10:11], 2
	s_waitcnt lgkmcnt(0)
	s_add_u32 s26, s26, s38
	s_addc_u32 s27, s27, s39
	s_load_dword s11, s[26:27], 0x0
	s_waitcnt lgkmcnt(0)
	v_mov_b32_e32 v45, s11
.LBB466_16:
	s_or_b64 exec, exec, s[12:13]
	s_waitcnt vmcnt(11)
	v_mul_hi_i32 v38, v48, s25
	v_ashrrev_i32_e32 v38, 31, v38
	v_lshrrev_b32_e32 v38, 29, v38
	v_mov_b32_e32 v39, 0
	s_add_u32 s11, s14, s24
	v_mad_i64_i32 v[48:49], s[12:13], v48, s25, v[38:39]
	s_addc_u32 s14, s15, 0
	v_and_b32_e32 v38, -8, v48
	v_mov_b32_e32 v48, s14
	v_add_co_u32_e64 v38, s[12:13], s11, v38
	v_addc_co_u32_e64 v48, s[12:13], v48, v49, s[12:13]
	v_lshlrev_b32_e32 v74, 4, v1
	v_add_co_u32_e64 v56, s[12:13], v38, v74
	s_waitcnt vmcnt(10)
	v_mul_hi_i32 v38, v47, s25
	v_ashrrev_i32_e32 v38, 31, v38
	v_addc_co_u32_e64 v57, s[12:13], 0, v48, s[12:13]
	v_lshrrev_b32_e32 v38, 29, v38
	global_load_dwordx4 v[48:51], v[56:57], off
	global_load_dwordx4 v[52:55], v[56:57], off offset:1024
	v_mad_i64_i32 v[56:57], s[12:13], v47, s25, v[38:39]
	v_and_b32_e32 v38, -8, v56
	v_mov_b32_e32 v47, s14
	v_add_co_u32_e64 v38, s[12:13], s11, v38
	v_addc_co_u32_e64 v47, s[12:13], v47, v57, s[12:13]
	v_add_co_u32_e64 v64, s[12:13], v38, v74
	s_waitcnt vmcnt(11)
	v_mul_hi_i32 v38, v41, s25
	v_ashrrev_i32_e32 v38, 31, v38
	v_addc_co_u32_e64 v65, s[12:13], 0, v47, s[12:13]
	v_lshrrev_b32_e32 v38, 29, v38
	global_load_dwordx4 v[56:59], v[64:65], off
	global_load_dwordx4 v[60:63], v[64:65], off offset:1024
	v_mad_i64_i32 v[64:65], s[12:13], v41, s25, v[38:39]
	v_and_b32_e32 v38, -8, v64
	v_mov_b32_e32 v41, s14
	v_add_co_u32_e64 v38, s[12:13], s11, v38
	v_addc_co_u32_e64 v41, s[12:13], v41, v65, s[12:13]
	v_add_co_u32_e64 v72, s[12:13], v38, v74
	s_waitcnt vmcnt(12)
	v_mul_hi_i32 v38, v40, s25
	v_ashrrev_i32_e32 v38, 31, v38
	v_lshrrev_b32_e32 v38, 29, v38
	v_addc_co_u32_e64 v73, s[12:13], 0, v41, s[12:13]
	v_mad_i64_i32 v[40:41], s[12:13], v40, s25, v[38:39]
	v_and_b32_e32 v38, -8, v40
	v_mov_b32_e32 v40, s14
	v_add_co_u32_e64 v38, s[12:13], s11, v38
	v_addc_co_u32_e64 v41, s[12:13], v40, v41, s[12:13]
	v_add_co_u32_e64 v40, s[12:13], v38, v74
	v_addc_co_u32_e64 v41, s[12:13], 0, v41, s[12:13]
	global_load_dwordx4 v[64:67], v[72:73], off
	global_load_dwordx4 v[68:71], v[72:73], off offset:1024
	s_nop 0
	global_load_dwordx4 v[72:75], v[40:41], off
	global_load_dwordx4 v[76:79], v[40:41], off offset:1024
	s_waitcnt vmcnt(15)
	v_cmp_ne_u16_sdwa s[12:13], v34, v39 src0_sel:BYTE_0 src1_sel:DWORD
	s_waitcnt vmcnt(7)
	buffer_store_dword v49, off, s[0:3], 0 offset:4
	buffer_store_dword v48, off, s[0:3], 0
	buffer_store_dword v51, off, s[0:3], 0 offset:12
	buffer_store_dword v50, off, s[0:3], 0 offset:8
	s_waitcnt vmcnt(10)
	buffer_store_dword v53, off, s[0:3], 0 offset:68
	buffer_store_dword v52, off, s[0:3], 0 offset:64
	buffer_store_dword v55, off, s[0:3], 0 offset:76
	buffer_store_dword v54, off, s[0:3], 0 offset:72
	s_waitcnt vmcnt(13)
	buffer_store_dword v57, off, s[0:3], 0 offset:20
	buffer_store_dword v56, off, s[0:3], 0 offset:16
	;; [unrolled: 5-line block ×7, first 2 shown]
	buffer_store_dword v79, off, s[0:3], 0 offset:124
	buffer_store_dword v78, off, s[0:3], 0 offset:120
	s_and_saveexec_b64 s[14:15], s[12:13]
	s_cbranch_execz .LBB466_22
; %bb.17:
	s_movk_i32 s11, 0x80
	v_cmp_ne_u16_sdwa s[12:13], v34, s11 src0_sel:BYTE_0 src1_sel:DWORD
	v_bfrev_b32_e32 v46, 1
	s_and_saveexec_b64 s[24:25], s[12:13]
	s_cbranch_execz .LBB466_21
; %bb.18:
	s_movk_i32 s11, 0x7f
	v_and_b32_e32 v38, 0x7f, v34
	v_cmp_ne_u32_e64 s[12:13], s11, v38
	v_mov_b32_e32 v46, 0x7f800001
	s_and_saveexec_b64 s[26:27], s[12:13]
	s_cbranch_execz .LBB466_20
; %bb.19:
	v_and_b32_e32 v40, 7, v34
	v_ffbh_u32_e32 v40, v40
	v_min_u32_e32 v40, 32, v40
	v_lshrrev_b32_e32 v41, 3, v38
	v_subrev_u32_e32 v46, 28, v40
	v_sub_u32_e32 v40, 29, v40
	v_cmp_gt_u32_e64 s[12:13], 8, v38
	v_cndmask_b32_e64 v38, v41, v40, s[12:13]
	v_cndmask_b32_e64 v40, 0, v46, s[12:13]
	v_lshlrev_b64 v[40:41], v40, v[34:35]
	v_lshlrev_b32_e32 v40, 20, v40
	v_lshlrev_b32_e32 v41, 24, v34
	v_bfrev_b32_e32 v46, 60
	v_and_b32_e32 v40, 0x700000, v40
	v_and_b32_e32 v41, 0x80000000, v41
	v_lshl_add_u32 v38, v38, 23, v46
	v_or3_b32 v46, v41, v38, v40
.LBB466_20:
	s_or_b64 exec, exec, s[26:27]
.LBB466_21:
	s_or_b64 exec, exec, s[24:25]
.LBB466_22:
	s_or_b64 exec, exec, s[14:15]
	v_lshrrev_b16_e32 v38, 8, v34
	v_cmp_ne_u16_e64 s[12:13], 0, v38
	v_mov_b32_e32 v47, 0
	s_and_saveexec_b64 s[14:15], s[12:13]
	s_cbranch_execz .LBB466_28
; %bb.23:
	s_movk_i32 s11, 0x80
	v_cmp_ne_u16_e64 s[12:13], s11, v38
	v_bfrev_b32_e32 v47, 1
	s_and_saveexec_b64 s[24:25], s[12:13]
	s_cbranch_execz .LBB466_27
; %bb.24:
	s_movk_i32 s11, 0x7f
	v_and_b32_e32 v40, 0x7f, v38
	v_cmp_ne_u32_e64 s[12:13], s11, v40
	v_mov_b32_e32 v47, 0x7f800001
	s_and_saveexec_b64 s[26:27], s[12:13]
	s_cbranch_execz .LBB466_26
; %bb.25:
	v_and_b32_e32 v41, 7, v38
	v_ffbh_u32_e32 v48, v41
	v_min_u32_e32 v50, 32, v48
	v_subrev_u32_e32 v48, 28, v50
	v_lshlrev_b64 v[48:49], v48, v[38:39]
	v_lshrrev_b32_e32 v47, 3, v40
	v_sub_u32_e32 v38, 29, v50
	v_and_b32_e32 v48, 7, v48
	v_cmp_gt_u32_e64 s[12:13], 8, v40
	v_cndmask_b32_e64 v38, v47, v38, s[12:13]
	v_cndmask_b32_e64 v40, v41, v48, s[12:13]
	v_lshlrev_b32_e32 v41, 16, v34
	v_bfrev_b32_e32 v47, 60
	v_lshlrev_b32_e32 v40, 20, v40
	v_and_b32_e32 v41, 0x80000000, v41
	v_lshl_add_u32 v38, v38, 23, v47
	v_or3_b32 v47, v41, v38, v40
.LBB466_26:
	s_or_b64 exec, exec, s[26:27]
.LBB466_27:
	s_or_b64 exec, exec, s[24:25]
.LBB466_28:
	s_or_b64 exec, exec, s[14:15]
	s_movk_i32 s11, 0xff
	v_and_b32_sdwa v40, v34, s11 dst_sel:DWORD dst_unused:UNUSED_PAD src0_sel:WORD_1 src1_sel:DWORD
	v_lshrrev_b32_e32 v38, 16, v34
	v_cmp_ne_u16_e64 s[12:13], 0, v40
	s_and_saveexec_b64 s[14:15], s[12:13]
	s_cbranch_execz .LBB466_34
; %bb.29:
	s_movk_i32 s11, 0x80
	v_cmp_ne_u16_e64 s[12:13], s11, v40
	v_bfrev_b32_e32 v39, 1
	s_and_saveexec_b64 s[24:25], s[12:13]
	s_cbranch_execz .LBB466_33
; %bb.30:
	v_bfe_u32 v40, v34, 16, 7
	s_movk_i32 s11, 0x7f
	v_cmp_ne_u32_e64 s[12:13], s11, v40
	v_mov_b32_e32 v39, 0x7f800001
	s_and_saveexec_b64 s[26:27], s[12:13]
	s_cbranch_execz .LBB466_32
; %bb.31:
	v_and_b32_e32 v41, 7, v38
	v_ffbh_u32_e32 v39, v41
	v_min_u32_e32 v49, 32, v39
	v_subrev_u32_e32 v39, 28, v49
	v_lshlrev_b64 v[38:39], v39, v[38:39]
	v_lshrrev_b32_e32 v48, 3, v40
	v_sub_u32_e32 v39, 29, v49
	v_and_b32_e32 v38, 7, v38
	v_cmp_gt_u32_e64 s[12:13], 8, v40
	v_mov_b32_e32 v40, 24
	v_cndmask_b32_e64 v39, v48, v39, s[12:13]
	v_cndmask_b32_e64 v38, v41, v38, s[12:13]
	v_lshlrev_b32_sdwa v40, v40, v34 dst_sel:DWORD dst_unused:UNUSED_PAD src0_sel:DWORD src1_sel:WORD_1
	v_bfrev_b32_e32 v41, 60
	v_lshlrev_b32_e32 v38, 20, v38
	v_and_b32_e32 v40, 0x80000000, v40
	v_lshl_add_u32 v39, v39, 23, v41
	v_or3_b32 v39, v40, v39, v38
.LBB466_32:
	s_or_b64 exec, exec, s[26:27]
.LBB466_33:
	s_or_b64 exec, exec, s[24:25]
.LBB466_34:
	s_or_b64 exec, exec, s[14:15]
	s_mov_b32 s11, 0xffffff
	v_cmp_lt_u32_e64 s[12:13], s11, v34
	v_mov_b32_e32 v41, 0
	v_mov_b32_e32 v48, 0
	s_and_saveexec_b64 s[14:15], s[12:13]
	s_cbranch_execz .LBB466_40
; %bb.35:
	v_lshrrev_b32_e32 v38, 24, v34
	s_movk_i32 s11, 0x80
	v_cmp_ne_u32_e64 s[12:13], s11, v38
	v_bfrev_b32_e32 v48, 1
	s_and_saveexec_b64 s[24:25], s[12:13]
	s_cbranch_execz .LBB466_39
; %bb.36:
	v_bfe_u32 v40, v34, 24, 7
	s_movk_i32 s11, 0x7f
	v_cmp_ne_u32_e64 s[12:13], s11, v40
	v_mov_b32_e32 v48, 0x7f800001
	s_and_saveexec_b64 s[26:27], s[12:13]
	s_cbranch_execz .LBB466_38
; %bb.37:
	v_and_b32_e32 v50, 7, v38
	v_ffbh_u32_e32 v48, v50
	v_min_u32_e32 v52, 32, v48
	v_subrev_u32_e32 v48, 28, v52
	v_lshlrev_b64 v[48:49], v48, v[38:39]
	v_lshrrev_b32_e32 v51, 3, v40
	v_sub_u32_e32 v49, 29, v52
	v_and_b32_e32 v48, 7, v48
	v_cmp_gt_u32_e64 s[12:13], 8, v40
	v_cndmask_b32_e64 v40, v51, v49, s[12:13]
	v_cndmask_b32_e64 v48, v50, v48, s[12:13]
	v_lshlrev_b32_e32 v38, 24, v38
	v_bfrev_b32_e32 v49, 60
	v_lshlrev_b32_e32 v48, 20, v48
	v_and_b32_e32 v38, 0x80000000, v38
	v_lshl_add_u32 v40, v40, 23, v49
	v_or3_b32 v48, v38, v40, v48
.LBB466_38:
	s_or_b64 exec, exec, s[26:27]
.LBB466_39:
	s_or_b64 exec, exec, s[24:25]
.LBB466_40:
	s_or_b64 exec, exec, s[14:15]
	v_mov_b32_e32 v40, v35
	v_cmp_ne_u16_sdwa s[12:13], v35, v41 src0_sel:BYTE_0 src1_sel:DWORD
	s_and_saveexec_b64 s[14:15], s[12:13]
	s_cbranch_execz .LBB466_46
; %bb.41:
	s_movk_i32 s11, 0x80
	v_cmp_ne_u16_sdwa s[12:13], v35, s11 src0_sel:BYTE_0 src1_sel:DWORD
	v_bfrev_b32_e32 v38, 1
	s_and_saveexec_b64 s[24:25], s[12:13]
	s_cbranch_execz .LBB466_45
; %bb.42:
	s_movk_i32 s11, 0x7f
	v_and_b32_e32 v49, 0x7f, v35
	v_cmp_ne_u32_e64 s[12:13], s11, v49
	v_mov_b32_e32 v38, 0x7f800001
	s_and_saveexec_b64 s[26:27], s[12:13]
	s_cbranch_execz .LBB466_44
; %bb.43:
	v_and_b32_e32 v38, 7, v35
	v_ffbh_u32_e32 v38, v38
	v_min_u32_e32 v38, 32, v38
	v_subrev_u32_e32 v51, 28, v38
	v_cmp_gt_u32_e64 s[12:13], 8, v49
	v_lshrrev_b32_e32 v50, 3, v49
	v_sub_u32_e32 v38, 29, v38
	v_cndmask_b32_e64 v49, 0, v51, s[12:13]
	v_cndmask_b32_e64 v38, v50, v38, s[12:13]
	v_lshlrev_b64 v[50:51], v49, v[40:41]
	v_lshlrev_b32_e32 v41, 20, v50
	v_lshlrev_b32_e32 v49, 24, v40
	v_bfrev_b32_e32 v50, 60
	v_and_b32_e32 v41, 0x700000, v41
	v_and_b32_e32 v49, 0x80000000, v49
	v_lshl_add_u32 v38, v38, 23, v50
	v_or3_b32 v38, v49, v38, v41
.LBB466_44:
	s_or_b64 exec, exec, s[26:27]
.LBB466_45:
	s_or_b64 exec, exec, s[24:25]
	v_mov_b32_e32 v41, v38
.LBB466_46:
	s_or_b64 exec, exec, s[14:15]
	v_lshrrev_b16_e32 v38, 8, v40
	v_cmp_ne_u16_e64 s[12:13], 0, v38
	v_mov_b32_e32 v49, 0
	v_mov_b32_e32 v50, 0
	s_and_saveexec_b64 s[14:15], s[12:13]
	s_cbranch_execz .LBB466_52
; %bb.47:
	s_movk_i32 s11, 0x80
	v_cmp_ne_u16_e64 s[12:13], s11, v38
	v_bfrev_b32_e32 v50, 1
	s_and_saveexec_b64 s[24:25], s[12:13]
	s_cbranch_execz .LBB466_51
; %bb.48:
	s_movk_i32 s11, 0x7f
	v_and_b32_e32 v51, 0x7f, v38
	v_cmp_ne_u32_e64 s[12:13], s11, v51
	v_mov_b32_e32 v50, 0x7f800001
	s_and_saveexec_b64 s[26:27], s[12:13]
	s_cbranch_execz .LBB466_50
; %bb.49:
	v_and_b32_e32 v50, 7, v38
	v_ffbh_u32_e32 v52, v50
	v_min_u32_e32 v55, 32, v52
	v_subrev_u32_e32 v52, 28, v55
	v_lshlrev_b64 v[52:53], v52, v[38:39]
	v_lshrrev_b32_e32 v54, 3, v51
	v_sub_u32_e32 v38, 29, v55
	v_and_b32_e32 v52, 7, v52
	v_cmp_gt_u32_e64 s[12:13], 8, v51
	v_cndmask_b32_e64 v38, v54, v38, s[12:13]
	v_cndmask_b32_e64 v50, v50, v52, s[12:13]
	v_lshlrev_b32_e32 v40, 16, v40
	v_bfrev_b32_e32 v51, 60
	v_lshlrev_b32_e32 v50, 20, v50
	v_and_b32_e32 v40, 0x80000000, v40
	v_lshl_add_u32 v38, v38, 23, v51
	v_or3_b32 v50, v40, v38, v50
.LBB466_50:
	s_or_b64 exec, exec, s[26:27]
.LBB466_51:
	s_or_b64 exec, exec, s[24:25]
.LBB466_52:
	s_or_b64 exec, exec, s[14:15]
	s_movk_i32 s11, 0xff
	v_and_b32_sdwa v40, v35, s11 dst_sel:DWORD dst_unused:UNUSED_PAD src0_sel:WORD_1 src1_sel:DWORD
	v_lshrrev_b32_e32 v38, 16, v35
	v_cmp_ne_u16_e64 s[12:13], 0, v40
	s_and_saveexec_b64 s[14:15], s[12:13]
	s_cbranch_execz .LBB466_58
; %bb.53:
	s_movk_i32 s11, 0x80
	v_cmp_ne_u16_e64 s[12:13], s11, v40
	v_bfrev_b32_e32 v49, 1
	s_and_saveexec_b64 s[24:25], s[12:13]
	s_cbranch_execz .LBB466_57
; %bb.54:
	v_bfe_u32 v40, v35, 16, 7
	s_movk_i32 s11, 0x7f
	v_cmp_ne_u32_e64 s[12:13], s11, v40
	v_mov_b32_e32 v49, 0x7f800001
	s_and_saveexec_b64 s[26:27], s[12:13]
	s_cbranch_execz .LBB466_56
; %bb.55:
	v_and_b32_e32 v49, 7, v38
	v_ffbh_u32_e32 v52, v49
	v_min_u32_e32 v54, 32, v52
	v_subrev_u32_e32 v52, 28, v54
	v_lshlrev_b64 v[52:53], v52, v[38:39]
	v_and_b32_e32 v52, 7, v52
	v_cmp_gt_u32_e64 s[12:13], 8, v40
	v_lshrrev_b32_e32 v51, 3, v40
	v_sub_u32_e32 v38, 29, v54
	v_cndmask_b32_e64 v40, v49, v52, s[12:13]
	v_mov_b32_e32 v49, 24
	v_cndmask_b32_e64 v38, v51, v38, s[12:13]
	v_lshlrev_b32_sdwa v49, v49, v35 dst_sel:DWORD dst_unused:UNUSED_PAD src0_sel:DWORD src1_sel:WORD_1
	v_bfrev_b32_e32 v51, 60
	v_lshlrev_b32_e32 v40, 20, v40
	v_and_b32_e32 v49, 0x80000000, v49
	v_lshl_add_u32 v38, v38, 23, v51
	v_or3_b32 v49, v49, v38, v40
.LBB466_56:
	s_or_b64 exec, exec, s[26:27]
.LBB466_57:
	s_or_b64 exec, exec, s[24:25]
.LBB466_58:
	s_or_b64 exec, exec, s[14:15]
	s_mov_b32 s12, -1
	s_mov_b32 s13, 0xffffff
	v_cmp_lt_u64_e64 s[12:13], s[12:13], v[34:35]
	v_mov_b32_e32 v40, 0
	v_mov_b32_e32 v38, 0
	s_and_saveexec_b64 s[14:15], s[12:13]
	s_cbranch_execz .LBB466_64
; %bb.59:
	v_lshrrev_b32_e32 v34, 24, v35
	s_movk_i32 s11, 0x80
	v_cmp_ne_u32_e64 s[12:13], s11, v34
	v_bfrev_b32_e32 v38, 1
	s_and_saveexec_b64 s[24:25], s[12:13]
	s_cbranch_execz .LBB466_63
; %bb.60:
	v_bfe_u32 v35, v35, 24, 7
	s_movk_i32 s11, 0x7f
	v_cmp_ne_u32_e64 s[12:13], s11, v35
	v_mov_b32_e32 v38, 0x7f800001
	s_and_saveexec_b64 s[26:27], s[12:13]
	s_cbranch_execz .LBB466_62
; %bb.61:
	v_and_b32_e32 v38, 7, v34
	v_ffbh_u32_e32 v52, v38
	v_min_u32_e32 v54, 32, v52
	v_subrev_u32_e32 v52, 28, v54
	v_lshlrev_b64 v[52:53], v52, v[34:35]
	v_lshrrev_b32_e32 v51, 3, v35
	v_sub_u32_e32 v53, 29, v54
	v_and_b32_e32 v52, 7, v52
	v_cmp_gt_u32_e64 s[12:13], 8, v35
	v_cndmask_b32_e64 v35, v51, v53, s[12:13]
	v_cndmask_b32_e64 v38, v38, v52, s[12:13]
	v_lshlrev_b32_e32 v34, 24, v34
	v_bfrev_b32_e32 v51, 60
	v_lshlrev_b32_e32 v38, 20, v38
	v_and_b32_e32 v34, 0x80000000, v34
	v_lshl_add_u32 v35, v35, 23, v51
	v_or3_b32 v38, v34, v35, v38
.LBB466_62:
	s_or_b64 exec, exec, s[26:27]
.LBB466_63:
	s_or_b64 exec, exec, s[24:25]
.LBB466_64:
	s_or_b64 exec, exec, s[14:15]
	v_cvt_pkrtz_f16_f32 v34, v46, v47
	v_cvt_pkrtz_f16_f32 v35, v39, v48
	;; [unrolled: 1-line block ×4, first 2 shown]
	v_mfma_f32_4x4x4f16 a[0:3], v[2:3], v[34:35], 0 cbsz:4
	v_cmp_ne_u16_sdwa s[12:13], v36, v40 src0_sel:BYTE_0 src1_sel:DWORD
	v_mfma_f32_4x4x4f16 a[0:3], v[4:5], v[46:47], a[0:3] cbsz:4
	s_and_saveexec_b64 s[14:15], s[12:13]
	s_cbranch_execz .LBB466_70
; %bb.65:
	s_movk_i32 s11, 0x80
	v_cmp_ne_u16_sdwa s[12:13], v36, s11 src0_sel:BYTE_0 src1_sel:DWORD
	v_bfrev_b32_e32 v40, 1
	s_and_saveexec_b64 s[24:25], s[12:13]
	s_cbranch_execz .LBB466_69
; %bb.66:
	s_movk_i32 s11, 0x7f
	v_and_b32_e32 v34, 0x7f, v36
	v_cmp_ne_u32_e64 s[12:13], s11, v34
	v_mov_b32_e32 v40, 0x7f800001
	s_and_saveexec_b64 s[26:27], s[12:13]
	s_cbranch_execz .LBB466_68
; %bb.67:
	v_and_b32_e32 v35, 7, v36
	v_ffbh_u32_e32 v35, v35
	v_min_u32_e32 v35, 32, v35
	v_subrev_u32_e32 v39, 28, v35
	v_cmp_gt_u32_e64 s[12:13], 8, v34
	v_lshrrev_b32_e32 v38, 3, v34
	v_sub_u32_e32 v35, 29, v35
	v_cndmask_b32_e64 v34, 0, v39, s[12:13]
	v_cndmask_b32_e64 v38, v38, v35, s[12:13]
	v_lshlrev_b64 v[34:35], v34, v[36:37]
	v_lshlrev_b32_e32 v34, 20, v34
	v_lshlrev_b32_e32 v35, 24, v36
	v_bfrev_b32_e32 v39, 60
	v_and_b32_e32 v34, 0x700000, v34
	v_and_b32_e32 v35, 0x80000000, v35
	v_lshl_add_u32 v38, v38, 23, v39
	v_or3_b32 v40, v35, v38, v34
.LBB466_68:
	s_or_b64 exec, exec, s[26:27]
.LBB466_69:
	s_or_b64 exec, exec, s[24:25]
.LBB466_70:
	s_or_b64 exec, exec, s[14:15]
	v_lshrrev_b16_e32 v34, 8, v36
	v_cmp_ne_u16_e64 s[12:13], 0, v34
	v_mov_b32_e32 v39, 0
	v_mov_b32_e32 v41, 0
	s_and_saveexec_b64 s[14:15], s[12:13]
	s_cbranch_execz .LBB466_76
; %bb.71:
	s_movk_i32 s11, 0x80
	v_cmp_ne_u16_e64 s[12:13], s11, v34
	v_bfrev_b32_e32 v41, 1
	s_and_saveexec_b64 s[24:25], s[12:13]
	s_cbranch_execz .LBB466_75
; %bb.72:
	s_movk_i32 s11, 0x7f
	v_and_b32_e32 v35, 0x7f, v34
	v_cmp_ne_u32_e64 s[12:13], s11, v35
	v_mov_b32_e32 v41, 0x7f800001
	s_and_saveexec_b64 s[26:27], s[12:13]
	s_cbranch_execz .LBB466_74
; %bb.73:
	v_and_b32_e32 v38, 7, v34
	v_ffbh_u32_e32 v46, v38
	v_min_u32_e32 v48, 32, v46
	v_subrev_u32_e32 v46, 28, v48
	v_lshlrev_b64 v[46:47], v46, v[34:35]
	v_lshrrev_b32_e32 v41, 3, v35
	v_sub_u32_e32 v34, 29, v48
	v_and_b32_e32 v46, 7, v46
	v_cmp_gt_u32_e64 s[12:13], 8, v35
	v_cndmask_b32_e64 v34, v41, v34, s[12:13]
	v_cndmask_b32_e64 v35, v38, v46, s[12:13]
	v_lshlrev_b32_e32 v38, 16, v36
	v_bfrev_b32_e32 v41, 60
	v_lshlrev_b32_e32 v35, 20, v35
	v_and_b32_e32 v38, 0x80000000, v38
	v_lshl_add_u32 v34, v34, 23, v41
	v_or3_b32 v41, v38, v34, v35
.LBB466_74:
	s_or_b64 exec, exec, s[26:27]
.LBB466_75:
	s_or_b64 exec, exec, s[24:25]
.LBB466_76:
	s_or_b64 exec, exec, s[14:15]
	s_movk_i32 s11, 0xff
	v_and_b32_sdwa v35, v36, s11 dst_sel:DWORD dst_unused:UNUSED_PAD src0_sel:WORD_1 src1_sel:DWORD
	v_lshrrev_b32_e32 v34, 16, v36
	v_cmp_ne_u16_e64 s[12:13], 0, v35
	s_and_saveexec_b64 s[14:15], s[12:13]
	s_cbranch_execz .LBB466_82
; %bb.77:
	s_movk_i32 s11, 0x80
	v_cmp_ne_u16_e64 s[12:13], s11, v35
	v_bfrev_b32_e32 v39, 1
	s_and_saveexec_b64 s[24:25], s[12:13]
	s_cbranch_execz .LBB466_81
; %bb.78:
	v_bfe_u32 v35, v36, 16, 7
	s_movk_i32 s11, 0x7f
	v_cmp_ne_u32_e64 s[12:13], s11, v35
	v_mov_b32_e32 v39, 0x7f800001
	s_and_saveexec_b64 s[26:27], s[12:13]
	s_cbranch_execz .LBB466_80
; %bb.79:
	v_and_b32_e32 v46, 7, v34
	v_ffbh_u32_e32 v38, v46
	v_min_u32_e32 v48, 32, v38
	v_subrev_u32_e32 v38, 28, v48
	v_lshlrev_b64 v[38:39], v38, v[34:35]
	v_and_b32_e32 v38, 7, v38
	v_cmp_gt_u32_e64 s[12:13], 8, v35
	v_lshrrev_b32_e32 v47, 3, v35
	v_sub_u32_e32 v34, 29, v48
	v_cndmask_b32_e64 v35, v46, v38, s[12:13]
	v_mov_b32_e32 v38, 24
	v_cndmask_b32_e64 v34, v47, v34, s[12:13]
	v_lshlrev_b32_sdwa v38, v38, v36 dst_sel:DWORD dst_unused:UNUSED_PAD src0_sel:DWORD src1_sel:WORD_1
	v_bfrev_b32_e32 v39, 60
	v_lshlrev_b32_e32 v35, 20, v35
	v_and_b32_e32 v38, 0x80000000, v38
	v_lshl_add_u32 v34, v34, 23, v39
	v_or3_b32 v39, v38, v34, v35
.LBB466_80:
	s_or_b64 exec, exec, s[26:27]
.LBB466_81:
	s_or_b64 exec, exec, s[24:25]
.LBB466_82:
	s_or_b64 exec, exec, s[14:15]
	s_mov_b32 s11, 0xffffff
	v_cmp_lt_u32_e64 s[12:13], s11, v36
	v_mov_b32_e32 v35, 0
	v_mov_b32_e32 v46, 0
	s_and_saveexec_b64 s[14:15], s[12:13]
	s_cbranch_execz .LBB466_88
; %bb.83:
	v_lshrrev_b32_e32 v34, 24, v36
	s_movk_i32 s11, 0x80
	v_cmp_ne_u32_e64 s[12:13], s11, v34
	v_bfrev_b32_e32 v46, 1
	s_and_saveexec_b64 s[24:25], s[12:13]
	s_cbranch_execz .LBB466_87
; %bb.84:
	v_bfe_u32 v38, v36, 24, 7
	s_movk_i32 s11, 0x7f
	v_cmp_ne_u32_e64 s[12:13], s11, v38
	v_mov_b32_e32 v46, 0x7f800001
	s_and_saveexec_b64 s[26:27], s[12:13]
	s_cbranch_execz .LBB466_86
; %bb.85:
	v_and_b32_e32 v48, 7, v34
	v_ffbh_u32_e32 v46, v48
	v_min_u32_e32 v50, 32, v46
	v_subrev_u32_e32 v46, 28, v50
	v_lshlrev_b64 v[46:47], v46, v[34:35]
	v_lshrrev_b32_e32 v49, 3, v38
	v_sub_u32_e32 v47, 29, v50
	v_and_b32_e32 v46, 7, v46
	v_cmp_gt_u32_e64 s[12:13], 8, v38
	v_cndmask_b32_e64 v38, v49, v47, s[12:13]
	v_cndmask_b32_e64 v46, v48, v46, s[12:13]
	v_lshlrev_b32_e32 v34, 24, v34
	v_bfrev_b32_e32 v47, 60
	v_lshlrev_b32_e32 v46, 20, v46
	v_and_b32_e32 v34, 0x80000000, v34
	v_lshl_add_u32 v38, v38, 23, v47
	v_or3_b32 v46, v34, v38, v46
.LBB466_86:
	s_or_b64 exec, exec, s[26:27]
.LBB466_87:
	s_or_b64 exec, exec, s[24:25]
.LBB466_88:
	s_or_b64 exec, exec, s[14:15]
	v_mov_b32_e32 v34, v37
	v_cmp_ne_u16_sdwa s[12:13], v37, v35 src0_sel:BYTE_0 src1_sel:DWORD
	s_and_saveexec_b64 s[14:15], s[12:13]
	s_cbranch_execz .LBB466_94
; %bb.89:
	s_movk_i32 s11, 0x80
	v_cmp_ne_u16_sdwa s[12:13], v37, s11 src0_sel:BYTE_0 src1_sel:DWORD
	v_bfrev_b32_e32 v38, 1
	s_and_saveexec_b64 s[24:25], s[12:13]
	s_cbranch_execz .LBB466_93
; %bb.90:
	s_movk_i32 s11, 0x7f
	v_and_b32_e32 v47, 0x7f, v37
	v_cmp_ne_u32_e64 s[12:13], s11, v47
	v_mov_b32_e32 v38, 0x7f800001
	s_and_saveexec_b64 s[26:27], s[12:13]
	s_cbranch_execz .LBB466_92
; %bb.91:
	v_and_b32_e32 v38, 7, v37
	v_ffbh_u32_e32 v38, v38
	v_min_u32_e32 v38, 32, v38
	v_subrev_u32_e32 v49, 28, v38
	v_cmp_gt_u32_e64 s[12:13], 8, v47
	v_lshrrev_b32_e32 v48, 3, v47
	v_sub_u32_e32 v38, 29, v38
	v_cndmask_b32_e64 v47, 0, v49, s[12:13]
	v_cndmask_b32_e64 v38, v48, v38, s[12:13]
	v_lshlrev_b64 v[48:49], v47, v[34:35]
	v_lshlrev_b32_e32 v35, 20, v48
	v_lshlrev_b32_e32 v47, 24, v34
	v_bfrev_b32_e32 v48, 60
	v_and_b32_e32 v35, 0x700000, v35
	v_and_b32_e32 v47, 0x80000000, v47
	v_lshl_add_u32 v38, v38, 23, v48
	v_or3_b32 v38, v47, v38, v35
.LBB466_92:
	s_or_b64 exec, exec, s[26:27]
.LBB466_93:
	s_or_b64 exec, exec, s[24:25]
	v_mov_b32_e32 v35, v38
.LBB466_94:
	s_or_b64 exec, exec, s[14:15]
	v_lshrrev_b16_e32 v38, 8, v34
	v_cmp_ne_u16_e64 s[12:13], 0, v38
	v_mov_b32_e32 v47, 0
	v_mov_b32_e32 v48, 0
	s_and_saveexec_b64 s[14:15], s[12:13]
	s_cbranch_execz .LBB466_100
; %bb.95:
	s_movk_i32 s11, 0x80
	v_cmp_ne_u16_e64 s[12:13], s11, v38
	v_bfrev_b32_e32 v48, 1
	s_and_saveexec_b64 s[24:25], s[12:13]
	s_cbranch_execz .LBB466_99
; %bb.96:
	s_movk_i32 s11, 0x7f
	v_and_b32_e32 v49, 0x7f, v38
	v_cmp_ne_u32_e64 s[12:13], s11, v49
	v_mov_b32_e32 v48, 0x7f800001
	s_and_saveexec_b64 s[26:27], s[12:13]
	s_cbranch_execz .LBB466_98
; %bb.97:
	v_and_b32_e32 v48, 7, v38
	v_ffbh_u32_e32 v50, v48
	v_min_u32_e32 v53, 32, v50
	v_subrev_u32_e32 v50, 28, v53
	v_lshlrev_b64 v[50:51], v50, v[38:39]
	v_lshrrev_b32_e32 v52, 3, v49
	v_sub_u32_e32 v38, 29, v53
	v_and_b32_e32 v50, 7, v50
	v_cmp_gt_u32_e64 s[12:13], 8, v49
	v_cndmask_b32_e64 v38, v52, v38, s[12:13]
	v_cndmask_b32_e64 v48, v48, v50, s[12:13]
	v_lshlrev_b32_e32 v34, 16, v34
	v_bfrev_b32_e32 v49, 60
	v_lshlrev_b32_e32 v48, 20, v48
	v_and_b32_e32 v34, 0x80000000, v34
	v_lshl_add_u32 v38, v38, 23, v49
	v_or3_b32 v48, v34, v38, v48
.LBB466_98:
	s_or_b64 exec, exec, s[26:27]
.LBB466_99:
	s_or_b64 exec, exec, s[24:25]
.LBB466_100:
	s_or_b64 exec, exec, s[14:15]
	s_movk_i32 s11, 0xff
	v_and_b32_sdwa v38, v37, s11 dst_sel:DWORD dst_unused:UNUSED_PAD src0_sel:WORD_1 src1_sel:DWORD
	v_lshrrev_b32_e32 v34, 16, v37
	v_cmp_ne_u16_e64 s[12:13], 0, v38
	s_and_saveexec_b64 s[14:15], s[12:13]
	s_cbranch_execz .LBB466_106
; %bb.101:
	s_movk_i32 s11, 0x80
	v_cmp_ne_u16_e64 s[12:13], s11, v38
	v_bfrev_b32_e32 v47, 1
	s_and_saveexec_b64 s[24:25], s[12:13]
	s_cbranch_execz .LBB466_105
; %bb.102:
	v_bfe_u32 v38, v37, 16, 7
	s_movk_i32 s11, 0x7f
	v_cmp_ne_u32_e64 s[12:13], s11, v38
	v_mov_b32_e32 v47, 0x7f800001
	s_and_saveexec_b64 s[26:27], s[12:13]
	s_cbranch_execz .LBB466_104
; %bb.103:
	v_and_b32_e32 v47, 7, v34
	v_ffbh_u32_e32 v50, v47
	v_min_u32_e32 v52, 32, v50
	v_subrev_u32_e32 v50, 28, v52
	v_lshlrev_b64 v[50:51], v50, v[34:35]
	v_and_b32_e32 v50, 7, v50
	v_cmp_gt_u32_e64 s[12:13], 8, v38
	v_lshrrev_b32_e32 v49, 3, v38
	v_sub_u32_e32 v34, 29, v52
	v_cndmask_b32_e64 v38, v47, v50, s[12:13]
	v_mov_b32_e32 v47, 24
	v_cndmask_b32_e64 v34, v49, v34, s[12:13]
	v_lshlrev_b32_sdwa v47, v47, v37 dst_sel:DWORD dst_unused:UNUSED_PAD src0_sel:DWORD src1_sel:WORD_1
	v_bfrev_b32_e32 v49, 60
	v_lshlrev_b32_e32 v38, 20, v38
	v_and_b32_e32 v47, 0x80000000, v47
	v_lshl_add_u32 v34, v34, 23, v49
	v_or3_b32 v47, v47, v34, v38
.LBB466_104:
	s_or_b64 exec, exec, s[26:27]
.LBB466_105:
	s_or_b64 exec, exec, s[24:25]
.LBB466_106:
	s_or_b64 exec, exec, s[14:15]
	s_mov_b32 s12, -1
	s_mov_b32 s13, 0xffffff
	v_cmp_lt_u64_e64 s[12:13], s[12:13], v[36:37]
	v_mov_b32_e32 v38, 0
	v_mov_b32_e32 v36, 0
	s_and_saveexec_b64 s[14:15], s[12:13]
	s_cbranch_execz .LBB466_112
; %bb.107:
	v_lshrrev_b32_e32 v34, 24, v37
	s_movk_i32 s11, 0x80
	v_cmp_ne_u32_e64 s[12:13], s11, v34
	v_bfrev_b32_e32 v36, 1
	s_and_saveexec_b64 s[24:25], s[12:13]
	s_cbranch_execz .LBB466_111
; %bb.108:
	v_bfe_u32 v37, v37, 24, 7
	s_movk_i32 s11, 0x7f
	v_cmp_ne_u32_e64 s[12:13], s11, v37
	v_mov_b32_e32 v36, 0x7f800001
	s_and_saveexec_b64 s[26:27], s[12:13]
	s_cbranch_execz .LBB466_110
; %bb.109:
	v_and_b32_e32 v36, 7, v34
	v_ffbh_u32_e32 v50, v36
	v_min_u32_e32 v52, 32, v50
	v_subrev_u32_e32 v50, 28, v52
	v_lshlrev_b64 v[50:51], v50, v[34:35]
	v_lshrrev_b32_e32 v49, 3, v37
	v_sub_u32_e32 v51, 29, v52
	v_and_b32_e32 v50, 7, v50
	v_cmp_gt_u32_e64 s[12:13], 8, v37
	v_cndmask_b32_e64 v37, v49, v51, s[12:13]
	v_cndmask_b32_e64 v36, v36, v50, s[12:13]
	v_lshlrev_b32_e32 v34, 24, v34
	v_bfrev_b32_e32 v49, 60
	v_lshlrev_b32_e32 v36, 20, v36
	v_and_b32_e32 v34, 0x80000000, v34
	v_lshl_add_u32 v37, v37, 23, v49
	v_or3_b32 v36, v34, v37, v36
.LBB466_110:
	s_or_b64 exec, exec, s[26:27]
.LBB466_111:
	s_or_b64 exec, exec, s[24:25]
.LBB466_112:
	s_or_b64 exec, exec, s[14:15]
	v_cvt_pkrtz_f16_f32 v40, v40, v41
	v_cvt_pkrtz_f16_f32 v41, v39, v46
	v_cvt_pkrtz_f16_f32 v34, v35, v48
	v_cvt_pkrtz_f16_f32 v35, v47, v36
	v_mfma_f32_4x4x4f16 a[0:3], v[2:3], v[40:41], a[0:3] cbsz:4 abid:1
	v_cmp_ne_u16_sdwa s[12:13], v30, v38 src0_sel:BYTE_0 src1_sel:DWORD
	v_mfma_f32_4x4x4f16 a[0:3], v[4:5], v[34:35], a[0:3] cbsz:4 abid:1
	s_and_saveexec_b64 s[14:15], s[12:13]
	s_cbranch_execz .LBB466_118
; %bb.113:
	s_movk_i32 s11, 0x80
	v_cmp_ne_u16_sdwa s[12:13], v30, s11 src0_sel:BYTE_0 src1_sel:DWORD
	v_bfrev_b32_e32 v38, 1
	s_and_saveexec_b64 s[24:25], s[12:13]
	s_cbranch_execz .LBB466_117
; %bb.114:
	s_movk_i32 s11, 0x7f
	v_and_b32_e32 v34, 0x7f, v30
	v_cmp_ne_u32_e64 s[12:13], s11, v34
	v_mov_b32_e32 v38, 0x7f800001
	s_and_saveexec_b64 s[26:27], s[12:13]
	s_cbranch_execz .LBB466_116
; %bb.115:
	v_and_b32_e32 v35, 7, v30
	v_ffbh_u32_e32 v35, v35
	v_min_u32_e32 v35, 32, v35
	v_subrev_u32_e32 v37, 28, v35
	v_cmp_gt_u32_e64 s[12:13], 8, v34
	v_lshrrev_b32_e32 v36, 3, v34
	v_sub_u32_e32 v35, 29, v35
	v_cndmask_b32_e64 v34, 0, v37, s[12:13]
	v_cndmask_b32_e64 v36, v36, v35, s[12:13]
	v_lshlrev_b64 v[34:35], v34, v[30:31]
	v_lshlrev_b32_e32 v34, 20, v34
	v_lshlrev_b32_e32 v35, 24, v30
	v_bfrev_b32_e32 v37, 60
	v_and_b32_e32 v34, 0x700000, v34
	v_and_b32_e32 v35, 0x80000000, v35
	v_lshl_add_u32 v36, v36, 23, v37
	v_or3_b32 v38, v35, v36, v34
.LBB466_116:
	s_or_b64 exec, exec, s[26:27]
.LBB466_117:
	s_or_b64 exec, exec, s[24:25]
.LBB466_118:
	s_or_b64 exec, exec, s[14:15]
	v_lshrrev_b16_e32 v34, 8, v30
	v_cmp_ne_u16_e64 s[12:13], 0, v34
	v_mov_b32_e32 v37, 0
	v_mov_b32_e32 v39, 0
	s_and_saveexec_b64 s[14:15], s[12:13]
	s_cbranch_execz .LBB466_124
; %bb.119:
	s_movk_i32 s11, 0x80
	v_cmp_ne_u16_e64 s[12:13], s11, v34
	v_bfrev_b32_e32 v39, 1
	s_and_saveexec_b64 s[24:25], s[12:13]
	s_cbranch_execz .LBB466_123
; %bb.120:
	s_movk_i32 s11, 0x7f
	v_and_b32_e32 v35, 0x7f, v34
	v_cmp_ne_u32_e64 s[12:13], s11, v35
	v_mov_b32_e32 v39, 0x7f800001
	s_and_saveexec_b64 s[26:27], s[12:13]
	s_cbranch_execz .LBB466_122
; %bb.121:
	v_and_b32_e32 v36, 7, v34
	v_ffbh_u32_e32 v40, v36
	v_min_u32_e32 v46, 32, v40
	v_subrev_u32_e32 v40, 28, v46
	v_lshlrev_b64 v[40:41], v40, v[34:35]
	v_lshrrev_b32_e32 v39, 3, v35
	v_sub_u32_e32 v34, 29, v46
	v_and_b32_e32 v40, 7, v40
	v_cmp_gt_u32_e64 s[12:13], 8, v35
	v_cndmask_b32_e64 v34, v39, v34, s[12:13]
	v_cndmask_b32_e64 v35, v36, v40, s[12:13]
	v_lshlrev_b32_e32 v36, 16, v30
	v_bfrev_b32_e32 v39, 60
	v_lshlrev_b32_e32 v35, 20, v35
	v_and_b32_e32 v36, 0x80000000, v36
	v_lshl_add_u32 v34, v34, 23, v39
	v_or3_b32 v39, v36, v34, v35
.LBB466_122:
	s_or_b64 exec, exec, s[26:27]
.LBB466_123:
	s_or_b64 exec, exec, s[24:25]
.LBB466_124:
	s_or_b64 exec, exec, s[14:15]
	s_movk_i32 s11, 0xff
	v_and_b32_sdwa v35, v30, s11 dst_sel:DWORD dst_unused:UNUSED_PAD src0_sel:WORD_1 src1_sel:DWORD
	v_lshrrev_b32_e32 v34, 16, v30
	v_cmp_ne_u16_e64 s[12:13], 0, v35
	s_and_saveexec_b64 s[14:15], s[12:13]
	s_cbranch_execz .LBB466_130
; %bb.125:
	s_movk_i32 s11, 0x80
	v_cmp_ne_u16_e64 s[12:13], s11, v35
	v_bfrev_b32_e32 v37, 1
	s_and_saveexec_b64 s[24:25], s[12:13]
	s_cbranch_execz .LBB466_129
; %bb.126:
	v_bfe_u32 v35, v30, 16, 7
	s_movk_i32 s11, 0x7f
	v_cmp_ne_u32_e64 s[12:13], s11, v35
	v_mov_b32_e32 v37, 0x7f800001
	s_and_saveexec_b64 s[26:27], s[12:13]
	s_cbranch_execz .LBB466_128
; %bb.127:
	v_and_b32_e32 v40, 7, v34
	v_ffbh_u32_e32 v36, v40
	v_min_u32_e32 v46, 32, v36
	v_subrev_u32_e32 v36, 28, v46
	v_lshlrev_b64 v[36:37], v36, v[34:35]
	v_and_b32_e32 v36, 7, v36
	v_cmp_gt_u32_e64 s[12:13], 8, v35
	v_lshrrev_b32_e32 v41, 3, v35
	v_sub_u32_e32 v34, 29, v46
	v_cndmask_b32_e64 v35, v40, v36, s[12:13]
	v_mov_b32_e32 v36, 24
	v_cndmask_b32_e64 v34, v41, v34, s[12:13]
	v_lshlrev_b32_sdwa v36, v36, v30 dst_sel:DWORD dst_unused:UNUSED_PAD src0_sel:DWORD src1_sel:WORD_1
	v_bfrev_b32_e32 v37, 60
	v_lshlrev_b32_e32 v35, 20, v35
	v_and_b32_e32 v36, 0x80000000, v36
	v_lshl_add_u32 v34, v34, 23, v37
	v_or3_b32 v37, v36, v34, v35
.LBB466_128:
	s_or_b64 exec, exec, s[26:27]
.LBB466_129:
	s_or_b64 exec, exec, s[24:25]
.LBB466_130:
	s_or_b64 exec, exec, s[14:15]
	s_mov_b32 s11, 0xffffff
	v_cmp_lt_u32_e64 s[12:13], s11, v30
	v_mov_b32_e32 v35, 0
	v_mov_b32_e32 v40, 0
	s_and_saveexec_b64 s[14:15], s[12:13]
	s_cbranch_execz .LBB466_136
; %bb.131:
	v_lshrrev_b32_e32 v34, 24, v30
	s_movk_i32 s11, 0x80
	v_cmp_ne_u32_e64 s[12:13], s11, v34
	v_bfrev_b32_e32 v40, 1
	s_and_saveexec_b64 s[24:25], s[12:13]
	s_cbranch_execz .LBB466_135
; %bb.132:
	v_bfe_u32 v36, v30, 24, 7
	s_movk_i32 s11, 0x7f
	v_cmp_ne_u32_e64 s[12:13], s11, v36
	v_mov_b32_e32 v40, 0x7f800001
	s_and_saveexec_b64 s[26:27], s[12:13]
	s_cbranch_execz .LBB466_134
; %bb.133:
	v_and_b32_e32 v46, 7, v34
	v_ffbh_u32_e32 v40, v46
	v_min_u32_e32 v48, 32, v40
	v_subrev_u32_e32 v40, 28, v48
	v_lshlrev_b64 v[40:41], v40, v[34:35]
	v_lshrrev_b32_e32 v47, 3, v36
	v_sub_u32_e32 v41, 29, v48
	v_and_b32_e32 v40, 7, v40
	v_cmp_gt_u32_e64 s[12:13], 8, v36
	v_cndmask_b32_e64 v36, v47, v41, s[12:13]
	v_cndmask_b32_e64 v40, v46, v40, s[12:13]
	v_lshlrev_b32_e32 v34, 24, v34
	v_bfrev_b32_e32 v41, 60
	v_lshlrev_b32_e32 v40, 20, v40
	v_and_b32_e32 v34, 0x80000000, v34
	v_lshl_add_u32 v36, v36, 23, v41
	v_or3_b32 v40, v34, v36, v40
.LBB466_134:
	s_or_b64 exec, exec, s[26:27]
.LBB466_135:
	s_or_b64 exec, exec, s[24:25]
.LBB466_136:
	s_or_b64 exec, exec, s[14:15]
	v_mov_b32_e32 v34, v31
	v_cmp_ne_u16_sdwa s[12:13], v31, v35 src0_sel:BYTE_0 src1_sel:DWORD
	s_and_saveexec_b64 s[14:15], s[12:13]
	s_cbranch_execz .LBB466_142
; %bb.137:
	s_movk_i32 s11, 0x80
	v_cmp_ne_u16_sdwa s[12:13], v31, s11 src0_sel:BYTE_0 src1_sel:DWORD
	v_bfrev_b32_e32 v36, 1
	s_and_saveexec_b64 s[24:25], s[12:13]
	s_cbranch_execz .LBB466_141
; %bb.138:
	s_movk_i32 s11, 0x7f
	v_and_b32_e32 v41, 0x7f, v31
	v_cmp_ne_u32_e64 s[12:13], s11, v41
	v_mov_b32_e32 v36, 0x7f800001
	s_and_saveexec_b64 s[26:27], s[12:13]
	s_cbranch_execz .LBB466_140
; %bb.139:
	v_and_b32_e32 v36, 7, v31
	v_ffbh_u32_e32 v36, v36
	v_min_u32_e32 v36, 32, v36
	v_subrev_u32_e32 v47, 28, v36
	v_cmp_gt_u32_e64 s[12:13], 8, v41
	v_lshrrev_b32_e32 v46, 3, v41
	v_sub_u32_e32 v36, 29, v36
	v_cndmask_b32_e64 v41, 0, v47, s[12:13]
	v_cndmask_b32_e64 v36, v46, v36, s[12:13]
	v_lshlrev_b64 v[46:47], v41, v[34:35]
	v_lshlrev_b32_e32 v35, 20, v46
	v_lshlrev_b32_e32 v41, 24, v34
	v_bfrev_b32_e32 v46, 60
	v_and_b32_e32 v35, 0x700000, v35
	v_and_b32_e32 v41, 0x80000000, v41
	v_lshl_add_u32 v36, v36, 23, v46
	v_or3_b32 v36, v41, v36, v35
.LBB466_140:
	s_or_b64 exec, exec, s[26:27]
.LBB466_141:
	s_or_b64 exec, exec, s[24:25]
	v_mov_b32_e32 v35, v36
.LBB466_142:
	s_or_b64 exec, exec, s[14:15]
	v_lshrrev_b16_e32 v36, 8, v34
	v_cmp_ne_u16_e64 s[12:13], 0, v36
	v_mov_b32_e32 v41, 0
	v_mov_b32_e32 v46, 0
	s_and_saveexec_b64 s[14:15], s[12:13]
	s_cbranch_execz .LBB466_148
; %bb.143:
	s_movk_i32 s11, 0x80
	v_cmp_ne_u16_e64 s[12:13], s11, v36
	v_bfrev_b32_e32 v46, 1
	s_and_saveexec_b64 s[24:25], s[12:13]
	s_cbranch_execz .LBB466_147
; %bb.144:
	s_movk_i32 s11, 0x7f
	v_and_b32_e32 v47, 0x7f, v36
	v_cmp_ne_u32_e64 s[12:13], s11, v47
	v_mov_b32_e32 v46, 0x7f800001
	s_and_saveexec_b64 s[26:27], s[12:13]
	s_cbranch_execz .LBB466_146
; %bb.145:
	v_and_b32_e32 v46, 7, v36
	v_ffbh_u32_e32 v48, v46
	v_min_u32_e32 v51, 32, v48
	v_subrev_u32_e32 v48, 28, v51
	v_lshlrev_b64 v[48:49], v48, v[36:37]
	v_lshrrev_b32_e32 v50, 3, v47
	v_sub_u32_e32 v36, 29, v51
	v_and_b32_e32 v48, 7, v48
	v_cmp_gt_u32_e64 s[12:13], 8, v47
	v_cndmask_b32_e64 v36, v50, v36, s[12:13]
	v_cndmask_b32_e64 v46, v46, v48, s[12:13]
	v_lshlrev_b32_e32 v34, 16, v34
	v_bfrev_b32_e32 v47, 60
	v_lshlrev_b32_e32 v46, 20, v46
	v_and_b32_e32 v34, 0x80000000, v34
	v_lshl_add_u32 v36, v36, 23, v47
	v_or3_b32 v46, v34, v36, v46
.LBB466_146:
	s_or_b64 exec, exec, s[26:27]
.LBB466_147:
	s_or_b64 exec, exec, s[24:25]
.LBB466_148:
	s_or_b64 exec, exec, s[14:15]
	s_movk_i32 s11, 0xff
	v_and_b32_sdwa v36, v31, s11 dst_sel:DWORD dst_unused:UNUSED_PAD src0_sel:WORD_1 src1_sel:DWORD
	v_lshrrev_b32_e32 v34, 16, v31
	v_cmp_ne_u16_e64 s[12:13], 0, v36
	s_and_saveexec_b64 s[14:15], s[12:13]
	s_cbranch_execz .LBB466_154
; %bb.149:
	s_movk_i32 s11, 0x80
	v_cmp_ne_u16_e64 s[12:13], s11, v36
	v_bfrev_b32_e32 v41, 1
	s_and_saveexec_b64 s[24:25], s[12:13]
	s_cbranch_execz .LBB466_153
; %bb.150:
	v_bfe_u32 v36, v31, 16, 7
	s_movk_i32 s11, 0x7f
	v_cmp_ne_u32_e64 s[12:13], s11, v36
	v_mov_b32_e32 v41, 0x7f800001
	s_and_saveexec_b64 s[26:27], s[12:13]
	s_cbranch_execz .LBB466_152
; %bb.151:
	v_and_b32_e32 v41, 7, v34
	v_ffbh_u32_e32 v48, v41
	v_min_u32_e32 v50, 32, v48
	v_subrev_u32_e32 v48, 28, v50
	v_lshlrev_b64 v[48:49], v48, v[34:35]
	v_and_b32_e32 v48, 7, v48
	v_cmp_gt_u32_e64 s[12:13], 8, v36
	v_lshrrev_b32_e32 v47, 3, v36
	v_sub_u32_e32 v34, 29, v50
	v_cndmask_b32_e64 v36, v41, v48, s[12:13]
	v_mov_b32_e32 v41, 24
	v_cndmask_b32_e64 v34, v47, v34, s[12:13]
	v_lshlrev_b32_sdwa v41, v41, v31 dst_sel:DWORD dst_unused:UNUSED_PAD src0_sel:DWORD src1_sel:WORD_1
	v_bfrev_b32_e32 v47, 60
	v_lshlrev_b32_e32 v36, 20, v36
	v_and_b32_e32 v41, 0x80000000, v41
	v_lshl_add_u32 v34, v34, 23, v47
	v_or3_b32 v41, v41, v34, v36
.LBB466_152:
	s_or_b64 exec, exec, s[26:27]
.LBB466_153:
	s_or_b64 exec, exec, s[24:25]
.LBB466_154:
	s_or_b64 exec, exec, s[14:15]
	s_mov_b32 s12, -1
	s_mov_b32 s13, 0xffffff
	v_cmp_lt_u64_e64 s[12:13], s[12:13], v[30:31]
	v_mov_b32_e32 v36, 0
	v_mov_b32_e32 v34, 0
	s_and_saveexec_b64 s[14:15], s[12:13]
	s_cbranch_execz .LBB466_160
; %bb.155:
	v_lshrrev_b32_e32 v30, 24, v31
	s_movk_i32 s11, 0x80
	v_cmp_ne_u32_e64 s[12:13], s11, v30
	v_bfrev_b32_e32 v34, 1
	s_and_saveexec_b64 s[24:25], s[12:13]
	s_cbranch_execz .LBB466_159
; %bb.156:
	v_bfe_u32 v31, v31, 24, 7
	s_movk_i32 s11, 0x7f
	v_cmp_ne_u32_e64 s[12:13], s11, v31
	v_mov_b32_e32 v34, 0x7f800001
	s_and_saveexec_b64 s[26:27], s[12:13]
	s_cbranch_execz .LBB466_158
; %bb.157:
	v_and_b32_e32 v34, 7, v30
	v_ffbh_u32_e32 v48, v34
	v_min_u32_e32 v50, 32, v48
	v_subrev_u32_e32 v48, 28, v50
	v_lshlrev_b64 v[48:49], v48, v[30:31]
	v_lshrrev_b32_e32 v47, 3, v31
	v_sub_u32_e32 v49, 29, v50
	v_and_b32_e32 v48, 7, v48
	v_cmp_gt_u32_e64 s[12:13], 8, v31
	v_cndmask_b32_e64 v31, v47, v49, s[12:13]
	v_cndmask_b32_e64 v34, v34, v48, s[12:13]
	v_lshlrev_b32_e32 v30, 24, v30
	v_bfrev_b32_e32 v47, 60
	v_lshlrev_b32_e32 v34, 20, v34
	v_and_b32_e32 v30, 0x80000000, v30
	v_lshl_add_u32 v31, v31, 23, v47
	v_or3_b32 v34, v30, v31, v34
.LBB466_158:
	s_or_b64 exec, exec, s[26:27]
.LBB466_159:
	s_or_b64 exec, exec, s[24:25]
.LBB466_160:
	s_or_b64 exec, exec, s[14:15]
	v_cvt_pkrtz_f16_f32 v30, v38, v39
	v_cvt_pkrtz_f16_f32 v31, v37, v40
	;; [unrolled: 1-line block ×4, first 2 shown]
	v_mfma_f32_4x4x4f16 a[0:3], v[2:3], v[30:31], a[0:3] cbsz:4 abid:2
	v_cmp_ne_u16_sdwa s[12:13], v32, v36 src0_sel:BYTE_0 src1_sel:DWORD
	v_mfma_f32_4x4x4f16 a[0:3], v[4:5], v[38:39], a[0:3] cbsz:4 abid:2
	s_and_saveexec_b64 s[14:15], s[12:13]
	s_cbranch_execz .LBB466_166
; %bb.161:
	s_movk_i32 s11, 0x80
	v_cmp_ne_u16_sdwa s[12:13], v32, s11 src0_sel:BYTE_0 src1_sel:DWORD
	v_bfrev_b32_e32 v36, 1
	s_and_saveexec_b64 s[24:25], s[12:13]
	s_cbranch_execz .LBB466_165
; %bb.162:
	s_movk_i32 s11, 0x7f
	v_and_b32_e32 v30, 0x7f, v32
	v_cmp_ne_u32_e64 s[12:13], s11, v30
	v_mov_b32_e32 v36, 0x7f800001
	s_and_saveexec_b64 s[26:27], s[12:13]
	s_cbranch_execz .LBB466_164
; %bb.163:
	v_and_b32_e32 v31, 7, v32
	v_ffbh_u32_e32 v31, v31
	v_min_u32_e32 v31, 32, v31
	v_subrev_u32_e32 v35, 28, v31
	v_cmp_gt_u32_e64 s[12:13], 8, v30
	v_lshrrev_b32_e32 v34, 3, v30
	v_sub_u32_e32 v31, 29, v31
	v_cndmask_b32_e64 v30, 0, v35, s[12:13]
	v_cndmask_b32_e64 v34, v34, v31, s[12:13]
	v_lshlrev_b64 v[30:31], v30, v[32:33]
	v_lshlrev_b32_e32 v30, 20, v30
	v_lshlrev_b32_e32 v31, 24, v32
	v_bfrev_b32_e32 v35, 60
	v_and_b32_e32 v30, 0x700000, v30
	v_and_b32_e32 v31, 0x80000000, v31
	v_lshl_add_u32 v34, v34, 23, v35
	v_or3_b32 v36, v31, v34, v30
.LBB466_164:
	s_or_b64 exec, exec, s[26:27]
.LBB466_165:
	s_or_b64 exec, exec, s[24:25]
.LBB466_166:
	s_or_b64 exec, exec, s[14:15]
	v_lshrrev_b16_e32 v30, 8, v32
	v_cmp_ne_u16_e64 s[12:13], 0, v30
	v_mov_b32_e32 v35, 0
	v_mov_b32_e32 v37, 0
	s_and_saveexec_b64 s[14:15], s[12:13]
	s_cbranch_execz .LBB466_172
; %bb.167:
	s_movk_i32 s11, 0x80
	v_cmp_ne_u16_e64 s[12:13], s11, v30
	v_bfrev_b32_e32 v37, 1
	s_and_saveexec_b64 s[24:25], s[12:13]
	s_cbranch_execz .LBB466_171
; %bb.168:
	s_movk_i32 s11, 0x7f
	v_and_b32_e32 v31, 0x7f, v30
	v_cmp_ne_u32_e64 s[12:13], s11, v31
	v_mov_b32_e32 v37, 0x7f800001
	s_and_saveexec_b64 s[26:27], s[12:13]
	s_cbranch_execz .LBB466_170
; %bb.169:
	v_and_b32_e32 v34, 7, v30
	v_ffbh_u32_e32 v38, v34
	v_min_u32_e32 v40, 32, v38
	v_subrev_u32_e32 v38, 28, v40
	v_lshlrev_b64 v[38:39], v38, v[30:31]
	v_lshrrev_b32_e32 v37, 3, v31
	v_sub_u32_e32 v30, 29, v40
	v_and_b32_e32 v38, 7, v38
	v_cmp_gt_u32_e64 s[12:13], 8, v31
	v_cndmask_b32_e64 v30, v37, v30, s[12:13]
	v_cndmask_b32_e64 v31, v34, v38, s[12:13]
	v_lshlrev_b32_e32 v34, 16, v32
	v_bfrev_b32_e32 v37, 60
	v_lshlrev_b32_e32 v31, 20, v31
	v_and_b32_e32 v34, 0x80000000, v34
	v_lshl_add_u32 v30, v30, 23, v37
	v_or3_b32 v37, v34, v30, v31
.LBB466_170:
	s_or_b64 exec, exec, s[26:27]
.LBB466_171:
	s_or_b64 exec, exec, s[24:25]
.LBB466_172:
	s_or_b64 exec, exec, s[14:15]
	s_movk_i32 s11, 0xff
	v_and_b32_sdwa v31, v32, s11 dst_sel:DWORD dst_unused:UNUSED_PAD src0_sel:WORD_1 src1_sel:DWORD
	v_lshrrev_b32_e32 v30, 16, v32
	v_cmp_ne_u16_e64 s[12:13], 0, v31
	s_and_saveexec_b64 s[14:15], s[12:13]
	s_cbranch_execz .LBB466_178
; %bb.173:
	s_movk_i32 s11, 0x80
	v_cmp_ne_u16_e64 s[12:13], s11, v31
	v_bfrev_b32_e32 v35, 1
	s_and_saveexec_b64 s[24:25], s[12:13]
	s_cbranch_execz .LBB466_177
; %bb.174:
	v_bfe_u32 v31, v32, 16, 7
	s_movk_i32 s11, 0x7f
	v_cmp_ne_u32_e64 s[12:13], s11, v31
	v_mov_b32_e32 v35, 0x7f800001
	s_and_saveexec_b64 s[26:27], s[12:13]
	s_cbranch_execz .LBB466_176
; %bb.175:
	v_and_b32_e32 v38, 7, v30
	v_ffbh_u32_e32 v34, v38
	v_min_u32_e32 v40, 32, v34
	v_subrev_u32_e32 v34, 28, v40
	v_lshlrev_b64 v[34:35], v34, v[30:31]
	v_and_b32_e32 v34, 7, v34
	v_cmp_gt_u32_e64 s[12:13], 8, v31
	v_lshrrev_b32_e32 v39, 3, v31
	v_sub_u32_e32 v30, 29, v40
	v_cndmask_b32_e64 v31, v38, v34, s[12:13]
	v_mov_b32_e32 v34, 24
	v_cndmask_b32_e64 v30, v39, v30, s[12:13]
	v_lshlrev_b32_sdwa v34, v34, v32 dst_sel:DWORD dst_unused:UNUSED_PAD src0_sel:DWORD src1_sel:WORD_1
	v_bfrev_b32_e32 v35, 60
	v_lshlrev_b32_e32 v31, 20, v31
	v_and_b32_e32 v34, 0x80000000, v34
	v_lshl_add_u32 v30, v30, 23, v35
	v_or3_b32 v35, v34, v30, v31
.LBB466_176:
	s_or_b64 exec, exec, s[26:27]
.LBB466_177:
	s_or_b64 exec, exec, s[24:25]
.LBB466_178:
	s_or_b64 exec, exec, s[14:15]
	s_mov_b32 s11, 0xffffff
	v_cmp_lt_u32_e64 s[12:13], s11, v32
	v_mov_b32_e32 v31, 0
	v_mov_b32_e32 v38, 0
	s_and_saveexec_b64 s[14:15], s[12:13]
	s_cbranch_execz .LBB466_184
; %bb.179:
	v_lshrrev_b32_e32 v30, 24, v32
	s_movk_i32 s11, 0x80
	v_cmp_ne_u32_e64 s[12:13], s11, v30
	v_bfrev_b32_e32 v38, 1
	s_and_saveexec_b64 s[24:25], s[12:13]
	s_cbranch_execz .LBB466_183
; %bb.180:
	v_bfe_u32 v34, v32, 24, 7
	s_movk_i32 s11, 0x7f
	v_cmp_ne_u32_e64 s[12:13], s11, v34
	v_mov_b32_e32 v38, 0x7f800001
	s_and_saveexec_b64 s[26:27], s[12:13]
	s_cbranch_execz .LBB466_182
; %bb.181:
	v_and_b32_e32 v40, 7, v30
	v_ffbh_u32_e32 v38, v40
	v_min_u32_e32 v46, 32, v38
	v_subrev_u32_e32 v38, 28, v46
	v_lshlrev_b64 v[38:39], v38, v[30:31]
	v_lshrrev_b32_e32 v41, 3, v34
	v_sub_u32_e32 v39, 29, v46
	v_and_b32_e32 v38, 7, v38
	v_cmp_gt_u32_e64 s[12:13], 8, v34
	v_cndmask_b32_e64 v34, v41, v39, s[12:13]
	v_cndmask_b32_e64 v38, v40, v38, s[12:13]
	v_lshlrev_b32_e32 v30, 24, v30
	v_bfrev_b32_e32 v39, 60
	v_lshlrev_b32_e32 v38, 20, v38
	v_and_b32_e32 v30, 0x80000000, v30
	v_lshl_add_u32 v34, v34, 23, v39
	v_or3_b32 v38, v30, v34, v38
.LBB466_182:
	s_or_b64 exec, exec, s[26:27]
.LBB466_183:
	s_or_b64 exec, exec, s[24:25]
.LBB466_184:
	s_or_b64 exec, exec, s[14:15]
	v_mov_b32_e32 v30, v33
	v_cmp_ne_u16_sdwa s[12:13], v33, v31 src0_sel:BYTE_0 src1_sel:DWORD
	s_and_saveexec_b64 s[14:15], s[12:13]
	s_cbranch_execz .LBB466_190
; %bb.185:
	s_movk_i32 s11, 0x80
	v_cmp_ne_u16_sdwa s[12:13], v33, s11 src0_sel:BYTE_0 src1_sel:DWORD
	v_bfrev_b32_e32 v34, 1
	s_and_saveexec_b64 s[24:25], s[12:13]
	s_cbranch_execz .LBB466_189
; %bb.186:
	s_movk_i32 s11, 0x7f
	v_and_b32_e32 v39, 0x7f, v33
	v_cmp_ne_u32_e64 s[12:13], s11, v39
	v_mov_b32_e32 v34, 0x7f800001
	s_and_saveexec_b64 s[26:27], s[12:13]
	s_cbranch_execz .LBB466_188
; %bb.187:
	v_and_b32_e32 v34, 7, v33
	v_ffbh_u32_e32 v34, v34
	v_min_u32_e32 v34, 32, v34
	v_subrev_u32_e32 v41, 28, v34
	v_cmp_gt_u32_e64 s[12:13], 8, v39
	v_lshrrev_b32_e32 v40, 3, v39
	v_sub_u32_e32 v34, 29, v34
	v_cndmask_b32_e64 v39, 0, v41, s[12:13]
	v_cndmask_b32_e64 v34, v40, v34, s[12:13]
	v_lshlrev_b64 v[40:41], v39, v[30:31]
	v_lshlrev_b32_e32 v31, 20, v40
	v_lshlrev_b32_e32 v39, 24, v30
	v_bfrev_b32_e32 v40, 60
	v_and_b32_e32 v31, 0x700000, v31
	v_and_b32_e32 v39, 0x80000000, v39
	v_lshl_add_u32 v34, v34, 23, v40
	v_or3_b32 v34, v39, v34, v31
.LBB466_188:
	s_or_b64 exec, exec, s[26:27]
.LBB466_189:
	s_or_b64 exec, exec, s[24:25]
	v_mov_b32_e32 v31, v34
.LBB466_190:
	s_or_b64 exec, exec, s[14:15]
	v_lshrrev_b16_e32 v34, 8, v30
	v_cmp_ne_u16_e64 s[12:13], 0, v34
	v_mov_b32_e32 v39, 0
	v_mov_b32_e32 v40, 0
	s_and_saveexec_b64 s[14:15], s[12:13]
	s_cbranch_execz .LBB466_196
; %bb.191:
	s_movk_i32 s11, 0x80
	v_cmp_ne_u16_e64 s[12:13], s11, v34
	v_bfrev_b32_e32 v40, 1
	s_and_saveexec_b64 s[24:25], s[12:13]
	s_cbranch_execz .LBB466_195
; %bb.192:
	s_movk_i32 s11, 0x7f
	v_and_b32_e32 v41, 0x7f, v34
	v_cmp_ne_u32_e64 s[12:13], s11, v41
	v_mov_b32_e32 v40, 0x7f800001
	s_and_saveexec_b64 s[26:27], s[12:13]
	s_cbranch_execz .LBB466_194
; %bb.193:
	v_and_b32_e32 v40, 7, v34
	v_ffbh_u32_e32 v46, v40
	v_min_u32_e32 v49, 32, v46
	v_subrev_u32_e32 v46, 28, v49
	v_lshlrev_b64 v[46:47], v46, v[34:35]
	v_lshrrev_b32_e32 v48, 3, v41
	v_sub_u32_e32 v34, 29, v49
	v_and_b32_e32 v46, 7, v46
	v_cmp_gt_u32_e64 s[12:13], 8, v41
	v_cndmask_b32_e64 v34, v48, v34, s[12:13]
	v_cndmask_b32_e64 v40, v40, v46, s[12:13]
	v_lshlrev_b32_e32 v30, 16, v30
	v_bfrev_b32_e32 v41, 60
	v_lshlrev_b32_e32 v40, 20, v40
	v_and_b32_e32 v30, 0x80000000, v30
	v_lshl_add_u32 v34, v34, 23, v41
	v_or3_b32 v40, v30, v34, v40
.LBB466_194:
	s_or_b64 exec, exec, s[26:27]
.LBB466_195:
	s_or_b64 exec, exec, s[24:25]
.LBB466_196:
	s_or_b64 exec, exec, s[14:15]
	s_movk_i32 s11, 0xff
	v_and_b32_sdwa v34, v33, s11 dst_sel:DWORD dst_unused:UNUSED_PAD src0_sel:WORD_1 src1_sel:DWORD
	v_lshrrev_b32_e32 v30, 16, v33
	v_cmp_ne_u16_e64 s[12:13], 0, v34
	s_and_saveexec_b64 s[14:15], s[12:13]
	s_cbranch_execz .LBB466_202
; %bb.197:
	s_movk_i32 s11, 0x80
	v_cmp_ne_u16_e64 s[12:13], s11, v34
	v_bfrev_b32_e32 v39, 1
	s_and_saveexec_b64 s[24:25], s[12:13]
	s_cbranch_execz .LBB466_201
; %bb.198:
	v_bfe_u32 v34, v33, 16, 7
	s_movk_i32 s11, 0x7f
	v_cmp_ne_u32_e64 s[12:13], s11, v34
	v_mov_b32_e32 v39, 0x7f800001
	s_and_saveexec_b64 s[26:27], s[12:13]
	s_cbranch_execz .LBB466_200
; %bb.199:
	v_and_b32_e32 v39, 7, v30
	v_ffbh_u32_e32 v46, v39
	v_min_u32_e32 v48, 32, v46
	v_subrev_u32_e32 v46, 28, v48
	v_lshlrev_b64 v[46:47], v46, v[30:31]
	v_and_b32_e32 v46, 7, v46
	v_cmp_gt_u32_e64 s[12:13], 8, v34
	v_lshrrev_b32_e32 v41, 3, v34
	v_sub_u32_e32 v30, 29, v48
	v_cndmask_b32_e64 v34, v39, v46, s[12:13]
	v_mov_b32_e32 v39, 24
	v_cndmask_b32_e64 v30, v41, v30, s[12:13]
	v_lshlrev_b32_sdwa v39, v39, v33 dst_sel:DWORD dst_unused:UNUSED_PAD src0_sel:DWORD src1_sel:WORD_1
	v_bfrev_b32_e32 v41, 60
	v_lshlrev_b32_e32 v34, 20, v34
	v_and_b32_e32 v39, 0x80000000, v39
	v_lshl_add_u32 v30, v30, 23, v41
	v_or3_b32 v39, v39, v30, v34
.LBB466_200:
	s_or_b64 exec, exec, s[26:27]
.LBB466_201:
	s_or_b64 exec, exec, s[24:25]
.LBB466_202:
	s_or_b64 exec, exec, s[14:15]
	s_mov_b32 s12, -1
	s_mov_b32 s13, 0xffffff
	v_cmp_lt_u64_e64 s[12:13], s[12:13], v[32:33]
	v_mov_b32_e32 v34, 0
	v_mov_b32_e32 v32, 0
	s_and_saveexec_b64 s[14:15], s[12:13]
	s_cbranch_execz .LBB466_208
; %bb.203:
	v_lshrrev_b32_e32 v30, 24, v33
	s_movk_i32 s11, 0x80
	v_cmp_ne_u32_e64 s[12:13], s11, v30
	v_bfrev_b32_e32 v32, 1
	s_and_saveexec_b64 s[24:25], s[12:13]
	s_cbranch_execz .LBB466_207
; %bb.204:
	v_bfe_u32 v33, v33, 24, 7
	s_movk_i32 s11, 0x7f
	v_cmp_ne_u32_e64 s[12:13], s11, v33
	v_mov_b32_e32 v32, 0x7f800001
	s_and_saveexec_b64 s[26:27], s[12:13]
	s_cbranch_execz .LBB466_206
; %bb.205:
	v_and_b32_e32 v32, 7, v30
	v_ffbh_u32_e32 v46, v32
	v_min_u32_e32 v48, 32, v46
	v_subrev_u32_e32 v46, 28, v48
	v_lshlrev_b64 v[46:47], v46, v[30:31]
	v_lshrrev_b32_e32 v41, 3, v33
	v_sub_u32_e32 v47, 29, v48
	v_and_b32_e32 v46, 7, v46
	v_cmp_gt_u32_e64 s[12:13], 8, v33
	v_cndmask_b32_e64 v33, v41, v47, s[12:13]
	v_cndmask_b32_e64 v32, v32, v46, s[12:13]
	v_lshlrev_b32_e32 v30, 24, v30
	v_bfrev_b32_e32 v41, 60
	v_lshlrev_b32_e32 v32, 20, v32
	v_and_b32_e32 v30, 0x80000000, v30
	v_lshl_add_u32 v33, v33, 23, v41
	v_or3_b32 v32, v30, v33, v32
.LBB466_206:
	s_or_b64 exec, exec, s[26:27]
.LBB466_207:
	s_or_b64 exec, exec, s[24:25]
.LBB466_208:
	s_or_b64 exec, exec, s[14:15]
	v_cvt_pkrtz_f16_f32 v36, v36, v37
	v_cvt_pkrtz_f16_f32 v37, v35, v38
	;; [unrolled: 1-line block ×4, first 2 shown]
	v_mfma_f32_4x4x4f16 a[0:3], v[2:3], v[36:37], a[0:3] cbsz:4 abid:3
	v_cmp_ne_u16_sdwa s[12:13], v26, v34 src0_sel:BYTE_0 src1_sel:DWORD
	v_mfma_f32_4x4x4f16 a[0:3], v[4:5], v[30:31], a[0:3] cbsz:4 abid:3
	s_and_saveexec_b64 s[14:15], s[12:13]
	s_cbranch_execz .LBB466_214
; %bb.209:
	s_movk_i32 s11, 0x80
	v_cmp_ne_u16_sdwa s[12:13], v26, s11 src0_sel:BYTE_0 src1_sel:DWORD
	v_bfrev_b32_e32 v34, 1
	s_and_saveexec_b64 s[24:25], s[12:13]
	s_cbranch_execz .LBB466_213
; %bb.210:
	s_movk_i32 s11, 0x7f
	v_and_b32_e32 v30, 0x7f, v26
	v_cmp_ne_u32_e64 s[12:13], s11, v30
	v_mov_b32_e32 v34, 0x7f800001
	s_and_saveexec_b64 s[26:27], s[12:13]
	s_cbranch_execz .LBB466_212
; %bb.211:
	v_and_b32_e32 v31, 7, v26
	v_ffbh_u32_e32 v31, v31
	v_min_u32_e32 v31, 32, v31
	v_subrev_u32_e32 v33, 28, v31
	v_cmp_gt_u32_e64 s[12:13], 8, v30
	v_lshrrev_b32_e32 v32, 3, v30
	v_sub_u32_e32 v31, 29, v31
	v_cndmask_b32_e64 v30, 0, v33, s[12:13]
	v_cndmask_b32_e64 v32, v32, v31, s[12:13]
	v_lshlrev_b64 v[30:31], v30, v[26:27]
	v_lshlrev_b32_e32 v30, 20, v30
	v_lshlrev_b32_e32 v31, 24, v26
	v_bfrev_b32_e32 v33, 60
	v_and_b32_e32 v30, 0x700000, v30
	v_and_b32_e32 v31, 0x80000000, v31
	v_lshl_add_u32 v32, v32, 23, v33
	v_or3_b32 v34, v31, v32, v30
.LBB466_212:
	s_or_b64 exec, exec, s[26:27]
.LBB466_213:
	s_or_b64 exec, exec, s[24:25]
.LBB466_214:
	s_or_b64 exec, exec, s[14:15]
	v_lshrrev_b16_e32 v30, 8, v26
	v_cmp_ne_u16_e64 s[12:13], 0, v30
	v_mov_b32_e32 v33, 0
	v_mov_b32_e32 v35, 0
	s_and_saveexec_b64 s[14:15], s[12:13]
	s_cbranch_execz .LBB466_220
; %bb.215:
	s_movk_i32 s11, 0x80
	v_cmp_ne_u16_e64 s[12:13], s11, v30
	v_bfrev_b32_e32 v35, 1
	s_and_saveexec_b64 s[24:25], s[12:13]
	s_cbranch_execz .LBB466_219
; %bb.216:
	s_movk_i32 s11, 0x7f
	v_and_b32_e32 v31, 0x7f, v30
	v_cmp_ne_u32_e64 s[12:13], s11, v31
	v_mov_b32_e32 v35, 0x7f800001
	s_and_saveexec_b64 s[26:27], s[12:13]
	s_cbranch_execz .LBB466_218
; %bb.217:
	v_and_b32_e32 v32, 7, v30
	v_ffbh_u32_e32 v36, v32
	v_min_u32_e32 v38, 32, v36
	v_subrev_u32_e32 v36, 28, v38
	v_lshlrev_b64 v[36:37], v36, v[30:31]
	v_lshrrev_b32_e32 v35, 3, v31
	v_sub_u32_e32 v30, 29, v38
	v_and_b32_e32 v36, 7, v36
	v_cmp_gt_u32_e64 s[12:13], 8, v31
	v_cndmask_b32_e64 v30, v35, v30, s[12:13]
	v_cndmask_b32_e64 v31, v32, v36, s[12:13]
	v_lshlrev_b32_e32 v32, 16, v26
	v_bfrev_b32_e32 v35, 60
	v_lshlrev_b32_e32 v31, 20, v31
	v_and_b32_e32 v32, 0x80000000, v32
	v_lshl_add_u32 v30, v30, 23, v35
	v_or3_b32 v35, v32, v30, v31
.LBB466_218:
	s_or_b64 exec, exec, s[26:27]
.LBB466_219:
	s_or_b64 exec, exec, s[24:25]
.LBB466_220:
	s_or_b64 exec, exec, s[14:15]
	s_movk_i32 s11, 0xff
	v_and_b32_sdwa v31, v26, s11 dst_sel:DWORD dst_unused:UNUSED_PAD src0_sel:WORD_1 src1_sel:DWORD
	v_lshrrev_b32_e32 v30, 16, v26
	v_cmp_ne_u16_e64 s[12:13], 0, v31
	s_and_saveexec_b64 s[14:15], s[12:13]
	s_cbranch_execz .LBB466_226
; %bb.221:
	s_movk_i32 s11, 0x80
	v_cmp_ne_u16_e64 s[12:13], s11, v31
	v_bfrev_b32_e32 v33, 1
	s_and_saveexec_b64 s[24:25], s[12:13]
	s_cbranch_execz .LBB466_225
; %bb.222:
	v_bfe_u32 v31, v26, 16, 7
	s_movk_i32 s11, 0x7f
	v_cmp_ne_u32_e64 s[12:13], s11, v31
	v_mov_b32_e32 v33, 0x7f800001
	s_and_saveexec_b64 s[26:27], s[12:13]
	s_cbranch_execz .LBB466_224
; %bb.223:
	v_and_b32_e32 v36, 7, v30
	v_ffbh_u32_e32 v32, v36
	v_min_u32_e32 v38, 32, v32
	v_subrev_u32_e32 v32, 28, v38
	v_lshlrev_b64 v[32:33], v32, v[30:31]
	v_and_b32_e32 v32, 7, v32
	v_cmp_gt_u32_e64 s[12:13], 8, v31
	v_lshrrev_b32_e32 v37, 3, v31
	v_sub_u32_e32 v30, 29, v38
	v_cndmask_b32_e64 v31, v36, v32, s[12:13]
	v_mov_b32_e32 v32, 24
	v_cndmask_b32_e64 v30, v37, v30, s[12:13]
	v_lshlrev_b32_sdwa v32, v32, v26 dst_sel:DWORD dst_unused:UNUSED_PAD src0_sel:DWORD src1_sel:WORD_1
	v_bfrev_b32_e32 v33, 60
	v_lshlrev_b32_e32 v31, 20, v31
	v_and_b32_e32 v32, 0x80000000, v32
	v_lshl_add_u32 v30, v30, 23, v33
	v_or3_b32 v33, v32, v30, v31
.LBB466_224:
	s_or_b64 exec, exec, s[26:27]
.LBB466_225:
	s_or_b64 exec, exec, s[24:25]
.LBB466_226:
	s_or_b64 exec, exec, s[14:15]
	s_mov_b32 s11, 0xffffff
	v_cmp_lt_u32_e64 s[12:13], s11, v26
	v_mov_b32_e32 v31, 0
	v_mov_b32_e32 v36, 0
	s_and_saveexec_b64 s[14:15], s[12:13]
	s_cbranch_execz .LBB466_232
; %bb.227:
	v_lshrrev_b32_e32 v30, 24, v26
	s_movk_i32 s11, 0x80
	v_cmp_ne_u32_e64 s[12:13], s11, v30
	v_bfrev_b32_e32 v36, 1
	s_and_saveexec_b64 s[24:25], s[12:13]
	s_cbranch_execz .LBB466_231
; %bb.228:
	v_bfe_u32 v32, v26, 24, 7
	s_movk_i32 s11, 0x7f
	v_cmp_ne_u32_e64 s[12:13], s11, v32
	v_mov_b32_e32 v36, 0x7f800001
	s_and_saveexec_b64 s[26:27], s[12:13]
	s_cbranch_execz .LBB466_230
; %bb.229:
	v_and_b32_e32 v38, 7, v30
	v_ffbh_u32_e32 v36, v38
	v_min_u32_e32 v40, 32, v36
	v_subrev_u32_e32 v36, 28, v40
	v_lshlrev_b64 v[36:37], v36, v[30:31]
	v_lshrrev_b32_e32 v39, 3, v32
	v_sub_u32_e32 v37, 29, v40
	v_and_b32_e32 v36, 7, v36
	v_cmp_gt_u32_e64 s[12:13], 8, v32
	v_cndmask_b32_e64 v32, v39, v37, s[12:13]
	v_cndmask_b32_e64 v36, v38, v36, s[12:13]
	v_lshlrev_b32_e32 v30, 24, v30
	v_bfrev_b32_e32 v37, 60
	v_lshlrev_b32_e32 v36, 20, v36
	v_and_b32_e32 v30, 0x80000000, v30
	v_lshl_add_u32 v32, v32, 23, v37
	v_or3_b32 v36, v30, v32, v36
.LBB466_230:
	s_or_b64 exec, exec, s[26:27]
.LBB466_231:
	s_or_b64 exec, exec, s[24:25]
.LBB466_232:
	s_or_b64 exec, exec, s[14:15]
	v_mov_b32_e32 v30, v27
	v_cmp_ne_u16_sdwa s[12:13], v27, v31 src0_sel:BYTE_0 src1_sel:DWORD
	s_and_saveexec_b64 s[14:15], s[12:13]
	s_cbranch_execz .LBB466_238
; %bb.233:
	s_movk_i32 s11, 0x80
	v_cmp_ne_u16_sdwa s[12:13], v27, s11 src0_sel:BYTE_0 src1_sel:DWORD
	v_bfrev_b32_e32 v32, 1
	s_and_saveexec_b64 s[24:25], s[12:13]
	s_cbranch_execz .LBB466_237
; %bb.234:
	s_movk_i32 s11, 0x7f
	v_and_b32_e32 v37, 0x7f, v27
	v_cmp_ne_u32_e64 s[12:13], s11, v37
	v_mov_b32_e32 v32, 0x7f800001
	s_and_saveexec_b64 s[26:27], s[12:13]
	s_cbranch_execz .LBB466_236
; %bb.235:
	v_and_b32_e32 v32, 7, v27
	v_ffbh_u32_e32 v32, v32
	v_min_u32_e32 v32, 32, v32
	v_subrev_u32_e32 v39, 28, v32
	v_cmp_gt_u32_e64 s[12:13], 8, v37
	v_lshrrev_b32_e32 v38, 3, v37
	v_sub_u32_e32 v32, 29, v32
	v_cndmask_b32_e64 v37, 0, v39, s[12:13]
	v_cndmask_b32_e64 v32, v38, v32, s[12:13]
	v_lshlrev_b64 v[38:39], v37, v[30:31]
	v_lshlrev_b32_e32 v31, 20, v38
	v_lshlrev_b32_e32 v37, 24, v30
	v_bfrev_b32_e32 v38, 60
	v_and_b32_e32 v31, 0x700000, v31
	v_and_b32_e32 v37, 0x80000000, v37
	v_lshl_add_u32 v32, v32, 23, v38
	v_or3_b32 v32, v37, v32, v31
.LBB466_236:
	s_or_b64 exec, exec, s[26:27]
.LBB466_237:
	s_or_b64 exec, exec, s[24:25]
	v_mov_b32_e32 v31, v32
.LBB466_238:
	s_or_b64 exec, exec, s[14:15]
	v_lshrrev_b16_e32 v32, 8, v30
	v_cmp_ne_u16_e64 s[12:13], 0, v32
	v_mov_b32_e32 v37, 0
	v_mov_b32_e32 v38, 0
	s_and_saveexec_b64 s[14:15], s[12:13]
	s_cbranch_execz .LBB466_244
; %bb.239:
	s_movk_i32 s11, 0x80
	v_cmp_ne_u16_e64 s[12:13], s11, v32
	v_bfrev_b32_e32 v38, 1
	s_and_saveexec_b64 s[24:25], s[12:13]
	s_cbranch_execz .LBB466_243
; %bb.240:
	s_movk_i32 s11, 0x7f
	v_and_b32_e32 v39, 0x7f, v32
	v_cmp_ne_u32_e64 s[12:13], s11, v39
	v_mov_b32_e32 v38, 0x7f800001
	s_and_saveexec_b64 s[26:27], s[12:13]
	s_cbranch_execz .LBB466_242
; %bb.241:
	v_and_b32_e32 v38, 7, v32
	v_ffbh_u32_e32 v40, v38
	v_min_u32_e32 v47, 32, v40
	v_subrev_u32_e32 v40, 28, v47
	v_lshlrev_b64 v[40:41], v40, v[32:33]
	v_lshrrev_b32_e32 v46, 3, v39
	v_sub_u32_e32 v32, 29, v47
	v_and_b32_e32 v40, 7, v40
	v_cmp_gt_u32_e64 s[12:13], 8, v39
	v_cndmask_b32_e64 v32, v46, v32, s[12:13]
	v_cndmask_b32_e64 v38, v38, v40, s[12:13]
	v_lshlrev_b32_e32 v30, 16, v30
	v_bfrev_b32_e32 v39, 60
	v_lshlrev_b32_e32 v38, 20, v38
	v_and_b32_e32 v30, 0x80000000, v30
	v_lshl_add_u32 v32, v32, 23, v39
	v_or3_b32 v38, v30, v32, v38
.LBB466_242:
	s_or_b64 exec, exec, s[26:27]
.LBB466_243:
	s_or_b64 exec, exec, s[24:25]
.LBB466_244:
	s_or_b64 exec, exec, s[14:15]
	s_movk_i32 s11, 0xff
	v_and_b32_sdwa v32, v27, s11 dst_sel:DWORD dst_unused:UNUSED_PAD src0_sel:WORD_1 src1_sel:DWORD
	v_lshrrev_b32_e32 v30, 16, v27
	v_cmp_ne_u16_e64 s[12:13], 0, v32
	s_and_saveexec_b64 s[14:15], s[12:13]
	s_cbranch_execz .LBB466_250
; %bb.245:
	s_movk_i32 s11, 0x80
	v_cmp_ne_u16_e64 s[12:13], s11, v32
	v_bfrev_b32_e32 v37, 1
	s_and_saveexec_b64 s[24:25], s[12:13]
	s_cbranch_execz .LBB466_249
; %bb.246:
	v_bfe_u32 v32, v27, 16, 7
	s_movk_i32 s11, 0x7f
	v_cmp_ne_u32_e64 s[12:13], s11, v32
	v_mov_b32_e32 v37, 0x7f800001
	s_and_saveexec_b64 s[26:27], s[12:13]
	s_cbranch_execz .LBB466_248
; %bb.247:
	v_and_b32_e32 v37, 7, v30
	v_ffbh_u32_e32 v40, v37
	v_min_u32_e32 v46, 32, v40
	v_subrev_u32_e32 v40, 28, v46
	v_lshlrev_b64 v[40:41], v40, v[30:31]
	v_and_b32_e32 v40, 7, v40
	v_cmp_gt_u32_e64 s[12:13], 8, v32
	v_lshrrev_b32_e32 v39, 3, v32
	v_sub_u32_e32 v30, 29, v46
	v_cndmask_b32_e64 v32, v37, v40, s[12:13]
	v_mov_b32_e32 v37, 24
	v_cndmask_b32_e64 v30, v39, v30, s[12:13]
	v_lshlrev_b32_sdwa v37, v37, v27 dst_sel:DWORD dst_unused:UNUSED_PAD src0_sel:DWORD src1_sel:WORD_1
	v_bfrev_b32_e32 v39, 60
	v_lshlrev_b32_e32 v32, 20, v32
	v_and_b32_e32 v37, 0x80000000, v37
	v_lshl_add_u32 v30, v30, 23, v39
	v_or3_b32 v37, v37, v30, v32
.LBB466_248:
	s_or_b64 exec, exec, s[26:27]
.LBB466_249:
	s_or_b64 exec, exec, s[24:25]
.LBB466_250:
	s_or_b64 exec, exec, s[14:15]
	s_mov_b32 s12, -1
	s_mov_b32 s13, 0xffffff
	v_cmp_lt_u64_e64 s[12:13], s[12:13], v[26:27]
	v_mov_b32_e32 v32, 0
	v_mov_b32_e32 v30, 0
	s_and_saveexec_b64 s[14:15], s[12:13]
	s_cbranch_execz .LBB466_256
; %bb.251:
	v_lshrrev_b32_e32 v26, 24, v27
	s_movk_i32 s11, 0x80
	v_cmp_ne_u32_e64 s[12:13], s11, v26
	v_bfrev_b32_e32 v30, 1
	s_and_saveexec_b64 s[24:25], s[12:13]
	s_cbranch_execz .LBB466_255
; %bb.252:
	v_bfe_u32 v27, v27, 24, 7
	s_movk_i32 s11, 0x7f
	v_cmp_ne_u32_e64 s[12:13], s11, v27
	v_mov_b32_e32 v30, 0x7f800001
	s_and_saveexec_b64 s[26:27], s[12:13]
	s_cbranch_execz .LBB466_254
; %bb.253:
	v_and_b32_e32 v30, 7, v26
	v_ffbh_u32_e32 v40, v30
	v_min_u32_e32 v46, 32, v40
	v_subrev_u32_e32 v40, 28, v46
	v_lshlrev_b64 v[40:41], v40, v[26:27]
	v_lshrrev_b32_e32 v39, 3, v27
	v_sub_u32_e32 v41, 29, v46
	v_and_b32_e32 v40, 7, v40
	v_cmp_gt_u32_e64 s[12:13], 8, v27
	v_cndmask_b32_e64 v27, v39, v41, s[12:13]
	v_cndmask_b32_e64 v30, v30, v40, s[12:13]
	v_lshlrev_b32_e32 v26, 24, v26
	v_bfrev_b32_e32 v39, 60
	v_lshlrev_b32_e32 v30, 20, v30
	v_and_b32_e32 v26, 0x80000000, v26
	v_lshl_add_u32 v27, v27, 23, v39
	v_or3_b32 v30, v26, v27, v30
.LBB466_254:
	s_or_b64 exec, exec, s[26:27]
.LBB466_255:
	s_or_b64 exec, exec, s[24:25]
.LBB466_256:
	s_or_b64 exec, exec, s[14:15]
	v_cvt_pkrtz_f16_f32 v26, v34, v35
	v_cvt_pkrtz_f16_f32 v27, v33, v36
	;; [unrolled: 1-line block ×4, first 2 shown]
	v_mfma_f32_4x4x4f16 a[0:3], v[2:3], v[26:27], a[0:3] cbsz:4 abid:4
	v_cmp_ne_u16_sdwa s[12:13], v28, v32 src0_sel:BYTE_0 src1_sel:DWORD
	v_mfma_f32_4x4x4f16 a[0:3], v[4:5], v[34:35], a[0:3] cbsz:4 abid:4
	s_and_saveexec_b64 s[14:15], s[12:13]
	s_cbranch_execz .LBB466_262
; %bb.257:
	s_movk_i32 s11, 0x80
	v_cmp_ne_u16_sdwa s[12:13], v28, s11 src0_sel:BYTE_0 src1_sel:DWORD
	v_bfrev_b32_e32 v32, 1
	s_and_saveexec_b64 s[24:25], s[12:13]
	s_cbranch_execz .LBB466_261
; %bb.258:
	s_movk_i32 s11, 0x7f
	v_and_b32_e32 v26, 0x7f, v28
	v_cmp_ne_u32_e64 s[12:13], s11, v26
	v_mov_b32_e32 v32, 0x7f800001
	s_and_saveexec_b64 s[26:27], s[12:13]
	s_cbranch_execz .LBB466_260
; %bb.259:
	v_and_b32_e32 v27, 7, v28
	v_ffbh_u32_e32 v27, v27
	v_min_u32_e32 v27, 32, v27
	v_subrev_u32_e32 v31, 28, v27
	v_cmp_gt_u32_e64 s[12:13], 8, v26
	v_lshrrev_b32_e32 v30, 3, v26
	v_sub_u32_e32 v27, 29, v27
	v_cndmask_b32_e64 v26, 0, v31, s[12:13]
	v_cndmask_b32_e64 v30, v30, v27, s[12:13]
	v_lshlrev_b64 v[26:27], v26, v[28:29]
	v_lshlrev_b32_e32 v26, 20, v26
	v_lshlrev_b32_e32 v27, 24, v28
	v_bfrev_b32_e32 v31, 60
	v_and_b32_e32 v26, 0x700000, v26
	v_and_b32_e32 v27, 0x80000000, v27
	v_lshl_add_u32 v30, v30, 23, v31
	v_or3_b32 v32, v27, v30, v26
.LBB466_260:
	s_or_b64 exec, exec, s[26:27]
.LBB466_261:
	s_or_b64 exec, exec, s[24:25]
.LBB466_262:
	s_or_b64 exec, exec, s[14:15]
	v_lshrrev_b16_e32 v26, 8, v28
	v_cmp_ne_u16_e64 s[12:13], 0, v26
	v_mov_b32_e32 v31, 0
	v_mov_b32_e32 v33, 0
	s_and_saveexec_b64 s[14:15], s[12:13]
	s_cbranch_execz .LBB466_268
; %bb.263:
	s_movk_i32 s11, 0x80
	v_cmp_ne_u16_e64 s[12:13], s11, v26
	v_bfrev_b32_e32 v33, 1
	s_and_saveexec_b64 s[24:25], s[12:13]
	s_cbranch_execz .LBB466_267
; %bb.264:
	s_movk_i32 s11, 0x7f
	v_and_b32_e32 v27, 0x7f, v26
	v_cmp_ne_u32_e64 s[12:13], s11, v27
	v_mov_b32_e32 v33, 0x7f800001
	s_and_saveexec_b64 s[26:27], s[12:13]
	s_cbranch_execz .LBB466_266
; %bb.265:
	v_and_b32_e32 v30, 7, v26
	v_ffbh_u32_e32 v34, v30
	v_min_u32_e32 v36, 32, v34
	v_subrev_u32_e32 v34, 28, v36
	v_lshlrev_b64 v[34:35], v34, v[26:27]
	v_lshrrev_b32_e32 v33, 3, v27
	v_sub_u32_e32 v26, 29, v36
	v_and_b32_e32 v34, 7, v34
	v_cmp_gt_u32_e64 s[12:13], 8, v27
	v_cndmask_b32_e64 v26, v33, v26, s[12:13]
	v_cndmask_b32_e64 v27, v30, v34, s[12:13]
	v_lshlrev_b32_e32 v30, 16, v28
	v_bfrev_b32_e32 v33, 60
	v_lshlrev_b32_e32 v27, 20, v27
	v_and_b32_e32 v30, 0x80000000, v30
	v_lshl_add_u32 v26, v26, 23, v33
	v_or3_b32 v33, v30, v26, v27
.LBB466_266:
	s_or_b64 exec, exec, s[26:27]
.LBB466_267:
	s_or_b64 exec, exec, s[24:25]
.LBB466_268:
	s_or_b64 exec, exec, s[14:15]
	s_movk_i32 s11, 0xff
	v_and_b32_sdwa v27, v28, s11 dst_sel:DWORD dst_unused:UNUSED_PAD src0_sel:WORD_1 src1_sel:DWORD
	v_lshrrev_b32_e32 v26, 16, v28
	v_cmp_ne_u16_e64 s[12:13], 0, v27
	s_and_saveexec_b64 s[14:15], s[12:13]
	s_cbranch_execz .LBB466_274
; %bb.269:
	s_movk_i32 s11, 0x80
	v_cmp_ne_u16_e64 s[12:13], s11, v27
	v_bfrev_b32_e32 v31, 1
	s_and_saveexec_b64 s[24:25], s[12:13]
	s_cbranch_execz .LBB466_273
; %bb.270:
	v_bfe_u32 v27, v28, 16, 7
	s_movk_i32 s11, 0x7f
	v_cmp_ne_u32_e64 s[12:13], s11, v27
	v_mov_b32_e32 v31, 0x7f800001
	s_and_saveexec_b64 s[26:27], s[12:13]
	s_cbranch_execz .LBB466_272
; %bb.271:
	v_and_b32_e32 v34, 7, v26
	v_ffbh_u32_e32 v30, v34
	v_min_u32_e32 v36, 32, v30
	v_subrev_u32_e32 v30, 28, v36
	v_lshlrev_b64 v[30:31], v30, v[26:27]
	v_and_b32_e32 v30, 7, v30
	v_cmp_gt_u32_e64 s[12:13], 8, v27
	v_lshrrev_b32_e32 v35, 3, v27
	v_sub_u32_e32 v26, 29, v36
	v_cndmask_b32_e64 v27, v34, v30, s[12:13]
	v_mov_b32_e32 v30, 24
	v_cndmask_b32_e64 v26, v35, v26, s[12:13]
	v_lshlrev_b32_sdwa v30, v30, v28 dst_sel:DWORD dst_unused:UNUSED_PAD src0_sel:DWORD src1_sel:WORD_1
	v_bfrev_b32_e32 v31, 60
	v_lshlrev_b32_e32 v27, 20, v27
	v_and_b32_e32 v30, 0x80000000, v30
	v_lshl_add_u32 v26, v26, 23, v31
	v_or3_b32 v31, v30, v26, v27
.LBB466_272:
	s_or_b64 exec, exec, s[26:27]
.LBB466_273:
	s_or_b64 exec, exec, s[24:25]
.LBB466_274:
	s_or_b64 exec, exec, s[14:15]
	s_mov_b32 s11, 0xffffff
	v_cmp_lt_u32_e64 s[12:13], s11, v28
	v_mov_b32_e32 v27, 0
	v_mov_b32_e32 v34, 0
	s_and_saveexec_b64 s[14:15], s[12:13]
	s_cbranch_execz .LBB466_280
; %bb.275:
	v_lshrrev_b32_e32 v26, 24, v28
	s_movk_i32 s11, 0x80
	v_cmp_ne_u32_e64 s[12:13], s11, v26
	v_bfrev_b32_e32 v34, 1
	s_and_saveexec_b64 s[24:25], s[12:13]
	s_cbranch_execz .LBB466_279
; %bb.276:
	v_bfe_u32 v30, v28, 24, 7
	s_movk_i32 s11, 0x7f
	v_cmp_ne_u32_e64 s[12:13], s11, v30
	v_mov_b32_e32 v34, 0x7f800001
	s_and_saveexec_b64 s[26:27], s[12:13]
	s_cbranch_execz .LBB466_278
; %bb.277:
	v_and_b32_e32 v36, 7, v26
	v_ffbh_u32_e32 v34, v36
	v_min_u32_e32 v38, 32, v34
	v_subrev_u32_e32 v34, 28, v38
	v_lshlrev_b64 v[34:35], v34, v[26:27]
	v_lshrrev_b32_e32 v37, 3, v30
	v_sub_u32_e32 v35, 29, v38
	v_and_b32_e32 v34, 7, v34
	v_cmp_gt_u32_e64 s[12:13], 8, v30
	v_cndmask_b32_e64 v30, v37, v35, s[12:13]
	v_cndmask_b32_e64 v34, v36, v34, s[12:13]
	v_lshlrev_b32_e32 v26, 24, v26
	v_bfrev_b32_e32 v35, 60
	v_lshlrev_b32_e32 v34, 20, v34
	v_and_b32_e32 v26, 0x80000000, v26
	v_lshl_add_u32 v30, v30, 23, v35
	v_or3_b32 v34, v26, v30, v34
.LBB466_278:
	s_or_b64 exec, exec, s[26:27]
.LBB466_279:
	s_or_b64 exec, exec, s[24:25]
.LBB466_280:
	s_or_b64 exec, exec, s[14:15]
	v_mov_b32_e32 v26, v29
	v_cmp_ne_u16_sdwa s[12:13], v29, v27 src0_sel:BYTE_0 src1_sel:DWORD
	s_and_saveexec_b64 s[14:15], s[12:13]
	s_cbranch_execz .LBB466_286
; %bb.281:
	s_movk_i32 s11, 0x80
	v_cmp_ne_u16_sdwa s[12:13], v29, s11 src0_sel:BYTE_0 src1_sel:DWORD
	v_bfrev_b32_e32 v30, 1
	s_and_saveexec_b64 s[24:25], s[12:13]
	s_cbranch_execz .LBB466_285
; %bb.282:
	s_movk_i32 s11, 0x7f
	v_and_b32_e32 v35, 0x7f, v29
	v_cmp_ne_u32_e64 s[12:13], s11, v35
	v_mov_b32_e32 v30, 0x7f800001
	s_and_saveexec_b64 s[26:27], s[12:13]
	s_cbranch_execz .LBB466_284
; %bb.283:
	v_and_b32_e32 v30, 7, v29
	v_ffbh_u32_e32 v30, v30
	v_min_u32_e32 v30, 32, v30
	v_subrev_u32_e32 v37, 28, v30
	v_cmp_gt_u32_e64 s[12:13], 8, v35
	v_lshrrev_b32_e32 v36, 3, v35
	v_sub_u32_e32 v30, 29, v30
	v_cndmask_b32_e64 v35, 0, v37, s[12:13]
	v_cndmask_b32_e64 v30, v36, v30, s[12:13]
	v_lshlrev_b64 v[36:37], v35, v[26:27]
	v_lshlrev_b32_e32 v27, 20, v36
	v_lshlrev_b32_e32 v35, 24, v26
	v_bfrev_b32_e32 v36, 60
	v_and_b32_e32 v27, 0x700000, v27
	v_and_b32_e32 v35, 0x80000000, v35
	v_lshl_add_u32 v30, v30, 23, v36
	v_or3_b32 v30, v35, v30, v27
.LBB466_284:
	s_or_b64 exec, exec, s[26:27]
.LBB466_285:
	s_or_b64 exec, exec, s[24:25]
	v_mov_b32_e32 v27, v30
.LBB466_286:
	s_or_b64 exec, exec, s[14:15]
	v_lshrrev_b16_e32 v30, 8, v26
	v_cmp_ne_u16_e64 s[12:13], 0, v30
	v_mov_b32_e32 v35, 0
	v_mov_b32_e32 v36, 0
	s_and_saveexec_b64 s[14:15], s[12:13]
	s_cbranch_execz .LBB466_292
; %bb.287:
	s_movk_i32 s11, 0x80
	v_cmp_ne_u16_e64 s[12:13], s11, v30
	v_bfrev_b32_e32 v36, 1
	s_and_saveexec_b64 s[24:25], s[12:13]
	s_cbranch_execz .LBB466_291
; %bb.288:
	s_movk_i32 s11, 0x7f
	v_and_b32_e32 v37, 0x7f, v30
	v_cmp_ne_u32_e64 s[12:13], s11, v37
	v_mov_b32_e32 v36, 0x7f800001
	s_and_saveexec_b64 s[26:27], s[12:13]
	s_cbranch_execz .LBB466_290
; %bb.289:
	v_and_b32_e32 v36, 7, v30
	v_ffbh_u32_e32 v38, v36
	v_min_u32_e32 v41, 32, v38
	v_subrev_u32_e32 v38, 28, v41
	v_lshlrev_b64 v[38:39], v38, v[30:31]
	v_lshrrev_b32_e32 v40, 3, v37
	v_sub_u32_e32 v30, 29, v41
	v_and_b32_e32 v38, 7, v38
	v_cmp_gt_u32_e64 s[12:13], 8, v37
	v_cndmask_b32_e64 v30, v40, v30, s[12:13]
	v_cndmask_b32_e64 v36, v36, v38, s[12:13]
	v_lshlrev_b32_e32 v26, 16, v26
	v_bfrev_b32_e32 v37, 60
	v_lshlrev_b32_e32 v36, 20, v36
	v_and_b32_e32 v26, 0x80000000, v26
	v_lshl_add_u32 v30, v30, 23, v37
	v_or3_b32 v36, v26, v30, v36
.LBB466_290:
	s_or_b64 exec, exec, s[26:27]
.LBB466_291:
	s_or_b64 exec, exec, s[24:25]
.LBB466_292:
	s_or_b64 exec, exec, s[14:15]
	s_movk_i32 s11, 0xff
	v_and_b32_sdwa v30, v29, s11 dst_sel:DWORD dst_unused:UNUSED_PAD src0_sel:WORD_1 src1_sel:DWORD
	v_lshrrev_b32_e32 v26, 16, v29
	v_cmp_ne_u16_e64 s[12:13], 0, v30
	s_and_saveexec_b64 s[14:15], s[12:13]
	s_cbranch_execz .LBB466_298
; %bb.293:
	s_movk_i32 s11, 0x80
	v_cmp_ne_u16_e64 s[12:13], s11, v30
	v_bfrev_b32_e32 v35, 1
	s_and_saveexec_b64 s[24:25], s[12:13]
	s_cbranch_execz .LBB466_297
; %bb.294:
	v_bfe_u32 v30, v29, 16, 7
	s_movk_i32 s11, 0x7f
	v_cmp_ne_u32_e64 s[12:13], s11, v30
	v_mov_b32_e32 v35, 0x7f800001
	s_and_saveexec_b64 s[26:27], s[12:13]
	s_cbranch_execz .LBB466_296
; %bb.295:
	v_and_b32_e32 v35, 7, v26
	v_ffbh_u32_e32 v38, v35
	v_min_u32_e32 v40, 32, v38
	v_subrev_u32_e32 v38, 28, v40
	v_lshlrev_b64 v[38:39], v38, v[26:27]
	v_and_b32_e32 v38, 7, v38
	v_cmp_gt_u32_e64 s[12:13], 8, v30
	v_lshrrev_b32_e32 v37, 3, v30
	v_sub_u32_e32 v26, 29, v40
	v_cndmask_b32_e64 v30, v35, v38, s[12:13]
	v_mov_b32_e32 v35, 24
	v_cndmask_b32_e64 v26, v37, v26, s[12:13]
	v_lshlrev_b32_sdwa v35, v35, v29 dst_sel:DWORD dst_unused:UNUSED_PAD src0_sel:DWORD src1_sel:WORD_1
	v_bfrev_b32_e32 v37, 60
	v_lshlrev_b32_e32 v30, 20, v30
	v_and_b32_e32 v35, 0x80000000, v35
	v_lshl_add_u32 v26, v26, 23, v37
	v_or3_b32 v35, v35, v26, v30
.LBB466_296:
	s_or_b64 exec, exec, s[26:27]
.LBB466_297:
	s_or_b64 exec, exec, s[24:25]
.LBB466_298:
	s_or_b64 exec, exec, s[14:15]
	s_mov_b32 s12, -1
	s_mov_b32 s13, 0xffffff
	v_cmp_lt_u64_e64 s[12:13], s[12:13], v[28:29]
	v_mov_b32_e32 v30, 0
	v_mov_b32_e32 v28, 0
	s_and_saveexec_b64 s[14:15], s[12:13]
	s_cbranch_execz .LBB466_304
; %bb.299:
	v_lshrrev_b32_e32 v26, 24, v29
	s_movk_i32 s11, 0x80
	v_cmp_ne_u32_e64 s[12:13], s11, v26
	v_bfrev_b32_e32 v28, 1
	s_and_saveexec_b64 s[24:25], s[12:13]
	s_cbranch_execz .LBB466_303
; %bb.300:
	v_bfe_u32 v29, v29, 24, 7
	s_movk_i32 s11, 0x7f
	v_cmp_ne_u32_e64 s[12:13], s11, v29
	v_mov_b32_e32 v28, 0x7f800001
	s_and_saveexec_b64 s[26:27], s[12:13]
	s_cbranch_execz .LBB466_302
; %bb.301:
	v_and_b32_e32 v28, 7, v26
	v_ffbh_u32_e32 v38, v28
	v_min_u32_e32 v40, 32, v38
	v_subrev_u32_e32 v38, 28, v40
	v_lshlrev_b64 v[38:39], v38, v[26:27]
	v_lshrrev_b32_e32 v37, 3, v29
	v_sub_u32_e32 v39, 29, v40
	v_and_b32_e32 v38, 7, v38
	v_cmp_gt_u32_e64 s[12:13], 8, v29
	v_cndmask_b32_e64 v29, v37, v39, s[12:13]
	v_cndmask_b32_e64 v28, v28, v38, s[12:13]
	v_lshlrev_b32_e32 v26, 24, v26
	v_bfrev_b32_e32 v37, 60
	v_lshlrev_b32_e32 v28, 20, v28
	v_and_b32_e32 v26, 0x80000000, v26
	v_lshl_add_u32 v29, v29, 23, v37
	v_or3_b32 v28, v26, v29, v28
.LBB466_302:
	s_or_b64 exec, exec, s[26:27]
.LBB466_303:
	s_or_b64 exec, exec, s[24:25]
.LBB466_304:
	s_or_b64 exec, exec, s[14:15]
	v_cvt_pkrtz_f16_f32 v32, v32, v33
	v_cvt_pkrtz_f16_f32 v33, v31, v34
	;; [unrolled: 1-line block ×4, first 2 shown]
	v_mfma_f32_4x4x4f16 a[0:3], v[2:3], v[32:33], a[0:3] cbsz:4 abid:5
	v_cmp_ne_u16_sdwa s[12:13], v22, v30 src0_sel:BYTE_0 src1_sel:DWORD
	v_mfma_f32_4x4x4f16 a[0:3], v[4:5], v[26:27], a[0:3] cbsz:4 abid:5
	s_and_saveexec_b64 s[14:15], s[12:13]
	s_cbranch_execz .LBB466_310
; %bb.305:
	s_movk_i32 s11, 0x80
	v_cmp_ne_u16_sdwa s[12:13], v22, s11 src0_sel:BYTE_0 src1_sel:DWORD
	v_bfrev_b32_e32 v30, 1
	s_and_saveexec_b64 s[24:25], s[12:13]
	s_cbranch_execz .LBB466_309
; %bb.306:
	s_movk_i32 s11, 0x7f
	v_and_b32_e32 v26, 0x7f, v22
	v_cmp_ne_u32_e64 s[12:13], s11, v26
	v_mov_b32_e32 v30, 0x7f800001
	s_and_saveexec_b64 s[26:27], s[12:13]
	s_cbranch_execz .LBB466_308
; %bb.307:
	v_and_b32_e32 v27, 7, v22
	v_ffbh_u32_e32 v27, v27
	v_min_u32_e32 v27, 32, v27
	v_subrev_u32_e32 v29, 28, v27
	v_cmp_gt_u32_e64 s[12:13], 8, v26
	v_lshrrev_b32_e32 v28, 3, v26
	v_sub_u32_e32 v27, 29, v27
	v_cndmask_b32_e64 v26, 0, v29, s[12:13]
	v_cndmask_b32_e64 v28, v28, v27, s[12:13]
	v_lshlrev_b64 v[26:27], v26, v[22:23]
	v_lshlrev_b32_e32 v26, 20, v26
	v_lshlrev_b32_e32 v27, 24, v22
	v_bfrev_b32_e32 v29, 60
	v_and_b32_e32 v26, 0x700000, v26
	v_and_b32_e32 v27, 0x80000000, v27
	v_lshl_add_u32 v28, v28, 23, v29
	v_or3_b32 v30, v27, v28, v26
.LBB466_308:
	s_or_b64 exec, exec, s[26:27]
.LBB466_309:
	s_or_b64 exec, exec, s[24:25]
.LBB466_310:
	s_or_b64 exec, exec, s[14:15]
	v_lshrrev_b16_e32 v26, 8, v22
	v_cmp_ne_u16_e64 s[12:13], 0, v26
	v_mov_b32_e32 v29, 0
	v_mov_b32_e32 v31, 0
	s_and_saveexec_b64 s[14:15], s[12:13]
	s_cbranch_execz .LBB466_316
; %bb.311:
	s_movk_i32 s11, 0x80
	v_cmp_ne_u16_e64 s[12:13], s11, v26
	v_bfrev_b32_e32 v31, 1
	s_and_saveexec_b64 s[24:25], s[12:13]
	s_cbranch_execz .LBB466_315
; %bb.312:
	s_movk_i32 s11, 0x7f
	v_and_b32_e32 v27, 0x7f, v26
	v_cmp_ne_u32_e64 s[12:13], s11, v27
	v_mov_b32_e32 v31, 0x7f800001
	s_and_saveexec_b64 s[26:27], s[12:13]
	s_cbranch_execz .LBB466_314
; %bb.313:
	v_and_b32_e32 v28, 7, v26
	v_ffbh_u32_e32 v32, v28
	v_min_u32_e32 v34, 32, v32
	v_subrev_u32_e32 v32, 28, v34
	v_lshlrev_b64 v[32:33], v32, v[26:27]
	v_lshrrev_b32_e32 v31, 3, v27
	v_sub_u32_e32 v26, 29, v34
	v_and_b32_e32 v32, 7, v32
	v_cmp_gt_u32_e64 s[12:13], 8, v27
	v_cndmask_b32_e64 v26, v31, v26, s[12:13]
	v_cndmask_b32_e64 v27, v28, v32, s[12:13]
	v_lshlrev_b32_e32 v28, 16, v22
	v_bfrev_b32_e32 v31, 60
	v_lshlrev_b32_e32 v27, 20, v27
	v_and_b32_e32 v28, 0x80000000, v28
	v_lshl_add_u32 v26, v26, 23, v31
	v_or3_b32 v31, v28, v26, v27
.LBB466_314:
	s_or_b64 exec, exec, s[26:27]
.LBB466_315:
	s_or_b64 exec, exec, s[24:25]
.LBB466_316:
	s_or_b64 exec, exec, s[14:15]
	s_movk_i32 s11, 0xff
	v_and_b32_sdwa v27, v22, s11 dst_sel:DWORD dst_unused:UNUSED_PAD src0_sel:WORD_1 src1_sel:DWORD
	v_lshrrev_b32_e32 v26, 16, v22
	v_cmp_ne_u16_e64 s[12:13], 0, v27
	s_and_saveexec_b64 s[14:15], s[12:13]
	s_cbranch_execz .LBB466_322
; %bb.317:
	s_movk_i32 s11, 0x80
	v_cmp_ne_u16_e64 s[12:13], s11, v27
	v_bfrev_b32_e32 v29, 1
	s_and_saveexec_b64 s[24:25], s[12:13]
	s_cbranch_execz .LBB466_321
; %bb.318:
	v_bfe_u32 v27, v22, 16, 7
	s_movk_i32 s11, 0x7f
	v_cmp_ne_u32_e64 s[12:13], s11, v27
	v_mov_b32_e32 v29, 0x7f800001
	s_and_saveexec_b64 s[26:27], s[12:13]
	s_cbranch_execz .LBB466_320
; %bb.319:
	v_and_b32_e32 v32, 7, v26
	v_ffbh_u32_e32 v28, v32
	v_min_u32_e32 v34, 32, v28
	v_subrev_u32_e32 v28, 28, v34
	v_lshlrev_b64 v[28:29], v28, v[26:27]
	v_and_b32_e32 v28, 7, v28
	v_cmp_gt_u32_e64 s[12:13], 8, v27
	v_lshrrev_b32_e32 v33, 3, v27
	v_sub_u32_e32 v26, 29, v34
	v_cndmask_b32_e64 v27, v32, v28, s[12:13]
	v_mov_b32_e32 v28, 24
	v_cndmask_b32_e64 v26, v33, v26, s[12:13]
	v_lshlrev_b32_sdwa v28, v28, v22 dst_sel:DWORD dst_unused:UNUSED_PAD src0_sel:DWORD src1_sel:WORD_1
	v_bfrev_b32_e32 v29, 60
	v_lshlrev_b32_e32 v27, 20, v27
	v_and_b32_e32 v28, 0x80000000, v28
	v_lshl_add_u32 v26, v26, 23, v29
	v_or3_b32 v29, v28, v26, v27
.LBB466_320:
	s_or_b64 exec, exec, s[26:27]
.LBB466_321:
	s_or_b64 exec, exec, s[24:25]
.LBB466_322:
	s_or_b64 exec, exec, s[14:15]
	s_mov_b32 s11, 0xffffff
	v_cmp_lt_u32_e64 s[12:13], s11, v22
	v_mov_b32_e32 v27, 0
	v_mov_b32_e32 v32, 0
	s_and_saveexec_b64 s[14:15], s[12:13]
	s_cbranch_execz .LBB466_328
; %bb.323:
	v_lshrrev_b32_e32 v26, 24, v22
	s_movk_i32 s11, 0x80
	v_cmp_ne_u32_e64 s[12:13], s11, v26
	v_bfrev_b32_e32 v32, 1
	s_and_saveexec_b64 s[24:25], s[12:13]
	s_cbranch_execz .LBB466_327
; %bb.324:
	v_bfe_u32 v28, v22, 24, 7
	s_movk_i32 s11, 0x7f
	v_cmp_ne_u32_e64 s[12:13], s11, v28
	v_mov_b32_e32 v32, 0x7f800001
	s_and_saveexec_b64 s[26:27], s[12:13]
	s_cbranch_execz .LBB466_326
; %bb.325:
	v_and_b32_e32 v34, 7, v26
	v_ffbh_u32_e32 v32, v34
	v_min_u32_e32 v36, 32, v32
	v_subrev_u32_e32 v32, 28, v36
	v_lshlrev_b64 v[32:33], v32, v[26:27]
	v_lshrrev_b32_e32 v35, 3, v28
	v_sub_u32_e32 v33, 29, v36
	v_and_b32_e32 v32, 7, v32
	v_cmp_gt_u32_e64 s[12:13], 8, v28
	v_cndmask_b32_e64 v28, v35, v33, s[12:13]
	v_cndmask_b32_e64 v32, v34, v32, s[12:13]
	v_lshlrev_b32_e32 v26, 24, v26
	v_bfrev_b32_e32 v33, 60
	v_lshlrev_b32_e32 v32, 20, v32
	v_and_b32_e32 v26, 0x80000000, v26
	v_lshl_add_u32 v28, v28, 23, v33
	v_or3_b32 v32, v26, v28, v32
.LBB466_326:
	s_or_b64 exec, exec, s[26:27]
.LBB466_327:
	s_or_b64 exec, exec, s[24:25]
.LBB466_328:
	s_or_b64 exec, exec, s[14:15]
	v_mov_b32_e32 v26, v23
	v_cmp_ne_u16_sdwa s[12:13], v23, v27 src0_sel:BYTE_0 src1_sel:DWORD
	s_and_saveexec_b64 s[14:15], s[12:13]
	s_cbranch_execz .LBB466_334
; %bb.329:
	s_movk_i32 s11, 0x80
	v_cmp_ne_u16_sdwa s[12:13], v23, s11 src0_sel:BYTE_0 src1_sel:DWORD
	v_bfrev_b32_e32 v28, 1
	s_and_saveexec_b64 s[24:25], s[12:13]
	s_cbranch_execz .LBB466_333
; %bb.330:
	s_movk_i32 s11, 0x7f
	v_and_b32_e32 v33, 0x7f, v23
	v_cmp_ne_u32_e64 s[12:13], s11, v33
	v_mov_b32_e32 v28, 0x7f800001
	s_and_saveexec_b64 s[26:27], s[12:13]
	s_cbranch_execz .LBB466_332
; %bb.331:
	v_and_b32_e32 v28, 7, v23
	v_ffbh_u32_e32 v28, v28
	v_min_u32_e32 v28, 32, v28
	v_subrev_u32_e32 v35, 28, v28
	v_cmp_gt_u32_e64 s[12:13], 8, v33
	v_lshrrev_b32_e32 v34, 3, v33
	v_sub_u32_e32 v28, 29, v28
	v_cndmask_b32_e64 v33, 0, v35, s[12:13]
	v_cndmask_b32_e64 v28, v34, v28, s[12:13]
	v_lshlrev_b64 v[34:35], v33, v[26:27]
	v_lshlrev_b32_e32 v27, 20, v34
	v_lshlrev_b32_e32 v33, 24, v26
	v_bfrev_b32_e32 v34, 60
	v_and_b32_e32 v27, 0x700000, v27
	v_and_b32_e32 v33, 0x80000000, v33
	v_lshl_add_u32 v28, v28, 23, v34
	v_or3_b32 v28, v33, v28, v27
.LBB466_332:
	s_or_b64 exec, exec, s[26:27]
.LBB466_333:
	s_or_b64 exec, exec, s[24:25]
	v_mov_b32_e32 v27, v28
.LBB466_334:
	s_or_b64 exec, exec, s[14:15]
	v_lshrrev_b16_e32 v28, 8, v26
	v_cmp_ne_u16_e64 s[12:13], 0, v28
	v_mov_b32_e32 v33, 0
	v_mov_b32_e32 v34, 0
	s_and_saveexec_b64 s[14:15], s[12:13]
	s_cbranch_execz .LBB466_340
; %bb.335:
	s_movk_i32 s11, 0x80
	v_cmp_ne_u16_e64 s[12:13], s11, v28
	v_bfrev_b32_e32 v34, 1
	s_and_saveexec_b64 s[24:25], s[12:13]
	s_cbranch_execz .LBB466_339
; %bb.336:
	s_movk_i32 s11, 0x7f
	v_and_b32_e32 v35, 0x7f, v28
	v_cmp_ne_u32_e64 s[12:13], s11, v35
	v_mov_b32_e32 v34, 0x7f800001
	s_and_saveexec_b64 s[26:27], s[12:13]
	s_cbranch_execz .LBB466_338
; %bb.337:
	v_and_b32_e32 v34, 7, v28
	v_ffbh_u32_e32 v36, v34
	v_min_u32_e32 v39, 32, v36
	v_subrev_u32_e32 v36, 28, v39
	v_lshlrev_b64 v[36:37], v36, v[28:29]
	v_lshrrev_b32_e32 v38, 3, v35
	v_sub_u32_e32 v28, 29, v39
	v_and_b32_e32 v36, 7, v36
	v_cmp_gt_u32_e64 s[12:13], 8, v35
	v_cndmask_b32_e64 v28, v38, v28, s[12:13]
	v_cndmask_b32_e64 v34, v34, v36, s[12:13]
	v_lshlrev_b32_e32 v26, 16, v26
	v_bfrev_b32_e32 v35, 60
	v_lshlrev_b32_e32 v34, 20, v34
	v_and_b32_e32 v26, 0x80000000, v26
	v_lshl_add_u32 v28, v28, 23, v35
	v_or3_b32 v34, v26, v28, v34
.LBB466_338:
	s_or_b64 exec, exec, s[26:27]
.LBB466_339:
	s_or_b64 exec, exec, s[24:25]
.LBB466_340:
	s_or_b64 exec, exec, s[14:15]
	s_movk_i32 s11, 0xff
	v_and_b32_sdwa v28, v23, s11 dst_sel:DWORD dst_unused:UNUSED_PAD src0_sel:WORD_1 src1_sel:DWORD
	v_lshrrev_b32_e32 v26, 16, v23
	v_cmp_ne_u16_e64 s[12:13], 0, v28
	s_and_saveexec_b64 s[14:15], s[12:13]
	s_cbranch_execz .LBB466_346
; %bb.341:
	s_movk_i32 s11, 0x80
	v_cmp_ne_u16_e64 s[12:13], s11, v28
	v_bfrev_b32_e32 v33, 1
	s_and_saveexec_b64 s[24:25], s[12:13]
	s_cbranch_execz .LBB466_345
; %bb.342:
	v_bfe_u32 v28, v23, 16, 7
	s_movk_i32 s11, 0x7f
	v_cmp_ne_u32_e64 s[12:13], s11, v28
	v_mov_b32_e32 v33, 0x7f800001
	s_and_saveexec_b64 s[26:27], s[12:13]
	s_cbranch_execz .LBB466_344
; %bb.343:
	v_and_b32_e32 v33, 7, v26
	v_ffbh_u32_e32 v36, v33
	v_min_u32_e32 v38, 32, v36
	v_subrev_u32_e32 v36, 28, v38
	v_lshlrev_b64 v[36:37], v36, v[26:27]
	v_and_b32_e32 v36, 7, v36
	v_cmp_gt_u32_e64 s[12:13], 8, v28
	v_lshrrev_b32_e32 v35, 3, v28
	v_sub_u32_e32 v26, 29, v38
	v_cndmask_b32_e64 v28, v33, v36, s[12:13]
	v_mov_b32_e32 v33, 24
	v_cndmask_b32_e64 v26, v35, v26, s[12:13]
	v_lshlrev_b32_sdwa v33, v33, v23 dst_sel:DWORD dst_unused:UNUSED_PAD src0_sel:DWORD src1_sel:WORD_1
	v_bfrev_b32_e32 v35, 60
	v_lshlrev_b32_e32 v28, 20, v28
	v_and_b32_e32 v33, 0x80000000, v33
	v_lshl_add_u32 v26, v26, 23, v35
	v_or3_b32 v33, v33, v26, v28
.LBB466_344:
	s_or_b64 exec, exec, s[26:27]
.LBB466_345:
	s_or_b64 exec, exec, s[24:25]
.LBB466_346:
	s_or_b64 exec, exec, s[14:15]
	s_mov_b32 s12, -1
	s_mov_b32 s13, 0xffffff
	v_cmp_lt_u64_e64 s[12:13], s[12:13], v[22:23]
	v_mov_b32_e32 v28, 0
	v_mov_b32_e32 v26, 0
	s_and_saveexec_b64 s[14:15], s[12:13]
	s_cbranch_execz .LBB466_352
; %bb.347:
	v_lshrrev_b32_e32 v22, 24, v23
	s_movk_i32 s11, 0x80
	v_cmp_ne_u32_e64 s[12:13], s11, v22
	v_bfrev_b32_e32 v26, 1
	s_and_saveexec_b64 s[24:25], s[12:13]
	s_cbranch_execz .LBB466_351
; %bb.348:
	v_bfe_u32 v23, v23, 24, 7
	s_movk_i32 s11, 0x7f
	v_cmp_ne_u32_e64 s[12:13], s11, v23
	v_mov_b32_e32 v26, 0x7f800001
	s_and_saveexec_b64 s[26:27], s[12:13]
	s_cbranch_execz .LBB466_350
; %bb.349:
	v_and_b32_e32 v26, 7, v22
	v_ffbh_u32_e32 v36, v26
	v_min_u32_e32 v38, 32, v36
	v_subrev_u32_e32 v36, 28, v38
	v_lshlrev_b64 v[36:37], v36, v[22:23]
	v_lshrrev_b32_e32 v35, 3, v23
	v_sub_u32_e32 v37, 29, v38
	v_and_b32_e32 v36, 7, v36
	v_cmp_gt_u32_e64 s[12:13], 8, v23
	v_cndmask_b32_e64 v23, v35, v37, s[12:13]
	v_cndmask_b32_e64 v26, v26, v36, s[12:13]
	v_lshlrev_b32_e32 v22, 24, v22
	v_bfrev_b32_e32 v35, 60
	v_lshlrev_b32_e32 v26, 20, v26
	v_and_b32_e32 v22, 0x80000000, v22
	v_lshl_add_u32 v23, v23, 23, v35
	v_or3_b32 v26, v22, v23, v26
.LBB466_350:
	s_or_b64 exec, exec, s[26:27]
.LBB466_351:
	s_or_b64 exec, exec, s[24:25]
.LBB466_352:
	s_or_b64 exec, exec, s[14:15]
	v_cvt_pkrtz_f16_f32 v22, v30, v31
	v_cvt_pkrtz_f16_f32 v23, v29, v32
	;; [unrolled: 1-line block ×4, first 2 shown]
	v_mfma_f32_4x4x4f16 a[0:3], v[2:3], v[22:23], a[0:3] cbsz:4 abid:6
	v_cmp_ne_u16_sdwa s[12:13], v24, v28 src0_sel:BYTE_0 src1_sel:DWORD
	v_mfma_f32_4x4x4f16 a[0:3], v[4:5], v[30:31], a[0:3] cbsz:4 abid:6
	s_and_saveexec_b64 s[14:15], s[12:13]
	s_cbranch_execz .LBB466_358
; %bb.353:
	s_movk_i32 s11, 0x80
	v_cmp_ne_u16_sdwa s[12:13], v24, s11 src0_sel:BYTE_0 src1_sel:DWORD
	v_bfrev_b32_e32 v28, 1
	s_and_saveexec_b64 s[24:25], s[12:13]
	s_cbranch_execz .LBB466_357
; %bb.354:
	s_movk_i32 s11, 0x7f
	v_and_b32_e32 v22, 0x7f, v24
	v_cmp_ne_u32_e64 s[12:13], s11, v22
	v_mov_b32_e32 v28, 0x7f800001
	s_and_saveexec_b64 s[26:27], s[12:13]
	s_cbranch_execz .LBB466_356
; %bb.355:
	v_and_b32_e32 v23, 7, v24
	v_ffbh_u32_e32 v23, v23
	v_min_u32_e32 v23, 32, v23
	v_subrev_u32_e32 v27, 28, v23
	v_cmp_gt_u32_e64 s[12:13], 8, v22
	v_lshrrev_b32_e32 v26, 3, v22
	v_sub_u32_e32 v23, 29, v23
	v_cndmask_b32_e64 v22, 0, v27, s[12:13]
	v_cndmask_b32_e64 v26, v26, v23, s[12:13]
	v_lshlrev_b64 v[22:23], v22, v[24:25]
	v_lshlrev_b32_e32 v22, 20, v22
	v_lshlrev_b32_e32 v23, 24, v24
	v_bfrev_b32_e32 v27, 60
	v_and_b32_e32 v22, 0x700000, v22
	v_and_b32_e32 v23, 0x80000000, v23
	v_lshl_add_u32 v26, v26, 23, v27
	v_or3_b32 v28, v23, v26, v22
.LBB466_356:
	s_or_b64 exec, exec, s[26:27]
.LBB466_357:
	s_or_b64 exec, exec, s[24:25]
.LBB466_358:
	s_or_b64 exec, exec, s[14:15]
	v_lshrrev_b16_e32 v22, 8, v24
	v_cmp_ne_u16_e64 s[12:13], 0, v22
	v_mov_b32_e32 v27, 0
	v_mov_b32_e32 v29, 0
	s_and_saveexec_b64 s[14:15], s[12:13]
	s_cbranch_execz .LBB466_364
; %bb.359:
	s_movk_i32 s11, 0x80
	v_cmp_ne_u16_e64 s[12:13], s11, v22
	v_bfrev_b32_e32 v29, 1
	s_and_saveexec_b64 s[24:25], s[12:13]
	s_cbranch_execz .LBB466_363
; %bb.360:
	s_movk_i32 s11, 0x7f
	v_and_b32_e32 v23, 0x7f, v22
	v_cmp_ne_u32_e64 s[12:13], s11, v23
	v_mov_b32_e32 v29, 0x7f800001
	s_and_saveexec_b64 s[26:27], s[12:13]
	s_cbranch_execz .LBB466_362
; %bb.361:
	v_and_b32_e32 v26, 7, v22
	v_ffbh_u32_e32 v30, v26
	v_min_u32_e32 v32, 32, v30
	v_subrev_u32_e32 v30, 28, v32
	v_lshlrev_b64 v[30:31], v30, v[22:23]
	v_lshrrev_b32_e32 v29, 3, v23
	v_sub_u32_e32 v22, 29, v32
	v_and_b32_e32 v30, 7, v30
	v_cmp_gt_u32_e64 s[12:13], 8, v23
	v_cndmask_b32_e64 v22, v29, v22, s[12:13]
	v_cndmask_b32_e64 v23, v26, v30, s[12:13]
	v_lshlrev_b32_e32 v26, 16, v24
	v_bfrev_b32_e32 v29, 60
	v_lshlrev_b32_e32 v23, 20, v23
	v_and_b32_e32 v26, 0x80000000, v26
	v_lshl_add_u32 v22, v22, 23, v29
	v_or3_b32 v29, v26, v22, v23
.LBB466_362:
	s_or_b64 exec, exec, s[26:27]
.LBB466_363:
	s_or_b64 exec, exec, s[24:25]
.LBB466_364:
	s_or_b64 exec, exec, s[14:15]
	s_movk_i32 s11, 0xff
	v_and_b32_sdwa v23, v24, s11 dst_sel:DWORD dst_unused:UNUSED_PAD src0_sel:WORD_1 src1_sel:DWORD
	v_lshrrev_b32_e32 v22, 16, v24
	v_cmp_ne_u16_e64 s[12:13], 0, v23
	s_and_saveexec_b64 s[14:15], s[12:13]
	s_cbranch_execz .LBB466_370
; %bb.365:
	s_movk_i32 s11, 0x80
	v_cmp_ne_u16_e64 s[12:13], s11, v23
	v_bfrev_b32_e32 v27, 1
	s_and_saveexec_b64 s[24:25], s[12:13]
	s_cbranch_execz .LBB466_369
; %bb.366:
	v_bfe_u32 v23, v24, 16, 7
	s_movk_i32 s11, 0x7f
	v_cmp_ne_u32_e64 s[12:13], s11, v23
	v_mov_b32_e32 v27, 0x7f800001
	s_and_saveexec_b64 s[26:27], s[12:13]
	s_cbranch_execz .LBB466_368
; %bb.367:
	v_and_b32_e32 v30, 7, v22
	v_ffbh_u32_e32 v26, v30
	v_min_u32_e32 v32, 32, v26
	v_subrev_u32_e32 v26, 28, v32
	v_lshlrev_b64 v[26:27], v26, v[22:23]
	v_and_b32_e32 v26, 7, v26
	v_cmp_gt_u32_e64 s[12:13], 8, v23
	v_lshrrev_b32_e32 v31, 3, v23
	v_sub_u32_e32 v22, 29, v32
	v_cndmask_b32_e64 v23, v30, v26, s[12:13]
	v_mov_b32_e32 v26, 24
	v_cndmask_b32_e64 v22, v31, v22, s[12:13]
	v_lshlrev_b32_sdwa v26, v26, v24 dst_sel:DWORD dst_unused:UNUSED_PAD src0_sel:DWORD src1_sel:WORD_1
	v_bfrev_b32_e32 v27, 60
	v_lshlrev_b32_e32 v23, 20, v23
	v_and_b32_e32 v26, 0x80000000, v26
	v_lshl_add_u32 v22, v22, 23, v27
	v_or3_b32 v27, v26, v22, v23
.LBB466_368:
	s_or_b64 exec, exec, s[26:27]
.LBB466_369:
	s_or_b64 exec, exec, s[24:25]
.LBB466_370:
	s_or_b64 exec, exec, s[14:15]
	s_mov_b32 s11, 0xffffff
	v_cmp_lt_u32_e64 s[12:13], s11, v24
	v_mov_b32_e32 v23, 0
	v_mov_b32_e32 v30, 0
	s_and_saveexec_b64 s[14:15], s[12:13]
	s_cbranch_execz .LBB466_376
; %bb.371:
	v_lshrrev_b32_e32 v22, 24, v24
	s_movk_i32 s11, 0x80
	v_cmp_ne_u32_e64 s[12:13], s11, v22
	v_bfrev_b32_e32 v30, 1
	s_and_saveexec_b64 s[24:25], s[12:13]
	s_cbranch_execz .LBB466_375
; %bb.372:
	v_bfe_u32 v26, v24, 24, 7
	s_movk_i32 s11, 0x7f
	v_cmp_ne_u32_e64 s[12:13], s11, v26
	v_mov_b32_e32 v30, 0x7f800001
	s_and_saveexec_b64 s[26:27], s[12:13]
	s_cbranch_execz .LBB466_374
; %bb.373:
	v_and_b32_e32 v32, 7, v22
	v_ffbh_u32_e32 v30, v32
	v_min_u32_e32 v34, 32, v30
	v_subrev_u32_e32 v30, 28, v34
	v_lshlrev_b64 v[30:31], v30, v[22:23]
	v_lshrrev_b32_e32 v33, 3, v26
	v_sub_u32_e32 v31, 29, v34
	v_and_b32_e32 v30, 7, v30
	v_cmp_gt_u32_e64 s[12:13], 8, v26
	v_cndmask_b32_e64 v26, v33, v31, s[12:13]
	v_cndmask_b32_e64 v30, v32, v30, s[12:13]
	v_lshlrev_b32_e32 v22, 24, v22
	v_bfrev_b32_e32 v31, 60
	v_lshlrev_b32_e32 v30, 20, v30
	v_and_b32_e32 v22, 0x80000000, v22
	v_lshl_add_u32 v26, v26, 23, v31
	v_or3_b32 v30, v22, v26, v30
.LBB466_374:
	s_or_b64 exec, exec, s[26:27]
.LBB466_375:
	s_or_b64 exec, exec, s[24:25]
.LBB466_376:
	s_or_b64 exec, exec, s[14:15]
	v_mov_b32_e32 v22, v25
	v_cmp_ne_u16_sdwa s[12:13], v25, v23 src0_sel:BYTE_0 src1_sel:DWORD
	s_and_saveexec_b64 s[14:15], s[12:13]
	s_cbranch_execz .LBB466_382
; %bb.377:
	s_movk_i32 s11, 0x80
	v_cmp_ne_u16_sdwa s[12:13], v25, s11 src0_sel:BYTE_0 src1_sel:DWORD
	v_bfrev_b32_e32 v26, 1
	s_and_saveexec_b64 s[24:25], s[12:13]
	s_cbranch_execz .LBB466_381
; %bb.378:
	s_movk_i32 s11, 0x7f
	v_and_b32_e32 v31, 0x7f, v25
	v_cmp_ne_u32_e64 s[12:13], s11, v31
	v_mov_b32_e32 v26, 0x7f800001
	s_and_saveexec_b64 s[26:27], s[12:13]
	s_cbranch_execz .LBB466_380
; %bb.379:
	v_and_b32_e32 v26, 7, v25
	v_ffbh_u32_e32 v26, v26
	v_min_u32_e32 v26, 32, v26
	v_subrev_u32_e32 v33, 28, v26
	v_cmp_gt_u32_e64 s[12:13], 8, v31
	v_lshrrev_b32_e32 v32, 3, v31
	v_sub_u32_e32 v26, 29, v26
	v_cndmask_b32_e64 v31, 0, v33, s[12:13]
	v_cndmask_b32_e64 v26, v32, v26, s[12:13]
	v_lshlrev_b64 v[32:33], v31, v[22:23]
	v_lshlrev_b32_e32 v23, 20, v32
	v_lshlrev_b32_e32 v31, 24, v22
	v_bfrev_b32_e32 v32, 60
	v_and_b32_e32 v23, 0x700000, v23
	v_and_b32_e32 v31, 0x80000000, v31
	v_lshl_add_u32 v26, v26, 23, v32
	v_or3_b32 v26, v31, v26, v23
.LBB466_380:
	s_or_b64 exec, exec, s[26:27]
.LBB466_381:
	s_or_b64 exec, exec, s[24:25]
	v_mov_b32_e32 v23, v26
.LBB466_382:
	s_or_b64 exec, exec, s[14:15]
	v_lshrrev_b16_e32 v26, 8, v22
	v_cmp_ne_u16_e64 s[12:13], 0, v26
	v_mov_b32_e32 v31, 0
	v_mov_b32_e32 v32, 0
	s_and_saveexec_b64 s[14:15], s[12:13]
	s_cbranch_execz .LBB466_388
; %bb.383:
	s_movk_i32 s11, 0x80
	v_cmp_ne_u16_e64 s[12:13], s11, v26
	v_bfrev_b32_e32 v32, 1
	s_and_saveexec_b64 s[24:25], s[12:13]
	s_cbranch_execz .LBB466_387
; %bb.384:
	s_movk_i32 s11, 0x7f
	v_and_b32_e32 v33, 0x7f, v26
	v_cmp_ne_u32_e64 s[12:13], s11, v33
	v_mov_b32_e32 v32, 0x7f800001
	s_and_saveexec_b64 s[26:27], s[12:13]
	s_cbranch_execz .LBB466_386
; %bb.385:
	v_and_b32_e32 v32, 7, v26
	v_ffbh_u32_e32 v34, v32
	v_min_u32_e32 v37, 32, v34
	v_subrev_u32_e32 v34, 28, v37
	v_lshlrev_b64 v[34:35], v34, v[26:27]
	v_lshrrev_b32_e32 v36, 3, v33
	v_sub_u32_e32 v26, 29, v37
	v_and_b32_e32 v34, 7, v34
	v_cmp_gt_u32_e64 s[12:13], 8, v33
	v_cndmask_b32_e64 v26, v36, v26, s[12:13]
	v_cndmask_b32_e64 v32, v32, v34, s[12:13]
	v_lshlrev_b32_e32 v22, 16, v22
	v_bfrev_b32_e32 v33, 60
	v_lshlrev_b32_e32 v32, 20, v32
	v_and_b32_e32 v22, 0x80000000, v22
	v_lshl_add_u32 v26, v26, 23, v33
	v_or3_b32 v32, v22, v26, v32
.LBB466_386:
	s_or_b64 exec, exec, s[26:27]
.LBB466_387:
	s_or_b64 exec, exec, s[24:25]
.LBB466_388:
	s_or_b64 exec, exec, s[14:15]
	s_movk_i32 s11, 0xff
	v_and_b32_sdwa v26, v25, s11 dst_sel:DWORD dst_unused:UNUSED_PAD src0_sel:WORD_1 src1_sel:DWORD
	v_lshrrev_b32_e32 v22, 16, v25
	v_cmp_ne_u16_e64 s[12:13], 0, v26
	s_and_saveexec_b64 s[14:15], s[12:13]
	s_cbranch_execz .LBB466_394
; %bb.389:
	s_movk_i32 s11, 0x80
	v_cmp_ne_u16_e64 s[12:13], s11, v26
	v_bfrev_b32_e32 v31, 1
	s_and_saveexec_b64 s[24:25], s[12:13]
	s_cbranch_execz .LBB466_393
; %bb.390:
	v_bfe_u32 v26, v25, 16, 7
	s_movk_i32 s11, 0x7f
	v_cmp_ne_u32_e64 s[12:13], s11, v26
	v_mov_b32_e32 v31, 0x7f800001
	s_and_saveexec_b64 s[26:27], s[12:13]
	s_cbranch_execz .LBB466_392
; %bb.391:
	v_and_b32_e32 v31, 7, v22
	v_ffbh_u32_e32 v34, v31
	v_min_u32_e32 v36, 32, v34
	v_subrev_u32_e32 v34, 28, v36
	v_lshlrev_b64 v[34:35], v34, v[22:23]
	v_and_b32_e32 v34, 7, v34
	v_cmp_gt_u32_e64 s[12:13], 8, v26
	v_lshrrev_b32_e32 v33, 3, v26
	v_sub_u32_e32 v22, 29, v36
	v_cndmask_b32_e64 v26, v31, v34, s[12:13]
	v_mov_b32_e32 v31, 24
	v_cndmask_b32_e64 v22, v33, v22, s[12:13]
	v_lshlrev_b32_sdwa v31, v31, v25 dst_sel:DWORD dst_unused:UNUSED_PAD src0_sel:DWORD src1_sel:WORD_1
	v_bfrev_b32_e32 v33, 60
	v_lshlrev_b32_e32 v26, 20, v26
	v_and_b32_e32 v31, 0x80000000, v31
	v_lshl_add_u32 v22, v22, 23, v33
	v_or3_b32 v31, v31, v22, v26
.LBB466_392:
	s_or_b64 exec, exec, s[26:27]
.LBB466_393:
	s_or_b64 exec, exec, s[24:25]
.LBB466_394:
	s_or_b64 exec, exec, s[14:15]
	s_mov_b32 s12, -1
	s_mov_b32 s13, 0xffffff
	v_cmp_lt_u64_e64 s[12:13], s[12:13], v[24:25]
	v_mov_b32_e32 v26, 0
	v_mov_b32_e32 v24, 0
	s_and_saveexec_b64 s[14:15], s[12:13]
	s_cbranch_execz .LBB466_400
; %bb.395:
	v_lshrrev_b32_e32 v22, 24, v25
	s_movk_i32 s11, 0x80
	v_cmp_ne_u32_e64 s[12:13], s11, v22
	v_bfrev_b32_e32 v24, 1
	s_and_saveexec_b64 s[24:25], s[12:13]
	s_cbranch_execz .LBB466_399
; %bb.396:
	v_bfe_u32 v25, v25, 24, 7
	s_movk_i32 s11, 0x7f
	v_cmp_ne_u32_e64 s[12:13], s11, v25
	v_mov_b32_e32 v24, 0x7f800001
	s_and_saveexec_b64 s[26:27], s[12:13]
	s_cbranch_execz .LBB466_398
; %bb.397:
	v_and_b32_e32 v24, 7, v22
	v_ffbh_u32_e32 v34, v24
	v_min_u32_e32 v36, 32, v34
	v_subrev_u32_e32 v34, 28, v36
	v_lshlrev_b64 v[34:35], v34, v[22:23]
	v_lshrrev_b32_e32 v33, 3, v25
	v_sub_u32_e32 v35, 29, v36
	v_and_b32_e32 v34, 7, v34
	v_cmp_gt_u32_e64 s[12:13], 8, v25
	v_cndmask_b32_e64 v25, v33, v35, s[12:13]
	v_cndmask_b32_e64 v24, v24, v34, s[12:13]
	v_lshlrev_b32_e32 v22, 24, v22
	v_bfrev_b32_e32 v33, 60
	v_lshlrev_b32_e32 v24, 20, v24
	v_and_b32_e32 v22, 0x80000000, v22
	v_lshl_add_u32 v25, v25, 23, v33
	v_or3_b32 v24, v22, v25, v24
.LBB466_398:
	s_or_b64 exec, exec, s[26:27]
.LBB466_399:
	s_or_b64 exec, exec, s[24:25]
.LBB466_400:
	s_or_b64 exec, exec, s[14:15]
	v_cvt_pkrtz_f16_f32 v28, v28, v29
	v_cvt_pkrtz_f16_f32 v29, v27, v30
	;; [unrolled: 1-line block ×4, first 2 shown]
	v_mfma_f32_4x4x4f16 a[0:3], v[2:3], v[28:29], a[0:3] cbsz:4 abid:7
	v_cmp_ne_u16_sdwa s[12:13], v18, v26 src0_sel:BYTE_0 src1_sel:DWORD
	v_mfma_f32_4x4x4f16 a[0:3], v[4:5], v[22:23], a[0:3] cbsz:4 abid:7
	s_and_saveexec_b64 s[14:15], s[12:13]
	s_cbranch_execz .LBB466_406
; %bb.401:
	s_movk_i32 s11, 0x80
	v_cmp_ne_u16_sdwa s[12:13], v18, s11 src0_sel:BYTE_0 src1_sel:DWORD
	v_bfrev_b32_e32 v26, 1
	s_and_saveexec_b64 s[24:25], s[12:13]
	s_cbranch_execz .LBB466_405
; %bb.402:
	s_movk_i32 s11, 0x7f
	v_and_b32_e32 v22, 0x7f, v18
	v_cmp_ne_u32_e64 s[12:13], s11, v22
	v_mov_b32_e32 v26, 0x7f800001
	s_and_saveexec_b64 s[26:27], s[12:13]
	s_cbranch_execz .LBB466_404
; %bb.403:
	v_and_b32_e32 v23, 7, v18
	v_ffbh_u32_e32 v23, v23
	v_min_u32_e32 v23, 32, v23
	v_subrev_u32_e32 v25, 28, v23
	v_cmp_gt_u32_e64 s[12:13], 8, v22
	v_lshrrev_b32_e32 v24, 3, v22
	v_sub_u32_e32 v23, 29, v23
	v_cndmask_b32_e64 v22, 0, v25, s[12:13]
	v_cndmask_b32_e64 v24, v24, v23, s[12:13]
	v_lshlrev_b64 v[22:23], v22, v[18:19]
	v_lshlrev_b32_e32 v22, 20, v22
	v_lshlrev_b32_e32 v23, 24, v18
	v_bfrev_b32_e32 v25, 60
	v_and_b32_e32 v22, 0x700000, v22
	v_and_b32_e32 v23, 0x80000000, v23
	v_lshl_add_u32 v24, v24, 23, v25
	v_or3_b32 v26, v23, v24, v22
.LBB466_404:
	s_or_b64 exec, exec, s[26:27]
.LBB466_405:
	s_or_b64 exec, exec, s[24:25]
.LBB466_406:
	s_or_b64 exec, exec, s[14:15]
	v_lshrrev_b16_e32 v22, 8, v18
	v_cmp_ne_u16_e64 s[12:13], 0, v22
	v_mov_b32_e32 v25, 0
	v_mov_b32_e32 v27, 0
	s_and_saveexec_b64 s[14:15], s[12:13]
	s_cbranch_execz .LBB466_412
; %bb.407:
	s_movk_i32 s11, 0x80
	v_cmp_ne_u16_e64 s[12:13], s11, v22
	v_bfrev_b32_e32 v27, 1
	s_and_saveexec_b64 s[24:25], s[12:13]
	s_cbranch_execz .LBB466_411
; %bb.408:
	s_movk_i32 s11, 0x7f
	v_and_b32_e32 v23, 0x7f, v22
	v_cmp_ne_u32_e64 s[12:13], s11, v23
	v_mov_b32_e32 v27, 0x7f800001
	s_and_saveexec_b64 s[26:27], s[12:13]
	s_cbranch_execz .LBB466_410
; %bb.409:
	v_and_b32_e32 v24, 7, v22
	v_ffbh_u32_e32 v28, v24
	v_min_u32_e32 v30, 32, v28
	v_subrev_u32_e32 v28, 28, v30
	v_lshlrev_b64 v[28:29], v28, v[22:23]
	v_lshrrev_b32_e32 v27, 3, v23
	v_sub_u32_e32 v22, 29, v30
	v_and_b32_e32 v28, 7, v28
	v_cmp_gt_u32_e64 s[12:13], 8, v23
	v_cndmask_b32_e64 v22, v27, v22, s[12:13]
	v_cndmask_b32_e64 v23, v24, v28, s[12:13]
	v_lshlrev_b32_e32 v24, 16, v18
	v_bfrev_b32_e32 v27, 60
	v_lshlrev_b32_e32 v23, 20, v23
	v_and_b32_e32 v24, 0x80000000, v24
	v_lshl_add_u32 v22, v22, 23, v27
	v_or3_b32 v27, v24, v22, v23
.LBB466_410:
	s_or_b64 exec, exec, s[26:27]
.LBB466_411:
	s_or_b64 exec, exec, s[24:25]
.LBB466_412:
	s_or_b64 exec, exec, s[14:15]
	s_movk_i32 s11, 0xff
	v_and_b32_sdwa v23, v18, s11 dst_sel:DWORD dst_unused:UNUSED_PAD src0_sel:WORD_1 src1_sel:DWORD
	v_lshrrev_b32_e32 v22, 16, v18
	v_cmp_ne_u16_e64 s[12:13], 0, v23
	s_and_saveexec_b64 s[14:15], s[12:13]
	s_cbranch_execz .LBB466_418
; %bb.413:
	s_movk_i32 s11, 0x80
	v_cmp_ne_u16_e64 s[12:13], s11, v23
	v_bfrev_b32_e32 v25, 1
	s_and_saveexec_b64 s[24:25], s[12:13]
	s_cbranch_execz .LBB466_417
; %bb.414:
	v_bfe_u32 v23, v18, 16, 7
	s_movk_i32 s11, 0x7f
	v_cmp_ne_u32_e64 s[12:13], s11, v23
	v_mov_b32_e32 v25, 0x7f800001
	s_and_saveexec_b64 s[26:27], s[12:13]
	s_cbranch_execz .LBB466_416
; %bb.415:
	v_and_b32_e32 v28, 7, v22
	v_ffbh_u32_e32 v24, v28
	v_min_u32_e32 v30, 32, v24
	v_subrev_u32_e32 v24, 28, v30
	v_lshlrev_b64 v[24:25], v24, v[22:23]
	v_and_b32_e32 v24, 7, v24
	v_cmp_gt_u32_e64 s[12:13], 8, v23
	v_lshrrev_b32_e32 v29, 3, v23
	v_sub_u32_e32 v22, 29, v30
	v_cndmask_b32_e64 v23, v28, v24, s[12:13]
	v_mov_b32_e32 v24, 24
	v_cndmask_b32_e64 v22, v29, v22, s[12:13]
	v_lshlrev_b32_sdwa v24, v24, v18 dst_sel:DWORD dst_unused:UNUSED_PAD src0_sel:DWORD src1_sel:WORD_1
	v_bfrev_b32_e32 v25, 60
	v_lshlrev_b32_e32 v23, 20, v23
	v_and_b32_e32 v24, 0x80000000, v24
	v_lshl_add_u32 v22, v22, 23, v25
	v_or3_b32 v25, v24, v22, v23
.LBB466_416:
	s_or_b64 exec, exec, s[26:27]
.LBB466_417:
	s_or_b64 exec, exec, s[24:25]
.LBB466_418:
	s_or_b64 exec, exec, s[14:15]
	s_mov_b32 s11, 0xffffff
	v_cmp_lt_u32_e64 s[12:13], s11, v18
	v_mov_b32_e32 v23, 0
	v_mov_b32_e32 v28, 0
	s_and_saveexec_b64 s[14:15], s[12:13]
	s_cbranch_execz .LBB466_424
; %bb.419:
	v_lshrrev_b32_e32 v22, 24, v18
	s_movk_i32 s11, 0x80
	v_cmp_ne_u32_e64 s[12:13], s11, v22
	v_bfrev_b32_e32 v28, 1
	s_and_saveexec_b64 s[24:25], s[12:13]
	s_cbranch_execz .LBB466_423
; %bb.420:
	v_bfe_u32 v24, v18, 24, 7
	s_movk_i32 s11, 0x7f
	v_cmp_ne_u32_e64 s[12:13], s11, v24
	v_mov_b32_e32 v28, 0x7f800001
	s_and_saveexec_b64 s[26:27], s[12:13]
	s_cbranch_execz .LBB466_422
; %bb.421:
	v_and_b32_e32 v30, 7, v22
	v_ffbh_u32_e32 v28, v30
	v_min_u32_e32 v32, 32, v28
	v_subrev_u32_e32 v28, 28, v32
	v_lshlrev_b64 v[28:29], v28, v[22:23]
	v_lshrrev_b32_e32 v31, 3, v24
	v_sub_u32_e32 v29, 29, v32
	v_and_b32_e32 v28, 7, v28
	v_cmp_gt_u32_e64 s[12:13], 8, v24
	v_cndmask_b32_e64 v24, v31, v29, s[12:13]
	v_cndmask_b32_e64 v28, v30, v28, s[12:13]
	v_lshlrev_b32_e32 v22, 24, v22
	v_bfrev_b32_e32 v29, 60
	v_lshlrev_b32_e32 v28, 20, v28
	v_and_b32_e32 v22, 0x80000000, v22
	v_lshl_add_u32 v24, v24, 23, v29
	v_or3_b32 v28, v22, v24, v28
.LBB466_422:
	s_or_b64 exec, exec, s[26:27]
.LBB466_423:
	s_or_b64 exec, exec, s[24:25]
.LBB466_424:
	s_or_b64 exec, exec, s[14:15]
	v_mov_b32_e32 v22, v19
	v_cmp_ne_u16_sdwa s[12:13], v19, v23 src0_sel:BYTE_0 src1_sel:DWORD
	s_and_saveexec_b64 s[14:15], s[12:13]
	s_cbranch_execz .LBB466_430
; %bb.425:
	s_movk_i32 s11, 0x80
	v_cmp_ne_u16_sdwa s[12:13], v19, s11 src0_sel:BYTE_0 src1_sel:DWORD
	v_bfrev_b32_e32 v24, 1
	s_and_saveexec_b64 s[24:25], s[12:13]
	s_cbranch_execz .LBB466_429
; %bb.426:
	s_movk_i32 s11, 0x7f
	v_and_b32_e32 v29, 0x7f, v19
	v_cmp_ne_u32_e64 s[12:13], s11, v29
	v_mov_b32_e32 v24, 0x7f800001
	s_and_saveexec_b64 s[26:27], s[12:13]
	s_cbranch_execz .LBB466_428
; %bb.427:
	v_and_b32_e32 v24, 7, v19
	v_ffbh_u32_e32 v24, v24
	v_min_u32_e32 v24, 32, v24
	v_subrev_u32_e32 v31, 28, v24
	v_cmp_gt_u32_e64 s[12:13], 8, v29
	v_lshrrev_b32_e32 v30, 3, v29
	v_sub_u32_e32 v24, 29, v24
	v_cndmask_b32_e64 v29, 0, v31, s[12:13]
	v_cndmask_b32_e64 v24, v30, v24, s[12:13]
	v_lshlrev_b64 v[30:31], v29, v[22:23]
	v_lshlrev_b32_e32 v23, 20, v30
	v_lshlrev_b32_e32 v29, 24, v22
	v_bfrev_b32_e32 v30, 60
	v_and_b32_e32 v23, 0x700000, v23
	v_and_b32_e32 v29, 0x80000000, v29
	v_lshl_add_u32 v24, v24, 23, v30
	v_or3_b32 v24, v29, v24, v23
.LBB466_428:
	s_or_b64 exec, exec, s[26:27]
.LBB466_429:
	s_or_b64 exec, exec, s[24:25]
	v_mov_b32_e32 v23, v24
.LBB466_430:
	s_or_b64 exec, exec, s[14:15]
	v_lshrrev_b16_e32 v24, 8, v22
	v_cmp_ne_u16_e64 s[12:13], 0, v24
	v_mov_b32_e32 v29, 0
	v_mov_b32_e32 v30, 0
	s_and_saveexec_b64 s[14:15], s[12:13]
	s_cbranch_execz .LBB466_436
; %bb.431:
	s_movk_i32 s11, 0x80
	v_cmp_ne_u16_e64 s[12:13], s11, v24
	v_bfrev_b32_e32 v30, 1
	s_and_saveexec_b64 s[24:25], s[12:13]
	s_cbranch_execz .LBB466_435
; %bb.432:
	s_movk_i32 s11, 0x7f
	v_and_b32_e32 v31, 0x7f, v24
	v_cmp_ne_u32_e64 s[12:13], s11, v31
	v_mov_b32_e32 v30, 0x7f800001
	s_and_saveexec_b64 s[26:27], s[12:13]
	s_cbranch_execz .LBB466_434
; %bb.433:
	v_and_b32_e32 v30, 7, v24
	v_ffbh_u32_e32 v32, v30
	v_min_u32_e32 v35, 32, v32
	v_subrev_u32_e32 v32, 28, v35
	v_lshlrev_b64 v[32:33], v32, v[24:25]
	v_lshrrev_b32_e32 v34, 3, v31
	v_sub_u32_e32 v24, 29, v35
	v_and_b32_e32 v32, 7, v32
	v_cmp_gt_u32_e64 s[12:13], 8, v31
	v_cndmask_b32_e64 v24, v34, v24, s[12:13]
	v_cndmask_b32_e64 v30, v30, v32, s[12:13]
	v_lshlrev_b32_e32 v22, 16, v22
	v_bfrev_b32_e32 v31, 60
	v_lshlrev_b32_e32 v30, 20, v30
	v_and_b32_e32 v22, 0x80000000, v22
	v_lshl_add_u32 v24, v24, 23, v31
	v_or3_b32 v30, v22, v24, v30
.LBB466_434:
	s_or_b64 exec, exec, s[26:27]
.LBB466_435:
	s_or_b64 exec, exec, s[24:25]
.LBB466_436:
	s_or_b64 exec, exec, s[14:15]
	s_movk_i32 s11, 0xff
	v_and_b32_sdwa v24, v19, s11 dst_sel:DWORD dst_unused:UNUSED_PAD src0_sel:WORD_1 src1_sel:DWORD
	v_lshrrev_b32_e32 v22, 16, v19
	v_cmp_ne_u16_e64 s[12:13], 0, v24
	s_and_saveexec_b64 s[14:15], s[12:13]
	s_cbranch_execz .LBB466_442
; %bb.437:
	s_movk_i32 s11, 0x80
	v_cmp_ne_u16_e64 s[12:13], s11, v24
	v_bfrev_b32_e32 v29, 1
	s_and_saveexec_b64 s[24:25], s[12:13]
	s_cbranch_execz .LBB466_441
; %bb.438:
	v_bfe_u32 v24, v19, 16, 7
	s_movk_i32 s11, 0x7f
	v_cmp_ne_u32_e64 s[12:13], s11, v24
	v_mov_b32_e32 v29, 0x7f800001
	s_and_saveexec_b64 s[26:27], s[12:13]
	s_cbranch_execz .LBB466_440
; %bb.439:
	v_and_b32_e32 v29, 7, v22
	v_ffbh_u32_e32 v32, v29
	v_min_u32_e32 v34, 32, v32
	v_subrev_u32_e32 v32, 28, v34
	v_lshlrev_b64 v[32:33], v32, v[22:23]
	v_and_b32_e32 v32, 7, v32
	v_cmp_gt_u32_e64 s[12:13], 8, v24
	v_lshrrev_b32_e32 v31, 3, v24
	v_sub_u32_e32 v22, 29, v34
	v_cndmask_b32_e64 v24, v29, v32, s[12:13]
	v_mov_b32_e32 v29, 24
	v_cndmask_b32_e64 v22, v31, v22, s[12:13]
	v_lshlrev_b32_sdwa v29, v29, v19 dst_sel:DWORD dst_unused:UNUSED_PAD src0_sel:DWORD src1_sel:WORD_1
	v_bfrev_b32_e32 v31, 60
	v_lshlrev_b32_e32 v24, 20, v24
	v_and_b32_e32 v29, 0x80000000, v29
	v_lshl_add_u32 v22, v22, 23, v31
	v_or3_b32 v29, v29, v22, v24
.LBB466_440:
	s_or_b64 exec, exec, s[26:27]
.LBB466_441:
	s_or_b64 exec, exec, s[24:25]
.LBB466_442:
	s_or_b64 exec, exec, s[14:15]
	s_mov_b32 s12, -1
	s_mov_b32 s13, 0xffffff
	v_cmp_lt_u64_e64 s[12:13], s[12:13], v[18:19]
	v_mov_b32_e32 v24, 0
	v_mov_b32_e32 v22, 0
	s_and_saveexec_b64 s[14:15], s[12:13]
	s_cbranch_execz .LBB466_448
; %bb.443:
	v_lshrrev_b32_e32 v18, 24, v19
	s_movk_i32 s11, 0x80
	v_cmp_ne_u32_e64 s[12:13], s11, v18
	v_bfrev_b32_e32 v22, 1
	s_and_saveexec_b64 s[24:25], s[12:13]
	s_cbranch_execz .LBB466_447
; %bb.444:
	v_bfe_u32 v19, v19, 24, 7
	s_movk_i32 s11, 0x7f
	v_cmp_ne_u32_e64 s[12:13], s11, v19
	v_mov_b32_e32 v22, 0x7f800001
	s_and_saveexec_b64 s[26:27], s[12:13]
	s_cbranch_execz .LBB466_446
; %bb.445:
	v_and_b32_e32 v22, 7, v18
	v_ffbh_u32_e32 v32, v22
	v_min_u32_e32 v34, 32, v32
	v_subrev_u32_e32 v32, 28, v34
	v_lshlrev_b64 v[32:33], v32, v[18:19]
	v_lshrrev_b32_e32 v31, 3, v19
	v_sub_u32_e32 v33, 29, v34
	v_and_b32_e32 v32, 7, v32
	v_cmp_gt_u32_e64 s[12:13], 8, v19
	v_cndmask_b32_e64 v19, v31, v33, s[12:13]
	v_cndmask_b32_e64 v22, v22, v32, s[12:13]
	v_lshlrev_b32_e32 v18, 24, v18
	v_bfrev_b32_e32 v31, 60
	v_lshlrev_b32_e32 v22, 20, v22
	v_and_b32_e32 v18, 0x80000000, v18
	v_lshl_add_u32 v19, v19, 23, v31
	v_or3_b32 v22, v18, v19, v22
.LBB466_446:
	s_or_b64 exec, exec, s[26:27]
.LBB466_447:
	s_or_b64 exec, exec, s[24:25]
.LBB466_448:
	s_or_b64 exec, exec, s[14:15]
	v_cvt_pkrtz_f16_f32 v18, v26, v27
	v_cvt_pkrtz_f16_f32 v19, v25, v28
	;; [unrolled: 1-line block ×4, first 2 shown]
	v_mfma_f32_4x4x4f16 a[0:3], v[2:3], v[18:19], a[0:3] cbsz:4 abid:8
	v_cmp_ne_u16_sdwa s[12:13], v20, v24 src0_sel:BYTE_0 src1_sel:DWORD
	v_mfma_f32_4x4x4f16 a[0:3], v[4:5], v[26:27], a[0:3] cbsz:4 abid:8
	s_and_saveexec_b64 s[14:15], s[12:13]
	s_cbranch_execz .LBB466_454
; %bb.449:
	s_movk_i32 s11, 0x80
	v_cmp_ne_u16_sdwa s[12:13], v20, s11 src0_sel:BYTE_0 src1_sel:DWORD
	v_bfrev_b32_e32 v24, 1
	s_and_saveexec_b64 s[24:25], s[12:13]
	s_cbranch_execz .LBB466_453
; %bb.450:
	s_movk_i32 s11, 0x7f
	v_and_b32_e32 v18, 0x7f, v20
	v_cmp_ne_u32_e64 s[12:13], s11, v18
	v_mov_b32_e32 v24, 0x7f800001
	s_and_saveexec_b64 s[26:27], s[12:13]
	s_cbranch_execz .LBB466_452
; %bb.451:
	v_and_b32_e32 v19, 7, v20
	v_ffbh_u32_e32 v19, v19
	v_min_u32_e32 v19, 32, v19
	v_subrev_u32_e32 v23, 28, v19
	v_cmp_gt_u32_e64 s[12:13], 8, v18
	v_lshrrev_b32_e32 v22, 3, v18
	v_sub_u32_e32 v19, 29, v19
	v_cndmask_b32_e64 v18, 0, v23, s[12:13]
	v_cndmask_b32_e64 v22, v22, v19, s[12:13]
	v_lshlrev_b64 v[18:19], v18, v[20:21]
	v_lshlrev_b32_e32 v18, 20, v18
	v_lshlrev_b32_e32 v19, 24, v20
	v_bfrev_b32_e32 v23, 60
	v_and_b32_e32 v18, 0x700000, v18
	v_and_b32_e32 v19, 0x80000000, v19
	v_lshl_add_u32 v22, v22, 23, v23
	v_or3_b32 v24, v19, v22, v18
.LBB466_452:
	s_or_b64 exec, exec, s[26:27]
.LBB466_453:
	s_or_b64 exec, exec, s[24:25]
.LBB466_454:
	s_or_b64 exec, exec, s[14:15]
	v_lshrrev_b16_e32 v18, 8, v20
	v_cmp_ne_u16_e64 s[12:13], 0, v18
	v_mov_b32_e32 v23, 0
	v_mov_b32_e32 v25, 0
	s_and_saveexec_b64 s[14:15], s[12:13]
	s_cbranch_execz .LBB466_460
; %bb.455:
	s_movk_i32 s11, 0x80
	v_cmp_ne_u16_e64 s[12:13], s11, v18
	v_bfrev_b32_e32 v25, 1
	s_and_saveexec_b64 s[24:25], s[12:13]
	s_cbranch_execz .LBB466_459
; %bb.456:
	s_movk_i32 s11, 0x7f
	v_and_b32_e32 v19, 0x7f, v18
	v_cmp_ne_u32_e64 s[12:13], s11, v19
	v_mov_b32_e32 v25, 0x7f800001
	s_and_saveexec_b64 s[26:27], s[12:13]
	s_cbranch_execz .LBB466_458
; %bb.457:
	v_and_b32_e32 v22, 7, v18
	v_ffbh_u32_e32 v26, v22
	v_min_u32_e32 v28, 32, v26
	v_subrev_u32_e32 v26, 28, v28
	v_lshlrev_b64 v[26:27], v26, v[18:19]
	v_lshrrev_b32_e32 v25, 3, v19
	v_sub_u32_e32 v18, 29, v28
	v_and_b32_e32 v26, 7, v26
	v_cmp_gt_u32_e64 s[12:13], 8, v19
	v_cndmask_b32_e64 v18, v25, v18, s[12:13]
	v_cndmask_b32_e64 v19, v22, v26, s[12:13]
	v_lshlrev_b32_e32 v22, 16, v20
	v_bfrev_b32_e32 v25, 60
	v_lshlrev_b32_e32 v19, 20, v19
	v_and_b32_e32 v22, 0x80000000, v22
	v_lshl_add_u32 v18, v18, 23, v25
	v_or3_b32 v25, v22, v18, v19
.LBB466_458:
	s_or_b64 exec, exec, s[26:27]
.LBB466_459:
	s_or_b64 exec, exec, s[24:25]
.LBB466_460:
	s_or_b64 exec, exec, s[14:15]
	s_movk_i32 s11, 0xff
	v_and_b32_sdwa v19, v20, s11 dst_sel:DWORD dst_unused:UNUSED_PAD src0_sel:WORD_1 src1_sel:DWORD
	v_lshrrev_b32_e32 v18, 16, v20
	v_cmp_ne_u16_e64 s[12:13], 0, v19
	s_and_saveexec_b64 s[14:15], s[12:13]
	s_cbranch_execz .LBB466_466
; %bb.461:
	s_movk_i32 s11, 0x80
	v_cmp_ne_u16_e64 s[12:13], s11, v19
	v_bfrev_b32_e32 v23, 1
	s_and_saveexec_b64 s[24:25], s[12:13]
	s_cbranch_execz .LBB466_465
; %bb.462:
	v_bfe_u32 v19, v20, 16, 7
	s_movk_i32 s11, 0x7f
	v_cmp_ne_u32_e64 s[12:13], s11, v19
	v_mov_b32_e32 v23, 0x7f800001
	s_and_saveexec_b64 s[26:27], s[12:13]
	s_cbranch_execz .LBB466_464
; %bb.463:
	v_and_b32_e32 v26, 7, v18
	v_ffbh_u32_e32 v22, v26
	v_min_u32_e32 v28, 32, v22
	v_subrev_u32_e32 v22, 28, v28
	v_lshlrev_b64 v[22:23], v22, v[18:19]
	v_and_b32_e32 v22, 7, v22
	v_cmp_gt_u32_e64 s[12:13], 8, v19
	v_lshrrev_b32_e32 v27, 3, v19
	v_sub_u32_e32 v18, 29, v28
	v_cndmask_b32_e64 v19, v26, v22, s[12:13]
	v_mov_b32_e32 v22, 24
	v_cndmask_b32_e64 v18, v27, v18, s[12:13]
	v_lshlrev_b32_sdwa v22, v22, v20 dst_sel:DWORD dst_unused:UNUSED_PAD src0_sel:DWORD src1_sel:WORD_1
	v_bfrev_b32_e32 v23, 60
	v_lshlrev_b32_e32 v19, 20, v19
	v_and_b32_e32 v22, 0x80000000, v22
	v_lshl_add_u32 v18, v18, 23, v23
	v_or3_b32 v23, v22, v18, v19
.LBB466_464:
	s_or_b64 exec, exec, s[26:27]
.LBB466_465:
	s_or_b64 exec, exec, s[24:25]
.LBB466_466:
	s_or_b64 exec, exec, s[14:15]
	s_mov_b32 s11, 0xffffff
	v_cmp_lt_u32_e64 s[12:13], s11, v20
	v_mov_b32_e32 v19, 0
	v_mov_b32_e32 v26, 0
	s_and_saveexec_b64 s[14:15], s[12:13]
	s_cbranch_execz .LBB466_472
; %bb.467:
	v_lshrrev_b32_e32 v18, 24, v20
	s_movk_i32 s11, 0x80
	v_cmp_ne_u32_e64 s[12:13], s11, v18
	v_bfrev_b32_e32 v26, 1
	s_and_saveexec_b64 s[24:25], s[12:13]
	s_cbranch_execz .LBB466_471
; %bb.468:
	v_bfe_u32 v22, v20, 24, 7
	s_movk_i32 s11, 0x7f
	v_cmp_ne_u32_e64 s[12:13], s11, v22
	v_mov_b32_e32 v26, 0x7f800001
	s_and_saveexec_b64 s[26:27], s[12:13]
	s_cbranch_execz .LBB466_470
; %bb.469:
	v_and_b32_e32 v28, 7, v18
	v_ffbh_u32_e32 v26, v28
	v_min_u32_e32 v30, 32, v26
	v_subrev_u32_e32 v26, 28, v30
	v_lshlrev_b64 v[26:27], v26, v[18:19]
	v_lshrrev_b32_e32 v29, 3, v22
	v_sub_u32_e32 v27, 29, v30
	v_and_b32_e32 v26, 7, v26
	v_cmp_gt_u32_e64 s[12:13], 8, v22
	v_cndmask_b32_e64 v22, v29, v27, s[12:13]
	v_cndmask_b32_e64 v26, v28, v26, s[12:13]
	v_lshlrev_b32_e32 v18, 24, v18
	v_bfrev_b32_e32 v27, 60
	v_lshlrev_b32_e32 v26, 20, v26
	v_and_b32_e32 v18, 0x80000000, v18
	v_lshl_add_u32 v22, v22, 23, v27
	v_or3_b32 v26, v18, v22, v26
.LBB466_470:
	s_or_b64 exec, exec, s[26:27]
.LBB466_471:
	s_or_b64 exec, exec, s[24:25]
.LBB466_472:
	s_or_b64 exec, exec, s[14:15]
	v_mov_b32_e32 v18, v21
	v_cmp_ne_u16_sdwa s[12:13], v21, v19 src0_sel:BYTE_0 src1_sel:DWORD
	s_and_saveexec_b64 s[14:15], s[12:13]
	s_cbranch_execz .LBB466_478
; %bb.473:
	s_movk_i32 s11, 0x80
	v_cmp_ne_u16_sdwa s[12:13], v21, s11 src0_sel:BYTE_0 src1_sel:DWORD
	v_bfrev_b32_e32 v22, 1
	s_and_saveexec_b64 s[24:25], s[12:13]
	s_cbranch_execz .LBB466_477
; %bb.474:
	s_movk_i32 s11, 0x7f
	v_and_b32_e32 v27, 0x7f, v21
	v_cmp_ne_u32_e64 s[12:13], s11, v27
	v_mov_b32_e32 v22, 0x7f800001
	s_and_saveexec_b64 s[26:27], s[12:13]
	s_cbranch_execz .LBB466_476
; %bb.475:
	v_and_b32_e32 v22, 7, v21
	v_ffbh_u32_e32 v22, v22
	v_min_u32_e32 v22, 32, v22
	v_subrev_u32_e32 v29, 28, v22
	v_cmp_gt_u32_e64 s[12:13], 8, v27
	v_lshrrev_b32_e32 v28, 3, v27
	v_sub_u32_e32 v22, 29, v22
	v_cndmask_b32_e64 v27, 0, v29, s[12:13]
	v_cndmask_b32_e64 v22, v28, v22, s[12:13]
	v_lshlrev_b64 v[28:29], v27, v[18:19]
	v_lshlrev_b32_e32 v19, 20, v28
	v_lshlrev_b32_e32 v27, 24, v18
	v_bfrev_b32_e32 v28, 60
	v_and_b32_e32 v19, 0x700000, v19
	v_and_b32_e32 v27, 0x80000000, v27
	v_lshl_add_u32 v22, v22, 23, v28
	v_or3_b32 v22, v27, v22, v19
.LBB466_476:
	s_or_b64 exec, exec, s[26:27]
.LBB466_477:
	s_or_b64 exec, exec, s[24:25]
	v_mov_b32_e32 v19, v22
.LBB466_478:
	s_or_b64 exec, exec, s[14:15]
	v_lshrrev_b16_e32 v22, 8, v18
	v_cmp_ne_u16_e64 s[12:13], 0, v22
	v_mov_b32_e32 v27, 0
	v_mov_b32_e32 v28, 0
	s_and_saveexec_b64 s[14:15], s[12:13]
	s_cbranch_execz .LBB466_484
; %bb.479:
	s_movk_i32 s11, 0x80
	v_cmp_ne_u16_e64 s[12:13], s11, v22
	v_bfrev_b32_e32 v28, 1
	s_and_saveexec_b64 s[24:25], s[12:13]
	s_cbranch_execz .LBB466_483
; %bb.480:
	s_movk_i32 s11, 0x7f
	v_and_b32_e32 v29, 0x7f, v22
	v_cmp_ne_u32_e64 s[12:13], s11, v29
	v_mov_b32_e32 v28, 0x7f800001
	s_and_saveexec_b64 s[26:27], s[12:13]
	s_cbranch_execz .LBB466_482
; %bb.481:
	v_and_b32_e32 v28, 7, v22
	v_ffbh_u32_e32 v30, v28
	v_min_u32_e32 v33, 32, v30
	v_subrev_u32_e32 v30, 28, v33
	v_lshlrev_b64 v[30:31], v30, v[22:23]
	v_lshrrev_b32_e32 v32, 3, v29
	v_sub_u32_e32 v22, 29, v33
	v_and_b32_e32 v30, 7, v30
	v_cmp_gt_u32_e64 s[12:13], 8, v29
	v_cndmask_b32_e64 v22, v32, v22, s[12:13]
	v_cndmask_b32_e64 v28, v28, v30, s[12:13]
	v_lshlrev_b32_e32 v18, 16, v18
	v_bfrev_b32_e32 v29, 60
	v_lshlrev_b32_e32 v28, 20, v28
	v_and_b32_e32 v18, 0x80000000, v18
	v_lshl_add_u32 v22, v22, 23, v29
	v_or3_b32 v28, v18, v22, v28
.LBB466_482:
	s_or_b64 exec, exec, s[26:27]
.LBB466_483:
	s_or_b64 exec, exec, s[24:25]
.LBB466_484:
	s_or_b64 exec, exec, s[14:15]
	s_movk_i32 s11, 0xff
	v_and_b32_sdwa v22, v21, s11 dst_sel:DWORD dst_unused:UNUSED_PAD src0_sel:WORD_1 src1_sel:DWORD
	v_lshrrev_b32_e32 v18, 16, v21
	v_cmp_ne_u16_e64 s[12:13], 0, v22
	s_and_saveexec_b64 s[14:15], s[12:13]
	s_cbranch_execz .LBB466_490
; %bb.485:
	s_movk_i32 s11, 0x80
	v_cmp_ne_u16_e64 s[12:13], s11, v22
	v_bfrev_b32_e32 v27, 1
	s_and_saveexec_b64 s[24:25], s[12:13]
	s_cbranch_execz .LBB466_489
; %bb.486:
	v_bfe_u32 v22, v21, 16, 7
	s_movk_i32 s11, 0x7f
	v_cmp_ne_u32_e64 s[12:13], s11, v22
	v_mov_b32_e32 v27, 0x7f800001
	s_and_saveexec_b64 s[26:27], s[12:13]
	s_cbranch_execz .LBB466_488
; %bb.487:
	v_and_b32_e32 v27, 7, v18
	v_ffbh_u32_e32 v30, v27
	v_min_u32_e32 v32, 32, v30
	v_subrev_u32_e32 v30, 28, v32
	v_lshlrev_b64 v[30:31], v30, v[18:19]
	v_and_b32_e32 v30, 7, v30
	v_cmp_gt_u32_e64 s[12:13], 8, v22
	v_lshrrev_b32_e32 v29, 3, v22
	v_sub_u32_e32 v18, 29, v32
	v_cndmask_b32_e64 v22, v27, v30, s[12:13]
	v_mov_b32_e32 v27, 24
	v_cndmask_b32_e64 v18, v29, v18, s[12:13]
	v_lshlrev_b32_sdwa v27, v27, v21 dst_sel:DWORD dst_unused:UNUSED_PAD src0_sel:DWORD src1_sel:WORD_1
	v_bfrev_b32_e32 v29, 60
	v_lshlrev_b32_e32 v22, 20, v22
	v_and_b32_e32 v27, 0x80000000, v27
	v_lshl_add_u32 v18, v18, 23, v29
	v_or3_b32 v27, v27, v18, v22
.LBB466_488:
	s_or_b64 exec, exec, s[26:27]
.LBB466_489:
	s_or_b64 exec, exec, s[24:25]
.LBB466_490:
	s_or_b64 exec, exec, s[14:15]
	s_mov_b32 s12, -1
	s_mov_b32 s13, 0xffffff
	v_cmp_lt_u64_e64 s[12:13], s[12:13], v[20:21]
	v_mov_b32_e32 v22, 0
	v_mov_b32_e32 v20, 0
	s_and_saveexec_b64 s[14:15], s[12:13]
	s_cbranch_execz .LBB466_496
; %bb.491:
	v_lshrrev_b32_e32 v18, 24, v21
	s_movk_i32 s11, 0x80
	v_cmp_ne_u32_e64 s[12:13], s11, v18
	v_bfrev_b32_e32 v20, 1
	s_and_saveexec_b64 s[24:25], s[12:13]
	s_cbranch_execz .LBB466_495
; %bb.492:
	v_bfe_u32 v21, v21, 24, 7
	s_movk_i32 s11, 0x7f
	v_cmp_ne_u32_e64 s[12:13], s11, v21
	v_mov_b32_e32 v20, 0x7f800001
	s_and_saveexec_b64 s[26:27], s[12:13]
	s_cbranch_execz .LBB466_494
; %bb.493:
	v_and_b32_e32 v20, 7, v18
	v_ffbh_u32_e32 v30, v20
	v_min_u32_e32 v32, 32, v30
	v_subrev_u32_e32 v30, 28, v32
	v_lshlrev_b64 v[30:31], v30, v[18:19]
	v_lshrrev_b32_e32 v29, 3, v21
	v_sub_u32_e32 v31, 29, v32
	v_and_b32_e32 v30, 7, v30
	v_cmp_gt_u32_e64 s[12:13], 8, v21
	v_cndmask_b32_e64 v21, v29, v31, s[12:13]
	v_cndmask_b32_e64 v20, v20, v30, s[12:13]
	v_lshlrev_b32_e32 v18, 24, v18
	v_bfrev_b32_e32 v29, 60
	v_lshlrev_b32_e32 v20, 20, v20
	v_and_b32_e32 v18, 0x80000000, v18
	v_lshl_add_u32 v21, v21, 23, v29
	v_or3_b32 v20, v18, v21, v20
.LBB466_494:
	s_or_b64 exec, exec, s[26:27]
.LBB466_495:
	s_or_b64 exec, exec, s[24:25]
.LBB466_496:
	s_or_b64 exec, exec, s[14:15]
	v_cvt_pkrtz_f16_f32 v24, v24, v25
	v_cvt_pkrtz_f16_f32 v25, v23, v26
	;; [unrolled: 1-line block ×4, first 2 shown]
	v_mfma_f32_4x4x4f16 a[0:3], v[2:3], v[24:25], a[0:3] cbsz:4 abid:9
	v_cmp_ne_u16_sdwa s[12:13], v14, v22 src0_sel:BYTE_0 src1_sel:DWORD
	v_mfma_f32_4x4x4f16 a[0:3], v[4:5], v[18:19], a[0:3] cbsz:4 abid:9
	s_and_saveexec_b64 s[14:15], s[12:13]
	s_cbranch_execz .LBB466_502
; %bb.497:
	s_movk_i32 s11, 0x80
	v_cmp_ne_u16_sdwa s[12:13], v14, s11 src0_sel:BYTE_0 src1_sel:DWORD
	v_bfrev_b32_e32 v22, 1
	s_and_saveexec_b64 s[24:25], s[12:13]
	s_cbranch_execz .LBB466_501
; %bb.498:
	s_movk_i32 s11, 0x7f
	v_and_b32_e32 v18, 0x7f, v14
	v_cmp_ne_u32_e64 s[12:13], s11, v18
	v_mov_b32_e32 v22, 0x7f800001
	s_and_saveexec_b64 s[26:27], s[12:13]
	s_cbranch_execz .LBB466_500
; %bb.499:
	v_and_b32_e32 v19, 7, v14
	v_ffbh_u32_e32 v19, v19
	v_min_u32_e32 v19, 32, v19
	v_subrev_u32_e32 v21, 28, v19
	v_cmp_gt_u32_e64 s[12:13], 8, v18
	v_lshrrev_b32_e32 v20, 3, v18
	v_sub_u32_e32 v19, 29, v19
	v_cndmask_b32_e64 v18, 0, v21, s[12:13]
	v_cndmask_b32_e64 v20, v20, v19, s[12:13]
	v_lshlrev_b64 v[18:19], v18, v[14:15]
	v_lshlrev_b32_e32 v18, 20, v18
	v_lshlrev_b32_e32 v19, 24, v14
	v_bfrev_b32_e32 v21, 60
	v_and_b32_e32 v18, 0x700000, v18
	v_and_b32_e32 v19, 0x80000000, v19
	v_lshl_add_u32 v20, v20, 23, v21
	v_or3_b32 v22, v19, v20, v18
.LBB466_500:
	s_or_b64 exec, exec, s[26:27]
.LBB466_501:
	s_or_b64 exec, exec, s[24:25]
.LBB466_502:
	s_or_b64 exec, exec, s[14:15]
	v_lshrrev_b16_e32 v18, 8, v14
	v_cmp_ne_u16_e64 s[12:13], 0, v18
	v_mov_b32_e32 v21, 0
	v_mov_b32_e32 v23, 0
	s_and_saveexec_b64 s[14:15], s[12:13]
	s_cbranch_execz .LBB466_508
; %bb.503:
	s_movk_i32 s11, 0x80
	v_cmp_ne_u16_e64 s[12:13], s11, v18
	v_bfrev_b32_e32 v23, 1
	s_and_saveexec_b64 s[24:25], s[12:13]
	s_cbranch_execz .LBB466_507
; %bb.504:
	s_movk_i32 s11, 0x7f
	v_and_b32_e32 v19, 0x7f, v18
	v_cmp_ne_u32_e64 s[12:13], s11, v19
	v_mov_b32_e32 v23, 0x7f800001
	s_and_saveexec_b64 s[26:27], s[12:13]
	s_cbranch_execz .LBB466_506
; %bb.505:
	v_and_b32_e32 v20, 7, v18
	v_ffbh_u32_e32 v24, v20
	v_min_u32_e32 v26, 32, v24
	v_subrev_u32_e32 v24, 28, v26
	v_lshlrev_b64 v[24:25], v24, v[18:19]
	v_lshrrev_b32_e32 v23, 3, v19
	v_sub_u32_e32 v18, 29, v26
	v_and_b32_e32 v24, 7, v24
	v_cmp_gt_u32_e64 s[12:13], 8, v19
	v_cndmask_b32_e64 v18, v23, v18, s[12:13]
	v_cndmask_b32_e64 v19, v20, v24, s[12:13]
	v_lshlrev_b32_e32 v20, 16, v14
	v_bfrev_b32_e32 v23, 60
	v_lshlrev_b32_e32 v19, 20, v19
	v_and_b32_e32 v20, 0x80000000, v20
	v_lshl_add_u32 v18, v18, 23, v23
	v_or3_b32 v23, v20, v18, v19
.LBB466_506:
	s_or_b64 exec, exec, s[26:27]
.LBB466_507:
	s_or_b64 exec, exec, s[24:25]
.LBB466_508:
	s_or_b64 exec, exec, s[14:15]
	s_movk_i32 s11, 0xff
	v_and_b32_sdwa v19, v14, s11 dst_sel:DWORD dst_unused:UNUSED_PAD src0_sel:WORD_1 src1_sel:DWORD
	v_lshrrev_b32_e32 v18, 16, v14
	v_cmp_ne_u16_e64 s[12:13], 0, v19
	s_and_saveexec_b64 s[14:15], s[12:13]
	s_cbranch_execz .LBB466_514
; %bb.509:
	s_movk_i32 s11, 0x80
	v_cmp_ne_u16_e64 s[12:13], s11, v19
	v_bfrev_b32_e32 v21, 1
	s_and_saveexec_b64 s[24:25], s[12:13]
	s_cbranch_execz .LBB466_513
; %bb.510:
	v_bfe_u32 v19, v14, 16, 7
	s_movk_i32 s11, 0x7f
	v_cmp_ne_u32_e64 s[12:13], s11, v19
	v_mov_b32_e32 v21, 0x7f800001
	s_and_saveexec_b64 s[26:27], s[12:13]
	s_cbranch_execz .LBB466_512
; %bb.511:
	v_and_b32_e32 v24, 7, v18
	v_ffbh_u32_e32 v20, v24
	v_min_u32_e32 v26, 32, v20
	v_subrev_u32_e32 v20, 28, v26
	v_lshlrev_b64 v[20:21], v20, v[18:19]
	v_and_b32_e32 v20, 7, v20
	v_cmp_gt_u32_e64 s[12:13], 8, v19
	v_lshrrev_b32_e32 v25, 3, v19
	v_sub_u32_e32 v18, 29, v26
	v_cndmask_b32_e64 v19, v24, v20, s[12:13]
	v_mov_b32_e32 v20, 24
	v_cndmask_b32_e64 v18, v25, v18, s[12:13]
	v_lshlrev_b32_sdwa v20, v20, v14 dst_sel:DWORD dst_unused:UNUSED_PAD src0_sel:DWORD src1_sel:WORD_1
	v_bfrev_b32_e32 v21, 60
	v_lshlrev_b32_e32 v19, 20, v19
	v_and_b32_e32 v20, 0x80000000, v20
	v_lshl_add_u32 v18, v18, 23, v21
	v_or3_b32 v21, v20, v18, v19
.LBB466_512:
	s_or_b64 exec, exec, s[26:27]
.LBB466_513:
	s_or_b64 exec, exec, s[24:25]
.LBB466_514:
	s_or_b64 exec, exec, s[14:15]
	s_mov_b32 s11, 0xffffff
	v_cmp_lt_u32_e64 s[12:13], s11, v14
	v_mov_b32_e32 v19, 0
	v_mov_b32_e32 v24, 0
	s_and_saveexec_b64 s[14:15], s[12:13]
	s_cbranch_execz .LBB466_520
; %bb.515:
	v_lshrrev_b32_e32 v18, 24, v14
	s_movk_i32 s11, 0x80
	v_cmp_ne_u32_e64 s[12:13], s11, v18
	v_bfrev_b32_e32 v24, 1
	s_and_saveexec_b64 s[24:25], s[12:13]
	s_cbranch_execz .LBB466_519
; %bb.516:
	v_bfe_u32 v20, v14, 24, 7
	s_movk_i32 s11, 0x7f
	v_cmp_ne_u32_e64 s[12:13], s11, v20
	v_mov_b32_e32 v24, 0x7f800001
	s_and_saveexec_b64 s[26:27], s[12:13]
	s_cbranch_execz .LBB466_518
; %bb.517:
	v_and_b32_e32 v26, 7, v18
	v_ffbh_u32_e32 v24, v26
	v_min_u32_e32 v28, 32, v24
	v_subrev_u32_e32 v24, 28, v28
	v_lshlrev_b64 v[24:25], v24, v[18:19]
	v_lshrrev_b32_e32 v27, 3, v20
	v_sub_u32_e32 v25, 29, v28
	v_and_b32_e32 v24, 7, v24
	v_cmp_gt_u32_e64 s[12:13], 8, v20
	v_cndmask_b32_e64 v20, v27, v25, s[12:13]
	v_cndmask_b32_e64 v24, v26, v24, s[12:13]
	v_lshlrev_b32_e32 v18, 24, v18
	v_bfrev_b32_e32 v25, 60
	v_lshlrev_b32_e32 v24, 20, v24
	v_and_b32_e32 v18, 0x80000000, v18
	v_lshl_add_u32 v20, v20, 23, v25
	v_or3_b32 v24, v18, v20, v24
.LBB466_518:
	s_or_b64 exec, exec, s[26:27]
.LBB466_519:
	s_or_b64 exec, exec, s[24:25]
.LBB466_520:
	s_or_b64 exec, exec, s[14:15]
	v_mov_b32_e32 v18, v15
	v_cmp_ne_u16_sdwa s[12:13], v15, v19 src0_sel:BYTE_0 src1_sel:DWORD
	s_and_saveexec_b64 s[14:15], s[12:13]
	s_cbranch_execz .LBB466_526
; %bb.521:
	s_movk_i32 s11, 0x80
	v_cmp_ne_u16_sdwa s[12:13], v15, s11 src0_sel:BYTE_0 src1_sel:DWORD
	v_bfrev_b32_e32 v20, 1
	s_and_saveexec_b64 s[24:25], s[12:13]
	s_cbranch_execz .LBB466_525
; %bb.522:
	s_movk_i32 s11, 0x7f
	v_and_b32_e32 v25, 0x7f, v15
	v_cmp_ne_u32_e64 s[12:13], s11, v25
	v_mov_b32_e32 v20, 0x7f800001
	s_and_saveexec_b64 s[26:27], s[12:13]
	s_cbranch_execz .LBB466_524
; %bb.523:
	v_and_b32_e32 v20, 7, v15
	v_ffbh_u32_e32 v20, v20
	v_min_u32_e32 v20, 32, v20
	v_subrev_u32_e32 v27, 28, v20
	v_cmp_gt_u32_e64 s[12:13], 8, v25
	v_lshrrev_b32_e32 v26, 3, v25
	v_sub_u32_e32 v20, 29, v20
	v_cndmask_b32_e64 v25, 0, v27, s[12:13]
	v_cndmask_b32_e64 v20, v26, v20, s[12:13]
	v_lshlrev_b64 v[26:27], v25, v[18:19]
	v_lshlrev_b32_e32 v19, 20, v26
	v_lshlrev_b32_e32 v25, 24, v18
	v_bfrev_b32_e32 v26, 60
	v_and_b32_e32 v19, 0x700000, v19
	v_and_b32_e32 v25, 0x80000000, v25
	v_lshl_add_u32 v20, v20, 23, v26
	v_or3_b32 v20, v25, v20, v19
.LBB466_524:
	s_or_b64 exec, exec, s[26:27]
.LBB466_525:
	s_or_b64 exec, exec, s[24:25]
	v_mov_b32_e32 v19, v20
.LBB466_526:
	s_or_b64 exec, exec, s[14:15]
	v_lshrrev_b16_e32 v20, 8, v18
	v_cmp_ne_u16_e64 s[12:13], 0, v20
	v_mov_b32_e32 v25, 0
	v_mov_b32_e32 v26, 0
	s_and_saveexec_b64 s[14:15], s[12:13]
	s_cbranch_execz .LBB466_532
; %bb.527:
	s_movk_i32 s11, 0x80
	v_cmp_ne_u16_e64 s[12:13], s11, v20
	v_bfrev_b32_e32 v26, 1
	s_and_saveexec_b64 s[24:25], s[12:13]
	s_cbranch_execz .LBB466_531
; %bb.528:
	s_movk_i32 s11, 0x7f
	v_and_b32_e32 v27, 0x7f, v20
	v_cmp_ne_u32_e64 s[12:13], s11, v27
	v_mov_b32_e32 v26, 0x7f800001
	s_and_saveexec_b64 s[26:27], s[12:13]
	s_cbranch_execz .LBB466_530
; %bb.529:
	v_and_b32_e32 v26, 7, v20
	v_ffbh_u32_e32 v28, v26
	v_min_u32_e32 v31, 32, v28
	v_subrev_u32_e32 v28, 28, v31
	v_lshlrev_b64 v[28:29], v28, v[20:21]
	v_lshrrev_b32_e32 v30, 3, v27
	v_sub_u32_e32 v20, 29, v31
	v_and_b32_e32 v28, 7, v28
	v_cmp_gt_u32_e64 s[12:13], 8, v27
	v_cndmask_b32_e64 v20, v30, v20, s[12:13]
	v_cndmask_b32_e64 v26, v26, v28, s[12:13]
	v_lshlrev_b32_e32 v18, 16, v18
	v_bfrev_b32_e32 v27, 60
	v_lshlrev_b32_e32 v26, 20, v26
	v_and_b32_e32 v18, 0x80000000, v18
	v_lshl_add_u32 v20, v20, 23, v27
	v_or3_b32 v26, v18, v20, v26
.LBB466_530:
	s_or_b64 exec, exec, s[26:27]
.LBB466_531:
	s_or_b64 exec, exec, s[24:25]
.LBB466_532:
	s_or_b64 exec, exec, s[14:15]
	s_movk_i32 s11, 0xff
	v_and_b32_sdwa v20, v15, s11 dst_sel:DWORD dst_unused:UNUSED_PAD src0_sel:WORD_1 src1_sel:DWORD
	v_lshrrev_b32_e32 v18, 16, v15
	v_cmp_ne_u16_e64 s[12:13], 0, v20
	s_and_saveexec_b64 s[14:15], s[12:13]
	s_cbranch_execz .LBB466_538
; %bb.533:
	s_movk_i32 s11, 0x80
	v_cmp_ne_u16_e64 s[12:13], s11, v20
	v_bfrev_b32_e32 v25, 1
	s_and_saveexec_b64 s[24:25], s[12:13]
	s_cbranch_execz .LBB466_537
; %bb.534:
	v_bfe_u32 v20, v15, 16, 7
	s_movk_i32 s11, 0x7f
	v_cmp_ne_u32_e64 s[12:13], s11, v20
	v_mov_b32_e32 v25, 0x7f800001
	s_and_saveexec_b64 s[26:27], s[12:13]
	s_cbranch_execz .LBB466_536
; %bb.535:
	v_and_b32_e32 v25, 7, v18
	v_ffbh_u32_e32 v28, v25
	v_min_u32_e32 v30, 32, v28
	v_subrev_u32_e32 v28, 28, v30
	v_lshlrev_b64 v[28:29], v28, v[18:19]
	v_and_b32_e32 v28, 7, v28
	v_cmp_gt_u32_e64 s[12:13], 8, v20
	v_lshrrev_b32_e32 v27, 3, v20
	v_sub_u32_e32 v18, 29, v30
	v_cndmask_b32_e64 v20, v25, v28, s[12:13]
	v_mov_b32_e32 v25, 24
	v_cndmask_b32_e64 v18, v27, v18, s[12:13]
	v_lshlrev_b32_sdwa v25, v25, v15 dst_sel:DWORD dst_unused:UNUSED_PAD src0_sel:DWORD src1_sel:WORD_1
	v_bfrev_b32_e32 v27, 60
	v_lshlrev_b32_e32 v20, 20, v20
	v_and_b32_e32 v25, 0x80000000, v25
	v_lshl_add_u32 v18, v18, 23, v27
	v_or3_b32 v25, v25, v18, v20
.LBB466_536:
	s_or_b64 exec, exec, s[26:27]
.LBB466_537:
	s_or_b64 exec, exec, s[24:25]
.LBB466_538:
	s_or_b64 exec, exec, s[14:15]
	s_mov_b32 s12, -1
	s_mov_b32 s13, 0xffffff
	v_cmp_lt_u64_e64 s[12:13], s[12:13], v[14:15]
	v_mov_b32_e32 v20, 0
	v_mov_b32_e32 v18, 0
	s_and_saveexec_b64 s[14:15], s[12:13]
	s_cbranch_execz .LBB466_544
; %bb.539:
	v_lshrrev_b32_e32 v14, 24, v15
	s_movk_i32 s11, 0x80
	v_cmp_ne_u32_e64 s[12:13], s11, v14
	v_bfrev_b32_e32 v18, 1
	s_and_saveexec_b64 s[24:25], s[12:13]
	s_cbranch_execz .LBB466_543
; %bb.540:
	v_bfe_u32 v15, v15, 24, 7
	s_movk_i32 s11, 0x7f
	v_cmp_ne_u32_e64 s[12:13], s11, v15
	v_mov_b32_e32 v18, 0x7f800001
	s_and_saveexec_b64 s[26:27], s[12:13]
	s_cbranch_execz .LBB466_542
; %bb.541:
	v_and_b32_e32 v18, 7, v14
	v_ffbh_u32_e32 v28, v18
	v_min_u32_e32 v30, 32, v28
	v_subrev_u32_e32 v28, 28, v30
	v_lshlrev_b64 v[28:29], v28, v[14:15]
	v_lshrrev_b32_e32 v27, 3, v15
	v_sub_u32_e32 v29, 29, v30
	v_and_b32_e32 v28, 7, v28
	v_cmp_gt_u32_e64 s[12:13], 8, v15
	v_cndmask_b32_e64 v15, v27, v29, s[12:13]
	v_cndmask_b32_e64 v18, v18, v28, s[12:13]
	v_lshlrev_b32_e32 v14, 24, v14
	v_bfrev_b32_e32 v27, 60
	v_lshlrev_b32_e32 v18, 20, v18
	v_and_b32_e32 v14, 0x80000000, v14
	v_lshl_add_u32 v15, v15, 23, v27
	v_or3_b32 v18, v14, v15, v18
.LBB466_542:
	s_or_b64 exec, exec, s[26:27]
.LBB466_543:
	s_or_b64 exec, exec, s[24:25]
.LBB466_544:
	s_or_b64 exec, exec, s[14:15]
	v_cvt_pkrtz_f16_f32 v14, v22, v23
	v_cvt_pkrtz_f16_f32 v15, v21, v24
	;; [unrolled: 1-line block ×4, first 2 shown]
	v_mfma_f32_4x4x4f16 a[0:3], v[2:3], v[14:15], a[0:3] cbsz:4 abid:10
	v_cmp_ne_u16_sdwa s[12:13], v16, v20 src0_sel:BYTE_0 src1_sel:DWORD
	v_mfma_f32_4x4x4f16 a[0:3], v[4:5], v[22:23], a[0:3] cbsz:4 abid:10
	s_and_saveexec_b64 s[14:15], s[12:13]
	s_cbranch_execz .LBB466_550
; %bb.545:
	s_movk_i32 s11, 0x80
	v_cmp_ne_u16_sdwa s[12:13], v16, s11 src0_sel:BYTE_0 src1_sel:DWORD
	v_bfrev_b32_e32 v20, 1
	s_and_saveexec_b64 s[24:25], s[12:13]
	s_cbranch_execz .LBB466_549
; %bb.546:
	s_movk_i32 s11, 0x7f
	v_and_b32_e32 v14, 0x7f, v16
	v_cmp_ne_u32_e64 s[12:13], s11, v14
	v_mov_b32_e32 v20, 0x7f800001
	s_and_saveexec_b64 s[26:27], s[12:13]
	s_cbranch_execz .LBB466_548
; %bb.547:
	v_and_b32_e32 v15, 7, v16
	v_ffbh_u32_e32 v15, v15
	v_min_u32_e32 v15, 32, v15
	v_subrev_u32_e32 v19, 28, v15
	v_cmp_gt_u32_e64 s[12:13], 8, v14
	v_lshrrev_b32_e32 v18, 3, v14
	v_sub_u32_e32 v15, 29, v15
	v_cndmask_b32_e64 v14, 0, v19, s[12:13]
	v_cndmask_b32_e64 v18, v18, v15, s[12:13]
	v_lshlrev_b64 v[14:15], v14, v[16:17]
	v_lshlrev_b32_e32 v14, 20, v14
	v_lshlrev_b32_e32 v15, 24, v16
	v_bfrev_b32_e32 v19, 60
	v_and_b32_e32 v14, 0x700000, v14
	v_and_b32_e32 v15, 0x80000000, v15
	v_lshl_add_u32 v18, v18, 23, v19
	v_or3_b32 v20, v15, v18, v14
.LBB466_548:
	s_or_b64 exec, exec, s[26:27]
.LBB466_549:
	s_or_b64 exec, exec, s[24:25]
.LBB466_550:
	s_or_b64 exec, exec, s[14:15]
	v_lshrrev_b16_e32 v14, 8, v16
	v_cmp_ne_u16_e64 s[12:13], 0, v14
	v_mov_b32_e32 v19, 0
	v_mov_b32_e32 v21, 0
	s_and_saveexec_b64 s[14:15], s[12:13]
	s_cbranch_execz .LBB466_556
; %bb.551:
	s_movk_i32 s11, 0x80
	v_cmp_ne_u16_e64 s[12:13], s11, v14
	v_bfrev_b32_e32 v21, 1
	s_and_saveexec_b64 s[24:25], s[12:13]
	s_cbranch_execz .LBB466_555
; %bb.552:
	s_movk_i32 s11, 0x7f
	v_and_b32_e32 v15, 0x7f, v14
	v_cmp_ne_u32_e64 s[12:13], s11, v15
	v_mov_b32_e32 v21, 0x7f800001
	s_and_saveexec_b64 s[26:27], s[12:13]
	s_cbranch_execz .LBB466_554
; %bb.553:
	v_and_b32_e32 v18, 7, v14
	v_ffbh_u32_e32 v22, v18
	v_min_u32_e32 v24, 32, v22
	v_subrev_u32_e32 v22, 28, v24
	v_lshlrev_b64 v[22:23], v22, v[14:15]
	v_lshrrev_b32_e32 v21, 3, v15
	v_sub_u32_e32 v14, 29, v24
	v_and_b32_e32 v22, 7, v22
	v_cmp_gt_u32_e64 s[12:13], 8, v15
	v_cndmask_b32_e64 v14, v21, v14, s[12:13]
	v_cndmask_b32_e64 v15, v18, v22, s[12:13]
	v_lshlrev_b32_e32 v18, 16, v16
	v_bfrev_b32_e32 v21, 60
	v_lshlrev_b32_e32 v15, 20, v15
	v_and_b32_e32 v18, 0x80000000, v18
	v_lshl_add_u32 v14, v14, 23, v21
	v_or3_b32 v21, v18, v14, v15
.LBB466_554:
	s_or_b64 exec, exec, s[26:27]
.LBB466_555:
	s_or_b64 exec, exec, s[24:25]
.LBB466_556:
	s_or_b64 exec, exec, s[14:15]
	s_movk_i32 s11, 0xff
	v_and_b32_sdwa v15, v16, s11 dst_sel:DWORD dst_unused:UNUSED_PAD src0_sel:WORD_1 src1_sel:DWORD
	v_lshrrev_b32_e32 v14, 16, v16
	v_cmp_ne_u16_e64 s[12:13], 0, v15
	s_and_saveexec_b64 s[14:15], s[12:13]
	s_cbranch_execz .LBB466_562
; %bb.557:
	s_movk_i32 s11, 0x80
	v_cmp_ne_u16_e64 s[12:13], s11, v15
	v_bfrev_b32_e32 v19, 1
	s_and_saveexec_b64 s[24:25], s[12:13]
	s_cbranch_execz .LBB466_561
; %bb.558:
	v_bfe_u32 v15, v16, 16, 7
	s_movk_i32 s11, 0x7f
	v_cmp_ne_u32_e64 s[12:13], s11, v15
	v_mov_b32_e32 v19, 0x7f800001
	s_and_saveexec_b64 s[26:27], s[12:13]
	s_cbranch_execz .LBB466_560
; %bb.559:
	v_and_b32_e32 v22, 7, v14
	v_ffbh_u32_e32 v18, v22
	v_min_u32_e32 v24, 32, v18
	v_subrev_u32_e32 v18, 28, v24
	v_lshlrev_b64 v[18:19], v18, v[14:15]
	v_and_b32_e32 v18, 7, v18
	v_cmp_gt_u32_e64 s[12:13], 8, v15
	v_lshrrev_b32_e32 v23, 3, v15
	v_sub_u32_e32 v14, 29, v24
	v_cndmask_b32_e64 v15, v22, v18, s[12:13]
	v_mov_b32_e32 v18, 24
	v_cndmask_b32_e64 v14, v23, v14, s[12:13]
	v_lshlrev_b32_sdwa v18, v18, v16 dst_sel:DWORD dst_unused:UNUSED_PAD src0_sel:DWORD src1_sel:WORD_1
	v_bfrev_b32_e32 v19, 60
	v_lshlrev_b32_e32 v15, 20, v15
	v_and_b32_e32 v18, 0x80000000, v18
	v_lshl_add_u32 v14, v14, 23, v19
	v_or3_b32 v19, v18, v14, v15
.LBB466_560:
	s_or_b64 exec, exec, s[26:27]
.LBB466_561:
	s_or_b64 exec, exec, s[24:25]
.LBB466_562:
	s_or_b64 exec, exec, s[14:15]
	s_mov_b32 s11, 0xffffff
	v_cmp_lt_u32_e64 s[12:13], s11, v16
	v_mov_b32_e32 v15, 0
	v_mov_b32_e32 v22, 0
	s_and_saveexec_b64 s[14:15], s[12:13]
	s_cbranch_execz .LBB466_568
; %bb.563:
	v_lshrrev_b32_e32 v14, 24, v16
	s_movk_i32 s11, 0x80
	v_cmp_ne_u32_e64 s[12:13], s11, v14
	v_bfrev_b32_e32 v22, 1
	s_and_saveexec_b64 s[24:25], s[12:13]
	s_cbranch_execz .LBB466_567
; %bb.564:
	v_bfe_u32 v18, v16, 24, 7
	s_movk_i32 s11, 0x7f
	v_cmp_ne_u32_e64 s[12:13], s11, v18
	v_mov_b32_e32 v22, 0x7f800001
	s_and_saveexec_b64 s[26:27], s[12:13]
	s_cbranch_execz .LBB466_566
; %bb.565:
	v_and_b32_e32 v24, 7, v14
	v_ffbh_u32_e32 v22, v24
	v_min_u32_e32 v26, 32, v22
	v_subrev_u32_e32 v22, 28, v26
	v_lshlrev_b64 v[22:23], v22, v[14:15]
	v_lshrrev_b32_e32 v25, 3, v18
	v_sub_u32_e32 v23, 29, v26
	v_and_b32_e32 v22, 7, v22
	v_cmp_gt_u32_e64 s[12:13], 8, v18
	v_cndmask_b32_e64 v18, v25, v23, s[12:13]
	v_cndmask_b32_e64 v22, v24, v22, s[12:13]
	v_lshlrev_b32_e32 v14, 24, v14
	v_bfrev_b32_e32 v23, 60
	v_lshlrev_b32_e32 v22, 20, v22
	v_and_b32_e32 v14, 0x80000000, v14
	v_lshl_add_u32 v18, v18, 23, v23
	v_or3_b32 v22, v14, v18, v22
.LBB466_566:
	s_or_b64 exec, exec, s[26:27]
.LBB466_567:
	s_or_b64 exec, exec, s[24:25]
.LBB466_568:
	s_or_b64 exec, exec, s[14:15]
	v_mov_b32_e32 v14, v17
	v_cmp_ne_u16_sdwa s[12:13], v17, v15 src0_sel:BYTE_0 src1_sel:DWORD
	s_and_saveexec_b64 s[14:15], s[12:13]
	s_cbranch_execz .LBB466_574
; %bb.569:
	s_movk_i32 s11, 0x80
	v_cmp_ne_u16_sdwa s[12:13], v17, s11 src0_sel:BYTE_0 src1_sel:DWORD
	v_bfrev_b32_e32 v18, 1
	s_and_saveexec_b64 s[24:25], s[12:13]
	s_cbranch_execz .LBB466_573
; %bb.570:
	s_movk_i32 s11, 0x7f
	v_and_b32_e32 v23, 0x7f, v17
	v_cmp_ne_u32_e64 s[12:13], s11, v23
	v_mov_b32_e32 v18, 0x7f800001
	s_and_saveexec_b64 s[26:27], s[12:13]
	s_cbranch_execz .LBB466_572
; %bb.571:
	v_and_b32_e32 v18, 7, v17
	v_ffbh_u32_e32 v18, v18
	v_min_u32_e32 v18, 32, v18
	v_subrev_u32_e32 v25, 28, v18
	v_cmp_gt_u32_e64 s[12:13], 8, v23
	v_lshrrev_b32_e32 v24, 3, v23
	v_sub_u32_e32 v18, 29, v18
	v_cndmask_b32_e64 v23, 0, v25, s[12:13]
	v_cndmask_b32_e64 v18, v24, v18, s[12:13]
	v_lshlrev_b64 v[24:25], v23, v[14:15]
	v_lshlrev_b32_e32 v15, 20, v24
	v_lshlrev_b32_e32 v23, 24, v14
	v_bfrev_b32_e32 v24, 60
	v_and_b32_e32 v15, 0x700000, v15
	v_and_b32_e32 v23, 0x80000000, v23
	v_lshl_add_u32 v18, v18, 23, v24
	v_or3_b32 v18, v23, v18, v15
.LBB466_572:
	s_or_b64 exec, exec, s[26:27]
.LBB466_573:
	s_or_b64 exec, exec, s[24:25]
	v_mov_b32_e32 v15, v18
.LBB466_574:
	s_or_b64 exec, exec, s[14:15]
	v_lshrrev_b16_e32 v18, 8, v14
	v_cmp_ne_u16_e64 s[12:13], 0, v18
	v_mov_b32_e32 v23, 0
	v_mov_b32_e32 v24, 0
	s_and_saveexec_b64 s[14:15], s[12:13]
	s_cbranch_execz .LBB466_580
; %bb.575:
	s_movk_i32 s11, 0x80
	v_cmp_ne_u16_e64 s[12:13], s11, v18
	v_bfrev_b32_e32 v24, 1
	s_and_saveexec_b64 s[24:25], s[12:13]
	s_cbranch_execz .LBB466_579
; %bb.576:
	s_movk_i32 s11, 0x7f
	v_and_b32_e32 v25, 0x7f, v18
	v_cmp_ne_u32_e64 s[12:13], s11, v25
	v_mov_b32_e32 v24, 0x7f800001
	s_and_saveexec_b64 s[26:27], s[12:13]
	s_cbranch_execz .LBB466_578
; %bb.577:
	v_and_b32_e32 v24, 7, v18
	v_ffbh_u32_e32 v26, v24
	v_min_u32_e32 v29, 32, v26
	v_subrev_u32_e32 v26, 28, v29
	v_lshlrev_b64 v[26:27], v26, v[18:19]
	v_lshrrev_b32_e32 v28, 3, v25
	v_sub_u32_e32 v18, 29, v29
	v_and_b32_e32 v26, 7, v26
	v_cmp_gt_u32_e64 s[12:13], 8, v25
	v_cndmask_b32_e64 v18, v28, v18, s[12:13]
	v_cndmask_b32_e64 v24, v24, v26, s[12:13]
	v_lshlrev_b32_e32 v14, 16, v14
	v_bfrev_b32_e32 v25, 60
	v_lshlrev_b32_e32 v24, 20, v24
	v_and_b32_e32 v14, 0x80000000, v14
	v_lshl_add_u32 v18, v18, 23, v25
	v_or3_b32 v24, v14, v18, v24
.LBB466_578:
	s_or_b64 exec, exec, s[26:27]
.LBB466_579:
	s_or_b64 exec, exec, s[24:25]
.LBB466_580:
	s_or_b64 exec, exec, s[14:15]
	s_movk_i32 s11, 0xff
	v_and_b32_sdwa v18, v17, s11 dst_sel:DWORD dst_unused:UNUSED_PAD src0_sel:WORD_1 src1_sel:DWORD
	v_lshrrev_b32_e32 v14, 16, v17
	v_cmp_ne_u16_e64 s[12:13], 0, v18
	s_and_saveexec_b64 s[14:15], s[12:13]
	s_cbranch_execz .LBB466_586
; %bb.581:
	s_movk_i32 s11, 0x80
	v_cmp_ne_u16_e64 s[12:13], s11, v18
	v_bfrev_b32_e32 v23, 1
	s_and_saveexec_b64 s[24:25], s[12:13]
	s_cbranch_execz .LBB466_585
; %bb.582:
	v_bfe_u32 v18, v17, 16, 7
	s_movk_i32 s11, 0x7f
	v_cmp_ne_u32_e64 s[12:13], s11, v18
	v_mov_b32_e32 v23, 0x7f800001
	s_and_saveexec_b64 s[26:27], s[12:13]
	s_cbranch_execz .LBB466_584
; %bb.583:
	v_and_b32_e32 v23, 7, v14
	v_ffbh_u32_e32 v26, v23
	v_min_u32_e32 v28, 32, v26
	v_subrev_u32_e32 v26, 28, v28
	v_lshlrev_b64 v[26:27], v26, v[14:15]
	v_and_b32_e32 v26, 7, v26
	v_cmp_gt_u32_e64 s[12:13], 8, v18
	v_lshrrev_b32_e32 v25, 3, v18
	v_sub_u32_e32 v14, 29, v28
	v_cndmask_b32_e64 v18, v23, v26, s[12:13]
	v_mov_b32_e32 v23, 24
	v_cndmask_b32_e64 v14, v25, v14, s[12:13]
	v_lshlrev_b32_sdwa v23, v23, v17 dst_sel:DWORD dst_unused:UNUSED_PAD src0_sel:DWORD src1_sel:WORD_1
	v_bfrev_b32_e32 v25, 60
	v_lshlrev_b32_e32 v18, 20, v18
	v_and_b32_e32 v23, 0x80000000, v23
	v_lshl_add_u32 v14, v14, 23, v25
	v_or3_b32 v23, v23, v14, v18
.LBB466_584:
	s_or_b64 exec, exec, s[26:27]
.LBB466_585:
	s_or_b64 exec, exec, s[24:25]
.LBB466_586:
	s_or_b64 exec, exec, s[14:15]
	s_mov_b32 s12, -1
	s_mov_b32 s13, 0xffffff
	v_cmp_lt_u64_e64 s[12:13], s[12:13], v[16:17]
	v_mov_b32_e32 v18, 0
	v_mov_b32_e32 v16, 0
	s_and_saveexec_b64 s[14:15], s[12:13]
	s_cbranch_execz .LBB466_592
; %bb.587:
	v_lshrrev_b32_e32 v14, 24, v17
	s_movk_i32 s11, 0x80
	v_cmp_ne_u32_e64 s[12:13], s11, v14
	v_bfrev_b32_e32 v16, 1
	s_and_saveexec_b64 s[24:25], s[12:13]
	s_cbranch_execz .LBB466_591
; %bb.588:
	v_bfe_u32 v17, v17, 24, 7
	s_movk_i32 s11, 0x7f
	v_cmp_ne_u32_e64 s[12:13], s11, v17
	v_mov_b32_e32 v16, 0x7f800001
	s_and_saveexec_b64 s[26:27], s[12:13]
	s_cbranch_execz .LBB466_590
; %bb.589:
	v_and_b32_e32 v16, 7, v14
	v_ffbh_u32_e32 v26, v16
	v_min_u32_e32 v28, 32, v26
	v_subrev_u32_e32 v26, 28, v28
	v_lshlrev_b64 v[26:27], v26, v[14:15]
	v_lshrrev_b32_e32 v25, 3, v17
	v_sub_u32_e32 v27, 29, v28
	v_and_b32_e32 v26, 7, v26
	v_cmp_gt_u32_e64 s[12:13], 8, v17
	v_cndmask_b32_e64 v17, v25, v27, s[12:13]
	v_cndmask_b32_e64 v16, v16, v26, s[12:13]
	v_lshlrev_b32_e32 v14, 24, v14
	v_bfrev_b32_e32 v25, 60
	v_lshlrev_b32_e32 v16, 20, v16
	v_and_b32_e32 v14, 0x80000000, v14
	v_lshl_add_u32 v17, v17, 23, v25
	v_or3_b32 v16, v14, v17, v16
.LBB466_590:
	s_or_b64 exec, exec, s[26:27]
.LBB466_591:
	s_or_b64 exec, exec, s[24:25]
.LBB466_592:
	s_or_b64 exec, exec, s[14:15]
	v_cvt_pkrtz_f16_f32 v20, v20, v21
	v_cvt_pkrtz_f16_f32 v21, v19, v22
	;; [unrolled: 1-line block ×4, first 2 shown]
	v_mfma_f32_4x4x4f16 a[0:3], v[2:3], v[20:21], a[0:3] cbsz:4 abid:11
	v_cmp_ne_u16_sdwa s[12:13], v10, v18 src0_sel:BYTE_0 src1_sel:DWORD
	v_mfma_f32_4x4x4f16 a[0:3], v[4:5], v[14:15], a[0:3] cbsz:4 abid:11
	s_and_saveexec_b64 s[14:15], s[12:13]
	s_cbranch_execz .LBB466_598
; %bb.593:
	s_movk_i32 s11, 0x80
	v_cmp_ne_u16_sdwa s[12:13], v10, s11 src0_sel:BYTE_0 src1_sel:DWORD
	v_bfrev_b32_e32 v18, 1
	s_and_saveexec_b64 s[24:25], s[12:13]
	s_cbranch_execz .LBB466_597
; %bb.594:
	s_movk_i32 s11, 0x7f
	v_and_b32_e32 v14, 0x7f, v10
	v_cmp_ne_u32_e64 s[12:13], s11, v14
	v_mov_b32_e32 v18, 0x7f800001
	s_and_saveexec_b64 s[26:27], s[12:13]
	s_cbranch_execz .LBB466_596
; %bb.595:
	v_and_b32_e32 v15, 7, v10
	v_ffbh_u32_e32 v15, v15
	v_min_u32_e32 v15, 32, v15
	v_subrev_u32_e32 v17, 28, v15
	v_cmp_gt_u32_e64 s[12:13], 8, v14
	v_lshrrev_b32_e32 v16, 3, v14
	v_sub_u32_e32 v15, 29, v15
	v_cndmask_b32_e64 v14, 0, v17, s[12:13]
	v_cndmask_b32_e64 v16, v16, v15, s[12:13]
	v_lshlrev_b64 v[14:15], v14, v[10:11]
	v_lshlrev_b32_e32 v14, 20, v14
	v_lshlrev_b32_e32 v15, 24, v10
	v_bfrev_b32_e32 v17, 60
	v_and_b32_e32 v14, 0x700000, v14
	v_and_b32_e32 v15, 0x80000000, v15
	v_lshl_add_u32 v16, v16, 23, v17
	v_or3_b32 v18, v15, v16, v14
.LBB466_596:
	s_or_b64 exec, exec, s[26:27]
.LBB466_597:
	s_or_b64 exec, exec, s[24:25]
.LBB466_598:
	s_or_b64 exec, exec, s[14:15]
	v_lshrrev_b16_e32 v14, 8, v10
	v_cmp_ne_u16_e64 s[12:13], 0, v14
	v_mov_b32_e32 v17, 0
	v_mov_b32_e32 v19, 0
	s_and_saveexec_b64 s[14:15], s[12:13]
	s_cbranch_execz .LBB466_604
; %bb.599:
	s_movk_i32 s11, 0x80
	v_cmp_ne_u16_e64 s[12:13], s11, v14
	v_bfrev_b32_e32 v19, 1
	s_and_saveexec_b64 s[24:25], s[12:13]
	s_cbranch_execz .LBB466_603
; %bb.600:
	s_movk_i32 s11, 0x7f
	v_and_b32_e32 v15, 0x7f, v14
	v_cmp_ne_u32_e64 s[12:13], s11, v15
	v_mov_b32_e32 v19, 0x7f800001
	s_and_saveexec_b64 s[26:27], s[12:13]
	s_cbranch_execz .LBB466_602
; %bb.601:
	v_and_b32_e32 v16, 7, v14
	v_ffbh_u32_e32 v20, v16
	v_min_u32_e32 v22, 32, v20
	v_subrev_u32_e32 v20, 28, v22
	v_lshlrev_b64 v[20:21], v20, v[14:15]
	v_lshrrev_b32_e32 v19, 3, v15
	v_sub_u32_e32 v14, 29, v22
	v_and_b32_e32 v20, 7, v20
	v_cmp_gt_u32_e64 s[12:13], 8, v15
	v_cndmask_b32_e64 v14, v19, v14, s[12:13]
	v_cndmask_b32_e64 v15, v16, v20, s[12:13]
	v_lshlrev_b32_e32 v16, 16, v10
	v_bfrev_b32_e32 v19, 60
	v_lshlrev_b32_e32 v15, 20, v15
	v_and_b32_e32 v16, 0x80000000, v16
	v_lshl_add_u32 v14, v14, 23, v19
	v_or3_b32 v19, v16, v14, v15
.LBB466_602:
	s_or_b64 exec, exec, s[26:27]
.LBB466_603:
	s_or_b64 exec, exec, s[24:25]
.LBB466_604:
	s_or_b64 exec, exec, s[14:15]
	s_movk_i32 s11, 0xff
	v_and_b32_sdwa v15, v10, s11 dst_sel:DWORD dst_unused:UNUSED_PAD src0_sel:WORD_1 src1_sel:DWORD
	v_lshrrev_b32_e32 v14, 16, v10
	v_cmp_ne_u16_e64 s[12:13], 0, v15
	s_and_saveexec_b64 s[14:15], s[12:13]
	s_cbranch_execz .LBB466_610
; %bb.605:
	s_movk_i32 s11, 0x80
	v_cmp_ne_u16_e64 s[12:13], s11, v15
	v_bfrev_b32_e32 v17, 1
	s_and_saveexec_b64 s[24:25], s[12:13]
	s_cbranch_execz .LBB466_609
; %bb.606:
	v_bfe_u32 v15, v10, 16, 7
	s_movk_i32 s11, 0x7f
	v_cmp_ne_u32_e64 s[12:13], s11, v15
	v_mov_b32_e32 v17, 0x7f800001
	s_and_saveexec_b64 s[26:27], s[12:13]
	s_cbranch_execz .LBB466_608
; %bb.607:
	v_and_b32_e32 v20, 7, v14
	v_ffbh_u32_e32 v16, v20
	v_min_u32_e32 v22, 32, v16
	v_subrev_u32_e32 v16, 28, v22
	v_lshlrev_b64 v[16:17], v16, v[14:15]
	v_and_b32_e32 v16, 7, v16
	v_cmp_gt_u32_e64 s[12:13], 8, v15
	v_lshrrev_b32_e32 v21, 3, v15
	v_sub_u32_e32 v14, 29, v22
	v_cndmask_b32_e64 v15, v20, v16, s[12:13]
	v_mov_b32_e32 v16, 24
	v_cndmask_b32_e64 v14, v21, v14, s[12:13]
	v_lshlrev_b32_sdwa v16, v16, v10 dst_sel:DWORD dst_unused:UNUSED_PAD src0_sel:DWORD src1_sel:WORD_1
	v_bfrev_b32_e32 v17, 60
	v_lshlrev_b32_e32 v15, 20, v15
	v_and_b32_e32 v16, 0x80000000, v16
	v_lshl_add_u32 v14, v14, 23, v17
	v_or3_b32 v17, v16, v14, v15
.LBB466_608:
	s_or_b64 exec, exec, s[26:27]
.LBB466_609:
	s_or_b64 exec, exec, s[24:25]
.LBB466_610:
	s_or_b64 exec, exec, s[14:15]
	s_mov_b32 s11, 0xffffff
	v_cmp_lt_u32_e64 s[12:13], s11, v10
	v_mov_b32_e32 v15, 0
	v_mov_b32_e32 v20, 0
	s_and_saveexec_b64 s[14:15], s[12:13]
	s_cbranch_execz .LBB466_616
; %bb.611:
	v_lshrrev_b32_e32 v14, 24, v10
	s_movk_i32 s11, 0x80
	v_cmp_ne_u32_e64 s[12:13], s11, v14
	v_bfrev_b32_e32 v20, 1
	s_and_saveexec_b64 s[24:25], s[12:13]
	s_cbranch_execz .LBB466_615
; %bb.612:
	v_bfe_u32 v16, v10, 24, 7
	s_movk_i32 s11, 0x7f
	v_cmp_ne_u32_e64 s[12:13], s11, v16
	v_mov_b32_e32 v20, 0x7f800001
	s_and_saveexec_b64 s[26:27], s[12:13]
	s_cbranch_execz .LBB466_614
; %bb.613:
	v_and_b32_e32 v22, 7, v14
	v_ffbh_u32_e32 v20, v22
	v_min_u32_e32 v24, 32, v20
	v_subrev_u32_e32 v20, 28, v24
	v_lshlrev_b64 v[20:21], v20, v[14:15]
	v_lshrrev_b32_e32 v23, 3, v16
	v_sub_u32_e32 v21, 29, v24
	v_and_b32_e32 v20, 7, v20
	v_cmp_gt_u32_e64 s[12:13], 8, v16
	v_cndmask_b32_e64 v16, v23, v21, s[12:13]
	v_cndmask_b32_e64 v20, v22, v20, s[12:13]
	v_lshlrev_b32_e32 v14, 24, v14
	v_bfrev_b32_e32 v21, 60
	v_lshlrev_b32_e32 v20, 20, v20
	v_and_b32_e32 v14, 0x80000000, v14
	v_lshl_add_u32 v16, v16, 23, v21
	v_or3_b32 v20, v14, v16, v20
.LBB466_614:
	s_or_b64 exec, exec, s[26:27]
.LBB466_615:
	s_or_b64 exec, exec, s[24:25]
.LBB466_616:
	s_or_b64 exec, exec, s[14:15]
	v_mov_b32_e32 v14, v11
	v_cmp_ne_u16_sdwa s[12:13], v11, v15 src0_sel:BYTE_0 src1_sel:DWORD
	s_and_saveexec_b64 s[14:15], s[12:13]
	s_cbranch_execz .LBB466_622
; %bb.617:
	s_movk_i32 s11, 0x80
	v_cmp_ne_u16_sdwa s[12:13], v11, s11 src0_sel:BYTE_0 src1_sel:DWORD
	v_bfrev_b32_e32 v16, 1
	s_and_saveexec_b64 s[24:25], s[12:13]
	s_cbranch_execz .LBB466_621
; %bb.618:
	s_movk_i32 s11, 0x7f
	v_and_b32_e32 v21, 0x7f, v11
	v_cmp_ne_u32_e64 s[12:13], s11, v21
	v_mov_b32_e32 v16, 0x7f800001
	s_and_saveexec_b64 s[26:27], s[12:13]
	s_cbranch_execz .LBB466_620
; %bb.619:
	v_and_b32_e32 v16, 7, v11
	v_ffbh_u32_e32 v16, v16
	v_min_u32_e32 v16, 32, v16
	v_subrev_u32_e32 v23, 28, v16
	v_cmp_gt_u32_e64 s[12:13], 8, v21
	v_lshrrev_b32_e32 v22, 3, v21
	v_sub_u32_e32 v16, 29, v16
	v_cndmask_b32_e64 v21, 0, v23, s[12:13]
	v_cndmask_b32_e64 v16, v22, v16, s[12:13]
	v_lshlrev_b64 v[22:23], v21, v[14:15]
	v_lshlrev_b32_e32 v15, 20, v22
	v_lshlrev_b32_e32 v21, 24, v14
	v_bfrev_b32_e32 v22, 60
	v_and_b32_e32 v15, 0x700000, v15
	v_and_b32_e32 v21, 0x80000000, v21
	v_lshl_add_u32 v16, v16, 23, v22
	v_or3_b32 v16, v21, v16, v15
.LBB466_620:
	s_or_b64 exec, exec, s[26:27]
.LBB466_621:
	s_or_b64 exec, exec, s[24:25]
	v_mov_b32_e32 v15, v16
.LBB466_622:
	s_or_b64 exec, exec, s[14:15]
	v_lshrrev_b16_e32 v16, 8, v14
	v_cmp_ne_u16_e64 s[12:13], 0, v16
	v_mov_b32_e32 v21, 0
	v_mov_b32_e32 v22, 0
	s_and_saveexec_b64 s[14:15], s[12:13]
	s_cbranch_execz .LBB466_628
; %bb.623:
	s_movk_i32 s11, 0x80
	v_cmp_ne_u16_e64 s[12:13], s11, v16
	v_bfrev_b32_e32 v22, 1
	s_and_saveexec_b64 s[24:25], s[12:13]
	s_cbranch_execz .LBB466_627
; %bb.624:
	s_movk_i32 s11, 0x7f
	v_and_b32_e32 v23, 0x7f, v16
	v_cmp_ne_u32_e64 s[12:13], s11, v23
	v_mov_b32_e32 v22, 0x7f800001
	s_and_saveexec_b64 s[26:27], s[12:13]
	s_cbranch_execz .LBB466_626
; %bb.625:
	v_and_b32_e32 v22, 7, v16
	v_ffbh_u32_e32 v24, v22
	v_min_u32_e32 v27, 32, v24
	v_subrev_u32_e32 v24, 28, v27
	v_lshlrev_b64 v[24:25], v24, v[16:17]
	v_lshrrev_b32_e32 v26, 3, v23
	v_sub_u32_e32 v16, 29, v27
	v_and_b32_e32 v24, 7, v24
	v_cmp_gt_u32_e64 s[12:13], 8, v23
	v_cndmask_b32_e64 v16, v26, v16, s[12:13]
	v_cndmask_b32_e64 v22, v22, v24, s[12:13]
	v_lshlrev_b32_e32 v14, 16, v14
	v_bfrev_b32_e32 v23, 60
	v_lshlrev_b32_e32 v22, 20, v22
	v_and_b32_e32 v14, 0x80000000, v14
	v_lshl_add_u32 v16, v16, 23, v23
	v_or3_b32 v22, v14, v16, v22
.LBB466_626:
	s_or_b64 exec, exec, s[26:27]
.LBB466_627:
	s_or_b64 exec, exec, s[24:25]
.LBB466_628:
	s_or_b64 exec, exec, s[14:15]
	s_movk_i32 s11, 0xff
	v_and_b32_sdwa v16, v11, s11 dst_sel:DWORD dst_unused:UNUSED_PAD src0_sel:WORD_1 src1_sel:DWORD
	v_lshrrev_b32_e32 v14, 16, v11
	v_cmp_ne_u16_e64 s[12:13], 0, v16
	s_and_saveexec_b64 s[14:15], s[12:13]
	s_cbranch_execz .LBB466_634
; %bb.629:
	s_movk_i32 s11, 0x80
	v_cmp_ne_u16_e64 s[12:13], s11, v16
	v_bfrev_b32_e32 v21, 1
	s_and_saveexec_b64 s[24:25], s[12:13]
	s_cbranch_execz .LBB466_633
; %bb.630:
	v_bfe_u32 v16, v11, 16, 7
	s_movk_i32 s11, 0x7f
	v_cmp_ne_u32_e64 s[12:13], s11, v16
	v_mov_b32_e32 v21, 0x7f800001
	s_and_saveexec_b64 s[26:27], s[12:13]
	s_cbranch_execz .LBB466_632
; %bb.631:
	v_and_b32_e32 v21, 7, v14
	v_ffbh_u32_e32 v24, v21
	v_min_u32_e32 v26, 32, v24
	v_subrev_u32_e32 v24, 28, v26
	v_lshlrev_b64 v[24:25], v24, v[14:15]
	v_and_b32_e32 v24, 7, v24
	v_cmp_gt_u32_e64 s[12:13], 8, v16
	v_lshrrev_b32_e32 v23, 3, v16
	v_sub_u32_e32 v14, 29, v26
	v_cndmask_b32_e64 v16, v21, v24, s[12:13]
	v_mov_b32_e32 v21, 24
	v_cndmask_b32_e64 v14, v23, v14, s[12:13]
	v_lshlrev_b32_sdwa v21, v21, v11 dst_sel:DWORD dst_unused:UNUSED_PAD src0_sel:DWORD src1_sel:WORD_1
	v_bfrev_b32_e32 v23, 60
	v_lshlrev_b32_e32 v16, 20, v16
	v_and_b32_e32 v21, 0x80000000, v21
	v_lshl_add_u32 v14, v14, 23, v23
	v_or3_b32 v21, v21, v14, v16
.LBB466_632:
	s_or_b64 exec, exec, s[26:27]
.LBB466_633:
	s_or_b64 exec, exec, s[24:25]
.LBB466_634:
	s_or_b64 exec, exec, s[14:15]
	s_mov_b32 s12, -1
	s_mov_b32 s13, 0xffffff
	v_cmp_lt_u64_e64 s[12:13], s[12:13], v[10:11]
	v_mov_b32_e32 v16, 0
	v_mov_b32_e32 v14, 0
	s_and_saveexec_b64 s[14:15], s[12:13]
	s_cbranch_execz .LBB466_640
; %bb.635:
	v_lshrrev_b32_e32 v10, 24, v11
	s_movk_i32 s11, 0x80
	v_cmp_ne_u32_e64 s[12:13], s11, v10
	v_bfrev_b32_e32 v14, 1
	s_and_saveexec_b64 s[24:25], s[12:13]
	s_cbranch_execz .LBB466_639
; %bb.636:
	v_bfe_u32 v11, v11, 24, 7
	s_movk_i32 s11, 0x7f
	v_cmp_ne_u32_e64 s[12:13], s11, v11
	v_mov_b32_e32 v14, 0x7f800001
	s_and_saveexec_b64 s[26:27], s[12:13]
	s_cbranch_execz .LBB466_638
; %bb.637:
	v_and_b32_e32 v14, 7, v10
	v_ffbh_u32_e32 v24, v14
	v_min_u32_e32 v26, 32, v24
	v_subrev_u32_e32 v24, 28, v26
	v_lshlrev_b64 v[24:25], v24, v[10:11]
	v_lshrrev_b32_e32 v23, 3, v11
	v_sub_u32_e32 v25, 29, v26
	v_and_b32_e32 v24, 7, v24
	v_cmp_gt_u32_e64 s[12:13], 8, v11
	v_cndmask_b32_e64 v11, v23, v25, s[12:13]
	v_cndmask_b32_e64 v14, v14, v24, s[12:13]
	v_lshlrev_b32_e32 v10, 24, v10
	v_bfrev_b32_e32 v23, 60
	v_lshlrev_b32_e32 v14, 20, v14
	v_and_b32_e32 v10, 0x80000000, v10
	v_lshl_add_u32 v11, v11, 23, v23
	v_or3_b32 v14, v10, v11, v14
.LBB466_638:
	s_or_b64 exec, exec, s[26:27]
.LBB466_639:
	s_or_b64 exec, exec, s[24:25]
.LBB466_640:
	s_or_b64 exec, exec, s[14:15]
	v_cvt_pkrtz_f16_f32 v10, v18, v19
	v_cvt_pkrtz_f16_f32 v11, v17, v20
	v_cvt_pkrtz_f16_f32 v18, v15, v22
	v_cvt_pkrtz_f16_f32 v19, v21, v14
	v_mfma_f32_4x4x4f16 a[0:3], v[2:3], v[10:11], a[0:3] cbsz:4 abid:12
	v_cmp_ne_u16_sdwa s[12:13], v12, v16 src0_sel:BYTE_0 src1_sel:DWORD
	v_mfma_f32_4x4x4f16 a[0:3], v[4:5], v[18:19], a[0:3] cbsz:4 abid:12
	s_and_saveexec_b64 s[14:15], s[12:13]
	s_cbranch_execz .LBB466_646
; %bb.641:
	s_movk_i32 s11, 0x80
	v_cmp_ne_u16_sdwa s[12:13], v12, s11 src0_sel:BYTE_0 src1_sel:DWORD
	v_bfrev_b32_e32 v16, 1
	s_and_saveexec_b64 s[24:25], s[12:13]
	s_cbranch_execz .LBB466_645
; %bb.642:
	s_movk_i32 s11, 0x7f
	v_and_b32_e32 v10, 0x7f, v12
	v_cmp_ne_u32_e64 s[12:13], s11, v10
	v_mov_b32_e32 v16, 0x7f800001
	s_and_saveexec_b64 s[26:27], s[12:13]
	s_cbranch_execz .LBB466_644
; %bb.643:
	v_and_b32_e32 v11, 7, v12
	v_ffbh_u32_e32 v11, v11
	v_min_u32_e32 v11, 32, v11
	v_subrev_u32_e32 v15, 28, v11
	v_cmp_gt_u32_e64 s[12:13], 8, v10
	v_lshrrev_b32_e32 v14, 3, v10
	v_sub_u32_e32 v11, 29, v11
	v_cndmask_b32_e64 v10, 0, v15, s[12:13]
	v_cndmask_b32_e64 v14, v14, v11, s[12:13]
	v_lshlrev_b64 v[10:11], v10, v[12:13]
	v_lshlrev_b32_e32 v10, 20, v10
	v_lshlrev_b32_e32 v11, 24, v12
	v_bfrev_b32_e32 v15, 60
	v_and_b32_e32 v10, 0x700000, v10
	v_and_b32_e32 v11, 0x80000000, v11
	v_lshl_add_u32 v14, v14, 23, v15
	v_or3_b32 v16, v11, v14, v10
.LBB466_644:
	s_or_b64 exec, exec, s[26:27]
.LBB466_645:
	s_or_b64 exec, exec, s[24:25]
.LBB466_646:
	s_or_b64 exec, exec, s[14:15]
	v_lshrrev_b16_e32 v10, 8, v12
	v_cmp_ne_u16_e64 s[12:13], 0, v10
	v_mov_b32_e32 v15, 0
	v_mov_b32_e32 v17, 0
	s_and_saveexec_b64 s[14:15], s[12:13]
	s_cbranch_execz .LBB466_652
; %bb.647:
	s_movk_i32 s11, 0x80
	v_cmp_ne_u16_e64 s[12:13], s11, v10
	v_bfrev_b32_e32 v17, 1
	s_and_saveexec_b64 s[24:25], s[12:13]
	s_cbranch_execz .LBB466_651
; %bb.648:
	s_movk_i32 s11, 0x7f
	v_and_b32_e32 v11, 0x7f, v10
	v_cmp_ne_u32_e64 s[12:13], s11, v11
	v_mov_b32_e32 v17, 0x7f800001
	s_and_saveexec_b64 s[26:27], s[12:13]
	s_cbranch_execz .LBB466_650
; %bb.649:
	v_and_b32_e32 v14, 7, v10
	v_ffbh_u32_e32 v18, v14
	v_min_u32_e32 v20, 32, v18
	v_subrev_u32_e32 v18, 28, v20
	v_lshlrev_b64 v[18:19], v18, v[10:11]
	v_lshrrev_b32_e32 v17, 3, v11
	v_sub_u32_e32 v10, 29, v20
	v_and_b32_e32 v18, 7, v18
	v_cmp_gt_u32_e64 s[12:13], 8, v11
	v_cndmask_b32_e64 v10, v17, v10, s[12:13]
	v_cndmask_b32_e64 v11, v14, v18, s[12:13]
	v_lshlrev_b32_e32 v14, 16, v12
	v_bfrev_b32_e32 v17, 60
	v_lshlrev_b32_e32 v11, 20, v11
	v_and_b32_e32 v14, 0x80000000, v14
	v_lshl_add_u32 v10, v10, 23, v17
	v_or3_b32 v17, v14, v10, v11
.LBB466_650:
	s_or_b64 exec, exec, s[26:27]
.LBB466_651:
	s_or_b64 exec, exec, s[24:25]
.LBB466_652:
	s_or_b64 exec, exec, s[14:15]
	s_movk_i32 s11, 0xff
	v_and_b32_sdwa v11, v12, s11 dst_sel:DWORD dst_unused:UNUSED_PAD src0_sel:WORD_1 src1_sel:DWORD
	v_lshrrev_b32_e32 v10, 16, v12
	v_cmp_ne_u16_e64 s[12:13], 0, v11
	s_and_saveexec_b64 s[14:15], s[12:13]
	s_cbranch_execz .LBB466_658
; %bb.653:
	s_movk_i32 s11, 0x80
	v_cmp_ne_u16_e64 s[12:13], s11, v11
	v_bfrev_b32_e32 v15, 1
	s_and_saveexec_b64 s[24:25], s[12:13]
	s_cbranch_execz .LBB466_657
; %bb.654:
	v_bfe_u32 v11, v12, 16, 7
	s_movk_i32 s11, 0x7f
	v_cmp_ne_u32_e64 s[12:13], s11, v11
	v_mov_b32_e32 v15, 0x7f800001
	s_and_saveexec_b64 s[26:27], s[12:13]
	s_cbranch_execz .LBB466_656
; %bb.655:
	v_and_b32_e32 v18, 7, v10
	v_ffbh_u32_e32 v14, v18
	v_min_u32_e32 v20, 32, v14
	v_subrev_u32_e32 v14, 28, v20
	v_lshlrev_b64 v[14:15], v14, v[10:11]
	v_and_b32_e32 v14, 7, v14
	v_cmp_gt_u32_e64 s[12:13], 8, v11
	v_lshrrev_b32_e32 v19, 3, v11
	v_sub_u32_e32 v10, 29, v20
	v_cndmask_b32_e64 v11, v18, v14, s[12:13]
	v_mov_b32_e32 v14, 24
	v_cndmask_b32_e64 v10, v19, v10, s[12:13]
	v_lshlrev_b32_sdwa v14, v14, v12 dst_sel:DWORD dst_unused:UNUSED_PAD src0_sel:DWORD src1_sel:WORD_1
	v_bfrev_b32_e32 v15, 60
	v_lshlrev_b32_e32 v11, 20, v11
	v_and_b32_e32 v14, 0x80000000, v14
	v_lshl_add_u32 v10, v10, 23, v15
	v_or3_b32 v15, v14, v10, v11
.LBB466_656:
	s_or_b64 exec, exec, s[26:27]
.LBB466_657:
	s_or_b64 exec, exec, s[24:25]
.LBB466_658:
	s_or_b64 exec, exec, s[14:15]
	s_mov_b32 s11, 0xffffff
	v_cmp_lt_u32_e64 s[12:13], s11, v12
	v_mov_b32_e32 v11, 0
	v_mov_b32_e32 v18, 0
	s_and_saveexec_b64 s[14:15], s[12:13]
	s_cbranch_execz .LBB466_664
; %bb.659:
	v_lshrrev_b32_e32 v10, 24, v12
	s_movk_i32 s11, 0x80
	v_cmp_ne_u32_e64 s[12:13], s11, v10
	v_bfrev_b32_e32 v18, 1
	s_and_saveexec_b64 s[24:25], s[12:13]
	s_cbranch_execz .LBB466_663
; %bb.660:
	v_bfe_u32 v14, v12, 24, 7
	s_movk_i32 s11, 0x7f
	v_cmp_ne_u32_e64 s[12:13], s11, v14
	v_mov_b32_e32 v18, 0x7f800001
	s_and_saveexec_b64 s[26:27], s[12:13]
	s_cbranch_execz .LBB466_662
; %bb.661:
	v_and_b32_e32 v20, 7, v10
	v_ffbh_u32_e32 v18, v20
	v_min_u32_e32 v22, 32, v18
	v_subrev_u32_e32 v18, 28, v22
	v_lshlrev_b64 v[18:19], v18, v[10:11]
	v_lshrrev_b32_e32 v21, 3, v14
	v_sub_u32_e32 v19, 29, v22
	v_and_b32_e32 v18, 7, v18
	v_cmp_gt_u32_e64 s[12:13], 8, v14
	v_cndmask_b32_e64 v14, v21, v19, s[12:13]
	v_cndmask_b32_e64 v18, v20, v18, s[12:13]
	v_lshlrev_b32_e32 v10, 24, v10
	v_bfrev_b32_e32 v19, 60
	v_lshlrev_b32_e32 v18, 20, v18
	v_and_b32_e32 v10, 0x80000000, v10
	v_lshl_add_u32 v14, v14, 23, v19
	v_or3_b32 v18, v10, v14, v18
.LBB466_662:
	s_or_b64 exec, exec, s[26:27]
.LBB466_663:
	s_or_b64 exec, exec, s[24:25]
.LBB466_664:
	s_or_b64 exec, exec, s[14:15]
	v_mov_b32_e32 v10, v13
	v_cmp_ne_u16_sdwa s[12:13], v13, v11 src0_sel:BYTE_0 src1_sel:DWORD
	s_and_saveexec_b64 s[14:15], s[12:13]
	s_cbranch_execz .LBB466_670
; %bb.665:
	s_movk_i32 s11, 0x80
	v_cmp_ne_u16_sdwa s[12:13], v13, s11 src0_sel:BYTE_0 src1_sel:DWORD
	v_bfrev_b32_e32 v14, 1
	s_and_saveexec_b64 s[24:25], s[12:13]
	s_cbranch_execz .LBB466_669
; %bb.666:
	s_movk_i32 s11, 0x7f
	v_and_b32_e32 v19, 0x7f, v13
	v_cmp_ne_u32_e64 s[12:13], s11, v19
	v_mov_b32_e32 v14, 0x7f800001
	s_and_saveexec_b64 s[26:27], s[12:13]
	s_cbranch_execz .LBB466_668
; %bb.667:
	v_and_b32_e32 v14, 7, v13
	v_ffbh_u32_e32 v14, v14
	v_min_u32_e32 v14, 32, v14
	v_subrev_u32_e32 v21, 28, v14
	v_cmp_gt_u32_e64 s[12:13], 8, v19
	v_lshrrev_b32_e32 v20, 3, v19
	v_sub_u32_e32 v14, 29, v14
	v_cndmask_b32_e64 v19, 0, v21, s[12:13]
	v_cndmask_b32_e64 v14, v20, v14, s[12:13]
	v_lshlrev_b64 v[20:21], v19, v[10:11]
	v_lshlrev_b32_e32 v11, 20, v20
	v_lshlrev_b32_e32 v19, 24, v10
	v_bfrev_b32_e32 v20, 60
	v_and_b32_e32 v11, 0x700000, v11
	v_and_b32_e32 v19, 0x80000000, v19
	v_lshl_add_u32 v14, v14, 23, v20
	v_or3_b32 v14, v19, v14, v11
.LBB466_668:
	s_or_b64 exec, exec, s[26:27]
.LBB466_669:
	s_or_b64 exec, exec, s[24:25]
	v_mov_b32_e32 v11, v14
.LBB466_670:
	s_or_b64 exec, exec, s[14:15]
	v_lshrrev_b16_e32 v14, 8, v10
	v_cmp_ne_u16_e64 s[12:13], 0, v14
	v_mov_b32_e32 v19, 0
	v_mov_b32_e32 v20, 0
	s_and_saveexec_b64 s[14:15], s[12:13]
	s_cbranch_execz .LBB466_676
; %bb.671:
	s_movk_i32 s11, 0x80
	v_cmp_ne_u16_e64 s[12:13], s11, v14
	v_bfrev_b32_e32 v20, 1
	s_and_saveexec_b64 s[24:25], s[12:13]
	s_cbranch_execz .LBB466_675
; %bb.672:
	s_movk_i32 s11, 0x7f
	v_and_b32_e32 v21, 0x7f, v14
	v_cmp_ne_u32_e64 s[12:13], s11, v21
	v_mov_b32_e32 v20, 0x7f800001
	s_and_saveexec_b64 s[26:27], s[12:13]
	s_cbranch_execz .LBB466_674
; %bb.673:
	v_and_b32_e32 v20, 7, v14
	v_ffbh_u32_e32 v22, v20
	v_min_u32_e32 v25, 32, v22
	v_subrev_u32_e32 v22, 28, v25
	v_lshlrev_b64 v[22:23], v22, v[14:15]
	v_lshrrev_b32_e32 v24, 3, v21
	v_sub_u32_e32 v14, 29, v25
	v_and_b32_e32 v22, 7, v22
	v_cmp_gt_u32_e64 s[12:13], 8, v21
	v_cndmask_b32_e64 v14, v24, v14, s[12:13]
	v_cndmask_b32_e64 v20, v20, v22, s[12:13]
	v_lshlrev_b32_e32 v10, 16, v10
	v_bfrev_b32_e32 v21, 60
	v_lshlrev_b32_e32 v20, 20, v20
	v_and_b32_e32 v10, 0x80000000, v10
	v_lshl_add_u32 v14, v14, 23, v21
	v_or3_b32 v20, v10, v14, v20
.LBB466_674:
	s_or_b64 exec, exec, s[26:27]
.LBB466_675:
	s_or_b64 exec, exec, s[24:25]
.LBB466_676:
	s_or_b64 exec, exec, s[14:15]
	s_movk_i32 s11, 0xff
	v_and_b32_sdwa v14, v13, s11 dst_sel:DWORD dst_unused:UNUSED_PAD src0_sel:WORD_1 src1_sel:DWORD
	v_lshrrev_b32_e32 v10, 16, v13
	v_cmp_ne_u16_e64 s[12:13], 0, v14
	s_and_saveexec_b64 s[14:15], s[12:13]
	s_cbranch_execz .LBB466_682
; %bb.677:
	s_movk_i32 s11, 0x80
	v_cmp_ne_u16_e64 s[12:13], s11, v14
	v_bfrev_b32_e32 v19, 1
	s_and_saveexec_b64 s[24:25], s[12:13]
	s_cbranch_execz .LBB466_681
; %bb.678:
	v_bfe_u32 v14, v13, 16, 7
	s_movk_i32 s11, 0x7f
	v_cmp_ne_u32_e64 s[12:13], s11, v14
	v_mov_b32_e32 v19, 0x7f800001
	s_and_saveexec_b64 s[26:27], s[12:13]
	s_cbranch_execz .LBB466_680
; %bb.679:
	v_and_b32_e32 v19, 7, v10
	v_ffbh_u32_e32 v22, v19
	v_min_u32_e32 v24, 32, v22
	v_subrev_u32_e32 v22, 28, v24
	v_lshlrev_b64 v[22:23], v22, v[10:11]
	v_and_b32_e32 v22, 7, v22
	v_cmp_gt_u32_e64 s[12:13], 8, v14
	v_lshrrev_b32_e32 v21, 3, v14
	v_sub_u32_e32 v10, 29, v24
	v_cndmask_b32_e64 v14, v19, v22, s[12:13]
	v_mov_b32_e32 v19, 24
	v_cndmask_b32_e64 v10, v21, v10, s[12:13]
	v_lshlrev_b32_sdwa v19, v19, v13 dst_sel:DWORD dst_unused:UNUSED_PAD src0_sel:DWORD src1_sel:WORD_1
	v_bfrev_b32_e32 v21, 60
	v_lshlrev_b32_e32 v14, 20, v14
	v_and_b32_e32 v19, 0x80000000, v19
	v_lshl_add_u32 v10, v10, 23, v21
	v_or3_b32 v19, v19, v10, v14
.LBB466_680:
	s_or_b64 exec, exec, s[26:27]
.LBB466_681:
	s_or_b64 exec, exec, s[24:25]
.LBB466_682:
	s_or_b64 exec, exec, s[14:15]
	s_mov_b32 s12, -1
	s_mov_b32 s13, 0xffffff
	v_cmp_lt_u64_e64 s[12:13], s[12:13], v[12:13]
	v_mov_b32_e32 v14, 0
	v_mov_b32_e32 v12, 0
	s_and_saveexec_b64 s[14:15], s[12:13]
	s_cbranch_execz .LBB466_688
; %bb.683:
	v_lshrrev_b32_e32 v10, 24, v13
	s_movk_i32 s11, 0x80
	v_cmp_ne_u32_e64 s[12:13], s11, v10
	v_bfrev_b32_e32 v12, 1
	s_and_saveexec_b64 s[24:25], s[12:13]
	s_cbranch_execz .LBB466_687
; %bb.684:
	v_bfe_u32 v13, v13, 24, 7
	s_movk_i32 s11, 0x7f
	v_cmp_ne_u32_e64 s[12:13], s11, v13
	v_mov_b32_e32 v12, 0x7f800001
	s_and_saveexec_b64 s[26:27], s[12:13]
	s_cbranch_execz .LBB466_686
; %bb.685:
	v_and_b32_e32 v12, 7, v10
	v_ffbh_u32_e32 v22, v12
	v_min_u32_e32 v24, 32, v22
	v_subrev_u32_e32 v22, 28, v24
	v_lshlrev_b64 v[22:23], v22, v[10:11]
	v_lshrrev_b32_e32 v21, 3, v13
	v_sub_u32_e32 v23, 29, v24
	v_and_b32_e32 v22, 7, v22
	v_cmp_gt_u32_e64 s[12:13], 8, v13
	v_cndmask_b32_e64 v13, v21, v23, s[12:13]
	v_cndmask_b32_e64 v12, v12, v22, s[12:13]
	v_lshlrev_b32_e32 v10, 24, v10
	v_bfrev_b32_e32 v21, 60
	v_lshlrev_b32_e32 v12, 20, v12
	v_and_b32_e32 v10, 0x80000000, v10
	v_lshl_add_u32 v13, v13, 23, v21
	v_or3_b32 v12, v10, v13, v12
.LBB466_686:
	s_or_b64 exec, exec, s[26:27]
.LBB466_687:
	s_or_b64 exec, exec, s[24:25]
.LBB466_688:
	s_or_b64 exec, exec, s[14:15]
	v_cvt_pkrtz_f16_f32 v16, v16, v17
	v_cvt_pkrtz_f16_f32 v17, v15, v18
	;; [unrolled: 1-line block ×4, first 2 shown]
	v_mfma_f32_4x4x4f16 a[0:3], v[2:3], v[16:17], a[0:3] cbsz:4 abid:13
	v_cmp_ne_u16_sdwa s[12:13], v6, v14 src0_sel:BYTE_0 src1_sel:DWORD
	v_mfma_f32_4x4x4f16 a[0:3], v[4:5], v[10:11], a[0:3] cbsz:4 abid:13
	s_and_saveexec_b64 s[14:15], s[12:13]
	s_cbranch_execz .LBB466_694
; %bb.689:
	s_movk_i32 s11, 0x80
	v_cmp_ne_u16_sdwa s[12:13], v6, s11 src0_sel:BYTE_0 src1_sel:DWORD
	v_bfrev_b32_e32 v14, 1
	s_and_saveexec_b64 s[24:25], s[12:13]
	s_cbranch_execz .LBB466_693
; %bb.690:
	s_movk_i32 s11, 0x7f
	v_and_b32_e32 v10, 0x7f, v6
	v_cmp_ne_u32_e64 s[12:13], s11, v10
	v_mov_b32_e32 v14, 0x7f800001
	s_and_saveexec_b64 s[26:27], s[12:13]
	s_cbranch_execz .LBB466_692
; %bb.691:
	v_and_b32_e32 v11, 7, v6
	v_ffbh_u32_e32 v11, v11
	v_min_u32_e32 v11, 32, v11
	v_subrev_u32_e32 v13, 28, v11
	v_cmp_gt_u32_e64 s[12:13], 8, v10
	v_lshrrev_b32_e32 v12, 3, v10
	v_sub_u32_e32 v11, 29, v11
	v_cndmask_b32_e64 v10, 0, v13, s[12:13]
	v_cndmask_b32_e64 v12, v12, v11, s[12:13]
	v_lshlrev_b64 v[10:11], v10, v[6:7]
	v_lshlrev_b32_e32 v10, 20, v10
	v_lshlrev_b32_e32 v11, 24, v6
	v_bfrev_b32_e32 v13, 60
	v_and_b32_e32 v10, 0x700000, v10
	v_and_b32_e32 v11, 0x80000000, v11
	v_lshl_add_u32 v12, v12, 23, v13
	v_or3_b32 v14, v11, v12, v10
.LBB466_692:
	s_or_b64 exec, exec, s[26:27]
.LBB466_693:
	s_or_b64 exec, exec, s[24:25]
.LBB466_694:
	s_or_b64 exec, exec, s[14:15]
	v_lshrrev_b16_e32 v10, 8, v6
	v_cmp_ne_u16_e64 s[12:13], 0, v10
	v_mov_b32_e32 v13, 0
	v_mov_b32_e32 v15, 0
	s_and_saveexec_b64 s[14:15], s[12:13]
	s_cbranch_execz .LBB466_700
; %bb.695:
	s_movk_i32 s11, 0x80
	v_cmp_ne_u16_e64 s[12:13], s11, v10
	v_bfrev_b32_e32 v15, 1
	s_and_saveexec_b64 s[24:25], s[12:13]
	s_cbranch_execz .LBB466_699
; %bb.696:
	s_movk_i32 s11, 0x7f
	v_and_b32_e32 v11, 0x7f, v10
	v_cmp_ne_u32_e64 s[12:13], s11, v11
	v_mov_b32_e32 v15, 0x7f800001
	s_and_saveexec_b64 s[26:27], s[12:13]
	s_cbranch_execz .LBB466_698
; %bb.697:
	v_and_b32_e32 v12, 7, v10
	v_ffbh_u32_e32 v16, v12
	v_min_u32_e32 v18, 32, v16
	v_subrev_u32_e32 v16, 28, v18
	v_lshlrev_b64 v[16:17], v16, v[10:11]
	v_lshrrev_b32_e32 v15, 3, v11
	v_sub_u32_e32 v10, 29, v18
	v_and_b32_e32 v16, 7, v16
	v_cmp_gt_u32_e64 s[12:13], 8, v11
	v_cndmask_b32_e64 v10, v15, v10, s[12:13]
	v_cndmask_b32_e64 v11, v12, v16, s[12:13]
	v_lshlrev_b32_e32 v12, 16, v6
	v_bfrev_b32_e32 v15, 60
	v_lshlrev_b32_e32 v11, 20, v11
	v_and_b32_e32 v12, 0x80000000, v12
	v_lshl_add_u32 v10, v10, 23, v15
	v_or3_b32 v15, v12, v10, v11
.LBB466_698:
	s_or_b64 exec, exec, s[26:27]
.LBB466_699:
	s_or_b64 exec, exec, s[24:25]
.LBB466_700:
	s_or_b64 exec, exec, s[14:15]
	s_movk_i32 s11, 0xff
	v_and_b32_sdwa v11, v6, s11 dst_sel:DWORD dst_unused:UNUSED_PAD src0_sel:WORD_1 src1_sel:DWORD
	v_lshrrev_b32_e32 v10, 16, v6
	v_cmp_ne_u16_e64 s[12:13], 0, v11
	s_and_saveexec_b64 s[14:15], s[12:13]
	s_cbranch_execz .LBB466_706
; %bb.701:
	s_movk_i32 s11, 0x80
	v_cmp_ne_u16_e64 s[12:13], s11, v11
	v_bfrev_b32_e32 v13, 1
	s_and_saveexec_b64 s[24:25], s[12:13]
	s_cbranch_execz .LBB466_705
; %bb.702:
	v_bfe_u32 v11, v6, 16, 7
	s_movk_i32 s11, 0x7f
	v_cmp_ne_u32_e64 s[12:13], s11, v11
	v_mov_b32_e32 v13, 0x7f800001
	s_and_saveexec_b64 s[26:27], s[12:13]
	s_cbranch_execz .LBB466_704
; %bb.703:
	v_and_b32_e32 v16, 7, v10
	v_ffbh_u32_e32 v12, v16
	v_min_u32_e32 v18, 32, v12
	v_subrev_u32_e32 v12, 28, v18
	v_lshlrev_b64 v[12:13], v12, v[10:11]
	v_and_b32_e32 v12, 7, v12
	v_cmp_gt_u32_e64 s[12:13], 8, v11
	v_lshrrev_b32_e32 v17, 3, v11
	v_sub_u32_e32 v10, 29, v18
	v_cndmask_b32_e64 v11, v16, v12, s[12:13]
	v_mov_b32_e32 v12, 24
	v_cndmask_b32_e64 v10, v17, v10, s[12:13]
	v_lshlrev_b32_sdwa v12, v12, v6 dst_sel:DWORD dst_unused:UNUSED_PAD src0_sel:DWORD src1_sel:WORD_1
	v_bfrev_b32_e32 v13, 60
	v_lshlrev_b32_e32 v11, 20, v11
	v_and_b32_e32 v12, 0x80000000, v12
	v_lshl_add_u32 v10, v10, 23, v13
	v_or3_b32 v13, v12, v10, v11
.LBB466_704:
	s_or_b64 exec, exec, s[26:27]
.LBB466_705:
	s_or_b64 exec, exec, s[24:25]
.LBB466_706:
	s_or_b64 exec, exec, s[14:15]
	s_mov_b32 s11, 0xffffff
	v_cmp_lt_u32_e64 s[12:13], s11, v6
	v_mov_b32_e32 v11, 0
	v_mov_b32_e32 v16, 0
	s_and_saveexec_b64 s[14:15], s[12:13]
	s_cbranch_execz .LBB466_712
; %bb.707:
	v_lshrrev_b32_e32 v10, 24, v6
	s_movk_i32 s11, 0x80
	v_cmp_ne_u32_e64 s[12:13], s11, v10
	v_bfrev_b32_e32 v16, 1
	s_and_saveexec_b64 s[24:25], s[12:13]
	s_cbranch_execz .LBB466_711
; %bb.708:
	v_bfe_u32 v12, v6, 24, 7
	s_movk_i32 s11, 0x7f
	v_cmp_ne_u32_e64 s[12:13], s11, v12
	v_mov_b32_e32 v16, 0x7f800001
	s_and_saveexec_b64 s[26:27], s[12:13]
	s_cbranch_execz .LBB466_710
; %bb.709:
	v_and_b32_e32 v18, 7, v10
	v_ffbh_u32_e32 v16, v18
	v_min_u32_e32 v20, 32, v16
	v_subrev_u32_e32 v16, 28, v20
	v_lshlrev_b64 v[16:17], v16, v[10:11]
	v_lshrrev_b32_e32 v19, 3, v12
	v_sub_u32_e32 v17, 29, v20
	v_and_b32_e32 v16, 7, v16
	v_cmp_gt_u32_e64 s[12:13], 8, v12
	v_cndmask_b32_e64 v12, v19, v17, s[12:13]
	v_cndmask_b32_e64 v16, v18, v16, s[12:13]
	v_lshlrev_b32_e32 v10, 24, v10
	v_bfrev_b32_e32 v17, 60
	v_lshlrev_b32_e32 v16, 20, v16
	v_and_b32_e32 v10, 0x80000000, v10
	v_lshl_add_u32 v12, v12, 23, v17
	v_or3_b32 v16, v10, v12, v16
.LBB466_710:
	s_or_b64 exec, exec, s[26:27]
.LBB466_711:
	s_or_b64 exec, exec, s[24:25]
.LBB466_712:
	s_or_b64 exec, exec, s[14:15]
	v_mov_b32_e32 v10, v7
	v_cmp_ne_u16_sdwa s[12:13], v7, v11 src0_sel:BYTE_0 src1_sel:DWORD
	s_and_saveexec_b64 s[14:15], s[12:13]
	s_cbranch_execz .LBB466_718
; %bb.713:
	s_movk_i32 s11, 0x80
	v_cmp_ne_u16_sdwa s[12:13], v7, s11 src0_sel:BYTE_0 src1_sel:DWORD
	v_bfrev_b32_e32 v12, 1
	s_and_saveexec_b64 s[24:25], s[12:13]
	s_cbranch_execz .LBB466_717
; %bb.714:
	s_movk_i32 s11, 0x7f
	v_and_b32_e32 v17, 0x7f, v7
	v_cmp_ne_u32_e64 s[12:13], s11, v17
	v_mov_b32_e32 v12, 0x7f800001
	s_and_saveexec_b64 s[26:27], s[12:13]
	s_cbranch_execz .LBB466_716
; %bb.715:
	v_and_b32_e32 v12, 7, v7
	v_ffbh_u32_e32 v12, v12
	v_min_u32_e32 v12, 32, v12
	v_subrev_u32_e32 v19, 28, v12
	v_cmp_gt_u32_e64 s[12:13], 8, v17
	v_lshrrev_b32_e32 v18, 3, v17
	v_sub_u32_e32 v12, 29, v12
	v_cndmask_b32_e64 v17, 0, v19, s[12:13]
	v_cndmask_b32_e64 v12, v18, v12, s[12:13]
	v_lshlrev_b64 v[18:19], v17, v[10:11]
	v_lshlrev_b32_e32 v11, 20, v18
	v_lshlrev_b32_e32 v17, 24, v10
	v_bfrev_b32_e32 v18, 60
	v_and_b32_e32 v11, 0x700000, v11
	v_and_b32_e32 v17, 0x80000000, v17
	v_lshl_add_u32 v12, v12, 23, v18
	v_or3_b32 v12, v17, v12, v11
.LBB466_716:
	s_or_b64 exec, exec, s[26:27]
.LBB466_717:
	s_or_b64 exec, exec, s[24:25]
	v_mov_b32_e32 v11, v12
.LBB466_718:
	s_or_b64 exec, exec, s[14:15]
	v_lshrrev_b16_e32 v12, 8, v10
	v_cmp_ne_u16_e64 s[12:13], 0, v12
	v_mov_b32_e32 v17, 0
	v_mov_b32_e32 v18, 0
	s_and_saveexec_b64 s[14:15], s[12:13]
	s_cbranch_execz .LBB466_724
; %bb.719:
	s_movk_i32 s11, 0x80
	v_cmp_ne_u16_e64 s[12:13], s11, v12
	v_bfrev_b32_e32 v18, 1
	s_and_saveexec_b64 s[24:25], s[12:13]
	s_cbranch_execz .LBB466_723
; %bb.720:
	s_movk_i32 s11, 0x7f
	v_and_b32_e32 v19, 0x7f, v12
	v_cmp_ne_u32_e64 s[12:13], s11, v19
	v_mov_b32_e32 v18, 0x7f800001
	s_and_saveexec_b64 s[26:27], s[12:13]
	s_cbranch_execz .LBB466_722
; %bb.721:
	v_and_b32_e32 v18, 7, v12
	v_ffbh_u32_e32 v20, v18
	v_min_u32_e32 v23, 32, v20
	v_subrev_u32_e32 v20, 28, v23
	v_lshlrev_b64 v[20:21], v20, v[12:13]
	v_lshrrev_b32_e32 v22, 3, v19
	v_sub_u32_e32 v12, 29, v23
	v_and_b32_e32 v20, 7, v20
	v_cmp_gt_u32_e64 s[12:13], 8, v19
	v_cndmask_b32_e64 v12, v22, v12, s[12:13]
	v_cndmask_b32_e64 v18, v18, v20, s[12:13]
	v_lshlrev_b32_e32 v10, 16, v10
	v_bfrev_b32_e32 v19, 60
	v_lshlrev_b32_e32 v18, 20, v18
	v_and_b32_e32 v10, 0x80000000, v10
	v_lshl_add_u32 v12, v12, 23, v19
	v_or3_b32 v18, v10, v12, v18
.LBB466_722:
	s_or_b64 exec, exec, s[26:27]
.LBB466_723:
	s_or_b64 exec, exec, s[24:25]
.LBB466_724:
	s_or_b64 exec, exec, s[14:15]
	s_movk_i32 s11, 0xff
	v_and_b32_sdwa v12, v7, s11 dst_sel:DWORD dst_unused:UNUSED_PAD src0_sel:WORD_1 src1_sel:DWORD
	v_lshrrev_b32_e32 v10, 16, v7
	v_cmp_ne_u16_e64 s[12:13], 0, v12
	s_and_saveexec_b64 s[14:15], s[12:13]
	s_cbranch_execz .LBB466_730
; %bb.725:
	s_movk_i32 s11, 0x80
	v_cmp_ne_u16_e64 s[12:13], s11, v12
	v_bfrev_b32_e32 v17, 1
	s_and_saveexec_b64 s[24:25], s[12:13]
	s_cbranch_execz .LBB466_729
; %bb.726:
	v_bfe_u32 v12, v7, 16, 7
	s_movk_i32 s11, 0x7f
	v_cmp_ne_u32_e64 s[12:13], s11, v12
	v_mov_b32_e32 v17, 0x7f800001
	s_and_saveexec_b64 s[26:27], s[12:13]
	s_cbranch_execz .LBB466_728
; %bb.727:
	v_and_b32_e32 v17, 7, v10
	v_ffbh_u32_e32 v20, v17
	v_min_u32_e32 v22, 32, v20
	v_subrev_u32_e32 v20, 28, v22
	v_lshlrev_b64 v[20:21], v20, v[10:11]
	v_and_b32_e32 v20, 7, v20
	v_cmp_gt_u32_e64 s[12:13], 8, v12
	v_lshrrev_b32_e32 v19, 3, v12
	v_sub_u32_e32 v10, 29, v22
	v_cndmask_b32_e64 v12, v17, v20, s[12:13]
	v_mov_b32_e32 v17, 24
	v_cndmask_b32_e64 v10, v19, v10, s[12:13]
	v_lshlrev_b32_sdwa v17, v17, v7 dst_sel:DWORD dst_unused:UNUSED_PAD src0_sel:DWORD src1_sel:WORD_1
	v_bfrev_b32_e32 v19, 60
	v_lshlrev_b32_e32 v12, 20, v12
	v_and_b32_e32 v17, 0x80000000, v17
	v_lshl_add_u32 v10, v10, 23, v19
	v_or3_b32 v17, v17, v10, v12
.LBB466_728:
	s_or_b64 exec, exec, s[26:27]
.LBB466_729:
	s_or_b64 exec, exec, s[24:25]
.LBB466_730:
	s_or_b64 exec, exec, s[14:15]
	s_mov_b32 s12, -1
	s_mov_b32 s13, 0xffffff
	v_cmp_lt_u64_e64 s[12:13], s[12:13], v[6:7]
	v_mov_b32_e32 v12, 0
	v_mov_b32_e32 v10, 0
	s_and_saveexec_b64 s[14:15], s[12:13]
	s_cbranch_execz .LBB466_736
; %bb.731:
	v_lshrrev_b32_e32 v6, 24, v7
	s_movk_i32 s11, 0x80
	v_cmp_ne_u32_e64 s[12:13], s11, v6
	v_bfrev_b32_e32 v10, 1
	s_and_saveexec_b64 s[24:25], s[12:13]
	s_cbranch_execz .LBB466_735
; %bb.732:
	v_bfe_u32 v7, v7, 24, 7
	s_movk_i32 s11, 0x7f
	v_cmp_ne_u32_e64 s[12:13], s11, v7
	v_mov_b32_e32 v10, 0x7f800001
	s_and_saveexec_b64 s[26:27], s[12:13]
	s_cbranch_execz .LBB466_734
; %bb.733:
	v_and_b32_e32 v10, 7, v6
	v_ffbh_u32_e32 v20, v10
	v_min_u32_e32 v22, 32, v20
	v_subrev_u32_e32 v20, 28, v22
	v_lshlrev_b64 v[20:21], v20, v[6:7]
	v_lshrrev_b32_e32 v19, 3, v7
	v_sub_u32_e32 v21, 29, v22
	v_and_b32_e32 v20, 7, v20
	v_cmp_gt_u32_e64 s[12:13], 8, v7
	v_cndmask_b32_e64 v7, v19, v21, s[12:13]
	v_cndmask_b32_e64 v10, v10, v20, s[12:13]
	v_lshlrev_b32_e32 v6, 24, v6
	v_bfrev_b32_e32 v19, 60
	v_lshlrev_b32_e32 v10, 20, v10
	v_and_b32_e32 v6, 0x80000000, v6
	v_lshl_add_u32 v7, v7, 23, v19
	v_or3_b32 v10, v6, v7, v10
.LBB466_734:
	s_or_b64 exec, exec, s[26:27]
.LBB466_735:
	s_or_b64 exec, exec, s[24:25]
.LBB466_736:
	s_or_b64 exec, exec, s[14:15]
	v_cvt_pkrtz_f16_f32 v6, v14, v15
	v_cvt_pkrtz_f16_f32 v7, v13, v16
	;; [unrolled: 1-line block ×4, first 2 shown]
	v_mfma_f32_4x4x4f16 a[0:3], v[2:3], v[6:7], a[0:3] cbsz:4 abid:14
	v_cmp_ne_u16_sdwa s[12:13], v8, v12 src0_sel:BYTE_0 src1_sel:DWORD
	v_mfma_f32_4x4x4f16 a[0:3], v[4:5], v[14:15], a[0:3] cbsz:4 abid:14
	s_and_saveexec_b64 s[14:15], s[12:13]
	s_cbranch_execz .LBB466_742
; %bb.737:
	s_movk_i32 s11, 0x80
	v_cmp_ne_u16_sdwa s[12:13], v8, s11 src0_sel:BYTE_0 src1_sel:DWORD
	v_bfrev_b32_e32 v12, 1
	s_and_saveexec_b64 s[24:25], s[12:13]
	s_cbranch_execz .LBB466_741
; %bb.738:
	s_movk_i32 s11, 0x7f
	v_and_b32_e32 v6, 0x7f, v8
	v_cmp_ne_u32_e64 s[12:13], s11, v6
	v_mov_b32_e32 v12, 0x7f800001
	s_and_saveexec_b64 s[26:27], s[12:13]
	s_cbranch_execz .LBB466_740
; %bb.739:
	v_and_b32_e32 v7, 7, v8
	v_ffbh_u32_e32 v7, v7
	v_min_u32_e32 v7, 32, v7
	v_subrev_u32_e32 v11, 28, v7
	v_cmp_gt_u32_e64 s[12:13], 8, v6
	v_lshrrev_b32_e32 v10, 3, v6
	v_sub_u32_e32 v7, 29, v7
	v_cndmask_b32_e64 v6, 0, v11, s[12:13]
	v_cndmask_b32_e64 v10, v10, v7, s[12:13]
	v_lshlrev_b64 v[6:7], v6, v[8:9]
	v_lshlrev_b32_e32 v6, 20, v6
	v_lshlrev_b32_e32 v7, 24, v8
	v_bfrev_b32_e32 v11, 60
	v_and_b32_e32 v6, 0x700000, v6
	v_and_b32_e32 v7, 0x80000000, v7
	v_lshl_add_u32 v10, v10, 23, v11
	v_or3_b32 v12, v7, v10, v6
.LBB466_740:
	s_or_b64 exec, exec, s[26:27]
.LBB466_741:
	s_or_b64 exec, exec, s[24:25]
.LBB466_742:
	s_or_b64 exec, exec, s[14:15]
	v_lshrrev_b16_e32 v6, 8, v8
	v_cmp_ne_u16_e64 s[12:13], 0, v6
	v_mov_b32_e32 v11, 0
	v_mov_b32_e32 v13, 0
	s_and_saveexec_b64 s[14:15], s[12:13]
	s_cbranch_execz .LBB466_748
; %bb.743:
	s_movk_i32 s11, 0x80
	v_cmp_ne_u16_e64 s[12:13], s11, v6
	v_bfrev_b32_e32 v13, 1
	s_and_saveexec_b64 s[24:25], s[12:13]
	s_cbranch_execz .LBB466_747
; %bb.744:
	s_movk_i32 s11, 0x7f
	v_and_b32_e32 v7, 0x7f, v6
	v_cmp_ne_u32_e64 s[12:13], s11, v7
	v_mov_b32_e32 v13, 0x7f800001
	s_and_saveexec_b64 s[26:27], s[12:13]
	s_cbranch_execz .LBB466_746
; %bb.745:
	v_and_b32_e32 v10, 7, v6
	v_ffbh_u32_e32 v14, v10
	v_min_u32_e32 v16, 32, v14
	v_subrev_u32_e32 v14, 28, v16
	v_lshlrev_b64 v[14:15], v14, v[6:7]
	v_lshrrev_b32_e32 v13, 3, v7
	v_sub_u32_e32 v6, 29, v16
	v_and_b32_e32 v14, 7, v14
	v_cmp_gt_u32_e64 s[12:13], 8, v7
	v_cndmask_b32_e64 v6, v13, v6, s[12:13]
	v_cndmask_b32_e64 v7, v10, v14, s[12:13]
	v_lshlrev_b32_e32 v10, 16, v8
	v_bfrev_b32_e32 v13, 60
	v_lshlrev_b32_e32 v7, 20, v7
	v_and_b32_e32 v10, 0x80000000, v10
	v_lshl_add_u32 v6, v6, 23, v13
	v_or3_b32 v13, v10, v6, v7
.LBB466_746:
	s_or_b64 exec, exec, s[26:27]
.LBB466_747:
	s_or_b64 exec, exec, s[24:25]
.LBB466_748:
	s_or_b64 exec, exec, s[14:15]
	s_movk_i32 s11, 0xff
	v_and_b32_sdwa v7, v8, s11 dst_sel:DWORD dst_unused:UNUSED_PAD src0_sel:WORD_1 src1_sel:DWORD
	v_lshrrev_b32_e32 v6, 16, v8
	v_cmp_ne_u16_e64 s[12:13], 0, v7
	s_and_saveexec_b64 s[14:15], s[12:13]
	s_cbranch_execz .LBB466_754
; %bb.749:
	s_movk_i32 s11, 0x80
	v_cmp_ne_u16_e64 s[12:13], s11, v7
	v_bfrev_b32_e32 v11, 1
	s_and_saveexec_b64 s[24:25], s[12:13]
	s_cbranch_execz .LBB466_753
; %bb.750:
	v_bfe_u32 v7, v8, 16, 7
	s_movk_i32 s11, 0x7f
	v_cmp_ne_u32_e64 s[12:13], s11, v7
	v_mov_b32_e32 v11, 0x7f800001
	s_and_saveexec_b64 s[26:27], s[12:13]
	s_cbranch_execz .LBB466_752
; %bb.751:
	v_and_b32_e32 v14, 7, v6
	v_ffbh_u32_e32 v10, v14
	v_min_u32_e32 v16, 32, v10
	v_subrev_u32_e32 v10, 28, v16
	v_lshlrev_b64 v[10:11], v10, v[6:7]
	v_and_b32_e32 v10, 7, v10
	v_cmp_gt_u32_e64 s[12:13], 8, v7
	v_lshrrev_b32_e32 v15, 3, v7
	v_sub_u32_e32 v6, 29, v16
	v_cndmask_b32_e64 v7, v14, v10, s[12:13]
	v_mov_b32_e32 v10, 24
	v_cndmask_b32_e64 v6, v15, v6, s[12:13]
	v_lshlrev_b32_sdwa v10, v10, v8 dst_sel:DWORD dst_unused:UNUSED_PAD src0_sel:DWORD src1_sel:WORD_1
	v_bfrev_b32_e32 v11, 60
	v_lshlrev_b32_e32 v7, 20, v7
	v_and_b32_e32 v10, 0x80000000, v10
	v_lshl_add_u32 v6, v6, 23, v11
	v_or3_b32 v11, v10, v6, v7
.LBB466_752:
	s_or_b64 exec, exec, s[26:27]
.LBB466_753:
	s_or_b64 exec, exec, s[24:25]
.LBB466_754:
	s_or_b64 exec, exec, s[14:15]
	s_mov_b32 s11, 0xffffff
	v_cmp_lt_u32_e64 s[12:13], s11, v8
	v_mov_b32_e32 v7, 0
	v_mov_b32_e32 v14, 0
	s_and_saveexec_b64 s[14:15], s[12:13]
	s_cbranch_execz .LBB466_760
; %bb.755:
	v_lshrrev_b32_e32 v6, 24, v8
	s_movk_i32 s11, 0x80
	v_cmp_ne_u32_e64 s[12:13], s11, v6
	v_bfrev_b32_e32 v14, 1
	s_and_saveexec_b64 s[24:25], s[12:13]
	s_cbranch_execz .LBB466_759
; %bb.756:
	v_bfe_u32 v10, v8, 24, 7
	s_movk_i32 s11, 0x7f
	v_cmp_ne_u32_e64 s[12:13], s11, v10
	v_mov_b32_e32 v14, 0x7f800001
	s_and_saveexec_b64 s[26:27], s[12:13]
	s_cbranch_execz .LBB466_758
; %bb.757:
	v_and_b32_e32 v16, 7, v6
	v_ffbh_u32_e32 v14, v16
	v_min_u32_e32 v18, 32, v14
	v_subrev_u32_e32 v14, 28, v18
	v_lshlrev_b64 v[14:15], v14, v[6:7]
	v_lshrrev_b32_e32 v17, 3, v10
	v_sub_u32_e32 v15, 29, v18
	v_and_b32_e32 v14, 7, v14
	v_cmp_gt_u32_e64 s[12:13], 8, v10
	v_cndmask_b32_e64 v10, v17, v15, s[12:13]
	v_cndmask_b32_e64 v14, v16, v14, s[12:13]
	v_lshlrev_b32_e32 v6, 24, v6
	v_bfrev_b32_e32 v15, 60
	v_lshlrev_b32_e32 v14, 20, v14
	v_and_b32_e32 v6, 0x80000000, v6
	v_lshl_add_u32 v10, v10, 23, v15
	v_or3_b32 v14, v6, v10, v14
.LBB466_758:
	s_or_b64 exec, exec, s[26:27]
.LBB466_759:
	s_or_b64 exec, exec, s[24:25]
.LBB466_760:
	s_or_b64 exec, exec, s[14:15]
	v_mov_b32_e32 v6, v9
	v_cmp_ne_u16_sdwa s[12:13], v9, v7 src0_sel:BYTE_0 src1_sel:DWORD
	s_and_saveexec_b64 s[14:15], s[12:13]
	s_cbranch_execz .LBB466_766
; %bb.761:
	s_movk_i32 s11, 0x80
	v_cmp_ne_u16_sdwa s[12:13], v9, s11 src0_sel:BYTE_0 src1_sel:DWORD
	v_bfrev_b32_e32 v10, 1
	s_and_saveexec_b64 s[24:25], s[12:13]
	s_cbranch_execz .LBB466_765
; %bb.762:
	s_movk_i32 s11, 0x7f
	v_and_b32_e32 v15, 0x7f, v9
	v_cmp_ne_u32_e64 s[12:13], s11, v15
	v_mov_b32_e32 v10, 0x7f800001
	s_and_saveexec_b64 s[26:27], s[12:13]
	s_cbranch_execz .LBB466_764
; %bb.763:
	v_and_b32_e32 v10, 7, v9
	v_ffbh_u32_e32 v10, v10
	v_min_u32_e32 v10, 32, v10
	v_subrev_u32_e32 v17, 28, v10
	v_cmp_gt_u32_e64 s[12:13], 8, v15
	v_lshrrev_b32_e32 v16, 3, v15
	v_sub_u32_e32 v10, 29, v10
	v_cndmask_b32_e64 v15, 0, v17, s[12:13]
	v_cndmask_b32_e64 v10, v16, v10, s[12:13]
	v_lshlrev_b64 v[16:17], v15, v[6:7]
	v_lshlrev_b32_e32 v7, 20, v16
	v_lshlrev_b32_e32 v15, 24, v6
	v_bfrev_b32_e32 v16, 60
	v_and_b32_e32 v7, 0x700000, v7
	v_and_b32_e32 v15, 0x80000000, v15
	v_lshl_add_u32 v10, v10, 23, v16
	v_or3_b32 v10, v15, v10, v7
.LBB466_764:
	s_or_b64 exec, exec, s[26:27]
.LBB466_765:
	s_or_b64 exec, exec, s[24:25]
	v_mov_b32_e32 v7, v10
.LBB466_766:
	s_or_b64 exec, exec, s[14:15]
	v_lshrrev_b16_e32 v10, 8, v6
	v_cmp_ne_u16_e64 s[12:13], 0, v10
	v_mov_b32_e32 v15, 0
	v_mov_b32_e32 v16, 0
	s_and_saveexec_b64 s[14:15], s[12:13]
	s_cbranch_execz .LBB466_772
; %bb.767:
	s_movk_i32 s11, 0x80
	v_cmp_ne_u16_e64 s[12:13], s11, v10
	v_bfrev_b32_e32 v16, 1
	s_and_saveexec_b64 s[24:25], s[12:13]
	s_cbranch_execz .LBB466_771
; %bb.768:
	s_movk_i32 s11, 0x7f
	v_and_b32_e32 v17, 0x7f, v10
	v_cmp_ne_u32_e64 s[12:13], s11, v17
	v_mov_b32_e32 v16, 0x7f800001
	s_and_saveexec_b64 s[26:27], s[12:13]
	s_cbranch_execz .LBB466_770
; %bb.769:
	v_and_b32_e32 v16, 7, v10
	v_ffbh_u32_e32 v18, v16
	v_min_u32_e32 v21, 32, v18
	v_subrev_u32_e32 v18, 28, v21
	v_lshlrev_b64 v[18:19], v18, v[10:11]
	v_lshrrev_b32_e32 v20, 3, v17
	v_sub_u32_e32 v10, 29, v21
	v_and_b32_e32 v18, 7, v18
	v_cmp_gt_u32_e64 s[12:13], 8, v17
	v_cndmask_b32_e64 v10, v20, v10, s[12:13]
	v_cndmask_b32_e64 v16, v16, v18, s[12:13]
	v_lshlrev_b32_e32 v6, 16, v6
	v_bfrev_b32_e32 v17, 60
	v_lshlrev_b32_e32 v16, 20, v16
	v_and_b32_e32 v6, 0x80000000, v6
	v_lshl_add_u32 v10, v10, 23, v17
	v_or3_b32 v16, v6, v10, v16
.LBB466_770:
	s_or_b64 exec, exec, s[26:27]
.LBB466_771:
	s_or_b64 exec, exec, s[24:25]
.LBB466_772:
	s_or_b64 exec, exec, s[14:15]
	s_movk_i32 s11, 0xff
	v_and_b32_sdwa v10, v9, s11 dst_sel:DWORD dst_unused:UNUSED_PAD src0_sel:WORD_1 src1_sel:DWORD
	v_lshrrev_b32_e32 v6, 16, v9
	v_cmp_ne_u16_e64 s[12:13], 0, v10
	s_and_saveexec_b64 s[14:15], s[12:13]
	s_cbranch_execz .LBB466_778
; %bb.773:
	s_movk_i32 s11, 0x80
	v_cmp_ne_u16_e64 s[12:13], s11, v10
	v_bfrev_b32_e32 v15, 1
	s_and_saveexec_b64 s[24:25], s[12:13]
	s_cbranch_execz .LBB466_777
; %bb.774:
	v_bfe_u32 v10, v9, 16, 7
	s_movk_i32 s11, 0x7f
	v_cmp_ne_u32_e64 s[12:13], s11, v10
	v_mov_b32_e32 v15, 0x7f800001
	s_and_saveexec_b64 s[26:27], s[12:13]
	s_cbranch_execz .LBB466_776
; %bb.775:
	v_and_b32_e32 v15, 7, v6
	v_ffbh_u32_e32 v18, v15
	v_min_u32_e32 v20, 32, v18
	v_subrev_u32_e32 v18, 28, v20
	v_lshlrev_b64 v[18:19], v18, v[6:7]
	v_and_b32_e32 v18, 7, v18
	v_cmp_gt_u32_e64 s[12:13], 8, v10
	v_lshrrev_b32_e32 v17, 3, v10
	v_sub_u32_e32 v6, 29, v20
	v_cndmask_b32_e64 v10, v15, v18, s[12:13]
	v_mov_b32_e32 v15, 24
	v_cndmask_b32_e64 v6, v17, v6, s[12:13]
	v_lshlrev_b32_sdwa v15, v15, v9 dst_sel:DWORD dst_unused:UNUSED_PAD src0_sel:DWORD src1_sel:WORD_1
	v_bfrev_b32_e32 v17, 60
	v_lshlrev_b32_e32 v10, 20, v10
	v_and_b32_e32 v15, 0x80000000, v15
	v_lshl_add_u32 v6, v6, 23, v17
	v_or3_b32 v15, v15, v6, v10
.LBB466_776:
	s_or_b64 exec, exec, s[26:27]
.LBB466_777:
	s_or_b64 exec, exec, s[24:25]
.LBB466_778:
	s_or_b64 exec, exec, s[14:15]
	s_mov_b32 s12, -1
	s_mov_b32 s13, 0xffffff
	v_cmp_lt_u64_e64 s[12:13], s[12:13], v[8:9]
	v_mov_b32_e32 v8, 0
	s_and_saveexec_b64 s[14:15], s[12:13]
	s_cbranch_execz .LBB466_784
; %bb.779:
	v_lshrrev_b32_e32 v6, 24, v9
	s_movk_i32 s11, 0x80
	v_cmp_ne_u32_e64 s[12:13], s11, v6
	v_bfrev_b32_e32 v8, 1
	s_and_saveexec_b64 s[24:25], s[12:13]
	s_cbranch_execz .LBB466_783
; %bb.780:
	v_bfe_u32 v9, v9, 24, 7
	s_movk_i32 s11, 0x7f
	v_cmp_ne_u32_e64 s[12:13], s11, v9
	v_mov_b32_e32 v8, 0x7f800001
	s_and_saveexec_b64 s[26:27], s[12:13]
	s_cbranch_execz .LBB466_782
; %bb.781:
	v_and_b32_e32 v8, 7, v6
	v_ffbh_u32_e32 v17, v8
	v_min_u32_e32 v17, 32, v17
	v_subrev_u32_e32 v18, 28, v17
	v_lshlrev_b64 v[18:19], v18, v[6:7]
	v_lshrrev_b32_e32 v10, 3, v9
	v_sub_u32_e32 v17, 29, v17
	v_and_b32_e32 v18, 7, v18
	v_cmp_gt_u32_e64 s[12:13], 8, v9
	v_cndmask_b32_e64 v9, v10, v17, s[12:13]
	v_cndmask_b32_e64 v8, v8, v18, s[12:13]
	v_lshlrev_b32_e32 v6, 24, v6
	v_bfrev_b32_e32 v10, 60
	v_lshlrev_b32_e32 v8, 20, v8
	v_and_b32_e32 v6, 0x80000000, v6
	v_lshl_add_u32 v9, v9, 23, v10
	v_or3_b32 v8, v6, v9, v8
.LBB466_782:
	s_or_b64 exec, exec, s[26:27]
.LBB466_783:
	s_or_b64 exec, exec, s[24:25]
.LBB466_784:
	s_or_b64 exec, exec, s[14:15]
	s_load_dword s4, s[4:5], 0x1c
	v_cvt_pkrtz_f16_f32 v10, v12, v13
	v_cvt_pkrtz_f16_f32 v11, v11, v14
	s_load_dword s5, s[16:17], 0x0
	v_cvt_pkrtz_f16_f32 v6, v7, v16
	v_mfma_f32_4x4x4f16 a[0:3], v[2:3], v[10:11], a[0:3] cbsz:4 abid:15
	v_cvt_pkrtz_f16_f32 v7, v15, v8
	s_waitcnt lgkmcnt(0)
	v_mov_b32_e32 v2, s4
	v_mul_f32_e32 v2, s5, v2
	v_mfma_f32_4x4x4f16 a[0:3], v[4:5], v[6:7], a[0:3] cbsz:4 abid:15
	v_mov_b32_e32 v9, 0xff7fffff
	s_nop 3
	v_accvgpr_read_b32 v5, a1
	v_accvgpr_read_b32 v4, a0
	v_pk_mul_f32 v[4:5], v[4:5], v[2:3] op_sel_hi:[1,0]
	v_accvgpr_read_b32 v7, a3
	v_accvgpr_read_b32 v6, a2
	v_pk_mul_f32 v[2:3], v[6:7], v[2:3] op_sel_hi:[1,0]
	v_cndmask_b32_e64 v6, 0, 1.0, vcc
	v_cmp_eq_u32_e32 vcc, 1, v43
	s_nop 0
	v_mfma_f32_4x4x1f32 a[0:3], v4, v6, 0
	v_cndmask_b32_e64 v4, 0, 1.0, vcc
	v_cmp_eq_u32_e32 vcc, 2, v43
	s_nop 0
	v_mfma_f32_4x4x1f32 a[0:3], v5, v4, a[0:3]
	v_cndmask_b32_e64 v4, 0, 1.0, vcc
	v_cmp_eq_u32_e32 vcc, 3, v43
	s_nop 0
	v_mfma_f32_4x4x1f32 a[0:3], v2, v4, a[0:3]
	v_cndmask_b32_e64 v2, 0, 1.0, vcc
	s_nop 1
	v_mfma_f32_4x4x1f32 a[0:3], v3, v2, a[0:3]
	v_and_b32_e32 v2, -4, v44
	v_subrev_u32_e32 v3, s9, v2
	v_add_u32_e32 v4, 1, v3
	v_cvt_f32_i32_e32 v4, v4
	v_add_u32_e32 v5, 2, v3
	v_cvt_f32_i32_e32 v5, v5
	v_accvgpr_read_b32 v6, a0
	v_fma_f32 v4, v45, v4, v6
	v_accvgpr_read_b32 v6, a1
	v_fma_f32 v5, v45, v5, v6
	v_add_u32_e32 v6, 3, v3
	v_cvt_f32_i32_e32 v6, v6
	v_accvgpr_read_b32 v7, a2
	v_add_u32_e32 v3, 4, v3
	v_cmp_gt_i32_e32 vcc, s9, v2
	v_fma_f32 v7, v45, v6, v7
	v_max_f32_e32 v6, 0xff7fffff, v4
	v_cvt_f32_i32_e32 v3, v3
	v_cndmask_b32_e32 v6, v9, v6, vcc
	v_or_b32_e32 v9, 1, v2
	v_max_f32_e32 v10, v6, v5
	v_cmp_gt_i32_e64 s[4:5], s9, v9
	v_cndmask_b32_e64 v6, v6, v10, s[4:5]
	v_or_b32_e32 v2, 2, v2
	v_accvgpr_read_b32 v8, a3
	v_max_f32_e32 v9, v6, v7
	v_cmp_gt_i32_e64 s[12:13], s9, v2
	v_fmac_f32_e32 v8, v45, v3
	v_cndmask_b32_e64 v2, v6, v9, s[12:13]
	v_or_b32_e32 v6, 3, v44
	v_max_f32_e32 v9, v2, v8
	v_cmp_gt_i32_e64 s[14:15], s9, v6
	v_lshlrev_b32_e32 v3, 2, v0
	v_cndmask_b32_e64 v2, v2, v9, s[14:15]
	v_and_or_b32 v3, v3, 48, v43
	;;#ASMSTART
	v_nop
 v_nop
 v_max_f32_dpp v2, v2, v2 row_ror:4
	;;#ASMEND
	v_lshlrev_b32_e32 v9, 2, v3
	;;#ASMSTART
	v_nop
 v_nop
 v_max_f32_dpp v2, v2, v2 row_ror:8
	;;#ASMEND
	ds_bpermute_b32 v2, v9, v2
	s_waitcnt lgkmcnt(0)
	;;#ASMSTART
	v_nop
 v_nop
 v_max_f32_dpp v2, v2, v2 row_ror:4
	;;#ASMEND
	;;#ASMSTART
	v_nop
 v_nop
 v_max_f32_dpp v6, v2, v2 row_ror:8
	;;#ASMEND
	v_sub_f32_e32 v2, v4, v6
	v_mul_f32_e32 v2, 0x3fb8aa3b, v2
	v_sub_f32_e32 v3, v5, v6
	v_exp_f32_e32 v2, v2
	v_mul_f32_e32 v3, 0x3fb8aa3b, v3
	v_sub_f32_e32 v5, v7, v6
	v_exp_f32_e32 v3, v3
	;; [unrolled: 3-line block ×3, first 2 shown]
	v_mul_f32_e32 v7, 0x3fb8aa3b, v7
	v_exp_f32_e32 v7, v7
	v_cndmask_b32_e32 v2, 0, v2, vcc
	v_add_f32_e32 v4, 0, v2
	v_cndmask_b32_e64 v3, 0, v3, s[4:5]
	v_add_f32_e32 v8, v4, v3
	v_cndmask_b32_e64 v4, 0, v5, s[12:13]
	;; [unrolled: 2-line block ×3, first 2 shown]
	v_add_f32_e32 v7, v8, v5
	;;#ASMSTART
	v_nop
 v_nop
 v_add_f32_dpp v7, v7, v7 row_ror:4
	;;#ASMEND
	;;#ASMSTART
	v_nop
 v_nop
 v_add_f32_dpp v7, v7, v7 row_ror:8
	;;#ASMEND
	ds_bpermute_b32 v7, v9, v7
	s_waitcnt lgkmcnt(0)
	;;#ASMSTART
	v_nop
 v_nop
 v_add_f32_dpp v7, v7, v7 row_ror:4
	;;#ASMEND
	v_cmp_gt_u32_e32 vcc, 4, v1
	;;#ASMSTART
	v_nop
 v_nop
 v_add_f32_dpp v7, v7, v7 row_ror:8
	;;#ASMEND
	s_and_saveexec_b64 s[4:5], vcc
	s_cbranch_execz .LBB466_786
; %bb.785:
	v_mul_u32_u24_e32 v8, 20, v42
	v_lshl_add_u32 v8, v43, 2, v8
	v_add_u32_e32 v8, 0x1400, v8
	ds_write2_b32 v8, v6, v7 offset1:20
.LBB466_786:
	s_or_b64 exec, exec, s[4:5]
.LBB466_787:
	s_or_b64 exec, exec, s[36:37]
	s_waitcnt lgkmcnt(0)
	s_barrier
	s_load_dword s4, s[34:35], 0x8
	v_lshlrev_b32_e32 v7, 2, v43
	v_add_u32_e32 v9, 0x1400, v7
	ds_read2_b32 v[10:11], v9 offset1:5
	ds_read2_b32 v[12:13], v9 offset0:10 offset1:15
	s_mul_i32 s5, s33, s8
	s_waitcnt lgkmcnt(0)
	s_mul_i32 s4, s5, s4
	s_mov_b32 s5, 0xff7fffff
	v_max3_f32 v7, v10, s5, v11
	v_max3_f32 v8, v7, v12, v13
	v_sub_f32_e32 v7, v10, v8
	v_sub_f32_e32 v10, v11, v8
	v_mul_f32_e32 v10, 0x3fb8aa3b, v10
	ds_read2_b32 v[14:15], v9 offset0:20 offset1:25
	v_mul_f32_e32 v7, 0x3fb8aa3b, v7
	v_exp_f32_e32 v17, v10
	ds_read2_b32 v[10:11], v9 offset0:30 offset1:35
	v_sub_f32_e32 v9, v12, v8
	v_exp_f32_e32 v16, v7
	v_mul_f32_e32 v9, 0x3fb8aa3b, v9
	v_exp_f32_e32 v12, v9
	v_sub_f32_e32 v9, v13, v8
	v_mul_f32_e32 v9, 0x3fb8aa3b, v9
	v_exp_f32_e32 v13, v9
	s_waitcnt lgkmcnt(1)
	v_fma_f32 v9, v16, v14, 0
	v_fmac_f32_e32 v9, v17, v15
	s_waitcnt lgkmcnt(0)
	v_fmac_f32_e32 v9, v12, v10
	v_mov_b32_e32 v7, 0
	v_fmac_f32_e32 v9, v13, v11
	s_mov_b32 s5, 0
	v_cmp_eq_u32_e32 vcc, 0, v43
	s_and_saveexec_b64 s[8:9], vcc
	s_cbranch_execz .LBB466_789
; %bb.788:
	s_lshl_b64 s[12:13], s[4:5], 2
	s_add_u32 s11, s20, s12
	s_mov_b32 s29, s5
	s_addc_u32 s16, s21, s13
	s_lshl_b64 s[14:15], s[28:29], 2
	s_add_u32 s11, s11, s14
	s_addc_u32 s16, s16, s15
	s_add_u32 s12, s22, s12
	s_addc_u32 s13, s23, s13
	;; [unrolled: 2-line block ×3, first 2 shown]
	s_mul_i32 s12, s33, s10
	s_mov_b32 s13, s5
	s_lshl_b64 s[12:13], s[12:13], 2
	s_add_u32 s14, s11, s12
	s_addc_u32 s15, s16, s13
	s_add_u32 s12, s17, s12
	s_addc_u32 s13, s20, s13
	global_store_dword v7, v8, s[12:13]
	global_store_dword v7, v9, s[14:15]
.LBB466_789:
	s_or_b64 exec, exec, s[8:9]
	v_lshlrev_b32_e32 v7, 3, v42
	s_and_saveexec_b64 s[8:9], s[6:7]
	s_xor_b64 s[6:7], exec, s[8:9]
	s_cbranch_execz .LBB466_791
; %bb.790:
	s_mov_b32 s8, 0
	s_mov_b32 s9, s8
	v_mad_u32_u24 v4, v1, 40, v7
	v_pk_mov_b32 v[2:3], s[8:9], s[8:9] op_sel:[0,1]
	ds_write2st64_b64 v4, v[2:3], v[2:3] offset1:5
                                        ; implicit-def: $vgpr7
                                        ; implicit-def: $vgpr6
                                        ; implicit-def: $vgpr8
                                        ; implicit-def: $vgpr9
                                        ; implicit-def: $vgpr4
                                        ; implicit-def: $vgpr2
.LBB466_791:
	s_andn2_saveexec_b64 s[6:7], s[6:7]
	s_cbranch_execz .LBB466_1178
; %bb.792:
	v_add_f32_e32 v9, 0x358637bd, v9
	v_div_scale_f32 v10, s[8:9], v9, v9, 1.0
	v_rcp_f32_e32 v11, v10
	v_sub_f32_e32 v6, v6, v8
	v_mul_f32_e32 v6, 0x3fb8aa3b, v6
	v_exp_f32_e32 v6, v6
	v_fma_f32 v8, -v10, v11, 1.0
	v_fmac_f32_e32 v11, v8, v11
	v_div_scale_f32 v8, vcc, 1.0, v9, 1.0
	v_mul_f32_e32 v12, v8, v11
	v_fma_f32 v13, -v10, v12, v8
	v_fmac_f32_e32 v12, v13, v11
	v_fma_f32 v8, -v10, v12, v8
	v_div_fmas_f32 v8, v8, v11, v12
	v_div_fixup_f32 v8, v8, v9, 1.0
	v_mul_f32_e32 v6, v6, v8
	v_pk_mul_f32 v[4:5], v[4:5], v[6:7] op_sel_hi:[1,0]
	v_pk_mul_f32 v[2:3], v[2:3], v[6:7] op_sel_hi:[1,0]
	s_load_dword s8, s[18:19], 0x0
	v_cvt_f16_f32_e32 v2, v2
	v_cvt_f16_f32_e32 v3, v3
	;; [unrolled: 1-line block ×4, first 2 shown]
	v_mov_b32_e32 v11, 0
	v_add_u32_e32 v5, 64, v11
	v_pack_b32_f16 v2, v2, v3
	v_pack_b32_f16 v3, v4, v6
	s_waitcnt lgkmcnt(0)
	s_mov_b32 s9, s8
	s_mov_b32 s12, s8
	;; [unrolled: 1-line block ×4, first 2 shown]
	s_mov_b64 s[14:15], -1
	s_movk_i32 s5, 0x80
	s_movk_i32 s22, 0x7f
	s_mov_b32 s23, 0xffffff
	v_mov_b32_e32 v9, 0
	v_bfrev_b32_e32 v10, 60
	s_branch .LBB466_796
.LBB466_793:                            ;   in Loop: Header=BB466_796 Depth=1
	s_or_b64 exec, exec, s[20:21]
.LBB466_794:                            ;   in Loop: Header=BB466_796 Depth=1
	s_or_b64 exec, exec, s[18:19]
.LBB466_795:                            ;   in Loop: Header=BB466_796 Depth=1
	s_or_b64 exec, exec, s[16:17]
	v_cvt_pkrtz_f16_f32 v12, v13, v12
	v_cvt_pkrtz_f16_f32 v13, v11, v15
	;; [unrolled: 1-line block ×4, first 2 shown]
	v_mfma_f32_4x4x4f16 a[0:3], v[2:3], v[12:13], a[0:3] cbsz:4 abid:14
	s_mulk_i32 s11, 0xa00
	v_mfma_f32_4x4x4f16 a[0:3], v[2:3], v[14:15], a[0:3] cbsz:4 abid:15
	s_xor_b64 s[16:17], s[14:15], -1
	s_mov_b64 s[14:15], 0
	s_andn2_b64 vcc, exec, s[16:17]
	s_nop 1
	v_accvgpr_read_b32 v15, a1
	v_accvgpr_read_b32 v14, a0
	;; [unrolled: 1-line block ×4, first 2 shown]
	v_pk_mul_f32 v[14:15], v[14:15], s[8:9]
	v_pk_mul_f32 v[12:13], v[12:13], s[12:13]
	v_cvt_f16_f32_e32 v4, v14
	v_cvt_f16_f32_e32 v6, v15
	;; [unrolled: 1-line block ×4, first 2 shown]
	v_pack_b32_f16 v12, v4, v6
	v_mul_u32_u24_e32 v4, 40, v1
	v_pack_b32_f16 v13, v8, v11
	v_add3_u32 v4, s11, v4, v7
	s_mov_b32 s11, 1
	v_mov_b32_e32 v11, v5
	ds_write_b64 v4, v[12:13]
	s_cbranch_vccz .LBB466_1178
.LBB466_796:                            ; =>This Inner Loop Header: Depth=1
	buffer_load_dword v6, v11, s[0:3], 0 offen
	buffer_load_dword v4, v11, s[0:3], 0 offen offset:4
	v_mov_b32_e32 v13, 0
	s_waitcnt vmcnt(1)
	v_cmp_ne_u16_sdwa s[18:19], v6, v9 src0_sel:BYTE_0 src1_sel:DWORD
	s_and_saveexec_b64 s[16:17], s[18:19]
	s_cbranch_execz .LBB466_802
; %bb.797:                              ;   in Loop: Header=BB466_796 Depth=1
	v_cmp_ne_u16_sdwa s[20:21], v6, s5 src0_sel:BYTE_0 src1_sel:DWORD
	v_bfrev_b32_e32 v13, 1
	s_and_saveexec_b64 s[18:19], s[20:21]
	s_cbranch_execz .LBB466_801
; %bb.798:                              ;   in Loop: Header=BB466_796 Depth=1
	v_and_b32_e32 v8, 0x7f, v6
	v_cmp_ne_u32_e32 vcc, s22, v8
	v_mov_b32_e32 v13, 0x7f800001
	s_and_saveexec_b64 s[20:21], vcc
	s_cbranch_execz .LBB466_800
; %bb.799:                              ;   in Loop: Header=BB466_796 Depth=1
	v_and_b32_e32 v14, 7, v6
	v_ffbh_u32_e32 v12, v14
	v_min_u32_e32 v16, 32, v12
	v_subrev_u32_e32 v12, 28, v16
	v_lshlrev_b64 v[12:13], v12, v[6:7]
	v_lshrrev_b32_e32 v15, 3, v8
	v_sub_u32_e32 v13, 29, v16
	v_and_b32_e32 v12, 7, v12
	v_cmp_gt_u32_e32 vcc, 8, v8
	v_cndmask_b32_e32 v8, v15, v13, vcc
	v_cndmask_b32_e32 v12, v14, v12, vcc
	v_lshlrev_b32_e32 v13, 24, v6
	v_lshlrev_b32_e32 v12, 20, v12
	v_and_b32_e32 v13, 0x80000000, v13
	v_lshl_add_u32 v8, v8, 23, v10
	v_or3_b32 v13, v13, v8, v12
.LBB466_800:                            ;   in Loop: Header=BB466_796 Depth=1
	s_or_b64 exec, exec, s[20:21]
.LBB466_801:                            ;   in Loop: Header=BB466_796 Depth=1
	s_or_b64 exec, exec, s[18:19]
.LBB466_802:                            ;   in Loop: Header=BB466_796 Depth=1
	s_or_b64 exec, exec, s[16:17]
	v_lshrrev_b16_e32 v8, 8, v6
	v_cmp_ne_u16_e32 vcc, 0, v8
	v_mov_b32_e32 v14, 0
	v_mov_b32_e32 v15, 0
	s_and_saveexec_b64 s[16:17], vcc
	s_cbranch_execz .LBB466_808
; %bb.803:                              ;   in Loop: Header=BB466_796 Depth=1
	v_cmp_ne_u16_e32 vcc, s5, v8
	v_bfrev_b32_e32 v15, 1
	s_and_saveexec_b64 s[18:19], vcc
	s_cbranch_execz .LBB466_807
; %bb.804:                              ;   in Loop: Header=BB466_796 Depth=1
	v_and_b32_e32 v12, 0x7f, v8
	v_cmp_ne_u32_e32 vcc, s22, v12
	v_mov_b32_e32 v15, 0x7f800001
	s_and_saveexec_b64 s[20:21], vcc
	s_cbranch_execz .LBB466_806
; %bb.805:                              ;   in Loop: Header=BB466_796 Depth=1
	v_and_b32_e32 v15, 7, v8
	v_ffbh_u32_e32 v16, v15
	v_min_u32_e32 v19, 32, v16
	v_subrev_u32_e32 v16, 28, v19
	v_lshlrev_b64 v[16:17], v16, v[8:9]
	v_lshrrev_b32_e32 v18, 3, v12
	v_sub_u32_e32 v8, 29, v19
	v_and_b32_e32 v16, 7, v16
	v_cmp_gt_u32_e32 vcc, 8, v12
	v_cndmask_b32_e32 v8, v18, v8, vcc
	v_cndmask_b32_e32 v12, v15, v16, vcc
	v_lshlrev_b32_e32 v15, 16, v6
	v_lshlrev_b32_e32 v12, 20, v12
	v_and_b32_e32 v15, 0x80000000, v15
	v_lshl_add_u32 v8, v8, 23, v10
	v_or3_b32 v15, v15, v8, v12
.LBB466_806:                            ;   in Loop: Header=BB466_796 Depth=1
	s_or_b64 exec, exec, s[20:21]
.LBB466_807:                            ;   in Loop: Header=BB466_796 Depth=1
	s_or_b64 exec, exec, s[18:19]
.LBB466_808:                            ;   in Loop: Header=BB466_796 Depth=1
	s_or_b64 exec, exec, s[16:17]
	v_lshrrev_b32_e32 v8, 16, v6
	v_cmp_ne_u16_sdwa s[18:19], v8, v9 src0_sel:BYTE_0 src1_sel:DWORD
	s_and_saveexec_b64 s[16:17], s[18:19]
	s_cbranch_execz .LBB466_814
; %bb.809:                              ;   in Loop: Header=BB466_796 Depth=1
	v_cmp_ne_u16_sdwa s[20:21], v8, s5 src0_sel:BYTE_0 src1_sel:DWORD
	v_bfrev_b32_e32 v14, 1
	s_and_saveexec_b64 s[18:19], s[20:21]
	s_cbranch_execz .LBB466_813
; %bb.810:                              ;   in Loop: Header=BB466_796 Depth=1
	v_bfe_u32 v12, v6, 16, 7
	v_cmp_ne_u32_e32 vcc, s22, v12
	v_mov_b32_e32 v14, 0x7f800001
	s_and_saveexec_b64 s[20:21], vcc
	s_cbranch_execz .LBB466_812
; %bb.811:                              ;   in Loop: Header=BB466_796 Depth=1
	v_and_b32_e32 v14, 7, v8
	v_ffbh_u32_e32 v16, v14
	v_min_u32_e32 v19, 32, v16
	v_subrev_u32_e32 v16, 28, v19
	v_lshlrev_b64 v[16:17], v16, v[8:9]
	v_lshrrev_b32_e32 v18, 3, v12
	v_sub_u32_e32 v17, 29, v19
	v_and_b32_e32 v16, 7, v16
	v_cmp_gt_u32_e32 vcc, 8, v12
	v_cndmask_b32_e32 v12, v18, v17, vcc
	v_cndmask_b32_e32 v14, v14, v16, vcc
	v_lshlrev_b32_e32 v8, 24, v8
	v_lshlrev_b32_e32 v14, 20, v14
	v_and_b32_e32 v8, 0x80000000, v8
	v_lshl_add_u32 v12, v12, 23, v10
	v_or3_b32 v14, v8, v12, v14
.LBB466_812:                            ;   in Loop: Header=BB466_796 Depth=1
	s_or_b64 exec, exec, s[20:21]
.LBB466_813:                            ;   in Loop: Header=BB466_796 Depth=1
	s_or_b64 exec, exec, s[18:19]
.LBB466_814:                            ;   in Loop: Header=BB466_796 Depth=1
	s_or_b64 exec, exec, s[16:17]
	v_cmp_lt_u32_e32 vcc, s23, v6
	v_mov_b32_e32 v16, 0
	v_mov_b32_e32 v17, 0
	s_and_saveexec_b64 s[16:17], vcc
	s_cbranch_execz .LBB466_820
; %bb.815:                              ;   in Loop: Header=BB466_796 Depth=1
	v_lshrrev_b32_e32 v8, 24, v6
	v_cmp_ne_u32_e32 vcc, s5, v8
	v_bfrev_b32_e32 v17, 1
	s_and_saveexec_b64 s[18:19], vcc
	s_cbranch_execz .LBB466_819
; %bb.816:                              ;   in Loop: Header=BB466_796 Depth=1
	v_bfe_u32 v6, v6, 24, 7
	v_cmp_ne_u32_e32 vcc, s22, v6
	v_mov_b32_e32 v17, 0x7f800001
	s_and_saveexec_b64 s[20:21], vcc
	s_cbranch_execz .LBB466_818
; %bb.817:                              ;   in Loop: Header=BB466_796 Depth=1
	v_and_b32_e32 v12, 7, v8
	v_ffbh_u32_e32 v18, v12
	v_min_u32_e32 v20, 32, v18
	v_subrev_u32_e32 v18, 28, v20
	v_lshlrev_b64 v[18:19], v18, v[8:9]
	v_lshrrev_b32_e32 v17, 3, v6
	v_sub_u32_e32 v19, 29, v20
	v_and_b32_e32 v18, 7, v18
	v_cmp_gt_u32_e32 vcc, 8, v6
	v_cndmask_b32_e32 v6, v17, v19, vcc
	v_cndmask_b32_e32 v12, v12, v18, vcc
	v_lshlrev_b32_e32 v8, 24, v8
	v_lshlrev_b32_e32 v12, 20, v12
	v_and_b32_e32 v8, 0x80000000, v8
	v_lshl_add_u32 v6, v6, 23, v10
	v_or3_b32 v17, v8, v6, v12
.LBB466_818:                            ;   in Loop: Header=BB466_796 Depth=1
	s_or_b64 exec, exec, s[20:21]
.LBB466_819:                            ;   in Loop: Header=BB466_796 Depth=1
	s_or_b64 exec, exec, s[18:19]
.LBB466_820:                            ;   in Loop: Header=BB466_796 Depth=1
	s_or_b64 exec, exec, s[16:17]
	s_waitcnt vmcnt(0)
	v_cmp_ne_u16_sdwa s[18:19], v4, v9 src0_sel:BYTE_0 src1_sel:DWORD
	s_and_saveexec_b64 s[16:17], s[18:19]
	s_cbranch_execz .LBB466_826
; %bb.821:                              ;   in Loop: Header=BB466_796 Depth=1
	v_cmp_ne_u16_sdwa s[20:21], v4, s5 src0_sel:BYTE_0 src1_sel:DWORD
	v_bfrev_b32_e32 v16, 1
	s_and_saveexec_b64 s[18:19], s[20:21]
	s_cbranch_execz .LBB466_825
; %bb.822:                              ;   in Loop: Header=BB466_796 Depth=1
	v_and_b32_e32 v6, 0x7f, v4
	v_cmp_ne_u32_e32 vcc, s22, v6
	v_mov_b32_e32 v16, 0x7f800001
	s_and_saveexec_b64 s[20:21], vcc
	s_cbranch_execz .LBB466_824
; %bb.823:                              ;   in Loop: Header=BB466_796 Depth=1
	v_and_b32_e32 v8, 7, v4
	v_ffbh_u32_e32 v16, v8
	v_min_u32_e32 v16, 32, v16
	v_subrev_u32_e32 v18, 28, v16
	v_lshlrev_b64 v[18:19], v18, v[4:5]
	v_lshrrev_b32_e32 v12, 3, v6
	v_sub_u32_e32 v16, 29, v16
	v_and_b32_e32 v18, 7, v18
	v_cmp_gt_u32_e32 vcc, 8, v6
	v_cndmask_b32_e32 v6, v12, v16, vcc
	v_cndmask_b32_e32 v8, v8, v18, vcc
	v_lshlrev_b32_e32 v12, 24, v4
	v_lshlrev_b32_e32 v8, 20, v8
	v_and_b32_e32 v12, 0x80000000, v12
	v_lshl_add_u32 v6, v6, 23, v10
	v_or3_b32 v16, v12, v6, v8
.LBB466_824:                            ;   in Loop: Header=BB466_796 Depth=1
	s_or_b64 exec, exec, s[20:21]
.LBB466_825:                            ;   in Loop: Header=BB466_796 Depth=1
	s_or_b64 exec, exec, s[18:19]
.LBB466_826:                            ;   in Loop: Header=BB466_796 Depth=1
	s_or_b64 exec, exec, s[16:17]
	v_lshrrev_b16_e32 v6, 8, v4
	v_cmp_ne_u16_e32 vcc, 0, v6
	v_mov_b32_e32 v8, 0
	v_mov_b32_e32 v18, 0
	s_and_saveexec_b64 s[16:17], vcc
	s_cbranch_execz .LBB466_832
; %bb.827:                              ;   in Loop: Header=BB466_796 Depth=1
	v_cmp_ne_u16_e32 vcc, s5, v6
	v_bfrev_b32_e32 v18, 1
	s_and_saveexec_b64 s[18:19], vcc
	s_cbranch_execz .LBB466_831
; %bb.828:                              ;   in Loop: Header=BB466_796 Depth=1
	v_and_b32_e32 v12, 0x7f, v6
	v_cmp_ne_u32_e32 vcc, s22, v12
	v_mov_b32_e32 v18, 0x7f800001
	s_and_saveexec_b64 s[20:21], vcc
	s_cbranch_execz .LBB466_830
; %bb.829:                              ;   in Loop: Header=BB466_796 Depth=1
	v_and_b32_e32 v20, 7, v6
	v_ffbh_u32_e32 v18, v20
	v_min_u32_e32 v22, 32, v18
	v_subrev_u32_e32 v18, 28, v22
	v_lshlrev_b64 v[18:19], v18, v[6:7]
	v_lshrrev_b32_e32 v21, 3, v12
	v_sub_u32_e32 v6, 29, v22
	v_and_b32_e32 v18, 7, v18
	v_cmp_gt_u32_e32 vcc, 8, v12
	v_cndmask_b32_e32 v6, v21, v6, vcc
	v_cndmask_b32_e32 v12, v20, v18, vcc
	v_lshlrev_b32_e32 v18, 16, v4
	v_lshlrev_b32_e32 v12, 20, v12
	v_and_b32_e32 v18, 0x80000000, v18
	v_lshl_add_u32 v6, v6, 23, v10
	v_or3_b32 v18, v18, v6, v12
.LBB466_830:                            ;   in Loop: Header=BB466_796 Depth=1
	s_or_b64 exec, exec, s[20:21]
.LBB466_831:                            ;   in Loop: Header=BB466_796 Depth=1
	s_or_b64 exec, exec, s[18:19]
.LBB466_832:                            ;   in Loop: Header=BB466_796 Depth=1
	s_or_b64 exec, exec, s[16:17]
	v_lshrrev_b32_e32 v6, 16, v4
	v_cmp_ne_u16_sdwa s[18:19], v6, v9 src0_sel:BYTE_0 src1_sel:DWORD
	s_and_saveexec_b64 s[16:17], s[18:19]
	s_cbranch_execz .LBB466_838
; %bb.833:                              ;   in Loop: Header=BB466_796 Depth=1
	v_cmp_ne_u16_sdwa s[20:21], v6, s5 src0_sel:BYTE_0 src1_sel:DWORD
	v_bfrev_b32_e32 v8, 1
	s_and_saveexec_b64 s[18:19], s[20:21]
	s_cbranch_execz .LBB466_837
; %bb.834:                              ;   in Loop: Header=BB466_796 Depth=1
	v_bfe_u32 v12, v4, 16, 7
	v_cmp_ne_u32_e32 vcc, s22, v12
	v_mov_b32_e32 v8, 0x7f800001
	s_and_saveexec_b64 s[20:21], vcc
	s_cbranch_execz .LBB466_836
; %bb.835:                              ;   in Loop: Header=BB466_796 Depth=1
	v_and_b32_e32 v8, 7, v6
	v_ffbh_u32_e32 v20, v8
	v_min_u32_e32 v22, 32, v20
	v_subrev_u32_e32 v20, 28, v22
	v_lshlrev_b64 v[20:21], v20, v[6:7]
	v_lshrrev_b32_e32 v19, 3, v12
	v_sub_u32_e32 v21, 29, v22
	v_and_b32_e32 v20, 7, v20
	v_cmp_gt_u32_e32 vcc, 8, v12
	v_cndmask_b32_e32 v12, v19, v21, vcc
	v_cndmask_b32_e32 v8, v8, v20, vcc
	v_lshlrev_b32_e32 v6, 24, v6
	v_lshlrev_b32_e32 v8, 20, v8
	v_and_b32_e32 v6, 0x80000000, v6
	v_lshl_add_u32 v12, v12, 23, v10
	v_or3_b32 v8, v6, v12, v8
.LBB466_836:                            ;   in Loop: Header=BB466_796 Depth=1
	s_or_b64 exec, exec, s[20:21]
.LBB466_837:                            ;   in Loop: Header=BB466_796 Depth=1
	s_or_b64 exec, exec, s[18:19]
.LBB466_838:                            ;   in Loop: Header=BB466_796 Depth=1
	s_or_b64 exec, exec, s[16:17]
	v_cmp_lt_u32_e32 vcc, s23, v4
	v_mov_b32_e32 v12, 0
	v_mov_b32_e32 v19, 0
	s_and_saveexec_b64 s[16:17], vcc
	s_cbranch_execz .LBB466_844
; %bb.839:                              ;   in Loop: Header=BB466_796 Depth=1
	v_lshrrev_b32_e32 v6, 24, v4
	v_cmp_ne_u32_e32 vcc, s5, v6
	v_bfrev_b32_e32 v19, 1
	s_and_saveexec_b64 s[18:19], vcc
	s_cbranch_execz .LBB466_843
; %bb.840:                              ;   in Loop: Header=BB466_796 Depth=1
	v_bfe_u32 v4, v4, 24, 7
	v_cmp_ne_u32_e32 vcc, s22, v4
	v_mov_b32_e32 v19, 0x7f800001
	s_and_saveexec_b64 s[20:21], vcc
	s_cbranch_execz .LBB466_842
; %bb.841:                              ;   in Loop: Header=BB466_796 Depth=1
	v_and_b32_e32 v19, 7, v6
	v_ffbh_u32_e32 v20, v19
	v_min_u32_e32 v23, 32, v20
	v_subrev_u32_e32 v20, 28, v23
	v_lshlrev_b64 v[20:21], v20, v[6:7]
	v_lshrrev_b32_e32 v22, 3, v4
	v_sub_u32_e32 v21, 29, v23
	v_and_b32_e32 v20, 7, v20
	v_cmp_gt_u32_e32 vcc, 8, v4
	v_cndmask_b32_e32 v4, v22, v21, vcc
	v_cndmask_b32_e32 v19, v19, v20, vcc
	v_lshlrev_b32_e32 v6, 24, v6
	v_lshlrev_b32_e32 v19, 20, v19
	v_and_b32_e32 v6, 0x80000000, v6
	v_lshl_add_u32 v4, v4, 23, v10
	v_or3_b32 v19, v6, v4, v19
.LBB466_842:                            ;   in Loop: Header=BB466_796 Depth=1
	s_or_b64 exec, exec, s[20:21]
.LBB466_843:                            ;   in Loop: Header=BB466_796 Depth=1
	s_or_b64 exec, exec, s[18:19]
.LBB466_844:                            ;   in Loop: Header=BB466_796 Depth=1
	s_or_b64 exec, exec, s[16:17]
	buffer_load_dword v6, v11, s[0:3], 0 offen offset:8
	buffer_load_dword v4, v11, s[0:3], 0 offen offset:12
	v_cvt_pkrtz_f16_f32 v20, v13, v15
	v_cvt_pkrtz_f16_f32 v21, v14, v17
	;; [unrolled: 1-line block ×4, first 2 shown]
	v_mfma_f32_4x4x4f16 a[0:3], v[2:3], v[20:21], 0 cbsz:4
	s_waitcnt vmcnt(1)
	v_cmp_ne_u16_sdwa s[18:19], v6, v9 src0_sel:BYTE_0 src1_sel:DWORD
	v_mfma_f32_4x4x4f16 a[0:3], v[2:3], v[14:15], a[0:3] cbsz:4 abid:1
	s_and_saveexec_b64 s[16:17], s[18:19]
	s_cbranch_execz .LBB466_850
; %bb.845:                              ;   in Loop: Header=BB466_796 Depth=1
	v_cmp_ne_u16_sdwa s[20:21], v6, s5 src0_sel:BYTE_0 src1_sel:DWORD
	v_bfrev_b32_e32 v12, 1
	s_and_saveexec_b64 s[18:19], s[20:21]
	s_cbranch_execz .LBB466_849
; %bb.846:                              ;   in Loop: Header=BB466_796 Depth=1
	v_and_b32_e32 v8, 0x7f, v6
	v_cmp_ne_u32_e32 vcc, s22, v8
	v_mov_b32_e32 v12, 0x7f800001
	s_and_saveexec_b64 s[20:21], vcc
	s_cbranch_execz .LBB466_848
; %bb.847:                              ;   in Loop: Header=BB466_796 Depth=1
	v_and_b32_e32 v14, 7, v6
	v_ffbh_u32_e32 v12, v14
	v_min_u32_e32 v16, 32, v12
	v_subrev_u32_e32 v12, 28, v16
	v_lshlrev_b64 v[12:13], v12, v[6:7]
	v_lshrrev_b32_e32 v15, 3, v8
	v_sub_u32_e32 v13, 29, v16
	v_and_b32_e32 v12, 7, v12
	v_cmp_gt_u32_e32 vcc, 8, v8
	v_cndmask_b32_e32 v8, v15, v13, vcc
	v_cndmask_b32_e32 v12, v14, v12, vcc
	v_lshlrev_b32_e32 v13, 24, v6
	v_lshlrev_b32_e32 v12, 20, v12
	v_and_b32_e32 v13, 0x80000000, v13
	v_lshl_add_u32 v8, v8, 23, v10
	v_or3_b32 v12, v13, v8, v12
.LBB466_848:                            ;   in Loop: Header=BB466_796 Depth=1
	s_or_b64 exec, exec, s[20:21]
.LBB466_849:                            ;   in Loop: Header=BB466_796 Depth=1
	s_or_b64 exec, exec, s[18:19]
.LBB466_850:                            ;   in Loop: Header=BB466_796 Depth=1
	s_or_b64 exec, exec, s[16:17]
	v_lshrrev_b16_e32 v8, 8, v6
	v_cmp_ne_u16_e32 vcc, 0, v8
	v_mov_b32_e32 v14, 0
	v_mov_b32_e32 v15, 0
	s_and_saveexec_b64 s[16:17], vcc
	s_cbranch_execz .LBB466_856
; %bb.851:                              ;   in Loop: Header=BB466_796 Depth=1
	v_cmp_ne_u16_e32 vcc, s5, v8
	v_bfrev_b32_e32 v15, 1
	s_and_saveexec_b64 s[18:19], vcc
	s_cbranch_execz .LBB466_855
; %bb.852:                              ;   in Loop: Header=BB466_796 Depth=1
	v_and_b32_e32 v13, 0x7f, v8
	v_cmp_ne_u32_e32 vcc, s22, v13
	v_mov_b32_e32 v15, 0x7f800001
	s_and_saveexec_b64 s[20:21], vcc
	s_cbranch_execz .LBB466_854
; %bb.853:                              ;   in Loop: Header=BB466_796 Depth=1
	v_and_b32_e32 v15, 7, v8
	v_ffbh_u32_e32 v16, v15
	v_min_u32_e32 v19, 32, v16
	v_subrev_u32_e32 v16, 28, v19
	v_lshlrev_b64 v[16:17], v16, v[8:9]
	v_lshrrev_b32_e32 v18, 3, v13
	v_sub_u32_e32 v8, 29, v19
	v_and_b32_e32 v16, 7, v16
	v_cmp_gt_u32_e32 vcc, 8, v13
	v_cndmask_b32_e32 v8, v18, v8, vcc
	v_cndmask_b32_e32 v13, v15, v16, vcc
	v_lshlrev_b32_e32 v15, 16, v6
	v_lshlrev_b32_e32 v13, 20, v13
	v_and_b32_e32 v15, 0x80000000, v15
	v_lshl_add_u32 v8, v8, 23, v10
	v_or3_b32 v15, v15, v8, v13
.LBB466_854:                            ;   in Loop: Header=BB466_796 Depth=1
	s_or_b64 exec, exec, s[20:21]
.LBB466_855:                            ;   in Loop: Header=BB466_796 Depth=1
	s_or_b64 exec, exec, s[18:19]
.LBB466_856:                            ;   in Loop: Header=BB466_796 Depth=1
	s_or_b64 exec, exec, s[16:17]
	v_lshrrev_b32_e32 v8, 16, v6
	v_cmp_ne_u16_sdwa s[18:19], v8, v9 src0_sel:BYTE_0 src1_sel:DWORD
	s_and_saveexec_b64 s[16:17], s[18:19]
	s_cbranch_execz .LBB466_862
; %bb.857:                              ;   in Loop: Header=BB466_796 Depth=1
	v_cmp_ne_u16_sdwa s[20:21], v8, s5 src0_sel:BYTE_0 src1_sel:DWORD
	v_bfrev_b32_e32 v14, 1
	s_and_saveexec_b64 s[18:19], s[20:21]
	s_cbranch_execz .LBB466_861
; %bb.858:                              ;   in Loop: Header=BB466_796 Depth=1
	v_bfe_u32 v13, v6, 16, 7
	v_cmp_ne_u32_e32 vcc, s22, v13
	v_mov_b32_e32 v14, 0x7f800001
	s_and_saveexec_b64 s[20:21], vcc
	s_cbranch_execz .LBB466_860
; %bb.859:                              ;   in Loop: Header=BB466_796 Depth=1
	v_and_b32_e32 v14, 7, v8
	v_ffbh_u32_e32 v16, v14
	v_min_u32_e32 v19, 32, v16
	v_subrev_u32_e32 v16, 28, v19
	v_lshlrev_b64 v[16:17], v16, v[8:9]
	v_lshrrev_b32_e32 v18, 3, v13
	v_sub_u32_e32 v17, 29, v19
	v_and_b32_e32 v16, 7, v16
	v_cmp_gt_u32_e32 vcc, 8, v13
	v_cndmask_b32_e32 v13, v18, v17, vcc
	v_cndmask_b32_e32 v14, v14, v16, vcc
	v_lshlrev_b32_e32 v8, 24, v8
	v_lshlrev_b32_e32 v14, 20, v14
	v_and_b32_e32 v8, 0x80000000, v8
	v_lshl_add_u32 v13, v13, 23, v10
	v_or3_b32 v14, v8, v13, v14
.LBB466_860:                            ;   in Loop: Header=BB466_796 Depth=1
	s_or_b64 exec, exec, s[20:21]
.LBB466_861:                            ;   in Loop: Header=BB466_796 Depth=1
	s_or_b64 exec, exec, s[18:19]
.LBB466_862:                            ;   in Loop: Header=BB466_796 Depth=1
	s_or_b64 exec, exec, s[16:17]
	v_cmp_lt_u32_e32 vcc, s23, v6
	v_mov_b32_e32 v16, 0
	v_mov_b32_e32 v17, 0
	s_and_saveexec_b64 s[16:17], vcc
	s_cbranch_execz .LBB466_868
; %bb.863:                              ;   in Loop: Header=BB466_796 Depth=1
	v_lshrrev_b32_e32 v8, 24, v6
	v_cmp_ne_u32_e32 vcc, s5, v8
	v_bfrev_b32_e32 v17, 1
	s_and_saveexec_b64 s[18:19], vcc
	s_cbranch_execz .LBB466_867
; %bb.864:                              ;   in Loop: Header=BB466_796 Depth=1
	v_bfe_u32 v6, v6, 24, 7
	v_cmp_ne_u32_e32 vcc, s22, v6
	v_mov_b32_e32 v17, 0x7f800001
	s_and_saveexec_b64 s[20:21], vcc
	s_cbranch_execz .LBB466_866
; %bb.865:                              ;   in Loop: Header=BB466_796 Depth=1
	v_and_b32_e32 v13, 7, v8
	v_ffbh_u32_e32 v18, v13
	v_min_u32_e32 v20, 32, v18
	v_subrev_u32_e32 v18, 28, v20
	v_lshlrev_b64 v[18:19], v18, v[8:9]
	v_lshrrev_b32_e32 v17, 3, v6
	v_sub_u32_e32 v19, 29, v20
	v_and_b32_e32 v18, 7, v18
	v_cmp_gt_u32_e32 vcc, 8, v6
	v_cndmask_b32_e32 v6, v17, v19, vcc
	v_cndmask_b32_e32 v13, v13, v18, vcc
	v_lshlrev_b32_e32 v8, 24, v8
	v_lshlrev_b32_e32 v13, 20, v13
	v_and_b32_e32 v8, 0x80000000, v8
	v_lshl_add_u32 v6, v6, 23, v10
	v_or3_b32 v17, v8, v6, v13
.LBB466_866:                            ;   in Loop: Header=BB466_796 Depth=1
	s_or_b64 exec, exec, s[20:21]
.LBB466_867:                            ;   in Loop: Header=BB466_796 Depth=1
	s_or_b64 exec, exec, s[18:19]
.LBB466_868:                            ;   in Loop: Header=BB466_796 Depth=1
	s_or_b64 exec, exec, s[16:17]
	s_waitcnt vmcnt(0)
	v_cmp_ne_u16_sdwa s[18:19], v4, v9 src0_sel:BYTE_0 src1_sel:DWORD
	s_and_saveexec_b64 s[16:17], s[18:19]
	s_cbranch_execz .LBB466_874
; %bb.869:                              ;   in Loop: Header=BB466_796 Depth=1
	v_cmp_ne_u16_sdwa s[20:21], v4, s5 src0_sel:BYTE_0 src1_sel:DWORD
	v_bfrev_b32_e32 v16, 1
	s_and_saveexec_b64 s[18:19], s[20:21]
	s_cbranch_execz .LBB466_873
; %bb.870:                              ;   in Loop: Header=BB466_796 Depth=1
	v_and_b32_e32 v6, 0x7f, v4
	v_cmp_ne_u32_e32 vcc, s22, v6
	v_mov_b32_e32 v16, 0x7f800001
	s_and_saveexec_b64 s[20:21], vcc
	s_cbranch_execz .LBB466_872
; %bb.871:                              ;   in Loop: Header=BB466_796 Depth=1
	v_and_b32_e32 v8, 7, v4
	v_ffbh_u32_e32 v16, v8
	v_min_u32_e32 v16, 32, v16
	v_subrev_u32_e32 v18, 28, v16
	v_lshlrev_b64 v[18:19], v18, v[4:5]
	v_lshrrev_b32_e32 v13, 3, v6
	v_sub_u32_e32 v16, 29, v16
	v_and_b32_e32 v18, 7, v18
	v_cmp_gt_u32_e32 vcc, 8, v6
	v_cndmask_b32_e32 v6, v13, v16, vcc
	v_cndmask_b32_e32 v8, v8, v18, vcc
	v_lshlrev_b32_e32 v13, 24, v4
	v_lshlrev_b32_e32 v8, 20, v8
	v_and_b32_e32 v13, 0x80000000, v13
	v_lshl_add_u32 v6, v6, 23, v10
	v_or3_b32 v16, v13, v6, v8
.LBB466_872:                            ;   in Loop: Header=BB466_796 Depth=1
	s_or_b64 exec, exec, s[20:21]
.LBB466_873:                            ;   in Loop: Header=BB466_796 Depth=1
	s_or_b64 exec, exec, s[18:19]
.LBB466_874:                            ;   in Loop: Header=BB466_796 Depth=1
	s_or_b64 exec, exec, s[16:17]
	v_lshrrev_b16_e32 v6, 8, v4
	v_cmp_ne_u16_e32 vcc, 0, v6
	v_mov_b32_e32 v8, 0
	v_mov_b32_e32 v18, 0
	s_and_saveexec_b64 s[16:17], vcc
	s_cbranch_execz .LBB466_880
; %bb.875:                              ;   in Loop: Header=BB466_796 Depth=1
	v_cmp_ne_u16_e32 vcc, s5, v6
	v_bfrev_b32_e32 v18, 1
	s_and_saveexec_b64 s[18:19], vcc
	s_cbranch_execz .LBB466_879
; %bb.876:                              ;   in Loop: Header=BB466_796 Depth=1
	v_and_b32_e32 v13, 0x7f, v6
	v_cmp_ne_u32_e32 vcc, s22, v13
	v_mov_b32_e32 v18, 0x7f800001
	s_and_saveexec_b64 s[20:21], vcc
	s_cbranch_execz .LBB466_878
; %bb.877:                              ;   in Loop: Header=BB466_796 Depth=1
	v_and_b32_e32 v20, 7, v6
	v_ffbh_u32_e32 v18, v20
	v_min_u32_e32 v22, 32, v18
	v_subrev_u32_e32 v18, 28, v22
	v_lshlrev_b64 v[18:19], v18, v[6:7]
	v_lshrrev_b32_e32 v21, 3, v13
	v_sub_u32_e32 v6, 29, v22
	v_and_b32_e32 v18, 7, v18
	v_cmp_gt_u32_e32 vcc, 8, v13
	v_cndmask_b32_e32 v6, v21, v6, vcc
	v_cndmask_b32_e32 v13, v20, v18, vcc
	v_lshlrev_b32_e32 v18, 16, v4
	v_lshlrev_b32_e32 v13, 20, v13
	v_and_b32_e32 v18, 0x80000000, v18
	v_lshl_add_u32 v6, v6, 23, v10
	v_or3_b32 v18, v18, v6, v13
.LBB466_878:                            ;   in Loop: Header=BB466_796 Depth=1
	s_or_b64 exec, exec, s[20:21]
.LBB466_879:                            ;   in Loop: Header=BB466_796 Depth=1
	s_or_b64 exec, exec, s[18:19]
.LBB466_880:                            ;   in Loop: Header=BB466_796 Depth=1
	s_or_b64 exec, exec, s[16:17]
	v_lshrrev_b32_e32 v6, 16, v4
	v_cmp_ne_u16_sdwa s[18:19], v6, v9 src0_sel:BYTE_0 src1_sel:DWORD
	s_and_saveexec_b64 s[16:17], s[18:19]
	s_cbranch_execz .LBB466_886
; %bb.881:                              ;   in Loop: Header=BB466_796 Depth=1
	v_cmp_ne_u16_sdwa s[20:21], v6, s5 src0_sel:BYTE_0 src1_sel:DWORD
	v_bfrev_b32_e32 v8, 1
	s_and_saveexec_b64 s[18:19], s[20:21]
	s_cbranch_execz .LBB466_885
; %bb.882:                              ;   in Loop: Header=BB466_796 Depth=1
	v_bfe_u32 v13, v4, 16, 7
	v_cmp_ne_u32_e32 vcc, s22, v13
	v_mov_b32_e32 v8, 0x7f800001
	s_and_saveexec_b64 s[20:21], vcc
	s_cbranch_execz .LBB466_884
; %bb.883:                              ;   in Loop: Header=BB466_796 Depth=1
	v_and_b32_e32 v8, 7, v6
	v_ffbh_u32_e32 v20, v8
	v_min_u32_e32 v22, 32, v20
	v_subrev_u32_e32 v20, 28, v22
	v_lshlrev_b64 v[20:21], v20, v[6:7]
	v_lshrrev_b32_e32 v19, 3, v13
	v_sub_u32_e32 v21, 29, v22
	v_and_b32_e32 v20, 7, v20
	v_cmp_gt_u32_e32 vcc, 8, v13
	v_cndmask_b32_e32 v13, v19, v21, vcc
	v_cndmask_b32_e32 v8, v8, v20, vcc
	v_lshlrev_b32_e32 v6, 24, v6
	v_lshlrev_b32_e32 v8, 20, v8
	v_and_b32_e32 v6, 0x80000000, v6
	v_lshl_add_u32 v13, v13, 23, v10
	v_or3_b32 v8, v6, v13, v8
.LBB466_884:                            ;   in Loop: Header=BB466_796 Depth=1
	s_or_b64 exec, exec, s[20:21]
.LBB466_885:                            ;   in Loop: Header=BB466_796 Depth=1
	s_or_b64 exec, exec, s[18:19]
.LBB466_886:                            ;   in Loop: Header=BB466_796 Depth=1
	s_or_b64 exec, exec, s[16:17]
	v_cmp_lt_u32_e32 vcc, s23, v4
	v_mov_b32_e32 v13, 0
	v_mov_b32_e32 v19, 0
	s_and_saveexec_b64 s[16:17], vcc
	s_cbranch_execz .LBB466_892
; %bb.887:                              ;   in Loop: Header=BB466_796 Depth=1
	v_lshrrev_b32_e32 v6, 24, v4
	v_cmp_ne_u32_e32 vcc, s5, v6
	v_bfrev_b32_e32 v19, 1
	s_and_saveexec_b64 s[18:19], vcc
	s_cbranch_execz .LBB466_891
; %bb.888:                              ;   in Loop: Header=BB466_796 Depth=1
	v_bfe_u32 v4, v4, 24, 7
	v_cmp_ne_u32_e32 vcc, s22, v4
	v_mov_b32_e32 v19, 0x7f800001
	s_and_saveexec_b64 s[20:21], vcc
	s_cbranch_execz .LBB466_890
; %bb.889:                              ;   in Loop: Header=BB466_796 Depth=1
	v_and_b32_e32 v19, 7, v6
	v_ffbh_u32_e32 v20, v19
	v_min_u32_e32 v23, 32, v20
	v_subrev_u32_e32 v20, 28, v23
	v_lshlrev_b64 v[20:21], v20, v[6:7]
	v_lshrrev_b32_e32 v22, 3, v4
	v_sub_u32_e32 v21, 29, v23
	v_and_b32_e32 v20, 7, v20
	v_cmp_gt_u32_e32 vcc, 8, v4
	v_cndmask_b32_e32 v4, v22, v21, vcc
	v_cndmask_b32_e32 v19, v19, v20, vcc
	v_lshlrev_b32_e32 v6, 24, v6
	v_lshlrev_b32_e32 v19, 20, v19
	v_and_b32_e32 v6, 0x80000000, v6
	v_lshl_add_u32 v4, v4, 23, v10
	v_or3_b32 v19, v6, v4, v19
.LBB466_890:                            ;   in Loop: Header=BB466_796 Depth=1
	s_or_b64 exec, exec, s[20:21]
.LBB466_891:                            ;   in Loop: Header=BB466_796 Depth=1
	s_or_b64 exec, exec, s[18:19]
.LBB466_892:                            ;   in Loop: Header=BB466_796 Depth=1
	s_or_b64 exec, exec, s[16:17]
	buffer_load_dword v6, v11, s[0:3], 0 offen offset:16
	buffer_load_dword v4, v11, s[0:3], 0 offen offset:20
	v_cvt_pkrtz_f16_f32 v20, v12, v15
	v_cvt_pkrtz_f16_f32 v21, v14, v17
	;; [unrolled: 1-line block ×4, first 2 shown]
	v_mfma_f32_4x4x4f16 a[0:3], v[2:3], v[20:21], a[0:3] cbsz:4 abid:2
	s_waitcnt vmcnt(1)
	v_cmp_ne_u16_sdwa s[18:19], v6, v9 src0_sel:BYTE_0 src1_sel:DWORD
	v_mfma_f32_4x4x4f16 a[0:3], v[2:3], v[14:15], a[0:3] cbsz:4 abid:3
	s_and_saveexec_b64 s[16:17], s[18:19]
	s_cbranch_execz .LBB466_898
; %bb.893:                              ;   in Loop: Header=BB466_796 Depth=1
	v_cmp_ne_u16_sdwa s[20:21], v6, s5 src0_sel:BYTE_0 src1_sel:DWORD
	v_bfrev_b32_e32 v13, 1
	s_and_saveexec_b64 s[18:19], s[20:21]
	s_cbranch_execz .LBB466_897
; %bb.894:                              ;   in Loop: Header=BB466_796 Depth=1
	v_and_b32_e32 v8, 0x7f, v6
	v_cmp_ne_u32_e32 vcc, s22, v8
	v_mov_b32_e32 v13, 0x7f800001
	s_and_saveexec_b64 s[20:21], vcc
	s_cbranch_execz .LBB466_896
; %bb.895:                              ;   in Loop: Header=BB466_796 Depth=1
	v_and_b32_e32 v14, 7, v6
	v_ffbh_u32_e32 v12, v14
	v_min_u32_e32 v16, 32, v12
	v_subrev_u32_e32 v12, 28, v16
	v_lshlrev_b64 v[12:13], v12, v[6:7]
	v_lshrrev_b32_e32 v15, 3, v8
	v_sub_u32_e32 v13, 29, v16
	v_and_b32_e32 v12, 7, v12
	v_cmp_gt_u32_e32 vcc, 8, v8
	v_cndmask_b32_e32 v8, v15, v13, vcc
	v_cndmask_b32_e32 v12, v14, v12, vcc
	v_lshlrev_b32_e32 v13, 24, v6
	v_lshlrev_b32_e32 v12, 20, v12
	v_and_b32_e32 v13, 0x80000000, v13
	v_lshl_add_u32 v8, v8, 23, v10
	v_or3_b32 v13, v13, v8, v12
.LBB466_896:                            ;   in Loop: Header=BB466_796 Depth=1
	s_or_b64 exec, exec, s[20:21]
.LBB466_897:                            ;   in Loop: Header=BB466_796 Depth=1
	s_or_b64 exec, exec, s[18:19]
.LBB466_898:                            ;   in Loop: Header=BB466_796 Depth=1
	s_or_b64 exec, exec, s[16:17]
	v_lshrrev_b16_e32 v8, 8, v6
	v_cmp_ne_u16_e32 vcc, 0, v8
	v_mov_b32_e32 v14, 0
	v_mov_b32_e32 v15, 0
	s_and_saveexec_b64 s[16:17], vcc
	s_cbranch_execz .LBB466_904
; %bb.899:                              ;   in Loop: Header=BB466_796 Depth=1
	v_cmp_ne_u16_e32 vcc, s5, v8
	v_bfrev_b32_e32 v15, 1
	s_and_saveexec_b64 s[18:19], vcc
	s_cbranch_execz .LBB466_903
; %bb.900:                              ;   in Loop: Header=BB466_796 Depth=1
	v_and_b32_e32 v12, 0x7f, v8
	v_cmp_ne_u32_e32 vcc, s22, v12
	v_mov_b32_e32 v15, 0x7f800001
	s_and_saveexec_b64 s[20:21], vcc
	s_cbranch_execz .LBB466_902
; %bb.901:                              ;   in Loop: Header=BB466_796 Depth=1
	v_and_b32_e32 v15, 7, v8
	v_ffbh_u32_e32 v16, v15
	v_min_u32_e32 v19, 32, v16
	v_subrev_u32_e32 v16, 28, v19
	v_lshlrev_b64 v[16:17], v16, v[8:9]
	v_lshrrev_b32_e32 v18, 3, v12
	v_sub_u32_e32 v8, 29, v19
	v_and_b32_e32 v16, 7, v16
	v_cmp_gt_u32_e32 vcc, 8, v12
	v_cndmask_b32_e32 v8, v18, v8, vcc
	v_cndmask_b32_e32 v12, v15, v16, vcc
	v_lshlrev_b32_e32 v15, 16, v6
	v_lshlrev_b32_e32 v12, 20, v12
	v_and_b32_e32 v15, 0x80000000, v15
	v_lshl_add_u32 v8, v8, 23, v10
	v_or3_b32 v15, v15, v8, v12
.LBB466_902:                            ;   in Loop: Header=BB466_796 Depth=1
	s_or_b64 exec, exec, s[20:21]
.LBB466_903:                            ;   in Loop: Header=BB466_796 Depth=1
	s_or_b64 exec, exec, s[18:19]
.LBB466_904:                            ;   in Loop: Header=BB466_796 Depth=1
	s_or_b64 exec, exec, s[16:17]
	v_lshrrev_b32_e32 v8, 16, v6
	v_cmp_ne_u16_sdwa s[18:19], v8, v9 src0_sel:BYTE_0 src1_sel:DWORD
	s_and_saveexec_b64 s[16:17], s[18:19]
	s_cbranch_execz .LBB466_910
; %bb.905:                              ;   in Loop: Header=BB466_796 Depth=1
	v_cmp_ne_u16_sdwa s[20:21], v8, s5 src0_sel:BYTE_0 src1_sel:DWORD
	v_bfrev_b32_e32 v14, 1
	s_and_saveexec_b64 s[18:19], s[20:21]
	s_cbranch_execz .LBB466_909
; %bb.906:                              ;   in Loop: Header=BB466_796 Depth=1
	v_bfe_u32 v12, v6, 16, 7
	v_cmp_ne_u32_e32 vcc, s22, v12
	v_mov_b32_e32 v14, 0x7f800001
	s_and_saveexec_b64 s[20:21], vcc
	s_cbranch_execz .LBB466_908
; %bb.907:                              ;   in Loop: Header=BB466_796 Depth=1
	v_and_b32_e32 v14, 7, v8
	v_ffbh_u32_e32 v16, v14
	v_min_u32_e32 v19, 32, v16
	v_subrev_u32_e32 v16, 28, v19
	v_lshlrev_b64 v[16:17], v16, v[8:9]
	v_lshrrev_b32_e32 v18, 3, v12
	v_sub_u32_e32 v17, 29, v19
	v_and_b32_e32 v16, 7, v16
	v_cmp_gt_u32_e32 vcc, 8, v12
	v_cndmask_b32_e32 v12, v18, v17, vcc
	v_cndmask_b32_e32 v14, v14, v16, vcc
	v_lshlrev_b32_e32 v8, 24, v8
	v_lshlrev_b32_e32 v14, 20, v14
	v_and_b32_e32 v8, 0x80000000, v8
	v_lshl_add_u32 v12, v12, 23, v10
	v_or3_b32 v14, v8, v12, v14
.LBB466_908:                            ;   in Loop: Header=BB466_796 Depth=1
	s_or_b64 exec, exec, s[20:21]
.LBB466_909:                            ;   in Loop: Header=BB466_796 Depth=1
	s_or_b64 exec, exec, s[18:19]
.LBB466_910:                            ;   in Loop: Header=BB466_796 Depth=1
	s_or_b64 exec, exec, s[16:17]
	v_cmp_lt_u32_e32 vcc, s23, v6
	v_mov_b32_e32 v16, 0
	v_mov_b32_e32 v17, 0
	s_and_saveexec_b64 s[16:17], vcc
	s_cbranch_execz .LBB466_916
; %bb.911:                              ;   in Loop: Header=BB466_796 Depth=1
	v_lshrrev_b32_e32 v8, 24, v6
	v_cmp_ne_u32_e32 vcc, s5, v8
	v_bfrev_b32_e32 v17, 1
	s_and_saveexec_b64 s[18:19], vcc
	s_cbranch_execz .LBB466_915
; %bb.912:                              ;   in Loop: Header=BB466_796 Depth=1
	v_bfe_u32 v6, v6, 24, 7
	v_cmp_ne_u32_e32 vcc, s22, v6
	v_mov_b32_e32 v17, 0x7f800001
	s_and_saveexec_b64 s[20:21], vcc
	s_cbranch_execz .LBB466_914
; %bb.913:                              ;   in Loop: Header=BB466_796 Depth=1
	v_and_b32_e32 v12, 7, v8
	v_ffbh_u32_e32 v18, v12
	v_min_u32_e32 v20, 32, v18
	v_subrev_u32_e32 v18, 28, v20
	v_lshlrev_b64 v[18:19], v18, v[8:9]
	v_lshrrev_b32_e32 v17, 3, v6
	v_sub_u32_e32 v19, 29, v20
	v_and_b32_e32 v18, 7, v18
	v_cmp_gt_u32_e32 vcc, 8, v6
	v_cndmask_b32_e32 v6, v17, v19, vcc
	v_cndmask_b32_e32 v12, v12, v18, vcc
	v_lshlrev_b32_e32 v8, 24, v8
	v_lshlrev_b32_e32 v12, 20, v12
	v_and_b32_e32 v8, 0x80000000, v8
	v_lshl_add_u32 v6, v6, 23, v10
	v_or3_b32 v17, v8, v6, v12
.LBB466_914:                            ;   in Loop: Header=BB466_796 Depth=1
	s_or_b64 exec, exec, s[20:21]
.LBB466_915:                            ;   in Loop: Header=BB466_796 Depth=1
	s_or_b64 exec, exec, s[18:19]
.LBB466_916:                            ;   in Loop: Header=BB466_796 Depth=1
	s_or_b64 exec, exec, s[16:17]
	s_waitcnt vmcnt(0)
	v_cmp_ne_u16_sdwa s[18:19], v4, v9 src0_sel:BYTE_0 src1_sel:DWORD
	s_and_saveexec_b64 s[16:17], s[18:19]
	s_cbranch_execz .LBB466_922
; %bb.917:                              ;   in Loop: Header=BB466_796 Depth=1
	v_cmp_ne_u16_sdwa s[20:21], v4, s5 src0_sel:BYTE_0 src1_sel:DWORD
	v_bfrev_b32_e32 v16, 1
	s_and_saveexec_b64 s[18:19], s[20:21]
	s_cbranch_execz .LBB466_921
; %bb.918:                              ;   in Loop: Header=BB466_796 Depth=1
	v_and_b32_e32 v6, 0x7f, v4
	v_cmp_ne_u32_e32 vcc, s22, v6
	v_mov_b32_e32 v16, 0x7f800001
	s_and_saveexec_b64 s[20:21], vcc
	s_cbranch_execz .LBB466_920
; %bb.919:                              ;   in Loop: Header=BB466_796 Depth=1
	v_and_b32_e32 v8, 7, v4
	v_ffbh_u32_e32 v16, v8
	v_min_u32_e32 v16, 32, v16
	v_subrev_u32_e32 v18, 28, v16
	v_lshlrev_b64 v[18:19], v18, v[4:5]
	v_lshrrev_b32_e32 v12, 3, v6
	v_sub_u32_e32 v16, 29, v16
	v_and_b32_e32 v18, 7, v18
	v_cmp_gt_u32_e32 vcc, 8, v6
	v_cndmask_b32_e32 v6, v12, v16, vcc
	v_cndmask_b32_e32 v8, v8, v18, vcc
	v_lshlrev_b32_e32 v12, 24, v4
	v_lshlrev_b32_e32 v8, 20, v8
	v_and_b32_e32 v12, 0x80000000, v12
	v_lshl_add_u32 v6, v6, 23, v10
	v_or3_b32 v16, v12, v6, v8
.LBB466_920:                            ;   in Loop: Header=BB466_796 Depth=1
	s_or_b64 exec, exec, s[20:21]
.LBB466_921:                            ;   in Loop: Header=BB466_796 Depth=1
	s_or_b64 exec, exec, s[18:19]
.LBB466_922:                            ;   in Loop: Header=BB466_796 Depth=1
	s_or_b64 exec, exec, s[16:17]
	v_lshrrev_b16_e32 v6, 8, v4
	v_cmp_ne_u16_e32 vcc, 0, v6
	v_mov_b32_e32 v8, 0
	v_mov_b32_e32 v18, 0
	s_and_saveexec_b64 s[16:17], vcc
	s_cbranch_execz .LBB466_928
; %bb.923:                              ;   in Loop: Header=BB466_796 Depth=1
	v_cmp_ne_u16_e32 vcc, s5, v6
	v_bfrev_b32_e32 v18, 1
	s_and_saveexec_b64 s[18:19], vcc
	s_cbranch_execz .LBB466_927
; %bb.924:                              ;   in Loop: Header=BB466_796 Depth=1
	v_and_b32_e32 v12, 0x7f, v6
	v_cmp_ne_u32_e32 vcc, s22, v12
	v_mov_b32_e32 v18, 0x7f800001
	s_and_saveexec_b64 s[20:21], vcc
	s_cbranch_execz .LBB466_926
; %bb.925:                              ;   in Loop: Header=BB466_796 Depth=1
	v_and_b32_e32 v20, 7, v6
	v_ffbh_u32_e32 v18, v20
	v_min_u32_e32 v22, 32, v18
	v_subrev_u32_e32 v18, 28, v22
	v_lshlrev_b64 v[18:19], v18, v[6:7]
	v_lshrrev_b32_e32 v21, 3, v12
	v_sub_u32_e32 v6, 29, v22
	v_and_b32_e32 v18, 7, v18
	v_cmp_gt_u32_e32 vcc, 8, v12
	v_cndmask_b32_e32 v6, v21, v6, vcc
	v_cndmask_b32_e32 v12, v20, v18, vcc
	v_lshlrev_b32_e32 v18, 16, v4
	v_lshlrev_b32_e32 v12, 20, v12
	v_and_b32_e32 v18, 0x80000000, v18
	v_lshl_add_u32 v6, v6, 23, v10
	v_or3_b32 v18, v18, v6, v12
.LBB466_926:                            ;   in Loop: Header=BB466_796 Depth=1
	s_or_b64 exec, exec, s[20:21]
.LBB466_927:                            ;   in Loop: Header=BB466_796 Depth=1
	s_or_b64 exec, exec, s[18:19]
.LBB466_928:                            ;   in Loop: Header=BB466_796 Depth=1
	s_or_b64 exec, exec, s[16:17]
	v_lshrrev_b32_e32 v6, 16, v4
	v_cmp_ne_u16_sdwa s[18:19], v6, v9 src0_sel:BYTE_0 src1_sel:DWORD
	s_and_saveexec_b64 s[16:17], s[18:19]
	s_cbranch_execz .LBB466_934
; %bb.929:                              ;   in Loop: Header=BB466_796 Depth=1
	v_cmp_ne_u16_sdwa s[20:21], v6, s5 src0_sel:BYTE_0 src1_sel:DWORD
	v_bfrev_b32_e32 v8, 1
	s_and_saveexec_b64 s[18:19], s[20:21]
	s_cbranch_execz .LBB466_933
; %bb.930:                              ;   in Loop: Header=BB466_796 Depth=1
	v_bfe_u32 v12, v4, 16, 7
	v_cmp_ne_u32_e32 vcc, s22, v12
	v_mov_b32_e32 v8, 0x7f800001
	s_and_saveexec_b64 s[20:21], vcc
	s_cbranch_execz .LBB466_932
; %bb.931:                              ;   in Loop: Header=BB466_796 Depth=1
	v_and_b32_e32 v8, 7, v6
	v_ffbh_u32_e32 v20, v8
	v_min_u32_e32 v22, 32, v20
	v_subrev_u32_e32 v20, 28, v22
	v_lshlrev_b64 v[20:21], v20, v[6:7]
	v_lshrrev_b32_e32 v19, 3, v12
	v_sub_u32_e32 v21, 29, v22
	v_and_b32_e32 v20, 7, v20
	v_cmp_gt_u32_e32 vcc, 8, v12
	v_cndmask_b32_e32 v12, v19, v21, vcc
	v_cndmask_b32_e32 v8, v8, v20, vcc
	v_lshlrev_b32_e32 v6, 24, v6
	v_lshlrev_b32_e32 v8, 20, v8
	v_and_b32_e32 v6, 0x80000000, v6
	v_lshl_add_u32 v12, v12, 23, v10
	v_or3_b32 v8, v6, v12, v8
.LBB466_932:                            ;   in Loop: Header=BB466_796 Depth=1
	s_or_b64 exec, exec, s[20:21]
.LBB466_933:                            ;   in Loop: Header=BB466_796 Depth=1
	s_or_b64 exec, exec, s[18:19]
.LBB466_934:                            ;   in Loop: Header=BB466_796 Depth=1
	s_or_b64 exec, exec, s[16:17]
	v_cmp_lt_u32_e32 vcc, s23, v4
	v_mov_b32_e32 v12, 0
	v_mov_b32_e32 v19, 0
	s_and_saveexec_b64 s[16:17], vcc
	s_cbranch_execz .LBB466_940
; %bb.935:                              ;   in Loop: Header=BB466_796 Depth=1
	v_lshrrev_b32_e32 v6, 24, v4
	v_cmp_ne_u32_e32 vcc, s5, v6
	v_bfrev_b32_e32 v19, 1
	s_and_saveexec_b64 s[18:19], vcc
	s_cbranch_execz .LBB466_939
; %bb.936:                              ;   in Loop: Header=BB466_796 Depth=1
	v_bfe_u32 v4, v4, 24, 7
	v_cmp_ne_u32_e32 vcc, s22, v4
	v_mov_b32_e32 v19, 0x7f800001
	s_and_saveexec_b64 s[20:21], vcc
	s_cbranch_execz .LBB466_938
; %bb.937:                              ;   in Loop: Header=BB466_796 Depth=1
	v_and_b32_e32 v19, 7, v6
	v_ffbh_u32_e32 v20, v19
	v_min_u32_e32 v23, 32, v20
	v_subrev_u32_e32 v20, 28, v23
	v_lshlrev_b64 v[20:21], v20, v[6:7]
	v_lshrrev_b32_e32 v22, 3, v4
	v_sub_u32_e32 v21, 29, v23
	v_and_b32_e32 v20, 7, v20
	v_cmp_gt_u32_e32 vcc, 8, v4
	v_cndmask_b32_e32 v4, v22, v21, vcc
	v_cndmask_b32_e32 v19, v19, v20, vcc
	v_lshlrev_b32_e32 v6, 24, v6
	v_lshlrev_b32_e32 v19, 20, v19
	v_and_b32_e32 v6, 0x80000000, v6
	v_lshl_add_u32 v4, v4, 23, v10
	v_or3_b32 v19, v6, v4, v19
.LBB466_938:                            ;   in Loop: Header=BB466_796 Depth=1
	s_or_b64 exec, exec, s[20:21]
.LBB466_939:                            ;   in Loop: Header=BB466_796 Depth=1
	s_or_b64 exec, exec, s[18:19]
.LBB466_940:                            ;   in Loop: Header=BB466_796 Depth=1
	s_or_b64 exec, exec, s[16:17]
	buffer_load_dword v6, v11, s[0:3], 0 offen offset:24
	buffer_load_dword v4, v11, s[0:3], 0 offen offset:28
	v_cvt_pkrtz_f16_f32 v20, v13, v15
	v_cvt_pkrtz_f16_f32 v21, v14, v17
	;; [unrolled: 1-line block ×4, first 2 shown]
	v_mfma_f32_4x4x4f16 a[0:3], v[2:3], v[20:21], a[0:3] cbsz:4 abid:4
	s_waitcnt vmcnt(1)
	v_cmp_ne_u16_sdwa s[18:19], v6, v9 src0_sel:BYTE_0 src1_sel:DWORD
	v_mfma_f32_4x4x4f16 a[0:3], v[2:3], v[14:15], a[0:3] cbsz:4 abid:5
	s_and_saveexec_b64 s[16:17], s[18:19]
	s_cbranch_execz .LBB466_946
; %bb.941:                              ;   in Loop: Header=BB466_796 Depth=1
	v_cmp_ne_u16_sdwa s[20:21], v6, s5 src0_sel:BYTE_0 src1_sel:DWORD
	v_bfrev_b32_e32 v12, 1
	s_and_saveexec_b64 s[18:19], s[20:21]
	s_cbranch_execz .LBB466_945
; %bb.942:                              ;   in Loop: Header=BB466_796 Depth=1
	v_and_b32_e32 v8, 0x7f, v6
	v_cmp_ne_u32_e32 vcc, s22, v8
	v_mov_b32_e32 v12, 0x7f800001
	s_and_saveexec_b64 s[20:21], vcc
	s_cbranch_execz .LBB466_944
; %bb.943:                              ;   in Loop: Header=BB466_796 Depth=1
	v_and_b32_e32 v14, 7, v6
	v_ffbh_u32_e32 v12, v14
	v_min_u32_e32 v16, 32, v12
	v_subrev_u32_e32 v12, 28, v16
	v_lshlrev_b64 v[12:13], v12, v[6:7]
	v_lshrrev_b32_e32 v15, 3, v8
	v_sub_u32_e32 v13, 29, v16
	v_and_b32_e32 v12, 7, v12
	v_cmp_gt_u32_e32 vcc, 8, v8
	v_cndmask_b32_e32 v8, v15, v13, vcc
	v_cndmask_b32_e32 v12, v14, v12, vcc
	v_lshlrev_b32_e32 v13, 24, v6
	v_lshlrev_b32_e32 v12, 20, v12
	v_and_b32_e32 v13, 0x80000000, v13
	v_lshl_add_u32 v8, v8, 23, v10
	v_or3_b32 v12, v13, v8, v12
.LBB466_944:                            ;   in Loop: Header=BB466_796 Depth=1
	s_or_b64 exec, exec, s[20:21]
.LBB466_945:                            ;   in Loop: Header=BB466_796 Depth=1
	s_or_b64 exec, exec, s[18:19]
.LBB466_946:                            ;   in Loop: Header=BB466_796 Depth=1
	s_or_b64 exec, exec, s[16:17]
	v_lshrrev_b16_e32 v8, 8, v6
	v_cmp_ne_u16_e32 vcc, 0, v8
	v_mov_b32_e32 v14, 0
	v_mov_b32_e32 v15, 0
	s_and_saveexec_b64 s[16:17], vcc
	s_cbranch_execz .LBB466_952
; %bb.947:                              ;   in Loop: Header=BB466_796 Depth=1
	v_cmp_ne_u16_e32 vcc, s5, v8
	v_bfrev_b32_e32 v15, 1
	s_and_saveexec_b64 s[18:19], vcc
	s_cbranch_execz .LBB466_951
; %bb.948:                              ;   in Loop: Header=BB466_796 Depth=1
	v_and_b32_e32 v13, 0x7f, v8
	v_cmp_ne_u32_e32 vcc, s22, v13
	v_mov_b32_e32 v15, 0x7f800001
	s_and_saveexec_b64 s[20:21], vcc
	s_cbranch_execz .LBB466_950
; %bb.949:                              ;   in Loop: Header=BB466_796 Depth=1
	v_and_b32_e32 v15, 7, v8
	v_ffbh_u32_e32 v16, v15
	v_min_u32_e32 v19, 32, v16
	v_subrev_u32_e32 v16, 28, v19
	v_lshlrev_b64 v[16:17], v16, v[8:9]
	v_lshrrev_b32_e32 v18, 3, v13
	v_sub_u32_e32 v8, 29, v19
	v_and_b32_e32 v16, 7, v16
	v_cmp_gt_u32_e32 vcc, 8, v13
	v_cndmask_b32_e32 v8, v18, v8, vcc
	v_cndmask_b32_e32 v13, v15, v16, vcc
	v_lshlrev_b32_e32 v15, 16, v6
	v_lshlrev_b32_e32 v13, 20, v13
	v_and_b32_e32 v15, 0x80000000, v15
	v_lshl_add_u32 v8, v8, 23, v10
	v_or3_b32 v15, v15, v8, v13
.LBB466_950:                            ;   in Loop: Header=BB466_796 Depth=1
	s_or_b64 exec, exec, s[20:21]
.LBB466_951:                            ;   in Loop: Header=BB466_796 Depth=1
	s_or_b64 exec, exec, s[18:19]
.LBB466_952:                            ;   in Loop: Header=BB466_796 Depth=1
	s_or_b64 exec, exec, s[16:17]
	v_lshrrev_b32_e32 v8, 16, v6
	v_cmp_ne_u16_sdwa s[18:19], v8, v9 src0_sel:BYTE_0 src1_sel:DWORD
	s_and_saveexec_b64 s[16:17], s[18:19]
	s_cbranch_execz .LBB466_958
; %bb.953:                              ;   in Loop: Header=BB466_796 Depth=1
	v_cmp_ne_u16_sdwa s[20:21], v8, s5 src0_sel:BYTE_0 src1_sel:DWORD
	v_bfrev_b32_e32 v14, 1
	s_and_saveexec_b64 s[18:19], s[20:21]
	s_cbranch_execz .LBB466_957
; %bb.954:                              ;   in Loop: Header=BB466_796 Depth=1
	v_bfe_u32 v13, v6, 16, 7
	v_cmp_ne_u32_e32 vcc, s22, v13
	v_mov_b32_e32 v14, 0x7f800001
	s_and_saveexec_b64 s[20:21], vcc
	s_cbranch_execz .LBB466_956
; %bb.955:                              ;   in Loop: Header=BB466_796 Depth=1
	v_and_b32_e32 v14, 7, v8
	v_ffbh_u32_e32 v16, v14
	v_min_u32_e32 v19, 32, v16
	v_subrev_u32_e32 v16, 28, v19
	v_lshlrev_b64 v[16:17], v16, v[8:9]
	v_lshrrev_b32_e32 v18, 3, v13
	v_sub_u32_e32 v17, 29, v19
	v_and_b32_e32 v16, 7, v16
	v_cmp_gt_u32_e32 vcc, 8, v13
	v_cndmask_b32_e32 v13, v18, v17, vcc
	v_cndmask_b32_e32 v14, v14, v16, vcc
	v_lshlrev_b32_e32 v8, 24, v8
	v_lshlrev_b32_e32 v14, 20, v14
	v_and_b32_e32 v8, 0x80000000, v8
	v_lshl_add_u32 v13, v13, 23, v10
	v_or3_b32 v14, v8, v13, v14
.LBB466_956:                            ;   in Loop: Header=BB466_796 Depth=1
	s_or_b64 exec, exec, s[20:21]
.LBB466_957:                            ;   in Loop: Header=BB466_796 Depth=1
	s_or_b64 exec, exec, s[18:19]
.LBB466_958:                            ;   in Loop: Header=BB466_796 Depth=1
	s_or_b64 exec, exec, s[16:17]
	v_cmp_lt_u32_e32 vcc, s23, v6
	v_mov_b32_e32 v16, 0
	v_mov_b32_e32 v17, 0
	s_and_saveexec_b64 s[16:17], vcc
	s_cbranch_execz .LBB466_964
; %bb.959:                              ;   in Loop: Header=BB466_796 Depth=1
	v_lshrrev_b32_e32 v8, 24, v6
	v_cmp_ne_u32_e32 vcc, s5, v8
	v_bfrev_b32_e32 v17, 1
	s_and_saveexec_b64 s[18:19], vcc
	s_cbranch_execz .LBB466_963
; %bb.960:                              ;   in Loop: Header=BB466_796 Depth=1
	v_bfe_u32 v6, v6, 24, 7
	v_cmp_ne_u32_e32 vcc, s22, v6
	v_mov_b32_e32 v17, 0x7f800001
	s_and_saveexec_b64 s[20:21], vcc
	s_cbranch_execz .LBB466_962
; %bb.961:                              ;   in Loop: Header=BB466_796 Depth=1
	v_and_b32_e32 v13, 7, v8
	v_ffbh_u32_e32 v18, v13
	v_min_u32_e32 v20, 32, v18
	v_subrev_u32_e32 v18, 28, v20
	v_lshlrev_b64 v[18:19], v18, v[8:9]
	v_lshrrev_b32_e32 v17, 3, v6
	v_sub_u32_e32 v19, 29, v20
	v_and_b32_e32 v18, 7, v18
	v_cmp_gt_u32_e32 vcc, 8, v6
	v_cndmask_b32_e32 v6, v17, v19, vcc
	v_cndmask_b32_e32 v13, v13, v18, vcc
	v_lshlrev_b32_e32 v8, 24, v8
	v_lshlrev_b32_e32 v13, 20, v13
	v_and_b32_e32 v8, 0x80000000, v8
	v_lshl_add_u32 v6, v6, 23, v10
	v_or3_b32 v17, v8, v6, v13
.LBB466_962:                            ;   in Loop: Header=BB466_796 Depth=1
	s_or_b64 exec, exec, s[20:21]
.LBB466_963:                            ;   in Loop: Header=BB466_796 Depth=1
	s_or_b64 exec, exec, s[18:19]
.LBB466_964:                            ;   in Loop: Header=BB466_796 Depth=1
	s_or_b64 exec, exec, s[16:17]
	s_waitcnt vmcnt(0)
	v_cmp_ne_u16_sdwa s[18:19], v4, v9 src0_sel:BYTE_0 src1_sel:DWORD
	s_and_saveexec_b64 s[16:17], s[18:19]
	s_cbranch_execz .LBB466_970
; %bb.965:                              ;   in Loop: Header=BB466_796 Depth=1
	v_cmp_ne_u16_sdwa s[20:21], v4, s5 src0_sel:BYTE_0 src1_sel:DWORD
	v_bfrev_b32_e32 v16, 1
	s_and_saveexec_b64 s[18:19], s[20:21]
	s_cbranch_execz .LBB466_969
; %bb.966:                              ;   in Loop: Header=BB466_796 Depth=1
	v_and_b32_e32 v6, 0x7f, v4
	v_cmp_ne_u32_e32 vcc, s22, v6
	v_mov_b32_e32 v16, 0x7f800001
	s_and_saveexec_b64 s[20:21], vcc
	s_cbranch_execz .LBB466_968
; %bb.967:                              ;   in Loop: Header=BB466_796 Depth=1
	v_and_b32_e32 v8, 7, v4
	v_ffbh_u32_e32 v16, v8
	v_min_u32_e32 v16, 32, v16
	v_subrev_u32_e32 v18, 28, v16
	v_lshlrev_b64 v[18:19], v18, v[4:5]
	v_lshrrev_b32_e32 v13, 3, v6
	v_sub_u32_e32 v16, 29, v16
	v_and_b32_e32 v18, 7, v18
	v_cmp_gt_u32_e32 vcc, 8, v6
	v_cndmask_b32_e32 v6, v13, v16, vcc
	v_cndmask_b32_e32 v8, v8, v18, vcc
	v_lshlrev_b32_e32 v13, 24, v4
	v_lshlrev_b32_e32 v8, 20, v8
	v_and_b32_e32 v13, 0x80000000, v13
	v_lshl_add_u32 v6, v6, 23, v10
	v_or3_b32 v16, v13, v6, v8
.LBB466_968:                            ;   in Loop: Header=BB466_796 Depth=1
	s_or_b64 exec, exec, s[20:21]
.LBB466_969:                            ;   in Loop: Header=BB466_796 Depth=1
	s_or_b64 exec, exec, s[18:19]
.LBB466_970:                            ;   in Loop: Header=BB466_796 Depth=1
	s_or_b64 exec, exec, s[16:17]
	v_lshrrev_b16_e32 v6, 8, v4
	v_cmp_ne_u16_e32 vcc, 0, v6
	v_mov_b32_e32 v8, 0
	v_mov_b32_e32 v18, 0
	s_and_saveexec_b64 s[16:17], vcc
	s_cbranch_execz .LBB466_976
; %bb.971:                              ;   in Loop: Header=BB466_796 Depth=1
	v_cmp_ne_u16_e32 vcc, s5, v6
	v_bfrev_b32_e32 v18, 1
	s_and_saveexec_b64 s[18:19], vcc
	s_cbranch_execz .LBB466_975
; %bb.972:                              ;   in Loop: Header=BB466_796 Depth=1
	v_and_b32_e32 v13, 0x7f, v6
	v_cmp_ne_u32_e32 vcc, s22, v13
	v_mov_b32_e32 v18, 0x7f800001
	s_and_saveexec_b64 s[20:21], vcc
	s_cbranch_execz .LBB466_974
; %bb.973:                              ;   in Loop: Header=BB466_796 Depth=1
	v_and_b32_e32 v20, 7, v6
	v_ffbh_u32_e32 v18, v20
	v_min_u32_e32 v22, 32, v18
	v_subrev_u32_e32 v18, 28, v22
	v_lshlrev_b64 v[18:19], v18, v[6:7]
	v_lshrrev_b32_e32 v21, 3, v13
	v_sub_u32_e32 v6, 29, v22
	v_and_b32_e32 v18, 7, v18
	v_cmp_gt_u32_e32 vcc, 8, v13
	v_cndmask_b32_e32 v6, v21, v6, vcc
	v_cndmask_b32_e32 v13, v20, v18, vcc
	v_lshlrev_b32_e32 v18, 16, v4
	v_lshlrev_b32_e32 v13, 20, v13
	v_and_b32_e32 v18, 0x80000000, v18
	v_lshl_add_u32 v6, v6, 23, v10
	v_or3_b32 v18, v18, v6, v13
.LBB466_974:                            ;   in Loop: Header=BB466_796 Depth=1
	s_or_b64 exec, exec, s[20:21]
.LBB466_975:                            ;   in Loop: Header=BB466_796 Depth=1
	s_or_b64 exec, exec, s[18:19]
.LBB466_976:                            ;   in Loop: Header=BB466_796 Depth=1
	s_or_b64 exec, exec, s[16:17]
	v_lshrrev_b32_e32 v6, 16, v4
	v_cmp_ne_u16_sdwa s[18:19], v6, v9 src0_sel:BYTE_0 src1_sel:DWORD
	s_and_saveexec_b64 s[16:17], s[18:19]
	s_cbranch_execz .LBB466_982
; %bb.977:                              ;   in Loop: Header=BB466_796 Depth=1
	v_cmp_ne_u16_sdwa s[20:21], v6, s5 src0_sel:BYTE_0 src1_sel:DWORD
	v_bfrev_b32_e32 v8, 1
	s_and_saveexec_b64 s[18:19], s[20:21]
	s_cbranch_execz .LBB466_981
; %bb.978:                              ;   in Loop: Header=BB466_796 Depth=1
	v_bfe_u32 v13, v4, 16, 7
	v_cmp_ne_u32_e32 vcc, s22, v13
	v_mov_b32_e32 v8, 0x7f800001
	s_and_saveexec_b64 s[20:21], vcc
	s_cbranch_execz .LBB466_980
; %bb.979:                              ;   in Loop: Header=BB466_796 Depth=1
	v_and_b32_e32 v8, 7, v6
	v_ffbh_u32_e32 v20, v8
	v_min_u32_e32 v22, 32, v20
	v_subrev_u32_e32 v20, 28, v22
	v_lshlrev_b64 v[20:21], v20, v[6:7]
	v_lshrrev_b32_e32 v19, 3, v13
	v_sub_u32_e32 v21, 29, v22
	v_and_b32_e32 v20, 7, v20
	v_cmp_gt_u32_e32 vcc, 8, v13
	v_cndmask_b32_e32 v13, v19, v21, vcc
	v_cndmask_b32_e32 v8, v8, v20, vcc
	v_lshlrev_b32_e32 v6, 24, v6
	v_lshlrev_b32_e32 v8, 20, v8
	v_and_b32_e32 v6, 0x80000000, v6
	v_lshl_add_u32 v13, v13, 23, v10
	v_or3_b32 v8, v6, v13, v8
.LBB466_980:                            ;   in Loop: Header=BB466_796 Depth=1
	s_or_b64 exec, exec, s[20:21]
.LBB466_981:                            ;   in Loop: Header=BB466_796 Depth=1
	s_or_b64 exec, exec, s[18:19]
.LBB466_982:                            ;   in Loop: Header=BB466_796 Depth=1
	s_or_b64 exec, exec, s[16:17]
	v_cmp_lt_u32_e32 vcc, s23, v4
	v_mov_b32_e32 v13, 0
	v_mov_b32_e32 v19, 0
	s_and_saveexec_b64 s[16:17], vcc
	s_cbranch_execz .LBB466_988
; %bb.983:                              ;   in Loop: Header=BB466_796 Depth=1
	v_lshrrev_b32_e32 v6, 24, v4
	v_cmp_ne_u32_e32 vcc, s5, v6
	v_bfrev_b32_e32 v19, 1
	s_and_saveexec_b64 s[18:19], vcc
	s_cbranch_execz .LBB466_987
; %bb.984:                              ;   in Loop: Header=BB466_796 Depth=1
	v_bfe_u32 v4, v4, 24, 7
	v_cmp_ne_u32_e32 vcc, s22, v4
	v_mov_b32_e32 v19, 0x7f800001
	s_and_saveexec_b64 s[20:21], vcc
	s_cbranch_execz .LBB466_986
; %bb.985:                              ;   in Loop: Header=BB466_796 Depth=1
	v_and_b32_e32 v19, 7, v6
	v_ffbh_u32_e32 v20, v19
	v_min_u32_e32 v23, 32, v20
	v_subrev_u32_e32 v20, 28, v23
	v_lshlrev_b64 v[20:21], v20, v[6:7]
	v_lshrrev_b32_e32 v22, 3, v4
	v_sub_u32_e32 v21, 29, v23
	v_and_b32_e32 v20, 7, v20
	v_cmp_gt_u32_e32 vcc, 8, v4
	v_cndmask_b32_e32 v4, v22, v21, vcc
	v_cndmask_b32_e32 v19, v19, v20, vcc
	v_lshlrev_b32_e32 v6, 24, v6
	v_lshlrev_b32_e32 v19, 20, v19
	v_and_b32_e32 v6, 0x80000000, v6
	v_lshl_add_u32 v4, v4, 23, v10
	v_or3_b32 v19, v6, v4, v19
.LBB466_986:                            ;   in Loop: Header=BB466_796 Depth=1
	s_or_b64 exec, exec, s[20:21]
.LBB466_987:                            ;   in Loop: Header=BB466_796 Depth=1
	s_or_b64 exec, exec, s[18:19]
.LBB466_988:                            ;   in Loop: Header=BB466_796 Depth=1
	s_or_b64 exec, exec, s[16:17]
	buffer_load_dword v6, v11, s[0:3], 0 offen offset:32
	buffer_load_dword v4, v11, s[0:3], 0 offen offset:36
	v_cvt_pkrtz_f16_f32 v20, v12, v15
	v_cvt_pkrtz_f16_f32 v21, v14, v17
	;; [unrolled: 1-line block ×4, first 2 shown]
	v_mfma_f32_4x4x4f16 a[0:3], v[2:3], v[20:21], a[0:3] cbsz:4 abid:6
	s_waitcnt vmcnt(1)
	v_cmp_ne_u16_sdwa s[18:19], v6, v9 src0_sel:BYTE_0 src1_sel:DWORD
	v_mfma_f32_4x4x4f16 a[0:3], v[2:3], v[14:15], a[0:3] cbsz:4 abid:7
	s_and_saveexec_b64 s[16:17], s[18:19]
	s_cbranch_execz .LBB466_994
; %bb.989:                              ;   in Loop: Header=BB466_796 Depth=1
	v_cmp_ne_u16_sdwa s[20:21], v6, s5 src0_sel:BYTE_0 src1_sel:DWORD
	v_bfrev_b32_e32 v13, 1
	s_and_saveexec_b64 s[18:19], s[20:21]
	s_cbranch_execz .LBB466_993
; %bb.990:                              ;   in Loop: Header=BB466_796 Depth=1
	v_and_b32_e32 v8, 0x7f, v6
	v_cmp_ne_u32_e32 vcc, s22, v8
	v_mov_b32_e32 v13, 0x7f800001
	s_and_saveexec_b64 s[20:21], vcc
	s_cbranch_execz .LBB466_992
; %bb.991:                              ;   in Loop: Header=BB466_796 Depth=1
	v_and_b32_e32 v14, 7, v6
	v_ffbh_u32_e32 v12, v14
	v_min_u32_e32 v16, 32, v12
	v_subrev_u32_e32 v12, 28, v16
	v_lshlrev_b64 v[12:13], v12, v[6:7]
	v_lshrrev_b32_e32 v15, 3, v8
	v_sub_u32_e32 v13, 29, v16
	v_and_b32_e32 v12, 7, v12
	v_cmp_gt_u32_e32 vcc, 8, v8
	v_cndmask_b32_e32 v8, v15, v13, vcc
	v_cndmask_b32_e32 v12, v14, v12, vcc
	v_lshlrev_b32_e32 v13, 24, v6
	v_lshlrev_b32_e32 v12, 20, v12
	v_and_b32_e32 v13, 0x80000000, v13
	v_lshl_add_u32 v8, v8, 23, v10
	v_or3_b32 v13, v13, v8, v12
.LBB466_992:                            ;   in Loop: Header=BB466_796 Depth=1
	s_or_b64 exec, exec, s[20:21]
.LBB466_993:                            ;   in Loop: Header=BB466_796 Depth=1
	s_or_b64 exec, exec, s[18:19]
.LBB466_994:                            ;   in Loop: Header=BB466_796 Depth=1
	s_or_b64 exec, exec, s[16:17]
	v_lshrrev_b16_e32 v8, 8, v6
	v_cmp_ne_u16_e32 vcc, 0, v8
	v_mov_b32_e32 v12, 0
	v_mov_b32_e32 v15, 0
	s_and_saveexec_b64 s[16:17], vcc
	s_cbranch_execz .LBB466_1000
; %bb.995:                              ;   in Loop: Header=BB466_796 Depth=1
	v_cmp_ne_u16_e32 vcc, s5, v8
	v_bfrev_b32_e32 v15, 1
	s_and_saveexec_b64 s[18:19], vcc
	s_cbranch_execz .LBB466_999
; %bb.996:                              ;   in Loop: Header=BB466_796 Depth=1
	v_and_b32_e32 v14, 0x7f, v8
	v_cmp_ne_u32_e32 vcc, s22, v14
	v_mov_b32_e32 v15, 0x7f800001
	s_and_saveexec_b64 s[20:21], vcc
	s_cbranch_execz .LBB466_998
; %bb.997:                              ;   in Loop: Header=BB466_796 Depth=1
	v_and_b32_e32 v15, 7, v8
	v_ffbh_u32_e32 v16, v15
	v_min_u32_e32 v19, 32, v16
	v_subrev_u32_e32 v16, 28, v19
	v_lshlrev_b64 v[16:17], v16, v[8:9]
	v_lshrrev_b32_e32 v18, 3, v14
	v_sub_u32_e32 v8, 29, v19
	v_and_b32_e32 v16, 7, v16
	v_cmp_gt_u32_e32 vcc, 8, v14
	v_cndmask_b32_e32 v8, v18, v8, vcc
	v_cndmask_b32_e32 v14, v15, v16, vcc
	v_lshlrev_b32_e32 v15, 16, v6
	v_lshlrev_b32_e32 v14, 20, v14
	v_and_b32_e32 v15, 0x80000000, v15
	v_lshl_add_u32 v8, v8, 23, v10
	v_or3_b32 v15, v15, v8, v14
.LBB466_998:                            ;   in Loop: Header=BB466_796 Depth=1
	s_or_b64 exec, exec, s[20:21]
.LBB466_999:                            ;   in Loop: Header=BB466_796 Depth=1
	s_or_b64 exec, exec, s[18:19]
.LBB466_1000:                           ;   in Loop: Header=BB466_796 Depth=1
	s_or_b64 exec, exec, s[16:17]
	v_lshrrev_b32_e32 v8, 16, v6
	v_cmp_ne_u16_sdwa s[18:19], v8, v9 src0_sel:BYTE_0 src1_sel:DWORD
	s_and_saveexec_b64 s[16:17], s[18:19]
	s_cbranch_execz .LBB466_1006
; %bb.1001:                             ;   in Loop: Header=BB466_796 Depth=1
	v_cmp_ne_u16_sdwa s[20:21], v8, s5 src0_sel:BYTE_0 src1_sel:DWORD
	v_bfrev_b32_e32 v12, 1
	s_and_saveexec_b64 s[18:19], s[20:21]
	s_cbranch_execz .LBB466_1005
; %bb.1002:                             ;   in Loop: Header=BB466_796 Depth=1
	v_bfe_u32 v14, v6, 16, 7
	v_cmp_ne_u32_e32 vcc, s22, v14
	v_mov_b32_e32 v12, 0x7f800001
	s_and_saveexec_b64 s[20:21], vcc
	s_cbranch_execz .LBB466_1004
; %bb.1003:                             ;   in Loop: Header=BB466_796 Depth=1
	v_and_b32_e32 v12, 7, v8
	v_ffbh_u32_e32 v16, v12
	v_min_u32_e32 v19, 32, v16
	v_subrev_u32_e32 v16, 28, v19
	v_lshlrev_b64 v[16:17], v16, v[8:9]
	v_lshrrev_b32_e32 v18, 3, v14
	v_sub_u32_e32 v17, 29, v19
	v_and_b32_e32 v16, 7, v16
	v_cmp_gt_u32_e32 vcc, 8, v14
	v_cndmask_b32_e32 v14, v18, v17, vcc
	v_cndmask_b32_e32 v12, v12, v16, vcc
	v_lshlrev_b32_e32 v8, 24, v8
	v_lshlrev_b32_e32 v12, 20, v12
	v_and_b32_e32 v8, 0x80000000, v8
	v_lshl_add_u32 v14, v14, 23, v10
	v_or3_b32 v12, v8, v14, v12
.LBB466_1004:                           ;   in Loop: Header=BB466_796 Depth=1
	s_or_b64 exec, exec, s[20:21]
.LBB466_1005:                           ;   in Loop: Header=BB466_796 Depth=1
	s_or_b64 exec, exec, s[18:19]
.LBB466_1006:                           ;   in Loop: Header=BB466_796 Depth=1
	s_or_b64 exec, exec, s[16:17]
	v_cmp_lt_u32_e32 vcc, s23, v6
	v_mov_b32_e32 v16, 0
	v_mov_b32_e32 v17, 0
	s_and_saveexec_b64 s[16:17], vcc
	s_cbranch_execz .LBB466_1012
; %bb.1007:                             ;   in Loop: Header=BB466_796 Depth=1
	v_lshrrev_b32_e32 v8, 24, v6
	v_cmp_ne_u32_e32 vcc, s5, v8
	v_bfrev_b32_e32 v17, 1
	s_and_saveexec_b64 s[18:19], vcc
	s_cbranch_execz .LBB466_1011
; %bb.1008:                             ;   in Loop: Header=BB466_796 Depth=1
	v_bfe_u32 v6, v6, 24, 7
	v_cmp_ne_u32_e32 vcc, s22, v6
	v_mov_b32_e32 v17, 0x7f800001
	s_and_saveexec_b64 s[20:21], vcc
	s_cbranch_execz .LBB466_1010
; %bb.1009:                             ;   in Loop: Header=BB466_796 Depth=1
	v_and_b32_e32 v14, 7, v8
	v_ffbh_u32_e32 v18, v14
	v_min_u32_e32 v20, 32, v18
	v_subrev_u32_e32 v18, 28, v20
	v_lshlrev_b64 v[18:19], v18, v[8:9]
	v_lshrrev_b32_e32 v17, 3, v6
	v_sub_u32_e32 v19, 29, v20
	v_and_b32_e32 v18, 7, v18
	v_cmp_gt_u32_e32 vcc, 8, v6
	v_cndmask_b32_e32 v6, v17, v19, vcc
	v_cndmask_b32_e32 v14, v14, v18, vcc
	v_lshlrev_b32_e32 v8, 24, v8
	v_lshlrev_b32_e32 v14, 20, v14
	v_and_b32_e32 v8, 0x80000000, v8
	v_lshl_add_u32 v6, v6, 23, v10
	v_or3_b32 v17, v8, v6, v14
.LBB466_1010:                           ;   in Loop: Header=BB466_796 Depth=1
	s_or_b64 exec, exec, s[20:21]
.LBB466_1011:                           ;   in Loop: Header=BB466_796 Depth=1
	s_or_b64 exec, exec, s[18:19]
.LBB466_1012:                           ;   in Loop: Header=BB466_796 Depth=1
	s_or_b64 exec, exec, s[16:17]
	s_waitcnt vmcnt(0)
	v_cmp_ne_u16_sdwa s[18:19], v4, v9 src0_sel:BYTE_0 src1_sel:DWORD
	s_and_saveexec_b64 s[16:17], s[18:19]
	s_cbranch_execz .LBB466_1018
; %bb.1013:                             ;   in Loop: Header=BB466_796 Depth=1
	v_cmp_ne_u16_sdwa s[20:21], v4, s5 src0_sel:BYTE_0 src1_sel:DWORD
	v_bfrev_b32_e32 v16, 1
	s_and_saveexec_b64 s[18:19], s[20:21]
	s_cbranch_execz .LBB466_1017
; %bb.1014:                             ;   in Loop: Header=BB466_796 Depth=1
	v_and_b32_e32 v6, 0x7f, v4
	v_cmp_ne_u32_e32 vcc, s22, v6
	v_mov_b32_e32 v16, 0x7f800001
	s_and_saveexec_b64 s[20:21], vcc
	s_cbranch_execz .LBB466_1016
; %bb.1015:                             ;   in Loop: Header=BB466_796 Depth=1
	v_and_b32_e32 v8, 7, v4
	v_ffbh_u32_e32 v16, v8
	v_min_u32_e32 v16, 32, v16
	v_subrev_u32_e32 v18, 28, v16
	v_lshlrev_b64 v[18:19], v18, v[4:5]
	v_lshrrev_b32_e32 v14, 3, v6
	v_sub_u32_e32 v16, 29, v16
	v_and_b32_e32 v18, 7, v18
	v_cmp_gt_u32_e32 vcc, 8, v6
	v_cndmask_b32_e32 v6, v14, v16, vcc
	v_cndmask_b32_e32 v8, v8, v18, vcc
	v_lshlrev_b32_e32 v14, 24, v4
	v_lshlrev_b32_e32 v8, 20, v8
	v_and_b32_e32 v14, 0x80000000, v14
	v_lshl_add_u32 v6, v6, 23, v10
	v_or3_b32 v16, v14, v6, v8
.LBB466_1016:                           ;   in Loop: Header=BB466_796 Depth=1
	s_or_b64 exec, exec, s[20:21]
.LBB466_1017:                           ;   in Loop: Header=BB466_796 Depth=1
	s_or_b64 exec, exec, s[18:19]
.LBB466_1018:                           ;   in Loop: Header=BB466_796 Depth=1
	s_or_b64 exec, exec, s[16:17]
	v_lshrrev_b16_e32 v6, 8, v4
	v_cmp_ne_u16_e32 vcc, 0, v6
	v_mov_b32_e32 v8, 0
	v_mov_b32_e32 v18, 0
	s_and_saveexec_b64 s[16:17], vcc
	s_cbranch_execz .LBB466_1024
; %bb.1019:                             ;   in Loop: Header=BB466_796 Depth=1
	v_cmp_ne_u16_e32 vcc, s5, v6
	v_bfrev_b32_e32 v18, 1
	s_and_saveexec_b64 s[18:19], vcc
	s_cbranch_execz .LBB466_1023
; %bb.1020:                             ;   in Loop: Header=BB466_796 Depth=1
	v_and_b32_e32 v14, 0x7f, v6
	v_cmp_ne_u32_e32 vcc, s22, v14
	v_mov_b32_e32 v18, 0x7f800001
	s_and_saveexec_b64 s[20:21], vcc
	s_cbranch_execz .LBB466_1022
; %bb.1021:                             ;   in Loop: Header=BB466_796 Depth=1
	v_and_b32_e32 v20, 7, v6
	v_ffbh_u32_e32 v18, v20
	v_min_u32_e32 v22, 32, v18
	v_subrev_u32_e32 v18, 28, v22
	v_lshlrev_b64 v[18:19], v18, v[6:7]
	v_lshrrev_b32_e32 v21, 3, v14
	v_sub_u32_e32 v6, 29, v22
	v_and_b32_e32 v18, 7, v18
	v_cmp_gt_u32_e32 vcc, 8, v14
	v_cndmask_b32_e32 v6, v21, v6, vcc
	v_cndmask_b32_e32 v14, v20, v18, vcc
	v_lshlrev_b32_e32 v18, 16, v4
	v_lshlrev_b32_e32 v14, 20, v14
	v_and_b32_e32 v18, 0x80000000, v18
	v_lshl_add_u32 v6, v6, 23, v10
	v_or3_b32 v18, v18, v6, v14
.LBB466_1022:                           ;   in Loop: Header=BB466_796 Depth=1
	s_or_b64 exec, exec, s[20:21]
.LBB466_1023:                           ;   in Loop: Header=BB466_796 Depth=1
	s_or_b64 exec, exec, s[18:19]
.LBB466_1024:                           ;   in Loop: Header=BB466_796 Depth=1
	s_or_b64 exec, exec, s[16:17]
	v_lshrrev_b32_e32 v6, 16, v4
	v_cmp_ne_u16_sdwa s[18:19], v6, v9 src0_sel:BYTE_0 src1_sel:DWORD
	s_and_saveexec_b64 s[16:17], s[18:19]
	s_cbranch_execz .LBB466_1030
; %bb.1025:                             ;   in Loop: Header=BB466_796 Depth=1
	v_cmp_ne_u16_sdwa s[20:21], v6, s5 src0_sel:BYTE_0 src1_sel:DWORD
	v_bfrev_b32_e32 v8, 1
	s_and_saveexec_b64 s[18:19], s[20:21]
	s_cbranch_execz .LBB466_1029
; %bb.1026:                             ;   in Loop: Header=BB466_796 Depth=1
	v_bfe_u32 v14, v4, 16, 7
	v_cmp_ne_u32_e32 vcc, s22, v14
	v_mov_b32_e32 v8, 0x7f800001
	s_and_saveexec_b64 s[20:21], vcc
	s_cbranch_execz .LBB466_1028
; %bb.1027:                             ;   in Loop: Header=BB466_796 Depth=1
	v_and_b32_e32 v8, 7, v6
	v_ffbh_u32_e32 v20, v8
	v_min_u32_e32 v22, 32, v20
	v_subrev_u32_e32 v20, 28, v22
	v_lshlrev_b64 v[20:21], v20, v[6:7]
	v_lshrrev_b32_e32 v19, 3, v14
	v_sub_u32_e32 v21, 29, v22
	v_and_b32_e32 v20, 7, v20
	v_cmp_gt_u32_e32 vcc, 8, v14
	v_cndmask_b32_e32 v14, v19, v21, vcc
	v_cndmask_b32_e32 v8, v8, v20, vcc
	v_lshlrev_b32_e32 v6, 24, v6
	v_lshlrev_b32_e32 v8, 20, v8
	v_and_b32_e32 v6, 0x80000000, v6
	v_lshl_add_u32 v14, v14, 23, v10
	v_or3_b32 v8, v6, v14, v8
.LBB466_1028:                           ;   in Loop: Header=BB466_796 Depth=1
	s_or_b64 exec, exec, s[20:21]
.LBB466_1029:                           ;   in Loop: Header=BB466_796 Depth=1
	s_or_b64 exec, exec, s[18:19]
.LBB466_1030:                           ;   in Loop: Header=BB466_796 Depth=1
	s_or_b64 exec, exec, s[16:17]
	v_cmp_lt_u32_e32 vcc, s23, v4
	v_mov_b32_e32 v14, 0
	v_mov_b32_e32 v19, 0
	s_and_saveexec_b64 s[16:17], vcc
	s_cbranch_execz .LBB466_1036
; %bb.1031:                             ;   in Loop: Header=BB466_796 Depth=1
	v_lshrrev_b32_e32 v6, 24, v4
	v_cmp_ne_u32_e32 vcc, s5, v6
	v_bfrev_b32_e32 v19, 1
	s_and_saveexec_b64 s[18:19], vcc
	s_cbranch_execz .LBB466_1035
; %bb.1032:                             ;   in Loop: Header=BB466_796 Depth=1
	v_bfe_u32 v4, v4, 24, 7
	v_cmp_ne_u32_e32 vcc, s22, v4
	v_mov_b32_e32 v19, 0x7f800001
	s_and_saveexec_b64 s[20:21], vcc
	s_cbranch_execz .LBB466_1034
; %bb.1033:                             ;   in Loop: Header=BB466_796 Depth=1
	v_and_b32_e32 v19, 7, v6
	v_ffbh_u32_e32 v20, v19
	v_min_u32_e32 v23, 32, v20
	v_subrev_u32_e32 v20, 28, v23
	v_lshlrev_b64 v[20:21], v20, v[6:7]
	v_lshrrev_b32_e32 v22, 3, v4
	v_sub_u32_e32 v21, 29, v23
	v_and_b32_e32 v20, 7, v20
	v_cmp_gt_u32_e32 vcc, 8, v4
	v_cndmask_b32_e32 v4, v22, v21, vcc
	v_cndmask_b32_e32 v19, v19, v20, vcc
	v_lshlrev_b32_e32 v6, 24, v6
	v_lshlrev_b32_e32 v19, 20, v19
	v_and_b32_e32 v6, 0x80000000, v6
	v_lshl_add_u32 v4, v4, 23, v10
	v_or3_b32 v19, v6, v4, v19
.LBB466_1034:                           ;   in Loop: Header=BB466_796 Depth=1
	s_or_b64 exec, exec, s[20:21]
.LBB466_1035:                           ;   in Loop: Header=BB466_796 Depth=1
	s_or_b64 exec, exec, s[18:19]
.LBB466_1036:                           ;   in Loop: Header=BB466_796 Depth=1
	s_or_b64 exec, exec, s[16:17]
	buffer_load_dword v6, v11, s[0:3], 0 offen offset:40
	buffer_load_dword v4, v11, s[0:3], 0 offen offset:44
	v_cvt_pkrtz_f16_f32 v20, v13, v15
	v_cvt_pkrtz_f16_f32 v21, v12, v17
	;; [unrolled: 1-line block ×4, first 2 shown]
	v_mfma_f32_4x4x4f16 a[0:3], v[2:3], v[20:21], a[0:3] cbsz:4 abid:8
	s_waitcnt vmcnt(1)
	v_cmp_ne_u16_sdwa s[18:19], v6, v9 src0_sel:BYTE_0 src1_sel:DWORD
	v_mfma_f32_4x4x4f16 a[0:3], v[2:3], v[12:13], a[0:3] cbsz:4 abid:9
	s_and_saveexec_b64 s[16:17], s[18:19]
	s_cbranch_execz .LBB466_1042
; %bb.1037:                             ;   in Loop: Header=BB466_796 Depth=1
	v_cmp_ne_u16_sdwa s[20:21], v6, s5 src0_sel:BYTE_0 src1_sel:DWORD
	v_bfrev_b32_e32 v14, 1
	s_and_saveexec_b64 s[18:19], s[20:21]
	s_cbranch_execz .LBB466_1041
; %bb.1038:                             ;   in Loop: Header=BB466_796 Depth=1
	v_and_b32_e32 v8, 0x7f, v6
	v_cmp_ne_u32_e32 vcc, s22, v8
	v_mov_b32_e32 v14, 0x7f800001
	s_and_saveexec_b64 s[20:21], vcc
	s_cbranch_execz .LBB466_1040
; %bb.1039:                             ;   in Loop: Header=BB466_796 Depth=1
	v_and_b32_e32 v14, 7, v6
	v_ffbh_u32_e32 v12, v14
	v_min_u32_e32 v16, 32, v12
	v_subrev_u32_e32 v12, 28, v16
	v_lshlrev_b64 v[12:13], v12, v[6:7]
	v_lshrrev_b32_e32 v15, 3, v8
	v_sub_u32_e32 v13, 29, v16
	v_and_b32_e32 v12, 7, v12
	v_cmp_gt_u32_e32 vcc, 8, v8
	v_cndmask_b32_e32 v8, v15, v13, vcc
	v_cndmask_b32_e32 v12, v14, v12, vcc
	v_lshlrev_b32_e32 v13, 24, v6
	v_lshlrev_b32_e32 v12, 20, v12
	v_and_b32_e32 v13, 0x80000000, v13
	v_lshl_add_u32 v8, v8, 23, v10
	v_or3_b32 v14, v13, v8, v12
.LBB466_1040:                           ;   in Loop: Header=BB466_796 Depth=1
	s_or_b64 exec, exec, s[20:21]
.LBB466_1041:                           ;   in Loop: Header=BB466_796 Depth=1
	s_or_b64 exec, exec, s[18:19]
.LBB466_1042:                           ;   in Loop: Header=BB466_796 Depth=1
	s_or_b64 exec, exec, s[16:17]
	v_lshrrev_b16_e32 v8, 8, v6
	v_cmp_ne_u16_e32 vcc, 0, v8
	v_mov_b32_e32 v13, 0
	v_mov_b32_e32 v15, 0
	s_and_saveexec_b64 s[16:17], vcc
	s_cbranch_execz .LBB466_1048
; %bb.1043:                             ;   in Loop: Header=BB466_796 Depth=1
	v_cmp_ne_u16_e32 vcc, s5, v8
	v_bfrev_b32_e32 v15, 1
	s_and_saveexec_b64 s[18:19], vcc
	s_cbranch_execz .LBB466_1047
; %bb.1044:                             ;   in Loop: Header=BB466_796 Depth=1
	v_and_b32_e32 v12, 0x7f, v8
	v_cmp_ne_u32_e32 vcc, s22, v12
	v_mov_b32_e32 v15, 0x7f800001
	s_and_saveexec_b64 s[20:21], vcc
	s_cbranch_execz .LBB466_1046
; %bb.1045:                             ;   in Loop: Header=BB466_796 Depth=1
	v_and_b32_e32 v15, 7, v8
	v_ffbh_u32_e32 v16, v15
	v_min_u32_e32 v19, 32, v16
	v_subrev_u32_e32 v16, 28, v19
	v_lshlrev_b64 v[16:17], v16, v[8:9]
	v_lshrrev_b32_e32 v18, 3, v12
	v_sub_u32_e32 v8, 29, v19
	v_and_b32_e32 v16, 7, v16
	v_cmp_gt_u32_e32 vcc, 8, v12
	v_cndmask_b32_e32 v8, v18, v8, vcc
	v_cndmask_b32_e32 v12, v15, v16, vcc
	v_lshlrev_b32_e32 v15, 16, v6
	v_lshlrev_b32_e32 v12, 20, v12
	v_and_b32_e32 v15, 0x80000000, v15
	v_lshl_add_u32 v8, v8, 23, v10
	v_or3_b32 v15, v15, v8, v12
.LBB466_1046:                           ;   in Loop: Header=BB466_796 Depth=1
	s_or_b64 exec, exec, s[20:21]
.LBB466_1047:                           ;   in Loop: Header=BB466_796 Depth=1
	s_or_b64 exec, exec, s[18:19]
.LBB466_1048:                           ;   in Loop: Header=BB466_796 Depth=1
	s_or_b64 exec, exec, s[16:17]
	v_lshrrev_b32_e32 v8, 16, v6
	v_cmp_ne_u16_sdwa s[18:19], v8, v9 src0_sel:BYTE_0 src1_sel:DWORD
	s_and_saveexec_b64 s[16:17], s[18:19]
	s_cbranch_execz .LBB466_1054
; %bb.1049:                             ;   in Loop: Header=BB466_796 Depth=1
	v_cmp_ne_u16_sdwa s[20:21], v8, s5 src0_sel:BYTE_0 src1_sel:DWORD
	v_bfrev_b32_e32 v13, 1
	s_and_saveexec_b64 s[18:19], s[20:21]
	s_cbranch_execz .LBB466_1053
; %bb.1050:                             ;   in Loop: Header=BB466_796 Depth=1
	v_bfe_u32 v12, v6, 16, 7
	v_cmp_ne_u32_e32 vcc, s22, v12
	v_mov_b32_e32 v13, 0x7f800001
	s_and_saveexec_b64 s[20:21], vcc
	s_cbranch_execz .LBB466_1052
; %bb.1051:                             ;   in Loop: Header=BB466_796 Depth=1
	v_and_b32_e32 v13, 7, v8
	v_ffbh_u32_e32 v16, v13
	v_min_u32_e32 v19, 32, v16
	v_subrev_u32_e32 v16, 28, v19
	v_lshlrev_b64 v[16:17], v16, v[8:9]
	v_lshrrev_b32_e32 v18, 3, v12
	v_sub_u32_e32 v17, 29, v19
	v_and_b32_e32 v16, 7, v16
	v_cmp_gt_u32_e32 vcc, 8, v12
	v_cndmask_b32_e32 v12, v18, v17, vcc
	v_cndmask_b32_e32 v13, v13, v16, vcc
	v_lshlrev_b32_e32 v8, 24, v8
	v_lshlrev_b32_e32 v13, 20, v13
	v_and_b32_e32 v8, 0x80000000, v8
	v_lshl_add_u32 v12, v12, 23, v10
	v_or3_b32 v13, v8, v12, v13
.LBB466_1052:                           ;   in Loop: Header=BB466_796 Depth=1
	s_or_b64 exec, exec, s[20:21]
.LBB466_1053:                           ;   in Loop: Header=BB466_796 Depth=1
	s_or_b64 exec, exec, s[18:19]
.LBB466_1054:                           ;   in Loop: Header=BB466_796 Depth=1
	s_or_b64 exec, exec, s[16:17]
	v_cmp_lt_u32_e32 vcc, s23, v6
	v_mov_b32_e32 v16, 0
	v_mov_b32_e32 v17, 0
	s_and_saveexec_b64 s[16:17], vcc
	s_cbranch_execz .LBB466_1060
; %bb.1055:                             ;   in Loop: Header=BB466_796 Depth=1
	v_lshrrev_b32_e32 v8, 24, v6
	v_cmp_ne_u32_e32 vcc, s5, v8
	v_bfrev_b32_e32 v17, 1
	s_and_saveexec_b64 s[18:19], vcc
	s_cbranch_execz .LBB466_1059
; %bb.1056:                             ;   in Loop: Header=BB466_796 Depth=1
	v_bfe_u32 v6, v6, 24, 7
	v_cmp_ne_u32_e32 vcc, s22, v6
	v_mov_b32_e32 v17, 0x7f800001
	s_and_saveexec_b64 s[20:21], vcc
	s_cbranch_execz .LBB466_1058
; %bb.1057:                             ;   in Loop: Header=BB466_796 Depth=1
	v_and_b32_e32 v12, 7, v8
	v_ffbh_u32_e32 v18, v12
	v_min_u32_e32 v20, 32, v18
	v_subrev_u32_e32 v18, 28, v20
	v_lshlrev_b64 v[18:19], v18, v[8:9]
	v_lshrrev_b32_e32 v17, 3, v6
	v_sub_u32_e32 v19, 29, v20
	v_and_b32_e32 v18, 7, v18
	v_cmp_gt_u32_e32 vcc, 8, v6
	v_cndmask_b32_e32 v6, v17, v19, vcc
	v_cndmask_b32_e32 v12, v12, v18, vcc
	v_lshlrev_b32_e32 v8, 24, v8
	v_lshlrev_b32_e32 v12, 20, v12
	v_and_b32_e32 v8, 0x80000000, v8
	v_lshl_add_u32 v6, v6, 23, v10
	v_or3_b32 v17, v8, v6, v12
.LBB466_1058:                           ;   in Loop: Header=BB466_796 Depth=1
	s_or_b64 exec, exec, s[20:21]
.LBB466_1059:                           ;   in Loop: Header=BB466_796 Depth=1
	s_or_b64 exec, exec, s[18:19]
.LBB466_1060:                           ;   in Loop: Header=BB466_796 Depth=1
	s_or_b64 exec, exec, s[16:17]
	s_waitcnt vmcnt(0)
	v_cmp_ne_u16_sdwa s[18:19], v4, v9 src0_sel:BYTE_0 src1_sel:DWORD
	s_and_saveexec_b64 s[16:17], s[18:19]
	s_cbranch_execz .LBB466_1066
; %bb.1061:                             ;   in Loop: Header=BB466_796 Depth=1
	v_cmp_ne_u16_sdwa s[20:21], v4, s5 src0_sel:BYTE_0 src1_sel:DWORD
	v_bfrev_b32_e32 v16, 1
	s_and_saveexec_b64 s[18:19], s[20:21]
	s_cbranch_execz .LBB466_1065
; %bb.1062:                             ;   in Loop: Header=BB466_796 Depth=1
	v_and_b32_e32 v6, 0x7f, v4
	v_cmp_ne_u32_e32 vcc, s22, v6
	v_mov_b32_e32 v16, 0x7f800001
	s_and_saveexec_b64 s[20:21], vcc
	s_cbranch_execz .LBB466_1064
; %bb.1063:                             ;   in Loop: Header=BB466_796 Depth=1
	v_and_b32_e32 v8, 7, v4
	v_ffbh_u32_e32 v16, v8
	v_min_u32_e32 v16, 32, v16
	v_subrev_u32_e32 v18, 28, v16
	v_lshlrev_b64 v[18:19], v18, v[4:5]
	v_lshrrev_b32_e32 v12, 3, v6
	v_sub_u32_e32 v16, 29, v16
	v_and_b32_e32 v18, 7, v18
	v_cmp_gt_u32_e32 vcc, 8, v6
	v_cndmask_b32_e32 v6, v12, v16, vcc
	v_cndmask_b32_e32 v8, v8, v18, vcc
	v_lshlrev_b32_e32 v12, 24, v4
	v_lshlrev_b32_e32 v8, 20, v8
	v_and_b32_e32 v12, 0x80000000, v12
	v_lshl_add_u32 v6, v6, 23, v10
	v_or3_b32 v16, v12, v6, v8
.LBB466_1064:                           ;   in Loop: Header=BB466_796 Depth=1
	s_or_b64 exec, exec, s[20:21]
.LBB466_1065:                           ;   in Loop: Header=BB466_796 Depth=1
	s_or_b64 exec, exec, s[18:19]
.LBB466_1066:                           ;   in Loop: Header=BB466_796 Depth=1
	s_or_b64 exec, exec, s[16:17]
	v_lshrrev_b16_e32 v6, 8, v4
	v_cmp_ne_u16_e32 vcc, 0, v6
	v_mov_b32_e32 v8, 0
	v_mov_b32_e32 v18, 0
	s_and_saveexec_b64 s[16:17], vcc
	s_cbranch_execz .LBB466_1072
; %bb.1067:                             ;   in Loop: Header=BB466_796 Depth=1
	v_cmp_ne_u16_e32 vcc, s5, v6
	v_bfrev_b32_e32 v18, 1
	s_and_saveexec_b64 s[18:19], vcc
	s_cbranch_execz .LBB466_1071
; %bb.1068:                             ;   in Loop: Header=BB466_796 Depth=1
	v_and_b32_e32 v12, 0x7f, v6
	v_cmp_ne_u32_e32 vcc, s22, v12
	v_mov_b32_e32 v18, 0x7f800001
	s_and_saveexec_b64 s[20:21], vcc
	s_cbranch_execz .LBB466_1070
; %bb.1069:                             ;   in Loop: Header=BB466_796 Depth=1
	v_and_b32_e32 v20, 7, v6
	v_ffbh_u32_e32 v18, v20
	v_min_u32_e32 v22, 32, v18
	v_subrev_u32_e32 v18, 28, v22
	v_lshlrev_b64 v[18:19], v18, v[6:7]
	v_lshrrev_b32_e32 v21, 3, v12
	v_sub_u32_e32 v6, 29, v22
	v_and_b32_e32 v18, 7, v18
	v_cmp_gt_u32_e32 vcc, 8, v12
	v_cndmask_b32_e32 v6, v21, v6, vcc
	v_cndmask_b32_e32 v12, v20, v18, vcc
	v_lshlrev_b32_e32 v18, 16, v4
	v_lshlrev_b32_e32 v12, 20, v12
	v_and_b32_e32 v18, 0x80000000, v18
	v_lshl_add_u32 v6, v6, 23, v10
	v_or3_b32 v18, v18, v6, v12
.LBB466_1070:                           ;   in Loop: Header=BB466_796 Depth=1
	s_or_b64 exec, exec, s[20:21]
.LBB466_1071:                           ;   in Loop: Header=BB466_796 Depth=1
	s_or_b64 exec, exec, s[18:19]
.LBB466_1072:                           ;   in Loop: Header=BB466_796 Depth=1
	s_or_b64 exec, exec, s[16:17]
	v_lshrrev_b32_e32 v6, 16, v4
	v_cmp_ne_u16_sdwa s[18:19], v6, v9 src0_sel:BYTE_0 src1_sel:DWORD
	s_and_saveexec_b64 s[16:17], s[18:19]
	s_cbranch_execz .LBB466_1078
; %bb.1073:                             ;   in Loop: Header=BB466_796 Depth=1
	v_cmp_ne_u16_sdwa s[20:21], v6, s5 src0_sel:BYTE_0 src1_sel:DWORD
	v_bfrev_b32_e32 v8, 1
	s_and_saveexec_b64 s[18:19], s[20:21]
	s_cbranch_execz .LBB466_1077
; %bb.1074:                             ;   in Loop: Header=BB466_796 Depth=1
	v_bfe_u32 v12, v4, 16, 7
	v_cmp_ne_u32_e32 vcc, s22, v12
	v_mov_b32_e32 v8, 0x7f800001
	s_and_saveexec_b64 s[20:21], vcc
	s_cbranch_execz .LBB466_1076
; %bb.1075:                             ;   in Loop: Header=BB466_796 Depth=1
	v_and_b32_e32 v8, 7, v6
	v_ffbh_u32_e32 v20, v8
	v_min_u32_e32 v22, 32, v20
	v_subrev_u32_e32 v20, 28, v22
	v_lshlrev_b64 v[20:21], v20, v[6:7]
	v_lshrrev_b32_e32 v19, 3, v12
	v_sub_u32_e32 v21, 29, v22
	v_and_b32_e32 v20, 7, v20
	v_cmp_gt_u32_e32 vcc, 8, v12
	v_cndmask_b32_e32 v12, v19, v21, vcc
	v_cndmask_b32_e32 v8, v8, v20, vcc
	v_lshlrev_b32_e32 v6, 24, v6
	v_lshlrev_b32_e32 v8, 20, v8
	v_and_b32_e32 v6, 0x80000000, v6
	v_lshl_add_u32 v12, v12, 23, v10
	v_or3_b32 v8, v6, v12, v8
.LBB466_1076:                           ;   in Loop: Header=BB466_796 Depth=1
	s_or_b64 exec, exec, s[20:21]
.LBB466_1077:                           ;   in Loop: Header=BB466_796 Depth=1
	s_or_b64 exec, exec, s[18:19]
.LBB466_1078:                           ;   in Loop: Header=BB466_796 Depth=1
	s_or_b64 exec, exec, s[16:17]
	v_cmp_lt_u32_e32 vcc, s23, v4
	v_mov_b32_e32 v12, 0
	v_mov_b32_e32 v19, 0
	s_and_saveexec_b64 s[16:17], vcc
	s_cbranch_execz .LBB466_1084
; %bb.1079:                             ;   in Loop: Header=BB466_796 Depth=1
	v_lshrrev_b32_e32 v6, 24, v4
	v_cmp_ne_u32_e32 vcc, s5, v6
	v_bfrev_b32_e32 v19, 1
	s_and_saveexec_b64 s[18:19], vcc
	s_cbranch_execz .LBB466_1083
; %bb.1080:                             ;   in Loop: Header=BB466_796 Depth=1
	v_bfe_u32 v4, v4, 24, 7
	v_cmp_ne_u32_e32 vcc, s22, v4
	v_mov_b32_e32 v19, 0x7f800001
	s_and_saveexec_b64 s[20:21], vcc
	s_cbranch_execz .LBB466_1082
; %bb.1081:                             ;   in Loop: Header=BB466_796 Depth=1
	v_and_b32_e32 v19, 7, v6
	v_ffbh_u32_e32 v20, v19
	v_min_u32_e32 v23, 32, v20
	v_subrev_u32_e32 v20, 28, v23
	v_lshlrev_b64 v[20:21], v20, v[6:7]
	v_lshrrev_b32_e32 v22, 3, v4
	v_sub_u32_e32 v21, 29, v23
	v_and_b32_e32 v20, 7, v20
	v_cmp_gt_u32_e32 vcc, 8, v4
	v_cndmask_b32_e32 v4, v22, v21, vcc
	v_cndmask_b32_e32 v19, v19, v20, vcc
	v_lshlrev_b32_e32 v6, 24, v6
	v_lshlrev_b32_e32 v19, 20, v19
	v_and_b32_e32 v6, 0x80000000, v6
	v_lshl_add_u32 v4, v4, 23, v10
	v_or3_b32 v19, v6, v4, v19
.LBB466_1082:                           ;   in Loop: Header=BB466_796 Depth=1
	s_or_b64 exec, exec, s[20:21]
.LBB466_1083:                           ;   in Loop: Header=BB466_796 Depth=1
	s_or_b64 exec, exec, s[18:19]
.LBB466_1084:                           ;   in Loop: Header=BB466_796 Depth=1
	s_or_b64 exec, exec, s[16:17]
	buffer_load_dword v6, v11, s[0:3], 0 offen offset:48
	buffer_load_dword v4, v11, s[0:3], 0 offen offset:52
	v_cvt_pkrtz_f16_f32 v14, v14, v15
	v_cvt_pkrtz_f16_f32 v15, v13, v17
	;; [unrolled: 1-line block ×4, first 2 shown]
	v_mfma_f32_4x4x4f16 a[0:3], v[2:3], v[14:15], a[0:3] cbsz:4 abid:10
	s_waitcnt vmcnt(1)
	v_cmp_ne_u16_sdwa s[18:19], v6, v9 src0_sel:BYTE_0 src1_sel:DWORD
	v_mfma_f32_4x4x4f16 a[0:3], v[2:3], v[16:17], a[0:3] cbsz:4 abid:11
	s_and_saveexec_b64 s[16:17], s[18:19]
	s_cbranch_execz .LBB466_1090
; %bb.1085:                             ;   in Loop: Header=BB466_796 Depth=1
	v_cmp_ne_u16_sdwa s[20:21], v6, s5 src0_sel:BYTE_0 src1_sel:DWORD
	v_bfrev_b32_e32 v12, 1
	s_and_saveexec_b64 s[18:19], s[20:21]
	s_cbranch_execz .LBB466_1089
; %bb.1086:                             ;   in Loop: Header=BB466_796 Depth=1
	v_and_b32_e32 v8, 0x7f, v6
	v_cmp_ne_u32_e32 vcc, s22, v8
	v_mov_b32_e32 v12, 0x7f800001
	s_and_saveexec_b64 s[20:21], vcc
	s_cbranch_execz .LBB466_1088
; %bb.1087:                             ;   in Loop: Header=BB466_796 Depth=1
	v_and_b32_e32 v14, 7, v6
	v_ffbh_u32_e32 v12, v14
	v_min_u32_e32 v16, 32, v12
	v_subrev_u32_e32 v12, 28, v16
	v_lshlrev_b64 v[12:13], v12, v[6:7]
	v_lshrrev_b32_e32 v15, 3, v8
	v_sub_u32_e32 v13, 29, v16
	v_and_b32_e32 v12, 7, v12
	v_cmp_gt_u32_e32 vcc, 8, v8
	v_cndmask_b32_e32 v8, v15, v13, vcc
	v_cndmask_b32_e32 v12, v14, v12, vcc
	v_lshlrev_b32_e32 v13, 24, v6
	v_lshlrev_b32_e32 v12, 20, v12
	v_and_b32_e32 v13, 0x80000000, v13
	v_lshl_add_u32 v8, v8, 23, v10
	v_or3_b32 v12, v13, v8, v12
.LBB466_1088:                           ;   in Loop: Header=BB466_796 Depth=1
	s_or_b64 exec, exec, s[20:21]
.LBB466_1089:                           ;   in Loop: Header=BB466_796 Depth=1
	s_or_b64 exec, exec, s[18:19]
.LBB466_1090:                           ;   in Loop: Header=BB466_796 Depth=1
	s_or_b64 exec, exec, s[16:17]
	v_lshrrev_b16_e32 v8, 8, v6
	v_cmp_ne_u16_e32 vcc, 0, v8
	v_mov_b32_e32 v14, 0
	v_mov_b32_e32 v15, 0
	s_and_saveexec_b64 s[16:17], vcc
	s_cbranch_execz .LBB466_1096
; %bb.1091:                             ;   in Loop: Header=BB466_796 Depth=1
	v_cmp_ne_u16_e32 vcc, s5, v8
	v_bfrev_b32_e32 v15, 1
	s_and_saveexec_b64 s[18:19], vcc
	s_cbranch_execz .LBB466_1095
; %bb.1092:                             ;   in Loop: Header=BB466_796 Depth=1
	v_and_b32_e32 v13, 0x7f, v8
	v_cmp_ne_u32_e32 vcc, s22, v13
	v_mov_b32_e32 v15, 0x7f800001
	s_and_saveexec_b64 s[20:21], vcc
	s_cbranch_execz .LBB466_1094
; %bb.1093:                             ;   in Loop: Header=BB466_796 Depth=1
	v_and_b32_e32 v15, 7, v8
	v_ffbh_u32_e32 v16, v15
	v_min_u32_e32 v19, 32, v16
	v_subrev_u32_e32 v16, 28, v19
	v_lshlrev_b64 v[16:17], v16, v[8:9]
	v_lshrrev_b32_e32 v18, 3, v13
	v_sub_u32_e32 v8, 29, v19
	v_and_b32_e32 v16, 7, v16
	v_cmp_gt_u32_e32 vcc, 8, v13
	v_cndmask_b32_e32 v8, v18, v8, vcc
	v_cndmask_b32_e32 v13, v15, v16, vcc
	v_lshlrev_b32_e32 v15, 16, v6
	v_lshlrev_b32_e32 v13, 20, v13
	v_and_b32_e32 v15, 0x80000000, v15
	v_lshl_add_u32 v8, v8, 23, v10
	v_or3_b32 v15, v15, v8, v13
.LBB466_1094:                           ;   in Loop: Header=BB466_796 Depth=1
	s_or_b64 exec, exec, s[20:21]
.LBB466_1095:                           ;   in Loop: Header=BB466_796 Depth=1
	s_or_b64 exec, exec, s[18:19]
.LBB466_1096:                           ;   in Loop: Header=BB466_796 Depth=1
	s_or_b64 exec, exec, s[16:17]
	v_lshrrev_b32_e32 v8, 16, v6
	v_cmp_ne_u16_sdwa s[18:19], v8, v9 src0_sel:BYTE_0 src1_sel:DWORD
	s_and_saveexec_b64 s[16:17], s[18:19]
	s_cbranch_execz .LBB466_1102
; %bb.1097:                             ;   in Loop: Header=BB466_796 Depth=1
	v_cmp_ne_u16_sdwa s[20:21], v8, s5 src0_sel:BYTE_0 src1_sel:DWORD
	v_bfrev_b32_e32 v14, 1
	s_and_saveexec_b64 s[18:19], s[20:21]
	s_cbranch_execz .LBB466_1101
; %bb.1098:                             ;   in Loop: Header=BB466_796 Depth=1
	v_bfe_u32 v13, v6, 16, 7
	v_cmp_ne_u32_e32 vcc, s22, v13
	v_mov_b32_e32 v14, 0x7f800001
	s_and_saveexec_b64 s[20:21], vcc
	s_cbranch_execz .LBB466_1100
; %bb.1099:                             ;   in Loop: Header=BB466_796 Depth=1
	v_and_b32_e32 v14, 7, v8
	v_ffbh_u32_e32 v16, v14
	v_min_u32_e32 v19, 32, v16
	v_subrev_u32_e32 v16, 28, v19
	v_lshlrev_b64 v[16:17], v16, v[8:9]
	v_lshrrev_b32_e32 v18, 3, v13
	v_sub_u32_e32 v17, 29, v19
	v_and_b32_e32 v16, 7, v16
	v_cmp_gt_u32_e32 vcc, 8, v13
	v_cndmask_b32_e32 v13, v18, v17, vcc
	v_cndmask_b32_e32 v14, v14, v16, vcc
	v_lshlrev_b32_e32 v8, 24, v8
	v_lshlrev_b32_e32 v14, 20, v14
	v_and_b32_e32 v8, 0x80000000, v8
	v_lshl_add_u32 v13, v13, 23, v10
	v_or3_b32 v14, v8, v13, v14
.LBB466_1100:                           ;   in Loop: Header=BB466_796 Depth=1
	s_or_b64 exec, exec, s[20:21]
.LBB466_1101:                           ;   in Loop: Header=BB466_796 Depth=1
	s_or_b64 exec, exec, s[18:19]
.LBB466_1102:                           ;   in Loop: Header=BB466_796 Depth=1
	s_or_b64 exec, exec, s[16:17]
	v_cmp_lt_u32_e32 vcc, s23, v6
	v_mov_b32_e32 v16, 0
	v_mov_b32_e32 v17, 0
	s_and_saveexec_b64 s[16:17], vcc
	s_cbranch_execz .LBB466_1108
; %bb.1103:                             ;   in Loop: Header=BB466_796 Depth=1
	v_lshrrev_b32_e32 v8, 24, v6
	v_cmp_ne_u32_e32 vcc, s5, v8
	v_bfrev_b32_e32 v17, 1
	s_and_saveexec_b64 s[18:19], vcc
	s_cbranch_execz .LBB466_1107
; %bb.1104:                             ;   in Loop: Header=BB466_796 Depth=1
	v_bfe_u32 v6, v6, 24, 7
	v_cmp_ne_u32_e32 vcc, s22, v6
	v_mov_b32_e32 v17, 0x7f800001
	s_and_saveexec_b64 s[20:21], vcc
	s_cbranch_execz .LBB466_1106
; %bb.1105:                             ;   in Loop: Header=BB466_796 Depth=1
	v_and_b32_e32 v13, 7, v8
	v_ffbh_u32_e32 v18, v13
	v_min_u32_e32 v20, 32, v18
	v_subrev_u32_e32 v18, 28, v20
	v_lshlrev_b64 v[18:19], v18, v[8:9]
	v_lshrrev_b32_e32 v17, 3, v6
	v_sub_u32_e32 v19, 29, v20
	v_and_b32_e32 v18, 7, v18
	v_cmp_gt_u32_e32 vcc, 8, v6
	v_cndmask_b32_e32 v6, v17, v19, vcc
	v_cndmask_b32_e32 v13, v13, v18, vcc
	v_lshlrev_b32_e32 v8, 24, v8
	v_lshlrev_b32_e32 v13, 20, v13
	v_and_b32_e32 v8, 0x80000000, v8
	v_lshl_add_u32 v6, v6, 23, v10
	v_or3_b32 v17, v8, v6, v13
.LBB466_1106:                           ;   in Loop: Header=BB466_796 Depth=1
	s_or_b64 exec, exec, s[20:21]
.LBB466_1107:                           ;   in Loop: Header=BB466_796 Depth=1
	s_or_b64 exec, exec, s[18:19]
.LBB466_1108:                           ;   in Loop: Header=BB466_796 Depth=1
	s_or_b64 exec, exec, s[16:17]
	s_waitcnt vmcnt(0)
	v_cmp_ne_u16_sdwa s[18:19], v4, v9 src0_sel:BYTE_0 src1_sel:DWORD
	s_and_saveexec_b64 s[16:17], s[18:19]
	s_cbranch_execz .LBB466_1114
; %bb.1109:                             ;   in Loop: Header=BB466_796 Depth=1
	v_cmp_ne_u16_sdwa s[20:21], v4, s5 src0_sel:BYTE_0 src1_sel:DWORD
	v_bfrev_b32_e32 v16, 1
	s_and_saveexec_b64 s[18:19], s[20:21]
	s_cbranch_execz .LBB466_1113
; %bb.1110:                             ;   in Loop: Header=BB466_796 Depth=1
	v_and_b32_e32 v6, 0x7f, v4
	v_cmp_ne_u32_e32 vcc, s22, v6
	v_mov_b32_e32 v16, 0x7f800001
	s_and_saveexec_b64 s[20:21], vcc
	s_cbranch_execz .LBB466_1112
; %bb.1111:                             ;   in Loop: Header=BB466_796 Depth=1
	v_and_b32_e32 v8, 7, v4
	v_ffbh_u32_e32 v16, v8
	v_min_u32_e32 v16, 32, v16
	v_subrev_u32_e32 v18, 28, v16
	v_lshlrev_b64 v[18:19], v18, v[4:5]
	v_lshrrev_b32_e32 v13, 3, v6
	v_sub_u32_e32 v16, 29, v16
	v_and_b32_e32 v18, 7, v18
	v_cmp_gt_u32_e32 vcc, 8, v6
	v_cndmask_b32_e32 v6, v13, v16, vcc
	v_cndmask_b32_e32 v8, v8, v18, vcc
	v_lshlrev_b32_e32 v13, 24, v4
	v_lshlrev_b32_e32 v8, 20, v8
	v_and_b32_e32 v13, 0x80000000, v13
	v_lshl_add_u32 v6, v6, 23, v10
	v_or3_b32 v16, v13, v6, v8
.LBB466_1112:                           ;   in Loop: Header=BB466_796 Depth=1
	s_or_b64 exec, exec, s[20:21]
.LBB466_1113:                           ;   in Loop: Header=BB466_796 Depth=1
	s_or_b64 exec, exec, s[18:19]
.LBB466_1114:                           ;   in Loop: Header=BB466_796 Depth=1
	s_or_b64 exec, exec, s[16:17]
	v_lshrrev_b16_e32 v6, 8, v4
	v_cmp_ne_u16_e32 vcc, 0, v6
	v_mov_b32_e32 v8, 0
	v_mov_b32_e32 v18, 0
	s_and_saveexec_b64 s[16:17], vcc
	s_cbranch_execz .LBB466_1120
; %bb.1115:                             ;   in Loop: Header=BB466_796 Depth=1
	v_cmp_ne_u16_e32 vcc, s5, v6
	v_bfrev_b32_e32 v18, 1
	s_and_saveexec_b64 s[18:19], vcc
	s_cbranch_execz .LBB466_1119
; %bb.1116:                             ;   in Loop: Header=BB466_796 Depth=1
	v_and_b32_e32 v13, 0x7f, v6
	v_cmp_ne_u32_e32 vcc, s22, v13
	v_mov_b32_e32 v18, 0x7f800001
	s_and_saveexec_b64 s[20:21], vcc
	s_cbranch_execz .LBB466_1118
; %bb.1117:                             ;   in Loop: Header=BB466_796 Depth=1
	v_and_b32_e32 v20, 7, v6
	v_ffbh_u32_e32 v18, v20
	v_min_u32_e32 v22, 32, v18
	v_subrev_u32_e32 v18, 28, v22
	v_lshlrev_b64 v[18:19], v18, v[6:7]
	v_lshrrev_b32_e32 v21, 3, v13
	v_sub_u32_e32 v6, 29, v22
	v_and_b32_e32 v18, 7, v18
	v_cmp_gt_u32_e32 vcc, 8, v13
	v_cndmask_b32_e32 v6, v21, v6, vcc
	v_cndmask_b32_e32 v13, v20, v18, vcc
	v_lshlrev_b32_e32 v18, 16, v4
	v_lshlrev_b32_e32 v13, 20, v13
	v_and_b32_e32 v18, 0x80000000, v18
	v_lshl_add_u32 v6, v6, 23, v10
	v_or3_b32 v18, v18, v6, v13
.LBB466_1118:                           ;   in Loop: Header=BB466_796 Depth=1
	s_or_b64 exec, exec, s[20:21]
.LBB466_1119:                           ;   in Loop: Header=BB466_796 Depth=1
	s_or_b64 exec, exec, s[18:19]
.LBB466_1120:                           ;   in Loop: Header=BB466_796 Depth=1
	s_or_b64 exec, exec, s[16:17]
	v_lshrrev_b32_e32 v6, 16, v4
	v_cmp_ne_u16_sdwa s[18:19], v6, v9 src0_sel:BYTE_0 src1_sel:DWORD
	s_and_saveexec_b64 s[16:17], s[18:19]
	s_cbranch_execz .LBB466_1126
; %bb.1121:                             ;   in Loop: Header=BB466_796 Depth=1
	v_cmp_ne_u16_sdwa s[20:21], v6, s5 src0_sel:BYTE_0 src1_sel:DWORD
	v_bfrev_b32_e32 v8, 1
	s_and_saveexec_b64 s[18:19], s[20:21]
	s_cbranch_execz .LBB466_1125
; %bb.1122:                             ;   in Loop: Header=BB466_796 Depth=1
	v_bfe_u32 v13, v4, 16, 7
	v_cmp_ne_u32_e32 vcc, s22, v13
	v_mov_b32_e32 v8, 0x7f800001
	s_and_saveexec_b64 s[20:21], vcc
	s_cbranch_execz .LBB466_1124
; %bb.1123:                             ;   in Loop: Header=BB466_796 Depth=1
	v_and_b32_e32 v8, 7, v6
	v_ffbh_u32_e32 v20, v8
	v_min_u32_e32 v22, 32, v20
	v_subrev_u32_e32 v20, 28, v22
	v_lshlrev_b64 v[20:21], v20, v[6:7]
	v_lshrrev_b32_e32 v19, 3, v13
	v_sub_u32_e32 v21, 29, v22
	v_and_b32_e32 v20, 7, v20
	v_cmp_gt_u32_e32 vcc, 8, v13
	v_cndmask_b32_e32 v13, v19, v21, vcc
	v_cndmask_b32_e32 v8, v8, v20, vcc
	v_lshlrev_b32_e32 v6, 24, v6
	v_lshlrev_b32_e32 v8, 20, v8
	v_and_b32_e32 v6, 0x80000000, v6
	v_lshl_add_u32 v13, v13, 23, v10
	v_or3_b32 v8, v6, v13, v8
.LBB466_1124:                           ;   in Loop: Header=BB466_796 Depth=1
	s_or_b64 exec, exec, s[20:21]
.LBB466_1125:                           ;   in Loop: Header=BB466_796 Depth=1
	s_or_b64 exec, exec, s[18:19]
.LBB466_1126:                           ;   in Loop: Header=BB466_796 Depth=1
	s_or_b64 exec, exec, s[16:17]
	v_cmp_lt_u32_e32 vcc, s23, v4
	v_mov_b32_e32 v13, 0
	v_mov_b32_e32 v19, 0
	s_and_saveexec_b64 s[16:17], vcc
	s_cbranch_execz .LBB466_1132
; %bb.1127:                             ;   in Loop: Header=BB466_796 Depth=1
	v_lshrrev_b32_e32 v6, 24, v4
	v_cmp_ne_u32_e32 vcc, s5, v6
	v_bfrev_b32_e32 v19, 1
	s_and_saveexec_b64 s[18:19], vcc
	s_cbranch_execz .LBB466_1131
; %bb.1128:                             ;   in Loop: Header=BB466_796 Depth=1
	v_bfe_u32 v4, v4, 24, 7
	v_cmp_ne_u32_e32 vcc, s22, v4
	v_mov_b32_e32 v19, 0x7f800001
	s_and_saveexec_b64 s[20:21], vcc
	s_cbranch_execz .LBB466_1130
; %bb.1129:                             ;   in Loop: Header=BB466_796 Depth=1
	v_and_b32_e32 v19, 7, v6
	v_ffbh_u32_e32 v20, v19
	v_min_u32_e32 v23, 32, v20
	v_subrev_u32_e32 v20, 28, v23
	v_lshlrev_b64 v[20:21], v20, v[6:7]
	v_lshrrev_b32_e32 v22, 3, v4
	v_sub_u32_e32 v21, 29, v23
	v_and_b32_e32 v20, 7, v20
	v_cmp_gt_u32_e32 vcc, 8, v4
	v_cndmask_b32_e32 v4, v22, v21, vcc
	v_cndmask_b32_e32 v19, v19, v20, vcc
	v_lshlrev_b32_e32 v6, 24, v6
	v_lshlrev_b32_e32 v19, 20, v19
	v_and_b32_e32 v6, 0x80000000, v6
	v_lshl_add_u32 v4, v4, 23, v10
	v_or3_b32 v19, v6, v4, v19
.LBB466_1130:                           ;   in Loop: Header=BB466_796 Depth=1
	s_or_b64 exec, exec, s[20:21]
.LBB466_1131:                           ;   in Loop: Header=BB466_796 Depth=1
	s_or_b64 exec, exec, s[18:19]
.LBB466_1132:                           ;   in Loop: Header=BB466_796 Depth=1
	s_or_b64 exec, exec, s[16:17]
	buffer_load_dword v6, v11, s[0:3], 0 offen offset:56
	buffer_load_dword v4, v11, s[0:3], 0 offen offset:60
	v_cvt_pkrtz_f16_f32 v20, v12, v15
	v_cvt_pkrtz_f16_f32 v21, v14, v17
	;; [unrolled: 1-line block ×4, first 2 shown]
	v_mfma_f32_4x4x4f16 a[0:3], v[2:3], v[20:21], a[0:3] cbsz:4 abid:12
	s_waitcnt vmcnt(1)
	v_cmp_ne_u16_sdwa s[18:19], v6, v9 src0_sel:BYTE_0 src1_sel:DWORD
	v_mfma_f32_4x4x4f16 a[0:3], v[2:3], v[14:15], a[0:3] cbsz:4 abid:13
	s_and_saveexec_b64 s[16:17], s[18:19]
	s_cbranch_execz .LBB466_1138
; %bb.1133:                             ;   in Loop: Header=BB466_796 Depth=1
	v_cmp_ne_u16_sdwa s[20:21], v6, s5 src0_sel:BYTE_0 src1_sel:DWORD
	v_bfrev_b32_e32 v13, 1
	s_and_saveexec_b64 s[18:19], s[20:21]
	s_cbranch_execz .LBB466_1137
; %bb.1134:                             ;   in Loop: Header=BB466_796 Depth=1
	v_and_b32_e32 v8, 0x7f, v6
	v_cmp_ne_u32_e32 vcc, s22, v8
	v_mov_b32_e32 v13, 0x7f800001
	s_and_saveexec_b64 s[20:21], vcc
	s_cbranch_execz .LBB466_1136
; %bb.1135:                             ;   in Loop: Header=BB466_796 Depth=1
	v_and_b32_e32 v11, 7, v6
	v_ffbh_u32_e32 v12, v11
	v_min_u32_e32 v15, 32, v12
	v_subrev_u32_e32 v12, 28, v15
	v_lshlrev_b64 v[12:13], v12, v[6:7]
	v_lshrrev_b32_e32 v14, 3, v8
	v_sub_u32_e32 v13, 29, v15
	v_and_b32_e32 v12, 7, v12
	v_cmp_gt_u32_e32 vcc, 8, v8
	v_cndmask_b32_e32 v8, v14, v13, vcc
	v_cndmask_b32_e32 v11, v11, v12, vcc
	v_lshlrev_b32_e32 v12, 24, v6
	v_lshlrev_b32_e32 v11, 20, v11
	v_and_b32_e32 v12, 0x80000000, v12
	v_lshl_add_u32 v8, v8, 23, v10
	v_or3_b32 v13, v12, v8, v11
.LBB466_1136:                           ;   in Loop: Header=BB466_796 Depth=1
	s_or_b64 exec, exec, s[20:21]
.LBB466_1137:                           ;   in Loop: Header=BB466_796 Depth=1
	s_or_b64 exec, exec, s[18:19]
.LBB466_1138:                           ;   in Loop: Header=BB466_796 Depth=1
	s_or_b64 exec, exec, s[16:17]
	v_lshrrev_b16_e32 v8, 8, v6
	v_cmp_ne_u16_e32 vcc, 0, v8
	v_mov_b32_e32 v11, 0
	v_mov_b32_e32 v12, 0
	s_and_saveexec_b64 s[16:17], vcc
	s_cbranch_execz .LBB466_1144
; %bb.1139:                             ;   in Loop: Header=BB466_796 Depth=1
	v_cmp_ne_u16_e32 vcc, s5, v8
	v_bfrev_b32_e32 v12, 1
	s_and_saveexec_b64 s[18:19], vcc
	s_cbranch_execz .LBB466_1143
; %bb.1140:                             ;   in Loop: Header=BB466_796 Depth=1
	v_and_b32_e32 v14, 0x7f, v8
	v_cmp_ne_u32_e32 vcc, s22, v14
	v_mov_b32_e32 v12, 0x7f800001
	s_and_saveexec_b64 s[20:21], vcc
	s_cbranch_execz .LBB466_1142
; %bb.1141:                             ;   in Loop: Header=BB466_796 Depth=1
	v_and_b32_e32 v12, 7, v8
	v_ffbh_u32_e32 v16, v12
	v_min_u32_e32 v18, 32, v16
	v_subrev_u32_e32 v16, 28, v18
	v_lshlrev_b64 v[16:17], v16, v[8:9]
	v_lshrrev_b32_e32 v15, 3, v14
	v_sub_u32_e32 v8, 29, v18
	v_and_b32_e32 v16, 7, v16
	v_cmp_gt_u32_e32 vcc, 8, v14
	v_cndmask_b32_e32 v8, v15, v8, vcc
	v_cndmask_b32_e32 v12, v12, v16, vcc
	v_lshlrev_b32_e32 v14, 16, v6
	v_lshlrev_b32_e32 v12, 20, v12
	v_and_b32_e32 v14, 0x80000000, v14
	v_lshl_add_u32 v8, v8, 23, v10
	v_or3_b32 v12, v14, v8, v12
.LBB466_1142:                           ;   in Loop: Header=BB466_796 Depth=1
	s_or_b64 exec, exec, s[20:21]
.LBB466_1143:                           ;   in Loop: Header=BB466_796 Depth=1
	s_or_b64 exec, exec, s[18:19]
.LBB466_1144:                           ;   in Loop: Header=BB466_796 Depth=1
	s_or_b64 exec, exec, s[16:17]
	v_lshrrev_b32_e32 v8, 16, v6
	v_cmp_ne_u16_sdwa s[18:19], v8, v9 src0_sel:BYTE_0 src1_sel:DWORD
	s_and_saveexec_b64 s[16:17], s[18:19]
	s_cbranch_execz .LBB466_1150
; %bb.1145:                             ;   in Loop: Header=BB466_796 Depth=1
	v_cmp_ne_u16_sdwa s[20:21], v8, s5 src0_sel:BYTE_0 src1_sel:DWORD
	v_bfrev_b32_e32 v11, 1
	s_and_saveexec_b64 s[18:19], s[20:21]
	s_cbranch_execz .LBB466_1149
; %bb.1146:                             ;   in Loop: Header=BB466_796 Depth=1
	v_bfe_u32 v14, v6, 16, 7
	v_cmp_ne_u32_e32 vcc, s22, v14
	v_mov_b32_e32 v11, 0x7f800001
	s_and_saveexec_b64 s[20:21], vcc
	s_cbranch_execz .LBB466_1148
; %bb.1147:                             ;   in Loop: Header=BB466_796 Depth=1
	v_and_b32_e32 v11, 7, v8
	v_ffbh_u32_e32 v16, v11
	v_min_u32_e32 v18, 32, v16
	v_subrev_u32_e32 v16, 28, v18
	v_lshlrev_b64 v[16:17], v16, v[8:9]
	v_lshrrev_b32_e32 v15, 3, v14
	v_sub_u32_e32 v17, 29, v18
	v_and_b32_e32 v16, 7, v16
	v_cmp_gt_u32_e32 vcc, 8, v14
	v_cndmask_b32_e32 v14, v15, v17, vcc
	v_cndmask_b32_e32 v11, v11, v16, vcc
	v_lshlrev_b32_e32 v8, 24, v8
	v_lshlrev_b32_e32 v11, 20, v11
	v_and_b32_e32 v8, 0x80000000, v8
	v_lshl_add_u32 v14, v14, 23, v10
	v_or3_b32 v11, v8, v14, v11
.LBB466_1148:                           ;   in Loop: Header=BB466_796 Depth=1
	s_or_b64 exec, exec, s[20:21]
.LBB466_1149:                           ;   in Loop: Header=BB466_796 Depth=1
	s_or_b64 exec, exec, s[18:19]
.LBB466_1150:                           ;   in Loop: Header=BB466_796 Depth=1
	s_or_b64 exec, exec, s[16:17]
	v_cmp_lt_u32_e32 vcc, s23, v6
	v_mov_b32_e32 v14, 0
	v_mov_b32_e32 v15, 0
	s_and_saveexec_b64 s[16:17], vcc
	s_cbranch_execz .LBB466_1156
; %bb.1151:                             ;   in Loop: Header=BB466_796 Depth=1
	v_lshrrev_b32_e32 v8, 24, v6
	v_cmp_ne_u32_e32 vcc, s5, v8
	v_bfrev_b32_e32 v15, 1
	s_and_saveexec_b64 s[18:19], vcc
	s_cbranch_execz .LBB466_1155
; %bb.1152:                             ;   in Loop: Header=BB466_796 Depth=1
	v_bfe_u32 v6, v6, 24, 7
	v_cmp_ne_u32_e32 vcc, s22, v6
	v_mov_b32_e32 v15, 0x7f800001
	s_and_saveexec_b64 s[20:21], vcc
	s_cbranch_execz .LBB466_1154
; %bb.1153:                             ;   in Loop: Header=BB466_796 Depth=1
	v_and_b32_e32 v15, 7, v8
	v_ffbh_u32_e32 v16, v15
	v_min_u32_e32 v19, 32, v16
	v_subrev_u32_e32 v16, 28, v19
	v_lshlrev_b64 v[16:17], v16, v[8:9]
	v_lshrrev_b32_e32 v18, 3, v6
	v_sub_u32_e32 v17, 29, v19
	v_and_b32_e32 v16, 7, v16
	v_cmp_gt_u32_e32 vcc, 8, v6
	v_cndmask_b32_e32 v6, v18, v17, vcc
	v_cndmask_b32_e32 v15, v15, v16, vcc
	v_lshlrev_b32_e32 v8, 24, v8
	v_lshlrev_b32_e32 v15, 20, v15
	v_and_b32_e32 v8, 0x80000000, v8
	v_lshl_add_u32 v6, v6, 23, v10
	v_or3_b32 v15, v8, v6, v15
.LBB466_1154:                           ;   in Loop: Header=BB466_796 Depth=1
	s_or_b64 exec, exec, s[20:21]
.LBB466_1155:                           ;   in Loop: Header=BB466_796 Depth=1
	s_or_b64 exec, exec, s[18:19]
.LBB466_1156:                           ;   in Loop: Header=BB466_796 Depth=1
	s_or_b64 exec, exec, s[16:17]
	s_waitcnt vmcnt(0)
	v_cmp_ne_u16_sdwa s[18:19], v4, v9 src0_sel:BYTE_0 src1_sel:DWORD
	s_and_saveexec_b64 s[16:17], s[18:19]
	s_cbranch_execz .LBB466_1162
; %bb.1157:                             ;   in Loop: Header=BB466_796 Depth=1
	v_cmp_ne_u16_sdwa s[20:21], v4, s5 src0_sel:BYTE_0 src1_sel:DWORD
	v_bfrev_b32_e32 v14, 1
	s_and_saveexec_b64 s[18:19], s[20:21]
	s_cbranch_execz .LBB466_1161
; %bb.1158:                             ;   in Loop: Header=BB466_796 Depth=1
	v_and_b32_e32 v6, 0x7f, v4
	v_cmp_ne_u32_e32 vcc, s22, v6
	v_mov_b32_e32 v14, 0x7f800001
	s_and_saveexec_b64 s[20:21], vcc
	s_cbranch_execz .LBB466_1160
; %bb.1159:                             ;   in Loop: Header=BB466_796 Depth=1
	v_and_b32_e32 v8, 7, v4
	v_ffbh_u32_e32 v16, v8
	v_min_u32_e32 v18, 32, v16
	v_subrev_u32_e32 v16, 28, v18
	v_lshlrev_b64 v[16:17], v16, v[4:5]
	v_lshrrev_b32_e32 v14, 3, v6
	v_sub_u32_e32 v17, 29, v18
	v_and_b32_e32 v16, 7, v16
	v_cmp_gt_u32_e32 vcc, 8, v6
	v_cndmask_b32_e32 v6, v14, v17, vcc
	v_cndmask_b32_e32 v8, v8, v16, vcc
	v_lshlrev_b32_e32 v14, 24, v4
	v_lshlrev_b32_e32 v8, 20, v8
	v_and_b32_e32 v14, 0x80000000, v14
	v_lshl_add_u32 v6, v6, 23, v10
	v_or3_b32 v14, v14, v6, v8
.LBB466_1160:                           ;   in Loop: Header=BB466_796 Depth=1
	s_or_b64 exec, exec, s[20:21]
.LBB466_1161:                           ;   in Loop: Header=BB466_796 Depth=1
	s_or_b64 exec, exec, s[18:19]
.LBB466_1162:                           ;   in Loop: Header=BB466_796 Depth=1
	s_or_b64 exec, exec, s[16:17]
	v_lshrrev_b16_e32 v6, 8, v4
	v_cmp_ne_u16_e32 vcc, 0, v6
	v_mov_b32_e32 v8, 0
	v_mov_b32_e32 v16, 0
	s_and_saveexec_b64 s[16:17], vcc
	s_cbranch_execz .LBB466_1168
; %bb.1163:                             ;   in Loop: Header=BB466_796 Depth=1
	v_cmp_ne_u16_e32 vcc, s5, v6
	v_bfrev_b32_e32 v16, 1
	s_and_saveexec_b64 s[18:19], vcc
	s_cbranch_execz .LBB466_1167
; %bb.1164:                             ;   in Loop: Header=BB466_796 Depth=1
	v_and_b32_e32 v17, 0x7f, v6
	v_cmp_ne_u32_e32 vcc, s22, v17
	v_mov_b32_e32 v16, 0x7f800001
	s_and_saveexec_b64 s[20:21], vcc
	s_cbranch_execz .LBB466_1166
; %bb.1165:                             ;   in Loop: Header=BB466_796 Depth=1
	v_and_b32_e32 v16, 7, v6
	v_ffbh_u32_e32 v18, v16
	v_min_u32_e32 v21, 32, v18
	v_subrev_u32_e32 v18, 28, v21
	v_lshlrev_b64 v[18:19], v18, v[6:7]
	v_lshrrev_b32_e32 v20, 3, v17
	v_sub_u32_e32 v6, 29, v21
	v_and_b32_e32 v18, 7, v18
	v_cmp_gt_u32_e32 vcc, 8, v17
	v_cndmask_b32_e32 v6, v20, v6, vcc
	v_cndmask_b32_e32 v16, v16, v18, vcc
	v_lshlrev_b32_e32 v17, 16, v4
	v_lshlrev_b32_e32 v16, 20, v16
	v_and_b32_e32 v17, 0x80000000, v17
	v_lshl_add_u32 v6, v6, 23, v10
	v_or3_b32 v16, v17, v6, v16
.LBB466_1166:                           ;   in Loop: Header=BB466_796 Depth=1
	s_or_b64 exec, exec, s[20:21]
.LBB466_1167:                           ;   in Loop: Header=BB466_796 Depth=1
	s_or_b64 exec, exec, s[18:19]
.LBB466_1168:                           ;   in Loop: Header=BB466_796 Depth=1
	s_or_b64 exec, exec, s[16:17]
	v_lshrrev_b32_e32 v6, 16, v4
	v_cmp_ne_u16_sdwa s[18:19], v6, v9 src0_sel:BYTE_0 src1_sel:DWORD
	s_and_saveexec_b64 s[16:17], s[18:19]
	s_cbranch_execz .LBB466_1174
; %bb.1169:                             ;   in Loop: Header=BB466_796 Depth=1
	v_cmp_ne_u16_sdwa s[20:21], v6, s5 src0_sel:BYTE_0 src1_sel:DWORD
	v_bfrev_b32_e32 v8, 1
	s_and_saveexec_b64 s[18:19], s[20:21]
	s_cbranch_execz .LBB466_1173
; %bb.1170:                             ;   in Loop: Header=BB466_796 Depth=1
	v_bfe_u32 v17, v4, 16, 7
	v_cmp_ne_u32_e32 vcc, s22, v17
	v_mov_b32_e32 v8, 0x7f800001
	s_and_saveexec_b64 s[20:21], vcc
	s_cbranch_execz .LBB466_1172
; %bb.1171:                             ;   in Loop: Header=BB466_796 Depth=1
	v_and_b32_e32 v8, 7, v6
	v_ffbh_u32_e32 v18, v8
	v_min_u32_e32 v21, 32, v18
	v_subrev_u32_e32 v18, 28, v21
	v_lshlrev_b64 v[18:19], v18, v[6:7]
	v_lshrrev_b32_e32 v20, 3, v17
	v_sub_u32_e32 v19, 29, v21
	v_and_b32_e32 v18, 7, v18
	v_cmp_gt_u32_e32 vcc, 8, v17
	v_cndmask_b32_e32 v17, v20, v19, vcc
	v_cndmask_b32_e32 v8, v8, v18, vcc
	v_lshlrev_b32_e32 v6, 24, v6
	v_lshlrev_b32_e32 v8, 20, v8
	v_and_b32_e32 v6, 0x80000000, v6
	v_lshl_add_u32 v17, v17, 23, v10
	v_or3_b32 v8, v6, v17, v8
.LBB466_1172:                           ;   in Loop: Header=BB466_796 Depth=1
	s_or_b64 exec, exec, s[20:21]
.LBB466_1173:                           ;   in Loop: Header=BB466_796 Depth=1
	s_or_b64 exec, exec, s[18:19]
.LBB466_1174:                           ;   in Loop: Header=BB466_796 Depth=1
	s_or_b64 exec, exec, s[16:17]
	v_cmp_lt_u32_e32 vcc, s23, v4
	v_mov_b32_e32 v17, 0
	s_and_saveexec_b64 s[16:17], vcc
	s_cbranch_execz .LBB466_795
; %bb.1175:                             ;   in Loop: Header=BB466_796 Depth=1
	v_lshrrev_b32_e32 v6, 24, v4
	v_cmp_ne_u32_e32 vcc, s5, v6
	v_bfrev_b32_e32 v17, 1
	s_and_saveexec_b64 s[18:19], vcc
	s_cbranch_execz .LBB466_794
; %bb.1176:                             ;   in Loop: Header=BB466_796 Depth=1
	v_bfe_u32 v4, v4, 24, 7
	v_cmp_ne_u32_e32 vcc, s22, v4
	v_mov_b32_e32 v17, 0x7f800001
	s_and_saveexec_b64 s[20:21], vcc
	s_cbranch_execz .LBB466_793
; %bb.1177:                             ;   in Loop: Header=BB466_796 Depth=1
	v_and_b32_e32 v17, 7, v6
	v_ffbh_u32_e32 v18, v17
	v_min_u32_e32 v21, 32, v18
	v_subrev_u32_e32 v18, 28, v21
	v_lshlrev_b64 v[18:19], v18, v[6:7]
	v_lshrrev_b32_e32 v20, 3, v4
	v_sub_u32_e32 v19, 29, v21
	v_and_b32_e32 v18, 7, v18
	v_cmp_gt_u32_e32 vcc, 8, v4
	v_cndmask_b32_e32 v4, v20, v19, vcc
	v_cndmask_b32_e32 v17, v17, v18, vcc
	v_lshlrev_b32_e32 v6, 24, v6
	v_lshlrev_b32_e32 v17, 20, v17
	v_and_b32_e32 v6, 0x80000000, v6
	v_lshl_add_u32 v4, v4, 23, v10
	v_or3_b32 v17, v6, v4, v17
	s_branch .LBB466_793
.LBB466_1178:
	s_or_b64 exec, exec, s[6:7]
	v_cmp_gt_u32_e32 vcc, 64, v0
	s_waitcnt lgkmcnt(0)
	s_barrier
	s_and_saveexec_b64 s[6:7], vcc
	s_cbranch_execz .LBB466_1180
; %bb.1179:
	v_mov_b32_e32 v2, 0xa00
	v_mad_u32_u24 v2, v1, 40, v2
	v_mov_b32_e32 v6, 0xa10
	ds_read2_b64 v[2:5], v2 offset1:1
	s_waitcnt lgkmcnt(0)
	v_mad_u32_u24 v3, v1, 40, v6
	ds_read2_b64 v[6:9], v3 offset1:1
	s_mov_b32 s5, 0
	s_lshl_b32 s4, s4, 7
	s_lshl_b64 s[6:7], s[4:5], 1
	s_add_u32 s6, s30, s6
	v_mul_u32_u24_e32 v5, 40, v1
	v_pk_add_f16 v1, v2, 0
	s_addc_u32 s7, s31, s7
	s_lshl_b32 s4, s28, 7
	v_pk_add_f16 v1, v1, v4
	s_lshl_b64 s[4:5], s[4:5], 1
	s_waitcnt lgkmcnt(0)
	v_pk_add_f16 v1, v1, v6
	s_add_u32 s4, s6, s4
	s_mul_i32 s6, s10, s33
	v_pk_add_f16 v10, v1, v8
	v_lshl_or_b32 v0, s6, 7, v0
	v_mov_b32_e32 v1, 0
	v_lshlrev_b64 v[8:9], 1, v[0:1]
	ds_read2_b64 v[0:3], v5 offset1:1
	ds_read2_b64 v[4:7], v5 offset0:2 offset1:3
	s_addc_u32 s5, s7, s5
	v_mov_b32_e32 v11, s5
	v_add_co_u32_e32 v8, vcc, s4, v8
	s_waitcnt lgkmcnt(1)
	v_pk_add_f16 v0, v0, 0
	v_pk_add_f16 v0, v0, v2
	s_waitcnt lgkmcnt(0)
	v_pk_add_f16 v0, v0, v4
	v_addc_co_u32_e32 v9, vcc, v11, v9, vcc
	v_pk_add_f16 v0, v0, v6
	global_store_short v[8:9], v0, off
	global_store_short v[8:9], v10, off offset:128
.LBB466_1180:
	s_endpgm
	.section	.rodata,"a",@progbits
	.p2align	6, 0x0
	.amdhsa_kernel _Z38paged_attention_ll4mi_QKV_mfma4_kernelIDF16_hLN4vllm18Fp8KVCacheDataTypeE1EDF16_Li16ELi128ELi256ELb1ELi1EEvPKT_PKT0_S7_ifPKiS9_S9_iPKfiiiPfSC_PS2_PT2_iSB_SB_
		.amdhsa_group_segment_fixed_size 5280
		.amdhsa_private_segment_fixed_size 144
		.amdhsa_kernarg_size 400
		.amdhsa_user_sgpr_count 8
		.amdhsa_user_sgpr_private_segment_buffer 1
		.amdhsa_user_sgpr_dispatch_ptr 0
		.amdhsa_user_sgpr_queue_ptr 0
		.amdhsa_user_sgpr_kernarg_segment_ptr 1
		.amdhsa_user_sgpr_dispatch_id 0
		.amdhsa_user_sgpr_flat_scratch_init 1
		.amdhsa_user_sgpr_kernarg_preload_length 0
		.amdhsa_user_sgpr_kernarg_preload_offset 0
		.amdhsa_user_sgpr_private_segment_size 0
		.amdhsa_uses_dynamic_stack 0
		.amdhsa_system_sgpr_private_segment_wavefront_offset 1
		.amdhsa_system_sgpr_workgroup_id_x 1
		.amdhsa_system_sgpr_workgroup_id_y 1
		.amdhsa_system_sgpr_workgroup_id_z 1
		.amdhsa_system_sgpr_workgroup_info 0
		.amdhsa_system_vgpr_workitem_id 0
		.amdhsa_next_free_vgpr 84
		.amdhsa_next_free_sgpr 46
		.amdhsa_accum_offset 80
		.amdhsa_reserve_vcc 1
		.amdhsa_reserve_flat_scratch 0
		.amdhsa_float_round_mode_32 0
		.amdhsa_float_round_mode_16_64 0
		.amdhsa_float_denorm_mode_32 3
		.amdhsa_float_denorm_mode_16_64 3
		.amdhsa_dx10_clamp 1
		.amdhsa_ieee_mode 1
		.amdhsa_fp16_overflow 0
		.amdhsa_tg_split 0
		.amdhsa_exception_fp_ieee_invalid_op 0
		.amdhsa_exception_fp_denorm_src 0
		.amdhsa_exception_fp_ieee_div_zero 0
		.amdhsa_exception_fp_ieee_overflow 0
		.amdhsa_exception_fp_ieee_underflow 0
		.amdhsa_exception_fp_ieee_inexact 0
		.amdhsa_exception_int_div_zero 0
	.end_amdhsa_kernel
	.section	.text._Z38paged_attention_ll4mi_QKV_mfma4_kernelIDF16_hLN4vllm18Fp8KVCacheDataTypeE1EDF16_Li16ELi128ELi256ELb1ELi1EEvPKT_PKT0_S7_ifPKiS9_S9_iPKfiiiPfSC_PS2_PT2_iSB_SB_,"axG",@progbits,_Z38paged_attention_ll4mi_QKV_mfma4_kernelIDF16_hLN4vllm18Fp8KVCacheDataTypeE1EDF16_Li16ELi128ELi256ELb1ELi1EEvPKT_PKT0_S7_ifPKiS9_S9_iPKfiiiPfSC_PS2_PT2_iSB_SB_,comdat
.Lfunc_end466:
	.size	_Z38paged_attention_ll4mi_QKV_mfma4_kernelIDF16_hLN4vllm18Fp8KVCacheDataTypeE1EDF16_Li16ELi128ELi256ELb1ELi1EEvPKT_PKT0_S7_ifPKiS9_S9_iPKfiiiPfSC_PS2_PT2_iSB_SB_, .Lfunc_end466-_Z38paged_attention_ll4mi_QKV_mfma4_kernelIDF16_hLN4vllm18Fp8KVCacheDataTypeE1EDF16_Li16ELi128ELi256ELb1ELi1EEvPKT_PKT0_S7_ifPKiS9_S9_iPKfiiiPfSC_PS2_PT2_iSB_SB_
                                        ; -- End function
	.section	.AMDGPU.csdata,"",@progbits
; Kernel info:
; codeLenInByte = 40652
; NumSgprs: 50
; NumVgprs: 80
; NumAgprs: 4
; TotalNumVgprs: 84
; ScratchSize: 144
; MemoryBound: 0
; FloatMode: 240
; IeeeMode: 1
; LDSByteSize: 5280 bytes/workgroup (compile time only)
; SGPRBlocks: 6
; VGPRBlocks: 10
; NumSGPRsForWavesPerEU: 50
; NumVGPRsForWavesPerEU: 84
; AccumOffset: 80
; Occupancy: 5
; WaveLimiterHint : 1
; COMPUTE_PGM_RSRC2:SCRATCH_EN: 1
; COMPUTE_PGM_RSRC2:USER_SGPR: 8
; COMPUTE_PGM_RSRC2:TRAP_HANDLER: 0
; COMPUTE_PGM_RSRC2:TGID_X_EN: 1
; COMPUTE_PGM_RSRC2:TGID_Y_EN: 1
; COMPUTE_PGM_RSRC2:TGID_Z_EN: 1
; COMPUTE_PGM_RSRC2:TIDIG_COMP_CNT: 0
; COMPUTE_PGM_RSRC3_GFX90A:ACCUM_OFFSET: 19
; COMPUTE_PGM_RSRC3_GFX90A:TG_SPLIT: 0
	.section	.text._Z38paged_attention_ll4mi_QKV_mfma4_kernelIDF16_hLN4vllm18Fp8KVCacheDataTypeE1EDF16_Li16ELi128ELi256ELb1ELi2EEvPKT_PKT0_S7_ifPKiS9_S9_iPKfiiiPfSC_PS2_PT2_iSB_SB_,"axG",@progbits,_Z38paged_attention_ll4mi_QKV_mfma4_kernelIDF16_hLN4vllm18Fp8KVCacheDataTypeE1EDF16_Li16ELi128ELi256ELb1ELi2EEvPKT_PKT0_S7_ifPKiS9_S9_iPKfiiiPfSC_PS2_PT2_iSB_SB_,comdat
	.protected	_Z38paged_attention_ll4mi_QKV_mfma4_kernelIDF16_hLN4vllm18Fp8KVCacheDataTypeE1EDF16_Li16ELi128ELi256ELb1ELi2EEvPKT_PKT0_S7_ifPKiS9_S9_iPKfiiiPfSC_PS2_PT2_iSB_SB_ ; -- Begin function _Z38paged_attention_ll4mi_QKV_mfma4_kernelIDF16_hLN4vllm18Fp8KVCacheDataTypeE1EDF16_Li16ELi128ELi256ELb1ELi2EEvPKT_PKT0_S7_ifPKiS9_S9_iPKfiiiPfSC_PS2_PT2_iSB_SB_
	.globl	_Z38paged_attention_ll4mi_QKV_mfma4_kernelIDF16_hLN4vllm18Fp8KVCacheDataTypeE1EDF16_Li16ELi128ELi256ELb1ELi2EEvPKT_PKT0_S7_ifPKiS9_S9_iPKfiiiPfSC_PS2_PT2_iSB_SB_
	.p2align	8
	.type	_Z38paged_attention_ll4mi_QKV_mfma4_kernelIDF16_hLN4vllm18Fp8KVCacheDataTypeE1EDF16_Li16ELi128ELi256ELb1ELi2EEvPKT_PKT0_S7_ifPKiS9_S9_iPKfiiiPfSC_PS2_PT2_iSB_SB_,@function
_Z38paged_attention_ll4mi_QKV_mfma4_kernelIDF16_hLN4vllm18Fp8KVCacheDataTypeE1EDF16_Li16ELi128ELi256ELb1ELi2EEvPKT_PKT0_S7_ifPKiS9_S9_iPKfiiiPfSC_PS2_PT2_iSB_SB_: ; @_Z38paged_attention_ll4mi_QKV_mfma4_kernelIDF16_hLN4vllm18Fp8KVCacheDataTypeE1EDF16_Li16ELi128ELi256ELb1ELi2EEvPKT_PKT0_S7_ifPKiS9_S9_iPKfiiiPfSC_PS2_PT2_iSB_SB_
; %bb.0:
	s_load_dwordx2 s[20:21], s[4:5], 0x30
	s_add_u32 s0, s0, s11
	s_addc_u32 s1, s1, 0
	s_mov_b32 s24, s9
	s_mov_b64 s[6:7], 0
	s_waitcnt lgkmcnt(0)
	s_cmp_lg_u64 s[20:21], 0
	s_cselect_b64 s[22:23], -1, 0
	s_and_b64 vcc, exec, s[22:23]
	s_cbranch_vccz .LBB467_10
; %bb.1:
	s_add_i32 s12, s8, 1
	s_mov_b32 s13, 0
	s_lshl_b64 s[14:15], s[12:13], 2
	s_add_u32 s14, s20, s14
	s_mov_b32 s9, s13
	s_addc_u32 s15, s21, s15
	s_lshl_b64 s[12:13], s[8:9], 2
	s_add_u32 s12, s20, s12
	s_addc_u32 s13, s21, s13
	s_load_dword s11, s[14:15], 0x0
	s_load_dword s16, s[12:13], 0x0
	s_waitcnt lgkmcnt(0)
	s_sub_i32 s11, s11, s16
	s_cmp_eq_u32 s11, 1
	s_cselect_b64 s[12:13], -1, 0
	s_andn2_b64 vcc, exec, s[6:7]
	s_cbranch_vccnz .LBB467_3
.LBB467_2:
	s_mov_b32 s9, 0
	s_mov_b64 s[12:13], -1
.LBB467_3:
	s_andn2_b64 vcc, exec, s[12:13]
	s_cbranch_vccnz .LBB467_1180
; %bb.4:
	s_load_dword s11, s[4:5], 0x9c
	s_load_dwordx2 s[6:7], s[4:5], 0x28
	s_add_u32 s28, s4, 0x90
	s_addc_u32 s29, s5, 0
	s_lshl_b64 s[34:35], s[8:9], 2
	s_waitcnt lgkmcnt(0)
	s_and_b32 s11, s11, 0xffff
	s_add_u32 s6, s6, s34
	s_addc_u32 s7, s7, s35
	s_load_dword s9, s[6:7], 0x0
	s_mul_i32 s11, s24, s11
	s_waitcnt lgkmcnt(0)
	s_cmp_ge_i32 s11, s9
	s_cbranch_scc1 .LBB467_1180
; %bb.5:
	v_and_b32_e32 v1, 0xc0, v0
	v_add_u32_e32 v7, s11, v1
	v_lshrrev_b32_e32 v42, 6, v0
	v_cmp_le_i32_e64 s[6:7], s9, v7
                                        ; implicit-def: $sgpr36
                                        ; implicit-def: $sgpr25
	s_and_saveexec_b64 s[12:13], s[6:7]
	s_xor_b64 s[12:13], exec, s[12:13]
	s_cbranch_execz .LBB467_7
; %bb.6:
	v_mul_u32_u24_e32 v1, 20, v42
	v_or_b32_e32 v1, 0x1400, v1
	v_mov_b32_e32 v2, 0x1450
	v_mov_b32_e32 v3, 0xff7fffff
	v_mad_u32_u24 v2, v42, 20, v2
	ds_write2_b32 v1, v3, v3 offset1:1
	v_mov_b32_e32 v1, 0
	ds_write2_b32 v2, v1, v1 offset1:1
	v_mov_b32_e32 v2, 0x1408
	s_mov_b32 s25, 0xff7fffff
	s_mov_b32 s36, 0
	v_mad_u32_u24 v2, v42, 20, v2
	v_mov_b32_e32 v4, 0x1458
	v_mad_u32_u24 v4, v42, 20, v4
	ds_write2_b32 v2, v3, v3 offset1:1
	ds_write2_b32 v4, v1, v1 offset1:1
                                        ; implicit-def: $vgpr7
.LBB467_7:
	s_or_saveexec_b64 s[30:31], s[12:13]
	s_load_dwordx2 s[26:27], s[4:5], 0x68
	s_load_dwordx4 s[16:19], s[4:5], 0x58
	s_load_dword s33, s[28:29], 0x4
	s_load_dwordx4 s[12:15], s[4:5], 0x80
	v_and_b32_e32 v1, 63, v0
	v_and_b32_e32 v43, 3, v0
	s_lshl_b32 s42, s10, 1
	v_mov_b32_e32 v5, s36
	v_mov_b32_e32 v6, s25
	;; [unrolled: 1-line block ×5, first 2 shown]
	s_xor_b64 exec, exec, s[30:31]
	s_cbranch_execz .LBB467_787
; %bb.8:
	s_add_i32 s38, s9, 15
	s_load_dwordx2 s[36:37], s[4:5], 0x20
	s_load_dword s25, s[4:5], 0x38
	s_ashr_i32 s39, s38, 31
	s_lshr_b32 s39, s39, 28
	v_add_u32_e32 v44, s11, v0
	s_add_i32 s38, s38, s39
	v_ashrrev_i32_e32 v2, 31, v44
	s_ashr_i32 s38, s38, 4
	v_lshrrev_b32_e32 v2, 28, v2
	s_add_i32 s40, s38, -1
	v_add_u32_e32 v2, v44, v2
	s_waitcnt lgkmcnt(0)
	s_mul_i32 s38, s8, s25
	s_mov_b32 s39, 0
	v_ashrrev_i32_e32 v2, 4, v2
	v_mov_b32_e32 v3, s40
	v_cmp_gt_i32_e32 vcc, s9, v44
	s_lshl_b64 s[38:39], s[38:39], 2
	v_cndmask_b32_e32 v2, v3, v2, vcc
	s_add_u32 s25, s36, s38
	v_ashrrev_i32_e32 v3, 31, v2
	s_addc_u32 s36, s37, s39
	v_lshlrev_b64 v[2:3], 2, v[2:3]
	v_mov_b32_e32 v4, s36
	v_add_co_u32_e32 v2, vcc, s25, v2
	v_addc_co_u32_e32 v3, vcc, v4, v3, vcc
	v_ashrrev_i32_e32 v4, 31, v7
	v_lshrrev_b32_e32 v4, 28, v4
	v_add_u32_e32 v4, v7, v4
	v_ashrrev_i32_e32 v12, 4, v4
	v_min_i32_e32 v4, s40, v12
	v_ashrrev_i32_e32 v5, 31, v4
	v_lshlrev_b64 v[4:5], 2, v[4:5]
	v_mov_b32_e32 v6, s36
	v_add_co_u32_e32 v4, vcc, s25, v4
	v_addc_co_u32_e32 v5, vcc, v6, v5, vcc
	v_add_u32_e32 v6, 1, v12
	v_min_i32_e32 v6, s40, v6
	v_ashrrev_i32_e32 v7, 31, v6
	v_lshlrev_b64 v[6:7], 2, v[6:7]
	v_add_co_u32_e32 v8, vcc, s25, v6
	v_add_u32_e32 v6, 2, v12
	v_mov_b32_e32 v9, s36
	v_min_i32_e32 v6, s40, v6
	v_addc_co_u32_e32 v9, vcc, v9, v7, vcc
	v_ashrrev_i32_e32 v7, 31, v6
	v_lshlrev_b64 v[6:7], 2, v[6:7]
	v_add_co_u32_e32 v10, vcc, s25, v6
	v_add_u32_e32 v6, 3, v12
	v_mov_b32_e32 v11, s36
	v_min_i32_e32 v6, s40, v6
	v_addc_co_u32_e32 v11, vcc, v11, v7, vcc
	v_ashrrev_i32_e32 v7, 31, v6
	v_lshlrev_b64 v[6:7], 2, v[6:7]
	v_mov_b32_e32 v13, s36
	v_add_co_u32_e32 v12, vcc, s25, v6
	v_addc_co_u32_e32 v13, vcc, v13, v7, vcc
	global_load_dword v6, v[2:3], off
	global_load_dword v48, v[4:5], off
	;; [unrolled: 1-line block ×5, first 2 shown]
	s_load_dwordx2 s[36:37], s[4:5], 0x8
	s_andn2_b64 vcc, exec, s[22:23]
	s_cbranch_vccnz .LBB467_11
; %bb.9:
	s_add_u32 s20, s20, s34
	s_addc_u32 s21, s21, s35
	s_load_dword s11, s[20:21], 0x0
	s_branch .LBB467_12
.LBB467_10:
	s_mov_b64 s[12:13], 0
	s_branch .LBB467_2
.LBB467_11:
	s_mov_b32 s11, s8
.LBB467_12:
	s_load_dwordx2 s[34:35], s[4:5], 0x10
	s_load_dwordx4 s[20:23], s[4:5], 0x48
	v_cmp_gt_u32_e32 vcc, 2, v43
	s_mov_b32 s41, 0
	v_mov_b32_e32 v46, 0
	v_mov_b32_e32 v2, 0
	;; [unrolled: 1-line block ×5, first 2 shown]
	s_and_saveexec_b64 s[38:39], vcc
	s_cbranch_execz .LBB467_14
; %bb.13:
	s_load_dwordx2 s[44:45], s[4:5], 0x0
	s_waitcnt lgkmcnt(0)
	s_ashr_i32 s23, s20, 31
	s_mul_hi_u32 s25, s11, s20
	s_mul_i32 s23, s11, s23
	s_add_i32 s47, s25, s23
	s_mul_i32 s46, s11, s20
	s_lshl_b64 s[46:47], s[46:47], 1
	s_add_u32 s11, s44, s46
	s_addc_u32 s20, s45, s47
	s_lshl_b32 s40, s10, 8
	s_lshl_b64 s[40:41], s[40:41], 1
	v_lshlrev_b32_e32 v2, 2, v1
	s_add_u32 s40, s11, s40
	v_and_b32_e32 v2, 0xf0, v2
	s_addc_u32 s41, s20, s41
	v_lshl_or_b32 v2, v43, 8, v2
	global_load_dwordx4 v[2:5], v2, s[40:41]
.LBB467_14:
	s_or_b64 exec, exec, s[38:39]
	s_waitcnt lgkmcnt(0)
	s_mul_i32 s20, s10, s22
	s_add_u32 s10, s20, s36
	s_addc_u32 s11, 0, s37
	v_pk_mov_b32 v[8:9], s[10:11], s[10:11] op_sel:[0,1]
	s_waitcnt vmcnt(4)
	v_mad_i64_i32 v[6:7], s[10:11], v6, s21, v[8:9]
	v_lshlrev_b32_e32 v8, 4, v0
	v_and_b32_e32 v8, 0xf0, v8
	v_add_co_u32_e64 v38, s[10:11], v6, v8
	v_addc_co_u32_e64 v39, s[10:11], 0, v7, s[10:11]
	global_load_dwordx4 v[34:37], v[38:39], off
	global_load_dwordx4 v[30:33], v[38:39], off offset:256
	global_load_dwordx4 v[26:29], v[38:39], off offset:512
	;; [unrolled: 1-line block ×7, first 2 shown]
	v_mov_b32_e32 v45, 0
	s_and_saveexec_b64 s[10:11], vcc
	s_cbranch_execz .LBB467_16
; %bb.15:
	s_load_dwordx2 s[22:23], s[4:5], 0x40
	v_or_b32_e32 v38, s42, v43
	v_mov_b32_e32 v39, 0
	v_lshlrev_b64 v[38:39], 2, v[38:39]
	s_waitcnt lgkmcnt(0)
	v_mov_b32_e32 v45, s23
	v_add_co_u32_e32 v38, vcc, s22, v38
	v_addc_co_u32_e32 v39, vcc, v45, v39, vcc
	global_load_dword v45, v[38:39], off
.LBB467_16:
	s_or_b64 exec, exec, s[10:11]
	s_waitcnt vmcnt(11)
	v_mul_hi_i32 v38, v48, s21
	v_ashrrev_i32_e32 v38, 31, v38
	v_lshrrev_b32_e32 v38, 29, v38
	v_mov_b32_e32 v39, 0
	s_add_u32 s20, s34, s20
	v_mad_i64_i32 v[48:49], s[10:11], v48, s21, v[38:39]
	s_addc_u32 s22, s35, 0
	v_and_b32_e32 v38, -8, v48
	v_mov_b32_e32 v48, s22
	v_add_co_u32_e32 v38, vcc, s20, v38
	v_addc_co_u32_e32 v48, vcc, v48, v49, vcc
	v_lshlrev_b32_e32 v74, 4, v1
	v_add_co_u32_e32 v56, vcc, v38, v74
	s_waitcnt vmcnt(10)
	v_mul_hi_i32 v38, v47, s21
	v_ashrrev_i32_e32 v38, 31, v38
	v_addc_co_u32_e32 v57, vcc, 0, v48, vcc
	v_lshrrev_b32_e32 v38, 29, v38
	global_load_dwordx4 v[48:51], v[56:57], off
	global_load_dwordx4 v[52:55], v[56:57], off offset:1024
	v_mad_i64_i32 v[56:57], s[10:11], v47, s21, v[38:39]
	v_and_b32_e32 v38, -8, v56
	v_mov_b32_e32 v47, s22
	v_add_co_u32_e32 v38, vcc, s20, v38
	v_addc_co_u32_e32 v47, vcc, v47, v57, vcc
	v_add_co_u32_e32 v64, vcc, v38, v74
	s_waitcnt vmcnt(11)
	v_mul_hi_i32 v38, v41, s21
	v_ashrrev_i32_e32 v38, 31, v38
	v_addc_co_u32_e32 v65, vcc, 0, v47, vcc
	v_lshrrev_b32_e32 v38, 29, v38
	global_load_dwordx4 v[56:59], v[64:65], off
	global_load_dwordx4 v[60:63], v[64:65], off offset:1024
	v_mad_i64_i32 v[64:65], s[10:11], v41, s21, v[38:39]
	v_and_b32_e32 v38, -8, v64
	v_mov_b32_e32 v41, s22
	v_add_co_u32_e32 v38, vcc, s20, v38
	v_addc_co_u32_e32 v41, vcc, v41, v65, vcc
	v_add_co_u32_e32 v72, vcc, v38, v74
	s_waitcnt vmcnt(12)
	v_mul_hi_i32 v38, v40, s21
	v_ashrrev_i32_e32 v38, 31, v38
	v_lshrrev_b32_e32 v38, 29, v38
	v_addc_co_u32_e32 v73, vcc, 0, v41, vcc
	v_mad_i64_i32 v[40:41], s[10:11], v40, s21, v[38:39]
	v_and_b32_e32 v38, -8, v40
	v_mov_b32_e32 v40, s22
	v_add_co_u32_e32 v38, vcc, s20, v38
	v_addc_co_u32_e32 v41, vcc, v40, v41, vcc
	v_add_co_u32_e32 v40, vcc, v38, v74
	v_addc_co_u32_e32 v41, vcc, 0, v41, vcc
	global_load_dwordx4 v[64:67], v[72:73], off
	global_load_dwordx4 v[68:71], v[72:73], off offset:1024
	s_nop 0
	global_load_dwordx4 v[72:75], v[40:41], off
	global_load_dwordx4 v[76:79], v[40:41], off offset:1024
	s_waitcnt vmcnt(15)
	v_cmp_ne_u16_sdwa s[20:21], v34, v39 src0_sel:BYTE_0 src1_sel:DWORD
	s_waitcnt vmcnt(7)
	buffer_store_dword v49, off, s[0:3], 0 offset:4
	buffer_store_dword v48, off, s[0:3], 0
	buffer_store_dword v51, off, s[0:3], 0 offset:12
	buffer_store_dword v50, off, s[0:3], 0 offset:8
	s_waitcnt vmcnt(10)
	buffer_store_dword v53, off, s[0:3], 0 offset:68
	buffer_store_dword v52, off, s[0:3], 0 offset:64
	buffer_store_dword v55, off, s[0:3], 0 offset:76
	buffer_store_dword v54, off, s[0:3], 0 offset:72
	s_waitcnt vmcnt(13)
	buffer_store_dword v57, off, s[0:3], 0 offset:20
	buffer_store_dword v56, off, s[0:3], 0 offset:16
	;; [unrolled: 5-line block ×7, first 2 shown]
	buffer_store_dword v79, off, s[0:3], 0 offset:124
	buffer_store_dword v78, off, s[0:3], 0 offset:120
	s_and_saveexec_b64 s[10:11], s[20:21]
	s_cbranch_execz .LBB467_22
; %bb.17:
	s_movk_i32 s20, 0x80
	v_cmp_ne_u16_sdwa s[22:23], v34, s20 src0_sel:BYTE_0 src1_sel:DWORD
	v_bfrev_b32_e32 v46, 1
	s_and_saveexec_b64 s[20:21], s[22:23]
	s_cbranch_execz .LBB467_21
; %bb.18:
	s_movk_i32 s22, 0x7f
	v_and_b32_e32 v38, 0x7f, v34
	v_cmp_ne_u32_e32 vcc, s22, v38
	v_mov_b32_e32 v46, 0x7f800001
	s_and_saveexec_b64 s[22:23], vcc
	s_cbranch_execz .LBB467_20
; %bb.19:
	v_and_b32_e32 v40, 7, v34
	v_ffbh_u32_e32 v40, v40
	v_min_u32_e32 v40, 32, v40
	v_lshrrev_b32_e32 v41, 3, v38
	v_subrev_u32_e32 v46, 28, v40
	v_sub_u32_e32 v40, 29, v40
	v_cmp_gt_u32_e32 vcc, 8, v38
	v_cndmask_b32_e32 v38, v41, v40, vcc
	v_cndmask_b32_e32 v40, 0, v46, vcc
	v_lshlrev_b64 v[40:41], v40, v[34:35]
	v_lshlrev_b32_e32 v40, 20, v40
	v_lshlrev_b32_e32 v41, 24, v34
	v_bfrev_b32_e32 v46, 60
	v_and_b32_e32 v40, 0x700000, v40
	v_and_b32_e32 v41, 0x80000000, v41
	v_lshl_add_u32 v38, v38, 23, v46
	v_or3_b32 v46, v41, v38, v40
.LBB467_20:
	s_or_b64 exec, exec, s[22:23]
.LBB467_21:
	s_or_b64 exec, exec, s[20:21]
.LBB467_22:
	s_or_b64 exec, exec, s[10:11]
	v_lshrrev_b16_e32 v38, 8, v34
	v_cmp_ne_u16_e32 vcc, 0, v38
	v_mov_b32_e32 v47, 0
	s_and_saveexec_b64 s[10:11], vcc
	s_cbranch_execz .LBB467_28
; %bb.23:
	s_movk_i32 s20, 0x80
	v_cmp_ne_u16_e32 vcc, s20, v38
	v_bfrev_b32_e32 v47, 1
	s_and_saveexec_b64 s[20:21], vcc
	s_cbranch_execz .LBB467_27
; %bb.24:
	s_movk_i32 s22, 0x7f
	v_and_b32_e32 v40, 0x7f, v38
	v_cmp_ne_u32_e32 vcc, s22, v40
	v_mov_b32_e32 v47, 0x7f800001
	s_and_saveexec_b64 s[22:23], vcc
	s_cbranch_execz .LBB467_26
; %bb.25:
	v_and_b32_e32 v41, 7, v38
	v_ffbh_u32_e32 v48, v41
	v_min_u32_e32 v50, 32, v48
	v_subrev_u32_e32 v48, 28, v50
	v_lshlrev_b64 v[48:49], v48, v[38:39]
	v_lshrrev_b32_e32 v47, 3, v40
	v_sub_u32_e32 v38, 29, v50
	v_and_b32_e32 v48, 7, v48
	v_cmp_gt_u32_e32 vcc, 8, v40
	v_cndmask_b32_e32 v38, v47, v38, vcc
	v_cndmask_b32_e32 v40, v41, v48, vcc
	v_lshlrev_b32_e32 v41, 16, v34
	v_bfrev_b32_e32 v47, 60
	v_lshlrev_b32_e32 v40, 20, v40
	v_and_b32_e32 v41, 0x80000000, v41
	v_lshl_add_u32 v38, v38, 23, v47
	v_or3_b32 v47, v41, v38, v40
.LBB467_26:
	s_or_b64 exec, exec, s[22:23]
.LBB467_27:
	s_or_b64 exec, exec, s[20:21]
.LBB467_28:
	s_or_b64 exec, exec, s[10:11]
	s_movk_i32 s10, 0xff
	v_and_b32_sdwa v40, v34, s10 dst_sel:DWORD dst_unused:UNUSED_PAD src0_sel:WORD_1 src1_sel:DWORD
	v_lshrrev_b32_e32 v38, 16, v34
	v_cmp_ne_u16_e32 vcc, 0, v40
	s_and_saveexec_b64 s[10:11], vcc
	s_cbranch_execz .LBB467_34
; %bb.29:
	s_movk_i32 s20, 0x80
	v_cmp_ne_u16_e32 vcc, s20, v40
	v_bfrev_b32_e32 v39, 1
	s_and_saveexec_b64 s[20:21], vcc
	s_cbranch_execz .LBB467_33
; %bb.30:
	v_bfe_u32 v40, v34, 16, 7
	s_movk_i32 s22, 0x7f
	v_cmp_ne_u32_e32 vcc, s22, v40
	v_mov_b32_e32 v39, 0x7f800001
	s_and_saveexec_b64 s[22:23], vcc
	s_cbranch_execz .LBB467_32
; %bb.31:
	v_and_b32_e32 v41, 7, v38
	v_ffbh_u32_e32 v39, v41
	v_min_u32_e32 v49, 32, v39
	v_subrev_u32_e32 v39, 28, v49
	v_lshlrev_b64 v[38:39], v39, v[38:39]
	v_lshrrev_b32_e32 v48, 3, v40
	v_sub_u32_e32 v39, 29, v49
	v_and_b32_e32 v38, 7, v38
	v_cmp_gt_u32_e32 vcc, 8, v40
	v_mov_b32_e32 v40, 24
	v_cndmask_b32_e32 v39, v48, v39, vcc
	v_cndmask_b32_e32 v38, v41, v38, vcc
	v_lshlrev_b32_sdwa v40, v40, v34 dst_sel:DWORD dst_unused:UNUSED_PAD src0_sel:DWORD src1_sel:WORD_1
	v_bfrev_b32_e32 v41, 60
	v_lshlrev_b32_e32 v38, 20, v38
	v_and_b32_e32 v40, 0x80000000, v40
	v_lshl_add_u32 v39, v39, 23, v41
	v_or3_b32 v39, v40, v39, v38
.LBB467_32:
	s_or_b64 exec, exec, s[22:23]
.LBB467_33:
	s_or_b64 exec, exec, s[20:21]
.LBB467_34:
	s_or_b64 exec, exec, s[10:11]
	s_mov_b32 s10, 0xffffff
	v_cmp_lt_u32_e32 vcc, s10, v34
	v_mov_b32_e32 v41, 0
	v_mov_b32_e32 v48, 0
	s_and_saveexec_b64 s[10:11], vcc
	s_cbranch_execz .LBB467_40
; %bb.35:
	v_lshrrev_b32_e32 v38, 24, v34
	s_movk_i32 s20, 0x80
	v_cmp_ne_u32_e32 vcc, s20, v38
	v_bfrev_b32_e32 v48, 1
	s_and_saveexec_b64 s[20:21], vcc
	s_cbranch_execz .LBB467_39
; %bb.36:
	v_bfe_u32 v40, v34, 24, 7
	s_movk_i32 s22, 0x7f
	v_cmp_ne_u32_e32 vcc, s22, v40
	v_mov_b32_e32 v48, 0x7f800001
	s_and_saveexec_b64 s[22:23], vcc
	s_cbranch_execz .LBB467_38
; %bb.37:
	v_and_b32_e32 v50, 7, v38
	v_ffbh_u32_e32 v48, v50
	v_min_u32_e32 v52, 32, v48
	v_subrev_u32_e32 v48, 28, v52
	v_lshlrev_b64 v[48:49], v48, v[38:39]
	v_lshrrev_b32_e32 v51, 3, v40
	v_sub_u32_e32 v49, 29, v52
	v_and_b32_e32 v48, 7, v48
	v_cmp_gt_u32_e32 vcc, 8, v40
	v_cndmask_b32_e32 v40, v51, v49, vcc
	v_cndmask_b32_e32 v48, v50, v48, vcc
	v_lshlrev_b32_e32 v38, 24, v38
	v_bfrev_b32_e32 v49, 60
	v_lshlrev_b32_e32 v48, 20, v48
	v_and_b32_e32 v38, 0x80000000, v38
	v_lshl_add_u32 v40, v40, 23, v49
	v_or3_b32 v48, v38, v40, v48
.LBB467_38:
	s_or_b64 exec, exec, s[22:23]
.LBB467_39:
	s_or_b64 exec, exec, s[20:21]
.LBB467_40:
	s_or_b64 exec, exec, s[10:11]
	v_mov_b32_e32 v40, v35
	v_cmp_ne_u16_sdwa s[20:21], v35, v41 src0_sel:BYTE_0 src1_sel:DWORD
	s_and_saveexec_b64 s[10:11], s[20:21]
	s_cbranch_execz .LBB467_46
; %bb.41:
	s_movk_i32 s20, 0x80
	v_cmp_ne_u16_sdwa s[22:23], v35, s20 src0_sel:BYTE_0 src1_sel:DWORD
	v_bfrev_b32_e32 v38, 1
	s_and_saveexec_b64 s[20:21], s[22:23]
	s_cbranch_execz .LBB467_45
; %bb.42:
	s_movk_i32 s22, 0x7f
	v_and_b32_e32 v49, 0x7f, v35
	v_cmp_ne_u32_e32 vcc, s22, v49
	v_mov_b32_e32 v38, 0x7f800001
	s_and_saveexec_b64 s[22:23], vcc
	s_cbranch_execz .LBB467_44
; %bb.43:
	v_and_b32_e32 v38, 7, v35
	v_ffbh_u32_e32 v38, v38
	v_min_u32_e32 v38, 32, v38
	v_subrev_u32_e32 v51, 28, v38
	v_cmp_gt_u32_e32 vcc, 8, v49
	v_lshrrev_b32_e32 v50, 3, v49
	v_sub_u32_e32 v38, 29, v38
	v_cndmask_b32_e32 v49, 0, v51, vcc
	v_cndmask_b32_e32 v38, v50, v38, vcc
	v_lshlrev_b64 v[50:51], v49, v[40:41]
	v_lshlrev_b32_e32 v41, 20, v50
	v_lshlrev_b32_e32 v49, 24, v40
	v_bfrev_b32_e32 v50, 60
	v_and_b32_e32 v41, 0x700000, v41
	v_and_b32_e32 v49, 0x80000000, v49
	v_lshl_add_u32 v38, v38, 23, v50
	v_or3_b32 v38, v49, v38, v41
.LBB467_44:
	s_or_b64 exec, exec, s[22:23]
.LBB467_45:
	s_or_b64 exec, exec, s[20:21]
	v_mov_b32_e32 v41, v38
.LBB467_46:
	s_or_b64 exec, exec, s[10:11]
	v_lshrrev_b16_e32 v38, 8, v40
	v_cmp_ne_u16_e32 vcc, 0, v38
	v_mov_b32_e32 v49, 0
	v_mov_b32_e32 v50, 0
	s_and_saveexec_b64 s[10:11], vcc
	s_cbranch_execz .LBB467_52
; %bb.47:
	s_movk_i32 s20, 0x80
	v_cmp_ne_u16_e32 vcc, s20, v38
	v_bfrev_b32_e32 v50, 1
	s_and_saveexec_b64 s[20:21], vcc
	s_cbranch_execz .LBB467_51
; %bb.48:
	s_movk_i32 s22, 0x7f
	v_and_b32_e32 v51, 0x7f, v38
	v_cmp_ne_u32_e32 vcc, s22, v51
	v_mov_b32_e32 v50, 0x7f800001
	s_and_saveexec_b64 s[22:23], vcc
	s_cbranch_execz .LBB467_50
; %bb.49:
	v_and_b32_e32 v50, 7, v38
	v_ffbh_u32_e32 v52, v50
	v_min_u32_e32 v55, 32, v52
	v_subrev_u32_e32 v52, 28, v55
	v_lshlrev_b64 v[52:53], v52, v[38:39]
	v_lshrrev_b32_e32 v54, 3, v51
	v_sub_u32_e32 v38, 29, v55
	v_and_b32_e32 v52, 7, v52
	v_cmp_gt_u32_e32 vcc, 8, v51
	v_cndmask_b32_e32 v38, v54, v38, vcc
	v_cndmask_b32_e32 v50, v50, v52, vcc
	v_lshlrev_b32_e32 v40, 16, v40
	v_bfrev_b32_e32 v51, 60
	v_lshlrev_b32_e32 v50, 20, v50
	v_and_b32_e32 v40, 0x80000000, v40
	v_lshl_add_u32 v38, v38, 23, v51
	v_or3_b32 v50, v40, v38, v50
.LBB467_50:
	s_or_b64 exec, exec, s[22:23]
.LBB467_51:
	s_or_b64 exec, exec, s[20:21]
.LBB467_52:
	s_or_b64 exec, exec, s[10:11]
	s_movk_i32 s10, 0xff
	v_and_b32_sdwa v40, v35, s10 dst_sel:DWORD dst_unused:UNUSED_PAD src0_sel:WORD_1 src1_sel:DWORD
	v_lshrrev_b32_e32 v38, 16, v35
	v_cmp_ne_u16_e32 vcc, 0, v40
	s_and_saveexec_b64 s[10:11], vcc
	s_cbranch_execz .LBB467_58
; %bb.53:
	s_movk_i32 s20, 0x80
	v_cmp_ne_u16_e32 vcc, s20, v40
	v_bfrev_b32_e32 v49, 1
	s_and_saveexec_b64 s[20:21], vcc
	s_cbranch_execz .LBB467_57
; %bb.54:
	v_bfe_u32 v40, v35, 16, 7
	s_movk_i32 s22, 0x7f
	v_cmp_ne_u32_e32 vcc, s22, v40
	v_mov_b32_e32 v49, 0x7f800001
	s_and_saveexec_b64 s[22:23], vcc
	s_cbranch_execz .LBB467_56
; %bb.55:
	v_and_b32_e32 v49, 7, v38
	v_ffbh_u32_e32 v52, v49
	v_min_u32_e32 v54, 32, v52
	v_subrev_u32_e32 v52, 28, v54
	v_lshlrev_b64 v[52:53], v52, v[38:39]
	v_and_b32_e32 v52, 7, v52
	v_cmp_gt_u32_e32 vcc, 8, v40
	v_lshrrev_b32_e32 v51, 3, v40
	v_sub_u32_e32 v38, 29, v54
	v_cndmask_b32_e32 v40, v49, v52, vcc
	v_mov_b32_e32 v49, 24
	v_cndmask_b32_e32 v38, v51, v38, vcc
	v_lshlrev_b32_sdwa v49, v49, v35 dst_sel:DWORD dst_unused:UNUSED_PAD src0_sel:DWORD src1_sel:WORD_1
	v_bfrev_b32_e32 v51, 60
	v_lshlrev_b32_e32 v40, 20, v40
	v_and_b32_e32 v49, 0x80000000, v49
	v_lshl_add_u32 v38, v38, 23, v51
	v_or3_b32 v49, v49, v38, v40
.LBB467_56:
	s_or_b64 exec, exec, s[22:23]
.LBB467_57:
	s_or_b64 exec, exec, s[20:21]
.LBB467_58:
	s_or_b64 exec, exec, s[10:11]
	s_mov_b32 s10, -1
	s_mov_b32 s11, 0xffffff
	v_cmp_lt_u64_e32 vcc, s[10:11], v[34:35]
	v_mov_b32_e32 v40, 0
	v_mov_b32_e32 v38, 0
	s_and_saveexec_b64 s[10:11], vcc
	s_cbranch_execz .LBB467_64
; %bb.59:
	v_lshrrev_b32_e32 v34, 24, v35
	s_movk_i32 s20, 0x80
	v_cmp_ne_u32_e32 vcc, s20, v34
	v_bfrev_b32_e32 v38, 1
	s_and_saveexec_b64 s[20:21], vcc
	s_cbranch_execz .LBB467_63
; %bb.60:
	v_bfe_u32 v35, v35, 24, 7
	s_movk_i32 s22, 0x7f
	v_cmp_ne_u32_e32 vcc, s22, v35
	v_mov_b32_e32 v38, 0x7f800001
	s_and_saveexec_b64 s[22:23], vcc
	s_cbranch_execz .LBB467_62
; %bb.61:
	v_and_b32_e32 v38, 7, v34
	v_ffbh_u32_e32 v52, v38
	v_min_u32_e32 v54, 32, v52
	v_subrev_u32_e32 v52, 28, v54
	v_lshlrev_b64 v[52:53], v52, v[34:35]
	v_lshrrev_b32_e32 v51, 3, v35
	v_sub_u32_e32 v53, 29, v54
	v_and_b32_e32 v52, 7, v52
	v_cmp_gt_u32_e32 vcc, 8, v35
	v_cndmask_b32_e32 v35, v51, v53, vcc
	v_cndmask_b32_e32 v38, v38, v52, vcc
	v_lshlrev_b32_e32 v34, 24, v34
	v_bfrev_b32_e32 v51, 60
	v_lshlrev_b32_e32 v38, 20, v38
	v_and_b32_e32 v34, 0x80000000, v34
	v_lshl_add_u32 v35, v35, 23, v51
	v_or3_b32 v38, v34, v35, v38
.LBB467_62:
	s_or_b64 exec, exec, s[22:23]
.LBB467_63:
	s_or_b64 exec, exec, s[20:21]
.LBB467_64:
	s_or_b64 exec, exec, s[10:11]
	v_cvt_pkrtz_f16_f32 v34, v46, v47
	v_cvt_pkrtz_f16_f32 v35, v39, v48
	;; [unrolled: 1-line block ×4, first 2 shown]
	v_mfma_f32_4x4x4f16 a[0:3], v[2:3], v[34:35], 0 cbsz:4
	v_cmp_ne_u16_sdwa s[20:21], v36, v40 src0_sel:BYTE_0 src1_sel:DWORD
	v_mfma_f32_4x4x4f16 a[0:3], v[4:5], v[46:47], a[0:3] cbsz:4
	s_and_saveexec_b64 s[10:11], s[20:21]
	s_cbranch_execz .LBB467_70
; %bb.65:
	s_movk_i32 s20, 0x80
	v_cmp_ne_u16_sdwa s[22:23], v36, s20 src0_sel:BYTE_0 src1_sel:DWORD
	v_bfrev_b32_e32 v40, 1
	s_and_saveexec_b64 s[20:21], s[22:23]
	s_cbranch_execz .LBB467_69
; %bb.66:
	s_movk_i32 s22, 0x7f
	v_and_b32_e32 v34, 0x7f, v36
	v_cmp_ne_u32_e32 vcc, s22, v34
	v_mov_b32_e32 v40, 0x7f800001
	s_and_saveexec_b64 s[22:23], vcc
	s_cbranch_execz .LBB467_68
; %bb.67:
	v_and_b32_e32 v35, 7, v36
	v_ffbh_u32_e32 v35, v35
	v_min_u32_e32 v35, 32, v35
	v_subrev_u32_e32 v39, 28, v35
	v_cmp_gt_u32_e32 vcc, 8, v34
	v_lshrrev_b32_e32 v38, 3, v34
	v_sub_u32_e32 v35, 29, v35
	v_cndmask_b32_e32 v34, 0, v39, vcc
	v_cndmask_b32_e32 v38, v38, v35, vcc
	v_lshlrev_b64 v[34:35], v34, v[36:37]
	v_lshlrev_b32_e32 v34, 20, v34
	v_lshlrev_b32_e32 v35, 24, v36
	v_bfrev_b32_e32 v39, 60
	v_and_b32_e32 v34, 0x700000, v34
	v_and_b32_e32 v35, 0x80000000, v35
	v_lshl_add_u32 v38, v38, 23, v39
	v_or3_b32 v40, v35, v38, v34
.LBB467_68:
	s_or_b64 exec, exec, s[22:23]
.LBB467_69:
	s_or_b64 exec, exec, s[20:21]
.LBB467_70:
	s_or_b64 exec, exec, s[10:11]
	v_lshrrev_b16_e32 v34, 8, v36
	v_cmp_ne_u16_e32 vcc, 0, v34
	v_mov_b32_e32 v39, 0
	v_mov_b32_e32 v41, 0
	s_and_saveexec_b64 s[10:11], vcc
	s_cbranch_execz .LBB467_76
; %bb.71:
	s_movk_i32 s20, 0x80
	v_cmp_ne_u16_e32 vcc, s20, v34
	v_bfrev_b32_e32 v41, 1
	s_and_saveexec_b64 s[20:21], vcc
	s_cbranch_execz .LBB467_75
; %bb.72:
	s_movk_i32 s22, 0x7f
	v_and_b32_e32 v35, 0x7f, v34
	v_cmp_ne_u32_e32 vcc, s22, v35
	v_mov_b32_e32 v41, 0x7f800001
	s_and_saveexec_b64 s[22:23], vcc
	s_cbranch_execz .LBB467_74
; %bb.73:
	v_and_b32_e32 v38, 7, v34
	v_ffbh_u32_e32 v46, v38
	v_min_u32_e32 v48, 32, v46
	v_subrev_u32_e32 v46, 28, v48
	v_lshlrev_b64 v[46:47], v46, v[34:35]
	v_lshrrev_b32_e32 v41, 3, v35
	v_sub_u32_e32 v34, 29, v48
	v_and_b32_e32 v46, 7, v46
	v_cmp_gt_u32_e32 vcc, 8, v35
	v_cndmask_b32_e32 v34, v41, v34, vcc
	v_cndmask_b32_e32 v35, v38, v46, vcc
	v_lshlrev_b32_e32 v38, 16, v36
	v_bfrev_b32_e32 v41, 60
	v_lshlrev_b32_e32 v35, 20, v35
	v_and_b32_e32 v38, 0x80000000, v38
	v_lshl_add_u32 v34, v34, 23, v41
	v_or3_b32 v41, v38, v34, v35
.LBB467_74:
	s_or_b64 exec, exec, s[22:23]
.LBB467_75:
	s_or_b64 exec, exec, s[20:21]
.LBB467_76:
	s_or_b64 exec, exec, s[10:11]
	s_movk_i32 s10, 0xff
	v_and_b32_sdwa v35, v36, s10 dst_sel:DWORD dst_unused:UNUSED_PAD src0_sel:WORD_1 src1_sel:DWORD
	v_lshrrev_b32_e32 v34, 16, v36
	v_cmp_ne_u16_e32 vcc, 0, v35
	s_and_saveexec_b64 s[10:11], vcc
	s_cbranch_execz .LBB467_82
; %bb.77:
	s_movk_i32 s20, 0x80
	v_cmp_ne_u16_e32 vcc, s20, v35
	v_bfrev_b32_e32 v39, 1
	s_and_saveexec_b64 s[20:21], vcc
	s_cbranch_execz .LBB467_81
; %bb.78:
	v_bfe_u32 v35, v36, 16, 7
	s_movk_i32 s22, 0x7f
	v_cmp_ne_u32_e32 vcc, s22, v35
	v_mov_b32_e32 v39, 0x7f800001
	s_and_saveexec_b64 s[22:23], vcc
	s_cbranch_execz .LBB467_80
; %bb.79:
	v_and_b32_e32 v46, 7, v34
	v_ffbh_u32_e32 v38, v46
	v_min_u32_e32 v48, 32, v38
	v_subrev_u32_e32 v38, 28, v48
	v_lshlrev_b64 v[38:39], v38, v[34:35]
	v_and_b32_e32 v38, 7, v38
	v_cmp_gt_u32_e32 vcc, 8, v35
	v_lshrrev_b32_e32 v47, 3, v35
	v_sub_u32_e32 v34, 29, v48
	v_cndmask_b32_e32 v35, v46, v38, vcc
	v_mov_b32_e32 v38, 24
	v_cndmask_b32_e32 v34, v47, v34, vcc
	v_lshlrev_b32_sdwa v38, v38, v36 dst_sel:DWORD dst_unused:UNUSED_PAD src0_sel:DWORD src1_sel:WORD_1
	v_bfrev_b32_e32 v39, 60
	v_lshlrev_b32_e32 v35, 20, v35
	v_and_b32_e32 v38, 0x80000000, v38
	v_lshl_add_u32 v34, v34, 23, v39
	v_or3_b32 v39, v38, v34, v35
.LBB467_80:
	s_or_b64 exec, exec, s[22:23]
.LBB467_81:
	s_or_b64 exec, exec, s[20:21]
.LBB467_82:
	s_or_b64 exec, exec, s[10:11]
	s_mov_b32 s10, 0xffffff
	v_cmp_lt_u32_e32 vcc, s10, v36
	v_mov_b32_e32 v35, 0
	v_mov_b32_e32 v46, 0
	s_and_saveexec_b64 s[10:11], vcc
	s_cbranch_execz .LBB467_88
; %bb.83:
	v_lshrrev_b32_e32 v34, 24, v36
	s_movk_i32 s20, 0x80
	v_cmp_ne_u32_e32 vcc, s20, v34
	v_bfrev_b32_e32 v46, 1
	s_and_saveexec_b64 s[20:21], vcc
	s_cbranch_execz .LBB467_87
; %bb.84:
	v_bfe_u32 v38, v36, 24, 7
	s_movk_i32 s22, 0x7f
	v_cmp_ne_u32_e32 vcc, s22, v38
	v_mov_b32_e32 v46, 0x7f800001
	s_and_saveexec_b64 s[22:23], vcc
	s_cbranch_execz .LBB467_86
; %bb.85:
	v_and_b32_e32 v48, 7, v34
	v_ffbh_u32_e32 v46, v48
	v_min_u32_e32 v50, 32, v46
	v_subrev_u32_e32 v46, 28, v50
	v_lshlrev_b64 v[46:47], v46, v[34:35]
	v_lshrrev_b32_e32 v49, 3, v38
	v_sub_u32_e32 v47, 29, v50
	v_and_b32_e32 v46, 7, v46
	v_cmp_gt_u32_e32 vcc, 8, v38
	v_cndmask_b32_e32 v38, v49, v47, vcc
	v_cndmask_b32_e32 v46, v48, v46, vcc
	v_lshlrev_b32_e32 v34, 24, v34
	v_bfrev_b32_e32 v47, 60
	v_lshlrev_b32_e32 v46, 20, v46
	v_and_b32_e32 v34, 0x80000000, v34
	v_lshl_add_u32 v38, v38, 23, v47
	v_or3_b32 v46, v34, v38, v46
.LBB467_86:
	s_or_b64 exec, exec, s[22:23]
.LBB467_87:
	s_or_b64 exec, exec, s[20:21]
.LBB467_88:
	s_or_b64 exec, exec, s[10:11]
	v_mov_b32_e32 v34, v37
	v_cmp_ne_u16_sdwa s[20:21], v37, v35 src0_sel:BYTE_0 src1_sel:DWORD
	s_and_saveexec_b64 s[10:11], s[20:21]
	s_cbranch_execz .LBB467_94
; %bb.89:
	s_movk_i32 s20, 0x80
	v_cmp_ne_u16_sdwa s[22:23], v37, s20 src0_sel:BYTE_0 src1_sel:DWORD
	v_bfrev_b32_e32 v38, 1
	s_and_saveexec_b64 s[20:21], s[22:23]
	s_cbranch_execz .LBB467_93
; %bb.90:
	s_movk_i32 s22, 0x7f
	v_and_b32_e32 v47, 0x7f, v37
	v_cmp_ne_u32_e32 vcc, s22, v47
	v_mov_b32_e32 v38, 0x7f800001
	s_and_saveexec_b64 s[22:23], vcc
	s_cbranch_execz .LBB467_92
; %bb.91:
	v_and_b32_e32 v38, 7, v37
	v_ffbh_u32_e32 v38, v38
	v_min_u32_e32 v38, 32, v38
	v_subrev_u32_e32 v49, 28, v38
	v_cmp_gt_u32_e32 vcc, 8, v47
	v_lshrrev_b32_e32 v48, 3, v47
	v_sub_u32_e32 v38, 29, v38
	v_cndmask_b32_e32 v47, 0, v49, vcc
	v_cndmask_b32_e32 v38, v48, v38, vcc
	v_lshlrev_b64 v[48:49], v47, v[34:35]
	v_lshlrev_b32_e32 v35, 20, v48
	v_lshlrev_b32_e32 v47, 24, v34
	v_bfrev_b32_e32 v48, 60
	v_and_b32_e32 v35, 0x700000, v35
	v_and_b32_e32 v47, 0x80000000, v47
	v_lshl_add_u32 v38, v38, 23, v48
	v_or3_b32 v38, v47, v38, v35
.LBB467_92:
	s_or_b64 exec, exec, s[22:23]
.LBB467_93:
	s_or_b64 exec, exec, s[20:21]
	v_mov_b32_e32 v35, v38
.LBB467_94:
	s_or_b64 exec, exec, s[10:11]
	v_lshrrev_b16_e32 v38, 8, v34
	v_cmp_ne_u16_e32 vcc, 0, v38
	v_mov_b32_e32 v47, 0
	v_mov_b32_e32 v48, 0
	s_and_saveexec_b64 s[10:11], vcc
	s_cbranch_execz .LBB467_100
; %bb.95:
	s_movk_i32 s20, 0x80
	v_cmp_ne_u16_e32 vcc, s20, v38
	v_bfrev_b32_e32 v48, 1
	s_and_saveexec_b64 s[20:21], vcc
	s_cbranch_execz .LBB467_99
; %bb.96:
	s_movk_i32 s22, 0x7f
	v_and_b32_e32 v49, 0x7f, v38
	v_cmp_ne_u32_e32 vcc, s22, v49
	v_mov_b32_e32 v48, 0x7f800001
	s_and_saveexec_b64 s[22:23], vcc
	s_cbranch_execz .LBB467_98
; %bb.97:
	v_and_b32_e32 v48, 7, v38
	v_ffbh_u32_e32 v50, v48
	v_min_u32_e32 v53, 32, v50
	v_subrev_u32_e32 v50, 28, v53
	v_lshlrev_b64 v[50:51], v50, v[38:39]
	v_lshrrev_b32_e32 v52, 3, v49
	v_sub_u32_e32 v38, 29, v53
	v_and_b32_e32 v50, 7, v50
	v_cmp_gt_u32_e32 vcc, 8, v49
	v_cndmask_b32_e32 v38, v52, v38, vcc
	v_cndmask_b32_e32 v48, v48, v50, vcc
	v_lshlrev_b32_e32 v34, 16, v34
	v_bfrev_b32_e32 v49, 60
	v_lshlrev_b32_e32 v48, 20, v48
	v_and_b32_e32 v34, 0x80000000, v34
	v_lshl_add_u32 v38, v38, 23, v49
	v_or3_b32 v48, v34, v38, v48
.LBB467_98:
	s_or_b64 exec, exec, s[22:23]
.LBB467_99:
	s_or_b64 exec, exec, s[20:21]
.LBB467_100:
	s_or_b64 exec, exec, s[10:11]
	s_movk_i32 s10, 0xff
	v_and_b32_sdwa v38, v37, s10 dst_sel:DWORD dst_unused:UNUSED_PAD src0_sel:WORD_1 src1_sel:DWORD
	v_lshrrev_b32_e32 v34, 16, v37
	v_cmp_ne_u16_e32 vcc, 0, v38
	s_and_saveexec_b64 s[10:11], vcc
	s_cbranch_execz .LBB467_106
; %bb.101:
	s_movk_i32 s20, 0x80
	v_cmp_ne_u16_e32 vcc, s20, v38
	v_bfrev_b32_e32 v47, 1
	s_and_saveexec_b64 s[20:21], vcc
	s_cbranch_execz .LBB467_105
; %bb.102:
	v_bfe_u32 v38, v37, 16, 7
	s_movk_i32 s22, 0x7f
	v_cmp_ne_u32_e32 vcc, s22, v38
	v_mov_b32_e32 v47, 0x7f800001
	s_and_saveexec_b64 s[22:23], vcc
	s_cbranch_execz .LBB467_104
; %bb.103:
	v_and_b32_e32 v47, 7, v34
	v_ffbh_u32_e32 v50, v47
	v_min_u32_e32 v52, 32, v50
	v_subrev_u32_e32 v50, 28, v52
	v_lshlrev_b64 v[50:51], v50, v[34:35]
	v_and_b32_e32 v50, 7, v50
	v_cmp_gt_u32_e32 vcc, 8, v38
	v_lshrrev_b32_e32 v49, 3, v38
	v_sub_u32_e32 v34, 29, v52
	v_cndmask_b32_e32 v38, v47, v50, vcc
	v_mov_b32_e32 v47, 24
	v_cndmask_b32_e32 v34, v49, v34, vcc
	v_lshlrev_b32_sdwa v47, v47, v37 dst_sel:DWORD dst_unused:UNUSED_PAD src0_sel:DWORD src1_sel:WORD_1
	v_bfrev_b32_e32 v49, 60
	v_lshlrev_b32_e32 v38, 20, v38
	v_and_b32_e32 v47, 0x80000000, v47
	v_lshl_add_u32 v34, v34, 23, v49
	v_or3_b32 v47, v47, v34, v38
.LBB467_104:
	s_or_b64 exec, exec, s[22:23]
.LBB467_105:
	s_or_b64 exec, exec, s[20:21]
.LBB467_106:
	s_or_b64 exec, exec, s[10:11]
	s_mov_b32 s10, -1
	s_mov_b32 s11, 0xffffff
	v_cmp_lt_u64_e32 vcc, s[10:11], v[36:37]
	v_mov_b32_e32 v38, 0
	v_mov_b32_e32 v36, 0
	s_and_saveexec_b64 s[10:11], vcc
	s_cbranch_execz .LBB467_112
; %bb.107:
	v_lshrrev_b32_e32 v34, 24, v37
	s_movk_i32 s20, 0x80
	v_cmp_ne_u32_e32 vcc, s20, v34
	v_bfrev_b32_e32 v36, 1
	s_and_saveexec_b64 s[20:21], vcc
	s_cbranch_execz .LBB467_111
; %bb.108:
	v_bfe_u32 v37, v37, 24, 7
	s_movk_i32 s22, 0x7f
	v_cmp_ne_u32_e32 vcc, s22, v37
	v_mov_b32_e32 v36, 0x7f800001
	s_and_saveexec_b64 s[22:23], vcc
	s_cbranch_execz .LBB467_110
; %bb.109:
	v_and_b32_e32 v36, 7, v34
	v_ffbh_u32_e32 v50, v36
	v_min_u32_e32 v52, 32, v50
	v_subrev_u32_e32 v50, 28, v52
	v_lshlrev_b64 v[50:51], v50, v[34:35]
	v_lshrrev_b32_e32 v49, 3, v37
	v_sub_u32_e32 v51, 29, v52
	v_and_b32_e32 v50, 7, v50
	v_cmp_gt_u32_e32 vcc, 8, v37
	v_cndmask_b32_e32 v37, v49, v51, vcc
	v_cndmask_b32_e32 v36, v36, v50, vcc
	v_lshlrev_b32_e32 v34, 24, v34
	v_bfrev_b32_e32 v49, 60
	v_lshlrev_b32_e32 v36, 20, v36
	v_and_b32_e32 v34, 0x80000000, v34
	v_lshl_add_u32 v37, v37, 23, v49
	v_or3_b32 v36, v34, v37, v36
.LBB467_110:
	s_or_b64 exec, exec, s[22:23]
.LBB467_111:
	s_or_b64 exec, exec, s[20:21]
.LBB467_112:
	s_or_b64 exec, exec, s[10:11]
	v_cvt_pkrtz_f16_f32 v40, v40, v41
	v_cvt_pkrtz_f16_f32 v41, v39, v46
	;; [unrolled: 1-line block ×4, first 2 shown]
	v_mfma_f32_4x4x4f16 a[0:3], v[2:3], v[40:41], a[0:3] cbsz:4 abid:1
	v_cmp_ne_u16_sdwa s[20:21], v30, v38 src0_sel:BYTE_0 src1_sel:DWORD
	v_mfma_f32_4x4x4f16 a[0:3], v[4:5], v[34:35], a[0:3] cbsz:4 abid:1
	s_and_saveexec_b64 s[10:11], s[20:21]
	s_cbranch_execz .LBB467_118
; %bb.113:
	s_movk_i32 s20, 0x80
	v_cmp_ne_u16_sdwa s[22:23], v30, s20 src0_sel:BYTE_0 src1_sel:DWORD
	v_bfrev_b32_e32 v38, 1
	s_and_saveexec_b64 s[20:21], s[22:23]
	s_cbranch_execz .LBB467_117
; %bb.114:
	s_movk_i32 s22, 0x7f
	v_and_b32_e32 v34, 0x7f, v30
	v_cmp_ne_u32_e32 vcc, s22, v34
	v_mov_b32_e32 v38, 0x7f800001
	s_and_saveexec_b64 s[22:23], vcc
	s_cbranch_execz .LBB467_116
; %bb.115:
	v_and_b32_e32 v35, 7, v30
	v_ffbh_u32_e32 v35, v35
	v_min_u32_e32 v35, 32, v35
	v_subrev_u32_e32 v37, 28, v35
	v_cmp_gt_u32_e32 vcc, 8, v34
	v_lshrrev_b32_e32 v36, 3, v34
	v_sub_u32_e32 v35, 29, v35
	v_cndmask_b32_e32 v34, 0, v37, vcc
	v_cndmask_b32_e32 v36, v36, v35, vcc
	v_lshlrev_b64 v[34:35], v34, v[30:31]
	v_lshlrev_b32_e32 v34, 20, v34
	v_lshlrev_b32_e32 v35, 24, v30
	v_bfrev_b32_e32 v37, 60
	v_and_b32_e32 v34, 0x700000, v34
	v_and_b32_e32 v35, 0x80000000, v35
	v_lshl_add_u32 v36, v36, 23, v37
	v_or3_b32 v38, v35, v36, v34
.LBB467_116:
	s_or_b64 exec, exec, s[22:23]
.LBB467_117:
	s_or_b64 exec, exec, s[20:21]
.LBB467_118:
	s_or_b64 exec, exec, s[10:11]
	v_lshrrev_b16_e32 v34, 8, v30
	v_cmp_ne_u16_e32 vcc, 0, v34
	v_mov_b32_e32 v37, 0
	v_mov_b32_e32 v39, 0
	s_and_saveexec_b64 s[10:11], vcc
	s_cbranch_execz .LBB467_124
; %bb.119:
	s_movk_i32 s20, 0x80
	v_cmp_ne_u16_e32 vcc, s20, v34
	v_bfrev_b32_e32 v39, 1
	s_and_saveexec_b64 s[20:21], vcc
	s_cbranch_execz .LBB467_123
; %bb.120:
	s_movk_i32 s22, 0x7f
	v_and_b32_e32 v35, 0x7f, v34
	v_cmp_ne_u32_e32 vcc, s22, v35
	v_mov_b32_e32 v39, 0x7f800001
	s_and_saveexec_b64 s[22:23], vcc
	s_cbranch_execz .LBB467_122
; %bb.121:
	v_and_b32_e32 v36, 7, v34
	v_ffbh_u32_e32 v40, v36
	v_min_u32_e32 v46, 32, v40
	v_subrev_u32_e32 v40, 28, v46
	v_lshlrev_b64 v[40:41], v40, v[34:35]
	v_lshrrev_b32_e32 v39, 3, v35
	v_sub_u32_e32 v34, 29, v46
	v_and_b32_e32 v40, 7, v40
	v_cmp_gt_u32_e32 vcc, 8, v35
	v_cndmask_b32_e32 v34, v39, v34, vcc
	v_cndmask_b32_e32 v35, v36, v40, vcc
	v_lshlrev_b32_e32 v36, 16, v30
	v_bfrev_b32_e32 v39, 60
	v_lshlrev_b32_e32 v35, 20, v35
	v_and_b32_e32 v36, 0x80000000, v36
	v_lshl_add_u32 v34, v34, 23, v39
	v_or3_b32 v39, v36, v34, v35
.LBB467_122:
	s_or_b64 exec, exec, s[22:23]
.LBB467_123:
	s_or_b64 exec, exec, s[20:21]
.LBB467_124:
	s_or_b64 exec, exec, s[10:11]
	s_movk_i32 s10, 0xff
	v_and_b32_sdwa v35, v30, s10 dst_sel:DWORD dst_unused:UNUSED_PAD src0_sel:WORD_1 src1_sel:DWORD
	v_lshrrev_b32_e32 v34, 16, v30
	v_cmp_ne_u16_e32 vcc, 0, v35
	s_and_saveexec_b64 s[10:11], vcc
	s_cbranch_execz .LBB467_130
; %bb.125:
	s_movk_i32 s20, 0x80
	v_cmp_ne_u16_e32 vcc, s20, v35
	v_bfrev_b32_e32 v37, 1
	s_and_saveexec_b64 s[20:21], vcc
	s_cbranch_execz .LBB467_129
; %bb.126:
	v_bfe_u32 v35, v30, 16, 7
	s_movk_i32 s22, 0x7f
	v_cmp_ne_u32_e32 vcc, s22, v35
	v_mov_b32_e32 v37, 0x7f800001
	s_and_saveexec_b64 s[22:23], vcc
	s_cbranch_execz .LBB467_128
; %bb.127:
	v_and_b32_e32 v40, 7, v34
	v_ffbh_u32_e32 v36, v40
	v_min_u32_e32 v46, 32, v36
	v_subrev_u32_e32 v36, 28, v46
	v_lshlrev_b64 v[36:37], v36, v[34:35]
	v_and_b32_e32 v36, 7, v36
	v_cmp_gt_u32_e32 vcc, 8, v35
	v_lshrrev_b32_e32 v41, 3, v35
	v_sub_u32_e32 v34, 29, v46
	v_cndmask_b32_e32 v35, v40, v36, vcc
	v_mov_b32_e32 v36, 24
	v_cndmask_b32_e32 v34, v41, v34, vcc
	v_lshlrev_b32_sdwa v36, v36, v30 dst_sel:DWORD dst_unused:UNUSED_PAD src0_sel:DWORD src1_sel:WORD_1
	v_bfrev_b32_e32 v37, 60
	v_lshlrev_b32_e32 v35, 20, v35
	v_and_b32_e32 v36, 0x80000000, v36
	v_lshl_add_u32 v34, v34, 23, v37
	v_or3_b32 v37, v36, v34, v35
.LBB467_128:
	s_or_b64 exec, exec, s[22:23]
.LBB467_129:
	s_or_b64 exec, exec, s[20:21]
.LBB467_130:
	s_or_b64 exec, exec, s[10:11]
	s_mov_b32 s10, 0xffffff
	v_cmp_lt_u32_e32 vcc, s10, v30
	v_mov_b32_e32 v35, 0
	v_mov_b32_e32 v40, 0
	s_and_saveexec_b64 s[10:11], vcc
	s_cbranch_execz .LBB467_136
; %bb.131:
	v_lshrrev_b32_e32 v34, 24, v30
	s_movk_i32 s20, 0x80
	v_cmp_ne_u32_e32 vcc, s20, v34
	v_bfrev_b32_e32 v40, 1
	s_and_saveexec_b64 s[20:21], vcc
	s_cbranch_execz .LBB467_135
; %bb.132:
	v_bfe_u32 v36, v30, 24, 7
	s_movk_i32 s22, 0x7f
	v_cmp_ne_u32_e32 vcc, s22, v36
	v_mov_b32_e32 v40, 0x7f800001
	s_and_saveexec_b64 s[22:23], vcc
	s_cbranch_execz .LBB467_134
; %bb.133:
	v_and_b32_e32 v46, 7, v34
	v_ffbh_u32_e32 v40, v46
	v_min_u32_e32 v48, 32, v40
	v_subrev_u32_e32 v40, 28, v48
	v_lshlrev_b64 v[40:41], v40, v[34:35]
	v_lshrrev_b32_e32 v47, 3, v36
	v_sub_u32_e32 v41, 29, v48
	v_and_b32_e32 v40, 7, v40
	v_cmp_gt_u32_e32 vcc, 8, v36
	v_cndmask_b32_e32 v36, v47, v41, vcc
	v_cndmask_b32_e32 v40, v46, v40, vcc
	v_lshlrev_b32_e32 v34, 24, v34
	v_bfrev_b32_e32 v41, 60
	v_lshlrev_b32_e32 v40, 20, v40
	v_and_b32_e32 v34, 0x80000000, v34
	v_lshl_add_u32 v36, v36, 23, v41
	v_or3_b32 v40, v34, v36, v40
.LBB467_134:
	s_or_b64 exec, exec, s[22:23]
.LBB467_135:
	s_or_b64 exec, exec, s[20:21]
.LBB467_136:
	s_or_b64 exec, exec, s[10:11]
	v_mov_b32_e32 v34, v31
	v_cmp_ne_u16_sdwa s[20:21], v31, v35 src0_sel:BYTE_0 src1_sel:DWORD
	s_and_saveexec_b64 s[10:11], s[20:21]
	s_cbranch_execz .LBB467_142
; %bb.137:
	s_movk_i32 s20, 0x80
	v_cmp_ne_u16_sdwa s[22:23], v31, s20 src0_sel:BYTE_0 src1_sel:DWORD
	v_bfrev_b32_e32 v36, 1
	s_and_saveexec_b64 s[20:21], s[22:23]
	s_cbranch_execz .LBB467_141
; %bb.138:
	s_movk_i32 s22, 0x7f
	v_and_b32_e32 v41, 0x7f, v31
	v_cmp_ne_u32_e32 vcc, s22, v41
	v_mov_b32_e32 v36, 0x7f800001
	s_and_saveexec_b64 s[22:23], vcc
	s_cbranch_execz .LBB467_140
; %bb.139:
	v_and_b32_e32 v36, 7, v31
	v_ffbh_u32_e32 v36, v36
	v_min_u32_e32 v36, 32, v36
	v_subrev_u32_e32 v47, 28, v36
	v_cmp_gt_u32_e32 vcc, 8, v41
	v_lshrrev_b32_e32 v46, 3, v41
	v_sub_u32_e32 v36, 29, v36
	v_cndmask_b32_e32 v41, 0, v47, vcc
	v_cndmask_b32_e32 v36, v46, v36, vcc
	v_lshlrev_b64 v[46:47], v41, v[34:35]
	v_lshlrev_b32_e32 v35, 20, v46
	v_lshlrev_b32_e32 v41, 24, v34
	v_bfrev_b32_e32 v46, 60
	v_and_b32_e32 v35, 0x700000, v35
	v_and_b32_e32 v41, 0x80000000, v41
	v_lshl_add_u32 v36, v36, 23, v46
	v_or3_b32 v36, v41, v36, v35
.LBB467_140:
	s_or_b64 exec, exec, s[22:23]
.LBB467_141:
	s_or_b64 exec, exec, s[20:21]
	v_mov_b32_e32 v35, v36
.LBB467_142:
	s_or_b64 exec, exec, s[10:11]
	v_lshrrev_b16_e32 v36, 8, v34
	v_cmp_ne_u16_e32 vcc, 0, v36
	v_mov_b32_e32 v41, 0
	v_mov_b32_e32 v46, 0
	s_and_saveexec_b64 s[10:11], vcc
	s_cbranch_execz .LBB467_148
; %bb.143:
	s_movk_i32 s20, 0x80
	v_cmp_ne_u16_e32 vcc, s20, v36
	v_bfrev_b32_e32 v46, 1
	s_and_saveexec_b64 s[20:21], vcc
	s_cbranch_execz .LBB467_147
; %bb.144:
	s_movk_i32 s22, 0x7f
	v_and_b32_e32 v47, 0x7f, v36
	v_cmp_ne_u32_e32 vcc, s22, v47
	v_mov_b32_e32 v46, 0x7f800001
	s_and_saveexec_b64 s[22:23], vcc
	s_cbranch_execz .LBB467_146
; %bb.145:
	v_and_b32_e32 v46, 7, v36
	v_ffbh_u32_e32 v48, v46
	v_min_u32_e32 v51, 32, v48
	v_subrev_u32_e32 v48, 28, v51
	v_lshlrev_b64 v[48:49], v48, v[36:37]
	v_lshrrev_b32_e32 v50, 3, v47
	v_sub_u32_e32 v36, 29, v51
	v_and_b32_e32 v48, 7, v48
	v_cmp_gt_u32_e32 vcc, 8, v47
	v_cndmask_b32_e32 v36, v50, v36, vcc
	v_cndmask_b32_e32 v46, v46, v48, vcc
	v_lshlrev_b32_e32 v34, 16, v34
	v_bfrev_b32_e32 v47, 60
	v_lshlrev_b32_e32 v46, 20, v46
	v_and_b32_e32 v34, 0x80000000, v34
	v_lshl_add_u32 v36, v36, 23, v47
	v_or3_b32 v46, v34, v36, v46
.LBB467_146:
	s_or_b64 exec, exec, s[22:23]
.LBB467_147:
	s_or_b64 exec, exec, s[20:21]
.LBB467_148:
	s_or_b64 exec, exec, s[10:11]
	s_movk_i32 s10, 0xff
	v_and_b32_sdwa v36, v31, s10 dst_sel:DWORD dst_unused:UNUSED_PAD src0_sel:WORD_1 src1_sel:DWORD
	v_lshrrev_b32_e32 v34, 16, v31
	v_cmp_ne_u16_e32 vcc, 0, v36
	s_and_saveexec_b64 s[10:11], vcc
	s_cbranch_execz .LBB467_154
; %bb.149:
	s_movk_i32 s20, 0x80
	v_cmp_ne_u16_e32 vcc, s20, v36
	v_bfrev_b32_e32 v41, 1
	s_and_saveexec_b64 s[20:21], vcc
	s_cbranch_execz .LBB467_153
; %bb.150:
	v_bfe_u32 v36, v31, 16, 7
	s_movk_i32 s22, 0x7f
	v_cmp_ne_u32_e32 vcc, s22, v36
	v_mov_b32_e32 v41, 0x7f800001
	s_and_saveexec_b64 s[22:23], vcc
	s_cbranch_execz .LBB467_152
; %bb.151:
	v_and_b32_e32 v41, 7, v34
	v_ffbh_u32_e32 v48, v41
	v_min_u32_e32 v50, 32, v48
	v_subrev_u32_e32 v48, 28, v50
	v_lshlrev_b64 v[48:49], v48, v[34:35]
	v_and_b32_e32 v48, 7, v48
	v_cmp_gt_u32_e32 vcc, 8, v36
	v_lshrrev_b32_e32 v47, 3, v36
	v_sub_u32_e32 v34, 29, v50
	v_cndmask_b32_e32 v36, v41, v48, vcc
	v_mov_b32_e32 v41, 24
	v_cndmask_b32_e32 v34, v47, v34, vcc
	v_lshlrev_b32_sdwa v41, v41, v31 dst_sel:DWORD dst_unused:UNUSED_PAD src0_sel:DWORD src1_sel:WORD_1
	v_bfrev_b32_e32 v47, 60
	v_lshlrev_b32_e32 v36, 20, v36
	v_and_b32_e32 v41, 0x80000000, v41
	v_lshl_add_u32 v34, v34, 23, v47
	v_or3_b32 v41, v41, v34, v36
.LBB467_152:
	s_or_b64 exec, exec, s[22:23]
.LBB467_153:
	s_or_b64 exec, exec, s[20:21]
.LBB467_154:
	s_or_b64 exec, exec, s[10:11]
	s_mov_b32 s10, -1
	s_mov_b32 s11, 0xffffff
	v_cmp_lt_u64_e32 vcc, s[10:11], v[30:31]
	v_mov_b32_e32 v36, 0
	v_mov_b32_e32 v34, 0
	s_and_saveexec_b64 s[10:11], vcc
	s_cbranch_execz .LBB467_160
; %bb.155:
	v_lshrrev_b32_e32 v30, 24, v31
	s_movk_i32 s20, 0x80
	v_cmp_ne_u32_e32 vcc, s20, v30
	v_bfrev_b32_e32 v34, 1
	s_and_saveexec_b64 s[20:21], vcc
	s_cbranch_execz .LBB467_159
; %bb.156:
	v_bfe_u32 v31, v31, 24, 7
	s_movk_i32 s22, 0x7f
	v_cmp_ne_u32_e32 vcc, s22, v31
	v_mov_b32_e32 v34, 0x7f800001
	s_and_saveexec_b64 s[22:23], vcc
	s_cbranch_execz .LBB467_158
; %bb.157:
	v_and_b32_e32 v34, 7, v30
	v_ffbh_u32_e32 v48, v34
	v_min_u32_e32 v50, 32, v48
	v_subrev_u32_e32 v48, 28, v50
	v_lshlrev_b64 v[48:49], v48, v[30:31]
	v_lshrrev_b32_e32 v47, 3, v31
	v_sub_u32_e32 v49, 29, v50
	v_and_b32_e32 v48, 7, v48
	v_cmp_gt_u32_e32 vcc, 8, v31
	v_cndmask_b32_e32 v31, v47, v49, vcc
	v_cndmask_b32_e32 v34, v34, v48, vcc
	v_lshlrev_b32_e32 v30, 24, v30
	v_bfrev_b32_e32 v47, 60
	v_lshlrev_b32_e32 v34, 20, v34
	v_and_b32_e32 v30, 0x80000000, v30
	v_lshl_add_u32 v31, v31, 23, v47
	v_or3_b32 v34, v30, v31, v34
.LBB467_158:
	s_or_b64 exec, exec, s[22:23]
.LBB467_159:
	s_or_b64 exec, exec, s[20:21]
.LBB467_160:
	s_or_b64 exec, exec, s[10:11]
	v_cvt_pkrtz_f16_f32 v30, v38, v39
	v_cvt_pkrtz_f16_f32 v31, v37, v40
	;; [unrolled: 1-line block ×4, first 2 shown]
	v_mfma_f32_4x4x4f16 a[0:3], v[2:3], v[30:31], a[0:3] cbsz:4 abid:2
	v_cmp_ne_u16_sdwa s[20:21], v32, v36 src0_sel:BYTE_0 src1_sel:DWORD
	v_mfma_f32_4x4x4f16 a[0:3], v[4:5], v[38:39], a[0:3] cbsz:4 abid:2
	s_and_saveexec_b64 s[10:11], s[20:21]
	s_cbranch_execz .LBB467_166
; %bb.161:
	s_movk_i32 s20, 0x80
	v_cmp_ne_u16_sdwa s[22:23], v32, s20 src0_sel:BYTE_0 src1_sel:DWORD
	v_bfrev_b32_e32 v36, 1
	s_and_saveexec_b64 s[20:21], s[22:23]
	s_cbranch_execz .LBB467_165
; %bb.162:
	s_movk_i32 s22, 0x7f
	v_and_b32_e32 v30, 0x7f, v32
	v_cmp_ne_u32_e32 vcc, s22, v30
	v_mov_b32_e32 v36, 0x7f800001
	s_and_saveexec_b64 s[22:23], vcc
	s_cbranch_execz .LBB467_164
; %bb.163:
	v_and_b32_e32 v31, 7, v32
	v_ffbh_u32_e32 v31, v31
	v_min_u32_e32 v31, 32, v31
	v_subrev_u32_e32 v35, 28, v31
	v_cmp_gt_u32_e32 vcc, 8, v30
	v_lshrrev_b32_e32 v34, 3, v30
	v_sub_u32_e32 v31, 29, v31
	v_cndmask_b32_e32 v30, 0, v35, vcc
	v_cndmask_b32_e32 v34, v34, v31, vcc
	v_lshlrev_b64 v[30:31], v30, v[32:33]
	v_lshlrev_b32_e32 v30, 20, v30
	v_lshlrev_b32_e32 v31, 24, v32
	v_bfrev_b32_e32 v35, 60
	v_and_b32_e32 v30, 0x700000, v30
	v_and_b32_e32 v31, 0x80000000, v31
	v_lshl_add_u32 v34, v34, 23, v35
	v_or3_b32 v36, v31, v34, v30
.LBB467_164:
	s_or_b64 exec, exec, s[22:23]
.LBB467_165:
	s_or_b64 exec, exec, s[20:21]
.LBB467_166:
	s_or_b64 exec, exec, s[10:11]
	v_lshrrev_b16_e32 v30, 8, v32
	v_cmp_ne_u16_e32 vcc, 0, v30
	v_mov_b32_e32 v35, 0
	v_mov_b32_e32 v37, 0
	s_and_saveexec_b64 s[10:11], vcc
	s_cbranch_execz .LBB467_172
; %bb.167:
	s_movk_i32 s20, 0x80
	v_cmp_ne_u16_e32 vcc, s20, v30
	v_bfrev_b32_e32 v37, 1
	s_and_saveexec_b64 s[20:21], vcc
	s_cbranch_execz .LBB467_171
; %bb.168:
	s_movk_i32 s22, 0x7f
	v_and_b32_e32 v31, 0x7f, v30
	v_cmp_ne_u32_e32 vcc, s22, v31
	v_mov_b32_e32 v37, 0x7f800001
	s_and_saveexec_b64 s[22:23], vcc
	s_cbranch_execz .LBB467_170
; %bb.169:
	v_and_b32_e32 v34, 7, v30
	v_ffbh_u32_e32 v38, v34
	v_min_u32_e32 v40, 32, v38
	v_subrev_u32_e32 v38, 28, v40
	v_lshlrev_b64 v[38:39], v38, v[30:31]
	v_lshrrev_b32_e32 v37, 3, v31
	v_sub_u32_e32 v30, 29, v40
	v_and_b32_e32 v38, 7, v38
	v_cmp_gt_u32_e32 vcc, 8, v31
	v_cndmask_b32_e32 v30, v37, v30, vcc
	v_cndmask_b32_e32 v31, v34, v38, vcc
	v_lshlrev_b32_e32 v34, 16, v32
	v_bfrev_b32_e32 v37, 60
	v_lshlrev_b32_e32 v31, 20, v31
	v_and_b32_e32 v34, 0x80000000, v34
	v_lshl_add_u32 v30, v30, 23, v37
	v_or3_b32 v37, v34, v30, v31
.LBB467_170:
	s_or_b64 exec, exec, s[22:23]
.LBB467_171:
	s_or_b64 exec, exec, s[20:21]
.LBB467_172:
	s_or_b64 exec, exec, s[10:11]
	s_movk_i32 s10, 0xff
	v_and_b32_sdwa v31, v32, s10 dst_sel:DWORD dst_unused:UNUSED_PAD src0_sel:WORD_1 src1_sel:DWORD
	v_lshrrev_b32_e32 v30, 16, v32
	v_cmp_ne_u16_e32 vcc, 0, v31
	s_and_saveexec_b64 s[10:11], vcc
	s_cbranch_execz .LBB467_178
; %bb.173:
	s_movk_i32 s20, 0x80
	v_cmp_ne_u16_e32 vcc, s20, v31
	v_bfrev_b32_e32 v35, 1
	s_and_saveexec_b64 s[20:21], vcc
	s_cbranch_execz .LBB467_177
; %bb.174:
	v_bfe_u32 v31, v32, 16, 7
	s_movk_i32 s22, 0x7f
	v_cmp_ne_u32_e32 vcc, s22, v31
	v_mov_b32_e32 v35, 0x7f800001
	s_and_saveexec_b64 s[22:23], vcc
	s_cbranch_execz .LBB467_176
; %bb.175:
	v_and_b32_e32 v38, 7, v30
	v_ffbh_u32_e32 v34, v38
	v_min_u32_e32 v40, 32, v34
	v_subrev_u32_e32 v34, 28, v40
	v_lshlrev_b64 v[34:35], v34, v[30:31]
	v_and_b32_e32 v34, 7, v34
	v_cmp_gt_u32_e32 vcc, 8, v31
	v_lshrrev_b32_e32 v39, 3, v31
	v_sub_u32_e32 v30, 29, v40
	v_cndmask_b32_e32 v31, v38, v34, vcc
	v_mov_b32_e32 v34, 24
	v_cndmask_b32_e32 v30, v39, v30, vcc
	v_lshlrev_b32_sdwa v34, v34, v32 dst_sel:DWORD dst_unused:UNUSED_PAD src0_sel:DWORD src1_sel:WORD_1
	v_bfrev_b32_e32 v35, 60
	v_lshlrev_b32_e32 v31, 20, v31
	v_and_b32_e32 v34, 0x80000000, v34
	v_lshl_add_u32 v30, v30, 23, v35
	v_or3_b32 v35, v34, v30, v31
.LBB467_176:
	s_or_b64 exec, exec, s[22:23]
.LBB467_177:
	s_or_b64 exec, exec, s[20:21]
.LBB467_178:
	s_or_b64 exec, exec, s[10:11]
	s_mov_b32 s10, 0xffffff
	v_cmp_lt_u32_e32 vcc, s10, v32
	v_mov_b32_e32 v31, 0
	v_mov_b32_e32 v38, 0
	s_and_saveexec_b64 s[10:11], vcc
	s_cbranch_execz .LBB467_184
; %bb.179:
	v_lshrrev_b32_e32 v30, 24, v32
	s_movk_i32 s20, 0x80
	v_cmp_ne_u32_e32 vcc, s20, v30
	v_bfrev_b32_e32 v38, 1
	s_and_saveexec_b64 s[20:21], vcc
	s_cbranch_execz .LBB467_183
; %bb.180:
	v_bfe_u32 v34, v32, 24, 7
	s_movk_i32 s22, 0x7f
	v_cmp_ne_u32_e32 vcc, s22, v34
	v_mov_b32_e32 v38, 0x7f800001
	s_and_saveexec_b64 s[22:23], vcc
	s_cbranch_execz .LBB467_182
; %bb.181:
	v_and_b32_e32 v40, 7, v30
	v_ffbh_u32_e32 v38, v40
	v_min_u32_e32 v46, 32, v38
	v_subrev_u32_e32 v38, 28, v46
	v_lshlrev_b64 v[38:39], v38, v[30:31]
	v_lshrrev_b32_e32 v41, 3, v34
	v_sub_u32_e32 v39, 29, v46
	v_and_b32_e32 v38, 7, v38
	v_cmp_gt_u32_e32 vcc, 8, v34
	v_cndmask_b32_e32 v34, v41, v39, vcc
	v_cndmask_b32_e32 v38, v40, v38, vcc
	v_lshlrev_b32_e32 v30, 24, v30
	v_bfrev_b32_e32 v39, 60
	v_lshlrev_b32_e32 v38, 20, v38
	v_and_b32_e32 v30, 0x80000000, v30
	v_lshl_add_u32 v34, v34, 23, v39
	v_or3_b32 v38, v30, v34, v38
.LBB467_182:
	s_or_b64 exec, exec, s[22:23]
.LBB467_183:
	s_or_b64 exec, exec, s[20:21]
.LBB467_184:
	s_or_b64 exec, exec, s[10:11]
	v_mov_b32_e32 v30, v33
	v_cmp_ne_u16_sdwa s[20:21], v33, v31 src0_sel:BYTE_0 src1_sel:DWORD
	s_and_saveexec_b64 s[10:11], s[20:21]
	s_cbranch_execz .LBB467_190
; %bb.185:
	s_movk_i32 s20, 0x80
	v_cmp_ne_u16_sdwa s[22:23], v33, s20 src0_sel:BYTE_0 src1_sel:DWORD
	v_bfrev_b32_e32 v34, 1
	s_and_saveexec_b64 s[20:21], s[22:23]
	s_cbranch_execz .LBB467_189
; %bb.186:
	s_movk_i32 s22, 0x7f
	v_and_b32_e32 v39, 0x7f, v33
	v_cmp_ne_u32_e32 vcc, s22, v39
	v_mov_b32_e32 v34, 0x7f800001
	s_and_saveexec_b64 s[22:23], vcc
	s_cbranch_execz .LBB467_188
; %bb.187:
	v_and_b32_e32 v34, 7, v33
	v_ffbh_u32_e32 v34, v34
	v_min_u32_e32 v34, 32, v34
	v_subrev_u32_e32 v41, 28, v34
	v_cmp_gt_u32_e32 vcc, 8, v39
	v_lshrrev_b32_e32 v40, 3, v39
	v_sub_u32_e32 v34, 29, v34
	v_cndmask_b32_e32 v39, 0, v41, vcc
	v_cndmask_b32_e32 v34, v40, v34, vcc
	v_lshlrev_b64 v[40:41], v39, v[30:31]
	v_lshlrev_b32_e32 v31, 20, v40
	v_lshlrev_b32_e32 v39, 24, v30
	v_bfrev_b32_e32 v40, 60
	v_and_b32_e32 v31, 0x700000, v31
	v_and_b32_e32 v39, 0x80000000, v39
	v_lshl_add_u32 v34, v34, 23, v40
	v_or3_b32 v34, v39, v34, v31
.LBB467_188:
	s_or_b64 exec, exec, s[22:23]
.LBB467_189:
	s_or_b64 exec, exec, s[20:21]
	v_mov_b32_e32 v31, v34
.LBB467_190:
	s_or_b64 exec, exec, s[10:11]
	v_lshrrev_b16_e32 v34, 8, v30
	v_cmp_ne_u16_e32 vcc, 0, v34
	v_mov_b32_e32 v39, 0
	v_mov_b32_e32 v40, 0
	s_and_saveexec_b64 s[10:11], vcc
	s_cbranch_execz .LBB467_196
; %bb.191:
	s_movk_i32 s20, 0x80
	v_cmp_ne_u16_e32 vcc, s20, v34
	v_bfrev_b32_e32 v40, 1
	s_and_saveexec_b64 s[20:21], vcc
	s_cbranch_execz .LBB467_195
; %bb.192:
	s_movk_i32 s22, 0x7f
	v_and_b32_e32 v41, 0x7f, v34
	v_cmp_ne_u32_e32 vcc, s22, v41
	v_mov_b32_e32 v40, 0x7f800001
	s_and_saveexec_b64 s[22:23], vcc
	s_cbranch_execz .LBB467_194
; %bb.193:
	v_and_b32_e32 v40, 7, v34
	v_ffbh_u32_e32 v46, v40
	v_min_u32_e32 v49, 32, v46
	v_subrev_u32_e32 v46, 28, v49
	v_lshlrev_b64 v[46:47], v46, v[34:35]
	v_lshrrev_b32_e32 v48, 3, v41
	v_sub_u32_e32 v34, 29, v49
	v_and_b32_e32 v46, 7, v46
	v_cmp_gt_u32_e32 vcc, 8, v41
	v_cndmask_b32_e32 v34, v48, v34, vcc
	v_cndmask_b32_e32 v40, v40, v46, vcc
	v_lshlrev_b32_e32 v30, 16, v30
	v_bfrev_b32_e32 v41, 60
	v_lshlrev_b32_e32 v40, 20, v40
	v_and_b32_e32 v30, 0x80000000, v30
	v_lshl_add_u32 v34, v34, 23, v41
	v_or3_b32 v40, v30, v34, v40
.LBB467_194:
	s_or_b64 exec, exec, s[22:23]
.LBB467_195:
	s_or_b64 exec, exec, s[20:21]
.LBB467_196:
	s_or_b64 exec, exec, s[10:11]
	s_movk_i32 s10, 0xff
	v_and_b32_sdwa v34, v33, s10 dst_sel:DWORD dst_unused:UNUSED_PAD src0_sel:WORD_1 src1_sel:DWORD
	v_lshrrev_b32_e32 v30, 16, v33
	v_cmp_ne_u16_e32 vcc, 0, v34
	s_and_saveexec_b64 s[10:11], vcc
	s_cbranch_execz .LBB467_202
; %bb.197:
	s_movk_i32 s20, 0x80
	v_cmp_ne_u16_e32 vcc, s20, v34
	v_bfrev_b32_e32 v39, 1
	s_and_saveexec_b64 s[20:21], vcc
	s_cbranch_execz .LBB467_201
; %bb.198:
	v_bfe_u32 v34, v33, 16, 7
	s_movk_i32 s22, 0x7f
	v_cmp_ne_u32_e32 vcc, s22, v34
	v_mov_b32_e32 v39, 0x7f800001
	s_and_saveexec_b64 s[22:23], vcc
	s_cbranch_execz .LBB467_200
; %bb.199:
	v_and_b32_e32 v39, 7, v30
	v_ffbh_u32_e32 v46, v39
	v_min_u32_e32 v48, 32, v46
	v_subrev_u32_e32 v46, 28, v48
	v_lshlrev_b64 v[46:47], v46, v[30:31]
	v_and_b32_e32 v46, 7, v46
	v_cmp_gt_u32_e32 vcc, 8, v34
	v_lshrrev_b32_e32 v41, 3, v34
	v_sub_u32_e32 v30, 29, v48
	v_cndmask_b32_e32 v34, v39, v46, vcc
	v_mov_b32_e32 v39, 24
	v_cndmask_b32_e32 v30, v41, v30, vcc
	v_lshlrev_b32_sdwa v39, v39, v33 dst_sel:DWORD dst_unused:UNUSED_PAD src0_sel:DWORD src1_sel:WORD_1
	v_bfrev_b32_e32 v41, 60
	v_lshlrev_b32_e32 v34, 20, v34
	v_and_b32_e32 v39, 0x80000000, v39
	v_lshl_add_u32 v30, v30, 23, v41
	v_or3_b32 v39, v39, v30, v34
.LBB467_200:
	s_or_b64 exec, exec, s[22:23]
.LBB467_201:
	s_or_b64 exec, exec, s[20:21]
.LBB467_202:
	s_or_b64 exec, exec, s[10:11]
	s_mov_b32 s10, -1
	s_mov_b32 s11, 0xffffff
	v_cmp_lt_u64_e32 vcc, s[10:11], v[32:33]
	v_mov_b32_e32 v34, 0
	v_mov_b32_e32 v32, 0
	s_and_saveexec_b64 s[10:11], vcc
	s_cbranch_execz .LBB467_208
; %bb.203:
	v_lshrrev_b32_e32 v30, 24, v33
	s_movk_i32 s20, 0x80
	v_cmp_ne_u32_e32 vcc, s20, v30
	v_bfrev_b32_e32 v32, 1
	s_and_saveexec_b64 s[20:21], vcc
	s_cbranch_execz .LBB467_207
; %bb.204:
	v_bfe_u32 v33, v33, 24, 7
	s_movk_i32 s22, 0x7f
	v_cmp_ne_u32_e32 vcc, s22, v33
	v_mov_b32_e32 v32, 0x7f800001
	s_and_saveexec_b64 s[22:23], vcc
	s_cbranch_execz .LBB467_206
; %bb.205:
	v_and_b32_e32 v32, 7, v30
	v_ffbh_u32_e32 v46, v32
	v_min_u32_e32 v48, 32, v46
	v_subrev_u32_e32 v46, 28, v48
	v_lshlrev_b64 v[46:47], v46, v[30:31]
	v_lshrrev_b32_e32 v41, 3, v33
	v_sub_u32_e32 v47, 29, v48
	v_and_b32_e32 v46, 7, v46
	v_cmp_gt_u32_e32 vcc, 8, v33
	v_cndmask_b32_e32 v33, v41, v47, vcc
	v_cndmask_b32_e32 v32, v32, v46, vcc
	v_lshlrev_b32_e32 v30, 24, v30
	v_bfrev_b32_e32 v41, 60
	v_lshlrev_b32_e32 v32, 20, v32
	v_and_b32_e32 v30, 0x80000000, v30
	v_lshl_add_u32 v33, v33, 23, v41
	v_or3_b32 v32, v30, v33, v32
.LBB467_206:
	s_or_b64 exec, exec, s[22:23]
.LBB467_207:
	s_or_b64 exec, exec, s[20:21]
.LBB467_208:
	s_or_b64 exec, exec, s[10:11]
	v_cvt_pkrtz_f16_f32 v36, v36, v37
	v_cvt_pkrtz_f16_f32 v37, v35, v38
	v_cvt_pkrtz_f16_f32 v30, v31, v40
	v_cvt_pkrtz_f16_f32 v31, v39, v32
	v_mfma_f32_4x4x4f16 a[0:3], v[2:3], v[36:37], a[0:3] cbsz:4 abid:3
	v_cmp_ne_u16_sdwa s[20:21], v26, v34 src0_sel:BYTE_0 src1_sel:DWORD
	v_mfma_f32_4x4x4f16 a[0:3], v[4:5], v[30:31], a[0:3] cbsz:4 abid:3
	s_and_saveexec_b64 s[10:11], s[20:21]
	s_cbranch_execz .LBB467_214
; %bb.209:
	s_movk_i32 s20, 0x80
	v_cmp_ne_u16_sdwa s[22:23], v26, s20 src0_sel:BYTE_0 src1_sel:DWORD
	v_bfrev_b32_e32 v34, 1
	s_and_saveexec_b64 s[20:21], s[22:23]
	s_cbranch_execz .LBB467_213
; %bb.210:
	s_movk_i32 s22, 0x7f
	v_and_b32_e32 v30, 0x7f, v26
	v_cmp_ne_u32_e32 vcc, s22, v30
	v_mov_b32_e32 v34, 0x7f800001
	s_and_saveexec_b64 s[22:23], vcc
	s_cbranch_execz .LBB467_212
; %bb.211:
	v_and_b32_e32 v31, 7, v26
	v_ffbh_u32_e32 v31, v31
	v_min_u32_e32 v31, 32, v31
	v_subrev_u32_e32 v33, 28, v31
	v_cmp_gt_u32_e32 vcc, 8, v30
	v_lshrrev_b32_e32 v32, 3, v30
	v_sub_u32_e32 v31, 29, v31
	v_cndmask_b32_e32 v30, 0, v33, vcc
	v_cndmask_b32_e32 v32, v32, v31, vcc
	v_lshlrev_b64 v[30:31], v30, v[26:27]
	v_lshlrev_b32_e32 v30, 20, v30
	v_lshlrev_b32_e32 v31, 24, v26
	v_bfrev_b32_e32 v33, 60
	v_and_b32_e32 v30, 0x700000, v30
	v_and_b32_e32 v31, 0x80000000, v31
	v_lshl_add_u32 v32, v32, 23, v33
	v_or3_b32 v34, v31, v32, v30
.LBB467_212:
	s_or_b64 exec, exec, s[22:23]
.LBB467_213:
	s_or_b64 exec, exec, s[20:21]
.LBB467_214:
	s_or_b64 exec, exec, s[10:11]
	v_lshrrev_b16_e32 v30, 8, v26
	v_cmp_ne_u16_e32 vcc, 0, v30
	v_mov_b32_e32 v33, 0
	v_mov_b32_e32 v35, 0
	s_and_saveexec_b64 s[10:11], vcc
	s_cbranch_execz .LBB467_220
; %bb.215:
	s_movk_i32 s20, 0x80
	v_cmp_ne_u16_e32 vcc, s20, v30
	v_bfrev_b32_e32 v35, 1
	s_and_saveexec_b64 s[20:21], vcc
	s_cbranch_execz .LBB467_219
; %bb.216:
	s_movk_i32 s22, 0x7f
	v_and_b32_e32 v31, 0x7f, v30
	v_cmp_ne_u32_e32 vcc, s22, v31
	v_mov_b32_e32 v35, 0x7f800001
	s_and_saveexec_b64 s[22:23], vcc
	s_cbranch_execz .LBB467_218
; %bb.217:
	v_and_b32_e32 v32, 7, v30
	v_ffbh_u32_e32 v36, v32
	v_min_u32_e32 v38, 32, v36
	v_subrev_u32_e32 v36, 28, v38
	v_lshlrev_b64 v[36:37], v36, v[30:31]
	v_lshrrev_b32_e32 v35, 3, v31
	v_sub_u32_e32 v30, 29, v38
	v_and_b32_e32 v36, 7, v36
	v_cmp_gt_u32_e32 vcc, 8, v31
	v_cndmask_b32_e32 v30, v35, v30, vcc
	v_cndmask_b32_e32 v31, v32, v36, vcc
	v_lshlrev_b32_e32 v32, 16, v26
	v_bfrev_b32_e32 v35, 60
	v_lshlrev_b32_e32 v31, 20, v31
	v_and_b32_e32 v32, 0x80000000, v32
	v_lshl_add_u32 v30, v30, 23, v35
	v_or3_b32 v35, v32, v30, v31
.LBB467_218:
	s_or_b64 exec, exec, s[22:23]
.LBB467_219:
	s_or_b64 exec, exec, s[20:21]
.LBB467_220:
	s_or_b64 exec, exec, s[10:11]
	s_movk_i32 s10, 0xff
	v_and_b32_sdwa v31, v26, s10 dst_sel:DWORD dst_unused:UNUSED_PAD src0_sel:WORD_1 src1_sel:DWORD
	v_lshrrev_b32_e32 v30, 16, v26
	v_cmp_ne_u16_e32 vcc, 0, v31
	s_and_saveexec_b64 s[10:11], vcc
	s_cbranch_execz .LBB467_226
; %bb.221:
	s_movk_i32 s20, 0x80
	v_cmp_ne_u16_e32 vcc, s20, v31
	v_bfrev_b32_e32 v33, 1
	s_and_saveexec_b64 s[20:21], vcc
	s_cbranch_execz .LBB467_225
; %bb.222:
	v_bfe_u32 v31, v26, 16, 7
	s_movk_i32 s22, 0x7f
	v_cmp_ne_u32_e32 vcc, s22, v31
	v_mov_b32_e32 v33, 0x7f800001
	s_and_saveexec_b64 s[22:23], vcc
	s_cbranch_execz .LBB467_224
; %bb.223:
	v_and_b32_e32 v36, 7, v30
	v_ffbh_u32_e32 v32, v36
	v_min_u32_e32 v38, 32, v32
	v_subrev_u32_e32 v32, 28, v38
	v_lshlrev_b64 v[32:33], v32, v[30:31]
	v_and_b32_e32 v32, 7, v32
	v_cmp_gt_u32_e32 vcc, 8, v31
	v_lshrrev_b32_e32 v37, 3, v31
	v_sub_u32_e32 v30, 29, v38
	v_cndmask_b32_e32 v31, v36, v32, vcc
	v_mov_b32_e32 v32, 24
	v_cndmask_b32_e32 v30, v37, v30, vcc
	v_lshlrev_b32_sdwa v32, v32, v26 dst_sel:DWORD dst_unused:UNUSED_PAD src0_sel:DWORD src1_sel:WORD_1
	v_bfrev_b32_e32 v33, 60
	v_lshlrev_b32_e32 v31, 20, v31
	v_and_b32_e32 v32, 0x80000000, v32
	v_lshl_add_u32 v30, v30, 23, v33
	v_or3_b32 v33, v32, v30, v31
.LBB467_224:
	s_or_b64 exec, exec, s[22:23]
.LBB467_225:
	s_or_b64 exec, exec, s[20:21]
.LBB467_226:
	s_or_b64 exec, exec, s[10:11]
	s_mov_b32 s10, 0xffffff
	v_cmp_lt_u32_e32 vcc, s10, v26
	v_mov_b32_e32 v31, 0
	v_mov_b32_e32 v36, 0
	s_and_saveexec_b64 s[10:11], vcc
	s_cbranch_execz .LBB467_232
; %bb.227:
	v_lshrrev_b32_e32 v30, 24, v26
	s_movk_i32 s20, 0x80
	v_cmp_ne_u32_e32 vcc, s20, v30
	v_bfrev_b32_e32 v36, 1
	s_and_saveexec_b64 s[20:21], vcc
	s_cbranch_execz .LBB467_231
; %bb.228:
	v_bfe_u32 v32, v26, 24, 7
	s_movk_i32 s22, 0x7f
	v_cmp_ne_u32_e32 vcc, s22, v32
	v_mov_b32_e32 v36, 0x7f800001
	s_and_saveexec_b64 s[22:23], vcc
	s_cbranch_execz .LBB467_230
; %bb.229:
	v_and_b32_e32 v38, 7, v30
	v_ffbh_u32_e32 v36, v38
	v_min_u32_e32 v40, 32, v36
	v_subrev_u32_e32 v36, 28, v40
	v_lshlrev_b64 v[36:37], v36, v[30:31]
	v_lshrrev_b32_e32 v39, 3, v32
	v_sub_u32_e32 v37, 29, v40
	v_and_b32_e32 v36, 7, v36
	v_cmp_gt_u32_e32 vcc, 8, v32
	v_cndmask_b32_e32 v32, v39, v37, vcc
	v_cndmask_b32_e32 v36, v38, v36, vcc
	v_lshlrev_b32_e32 v30, 24, v30
	v_bfrev_b32_e32 v37, 60
	v_lshlrev_b32_e32 v36, 20, v36
	v_and_b32_e32 v30, 0x80000000, v30
	v_lshl_add_u32 v32, v32, 23, v37
	v_or3_b32 v36, v30, v32, v36
.LBB467_230:
	s_or_b64 exec, exec, s[22:23]
.LBB467_231:
	s_or_b64 exec, exec, s[20:21]
.LBB467_232:
	s_or_b64 exec, exec, s[10:11]
	v_mov_b32_e32 v30, v27
	v_cmp_ne_u16_sdwa s[20:21], v27, v31 src0_sel:BYTE_0 src1_sel:DWORD
	s_and_saveexec_b64 s[10:11], s[20:21]
	s_cbranch_execz .LBB467_238
; %bb.233:
	s_movk_i32 s20, 0x80
	v_cmp_ne_u16_sdwa s[22:23], v27, s20 src0_sel:BYTE_0 src1_sel:DWORD
	v_bfrev_b32_e32 v32, 1
	s_and_saveexec_b64 s[20:21], s[22:23]
	s_cbranch_execz .LBB467_237
; %bb.234:
	s_movk_i32 s22, 0x7f
	v_and_b32_e32 v37, 0x7f, v27
	v_cmp_ne_u32_e32 vcc, s22, v37
	v_mov_b32_e32 v32, 0x7f800001
	s_and_saveexec_b64 s[22:23], vcc
	s_cbranch_execz .LBB467_236
; %bb.235:
	v_and_b32_e32 v32, 7, v27
	v_ffbh_u32_e32 v32, v32
	v_min_u32_e32 v32, 32, v32
	v_subrev_u32_e32 v39, 28, v32
	v_cmp_gt_u32_e32 vcc, 8, v37
	v_lshrrev_b32_e32 v38, 3, v37
	v_sub_u32_e32 v32, 29, v32
	v_cndmask_b32_e32 v37, 0, v39, vcc
	v_cndmask_b32_e32 v32, v38, v32, vcc
	v_lshlrev_b64 v[38:39], v37, v[30:31]
	v_lshlrev_b32_e32 v31, 20, v38
	v_lshlrev_b32_e32 v37, 24, v30
	v_bfrev_b32_e32 v38, 60
	v_and_b32_e32 v31, 0x700000, v31
	v_and_b32_e32 v37, 0x80000000, v37
	v_lshl_add_u32 v32, v32, 23, v38
	v_or3_b32 v32, v37, v32, v31
.LBB467_236:
	s_or_b64 exec, exec, s[22:23]
.LBB467_237:
	s_or_b64 exec, exec, s[20:21]
	v_mov_b32_e32 v31, v32
.LBB467_238:
	s_or_b64 exec, exec, s[10:11]
	v_lshrrev_b16_e32 v32, 8, v30
	v_cmp_ne_u16_e32 vcc, 0, v32
	v_mov_b32_e32 v37, 0
	v_mov_b32_e32 v38, 0
	s_and_saveexec_b64 s[10:11], vcc
	s_cbranch_execz .LBB467_244
; %bb.239:
	s_movk_i32 s20, 0x80
	v_cmp_ne_u16_e32 vcc, s20, v32
	v_bfrev_b32_e32 v38, 1
	s_and_saveexec_b64 s[20:21], vcc
	s_cbranch_execz .LBB467_243
; %bb.240:
	s_movk_i32 s22, 0x7f
	v_and_b32_e32 v39, 0x7f, v32
	v_cmp_ne_u32_e32 vcc, s22, v39
	v_mov_b32_e32 v38, 0x7f800001
	s_and_saveexec_b64 s[22:23], vcc
	s_cbranch_execz .LBB467_242
; %bb.241:
	v_and_b32_e32 v38, 7, v32
	v_ffbh_u32_e32 v40, v38
	v_min_u32_e32 v47, 32, v40
	v_subrev_u32_e32 v40, 28, v47
	v_lshlrev_b64 v[40:41], v40, v[32:33]
	v_lshrrev_b32_e32 v46, 3, v39
	v_sub_u32_e32 v32, 29, v47
	v_and_b32_e32 v40, 7, v40
	v_cmp_gt_u32_e32 vcc, 8, v39
	v_cndmask_b32_e32 v32, v46, v32, vcc
	v_cndmask_b32_e32 v38, v38, v40, vcc
	v_lshlrev_b32_e32 v30, 16, v30
	v_bfrev_b32_e32 v39, 60
	v_lshlrev_b32_e32 v38, 20, v38
	v_and_b32_e32 v30, 0x80000000, v30
	v_lshl_add_u32 v32, v32, 23, v39
	v_or3_b32 v38, v30, v32, v38
.LBB467_242:
	s_or_b64 exec, exec, s[22:23]
.LBB467_243:
	s_or_b64 exec, exec, s[20:21]
.LBB467_244:
	s_or_b64 exec, exec, s[10:11]
	s_movk_i32 s10, 0xff
	v_and_b32_sdwa v32, v27, s10 dst_sel:DWORD dst_unused:UNUSED_PAD src0_sel:WORD_1 src1_sel:DWORD
	v_lshrrev_b32_e32 v30, 16, v27
	v_cmp_ne_u16_e32 vcc, 0, v32
	s_and_saveexec_b64 s[10:11], vcc
	s_cbranch_execz .LBB467_250
; %bb.245:
	s_movk_i32 s20, 0x80
	v_cmp_ne_u16_e32 vcc, s20, v32
	v_bfrev_b32_e32 v37, 1
	s_and_saveexec_b64 s[20:21], vcc
	s_cbranch_execz .LBB467_249
; %bb.246:
	v_bfe_u32 v32, v27, 16, 7
	s_movk_i32 s22, 0x7f
	v_cmp_ne_u32_e32 vcc, s22, v32
	v_mov_b32_e32 v37, 0x7f800001
	s_and_saveexec_b64 s[22:23], vcc
	s_cbranch_execz .LBB467_248
; %bb.247:
	v_and_b32_e32 v37, 7, v30
	v_ffbh_u32_e32 v40, v37
	v_min_u32_e32 v46, 32, v40
	v_subrev_u32_e32 v40, 28, v46
	v_lshlrev_b64 v[40:41], v40, v[30:31]
	v_and_b32_e32 v40, 7, v40
	v_cmp_gt_u32_e32 vcc, 8, v32
	v_lshrrev_b32_e32 v39, 3, v32
	v_sub_u32_e32 v30, 29, v46
	v_cndmask_b32_e32 v32, v37, v40, vcc
	v_mov_b32_e32 v37, 24
	v_cndmask_b32_e32 v30, v39, v30, vcc
	v_lshlrev_b32_sdwa v37, v37, v27 dst_sel:DWORD dst_unused:UNUSED_PAD src0_sel:DWORD src1_sel:WORD_1
	v_bfrev_b32_e32 v39, 60
	v_lshlrev_b32_e32 v32, 20, v32
	v_and_b32_e32 v37, 0x80000000, v37
	v_lshl_add_u32 v30, v30, 23, v39
	v_or3_b32 v37, v37, v30, v32
.LBB467_248:
	s_or_b64 exec, exec, s[22:23]
.LBB467_249:
	s_or_b64 exec, exec, s[20:21]
.LBB467_250:
	s_or_b64 exec, exec, s[10:11]
	s_mov_b32 s10, -1
	s_mov_b32 s11, 0xffffff
	v_cmp_lt_u64_e32 vcc, s[10:11], v[26:27]
	v_mov_b32_e32 v32, 0
	v_mov_b32_e32 v30, 0
	s_and_saveexec_b64 s[10:11], vcc
	s_cbranch_execz .LBB467_256
; %bb.251:
	v_lshrrev_b32_e32 v26, 24, v27
	s_movk_i32 s20, 0x80
	v_cmp_ne_u32_e32 vcc, s20, v26
	v_bfrev_b32_e32 v30, 1
	s_and_saveexec_b64 s[20:21], vcc
	s_cbranch_execz .LBB467_255
; %bb.252:
	v_bfe_u32 v27, v27, 24, 7
	s_movk_i32 s22, 0x7f
	v_cmp_ne_u32_e32 vcc, s22, v27
	v_mov_b32_e32 v30, 0x7f800001
	s_and_saveexec_b64 s[22:23], vcc
	s_cbranch_execz .LBB467_254
; %bb.253:
	v_and_b32_e32 v30, 7, v26
	v_ffbh_u32_e32 v40, v30
	v_min_u32_e32 v46, 32, v40
	v_subrev_u32_e32 v40, 28, v46
	v_lshlrev_b64 v[40:41], v40, v[26:27]
	v_lshrrev_b32_e32 v39, 3, v27
	v_sub_u32_e32 v41, 29, v46
	v_and_b32_e32 v40, 7, v40
	v_cmp_gt_u32_e32 vcc, 8, v27
	v_cndmask_b32_e32 v27, v39, v41, vcc
	v_cndmask_b32_e32 v30, v30, v40, vcc
	v_lshlrev_b32_e32 v26, 24, v26
	v_bfrev_b32_e32 v39, 60
	v_lshlrev_b32_e32 v30, 20, v30
	v_and_b32_e32 v26, 0x80000000, v26
	v_lshl_add_u32 v27, v27, 23, v39
	v_or3_b32 v30, v26, v27, v30
.LBB467_254:
	s_or_b64 exec, exec, s[22:23]
.LBB467_255:
	s_or_b64 exec, exec, s[20:21]
.LBB467_256:
	s_or_b64 exec, exec, s[10:11]
	v_cvt_pkrtz_f16_f32 v26, v34, v35
	v_cvt_pkrtz_f16_f32 v27, v33, v36
	;; [unrolled: 1-line block ×4, first 2 shown]
	v_mfma_f32_4x4x4f16 a[0:3], v[2:3], v[26:27], a[0:3] cbsz:4 abid:4
	v_cmp_ne_u16_sdwa s[20:21], v28, v32 src0_sel:BYTE_0 src1_sel:DWORD
	v_mfma_f32_4x4x4f16 a[0:3], v[4:5], v[34:35], a[0:3] cbsz:4 abid:4
	s_and_saveexec_b64 s[10:11], s[20:21]
	s_cbranch_execz .LBB467_262
; %bb.257:
	s_movk_i32 s20, 0x80
	v_cmp_ne_u16_sdwa s[22:23], v28, s20 src0_sel:BYTE_0 src1_sel:DWORD
	v_bfrev_b32_e32 v32, 1
	s_and_saveexec_b64 s[20:21], s[22:23]
	s_cbranch_execz .LBB467_261
; %bb.258:
	s_movk_i32 s22, 0x7f
	v_and_b32_e32 v26, 0x7f, v28
	v_cmp_ne_u32_e32 vcc, s22, v26
	v_mov_b32_e32 v32, 0x7f800001
	s_and_saveexec_b64 s[22:23], vcc
	s_cbranch_execz .LBB467_260
; %bb.259:
	v_and_b32_e32 v27, 7, v28
	v_ffbh_u32_e32 v27, v27
	v_min_u32_e32 v27, 32, v27
	v_subrev_u32_e32 v31, 28, v27
	v_cmp_gt_u32_e32 vcc, 8, v26
	v_lshrrev_b32_e32 v30, 3, v26
	v_sub_u32_e32 v27, 29, v27
	v_cndmask_b32_e32 v26, 0, v31, vcc
	v_cndmask_b32_e32 v30, v30, v27, vcc
	v_lshlrev_b64 v[26:27], v26, v[28:29]
	v_lshlrev_b32_e32 v26, 20, v26
	v_lshlrev_b32_e32 v27, 24, v28
	v_bfrev_b32_e32 v31, 60
	v_and_b32_e32 v26, 0x700000, v26
	v_and_b32_e32 v27, 0x80000000, v27
	v_lshl_add_u32 v30, v30, 23, v31
	v_or3_b32 v32, v27, v30, v26
.LBB467_260:
	s_or_b64 exec, exec, s[22:23]
.LBB467_261:
	s_or_b64 exec, exec, s[20:21]
.LBB467_262:
	s_or_b64 exec, exec, s[10:11]
	v_lshrrev_b16_e32 v26, 8, v28
	v_cmp_ne_u16_e32 vcc, 0, v26
	v_mov_b32_e32 v31, 0
	v_mov_b32_e32 v33, 0
	s_and_saveexec_b64 s[10:11], vcc
	s_cbranch_execz .LBB467_268
; %bb.263:
	s_movk_i32 s20, 0x80
	v_cmp_ne_u16_e32 vcc, s20, v26
	v_bfrev_b32_e32 v33, 1
	s_and_saveexec_b64 s[20:21], vcc
	s_cbranch_execz .LBB467_267
; %bb.264:
	s_movk_i32 s22, 0x7f
	v_and_b32_e32 v27, 0x7f, v26
	v_cmp_ne_u32_e32 vcc, s22, v27
	v_mov_b32_e32 v33, 0x7f800001
	s_and_saveexec_b64 s[22:23], vcc
	s_cbranch_execz .LBB467_266
; %bb.265:
	v_and_b32_e32 v30, 7, v26
	v_ffbh_u32_e32 v34, v30
	v_min_u32_e32 v36, 32, v34
	v_subrev_u32_e32 v34, 28, v36
	v_lshlrev_b64 v[34:35], v34, v[26:27]
	v_lshrrev_b32_e32 v33, 3, v27
	v_sub_u32_e32 v26, 29, v36
	v_and_b32_e32 v34, 7, v34
	v_cmp_gt_u32_e32 vcc, 8, v27
	v_cndmask_b32_e32 v26, v33, v26, vcc
	v_cndmask_b32_e32 v27, v30, v34, vcc
	v_lshlrev_b32_e32 v30, 16, v28
	v_bfrev_b32_e32 v33, 60
	v_lshlrev_b32_e32 v27, 20, v27
	v_and_b32_e32 v30, 0x80000000, v30
	v_lshl_add_u32 v26, v26, 23, v33
	v_or3_b32 v33, v30, v26, v27
.LBB467_266:
	s_or_b64 exec, exec, s[22:23]
.LBB467_267:
	s_or_b64 exec, exec, s[20:21]
.LBB467_268:
	s_or_b64 exec, exec, s[10:11]
	s_movk_i32 s10, 0xff
	v_and_b32_sdwa v27, v28, s10 dst_sel:DWORD dst_unused:UNUSED_PAD src0_sel:WORD_1 src1_sel:DWORD
	v_lshrrev_b32_e32 v26, 16, v28
	v_cmp_ne_u16_e32 vcc, 0, v27
	s_and_saveexec_b64 s[10:11], vcc
	s_cbranch_execz .LBB467_274
; %bb.269:
	s_movk_i32 s20, 0x80
	v_cmp_ne_u16_e32 vcc, s20, v27
	v_bfrev_b32_e32 v31, 1
	s_and_saveexec_b64 s[20:21], vcc
	s_cbranch_execz .LBB467_273
; %bb.270:
	v_bfe_u32 v27, v28, 16, 7
	s_movk_i32 s22, 0x7f
	v_cmp_ne_u32_e32 vcc, s22, v27
	v_mov_b32_e32 v31, 0x7f800001
	s_and_saveexec_b64 s[22:23], vcc
	s_cbranch_execz .LBB467_272
; %bb.271:
	v_and_b32_e32 v34, 7, v26
	v_ffbh_u32_e32 v30, v34
	v_min_u32_e32 v36, 32, v30
	v_subrev_u32_e32 v30, 28, v36
	v_lshlrev_b64 v[30:31], v30, v[26:27]
	v_and_b32_e32 v30, 7, v30
	v_cmp_gt_u32_e32 vcc, 8, v27
	v_lshrrev_b32_e32 v35, 3, v27
	v_sub_u32_e32 v26, 29, v36
	v_cndmask_b32_e32 v27, v34, v30, vcc
	v_mov_b32_e32 v30, 24
	v_cndmask_b32_e32 v26, v35, v26, vcc
	v_lshlrev_b32_sdwa v30, v30, v28 dst_sel:DWORD dst_unused:UNUSED_PAD src0_sel:DWORD src1_sel:WORD_1
	v_bfrev_b32_e32 v31, 60
	v_lshlrev_b32_e32 v27, 20, v27
	v_and_b32_e32 v30, 0x80000000, v30
	v_lshl_add_u32 v26, v26, 23, v31
	v_or3_b32 v31, v30, v26, v27
.LBB467_272:
	s_or_b64 exec, exec, s[22:23]
.LBB467_273:
	s_or_b64 exec, exec, s[20:21]
.LBB467_274:
	s_or_b64 exec, exec, s[10:11]
	s_mov_b32 s10, 0xffffff
	v_cmp_lt_u32_e32 vcc, s10, v28
	v_mov_b32_e32 v27, 0
	v_mov_b32_e32 v34, 0
	s_and_saveexec_b64 s[10:11], vcc
	s_cbranch_execz .LBB467_280
; %bb.275:
	v_lshrrev_b32_e32 v26, 24, v28
	s_movk_i32 s20, 0x80
	v_cmp_ne_u32_e32 vcc, s20, v26
	v_bfrev_b32_e32 v34, 1
	s_and_saveexec_b64 s[20:21], vcc
	s_cbranch_execz .LBB467_279
; %bb.276:
	v_bfe_u32 v30, v28, 24, 7
	s_movk_i32 s22, 0x7f
	v_cmp_ne_u32_e32 vcc, s22, v30
	v_mov_b32_e32 v34, 0x7f800001
	s_and_saveexec_b64 s[22:23], vcc
	s_cbranch_execz .LBB467_278
; %bb.277:
	v_and_b32_e32 v36, 7, v26
	v_ffbh_u32_e32 v34, v36
	v_min_u32_e32 v38, 32, v34
	v_subrev_u32_e32 v34, 28, v38
	v_lshlrev_b64 v[34:35], v34, v[26:27]
	v_lshrrev_b32_e32 v37, 3, v30
	v_sub_u32_e32 v35, 29, v38
	v_and_b32_e32 v34, 7, v34
	v_cmp_gt_u32_e32 vcc, 8, v30
	v_cndmask_b32_e32 v30, v37, v35, vcc
	v_cndmask_b32_e32 v34, v36, v34, vcc
	v_lshlrev_b32_e32 v26, 24, v26
	v_bfrev_b32_e32 v35, 60
	v_lshlrev_b32_e32 v34, 20, v34
	v_and_b32_e32 v26, 0x80000000, v26
	v_lshl_add_u32 v30, v30, 23, v35
	v_or3_b32 v34, v26, v30, v34
.LBB467_278:
	s_or_b64 exec, exec, s[22:23]
.LBB467_279:
	s_or_b64 exec, exec, s[20:21]
.LBB467_280:
	s_or_b64 exec, exec, s[10:11]
	v_mov_b32_e32 v26, v29
	v_cmp_ne_u16_sdwa s[20:21], v29, v27 src0_sel:BYTE_0 src1_sel:DWORD
	s_and_saveexec_b64 s[10:11], s[20:21]
	s_cbranch_execz .LBB467_286
; %bb.281:
	s_movk_i32 s20, 0x80
	v_cmp_ne_u16_sdwa s[22:23], v29, s20 src0_sel:BYTE_0 src1_sel:DWORD
	v_bfrev_b32_e32 v30, 1
	s_and_saveexec_b64 s[20:21], s[22:23]
	s_cbranch_execz .LBB467_285
; %bb.282:
	s_movk_i32 s22, 0x7f
	v_and_b32_e32 v35, 0x7f, v29
	v_cmp_ne_u32_e32 vcc, s22, v35
	v_mov_b32_e32 v30, 0x7f800001
	s_and_saveexec_b64 s[22:23], vcc
	s_cbranch_execz .LBB467_284
; %bb.283:
	v_and_b32_e32 v30, 7, v29
	v_ffbh_u32_e32 v30, v30
	v_min_u32_e32 v30, 32, v30
	v_subrev_u32_e32 v37, 28, v30
	v_cmp_gt_u32_e32 vcc, 8, v35
	v_lshrrev_b32_e32 v36, 3, v35
	v_sub_u32_e32 v30, 29, v30
	v_cndmask_b32_e32 v35, 0, v37, vcc
	v_cndmask_b32_e32 v30, v36, v30, vcc
	v_lshlrev_b64 v[36:37], v35, v[26:27]
	v_lshlrev_b32_e32 v27, 20, v36
	v_lshlrev_b32_e32 v35, 24, v26
	v_bfrev_b32_e32 v36, 60
	v_and_b32_e32 v27, 0x700000, v27
	v_and_b32_e32 v35, 0x80000000, v35
	v_lshl_add_u32 v30, v30, 23, v36
	v_or3_b32 v30, v35, v30, v27
.LBB467_284:
	s_or_b64 exec, exec, s[22:23]
.LBB467_285:
	s_or_b64 exec, exec, s[20:21]
	v_mov_b32_e32 v27, v30
.LBB467_286:
	s_or_b64 exec, exec, s[10:11]
	v_lshrrev_b16_e32 v30, 8, v26
	v_cmp_ne_u16_e32 vcc, 0, v30
	v_mov_b32_e32 v35, 0
	v_mov_b32_e32 v36, 0
	s_and_saveexec_b64 s[10:11], vcc
	s_cbranch_execz .LBB467_292
; %bb.287:
	s_movk_i32 s20, 0x80
	v_cmp_ne_u16_e32 vcc, s20, v30
	v_bfrev_b32_e32 v36, 1
	s_and_saveexec_b64 s[20:21], vcc
	s_cbranch_execz .LBB467_291
; %bb.288:
	s_movk_i32 s22, 0x7f
	v_and_b32_e32 v37, 0x7f, v30
	v_cmp_ne_u32_e32 vcc, s22, v37
	v_mov_b32_e32 v36, 0x7f800001
	s_and_saveexec_b64 s[22:23], vcc
	s_cbranch_execz .LBB467_290
; %bb.289:
	v_and_b32_e32 v36, 7, v30
	v_ffbh_u32_e32 v38, v36
	v_min_u32_e32 v41, 32, v38
	v_subrev_u32_e32 v38, 28, v41
	v_lshlrev_b64 v[38:39], v38, v[30:31]
	v_lshrrev_b32_e32 v40, 3, v37
	v_sub_u32_e32 v30, 29, v41
	v_and_b32_e32 v38, 7, v38
	v_cmp_gt_u32_e32 vcc, 8, v37
	v_cndmask_b32_e32 v30, v40, v30, vcc
	v_cndmask_b32_e32 v36, v36, v38, vcc
	v_lshlrev_b32_e32 v26, 16, v26
	v_bfrev_b32_e32 v37, 60
	v_lshlrev_b32_e32 v36, 20, v36
	v_and_b32_e32 v26, 0x80000000, v26
	v_lshl_add_u32 v30, v30, 23, v37
	v_or3_b32 v36, v26, v30, v36
.LBB467_290:
	s_or_b64 exec, exec, s[22:23]
.LBB467_291:
	s_or_b64 exec, exec, s[20:21]
.LBB467_292:
	s_or_b64 exec, exec, s[10:11]
	s_movk_i32 s10, 0xff
	v_and_b32_sdwa v30, v29, s10 dst_sel:DWORD dst_unused:UNUSED_PAD src0_sel:WORD_1 src1_sel:DWORD
	v_lshrrev_b32_e32 v26, 16, v29
	v_cmp_ne_u16_e32 vcc, 0, v30
	s_and_saveexec_b64 s[10:11], vcc
	s_cbranch_execz .LBB467_298
; %bb.293:
	s_movk_i32 s20, 0x80
	v_cmp_ne_u16_e32 vcc, s20, v30
	v_bfrev_b32_e32 v35, 1
	s_and_saveexec_b64 s[20:21], vcc
	s_cbranch_execz .LBB467_297
; %bb.294:
	v_bfe_u32 v30, v29, 16, 7
	s_movk_i32 s22, 0x7f
	v_cmp_ne_u32_e32 vcc, s22, v30
	v_mov_b32_e32 v35, 0x7f800001
	s_and_saveexec_b64 s[22:23], vcc
	s_cbranch_execz .LBB467_296
; %bb.295:
	v_and_b32_e32 v35, 7, v26
	v_ffbh_u32_e32 v38, v35
	v_min_u32_e32 v40, 32, v38
	v_subrev_u32_e32 v38, 28, v40
	v_lshlrev_b64 v[38:39], v38, v[26:27]
	v_and_b32_e32 v38, 7, v38
	v_cmp_gt_u32_e32 vcc, 8, v30
	v_lshrrev_b32_e32 v37, 3, v30
	v_sub_u32_e32 v26, 29, v40
	v_cndmask_b32_e32 v30, v35, v38, vcc
	v_mov_b32_e32 v35, 24
	v_cndmask_b32_e32 v26, v37, v26, vcc
	v_lshlrev_b32_sdwa v35, v35, v29 dst_sel:DWORD dst_unused:UNUSED_PAD src0_sel:DWORD src1_sel:WORD_1
	v_bfrev_b32_e32 v37, 60
	v_lshlrev_b32_e32 v30, 20, v30
	v_and_b32_e32 v35, 0x80000000, v35
	v_lshl_add_u32 v26, v26, 23, v37
	v_or3_b32 v35, v35, v26, v30
.LBB467_296:
	s_or_b64 exec, exec, s[22:23]
.LBB467_297:
	s_or_b64 exec, exec, s[20:21]
.LBB467_298:
	s_or_b64 exec, exec, s[10:11]
	s_mov_b32 s10, -1
	s_mov_b32 s11, 0xffffff
	v_cmp_lt_u64_e32 vcc, s[10:11], v[28:29]
	v_mov_b32_e32 v30, 0
	v_mov_b32_e32 v28, 0
	s_and_saveexec_b64 s[10:11], vcc
	s_cbranch_execz .LBB467_304
; %bb.299:
	v_lshrrev_b32_e32 v26, 24, v29
	s_movk_i32 s20, 0x80
	v_cmp_ne_u32_e32 vcc, s20, v26
	v_bfrev_b32_e32 v28, 1
	s_and_saveexec_b64 s[20:21], vcc
	s_cbranch_execz .LBB467_303
; %bb.300:
	v_bfe_u32 v29, v29, 24, 7
	s_movk_i32 s22, 0x7f
	v_cmp_ne_u32_e32 vcc, s22, v29
	v_mov_b32_e32 v28, 0x7f800001
	s_and_saveexec_b64 s[22:23], vcc
	s_cbranch_execz .LBB467_302
; %bb.301:
	v_and_b32_e32 v28, 7, v26
	v_ffbh_u32_e32 v38, v28
	v_min_u32_e32 v40, 32, v38
	v_subrev_u32_e32 v38, 28, v40
	v_lshlrev_b64 v[38:39], v38, v[26:27]
	v_lshrrev_b32_e32 v37, 3, v29
	v_sub_u32_e32 v39, 29, v40
	v_and_b32_e32 v38, 7, v38
	v_cmp_gt_u32_e32 vcc, 8, v29
	v_cndmask_b32_e32 v29, v37, v39, vcc
	v_cndmask_b32_e32 v28, v28, v38, vcc
	v_lshlrev_b32_e32 v26, 24, v26
	v_bfrev_b32_e32 v37, 60
	v_lshlrev_b32_e32 v28, 20, v28
	v_and_b32_e32 v26, 0x80000000, v26
	v_lshl_add_u32 v29, v29, 23, v37
	v_or3_b32 v28, v26, v29, v28
.LBB467_302:
	s_or_b64 exec, exec, s[22:23]
.LBB467_303:
	s_or_b64 exec, exec, s[20:21]
.LBB467_304:
	s_or_b64 exec, exec, s[10:11]
	v_cvt_pkrtz_f16_f32 v32, v32, v33
	v_cvt_pkrtz_f16_f32 v33, v31, v34
	v_cvt_pkrtz_f16_f32 v26, v27, v36
	v_cvt_pkrtz_f16_f32 v27, v35, v28
	v_mfma_f32_4x4x4f16 a[0:3], v[2:3], v[32:33], a[0:3] cbsz:4 abid:5
	v_cmp_ne_u16_sdwa s[20:21], v22, v30 src0_sel:BYTE_0 src1_sel:DWORD
	v_mfma_f32_4x4x4f16 a[0:3], v[4:5], v[26:27], a[0:3] cbsz:4 abid:5
	s_and_saveexec_b64 s[10:11], s[20:21]
	s_cbranch_execz .LBB467_310
; %bb.305:
	s_movk_i32 s20, 0x80
	v_cmp_ne_u16_sdwa s[22:23], v22, s20 src0_sel:BYTE_0 src1_sel:DWORD
	v_bfrev_b32_e32 v30, 1
	s_and_saveexec_b64 s[20:21], s[22:23]
	s_cbranch_execz .LBB467_309
; %bb.306:
	s_movk_i32 s22, 0x7f
	v_and_b32_e32 v26, 0x7f, v22
	v_cmp_ne_u32_e32 vcc, s22, v26
	v_mov_b32_e32 v30, 0x7f800001
	s_and_saveexec_b64 s[22:23], vcc
	s_cbranch_execz .LBB467_308
; %bb.307:
	v_and_b32_e32 v27, 7, v22
	v_ffbh_u32_e32 v27, v27
	v_min_u32_e32 v27, 32, v27
	v_subrev_u32_e32 v29, 28, v27
	v_cmp_gt_u32_e32 vcc, 8, v26
	v_lshrrev_b32_e32 v28, 3, v26
	v_sub_u32_e32 v27, 29, v27
	v_cndmask_b32_e32 v26, 0, v29, vcc
	v_cndmask_b32_e32 v28, v28, v27, vcc
	v_lshlrev_b64 v[26:27], v26, v[22:23]
	v_lshlrev_b32_e32 v26, 20, v26
	v_lshlrev_b32_e32 v27, 24, v22
	v_bfrev_b32_e32 v29, 60
	v_and_b32_e32 v26, 0x700000, v26
	v_and_b32_e32 v27, 0x80000000, v27
	v_lshl_add_u32 v28, v28, 23, v29
	v_or3_b32 v30, v27, v28, v26
.LBB467_308:
	s_or_b64 exec, exec, s[22:23]
.LBB467_309:
	s_or_b64 exec, exec, s[20:21]
.LBB467_310:
	s_or_b64 exec, exec, s[10:11]
	v_lshrrev_b16_e32 v26, 8, v22
	v_cmp_ne_u16_e32 vcc, 0, v26
	v_mov_b32_e32 v29, 0
	v_mov_b32_e32 v31, 0
	s_and_saveexec_b64 s[10:11], vcc
	s_cbranch_execz .LBB467_316
; %bb.311:
	s_movk_i32 s20, 0x80
	v_cmp_ne_u16_e32 vcc, s20, v26
	v_bfrev_b32_e32 v31, 1
	s_and_saveexec_b64 s[20:21], vcc
	s_cbranch_execz .LBB467_315
; %bb.312:
	s_movk_i32 s22, 0x7f
	v_and_b32_e32 v27, 0x7f, v26
	v_cmp_ne_u32_e32 vcc, s22, v27
	v_mov_b32_e32 v31, 0x7f800001
	s_and_saveexec_b64 s[22:23], vcc
	s_cbranch_execz .LBB467_314
; %bb.313:
	v_and_b32_e32 v28, 7, v26
	v_ffbh_u32_e32 v32, v28
	v_min_u32_e32 v34, 32, v32
	v_subrev_u32_e32 v32, 28, v34
	v_lshlrev_b64 v[32:33], v32, v[26:27]
	v_lshrrev_b32_e32 v31, 3, v27
	v_sub_u32_e32 v26, 29, v34
	v_and_b32_e32 v32, 7, v32
	v_cmp_gt_u32_e32 vcc, 8, v27
	v_cndmask_b32_e32 v26, v31, v26, vcc
	v_cndmask_b32_e32 v27, v28, v32, vcc
	v_lshlrev_b32_e32 v28, 16, v22
	v_bfrev_b32_e32 v31, 60
	v_lshlrev_b32_e32 v27, 20, v27
	v_and_b32_e32 v28, 0x80000000, v28
	v_lshl_add_u32 v26, v26, 23, v31
	v_or3_b32 v31, v28, v26, v27
.LBB467_314:
	s_or_b64 exec, exec, s[22:23]
.LBB467_315:
	s_or_b64 exec, exec, s[20:21]
.LBB467_316:
	s_or_b64 exec, exec, s[10:11]
	s_movk_i32 s10, 0xff
	v_and_b32_sdwa v27, v22, s10 dst_sel:DWORD dst_unused:UNUSED_PAD src0_sel:WORD_1 src1_sel:DWORD
	v_lshrrev_b32_e32 v26, 16, v22
	v_cmp_ne_u16_e32 vcc, 0, v27
	s_and_saveexec_b64 s[10:11], vcc
	s_cbranch_execz .LBB467_322
; %bb.317:
	s_movk_i32 s20, 0x80
	v_cmp_ne_u16_e32 vcc, s20, v27
	v_bfrev_b32_e32 v29, 1
	s_and_saveexec_b64 s[20:21], vcc
	s_cbranch_execz .LBB467_321
; %bb.318:
	v_bfe_u32 v27, v22, 16, 7
	s_movk_i32 s22, 0x7f
	v_cmp_ne_u32_e32 vcc, s22, v27
	v_mov_b32_e32 v29, 0x7f800001
	s_and_saveexec_b64 s[22:23], vcc
	s_cbranch_execz .LBB467_320
; %bb.319:
	v_and_b32_e32 v32, 7, v26
	v_ffbh_u32_e32 v28, v32
	v_min_u32_e32 v34, 32, v28
	v_subrev_u32_e32 v28, 28, v34
	v_lshlrev_b64 v[28:29], v28, v[26:27]
	v_and_b32_e32 v28, 7, v28
	v_cmp_gt_u32_e32 vcc, 8, v27
	v_lshrrev_b32_e32 v33, 3, v27
	v_sub_u32_e32 v26, 29, v34
	v_cndmask_b32_e32 v27, v32, v28, vcc
	v_mov_b32_e32 v28, 24
	v_cndmask_b32_e32 v26, v33, v26, vcc
	v_lshlrev_b32_sdwa v28, v28, v22 dst_sel:DWORD dst_unused:UNUSED_PAD src0_sel:DWORD src1_sel:WORD_1
	v_bfrev_b32_e32 v29, 60
	v_lshlrev_b32_e32 v27, 20, v27
	v_and_b32_e32 v28, 0x80000000, v28
	v_lshl_add_u32 v26, v26, 23, v29
	v_or3_b32 v29, v28, v26, v27
.LBB467_320:
	s_or_b64 exec, exec, s[22:23]
.LBB467_321:
	s_or_b64 exec, exec, s[20:21]
.LBB467_322:
	s_or_b64 exec, exec, s[10:11]
	s_mov_b32 s10, 0xffffff
	v_cmp_lt_u32_e32 vcc, s10, v22
	v_mov_b32_e32 v27, 0
	v_mov_b32_e32 v32, 0
	s_and_saveexec_b64 s[10:11], vcc
	s_cbranch_execz .LBB467_328
; %bb.323:
	v_lshrrev_b32_e32 v26, 24, v22
	s_movk_i32 s20, 0x80
	v_cmp_ne_u32_e32 vcc, s20, v26
	v_bfrev_b32_e32 v32, 1
	s_and_saveexec_b64 s[20:21], vcc
	s_cbranch_execz .LBB467_327
; %bb.324:
	v_bfe_u32 v28, v22, 24, 7
	s_movk_i32 s22, 0x7f
	v_cmp_ne_u32_e32 vcc, s22, v28
	v_mov_b32_e32 v32, 0x7f800001
	s_and_saveexec_b64 s[22:23], vcc
	s_cbranch_execz .LBB467_326
; %bb.325:
	v_and_b32_e32 v34, 7, v26
	v_ffbh_u32_e32 v32, v34
	v_min_u32_e32 v36, 32, v32
	v_subrev_u32_e32 v32, 28, v36
	v_lshlrev_b64 v[32:33], v32, v[26:27]
	v_lshrrev_b32_e32 v35, 3, v28
	v_sub_u32_e32 v33, 29, v36
	v_and_b32_e32 v32, 7, v32
	v_cmp_gt_u32_e32 vcc, 8, v28
	v_cndmask_b32_e32 v28, v35, v33, vcc
	v_cndmask_b32_e32 v32, v34, v32, vcc
	v_lshlrev_b32_e32 v26, 24, v26
	v_bfrev_b32_e32 v33, 60
	v_lshlrev_b32_e32 v32, 20, v32
	v_and_b32_e32 v26, 0x80000000, v26
	v_lshl_add_u32 v28, v28, 23, v33
	v_or3_b32 v32, v26, v28, v32
.LBB467_326:
	s_or_b64 exec, exec, s[22:23]
.LBB467_327:
	s_or_b64 exec, exec, s[20:21]
.LBB467_328:
	s_or_b64 exec, exec, s[10:11]
	v_mov_b32_e32 v26, v23
	v_cmp_ne_u16_sdwa s[20:21], v23, v27 src0_sel:BYTE_0 src1_sel:DWORD
	s_and_saveexec_b64 s[10:11], s[20:21]
	s_cbranch_execz .LBB467_334
; %bb.329:
	s_movk_i32 s20, 0x80
	v_cmp_ne_u16_sdwa s[22:23], v23, s20 src0_sel:BYTE_0 src1_sel:DWORD
	v_bfrev_b32_e32 v28, 1
	s_and_saveexec_b64 s[20:21], s[22:23]
	s_cbranch_execz .LBB467_333
; %bb.330:
	s_movk_i32 s22, 0x7f
	v_and_b32_e32 v33, 0x7f, v23
	v_cmp_ne_u32_e32 vcc, s22, v33
	v_mov_b32_e32 v28, 0x7f800001
	s_and_saveexec_b64 s[22:23], vcc
	s_cbranch_execz .LBB467_332
; %bb.331:
	v_and_b32_e32 v28, 7, v23
	v_ffbh_u32_e32 v28, v28
	v_min_u32_e32 v28, 32, v28
	v_subrev_u32_e32 v35, 28, v28
	v_cmp_gt_u32_e32 vcc, 8, v33
	v_lshrrev_b32_e32 v34, 3, v33
	v_sub_u32_e32 v28, 29, v28
	v_cndmask_b32_e32 v33, 0, v35, vcc
	v_cndmask_b32_e32 v28, v34, v28, vcc
	v_lshlrev_b64 v[34:35], v33, v[26:27]
	v_lshlrev_b32_e32 v27, 20, v34
	v_lshlrev_b32_e32 v33, 24, v26
	v_bfrev_b32_e32 v34, 60
	v_and_b32_e32 v27, 0x700000, v27
	v_and_b32_e32 v33, 0x80000000, v33
	v_lshl_add_u32 v28, v28, 23, v34
	v_or3_b32 v28, v33, v28, v27
.LBB467_332:
	s_or_b64 exec, exec, s[22:23]
.LBB467_333:
	s_or_b64 exec, exec, s[20:21]
	v_mov_b32_e32 v27, v28
.LBB467_334:
	s_or_b64 exec, exec, s[10:11]
	v_lshrrev_b16_e32 v28, 8, v26
	v_cmp_ne_u16_e32 vcc, 0, v28
	v_mov_b32_e32 v33, 0
	v_mov_b32_e32 v34, 0
	s_and_saveexec_b64 s[10:11], vcc
	s_cbranch_execz .LBB467_340
; %bb.335:
	s_movk_i32 s20, 0x80
	v_cmp_ne_u16_e32 vcc, s20, v28
	v_bfrev_b32_e32 v34, 1
	s_and_saveexec_b64 s[20:21], vcc
	s_cbranch_execz .LBB467_339
; %bb.336:
	s_movk_i32 s22, 0x7f
	v_and_b32_e32 v35, 0x7f, v28
	v_cmp_ne_u32_e32 vcc, s22, v35
	v_mov_b32_e32 v34, 0x7f800001
	s_and_saveexec_b64 s[22:23], vcc
	s_cbranch_execz .LBB467_338
; %bb.337:
	v_and_b32_e32 v34, 7, v28
	v_ffbh_u32_e32 v36, v34
	v_min_u32_e32 v39, 32, v36
	v_subrev_u32_e32 v36, 28, v39
	v_lshlrev_b64 v[36:37], v36, v[28:29]
	v_lshrrev_b32_e32 v38, 3, v35
	v_sub_u32_e32 v28, 29, v39
	v_and_b32_e32 v36, 7, v36
	v_cmp_gt_u32_e32 vcc, 8, v35
	v_cndmask_b32_e32 v28, v38, v28, vcc
	v_cndmask_b32_e32 v34, v34, v36, vcc
	v_lshlrev_b32_e32 v26, 16, v26
	v_bfrev_b32_e32 v35, 60
	v_lshlrev_b32_e32 v34, 20, v34
	v_and_b32_e32 v26, 0x80000000, v26
	v_lshl_add_u32 v28, v28, 23, v35
	v_or3_b32 v34, v26, v28, v34
.LBB467_338:
	s_or_b64 exec, exec, s[22:23]
.LBB467_339:
	s_or_b64 exec, exec, s[20:21]
.LBB467_340:
	s_or_b64 exec, exec, s[10:11]
	s_movk_i32 s10, 0xff
	v_and_b32_sdwa v28, v23, s10 dst_sel:DWORD dst_unused:UNUSED_PAD src0_sel:WORD_1 src1_sel:DWORD
	v_lshrrev_b32_e32 v26, 16, v23
	v_cmp_ne_u16_e32 vcc, 0, v28
	s_and_saveexec_b64 s[10:11], vcc
	s_cbranch_execz .LBB467_346
; %bb.341:
	s_movk_i32 s20, 0x80
	v_cmp_ne_u16_e32 vcc, s20, v28
	v_bfrev_b32_e32 v33, 1
	s_and_saveexec_b64 s[20:21], vcc
	s_cbranch_execz .LBB467_345
; %bb.342:
	v_bfe_u32 v28, v23, 16, 7
	s_movk_i32 s22, 0x7f
	v_cmp_ne_u32_e32 vcc, s22, v28
	v_mov_b32_e32 v33, 0x7f800001
	s_and_saveexec_b64 s[22:23], vcc
	s_cbranch_execz .LBB467_344
; %bb.343:
	v_and_b32_e32 v33, 7, v26
	v_ffbh_u32_e32 v36, v33
	v_min_u32_e32 v38, 32, v36
	v_subrev_u32_e32 v36, 28, v38
	v_lshlrev_b64 v[36:37], v36, v[26:27]
	v_and_b32_e32 v36, 7, v36
	v_cmp_gt_u32_e32 vcc, 8, v28
	v_lshrrev_b32_e32 v35, 3, v28
	v_sub_u32_e32 v26, 29, v38
	v_cndmask_b32_e32 v28, v33, v36, vcc
	v_mov_b32_e32 v33, 24
	v_cndmask_b32_e32 v26, v35, v26, vcc
	v_lshlrev_b32_sdwa v33, v33, v23 dst_sel:DWORD dst_unused:UNUSED_PAD src0_sel:DWORD src1_sel:WORD_1
	v_bfrev_b32_e32 v35, 60
	v_lshlrev_b32_e32 v28, 20, v28
	v_and_b32_e32 v33, 0x80000000, v33
	v_lshl_add_u32 v26, v26, 23, v35
	v_or3_b32 v33, v33, v26, v28
.LBB467_344:
	s_or_b64 exec, exec, s[22:23]
.LBB467_345:
	s_or_b64 exec, exec, s[20:21]
.LBB467_346:
	s_or_b64 exec, exec, s[10:11]
	s_mov_b32 s10, -1
	s_mov_b32 s11, 0xffffff
	v_cmp_lt_u64_e32 vcc, s[10:11], v[22:23]
	v_mov_b32_e32 v28, 0
	v_mov_b32_e32 v26, 0
	s_and_saveexec_b64 s[10:11], vcc
	s_cbranch_execz .LBB467_352
; %bb.347:
	v_lshrrev_b32_e32 v22, 24, v23
	s_movk_i32 s20, 0x80
	v_cmp_ne_u32_e32 vcc, s20, v22
	v_bfrev_b32_e32 v26, 1
	s_and_saveexec_b64 s[20:21], vcc
	s_cbranch_execz .LBB467_351
; %bb.348:
	v_bfe_u32 v23, v23, 24, 7
	s_movk_i32 s22, 0x7f
	v_cmp_ne_u32_e32 vcc, s22, v23
	v_mov_b32_e32 v26, 0x7f800001
	s_and_saveexec_b64 s[22:23], vcc
	s_cbranch_execz .LBB467_350
; %bb.349:
	v_and_b32_e32 v26, 7, v22
	v_ffbh_u32_e32 v36, v26
	v_min_u32_e32 v38, 32, v36
	v_subrev_u32_e32 v36, 28, v38
	v_lshlrev_b64 v[36:37], v36, v[22:23]
	v_lshrrev_b32_e32 v35, 3, v23
	v_sub_u32_e32 v37, 29, v38
	v_and_b32_e32 v36, 7, v36
	v_cmp_gt_u32_e32 vcc, 8, v23
	v_cndmask_b32_e32 v23, v35, v37, vcc
	v_cndmask_b32_e32 v26, v26, v36, vcc
	v_lshlrev_b32_e32 v22, 24, v22
	v_bfrev_b32_e32 v35, 60
	v_lshlrev_b32_e32 v26, 20, v26
	v_and_b32_e32 v22, 0x80000000, v22
	v_lshl_add_u32 v23, v23, 23, v35
	v_or3_b32 v26, v22, v23, v26
.LBB467_350:
	s_or_b64 exec, exec, s[22:23]
.LBB467_351:
	s_or_b64 exec, exec, s[20:21]
.LBB467_352:
	s_or_b64 exec, exec, s[10:11]
	v_cvt_pkrtz_f16_f32 v22, v30, v31
	v_cvt_pkrtz_f16_f32 v23, v29, v32
	;; [unrolled: 1-line block ×4, first 2 shown]
	v_mfma_f32_4x4x4f16 a[0:3], v[2:3], v[22:23], a[0:3] cbsz:4 abid:6
	v_cmp_ne_u16_sdwa s[20:21], v24, v28 src0_sel:BYTE_0 src1_sel:DWORD
	v_mfma_f32_4x4x4f16 a[0:3], v[4:5], v[30:31], a[0:3] cbsz:4 abid:6
	s_and_saveexec_b64 s[10:11], s[20:21]
	s_cbranch_execz .LBB467_358
; %bb.353:
	s_movk_i32 s20, 0x80
	v_cmp_ne_u16_sdwa s[22:23], v24, s20 src0_sel:BYTE_0 src1_sel:DWORD
	v_bfrev_b32_e32 v28, 1
	s_and_saveexec_b64 s[20:21], s[22:23]
	s_cbranch_execz .LBB467_357
; %bb.354:
	s_movk_i32 s22, 0x7f
	v_and_b32_e32 v22, 0x7f, v24
	v_cmp_ne_u32_e32 vcc, s22, v22
	v_mov_b32_e32 v28, 0x7f800001
	s_and_saveexec_b64 s[22:23], vcc
	s_cbranch_execz .LBB467_356
; %bb.355:
	v_and_b32_e32 v23, 7, v24
	v_ffbh_u32_e32 v23, v23
	v_min_u32_e32 v23, 32, v23
	v_subrev_u32_e32 v27, 28, v23
	v_cmp_gt_u32_e32 vcc, 8, v22
	v_lshrrev_b32_e32 v26, 3, v22
	v_sub_u32_e32 v23, 29, v23
	v_cndmask_b32_e32 v22, 0, v27, vcc
	v_cndmask_b32_e32 v26, v26, v23, vcc
	v_lshlrev_b64 v[22:23], v22, v[24:25]
	v_lshlrev_b32_e32 v22, 20, v22
	v_lshlrev_b32_e32 v23, 24, v24
	v_bfrev_b32_e32 v27, 60
	v_and_b32_e32 v22, 0x700000, v22
	v_and_b32_e32 v23, 0x80000000, v23
	v_lshl_add_u32 v26, v26, 23, v27
	v_or3_b32 v28, v23, v26, v22
.LBB467_356:
	s_or_b64 exec, exec, s[22:23]
.LBB467_357:
	s_or_b64 exec, exec, s[20:21]
.LBB467_358:
	s_or_b64 exec, exec, s[10:11]
	v_lshrrev_b16_e32 v22, 8, v24
	v_cmp_ne_u16_e32 vcc, 0, v22
	v_mov_b32_e32 v27, 0
	v_mov_b32_e32 v29, 0
	s_and_saveexec_b64 s[10:11], vcc
	s_cbranch_execz .LBB467_364
; %bb.359:
	s_movk_i32 s20, 0x80
	v_cmp_ne_u16_e32 vcc, s20, v22
	v_bfrev_b32_e32 v29, 1
	s_and_saveexec_b64 s[20:21], vcc
	s_cbranch_execz .LBB467_363
; %bb.360:
	s_movk_i32 s22, 0x7f
	v_and_b32_e32 v23, 0x7f, v22
	v_cmp_ne_u32_e32 vcc, s22, v23
	v_mov_b32_e32 v29, 0x7f800001
	s_and_saveexec_b64 s[22:23], vcc
	s_cbranch_execz .LBB467_362
; %bb.361:
	v_and_b32_e32 v26, 7, v22
	v_ffbh_u32_e32 v30, v26
	v_min_u32_e32 v32, 32, v30
	v_subrev_u32_e32 v30, 28, v32
	v_lshlrev_b64 v[30:31], v30, v[22:23]
	v_lshrrev_b32_e32 v29, 3, v23
	v_sub_u32_e32 v22, 29, v32
	v_and_b32_e32 v30, 7, v30
	v_cmp_gt_u32_e32 vcc, 8, v23
	v_cndmask_b32_e32 v22, v29, v22, vcc
	v_cndmask_b32_e32 v23, v26, v30, vcc
	v_lshlrev_b32_e32 v26, 16, v24
	v_bfrev_b32_e32 v29, 60
	v_lshlrev_b32_e32 v23, 20, v23
	v_and_b32_e32 v26, 0x80000000, v26
	v_lshl_add_u32 v22, v22, 23, v29
	v_or3_b32 v29, v26, v22, v23
.LBB467_362:
	s_or_b64 exec, exec, s[22:23]
.LBB467_363:
	s_or_b64 exec, exec, s[20:21]
.LBB467_364:
	s_or_b64 exec, exec, s[10:11]
	s_movk_i32 s10, 0xff
	v_and_b32_sdwa v23, v24, s10 dst_sel:DWORD dst_unused:UNUSED_PAD src0_sel:WORD_1 src1_sel:DWORD
	v_lshrrev_b32_e32 v22, 16, v24
	v_cmp_ne_u16_e32 vcc, 0, v23
	s_and_saveexec_b64 s[10:11], vcc
	s_cbranch_execz .LBB467_370
; %bb.365:
	s_movk_i32 s20, 0x80
	v_cmp_ne_u16_e32 vcc, s20, v23
	v_bfrev_b32_e32 v27, 1
	s_and_saveexec_b64 s[20:21], vcc
	s_cbranch_execz .LBB467_369
; %bb.366:
	v_bfe_u32 v23, v24, 16, 7
	s_movk_i32 s22, 0x7f
	v_cmp_ne_u32_e32 vcc, s22, v23
	v_mov_b32_e32 v27, 0x7f800001
	s_and_saveexec_b64 s[22:23], vcc
	s_cbranch_execz .LBB467_368
; %bb.367:
	v_and_b32_e32 v30, 7, v22
	v_ffbh_u32_e32 v26, v30
	v_min_u32_e32 v32, 32, v26
	v_subrev_u32_e32 v26, 28, v32
	v_lshlrev_b64 v[26:27], v26, v[22:23]
	v_and_b32_e32 v26, 7, v26
	v_cmp_gt_u32_e32 vcc, 8, v23
	v_lshrrev_b32_e32 v31, 3, v23
	v_sub_u32_e32 v22, 29, v32
	v_cndmask_b32_e32 v23, v30, v26, vcc
	v_mov_b32_e32 v26, 24
	v_cndmask_b32_e32 v22, v31, v22, vcc
	v_lshlrev_b32_sdwa v26, v26, v24 dst_sel:DWORD dst_unused:UNUSED_PAD src0_sel:DWORD src1_sel:WORD_1
	v_bfrev_b32_e32 v27, 60
	v_lshlrev_b32_e32 v23, 20, v23
	v_and_b32_e32 v26, 0x80000000, v26
	v_lshl_add_u32 v22, v22, 23, v27
	v_or3_b32 v27, v26, v22, v23
.LBB467_368:
	s_or_b64 exec, exec, s[22:23]
.LBB467_369:
	s_or_b64 exec, exec, s[20:21]
.LBB467_370:
	s_or_b64 exec, exec, s[10:11]
	s_mov_b32 s10, 0xffffff
	v_cmp_lt_u32_e32 vcc, s10, v24
	v_mov_b32_e32 v23, 0
	v_mov_b32_e32 v30, 0
	s_and_saveexec_b64 s[10:11], vcc
	s_cbranch_execz .LBB467_376
; %bb.371:
	v_lshrrev_b32_e32 v22, 24, v24
	s_movk_i32 s20, 0x80
	v_cmp_ne_u32_e32 vcc, s20, v22
	v_bfrev_b32_e32 v30, 1
	s_and_saveexec_b64 s[20:21], vcc
	s_cbranch_execz .LBB467_375
; %bb.372:
	v_bfe_u32 v26, v24, 24, 7
	s_movk_i32 s22, 0x7f
	v_cmp_ne_u32_e32 vcc, s22, v26
	v_mov_b32_e32 v30, 0x7f800001
	s_and_saveexec_b64 s[22:23], vcc
	s_cbranch_execz .LBB467_374
; %bb.373:
	v_and_b32_e32 v32, 7, v22
	v_ffbh_u32_e32 v30, v32
	v_min_u32_e32 v34, 32, v30
	v_subrev_u32_e32 v30, 28, v34
	v_lshlrev_b64 v[30:31], v30, v[22:23]
	v_lshrrev_b32_e32 v33, 3, v26
	v_sub_u32_e32 v31, 29, v34
	v_and_b32_e32 v30, 7, v30
	v_cmp_gt_u32_e32 vcc, 8, v26
	v_cndmask_b32_e32 v26, v33, v31, vcc
	v_cndmask_b32_e32 v30, v32, v30, vcc
	v_lshlrev_b32_e32 v22, 24, v22
	v_bfrev_b32_e32 v31, 60
	v_lshlrev_b32_e32 v30, 20, v30
	v_and_b32_e32 v22, 0x80000000, v22
	v_lshl_add_u32 v26, v26, 23, v31
	v_or3_b32 v30, v22, v26, v30
.LBB467_374:
	s_or_b64 exec, exec, s[22:23]
.LBB467_375:
	s_or_b64 exec, exec, s[20:21]
.LBB467_376:
	s_or_b64 exec, exec, s[10:11]
	v_mov_b32_e32 v22, v25
	v_cmp_ne_u16_sdwa s[20:21], v25, v23 src0_sel:BYTE_0 src1_sel:DWORD
	s_and_saveexec_b64 s[10:11], s[20:21]
	s_cbranch_execz .LBB467_382
; %bb.377:
	s_movk_i32 s20, 0x80
	v_cmp_ne_u16_sdwa s[22:23], v25, s20 src0_sel:BYTE_0 src1_sel:DWORD
	v_bfrev_b32_e32 v26, 1
	s_and_saveexec_b64 s[20:21], s[22:23]
	s_cbranch_execz .LBB467_381
; %bb.378:
	s_movk_i32 s22, 0x7f
	v_and_b32_e32 v31, 0x7f, v25
	v_cmp_ne_u32_e32 vcc, s22, v31
	v_mov_b32_e32 v26, 0x7f800001
	s_and_saveexec_b64 s[22:23], vcc
	s_cbranch_execz .LBB467_380
; %bb.379:
	v_and_b32_e32 v26, 7, v25
	v_ffbh_u32_e32 v26, v26
	v_min_u32_e32 v26, 32, v26
	v_subrev_u32_e32 v33, 28, v26
	v_cmp_gt_u32_e32 vcc, 8, v31
	v_lshrrev_b32_e32 v32, 3, v31
	v_sub_u32_e32 v26, 29, v26
	v_cndmask_b32_e32 v31, 0, v33, vcc
	v_cndmask_b32_e32 v26, v32, v26, vcc
	v_lshlrev_b64 v[32:33], v31, v[22:23]
	v_lshlrev_b32_e32 v23, 20, v32
	v_lshlrev_b32_e32 v31, 24, v22
	v_bfrev_b32_e32 v32, 60
	v_and_b32_e32 v23, 0x700000, v23
	v_and_b32_e32 v31, 0x80000000, v31
	v_lshl_add_u32 v26, v26, 23, v32
	v_or3_b32 v26, v31, v26, v23
.LBB467_380:
	s_or_b64 exec, exec, s[22:23]
.LBB467_381:
	s_or_b64 exec, exec, s[20:21]
	v_mov_b32_e32 v23, v26
.LBB467_382:
	s_or_b64 exec, exec, s[10:11]
	v_lshrrev_b16_e32 v26, 8, v22
	v_cmp_ne_u16_e32 vcc, 0, v26
	v_mov_b32_e32 v31, 0
	v_mov_b32_e32 v32, 0
	s_and_saveexec_b64 s[10:11], vcc
	s_cbranch_execz .LBB467_388
; %bb.383:
	s_movk_i32 s20, 0x80
	v_cmp_ne_u16_e32 vcc, s20, v26
	v_bfrev_b32_e32 v32, 1
	s_and_saveexec_b64 s[20:21], vcc
	s_cbranch_execz .LBB467_387
; %bb.384:
	s_movk_i32 s22, 0x7f
	v_and_b32_e32 v33, 0x7f, v26
	v_cmp_ne_u32_e32 vcc, s22, v33
	v_mov_b32_e32 v32, 0x7f800001
	s_and_saveexec_b64 s[22:23], vcc
	s_cbranch_execz .LBB467_386
; %bb.385:
	v_and_b32_e32 v32, 7, v26
	v_ffbh_u32_e32 v34, v32
	v_min_u32_e32 v37, 32, v34
	v_subrev_u32_e32 v34, 28, v37
	v_lshlrev_b64 v[34:35], v34, v[26:27]
	v_lshrrev_b32_e32 v36, 3, v33
	v_sub_u32_e32 v26, 29, v37
	v_and_b32_e32 v34, 7, v34
	v_cmp_gt_u32_e32 vcc, 8, v33
	v_cndmask_b32_e32 v26, v36, v26, vcc
	v_cndmask_b32_e32 v32, v32, v34, vcc
	v_lshlrev_b32_e32 v22, 16, v22
	v_bfrev_b32_e32 v33, 60
	v_lshlrev_b32_e32 v32, 20, v32
	v_and_b32_e32 v22, 0x80000000, v22
	v_lshl_add_u32 v26, v26, 23, v33
	v_or3_b32 v32, v22, v26, v32
.LBB467_386:
	s_or_b64 exec, exec, s[22:23]
.LBB467_387:
	s_or_b64 exec, exec, s[20:21]
.LBB467_388:
	s_or_b64 exec, exec, s[10:11]
	s_movk_i32 s10, 0xff
	v_and_b32_sdwa v26, v25, s10 dst_sel:DWORD dst_unused:UNUSED_PAD src0_sel:WORD_1 src1_sel:DWORD
	v_lshrrev_b32_e32 v22, 16, v25
	v_cmp_ne_u16_e32 vcc, 0, v26
	s_and_saveexec_b64 s[10:11], vcc
	s_cbranch_execz .LBB467_394
; %bb.389:
	s_movk_i32 s20, 0x80
	v_cmp_ne_u16_e32 vcc, s20, v26
	v_bfrev_b32_e32 v31, 1
	s_and_saveexec_b64 s[20:21], vcc
	s_cbranch_execz .LBB467_393
; %bb.390:
	v_bfe_u32 v26, v25, 16, 7
	s_movk_i32 s22, 0x7f
	v_cmp_ne_u32_e32 vcc, s22, v26
	v_mov_b32_e32 v31, 0x7f800001
	s_and_saveexec_b64 s[22:23], vcc
	s_cbranch_execz .LBB467_392
; %bb.391:
	v_and_b32_e32 v31, 7, v22
	v_ffbh_u32_e32 v34, v31
	v_min_u32_e32 v36, 32, v34
	v_subrev_u32_e32 v34, 28, v36
	v_lshlrev_b64 v[34:35], v34, v[22:23]
	v_and_b32_e32 v34, 7, v34
	v_cmp_gt_u32_e32 vcc, 8, v26
	v_lshrrev_b32_e32 v33, 3, v26
	v_sub_u32_e32 v22, 29, v36
	v_cndmask_b32_e32 v26, v31, v34, vcc
	v_mov_b32_e32 v31, 24
	v_cndmask_b32_e32 v22, v33, v22, vcc
	v_lshlrev_b32_sdwa v31, v31, v25 dst_sel:DWORD dst_unused:UNUSED_PAD src0_sel:DWORD src1_sel:WORD_1
	v_bfrev_b32_e32 v33, 60
	v_lshlrev_b32_e32 v26, 20, v26
	v_and_b32_e32 v31, 0x80000000, v31
	v_lshl_add_u32 v22, v22, 23, v33
	v_or3_b32 v31, v31, v22, v26
.LBB467_392:
	s_or_b64 exec, exec, s[22:23]
.LBB467_393:
	s_or_b64 exec, exec, s[20:21]
.LBB467_394:
	s_or_b64 exec, exec, s[10:11]
	s_mov_b32 s10, -1
	s_mov_b32 s11, 0xffffff
	v_cmp_lt_u64_e32 vcc, s[10:11], v[24:25]
	v_mov_b32_e32 v26, 0
	v_mov_b32_e32 v24, 0
	s_and_saveexec_b64 s[10:11], vcc
	s_cbranch_execz .LBB467_400
; %bb.395:
	v_lshrrev_b32_e32 v22, 24, v25
	s_movk_i32 s20, 0x80
	v_cmp_ne_u32_e32 vcc, s20, v22
	v_bfrev_b32_e32 v24, 1
	s_and_saveexec_b64 s[20:21], vcc
	s_cbranch_execz .LBB467_399
; %bb.396:
	v_bfe_u32 v25, v25, 24, 7
	s_movk_i32 s22, 0x7f
	v_cmp_ne_u32_e32 vcc, s22, v25
	v_mov_b32_e32 v24, 0x7f800001
	s_and_saveexec_b64 s[22:23], vcc
	s_cbranch_execz .LBB467_398
; %bb.397:
	v_and_b32_e32 v24, 7, v22
	v_ffbh_u32_e32 v34, v24
	v_min_u32_e32 v36, 32, v34
	v_subrev_u32_e32 v34, 28, v36
	v_lshlrev_b64 v[34:35], v34, v[22:23]
	v_lshrrev_b32_e32 v33, 3, v25
	v_sub_u32_e32 v35, 29, v36
	v_and_b32_e32 v34, 7, v34
	v_cmp_gt_u32_e32 vcc, 8, v25
	v_cndmask_b32_e32 v25, v33, v35, vcc
	v_cndmask_b32_e32 v24, v24, v34, vcc
	v_lshlrev_b32_e32 v22, 24, v22
	v_bfrev_b32_e32 v33, 60
	v_lshlrev_b32_e32 v24, 20, v24
	v_and_b32_e32 v22, 0x80000000, v22
	v_lshl_add_u32 v25, v25, 23, v33
	v_or3_b32 v24, v22, v25, v24
.LBB467_398:
	s_or_b64 exec, exec, s[22:23]
.LBB467_399:
	s_or_b64 exec, exec, s[20:21]
.LBB467_400:
	s_or_b64 exec, exec, s[10:11]
	v_cvt_pkrtz_f16_f32 v28, v28, v29
	v_cvt_pkrtz_f16_f32 v29, v27, v30
	;; [unrolled: 1-line block ×4, first 2 shown]
	v_mfma_f32_4x4x4f16 a[0:3], v[2:3], v[28:29], a[0:3] cbsz:4 abid:7
	v_cmp_ne_u16_sdwa s[20:21], v18, v26 src0_sel:BYTE_0 src1_sel:DWORD
	v_mfma_f32_4x4x4f16 a[0:3], v[4:5], v[22:23], a[0:3] cbsz:4 abid:7
	s_and_saveexec_b64 s[10:11], s[20:21]
	s_cbranch_execz .LBB467_406
; %bb.401:
	s_movk_i32 s20, 0x80
	v_cmp_ne_u16_sdwa s[22:23], v18, s20 src0_sel:BYTE_0 src1_sel:DWORD
	v_bfrev_b32_e32 v26, 1
	s_and_saveexec_b64 s[20:21], s[22:23]
	s_cbranch_execz .LBB467_405
; %bb.402:
	s_movk_i32 s22, 0x7f
	v_and_b32_e32 v22, 0x7f, v18
	v_cmp_ne_u32_e32 vcc, s22, v22
	v_mov_b32_e32 v26, 0x7f800001
	s_and_saveexec_b64 s[22:23], vcc
	s_cbranch_execz .LBB467_404
; %bb.403:
	v_and_b32_e32 v23, 7, v18
	v_ffbh_u32_e32 v23, v23
	v_min_u32_e32 v23, 32, v23
	v_subrev_u32_e32 v25, 28, v23
	v_cmp_gt_u32_e32 vcc, 8, v22
	v_lshrrev_b32_e32 v24, 3, v22
	v_sub_u32_e32 v23, 29, v23
	v_cndmask_b32_e32 v22, 0, v25, vcc
	v_cndmask_b32_e32 v24, v24, v23, vcc
	v_lshlrev_b64 v[22:23], v22, v[18:19]
	v_lshlrev_b32_e32 v22, 20, v22
	v_lshlrev_b32_e32 v23, 24, v18
	v_bfrev_b32_e32 v25, 60
	v_and_b32_e32 v22, 0x700000, v22
	v_and_b32_e32 v23, 0x80000000, v23
	v_lshl_add_u32 v24, v24, 23, v25
	v_or3_b32 v26, v23, v24, v22
.LBB467_404:
	s_or_b64 exec, exec, s[22:23]
.LBB467_405:
	s_or_b64 exec, exec, s[20:21]
.LBB467_406:
	s_or_b64 exec, exec, s[10:11]
	v_lshrrev_b16_e32 v22, 8, v18
	v_cmp_ne_u16_e32 vcc, 0, v22
	v_mov_b32_e32 v25, 0
	v_mov_b32_e32 v27, 0
	s_and_saveexec_b64 s[10:11], vcc
	s_cbranch_execz .LBB467_412
; %bb.407:
	s_movk_i32 s20, 0x80
	v_cmp_ne_u16_e32 vcc, s20, v22
	v_bfrev_b32_e32 v27, 1
	s_and_saveexec_b64 s[20:21], vcc
	s_cbranch_execz .LBB467_411
; %bb.408:
	s_movk_i32 s22, 0x7f
	v_and_b32_e32 v23, 0x7f, v22
	v_cmp_ne_u32_e32 vcc, s22, v23
	v_mov_b32_e32 v27, 0x7f800001
	s_and_saveexec_b64 s[22:23], vcc
	s_cbranch_execz .LBB467_410
; %bb.409:
	v_and_b32_e32 v24, 7, v22
	v_ffbh_u32_e32 v28, v24
	v_min_u32_e32 v30, 32, v28
	v_subrev_u32_e32 v28, 28, v30
	v_lshlrev_b64 v[28:29], v28, v[22:23]
	v_lshrrev_b32_e32 v27, 3, v23
	v_sub_u32_e32 v22, 29, v30
	v_and_b32_e32 v28, 7, v28
	v_cmp_gt_u32_e32 vcc, 8, v23
	v_cndmask_b32_e32 v22, v27, v22, vcc
	v_cndmask_b32_e32 v23, v24, v28, vcc
	v_lshlrev_b32_e32 v24, 16, v18
	v_bfrev_b32_e32 v27, 60
	v_lshlrev_b32_e32 v23, 20, v23
	v_and_b32_e32 v24, 0x80000000, v24
	v_lshl_add_u32 v22, v22, 23, v27
	v_or3_b32 v27, v24, v22, v23
.LBB467_410:
	s_or_b64 exec, exec, s[22:23]
.LBB467_411:
	s_or_b64 exec, exec, s[20:21]
.LBB467_412:
	s_or_b64 exec, exec, s[10:11]
	s_movk_i32 s10, 0xff
	v_and_b32_sdwa v23, v18, s10 dst_sel:DWORD dst_unused:UNUSED_PAD src0_sel:WORD_1 src1_sel:DWORD
	v_lshrrev_b32_e32 v22, 16, v18
	v_cmp_ne_u16_e32 vcc, 0, v23
	s_and_saveexec_b64 s[10:11], vcc
	s_cbranch_execz .LBB467_418
; %bb.413:
	s_movk_i32 s20, 0x80
	v_cmp_ne_u16_e32 vcc, s20, v23
	v_bfrev_b32_e32 v25, 1
	s_and_saveexec_b64 s[20:21], vcc
	s_cbranch_execz .LBB467_417
; %bb.414:
	v_bfe_u32 v23, v18, 16, 7
	s_movk_i32 s22, 0x7f
	v_cmp_ne_u32_e32 vcc, s22, v23
	v_mov_b32_e32 v25, 0x7f800001
	s_and_saveexec_b64 s[22:23], vcc
	s_cbranch_execz .LBB467_416
; %bb.415:
	v_and_b32_e32 v28, 7, v22
	v_ffbh_u32_e32 v24, v28
	v_min_u32_e32 v30, 32, v24
	v_subrev_u32_e32 v24, 28, v30
	v_lshlrev_b64 v[24:25], v24, v[22:23]
	v_and_b32_e32 v24, 7, v24
	v_cmp_gt_u32_e32 vcc, 8, v23
	v_lshrrev_b32_e32 v29, 3, v23
	v_sub_u32_e32 v22, 29, v30
	v_cndmask_b32_e32 v23, v28, v24, vcc
	v_mov_b32_e32 v24, 24
	v_cndmask_b32_e32 v22, v29, v22, vcc
	v_lshlrev_b32_sdwa v24, v24, v18 dst_sel:DWORD dst_unused:UNUSED_PAD src0_sel:DWORD src1_sel:WORD_1
	v_bfrev_b32_e32 v25, 60
	v_lshlrev_b32_e32 v23, 20, v23
	v_and_b32_e32 v24, 0x80000000, v24
	v_lshl_add_u32 v22, v22, 23, v25
	v_or3_b32 v25, v24, v22, v23
.LBB467_416:
	s_or_b64 exec, exec, s[22:23]
.LBB467_417:
	s_or_b64 exec, exec, s[20:21]
.LBB467_418:
	s_or_b64 exec, exec, s[10:11]
	s_mov_b32 s10, 0xffffff
	v_cmp_lt_u32_e32 vcc, s10, v18
	v_mov_b32_e32 v23, 0
	v_mov_b32_e32 v28, 0
	s_and_saveexec_b64 s[10:11], vcc
	s_cbranch_execz .LBB467_424
; %bb.419:
	v_lshrrev_b32_e32 v22, 24, v18
	s_movk_i32 s20, 0x80
	v_cmp_ne_u32_e32 vcc, s20, v22
	v_bfrev_b32_e32 v28, 1
	s_and_saveexec_b64 s[20:21], vcc
	s_cbranch_execz .LBB467_423
; %bb.420:
	v_bfe_u32 v24, v18, 24, 7
	s_movk_i32 s22, 0x7f
	v_cmp_ne_u32_e32 vcc, s22, v24
	v_mov_b32_e32 v28, 0x7f800001
	s_and_saveexec_b64 s[22:23], vcc
	s_cbranch_execz .LBB467_422
; %bb.421:
	v_and_b32_e32 v30, 7, v22
	v_ffbh_u32_e32 v28, v30
	v_min_u32_e32 v32, 32, v28
	v_subrev_u32_e32 v28, 28, v32
	v_lshlrev_b64 v[28:29], v28, v[22:23]
	v_lshrrev_b32_e32 v31, 3, v24
	v_sub_u32_e32 v29, 29, v32
	v_and_b32_e32 v28, 7, v28
	v_cmp_gt_u32_e32 vcc, 8, v24
	v_cndmask_b32_e32 v24, v31, v29, vcc
	v_cndmask_b32_e32 v28, v30, v28, vcc
	v_lshlrev_b32_e32 v22, 24, v22
	v_bfrev_b32_e32 v29, 60
	v_lshlrev_b32_e32 v28, 20, v28
	v_and_b32_e32 v22, 0x80000000, v22
	v_lshl_add_u32 v24, v24, 23, v29
	v_or3_b32 v28, v22, v24, v28
.LBB467_422:
	s_or_b64 exec, exec, s[22:23]
.LBB467_423:
	s_or_b64 exec, exec, s[20:21]
.LBB467_424:
	s_or_b64 exec, exec, s[10:11]
	v_mov_b32_e32 v22, v19
	v_cmp_ne_u16_sdwa s[20:21], v19, v23 src0_sel:BYTE_0 src1_sel:DWORD
	s_and_saveexec_b64 s[10:11], s[20:21]
	s_cbranch_execz .LBB467_430
; %bb.425:
	s_movk_i32 s20, 0x80
	v_cmp_ne_u16_sdwa s[22:23], v19, s20 src0_sel:BYTE_0 src1_sel:DWORD
	v_bfrev_b32_e32 v24, 1
	s_and_saveexec_b64 s[20:21], s[22:23]
	s_cbranch_execz .LBB467_429
; %bb.426:
	s_movk_i32 s22, 0x7f
	v_and_b32_e32 v29, 0x7f, v19
	v_cmp_ne_u32_e32 vcc, s22, v29
	v_mov_b32_e32 v24, 0x7f800001
	s_and_saveexec_b64 s[22:23], vcc
	s_cbranch_execz .LBB467_428
; %bb.427:
	v_and_b32_e32 v24, 7, v19
	v_ffbh_u32_e32 v24, v24
	v_min_u32_e32 v24, 32, v24
	v_subrev_u32_e32 v31, 28, v24
	v_cmp_gt_u32_e32 vcc, 8, v29
	v_lshrrev_b32_e32 v30, 3, v29
	v_sub_u32_e32 v24, 29, v24
	v_cndmask_b32_e32 v29, 0, v31, vcc
	v_cndmask_b32_e32 v24, v30, v24, vcc
	v_lshlrev_b64 v[30:31], v29, v[22:23]
	v_lshlrev_b32_e32 v23, 20, v30
	v_lshlrev_b32_e32 v29, 24, v22
	v_bfrev_b32_e32 v30, 60
	v_and_b32_e32 v23, 0x700000, v23
	v_and_b32_e32 v29, 0x80000000, v29
	v_lshl_add_u32 v24, v24, 23, v30
	v_or3_b32 v24, v29, v24, v23
.LBB467_428:
	s_or_b64 exec, exec, s[22:23]
.LBB467_429:
	s_or_b64 exec, exec, s[20:21]
	v_mov_b32_e32 v23, v24
.LBB467_430:
	s_or_b64 exec, exec, s[10:11]
	v_lshrrev_b16_e32 v24, 8, v22
	v_cmp_ne_u16_e32 vcc, 0, v24
	v_mov_b32_e32 v29, 0
	v_mov_b32_e32 v30, 0
	s_and_saveexec_b64 s[10:11], vcc
	s_cbranch_execz .LBB467_436
; %bb.431:
	s_movk_i32 s20, 0x80
	v_cmp_ne_u16_e32 vcc, s20, v24
	v_bfrev_b32_e32 v30, 1
	s_and_saveexec_b64 s[20:21], vcc
	s_cbranch_execz .LBB467_435
; %bb.432:
	s_movk_i32 s22, 0x7f
	v_and_b32_e32 v31, 0x7f, v24
	v_cmp_ne_u32_e32 vcc, s22, v31
	v_mov_b32_e32 v30, 0x7f800001
	s_and_saveexec_b64 s[22:23], vcc
	s_cbranch_execz .LBB467_434
; %bb.433:
	v_and_b32_e32 v30, 7, v24
	v_ffbh_u32_e32 v32, v30
	v_min_u32_e32 v35, 32, v32
	v_subrev_u32_e32 v32, 28, v35
	v_lshlrev_b64 v[32:33], v32, v[24:25]
	v_lshrrev_b32_e32 v34, 3, v31
	v_sub_u32_e32 v24, 29, v35
	v_and_b32_e32 v32, 7, v32
	v_cmp_gt_u32_e32 vcc, 8, v31
	v_cndmask_b32_e32 v24, v34, v24, vcc
	v_cndmask_b32_e32 v30, v30, v32, vcc
	v_lshlrev_b32_e32 v22, 16, v22
	v_bfrev_b32_e32 v31, 60
	v_lshlrev_b32_e32 v30, 20, v30
	v_and_b32_e32 v22, 0x80000000, v22
	v_lshl_add_u32 v24, v24, 23, v31
	v_or3_b32 v30, v22, v24, v30
.LBB467_434:
	s_or_b64 exec, exec, s[22:23]
.LBB467_435:
	s_or_b64 exec, exec, s[20:21]
.LBB467_436:
	s_or_b64 exec, exec, s[10:11]
	s_movk_i32 s10, 0xff
	v_and_b32_sdwa v24, v19, s10 dst_sel:DWORD dst_unused:UNUSED_PAD src0_sel:WORD_1 src1_sel:DWORD
	v_lshrrev_b32_e32 v22, 16, v19
	v_cmp_ne_u16_e32 vcc, 0, v24
	s_and_saveexec_b64 s[10:11], vcc
	s_cbranch_execz .LBB467_442
; %bb.437:
	s_movk_i32 s20, 0x80
	v_cmp_ne_u16_e32 vcc, s20, v24
	v_bfrev_b32_e32 v29, 1
	s_and_saveexec_b64 s[20:21], vcc
	s_cbranch_execz .LBB467_441
; %bb.438:
	v_bfe_u32 v24, v19, 16, 7
	s_movk_i32 s22, 0x7f
	v_cmp_ne_u32_e32 vcc, s22, v24
	v_mov_b32_e32 v29, 0x7f800001
	s_and_saveexec_b64 s[22:23], vcc
	s_cbranch_execz .LBB467_440
; %bb.439:
	v_and_b32_e32 v29, 7, v22
	v_ffbh_u32_e32 v32, v29
	v_min_u32_e32 v34, 32, v32
	v_subrev_u32_e32 v32, 28, v34
	v_lshlrev_b64 v[32:33], v32, v[22:23]
	v_and_b32_e32 v32, 7, v32
	v_cmp_gt_u32_e32 vcc, 8, v24
	v_lshrrev_b32_e32 v31, 3, v24
	v_sub_u32_e32 v22, 29, v34
	v_cndmask_b32_e32 v24, v29, v32, vcc
	v_mov_b32_e32 v29, 24
	v_cndmask_b32_e32 v22, v31, v22, vcc
	v_lshlrev_b32_sdwa v29, v29, v19 dst_sel:DWORD dst_unused:UNUSED_PAD src0_sel:DWORD src1_sel:WORD_1
	v_bfrev_b32_e32 v31, 60
	v_lshlrev_b32_e32 v24, 20, v24
	v_and_b32_e32 v29, 0x80000000, v29
	v_lshl_add_u32 v22, v22, 23, v31
	v_or3_b32 v29, v29, v22, v24
.LBB467_440:
	s_or_b64 exec, exec, s[22:23]
.LBB467_441:
	s_or_b64 exec, exec, s[20:21]
.LBB467_442:
	s_or_b64 exec, exec, s[10:11]
	s_mov_b32 s10, -1
	s_mov_b32 s11, 0xffffff
	v_cmp_lt_u64_e32 vcc, s[10:11], v[18:19]
	v_mov_b32_e32 v24, 0
	v_mov_b32_e32 v22, 0
	s_and_saveexec_b64 s[10:11], vcc
	s_cbranch_execz .LBB467_448
; %bb.443:
	v_lshrrev_b32_e32 v18, 24, v19
	s_movk_i32 s20, 0x80
	v_cmp_ne_u32_e32 vcc, s20, v18
	v_bfrev_b32_e32 v22, 1
	s_and_saveexec_b64 s[20:21], vcc
	s_cbranch_execz .LBB467_447
; %bb.444:
	v_bfe_u32 v19, v19, 24, 7
	s_movk_i32 s22, 0x7f
	v_cmp_ne_u32_e32 vcc, s22, v19
	v_mov_b32_e32 v22, 0x7f800001
	s_and_saveexec_b64 s[22:23], vcc
	s_cbranch_execz .LBB467_446
; %bb.445:
	v_and_b32_e32 v22, 7, v18
	v_ffbh_u32_e32 v32, v22
	v_min_u32_e32 v34, 32, v32
	v_subrev_u32_e32 v32, 28, v34
	v_lshlrev_b64 v[32:33], v32, v[18:19]
	v_lshrrev_b32_e32 v31, 3, v19
	v_sub_u32_e32 v33, 29, v34
	v_and_b32_e32 v32, 7, v32
	v_cmp_gt_u32_e32 vcc, 8, v19
	v_cndmask_b32_e32 v19, v31, v33, vcc
	v_cndmask_b32_e32 v22, v22, v32, vcc
	v_lshlrev_b32_e32 v18, 24, v18
	v_bfrev_b32_e32 v31, 60
	v_lshlrev_b32_e32 v22, 20, v22
	v_and_b32_e32 v18, 0x80000000, v18
	v_lshl_add_u32 v19, v19, 23, v31
	v_or3_b32 v22, v18, v19, v22
.LBB467_446:
	s_or_b64 exec, exec, s[22:23]
.LBB467_447:
	s_or_b64 exec, exec, s[20:21]
.LBB467_448:
	s_or_b64 exec, exec, s[10:11]
	v_cvt_pkrtz_f16_f32 v18, v26, v27
	v_cvt_pkrtz_f16_f32 v19, v25, v28
	;; [unrolled: 1-line block ×4, first 2 shown]
	v_mfma_f32_4x4x4f16 a[0:3], v[2:3], v[18:19], a[0:3] cbsz:4 abid:8
	v_cmp_ne_u16_sdwa s[20:21], v20, v24 src0_sel:BYTE_0 src1_sel:DWORD
	v_mfma_f32_4x4x4f16 a[0:3], v[4:5], v[26:27], a[0:3] cbsz:4 abid:8
	s_and_saveexec_b64 s[10:11], s[20:21]
	s_cbranch_execz .LBB467_454
; %bb.449:
	s_movk_i32 s20, 0x80
	v_cmp_ne_u16_sdwa s[22:23], v20, s20 src0_sel:BYTE_0 src1_sel:DWORD
	v_bfrev_b32_e32 v24, 1
	s_and_saveexec_b64 s[20:21], s[22:23]
	s_cbranch_execz .LBB467_453
; %bb.450:
	s_movk_i32 s22, 0x7f
	v_and_b32_e32 v18, 0x7f, v20
	v_cmp_ne_u32_e32 vcc, s22, v18
	v_mov_b32_e32 v24, 0x7f800001
	s_and_saveexec_b64 s[22:23], vcc
	s_cbranch_execz .LBB467_452
; %bb.451:
	v_and_b32_e32 v19, 7, v20
	v_ffbh_u32_e32 v19, v19
	v_min_u32_e32 v19, 32, v19
	v_subrev_u32_e32 v23, 28, v19
	v_cmp_gt_u32_e32 vcc, 8, v18
	v_lshrrev_b32_e32 v22, 3, v18
	v_sub_u32_e32 v19, 29, v19
	v_cndmask_b32_e32 v18, 0, v23, vcc
	v_cndmask_b32_e32 v22, v22, v19, vcc
	v_lshlrev_b64 v[18:19], v18, v[20:21]
	v_lshlrev_b32_e32 v18, 20, v18
	v_lshlrev_b32_e32 v19, 24, v20
	v_bfrev_b32_e32 v23, 60
	v_and_b32_e32 v18, 0x700000, v18
	v_and_b32_e32 v19, 0x80000000, v19
	v_lshl_add_u32 v22, v22, 23, v23
	v_or3_b32 v24, v19, v22, v18
.LBB467_452:
	s_or_b64 exec, exec, s[22:23]
.LBB467_453:
	s_or_b64 exec, exec, s[20:21]
.LBB467_454:
	s_or_b64 exec, exec, s[10:11]
	v_lshrrev_b16_e32 v18, 8, v20
	v_cmp_ne_u16_e32 vcc, 0, v18
	v_mov_b32_e32 v23, 0
	v_mov_b32_e32 v25, 0
	s_and_saveexec_b64 s[10:11], vcc
	s_cbranch_execz .LBB467_460
; %bb.455:
	s_movk_i32 s20, 0x80
	v_cmp_ne_u16_e32 vcc, s20, v18
	v_bfrev_b32_e32 v25, 1
	s_and_saveexec_b64 s[20:21], vcc
	s_cbranch_execz .LBB467_459
; %bb.456:
	s_movk_i32 s22, 0x7f
	v_and_b32_e32 v19, 0x7f, v18
	v_cmp_ne_u32_e32 vcc, s22, v19
	v_mov_b32_e32 v25, 0x7f800001
	s_and_saveexec_b64 s[22:23], vcc
	s_cbranch_execz .LBB467_458
; %bb.457:
	v_and_b32_e32 v22, 7, v18
	v_ffbh_u32_e32 v26, v22
	v_min_u32_e32 v28, 32, v26
	v_subrev_u32_e32 v26, 28, v28
	v_lshlrev_b64 v[26:27], v26, v[18:19]
	v_lshrrev_b32_e32 v25, 3, v19
	v_sub_u32_e32 v18, 29, v28
	v_and_b32_e32 v26, 7, v26
	v_cmp_gt_u32_e32 vcc, 8, v19
	v_cndmask_b32_e32 v18, v25, v18, vcc
	v_cndmask_b32_e32 v19, v22, v26, vcc
	v_lshlrev_b32_e32 v22, 16, v20
	v_bfrev_b32_e32 v25, 60
	v_lshlrev_b32_e32 v19, 20, v19
	v_and_b32_e32 v22, 0x80000000, v22
	v_lshl_add_u32 v18, v18, 23, v25
	v_or3_b32 v25, v22, v18, v19
.LBB467_458:
	s_or_b64 exec, exec, s[22:23]
.LBB467_459:
	s_or_b64 exec, exec, s[20:21]
.LBB467_460:
	s_or_b64 exec, exec, s[10:11]
	s_movk_i32 s10, 0xff
	v_and_b32_sdwa v19, v20, s10 dst_sel:DWORD dst_unused:UNUSED_PAD src0_sel:WORD_1 src1_sel:DWORD
	v_lshrrev_b32_e32 v18, 16, v20
	v_cmp_ne_u16_e32 vcc, 0, v19
	s_and_saveexec_b64 s[10:11], vcc
	s_cbranch_execz .LBB467_466
; %bb.461:
	s_movk_i32 s20, 0x80
	v_cmp_ne_u16_e32 vcc, s20, v19
	v_bfrev_b32_e32 v23, 1
	s_and_saveexec_b64 s[20:21], vcc
	s_cbranch_execz .LBB467_465
; %bb.462:
	v_bfe_u32 v19, v20, 16, 7
	s_movk_i32 s22, 0x7f
	v_cmp_ne_u32_e32 vcc, s22, v19
	v_mov_b32_e32 v23, 0x7f800001
	s_and_saveexec_b64 s[22:23], vcc
	s_cbranch_execz .LBB467_464
; %bb.463:
	v_and_b32_e32 v26, 7, v18
	v_ffbh_u32_e32 v22, v26
	v_min_u32_e32 v28, 32, v22
	v_subrev_u32_e32 v22, 28, v28
	v_lshlrev_b64 v[22:23], v22, v[18:19]
	v_and_b32_e32 v22, 7, v22
	v_cmp_gt_u32_e32 vcc, 8, v19
	v_lshrrev_b32_e32 v27, 3, v19
	v_sub_u32_e32 v18, 29, v28
	v_cndmask_b32_e32 v19, v26, v22, vcc
	v_mov_b32_e32 v22, 24
	v_cndmask_b32_e32 v18, v27, v18, vcc
	v_lshlrev_b32_sdwa v22, v22, v20 dst_sel:DWORD dst_unused:UNUSED_PAD src0_sel:DWORD src1_sel:WORD_1
	v_bfrev_b32_e32 v23, 60
	v_lshlrev_b32_e32 v19, 20, v19
	v_and_b32_e32 v22, 0x80000000, v22
	v_lshl_add_u32 v18, v18, 23, v23
	v_or3_b32 v23, v22, v18, v19
.LBB467_464:
	s_or_b64 exec, exec, s[22:23]
.LBB467_465:
	s_or_b64 exec, exec, s[20:21]
.LBB467_466:
	s_or_b64 exec, exec, s[10:11]
	s_mov_b32 s10, 0xffffff
	v_cmp_lt_u32_e32 vcc, s10, v20
	v_mov_b32_e32 v19, 0
	v_mov_b32_e32 v26, 0
	s_and_saveexec_b64 s[10:11], vcc
	s_cbranch_execz .LBB467_472
; %bb.467:
	v_lshrrev_b32_e32 v18, 24, v20
	s_movk_i32 s20, 0x80
	v_cmp_ne_u32_e32 vcc, s20, v18
	v_bfrev_b32_e32 v26, 1
	s_and_saveexec_b64 s[20:21], vcc
	s_cbranch_execz .LBB467_471
; %bb.468:
	v_bfe_u32 v22, v20, 24, 7
	s_movk_i32 s22, 0x7f
	v_cmp_ne_u32_e32 vcc, s22, v22
	v_mov_b32_e32 v26, 0x7f800001
	s_and_saveexec_b64 s[22:23], vcc
	s_cbranch_execz .LBB467_470
; %bb.469:
	v_and_b32_e32 v28, 7, v18
	v_ffbh_u32_e32 v26, v28
	v_min_u32_e32 v30, 32, v26
	v_subrev_u32_e32 v26, 28, v30
	v_lshlrev_b64 v[26:27], v26, v[18:19]
	v_lshrrev_b32_e32 v29, 3, v22
	v_sub_u32_e32 v27, 29, v30
	v_and_b32_e32 v26, 7, v26
	v_cmp_gt_u32_e32 vcc, 8, v22
	v_cndmask_b32_e32 v22, v29, v27, vcc
	v_cndmask_b32_e32 v26, v28, v26, vcc
	v_lshlrev_b32_e32 v18, 24, v18
	v_bfrev_b32_e32 v27, 60
	v_lshlrev_b32_e32 v26, 20, v26
	v_and_b32_e32 v18, 0x80000000, v18
	v_lshl_add_u32 v22, v22, 23, v27
	v_or3_b32 v26, v18, v22, v26
.LBB467_470:
	s_or_b64 exec, exec, s[22:23]
.LBB467_471:
	s_or_b64 exec, exec, s[20:21]
.LBB467_472:
	s_or_b64 exec, exec, s[10:11]
	v_mov_b32_e32 v18, v21
	v_cmp_ne_u16_sdwa s[20:21], v21, v19 src0_sel:BYTE_0 src1_sel:DWORD
	s_and_saveexec_b64 s[10:11], s[20:21]
	s_cbranch_execz .LBB467_478
; %bb.473:
	s_movk_i32 s20, 0x80
	v_cmp_ne_u16_sdwa s[22:23], v21, s20 src0_sel:BYTE_0 src1_sel:DWORD
	v_bfrev_b32_e32 v22, 1
	s_and_saveexec_b64 s[20:21], s[22:23]
	s_cbranch_execz .LBB467_477
; %bb.474:
	s_movk_i32 s22, 0x7f
	v_and_b32_e32 v27, 0x7f, v21
	v_cmp_ne_u32_e32 vcc, s22, v27
	v_mov_b32_e32 v22, 0x7f800001
	s_and_saveexec_b64 s[22:23], vcc
	s_cbranch_execz .LBB467_476
; %bb.475:
	v_and_b32_e32 v22, 7, v21
	v_ffbh_u32_e32 v22, v22
	v_min_u32_e32 v22, 32, v22
	v_subrev_u32_e32 v29, 28, v22
	v_cmp_gt_u32_e32 vcc, 8, v27
	v_lshrrev_b32_e32 v28, 3, v27
	v_sub_u32_e32 v22, 29, v22
	v_cndmask_b32_e32 v27, 0, v29, vcc
	v_cndmask_b32_e32 v22, v28, v22, vcc
	v_lshlrev_b64 v[28:29], v27, v[18:19]
	v_lshlrev_b32_e32 v19, 20, v28
	v_lshlrev_b32_e32 v27, 24, v18
	v_bfrev_b32_e32 v28, 60
	v_and_b32_e32 v19, 0x700000, v19
	v_and_b32_e32 v27, 0x80000000, v27
	v_lshl_add_u32 v22, v22, 23, v28
	v_or3_b32 v22, v27, v22, v19
.LBB467_476:
	s_or_b64 exec, exec, s[22:23]
.LBB467_477:
	s_or_b64 exec, exec, s[20:21]
	v_mov_b32_e32 v19, v22
.LBB467_478:
	s_or_b64 exec, exec, s[10:11]
	v_lshrrev_b16_e32 v22, 8, v18
	v_cmp_ne_u16_e32 vcc, 0, v22
	v_mov_b32_e32 v27, 0
	v_mov_b32_e32 v28, 0
	s_and_saveexec_b64 s[10:11], vcc
	s_cbranch_execz .LBB467_484
; %bb.479:
	s_movk_i32 s20, 0x80
	v_cmp_ne_u16_e32 vcc, s20, v22
	v_bfrev_b32_e32 v28, 1
	s_and_saveexec_b64 s[20:21], vcc
	s_cbranch_execz .LBB467_483
; %bb.480:
	s_movk_i32 s22, 0x7f
	v_and_b32_e32 v29, 0x7f, v22
	v_cmp_ne_u32_e32 vcc, s22, v29
	v_mov_b32_e32 v28, 0x7f800001
	s_and_saveexec_b64 s[22:23], vcc
	s_cbranch_execz .LBB467_482
; %bb.481:
	v_and_b32_e32 v28, 7, v22
	v_ffbh_u32_e32 v30, v28
	v_min_u32_e32 v33, 32, v30
	v_subrev_u32_e32 v30, 28, v33
	v_lshlrev_b64 v[30:31], v30, v[22:23]
	v_lshrrev_b32_e32 v32, 3, v29
	v_sub_u32_e32 v22, 29, v33
	v_and_b32_e32 v30, 7, v30
	v_cmp_gt_u32_e32 vcc, 8, v29
	v_cndmask_b32_e32 v22, v32, v22, vcc
	v_cndmask_b32_e32 v28, v28, v30, vcc
	v_lshlrev_b32_e32 v18, 16, v18
	v_bfrev_b32_e32 v29, 60
	v_lshlrev_b32_e32 v28, 20, v28
	v_and_b32_e32 v18, 0x80000000, v18
	v_lshl_add_u32 v22, v22, 23, v29
	v_or3_b32 v28, v18, v22, v28
.LBB467_482:
	s_or_b64 exec, exec, s[22:23]
.LBB467_483:
	s_or_b64 exec, exec, s[20:21]
.LBB467_484:
	s_or_b64 exec, exec, s[10:11]
	s_movk_i32 s10, 0xff
	v_and_b32_sdwa v22, v21, s10 dst_sel:DWORD dst_unused:UNUSED_PAD src0_sel:WORD_1 src1_sel:DWORD
	v_lshrrev_b32_e32 v18, 16, v21
	v_cmp_ne_u16_e32 vcc, 0, v22
	s_and_saveexec_b64 s[10:11], vcc
	s_cbranch_execz .LBB467_490
; %bb.485:
	s_movk_i32 s20, 0x80
	v_cmp_ne_u16_e32 vcc, s20, v22
	v_bfrev_b32_e32 v27, 1
	s_and_saveexec_b64 s[20:21], vcc
	s_cbranch_execz .LBB467_489
; %bb.486:
	v_bfe_u32 v22, v21, 16, 7
	s_movk_i32 s22, 0x7f
	v_cmp_ne_u32_e32 vcc, s22, v22
	v_mov_b32_e32 v27, 0x7f800001
	s_and_saveexec_b64 s[22:23], vcc
	s_cbranch_execz .LBB467_488
; %bb.487:
	v_and_b32_e32 v27, 7, v18
	v_ffbh_u32_e32 v30, v27
	v_min_u32_e32 v32, 32, v30
	v_subrev_u32_e32 v30, 28, v32
	v_lshlrev_b64 v[30:31], v30, v[18:19]
	v_and_b32_e32 v30, 7, v30
	v_cmp_gt_u32_e32 vcc, 8, v22
	v_lshrrev_b32_e32 v29, 3, v22
	v_sub_u32_e32 v18, 29, v32
	v_cndmask_b32_e32 v22, v27, v30, vcc
	v_mov_b32_e32 v27, 24
	v_cndmask_b32_e32 v18, v29, v18, vcc
	v_lshlrev_b32_sdwa v27, v27, v21 dst_sel:DWORD dst_unused:UNUSED_PAD src0_sel:DWORD src1_sel:WORD_1
	v_bfrev_b32_e32 v29, 60
	v_lshlrev_b32_e32 v22, 20, v22
	v_and_b32_e32 v27, 0x80000000, v27
	v_lshl_add_u32 v18, v18, 23, v29
	v_or3_b32 v27, v27, v18, v22
.LBB467_488:
	s_or_b64 exec, exec, s[22:23]
.LBB467_489:
	s_or_b64 exec, exec, s[20:21]
.LBB467_490:
	s_or_b64 exec, exec, s[10:11]
	s_mov_b32 s10, -1
	s_mov_b32 s11, 0xffffff
	v_cmp_lt_u64_e32 vcc, s[10:11], v[20:21]
	v_mov_b32_e32 v22, 0
	v_mov_b32_e32 v20, 0
	s_and_saveexec_b64 s[10:11], vcc
	s_cbranch_execz .LBB467_496
; %bb.491:
	v_lshrrev_b32_e32 v18, 24, v21
	s_movk_i32 s20, 0x80
	v_cmp_ne_u32_e32 vcc, s20, v18
	v_bfrev_b32_e32 v20, 1
	s_and_saveexec_b64 s[20:21], vcc
	s_cbranch_execz .LBB467_495
; %bb.492:
	v_bfe_u32 v21, v21, 24, 7
	s_movk_i32 s22, 0x7f
	v_cmp_ne_u32_e32 vcc, s22, v21
	v_mov_b32_e32 v20, 0x7f800001
	s_and_saveexec_b64 s[22:23], vcc
	s_cbranch_execz .LBB467_494
; %bb.493:
	v_and_b32_e32 v20, 7, v18
	v_ffbh_u32_e32 v30, v20
	v_min_u32_e32 v32, 32, v30
	v_subrev_u32_e32 v30, 28, v32
	v_lshlrev_b64 v[30:31], v30, v[18:19]
	v_lshrrev_b32_e32 v29, 3, v21
	v_sub_u32_e32 v31, 29, v32
	v_and_b32_e32 v30, 7, v30
	v_cmp_gt_u32_e32 vcc, 8, v21
	v_cndmask_b32_e32 v21, v29, v31, vcc
	v_cndmask_b32_e32 v20, v20, v30, vcc
	v_lshlrev_b32_e32 v18, 24, v18
	v_bfrev_b32_e32 v29, 60
	v_lshlrev_b32_e32 v20, 20, v20
	v_and_b32_e32 v18, 0x80000000, v18
	v_lshl_add_u32 v21, v21, 23, v29
	v_or3_b32 v20, v18, v21, v20
.LBB467_494:
	s_or_b64 exec, exec, s[22:23]
.LBB467_495:
	s_or_b64 exec, exec, s[20:21]
.LBB467_496:
	s_or_b64 exec, exec, s[10:11]
	v_cvt_pkrtz_f16_f32 v24, v24, v25
	v_cvt_pkrtz_f16_f32 v25, v23, v26
	v_cvt_pkrtz_f16_f32 v18, v19, v28
	v_cvt_pkrtz_f16_f32 v19, v27, v20
	v_mfma_f32_4x4x4f16 a[0:3], v[2:3], v[24:25], a[0:3] cbsz:4 abid:9
	v_cmp_ne_u16_sdwa s[20:21], v14, v22 src0_sel:BYTE_0 src1_sel:DWORD
	v_mfma_f32_4x4x4f16 a[0:3], v[4:5], v[18:19], a[0:3] cbsz:4 abid:9
	s_and_saveexec_b64 s[10:11], s[20:21]
	s_cbranch_execz .LBB467_502
; %bb.497:
	s_movk_i32 s20, 0x80
	v_cmp_ne_u16_sdwa s[22:23], v14, s20 src0_sel:BYTE_0 src1_sel:DWORD
	v_bfrev_b32_e32 v22, 1
	s_and_saveexec_b64 s[20:21], s[22:23]
	s_cbranch_execz .LBB467_501
; %bb.498:
	s_movk_i32 s22, 0x7f
	v_and_b32_e32 v18, 0x7f, v14
	v_cmp_ne_u32_e32 vcc, s22, v18
	v_mov_b32_e32 v22, 0x7f800001
	s_and_saveexec_b64 s[22:23], vcc
	s_cbranch_execz .LBB467_500
; %bb.499:
	v_and_b32_e32 v19, 7, v14
	v_ffbh_u32_e32 v19, v19
	v_min_u32_e32 v19, 32, v19
	v_subrev_u32_e32 v21, 28, v19
	v_cmp_gt_u32_e32 vcc, 8, v18
	v_lshrrev_b32_e32 v20, 3, v18
	v_sub_u32_e32 v19, 29, v19
	v_cndmask_b32_e32 v18, 0, v21, vcc
	v_cndmask_b32_e32 v20, v20, v19, vcc
	v_lshlrev_b64 v[18:19], v18, v[14:15]
	v_lshlrev_b32_e32 v18, 20, v18
	v_lshlrev_b32_e32 v19, 24, v14
	v_bfrev_b32_e32 v21, 60
	v_and_b32_e32 v18, 0x700000, v18
	v_and_b32_e32 v19, 0x80000000, v19
	v_lshl_add_u32 v20, v20, 23, v21
	v_or3_b32 v22, v19, v20, v18
.LBB467_500:
	s_or_b64 exec, exec, s[22:23]
.LBB467_501:
	s_or_b64 exec, exec, s[20:21]
.LBB467_502:
	s_or_b64 exec, exec, s[10:11]
	v_lshrrev_b16_e32 v18, 8, v14
	v_cmp_ne_u16_e32 vcc, 0, v18
	v_mov_b32_e32 v21, 0
	v_mov_b32_e32 v23, 0
	s_and_saveexec_b64 s[10:11], vcc
	s_cbranch_execz .LBB467_508
; %bb.503:
	s_movk_i32 s20, 0x80
	v_cmp_ne_u16_e32 vcc, s20, v18
	v_bfrev_b32_e32 v23, 1
	s_and_saveexec_b64 s[20:21], vcc
	s_cbranch_execz .LBB467_507
; %bb.504:
	s_movk_i32 s22, 0x7f
	v_and_b32_e32 v19, 0x7f, v18
	v_cmp_ne_u32_e32 vcc, s22, v19
	v_mov_b32_e32 v23, 0x7f800001
	s_and_saveexec_b64 s[22:23], vcc
	s_cbranch_execz .LBB467_506
; %bb.505:
	v_and_b32_e32 v20, 7, v18
	v_ffbh_u32_e32 v24, v20
	v_min_u32_e32 v26, 32, v24
	v_subrev_u32_e32 v24, 28, v26
	v_lshlrev_b64 v[24:25], v24, v[18:19]
	v_lshrrev_b32_e32 v23, 3, v19
	v_sub_u32_e32 v18, 29, v26
	v_and_b32_e32 v24, 7, v24
	v_cmp_gt_u32_e32 vcc, 8, v19
	v_cndmask_b32_e32 v18, v23, v18, vcc
	v_cndmask_b32_e32 v19, v20, v24, vcc
	v_lshlrev_b32_e32 v20, 16, v14
	v_bfrev_b32_e32 v23, 60
	v_lshlrev_b32_e32 v19, 20, v19
	v_and_b32_e32 v20, 0x80000000, v20
	v_lshl_add_u32 v18, v18, 23, v23
	v_or3_b32 v23, v20, v18, v19
.LBB467_506:
	s_or_b64 exec, exec, s[22:23]
.LBB467_507:
	s_or_b64 exec, exec, s[20:21]
.LBB467_508:
	s_or_b64 exec, exec, s[10:11]
	s_movk_i32 s10, 0xff
	v_and_b32_sdwa v19, v14, s10 dst_sel:DWORD dst_unused:UNUSED_PAD src0_sel:WORD_1 src1_sel:DWORD
	v_lshrrev_b32_e32 v18, 16, v14
	v_cmp_ne_u16_e32 vcc, 0, v19
	s_and_saveexec_b64 s[10:11], vcc
	s_cbranch_execz .LBB467_514
; %bb.509:
	s_movk_i32 s20, 0x80
	v_cmp_ne_u16_e32 vcc, s20, v19
	v_bfrev_b32_e32 v21, 1
	s_and_saveexec_b64 s[20:21], vcc
	s_cbranch_execz .LBB467_513
; %bb.510:
	v_bfe_u32 v19, v14, 16, 7
	s_movk_i32 s22, 0x7f
	v_cmp_ne_u32_e32 vcc, s22, v19
	v_mov_b32_e32 v21, 0x7f800001
	s_and_saveexec_b64 s[22:23], vcc
	s_cbranch_execz .LBB467_512
; %bb.511:
	v_and_b32_e32 v24, 7, v18
	v_ffbh_u32_e32 v20, v24
	v_min_u32_e32 v26, 32, v20
	v_subrev_u32_e32 v20, 28, v26
	v_lshlrev_b64 v[20:21], v20, v[18:19]
	v_and_b32_e32 v20, 7, v20
	v_cmp_gt_u32_e32 vcc, 8, v19
	v_lshrrev_b32_e32 v25, 3, v19
	v_sub_u32_e32 v18, 29, v26
	v_cndmask_b32_e32 v19, v24, v20, vcc
	v_mov_b32_e32 v20, 24
	v_cndmask_b32_e32 v18, v25, v18, vcc
	v_lshlrev_b32_sdwa v20, v20, v14 dst_sel:DWORD dst_unused:UNUSED_PAD src0_sel:DWORD src1_sel:WORD_1
	v_bfrev_b32_e32 v21, 60
	v_lshlrev_b32_e32 v19, 20, v19
	v_and_b32_e32 v20, 0x80000000, v20
	v_lshl_add_u32 v18, v18, 23, v21
	v_or3_b32 v21, v20, v18, v19
.LBB467_512:
	s_or_b64 exec, exec, s[22:23]
.LBB467_513:
	s_or_b64 exec, exec, s[20:21]
.LBB467_514:
	s_or_b64 exec, exec, s[10:11]
	s_mov_b32 s10, 0xffffff
	v_cmp_lt_u32_e32 vcc, s10, v14
	v_mov_b32_e32 v19, 0
	v_mov_b32_e32 v24, 0
	s_and_saveexec_b64 s[10:11], vcc
	s_cbranch_execz .LBB467_520
; %bb.515:
	v_lshrrev_b32_e32 v18, 24, v14
	s_movk_i32 s20, 0x80
	v_cmp_ne_u32_e32 vcc, s20, v18
	v_bfrev_b32_e32 v24, 1
	s_and_saveexec_b64 s[20:21], vcc
	s_cbranch_execz .LBB467_519
; %bb.516:
	v_bfe_u32 v20, v14, 24, 7
	s_movk_i32 s22, 0x7f
	v_cmp_ne_u32_e32 vcc, s22, v20
	v_mov_b32_e32 v24, 0x7f800001
	s_and_saveexec_b64 s[22:23], vcc
	s_cbranch_execz .LBB467_518
; %bb.517:
	v_and_b32_e32 v26, 7, v18
	v_ffbh_u32_e32 v24, v26
	v_min_u32_e32 v28, 32, v24
	v_subrev_u32_e32 v24, 28, v28
	v_lshlrev_b64 v[24:25], v24, v[18:19]
	v_lshrrev_b32_e32 v27, 3, v20
	v_sub_u32_e32 v25, 29, v28
	v_and_b32_e32 v24, 7, v24
	v_cmp_gt_u32_e32 vcc, 8, v20
	v_cndmask_b32_e32 v20, v27, v25, vcc
	v_cndmask_b32_e32 v24, v26, v24, vcc
	v_lshlrev_b32_e32 v18, 24, v18
	v_bfrev_b32_e32 v25, 60
	v_lshlrev_b32_e32 v24, 20, v24
	v_and_b32_e32 v18, 0x80000000, v18
	v_lshl_add_u32 v20, v20, 23, v25
	v_or3_b32 v24, v18, v20, v24
.LBB467_518:
	s_or_b64 exec, exec, s[22:23]
.LBB467_519:
	s_or_b64 exec, exec, s[20:21]
.LBB467_520:
	s_or_b64 exec, exec, s[10:11]
	v_mov_b32_e32 v18, v15
	v_cmp_ne_u16_sdwa s[20:21], v15, v19 src0_sel:BYTE_0 src1_sel:DWORD
	s_and_saveexec_b64 s[10:11], s[20:21]
	s_cbranch_execz .LBB467_526
; %bb.521:
	s_movk_i32 s20, 0x80
	v_cmp_ne_u16_sdwa s[22:23], v15, s20 src0_sel:BYTE_0 src1_sel:DWORD
	v_bfrev_b32_e32 v20, 1
	s_and_saveexec_b64 s[20:21], s[22:23]
	s_cbranch_execz .LBB467_525
; %bb.522:
	s_movk_i32 s22, 0x7f
	v_and_b32_e32 v25, 0x7f, v15
	v_cmp_ne_u32_e32 vcc, s22, v25
	v_mov_b32_e32 v20, 0x7f800001
	s_and_saveexec_b64 s[22:23], vcc
	s_cbranch_execz .LBB467_524
; %bb.523:
	v_and_b32_e32 v20, 7, v15
	v_ffbh_u32_e32 v20, v20
	v_min_u32_e32 v20, 32, v20
	v_subrev_u32_e32 v27, 28, v20
	v_cmp_gt_u32_e32 vcc, 8, v25
	v_lshrrev_b32_e32 v26, 3, v25
	v_sub_u32_e32 v20, 29, v20
	v_cndmask_b32_e32 v25, 0, v27, vcc
	v_cndmask_b32_e32 v20, v26, v20, vcc
	v_lshlrev_b64 v[26:27], v25, v[18:19]
	v_lshlrev_b32_e32 v19, 20, v26
	v_lshlrev_b32_e32 v25, 24, v18
	v_bfrev_b32_e32 v26, 60
	v_and_b32_e32 v19, 0x700000, v19
	v_and_b32_e32 v25, 0x80000000, v25
	v_lshl_add_u32 v20, v20, 23, v26
	v_or3_b32 v20, v25, v20, v19
.LBB467_524:
	s_or_b64 exec, exec, s[22:23]
.LBB467_525:
	s_or_b64 exec, exec, s[20:21]
	v_mov_b32_e32 v19, v20
.LBB467_526:
	s_or_b64 exec, exec, s[10:11]
	v_lshrrev_b16_e32 v20, 8, v18
	v_cmp_ne_u16_e32 vcc, 0, v20
	v_mov_b32_e32 v25, 0
	v_mov_b32_e32 v26, 0
	s_and_saveexec_b64 s[10:11], vcc
	s_cbranch_execz .LBB467_532
; %bb.527:
	s_movk_i32 s20, 0x80
	v_cmp_ne_u16_e32 vcc, s20, v20
	v_bfrev_b32_e32 v26, 1
	s_and_saveexec_b64 s[20:21], vcc
	s_cbranch_execz .LBB467_531
; %bb.528:
	s_movk_i32 s22, 0x7f
	v_and_b32_e32 v27, 0x7f, v20
	v_cmp_ne_u32_e32 vcc, s22, v27
	v_mov_b32_e32 v26, 0x7f800001
	s_and_saveexec_b64 s[22:23], vcc
	s_cbranch_execz .LBB467_530
; %bb.529:
	v_and_b32_e32 v26, 7, v20
	v_ffbh_u32_e32 v28, v26
	v_min_u32_e32 v31, 32, v28
	v_subrev_u32_e32 v28, 28, v31
	v_lshlrev_b64 v[28:29], v28, v[20:21]
	v_lshrrev_b32_e32 v30, 3, v27
	v_sub_u32_e32 v20, 29, v31
	v_and_b32_e32 v28, 7, v28
	v_cmp_gt_u32_e32 vcc, 8, v27
	v_cndmask_b32_e32 v20, v30, v20, vcc
	v_cndmask_b32_e32 v26, v26, v28, vcc
	v_lshlrev_b32_e32 v18, 16, v18
	v_bfrev_b32_e32 v27, 60
	v_lshlrev_b32_e32 v26, 20, v26
	v_and_b32_e32 v18, 0x80000000, v18
	v_lshl_add_u32 v20, v20, 23, v27
	v_or3_b32 v26, v18, v20, v26
.LBB467_530:
	s_or_b64 exec, exec, s[22:23]
.LBB467_531:
	s_or_b64 exec, exec, s[20:21]
.LBB467_532:
	s_or_b64 exec, exec, s[10:11]
	s_movk_i32 s10, 0xff
	v_and_b32_sdwa v20, v15, s10 dst_sel:DWORD dst_unused:UNUSED_PAD src0_sel:WORD_1 src1_sel:DWORD
	v_lshrrev_b32_e32 v18, 16, v15
	v_cmp_ne_u16_e32 vcc, 0, v20
	s_and_saveexec_b64 s[10:11], vcc
	s_cbranch_execz .LBB467_538
; %bb.533:
	s_movk_i32 s20, 0x80
	v_cmp_ne_u16_e32 vcc, s20, v20
	v_bfrev_b32_e32 v25, 1
	s_and_saveexec_b64 s[20:21], vcc
	s_cbranch_execz .LBB467_537
; %bb.534:
	v_bfe_u32 v20, v15, 16, 7
	s_movk_i32 s22, 0x7f
	v_cmp_ne_u32_e32 vcc, s22, v20
	v_mov_b32_e32 v25, 0x7f800001
	s_and_saveexec_b64 s[22:23], vcc
	s_cbranch_execz .LBB467_536
; %bb.535:
	v_and_b32_e32 v25, 7, v18
	v_ffbh_u32_e32 v28, v25
	v_min_u32_e32 v30, 32, v28
	v_subrev_u32_e32 v28, 28, v30
	v_lshlrev_b64 v[28:29], v28, v[18:19]
	v_and_b32_e32 v28, 7, v28
	v_cmp_gt_u32_e32 vcc, 8, v20
	v_lshrrev_b32_e32 v27, 3, v20
	v_sub_u32_e32 v18, 29, v30
	v_cndmask_b32_e32 v20, v25, v28, vcc
	v_mov_b32_e32 v25, 24
	v_cndmask_b32_e32 v18, v27, v18, vcc
	v_lshlrev_b32_sdwa v25, v25, v15 dst_sel:DWORD dst_unused:UNUSED_PAD src0_sel:DWORD src1_sel:WORD_1
	v_bfrev_b32_e32 v27, 60
	v_lshlrev_b32_e32 v20, 20, v20
	v_and_b32_e32 v25, 0x80000000, v25
	v_lshl_add_u32 v18, v18, 23, v27
	v_or3_b32 v25, v25, v18, v20
.LBB467_536:
	s_or_b64 exec, exec, s[22:23]
.LBB467_537:
	s_or_b64 exec, exec, s[20:21]
.LBB467_538:
	s_or_b64 exec, exec, s[10:11]
	s_mov_b32 s10, -1
	s_mov_b32 s11, 0xffffff
	v_cmp_lt_u64_e32 vcc, s[10:11], v[14:15]
	v_mov_b32_e32 v20, 0
	v_mov_b32_e32 v18, 0
	s_and_saveexec_b64 s[10:11], vcc
	s_cbranch_execz .LBB467_544
; %bb.539:
	v_lshrrev_b32_e32 v14, 24, v15
	s_movk_i32 s20, 0x80
	v_cmp_ne_u32_e32 vcc, s20, v14
	v_bfrev_b32_e32 v18, 1
	s_and_saveexec_b64 s[20:21], vcc
	s_cbranch_execz .LBB467_543
; %bb.540:
	v_bfe_u32 v15, v15, 24, 7
	s_movk_i32 s22, 0x7f
	v_cmp_ne_u32_e32 vcc, s22, v15
	v_mov_b32_e32 v18, 0x7f800001
	s_and_saveexec_b64 s[22:23], vcc
	s_cbranch_execz .LBB467_542
; %bb.541:
	v_and_b32_e32 v18, 7, v14
	v_ffbh_u32_e32 v28, v18
	v_min_u32_e32 v30, 32, v28
	v_subrev_u32_e32 v28, 28, v30
	v_lshlrev_b64 v[28:29], v28, v[14:15]
	v_lshrrev_b32_e32 v27, 3, v15
	v_sub_u32_e32 v29, 29, v30
	v_and_b32_e32 v28, 7, v28
	v_cmp_gt_u32_e32 vcc, 8, v15
	v_cndmask_b32_e32 v15, v27, v29, vcc
	v_cndmask_b32_e32 v18, v18, v28, vcc
	v_lshlrev_b32_e32 v14, 24, v14
	v_bfrev_b32_e32 v27, 60
	v_lshlrev_b32_e32 v18, 20, v18
	v_and_b32_e32 v14, 0x80000000, v14
	v_lshl_add_u32 v15, v15, 23, v27
	v_or3_b32 v18, v14, v15, v18
.LBB467_542:
	s_or_b64 exec, exec, s[22:23]
.LBB467_543:
	s_or_b64 exec, exec, s[20:21]
.LBB467_544:
	s_or_b64 exec, exec, s[10:11]
	v_cvt_pkrtz_f16_f32 v14, v22, v23
	v_cvt_pkrtz_f16_f32 v15, v21, v24
	;; [unrolled: 1-line block ×4, first 2 shown]
	v_mfma_f32_4x4x4f16 a[0:3], v[2:3], v[14:15], a[0:3] cbsz:4 abid:10
	v_cmp_ne_u16_sdwa s[20:21], v16, v20 src0_sel:BYTE_0 src1_sel:DWORD
	v_mfma_f32_4x4x4f16 a[0:3], v[4:5], v[22:23], a[0:3] cbsz:4 abid:10
	s_and_saveexec_b64 s[10:11], s[20:21]
	s_cbranch_execz .LBB467_550
; %bb.545:
	s_movk_i32 s20, 0x80
	v_cmp_ne_u16_sdwa s[22:23], v16, s20 src0_sel:BYTE_0 src1_sel:DWORD
	v_bfrev_b32_e32 v20, 1
	s_and_saveexec_b64 s[20:21], s[22:23]
	s_cbranch_execz .LBB467_549
; %bb.546:
	s_movk_i32 s22, 0x7f
	v_and_b32_e32 v14, 0x7f, v16
	v_cmp_ne_u32_e32 vcc, s22, v14
	v_mov_b32_e32 v20, 0x7f800001
	s_and_saveexec_b64 s[22:23], vcc
	s_cbranch_execz .LBB467_548
; %bb.547:
	v_and_b32_e32 v15, 7, v16
	v_ffbh_u32_e32 v15, v15
	v_min_u32_e32 v15, 32, v15
	v_subrev_u32_e32 v19, 28, v15
	v_cmp_gt_u32_e32 vcc, 8, v14
	v_lshrrev_b32_e32 v18, 3, v14
	v_sub_u32_e32 v15, 29, v15
	v_cndmask_b32_e32 v14, 0, v19, vcc
	v_cndmask_b32_e32 v18, v18, v15, vcc
	v_lshlrev_b64 v[14:15], v14, v[16:17]
	v_lshlrev_b32_e32 v14, 20, v14
	v_lshlrev_b32_e32 v15, 24, v16
	v_bfrev_b32_e32 v19, 60
	v_and_b32_e32 v14, 0x700000, v14
	v_and_b32_e32 v15, 0x80000000, v15
	v_lshl_add_u32 v18, v18, 23, v19
	v_or3_b32 v20, v15, v18, v14
.LBB467_548:
	s_or_b64 exec, exec, s[22:23]
.LBB467_549:
	s_or_b64 exec, exec, s[20:21]
.LBB467_550:
	s_or_b64 exec, exec, s[10:11]
	v_lshrrev_b16_e32 v14, 8, v16
	v_cmp_ne_u16_e32 vcc, 0, v14
	v_mov_b32_e32 v19, 0
	v_mov_b32_e32 v21, 0
	s_and_saveexec_b64 s[10:11], vcc
	s_cbranch_execz .LBB467_556
; %bb.551:
	s_movk_i32 s20, 0x80
	v_cmp_ne_u16_e32 vcc, s20, v14
	v_bfrev_b32_e32 v21, 1
	s_and_saveexec_b64 s[20:21], vcc
	s_cbranch_execz .LBB467_555
; %bb.552:
	s_movk_i32 s22, 0x7f
	v_and_b32_e32 v15, 0x7f, v14
	v_cmp_ne_u32_e32 vcc, s22, v15
	v_mov_b32_e32 v21, 0x7f800001
	s_and_saveexec_b64 s[22:23], vcc
	s_cbranch_execz .LBB467_554
; %bb.553:
	v_and_b32_e32 v18, 7, v14
	v_ffbh_u32_e32 v22, v18
	v_min_u32_e32 v24, 32, v22
	v_subrev_u32_e32 v22, 28, v24
	v_lshlrev_b64 v[22:23], v22, v[14:15]
	v_lshrrev_b32_e32 v21, 3, v15
	v_sub_u32_e32 v14, 29, v24
	v_and_b32_e32 v22, 7, v22
	v_cmp_gt_u32_e32 vcc, 8, v15
	v_cndmask_b32_e32 v14, v21, v14, vcc
	v_cndmask_b32_e32 v15, v18, v22, vcc
	v_lshlrev_b32_e32 v18, 16, v16
	v_bfrev_b32_e32 v21, 60
	v_lshlrev_b32_e32 v15, 20, v15
	v_and_b32_e32 v18, 0x80000000, v18
	v_lshl_add_u32 v14, v14, 23, v21
	v_or3_b32 v21, v18, v14, v15
.LBB467_554:
	s_or_b64 exec, exec, s[22:23]
.LBB467_555:
	s_or_b64 exec, exec, s[20:21]
.LBB467_556:
	s_or_b64 exec, exec, s[10:11]
	s_movk_i32 s10, 0xff
	v_and_b32_sdwa v15, v16, s10 dst_sel:DWORD dst_unused:UNUSED_PAD src0_sel:WORD_1 src1_sel:DWORD
	v_lshrrev_b32_e32 v14, 16, v16
	v_cmp_ne_u16_e32 vcc, 0, v15
	s_and_saveexec_b64 s[10:11], vcc
	s_cbranch_execz .LBB467_562
; %bb.557:
	s_movk_i32 s20, 0x80
	v_cmp_ne_u16_e32 vcc, s20, v15
	v_bfrev_b32_e32 v19, 1
	s_and_saveexec_b64 s[20:21], vcc
	s_cbranch_execz .LBB467_561
; %bb.558:
	v_bfe_u32 v15, v16, 16, 7
	s_movk_i32 s22, 0x7f
	v_cmp_ne_u32_e32 vcc, s22, v15
	v_mov_b32_e32 v19, 0x7f800001
	s_and_saveexec_b64 s[22:23], vcc
	s_cbranch_execz .LBB467_560
; %bb.559:
	v_and_b32_e32 v22, 7, v14
	v_ffbh_u32_e32 v18, v22
	v_min_u32_e32 v24, 32, v18
	v_subrev_u32_e32 v18, 28, v24
	v_lshlrev_b64 v[18:19], v18, v[14:15]
	v_and_b32_e32 v18, 7, v18
	v_cmp_gt_u32_e32 vcc, 8, v15
	v_lshrrev_b32_e32 v23, 3, v15
	v_sub_u32_e32 v14, 29, v24
	v_cndmask_b32_e32 v15, v22, v18, vcc
	v_mov_b32_e32 v18, 24
	v_cndmask_b32_e32 v14, v23, v14, vcc
	v_lshlrev_b32_sdwa v18, v18, v16 dst_sel:DWORD dst_unused:UNUSED_PAD src0_sel:DWORD src1_sel:WORD_1
	v_bfrev_b32_e32 v19, 60
	v_lshlrev_b32_e32 v15, 20, v15
	v_and_b32_e32 v18, 0x80000000, v18
	v_lshl_add_u32 v14, v14, 23, v19
	v_or3_b32 v19, v18, v14, v15
.LBB467_560:
	s_or_b64 exec, exec, s[22:23]
.LBB467_561:
	s_or_b64 exec, exec, s[20:21]
.LBB467_562:
	s_or_b64 exec, exec, s[10:11]
	s_mov_b32 s10, 0xffffff
	v_cmp_lt_u32_e32 vcc, s10, v16
	v_mov_b32_e32 v15, 0
	v_mov_b32_e32 v22, 0
	s_and_saveexec_b64 s[10:11], vcc
	s_cbranch_execz .LBB467_568
; %bb.563:
	v_lshrrev_b32_e32 v14, 24, v16
	s_movk_i32 s20, 0x80
	v_cmp_ne_u32_e32 vcc, s20, v14
	v_bfrev_b32_e32 v22, 1
	s_and_saveexec_b64 s[20:21], vcc
	s_cbranch_execz .LBB467_567
; %bb.564:
	v_bfe_u32 v18, v16, 24, 7
	s_movk_i32 s22, 0x7f
	v_cmp_ne_u32_e32 vcc, s22, v18
	v_mov_b32_e32 v22, 0x7f800001
	s_and_saveexec_b64 s[22:23], vcc
	s_cbranch_execz .LBB467_566
; %bb.565:
	v_and_b32_e32 v24, 7, v14
	v_ffbh_u32_e32 v22, v24
	v_min_u32_e32 v26, 32, v22
	v_subrev_u32_e32 v22, 28, v26
	v_lshlrev_b64 v[22:23], v22, v[14:15]
	v_lshrrev_b32_e32 v25, 3, v18
	v_sub_u32_e32 v23, 29, v26
	v_and_b32_e32 v22, 7, v22
	v_cmp_gt_u32_e32 vcc, 8, v18
	v_cndmask_b32_e32 v18, v25, v23, vcc
	v_cndmask_b32_e32 v22, v24, v22, vcc
	v_lshlrev_b32_e32 v14, 24, v14
	v_bfrev_b32_e32 v23, 60
	v_lshlrev_b32_e32 v22, 20, v22
	v_and_b32_e32 v14, 0x80000000, v14
	v_lshl_add_u32 v18, v18, 23, v23
	v_or3_b32 v22, v14, v18, v22
.LBB467_566:
	s_or_b64 exec, exec, s[22:23]
.LBB467_567:
	s_or_b64 exec, exec, s[20:21]
.LBB467_568:
	s_or_b64 exec, exec, s[10:11]
	v_mov_b32_e32 v14, v17
	v_cmp_ne_u16_sdwa s[20:21], v17, v15 src0_sel:BYTE_0 src1_sel:DWORD
	s_and_saveexec_b64 s[10:11], s[20:21]
	s_cbranch_execz .LBB467_574
; %bb.569:
	s_movk_i32 s20, 0x80
	v_cmp_ne_u16_sdwa s[22:23], v17, s20 src0_sel:BYTE_0 src1_sel:DWORD
	v_bfrev_b32_e32 v18, 1
	s_and_saveexec_b64 s[20:21], s[22:23]
	s_cbranch_execz .LBB467_573
; %bb.570:
	s_movk_i32 s22, 0x7f
	v_and_b32_e32 v23, 0x7f, v17
	v_cmp_ne_u32_e32 vcc, s22, v23
	v_mov_b32_e32 v18, 0x7f800001
	s_and_saveexec_b64 s[22:23], vcc
	s_cbranch_execz .LBB467_572
; %bb.571:
	v_and_b32_e32 v18, 7, v17
	v_ffbh_u32_e32 v18, v18
	v_min_u32_e32 v18, 32, v18
	v_subrev_u32_e32 v25, 28, v18
	v_cmp_gt_u32_e32 vcc, 8, v23
	v_lshrrev_b32_e32 v24, 3, v23
	v_sub_u32_e32 v18, 29, v18
	v_cndmask_b32_e32 v23, 0, v25, vcc
	v_cndmask_b32_e32 v18, v24, v18, vcc
	v_lshlrev_b64 v[24:25], v23, v[14:15]
	v_lshlrev_b32_e32 v15, 20, v24
	v_lshlrev_b32_e32 v23, 24, v14
	v_bfrev_b32_e32 v24, 60
	v_and_b32_e32 v15, 0x700000, v15
	v_and_b32_e32 v23, 0x80000000, v23
	v_lshl_add_u32 v18, v18, 23, v24
	v_or3_b32 v18, v23, v18, v15
.LBB467_572:
	s_or_b64 exec, exec, s[22:23]
.LBB467_573:
	s_or_b64 exec, exec, s[20:21]
	v_mov_b32_e32 v15, v18
.LBB467_574:
	s_or_b64 exec, exec, s[10:11]
	v_lshrrev_b16_e32 v18, 8, v14
	v_cmp_ne_u16_e32 vcc, 0, v18
	v_mov_b32_e32 v23, 0
	v_mov_b32_e32 v24, 0
	s_and_saveexec_b64 s[10:11], vcc
	s_cbranch_execz .LBB467_580
; %bb.575:
	s_movk_i32 s20, 0x80
	v_cmp_ne_u16_e32 vcc, s20, v18
	v_bfrev_b32_e32 v24, 1
	s_and_saveexec_b64 s[20:21], vcc
	s_cbranch_execz .LBB467_579
; %bb.576:
	s_movk_i32 s22, 0x7f
	v_and_b32_e32 v25, 0x7f, v18
	v_cmp_ne_u32_e32 vcc, s22, v25
	v_mov_b32_e32 v24, 0x7f800001
	s_and_saveexec_b64 s[22:23], vcc
	s_cbranch_execz .LBB467_578
; %bb.577:
	v_and_b32_e32 v24, 7, v18
	v_ffbh_u32_e32 v26, v24
	v_min_u32_e32 v29, 32, v26
	v_subrev_u32_e32 v26, 28, v29
	v_lshlrev_b64 v[26:27], v26, v[18:19]
	v_lshrrev_b32_e32 v28, 3, v25
	v_sub_u32_e32 v18, 29, v29
	v_and_b32_e32 v26, 7, v26
	v_cmp_gt_u32_e32 vcc, 8, v25
	v_cndmask_b32_e32 v18, v28, v18, vcc
	v_cndmask_b32_e32 v24, v24, v26, vcc
	v_lshlrev_b32_e32 v14, 16, v14
	v_bfrev_b32_e32 v25, 60
	v_lshlrev_b32_e32 v24, 20, v24
	v_and_b32_e32 v14, 0x80000000, v14
	v_lshl_add_u32 v18, v18, 23, v25
	v_or3_b32 v24, v14, v18, v24
.LBB467_578:
	s_or_b64 exec, exec, s[22:23]
.LBB467_579:
	s_or_b64 exec, exec, s[20:21]
.LBB467_580:
	s_or_b64 exec, exec, s[10:11]
	s_movk_i32 s10, 0xff
	v_and_b32_sdwa v18, v17, s10 dst_sel:DWORD dst_unused:UNUSED_PAD src0_sel:WORD_1 src1_sel:DWORD
	v_lshrrev_b32_e32 v14, 16, v17
	v_cmp_ne_u16_e32 vcc, 0, v18
	s_and_saveexec_b64 s[10:11], vcc
	s_cbranch_execz .LBB467_586
; %bb.581:
	s_movk_i32 s20, 0x80
	v_cmp_ne_u16_e32 vcc, s20, v18
	v_bfrev_b32_e32 v23, 1
	s_and_saveexec_b64 s[20:21], vcc
	s_cbranch_execz .LBB467_585
; %bb.582:
	v_bfe_u32 v18, v17, 16, 7
	s_movk_i32 s22, 0x7f
	v_cmp_ne_u32_e32 vcc, s22, v18
	v_mov_b32_e32 v23, 0x7f800001
	s_and_saveexec_b64 s[22:23], vcc
	s_cbranch_execz .LBB467_584
; %bb.583:
	v_and_b32_e32 v23, 7, v14
	v_ffbh_u32_e32 v26, v23
	v_min_u32_e32 v28, 32, v26
	v_subrev_u32_e32 v26, 28, v28
	v_lshlrev_b64 v[26:27], v26, v[14:15]
	v_and_b32_e32 v26, 7, v26
	v_cmp_gt_u32_e32 vcc, 8, v18
	v_lshrrev_b32_e32 v25, 3, v18
	v_sub_u32_e32 v14, 29, v28
	v_cndmask_b32_e32 v18, v23, v26, vcc
	v_mov_b32_e32 v23, 24
	v_cndmask_b32_e32 v14, v25, v14, vcc
	v_lshlrev_b32_sdwa v23, v23, v17 dst_sel:DWORD dst_unused:UNUSED_PAD src0_sel:DWORD src1_sel:WORD_1
	v_bfrev_b32_e32 v25, 60
	v_lshlrev_b32_e32 v18, 20, v18
	v_and_b32_e32 v23, 0x80000000, v23
	v_lshl_add_u32 v14, v14, 23, v25
	v_or3_b32 v23, v23, v14, v18
.LBB467_584:
	s_or_b64 exec, exec, s[22:23]
.LBB467_585:
	s_or_b64 exec, exec, s[20:21]
.LBB467_586:
	s_or_b64 exec, exec, s[10:11]
	s_mov_b32 s10, -1
	s_mov_b32 s11, 0xffffff
	v_cmp_lt_u64_e32 vcc, s[10:11], v[16:17]
	v_mov_b32_e32 v18, 0
	v_mov_b32_e32 v16, 0
	s_and_saveexec_b64 s[10:11], vcc
	s_cbranch_execz .LBB467_592
; %bb.587:
	v_lshrrev_b32_e32 v14, 24, v17
	s_movk_i32 s20, 0x80
	v_cmp_ne_u32_e32 vcc, s20, v14
	v_bfrev_b32_e32 v16, 1
	s_and_saveexec_b64 s[20:21], vcc
	s_cbranch_execz .LBB467_591
; %bb.588:
	v_bfe_u32 v17, v17, 24, 7
	s_movk_i32 s22, 0x7f
	v_cmp_ne_u32_e32 vcc, s22, v17
	v_mov_b32_e32 v16, 0x7f800001
	s_and_saveexec_b64 s[22:23], vcc
	s_cbranch_execz .LBB467_590
; %bb.589:
	v_and_b32_e32 v16, 7, v14
	v_ffbh_u32_e32 v26, v16
	v_min_u32_e32 v28, 32, v26
	v_subrev_u32_e32 v26, 28, v28
	v_lshlrev_b64 v[26:27], v26, v[14:15]
	v_lshrrev_b32_e32 v25, 3, v17
	v_sub_u32_e32 v27, 29, v28
	v_and_b32_e32 v26, 7, v26
	v_cmp_gt_u32_e32 vcc, 8, v17
	v_cndmask_b32_e32 v17, v25, v27, vcc
	v_cndmask_b32_e32 v16, v16, v26, vcc
	v_lshlrev_b32_e32 v14, 24, v14
	v_bfrev_b32_e32 v25, 60
	v_lshlrev_b32_e32 v16, 20, v16
	v_and_b32_e32 v14, 0x80000000, v14
	v_lshl_add_u32 v17, v17, 23, v25
	v_or3_b32 v16, v14, v17, v16
.LBB467_590:
	s_or_b64 exec, exec, s[22:23]
.LBB467_591:
	s_or_b64 exec, exec, s[20:21]
.LBB467_592:
	s_or_b64 exec, exec, s[10:11]
	v_cvt_pkrtz_f16_f32 v20, v20, v21
	v_cvt_pkrtz_f16_f32 v21, v19, v22
	;; [unrolled: 1-line block ×4, first 2 shown]
	v_mfma_f32_4x4x4f16 a[0:3], v[2:3], v[20:21], a[0:3] cbsz:4 abid:11
	v_cmp_ne_u16_sdwa s[20:21], v10, v18 src0_sel:BYTE_0 src1_sel:DWORD
	v_mfma_f32_4x4x4f16 a[0:3], v[4:5], v[14:15], a[0:3] cbsz:4 abid:11
	s_and_saveexec_b64 s[10:11], s[20:21]
	s_cbranch_execz .LBB467_598
; %bb.593:
	s_movk_i32 s20, 0x80
	v_cmp_ne_u16_sdwa s[22:23], v10, s20 src0_sel:BYTE_0 src1_sel:DWORD
	v_bfrev_b32_e32 v18, 1
	s_and_saveexec_b64 s[20:21], s[22:23]
	s_cbranch_execz .LBB467_597
; %bb.594:
	s_movk_i32 s22, 0x7f
	v_and_b32_e32 v14, 0x7f, v10
	v_cmp_ne_u32_e32 vcc, s22, v14
	v_mov_b32_e32 v18, 0x7f800001
	s_and_saveexec_b64 s[22:23], vcc
	s_cbranch_execz .LBB467_596
; %bb.595:
	v_and_b32_e32 v15, 7, v10
	v_ffbh_u32_e32 v15, v15
	v_min_u32_e32 v15, 32, v15
	v_subrev_u32_e32 v17, 28, v15
	v_cmp_gt_u32_e32 vcc, 8, v14
	v_lshrrev_b32_e32 v16, 3, v14
	v_sub_u32_e32 v15, 29, v15
	v_cndmask_b32_e32 v14, 0, v17, vcc
	v_cndmask_b32_e32 v16, v16, v15, vcc
	v_lshlrev_b64 v[14:15], v14, v[10:11]
	v_lshlrev_b32_e32 v14, 20, v14
	v_lshlrev_b32_e32 v15, 24, v10
	v_bfrev_b32_e32 v17, 60
	v_and_b32_e32 v14, 0x700000, v14
	v_and_b32_e32 v15, 0x80000000, v15
	v_lshl_add_u32 v16, v16, 23, v17
	v_or3_b32 v18, v15, v16, v14
.LBB467_596:
	s_or_b64 exec, exec, s[22:23]
.LBB467_597:
	s_or_b64 exec, exec, s[20:21]
.LBB467_598:
	s_or_b64 exec, exec, s[10:11]
	v_lshrrev_b16_e32 v14, 8, v10
	v_cmp_ne_u16_e32 vcc, 0, v14
	v_mov_b32_e32 v17, 0
	v_mov_b32_e32 v19, 0
	s_and_saveexec_b64 s[10:11], vcc
	s_cbranch_execz .LBB467_604
; %bb.599:
	s_movk_i32 s20, 0x80
	v_cmp_ne_u16_e32 vcc, s20, v14
	v_bfrev_b32_e32 v19, 1
	s_and_saveexec_b64 s[20:21], vcc
	s_cbranch_execz .LBB467_603
; %bb.600:
	s_movk_i32 s22, 0x7f
	v_and_b32_e32 v15, 0x7f, v14
	v_cmp_ne_u32_e32 vcc, s22, v15
	v_mov_b32_e32 v19, 0x7f800001
	s_and_saveexec_b64 s[22:23], vcc
	s_cbranch_execz .LBB467_602
; %bb.601:
	v_and_b32_e32 v16, 7, v14
	v_ffbh_u32_e32 v20, v16
	v_min_u32_e32 v22, 32, v20
	v_subrev_u32_e32 v20, 28, v22
	v_lshlrev_b64 v[20:21], v20, v[14:15]
	v_lshrrev_b32_e32 v19, 3, v15
	v_sub_u32_e32 v14, 29, v22
	v_and_b32_e32 v20, 7, v20
	v_cmp_gt_u32_e32 vcc, 8, v15
	v_cndmask_b32_e32 v14, v19, v14, vcc
	v_cndmask_b32_e32 v15, v16, v20, vcc
	v_lshlrev_b32_e32 v16, 16, v10
	v_bfrev_b32_e32 v19, 60
	v_lshlrev_b32_e32 v15, 20, v15
	v_and_b32_e32 v16, 0x80000000, v16
	v_lshl_add_u32 v14, v14, 23, v19
	v_or3_b32 v19, v16, v14, v15
.LBB467_602:
	s_or_b64 exec, exec, s[22:23]
.LBB467_603:
	s_or_b64 exec, exec, s[20:21]
.LBB467_604:
	s_or_b64 exec, exec, s[10:11]
	s_movk_i32 s10, 0xff
	v_and_b32_sdwa v15, v10, s10 dst_sel:DWORD dst_unused:UNUSED_PAD src0_sel:WORD_1 src1_sel:DWORD
	v_lshrrev_b32_e32 v14, 16, v10
	v_cmp_ne_u16_e32 vcc, 0, v15
	s_and_saveexec_b64 s[10:11], vcc
	s_cbranch_execz .LBB467_610
; %bb.605:
	s_movk_i32 s20, 0x80
	v_cmp_ne_u16_e32 vcc, s20, v15
	v_bfrev_b32_e32 v17, 1
	s_and_saveexec_b64 s[20:21], vcc
	s_cbranch_execz .LBB467_609
; %bb.606:
	v_bfe_u32 v15, v10, 16, 7
	s_movk_i32 s22, 0x7f
	v_cmp_ne_u32_e32 vcc, s22, v15
	v_mov_b32_e32 v17, 0x7f800001
	s_and_saveexec_b64 s[22:23], vcc
	s_cbranch_execz .LBB467_608
; %bb.607:
	v_and_b32_e32 v20, 7, v14
	v_ffbh_u32_e32 v16, v20
	v_min_u32_e32 v22, 32, v16
	v_subrev_u32_e32 v16, 28, v22
	v_lshlrev_b64 v[16:17], v16, v[14:15]
	v_and_b32_e32 v16, 7, v16
	v_cmp_gt_u32_e32 vcc, 8, v15
	v_lshrrev_b32_e32 v21, 3, v15
	v_sub_u32_e32 v14, 29, v22
	v_cndmask_b32_e32 v15, v20, v16, vcc
	v_mov_b32_e32 v16, 24
	v_cndmask_b32_e32 v14, v21, v14, vcc
	v_lshlrev_b32_sdwa v16, v16, v10 dst_sel:DWORD dst_unused:UNUSED_PAD src0_sel:DWORD src1_sel:WORD_1
	v_bfrev_b32_e32 v17, 60
	v_lshlrev_b32_e32 v15, 20, v15
	v_and_b32_e32 v16, 0x80000000, v16
	v_lshl_add_u32 v14, v14, 23, v17
	v_or3_b32 v17, v16, v14, v15
.LBB467_608:
	s_or_b64 exec, exec, s[22:23]
.LBB467_609:
	s_or_b64 exec, exec, s[20:21]
.LBB467_610:
	s_or_b64 exec, exec, s[10:11]
	s_mov_b32 s10, 0xffffff
	v_cmp_lt_u32_e32 vcc, s10, v10
	v_mov_b32_e32 v15, 0
	v_mov_b32_e32 v20, 0
	s_and_saveexec_b64 s[10:11], vcc
	s_cbranch_execz .LBB467_616
; %bb.611:
	v_lshrrev_b32_e32 v14, 24, v10
	s_movk_i32 s20, 0x80
	v_cmp_ne_u32_e32 vcc, s20, v14
	v_bfrev_b32_e32 v20, 1
	s_and_saveexec_b64 s[20:21], vcc
	s_cbranch_execz .LBB467_615
; %bb.612:
	v_bfe_u32 v16, v10, 24, 7
	s_movk_i32 s22, 0x7f
	v_cmp_ne_u32_e32 vcc, s22, v16
	v_mov_b32_e32 v20, 0x7f800001
	s_and_saveexec_b64 s[22:23], vcc
	s_cbranch_execz .LBB467_614
; %bb.613:
	v_and_b32_e32 v22, 7, v14
	v_ffbh_u32_e32 v20, v22
	v_min_u32_e32 v24, 32, v20
	v_subrev_u32_e32 v20, 28, v24
	v_lshlrev_b64 v[20:21], v20, v[14:15]
	v_lshrrev_b32_e32 v23, 3, v16
	v_sub_u32_e32 v21, 29, v24
	v_and_b32_e32 v20, 7, v20
	v_cmp_gt_u32_e32 vcc, 8, v16
	v_cndmask_b32_e32 v16, v23, v21, vcc
	v_cndmask_b32_e32 v20, v22, v20, vcc
	v_lshlrev_b32_e32 v14, 24, v14
	v_bfrev_b32_e32 v21, 60
	v_lshlrev_b32_e32 v20, 20, v20
	v_and_b32_e32 v14, 0x80000000, v14
	v_lshl_add_u32 v16, v16, 23, v21
	v_or3_b32 v20, v14, v16, v20
.LBB467_614:
	s_or_b64 exec, exec, s[22:23]
.LBB467_615:
	s_or_b64 exec, exec, s[20:21]
.LBB467_616:
	s_or_b64 exec, exec, s[10:11]
	v_mov_b32_e32 v14, v11
	v_cmp_ne_u16_sdwa s[20:21], v11, v15 src0_sel:BYTE_0 src1_sel:DWORD
	s_and_saveexec_b64 s[10:11], s[20:21]
	s_cbranch_execz .LBB467_622
; %bb.617:
	s_movk_i32 s20, 0x80
	v_cmp_ne_u16_sdwa s[22:23], v11, s20 src0_sel:BYTE_0 src1_sel:DWORD
	v_bfrev_b32_e32 v16, 1
	s_and_saveexec_b64 s[20:21], s[22:23]
	s_cbranch_execz .LBB467_621
; %bb.618:
	s_movk_i32 s22, 0x7f
	v_and_b32_e32 v21, 0x7f, v11
	v_cmp_ne_u32_e32 vcc, s22, v21
	v_mov_b32_e32 v16, 0x7f800001
	s_and_saveexec_b64 s[22:23], vcc
	s_cbranch_execz .LBB467_620
; %bb.619:
	v_and_b32_e32 v16, 7, v11
	v_ffbh_u32_e32 v16, v16
	v_min_u32_e32 v16, 32, v16
	v_subrev_u32_e32 v23, 28, v16
	v_cmp_gt_u32_e32 vcc, 8, v21
	v_lshrrev_b32_e32 v22, 3, v21
	v_sub_u32_e32 v16, 29, v16
	v_cndmask_b32_e32 v21, 0, v23, vcc
	v_cndmask_b32_e32 v16, v22, v16, vcc
	v_lshlrev_b64 v[22:23], v21, v[14:15]
	v_lshlrev_b32_e32 v15, 20, v22
	v_lshlrev_b32_e32 v21, 24, v14
	v_bfrev_b32_e32 v22, 60
	v_and_b32_e32 v15, 0x700000, v15
	v_and_b32_e32 v21, 0x80000000, v21
	v_lshl_add_u32 v16, v16, 23, v22
	v_or3_b32 v16, v21, v16, v15
.LBB467_620:
	s_or_b64 exec, exec, s[22:23]
.LBB467_621:
	s_or_b64 exec, exec, s[20:21]
	v_mov_b32_e32 v15, v16
.LBB467_622:
	s_or_b64 exec, exec, s[10:11]
	v_lshrrev_b16_e32 v16, 8, v14
	v_cmp_ne_u16_e32 vcc, 0, v16
	v_mov_b32_e32 v21, 0
	v_mov_b32_e32 v22, 0
	s_and_saveexec_b64 s[10:11], vcc
	s_cbranch_execz .LBB467_628
; %bb.623:
	s_movk_i32 s20, 0x80
	v_cmp_ne_u16_e32 vcc, s20, v16
	v_bfrev_b32_e32 v22, 1
	s_and_saveexec_b64 s[20:21], vcc
	s_cbranch_execz .LBB467_627
; %bb.624:
	s_movk_i32 s22, 0x7f
	v_and_b32_e32 v23, 0x7f, v16
	v_cmp_ne_u32_e32 vcc, s22, v23
	v_mov_b32_e32 v22, 0x7f800001
	s_and_saveexec_b64 s[22:23], vcc
	s_cbranch_execz .LBB467_626
; %bb.625:
	v_and_b32_e32 v22, 7, v16
	v_ffbh_u32_e32 v24, v22
	v_min_u32_e32 v27, 32, v24
	v_subrev_u32_e32 v24, 28, v27
	v_lshlrev_b64 v[24:25], v24, v[16:17]
	v_lshrrev_b32_e32 v26, 3, v23
	v_sub_u32_e32 v16, 29, v27
	v_and_b32_e32 v24, 7, v24
	v_cmp_gt_u32_e32 vcc, 8, v23
	v_cndmask_b32_e32 v16, v26, v16, vcc
	v_cndmask_b32_e32 v22, v22, v24, vcc
	v_lshlrev_b32_e32 v14, 16, v14
	v_bfrev_b32_e32 v23, 60
	v_lshlrev_b32_e32 v22, 20, v22
	v_and_b32_e32 v14, 0x80000000, v14
	v_lshl_add_u32 v16, v16, 23, v23
	v_or3_b32 v22, v14, v16, v22
.LBB467_626:
	s_or_b64 exec, exec, s[22:23]
.LBB467_627:
	s_or_b64 exec, exec, s[20:21]
.LBB467_628:
	s_or_b64 exec, exec, s[10:11]
	s_movk_i32 s10, 0xff
	v_and_b32_sdwa v16, v11, s10 dst_sel:DWORD dst_unused:UNUSED_PAD src0_sel:WORD_1 src1_sel:DWORD
	v_lshrrev_b32_e32 v14, 16, v11
	v_cmp_ne_u16_e32 vcc, 0, v16
	s_and_saveexec_b64 s[10:11], vcc
	s_cbranch_execz .LBB467_634
; %bb.629:
	s_movk_i32 s20, 0x80
	v_cmp_ne_u16_e32 vcc, s20, v16
	v_bfrev_b32_e32 v21, 1
	s_and_saveexec_b64 s[20:21], vcc
	s_cbranch_execz .LBB467_633
; %bb.630:
	v_bfe_u32 v16, v11, 16, 7
	s_movk_i32 s22, 0x7f
	v_cmp_ne_u32_e32 vcc, s22, v16
	v_mov_b32_e32 v21, 0x7f800001
	s_and_saveexec_b64 s[22:23], vcc
	s_cbranch_execz .LBB467_632
; %bb.631:
	v_and_b32_e32 v21, 7, v14
	v_ffbh_u32_e32 v24, v21
	v_min_u32_e32 v26, 32, v24
	v_subrev_u32_e32 v24, 28, v26
	v_lshlrev_b64 v[24:25], v24, v[14:15]
	v_and_b32_e32 v24, 7, v24
	v_cmp_gt_u32_e32 vcc, 8, v16
	v_lshrrev_b32_e32 v23, 3, v16
	v_sub_u32_e32 v14, 29, v26
	v_cndmask_b32_e32 v16, v21, v24, vcc
	v_mov_b32_e32 v21, 24
	v_cndmask_b32_e32 v14, v23, v14, vcc
	v_lshlrev_b32_sdwa v21, v21, v11 dst_sel:DWORD dst_unused:UNUSED_PAD src0_sel:DWORD src1_sel:WORD_1
	v_bfrev_b32_e32 v23, 60
	v_lshlrev_b32_e32 v16, 20, v16
	v_and_b32_e32 v21, 0x80000000, v21
	v_lshl_add_u32 v14, v14, 23, v23
	v_or3_b32 v21, v21, v14, v16
.LBB467_632:
	s_or_b64 exec, exec, s[22:23]
.LBB467_633:
	s_or_b64 exec, exec, s[20:21]
.LBB467_634:
	s_or_b64 exec, exec, s[10:11]
	s_mov_b32 s10, -1
	s_mov_b32 s11, 0xffffff
	v_cmp_lt_u64_e32 vcc, s[10:11], v[10:11]
	v_mov_b32_e32 v16, 0
	v_mov_b32_e32 v14, 0
	s_and_saveexec_b64 s[10:11], vcc
	s_cbranch_execz .LBB467_640
; %bb.635:
	v_lshrrev_b32_e32 v10, 24, v11
	s_movk_i32 s20, 0x80
	v_cmp_ne_u32_e32 vcc, s20, v10
	v_bfrev_b32_e32 v14, 1
	s_and_saveexec_b64 s[20:21], vcc
	s_cbranch_execz .LBB467_639
; %bb.636:
	v_bfe_u32 v11, v11, 24, 7
	s_movk_i32 s22, 0x7f
	v_cmp_ne_u32_e32 vcc, s22, v11
	v_mov_b32_e32 v14, 0x7f800001
	s_and_saveexec_b64 s[22:23], vcc
	s_cbranch_execz .LBB467_638
; %bb.637:
	v_and_b32_e32 v14, 7, v10
	v_ffbh_u32_e32 v24, v14
	v_min_u32_e32 v26, 32, v24
	v_subrev_u32_e32 v24, 28, v26
	v_lshlrev_b64 v[24:25], v24, v[10:11]
	v_lshrrev_b32_e32 v23, 3, v11
	v_sub_u32_e32 v25, 29, v26
	v_and_b32_e32 v24, 7, v24
	v_cmp_gt_u32_e32 vcc, 8, v11
	v_cndmask_b32_e32 v11, v23, v25, vcc
	v_cndmask_b32_e32 v14, v14, v24, vcc
	v_lshlrev_b32_e32 v10, 24, v10
	v_bfrev_b32_e32 v23, 60
	v_lshlrev_b32_e32 v14, 20, v14
	v_and_b32_e32 v10, 0x80000000, v10
	v_lshl_add_u32 v11, v11, 23, v23
	v_or3_b32 v14, v10, v11, v14
.LBB467_638:
	s_or_b64 exec, exec, s[22:23]
.LBB467_639:
	s_or_b64 exec, exec, s[20:21]
.LBB467_640:
	s_or_b64 exec, exec, s[10:11]
	v_cvt_pkrtz_f16_f32 v10, v18, v19
	v_cvt_pkrtz_f16_f32 v11, v17, v20
	;; [unrolled: 1-line block ×4, first 2 shown]
	v_mfma_f32_4x4x4f16 a[0:3], v[2:3], v[10:11], a[0:3] cbsz:4 abid:12
	v_cmp_ne_u16_sdwa s[20:21], v12, v16 src0_sel:BYTE_0 src1_sel:DWORD
	v_mfma_f32_4x4x4f16 a[0:3], v[4:5], v[18:19], a[0:3] cbsz:4 abid:12
	s_and_saveexec_b64 s[10:11], s[20:21]
	s_cbranch_execz .LBB467_646
; %bb.641:
	s_movk_i32 s20, 0x80
	v_cmp_ne_u16_sdwa s[22:23], v12, s20 src0_sel:BYTE_0 src1_sel:DWORD
	v_bfrev_b32_e32 v16, 1
	s_and_saveexec_b64 s[20:21], s[22:23]
	s_cbranch_execz .LBB467_645
; %bb.642:
	s_movk_i32 s22, 0x7f
	v_and_b32_e32 v10, 0x7f, v12
	v_cmp_ne_u32_e32 vcc, s22, v10
	v_mov_b32_e32 v16, 0x7f800001
	s_and_saveexec_b64 s[22:23], vcc
	s_cbranch_execz .LBB467_644
; %bb.643:
	v_and_b32_e32 v11, 7, v12
	v_ffbh_u32_e32 v11, v11
	v_min_u32_e32 v11, 32, v11
	v_subrev_u32_e32 v15, 28, v11
	v_cmp_gt_u32_e32 vcc, 8, v10
	v_lshrrev_b32_e32 v14, 3, v10
	v_sub_u32_e32 v11, 29, v11
	v_cndmask_b32_e32 v10, 0, v15, vcc
	v_cndmask_b32_e32 v14, v14, v11, vcc
	v_lshlrev_b64 v[10:11], v10, v[12:13]
	v_lshlrev_b32_e32 v10, 20, v10
	v_lshlrev_b32_e32 v11, 24, v12
	v_bfrev_b32_e32 v15, 60
	v_and_b32_e32 v10, 0x700000, v10
	v_and_b32_e32 v11, 0x80000000, v11
	v_lshl_add_u32 v14, v14, 23, v15
	v_or3_b32 v16, v11, v14, v10
.LBB467_644:
	s_or_b64 exec, exec, s[22:23]
.LBB467_645:
	s_or_b64 exec, exec, s[20:21]
.LBB467_646:
	s_or_b64 exec, exec, s[10:11]
	v_lshrrev_b16_e32 v10, 8, v12
	v_cmp_ne_u16_e32 vcc, 0, v10
	v_mov_b32_e32 v15, 0
	v_mov_b32_e32 v17, 0
	s_and_saveexec_b64 s[10:11], vcc
	s_cbranch_execz .LBB467_652
; %bb.647:
	s_movk_i32 s20, 0x80
	v_cmp_ne_u16_e32 vcc, s20, v10
	v_bfrev_b32_e32 v17, 1
	s_and_saveexec_b64 s[20:21], vcc
	s_cbranch_execz .LBB467_651
; %bb.648:
	s_movk_i32 s22, 0x7f
	v_and_b32_e32 v11, 0x7f, v10
	v_cmp_ne_u32_e32 vcc, s22, v11
	v_mov_b32_e32 v17, 0x7f800001
	s_and_saveexec_b64 s[22:23], vcc
	s_cbranch_execz .LBB467_650
; %bb.649:
	v_and_b32_e32 v14, 7, v10
	v_ffbh_u32_e32 v18, v14
	v_min_u32_e32 v20, 32, v18
	v_subrev_u32_e32 v18, 28, v20
	v_lshlrev_b64 v[18:19], v18, v[10:11]
	v_lshrrev_b32_e32 v17, 3, v11
	v_sub_u32_e32 v10, 29, v20
	v_and_b32_e32 v18, 7, v18
	v_cmp_gt_u32_e32 vcc, 8, v11
	v_cndmask_b32_e32 v10, v17, v10, vcc
	v_cndmask_b32_e32 v11, v14, v18, vcc
	v_lshlrev_b32_e32 v14, 16, v12
	v_bfrev_b32_e32 v17, 60
	v_lshlrev_b32_e32 v11, 20, v11
	v_and_b32_e32 v14, 0x80000000, v14
	v_lshl_add_u32 v10, v10, 23, v17
	v_or3_b32 v17, v14, v10, v11
.LBB467_650:
	s_or_b64 exec, exec, s[22:23]
.LBB467_651:
	s_or_b64 exec, exec, s[20:21]
.LBB467_652:
	s_or_b64 exec, exec, s[10:11]
	s_movk_i32 s10, 0xff
	v_and_b32_sdwa v11, v12, s10 dst_sel:DWORD dst_unused:UNUSED_PAD src0_sel:WORD_1 src1_sel:DWORD
	v_lshrrev_b32_e32 v10, 16, v12
	v_cmp_ne_u16_e32 vcc, 0, v11
	s_and_saveexec_b64 s[10:11], vcc
	s_cbranch_execz .LBB467_658
; %bb.653:
	s_movk_i32 s20, 0x80
	v_cmp_ne_u16_e32 vcc, s20, v11
	v_bfrev_b32_e32 v15, 1
	s_and_saveexec_b64 s[20:21], vcc
	s_cbranch_execz .LBB467_657
; %bb.654:
	v_bfe_u32 v11, v12, 16, 7
	s_movk_i32 s22, 0x7f
	v_cmp_ne_u32_e32 vcc, s22, v11
	v_mov_b32_e32 v15, 0x7f800001
	s_and_saveexec_b64 s[22:23], vcc
	s_cbranch_execz .LBB467_656
; %bb.655:
	v_and_b32_e32 v18, 7, v10
	v_ffbh_u32_e32 v14, v18
	v_min_u32_e32 v20, 32, v14
	v_subrev_u32_e32 v14, 28, v20
	v_lshlrev_b64 v[14:15], v14, v[10:11]
	v_and_b32_e32 v14, 7, v14
	v_cmp_gt_u32_e32 vcc, 8, v11
	v_lshrrev_b32_e32 v19, 3, v11
	v_sub_u32_e32 v10, 29, v20
	v_cndmask_b32_e32 v11, v18, v14, vcc
	v_mov_b32_e32 v14, 24
	v_cndmask_b32_e32 v10, v19, v10, vcc
	v_lshlrev_b32_sdwa v14, v14, v12 dst_sel:DWORD dst_unused:UNUSED_PAD src0_sel:DWORD src1_sel:WORD_1
	v_bfrev_b32_e32 v15, 60
	v_lshlrev_b32_e32 v11, 20, v11
	v_and_b32_e32 v14, 0x80000000, v14
	v_lshl_add_u32 v10, v10, 23, v15
	v_or3_b32 v15, v14, v10, v11
.LBB467_656:
	s_or_b64 exec, exec, s[22:23]
.LBB467_657:
	s_or_b64 exec, exec, s[20:21]
.LBB467_658:
	s_or_b64 exec, exec, s[10:11]
	s_mov_b32 s10, 0xffffff
	v_cmp_lt_u32_e32 vcc, s10, v12
	v_mov_b32_e32 v11, 0
	v_mov_b32_e32 v18, 0
	s_and_saveexec_b64 s[10:11], vcc
	s_cbranch_execz .LBB467_664
; %bb.659:
	v_lshrrev_b32_e32 v10, 24, v12
	s_movk_i32 s20, 0x80
	v_cmp_ne_u32_e32 vcc, s20, v10
	v_bfrev_b32_e32 v18, 1
	s_and_saveexec_b64 s[20:21], vcc
	s_cbranch_execz .LBB467_663
; %bb.660:
	v_bfe_u32 v14, v12, 24, 7
	s_movk_i32 s22, 0x7f
	v_cmp_ne_u32_e32 vcc, s22, v14
	v_mov_b32_e32 v18, 0x7f800001
	s_and_saveexec_b64 s[22:23], vcc
	s_cbranch_execz .LBB467_662
; %bb.661:
	v_and_b32_e32 v20, 7, v10
	v_ffbh_u32_e32 v18, v20
	v_min_u32_e32 v22, 32, v18
	v_subrev_u32_e32 v18, 28, v22
	v_lshlrev_b64 v[18:19], v18, v[10:11]
	v_lshrrev_b32_e32 v21, 3, v14
	v_sub_u32_e32 v19, 29, v22
	v_and_b32_e32 v18, 7, v18
	v_cmp_gt_u32_e32 vcc, 8, v14
	v_cndmask_b32_e32 v14, v21, v19, vcc
	v_cndmask_b32_e32 v18, v20, v18, vcc
	v_lshlrev_b32_e32 v10, 24, v10
	v_bfrev_b32_e32 v19, 60
	v_lshlrev_b32_e32 v18, 20, v18
	v_and_b32_e32 v10, 0x80000000, v10
	v_lshl_add_u32 v14, v14, 23, v19
	v_or3_b32 v18, v10, v14, v18
.LBB467_662:
	s_or_b64 exec, exec, s[22:23]
.LBB467_663:
	s_or_b64 exec, exec, s[20:21]
.LBB467_664:
	s_or_b64 exec, exec, s[10:11]
	v_mov_b32_e32 v10, v13
	v_cmp_ne_u16_sdwa s[20:21], v13, v11 src0_sel:BYTE_0 src1_sel:DWORD
	s_and_saveexec_b64 s[10:11], s[20:21]
	s_cbranch_execz .LBB467_670
; %bb.665:
	s_movk_i32 s20, 0x80
	v_cmp_ne_u16_sdwa s[22:23], v13, s20 src0_sel:BYTE_0 src1_sel:DWORD
	v_bfrev_b32_e32 v14, 1
	s_and_saveexec_b64 s[20:21], s[22:23]
	s_cbranch_execz .LBB467_669
; %bb.666:
	s_movk_i32 s22, 0x7f
	v_and_b32_e32 v19, 0x7f, v13
	v_cmp_ne_u32_e32 vcc, s22, v19
	v_mov_b32_e32 v14, 0x7f800001
	s_and_saveexec_b64 s[22:23], vcc
	s_cbranch_execz .LBB467_668
; %bb.667:
	v_and_b32_e32 v14, 7, v13
	v_ffbh_u32_e32 v14, v14
	v_min_u32_e32 v14, 32, v14
	v_subrev_u32_e32 v21, 28, v14
	v_cmp_gt_u32_e32 vcc, 8, v19
	v_lshrrev_b32_e32 v20, 3, v19
	v_sub_u32_e32 v14, 29, v14
	v_cndmask_b32_e32 v19, 0, v21, vcc
	v_cndmask_b32_e32 v14, v20, v14, vcc
	v_lshlrev_b64 v[20:21], v19, v[10:11]
	v_lshlrev_b32_e32 v11, 20, v20
	v_lshlrev_b32_e32 v19, 24, v10
	v_bfrev_b32_e32 v20, 60
	v_and_b32_e32 v11, 0x700000, v11
	v_and_b32_e32 v19, 0x80000000, v19
	v_lshl_add_u32 v14, v14, 23, v20
	v_or3_b32 v14, v19, v14, v11
.LBB467_668:
	s_or_b64 exec, exec, s[22:23]
.LBB467_669:
	s_or_b64 exec, exec, s[20:21]
	v_mov_b32_e32 v11, v14
.LBB467_670:
	s_or_b64 exec, exec, s[10:11]
	v_lshrrev_b16_e32 v14, 8, v10
	v_cmp_ne_u16_e32 vcc, 0, v14
	v_mov_b32_e32 v19, 0
	v_mov_b32_e32 v20, 0
	s_and_saveexec_b64 s[10:11], vcc
	s_cbranch_execz .LBB467_676
; %bb.671:
	s_movk_i32 s20, 0x80
	v_cmp_ne_u16_e32 vcc, s20, v14
	v_bfrev_b32_e32 v20, 1
	s_and_saveexec_b64 s[20:21], vcc
	s_cbranch_execz .LBB467_675
; %bb.672:
	s_movk_i32 s22, 0x7f
	v_and_b32_e32 v21, 0x7f, v14
	v_cmp_ne_u32_e32 vcc, s22, v21
	v_mov_b32_e32 v20, 0x7f800001
	s_and_saveexec_b64 s[22:23], vcc
	s_cbranch_execz .LBB467_674
; %bb.673:
	v_and_b32_e32 v20, 7, v14
	v_ffbh_u32_e32 v22, v20
	v_min_u32_e32 v25, 32, v22
	v_subrev_u32_e32 v22, 28, v25
	v_lshlrev_b64 v[22:23], v22, v[14:15]
	v_lshrrev_b32_e32 v24, 3, v21
	v_sub_u32_e32 v14, 29, v25
	v_and_b32_e32 v22, 7, v22
	v_cmp_gt_u32_e32 vcc, 8, v21
	v_cndmask_b32_e32 v14, v24, v14, vcc
	v_cndmask_b32_e32 v20, v20, v22, vcc
	v_lshlrev_b32_e32 v10, 16, v10
	v_bfrev_b32_e32 v21, 60
	v_lshlrev_b32_e32 v20, 20, v20
	v_and_b32_e32 v10, 0x80000000, v10
	v_lshl_add_u32 v14, v14, 23, v21
	v_or3_b32 v20, v10, v14, v20
.LBB467_674:
	s_or_b64 exec, exec, s[22:23]
.LBB467_675:
	s_or_b64 exec, exec, s[20:21]
.LBB467_676:
	s_or_b64 exec, exec, s[10:11]
	s_movk_i32 s10, 0xff
	v_and_b32_sdwa v14, v13, s10 dst_sel:DWORD dst_unused:UNUSED_PAD src0_sel:WORD_1 src1_sel:DWORD
	v_lshrrev_b32_e32 v10, 16, v13
	v_cmp_ne_u16_e32 vcc, 0, v14
	s_and_saveexec_b64 s[10:11], vcc
	s_cbranch_execz .LBB467_682
; %bb.677:
	s_movk_i32 s20, 0x80
	v_cmp_ne_u16_e32 vcc, s20, v14
	v_bfrev_b32_e32 v19, 1
	s_and_saveexec_b64 s[20:21], vcc
	s_cbranch_execz .LBB467_681
; %bb.678:
	v_bfe_u32 v14, v13, 16, 7
	s_movk_i32 s22, 0x7f
	v_cmp_ne_u32_e32 vcc, s22, v14
	v_mov_b32_e32 v19, 0x7f800001
	s_and_saveexec_b64 s[22:23], vcc
	s_cbranch_execz .LBB467_680
; %bb.679:
	v_and_b32_e32 v19, 7, v10
	v_ffbh_u32_e32 v22, v19
	v_min_u32_e32 v24, 32, v22
	v_subrev_u32_e32 v22, 28, v24
	v_lshlrev_b64 v[22:23], v22, v[10:11]
	v_and_b32_e32 v22, 7, v22
	v_cmp_gt_u32_e32 vcc, 8, v14
	v_lshrrev_b32_e32 v21, 3, v14
	v_sub_u32_e32 v10, 29, v24
	v_cndmask_b32_e32 v14, v19, v22, vcc
	v_mov_b32_e32 v19, 24
	v_cndmask_b32_e32 v10, v21, v10, vcc
	v_lshlrev_b32_sdwa v19, v19, v13 dst_sel:DWORD dst_unused:UNUSED_PAD src0_sel:DWORD src1_sel:WORD_1
	v_bfrev_b32_e32 v21, 60
	v_lshlrev_b32_e32 v14, 20, v14
	v_and_b32_e32 v19, 0x80000000, v19
	v_lshl_add_u32 v10, v10, 23, v21
	v_or3_b32 v19, v19, v10, v14
.LBB467_680:
	s_or_b64 exec, exec, s[22:23]
.LBB467_681:
	s_or_b64 exec, exec, s[20:21]
.LBB467_682:
	s_or_b64 exec, exec, s[10:11]
	s_mov_b32 s10, -1
	s_mov_b32 s11, 0xffffff
	v_cmp_lt_u64_e32 vcc, s[10:11], v[12:13]
	v_mov_b32_e32 v14, 0
	v_mov_b32_e32 v12, 0
	s_and_saveexec_b64 s[10:11], vcc
	s_cbranch_execz .LBB467_688
; %bb.683:
	v_lshrrev_b32_e32 v10, 24, v13
	s_movk_i32 s20, 0x80
	v_cmp_ne_u32_e32 vcc, s20, v10
	v_bfrev_b32_e32 v12, 1
	s_and_saveexec_b64 s[20:21], vcc
	s_cbranch_execz .LBB467_687
; %bb.684:
	v_bfe_u32 v13, v13, 24, 7
	s_movk_i32 s22, 0x7f
	v_cmp_ne_u32_e32 vcc, s22, v13
	v_mov_b32_e32 v12, 0x7f800001
	s_and_saveexec_b64 s[22:23], vcc
	s_cbranch_execz .LBB467_686
; %bb.685:
	v_and_b32_e32 v12, 7, v10
	v_ffbh_u32_e32 v22, v12
	v_min_u32_e32 v24, 32, v22
	v_subrev_u32_e32 v22, 28, v24
	v_lshlrev_b64 v[22:23], v22, v[10:11]
	v_lshrrev_b32_e32 v21, 3, v13
	v_sub_u32_e32 v23, 29, v24
	v_and_b32_e32 v22, 7, v22
	v_cmp_gt_u32_e32 vcc, 8, v13
	v_cndmask_b32_e32 v13, v21, v23, vcc
	v_cndmask_b32_e32 v12, v12, v22, vcc
	v_lshlrev_b32_e32 v10, 24, v10
	v_bfrev_b32_e32 v21, 60
	v_lshlrev_b32_e32 v12, 20, v12
	v_and_b32_e32 v10, 0x80000000, v10
	v_lshl_add_u32 v13, v13, 23, v21
	v_or3_b32 v12, v10, v13, v12
.LBB467_686:
	s_or_b64 exec, exec, s[22:23]
.LBB467_687:
	s_or_b64 exec, exec, s[20:21]
.LBB467_688:
	s_or_b64 exec, exec, s[10:11]
	v_cvt_pkrtz_f16_f32 v16, v16, v17
	v_cvt_pkrtz_f16_f32 v17, v15, v18
	;; [unrolled: 1-line block ×4, first 2 shown]
	v_mfma_f32_4x4x4f16 a[0:3], v[2:3], v[16:17], a[0:3] cbsz:4 abid:13
	v_cmp_ne_u16_sdwa s[20:21], v6, v14 src0_sel:BYTE_0 src1_sel:DWORD
	v_mfma_f32_4x4x4f16 a[0:3], v[4:5], v[10:11], a[0:3] cbsz:4 abid:13
	s_and_saveexec_b64 s[10:11], s[20:21]
	s_cbranch_execz .LBB467_694
; %bb.689:
	s_movk_i32 s20, 0x80
	v_cmp_ne_u16_sdwa s[22:23], v6, s20 src0_sel:BYTE_0 src1_sel:DWORD
	v_bfrev_b32_e32 v14, 1
	s_and_saveexec_b64 s[20:21], s[22:23]
	s_cbranch_execz .LBB467_693
; %bb.690:
	s_movk_i32 s22, 0x7f
	v_and_b32_e32 v10, 0x7f, v6
	v_cmp_ne_u32_e32 vcc, s22, v10
	v_mov_b32_e32 v14, 0x7f800001
	s_and_saveexec_b64 s[22:23], vcc
	s_cbranch_execz .LBB467_692
; %bb.691:
	v_and_b32_e32 v11, 7, v6
	v_ffbh_u32_e32 v11, v11
	v_min_u32_e32 v11, 32, v11
	v_subrev_u32_e32 v13, 28, v11
	v_cmp_gt_u32_e32 vcc, 8, v10
	v_lshrrev_b32_e32 v12, 3, v10
	v_sub_u32_e32 v11, 29, v11
	v_cndmask_b32_e32 v10, 0, v13, vcc
	v_cndmask_b32_e32 v12, v12, v11, vcc
	v_lshlrev_b64 v[10:11], v10, v[6:7]
	v_lshlrev_b32_e32 v10, 20, v10
	v_lshlrev_b32_e32 v11, 24, v6
	v_bfrev_b32_e32 v13, 60
	v_and_b32_e32 v10, 0x700000, v10
	v_and_b32_e32 v11, 0x80000000, v11
	v_lshl_add_u32 v12, v12, 23, v13
	v_or3_b32 v14, v11, v12, v10
.LBB467_692:
	s_or_b64 exec, exec, s[22:23]
.LBB467_693:
	s_or_b64 exec, exec, s[20:21]
.LBB467_694:
	s_or_b64 exec, exec, s[10:11]
	v_lshrrev_b16_e32 v10, 8, v6
	v_cmp_ne_u16_e32 vcc, 0, v10
	v_mov_b32_e32 v13, 0
	v_mov_b32_e32 v15, 0
	s_and_saveexec_b64 s[10:11], vcc
	s_cbranch_execz .LBB467_700
; %bb.695:
	s_movk_i32 s20, 0x80
	v_cmp_ne_u16_e32 vcc, s20, v10
	v_bfrev_b32_e32 v15, 1
	s_and_saveexec_b64 s[20:21], vcc
	s_cbranch_execz .LBB467_699
; %bb.696:
	s_movk_i32 s22, 0x7f
	v_and_b32_e32 v11, 0x7f, v10
	v_cmp_ne_u32_e32 vcc, s22, v11
	v_mov_b32_e32 v15, 0x7f800001
	s_and_saveexec_b64 s[22:23], vcc
	s_cbranch_execz .LBB467_698
; %bb.697:
	v_and_b32_e32 v12, 7, v10
	v_ffbh_u32_e32 v16, v12
	v_min_u32_e32 v18, 32, v16
	v_subrev_u32_e32 v16, 28, v18
	v_lshlrev_b64 v[16:17], v16, v[10:11]
	v_lshrrev_b32_e32 v15, 3, v11
	v_sub_u32_e32 v10, 29, v18
	v_and_b32_e32 v16, 7, v16
	v_cmp_gt_u32_e32 vcc, 8, v11
	v_cndmask_b32_e32 v10, v15, v10, vcc
	v_cndmask_b32_e32 v11, v12, v16, vcc
	v_lshlrev_b32_e32 v12, 16, v6
	v_bfrev_b32_e32 v15, 60
	v_lshlrev_b32_e32 v11, 20, v11
	v_and_b32_e32 v12, 0x80000000, v12
	v_lshl_add_u32 v10, v10, 23, v15
	v_or3_b32 v15, v12, v10, v11
.LBB467_698:
	s_or_b64 exec, exec, s[22:23]
.LBB467_699:
	s_or_b64 exec, exec, s[20:21]
.LBB467_700:
	s_or_b64 exec, exec, s[10:11]
	s_movk_i32 s10, 0xff
	v_and_b32_sdwa v11, v6, s10 dst_sel:DWORD dst_unused:UNUSED_PAD src0_sel:WORD_1 src1_sel:DWORD
	v_lshrrev_b32_e32 v10, 16, v6
	v_cmp_ne_u16_e32 vcc, 0, v11
	s_and_saveexec_b64 s[10:11], vcc
	s_cbranch_execz .LBB467_706
; %bb.701:
	s_movk_i32 s20, 0x80
	v_cmp_ne_u16_e32 vcc, s20, v11
	v_bfrev_b32_e32 v13, 1
	s_and_saveexec_b64 s[20:21], vcc
	s_cbranch_execz .LBB467_705
; %bb.702:
	v_bfe_u32 v11, v6, 16, 7
	s_movk_i32 s22, 0x7f
	v_cmp_ne_u32_e32 vcc, s22, v11
	v_mov_b32_e32 v13, 0x7f800001
	s_and_saveexec_b64 s[22:23], vcc
	s_cbranch_execz .LBB467_704
; %bb.703:
	v_and_b32_e32 v16, 7, v10
	v_ffbh_u32_e32 v12, v16
	v_min_u32_e32 v18, 32, v12
	v_subrev_u32_e32 v12, 28, v18
	v_lshlrev_b64 v[12:13], v12, v[10:11]
	v_and_b32_e32 v12, 7, v12
	v_cmp_gt_u32_e32 vcc, 8, v11
	v_lshrrev_b32_e32 v17, 3, v11
	v_sub_u32_e32 v10, 29, v18
	v_cndmask_b32_e32 v11, v16, v12, vcc
	v_mov_b32_e32 v12, 24
	v_cndmask_b32_e32 v10, v17, v10, vcc
	v_lshlrev_b32_sdwa v12, v12, v6 dst_sel:DWORD dst_unused:UNUSED_PAD src0_sel:DWORD src1_sel:WORD_1
	v_bfrev_b32_e32 v13, 60
	v_lshlrev_b32_e32 v11, 20, v11
	v_and_b32_e32 v12, 0x80000000, v12
	v_lshl_add_u32 v10, v10, 23, v13
	v_or3_b32 v13, v12, v10, v11
.LBB467_704:
	s_or_b64 exec, exec, s[22:23]
.LBB467_705:
	s_or_b64 exec, exec, s[20:21]
.LBB467_706:
	s_or_b64 exec, exec, s[10:11]
	s_mov_b32 s10, 0xffffff
	v_cmp_lt_u32_e32 vcc, s10, v6
	v_mov_b32_e32 v11, 0
	v_mov_b32_e32 v16, 0
	s_and_saveexec_b64 s[10:11], vcc
	s_cbranch_execz .LBB467_712
; %bb.707:
	v_lshrrev_b32_e32 v10, 24, v6
	s_movk_i32 s20, 0x80
	v_cmp_ne_u32_e32 vcc, s20, v10
	v_bfrev_b32_e32 v16, 1
	s_and_saveexec_b64 s[20:21], vcc
	s_cbranch_execz .LBB467_711
; %bb.708:
	v_bfe_u32 v12, v6, 24, 7
	s_movk_i32 s22, 0x7f
	v_cmp_ne_u32_e32 vcc, s22, v12
	v_mov_b32_e32 v16, 0x7f800001
	s_and_saveexec_b64 s[22:23], vcc
	s_cbranch_execz .LBB467_710
; %bb.709:
	v_and_b32_e32 v18, 7, v10
	v_ffbh_u32_e32 v16, v18
	v_min_u32_e32 v20, 32, v16
	v_subrev_u32_e32 v16, 28, v20
	v_lshlrev_b64 v[16:17], v16, v[10:11]
	v_lshrrev_b32_e32 v19, 3, v12
	v_sub_u32_e32 v17, 29, v20
	v_and_b32_e32 v16, 7, v16
	v_cmp_gt_u32_e32 vcc, 8, v12
	v_cndmask_b32_e32 v12, v19, v17, vcc
	v_cndmask_b32_e32 v16, v18, v16, vcc
	v_lshlrev_b32_e32 v10, 24, v10
	v_bfrev_b32_e32 v17, 60
	v_lshlrev_b32_e32 v16, 20, v16
	v_and_b32_e32 v10, 0x80000000, v10
	v_lshl_add_u32 v12, v12, 23, v17
	v_or3_b32 v16, v10, v12, v16
.LBB467_710:
	s_or_b64 exec, exec, s[22:23]
.LBB467_711:
	s_or_b64 exec, exec, s[20:21]
.LBB467_712:
	s_or_b64 exec, exec, s[10:11]
	v_mov_b32_e32 v10, v7
	v_cmp_ne_u16_sdwa s[20:21], v7, v11 src0_sel:BYTE_0 src1_sel:DWORD
	s_and_saveexec_b64 s[10:11], s[20:21]
	s_cbranch_execz .LBB467_718
; %bb.713:
	s_movk_i32 s20, 0x80
	v_cmp_ne_u16_sdwa s[22:23], v7, s20 src0_sel:BYTE_0 src1_sel:DWORD
	v_bfrev_b32_e32 v12, 1
	s_and_saveexec_b64 s[20:21], s[22:23]
	s_cbranch_execz .LBB467_717
; %bb.714:
	s_movk_i32 s22, 0x7f
	v_and_b32_e32 v17, 0x7f, v7
	v_cmp_ne_u32_e32 vcc, s22, v17
	v_mov_b32_e32 v12, 0x7f800001
	s_and_saveexec_b64 s[22:23], vcc
	s_cbranch_execz .LBB467_716
; %bb.715:
	v_and_b32_e32 v12, 7, v7
	v_ffbh_u32_e32 v12, v12
	v_min_u32_e32 v12, 32, v12
	v_subrev_u32_e32 v19, 28, v12
	v_cmp_gt_u32_e32 vcc, 8, v17
	v_lshrrev_b32_e32 v18, 3, v17
	v_sub_u32_e32 v12, 29, v12
	v_cndmask_b32_e32 v17, 0, v19, vcc
	v_cndmask_b32_e32 v12, v18, v12, vcc
	v_lshlrev_b64 v[18:19], v17, v[10:11]
	v_lshlrev_b32_e32 v11, 20, v18
	v_lshlrev_b32_e32 v17, 24, v10
	v_bfrev_b32_e32 v18, 60
	v_and_b32_e32 v11, 0x700000, v11
	v_and_b32_e32 v17, 0x80000000, v17
	v_lshl_add_u32 v12, v12, 23, v18
	v_or3_b32 v12, v17, v12, v11
.LBB467_716:
	s_or_b64 exec, exec, s[22:23]
.LBB467_717:
	s_or_b64 exec, exec, s[20:21]
	v_mov_b32_e32 v11, v12
.LBB467_718:
	s_or_b64 exec, exec, s[10:11]
	v_lshrrev_b16_e32 v12, 8, v10
	v_cmp_ne_u16_e32 vcc, 0, v12
	v_mov_b32_e32 v17, 0
	v_mov_b32_e32 v18, 0
	s_and_saveexec_b64 s[10:11], vcc
	s_cbranch_execz .LBB467_724
; %bb.719:
	s_movk_i32 s20, 0x80
	v_cmp_ne_u16_e32 vcc, s20, v12
	v_bfrev_b32_e32 v18, 1
	s_and_saveexec_b64 s[20:21], vcc
	s_cbranch_execz .LBB467_723
; %bb.720:
	s_movk_i32 s22, 0x7f
	v_and_b32_e32 v19, 0x7f, v12
	v_cmp_ne_u32_e32 vcc, s22, v19
	v_mov_b32_e32 v18, 0x7f800001
	s_and_saveexec_b64 s[22:23], vcc
	s_cbranch_execz .LBB467_722
; %bb.721:
	v_and_b32_e32 v18, 7, v12
	v_ffbh_u32_e32 v20, v18
	v_min_u32_e32 v23, 32, v20
	v_subrev_u32_e32 v20, 28, v23
	v_lshlrev_b64 v[20:21], v20, v[12:13]
	v_lshrrev_b32_e32 v22, 3, v19
	v_sub_u32_e32 v12, 29, v23
	v_and_b32_e32 v20, 7, v20
	v_cmp_gt_u32_e32 vcc, 8, v19
	v_cndmask_b32_e32 v12, v22, v12, vcc
	v_cndmask_b32_e32 v18, v18, v20, vcc
	v_lshlrev_b32_e32 v10, 16, v10
	v_bfrev_b32_e32 v19, 60
	v_lshlrev_b32_e32 v18, 20, v18
	v_and_b32_e32 v10, 0x80000000, v10
	v_lshl_add_u32 v12, v12, 23, v19
	v_or3_b32 v18, v10, v12, v18
.LBB467_722:
	s_or_b64 exec, exec, s[22:23]
.LBB467_723:
	s_or_b64 exec, exec, s[20:21]
.LBB467_724:
	s_or_b64 exec, exec, s[10:11]
	s_movk_i32 s10, 0xff
	v_and_b32_sdwa v12, v7, s10 dst_sel:DWORD dst_unused:UNUSED_PAD src0_sel:WORD_1 src1_sel:DWORD
	v_lshrrev_b32_e32 v10, 16, v7
	v_cmp_ne_u16_e32 vcc, 0, v12
	s_and_saveexec_b64 s[10:11], vcc
	s_cbranch_execz .LBB467_730
; %bb.725:
	s_movk_i32 s20, 0x80
	v_cmp_ne_u16_e32 vcc, s20, v12
	v_bfrev_b32_e32 v17, 1
	s_and_saveexec_b64 s[20:21], vcc
	s_cbranch_execz .LBB467_729
; %bb.726:
	v_bfe_u32 v12, v7, 16, 7
	s_movk_i32 s22, 0x7f
	v_cmp_ne_u32_e32 vcc, s22, v12
	v_mov_b32_e32 v17, 0x7f800001
	s_and_saveexec_b64 s[22:23], vcc
	s_cbranch_execz .LBB467_728
; %bb.727:
	v_and_b32_e32 v17, 7, v10
	v_ffbh_u32_e32 v20, v17
	v_min_u32_e32 v22, 32, v20
	v_subrev_u32_e32 v20, 28, v22
	v_lshlrev_b64 v[20:21], v20, v[10:11]
	v_and_b32_e32 v20, 7, v20
	v_cmp_gt_u32_e32 vcc, 8, v12
	v_lshrrev_b32_e32 v19, 3, v12
	v_sub_u32_e32 v10, 29, v22
	v_cndmask_b32_e32 v12, v17, v20, vcc
	v_mov_b32_e32 v17, 24
	v_cndmask_b32_e32 v10, v19, v10, vcc
	v_lshlrev_b32_sdwa v17, v17, v7 dst_sel:DWORD dst_unused:UNUSED_PAD src0_sel:DWORD src1_sel:WORD_1
	v_bfrev_b32_e32 v19, 60
	v_lshlrev_b32_e32 v12, 20, v12
	v_and_b32_e32 v17, 0x80000000, v17
	v_lshl_add_u32 v10, v10, 23, v19
	v_or3_b32 v17, v17, v10, v12
.LBB467_728:
	s_or_b64 exec, exec, s[22:23]
.LBB467_729:
	s_or_b64 exec, exec, s[20:21]
.LBB467_730:
	s_or_b64 exec, exec, s[10:11]
	s_mov_b32 s10, -1
	s_mov_b32 s11, 0xffffff
	v_cmp_lt_u64_e32 vcc, s[10:11], v[6:7]
	v_mov_b32_e32 v12, 0
	v_mov_b32_e32 v10, 0
	s_and_saveexec_b64 s[10:11], vcc
	s_cbranch_execz .LBB467_736
; %bb.731:
	v_lshrrev_b32_e32 v6, 24, v7
	s_movk_i32 s20, 0x80
	v_cmp_ne_u32_e32 vcc, s20, v6
	v_bfrev_b32_e32 v10, 1
	s_and_saveexec_b64 s[20:21], vcc
	s_cbranch_execz .LBB467_735
; %bb.732:
	v_bfe_u32 v7, v7, 24, 7
	s_movk_i32 s22, 0x7f
	v_cmp_ne_u32_e32 vcc, s22, v7
	v_mov_b32_e32 v10, 0x7f800001
	s_and_saveexec_b64 s[22:23], vcc
	s_cbranch_execz .LBB467_734
; %bb.733:
	v_and_b32_e32 v10, 7, v6
	v_ffbh_u32_e32 v20, v10
	v_min_u32_e32 v22, 32, v20
	v_subrev_u32_e32 v20, 28, v22
	v_lshlrev_b64 v[20:21], v20, v[6:7]
	v_lshrrev_b32_e32 v19, 3, v7
	v_sub_u32_e32 v21, 29, v22
	v_and_b32_e32 v20, 7, v20
	v_cmp_gt_u32_e32 vcc, 8, v7
	v_cndmask_b32_e32 v7, v19, v21, vcc
	v_cndmask_b32_e32 v10, v10, v20, vcc
	v_lshlrev_b32_e32 v6, 24, v6
	v_bfrev_b32_e32 v19, 60
	v_lshlrev_b32_e32 v10, 20, v10
	v_and_b32_e32 v6, 0x80000000, v6
	v_lshl_add_u32 v7, v7, 23, v19
	v_or3_b32 v10, v6, v7, v10
.LBB467_734:
	s_or_b64 exec, exec, s[22:23]
.LBB467_735:
	s_or_b64 exec, exec, s[20:21]
.LBB467_736:
	s_or_b64 exec, exec, s[10:11]
	v_cvt_pkrtz_f16_f32 v6, v14, v15
	v_cvt_pkrtz_f16_f32 v7, v13, v16
	;; [unrolled: 1-line block ×4, first 2 shown]
	v_mfma_f32_4x4x4f16 a[0:3], v[2:3], v[6:7], a[0:3] cbsz:4 abid:14
	v_cmp_ne_u16_sdwa s[20:21], v8, v12 src0_sel:BYTE_0 src1_sel:DWORD
	v_mfma_f32_4x4x4f16 a[0:3], v[4:5], v[14:15], a[0:3] cbsz:4 abid:14
	s_and_saveexec_b64 s[10:11], s[20:21]
	s_cbranch_execz .LBB467_742
; %bb.737:
	s_movk_i32 s20, 0x80
	v_cmp_ne_u16_sdwa s[22:23], v8, s20 src0_sel:BYTE_0 src1_sel:DWORD
	v_bfrev_b32_e32 v12, 1
	s_and_saveexec_b64 s[20:21], s[22:23]
	s_cbranch_execz .LBB467_741
; %bb.738:
	s_movk_i32 s22, 0x7f
	v_and_b32_e32 v6, 0x7f, v8
	v_cmp_ne_u32_e32 vcc, s22, v6
	v_mov_b32_e32 v12, 0x7f800001
	s_and_saveexec_b64 s[22:23], vcc
	s_cbranch_execz .LBB467_740
; %bb.739:
	v_and_b32_e32 v7, 7, v8
	v_ffbh_u32_e32 v7, v7
	v_min_u32_e32 v7, 32, v7
	v_subrev_u32_e32 v11, 28, v7
	v_cmp_gt_u32_e32 vcc, 8, v6
	v_lshrrev_b32_e32 v10, 3, v6
	v_sub_u32_e32 v7, 29, v7
	v_cndmask_b32_e32 v6, 0, v11, vcc
	v_cndmask_b32_e32 v10, v10, v7, vcc
	v_lshlrev_b64 v[6:7], v6, v[8:9]
	v_lshlrev_b32_e32 v6, 20, v6
	v_lshlrev_b32_e32 v7, 24, v8
	v_bfrev_b32_e32 v11, 60
	v_and_b32_e32 v6, 0x700000, v6
	v_and_b32_e32 v7, 0x80000000, v7
	v_lshl_add_u32 v10, v10, 23, v11
	v_or3_b32 v12, v7, v10, v6
.LBB467_740:
	s_or_b64 exec, exec, s[22:23]
.LBB467_741:
	s_or_b64 exec, exec, s[20:21]
.LBB467_742:
	s_or_b64 exec, exec, s[10:11]
	v_lshrrev_b16_e32 v6, 8, v8
	v_cmp_ne_u16_e32 vcc, 0, v6
	v_mov_b32_e32 v11, 0
	v_mov_b32_e32 v13, 0
	s_and_saveexec_b64 s[10:11], vcc
	s_cbranch_execz .LBB467_748
; %bb.743:
	s_movk_i32 s20, 0x80
	v_cmp_ne_u16_e32 vcc, s20, v6
	v_bfrev_b32_e32 v13, 1
	s_and_saveexec_b64 s[20:21], vcc
	s_cbranch_execz .LBB467_747
; %bb.744:
	s_movk_i32 s22, 0x7f
	v_and_b32_e32 v7, 0x7f, v6
	v_cmp_ne_u32_e32 vcc, s22, v7
	v_mov_b32_e32 v13, 0x7f800001
	s_and_saveexec_b64 s[22:23], vcc
	s_cbranch_execz .LBB467_746
; %bb.745:
	v_and_b32_e32 v10, 7, v6
	v_ffbh_u32_e32 v14, v10
	v_min_u32_e32 v16, 32, v14
	v_subrev_u32_e32 v14, 28, v16
	v_lshlrev_b64 v[14:15], v14, v[6:7]
	v_lshrrev_b32_e32 v13, 3, v7
	v_sub_u32_e32 v6, 29, v16
	v_and_b32_e32 v14, 7, v14
	v_cmp_gt_u32_e32 vcc, 8, v7
	v_cndmask_b32_e32 v6, v13, v6, vcc
	v_cndmask_b32_e32 v7, v10, v14, vcc
	v_lshlrev_b32_e32 v10, 16, v8
	v_bfrev_b32_e32 v13, 60
	v_lshlrev_b32_e32 v7, 20, v7
	v_and_b32_e32 v10, 0x80000000, v10
	v_lshl_add_u32 v6, v6, 23, v13
	v_or3_b32 v13, v10, v6, v7
.LBB467_746:
	s_or_b64 exec, exec, s[22:23]
.LBB467_747:
	s_or_b64 exec, exec, s[20:21]
.LBB467_748:
	s_or_b64 exec, exec, s[10:11]
	s_movk_i32 s10, 0xff
	v_and_b32_sdwa v7, v8, s10 dst_sel:DWORD dst_unused:UNUSED_PAD src0_sel:WORD_1 src1_sel:DWORD
	v_lshrrev_b32_e32 v6, 16, v8
	v_cmp_ne_u16_e32 vcc, 0, v7
	s_and_saveexec_b64 s[10:11], vcc
	s_cbranch_execz .LBB467_754
; %bb.749:
	s_movk_i32 s20, 0x80
	v_cmp_ne_u16_e32 vcc, s20, v7
	v_bfrev_b32_e32 v11, 1
	s_and_saveexec_b64 s[20:21], vcc
	s_cbranch_execz .LBB467_753
; %bb.750:
	v_bfe_u32 v7, v8, 16, 7
	s_movk_i32 s22, 0x7f
	v_cmp_ne_u32_e32 vcc, s22, v7
	v_mov_b32_e32 v11, 0x7f800001
	s_and_saveexec_b64 s[22:23], vcc
	s_cbranch_execz .LBB467_752
; %bb.751:
	v_and_b32_e32 v14, 7, v6
	v_ffbh_u32_e32 v10, v14
	v_min_u32_e32 v16, 32, v10
	v_subrev_u32_e32 v10, 28, v16
	v_lshlrev_b64 v[10:11], v10, v[6:7]
	v_and_b32_e32 v10, 7, v10
	v_cmp_gt_u32_e32 vcc, 8, v7
	v_lshrrev_b32_e32 v15, 3, v7
	v_sub_u32_e32 v6, 29, v16
	v_cndmask_b32_e32 v7, v14, v10, vcc
	v_mov_b32_e32 v10, 24
	v_cndmask_b32_e32 v6, v15, v6, vcc
	v_lshlrev_b32_sdwa v10, v10, v8 dst_sel:DWORD dst_unused:UNUSED_PAD src0_sel:DWORD src1_sel:WORD_1
	v_bfrev_b32_e32 v11, 60
	v_lshlrev_b32_e32 v7, 20, v7
	v_and_b32_e32 v10, 0x80000000, v10
	v_lshl_add_u32 v6, v6, 23, v11
	v_or3_b32 v11, v10, v6, v7
.LBB467_752:
	s_or_b64 exec, exec, s[22:23]
.LBB467_753:
	s_or_b64 exec, exec, s[20:21]
.LBB467_754:
	s_or_b64 exec, exec, s[10:11]
	s_mov_b32 s10, 0xffffff
	v_cmp_lt_u32_e32 vcc, s10, v8
	v_mov_b32_e32 v7, 0
	v_mov_b32_e32 v14, 0
	s_and_saveexec_b64 s[10:11], vcc
	s_cbranch_execz .LBB467_760
; %bb.755:
	v_lshrrev_b32_e32 v6, 24, v8
	s_movk_i32 s20, 0x80
	v_cmp_ne_u32_e32 vcc, s20, v6
	v_bfrev_b32_e32 v14, 1
	s_and_saveexec_b64 s[20:21], vcc
	s_cbranch_execz .LBB467_759
; %bb.756:
	v_bfe_u32 v10, v8, 24, 7
	s_movk_i32 s22, 0x7f
	v_cmp_ne_u32_e32 vcc, s22, v10
	v_mov_b32_e32 v14, 0x7f800001
	s_and_saveexec_b64 s[22:23], vcc
	s_cbranch_execz .LBB467_758
; %bb.757:
	v_and_b32_e32 v16, 7, v6
	v_ffbh_u32_e32 v14, v16
	v_min_u32_e32 v18, 32, v14
	v_subrev_u32_e32 v14, 28, v18
	v_lshlrev_b64 v[14:15], v14, v[6:7]
	v_lshrrev_b32_e32 v17, 3, v10
	v_sub_u32_e32 v15, 29, v18
	v_and_b32_e32 v14, 7, v14
	v_cmp_gt_u32_e32 vcc, 8, v10
	v_cndmask_b32_e32 v10, v17, v15, vcc
	v_cndmask_b32_e32 v14, v16, v14, vcc
	v_lshlrev_b32_e32 v6, 24, v6
	v_bfrev_b32_e32 v15, 60
	v_lshlrev_b32_e32 v14, 20, v14
	v_and_b32_e32 v6, 0x80000000, v6
	v_lshl_add_u32 v10, v10, 23, v15
	v_or3_b32 v14, v6, v10, v14
.LBB467_758:
	s_or_b64 exec, exec, s[22:23]
.LBB467_759:
	s_or_b64 exec, exec, s[20:21]
.LBB467_760:
	s_or_b64 exec, exec, s[10:11]
	v_mov_b32_e32 v6, v9
	v_cmp_ne_u16_sdwa s[20:21], v9, v7 src0_sel:BYTE_0 src1_sel:DWORD
	s_and_saveexec_b64 s[10:11], s[20:21]
	s_cbranch_execz .LBB467_766
; %bb.761:
	s_movk_i32 s20, 0x80
	v_cmp_ne_u16_sdwa s[22:23], v9, s20 src0_sel:BYTE_0 src1_sel:DWORD
	v_bfrev_b32_e32 v10, 1
	s_and_saveexec_b64 s[20:21], s[22:23]
	s_cbranch_execz .LBB467_765
; %bb.762:
	s_movk_i32 s22, 0x7f
	v_and_b32_e32 v15, 0x7f, v9
	v_cmp_ne_u32_e32 vcc, s22, v15
	v_mov_b32_e32 v10, 0x7f800001
	s_and_saveexec_b64 s[22:23], vcc
	s_cbranch_execz .LBB467_764
; %bb.763:
	v_and_b32_e32 v10, 7, v9
	v_ffbh_u32_e32 v10, v10
	v_min_u32_e32 v10, 32, v10
	v_subrev_u32_e32 v17, 28, v10
	v_cmp_gt_u32_e32 vcc, 8, v15
	v_lshrrev_b32_e32 v16, 3, v15
	v_sub_u32_e32 v10, 29, v10
	v_cndmask_b32_e32 v15, 0, v17, vcc
	v_cndmask_b32_e32 v10, v16, v10, vcc
	v_lshlrev_b64 v[16:17], v15, v[6:7]
	v_lshlrev_b32_e32 v7, 20, v16
	v_lshlrev_b32_e32 v15, 24, v6
	v_bfrev_b32_e32 v16, 60
	v_and_b32_e32 v7, 0x700000, v7
	v_and_b32_e32 v15, 0x80000000, v15
	v_lshl_add_u32 v10, v10, 23, v16
	v_or3_b32 v10, v15, v10, v7
.LBB467_764:
	s_or_b64 exec, exec, s[22:23]
.LBB467_765:
	s_or_b64 exec, exec, s[20:21]
	v_mov_b32_e32 v7, v10
.LBB467_766:
	s_or_b64 exec, exec, s[10:11]
	v_lshrrev_b16_e32 v10, 8, v6
	v_cmp_ne_u16_e32 vcc, 0, v10
	v_mov_b32_e32 v15, 0
	v_mov_b32_e32 v16, 0
	s_and_saveexec_b64 s[10:11], vcc
	s_cbranch_execz .LBB467_772
; %bb.767:
	s_movk_i32 s20, 0x80
	v_cmp_ne_u16_e32 vcc, s20, v10
	v_bfrev_b32_e32 v16, 1
	s_and_saveexec_b64 s[20:21], vcc
	s_cbranch_execz .LBB467_771
; %bb.768:
	s_movk_i32 s22, 0x7f
	v_and_b32_e32 v17, 0x7f, v10
	v_cmp_ne_u32_e32 vcc, s22, v17
	v_mov_b32_e32 v16, 0x7f800001
	s_and_saveexec_b64 s[22:23], vcc
	s_cbranch_execz .LBB467_770
; %bb.769:
	v_and_b32_e32 v16, 7, v10
	v_ffbh_u32_e32 v18, v16
	v_min_u32_e32 v21, 32, v18
	v_subrev_u32_e32 v18, 28, v21
	v_lshlrev_b64 v[18:19], v18, v[10:11]
	v_lshrrev_b32_e32 v20, 3, v17
	v_sub_u32_e32 v10, 29, v21
	v_and_b32_e32 v18, 7, v18
	v_cmp_gt_u32_e32 vcc, 8, v17
	v_cndmask_b32_e32 v10, v20, v10, vcc
	v_cndmask_b32_e32 v16, v16, v18, vcc
	v_lshlrev_b32_e32 v6, 16, v6
	v_bfrev_b32_e32 v17, 60
	v_lshlrev_b32_e32 v16, 20, v16
	v_and_b32_e32 v6, 0x80000000, v6
	v_lshl_add_u32 v10, v10, 23, v17
	v_or3_b32 v16, v6, v10, v16
.LBB467_770:
	s_or_b64 exec, exec, s[22:23]
.LBB467_771:
	s_or_b64 exec, exec, s[20:21]
.LBB467_772:
	s_or_b64 exec, exec, s[10:11]
	s_movk_i32 s10, 0xff
	v_and_b32_sdwa v10, v9, s10 dst_sel:DWORD dst_unused:UNUSED_PAD src0_sel:WORD_1 src1_sel:DWORD
	v_lshrrev_b32_e32 v6, 16, v9
	v_cmp_ne_u16_e32 vcc, 0, v10
	s_and_saveexec_b64 s[10:11], vcc
	s_cbranch_execz .LBB467_778
; %bb.773:
	s_movk_i32 s20, 0x80
	v_cmp_ne_u16_e32 vcc, s20, v10
	v_bfrev_b32_e32 v15, 1
	s_and_saveexec_b64 s[20:21], vcc
	s_cbranch_execz .LBB467_777
; %bb.774:
	v_bfe_u32 v10, v9, 16, 7
	s_movk_i32 s22, 0x7f
	v_cmp_ne_u32_e32 vcc, s22, v10
	v_mov_b32_e32 v15, 0x7f800001
	s_and_saveexec_b64 s[22:23], vcc
	s_cbranch_execz .LBB467_776
; %bb.775:
	v_and_b32_e32 v15, 7, v6
	v_ffbh_u32_e32 v18, v15
	v_min_u32_e32 v20, 32, v18
	v_subrev_u32_e32 v18, 28, v20
	v_lshlrev_b64 v[18:19], v18, v[6:7]
	v_and_b32_e32 v18, 7, v18
	v_cmp_gt_u32_e32 vcc, 8, v10
	v_lshrrev_b32_e32 v17, 3, v10
	v_sub_u32_e32 v6, 29, v20
	v_cndmask_b32_e32 v10, v15, v18, vcc
	v_mov_b32_e32 v15, 24
	v_cndmask_b32_e32 v6, v17, v6, vcc
	v_lshlrev_b32_sdwa v15, v15, v9 dst_sel:DWORD dst_unused:UNUSED_PAD src0_sel:DWORD src1_sel:WORD_1
	v_bfrev_b32_e32 v17, 60
	v_lshlrev_b32_e32 v10, 20, v10
	v_and_b32_e32 v15, 0x80000000, v15
	v_lshl_add_u32 v6, v6, 23, v17
	v_or3_b32 v15, v15, v6, v10
.LBB467_776:
	s_or_b64 exec, exec, s[22:23]
.LBB467_777:
	s_or_b64 exec, exec, s[20:21]
.LBB467_778:
	s_or_b64 exec, exec, s[10:11]
	s_mov_b32 s10, -1
	s_mov_b32 s11, 0xffffff
	v_cmp_lt_u64_e32 vcc, s[10:11], v[8:9]
	v_mov_b32_e32 v8, 0
	s_and_saveexec_b64 s[10:11], vcc
	s_cbranch_execz .LBB467_784
; %bb.779:
	v_lshrrev_b32_e32 v6, 24, v9
	s_movk_i32 s20, 0x80
	v_cmp_ne_u32_e32 vcc, s20, v6
	v_bfrev_b32_e32 v8, 1
	s_and_saveexec_b64 s[20:21], vcc
	s_cbranch_execz .LBB467_783
; %bb.780:
	v_bfe_u32 v9, v9, 24, 7
	s_movk_i32 s22, 0x7f
	v_cmp_ne_u32_e32 vcc, s22, v9
	v_mov_b32_e32 v8, 0x7f800001
	s_and_saveexec_b64 s[22:23], vcc
	s_cbranch_execz .LBB467_782
; %bb.781:
	v_and_b32_e32 v8, 7, v6
	v_ffbh_u32_e32 v17, v8
	v_min_u32_e32 v17, 32, v17
	v_subrev_u32_e32 v18, 28, v17
	v_lshlrev_b64 v[18:19], v18, v[6:7]
	v_lshrrev_b32_e32 v10, 3, v9
	v_sub_u32_e32 v17, 29, v17
	v_and_b32_e32 v18, 7, v18
	v_cmp_gt_u32_e32 vcc, 8, v9
	v_cndmask_b32_e32 v9, v10, v17, vcc
	v_cndmask_b32_e32 v8, v8, v18, vcc
	v_lshlrev_b32_e32 v6, 24, v6
	v_bfrev_b32_e32 v10, 60
	v_lshlrev_b32_e32 v8, 20, v8
	v_and_b32_e32 v6, 0x80000000, v6
	v_lshl_add_u32 v9, v9, 23, v10
	v_or3_b32 v8, v6, v9, v8
.LBB467_782:
	s_or_b64 exec, exec, s[22:23]
.LBB467_783:
	s_or_b64 exec, exec, s[20:21]
.LBB467_784:
	s_or_b64 exec, exec, s[10:11]
	s_load_dword s4, s[4:5], 0x1c
	v_cvt_pkrtz_f16_f32 v10, v12, v13
	v_cvt_pkrtz_f16_f32 v11, v11, v14
	s_load_dword s5, s[12:13], 0x0
	v_cvt_pkrtz_f16_f32 v6, v7, v16
	v_mfma_f32_4x4x4f16 a[0:3], v[2:3], v[10:11], a[0:3] cbsz:4 abid:15
	v_cvt_pkrtz_f16_f32 v7, v15, v8
	s_waitcnt lgkmcnt(0)
	v_mov_b32_e32 v2, s4
	v_cmp_eq_u32_e32 vcc, 0, v43
	v_mfma_f32_4x4x4f16 a[0:3], v[4:5], v[6:7], a[0:3] cbsz:4 abid:15
	v_mul_f32_e32 v4, s5, v2
	v_mov_b32_e32 v9, 0xff7fffff
	s_nop 2
	v_accvgpr_read_b32 v7, a1
	v_accvgpr_read_b32 v6, a0
	v_pk_mul_f32 v[6:7], v[6:7], v[4:5] op_sel_hi:[1,0]
	v_accvgpr_read_b32 v3, a3
	v_accvgpr_read_b32 v2, a2
	v_pk_mul_f32 v[2:3], v[2:3], v[4:5] op_sel_hi:[1,0]
	v_cndmask_b32_e64 v4, 0, 1.0, vcc
	v_cmp_eq_u32_e32 vcc, 1, v43
	s_nop 0
	v_mfma_f32_4x4x1f32 a[0:3], v6, v4, 0
	v_cndmask_b32_e64 v4, 0, 1.0, vcc
	v_cmp_eq_u32_e32 vcc, 2, v43
	s_nop 0
	v_mfma_f32_4x4x1f32 a[0:3], v7, v4, a[0:3]
	;; [unrolled: 4-line block ×3, first 2 shown]
	v_cndmask_b32_e64 v2, 0, 1.0, vcc
	s_nop 1
	v_mfma_f32_4x4x1f32 a[0:3], v3, v2, a[0:3]
	v_and_b32_e32 v2, -4, v44
	v_subrev_u32_e32 v3, s9, v2
	v_add_u32_e32 v4, 1, v3
	v_cvt_f32_i32_e32 v4, v4
	v_add_u32_e32 v5, 2, v3
	v_cvt_f32_i32_e32 v5, v5
	v_accvgpr_read_b32 v6, a0
	v_fma_f32 v4, v45, v4, v6
	v_accvgpr_read_b32 v6, a1
	v_fma_f32 v5, v45, v5, v6
	v_add_u32_e32 v6, 3, v3
	v_cvt_f32_i32_e32 v6, v6
	v_accvgpr_read_b32 v7, a2
	v_add_u32_e32 v3, 4, v3
	v_cmp_gt_i32_e32 vcc, s9, v2
	v_fma_f32 v7, v45, v6, v7
	v_max_f32_e32 v6, 0xff7fffff, v4
	v_cvt_f32_i32_e32 v3, v3
	v_cndmask_b32_e32 v6, v9, v6, vcc
	v_or_b32_e32 v9, 1, v2
	v_max_f32_e32 v10, v6, v5
	v_cmp_gt_i32_e64 s[4:5], s9, v9
	v_cndmask_b32_e64 v6, v6, v10, s[4:5]
	v_or_b32_e32 v2, 2, v2
	v_accvgpr_read_b32 v8, a3
	v_max_f32_e32 v9, v6, v7
	v_cmp_gt_i32_e64 s[10:11], s9, v2
	v_fmac_f32_e32 v8, v45, v3
	v_cndmask_b32_e64 v2, v6, v9, s[10:11]
	v_or_b32_e32 v6, 3, v44
	v_max_f32_e32 v9, v2, v8
	v_cmp_gt_i32_e64 s[12:13], s9, v6
	v_lshlrev_b32_e32 v3, 2, v0
	v_cndmask_b32_e64 v2, v2, v9, s[12:13]
	v_and_or_b32 v3, v3, 48, v43
	;;#ASMSTART
	v_nop
 v_nop
 v_max_f32_dpp v2, v2, v2 row_ror:4
	;;#ASMEND
	v_lshlrev_b32_e32 v9, 2, v3
	;;#ASMSTART
	v_nop
 v_nop
 v_max_f32_dpp v2, v2, v2 row_ror:8
	;;#ASMEND
	ds_bpermute_b32 v2, v9, v2
	s_waitcnt lgkmcnt(0)
	;;#ASMSTART
	v_nop
 v_nop
 v_max_f32_dpp v2, v2, v2 row_ror:4
	;;#ASMEND
	;;#ASMSTART
	v_nop
 v_nop
 v_max_f32_dpp v6, v2, v2 row_ror:8
	;;#ASMEND
	v_sub_f32_e32 v2, v4, v6
	v_mul_f32_e32 v2, 0x3fb8aa3b, v2
	v_sub_f32_e32 v3, v5, v6
	v_exp_f32_e32 v2, v2
	v_mul_f32_e32 v3, 0x3fb8aa3b, v3
	v_sub_f32_e32 v5, v7, v6
	v_exp_f32_e32 v3, v3
	;; [unrolled: 3-line block ×3, first 2 shown]
	v_mul_f32_e32 v7, 0x3fb8aa3b, v7
	v_exp_f32_e32 v7, v7
	v_cndmask_b32_e32 v2, 0, v2, vcc
	v_add_f32_e32 v4, 0, v2
	v_cndmask_b32_e64 v3, 0, v3, s[4:5]
	v_add_f32_e32 v8, v4, v3
	v_cndmask_b32_e64 v4, 0, v5, s[10:11]
	;; [unrolled: 2-line block ×3, first 2 shown]
	v_add_f32_e32 v7, v8, v5
	;;#ASMSTART
	v_nop
 v_nop
 v_add_f32_dpp v7, v7, v7 row_ror:4
	;;#ASMEND
	;;#ASMSTART
	v_nop
 v_nop
 v_add_f32_dpp v7, v7, v7 row_ror:8
	;;#ASMEND
	ds_bpermute_b32 v7, v9, v7
	s_waitcnt lgkmcnt(0)
	;;#ASMSTART
	v_nop
 v_nop
 v_add_f32_dpp v7, v7, v7 row_ror:4
	;;#ASMEND
	v_cmp_gt_u32_e32 vcc, 4, v1
	;;#ASMSTART
	v_nop
 v_nop
 v_add_f32_dpp v7, v7, v7 row_ror:8
	;;#ASMEND
	s_and_saveexec_b64 s[4:5], vcc
	s_cbranch_execz .LBB467_786
; %bb.785:
	v_mul_u32_u24_e32 v8, 20, v42
	v_lshl_add_u32 v8, v43, 2, v8
	v_add_u32_e32 v8, 0x1400, v8
	ds_write2_b32 v8, v6, v7 offset1:20
.LBB467_786:
	s_or_b64 exec, exec, s[4:5]
.LBB467_787:
	s_or_b64 exec, exec, s[30:31]
	s_waitcnt lgkmcnt(0)
	s_barrier
	s_load_dword s4, s[28:29], 0x8
	v_lshlrev_b32_e32 v7, 2, v43
	v_add_u32_e32 v7, 0x1400, v7
	ds_read2_b32 v[10:11], v7 offset1:5
	ds_read2_b32 v[12:13], v7 offset0:10 offset1:15
	s_mul_i32 s5, s8, s33
	s_waitcnt lgkmcnt(0)
	s_mul_i32 s5, s5, s4
	s_lshl_b32 s4, s5, 1
	s_mov_b32 s5, 0xff7fffff
	v_max3_f32 v8, v10, s5, v11
	v_max3_f32 v8, v8, v12, v13
	v_sub_f32_e32 v9, v10, v8
	v_sub_f32_e32 v10, v11, v8
	ds_read2_b32 v[14:15], v7 offset0:20 offset1:25
	v_mul_f32_e32 v9, 0x3fb8aa3b, v9
	v_mul_f32_e32 v10, 0x3fb8aa3b, v10
	v_exp_f32_e32 v9, v9
	v_exp_f32_e32 v16, v10
	ds_read2_b32 v[10:11], v7 offset0:30 offset1:35
	v_sub_f32_e32 v7, v12, v8
	v_mul_f32_e32 v7, 0x3fb8aa3b, v7
	v_sub_f32_e32 v12, v13, v8
	v_exp_f32_e32 v7, v7
	v_mul_f32_e32 v12, 0x3fb8aa3b, v12
	v_exp_f32_e32 v12, v12
	s_waitcnt lgkmcnt(1)
	v_fma_f32 v9, v9, v14, 0
	v_fmac_f32_e32 v9, v16, v15
	s_waitcnt lgkmcnt(0)
	v_fmac_f32_e32 v9, v7, v10
	v_fmac_f32_e32 v9, v12, v11
	v_cmp_gt_u32_e32 vcc, 2, v43
	s_and_saveexec_b64 s[8:9], vcc
	s_cbranch_execz .LBB467_789
; %bb.788:
	s_mov_b32 s5, 0
	s_lshl_b64 s[10:11], s[4:5], 2
	s_add_u32 s16, s16, s10
	s_mov_b32 s25, s5
	s_addc_u32 s17, s17, s11
	s_lshl_b64 s[12:13], s[24:25], 2
	s_add_u32 s5, s16, s12
	s_addc_u32 s16, s17, s13
	v_or_b32_e32 v7, s42, v43
	s_add_u32 s10, s18, s10
	v_mul_lo_u32 v10, s33, v7
	v_mov_b32_e32 v11, 0
	s_addc_u32 s11, s19, s11
	v_lshlrev_b64 v[10:11], 2, v[10:11]
	s_add_u32 s10, s10, s12
	v_mov_b32_e32 v7, s16
	v_add_co_u32_e32 v12, vcc, s5, v10
	s_addc_u32 s11, s11, s13
	v_addc_co_u32_e32 v13, vcc, v7, v11, vcc
	v_mov_b32_e32 v7, s11
	v_add_co_u32_e32 v10, vcc, s10, v10
	v_addc_co_u32_e32 v11, vcc, v7, v11, vcc
	global_store_dword v[10:11], v8, off
	global_store_dword v[12:13], v9, off
.LBB467_789:
	s_or_b64 exec, exec, s[8:9]
	v_lshlrev_b32_e32 v7, 3, v42
	s_and_saveexec_b64 s[8:9], s[6:7]
	s_xor_b64 s[6:7], exec, s[8:9]
	s_cbranch_execz .LBB467_791
; %bb.790:
	s_mov_b32 s8, 0
	s_mov_b32 s9, s8
	v_mad_u32_u24 v4, v1, 40, v7
	v_pk_mov_b32 v[2:3], s[8:9], s[8:9] op_sel:[0,1]
	ds_write2st64_b64 v4, v[2:3], v[2:3] offset1:5
                                        ; implicit-def: $vgpr7
                                        ; implicit-def: $vgpr6
                                        ; implicit-def: $vgpr8
                                        ; implicit-def: $vgpr9
                                        ; implicit-def: $vgpr4
                                        ; implicit-def: $vgpr2
.LBB467_791:
	s_andn2_saveexec_b64 s[6:7], s[6:7]
	s_cbranch_execz .LBB467_1178
; %bb.792:
	v_add_f32_e32 v9, 0x358637bd, v9
	v_div_scale_f32 v10, s[8:9], v9, v9, 1.0
	v_rcp_f32_e32 v11, v10
	v_sub_f32_e32 v6, v6, v8
	v_mul_f32_e32 v6, 0x3fb8aa3b, v6
	v_exp_f32_e32 v6, v6
	v_fma_f32 v8, -v10, v11, 1.0
	v_fmac_f32_e32 v11, v8, v11
	v_div_scale_f32 v8, vcc, 1.0, v9, 1.0
	v_mul_f32_e32 v12, v8, v11
	v_fma_f32 v13, -v10, v12, v8
	v_fmac_f32_e32 v12, v13, v11
	v_fma_f32 v8, -v10, v12, v8
	v_div_fmas_f32 v8, v8, v11, v12
	v_div_fixup_f32 v8, v8, v9, 1.0
	v_mul_f32_e32 v6, v6, v8
	v_pk_mul_f32 v[4:5], v[4:5], v[6:7] op_sel_hi:[1,0]
	v_pk_mul_f32 v[2:3], v[2:3], v[6:7] op_sel_hi:[1,0]
	s_load_dword s8, s[14:15], 0x0
	v_cvt_f16_f32_e32 v2, v2
	v_cvt_f16_f32_e32 v3, v3
	;; [unrolled: 1-line block ×4, first 2 shown]
	v_mov_b32_e32 v11, 0
	v_add_u32_e32 v5, 64, v11
	v_pack_b32_f16 v2, v2, v3
	v_pack_b32_f16 v3, v4, v6
	s_waitcnt lgkmcnt(0)
	s_mov_b32 s9, s8
	s_mov_b32 s10, s8
	;; [unrolled: 1-line block ×4, first 2 shown]
	s_mov_b64 s[12:13], -1
	s_movk_i32 s5, 0x80
	s_movk_i32 s21, 0x7f
	s_mov_b32 s22, 0xffffff
	v_mov_b32_e32 v9, 0
	v_bfrev_b32_e32 v10, 60
	s_branch .LBB467_796
.LBB467_793:                            ;   in Loop: Header=BB467_796 Depth=1
	s_or_b64 exec, exec, s[18:19]
.LBB467_794:                            ;   in Loop: Header=BB467_796 Depth=1
	s_or_b64 exec, exec, s[16:17]
.LBB467_795:                            ;   in Loop: Header=BB467_796 Depth=1
	s_or_b64 exec, exec, s[14:15]
	v_cvt_pkrtz_f16_f32 v12, v13, v12
	v_cvt_pkrtz_f16_f32 v13, v11, v15
	;; [unrolled: 1-line block ×4, first 2 shown]
	v_mfma_f32_4x4x4f16 a[0:3], v[2:3], v[12:13], a[0:3] cbsz:4 abid:14
	s_mul_i32 s14, s20, 0xa00
	v_mfma_f32_4x4x4f16 a[0:3], v[2:3], v[14:15], a[0:3] cbsz:4 abid:15
	s_mov_b32 s20, 1
	s_nop 3
	v_accvgpr_read_b32 v15, a1
	v_accvgpr_read_b32 v14, a0
	v_pk_mul_f32 v[14:15], v[14:15], s[8:9]
	v_accvgpr_read_b32 v13, a3
	v_accvgpr_read_b32 v12, a2
	v_cvt_f16_f32_e32 v4, v14
	v_cvt_f16_f32_e32 v6, v15
	v_pk_mul_f32 v[12:13], v[12:13], s[10:11]
	v_cvt_f16_f32_e32 v8, v12
	v_cvt_f16_f32_e32 v11, v13
	v_pack_b32_f16 v12, v4, v6
	v_mul_u32_u24_e32 v4, 40, v1
	v_add3_u32 v4, s14, v4, v7
	s_xor_b64 s[14:15], s[12:13], -1
	v_pack_b32_f16 v13, v8, v11
	s_mov_b64 s[12:13], 0
	s_andn2_b64 vcc, exec, s[14:15]
	v_mov_b32_e32 v11, v5
	ds_write_b64 v4, v[12:13]
	s_cbranch_vccz .LBB467_1178
.LBB467_796:                            ; =>This Inner Loop Header: Depth=1
	buffer_load_dword v6, v11, s[0:3], 0 offen
	buffer_load_dword v4, v11, s[0:3], 0 offen offset:4
	v_mov_b32_e32 v13, 0
	s_waitcnt vmcnt(1)
	v_cmp_ne_u16_sdwa s[16:17], v6, v9 src0_sel:BYTE_0 src1_sel:DWORD
	s_and_saveexec_b64 s[14:15], s[16:17]
	s_cbranch_execz .LBB467_802
; %bb.797:                              ;   in Loop: Header=BB467_796 Depth=1
	v_cmp_ne_u16_sdwa s[18:19], v6, s5 src0_sel:BYTE_0 src1_sel:DWORD
	v_bfrev_b32_e32 v13, 1
	s_and_saveexec_b64 s[16:17], s[18:19]
	s_cbranch_execz .LBB467_801
; %bb.798:                              ;   in Loop: Header=BB467_796 Depth=1
	v_and_b32_e32 v8, 0x7f, v6
	v_cmp_ne_u32_e32 vcc, s21, v8
	v_mov_b32_e32 v13, 0x7f800001
	s_and_saveexec_b64 s[18:19], vcc
	s_cbranch_execz .LBB467_800
; %bb.799:                              ;   in Loop: Header=BB467_796 Depth=1
	v_and_b32_e32 v14, 7, v6
	v_ffbh_u32_e32 v12, v14
	v_min_u32_e32 v16, 32, v12
	v_subrev_u32_e32 v12, 28, v16
	v_lshlrev_b64 v[12:13], v12, v[6:7]
	v_lshrrev_b32_e32 v15, 3, v8
	v_sub_u32_e32 v13, 29, v16
	v_and_b32_e32 v12, 7, v12
	v_cmp_gt_u32_e32 vcc, 8, v8
	v_cndmask_b32_e32 v8, v15, v13, vcc
	v_cndmask_b32_e32 v12, v14, v12, vcc
	v_lshlrev_b32_e32 v13, 24, v6
	v_lshlrev_b32_e32 v12, 20, v12
	v_and_b32_e32 v13, 0x80000000, v13
	v_lshl_add_u32 v8, v8, 23, v10
	v_or3_b32 v13, v13, v8, v12
.LBB467_800:                            ;   in Loop: Header=BB467_796 Depth=1
	s_or_b64 exec, exec, s[18:19]
.LBB467_801:                            ;   in Loop: Header=BB467_796 Depth=1
	s_or_b64 exec, exec, s[16:17]
.LBB467_802:                            ;   in Loop: Header=BB467_796 Depth=1
	s_or_b64 exec, exec, s[14:15]
	v_lshrrev_b16_e32 v8, 8, v6
	v_cmp_ne_u16_e32 vcc, 0, v8
	v_mov_b32_e32 v14, 0
	v_mov_b32_e32 v15, 0
	s_and_saveexec_b64 s[14:15], vcc
	s_cbranch_execz .LBB467_808
; %bb.803:                              ;   in Loop: Header=BB467_796 Depth=1
	v_cmp_ne_u16_e32 vcc, s5, v8
	v_bfrev_b32_e32 v15, 1
	s_and_saveexec_b64 s[16:17], vcc
	s_cbranch_execz .LBB467_807
; %bb.804:                              ;   in Loop: Header=BB467_796 Depth=1
	v_and_b32_e32 v12, 0x7f, v8
	v_cmp_ne_u32_e32 vcc, s21, v12
	v_mov_b32_e32 v15, 0x7f800001
	s_and_saveexec_b64 s[18:19], vcc
	s_cbranch_execz .LBB467_806
; %bb.805:                              ;   in Loop: Header=BB467_796 Depth=1
	v_and_b32_e32 v15, 7, v8
	v_ffbh_u32_e32 v16, v15
	v_min_u32_e32 v19, 32, v16
	v_subrev_u32_e32 v16, 28, v19
	v_lshlrev_b64 v[16:17], v16, v[8:9]
	v_lshrrev_b32_e32 v18, 3, v12
	v_sub_u32_e32 v8, 29, v19
	v_and_b32_e32 v16, 7, v16
	v_cmp_gt_u32_e32 vcc, 8, v12
	v_cndmask_b32_e32 v8, v18, v8, vcc
	v_cndmask_b32_e32 v12, v15, v16, vcc
	v_lshlrev_b32_e32 v15, 16, v6
	v_lshlrev_b32_e32 v12, 20, v12
	v_and_b32_e32 v15, 0x80000000, v15
	v_lshl_add_u32 v8, v8, 23, v10
	v_or3_b32 v15, v15, v8, v12
.LBB467_806:                            ;   in Loop: Header=BB467_796 Depth=1
	s_or_b64 exec, exec, s[18:19]
.LBB467_807:                            ;   in Loop: Header=BB467_796 Depth=1
	s_or_b64 exec, exec, s[16:17]
.LBB467_808:                            ;   in Loop: Header=BB467_796 Depth=1
	s_or_b64 exec, exec, s[14:15]
	v_lshrrev_b32_e32 v8, 16, v6
	v_cmp_ne_u16_sdwa s[16:17], v8, v9 src0_sel:BYTE_0 src1_sel:DWORD
	s_and_saveexec_b64 s[14:15], s[16:17]
	s_cbranch_execz .LBB467_814
; %bb.809:                              ;   in Loop: Header=BB467_796 Depth=1
	v_cmp_ne_u16_sdwa s[18:19], v8, s5 src0_sel:BYTE_0 src1_sel:DWORD
	v_bfrev_b32_e32 v14, 1
	s_and_saveexec_b64 s[16:17], s[18:19]
	s_cbranch_execz .LBB467_813
; %bb.810:                              ;   in Loop: Header=BB467_796 Depth=1
	v_bfe_u32 v12, v6, 16, 7
	v_cmp_ne_u32_e32 vcc, s21, v12
	v_mov_b32_e32 v14, 0x7f800001
	s_and_saveexec_b64 s[18:19], vcc
	s_cbranch_execz .LBB467_812
; %bb.811:                              ;   in Loop: Header=BB467_796 Depth=1
	v_and_b32_e32 v14, 7, v8
	v_ffbh_u32_e32 v16, v14
	v_min_u32_e32 v19, 32, v16
	v_subrev_u32_e32 v16, 28, v19
	v_lshlrev_b64 v[16:17], v16, v[8:9]
	v_lshrrev_b32_e32 v18, 3, v12
	v_sub_u32_e32 v17, 29, v19
	v_and_b32_e32 v16, 7, v16
	v_cmp_gt_u32_e32 vcc, 8, v12
	v_cndmask_b32_e32 v12, v18, v17, vcc
	v_cndmask_b32_e32 v14, v14, v16, vcc
	v_lshlrev_b32_e32 v8, 24, v8
	v_lshlrev_b32_e32 v14, 20, v14
	v_and_b32_e32 v8, 0x80000000, v8
	v_lshl_add_u32 v12, v12, 23, v10
	v_or3_b32 v14, v8, v12, v14
.LBB467_812:                            ;   in Loop: Header=BB467_796 Depth=1
	s_or_b64 exec, exec, s[18:19]
.LBB467_813:                            ;   in Loop: Header=BB467_796 Depth=1
	s_or_b64 exec, exec, s[16:17]
.LBB467_814:                            ;   in Loop: Header=BB467_796 Depth=1
	s_or_b64 exec, exec, s[14:15]
	v_cmp_lt_u32_e32 vcc, s22, v6
	v_mov_b32_e32 v16, 0
	v_mov_b32_e32 v17, 0
	s_and_saveexec_b64 s[14:15], vcc
	s_cbranch_execz .LBB467_820
; %bb.815:                              ;   in Loop: Header=BB467_796 Depth=1
	v_lshrrev_b32_e32 v8, 24, v6
	v_cmp_ne_u32_e32 vcc, s5, v8
	v_bfrev_b32_e32 v17, 1
	s_and_saveexec_b64 s[16:17], vcc
	s_cbranch_execz .LBB467_819
; %bb.816:                              ;   in Loop: Header=BB467_796 Depth=1
	v_bfe_u32 v6, v6, 24, 7
	v_cmp_ne_u32_e32 vcc, s21, v6
	v_mov_b32_e32 v17, 0x7f800001
	s_and_saveexec_b64 s[18:19], vcc
	s_cbranch_execz .LBB467_818
; %bb.817:                              ;   in Loop: Header=BB467_796 Depth=1
	v_and_b32_e32 v12, 7, v8
	v_ffbh_u32_e32 v18, v12
	v_min_u32_e32 v20, 32, v18
	v_subrev_u32_e32 v18, 28, v20
	v_lshlrev_b64 v[18:19], v18, v[8:9]
	v_lshrrev_b32_e32 v17, 3, v6
	v_sub_u32_e32 v19, 29, v20
	v_and_b32_e32 v18, 7, v18
	v_cmp_gt_u32_e32 vcc, 8, v6
	v_cndmask_b32_e32 v6, v17, v19, vcc
	v_cndmask_b32_e32 v12, v12, v18, vcc
	v_lshlrev_b32_e32 v8, 24, v8
	v_lshlrev_b32_e32 v12, 20, v12
	v_and_b32_e32 v8, 0x80000000, v8
	v_lshl_add_u32 v6, v6, 23, v10
	v_or3_b32 v17, v8, v6, v12
.LBB467_818:                            ;   in Loop: Header=BB467_796 Depth=1
	s_or_b64 exec, exec, s[18:19]
.LBB467_819:                            ;   in Loop: Header=BB467_796 Depth=1
	s_or_b64 exec, exec, s[16:17]
.LBB467_820:                            ;   in Loop: Header=BB467_796 Depth=1
	s_or_b64 exec, exec, s[14:15]
	s_waitcnt vmcnt(0)
	v_cmp_ne_u16_sdwa s[16:17], v4, v9 src0_sel:BYTE_0 src1_sel:DWORD
	s_and_saveexec_b64 s[14:15], s[16:17]
	s_cbranch_execz .LBB467_826
; %bb.821:                              ;   in Loop: Header=BB467_796 Depth=1
	v_cmp_ne_u16_sdwa s[18:19], v4, s5 src0_sel:BYTE_0 src1_sel:DWORD
	v_bfrev_b32_e32 v16, 1
	s_and_saveexec_b64 s[16:17], s[18:19]
	s_cbranch_execz .LBB467_825
; %bb.822:                              ;   in Loop: Header=BB467_796 Depth=1
	v_and_b32_e32 v6, 0x7f, v4
	v_cmp_ne_u32_e32 vcc, s21, v6
	v_mov_b32_e32 v16, 0x7f800001
	s_and_saveexec_b64 s[18:19], vcc
	s_cbranch_execz .LBB467_824
; %bb.823:                              ;   in Loop: Header=BB467_796 Depth=1
	v_and_b32_e32 v8, 7, v4
	v_ffbh_u32_e32 v16, v8
	v_min_u32_e32 v16, 32, v16
	v_subrev_u32_e32 v18, 28, v16
	v_lshlrev_b64 v[18:19], v18, v[4:5]
	v_lshrrev_b32_e32 v12, 3, v6
	v_sub_u32_e32 v16, 29, v16
	v_and_b32_e32 v18, 7, v18
	v_cmp_gt_u32_e32 vcc, 8, v6
	v_cndmask_b32_e32 v6, v12, v16, vcc
	v_cndmask_b32_e32 v8, v8, v18, vcc
	v_lshlrev_b32_e32 v12, 24, v4
	v_lshlrev_b32_e32 v8, 20, v8
	v_and_b32_e32 v12, 0x80000000, v12
	v_lshl_add_u32 v6, v6, 23, v10
	v_or3_b32 v16, v12, v6, v8
.LBB467_824:                            ;   in Loop: Header=BB467_796 Depth=1
	s_or_b64 exec, exec, s[18:19]
.LBB467_825:                            ;   in Loop: Header=BB467_796 Depth=1
	s_or_b64 exec, exec, s[16:17]
.LBB467_826:                            ;   in Loop: Header=BB467_796 Depth=1
	s_or_b64 exec, exec, s[14:15]
	v_lshrrev_b16_e32 v6, 8, v4
	v_cmp_ne_u16_e32 vcc, 0, v6
	v_mov_b32_e32 v8, 0
	v_mov_b32_e32 v18, 0
	s_and_saveexec_b64 s[14:15], vcc
	s_cbranch_execz .LBB467_832
; %bb.827:                              ;   in Loop: Header=BB467_796 Depth=1
	v_cmp_ne_u16_e32 vcc, s5, v6
	v_bfrev_b32_e32 v18, 1
	s_and_saveexec_b64 s[16:17], vcc
	s_cbranch_execz .LBB467_831
; %bb.828:                              ;   in Loop: Header=BB467_796 Depth=1
	v_and_b32_e32 v12, 0x7f, v6
	v_cmp_ne_u32_e32 vcc, s21, v12
	v_mov_b32_e32 v18, 0x7f800001
	s_and_saveexec_b64 s[18:19], vcc
	s_cbranch_execz .LBB467_830
; %bb.829:                              ;   in Loop: Header=BB467_796 Depth=1
	v_and_b32_e32 v20, 7, v6
	v_ffbh_u32_e32 v18, v20
	v_min_u32_e32 v22, 32, v18
	v_subrev_u32_e32 v18, 28, v22
	v_lshlrev_b64 v[18:19], v18, v[6:7]
	v_lshrrev_b32_e32 v21, 3, v12
	v_sub_u32_e32 v6, 29, v22
	v_and_b32_e32 v18, 7, v18
	v_cmp_gt_u32_e32 vcc, 8, v12
	v_cndmask_b32_e32 v6, v21, v6, vcc
	v_cndmask_b32_e32 v12, v20, v18, vcc
	v_lshlrev_b32_e32 v18, 16, v4
	v_lshlrev_b32_e32 v12, 20, v12
	v_and_b32_e32 v18, 0x80000000, v18
	v_lshl_add_u32 v6, v6, 23, v10
	v_or3_b32 v18, v18, v6, v12
.LBB467_830:                            ;   in Loop: Header=BB467_796 Depth=1
	s_or_b64 exec, exec, s[18:19]
.LBB467_831:                            ;   in Loop: Header=BB467_796 Depth=1
	s_or_b64 exec, exec, s[16:17]
.LBB467_832:                            ;   in Loop: Header=BB467_796 Depth=1
	s_or_b64 exec, exec, s[14:15]
	v_lshrrev_b32_e32 v6, 16, v4
	v_cmp_ne_u16_sdwa s[16:17], v6, v9 src0_sel:BYTE_0 src1_sel:DWORD
	s_and_saveexec_b64 s[14:15], s[16:17]
	s_cbranch_execz .LBB467_838
; %bb.833:                              ;   in Loop: Header=BB467_796 Depth=1
	v_cmp_ne_u16_sdwa s[18:19], v6, s5 src0_sel:BYTE_0 src1_sel:DWORD
	v_bfrev_b32_e32 v8, 1
	s_and_saveexec_b64 s[16:17], s[18:19]
	s_cbranch_execz .LBB467_837
; %bb.834:                              ;   in Loop: Header=BB467_796 Depth=1
	v_bfe_u32 v12, v4, 16, 7
	v_cmp_ne_u32_e32 vcc, s21, v12
	v_mov_b32_e32 v8, 0x7f800001
	s_and_saveexec_b64 s[18:19], vcc
	s_cbranch_execz .LBB467_836
; %bb.835:                              ;   in Loop: Header=BB467_796 Depth=1
	v_and_b32_e32 v8, 7, v6
	v_ffbh_u32_e32 v20, v8
	v_min_u32_e32 v22, 32, v20
	v_subrev_u32_e32 v20, 28, v22
	v_lshlrev_b64 v[20:21], v20, v[6:7]
	v_lshrrev_b32_e32 v19, 3, v12
	v_sub_u32_e32 v21, 29, v22
	v_and_b32_e32 v20, 7, v20
	v_cmp_gt_u32_e32 vcc, 8, v12
	v_cndmask_b32_e32 v12, v19, v21, vcc
	v_cndmask_b32_e32 v8, v8, v20, vcc
	v_lshlrev_b32_e32 v6, 24, v6
	v_lshlrev_b32_e32 v8, 20, v8
	v_and_b32_e32 v6, 0x80000000, v6
	v_lshl_add_u32 v12, v12, 23, v10
	v_or3_b32 v8, v6, v12, v8
.LBB467_836:                            ;   in Loop: Header=BB467_796 Depth=1
	s_or_b64 exec, exec, s[18:19]
.LBB467_837:                            ;   in Loop: Header=BB467_796 Depth=1
	s_or_b64 exec, exec, s[16:17]
.LBB467_838:                            ;   in Loop: Header=BB467_796 Depth=1
	s_or_b64 exec, exec, s[14:15]
	v_cmp_lt_u32_e32 vcc, s22, v4
	v_mov_b32_e32 v12, 0
	v_mov_b32_e32 v19, 0
	s_and_saveexec_b64 s[14:15], vcc
	s_cbranch_execz .LBB467_844
; %bb.839:                              ;   in Loop: Header=BB467_796 Depth=1
	v_lshrrev_b32_e32 v6, 24, v4
	v_cmp_ne_u32_e32 vcc, s5, v6
	v_bfrev_b32_e32 v19, 1
	s_and_saveexec_b64 s[16:17], vcc
	s_cbranch_execz .LBB467_843
; %bb.840:                              ;   in Loop: Header=BB467_796 Depth=1
	v_bfe_u32 v4, v4, 24, 7
	v_cmp_ne_u32_e32 vcc, s21, v4
	v_mov_b32_e32 v19, 0x7f800001
	s_and_saveexec_b64 s[18:19], vcc
	s_cbranch_execz .LBB467_842
; %bb.841:                              ;   in Loop: Header=BB467_796 Depth=1
	v_and_b32_e32 v19, 7, v6
	v_ffbh_u32_e32 v20, v19
	v_min_u32_e32 v23, 32, v20
	v_subrev_u32_e32 v20, 28, v23
	v_lshlrev_b64 v[20:21], v20, v[6:7]
	v_lshrrev_b32_e32 v22, 3, v4
	v_sub_u32_e32 v21, 29, v23
	v_and_b32_e32 v20, 7, v20
	v_cmp_gt_u32_e32 vcc, 8, v4
	v_cndmask_b32_e32 v4, v22, v21, vcc
	v_cndmask_b32_e32 v19, v19, v20, vcc
	v_lshlrev_b32_e32 v6, 24, v6
	v_lshlrev_b32_e32 v19, 20, v19
	v_and_b32_e32 v6, 0x80000000, v6
	v_lshl_add_u32 v4, v4, 23, v10
	v_or3_b32 v19, v6, v4, v19
.LBB467_842:                            ;   in Loop: Header=BB467_796 Depth=1
	s_or_b64 exec, exec, s[18:19]
.LBB467_843:                            ;   in Loop: Header=BB467_796 Depth=1
	s_or_b64 exec, exec, s[16:17]
.LBB467_844:                            ;   in Loop: Header=BB467_796 Depth=1
	s_or_b64 exec, exec, s[14:15]
	buffer_load_dword v6, v11, s[0:3], 0 offen offset:8
	buffer_load_dword v4, v11, s[0:3], 0 offen offset:12
	v_cvt_pkrtz_f16_f32 v20, v13, v15
	v_cvt_pkrtz_f16_f32 v21, v14, v17
	;; [unrolled: 1-line block ×4, first 2 shown]
	v_mfma_f32_4x4x4f16 a[0:3], v[2:3], v[20:21], 0 cbsz:4
	s_waitcnt vmcnt(1)
	v_cmp_ne_u16_sdwa s[16:17], v6, v9 src0_sel:BYTE_0 src1_sel:DWORD
	v_mfma_f32_4x4x4f16 a[0:3], v[2:3], v[14:15], a[0:3] cbsz:4 abid:1
	s_and_saveexec_b64 s[14:15], s[16:17]
	s_cbranch_execz .LBB467_850
; %bb.845:                              ;   in Loop: Header=BB467_796 Depth=1
	v_cmp_ne_u16_sdwa s[18:19], v6, s5 src0_sel:BYTE_0 src1_sel:DWORD
	v_bfrev_b32_e32 v12, 1
	s_and_saveexec_b64 s[16:17], s[18:19]
	s_cbranch_execz .LBB467_849
; %bb.846:                              ;   in Loop: Header=BB467_796 Depth=1
	v_and_b32_e32 v8, 0x7f, v6
	v_cmp_ne_u32_e32 vcc, s21, v8
	v_mov_b32_e32 v12, 0x7f800001
	s_and_saveexec_b64 s[18:19], vcc
	s_cbranch_execz .LBB467_848
; %bb.847:                              ;   in Loop: Header=BB467_796 Depth=1
	v_and_b32_e32 v14, 7, v6
	v_ffbh_u32_e32 v12, v14
	v_min_u32_e32 v16, 32, v12
	v_subrev_u32_e32 v12, 28, v16
	v_lshlrev_b64 v[12:13], v12, v[6:7]
	v_lshrrev_b32_e32 v15, 3, v8
	v_sub_u32_e32 v13, 29, v16
	v_and_b32_e32 v12, 7, v12
	v_cmp_gt_u32_e32 vcc, 8, v8
	v_cndmask_b32_e32 v8, v15, v13, vcc
	v_cndmask_b32_e32 v12, v14, v12, vcc
	v_lshlrev_b32_e32 v13, 24, v6
	v_lshlrev_b32_e32 v12, 20, v12
	v_and_b32_e32 v13, 0x80000000, v13
	v_lshl_add_u32 v8, v8, 23, v10
	v_or3_b32 v12, v13, v8, v12
.LBB467_848:                            ;   in Loop: Header=BB467_796 Depth=1
	s_or_b64 exec, exec, s[18:19]
.LBB467_849:                            ;   in Loop: Header=BB467_796 Depth=1
	s_or_b64 exec, exec, s[16:17]
.LBB467_850:                            ;   in Loop: Header=BB467_796 Depth=1
	s_or_b64 exec, exec, s[14:15]
	v_lshrrev_b16_e32 v8, 8, v6
	v_cmp_ne_u16_e32 vcc, 0, v8
	v_mov_b32_e32 v14, 0
	v_mov_b32_e32 v15, 0
	s_and_saveexec_b64 s[14:15], vcc
	s_cbranch_execz .LBB467_856
; %bb.851:                              ;   in Loop: Header=BB467_796 Depth=1
	v_cmp_ne_u16_e32 vcc, s5, v8
	v_bfrev_b32_e32 v15, 1
	s_and_saveexec_b64 s[16:17], vcc
	s_cbranch_execz .LBB467_855
; %bb.852:                              ;   in Loop: Header=BB467_796 Depth=1
	v_and_b32_e32 v13, 0x7f, v8
	v_cmp_ne_u32_e32 vcc, s21, v13
	v_mov_b32_e32 v15, 0x7f800001
	s_and_saveexec_b64 s[18:19], vcc
	s_cbranch_execz .LBB467_854
; %bb.853:                              ;   in Loop: Header=BB467_796 Depth=1
	v_and_b32_e32 v15, 7, v8
	v_ffbh_u32_e32 v16, v15
	v_min_u32_e32 v19, 32, v16
	v_subrev_u32_e32 v16, 28, v19
	v_lshlrev_b64 v[16:17], v16, v[8:9]
	v_lshrrev_b32_e32 v18, 3, v13
	v_sub_u32_e32 v8, 29, v19
	v_and_b32_e32 v16, 7, v16
	v_cmp_gt_u32_e32 vcc, 8, v13
	v_cndmask_b32_e32 v8, v18, v8, vcc
	v_cndmask_b32_e32 v13, v15, v16, vcc
	v_lshlrev_b32_e32 v15, 16, v6
	v_lshlrev_b32_e32 v13, 20, v13
	v_and_b32_e32 v15, 0x80000000, v15
	v_lshl_add_u32 v8, v8, 23, v10
	v_or3_b32 v15, v15, v8, v13
.LBB467_854:                            ;   in Loop: Header=BB467_796 Depth=1
	s_or_b64 exec, exec, s[18:19]
.LBB467_855:                            ;   in Loop: Header=BB467_796 Depth=1
	s_or_b64 exec, exec, s[16:17]
.LBB467_856:                            ;   in Loop: Header=BB467_796 Depth=1
	s_or_b64 exec, exec, s[14:15]
	v_lshrrev_b32_e32 v8, 16, v6
	v_cmp_ne_u16_sdwa s[16:17], v8, v9 src0_sel:BYTE_0 src1_sel:DWORD
	s_and_saveexec_b64 s[14:15], s[16:17]
	s_cbranch_execz .LBB467_862
; %bb.857:                              ;   in Loop: Header=BB467_796 Depth=1
	v_cmp_ne_u16_sdwa s[18:19], v8, s5 src0_sel:BYTE_0 src1_sel:DWORD
	v_bfrev_b32_e32 v14, 1
	s_and_saveexec_b64 s[16:17], s[18:19]
	s_cbranch_execz .LBB467_861
; %bb.858:                              ;   in Loop: Header=BB467_796 Depth=1
	v_bfe_u32 v13, v6, 16, 7
	v_cmp_ne_u32_e32 vcc, s21, v13
	v_mov_b32_e32 v14, 0x7f800001
	s_and_saveexec_b64 s[18:19], vcc
	s_cbranch_execz .LBB467_860
; %bb.859:                              ;   in Loop: Header=BB467_796 Depth=1
	v_and_b32_e32 v14, 7, v8
	v_ffbh_u32_e32 v16, v14
	v_min_u32_e32 v19, 32, v16
	v_subrev_u32_e32 v16, 28, v19
	v_lshlrev_b64 v[16:17], v16, v[8:9]
	v_lshrrev_b32_e32 v18, 3, v13
	v_sub_u32_e32 v17, 29, v19
	v_and_b32_e32 v16, 7, v16
	v_cmp_gt_u32_e32 vcc, 8, v13
	v_cndmask_b32_e32 v13, v18, v17, vcc
	v_cndmask_b32_e32 v14, v14, v16, vcc
	v_lshlrev_b32_e32 v8, 24, v8
	v_lshlrev_b32_e32 v14, 20, v14
	v_and_b32_e32 v8, 0x80000000, v8
	v_lshl_add_u32 v13, v13, 23, v10
	v_or3_b32 v14, v8, v13, v14
.LBB467_860:                            ;   in Loop: Header=BB467_796 Depth=1
	s_or_b64 exec, exec, s[18:19]
.LBB467_861:                            ;   in Loop: Header=BB467_796 Depth=1
	s_or_b64 exec, exec, s[16:17]
.LBB467_862:                            ;   in Loop: Header=BB467_796 Depth=1
	s_or_b64 exec, exec, s[14:15]
	v_cmp_lt_u32_e32 vcc, s22, v6
	v_mov_b32_e32 v16, 0
	v_mov_b32_e32 v17, 0
	s_and_saveexec_b64 s[14:15], vcc
	s_cbranch_execz .LBB467_868
; %bb.863:                              ;   in Loop: Header=BB467_796 Depth=1
	v_lshrrev_b32_e32 v8, 24, v6
	v_cmp_ne_u32_e32 vcc, s5, v8
	v_bfrev_b32_e32 v17, 1
	s_and_saveexec_b64 s[16:17], vcc
	s_cbranch_execz .LBB467_867
; %bb.864:                              ;   in Loop: Header=BB467_796 Depth=1
	v_bfe_u32 v6, v6, 24, 7
	v_cmp_ne_u32_e32 vcc, s21, v6
	v_mov_b32_e32 v17, 0x7f800001
	s_and_saveexec_b64 s[18:19], vcc
	s_cbranch_execz .LBB467_866
; %bb.865:                              ;   in Loop: Header=BB467_796 Depth=1
	v_and_b32_e32 v13, 7, v8
	v_ffbh_u32_e32 v18, v13
	v_min_u32_e32 v20, 32, v18
	v_subrev_u32_e32 v18, 28, v20
	v_lshlrev_b64 v[18:19], v18, v[8:9]
	v_lshrrev_b32_e32 v17, 3, v6
	v_sub_u32_e32 v19, 29, v20
	v_and_b32_e32 v18, 7, v18
	v_cmp_gt_u32_e32 vcc, 8, v6
	v_cndmask_b32_e32 v6, v17, v19, vcc
	v_cndmask_b32_e32 v13, v13, v18, vcc
	v_lshlrev_b32_e32 v8, 24, v8
	v_lshlrev_b32_e32 v13, 20, v13
	v_and_b32_e32 v8, 0x80000000, v8
	v_lshl_add_u32 v6, v6, 23, v10
	v_or3_b32 v17, v8, v6, v13
.LBB467_866:                            ;   in Loop: Header=BB467_796 Depth=1
	s_or_b64 exec, exec, s[18:19]
.LBB467_867:                            ;   in Loop: Header=BB467_796 Depth=1
	s_or_b64 exec, exec, s[16:17]
.LBB467_868:                            ;   in Loop: Header=BB467_796 Depth=1
	s_or_b64 exec, exec, s[14:15]
	s_waitcnt vmcnt(0)
	v_cmp_ne_u16_sdwa s[16:17], v4, v9 src0_sel:BYTE_0 src1_sel:DWORD
	s_and_saveexec_b64 s[14:15], s[16:17]
	s_cbranch_execz .LBB467_874
; %bb.869:                              ;   in Loop: Header=BB467_796 Depth=1
	v_cmp_ne_u16_sdwa s[18:19], v4, s5 src0_sel:BYTE_0 src1_sel:DWORD
	v_bfrev_b32_e32 v16, 1
	s_and_saveexec_b64 s[16:17], s[18:19]
	s_cbranch_execz .LBB467_873
; %bb.870:                              ;   in Loop: Header=BB467_796 Depth=1
	v_and_b32_e32 v6, 0x7f, v4
	v_cmp_ne_u32_e32 vcc, s21, v6
	v_mov_b32_e32 v16, 0x7f800001
	s_and_saveexec_b64 s[18:19], vcc
	s_cbranch_execz .LBB467_872
; %bb.871:                              ;   in Loop: Header=BB467_796 Depth=1
	v_and_b32_e32 v8, 7, v4
	v_ffbh_u32_e32 v16, v8
	v_min_u32_e32 v16, 32, v16
	v_subrev_u32_e32 v18, 28, v16
	v_lshlrev_b64 v[18:19], v18, v[4:5]
	v_lshrrev_b32_e32 v13, 3, v6
	v_sub_u32_e32 v16, 29, v16
	v_and_b32_e32 v18, 7, v18
	v_cmp_gt_u32_e32 vcc, 8, v6
	v_cndmask_b32_e32 v6, v13, v16, vcc
	v_cndmask_b32_e32 v8, v8, v18, vcc
	v_lshlrev_b32_e32 v13, 24, v4
	v_lshlrev_b32_e32 v8, 20, v8
	v_and_b32_e32 v13, 0x80000000, v13
	v_lshl_add_u32 v6, v6, 23, v10
	v_or3_b32 v16, v13, v6, v8
.LBB467_872:                            ;   in Loop: Header=BB467_796 Depth=1
	s_or_b64 exec, exec, s[18:19]
.LBB467_873:                            ;   in Loop: Header=BB467_796 Depth=1
	s_or_b64 exec, exec, s[16:17]
.LBB467_874:                            ;   in Loop: Header=BB467_796 Depth=1
	s_or_b64 exec, exec, s[14:15]
	v_lshrrev_b16_e32 v6, 8, v4
	v_cmp_ne_u16_e32 vcc, 0, v6
	v_mov_b32_e32 v8, 0
	v_mov_b32_e32 v18, 0
	s_and_saveexec_b64 s[14:15], vcc
	s_cbranch_execz .LBB467_880
; %bb.875:                              ;   in Loop: Header=BB467_796 Depth=1
	v_cmp_ne_u16_e32 vcc, s5, v6
	v_bfrev_b32_e32 v18, 1
	s_and_saveexec_b64 s[16:17], vcc
	s_cbranch_execz .LBB467_879
; %bb.876:                              ;   in Loop: Header=BB467_796 Depth=1
	v_and_b32_e32 v13, 0x7f, v6
	v_cmp_ne_u32_e32 vcc, s21, v13
	v_mov_b32_e32 v18, 0x7f800001
	s_and_saveexec_b64 s[18:19], vcc
	s_cbranch_execz .LBB467_878
; %bb.877:                              ;   in Loop: Header=BB467_796 Depth=1
	v_and_b32_e32 v20, 7, v6
	v_ffbh_u32_e32 v18, v20
	v_min_u32_e32 v22, 32, v18
	v_subrev_u32_e32 v18, 28, v22
	v_lshlrev_b64 v[18:19], v18, v[6:7]
	v_lshrrev_b32_e32 v21, 3, v13
	v_sub_u32_e32 v6, 29, v22
	v_and_b32_e32 v18, 7, v18
	v_cmp_gt_u32_e32 vcc, 8, v13
	v_cndmask_b32_e32 v6, v21, v6, vcc
	v_cndmask_b32_e32 v13, v20, v18, vcc
	v_lshlrev_b32_e32 v18, 16, v4
	v_lshlrev_b32_e32 v13, 20, v13
	v_and_b32_e32 v18, 0x80000000, v18
	v_lshl_add_u32 v6, v6, 23, v10
	v_or3_b32 v18, v18, v6, v13
.LBB467_878:                            ;   in Loop: Header=BB467_796 Depth=1
	s_or_b64 exec, exec, s[18:19]
.LBB467_879:                            ;   in Loop: Header=BB467_796 Depth=1
	s_or_b64 exec, exec, s[16:17]
.LBB467_880:                            ;   in Loop: Header=BB467_796 Depth=1
	s_or_b64 exec, exec, s[14:15]
	v_lshrrev_b32_e32 v6, 16, v4
	v_cmp_ne_u16_sdwa s[16:17], v6, v9 src0_sel:BYTE_0 src1_sel:DWORD
	s_and_saveexec_b64 s[14:15], s[16:17]
	s_cbranch_execz .LBB467_886
; %bb.881:                              ;   in Loop: Header=BB467_796 Depth=1
	v_cmp_ne_u16_sdwa s[18:19], v6, s5 src0_sel:BYTE_0 src1_sel:DWORD
	v_bfrev_b32_e32 v8, 1
	s_and_saveexec_b64 s[16:17], s[18:19]
	s_cbranch_execz .LBB467_885
; %bb.882:                              ;   in Loop: Header=BB467_796 Depth=1
	v_bfe_u32 v13, v4, 16, 7
	v_cmp_ne_u32_e32 vcc, s21, v13
	v_mov_b32_e32 v8, 0x7f800001
	s_and_saveexec_b64 s[18:19], vcc
	s_cbranch_execz .LBB467_884
; %bb.883:                              ;   in Loop: Header=BB467_796 Depth=1
	v_and_b32_e32 v8, 7, v6
	v_ffbh_u32_e32 v20, v8
	v_min_u32_e32 v22, 32, v20
	v_subrev_u32_e32 v20, 28, v22
	v_lshlrev_b64 v[20:21], v20, v[6:7]
	v_lshrrev_b32_e32 v19, 3, v13
	v_sub_u32_e32 v21, 29, v22
	v_and_b32_e32 v20, 7, v20
	v_cmp_gt_u32_e32 vcc, 8, v13
	v_cndmask_b32_e32 v13, v19, v21, vcc
	v_cndmask_b32_e32 v8, v8, v20, vcc
	v_lshlrev_b32_e32 v6, 24, v6
	v_lshlrev_b32_e32 v8, 20, v8
	v_and_b32_e32 v6, 0x80000000, v6
	v_lshl_add_u32 v13, v13, 23, v10
	v_or3_b32 v8, v6, v13, v8
.LBB467_884:                            ;   in Loop: Header=BB467_796 Depth=1
	s_or_b64 exec, exec, s[18:19]
.LBB467_885:                            ;   in Loop: Header=BB467_796 Depth=1
	s_or_b64 exec, exec, s[16:17]
.LBB467_886:                            ;   in Loop: Header=BB467_796 Depth=1
	s_or_b64 exec, exec, s[14:15]
	v_cmp_lt_u32_e32 vcc, s22, v4
	v_mov_b32_e32 v13, 0
	v_mov_b32_e32 v19, 0
	s_and_saveexec_b64 s[14:15], vcc
	s_cbranch_execz .LBB467_892
; %bb.887:                              ;   in Loop: Header=BB467_796 Depth=1
	v_lshrrev_b32_e32 v6, 24, v4
	v_cmp_ne_u32_e32 vcc, s5, v6
	v_bfrev_b32_e32 v19, 1
	s_and_saveexec_b64 s[16:17], vcc
	s_cbranch_execz .LBB467_891
; %bb.888:                              ;   in Loop: Header=BB467_796 Depth=1
	v_bfe_u32 v4, v4, 24, 7
	v_cmp_ne_u32_e32 vcc, s21, v4
	v_mov_b32_e32 v19, 0x7f800001
	s_and_saveexec_b64 s[18:19], vcc
	s_cbranch_execz .LBB467_890
; %bb.889:                              ;   in Loop: Header=BB467_796 Depth=1
	v_and_b32_e32 v19, 7, v6
	v_ffbh_u32_e32 v20, v19
	v_min_u32_e32 v23, 32, v20
	v_subrev_u32_e32 v20, 28, v23
	v_lshlrev_b64 v[20:21], v20, v[6:7]
	v_lshrrev_b32_e32 v22, 3, v4
	v_sub_u32_e32 v21, 29, v23
	v_and_b32_e32 v20, 7, v20
	v_cmp_gt_u32_e32 vcc, 8, v4
	v_cndmask_b32_e32 v4, v22, v21, vcc
	v_cndmask_b32_e32 v19, v19, v20, vcc
	v_lshlrev_b32_e32 v6, 24, v6
	v_lshlrev_b32_e32 v19, 20, v19
	v_and_b32_e32 v6, 0x80000000, v6
	v_lshl_add_u32 v4, v4, 23, v10
	v_or3_b32 v19, v6, v4, v19
.LBB467_890:                            ;   in Loop: Header=BB467_796 Depth=1
	s_or_b64 exec, exec, s[18:19]
.LBB467_891:                            ;   in Loop: Header=BB467_796 Depth=1
	s_or_b64 exec, exec, s[16:17]
.LBB467_892:                            ;   in Loop: Header=BB467_796 Depth=1
	s_or_b64 exec, exec, s[14:15]
	buffer_load_dword v6, v11, s[0:3], 0 offen offset:16
	buffer_load_dword v4, v11, s[0:3], 0 offen offset:20
	v_cvt_pkrtz_f16_f32 v20, v12, v15
	v_cvt_pkrtz_f16_f32 v21, v14, v17
	;; [unrolled: 1-line block ×4, first 2 shown]
	v_mfma_f32_4x4x4f16 a[0:3], v[2:3], v[20:21], a[0:3] cbsz:4 abid:2
	s_waitcnt vmcnt(1)
	v_cmp_ne_u16_sdwa s[16:17], v6, v9 src0_sel:BYTE_0 src1_sel:DWORD
	v_mfma_f32_4x4x4f16 a[0:3], v[2:3], v[14:15], a[0:3] cbsz:4 abid:3
	s_and_saveexec_b64 s[14:15], s[16:17]
	s_cbranch_execz .LBB467_898
; %bb.893:                              ;   in Loop: Header=BB467_796 Depth=1
	v_cmp_ne_u16_sdwa s[18:19], v6, s5 src0_sel:BYTE_0 src1_sel:DWORD
	v_bfrev_b32_e32 v13, 1
	s_and_saveexec_b64 s[16:17], s[18:19]
	s_cbranch_execz .LBB467_897
; %bb.894:                              ;   in Loop: Header=BB467_796 Depth=1
	v_and_b32_e32 v8, 0x7f, v6
	v_cmp_ne_u32_e32 vcc, s21, v8
	v_mov_b32_e32 v13, 0x7f800001
	s_and_saveexec_b64 s[18:19], vcc
	s_cbranch_execz .LBB467_896
; %bb.895:                              ;   in Loop: Header=BB467_796 Depth=1
	v_and_b32_e32 v14, 7, v6
	v_ffbh_u32_e32 v12, v14
	v_min_u32_e32 v16, 32, v12
	v_subrev_u32_e32 v12, 28, v16
	v_lshlrev_b64 v[12:13], v12, v[6:7]
	v_lshrrev_b32_e32 v15, 3, v8
	v_sub_u32_e32 v13, 29, v16
	v_and_b32_e32 v12, 7, v12
	v_cmp_gt_u32_e32 vcc, 8, v8
	v_cndmask_b32_e32 v8, v15, v13, vcc
	v_cndmask_b32_e32 v12, v14, v12, vcc
	v_lshlrev_b32_e32 v13, 24, v6
	v_lshlrev_b32_e32 v12, 20, v12
	v_and_b32_e32 v13, 0x80000000, v13
	v_lshl_add_u32 v8, v8, 23, v10
	v_or3_b32 v13, v13, v8, v12
.LBB467_896:                            ;   in Loop: Header=BB467_796 Depth=1
	s_or_b64 exec, exec, s[18:19]
.LBB467_897:                            ;   in Loop: Header=BB467_796 Depth=1
	s_or_b64 exec, exec, s[16:17]
.LBB467_898:                            ;   in Loop: Header=BB467_796 Depth=1
	s_or_b64 exec, exec, s[14:15]
	v_lshrrev_b16_e32 v8, 8, v6
	v_cmp_ne_u16_e32 vcc, 0, v8
	v_mov_b32_e32 v14, 0
	v_mov_b32_e32 v15, 0
	s_and_saveexec_b64 s[14:15], vcc
	s_cbranch_execz .LBB467_904
; %bb.899:                              ;   in Loop: Header=BB467_796 Depth=1
	v_cmp_ne_u16_e32 vcc, s5, v8
	v_bfrev_b32_e32 v15, 1
	s_and_saveexec_b64 s[16:17], vcc
	s_cbranch_execz .LBB467_903
; %bb.900:                              ;   in Loop: Header=BB467_796 Depth=1
	v_and_b32_e32 v12, 0x7f, v8
	v_cmp_ne_u32_e32 vcc, s21, v12
	v_mov_b32_e32 v15, 0x7f800001
	s_and_saveexec_b64 s[18:19], vcc
	s_cbranch_execz .LBB467_902
; %bb.901:                              ;   in Loop: Header=BB467_796 Depth=1
	v_and_b32_e32 v15, 7, v8
	v_ffbh_u32_e32 v16, v15
	v_min_u32_e32 v19, 32, v16
	v_subrev_u32_e32 v16, 28, v19
	v_lshlrev_b64 v[16:17], v16, v[8:9]
	v_lshrrev_b32_e32 v18, 3, v12
	v_sub_u32_e32 v8, 29, v19
	v_and_b32_e32 v16, 7, v16
	v_cmp_gt_u32_e32 vcc, 8, v12
	v_cndmask_b32_e32 v8, v18, v8, vcc
	v_cndmask_b32_e32 v12, v15, v16, vcc
	v_lshlrev_b32_e32 v15, 16, v6
	v_lshlrev_b32_e32 v12, 20, v12
	v_and_b32_e32 v15, 0x80000000, v15
	v_lshl_add_u32 v8, v8, 23, v10
	v_or3_b32 v15, v15, v8, v12
.LBB467_902:                            ;   in Loop: Header=BB467_796 Depth=1
	s_or_b64 exec, exec, s[18:19]
.LBB467_903:                            ;   in Loop: Header=BB467_796 Depth=1
	s_or_b64 exec, exec, s[16:17]
.LBB467_904:                            ;   in Loop: Header=BB467_796 Depth=1
	s_or_b64 exec, exec, s[14:15]
	v_lshrrev_b32_e32 v8, 16, v6
	v_cmp_ne_u16_sdwa s[16:17], v8, v9 src0_sel:BYTE_0 src1_sel:DWORD
	s_and_saveexec_b64 s[14:15], s[16:17]
	s_cbranch_execz .LBB467_910
; %bb.905:                              ;   in Loop: Header=BB467_796 Depth=1
	v_cmp_ne_u16_sdwa s[18:19], v8, s5 src0_sel:BYTE_0 src1_sel:DWORD
	v_bfrev_b32_e32 v14, 1
	s_and_saveexec_b64 s[16:17], s[18:19]
	s_cbranch_execz .LBB467_909
; %bb.906:                              ;   in Loop: Header=BB467_796 Depth=1
	v_bfe_u32 v12, v6, 16, 7
	v_cmp_ne_u32_e32 vcc, s21, v12
	v_mov_b32_e32 v14, 0x7f800001
	s_and_saveexec_b64 s[18:19], vcc
	s_cbranch_execz .LBB467_908
; %bb.907:                              ;   in Loop: Header=BB467_796 Depth=1
	v_and_b32_e32 v14, 7, v8
	v_ffbh_u32_e32 v16, v14
	v_min_u32_e32 v19, 32, v16
	v_subrev_u32_e32 v16, 28, v19
	v_lshlrev_b64 v[16:17], v16, v[8:9]
	v_lshrrev_b32_e32 v18, 3, v12
	v_sub_u32_e32 v17, 29, v19
	v_and_b32_e32 v16, 7, v16
	v_cmp_gt_u32_e32 vcc, 8, v12
	v_cndmask_b32_e32 v12, v18, v17, vcc
	v_cndmask_b32_e32 v14, v14, v16, vcc
	v_lshlrev_b32_e32 v8, 24, v8
	v_lshlrev_b32_e32 v14, 20, v14
	v_and_b32_e32 v8, 0x80000000, v8
	v_lshl_add_u32 v12, v12, 23, v10
	v_or3_b32 v14, v8, v12, v14
.LBB467_908:                            ;   in Loop: Header=BB467_796 Depth=1
	s_or_b64 exec, exec, s[18:19]
.LBB467_909:                            ;   in Loop: Header=BB467_796 Depth=1
	s_or_b64 exec, exec, s[16:17]
.LBB467_910:                            ;   in Loop: Header=BB467_796 Depth=1
	s_or_b64 exec, exec, s[14:15]
	v_cmp_lt_u32_e32 vcc, s22, v6
	v_mov_b32_e32 v16, 0
	v_mov_b32_e32 v17, 0
	s_and_saveexec_b64 s[14:15], vcc
	s_cbranch_execz .LBB467_916
; %bb.911:                              ;   in Loop: Header=BB467_796 Depth=1
	v_lshrrev_b32_e32 v8, 24, v6
	v_cmp_ne_u32_e32 vcc, s5, v8
	v_bfrev_b32_e32 v17, 1
	s_and_saveexec_b64 s[16:17], vcc
	s_cbranch_execz .LBB467_915
; %bb.912:                              ;   in Loop: Header=BB467_796 Depth=1
	v_bfe_u32 v6, v6, 24, 7
	v_cmp_ne_u32_e32 vcc, s21, v6
	v_mov_b32_e32 v17, 0x7f800001
	s_and_saveexec_b64 s[18:19], vcc
	s_cbranch_execz .LBB467_914
; %bb.913:                              ;   in Loop: Header=BB467_796 Depth=1
	v_and_b32_e32 v12, 7, v8
	v_ffbh_u32_e32 v18, v12
	v_min_u32_e32 v20, 32, v18
	v_subrev_u32_e32 v18, 28, v20
	v_lshlrev_b64 v[18:19], v18, v[8:9]
	v_lshrrev_b32_e32 v17, 3, v6
	v_sub_u32_e32 v19, 29, v20
	v_and_b32_e32 v18, 7, v18
	v_cmp_gt_u32_e32 vcc, 8, v6
	v_cndmask_b32_e32 v6, v17, v19, vcc
	v_cndmask_b32_e32 v12, v12, v18, vcc
	v_lshlrev_b32_e32 v8, 24, v8
	v_lshlrev_b32_e32 v12, 20, v12
	v_and_b32_e32 v8, 0x80000000, v8
	v_lshl_add_u32 v6, v6, 23, v10
	v_or3_b32 v17, v8, v6, v12
.LBB467_914:                            ;   in Loop: Header=BB467_796 Depth=1
	s_or_b64 exec, exec, s[18:19]
.LBB467_915:                            ;   in Loop: Header=BB467_796 Depth=1
	s_or_b64 exec, exec, s[16:17]
.LBB467_916:                            ;   in Loop: Header=BB467_796 Depth=1
	s_or_b64 exec, exec, s[14:15]
	s_waitcnt vmcnt(0)
	v_cmp_ne_u16_sdwa s[16:17], v4, v9 src0_sel:BYTE_0 src1_sel:DWORD
	s_and_saveexec_b64 s[14:15], s[16:17]
	s_cbranch_execz .LBB467_922
; %bb.917:                              ;   in Loop: Header=BB467_796 Depth=1
	v_cmp_ne_u16_sdwa s[18:19], v4, s5 src0_sel:BYTE_0 src1_sel:DWORD
	v_bfrev_b32_e32 v16, 1
	s_and_saveexec_b64 s[16:17], s[18:19]
	s_cbranch_execz .LBB467_921
; %bb.918:                              ;   in Loop: Header=BB467_796 Depth=1
	v_and_b32_e32 v6, 0x7f, v4
	v_cmp_ne_u32_e32 vcc, s21, v6
	v_mov_b32_e32 v16, 0x7f800001
	s_and_saveexec_b64 s[18:19], vcc
	s_cbranch_execz .LBB467_920
; %bb.919:                              ;   in Loop: Header=BB467_796 Depth=1
	v_and_b32_e32 v8, 7, v4
	v_ffbh_u32_e32 v16, v8
	v_min_u32_e32 v16, 32, v16
	v_subrev_u32_e32 v18, 28, v16
	v_lshlrev_b64 v[18:19], v18, v[4:5]
	v_lshrrev_b32_e32 v12, 3, v6
	v_sub_u32_e32 v16, 29, v16
	v_and_b32_e32 v18, 7, v18
	v_cmp_gt_u32_e32 vcc, 8, v6
	v_cndmask_b32_e32 v6, v12, v16, vcc
	v_cndmask_b32_e32 v8, v8, v18, vcc
	v_lshlrev_b32_e32 v12, 24, v4
	v_lshlrev_b32_e32 v8, 20, v8
	v_and_b32_e32 v12, 0x80000000, v12
	v_lshl_add_u32 v6, v6, 23, v10
	v_or3_b32 v16, v12, v6, v8
.LBB467_920:                            ;   in Loop: Header=BB467_796 Depth=1
	s_or_b64 exec, exec, s[18:19]
.LBB467_921:                            ;   in Loop: Header=BB467_796 Depth=1
	s_or_b64 exec, exec, s[16:17]
.LBB467_922:                            ;   in Loop: Header=BB467_796 Depth=1
	s_or_b64 exec, exec, s[14:15]
	v_lshrrev_b16_e32 v6, 8, v4
	v_cmp_ne_u16_e32 vcc, 0, v6
	v_mov_b32_e32 v8, 0
	v_mov_b32_e32 v18, 0
	s_and_saveexec_b64 s[14:15], vcc
	s_cbranch_execz .LBB467_928
; %bb.923:                              ;   in Loop: Header=BB467_796 Depth=1
	v_cmp_ne_u16_e32 vcc, s5, v6
	v_bfrev_b32_e32 v18, 1
	s_and_saveexec_b64 s[16:17], vcc
	s_cbranch_execz .LBB467_927
; %bb.924:                              ;   in Loop: Header=BB467_796 Depth=1
	v_and_b32_e32 v12, 0x7f, v6
	v_cmp_ne_u32_e32 vcc, s21, v12
	v_mov_b32_e32 v18, 0x7f800001
	s_and_saveexec_b64 s[18:19], vcc
	s_cbranch_execz .LBB467_926
; %bb.925:                              ;   in Loop: Header=BB467_796 Depth=1
	v_and_b32_e32 v20, 7, v6
	v_ffbh_u32_e32 v18, v20
	v_min_u32_e32 v22, 32, v18
	v_subrev_u32_e32 v18, 28, v22
	v_lshlrev_b64 v[18:19], v18, v[6:7]
	v_lshrrev_b32_e32 v21, 3, v12
	v_sub_u32_e32 v6, 29, v22
	v_and_b32_e32 v18, 7, v18
	v_cmp_gt_u32_e32 vcc, 8, v12
	v_cndmask_b32_e32 v6, v21, v6, vcc
	v_cndmask_b32_e32 v12, v20, v18, vcc
	v_lshlrev_b32_e32 v18, 16, v4
	v_lshlrev_b32_e32 v12, 20, v12
	v_and_b32_e32 v18, 0x80000000, v18
	v_lshl_add_u32 v6, v6, 23, v10
	v_or3_b32 v18, v18, v6, v12
.LBB467_926:                            ;   in Loop: Header=BB467_796 Depth=1
	s_or_b64 exec, exec, s[18:19]
.LBB467_927:                            ;   in Loop: Header=BB467_796 Depth=1
	s_or_b64 exec, exec, s[16:17]
.LBB467_928:                            ;   in Loop: Header=BB467_796 Depth=1
	s_or_b64 exec, exec, s[14:15]
	v_lshrrev_b32_e32 v6, 16, v4
	v_cmp_ne_u16_sdwa s[16:17], v6, v9 src0_sel:BYTE_0 src1_sel:DWORD
	s_and_saveexec_b64 s[14:15], s[16:17]
	s_cbranch_execz .LBB467_934
; %bb.929:                              ;   in Loop: Header=BB467_796 Depth=1
	v_cmp_ne_u16_sdwa s[18:19], v6, s5 src0_sel:BYTE_0 src1_sel:DWORD
	v_bfrev_b32_e32 v8, 1
	s_and_saveexec_b64 s[16:17], s[18:19]
	s_cbranch_execz .LBB467_933
; %bb.930:                              ;   in Loop: Header=BB467_796 Depth=1
	v_bfe_u32 v12, v4, 16, 7
	v_cmp_ne_u32_e32 vcc, s21, v12
	v_mov_b32_e32 v8, 0x7f800001
	s_and_saveexec_b64 s[18:19], vcc
	s_cbranch_execz .LBB467_932
; %bb.931:                              ;   in Loop: Header=BB467_796 Depth=1
	v_and_b32_e32 v8, 7, v6
	v_ffbh_u32_e32 v20, v8
	v_min_u32_e32 v22, 32, v20
	v_subrev_u32_e32 v20, 28, v22
	v_lshlrev_b64 v[20:21], v20, v[6:7]
	v_lshrrev_b32_e32 v19, 3, v12
	v_sub_u32_e32 v21, 29, v22
	v_and_b32_e32 v20, 7, v20
	v_cmp_gt_u32_e32 vcc, 8, v12
	v_cndmask_b32_e32 v12, v19, v21, vcc
	v_cndmask_b32_e32 v8, v8, v20, vcc
	v_lshlrev_b32_e32 v6, 24, v6
	v_lshlrev_b32_e32 v8, 20, v8
	v_and_b32_e32 v6, 0x80000000, v6
	v_lshl_add_u32 v12, v12, 23, v10
	v_or3_b32 v8, v6, v12, v8
.LBB467_932:                            ;   in Loop: Header=BB467_796 Depth=1
	s_or_b64 exec, exec, s[18:19]
.LBB467_933:                            ;   in Loop: Header=BB467_796 Depth=1
	s_or_b64 exec, exec, s[16:17]
.LBB467_934:                            ;   in Loop: Header=BB467_796 Depth=1
	s_or_b64 exec, exec, s[14:15]
	v_cmp_lt_u32_e32 vcc, s22, v4
	v_mov_b32_e32 v12, 0
	v_mov_b32_e32 v19, 0
	s_and_saveexec_b64 s[14:15], vcc
	s_cbranch_execz .LBB467_940
; %bb.935:                              ;   in Loop: Header=BB467_796 Depth=1
	v_lshrrev_b32_e32 v6, 24, v4
	v_cmp_ne_u32_e32 vcc, s5, v6
	v_bfrev_b32_e32 v19, 1
	s_and_saveexec_b64 s[16:17], vcc
	s_cbranch_execz .LBB467_939
; %bb.936:                              ;   in Loop: Header=BB467_796 Depth=1
	v_bfe_u32 v4, v4, 24, 7
	v_cmp_ne_u32_e32 vcc, s21, v4
	v_mov_b32_e32 v19, 0x7f800001
	s_and_saveexec_b64 s[18:19], vcc
	s_cbranch_execz .LBB467_938
; %bb.937:                              ;   in Loop: Header=BB467_796 Depth=1
	v_and_b32_e32 v19, 7, v6
	v_ffbh_u32_e32 v20, v19
	v_min_u32_e32 v23, 32, v20
	v_subrev_u32_e32 v20, 28, v23
	v_lshlrev_b64 v[20:21], v20, v[6:7]
	v_lshrrev_b32_e32 v22, 3, v4
	v_sub_u32_e32 v21, 29, v23
	v_and_b32_e32 v20, 7, v20
	v_cmp_gt_u32_e32 vcc, 8, v4
	v_cndmask_b32_e32 v4, v22, v21, vcc
	v_cndmask_b32_e32 v19, v19, v20, vcc
	v_lshlrev_b32_e32 v6, 24, v6
	v_lshlrev_b32_e32 v19, 20, v19
	v_and_b32_e32 v6, 0x80000000, v6
	v_lshl_add_u32 v4, v4, 23, v10
	v_or3_b32 v19, v6, v4, v19
.LBB467_938:                            ;   in Loop: Header=BB467_796 Depth=1
	s_or_b64 exec, exec, s[18:19]
.LBB467_939:                            ;   in Loop: Header=BB467_796 Depth=1
	s_or_b64 exec, exec, s[16:17]
.LBB467_940:                            ;   in Loop: Header=BB467_796 Depth=1
	s_or_b64 exec, exec, s[14:15]
	buffer_load_dword v6, v11, s[0:3], 0 offen offset:24
	buffer_load_dword v4, v11, s[0:3], 0 offen offset:28
	v_cvt_pkrtz_f16_f32 v20, v13, v15
	v_cvt_pkrtz_f16_f32 v21, v14, v17
	;; [unrolled: 1-line block ×4, first 2 shown]
	v_mfma_f32_4x4x4f16 a[0:3], v[2:3], v[20:21], a[0:3] cbsz:4 abid:4
	s_waitcnt vmcnt(1)
	v_cmp_ne_u16_sdwa s[16:17], v6, v9 src0_sel:BYTE_0 src1_sel:DWORD
	v_mfma_f32_4x4x4f16 a[0:3], v[2:3], v[14:15], a[0:3] cbsz:4 abid:5
	s_and_saveexec_b64 s[14:15], s[16:17]
	s_cbranch_execz .LBB467_946
; %bb.941:                              ;   in Loop: Header=BB467_796 Depth=1
	v_cmp_ne_u16_sdwa s[18:19], v6, s5 src0_sel:BYTE_0 src1_sel:DWORD
	v_bfrev_b32_e32 v12, 1
	s_and_saveexec_b64 s[16:17], s[18:19]
	s_cbranch_execz .LBB467_945
; %bb.942:                              ;   in Loop: Header=BB467_796 Depth=1
	v_and_b32_e32 v8, 0x7f, v6
	v_cmp_ne_u32_e32 vcc, s21, v8
	v_mov_b32_e32 v12, 0x7f800001
	s_and_saveexec_b64 s[18:19], vcc
	s_cbranch_execz .LBB467_944
; %bb.943:                              ;   in Loop: Header=BB467_796 Depth=1
	v_and_b32_e32 v14, 7, v6
	v_ffbh_u32_e32 v12, v14
	v_min_u32_e32 v16, 32, v12
	v_subrev_u32_e32 v12, 28, v16
	v_lshlrev_b64 v[12:13], v12, v[6:7]
	v_lshrrev_b32_e32 v15, 3, v8
	v_sub_u32_e32 v13, 29, v16
	v_and_b32_e32 v12, 7, v12
	v_cmp_gt_u32_e32 vcc, 8, v8
	v_cndmask_b32_e32 v8, v15, v13, vcc
	v_cndmask_b32_e32 v12, v14, v12, vcc
	v_lshlrev_b32_e32 v13, 24, v6
	v_lshlrev_b32_e32 v12, 20, v12
	v_and_b32_e32 v13, 0x80000000, v13
	v_lshl_add_u32 v8, v8, 23, v10
	v_or3_b32 v12, v13, v8, v12
.LBB467_944:                            ;   in Loop: Header=BB467_796 Depth=1
	s_or_b64 exec, exec, s[18:19]
.LBB467_945:                            ;   in Loop: Header=BB467_796 Depth=1
	s_or_b64 exec, exec, s[16:17]
.LBB467_946:                            ;   in Loop: Header=BB467_796 Depth=1
	s_or_b64 exec, exec, s[14:15]
	v_lshrrev_b16_e32 v8, 8, v6
	v_cmp_ne_u16_e32 vcc, 0, v8
	v_mov_b32_e32 v14, 0
	v_mov_b32_e32 v15, 0
	s_and_saveexec_b64 s[14:15], vcc
	s_cbranch_execz .LBB467_952
; %bb.947:                              ;   in Loop: Header=BB467_796 Depth=1
	v_cmp_ne_u16_e32 vcc, s5, v8
	v_bfrev_b32_e32 v15, 1
	s_and_saveexec_b64 s[16:17], vcc
	s_cbranch_execz .LBB467_951
; %bb.948:                              ;   in Loop: Header=BB467_796 Depth=1
	v_and_b32_e32 v13, 0x7f, v8
	v_cmp_ne_u32_e32 vcc, s21, v13
	v_mov_b32_e32 v15, 0x7f800001
	s_and_saveexec_b64 s[18:19], vcc
	s_cbranch_execz .LBB467_950
; %bb.949:                              ;   in Loop: Header=BB467_796 Depth=1
	v_and_b32_e32 v15, 7, v8
	v_ffbh_u32_e32 v16, v15
	v_min_u32_e32 v19, 32, v16
	v_subrev_u32_e32 v16, 28, v19
	v_lshlrev_b64 v[16:17], v16, v[8:9]
	v_lshrrev_b32_e32 v18, 3, v13
	v_sub_u32_e32 v8, 29, v19
	v_and_b32_e32 v16, 7, v16
	v_cmp_gt_u32_e32 vcc, 8, v13
	v_cndmask_b32_e32 v8, v18, v8, vcc
	v_cndmask_b32_e32 v13, v15, v16, vcc
	v_lshlrev_b32_e32 v15, 16, v6
	v_lshlrev_b32_e32 v13, 20, v13
	v_and_b32_e32 v15, 0x80000000, v15
	v_lshl_add_u32 v8, v8, 23, v10
	v_or3_b32 v15, v15, v8, v13
.LBB467_950:                            ;   in Loop: Header=BB467_796 Depth=1
	s_or_b64 exec, exec, s[18:19]
.LBB467_951:                            ;   in Loop: Header=BB467_796 Depth=1
	s_or_b64 exec, exec, s[16:17]
.LBB467_952:                            ;   in Loop: Header=BB467_796 Depth=1
	s_or_b64 exec, exec, s[14:15]
	v_lshrrev_b32_e32 v8, 16, v6
	v_cmp_ne_u16_sdwa s[16:17], v8, v9 src0_sel:BYTE_0 src1_sel:DWORD
	s_and_saveexec_b64 s[14:15], s[16:17]
	s_cbranch_execz .LBB467_958
; %bb.953:                              ;   in Loop: Header=BB467_796 Depth=1
	v_cmp_ne_u16_sdwa s[18:19], v8, s5 src0_sel:BYTE_0 src1_sel:DWORD
	v_bfrev_b32_e32 v14, 1
	s_and_saveexec_b64 s[16:17], s[18:19]
	s_cbranch_execz .LBB467_957
; %bb.954:                              ;   in Loop: Header=BB467_796 Depth=1
	v_bfe_u32 v13, v6, 16, 7
	v_cmp_ne_u32_e32 vcc, s21, v13
	v_mov_b32_e32 v14, 0x7f800001
	s_and_saveexec_b64 s[18:19], vcc
	s_cbranch_execz .LBB467_956
; %bb.955:                              ;   in Loop: Header=BB467_796 Depth=1
	v_and_b32_e32 v14, 7, v8
	v_ffbh_u32_e32 v16, v14
	v_min_u32_e32 v19, 32, v16
	v_subrev_u32_e32 v16, 28, v19
	v_lshlrev_b64 v[16:17], v16, v[8:9]
	v_lshrrev_b32_e32 v18, 3, v13
	v_sub_u32_e32 v17, 29, v19
	v_and_b32_e32 v16, 7, v16
	v_cmp_gt_u32_e32 vcc, 8, v13
	v_cndmask_b32_e32 v13, v18, v17, vcc
	v_cndmask_b32_e32 v14, v14, v16, vcc
	v_lshlrev_b32_e32 v8, 24, v8
	v_lshlrev_b32_e32 v14, 20, v14
	v_and_b32_e32 v8, 0x80000000, v8
	v_lshl_add_u32 v13, v13, 23, v10
	v_or3_b32 v14, v8, v13, v14
.LBB467_956:                            ;   in Loop: Header=BB467_796 Depth=1
	s_or_b64 exec, exec, s[18:19]
.LBB467_957:                            ;   in Loop: Header=BB467_796 Depth=1
	s_or_b64 exec, exec, s[16:17]
.LBB467_958:                            ;   in Loop: Header=BB467_796 Depth=1
	s_or_b64 exec, exec, s[14:15]
	v_cmp_lt_u32_e32 vcc, s22, v6
	v_mov_b32_e32 v16, 0
	v_mov_b32_e32 v17, 0
	s_and_saveexec_b64 s[14:15], vcc
	s_cbranch_execz .LBB467_964
; %bb.959:                              ;   in Loop: Header=BB467_796 Depth=1
	v_lshrrev_b32_e32 v8, 24, v6
	v_cmp_ne_u32_e32 vcc, s5, v8
	v_bfrev_b32_e32 v17, 1
	s_and_saveexec_b64 s[16:17], vcc
	s_cbranch_execz .LBB467_963
; %bb.960:                              ;   in Loop: Header=BB467_796 Depth=1
	v_bfe_u32 v6, v6, 24, 7
	v_cmp_ne_u32_e32 vcc, s21, v6
	v_mov_b32_e32 v17, 0x7f800001
	s_and_saveexec_b64 s[18:19], vcc
	s_cbranch_execz .LBB467_962
; %bb.961:                              ;   in Loop: Header=BB467_796 Depth=1
	v_and_b32_e32 v13, 7, v8
	v_ffbh_u32_e32 v18, v13
	v_min_u32_e32 v20, 32, v18
	v_subrev_u32_e32 v18, 28, v20
	v_lshlrev_b64 v[18:19], v18, v[8:9]
	v_lshrrev_b32_e32 v17, 3, v6
	v_sub_u32_e32 v19, 29, v20
	v_and_b32_e32 v18, 7, v18
	v_cmp_gt_u32_e32 vcc, 8, v6
	v_cndmask_b32_e32 v6, v17, v19, vcc
	v_cndmask_b32_e32 v13, v13, v18, vcc
	v_lshlrev_b32_e32 v8, 24, v8
	v_lshlrev_b32_e32 v13, 20, v13
	v_and_b32_e32 v8, 0x80000000, v8
	v_lshl_add_u32 v6, v6, 23, v10
	v_or3_b32 v17, v8, v6, v13
.LBB467_962:                            ;   in Loop: Header=BB467_796 Depth=1
	s_or_b64 exec, exec, s[18:19]
.LBB467_963:                            ;   in Loop: Header=BB467_796 Depth=1
	s_or_b64 exec, exec, s[16:17]
.LBB467_964:                            ;   in Loop: Header=BB467_796 Depth=1
	s_or_b64 exec, exec, s[14:15]
	s_waitcnt vmcnt(0)
	v_cmp_ne_u16_sdwa s[16:17], v4, v9 src0_sel:BYTE_0 src1_sel:DWORD
	s_and_saveexec_b64 s[14:15], s[16:17]
	s_cbranch_execz .LBB467_970
; %bb.965:                              ;   in Loop: Header=BB467_796 Depth=1
	v_cmp_ne_u16_sdwa s[18:19], v4, s5 src0_sel:BYTE_0 src1_sel:DWORD
	v_bfrev_b32_e32 v16, 1
	s_and_saveexec_b64 s[16:17], s[18:19]
	s_cbranch_execz .LBB467_969
; %bb.966:                              ;   in Loop: Header=BB467_796 Depth=1
	v_and_b32_e32 v6, 0x7f, v4
	v_cmp_ne_u32_e32 vcc, s21, v6
	v_mov_b32_e32 v16, 0x7f800001
	s_and_saveexec_b64 s[18:19], vcc
	s_cbranch_execz .LBB467_968
; %bb.967:                              ;   in Loop: Header=BB467_796 Depth=1
	v_and_b32_e32 v8, 7, v4
	v_ffbh_u32_e32 v16, v8
	v_min_u32_e32 v16, 32, v16
	v_subrev_u32_e32 v18, 28, v16
	v_lshlrev_b64 v[18:19], v18, v[4:5]
	v_lshrrev_b32_e32 v13, 3, v6
	v_sub_u32_e32 v16, 29, v16
	v_and_b32_e32 v18, 7, v18
	v_cmp_gt_u32_e32 vcc, 8, v6
	v_cndmask_b32_e32 v6, v13, v16, vcc
	v_cndmask_b32_e32 v8, v8, v18, vcc
	v_lshlrev_b32_e32 v13, 24, v4
	v_lshlrev_b32_e32 v8, 20, v8
	v_and_b32_e32 v13, 0x80000000, v13
	v_lshl_add_u32 v6, v6, 23, v10
	v_or3_b32 v16, v13, v6, v8
.LBB467_968:                            ;   in Loop: Header=BB467_796 Depth=1
	s_or_b64 exec, exec, s[18:19]
.LBB467_969:                            ;   in Loop: Header=BB467_796 Depth=1
	s_or_b64 exec, exec, s[16:17]
.LBB467_970:                            ;   in Loop: Header=BB467_796 Depth=1
	s_or_b64 exec, exec, s[14:15]
	v_lshrrev_b16_e32 v6, 8, v4
	v_cmp_ne_u16_e32 vcc, 0, v6
	v_mov_b32_e32 v8, 0
	v_mov_b32_e32 v18, 0
	s_and_saveexec_b64 s[14:15], vcc
	s_cbranch_execz .LBB467_976
; %bb.971:                              ;   in Loop: Header=BB467_796 Depth=1
	v_cmp_ne_u16_e32 vcc, s5, v6
	v_bfrev_b32_e32 v18, 1
	s_and_saveexec_b64 s[16:17], vcc
	s_cbranch_execz .LBB467_975
; %bb.972:                              ;   in Loop: Header=BB467_796 Depth=1
	v_and_b32_e32 v13, 0x7f, v6
	v_cmp_ne_u32_e32 vcc, s21, v13
	v_mov_b32_e32 v18, 0x7f800001
	s_and_saveexec_b64 s[18:19], vcc
	s_cbranch_execz .LBB467_974
; %bb.973:                              ;   in Loop: Header=BB467_796 Depth=1
	v_and_b32_e32 v20, 7, v6
	v_ffbh_u32_e32 v18, v20
	v_min_u32_e32 v22, 32, v18
	v_subrev_u32_e32 v18, 28, v22
	v_lshlrev_b64 v[18:19], v18, v[6:7]
	v_lshrrev_b32_e32 v21, 3, v13
	v_sub_u32_e32 v6, 29, v22
	v_and_b32_e32 v18, 7, v18
	v_cmp_gt_u32_e32 vcc, 8, v13
	v_cndmask_b32_e32 v6, v21, v6, vcc
	v_cndmask_b32_e32 v13, v20, v18, vcc
	v_lshlrev_b32_e32 v18, 16, v4
	v_lshlrev_b32_e32 v13, 20, v13
	v_and_b32_e32 v18, 0x80000000, v18
	v_lshl_add_u32 v6, v6, 23, v10
	v_or3_b32 v18, v18, v6, v13
.LBB467_974:                            ;   in Loop: Header=BB467_796 Depth=1
	s_or_b64 exec, exec, s[18:19]
.LBB467_975:                            ;   in Loop: Header=BB467_796 Depth=1
	s_or_b64 exec, exec, s[16:17]
.LBB467_976:                            ;   in Loop: Header=BB467_796 Depth=1
	s_or_b64 exec, exec, s[14:15]
	v_lshrrev_b32_e32 v6, 16, v4
	v_cmp_ne_u16_sdwa s[16:17], v6, v9 src0_sel:BYTE_0 src1_sel:DWORD
	s_and_saveexec_b64 s[14:15], s[16:17]
	s_cbranch_execz .LBB467_982
; %bb.977:                              ;   in Loop: Header=BB467_796 Depth=1
	v_cmp_ne_u16_sdwa s[18:19], v6, s5 src0_sel:BYTE_0 src1_sel:DWORD
	v_bfrev_b32_e32 v8, 1
	s_and_saveexec_b64 s[16:17], s[18:19]
	s_cbranch_execz .LBB467_981
; %bb.978:                              ;   in Loop: Header=BB467_796 Depth=1
	v_bfe_u32 v13, v4, 16, 7
	v_cmp_ne_u32_e32 vcc, s21, v13
	v_mov_b32_e32 v8, 0x7f800001
	s_and_saveexec_b64 s[18:19], vcc
	s_cbranch_execz .LBB467_980
; %bb.979:                              ;   in Loop: Header=BB467_796 Depth=1
	v_and_b32_e32 v8, 7, v6
	v_ffbh_u32_e32 v20, v8
	v_min_u32_e32 v22, 32, v20
	v_subrev_u32_e32 v20, 28, v22
	v_lshlrev_b64 v[20:21], v20, v[6:7]
	v_lshrrev_b32_e32 v19, 3, v13
	v_sub_u32_e32 v21, 29, v22
	v_and_b32_e32 v20, 7, v20
	v_cmp_gt_u32_e32 vcc, 8, v13
	v_cndmask_b32_e32 v13, v19, v21, vcc
	v_cndmask_b32_e32 v8, v8, v20, vcc
	v_lshlrev_b32_e32 v6, 24, v6
	v_lshlrev_b32_e32 v8, 20, v8
	v_and_b32_e32 v6, 0x80000000, v6
	v_lshl_add_u32 v13, v13, 23, v10
	v_or3_b32 v8, v6, v13, v8
.LBB467_980:                            ;   in Loop: Header=BB467_796 Depth=1
	s_or_b64 exec, exec, s[18:19]
.LBB467_981:                            ;   in Loop: Header=BB467_796 Depth=1
	s_or_b64 exec, exec, s[16:17]
.LBB467_982:                            ;   in Loop: Header=BB467_796 Depth=1
	s_or_b64 exec, exec, s[14:15]
	v_cmp_lt_u32_e32 vcc, s22, v4
	v_mov_b32_e32 v13, 0
	v_mov_b32_e32 v19, 0
	s_and_saveexec_b64 s[14:15], vcc
	s_cbranch_execz .LBB467_988
; %bb.983:                              ;   in Loop: Header=BB467_796 Depth=1
	v_lshrrev_b32_e32 v6, 24, v4
	v_cmp_ne_u32_e32 vcc, s5, v6
	v_bfrev_b32_e32 v19, 1
	s_and_saveexec_b64 s[16:17], vcc
	s_cbranch_execz .LBB467_987
; %bb.984:                              ;   in Loop: Header=BB467_796 Depth=1
	v_bfe_u32 v4, v4, 24, 7
	v_cmp_ne_u32_e32 vcc, s21, v4
	v_mov_b32_e32 v19, 0x7f800001
	s_and_saveexec_b64 s[18:19], vcc
	s_cbranch_execz .LBB467_986
; %bb.985:                              ;   in Loop: Header=BB467_796 Depth=1
	v_and_b32_e32 v19, 7, v6
	v_ffbh_u32_e32 v20, v19
	v_min_u32_e32 v23, 32, v20
	v_subrev_u32_e32 v20, 28, v23
	v_lshlrev_b64 v[20:21], v20, v[6:7]
	v_lshrrev_b32_e32 v22, 3, v4
	v_sub_u32_e32 v21, 29, v23
	v_and_b32_e32 v20, 7, v20
	v_cmp_gt_u32_e32 vcc, 8, v4
	v_cndmask_b32_e32 v4, v22, v21, vcc
	v_cndmask_b32_e32 v19, v19, v20, vcc
	v_lshlrev_b32_e32 v6, 24, v6
	v_lshlrev_b32_e32 v19, 20, v19
	v_and_b32_e32 v6, 0x80000000, v6
	v_lshl_add_u32 v4, v4, 23, v10
	v_or3_b32 v19, v6, v4, v19
.LBB467_986:                            ;   in Loop: Header=BB467_796 Depth=1
	s_or_b64 exec, exec, s[18:19]
.LBB467_987:                            ;   in Loop: Header=BB467_796 Depth=1
	s_or_b64 exec, exec, s[16:17]
.LBB467_988:                            ;   in Loop: Header=BB467_796 Depth=1
	s_or_b64 exec, exec, s[14:15]
	buffer_load_dword v6, v11, s[0:3], 0 offen offset:32
	buffer_load_dword v4, v11, s[0:3], 0 offen offset:36
	v_cvt_pkrtz_f16_f32 v20, v12, v15
	v_cvt_pkrtz_f16_f32 v21, v14, v17
	;; [unrolled: 1-line block ×4, first 2 shown]
	v_mfma_f32_4x4x4f16 a[0:3], v[2:3], v[20:21], a[0:3] cbsz:4 abid:6
	s_waitcnt vmcnt(1)
	v_cmp_ne_u16_sdwa s[16:17], v6, v9 src0_sel:BYTE_0 src1_sel:DWORD
	v_mfma_f32_4x4x4f16 a[0:3], v[2:3], v[14:15], a[0:3] cbsz:4 abid:7
	s_and_saveexec_b64 s[14:15], s[16:17]
	s_cbranch_execz .LBB467_994
; %bb.989:                              ;   in Loop: Header=BB467_796 Depth=1
	v_cmp_ne_u16_sdwa s[18:19], v6, s5 src0_sel:BYTE_0 src1_sel:DWORD
	v_bfrev_b32_e32 v13, 1
	s_and_saveexec_b64 s[16:17], s[18:19]
	s_cbranch_execz .LBB467_993
; %bb.990:                              ;   in Loop: Header=BB467_796 Depth=1
	v_and_b32_e32 v8, 0x7f, v6
	v_cmp_ne_u32_e32 vcc, s21, v8
	v_mov_b32_e32 v13, 0x7f800001
	s_and_saveexec_b64 s[18:19], vcc
	s_cbranch_execz .LBB467_992
; %bb.991:                              ;   in Loop: Header=BB467_796 Depth=1
	v_and_b32_e32 v14, 7, v6
	v_ffbh_u32_e32 v12, v14
	v_min_u32_e32 v16, 32, v12
	v_subrev_u32_e32 v12, 28, v16
	v_lshlrev_b64 v[12:13], v12, v[6:7]
	v_lshrrev_b32_e32 v15, 3, v8
	v_sub_u32_e32 v13, 29, v16
	v_and_b32_e32 v12, 7, v12
	v_cmp_gt_u32_e32 vcc, 8, v8
	v_cndmask_b32_e32 v8, v15, v13, vcc
	v_cndmask_b32_e32 v12, v14, v12, vcc
	v_lshlrev_b32_e32 v13, 24, v6
	v_lshlrev_b32_e32 v12, 20, v12
	v_and_b32_e32 v13, 0x80000000, v13
	v_lshl_add_u32 v8, v8, 23, v10
	v_or3_b32 v13, v13, v8, v12
.LBB467_992:                            ;   in Loop: Header=BB467_796 Depth=1
	s_or_b64 exec, exec, s[18:19]
.LBB467_993:                            ;   in Loop: Header=BB467_796 Depth=1
	s_or_b64 exec, exec, s[16:17]
.LBB467_994:                            ;   in Loop: Header=BB467_796 Depth=1
	s_or_b64 exec, exec, s[14:15]
	v_lshrrev_b16_e32 v8, 8, v6
	v_cmp_ne_u16_e32 vcc, 0, v8
	v_mov_b32_e32 v12, 0
	v_mov_b32_e32 v15, 0
	s_and_saveexec_b64 s[14:15], vcc
	s_cbranch_execz .LBB467_1000
; %bb.995:                              ;   in Loop: Header=BB467_796 Depth=1
	v_cmp_ne_u16_e32 vcc, s5, v8
	v_bfrev_b32_e32 v15, 1
	s_and_saveexec_b64 s[16:17], vcc
	s_cbranch_execz .LBB467_999
; %bb.996:                              ;   in Loop: Header=BB467_796 Depth=1
	v_and_b32_e32 v14, 0x7f, v8
	v_cmp_ne_u32_e32 vcc, s21, v14
	v_mov_b32_e32 v15, 0x7f800001
	s_and_saveexec_b64 s[18:19], vcc
	s_cbranch_execz .LBB467_998
; %bb.997:                              ;   in Loop: Header=BB467_796 Depth=1
	v_and_b32_e32 v15, 7, v8
	v_ffbh_u32_e32 v16, v15
	v_min_u32_e32 v19, 32, v16
	v_subrev_u32_e32 v16, 28, v19
	v_lshlrev_b64 v[16:17], v16, v[8:9]
	v_lshrrev_b32_e32 v18, 3, v14
	v_sub_u32_e32 v8, 29, v19
	v_and_b32_e32 v16, 7, v16
	v_cmp_gt_u32_e32 vcc, 8, v14
	v_cndmask_b32_e32 v8, v18, v8, vcc
	v_cndmask_b32_e32 v14, v15, v16, vcc
	v_lshlrev_b32_e32 v15, 16, v6
	v_lshlrev_b32_e32 v14, 20, v14
	v_and_b32_e32 v15, 0x80000000, v15
	v_lshl_add_u32 v8, v8, 23, v10
	v_or3_b32 v15, v15, v8, v14
.LBB467_998:                            ;   in Loop: Header=BB467_796 Depth=1
	s_or_b64 exec, exec, s[18:19]
.LBB467_999:                            ;   in Loop: Header=BB467_796 Depth=1
	s_or_b64 exec, exec, s[16:17]
.LBB467_1000:                           ;   in Loop: Header=BB467_796 Depth=1
	s_or_b64 exec, exec, s[14:15]
	v_lshrrev_b32_e32 v8, 16, v6
	v_cmp_ne_u16_sdwa s[16:17], v8, v9 src0_sel:BYTE_0 src1_sel:DWORD
	s_and_saveexec_b64 s[14:15], s[16:17]
	s_cbranch_execz .LBB467_1006
; %bb.1001:                             ;   in Loop: Header=BB467_796 Depth=1
	v_cmp_ne_u16_sdwa s[18:19], v8, s5 src0_sel:BYTE_0 src1_sel:DWORD
	v_bfrev_b32_e32 v12, 1
	s_and_saveexec_b64 s[16:17], s[18:19]
	s_cbranch_execz .LBB467_1005
; %bb.1002:                             ;   in Loop: Header=BB467_796 Depth=1
	v_bfe_u32 v14, v6, 16, 7
	v_cmp_ne_u32_e32 vcc, s21, v14
	v_mov_b32_e32 v12, 0x7f800001
	s_and_saveexec_b64 s[18:19], vcc
	s_cbranch_execz .LBB467_1004
; %bb.1003:                             ;   in Loop: Header=BB467_796 Depth=1
	v_and_b32_e32 v12, 7, v8
	v_ffbh_u32_e32 v16, v12
	v_min_u32_e32 v19, 32, v16
	v_subrev_u32_e32 v16, 28, v19
	v_lshlrev_b64 v[16:17], v16, v[8:9]
	v_lshrrev_b32_e32 v18, 3, v14
	v_sub_u32_e32 v17, 29, v19
	v_and_b32_e32 v16, 7, v16
	v_cmp_gt_u32_e32 vcc, 8, v14
	v_cndmask_b32_e32 v14, v18, v17, vcc
	v_cndmask_b32_e32 v12, v12, v16, vcc
	v_lshlrev_b32_e32 v8, 24, v8
	v_lshlrev_b32_e32 v12, 20, v12
	v_and_b32_e32 v8, 0x80000000, v8
	v_lshl_add_u32 v14, v14, 23, v10
	v_or3_b32 v12, v8, v14, v12
.LBB467_1004:                           ;   in Loop: Header=BB467_796 Depth=1
	s_or_b64 exec, exec, s[18:19]
.LBB467_1005:                           ;   in Loop: Header=BB467_796 Depth=1
	s_or_b64 exec, exec, s[16:17]
.LBB467_1006:                           ;   in Loop: Header=BB467_796 Depth=1
	s_or_b64 exec, exec, s[14:15]
	v_cmp_lt_u32_e32 vcc, s22, v6
	v_mov_b32_e32 v16, 0
	v_mov_b32_e32 v17, 0
	s_and_saveexec_b64 s[14:15], vcc
	s_cbranch_execz .LBB467_1012
; %bb.1007:                             ;   in Loop: Header=BB467_796 Depth=1
	v_lshrrev_b32_e32 v8, 24, v6
	v_cmp_ne_u32_e32 vcc, s5, v8
	v_bfrev_b32_e32 v17, 1
	s_and_saveexec_b64 s[16:17], vcc
	s_cbranch_execz .LBB467_1011
; %bb.1008:                             ;   in Loop: Header=BB467_796 Depth=1
	v_bfe_u32 v6, v6, 24, 7
	v_cmp_ne_u32_e32 vcc, s21, v6
	v_mov_b32_e32 v17, 0x7f800001
	s_and_saveexec_b64 s[18:19], vcc
	s_cbranch_execz .LBB467_1010
; %bb.1009:                             ;   in Loop: Header=BB467_796 Depth=1
	v_and_b32_e32 v14, 7, v8
	v_ffbh_u32_e32 v18, v14
	v_min_u32_e32 v20, 32, v18
	v_subrev_u32_e32 v18, 28, v20
	v_lshlrev_b64 v[18:19], v18, v[8:9]
	v_lshrrev_b32_e32 v17, 3, v6
	v_sub_u32_e32 v19, 29, v20
	v_and_b32_e32 v18, 7, v18
	v_cmp_gt_u32_e32 vcc, 8, v6
	v_cndmask_b32_e32 v6, v17, v19, vcc
	v_cndmask_b32_e32 v14, v14, v18, vcc
	v_lshlrev_b32_e32 v8, 24, v8
	v_lshlrev_b32_e32 v14, 20, v14
	v_and_b32_e32 v8, 0x80000000, v8
	v_lshl_add_u32 v6, v6, 23, v10
	v_or3_b32 v17, v8, v6, v14
.LBB467_1010:                           ;   in Loop: Header=BB467_796 Depth=1
	s_or_b64 exec, exec, s[18:19]
.LBB467_1011:                           ;   in Loop: Header=BB467_796 Depth=1
	s_or_b64 exec, exec, s[16:17]
.LBB467_1012:                           ;   in Loop: Header=BB467_796 Depth=1
	s_or_b64 exec, exec, s[14:15]
	s_waitcnt vmcnt(0)
	v_cmp_ne_u16_sdwa s[16:17], v4, v9 src0_sel:BYTE_0 src1_sel:DWORD
	s_and_saveexec_b64 s[14:15], s[16:17]
	s_cbranch_execz .LBB467_1018
; %bb.1013:                             ;   in Loop: Header=BB467_796 Depth=1
	v_cmp_ne_u16_sdwa s[18:19], v4, s5 src0_sel:BYTE_0 src1_sel:DWORD
	v_bfrev_b32_e32 v16, 1
	s_and_saveexec_b64 s[16:17], s[18:19]
	s_cbranch_execz .LBB467_1017
; %bb.1014:                             ;   in Loop: Header=BB467_796 Depth=1
	v_and_b32_e32 v6, 0x7f, v4
	v_cmp_ne_u32_e32 vcc, s21, v6
	v_mov_b32_e32 v16, 0x7f800001
	s_and_saveexec_b64 s[18:19], vcc
	s_cbranch_execz .LBB467_1016
; %bb.1015:                             ;   in Loop: Header=BB467_796 Depth=1
	v_and_b32_e32 v8, 7, v4
	v_ffbh_u32_e32 v16, v8
	v_min_u32_e32 v16, 32, v16
	v_subrev_u32_e32 v18, 28, v16
	v_lshlrev_b64 v[18:19], v18, v[4:5]
	v_lshrrev_b32_e32 v14, 3, v6
	v_sub_u32_e32 v16, 29, v16
	v_and_b32_e32 v18, 7, v18
	v_cmp_gt_u32_e32 vcc, 8, v6
	v_cndmask_b32_e32 v6, v14, v16, vcc
	v_cndmask_b32_e32 v8, v8, v18, vcc
	v_lshlrev_b32_e32 v14, 24, v4
	v_lshlrev_b32_e32 v8, 20, v8
	v_and_b32_e32 v14, 0x80000000, v14
	v_lshl_add_u32 v6, v6, 23, v10
	v_or3_b32 v16, v14, v6, v8
.LBB467_1016:                           ;   in Loop: Header=BB467_796 Depth=1
	s_or_b64 exec, exec, s[18:19]
.LBB467_1017:                           ;   in Loop: Header=BB467_796 Depth=1
	s_or_b64 exec, exec, s[16:17]
.LBB467_1018:                           ;   in Loop: Header=BB467_796 Depth=1
	s_or_b64 exec, exec, s[14:15]
	v_lshrrev_b16_e32 v6, 8, v4
	v_cmp_ne_u16_e32 vcc, 0, v6
	v_mov_b32_e32 v8, 0
	v_mov_b32_e32 v18, 0
	s_and_saveexec_b64 s[14:15], vcc
	s_cbranch_execz .LBB467_1024
; %bb.1019:                             ;   in Loop: Header=BB467_796 Depth=1
	v_cmp_ne_u16_e32 vcc, s5, v6
	v_bfrev_b32_e32 v18, 1
	s_and_saveexec_b64 s[16:17], vcc
	s_cbranch_execz .LBB467_1023
; %bb.1020:                             ;   in Loop: Header=BB467_796 Depth=1
	v_and_b32_e32 v14, 0x7f, v6
	v_cmp_ne_u32_e32 vcc, s21, v14
	v_mov_b32_e32 v18, 0x7f800001
	s_and_saveexec_b64 s[18:19], vcc
	s_cbranch_execz .LBB467_1022
; %bb.1021:                             ;   in Loop: Header=BB467_796 Depth=1
	v_and_b32_e32 v20, 7, v6
	v_ffbh_u32_e32 v18, v20
	v_min_u32_e32 v22, 32, v18
	v_subrev_u32_e32 v18, 28, v22
	v_lshlrev_b64 v[18:19], v18, v[6:7]
	v_lshrrev_b32_e32 v21, 3, v14
	v_sub_u32_e32 v6, 29, v22
	v_and_b32_e32 v18, 7, v18
	v_cmp_gt_u32_e32 vcc, 8, v14
	v_cndmask_b32_e32 v6, v21, v6, vcc
	v_cndmask_b32_e32 v14, v20, v18, vcc
	v_lshlrev_b32_e32 v18, 16, v4
	v_lshlrev_b32_e32 v14, 20, v14
	v_and_b32_e32 v18, 0x80000000, v18
	v_lshl_add_u32 v6, v6, 23, v10
	v_or3_b32 v18, v18, v6, v14
.LBB467_1022:                           ;   in Loop: Header=BB467_796 Depth=1
	s_or_b64 exec, exec, s[18:19]
.LBB467_1023:                           ;   in Loop: Header=BB467_796 Depth=1
	s_or_b64 exec, exec, s[16:17]
.LBB467_1024:                           ;   in Loop: Header=BB467_796 Depth=1
	s_or_b64 exec, exec, s[14:15]
	v_lshrrev_b32_e32 v6, 16, v4
	v_cmp_ne_u16_sdwa s[16:17], v6, v9 src0_sel:BYTE_0 src1_sel:DWORD
	s_and_saveexec_b64 s[14:15], s[16:17]
	s_cbranch_execz .LBB467_1030
; %bb.1025:                             ;   in Loop: Header=BB467_796 Depth=1
	v_cmp_ne_u16_sdwa s[18:19], v6, s5 src0_sel:BYTE_0 src1_sel:DWORD
	v_bfrev_b32_e32 v8, 1
	s_and_saveexec_b64 s[16:17], s[18:19]
	s_cbranch_execz .LBB467_1029
; %bb.1026:                             ;   in Loop: Header=BB467_796 Depth=1
	v_bfe_u32 v14, v4, 16, 7
	v_cmp_ne_u32_e32 vcc, s21, v14
	v_mov_b32_e32 v8, 0x7f800001
	s_and_saveexec_b64 s[18:19], vcc
	s_cbranch_execz .LBB467_1028
; %bb.1027:                             ;   in Loop: Header=BB467_796 Depth=1
	v_and_b32_e32 v8, 7, v6
	v_ffbh_u32_e32 v20, v8
	v_min_u32_e32 v22, 32, v20
	v_subrev_u32_e32 v20, 28, v22
	v_lshlrev_b64 v[20:21], v20, v[6:7]
	v_lshrrev_b32_e32 v19, 3, v14
	v_sub_u32_e32 v21, 29, v22
	v_and_b32_e32 v20, 7, v20
	v_cmp_gt_u32_e32 vcc, 8, v14
	v_cndmask_b32_e32 v14, v19, v21, vcc
	v_cndmask_b32_e32 v8, v8, v20, vcc
	v_lshlrev_b32_e32 v6, 24, v6
	v_lshlrev_b32_e32 v8, 20, v8
	v_and_b32_e32 v6, 0x80000000, v6
	v_lshl_add_u32 v14, v14, 23, v10
	v_or3_b32 v8, v6, v14, v8
.LBB467_1028:                           ;   in Loop: Header=BB467_796 Depth=1
	s_or_b64 exec, exec, s[18:19]
.LBB467_1029:                           ;   in Loop: Header=BB467_796 Depth=1
	s_or_b64 exec, exec, s[16:17]
.LBB467_1030:                           ;   in Loop: Header=BB467_796 Depth=1
	s_or_b64 exec, exec, s[14:15]
	v_cmp_lt_u32_e32 vcc, s22, v4
	v_mov_b32_e32 v14, 0
	v_mov_b32_e32 v19, 0
	s_and_saveexec_b64 s[14:15], vcc
	s_cbranch_execz .LBB467_1036
; %bb.1031:                             ;   in Loop: Header=BB467_796 Depth=1
	v_lshrrev_b32_e32 v6, 24, v4
	v_cmp_ne_u32_e32 vcc, s5, v6
	v_bfrev_b32_e32 v19, 1
	s_and_saveexec_b64 s[16:17], vcc
	s_cbranch_execz .LBB467_1035
; %bb.1032:                             ;   in Loop: Header=BB467_796 Depth=1
	v_bfe_u32 v4, v4, 24, 7
	v_cmp_ne_u32_e32 vcc, s21, v4
	v_mov_b32_e32 v19, 0x7f800001
	s_and_saveexec_b64 s[18:19], vcc
	s_cbranch_execz .LBB467_1034
; %bb.1033:                             ;   in Loop: Header=BB467_796 Depth=1
	v_and_b32_e32 v19, 7, v6
	v_ffbh_u32_e32 v20, v19
	v_min_u32_e32 v23, 32, v20
	v_subrev_u32_e32 v20, 28, v23
	v_lshlrev_b64 v[20:21], v20, v[6:7]
	v_lshrrev_b32_e32 v22, 3, v4
	v_sub_u32_e32 v21, 29, v23
	v_and_b32_e32 v20, 7, v20
	v_cmp_gt_u32_e32 vcc, 8, v4
	v_cndmask_b32_e32 v4, v22, v21, vcc
	v_cndmask_b32_e32 v19, v19, v20, vcc
	v_lshlrev_b32_e32 v6, 24, v6
	v_lshlrev_b32_e32 v19, 20, v19
	v_and_b32_e32 v6, 0x80000000, v6
	v_lshl_add_u32 v4, v4, 23, v10
	v_or3_b32 v19, v6, v4, v19
.LBB467_1034:                           ;   in Loop: Header=BB467_796 Depth=1
	s_or_b64 exec, exec, s[18:19]
.LBB467_1035:                           ;   in Loop: Header=BB467_796 Depth=1
	s_or_b64 exec, exec, s[16:17]
.LBB467_1036:                           ;   in Loop: Header=BB467_796 Depth=1
	s_or_b64 exec, exec, s[14:15]
	buffer_load_dword v6, v11, s[0:3], 0 offen offset:40
	buffer_load_dword v4, v11, s[0:3], 0 offen offset:44
	v_cvt_pkrtz_f16_f32 v20, v13, v15
	v_cvt_pkrtz_f16_f32 v21, v12, v17
	;; [unrolled: 1-line block ×4, first 2 shown]
	v_mfma_f32_4x4x4f16 a[0:3], v[2:3], v[20:21], a[0:3] cbsz:4 abid:8
	s_waitcnt vmcnt(1)
	v_cmp_ne_u16_sdwa s[16:17], v6, v9 src0_sel:BYTE_0 src1_sel:DWORD
	v_mfma_f32_4x4x4f16 a[0:3], v[2:3], v[12:13], a[0:3] cbsz:4 abid:9
	s_and_saveexec_b64 s[14:15], s[16:17]
	s_cbranch_execz .LBB467_1042
; %bb.1037:                             ;   in Loop: Header=BB467_796 Depth=1
	v_cmp_ne_u16_sdwa s[18:19], v6, s5 src0_sel:BYTE_0 src1_sel:DWORD
	v_bfrev_b32_e32 v14, 1
	s_and_saveexec_b64 s[16:17], s[18:19]
	s_cbranch_execz .LBB467_1041
; %bb.1038:                             ;   in Loop: Header=BB467_796 Depth=1
	v_and_b32_e32 v8, 0x7f, v6
	v_cmp_ne_u32_e32 vcc, s21, v8
	v_mov_b32_e32 v14, 0x7f800001
	s_and_saveexec_b64 s[18:19], vcc
	s_cbranch_execz .LBB467_1040
; %bb.1039:                             ;   in Loop: Header=BB467_796 Depth=1
	v_and_b32_e32 v14, 7, v6
	v_ffbh_u32_e32 v12, v14
	v_min_u32_e32 v16, 32, v12
	v_subrev_u32_e32 v12, 28, v16
	v_lshlrev_b64 v[12:13], v12, v[6:7]
	v_lshrrev_b32_e32 v15, 3, v8
	v_sub_u32_e32 v13, 29, v16
	v_and_b32_e32 v12, 7, v12
	v_cmp_gt_u32_e32 vcc, 8, v8
	v_cndmask_b32_e32 v8, v15, v13, vcc
	v_cndmask_b32_e32 v12, v14, v12, vcc
	v_lshlrev_b32_e32 v13, 24, v6
	v_lshlrev_b32_e32 v12, 20, v12
	v_and_b32_e32 v13, 0x80000000, v13
	v_lshl_add_u32 v8, v8, 23, v10
	v_or3_b32 v14, v13, v8, v12
.LBB467_1040:                           ;   in Loop: Header=BB467_796 Depth=1
	s_or_b64 exec, exec, s[18:19]
.LBB467_1041:                           ;   in Loop: Header=BB467_796 Depth=1
	s_or_b64 exec, exec, s[16:17]
.LBB467_1042:                           ;   in Loop: Header=BB467_796 Depth=1
	s_or_b64 exec, exec, s[14:15]
	v_lshrrev_b16_e32 v8, 8, v6
	v_cmp_ne_u16_e32 vcc, 0, v8
	v_mov_b32_e32 v13, 0
	v_mov_b32_e32 v15, 0
	s_and_saveexec_b64 s[14:15], vcc
	s_cbranch_execz .LBB467_1048
; %bb.1043:                             ;   in Loop: Header=BB467_796 Depth=1
	v_cmp_ne_u16_e32 vcc, s5, v8
	v_bfrev_b32_e32 v15, 1
	s_and_saveexec_b64 s[16:17], vcc
	s_cbranch_execz .LBB467_1047
; %bb.1044:                             ;   in Loop: Header=BB467_796 Depth=1
	v_and_b32_e32 v12, 0x7f, v8
	v_cmp_ne_u32_e32 vcc, s21, v12
	v_mov_b32_e32 v15, 0x7f800001
	s_and_saveexec_b64 s[18:19], vcc
	s_cbranch_execz .LBB467_1046
; %bb.1045:                             ;   in Loop: Header=BB467_796 Depth=1
	v_and_b32_e32 v15, 7, v8
	v_ffbh_u32_e32 v16, v15
	v_min_u32_e32 v19, 32, v16
	v_subrev_u32_e32 v16, 28, v19
	v_lshlrev_b64 v[16:17], v16, v[8:9]
	v_lshrrev_b32_e32 v18, 3, v12
	v_sub_u32_e32 v8, 29, v19
	v_and_b32_e32 v16, 7, v16
	v_cmp_gt_u32_e32 vcc, 8, v12
	v_cndmask_b32_e32 v8, v18, v8, vcc
	v_cndmask_b32_e32 v12, v15, v16, vcc
	v_lshlrev_b32_e32 v15, 16, v6
	v_lshlrev_b32_e32 v12, 20, v12
	v_and_b32_e32 v15, 0x80000000, v15
	v_lshl_add_u32 v8, v8, 23, v10
	v_or3_b32 v15, v15, v8, v12
.LBB467_1046:                           ;   in Loop: Header=BB467_796 Depth=1
	s_or_b64 exec, exec, s[18:19]
.LBB467_1047:                           ;   in Loop: Header=BB467_796 Depth=1
	s_or_b64 exec, exec, s[16:17]
.LBB467_1048:                           ;   in Loop: Header=BB467_796 Depth=1
	s_or_b64 exec, exec, s[14:15]
	v_lshrrev_b32_e32 v8, 16, v6
	v_cmp_ne_u16_sdwa s[16:17], v8, v9 src0_sel:BYTE_0 src1_sel:DWORD
	s_and_saveexec_b64 s[14:15], s[16:17]
	s_cbranch_execz .LBB467_1054
; %bb.1049:                             ;   in Loop: Header=BB467_796 Depth=1
	v_cmp_ne_u16_sdwa s[18:19], v8, s5 src0_sel:BYTE_0 src1_sel:DWORD
	v_bfrev_b32_e32 v13, 1
	s_and_saveexec_b64 s[16:17], s[18:19]
	s_cbranch_execz .LBB467_1053
; %bb.1050:                             ;   in Loop: Header=BB467_796 Depth=1
	v_bfe_u32 v12, v6, 16, 7
	v_cmp_ne_u32_e32 vcc, s21, v12
	v_mov_b32_e32 v13, 0x7f800001
	s_and_saveexec_b64 s[18:19], vcc
	s_cbranch_execz .LBB467_1052
; %bb.1051:                             ;   in Loop: Header=BB467_796 Depth=1
	v_and_b32_e32 v13, 7, v8
	v_ffbh_u32_e32 v16, v13
	v_min_u32_e32 v19, 32, v16
	v_subrev_u32_e32 v16, 28, v19
	v_lshlrev_b64 v[16:17], v16, v[8:9]
	v_lshrrev_b32_e32 v18, 3, v12
	v_sub_u32_e32 v17, 29, v19
	v_and_b32_e32 v16, 7, v16
	v_cmp_gt_u32_e32 vcc, 8, v12
	v_cndmask_b32_e32 v12, v18, v17, vcc
	v_cndmask_b32_e32 v13, v13, v16, vcc
	v_lshlrev_b32_e32 v8, 24, v8
	v_lshlrev_b32_e32 v13, 20, v13
	v_and_b32_e32 v8, 0x80000000, v8
	v_lshl_add_u32 v12, v12, 23, v10
	v_or3_b32 v13, v8, v12, v13
.LBB467_1052:                           ;   in Loop: Header=BB467_796 Depth=1
	s_or_b64 exec, exec, s[18:19]
.LBB467_1053:                           ;   in Loop: Header=BB467_796 Depth=1
	s_or_b64 exec, exec, s[16:17]
.LBB467_1054:                           ;   in Loop: Header=BB467_796 Depth=1
	s_or_b64 exec, exec, s[14:15]
	v_cmp_lt_u32_e32 vcc, s22, v6
	v_mov_b32_e32 v16, 0
	v_mov_b32_e32 v17, 0
	s_and_saveexec_b64 s[14:15], vcc
	s_cbranch_execz .LBB467_1060
; %bb.1055:                             ;   in Loop: Header=BB467_796 Depth=1
	v_lshrrev_b32_e32 v8, 24, v6
	v_cmp_ne_u32_e32 vcc, s5, v8
	v_bfrev_b32_e32 v17, 1
	s_and_saveexec_b64 s[16:17], vcc
	s_cbranch_execz .LBB467_1059
; %bb.1056:                             ;   in Loop: Header=BB467_796 Depth=1
	v_bfe_u32 v6, v6, 24, 7
	v_cmp_ne_u32_e32 vcc, s21, v6
	v_mov_b32_e32 v17, 0x7f800001
	s_and_saveexec_b64 s[18:19], vcc
	s_cbranch_execz .LBB467_1058
; %bb.1057:                             ;   in Loop: Header=BB467_796 Depth=1
	v_and_b32_e32 v12, 7, v8
	v_ffbh_u32_e32 v18, v12
	v_min_u32_e32 v20, 32, v18
	v_subrev_u32_e32 v18, 28, v20
	v_lshlrev_b64 v[18:19], v18, v[8:9]
	v_lshrrev_b32_e32 v17, 3, v6
	v_sub_u32_e32 v19, 29, v20
	v_and_b32_e32 v18, 7, v18
	v_cmp_gt_u32_e32 vcc, 8, v6
	v_cndmask_b32_e32 v6, v17, v19, vcc
	v_cndmask_b32_e32 v12, v12, v18, vcc
	v_lshlrev_b32_e32 v8, 24, v8
	v_lshlrev_b32_e32 v12, 20, v12
	v_and_b32_e32 v8, 0x80000000, v8
	v_lshl_add_u32 v6, v6, 23, v10
	v_or3_b32 v17, v8, v6, v12
.LBB467_1058:                           ;   in Loop: Header=BB467_796 Depth=1
	s_or_b64 exec, exec, s[18:19]
.LBB467_1059:                           ;   in Loop: Header=BB467_796 Depth=1
	s_or_b64 exec, exec, s[16:17]
.LBB467_1060:                           ;   in Loop: Header=BB467_796 Depth=1
	s_or_b64 exec, exec, s[14:15]
	s_waitcnt vmcnt(0)
	v_cmp_ne_u16_sdwa s[16:17], v4, v9 src0_sel:BYTE_0 src1_sel:DWORD
	s_and_saveexec_b64 s[14:15], s[16:17]
	s_cbranch_execz .LBB467_1066
; %bb.1061:                             ;   in Loop: Header=BB467_796 Depth=1
	v_cmp_ne_u16_sdwa s[18:19], v4, s5 src0_sel:BYTE_0 src1_sel:DWORD
	v_bfrev_b32_e32 v16, 1
	s_and_saveexec_b64 s[16:17], s[18:19]
	s_cbranch_execz .LBB467_1065
; %bb.1062:                             ;   in Loop: Header=BB467_796 Depth=1
	v_and_b32_e32 v6, 0x7f, v4
	v_cmp_ne_u32_e32 vcc, s21, v6
	v_mov_b32_e32 v16, 0x7f800001
	s_and_saveexec_b64 s[18:19], vcc
	s_cbranch_execz .LBB467_1064
; %bb.1063:                             ;   in Loop: Header=BB467_796 Depth=1
	v_and_b32_e32 v8, 7, v4
	v_ffbh_u32_e32 v16, v8
	v_min_u32_e32 v16, 32, v16
	v_subrev_u32_e32 v18, 28, v16
	v_lshlrev_b64 v[18:19], v18, v[4:5]
	v_lshrrev_b32_e32 v12, 3, v6
	v_sub_u32_e32 v16, 29, v16
	v_and_b32_e32 v18, 7, v18
	v_cmp_gt_u32_e32 vcc, 8, v6
	v_cndmask_b32_e32 v6, v12, v16, vcc
	v_cndmask_b32_e32 v8, v8, v18, vcc
	v_lshlrev_b32_e32 v12, 24, v4
	v_lshlrev_b32_e32 v8, 20, v8
	v_and_b32_e32 v12, 0x80000000, v12
	v_lshl_add_u32 v6, v6, 23, v10
	v_or3_b32 v16, v12, v6, v8
.LBB467_1064:                           ;   in Loop: Header=BB467_796 Depth=1
	s_or_b64 exec, exec, s[18:19]
.LBB467_1065:                           ;   in Loop: Header=BB467_796 Depth=1
	s_or_b64 exec, exec, s[16:17]
.LBB467_1066:                           ;   in Loop: Header=BB467_796 Depth=1
	s_or_b64 exec, exec, s[14:15]
	v_lshrrev_b16_e32 v6, 8, v4
	v_cmp_ne_u16_e32 vcc, 0, v6
	v_mov_b32_e32 v8, 0
	v_mov_b32_e32 v18, 0
	s_and_saveexec_b64 s[14:15], vcc
	s_cbranch_execz .LBB467_1072
; %bb.1067:                             ;   in Loop: Header=BB467_796 Depth=1
	v_cmp_ne_u16_e32 vcc, s5, v6
	v_bfrev_b32_e32 v18, 1
	s_and_saveexec_b64 s[16:17], vcc
	s_cbranch_execz .LBB467_1071
; %bb.1068:                             ;   in Loop: Header=BB467_796 Depth=1
	v_and_b32_e32 v12, 0x7f, v6
	v_cmp_ne_u32_e32 vcc, s21, v12
	v_mov_b32_e32 v18, 0x7f800001
	s_and_saveexec_b64 s[18:19], vcc
	s_cbranch_execz .LBB467_1070
; %bb.1069:                             ;   in Loop: Header=BB467_796 Depth=1
	v_and_b32_e32 v20, 7, v6
	v_ffbh_u32_e32 v18, v20
	v_min_u32_e32 v22, 32, v18
	v_subrev_u32_e32 v18, 28, v22
	v_lshlrev_b64 v[18:19], v18, v[6:7]
	v_lshrrev_b32_e32 v21, 3, v12
	v_sub_u32_e32 v6, 29, v22
	v_and_b32_e32 v18, 7, v18
	v_cmp_gt_u32_e32 vcc, 8, v12
	v_cndmask_b32_e32 v6, v21, v6, vcc
	v_cndmask_b32_e32 v12, v20, v18, vcc
	v_lshlrev_b32_e32 v18, 16, v4
	v_lshlrev_b32_e32 v12, 20, v12
	v_and_b32_e32 v18, 0x80000000, v18
	v_lshl_add_u32 v6, v6, 23, v10
	v_or3_b32 v18, v18, v6, v12
.LBB467_1070:                           ;   in Loop: Header=BB467_796 Depth=1
	s_or_b64 exec, exec, s[18:19]
.LBB467_1071:                           ;   in Loop: Header=BB467_796 Depth=1
	s_or_b64 exec, exec, s[16:17]
.LBB467_1072:                           ;   in Loop: Header=BB467_796 Depth=1
	s_or_b64 exec, exec, s[14:15]
	v_lshrrev_b32_e32 v6, 16, v4
	v_cmp_ne_u16_sdwa s[16:17], v6, v9 src0_sel:BYTE_0 src1_sel:DWORD
	s_and_saveexec_b64 s[14:15], s[16:17]
	s_cbranch_execz .LBB467_1078
; %bb.1073:                             ;   in Loop: Header=BB467_796 Depth=1
	v_cmp_ne_u16_sdwa s[18:19], v6, s5 src0_sel:BYTE_0 src1_sel:DWORD
	v_bfrev_b32_e32 v8, 1
	s_and_saveexec_b64 s[16:17], s[18:19]
	s_cbranch_execz .LBB467_1077
; %bb.1074:                             ;   in Loop: Header=BB467_796 Depth=1
	v_bfe_u32 v12, v4, 16, 7
	v_cmp_ne_u32_e32 vcc, s21, v12
	v_mov_b32_e32 v8, 0x7f800001
	s_and_saveexec_b64 s[18:19], vcc
	s_cbranch_execz .LBB467_1076
; %bb.1075:                             ;   in Loop: Header=BB467_796 Depth=1
	v_and_b32_e32 v8, 7, v6
	v_ffbh_u32_e32 v20, v8
	v_min_u32_e32 v22, 32, v20
	v_subrev_u32_e32 v20, 28, v22
	v_lshlrev_b64 v[20:21], v20, v[6:7]
	v_lshrrev_b32_e32 v19, 3, v12
	v_sub_u32_e32 v21, 29, v22
	v_and_b32_e32 v20, 7, v20
	v_cmp_gt_u32_e32 vcc, 8, v12
	v_cndmask_b32_e32 v12, v19, v21, vcc
	v_cndmask_b32_e32 v8, v8, v20, vcc
	v_lshlrev_b32_e32 v6, 24, v6
	v_lshlrev_b32_e32 v8, 20, v8
	v_and_b32_e32 v6, 0x80000000, v6
	v_lshl_add_u32 v12, v12, 23, v10
	v_or3_b32 v8, v6, v12, v8
.LBB467_1076:                           ;   in Loop: Header=BB467_796 Depth=1
	s_or_b64 exec, exec, s[18:19]
.LBB467_1077:                           ;   in Loop: Header=BB467_796 Depth=1
	s_or_b64 exec, exec, s[16:17]
.LBB467_1078:                           ;   in Loop: Header=BB467_796 Depth=1
	s_or_b64 exec, exec, s[14:15]
	v_cmp_lt_u32_e32 vcc, s22, v4
	v_mov_b32_e32 v12, 0
	v_mov_b32_e32 v19, 0
	s_and_saveexec_b64 s[14:15], vcc
	s_cbranch_execz .LBB467_1084
; %bb.1079:                             ;   in Loop: Header=BB467_796 Depth=1
	v_lshrrev_b32_e32 v6, 24, v4
	v_cmp_ne_u32_e32 vcc, s5, v6
	v_bfrev_b32_e32 v19, 1
	s_and_saveexec_b64 s[16:17], vcc
	s_cbranch_execz .LBB467_1083
; %bb.1080:                             ;   in Loop: Header=BB467_796 Depth=1
	v_bfe_u32 v4, v4, 24, 7
	v_cmp_ne_u32_e32 vcc, s21, v4
	v_mov_b32_e32 v19, 0x7f800001
	s_and_saveexec_b64 s[18:19], vcc
	s_cbranch_execz .LBB467_1082
; %bb.1081:                             ;   in Loop: Header=BB467_796 Depth=1
	v_and_b32_e32 v19, 7, v6
	v_ffbh_u32_e32 v20, v19
	v_min_u32_e32 v23, 32, v20
	v_subrev_u32_e32 v20, 28, v23
	v_lshlrev_b64 v[20:21], v20, v[6:7]
	v_lshrrev_b32_e32 v22, 3, v4
	v_sub_u32_e32 v21, 29, v23
	v_and_b32_e32 v20, 7, v20
	v_cmp_gt_u32_e32 vcc, 8, v4
	v_cndmask_b32_e32 v4, v22, v21, vcc
	v_cndmask_b32_e32 v19, v19, v20, vcc
	v_lshlrev_b32_e32 v6, 24, v6
	v_lshlrev_b32_e32 v19, 20, v19
	v_and_b32_e32 v6, 0x80000000, v6
	v_lshl_add_u32 v4, v4, 23, v10
	v_or3_b32 v19, v6, v4, v19
.LBB467_1082:                           ;   in Loop: Header=BB467_796 Depth=1
	s_or_b64 exec, exec, s[18:19]
.LBB467_1083:                           ;   in Loop: Header=BB467_796 Depth=1
	s_or_b64 exec, exec, s[16:17]
.LBB467_1084:                           ;   in Loop: Header=BB467_796 Depth=1
	s_or_b64 exec, exec, s[14:15]
	buffer_load_dword v6, v11, s[0:3], 0 offen offset:48
	buffer_load_dword v4, v11, s[0:3], 0 offen offset:52
	v_cvt_pkrtz_f16_f32 v14, v14, v15
	v_cvt_pkrtz_f16_f32 v15, v13, v17
	;; [unrolled: 1-line block ×4, first 2 shown]
	v_mfma_f32_4x4x4f16 a[0:3], v[2:3], v[14:15], a[0:3] cbsz:4 abid:10
	s_waitcnt vmcnt(1)
	v_cmp_ne_u16_sdwa s[16:17], v6, v9 src0_sel:BYTE_0 src1_sel:DWORD
	v_mfma_f32_4x4x4f16 a[0:3], v[2:3], v[16:17], a[0:3] cbsz:4 abid:11
	s_and_saveexec_b64 s[14:15], s[16:17]
	s_cbranch_execz .LBB467_1090
; %bb.1085:                             ;   in Loop: Header=BB467_796 Depth=1
	v_cmp_ne_u16_sdwa s[18:19], v6, s5 src0_sel:BYTE_0 src1_sel:DWORD
	v_bfrev_b32_e32 v12, 1
	s_and_saveexec_b64 s[16:17], s[18:19]
	s_cbranch_execz .LBB467_1089
; %bb.1086:                             ;   in Loop: Header=BB467_796 Depth=1
	v_and_b32_e32 v8, 0x7f, v6
	v_cmp_ne_u32_e32 vcc, s21, v8
	v_mov_b32_e32 v12, 0x7f800001
	s_and_saveexec_b64 s[18:19], vcc
	s_cbranch_execz .LBB467_1088
; %bb.1087:                             ;   in Loop: Header=BB467_796 Depth=1
	v_and_b32_e32 v14, 7, v6
	v_ffbh_u32_e32 v12, v14
	v_min_u32_e32 v16, 32, v12
	v_subrev_u32_e32 v12, 28, v16
	v_lshlrev_b64 v[12:13], v12, v[6:7]
	v_lshrrev_b32_e32 v15, 3, v8
	v_sub_u32_e32 v13, 29, v16
	v_and_b32_e32 v12, 7, v12
	v_cmp_gt_u32_e32 vcc, 8, v8
	v_cndmask_b32_e32 v8, v15, v13, vcc
	v_cndmask_b32_e32 v12, v14, v12, vcc
	v_lshlrev_b32_e32 v13, 24, v6
	v_lshlrev_b32_e32 v12, 20, v12
	v_and_b32_e32 v13, 0x80000000, v13
	v_lshl_add_u32 v8, v8, 23, v10
	v_or3_b32 v12, v13, v8, v12
.LBB467_1088:                           ;   in Loop: Header=BB467_796 Depth=1
	s_or_b64 exec, exec, s[18:19]
.LBB467_1089:                           ;   in Loop: Header=BB467_796 Depth=1
	s_or_b64 exec, exec, s[16:17]
.LBB467_1090:                           ;   in Loop: Header=BB467_796 Depth=1
	s_or_b64 exec, exec, s[14:15]
	v_lshrrev_b16_e32 v8, 8, v6
	v_cmp_ne_u16_e32 vcc, 0, v8
	v_mov_b32_e32 v14, 0
	v_mov_b32_e32 v15, 0
	s_and_saveexec_b64 s[14:15], vcc
	s_cbranch_execz .LBB467_1096
; %bb.1091:                             ;   in Loop: Header=BB467_796 Depth=1
	v_cmp_ne_u16_e32 vcc, s5, v8
	v_bfrev_b32_e32 v15, 1
	s_and_saveexec_b64 s[16:17], vcc
	s_cbranch_execz .LBB467_1095
; %bb.1092:                             ;   in Loop: Header=BB467_796 Depth=1
	v_and_b32_e32 v13, 0x7f, v8
	v_cmp_ne_u32_e32 vcc, s21, v13
	v_mov_b32_e32 v15, 0x7f800001
	s_and_saveexec_b64 s[18:19], vcc
	s_cbranch_execz .LBB467_1094
; %bb.1093:                             ;   in Loop: Header=BB467_796 Depth=1
	v_and_b32_e32 v15, 7, v8
	v_ffbh_u32_e32 v16, v15
	v_min_u32_e32 v19, 32, v16
	v_subrev_u32_e32 v16, 28, v19
	v_lshlrev_b64 v[16:17], v16, v[8:9]
	v_lshrrev_b32_e32 v18, 3, v13
	v_sub_u32_e32 v8, 29, v19
	v_and_b32_e32 v16, 7, v16
	v_cmp_gt_u32_e32 vcc, 8, v13
	v_cndmask_b32_e32 v8, v18, v8, vcc
	v_cndmask_b32_e32 v13, v15, v16, vcc
	v_lshlrev_b32_e32 v15, 16, v6
	v_lshlrev_b32_e32 v13, 20, v13
	v_and_b32_e32 v15, 0x80000000, v15
	v_lshl_add_u32 v8, v8, 23, v10
	v_or3_b32 v15, v15, v8, v13
.LBB467_1094:                           ;   in Loop: Header=BB467_796 Depth=1
	s_or_b64 exec, exec, s[18:19]
.LBB467_1095:                           ;   in Loop: Header=BB467_796 Depth=1
	s_or_b64 exec, exec, s[16:17]
.LBB467_1096:                           ;   in Loop: Header=BB467_796 Depth=1
	s_or_b64 exec, exec, s[14:15]
	v_lshrrev_b32_e32 v8, 16, v6
	v_cmp_ne_u16_sdwa s[16:17], v8, v9 src0_sel:BYTE_0 src1_sel:DWORD
	s_and_saveexec_b64 s[14:15], s[16:17]
	s_cbranch_execz .LBB467_1102
; %bb.1097:                             ;   in Loop: Header=BB467_796 Depth=1
	v_cmp_ne_u16_sdwa s[18:19], v8, s5 src0_sel:BYTE_0 src1_sel:DWORD
	v_bfrev_b32_e32 v14, 1
	s_and_saveexec_b64 s[16:17], s[18:19]
	s_cbranch_execz .LBB467_1101
; %bb.1098:                             ;   in Loop: Header=BB467_796 Depth=1
	v_bfe_u32 v13, v6, 16, 7
	v_cmp_ne_u32_e32 vcc, s21, v13
	v_mov_b32_e32 v14, 0x7f800001
	s_and_saveexec_b64 s[18:19], vcc
	s_cbranch_execz .LBB467_1100
; %bb.1099:                             ;   in Loop: Header=BB467_796 Depth=1
	v_and_b32_e32 v14, 7, v8
	v_ffbh_u32_e32 v16, v14
	v_min_u32_e32 v19, 32, v16
	v_subrev_u32_e32 v16, 28, v19
	v_lshlrev_b64 v[16:17], v16, v[8:9]
	v_lshrrev_b32_e32 v18, 3, v13
	v_sub_u32_e32 v17, 29, v19
	v_and_b32_e32 v16, 7, v16
	v_cmp_gt_u32_e32 vcc, 8, v13
	v_cndmask_b32_e32 v13, v18, v17, vcc
	v_cndmask_b32_e32 v14, v14, v16, vcc
	v_lshlrev_b32_e32 v8, 24, v8
	v_lshlrev_b32_e32 v14, 20, v14
	v_and_b32_e32 v8, 0x80000000, v8
	v_lshl_add_u32 v13, v13, 23, v10
	v_or3_b32 v14, v8, v13, v14
.LBB467_1100:                           ;   in Loop: Header=BB467_796 Depth=1
	s_or_b64 exec, exec, s[18:19]
.LBB467_1101:                           ;   in Loop: Header=BB467_796 Depth=1
	s_or_b64 exec, exec, s[16:17]
.LBB467_1102:                           ;   in Loop: Header=BB467_796 Depth=1
	s_or_b64 exec, exec, s[14:15]
	v_cmp_lt_u32_e32 vcc, s22, v6
	v_mov_b32_e32 v16, 0
	v_mov_b32_e32 v17, 0
	s_and_saveexec_b64 s[14:15], vcc
	s_cbranch_execz .LBB467_1108
; %bb.1103:                             ;   in Loop: Header=BB467_796 Depth=1
	v_lshrrev_b32_e32 v8, 24, v6
	v_cmp_ne_u32_e32 vcc, s5, v8
	v_bfrev_b32_e32 v17, 1
	s_and_saveexec_b64 s[16:17], vcc
	s_cbranch_execz .LBB467_1107
; %bb.1104:                             ;   in Loop: Header=BB467_796 Depth=1
	v_bfe_u32 v6, v6, 24, 7
	v_cmp_ne_u32_e32 vcc, s21, v6
	v_mov_b32_e32 v17, 0x7f800001
	s_and_saveexec_b64 s[18:19], vcc
	s_cbranch_execz .LBB467_1106
; %bb.1105:                             ;   in Loop: Header=BB467_796 Depth=1
	v_and_b32_e32 v13, 7, v8
	v_ffbh_u32_e32 v18, v13
	v_min_u32_e32 v20, 32, v18
	v_subrev_u32_e32 v18, 28, v20
	v_lshlrev_b64 v[18:19], v18, v[8:9]
	v_lshrrev_b32_e32 v17, 3, v6
	v_sub_u32_e32 v19, 29, v20
	v_and_b32_e32 v18, 7, v18
	v_cmp_gt_u32_e32 vcc, 8, v6
	v_cndmask_b32_e32 v6, v17, v19, vcc
	v_cndmask_b32_e32 v13, v13, v18, vcc
	v_lshlrev_b32_e32 v8, 24, v8
	v_lshlrev_b32_e32 v13, 20, v13
	v_and_b32_e32 v8, 0x80000000, v8
	v_lshl_add_u32 v6, v6, 23, v10
	v_or3_b32 v17, v8, v6, v13
.LBB467_1106:                           ;   in Loop: Header=BB467_796 Depth=1
	s_or_b64 exec, exec, s[18:19]
.LBB467_1107:                           ;   in Loop: Header=BB467_796 Depth=1
	s_or_b64 exec, exec, s[16:17]
.LBB467_1108:                           ;   in Loop: Header=BB467_796 Depth=1
	s_or_b64 exec, exec, s[14:15]
	s_waitcnt vmcnt(0)
	v_cmp_ne_u16_sdwa s[16:17], v4, v9 src0_sel:BYTE_0 src1_sel:DWORD
	s_and_saveexec_b64 s[14:15], s[16:17]
	s_cbranch_execz .LBB467_1114
; %bb.1109:                             ;   in Loop: Header=BB467_796 Depth=1
	v_cmp_ne_u16_sdwa s[18:19], v4, s5 src0_sel:BYTE_0 src1_sel:DWORD
	v_bfrev_b32_e32 v16, 1
	s_and_saveexec_b64 s[16:17], s[18:19]
	s_cbranch_execz .LBB467_1113
; %bb.1110:                             ;   in Loop: Header=BB467_796 Depth=1
	v_and_b32_e32 v6, 0x7f, v4
	v_cmp_ne_u32_e32 vcc, s21, v6
	v_mov_b32_e32 v16, 0x7f800001
	s_and_saveexec_b64 s[18:19], vcc
	s_cbranch_execz .LBB467_1112
; %bb.1111:                             ;   in Loop: Header=BB467_796 Depth=1
	v_and_b32_e32 v8, 7, v4
	v_ffbh_u32_e32 v16, v8
	v_min_u32_e32 v16, 32, v16
	v_subrev_u32_e32 v18, 28, v16
	v_lshlrev_b64 v[18:19], v18, v[4:5]
	v_lshrrev_b32_e32 v13, 3, v6
	v_sub_u32_e32 v16, 29, v16
	v_and_b32_e32 v18, 7, v18
	v_cmp_gt_u32_e32 vcc, 8, v6
	v_cndmask_b32_e32 v6, v13, v16, vcc
	v_cndmask_b32_e32 v8, v8, v18, vcc
	v_lshlrev_b32_e32 v13, 24, v4
	v_lshlrev_b32_e32 v8, 20, v8
	v_and_b32_e32 v13, 0x80000000, v13
	v_lshl_add_u32 v6, v6, 23, v10
	v_or3_b32 v16, v13, v6, v8
.LBB467_1112:                           ;   in Loop: Header=BB467_796 Depth=1
	s_or_b64 exec, exec, s[18:19]
.LBB467_1113:                           ;   in Loop: Header=BB467_796 Depth=1
	s_or_b64 exec, exec, s[16:17]
.LBB467_1114:                           ;   in Loop: Header=BB467_796 Depth=1
	s_or_b64 exec, exec, s[14:15]
	v_lshrrev_b16_e32 v6, 8, v4
	v_cmp_ne_u16_e32 vcc, 0, v6
	v_mov_b32_e32 v8, 0
	v_mov_b32_e32 v18, 0
	s_and_saveexec_b64 s[14:15], vcc
	s_cbranch_execz .LBB467_1120
; %bb.1115:                             ;   in Loop: Header=BB467_796 Depth=1
	v_cmp_ne_u16_e32 vcc, s5, v6
	v_bfrev_b32_e32 v18, 1
	s_and_saveexec_b64 s[16:17], vcc
	s_cbranch_execz .LBB467_1119
; %bb.1116:                             ;   in Loop: Header=BB467_796 Depth=1
	v_and_b32_e32 v13, 0x7f, v6
	v_cmp_ne_u32_e32 vcc, s21, v13
	v_mov_b32_e32 v18, 0x7f800001
	s_and_saveexec_b64 s[18:19], vcc
	s_cbranch_execz .LBB467_1118
; %bb.1117:                             ;   in Loop: Header=BB467_796 Depth=1
	v_and_b32_e32 v20, 7, v6
	v_ffbh_u32_e32 v18, v20
	v_min_u32_e32 v22, 32, v18
	v_subrev_u32_e32 v18, 28, v22
	v_lshlrev_b64 v[18:19], v18, v[6:7]
	v_lshrrev_b32_e32 v21, 3, v13
	v_sub_u32_e32 v6, 29, v22
	v_and_b32_e32 v18, 7, v18
	v_cmp_gt_u32_e32 vcc, 8, v13
	v_cndmask_b32_e32 v6, v21, v6, vcc
	v_cndmask_b32_e32 v13, v20, v18, vcc
	v_lshlrev_b32_e32 v18, 16, v4
	v_lshlrev_b32_e32 v13, 20, v13
	v_and_b32_e32 v18, 0x80000000, v18
	v_lshl_add_u32 v6, v6, 23, v10
	v_or3_b32 v18, v18, v6, v13
.LBB467_1118:                           ;   in Loop: Header=BB467_796 Depth=1
	s_or_b64 exec, exec, s[18:19]
.LBB467_1119:                           ;   in Loop: Header=BB467_796 Depth=1
	s_or_b64 exec, exec, s[16:17]
.LBB467_1120:                           ;   in Loop: Header=BB467_796 Depth=1
	s_or_b64 exec, exec, s[14:15]
	v_lshrrev_b32_e32 v6, 16, v4
	v_cmp_ne_u16_sdwa s[16:17], v6, v9 src0_sel:BYTE_0 src1_sel:DWORD
	s_and_saveexec_b64 s[14:15], s[16:17]
	s_cbranch_execz .LBB467_1126
; %bb.1121:                             ;   in Loop: Header=BB467_796 Depth=1
	v_cmp_ne_u16_sdwa s[18:19], v6, s5 src0_sel:BYTE_0 src1_sel:DWORD
	v_bfrev_b32_e32 v8, 1
	s_and_saveexec_b64 s[16:17], s[18:19]
	s_cbranch_execz .LBB467_1125
; %bb.1122:                             ;   in Loop: Header=BB467_796 Depth=1
	v_bfe_u32 v13, v4, 16, 7
	v_cmp_ne_u32_e32 vcc, s21, v13
	v_mov_b32_e32 v8, 0x7f800001
	s_and_saveexec_b64 s[18:19], vcc
	s_cbranch_execz .LBB467_1124
; %bb.1123:                             ;   in Loop: Header=BB467_796 Depth=1
	v_and_b32_e32 v8, 7, v6
	v_ffbh_u32_e32 v20, v8
	v_min_u32_e32 v22, 32, v20
	v_subrev_u32_e32 v20, 28, v22
	v_lshlrev_b64 v[20:21], v20, v[6:7]
	v_lshrrev_b32_e32 v19, 3, v13
	v_sub_u32_e32 v21, 29, v22
	v_and_b32_e32 v20, 7, v20
	v_cmp_gt_u32_e32 vcc, 8, v13
	v_cndmask_b32_e32 v13, v19, v21, vcc
	v_cndmask_b32_e32 v8, v8, v20, vcc
	v_lshlrev_b32_e32 v6, 24, v6
	v_lshlrev_b32_e32 v8, 20, v8
	v_and_b32_e32 v6, 0x80000000, v6
	v_lshl_add_u32 v13, v13, 23, v10
	v_or3_b32 v8, v6, v13, v8
.LBB467_1124:                           ;   in Loop: Header=BB467_796 Depth=1
	s_or_b64 exec, exec, s[18:19]
.LBB467_1125:                           ;   in Loop: Header=BB467_796 Depth=1
	s_or_b64 exec, exec, s[16:17]
.LBB467_1126:                           ;   in Loop: Header=BB467_796 Depth=1
	s_or_b64 exec, exec, s[14:15]
	v_cmp_lt_u32_e32 vcc, s22, v4
	v_mov_b32_e32 v13, 0
	v_mov_b32_e32 v19, 0
	s_and_saveexec_b64 s[14:15], vcc
	s_cbranch_execz .LBB467_1132
; %bb.1127:                             ;   in Loop: Header=BB467_796 Depth=1
	v_lshrrev_b32_e32 v6, 24, v4
	v_cmp_ne_u32_e32 vcc, s5, v6
	v_bfrev_b32_e32 v19, 1
	s_and_saveexec_b64 s[16:17], vcc
	s_cbranch_execz .LBB467_1131
; %bb.1128:                             ;   in Loop: Header=BB467_796 Depth=1
	v_bfe_u32 v4, v4, 24, 7
	v_cmp_ne_u32_e32 vcc, s21, v4
	v_mov_b32_e32 v19, 0x7f800001
	s_and_saveexec_b64 s[18:19], vcc
	s_cbranch_execz .LBB467_1130
; %bb.1129:                             ;   in Loop: Header=BB467_796 Depth=1
	v_and_b32_e32 v19, 7, v6
	v_ffbh_u32_e32 v20, v19
	v_min_u32_e32 v23, 32, v20
	v_subrev_u32_e32 v20, 28, v23
	v_lshlrev_b64 v[20:21], v20, v[6:7]
	v_lshrrev_b32_e32 v22, 3, v4
	v_sub_u32_e32 v21, 29, v23
	v_and_b32_e32 v20, 7, v20
	v_cmp_gt_u32_e32 vcc, 8, v4
	v_cndmask_b32_e32 v4, v22, v21, vcc
	v_cndmask_b32_e32 v19, v19, v20, vcc
	v_lshlrev_b32_e32 v6, 24, v6
	v_lshlrev_b32_e32 v19, 20, v19
	v_and_b32_e32 v6, 0x80000000, v6
	v_lshl_add_u32 v4, v4, 23, v10
	v_or3_b32 v19, v6, v4, v19
.LBB467_1130:                           ;   in Loop: Header=BB467_796 Depth=1
	s_or_b64 exec, exec, s[18:19]
.LBB467_1131:                           ;   in Loop: Header=BB467_796 Depth=1
	s_or_b64 exec, exec, s[16:17]
.LBB467_1132:                           ;   in Loop: Header=BB467_796 Depth=1
	s_or_b64 exec, exec, s[14:15]
	buffer_load_dword v6, v11, s[0:3], 0 offen offset:56
	buffer_load_dword v4, v11, s[0:3], 0 offen offset:60
	v_cvt_pkrtz_f16_f32 v20, v12, v15
	v_cvt_pkrtz_f16_f32 v21, v14, v17
	;; [unrolled: 1-line block ×4, first 2 shown]
	v_mfma_f32_4x4x4f16 a[0:3], v[2:3], v[20:21], a[0:3] cbsz:4 abid:12
	s_waitcnt vmcnt(1)
	v_cmp_ne_u16_sdwa s[16:17], v6, v9 src0_sel:BYTE_0 src1_sel:DWORD
	v_mfma_f32_4x4x4f16 a[0:3], v[2:3], v[14:15], a[0:3] cbsz:4 abid:13
	s_and_saveexec_b64 s[14:15], s[16:17]
	s_cbranch_execz .LBB467_1138
; %bb.1133:                             ;   in Loop: Header=BB467_796 Depth=1
	v_cmp_ne_u16_sdwa s[18:19], v6, s5 src0_sel:BYTE_0 src1_sel:DWORD
	v_bfrev_b32_e32 v13, 1
	s_and_saveexec_b64 s[16:17], s[18:19]
	s_cbranch_execz .LBB467_1137
; %bb.1134:                             ;   in Loop: Header=BB467_796 Depth=1
	v_and_b32_e32 v8, 0x7f, v6
	v_cmp_ne_u32_e32 vcc, s21, v8
	v_mov_b32_e32 v13, 0x7f800001
	s_and_saveexec_b64 s[18:19], vcc
	s_cbranch_execz .LBB467_1136
; %bb.1135:                             ;   in Loop: Header=BB467_796 Depth=1
	v_and_b32_e32 v11, 7, v6
	v_ffbh_u32_e32 v12, v11
	v_min_u32_e32 v15, 32, v12
	v_subrev_u32_e32 v12, 28, v15
	v_lshlrev_b64 v[12:13], v12, v[6:7]
	v_lshrrev_b32_e32 v14, 3, v8
	v_sub_u32_e32 v13, 29, v15
	v_and_b32_e32 v12, 7, v12
	v_cmp_gt_u32_e32 vcc, 8, v8
	v_cndmask_b32_e32 v8, v14, v13, vcc
	v_cndmask_b32_e32 v11, v11, v12, vcc
	v_lshlrev_b32_e32 v12, 24, v6
	v_lshlrev_b32_e32 v11, 20, v11
	v_and_b32_e32 v12, 0x80000000, v12
	v_lshl_add_u32 v8, v8, 23, v10
	v_or3_b32 v13, v12, v8, v11
.LBB467_1136:                           ;   in Loop: Header=BB467_796 Depth=1
	s_or_b64 exec, exec, s[18:19]
.LBB467_1137:                           ;   in Loop: Header=BB467_796 Depth=1
	s_or_b64 exec, exec, s[16:17]
.LBB467_1138:                           ;   in Loop: Header=BB467_796 Depth=1
	s_or_b64 exec, exec, s[14:15]
	v_lshrrev_b16_e32 v8, 8, v6
	v_cmp_ne_u16_e32 vcc, 0, v8
	v_mov_b32_e32 v11, 0
	v_mov_b32_e32 v12, 0
	s_and_saveexec_b64 s[14:15], vcc
	s_cbranch_execz .LBB467_1144
; %bb.1139:                             ;   in Loop: Header=BB467_796 Depth=1
	v_cmp_ne_u16_e32 vcc, s5, v8
	v_bfrev_b32_e32 v12, 1
	s_and_saveexec_b64 s[16:17], vcc
	s_cbranch_execz .LBB467_1143
; %bb.1140:                             ;   in Loop: Header=BB467_796 Depth=1
	v_and_b32_e32 v14, 0x7f, v8
	v_cmp_ne_u32_e32 vcc, s21, v14
	v_mov_b32_e32 v12, 0x7f800001
	s_and_saveexec_b64 s[18:19], vcc
	s_cbranch_execz .LBB467_1142
; %bb.1141:                             ;   in Loop: Header=BB467_796 Depth=1
	v_and_b32_e32 v12, 7, v8
	v_ffbh_u32_e32 v16, v12
	v_min_u32_e32 v18, 32, v16
	v_subrev_u32_e32 v16, 28, v18
	v_lshlrev_b64 v[16:17], v16, v[8:9]
	v_lshrrev_b32_e32 v15, 3, v14
	v_sub_u32_e32 v8, 29, v18
	v_and_b32_e32 v16, 7, v16
	v_cmp_gt_u32_e32 vcc, 8, v14
	v_cndmask_b32_e32 v8, v15, v8, vcc
	v_cndmask_b32_e32 v12, v12, v16, vcc
	v_lshlrev_b32_e32 v14, 16, v6
	v_lshlrev_b32_e32 v12, 20, v12
	v_and_b32_e32 v14, 0x80000000, v14
	v_lshl_add_u32 v8, v8, 23, v10
	v_or3_b32 v12, v14, v8, v12
.LBB467_1142:                           ;   in Loop: Header=BB467_796 Depth=1
	s_or_b64 exec, exec, s[18:19]
.LBB467_1143:                           ;   in Loop: Header=BB467_796 Depth=1
	s_or_b64 exec, exec, s[16:17]
.LBB467_1144:                           ;   in Loop: Header=BB467_796 Depth=1
	s_or_b64 exec, exec, s[14:15]
	v_lshrrev_b32_e32 v8, 16, v6
	v_cmp_ne_u16_sdwa s[16:17], v8, v9 src0_sel:BYTE_0 src1_sel:DWORD
	s_and_saveexec_b64 s[14:15], s[16:17]
	s_cbranch_execz .LBB467_1150
; %bb.1145:                             ;   in Loop: Header=BB467_796 Depth=1
	v_cmp_ne_u16_sdwa s[18:19], v8, s5 src0_sel:BYTE_0 src1_sel:DWORD
	v_bfrev_b32_e32 v11, 1
	s_and_saveexec_b64 s[16:17], s[18:19]
	s_cbranch_execz .LBB467_1149
; %bb.1146:                             ;   in Loop: Header=BB467_796 Depth=1
	v_bfe_u32 v14, v6, 16, 7
	v_cmp_ne_u32_e32 vcc, s21, v14
	v_mov_b32_e32 v11, 0x7f800001
	s_and_saveexec_b64 s[18:19], vcc
	s_cbranch_execz .LBB467_1148
; %bb.1147:                             ;   in Loop: Header=BB467_796 Depth=1
	v_and_b32_e32 v11, 7, v8
	v_ffbh_u32_e32 v16, v11
	v_min_u32_e32 v18, 32, v16
	v_subrev_u32_e32 v16, 28, v18
	v_lshlrev_b64 v[16:17], v16, v[8:9]
	v_lshrrev_b32_e32 v15, 3, v14
	v_sub_u32_e32 v17, 29, v18
	v_and_b32_e32 v16, 7, v16
	v_cmp_gt_u32_e32 vcc, 8, v14
	v_cndmask_b32_e32 v14, v15, v17, vcc
	v_cndmask_b32_e32 v11, v11, v16, vcc
	v_lshlrev_b32_e32 v8, 24, v8
	v_lshlrev_b32_e32 v11, 20, v11
	v_and_b32_e32 v8, 0x80000000, v8
	v_lshl_add_u32 v14, v14, 23, v10
	v_or3_b32 v11, v8, v14, v11
.LBB467_1148:                           ;   in Loop: Header=BB467_796 Depth=1
	s_or_b64 exec, exec, s[18:19]
.LBB467_1149:                           ;   in Loop: Header=BB467_796 Depth=1
	s_or_b64 exec, exec, s[16:17]
.LBB467_1150:                           ;   in Loop: Header=BB467_796 Depth=1
	s_or_b64 exec, exec, s[14:15]
	v_cmp_lt_u32_e32 vcc, s22, v6
	v_mov_b32_e32 v14, 0
	v_mov_b32_e32 v15, 0
	s_and_saveexec_b64 s[14:15], vcc
	s_cbranch_execz .LBB467_1156
; %bb.1151:                             ;   in Loop: Header=BB467_796 Depth=1
	v_lshrrev_b32_e32 v8, 24, v6
	v_cmp_ne_u32_e32 vcc, s5, v8
	v_bfrev_b32_e32 v15, 1
	s_and_saveexec_b64 s[16:17], vcc
	s_cbranch_execz .LBB467_1155
; %bb.1152:                             ;   in Loop: Header=BB467_796 Depth=1
	v_bfe_u32 v6, v6, 24, 7
	v_cmp_ne_u32_e32 vcc, s21, v6
	v_mov_b32_e32 v15, 0x7f800001
	s_and_saveexec_b64 s[18:19], vcc
	s_cbranch_execz .LBB467_1154
; %bb.1153:                             ;   in Loop: Header=BB467_796 Depth=1
	v_and_b32_e32 v15, 7, v8
	v_ffbh_u32_e32 v16, v15
	v_min_u32_e32 v19, 32, v16
	v_subrev_u32_e32 v16, 28, v19
	v_lshlrev_b64 v[16:17], v16, v[8:9]
	v_lshrrev_b32_e32 v18, 3, v6
	v_sub_u32_e32 v17, 29, v19
	v_and_b32_e32 v16, 7, v16
	v_cmp_gt_u32_e32 vcc, 8, v6
	v_cndmask_b32_e32 v6, v18, v17, vcc
	v_cndmask_b32_e32 v15, v15, v16, vcc
	v_lshlrev_b32_e32 v8, 24, v8
	v_lshlrev_b32_e32 v15, 20, v15
	v_and_b32_e32 v8, 0x80000000, v8
	v_lshl_add_u32 v6, v6, 23, v10
	v_or3_b32 v15, v8, v6, v15
.LBB467_1154:                           ;   in Loop: Header=BB467_796 Depth=1
	s_or_b64 exec, exec, s[18:19]
.LBB467_1155:                           ;   in Loop: Header=BB467_796 Depth=1
	s_or_b64 exec, exec, s[16:17]
.LBB467_1156:                           ;   in Loop: Header=BB467_796 Depth=1
	s_or_b64 exec, exec, s[14:15]
	s_waitcnt vmcnt(0)
	v_cmp_ne_u16_sdwa s[16:17], v4, v9 src0_sel:BYTE_0 src1_sel:DWORD
	s_and_saveexec_b64 s[14:15], s[16:17]
	s_cbranch_execz .LBB467_1162
; %bb.1157:                             ;   in Loop: Header=BB467_796 Depth=1
	v_cmp_ne_u16_sdwa s[18:19], v4, s5 src0_sel:BYTE_0 src1_sel:DWORD
	v_bfrev_b32_e32 v14, 1
	s_and_saveexec_b64 s[16:17], s[18:19]
	s_cbranch_execz .LBB467_1161
; %bb.1158:                             ;   in Loop: Header=BB467_796 Depth=1
	v_and_b32_e32 v6, 0x7f, v4
	v_cmp_ne_u32_e32 vcc, s21, v6
	v_mov_b32_e32 v14, 0x7f800001
	s_and_saveexec_b64 s[18:19], vcc
	s_cbranch_execz .LBB467_1160
; %bb.1159:                             ;   in Loop: Header=BB467_796 Depth=1
	v_and_b32_e32 v8, 7, v4
	v_ffbh_u32_e32 v16, v8
	v_min_u32_e32 v18, 32, v16
	v_subrev_u32_e32 v16, 28, v18
	v_lshlrev_b64 v[16:17], v16, v[4:5]
	v_lshrrev_b32_e32 v14, 3, v6
	v_sub_u32_e32 v17, 29, v18
	v_and_b32_e32 v16, 7, v16
	v_cmp_gt_u32_e32 vcc, 8, v6
	v_cndmask_b32_e32 v6, v14, v17, vcc
	v_cndmask_b32_e32 v8, v8, v16, vcc
	v_lshlrev_b32_e32 v14, 24, v4
	v_lshlrev_b32_e32 v8, 20, v8
	v_and_b32_e32 v14, 0x80000000, v14
	v_lshl_add_u32 v6, v6, 23, v10
	v_or3_b32 v14, v14, v6, v8
.LBB467_1160:                           ;   in Loop: Header=BB467_796 Depth=1
	s_or_b64 exec, exec, s[18:19]
.LBB467_1161:                           ;   in Loop: Header=BB467_796 Depth=1
	s_or_b64 exec, exec, s[16:17]
.LBB467_1162:                           ;   in Loop: Header=BB467_796 Depth=1
	s_or_b64 exec, exec, s[14:15]
	v_lshrrev_b16_e32 v6, 8, v4
	v_cmp_ne_u16_e32 vcc, 0, v6
	v_mov_b32_e32 v8, 0
	v_mov_b32_e32 v16, 0
	s_and_saveexec_b64 s[14:15], vcc
	s_cbranch_execz .LBB467_1168
; %bb.1163:                             ;   in Loop: Header=BB467_796 Depth=1
	v_cmp_ne_u16_e32 vcc, s5, v6
	v_bfrev_b32_e32 v16, 1
	s_and_saveexec_b64 s[16:17], vcc
	s_cbranch_execz .LBB467_1167
; %bb.1164:                             ;   in Loop: Header=BB467_796 Depth=1
	v_and_b32_e32 v17, 0x7f, v6
	v_cmp_ne_u32_e32 vcc, s21, v17
	v_mov_b32_e32 v16, 0x7f800001
	s_and_saveexec_b64 s[18:19], vcc
	s_cbranch_execz .LBB467_1166
; %bb.1165:                             ;   in Loop: Header=BB467_796 Depth=1
	v_and_b32_e32 v16, 7, v6
	v_ffbh_u32_e32 v18, v16
	v_min_u32_e32 v21, 32, v18
	v_subrev_u32_e32 v18, 28, v21
	v_lshlrev_b64 v[18:19], v18, v[6:7]
	v_lshrrev_b32_e32 v20, 3, v17
	v_sub_u32_e32 v6, 29, v21
	v_and_b32_e32 v18, 7, v18
	v_cmp_gt_u32_e32 vcc, 8, v17
	v_cndmask_b32_e32 v6, v20, v6, vcc
	v_cndmask_b32_e32 v16, v16, v18, vcc
	v_lshlrev_b32_e32 v17, 16, v4
	v_lshlrev_b32_e32 v16, 20, v16
	v_and_b32_e32 v17, 0x80000000, v17
	v_lshl_add_u32 v6, v6, 23, v10
	v_or3_b32 v16, v17, v6, v16
.LBB467_1166:                           ;   in Loop: Header=BB467_796 Depth=1
	s_or_b64 exec, exec, s[18:19]
.LBB467_1167:                           ;   in Loop: Header=BB467_796 Depth=1
	s_or_b64 exec, exec, s[16:17]
.LBB467_1168:                           ;   in Loop: Header=BB467_796 Depth=1
	s_or_b64 exec, exec, s[14:15]
	v_lshrrev_b32_e32 v6, 16, v4
	v_cmp_ne_u16_sdwa s[16:17], v6, v9 src0_sel:BYTE_0 src1_sel:DWORD
	s_and_saveexec_b64 s[14:15], s[16:17]
	s_cbranch_execz .LBB467_1174
; %bb.1169:                             ;   in Loop: Header=BB467_796 Depth=1
	v_cmp_ne_u16_sdwa s[18:19], v6, s5 src0_sel:BYTE_0 src1_sel:DWORD
	v_bfrev_b32_e32 v8, 1
	s_and_saveexec_b64 s[16:17], s[18:19]
	s_cbranch_execz .LBB467_1173
; %bb.1170:                             ;   in Loop: Header=BB467_796 Depth=1
	v_bfe_u32 v17, v4, 16, 7
	v_cmp_ne_u32_e32 vcc, s21, v17
	v_mov_b32_e32 v8, 0x7f800001
	s_and_saveexec_b64 s[18:19], vcc
	s_cbranch_execz .LBB467_1172
; %bb.1171:                             ;   in Loop: Header=BB467_796 Depth=1
	v_and_b32_e32 v8, 7, v6
	v_ffbh_u32_e32 v18, v8
	v_min_u32_e32 v21, 32, v18
	v_subrev_u32_e32 v18, 28, v21
	v_lshlrev_b64 v[18:19], v18, v[6:7]
	v_lshrrev_b32_e32 v20, 3, v17
	v_sub_u32_e32 v19, 29, v21
	v_and_b32_e32 v18, 7, v18
	v_cmp_gt_u32_e32 vcc, 8, v17
	v_cndmask_b32_e32 v17, v20, v19, vcc
	v_cndmask_b32_e32 v8, v8, v18, vcc
	v_lshlrev_b32_e32 v6, 24, v6
	v_lshlrev_b32_e32 v8, 20, v8
	v_and_b32_e32 v6, 0x80000000, v6
	v_lshl_add_u32 v17, v17, 23, v10
	v_or3_b32 v8, v6, v17, v8
.LBB467_1172:                           ;   in Loop: Header=BB467_796 Depth=1
	s_or_b64 exec, exec, s[18:19]
.LBB467_1173:                           ;   in Loop: Header=BB467_796 Depth=1
	s_or_b64 exec, exec, s[16:17]
.LBB467_1174:                           ;   in Loop: Header=BB467_796 Depth=1
	s_or_b64 exec, exec, s[14:15]
	v_cmp_lt_u32_e32 vcc, s22, v4
	v_mov_b32_e32 v17, 0
	s_and_saveexec_b64 s[14:15], vcc
	s_cbranch_execz .LBB467_795
; %bb.1175:                             ;   in Loop: Header=BB467_796 Depth=1
	v_lshrrev_b32_e32 v6, 24, v4
	v_cmp_ne_u32_e32 vcc, s5, v6
	v_bfrev_b32_e32 v17, 1
	s_and_saveexec_b64 s[16:17], vcc
	s_cbranch_execz .LBB467_794
; %bb.1176:                             ;   in Loop: Header=BB467_796 Depth=1
	v_bfe_u32 v4, v4, 24, 7
	v_cmp_ne_u32_e32 vcc, s21, v4
	v_mov_b32_e32 v17, 0x7f800001
	s_and_saveexec_b64 s[18:19], vcc
	s_cbranch_execz .LBB467_793
; %bb.1177:                             ;   in Loop: Header=BB467_796 Depth=1
	v_and_b32_e32 v17, 7, v6
	v_ffbh_u32_e32 v18, v17
	v_min_u32_e32 v21, 32, v18
	v_subrev_u32_e32 v18, 28, v21
	v_lshlrev_b64 v[18:19], v18, v[6:7]
	v_lshrrev_b32_e32 v20, 3, v4
	v_sub_u32_e32 v19, 29, v21
	v_and_b32_e32 v18, 7, v18
	v_cmp_gt_u32_e32 vcc, 8, v4
	v_cndmask_b32_e32 v4, v20, v19, vcc
	v_cndmask_b32_e32 v17, v17, v18, vcc
	v_lshlrev_b32_e32 v6, 24, v6
	v_lshlrev_b32_e32 v17, 20, v17
	v_and_b32_e32 v6, 0x80000000, v6
	v_lshl_add_u32 v4, v4, 23, v10
	v_or3_b32 v17, v6, v4, v17
	s_branch .LBB467_793
.LBB467_1178:
	s_or_b64 exec, exec, s[6:7]
	v_cmp_gt_u32_e32 vcc, 64, v0
	s_waitcnt lgkmcnt(0)
	s_barrier
	s_and_saveexec_b64 s[6:7], vcc
	s_cbranch_execz .LBB467_1180
; %bb.1179:
	v_mul_u32_u24_e32 v6, 40, v1
	ds_read2_b64 v[2:5], v6 offset1:1
	s_mov_b32 s5, 0
	s_waitcnt lgkmcnt(0)
	v_mov_b32_e32 v3, 0xa00
	s_lshl_b32 s4, s4, 7
	ds_read2_b64 v[6:9], v6 offset0:2 offset1:3
	v_mad_u32_u24 v3, v1, 40, v3
	v_pk_add_f16 v2, v2, 0
	s_lshl_b64 s[6:7], s[4:5], 1
	s_waitcnt lgkmcnt(0)
	v_pk_add_f16 v7, v2, v4
	v_mov_b32_e32 v9, 0xa10
	ds_read2_b64 v[2:5], v3 offset1:1
	s_add_u32 s6, s26, s6
	v_mad_u32_u24 v1, v1, 40, v9
	ds_read2_b64 v[10:13], v1 offset1:1
	s_addc_u32 s7, s27, s7
	s_lshl_b32 s4, s24, 7
	s_lshl_b64 s[4:5], s[4:5], 1
	s_add_u32 s4, s6, s4
	v_pk_add_f16 v1, v7, v6
	s_addc_u32 s5, s7, s5
	s_lshl_b32 s6, s33, 7
	v_pk_add_f16 v6, v1, v8
	s_waitcnt lgkmcnt(1)
	v_pk_add_f16 v1, v2, 0
	s_mul_i32 s7, s6, s42
	v_pk_add_f16 v1, v1, v4
	v_or_b32_e32 v2, s7, v0
	v_mov_b32_e32 v3, 0
	s_waitcnt lgkmcnt(0)
	v_pk_add_f16 v1, v1, v10
	v_lshlrev_b64 v[4:5], 1, v[2:3]
	s_add_i32 s7, s7, s6
	v_pk_add_f16 v7, v1, v12
	v_mov_b32_e32 v1, s5
	v_add_co_u32_e32 v4, vcc, s4, v4
	v_or_b32_e32 v2, s7, v0
	v_addc_co_u32_e32 v5, vcc, v1, v5, vcc
	v_lshlrev_b64 v[0:1], 1, v[2:3]
	v_mov_b32_e32 v2, s5
	v_add_co_u32_e32 v0, vcc, s4, v0
	v_addc_co_u32_e32 v1, vcc, v2, v1, vcc
	global_store_short v[4:5], v6, off
	global_store_short_d16_hi v[0:1], v6, off
	global_store_short v[4:5], v7, off offset:128
	global_store_short_d16_hi v[0:1], v7, off offset:128
.LBB467_1180:
	s_endpgm
	.section	.rodata,"a",@progbits
	.p2align	6, 0x0
	.amdhsa_kernel _Z38paged_attention_ll4mi_QKV_mfma4_kernelIDF16_hLN4vllm18Fp8KVCacheDataTypeE1EDF16_Li16ELi128ELi256ELb1ELi2EEvPKT_PKT0_S7_ifPKiS9_S9_iPKfiiiPfSC_PS2_PT2_iSB_SB_
		.amdhsa_group_segment_fixed_size 5280
		.amdhsa_private_segment_fixed_size 144
		.amdhsa_kernarg_size 400
		.amdhsa_user_sgpr_count 8
		.amdhsa_user_sgpr_private_segment_buffer 1
		.amdhsa_user_sgpr_dispatch_ptr 0
		.amdhsa_user_sgpr_queue_ptr 0
		.amdhsa_user_sgpr_kernarg_segment_ptr 1
		.amdhsa_user_sgpr_dispatch_id 0
		.amdhsa_user_sgpr_flat_scratch_init 1
		.amdhsa_user_sgpr_kernarg_preload_length 0
		.amdhsa_user_sgpr_kernarg_preload_offset 0
		.amdhsa_user_sgpr_private_segment_size 0
		.amdhsa_uses_dynamic_stack 0
		.amdhsa_system_sgpr_private_segment_wavefront_offset 1
		.amdhsa_system_sgpr_workgroup_id_x 1
		.amdhsa_system_sgpr_workgroup_id_y 1
		.amdhsa_system_sgpr_workgroup_id_z 1
		.amdhsa_system_sgpr_workgroup_info 0
		.amdhsa_system_vgpr_workitem_id 0
		.amdhsa_next_free_vgpr 84
		.amdhsa_next_free_sgpr 48
		.amdhsa_accum_offset 80
		.amdhsa_reserve_vcc 1
		.amdhsa_reserve_flat_scratch 0
		.amdhsa_float_round_mode_32 0
		.amdhsa_float_round_mode_16_64 0
		.amdhsa_float_denorm_mode_32 3
		.amdhsa_float_denorm_mode_16_64 3
		.amdhsa_dx10_clamp 1
		.amdhsa_ieee_mode 1
		.amdhsa_fp16_overflow 0
		.amdhsa_tg_split 0
		.amdhsa_exception_fp_ieee_invalid_op 0
		.amdhsa_exception_fp_denorm_src 0
		.amdhsa_exception_fp_ieee_div_zero 0
		.amdhsa_exception_fp_ieee_overflow 0
		.amdhsa_exception_fp_ieee_underflow 0
		.amdhsa_exception_fp_ieee_inexact 0
		.amdhsa_exception_int_div_zero 0
	.end_amdhsa_kernel
	.section	.text._Z38paged_attention_ll4mi_QKV_mfma4_kernelIDF16_hLN4vllm18Fp8KVCacheDataTypeE1EDF16_Li16ELi128ELi256ELb1ELi2EEvPKT_PKT0_S7_ifPKiS9_S9_iPKfiiiPfSC_PS2_PT2_iSB_SB_,"axG",@progbits,_Z38paged_attention_ll4mi_QKV_mfma4_kernelIDF16_hLN4vllm18Fp8KVCacheDataTypeE1EDF16_Li16ELi128ELi256ELb1ELi2EEvPKT_PKT0_S7_ifPKiS9_S9_iPKfiiiPfSC_PS2_PT2_iSB_SB_,comdat
.Lfunc_end467:
	.size	_Z38paged_attention_ll4mi_QKV_mfma4_kernelIDF16_hLN4vllm18Fp8KVCacheDataTypeE1EDF16_Li16ELi128ELi256ELb1ELi2EEvPKT_PKT0_S7_ifPKiS9_S9_iPKfiiiPfSC_PS2_PT2_iSB_SB_, .Lfunc_end467-_Z38paged_attention_ll4mi_QKV_mfma4_kernelIDF16_hLN4vllm18Fp8KVCacheDataTypeE1EDF16_Li16ELi128ELi256ELb1ELi2EEvPKT_PKT0_S7_ifPKiS9_S9_iPKfiiiPfSC_PS2_PT2_iSB_SB_
                                        ; -- End function
	.section	.AMDGPU.csdata,"",@progbits
; Kernel info:
; codeLenInByte = 37868
; NumSgprs: 52
; NumVgprs: 80
; NumAgprs: 4
; TotalNumVgprs: 84
; ScratchSize: 144
; MemoryBound: 0
; FloatMode: 240
; IeeeMode: 1
; LDSByteSize: 5280 bytes/workgroup (compile time only)
; SGPRBlocks: 6
; VGPRBlocks: 10
; NumSGPRsForWavesPerEU: 52
; NumVGPRsForWavesPerEU: 84
; AccumOffset: 80
; Occupancy: 5
; WaveLimiterHint : 1
; COMPUTE_PGM_RSRC2:SCRATCH_EN: 1
; COMPUTE_PGM_RSRC2:USER_SGPR: 8
; COMPUTE_PGM_RSRC2:TRAP_HANDLER: 0
; COMPUTE_PGM_RSRC2:TGID_X_EN: 1
; COMPUTE_PGM_RSRC2:TGID_Y_EN: 1
; COMPUTE_PGM_RSRC2:TGID_Z_EN: 1
; COMPUTE_PGM_RSRC2:TIDIG_COMP_CNT: 0
; COMPUTE_PGM_RSRC3_GFX90A:ACCUM_OFFSET: 19
; COMPUTE_PGM_RSRC3_GFX90A:TG_SPLIT: 0
	.section	.text._Z38paged_attention_ll4mi_QKV_mfma4_kernelIDF16_hLN4vllm18Fp8KVCacheDataTypeE1EDF16_Li16ELi128ELi256ELb1ELi3EEvPKT_PKT0_S7_ifPKiS9_S9_iPKfiiiPfSC_PS2_PT2_iSB_SB_,"axG",@progbits,_Z38paged_attention_ll4mi_QKV_mfma4_kernelIDF16_hLN4vllm18Fp8KVCacheDataTypeE1EDF16_Li16ELi128ELi256ELb1ELi3EEvPKT_PKT0_S7_ifPKiS9_S9_iPKfiiiPfSC_PS2_PT2_iSB_SB_,comdat
	.protected	_Z38paged_attention_ll4mi_QKV_mfma4_kernelIDF16_hLN4vllm18Fp8KVCacheDataTypeE1EDF16_Li16ELi128ELi256ELb1ELi3EEvPKT_PKT0_S7_ifPKiS9_S9_iPKfiiiPfSC_PS2_PT2_iSB_SB_ ; -- Begin function _Z38paged_attention_ll4mi_QKV_mfma4_kernelIDF16_hLN4vllm18Fp8KVCacheDataTypeE1EDF16_Li16ELi128ELi256ELb1ELi3EEvPKT_PKT0_S7_ifPKiS9_S9_iPKfiiiPfSC_PS2_PT2_iSB_SB_
	.globl	_Z38paged_attention_ll4mi_QKV_mfma4_kernelIDF16_hLN4vllm18Fp8KVCacheDataTypeE1EDF16_Li16ELi128ELi256ELb1ELi3EEvPKT_PKT0_S7_ifPKiS9_S9_iPKfiiiPfSC_PS2_PT2_iSB_SB_
	.p2align	8
	.type	_Z38paged_attention_ll4mi_QKV_mfma4_kernelIDF16_hLN4vllm18Fp8KVCacheDataTypeE1EDF16_Li16ELi128ELi256ELb1ELi3EEvPKT_PKT0_S7_ifPKiS9_S9_iPKfiiiPfSC_PS2_PT2_iSB_SB_,@function
_Z38paged_attention_ll4mi_QKV_mfma4_kernelIDF16_hLN4vllm18Fp8KVCacheDataTypeE1EDF16_Li16ELi128ELi256ELb1ELi3EEvPKT_PKT0_S7_ifPKiS9_S9_iPKfiiiPfSC_PS2_PT2_iSB_SB_: ; @_Z38paged_attention_ll4mi_QKV_mfma4_kernelIDF16_hLN4vllm18Fp8KVCacheDataTypeE1EDF16_Li16ELi128ELi256ELb1ELi3EEvPKT_PKT0_S7_ifPKiS9_S9_iPKfiiiPfSC_PS2_PT2_iSB_SB_
; %bb.0:
	s_load_dwordx2 s[12:13], s[4:5], 0x30
	s_add_u32 s0, s0, s11
	s_addc_u32 s1, s1, 0
	s_mov_b32 s14, s9
	s_mov_b64 s[6:7], 0
	s_waitcnt lgkmcnt(0)
	s_cmp_lg_u64 s[12:13], 0
	s_cselect_b64 s[24:25], -1, 0
	s_and_b64 vcc, exec, s[24:25]
	s_cbranch_vccz .LBB468_10
; %bb.1:
	s_add_i32 s16, s8, 1
	s_mov_b32 s17, 0
	s_lshl_b64 s[18:19], s[16:17], 2
	s_add_u32 s18, s12, s18
	s_mov_b32 s9, s17
	s_addc_u32 s19, s13, s19
	s_lshl_b64 s[16:17], s[8:9], 2
	s_add_u32 s16, s12, s16
	s_addc_u32 s17, s13, s17
	s_load_dword s11, s[18:19], 0x0
	s_load_dword s15, s[16:17], 0x0
	s_waitcnt lgkmcnt(0)
	s_sub_i32 s11, s11, s15
	s_cmp_eq_u32 s11, 1
	s_cselect_b64 s[16:17], -1, 0
	s_andn2_b64 vcc, exec, s[6:7]
	s_cbranch_vccnz .LBB468_3
.LBB468_2:
	s_mov_b32 s9, 0
	s_mov_b64 s[16:17], -1
.LBB468_3:
	s_andn2_b64 vcc, exec, s[16:17]
	s_cbranch_vccnz .LBB468_1180
; %bb.4:
	s_load_dword s11, s[4:5], 0x9c
	s_load_dwordx2 s[6:7], s[4:5], 0x28
	s_add_u32 s30, s4, 0x90
	s_addc_u32 s31, s5, 0
	s_lshl_b64 s[26:27], s[8:9], 2
	s_waitcnt lgkmcnt(0)
	s_and_b32 s11, s11, 0xffff
	s_add_u32 s6, s6, s26
	s_addc_u32 s7, s7, s27
	s_load_dword s9, s[6:7], 0x0
	s_mul_i32 s11, s14, s11
	s_waitcnt lgkmcnt(0)
	s_cmp_ge_i32 s11, s9
	s_cbranch_scc1 .LBB468_1180
; %bb.5:
	v_and_b32_e32 v1, 0xc0, v0
	v_add_u32_e32 v7, s11, v1
	v_lshrrev_b32_e32 v42, 6, v0
	v_cmp_le_i32_e64 s[6:7], s9, v7
                                        ; implicit-def: $sgpr36
                                        ; implicit-def: $sgpr15
	s_and_saveexec_b64 s[16:17], s[6:7]
	s_xor_b64 s[16:17], exec, s[16:17]
	s_cbranch_execz .LBB468_7
; %bb.6:
	v_mul_u32_u24_e32 v1, 20, v42
	v_or_b32_e32 v1, 0x1400, v1
	v_mov_b32_e32 v2, 0x1450
	v_mov_b32_e32 v3, 0xff7fffff
	v_mad_u32_u24 v2, v42, 20, v2
	ds_write2_b32 v1, v3, v3 offset1:1
	v_mov_b32_e32 v1, 0
	ds_write2_b32 v2, v1, v1 offset1:1
	v_mov_b32_e32 v2, 0x1408
	s_mov_b32 s15, 0xff7fffff
	s_mov_b32 s36, 0
	v_mad_u32_u24 v2, v42, 20, v2
	v_mov_b32_e32 v4, 0x1458
	v_mad_u32_u24 v4, v42, 20, v4
	ds_write2_b32 v2, v3, v3 offset1:1
	ds_write2_b32 v4, v1, v1 offset1:1
                                        ; implicit-def: $vgpr7
.LBB468_7:
	s_or_saveexec_b64 s[34:35], s[16:17]
	s_load_dwordx2 s[28:29], s[4:5], 0x68
	s_load_dwordx4 s[20:23], s[4:5], 0x58
	s_load_dword s33, s[30:31], 0x4
	s_load_dwordx4 s[16:19], s[4:5], 0x80
	v_and_b32_e32 v1, 63, v0
	v_and_b32_e32 v43, 3, v0
	s_mul_i32 s44, s10, 3
	v_mov_b32_e32 v5, s36
	v_mov_b32_e32 v6, s15
	;; [unrolled: 1-line block ×5, first 2 shown]
	s_xor_b64 exec, exec, s[34:35]
	s_cbranch_execz .LBB468_787
; %bb.8:
	s_add_i32 s38, s9, 15
	s_load_dwordx2 s[36:37], s[4:5], 0x20
	s_load_dword s15, s[4:5], 0x38
	s_ashr_i32 s39, s38, 31
	s_lshr_b32 s39, s39, 28
	v_add_u32_e32 v44, s11, v0
	s_add_i32 s38, s38, s39
	v_ashrrev_i32_e32 v2, 31, v44
	s_ashr_i32 s38, s38, 4
	v_lshrrev_b32_e32 v2, 28, v2
	s_add_i32 s40, s38, -1
	v_add_u32_e32 v2, v44, v2
	s_waitcnt lgkmcnt(0)
	s_mul_i32 s38, s8, s15
	s_mov_b32 s39, 0
	v_ashrrev_i32_e32 v2, 4, v2
	v_mov_b32_e32 v3, s40
	v_cmp_gt_i32_e32 vcc, s9, v44
	s_lshl_b64 s[38:39], s[38:39], 2
	v_cndmask_b32_e32 v2, v3, v2, vcc
	s_add_u32 s15, s36, s38
	v_ashrrev_i32_e32 v3, 31, v2
	s_addc_u32 s36, s37, s39
	v_lshlrev_b64 v[2:3], 2, v[2:3]
	v_mov_b32_e32 v4, s36
	v_add_co_u32_e32 v2, vcc, s15, v2
	v_addc_co_u32_e32 v3, vcc, v4, v3, vcc
	v_ashrrev_i32_e32 v4, 31, v7
	v_lshrrev_b32_e32 v4, 28, v4
	v_add_u32_e32 v4, v7, v4
	v_ashrrev_i32_e32 v12, 4, v4
	v_min_i32_e32 v4, s40, v12
	v_ashrrev_i32_e32 v5, 31, v4
	v_lshlrev_b64 v[4:5], 2, v[4:5]
	v_mov_b32_e32 v6, s36
	v_add_co_u32_e32 v4, vcc, s15, v4
	v_addc_co_u32_e32 v5, vcc, v6, v5, vcc
	v_add_u32_e32 v6, 1, v12
	v_min_i32_e32 v6, s40, v6
	v_ashrrev_i32_e32 v7, 31, v6
	v_lshlrev_b64 v[6:7], 2, v[6:7]
	v_add_co_u32_e32 v8, vcc, s15, v6
	v_add_u32_e32 v6, 2, v12
	v_mov_b32_e32 v9, s36
	v_min_i32_e32 v6, s40, v6
	v_addc_co_u32_e32 v9, vcc, v9, v7, vcc
	v_ashrrev_i32_e32 v7, 31, v6
	v_lshlrev_b64 v[6:7], 2, v[6:7]
	v_add_co_u32_e32 v10, vcc, s15, v6
	v_add_u32_e32 v6, 3, v12
	v_mov_b32_e32 v11, s36
	v_min_i32_e32 v6, s40, v6
	v_addc_co_u32_e32 v11, vcc, v11, v7, vcc
	v_ashrrev_i32_e32 v7, 31, v6
	v_lshlrev_b64 v[6:7], 2, v[6:7]
	v_mov_b32_e32 v13, s36
	v_add_co_u32_e32 v12, vcc, s15, v6
	v_addc_co_u32_e32 v13, vcc, v13, v7, vcc
	global_load_dword v6, v[2:3], off
	global_load_dword v48, v[4:5], off
	;; [unrolled: 1-line block ×5, first 2 shown]
	s_load_dwordx2 s[38:39], s[4:5], 0x8
	s_andn2_b64 vcc, exec, s[24:25]
	s_cbranch_vccnz .LBB468_11
; %bb.9:
	s_add_u32 s12, s12, s26
	s_addc_u32 s13, s13, s27
	s_load_dword s11, s[12:13], 0x0
	s_branch .LBB468_12
.LBB468_10:
	s_mov_b64 s[16:17], 0
	s_branch .LBB468_2
.LBB468_11:
	s_mov_b32 s11, s8
.LBB468_12:
	s_load_dwordx2 s[36:37], s[4:5], 0x10
	s_load_dwordx4 s[24:27], s[4:5], 0x48
	v_cmp_eq_u32_e32 vcc, 3, v43
	v_cmp_ne_u32_e64 s[12:13], 3, v43
	s_mov_b32 s43, 0
	v_mov_b32_e32 v46, 0
	v_mov_b32_e32 v2, 0
	;; [unrolled: 1-line block ×5, first 2 shown]
	s_and_saveexec_b64 s[40:41], s[12:13]
	s_cbranch_execz .LBB468_14
; %bb.13:
	s_load_dwordx2 s[46:47], s[4:5], 0x0
	s_waitcnt lgkmcnt(0)
	s_ashr_i32 s15, s24, 31
	s_mul_hi_u32 s27, s11, s24
	s_mul_i32 s15, s11, s15
	s_add_i32 s49, s27, s15
	s_mul_i32 s48, s11, s24
	s_lshl_b64 s[48:49], s[48:49], 1
	s_add_u32 s11, s46, s48
	s_mul_i32 s42, s10, 0x180
	s_addc_u32 s15, s47, s49
	s_lshl_b64 s[42:43], s[42:43], 1
	v_lshlrev_b32_e32 v2, 2, v1
	s_add_u32 s42, s11, s42
	v_and_b32_e32 v2, 0xf0, v2
	s_addc_u32 s43, s15, s43
	v_lshl_or_b32 v2, v43, 8, v2
	global_load_dwordx4 v[2:5], v2, s[42:43]
.LBB468_14:
	s_or_b64 exec, exec, s[40:41]
	s_waitcnt lgkmcnt(0)
	s_mul_i32 s15, s10, s26
	s_add_u32 s10, s15, s38
	s_addc_u32 s11, 0, s39
	v_pk_mov_b32 v[8:9], s[10:11], s[10:11] op_sel:[0,1]
	s_waitcnt vmcnt(4)
	v_mad_i64_i32 v[6:7], s[10:11], v6, s25, v[8:9]
	v_lshlrev_b32_e32 v8, 4, v0
	v_and_b32_e32 v8, 0xf0, v8
	v_add_co_u32_e64 v38, s[10:11], v6, v8
	v_addc_co_u32_e64 v39, s[10:11], 0, v7, s[10:11]
	global_load_dwordx4 v[34:37], v[38:39], off
	global_load_dwordx4 v[30:33], v[38:39], off offset:256
	global_load_dwordx4 v[26:29], v[38:39], off offset:512
	;; [unrolled: 1-line block ×7, first 2 shown]
	v_mov_b32_e32 v45, 0
	s_and_saveexec_b64 s[26:27], s[12:13]
	s_cbranch_execz .LBB468_16
; %bb.15:
	s_load_dwordx2 s[10:11], s[4:5], 0x40
	v_add_u32_e32 v38, s44, v43
	v_mov_b32_e32 v39, 0
	v_lshlrev_b64 v[38:39], 2, v[38:39]
	s_waitcnt lgkmcnt(0)
	v_mov_b32_e32 v45, s11
	v_add_co_u32_e64 v38, s[10:11], s10, v38
	v_addc_co_u32_e64 v39, s[10:11], v45, v39, s[10:11]
	global_load_dword v45, v[38:39], off
.LBB468_16:
	s_or_b64 exec, exec, s[26:27]
	s_waitcnt vmcnt(11)
	v_mul_hi_i32 v38, v48, s25
	v_ashrrev_i32_e32 v38, 31, v38
	v_lshrrev_b32_e32 v38, 29, v38
	v_mov_b32_e32 v39, 0
	s_add_u32 s12, s36, s15
	v_mad_i64_i32 v[48:49], s[10:11], v48, s25, v[38:39]
	s_addc_u32 s13, s37, 0
	v_and_b32_e32 v38, -8, v48
	v_mov_b32_e32 v48, s13
	v_add_co_u32_e64 v38, s[10:11], s12, v38
	v_addc_co_u32_e64 v48, s[10:11], v48, v49, s[10:11]
	v_lshlrev_b32_e32 v74, 4, v1
	v_add_co_u32_e64 v56, s[10:11], v38, v74
	s_waitcnt vmcnt(10)
	v_mul_hi_i32 v38, v47, s25
	v_ashrrev_i32_e32 v38, 31, v38
	v_addc_co_u32_e64 v57, s[10:11], 0, v48, s[10:11]
	v_lshrrev_b32_e32 v38, 29, v38
	global_load_dwordx4 v[48:51], v[56:57], off
	global_load_dwordx4 v[52:55], v[56:57], off offset:1024
	v_mad_i64_i32 v[56:57], s[10:11], v47, s25, v[38:39]
	v_and_b32_e32 v38, -8, v56
	v_mov_b32_e32 v47, s13
	v_add_co_u32_e64 v38, s[10:11], s12, v38
	v_addc_co_u32_e64 v47, s[10:11], v47, v57, s[10:11]
	v_add_co_u32_e64 v64, s[10:11], v38, v74
	s_waitcnt vmcnt(11)
	v_mul_hi_i32 v38, v41, s25
	v_ashrrev_i32_e32 v38, 31, v38
	v_addc_co_u32_e64 v65, s[10:11], 0, v47, s[10:11]
	v_lshrrev_b32_e32 v38, 29, v38
	global_load_dwordx4 v[56:59], v[64:65], off
	global_load_dwordx4 v[60:63], v[64:65], off offset:1024
	v_mad_i64_i32 v[64:65], s[10:11], v41, s25, v[38:39]
	v_and_b32_e32 v38, -8, v64
	v_mov_b32_e32 v41, s13
	v_add_co_u32_e64 v38, s[10:11], s12, v38
	v_addc_co_u32_e64 v41, s[10:11], v41, v65, s[10:11]
	v_add_co_u32_e64 v72, s[10:11], v38, v74
	s_waitcnt vmcnt(12)
	v_mul_hi_i32 v38, v40, s25
	v_ashrrev_i32_e32 v38, 31, v38
	v_lshrrev_b32_e32 v38, 29, v38
	v_addc_co_u32_e64 v73, s[10:11], 0, v41, s[10:11]
	v_mad_i64_i32 v[40:41], s[10:11], v40, s25, v[38:39]
	v_and_b32_e32 v38, -8, v40
	v_mov_b32_e32 v40, s13
	v_add_co_u32_e64 v38, s[10:11], s12, v38
	v_addc_co_u32_e64 v41, s[10:11], v40, v41, s[10:11]
	v_add_co_u32_e64 v40, s[10:11], v38, v74
	v_addc_co_u32_e64 v41, s[10:11], 0, v41, s[10:11]
	global_load_dwordx4 v[64:67], v[72:73], off
	global_load_dwordx4 v[68:71], v[72:73], off offset:1024
	s_nop 0
	global_load_dwordx4 v[72:75], v[40:41], off
	global_load_dwordx4 v[76:79], v[40:41], off offset:1024
	s_waitcnt vmcnt(15)
	v_cmp_ne_u16_sdwa s[10:11], v34, v39 src0_sel:BYTE_0 src1_sel:DWORD
	s_waitcnt vmcnt(7)
	buffer_store_dword v49, off, s[0:3], 0 offset:4
	buffer_store_dword v48, off, s[0:3], 0
	buffer_store_dword v51, off, s[0:3], 0 offset:12
	buffer_store_dword v50, off, s[0:3], 0 offset:8
	s_waitcnt vmcnt(10)
	buffer_store_dword v53, off, s[0:3], 0 offset:68
	buffer_store_dword v52, off, s[0:3], 0 offset:64
	buffer_store_dword v55, off, s[0:3], 0 offset:76
	buffer_store_dword v54, off, s[0:3], 0 offset:72
	s_waitcnt vmcnt(13)
	buffer_store_dword v57, off, s[0:3], 0 offset:20
	buffer_store_dword v56, off, s[0:3], 0 offset:16
	;; [unrolled: 5-line block ×7, first 2 shown]
	buffer_store_dword v79, off, s[0:3], 0 offset:124
	buffer_store_dword v78, off, s[0:3], 0 offset:120
	s_and_saveexec_b64 s[12:13], s[10:11]
	s_cbranch_execz .LBB468_22
; %bb.17:
	s_movk_i32 s10, 0x80
	v_cmp_ne_u16_sdwa s[10:11], v34, s10 src0_sel:BYTE_0 src1_sel:DWORD
	v_bfrev_b32_e32 v46, 1
	s_and_saveexec_b64 s[24:25], s[10:11]
	s_cbranch_execz .LBB468_21
; %bb.18:
	s_movk_i32 s10, 0x7f
	v_and_b32_e32 v38, 0x7f, v34
	v_cmp_ne_u32_e64 s[10:11], s10, v38
	v_mov_b32_e32 v46, 0x7f800001
	s_and_saveexec_b64 s[26:27], s[10:11]
	s_cbranch_execz .LBB468_20
; %bb.19:
	v_and_b32_e32 v40, 7, v34
	v_ffbh_u32_e32 v40, v40
	v_min_u32_e32 v40, 32, v40
	v_lshrrev_b32_e32 v41, 3, v38
	v_subrev_u32_e32 v46, 28, v40
	v_sub_u32_e32 v40, 29, v40
	v_cmp_gt_u32_e64 s[10:11], 8, v38
	v_cndmask_b32_e64 v38, v41, v40, s[10:11]
	v_cndmask_b32_e64 v40, 0, v46, s[10:11]
	v_lshlrev_b64 v[40:41], v40, v[34:35]
	v_lshlrev_b32_e32 v40, 20, v40
	v_lshlrev_b32_e32 v41, 24, v34
	v_bfrev_b32_e32 v46, 60
	v_and_b32_e32 v40, 0x700000, v40
	v_and_b32_e32 v41, 0x80000000, v41
	v_lshl_add_u32 v38, v38, 23, v46
	v_or3_b32 v46, v41, v38, v40
.LBB468_20:
	s_or_b64 exec, exec, s[26:27]
.LBB468_21:
	s_or_b64 exec, exec, s[24:25]
.LBB468_22:
	s_or_b64 exec, exec, s[12:13]
	v_lshrrev_b16_e32 v38, 8, v34
	v_cmp_ne_u16_e64 s[10:11], 0, v38
	v_mov_b32_e32 v47, 0
	s_and_saveexec_b64 s[12:13], s[10:11]
	s_cbranch_execz .LBB468_28
; %bb.23:
	s_movk_i32 s10, 0x80
	v_cmp_ne_u16_e64 s[10:11], s10, v38
	v_bfrev_b32_e32 v47, 1
	s_and_saveexec_b64 s[24:25], s[10:11]
	s_cbranch_execz .LBB468_27
; %bb.24:
	s_movk_i32 s10, 0x7f
	v_and_b32_e32 v40, 0x7f, v38
	v_cmp_ne_u32_e64 s[10:11], s10, v40
	v_mov_b32_e32 v47, 0x7f800001
	s_and_saveexec_b64 s[26:27], s[10:11]
	s_cbranch_execz .LBB468_26
; %bb.25:
	v_and_b32_e32 v41, 7, v38
	v_ffbh_u32_e32 v48, v41
	v_min_u32_e32 v50, 32, v48
	v_subrev_u32_e32 v48, 28, v50
	v_lshlrev_b64 v[48:49], v48, v[38:39]
	v_lshrrev_b32_e32 v47, 3, v40
	v_sub_u32_e32 v38, 29, v50
	v_and_b32_e32 v48, 7, v48
	v_cmp_gt_u32_e64 s[10:11], 8, v40
	v_cndmask_b32_e64 v38, v47, v38, s[10:11]
	v_cndmask_b32_e64 v40, v41, v48, s[10:11]
	v_lshlrev_b32_e32 v41, 16, v34
	v_bfrev_b32_e32 v47, 60
	v_lshlrev_b32_e32 v40, 20, v40
	v_and_b32_e32 v41, 0x80000000, v41
	v_lshl_add_u32 v38, v38, 23, v47
	v_or3_b32 v47, v41, v38, v40
.LBB468_26:
	s_or_b64 exec, exec, s[26:27]
.LBB468_27:
	s_or_b64 exec, exec, s[24:25]
.LBB468_28:
	s_or_b64 exec, exec, s[12:13]
	s_movk_i32 s10, 0xff
	v_and_b32_sdwa v40, v34, s10 dst_sel:DWORD dst_unused:UNUSED_PAD src0_sel:WORD_1 src1_sel:DWORD
	v_lshrrev_b32_e32 v38, 16, v34
	v_cmp_ne_u16_e64 s[10:11], 0, v40
	s_and_saveexec_b64 s[12:13], s[10:11]
	s_cbranch_execz .LBB468_34
; %bb.29:
	s_movk_i32 s10, 0x80
	v_cmp_ne_u16_e64 s[10:11], s10, v40
	v_bfrev_b32_e32 v39, 1
	s_and_saveexec_b64 s[24:25], s[10:11]
	s_cbranch_execz .LBB468_33
; %bb.30:
	v_bfe_u32 v40, v34, 16, 7
	s_movk_i32 s10, 0x7f
	v_cmp_ne_u32_e64 s[10:11], s10, v40
	v_mov_b32_e32 v39, 0x7f800001
	s_and_saveexec_b64 s[26:27], s[10:11]
	s_cbranch_execz .LBB468_32
; %bb.31:
	v_and_b32_e32 v41, 7, v38
	v_ffbh_u32_e32 v39, v41
	v_min_u32_e32 v49, 32, v39
	v_subrev_u32_e32 v39, 28, v49
	v_lshlrev_b64 v[38:39], v39, v[38:39]
	v_lshrrev_b32_e32 v48, 3, v40
	v_sub_u32_e32 v39, 29, v49
	v_and_b32_e32 v38, 7, v38
	v_cmp_gt_u32_e64 s[10:11], 8, v40
	v_mov_b32_e32 v40, 24
	v_cndmask_b32_e64 v39, v48, v39, s[10:11]
	v_cndmask_b32_e64 v38, v41, v38, s[10:11]
	v_lshlrev_b32_sdwa v40, v40, v34 dst_sel:DWORD dst_unused:UNUSED_PAD src0_sel:DWORD src1_sel:WORD_1
	v_bfrev_b32_e32 v41, 60
	v_lshlrev_b32_e32 v38, 20, v38
	v_and_b32_e32 v40, 0x80000000, v40
	v_lshl_add_u32 v39, v39, 23, v41
	v_or3_b32 v39, v40, v39, v38
.LBB468_32:
	s_or_b64 exec, exec, s[26:27]
.LBB468_33:
	s_or_b64 exec, exec, s[24:25]
.LBB468_34:
	s_or_b64 exec, exec, s[12:13]
	s_mov_b32 s10, 0xffffff
	v_cmp_lt_u32_e64 s[10:11], s10, v34
	v_mov_b32_e32 v41, 0
	v_mov_b32_e32 v48, 0
	s_and_saveexec_b64 s[12:13], s[10:11]
	s_cbranch_execz .LBB468_40
; %bb.35:
	v_lshrrev_b32_e32 v38, 24, v34
	s_movk_i32 s10, 0x80
	v_cmp_ne_u32_e64 s[10:11], s10, v38
	v_bfrev_b32_e32 v48, 1
	s_and_saveexec_b64 s[24:25], s[10:11]
	s_cbranch_execz .LBB468_39
; %bb.36:
	v_bfe_u32 v40, v34, 24, 7
	s_movk_i32 s10, 0x7f
	v_cmp_ne_u32_e64 s[10:11], s10, v40
	v_mov_b32_e32 v48, 0x7f800001
	s_and_saveexec_b64 s[26:27], s[10:11]
	s_cbranch_execz .LBB468_38
; %bb.37:
	v_and_b32_e32 v50, 7, v38
	v_ffbh_u32_e32 v48, v50
	v_min_u32_e32 v52, 32, v48
	v_subrev_u32_e32 v48, 28, v52
	v_lshlrev_b64 v[48:49], v48, v[38:39]
	v_lshrrev_b32_e32 v51, 3, v40
	v_sub_u32_e32 v49, 29, v52
	v_and_b32_e32 v48, 7, v48
	v_cmp_gt_u32_e64 s[10:11], 8, v40
	v_cndmask_b32_e64 v40, v51, v49, s[10:11]
	v_cndmask_b32_e64 v48, v50, v48, s[10:11]
	v_lshlrev_b32_e32 v38, 24, v38
	v_bfrev_b32_e32 v49, 60
	v_lshlrev_b32_e32 v48, 20, v48
	v_and_b32_e32 v38, 0x80000000, v38
	v_lshl_add_u32 v40, v40, 23, v49
	v_or3_b32 v48, v38, v40, v48
.LBB468_38:
	s_or_b64 exec, exec, s[26:27]
.LBB468_39:
	s_or_b64 exec, exec, s[24:25]
.LBB468_40:
	s_or_b64 exec, exec, s[12:13]
	v_mov_b32_e32 v40, v35
	v_cmp_ne_u16_sdwa s[10:11], v35, v41 src0_sel:BYTE_0 src1_sel:DWORD
	s_and_saveexec_b64 s[12:13], s[10:11]
	s_cbranch_execz .LBB468_46
; %bb.41:
	s_movk_i32 s10, 0x80
	v_cmp_ne_u16_sdwa s[10:11], v35, s10 src0_sel:BYTE_0 src1_sel:DWORD
	v_bfrev_b32_e32 v38, 1
	s_and_saveexec_b64 s[24:25], s[10:11]
	s_cbranch_execz .LBB468_45
; %bb.42:
	s_movk_i32 s10, 0x7f
	v_and_b32_e32 v49, 0x7f, v35
	v_cmp_ne_u32_e64 s[10:11], s10, v49
	v_mov_b32_e32 v38, 0x7f800001
	s_and_saveexec_b64 s[26:27], s[10:11]
	s_cbranch_execz .LBB468_44
; %bb.43:
	v_and_b32_e32 v38, 7, v35
	v_ffbh_u32_e32 v38, v38
	v_min_u32_e32 v38, 32, v38
	v_subrev_u32_e32 v51, 28, v38
	v_cmp_gt_u32_e64 s[10:11], 8, v49
	v_lshrrev_b32_e32 v50, 3, v49
	v_sub_u32_e32 v38, 29, v38
	v_cndmask_b32_e64 v49, 0, v51, s[10:11]
	v_cndmask_b32_e64 v38, v50, v38, s[10:11]
	v_lshlrev_b64 v[50:51], v49, v[40:41]
	v_lshlrev_b32_e32 v41, 20, v50
	v_lshlrev_b32_e32 v49, 24, v40
	v_bfrev_b32_e32 v50, 60
	v_and_b32_e32 v41, 0x700000, v41
	v_and_b32_e32 v49, 0x80000000, v49
	v_lshl_add_u32 v38, v38, 23, v50
	v_or3_b32 v38, v49, v38, v41
.LBB468_44:
	s_or_b64 exec, exec, s[26:27]
.LBB468_45:
	s_or_b64 exec, exec, s[24:25]
	v_mov_b32_e32 v41, v38
.LBB468_46:
	s_or_b64 exec, exec, s[12:13]
	v_lshrrev_b16_e32 v38, 8, v40
	v_cmp_ne_u16_e64 s[10:11], 0, v38
	v_mov_b32_e32 v49, 0
	v_mov_b32_e32 v50, 0
	s_and_saveexec_b64 s[12:13], s[10:11]
	s_cbranch_execz .LBB468_52
; %bb.47:
	s_movk_i32 s10, 0x80
	v_cmp_ne_u16_e64 s[10:11], s10, v38
	v_bfrev_b32_e32 v50, 1
	s_and_saveexec_b64 s[24:25], s[10:11]
	s_cbranch_execz .LBB468_51
; %bb.48:
	s_movk_i32 s10, 0x7f
	v_and_b32_e32 v51, 0x7f, v38
	v_cmp_ne_u32_e64 s[10:11], s10, v51
	v_mov_b32_e32 v50, 0x7f800001
	s_and_saveexec_b64 s[26:27], s[10:11]
	s_cbranch_execz .LBB468_50
; %bb.49:
	v_and_b32_e32 v50, 7, v38
	v_ffbh_u32_e32 v52, v50
	v_min_u32_e32 v55, 32, v52
	v_subrev_u32_e32 v52, 28, v55
	v_lshlrev_b64 v[52:53], v52, v[38:39]
	v_lshrrev_b32_e32 v54, 3, v51
	v_sub_u32_e32 v38, 29, v55
	v_and_b32_e32 v52, 7, v52
	v_cmp_gt_u32_e64 s[10:11], 8, v51
	v_cndmask_b32_e64 v38, v54, v38, s[10:11]
	v_cndmask_b32_e64 v50, v50, v52, s[10:11]
	v_lshlrev_b32_e32 v40, 16, v40
	v_bfrev_b32_e32 v51, 60
	v_lshlrev_b32_e32 v50, 20, v50
	v_and_b32_e32 v40, 0x80000000, v40
	v_lshl_add_u32 v38, v38, 23, v51
	v_or3_b32 v50, v40, v38, v50
.LBB468_50:
	s_or_b64 exec, exec, s[26:27]
.LBB468_51:
	s_or_b64 exec, exec, s[24:25]
.LBB468_52:
	s_or_b64 exec, exec, s[12:13]
	s_movk_i32 s10, 0xff
	v_and_b32_sdwa v40, v35, s10 dst_sel:DWORD dst_unused:UNUSED_PAD src0_sel:WORD_1 src1_sel:DWORD
	v_lshrrev_b32_e32 v38, 16, v35
	v_cmp_ne_u16_e64 s[10:11], 0, v40
	s_and_saveexec_b64 s[12:13], s[10:11]
	s_cbranch_execz .LBB468_58
; %bb.53:
	s_movk_i32 s10, 0x80
	v_cmp_ne_u16_e64 s[10:11], s10, v40
	v_bfrev_b32_e32 v49, 1
	s_and_saveexec_b64 s[24:25], s[10:11]
	s_cbranch_execz .LBB468_57
; %bb.54:
	v_bfe_u32 v40, v35, 16, 7
	s_movk_i32 s10, 0x7f
	v_cmp_ne_u32_e64 s[10:11], s10, v40
	v_mov_b32_e32 v49, 0x7f800001
	s_and_saveexec_b64 s[26:27], s[10:11]
	s_cbranch_execz .LBB468_56
; %bb.55:
	v_and_b32_e32 v49, 7, v38
	v_ffbh_u32_e32 v52, v49
	v_min_u32_e32 v54, 32, v52
	v_subrev_u32_e32 v52, 28, v54
	v_lshlrev_b64 v[52:53], v52, v[38:39]
	v_and_b32_e32 v52, 7, v52
	v_cmp_gt_u32_e64 s[10:11], 8, v40
	v_lshrrev_b32_e32 v51, 3, v40
	v_sub_u32_e32 v38, 29, v54
	v_cndmask_b32_e64 v40, v49, v52, s[10:11]
	v_mov_b32_e32 v49, 24
	v_cndmask_b32_e64 v38, v51, v38, s[10:11]
	v_lshlrev_b32_sdwa v49, v49, v35 dst_sel:DWORD dst_unused:UNUSED_PAD src0_sel:DWORD src1_sel:WORD_1
	v_bfrev_b32_e32 v51, 60
	v_lshlrev_b32_e32 v40, 20, v40
	v_and_b32_e32 v49, 0x80000000, v49
	v_lshl_add_u32 v38, v38, 23, v51
	v_or3_b32 v49, v49, v38, v40
.LBB468_56:
	s_or_b64 exec, exec, s[26:27]
.LBB468_57:
	s_or_b64 exec, exec, s[24:25]
.LBB468_58:
	s_or_b64 exec, exec, s[12:13]
	s_mov_b32 s10, -1
	s_mov_b32 s11, 0xffffff
	v_cmp_lt_u64_e64 s[10:11], s[10:11], v[34:35]
	v_mov_b32_e32 v40, 0
	v_mov_b32_e32 v38, 0
	s_and_saveexec_b64 s[12:13], s[10:11]
	s_cbranch_execz .LBB468_64
; %bb.59:
	v_lshrrev_b32_e32 v34, 24, v35
	s_movk_i32 s10, 0x80
	v_cmp_ne_u32_e64 s[10:11], s10, v34
	v_bfrev_b32_e32 v38, 1
	s_and_saveexec_b64 s[24:25], s[10:11]
	s_cbranch_execz .LBB468_63
; %bb.60:
	v_bfe_u32 v35, v35, 24, 7
	s_movk_i32 s10, 0x7f
	v_cmp_ne_u32_e64 s[10:11], s10, v35
	v_mov_b32_e32 v38, 0x7f800001
	s_and_saveexec_b64 s[26:27], s[10:11]
	s_cbranch_execz .LBB468_62
; %bb.61:
	v_and_b32_e32 v38, 7, v34
	v_ffbh_u32_e32 v52, v38
	v_min_u32_e32 v54, 32, v52
	v_subrev_u32_e32 v52, 28, v54
	v_lshlrev_b64 v[52:53], v52, v[34:35]
	v_lshrrev_b32_e32 v51, 3, v35
	v_sub_u32_e32 v53, 29, v54
	v_and_b32_e32 v52, 7, v52
	v_cmp_gt_u32_e64 s[10:11], 8, v35
	v_cndmask_b32_e64 v35, v51, v53, s[10:11]
	v_cndmask_b32_e64 v38, v38, v52, s[10:11]
	v_lshlrev_b32_e32 v34, 24, v34
	v_bfrev_b32_e32 v51, 60
	v_lshlrev_b32_e32 v38, 20, v38
	v_and_b32_e32 v34, 0x80000000, v34
	v_lshl_add_u32 v35, v35, 23, v51
	v_or3_b32 v38, v34, v35, v38
.LBB468_62:
	s_or_b64 exec, exec, s[26:27]
.LBB468_63:
	s_or_b64 exec, exec, s[24:25]
.LBB468_64:
	s_or_b64 exec, exec, s[12:13]
	v_cvt_pkrtz_f16_f32 v34, v46, v47
	v_cvt_pkrtz_f16_f32 v35, v39, v48
	;; [unrolled: 1-line block ×4, first 2 shown]
	v_mfma_f32_4x4x4f16 a[0:3], v[2:3], v[34:35], 0 cbsz:4
	v_cmp_ne_u16_sdwa s[10:11], v36, v40 src0_sel:BYTE_0 src1_sel:DWORD
	v_mfma_f32_4x4x4f16 a[0:3], v[4:5], v[46:47], a[0:3] cbsz:4
	s_and_saveexec_b64 s[12:13], s[10:11]
	s_cbranch_execz .LBB468_70
; %bb.65:
	s_movk_i32 s10, 0x80
	v_cmp_ne_u16_sdwa s[10:11], v36, s10 src0_sel:BYTE_0 src1_sel:DWORD
	v_bfrev_b32_e32 v40, 1
	s_and_saveexec_b64 s[24:25], s[10:11]
	s_cbranch_execz .LBB468_69
; %bb.66:
	s_movk_i32 s10, 0x7f
	v_and_b32_e32 v34, 0x7f, v36
	v_cmp_ne_u32_e64 s[10:11], s10, v34
	v_mov_b32_e32 v40, 0x7f800001
	s_and_saveexec_b64 s[26:27], s[10:11]
	s_cbranch_execz .LBB468_68
; %bb.67:
	v_and_b32_e32 v35, 7, v36
	v_ffbh_u32_e32 v35, v35
	v_min_u32_e32 v35, 32, v35
	v_subrev_u32_e32 v39, 28, v35
	v_cmp_gt_u32_e64 s[10:11], 8, v34
	v_lshrrev_b32_e32 v38, 3, v34
	v_sub_u32_e32 v35, 29, v35
	v_cndmask_b32_e64 v34, 0, v39, s[10:11]
	v_cndmask_b32_e64 v38, v38, v35, s[10:11]
	v_lshlrev_b64 v[34:35], v34, v[36:37]
	v_lshlrev_b32_e32 v34, 20, v34
	v_lshlrev_b32_e32 v35, 24, v36
	v_bfrev_b32_e32 v39, 60
	v_and_b32_e32 v34, 0x700000, v34
	v_and_b32_e32 v35, 0x80000000, v35
	v_lshl_add_u32 v38, v38, 23, v39
	v_or3_b32 v40, v35, v38, v34
.LBB468_68:
	s_or_b64 exec, exec, s[26:27]
.LBB468_69:
	s_or_b64 exec, exec, s[24:25]
.LBB468_70:
	s_or_b64 exec, exec, s[12:13]
	v_lshrrev_b16_e32 v34, 8, v36
	v_cmp_ne_u16_e64 s[10:11], 0, v34
	v_mov_b32_e32 v39, 0
	v_mov_b32_e32 v41, 0
	s_and_saveexec_b64 s[12:13], s[10:11]
	s_cbranch_execz .LBB468_76
; %bb.71:
	s_movk_i32 s10, 0x80
	v_cmp_ne_u16_e64 s[10:11], s10, v34
	v_bfrev_b32_e32 v41, 1
	s_and_saveexec_b64 s[24:25], s[10:11]
	s_cbranch_execz .LBB468_75
; %bb.72:
	s_movk_i32 s10, 0x7f
	v_and_b32_e32 v35, 0x7f, v34
	v_cmp_ne_u32_e64 s[10:11], s10, v35
	v_mov_b32_e32 v41, 0x7f800001
	s_and_saveexec_b64 s[26:27], s[10:11]
	s_cbranch_execz .LBB468_74
; %bb.73:
	v_and_b32_e32 v38, 7, v34
	v_ffbh_u32_e32 v46, v38
	v_min_u32_e32 v48, 32, v46
	v_subrev_u32_e32 v46, 28, v48
	v_lshlrev_b64 v[46:47], v46, v[34:35]
	v_lshrrev_b32_e32 v41, 3, v35
	v_sub_u32_e32 v34, 29, v48
	v_and_b32_e32 v46, 7, v46
	v_cmp_gt_u32_e64 s[10:11], 8, v35
	v_cndmask_b32_e64 v34, v41, v34, s[10:11]
	v_cndmask_b32_e64 v35, v38, v46, s[10:11]
	v_lshlrev_b32_e32 v38, 16, v36
	v_bfrev_b32_e32 v41, 60
	v_lshlrev_b32_e32 v35, 20, v35
	v_and_b32_e32 v38, 0x80000000, v38
	v_lshl_add_u32 v34, v34, 23, v41
	v_or3_b32 v41, v38, v34, v35
.LBB468_74:
	s_or_b64 exec, exec, s[26:27]
.LBB468_75:
	s_or_b64 exec, exec, s[24:25]
.LBB468_76:
	s_or_b64 exec, exec, s[12:13]
	s_movk_i32 s10, 0xff
	v_and_b32_sdwa v35, v36, s10 dst_sel:DWORD dst_unused:UNUSED_PAD src0_sel:WORD_1 src1_sel:DWORD
	v_lshrrev_b32_e32 v34, 16, v36
	v_cmp_ne_u16_e64 s[10:11], 0, v35
	s_and_saveexec_b64 s[12:13], s[10:11]
	s_cbranch_execz .LBB468_82
; %bb.77:
	s_movk_i32 s10, 0x80
	v_cmp_ne_u16_e64 s[10:11], s10, v35
	v_bfrev_b32_e32 v39, 1
	s_and_saveexec_b64 s[24:25], s[10:11]
	s_cbranch_execz .LBB468_81
; %bb.78:
	v_bfe_u32 v35, v36, 16, 7
	s_movk_i32 s10, 0x7f
	v_cmp_ne_u32_e64 s[10:11], s10, v35
	v_mov_b32_e32 v39, 0x7f800001
	s_and_saveexec_b64 s[26:27], s[10:11]
	s_cbranch_execz .LBB468_80
; %bb.79:
	v_and_b32_e32 v46, 7, v34
	v_ffbh_u32_e32 v38, v46
	v_min_u32_e32 v48, 32, v38
	v_subrev_u32_e32 v38, 28, v48
	v_lshlrev_b64 v[38:39], v38, v[34:35]
	v_and_b32_e32 v38, 7, v38
	v_cmp_gt_u32_e64 s[10:11], 8, v35
	v_lshrrev_b32_e32 v47, 3, v35
	v_sub_u32_e32 v34, 29, v48
	v_cndmask_b32_e64 v35, v46, v38, s[10:11]
	v_mov_b32_e32 v38, 24
	v_cndmask_b32_e64 v34, v47, v34, s[10:11]
	v_lshlrev_b32_sdwa v38, v38, v36 dst_sel:DWORD dst_unused:UNUSED_PAD src0_sel:DWORD src1_sel:WORD_1
	v_bfrev_b32_e32 v39, 60
	v_lshlrev_b32_e32 v35, 20, v35
	v_and_b32_e32 v38, 0x80000000, v38
	v_lshl_add_u32 v34, v34, 23, v39
	v_or3_b32 v39, v38, v34, v35
.LBB468_80:
	s_or_b64 exec, exec, s[26:27]
.LBB468_81:
	s_or_b64 exec, exec, s[24:25]
.LBB468_82:
	s_or_b64 exec, exec, s[12:13]
	s_mov_b32 s10, 0xffffff
	v_cmp_lt_u32_e64 s[10:11], s10, v36
	v_mov_b32_e32 v35, 0
	v_mov_b32_e32 v46, 0
	s_and_saveexec_b64 s[12:13], s[10:11]
	s_cbranch_execz .LBB468_88
; %bb.83:
	v_lshrrev_b32_e32 v34, 24, v36
	s_movk_i32 s10, 0x80
	v_cmp_ne_u32_e64 s[10:11], s10, v34
	v_bfrev_b32_e32 v46, 1
	s_and_saveexec_b64 s[24:25], s[10:11]
	s_cbranch_execz .LBB468_87
; %bb.84:
	v_bfe_u32 v38, v36, 24, 7
	s_movk_i32 s10, 0x7f
	v_cmp_ne_u32_e64 s[10:11], s10, v38
	v_mov_b32_e32 v46, 0x7f800001
	s_and_saveexec_b64 s[26:27], s[10:11]
	s_cbranch_execz .LBB468_86
; %bb.85:
	v_and_b32_e32 v48, 7, v34
	v_ffbh_u32_e32 v46, v48
	v_min_u32_e32 v50, 32, v46
	v_subrev_u32_e32 v46, 28, v50
	v_lshlrev_b64 v[46:47], v46, v[34:35]
	v_lshrrev_b32_e32 v49, 3, v38
	v_sub_u32_e32 v47, 29, v50
	v_and_b32_e32 v46, 7, v46
	v_cmp_gt_u32_e64 s[10:11], 8, v38
	v_cndmask_b32_e64 v38, v49, v47, s[10:11]
	v_cndmask_b32_e64 v46, v48, v46, s[10:11]
	v_lshlrev_b32_e32 v34, 24, v34
	v_bfrev_b32_e32 v47, 60
	v_lshlrev_b32_e32 v46, 20, v46
	v_and_b32_e32 v34, 0x80000000, v34
	v_lshl_add_u32 v38, v38, 23, v47
	v_or3_b32 v46, v34, v38, v46
.LBB468_86:
	s_or_b64 exec, exec, s[26:27]
.LBB468_87:
	s_or_b64 exec, exec, s[24:25]
.LBB468_88:
	s_or_b64 exec, exec, s[12:13]
	v_mov_b32_e32 v34, v37
	v_cmp_ne_u16_sdwa s[10:11], v37, v35 src0_sel:BYTE_0 src1_sel:DWORD
	s_and_saveexec_b64 s[12:13], s[10:11]
	s_cbranch_execz .LBB468_94
; %bb.89:
	s_movk_i32 s10, 0x80
	v_cmp_ne_u16_sdwa s[10:11], v37, s10 src0_sel:BYTE_0 src1_sel:DWORD
	v_bfrev_b32_e32 v38, 1
	s_and_saveexec_b64 s[24:25], s[10:11]
	s_cbranch_execz .LBB468_93
; %bb.90:
	s_movk_i32 s10, 0x7f
	v_and_b32_e32 v47, 0x7f, v37
	v_cmp_ne_u32_e64 s[10:11], s10, v47
	v_mov_b32_e32 v38, 0x7f800001
	s_and_saveexec_b64 s[26:27], s[10:11]
	s_cbranch_execz .LBB468_92
; %bb.91:
	v_and_b32_e32 v38, 7, v37
	v_ffbh_u32_e32 v38, v38
	v_min_u32_e32 v38, 32, v38
	v_subrev_u32_e32 v49, 28, v38
	v_cmp_gt_u32_e64 s[10:11], 8, v47
	v_lshrrev_b32_e32 v48, 3, v47
	v_sub_u32_e32 v38, 29, v38
	v_cndmask_b32_e64 v47, 0, v49, s[10:11]
	v_cndmask_b32_e64 v38, v48, v38, s[10:11]
	v_lshlrev_b64 v[48:49], v47, v[34:35]
	v_lshlrev_b32_e32 v35, 20, v48
	v_lshlrev_b32_e32 v47, 24, v34
	v_bfrev_b32_e32 v48, 60
	v_and_b32_e32 v35, 0x700000, v35
	v_and_b32_e32 v47, 0x80000000, v47
	v_lshl_add_u32 v38, v38, 23, v48
	v_or3_b32 v38, v47, v38, v35
.LBB468_92:
	s_or_b64 exec, exec, s[26:27]
.LBB468_93:
	s_or_b64 exec, exec, s[24:25]
	v_mov_b32_e32 v35, v38
.LBB468_94:
	s_or_b64 exec, exec, s[12:13]
	v_lshrrev_b16_e32 v38, 8, v34
	v_cmp_ne_u16_e64 s[10:11], 0, v38
	v_mov_b32_e32 v47, 0
	v_mov_b32_e32 v48, 0
	s_and_saveexec_b64 s[12:13], s[10:11]
	s_cbranch_execz .LBB468_100
; %bb.95:
	s_movk_i32 s10, 0x80
	v_cmp_ne_u16_e64 s[10:11], s10, v38
	v_bfrev_b32_e32 v48, 1
	s_and_saveexec_b64 s[24:25], s[10:11]
	s_cbranch_execz .LBB468_99
; %bb.96:
	s_movk_i32 s10, 0x7f
	v_and_b32_e32 v49, 0x7f, v38
	v_cmp_ne_u32_e64 s[10:11], s10, v49
	v_mov_b32_e32 v48, 0x7f800001
	s_and_saveexec_b64 s[26:27], s[10:11]
	s_cbranch_execz .LBB468_98
; %bb.97:
	v_and_b32_e32 v48, 7, v38
	v_ffbh_u32_e32 v50, v48
	v_min_u32_e32 v53, 32, v50
	v_subrev_u32_e32 v50, 28, v53
	v_lshlrev_b64 v[50:51], v50, v[38:39]
	v_lshrrev_b32_e32 v52, 3, v49
	v_sub_u32_e32 v38, 29, v53
	v_and_b32_e32 v50, 7, v50
	v_cmp_gt_u32_e64 s[10:11], 8, v49
	v_cndmask_b32_e64 v38, v52, v38, s[10:11]
	v_cndmask_b32_e64 v48, v48, v50, s[10:11]
	v_lshlrev_b32_e32 v34, 16, v34
	v_bfrev_b32_e32 v49, 60
	v_lshlrev_b32_e32 v48, 20, v48
	v_and_b32_e32 v34, 0x80000000, v34
	v_lshl_add_u32 v38, v38, 23, v49
	v_or3_b32 v48, v34, v38, v48
.LBB468_98:
	s_or_b64 exec, exec, s[26:27]
.LBB468_99:
	s_or_b64 exec, exec, s[24:25]
.LBB468_100:
	s_or_b64 exec, exec, s[12:13]
	s_movk_i32 s10, 0xff
	v_and_b32_sdwa v38, v37, s10 dst_sel:DWORD dst_unused:UNUSED_PAD src0_sel:WORD_1 src1_sel:DWORD
	v_lshrrev_b32_e32 v34, 16, v37
	v_cmp_ne_u16_e64 s[10:11], 0, v38
	s_and_saveexec_b64 s[12:13], s[10:11]
	s_cbranch_execz .LBB468_106
; %bb.101:
	s_movk_i32 s10, 0x80
	v_cmp_ne_u16_e64 s[10:11], s10, v38
	v_bfrev_b32_e32 v47, 1
	s_and_saveexec_b64 s[24:25], s[10:11]
	s_cbranch_execz .LBB468_105
; %bb.102:
	v_bfe_u32 v38, v37, 16, 7
	s_movk_i32 s10, 0x7f
	v_cmp_ne_u32_e64 s[10:11], s10, v38
	v_mov_b32_e32 v47, 0x7f800001
	s_and_saveexec_b64 s[26:27], s[10:11]
	s_cbranch_execz .LBB468_104
; %bb.103:
	v_and_b32_e32 v47, 7, v34
	v_ffbh_u32_e32 v50, v47
	v_min_u32_e32 v52, 32, v50
	v_subrev_u32_e32 v50, 28, v52
	v_lshlrev_b64 v[50:51], v50, v[34:35]
	v_and_b32_e32 v50, 7, v50
	v_cmp_gt_u32_e64 s[10:11], 8, v38
	v_lshrrev_b32_e32 v49, 3, v38
	v_sub_u32_e32 v34, 29, v52
	v_cndmask_b32_e64 v38, v47, v50, s[10:11]
	v_mov_b32_e32 v47, 24
	v_cndmask_b32_e64 v34, v49, v34, s[10:11]
	v_lshlrev_b32_sdwa v47, v47, v37 dst_sel:DWORD dst_unused:UNUSED_PAD src0_sel:DWORD src1_sel:WORD_1
	v_bfrev_b32_e32 v49, 60
	v_lshlrev_b32_e32 v38, 20, v38
	v_and_b32_e32 v47, 0x80000000, v47
	v_lshl_add_u32 v34, v34, 23, v49
	v_or3_b32 v47, v47, v34, v38
.LBB468_104:
	s_or_b64 exec, exec, s[26:27]
.LBB468_105:
	s_or_b64 exec, exec, s[24:25]
.LBB468_106:
	s_or_b64 exec, exec, s[12:13]
	s_mov_b32 s10, -1
	s_mov_b32 s11, 0xffffff
	v_cmp_lt_u64_e64 s[10:11], s[10:11], v[36:37]
	v_mov_b32_e32 v38, 0
	v_mov_b32_e32 v36, 0
	s_and_saveexec_b64 s[12:13], s[10:11]
	s_cbranch_execz .LBB468_112
; %bb.107:
	v_lshrrev_b32_e32 v34, 24, v37
	s_movk_i32 s10, 0x80
	v_cmp_ne_u32_e64 s[10:11], s10, v34
	v_bfrev_b32_e32 v36, 1
	s_and_saveexec_b64 s[24:25], s[10:11]
	s_cbranch_execz .LBB468_111
; %bb.108:
	v_bfe_u32 v37, v37, 24, 7
	s_movk_i32 s10, 0x7f
	v_cmp_ne_u32_e64 s[10:11], s10, v37
	v_mov_b32_e32 v36, 0x7f800001
	s_and_saveexec_b64 s[26:27], s[10:11]
	s_cbranch_execz .LBB468_110
; %bb.109:
	v_and_b32_e32 v36, 7, v34
	v_ffbh_u32_e32 v50, v36
	v_min_u32_e32 v52, 32, v50
	v_subrev_u32_e32 v50, 28, v52
	v_lshlrev_b64 v[50:51], v50, v[34:35]
	v_lshrrev_b32_e32 v49, 3, v37
	v_sub_u32_e32 v51, 29, v52
	v_and_b32_e32 v50, 7, v50
	v_cmp_gt_u32_e64 s[10:11], 8, v37
	v_cndmask_b32_e64 v37, v49, v51, s[10:11]
	v_cndmask_b32_e64 v36, v36, v50, s[10:11]
	v_lshlrev_b32_e32 v34, 24, v34
	v_bfrev_b32_e32 v49, 60
	v_lshlrev_b32_e32 v36, 20, v36
	v_and_b32_e32 v34, 0x80000000, v34
	v_lshl_add_u32 v37, v37, 23, v49
	v_or3_b32 v36, v34, v37, v36
.LBB468_110:
	s_or_b64 exec, exec, s[26:27]
.LBB468_111:
	s_or_b64 exec, exec, s[24:25]
.LBB468_112:
	s_or_b64 exec, exec, s[12:13]
	v_cvt_pkrtz_f16_f32 v40, v40, v41
	v_cvt_pkrtz_f16_f32 v41, v39, v46
	;; [unrolled: 1-line block ×4, first 2 shown]
	v_mfma_f32_4x4x4f16 a[0:3], v[2:3], v[40:41], a[0:3] cbsz:4 abid:1
	v_cmp_ne_u16_sdwa s[10:11], v30, v38 src0_sel:BYTE_0 src1_sel:DWORD
	v_mfma_f32_4x4x4f16 a[0:3], v[4:5], v[34:35], a[0:3] cbsz:4 abid:1
	s_and_saveexec_b64 s[12:13], s[10:11]
	s_cbranch_execz .LBB468_118
; %bb.113:
	s_movk_i32 s10, 0x80
	v_cmp_ne_u16_sdwa s[10:11], v30, s10 src0_sel:BYTE_0 src1_sel:DWORD
	v_bfrev_b32_e32 v38, 1
	s_and_saveexec_b64 s[24:25], s[10:11]
	s_cbranch_execz .LBB468_117
; %bb.114:
	s_movk_i32 s10, 0x7f
	v_and_b32_e32 v34, 0x7f, v30
	v_cmp_ne_u32_e64 s[10:11], s10, v34
	v_mov_b32_e32 v38, 0x7f800001
	s_and_saveexec_b64 s[26:27], s[10:11]
	s_cbranch_execz .LBB468_116
; %bb.115:
	v_and_b32_e32 v35, 7, v30
	v_ffbh_u32_e32 v35, v35
	v_min_u32_e32 v35, 32, v35
	v_subrev_u32_e32 v37, 28, v35
	v_cmp_gt_u32_e64 s[10:11], 8, v34
	v_lshrrev_b32_e32 v36, 3, v34
	v_sub_u32_e32 v35, 29, v35
	v_cndmask_b32_e64 v34, 0, v37, s[10:11]
	v_cndmask_b32_e64 v36, v36, v35, s[10:11]
	v_lshlrev_b64 v[34:35], v34, v[30:31]
	v_lshlrev_b32_e32 v34, 20, v34
	v_lshlrev_b32_e32 v35, 24, v30
	v_bfrev_b32_e32 v37, 60
	v_and_b32_e32 v34, 0x700000, v34
	v_and_b32_e32 v35, 0x80000000, v35
	v_lshl_add_u32 v36, v36, 23, v37
	v_or3_b32 v38, v35, v36, v34
.LBB468_116:
	s_or_b64 exec, exec, s[26:27]
.LBB468_117:
	s_or_b64 exec, exec, s[24:25]
.LBB468_118:
	s_or_b64 exec, exec, s[12:13]
	v_lshrrev_b16_e32 v34, 8, v30
	v_cmp_ne_u16_e64 s[10:11], 0, v34
	v_mov_b32_e32 v37, 0
	v_mov_b32_e32 v39, 0
	s_and_saveexec_b64 s[12:13], s[10:11]
	s_cbranch_execz .LBB468_124
; %bb.119:
	s_movk_i32 s10, 0x80
	v_cmp_ne_u16_e64 s[10:11], s10, v34
	v_bfrev_b32_e32 v39, 1
	s_and_saveexec_b64 s[24:25], s[10:11]
	s_cbranch_execz .LBB468_123
; %bb.120:
	s_movk_i32 s10, 0x7f
	v_and_b32_e32 v35, 0x7f, v34
	v_cmp_ne_u32_e64 s[10:11], s10, v35
	v_mov_b32_e32 v39, 0x7f800001
	s_and_saveexec_b64 s[26:27], s[10:11]
	s_cbranch_execz .LBB468_122
; %bb.121:
	v_and_b32_e32 v36, 7, v34
	v_ffbh_u32_e32 v40, v36
	v_min_u32_e32 v46, 32, v40
	v_subrev_u32_e32 v40, 28, v46
	v_lshlrev_b64 v[40:41], v40, v[34:35]
	v_lshrrev_b32_e32 v39, 3, v35
	v_sub_u32_e32 v34, 29, v46
	v_and_b32_e32 v40, 7, v40
	v_cmp_gt_u32_e64 s[10:11], 8, v35
	v_cndmask_b32_e64 v34, v39, v34, s[10:11]
	v_cndmask_b32_e64 v35, v36, v40, s[10:11]
	v_lshlrev_b32_e32 v36, 16, v30
	v_bfrev_b32_e32 v39, 60
	v_lshlrev_b32_e32 v35, 20, v35
	v_and_b32_e32 v36, 0x80000000, v36
	v_lshl_add_u32 v34, v34, 23, v39
	v_or3_b32 v39, v36, v34, v35
.LBB468_122:
	s_or_b64 exec, exec, s[26:27]
.LBB468_123:
	s_or_b64 exec, exec, s[24:25]
.LBB468_124:
	s_or_b64 exec, exec, s[12:13]
	s_movk_i32 s10, 0xff
	v_and_b32_sdwa v35, v30, s10 dst_sel:DWORD dst_unused:UNUSED_PAD src0_sel:WORD_1 src1_sel:DWORD
	v_lshrrev_b32_e32 v34, 16, v30
	v_cmp_ne_u16_e64 s[10:11], 0, v35
	s_and_saveexec_b64 s[12:13], s[10:11]
	s_cbranch_execz .LBB468_130
; %bb.125:
	s_movk_i32 s10, 0x80
	v_cmp_ne_u16_e64 s[10:11], s10, v35
	v_bfrev_b32_e32 v37, 1
	s_and_saveexec_b64 s[24:25], s[10:11]
	s_cbranch_execz .LBB468_129
; %bb.126:
	v_bfe_u32 v35, v30, 16, 7
	s_movk_i32 s10, 0x7f
	v_cmp_ne_u32_e64 s[10:11], s10, v35
	v_mov_b32_e32 v37, 0x7f800001
	s_and_saveexec_b64 s[26:27], s[10:11]
	s_cbranch_execz .LBB468_128
; %bb.127:
	v_and_b32_e32 v40, 7, v34
	v_ffbh_u32_e32 v36, v40
	v_min_u32_e32 v46, 32, v36
	v_subrev_u32_e32 v36, 28, v46
	v_lshlrev_b64 v[36:37], v36, v[34:35]
	v_and_b32_e32 v36, 7, v36
	v_cmp_gt_u32_e64 s[10:11], 8, v35
	v_lshrrev_b32_e32 v41, 3, v35
	v_sub_u32_e32 v34, 29, v46
	v_cndmask_b32_e64 v35, v40, v36, s[10:11]
	v_mov_b32_e32 v36, 24
	v_cndmask_b32_e64 v34, v41, v34, s[10:11]
	v_lshlrev_b32_sdwa v36, v36, v30 dst_sel:DWORD dst_unused:UNUSED_PAD src0_sel:DWORD src1_sel:WORD_1
	v_bfrev_b32_e32 v37, 60
	v_lshlrev_b32_e32 v35, 20, v35
	v_and_b32_e32 v36, 0x80000000, v36
	v_lshl_add_u32 v34, v34, 23, v37
	v_or3_b32 v37, v36, v34, v35
.LBB468_128:
	s_or_b64 exec, exec, s[26:27]
.LBB468_129:
	s_or_b64 exec, exec, s[24:25]
.LBB468_130:
	s_or_b64 exec, exec, s[12:13]
	s_mov_b32 s10, 0xffffff
	v_cmp_lt_u32_e64 s[10:11], s10, v30
	v_mov_b32_e32 v35, 0
	v_mov_b32_e32 v40, 0
	s_and_saveexec_b64 s[12:13], s[10:11]
	s_cbranch_execz .LBB468_136
; %bb.131:
	v_lshrrev_b32_e32 v34, 24, v30
	s_movk_i32 s10, 0x80
	v_cmp_ne_u32_e64 s[10:11], s10, v34
	v_bfrev_b32_e32 v40, 1
	s_and_saveexec_b64 s[24:25], s[10:11]
	s_cbranch_execz .LBB468_135
; %bb.132:
	v_bfe_u32 v36, v30, 24, 7
	s_movk_i32 s10, 0x7f
	v_cmp_ne_u32_e64 s[10:11], s10, v36
	v_mov_b32_e32 v40, 0x7f800001
	s_and_saveexec_b64 s[26:27], s[10:11]
	s_cbranch_execz .LBB468_134
; %bb.133:
	v_and_b32_e32 v46, 7, v34
	v_ffbh_u32_e32 v40, v46
	v_min_u32_e32 v48, 32, v40
	v_subrev_u32_e32 v40, 28, v48
	v_lshlrev_b64 v[40:41], v40, v[34:35]
	v_lshrrev_b32_e32 v47, 3, v36
	v_sub_u32_e32 v41, 29, v48
	v_and_b32_e32 v40, 7, v40
	v_cmp_gt_u32_e64 s[10:11], 8, v36
	v_cndmask_b32_e64 v36, v47, v41, s[10:11]
	v_cndmask_b32_e64 v40, v46, v40, s[10:11]
	v_lshlrev_b32_e32 v34, 24, v34
	v_bfrev_b32_e32 v41, 60
	v_lshlrev_b32_e32 v40, 20, v40
	v_and_b32_e32 v34, 0x80000000, v34
	v_lshl_add_u32 v36, v36, 23, v41
	v_or3_b32 v40, v34, v36, v40
.LBB468_134:
	s_or_b64 exec, exec, s[26:27]
.LBB468_135:
	s_or_b64 exec, exec, s[24:25]
.LBB468_136:
	s_or_b64 exec, exec, s[12:13]
	v_mov_b32_e32 v34, v31
	v_cmp_ne_u16_sdwa s[10:11], v31, v35 src0_sel:BYTE_0 src1_sel:DWORD
	s_and_saveexec_b64 s[12:13], s[10:11]
	s_cbranch_execz .LBB468_142
; %bb.137:
	s_movk_i32 s10, 0x80
	v_cmp_ne_u16_sdwa s[10:11], v31, s10 src0_sel:BYTE_0 src1_sel:DWORD
	v_bfrev_b32_e32 v36, 1
	s_and_saveexec_b64 s[24:25], s[10:11]
	s_cbranch_execz .LBB468_141
; %bb.138:
	s_movk_i32 s10, 0x7f
	v_and_b32_e32 v41, 0x7f, v31
	v_cmp_ne_u32_e64 s[10:11], s10, v41
	v_mov_b32_e32 v36, 0x7f800001
	s_and_saveexec_b64 s[26:27], s[10:11]
	s_cbranch_execz .LBB468_140
; %bb.139:
	v_and_b32_e32 v36, 7, v31
	v_ffbh_u32_e32 v36, v36
	v_min_u32_e32 v36, 32, v36
	v_subrev_u32_e32 v47, 28, v36
	v_cmp_gt_u32_e64 s[10:11], 8, v41
	v_lshrrev_b32_e32 v46, 3, v41
	v_sub_u32_e32 v36, 29, v36
	v_cndmask_b32_e64 v41, 0, v47, s[10:11]
	v_cndmask_b32_e64 v36, v46, v36, s[10:11]
	v_lshlrev_b64 v[46:47], v41, v[34:35]
	v_lshlrev_b32_e32 v35, 20, v46
	v_lshlrev_b32_e32 v41, 24, v34
	v_bfrev_b32_e32 v46, 60
	v_and_b32_e32 v35, 0x700000, v35
	v_and_b32_e32 v41, 0x80000000, v41
	v_lshl_add_u32 v36, v36, 23, v46
	v_or3_b32 v36, v41, v36, v35
.LBB468_140:
	s_or_b64 exec, exec, s[26:27]
.LBB468_141:
	s_or_b64 exec, exec, s[24:25]
	v_mov_b32_e32 v35, v36
.LBB468_142:
	s_or_b64 exec, exec, s[12:13]
	v_lshrrev_b16_e32 v36, 8, v34
	v_cmp_ne_u16_e64 s[10:11], 0, v36
	v_mov_b32_e32 v41, 0
	v_mov_b32_e32 v46, 0
	s_and_saveexec_b64 s[12:13], s[10:11]
	s_cbranch_execz .LBB468_148
; %bb.143:
	s_movk_i32 s10, 0x80
	v_cmp_ne_u16_e64 s[10:11], s10, v36
	v_bfrev_b32_e32 v46, 1
	s_and_saveexec_b64 s[24:25], s[10:11]
	s_cbranch_execz .LBB468_147
; %bb.144:
	s_movk_i32 s10, 0x7f
	v_and_b32_e32 v47, 0x7f, v36
	v_cmp_ne_u32_e64 s[10:11], s10, v47
	v_mov_b32_e32 v46, 0x7f800001
	s_and_saveexec_b64 s[26:27], s[10:11]
	s_cbranch_execz .LBB468_146
; %bb.145:
	v_and_b32_e32 v46, 7, v36
	v_ffbh_u32_e32 v48, v46
	v_min_u32_e32 v51, 32, v48
	v_subrev_u32_e32 v48, 28, v51
	v_lshlrev_b64 v[48:49], v48, v[36:37]
	v_lshrrev_b32_e32 v50, 3, v47
	v_sub_u32_e32 v36, 29, v51
	v_and_b32_e32 v48, 7, v48
	v_cmp_gt_u32_e64 s[10:11], 8, v47
	v_cndmask_b32_e64 v36, v50, v36, s[10:11]
	v_cndmask_b32_e64 v46, v46, v48, s[10:11]
	v_lshlrev_b32_e32 v34, 16, v34
	v_bfrev_b32_e32 v47, 60
	v_lshlrev_b32_e32 v46, 20, v46
	v_and_b32_e32 v34, 0x80000000, v34
	v_lshl_add_u32 v36, v36, 23, v47
	v_or3_b32 v46, v34, v36, v46
.LBB468_146:
	s_or_b64 exec, exec, s[26:27]
.LBB468_147:
	s_or_b64 exec, exec, s[24:25]
.LBB468_148:
	s_or_b64 exec, exec, s[12:13]
	s_movk_i32 s10, 0xff
	v_and_b32_sdwa v36, v31, s10 dst_sel:DWORD dst_unused:UNUSED_PAD src0_sel:WORD_1 src1_sel:DWORD
	v_lshrrev_b32_e32 v34, 16, v31
	v_cmp_ne_u16_e64 s[10:11], 0, v36
	s_and_saveexec_b64 s[12:13], s[10:11]
	s_cbranch_execz .LBB468_154
; %bb.149:
	s_movk_i32 s10, 0x80
	v_cmp_ne_u16_e64 s[10:11], s10, v36
	v_bfrev_b32_e32 v41, 1
	s_and_saveexec_b64 s[24:25], s[10:11]
	s_cbranch_execz .LBB468_153
; %bb.150:
	v_bfe_u32 v36, v31, 16, 7
	s_movk_i32 s10, 0x7f
	v_cmp_ne_u32_e64 s[10:11], s10, v36
	v_mov_b32_e32 v41, 0x7f800001
	s_and_saveexec_b64 s[26:27], s[10:11]
	s_cbranch_execz .LBB468_152
; %bb.151:
	v_and_b32_e32 v41, 7, v34
	v_ffbh_u32_e32 v48, v41
	v_min_u32_e32 v50, 32, v48
	v_subrev_u32_e32 v48, 28, v50
	v_lshlrev_b64 v[48:49], v48, v[34:35]
	v_and_b32_e32 v48, 7, v48
	v_cmp_gt_u32_e64 s[10:11], 8, v36
	v_lshrrev_b32_e32 v47, 3, v36
	v_sub_u32_e32 v34, 29, v50
	v_cndmask_b32_e64 v36, v41, v48, s[10:11]
	v_mov_b32_e32 v41, 24
	v_cndmask_b32_e64 v34, v47, v34, s[10:11]
	v_lshlrev_b32_sdwa v41, v41, v31 dst_sel:DWORD dst_unused:UNUSED_PAD src0_sel:DWORD src1_sel:WORD_1
	v_bfrev_b32_e32 v47, 60
	v_lshlrev_b32_e32 v36, 20, v36
	v_and_b32_e32 v41, 0x80000000, v41
	v_lshl_add_u32 v34, v34, 23, v47
	v_or3_b32 v41, v41, v34, v36
.LBB468_152:
	s_or_b64 exec, exec, s[26:27]
.LBB468_153:
	s_or_b64 exec, exec, s[24:25]
.LBB468_154:
	s_or_b64 exec, exec, s[12:13]
	s_mov_b32 s10, -1
	s_mov_b32 s11, 0xffffff
	v_cmp_lt_u64_e64 s[10:11], s[10:11], v[30:31]
	v_mov_b32_e32 v36, 0
	v_mov_b32_e32 v34, 0
	s_and_saveexec_b64 s[12:13], s[10:11]
	s_cbranch_execz .LBB468_160
; %bb.155:
	v_lshrrev_b32_e32 v30, 24, v31
	s_movk_i32 s10, 0x80
	v_cmp_ne_u32_e64 s[10:11], s10, v30
	v_bfrev_b32_e32 v34, 1
	s_and_saveexec_b64 s[24:25], s[10:11]
	s_cbranch_execz .LBB468_159
; %bb.156:
	v_bfe_u32 v31, v31, 24, 7
	s_movk_i32 s10, 0x7f
	v_cmp_ne_u32_e64 s[10:11], s10, v31
	v_mov_b32_e32 v34, 0x7f800001
	s_and_saveexec_b64 s[26:27], s[10:11]
	s_cbranch_execz .LBB468_158
; %bb.157:
	v_and_b32_e32 v34, 7, v30
	v_ffbh_u32_e32 v48, v34
	v_min_u32_e32 v50, 32, v48
	v_subrev_u32_e32 v48, 28, v50
	v_lshlrev_b64 v[48:49], v48, v[30:31]
	v_lshrrev_b32_e32 v47, 3, v31
	v_sub_u32_e32 v49, 29, v50
	v_and_b32_e32 v48, 7, v48
	v_cmp_gt_u32_e64 s[10:11], 8, v31
	v_cndmask_b32_e64 v31, v47, v49, s[10:11]
	v_cndmask_b32_e64 v34, v34, v48, s[10:11]
	v_lshlrev_b32_e32 v30, 24, v30
	v_bfrev_b32_e32 v47, 60
	v_lshlrev_b32_e32 v34, 20, v34
	v_and_b32_e32 v30, 0x80000000, v30
	v_lshl_add_u32 v31, v31, 23, v47
	v_or3_b32 v34, v30, v31, v34
.LBB468_158:
	s_or_b64 exec, exec, s[26:27]
.LBB468_159:
	s_or_b64 exec, exec, s[24:25]
.LBB468_160:
	s_or_b64 exec, exec, s[12:13]
	v_cvt_pkrtz_f16_f32 v30, v38, v39
	v_cvt_pkrtz_f16_f32 v31, v37, v40
	;; [unrolled: 1-line block ×4, first 2 shown]
	v_mfma_f32_4x4x4f16 a[0:3], v[2:3], v[30:31], a[0:3] cbsz:4 abid:2
	v_cmp_ne_u16_sdwa s[10:11], v32, v36 src0_sel:BYTE_0 src1_sel:DWORD
	v_mfma_f32_4x4x4f16 a[0:3], v[4:5], v[38:39], a[0:3] cbsz:4 abid:2
	s_and_saveexec_b64 s[12:13], s[10:11]
	s_cbranch_execz .LBB468_166
; %bb.161:
	s_movk_i32 s10, 0x80
	v_cmp_ne_u16_sdwa s[10:11], v32, s10 src0_sel:BYTE_0 src1_sel:DWORD
	v_bfrev_b32_e32 v36, 1
	s_and_saveexec_b64 s[24:25], s[10:11]
	s_cbranch_execz .LBB468_165
; %bb.162:
	s_movk_i32 s10, 0x7f
	v_and_b32_e32 v30, 0x7f, v32
	v_cmp_ne_u32_e64 s[10:11], s10, v30
	v_mov_b32_e32 v36, 0x7f800001
	s_and_saveexec_b64 s[26:27], s[10:11]
	s_cbranch_execz .LBB468_164
; %bb.163:
	v_and_b32_e32 v31, 7, v32
	v_ffbh_u32_e32 v31, v31
	v_min_u32_e32 v31, 32, v31
	v_subrev_u32_e32 v35, 28, v31
	v_cmp_gt_u32_e64 s[10:11], 8, v30
	v_lshrrev_b32_e32 v34, 3, v30
	v_sub_u32_e32 v31, 29, v31
	v_cndmask_b32_e64 v30, 0, v35, s[10:11]
	v_cndmask_b32_e64 v34, v34, v31, s[10:11]
	v_lshlrev_b64 v[30:31], v30, v[32:33]
	v_lshlrev_b32_e32 v30, 20, v30
	v_lshlrev_b32_e32 v31, 24, v32
	v_bfrev_b32_e32 v35, 60
	v_and_b32_e32 v30, 0x700000, v30
	v_and_b32_e32 v31, 0x80000000, v31
	v_lshl_add_u32 v34, v34, 23, v35
	v_or3_b32 v36, v31, v34, v30
.LBB468_164:
	s_or_b64 exec, exec, s[26:27]
.LBB468_165:
	s_or_b64 exec, exec, s[24:25]
.LBB468_166:
	s_or_b64 exec, exec, s[12:13]
	v_lshrrev_b16_e32 v30, 8, v32
	v_cmp_ne_u16_e64 s[10:11], 0, v30
	v_mov_b32_e32 v35, 0
	v_mov_b32_e32 v37, 0
	s_and_saveexec_b64 s[12:13], s[10:11]
	s_cbranch_execz .LBB468_172
; %bb.167:
	s_movk_i32 s10, 0x80
	v_cmp_ne_u16_e64 s[10:11], s10, v30
	v_bfrev_b32_e32 v37, 1
	s_and_saveexec_b64 s[24:25], s[10:11]
	s_cbranch_execz .LBB468_171
; %bb.168:
	s_movk_i32 s10, 0x7f
	v_and_b32_e32 v31, 0x7f, v30
	v_cmp_ne_u32_e64 s[10:11], s10, v31
	v_mov_b32_e32 v37, 0x7f800001
	s_and_saveexec_b64 s[26:27], s[10:11]
	s_cbranch_execz .LBB468_170
; %bb.169:
	v_and_b32_e32 v34, 7, v30
	v_ffbh_u32_e32 v38, v34
	v_min_u32_e32 v40, 32, v38
	v_subrev_u32_e32 v38, 28, v40
	v_lshlrev_b64 v[38:39], v38, v[30:31]
	v_lshrrev_b32_e32 v37, 3, v31
	v_sub_u32_e32 v30, 29, v40
	v_and_b32_e32 v38, 7, v38
	v_cmp_gt_u32_e64 s[10:11], 8, v31
	v_cndmask_b32_e64 v30, v37, v30, s[10:11]
	v_cndmask_b32_e64 v31, v34, v38, s[10:11]
	v_lshlrev_b32_e32 v34, 16, v32
	v_bfrev_b32_e32 v37, 60
	v_lshlrev_b32_e32 v31, 20, v31
	v_and_b32_e32 v34, 0x80000000, v34
	v_lshl_add_u32 v30, v30, 23, v37
	v_or3_b32 v37, v34, v30, v31
.LBB468_170:
	s_or_b64 exec, exec, s[26:27]
.LBB468_171:
	s_or_b64 exec, exec, s[24:25]
.LBB468_172:
	s_or_b64 exec, exec, s[12:13]
	s_movk_i32 s10, 0xff
	v_and_b32_sdwa v31, v32, s10 dst_sel:DWORD dst_unused:UNUSED_PAD src0_sel:WORD_1 src1_sel:DWORD
	v_lshrrev_b32_e32 v30, 16, v32
	v_cmp_ne_u16_e64 s[10:11], 0, v31
	s_and_saveexec_b64 s[12:13], s[10:11]
	s_cbranch_execz .LBB468_178
; %bb.173:
	s_movk_i32 s10, 0x80
	v_cmp_ne_u16_e64 s[10:11], s10, v31
	v_bfrev_b32_e32 v35, 1
	s_and_saveexec_b64 s[24:25], s[10:11]
	s_cbranch_execz .LBB468_177
; %bb.174:
	v_bfe_u32 v31, v32, 16, 7
	s_movk_i32 s10, 0x7f
	v_cmp_ne_u32_e64 s[10:11], s10, v31
	v_mov_b32_e32 v35, 0x7f800001
	s_and_saveexec_b64 s[26:27], s[10:11]
	s_cbranch_execz .LBB468_176
; %bb.175:
	v_and_b32_e32 v38, 7, v30
	v_ffbh_u32_e32 v34, v38
	v_min_u32_e32 v40, 32, v34
	v_subrev_u32_e32 v34, 28, v40
	v_lshlrev_b64 v[34:35], v34, v[30:31]
	v_and_b32_e32 v34, 7, v34
	v_cmp_gt_u32_e64 s[10:11], 8, v31
	v_lshrrev_b32_e32 v39, 3, v31
	v_sub_u32_e32 v30, 29, v40
	v_cndmask_b32_e64 v31, v38, v34, s[10:11]
	v_mov_b32_e32 v34, 24
	v_cndmask_b32_e64 v30, v39, v30, s[10:11]
	v_lshlrev_b32_sdwa v34, v34, v32 dst_sel:DWORD dst_unused:UNUSED_PAD src0_sel:DWORD src1_sel:WORD_1
	v_bfrev_b32_e32 v35, 60
	v_lshlrev_b32_e32 v31, 20, v31
	v_and_b32_e32 v34, 0x80000000, v34
	v_lshl_add_u32 v30, v30, 23, v35
	v_or3_b32 v35, v34, v30, v31
.LBB468_176:
	s_or_b64 exec, exec, s[26:27]
.LBB468_177:
	s_or_b64 exec, exec, s[24:25]
.LBB468_178:
	s_or_b64 exec, exec, s[12:13]
	s_mov_b32 s10, 0xffffff
	v_cmp_lt_u32_e64 s[10:11], s10, v32
	v_mov_b32_e32 v31, 0
	v_mov_b32_e32 v38, 0
	s_and_saveexec_b64 s[12:13], s[10:11]
	s_cbranch_execz .LBB468_184
; %bb.179:
	v_lshrrev_b32_e32 v30, 24, v32
	s_movk_i32 s10, 0x80
	v_cmp_ne_u32_e64 s[10:11], s10, v30
	v_bfrev_b32_e32 v38, 1
	s_and_saveexec_b64 s[24:25], s[10:11]
	s_cbranch_execz .LBB468_183
; %bb.180:
	v_bfe_u32 v34, v32, 24, 7
	s_movk_i32 s10, 0x7f
	v_cmp_ne_u32_e64 s[10:11], s10, v34
	v_mov_b32_e32 v38, 0x7f800001
	s_and_saveexec_b64 s[26:27], s[10:11]
	s_cbranch_execz .LBB468_182
; %bb.181:
	v_and_b32_e32 v40, 7, v30
	v_ffbh_u32_e32 v38, v40
	v_min_u32_e32 v46, 32, v38
	v_subrev_u32_e32 v38, 28, v46
	v_lshlrev_b64 v[38:39], v38, v[30:31]
	v_lshrrev_b32_e32 v41, 3, v34
	v_sub_u32_e32 v39, 29, v46
	v_and_b32_e32 v38, 7, v38
	v_cmp_gt_u32_e64 s[10:11], 8, v34
	v_cndmask_b32_e64 v34, v41, v39, s[10:11]
	v_cndmask_b32_e64 v38, v40, v38, s[10:11]
	v_lshlrev_b32_e32 v30, 24, v30
	v_bfrev_b32_e32 v39, 60
	v_lshlrev_b32_e32 v38, 20, v38
	v_and_b32_e32 v30, 0x80000000, v30
	v_lshl_add_u32 v34, v34, 23, v39
	v_or3_b32 v38, v30, v34, v38
.LBB468_182:
	s_or_b64 exec, exec, s[26:27]
.LBB468_183:
	s_or_b64 exec, exec, s[24:25]
.LBB468_184:
	s_or_b64 exec, exec, s[12:13]
	v_mov_b32_e32 v30, v33
	v_cmp_ne_u16_sdwa s[10:11], v33, v31 src0_sel:BYTE_0 src1_sel:DWORD
	s_and_saveexec_b64 s[12:13], s[10:11]
	s_cbranch_execz .LBB468_190
; %bb.185:
	s_movk_i32 s10, 0x80
	v_cmp_ne_u16_sdwa s[10:11], v33, s10 src0_sel:BYTE_0 src1_sel:DWORD
	v_bfrev_b32_e32 v34, 1
	s_and_saveexec_b64 s[24:25], s[10:11]
	s_cbranch_execz .LBB468_189
; %bb.186:
	s_movk_i32 s10, 0x7f
	v_and_b32_e32 v39, 0x7f, v33
	v_cmp_ne_u32_e64 s[10:11], s10, v39
	v_mov_b32_e32 v34, 0x7f800001
	s_and_saveexec_b64 s[26:27], s[10:11]
	s_cbranch_execz .LBB468_188
; %bb.187:
	v_and_b32_e32 v34, 7, v33
	v_ffbh_u32_e32 v34, v34
	v_min_u32_e32 v34, 32, v34
	v_subrev_u32_e32 v41, 28, v34
	v_cmp_gt_u32_e64 s[10:11], 8, v39
	v_lshrrev_b32_e32 v40, 3, v39
	v_sub_u32_e32 v34, 29, v34
	v_cndmask_b32_e64 v39, 0, v41, s[10:11]
	v_cndmask_b32_e64 v34, v40, v34, s[10:11]
	v_lshlrev_b64 v[40:41], v39, v[30:31]
	v_lshlrev_b32_e32 v31, 20, v40
	v_lshlrev_b32_e32 v39, 24, v30
	v_bfrev_b32_e32 v40, 60
	v_and_b32_e32 v31, 0x700000, v31
	v_and_b32_e32 v39, 0x80000000, v39
	v_lshl_add_u32 v34, v34, 23, v40
	v_or3_b32 v34, v39, v34, v31
.LBB468_188:
	s_or_b64 exec, exec, s[26:27]
.LBB468_189:
	s_or_b64 exec, exec, s[24:25]
	v_mov_b32_e32 v31, v34
.LBB468_190:
	s_or_b64 exec, exec, s[12:13]
	v_lshrrev_b16_e32 v34, 8, v30
	v_cmp_ne_u16_e64 s[10:11], 0, v34
	v_mov_b32_e32 v39, 0
	v_mov_b32_e32 v40, 0
	s_and_saveexec_b64 s[12:13], s[10:11]
	s_cbranch_execz .LBB468_196
; %bb.191:
	s_movk_i32 s10, 0x80
	v_cmp_ne_u16_e64 s[10:11], s10, v34
	v_bfrev_b32_e32 v40, 1
	s_and_saveexec_b64 s[24:25], s[10:11]
	s_cbranch_execz .LBB468_195
; %bb.192:
	s_movk_i32 s10, 0x7f
	v_and_b32_e32 v41, 0x7f, v34
	v_cmp_ne_u32_e64 s[10:11], s10, v41
	v_mov_b32_e32 v40, 0x7f800001
	s_and_saveexec_b64 s[26:27], s[10:11]
	s_cbranch_execz .LBB468_194
; %bb.193:
	v_and_b32_e32 v40, 7, v34
	v_ffbh_u32_e32 v46, v40
	v_min_u32_e32 v49, 32, v46
	v_subrev_u32_e32 v46, 28, v49
	v_lshlrev_b64 v[46:47], v46, v[34:35]
	v_lshrrev_b32_e32 v48, 3, v41
	v_sub_u32_e32 v34, 29, v49
	v_and_b32_e32 v46, 7, v46
	v_cmp_gt_u32_e64 s[10:11], 8, v41
	v_cndmask_b32_e64 v34, v48, v34, s[10:11]
	v_cndmask_b32_e64 v40, v40, v46, s[10:11]
	v_lshlrev_b32_e32 v30, 16, v30
	v_bfrev_b32_e32 v41, 60
	v_lshlrev_b32_e32 v40, 20, v40
	v_and_b32_e32 v30, 0x80000000, v30
	v_lshl_add_u32 v34, v34, 23, v41
	v_or3_b32 v40, v30, v34, v40
.LBB468_194:
	s_or_b64 exec, exec, s[26:27]
.LBB468_195:
	s_or_b64 exec, exec, s[24:25]
.LBB468_196:
	s_or_b64 exec, exec, s[12:13]
	s_movk_i32 s10, 0xff
	v_and_b32_sdwa v34, v33, s10 dst_sel:DWORD dst_unused:UNUSED_PAD src0_sel:WORD_1 src1_sel:DWORD
	v_lshrrev_b32_e32 v30, 16, v33
	v_cmp_ne_u16_e64 s[10:11], 0, v34
	s_and_saveexec_b64 s[12:13], s[10:11]
	s_cbranch_execz .LBB468_202
; %bb.197:
	s_movk_i32 s10, 0x80
	v_cmp_ne_u16_e64 s[10:11], s10, v34
	v_bfrev_b32_e32 v39, 1
	s_and_saveexec_b64 s[24:25], s[10:11]
	s_cbranch_execz .LBB468_201
; %bb.198:
	v_bfe_u32 v34, v33, 16, 7
	s_movk_i32 s10, 0x7f
	v_cmp_ne_u32_e64 s[10:11], s10, v34
	v_mov_b32_e32 v39, 0x7f800001
	s_and_saveexec_b64 s[26:27], s[10:11]
	s_cbranch_execz .LBB468_200
; %bb.199:
	v_and_b32_e32 v39, 7, v30
	v_ffbh_u32_e32 v46, v39
	v_min_u32_e32 v48, 32, v46
	v_subrev_u32_e32 v46, 28, v48
	v_lshlrev_b64 v[46:47], v46, v[30:31]
	v_and_b32_e32 v46, 7, v46
	v_cmp_gt_u32_e64 s[10:11], 8, v34
	v_lshrrev_b32_e32 v41, 3, v34
	v_sub_u32_e32 v30, 29, v48
	v_cndmask_b32_e64 v34, v39, v46, s[10:11]
	v_mov_b32_e32 v39, 24
	v_cndmask_b32_e64 v30, v41, v30, s[10:11]
	v_lshlrev_b32_sdwa v39, v39, v33 dst_sel:DWORD dst_unused:UNUSED_PAD src0_sel:DWORD src1_sel:WORD_1
	v_bfrev_b32_e32 v41, 60
	v_lshlrev_b32_e32 v34, 20, v34
	v_and_b32_e32 v39, 0x80000000, v39
	v_lshl_add_u32 v30, v30, 23, v41
	v_or3_b32 v39, v39, v30, v34
.LBB468_200:
	s_or_b64 exec, exec, s[26:27]
.LBB468_201:
	s_or_b64 exec, exec, s[24:25]
.LBB468_202:
	s_or_b64 exec, exec, s[12:13]
	s_mov_b32 s10, -1
	s_mov_b32 s11, 0xffffff
	v_cmp_lt_u64_e64 s[10:11], s[10:11], v[32:33]
	v_mov_b32_e32 v34, 0
	v_mov_b32_e32 v32, 0
	s_and_saveexec_b64 s[12:13], s[10:11]
	s_cbranch_execz .LBB468_208
; %bb.203:
	v_lshrrev_b32_e32 v30, 24, v33
	s_movk_i32 s10, 0x80
	v_cmp_ne_u32_e64 s[10:11], s10, v30
	v_bfrev_b32_e32 v32, 1
	s_and_saveexec_b64 s[24:25], s[10:11]
	s_cbranch_execz .LBB468_207
; %bb.204:
	v_bfe_u32 v33, v33, 24, 7
	s_movk_i32 s10, 0x7f
	v_cmp_ne_u32_e64 s[10:11], s10, v33
	v_mov_b32_e32 v32, 0x7f800001
	s_and_saveexec_b64 s[26:27], s[10:11]
	s_cbranch_execz .LBB468_206
; %bb.205:
	v_and_b32_e32 v32, 7, v30
	v_ffbh_u32_e32 v46, v32
	v_min_u32_e32 v48, 32, v46
	v_subrev_u32_e32 v46, 28, v48
	v_lshlrev_b64 v[46:47], v46, v[30:31]
	v_lshrrev_b32_e32 v41, 3, v33
	v_sub_u32_e32 v47, 29, v48
	v_and_b32_e32 v46, 7, v46
	v_cmp_gt_u32_e64 s[10:11], 8, v33
	v_cndmask_b32_e64 v33, v41, v47, s[10:11]
	v_cndmask_b32_e64 v32, v32, v46, s[10:11]
	v_lshlrev_b32_e32 v30, 24, v30
	v_bfrev_b32_e32 v41, 60
	v_lshlrev_b32_e32 v32, 20, v32
	v_and_b32_e32 v30, 0x80000000, v30
	v_lshl_add_u32 v33, v33, 23, v41
	v_or3_b32 v32, v30, v33, v32
.LBB468_206:
	s_or_b64 exec, exec, s[26:27]
.LBB468_207:
	s_or_b64 exec, exec, s[24:25]
.LBB468_208:
	s_or_b64 exec, exec, s[12:13]
	v_cvt_pkrtz_f16_f32 v36, v36, v37
	v_cvt_pkrtz_f16_f32 v37, v35, v38
	;; [unrolled: 1-line block ×4, first 2 shown]
	v_mfma_f32_4x4x4f16 a[0:3], v[2:3], v[36:37], a[0:3] cbsz:4 abid:3
	v_cmp_ne_u16_sdwa s[10:11], v26, v34 src0_sel:BYTE_0 src1_sel:DWORD
	v_mfma_f32_4x4x4f16 a[0:3], v[4:5], v[30:31], a[0:3] cbsz:4 abid:3
	s_and_saveexec_b64 s[12:13], s[10:11]
	s_cbranch_execz .LBB468_214
; %bb.209:
	s_movk_i32 s10, 0x80
	v_cmp_ne_u16_sdwa s[10:11], v26, s10 src0_sel:BYTE_0 src1_sel:DWORD
	v_bfrev_b32_e32 v34, 1
	s_and_saveexec_b64 s[24:25], s[10:11]
	s_cbranch_execz .LBB468_213
; %bb.210:
	s_movk_i32 s10, 0x7f
	v_and_b32_e32 v30, 0x7f, v26
	v_cmp_ne_u32_e64 s[10:11], s10, v30
	v_mov_b32_e32 v34, 0x7f800001
	s_and_saveexec_b64 s[26:27], s[10:11]
	s_cbranch_execz .LBB468_212
; %bb.211:
	v_and_b32_e32 v31, 7, v26
	v_ffbh_u32_e32 v31, v31
	v_min_u32_e32 v31, 32, v31
	v_subrev_u32_e32 v33, 28, v31
	v_cmp_gt_u32_e64 s[10:11], 8, v30
	v_lshrrev_b32_e32 v32, 3, v30
	v_sub_u32_e32 v31, 29, v31
	v_cndmask_b32_e64 v30, 0, v33, s[10:11]
	v_cndmask_b32_e64 v32, v32, v31, s[10:11]
	v_lshlrev_b64 v[30:31], v30, v[26:27]
	v_lshlrev_b32_e32 v30, 20, v30
	v_lshlrev_b32_e32 v31, 24, v26
	v_bfrev_b32_e32 v33, 60
	v_and_b32_e32 v30, 0x700000, v30
	v_and_b32_e32 v31, 0x80000000, v31
	v_lshl_add_u32 v32, v32, 23, v33
	v_or3_b32 v34, v31, v32, v30
.LBB468_212:
	s_or_b64 exec, exec, s[26:27]
.LBB468_213:
	s_or_b64 exec, exec, s[24:25]
.LBB468_214:
	s_or_b64 exec, exec, s[12:13]
	v_lshrrev_b16_e32 v30, 8, v26
	v_cmp_ne_u16_e64 s[10:11], 0, v30
	v_mov_b32_e32 v33, 0
	v_mov_b32_e32 v35, 0
	s_and_saveexec_b64 s[12:13], s[10:11]
	s_cbranch_execz .LBB468_220
; %bb.215:
	s_movk_i32 s10, 0x80
	v_cmp_ne_u16_e64 s[10:11], s10, v30
	v_bfrev_b32_e32 v35, 1
	s_and_saveexec_b64 s[24:25], s[10:11]
	s_cbranch_execz .LBB468_219
; %bb.216:
	s_movk_i32 s10, 0x7f
	v_and_b32_e32 v31, 0x7f, v30
	v_cmp_ne_u32_e64 s[10:11], s10, v31
	v_mov_b32_e32 v35, 0x7f800001
	s_and_saveexec_b64 s[26:27], s[10:11]
	s_cbranch_execz .LBB468_218
; %bb.217:
	v_and_b32_e32 v32, 7, v30
	v_ffbh_u32_e32 v36, v32
	v_min_u32_e32 v38, 32, v36
	v_subrev_u32_e32 v36, 28, v38
	v_lshlrev_b64 v[36:37], v36, v[30:31]
	v_lshrrev_b32_e32 v35, 3, v31
	v_sub_u32_e32 v30, 29, v38
	v_and_b32_e32 v36, 7, v36
	v_cmp_gt_u32_e64 s[10:11], 8, v31
	v_cndmask_b32_e64 v30, v35, v30, s[10:11]
	v_cndmask_b32_e64 v31, v32, v36, s[10:11]
	v_lshlrev_b32_e32 v32, 16, v26
	v_bfrev_b32_e32 v35, 60
	v_lshlrev_b32_e32 v31, 20, v31
	v_and_b32_e32 v32, 0x80000000, v32
	v_lshl_add_u32 v30, v30, 23, v35
	v_or3_b32 v35, v32, v30, v31
.LBB468_218:
	s_or_b64 exec, exec, s[26:27]
.LBB468_219:
	s_or_b64 exec, exec, s[24:25]
.LBB468_220:
	s_or_b64 exec, exec, s[12:13]
	s_movk_i32 s10, 0xff
	v_and_b32_sdwa v31, v26, s10 dst_sel:DWORD dst_unused:UNUSED_PAD src0_sel:WORD_1 src1_sel:DWORD
	v_lshrrev_b32_e32 v30, 16, v26
	v_cmp_ne_u16_e64 s[10:11], 0, v31
	s_and_saveexec_b64 s[12:13], s[10:11]
	s_cbranch_execz .LBB468_226
; %bb.221:
	s_movk_i32 s10, 0x80
	v_cmp_ne_u16_e64 s[10:11], s10, v31
	v_bfrev_b32_e32 v33, 1
	s_and_saveexec_b64 s[24:25], s[10:11]
	s_cbranch_execz .LBB468_225
; %bb.222:
	v_bfe_u32 v31, v26, 16, 7
	s_movk_i32 s10, 0x7f
	v_cmp_ne_u32_e64 s[10:11], s10, v31
	v_mov_b32_e32 v33, 0x7f800001
	s_and_saveexec_b64 s[26:27], s[10:11]
	s_cbranch_execz .LBB468_224
; %bb.223:
	v_and_b32_e32 v36, 7, v30
	v_ffbh_u32_e32 v32, v36
	v_min_u32_e32 v38, 32, v32
	v_subrev_u32_e32 v32, 28, v38
	v_lshlrev_b64 v[32:33], v32, v[30:31]
	v_and_b32_e32 v32, 7, v32
	v_cmp_gt_u32_e64 s[10:11], 8, v31
	v_lshrrev_b32_e32 v37, 3, v31
	v_sub_u32_e32 v30, 29, v38
	v_cndmask_b32_e64 v31, v36, v32, s[10:11]
	v_mov_b32_e32 v32, 24
	v_cndmask_b32_e64 v30, v37, v30, s[10:11]
	v_lshlrev_b32_sdwa v32, v32, v26 dst_sel:DWORD dst_unused:UNUSED_PAD src0_sel:DWORD src1_sel:WORD_1
	v_bfrev_b32_e32 v33, 60
	v_lshlrev_b32_e32 v31, 20, v31
	v_and_b32_e32 v32, 0x80000000, v32
	v_lshl_add_u32 v30, v30, 23, v33
	v_or3_b32 v33, v32, v30, v31
.LBB468_224:
	s_or_b64 exec, exec, s[26:27]
.LBB468_225:
	s_or_b64 exec, exec, s[24:25]
.LBB468_226:
	s_or_b64 exec, exec, s[12:13]
	s_mov_b32 s10, 0xffffff
	v_cmp_lt_u32_e64 s[10:11], s10, v26
	v_mov_b32_e32 v31, 0
	v_mov_b32_e32 v36, 0
	s_and_saveexec_b64 s[12:13], s[10:11]
	s_cbranch_execz .LBB468_232
; %bb.227:
	v_lshrrev_b32_e32 v30, 24, v26
	s_movk_i32 s10, 0x80
	v_cmp_ne_u32_e64 s[10:11], s10, v30
	v_bfrev_b32_e32 v36, 1
	s_and_saveexec_b64 s[24:25], s[10:11]
	s_cbranch_execz .LBB468_231
; %bb.228:
	v_bfe_u32 v32, v26, 24, 7
	s_movk_i32 s10, 0x7f
	v_cmp_ne_u32_e64 s[10:11], s10, v32
	v_mov_b32_e32 v36, 0x7f800001
	s_and_saveexec_b64 s[26:27], s[10:11]
	s_cbranch_execz .LBB468_230
; %bb.229:
	v_and_b32_e32 v38, 7, v30
	v_ffbh_u32_e32 v36, v38
	v_min_u32_e32 v40, 32, v36
	v_subrev_u32_e32 v36, 28, v40
	v_lshlrev_b64 v[36:37], v36, v[30:31]
	v_lshrrev_b32_e32 v39, 3, v32
	v_sub_u32_e32 v37, 29, v40
	v_and_b32_e32 v36, 7, v36
	v_cmp_gt_u32_e64 s[10:11], 8, v32
	v_cndmask_b32_e64 v32, v39, v37, s[10:11]
	v_cndmask_b32_e64 v36, v38, v36, s[10:11]
	v_lshlrev_b32_e32 v30, 24, v30
	v_bfrev_b32_e32 v37, 60
	v_lshlrev_b32_e32 v36, 20, v36
	v_and_b32_e32 v30, 0x80000000, v30
	v_lshl_add_u32 v32, v32, 23, v37
	v_or3_b32 v36, v30, v32, v36
.LBB468_230:
	s_or_b64 exec, exec, s[26:27]
.LBB468_231:
	s_or_b64 exec, exec, s[24:25]
.LBB468_232:
	s_or_b64 exec, exec, s[12:13]
	v_mov_b32_e32 v30, v27
	v_cmp_ne_u16_sdwa s[10:11], v27, v31 src0_sel:BYTE_0 src1_sel:DWORD
	s_and_saveexec_b64 s[12:13], s[10:11]
	s_cbranch_execz .LBB468_238
; %bb.233:
	s_movk_i32 s10, 0x80
	v_cmp_ne_u16_sdwa s[10:11], v27, s10 src0_sel:BYTE_0 src1_sel:DWORD
	v_bfrev_b32_e32 v32, 1
	s_and_saveexec_b64 s[24:25], s[10:11]
	s_cbranch_execz .LBB468_237
; %bb.234:
	s_movk_i32 s10, 0x7f
	v_and_b32_e32 v37, 0x7f, v27
	v_cmp_ne_u32_e64 s[10:11], s10, v37
	v_mov_b32_e32 v32, 0x7f800001
	s_and_saveexec_b64 s[26:27], s[10:11]
	s_cbranch_execz .LBB468_236
; %bb.235:
	v_and_b32_e32 v32, 7, v27
	v_ffbh_u32_e32 v32, v32
	v_min_u32_e32 v32, 32, v32
	v_subrev_u32_e32 v39, 28, v32
	v_cmp_gt_u32_e64 s[10:11], 8, v37
	v_lshrrev_b32_e32 v38, 3, v37
	v_sub_u32_e32 v32, 29, v32
	v_cndmask_b32_e64 v37, 0, v39, s[10:11]
	v_cndmask_b32_e64 v32, v38, v32, s[10:11]
	v_lshlrev_b64 v[38:39], v37, v[30:31]
	v_lshlrev_b32_e32 v31, 20, v38
	v_lshlrev_b32_e32 v37, 24, v30
	v_bfrev_b32_e32 v38, 60
	v_and_b32_e32 v31, 0x700000, v31
	v_and_b32_e32 v37, 0x80000000, v37
	v_lshl_add_u32 v32, v32, 23, v38
	v_or3_b32 v32, v37, v32, v31
.LBB468_236:
	s_or_b64 exec, exec, s[26:27]
.LBB468_237:
	s_or_b64 exec, exec, s[24:25]
	v_mov_b32_e32 v31, v32
.LBB468_238:
	s_or_b64 exec, exec, s[12:13]
	v_lshrrev_b16_e32 v32, 8, v30
	v_cmp_ne_u16_e64 s[10:11], 0, v32
	v_mov_b32_e32 v37, 0
	v_mov_b32_e32 v38, 0
	s_and_saveexec_b64 s[12:13], s[10:11]
	s_cbranch_execz .LBB468_244
; %bb.239:
	s_movk_i32 s10, 0x80
	v_cmp_ne_u16_e64 s[10:11], s10, v32
	v_bfrev_b32_e32 v38, 1
	s_and_saveexec_b64 s[24:25], s[10:11]
	s_cbranch_execz .LBB468_243
; %bb.240:
	s_movk_i32 s10, 0x7f
	v_and_b32_e32 v39, 0x7f, v32
	v_cmp_ne_u32_e64 s[10:11], s10, v39
	v_mov_b32_e32 v38, 0x7f800001
	s_and_saveexec_b64 s[26:27], s[10:11]
	s_cbranch_execz .LBB468_242
; %bb.241:
	v_and_b32_e32 v38, 7, v32
	v_ffbh_u32_e32 v40, v38
	v_min_u32_e32 v47, 32, v40
	v_subrev_u32_e32 v40, 28, v47
	v_lshlrev_b64 v[40:41], v40, v[32:33]
	v_lshrrev_b32_e32 v46, 3, v39
	v_sub_u32_e32 v32, 29, v47
	v_and_b32_e32 v40, 7, v40
	v_cmp_gt_u32_e64 s[10:11], 8, v39
	v_cndmask_b32_e64 v32, v46, v32, s[10:11]
	v_cndmask_b32_e64 v38, v38, v40, s[10:11]
	v_lshlrev_b32_e32 v30, 16, v30
	v_bfrev_b32_e32 v39, 60
	v_lshlrev_b32_e32 v38, 20, v38
	v_and_b32_e32 v30, 0x80000000, v30
	v_lshl_add_u32 v32, v32, 23, v39
	v_or3_b32 v38, v30, v32, v38
.LBB468_242:
	s_or_b64 exec, exec, s[26:27]
.LBB468_243:
	s_or_b64 exec, exec, s[24:25]
.LBB468_244:
	s_or_b64 exec, exec, s[12:13]
	s_movk_i32 s10, 0xff
	v_and_b32_sdwa v32, v27, s10 dst_sel:DWORD dst_unused:UNUSED_PAD src0_sel:WORD_1 src1_sel:DWORD
	v_lshrrev_b32_e32 v30, 16, v27
	v_cmp_ne_u16_e64 s[10:11], 0, v32
	s_and_saveexec_b64 s[12:13], s[10:11]
	s_cbranch_execz .LBB468_250
; %bb.245:
	s_movk_i32 s10, 0x80
	v_cmp_ne_u16_e64 s[10:11], s10, v32
	v_bfrev_b32_e32 v37, 1
	s_and_saveexec_b64 s[24:25], s[10:11]
	s_cbranch_execz .LBB468_249
; %bb.246:
	v_bfe_u32 v32, v27, 16, 7
	s_movk_i32 s10, 0x7f
	v_cmp_ne_u32_e64 s[10:11], s10, v32
	v_mov_b32_e32 v37, 0x7f800001
	s_and_saveexec_b64 s[26:27], s[10:11]
	s_cbranch_execz .LBB468_248
; %bb.247:
	v_and_b32_e32 v37, 7, v30
	v_ffbh_u32_e32 v40, v37
	v_min_u32_e32 v46, 32, v40
	v_subrev_u32_e32 v40, 28, v46
	v_lshlrev_b64 v[40:41], v40, v[30:31]
	v_and_b32_e32 v40, 7, v40
	v_cmp_gt_u32_e64 s[10:11], 8, v32
	v_lshrrev_b32_e32 v39, 3, v32
	v_sub_u32_e32 v30, 29, v46
	v_cndmask_b32_e64 v32, v37, v40, s[10:11]
	v_mov_b32_e32 v37, 24
	v_cndmask_b32_e64 v30, v39, v30, s[10:11]
	v_lshlrev_b32_sdwa v37, v37, v27 dst_sel:DWORD dst_unused:UNUSED_PAD src0_sel:DWORD src1_sel:WORD_1
	v_bfrev_b32_e32 v39, 60
	v_lshlrev_b32_e32 v32, 20, v32
	v_and_b32_e32 v37, 0x80000000, v37
	v_lshl_add_u32 v30, v30, 23, v39
	v_or3_b32 v37, v37, v30, v32
.LBB468_248:
	s_or_b64 exec, exec, s[26:27]
.LBB468_249:
	s_or_b64 exec, exec, s[24:25]
.LBB468_250:
	s_or_b64 exec, exec, s[12:13]
	s_mov_b32 s10, -1
	s_mov_b32 s11, 0xffffff
	v_cmp_lt_u64_e64 s[10:11], s[10:11], v[26:27]
	v_mov_b32_e32 v32, 0
	v_mov_b32_e32 v30, 0
	s_and_saveexec_b64 s[12:13], s[10:11]
	s_cbranch_execz .LBB468_256
; %bb.251:
	v_lshrrev_b32_e32 v26, 24, v27
	s_movk_i32 s10, 0x80
	v_cmp_ne_u32_e64 s[10:11], s10, v26
	v_bfrev_b32_e32 v30, 1
	s_and_saveexec_b64 s[24:25], s[10:11]
	s_cbranch_execz .LBB468_255
; %bb.252:
	v_bfe_u32 v27, v27, 24, 7
	s_movk_i32 s10, 0x7f
	v_cmp_ne_u32_e64 s[10:11], s10, v27
	v_mov_b32_e32 v30, 0x7f800001
	s_and_saveexec_b64 s[26:27], s[10:11]
	s_cbranch_execz .LBB468_254
; %bb.253:
	v_and_b32_e32 v30, 7, v26
	v_ffbh_u32_e32 v40, v30
	v_min_u32_e32 v46, 32, v40
	v_subrev_u32_e32 v40, 28, v46
	v_lshlrev_b64 v[40:41], v40, v[26:27]
	v_lshrrev_b32_e32 v39, 3, v27
	v_sub_u32_e32 v41, 29, v46
	v_and_b32_e32 v40, 7, v40
	v_cmp_gt_u32_e64 s[10:11], 8, v27
	v_cndmask_b32_e64 v27, v39, v41, s[10:11]
	v_cndmask_b32_e64 v30, v30, v40, s[10:11]
	v_lshlrev_b32_e32 v26, 24, v26
	v_bfrev_b32_e32 v39, 60
	v_lshlrev_b32_e32 v30, 20, v30
	v_and_b32_e32 v26, 0x80000000, v26
	v_lshl_add_u32 v27, v27, 23, v39
	v_or3_b32 v30, v26, v27, v30
.LBB468_254:
	s_or_b64 exec, exec, s[26:27]
.LBB468_255:
	s_or_b64 exec, exec, s[24:25]
.LBB468_256:
	s_or_b64 exec, exec, s[12:13]
	v_cvt_pkrtz_f16_f32 v26, v34, v35
	v_cvt_pkrtz_f16_f32 v27, v33, v36
	;; [unrolled: 1-line block ×4, first 2 shown]
	v_mfma_f32_4x4x4f16 a[0:3], v[2:3], v[26:27], a[0:3] cbsz:4 abid:4
	v_cmp_ne_u16_sdwa s[10:11], v28, v32 src0_sel:BYTE_0 src1_sel:DWORD
	v_mfma_f32_4x4x4f16 a[0:3], v[4:5], v[34:35], a[0:3] cbsz:4 abid:4
	s_and_saveexec_b64 s[12:13], s[10:11]
	s_cbranch_execz .LBB468_262
; %bb.257:
	s_movk_i32 s10, 0x80
	v_cmp_ne_u16_sdwa s[10:11], v28, s10 src0_sel:BYTE_0 src1_sel:DWORD
	v_bfrev_b32_e32 v32, 1
	s_and_saveexec_b64 s[24:25], s[10:11]
	s_cbranch_execz .LBB468_261
; %bb.258:
	s_movk_i32 s10, 0x7f
	v_and_b32_e32 v26, 0x7f, v28
	v_cmp_ne_u32_e64 s[10:11], s10, v26
	v_mov_b32_e32 v32, 0x7f800001
	s_and_saveexec_b64 s[26:27], s[10:11]
	s_cbranch_execz .LBB468_260
; %bb.259:
	v_and_b32_e32 v27, 7, v28
	v_ffbh_u32_e32 v27, v27
	v_min_u32_e32 v27, 32, v27
	v_subrev_u32_e32 v31, 28, v27
	v_cmp_gt_u32_e64 s[10:11], 8, v26
	v_lshrrev_b32_e32 v30, 3, v26
	v_sub_u32_e32 v27, 29, v27
	v_cndmask_b32_e64 v26, 0, v31, s[10:11]
	v_cndmask_b32_e64 v30, v30, v27, s[10:11]
	v_lshlrev_b64 v[26:27], v26, v[28:29]
	v_lshlrev_b32_e32 v26, 20, v26
	v_lshlrev_b32_e32 v27, 24, v28
	v_bfrev_b32_e32 v31, 60
	v_and_b32_e32 v26, 0x700000, v26
	v_and_b32_e32 v27, 0x80000000, v27
	v_lshl_add_u32 v30, v30, 23, v31
	v_or3_b32 v32, v27, v30, v26
.LBB468_260:
	s_or_b64 exec, exec, s[26:27]
.LBB468_261:
	s_or_b64 exec, exec, s[24:25]
.LBB468_262:
	s_or_b64 exec, exec, s[12:13]
	v_lshrrev_b16_e32 v26, 8, v28
	v_cmp_ne_u16_e64 s[10:11], 0, v26
	v_mov_b32_e32 v31, 0
	v_mov_b32_e32 v33, 0
	s_and_saveexec_b64 s[12:13], s[10:11]
	s_cbranch_execz .LBB468_268
; %bb.263:
	s_movk_i32 s10, 0x80
	v_cmp_ne_u16_e64 s[10:11], s10, v26
	v_bfrev_b32_e32 v33, 1
	s_and_saveexec_b64 s[24:25], s[10:11]
	s_cbranch_execz .LBB468_267
; %bb.264:
	s_movk_i32 s10, 0x7f
	v_and_b32_e32 v27, 0x7f, v26
	v_cmp_ne_u32_e64 s[10:11], s10, v27
	v_mov_b32_e32 v33, 0x7f800001
	s_and_saveexec_b64 s[26:27], s[10:11]
	s_cbranch_execz .LBB468_266
; %bb.265:
	v_and_b32_e32 v30, 7, v26
	v_ffbh_u32_e32 v34, v30
	v_min_u32_e32 v36, 32, v34
	v_subrev_u32_e32 v34, 28, v36
	v_lshlrev_b64 v[34:35], v34, v[26:27]
	v_lshrrev_b32_e32 v33, 3, v27
	v_sub_u32_e32 v26, 29, v36
	v_and_b32_e32 v34, 7, v34
	v_cmp_gt_u32_e64 s[10:11], 8, v27
	v_cndmask_b32_e64 v26, v33, v26, s[10:11]
	v_cndmask_b32_e64 v27, v30, v34, s[10:11]
	v_lshlrev_b32_e32 v30, 16, v28
	v_bfrev_b32_e32 v33, 60
	v_lshlrev_b32_e32 v27, 20, v27
	v_and_b32_e32 v30, 0x80000000, v30
	v_lshl_add_u32 v26, v26, 23, v33
	v_or3_b32 v33, v30, v26, v27
.LBB468_266:
	s_or_b64 exec, exec, s[26:27]
.LBB468_267:
	s_or_b64 exec, exec, s[24:25]
.LBB468_268:
	s_or_b64 exec, exec, s[12:13]
	s_movk_i32 s10, 0xff
	v_and_b32_sdwa v27, v28, s10 dst_sel:DWORD dst_unused:UNUSED_PAD src0_sel:WORD_1 src1_sel:DWORD
	v_lshrrev_b32_e32 v26, 16, v28
	v_cmp_ne_u16_e64 s[10:11], 0, v27
	s_and_saveexec_b64 s[12:13], s[10:11]
	s_cbranch_execz .LBB468_274
; %bb.269:
	s_movk_i32 s10, 0x80
	v_cmp_ne_u16_e64 s[10:11], s10, v27
	v_bfrev_b32_e32 v31, 1
	s_and_saveexec_b64 s[24:25], s[10:11]
	s_cbranch_execz .LBB468_273
; %bb.270:
	v_bfe_u32 v27, v28, 16, 7
	s_movk_i32 s10, 0x7f
	v_cmp_ne_u32_e64 s[10:11], s10, v27
	v_mov_b32_e32 v31, 0x7f800001
	s_and_saveexec_b64 s[26:27], s[10:11]
	s_cbranch_execz .LBB468_272
; %bb.271:
	v_and_b32_e32 v34, 7, v26
	v_ffbh_u32_e32 v30, v34
	v_min_u32_e32 v36, 32, v30
	v_subrev_u32_e32 v30, 28, v36
	v_lshlrev_b64 v[30:31], v30, v[26:27]
	v_and_b32_e32 v30, 7, v30
	v_cmp_gt_u32_e64 s[10:11], 8, v27
	v_lshrrev_b32_e32 v35, 3, v27
	v_sub_u32_e32 v26, 29, v36
	v_cndmask_b32_e64 v27, v34, v30, s[10:11]
	v_mov_b32_e32 v30, 24
	v_cndmask_b32_e64 v26, v35, v26, s[10:11]
	v_lshlrev_b32_sdwa v30, v30, v28 dst_sel:DWORD dst_unused:UNUSED_PAD src0_sel:DWORD src1_sel:WORD_1
	v_bfrev_b32_e32 v31, 60
	v_lshlrev_b32_e32 v27, 20, v27
	v_and_b32_e32 v30, 0x80000000, v30
	v_lshl_add_u32 v26, v26, 23, v31
	v_or3_b32 v31, v30, v26, v27
.LBB468_272:
	s_or_b64 exec, exec, s[26:27]
.LBB468_273:
	s_or_b64 exec, exec, s[24:25]
.LBB468_274:
	s_or_b64 exec, exec, s[12:13]
	s_mov_b32 s10, 0xffffff
	v_cmp_lt_u32_e64 s[10:11], s10, v28
	v_mov_b32_e32 v27, 0
	v_mov_b32_e32 v34, 0
	s_and_saveexec_b64 s[12:13], s[10:11]
	s_cbranch_execz .LBB468_280
; %bb.275:
	v_lshrrev_b32_e32 v26, 24, v28
	s_movk_i32 s10, 0x80
	v_cmp_ne_u32_e64 s[10:11], s10, v26
	v_bfrev_b32_e32 v34, 1
	s_and_saveexec_b64 s[24:25], s[10:11]
	s_cbranch_execz .LBB468_279
; %bb.276:
	v_bfe_u32 v30, v28, 24, 7
	s_movk_i32 s10, 0x7f
	v_cmp_ne_u32_e64 s[10:11], s10, v30
	v_mov_b32_e32 v34, 0x7f800001
	s_and_saveexec_b64 s[26:27], s[10:11]
	s_cbranch_execz .LBB468_278
; %bb.277:
	v_and_b32_e32 v36, 7, v26
	v_ffbh_u32_e32 v34, v36
	v_min_u32_e32 v38, 32, v34
	v_subrev_u32_e32 v34, 28, v38
	v_lshlrev_b64 v[34:35], v34, v[26:27]
	v_lshrrev_b32_e32 v37, 3, v30
	v_sub_u32_e32 v35, 29, v38
	v_and_b32_e32 v34, 7, v34
	v_cmp_gt_u32_e64 s[10:11], 8, v30
	v_cndmask_b32_e64 v30, v37, v35, s[10:11]
	v_cndmask_b32_e64 v34, v36, v34, s[10:11]
	v_lshlrev_b32_e32 v26, 24, v26
	v_bfrev_b32_e32 v35, 60
	v_lshlrev_b32_e32 v34, 20, v34
	v_and_b32_e32 v26, 0x80000000, v26
	v_lshl_add_u32 v30, v30, 23, v35
	v_or3_b32 v34, v26, v30, v34
.LBB468_278:
	s_or_b64 exec, exec, s[26:27]
.LBB468_279:
	s_or_b64 exec, exec, s[24:25]
.LBB468_280:
	s_or_b64 exec, exec, s[12:13]
	v_mov_b32_e32 v26, v29
	v_cmp_ne_u16_sdwa s[10:11], v29, v27 src0_sel:BYTE_0 src1_sel:DWORD
	s_and_saveexec_b64 s[12:13], s[10:11]
	s_cbranch_execz .LBB468_286
; %bb.281:
	s_movk_i32 s10, 0x80
	v_cmp_ne_u16_sdwa s[10:11], v29, s10 src0_sel:BYTE_0 src1_sel:DWORD
	v_bfrev_b32_e32 v30, 1
	s_and_saveexec_b64 s[24:25], s[10:11]
	s_cbranch_execz .LBB468_285
; %bb.282:
	s_movk_i32 s10, 0x7f
	v_and_b32_e32 v35, 0x7f, v29
	v_cmp_ne_u32_e64 s[10:11], s10, v35
	v_mov_b32_e32 v30, 0x7f800001
	s_and_saveexec_b64 s[26:27], s[10:11]
	s_cbranch_execz .LBB468_284
; %bb.283:
	v_and_b32_e32 v30, 7, v29
	v_ffbh_u32_e32 v30, v30
	v_min_u32_e32 v30, 32, v30
	v_subrev_u32_e32 v37, 28, v30
	v_cmp_gt_u32_e64 s[10:11], 8, v35
	v_lshrrev_b32_e32 v36, 3, v35
	v_sub_u32_e32 v30, 29, v30
	v_cndmask_b32_e64 v35, 0, v37, s[10:11]
	v_cndmask_b32_e64 v30, v36, v30, s[10:11]
	v_lshlrev_b64 v[36:37], v35, v[26:27]
	v_lshlrev_b32_e32 v27, 20, v36
	v_lshlrev_b32_e32 v35, 24, v26
	v_bfrev_b32_e32 v36, 60
	v_and_b32_e32 v27, 0x700000, v27
	v_and_b32_e32 v35, 0x80000000, v35
	v_lshl_add_u32 v30, v30, 23, v36
	v_or3_b32 v30, v35, v30, v27
.LBB468_284:
	s_or_b64 exec, exec, s[26:27]
.LBB468_285:
	s_or_b64 exec, exec, s[24:25]
	v_mov_b32_e32 v27, v30
.LBB468_286:
	s_or_b64 exec, exec, s[12:13]
	v_lshrrev_b16_e32 v30, 8, v26
	v_cmp_ne_u16_e64 s[10:11], 0, v30
	v_mov_b32_e32 v35, 0
	v_mov_b32_e32 v36, 0
	s_and_saveexec_b64 s[12:13], s[10:11]
	s_cbranch_execz .LBB468_292
; %bb.287:
	s_movk_i32 s10, 0x80
	v_cmp_ne_u16_e64 s[10:11], s10, v30
	v_bfrev_b32_e32 v36, 1
	s_and_saveexec_b64 s[24:25], s[10:11]
	s_cbranch_execz .LBB468_291
; %bb.288:
	s_movk_i32 s10, 0x7f
	v_and_b32_e32 v37, 0x7f, v30
	v_cmp_ne_u32_e64 s[10:11], s10, v37
	v_mov_b32_e32 v36, 0x7f800001
	s_and_saveexec_b64 s[26:27], s[10:11]
	s_cbranch_execz .LBB468_290
; %bb.289:
	v_and_b32_e32 v36, 7, v30
	v_ffbh_u32_e32 v38, v36
	v_min_u32_e32 v41, 32, v38
	v_subrev_u32_e32 v38, 28, v41
	v_lshlrev_b64 v[38:39], v38, v[30:31]
	v_lshrrev_b32_e32 v40, 3, v37
	v_sub_u32_e32 v30, 29, v41
	v_and_b32_e32 v38, 7, v38
	v_cmp_gt_u32_e64 s[10:11], 8, v37
	v_cndmask_b32_e64 v30, v40, v30, s[10:11]
	v_cndmask_b32_e64 v36, v36, v38, s[10:11]
	v_lshlrev_b32_e32 v26, 16, v26
	v_bfrev_b32_e32 v37, 60
	v_lshlrev_b32_e32 v36, 20, v36
	v_and_b32_e32 v26, 0x80000000, v26
	v_lshl_add_u32 v30, v30, 23, v37
	v_or3_b32 v36, v26, v30, v36
.LBB468_290:
	s_or_b64 exec, exec, s[26:27]
.LBB468_291:
	s_or_b64 exec, exec, s[24:25]
.LBB468_292:
	s_or_b64 exec, exec, s[12:13]
	s_movk_i32 s10, 0xff
	v_and_b32_sdwa v30, v29, s10 dst_sel:DWORD dst_unused:UNUSED_PAD src0_sel:WORD_1 src1_sel:DWORD
	v_lshrrev_b32_e32 v26, 16, v29
	v_cmp_ne_u16_e64 s[10:11], 0, v30
	s_and_saveexec_b64 s[12:13], s[10:11]
	s_cbranch_execz .LBB468_298
; %bb.293:
	s_movk_i32 s10, 0x80
	v_cmp_ne_u16_e64 s[10:11], s10, v30
	v_bfrev_b32_e32 v35, 1
	s_and_saveexec_b64 s[24:25], s[10:11]
	s_cbranch_execz .LBB468_297
; %bb.294:
	v_bfe_u32 v30, v29, 16, 7
	s_movk_i32 s10, 0x7f
	v_cmp_ne_u32_e64 s[10:11], s10, v30
	v_mov_b32_e32 v35, 0x7f800001
	s_and_saveexec_b64 s[26:27], s[10:11]
	s_cbranch_execz .LBB468_296
; %bb.295:
	v_and_b32_e32 v35, 7, v26
	v_ffbh_u32_e32 v38, v35
	v_min_u32_e32 v40, 32, v38
	v_subrev_u32_e32 v38, 28, v40
	v_lshlrev_b64 v[38:39], v38, v[26:27]
	v_and_b32_e32 v38, 7, v38
	v_cmp_gt_u32_e64 s[10:11], 8, v30
	v_lshrrev_b32_e32 v37, 3, v30
	v_sub_u32_e32 v26, 29, v40
	v_cndmask_b32_e64 v30, v35, v38, s[10:11]
	v_mov_b32_e32 v35, 24
	v_cndmask_b32_e64 v26, v37, v26, s[10:11]
	v_lshlrev_b32_sdwa v35, v35, v29 dst_sel:DWORD dst_unused:UNUSED_PAD src0_sel:DWORD src1_sel:WORD_1
	v_bfrev_b32_e32 v37, 60
	v_lshlrev_b32_e32 v30, 20, v30
	v_and_b32_e32 v35, 0x80000000, v35
	v_lshl_add_u32 v26, v26, 23, v37
	v_or3_b32 v35, v35, v26, v30
.LBB468_296:
	s_or_b64 exec, exec, s[26:27]
.LBB468_297:
	s_or_b64 exec, exec, s[24:25]
.LBB468_298:
	s_or_b64 exec, exec, s[12:13]
	s_mov_b32 s10, -1
	s_mov_b32 s11, 0xffffff
	v_cmp_lt_u64_e64 s[10:11], s[10:11], v[28:29]
	v_mov_b32_e32 v30, 0
	v_mov_b32_e32 v28, 0
	s_and_saveexec_b64 s[12:13], s[10:11]
	s_cbranch_execz .LBB468_304
; %bb.299:
	v_lshrrev_b32_e32 v26, 24, v29
	s_movk_i32 s10, 0x80
	v_cmp_ne_u32_e64 s[10:11], s10, v26
	v_bfrev_b32_e32 v28, 1
	s_and_saveexec_b64 s[24:25], s[10:11]
	s_cbranch_execz .LBB468_303
; %bb.300:
	v_bfe_u32 v29, v29, 24, 7
	s_movk_i32 s10, 0x7f
	v_cmp_ne_u32_e64 s[10:11], s10, v29
	v_mov_b32_e32 v28, 0x7f800001
	s_and_saveexec_b64 s[26:27], s[10:11]
	s_cbranch_execz .LBB468_302
; %bb.301:
	v_and_b32_e32 v28, 7, v26
	v_ffbh_u32_e32 v38, v28
	v_min_u32_e32 v40, 32, v38
	v_subrev_u32_e32 v38, 28, v40
	v_lshlrev_b64 v[38:39], v38, v[26:27]
	v_lshrrev_b32_e32 v37, 3, v29
	v_sub_u32_e32 v39, 29, v40
	v_and_b32_e32 v38, 7, v38
	v_cmp_gt_u32_e64 s[10:11], 8, v29
	v_cndmask_b32_e64 v29, v37, v39, s[10:11]
	v_cndmask_b32_e64 v28, v28, v38, s[10:11]
	v_lshlrev_b32_e32 v26, 24, v26
	v_bfrev_b32_e32 v37, 60
	v_lshlrev_b32_e32 v28, 20, v28
	v_and_b32_e32 v26, 0x80000000, v26
	v_lshl_add_u32 v29, v29, 23, v37
	v_or3_b32 v28, v26, v29, v28
.LBB468_302:
	s_or_b64 exec, exec, s[26:27]
.LBB468_303:
	s_or_b64 exec, exec, s[24:25]
.LBB468_304:
	s_or_b64 exec, exec, s[12:13]
	v_cvt_pkrtz_f16_f32 v32, v32, v33
	v_cvt_pkrtz_f16_f32 v33, v31, v34
	;; [unrolled: 1-line block ×4, first 2 shown]
	v_mfma_f32_4x4x4f16 a[0:3], v[2:3], v[32:33], a[0:3] cbsz:4 abid:5
	v_cmp_ne_u16_sdwa s[10:11], v22, v30 src0_sel:BYTE_0 src1_sel:DWORD
	v_mfma_f32_4x4x4f16 a[0:3], v[4:5], v[26:27], a[0:3] cbsz:4 abid:5
	s_and_saveexec_b64 s[12:13], s[10:11]
	s_cbranch_execz .LBB468_310
; %bb.305:
	s_movk_i32 s10, 0x80
	v_cmp_ne_u16_sdwa s[10:11], v22, s10 src0_sel:BYTE_0 src1_sel:DWORD
	v_bfrev_b32_e32 v30, 1
	s_and_saveexec_b64 s[24:25], s[10:11]
	s_cbranch_execz .LBB468_309
; %bb.306:
	s_movk_i32 s10, 0x7f
	v_and_b32_e32 v26, 0x7f, v22
	v_cmp_ne_u32_e64 s[10:11], s10, v26
	v_mov_b32_e32 v30, 0x7f800001
	s_and_saveexec_b64 s[26:27], s[10:11]
	s_cbranch_execz .LBB468_308
; %bb.307:
	v_and_b32_e32 v27, 7, v22
	v_ffbh_u32_e32 v27, v27
	v_min_u32_e32 v27, 32, v27
	v_subrev_u32_e32 v29, 28, v27
	v_cmp_gt_u32_e64 s[10:11], 8, v26
	v_lshrrev_b32_e32 v28, 3, v26
	v_sub_u32_e32 v27, 29, v27
	v_cndmask_b32_e64 v26, 0, v29, s[10:11]
	v_cndmask_b32_e64 v28, v28, v27, s[10:11]
	v_lshlrev_b64 v[26:27], v26, v[22:23]
	v_lshlrev_b32_e32 v26, 20, v26
	v_lshlrev_b32_e32 v27, 24, v22
	v_bfrev_b32_e32 v29, 60
	v_and_b32_e32 v26, 0x700000, v26
	v_and_b32_e32 v27, 0x80000000, v27
	v_lshl_add_u32 v28, v28, 23, v29
	v_or3_b32 v30, v27, v28, v26
.LBB468_308:
	s_or_b64 exec, exec, s[26:27]
.LBB468_309:
	s_or_b64 exec, exec, s[24:25]
.LBB468_310:
	s_or_b64 exec, exec, s[12:13]
	v_lshrrev_b16_e32 v26, 8, v22
	v_cmp_ne_u16_e64 s[10:11], 0, v26
	v_mov_b32_e32 v29, 0
	v_mov_b32_e32 v31, 0
	s_and_saveexec_b64 s[12:13], s[10:11]
	s_cbranch_execz .LBB468_316
; %bb.311:
	s_movk_i32 s10, 0x80
	v_cmp_ne_u16_e64 s[10:11], s10, v26
	v_bfrev_b32_e32 v31, 1
	s_and_saveexec_b64 s[24:25], s[10:11]
	s_cbranch_execz .LBB468_315
; %bb.312:
	s_movk_i32 s10, 0x7f
	v_and_b32_e32 v27, 0x7f, v26
	v_cmp_ne_u32_e64 s[10:11], s10, v27
	v_mov_b32_e32 v31, 0x7f800001
	s_and_saveexec_b64 s[26:27], s[10:11]
	s_cbranch_execz .LBB468_314
; %bb.313:
	v_and_b32_e32 v28, 7, v26
	v_ffbh_u32_e32 v32, v28
	v_min_u32_e32 v34, 32, v32
	v_subrev_u32_e32 v32, 28, v34
	v_lshlrev_b64 v[32:33], v32, v[26:27]
	v_lshrrev_b32_e32 v31, 3, v27
	v_sub_u32_e32 v26, 29, v34
	v_and_b32_e32 v32, 7, v32
	v_cmp_gt_u32_e64 s[10:11], 8, v27
	v_cndmask_b32_e64 v26, v31, v26, s[10:11]
	v_cndmask_b32_e64 v27, v28, v32, s[10:11]
	v_lshlrev_b32_e32 v28, 16, v22
	v_bfrev_b32_e32 v31, 60
	v_lshlrev_b32_e32 v27, 20, v27
	v_and_b32_e32 v28, 0x80000000, v28
	v_lshl_add_u32 v26, v26, 23, v31
	v_or3_b32 v31, v28, v26, v27
.LBB468_314:
	s_or_b64 exec, exec, s[26:27]
.LBB468_315:
	s_or_b64 exec, exec, s[24:25]
.LBB468_316:
	s_or_b64 exec, exec, s[12:13]
	s_movk_i32 s10, 0xff
	v_and_b32_sdwa v27, v22, s10 dst_sel:DWORD dst_unused:UNUSED_PAD src0_sel:WORD_1 src1_sel:DWORD
	v_lshrrev_b32_e32 v26, 16, v22
	v_cmp_ne_u16_e64 s[10:11], 0, v27
	s_and_saveexec_b64 s[12:13], s[10:11]
	s_cbranch_execz .LBB468_322
; %bb.317:
	s_movk_i32 s10, 0x80
	v_cmp_ne_u16_e64 s[10:11], s10, v27
	v_bfrev_b32_e32 v29, 1
	s_and_saveexec_b64 s[24:25], s[10:11]
	s_cbranch_execz .LBB468_321
; %bb.318:
	v_bfe_u32 v27, v22, 16, 7
	s_movk_i32 s10, 0x7f
	v_cmp_ne_u32_e64 s[10:11], s10, v27
	v_mov_b32_e32 v29, 0x7f800001
	s_and_saveexec_b64 s[26:27], s[10:11]
	s_cbranch_execz .LBB468_320
; %bb.319:
	v_and_b32_e32 v32, 7, v26
	v_ffbh_u32_e32 v28, v32
	v_min_u32_e32 v34, 32, v28
	v_subrev_u32_e32 v28, 28, v34
	v_lshlrev_b64 v[28:29], v28, v[26:27]
	v_and_b32_e32 v28, 7, v28
	v_cmp_gt_u32_e64 s[10:11], 8, v27
	v_lshrrev_b32_e32 v33, 3, v27
	v_sub_u32_e32 v26, 29, v34
	v_cndmask_b32_e64 v27, v32, v28, s[10:11]
	v_mov_b32_e32 v28, 24
	v_cndmask_b32_e64 v26, v33, v26, s[10:11]
	v_lshlrev_b32_sdwa v28, v28, v22 dst_sel:DWORD dst_unused:UNUSED_PAD src0_sel:DWORD src1_sel:WORD_1
	v_bfrev_b32_e32 v29, 60
	v_lshlrev_b32_e32 v27, 20, v27
	v_and_b32_e32 v28, 0x80000000, v28
	v_lshl_add_u32 v26, v26, 23, v29
	v_or3_b32 v29, v28, v26, v27
.LBB468_320:
	s_or_b64 exec, exec, s[26:27]
.LBB468_321:
	s_or_b64 exec, exec, s[24:25]
.LBB468_322:
	s_or_b64 exec, exec, s[12:13]
	s_mov_b32 s10, 0xffffff
	v_cmp_lt_u32_e64 s[10:11], s10, v22
	v_mov_b32_e32 v27, 0
	v_mov_b32_e32 v32, 0
	s_and_saveexec_b64 s[12:13], s[10:11]
	s_cbranch_execz .LBB468_328
; %bb.323:
	v_lshrrev_b32_e32 v26, 24, v22
	s_movk_i32 s10, 0x80
	v_cmp_ne_u32_e64 s[10:11], s10, v26
	v_bfrev_b32_e32 v32, 1
	s_and_saveexec_b64 s[24:25], s[10:11]
	s_cbranch_execz .LBB468_327
; %bb.324:
	v_bfe_u32 v28, v22, 24, 7
	s_movk_i32 s10, 0x7f
	v_cmp_ne_u32_e64 s[10:11], s10, v28
	v_mov_b32_e32 v32, 0x7f800001
	s_and_saveexec_b64 s[26:27], s[10:11]
	s_cbranch_execz .LBB468_326
; %bb.325:
	v_and_b32_e32 v34, 7, v26
	v_ffbh_u32_e32 v32, v34
	v_min_u32_e32 v36, 32, v32
	v_subrev_u32_e32 v32, 28, v36
	v_lshlrev_b64 v[32:33], v32, v[26:27]
	v_lshrrev_b32_e32 v35, 3, v28
	v_sub_u32_e32 v33, 29, v36
	v_and_b32_e32 v32, 7, v32
	v_cmp_gt_u32_e64 s[10:11], 8, v28
	v_cndmask_b32_e64 v28, v35, v33, s[10:11]
	v_cndmask_b32_e64 v32, v34, v32, s[10:11]
	v_lshlrev_b32_e32 v26, 24, v26
	v_bfrev_b32_e32 v33, 60
	v_lshlrev_b32_e32 v32, 20, v32
	v_and_b32_e32 v26, 0x80000000, v26
	v_lshl_add_u32 v28, v28, 23, v33
	v_or3_b32 v32, v26, v28, v32
.LBB468_326:
	s_or_b64 exec, exec, s[26:27]
.LBB468_327:
	s_or_b64 exec, exec, s[24:25]
.LBB468_328:
	s_or_b64 exec, exec, s[12:13]
	v_mov_b32_e32 v26, v23
	v_cmp_ne_u16_sdwa s[10:11], v23, v27 src0_sel:BYTE_0 src1_sel:DWORD
	s_and_saveexec_b64 s[12:13], s[10:11]
	s_cbranch_execz .LBB468_334
; %bb.329:
	s_movk_i32 s10, 0x80
	v_cmp_ne_u16_sdwa s[10:11], v23, s10 src0_sel:BYTE_0 src1_sel:DWORD
	v_bfrev_b32_e32 v28, 1
	s_and_saveexec_b64 s[24:25], s[10:11]
	s_cbranch_execz .LBB468_333
; %bb.330:
	s_movk_i32 s10, 0x7f
	v_and_b32_e32 v33, 0x7f, v23
	v_cmp_ne_u32_e64 s[10:11], s10, v33
	v_mov_b32_e32 v28, 0x7f800001
	s_and_saveexec_b64 s[26:27], s[10:11]
	s_cbranch_execz .LBB468_332
; %bb.331:
	v_and_b32_e32 v28, 7, v23
	v_ffbh_u32_e32 v28, v28
	v_min_u32_e32 v28, 32, v28
	v_subrev_u32_e32 v35, 28, v28
	v_cmp_gt_u32_e64 s[10:11], 8, v33
	v_lshrrev_b32_e32 v34, 3, v33
	v_sub_u32_e32 v28, 29, v28
	v_cndmask_b32_e64 v33, 0, v35, s[10:11]
	v_cndmask_b32_e64 v28, v34, v28, s[10:11]
	v_lshlrev_b64 v[34:35], v33, v[26:27]
	v_lshlrev_b32_e32 v27, 20, v34
	v_lshlrev_b32_e32 v33, 24, v26
	v_bfrev_b32_e32 v34, 60
	v_and_b32_e32 v27, 0x700000, v27
	v_and_b32_e32 v33, 0x80000000, v33
	v_lshl_add_u32 v28, v28, 23, v34
	v_or3_b32 v28, v33, v28, v27
.LBB468_332:
	s_or_b64 exec, exec, s[26:27]
.LBB468_333:
	s_or_b64 exec, exec, s[24:25]
	v_mov_b32_e32 v27, v28
.LBB468_334:
	s_or_b64 exec, exec, s[12:13]
	v_lshrrev_b16_e32 v28, 8, v26
	v_cmp_ne_u16_e64 s[10:11], 0, v28
	v_mov_b32_e32 v33, 0
	v_mov_b32_e32 v34, 0
	s_and_saveexec_b64 s[12:13], s[10:11]
	s_cbranch_execz .LBB468_340
; %bb.335:
	s_movk_i32 s10, 0x80
	v_cmp_ne_u16_e64 s[10:11], s10, v28
	v_bfrev_b32_e32 v34, 1
	s_and_saveexec_b64 s[24:25], s[10:11]
	s_cbranch_execz .LBB468_339
; %bb.336:
	s_movk_i32 s10, 0x7f
	v_and_b32_e32 v35, 0x7f, v28
	v_cmp_ne_u32_e64 s[10:11], s10, v35
	v_mov_b32_e32 v34, 0x7f800001
	s_and_saveexec_b64 s[26:27], s[10:11]
	s_cbranch_execz .LBB468_338
; %bb.337:
	v_and_b32_e32 v34, 7, v28
	v_ffbh_u32_e32 v36, v34
	v_min_u32_e32 v39, 32, v36
	v_subrev_u32_e32 v36, 28, v39
	v_lshlrev_b64 v[36:37], v36, v[28:29]
	v_lshrrev_b32_e32 v38, 3, v35
	v_sub_u32_e32 v28, 29, v39
	v_and_b32_e32 v36, 7, v36
	v_cmp_gt_u32_e64 s[10:11], 8, v35
	v_cndmask_b32_e64 v28, v38, v28, s[10:11]
	v_cndmask_b32_e64 v34, v34, v36, s[10:11]
	v_lshlrev_b32_e32 v26, 16, v26
	v_bfrev_b32_e32 v35, 60
	v_lshlrev_b32_e32 v34, 20, v34
	v_and_b32_e32 v26, 0x80000000, v26
	v_lshl_add_u32 v28, v28, 23, v35
	v_or3_b32 v34, v26, v28, v34
.LBB468_338:
	s_or_b64 exec, exec, s[26:27]
.LBB468_339:
	s_or_b64 exec, exec, s[24:25]
.LBB468_340:
	s_or_b64 exec, exec, s[12:13]
	s_movk_i32 s10, 0xff
	v_and_b32_sdwa v28, v23, s10 dst_sel:DWORD dst_unused:UNUSED_PAD src0_sel:WORD_1 src1_sel:DWORD
	v_lshrrev_b32_e32 v26, 16, v23
	v_cmp_ne_u16_e64 s[10:11], 0, v28
	s_and_saveexec_b64 s[12:13], s[10:11]
	s_cbranch_execz .LBB468_346
; %bb.341:
	s_movk_i32 s10, 0x80
	v_cmp_ne_u16_e64 s[10:11], s10, v28
	v_bfrev_b32_e32 v33, 1
	s_and_saveexec_b64 s[24:25], s[10:11]
	s_cbranch_execz .LBB468_345
; %bb.342:
	v_bfe_u32 v28, v23, 16, 7
	s_movk_i32 s10, 0x7f
	v_cmp_ne_u32_e64 s[10:11], s10, v28
	v_mov_b32_e32 v33, 0x7f800001
	s_and_saveexec_b64 s[26:27], s[10:11]
	s_cbranch_execz .LBB468_344
; %bb.343:
	v_and_b32_e32 v33, 7, v26
	v_ffbh_u32_e32 v36, v33
	v_min_u32_e32 v38, 32, v36
	v_subrev_u32_e32 v36, 28, v38
	v_lshlrev_b64 v[36:37], v36, v[26:27]
	v_and_b32_e32 v36, 7, v36
	v_cmp_gt_u32_e64 s[10:11], 8, v28
	v_lshrrev_b32_e32 v35, 3, v28
	v_sub_u32_e32 v26, 29, v38
	v_cndmask_b32_e64 v28, v33, v36, s[10:11]
	v_mov_b32_e32 v33, 24
	v_cndmask_b32_e64 v26, v35, v26, s[10:11]
	v_lshlrev_b32_sdwa v33, v33, v23 dst_sel:DWORD dst_unused:UNUSED_PAD src0_sel:DWORD src1_sel:WORD_1
	v_bfrev_b32_e32 v35, 60
	v_lshlrev_b32_e32 v28, 20, v28
	v_and_b32_e32 v33, 0x80000000, v33
	v_lshl_add_u32 v26, v26, 23, v35
	v_or3_b32 v33, v33, v26, v28
.LBB468_344:
	s_or_b64 exec, exec, s[26:27]
.LBB468_345:
	s_or_b64 exec, exec, s[24:25]
.LBB468_346:
	s_or_b64 exec, exec, s[12:13]
	s_mov_b32 s10, -1
	s_mov_b32 s11, 0xffffff
	v_cmp_lt_u64_e64 s[10:11], s[10:11], v[22:23]
	v_mov_b32_e32 v28, 0
	v_mov_b32_e32 v26, 0
	s_and_saveexec_b64 s[12:13], s[10:11]
	s_cbranch_execz .LBB468_352
; %bb.347:
	v_lshrrev_b32_e32 v22, 24, v23
	s_movk_i32 s10, 0x80
	v_cmp_ne_u32_e64 s[10:11], s10, v22
	v_bfrev_b32_e32 v26, 1
	s_and_saveexec_b64 s[24:25], s[10:11]
	s_cbranch_execz .LBB468_351
; %bb.348:
	v_bfe_u32 v23, v23, 24, 7
	s_movk_i32 s10, 0x7f
	v_cmp_ne_u32_e64 s[10:11], s10, v23
	v_mov_b32_e32 v26, 0x7f800001
	s_and_saveexec_b64 s[26:27], s[10:11]
	s_cbranch_execz .LBB468_350
; %bb.349:
	v_and_b32_e32 v26, 7, v22
	v_ffbh_u32_e32 v36, v26
	v_min_u32_e32 v38, 32, v36
	v_subrev_u32_e32 v36, 28, v38
	v_lshlrev_b64 v[36:37], v36, v[22:23]
	v_lshrrev_b32_e32 v35, 3, v23
	v_sub_u32_e32 v37, 29, v38
	v_and_b32_e32 v36, 7, v36
	v_cmp_gt_u32_e64 s[10:11], 8, v23
	v_cndmask_b32_e64 v23, v35, v37, s[10:11]
	v_cndmask_b32_e64 v26, v26, v36, s[10:11]
	v_lshlrev_b32_e32 v22, 24, v22
	v_bfrev_b32_e32 v35, 60
	v_lshlrev_b32_e32 v26, 20, v26
	v_and_b32_e32 v22, 0x80000000, v22
	v_lshl_add_u32 v23, v23, 23, v35
	v_or3_b32 v26, v22, v23, v26
.LBB468_350:
	s_or_b64 exec, exec, s[26:27]
.LBB468_351:
	s_or_b64 exec, exec, s[24:25]
.LBB468_352:
	s_or_b64 exec, exec, s[12:13]
	v_cvt_pkrtz_f16_f32 v22, v30, v31
	v_cvt_pkrtz_f16_f32 v23, v29, v32
	;; [unrolled: 1-line block ×4, first 2 shown]
	v_mfma_f32_4x4x4f16 a[0:3], v[2:3], v[22:23], a[0:3] cbsz:4 abid:6
	v_cmp_ne_u16_sdwa s[10:11], v24, v28 src0_sel:BYTE_0 src1_sel:DWORD
	v_mfma_f32_4x4x4f16 a[0:3], v[4:5], v[30:31], a[0:3] cbsz:4 abid:6
	s_and_saveexec_b64 s[12:13], s[10:11]
	s_cbranch_execz .LBB468_358
; %bb.353:
	s_movk_i32 s10, 0x80
	v_cmp_ne_u16_sdwa s[10:11], v24, s10 src0_sel:BYTE_0 src1_sel:DWORD
	v_bfrev_b32_e32 v28, 1
	s_and_saveexec_b64 s[24:25], s[10:11]
	s_cbranch_execz .LBB468_357
; %bb.354:
	s_movk_i32 s10, 0x7f
	v_and_b32_e32 v22, 0x7f, v24
	v_cmp_ne_u32_e64 s[10:11], s10, v22
	v_mov_b32_e32 v28, 0x7f800001
	s_and_saveexec_b64 s[26:27], s[10:11]
	s_cbranch_execz .LBB468_356
; %bb.355:
	v_and_b32_e32 v23, 7, v24
	v_ffbh_u32_e32 v23, v23
	v_min_u32_e32 v23, 32, v23
	v_subrev_u32_e32 v27, 28, v23
	v_cmp_gt_u32_e64 s[10:11], 8, v22
	v_lshrrev_b32_e32 v26, 3, v22
	v_sub_u32_e32 v23, 29, v23
	v_cndmask_b32_e64 v22, 0, v27, s[10:11]
	v_cndmask_b32_e64 v26, v26, v23, s[10:11]
	v_lshlrev_b64 v[22:23], v22, v[24:25]
	v_lshlrev_b32_e32 v22, 20, v22
	v_lshlrev_b32_e32 v23, 24, v24
	v_bfrev_b32_e32 v27, 60
	v_and_b32_e32 v22, 0x700000, v22
	v_and_b32_e32 v23, 0x80000000, v23
	v_lshl_add_u32 v26, v26, 23, v27
	v_or3_b32 v28, v23, v26, v22
.LBB468_356:
	s_or_b64 exec, exec, s[26:27]
.LBB468_357:
	s_or_b64 exec, exec, s[24:25]
.LBB468_358:
	s_or_b64 exec, exec, s[12:13]
	v_lshrrev_b16_e32 v22, 8, v24
	v_cmp_ne_u16_e64 s[10:11], 0, v22
	v_mov_b32_e32 v27, 0
	v_mov_b32_e32 v29, 0
	s_and_saveexec_b64 s[12:13], s[10:11]
	s_cbranch_execz .LBB468_364
; %bb.359:
	s_movk_i32 s10, 0x80
	v_cmp_ne_u16_e64 s[10:11], s10, v22
	v_bfrev_b32_e32 v29, 1
	s_and_saveexec_b64 s[24:25], s[10:11]
	s_cbranch_execz .LBB468_363
; %bb.360:
	s_movk_i32 s10, 0x7f
	v_and_b32_e32 v23, 0x7f, v22
	v_cmp_ne_u32_e64 s[10:11], s10, v23
	v_mov_b32_e32 v29, 0x7f800001
	s_and_saveexec_b64 s[26:27], s[10:11]
	s_cbranch_execz .LBB468_362
; %bb.361:
	v_and_b32_e32 v26, 7, v22
	v_ffbh_u32_e32 v30, v26
	v_min_u32_e32 v32, 32, v30
	v_subrev_u32_e32 v30, 28, v32
	v_lshlrev_b64 v[30:31], v30, v[22:23]
	v_lshrrev_b32_e32 v29, 3, v23
	v_sub_u32_e32 v22, 29, v32
	v_and_b32_e32 v30, 7, v30
	v_cmp_gt_u32_e64 s[10:11], 8, v23
	v_cndmask_b32_e64 v22, v29, v22, s[10:11]
	v_cndmask_b32_e64 v23, v26, v30, s[10:11]
	v_lshlrev_b32_e32 v26, 16, v24
	v_bfrev_b32_e32 v29, 60
	v_lshlrev_b32_e32 v23, 20, v23
	v_and_b32_e32 v26, 0x80000000, v26
	v_lshl_add_u32 v22, v22, 23, v29
	v_or3_b32 v29, v26, v22, v23
.LBB468_362:
	s_or_b64 exec, exec, s[26:27]
.LBB468_363:
	s_or_b64 exec, exec, s[24:25]
.LBB468_364:
	s_or_b64 exec, exec, s[12:13]
	s_movk_i32 s10, 0xff
	v_and_b32_sdwa v23, v24, s10 dst_sel:DWORD dst_unused:UNUSED_PAD src0_sel:WORD_1 src1_sel:DWORD
	v_lshrrev_b32_e32 v22, 16, v24
	v_cmp_ne_u16_e64 s[10:11], 0, v23
	s_and_saveexec_b64 s[12:13], s[10:11]
	s_cbranch_execz .LBB468_370
; %bb.365:
	s_movk_i32 s10, 0x80
	v_cmp_ne_u16_e64 s[10:11], s10, v23
	v_bfrev_b32_e32 v27, 1
	s_and_saveexec_b64 s[24:25], s[10:11]
	s_cbranch_execz .LBB468_369
; %bb.366:
	v_bfe_u32 v23, v24, 16, 7
	s_movk_i32 s10, 0x7f
	v_cmp_ne_u32_e64 s[10:11], s10, v23
	v_mov_b32_e32 v27, 0x7f800001
	s_and_saveexec_b64 s[26:27], s[10:11]
	s_cbranch_execz .LBB468_368
; %bb.367:
	v_and_b32_e32 v30, 7, v22
	v_ffbh_u32_e32 v26, v30
	v_min_u32_e32 v32, 32, v26
	v_subrev_u32_e32 v26, 28, v32
	v_lshlrev_b64 v[26:27], v26, v[22:23]
	v_and_b32_e32 v26, 7, v26
	v_cmp_gt_u32_e64 s[10:11], 8, v23
	v_lshrrev_b32_e32 v31, 3, v23
	v_sub_u32_e32 v22, 29, v32
	v_cndmask_b32_e64 v23, v30, v26, s[10:11]
	v_mov_b32_e32 v26, 24
	v_cndmask_b32_e64 v22, v31, v22, s[10:11]
	v_lshlrev_b32_sdwa v26, v26, v24 dst_sel:DWORD dst_unused:UNUSED_PAD src0_sel:DWORD src1_sel:WORD_1
	v_bfrev_b32_e32 v27, 60
	v_lshlrev_b32_e32 v23, 20, v23
	v_and_b32_e32 v26, 0x80000000, v26
	v_lshl_add_u32 v22, v22, 23, v27
	v_or3_b32 v27, v26, v22, v23
.LBB468_368:
	s_or_b64 exec, exec, s[26:27]
.LBB468_369:
	s_or_b64 exec, exec, s[24:25]
.LBB468_370:
	s_or_b64 exec, exec, s[12:13]
	s_mov_b32 s10, 0xffffff
	v_cmp_lt_u32_e64 s[10:11], s10, v24
	v_mov_b32_e32 v23, 0
	v_mov_b32_e32 v30, 0
	s_and_saveexec_b64 s[12:13], s[10:11]
	s_cbranch_execz .LBB468_376
; %bb.371:
	v_lshrrev_b32_e32 v22, 24, v24
	s_movk_i32 s10, 0x80
	v_cmp_ne_u32_e64 s[10:11], s10, v22
	v_bfrev_b32_e32 v30, 1
	s_and_saveexec_b64 s[24:25], s[10:11]
	s_cbranch_execz .LBB468_375
; %bb.372:
	v_bfe_u32 v26, v24, 24, 7
	s_movk_i32 s10, 0x7f
	v_cmp_ne_u32_e64 s[10:11], s10, v26
	v_mov_b32_e32 v30, 0x7f800001
	s_and_saveexec_b64 s[26:27], s[10:11]
	s_cbranch_execz .LBB468_374
; %bb.373:
	v_and_b32_e32 v32, 7, v22
	v_ffbh_u32_e32 v30, v32
	v_min_u32_e32 v34, 32, v30
	v_subrev_u32_e32 v30, 28, v34
	v_lshlrev_b64 v[30:31], v30, v[22:23]
	v_lshrrev_b32_e32 v33, 3, v26
	v_sub_u32_e32 v31, 29, v34
	v_and_b32_e32 v30, 7, v30
	v_cmp_gt_u32_e64 s[10:11], 8, v26
	v_cndmask_b32_e64 v26, v33, v31, s[10:11]
	v_cndmask_b32_e64 v30, v32, v30, s[10:11]
	v_lshlrev_b32_e32 v22, 24, v22
	v_bfrev_b32_e32 v31, 60
	v_lshlrev_b32_e32 v30, 20, v30
	v_and_b32_e32 v22, 0x80000000, v22
	v_lshl_add_u32 v26, v26, 23, v31
	v_or3_b32 v30, v22, v26, v30
.LBB468_374:
	s_or_b64 exec, exec, s[26:27]
.LBB468_375:
	s_or_b64 exec, exec, s[24:25]
.LBB468_376:
	s_or_b64 exec, exec, s[12:13]
	v_mov_b32_e32 v22, v25
	v_cmp_ne_u16_sdwa s[10:11], v25, v23 src0_sel:BYTE_0 src1_sel:DWORD
	s_and_saveexec_b64 s[12:13], s[10:11]
	s_cbranch_execz .LBB468_382
; %bb.377:
	s_movk_i32 s10, 0x80
	v_cmp_ne_u16_sdwa s[10:11], v25, s10 src0_sel:BYTE_0 src1_sel:DWORD
	v_bfrev_b32_e32 v26, 1
	s_and_saveexec_b64 s[24:25], s[10:11]
	s_cbranch_execz .LBB468_381
; %bb.378:
	s_movk_i32 s10, 0x7f
	v_and_b32_e32 v31, 0x7f, v25
	v_cmp_ne_u32_e64 s[10:11], s10, v31
	v_mov_b32_e32 v26, 0x7f800001
	s_and_saveexec_b64 s[26:27], s[10:11]
	s_cbranch_execz .LBB468_380
; %bb.379:
	v_and_b32_e32 v26, 7, v25
	v_ffbh_u32_e32 v26, v26
	v_min_u32_e32 v26, 32, v26
	v_subrev_u32_e32 v33, 28, v26
	v_cmp_gt_u32_e64 s[10:11], 8, v31
	v_lshrrev_b32_e32 v32, 3, v31
	v_sub_u32_e32 v26, 29, v26
	v_cndmask_b32_e64 v31, 0, v33, s[10:11]
	v_cndmask_b32_e64 v26, v32, v26, s[10:11]
	v_lshlrev_b64 v[32:33], v31, v[22:23]
	v_lshlrev_b32_e32 v23, 20, v32
	v_lshlrev_b32_e32 v31, 24, v22
	v_bfrev_b32_e32 v32, 60
	v_and_b32_e32 v23, 0x700000, v23
	v_and_b32_e32 v31, 0x80000000, v31
	v_lshl_add_u32 v26, v26, 23, v32
	v_or3_b32 v26, v31, v26, v23
.LBB468_380:
	s_or_b64 exec, exec, s[26:27]
.LBB468_381:
	s_or_b64 exec, exec, s[24:25]
	v_mov_b32_e32 v23, v26
.LBB468_382:
	s_or_b64 exec, exec, s[12:13]
	v_lshrrev_b16_e32 v26, 8, v22
	v_cmp_ne_u16_e64 s[10:11], 0, v26
	v_mov_b32_e32 v31, 0
	v_mov_b32_e32 v32, 0
	s_and_saveexec_b64 s[12:13], s[10:11]
	s_cbranch_execz .LBB468_388
; %bb.383:
	s_movk_i32 s10, 0x80
	v_cmp_ne_u16_e64 s[10:11], s10, v26
	v_bfrev_b32_e32 v32, 1
	s_and_saveexec_b64 s[24:25], s[10:11]
	s_cbranch_execz .LBB468_387
; %bb.384:
	s_movk_i32 s10, 0x7f
	v_and_b32_e32 v33, 0x7f, v26
	v_cmp_ne_u32_e64 s[10:11], s10, v33
	v_mov_b32_e32 v32, 0x7f800001
	s_and_saveexec_b64 s[26:27], s[10:11]
	s_cbranch_execz .LBB468_386
; %bb.385:
	v_and_b32_e32 v32, 7, v26
	v_ffbh_u32_e32 v34, v32
	v_min_u32_e32 v37, 32, v34
	v_subrev_u32_e32 v34, 28, v37
	v_lshlrev_b64 v[34:35], v34, v[26:27]
	v_lshrrev_b32_e32 v36, 3, v33
	v_sub_u32_e32 v26, 29, v37
	v_and_b32_e32 v34, 7, v34
	v_cmp_gt_u32_e64 s[10:11], 8, v33
	v_cndmask_b32_e64 v26, v36, v26, s[10:11]
	v_cndmask_b32_e64 v32, v32, v34, s[10:11]
	v_lshlrev_b32_e32 v22, 16, v22
	v_bfrev_b32_e32 v33, 60
	v_lshlrev_b32_e32 v32, 20, v32
	v_and_b32_e32 v22, 0x80000000, v22
	v_lshl_add_u32 v26, v26, 23, v33
	v_or3_b32 v32, v22, v26, v32
.LBB468_386:
	s_or_b64 exec, exec, s[26:27]
.LBB468_387:
	s_or_b64 exec, exec, s[24:25]
.LBB468_388:
	s_or_b64 exec, exec, s[12:13]
	s_movk_i32 s10, 0xff
	v_and_b32_sdwa v26, v25, s10 dst_sel:DWORD dst_unused:UNUSED_PAD src0_sel:WORD_1 src1_sel:DWORD
	v_lshrrev_b32_e32 v22, 16, v25
	v_cmp_ne_u16_e64 s[10:11], 0, v26
	s_and_saveexec_b64 s[12:13], s[10:11]
	s_cbranch_execz .LBB468_394
; %bb.389:
	s_movk_i32 s10, 0x80
	v_cmp_ne_u16_e64 s[10:11], s10, v26
	v_bfrev_b32_e32 v31, 1
	s_and_saveexec_b64 s[24:25], s[10:11]
	s_cbranch_execz .LBB468_393
; %bb.390:
	v_bfe_u32 v26, v25, 16, 7
	s_movk_i32 s10, 0x7f
	v_cmp_ne_u32_e64 s[10:11], s10, v26
	v_mov_b32_e32 v31, 0x7f800001
	s_and_saveexec_b64 s[26:27], s[10:11]
	s_cbranch_execz .LBB468_392
; %bb.391:
	v_and_b32_e32 v31, 7, v22
	v_ffbh_u32_e32 v34, v31
	v_min_u32_e32 v36, 32, v34
	v_subrev_u32_e32 v34, 28, v36
	v_lshlrev_b64 v[34:35], v34, v[22:23]
	v_and_b32_e32 v34, 7, v34
	v_cmp_gt_u32_e64 s[10:11], 8, v26
	v_lshrrev_b32_e32 v33, 3, v26
	v_sub_u32_e32 v22, 29, v36
	v_cndmask_b32_e64 v26, v31, v34, s[10:11]
	v_mov_b32_e32 v31, 24
	v_cndmask_b32_e64 v22, v33, v22, s[10:11]
	v_lshlrev_b32_sdwa v31, v31, v25 dst_sel:DWORD dst_unused:UNUSED_PAD src0_sel:DWORD src1_sel:WORD_1
	v_bfrev_b32_e32 v33, 60
	v_lshlrev_b32_e32 v26, 20, v26
	v_and_b32_e32 v31, 0x80000000, v31
	v_lshl_add_u32 v22, v22, 23, v33
	v_or3_b32 v31, v31, v22, v26
.LBB468_392:
	s_or_b64 exec, exec, s[26:27]
.LBB468_393:
	s_or_b64 exec, exec, s[24:25]
.LBB468_394:
	s_or_b64 exec, exec, s[12:13]
	s_mov_b32 s10, -1
	s_mov_b32 s11, 0xffffff
	v_cmp_lt_u64_e64 s[10:11], s[10:11], v[24:25]
	v_mov_b32_e32 v26, 0
	v_mov_b32_e32 v24, 0
	s_and_saveexec_b64 s[12:13], s[10:11]
	s_cbranch_execz .LBB468_400
; %bb.395:
	v_lshrrev_b32_e32 v22, 24, v25
	s_movk_i32 s10, 0x80
	v_cmp_ne_u32_e64 s[10:11], s10, v22
	v_bfrev_b32_e32 v24, 1
	s_and_saveexec_b64 s[24:25], s[10:11]
	s_cbranch_execz .LBB468_399
; %bb.396:
	v_bfe_u32 v25, v25, 24, 7
	s_movk_i32 s10, 0x7f
	v_cmp_ne_u32_e64 s[10:11], s10, v25
	v_mov_b32_e32 v24, 0x7f800001
	s_and_saveexec_b64 s[26:27], s[10:11]
	s_cbranch_execz .LBB468_398
; %bb.397:
	v_and_b32_e32 v24, 7, v22
	v_ffbh_u32_e32 v34, v24
	v_min_u32_e32 v36, 32, v34
	v_subrev_u32_e32 v34, 28, v36
	v_lshlrev_b64 v[34:35], v34, v[22:23]
	v_lshrrev_b32_e32 v33, 3, v25
	v_sub_u32_e32 v35, 29, v36
	v_and_b32_e32 v34, 7, v34
	v_cmp_gt_u32_e64 s[10:11], 8, v25
	v_cndmask_b32_e64 v25, v33, v35, s[10:11]
	v_cndmask_b32_e64 v24, v24, v34, s[10:11]
	v_lshlrev_b32_e32 v22, 24, v22
	v_bfrev_b32_e32 v33, 60
	v_lshlrev_b32_e32 v24, 20, v24
	v_and_b32_e32 v22, 0x80000000, v22
	v_lshl_add_u32 v25, v25, 23, v33
	v_or3_b32 v24, v22, v25, v24
.LBB468_398:
	s_or_b64 exec, exec, s[26:27]
.LBB468_399:
	s_or_b64 exec, exec, s[24:25]
.LBB468_400:
	s_or_b64 exec, exec, s[12:13]
	v_cvt_pkrtz_f16_f32 v28, v28, v29
	v_cvt_pkrtz_f16_f32 v29, v27, v30
	;; [unrolled: 1-line block ×4, first 2 shown]
	v_mfma_f32_4x4x4f16 a[0:3], v[2:3], v[28:29], a[0:3] cbsz:4 abid:7
	v_cmp_ne_u16_sdwa s[10:11], v18, v26 src0_sel:BYTE_0 src1_sel:DWORD
	v_mfma_f32_4x4x4f16 a[0:3], v[4:5], v[22:23], a[0:3] cbsz:4 abid:7
	s_and_saveexec_b64 s[12:13], s[10:11]
	s_cbranch_execz .LBB468_406
; %bb.401:
	s_movk_i32 s10, 0x80
	v_cmp_ne_u16_sdwa s[10:11], v18, s10 src0_sel:BYTE_0 src1_sel:DWORD
	v_bfrev_b32_e32 v26, 1
	s_and_saveexec_b64 s[24:25], s[10:11]
	s_cbranch_execz .LBB468_405
; %bb.402:
	s_movk_i32 s10, 0x7f
	v_and_b32_e32 v22, 0x7f, v18
	v_cmp_ne_u32_e64 s[10:11], s10, v22
	v_mov_b32_e32 v26, 0x7f800001
	s_and_saveexec_b64 s[26:27], s[10:11]
	s_cbranch_execz .LBB468_404
; %bb.403:
	v_and_b32_e32 v23, 7, v18
	v_ffbh_u32_e32 v23, v23
	v_min_u32_e32 v23, 32, v23
	v_subrev_u32_e32 v25, 28, v23
	v_cmp_gt_u32_e64 s[10:11], 8, v22
	v_lshrrev_b32_e32 v24, 3, v22
	v_sub_u32_e32 v23, 29, v23
	v_cndmask_b32_e64 v22, 0, v25, s[10:11]
	v_cndmask_b32_e64 v24, v24, v23, s[10:11]
	v_lshlrev_b64 v[22:23], v22, v[18:19]
	v_lshlrev_b32_e32 v22, 20, v22
	v_lshlrev_b32_e32 v23, 24, v18
	v_bfrev_b32_e32 v25, 60
	v_and_b32_e32 v22, 0x700000, v22
	v_and_b32_e32 v23, 0x80000000, v23
	v_lshl_add_u32 v24, v24, 23, v25
	v_or3_b32 v26, v23, v24, v22
.LBB468_404:
	s_or_b64 exec, exec, s[26:27]
.LBB468_405:
	s_or_b64 exec, exec, s[24:25]
.LBB468_406:
	s_or_b64 exec, exec, s[12:13]
	v_lshrrev_b16_e32 v22, 8, v18
	v_cmp_ne_u16_e64 s[10:11], 0, v22
	v_mov_b32_e32 v25, 0
	v_mov_b32_e32 v27, 0
	s_and_saveexec_b64 s[12:13], s[10:11]
	s_cbranch_execz .LBB468_412
; %bb.407:
	s_movk_i32 s10, 0x80
	v_cmp_ne_u16_e64 s[10:11], s10, v22
	v_bfrev_b32_e32 v27, 1
	s_and_saveexec_b64 s[24:25], s[10:11]
	s_cbranch_execz .LBB468_411
; %bb.408:
	s_movk_i32 s10, 0x7f
	v_and_b32_e32 v23, 0x7f, v22
	v_cmp_ne_u32_e64 s[10:11], s10, v23
	v_mov_b32_e32 v27, 0x7f800001
	s_and_saveexec_b64 s[26:27], s[10:11]
	s_cbranch_execz .LBB468_410
; %bb.409:
	v_and_b32_e32 v24, 7, v22
	v_ffbh_u32_e32 v28, v24
	v_min_u32_e32 v30, 32, v28
	v_subrev_u32_e32 v28, 28, v30
	v_lshlrev_b64 v[28:29], v28, v[22:23]
	v_lshrrev_b32_e32 v27, 3, v23
	v_sub_u32_e32 v22, 29, v30
	v_and_b32_e32 v28, 7, v28
	v_cmp_gt_u32_e64 s[10:11], 8, v23
	v_cndmask_b32_e64 v22, v27, v22, s[10:11]
	v_cndmask_b32_e64 v23, v24, v28, s[10:11]
	v_lshlrev_b32_e32 v24, 16, v18
	v_bfrev_b32_e32 v27, 60
	v_lshlrev_b32_e32 v23, 20, v23
	v_and_b32_e32 v24, 0x80000000, v24
	v_lshl_add_u32 v22, v22, 23, v27
	v_or3_b32 v27, v24, v22, v23
.LBB468_410:
	s_or_b64 exec, exec, s[26:27]
.LBB468_411:
	s_or_b64 exec, exec, s[24:25]
.LBB468_412:
	s_or_b64 exec, exec, s[12:13]
	s_movk_i32 s10, 0xff
	v_and_b32_sdwa v23, v18, s10 dst_sel:DWORD dst_unused:UNUSED_PAD src0_sel:WORD_1 src1_sel:DWORD
	v_lshrrev_b32_e32 v22, 16, v18
	v_cmp_ne_u16_e64 s[10:11], 0, v23
	s_and_saveexec_b64 s[12:13], s[10:11]
	s_cbranch_execz .LBB468_418
; %bb.413:
	s_movk_i32 s10, 0x80
	v_cmp_ne_u16_e64 s[10:11], s10, v23
	v_bfrev_b32_e32 v25, 1
	s_and_saveexec_b64 s[24:25], s[10:11]
	s_cbranch_execz .LBB468_417
; %bb.414:
	v_bfe_u32 v23, v18, 16, 7
	s_movk_i32 s10, 0x7f
	v_cmp_ne_u32_e64 s[10:11], s10, v23
	v_mov_b32_e32 v25, 0x7f800001
	s_and_saveexec_b64 s[26:27], s[10:11]
	s_cbranch_execz .LBB468_416
; %bb.415:
	v_and_b32_e32 v28, 7, v22
	v_ffbh_u32_e32 v24, v28
	v_min_u32_e32 v30, 32, v24
	v_subrev_u32_e32 v24, 28, v30
	v_lshlrev_b64 v[24:25], v24, v[22:23]
	v_and_b32_e32 v24, 7, v24
	v_cmp_gt_u32_e64 s[10:11], 8, v23
	v_lshrrev_b32_e32 v29, 3, v23
	v_sub_u32_e32 v22, 29, v30
	v_cndmask_b32_e64 v23, v28, v24, s[10:11]
	v_mov_b32_e32 v24, 24
	v_cndmask_b32_e64 v22, v29, v22, s[10:11]
	v_lshlrev_b32_sdwa v24, v24, v18 dst_sel:DWORD dst_unused:UNUSED_PAD src0_sel:DWORD src1_sel:WORD_1
	v_bfrev_b32_e32 v25, 60
	v_lshlrev_b32_e32 v23, 20, v23
	v_and_b32_e32 v24, 0x80000000, v24
	v_lshl_add_u32 v22, v22, 23, v25
	v_or3_b32 v25, v24, v22, v23
.LBB468_416:
	s_or_b64 exec, exec, s[26:27]
.LBB468_417:
	s_or_b64 exec, exec, s[24:25]
.LBB468_418:
	s_or_b64 exec, exec, s[12:13]
	s_mov_b32 s10, 0xffffff
	v_cmp_lt_u32_e64 s[10:11], s10, v18
	v_mov_b32_e32 v23, 0
	v_mov_b32_e32 v28, 0
	s_and_saveexec_b64 s[12:13], s[10:11]
	s_cbranch_execz .LBB468_424
; %bb.419:
	v_lshrrev_b32_e32 v22, 24, v18
	s_movk_i32 s10, 0x80
	v_cmp_ne_u32_e64 s[10:11], s10, v22
	v_bfrev_b32_e32 v28, 1
	s_and_saveexec_b64 s[24:25], s[10:11]
	s_cbranch_execz .LBB468_423
; %bb.420:
	v_bfe_u32 v24, v18, 24, 7
	s_movk_i32 s10, 0x7f
	v_cmp_ne_u32_e64 s[10:11], s10, v24
	v_mov_b32_e32 v28, 0x7f800001
	s_and_saveexec_b64 s[26:27], s[10:11]
	s_cbranch_execz .LBB468_422
; %bb.421:
	v_and_b32_e32 v30, 7, v22
	v_ffbh_u32_e32 v28, v30
	v_min_u32_e32 v32, 32, v28
	v_subrev_u32_e32 v28, 28, v32
	v_lshlrev_b64 v[28:29], v28, v[22:23]
	v_lshrrev_b32_e32 v31, 3, v24
	v_sub_u32_e32 v29, 29, v32
	v_and_b32_e32 v28, 7, v28
	v_cmp_gt_u32_e64 s[10:11], 8, v24
	v_cndmask_b32_e64 v24, v31, v29, s[10:11]
	v_cndmask_b32_e64 v28, v30, v28, s[10:11]
	v_lshlrev_b32_e32 v22, 24, v22
	v_bfrev_b32_e32 v29, 60
	v_lshlrev_b32_e32 v28, 20, v28
	v_and_b32_e32 v22, 0x80000000, v22
	v_lshl_add_u32 v24, v24, 23, v29
	v_or3_b32 v28, v22, v24, v28
.LBB468_422:
	s_or_b64 exec, exec, s[26:27]
.LBB468_423:
	s_or_b64 exec, exec, s[24:25]
.LBB468_424:
	s_or_b64 exec, exec, s[12:13]
	v_mov_b32_e32 v22, v19
	v_cmp_ne_u16_sdwa s[10:11], v19, v23 src0_sel:BYTE_0 src1_sel:DWORD
	s_and_saveexec_b64 s[12:13], s[10:11]
	s_cbranch_execz .LBB468_430
; %bb.425:
	s_movk_i32 s10, 0x80
	v_cmp_ne_u16_sdwa s[10:11], v19, s10 src0_sel:BYTE_0 src1_sel:DWORD
	v_bfrev_b32_e32 v24, 1
	s_and_saveexec_b64 s[24:25], s[10:11]
	s_cbranch_execz .LBB468_429
; %bb.426:
	s_movk_i32 s10, 0x7f
	v_and_b32_e32 v29, 0x7f, v19
	v_cmp_ne_u32_e64 s[10:11], s10, v29
	v_mov_b32_e32 v24, 0x7f800001
	s_and_saveexec_b64 s[26:27], s[10:11]
	s_cbranch_execz .LBB468_428
; %bb.427:
	v_and_b32_e32 v24, 7, v19
	v_ffbh_u32_e32 v24, v24
	v_min_u32_e32 v24, 32, v24
	v_subrev_u32_e32 v31, 28, v24
	v_cmp_gt_u32_e64 s[10:11], 8, v29
	v_lshrrev_b32_e32 v30, 3, v29
	v_sub_u32_e32 v24, 29, v24
	v_cndmask_b32_e64 v29, 0, v31, s[10:11]
	v_cndmask_b32_e64 v24, v30, v24, s[10:11]
	v_lshlrev_b64 v[30:31], v29, v[22:23]
	v_lshlrev_b32_e32 v23, 20, v30
	v_lshlrev_b32_e32 v29, 24, v22
	v_bfrev_b32_e32 v30, 60
	v_and_b32_e32 v23, 0x700000, v23
	v_and_b32_e32 v29, 0x80000000, v29
	v_lshl_add_u32 v24, v24, 23, v30
	v_or3_b32 v24, v29, v24, v23
.LBB468_428:
	s_or_b64 exec, exec, s[26:27]
.LBB468_429:
	s_or_b64 exec, exec, s[24:25]
	v_mov_b32_e32 v23, v24
.LBB468_430:
	s_or_b64 exec, exec, s[12:13]
	v_lshrrev_b16_e32 v24, 8, v22
	v_cmp_ne_u16_e64 s[10:11], 0, v24
	v_mov_b32_e32 v29, 0
	v_mov_b32_e32 v30, 0
	s_and_saveexec_b64 s[12:13], s[10:11]
	s_cbranch_execz .LBB468_436
; %bb.431:
	s_movk_i32 s10, 0x80
	v_cmp_ne_u16_e64 s[10:11], s10, v24
	v_bfrev_b32_e32 v30, 1
	s_and_saveexec_b64 s[24:25], s[10:11]
	s_cbranch_execz .LBB468_435
; %bb.432:
	s_movk_i32 s10, 0x7f
	v_and_b32_e32 v31, 0x7f, v24
	v_cmp_ne_u32_e64 s[10:11], s10, v31
	v_mov_b32_e32 v30, 0x7f800001
	s_and_saveexec_b64 s[26:27], s[10:11]
	s_cbranch_execz .LBB468_434
; %bb.433:
	v_and_b32_e32 v30, 7, v24
	v_ffbh_u32_e32 v32, v30
	v_min_u32_e32 v35, 32, v32
	v_subrev_u32_e32 v32, 28, v35
	v_lshlrev_b64 v[32:33], v32, v[24:25]
	v_lshrrev_b32_e32 v34, 3, v31
	v_sub_u32_e32 v24, 29, v35
	v_and_b32_e32 v32, 7, v32
	v_cmp_gt_u32_e64 s[10:11], 8, v31
	v_cndmask_b32_e64 v24, v34, v24, s[10:11]
	v_cndmask_b32_e64 v30, v30, v32, s[10:11]
	v_lshlrev_b32_e32 v22, 16, v22
	v_bfrev_b32_e32 v31, 60
	v_lshlrev_b32_e32 v30, 20, v30
	v_and_b32_e32 v22, 0x80000000, v22
	v_lshl_add_u32 v24, v24, 23, v31
	v_or3_b32 v30, v22, v24, v30
.LBB468_434:
	s_or_b64 exec, exec, s[26:27]
.LBB468_435:
	s_or_b64 exec, exec, s[24:25]
.LBB468_436:
	s_or_b64 exec, exec, s[12:13]
	s_movk_i32 s10, 0xff
	v_and_b32_sdwa v24, v19, s10 dst_sel:DWORD dst_unused:UNUSED_PAD src0_sel:WORD_1 src1_sel:DWORD
	v_lshrrev_b32_e32 v22, 16, v19
	v_cmp_ne_u16_e64 s[10:11], 0, v24
	s_and_saveexec_b64 s[12:13], s[10:11]
	s_cbranch_execz .LBB468_442
; %bb.437:
	s_movk_i32 s10, 0x80
	v_cmp_ne_u16_e64 s[10:11], s10, v24
	v_bfrev_b32_e32 v29, 1
	s_and_saveexec_b64 s[24:25], s[10:11]
	s_cbranch_execz .LBB468_441
; %bb.438:
	v_bfe_u32 v24, v19, 16, 7
	s_movk_i32 s10, 0x7f
	v_cmp_ne_u32_e64 s[10:11], s10, v24
	v_mov_b32_e32 v29, 0x7f800001
	s_and_saveexec_b64 s[26:27], s[10:11]
	s_cbranch_execz .LBB468_440
; %bb.439:
	v_and_b32_e32 v29, 7, v22
	v_ffbh_u32_e32 v32, v29
	v_min_u32_e32 v34, 32, v32
	v_subrev_u32_e32 v32, 28, v34
	v_lshlrev_b64 v[32:33], v32, v[22:23]
	v_and_b32_e32 v32, 7, v32
	v_cmp_gt_u32_e64 s[10:11], 8, v24
	v_lshrrev_b32_e32 v31, 3, v24
	v_sub_u32_e32 v22, 29, v34
	v_cndmask_b32_e64 v24, v29, v32, s[10:11]
	v_mov_b32_e32 v29, 24
	v_cndmask_b32_e64 v22, v31, v22, s[10:11]
	v_lshlrev_b32_sdwa v29, v29, v19 dst_sel:DWORD dst_unused:UNUSED_PAD src0_sel:DWORD src1_sel:WORD_1
	v_bfrev_b32_e32 v31, 60
	v_lshlrev_b32_e32 v24, 20, v24
	v_and_b32_e32 v29, 0x80000000, v29
	v_lshl_add_u32 v22, v22, 23, v31
	v_or3_b32 v29, v29, v22, v24
.LBB468_440:
	s_or_b64 exec, exec, s[26:27]
.LBB468_441:
	s_or_b64 exec, exec, s[24:25]
.LBB468_442:
	s_or_b64 exec, exec, s[12:13]
	s_mov_b32 s10, -1
	s_mov_b32 s11, 0xffffff
	v_cmp_lt_u64_e64 s[10:11], s[10:11], v[18:19]
	v_mov_b32_e32 v24, 0
	v_mov_b32_e32 v22, 0
	s_and_saveexec_b64 s[12:13], s[10:11]
	s_cbranch_execz .LBB468_448
; %bb.443:
	v_lshrrev_b32_e32 v18, 24, v19
	s_movk_i32 s10, 0x80
	v_cmp_ne_u32_e64 s[10:11], s10, v18
	v_bfrev_b32_e32 v22, 1
	s_and_saveexec_b64 s[24:25], s[10:11]
	s_cbranch_execz .LBB468_447
; %bb.444:
	v_bfe_u32 v19, v19, 24, 7
	s_movk_i32 s10, 0x7f
	v_cmp_ne_u32_e64 s[10:11], s10, v19
	v_mov_b32_e32 v22, 0x7f800001
	s_and_saveexec_b64 s[26:27], s[10:11]
	s_cbranch_execz .LBB468_446
; %bb.445:
	v_and_b32_e32 v22, 7, v18
	v_ffbh_u32_e32 v32, v22
	v_min_u32_e32 v34, 32, v32
	v_subrev_u32_e32 v32, 28, v34
	v_lshlrev_b64 v[32:33], v32, v[18:19]
	v_lshrrev_b32_e32 v31, 3, v19
	v_sub_u32_e32 v33, 29, v34
	v_and_b32_e32 v32, 7, v32
	v_cmp_gt_u32_e64 s[10:11], 8, v19
	v_cndmask_b32_e64 v19, v31, v33, s[10:11]
	v_cndmask_b32_e64 v22, v22, v32, s[10:11]
	v_lshlrev_b32_e32 v18, 24, v18
	v_bfrev_b32_e32 v31, 60
	v_lshlrev_b32_e32 v22, 20, v22
	v_and_b32_e32 v18, 0x80000000, v18
	v_lshl_add_u32 v19, v19, 23, v31
	v_or3_b32 v22, v18, v19, v22
.LBB468_446:
	s_or_b64 exec, exec, s[26:27]
.LBB468_447:
	s_or_b64 exec, exec, s[24:25]
.LBB468_448:
	s_or_b64 exec, exec, s[12:13]
	v_cvt_pkrtz_f16_f32 v18, v26, v27
	v_cvt_pkrtz_f16_f32 v19, v25, v28
	v_cvt_pkrtz_f16_f32 v26, v23, v30
	v_cvt_pkrtz_f16_f32 v27, v29, v22
	v_mfma_f32_4x4x4f16 a[0:3], v[2:3], v[18:19], a[0:3] cbsz:4 abid:8
	v_cmp_ne_u16_sdwa s[10:11], v20, v24 src0_sel:BYTE_0 src1_sel:DWORD
	v_mfma_f32_4x4x4f16 a[0:3], v[4:5], v[26:27], a[0:3] cbsz:4 abid:8
	s_and_saveexec_b64 s[12:13], s[10:11]
	s_cbranch_execz .LBB468_454
; %bb.449:
	s_movk_i32 s10, 0x80
	v_cmp_ne_u16_sdwa s[10:11], v20, s10 src0_sel:BYTE_0 src1_sel:DWORD
	v_bfrev_b32_e32 v24, 1
	s_and_saveexec_b64 s[24:25], s[10:11]
	s_cbranch_execz .LBB468_453
; %bb.450:
	s_movk_i32 s10, 0x7f
	v_and_b32_e32 v18, 0x7f, v20
	v_cmp_ne_u32_e64 s[10:11], s10, v18
	v_mov_b32_e32 v24, 0x7f800001
	s_and_saveexec_b64 s[26:27], s[10:11]
	s_cbranch_execz .LBB468_452
; %bb.451:
	v_and_b32_e32 v19, 7, v20
	v_ffbh_u32_e32 v19, v19
	v_min_u32_e32 v19, 32, v19
	v_subrev_u32_e32 v23, 28, v19
	v_cmp_gt_u32_e64 s[10:11], 8, v18
	v_lshrrev_b32_e32 v22, 3, v18
	v_sub_u32_e32 v19, 29, v19
	v_cndmask_b32_e64 v18, 0, v23, s[10:11]
	v_cndmask_b32_e64 v22, v22, v19, s[10:11]
	v_lshlrev_b64 v[18:19], v18, v[20:21]
	v_lshlrev_b32_e32 v18, 20, v18
	v_lshlrev_b32_e32 v19, 24, v20
	v_bfrev_b32_e32 v23, 60
	v_and_b32_e32 v18, 0x700000, v18
	v_and_b32_e32 v19, 0x80000000, v19
	v_lshl_add_u32 v22, v22, 23, v23
	v_or3_b32 v24, v19, v22, v18
.LBB468_452:
	s_or_b64 exec, exec, s[26:27]
.LBB468_453:
	s_or_b64 exec, exec, s[24:25]
.LBB468_454:
	s_or_b64 exec, exec, s[12:13]
	v_lshrrev_b16_e32 v18, 8, v20
	v_cmp_ne_u16_e64 s[10:11], 0, v18
	v_mov_b32_e32 v23, 0
	v_mov_b32_e32 v25, 0
	s_and_saveexec_b64 s[12:13], s[10:11]
	s_cbranch_execz .LBB468_460
; %bb.455:
	s_movk_i32 s10, 0x80
	v_cmp_ne_u16_e64 s[10:11], s10, v18
	v_bfrev_b32_e32 v25, 1
	s_and_saveexec_b64 s[24:25], s[10:11]
	s_cbranch_execz .LBB468_459
; %bb.456:
	s_movk_i32 s10, 0x7f
	v_and_b32_e32 v19, 0x7f, v18
	v_cmp_ne_u32_e64 s[10:11], s10, v19
	v_mov_b32_e32 v25, 0x7f800001
	s_and_saveexec_b64 s[26:27], s[10:11]
	s_cbranch_execz .LBB468_458
; %bb.457:
	v_and_b32_e32 v22, 7, v18
	v_ffbh_u32_e32 v26, v22
	v_min_u32_e32 v28, 32, v26
	v_subrev_u32_e32 v26, 28, v28
	v_lshlrev_b64 v[26:27], v26, v[18:19]
	v_lshrrev_b32_e32 v25, 3, v19
	v_sub_u32_e32 v18, 29, v28
	v_and_b32_e32 v26, 7, v26
	v_cmp_gt_u32_e64 s[10:11], 8, v19
	v_cndmask_b32_e64 v18, v25, v18, s[10:11]
	v_cndmask_b32_e64 v19, v22, v26, s[10:11]
	v_lshlrev_b32_e32 v22, 16, v20
	v_bfrev_b32_e32 v25, 60
	v_lshlrev_b32_e32 v19, 20, v19
	v_and_b32_e32 v22, 0x80000000, v22
	v_lshl_add_u32 v18, v18, 23, v25
	v_or3_b32 v25, v22, v18, v19
.LBB468_458:
	s_or_b64 exec, exec, s[26:27]
.LBB468_459:
	s_or_b64 exec, exec, s[24:25]
.LBB468_460:
	s_or_b64 exec, exec, s[12:13]
	s_movk_i32 s10, 0xff
	v_and_b32_sdwa v19, v20, s10 dst_sel:DWORD dst_unused:UNUSED_PAD src0_sel:WORD_1 src1_sel:DWORD
	v_lshrrev_b32_e32 v18, 16, v20
	v_cmp_ne_u16_e64 s[10:11], 0, v19
	s_and_saveexec_b64 s[12:13], s[10:11]
	s_cbranch_execz .LBB468_466
; %bb.461:
	s_movk_i32 s10, 0x80
	v_cmp_ne_u16_e64 s[10:11], s10, v19
	v_bfrev_b32_e32 v23, 1
	s_and_saveexec_b64 s[24:25], s[10:11]
	s_cbranch_execz .LBB468_465
; %bb.462:
	v_bfe_u32 v19, v20, 16, 7
	s_movk_i32 s10, 0x7f
	v_cmp_ne_u32_e64 s[10:11], s10, v19
	v_mov_b32_e32 v23, 0x7f800001
	s_and_saveexec_b64 s[26:27], s[10:11]
	s_cbranch_execz .LBB468_464
; %bb.463:
	v_and_b32_e32 v26, 7, v18
	v_ffbh_u32_e32 v22, v26
	v_min_u32_e32 v28, 32, v22
	v_subrev_u32_e32 v22, 28, v28
	v_lshlrev_b64 v[22:23], v22, v[18:19]
	v_and_b32_e32 v22, 7, v22
	v_cmp_gt_u32_e64 s[10:11], 8, v19
	v_lshrrev_b32_e32 v27, 3, v19
	v_sub_u32_e32 v18, 29, v28
	v_cndmask_b32_e64 v19, v26, v22, s[10:11]
	v_mov_b32_e32 v22, 24
	v_cndmask_b32_e64 v18, v27, v18, s[10:11]
	v_lshlrev_b32_sdwa v22, v22, v20 dst_sel:DWORD dst_unused:UNUSED_PAD src0_sel:DWORD src1_sel:WORD_1
	v_bfrev_b32_e32 v23, 60
	v_lshlrev_b32_e32 v19, 20, v19
	v_and_b32_e32 v22, 0x80000000, v22
	v_lshl_add_u32 v18, v18, 23, v23
	v_or3_b32 v23, v22, v18, v19
.LBB468_464:
	s_or_b64 exec, exec, s[26:27]
.LBB468_465:
	s_or_b64 exec, exec, s[24:25]
.LBB468_466:
	s_or_b64 exec, exec, s[12:13]
	s_mov_b32 s10, 0xffffff
	v_cmp_lt_u32_e64 s[10:11], s10, v20
	v_mov_b32_e32 v19, 0
	v_mov_b32_e32 v26, 0
	s_and_saveexec_b64 s[12:13], s[10:11]
	s_cbranch_execz .LBB468_472
; %bb.467:
	v_lshrrev_b32_e32 v18, 24, v20
	s_movk_i32 s10, 0x80
	v_cmp_ne_u32_e64 s[10:11], s10, v18
	v_bfrev_b32_e32 v26, 1
	s_and_saveexec_b64 s[24:25], s[10:11]
	s_cbranch_execz .LBB468_471
; %bb.468:
	v_bfe_u32 v22, v20, 24, 7
	s_movk_i32 s10, 0x7f
	v_cmp_ne_u32_e64 s[10:11], s10, v22
	v_mov_b32_e32 v26, 0x7f800001
	s_and_saveexec_b64 s[26:27], s[10:11]
	s_cbranch_execz .LBB468_470
; %bb.469:
	v_and_b32_e32 v28, 7, v18
	v_ffbh_u32_e32 v26, v28
	v_min_u32_e32 v30, 32, v26
	v_subrev_u32_e32 v26, 28, v30
	v_lshlrev_b64 v[26:27], v26, v[18:19]
	v_lshrrev_b32_e32 v29, 3, v22
	v_sub_u32_e32 v27, 29, v30
	v_and_b32_e32 v26, 7, v26
	v_cmp_gt_u32_e64 s[10:11], 8, v22
	v_cndmask_b32_e64 v22, v29, v27, s[10:11]
	v_cndmask_b32_e64 v26, v28, v26, s[10:11]
	v_lshlrev_b32_e32 v18, 24, v18
	v_bfrev_b32_e32 v27, 60
	v_lshlrev_b32_e32 v26, 20, v26
	v_and_b32_e32 v18, 0x80000000, v18
	v_lshl_add_u32 v22, v22, 23, v27
	v_or3_b32 v26, v18, v22, v26
.LBB468_470:
	s_or_b64 exec, exec, s[26:27]
.LBB468_471:
	s_or_b64 exec, exec, s[24:25]
.LBB468_472:
	s_or_b64 exec, exec, s[12:13]
	v_mov_b32_e32 v18, v21
	v_cmp_ne_u16_sdwa s[10:11], v21, v19 src0_sel:BYTE_0 src1_sel:DWORD
	s_and_saveexec_b64 s[12:13], s[10:11]
	s_cbranch_execz .LBB468_478
; %bb.473:
	s_movk_i32 s10, 0x80
	v_cmp_ne_u16_sdwa s[10:11], v21, s10 src0_sel:BYTE_0 src1_sel:DWORD
	v_bfrev_b32_e32 v22, 1
	s_and_saveexec_b64 s[24:25], s[10:11]
	s_cbranch_execz .LBB468_477
; %bb.474:
	s_movk_i32 s10, 0x7f
	v_and_b32_e32 v27, 0x7f, v21
	v_cmp_ne_u32_e64 s[10:11], s10, v27
	v_mov_b32_e32 v22, 0x7f800001
	s_and_saveexec_b64 s[26:27], s[10:11]
	s_cbranch_execz .LBB468_476
; %bb.475:
	v_and_b32_e32 v22, 7, v21
	v_ffbh_u32_e32 v22, v22
	v_min_u32_e32 v22, 32, v22
	v_subrev_u32_e32 v29, 28, v22
	v_cmp_gt_u32_e64 s[10:11], 8, v27
	v_lshrrev_b32_e32 v28, 3, v27
	v_sub_u32_e32 v22, 29, v22
	v_cndmask_b32_e64 v27, 0, v29, s[10:11]
	v_cndmask_b32_e64 v22, v28, v22, s[10:11]
	v_lshlrev_b64 v[28:29], v27, v[18:19]
	v_lshlrev_b32_e32 v19, 20, v28
	v_lshlrev_b32_e32 v27, 24, v18
	v_bfrev_b32_e32 v28, 60
	v_and_b32_e32 v19, 0x700000, v19
	v_and_b32_e32 v27, 0x80000000, v27
	v_lshl_add_u32 v22, v22, 23, v28
	v_or3_b32 v22, v27, v22, v19
.LBB468_476:
	s_or_b64 exec, exec, s[26:27]
.LBB468_477:
	s_or_b64 exec, exec, s[24:25]
	v_mov_b32_e32 v19, v22
.LBB468_478:
	s_or_b64 exec, exec, s[12:13]
	v_lshrrev_b16_e32 v22, 8, v18
	v_cmp_ne_u16_e64 s[10:11], 0, v22
	v_mov_b32_e32 v27, 0
	v_mov_b32_e32 v28, 0
	s_and_saveexec_b64 s[12:13], s[10:11]
	s_cbranch_execz .LBB468_484
; %bb.479:
	s_movk_i32 s10, 0x80
	v_cmp_ne_u16_e64 s[10:11], s10, v22
	v_bfrev_b32_e32 v28, 1
	s_and_saveexec_b64 s[24:25], s[10:11]
	s_cbranch_execz .LBB468_483
; %bb.480:
	s_movk_i32 s10, 0x7f
	v_and_b32_e32 v29, 0x7f, v22
	v_cmp_ne_u32_e64 s[10:11], s10, v29
	v_mov_b32_e32 v28, 0x7f800001
	s_and_saveexec_b64 s[26:27], s[10:11]
	s_cbranch_execz .LBB468_482
; %bb.481:
	v_and_b32_e32 v28, 7, v22
	v_ffbh_u32_e32 v30, v28
	v_min_u32_e32 v33, 32, v30
	v_subrev_u32_e32 v30, 28, v33
	v_lshlrev_b64 v[30:31], v30, v[22:23]
	v_lshrrev_b32_e32 v32, 3, v29
	v_sub_u32_e32 v22, 29, v33
	v_and_b32_e32 v30, 7, v30
	v_cmp_gt_u32_e64 s[10:11], 8, v29
	v_cndmask_b32_e64 v22, v32, v22, s[10:11]
	v_cndmask_b32_e64 v28, v28, v30, s[10:11]
	v_lshlrev_b32_e32 v18, 16, v18
	v_bfrev_b32_e32 v29, 60
	v_lshlrev_b32_e32 v28, 20, v28
	v_and_b32_e32 v18, 0x80000000, v18
	v_lshl_add_u32 v22, v22, 23, v29
	v_or3_b32 v28, v18, v22, v28
.LBB468_482:
	s_or_b64 exec, exec, s[26:27]
.LBB468_483:
	s_or_b64 exec, exec, s[24:25]
.LBB468_484:
	s_or_b64 exec, exec, s[12:13]
	s_movk_i32 s10, 0xff
	v_and_b32_sdwa v22, v21, s10 dst_sel:DWORD dst_unused:UNUSED_PAD src0_sel:WORD_1 src1_sel:DWORD
	v_lshrrev_b32_e32 v18, 16, v21
	v_cmp_ne_u16_e64 s[10:11], 0, v22
	s_and_saveexec_b64 s[12:13], s[10:11]
	s_cbranch_execz .LBB468_490
; %bb.485:
	s_movk_i32 s10, 0x80
	v_cmp_ne_u16_e64 s[10:11], s10, v22
	v_bfrev_b32_e32 v27, 1
	s_and_saveexec_b64 s[24:25], s[10:11]
	s_cbranch_execz .LBB468_489
; %bb.486:
	v_bfe_u32 v22, v21, 16, 7
	s_movk_i32 s10, 0x7f
	v_cmp_ne_u32_e64 s[10:11], s10, v22
	v_mov_b32_e32 v27, 0x7f800001
	s_and_saveexec_b64 s[26:27], s[10:11]
	s_cbranch_execz .LBB468_488
; %bb.487:
	v_and_b32_e32 v27, 7, v18
	v_ffbh_u32_e32 v30, v27
	v_min_u32_e32 v32, 32, v30
	v_subrev_u32_e32 v30, 28, v32
	v_lshlrev_b64 v[30:31], v30, v[18:19]
	v_and_b32_e32 v30, 7, v30
	v_cmp_gt_u32_e64 s[10:11], 8, v22
	v_lshrrev_b32_e32 v29, 3, v22
	v_sub_u32_e32 v18, 29, v32
	v_cndmask_b32_e64 v22, v27, v30, s[10:11]
	v_mov_b32_e32 v27, 24
	v_cndmask_b32_e64 v18, v29, v18, s[10:11]
	v_lshlrev_b32_sdwa v27, v27, v21 dst_sel:DWORD dst_unused:UNUSED_PAD src0_sel:DWORD src1_sel:WORD_1
	v_bfrev_b32_e32 v29, 60
	v_lshlrev_b32_e32 v22, 20, v22
	v_and_b32_e32 v27, 0x80000000, v27
	v_lshl_add_u32 v18, v18, 23, v29
	v_or3_b32 v27, v27, v18, v22
.LBB468_488:
	s_or_b64 exec, exec, s[26:27]
.LBB468_489:
	s_or_b64 exec, exec, s[24:25]
.LBB468_490:
	s_or_b64 exec, exec, s[12:13]
	s_mov_b32 s10, -1
	s_mov_b32 s11, 0xffffff
	v_cmp_lt_u64_e64 s[10:11], s[10:11], v[20:21]
	v_mov_b32_e32 v22, 0
	v_mov_b32_e32 v20, 0
	s_and_saveexec_b64 s[12:13], s[10:11]
	s_cbranch_execz .LBB468_496
; %bb.491:
	v_lshrrev_b32_e32 v18, 24, v21
	s_movk_i32 s10, 0x80
	v_cmp_ne_u32_e64 s[10:11], s10, v18
	v_bfrev_b32_e32 v20, 1
	s_and_saveexec_b64 s[24:25], s[10:11]
	s_cbranch_execz .LBB468_495
; %bb.492:
	v_bfe_u32 v21, v21, 24, 7
	s_movk_i32 s10, 0x7f
	v_cmp_ne_u32_e64 s[10:11], s10, v21
	v_mov_b32_e32 v20, 0x7f800001
	s_and_saveexec_b64 s[26:27], s[10:11]
	s_cbranch_execz .LBB468_494
; %bb.493:
	v_and_b32_e32 v20, 7, v18
	v_ffbh_u32_e32 v30, v20
	v_min_u32_e32 v32, 32, v30
	v_subrev_u32_e32 v30, 28, v32
	v_lshlrev_b64 v[30:31], v30, v[18:19]
	v_lshrrev_b32_e32 v29, 3, v21
	v_sub_u32_e32 v31, 29, v32
	v_and_b32_e32 v30, 7, v30
	v_cmp_gt_u32_e64 s[10:11], 8, v21
	v_cndmask_b32_e64 v21, v29, v31, s[10:11]
	v_cndmask_b32_e64 v20, v20, v30, s[10:11]
	v_lshlrev_b32_e32 v18, 24, v18
	v_bfrev_b32_e32 v29, 60
	v_lshlrev_b32_e32 v20, 20, v20
	v_and_b32_e32 v18, 0x80000000, v18
	v_lshl_add_u32 v21, v21, 23, v29
	v_or3_b32 v20, v18, v21, v20
.LBB468_494:
	s_or_b64 exec, exec, s[26:27]
.LBB468_495:
	s_or_b64 exec, exec, s[24:25]
.LBB468_496:
	s_or_b64 exec, exec, s[12:13]
	v_cvt_pkrtz_f16_f32 v24, v24, v25
	v_cvt_pkrtz_f16_f32 v25, v23, v26
	;; [unrolled: 1-line block ×4, first 2 shown]
	v_mfma_f32_4x4x4f16 a[0:3], v[2:3], v[24:25], a[0:3] cbsz:4 abid:9
	v_cmp_ne_u16_sdwa s[10:11], v14, v22 src0_sel:BYTE_0 src1_sel:DWORD
	v_mfma_f32_4x4x4f16 a[0:3], v[4:5], v[18:19], a[0:3] cbsz:4 abid:9
	s_and_saveexec_b64 s[12:13], s[10:11]
	s_cbranch_execz .LBB468_502
; %bb.497:
	s_movk_i32 s10, 0x80
	v_cmp_ne_u16_sdwa s[10:11], v14, s10 src0_sel:BYTE_0 src1_sel:DWORD
	v_bfrev_b32_e32 v22, 1
	s_and_saveexec_b64 s[24:25], s[10:11]
	s_cbranch_execz .LBB468_501
; %bb.498:
	s_movk_i32 s10, 0x7f
	v_and_b32_e32 v18, 0x7f, v14
	v_cmp_ne_u32_e64 s[10:11], s10, v18
	v_mov_b32_e32 v22, 0x7f800001
	s_and_saveexec_b64 s[26:27], s[10:11]
	s_cbranch_execz .LBB468_500
; %bb.499:
	v_and_b32_e32 v19, 7, v14
	v_ffbh_u32_e32 v19, v19
	v_min_u32_e32 v19, 32, v19
	v_subrev_u32_e32 v21, 28, v19
	v_cmp_gt_u32_e64 s[10:11], 8, v18
	v_lshrrev_b32_e32 v20, 3, v18
	v_sub_u32_e32 v19, 29, v19
	v_cndmask_b32_e64 v18, 0, v21, s[10:11]
	v_cndmask_b32_e64 v20, v20, v19, s[10:11]
	v_lshlrev_b64 v[18:19], v18, v[14:15]
	v_lshlrev_b32_e32 v18, 20, v18
	v_lshlrev_b32_e32 v19, 24, v14
	v_bfrev_b32_e32 v21, 60
	v_and_b32_e32 v18, 0x700000, v18
	v_and_b32_e32 v19, 0x80000000, v19
	v_lshl_add_u32 v20, v20, 23, v21
	v_or3_b32 v22, v19, v20, v18
.LBB468_500:
	s_or_b64 exec, exec, s[26:27]
.LBB468_501:
	s_or_b64 exec, exec, s[24:25]
.LBB468_502:
	s_or_b64 exec, exec, s[12:13]
	v_lshrrev_b16_e32 v18, 8, v14
	v_cmp_ne_u16_e64 s[10:11], 0, v18
	v_mov_b32_e32 v21, 0
	v_mov_b32_e32 v23, 0
	s_and_saveexec_b64 s[12:13], s[10:11]
	s_cbranch_execz .LBB468_508
; %bb.503:
	s_movk_i32 s10, 0x80
	v_cmp_ne_u16_e64 s[10:11], s10, v18
	v_bfrev_b32_e32 v23, 1
	s_and_saveexec_b64 s[24:25], s[10:11]
	s_cbranch_execz .LBB468_507
; %bb.504:
	s_movk_i32 s10, 0x7f
	v_and_b32_e32 v19, 0x7f, v18
	v_cmp_ne_u32_e64 s[10:11], s10, v19
	v_mov_b32_e32 v23, 0x7f800001
	s_and_saveexec_b64 s[26:27], s[10:11]
	s_cbranch_execz .LBB468_506
; %bb.505:
	v_and_b32_e32 v20, 7, v18
	v_ffbh_u32_e32 v24, v20
	v_min_u32_e32 v26, 32, v24
	v_subrev_u32_e32 v24, 28, v26
	v_lshlrev_b64 v[24:25], v24, v[18:19]
	v_lshrrev_b32_e32 v23, 3, v19
	v_sub_u32_e32 v18, 29, v26
	v_and_b32_e32 v24, 7, v24
	v_cmp_gt_u32_e64 s[10:11], 8, v19
	v_cndmask_b32_e64 v18, v23, v18, s[10:11]
	v_cndmask_b32_e64 v19, v20, v24, s[10:11]
	v_lshlrev_b32_e32 v20, 16, v14
	v_bfrev_b32_e32 v23, 60
	v_lshlrev_b32_e32 v19, 20, v19
	v_and_b32_e32 v20, 0x80000000, v20
	v_lshl_add_u32 v18, v18, 23, v23
	v_or3_b32 v23, v20, v18, v19
.LBB468_506:
	s_or_b64 exec, exec, s[26:27]
.LBB468_507:
	s_or_b64 exec, exec, s[24:25]
.LBB468_508:
	s_or_b64 exec, exec, s[12:13]
	s_movk_i32 s10, 0xff
	v_and_b32_sdwa v19, v14, s10 dst_sel:DWORD dst_unused:UNUSED_PAD src0_sel:WORD_1 src1_sel:DWORD
	v_lshrrev_b32_e32 v18, 16, v14
	v_cmp_ne_u16_e64 s[10:11], 0, v19
	s_and_saveexec_b64 s[12:13], s[10:11]
	s_cbranch_execz .LBB468_514
; %bb.509:
	s_movk_i32 s10, 0x80
	v_cmp_ne_u16_e64 s[10:11], s10, v19
	v_bfrev_b32_e32 v21, 1
	s_and_saveexec_b64 s[24:25], s[10:11]
	s_cbranch_execz .LBB468_513
; %bb.510:
	v_bfe_u32 v19, v14, 16, 7
	s_movk_i32 s10, 0x7f
	v_cmp_ne_u32_e64 s[10:11], s10, v19
	v_mov_b32_e32 v21, 0x7f800001
	s_and_saveexec_b64 s[26:27], s[10:11]
	s_cbranch_execz .LBB468_512
; %bb.511:
	v_and_b32_e32 v24, 7, v18
	v_ffbh_u32_e32 v20, v24
	v_min_u32_e32 v26, 32, v20
	v_subrev_u32_e32 v20, 28, v26
	v_lshlrev_b64 v[20:21], v20, v[18:19]
	v_and_b32_e32 v20, 7, v20
	v_cmp_gt_u32_e64 s[10:11], 8, v19
	v_lshrrev_b32_e32 v25, 3, v19
	v_sub_u32_e32 v18, 29, v26
	v_cndmask_b32_e64 v19, v24, v20, s[10:11]
	v_mov_b32_e32 v20, 24
	v_cndmask_b32_e64 v18, v25, v18, s[10:11]
	v_lshlrev_b32_sdwa v20, v20, v14 dst_sel:DWORD dst_unused:UNUSED_PAD src0_sel:DWORD src1_sel:WORD_1
	v_bfrev_b32_e32 v21, 60
	v_lshlrev_b32_e32 v19, 20, v19
	v_and_b32_e32 v20, 0x80000000, v20
	v_lshl_add_u32 v18, v18, 23, v21
	v_or3_b32 v21, v20, v18, v19
.LBB468_512:
	s_or_b64 exec, exec, s[26:27]
.LBB468_513:
	s_or_b64 exec, exec, s[24:25]
.LBB468_514:
	s_or_b64 exec, exec, s[12:13]
	s_mov_b32 s10, 0xffffff
	v_cmp_lt_u32_e64 s[10:11], s10, v14
	v_mov_b32_e32 v19, 0
	v_mov_b32_e32 v24, 0
	s_and_saveexec_b64 s[12:13], s[10:11]
	s_cbranch_execz .LBB468_520
; %bb.515:
	v_lshrrev_b32_e32 v18, 24, v14
	s_movk_i32 s10, 0x80
	v_cmp_ne_u32_e64 s[10:11], s10, v18
	v_bfrev_b32_e32 v24, 1
	s_and_saveexec_b64 s[24:25], s[10:11]
	s_cbranch_execz .LBB468_519
; %bb.516:
	v_bfe_u32 v20, v14, 24, 7
	s_movk_i32 s10, 0x7f
	v_cmp_ne_u32_e64 s[10:11], s10, v20
	v_mov_b32_e32 v24, 0x7f800001
	s_and_saveexec_b64 s[26:27], s[10:11]
	s_cbranch_execz .LBB468_518
; %bb.517:
	v_and_b32_e32 v26, 7, v18
	v_ffbh_u32_e32 v24, v26
	v_min_u32_e32 v28, 32, v24
	v_subrev_u32_e32 v24, 28, v28
	v_lshlrev_b64 v[24:25], v24, v[18:19]
	v_lshrrev_b32_e32 v27, 3, v20
	v_sub_u32_e32 v25, 29, v28
	v_and_b32_e32 v24, 7, v24
	v_cmp_gt_u32_e64 s[10:11], 8, v20
	v_cndmask_b32_e64 v20, v27, v25, s[10:11]
	v_cndmask_b32_e64 v24, v26, v24, s[10:11]
	v_lshlrev_b32_e32 v18, 24, v18
	v_bfrev_b32_e32 v25, 60
	v_lshlrev_b32_e32 v24, 20, v24
	v_and_b32_e32 v18, 0x80000000, v18
	v_lshl_add_u32 v20, v20, 23, v25
	v_or3_b32 v24, v18, v20, v24
.LBB468_518:
	s_or_b64 exec, exec, s[26:27]
.LBB468_519:
	s_or_b64 exec, exec, s[24:25]
.LBB468_520:
	s_or_b64 exec, exec, s[12:13]
	v_mov_b32_e32 v18, v15
	v_cmp_ne_u16_sdwa s[10:11], v15, v19 src0_sel:BYTE_0 src1_sel:DWORD
	s_and_saveexec_b64 s[12:13], s[10:11]
	s_cbranch_execz .LBB468_526
; %bb.521:
	s_movk_i32 s10, 0x80
	v_cmp_ne_u16_sdwa s[10:11], v15, s10 src0_sel:BYTE_0 src1_sel:DWORD
	v_bfrev_b32_e32 v20, 1
	s_and_saveexec_b64 s[24:25], s[10:11]
	s_cbranch_execz .LBB468_525
; %bb.522:
	s_movk_i32 s10, 0x7f
	v_and_b32_e32 v25, 0x7f, v15
	v_cmp_ne_u32_e64 s[10:11], s10, v25
	v_mov_b32_e32 v20, 0x7f800001
	s_and_saveexec_b64 s[26:27], s[10:11]
	s_cbranch_execz .LBB468_524
; %bb.523:
	v_and_b32_e32 v20, 7, v15
	v_ffbh_u32_e32 v20, v20
	v_min_u32_e32 v20, 32, v20
	v_subrev_u32_e32 v27, 28, v20
	v_cmp_gt_u32_e64 s[10:11], 8, v25
	v_lshrrev_b32_e32 v26, 3, v25
	v_sub_u32_e32 v20, 29, v20
	v_cndmask_b32_e64 v25, 0, v27, s[10:11]
	v_cndmask_b32_e64 v20, v26, v20, s[10:11]
	v_lshlrev_b64 v[26:27], v25, v[18:19]
	v_lshlrev_b32_e32 v19, 20, v26
	v_lshlrev_b32_e32 v25, 24, v18
	v_bfrev_b32_e32 v26, 60
	v_and_b32_e32 v19, 0x700000, v19
	v_and_b32_e32 v25, 0x80000000, v25
	v_lshl_add_u32 v20, v20, 23, v26
	v_or3_b32 v20, v25, v20, v19
.LBB468_524:
	s_or_b64 exec, exec, s[26:27]
.LBB468_525:
	s_or_b64 exec, exec, s[24:25]
	v_mov_b32_e32 v19, v20
.LBB468_526:
	s_or_b64 exec, exec, s[12:13]
	v_lshrrev_b16_e32 v20, 8, v18
	v_cmp_ne_u16_e64 s[10:11], 0, v20
	v_mov_b32_e32 v25, 0
	v_mov_b32_e32 v26, 0
	s_and_saveexec_b64 s[12:13], s[10:11]
	s_cbranch_execz .LBB468_532
; %bb.527:
	s_movk_i32 s10, 0x80
	v_cmp_ne_u16_e64 s[10:11], s10, v20
	v_bfrev_b32_e32 v26, 1
	s_and_saveexec_b64 s[24:25], s[10:11]
	s_cbranch_execz .LBB468_531
; %bb.528:
	s_movk_i32 s10, 0x7f
	v_and_b32_e32 v27, 0x7f, v20
	v_cmp_ne_u32_e64 s[10:11], s10, v27
	v_mov_b32_e32 v26, 0x7f800001
	s_and_saveexec_b64 s[26:27], s[10:11]
	s_cbranch_execz .LBB468_530
; %bb.529:
	v_and_b32_e32 v26, 7, v20
	v_ffbh_u32_e32 v28, v26
	v_min_u32_e32 v31, 32, v28
	v_subrev_u32_e32 v28, 28, v31
	v_lshlrev_b64 v[28:29], v28, v[20:21]
	v_lshrrev_b32_e32 v30, 3, v27
	v_sub_u32_e32 v20, 29, v31
	v_and_b32_e32 v28, 7, v28
	v_cmp_gt_u32_e64 s[10:11], 8, v27
	v_cndmask_b32_e64 v20, v30, v20, s[10:11]
	v_cndmask_b32_e64 v26, v26, v28, s[10:11]
	v_lshlrev_b32_e32 v18, 16, v18
	v_bfrev_b32_e32 v27, 60
	v_lshlrev_b32_e32 v26, 20, v26
	v_and_b32_e32 v18, 0x80000000, v18
	v_lshl_add_u32 v20, v20, 23, v27
	v_or3_b32 v26, v18, v20, v26
.LBB468_530:
	s_or_b64 exec, exec, s[26:27]
.LBB468_531:
	s_or_b64 exec, exec, s[24:25]
.LBB468_532:
	s_or_b64 exec, exec, s[12:13]
	s_movk_i32 s10, 0xff
	v_and_b32_sdwa v20, v15, s10 dst_sel:DWORD dst_unused:UNUSED_PAD src0_sel:WORD_1 src1_sel:DWORD
	v_lshrrev_b32_e32 v18, 16, v15
	v_cmp_ne_u16_e64 s[10:11], 0, v20
	s_and_saveexec_b64 s[12:13], s[10:11]
	s_cbranch_execz .LBB468_538
; %bb.533:
	s_movk_i32 s10, 0x80
	v_cmp_ne_u16_e64 s[10:11], s10, v20
	v_bfrev_b32_e32 v25, 1
	s_and_saveexec_b64 s[24:25], s[10:11]
	s_cbranch_execz .LBB468_537
; %bb.534:
	v_bfe_u32 v20, v15, 16, 7
	s_movk_i32 s10, 0x7f
	v_cmp_ne_u32_e64 s[10:11], s10, v20
	v_mov_b32_e32 v25, 0x7f800001
	s_and_saveexec_b64 s[26:27], s[10:11]
	s_cbranch_execz .LBB468_536
; %bb.535:
	v_and_b32_e32 v25, 7, v18
	v_ffbh_u32_e32 v28, v25
	v_min_u32_e32 v30, 32, v28
	v_subrev_u32_e32 v28, 28, v30
	v_lshlrev_b64 v[28:29], v28, v[18:19]
	v_and_b32_e32 v28, 7, v28
	v_cmp_gt_u32_e64 s[10:11], 8, v20
	v_lshrrev_b32_e32 v27, 3, v20
	v_sub_u32_e32 v18, 29, v30
	v_cndmask_b32_e64 v20, v25, v28, s[10:11]
	v_mov_b32_e32 v25, 24
	v_cndmask_b32_e64 v18, v27, v18, s[10:11]
	v_lshlrev_b32_sdwa v25, v25, v15 dst_sel:DWORD dst_unused:UNUSED_PAD src0_sel:DWORD src1_sel:WORD_1
	v_bfrev_b32_e32 v27, 60
	v_lshlrev_b32_e32 v20, 20, v20
	v_and_b32_e32 v25, 0x80000000, v25
	v_lshl_add_u32 v18, v18, 23, v27
	v_or3_b32 v25, v25, v18, v20
.LBB468_536:
	s_or_b64 exec, exec, s[26:27]
.LBB468_537:
	s_or_b64 exec, exec, s[24:25]
.LBB468_538:
	s_or_b64 exec, exec, s[12:13]
	s_mov_b32 s10, -1
	s_mov_b32 s11, 0xffffff
	v_cmp_lt_u64_e64 s[10:11], s[10:11], v[14:15]
	v_mov_b32_e32 v20, 0
	v_mov_b32_e32 v18, 0
	s_and_saveexec_b64 s[12:13], s[10:11]
	s_cbranch_execz .LBB468_544
; %bb.539:
	v_lshrrev_b32_e32 v14, 24, v15
	s_movk_i32 s10, 0x80
	v_cmp_ne_u32_e64 s[10:11], s10, v14
	v_bfrev_b32_e32 v18, 1
	s_and_saveexec_b64 s[24:25], s[10:11]
	s_cbranch_execz .LBB468_543
; %bb.540:
	v_bfe_u32 v15, v15, 24, 7
	s_movk_i32 s10, 0x7f
	v_cmp_ne_u32_e64 s[10:11], s10, v15
	v_mov_b32_e32 v18, 0x7f800001
	s_and_saveexec_b64 s[26:27], s[10:11]
	s_cbranch_execz .LBB468_542
; %bb.541:
	v_and_b32_e32 v18, 7, v14
	v_ffbh_u32_e32 v28, v18
	v_min_u32_e32 v30, 32, v28
	v_subrev_u32_e32 v28, 28, v30
	v_lshlrev_b64 v[28:29], v28, v[14:15]
	v_lshrrev_b32_e32 v27, 3, v15
	v_sub_u32_e32 v29, 29, v30
	v_and_b32_e32 v28, 7, v28
	v_cmp_gt_u32_e64 s[10:11], 8, v15
	v_cndmask_b32_e64 v15, v27, v29, s[10:11]
	v_cndmask_b32_e64 v18, v18, v28, s[10:11]
	v_lshlrev_b32_e32 v14, 24, v14
	v_bfrev_b32_e32 v27, 60
	v_lshlrev_b32_e32 v18, 20, v18
	v_and_b32_e32 v14, 0x80000000, v14
	v_lshl_add_u32 v15, v15, 23, v27
	v_or3_b32 v18, v14, v15, v18
.LBB468_542:
	s_or_b64 exec, exec, s[26:27]
.LBB468_543:
	s_or_b64 exec, exec, s[24:25]
.LBB468_544:
	s_or_b64 exec, exec, s[12:13]
	v_cvt_pkrtz_f16_f32 v14, v22, v23
	v_cvt_pkrtz_f16_f32 v15, v21, v24
	;; [unrolled: 1-line block ×4, first 2 shown]
	v_mfma_f32_4x4x4f16 a[0:3], v[2:3], v[14:15], a[0:3] cbsz:4 abid:10
	v_cmp_ne_u16_sdwa s[10:11], v16, v20 src0_sel:BYTE_0 src1_sel:DWORD
	v_mfma_f32_4x4x4f16 a[0:3], v[4:5], v[22:23], a[0:3] cbsz:4 abid:10
	s_and_saveexec_b64 s[12:13], s[10:11]
	s_cbranch_execz .LBB468_550
; %bb.545:
	s_movk_i32 s10, 0x80
	v_cmp_ne_u16_sdwa s[10:11], v16, s10 src0_sel:BYTE_0 src1_sel:DWORD
	v_bfrev_b32_e32 v20, 1
	s_and_saveexec_b64 s[24:25], s[10:11]
	s_cbranch_execz .LBB468_549
; %bb.546:
	s_movk_i32 s10, 0x7f
	v_and_b32_e32 v14, 0x7f, v16
	v_cmp_ne_u32_e64 s[10:11], s10, v14
	v_mov_b32_e32 v20, 0x7f800001
	s_and_saveexec_b64 s[26:27], s[10:11]
	s_cbranch_execz .LBB468_548
; %bb.547:
	v_and_b32_e32 v15, 7, v16
	v_ffbh_u32_e32 v15, v15
	v_min_u32_e32 v15, 32, v15
	v_subrev_u32_e32 v19, 28, v15
	v_cmp_gt_u32_e64 s[10:11], 8, v14
	v_lshrrev_b32_e32 v18, 3, v14
	v_sub_u32_e32 v15, 29, v15
	v_cndmask_b32_e64 v14, 0, v19, s[10:11]
	v_cndmask_b32_e64 v18, v18, v15, s[10:11]
	v_lshlrev_b64 v[14:15], v14, v[16:17]
	v_lshlrev_b32_e32 v14, 20, v14
	v_lshlrev_b32_e32 v15, 24, v16
	v_bfrev_b32_e32 v19, 60
	v_and_b32_e32 v14, 0x700000, v14
	v_and_b32_e32 v15, 0x80000000, v15
	v_lshl_add_u32 v18, v18, 23, v19
	v_or3_b32 v20, v15, v18, v14
.LBB468_548:
	s_or_b64 exec, exec, s[26:27]
.LBB468_549:
	s_or_b64 exec, exec, s[24:25]
.LBB468_550:
	s_or_b64 exec, exec, s[12:13]
	v_lshrrev_b16_e32 v14, 8, v16
	v_cmp_ne_u16_e64 s[10:11], 0, v14
	v_mov_b32_e32 v19, 0
	v_mov_b32_e32 v21, 0
	s_and_saveexec_b64 s[12:13], s[10:11]
	s_cbranch_execz .LBB468_556
; %bb.551:
	s_movk_i32 s10, 0x80
	v_cmp_ne_u16_e64 s[10:11], s10, v14
	v_bfrev_b32_e32 v21, 1
	s_and_saveexec_b64 s[24:25], s[10:11]
	s_cbranch_execz .LBB468_555
; %bb.552:
	s_movk_i32 s10, 0x7f
	v_and_b32_e32 v15, 0x7f, v14
	v_cmp_ne_u32_e64 s[10:11], s10, v15
	v_mov_b32_e32 v21, 0x7f800001
	s_and_saveexec_b64 s[26:27], s[10:11]
	s_cbranch_execz .LBB468_554
; %bb.553:
	v_and_b32_e32 v18, 7, v14
	v_ffbh_u32_e32 v22, v18
	v_min_u32_e32 v24, 32, v22
	v_subrev_u32_e32 v22, 28, v24
	v_lshlrev_b64 v[22:23], v22, v[14:15]
	v_lshrrev_b32_e32 v21, 3, v15
	v_sub_u32_e32 v14, 29, v24
	v_and_b32_e32 v22, 7, v22
	v_cmp_gt_u32_e64 s[10:11], 8, v15
	v_cndmask_b32_e64 v14, v21, v14, s[10:11]
	v_cndmask_b32_e64 v15, v18, v22, s[10:11]
	v_lshlrev_b32_e32 v18, 16, v16
	v_bfrev_b32_e32 v21, 60
	v_lshlrev_b32_e32 v15, 20, v15
	v_and_b32_e32 v18, 0x80000000, v18
	v_lshl_add_u32 v14, v14, 23, v21
	v_or3_b32 v21, v18, v14, v15
.LBB468_554:
	s_or_b64 exec, exec, s[26:27]
.LBB468_555:
	s_or_b64 exec, exec, s[24:25]
.LBB468_556:
	s_or_b64 exec, exec, s[12:13]
	s_movk_i32 s10, 0xff
	v_and_b32_sdwa v15, v16, s10 dst_sel:DWORD dst_unused:UNUSED_PAD src0_sel:WORD_1 src1_sel:DWORD
	v_lshrrev_b32_e32 v14, 16, v16
	v_cmp_ne_u16_e64 s[10:11], 0, v15
	s_and_saveexec_b64 s[12:13], s[10:11]
	s_cbranch_execz .LBB468_562
; %bb.557:
	s_movk_i32 s10, 0x80
	v_cmp_ne_u16_e64 s[10:11], s10, v15
	v_bfrev_b32_e32 v19, 1
	s_and_saveexec_b64 s[24:25], s[10:11]
	s_cbranch_execz .LBB468_561
; %bb.558:
	v_bfe_u32 v15, v16, 16, 7
	s_movk_i32 s10, 0x7f
	v_cmp_ne_u32_e64 s[10:11], s10, v15
	v_mov_b32_e32 v19, 0x7f800001
	s_and_saveexec_b64 s[26:27], s[10:11]
	s_cbranch_execz .LBB468_560
; %bb.559:
	v_and_b32_e32 v22, 7, v14
	v_ffbh_u32_e32 v18, v22
	v_min_u32_e32 v24, 32, v18
	v_subrev_u32_e32 v18, 28, v24
	v_lshlrev_b64 v[18:19], v18, v[14:15]
	v_and_b32_e32 v18, 7, v18
	v_cmp_gt_u32_e64 s[10:11], 8, v15
	v_lshrrev_b32_e32 v23, 3, v15
	v_sub_u32_e32 v14, 29, v24
	v_cndmask_b32_e64 v15, v22, v18, s[10:11]
	v_mov_b32_e32 v18, 24
	v_cndmask_b32_e64 v14, v23, v14, s[10:11]
	v_lshlrev_b32_sdwa v18, v18, v16 dst_sel:DWORD dst_unused:UNUSED_PAD src0_sel:DWORD src1_sel:WORD_1
	v_bfrev_b32_e32 v19, 60
	v_lshlrev_b32_e32 v15, 20, v15
	v_and_b32_e32 v18, 0x80000000, v18
	v_lshl_add_u32 v14, v14, 23, v19
	v_or3_b32 v19, v18, v14, v15
.LBB468_560:
	s_or_b64 exec, exec, s[26:27]
.LBB468_561:
	s_or_b64 exec, exec, s[24:25]
.LBB468_562:
	s_or_b64 exec, exec, s[12:13]
	s_mov_b32 s10, 0xffffff
	v_cmp_lt_u32_e64 s[10:11], s10, v16
	v_mov_b32_e32 v15, 0
	v_mov_b32_e32 v22, 0
	s_and_saveexec_b64 s[12:13], s[10:11]
	s_cbranch_execz .LBB468_568
; %bb.563:
	v_lshrrev_b32_e32 v14, 24, v16
	s_movk_i32 s10, 0x80
	v_cmp_ne_u32_e64 s[10:11], s10, v14
	v_bfrev_b32_e32 v22, 1
	s_and_saveexec_b64 s[24:25], s[10:11]
	s_cbranch_execz .LBB468_567
; %bb.564:
	v_bfe_u32 v18, v16, 24, 7
	s_movk_i32 s10, 0x7f
	v_cmp_ne_u32_e64 s[10:11], s10, v18
	v_mov_b32_e32 v22, 0x7f800001
	s_and_saveexec_b64 s[26:27], s[10:11]
	s_cbranch_execz .LBB468_566
; %bb.565:
	v_and_b32_e32 v24, 7, v14
	v_ffbh_u32_e32 v22, v24
	v_min_u32_e32 v26, 32, v22
	v_subrev_u32_e32 v22, 28, v26
	v_lshlrev_b64 v[22:23], v22, v[14:15]
	v_lshrrev_b32_e32 v25, 3, v18
	v_sub_u32_e32 v23, 29, v26
	v_and_b32_e32 v22, 7, v22
	v_cmp_gt_u32_e64 s[10:11], 8, v18
	v_cndmask_b32_e64 v18, v25, v23, s[10:11]
	v_cndmask_b32_e64 v22, v24, v22, s[10:11]
	v_lshlrev_b32_e32 v14, 24, v14
	v_bfrev_b32_e32 v23, 60
	v_lshlrev_b32_e32 v22, 20, v22
	v_and_b32_e32 v14, 0x80000000, v14
	v_lshl_add_u32 v18, v18, 23, v23
	v_or3_b32 v22, v14, v18, v22
.LBB468_566:
	s_or_b64 exec, exec, s[26:27]
.LBB468_567:
	s_or_b64 exec, exec, s[24:25]
.LBB468_568:
	s_or_b64 exec, exec, s[12:13]
	v_mov_b32_e32 v14, v17
	v_cmp_ne_u16_sdwa s[10:11], v17, v15 src0_sel:BYTE_0 src1_sel:DWORD
	s_and_saveexec_b64 s[12:13], s[10:11]
	s_cbranch_execz .LBB468_574
; %bb.569:
	s_movk_i32 s10, 0x80
	v_cmp_ne_u16_sdwa s[10:11], v17, s10 src0_sel:BYTE_0 src1_sel:DWORD
	v_bfrev_b32_e32 v18, 1
	s_and_saveexec_b64 s[24:25], s[10:11]
	s_cbranch_execz .LBB468_573
; %bb.570:
	s_movk_i32 s10, 0x7f
	v_and_b32_e32 v23, 0x7f, v17
	v_cmp_ne_u32_e64 s[10:11], s10, v23
	v_mov_b32_e32 v18, 0x7f800001
	s_and_saveexec_b64 s[26:27], s[10:11]
	s_cbranch_execz .LBB468_572
; %bb.571:
	v_and_b32_e32 v18, 7, v17
	v_ffbh_u32_e32 v18, v18
	v_min_u32_e32 v18, 32, v18
	v_subrev_u32_e32 v25, 28, v18
	v_cmp_gt_u32_e64 s[10:11], 8, v23
	v_lshrrev_b32_e32 v24, 3, v23
	v_sub_u32_e32 v18, 29, v18
	v_cndmask_b32_e64 v23, 0, v25, s[10:11]
	v_cndmask_b32_e64 v18, v24, v18, s[10:11]
	v_lshlrev_b64 v[24:25], v23, v[14:15]
	v_lshlrev_b32_e32 v15, 20, v24
	v_lshlrev_b32_e32 v23, 24, v14
	v_bfrev_b32_e32 v24, 60
	v_and_b32_e32 v15, 0x700000, v15
	v_and_b32_e32 v23, 0x80000000, v23
	v_lshl_add_u32 v18, v18, 23, v24
	v_or3_b32 v18, v23, v18, v15
.LBB468_572:
	s_or_b64 exec, exec, s[26:27]
.LBB468_573:
	s_or_b64 exec, exec, s[24:25]
	v_mov_b32_e32 v15, v18
.LBB468_574:
	s_or_b64 exec, exec, s[12:13]
	v_lshrrev_b16_e32 v18, 8, v14
	v_cmp_ne_u16_e64 s[10:11], 0, v18
	v_mov_b32_e32 v23, 0
	v_mov_b32_e32 v24, 0
	s_and_saveexec_b64 s[12:13], s[10:11]
	s_cbranch_execz .LBB468_580
; %bb.575:
	s_movk_i32 s10, 0x80
	v_cmp_ne_u16_e64 s[10:11], s10, v18
	v_bfrev_b32_e32 v24, 1
	s_and_saveexec_b64 s[24:25], s[10:11]
	s_cbranch_execz .LBB468_579
; %bb.576:
	s_movk_i32 s10, 0x7f
	v_and_b32_e32 v25, 0x7f, v18
	v_cmp_ne_u32_e64 s[10:11], s10, v25
	v_mov_b32_e32 v24, 0x7f800001
	s_and_saveexec_b64 s[26:27], s[10:11]
	s_cbranch_execz .LBB468_578
; %bb.577:
	v_and_b32_e32 v24, 7, v18
	v_ffbh_u32_e32 v26, v24
	v_min_u32_e32 v29, 32, v26
	v_subrev_u32_e32 v26, 28, v29
	v_lshlrev_b64 v[26:27], v26, v[18:19]
	v_lshrrev_b32_e32 v28, 3, v25
	v_sub_u32_e32 v18, 29, v29
	v_and_b32_e32 v26, 7, v26
	v_cmp_gt_u32_e64 s[10:11], 8, v25
	v_cndmask_b32_e64 v18, v28, v18, s[10:11]
	v_cndmask_b32_e64 v24, v24, v26, s[10:11]
	v_lshlrev_b32_e32 v14, 16, v14
	v_bfrev_b32_e32 v25, 60
	v_lshlrev_b32_e32 v24, 20, v24
	v_and_b32_e32 v14, 0x80000000, v14
	v_lshl_add_u32 v18, v18, 23, v25
	v_or3_b32 v24, v14, v18, v24
.LBB468_578:
	s_or_b64 exec, exec, s[26:27]
.LBB468_579:
	s_or_b64 exec, exec, s[24:25]
.LBB468_580:
	s_or_b64 exec, exec, s[12:13]
	s_movk_i32 s10, 0xff
	v_and_b32_sdwa v18, v17, s10 dst_sel:DWORD dst_unused:UNUSED_PAD src0_sel:WORD_1 src1_sel:DWORD
	v_lshrrev_b32_e32 v14, 16, v17
	v_cmp_ne_u16_e64 s[10:11], 0, v18
	s_and_saveexec_b64 s[12:13], s[10:11]
	s_cbranch_execz .LBB468_586
; %bb.581:
	s_movk_i32 s10, 0x80
	v_cmp_ne_u16_e64 s[10:11], s10, v18
	v_bfrev_b32_e32 v23, 1
	s_and_saveexec_b64 s[24:25], s[10:11]
	s_cbranch_execz .LBB468_585
; %bb.582:
	v_bfe_u32 v18, v17, 16, 7
	s_movk_i32 s10, 0x7f
	v_cmp_ne_u32_e64 s[10:11], s10, v18
	v_mov_b32_e32 v23, 0x7f800001
	s_and_saveexec_b64 s[26:27], s[10:11]
	s_cbranch_execz .LBB468_584
; %bb.583:
	v_and_b32_e32 v23, 7, v14
	v_ffbh_u32_e32 v26, v23
	v_min_u32_e32 v28, 32, v26
	v_subrev_u32_e32 v26, 28, v28
	v_lshlrev_b64 v[26:27], v26, v[14:15]
	v_and_b32_e32 v26, 7, v26
	v_cmp_gt_u32_e64 s[10:11], 8, v18
	v_lshrrev_b32_e32 v25, 3, v18
	v_sub_u32_e32 v14, 29, v28
	v_cndmask_b32_e64 v18, v23, v26, s[10:11]
	v_mov_b32_e32 v23, 24
	v_cndmask_b32_e64 v14, v25, v14, s[10:11]
	v_lshlrev_b32_sdwa v23, v23, v17 dst_sel:DWORD dst_unused:UNUSED_PAD src0_sel:DWORD src1_sel:WORD_1
	v_bfrev_b32_e32 v25, 60
	v_lshlrev_b32_e32 v18, 20, v18
	v_and_b32_e32 v23, 0x80000000, v23
	v_lshl_add_u32 v14, v14, 23, v25
	v_or3_b32 v23, v23, v14, v18
.LBB468_584:
	s_or_b64 exec, exec, s[26:27]
.LBB468_585:
	s_or_b64 exec, exec, s[24:25]
.LBB468_586:
	s_or_b64 exec, exec, s[12:13]
	s_mov_b32 s10, -1
	s_mov_b32 s11, 0xffffff
	v_cmp_lt_u64_e64 s[10:11], s[10:11], v[16:17]
	v_mov_b32_e32 v18, 0
	v_mov_b32_e32 v16, 0
	s_and_saveexec_b64 s[12:13], s[10:11]
	s_cbranch_execz .LBB468_592
; %bb.587:
	v_lshrrev_b32_e32 v14, 24, v17
	s_movk_i32 s10, 0x80
	v_cmp_ne_u32_e64 s[10:11], s10, v14
	v_bfrev_b32_e32 v16, 1
	s_and_saveexec_b64 s[24:25], s[10:11]
	s_cbranch_execz .LBB468_591
; %bb.588:
	v_bfe_u32 v17, v17, 24, 7
	s_movk_i32 s10, 0x7f
	v_cmp_ne_u32_e64 s[10:11], s10, v17
	v_mov_b32_e32 v16, 0x7f800001
	s_and_saveexec_b64 s[26:27], s[10:11]
	s_cbranch_execz .LBB468_590
; %bb.589:
	v_and_b32_e32 v16, 7, v14
	v_ffbh_u32_e32 v26, v16
	v_min_u32_e32 v28, 32, v26
	v_subrev_u32_e32 v26, 28, v28
	v_lshlrev_b64 v[26:27], v26, v[14:15]
	v_lshrrev_b32_e32 v25, 3, v17
	v_sub_u32_e32 v27, 29, v28
	v_and_b32_e32 v26, 7, v26
	v_cmp_gt_u32_e64 s[10:11], 8, v17
	v_cndmask_b32_e64 v17, v25, v27, s[10:11]
	v_cndmask_b32_e64 v16, v16, v26, s[10:11]
	v_lshlrev_b32_e32 v14, 24, v14
	v_bfrev_b32_e32 v25, 60
	v_lshlrev_b32_e32 v16, 20, v16
	v_and_b32_e32 v14, 0x80000000, v14
	v_lshl_add_u32 v17, v17, 23, v25
	v_or3_b32 v16, v14, v17, v16
.LBB468_590:
	s_or_b64 exec, exec, s[26:27]
.LBB468_591:
	s_or_b64 exec, exec, s[24:25]
.LBB468_592:
	s_or_b64 exec, exec, s[12:13]
	v_cvt_pkrtz_f16_f32 v20, v20, v21
	v_cvt_pkrtz_f16_f32 v21, v19, v22
	;; [unrolled: 1-line block ×4, first 2 shown]
	v_mfma_f32_4x4x4f16 a[0:3], v[2:3], v[20:21], a[0:3] cbsz:4 abid:11
	v_cmp_ne_u16_sdwa s[10:11], v10, v18 src0_sel:BYTE_0 src1_sel:DWORD
	v_mfma_f32_4x4x4f16 a[0:3], v[4:5], v[14:15], a[0:3] cbsz:4 abid:11
	s_and_saveexec_b64 s[12:13], s[10:11]
	s_cbranch_execz .LBB468_598
; %bb.593:
	s_movk_i32 s10, 0x80
	v_cmp_ne_u16_sdwa s[10:11], v10, s10 src0_sel:BYTE_0 src1_sel:DWORD
	v_bfrev_b32_e32 v18, 1
	s_and_saveexec_b64 s[24:25], s[10:11]
	s_cbranch_execz .LBB468_597
; %bb.594:
	s_movk_i32 s10, 0x7f
	v_and_b32_e32 v14, 0x7f, v10
	v_cmp_ne_u32_e64 s[10:11], s10, v14
	v_mov_b32_e32 v18, 0x7f800001
	s_and_saveexec_b64 s[26:27], s[10:11]
	s_cbranch_execz .LBB468_596
; %bb.595:
	v_and_b32_e32 v15, 7, v10
	v_ffbh_u32_e32 v15, v15
	v_min_u32_e32 v15, 32, v15
	v_subrev_u32_e32 v17, 28, v15
	v_cmp_gt_u32_e64 s[10:11], 8, v14
	v_lshrrev_b32_e32 v16, 3, v14
	v_sub_u32_e32 v15, 29, v15
	v_cndmask_b32_e64 v14, 0, v17, s[10:11]
	v_cndmask_b32_e64 v16, v16, v15, s[10:11]
	v_lshlrev_b64 v[14:15], v14, v[10:11]
	v_lshlrev_b32_e32 v14, 20, v14
	v_lshlrev_b32_e32 v15, 24, v10
	v_bfrev_b32_e32 v17, 60
	v_and_b32_e32 v14, 0x700000, v14
	v_and_b32_e32 v15, 0x80000000, v15
	v_lshl_add_u32 v16, v16, 23, v17
	v_or3_b32 v18, v15, v16, v14
.LBB468_596:
	s_or_b64 exec, exec, s[26:27]
.LBB468_597:
	s_or_b64 exec, exec, s[24:25]
.LBB468_598:
	s_or_b64 exec, exec, s[12:13]
	v_lshrrev_b16_e32 v14, 8, v10
	v_cmp_ne_u16_e64 s[10:11], 0, v14
	v_mov_b32_e32 v17, 0
	v_mov_b32_e32 v19, 0
	s_and_saveexec_b64 s[12:13], s[10:11]
	s_cbranch_execz .LBB468_604
; %bb.599:
	s_movk_i32 s10, 0x80
	v_cmp_ne_u16_e64 s[10:11], s10, v14
	v_bfrev_b32_e32 v19, 1
	s_and_saveexec_b64 s[24:25], s[10:11]
	s_cbranch_execz .LBB468_603
; %bb.600:
	s_movk_i32 s10, 0x7f
	v_and_b32_e32 v15, 0x7f, v14
	v_cmp_ne_u32_e64 s[10:11], s10, v15
	v_mov_b32_e32 v19, 0x7f800001
	s_and_saveexec_b64 s[26:27], s[10:11]
	s_cbranch_execz .LBB468_602
; %bb.601:
	v_and_b32_e32 v16, 7, v14
	v_ffbh_u32_e32 v20, v16
	v_min_u32_e32 v22, 32, v20
	v_subrev_u32_e32 v20, 28, v22
	v_lshlrev_b64 v[20:21], v20, v[14:15]
	v_lshrrev_b32_e32 v19, 3, v15
	v_sub_u32_e32 v14, 29, v22
	v_and_b32_e32 v20, 7, v20
	v_cmp_gt_u32_e64 s[10:11], 8, v15
	v_cndmask_b32_e64 v14, v19, v14, s[10:11]
	v_cndmask_b32_e64 v15, v16, v20, s[10:11]
	v_lshlrev_b32_e32 v16, 16, v10
	v_bfrev_b32_e32 v19, 60
	v_lshlrev_b32_e32 v15, 20, v15
	v_and_b32_e32 v16, 0x80000000, v16
	v_lshl_add_u32 v14, v14, 23, v19
	v_or3_b32 v19, v16, v14, v15
.LBB468_602:
	s_or_b64 exec, exec, s[26:27]
.LBB468_603:
	s_or_b64 exec, exec, s[24:25]
.LBB468_604:
	s_or_b64 exec, exec, s[12:13]
	s_movk_i32 s10, 0xff
	v_and_b32_sdwa v15, v10, s10 dst_sel:DWORD dst_unused:UNUSED_PAD src0_sel:WORD_1 src1_sel:DWORD
	v_lshrrev_b32_e32 v14, 16, v10
	v_cmp_ne_u16_e64 s[10:11], 0, v15
	s_and_saveexec_b64 s[12:13], s[10:11]
	s_cbranch_execz .LBB468_610
; %bb.605:
	s_movk_i32 s10, 0x80
	v_cmp_ne_u16_e64 s[10:11], s10, v15
	v_bfrev_b32_e32 v17, 1
	s_and_saveexec_b64 s[24:25], s[10:11]
	s_cbranch_execz .LBB468_609
; %bb.606:
	v_bfe_u32 v15, v10, 16, 7
	s_movk_i32 s10, 0x7f
	v_cmp_ne_u32_e64 s[10:11], s10, v15
	v_mov_b32_e32 v17, 0x7f800001
	s_and_saveexec_b64 s[26:27], s[10:11]
	s_cbranch_execz .LBB468_608
; %bb.607:
	v_and_b32_e32 v20, 7, v14
	v_ffbh_u32_e32 v16, v20
	v_min_u32_e32 v22, 32, v16
	v_subrev_u32_e32 v16, 28, v22
	v_lshlrev_b64 v[16:17], v16, v[14:15]
	v_and_b32_e32 v16, 7, v16
	v_cmp_gt_u32_e64 s[10:11], 8, v15
	v_lshrrev_b32_e32 v21, 3, v15
	v_sub_u32_e32 v14, 29, v22
	v_cndmask_b32_e64 v15, v20, v16, s[10:11]
	v_mov_b32_e32 v16, 24
	v_cndmask_b32_e64 v14, v21, v14, s[10:11]
	v_lshlrev_b32_sdwa v16, v16, v10 dst_sel:DWORD dst_unused:UNUSED_PAD src0_sel:DWORD src1_sel:WORD_1
	v_bfrev_b32_e32 v17, 60
	v_lshlrev_b32_e32 v15, 20, v15
	v_and_b32_e32 v16, 0x80000000, v16
	v_lshl_add_u32 v14, v14, 23, v17
	v_or3_b32 v17, v16, v14, v15
.LBB468_608:
	s_or_b64 exec, exec, s[26:27]
.LBB468_609:
	s_or_b64 exec, exec, s[24:25]
.LBB468_610:
	s_or_b64 exec, exec, s[12:13]
	s_mov_b32 s10, 0xffffff
	v_cmp_lt_u32_e64 s[10:11], s10, v10
	v_mov_b32_e32 v15, 0
	v_mov_b32_e32 v20, 0
	s_and_saveexec_b64 s[12:13], s[10:11]
	s_cbranch_execz .LBB468_616
; %bb.611:
	v_lshrrev_b32_e32 v14, 24, v10
	s_movk_i32 s10, 0x80
	v_cmp_ne_u32_e64 s[10:11], s10, v14
	v_bfrev_b32_e32 v20, 1
	s_and_saveexec_b64 s[24:25], s[10:11]
	s_cbranch_execz .LBB468_615
; %bb.612:
	v_bfe_u32 v16, v10, 24, 7
	s_movk_i32 s10, 0x7f
	v_cmp_ne_u32_e64 s[10:11], s10, v16
	v_mov_b32_e32 v20, 0x7f800001
	s_and_saveexec_b64 s[26:27], s[10:11]
	s_cbranch_execz .LBB468_614
; %bb.613:
	v_and_b32_e32 v22, 7, v14
	v_ffbh_u32_e32 v20, v22
	v_min_u32_e32 v24, 32, v20
	v_subrev_u32_e32 v20, 28, v24
	v_lshlrev_b64 v[20:21], v20, v[14:15]
	v_lshrrev_b32_e32 v23, 3, v16
	v_sub_u32_e32 v21, 29, v24
	v_and_b32_e32 v20, 7, v20
	v_cmp_gt_u32_e64 s[10:11], 8, v16
	v_cndmask_b32_e64 v16, v23, v21, s[10:11]
	v_cndmask_b32_e64 v20, v22, v20, s[10:11]
	v_lshlrev_b32_e32 v14, 24, v14
	v_bfrev_b32_e32 v21, 60
	v_lshlrev_b32_e32 v20, 20, v20
	v_and_b32_e32 v14, 0x80000000, v14
	v_lshl_add_u32 v16, v16, 23, v21
	v_or3_b32 v20, v14, v16, v20
.LBB468_614:
	s_or_b64 exec, exec, s[26:27]
.LBB468_615:
	s_or_b64 exec, exec, s[24:25]
.LBB468_616:
	s_or_b64 exec, exec, s[12:13]
	v_mov_b32_e32 v14, v11
	v_cmp_ne_u16_sdwa s[10:11], v11, v15 src0_sel:BYTE_0 src1_sel:DWORD
	s_and_saveexec_b64 s[12:13], s[10:11]
	s_cbranch_execz .LBB468_622
; %bb.617:
	s_movk_i32 s10, 0x80
	v_cmp_ne_u16_sdwa s[10:11], v11, s10 src0_sel:BYTE_0 src1_sel:DWORD
	v_bfrev_b32_e32 v16, 1
	s_and_saveexec_b64 s[24:25], s[10:11]
	s_cbranch_execz .LBB468_621
; %bb.618:
	s_movk_i32 s10, 0x7f
	v_and_b32_e32 v21, 0x7f, v11
	v_cmp_ne_u32_e64 s[10:11], s10, v21
	v_mov_b32_e32 v16, 0x7f800001
	s_and_saveexec_b64 s[26:27], s[10:11]
	s_cbranch_execz .LBB468_620
; %bb.619:
	v_and_b32_e32 v16, 7, v11
	v_ffbh_u32_e32 v16, v16
	v_min_u32_e32 v16, 32, v16
	v_subrev_u32_e32 v23, 28, v16
	v_cmp_gt_u32_e64 s[10:11], 8, v21
	v_lshrrev_b32_e32 v22, 3, v21
	v_sub_u32_e32 v16, 29, v16
	v_cndmask_b32_e64 v21, 0, v23, s[10:11]
	v_cndmask_b32_e64 v16, v22, v16, s[10:11]
	v_lshlrev_b64 v[22:23], v21, v[14:15]
	v_lshlrev_b32_e32 v15, 20, v22
	v_lshlrev_b32_e32 v21, 24, v14
	v_bfrev_b32_e32 v22, 60
	v_and_b32_e32 v15, 0x700000, v15
	v_and_b32_e32 v21, 0x80000000, v21
	v_lshl_add_u32 v16, v16, 23, v22
	v_or3_b32 v16, v21, v16, v15
.LBB468_620:
	s_or_b64 exec, exec, s[26:27]
.LBB468_621:
	s_or_b64 exec, exec, s[24:25]
	v_mov_b32_e32 v15, v16
.LBB468_622:
	s_or_b64 exec, exec, s[12:13]
	v_lshrrev_b16_e32 v16, 8, v14
	v_cmp_ne_u16_e64 s[10:11], 0, v16
	v_mov_b32_e32 v21, 0
	v_mov_b32_e32 v22, 0
	s_and_saveexec_b64 s[12:13], s[10:11]
	s_cbranch_execz .LBB468_628
; %bb.623:
	s_movk_i32 s10, 0x80
	v_cmp_ne_u16_e64 s[10:11], s10, v16
	v_bfrev_b32_e32 v22, 1
	s_and_saveexec_b64 s[24:25], s[10:11]
	s_cbranch_execz .LBB468_627
; %bb.624:
	s_movk_i32 s10, 0x7f
	v_and_b32_e32 v23, 0x7f, v16
	v_cmp_ne_u32_e64 s[10:11], s10, v23
	v_mov_b32_e32 v22, 0x7f800001
	s_and_saveexec_b64 s[26:27], s[10:11]
	s_cbranch_execz .LBB468_626
; %bb.625:
	v_and_b32_e32 v22, 7, v16
	v_ffbh_u32_e32 v24, v22
	v_min_u32_e32 v27, 32, v24
	v_subrev_u32_e32 v24, 28, v27
	v_lshlrev_b64 v[24:25], v24, v[16:17]
	v_lshrrev_b32_e32 v26, 3, v23
	v_sub_u32_e32 v16, 29, v27
	v_and_b32_e32 v24, 7, v24
	v_cmp_gt_u32_e64 s[10:11], 8, v23
	v_cndmask_b32_e64 v16, v26, v16, s[10:11]
	v_cndmask_b32_e64 v22, v22, v24, s[10:11]
	v_lshlrev_b32_e32 v14, 16, v14
	v_bfrev_b32_e32 v23, 60
	v_lshlrev_b32_e32 v22, 20, v22
	v_and_b32_e32 v14, 0x80000000, v14
	v_lshl_add_u32 v16, v16, 23, v23
	v_or3_b32 v22, v14, v16, v22
.LBB468_626:
	s_or_b64 exec, exec, s[26:27]
.LBB468_627:
	s_or_b64 exec, exec, s[24:25]
.LBB468_628:
	s_or_b64 exec, exec, s[12:13]
	s_movk_i32 s10, 0xff
	v_and_b32_sdwa v16, v11, s10 dst_sel:DWORD dst_unused:UNUSED_PAD src0_sel:WORD_1 src1_sel:DWORD
	v_lshrrev_b32_e32 v14, 16, v11
	v_cmp_ne_u16_e64 s[10:11], 0, v16
	s_and_saveexec_b64 s[12:13], s[10:11]
	s_cbranch_execz .LBB468_634
; %bb.629:
	s_movk_i32 s10, 0x80
	v_cmp_ne_u16_e64 s[10:11], s10, v16
	v_bfrev_b32_e32 v21, 1
	s_and_saveexec_b64 s[24:25], s[10:11]
	s_cbranch_execz .LBB468_633
; %bb.630:
	v_bfe_u32 v16, v11, 16, 7
	s_movk_i32 s10, 0x7f
	v_cmp_ne_u32_e64 s[10:11], s10, v16
	v_mov_b32_e32 v21, 0x7f800001
	s_and_saveexec_b64 s[26:27], s[10:11]
	s_cbranch_execz .LBB468_632
; %bb.631:
	v_and_b32_e32 v21, 7, v14
	v_ffbh_u32_e32 v24, v21
	v_min_u32_e32 v26, 32, v24
	v_subrev_u32_e32 v24, 28, v26
	v_lshlrev_b64 v[24:25], v24, v[14:15]
	v_and_b32_e32 v24, 7, v24
	v_cmp_gt_u32_e64 s[10:11], 8, v16
	v_lshrrev_b32_e32 v23, 3, v16
	v_sub_u32_e32 v14, 29, v26
	v_cndmask_b32_e64 v16, v21, v24, s[10:11]
	v_mov_b32_e32 v21, 24
	v_cndmask_b32_e64 v14, v23, v14, s[10:11]
	v_lshlrev_b32_sdwa v21, v21, v11 dst_sel:DWORD dst_unused:UNUSED_PAD src0_sel:DWORD src1_sel:WORD_1
	v_bfrev_b32_e32 v23, 60
	v_lshlrev_b32_e32 v16, 20, v16
	v_and_b32_e32 v21, 0x80000000, v21
	v_lshl_add_u32 v14, v14, 23, v23
	v_or3_b32 v21, v21, v14, v16
.LBB468_632:
	s_or_b64 exec, exec, s[26:27]
.LBB468_633:
	s_or_b64 exec, exec, s[24:25]
.LBB468_634:
	s_or_b64 exec, exec, s[12:13]
	s_mov_b32 s10, -1
	s_mov_b32 s11, 0xffffff
	v_cmp_lt_u64_e64 s[10:11], s[10:11], v[10:11]
	v_mov_b32_e32 v16, 0
	v_mov_b32_e32 v14, 0
	s_and_saveexec_b64 s[12:13], s[10:11]
	s_cbranch_execz .LBB468_640
; %bb.635:
	v_lshrrev_b32_e32 v10, 24, v11
	s_movk_i32 s10, 0x80
	v_cmp_ne_u32_e64 s[10:11], s10, v10
	v_bfrev_b32_e32 v14, 1
	s_and_saveexec_b64 s[24:25], s[10:11]
	s_cbranch_execz .LBB468_639
; %bb.636:
	v_bfe_u32 v11, v11, 24, 7
	s_movk_i32 s10, 0x7f
	v_cmp_ne_u32_e64 s[10:11], s10, v11
	v_mov_b32_e32 v14, 0x7f800001
	s_and_saveexec_b64 s[26:27], s[10:11]
	s_cbranch_execz .LBB468_638
; %bb.637:
	v_and_b32_e32 v14, 7, v10
	v_ffbh_u32_e32 v24, v14
	v_min_u32_e32 v26, 32, v24
	v_subrev_u32_e32 v24, 28, v26
	v_lshlrev_b64 v[24:25], v24, v[10:11]
	v_lshrrev_b32_e32 v23, 3, v11
	v_sub_u32_e32 v25, 29, v26
	v_and_b32_e32 v24, 7, v24
	v_cmp_gt_u32_e64 s[10:11], 8, v11
	v_cndmask_b32_e64 v11, v23, v25, s[10:11]
	v_cndmask_b32_e64 v14, v14, v24, s[10:11]
	v_lshlrev_b32_e32 v10, 24, v10
	v_bfrev_b32_e32 v23, 60
	v_lshlrev_b32_e32 v14, 20, v14
	v_and_b32_e32 v10, 0x80000000, v10
	v_lshl_add_u32 v11, v11, 23, v23
	v_or3_b32 v14, v10, v11, v14
.LBB468_638:
	s_or_b64 exec, exec, s[26:27]
.LBB468_639:
	s_or_b64 exec, exec, s[24:25]
.LBB468_640:
	s_or_b64 exec, exec, s[12:13]
	v_cvt_pkrtz_f16_f32 v10, v18, v19
	v_cvt_pkrtz_f16_f32 v11, v17, v20
	;; [unrolled: 1-line block ×4, first 2 shown]
	v_mfma_f32_4x4x4f16 a[0:3], v[2:3], v[10:11], a[0:3] cbsz:4 abid:12
	v_cmp_ne_u16_sdwa s[10:11], v12, v16 src0_sel:BYTE_0 src1_sel:DWORD
	v_mfma_f32_4x4x4f16 a[0:3], v[4:5], v[18:19], a[0:3] cbsz:4 abid:12
	s_and_saveexec_b64 s[12:13], s[10:11]
	s_cbranch_execz .LBB468_646
; %bb.641:
	s_movk_i32 s10, 0x80
	v_cmp_ne_u16_sdwa s[10:11], v12, s10 src0_sel:BYTE_0 src1_sel:DWORD
	v_bfrev_b32_e32 v16, 1
	s_and_saveexec_b64 s[24:25], s[10:11]
	s_cbranch_execz .LBB468_645
; %bb.642:
	s_movk_i32 s10, 0x7f
	v_and_b32_e32 v10, 0x7f, v12
	v_cmp_ne_u32_e64 s[10:11], s10, v10
	v_mov_b32_e32 v16, 0x7f800001
	s_and_saveexec_b64 s[26:27], s[10:11]
	s_cbranch_execz .LBB468_644
; %bb.643:
	v_and_b32_e32 v11, 7, v12
	v_ffbh_u32_e32 v11, v11
	v_min_u32_e32 v11, 32, v11
	v_subrev_u32_e32 v15, 28, v11
	v_cmp_gt_u32_e64 s[10:11], 8, v10
	v_lshrrev_b32_e32 v14, 3, v10
	v_sub_u32_e32 v11, 29, v11
	v_cndmask_b32_e64 v10, 0, v15, s[10:11]
	v_cndmask_b32_e64 v14, v14, v11, s[10:11]
	v_lshlrev_b64 v[10:11], v10, v[12:13]
	v_lshlrev_b32_e32 v10, 20, v10
	v_lshlrev_b32_e32 v11, 24, v12
	v_bfrev_b32_e32 v15, 60
	v_and_b32_e32 v10, 0x700000, v10
	v_and_b32_e32 v11, 0x80000000, v11
	v_lshl_add_u32 v14, v14, 23, v15
	v_or3_b32 v16, v11, v14, v10
.LBB468_644:
	s_or_b64 exec, exec, s[26:27]
.LBB468_645:
	s_or_b64 exec, exec, s[24:25]
.LBB468_646:
	s_or_b64 exec, exec, s[12:13]
	v_lshrrev_b16_e32 v10, 8, v12
	v_cmp_ne_u16_e64 s[10:11], 0, v10
	v_mov_b32_e32 v15, 0
	v_mov_b32_e32 v17, 0
	s_and_saveexec_b64 s[12:13], s[10:11]
	s_cbranch_execz .LBB468_652
; %bb.647:
	s_movk_i32 s10, 0x80
	v_cmp_ne_u16_e64 s[10:11], s10, v10
	v_bfrev_b32_e32 v17, 1
	s_and_saveexec_b64 s[24:25], s[10:11]
	s_cbranch_execz .LBB468_651
; %bb.648:
	s_movk_i32 s10, 0x7f
	v_and_b32_e32 v11, 0x7f, v10
	v_cmp_ne_u32_e64 s[10:11], s10, v11
	v_mov_b32_e32 v17, 0x7f800001
	s_and_saveexec_b64 s[26:27], s[10:11]
	s_cbranch_execz .LBB468_650
; %bb.649:
	v_and_b32_e32 v14, 7, v10
	v_ffbh_u32_e32 v18, v14
	v_min_u32_e32 v20, 32, v18
	v_subrev_u32_e32 v18, 28, v20
	v_lshlrev_b64 v[18:19], v18, v[10:11]
	v_lshrrev_b32_e32 v17, 3, v11
	v_sub_u32_e32 v10, 29, v20
	v_and_b32_e32 v18, 7, v18
	v_cmp_gt_u32_e64 s[10:11], 8, v11
	v_cndmask_b32_e64 v10, v17, v10, s[10:11]
	v_cndmask_b32_e64 v11, v14, v18, s[10:11]
	v_lshlrev_b32_e32 v14, 16, v12
	v_bfrev_b32_e32 v17, 60
	v_lshlrev_b32_e32 v11, 20, v11
	v_and_b32_e32 v14, 0x80000000, v14
	v_lshl_add_u32 v10, v10, 23, v17
	v_or3_b32 v17, v14, v10, v11
.LBB468_650:
	s_or_b64 exec, exec, s[26:27]
.LBB468_651:
	s_or_b64 exec, exec, s[24:25]
.LBB468_652:
	s_or_b64 exec, exec, s[12:13]
	s_movk_i32 s10, 0xff
	v_and_b32_sdwa v11, v12, s10 dst_sel:DWORD dst_unused:UNUSED_PAD src0_sel:WORD_1 src1_sel:DWORD
	v_lshrrev_b32_e32 v10, 16, v12
	v_cmp_ne_u16_e64 s[10:11], 0, v11
	s_and_saveexec_b64 s[12:13], s[10:11]
	s_cbranch_execz .LBB468_658
; %bb.653:
	s_movk_i32 s10, 0x80
	v_cmp_ne_u16_e64 s[10:11], s10, v11
	v_bfrev_b32_e32 v15, 1
	s_and_saveexec_b64 s[24:25], s[10:11]
	s_cbranch_execz .LBB468_657
; %bb.654:
	v_bfe_u32 v11, v12, 16, 7
	s_movk_i32 s10, 0x7f
	v_cmp_ne_u32_e64 s[10:11], s10, v11
	v_mov_b32_e32 v15, 0x7f800001
	s_and_saveexec_b64 s[26:27], s[10:11]
	s_cbranch_execz .LBB468_656
; %bb.655:
	v_and_b32_e32 v18, 7, v10
	v_ffbh_u32_e32 v14, v18
	v_min_u32_e32 v20, 32, v14
	v_subrev_u32_e32 v14, 28, v20
	v_lshlrev_b64 v[14:15], v14, v[10:11]
	v_and_b32_e32 v14, 7, v14
	v_cmp_gt_u32_e64 s[10:11], 8, v11
	v_lshrrev_b32_e32 v19, 3, v11
	v_sub_u32_e32 v10, 29, v20
	v_cndmask_b32_e64 v11, v18, v14, s[10:11]
	v_mov_b32_e32 v14, 24
	v_cndmask_b32_e64 v10, v19, v10, s[10:11]
	v_lshlrev_b32_sdwa v14, v14, v12 dst_sel:DWORD dst_unused:UNUSED_PAD src0_sel:DWORD src1_sel:WORD_1
	v_bfrev_b32_e32 v15, 60
	v_lshlrev_b32_e32 v11, 20, v11
	v_and_b32_e32 v14, 0x80000000, v14
	v_lshl_add_u32 v10, v10, 23, v15
	v_or3_b32 v15, v14, v10, v11
.LBB468_656:
	s_or_b64 exec, exec, s[26:27]
.LBB468_657:
	s_or_b64 exec, exec, s[24:25]
.LBB468_658:
	s_or_b64 exec, exec, s[12:13]
	s_mov_b32 s10, 0xffffff
	v_cmp_lt_u32_e64 s[10:11], s10, v12
	v_mov_b32_e32 v11, 0
	v_mov_b32_e32 v18, 0
	s_and_saveexec_b64 s[12:13], s[10:11]
	s_cbranch_execz .LBB468_664
; %bb.659:
	v_lshrrev_b32_e32 v10, 24, v12
	s_movk_i32 s10, 0x80
	v_cmp_ne_u32_e64 s[10:11], s10, v10
	v_bfrev_b32_e32 v18, 1
	s_and_saveexec_b64 s[24:25], s[10:11]
	s_cbranch_execz .LBB468_663
; %bb.660:
	v_bfe_u32 v14, v12, 24, 7
	s_movk_i32 s10, 0x7f
	v_cmp_ne_u32_e64 s[10:11], s10, v14
	v_mov_b32_e32 v18, 0x7f800001
	s_and_saveexec_b64 s[26:27], s[10:11]
	s_cbranch_execz .LBB468_662
; %bb.661:
	v_and_b32_e32 v20, 7, v10
	v_ffbh_u32_e32 v18, v20
	v_min_u32_e32 v22, 32, v18
	v_subrev_u32_e32 v18, 28, v22
	v_lshlrev_b64 v[18:19], v18, v[10:11]
	v_lshrrev_b32_e32 v21, 3, v14
	v_sub_u32_e32 v19, 29, v22
	v_and_b32_e32 v18, 7, v18
	v_cmp_gt_u32_e64 s[10:11], 8, v14
	v_cndmask_b32_e64 v14, v21, v19, s[10:11]
	v_cndmask_b32_e64 v18, v20, v18, s[10:11]
	v_lshlrev_b32_e32 v10, 24, v10
	v_bfrev_b32_e32 v19, 60
	v_lshlrev_b32_e32 v18, 20, v18
	v_and_b32_e32 v10, 0x80000000, v10
	v_lshl_add_u32 v14, v14, 23, v19
	v_or3_b32 v18, v10, v14, v18
.LBB468_662:
	s_or_b64 exec, exec, s[26:27]
.LBB468_663:
	s_or_b64 exec, exec, s[24:25]
.LBB468_664:
	s_or_b64 exec, exec, s[12:13]
	v_mov_b32_e32 v10, v13
	v_cmp_ne_u16_sdwa s[10:11], v13, v11 src0_sel:BYTE_0 src1_sel:DWORD
	s_and_saveexec_b64 s[12:13], s[10:11]
	s_cbranch_execz .LBB468_670
; %bb.665:
	s_movk_i32 s10, 0x80
	v_cmp_ne_u16_sdwa s[10:11], v13, s10 src0_sel:BYTE_0 src1_sel:DWORD
	v_bfrev_b32_e32 v14, 1
	s_and_saveexec_b64 s[24:25], s[10:11]
	s_cbranch_execz .LBB468_669
; %bb.666:
	s_movk_i32 s10, 0x7f
	v_and_b32_e32 v19, 0x7f, v13
	v_cmp_ne_u32_e64 s[10:11], s10, v19
	v_mov_b32_e32 v14, 0x7f800001
	s_and_saveexec_b64 s[26:27], s[10:11]
	s_cbranch_execz .LBB468_668
; %bb.667:
	v_and_b32_e32 v14, 7, v13
	v_ffbh_u32_e32 v14, v14
	v_min_u32_e32 v14, 32, v14
	v_subrev_u32_e32 v21, 28, v14
	v_cmp_gt_u32_e64 s[10:11], 8, v19
	v_lshrrev_b32_e32 v20, 3, v19
	v_sub_u32_e32 v14, 29, v14
	v_cndmask_b32_e64 v19, 0, v21, s[10:11]
	v_cndmask_b32_e64 v14, v20, v14, s[10:11]
	v_lshlrev_b64 v[20:21], v19, v[10:11]
	v_lshlrev_b32_e32 v11, 20, v20
	v_lshlrev_b32_e32 v19, 24, v10
	v_bfrev_b32_e32 v20, 60
	v_and_b32_e32 v11, 0x700000, v11
	v_and_b32_e32 v19, 0x80000000, v19
	v_lshl_add_u32 v14, v14, 23, v20
	v_or3_b32 v14, v19, v14, v11
.LBB468_668:
	s_or_b64 exec, exec, s[26:27]
.LBB468_669:
	s_or_b64 exec, exec, s[24:25]
	v_mov_b32_e32 v11, v14
.LBB468_670:
	s_or_b64 exec, exec, s[12:13]
	v_lshrrev_b16_e32 v14, 8, v10
	v_cmp_ne_u16_e64 s[10:11], 0, v14
	v_mov_b32_e32 v19, 0
	v_mov_b32_e32 v20, 0
	s_and_saveexec_b64 s[12:13], s[10:11]
	s_cbranch_execz .LBB468_676
; %bb.671:
	s_movk_i32 s10, 0x80
	v_cmp_ne_u16_e64 s[10:11], s10, v14
	v_bfrev_b32_e32 v20, 1
	s_and_saveexec_b64 s[24:25], s[10:11]
	s_cbranch_execz .LBB468_675
; %bb.672:
	s_movk_i32 s10, 0x7f
	v_and_b32_e32 v21, 0x7f, v14
	v_cmp_ne_u32_e64 s[10:11], s10, v21
	v_mov_b32_e32 v20, 0x7f800001
	s_and_saveexec_b64 s[26:27], s[10:11]
	s_cbranch_execz .LBB468_674
; %bb.673:
	v_and_b32_e32 v20, 7, v14
	v_ffbh_u32_e32 v22, v20
	v_min_u32_e32 v25, 32, v22
	v_subrev_u32_e32 v22, 28, v25
	v_lshlrev_b64 v[22:23], v22, v[14:15]
	v_lshrrev_b32_e32 v24, 3, v21
	v_sub_u32_e32 v14, 29, v25
	v_and_b32_e32 v22, 7, v22
	v_cmp_gt_u32_e64 s[10:11], 8, v21
	v_cndmask_b32_e64 v14, v24, v14, s[10:11]
	v_cndmask_b32_e64 v20, v20, v22, s[10:11]
	v_lshlrev_b32_e32 v10, 16, v10
	v_bfrev_b32_e32 v21, 60
	v_lshlrev_b32_e32 v20, 20, v20
	v_and_b32_e32 v10, 0x80000000, v10
	v_lshl_add_u32 v14, v14, 23, v21
	v_or3_b32 v20, v10, v14, v20
.LBB468_674:
	s_or_b64 exec, exec, s[26:27]
.LBB468_675:
	s_or_b64 exec, exec, s[24:25]
.LBB468_676:
	s_or_b64 exec, exec, s[12:13]
	s_movk_i32 s10, 0xff
	v_and_b32_sdwa v14, v13, s10 dst_sel:DWORD dst_unused:UNUSED_PAD src0_sel:WORD_1 src1_sel:DWORD
	v_lshrrev_b32_e32 v10, 16, v13
	v_cmp_ne_u16_e64 s[10:11], 0, v14
	s_and_saveexec_b64 s[12:13], s[10:11]
	s_cbranch_execz .LBB468_682
; %bb.677:
	s_movk_i32 s10, 0x80
	v_cmp_ne_u16_e64 s[10:11], s10, v14
	v_bfrev_b32_e32 v19, 1
	s_and_saveexec_b64 s[24:25], s[10:11]
	s_cbranch_execz .LBB468_681
; %bb.678:
	v_bfe_u32 v14, v13, 16, 7
	s_movk_i32 s10, 0x7f
	v_cmp_ne_u32_e64 s[10:11], s10, v14
	v_mov_b32_e32 v19, 0x7f800001
	s_and_saveexec_b64 s[26:27], s[10:11]
	s_cbranch_execz .LBB468_680
; %bb.679:
	v_and_b32_e32 v19, 7, v10
	v_ffbh_u32_e32 v22, v19
	v_min_u32_e32 v24, 32, v22
	v_subrev_u32_e32 v22, 28, v24
	v_lshlrev_b64 v[22:23], v22, v[10:11]
	v_and_b32_e32 v22, 7, v22
	v_cmp_gt_u32_e64 s[10:11], 8, v14
	v_lshrrev_b32_e32 v21, 3, v14
	v_sub_u32_e32 v10, 29, v24
	v_cndmask_b32_e64 v14, v19, v22, s[10:11]
	v_mov_b32_e32 v19, 24
	v_cndmask_b32_e64 v10, v21, v10, s[10:11]
	v_lshlrev_b32_sdwa v19, v19, v13 dst_sel:DWORD dst_unused:UNUSED_PAD src0_sel:DWORD src1_sel:WORD_1
	v_bfrev_b32_e32 v21, 60
	v_lshlrev_b32_e32 v14, 20, v14
	v_and_b32_e32 v19, 0x80000000, v19
	v_lshl_add_u32 v10, v10, 23, v21
	v_or3_b32 v19, v19, v10, v14
.LBB468_680:
	s_or_b64 exec, exec, s[26:27]
.LBB468_681:
	s_or_b64 exec, exec, s[24:25]
.LBB468_682:
	s_or_b64 exec, exec, s[12:13]
	s_mov_b32 s10, -1
	s_mov_b32 s11, 0xffffff
	v_cmp_lt_u64_e64 s[10:11], s[10:11], v[12:13]
	v_mov_b32_e32 v14, 0
	v_mov_b32_e32 v12, 0
	s_and_saveexec_b64 s[12:13], s[10:11]
	s_cbranch_execz .LBB468_688
; %bb.683:
	v_lshrrev_b32_e32 v10, 24, v13
	s_movk_i32 s10, 0x80
	v_cmp_ne_u32_e64 s[10:11], s10, v10
	v_bfrev_b32_e32 v12, 1
	s_and_saveexec_b64 s[24:25], s[10:11]
	s_cbranch_execz .LBB468_687
; %bb.684:
	v_bfe_u32 v13, v13, 24, 7
	s_movk_i32 s10, 0x7f
	v_cmp_ne_u32_e64 s[10:11], s10, v13
	v_mov_b32_e32 v12, 0x7f800001
	s_and_saveexec_b64 s[26:27], s[10:11]
	s_cbranch_execz .LBB468_686
; %bb.685:
	v_and_b32_e32 v12, 7, v10
	v_ffbh_u32_e32 v22, v12
	v_min_u32_e32 v24, 32, v22
	v_subrev_u32_e32 v22, 28, v24
	v_lshlrev_b64 v[22:23], v22, v[10:11]
	v_lshrrev_b32_e32 v21, 3, v13
	v_sub_u32_e32 v23, 29, v24
	v_and_b32_e32 v22, 7, v22
	v_cmp_gt_u32_e64 s[10:11], 8, v13
	v_cndmask_b32_e64 v13, v21, v23, s[10:11]
	v_cndmask_b32_e64 v12, v12, v22, s[10:11]
	v_lshlrev_b32_e32 v10, 24, v10
	v_bfrev_b32_e32 v21, 60
	v_lshlrev_b32_e32 v12, 20, v12
	v_and_b32_e32 v10, 0x80000000, v10
	v_lshl_add_u32 v13, v13, 23, v21
	v_or3_b32 v12, v10, v13, v12
.LBB468_686:
	s_or_b64 exec, exec, s[26:27]
.LBB468_687:
	s_or_b64 exec, exec, s[24:25]
.LBB468_688:
	s_or_b64 exec, exec, s[12:13]
	v_cvt_pkrtz_f16_f32 v16, v16, v17
	v_cvt_pkrtz_f16_f32 v17, v15, v18
	;; [unrolled: 1-line block ×4, first 2 shown]
	v_mfma_f32_4x4x4f16 a[0:3], v[2:3], v[16:17], a[0:3] cbsz:4 abid:13
	v_cmp_ne_u16_sdwa s[10:11], v6, v14 src0_sel:BYTE_0 src1_sel:DWORD
	v_mfma_f32_4x4x4f16 a[0:3], v[4:5], v[10:11], a[0:3] cbsz:4 abid:13
	s_and_saveexec_b64 s[12:13], s[10:11]
	s_cbranch_execz .LBB468_694
; %bb.689:
	s_movk_i32 s10, 0x80
	v_cmp_ne_u16_sdwa s[10:11], v6, s10 src0_sel:BYTE_0 src1_sel:DWORD
	v_bfrev_b32_e32 v14, 1
	s_and_saveexec_b64 s[24:25], s[10:11]
	s_cbranch_execz .LBB468_693
; %bb.690:
	s_movk_i32 s10, 0x7f
	v_and_b32_e32 v10, 0x7f, v6
	v_cmp_ne_u32_e64 s[10:11], s10, v10
	v_mov_b32_e32 v14, 0x7f800001
	s_and_saveexec_b64 s[26:27], s[10:11]
	s_cbranch_execz .LBB468_692
; %bb.691:
	v_and_b32_e32 v11, 7, v6
	v_ffbh_u32_e32 v11, v11
	v_min_u32_e32 v11, 32, v11
	v_subrev_u32_e32 v13, 28, v11
	v_cmp_gt_u32_e64 s[10:11], 8, v10
	v_lshrrev_b32_e32 v12, 3, v10
	v_sub_u32_e32 v11, 29, v11
	v_cndmask_b32_e64 v10, 0, v13, s[10:11]
	v_cndmask_b32_e64 v12, v12, v11, s[10:11]
	v_lshlrev_b64 v[10:11], v10, v[6:7]
	v_lshlrev_b32_e32 v10, 20, v10
	v_lshlrev_b32_e32 v11, 24, v6
	v_bfrev_b32_e32 v13, 60
	v_and_b32_e32 v10, 0x700000, v10
	v_and_b32_e32 v11, 0x80000000, v11
	v_lshl_add_u32 v12, v12, 23, v13
	v_or3_b32 v14, v11, v12, v10
.LBB468_692:
	s_or_b64 exec, exec, s[26:27]
.LBB468_693:
	s_or_b64 exec, exec, s[24:25]
.LBB468_694:
	s_or_b64 exec, exec, s[12:13]
	v_lshrrev_b16_e32 v10, 8, v6
	v_cmp_ne_u16_e64 s[10:11], 0, v10
	v_mov_b32_e32 v13, 0
	v_mov_b32_e32 v15, 0
	s_and_saveexec_b64 s[12:13], s[10:11]
	s_cbranch_execz .LBB468_700
; %bb.695:
	s_movk_i32 s10, 0x80
	v_cmp_ne_u16_e64 s[10:11], s10, v10
	v_bfrev_b32_e32 v15, 1
	s_and_saveexec_b64 s[24:25], s[10:11]
	s_cbranch_execz .LBB468_699
; %bb.696:
	s_movk_i32 s10, 0x7f
	v_and_b32_e32 v11, 0x7f, v10
	v_cmp_ne_u32_e64 s[10:11], s10, v11
	v_mov_b32_e32 v15, 0x7f800001
	s_and_saveexec_b64 s[26:27], s[10:11]
	s_cbranch_execz .LBB468_698
; %bb.697:
	v_and_b32_e32 v12, 7, v10
	v_ffbh_u32_e32 v16, v12
	v_min_u32_e32 v18, 32, v16
	v_subrev_u32_e32 v16, 28, v18
	v_lshlrev_b64 v[16:17], v16, v[10:11]
	v_lshrrev_b32_e32 v15, 3, v11
	v_sub_u32_e32 v10, 29, v18
	v_and_b32_e32 v16, 7, v16
	v_cmp_gt_u32_e64 s[10:11], 8, v11
	v_cndmask_b32_e64 v10, v15, v10, s[10:11]
	v_cndmask_b32_e64 v11, v12, v16, s[10:11]
	v_lshlrev_b32_e32 v12, 16, v6
	v_bfrev_b32_e32 v15, 60
	v_lshlrev_b32_e32 v11, 20, v11
	v_and_b32_e32 v12, 0x80000000, v12
	v_lshl_add_u32 v10, v10, 23, v15
	v_or3_b32 v15, v12, v10, v11
.LBB468_698:
	s_or_b64 exec, exec, s[26:27]
.LBB468_699:
	s_or_b64 exec, exec, s[24:25]
.LBB468_700:
	s_or_b64 exec, exec, s[12:13]
	s_movk_i32 s10, 0xff
	v_and_b32_sdwa v11, v6, s10 dst_sel:DWORD dst_unused:UNUSED_PAD src0_sel:WORD_1 src1_sel:DWORD
	v_lshrrev_b32_e32 v10, 16, v6
	v_cmp_ne_u16_e64 s[10:11], 0, v11
	s_and_saveexec_b64 s[12:13], s[10:11]
	s_cbranch_execz .LBB468_706
; %bb.701:
	s_movk_i32 s10, 0x80
	v_cmp_ne_u16_e64 s[10:11], s10, v11
	v_bfrev_b32_e32 v13, 1
	s_and_saveexec_b64 s[24:25], s[10:11]
	s_cbranch_execz .LBB468_705
; %bb.702:
	v_bfe_u32 v11, v6, 16, 7
	s_movk_i32 s10, 0x7f
	v_cmp_ne_u32_e64 s[10:11], s10, v11
	v_mov_b32_e32 v13, 0x7f800001
	s_and_saveexec_b64 s[26:27], s[10:11]
	s_cbranch_execz .LBB468_704
; %bb.703:
	v_and_b32_e32 v16, 7, v10
	v_ffbh_u32_e32 v12, v16
	v_min_u32_e32 v18, 32, v12
	v_subrev_u32_e32 v12, 28, v18
	v_lshlrev_b64 v[12:13], v12, v[10:11]
	v_and_b32_e32 v12, 7, v12
	v_cmp_gt_u32_e64 s[10:11], 8, v11
	v_lshrrev_b32_e32 v17, 3, v11
	v_sub_u32_e32 v10, 29, v18
	v_cndmask_b32_e64 v11, v16, v12, s[10:11]
	v_mov_b32_e32 v12, 24
	v_cndmask_b32_e64 v10, v17, v10, s[10:11]
	v_lshlrev_b32_sdwa v12, v12, v6 dst_sel:DWORD dst_unused:UNUSED_PAD src0_sel:DWORD src1_sel:WORD_1
	v_bfrev_b32_e32 v13, 60
	v_lshlrev_b32_e32 v11, 20, v11
	v_and_b32_e32 v12, 0x80000000, v12
	v_lshl_add_u32 v10, v10, 23, v13
	v_or3_b32 v13, v12, v10, v11
.LBB468_704:
	s_or_b64 exec, exec, s[26:27]
.LBB468_705:
	s_or_b64 exec, exec, s[24:25]
.LBB468_706:
	s_or_b64 exec, exec, s[12:13]
	s_mov_b32 s10, 0xffffff
	v_cmp_lt_u32_e64 s[10:11], s10, v6
	v_mov_b32_e32 v11, 0
	v_mov_b32_e32 v16, 0
	s_and_saveexec_b64 s[12:13], s[10:11]
	s_cbranch_execz .LBB468_712
; %bb.707:
	v_lshrrev_b32_e32 v10, 24, v6
	s_movk_i32 s10, 0x80
	v_cmp_ne_u32_e64 s[10:11], s10, v10
	v_bfrev_b32_e32 v16, 1
	s_and_saveexec_b64 s[24:25], s[10:11]
	s_cbranch_execz .LBB468_711
; %bb.708:
	v_bfe_u32 v12, v6, 24, 7
	s_movk_i32 s10, 0x7f
	v_cmp_ne_u32_e64 s[10:11], s10, v12
	v_mov_b32_e32 v16, 0x7f800001
	s_and_saveexec_b64 s[26:27], s[10:11]
	s_cbranch_execz .LBB468_710
; %bb.709:
	v_and_b32_e32 v18, 7, v10
	v_ffbh_u32_e32 v16, v18
	v_min_u32_e32 v20, 32, v16
	v_subrev_u32_e32 v16, 28, v20
	v_lshlrev_b64 v[16:17], v16, v[10:11]
	v_lshrrev_b32_e32 v19, 3, v12
	v_sub_u32_e32 v17, 29, v20
	v_and_b32_e32 v16, 7, v16
	v_cmp_gt_u32_e64 s[10:11], 8, v12
	v_cndmask_b32_e64 v12, v19, v17, s[10:11]
	v_cndmask_b32_e64 v16, v18, v16, s[10:11]
	v_lshlrev_b32_e32 v10, 24, v10
	v_bfrev_b32_e32 v17, 60
	v_lshlrev_b32_e32 v16, 20, v16
	v_and_b32_e32 v10, 0x80000000, v10
	v_lshl_add_u32 v12, v12, 23, v17
	v_or3_b32 v16, v10, v12, v16
.LBB468_710:
	s_or_b64 exec, exec, s[26:27]
.LBB468_711:
	s_or_b64 exec, exec, s[24:25]
.LBB468_712:
	s_or_b64 exec, exec, s[12:13]
	v_mov_b32_e32 v10, v7
	v_cmp_ne_u16_sdwa s[10:11], v7, v11 src0_sel:BYTE_0 src1_sel:DWORD
	s_and_saveexec_b64 s[12:13], s[10:11]
	s_cbranch_execz .LBB468_718
; %bb.713:
	s_movk_i32 s10, 0x80
	v_cmp_ne_u16_sdwa s[10:11], v7, s10 src0_sel:BYTE_0 src1_sel:DWORD
	v_bfrev_b32_e32 v12, 1
	s_and_saveexec_b64 s[24:25], s[10:11]
	s_cbranch_execz .LBB468_717
; %bb.714:
	s_movk_i32 s10, 0x7f
	v_and_b32_e32 v17, 0x7f, v7
	v_cmp_ne_u32_e64 s[10:11], s10, v17
	v_mov_b32_e32 v12, 0x7f800001
	s_and_saveexec_b64 s[26:27], s[10:11]
	s_cbranch_execz .LBB468_716
; %bb.715:
	v_and_b32_e32 v12, 7, v7
	v_ffbh_u32_e32 v12, v12
	v_min_u32_e32 v12, 32, v12
	v_subrev_u32_e32 v19, 28, v12
	v_cmp_gt_u32_e64 s[10:11], 8, v17
	v_lshrrev_b32_e32 v18, 3, v17
	v_sub_u32_e32 v12, 29, v12
	v_cndmask_b32_e64 v17, 0, v19, s[10:11]
	v_cndmask_b32_e64 v12, v18, v12, s[10:11]
	v_lshlrev_b64 v[18:19], v17, v[10:11]
	v_lshlrev_b32_e32 v11, 20, v18
	v_lshlrev_b32_e32 v17, 24, v10
	v_bfrev_b32_e32 v18, 60
	v_and_b32_e32 v11, 0x700000, v11
	v_and_b32_e32 v17, 0x80000000, v17
	v_lshl_add_u32 v12, v12, 23, v18
	v_or3_b32 v12, v17, v12, v11
.LBB468_716:
	s_or_b64 exec, exec, s[26:27]
.LBB468_717:
	s_or_b64 exec, exec, s[24:25]
	v_mov_b32_e32 v11, v12
.LBB468_718:
	s_or_b64 exec, exec, s[12:13]
	v_lshrrev_b16_e32 v12, 8, v10
	v_cmp_ne_u16_e64 s[10:11], 0, v12
	v_mov_b32_e32 v17, 0
	v_mov_b32_e32 v18, 0
	s_and_saveexec_b64 s[12:13], s[10:11]
	s_cbranch_execz .LBB468_724
; %bb.719:
	s_movk_i32 s10, 0x80
	v_cmp_ne_u16_e64 s[10:11], s10, v12
	v_bfrev_b32_e32 v18, 1
	s_and_saveexec_b64 s[24:25], s[10:11]
	s_cbranch_execz .LBB468_723
; %bb.720:
	s_movk_i32 s10, 0x7f
	v_and_b32_e32 v19, 0x7f, v12
	v_cmp_ne_u32_e64 s[10:11], s10, v19
	v_mov_b32_e32 v18, 0x7f800001
	s_and_saveexec_b64 s[26:27], s[10:11]
	s_cbranch_execz .LBB468_722
; %bb.721:
	v_and_b32_e32 v18, 7, v12
	v_ffbh_u32_e32 v20, v18
	v_min_u32_e32 v23, 32, v20
	v_subrev_u32_e32 v20, 28, v23
	v_lshlrev_b64 v[20:21], v20, v[12:13]
	v_lshrrev_b32_e32 v22, 3, v19
	v_sub_u32_e32 v12, 29, v23
	v_and_b32_e32 v20, 7, v20
	v_cmp_gt_u32_e64 s[10:11], 8, v19
	v_cndmask_b32_e64 v12, v22, v12, s[10:11]
	v_cndmask_b32_e64 v18, v18, v20, s[10:11]
	v_lshlrev_b32_e32 v10, 16, v10
	v_bfrev_b32_e32 v19, 60
	v_lshlrev_b32_e32 v18, 20, v18
	v_and_b32_e32 v10, 0x80000000, v10
	v_lshl_add_u32 v12, v12, 23, v19
	v_or3_b32 v18, v10, v12, v18
.LBB468_722:
	s_or_b64 exec, exec, s[26:27]
.LBB468_723:
	s_or_b64 exec, exec, s[24:25]
.LBB468_724:
	s_or_b64 exec, exec, s[12:13]
	s_movk_i32 s10, 0xff
	v_and_b32_sdwa v12, v7, s10 dst_sel:DWORD dst_unused:UNUSED_PAD src0_sel:WORD_1 src1_sel:DWORD
	v_lshrrev_b32_e32 v10, 16, v7
	v_cmp_ne_u16_e64 s[10:11], 0, v12
	s_and_saveexec_b64 s[12:13], s[10:11]
	s_cbranch_execz .LBB468_730
; %bb.725:
	s_movk_i32 s10, 0x80
	v_cmp_ne_u16_e64 s[10:11], s10, v12
	v_bfrev_b32_e32 v17, 1
	s_and_saveexec_b64 s[24:25], s[10:11]
	s_cbranch_execz .LBB468_729
; %bb.726:
	v_bfe_u32 v12, v7, 16, 7
	s_movk_i32 s10, 0x7f
	v_cmp_ne_u32_e64 s[10:11], s10, v12
	v_mov_b32_e32 v17, 0x7f800001
	s_and_saveexec_b64 s[26:27], s[10:11]
	s_cbranch_execz .LBB468_728
; %bb.727:
	v_and_b32_e32 v17, 7, v10
	v_ffbh_u32_e32 v20, v17
	v_min_u32_e32 v22, 32, v20
	v_subrev_u32_e32 v20, 28, v22
	v_lshlrev_b64 v[20:21], v20, v[10:11]
	v_and_b32_e32 v20, 7, v20
	v_cmp_gt_u32_e64 s[10:11], 8, v12
	v_lshrrev_b32_e32 v19, 3, v12
	v_sub_u32_e32 v10, 29, v22
	v_cndmask_b32_e64 v12, v17, v20, s[10:11]
	v_mov_b32_e32 v17, 24
	v_cndmask_b32_e64 v10, v19, v10, s[10:11]
	v_lshlrev_b32_sdwa v17, v17, v7 dst_sel:DWORD dst_unused:UNUSED_PAD src0_sel:DWORD src1_sel:WORD_1
	v_bfrev_b32_e32 v19, 60
	v_lshlrev_b32_e32 v12, 20, v12
	v_and_b32_e32 v17, 0x80000000, v17
	v_lshl_add_u32 v10, v10, 23, v19
	v_or3_b32 v17, v17, v10, v12
.LBB468_728:
	s_or_b64 exec, exec, s[26:27]
.LBB468_729:
	s_or_b64 exec, exec, s[24:25]
.LBB468_730:
	s_or_b64 exec, exec, s[12:13]
	s_mov_b32 s10, -1
	s_mov_b32 s11, 0xffffff
	v_cmp_lt_u64_e64 s[10:11], s[10:11], v[6:7]
	v_mov_b32_e32 v12, 0
	v_mov_b32_e32 v10, 0
	s_and_saveexec_b64 s[12:13], s[10:11]
	s_cbranch_execz .LBB468_736
; %bb.731:
	v_lshrrev_b32_e32 v6, 24, v7
	s_movk_i32 s10, 0x80
	v_cmp_ne_u32_e64 s[10:11], s10, v6
	v_bfrev_b32_e32 v10, 1
	s_and_saveexec_b64 s[24:25], s[10:11]
	s_cbranch_execz .LBB468_735
; %bb.732:
	v_bfe_u32 v7, v7, 24, 7
	s_movk_i32 s10, 0x7f
	v_cmp_ne_u32_e64 s[10:11], s10, v7
	v_mov_b32_e32 v10, 0x7f800001
	s_and_saveexec_b64 s[26:27], s[10:11]
	s_cbranch_execz .LBB468_734
; %bb.733:
	v_and_b32_e32 v10, 7, v6
	v_ffbh_u32_e32 v20, v10
	v_min_u32_e32 v22, 32, v20
	v_subrev_u32_e32 v20, 28, v22
	v_lshlrev_b64 v[20:21], v20, v[6:7]
	v_lshrrev_b32_e32 v19, 3, v7
	v_sub_u32_e32 v21, 29, v22
	v_and_b32_e32 v20, 7, v20
	v_cmp_gt_u32_e64 s[10:11], 8, v7
	v_cndmask_b32_e64 v7, v19, v21, s[10:11]
	v_cndmask_b32_e64 v10, v10, v20, s[10:11]
	v_lshlrev_b32_e32 v6, 24, v6
	v_bfrev_b32_e32 v19, 60
	v_lshlrev_b32_e32 v10, 20, v10
	v_and_b32_e32 v6, 0x80000000, v6
	v_lshl_add_u32 v7, v7, 23, v19
	v_or3_b32 v10, v6, v7, v10
.LBB468_734:
	s_or_b64 exec, exec, s[26:27]
.LBB468_735:
	s_or_b64 exec, exec, s[24:25]
.LBB468_736:
	s_or_b64 exec, exec, s[12:13]
	v_cvt_pkrtz_f16_f32 v6, v14, v15
	v_cvt_pkrtz_f16_f32 v7, v13, v16
	v_cvt_pkrtz_f16_f32 v14, v11, v18
	v_cvt_pkrtz_f16_f32 v15, v17, v10
	v_mfma_f32_4x4x4f16 a[0:3], v[2:3], v[6:7], a[0:3] cbsz:4 abid:14
	v_cmp_ne_u16_sdwa s[10:11], v8, v12 src0_sel:BYTE_0 src1_sel:DWORD
	v_mfma_f32_4x4x4f16 a[0:3], v[4:5], v[14:15], a[0:3] cbsz:4 abid:14
	s_and_saveexec_b64 s[12:13], s[10:11]
	s_cbranch_execz .LBB468_742
; %bb.737:
	s_movk_i32 s10, 0x80
	v_cmp_ne_u16_sdwa s[10:11], v8, s10 src0_sel:BYTE_0 src1_sel:DWORD
	v_bfrev_b32_e32 v12, 1
	s_and_saveexec_b64 s[24:25], s[10:11]
	s_cbranch_execz .LBB468_741
; %bb.738:
	s_movk_i32 s10, 0x7f
	v_and_b32_e32 v6, 0x7f, v8
	v_cmp_ne_u32_e64 s[10:11], s10, v6
	v_mov_b32_e32 v12, 0x7f800001
	s_and_saveexec_b64 s[26:27], s[10:11]
	s_cbranch_execz .LBB468_740
; %bb.739:
	v_and_b32_e32 v7, 7, v8
	v_ffbh_u32_e32 v7, v7
	v_min_u32_e32 v7, 32, v7
	v_subrev_u32_e32 v11, 28, v7
	v_cmp_gt_u32_e64 s[10:11], 8, v6
	v_lshrrev_b32_e32 v10, 3, v6
	v_sub_u32_e32 v7, 29, v7
	v_cndmask_b32_e64 v6, 0, v11, s[10:11]
	v_cndmask_b32_e64 v10, v10, v7, s[10:11]
	v_lshlrev_b64 v[6:7], v6, v[8:9]
	v_lshlrev_b32_e32 v6, 20, v6
	v_lshlrev_b32_e32 v7, 24, v8
	v_bfrev_b32_e32 v11, 60
	v_and_b32_e32 v6, 0x700000, v6
	v_and_b32_e32 v7, 0x80000000, v7
	v_lshl_add_u32 v10, v10, 23, v11
	v_or3_b32 v12, v7, v10, v6
.LBB468_740:
	s_or_b64 exec, exec, s[26:27]
.LBB468_741:
	s_or_b64 exec, exec, s[24:25]
.LBB468_742:
	s_or_b64 exec, exec, s[12:13]
	v_lshrrev_b16_e32 v6, 8, v8
	v_cmp_ne_u16_e64 s[10:11], 0, v6
	v_mov_b32_e32 v11, 0
	v_mov_b32_e32 v13, 0
	s_and_saveexec_b64 s[12:13], s[10:11]
	s_cbranch_execz .LBB468_748
; %bb.743:
	s_movk_i32 s10, 0x80
	v_cmp_ne_u16_e64 s[10:11], s10, v6
	v_bfrev_b32_e32 v13, 1
	s_and_saveexec_b64 s[24:25], s[10:11]
	s_cbranch_execz .LBB468_747
; %bb.744:
	s_movk_i32 s10, 0x7f
	v_and_b32_e32 v7, 0x7f, v6
	v_cmp_ne_u32_e64 s[10:11], s10, v7
	v_mov_b32_e32 v13, 0x7f800001
	s_and_saveexec_b64 s[26:27], s[10:11]
	s_cbranch_execz .LBB468_746
; %bb.745:
	v_and_b32_e32 v10, 7, v6
	v_ffbh_u32_e32 v14, v10
	v_min_u32_e32 v16, 32, v14
	v_subrev_u32_e32 v14, 28, v16
	v_lshlrev_b64 v[14:15], v14, v[6:7]
	v_lshrrev_b32_e32 v13, 3, v7
	v_sub_u32_e32 v6, 29, v16
	v_and_b32_e32 v14, 7, v14
	v_cmp_gt_u32_e64 s[10:11], 8, v7
	v_cndmask_b32_e64 v6, v13, v6, s[10:11]
	v_cndmask_b32_e64 v7, v10, v14, s[10:11]
	v_lshlrev_b32_e32 v10, 16, v8
	v_bfrev_b32_e32 v13, 60
	v_lshlrev_b32_e32 v7, 20, v7
	v_and_b32_e32 v10, 0x80000000, v10
	v_lshl_add_u32 v6, v6, 23, v13
	v_or3_b32 v13, v10, v6, v7
.LBB468_746:
	s_or_b64 exec, exec, s[26:27]
.LBB468_747:
	s_or_b64 exec, exec, s[24:25]
.LBB468_748:
	s_or_b64 exec, exec, s[12:13]
	s_movk_i32 s10, 0xff
	v_and_b32_sdwa v7, v8, s10 dst_sel:DWORD dst_unused:UNUSED_PAD src0_sel:WORD_1 src1_sel:DWORD
	v_lshrrev_b32_e32 v6, 16, v8
	v_cmp_ne_u16_e64 s[10:11], 0, v7
	s_and_saveexec_b64 s[12:13], s[10:11]
	s_cbranch_execz .LBB468_754
; %bb.749:
	s_movk_i32 s10, 0x80
	v_cmp_ne_u16_e64 s[10:11], s10, v7
	v_bfrev_b32_e32 v11, 1
	s_and_saveexec_b64 s[24:25], s[10:11]
	s_cbranch_execz .LBB468_753
; %bb.750:
	v_bfe_u32 v7, v8, 16, 7
	s_movk_i32 s10, 0x7f
	v_cmp_ne_u32_e64 s[10:11], s10, v7
	v_mov_b32_e32 v11, 0x7f800001
	s_and_saveexec_b64 s[26:27], s[10:11]
	s_cbranch_execz .LBB468_752
; %bb.751:
	v_and_b32_e32 v14, 7, v6
	v_ffbh_u32_e32 v10, v14
	v_min_u32_e32 v16, 32, v10
	v_subrev_u32_e32 v10, 28, v16
	v_lshlrev_b64 v[10:11], v10, v[6:7]
	v_and_b32_e32 v10, 7, v10
	v_cmp_gt_u32_e64 s[10:11], 8, v7
	v_lshrrev_b32_e32 v15, 3, v7
	v_sub_u32_e32 v6, 29, v16
	v_cndmask_b32_e64 v7, v14, v10, s[10:11]
	v_mov_b32_e32 v10, 24
	v_cndmask_b32_e64 v6, v15, v6, s[10:11]
	v_lshlrev_b32_sdwa v10, v10, v8 dst_sel:DWORD dst_unused:UNUSED_PAD src0_sel:DWORD src1_sel:WORD_1
	v_bfrev_b32_e32 v11, 60
	v_lshlrev_b32_e32 v7, 20, v7
	v_and_b32_e32 v10, 0x80000000, v10
	v_lshl_add_u32 v6, v6, 23, v11
	v_or3_b32 v11, v10, v6, v7
.LBB468_752:
	s_or_b64 exec, exec, s[26:27]
.LBB468_753:
	s_or_b64 exec, exec, s[24:25]
.LBB468_754:
	s_or_b64 exec, exec, s[12:13]
	s_mov_b32 s10, 0xffffff
	v_cmp_lt_u32_e64 s[10:11], s10, v8
	v_mov_b32_e32 v7, 0
	v_mov_b32_e32 v14, 0
	s_and_saveexec_b64 s[12:13], s[10:11]
	s_cbranch_execz .LBB468_760
; %bb.755:
	v_lshrrev_b32_e32 v6, 24, v8
	s_movk_i32 s10, 0x80
	v_cmp_ne_u32_e64 s[10:11], s10, v6
	v_bfrev_b32_e32 v14, 1
	s_and_saveexec_b64 s[24:25], s[10:11]
	s_cbranch_execz .LBB468_759
; %bb.756:
	v_bfe_u32 v10, v8, 24, 7
	s_movk_i32 s10, 0x7f
	v_cmp_ne_u32_e64 s[10:11], s10, v10
	v_mov_b32_e32 v14, 0x7f800001
	s_and_saveexec_b64 s[26:27], s[10:11]
	s_cbranch_execz .LBB468_758
; %bb.757:
	v_and_b32_e32 v16, 7, v6
	v_ffbh_u32_e32 v14, v16
	v_min_u32_e32 v18, 32, v14
	v_subrev_u32_e32 v14, 28, v18
	v_lshlrev_b64 v[14:15], v14, v[6:7]
	v_lshrrev_b32_e32 v17, 3, v10
	v_sub_u32_e32 v15, 29, v18
	v_and_b32_e32 v14, 7, v14
	v_cmp_gt_u32_e64 s[10:11], 8, v10
	v_cndmask_b32_e64 v10, v17, v15, s[10:11]
	v_cndmask_b32_e64 v14, v16, v14, s[10:11]
	v_lshlrev_b32_e32 v6, 24, v6
	v_bfrev_b32_e32 v15, 60
	v_lshlrev_b32_e32 v14, 20, v14
	v_and_b32_e32 v6, 0x80000000, v6
	v_lshl_add_u32 v10, v10, 23, v15
	v_or3_b32 v14, v6, v10, v14
.LBB468_758:
	s_or_b64 exec, exec, s[26:27]
.LBB468_759:
	s_or_b64 exec, exec, s[24:25]
.LBB468_760:
	s_or_b64 exec, exec, s[12:13]
	v_mov_b32_e32 v6, v9
	v_cmp_ne_u16_sdwa s[10:11], v9, v7 src0_sel:BYTE_0 src1_sel:DWORD
	s_and_saveexec_b64 s[12:13], s[10:11]
	s_cbranch_execz .LBB468_766
; %bb.761:
	s_movk_i32 s10, 0x80
	v_cmp_ne_u16_sdwa s[10:11], v9, s10 src0_sel:BYTE_0 src1_sel:DWORD
	v_bfrev_b32_e32 v10, 1
	s_and_saveexec_b64 s[24:25], s[10:11]
	s_cbranch_execz .LBB468_765
; %bb.762:
	s_movk_i32 s10, 0x7f
	v_and_b32_e32 v15, 0x7f, v9
	v_cmp_ne_u32_e64 s[10:11], s10, v15
	v_mov_b32_e32 v10, 0x7f800001
	s_and_saveexec_b64 s[26:27], s[10:11]
	s_cbranch_execz .LBB468_764
; %bb.763:
	v_and_b32_e32 v10, 7, v9
	v_ffbh_u32_e32 v10, v10
	v_min_u32_e32 v10, 32, v10
	v_subrev_u32_e32 v17, 28, v10
	v_cmp_gt_u32_e64 s[10:11], 8, v15
	v_lshrrev_b32_e32 v16, 3, v15
	v_sub_u32_e32 v10, 29, v10
	v_cndmask_b32_e64 v15, 0, v17, s[10:11]
	v_cndmask_b32_e64 v10, v16, v10, s[10:11]
	v_lshlrev_b64 v[16:17], v15, v[6:7]
	v_lshlrev_b32_e32 v7, 20, v16
	v_lshlrev_b32_e32 v15, 24, v6
	v_bfrev_b32_e32 v16, 60
	v_and_b32_e32 v7, 0x700000, v7
	v_and_b32_e32 v15, 0x80000000, v15
	v_lshl_add_u32 v10, v10, 23, v16
	v_or3_b32 v10, v15, v10, v7
.LBB468_764:
	s_or_b64 exec, exec, s[26:27]
.LBB468_765:
	s_or_b64 exec, exec, s[24:25]
	v_mov_b32_e32 v7, v10
.LBB468_766:
	s_or_b64 exec, exec, s[12:13]
	v_lshrrev_b16_e32 v10, 8, v6
	v_cmp_ne_u16_e64 s[10:11], 0, v10
	v_mov_b32_e32 v15, 0
	v_mov_b32_e32 v16, 0
	s_and_saveexec_b64 s[12:13], s[10:11]
	s_cbranch_execz .LBB468_772
; %bb.767:
	s_movk_i32 s10, 0x80
	v_cmp_ne_u16_e64 s[10:11], s10, v10
	v_bfrev_b32_e32 v16, 1
	s_and_saveexec_b64 s[24:25], s[10:11]
	s_cbranch_execz .LBB468_771
; %bb.768:
	s_movk_i32 s10, 0x7f
	v_and_b32_e32 v17, 0x7f, v10
	v_cmp_ne_u32_e64 s[10:11], s10, v17
	v_mov_b32_e32 v16, 0x7f800001
	s_and_saveexec_b64 s[26:27], s[10:11]
	s_cbranch_execz .LBB468_770
; %bb.769:
	v_and_b32_e32 v16, 7, v10
	v_ffbh_u32_e32 v18, v16
	v_min_u32_e32 v21, 32, v18
	v_subrev_u32_e32 v18, 28, v21
	v_lshlrev_b64 v[18:19], v18, v[10:11]
	v_lshrrev_b32_e32 v20, 3, v17
	v_sub_u32_e32 v10, 29, v21
	v_and_b32_e32 v18, 7, v18
	v_cmp_gt_u32_e64 s[10:11], 8, v17
	v_cndmask_b32_e64 v10, v20, v10, s[10:11]
	v_cndmask_b32_e64 v16, v16, v18, s[10:11]
	v_lshlrev_b32_e32 v6, 16, v6
	v_bfrev_b32_e32 v17, 60
	v_lshlrev_b32_e32 v16, 20, v16
	v_and_b32_e32 v6, 0x80000000, v6
	v_lshl_add_u32 v10, v10, 23, v17
	v_or3_b32 v16, v6, v10, v16
.LBB468_770:
	s_or_b64 exec, exec, s[26:27]
.LBB468_771:
	s_or_b64 exec, exec, s[24:25]
.LBB468_772:
	s_or_b64 exec, exec, s[12:13]
	s_movk_i32 s10, 0xff
	v_and_b32_sdwa v10, v9, s10 dst_sel:DWORD dst_unused:UNUSED_PAD src0_sel:WORD_1 src1_sel:DWORD
	v_lshrrev_b32_e32 v6, 16, v9
	v_cmp_ne_u16_e64 s[10:11], 0, v10
	s_and_saveexec_b64 s[12:13], s[10:11]
	s_cbranch_execz .LBB468_778
; %bb.773:
	s_movk_i32 s10, 0x80
	v_cmp_ne_u16_e64 s[10:11], s10, v10
	v_bfrev_b32_e32 v15, 1
	s_and_saveexec_b64 s[24:25], s[10:11]
	s_cbranch_execz .LBB468_777
; %bb.774:
	v_bfe_u32 v10, v9, 16, 7
	s_movk_i32 s10, 0x7f
	v_cmp_ne_u32_e64 s[10:11], s10, v10
	v_mov_b32_e32 v15, 0x7f800001
	s_and_saveexec_b64 s[26:27], s[10:11]
	s_cbranch_execz .LBB468_776
; %bb.775:
	v_and_b32_e32 v15, 7, v6
	v_ffbh_u32_e32 v18, v15
	v_min_u32_e32 v20, 32, v18
	v_subrev_u32_e32 v18, 28, v20
	v_lshlrev_b64 v[18:19], v18, v[6:7]
	v_and_b32_e32 v18, 7, v18
	v_cmp_gt_u32_e64 s[10:11], 8, v10
	v_lshrrev_b32_e32 v17, 3, v10
	v_sub_u32_e32 v6, 29, v20
	v_cndmask_b32_e64 v10, v15, v18, s[10:11]
	v_mov_b32_e32 v15, 24
	v_cndmask_b32_e64 v6, v17, v6, s[10:11]
	v_lshlrev_b32_sdwa v15, v15, v9 dst_sel:DWORD dst_unused:UNUSED_PAD src0_sel:DWORD src1_sel:WORD_1
	v_bfrev_b32_e32 v17, 60
	v_lshlrev_b32_e32 v10, 20, v10
	v_and_b32_e32 v15, 0x80000000, v15
	v_lshl_add_u32 v6, v6, 23, v17
	v_or3_b32 v15, v15, v6, v10
.LBB468_776:
	s_or_b64 exec, exec, s[26:27]
.LBB468_777:
	s_or_b64 exec, exec, s[24:25]
.LBB468_778:
	s_or_b64 exec, exec, s[12:13]
	s_mov_b32 s10, -1
	s_mov_b32 s11, 0xffffff
	v_cmp_lt_u64_e64 s[10:11], s[10:11], v[8:9]
	v_mov_b32_e32 v8, 0
	s_and_saveexec_b64 s[12:13], s[10:11]
	s_cbranch_execz .LBB468_784
; %bb.779:
	v_lshrrev_b32_e32 v6, 24, v9
	s_movk_i32 s10, 0x80
	v_cmp_ne_u32_e64 s[10:11], s10, v6
	v_bfrev_b32_e32 v8, 1
	s_and_saveexec_b64 s[24:25], s[10:11]
	s_cbranch_execz .LBB468_783
; %bb.780:
	v_bfe_u32 v9, v9, 24, 7
	s_movk_i32 s10, 0x7f
	v_cmp_ne_u32_e64 s[10:11], s10, v9
	v_mov_b32_e32 v8, 0x7f800001
	s_and_saveexec_b64 s[26:27], s[10:11]
	s_cbranch_execz .LBB468_782
; %bb.781:
	v_and_b32_e32 v8, 7, v6
	v_ffbh_u32_e32 v17, v8
	v_min_u32_e32 v17, 32, v17
	v_subrev_u32_e32 v18, 28, v17
	v_lshlrev_b64 v[18:19], v18, v[6:7]
	v_lshrrev_b32_e32 v10, 3, v9
	v_sub_u32_e32 v17, 29, v17
	v_and_b32_e32 v18, 7, v18
	v_cmp_gt_u32_e64 s[10:11], 8, v9
	v_cndmask_b32_e64 v9, v10, v17, s[10:11]
	v_cndmask_b32_e64 v8, v8, v18, s[10:11]
	v_lshlrev_b32_e32 v6, 24, v6
	v_bfrev_b32_e32 v10, 60
	v_lshlrev_b32_e32 v8, 20, v8
	v_and_b32_e32 v6, 0x80000000, v6
	v_lshl_add_u32 v9, v9, 23, v10
	v_or3_b32 v8, v6, v9, v8
.LBB468_782:
	s_or_b64 exec, exec, s[26:27]
.LBB468_783:
	s_or_b64 exec, exec, s[24:25]
.LBB468_784:
	s_or_b64 exec, exec, s[12:13]
	s_load_dword s4, s[4:5], 0x1c
	v_cvt_pkrtz_f16_f32 v10, v12, v13
	v_cvt_pkrtz_f16_f32 v11, v11, v14
	s_load_dword s5, s[16:17], 0x0
	v_cvt_pkrtz_f16_f32 v6, v7, v16
	v_mfma_f32_4x4x4f16 a[0:3], v[2:3], v[10:11], a[0:3] cbsz:4 abid:15
	v_cvt_pkrtz_f16_f32 v7, v15, v8
	s_waitcnt lgkmcnt(0)
	v_mov_b32_e32 v2, s4
	v_mov_b32_e32 v9, 0xff7fffff
	v_mfma_f32_4x4x4f16 a[0:3], v[4:5], v[6:7], a[0:3] cbsz:4 abid:15
	v_mul_f32_e32 v4, s5, v2
	v_cmp_eq_u32_e64 s[4:5], 0, v43
	s_nop 2
	v_accvgpr_read_b32 v7, a1
	v_accvgpr_read_b32 v6, a0
	v_pk_mul_f32 v[6:7], v[6:7], v[4:5] op_sel_hi:[1,0]
	v_accvgpr_read_b32 v3, a3
	v_accvgpr_read_b32 v2, a2
	v_pk_mul_f32 v[2:3], v[2:3], v[4:5] op_sel_hi:[1,0]
	v_cndmask_b32_e64 v4, 0, 1.0, s[4:5]
	v_cmp_eq_u32_e64 s[4:5], 1, v43
	s_nop 0
	v_mfma_f32_4x4x1f32 a[0:3], v6, v4, 0
	v_cndmask_b32_e64 v4, 0, 1.0, s[4:5]
	v_cmp_eq_u32_e64 s[4:5], 2, v43
	s_nop 0
	v_mfma_f32_4x4x1f32 a[0:3], v7, v4, a[0:3]
	v_cndmask_b32_e64 v4, 0, 1.0, s[4:5]
	s_nop 1
	v_mfma_f32_4x4x1f32 a[0:3], v2, v4, a[0:3]
	v_cndmask_b32_e64 v2, 0, 1.0, vcc
	s_nop 1
	v_mfma_f32_4x4x1f32 a[0:3], v3, v2, a[0:3]
	v_and_b32_e32 v2, -4, v44
	v_subrev_u32_e32 v3, s9, v2
	v_add_u32_e32 v4, 1, v3
	v_cvt_f32_i32_e32 v4, v4
	v_add_u32_e32 v5, 2, v3
	v_cvt_f32_i32_e32 v5, v5
	v_accvgpr_read_b32 v6, a0
	v_fma_f32 v4, v45, v4, v6
	v_accvgpr_read_b32 v6, a1
	v_fma_f32 v5, v45, v5, v6
	v_add_u32_e32 v6, 3, v3
	v_cvt_f32_i32_e32 v6, v6
	v_accvgpr_read_b32 v7, a2
	v_add_u32_e32 v3, 4, v3
	v_cmp_gt_i32_e32 vcc, s9, v2
	v_fma_f32 v7, v45, v6, v7
	v_max_f32_e32 v6, 0xff7fffff, v4
	v_cvt_f32_i32_e32 v3, v3
	v_cndmask_b32_e32 v6, v9, v6, vcc
	v_or_b32_e32 v9, 1, v2
	v_max_f32_e32 v10, v6, v5
	v_cmp_gt_i32_e64 s[4:5], s9, v9
	v_cndmask_b32_e64 v6, v6, v10, s[4:5]
	v_or_b32_e32 v2, 2, v2
	v_accvgpr_read_b32 v8, a3
	v_max_f32_e32 v9, v6, v7
	v_cmp_gt_i32_e64 s[10:11], s9, v2
	v_fmac_f32_e32 v8, v45, v3
	v_cndmask_b32_e64 v2, v6, v9, s[10:11]
	v_or_b32_e32 v6, 3, v44
	v_max_f32_e32 v9, v2, v8
	v_cmp_gt_i32_e64 s[12:13], s9, v6
	v_lshlrev_b32_e32 v3, 2, v0
	v_cndmask_b32_e64 v2, v2, v9, s[12:13]
	v_and_or_b32 v3, v3, 48, v43
	;;#ASMSTART
	v_nop
 v_nop
 v_max_f32_dpp v2, v2, v2 row_ror:4
	;;#ASMEND
	v_lshlrev_b32_e32 v9, 2, v3
	;;#ASMSTART
	v_nop
 v_nop
 v_max_f32_dpp v2, v2, v2 row_ror:8
	;;#ASMEND
	ds_bpermute_b32 v2, v9, v2
	s_waitcnt lgkmcnt(0)
	;;#ASMSTART
	v_nop
 v_nop
 v_max_f32_dpp v2, v2, v2 row_ror:4
	;;#ASMEND
	;;#ASMSTART
	v_nop
 v_nop
 v_max_f32_dpp v6, v2, v2 row_ror:8
	;;#ASMEND
	v_sub_f32_e32 v2, v4, v6
	v_mul_f32_e32 v2, 0x3fb8aa3b, v2
	v_sub_f32_e32 v3, v5, v6
	v_exp_f32_e32 v2, v2
	v_mul_f32_e32 v3, 0x3fb8aa3b, v3
	v_sub_f32_e32 v5, v7, v6
	v_exp_f32_e32 v3, v3
	;; [unrolled: 3-line block ×3, first 2 shown]
	v_mul_f32_e32 v7, 0x3fb8aa3b, v7
	v_exp_f32_e32 v7, v7
	v_cndmask_b32_e32 v2, 0, v2, vcc
	v_add_f32_e32 v4, 0, v2
	v_cndmask_b32_e64 v3, 0, v3, s[4:5]
	v_add_f32_e32 v8, v4, v3
	v_cndmask_b32_e64 v4, 0, v5, s[10:11]
	;; [unrolled: 2-line block ×3, first 2 shown]
	v_add_f32_e32 v7, v8, v5
	;;#ASMSTART
	v_nop
 v_nop
 v_add_f32_dpp v7, v7, v7 row_ror:4
	;;#ASMEND
	;;#ASMSTART
	v_nop
 v_nop
 v_add_f32_dpp v7, v7, v7 row_ror:8
	;;#ASMEND
	ds_bpermute_b32 v7, v9, v7
	s_waitcnt lgkmcnt(0)
	;;#ASMSTART
	v_nop
 v_nop
 v_add_f32_dpp v7, v7, v7 row_ror:4
	;;#ASMEND
	v_cmp_gt_u32_e32 vcc, 4, v1
	;;#ASMSTART
	v_nop
 v_nop
 v_add_f32_dpp v7, v7, v7 row_ror:8
	;;#ASMEND
	s_and_saveexec_b64 s[4:5], vcc
	s_cbranch_execz .LBB468_786
; %bb.785:
	v_mul_u32_u24_e32 v8, 20, v42
	v_lshl_add_u32 v8, v43, 2, v8
	v_add_u32_e32 v8, 0x1400, v8
	ds_write2_b32 v8, v6, v7 offset1:20
.LBB468_786:
	s_or_b64 exec, exec, s[4:5]
.LBB468_787:
	s_or_b64 exec, exec, s[34:35]
	s_waitcnt lgkmcnt(0)
	s_barrier
	s_load_dword s4, s[30:31], 0x8
	v_lshlrev_b32_e32 v7, 2, v43
	v_add_u32_e32 v7, 0x1400, v7
	ds_read2_b32 v[10:11], v7 offset1:5
	ds_read2_b32 v[12:13], v7 offset0:10 offset1:15
	s_mul_i32 s5, s8, s33
	s_waitcnt lgkmcnt(0)
	s_mul_i32 s4, s5, s4
	s_mov_b32 s5, 0xff7fffff
	v_max3_f32 v8, v10, s5, v11
	v_max3_f32 v8, v8, v12, v13
	v_sub_f32_e32 v9, v10, v8
	v_sub_f32_e32 v10, v11, v8
	ds_read2_b32 v[14:15], v7 offset0:20 offset1:25
	v_mul_f32_e32 v9, 0x3fb8aa3b, v9
	v_mul_f32_e32 v10, 0x3fb8aa3b, v10
	v_exp_f32_e32 v9, v9
	v_exp_f32_e32 v16, v10
	ds_read2_b32 v[10:11], v7 offset0:30 offset1:35
	v_sub_f32_e32 v7, v12, v8
	v_mul_f32_e32 v7, 0x3fb8aa3b, v7
	v_sub_f32_e32 v12, v13, v8
	v_exp_f32_e32 v7, v7
	v_mul_f32_e32 v12, 0x3fb8aa3b, v12
	v_exp_f32_e32 v12, v12
	s_waitcnt lgkmcnt(1)
	v_fma_f32 v9, v9, v14, 0
	v_fmac_f32_e32 v9, v16, v15
	s_waitcnt lgkmcnt(0)
	v_fmac_f32_e32 v9, v7, v10
	s_mul_i32 s4, s4, 3
	v_fmac_f32_e32 v9, v12, v11
	v_cmp_ne_u32_e32 vcc, 3, v43
	s_and_saveexec_b64 s[8:9], vcc
	s_cbranch_execz .LBB468_789
; %bb.788:
	s_mov_b32 s5, 0
	s_lshl_b64 s[10:11], s[4:5], 2
	s_add_u32 s16, s20, s10
	s_mov_b32 s15, s5
	s_addc_u32 s17, s21, s11
	s_lshl_b64 s[12:13], s[14:15], 2
	s_add_u32 s5, s16, s12
	s_addc_u32 s15, s17, s13
	v_add_u32_e32 v7, s44, v43
	s_add_u32 s10, s22, s10
	v_mul_lo_u32 v10, s33, v7
	v_mov_b32_e32 v11, 0
	s_addc_u32 s11, s23, s11
	v_lshlrev_b64 v[10:11], 2, v[10:11]
	s_add_u32 s10, s10, s12
	v_mov_b32_e32 v7, s15
	v_add_co_u32_e32 v12, vcc, s5, v10
	s_addc_u32 s11, s11, s13
	v_addc_co_u32_e32 v13, vcc, v7, v11, vcc
	v_mov_b32_e32 v7, s11
	v_add_co_u32_e32 v10, vcc, s10, v10
	v_addc_co_u32_e32 v11, vcc, v7, v11, vcc
	global_store_dword v[10:11], v8, off
	global_store_dword v[12:13], v9, off
.LBB468_789:
	s_or_b64 exec, exec, s[8:9]
	v_lshlrev_b32_e32 v7, 3, v42
	s_and_saveexec_b64 s[8:9], s[6:7]
	s_xor_b64 s[6:7], exec, s[8:9]
	s_cbranch_execz .LBB468_791
; %bb.790:
	s_mov_b32 s8, 0
	s_mov_b32 s9, s8
	v_mad_u32_u24 v4, v1, 40, v7
	v_pk_mov_b32 v[2:3], s[8:9], s[8:9] op_sel:[0,1]
	ds_write2st64_b64 v4, v[2:3], v[2:3] offset1:5
                                        ; implicit-def: $vgpr7
                                        ; implicit-def: $vgpr6
                                        ; implicit-def: $vgpr8
                                        ; implicit-def: $vgpr9
                                        ; implicit-def: $vgpr4
                                        ; implicit-def: $vgpr2
.LBB468_791:
	s_andn2_saveexec_b64 s[6:7], s[6:7]
	s_cbranch_execz .LBB468_1178
; %bb.792:
	v_add_f32_e32 v9, 0x358637bd, v9
	v_div_scale_f32 v10, s[8:9], v9, v9, 1.0
	v_rcp_f32_e32 v11, v10
	v_sub_f32_e32 v6, v6, v8
	v_mul_f32_e32 v6, 0x3fb8aa3b, v6
	v_exp_f32_e32 v6, v6
	v_fma_f32 v8, -v10, v11, 1.0
	v_fmac_f32_e32 v11, v8, v11
	v_div_scale_f32 v8, vcc, 1.0, v9, 1.0
	v_mul_f32_e32 v12, v8, v11
	v_fma_f32 v13, -v10, v12, v8
	v_fmac_f32_e32 v12, v13, v11
	v_fma_f32 v8, -v10, v12, v8
	v_div_fmas_f32 v8, v8, v11, v12
	v_div_fixup_f32 v8, v8, v9, 1.0
	v_mul_f32_e32 v6, v6, v8
	v_pk_mul_f32 v[4:5], v[4:5], v[6:7] op_sel_hi:[1,0]
	v_pk_mul_f32 v[2:3], v[2:3], v[6:7] op_sel_hi:[1,0]
	s_load_dword s8, s[18:19], 0x0
	v_cvt_f16_f32_e32 v2, v2
	v_cvt_f16_f32_e32 v3, v3
	;; [unrolled: 1-line block ×4, first 2 shown]
	v_mov_b32_e32 v11, 0
	v_add_u32_e32 v5, 64, v11
	v_pack_b32_f16 v2, v2, v3
	v_pack_b32_f16 v3, v4, v6
	s_waitcnt lgkmcnt(0)
	s_mov_b32 s9, s8
	s_mov_b32 s10, s8
	;; [unrolled: 1-line block ×4, first 2 shown]
	s_mov_b64 s[12:13], -1
	s_movk_i32 s5, 0x80
	s_movk_i32 s22, 0x7f
	s_mov_b32 s23, 0xffffff
	v_mov_b32_e32 v9, 0
	v_bfrev_b32_e32 v10, 60
	s_branch .LBB468_796
.LBB468_793:                            ;   in Loop: Header=BB468_796 Depth=1
	s_or_b64 exec, exec, s[20:21]
.LBB468_794:                            ;   in Loop: Header=BB468_796 Depth=1
	s_or_b64 exec, exec, s[18:19]
.LBB468_795:                            ;   in Loop: Header=BB468_796 Depth=1
	s_or_b64 exec, exec, s[16:17]
	v_cvt_pkrtz_f16_f32 v12, v13, v12
	v_cvt_pkrtz_f16_f32 v13, v11, v15
	;; [unrolled: 1-line block ×4, first 2 shown]
	v_mfma_f32_4x4x4f16 a[0:3], v[2:3], v[12:13], a[0:3] cbsz:4 abid:14
	s_mulk_i32 s15, 0xa00
	v_mfma_f32_4x4x4f16 a[0:3], v[2:3], v[14:15], a[0:3] cbsz:4 abid:15
	s_xor_b64 s[16:17], s[12:13], -1
	s_mov_b64 s[12:13], 0
	s_andn2_b64 vcc, exec, s[16:17]
	s_nop 1
	v_accvgpr_read_b32 v15, a1
	v_accvgpr_read_b32 v14, a0
	v_accvgpr_read_b32 v13, a3
	v_accvgpr_read_b32 v12, a2
	v_pk_mul_f32 v[14:15], v[14:15], s[8:9]
	v_pk_mul_f32 v[12:13], v[12:13], s[10:11]
	v_cvt_f16_f32_e32 v4, v14
	v_cvt_f16_f32_e32 v6, v15
	;; [unrolled: 1-line block ×4, first 2 shown]
	v_pack_b32_f16 v12, v4, v6
	v_mul_u32_u24_e32 v4, 40, v1
	v_pack_b32_f16 v13, v8, v11
	v_add3_u32 v4, s15, v4, v7
	s_mov_b32 s15, 1
	v_mov_b32_e32 v11, v5
	ds_write_b64 v4, v[12:13]
	s_cbranch_vccz .LBB468_1178
.LBB468_796:                            ; =>This Inner Loop Header: Depth=1
	buffer_load_dword v6, v11, s[0:3], 0 offen
	buffer_load_dword v4, v11, s[0:3], 0 offen offset:4
	v_mov_b32_e32 v13, 0
	s_waitcnt vmcnt(1)
	v_cmp_ne_u16_sdwa s[18:19], v6, v9 src0_sel:BYTE_0 src1_sel:DWORD
	s_and_saveexec_b64 s[16:17], s[18:19]
	s_cbranch_execz .LBB468_802
; %bb.797:                              ;   in Loop: Header=BB468_796 Depth=1
	v_cmp_ne_u16_sdwa s[20:21], v6, s5 src0_sel:BYTE_0 src1_sel:DWORD
	v_bfrev_b32_e32 v13, 1
	s_and_saveexec_b64 s[18:19], s[20:21]
	s_cbranch_execz .LBB468_801
; %bb.798:                              ;   in Loop: Header=BB468_796 Depth=1
	v_and_b32_e32 v8, 0x7f, v6
	v_cmp_ne_u32_e32 vcc, s22, v8
	v_mov_b32_e32 v13, 0x7f800001
	s_and_saveexec_b64 s[20:21], vcc
	s_cbranch_execz .LBB468_800
; %bb.799:                              ;   in Loop: Header=BB468_796 Depth=1
	v_and_b32_e32 v14, 7, v6
	v_ffbh_u32_e32 v12, v14
	v_min_u32_e32 v16, 32, v12
	v_subrev_u32_e32 v12, 28, v16
	v_lshlrev_b64 v[12:13], v12, v[6:7]
	v_lshrrev_b32_e32 v15, 3, v8
	v_sub_u32_e32 v13, 29, v16
	v_and_b32_e32 v12, 7, v12
	v_cmp_gt_u32_e32 vcc, 8, v8
	v_cndmask_b32_e32 v8, v15, v13, vcc
	v_cndmask_b32_e32 v12, v14, v12, vcc
	v_lshlrev_b32_e32 v13, 24, v6
	v_lshlrev_b32_e32 v12, 20, v12
	v_and_b32_e32 v13, 0x80000000, v13
	v_lshl_add_u32 v8, v8, 23, v10
	v_or3_b32 v13, v13, v8, v12
.LBB468_800:                            ;   in Loop: Header=BB468_796 Depth=1
	s_or_b64 exec, exec, s[20:21]
.LBB468_801:                            ;   in Loop: Header=BB468_796 Depth=1
	s_or_b64 exec, exec, s[18:19]
.LBB468_802:                            ;   in Loop: Header=BB468_796 Depth=1
	s_or_b64 exec, exec, s[16:17]
	v_lshrrev_b16_e32 v8, 8, v6
	v_cmp_ne_u16_e32 vcc, 0, v8
	v_mov_b32_e32 v14, 0
	v_mov_b32_e32 v15, 0
	s_and_saveexec_b64 s[16:17], vcc
	s_cbranch_execz .LBB468_808
; %bb.803:                              ;   in Loop: Header=BB468_796 Depth=1
	v_cmp_ne_u16_e32 vcc, s5, v8
	v_bfrev_b32_e32 v15, 1
	s_and_saveexec_b64 s[18:19], vcc
	s_cbranch_execz .LBB468_807
; %bb.804:                              ;   in Loop: Header=BB468_796 Depth=1
	v_and_b32_e32 v12, 0x7f, v8
	v_cmp_ne_u32_e32 vcc, s22, v12
	v_mov_b32_e32 v15, 0x7f800001
	s_and_saveexec_b64 s[20:21], vcc
	s_cbranch_execz .LBB468_806
; %bb.805:                              ;   in Loop: Header=BB468_796 Depth=1
	v_and_b32_e32 v15, 7, v8
	v_ffbh_u32_e32 v16, v15
	v_min_u32_e32 v19, 32, v16
	v_subrev_u32_e32 v16, 28, v19
	v_lshlrev_b64 v[16:17], v16, v[8:9]
	v_lshrrev_b32_e32 v18, 3, v12
	v_sub_u32_e32 v8, 29, v19
	v_and_b32_e32 v16, 7, v16
	v_cmp_gt_u32_e32 vcc, 8, v12
	v_cndmask_b32_e32 v8, v18, v8, vcc
	v_cndmask_b32_e32 v12, v15, v16, vcc
	v_lshlrev_b32_e32 v15, 16, v6
	v_lshlrev_b32_e32 v12, 20, v12
	v_and_b32_e32 v15, 0x80000000, v15
	v_lshl_add_u32 v8, v8, 23, v10
	v_or3_b32 v15, v15, v8, v12
.LBB468_806:                            ;   in Loop: Header=BB468_796 Depth=1
	s_or_b64 exec, exec, s[20:21]
.LBB468_807:                            ;   in Loop: Header=BB468_796 Depth=1
	s_or_b64 exec, exec, s[18:19]
.LBB468_808:                            ;   in Loop: Header=BB468_796 Depth=1
	s_or_b64 exec, exec, s[16:17]
	v_lshrrev_b32_e32 v8, 16, v6
	v_cmp_ne_u16_sdwa s[18:19], v8, v9 src0_sel:BYTE_0 src1_sel:DWORD
	s_and_saveexec_b64 s[16:17], s[18:19]
	s_cbranch_execz .LBB468_814
; %bb.809:                              ;   in Loop: Header=BB468_796 Depth=1
	v_cmp_ne_u16_sdwa s[20:21], v8, s5 src0_sel:BYTE_0 src1_sel:DWORD
	v_bfrev_b32_e32 v14, 1
	s_and_saveexec_b64 s[18:19], s[20:21]
	s_cbranch_execz .LBB468_813
; %bb.810:                              ;   in Loop: Header=BB468_796 Depth=1
	v_bfe_u32 v12, v6, 16, 7
	v_cmp_ne_u32_e32 vcc, s22, v12
	v_mov_b32_e32 v14, 0x7f800001
	s_and_saveexec_b64 s[20:21], vcc
	s_cbranch_execz .LBB468_812
; %bb.811:                              ;   in Loop: Header=BB468_796 Depth=1
	v_and_b32_e32 v14, 7, v8
	v_ffbh_u32_e32 v16, v14
	v_min_u32_e32 v19, 32, v16
	v_subrev_u32_e32 v16, 28, v19
	v_lshlrev_b64 v[16:17], v16, v[8:9]
	v_lshrrev_b32_e32 v18, 3, v12
	v_sub_u32_e32 v17, 29, v19
	v_and_b32_e32 v16, 7, v16
	v_cmp_gt_u32_e32 vcc, 8, v12
	v_cndmask_b32_e32 v12, v18, v17, vcc
	v_cndmask_b32_e32 v14, v14, v16, vcc
	v_lshlrev_b32_e32 v8, 24, v8
	v_lshlrev_b32_e32 v14, 20, v14
	v_and_b32_e32 v8, 0x80000000, v8
	v_lshl_add_u32 v12, v12, 23, v10
	v_or3_b32 v14, v8, v12, v14
.LBB468_812:                            ;   in Loop: Header=BB468_796 Depth=1
	s_or_b64 exec, exec, s[20:21]
.LBB468_813:                            ;   in Loop: Header=BB468_796 Depth=1
	s_or_b64 exec, exec, s[18:19]
.LBB468_814:                            ;   in Loop: Header=BB468_796 Depth=1
	s_or_b64 exec, exec, s[16:17]
	v_cmp_lt_u32_e32 vcc, s23, v6
	v_mov_b32_e32 v16, 0
	v_mov_b32_e32 v17, 0
	s_and_saveexec_b64 s[16:17], vcc
	s_cbranch_execz .LBB468_820
; %bb.815:                              ;   in Loop: Header=BB468_796 Depth=1
	v_lshrrev_b32_e32 v8, 24, v6
	v_cmp_ne_u32_e32 vcc, s5, v8
	v_bfrev_b32_e32 v17, 1
	s_and_saveexec_b64 s[18:19], vcc
	s_cbranch_execz .LBB468_819
; %bb.816:                              ;   in Loop: Header=BB468_796 Depth=1
	v_bfe_u32 v6, v6, 24, 7
	v_cmp_ne_u32_e32 vcc, s22, v6
	v_mov_b32_e32 v17, 0x7f800001
	s_and_saveexec_b64 s[20:21], vcc
	s_cbranch_execz .LBB468_818
; %bb.817:                              ;   in Loop: Header=BB468_796 Depth=1
	v_and_b32_e32 v12, 7, v8
	v_ffbh_u32_e32 v18, v12
	v_min_u32_e32 v20, 32, v18
	v_subrev_u32_e32 v18, 28, v20
	v_lshlrev_b64 v[18:19], v18, v[8:9]
	v_lshrrev_b32_e32 v17, 3, v6
	v_sub_u32_e32 v19, 29, v20
	v_and_b32_e32 v18, 7, v18
	v_cmp_gt_u32_e32 vcc, 8, v6
	v_cndmask_b32_e32 v6, v17, v19, vcc
	v_cndmask_b32_e32 v12, v12, v18, vcc
	v_lshlrev_b32_e32 v8, 24, v8
	v_lshlrev_b32_e32 v12, 20, v12
	v_and_b32_e32 v8, 0x80000000, v8
	v_lshl_add_u32 v6, v6, 23, v10
	v_or3_b32 v17, v8, v6, v12
.LBB468_818:                            ;   in Loop: Header=BB468_796 Depth=1
	s_or_b64 exec, exec, s[20:21]
.LBB468_819:                            ;   in Loop: Header=BB468_796 Depth=1
	s_or_b64 exec, exec, s[18:19]
.LBB468_820:                            ;   in Loop: Header=BB468_796 Depth=1
	s_or_b64 exec, exec, s[16:17]
	s_waitcnt vmcnt(0)
	v_cmp_ne_u16_sdwa s[18:19], v4, v9 src0_sel:BYTE_0 src1_sel:DWORD
	s_and_saveexec_b64 s[16:17], s[18:19]
	s_cbranch_execz .LBB468_826
; %bb.821:                              ;   in Loop: Header=BB468_796 Depth=1
	v_cmp_ne_u16_sdwa s[20:21], v4, s5 src0_sel:BYTE_0 src1_sel:DWORD
	v_bfrev_b32_e32 v16, 1
	s_and_saveexec_b64 s[18:19], s[20:21]
	s_cbranch_execz .LBB468_825
; %bb.822:                              ;   in Loop: Header=BB468_796 Depth=1
	v_and_b32_e32 v6, 0x7f, v4
	v_cmp_ne_u32_e32 vcc, s22, v6
	v_mov_b32_e32 v16, 0x7f800001
	s_and_saveexec_b64 s[20:21], vcc
	s_cbranch_execz .LBB468_824
; %bb.823:                              ;   in Loop: Header=BB468_796 Depth=1
	v_and_b32_e32 v8, 7, v4
	v_ffbh_u32_e32 v16, v8
	v_min_u32_e32 v16, 32, v16
	v_subrev_u32_e32 v18, 28, v16
	v_lshlrev_b64 v[18:19], v18, v[4:5]
	v_lshrrev_b32_e32 v12, 3, v6
	v_sub_u32_e32 v16, 29, v16
	v_and_b32_e32 v18, 7, v18
	v_cmp_gt_u32_e32 vcc, 8, v6
	v_cndmask_b32_e32 v6, v12, v16, vcc
	v_cndmask_b32_e32 v8, v8, v18, vcc
	v_lshlrev_b32_e32 v12, 24, v4
	v_lshlrev_b32_e32 v8, 20, v8
	v_and_b32_e32 v12, 0x80000000, v12
	v_lshl_add_u32 v6, v6, 23, v10
	v_or3_b32 v16, v12, v6, v8
.LBB468_824:                            ;   in Loop: Header=BB468_796 Depth=1
	s_or_b64 exec, exec, s[20:21]
.LBB468_825:                            ;   in Loop: Header=BB468_796 Depth=1
	s_or_b64 exec, exec, s[18:19]
.LBB468_826:                            ;   in Loop: Header=BB468_796 Depth=1
	s_or_b64 exec, exec, s[16:17]
	v_lshrrev_b16_e32 v6, 8, v4
	v_cmp_ne_u16_e32 vcc, 0, v6
	v_mov_b32_e32 v8, 0
	v_mov_b32_e32 v18, 0
	s_and_saveexec_b64 s[16:17], vcc
	s_cbranch_execz .LBB468_832
; %bb.827:                              ;   in Loop: Header=BB468_796 Depth=1
	v_cmp_ne_u16_e32 vcc, s5, v6
	v_bfrev_b32_e32 v18, 1
	s_and_saveexec_b64 s[18:19], vcc
	s_cbranch_execz .LBB468_831
; %bb.828:                              ;   in Loop: Header=BB468_796 Depth=1
	v_and_b32_e32 v12, 0x7f, v6
	v_cmp_ne_u32_e32 vcc, s22, v12
	v_mov_b32_e32 v18, 0x7f800001
	s_and_saveexec_b64 s[20:21], vcc
	s_cbranch_execz .LBB468_830
; %bb.829:                              ;   in Loop: Header=BB468_796 Depth=1
	v_and_b32_e32 v20, 7, v6
	v_ffbh_u32_e32 v18, v20
	v_min_u32_e32 v22, 32, v18
	v_subrev_u32_e32 v18, 28, v22
	v_lshlrev_b64 v[18:19], v18, v[6:7]
	v_lshrrev_b32_e32 v21, 3, v12
	v_sub_u32_e32 v6, 29, v22
	v_and_b32_e32 v18, 7, v18
	v_cmp_gt_u32_e32 vcc, 8, v12
	v_cndmask_b32_e32 v6, v21, v6, vcc
	v_cndmask_b32_e32 v12, v20, v18, vcc
	v_lshlrev_b32_e32 v18, 16, v4
	v_lshlrev_b32_e32 v12, 20, v12
	v_and_b32_e32 v18, 0x80000000, v18
	v_lshl_add_u32 v6, v6, 23, v10
	v_or3_b32 v18, v18, v6, v12
.LBB468_830:                            ;   in Loop: Header=BB468_796 Depth=1
	s_or_b64 exec, exec, s[20:21]
.LBB468_831:                            ;   in Loop: Header=BB468_796 Depth=1
	s_or_b64 exec, exec, s[18:19]
.LBB468_832:                            ;   in Loop: Header=BB468_796 Depth=1
	s_or_b64 exec, exec, s[16:17]
	v_lshrrev_b32_e32 v6, 16, v4
	v_cmp_ne_u16_sdwa s[18:19], v6, v9 src0_sel:BYTE_0 src1_sel:DWORD
	s_and_saveexec_b64 s[16:17], s[18:19]
	s_cbranch_execz .LBB468_838
; %bb.833:                              ;   in Loop: Header=BB468_796 Depth=1
	v_cmp_ne_u16_sdwa s[20:21], v6, s5 src0_sel:BYTE_0 src1_sel:DWORD
	v_bfrev_b32_e32 v8, 1
	s_and_saveexec_b64 s[18:19], s[20:21]
	s_cbranch_execz .LBB468_837
; %bb.834:                              ;   in Loop: Header=BB468_796 Depth=1
	v_bfe_u32 v12, v4, 16, 7
	v_cmp_ne_u32_e32 vcc, s22, v12
	v_mov_b32_e32 v8, 0x7f800001
	s_and_saveexec_b64 s[20:21], vcc
	s_cbranch_execz .LBB468_836
; %bb.835:                              ;   in Loop: Header=BB468_796 Depth=1
	v_and_b32_e32 v8, 7, v6
	v_ffbh_u32_e32 v20, v8
	v_min_u32_e32 v22, 32, v20
	v_subrev_u32_e32 v20, 28, v22
	v_lshlrev_b64 v[20:21], v20, v[6:7]
	v_lshrrev_b32_e32 v19, 3, v12
	v_sub_u32_e32 v21, 29, v22
	v_and_b32_e32 v20, 7, v20
	v_cmp_gt_u32_e32 vcc, 8, v12
	v_cndmask_b32_e32 v12, v19, v21, vcc
	v_cndmask_b32_e32 v8, v8, v20, vcc
	v_lshlrev_b32_e32 v6, 24, v6
	v_lshlrev_b32_e32 v8, 20, v8
	v_and_b32_e32 v6, 0x80000000, v6
	v_lshl_add_u32 v12, v12, 23, v10
	v_or3_b32 v8, v6, v12, v8
.LBB468_836:                            ;   in Loop: Header=BB468_796 Depth=1
	s_or_b64 exec, exec, s[20:21]
.LBB468_837:                            ;   in Loop: Header=BB468_796 Depth=1
	s_or_b64 exec, exec, s[18:19]
.LBB468_838:                            ;   in Loop: Header=BB468_796 Depth=1
	s_or_b64 exec, exec, s[16:17]
	v_cmp_lt_u32_e32 vcc, s23, v4
	v_mov_b32_e32 v12, 0
	v_mov_b32_e32 v19, 0
	s_and_saveexec_b64 s[16:17], vcc
	s_cbranch_execz .LBB468_844
; %bb.839:                              ;   in Loop: Header=BB468_796 Depth=1
	v_lshrrev_b32_e32 v6, 24, v4
	v_cmp_ne_u32_e32 vcc, s5, v6
	v_bfrev_b32_e32 v19, 1
	s_and_saveexec_b64 s[18:19], vcc
	s_cbranch_execz .LBB468_843
; %bb.840:                              ;   in Loop: Header=BB468_796 Depth=1
	v_bfe_u32 v4, v4, 24, 7
	v_cmp_ne_u32_e32 vcc, s22, v4
	v_mov_b32_e32 v19, 0x7f800001
	s_and_saveexec_b64 s[20:21], vcc
	s_cbranch_execz .LBB468_842
; %bb.841:                              ;   in Loop: Header=BB468_796 Depth=1
	v_and_b32_e32 v19, 7, v6
	v_ffbh_u32_e32 v20, v19
	v_min_u32_e32 v23, 32, v20
	v_subrev_u32_e32 v20, 28, v23
	v_lshlrev_b64 v[20:21], v20, v[6:7]
	v_lshrrev_b32_e32 v22, 3, v4
	v_sub_u32_e32 v21, 29, v23
	v_and_b32_e32 v20, 7, v20
	v_cmp_gt_u32_e32 vcc, 8, v4
	v_cndmask_b32_e32 v4, v22, v21, vcc
	v_cndmask_b32_e32 v19, v19, v20, vcc
	v_lshlrev_b32_e32 v6, 24, v6
	v_lshlrev_b32_e32 v19, 20, v19
	v_and_b32_e32 v6, 0x80000000, v6
	v_lshl_add_u32 v4, v4, 23, v10
	v_or3_b32 v19, v6, v4, v19
.LBB468_842:                            ;   in Loop: Header=BB468_796 Depth=1
	s_or_b64 exec, exec, s[20:21]
.LBB468_843:                            ;   in Loop: Header=BB468_796 Depth=1
	s_or_b64 exec, exec, s[18:19]
.LBB468_844:                            ;   in Loop: Header=BB468_796 Depth=1
	s_or_b64 exec, exec, s[16:17]
	buffer_load_dword v6, v11, s[0:3], 0 offen offset:8
	buffer_load_dword v4, v11, s[0:3], 0 offen offset:12
	v_cvt_pkrtz_f16_f32 v20, v13, v15
	v_cvt_pkrtz_f16_f32 v21, v14, v17
	;; [unrolled: 1-line block ×4, first 2 shown]
	v_mfma_f32_4x4x4f16 a[0:3], v[2:3], v[20:21], 0 cbsz:4
	s_waitcnt vmcnt(1)
	v_cmp_ne_u16_sdwa s[18:19], v6, v9 src0_sel:BYTE_0 src1_sel:DWORD
	v_mfma_f32_4x4x4f16 a[0:3], v[2:3], v[14:15], a[0:3] cbsz:4 abid:1
	s_and_saveexec_b64 s[16:17], s[18:19]
	s_cbranch_execz .LBB468_850
; %bb.845:                              ;   in Loop: Header=BB468_796 Depth=1
	v_cmp_ne_u16_sdwa s[20:21], v6, s5 src0_sel:BYTE_0 src1_sel:DWORD
	v_bfrev_b32_e32 v12, 1
	s_and_saveexec_b64 s[18:19], s[20:21]
	s_cbranch_execz .LBB468_849
; %bb.846:                              ;   in Loop: Header=BB468_796 Depth=1
	v_and_b32_e32 v8, 0x7f, v6
	v_cmp_ne_u32_e32 vcc, s22, v8
	v_mov_b32_e32 v12, 0x7f800001
	s_and_saveexec_b64 s[20:21], vcc
	s_cbranch_execz .LBB468_848
; %bb.847:                              ;   in Loop: Header=BB468_796 Depth=1
	v_and_b32_e32 v14, 7, v6
	v_ffbh_u32_e32 v12, v14
	v_min_u32_e32 v16, 32, v12
	v_subrev_u32_e32 v12, 28, v16
	v_lshlrev_b64 v[12:13], v12, v[6:7]
	v_lshrrev_b32_e32 v15, 3, v8
	v_sub_u32_e32 v13, 29, v16
	v_and_b32_e32 v12, 7, v12
	v_cmp_gt_u32_e32 vcc, 8, v8
	v_cndmask_b32_e32 v8, v15, v13, vcc
	v_cndmask_b32_e32 v12, v14, v12, vcc
	v_lshlrev_b32_e32 v13, 24, v6
	v_lshlrev_b32_e32 v12, 20, v12
	v_and_b32_e32 v13, 0x80000000, v13
	v_lshl_add_u32 v8, v8, 23, v10
	v_or3_b32 v12, v13, v8, v12
.LBB468_848:                            ;   in Loop: Header=BB468_796 Depth=1
	s_or_b64 exec, exec, s[20:21]
.LBB468_849:                            ;   in Loop: Header=BB468_796 Depth=1
	s_or_b64 exec, exec, s[18:19]
.LBB468_850:                            ;   in Loop: Header=BB468_796 Depth=1
	s_or_b64 exec, exec, s[16:17]
	v_lshrrev_b16_e32 v8, 8, v6
	v_cmp_ne_u16_e32 vcc, 0, v8
	v_mov_b32_e32 v14, 0
	v_mov_b32_e32 v15, 0
	s_and_saveexec_b64 s[16:17], vcc
	s_cbranch_execz .LBB468_856
; %bb.851:                              ;   in Loop: Header=BB468_796 Depth=1
	v_cmp_ne_u16_e32 vcc, s5, v8
	v_bfrev_b32_e32 v15, 1
	s_and_saveexec_b64 s[18:19], vcc
	s_cbranch_execz .LBB468_855
; %bb.852:                              ;   in Loop: Header=BB468_796 Depth=1
	v_and_b32_e32 v13, 0x7f, v8
	v_cmp_ne_u32_e32 vcc, s22, v13
	v_mov_b32_e32 v15, 0x7f800001
	s_and_saveexec_b64 s[20:21], vcc
	s_cbranch_execz .LBB468_854
; %bb.853:                              ;   in Loop: Header=BB468_796 Depth=1
	v_and_b32_e32 v15, 7, v8
	v_ffbh_u32_e32 v16, v15
	v_min_u32_e32 v19, 32, v16
	v_subrev_u32_e32 v16, 28, v19
	v_lshlrev_b64 v[16:17], v16, v[8:9]
	v_lshrrev_b32_e32 v18, 3, v13
	v_sub_u32_e32 v8, 29, v19
	v_and_b32_e32 v16, 7, v16
	v_cmp_gt_u32_e32 vcc, 8, v13
	v_cndmask_b32_e32 v8, v18, v8, vcc
	v_cndmask_b32_e32 v13, v15, v16, vcc
	v_lshlrev_b32_e32 v15, 16, v6
	v_lshlrev_b32_e32 v13, 20, v13
	v_and_b32_e32 v15, 0x80000000, v15
	v_lshl_add_u32 v8, v8, 23, v10
	v_or3_b32 v15, v15, v8, v13
.LBB468_854:                            ;   in Loop: Header=BB468_796 Depth=1
	s_or_b64 exec, exec, s[20:21]
.LBB468_855:                            ;   in Loop: Header=BB468_796 Depth=1
	s_or_b64 exec, exec, s[18:19]
.LBB468_856:                            ;   in Loop: Header=BB468_796 Depth=1
	s_or_b64 exec, exec, s[16:17]
	v_lshrrev_b32_e32 v8, 16, v6
	v_cmp_ne_u16_sdwa s[18:19], v8, v9 src0_sel:BYTE_0 src1_sel:DWORD
	s_and_saveexec_b64 s[16:17], s[18:19]
	s_cbranch_execz .LBB468_862
; %bb.857:                              ;   in Loop: Header=BB468_796 Depth=1
	v_cmp_ne_u16_sdwa s[20:21], v8, s5 src0_sel:BYTE_0 src1_sel:DWORD
	v_bfrev_b32_e32 v14, 1
	s_and_saveexec_b64 s[18:19], s[20:21]
	s_cbranch_execz .LBB468_861
; %bb.858:                              ;   in Loop: Header=BB468_796 Depth=1
	v_bfe_u32 v13, v6, 16, 7
	v_cmp_ne_u32_e32 vcc, s22, v13
	v_mov_b32_e32 v14, 0x7f800001
	s_and_saveexec_b64 s[20:21], vcc
	s_cbranch_execz .LBB468_860
; %bb.859:                              ;   in Loop: Header=BB468_796 Depth=1
	v_and_b32_e32 v14, 7, v8
	v_ffbh_u32_e32 v16, v14
	v_min_u32_e32 v19, 32, v16
	v_subrev_u32_e32 v16, 28, v19
	v_lshlrev_b64 v[16:17], v16, v[8:9]
	v_lshrrev_b32_e32 v18, 3, v13
	v_sub_u32_e32 v17, 29, v19
	v_and_b32_e32 v16, 7, v16
	v_cmp_gt_u32_e32 vcc, 8, v13
	v_cndmask_b32_e32 v13, v18, v17, vcc
	v_cndmask_b32_e32 v14, v14, v16, vcc
	v_lshlrev_b32_e32 v8, 24, v8
	v_lshlrev_b32_e32 v14, 20, v14
	v_and_b32_e32 v8, 0x80000000, v8
	v_lshl_add_u32 v13, v13, 23, v10
	v_or3_b32 v14, v8, v13, v14
.LBB468_860:                            ;   in Loop: Header=BB468_796 Depth=1
	s_or_b64 exec, exec, s[20:21]
.LBB468_861:                            ;   in Loop: Header=BB468_796 Depth=1
	s_or_b64 exec, exec, s[18:19]
.LBB468_862:                            ;   in Loop: Header=BB468_796 Depth=1
	s_or_b64 exec, exec, s[16:17]
	v_cmp_lt_u32_e32 vcc, s23, v6
	v_mov_b32_e32 v16, 0
	v_mov_b32_e32 v17, 0
	s_and_saveexec_b64 s[16:17], vcc
	s_cbranch_execz .LBB468_868
; %bb.863:                              ;   in Loop: Header=BB468_796 Depth=1
	v_lshrrev_b32_e32 v8, 24, v6
	v_cmp_ne_u32_e32 vcc, s5, v8
	v_bfrev_b32_e32 v17, 1
	s_and_saveexec_b64 s[18:19], vcc
	s_cbranch_execz .LBB468_867
; %bb.864:                              ;   in Loop: Header=BB468_796 Depth=1
	v_bfe_u32 v6, v6, 24, 7
	v_cmp_ne_u32_e32 vcc, s22, v6
	v_mov_b32_e32 v17, 0x7f800001
	s_and_saveexec_b64 s[20:21], vcc
	s_cbranch_execz .LBB468_866
; %bb.865:                              ;   in Loop: Header=BB468_796 Depth=1
	v_and_b32_e32 v13, 7, v8
	v_ffbh_u32_e32 v18, v13
	v_min_u32_e32 v20, 32, v18
	v_subrev_u32_e32 v18, 28, v20
	v_lshlrev_b64 v[18:19], v18, v[8:9]
	v_lshrrev_b32_e32 v17, 3, v6
	v_sub_u32_e32 v19, 29, v20
	v_and_b32_e32 v18, 7, v18
	v_cmp_gt_u32_e32 vcc, 8, v6
	v_cndmask_b32_e32 v6, v17, v19, vcc
	v_cndmask_b32_e32 v13, v13, v18, vcc
	v_lshlrev_b32_e32 v8, 24, v8
	v_lshlrev_b32_e32 v13, 20, v13
	v_and_b32_e32 v8, 0x80000000, v8
	v_lshl_add_u32 v6, v6, 23, v10
	v_or3_b32 v17, v8, v6, v13
.LBB468_866:                            ;   in Loop: Header=BB468_796 Depth=1
	s_or_b64 exec, exec, s[20:21]
.LBB468_867:                            ;   in Loop: Header=BB468_796 Depth=1
	s_or_b64 exec, exec, s[18:19]
.LBB468_868:                            ;   in Loop: Header=BB468_796 Depth=1
	s_or_b64 exec, exec, s[16:17]
	s_waitcnt vmcnt(0)
	v_cmp_ne_u16_sdwa s[18:19], v4, v9 src0_sel:BYTE_0 src1_sel:DWORD
	s_and_saveexec_b64 s[16:17], s[18:19]
	s_cbranch_execz .LBB468_874
; %bb.869:                              ;   in Loop: Header=BB468_796 Depth=1
	v_cmp_ne_u16_sdwa s[20:21], v4, s5 src0_sel:BYTE_0 src1_sel:DWORD
	v_bfrev_b32_e32 v16, 1
	s_and_saveexec_b64 s[18:19], s[20:21]
	s_cbranch_execz .LBB468_873
; %bb.870:                              ;   in Loop: Header=BB468_796 Depth=1
	v_and_b32_e32 v6, 0x7f, v4
	v_cmp_ne_u32_e32 vcc, s22, v6
	v_mov_b32_e32 v16, 0x7f800001
	s_and_saveexec_b64 s[20:21], vcc
	s_cbranch_execz .LBB468_872
; %bb.871:                              ;   in Loop: Header=BB468_796 Depth=1
	v_and_b32_e32 v8, 7, v4
	v_ffbh_u32_e32 v16, v8
	v_min_u32_e32 v16, 32, v16
	v_subrev_u32_e32 v18, 28, v16
	v_lshlrev_b64 v[18:19], v18, v[4:5]
	v_lshrrev_b32_e32 v13, 3, v6
	v_sub_u32_e32 v16, 29, v16
	v_and_b32_e32 v18, 7, v18
	v_cmp_gt_u32_e32 vcc, 8, v6
	v_cndmask_b32_e32 v6, v13, v16, vcc
	v_cndmask_b32_e32 v8, v8, v18, vcc
	v_lshlrev_b32_e32 v13, 24, v4
	v_lshlrev_b32_e32 v8, 20, v8
	v_and_b32_e32 v13, 0x80000000, v13
	v_lshl_add_u32 v6, v6, 23, v10
	v_or3_b32 v16, v13, v6, v8
.LBB468_872:                            ;   in Loop: Header=BB468_796 Depth=1
	s_or_b64 exec, exec, s[20:21]
.LBB468_873:                            ;   in Loop: Header=BB468_796 Depth=1
	s_or_b64 exec, exec, s[18:19]
.LBB468_874:                            ;   in Loop: Header=BB468_796 Depth=1
	s_or_b64 exec, exec, s[16:17]
	v_lshrrev_b16_e32 v6, 8, v4
	v_cmp_ne_u16_e32 vcc, 0, v6
	v_mov_b32_e32 v8, 0
	v_mov_b32_e32 v18, 0
	s_and_saveexec_b64 s[16:17], vcc
	s_cbranch_execz .LBB468_880
; %bb.875:                              ;   in Loop: Header=BB468_796 Depth=1
	v_cmp_ne_u16_e32 vcc, s5, v6
	v_bfrev_b32_e32 v18, 1
	s_and_saveexec_b64 s[18:19], vcc
	s_cbranch_execz .LBB468_879
; %bb.876:                              ;   in Loop: Header=BB468_796 Depth=1
	v_and_b32_e32 v13, 0x7f, v6
	v_cmp_ne_u32_e32 vcc, s22, v13
	v_mov_b32_e32 v18, 0x7f800001
	s_and_saveexec_b64 s[20:21], vcc
	s_cbranch_execz .LBB468_878
; %bb.877:                              ;   in Loop: Header=BB468_796 Depth=1
	v_and_b32_e32 v20, 7, v6
	v_ffbh_u32_e32 v18, v20
	v_min_u32_e32 v22, 32, v18
	v_subrev_u32_e32 v18, 28, v22
	v_lshlrev_b64 v[18:19], v18, v[6:7]
	v_lshrrev_b32_e32 v21, 3, v13
	v_sub_u32_e32 v6, 29, v22
	v_and_b32_e32 v18, 7, v18
	v_cmp_gt_u32_e32 vcc, 8, v13
	v_cndmask_b32_e32 v6, v21, v6, vcc
	v_cndmask_b32_e32 v13, v20, v18, vcc
	v_lshlrev_b32_e32 v18, 16, v4
	v_lshlrev_b32_e32 v13, 20, v13
	v_and_b32_e32 v18, 0x80000000, v18
	v_lshl_add_u32 v6, v6, 23, v10
	v_or3_b32 v18, v18, v6, v13
.LBB468_878:                            ;   in Loop: Header=BB468_796 Depth=1
	s_or_b64 exec, exec, s[20:21]
.LBB468_879:                            ;   in Loop: Header=BB468_796 Depth=1
	s_or_b64 exec, exec, s[18:19]
.LBB468_880:                            ;   in Loop: Header=BB468_796 Depth=1
	s_or_b64 exec, exec, s[16:17]
	v_lshrrev_b32_e32 v6, 16, v4
	v_cmp_ne_u16_sdwa s[18:19], v6, v9 src0_sel:BYTE_0 src1_sel:DWORD
	s_and_saveexec_b64 s[16:17], s[18:19]
	s_cbranch_execz .LBB468_886
; %bb.881:                              ;   in Loop: Header=BB468_796 Depth=1
	v_cmp_ne_u16_sdwa s[20:21], v6, s5 src0_sel:BYTE_0 src1_sel:DWORD
	v_bfrev_b32_e32 v8, 1
	s_and_saveexec_b64 s[18:19], s[20:21]
	s_cbranch_execz .LBB468_885
; %bb.882:                              ;   in Loop: Header=BB468_796 Depth=1
	v_bfe_u32 v13, v4, 16, 7
	v_cmp_ne_u32_e32 vcc, s22, v13
	v_mov_b32_e32 v8, 0x7f800001
	s_and_saveexec_b64 s[20:21], vcc
	s_cbranch_execz .LBB468_884
; %bb.883:                              ;   in Loop: Header=BB468_796 Depth=1
	v_and_b32_e32 v8, 7, v6
	v_ffbh_u32_e32 v20, v8
	v_min_u32_e32 v22, 32, v20
	v_subrev_u32_e32 v20, 28, v22
	v_lshlrev_b64 v[20:21], v20, v[6:7]
	v_lshrrev_b32_e32 v19, 3, v13
	v_sub_u32_e32 v21, 29, v22
	v_and_b32_e32 v20, 7, v20
	v_cmp_gt_u32_e32 vcc, 8, v13
	v_cndmask_b32_e32 v13, v19, v21, vcc
	v_cndmask_b32_e32 v8, v8, v20, vcc
	v_lshlrev_b32_e32 v6, 24, v6
	v_lshlrev_b32_e32 v8, 20, v8
	v_and_b32_e32 v6, 0x80000000, v6
	v_lshl_add_u32 v13, v13, 23, v10
	v_or3_b32 v8, v6, v13, v8
.LBB468_884:                            ;   in Loop: Header=BB468_796 Depth=1
	s_or_b64 exec, exec, s[20:21]
.LBB468_885:                            ;   in Loop: Header=BB468_796 Depth=1
	s_or_b64 exec, exec, s[18:19]
.LBB468_886:                            ;   in Loop: Header=BB468_796 Depth=1
	s_or_b64 exec, exec, s[16:17]
	v_cmp_lt_u32_e32 vcc, s23, v4
	v_mov_b32_e32 v13, 0
	v_mov_b32_e32 v19, 0
	s_and_saveexec_b64 s[16:17], vcc
	s_cbranch_execz .LBB468_892
; %bb.887:                              ;   in Loop: Header=BB468_796 Depth=1
	v_lshrrev_b32_e32 v6, 24, v4
	v_cmp_ne_u32_e32 vcc, s5, v6
	v_bfrev_b32_e32 v19, 1
	s_and_saveexec_b64 s[18:19], vcc
	s_cbranch_execz .LBB468_891
; %bb.888:                              ;   in Loop: Header=BB468_796 Depth=1
	v_bfe_u32 v4, v4, 24, 7
	v_cmp_ne_u32_e32 vcc, s22, v4
	v_mov_b32_e32 v19, 0x7f800001
	s_and_saveexec_b64 s[20:21], vcc
	s_cbranch_execz .LBB468_890
; %bb.889:                              ;   in Loop: Header=BB468_796 Depth=1
	v_and_b32_e32 v19, 7, v6
	v_ffbh_u32_e32 v20, v19
	v_min_u32_e32 v23, 32, v20
	v_subrev_u32_e32 v20, 28, v23
	v_lshlrev_b64 v[20:21], v20, v[6:7]
	v_lshrrev_b32_e32 v22, 3, v4
	v_sub_u32_e32 v21, 29, v23
	v_and_b32_e32 v20, 7, v20
	v_cmp_gt_u32_e32 vcc, 8, v4
	v_cndmask_b32_e32 v4, v22, v21, vcc
	v_cndmask_b32_e32 v19, v19, v20, vcc
	v_lshlrev_b32_e32 v6, 24, v6
	v_lshlrev_b32_e32 v19, 20, v19
	v_and_b32_e32 v6, 0x80000000, v6
	v_lshl_add_u32 v4, v4, 23, v10
	v_or3_b32 v19, v6, v4, v19
.LBB468_890:                            ;   in Loop: Header=BB468_796 Depth=1
	s_or_b64 exec, exec, s[20:21]
.LBB468_891:                            ;   in Loop: Header=BB468_796 Depth=1
	s_or_b64 exec, exec, s[18:19]
.LBB468_892:                            ;   in Loop: Header=BB468_796 Depth=1
	s_or_b64 exec, exec, s[16:17]
	buffer_load_dword v6, v11, s[0:3], 0 offen offset:16
	buffer_load_dword v4, v11, s[0:3], 0 offen offset:20
	v_cvt_pkrtz_f16_f32 v20, v12, v15
	v_cvt_pkrtz_f16_f32 v21, v14, v17
	;; [unrolled: 1-line block ×4, first 2 shown]
	v_mfma_f32_4x4x4f16 a[0:3], v[2:3], v[20:21], a[0:3] cbsz:4 abid:2
	s_waitcnt vmcnt(1)
	v_cmp_ne_u16_sdwa s[18:19], v6, v9 src0_sel:BYTE_0 src1_sel:DWORD
	v_mfma_f32_4x4x4f16 a[0:3], v[2:3], v[14:15], a[0:3] cbsz:4 abid:3
	s_and_saveexec_b64 s[16:17], s[18:19]
	s_cbranch_execz .LBB468_898
; %bb.893:                              ;   in Loop: Header=BB468_796 Depth=1
	v_cmp_ne_u16_sdwa s[20:21], v6, s5 src0_sel:BYTE_0 src1_sel:DWORD
	v_bfrev_b32_e32 v13, 1
	s_and_saveexec_b64 s[18:19], s[20:21]
	s_cbranch_execz .LBB468_897
; %bb.894:                              ;   in Loop: Header=BB468_796 Depth=1
	v_and_b32_e32 v8, 0x7f, v6
	v_cmp_ne_u32_e32 vcc, s22, v8
	v_mov_b32_e32 v13, 0x7f800001
	s_and_saveexec_b64 s[20:21], vcc
	s_cbranch_execz .LBB468_896
; %bb.895:                              ;   in Loop: Header=BB468_796 Depth=1
	v_and_b32_e32 v14, 7, v6
	v_ffbh_u32_e32 v12, v14
	v_min_u32_e32 v16, 32, v12
	v_subrev_u32_e32 v12, 28, v16
	v_lshlrev_b64 v[12:13], v12, v[6:7]
	v_lshrrev_b32_e32 v15, 3, v8
	v_sub_u32_e32 v13, 29, v16
	v_and_b32_e32 v12, 7, v12
	v_cmp_gt_u32_e32 vcc, 8, v8
	v_cndmask_b32_e32 v8, v15, v13, vcc
	v_cndmask_b32_e32 v12, v14, v12, vcc
	v_lshlrev_b32_e32 v13, 24, v6
	v_lshlrev_b32_e32 v12, 20, v12
	v_and_b32_e32 v13, 0x80000000, v13
	v_lshl_add_u32 v8, v8, 23, v10
	v_or3_b32 v13, v13, v8, v12
.LBB468_896:                            ;   in Loop: Header=BB468_796 Depth=1
	s_or_b64 exec, exec, s[20:21]
.LBB468_897:                            ;   in Loop: Header=BB468_796 Depth=1
	s_or_b64 exec, exec, s[18:19]
.LBB468_898:                            ;   in Loop: Header=BB468_796 Depth=1
	s_or_b64 exec, exec, s[16:17]
	v_lshrrev_b16_e32 v8, 8, v6
	v_cmp_ne_u16_e32 vcc, 0, v8
	v_mov_b32_e32 v14, 0
	v_mov_b32_e32 v15, 0
	s_and_saveexec_b64 s[16:17], vcc
	s_cbranch_execz .LBB468_904
; %bb.899:                              ;   in Loop: Header=BB468_796 Depth=1
	v_cmp_ne_u16_e32 vcc, s5, v8
	v_bfrev_b32_e32 v15, 1
	s_and_saveexec_b64 s[18:19], vcc
	s_cbranch_execz .LBB468_903
; %bb.900:                              ;   in Loop: Header=BB468_796 Depth=1
	v_and_b32_e32 v12, 0x7f, v8
	v_cmp_ne_u32_e32 vcc, s22, v12
	v_mov_b32_e32 v15, 0x7f800001
	s_and_saveexec_b64 s[20:21], vcc
	s_cbranch_execz .LBB468_902
; %bb.901:                              ;   in Loop: Header=BB468_796 Depth=1
	v_and_b32_e32 v15, 7, v8
	v_ffbh_u32_e32 v16, v15
	v_min_u32_e32 v19, 32, v16
	v_subrev_u32_e32 v16, 28, v19
	v_lshlrev_b64 v[16:17], v16, v[8:9]
	v_lshrrev_b32_e32 v18, 3, v12
	v_sub_u32_e32 v8, 29, v19
	v_and_b32_e32 v16, 7, v16
	v_cmp_gt_u32_e32 vcc, 8, v12
	v_cndmask_b32_e32 v8, v18, v8, vcc
	v_cndmask_b32_e32 v12, v15, v16, vcc
	v_lshlrev_b32_e32 v15, 16, v6
	v_lshlrev_b32_e32 v12, 20, v12
	v_and_b32_e32 v15, 0x80000000, v15
	v_lshl_add_u32 v8, v8, 23, v10
	v_or3_b32 v15, v15, v8, v12
.LBB468_902:                            ;   in Loop: Header=BB468_796 Depth=1
	s_or_b64 exec, exec, s[20:21]
.LBB468_903:                            ;   in Loop: Header=BB468_796 Depth=1
	s_or_b64 exec, exec, s[18:19]
.LBB468_904:                            ;   in Loop: Header=BB468_796 Depth=1
	s_or_b64 exec, exec, s[16:17]
	v_lshrrev_b32_e32 v8, 16, v6
	v_cmp_ne_u16_sdwa s[18:19], v8, v9 src0_sel:BYTE_0 src1_sel:DWORD
	s_and_saveexec_b64 s[16:17], s[18:19]
	s_cbranch_execz .LBB468_910
; %bb.905:                              ;   in Loop: Header=BB468_796 Depth=1
	v_cmp_ne_u16_sdwa s[20:21], v8, s5 src0_sel:BYTE_0 src1_sel:DWORD
	v_bfrev_b32_e32 v14, 1
	s_and_saveexec_b64 s[18:19], s[20:21]
	s_cbranch_execz .LBB468_909
; %bb.906:                              ;   in Loop: Header=BB468_796 Depth=1
	v_bfe_u32 v12, v6, 16, 7
	v_cmp_ne_u32_e32 vcc, s22, v12
	v_mov_b32_e32 v14, 0x7f800001
	s_and_saveexec_b64 s[20:21], vcc
	s_cbranch_execz .LBB468_908
; %bb.907:                              ;   in Loop: Header=BB468_796 Depth=1
	v_and_b32_e32 v14, 7, v8
	v_ffbh_u32_e32 v16, v14
	v_min_u32_e32 v19, 32, v16
	v_subrev_u32_e32 v16, 28, v19
	v_lshlrev_b64 v[16:17], v16, v[8:9]
	v_lshrrev_b32_e32 v18, 3, v12
	v_sub_u32_e32 v17, 29, v19
	v_and_b32_e32 v16, 7, v16
	v_cmp_gt_u32_e32 vcc, 8, v12
	v_cndmask_b32_e32 v12, v18, v17, vcc
	v_cndmask_b32_e32 v14, v14, v16, vcc
	v_lshlrev_b32_e32 v8, 24, v8
	v_lshlrev_b32_e32 v14, 20, v14
	v_and_b32_e32 v8, 0x80000000, v8
	v_lshl_add_u32 v12, v12, 23, v10
	v_or3_b32 v14, v8, v12, v14
.LBB468_908:                            ;   in Loop: Header=BB468_796 Depth=1
	s_or_b64 exec, exec, s[20:21]
.LBB468_909:                            ;   in Loop: Header=BB468_796 Depth=1
	s_or_b64 exec, exec, s[18:19]
.LBB468_910:                            ;   in Loop: Header=BB468_796 Depth=1
	s_or_b64 exec, exec, s[16:17]
	v_cmp_lt_u32_e32 vcc, s23, v6
	v_mov_b32_e32 v16, 0
	v_mov_b32_e32 v17, 0
	s_and_saveexec_b64 s[16:17], vcc
	s_cbranch_execz .LBB468_916
; %bb.911:                              ;   in Loop: Header=BB468_796 Depth=1
	v_lshrrev_b32_e32 v8, 24, v6
	v_cmp_ne_u32_e32 vcc, s5, v8
	v_bfrev_b32_e32 v17, 1
	s_and_saveexec_b64 s[18:19], vcc
	s_cbranch_execz .LBB468_915
; %bb.912:                              ;   in Loop: Header=BB468_796 Depth=1
	v_bfe_u32 v6, v6, 24, 7
	v_cmp_ne_u32_e32 vcc, s22, v6
	v_mov_b32_e32 v17, 0x7f800001
	s_and_saveexec_b64 s[20:21], vcc
	s_cbranch_execz .LBB468_914
; %bb.913:                              ;   in Loop: Header=BB468_796 Depth=1
	v_and_b32_e32 v12, 7, v8
	v_ffbh_u32_e32 v18, v12
	v_min_u32_e32 v20, 32, v18
	v_subrev_u32_e32 v18, 28, v20
	v_lshlrev_b64 v[18:19], v18, v[8:9]
	v_lshrrev_b32_e32 v17, 3, v6
	v_sub_u32_e32 v19, 29, v20
	v_and_b32_e32 v18, 7, v18
	v_cmp_gt_u32_e32 vcc, 8, v6
	v_cndmask_b32_e32 v6, v17, v19, vcc
	v_cndmask_b32_e32 v12, v12, v18, vcc
	v_lshlrev_b32_e32 v8, 24, v8
	v_lshlrev_b32_e32 v12, 20, v12
	v_and_b32_e32 v8, 0x80000000, v8
	v_lshl_add_u32 v6, v6, 23, v10
	v_or3_b32 v17, v8, v6, v12
.LBB468_914:                            ;   in Loop: Header=BB468_796 Depth=1
	s_or_b64 exec, exec, s[20:21]
.LBB468_915:                            ;   in Loop: Header=BB468_796 Depth=1
	s_or_b64 exec, exec, s[18:19]
.LBB468_916:                            ;   in Loop: Header=BB468_796 Depth=1
	s_or_b64 exec, exec, s[16:17]
	s_waitcnt vmcnt(0)
	v_cmp_ne_u16_sdwa s[18:19], v4, v9 src0_sel:BYTE_0 src1_sel:DWORD
	s_and_saveexec_b64 s[16:17], s[18:19]
	s_cbranch_execz .LBB468_922
; %bb.917:                              ;   in Loop: Header=BB468_796 Depth=1
	v_cmp_ne_u16_sdwa s[20:21], v4, s5 src0_sel:BYTE_0 src1_sel:DWORD
	v_bfrev_b32_e32 v16, 1
	s_and_saveexec_b64 s[18:19], s[20:21]
	s_cbranch_execz .LBB468_921
; %bb.918:                              ;   in Loop: Header=BB468_796 Depth=1
	v_and_b32_e32 v6, 0x7f, v4
	v_cmp_ne_u32_e32 vcc, s22, v6
	v_mov_b32_e32 v16, 0x7f800001
	s_and_saveexec_b64 s[20:21], vcc
	s_cbranch_execz .LBB468_920
; %bb.919:                              ;   in Loop: Header=BB468_796 Depth=1
	v_and_b32_e32 v8, 7, v4
	v_ffbh_u32_e32 v16, v8
	v_min_u32_e32 v16, 32, v16
	v_subrev_u32_e32 v18, 28, v16
	v_lshlrev_b64 v[18:19], v18, v[4:5]
	v_lshrrev_b32_e32 v12, 3, v6
	v_sub_u32_e32 v16, 29, v16
	v_and_b32_e32 v18, 7, v18
	v_cmp_gt_u32_e32 vcc, 8, v6
	v_cndmask_b32_e32 v6, v12, v16, vcc
	v_cndmask_b32_e32 v8, v8, v18, vcc
	v_lshlrev_b32_e32 v12, 24, v4
	v_lshlrev_b32_e32 v8, 20, v8
	v_and_b32_e32 v12, 0x80000000, v12
	v_lshl_add_u32 v6, v6, 23, v10
	v_or3_b32 v16, v12, v6, v8
.LBB468_920:                            ;   in Loop: Header=BB468_796 Depth=1
	s_or_b64 exec, exec, s[20:21]
.LBB468_921:                            ;   in Loop: Header=BB468_796 Depth=1
	s_or_b64 exec, exec, s[18:19]
.LBB468_922:                            ;   in Loop: Header=BB468_796 Depth=1
	s_or_b64 exec, exec, s[16:17]
	v_lshrrev_b16_e32 v6, 8, v4
	v_cmp_ne_u16_e32 vcc, 0, v6
	v_mov_b32_e32 v8, 0
	v_mov_b32_e32 v18, 0
	s_and_saveexec_b64 s[16:17], vcc
	s_cbranch_execz .LBB468_928
; %bb.923:                              ;   in Loop: Header=BB468_796 Depth=1
	v_cmp_ne_u16_e32 vcc, s5, v6
	v_bfrev_b32_e32 v18, 1
	s_and_saveexec_b64 s[18:19], vcc
	s_cbranch_execz .LBB468_927
; %bb.924:                              ;   in Loop: Header=BB468_796 Depth=1
	v_and_b32_e32 v12, 0x7f, v6
	v_cmp_ne_u32_e32 vcc, s22, v12
	v_mov_b32_e32 v18, 0x7f800001
	s_and_saveexec_b64 s[20:21], vcc
	s_cbranch_execz .LBB468_926
; %bb.925:                              ;   in Loop: Header=BB468_796 Depth=1
	v_and_b32_e32 v20, 7, v6
	v_ffbh_u32_e32 v18, v20
	v_min_u32_e32 v22, 32, v18
	v_subrev_u32_e32 v18, 28, v22
	v_lshlrev_b64 v[18:19], v18, v[6:7]
	v_lshrrev_b32_e32 v21, 3, v12
	v_sub_u32_e32 v6, 29, v22
	v_and_b32_e32 v18, 7, v18
	v_cmp_gt_u32_e32 vcc, 8, v12
	v_cndmask_b32_e32 v6, v21, v6, vcc
	v_cndmask_b32_e32 v12, v20, v18, vcc
	v_lshlrev_b32_e32 v18, 16, v4
	v_lshlrev_b32_e32 v12, 20, v12
	v_and_b32_e32 v18, 0x80000000, v18
	v_lshl_add_u32 v6, v6, 23, v10
	v_or3_b32 v18, v18, v6, v12
.LBB468_926:                            ;   in Loop: Header=BB468_796 Depth=1
	s_or_b64 exec, exec, s[20:21]
.LBB468_927:                            ;   in Loop: Header=BB468_796 Depth=1
	s_or_b64 exec, exec, s[18:19]
.LBB468_928:                            ;   in Loop: Header=BB468_796 Depth=1
	s_or_b64 exec, exec, s[16:17]
	v_lshrrev_b32_e32 v6, 16, v4
	v_cmp_ne_u16_sdwa s[18:19], v6, v9 src0_sel:BYTE_0 src1_sel:DWORD
	s_and_saveexec_b64 s[16:17], s[18:19]
	s_cbranch_execz .LBB468_934
; %bb.929:                              ;   in Loop: Header=BB468_796 Depth=1
	v_cmp_ne_u16_sdwa s[20:21], v6, s5 src0_sel:BYTE_0 src1_sel:DWORD
	v_bfrev_b32_e32 v8, 1
	s_and_saveexec_b64 s[18:19], s[20:21]
	s_cbranch_execz .LBB468_933
; %bb.930:                              ;   in Loop: Header=BB468_796 Depth=1
	v_bfe_u32 v12, v4, 16, 7
	v_cmp_ne_u32_e32 vcc, s22, v12
	v_mov_b32_e32 v8, 0x7f800001
	s_and_saveexec_b64 s[20:21], vcc
	s_cbranch_execz .LBB468_932
; %bb.931:                              ;   in Loop: Header=BB468_796 Depth=1
	v_and_b32_e32 v8, 7, v6
	v_ffbh_u32_e32 v20, v8
	v_min_u32_e32 v22, 32, v20
	v_subrev_u32_e32 v20, 28, v22
	v_lshlrev_b64 v[20:21], v20, v[6:7]
	v_lshrrev_b32_e32 v19, 3, v12
	v_sub_u32_e32 v21, 29, v22
	v_and_b32_e32 v20, 7, v20
	v_cmp_gt_u32_e32 vcc, 8, v12
	v_cndmask_b32_e32 v12, v19, v21, vcc
	v_cndmask_b32_e32 v8, v8, v20, vcc
	v_lshlrev_b32_e32 v6, 24, v6
	v_lshlrev_b32_e32 v8, 20, v8
	v_and_b32_e32 v6, 0x80000000, v6
	v_lshl_add_u32 v12, v12, 23, v10
	v_or3_b32 v8, v6, v12, v8
.LBB468_932:                            ;   in Loop: Header=BB468_796 Depth=1
	s_or_b64 exec, exec, s[20:21]
.LBB468_933:                            ;   in Loop: Header=BB468_796 Depth=1
	s_or_b64 exec, exec, s[18:19]
.LBB468_934:                            ;   in Loop: Header=BB468_796 Depth=1
	s_or_b64 exec, exec, s[16:17]
	v_cmp_lt_u32_e32 vcc, s23, v4
	v_mov_b32_e32 v12, 0
	v_mov_b32_e32 v19, 0
	s_and_saveexec_b64 s[16:17], vcc
	s_cbranch_execz .LBB468_940
; %bb.935:                              ;   in Loop: Header=BB468_796 Depth=1
	v_lshrrev_b32_e32 v6, 24, v4
	v_cmp_ne_u32_e32 vcc, s5, v6
	v_bfrev_b32_e32 v19, 1
	s_and_saveexec_b64 s[18:19], vcc
	s_cbranch_execz .LBB468_939
; %bb.936:                              ;   in Loop: Header=BB468_796 Depth=1
	v_bfe_u32 v4, v4, 24, 7
	v_cmp_ne_u32_e32 vcc, s22, v4
	v_mov_b32_e32 v19, 0x7f800001
	s_and_saveexec_b64 s[20:21], vcc
	s_cbranch_execz .LBB468_938
; %bb.937:                              ;   in Loop: Header=BB468_796 Depth=1
	v_and_b32_e32 v19, 7, v6
	v_ffbh_u32_e32 v20, v19
	v_min_u32_e32 v23, 32, v20
	v_subrev_u32_e32 v20, 28, v23
	v_lshlrev_b64 v[20:21], v20, v[6:7]
	v_lshrrev_b32_e32 v22, 3, v4
	v_sub_u32_e32 v21, 29, v23
	v_and_b32_e32 v20, 7, v20
	v_cmp_gt_u32_e32 vcc, 8, v4
	v_cndmask_b32_e32 v4, v22, v21, vcc
	v_cndmask_b32_e32 v19, v19, v20, vcc
	v_lshlrev_b32_e32 v6, 24, v6
	v_lshlrev_b32_e32 v19, 20, v19
	v_and_b32_e32 v6, 0x80000000, v6
	v_lshl_add_u32 v4, v4, 23, v10
	v_or3_b32 v19, v6, v4, v19
.LBB468_938:                            ;   in Loop: Header=BB468_796 Depth=1
	s_or_b64 exec, exec, s[20:21]
.LBB468_939:                            ;   in Loop: Header=BB468_796 Depth=1
	s_or_b64 exec, exec, s[18:19]
.LBB468_940:                            ;   in Loop: Header=BB468_796 Depth=1
	s_or_b64 exec, exec, s[16:17]
	buffer_load_dword v6, v11, s[0:3], 0 offen offset:24
	buffer_load_dword v4, v11, s[0:3], 0 offen offset:28
	v_cvt_pkrtz_f16_f32 v20, v13, v15
	v_cvt_pkrtz_f16_f32 v21, v14, v17
	;; [unrolled: 1-line block ×4, first 2 shown]
	v_mfma_f32_4x4x4f16 a[0:3], v[2:3], v[20:21], a[0:3] cbsz:4 abid:4
	s_waitcnt vmcnt(1)
	v_cmp_ne_u16_sdwa s[18:19], v6, v9 src0_sel:BYTE_0 src1_sel:DWORD
	v_mfma_f32_4x4x4f16 a[0:3], v[2:3], v[14:15], a[0:3] cbsz:4 abid:5
	s_and_saveexec_b64 s[16:17], s[18:19]
	s_cbranch_execz .LBB468_946
; %bb.941:                              ;   in Loop: Header=BB468_796 Depth=1
	v_cmp_ne_u16_sdwa s[20:21], v6, s5 src0_sel:BYTE_0 src1_sel:DWORD
	v_bfrev_b32_e32 v12, 1
	s_and_saveexec_b64 s[18:19], s[20:21]
	s_cbranch_execz .LBB468_945
; %bb.942:                              ;   in Loop: Header=BB468_796 Depth=1
	v_and_b32_e32 v8, 0x7f, v6
	v_cmp_ne_u32_e32 vcc, s22, v8
	v_mov_b32_e32 v12, 0x7f800001
	s_and_saveexec_b64 s[20:21], vcc
	s_cbranch_execz .LBB468_944
; %bb.943:                              ;   in Loop: Header=BB468_796 Depth=1
	v_and_b32_e32 v14, 7, v6
	v_ffbh_u32_e32 v12, v14
	v_min_u32_e32 v16, 32, v12
	v_subrev_u32_e32 v12, 28, v16
	v_lshlrev_b64 v[12:13], v12, v[6:7]
	v_lshrrev_b32_e32 v15, 3, v8
	v_sub_u32_e32 v13, 29, v16
	v_and_b32_e32 v12, 7, v12
	v_cmp_gt_u32_e32 vcc, 8, v8
	v_cndmask_b32_e32 v8, v15, v13, vcc
	v_cndmask_b32_e32 v12, v14, v12, vcc
	v_lshlrev_b32_e32 v13, 24, v6
	v_lshlrev_b32_e32 v12, 20, v12
	v_and_b32_e32 v13, 0x80000000, v13
	v_lshl_add_u32 v8, v8, 23, v10
	v_or3_b32 v12, v13, v8, v12
.LBB468_944:                            ;   in Loop: Header=BB468_796 Depth=1
	s_or_b64 exec, exec, s[20:21]
.LBB468_945:                            ;   in Loop: Header=BB468_796 Depth=1
	s_or_b64 exec, exec, s[18:19]
.LBB468_946:                            ;   in Loop: Header=BB468_796 Depth=1
	s_or_b64 exec, exec, s[16:17]
	v_lshrrev_b16_e32 v8, 8, v6
	v_cmp_ne_u16_e32 vcc, 0, v8
	v_mov_b32_e32 v14, 0
	v_mov_b32_e32 v15, 0
	s_and_saveexec_b64 s[16:17], vcc
	s_cbranch_execz .LBB468_952
; %bb.947:                              ;   in Loop: Header=BB468_796 Depth=1
	v_cmp_ne_u16_e32 vcc, s5, v8
	v_bfrev_b32_e32 v15, 1
	s_and_saveexec_b64 s[18:19], vcc
	s_cbranch_execz .LBB468_951
; %bb.948:                              ;   in Loop: Header=BB468_796 Depth=1
	v_and_b32_e32 v13, 0x7f, v8
	v_cmp_ne_u32_e32 vcc, s22, v13
	v_mov_b32_e32 v15, 0x7f800001
	s_and_saveexec_b64 s[20:21], vcc
	s_cbranch_execz .LBB468_950
; %bb.949:                              ;   in Loop: Header=BB468_796 Depth=1
	v_and_b32_e32 v15, 7, v8
	v_ffbh_u32_e32 v16, v15
	v_min_u32_e32 v19, 32, v16
	v_subrev_u32_e32 v16, 28, v19
	v_lshlrev_b64 v[16:17], v16, v[8:9]
	v_lshrrev_b32_e32 v18, 3, v13
	v_sub_u32_e32 v8, 29, v19
	v_and_b32_e32 v16, 7, v16
	v_cmp_gt_u32_e32 vcc, 8, v13
	v_cndmask_b32_e32 v8, v18, v8, vcc
	v_cndmask_b32_e32 v13, v15, v16, vcc
	v_lshlrev_b32_e32 v15, 16, v6
	v_lshlrev_b32_e32 v13, 20, v13
	v_and_b32_e32 v15, 0x80000000, v15
	v_lshl_add_u32 v8, v8, 23, v10
	v_or3_b32 v15, v15, v8, v13
.LBB468_950:                            ;   in Loop: Header=BB468_796 Depth=1
	s_or_b64 exec, exec, s[20:21]
.LBB468_951:                            ;   in Loop: Header=BB468_796 Depth=1
	s_or_b64 exec, exec, s[18:19]
.LBB468_952:                            ;   in Loop: Header=BB468_796 Depth=1
	s_or_b64 exec, exec, s[16:17]
	v_lshrrev_b32_e32 v8, 16, v6
	v_cmp_ne_u16_sdwa s[18:19], v8, v9 src0_sel:BYTE_0 src1_sel:DWORD
	s_and_saveexec_b64 s[16:17], s[18:19]
	s_cbranch_execz .LBB468_958
; %bb.953:                              ;   in Loop: Header=BB468_796 Depth=1
	v_cmp_ne_u16_sdwa s[20:21], v8, s5 src0_sel:BYTE_0 src1_sel:DWORD
	v_bfrev_b32_e32 v14, 1
	s_and_saveexec_b64 s[18:19], s[20:21]
	s_cbranch_execz .LBB468_957
; %bb.954:                              ;   in Loop: Header=BB468_796 Depth=1
	v_bfe_u32 v13, v6, 16, 7
	v_cmp_ne_u32_e32 vcc, s22, v13
	v_mov_b32_e32 v14, 0x7f800001
	s_and_saveexec_b64 s[20:21], vcc
	s_cbranch_execz .LBB468_956
; %bb.955:                              ;   in Loop: Header=BB468_796 Depth=1
	v_and_b32_e32 v14, 7, v8
	v_ffbh_u32_e32 v16, v14
	v_min_u32_e32 v19, 32, v16
	v_subrev_u32_e32 v16, 28, v19
	v_lshlrev_b64 v[16:17], v16, v[8:9]
	v_lshrrev_b32_e32 v18, 3, v13
	v_sub_u32_e32 v17, 29, v19
	v_and_b32_e32 v16, 7, v16
	v_cmp_gt_u32_e32 vcc, 8, v13
	v_cndmask_b32_e32 v13, v18, v17, vcc
	v_cndmask_b32_e32 v14, v14, v16, vcc
	v_lshlrev_b32_e32 v8, 24, v8
	v_lshlrev_b32_e32 v14, 20, v14
	v_and_b32_e32 v8, 0x80000000, v8
	v_lshl_add_u32 v13, v13, 23, v10
	v_or3_b32 v14, v8, v13, v14
.LBB468_956:                            ;   in Loop: Header=BB468_796 Depth=1
	s_or_b64 exec, exec, s[20:21]
.LBB468_957:                            ;   in Loop: Header=BB468_796 Depth=1
	s_or_b64 exec, exec, s[18:19]
.LBB468_958:                            ;   in Loop: Header=BB468_796 Depth=1
	s_or_b64 exec, exec, s[16:17]
	v_cmp_lt_u32_e32 vcc, s23, v6
	v_mov_b32_e32 v16, 0
	v_mov_b32_e32 v17, 0
	s_and_saveexec_b64 s[16:17], vcc
	s_cbranch_execz .LBB468_964
; %bb.959:                              ;   in Loop: Header=BB468_796 Depth=1
	v_lshrrev_b32_e32 v8, 24, v6
	v_cmp_ne_u32_e32 vcc, s5, v8
	v_bfrev_b32_e32 v17, 1
	s_and_saveexec_b64 s[18:19], vcc
	s_cbranch_execz .LBB468_963
; %bb.960:                              ;   in Loop: Header=BB468_796 Depth=1
	v_bfe_u32 v6, v6, 24, 7
	v_cmp_ne_u32_e32 vcc, s22, v6
	v_mov_b32_e32 v17, 0x7f800001
	s_and_saveexec_b64 s[20:21], vcc
	s_cbranch_execz .LBB468_962
; %bb.961:                              ;   in Loop: Header=BB468_796 Depth=1
	v_and_b32_e32 v13, 7, v8
	v_ffbh_u32_e32 v18, v13
	v_min_u32_e32 v20, 32, v18
	v_subrev_u32_e32 v18, 28, v20
	v_lshlrev_b64 v[18:19], v18, v[8:9]
	v_lshrrev_b32_e32 v17, 3, v6
	v_sub_u32_e32 v19, 29, v20
	v_and_b32_e32 v18, 7, v18
	v_cmp_gt_u32_e32 vcc, 8, v6
	v_cndmask_b32_e32 v6, v17, v19, vcc
	v_cndmask_b32_e32 v13, v13, v18, vcc
	v_lshlrev_b32_e32 v8, 24, v8
	v_lshlrev_b32_e32 v13, 20, v13
	v_and_b32_e32 v8, 0x80000000, v8
	v_lshl_add_u32 v6, v6, 23, v10
	v_or3_b32 v17, v8, v6, v13
.LBB468_962:                            ;   in Loop: Header=BB468_796 Depth=1
	s_or_b64 exec, exec, s[20:21]
.LBB468_963:                            ;   in Loop: Header=BB468_796 Depth=1
	s_or_b64 exec, exec, s[18:19]
.LBB468_964:                            ;   in Loop: Header=BB468_796 Depth=1
	s_or_b64 exec, exec, s[16:17]
	s_waitcnt vmcnt(0)
	v_cmp_ne_u16_sdwa s[18:19], v4, v9 src0_sel:BYTE_0 src1_sel:DWORD
	s_and_saveexec_b64 s[16:17], s[18:19]
	s_cbranch_execz .LBB468_970
; %bb.965:                              ;   in Loop: Header=BB468_796 Depth=1
	v_cmp_ne_u16_sdwa s[20:21], v4, s5 src0_sel:BYTE_0 src1_sel:DWORD
	v_bfrev_b32_e32 v16, 1
	s_and_saveexec_b64 s[18:19], s[20:21]
	s_cbranch_execz .LBB468_969
; %bb.966:                              ;   in Loop: Header=BB468_796 Depth=1
	v_and_b32_e32 v6, 0x7f, v4
	v_cmp_ne_u32_e32 vcc, s22, v6
	v_mov_b32_e32 v16, 0x7f800001
	s_and_saveexec_b64 s[20:21], vcc
	s_cbranch_execz .LBB468_968
; %bb.967:                              ;   in Loop: Header=BB468_796 Depth=1
	v_and_b32_e32 v8, 7, v4
	v_ffbh_u32_e32 v16, v8
	v_min_u32_e32 v16, 32, v16
	v_subrev_u32_e32 v18, 28, v16
	v_lshlrev_b64 v[18:19], v18, v[4:5]
	v_lshrrev_b32_e32 v13, 3, v6
	v_sub_u32_e32 v16, 29, v16
	v_and_b32_e32 v18, 7, v18
	v_cmp_gt_u32_e32 vcc, 8, v6
	v_cndmask_b32_e32 v6, v13, v16, vcc
	v_cndmask_b32_e32 v8, v8, v18, vcc
	v_lshlrev_b32_e32 v13, 24, v4
	v_lshlrev_b32_e32 v8, 20, v8
	v_and_b32_e32 v13, 0x80000000, v13
	v_lshl_add_u32 v6, v6, 23, v10
	v_or3_b32 v16, v13, v6, v8
.LBB468_968:                            ;   in Loop: Header=BB468_796 Depth=1
	s_or_b64 exec, exec, s[20:21]
.LBB468_969:                            ;   in Loop: Header=BB468_796 Depth=1
	s_or_b64 exec, exec, s[18:19]
.LBB468_970:                            ;   in Loop: Header=BB468_796 Depth=1
	s_or_b64 exec, exec, s[16:17]
	v_lshrrev_b16_e32 v6, 8, v4
	v_cmp_ne_u16_e32 vcc, 0, v6
	v_mov_b32_e32 v8, 0
	v_mov_b32_e32 v18, 0
	s_and_saveexec_b64 s[16:17], vcc
	s_cbranch_execz .LBB468_976
; %bb.971:                              ;   in Loop: Header=BB468_796 Depth=1
	v_cmp_ne_u16_e32 vcc, s5, v6
	v_bfrev_b32_e32 v18, 1
	s_and_saveexec_b64 s[18:19], vcc
	s_cbranch_execz .LBB468_975
; %bb.972:                              ;   in Loop: Header=BB468_796 Depth=1
	v_and_b32_e32 v13, 0x7f, v6
	v_cmp_ne_u32_e32 vcc, s22, v13
	v_mov_b32_e32 v18, 0x7f800001
	s_and_saveexec_b64 s[20:21], vcc
	s_cbranch_execz .LBB468_974
; %bb.973:                              ;   in Loop: Header=BB468_796 Depth=1
	v_and_b32_e32 v20, 7, v6
	v_ffbh_u32_e32 v18, v20
	v_min_u32_e32 v22, 32, v18
	v_subrev_u32_e32 v18, 28, v22
	v_lshlrev_b64 v[18:19], v18, v[6:7]
	v_lshrrev_b32_e32 v21, 3, v13
	v_sub_u32_e32 v6, 29, v22
	v_and_b32_e32 v18, 7, v18
	v_cmp_gt_u32_e32 vcc, 8, v13
	v_cndmask_b32_e32 v6, v21, v6, vcc
	v_cndmask_b32_e32 v13, v20, v18, vcc
	v_lshlrev_b32_e32 v18, 16, v4
	v_lshlrev_b32_e32 v13, 20, v13
	v_and_b32_e32 v18, 0x80000000, v18
	v_lshl_add_u32 v6, v6, 23, v10
	v_or3_b32 v18, v18, v6, v13
.LBB468_974:                            ;   in Loop: Header=BB468_796 Depth=1
	s_or_b64 exec, exec, s[20:21]
.LBB468_975:                            ;   in Loop: Header=BB468_796 Depth=1
	s_or_b64 exec, exec, s[18:19]
.LBB468_976:                            ;   in Loop: Header=BB468_796 Depth=1
	s_or_b64 exec, exec, s[16:17]
	v_lshrrev_b32_e32 v6, 16, v4
	v_cmp_ne_u16_sdwa s[18:19], v6, v9 src0_sel:BYTE_0 src1_sel:DWORD
	s_and_saveexec_b64 s[16:17], s[18:19]
	s_cbranch_execz .LBB468_982
; %bb.977:                              ;   in Loop: Header=BB468_796 Depth=1
	v_cmp_ne_u16_sdwa s[20:21], v6, s5 src0_sel:BYTE_0 src1_sel:DWORD
	v_bfrev_b32_e32 v8, 1
	s_and_saveexec_b64 s[18:19], s[20:21]
	s_cbranch_execz .LBB468_981
; %bb.978:                              ;   in Loop: Header=BB468_796 Depth=1
	v_bfe_u32 v13, v4, 16, 7
	v_cmp_ne_u32_e32 vcc, s22, v13
	v_mov_b32_e32 v8, 0x7f800001
	s_and_saveexec_b64 s[20:21], vcc
	s_cbranch_execz .LBB468_980
; %bb.979:                              ;   in Loop: Header=BB468_796 Depth=1
	v_and_b32_e32 v8, 7, v6
	v_ffbh_u32_e32 v20, v8
	v_min_u32_e32 v22, 32, v20
	v_subrev_u32_e32 v20, 28, v22
	v_lshlrev_b64 v[20:21], v20, v[6:7]
	v_lshrrev_b32_e32 v19, 3, v13
	v_sub_u32_e32 v21, 29, v22
	v_and_b32_e32 v20, 7, v20
	v_cmp_gt_u32_e32 vcc, 8, v13
	v_cndmask_b32_e32 v13, v19, v21, vcc
	v_cndmask_b32_e32 v8, v8, v20, vcc
	v_lshlrev_b32_e32 v6, 24, v6
	v_lshlrev_b32_e32 v8, 20, v8
	v_and_b32_e32 v6, 0x80000000, v6
	v_lshl_add_u32 v13, v13, 23, v10
	v_or3_b32 v8, v6, v13, v8
.LBB468_980:                            ;   in Loop: Header=BB468_796 Depth=1
	s_or_b64 exec, exec, s[20:21]
.LBB468_981:                            ;   in Loop: Header=BB468_796 Depth=1
	s_or_b64 exec, exec, s[18:19]
.LBB468_982:                            ;   in Loop: Header=BB468_796 Depth=1
	s_or_b64 exec, exec, s[16:17]
	v_cmp_lt_u32_e32 vcc, s23, v4
	v_mov_b32_e32 v13, 0
	v_mov_b32_e32 v19, 0
	s_and_saveexec_b64 s[16:17], vcc
	s_cbranch_execz .LBB468_988
; %bb.983:                              ;   in Loop: Header=BB468_796 Depth=1
	v_lshrrev_b32_e32 v6, 24, v4
	v_cmp_ne_u32_e32 vcc, s5, v6
	v_bfrev_b32_e32 v19, 1
	s_and_saveexec_b64 s[18:19], vcc
	s_cbranch_execz .LBB468_987
; %bb.984:                              ;   in Loop: Header=BB468_796 Depth=1
	v_bfe_u32 v4, v4, 24, 7
	v_cmp_ne_u32_e32 vcc, s22, v4
	v_mov_b32_e32 v19, 0x7f800001
	s_and_saveexec_b64 s[20:21], vcc
	s_cbranch_execz .LBB468_986
; %bb.985:                              ;   in Loop: Header=BB468_796 Depth=1
	v_and_b32_e32 v19, 7, v6
	v_ffbh_u32_e32 v20, v19
	v_min_u32_e32 v23, 32, v20
	v_subrev_u32_e32 v20, 28, v23
	v_lshlrev_b64 v[20:21], v20, v[6:7]
	v_lshrrev_b32_e32 v22, 3, v4
	v_sub_u32_e32 v21, 29, v23
	v_and_b32_e32 v20, 7, v20
	v_cmp_gt_u32_e32 vcc, 8, v4
	v_cndmask_b32_e32 v4, v22, v21, vcc
	v_cndmask_b32_e32 v19, v19, v20, vcc
	v_lshlrev_b32_e32 v6, 24, v6
	v_lshlrev_b32_e32 v19, 20, v19
	v_and_b32_e32 v6, 0x80000000, v6
	v_lshl_add_u32 v4, v4, 23, v10
	v_or3_b32 v19, v6, v4, v19
.LBB468_986:                            ;   in Loop: Header=BB468_796 Depth=1
	s_or_b64 exec, exec, s[20:21]
.LBB468_987:                            ;   in Loop: Header=BB468_796 Depth=1
	s_or_b64 exec, exec, s[18:19]
.LBB468_988:                            ;   in Loop: Header=BB468_796 Depth=1
	s_or_b64 exec, exec, s[16:17]
	buffer_load_dword v6, v11, s[0:3], 0 offen offset:32
	buffer_load_dword v4, v11, s[0:3], 0 offen offset:36
	v_cvt_pkrtz_f16_f32 v20, v12, v15
	v_cvt_pkrtz_f16_f32 v21, v14, v17
	;; [unrolled: 1-line block ×4, first 2 shown]
	v_mfma_f32_4x4x4f16 a[0:3], v[2:3], v[20:21], a[0:3] cbsz:4 abid:6
	s_waitcnt vmcnt(1)
	v_cmp_ne_u16_sdwa s[18:19], v6, v9 src0_sel:BYTE_0 src1_sel:DWORD
	v_mfma_f32_4x4x4f16 a[0:3], v[2:3], v[14:15], a[0:3] cbsz:4 abid:7
	s_and_saveexec_b64 s[16:17], s[18:19]
	s_cbranch_execz .LBB468_994
; %bb.989:                              ;   in Loop: Header=BB468_796 Depth=1
	v_cmp_ne_u16_sdwa s[20:21], v6, s5 src0_sel:BYTE_0 src1_sel:DWORD
	v_bfrev_b32_e32 v13, 1
	s_and_saveexec_b64 s[18:19], s[20:21]
	s_cbranch_execz .LBB468_993
; %bb.990:                              ;   in Loop: Header=BB468_796 Depth=1
	v_and_b32_e32 v8, 0x7f, v6
	v_cmp_ne_u32_e32 vcc, s22, v8
	v_mov_b32_e32 v13, 0x7f800001
	s_and_saveexec_b64 s[20:21], vcc
	s_cbranch_execz .LBB468_992
; %bb.991:                              ;   in Loop: Header=BB468_796 Depth=1
	v_and_b32_e32 v14, 7, v6
	v_ffbh_u32_e32 v12, v14
	v_min_u32_e32 v16, 32, v12
	v_subrev_u32_e32 v12, 28, v16
	v_lshlrev_b64 v[12:13], v12, v[6:7]
	v_lshrrev_b32_e32 v15, 3, v8
	v_sub_u32_e32 v13, 29, v16
	v_and_b32_e32 v12, 7, v12
	v_cmp_gt_u32_e32 vcc, 8, v8
	v_cndmask_b32_e32 v8, v15, v13, vcc
	v_cndmask_b32_e32 v12, v14, v12, vcc
	v_lshlrev_b32_e32 v13, 24, v6
	v_lshlrev_b32_e32 v12, 20, v12
	v_and_b32_e32 v13, 0x80000000, v13
	v_lshl_add_u32 v8, v8, 23, v10
	v_or3_b32 v13, v13, v8, v12
.LBB468_992:                            ;   in Loop: Header=BB468_796 Depth=1
	s_or_b64 exec, exec, s[20:21]
.LBB468_993:                            ;   in Loop: Header=BB468_796 Depth=1
	s_or_b64 exec, exec, s[18:19]
.LBB468_994:                            ;   in Loop: Header=BB468_796 Depth=1
	s_or_b64 exec, exec, s[16:17]
	v_lshrrev_b16_e32 v8, 8, v6
	v_cmp_ne_u16_e32 vcc, 0, v8
	v_mov_b32_e32 v12, 0
	v_mov_b32_e32 v15, 0
	s_and_saveexec_b64 s[16:17], vcc
	s_cbranch_execz .LBB468_1000
; %bb.995:                              ;   in Loop: Header=BB468_796 Depth=1
	v_cmp_ne_u16_e32 vcc, s5, v8
	v_bfrev_b32_e32 v15, 1
	s_and_saveexec_b64 s[18:19], vcc
	s_cbranch_execz .LBB468_999
; %bb.996:                              ;   in Loop: Header=BB468_796 Depth=1
	v_and_b32_e32 v14, 0x7f, v8
	v_cmp_ne_u32_e32 vcc, s22, v14
	v_mov_b32_e32 v15, 0x7f800001
	s_and_saveexec_b64 s[20:21], vcc
	s_cbranch_execz .LBB468_998
; %bb.997:                              ;   in Loop: Header=BB468_796 Depth=1
	v_and_b32_e32 v15, 7, v8
	v_ffbh_u32_e32 v16, v15
	v_min_u32_e32 v19, 32, v16
	v_subrev_u32_e32 v16, 28, v19
	v_lshlrev_b64 v[16:17], v16, v[8:9]
	v_lshrrev_b32_e32 v18, 3, v14
	v_sub_u32_e32 v8, 29, v19
	v_and_b32_e32 v16, 7, v16
	v_cmp_gt_u32_e32 vcc, 8, v14
	v_cndmask_b32_e32 v8, v18, v8, vcc
	v_cndmask_b32_e32 v14, v15, v16, vcc
	v_lshlrev_b32_e32 v15, 16, v6
	v_lshlrev_b32_e32 v14, 20, v14
	v_and_b32_e32 v15, 0x80000000, v15
	v_lshl_add_u32 v8, v8, 23, v10
	v_or3_b32 v15, v15, v8, v14
.LBB468_998:                            ;   in Loop: Header=BB468_796 Depth=1
	s_or_b64 exec, exec, s[20:21]
.LBB468_999:                            ;   in Loop: Header=BB468_796 Depth=1
	s_or_b64 exec, exec, s[18:19]
.LBB468_1000:                           ;   in Loop: Header=BB468_796 Depth=1
	s_or_b64 exec, exec, s[16:17]
	v_lshrrev_b32_e32 v8, 16, v6
	v_cmp_ne_u16_sdwa s[18:19], v8, v9 src0_sel:BYTE_0 src1_sel:DWORD
	s_and_saveexec_b64 s[16:17], s[18:19]
	s_cbranch_execz .LBB468_1006
; %bb.1001:                             ;   in Loop: Header=BB468_796 Depth=1
	v_cmp_ne_u16_sdwa s[20:21], v8, s5 src0_sel:BYTE_0 src1_sel:DWORD
	v_bfrev_b32_e32 v12, 1
	s_and_saveexec_b64 s[18:19], s[20:21]
	s_cbranch_execz .LBB468_1005
; %bb.1002:                             ;   in Loop: Header=BB468_796 Depth=1
	v_bfe_u32 v14, v6, 16, 7
	v_cmp_ne_u32_e32 vcc, s22, v14
	v_mov_b32_e32 v12, 0x7f800001
	s_and_saveexec_b64 s[20:21], vcc
	s_cbranch_execz .LBB468_1004
; %bb.1003:                             ;   in Loop: Header=BB468_796 Depth=1
	v_and_b32_e32 v12, 7, v8
	v_ffbh_u32_e32 v16, v12
	v_min_u32_e32 v19, 32, v16
	v_subrev_u32_e32 v16, 28, v19
	v_lshlrev_b64 v[16:17], v16, v[8:9]
	v_lshrrev_b32_e32 v18, 3, v14
	v_sub_u32_e32 v17, 29, v19
	v_and_b32_e32 v16, 7, v16
	v_cmp_gt_u32_e32 vcc, 8, v14
	v_cndmask_b32_e32 v14, v18, v17, vcc
	v_cndmask_b32_e32 v12, v12, v16, vcc
	v_lshlrev_b32_e32 v8, 24, v8
	v_lshlrev_b32_e32 v12, 20, v12
	v_and_b32_e32 v8, 0x80000000, v8
	v_lshl_add_u32 v14, v14, 23, v10
	v_or3_b32 v12, v8, v14, v12
.LBB468_1004:                           ;   in Loop: Header=BB468_796 Depth=1
	s_or_b64 exec, exec, s[20:21]
.LBB468_1005:                           ;   in Loop: Header=BB468_796 Depth=1
	s_or_b64 exec, exec, s[18:19]
.LBB468_1006:                           ;   in Loop: Header=BB468_796 Depth=1
	s_or_b64 exec, exec, s[16:17]
	v_cmp_lt_u32_e32 vcc, s23, v6
	v_mov_b32_e32 v16, 0
	v_mov_b32_e32 v17, 0
	s_and_saveexec_b64 s[16:17], vcc
	s_cbranch_execz .LBB468_1012
; %bb.1007:                             ;   in Loop: Header=BB468_796 Depth=1
	v_lshrrev_b32_e32 v8, 24, v6
	v_cmp_ne_u32_e32 vcc, s5, v8
	v_bfrev_b32_e32 v17, 1
	s_and_saveexec_b64 s[18:19], vcc
	s_cbranch_execz .LBB468_1011
; %bb.1008:                             ;   in Loop: Header=BB468_796 Depth=1
	v_bfe_u32 v6, v6, 24, 7
	v_cmp_ne_u32_e32 vcc, s22, v6
	v_mov_b32_e32 v17, 0x7f800001
	s_and_saveexec_b64 s[20:21], vcc
	s_cbranch_execz .LBB468_1010
; %bb.1009:                             ;   in Loop: Header=BB468_796 Depth=1
	v_and_b32_e32 v14, 7, v8
	v_ffbh_u32_e32 v18, v14
	v_min_u32_e32 v20, 32, v18
	v_subrev_u32_e32 v18, 28, v20
	v_lshlrev_b64 v[18:19], v18, v[8:9]
	v_lshrrev_b32_e32 v17, 3, v6
	v_sub_u32_e32 v19, 29, v20
	v_and_b32_e32 v18, 7, v18
	v_cmp_gt_u32_e32 vcc, 8, v6
	v_cndmask_b32_e32 v6, v17, v19, vcc
	v_cndmask_b32_e32 v14, v14, v18, vcc
	v_lshlrev_b32_e32 v8, 24, v8
	v_lshlrev_b32_e32 v14, 20, v14
	v_and_b32_e32 v8, 0x80000000, v8
	v_lshl_add_u32 v6, v6, 23, v10
	v_or3_b32 v17, v8, v6, v14
.LBB468_1010:                           ;   in Loop: Header=BB468_796 Depth=1
	s_or_b64 exec, exec, s[20:21]
.LBB468_1011:                           ;   in Loop: Header=BB468_796 Depth=1
	s_or_b64 exec, exec, s[18:19]
.LBB468_1012:                           ;   in Loop: Header=BB468_796 Depth=1
	s_or_b64 exec, exec, s[16:17]
	s_waitcnt vmcnt(0)
	v_cmp_ne_u16_sdwa s[18:19], v4, v9 src0_sel:BYTE_0 src1_sel:DWORD
	s_and_saveexec_b64 s[16:17], s[18:19]
	s_cbranch_execz .LBB468_1018
; %bb.1013:                             ;   in Loop: Header=BB468_796 Depth=1
	v_cmp_ne_u16_sdwa s[20:21], v4, s5 src0_sel:BYTE_0 src1_sel:DWORD
	v_bfrev_b32_e32 v16, 1
	s_and_saveexec_b64 s[18:19], s[20:21]
	s_cbranch_execz .LBB468_1017
; %bb.1014:                             ;   in Loop: Header=BB468_796 Depth=1
	v_and_b32_e32 v6, 0x7f, v4
	v_cmp_ne_u32_e32 vcc, s22, v6
	v_mov_b32_e32 v16, 0x7f800001
	s_and_saveexec_b64 s[20:21], vcc
	s_cbranch_execz .LBB468_1016
; %bb.1015:                             ;   in Loop: Header=BB468_796 Depth=1
	v_and_b32_e32 v8, 7, v4
	v_ffbh_u32_e32 v16, v8
	v_min_u32_e32 v16, 32, v16
	v_subrev_u32_e32 v18, 28, v16
	v_lshlrev_b64 v[18:19], v18, v[4:5]
	v_lshrrev_b32_e32 v14, 3, v6
	v_sub_u32_e32 v16, 29, v16
	v_and_b32_e32 v18, 7, v18
	v_cmp_gt_u32_e32 vcc, 8, v6
	v_cndmask_b32_e32 v6, v14, v16, vcc
	v_cndmask_b32_e32 v8, v8, v18, vcc
	v_lshlrev_b32_e32 v14, 24, v4
	v_lshlrev_b32_e32 v8, 20, v8
	v_and_b32_e32 v14, 0x80000000, v14
	v_lshl_add_u32 v6, v6, 23, v10
	v_or3_b32 v16, v14, v6, v8
.LBB468_1016:                           ;   in Loop: Header=BB468_796 Depth=1
	s_or_b64 exec, exec, s[20:21]
.LBB468_1017:                           ;   in Loop: Header=BB468_796 Depth=1
	s_or_b64 exec, exec, s[18:19]
.LBB468_1018:                           ;   in Loop: Header=BB468_796 Depth=1
	s_or_b64 exec, exec, s[16:17]
	v_lshrrev_b16_e32 v6, 8, v4
	v_cmp_ne_u16_e32 vcc, 0, v6
	v_mov_b32_e32 v8, 0
	v_mov_b32_e32 v18, 0
	s_and_saveexec_b64 s[16:17], vcc
	s_cbranch_execz .LBB468_1024
; %bb.1019:                             ;   in Loop: Header=BB468_796 Depth=1
	v_cmp_ne_u16_e32 vcc, s5, v6
	v_bfrev_b32_e32 v18, 1
	s_and_saveexec_b64 s[18:19], vcc
	s_cbranch_execz .LBB468_1023
; %bb.1020:                             ;   in Loop: Header=BB468_796 Depth=1
	v_and_b32_e32 v14, 0x7f, v6
	v_cmp_ne_u32_e32 vcc, s22, v14
	v_mov_b32_e32 v18, 0x7f800001
	s_and_saveexec_b64 s[20:21], vcc
	s_cbranch_execz .LBB468_1022
; %bb.1021:                             ;   in Loop: Header=BB468_796 Depth=1
	v_and_b32_e32 v20, 7, v6
	v_ffbh_u32_e32 v18, v20
	v_min_u32_e32 v22, 32, v18
	v_subrev_u32_e32 v18, 28, v22
	v_lshlrev_b64 v[18:19], v18, v[6:7]
	v_lshrrev_b32_e32 v21, 3, v14
	v_sub_u32_e32 v6, 29, v22
	v_and_b32_e32 v18, 7, v18
	v_cmp_gt_u32_e32 vcc, 8, v14
	v_cndmask_b32_e32 v6, v21, v6, vcc
	v_cndmask_b32_e32 v14, v20, v18, vcc
	v_lshlrev_b32_e32 v18, 16, v4
	v_lshlrev_b32_e32 v14, 20, v14
	v_and_b32_e32 v18, 0x80000000, v18
	v_lshl_add_u32 v6, v6, 23, v10
	v_or3_b32 v18, v18, v6, v14
.LBB468_1022:                           ;   in Loop: Header=BB468_796 Depth=1
	s_or_b64 exec, exec, s[20:21]
.LBB468_1023:                           ;   in Loop: Header=BB468_796 Depth=1
	s_or_b64 exec, exec, s[18:19]
.LBB468_1024:                           ;   in Loop: Header=BB468_796 Depth=1
	s_or_b64 exec, exec, s[16:17]
	v_lshrrev_b32_e32 v6, 16, v4
	v_cmp_ne_u16_sdwa s[18:19], v6, v9 src0_sel:BYTE_0 src1_sel:DWORD
	s_and_saveexec_b64 s[16:17], s[18:19]
	s_cbranch_execz .LBB468_1030
; %bb.1025:                             ;   in Loop: Header=BB468_796 Depth=1
	v_cmp_ne_u16_sdwa s[20:21], v6, s5 src0_sel:BYTE_0 src1_sel:DWORD
	v_bfrev_b32_e32 v8, 1
	s_and_saveexec_b64 s[18:19], s[20:21]
	s_cbranch_execz .LBB468_1029
; %bb.1026:                             ;   in Loop: Header=BB468_796 Depth=1
	v_bfe_u32 v14, v4, 16, 7
	v_cmp_ne_u32_e32 vcc, s22, v14
	v_mov_b32_e32 v8, 0x7f800001
	s_and_saveexec_b64 s[20:21], vcc
	s_cbranch_execz .LBB468_1028
; %bb.1027:                             ;   in Loop: Header=BB468_796 Depth=1
	v_and_b32_e32 v8, 7, v6
	v_ffbh_u32_e32 v20, v8
	v_min_u32_e32 v22, 32, v20
	v_subrev_u32_e32 v20, 28, v22
	v_lshlrev_b64 v[20:21], v20, v[6:7]
	v_lshrrev_b32_e32 v19, 3, v14
	v_sub_u32_e32 v21, 29, v22
	v_and_b32_e32 v20, 7, v20
	v_cmp_gt_u32_e32 vcc, 8, v14
	v_cndmask_b32_e32 v14, v19, v21, vcc
	v_cndmask_b32_e32 v8, v8, v20, vcc
	v_lshlrev_b32_e32 v6, 24, v6
	v_lshlrev_b32_e32 v8, 20, v8
	v_and_b32_e32 v6, 0x80000000, v6
	v_lshl_add_u32 v14, v14, 23, v10
	v_or3_b32 v8, v6, v14, v8
.LBB468_1028:                           ;   in Loop: Header=BB468_796 Depth=1
	s_or_b64 exec, exec, s[20:21]
.LBB468_1029:                           ;   in Loop: Header=BB468_796 Depth=1
	s_or_b64 exec, exec, s[18:19]
.LBB468_1030:                           ;   in Loop: Header=BB468_796 Depth=1
	s_or_b64 exec, exec, s[16:17]
	v_cmp_lt_u32_e32 vcc, s23, v4
	v_mov_b32_e32 v14, 0
	v_mov_b32_e32 v19, 0
	s_and_saveexec_b64 s[16:17], vcc
	s_cbranch_execz .LBB468_1036
; %bb.1031:                             ;   in Loop: Header=BB468_796 Depth=1
	v_lshrrev_b32_e32 v6, 24, v4
	v_cmp_ne_u32_e32 vcc, s5, v6
	v_bfrev_b32_e32 v19, 1
	s_and_saveexec_b64 s[18:19], vcc
	s_cbranch_execz .LBB468_1035
; %bb.1032:                             ;   in Loop: Header=BB468_796 Depth=1
	v_bfe_u32 v4, v4, 24, 7
	v_cmp_ne_u32_e32 vcc, s22, v4
	v_mov_b32_e32 v19, 0x7f800001
	s_and_saveexec_b64 s[20:21], vcc
	s_cbranch_execz .LBB468_1034
; %bb.1033:                             ;   in Loop: Header=BB468_796 Depth=1
	v_and_b32_e32 v19, 7, v6
	v_ffbh_u32_e32 v20, v19
	v_min_u32_e32 v23, 32, v20
	v_subrev_u32_e32 v20, 28, v23
	v_lshlrev_b64 v[20:21], v20, v[6:7]
	v_lshrrev_b32_e32 v22, 3, v4
	v_sub_u32_e32 v21, 29, v23
	v_and_b32_e32 v20, 7, v20
	v_cmp_gt_u32_e32 vcc, 8, v4
	v_cndmask_b32_e32 v4, v22, v21, vcc
	v_cndmask_b32_e32 v19, v19, v20, vcc
	v_lshlrev_b32_e32 v6, 24, v6
	v_lshlrev_b32_e32 v19, 20, v19
	v_and_b32_e32 v6, 0x80000000, v6
	v_lshl_add_u32 v4, v4, 23, v10
	v_or3_b32 v19, v6, v4, v19
.LBB468_1034:                           ;   in Loop: Header=BB468_796 Depth=1
	s_or_b64 exec, exec, s[20:21]
.LBB468_1035:                           ;   in Loop: Header=BB468_796 Depth=1
	s_or_b64 exec, exec, s[18:19]
.LBB468_1036:                           ;   in Loop: Header=BB468_796 Depth=1
	s_or_b64 exec, exec, s[16:17]
	buffer_load_dword v6, v11, s[0:3], 0 offen offset:40
	buffer_load_dword v4, v11, s[0:3], 0 offen offset:44
	v_cvt_pkrtz_f16_f32 v20, v13, v15
	v_cvt_pkrtz_f16_f32 v21, v12, v17
	;; [unrolled: 1-line block ×4, first 2 shown]
	v_mfma_f32_4x4x4f16 a[0:3], v[2:3], v[20:21], a[0:3] cbsz:4 abid:8
	s_waitcnt vmcnt(1)
	v_cmp_ne_u16_sdwa s[18:19], v6, v9 src0_sel:BYTE_0 src1_sel:DWORD
	v_mfma_f32_4x4x4f16 a[0:3], v[2:3], v[12:13], a[0:3] cbsz:4 abid:9
	s_and_saveexec_b64 s[16:17], s[18:19]
	s_cbranch_execz .LBB468_1042
; %bb.1037:                             ;   in Loop: Header=BB468_796 Depth=1
	v_cmp_ne_u16_sdwa s[20:21], v6, s5 src0_sel:BYTE_0 src1_sel:DWORD
	v_bfrev_b32_e32 v14, 1
	s_and_saveexec_b64 s[18:19], s[20:21]
	s_cbranch_execz .LBB468_1041
; %bb.1038:                             ;   in Loop: Header=BB468_796 Depth=1
	v_and_b32_e32 v8, 0x7f, v6
	v_cmp_ne_u32_e32 vcc, s22, v8
	v_mov_b32_e32 v14, 0x7f800001
	s_and_saveexec_b64 s[20:21], vcc
	s_cbranch_execz .LBB468_1040
; %bb.1039:                             ;   in Loop: Header=BB468_796 Depth=1
	v_and_b32_e32 v14, 7, v6
	v_ffbh_u32_e32 v12, v14
	v_min_u32_e32 v16, 32, v12
	v_subrev_u32_e32 v12, 28, v16
	v_lshlrev_b64 v[12:13], v12, v[6:7]
	v_lshrrev_b32_e32 v15, 3, v8
	v_sub_u32_e32 v13, 29, v16
	v_and_b32_e32 v12, 7, v12
	v_cmp_gt_u32_e32 vcc, 8, v8
	v_cndmask_b32_e32 v8, v15, v13, vcc
	v_cndmask_b32_e32 v12, v14, v12, vcc
	v_lshlrev_b32_e32 v13, 24, v6
	v_lshlrev_b32_e32 v12, 20, v12
	v_and_b32_e32 v13, 0x80000000, v13
	v_lshl_add_u32 v8, v8, 23, v10
	v_or3_b32 v14, v13, v8, v12
.LBB468_1040:                           ;   in Loop: Header=BB468_796 Depth=1
	s_or_b64 exec, exec, s[20:21]
.LBB468_1041:                           ;   in Loop: Header=BB468_796 Depth=1
	s_or_b64 exec, exec, s[18:19]
.LBB468_1042:                           ;   in Loop: Header=BB468_796 Depth=1
	s_or_b64 exec, exec, s[16:17]
	v_lshrrev_b16_e32 v8, 8, v6
	v_cmp_ne_u16_e32 vcc, 0, v8
	v_mov_b32_e32 v13, 0
	v_mov_b32_e32 v15, 0
	s_and_saveexec_b64 s[16:17], vcc
	s_cbranch_execz .LBB468_1048
; %bb.1043:                             ;   in Loop: Header=BB468_796 Depth=1
	v_cmp_ne_u16_e32 vcc, s5, v8
	v_bfrev_b32_e32 v15, 1
	s_and_saveexec_b64 s[18:19], vcc
	s_cbranch_execz .LBB468_1047
; %bb.1044:                             ;   in Loop: Header=BB468_796 Depth=1
	v_and_b32_e32 v12, 0x7f, v8
	v_cmp_ne_u32_e32 vcc, s22, v12
	v_mov_b32_e32 v15, 0x7f800001
	s_and_saveexec_b64 s[20:21], vcc
	s_cbranch_execz .LBB468_1046
; %bb.1045:                             ;   in Loop: Header=BB468_796 Depth=1
	v_and_b32_e32 v15, 7, v8
	v_ffbh_u32_e32 v16, v15
	v_min_u32_e32 v19, 32, v16
	v_subrev_u32_e32 v16, 28, v19
	v_lshlrev_b64 v[16:17], v16, v[8:9]
	v_lshrrev_b32_e32 v18, 3, v12
	v_sub_u32_e32 v8, 29, v19
	v_and_b32_e32 v16, 7, v16
	v_cmp_gt_u32_e32 vcc, 8, v12
	v_cndmask_b32_e32 v8, v18, v8, vcc
	v_cndmask_b32_e32 v12, v15, v16, vcc
	v_lshlrev_b32_e32 v15, 16, v6
	v_lshlrev_b32_e32 v12, 20, v12
	v_and_b32_e32 v15, 0x80000000, v15
	v_lshl_add_u32 v8, v8, 23, v10
	v_or3_b32 v15, v15, v8, v12
.LBB468_1046:                           ;   in Loop: Header=BB468_796 Depth=1
	s_or_b64 exec, exec, s[20:21]
.LBB468_1047:                           ;   in Loop: Header=BB468_796 Depth=1
	s_or_b64 exec, exec, s[18:19]
.LBB468_1048:                           ;   in Loop: Header=BB468_796 Depth=1
	s_or_b64 exec, exec, s[16:17]
	v_lshrrev_b32_e32 v8, 16, v6
	v_cmp_ne_u16_sdwa s[18:19], v8, v9 src0_sel:BYTE_0 src1_sel:DWORD
	s_and_saveexec_b64 s[16:17], s[18:19]
	s_cbranch_execz .LBB468_1054
; %bb.1049:                             ;   in Loop: Header=BB468_796 Depth=1
	v_cmp_ne_u16_sdwa s[20:21], v8, s5 src0_sel:BYTE_0 src1_sel:DWORD
	v_bfrev_b32_e32 v13, 1
	s_and_saveexec_b64 s[18:19], s[20:21]
	s_cbranch_execz .LBB468_1053
; %bb.1050:                             ;   in Loop: Header=BB468_796 Depth=1
	v_bfe_u32 v12, v6, 16, 7
	v_cmp_ne_u32_e32 vcc, s22, v12
	v_mov_b32_e32 v13, 0x7f800001
	s_and_saveexec_b64 s[20:21], vcc
	s_cbranch_execz .LBB468_1052
; %bb.1051:                             ;   in Loop: Header=BB468_796 Depth=1
	v_and_b32_e32 v13, 7, v8
	v_ffbh_u32_e32 v16, v13
	v_min_u32_e32 v19, 32, v16
	v_subrev_u32_e32 v16, 28, v19
	v_lshlrev_b64 v[16:17], v16, v[8:9]
	v_lshrrev_b32_e32 v18, 3, v12
	v_sub_u32_e32 v17, 29, v19
	v_and_b32_e32 v16, 7, v16
	v_cmp_gt_u32_e32 vcc, 8, v12
	v_cndmask_b32_e32 v12, v18, v17, vcc
	v_cndmask_b32_e32 v13, v13, v16, vcc
	v_lshlrev_b32_e32 v8, 24, v8
	v_lshlrev_b32_e32 v13, 20, v13
	v_and_b32_e32 v8, 0x80000000, v8
	v_lshl_add_u32 v12, v12, 23, v10
	v_or3_b32 v13, v8, v12, v13
.LBB468_1052:                           ;   in Loop: Header=BB468_796 Depth=1
	s_or_b64 exec, exec, s[20:21]
.LBB468_1053:                           ;   in Loop: Header=BB468_796 Depth=1
	s_or_b64 exec, exec, s[18:19]
.LBB468_1054:                           ;   in Loop: Header=BB468_796 Depth=1
	s_or_b64 exec, exec, s[16:17]
	v_cmp_lt_u32_e32 vcc, s23, v6
	v_mov_b32_e32 v16, 0
	v_mov_b32_e32 v17, 0
	s_and_saveexec_b64 s[16:17], vcc
	s_cbranch_execz .LBB468_1060
; %bb.1055:                             ;   in Loop: Header=BB468_796 Depth=1
	v_lshrrev_b32_e32 v8, 24, v6
	v_cmp_ne_u32_e32 vcc, s5, v8
	v_bfrev_b32_e32 v17, 1
	s_and_saveexec_b64 s[18:19], vcc
	s_cbranch_execz .LBB468_1059
; %bb.1056:                             ;   in Loop: Header=BB468_796 Depth=1
	v_bfe_u32 v6, v6, 24, 7
	v_cmp_ne_u32_e32 vcc, s22, v6
	v_mov_b32_e32 v17, 0x7f800001
	s_and_saveexec_b64 s[20:21], vcc
	s_cbranch_execz .LBB468_1058
; %bb.1057:                             ;   in Loop: Header=BB468_796 Depth=1
	v_and_b32_e32 v12, 7, v8
	v_ffbh_u32_e32 v18, v12
	v_min_u32_e32 v20, 32, v18
	v_subrev_u32_e32 v18, 28, v20
	v_lshlrev_b64 v[18:19], v18, v[8:9]
	v_lshrrev_b32_e32 v17, 3, v6
	v_sub_u32_e32 v19, 29, v20
	v_and_b32_e32 v18, 7, v18
	v_cmp_gt_u32_e32 vcc, 8, v6
	v_cndmask_b32_e32 v6, v17, v19, vcc
	v_cndmask_b32_e32 v12, v12, v18, vcc
	v_lshlrev_b32_e32 v8, 24, v8
	v_lshlrev_b32_e32 v12, 20, v12
	v_and_b32_e32 v8, 0x80000000, v8
	v_lshl_add_u32 v6, v6, 23, v10
	v_or3_b32 v17, v8, v6, v12
.LBB468_1058:                           ;   in Loop: Header=BB468_796 Depth=1
	s_or_b64 exec, exec, s[20:21]
.LBB468_1059:                           ;   in Loop: Header=BB468_796 Depth=1
	s_or_b64 exec, exec, s[18:19]
.LBB468_1060:                           ;   in Loop: Header=BB468_796 Depth=1
	s_or_b64 exec, exec, s[16:17]
	s_waitcnt vmcnt(0)
	v_cmp_ne_u16_sdwa s[18:19], v4, v9 src0_sel:BYTE_0 src1_sel:DWORD
	s_and_saveexec_b64 s[16:17], s[18:19]
	s_cbranch_execz .LBB468_1066
; %bb.1061:                             ;   in Loop: Header=BB468_796 Depth=1
	v_cmp_ne_u16_sdwa s[20:21], v4, s5 src0_sel:BYTE_0 src1_sel:DWORD
	v_bfrev_b32_e32 v16, 1
	s_and_saveexec_b64 s[18:19], s[20:21]
	s_cbranch_execz .LBB468_1065
; %bb.1062:                             ;   in Loop: Header=BB468_796 Depth=1
	v_and_b32_e32 v6, 0x7f, v4
	v_cmp_ne_u32_e32 vcc, s22, v6
	v_mov_b32_e32 v16, 0x7f800001
	s_and_saveexec_b64 s[20:21], vcc
	s_cbranch_execz .LBB468_1064
; %bb.1063:                             ;   in Loop: Header=BB468_796 Depth=1
	v_and_b32_e32 v8, 7, v4
	v_ffbh_u32_e32 v16, v8
	v_min_u32_e32 v16, 32, v16
	v_subrev_u32_e32 v18, 28, v16
	v_lshlrev_b64 v[18:19], v18, v[4:5]
	v_lshrrev_b32_e32 v12, 3, v6
	v_sub_u32_e32 v16, 29, v16
	v_and_b32_e32 v18, 7, v18
	v_cmp_gt_u32_e32 vcc, 8, v6
	v_cndmask_b32_e32 v6, v12, v16, vcc
	v_cndmask_b32_e32 v8, v8, v18, vcc
	v_lshlrev_b32_e32 v12, 24, v4
	v_lshlrev_b32_e32 v8, 20, v8
	v_and_b32_e32 v12, 0x80000000, v12
	v_lshl_add_u32 v6, v6, 23, v10
	v_or3_b32 v16, v12, v6, v8
.LBB468_1064:                           ;   in Loop: Header=BB468_796 Depth=1
	s_or_b64 exec, exec, s[20:21]
.LBB468_1065:                           ;   in Loop: Header=BB468_796 Depth=1
	s_or_b64 exec, exec, s[18:19]
.LBB468_1066:                           ;   in Loop: Header=BB468_796 Depth=1
	s_or_b64 exec, exec, s[16:17]
	v_lshrrev_b16_e32 v6, 8, v4
	v_cmp_ne_u16_e32 vcc, 0, v6
	v_mov_b32_e32 v8, 0
	v_mov_b32_e32 v18, 0
	s_and_saveexec_b64 s[16:17], vcc
	s_cbranch_execz .LBB468_1072
; %bb.1067:                             ;   in Loop: Header=BB468_796 Depth=1
	v_cmp_ne_u16_e32 vcc, s5, v6
	v_bfrev_b32_e32 v18, 1
	s_and_saveexec_b64 s[18:19], vcc
	s_cbranch_execz .LBB468_1071
; %bb.1068:                             ;   in Loop: Header=BB468_796 Depth=1
	v_and_b32_e32 v12, 0x7f, v6
	v_cmp_ne_u32_e32 vcc, s22, v12
	v_mov_b32_e32 v18, 0x7f800001
	s_and_saveexec_b64 s[20:21], vcc
	s_cbranch_execz .LBB468_1070
; %bb.1069:                             ;   in Loop: Header=BB468_796 Depth=1
	v_and_b32_e32 v20, 7, v6
	v_ffbh_u32_e32 v18, v20
	v_min_u32_e32 v22, 32, v18
	v_subrev_u32_e32 v18, 28, v22
	v_lshlrev_b64 v[18:19], v18, v[6:7]
	v_lshrrev_b32_e32 v21, 3, v12
	v_sub_u32_e32 v6, 29, v22
	v_and_b32_e32 v18, 7, v18
	v_cmp_gt_u32_e32 vcc, 8, v12
	v_cndmask_b32_e32 v6, v21, v6, vcc
	v_cndmask_b32_e32 v12, v20, v18, vcc
	v_lshlrev_b32_e32 v18, 16, v4
	v_lshlrev_b32_e32 v12, 20, v12
	v_and_b32_e32 v18, 0x80000000, v18
	v_lshl_add_u32 v6, v6, 23, v10
	v_or3_b32 v18, v18, v6, v12
.LBB468_1070:                           ;   in Loop: Header=BB468_796 Depth=1
	s_or_b64 exec, exec, s[20:21]
.LBB468_1071:                           ;   in Loop: Header=BB468_796 Depth=1
	s_or_b64 exec, exec, s[18:19]
.LBB468_1072:                           ;   in Loop: Header=BB468_796 Depth=1
	s_or_b64 exec, exec, s[16:17]
	v_lshrrev_b32_e32 v6, 16, v4
	v_cmp_ne_u16_sdwa s[18:19], v6, v9 src0_sel:BYTE_0 src1_sel:DWORD
	s_and_saveexec_b64 s[16:17], s[18:19]
	s_cbranch_execz .LBB468_1078
; %bb.1073:                             ;   in Loop: Header=BB468_796 Depth=1
	v_cmp_ne_u16_sdwa s[20:21], v6, s5 src0_sel:BYTE_0 src1_sel:DWORD
	v_bfrev_b32_e32 v8, 1
	s_and_saveexec_b64 s[18:19], s[20:21]
	s_cbranch_execz .LBB468_1077
; %bb.1074:                             ;   in Loop: Header=BB468_796 Depth=1
	v_bfe_u32 v12, v4, 16, 7
	v_cmp_ne_u32_e32 vcc, s22, v12
	v_mov_b32_e32 v8, 0x7f800001
	s_and_saveexec_b64 s[20:21], vcc
	s_cbranch_execz .LBB468_1076
; %bb.1075:                             ;   in Loop: Header=BB468_796 Depth=1
	v_and_b32_e32 v8, 7, v6
	v_ffbh_u32_e32 v20, v8
	v_min_u32_e32 v22, 32, v20
	v_subrev_u32_e32 v20, 28, v22
	v_lshlrev_b64 v[20:21], v20, v[6:7]
	v_lshrrev_b32_e32 v19, 3, v12
	v_sub_u32_e32 v21, 29, v22
	v_and_b32_e32 v20, 7, v20
	v_cmp_gt_u32_e32 vcc, 8, v12
	v_cndmask_b32_e32 v12, v19, v21, vcc
	v_cndmask_b32_e32 v8, v8, v20, vcc
	v_lshlrev_b32_e32 v6, 24, v6
	v_lshlrev_b32_e32 v8, 20, v8
	v_and_b32_e32 v6, 0x80000000, v6
	v_lshl_add_u32 v12, v12, 23, v10
	v_or3_b32 v8, v6, v12, v8
.LBB468_1076:                           ;   in Loop: Header=BB468_796 Depth=1
	s_or_b64 exec, exec, s[20:21]
.LBB468_1077:                           ;   in Loop: Header=BB468_796 Depth=1
	s_or_b64 exec, exec, s[18:19]
.LBB468_1078:                           ;   in Loop: Header=BB468_796 Depth=1
	s_or_b64 exec, exec, s[16:17]
	v_cmp_lt_u32_e32 vcc, s23, v4
	v_mov_b32_e32 v12, 0
	v_mov_b32_e32 v19, 0
	s_and_saveexec_b64 s[16:17], vcc
	s_cbranch_execz .LBB468_1084
; %bb.1079:                             ;   in Loop: Header=BB468_796 Depth=1
	v_lshrrev_b32_e32 v6, 24, v4
	v_cmp_ne_u32_e32 vcc, s5, v6
	v_bfrev_b32_e32 v19, 1
	s_and_saveexec_b64 s[18:19], vcc
	s_cbranch_execz .LBB468_1083
; %bb.1080:                             ;   in Loop: Header=BB468_796 Depth=1
	v_bfe_u32 v4, v4, 24, 7
	v_cmp_ne_u32_e32 vcc, s22, v4
	v_mov_b32_e32 v19, 0x7f800001
	s_and_saveexec_b64 s[20:21], vcc
	s_cbranch_execz .LBB468_1082
; %bb.1081:                             ;   in Loop: Header=BB468_796 Depth=1
	v_and_b32_e32 v19, 7, v6
	v_ffbh_u32_e32 v20, v19
	v_min_u32_e32 v23, 32, v20
	v_subrev_u32_e32 v20, 28, v23
	v_lshlrev_b64 v[20:21], v20, v[6:7]
	v_lshrrev_b32_e32 v22, 3, v4
	v_sub_u32_e32 v21, 29, v23
	v_and_b32_e32 v20, 7, v20
	v_cmp_gt_u32_e32 vcc, 8, v4
	v_cndmask_b32_e32 v4, v22, v21, vcc
	v_cndmask_b32_e32 v19, v19, v20, vcc
	v_lshlrev_b32_e32 v6, 24, v6
	v_lshlrev_b32_e32 v19, 20, v19
	v_and_b32_e32 v6, 0x80000000, v6
	v_lshl_add_u32 v4, v4, 23, v10
	v_or3_b32 v19, v6, v4, v19
.LBB468_1082:                           ;   in Loop: Header=BB468_796 Depth=1
	s_or_b64 exec, exec, s[20:21]
.LBB468_1083:                           ;   in Loop: Header=BB468_796 Depth=1
	s_or_b64 exec, exec, s[18:19]
.LBB468_1084:                           ;   in Loop: Header=BB468_796 Depth=1
	s_or_b64 exec, exec, s[16:17]
	buffer_load_dword v6, v11, s[0:3], 0 offen offset:48
	buffer_load_dword v4, v11, s[0:3], 0 offen offset:52
	v_cvt_pkrtz_f16_f32 v14, v14, v15
	v_cvt_pkrtz_f16_f32 v15, v13, v17
	;; [unrolled: 1-line block ×4, first 2 shown]
	v_mfma_f32_4x4x4f16 a[0:3], v[2:3], v[14:15], a[0:3] cbsz:4 abid:10
	s_waitcnt vmcnt(1)
	v_cmp_ne_u16_sdwa s[18:19], v6, v9 src0_sel:BYTE_0 src1_sel:DWORD
	v_mfma_f32_4x4x4f16 a[0:3], v[2:3], v[16:17], a[0:3] cbsz:4 abid:11
	s_and_saveexec_b64 s[16:17], s[18:19]
	s_cbranch_execz .LBB468_1090
; %bb.1085:                             ;   in Loop: Header=BB468_796 Depth=1
	v_cmp_ne_u16_sdwa s[20:21], v6, s5 src0_sel:BYTE_0 src1_sel:DWORD
	v_bfrev_b32_e32 v12, 1
	s_and_saveexec_b64 s[18:19], s[20:21]
	s_cbranch_execz .LBB468_1089
; %bb.1086:                             ;   in Loop: Header=BB468_796 Depth=1
	v_and_b32_e32 v8, 0x7f, v6
	v_cmp_ne_u32_e32 vcc, s22, v8
	v_mov_b32_e32 v12, 0x7f800001
	s_and_saveexec_b64 s[20:21], vcc
	s_cbranch_execz .LBB468_1088
; %bb.1087:                             ;   in Loop: Header=BB468_796 Depth=1
	v_and_b32_e32 v14, 7, v6
	v_ffbh_u32_e32 v12, v14
	v_min_u32_e32 v16, 32, v12
	v_subrev_u32_e32 v12, 28, v16
	v_lshlrev_b64 v[12:13], v12, v[6:7]
	v_lshrrev_b32_e32 v15, 3, v8
	v_sub_u32_e32 v13, 29, v16
	v_and_b32_e32 v12, 7, v12
	v_cmp_gt_u32_e32 vcc, 8, v8
	v_cndmask_b32_e32 v8, v15, v13, vcc
	v_cndmask_b32_e32 v12, v14, v12, vcc
	v_lshlrev_b32_e32 v13, 24, v6
	v_lshlrev_b32_e32 v12, 20, v12
	v_and_b32_e32 v13, 0x80000000, v13
	v_lshl_add_u32 v8, v8, 23, v10
	v_or3_b32 v12, v13, v8, v12
.LBB468_1088:                           ;   in Loop: Header=BB468_796 Depth=1
	s_or_b64 exec, exec, s[20:21]
.LBB468_1089:                           ;   in Loop: Header=BB468_796 Depth=1
	s_or_b64 exec, exec, s[18:19]
.LBB468_1090:                           ;   in Loop: Header=BB468_796 Depth=1
	s_or_b64 exec, exec, s[16:17]
	v_lshrrev_b16_e32 v8, 8, v6
	v_cmp_ne_u16_e32 vcc, 0, v8
	v_mov_b32_e32 v14, 0
	v_mov_b32_e32 v15, 0
	s_and_saveexec_b64 s[16:17], vcc
	s_cbranch_execz .LBB468_1096
; %bb.1091:                             ;   in Loop: Header=BB468_796 Depth=1
	v_cmp_ne_u16_e32 vcc, s5, v8
	v_bfrev_b32_e32 v15, 1
	s_and_saveexec_b64 s[18:19], vcc
	s_cbranch_execz .LBB468_1095
; %bb.1092:                             ;   in Loop: Header=BB468_796 Depth=1
	v_and_b32_e32 v13, 0x7f, v8
	v_cmp_ne_u32_e32 vcc, s22, v13
	v_mov_b32_e32 v15, 0x7f800001
	s_and_saveexec_b64 s[20:21], vcc
	s_cbranch_execz .LBB468_1094
; %bb.1093:                             ;   in Loop: Header=BB468_796 Depth=1
	v_and_b32_e32 v15, 7, v8
	v_ffbh_u32_e32 v16, v15
	v_min_u32_e32 v19, 32, v16
	v_subrev_u32_e32 v16, 28, v19
	v_lshlrev_b64 v[16:17], v16, v[8:9]
	v_lshrrev_b32_e32 v18, 3, v13
	v_sub_u32_e32 v8, 29, v19
	v_and_b32_e32 v16, 7, v16
	v_cmp_gt_u32_e32 vcc, 8, v13
	v_cndmask_b32_e32 v8, v18, v8, vcc
	v_cndmask_b32_e32 v13, v15, v16, vcc
	v_lshlrev_b32_e32 v15, 16, v6
	v_lshlrev_b32_e32 v13, 20, v13
	v_and_b32_e32 v15, 0x80000000, v15
	v_lshl_add_u32 v8, v8, 23, v10
	v_or3_b32 v15, v15, v8, v13
.LBB468_1094:                           ;   in Loop: Header=BB468_796 Depth=1
	s_or_b64 exec, exec, s[20:21]
.LBB468_1095:                           ;   in Loop: Header=BB468_796 Depth=1
	s_or_b64 exec, exec, s[18:19]
.LBB468_1096:                           ;   in Loop: Header=BB468_796 Depth=1
	s_or_b64 exec, exec, s[16:17]
	v_lshrrev_b32_e32 v8, 16, v6
	v_cmp_ne_u16_sdwa s[18:19], v8, v9 src0_sel:BYTE_0 src1_sel:DWORD
	s_and_saveexec_b64 s[16:17], s[18:19]
	s_cbranch_execz .LBB468_1102
; %bb.1097:                             ;   in Loop: Header=BB468_796 Depth=1
	v_cmp_ne_u16_sdwa s[20:21], v8, s5 src0_sel:BYTE_0 src1_sel:DWORD
	v_bfrev_b32_e32 v14, 1
	s_and_saveexec_b64 s[18:19], s[20:21]
	s_cbranch_execz .LBB468_1101
; %bb.1098:                             ;   in Loop: Header=BB468_796 Depth=1
	v_bfe_u32 v13, v6, 16, 7
	v_cmp_ne_u32_e32 vcc, s22, v13
	v_mov_b32_e32 v14, 0x7f800001
	s_and_saveexec_b64 s[20:21], vcc
	s_cbranch_execz .LBB468_1100
; %bb.1099:                             ;   in Loop: Header=BB468_796 Depth=1
	v_and_b32_e32 v14, 7, v8
	v_ffbh_u32_e32 v16, v14
	v_min_u32_e32 v19, 32, v16
	v_subrev_u32_e32 v16, 28, v19
	v_lshlrev_b64 v[16:17], v16, v[8:9]
	v_lshrrev_b32_e32 v18, 3, v13
	v_sub_u32_e32 v17, 29, v19
	v_and_b32_e32 v16, 7, v16
	v_cmp_gt_u32_e32 vcc, 8, v13
	v_cndmask_b32_e32 v13, v18, v17, vcc
	v_cndmask_b32_e32 v14, v14, v16, vcc
	v_lshlrev_b32_e32 v8, 24, v8
	v_lshlrev_b32_e32 v14, 20, v14
	v_and_b32_e32 v8, 0x80000000, v8
	v_lshl_add_u32 v13, v13, 23, v10
	v_or3_b32 v14, v8, v13, v14
.LBB468_1100:                           ;   in Loop: Header=BB468_796 Depth=1
	s_or_b64 exec, exec, s[20:21]
.LBB468_1101:                           ;   in Loop: Header=BB468_796 Depth=1
	s_or_b64 exec, exec, s[18:19]
.LBB468_1102:                           ;   in Loop: Header=BB468_796 Depth=1
	s_or_b64 exec, exec, s[16:17]
	v_cmp_lt_u32_e32 vcc, s23, v6
	v_mov_b32_e32 v16, 0
	v_mov_b32_e32 v17, 0
	s_and_saveexec_b64 s[16:17], vcc
	s_cbranch_execz .LBB468_1108
; %bb.1103:                             ;   in Loop: Header=BB468_796 Depth=1
	v_lshrrev_b32_e32 v8, 24, v6
	v_cmp_ne_u32_e32 vcc, s5, v8
	v_bfrev_b32_e32 v17, 1
	s_and_saveexec_b64 s[18:19], vcc
	s_cbranch_execz .LBB468_1107
; %bb.1104:                             ;   in Loop: Header=BB468_796 Depth=1
	v_bfe_u32 v6, v6, 24, 7
	v_cmp_ne_u32_e32 vcc, s22, v6
	v_mov_b32_e32 v17, 0x7f800001
	s_and_saveexec_b64 s[20:21], vcc
	s_cbranch_execz .LBB468_1106
; %bb.1105:                             ;   in Loop: Header=BB468_796 Depth=1
	v_and_b32_e32 v13, 7, v8
	v_ffbh_u32_e32 v18, v13
	v_min_u32_e32 v20, 32, v18
	v_subrev_u32_e32 v18, 28, v20
	v_lshlrev_b64 v[18:19], v18, v[8:9]
	v_lshrrev_b32_e32 v17, 3, v6
	v_sub_u32_e32 v19, 29, v20
	v_and_b32_e32 v18, 7, v18
	v_cmp_gt_u32_e32 vcc, 8, v6
	v_cndmask_b32_e32 v6, v17, v19, vcc
	v_cndmask_b32_e32 v13, v13, v18, vcc
	v_lshlrev_b32_e32 v8, 24, v8
	v_lshlrev_b32_e32 v13, 20, v13
	v_and_b32_e32 v8, 0x80000000, v8
	v_lshl_add_u32 v6, v6, 23, v10
	v_or3_b32 v17, v8, v6, v13
.LBB468_1106:                           ;   in Loop: Header=BB468_796 Depth=1
	s_or_b64 exec, exec, s[20:21]
.LBB468_1107:                           ;   in Loop: Header=BB468_796 Depth=1
	s_or_b64 exec, exec, s[18:19]
.LBB468_1108:                           ;   in Loop: Header=BB468_796 Depth=1
	s_or_b64 exec, exec, s[16:17]
	s_waitcnt vmcnt(0)
	v_cmp_ne_u16_sdwa s[18:19], v4, v9 src0_sel:BYTE_0 src1_sel:DWORD
	s_and_saveexec_b64 s[16:17], s[18:19]
	s_cbranch_execz .LBB468_1114
; %bb.1109:                             ;   in Loop: Header=BB468_796 Depth=1
	v_cmp_ne_u16_sdwa s[20:21], v4, s5 src0_sel:BYTE_0 src1_sel:DWORD
	v_bfrev_b32_e32 v16, 1
	s_and_saveexec_b64 s[18:19], s[20:21]
	s_cbranch_execz .LBB468_1113
; %bb.1110:                             ;   in Loop: Header=BB468_796 Depth=1
	v_and_b32_e32 v6, 0x7f, v4
	v_cmp_ne_u32_e32 vcc, s22, v6
	v_mov_b32_e32 v16, 0x7f800001
	s_and_saveexec_b64 s[20:21], vcc
	s_cbranch_execz .LBB468_1112
; %bb.1111:                             ;   in Loop: Header=BB468_796 Depth=1
	v_and_b32_e32 v8, 7, v4
	v_ffbh_u32_e32 v16, v8
	v_min_u32_e32 v16, 32, v16
	v_subrev_u32_e32 v18, 28, v16
	v_lshlrev_b64 v[18:19], v18, v[4:5]
	v_lshrrev_b32_e32 v13, 3, v6
	v_sub_u32_e32 v16, 29, v16
	v_and_b32_e32 v18, 7, v18
	v_cmp_gt_u32_e32 vcc, 8, v6
	v_cndmask_b32_e32 v6, v13, v16, vcc
	v_cndmask_b32_e32 v8, v8, v18, vcc
	v_lshlrev_b32_e32 v13, 24, v4
	v_lshlrev_b32_e32 v8, 20, v8
	v_and_b32_e32 v13, 0x80000000, v13
	v_lshl_add_u32 v6, v6, 23, v10
	v_or3_b32 v16, v13, v6, v8
.LBB468_1112:                           ;   in Loop: Header=BB468_796 Depth=1
	s_or_b64 exec, exec, s[20:21]
.LBB468_1113:                           ;   in Loop: Header=BB468_796 Depth=1
	s_or_b64 exec, exec, s[18:19]
.LBB468_1114:                           ;   in Loop: Header=BB468_796 Depth=1
	s_or_b64 exec, exec, s[16:17]
	v_lshrrev_b16_e32 v6, 8, v4
	v_cmp_ne_u16_e32 vcc, 0, v6
	v_mov_b32_e32 v8, 0
	v_mov_b32_e32 v18, 0
	s_and_saveexec_b64 s[16:17], vcc
	s_cbranch_execz .LBB468_1120
; %bb.1115:                             ;   in Loop: Header=BB468_796 Depth=1
	v_cmp_ne_u16_e32 vcc, s5, v6
	v_bfrev_b32_e32 v18, 1
	s_and_saveexec_b64 s[18:19], vcc
	s_cbranch_execz .LBB468_1119
; %bb.1116:                             ;   in Loop: Header=BB468_796 Depth=1
	v_and_b32_e32 v13, 0x7f, v6
	v_cmp_ne_u32_e32 vcc, s22, v13
	v_mov_b32_e32 v18, 0x7f800001
	s_and_saveexec_b64 s[20:21], vcc
	s_cbranch_execz .LBB468_1118
; %bb.1117:                             ;   in Loop: Header=BB468_796 Depth=1
	v_and_b32_e32 v20, 7, v6
	v_ffbh_u32_e32 v18, v20
	v_min_u32_e32 v22, 32, v18
	v_subrev_u32_e32 v18, 28, v22
	v_lshlrev_b64 v[18:19], v18, v[6:7]
	v_lshrrev_b32_e32 v21, 3, v13
	v_sub_u32_e32 v6, 29, v22
	v_and_b32_e32 v18, 7, v18
	v_cmp_gt_u32_e32 vcc, 8, v13
	v_cndmask_b32_e32 v6, v21, v6, vcc
	v_cndmask_b32_e32 v13, v20, v18, vcc
	v_lshlrev_b32_e32 v18, 16, v4
	v_lshlrev_b32_e32 v13, 20, v13
	v_and_b32_e32 v18, 0x80000000, v18
	v_lshl_add_u32 v6, v6, 23, v10
	v_or3_b32 v18, v18, v6, v13
.LBB468_1118:                           ;   in Loop: Header=BB468_796 Depth=1
	s_or_b64 exec, exec, s[20:21]
.LBB468_1119:                           ;   in Loop: Header=BB468_796 Depth=1
	s_or_b64 exec, exec, s[18:19]
.LBB468_1120:                           ;   in Loop: Header=BB468_796 Depth=1
	s_or_b64 exec, exec, s[16:17]
	v_lshrrev_b32_e32 v6, 16, v4
	v_cmp_ne_u16_sdwa s[18:19], v6, v9 src0_sel:BYTE_0 src1_sel:DWORD
	s_and_saveexec_b64 s[16:17], s[18:19]
	s_cbranch_execz .LBB468_1126
; %bb.1121:                             ;   in Loop: Header=BB468_796 Depth=1
	v_cmp_ne_u16_sdwa s[20:21], v6, s5 src0_sel:BYTE_0 src1_sel:DWORD
	v_bfrev_b32_e32 v8, 1
	s_and_saveexec_b64 s[18:19], s[20:21]
	s_cbranch_execz .LBB468_1125
; %bb.1122:                             ;   in Loop: Header=BB468_796 Depth=1
	v_bfe_u32 v13, v4, 16, 7
	v_cmp_ne_u32_e32 vcc, s22, v13
	v_mov_b32_e32 v8, 0x7f800001
	s_and_saveexec_b64 s[20:21], vcc
	s_cbranch_execz .LBB468_1124
; %bb.1123:                             ;   in Loop: Header=BB468_796 Depth=1
	v_and_b32_e32 v8, 7, v6
	v_ffbh_u32_e32 v20, v8
	v_min_u32_e32 v22, 32, v20
	v_subrev_u32_e32 v20, 28, v22
	v_lshlrev_b64 v[20:21], v20, v[6:7]
	v_lshrrev_b32_e32 v19, 3, v13
	v_sub_u32_e32 v21, 29, v22
	v_and_b32_e32 v20, 7, v20
	v_cmp_gt_u32_e32 vcc, 8, v13
	v_cndmask_b32_e32 v13, v19, v21, vcc
	v_cndmask_b32_e32 v8, v8, v20, vcc
	v_lshlrev_b32_e32 v6, 24, v6
	v_lshlrev_b32_e32 v8, 20, v8
	v_and_b32_e32 v6, 0x80000000, v6
	v_lshl_add_u32 v13, v13, 23, v10
	v_or3_b32 v8, v6, v13, v8
.LBB468_1124:                           ;   in Loop: Header=BB468_796 Depth=1
	s_or_b64 exec, exec, s[20:21]
.LBB468_1125:                           ;   in Loop: Header=BB468_796 Depth=1
	s_or_b64 exec, exec, s[18:19]
.LBB468_1126:                           ;   in Loop: Header=BB468_796 Depth=1
	s_or_b64 exec, exec, s[16:17]
	v_cmp_lt_u32_e32 vcc, s23, v4
	v_mov_b32_e32 v13, 0
	v_mov_b32_e32 v19, 0
	s_and_saveexec_b64 s[16:17], vcc
	s_cbranch_execz .LBB468_1132
; %bb.1127:                             ;   in Loop: Header=BB468_796 Depth=1
	v_lshrrev_b32_e32 v6, 24, v4
	v_cmp_ne_u32_e32 vcc, s5, v6
	v_bfrev_b32_e32 v19, 1
	s_and_saveexec_b64 s[18:19], vcc
	s_cbranch_execz .LBB468_1131
; %bb.1128:                             ;   in Loop: Header=BB468_796 Depth=1
	v_bfe_u32 v4, v4, 24, 7
	v_cmp_ne_u32_e32 vcc, s22, v4
	v_mov_b32_e32 v19, 0x7f800001
	s_and_saveexec_b64 s[20:21], vcc
	s_cbranch_execz .LBB468_1130
; %bb.1129:                             ;   in Loop: Header=BB468_796 Depth=1
	v_and_b32_e32 v19, 7, v6
	v_ffbh_u32_e32 v20, v19
	v_min_u32_e32 v23, 32, v20
	v_subrev_u32_e32 v20, 28, v23
	v_lshlrev_b64 v[20:21], v20, v[6:7]
	v_lshrrev_b32_e32 v22, 3, v4
	v_sub_u32_e32 v21, 29, v23
	v_and_b32_e32 v20, 7, v20
	v_cmp_gt_u32_e32 vcc, 8, v4
	v_cndmask_b32_e32 v4, v22, v21, vcc
	v_cndmask_b32_e32 v19, v19, v20, vcc
	v_lshlrev_b32_e32 v6, 24, v6
	v_lshlrev_b32_e32 v19, 20, v19
	v_and_b32_e32 v6, 0x80000000, v6
	v_lshl_add_u32 v4, v4, 23, v10
	v_or3_b32 v19, v6, v4, v19
.LBB468_1130:                           ;   in Loop: Header=BB468_796 Depth=1
	s_or_b64 exec, exec, s[20:21]
.LBB468_1131:                           ;   in Loop: Header=BB468_796 Depth=1
	s_or_b64 exec, exec, s[18:19]
.LBB468_1132:                           ;   in Loop: Header=BB468_796 Depth=1
	s_or_b64 exec, exec, s[16:17]
	buffer_load_dword v6, v11, s[0:3], 0 offen offset:56
	buffer_load_dword v4, v11, s[0:3], 0 offen offset:60
	v_cvt_pkrtz_f16_f32 v20, v12, v15
	v_cvt_pkrtz_f16_f32 v21, v14, v17
	;; [unrolled: 1-line block ×4, first 2 shown]
	v_mfma_f32_4x4x4f16 a[0:3], v[2:3], v[20:21], a[0:3] cbsz:4 abid:12
	s_waitcnt vmcnt(1)
	v_cmp_ne_u16_sdwa s[18:19], v6, v9 src0_sel:BYTE_0 src1_sel:DWORD
	v_mfma_f32_4x4x4f16 a[0:3], v[2:3], v[14:15], a[0:3] cbsz:4 abid:13
	s_and_saveexec_b64 s[16:17], s[18:19]
	s_cbranch_execz .LBB468_1138
; %bb.1133:                             ;   in Loop: Header=BB468_796 Depth=1
	v_cmp_ne_u16_sdwa s[20:21], v6, s5 src0_sel:BYTE_0 src1_sel:DWORD
	v_bfrev_b32_e32 v13, 1
	s_and_saveexec_b64 s[18:19], s[20:21]
	s_cbranch_execz .LBB468_1137
; %bb.1134:                             ;   in Loop: Header=BB468_796 Depth=1
	v_and_b32_e32 v8, 0x7f, v6
	v_cmp_ne_u32_e32 vcc, s22, v8
	v_mov_b32_e32 v13, 0x7f800001
	s_and_saveexec_b64 s[20:21], vcc
	s_cbranch_execz .LBB468_1136
; %bb.1135:                             ;   in Loop: Header=BB468_796 Depth=1
	v_and_b32_e32 v11, 7, v6
	v_ffbh_u32_e32 v12, v11
	v_min_u32_e32 v15, 32, v12
	v_subrev_u32_e32 v12, 28, v15
	v_lshlrev_b64 v[12:13], v12, v[6:7]
	v_lshrrev_b32_e32 v14, 3, v8
	v_sub_u32_e32 v13, 29, v15
	v_and_b32_e32 v12, 7, v12
	v_cmp_gt_u32_e32 vcc, 8, v8
	v_cndmask_b32_e32 v8, v14, v13, vcc
	v_cndmask_b32_e32 v11, v11, v12, vcc
	v_lshlrev_b32_e32 v12, 24, v6
	v_lshlrev_b32_e32 v11, 20, v11
	v_and_b32_e32 v12, 0x80000000, v12
	v_lshl_add_u32 v8, v8, 23, v10
	v_or3_b32 v13, v12, v8, v11
.LBB468_1136:                           ;   in Loop: Header=BB468_796 Depth=1
	s_or_b64 exec, exec, s[20:21]
.LBB468_1137:                           ;   in Loop: Header=BB468_796 Depth=1
	s_or_b64 exec, exec, s[18:19]
.LBB468_1138:                           ;   in Loop: Header=BB468_796 Depth=1
	s_or_b64 exec, exec, s[16:17]
	v_lshrrev_b16_e32 v8, 8, v6
	v_cmp_ne_u16_e32 vcc, 0, v8
	v_mov_b32_e32 v11, 0
	v_mov_b32_e32 v12, 0
	s_and_saveexec_b64 s[16:17], vcc
	s_cbranch_execz .LBB468_1144
; %bb.1139:                             ;   in Loop: Header=BB468_796 Depth=1
	v_cmp_ne_u16_e32 vcc, s5, v8
	v_bfrev_b32_e32 v12, 1
	s_and_saveexec_b64 s[18:19], vcc
	s_cbranch_execz .LBB468_1143
; %bb.1140:                             ;   in Loop: Header=BB468_796 Depth=1
	v_and_b32_e32 v14, 0x7f, v8
	v_cmp_ne_u32_e32 vcc, s22, v14
	v_mov_b32_e32 v12, 0x7f800001
	s_and_saveexec_b64 s[20:21], vcc
	s_cbranch_execz .LBB468_1142
; %bb.1141:                             ;   in Loop: Header=BB468_796 Depth=1
	v_and_b32_e32 v12, 7, v8
	v_ffbh_u32_e32 v16, v12
	v_min_u32_e32 v18, 32, v16
	v_subrev_u32_e32 v16, 28, v18
	v_lshlrev_b64 v[16:17], v16, v[8:9]
	v_lshrrev_b32_e32 v15, 3, v14
	v_sub_u32_e32 v8, 29, v18
	v_and_b32_e32 v16, 7, v16
	v_cmp_gt_u32_e32 vcc, 8, v14
	v_cndmask_b32_e32 v8, v15, v8, vcc
	v_cndmask_b32_e32 v12, v12, v16, vcc
	v_lshlrev_b32_e32 v14, 16, v6
	v_lshlrev_b32_e32 v12, 20, v12
	v_and_b32_e32 v14, 0x80000000, v14
	v_lshl_add_u32 v8, v8, 23, v10
	v_or3_b32 v12, v14, v8, v12
.LBB468_1142:                           ;   in Loop: Header=BB468_796 Depth=1
	s_or_b64 exec, exec, s[20:21]
.LBB468_1143:                           ;   in Loop: Header=BB468_796 Depth=1
	s_or_b64 exec, exec, s[18:19]
.LBB468_1144:                           ;   in Loop: Header=BB468_796 Depth=1
	s_or_b64 exec, exec, s[16:17]
	v_lshrrev_b32_e32 v8, 16, v6
	v_cmp_ne_u16_sdwa s[18:19], v8, v9 src0_sel:BYTE_0 src1_sel:DWORD
	s_and_saveexec_b64 s[16:17], s[18:19]
	s_cbranch_execz .LBB468_1150
; %bb.1145:                             ;   in Loop: Header=BB468_796 Depth=1
	v_cmp_ne_u16_sdwa s[20:21], v8, s5 src0_sel:BYTE_0 src1_sel:DWORD
	v_bfrev_b32_e32 v11, 1
	s_and_saveexec_b64 s[18:19], s[20:21]
	s_cbranch_execz .LBB468_1149
; %bb.1146:                             ;   in Loop: Header=BB468_796 Depth=1
	v_bfe_u32 v14, v6, 16, 7
	v_cmp_ne_u32_e32 vcc, s22, v14
	v_mov_b32_e32 v11, 0x7f800001
	s_and_saveexec_b64 s[20:21], vcc
	s_cbranch_execz .LBB468_1148
; %bb.1147:                             ;   in Loop: Header=BB468_796 Depth=1
	v_and_b32_e32 v11, 7, v8
	v_ffbh_u32_e32 v16, v11
	v_min_u32_e32 v18, 32, v16
	v_subrev_u32_e32 v16, 28, v18
	v_lshlrev_b64 v[16:17], v16, v[8:9]
	v_lshrrev_b32_e32 v15, 3, v14
	v_sub_u32_e32 v17, 29, v18
	v_and_b32_e32 v16, 7, v16
	v_cmp_gt_u32_e32 vcc, 8, v14
	v_cndmask_b32_e32 v14, v15, v17, vcc
	v_cndmask_b32_e32 v11, v11, v16, vcc
	v_lshlrev_b32_e32 v8, 24, v8
	v_lshlrev_b32_e32 v11, 20, v11
	v_and_b32_e32 v8, 0x80000000, v8
	v_lshl_add_u32 v14, v14, 23, v10
	v_or3_b32 v11, v8, v14, v11
.LBB468_1148:                           ;   in Loop: Header=BB468_796 Depth=1
	s_or_b64 exec, exec, s[20:21]
.LBB468_1149:                           ;   in Loop: Header=BB468_796 Depth=1
	s_or_b64 exec, exec, s[18:19]
.LBB468_1150:                           ;   in Loop: Header=BB468_796 Depth=1
	s_or_b64 exec, exec, s[16:17]
	v_cmp_lt_u32_e32 vcc, s23, v6
	v_mov_b32_e32 v14, 0
	v_mov_b32_e32 v15, 0
	s_and_saveexec_b64 s[16:17], vcc
	s_cbranch_execz .LBB468_1156
; %bb.1151:                             ;   in Loop: Header=BB468_796 Depth=1
	v_lshrrev_b32_e32 v8, 24, v6
	v_cmp_ne_u32_e32 vcc, s5, v8
	v_bfrev_b32_e32 v15, 1
	s_and_saveexec_b64 s[18:19], vcc
	s_cbranch_execz .LBB468_1155
; %bb.1152:                             ;   in Loop: Header=BB468_796 Depth=1
	v_bfe_u32 v6, v6, 24, 7
	v_cmp_ne_u32_e32 vcc, s22, v6
	v_mov_b32_e32 v15, 0x7f800001
	s_and_saveexec_b64 s[20:21], vcc
	s_cbranch_execz .LBB468_1154
; %bb.1153:                             ;   in Loop: Header=BB468_796 Depth=1
	v_and_b32_e32 v15, 7, v8
	v_ffbh_u32_e32 v16, v15
	v_min_u32_e32 v19, 32, v16
	v_subrev_u32_e32 v16, 28, v19
	v_lshlrev_b64 v[16:17], v16, v[8:9]
	v_lshrrev_b32_e32 v18, 3, v6
	v_sub_u32_e32 v17, 29, v19
	v_and_b32_e32 v16, 7, v16
	v_cmp_gt_u32_e32 vcc, 8, v6
	v_cndmask_b32_e32 v6, v18, v17, vcc
	v_cndmask_b32_e32 v15, v15, v16, vcc
	v_lshlrev_b32_e32 v8, 24, v8
	v_lshlrev_b32_e32 v15, 20, v15
	v_and_b32_e32 v8, 0x80000000, v8
	v_lshl_add_u32 v6, v6, 23, v10
	v_or3_b32 v15, v8, v6, v15
.LBB468_1154:                           ;   in Loop: Header=BB468_796 Depth=1
	s_or_b64 exec, exec, s[20:21]
.LBB468_1155:                           ;   in Loop: Header=BB468_796 Depth=1
	s_or_b64 exec, exec, s[18:19]
.LBB468_1156:                           ;   in Loop: Header=BB468_796 Depth=1
	s_or_b64 exec, exec, s[16:17]
	s_waitcnt vmcnt(0)
	v_cmp_ne_u16_sdwa s[18:19], v4, v9 src0_sel:BYTE_0 src1_sel:DWORD
	s_and_saveexec_b64 s[16:17], s[18:19]
	s_cbranch_execz .LBB468_1162
; %bb.1157:                             ;   in Loop: Header=BB468_796 Depth=1
	v_cmp_ne_u16_sdwa s[20:21], v4, s5 src0_sel:BYTE_0 src1_sel:DWORD
	v_bfrev_b32_e32 v14, 1
	s_and_saveexec_b64 s[18:19], s[20:21]
	s_cbranch_execz .LBB468_1161
; %bb.1158:                             ;   in Loop: Header=BB468_796 Depth=1
	v_and_b32_e32 v6, 0x7f, v4
	v_cmp_ne_u32_e32 vcc, s22, v6
	v_mov_b32_e32 v14, 0x7f800001
	s_and_saveexec_b64 s[20:21], vcc
	s_cbranch_execz .LBB468_1160
; %bb.1159:                             ;   in Loop: Header=BB468_796 Depth=1
	v_and_b32_e32 v8, 7, v4
	v_ffbh_u32_e32 v16, v8
	v_min_u32_e32 v18, 32, v16
	v_subrev_u32_e32 v16, 28, v18
	v_lshlrev_b64 v[16:17], v16, v[4:5]
	v_lshrrev_b32_e32 v14, 3, v6
	v_sub_u32_e32 v17, 29, v18
	v_and_b32_e32 v16, 7, v16
	v_cmp_gt_u32_e32 vcc, 8, v6
	v_cndmask_b32_e32 v6, v14, v17, vcc
	v_cndmask_b32_e32 v8, v8, v16, vcc
	v_lshlrev_b32_e32 v14, 24, v4
	v_lshlrev_b32_e32 v8, 20, v8
	v_and_b32_e32 v14, 0x80000000, v14
	v_lshl_add_u32 v6, v6, 23, v10
	v_or3_b32 v14, v14, v6, v8
.LBB468_1160:                           ;   in Loop: Header=BB468_796 Depth=1
	s_or_b64 exec, exec, s[20:21]
.LBB468_1161:                           ;   in Loop: Header=BB468_796 Depth=1
	s_or_b64 exec, exec, s[18:19]
.LBB468_1162:                           ;   in Loop: Header=BB468_796 Depth=1
	s_or_b64 exec, exec, s[16:17]
	v_lshrrev_b16_e32 v6, 8, v4
	v_cmp_ne_u16_e32 vcc, 0, v6
	v_mov_b32_e32 v8, 0
	v_mov_b32_e32 v16, 0
	s_and_saveexec_b64 s[16:17], vcc
	s_cbranch_execz .LBB468_1168
; %bb.1163:                             ;   in Loop: Header=BB468_796 Depth=1
	v_cmp_ne_u16_e32 vcc, s5, v6
	v_bfrev_b32_e32 v16, 1
	s_and_saveexec_b64 s[18:19], vcc
	s_cbranch_execz .LBB468_1167
; %bb.1164:                             ;   in Loop: Header=BB468_796 Depth=1
	v_and_b32_e32 v17, 0x7f, v6
	v_cmp_ne_u32_e32 vcc, s22, v17
	v_mov_b32_e32 v16, 0x7f800001
	s_and_saveexec_b64 s[20:21], vcc
	s_cbranch_execz .LBB468_1166
; %bb.1165:                             ;   in Loop: Header=BB468_796 Depth=1
	v_and_b32_e32 v16, 7, v6
	v_ffbh_u32_e32 v18, v16
	v_min_u32_e32 v21, 32, v18
	v_subrev_u32_e32 v18, 28, v21
	v_lshlrev_b64 v[18:19], v18, v[6:7]
	v_lshrrev_b32_e32 v20, 3, v17
	v_sub_u32_e32 v6, 29, v21
	v_and_b32_e32 v18, 7, v18
	v_cmp_gt_u32_e32 vcc, 8, v17
	v_cndmask_b32_e32 v6, v20, v6, vcc
	v_cndmask_b32_e32 v16, v16, v18, vcc
	v_lshlrev_b32_e32 v17, 16, v4
	v_lshlrev_b32_e32 v16, 20, v16
	v_and_b32_e32 v17, 0x80000000, v17
	v_lshl_add_u32 v6, v6, 23, v10
	v_or3_b32 v16, v17, v6, v16
.LBB468_1166:                           ;   in Loop: Header=BB468_796 Depth=1
	s_or_b64 exec, exec, s[20:21]
.LBB468_1167:                           ;   in Loop: Header=BB468_796 Depth=1
	s_or_b64 exec, exec, s[18:19]
.LBB468_1168:                           ;   in Loop: Header=BB468_796 Depth=1
	s_or_b64 exec, exec, s[16:17]
	v_lshrrev_b32_e32 v6, 16, v4
	v_cmp_ne_u16_sdwa s[18:19], v6, v9 src0_sel:BYTE_0 src1_sel:DWORD
	s_and_saveexec_b64 s[16:17], s[18:19]
	s_cbranch_execz .LBB468_1174
; %bb.1169:                             ;   in Loop: Header=BB468_796 Depth=1
	v_cmp_ne_u16_sdwa s[20:21], v6, s5 src0_sel:BYTE_0 src1_sel:DWORD
	v_bfrev_b32_e32 v8, 1
	s_and_saveexec_b64 s[18:19], s[20:21]
	s_cbranch_execz .LBB468_1173
; %bb.1170:                             ;   in Loop: Header=BB468_796 Depth=1
	v_bfe_u32 v17, v4, 16, 7
	v_cmp_ne_u32_e32 vcc, s22, v17
	v_mov_b32_e32 v8, 0x7f800001
	s_and_saveexec_b64 s[20:21], vcc
	s_cbranch_execz .LBB468_1172
; %bb.1171:                             ;   in Loop: Header=BB468_796 Depth=1
	v_and_b32_e32 v8, 7, v6
	v_ffbh_u32_e32 v18, v8
	v_min_u32_e32 v21, 32, v18
	v_subrev_u32_e32 v18, 28, v21
	v_lshlrev_b64 v[18:19], v18, v[6:7]
	v_lshrrev_b32_e32 v20, 3, v17
	v_sub_u32_e32 v19, 29, v21
	v_and_b32_e32 v18, 7, v18
	v_cmp_gt_u32_e32 vcc, 8, v17
	v_cndmask_b32_e32 v17, v20, v19, vcc
	v_cndmask_b32_e32 v8, v8, v18, vcc
	v_lshlrev_b32_e32 v6, 24, v6
	v_lshlrev_b32_e32 v8, 20, v8
	v_and_b32_e32 v6, 0x80000000, v6
	v_lshl_add_u32 v17, v17, 23, v10
	v_or3_b32 v8, v6, v17, v8
.LBB468_1172:                           ;   in Loop: Header=BB468_796 Depth=1
	s_or_b64 exec, exec, s[20:21]
.LBB468_1173:                           ;   in Loop: Header=BB468_796 Depth=1
	s_or_b64 exec, exec, s[18:19]
.LBB468_1174:                           ;   in Loop: Header=BB468_796 Depth=1
	s_or_b64 exec, exec, s[16:17]
	v_cmp_lt_u32_e32 vcc, s23, v4
	v_mov_b32_e32 v17, 0
	s_and_saveexec_b64 s[16:17], vcc
	s_cbranch_execz .LBB468_795
; %bb.1175:                             ;   in Loop: Header=BB468_796 Depth=1
	v_lshrrev_b32_e32 v6, 24, v4
	v_cmp_ne_u32_e32 vcc, s5, v6
	v_bfrev_b32_e32 v17, 1
	s_and_saveexec_b64 s[18:19], vcc
	s_cbranch_execz .LBB468_794
; %bb.1176:                             ;   in Loop: Header=BB468_796 Depth=1
	v_bfe_u32 v4, v4, 24, 7
	v_cmp_ne_u32_e32 vcc, s22, v4
	v_mov_b32_e32 v17, 0x7f800001
	s_and_saveexec_b64 s[20:21], vcc
	s_cbranch_execz .LBB468_793
; %bb.1177:                             ;   in Loop: Header=BB468_796 Depth=1
	v_and_b32_e32 v17, 7, v6
	v_ffbh_u32_e32 v18, v17
	v_min_u32_e32 v21, 32, v18
	v_subrev_u32_e32 v18, 28, v21
	v_lshlrev_b64 v[18:19], v18, v[6:7]
	v_lshrrev_b32_e32 v20, 3, v4
	v_sub_u32_e32 v19, 29, v21
	v_and_b32_e32 v18, 7, v18
	v_cmp_gt_u32_e32 vcc, 8, v4
	v_cndmask_b32_e32 v4, v20, v19, vcc
	v_cndmask_b32_e32 v17, v17, v18, vcc
	v_lshlrev_b32_e32 v6, 24, v6
	v_lshlrev_b32_e32 v17, 20, v17
	v_and_b32_e32 v6, 0x80000000, v6
	v_lshl_add_u32 v4, v4, 23, v10
	v_or3_b32 v17, v6, v4, v17
	s_branch .LBB468_793
.LBB468_1178:
	s_or_b64 exec, exec, s[6:7]
	v_cmp_gt_u32_e32 vcc, 64, v0
	s_waitcnt lgkmcnt(0)
	s_barrier
	s_and_saveexec_b64 s[6:7], vcc
	s_cbranch_execz .LBB468_1180
; %bb.1179:
	v_mul_u32_u24_e32 v6, 40, v1
	ds_read2_b64 v[2:5], v6 offset1:1
	ds_read2_b64 v[6:9], v6 offset0:2 offset1:3
	s_mov_b32 s5, 0
	s_lshl_b32 s4, s4, 7
	s_lshl_b64 s[6:7], s[4:5], 1
	s_waitcnt lgkmcnt(1)
	v_pk_add_f16 v2, v2, 0
	v_pk_add_f16 v2, v2, v4
	;; [unrolled: 1-line block ×3, first 2 shown]
	s_waitcnt lgkmcnt(0)
	v_pk_add_f16 v2, v2, v6
	v_pk_add_f16 v3, v3, v5
	;; [unrolled: 1-line block ×3, first 2 shown]
	v_mov_b32_e32 v2, 0xa00
	v_pk_add_f16 v6, v3, v7
	v_mad_u32_u24 v2, v1, 40, v2
	ds_read2_b64 v[2:5], v2 offset1:1
	v_pk_add_f16 v11, v6, v9
	v_mov_b32_e32 v6, 0xa10
	v_mad_u32_u24 v1, v1, 40, v6
	ds_read2_b64 v[6:9], v1 offset1:1
	s_add_u32 s6, s28, s6
	s_addc_u32 s7, s29, s7
	s_lshl_b32 s4, s14, 7
	s_lshl_b64 s[4:5], s[4:5], 1
	s_waitcnt lgkmcnt(1)
	v_pk_add_f16 v1, v2, 0
	v_pk_add_f16 v2, v3, 0
	s_add_u32 s4, s6, s4
	v_pk_add_f16 v2, v2, v5
	s_addc_u32 s5, s7, s5
	s_lshl_b32 s6, s33, 7
	s_waitcnt lgkmcnt(0)
	v_pk_add_f16 v2, v2, v7
	s_mul_i32 s7, s6, s44
	v_pk_add_f16 v1, v1, v4
	v_pk_add_f16 v9, v2, v9
	v_or_b32_e32 v2, s7, v0
	v_mov_b32_e32 v3, 0
	v_pk_add_f16 v1, v1, v6
	v_lshlrev_b64 v[4:5], 1, v[2:3]
	s_add_i32 s7, s7, s6
	v_pk_add_f16 v8, v1, v8
	v_mov_b32_e32 v1, s5
	v_add_co_u32_e32 v4, vcc, s4, v4
	v_or_b32_e32 v2, s7, v0
	v_addc_co_u32_e32 v5, vcc, v1, v5, vcc
	v_lshlrev_b64 v[6:7], 1, v[2:3]
	s_add_i32 s7, s7, s6
	v_add_co_u32_e32 v6, vcc, s4, v6
	v_or_b32_e32 v2, s7, v0
	v_addc_co_u32_e32 v7, vcc, v1, v7, vcc
	v_lshlrev_b64 v[0:1], 1, v[2:3]
	v_mov_b32_e32 v2, s5
	v_add_co_u32_e32 v0, vcc, s4, v0
	v_addc_co_u32_e32 v1, vcc, v2, v1, vcc
	global_store_short v[4:5], v10, off
	global_store_short_d16_hi v[6:7], v10, off
	global_store_short v[0:1], v11, off
	global_store_short v[4:5], v8, off offset:128
	global_store_short_d16_hi v[6:7], v8, off offset:128
	global_store_short v[0:1], v9, off offset:128
.LBB468_1180:
	s_endpgm
	.section	.rodata,"a",@progbits
	.p2align	6, 0x0
	.amdhsa_kernel _Z38paged_attention_ll4mi_QKV_mfma4_kernelIDF16_hLN4vllm18Fp8KVCacheDataTypeE1EDF16_Li16ELi128ELi256ELb1ELi3EEvPKT_PKT0_S7_ifPKiS9_S9_iPKfiiiPfSC_PS2_PT2_iSB_SB_
		.amdhsa_group_segment_fixed_size 5280
		.amdhsa_private_segment_fixed_size 144
		.amdhsa_kernarg_size 400
		.amdhsa_user_sgpr_count 8
		.amdhsa_user_sgpr_private_segment_buffer 1
		.amdhsa_user_sgpr_dispatch_ptr 0
		.amdhsa_user_sgpr_queue_ptr 0
		.amdhsa_user_sgpr_kernarg_segment_ptr 1
		.amdhsa_user_sgpr_dispatch_id 0
		.amdhsa_user_sgpr_flat_scratch_init 1
		.amdhsa_user_sgpr_kernarg_preload_length 0
		.amdhsa_user_sgpr_kernarg_preload_offset 0
		.amdhsa_user_sgpr_private_segment_size 0
		.amdhsa_uses_dynamic_stack 0
		.amdhsa_system_sgpr_private_segment_wavefront_offset 1
		.amdhsa_system_sgpr_workgroup_id_x 1
		.amdhsa_system_sgpr_workgroup_id_y 1
		.amdhsa_system_sgpr_workgroup_id_z 1
		.amdhsa_system_sgpr_workgroup_info 0
		.amdhsa_system_vgpr_workitem_id 0
		.amdhsa_next_free_vgpr 84
		.amdhsa_next_free_sgpr 50
		.amdhsa_accum_offset 80
		.amdhsa_reserve_vcc 1
		.amdhsa_reserve_flat_scratch 0
		.amdhsa_float_round_mode_32 0
		.amdhsa_float_round_mode_16_64 0
		.amdhsa_float_denorm_mode_32 3
		.amdhsa_float_denorm_mode_16_64 3
		.amdhsa_dx10_clamp 1
		.amdhsa_ieee_mode 1
		.amdhsa_fp16_overflow 0
		.amdhsa_tg_split 0
		.amdhsa_exception_fp_ieee_invalid_op 0
		.amdhsa_exception_fp_denorm_src 0
		.amdhsa_exception_fp_ieee_div_zero 0
		.amdhsa_exception_fp_ieee_overflow 0
		.amdhsa_exception_fp_ieee_underflow 0
		.amdhsa_exception_fp_ieee_inexact 0
		.amdhsa_exception_int_div_zero 0
	.end_amdhsa_kernel
	.section	.text._Z38paged_attention_ll4mi_QKV_mfma4_kernelIDF16_hLN4vllm18Fp8KVCacheDataTypeE1EDF16_Li16ELi128ELi256ELb1ELi3EEvPKT_PKT0_S7_ifPKiS9_S9_iPKfiiiPfSC_PS2_PT2_iSB_SB_,"axG",@progbits,_Z38paged_attention_ll4mi_QKV_mfma4_kernelIDF16_hLN4vllm18Fp8KVCacheDataTypeE1EDF16_Li16ELi128ELi256ELb1ELi3EEvPKT_PKT0_S7_ifPKiS9_S9_iPKfiiiPfSC_PS2_PT2_iSB_SB_,comdat
.Lfunc_end468:
	.size	_Z38paged_attention_ll4mi_QKV_mfma4_kernelIDF16_hLN4vllm18Fp8KVCacheDataTypeE1EDF16_Li16ELi128ELi256ELb1ELi3EEvPKT_PKT0_S7_ifPKiS9_S9_iPKfiiiPfSC_PS2_PT2_iSB_SB_, .Lfunc_end468-_Z38paged_attention_ll4mi_QKV_mfma4_kernelIDF16_hLN4vllm18Fp8KVCacheDataTypeE1EDF16_Li16ELi128ELi256ELb1ELi3EEvPKT_PKT0_S7_ifPKiS9_S9_iPKfiiiPfSC_PS2_PT2_iSB_SB_
                                        ; -- End function
	.section	.AMDGPU.csdata,"",@progbits
; Kernel info:
; codeLenInByte = 40876
; NumSgprs: 54
; NumVgprs: 80
; NumAgprs: 4
; TotalNumVgprs: 84
; ScratchSize: 144
; MemoryBound: 0
; FloatMode: 240
; IeeeMode: 1
; LDSByteSize: 5280 bytes/workgroup (compile time only)
; SGPRBlocks: 6
; VGPRBlocks: 10
; NumSGPRsForWavesPerEU: 54
; NumVGPRsForWavesPerEU: 84
; AccumOffset: 80
; Occupancy: 5
; WaveLimiterHint : 1
; COMPUTE_PGM_RSRC2:SCRATCH_EN: 1
; COMPUTE_PGM_RSRC2:USER_SGPR: 8
; COMPUTE_PGM_RSRC2:TRAP_HANDLER: 0
; COMPUTE_PGM_RSRC2:TGID_X_EN: 1
; COMPUTE_PGM_RSRC2:TGID_Y_EN: 1
; COMPUTE_PGM_RSRC2:TGID_Z_EN: 1
; COMPUTE_PGM_RSRC2:TIDIG_COMP_CNT: 0
; COMPUTE_PGM_RSRC3_GFX90A:ACCUM_OFFSET: 19
; COMPUTE_PGM_RSRC3_GFX90A:TG_SPLIT: 0
	.section	.text._Z38paged_attention_ll4mi_QKV_mfma4_kernelIDF16_hLN4vllm18Fp8KVCacheDataTypeE1EDF16_Li16ELi128ELi256ELb1ELi4EEvPKT_PKT0_S7_ifPKiS9_S9_iPKfiiiPfSC_PS2_PT2_iSB_SB_,"axG",@progbits,_Z38paged_attention_ll4mi_QKV_mfma4_kernelIDF16_hLN4vllm18Fp8KVCacheDataTypeE1EDF16_Li16ELi128ELi256ELb1ELi4EEvPKT_PKT0_S7_ifPKiS9_S9_iPKfiiiPfSC_PS2_PT2_iSB_SB_,comdat
	.protected	_Z38paged_attention_ll4mi_QKV_mfma4_kernelIDF16_hLN4vllm18Fp8KVCacheDataTypeE1EDF16_Li16ELi128ELi256ELb1ELi4EEvPKT_PKT0_S7_ifPKiS9_S9_iPKfiiiPfSC_PS2_PT2_iSB_SB_ ; -- Begin function _Z38paged_attention_ll4mi_QKV_mfma4_kernelIDF16_hLN4vllm18Fp8KVCacheDataTypeE1EDF16_Li16ELi128ELi256ELb1ELi4EEvPKT_PKT0_S7_ifPKiS9_S9_iPKfiiiPfSC_PS2_PT2_iSB_SB_
	.globl	_Z38paged_attention_ll4mi_QKV_mfma4_kernelIDF16_hLN4vllm18Fp8KVCacheDataTypeE1EDF16_Li16ELi128ELi256ELb1ELi4EEvPKT_PKT0_S7_ifPKiS9_S9_iPKfiiiPfSC_PS2_PT2_iSB_SB_
	.p2align	8
	.type	_Z38paged_attention_ll4mi_QKV_mfma4_kernelIDF16_hLN4vllm18Fp8KVCacheDataTypeE1EDF16_Li16ELi128ELi256ELb1ELi4EEvPKT_PKT0_S7_ifPKiS9_S9_iPKfiiiPfSC_PS2_PT2_iSB_SB_,@function
_Z38paged_attention_ll4mi_QKV_mfma4_kernelIDF16_hLN4vllm18Fp8KVCacheDataTypeE1EDF16_Li16ELi128ELi256ELb1ELi4EEvPKT_PKT0_S7_ifPKiS9_S9_iPKfiiiPfSC_PS2_PT2_iSB_SB_: ; @_Z38paged_attention_ll4mi_QKV_mfma4_kernelIDF16_hLN4vllm18Fp8KVCacheDataTypeE1EDF16_Li16ELi128ELi256ELb1ELi4EEvPKT_PKT0_S7_ifPKiS9_S9_iPKfiiiPfSC_PS2_PT2_iSB_SB_
; %bb.0:
	s_load_dwordx2 s[20:21], s[4:5], 0x30
	s_add_u32 s0, s0, s11
	s_addc_u32 s1, s1, 0
	s_mov_b32 s28, s9
	s_mov_b64 s[6:7], 0
	s_waitcnt lgkmcnt(0)
	s_cmp_lg_u64 s[20:21], 0
	s_cselect_b64 s[22:23], -1, 0
	s_and_b64 vcc, exec, s[22:23]
	s_cbranch_vccz .LBB469_1170
; %bb.1:
	s_add_i32 s12, s8, 1
	s_mov_b32 s13, 0
	s_lshl_b64 s[14:15], s[12:13], 2
	s_add_u32 s14, s20, s14
	s_mov_b32 s9, s13
	s_addc_u32 s15, s21, s15
	s_lshl_b64 s[12:13], s[8:9], 2
	s_add_u32 s12, s20, s12
	s_addc_u32 s13, s21, s13
	s_load_dword s11, s[14:15], 0x0
	s_load_dword s16, s[12:13], 0x0
	s_mov_b64 s[38:39], s[8:9]
	s_waitcnt lgkmcnt(0)
	s_sub_i32 s11, s11, s16
	s_cmp_eq_u32 s11, 1
	s_cselect_b64 s[12:13], -1, 0
	s_andn2_b64 vcc, exec, s[6:7]
	s_cbranch_vccnz .LBB469_3
.LBB469_2:
	s_mov_b32 s9, 0
	s_mov_b64 s[12:13], -1
	s_mov_b64 s[38:39], s[8:9]
.LBB469_3:
	s_andn2_b64 vcc, exec, s[12:13]
	s_cbranch_vccnz .LBB469_1173
; %bb.4:
	s_load_dword s9, s[4:5], 0x9c
	s_load_dwordx2 s[6:7], s[4:5], 0x28
	s_add_u32 s34, s4, 0x90
	s_addc_u32 s35, s5, 0
	s_lshl_b64 s[40:41], s[38:39], 2
	s_waitcnt lgkmcnt(0)
	s_and_b32 s11, s9, 0xffff
	s_add_u32 s6, s6, s40
	s_addc_u32 s7, s7, s41
	s_load_dword s9, s[6:7], 0x0
	s_mul_i32 s11, s28, s11
	s_waitcnt lgkmcnt(0)
	s_cmp_ge_i32 s11, s9
	s_cbranch_scc1 .LBB469_1173
; %bb.5:
	v_and_b32_e32 v1, 0xc0, v0
	v_and_b32_e32 v44, 3, v0
	s_lshl_b32 s33, s10, 2
	v_add_u32_e32 v7, s11, v1
	v_lshrrev_b32_e32 v43, 6, v0
	v_cmp_le_i32_e64 s[6:7], s9, v7
	v_or_b32_e32 v38, s33, v44
                                        ; implicit-def: $sgpr25
                                        ; implicit-def: $sgpr24
	s_and_saveexec_b64 s[12:13], s[6:7]
	s_xor_b64 s[12:13], exec, s[12:13]
	s_cbranch_execz .LBB469_7
; %bb.6:
	v_mul_u32_u24_e32 v1, 20, v43
	v_or_b32_e32 v1, 0x1400, v1
	v_mov_b32_e32 v2, 0x1450
	v_mov_b32_e32 v3, 0xff7fffff
	v_mad_u32_u24 v2, v43, 20, v2
	ds_write2_b32 v1, v3, v3 offset1:1
	v_mov_b32_e32 v1, 0
	ds_write2_b32 v2, v1, v1 offset1:1
	v_mov_b32_e32 v2, 0x1408
	s_mov_b32 s24, 0xff7fffff
	s_mov_b32 s25, 0
	v_mad_u32_u24 v2, v43, 20, v2
	v_mov_b32_e32 v4, 0x1458
	v_or_b32_e32 v38, s33, v44
	v_mad_u32_u24 v4, v43, 20, v4
	ds_write2_b32 v2, v3, v3 offset1:1
	ds_write2_b32 v4, v1, v1 offset1:1
                                        ; implicit-def: $vgpr7
.LBB469_7:
	s_or_saveexec_b64 s[36:37], s[12:13]
	s_load_dwordx2 s[30:31], s[4:5], 0x68
	s_load_dwordx4 s[16:19], s[4:5], 0x58
	s_load_dword s48, s[34:35], 0x4
	s_load_dwordx4 s[12:15], s[4:5], 0x80
	v_and_b32_e32 v1, 63, v0
	v_mov_b32_e32 v5, s25
	v_mov_b32_e32 v6, s24
	;; [unrolled: 1-line block ×5, first 2 shown]
	s_xor_b64 exec, exec, s[36:37]
	s_cbranch_execz .LBB469_781
; %bb.8:
	s_add_i32 s27, s9, 15
	s_ashr_i32 s29, s27, 31
	s_load_dwordx2 s[24:25], s[4:5], 0x20
	s_load_dword s26, s[4:5], 0x38
	s_lshr_b32 s29, s29, 28
	v_add_u32_e32 v45, s11, v0
	s_add_i32 s27, s27, s29
	v_ashrrev_i32_e32 v2, 31, v45
	s_ashr_i32 s27, s27, 4
	v_lshrrev_b32_e32 v2, 28, v2
	s_add_i32 s29, s27, -1
	v_add_u32_e32 v2, v45, v2
	v_ashrrev_i32_e32 v2, 4, v2
	v_mov_b32_e32 v3, s29
	v_cmp_gt_i32_e32 vcc, s9, v45
	s_waitcnt lgkmcnt(0)
	s_mul_i32 s44, s8, s26
	s_mov_b32 s45, 0
	v_cndmask_b32_e32 v2, v3, v2, vcc
	s_lshl_b64 s[26:27], s[44:45], 2
	v_ashrrev_i32_e32 v3, 31, v2
	s_add_u32 s24, s24, s26
	v_lshlrev_b64 v[2:3], 2, v[2:3]
	v_add_co_u32_e32 v8, vcc, s24, v2
	v_ashrrev_i32_e32 v2, 31, v7
	s_addc_u32 s25, s25, s27
	v_lshrrev_b32_e32 v2, 28, v2
	v_mov_b32_e32 v4, s25
	v_add_u32_e32 v2, v7, v2
	v_addc_co_u32_e32 v9, vcc, v4, v3, vcc
	v_ashrrev_i32_e32 v4, 4, v2
	v_min_i32_e32 v2, s29, v4
	v_ashrrev_i32_e32 v3, 31, v2
	v_lshlrev_b64 v[2:3], 2, v[2:3]
	v_add_co_u32_e32 v10, vcc, s24, v2
	v_add_u32_e32 v2, 1, v4
	v_mov_b32_e32 v5, s25
	v_min_i32_e32 v2, s29, v2
	v_addc_co_u32_e32 v11, vcc, v5, v3, vcc
	v_ashrrev_i32_e32 v3, 31, v2
	v_lshlrev_b64 v[2:3], 2, v[2:3]
	v_add_co_u32_e32 v12, vcc, s24, v2
	v_add_u32_e32 v2, 2, v4
	v_min_i32_e32 v2, s29, v2
	v_addc_co_u32_e32 v13, vcc, v5, v3, vcc
	v_ashrrev_i32_e32 v3, 31, v2
	v_lshlrev_b64 v[2:3], 2, v[2:3]
	v_add_co_u32_e32 v14, vcc, s24, v2
	v_add_u32_e32 v2, 3, v4
	v_min_i32_e32 v2, s29, v2
	v_addc_co_u32_e32 v15, vcc, v5, v3, vcc
	v_ashrrev_i32_e32 v3, 31, v2
	v_lshlrev_b64 v[2:3], 2, v[2:3]
	v_mov_b32_e32 v4, s25
	v_add_co_u32_e32 v16, vcc, s24, v2
	v_addc_co_u32_e32 v17, vcc, v4, v3, vcc
	global_load_dword v7, v[8:9], off
	global_load_dword v4, v[10:11], off
	;; [unrolled: 1-line block ×5, first 2 shown]
	s_load_dwordx2 s[42:43], s[4:5], 0x40
	s_load_dwordx4 s[24:27], s[4:5], 0x0
	s_load_dwordx2 s[46:47], s[4:5], 0x10
	s_andn2_b64 vcc, exec, s[22:23]
	s_cbranch_vccnz .LBB469_10
; %bb.9:
	s_add_u32 s20, s20, s40
	s_addc_u32 s21, s21, s41
	s_load_dword s44, s[20:21], 0x0
	s_waitcnt lgkmcnt(0)
	s_mov_b64 s[38:39], s[44:45]
.LBB469_10:
	s_load_dwordx4 s[20:23], s[4:5], 0x48
	v_mov_b32_e32 v39, 0
	v_mov_b32_e32 v9, v39
	v_lshlrev_b32_e32 v42, 4, v1
	v_mov_b32_e32 v13, v39
	s_waitcnt lgkmcnt(0)
	s_ashr_i32 s11, s20, 31
	s_mul_hi_u32 s23, s38, s20
	s_mul_i32 s11, s38, s11
	s_mul_i32 s29, s39, s20
	s_add_i32 s11, s23, s11
	s_mul_i32 s40, s38, s20
	s_add_i32 s41, s11, s29
	s_lshl_b64 s[38:39], s[40:41], 1
	s_add_u32 s11, s24, s38
	s_addc_u32 s20, s25, s39
	s_lshl_b32 s44, s10, 9
	s_lshl_b64 s[24:25], s[44:45], 1
	s_add_u32 s24, s11, s24
	s_addc_u32 s25, s20, s25
	s_mul_i32 s20, s10, s22
	s_waitcnt vmcnt(3)
	v_mul_hi_i32 v5, v4, s21
	s_add_u32 s10, s20, s26
	v_ashrrev_i32_e32 v5, 31, v5
	s_addc_u32 s11, 0, s27
	v_lshrrev_b32_e32 v8, 29, v5
	s_add_u32 s20, s46, s20
	v_mad_i64_i32 v[4:5], s[22:23], v4, s21, v[8:9]
	s_addc_u32 s26, s47, 0
	v_and_b32_e32 v4, -8, v4
	v_mov_b32_e32 v8, s26
	v_add_co_u32_e32 v4, vcc, s20, v4
	v_addc_co_u32_e32 v5, vcc, v8, v5, vcc
	v_add_co_u32_e32 v4, vcc, v4, v42
	v_addc_co_u32_e32 v5, vcc, 0, v5, vcc
	global_load_dwordx4 v[8:11], v[4:5], off
	global_load_dwordx4 v[46:49], v[4:5], off offset:1024
	s_waitcnt vmcnt(4)
	v_mul_hi_i32 v4, v3, s21
	v_ashrrev_i32_e32 v4, 31, v4
	v_lshrrev_b32_e32 v4, 29, v4
	v_mov_b32_e32 v5, v39
	v_mad_i64_i32 v[4:5], s[22:23], v3, s21, v[4:5]
	v_and_b32_e32 v3, -8, v4
	v_mov_b32_e32 v4, s26
	v_add_co_u32_e32 v3, vcc, s20, v3
	v_addc_co_u32_e32 v5, vcc, v4, v5, vcc
	v_add_co_u32_e32 v4, vcc, v3, v42
	s_waitcnt vmcnt(3)
	v_mul_hi_i32 v3, v2, s21
	v_ashrrev_i32_e32 v3, 31, v3
	v_lshrrev_b32_e32 v12, 29, v3
	v_mad_i64_i32 v[2:3], s[22:23], v2, s21, v[12:13]
	v_addc_co_u32_e32 v5, vcc, 0, v5, vcc
	v_and_b32_e32 v2, -8, v2
	v_mov_b32_e32 v12, s26
	v_add_co_u32_e32 v2, vcc, s20, v2
	v_addc_co_u32_e32 v3, vcc, v12, v3, vcc
	global_load_dwordx4 v[50:53], v[4:5], off
	global_load_dwordx4 v[54:57], v[4:5], off offset:1024
	v_add_co_u32_e32 v12, vcc, v2, v42
	v_addc_co_u32_e32 v13, vcc, 0, v3, vcc
	global_load_dwordx4 v[58:61], v[12:13], off
	v_lshlrev_b32_e32 v2, 2, v1
	v_lshlrev_b32_e32 v3, 4, v0
	v_and_b32_e32 v5, 0xf0, v2
	v_and_b32_e32 v16, 0xf0, v3
	v_lshlrev_b64 v[2:3], 2, v[38:39]
	v_mov_b32_e32 v4, s43
	v_add_co_u32_e32 v40, vcc, s42, v2
	v_pk_mov_b32 v[14:15], s[10:11], s[10:11] op_sel:[0,1]
	v_addc_co_u32_e32 v41, vcc, v4, v3, vcc
	v_mad_i64_i32 v[14:15], s[10:11], v7, s21, v[14:15]
	v_add_co_u32_e32 v70, vcc, v14, v16
	s_waitcnt vmcnt(5)
	v_mul_hi_i32 v7, v6, s21
	v_lshl_or_b32 v5, v44, 8, v5
	v_addc_co_u32_e32 v71, vcc, 0, v15, vcc
	v_ashrrev_i32_e32 v7, 31, v7
	global_load_dwordx4 v[2:5], v5, s[24:25]
	s_nop 0
	global_load_dwordx4 v[34:37], v[70:71], off
	global_load_dwordx4 v[30:33], v[70:71], off offset:256
	global_load_dwordx4 v[26:29], v[70:71], off offset:512
	;; [unrolled: 1-line block ×4, first 2 shown]
	s_waitcnt vmcnt(10)
	buffer_store_dword v9, off, s[0:3], 0 offset:4
	buffer_store_dword v8, off, s[0:3], 0
	buffer_store_dword v11, off, s[0:3], 0 offset:12
	buffer_store_dword v10, off, s[0:3], 0 offset:8
	v_lshrrev_b32_e32 v8, 29, v7
	v_mov_b32_e32 v9, v39
	v_mad_i64_i32 v[6:7], s[10:11], v6, s21, v[8:9]
	v_and_b32_e32 v6, -8, v6
	v_mov_b32_e32 v8, s26
	v_add_co_u32_e32 v6, vcc, s20, v6
	v_addc_co_u32_e32 v7, vcc, v8, v7, vcc
	global_load_dwordx4 v[14:17], v[70:71], off offset:1280
	s_waitcnt vmcnt(14)
	buffer_store_dword v47, off, s[0:3], 0 offset:68
	buffer_store_dword v46, off, s[0:3], 0 offset:64
	;; [unrolled: 1-line block ×4, first 2 shown]
	v_add_co_u32_e32 v6, vcc, v6, v42
	global_load_dwordx4 v[62:65], v[12:13], off offset:1024
	v_addc_co_u32_e32 v7, vcc, 0, v7, vcc
	s_waitcnt vmcnt(18)
	buffer_store_dword v51, off, s[0:3], 0 offset:20
	buffer_store_dword v50, off, s[0:3], 0 offset:16
	;; [unrolled: 1-line block ×4, first 2 shown]
	global_load_dwordx4 v[48:51], v[6:7], off
	s_nop 0
	global_load_dwordx4 v[66:69], v[6:7], off offset:1024
	s_waitcnt vmcnt(23)
	buffer_store_dword v55, off, s[0:3], 0 offset:84
	buffer_store_dword v54, off, s[0:3], 0 offset:80
	;; [unrolled: 1-line block ×4, first 2 shown]
	global_load_dwordx4 v[10:13], v[70:71], off offset:1536
	s_waitcnt vmcnt(27)
	buffer_store_dword v59, off, s[0:3], 0 offset:36
	buffer_store_dword v58, off, s[0:3], 0 offset:32
	;; [unrolled: 1-line block ×4, first 2 shown]
	global_load_dwordx4 v[6:9], v[70:71], off offset:1792
	global_load_dword v46, v[40:41], off
	v_mov_b32_e32 v47, 0
	s_waitcnt vmcnt(17)
	buffer_store_dword v63, off, s[0:3], 0 offset:100
	buffer_store_dword v62, off, s[0:3], 0 offset:96
	buffer_store_dword v65, off, s[0:3], 0 offset:108
	buffer_store_dword v64, off, s[0:3], 0 offset:104
	s_waitcnt vmcnt(16)
	buffer_store_dword v49, off, s[0:3], 0 offset:52
	buffer_store_dword v48, off, s[0:3], 0 offset:48
	buffer_store_dword v51, off, s[0:3], 0 offset:60
	buffer_store_dword v50, off, s[0:3], 0 offset:56
	;; [unrolled: 5-line block ×3, first 2 shown]
	v_cmp_ne_u16_sdwa s[20:21], v34, v39 src0_sel:BYTE_0 src1_sel:DWORD
	s_and_saveexec_b64 s[10:11], s[20:21]
	s_cbranch_execz .LBB469_16
; %bb.11:
	s_movk_i32 s20, 0x80
	v_cmp_ne_u16_sdwa s[22:23], v34, s20 src0_sel:BYTE_0 src1_sel:DWORD
	v_bfrev_b32_e32 v47, 1
	s_and_saveexec_b64 s[20:21], s[22:23]
	s_cbranch_execz .LBB469_15
; %bb.12:
	s_movk_i32 s22, 0x7f
	v_and_b32_e32 v40, 0x7f, v34
	v_cmp_ne_u32_e32 vcc, s22, v40
	v_mov_b32_e32 v47, 0x7f800001
	s_and_saveexec_b64 s[22:23], vcc
	s_cbranch_execz .LBB469_14
; %bb.13:
	v_and_b32_e32 v41, 7, v34
	v_ffbh_u32_e32 v41, v41
	v_min_u32_e32 v41, 32, v41
	v_subrev_u32_e32 v47, 28, v41
	v_cmp_gt_u32_e32 vcc, 8, v40
	v_lshrrev_b32_e32 v42, 3, v40
	v_sub_u32_e32 v41, 29, v41
	v_cndmask_b32_e32 v40, 0, v47, vcc
	v_cndmask_b32_e32 v42, v42, v41, vcc
	v_lshlrev_b64 v[40:41], v40, v[34:35]
	v_lshlrev_b32_e32 v40, 20, v40
	v_lshlrev_b32_e32 v41, 24, v34
	v_bfrev_b32_e32 v47, 60
	v_and_b32_e32 v40, 0x700000, v40
	v_and_b32_e32 v41, 0x80000000, v41
	v_lshl_add_u32 v42, v42, 23, v47
	v_or3_b32 v47, v41, v42, v40
.LBB469_14:
	s_or_b64 exec, exec, s[22:23]
.LBB469_15:
	s_or_b64 exec, exec, s[20:21]
.LBB469_16:
	s_or_b64 exec, exec, s[10:11]
	v_lshrrev_b16_e32 v40, 8, v34
	v_cmp_ne_u16_e32 vcc, 0, v40
	s_and_saveexec_b64 s[10:11], vcc
	s_cbranch_execz .LBB469_22
; %bb.17:
	s_movk_i32 s20, 0x80
	v_cmp_ne_u16_sdwa s[22:23], v34, s20 src0_sel:BYTE_1 src1_sel:DWORD
	v_bfrev_b32_e32 v39, 1
	s_and_saveexec_b64 s[20:21], s[22:23]
	s_cbranch_execz .LBB469_21
; %bb.18:
	s_movk_i32 s22, 0x7f
	v_and_b32_e32 v41, 0x7f, v40
	v_cmp_ne_u32_e32 vcc, s22, v41
	v_mov_b32_e32 v39, 0x7f800001
	s_and_saveexec_b64 s[22:23], vcc
	s_cbranch_execz .LBB469_20
; %bb.19:
	v_and_b32_e32 v39, 7, v40
	v_ffbh_u32_e32 v48, v39
	v_min_u32_e32 v50, 32, v48
	v_subrev_u32_e32 v48, 28, v50
	v_lshlrev_b64 v[48:49], v48, v[40:41]
	v_lshrrev_b32_e32 v42, 3, v41
	v_sub_u32_e32 v40, 29, v50
	v_and_b32_e32 v48, 7, v48
	v_cmp_gt_u32_e32 vcc, 8, v41
	v_cndmask_b32_e32 v40, v42, v40, vcc
	v_cndmask_b32_e32 v39, v39, v48, vcc
	v_lshlrev_b32_e32 v41, 16, v34
	v_bfrev_b32_e32 v42, 60
	v_lshlrev_b32_e32 v39, 20, v39
	v_and_b32_e32 v41, 0x80000000, v41
	v_lshl_add_u32 v40, v40, 23, v42
	v_or3_b32 v39, v41, v40, v39
.LBB469_20:
	s_or_b64 exec, exec, s[22:23]
.LBB469_21:
	s_or_b64 exec, exec, s[20:21]
.LBB469_22:
	s_or_b64 exec, exec, s[10:11]
	s_movk_i32 s10, 0xff
	v_and_b32_sdwa v41, v34, s10 dst_sel:DWORD dst_unused:UNUSED_PAD src0_sel:WORD_1 src1_sel:DWORD
	v_lshrrev_b32_e32 v40, 16, v34
	v_cmp_ne_u16_e32 vcc, 0, v41
	v_mov_b32_e32 v48, 0
	v_mov_b32_e32 v49, 0
	s_and_saveexec_b64 s[10:11], vcc
	s_cbranch_execz .LBB469_28
; %bb.23:
	s_movk_i32 s20, 0x80
	v_cmp_ne_u16_e32 vcc, s20, v41
	v_bfrev_b32_e32 v49, 1
	s_and_saveexec_b64 s[20:21], vcc
	s_cbranch_execz .LBB469_27
; %bb.24:
	v_bfe_u32 v41, v34, 16, 7
	s_movk_i32 s22, 0x7f
	v_cmp_ne_u32_e32 vcc, s22, v41
	v_mov_b32_e32 v49, 0x7f800001
	s_and_saveexec_b64 s[22:23], vcc
	s_cbranch_execz .LBB469_26
; %bb.25:
	v_and_b32_e32 v42, 7, v40
	v_ffbh_u32_e32 v50, v42
	v_min_u32_e32 v52, 32, v50
	v_subrev_u32_e32 v50, 28, v52
	v_lshlrev_b64 v[50:51], v50, v[40:41]
	v_and_b32_e32 v50, 7, v50
	v_cmp_gt_u32_e32 vcc, 8, v41
	v_lshrrev_b32_e32 v49, 3, v41
	v_sub_u32_e32 v40, 29, v52
	v_cndmask_b32_e32 v41, v42, v50, vcc
	v_mov_b32_e32 v42, 24
	v_cndmask_b32_e32 v40, v49, v40, vcc
	v_lshlrev_b32_sdwa v42, v42, v34 dst_sel:DWORD dst_unused:UNUSED_PAD src0_sel:DWORD src1_sel:WORD_1
	v_bfrev_b32_e32 v49, 60
	v_lshlrev_b32_e32 v41, 20, v41
	v_and_b32_e32 v42, 0x80000000, v42
	v_lshl_add_u32 v40, v40, 23, v49
	v_or3_b32 v49, v42, v40, v41
.LBB469_26:
	s_or_b64 exec, exec, s[22:23]
.LBB469_27:
	s_or_b64 exec, exec, s[20:21]
.LBB469_28:
	s_or_b64 exec, exec, s[10:11]
	s_mov_b32 s10, 0xffffff
	v_cmp_lt_u32_e32 vcc, s10, v34
	s_and_saveexec_b64 s[10:11], vcc
	s_cbranch_execz .LBB469_34
; %bb.29:
	v_lshrrev_b32_e32 v40, 24, v34
	s_movk_i32 s20, 0x80
	v_cmp_ne_u32_e32 vcc, s20, v40
	v_bfrev_b32_e32 v48, 1
	s_and_saveexec_b64 s[20:21], vcc
	s_cbranch_execz .LBB469_33
; %bb.30:
	v_bfe_u32 v41, v34, 24, 7
	s_movk_i32 s22, 0x7f
	v_cmp_ne_u32_e32 vcc, s22, v41
	v_mov_b32_e32 v48, 0x7f800001
	s_and_saveexec_b64 s[22:23], vcc
	s_cbranch_execz .LBB469_32
; %bb.31:
	v_and_b32_e32 v42, 7, v40
	v_ffbh_u32_e32 v50, v42
	v_min_u32_e32 v52, 32, v50
	v_subrev_u32_e32 v50, 28, v52
	v_lshlrev_b64 v[50:51], v50, v[40:41]
	v_lshrrev_b32_e32 v48, 3, v41
	v_sub_u32_e32 v51, 29, v52
	v_and_b32_e32 v50, 7, v50
	v_cmp_gt_u32_e32 vcc, 8, v41
	v_cndmask_b32_e32 v41, v48, v51, vcc
	v_cndmask_b32_e32 v42, v42, v50, vcc
	v_lshlrev_b32_e32 v40, 24, v40
	v_bfrev_b32_e32 v48, 60
	v_lshlrev_b32_e32 v42, 20, v42
	v_and_b32_e32 v40, 0x80000000, v40
	v_lshl_add_u32 v41, v41, 23, v48
	v_or3_b32 v48, v40, v41, v42
.LBB469_32:
	s_or_b64 exec, exec, s[22:23]
.LBB469_33:
	s_or_b64 exec, exec, s[20:21]
.LBB469_34:
	s_or_b64 exec, exec, s[10:11]
	v_mov_b32_e32 v41, 0
	v_mov_b32_e32 v40, v35
	v_cmp_ne_u16_sdwa s[20:21], v35, v41 src0_sel:BYTE_0 src1_sel:DWORD
	v_mov_b32_e32 v50, v41
	s_and_saveexec_b64 s[10:11], s[20:21]
	s_cbranch_execz .LBB469_40
; %bb.35:
	s_movk_i32 s20, 0x80
	v_cmp_ne_u16_sdwa s[22:23], v35, s20 src0_sel:BYTE_0 src1_sel:DWORD
	v_bfrev_b32_e32 v50, 1
	s_and_saveexec_b64 s[20:21], s[22:23]
	s_cbranch_execz .LBB469_39
; %bb.36:
	s_movk_i32 s22, 0x7f
	v_and_b32_e32 v42, 0x7f, v35
	v_cmp_ne_u32_e32 vcc, s22, v42
	v_mov_b32_e32 v50, 0x7f800001
	s_and_saveexec_b64 s[22:23], vcc
	s_cbranch_execz .LBB469_38
; %bb.37:
	v_and_b32_e32 v50, 7, v35
	v_ffbh_u32_e32 v50, v50
	v_min_u32_e32 v50, 32, v50
	v_lshrrev_b32_e32 v51, 3, v42
	v_subrev_u32_e32 v52, 28, v50
	v_sub_u32_e32 v50, 29, v50
	v_cmp_gt_u32_e32 vcc, 8, v42
	v_cndmask_b32_e32 v42, v51, v50, vcc
	v_cndmask_b32_e32 v50, 0, v52, vcc
	v_lshlrev_b64 v[50:51], v50, v[40:41]
	v_lshlrev_b32_e32 v50, 20, v50
	v_lshlrev_b32_e32 v51, 24, v40
	v_bfrev_b32_e32 v52, 60
	v_and_b32_e32 v50, 0x700000, v50
	v_and_b32_e32 v51, 0x80000000, v51
	v_lshl_add_u32 v42, v42, 23, v52
	v_or3_b32 v50, v51, v42, v50
.LBB469_38:
	s_or_b64 exec, exec, s[22:23]
.LBB469_39:
	s_or_b64 exec, exec, s[20:21]
.LBB469_40:
	s_or_b64 exec, exec, s[10:11]
	v_lshrrev_b16_e32 v42, 8, v40
	v_cmp_ne_u16_e32 vcc, 0, v42
	s_and_saveexec_b64 s[10:11], vcc
	s_cbranch_execz .LBB469_46
; %bb.41:
	s_movk_i32 s20, 0x80
	v_cmp_ne_u16_e32 vcc, s20, v42
	v_bfrev_b32_e32 v41, 1
	s_and_saveexec_b64 s[20:21], vcc
	s_cbranch_execz .LBB469_45
; %bb.42:
	s_movk_i32 s22, 0x7f
	v_and_b32_e32 v51, 0x7f, v42
	v_cmp_ne_u32_e32 vcc, s22, v51
	v_mov_b32_e32 v41, 0x7f800001
	s_and_saveexec_b64 s[22:23], vcc
	s_cbranch_execz .LBB469_44
; %bb.43:
	v_and_b32_e32 v41, 7, v42
	v_ffbh_u32_e32 v52, v41
	v_min_u32_e32 v55, 32, v52
	v_subrev_u32_e32 v52, 28, v55
	v_lshlrev_b64 v[52:53], v52, v[42:43]
	v_lshrrev_b32_e32 v54, 3, v51
	v_sub_u32_e32 v42, 29, v55
	v_and_b32_e32 v52, 7, v52
	v_cmp_gt_u32_e32 vcc, 8, v51
	v_cndmask_b32_e32 v42, v54, v42, vcc
	v_cndmask_b32_e32 v41, v41, v52, vcc
	v_lshlrev_b32_e32 v40, 16, v40
	v_bfrev_b32_e32 v51, 60
	v_lshlrev_b32_e32 v41, 20, v41
	v_and_b32_e32 v40, 0x80000000, v40
	v_lshl_add_u32 v42, v42, 23, v51
	v_or3_b32 v41, v40, v42, v41
.LBB469_44:
	s_or_b64 exec, exec, s[22:23]
.LBB469_45:
	s_or_b64 exec, exec, s[20:21]
.LBB469_46:
	s_or_b64 exec, exec, s[10:11]
	s_movk_i32 s10, 0xff
	v_and_b32_sdwa v52, v35, s10 dst_sel:DWORD dst_unused:UNUSED_PAD src0_sel:WORD_1 src1_sel:DWORD
	v_lshrrev_b32_e32 v40, 16, v35
	v_cmp_ne_u16_e32 vcc, 0, v52
	v_mov_b32_e32 v42, 0
	v_mov_b32_e32 v51, 0
	s_and_saveexec_b64 s[10:11], vcc
	s_cbranch_execz .LBB469_52
; %bb.47:
	s_movk_i32 s20, 0x80
	v_cmp_ne_u16_e32 vcc, s20, v52
	v_bfrev_b32_e32 v51, 1
	s_and_saveexec_b64 s[20:21], vcc
	s_cbranch_execz .LBB469_51
; %bb.48:
	v_bfe_u32 v52, v35, 16, 7
	s_movk_i32 s22, 0x7f
	v_cmp_ne_u32_e32 vcc, s22, v52
	v_mov_b32_e32 v51, 0x7f800001
	s_and_saveexec_b64 s[22:23], vcc
	s_cbranch_execz .LBB469_50
; %bb.49:
	v_and_b32_e32 v51, 7, v40
	v_ffbh_u32_e32 v54, v51
	v_min_u32_e32 v56, 32, v54
	v_subrev_u32_e32 v54, 28, v56
	v_lshlrev_b64 v[54:55], v54, v[40:41]
	v_lshrrev_b32_e32 v53, 3, v52
	v_sub_u32_e32 v40, 29, v56
	v_and_b32_e32 v54, 7, v54
	v_cmp_gt_u32_e32 vcc, 8, v52
	v_mov_b32_e32 v52, 24
	v_cndmask_b32_e32 v40, v53, v40, vcc
	v_cndmask_b32_e32 v51, v51, v54, vcc
	v_lshlrev_b32_sdwa v52, v52, v35 dst_sel:DWORD dst_unused:UNUSED_PAD src0_sel:DWORD src1_sel:WORD_1
	v_bfrev_b32_e32 v53, 60
	v_lshlrev_b32_e32 v51, 20, v51
	v_and_b32_e32 v52, 0x80000000, v52
	v_lshl_add_u32 v40, v40, 23, v53
	v_or3_b32 v51, v52, v40, v51
.LBB469_50:
	s_or_b64 exec, exec, s[22:23]
.LBB469_51:
	s_or_b64 exec, exec, s[20:21]
.LBB469_52:
	s_or_b64 exec, exec, s[10:11]
	s_mov_b32 s10, -1
	s_mov_b32 s11, 0xffffff
	v_cmp_lt_u64_e32 vcc, s[10:11], v[34:35]
	s_and_saveexec_b64 s[10:11], vcc
	s_cbranch_execz .LBB469_58
; %bb.53:
	v_lshrrev_b32_e32 v34, 24, v35
	s_movk_i32 s20, 0x80
	v_cmp_ne_u32_e32 vcc, s20, v34
	v_bfrev_b32_e32 v42, 1
	s_and_saveexec_b64 s[20:21], vcc
	s_cbranch_execz .LBB469_57
; %bb.54:
	v_bfe_u32 v35, v35, 24, 7
	s_movk_i32 s22, 0x7f
	v_cmp_ne_u32_e32 vcc, s22, v35
	v_mov_b32_e32 v42, 0x7f800001
	s_and_saveexec_b64 s[22:23], vcc
	s_cbranch_execz .LBB469_56
; %bb.55:
	v_and_b32_e32 v40, 7, v34
	v_ffbh_u32_e32 v52, v40
	v_min_u32_e32 v54, 32, v52
	v_subrev_u32_e32 v52, 28, v54
	v_lshlrev_b64 v[52:53], v52, v[34:35]
	v_lshrrev_b32_e32 v42, 3, v35
	v_sub_u32_e32 v53, 29, v54
	v_and_b32_e32 v52, 7, v52
	v_cmp_gt_u32_e32 vcc, 8, v35
	v_cndmask_b32_e32 v35, v42, v53, vcc
	v_cndmask_b32_e32 v40, v40, v52, vcc
	v_lshlrev_b32_e32 v34, 24, v34
	v_bfrev_b32_e32 v42, 60
	v_lshlrev_b32_e32 v40, 20, v40
	v_and_b32_e32 v34, 0x80000000, v34
	v_lshl_add_u32 v35, v35, 23, v42
	v_or3_b32 v42, v34, v35, v40
.LBB469_56:
	s_or_b64 exec, exec, s[22:23]
.LBB469_57:
	s_or_b64 exec, exec, s[20:21]
.LBB469_58:
	s_or_b64 exec, exec, s[10:11]
	v_cvt_pkrtz_f16_f32 v34, v47, v39
	v_cvt_pkrtz_f16_f32 v35, v49, v48
	;; [unrolled: 1-line block ×4, first 2 shown]
	v_mfma_f32_4x4x4f16 a[0:3], v[2:3], v[34:35], 0 cbsz:4
	v_mov_b32_e32 v42, 0
	v_mfma_f32_4x4x4f16 a[0:3], v[4:5], v[48:49], a[0:3] cbsz:4
	v_mov_b32_e32 v41, 0
	v_cmp_ne_u16_sdwa s[20:21], v36, v42 src0_sel:BYTE_0 src1_sel:DWORD
	s_and_saveexec_b64 s[10:11], s[20:21]
	s_cbranch_execz .LBB469_64
; %bb.59:
	s_movk_i32 s20, 0x80
	v_cmp_ne_u16_sdwa s[22:23], v36, s20 src0_sel:BYTE_0 src1_sel:DWORD
	v_bfrev_b32_e32 v41, 1
	s_and_saveexec_b64 s[20:21], s[22:23]
	s_cbranch_execz .LBB469_63
; %bb.60:
	s_movk_i32 s22, 0x7f
	v_and_b32_e32 v34, 0x7f, v36
	v_cmp_ne_u32_e32 vcc, s22, v34
	v_mov_b32_e32 v41, 0x7f800001
	s_and_saveexec_b64 s[22:23], vcc
	s_cbranch_execz .LBB469_62
; %bb.61:
	v_and_b32_e32 v35, 7, v36
	v_ffbh_u32_e32 v35, v35
	v_min_u32_e32 v35, 32, v35
	v_subrev_u32_e32 v40, 28, v35
	v_cmp_gt_u32_e32 vcc, 8, v34
	v_lshrrev_b32_e32 v39, 3, v34
	v_sub_u32_e32 v35, 29, v35
	v_cndmask_b32_e32 v34, 0, v40, vcc
	v_cndmask_b32_e32 v39, v39, v35, vcc
	v_lshlrev_b64 v[34:35], v34, v[36:37]
	v_lshlrev_b32_e32 v34, 20, v34
	v_lshlrev_b32_e32 v35, 24, v36
	v_bfrev_b32_e32 v40, 60
	v_and_b32_e32 v34, 0x700000, v34
	v_and_b32_e32 v35, 0x80000000, v35
	v_lshl_add_u32 v39, v39, 23, v40
	v_or3_b32 v41, v35, v39, v34
.LBB469_62:
	s_or_b64 exec, exec, s[22:23]
.LBB469_63:
	s_or_b64 exec, exec, s[20:21]
.LBB469_64:
	s_or_b64 exec, exec, s[10:11]
	v_lshrrev_b16_e32 v34, 8, v36
	v_cmp_ne_u16_e32 vcc, 0, v34
	v_mov_b32_e32 v47, 0
	s_and_saveexec_b64 s[10:11], vcc
	s_cbranch_execz .LBB469_70
; %bb.65:
	s_movk_i32 s20, 0x80
	v_cmp_ne_u16_e32 vcc, s20, v34
	v_bfrev_b32_e32 v47, 1
	s_and_saveexec_b64 s[20:21], vcc
	s_cbranch_execz .LBB469_69
; %bb.66:
	s_movk_i32 s22, 0x7f
	v_and_b32_e32 v35, 0x7f, v34
	v_cmp_ne_u32_e32 vcc, s22, v35
	v_mov_b32_e32 v47, 0x7f800001
	s_and_saveexec_b64 s[22:23], vcc
	s_cbranch_execz .LBB469_68
; %bb.67:
	v_and_b32_e32 v39, 7, v34
	v_ffbh_u32_e32 v47, v39
	v_min_u32_e32 v47, 32, v47
	v_subrev_u32_e32 v48, 28, v47
	v_lshlrev_b64 v[48:49], v48, v[34:35]
	v_lshrrev_b32_e32 v40, 3, v35
	v_sub_u32_e32 v34, 29, v47
	v_and_b32_e32 v47, 7, v48
	v_cmp_gt_u32_e32 vcc, 8, v35
	v_cndmask_b32_e32 v34, v40, v34, vcc
	v_cndmask_b32_e32 v35, v39, v47, vcc
	v_lshlrev_b32_e32 v39, 16, v36
	v_bfrev_b32_e32 v40, 60
	v_lshlrev_b32_e32 v35, 20, v35
	v_and_b32_e32 v39, 0x80000000, v39
	v_lshl_add_u32 v34, v34, 23, v40
	v_or3_b32 v47, v39, v34, v35
.LBB469_68:
	s_or_b64 exec, exec, s[22:23]
.LBB469_69:
	s_or_b64 exec, exec, s[20:21]
.LBB469_70:
	s_or_b64 exec, exec, s[10:11]
	s_movk_i32 s10, 0xff
	v_and_b32_sdwa v35, v36, s10 dst_sel:DWORD dst_unused:UNUSED_PAD src0_sel:WORD_1 src1_sel:DWORD
	v_lshrrev_b32_e32 v34, 16, v36
	v_cmp_ne_u16_e32 vcc, 0, v35
	s_and_saveexec_b64 s[10:11], vcc
	s_cbranch_execz .LBB469_76
; %bb.71:
	s_movk_i32 s20, 0x80
	v_cmp_ne_u16_e32 vcc, s20, v35
	v_bfrev_b32_e32 v42, 1
	s_and_saveexec_b64 s[20:21], vcc
	s_cbranch_execz .LBB469_75
; %bb.72:
	v_bfe_u32 v35, v36, 16, 7
	s_movk_i32 s22, 0x7f
	v_cmp_ne_u32_e32 vcc, s22, v35
	v_mov_b32_e32 v42, 0x7f800001
	s_and_saveexec_b64 s[22:23], vcc
	s_cbranch_execz .LBB469_74
; %bb.73:
	v_and_b32_e32 v39, 7, v34
	v_ffbh_u32_e32 v42, v39
	v_min_u32_e32 v42, 32, v42
	v_subrev_u32_e32 v48, 28, v42
	v_lshlrev_b64 v[48:49], v48, v[34:35]
	v_sub_u32_e32 v34, 29, v42
	v_and_b32_e32 v42, 7, v48
	v_cmp_gt_u32_e32 vcc, 8, v35
	v_lshrrev_b32_e32 v40, 3, v35
	v_cndmask_b32_e32 v35, v39, v42, vcc
	v_mov_b32_e32 v39, 24
	v_cndmask_b32_e32 v34, v40, v34, vcc
	v_lshlrev_b32_sdwa v39, v39, v36 dst_sel:DWORD dst_unused:UNUSED_PAD src0_sel:DWORD src1_sel:WORD_1
	v_bfrev_b32_e32 v40, 60
	v_lshlrev_b32_e32 v35, 20, v35
	v_and_b32_e32 v39, 0x80000000, v39
	v_lshl_add_u32 v34, v34, 23, v40
	v_or3_b32 v42, v39, v34, v35
.LBB469_74:
	s_or_b64 exec, exec, s[22:23]
.LBB469_75:
	s_or_b64 exec, exec, s[20:21]
.LBB469_76:
	s_or_b64 exec, exec, s[10:11]
	s_mov_b32 s10, 0xffffff
	v_cmp_lt_u32_e32 vcc, s10, v36
	v_mov_b32_e32 v35, 0
	v_mov_b32_e32 v48, 0
	s_and_saveexec_b64 s[10:11], vcc
	s_cbranch_execz .LBB469_82
; %bb.77:
	v_lshrrev_b32_e32 v34, 24, v36
	s_movk_i32 s20, 0x80
	v_cmp_ne_u32_e32 vcc, s20, v34
	v_bfrev_b32_e32 v48, 1
	s_and_saveexec_b64 s[20:21], vcc
	s_cbranch_execz .LBB469_81
; %bb.78:
	v_bfe_u32 v39, v36, 24, 7
	s_movk_i32 s22, 0x7f
	v_cmp_ne_u32_e32 vcc, s22, v39
	v_mov_b32_e32 v48, 0x7f800001
	s_and_saveexec_b64 s[22:23], vcc
	s_cbranch_execz .LBB469_80
; %bb.79:
	v_and_b32_e32 v40, 7, v34
	v_ffbh_u32_e32 v48, v40
	v_min_u32_e32 v51, 32, v48
	v_subrev_u32_e32 v48, 28, v51
	v_lshlrev_b64 v[48:49], v48, v[34:35]
	v_lshrrev_b32_e32 v50, 3, v39
	v_sub_u32_e32 v49, 29, v51
	v_and_b32_e32 v48, 7, v48
	v_cmp_gt_u32_e32 vcc, 8, v39
	v_cndmask_b32_e32 v39, v50, v49, vcc
	v_cndmask_b32_e32 v40, v40, v48, vcc
	v_lshlrev_b32_e32 v34, 24, v34
	v_bfrev_b32_e32 v48, 60
	v_lshlrev_b32_e32 v40, 20, v40
	v_and_b32_e32 v34, 0x80000000, v34
	v_lshl_add_u32 v39, v39, 23, v48
	v_or3_b32 v48, v34, v39, v40
.LBB469_80:
	s_or_b64 exec, exec, s[22:23]
.LBB469_81:
	s_or_b64 exec, exec, s[20:21]
.LBB469_82:
	s_or_b64 exec, exec, s[10:11]
	v_mov_b32_e32 v34, v37
	v_cmp_ne_u16_sdwa s[20:21], v37, v35 src0_sel:BYTE_0 src1_sel:DWORD
	s_and_saveexec_b64 s[10:11], s[20:21]
	s_cbranch_execz .LBB469_88
; %bb.83:
	s_movk_i32 s20, 0x80
	v_cmp_ne_u16_sdwa s[22:23], v37, s20 src0_sel:BYTE_0 src1_sel:DWORD
	v_bfrev_b32_e32 v39, 1
	s_and_saveexec_b64 s[20:21], s[22:23]
	s_cbranch_execz .LBB469_87
; %bb.84:
	s_movk_i32 s22, 0x7f
	v_and_b32_e32 v40, 0x7f, v37
	v_cmp_ne_u32_e32 vcc, s22, v40
	v_mov_b32_e32 v39, 0x7f800001
	s_and_saveexec_b64 s[22:23], vcc
	s_cbranch_execz .LBB469_86
; %bb.85:
	v_and_b32_e32 v39, 7, v37
	v_ffbh_u32_e32 v39, v39
	v_min_u32_e32 v39, 32, v39
	v_subrev_u32_e32 v50, 28, v39
	v_cmp_gt_u32_e32 vcc, 8, v40
	v_lshrrev_b32_e32 v49, 3, v40
	v_cndmask_b32_e32 v40, 0, v50, vcc
	v_sub_u32_e32 v39, 29, v39
	v_lshlrev_b64 v[50:51], v40, v[34:35]
	v_cndmask_b32_e32 v39, v49, v39, vcc
	v_lshlrev_b32_e32 v35, 20, v50
	v_lshlrev_b32_e32 v40, 24, v34
	v_bfrev_b32_e32 v49, 60
	v_and_b32_e32 v35, 0x700000, v35
	v_and_b32_e32 v40, 0x80000000, v40
	v_lshl_add_u32 v39, v39, 23, v49
	v_or3_b32 v39, v40, v39, v35
.LBB469_86:
	s_or_b64 exec, exec, s[22:23]
.LBB469_87:
	s_or_b64 exec, exec, s[20:21]
	v_mov_b32_e32 v35, v39
.LBB469_88:
	s_or_b64 exec, exec, s[10:11]
	v_lshrrev_b16_e32 v40, 8, v34
	v_cmp_ne_u16_e32 vcc, 0, v40
	v_mov_b32_e32 v49, 0
	v_mov_b32_e32 v50, 0
	s_and_saveexec_b64 s[10:11], vcc
	s_cbranch_execz .LBB469_94
; %bb.89:
	s_movk_i32 s20, 0x80
	v_cmp_ne_u16_e32 vcc, s20, v40
	v_bfrev_b32_e32 v50, 1
	s_and_saveexec_b64 s[20:21], vcc
	s_cbranch_execz .LBB469_93
; %bb.90:
	s_movk_i32 s22, 0x7f
	v_and_b32_e32 v39, 0x7f, v40
	v_cmp_ne_u32_e32 vcc, s22, v39
	v_mov_b32_e32 v50, 0x7f800001
	s_and_saveexec_b64 s[22:23], vcc
	s_cbranch_execz .LBB469_92
; %bb.91:
	v_and_b32_e32 v52, 7, v40
	v_ffbh_u32_e32 v50, v52
	v_min_u32_e32 v54, 32, v50
	v_subrev_u32_e32 v50, 28, v54
	v_lshlrev_b64 v[50:51], v50, v[40:41]
	v_lshrrev_b32_e32 v53, 3, v39
	v_sub_u32_e32 v40, 29, v54
	v_and_b32_e32 v50, 7, v50
	v_cmp_gt_u32_e32 vcc, 8, v39
	v_cndmask_b32_e32 v39, v53, v40, vcc
	v_cndmask_b32_e32 v40, v52, v50, vcc
	v_lshlrev_b32_e32 v34, 16, v34
	v_bfrev_b32_e32 v50, 60
	v_lshlrev_b32_e32 v40, 20, v40
	v_and_b32_e32 v34, 0x80000000, v34
	v_lshl_add_u32 v39, v39, 23, v50
	v_or3_b32 v50, v34, v39, v40
.LBB469_92:
	s_or_b64 exec, exec, s[22:23]
.LBB469_93:
	s_or_b64 exec, exec, s[20:21]
.LBB469_94:
	s_or_b64 exec, exec, s[10:11]
	s_movk_i32 s10, 0xff
	v_and_b32_sdwa v39, v37, s10 dst_sel:DWORD dst_unused:UNUSED_PAD src0_sel:WORD_1 src1_sel:DWORD
	v_lshrrev_b32_e32 v34, 16, v37
	v_cmp_ne_u16_e32 vcc, 0, v39
	s_and_saveexec_b64 s[10:11], vcc
	s_cbranch_execz .LBB469_100
; %bb.95:
	s_movk_i32 s20, 0x80
	v_cmp_ne_u16_e32 vcc, s20, v39
	v_bfrev_b32_e32 v49, 1
	s_and_saveexec_b64 s[20:21], vcc
	s_cbranch_execz .LBB469_99
; %bb.96:
	v_bfe_u32 v39, v37, 16, 7
	s_movk_i32 s22, 0x7f
	v_cmp_ne_u32_e32 vcc, s22, v39
	v_mov_b32_e32 v49, 0x7f800001
	s_and_saveexec_b64 s[22:23], vcc
	s_cbranch_execz .LBB469_98
; %bb.97:
	v_and_b32_e32 v40, 7, v34
	v_ffbh_u32_e32 v51, v40
	v_min_u32_e32 v51, 32, v51
	v_subrev_u32_e32 v52, 28, v51
	v_lshlrev_b64 v[52:53], v52, v[34:35]
	v_sub_u32_e32 v34, 29, v51
	v_and_b32_e32 v51, 7, v52
	v_cmp_gt_u32_e32 vcc, 8, v39
	v_lshrrev_b32_e32 v49, 3, v39
	v_cndmask_b32_e32 v39, v40, v51, vcc
	v_mov_b32_e32 v40, 24
	v_cndmask_b32_e32 v34, v49, v34, vcc
	v_lshlrev_b32_sdwa v40, v40, v37 dst_sel:DWORD dst_unused:UNUSED_PAD src0_sel:DWORD src1_sel:WORD_1
	v_bfrev_b32_e32 v49, 60
	v_lshlrev_b32_e32 v39, 20, v39
	v_and_b32_e32 v40, 0x80000000, v40
	v_lshl_add_u32 v34, v34, 23, v49
	v_or3_b32 v49, v40, v34, v39
.LBB469_98:
	s_or_b64 exec, exec, s[22:23]
.LBB469_99:
	s_or_b64 exec, exec, s[20:21]
.LBB469_100:
	s_or_b64 exec, exec, s[10:11]
	s_mov_b32 s10, -1
	s_mov_b32 s11, 0xffffff
	v_cmp_lt_u64_e32 vcc, s[10:11], v[36:37]
	v_mov_b32_e32 v39, 0
	v_mov_b32_e32 v36, 0
	s_and_saveexec_b64 s[10:11], vcc
	s_cbranch_execz .LBB469_106
; %bb.101:
	v_lshrrev_b32_e32 v34, 24, v37
	s_movk_i32 s20, 0x80
	v_cmp_ne_u32_e32 vcc, s20, v34
	v_bfrev_b32_e32 v36, 1
	s_and_saveexec_b64 s[20:21], vcc
	s_cbranch_execz .LBB469_105
; %bb.102:
	v_bfe_u32 v37, v37, 24, 7
	s_movk_i32 s22, 0x7f
	v_cmp_ne_u32_e32 vcc, s22, v37
	v_mov_b32_e32 v36, 0x7f800001
	s_and_saveexec_b64 s[22:23], vcc
	s_cbranch_execz .LBB469_104
; %bb.103:
	v_and_b32_e32 v36, 7, v34
	v_ffbh_u32_e32 v51, v36
	v_min_u32_e32 v51, 32, v51
	v_subrev_u32_e32 v52, 28, v51
	v_lshlrev_b64 v[52:53], v52, v[34:35]
	v_lshrrev_b32_e32 v40, 3, v37
	v_sub_u32_e32 v51, 29, v51
	v_and_b32_e32 v52, 7, v52
	v_cmp_gt_u32_e32 vcc, 8, v37
	v_cndmask_b32_e32 v37, v40, v51, vcc
	v_cndmask_b32_e32 v36, v36, v52, vcc
	v_lshlrev_b32_e32 v34, 24, v34
	v_bfrev_b32_e32 v40, 60
	v_lshlrev_b32_e32 v36, 20, v36
	v_and_b32_e32 v34, 0x80000000, v34
	v_lshl_add_u32 v37, v37, 23, v40
	v_or3_b32 v36, v34, v37, v36
.LBB469_104:
	s_or_b64 exec, exec, s[22:23]
.LBB469_105:
	s_or_b64 exec, exec, s[20:21]
.LBB469_106:
	s_or_b64 exec, exec, s[10:11]
	v_cvt_pkrtz_f16_f32 v40, v41, v47
	v_cvt_pkrtz_f16_f32 v41, v42, v48
	;; [unrolled: 1-line block ×4, first 2 shown]
	v_mfma_f32_4x4x4f16 a[0:3], v[2:3], v[40:41], a[0:3] cbsz:4 abid:1
	v_cmp_ne_u16_sdwa s[20:21], v30, v39 src0_sel:BYTE_0 src1_sel:DWORD
	v_mfma_f32_4x4x4f16 a[0:3], v[4:5], v[34:35], a[0:3] cbsz:4 abid:1
	s_and_saveexec_b64 s[10:11], s[20:21]
	s_cbranch_execz .LBB469_112
; %bb.107:
	s_movk_i32 s20, 0x80
	v_cmp_ne_u16_sdwa s[22:23], v30, s20 src0_sel:BYTE_0 src1_sel:DWORD
	v_bfrev_b32_e32 v39, 1
	s_and_saveexec_b64 s[20:21], s[22:23]
	s_cbranch_execz .LBB469_111
; %bb.108:
	s_movk_i32 s22, 0x7f
	v_and_b32_e32 v34, 0x7f, v30
	v_cmp_ne_u32_e32 vcc, s22, v34
	v_mov_b32_e32 v39, 0x7f800001
	s_and_saveexec_b64 s[22:23], vcc
	s_cbranch_execz .LBB469_110
; %bb.109:
	v_and_b32_e32 v35, 7, v30
	v_ffbh_u32_e32 v35, v35
	v_min_u32_e32 v35, 32, v35
	v_subrev_u32_e32 v37, 28, v35
	v_cmp_gt_u32_e32 vcc, 8, v34
	v_lshrrev_b32_e32 v36, 3, v34
	v_sub_u32_e32 v35, 29, v35
	v_cndmask_b32_e32 v34, 0, v37, vcc
	v_cndmask_b32_e32 v36, v36, v35, vcc
	v_lshlrev_b64 v[34:35], v34, v[30:31]
	v_lshlrev_b32_e32 v34, 20, v34
	v_lshlrev_b32_e32 v35, 24, v30
	v_bfrev_b32_e32 v37, 60
	v_and_b32_e32 v34, 0x700000, v34
	v_and_b32_e32 v35, 0x80000000, v35
	v_lshl_add_u32 v36, v36, 23, v37
	v_or3_b32 v39, v35, v36, v34
.LBB469_110:
	s_or_b64 exec, exec, s[22:23]
.LBB469_111:
	s_or_b64 exec, exec, s[20:21]
.LBB469_112:
	s_or_b64 exec, exec, s[10:11]
	v_lshrrev_b16_e32 v34, 8, v30
	v_cmp_ne_u16_e32 vcc, 0, v34
	v_mov_b32_e32 v37, 0
	v_mov_b32_e32 v40, 0
	s_and_saveexec_b64 s[10:11], vcc
	s_cbranch_execz .LBB469_118
; %bb.113:
	s_movk_i32 s20, 0x80
	v_cmp_ne_u16_e32 vcc, s20, v34
	v_bfrev_b32_e32 v40, 1
	s_and_saveexec_b64 s[20:21], vcc
	s_cbranch_execz .LBB469_117
; %bb.114:
	s_movk_i32 s22, 0x7f
	v_and_b32_e32 v35, 0x7f, v34
	v_cmp_ne_u32_e32 vcc, s22, v35
	v_mov_b32_e32 v40, 0x7f800001
	s_and_saveexec_b64 s[22:23], vcc
	s_cbranch_execz .LBB469_116
; %bb.115:
	v_and_b32_e32 v36, 7, v34
	v_ffbh_u32_e32 v40, v36
	v_min_u32_e32 v47, 32, v40
	v_subrev_u32_e32 v40, 28, v47
	v_lshlrev_b64 v[40:41], v40, v[34:35]
	v_lshrrev_b32_e32 v42, 3, v35
	v_sub_u32_e32 v34, 29, v47
	v_and_b32_e32 v40, 7, v40
	v_cmp_gt_u32_e32 vcc, 8, v35
	v_cndmask_b32_e32 v34, v42, v34, vcc
	v_cndmask_b32_e32 v35, v36, v40, vcc
	v_lshlrev_b32_e32 v36, 16, v30
	v_bfrev_b32_e32 v40, 60
	v_lshlrev_b32_e32 v35, 20, v35
	v_and_b32_e32 v36, 0x80000000, v36
	v_lshl_add_u32 v34, v34, 23, v40
	v_or3_b32 v40, v36, v34, v35
.LBB469_116:
	s_or_b64 exec, exec, s[22:23]
.LBB469_117:
	s_or_b64 exec, exec, s[20:21]
.LBB469_118:
	s_or_b64 exec, exec, s[10:11]
	s_movk_i32 s10, 0xff
	v_and_b32_sdwa v35, v30, s10 dst_sel:DWORD dst_unused:UNUSED_PAD src0_sel:WORD_1 src1_sel:DWORD
	v_lshrrev_b32_e32 v34, 16, v30
	v_cmp_ne_u16_e32 vcc, 0, v35
	s_and_saveexec_b64 s[10:11], vcc
	s_cbranch_execz .LBB469_124
; %bb.119:
	s_movk_i32 s20, 0x80
	v_cmp_ne_u16_e32 vcc, s20, v35
	v_bfrev_b32_e32 v37, 1
	s_and_saveexec_b64 s[20:21], vcc
	s_cbranch_execz .LBB469_123
; %bb.120:
	v_bfe_u32 v35, v30, 16, 7
	s_movk_i32 s22, 0x7f
	v_cmp_ne_u32_e32 vcc, s22, v35
	v_mov_b32_e32 v37, 0x7f800001
	s_and_saveexec_b64 s[22:23], vcc
	s_cbranch_execz .LBB469_122
; %bb.121:
	v_and_b32_e32 v41, 7, v34
	v_ffbh_u32_e32 v36, v41
	v_min_u32_e32 v47, 32, v36
	v_subrev_u32_e32 v36, 28, v47
	v_lshlrev_b64 v[36:37], v36, v[34:35]
	v_and_b32_e32 v36, 7, v36
	v_cmp_gt_u32_e32 vcc, 8, v35
	v_lshrrev_b32_e32 v42, 3, v35
	v_sub_u32_e32 v34, 29, v47
	v_cndmask_b32_e32 v35, v41, v36, vcc
	v_mov_b32_e32 v36, 24
	v_cndmask_b32_e32 v34, v42, v34, vcc
	v_lshlrev_b32_sdwa v36, v36, v30 dst_sel:DWORD dst_unused:UNUSED_PAD src0_sel:DWORD src1_sel:WORD_1
	v_bfrev_b32_e32 v37, 60
	v_lshlrev_b32_e32 v35, 20, v35
	v_and_b32_e32 v36, 0x80000000, v36
	v_lshl_add_u32 v34, v34, 23, v37
	v_or3_b32 v37, v36, v34, v35
.LBB469_122:
	s_or_b64 exec, exec, s[22:23]
.LBB469_123:
	s_or_b64 exec, exec, s[20:21]
.LBB469_124:
	s_or_b64 exec, exec, s[10:11]
	s_mov_b32 s10, 0xffffff
	v_cmp_lt_u32_e32 vcc, s10, v30
	v_mov_b32_e32 v35, 0
	v_mov_b32_e32 v41, 0
	s_and_saveexec_b64 s[10:11], vcc
	s_cbranch_execz .LBB469_130
; %bb.125:
	v_lshrrev_b32_e32 v34, 24, v30
	s_movk_i32 s20, 0x80
	v_cmp_ne_u32_e32 vcc, s20, v34
	v_bfrev_b32_e32 v41, 1
	s_and_saveexec_b64 s[20:21], vcc
	s_cbranch_execz .LBB469_129
; %bb.126:
	v_bfe_u32 v36, v30, 24, 7
	s_movk_i32 s22, 0x7f
	v_cmp_ne_u32_e32 vcc, s22, v36
	v_mov_b32_e32 v41, 0x7f800001
	s_and_saveexec_b64 s[22:23], vcc
	s_cbranch_execz .LBB469_128
; %bb.127:
	v_and_b32_e32 v41, 7, v34
	v_ffbh_u32_e32 v47, v41
	v_min_u32_e32 v47, 32, v47
	v_subrev_u32_e32 v48, 28, v47
	v_lshlrev_b64 v[48:49], v48, v[34:35]
	v_lshrrev_b32_e32 v42, 3, v36
	v_sub_u32_e32 v47, 29, v47
	v_and_b32_e32 v48, 7, v48
	v_cmp_gt_u32_e32 vcc, 8, v36
	v_cndmask_b32_e32 v36, v42, v47, vcc
	v_cndmask_b32_e32 v41, v41, v48, vcc
	v_lshlrev_b32_e32 v34, 24, v34
	v_bfrev_b32_e32 v42, 60
	v_lshlrev_b32_e32 v41, 20, v41
	v_and_b32_e32 v34, 0x80000000, v34
	v_lshl_add_u32 v36, v36, 23, v42
	v_or3_b32 v41, v34, v36, v41
.LBB469_128:
	s_or_b64 exec, exec, s[22:23]
.LBB469_129:
	s_or_b64 exec, exec, s[20:21]
.LBB469_130:
	s_or_b64 exec, exec, s[10:11]
	v_mov_b32_e32 v34, v31
	v_cmp_ne_u16_sdwa s[20:21], v31, v35 src0_sel:BYTE_0 src1_sel:DWORD
	s_and_saveexec_b64 s[10:11], s[20:21]
	s_cbranch_execz .LBB469_136
; %bb.131:
	s_movk_i32 s20, 0x80
	v_cmp_ne_u16_sdwa s[22:23], v31, s20 src0_sel:BYTE_0 src1_sel:DWORD
	v_bfrev_b32_e32 v36, 1
	s_and_saveexec_b64 s[20:21], s[22:23]
	s_cbranch_execz .LBB469_135
; %bb.132:
	s_movk_i32 s22, 0x7f
	v_and_b32_e32 v42, 0x7f, v31
	v_cmp_ne_u32_e32 vcc, s22, v42
	v_mov_b32_e32 v36, 0x7f800001
	s_and_saveexec_b64 s[22:23], vcc
	s_cbranch_execz .LBB469_134
; %bb.133:
	v_and_b32_e32 v36, 7, v31
	v_ffbh_u32_e32 v36, v36
	v_min_u32_e32 v36, 32, v36
	v_subrev_u32_e32 v48, 28, v36
	v_cmp_gt_u32_e32 vcc, 8, v42
	v_lshrrev_b32_e32 v47, 3, v42
	v_cndmask_b32_e32 v42, 0, v48, vcc
	v_sub_u32_e32 v36, 29, v36
	v_lshlrev_b64 v[48:49], v42, v[34:35]
	v_cndmask_b32_e32 v36, v47, v36, vcc
	v_lshlrev_b32_e32 v35, 20, v48
	v_lshlrev_b32_e32 v42, 24, v34
	v_bfrev_b32_e32 v47, 60
	v_and_b32_e32 v35, 0x700000, v35
	v_and_b32_e32 v42, 0x80000000, v42
	v_lshl_add_u32 v36, v36, 23, v47
	v_or3_b32 v36, v42, v36, v35
.LBB469_134:
	s_or_b64 exec, exec, s[22:23]
.LBB469_135:
	s_or_b64 exec, exec, s[20:21]
	v_mov_b32_e32 v35, v36
.LBB469_136:
	s_or_b64 exec, exec, s[10:11]
	v_lshrrev_b16_e32 v36, 8, v34
	v_cmp_ne_u16_e32 vcc, 0, v36
	v_mov_b32_e32 v42, 0
	v_mov_b32_e32 v47, 0
	s_and_saveexec_b64 s[10:11], vcc
	s_cbranch_execz .LBB469_142
; %bb.137:
	s_movk_i32 s20, 0x80
	v_cmp_ne_u16_e32 vcc, s20, v36
	v_bfrev_b32_e32 v47, 1
	s_and_saveexec_b64 s[20:21], vcc
	s_cbranch_execz .LBB469_141
; %bb.138:
	s_movk_i32 s22, 0x7f
	v_and_b32_e32 v48, 0x7f, v36
	v_cmp_ne_u32_e32 vcc, s22, v48
	v_mov_b32_e32 v47, 0x7f800001
	s_and_saveexec_b64 s[22:23], vcc
	s_cbranch_execz .LBB469_140
; %bb.139:
	v_and_b32_e32 v47, 7, v36
	v_ffbh_u32_e32 v50, v47
	v_min_u32_e32 v52, 32, v50
	v_subrev_u32_e32 v50, 28, v52
	v_lshlrev_b64 v[50:51], v50, v[36:37]
	v_lshrrev_b32_e32 v49, 3, v48
	v_sub_u32_e32 v36, 29, v52
	v_and_b32_e32 v50, 7, v50
	v_cmp_gt_u32_e32 vcc, 8, v48
	v_cndmask_b32_e32 v36, v49, v36, vcc
	v_cndmask_b32_e32 v47, v47, v50, vcc
	v_lshlrev_b32_e32 v34, 16, v34
	v_bfrev_b32_e32 v48, 60
	v_lshlrev_b32_e32 v47, 20, v47
	v_and_b32_e32 v34, 0x80000000, v34
	v_lshl_add_u32 v36, v36, 23, v48
	v_or3_b32 v47, v34, v36, v47
.LBB469_140:
	s_or_b64 exec, exec, s[22:23]
.LBB469_141:
	s_or_b64 exec, exec, s[20:21]
.LBB469_142:
	s_or_b64 exec, exec, s[10:11]
	s_movk_i32 s10, 0xff
	v_and_b32_sdwa v36, v31, s10 dst_sel:DWORD dst_unused:UNUSED_PAD src0_sel:WORD_1 src1_sel:DWORD
	v_lshrrev_b32_e32 v34, 16, v31
	v_cmp_ne_u16_e32 vcc, 0, v36
	s_and_saveexec_b64 s[10:11], vcc
	s_cbranch_execz .LBB469_148
; %bb.143:
	s_movk_i32 s20, 0x80
	v_cmp_ne_u16_e32 vcc, s20, v36
	v_bfrev_b32_e32 v42, 1
	s_and_saveexec_b64 s[20:21], vcc
	s_cbranch_execz .LBB469_147
; %bb.144:
	v_bfe_u32 v36, v31, 16, 7
	s_movk_i32 s22, 0x7f
	v_cmp_ne_u32_e32 vcc, s22, v36
	v_mov_b32_e32 v42, 0x7f800001
	s_and_saveexec_b64 s[22:23], vcc
	s_cbranch_execz .LBB469_146
; %bb.145:
	v_and_b32_e32 v42, 7, v34
	v_ffbh_u32_e32 v48, v42
	v_min_u32_e32 v51, 32, v48
	v_subrev_u32_e32 v48, 28, v51
	v_lshlrev_b64 v[48:49], v48, v[34:35]
	v_and_b32_e32 v48, 7, v48
	v_cmp_gt_u32_e32 vcc, 8, v36
	v_lshrrev_b32_e32 v50, 3, v36
	v_sub_u32_e32 v34, 29, v51
	v_cndmask_b32_e32 v36, v42, v48, vcc
	v_mov_b32_e32 v42, 24
	v_cndmask_b32_e32 v34, v50, v34, vcc
	v_lshlrev_b32_sdwa v42, v42, v31 dst_sel:DWORD dst_unused:UNUSED_PAD src0_sel:DWORD src1_sel:WORD_1
	v_bfrev_b32_e32 v48, 60
	v_lshlrev_b32_e32 v36, 20, v36
	v_and_b32_e32 v42, 0x80000000, v42
	v_lshl_add_u32 v34, v34, 23, v48
	v_or3_b32 v42, v42, v34, v36
.LBB469_146:
	s_or_b64 exec, exec, s[22:23]
.LBB469_147:
	s_or_b64 exec, exec, s[20:21]
.LBB469_148:
	s_or_b64 exec, exec, s[10:11]
	s_mov_b32 s10, -1
	s_mov_b32 s11, 0xffffff
	v_cmp_lt_u64_e32 vcc, s[10:11], v[30:31]
	v_mov_b32_e32 v36, 0
	v_mov_b32_e32 v34, 0
	s_and_saveexec_b64 s[10:11], vcc
	s_cbranch_execz .LBB469_154
; %bb.149:
	v_lshrrev_b32_e32 v30, 24, v31
	s_movk_i32 s20, 0x80
	v_cmp_ne_u32_e32 vcc, s20, v30
	v_bfrev_b32_e32 v34, 1
	s_and_saveexec_b64 s[20:21], vcc
	s_cbranch_execz .LBB469_153
; %bb.150:
	v_bfe_u32 v31, v31, 24, 7
	s_movk_i32 s22, 0x7f
	v_cmp_ne_u32_e32 vcc, s22, v31
	v_mov_b32_e32 v34, 0x7f800001
	s_and_saveexec_b64 s[22:23], vcc
	s_cbranch_execz .LBB469_152
; %bb.151:
	v_and_b32_e32 v34, 7, v30
	v_ffbh_u32_e32 v48, v34
	v_min_u32_e32 v51, 32, v48
	v_subrev_u32_e32 v48, 28, v51
	v_lshlrev_b64 v[48:49], v48, v[30:31]
	v_lshrrev_b32_e32 v50, 3, v31
	v_sub_u32_e32 v49, 29, v51
	v_and_b32_e32 v48, 7, v48
	v_cmp_gt_u32_e32 vcc, 8, v31
	v_cndmask_b32_e32 v31, v50, v49, vcc
	v_cndmask_b32_e32 v34, v34, v48, vcc
	v_lshlrev_b32_e32 v30, 24, v30
	v_bfrev_b32_e32 v48, 60
	v_lshlrev_b32_e32 v34, 20, v34
	v_and_b32_e32 v30, 0x80000000, v30
	v_lshl_add_u32 v31, v31, 23, v48
	v_or3_b32 v34, v30, v31, v34
.LBB469_152:
	s_or_b64 exec, exec, s[22:23]
.LBB469_153:
	s_or_b64 exec, exec, s[20:21]
.LBB469_154:
	s_or_b64 exec, exec, s[10:11]
	v_cvt_pkrtz_f16_f32 v30, v39, v40
	v_cvt_pkrtz_f16_f32 v31, v37, v41
	;; [unrolled: 1-line block ×4, first 2 shown]
	v_mfma_f32_4x4x4f16 a[0:3], v[2:3], v[30:31], a[0:3] cbsz:4 abid:2
	v_cmp_ne_u16_sdwa s[20:21], v32, v36 src0_sel:BYTE_0 src1_sel:DWORD
	v_mfma_f32_4x4x4f16 a[0:3], v[4:5], v[40:41], a[0:3] cbsz:4 abid:2
	s_and_saveexec_b64 s[10:11], s[20:21]
	s_cbranch_execz .LBB469_160
; %bb.155:
	s_movk_i32 s20, 0x80
	v_cmp_ne_u16_sdwa s[22:23], v32, s20 src0_sel:BYTE_0 src1_sel:DWORD
	v_bfrev_b32_e32 v36, 1
	s_and_saveexec_b64 s[20:21], s[22:23]
	s_cbranch_execz .LBB469_159
; %bb.156:
	s_movk_i32 s22, 0x7f
	v_and_b32_e32 v30, 0x7f, v32
	v_cmp_ne_u32_e32 vcc, s22, v30
	v_mov_b32_e32 v36, 0x7f800001
	s_and_saveexec_b64 s[22:23], vcc
	s_cbranch_execz .LBB469_158
; %bb.157:
	v_and_b32_e32 v31, 7, v32
	v_ffbh_u32_e32 v31, v31
	v_min_u32_e32 v31, 32, v31
	v_subrev_u32_e32 v35, 28, v31
	v_cmp_gt_u32_e32 vcc, 8, v30
	v_lshrrev_b32_e32 v34, 3, v30
	v_sub_u32_e32 v31, 29, v31
	v_cndmask_b32_e32 v30, 0, v35, vcc
	v_cndmask_b32_e32 v34, v34, v31, vcc
	v_lshlrev_b64 v[30:31], v30, v[32:33]
	v_lshlrev_b32_e32 v30, 20, v30
	v_lshlrev_b32_e32 v31, 24, v32
	v_bfrev_b32_e32 v35, 60
	v_and_b32_e32 v30, 0x700000, v30
	v_and_b32_e32 v31, 0x80000000, v31
	v_lshl_add_u32 v34, v34, 23, v35
	v_or3_b32 v36, v31, v34, v30
.LBB469_158:
	s_or_b64 exec, exec, s[22:23]
.LBB469_159:
	s_or_b64 exec, exec, s[20:21]
.LBB469_160:
	s_or_b64 exec, exec, s[10:11]
	v_lshrrev_b16_e32 v30, 8, v32
	v_cmp_ne_u16_e32 vcc, 0, v30
	v_mov_b32_e32 v35, 0
	v_mov_b32_e32 v37, 0
	s_and_saveexec_b64 s[10:11], vcc
	s_cbranch_execz .LBB469_166
; %bb.161:
	s_movk_i32 s20, 0x80
	v_cmp_ne_u16_e32 vcc, s20, v30
	v_bfrev_b32_e32 v37, 1
	s_and_saveexec_b64 s[20:21], vcc
	s_cbranch_execz .LBB469_165
; %bb.162:
	s_movk_i32 s22, 0x7f
	v_and_b32_e32 v31, 0x7f, v30
	v_cmp_ne_u32_e32 vcc, s22, v31
	v_mov_b32_e32 v37, 0x7f800001
	s_and_saveexec_b64 s[22:23], vcc
	s_cbranch_execz .LBB469_164
; %bb.163:
	v_and_b32_e32 v34, 7, v30
	v_ffbh_u32_e32 v39, v34
	v_min_u32_e32 v39, 32, v39
	v_subrev_u32_e32 v40, 28, v39
	v_lshlrev_b64 v[40:41], v40, v[30:31]
	v_lshrrev_b32_e32 v37, 3, v31
	v_sub_u32_e32 v30, 29, v39
	v_and_b32_e32 v39, 7, v40
	v_cmp_gt_u32_e32 vcc, 8, v31
	v_cndmask_b32_e32 v30, v37, v30, vcc
	v_cndmask_b32_e32 v31, v34, v39, vcc
	v_lshlrev_b32_e32 v34, 16, v32
	v_bfrev_b32_e32 v37, 60
	v_lshlrev_b32_e32 v31, 20, v31
	v_and_b32_e32 v34, 0x80000000, v34
	v_lshl_add_u32 v30, v30, 23, v37
	v_or3_b32 v37, v34, v30, v31
.LBB469_164:
	s_or_b64 exec, exec, s[22:23]
.LBB469_165:
	s_or_b64 exec, exec, s[20:21]
.LBB469_166:
	s_or_b64 exec, exec, s[10:11]
	s_movk_i32 s10, 0xff
	v_and_b32_sdwa v31, v32, s10 dst_sel:DWORD dst_unused:UNUSED_PAD src0_sel:WORD_1 src1_sel:DWORD
	v_lshrrev_b32_e32 v30, 16, v32
	v_cmp_ne_u16_e32 vcc, 0, v31
	s_and_saveexec_b64 s[10:11], vcc
	s_cbranch_execz .LBB469_172
; %bb.167:
	s_movk_i32 s20, 0x80
	v_cmp_ne_u16_e32 vcc, s20, v31
	v_bfrev_b32_e32 v35, 1
	s_and_saveexec_b64 s[20:21], vcc
	s_cbranch_execz .LBB469_171
; %bb.168:
	v_bfe_u32 v31, v32, 16, 7
	s_movk_i32 s22, 0x7f
	v_cmp_ne_u32_e32 vcc, s22, v31
	v_mov_b32_e32 v35, 0x7f800001
	s_and_saveexec_b64 s[22:23], vcc
	s_cbranch_execz .LBB469_170
; %bb.169:
	v_and_b32_e32 v39, 7, v30
	v_ffbh_u32_e32 v34, v39
	v_min_u32_e32 v41, 32, v34
	v_subrev_u32_e32 v34, 28, v41
	v_lshlrev_b64 v[34:35], v34, v[30:31]
	v_and_b32_e32 v34, 7, v34
	v_cmp_gt_u32_e32 vcc, 8, v31
	v_lshrrev_b32_e32 v40, 3, v31
	v_sub_u32_e32 v30, 29, v41
	v_cndmask_b32_e32 v31, v39, v34, vcc
	v_mov_b32_e32 v34, 24
	v_cndmask_b32_e32 v30, v40, v30, vcc
	v_lshlrev_b32_sdwa v34, v34, v32 dst_sel:DWORD dst_unused:UNUSED_PAD src0_sel:DWORD src1_sel:WORD_1
	v_bfrev_b32_e32 v35, 60
	v_lshlrev_b32_e32 v31, 20, v31
	v_and_b32_e32 v34, 0x80000000, v34
	v_lshl_add_u32 v30, v30, 23, v35
	v_or3_b32 v35, v34, v30, v31
.LBB469_170:
	s_or_b64 exec, exec, s[22:23]
.LBB469_171:
	s_or_b64 exec, exec, s[20:21]
.LBB469_172:
	s_or_b64 exec, exec, s[10:11]
	s_mov_b32 s10, 0xffffff
	v_cmp_lt_u32_e32 vcc, s10, v32
	v_mov_b32_e32 v31, 0
	v_mov_b32_e32 v39, 0
	s_and_saveexec_b64 s[10:11], vcc
	s_cbranch_execz .LBB469_178
; %bb.173:
	v_lshrrev_b32_e32 v30, 24, v32
	s_movk_i32 s20, 0x80
	v_cmp_ne_u32_e32 vcc, s20, v30
	v_bfrev_b32_e32 v39, 1
	s_and_saveexec_b64 s[20:21], vcc
	s_cbranch_execz .LBB469_177
; %bb.174:
	v_bfe_u32 v34, v32, 24, 7
	s_movk_i32 s22, 0x7f
	v_cmp_ne_u32_e32 vcc, s22, v34
	v_mov_b32_e32 v39, 0x7f800001
	s_and_saveexec_b64 s[22:23], vcc
	s_cbranch_execz .LBB469_176
; %bb.175:
	v_and_b32_e32 v39, 7, v30
	v_ffbh_u32_e32 v40, v39
	v_min_u32_e32 v47, 32, v40
	v_subrev_u32_e32 v40, 28, v47
	v_lshlrev_b64 v[40:41], v40, v[30:31]
	v_lshrrev_b32_e32 v42, 3, v34
	v_sub_u32_e32 v41, 29, v47
	v_and_b32_e32 v40, 7, v40
	v_cmp_gt_u32_e32 vcc, 8, v34
	v_cndmask_b32_e32 v34, v42, v41, vcc
	v_cndmask_b32_e32 v39, v39, v40, vcc
	v_lshlrev_b32_e32 v30, 24, v30
	v_bfrev_b32_e32 v40, 60
	v_lshlrev_b32_e32 v39, 20, v39
	v_and_b32_e32 v30, 0x80000000, v30
	v_lshl_add_u32 v34, v34, 23, v40
	v_or3_b32 v39, v30, v34, v39
.LBB469_176:
	s_or_b64 exec, exec, s[22:23]
.LBB469_177:
	s_or_b64 exec, exec, s[20:21]
.LBB469_178:
	s_or_b64 exec, exec, s[10:11]
	v_mov_b32_e32 v30, v33
	v_cmp_ne_u16_sdwa s[20:21], v33, v31 src0_sel:BYTE_0 src1_sel:DWORD
	s_and_saveexec_b64 s[10:11], s[20:21]
	s_cbranch_execz .LBB469_184
; %bb.179:
	s_movk_i32 s20, 0x80
	v_cmp_ne_u16_sdwa s[22:23], v33, s20 src0_sel:BYTE_0 src1_sel:DWORD
	v_bfrev_b32_e32 v34, 1
	s_and_saveexec_b64 s[20:21], s[22:23]
	s_cbranch_execz .LBB469_183
; %bb.180:
	s_movk_i32 s22, 0x7f
	v_and_b32_e32 v40, 0x7f, v33
	v_cmp_ne_u32_e32 vcc, s22, v40
	v_mov_b32_e32 v34, 0x7f800001
	s_and_saveexec_b64 s[22:23], vcc
	s_cbranch_execz .LBB469_182
; %bb.181:
	v_and_b32_e32 v34, 7, v33
	v_ffbh_u32_e32 v34, v34
	v_min_u32_e32 v34, 32, v34
	v_subrev_u32_e32 v42, 28, v34
	v_cmp_gt_u32_e32 vcc, 8, v40
	v_lshrrev_b32_e32 v41, 3, v40
	v_sub_u32_e32 v34, 29, v34
	v_cndmask_b32_e32 v40, 0, v42, vcc
	v_cndmask_b32_e32 v34, v41, v34, vcc
	v_lshlrev_b64 v[40:41], v40, v[30:31]
	v_lshlrev_b32_e32 v31, 20, v40
	v_lshlrev_b32_e32 v40, 24, v30
	v_bfrev_b32_e32 v41, 60
	v_and_b32_e32 v31, 0x700000, v31
	v_and_b32_e32 v40, 0x80000000, v40
	v_lshl_add_u32 v34, v34, 23, v41
	v_or3_b32 v34, v40, v34, v31
.LBB469_182:
	s_or_b64 exec, exec, s[22:23]
.LBB469_183:
	s_or_b64 exec, exec, s[20:21]
	v_mov_b32_e32 v31, v34
.LBB469_184:
	s_or_b64 exec, exec, s[10:11]
	v_lshrrev_b16_e32 v34, 8, v30
	v_cmp_ne_u16_e32 vcc, 0, v34
	v_mov_b32_e32 v40, 0
	v_mov_b32_e32 v41, 0
	s_and_saveexec_b64 s[10:11], vcc
	s_cbranch_execz .LBB469_190
; %bb.185:
	s_movk_i32 s20, 0x80
	v_cmp_ne_u16_e32 vcc, s20, v34
	v_bfrev_b32_e32 v41, 1
	s_and_saveexec_b64 s[20:21], vcc
	s_cbranch_execz .LBB469_189
; %bb.186:
	s_movk_i32 s22, 0x7f
	v_and_b32_e32 v42, 0x7f, v34
	v_cmp_ne_u32_e32 vcc, s22, v42
	v_mov_b32_e32 v41, 0x7f800001
	s_and_saveexec_b64 s[22:23], vcc
	s_cbranch_execz .LBB469_188
; %bb.187:
	v_and_b32_e32 v41, 7, v34
	v_ffbh_u32_e32 v48, v41
	v_min_u32_e32 v50, 32, v48
	v_subrev_u32_e32 v48, 28, v50
	v_lshlrev_b64 v[48:49], v48, v[34:35]
	v_lshrrev_b32_e32 v47, 3, v42
	v_sub_u32_e32 v34, 29, v50
	v_and_b32_e32 v48, 7, v48
	v_cmp_gt_u32_e32 vcc, 8, v42
	v_cndmask_b32_e32 v34, v47, v34, vcc
	v_cndmask_b32_e32 v41, v41, v48, vcc
	v_lshlrev_b32_e32 v30, 16, v30
	v_bfrev_b32_e32 v42, 60
	v_lshlrev_b32_e32 v41, 20, v41
	v_and_b32_e32 v30, 0x80000000, v30
	v_lshl_add_u32 v34, v34, 23, v42
	v_or3_b32 v41, v30, v34, v41
.LBB469_188:
	s_or_b64 exec, exec, s[22:23]
.LBB469_189:
	s_or_b64 exec, exec, s[20:21]
.LBB469_190:
	s_or_b64 exec, exec, s[10:11]
	s_movk_i32 s10, 0xff
	v_and_b32_sdwa v34, v33, s10 dst_sel:DWORD dst_unused:UNUSED_PAD src0_sel:WORD_1 src1_sel:DWORD
	v_lshrrev_b32_e32 v30, 16, v33
	v_cmp_ne_u16_e32 vcc, 0, v34
	s_and_saveexec_b64 s[10:11], vcc
	s_cbranch_execz .LBB469_196
; %bb.191:
	s_movk_i32 s20, 0x80
	v_cmp_ne_u16_e32 vcc, s20, v34
	v_bfrev_b32_e32 v40, 1
	s_and_saveexec_b64 s[20:21], vcc
	s_cbranch_execz .LBB469_195
; %bb.192:
	v_bfe_u32 v34, v33, 16, 7
	s_movk_i32 s22, 0x7f
	v_cmp_ne_u32_e32 vcc, s22, v34
	v_mov_b32_e32 v40, 0x7f800001
	s_and_saveexec_b64 s[22:23], vcc
	s_cbranch_execz .LBB469_194
; %bb.193:
	v_and_b32_e32 v40, 7, v30
	v_ffbh_u32_e32 v47, v40
	v_min_u32_e32 v47, 32, v47
	v_subrev_u32_e32 v48, 28, v47
	v_lshlrev_b64 v[48:49], v48, v[30:31]
	v_sub_u32_e32 v30, 29, v47
	v_and_b32_e32 v47, 7, v48
	v_cmp_gt_u32_e32 vcc, 8, v34
	v_lshrrev_b32_e32 v42, 3, v34
	v_cndmask_b32_e32 v34, v40, v47, vcc
	v_mov_b32_e32 v40, 24
	v_cndmask_b32_e32 v30, v42, v30, vcc
	v_lshlrev_b32_sdwa v40, v40, v33 dst_sel:DWORD dst_unused:UNUSED_PAD src0_sel:DWORD src1_sel:WORD_1
	v_bfrev_b32_e32 v42, 60
	v_lshlrev_b32_e32 v34, 20, v34
	v_and_b32_e32 v40, 0x80000000, v40
	v_lshl_add_u32 v30, v30, 23, v42
	v_or3_b32 v40, v40, v30, v34
.LBB469_194:
	s_or_b64 exec, exec, s[22:23]
.LBB469_195:
	s_or_b64 exec, exec, s[20:21]
.LBB469_196:
	s_or_b64 exec, exec, s[10:11]
	s_mov_b32 s10, -1
	s_mov_b32 s11, 0xffffff
	v_cmp_lt_u64_e32 vcc, s[10:11], v[32:33]
	v_mov_b32_e32 v34, 0
	v_mov_b32_e32 v32, 0
	s_and_saveexec_b64 s[10:11], vcc
	s_cbranch_execz .LBB469_202
; %bb.197:
	v_lshrrev_b32_e32 v30, 24, v33
	s_movk_i32 s20, 0x80
	v_cmp_ne_u32_e32 vcc, s20, v30
	v_bfrev_b32_e32 v32, 1
	s_and_saveexec_b64 s[20:21], vcc
	s_cbranch_execz .LBB469_201
; %bb.198:
	v_bfe_u32 v33, v33, 24, 7
	s_movk_i32 s22, 0x7f
	v_cmp_ne_u32_e32 vcc, s22, v33
	v_mov_b32_e32 v32, 0x7f800001
	s_and_saveexec_b64 s[22:23], vcc
	s_cbranch_execz .LBB469_200
; %bb.199:
	v_and_b32_e32 v32, 7, v30
	v_ffbh_u32_e32 v47, v32
	v_min_u32_e32 v47, 32, v47
	v_subrev_u32_e32 v48, 28, v47
	v_lshlrev_b64 v[48:49], v48, v[30:31]
	v_lshrrev_b32_e32 v42, 3, v33
	v_sub_u32_e32 v47, 29, v47
	v_and_b32_e32 v48, 7, v48
	v_cmp_gt_u32_e32 vcc, 8, v33
	v_cndmask_b32_e32 v33, v42, v47, vcc
	v_cndmask_b32_e32 v32, v32, v48, vcc
	v_lshlrev_b32_e32 v30, 24, v30
	v_bfrev_b32_e32 v42, 60
	v_lshlrev_b32_e32 v32, 20, v32
	v_and_b32_e32 v30, 0x80000000, v30
	v_lshl_add_u32 v33, v33, 23, v42
	v_or3_b32 v32, v30, v33, v32
.LBB469_200:
	s_or_b64 exec, exec, s[22:23]
.LBB469_201:
	s_or_b64 exec, exec, s[20:21]
.LBB469_202:
	s_or_b64 exec, exec, s[10:11]
	v_cvt_pkrtz_f16_f32 v36, v36, v37
	v_cvt_pkrtz_f16_f32 v37, v35, v39
	v_cvt_pkrtz_f16_f32 v30, v31, v41
	v_cvt_pkrtz_f16_f32 v31, v40, v32
	v_mfma_f32_4x4x4f16 a[0:3], v[2:3], v[36:37], a[0:3] cbsz:4 abid:3
	v_cmp_ne_u16_sdwa s[20:21], v26, v34 src0_sel:BYTE_0 src1_sel:DWORD
	v_mfma_f32_4x4x4f16 a[0:3], v[4:5], v[30:31], a[0:3] cbsz:4 abid:3
	s_and_saveexec_b64 s[10:11], s[20:21]
	s_cbranch_execz .LBB469_208
; %bb.203:
	s_movk_i32 s20, 0x80
	v_cmp_ne_u16_sdwa s[22:23], v26, s20 src0_sel:BYTE_0 src1_sel:DWORD
	v_bfrev_b32_e32 v34, 1
	s_and_saveexec_b64 s[20:21], s[22:23]
	s_cbranch_execz .LBB469_207
; %bb.204:
	s_movk_i32 s22, 0x7f
	v_and_b32_e32 v30, 0x7f, v26
	v_cmp_ne_u32_e32 vcc, s22, v30
	v_mov_b32_e32 v34, 0x7f800001
	s_and_saveexec_b64 s[22:23], vcc
	s_cbranch_execz .LBB469_206
; %bb.205:
	v_and_b32_e32 v31, 7, v26
	v_ffbh_u32_e32 v31, v31
	v_min_u32_e32 v31, 32, v31
	v_subrev_u32_e32 v33, 28, v31
	v_cmp_gt_u32_e32 vcc, 8, v30
	v_lshrrev_b32_e32 v32, 3, v30
	v_sub_u32_e32 v31, 29, v31
	v_cndmask_b32_e32 v30, 0, v33, vcc
	v_cndmask_b32_e32 v32, v32, v31, vcc
	v_lshlrev_b64 v[30:31], v30, v[26:27]
	v_lshlrev_b32_e32 v30, 20, v30
	v_lshlrev_b32_e32 v31, 24, v26
	v_bfrev_b32_e32 v33, 60
	v_and_b32_e32 v30, 0x700000, v30
	v_and_b32_e32 v31, 0x80000000, v31
	v_lshl_add_u32 v32, v32, 23, v33
	v_or3_b32 v34, v31, v32, v30
.LBB469_206:
	s_or_b64 exec, exec, s[22:23]
.LBB469_207:
	s_or_b64 exec, exec, s[20:21]
.LBB469_208:
	s_or_b64 exec, exec, s[10:11]
	v_lshrrev_b16_e32 v30, 8, v26
	v_cmp_ne_u16_e32 vcc, 0, v30
	v_mov_b32_e32 v33, 0
	v_mov_b32_e32 v35, 0
	s_and_saveexec_b64 s[10:11], vcc
	s_cbranch_execz .LBB469_214
; %bb.209:
	s_movk_i32 s20, 0x80
	v_cmp_ne_u16_e32 vcc, s20, v30
	v_bfrev_b32_e32 v35, 1
	s_and_saveexec_b64 s[20:21], vcc
	s_cbranch_execz .LBB469_213
; %bb.210:
	s_movk_i32 s22, 0x7f
	v_and_b32_e32 v31, 0x7f, v30
	v_cmp_ne_u32_e32 vcc, s22, v31
	v_mov_b32_e32 v35, 0x7f800001
	s_and_saveexec_b64 s[22:23], vcc
	s_cbranch_execz .LBB469_212
; %bb.211:
	v_and_b32_e32 v32, 7, v30
	v_ffbh_u32_e32 v36, v32
	v_min_u32_e32 v39, 32, v36
	v_subrev_u32_e32 v36, 28, v39
	v_lshlrev_b64 v[36:37], v36, v[30:31]
	v_lshrrev_b32_e32 v35, 3, v31
	v_sub_u32_e32 v30, 29, v39
	v_and_b32_e32 v36, 7, v36
	v_cmp_gt_u32_e32 vcc, 8, v31
	v_cndmask_b32_e32 v30, v35, v30, vcc
	v_cndmask_b32_e32 v31, v32, v36, vcc
	v_lshlrev_b32_e32 v32, 16, v26
	v_bfrev_b32_e32 v35, 60
	v_lshlrev_b32_e32 v31, 20, v31
	v_and_b32_e32 v32, 0x80000000, v32
	v_lshl_add_u32 v30, v30, 23, v35
	v_or3_b32 v35, v32, v30, v31
.LBB469_212:
	s_or_b64 exec, exec, s[22:23]
.LBB469_213:
	s_or_b64 exec, exec, s[20:21]
.LBB469_214:
	s_or_b64 exec, exec, s[10:11]
	s_movk_i32 s10, 0xff
	v_and_b32_sdwa v31, v26, s10 dst_sel:DWORD dst_unused:UNUSED_PAD src0_sel:WORD_1 src1_sel:DWORD
	v_lshrrev_b32_e32 v30, 16, v26
	v_cmp_ne_u16_e32 vcc, 0, v31
	s_and_saveexec_b64 s[10:11], vcc
	s_cbranch_execz .LBB469_220
; %bb.215:
	s_movk_i32 s20, 0x80
	v_cmp_ne_u16_e32 vcc, s20, v31
	v_bfrev_b32_e32 v33, 1
	s_and_saveexec_b64 s[20:21], vcc
	s_cbranch_execz .LBB469_219
; %bb.216:
	v_bfe_u32 v31, v26, 16, 7
	s_movk_i32 s22, 0x7f
	v_cmp_ne_u32_e32 vcc, s22, v31
	v_mov_b32_e32 v33, 0x7f800001
	s_and_saveexec_b64 s[22:23], vcc
	s_cbranch_execz .LBB469_218
; %bb.217:
	v_and_b32_e32 v36, 7, v30
	v_ffbh_u32_e32 v32, v36
	v_min_u32_e32 v39, 32, v32
	v_subrev_u32_e32 v32, 28, v39
	v_lshlrev_b64 v[32:33], v32, v[30:31]
	v_and_b32_e32 v32, 7, v32
	v_cmp_gt_u32_e32 vcc, 8, v31
	v_lshrrev_b32_e32 v37, 3, v31
	v_sub_u32_e32 v30, 29, v39
	v_cndmask_b32_e32 v31, v36, v32, vcc
	v_mov_b32_e32 v32, 24
	v_cndmask_b32_e32 v30, v37, v30, vcc
	v_lshlrev_b32_sdwa v32, v32, v26 dst_sel:DWORD dst_unused:UNUSED_PAD src0_sel:DWORD src1_sel:WORD_1
	v_bfrev_b32_e32 v33, 60
	v_lshlrev_b32_e32 v31, 20, v31
	v_and_b32_e32 v32, 0x80000000, v32
	v_lshl_add_u32 v30, v30, 23, v33
	v_or3_b32 v33, v32, v30, v31
.LBB469_218:
	s_or_b64 exec, exec, s[22:23]
.LBB469_219:
	s_or_b64 exec, exec, s[20:21]
.LBB469_220:
	s_or_b64 exec, exec, s[10:11]
	s_mov_b32 s10, 0xffffff
	v_cmp_lt_u32_e32 vcc, s10, v26
	v_mov_b32_e32 v31, 0
	v_mov_b32_e32 v36, 0
	s_and_saveexec_b64 s[10:11], vcc
	s_cbranch_execz .LBB469_226
; %bb.221:
	v_lshrrev_b32_e32 v30, 24, v26
	s_movk_i32 s20, 0x80
	v_cmp_ne_u32_e32 vcc, s20, v30
	v_bfrev_b32_e32 v36, 1
	s_and_saveexec_b64 s[20:21], vcc
	s_cbranch_execz .LBB469_225
; %bb.222:
	v_bfe_u32 v32, v26, 24, 7
	s_movk_i32 s22, 0x7f
	v_cmp_ne_u32_e32 vcc, s22, v32
	v_mov_b32_e32 v36, 0x7f800001
	s_and_saveexec_b64 s[22:23], vcc
	s_cbranch_execz .LBB469_224
; %bb.223:
	v_and_b32_e32 v39, 7, v30
	v_ffbh_u32_e32 v36, v39
	v_min_u32_e32 v41, 32, v36
	v_subrev_u32_e32 v36, 28, v41
	v_lshlrev_b64 v[36:37], v36, v[30:31]
	v_lshrrev_b32_e32 v40, 3, v32
	v_sub_u32_e32 v37, 29, v41
	v_and_b32_e32 v36, 7, v36
	v_cmp_gt_u32_e32 vcc, 8, v32
	v_cndmask_b32_e32 v32, v40, v37, vcc
	v_cndmask_b32_e32 v36, v39, v36, vcc
	v_lshlrev_b32_e32 v30, 24, v30
	v_bfrev_b32_e32 v37, 60
	v_lshlrev_b32_e32 v36, 20, v36
	v_and_b32_e32 v30, 0x80000000, v30
	v_lshl_add_u32 v32, v32, 23, v37
	v_or3_b32 v36, v30, v32, v36
.LBB469_224:
	s_or_b64 exec, exec, s[22:23]
.LBB469_225:
	s_or_b64 exec, exec, s[20:21]
.LBB469_226:
	s_or_b64 exec, exec, s[10:11]
	v_mov_b32_e32 v30, v27
	v_cmp_ne_u16_sdwa s[20:21], v27, v31 src0_sel:BYTE_0 src1_sel:DWORD
	s_and_saveexec_b64 s[10:11], s[20:21]
	s_cbranch_execz .LBB469_232
; %bb.227:
	s_movk_i32 s20, 0x80
	v_cmp_ne_u16_sdwa s[22:23], v27, s20 src0_sel:BYTE_0 src1_sel:DWORD
	v_bfrev_b32_e32 v32, 1
	s_and_saveexec_b64 s[20:21], s[22:23]
	s_cbranch_execz .LBB469_231
; %bb.228:
	s_movk_i32 s22, 0x7f
	v_and_b32_e32 v37, 0x7f, v27
	v_cmp_ne_u32_e32 vcc, s22, v37
	v_mov_b32_e32 v32, 0x7f800001
	s_and_saveexec_b64 s[22:23], vcc
	s_cbranch_execz .LBB469_230
; %bb.229:
	v_and_b32_e32 v32, 7, v27
	v_ffbh_u32_e32 v32, v32
	v_min_u32_e32 v32, 32, v32
	v_subrev_u32_e32 v40, 28, v32
	v_cmp_gt_u32_e32 vcc, 8, v37
	v_lshrrev_b32_e32 v39, 3, v37
	v_cndmask_b32_e32 v37, 0, v40, vcc
	v_sub_u32_e32 v32, 29, v32
	v_lshlrev_b64 v[40:41], v37, v[30:31]
	v_cndmask_b32_e32 v32, v39, v32, vcc
	v_lshlrev_b32_e32 v31, 20, v40
	v_lshlrev_b32_e32 v37, 24, v30
	v_bfrev_b32_e32 v39, 60
	v_and_b32_e32 v31, 0x700000, v31
	v_and_b32_e32 v37, 0x80000000, v37
	v_lshl_add_u32 v32, v32, 23, v39
	v_or3_b32 v32, v37, v32, v31
.LBB469_230:
	s_or_b64 exec, exec, s[22:23]
.LBB469_231:
	s_or_b64 exec, exec, s[20:21]
	v_mov_b32_e32 v31, v32
.LBB469_232:
	s_or_b64 exec, exec, s[10:11]
	v_lshrrev_b16_e32 v32, 8, v30
	v_cmp_ne_u16_e32 vcc, 0, v32
	v_mov_b32_e32 v37, 0
	v_mov_b32_e32 v39, 0
	s_and_saveexec_b64 s[10:11], vcc
	s_cbranch_execz .LBB469_238
; %bb.233:
	s_movk_i32 s20, 0x80
	v_cmp_ne_u16_e32 vcc, s20, v32
	v_bfrev_b32_e32 v39, 1
	s_and_saveexec_b64 s[20:21], vcc
	s_cbranch_execz .LBB469_237
; %bb.234:
	s_movk_i32 s22, 0x7f
	v_and_b32_e32 v40, 0x7f, v32
	v_cmp_ne_u32_e32 vcc, s22, v40
	v_mov_b32_e32 v39, 0x7f800001
	s_and_saveexec_b64 s[22:23], vcc
	s_cbranch_execz .LBB469_236
; %bb.235:
	v_and_b32_e32 v39, 7, v32
	v_ffbh_u32_e32 v42, v39
	v_min_u32_e32 v42, 32, v42
	v_subrev_u32_e32 v47, 28, v42
	v_lshlrev_b64 v[48:49], v47, v[32:33]
	v_lshrrev_b32_e32 v41, 3, v40
	v_sub_u32_e32 v32, 29, v42
	v_and_b32_e32 v42, 7, v48
	v_cmp_gt_u32_e32 vcc, 8, v40
	v_cndmask_b32_e32 v32, v41, v32, vcc
	v_cndmask_b32_e32 v39, v39, v42, vcc
	v_lshlrev_b32_e32 v30, 16, v30
	v_bfrev_b32_e32 v40, 60
	v_lshlrev_b32_e32 v39, 20, v39
	v_and_b32_e32 v30, 0x80000000, v30
	v_lshl_add_u32 v32, v32, 23, v40
	v_or3_b32 v39, v30, v32, v39
.LBB469_236:
	s_or_b64 exec, exec, s[22:23]
.LBB469_237:
	s_or_b64 exec, exec, s[20:21]
.LBB469_238:
	s_or_b64 exec, exec, s[10:11]
	s_movk_i32 s10, 0xff
	v_and_b32_sdwa v32, v27, s10 dst_sel:DWORD dst_unused:UNUSED_PAD src0_sel:WORD_1 src1_sel:DWORD
	v_lshrrev_b32_e32 v30, 16, v27
	v_cmp_ne_u16_e32 vcc, 0, v32
	s_and_saveexec_b64 s[10:11], vcc
	s_cbranch_execz .LBB469_244
; %bb.239:
	s_movk_i32 s20, 0x80
	v_cmp_ne_u16_e32 vcc, s20, v32
	v_bfrev_b32_e32 v37, 1
	s_and_saveexec_b64 s[20:21], vcc
	s_cbranch_execz .LBB469_243
; %bb.240:
	v_bfe_u32 v32, v27, 16, 7
	s_movk_i32 s22, 0x7f
	v_cmp_ne_u32_e32 vcc, s22, v32
	v_mov_b32_e32 v37, 0x7f800001
	s_and_saveexec_b64 s[22:23], vcc
	s_cbranch_execz .LBB469_242
; %bb.241:
	v_and_b32_e32 v37, 7, v30
	v_ffbh_u32_e32 v40, v37
	v_min_u32_e32 v47, 32, v40
	v_subrev_u32_e32 v40, 28, v47
	v_lshlrev_b64 v[40:41], v40, v[30:31]
	v_and_b32_e32 v40, 7, v40
	v_cmp_gt_u32_e32 vcc, 8, v32
	v_lshrrev_b32_e32 v42, 3, v32
	v_sub_u32_e32 v30, 29, v47
	v_cndmask_b32_e32 v32, v37, v40, vcc
	v_mov_b32_e32 v37, 24
	v_cndmask_b32_e32 v30, v42, v30, vcc
	v_lshlrev_b32_sdwa v37, v37, v27 dst_sel:DWORD dst_unused:UNUSED_PAD src0_sel:DWORD src1_sel:WORD_1
	v_bfrev_b32_e32 v40, 60
	v_lshlrev_b32_e32 v32, 20, v32
	v_and_b32_e32 v37, 0x80000000, v37
	v_lshl_add_u32 v30, v30, 23, v40
	v_or3_b32 v37, v37, v30, v32
.LBB469_242:
	s_or_b64 exec, exec, s[22:23]
.LBB469_243:
	s_or_b64 exec, exec, s[20:21]
.LBB469_244:
	s_or_b64 exec, exec, s[10:11]
	s_mov_b32 s10, -1
	s_mov_b32 s11, 0xffffff
	v_cmp_lt_u64_e32 vcc, s[10:11], v[26:27]
	v_mov_b32_e32 v32, 0
	v_mov_b32_e32 v30, 0
	s_and_saveexec_b64 s[10:11], vcc
	s_cbranch_execz .LBB469_250
; %bb.245:
	v_lshrrev_b32_e32 v26, 24, v27
	s_movk_i32 s20, 0x80
	v_cmp_ne_u32_e32 vcc, s20, v26
	v_bfrev_b32_e32 v30, 1
	s_and_saveexec_b64 s[20:21], vcc
	s_cbranch_execz .LBB469_249
; %bb.246:
	v_bfe_u32 v27, v27, 24, 7
	s_movk_i32 s22, 0x7f
	v_cmp_ne_u32_e32 vcc, s22, v27
	v_mov_b32_e32 v30, 0x7f800001
	s_and_saveexec_b64 s[22:23], vcc
	s_cbranch_execz .LBB469_248
; %bb.247:
	v_and_b32_e32 v30, 7, v26
	v_ffbh_u32_e32 v40, v30
	v_min_u32_e32 v47, 32, v40
	v_subrev_u32_e32 v40, 28, v47
	v_lshlrev_b64 v[40:41], v40, v[26:27]
	v_lshrrev_b32_e32 v42, 3, v27
	v_sub_u32_e32 v41, 29, v47
	v_and_b32_e32 v40, 7, v40
	v_cmp_gt_u32_e32 vcc, 8, v27
	v_cndmask_b32_e32 v27, v42, v41, vcc
	v_cndmask_b32_e32 v30, v30, v40, vcc
	v_lshlrev_b32_e32 v26, 24, v26
	v_bfrev_b32_e32 v40, 60
	v_lshlrev_b32_e32 v30, 20, v30
	v_and_b32_e32 v26, 0x80000000, v26
	v_lshl_add_u32 v27, v27, 23, v40
	v_or3_b32 v30, v26, v27, v30
.LBB469_248:
	s_or_b64 exec, exec, s[22:23]
.LBB469_249:
	s_or_b64 exec, exec, s[20:21]
.LBB469_250:
	s_or_b64 exec, exec, s[10:11]
	v_cvt_pkrtz_f16_f32 v26, v34, v35
	v_cvt_pkrtz_f16_f32 v27, v33, v36
	v_cvt_pkrtz_f16_f32 v34, v31, v39
	v_cvt_pkrtz_f16_f32 v35, v37, v30
	v_mfma_f32_4x4x4f16 a[0:3], v[2:3], v[26:27], a[0:3] cbsz:4 abid:4
	v_cmp_ne_u16_sdwa s[20:21], v28, v32 src0_sel:BYTE_0 src1_sel:DWORD
	v_mfma_f32_4x4x4f16 a[0:3], v[4:5], v[34:35], a[0:3] cbsz:4 abid:4
	s_and_saveexec_b64 s[10:11], s[20:21]
	s_cbranch_execz .LBB469_256
; %bb.251:
	s_movk_i32 s20, 0x80
	v_cmp_ne_u16_sdwa s[22:23], v28, s20 src0_sel:BYTE_0 src1_sel:DWORD
	v_bfrev_b32_e32 v32, 1
	s_and_saveexec_b64 s[20:21], s[22:23]
	s_cbranch_execz .LBB469_255
; %bb.252:
	s_movk_i32 s22, 0x7f
	v_and_b32_e32 v26, 0x7f, v28
	v_cmp_ne_u32_e32 vcc, s22, v26
	v_mov_b32_e32 v32, 0x7f800001
	s_and_saveexec_b64 s[22:23], vcc
	s_cbranch_execz .LBB469_254
; %bb.253:
	v_and_b32_e32 v27, 7, v28
	v_ffbh_u32_e32 v27, v27
	v_min_u32_e32 v27, 32, v27
	v_subrev_u32_e32 v31, 28, v27
	v_cmp_gt_u32_e32 vcc, 8, v26
	v_lshrrev_b32_e32 v30, 3, v26
	v_sub_u32_e32 v27, 29, v27
	v_cndmask_b32_e32 v26, 0, v31, vcc
	v_cndmask_b32_e32 v30, v30, v27, vcc
	v_lshlrev_b64 v[26:27], v26, v[28:29]
	v_lshlrev_b32_e32 v26, 20, v26
	v_lshlrev_b32_e32 v27, 24, v28
	v_bfrev_b32_e32 v31, 60
	v_and_b32_e32 v26, 0x700000, v26
	v_and_b32_e32 v27, 0x80000000, v27
	v_lshl_add_u32 v30, v30, 23, v31
	v_or3_b32 v32, v27, v30, v26
.LBB469_254:
	s_or_b64 exec, exec, s[22:23]
.LBB469_255:
	s_or_b64 exec, exec, s[20:21]
.LBB469_256:
	s_or_b64 exec, exec, s[10:11]
	v_lshrrev_b16_e32 v26, 8, v28
	v_cmp_ne_u16_e32 vcc, 0, v26
	v_mov_b32_e32 v31, 0
	v_mov_b32_e32 v33, 0
	s_and_saveexec_b64 s[10:11], vcc
	s_cbranch_execz .LBB469_262
; %bb.257:
	s_movk_i32 s20, 0x80
	v_cmp_ne_u16_e32 vcc, s20, v26
	v_bfrev_b32_e32 v33, 1
	s_and_saveexec_b64 s[20:21], vcc
	s_cbranch_execz .LBB469_261
; %bb.258:
	s_movk_i32 s22, 0x7f
	v_and_b32_e32 v27, 0x7f, v26
	v_cmp_ne_u32_e32 vcc, s22, v27
	v_mov_b32_e32 v33, 0x7f800001
	s_and_saveexec_b64 s[22:23], vcc
	s_cbranch_execz .LBB469_260
; %bb.259:
	v_and_b32_e32 v30, 7, v26
	v_ffbh_u32_e32 v34, v30
	v_min_u32_e32 v36, 32, v34
	v_subrev_u32_e32 v34, 28, v36
	v_lshlrev_b64 v[34:35], v34, v[26:27]
	v_lshrrev_b32_e32 v33, 3, v27
	v_sub_u32_e32 v26, 29, v36
	v_and_b32_e32 v34, 7, v34
	v_cmp_gt_u32_e32 vcc, 8, v27
	v_cndmask_b32_e32 v26, v33, v26, vcc
	v_cndmask_b32_e32 v27, v30, v34, vcc
	v_lshlrev_b32_e32 v30, 16, v28
	v_bfrev_b32_e32 v33, 60
	v_lshlrev_b32_e32 v27, 20, v27
	v_and_b32_e32 v30, 0x80000000, v30
	v_lshl_add_u32 v26, v26, 23, v33
	v_or3_b32 v33, v30, v26, v27
.LBB469_260:
	s_or_b64 exec, exec, s[22:23]
.LBB469_261:
	s_or_b64 exec, exec, s[20:21]
.LBB469_262:
	s_or_b64 exec, exec, s[10:11]
	s_movk_i32 s10, 0xff
	v_and_b32_sdwa v27, v28, s10 dst_sel:DWORD dst_unused:UNUSED_PAD src0_sel:WORD_1 src1_sel:DWORD
	v_lshrrev_b32_e32 v26, 16, v28
	v_cmp_ne_u16_e32 vcc, 0, v27
	s_and_saveexec_b64 s[10:11], vcc
	s_cbranch_execz .LBB469_268
; %bb.263:
	s_movk_i32 s20, 0x80
	v_cmp_ne_u16_e32 vcc, s20, v27
	v_bfrev_b32_e32 v31, 1
	s_and_saveexec_b64 s[20:21], vcc
	s_cbranch_execz .LBB469_267
; %bb.264:
	v_bfe_u32 v27, v28, 16, 7
	s_movk_i32 s22, 0x7f
	v_cmp_ne_u32_e32 vcc, s22, v27
	v_mov_b32_e32 v31, 0x7f800001
	s_and_saveexec_b64 s[22:23], vcc
	s_cbranch_execz .LBB469_266
; %bb.265:
	v_and_b32_e32 v34, 7, v26
	v_ffbh_u32_e32 v30, v34
	v_min_u32_e32 v36, 32, v30
	v_subrev_u32_e32 v30, 28, v36
	v_lshlrev_b64 v[30:31], v30, v[26:27]
	v_and_b32_e32 v30, 7, v30
	v_cmp_gt_u32_e32 vcc, 8, v27
	v_lshrrev_b32_e32 v35, 3, v27
	v_sub_u32_e32 v26, 29, v36
	v_cndmask_b32_e32 v27, v34, v30, vcc
	v_mov_b32_e32 v30, 24
	v_cndmask_b32_e32 v26, v35, v26, vcc
	v_lshlrev_b32_sdwa v30, v30, v28 dst_sel:DWORD dst_unused:UNUSED_PAD src0_sel:DWORD src1_sel:WORD_1
	v_bfrev_b32_e32 v31, 60
	v_lshlrev_b32_e32 v27, 20, v27
	v_and_b32_e32 v30, 0x80000000, v30
	v_lshl_add_u32 v26, v26, 23, v31
	v_or3_b32 v31, v30, v26, v27
.LBB469_266:
	s_or_b64 exec, exec, s[22:23]
.LBB469_267:
	s_or_b64 exec, exec, s[20:21]
.LBB469_268:
	s_or_b64 exec, exec, s[10:11]
	s_mov_b32 s10, 0xffffff
	v_cmp_lt_u32_e32 vcc, s10, v28
	v_mov_b32_e32 v27, 0
	v_mov_b32_e32 v34, 0
	s_and_saveexec_b64 s[10:11], vcc
	s_cbranch_execz .LBB469_274
; %bb.269:
	v_lshrrev_b32_e32 v26, 24, v28
	s_movk_i32 s20, 0x80
	v_cmp_ne_u32_e32 vcc, s20, v26
	v_bfrev_b32_e32 v34, 1
	s_and_saveexec_b64 s[20:21], vcc
	s_cbranch_execz .LBB469_273
; %bb.270:
	v_bfe_u32 v30, v28, 24, 7
	s_movk_i32 s22, 0x7f
	v_cmp_ne_u32_e32 vcc, s22, v30
	v_mov_b32_e32 v34, 0x7f800001
	s_and_saveexec_b64 s[22:23], vcc
	s_cbranch_execz .LBB469_272
; %bb.271:
	v_and_b32_e32 v36, 7, v26
	v_ffbh_u32_e32 v34, v36
	v_min_u32_e32 v39, 32, v34
	v_subrev_u32_e32 v34, 28, v39
	v_lshlrev_b64 v[34:35], v34, v[26:27]
	v_lshrrev_b32_e32 v37, 3, v30
	v_sub_u32_e32 v35, 29, v39
	v_and_b32_e32 v34, 7, v34
	v_cmp_gt_u32_e32 vcc, 8, v30
	v_cndmask_b32_e32 v30, v37, v35, vcc
	v_cndmask_b32_e32 v34, v36, v34, vcc
	v_lshlrev_b32_e32 v26, 24, v26
	v_bfrev_b32_e32 v35, 60
	v_lshlrev_b32_e32 v34, 20, v34
	v_and_b32_e32 v26, 0x80000000, v26
	v_lshl_add_u32 v30, v30, 23, v35
	v_or3_b32 v34, v26, v30, v34
.LBB469_272:
	s_or_b64 exec, exec, s[22:23]
.LBB469_273:
	s_or_b64 exec, exec, s[20:21]
.LBB469_274:
	s_or_b64 exec, exec, s[10:11]
	v_mov_b32_e32 v26, v29
	v_cmp_ne_u16_sdwa s[20:21], v29, v27 src0_sel:BYTE_0 src1_sel:DWORD
	s_and_saveexec_b64 s[10:11], s[20:21]
	s_cbranch_execz .LBB469_280
; %bb.275:
	s_movk_i32 s20, 0x80
	v_cmp_ne_u16_sdwa s[22:23], v29, s20 src0_sel:BYTE_0 src1_sel:DWORD
	v_bfrev_b32_e32 v30, 1
	s_and_saveexec_b64 s[20:21], s[22:23]
	s_cbranch_execz .LBB469_279
; %bb.276:
	s_movk_i32 s22, 0x7f
	v_and_b32_e32 v35, 0x7f, v29
	v_cmp_ne_u32_e32 vcc, s22, v35
	v_mov_b32_e32 v30, 0x7f800001
	s_and_saveexec_b64 s[22:23], vcc
	s_cbranch_execz .LBB469_278
; %bb.277:
	v_and_b32_e32 v30, 7, v29
	v_ffbh_u32_e32 v30, v30
	v_min_u32_e32 v30, 32, v30
	v_subrev_u32_e32 v37, 28, v30
	v_cmp_gt_u32_e32 vcc, 8, v35
	v_lshrrev_b32_e32 v36, 3, v35
	v_sub_u32_e32 v30, 29, v30
	v_cndmask_b32_e32 v35, 0, v37, vcc
	v_cndmask_b32_e32 v30, v36, v30, vcc
	v_lshlrev_b64 v[36:37], v35, v[26:27]
	v_lshlrev_b32_e32 v27, 20, v36
	v_lshlrev_b32_e32 v35, 24, v26
	v_bfrev_b32_e32 v36, 60
	v_and_b32_e32 v27, 0x700000, v27
	v_and_b32_e32 v35, 0x80000000, v35
	v_lshl_add_u32 v30, v30, 23, v36
	v_or3_b32 v30, v35, v30, v27
.LBB469_278:
	s_or_b64 exec, exec, s[22:23]
.LBB469_279:
	s_or_b64 exec, exec, s[20:21]
	v_mov_b32_e32 v27, v30
.LBB469_280:
	s_or_b64 exec, exec, s[10:11]
	v_lshrrev_b16_e32 v30, 8, v26
	v_cmp_ne_u16_e32 vcc, 0, v30
	v_mov_b32_e32 v35, 0
	v_mov_b32_e32 v36, 0
	s_and_saveexec_b64 s[10:11], vcc
	s_cbranch_execz .LBB469_286
; %bb.281:
	s_movk_i32 s20, 0x80
	v_cmp_ne_u16_e32 vcc, s20, v30
	v_bfrev_b32_e32 v36, 1
	s_and_saveexec_b64 s[20:21], vcc
	s_cbranch_execz .LBB469_285
; %bb.282:
	s_movk_i32 s22, 0x7f
	v_and_b32_e32 v37, 0x7f, v30
	v_cmp_ne_u32_e32 vcc, s22, v37
	v_mov_b32_e32 v36, 0x7f800001
	s_and_saveexec_b64 s[22:23], vcc
	s_cbranch_execz .LBB469_284
; %bb.283:
	v_and_b32_e32 v36, 7, v30
	v_ffbh_u32_e32 v40, v36
	v_min_u32_e32 v42, 32, v40
	v_subrev_u32_e32 v40, 28, v42
	v_lshlrev_b64 v[40:41], v40, v[30:31]
	v_lshrrev_b32_e32 v39, 3, v37
	v_sub_u32_e32 v30, 29, v42
	v_and_b32_e32 v40, 7, v40
	v_cmp_gt_u32_e32 vcc, 8, v37
	v_cndmask_b32_e32 v30, v39, v30, vcc
	v_cndmask_b32_e32 v36, v36, v40, vcc
	v_lshlrev_b32_e32 v26, 16, v26
	v_bfrev_b32_e32 v37, 60
	v_lshlrev_b32_e32 v36, 20, v36
	v_and_b32_e32 v26, 0x80000000, v26
	v_lshl_add_u32 v30, v30, 23, v37
	v_or3_b32 v36, v26, v30, v36
.LBB469_284:
	s_or_b64 exec, exec, s[22:23]
.LBB469_285:
	s_or_b64 exec, exec, s[20:21]
.LBB469_286:
	s_or_b64 exec, exec, s[10:11]
	s_movk_i32 s10, 0xff
	v_and_b32_sdwa v30, v29, s10 dst_sel:DWORD dst_unused:UNUSED_PAD src0_sel:WORD_1 src1_sel:DWORD
	v_lshrrev_b32_e32 v26, 16, v29
	v_cmp_ne_u16_e32 vcc, 0, v30
	s_and_saveexec_b64 s[10:11], vcc
	s_cbranch_execz .LBB469_292
; %bb.287:
	s_movk_i32 s20, 0x80
	v_cmp_ne_u16_e32 vcc, s20, v30
	v_bfrev_b32_e32 v35, 1
	s_and_saveexec_b64 s[20:21], vcc
	s_cbranch_execz .LBB469_291
; %bb.288:
	v_bfe_u32 v30, v29, 16, 7
	s_movk_i32 s22, 0x7f
	v_cmp_ne_u32_e32 vcc, s22, v30
	v_mov_b32_e32 v35, 0x7f800001
	s_and_saveexec_b64 s[22:23], vcc
	s_cbranch_execz .LBB469_290
; %bb.289:
	v_and_b32_e32 v35, 7, v26
	v_ffbh_u32_e32 v39, v35
	v_min_u32_e32 v39, 32, v39
	v_subrev_u32_e32 v40, 28, v39
	v_lshlrev_b64 v[40:41], v40, v[26:27]
	v_sub_u32_e32 v26, 29, v39
	v_and_b32_e32 v39, 7, v40
	v_cmp_gt_u32_e32 vcc, 8, v30
	v_lshrrev_b32_e32 v37, 3, v30
	v_cndmask_b32_e32 v30, v35, v39, vcc
	v_mov_b32_e32 v35, 24
	v_cndmask_b32_e32 v26, v37, v26, vcc
	v_lshlrev_b32_sdwa v35, v35, v29 dst_sel:DWORD dst_unused:UNUSED_PAD src0_sel:DWORD src1_sel:WORD_1
	v_bfrev_b32_e32 v37, 60
	v_lshlrev_b32_e32 v30, 20, v30
	v_and_b32_e32 v35, 0x80000000, v35
	v_lshl_add_u32 v26, v26, 23, v37
	v_or3_b32 v35, v35, v26, v30
.LBB469_290:
	s_or_b64 exec, exec, s[22:23]
.LBB469_291:
	s_or_b64 exec, exec, s[20:21]
.LBB469_292:
	s_or_b64 exec, exec, s[10:11]
	s_mov_b32 s10, -1
	s_mov_b32 s11, 0xffffff
	v_cmp_lt_u64_e32 vcc, s[10:11], v[28:29]
	v_mov_b32_e32 v30, 0
	v_mov_b32_e32 v28, 0
	s_and_saveexec_b64 s[10:11], vcc
	s_cbranch_execz .LBB469_298
; %bb.293:
	v_lshrrev_b32_e32 v26, 24, v29
	s_movk_i32 s20, 0x80
	v_cmp_ne_u32_e32 vcc, s20, v26
	v_bfrev_b32_e32 v28, 1
	s_and_saveexec_b64 s[20:21], vcc
	s_cbranch_execz .LBB469_297
; %bb.294:
	v_bfe_u32 v29, v29, 24, 7
	s_movk_i32 s22, 0x7f
	v_cmp_ne_u32_e32 vcc, s22, v29
	v_mov_b32_e32 v28, 0x7f800001
	s_and_saveexec_b64 s[22:23], vcc
	s_cbranch_execz .LBB469_296
; %bb.295:
	v_and_b32_e32 v28, 7, v26
	v_ffbh_u32_e32 v39, v28
	v_min_u32_e32 v39, 32, v39
	v_subrev_u32_e32 v40, 28, v39
	v_lshlrev_b64 v[40:41], v40, v[26:27]
	v_lshrrev_b32_e32 v37, 3, v29
	v_sub_u32_e32 v39, 29, v39
	v_and_b32_e32 v40, 7, v40
	v_cmp_gt_u32_e32 vcc, 8, v29
	v_cndmask_b32_e32 v29, v37, v39, vcc
	v_cndmask_b32_e32 v28, v28, v40, vcc
	v_lshlrev_b32_e32 v26, 24, v26
	v_bfrev_b32_e32 v37, 60
	v_lshlrev_b32_e32 v28, 20, v28
	v_and_b32_e32 v26, 0x80000000, v26
	v_lshl_add_u32 v29, v29, 23, v37
	v_or3_b32 v28, v26, v29, v28
.LBB469_296:
	s_or_b64 exec, exec, s[22:23]
.LBB469_297:
	s_or_b64 exec, exec, s[20:21]
.LBB469_298:
	s_or_b64 exec, exec, s[10:11]
	v_cvt_pkrtz_f16_f32 v32, v32, v33
	v_cvt_pkrtz_f16_f32 v33, v31, v34
	;; [unrolled: 1-line block ×4, first 2 shown]
	v_mfma_f32_4x4x4f16 a[0:3], v[2:3], v[32:33], a[0:3] cbsz:4 abid:5
	v_cmp_ne_u16_sdwa s[20:21], v22, v30 src0_sel:BYTE_0 src1_sel:DWORD
	v_mfma_f32_4x4x4f16 a[0:3], v[4:5], v[26:27], a[0:3] cbsz:4 abid:5
	s_and_saveexec_b64 s[10:11], s[20:21]
	s_cbranch_execz .LBB469_304
; %bb.299:
	s_movk_i32 s20, 0x80
	v_cmp_ne_u16_sdwa s[22:23], v22, s20 src0_sel:BYTE_0 src1_sel:DWORD
	v_bfrev_b32_e32 v30, 1
	s_and_saveexec_b64 s[20:21], s[22:23]
	s_cbranch_execz .LBB469_303
; %bb.300:
	s_movk_i32 s22, 0x7f
	v_and_b32_e32 v26, 0x7f, v22
	v_cmp_ne_u32_e32 vcc, s22, v26
	v_mov_b32_e32 v30, 0x7f800001
	s_and_saveexec_b64 s[22:23], vcc
	s_cbranch_execz .LBB469_302
; %bb.301:
	v_and_b32_e32 v27, 7, v22
	v_ffbh_u32_e32 v27, v27
	v_min_u32_e32 v27, 32, v27
	v_subrev_u32_e32 v29, 28, v27
	v_cmp_gt_u32_e32 vcc, 8, v26
	v_lshrrev_b32_e32 v28, 3, v26
	v_sub_u32_e32 v27, 29, v27
	v_cndmask_b32_e32 v26, 0, v29, vcc
	v_cndmask_b32_e32 v28, v28, v27, vcc
	v_lshlrev_b64 v[26:27], v26, v[22:23]
	v_lshlrev_b32_e32 v26, 20, v26
	v_lshlrev_b32_e32 v27, 24, v22
	v_bfrev_b32_e32 v29, 60
	v_and_b32_e32 v26, 0x700000, v26
	v_and_b32_e32 v27, 0x80000000, v27
	v_lshl_add_u32 v28, v28, 23, v29
	v_or3_b32 v30, v27, v28, v26
.LBB469_302:
	s_or_b64 exec, exec, s[22:23]
.LBB469_303:
	s_or_b64 exec, exec, s[20:21]
.LBB469_304:
	s_or_b64 exec, exec, s[10:11]
	v_lshrrev_b16_e32 v26, 8, v22
	v_cmp_ne_u16_e32 vcc, 0, v26
	v_mov_b32_e32 v29, 0
	v_mov_b32_e32 v31, 0
	s_and_saveexec_b64 s[10:11], vcc
	s_cbranch_execz .LBB469_310
; %bb.305:
	s_movk_i32 s20, 0x80
	v_cmp_ne_u16_e32 vcc, s20, v26
	v_bfrev_b32_e32 v31, 1
	s_and_saveexec_b64 s[20:21], vcc
	s_cbranch_execz .LBB469_309
; %bb.306:
	s_movk_i32 s22, 0x7f
	v_and_b32_e32 v27, 0x7f, v26
	v_cmp_ne_u32_e32 vcc, s22, v27
	v_mov_b32_e32 v31, 0x7f800001
	s_and_saveexec_b64 s[22:23], vcc
	s_cbranch_execz .LBB469_308
; %bb.307:
	v_and_b32_e32 v28, 7, v26
	v_ffbh_u32_e32 v32, v28
	v_min_u32_e32 v34, 32, v32
	v_subrev_u32_e32 v32, 28, v34
	v_lshlrev_b64 v[32:33], v32, v[26:27]
	v_lshrrev_b32_e32 v31, 3, v27
	v_sub_u32_e32 v26, 29, v34
	v_and_b32_e32 v32, 7, v32
	v_cmp_gt_u32_e32 vcc, 8, v27
	v_cndmask_b32_e32 v26, v31, v26, vcc
	v_cndmask_b32_e32 v27, v28, v32, vcc
	v_lshlrev_b32_e32 v28, 16, v22
	v_bfrev_b32_e32 v31, 60
	v_lshlrev_b32_e32 v27, 20, v27
	v_and_b32_e32 v28, 0x80000000, v28
	v_lshl_add_u32 v26, v26, 23, v31
	v_or3_b32 v31, v28, v26, v27
.LBB469_308:
	s_or_b64 exec, exec, s[22:23]
.LBB469_309:
	s_or_b64 exec, exec, s[20:21]
.LBB469_310:
	s_or_b64 exec, exec, s[10:11]
	s_movk_i32 s10, 0xff
	v_and_b32_sdwa v27, v22, s10 dst_sel:DWORD dst_unused:UNUSED_PAD src0_sel:WORD_1 src1_sel:DWORD
	v_lshrrev_b32_e32 v26, 16, v22
	v_cmp_ne_u16_e32 vcc, 0, v27
	s_and_saveexec_b64 s[10:11], vcc
	s_cbranch_execz .LBB469_316
; %bb.311:
	s_movk_i32 s20, 0x80
	v_cmp_ne_u16_e32 vcc, s20, v27
	v_bfrev_b32_e32 v29, 1
	s_and_saveexec_b64 s[20:21], vcc
	s_cbranch_execz .LBB469_315
; %bb.312:
	v_bfe_u32 v27, v22, 16, 7
	s_movk_i32 s22, 0x7f
	v_cmp_ne_u32_e32 vcc, s22, v27
	v_mov_b32_e32 v29, 0x7f800001
	s_and_saveexec_b64 s[22:23], vcc
	s_cbranch_execz .LBB469_314
; %bb.313:
	v_and_b32_e32 v32, 7, v26
	v_ffbh_u32_e32 v28, v32
	v_min_u32_e32 v34, 32, v28
	v_subrev_u32_e32 v28, 28, v34
	v_lshlrev_b64 v[28:29], v28, v[26:27]
	v_and_b32_e32 v28, 7, v28
	v_cmp_gt_u32_e32 vcc, 8, v27
	v_lshrrev_b32_e32 v33, 3, v27
	v_sub_u32_e32 v26, 29, v34
	v_cndmask_b32_e32 v27, v32, v28, vcc
	v_mov_b32_e32 v28, 24
	v_cndmask_b32_e32 v26, v33, v26, vcc
	v_lshlrev_b32_sdwa v28, v28, v22 dst_sel:DWORD dst_unused:UNUSED_PAD src0_sel:DWORD src1_sel:WORD_1
	v_bfrev_b32_e32 v29, 60
	v_lshlrev_b32_e32 v27, 20, v27
	v_and_b32_e32 v28, 0x80000000, v28
	v_lshl_add_u32 v26, v26, 23, v29
	v_or3_b32 v29, v28, v26, v27
.LBB469_314:
	s_or_b64 exec, exec, s[22:23]
.LBB469_315:
	s_or_b64 exec, exec, s[20:21]
.LBB469_316:
	s_or_b64 exec, exec, s[10:11]
	s_mov_b32 s10, 0xffffff
	v_cmp_lt_u32_e32 vcc, s10, v22
	v_mov_b32_e32 v27, 0
	v_mov_b32_e32 v32, 0
	s_and_saveexec_b64 s[10:11], vcc
	s_cbranch_execz .LBB469_322
; %bb.317:
	v_lshrrev_b32_e32 v26, 24, v22
	s_movk_i32 s20, 0x80
	v_cmp_ne_u32_e32 vcc, s20, v26
	v_bfrev_b32_e32 v32, 1
	s_and_saveexec_b64 s[20:21], vcc
	s_cbranch_execz .LBB469_321
; %bb.318:
	v_bfe_u32 v28, v22, 24, 7
	s_movk_i32 s22, 0x7f
	v_cmp_ne_u32_e32 vcc, s22, v28
	v_mov_b32_e32 v32, 0x7f800001
	s_and_saveexec_b64 s[22:23], vcc
	s_cbranch_execz .LBB469_320
; %bb.319:
	v_and_b32_e32 v34, 7, v26
	v_ffbh_u32_e32 v32, v34
	v_min_u32_e32 v36, 32, v32
	v_subrev_u32_e32 v32, 28, v36
	v_lshlrev_b64 v[32:33], v32, v[26:27]
	v_lshrrev_b32_e32 v35, 3, v28
	v_sub_u32_e32 v33, 29, v36
	v_and_b32_e32 v32, 7, v32
	v_cmp_gt_u32_e32 vcc, 8, v28
	v_cndmask_b32_e32 v28, v35, v33, vcc
	v_cndmask_b32_e32 v32, v34, v32, vcc
	v_lshlrev_b32_e32 v26, 24, v26
	v_bfrev_b32_e32 v33, 60
	v_lshlrev_b32_e32 v32, 20, v32
	v_and_b32_e32 v26, 0x80000000, v26
	v_lshl_add_u32 v28, v28, 23, v33
	v_or3_b32 v32, v26, v28, v32
.LBB469_320:
	s_or_b64 exec, exec, s[22:23]
.LBB469_321:
	s_or_b64 exec, exec, s[20:21]
.LBB469_322:
	s_or_b64 exec, exec, s[10:11]
	v_mov_b32_e32 v26, v23
	v_cmp_ne_u16_sdwa s[20:21], v23, v27 src0_sel:BYTE_0 src1_sel:DWORD
	s_and_saveexec_b64 s[10:11], s[20:21]
	s_cbranch_execz .LBB469_328
; %bb.323:
	s_movk_i32 s20, 0x80
	v_cmp_ne_u16_sdwa s[22:23], v23, s20 src0_sel:BYTE_0 src1_sel:DWORD
	v_bfrev_b32_e32 v28, 1
	s_and_saveexec_b64 s[20:21], s[22:23]
	s_cbranch_execz .LBB469_327
; %bb.324:
	s_movk_i32 s22, 0x7f
	v_and_b32_e32 v33, 0x7f, v23
	v_cmp_ne_u32_e32 vcc, s22, v33
	v_mov_b32_e32 v28, 0x7f800001
	s_and_saveexec_b64 s[22:23], vcc
	s_cbranch_execz .LBB469_326
; %bb.325:
	v_and_b32_e32 v28, 7, v23
	v_ffbh_u32_e32 v28, v28
	v_min_u32_e32 v28, 32, v28
	v_subrev_u32_e32 v35, 28, v28
	v_cmp_gt_u32_e32 vcc, 8, v33
	v_lshrrev_b32_e32 v34, 3, v33
	v_sub_u32_e32 v28, 29, v28
	v_cndmask_b32_e32 v33, 0, v35, vcc
	v_cndmask_b32_e32 v28, v34, v28, vcc
	v_lshlrev_b64 v[34:35], v33, v[26:27]
	v_lshlrev_b32_e32 v27, 20, v34
	v_lshlrev_b32_e32 v33, 24, v26
	v_bfrev_b32_e32 v34, 60
	v_and_b32_e32 v27, 0x700000, v27
	v_and_b32_e32 v33, 0x80000000, v33
	v_lshl_add_u32 v28, v28, 23, v34
	v_or3_b32 v28, v33, v28, v27
.LBB469_326:
	s_or_b64 exec, exec, s[22:23]
.LBB469_327:
	s_or_b64 exec, exec, s[20:21]
	v_mov_b32_e32 v27, v28
.LBB469_328:
	s_or_b64 exec, exec, s[10:11]
	v_lshrrev_b16_e32 v28, 8, v26
	v_cmp_ne_u16_e32 vcc, 0, v28
	v_mov_b32_e32 v33, 0
	v_mov_b32_e32 v34, 0
	s_and_saveexec_b64 s[10:11], vcc
	s_cbranch_execz .LBB469_334
; %bb.329:
	s_movk_i32 s20, 0x80
	v_cmp_ne_u16_e32 vcc, s20, v28
	v_bfrev_b32_e32 v34, 1
	s_and_saveexec_b64 s[20:21], vcc
	s_cbranch_execz .LBB469_333
; %bb.330:
	s_movk_i32 s22, 0x7f
	v_and_b32_e32 v35, 0x7f, v28
	v_cmp_ne_u32_e32 vcc, s22, v35
	v_mov_b32_e32 v34, 0x7f800001
	s_and_saveexec_b64 s[22:23], vcc
	s_cbranch_execz .LBB469_332
; %bb.331:
	v_and_b32_e32 v34, 7, v28
	v_ffbh_u32_e32 v36, v34
	v_min_u32_e32 v40, 32, v36
	v_subrev_u32_e32 v36, 28, v40
	v_lshlrev_b64 v[36:37], v36, v[28:29]
	v_lshrrev_b32_e32 v39, 3, v35
	v_sub_u32_e32 v28, 29, v40
	v_and_b32_e32 v36, 7, v36
	v_cmp_gt_u32_e32 vcc, 8, v35
	v_cndmask_b32_e32 v28, v39, v28, vcc
	v_cndmask_b32_e32 v34, v34, v36, vcc
	v_lshlrev_b32_e32 v26, 16, v26
	v_bfrev_b32_e32 v35, 60
	v_lshlrev_b32_e32 v34, 20, v34
	v_and_b32_e32 v26, 0x80000000, v26
	v_lshl_add_u32 v28, v28, 23, v35
	v_or3_b32 v34, v26, v28, v34
.LBB469_332:
	s_or_b64 exec, exec, s[22:23]
.LBB469_333:
	s_or_b64 exec, exec, s[20:21]
.LBB469_334:
	s_or_b64 exec, exec, s[10:11]
	s_movk_i32 s10, 0xff
	v_and_b32_sdwa v28, v23, s10 dst_sel:DWORD dst_unused:UNUSED_PAD src0_sel:WORD_1 src1_sel:DWORD
	v_lshrrev_b32_e32 v26, 16, v23
	v_cmp_ne_u16_e32 vcc, 0, v28
	s_and_saveexec_b64 s[10:11], vcc
	s_cbranch_execz .LBB469_340
; %bb.335:
	s_movk_i32 s20, 0x80
	v_cmp_ne_u16_e32 vcc, s20, v28
	v_bfrev_b32_e32 v33, 1
	s_and_saveexec_b64 s[20:21], vcc
	s_cbranch_execz .LBB469_339
; %bb.336:
	v_bfe_u32 v28, v23, 16, 7
	s_movk_i32 s22, 0x7f
	v_cmp_ne_u32_e32 vcc, s22, v28
	v_mov_b32_e32 v33, 0x7f800001
	s_and_saveexec_b64 s[22:23], vcc
	s_cbranch_execz .LBB469_338
; %bb.337:
	v_and_b32_e32 v33, 7, v26
	v_ffbh_u32_e32 v36, v33
	v_min_u32_e32 v39, 32, v36
	v_subrev_u32_e32 v36, 28, v39
	v_lshlrev_b64 v[36:37], v36, v[26:27]
	v_and_b32_e32 v36, 7, v36
	v_cmp_gt_u32_e32 vcc, 8, v28
	v_lshrrev_b32_e32 v35, 3, v28
	v_sub_u32_e32 v26, 29, v39
	v_cndmask_b32_e32 v28, v33, v36, vcc
	v_mov_b32_e32 v33, 24
	v_cndmask_b32_e32 v26, v35, v26, vcc
	v_lshlrev_b32_sdwa v33, v33, v23 dst_sel:DWORD dst_unused:UNUSED_PAD src0_sel:DWORD src1_sel:WORD_1
	v_bfrev_b32_e32 v35, 60
	v_lshlrev_b32_e32 v28, 20, v28
	v_and_b32_e32 v33, 0x80000000, v33
	v_lshl_add_u32 v26, v26, 23, v35
	v_or3_b32 v33, v33, v26, v28
.LBB469_338:
	s_or_b64 exec, exec, s[22:23]
.LBB469_339:
	s_or_b64 exec, exec, s[20:21]
.LBB469_340:
	s_or_b64 exec, exec, s[10:11]
	s_mov_b32 s10, -1
	s_mov_b32 s11, 0xffffff
	v_cmp_lt_u64_e32 vcc, s[10:11], v[22:23]
	v_mov_b32_e32 v28, 0
	v_mov_b32_e32 v26, 0
	s_and_saveexec_b64 s[10:11], vcc
	s_cbranch_execz .LBB469_346
; %bb.341:
	v_lshrrev_b32_e32 v22, 24, v23
	s_movk_i32 s20, 0x80
	v_cmp_ne_u32_e32 vcc, s20, v22
	v_bfrev_b32_e32 v26, 1
	s_and_saveexec_b64 s[20:21], vcc
	s_cbranch_execz .LBB469_345
; %bb.342:
	v_bfe_u32 v23, v23, 24, 7
	s_movk_i32 s22, 0x7f
	v_cmp_ne_u32_e32 vcc, s22, v23
	v_mov_b32_e32 v26, 0x7f800001
	s_and_saveexec_b64 s[22:23], vcc
	s_cbranch_execz .LBB469_344
; %bb.343:
	v_and_b32_e32 v26, 7, v22
	v_ffbh_u32_e32 v36, v26
	v_min_u32_e32 v39, 32, v36
	v_subrev_u32_e32 v36, 28, v39
	v_lshlrev_b64 v[36:37], v36, v[22:23]
	v_lshrrev_b32_e32 v35, 3, v23
	v_sub_u32_e32 v37, 29, v39
	v_and_b32_e32 v36, 7, v36
	v_cmp_gt_u32_e32 vcc, 8, v23
	v_cndmask_b32_e32 v23, v35, v37, vcc
	v_cndmask_b32_e32 v26, v26, v36, vcc
	v_lshlrev_b32_e32 v22, 24, v22
	v_bfrev_b32_e32 v35, 60
	v_lshlrev_b32_e32 v26, 20, v26
	v_and_b32_e32 v22, 0x80000000, v22
	v_lshl_add_u32 v23, v23, 23, v35
	v_or3_b32 v26, v22, v23, v26
.LBB469_344:
	s_or_b64 exec, exec, s[22:23]
.LBB469_345:
	s_or_b64 exec, exec, s[20:21]
.LBB469_346:
	s_or_b64 exec, exec, s[10:11]
	v_cvt_pkrtz_f16_f32 v22, v30, v31
	v_cvt_pkrtz_f16_f32 v23, v29, v32
	;; [unrolled: 1-line block ×4, first 2 shown]
	v_mfma_f32_4x4x4f16 a[0:3], v[2:3], v[22:23], a[0:3] cbsz:4 abid:6
	v_cmp_ne_u16_sdwa s[20:21], v24, v28 src0_sel:BYTE_0 src1_sel:DWORD
	v_mfma_f32_4x4x4f16 a[0:3], v[4:5], v[30:31], a[0:3] cbsz:4 abid:6
	s_and_saveexec_b64 s[10:11], s[20:21]
	s_cbranch_execz .LBB469_352
; %bb.347:
	s_movk_i32 s20, 0x80
	v_cmp_ne_u16_sdwa s[22:23], v24, s20 src0_sel:BYTE_0 src1_sel:DWORD
	v_bfrev_b32_e32 v28, 1
	s_and_saveexec_b64 s[20:21], s[22:23]
	s_cbranch_execz .LBB469_351
; %bb.348:
	s_movk_i32 s22, 0x7f
	v_and_b32_e32 v22, 0x7f, v24
	v_cmp_ne_u32_e32 vcc, s22, v22
	v_mov_b32_e32 v28, 0x7f800001
	s_and_saveexec_b64 s[22:23], vcc
	s_cbranch_execz .LBB469_350
; %bb.349:
	v_and_b32_e32 v23, 7, v24
	v_ffbh_u32_e32 v23, v23
	v_min_u32_e32 v23, 32, v23
	v_subrev_u32_e32 v27, 28, v23
	v_cmp_gt_u32_e32 vcc, 8, v22
	v_lshrrev_b32_e32 v26, 3, v22
	v_sub_u32_e32 v23, 29, v23
	v_cndmask_b32_e32 v22, 0, v27, vcc
	v_cndmask_b32_e32 v26, v26, v23, vcc
	v_lshlrev_b64 v[22:23], v22, v[24:25]
	v_lshlrev_b32_e32 v22, 20, v22
	v_lshlrev_b32_e32 v23, 24, v24
	v_bfrev_b32_e32 v27, 60
	v_and_b32_e32 v22, 0x700000, v22
	v_and_b32_e32 v23, 0x80000000, v23
	v_lshl_add_u32 v26, v26, 23, v27
	v_or3_b32 v28, v23, v26, v22
.LBB469_350:
	s_or_b64 exec, exec, s[22:23]
.LBB469_351:
	s_or_b64 exec, exec, s[20:21]
.LBB469_352:
	s_or_b64 exec, exec, s[10:11]
	v_lshrrev_b16_e32 v22, 8, v24
	v_cmp_ne_u16_e32 vcc, 0, v22
	v_mov_b32_e32 v27, 0
	v_mov_b32_e32 v29, 0
	s_and_saveexec_b64 s[10:11], vcc
	s_cbranch_execz .LBB469_358
; %bb.353:
	s_movk_i32 s20, 0x80
	v_cmp_ne_u16_e32 vcc, s20, v22
	v_bfrev_b32_e32 v29, 1
	s_and_saveexec_b64 s[20:21], vcc
	s_cbranch_execz .LBB469_357
; %bb.354:
	s_movk_i32 s22, 0x7f
	v_and_b32_e32 v23, 0x7f, v22
	v_cmp_ne_u32_e32 vcc, s22, v23
	v_mov_b32_e32 v29, 0x7f800001
	s_and_saveexec_b64 s[22:23], vcc
	s_cbranch_execz .LBB469_356
; %bb.355:
	v_and_b32_e32 v26, 7, v22
	v_ffbh_u32_e32 v30, v26
	v_min_u32_e32 v32, 32, v30
	v_subrev_u32_e32 v30, 28, v32
	v_lshlrev_b64 v[30:31], v30, v[22:23]
	v_lshrrev_b32_e32 v29, 3, v23
	v_sub_u32_e32 v22, 29, v32
	v_and_b32_e32 v30, 7, v30
	v_cmp_gt_u32_e32 vcc, 8, v23
	v_cndmask_b32_e32 v22, v29, v22, vcc
	v_cndmask_b32_e32 v23, v26, v30, vcc
	v_lshlrev_b32_e32 v26, 16, v24
	v_bfrev_b32_e32 v29, 60
	v_lshlrev_b32_e32 v23, 20, v23
	v_and_b32_e32 v26, 0x80000000, v26
	v_lshl_add_u32 v22, v22, 23, v29
	v_or3_b32 v29, v26, v22, v23
.LBB469_356:
	s_or_b64 exec, exec, s[22:23]
.LBB469_357:
	s_or_b64 exec, exec, s[20:21]
.LBB469_358:
	s_or_b64 exec, exec, s[10:11]
	s_movk_i32 s10, 0xff
	v_and_b32_sdwa v23, v24, s10 dst_sel:DWORD dst_unused:UNUSED_PAD src0_sel:WORD_1 src1_sel:DWORD
	v_lshrrev_b32_e32 v22, 16, v24
	v_cmp_ne_u16_e32 vcc, 0, v23
	s_and_saveexec_b64 s[10:11], vcc
	s_cbranch_execz .LBB469_364
; %bb.359:
	s_movk_i32 s20, 0x80
	v_cmp_ne_u16_e32 vcc, s20, v23
	v_bfrev_b32_e32 v27, 1
	s_and_saveexec_b64 s[20:21], vcc
	s_cbranch_execz .LBB469_363
; %bb.360:
	v_bfe_u32 v23, v24, 16, 7
	s_movk_i32 s22, 0x7f
	v_cmp_ne_u32_e32 vcc, s22, v23
	v_mov_b32_e32 v27, 0x7f800001
	s_and_saveexec_b64 s[22:23], vcc
	s_cbranch_execz .LBB469_362
; %bb.361:
	v_and_b32_e32 v30, 7, v22
	v_ffbh_u32_e32 v26, v30
	v_min_u32_e32 v32, 32, v26
	v_subrev_u32_e32 v26, 28, v32
	v_lshlrev_b64 v[26:27], v26, v[22:23]
	v_and_b32_e32 v26, 7, v26
	v_cmp_gt_u32_e32 vcc, 8, v23
	v_lshrrev_b32_e32 v31, 3, v23
	v_sub_u32_e32 v22, 29, v32
	v_cndmask_b32_e32 v23, v30, v26, vcc
	v_mov_b32_e32 v26, 24
	v_cndmask_b32_e32 v22, v31, v22, vcc
	v_lshlrev_b32_sdwa v26, v26, v24 dst_sel:DWORD dst_unused:UNUSED_PAD src0_sel:DWORD src1_sel:WORD_1
	v_bfrev_b32_e32 v27, 60
	v_lshlrev_b32_e32 v23, 20, v23
	v_and_b32_e32 v26, 0x80000000, v26
	v_lshl_add_u32 v22, v22, 23, v27
	v_or3_b32 v27, v26, v22, v23
.LBB469_362:
	s_or_b64 exec, exec, s[22:23]
.LBB469_363:
	s_or_b64 exec, exec, s[20:21]
.LBB469_364:
	s_or_b64 exec, exec, s[10:11]
	s_mov_b32 s10, 0xffffff
	v_cmp_lt_u32_e32 vcc, s10, v24
	v_mov_b32_e32 v23, 0
	v_mov_b32_e32 v30, 0
	s_and_saveexec_b64 s[10:11], vcc
	s_cbranch_execz .LBB469_370
; %bb.365:
	v_lshrrev_b32_e32 v22, 24, v24
	s_movk_i32 s20, 0x80
	v_cmp_ne_u32_e32 vcc, s20, v22
	v_bfrev_b32_e32 v30, 1
	s_and_saveexec_b64 s[20:21], vcc
	s_cbranch_execz .LBB469_369
; %bb.366:
	v_bfe_u32 v26, v24, 24, 7
	s_movk_i32 s22, 0x7f
	v_cmp_ne_u32_e32 vcc, s22, v26
	v_mov_b32_e32 v30, 0x7f800001
	s_and_saveexec_b64 s[22:23], vcc
	s_cbranch_execz .LBB469_368
; %bb.367:
	v_and_b32_e32 v32, 7, v22
	v_ffbh_u32_e32 v30, v32
	v_min_u32_e32 v34, 32, v30
	v_subrev_u32_e32 v30, 28, v34
	v_lshlrev_b64 v[30:31], v30, v[22:23]
	v_lshrrev_b32_e32 v33, 3, v26
	v_sub_u32_e32 v31, 29, v34
	v_and_b32_e32 v30, 7, v30
	v_cmp_gt_u32_e32 vcc, 8, v26
	v_cndmask_b32_e32 v26, v33, v31, vcc
	v_cndmask_b32_e32 v30, v32, v30, vcc
	v_lshlrev_b32_e32 v22, 24, v22
	v_bfrev_b32_e32 v31, 60
	v_lshlrev_b32_e32 v30, 20, v30
	v_and_b32_e32 v22, 0x80000000, v22
	v_lshl_add_u32 v26, v26, 23, v31
	v_or3_b32 v30, v22, v26, v30
.LBB469_368:
	s_or_b64 exec, exec, s[22:23]
.LBB469_369:
	s_or_b64 exec, exec, s[20:21]
.LBB469_370:
	s_or_b64 exec, exec, s[10:11]
	v_mov_b32_e32 v22, v25
	v_cmp_ne_u16_sdwa s[20:21], v25, v23 src0_sel:BYTE_0 src1_sel:DWORD
	s_and_saveexec_b64 s[10:11], s[20:21]
	s_cbranch_execz .LBB469_376
; %bb.371:
	s_movk_i32 s20, 0x80
	v_cmp_ne_u16_sdwa s[22:23], v25, s20 src0_sel:BYTE_0 src1_sel:DWORD
	v_bfrev_b32_e32 v26, 1
	s_and_saveexec_b64 s[20:21], s[22:23]
	s_cbranch_execz .LBB469_375
; %bb.372:
	s_movk_i32 s22, 0x7f
	v_and_b32_e32 v31, 0x7f, v25
	v_cmp_ne_u32_e32 vcc, s22, v31
	v_mov_b32_e32 v26, 0x7f800001
	s_and_saveexec_b64 s[22:23], vcc
	s_cbranch_execz .LBB469_374
; %bb.373:
	v_and_b32_e32 v26, 7, v25
	v_ffbh_u32_e32 v26, v26
	v_min_u32_e32 v26, 32, v26
	v_subrev_u32_e32 v33, 28, v26
	v_cmp_gt_u32_e32 vcc, 8, v31
	v_lshrrev_b32_e32 v32, 3, v31
	v_sub_u32_e32 v26, 29, v26
	v_cndmask_b32_e32 v31, 0, v33, vcc
	v_cndmask_b32_e32 v26, v32, v26, vcc
	v_lshlrev_b64 v[32:33], v31, v[22:23]
	v_lshlrev_b32_e32 v23, 20, v32
	v_lshlrev_b32_e32 v31, 24, v22
	v_bfrev_b32_e32 v32, 60
	v_and_b32_e32 v23, 0x700000, v23
	v_and_b32_e32 v31, 0x80000000, v31
	v_lshl_add_u32 v26, v26, 23, v32
	v_or3_b32 v26, v31, v26, v23
.LBB469_374:
	s_or_b64 exec, exec, s[22:23]
.LBB469_375:
	s_or_b64 exec, exec, s[20:21]
	v_mov_b32_e32 v23, v26
.LBB469_376:
	s_or_b64 exec, exec, s[10:11]
	v_lshrrev_b16_e32 v26, 8, v22
	v_cmp_ne_u16_e32 vcc, 0, v26
	v_mov_b32_e32 v31, 0
	v_mov_b32_e32 v32, 0
	s_and_saveexec_b64 s[10:11], vcc
	s_cbranch_execz .LBB469_382
; %bb.377:
	s_movk_i32 s20, 0x80
	v_cmp_ne_u16_e32 vcc, s20, v26
	v_bfrev_b32_e32 v32, 1
	s_and_saveexec_b64 s[20:21], vcc
	s_cbranch_execz .LBB469_381
; %bb.378:
	s_movk_i32 s22, 0x7f
	v_and_b32_e32 v33, 0x7f, v26
	v_cmp_ne_u32_e32 vcc, s22, v33
	v_mov_b32_e32 v32, 0x7f800001
	s_and_saveexec_b64 s[22:23], vcc
	s_cbranch_execz .LBB469_380
; %bb.379:
	v_and_b32_e32 v32, 7, v26
	v_ffbh_u32_e32 v34, v32
	v_min_u32_e32 v37, 32, v34
	v_subrev_u32_e32 v34, 28, v37
	v_lshlrev_b64 v[34:35], v34, v[26:27]
	v_lshrrev_b32_e32 v36, 3, v33
	v_sub_u32_e32 v26, 29, v37
	v_and_b32_e32 v34, 7, v34
	v_cmp_gt_u32_e32 vcc, 8, v33
	v_cndmask_b32_e32 v26, v36, v26, vcc
	v_cndmask_b32_e32 v32, v32, v34, vcc
	v_lshlrev_b32_e32 v22, 16, v22
	v_bfrev_b32_e32 v33, 60
	v_lshlrev_b32_e32 v32, 20, v32
	v_and_b32_e32 v22, 0x80000000, v22
	v_lshl_add_u32 v26, v26, 23, v33
	v_or3_b32 v32, v22, v26, v32
.LBB469_380:
	s_or_b64 exec, exec, s[22:23]
.LBB469_381:
	s_or_b64 exec, exec, s[20:21]
.LBB469_382:
	s_or_b64 exec, exec, s[10:11]
	s_movk_i32 s10, 0xff
	v_and_b32_sdwa v26, v25, s10 dst_sel:DWORD dst_unused:UNUSED_PAD src0_sel:WORD_1 src1_sel:DWORD
	v_lshrrev_b32_e32 v22, 16, v25
	v_cmp_ne_u16_e32 vcc, 0, v26
	s_and_saveexec_b64 s[10:11], vcc
	s_cbranch_execz .LBB469_388
; %bb.383:
	s_movk_i32 s20, 0x80
	v_cmp_ne_u16_e32 vcc, s20, v26
	v_bfrev_b32_e32 v31, 1
	s_and_saveexec_b64 s[20:21], vcc
	s_cbranch_execz .LBB469_387
; %bb.384:
	v_bfe_u32 v26, v25, 16, 7
	s_movk_i32 s22, 0x7f
	v_cmp_ne_u32_e32 vcc, s22, v26
	v_mov_b32_e32 v31, 0x7f800001
	s_and_saveexec_b64 s[22:23], vcc
	s_cbranch_execz .LBB469_386
; %bb.385:
	v_and_b32_e32 v31, 7, v22
	v_ffbh_u32_e32 v34, v31
	v_min_u32_e32 v36, 32, v34
	v_subrev_u32_e32 v34, 28, v36
	v_lshlrev_b64 v[34:35], v34, v[22:23]
	v_and_b32_e32 v34, 7, v34
	v_cmp_gt_u32_e32 vcc, 8, v26
	v_lshrrev_b32_e32 v33, 3, v26
	v_sub_u32_e32 v22, 29, v36
	v_cndmask_b32_e32 v26, v31, v34, vcc
	v_mov_b32_e32 v31, 24
	v_cndmask_b32_e32 v22, v33, v22, vcc
	v_lshlrev_b32_sdwa v31, v31, v25 dst_sel:DWORD dst_unused:UNUSED_PAD src0_sel:DWORD src1_sel:WORD_1
	v_bfrev_b32_e32 v33, 60
	v_lshlrev_b32_e32 v26, 20, v26
	v_and_b32_e32 v31, 0x80000000, v31
	v_lshl_add_u32 v22, v22, 23, v33
	v_or3_b32 v31, v31, v22, v26
.LBB469_386:
	s_or_b64 exec, exec, s[22:23]
.LBB469_387:
	s_or_b64 exec, exec, s[20:21]
.LBB469_388:
	s_or_b64 exec, exec, s[10:11]
	s_mov_b32 s10, -1
	s_mov_b32 s11, 0xffffff
	v_cmp_lt_u64_e32 vcc, s[10:11], v[24:25]
	v_mov_b32_e32 v26, 0
	v_mov_b32_e32 v24, 0
	s_and_saveexec_b64 s[10:11], vcc
	s_cbranch_execz .LBB469_394
; %bb.389:
	v_lshrrev_b32_e32 v22, 24, v25
	s_movk_i32 s20, 0x80
	v_cmp_ne_u32_e32 vcc, s20, v22
	v_bfrev_b32_e32 v24, 1
	s_and_saveexec_b64 s[20:21], vcc
	s_cbranch_execz .LBB469_393
; %bb.390:
	v_bfe_u32 v25, v25, 24, 7
	s_movk_i32 s22, 0x7f
	v_cmp_ne_u32_e32 vcc, s22, v25
	v_mov_b32_e32 v24, 0x7f800001
	s_and_saveexec_b64 s[22:23], vcc
	s_cbranch_execz .LBB469_392
; %bb.391:
	v_and_b32_e32 v24, 7, v22
	v_ffbh_u32_e32 v34, v24
	v_min_u32_e32 v36, 32, v34
	v_subrev_u32_e32 v34, 28, v36
	v_lshlrev_b64 v[34:35], v34, v[22:23]
	v_lshrrev_b32_e32 v33, 3, v25
	v_sub_u32_e32 v35, 29, v36
	v_and_b32_e32 v34, 7, v34
	v_cmp_gt_u32_e32 vcc, 8, v25
	v_cndmask_b32_e32 v25, v33, v35, vcc
	v_cndmask_b32_e32 v24, v24, v34, vcc
	v_lshlrev_b32_e32 v22, 24, v22
	v_bfrev_b32_e32 v33, 60
	v_lshlrev_b32_e32 v24, 20, v24
	v_and_b32_e32 v22, 0x80000000, v22
	v_lshl_add_u32 v25, v25, 23, v33
	v_or3_b32 v24, v22, v25, v24
.LBB469_392:
	s_or_b64 exec, exec, s[22:23]
.LBB469_393:
	s_or_b64 exec, exec, s[20:21]
.LBB469_394:
	s_or_b64 exec, exec, s[10:11]
	v_cvt_pkrtz_f16_f32 v28, v28, v29
	v_cvt_pkrtz_f16_f32 v29, v27, v30
	;; [unrolled: 1-line block ×4, first 2 shown]
	v_mfma_f32_4x4x4f16 a[0:3], v[2:3], v[28:29], a[0:3] cbsz:4 abid:7
	v_cmp_ne_u16_sdwa s[20:21], v18, v26 src0_sel:BYTE_0 src1_sel:DWORD
	v_mfma_f32_4x4x4f16 a[0:3], v[4:5], v[22:23], a[0:3] cbsz:4 abid:7
	s_and_saveexec_b64 s[10:11], s[20:21]
	s_cbranch_execz .LBB469_400
; %bb.395:
	s_movk_i32 s20, 0x80
	v_cmp_ne_u16_sdwa s[22:23], v18, s20 src0_sel:BYTE_0 src1_sel:DWORD
	v_bfrev_b32_e32 v26, 1
	s_and_saveexec_b64 s[20:21], s[22:23]
	s_cbranch_execz .LBB469_399
; %bb.396:
	s_movk_i32 s22, 0x7f
	v_and_b32_e32 v22, 0x7f, v18
	v_cmp_ne_u32_e32 vcc, s22, v22
	v_mov_b32_e32 v26, 0x7f800001
	s_and_saveexec_b64 s[22:23], vcc
	s_cbranch_execz .LBB469_398
; %bb.397:
	v_and_b32_e32 v23, 7, v18
	v_ffbh_u32_e32 v23, v23
	v_min_u32_e32 v23, 32, v23
	v_subrev_u32_e32 v25, 28, v23
	v_cmp_gt_u32_e32 vcc, 8, v22
	v_lshrrev_b32_e32 v24, 3, v22
	v_sub_u32_e32 v23, 29, v23
	v_cndmask_b32_e32 v22, 0, v25, vcc
	v_cndmask_b32_e32 v24, v24, v23, vcc
	v_lshlrev_b64 v[22:23], v22, v[18:19]
	v_lshlrev_b32_e32 v22, 20, v22
	v_lshlrev_b32_e32 v23, 24, v18
	v_bfrev_b32_e32 v25, 60
	v_and_b32_e32 v22, 0x700000, v22
	v_and_b32_e32 v23, 0x80000000, v23
	v_lshl_add_u32 v24, v24, 23, v25
	v_or3_b32 v26, v23, v24, v22
.LBB469_398:
	s_or_b64 exec, exec, s[22:23]
.LBB469_399:
	s_or_b64 exec, exec, s[20:21]
.LBB469_400:
	s_or_b64 exec, exec, s[10:11]
	v_lshrrev_b16_e32 v22, 8, v18
	v_cmp_ne_u16_e32 vcc, 0, v22
	v_mov_b32_e32 v25, 0
	v_mov_b32_e32 v27, 0
	s_and_saveexec_b64 s[10:11], vcc
	s_cbranch_execz .LBB469_406
; %bb.401:
	s_movk_i32 s20, 0x80
	v_cmp_ne_u16_e32 vcc, s20, v22
	v_bfrev_b32_e32 v27, 1
	s_and_saveexec_b64 s[20:21], vcc
	s_cbranch_execz .LBB469_405
; %bb.402:
	s_movk_i32 s22, 0x7f
	v_and_b32_e32 v23, 0x7f, v22
	v_cmp_ne_u32_e32 vcc, s22, v23
	v_mov_b32_e32 v27, 0x7f800001
	s_and_saveexec_b64 s[22:23], vcc
	s_cbranch_execz .LBB469_404
; %bb.403:
	v_and_b32_e32 v24, 7, v22
	v_ffbh_u32_e32 v28, v24
	v_min_u32_e32 v30, 32, v28
	v_subrev_u32_e32 v28, 28, v30
	v_lshlrev_b64 v[28:29], v28, v[22:23]
	v_lshrrev_b32_e32 v27, 3, v23
	v_sub_u32_e32 v22, 29, v30
	v_and_b32_e32 v28, 7, v28
	v_cmp_gt_u32_e32 vcc, 8, v23
	v_cndmask_b32_e32 v22, v27, v22, vcc
	v_cndmask_b32_e32 v23, v24, v28, vcc
	v_lshlrev_b32_e32 v24, 16, v18
	v_bfrev_b32_e32 v27, 60
	v_lshlrev_b32_e32 v23, 20, v23
	v_and_b32_e32 v24, 0x80000000, v24
	v_lshl_add_u32 v22, v22, 23, v27
	v_or3_b32 v27, v24, v22, v23
.LBB469_404:
	s_or_b64 exec, exec, s[22:23]
.LBB469_405:
	s_or_b64 exec, exec, s[20:21]
.LBB469_406:
	s_or_b64 exec, exec, s[10:11]
	s_movk_i32 s10, 0xff
	v_and_b32_sdwa v23, v18, s10 dst_sel:DWORD dst_unused:UNUSED_PAD src0_sel:WORD_1 src1_sel:DWORD
	v_lshrrev_b32_e32 v22, 16, v18
	v_cmp_ne_u16_e32 vcc, 0, v23
	s_and_saveexec_b64 s[10:11], vcc
	s_cbranch_execz .LBB469_412
; %bb.407:
	s_movk_i32 s20, 0x80
	v_cmp_ne_u16_e32 vcc, s20, v23
	v_bfrev_b32_e32 v25, 1
	s_and_saveexec_b64 s[20:21], vcc
	s_cbranch_execz .LBB469_411
; %bb.408:
	v_bfe_u32 v23, v18, 16, 7
	s_movk_i32 s22, 0x7f
	v_cmp_ne_u32_e32 vcc, s22, v23
	v_mov_b32_e32 v25, 0x7f800001
	s_and_saveexec_b64 s[22:23], vcc
	s_cbranch_execz .LBB469_410
; %bb.409:
	v_and_b32_e32 v28, 7, v22
	v_ffbh_u32_e32 v24, v28
	v_min_u32_e32 v30, 32, v24
	v_subrev_u32_e32 v24, 28, v30
	v_lshlrev_b64 v[24:25], v24, v[22:23]
	v_and_b32_e32 v24, 7, v24
	v_cmp_gt_u32_e32 vcc, 8, v23
	v_lshrrev_b32_e32 v29, 3, v23
	v_sub_u32_e32 v22, 29, v30
	v_cndmask_b32_e32 v23, v28, v24, vcc
	v_mov_b32_e32 v24, 24
	v_cndmask_b32_e32 v22, v29, v22, vcc
	v_lshlrev_b32_sdwa v24, v24, v18 dst_sel:DWORD dst_unused:UNUSED_PAD src0_sel:DWORD src1_sel:WORD_1
	v_bfrev_b32_e32 v25, 60
	v_lshlrev_b32_e32 v23, 20, v23
	v_and_b32_e32 v24, 0x80000000, v24
	v_lshl_add_u32 v22, v22, 23, v25
	v_or3_b32 v25, v24, v22, v23
.LBB469_410:
	s_or_b64 exec, exec, s[22:23]
.LBB469_411:
	s_or_b64 exec, exec, s[20:21]
.LBB469_412:
	s_or_b64 exec, exec, s[10:11]
	s_mov_b32 s10, 0xffffff
	v_cmp_lt_u32_e32 vcc, s10, v18
	v_mov_b32_e32 v23, 0
	v_mov_b32_e32 v28, 0
	s_and_saveexec_b64 s[10:11], vcc
	s_cbranch_execz .LBB469_418
; %bb.413:
	v_lshrrev_b32_e32 v22, 24, v18
	s_movk_i32 s20, 0x80
	v_cmp_ne_u32_e32 vcc, s20, v22
	v_bfrev_b32_e32 v28, 1
	s_and_saveexec_b64 s[20:21], vcc
	s_cbranch_execz .LBB469_417
; %bb.414:
	v_bfe_u32 v24, v18, 24, 7
	s_movk_i32 s22, 0x7f
	v_cmp_ne_u32_e32 vcc, s22, v24
	v_mov_b32_e32 v28, 0x7f800001
	s_and_saveexec_b64 s[22:23], vcc
	s_cbranch_execz .LBB469_416
; %bb.415:
	v_and_b32_e32 v30, 7, v22
	v_ffbh_u32_e32 v28, v30
	v_min_u32_e32 v32, 32, v28
	v_subrev_u32_e32 v28, 28, v32
	v_lshlrev_b64 v[28:29], v28, v[22:23]
	v_lshrrev_b32_e32 v31, 3, v24
	v_sub_u32_e32 v29, 29, v32
	v_and_b32_e32 v28, 7, v28
	v_cmp_gt_u32_e32 vcc, 8, v24
	v_cndmask_b32_e32 v24, v31, v29, vcc
	v_cndmask_b32_e32 v28, v30, v28, vcc
	v_lshlrev_b32_e32 v22, 24, v22
	v_bfrev_b32_e32 v29, 60
	v_lshlrev_b32_e32 v28, 20, v28
	v_and_b32_e32 v22, 0x80000000, v22
	v_lshl_add_u32 v24, v24, 23, v29
	v_or3_b32 v28, v22, v24, v28
.LBB469_416:
	s_or_b64 exec, exec, s[22:23]
.LBB469_417:
	s_or_b64 exec, exec, s[20:21]
.LBB469_418:
	s_or_b64 exec, exec, s[10:11]
	v_mov_b32_e32 v22, v19
	v_cmp_ne_u16_sdwa s[20:21], v19, v23 src0_sel:BYTE_0 src1_sel:DWORD
	s_and_saveexec_b64 s[10:11], s[20:21]
	s_cbranch_execz .LBB469_424
; %bb.419:
	s_movk_i32 s20, 0x80
	v_cmp_ne_u16_sdwa s[22:23], v19, s20 src0_sel:BYTE_0 src1_sel:DWORD
	v_bfrev_b32_e32 v24, 1
	s_and_saveexec_b64 s[20:21], s[22:23]
	s_cbranch_execz .LBB469_423
; %bb.420:
	s_movk_i32 s22, 0x7f
	v_and_b32_e32 v29, 0x7f, v19
	v_cmp_ne_u32_e32 vcc, s22, v29
	v_mov_b32_e32 v24, 0x7f800001
	s_and_saveexec_b64 s[22:23], vcc
	s_cbranch_execz .LBB469_422
; %bb.421:
	v_and_b32_e32 v24, 7, v19
	v_ffbh_u32_e32 v24, v24
	v_min_u32_e32 v24, 32, v24
	v_subrev_u32_e32 v31, 28, v24
	v_cmp_gt_u32_e32 vcc, 8, v29
	v_lshrrev_b32_e32 v30, 3, v29
	v_sub_u32_e32 v24, 29, v24
	v_cndmask_b32_e32 v29, 0, v31, vcc
	v_cndmask_b32_e32 v24, v30, v24, vcc
	v_lshlrev_b64 v[30:31], v29, v[22:23]
	v_lshlrev_b32_e32 v23, 20, v30
	v_lshlrev_b32_e32 v29, 24, v22
	v_bfrev_b32_e32 v30, 60
	v_and_b32_e32 v23, 0x700000, v23
	v_and_b32_e32 v29, 0x80000000, v29
	v_lshl_add_u32 v24, v24, 23, v30
	v_or3_b32 v24, v29, v24, v23
.LBB469_422:
	s_or_b64 exec, exec, s[22:23]
.LBB469_423:
	s_or_b64 exec, exec, s[20:21]
	v_mov_b32_e32 v23, v24
.LBB469_424:
	s_or_b64 exec, exec, s[10:11]
	v_lshrrev_b16_e32 v24, 8, v22
	v_cmp_ne_u16_e32 vcc, 0, v24
	v_mov_b32_e32 v29, 0
	v_mov_b32_e32 v30, 0
	s_and_saveexec_b64 s[10:11], vcc
	s_cbranch_execz .LBB469_430
; %bb.425:
	s_movk_i32 s20, 0x80
	v_cmp_ne_u16_e32 vcc, s20, v24
	v_bfrev_b32_e32 v30, 1
	s_and_saveexec_b64 s[20:21], vcc
	s_cbranch_execz .LBB469_429
; %bb.426:
	s_movk_i32 s22, 0x7f
	v_and_b32_e32 v31, 0x7f, v24
	v_cmp_ne_u32_e32 vcc, s22, v31
	v_mov_b32_e32 v30, 0x7f800001
	s_and_saveexec_b64 s[22:23], vcc
	s_cbranch_execz .LBB469_428
; %bb.427:
	v_and_b32_e32 v30, 7, v24
	v_ffbh_u32_e32 v32, v30
	v_min_u32_e32 v35, 32, v32
	v_subrev_u32_e32 v32, 28, v35
	v_lshlrev_b64 v[32:33], v32, v[24:25]
	v_lshrrev_b32_e32 v34, 3, v31
	v_sub_u32_e32 v24, 29, v35
	v_and_b32_e32 v32, 7, v32
	v_cmp_gt_u32_e32 vcc, 8, v31
	v_cndmask_b32_e32 v24, v34, v24, vcc
	v_cndmask_b32_e32 v30, v30, v32, vcc
	v_lshlrev_b32_e32 v22, 16, v22
	v_bfrev_b32_e32 v31, 60
	v_lshlrev_b32_e32 v30, 20, v30
	v_and_b32_e32 v22, 0x80000000, v22
	v_lshl_add_u32 v24, v24, 23, v31
	v_or3_b32 v30, v22, v24, v30
.LBB469_428:
	s_or_b64 exec, exec, s[22:23]
.LBB469_429:
	s_or_b64 exec, exec, s[20:21]
.LBB469_430:
	s_or_b64 exec, exec, s[10:11]
	s_movk_i32 s10, 0xff
	v_and_b32_sdwa v24, v19, s10 dst_sel:DWORD dst_unused:UNUSED_PAD src0_sel:WORD_1 src1_sel:DWORD
	v_lshrrev_b32_e32 v22, 16, v19
	v_cmp_ne_u16_e32 vcc, 0, v24
	s_and_saveexec_b64 s[10:11], vcc
	s_cbranch_execz .LBB469_436
; %bb.431:
	s_movk_i32 s20, 0x80
	v_cmp_ne_u16_e32 vcc, s20, v24
	v_bfrev_b32_e32 v29, 1
	s_and_saveexec_b64 s[20:21], vcc
	s_cbranch_execz .LBB469_435
; %bb.432:
	v_bfe_u32 v24, v19, 16, 7
	s_movk_i32 s22, 0x7f
	v_cmp_ne_u32_e32 vcc, s22, v24
	v_mov_b32_e32 v29, 0x7f800001
	s_and_saveexec_b64 s[22:23], vcc
	s_cbranch_execz .LBB469_434
; %bb.433:
	v_and_b32_e32 v29, 7, v22
	v_ffbh_u32_e32 v32, v29
	v_min_u32_e32 v34, 32, v32
	v_subrev_u32_e32 v32, 28, v34
	v_lshlrev_b64 v[32:33], v32, v[22:23]
	v_and_b32_e32 v32, 7, v32
	v_cmp_gt_u32_e32 vcc, 8, v24
	v_lshrrev_b32_e32 v31, 3, v24
	v_sub_u32_e32 v22, 29, v34
	v_cndmask_b32_e32 v24, v29, v32, vcc
	v_mov_b32_e32 v29, 24
	v_cndmask_b32_e32 v22, v31, v22, vcc
	v_lshlrev_b32_sdwa v29, v29, v19 dst_sel:DWORD dst_unused:UNUSED_PAD src0_sel:DWORD src1_sel:WORD_1
	v_bfrev_b32_e32 v31, 60
	v_lshlrev_b32_e32 v24, 20, v24
	v_and_b32_e32 v29, 0x80000000, v29
	v_lshl_add_u32 v22, v22, 23, v31
	v_or3_b32 v29, v29, v22, v24
.LBB469_434:
	s_or_b64 exec, exec, s[22:23]
.LBB469_435:
	s_or_b64 exec, exec, s[20:21]
.LBB469_436:
	s_or_b64 exec, exec, s[10:11]
	s_mov_b32 s10, -1
	s_mov_b32 s11, 0xffffff
	v_cmp_lt_u64_e32 vcc, s[10:11], v[18:19]
	v_mov_b32_e32 v24, 0
	v_mov_b32_e32 v22, 0
	s_and_saveexec_b64 s[10:11], vcc
	s_cbranch_execz .LBB469_442
; %bb.437:
	v_lshrrev_b32_e32 v18, 24, v19
	s_movk_i32 s20, 0x80
	v_cmp_ne_u32_e32 vcc, s20, v18
	v_bfrev_b32_e32 v22, 1
	s_and_saveexec_b64 s[20:21], vcc
	s_cbranch_execz .LBB469_441
; %bb.438:
	v_bfe_u32 v19, v19, 24, 7
	s_movk_i32 s22, 0x7f
	v_cmp_ne_u32_e32 vcc, s22, v19
	v_mov_b32_e32 v22, 0x7f800001
	s_and_saveexec_b64 s[22:23], vcc
	s_cbranch_execz .LBB469_440
; %bb.439:
	v_and_b32_e32 v22, 7, v18
	v_ffbh_u32_e32 v32, v22
	v_min_u32_e32 v34, 32, v32
	v_subrev_u32_e32 v32, 28, v34
	v_lshlrev_b64 v[32:33], v32, v[18:19]
	v_lshrrev_b32_e32 v31, 3, v19
	v_sub_u32_e32 v33, 29, v34
	v_and_b32_e32 v32, 7, v32
	v_cmp_gt_u32_e32 vcc, 8, v19
	v_cndmask_b32_e32 v19, v31, v33, vcc
	v_cndmask_b32_e32 v22, v22, v32, vcc
	v_lshlrev_b32_e32 v18, 24, v18
	v_bfrev_b32_e32 v31, 60
	v_lshlrev_b32_e32 v22, 20, v22
	v_and_b32_e32 v18, 0x80000000, v18
	v_lshl_add_u32 v19, v19, 23, v31
	v_or3_b32 v22, v18, v19, v22
.LBB469_440:
	s_or_b64 exec, exec, s[22:23]
.LBB469_441:
	s_or_b64 exec, exec, s[20:21]
.LBB469_442:
	s_or_b64 exec, exec, s[10:11]
	v_cvt_pkrtz_f16_f32 v18, v26, v27
	v_cvt_pkrtz_f16_f32 v19, v25, v28
	;; [unrolled: 1-line block ×4, first 2 shown]
	v_mfma_f32_4x4x4f16 a[0:3], v[2:3], v[18:19], a[0:3] cbsz:4 abid:8
	v_cmp_ne_u16_sdwa s[20:21], v20, v24 src0_sel:BYTE_0 src1_sel:DWORD
	v_mfma_f32_4x4x4f16 a[0:3], v[4:5], v[26:27], a[0:3] cbsz:4 abid:8
	s_and_saveexec_b64 s[10:11], s[20:21]
	s_cbranch_execz .LBB469_448
; %bb.443:
	s_movk_i32 s20, 0x80
	v_cmp_ne_u16_sdwa s[22:23], v20, s20 src0_sel:BYTE_0 src1_sel:DWORD
	v_bfrev_b32_e32 v24, 1
	s_and_saveexec_b64 s[20:21], s[22:23]
	s_cbranch_execz .LBB469_447
; %bb.444:
	s_movk_i32 s22, 0x7f
	v_and_b32_e32 v18, 0x7f, v20
	v_cmp_ne_u32_e32 vcc, s22, v18
	v_mov_b32_e32 v24, 0x7f800001
	s_and_saveexec_b64 s[22:23], vcc
	s_cbranch_execz .LBB469_446
; %bb.445:
	v_and_b32_e32 v19, 7, v20
	v_ffbh_u32_e32 v19, v19
	v_min_u32_e32 v19, 32, v19
	v_subrev_u32_e32 v23, 28, v19
	v_cmp_gt_u32_e32 vcc, 8, v18
	v_lshrrev_b32_e32 v22, 3, v18
	v_sub_u32_e32 v19, 29, v19
	v_cndmask_b32_e32 v18, 0, v23, vcc
	v_cndmask_b32_e32 v22, v22, v19, vcc
	v_lshlrev_b64 v[18:19], v18, v[20:21]
	v_lshlrev_b32_e32 v18, 20, v18
	v_lshlrev_b32_e32 v19, 24, v20
	v_bfrev_b32_e32 v23, 60
	v_and_b32_e32 v18, 0x700000, v18
	v_and_b32_e32 v19, 0x80000000, v19
	v_lshl_add_u32 v22, v22, 23, v23
	v_or3_b32 v24, v19, v22, v18
.LBB469_446:
	s_or_b64 exec, exec, s[22:23]
.LBB469_447:
	s_or_b64 exec, exec, s[20:21]
.LBB469_448:
	s_or_b64 exec, exec, s[10:11]
	v_lshrrev_b16_e32 v18, 8, v20
	v_cmp_ne_u16_e32 vcc, 0, v18
	v_mov_b32_e32 v23, 0
	v_mov_b32_e32 v25, 0
	s_and_saveexec_b64 s[10:11], vcc
	s_cbranch_execz .LBB469_454
; %bb.449:
	s_movk_i32 s20, 0x80
	v_cmp_ne_u16_e32 vcc, s20, v18
	v_bfrev_b32_e32 v25, 1
	s_and_saveexec_b64 s[20:21], vcc
	s_cbranch_execz .LBB469_453
; %bb.450:
	s_movk_i32 s22, 0x7f
	v_and_b32_e32 v19, 0x7f, v18
	v_cmp_ne_u32_e32 vcc, s22, v19
	v_mov_b32_e32 v25, 0x7f800001
	s_and_saveexec_b64 s[22:23], vcc
	s_cbranch_execz .LBB469_452
; %bb.451:
	v_and_b32_e32 v22, 7, v18
	v_ffbh_u32_e32 v26, v22
	v_min_u32_e32 v28, 32, v26
	v_subrev_u32_e32 v26, 28, v28
	v_lshlrev_b64 v[26:27], v26, v[18:19]
	v_lshrrev_b32_e32 v25, 3, v19
	v_sub_u32_e32 v18, 29, v28
	v_and_b32_e32 v26, 7, v26
	v_cmp_gt_u32_e32 vcc, 8, v19
	v_cndmask_b32_e32 v18, v25, v18, vcc
	v_cndmask_b32_e32 v19, v22, v26, vcc
	v_lshlrev_b32_e32 v22, 16, v20
	v_bfrev_b32_e32 v25, 60
	v_lshlrev_b32_e32 v19, 20, v19
	v_and_b32_e32 v22, 0x80000000, v22
	v_lshl_add_u32 v18, v18, 23, v25
	v_or3_b32 v25, v22, v18, v19
.LBB469_452:
	s_or_b64 exec, exec, s[22:23]
.LBB469_453:
	s_or_b64 exec, exec, s[20:21]
.LBB469_454:
	s_or_b64 exec, exec, s[10:11]
	s_movk_i32 s10, 0xff
	v_and_b32_sdwa v19, v20, s10 dst_sel:DWORD dst_unused:UNUSED_PAD src0_sel:WORD_1 src1_sel:DWORD
	v_lshrrev_b32_e32 v18, 16, v20
	v_cmp_ne_u16_e32 vcc, 0, v19
	s_and_saveexec_b64 s[10:11], vcc
	s_cbranch_execz .LBB469_460
; %bb.455:
	s_movk_i32 s20, 0x80
	v_cmp_ne_u16_e32 vcc, s20, v19
	v_bfrev_b32_e32 v23, 1
	s_and_saveexec_b64 s[20:21], vcc
	s_cbranch_execz .LBB469_459
; %bb.456:
	v_bfe_u32 v19, v20, 16, 7
	s_movk_i32 s22, 0x7f
	v_cmp_ne_u32_e32 vcc, s22, v19
	v_mov_b32_e32 v23, 0x7f800001
	s_and_saveexec_b64 s[22:23], vcc
	s_cbranch_execz .LBB469_458
; %bb.457:
	v_and_b32_e32 v26, 7, v18
	v_ffbh_u32_e32 v22, v26
	v_min_u32_e32 v28, 32, v22
	v_subrev_u32_e32 v22, 28, v28
	v_lshlrev_b64 v[22:23], v22, v[18:19]
	v_and_b32_e32 v22, 7, v22
	v_cmp_gt_u32_e32 vcc, 8, v19
	v_lshrrev_b32_e32 v27, 3, v19
	v_sub_u32_e32 v18, 29, v28
	v_cndmask_b32_e32 v19, v26, v22, vcc
	v_mov_b32_e32 v22, 24
	v_cndmask_b32_e32 v18, v27, v18, vcc
	v_lshlrev_b32_sdwa v22, v22, v20 dst_sel:DWORD dst_unused:UNUSED_PAD src0_sel:DWORD src1_sel:WORD_1
	v_bfrev_b32_e32 v23, 60
	v_lshlrev_b32_e32 v19, 20, v19
	v_and_b32_e32 v22, 0x80000000, v22
	v_lshl_add_u32 v18, v18, 23, v23
	v_or3_b32 v23, v22, v18, v19
.LBB469_458:
	s_or_b64 exec, exec, s[22:23]
.LBB469_459:
	s_or_b64 exec, exec, s[20:21]
.LBB469_460:
	s_or_b64 exec, exec, s[10:11]
	s_mov_b32 s10, 0xffffff
	v_cmp_lt_u32_e32 vcc, s10, v20
	v_mov_b32_e32 v19, 0
	v_mov_b32_e32 v26, 0
	s_and_saveexec_b64 s[10:11], vcc
	s_cbranch_execz .LBB469_466
; %bb.461:
	v_lshrrev_b32_e32 v18, 24, v20
	s_movk_i32 s20, 0x80
	v_cmp_ne_u32_e32 vcc, s20, v18
	v_bfrev_b32_e32 v26, 1
	s_and_saveexec_b64 s[20:21], vcc
	s_cbranch_execz .LBB469_465
; %bb.462:
	v_bfe_u32 v22, v20, 24, 7
	s_movk_i32 s22, 0x7f
	v_cmp_ne_u32_e32 vcc, s22, v22
	v_mov_b32_e32 v26, 0x7f800001
	s_and_saveexec_b64 s[22:23], vcc
	s_cbranch_execz .LBB469_464
; %bb.463:
	v_and_b32_e32 v28, 7, v18
	v_ffbh_u32_e32 v26, v28
	v_min_u32_e32 v30, 32, v26
	v_subrev_u32_e32 v26, 28, v30
	v_lshlrev_b64 v[26:27], v26, v[18:19]
	v_lshrrev_b32_e32 v29, 3, v22
	v_sub_u32_e32 v27, 29, v30
	v_and_b32_e32 v26, 7, v26
	v_cmp_gt_u32_e32 vcc, 8, v22
	v_cndmask_b32_e32 v22, v29, v27, vcc
	v_cndmask_b32_e32 v26, v28, v26, vcc
	v_lshlrev_b32_e32 v18, 24, v18
	v_bfrev_b32_e32 v27, 60
	v_lshlrev_b32_e32 v26, 20, v26
	v_and_b32_e32 v18, 0x80000000, v18
	v_lshl_add_u32 v22, v22, 23, v27
	v_or3_b32 v26, v18, v22, v26
.LBB469_464:
	s_or_b64 exec, exec, s[22:23]
.LBB469_465:
	s_or_b64 exec, exec, s[20:21]
.LBB469_466:
	s_or_b64 exec, exec, s[10:11]
	v_mov_b32_e32 v18, v21
	v_cmp_ne_u16_sdwa s[20:21], v21, v19 src0_sel:BYTE_0 src1_sel:DWORD
	s_and_saveexec_b64 s[10:11], s[20:21]
	s_cbranch_execz .LBB469_472
; %bb.467:
	s_movk_i32 s20, 0x80
	v_cmp_ne_u16_sdwa s[22:23], v21, s20 src0_sel:BYTE_0 src1_sel:DWORD
	v_bfrev_b32_e32 v22, 1
	s_and_saveexec_b64 s[20:21], s[22:23]
	s_cbranch_execz .LBB469_471
; %bb.468:
	s_movk_i32 s22, 0x7f
	v_and_b32_e32 v27, 0x7f, v21
	v_cmp_ne_u32_e32 vcc, s22, v27
	v_mov_b32_e32 v22, 0x7f800001
	s_and_saveexec_b64 s[22:23], vcc
	s_cbranch_execz .LBB469_470
; %bb.469:
	v_and_b32_e32 v22, 7, v21
	v_ffbh_u32_e32 v22, v22
	v_min_u32_e32 v22, 32, v22
	v_subrev_u32_e32 v29, 28, v22
	v_cmp_gt_u32_e32 vcc, 8, v27
	v_lshrrev_b32_e32 v28, 3, v27
	v_sub_u32_e32 v22, 29, v22
	v_cndmask_b32_e32 v27, 0, v29, vcc
	v_cndmask_b32_e32 v22, v28, v22, vcc
	v_lshlrev_b64 v[28:29], v27, v[18:19]
	v_lshlrev_b32_e32 v19, 20, v28
	v_lshlrev_b32_e32 v27, 24, v18
	v_bfrev_b32_e32 v28, 60
	v_and_b32_e32 v19, 0x700000, v19
	v_and_b32_e32 v27, 0x80000000, v27
	v_lshl_add_u32 v22, v22, 23, v28
	v_or3_b32 v22, v27, v22, v19
.LBB469_470:
	s_or_b64 exec, exec, s[22:23]
.LBB469_471:
	s_or_b64 exec, exec, s[20:21]
	v_mov_b32_e32 v19, v22
.LBB469_472:
	s_or_b64 exec, exec, s[10:11]
	v_lshrrev_b16_e32 v22, 8, v18
	v_cmp_ne_u16_e32 vcc, 0, v22
	v_mov_b32_e32 v27, 0
	v_mov_b32_e32 v28, 0
	s_and_saveexec_b64 s[10:11], vcc
	s_cbranch_execz .LBB469_478
; %bb.473:
	s_movk_i32 s20, 0x80
	v_cmp_ne_u16_e32 vcc, s20, v22
	v_bfrev_b32_e32 v28, 1
	s_and_saveexec_b64 s[20:21], vcc
	s_cbranch_execz .LBB469_477
; %bb.474:
	s_movk_i32 s22, 0x7f
	v_and_b32_e32 v29, 0x7f, v22
	v_cmp_ne_u32_e32 vcc, s22, v29
	v_mov_b32_e32 v28, 0x7f800001
	s_and_saveexec_b64 s[22:23], vcc
	s_cbranch_execz .LBB469_476
; %bb.475:
	v_and_b32_e32 v28, 7, v22
	v_ffbh_u32_e32 v30, v28
	v_min_u32_e32 v33, 32, v30
	v_subrev_u32_e32 v30, 28, v33
	v_lshlrev_b64 v[30:31], v30, v[22:23]
	v_lshrrev_b32_e32 v32, 3, v29
	v_sub_u32_e32 v22, 29, v33
	v_and_b32_e32 v30, 7, v30
	v_cmp_gt_u32_e32 vcc, 8, v29
	v_cndmask_b32_e32 v22, v32, v22, vcc
	v_cndmask_b32_e32 v28, v28, v30, vcc
	v_lshlrev_b32_e32 v18, 16, v18
	v_bfrev_b32_e32 v29, 60
	v_lshlrev_b32_e32 v28, 20, v28
	v_and_b32_e32 v18, 0x80000000, v18
	v_lshl_add_u32 v22, v22, 23, v29
	v_or3_b32 v28, v18, v22, v28
.LBB469_476:
	s_or_b64 exec, exec, s[22:23]
.LBB469_477:
	s_or_b64 exec, exec, s[20:21]
.LBB469_478:
	s_or_b64 exec, exec, s[10:11]
	s_movk_i32 s10, 0xff
	v_and_b32_sdwa v22, v21, s10 dst_sel:DWORD dst_unused:UNUSED_PAD src0_sel:WORD_1 src1_sel:DWORD
	v_lshrrev_b32_e32 v18, 16, v21
	v_cmp_ne_u16_e32 vcc, 0, v22
	s_and_saveexec_b64 s[10:11], vcc
	s_cbranch_execz .LBB469_484
; %bb.479:
	s_movk_i32 s20, 0x80
	v_cmp_ne_u16_e32 vcc, s20, v22
	v_bfrev_b32_e32 v27, 1
	s_and_saveexec_b64 s[20:21], vcc
	s_cbranch_execz .LBB469_483
; %bb.480:
	v_bfe_u32 v22, v21, 16, 7
	s_movk_i32 s22, 0x7f
	v_cmp_ne_u32_e32 vcc, s22, v22
	v_mov_b32_e32 v27, 0x7f800001
	s_and_saveexec_b64 s[22:23], vcc
	s_cbranch_execz .LBB469_482
; %bb.481:
	v_and_b32_e32 v27, 7, v18
	v_ffbh_u32_e32 v30, v27
	v_min_u32_e32 v32, 32, v30
	v_subrev_u32_e32 v30, 28, v32
	v_lshlrev_b64 v[30:31], v30, v[18:19]
	v_and_b32_e32 v30, 7, v30
	v_cmp_gt_u32_e32 vcc, 8, v22
	v_lshrrev_b32_e32 v29, 3, v22
	v_sub_u32_e32 v18, 29, v32
	v_cndmask_b32_e32 v22, v27, v30, vcc
	v_mov_b32_e32 v27, 24
	v_cndmask_b32_e32 v18, v29, v18, vcc
	v_lshlrev_b32_sdwa v27, v27, v21 dst_sel:DWORD dst_unused:UNUSED_PAD src0_sel:DWORD src1_sel:WORD_1
	v_bfrev_b32_e32 v29, 60
	v_lshlrev_b32_e32 v22, 20, v22
	v_and_b32_e32 v27, 0x80000000, v27
	v_lshl_add_u32 v18, v18, 23, v29
	v_or3_b32 v27, v27, v18, v22
.LBB469_482:
	s_or_b64 exec, exec, s[22:23]
.LBB469_483:
	s_or_b64 exec, exec, s[20:21]
.LBB469_484:
	s_or_b64 exec, exec, s[10:11]
	s_mov_b32 s10, -1
	s_mov_b32 s11, 0xffffff
	v_cmp_lt_u64_e32 vcc, s[10:11], v[20:21]
	v_mov_b32_e32 v22, 0
	v_mov_b32_e32 v20, 0
	s_and_saveexec_b64 s[10:11], vcc
	s_cbranch_execz .LBB469_490
; %bb.485:
	v_lshrrev_b32_e32 v18, 24, v21
	s_movk_i32 s20, 0x80
	v_cmp_ne_u32_e32 vcc, s20, v18
	v_bfrev_b32_e32 v20, 1
	s_and_saveexec_b64 s[20:21], vcc
	s_cbranch_execz .LBB469_489
; %bb.486:
	v_bfe_u32 v21, v21, 24, 7
	s_movk_i32 s22, 0x7f
	v_cmp_ne_u32_e32 vcc, s22, v21
	v_mov_b32_e32 v20, 0x7f800001
	s_and_saveexec_b64 s[22:23], vcc
	s_cbranch_execz .LBB469_488
; %bb.487:
	v_and_b32_e32 v20, 7, v18
	v_ffbh_u32_e32 v30, v20
	v_min_u32_e32 v32, 32, v30
	v_subrev_u32_e32 v30, 28, v32
	v_lshlrev_b64 v[30:31], v30, v[18:19]
	v_lshrrev_b32_e32 v29, 3, v21
	v_sub_u32_e32 v31, 29, v32
	v_and_b32_e32 v30, 7, v30
	v_cmp_gt_u32_e32 vcc, 8, v21
	v_cndmask_b32_e32 v21, v29, v31, vcc
	v_cndmask_b32_e32 v20, v20, v30, vcc
	v_lshlrev_b32_e32 v18, 24, v18
	v_bfrev_b32_e32 v29, 60
	v_lshlrev_b32_e32 v20, 20, v20
	v_and_b32_e32 v18, 0x80000000, v18
	v_lshl_add_u32 v21, v21, 23, v29
	v_or3_b32 v20, v18, v21, v20
.LBB469_488:
	s_or_b64 exec, exec, s[22:23]
.LBB469_489:
	s_or_b64 exec, exec, s[20:21]
.LBB469_490:
	s_or_b64 exec, exec, s[10:11]
	v_cvt_pkrtz_f16_f32 v24, v24, v25
	v_cvt_pkrtz_f16_f32 v25, v23, v26
	;; [unrolled: 1-line block ×4, first 2 shown]
	v_mfma_f32_4x4x4f16 a[0:3], v[2:3], v[24:25], a[0:3] cbsz:4 abid:9
	v_cmp_ne_u16_sdwa s[20:21], v14, v22 src0_sel:BYTE_0 src1_sel:DWORD
	v_mfma_f32_4x4x4f16 a[0:3], v[4:5], v[18:19], a[0:3] cbsz:4 abid:9
	s_and_saveexec_b64 s[10:11], s[20:21]
	s_cbranch_execz .LBB469_496
; %bb.491:
	s_movk_i32 s20, 0x80
	v_cmp_ne_u16_sdwa s[22:23], v14, s20 src0_sel:BYTE_0 src1_sel:DWORD
	v_bfrev_b32_e32 v22, 1
	s_and_saveexec_b64 s[20:21], s[22:23]
	s_cbranch_execz .LBB469_495
; %bb.492:
	s_movk_i32 s22, 0x7f
	v_and_b32_e32 v18, 0x7f, v14
	v_cmp_ne_u32_e32 vcc, s22, v18
	v_mov_b32_e32 v22, 0x7f800001
	s_and_saveexec_b64 s[22:23], vcc
	s_cbranch_execz .LBB469_494
; %bb.493:
	v_and_b32_e32 v19, 7, v14
	v_ffbh_u32_e32 v19, v19
	v_min_u32_e32 v19, 32, v19
	v_subrev_u32_e32 v21, 28, v19
	v_cmp_gt_u32_e32 vcc, 8, v18
	v_lshrrev_b32_e32 v20, 3, v18
	v_sub_u32_e32 v19, 29, v19
	v_cndmask_b32_e32 v18, 0, v21, vcc
	v_cndmask_b32_e32 v20, v20, v19, vcc
	v_lshlrev_b64 v[18:19], v18, v[14:15]
	v_lshlrev_b32_e32 v18, 20, v18
	v_lshlrev_b32_e32 v19, 24, v14
	v_bfrev_b32_e32 v21, 60
	v_and_b32_e32 v18, 0x700000, v18
	v_and_b32_e32 v19, 0x80000000, v19
	v_lshl_add_u32 v20, v20, 23, v21
	v_or3_b32 v22, v19, v20, v18
.LBB469_494:
	s_or_b64 exec, exec, s[22:23]
.LBB469_495:
	s_or_b64 exec, exec, s[20:21]
.LBB469_496:
	s_or_b64 exec, exec, s[10:11]
	v_lshrrev_b16_e32 v18, 8, v14
	v_cmp_ne_u16_e32 vcc, 0, v18
	v_mov_b32_e32 v21, 0
	v_mov_b32_e32 v23, 0
	s_and_saveexec_b64 s[10:11], vcc
	s_cbranch_execz .LBB469_502
; %bb.497:
	s_movk_i32 s20, 0x80
	v_cmp_ne_u16_e32 vcc, s20, v18
	v_bfrev_b32_e32 v23, 1
	s_and_saveexec_b64 s[20:21], vcc
	s_cbranch_execz .LBB469_501
; %bb.498:
	s_movk_i32 s22, 0x7f
	v_and_b32_e32 v19, 0x7f, v18
	v_cmp_ne_u32_e32 vcc, s22, v19
	v_mov_b32_e32 v23, 0x7f800001
	s_and_saveexec_b64 s[22:23], vcc
	s_cbranch_execz .LBB469_500
; %bb.499:
	v_and_b32_e32 v20, 7, v18
	v_ffbh_u32_e32 v24, v20
	v_min_u32_e32 v26, 32, v24
	v_subrev_u32_e32 v24, 28, v26
	v_lshlrev_b64 v[24:25], v24, v[18:19]
	v_lshrrev_b32_e32 v23, 3, v19
	v_sub_u32_e32 v18, 29, v26
	v_and_b32_e32 v24, 7, v24
	v_cmp_gt_u32_e32 vcc, 8, v19
	v_cndmask_b32_e32 v18, v23, v18, vcc
	v_cndmask_b32_e32 v19, v20, v24, vcc
	v_lshlrev_b32_e32 v20, 16, v14
	v_bfrev_b32_e32 v23, 60
	v_lshlrev_b32_e32 v19, 20, v19
	v_and_b32_e32 v20, 0x80000000, v20
	v_lshl_add_u32 v18, v18, 23, v23
	v_or3_b32 v23, v20, v18, v19
.LBB469_500:
	s_or_b64 exec, exec, s[22:23]
.LBB469_501:
	s_or_b64 exec, exec, s[20:21]
.LBB469_502:
	s_or_b64 exec, exec, s[10:11]
	s_movk_i32 s10, 0xff
	v_and_b32_sdwa v19, v14, s10 dst_sel:DWORD dst_unused:UNUSED_PAD src0_sel:WORD_1 src1_sel:DWORD
	v_lshrrev_b32_e32 v18, 16, v14
	v_cmp_ne_u16_e32 vcc, 0, v19
	s_and_saveexec_b64 s[10:11], vcc
	s_cbranch_execz .LBB469_508
; %bb.503:
	s_movk_i32 s20, 0x80
	v_cmp_ne_u16_e32 vcc, s20, v19
	v_bfrev_b32_e32 v21, 1
	s_and_saveexec_b64 s[20:21], vcc
	s_cbranch_execz .LBB469_507
; %bb.504:
	v_bfe_u32 v19, v14, 16, 7
	s_movk_i32 s22, 0x7f
	v_cmp_ne_u32_e32 vcc, s22, v19
	v_mov_b32_e32 v21, 0x7f800001
	s_and_saveexec_b64 s[22:23], vcc
	s_cbranch_execz .LBB469_506
; %bb.505:
	v_and_b32_e32 v24, 7, v18
	v_ffbh_u32_e32 v20, v24
	v_min_u32_e32 v26, 32, v20
	v_subrev_u32_e32 v20, 28, v26
	v_lshlrev_b64 v[20:21], v20, v[18:19]
	v_and_b32_e32 v20, 7, v20
	v_cmp_gt_u32_e32 vcc, 8, v19
	v_lshrrev_b32_e32 v25, 3, v19
	v_sub_u32_e32 v18, 29, v26
	v_cndmask_b32_e32 v19, v24, v20, vcc
	v_mov_b32_e32 v20, 24
	v_cndmask_b32_e32 v18, v25, v18, vcc
	v_lshlrev_b32_sdwa v20, v20, v14 dst_sel:DWORD dst_unused:UNUSED_PAD src0_sel:DWORD src1_sel:WORD_1
	v_bfrev_b32_e32 v21, 60
	v_lshlrev_b32_e32 v19, 20, v19
	v_and_b32_e32 v20, 0x80000000, v20
	v_lshl_add_u32 v18, v18, 23, v21
	v_or3_b32 v21, v20, v18, v19
.LBB469_506:
	s_or_b64 exec, exec, s[22:23]
.LBB469_507:
	s_or_b64 exec, exec, s[20:21]
.LBB469_508:
	s_or_b64 exec, exec, s[10:11]
	s_mov_b32 s10, 0xffffff
	v_cmp_lt_u32_e32 vcc, s10, v14
	v_mov_b32_e32 v19, 0
	v_mov_b32_e32 v24, 0
	s_and_saveexec_b64 s[10:11], vcc
	s_cbranch_execz .LBB469_514
; %bb.509:
	v_lshrrev_b32_e32 v18, 24, v14
	s_movk_i32 s20, 0x80
	v_cmp_ne_u32_e32 vcc, s20, v18
	v_bfrev_b32_e32 v24, 1
	s_and_saveexec_b64 s[20:21], vcc
	s_cbranch_execz .LBB469_513
; %bb.510:
	v_bfe_u32 v20, v14, 24, 7
	s_movk_i32 s22, 0x7f
	v_cmp_ne_u32_e32 vcc, s22, v20
	v_mov_b32_e32 v24, 0x7f800001
	s_and_saveexec_b64 s[22:23], vcc
	s_cbranch_execz .LBB469_512
; %bb.511:
	v_and_b32_e32 v26, 7, v18
	v_ffbh_u32_e32 v24, v26
	v_min_u32_e32 v28, 32, v24
	v_subrev_u32_e32 v24, 28, v28
	v_lshlrev_b64 v[24:25], v24, v[18:19]
	v_lshrrev_b32_e32 v27, 3, v20
	v_sub_u32_e32 v25, 29, v28
	v_and_b32_e32 v24, 7, v24
	v_cmp_gt_u32_e32 vcc, 8, v20
	v_cndmask_b32_e32 v20, v27, v25, vcc
	v_cndmask_b32_e32 v24, v26, v24, vcc
	v_lshlrev_b32_e32 v18, 24, v18
	v_bfrev_b32_e32 v25, 60
	v_lshlrev_b32_e32 v24, 20, v24
	v_and_b32_e32 v18, 0x80000000, v18
	v_lshl_add_u32 v20, v20, 23, v25
	v_or3_b32 v24, v18, v20, v24
.LBB469_512:
	s_or_b64 exec, exec, s[22:23]
.LBB469_513:
	s_or_b64 exec, exec, s[20:21]
.LBB469_514:
	s_or_b64 exec, exec, s[10:11]
	v_mov_b32_e32 v18, v15
	v_cmp_ne_u16_sdwa s[20:21], v15, v19 src0_sel:BYTE_0 src1_sel:DWORD
	s_and_saveexec_b64 s[10:11], s[20:21]
	s_cbranch_execz .LBB469_520
; %bb.515:
	s_movk_i32 s20, 0x80
	v_cmp_ne_u16_sdwa s[22:23], v15, s20 src0_sel:BYTE_0 src1_sel:DWORD
	v_bfrev_b32_e32 v20, 1
	s_and_saveexec_b64 s[20:21], s[22:23]
	s_cbranch_execz .LBB469_519
; %bb.516:
	s_movk_i32 s22, 0x7f
	v_and_b32_e32 v25, 0x7f, v15
	v_cmp_ne_u32_e32 vcc, s22, v25
	v_mov_b32_e32 v20, 0x7f800001
	s_and_saveexec_b64 s[22:23], vcc
	s_cbranch_execz .LBB469_518
; %bb.517:
	v_and_b32_e32 v20, 7, v15
	v_ffbh_u32_e32 v20, v20
	v_min_u32_e32 v20, 32, v20
	v_subrev_u32_e32 v27, 28, v20
	v_cmp_gt_u32_e32 vcc, 8, v25
	v_lshrrev_b32_e32 v26, 3, v25
	v_sub_u32_e32 v20, 29, v20
	v_cndmask_b32_e32 v25, 0, v27, vcc
	v_cndmask_b32_e32 v20, v26, v20, vcc
	v_lshlrev_b64 v[26:27], v25, v[18:19]
	v_lshlrev_b32_e32 v19, 20, v26
	v_lshlrev_b32_e32 v25, 24, v18
	v_bfrev_b32_e32 v26, 60
	v_and_b32_e32 v19, 0x700000, v19
	v_and_b32_e32 v25, 0x80000000, v25
	v_lshl_add_u32 v20, v20, 23, v26
	v_or3_b32 v20, v25, v20, v19
.LBB469_518:
	s_or_b64 exec, exec, s[22:23]
.LBB469_519:
	s_or_b64 exec, exec, s[20:21]
	v_mov_b32_e32 v19, v20
.LBB469_520:
	s_or_b64 exec, exec, s[10:11]
	v_lshrrev_b16_e32 v20, 8, v18
	v_cmp_ne_u16_e32 vcc, 0, v20
	v_mov_b32_e32 v25, 0
	v_mov_b32_e32 v26, 0
	s_and_saveexec_b64 s[10:11], vcc
	s_cbranch_execz .LBB469_526
; %bb.521:
	s_movk_i32 s20, 0x80
	v_cmp_ne_u16_e32 vcc, s20, v20
	v_bfrev_b32_e32 v26, 1
	s_and_saveexec_b64 s[20:21], vcc
	s_cbranch_execz .LBB469_525
; %bb.522:
	s_movk_i32 s22, 0x7f
	v_and_b32_e32 v27, 0x7f, v20
	v_cmp_ne_u32_e32 vcc, s22, v27
	v_mov_b32_e32 v26, 0x7f800001
	s_and_saveexec_b64 s[22:23], vcc
	s_cbranch_execz .LBB469_524
; %bb.523:
	v_and_b32_e32 v26, 7, v20
	v_ffbh_u32_e32 v28, v26
	v_min_u32_e32 v31, 32, v28
	v_subrev_u32_e32 v28, 28, v31
	v_lshlrev_b64 v[28:29], v28, v[20:21]
	v_lshrrev_b32_e32 v30, 3, v27
	v_sub_u32_e32 v20, 29, v31
	v_and_b32_e32 v28, 7, v28
	v_cmp_gt_u32_e32 vcc, 8, v27
	v_cndmask_b32_e32 v20, v30, v20, vcc
	v_cndmask_b32_e32 v26, v26, v28, vcc
	v_lshlrev_b32_e32 v18, 16, v18
	v_bfrev_b32_e32 v27, 60
	v_lshlrev_b32_e32 v26, 20, v26
	v_and_b32_e32 v18, 0x80000000, v18
	v_lshl_add_u32 v20, v20, 23, v27
	v_or3_b32 v26, v18, v20, v26
.LBB469_524:
	s_or_b64 exec, exec, s[22:23]
.LBB469_525:
	s_or_b64 exec, exec, s[20:21]
.LBB469_526:
	s_or_b64 exec, exec, s[10:11]
	s_movk_i32 s10, 0xff
	v_and_b32_sdwa v20, v15, s10 dst_sel:DWORD dst_unused:UNUSED_PAD src0_sel:WORD_1 src1_sel:DWORD
	v_lshrrev_b32_e32 v18, 16, v15
	v_cmp_ne_u16_e32 vcc, 0, v20
	s_and_saveexec_b64 s[10:11], vcc
	s_cbranch_execz .LBB469_532
; %bb.527:
	s_movk_i32 s20, 0x80
	v_cmp_ne_u16_e32 vcc, s20, v20
	v_bfrev_b32_e32 v25, 1
	s_and_saveexec_b64 s[20:21], vcc
	s_cbranch_execz .LBB469_531
; %bb.528:
	v_bfe_u32 v20, v15, 16, 7
	s_movk_i32 s22, 0x7f
	v_cmp_ne_u32_e32 vcc, s22, v20
	v_mov_b32_e32 v25, 0x7f800001
	s_and_saveexec_b64 s[22:23], vcc
	s_cbranch_execz .LBB469_530
; %bb.529:
	v_and_b32_e32 v25, 7, v18
	v_ffbh_u32_e32 v28, v25
	v_min_u32_e32 v30, 32, v28
	v_subrev_u32_e32 v28, 28, v30
	v_lshlrev_b64 v[28:29], v28, v[18:19]
	v_and_b32_e32 v28, 7, v28
	v_cmp_gt_u32_e32 vcc, 8, v20
	v_lshrrev_b32_e32 v27, 3, v20
	v_sub_u32_e32 v18, 29, v30
	v_cndmask_b32_e32 v20, v25, v28, vcc
	v_mov_b32_e32 v25, 24
	v_cndmask_b32_e32 v18, v27, v18, vcc
	v_lshlrev_b32_sdwa v25, v25, v15 dst_sel:DWORD dst_unused:UNUSED_PAD src0_sel:DWORD src1_sel:WORD_1
	v_bfrev_b32_e32 v27, 60
	v_lshlrev_b32_e32 v20, 20, v20
	v_and_b32_e32 v25, 0x80000000, v25
	v_lshl_add_u32 v18, v18, 23, v27
	v_or3_b32 v25, v25, v18, v20
.LBB469_530:
	s_or_b64 exec, exec, s[22:23]
.LBB469_531:
	s_or_b64 exec, exec, s[20:21]
.LBB469_532:
	s_or_b64 exec, exec, s[10:11]
	s_mov_b32 s10, -1
	s_mov_b32 s11, 0xffffff
	v_cmp_lt_u64_e32 vcc, s[10:11], v[14:15]
	v_mov_b32_e32 v20, 0
	v_mov_b32_e32 v18, 0
	s_and_saveexec_b64 s[10:11], vcc
	s_cbranch_execz .LBB469_538
; %bb.533:
	v_lshrrev_b32_e32 v14, 24, v15
	s_movk_i32 s20, 0x80
	v_cmp_ne_u32_e32 vcc, s20, v14
	v_bfrev_b32_e32 v18, 1
	s_and_saveexec_b64 s[20:21], vcc
	s_cbranch_execz .LBB469_537
; %bb.534:
	v_bfe_u32 v15, v15, 24, 7
	s_movk_i32 s22, 0x7f
	v_cmp_ne_u32_e32 vcc, s22, v15
	v_mov_b32_e32 v18, 0x7f800001
	s_and_saveexec_b64 s[22:23], vcc
	s_cbranch_execz .LBB469_536
; %bb.535:
	v_and_b32_e32 v18, 7, v14
	v_ffbh_u32_e32 v28, v18
	v_min_u32_e32 v30, 32, v28
	v_subrev_u32_e32 v28, 28, v30
	v_lshlrev_b64 v[28:29], v28, v[14:15]
	v_lshrrev_b32_e32 v27, 3, v15
	v_sub_u32_e32 v29, 29, v30
	v_and_b32_e32 v28, 7, v28
	v_cmp_gt_u32_e32 vcc, 8, v15
	v_cndmask_b32_e32 v15, v27, v29, vcc
	v_cndmask_b32_e32 v18, v18, v28, vcc
	v_lshlrev_b32_e32 v14, 24, v14
	v_bfrev_b32_e32 v27, 60
	v_lshlrev_b32_e32 v18, 20, v18
	v_and_b32_e32 v14, 0x80000000, v14
	v_lshl_add_u32 v15, v15, 23, v27
	v_or3_b32 v18, v14, v15, v18
.LBB469_536:
	s_or_b64 exec, exec, s[22:23]
.LBB469_537:
	s_or_b64 exec, exec, s[20:21]
.LBB469_538:
	s_or_b64 exec, exec, s[10:11]
	v_cvt_pkrtz_f16_f32 v14, v22, v23
	v_cvt_pkrtz_f16_f32 v15, v21, v24
	;; [unrolled: 1-line block ×4, first 2 shown]
	v_mfma_f32_4x4x4f16 a[0:3], v[2:3], v[14:15], a[0:3] cbsz:4 abid:10
	v_cmp_ne_u16_sdwa s[20:21], v16, v20 src0_sel:BYTE_0 src1_sel:DWORD
	v_mfma_f32_4x4x4f16 a[0:3], v[4:5], v[22:23], a[0:3] cbsz:4 abid:10
	s_and_saveexec_b64 s[10:11], s[20:21]
	s_cbranch_execz .LBB469_544
; %bb.539:
	s_movk_i32 s20, 0x80
	v_cmp_ne_u16_sdwa s[22:23], v16, s20 src0_sel:BYTE_0 src1_sel:DWORD
	v_bfrev_b32_e32 v20, 1
	s_and_saveexec_b64 s[20:21], s[22:23]
	s_cbranch_execz .LBB469_543
; %bb.540:
	s_movk_i32 s22, 0x7f
	v_and_b32_e32 v14, 0x7f, v16
	v_cmp_ne_u32_e32 vcc, s22, v14
	v_mov_b32_e32 v20, 0x7f800001
	s_and_saveexec_b64 s[22:23], vcc
	s_cbranch_execz .LBB469_542
; %bb.541:
	v_and_b32_e32 v15, 7, v16
	v_ffbh_u32_e32 v15, v15
	v_min_u32_e32 v15, 32, v15
	v_subrev_u32_e32 v19, 28, v15
	v_cmp_gt_u32_e32 vcc, 8, v14
	v_lshrrev_b32_e32 v18, 3, v14
	v_sub_u32_e32 v15, 29, v15
	v_cndmask_b32_e32 v14, 0, v19, vcc
	v_cndmask_b32_e32 v18, v18, v15, vcc
	v_lshlrev_b64 v[14:15], v14, v[16:17]
	v_lshlrev_b32_e32 v14, 20, v14
	v_lshlrev_b32_e32 v15, 24, v16
	v_bfrev_b32_e32 v19, 60
	v_and_b32_e32 v14, 0x700000, v14
	v_and_b32_e32 v15, 0x80000000, v15
	v_lshl_add_u32 v18, v18, 23, v19
	v_or3_b32 v20, v15, v18, v14
.LBB469_542:
	s_or_b64 exec, exec, s[22:23]
.LBB469_543:
	s_or_b64 exec, exec, s[20:21]
.LBB469_544:
	s_or_b64 exec, exec, s[10:11]
	v_lshrrev_b16_e32 v14, 8, v16
	v_cmp_ne_u16_e32 vcc, 0, v14
	v_mov_b32_e32 v19, 0
	v_mov_b32_e32 v21, 0
	s_and_saveexec_b64 s[10:11], vcc
	s_cbranch_execz .LBB469_550
; %bb.545:
	s_movk_i32 s20, 0x80
	v_cmp_ne_u16_e32 vcc, s20, v14
	v_bfrev_b32_e32 v21, 1
	s_and_saveexec_b64 s[20:21], vcc
	s_cbranch_execz .LBB469_549
; %bb.546:
	s_movk_i32 s22, 0x7f
	v_and_b32_e32 v15, 0x7f, v14
	v_cmp_ne_u32_e32 vcc, s22, v15
	v_mov_b32_e32 v21, 0x7f800001
	s_and_saveexec_b64 s[22:23], vcc
	s_cbranch_execz .LBB469_548
; %bb.547:
	v_and_b32_e32 v18, 7, v14
	v_ffbh_u32_e32 v22, v18
	v_min_u32_e32 v24, 32, v22
	v_subrev_u32_e32 v22, 28, v24
	v_lshlrev_b64 v[22:23], v22, v[14:15]
	v_lshrrev_b32_e32 v21, 3, v15
	v_sub_u32_e32 v14, 29, v24
	v_and_b32_e32 v22, 7, v22
	v_cmp_gt_u32_e32 vcc, 8, v15
	v_cndmask_b32_e32 v14, v21, v14, vcc
	v_cndmask_b32_e32 v15, v18, v22, vcc
	v_lshlrev_b32_e32 v18, 16, v16
	v_bfrev_b32_e32 v21, 60
	v_lshlrev_b32_e32 v15, 20, v15
	v_and_b32_e32 v18, 0x80000000, v18
	v_lshl_add_u32 v14, v14, 23, v21
	v_or3_b32 v21, v18, v14, v15
.LBB469_548:
	s_or_b64 exec, exec, s[22:23]
.LBB469_549:
	s_or_b64 exec, exec, s[20:21]
.LBB469_550:
	s_or_b64 exec, exec, s[10:11]
	s_movk_i32 s10, 0xff
	v_and_b32_sdwa v15, v16, s10 dst_sel:DWORD dst_unused:UNUSED_PAD src0_sel:WORD_1 src1_sel:DWORD
	v_lshrrev_b32_e32 v14, 16, v16
	v_cmp_ne_u16_e32 vcc, 0, v15
	s_and_saveexec_b64 s[10:11], vcc
	s_cbranch_execz .LBB469_556
; %bb.551:
	s_movk_i32 s20, 0x80
	v_cmp_ne_u16_e32 vcc, s20, v15
	v_bfrev_b32_e32 v19, 1
	s_and_saveexec_b64 s[20:21], vcc
	s_cbranch_execz .LBB469_555
; %bb.552:
	v_bfe_u32 v15, v16, 16, 7
	s_movk_i32 s22, 0x7f
	v_cmp_ne_u32_e32 vcc, s22, v15
	v_mov_b32_e32 v19, 0x7f800001
	s_and_saveexec_b64 s[22:23], vcc
	s_cbranch_execz .LBB469_554
; %bb.553:
	v_and_b32_e32 v22, 7, v14
	v_ffbh_u32_e32 v18, v22
	v_min_u32_e32 v24, 32, v18
	v_subrev_u32_e32 v18, 28, v24
	v_lshlrev_b64 v[18:19], v18, v[14:15]
	v_and_b32_e32 v18, 7, v18
	v_cmp_gt_u32_e32 vcc, 8, v15
	v_lshrrev_b32_e32 v23, 3, v15
	v_sub_u32_e32 v14, 29, v24
	v_cndmask_b32_e32 v15, v22, v18, vcc
	v_mov_b32_e32 v18, 24
	v_cndmask_b32_e32 v14, v23, v14, vcc
	v_lshlrev_b32_sdwa v18, v18, v16 dst_sel:DWORD dst_unused:UNUSED_PAD src0_sel:DWORD src1_sel:WORD_1
	v_bfrev_b32_e32 v19, 60
	v_lshlrev_b32_e32 v15, 20, v15
	v_and_b32_e32 v18, 0x80000000, v18
	v_lshl_add_u32 v14, v14, 23, v19
	v_or3_b32 v19, v18, v14, v15
.LBB469_554:
	s_or_b64 exec, exec, s[22:23]
.LBB469_555:
	s_or_b64 exec, exec, s[20:21]
.LBB469_556:
	s_or_b64 exec, exec, s[10:11]
	s_mov_b32 s10, 0xffffff
	v_cmp_lt_u32_e32 vcc, s10, v16
	v_mov_b32_e32 v15, 0
	v_mov_b32_e32 v22, 0
	s_and_saveexec_b64 s[10:11], vcc
	s_cbranch_execz .LBB469_562
; %bb.557:
	v_lshrrev_b32_e32 v14, 24, v16
	s_movk_i32 s20, 0x80
	v_cmp_ne_u32_e32 vcc, s20, v14
	v_bfrev_b32_e32 v22, 1
	s_and_saveexec_b64 s[20:21], vcc
	s_cbranch_execz .LBB469_561
; %bb.558:
	v_bfe_u32 v18, v16, 24, 7
	s_movk_i32 s22, 0x7f
	v_cmp_ne_u32_e32 vcc, s22, v18
	v_mov_b32_e32 v22, 0x7f800001
	s_and_saveexec_b64 s[22:23], vcc
	s_cbranch_execz .LBB469_560
; %bb.559:
	v_and_b32_e32 v24, 7, v14
	v_ffbh_u32_e32 v22, v24
	v_min_u32_e32 v26, 32, v22
	v_subrev_u32_e32 v22, 28, v26
	v_lshlrev_b64 v[22:23], v22, v[14:15]
	v_lshrrev_b32_e32 v25, 3, v18
	v_sub_u32_e32 v23, 29, v26
	v_and_b32_e32 v22, 7, v22
	v_cmp_gt_u32_e32 vcc, 8, v18
	v_cndmask_b32_e32 v18, v25, v23, vcc
	v_cndmask_b32_e32 v22, v24, v22, vcc
	v_lshlrev_b32_e32 v14, 24, v14
	v_bfrev_b32_e32 v23, 60
	v_lshlrev_b32_e32 v22, 20, v22
	v_and_b32_e32 v14, 0x80000000, v14
	v_lshl_add_u32 v18, v18, 23, v23
	v_or3_b32 v22, v14, v18, v22
.LBB469_560:
	s_or_b64 exec, exec, s[22:23]
.LBB469_561:
	s_or_b64 exec, exec, s[20:21]
.LBB469_562:
	s_or_b64 exec, exec, s[10:11]
	v_mov_b32_e32 v14, v17
	v_cmp_ne_u16_sdwa s[20:21], v17, v15 src0_sel:BYTE_0 src1_sel:DWORD
	s_and_saveexec_b64 s[10:11], s[20:21]
	s_cbranch_execz .LBB469_568
; %bb.563:
	s_movk_i32 s20, 0x80
	v_cmp_ne_u16_sdwa s[22:23], v17, s20 src0_sel:BYTE_0 src1_sel:DWORD
	v_bfrev_b32_e32 v18, 1
	s_and_saveexec_b64 s[20:21], s[22:23]
	s_cbranch_execz .LBB469_567
; %bb.564:
	s_movk_i32 s22, 0x7f
	v_and_b32_e32 v23, 0x7f, v17
	v_cmp_ne_u32_e32 vcc, s22, v23
	v_mov_b32_e32 v18, 0x7f800001
	s_and_saveexec_b64 s[22:23], vcc
	s_cbranch_execz .LBB469_566
; %bb.565:
	v_and_b32_e32 v18, 7, v17
	v_ffbh_u32_e32 v18, v18
	v_min_u32_e32 v18, 32, v18
	v_subrev_u32_e32 v25, 28, v18
	v_cmp_gt_u32_e32 vcc, 8, v23
	v_lshrrev_b32_e32 v24, 3, v23
	v_sub_u32_e32 v18, 29, v18
	v_cndmask_b32_e32 v23, 0, v25, vcc
	v_cndmask_b32_e32 v18, v24, v18, vcc
	v_lshlrev_b64 v[24:25], v23, v[14:15]
	v_lshlrev_b32_e32 v15, 20, v24
	v_lshlrev_b32_e32 v23, 24, v14
	v_bfrev_b32_e32 v24, 60
	v_and_b32_e32 v15, 0x700000, v15
	v_and_b32_e32 v23, 0x80000000, v23
	v_lshl_add_u32 v18, v18, 23, v24
	v_or3_b32 v18, v23, v18, v15
.LBB469_566:
	s_or_b64 exec, exec, s[22:23]
.LBB469_567:
	s_or_b64 exec, exec, s[20:21]
	v_mov_b32_e32 v15, v18
.LBB469_568:
	s_or_b64 exec, exec, s[10:11]
	v_lshrrev_b16_e32 v18, 8, v14
	v_cmp_ne_u16_e32 vcc, 0, v18
	v_mov_b32_e32 v23, 0
	v_mov_b32_e32 v24, 0
	s_and_saveexec_b64 s[10:11], vcc
	s_cbranch_execz .LBB469_574
; %bb.569:
	s_movk_i32 s20, 0x80
	v_cmp_ne_u16_e32 vcc, s20, v18
	v_bfrev_b32_e32 v24, 1
	s_and_saveexec_b64 s[20:21], vcc
	s_cbranch_execz .LBB469_573
; %bb.570:
	s_movk_i32 s22, 0x7f
	v_and_b32_e32 v25, 0x7f, v18
	v_cmp_ne_u32_e32 vcc, s22, v25
	v_mov_b32_e32 v24, 0x7f800001
	s_and_saveexec_b64 s[22:23], vcc
	s_cbranch_execz .LBB469_572
; %bb.571:
	v_and_b32_e32 v24, 7, v18
	v_ffbh_u32_e32 v26, v24
	v_min_u32_e32 v29, 32, v26
	v_subrev_u32_e32 v26, 28, v29
	v_lshlrev_b64 v[26:27], v26, v[18:19]
	v_lshrrev_b32_e32 v28, 3, v25
	v_sub_u32_e32 v18, 29, v29
	v_and_b32_e32 v26, 7, v26
	v_cmp_gt_u32_e32 vcc, 8, v25
	v_cndmask_b32_e32 v18, v28, v18, vcc
	v_cndmask_b32_e32 v24, v24, v26, vcc
	v_lshlrev_b32_e32 v14, 16, v14
	v_bfrev_b32_e32 v25, 60
	v_lshlrev_b32_e32 v24, 20, v24
	v_and_b32_e32 v14, 0x80000000, v14
	v_lshl_add_u32 v18, v18, 23, v25
	v_or3_b32 v24, v14, v18, v24
.LBB469_572:
	s_or_b64 exec, exec, s[22:23]
.LBB469_573:
	s_or_b64 exec, exec, s[20:21]
.LBB469_574:
	s_or_b64 exec, exec, s[10:11]
	s_movk_i32 s10, 0xff
	v_and_b32_sdwa v18, v17, s10 dst_sel:DWORD dst_unused:UNUSED_PAD src0_sel:WORD_1 src1_sel:DWORD
	v_lshrrev_b32_e32 v14, 16, v17
	v_cmp_ne_u16_e32 vcc, 0, v18
	s_and_saveexec_b64 s[10:11], vcc
	s_cbranch_execz .LBB469_580
; %bb.575:
	s_movk_i32 s20, 0x80
	v_cmp_ne_u16_e32 vcc, s20, v18
	v_bfrev_b32_e32 v23, 1
	s_and_saveexec_b64 s[20:21], vcc
	s_cbranch_execz .LBB469_579
; %bb.576:
	v_bfe_u32 v18, v17, 16, 7
	s_movk_i32 s22, 0x7f
	v_cmp_ne_u32_e32 vcc, s22, v18
	v_mov_b32_e32 v23, 0x7f800001
	s_and_saveexec_b64 s[22:23], vcc
	s_cbranch_execz .LBB469_578
; %bb.577:
	v_and_b32_e32 v23, 7, v14
	v_ffbh_u32_e32 v26, v23
	v_min_u32_e32 v28, 32, v26
	v_subrev_u32_e32 v26, 28, v28
	v_lshlrev_b64 v[26:27], v26, v[14:15]
	v_and_b32_e32 v26, 7, v26
	v_cmp_gt_u32_e32 vcc, 8, v18
	v_lshrrev_b32_e32 v25, 3, v18
	v_sub_u32_e32 v14, 29, v28
	v_cndmask_b32_e32 v18, v23, v26, vcc
	v_mov_b32_e32 v23, 24
	v_cndmask_b32_e32 v14, v25, v14, vcc
	v_lshlrev_b32_sdwa v23, v23, v17 dst_sel:DWORD dst_unused:UNUSED_PAD src0_sel:DWORD src1_sel:WORD_1
	v_bfrev_b32_e32 v25, 60
	v_lshlrev_b32_e32 v18, 20, v18
	v_and_b32_e32 v23, 0x80000000, v23
	v_lshl_add_u32 v14, v14, 23, v25
	v_or3_b32 v23, v23, v14, v18
.LBB469_578:
	s_or_b64 exec, exec, s[22:23]
.LBB469_579:
	s_or_b64 exec, exec, s[20:21]
.LBB469_580:
	s_or_b64 exec, exec, s[10:11]
	s_mov_b32 s10, -1
	s_mov_b32 s11, 0xffffff
	v_cmp_lt_u64_e32 vcc, s[10:11], v[16:17]
	v_mov_b32_e32 v18, 0
	v_mov_b32_e32 v16, 0
	s_and_saveexec_b64 s[10:11], vcc
	s_cbranch_execz .LBB469_586
; %bb.581:
	v_lshrrev_b32_e32 v14, 24, v17
	s_movk_i32 s20, 0x80
	v_cmp_ne_u32_e32 vcc, s20, v14
	v_bfrev_b32_e32 v16, 1
	s_and_saveexec_b64 s[20:21], vcc
	s_cbranch_execz .LBB469_585
; %bb.582:
	v_bfe_u32 v17, v17, 24, 7
	s_movk_i32 s22, 0x7f
	v_cmp_ne_u32_e32 vcc, s22, v17
	v_mov_b32_e32 v16, 0x7f800001
	s_and_saveexec_b64 s[22:23], vcc
	s_cbranch_execz .LBB469_584
; %bb.583:
	v_and_b32_e32 v16, 7, v14
	v_ffbh_u32_e32 v26, v16
	v_min_u32_e32 v28, 32, v26
	v_subrev_u32_e32 v26, 28, v28
	v_lshlrev_b64 v[26:27], v26, v[14:15]
	v_lshrrev_b32_e32 v25, 3, v17
	v_sub_u32_e32 v27, 29, v28
	v_and_b32_e32 v26, 7, v26
	v_cmp_gt_u32_e32 vcc, 8, v17
	v_cndmask_b32_e32 v17, v25, v27, vcc
	v_cndmask_b32_e32 v16, v16, v26, vcc
	v_lshlrev_b32_e32 v14, 24, v14
	v_bfrev_b32_e32 v25, 60
	v_lshlrev_b32_e32 v16, 20, v16
	v_and_b32_e32 v14, 0x80000000, v14
	v_lshl_add_u32 v17, v17, 23, v25
	v_or3_b32 v16, v14, v17, v16
.LBB469_584:
	s_or_b64 exec, exec, s[22:23]
.LBB469_585:
	s_or_b64 exec, exec, s[20:21]
.LBB469_586:
	s_or_b64 exec, exec, s[10:11]
	v_cvt_pkrtz_f16_f32 v20, v20, v21
	v_cvt_pkrtz_f16_f32 v21, v19, v22
	;; [unrolled: 1-line block ×4, first 2 shown]
	v_mfma_f32_4x4x4f16 a[0:3], v[2:3], v[20:21], a[0:3] cbsz:4 abid:11
	s_waitcnt vmcnt(18)
	v_cmp_ne_u16_sdwa s[20:21], v10, v18 src0_sel:BYTE_0 src1_sel:DWORD
	v_mfma_f32_4x4x4f16 a[0:3], v[4:5], v[14:15], a[0:3] cbsz:4 abid:11
	s_and_saveexec_b64 s[10:11], s[20:21]
	s_cbranch_execz .LBB469_592
; %bb.587:
	s_movk_i32 s20, 0x80
	v_cmp_ne_u16_sdwa s[22:23], v10, s20 src0_sel:BYTE_0 src1_sel:DWORD
	v_bfrev_b32_e32 v18, 1
	s_and_saveexec_b64 s[20:21], s[22:23]
	s_cbranch_execz .LBB469_591
; %bb.588:
	s_movk_i32 s22, 0x7f
	v_and_b32_e32 v14, 0x7f, v10
	v_cmp_ne_u32_e32 vcc, s22, v14
	v_mov_b32_e32 v18, 0x7f800001
	s_and_saveexec_b64 s[22:23], vcc
	s_cbranch_execz .LBB469_590
; %bb.589:
	v_and_b32_e32 v15, 7, v10
	v_ffbh_u32_e32 v15, v15
	v_min_u32_e32 v15, 32, v15
	v_subrev_u32_e32 v17, 28, v15
	v_cmp_gt_u32_e32 vcc, 8, v14
	v_lshrrev_b32_e32 v16, 3, v14
	v_sub_u32_e32 v15, 29, v15
	v_cndmask_b32_e32 v14, 0, v17, vcc
	v_cndmask_b32_e32 v16, v16, v15, vcc
	v_lshlrev_b64 v[14:15], v14, v[10:11]
	v_lshlrev_b32_e32 v14, 20, v14
	v_lshlrev_b32_e32 v15, 24, v10
	v_bfrev_b32_e32 v17, 60
	v_and_b32_e32 v14, 0x700000, v14
	v_and_b32_e32 v15, 0x80000000, v15
	v_lshl_add_u32 v16, v16, 23, v17
	v_or3_b32 v18, v15, v16, v14
.LBB469_590:
	s_or_b64 exec, exec, s[22:23]
.LBB469_591:
	s_or_b64 exec, exec, s[20:21]
.LBB469_592:
	s_or_b64 exec, exec, s[10:11]
	v_lshrrev_b16_e32 v14, 8, v10
	v_cmp_ne_u16_e32 vcc, 0, v14
	v_mov_b32_e32 v17, 0
	v_mov_b32_e32 v19, 0
	s_and_saveexec_b64 s[10:11], vcc
	s_cbranch_execz .LBB469_598
; %bb.593:
	s_movk_i32 s20, 0x80
	v_cmp_ne_u16_e32 vcc, s20, v14
	v_bfrev_b32_e32 v19, 1
	s_and_saveexec_b64 s[20:21], vcc
	s_cbranch_execz .LBB469_597
; %bb.594:
	s_movk_i32 s22, 0x7f
	v_and_b32_e32 v15, 0x7f, v14
	v_cmp_ne_u32_e32 vcc, s22, v15
	v_mov_b32_e32 v19, 0x7f800001
	s_and_saveexec_b64 s[22:23], vcc
	s_cbranch_execz .LBB469_596
; %bb.595:
	v_and_b32_e32 v16, 7, v14
	v_ffbh_u32_e32 v20, v16
	v_min_u32_e32 v22, 32, v20
	v_subrev_u32_e32 v20, 28, v22
	v_lshlrev_b64 v[20:21], v20, v[14:15]
	v_lshrrev_b32_e32 v19, 3, v15
	v_sub_u32_e32 v14, 29, v22
	v_and_b32_e32 v20, 7, v20
	v_cmp_gt_u32_e32 vcc, 8, v15
	v_cndmask_b32_e32 v14, v19, v14, vcc
	v_cndmask_b32_e32 v15, v16, v20, vcc
	v_lshlrev_b32_e32 v16, 16, v10
	v_bfrev_b32_e32 v19, 60
	v_lshlrev_b32_e32 v15, 20, v15
	v_and_b32_e32 v16, 0x80000000, v16
	v_lshl_add_u32 v14, v14, 23, v19
	v_or3_b32 v19, v16, v14, v15
.LBB469_596:
	s_or_b64 exec, exec, s[22:23]
.LBB469_597:
	s_or_b64 exec, exec, s[20:21]
.LBB469_598:
	s_or_b64 exec, exec, s[10:11]
	s_movk_i32 s10, 0xff
	v_and_b32_sdwa v15, v10, s10 dst_sel:DWORD dst_unused:UNUSED_PAD src0_sel:WORD_1 src1_sel:DWORD
	v_lshrrev_b32_e32 v14, 16, v10
	v_cmp_ne_u16_e32 vcc, 0, v15
	s_and_saveexec_b64 s[10:11], vcc
	s_cbranch_execz .LBB469_604
; %bb.599:
	s_movk_i32 s20, 0x80
	v_cmp_ne_u16_e32 vcc, s20, v15
	v_bfrev_b32_e32 v17, 1
	s_and_saveexec_b64 s[20:21], vcc
	s_cbranch_execz .LBB469_603
; %bb.600:
	v_bfe_u32 v15, v10, 16, 7
	s_movk_i32 s22, 0x7f
	v_cmp_ne_u32_e32 vcc, s22, v15
	v_mov_b32_e32 v17, 0x7f800001
	s_and_saveexec_b64 s[22:23], vcc
	s_cbranch_execz .LBB469_602
; %bb.601:
	v_and_b32_e32 v20, 7, v14
	v_ffbh_u32_e32 v16, v20
	v_min_u32_e32 v22, 32, v16
	v_subrev_u32_e32 v16, 28, v22
	v_lshlrev_b64 v[16:17], v16, v[14:15]
	v_and_b32_e32 v16, 7, v16
	v_cmp_gt_u32_e32 vcc, 8, v15
	v_lshrrev_b32_e32 v21, 3, v15
	v_sub_u32_e32 v14, 29, v22
	v_cndmask_b32_e32 v15, v20, v16, vcc
	v_mov_b32_e32 v16, 24
	v_cndmask_b32_e32 v14, v21, v14, vcc
	v_lshlrev_b32_sdwa v16, v16, v10 dst_sel:DWORD dst_unused:UNUSED_PAD src0_sel:DWORD src1_sel:WORD_1
	v_bfrev_b32_e32 v17, 60
	v_lshlrev_b32_e32 v15, 20, v15
	v_and_b32_e32 v16, 0x80000000, v16
	v_lshl_add_u32 v14, v14, 23, v17
	v_or3_b32 v17, v16, v14, v15
.LBB469_602:
	s_or_b64 exec, exec, s[22:23]
.LBB469_603:
	s_or_b64 exec, exec, s[20:21]
.LBB469_604:
	s_or_b64 exec, exec, s[10:11]
	s_mov_b32 s10, 0xffffff
	v_cmp_lt_u32_e32 vcc, s10, v10
	v_mov_b32_e32 v15, 0
	v_mov_b32_e32 v20, 0
	s_and_saveexec_b64 s[10:11], vcc
	s_cbranch_execz .LBB469_610
; %bb.605:
	v_lshrrev_b32_e32 v14, 24, v10
	s_movk_i32 s20, 0x80
	v_cmp_ne_u32_e32 vcc, s20, v14
	v_bfrev_b32_e32 v20, 1
	s_and_saveexec_b64 s[20:21], vcc
	s_cbranch_execz .LBB469_609
; %bb.606:
	v_bfe_u32 v16, v10, 24, 7
	s_movk_i32 s22, 0x7f
	v_cmp_ne_u32_e32 vcc, s22, v16
	v_mov_b32_e32 v20, 0x7f800001
	s_and_saveexec_b64 s[22:23], vcc
	s_cbranch_execz .LBB469_608
; %bb.607:
	v_and_b32_e32 v22, 7, v14
	v_ffbh_u32_e32 v20, v22
	v_min_u32_e32 v24, 32, v20
	v_subrev_u32_e32 v20, 28, v24
	v_lshlrev_b64 v[20:21], v20, v[14:15]
	v_lshrrev_b32_e32 v23, 3, v16
	v_sub_u32_e32 v21, 29, v24
	v_and_b32_e32 v20, 7, v20
	v_cmp_gt_u32_e32 vcc, 8, v16
	v_cndmask_b32_e32 v16, v23, v21, vcc
	v_cndmask_b32_e32 v20, v22, v20, vcc
	v_lshlrev_b32_e32 v14, 24, v14
	v_bfrev_b32_e32 v21, 60
	v_lshlrev_b32_e32 v20, 20, v20
	v_and_b32_e32 v14, 0x80000000, v14
	v_lshl_add_u32 v16, v16, 23, v21
	v_or3_b32 v20, v14, v16, v20
.LBB469_608:
	s_or_b64 exec, exec, s[22:23]
.LBB469_609:
	s_or_b64 exec, exec, s[20:21]
.LBB469_610:
	s_or_b64 exec, exec, s[10:11]
	v_mov_b32_e32 v14, v11
	v_cmp_ne_u16_sdwa s[20:21], v11, v15 src0_sel:BYTE_0 src1_sel:DWORD
	s_and_saveexec_b64 s[10:11], s[20:21]
	s_cbranch_execz .LBB469_616
; %bb.611:
	s_movk_i32 s20, 0x80
	v_cmp_ne_u16_sdwa s[22:23], v11, s20 src0_sel:BYTE_0 src1_sel:DWORD
	v_bfrev_b32_e32 v16, 1
	s_and_saveexec_b64 s[20:21], s[22:23]
	s_cbranch_execz .LBB469_615
; %bb.612:
	s_movk_i32 s22, 0x7f
	v_and_b32_e32 v21, 0x7f, v11
	v_cmp_ne_u32_e32 vcc, s22, v21
	v_mov_b32_e32 v16, 0x7f800001
	s_and_saveexec_b64 s[22:23], vcc
	s_cbranch_execz .LBB469_614
; %bb.613:
	v_and_b32_e32 v16, 7, v11
	v_ffbh_u32_e32 v16, v16
	v_min_u32_e32 v16, 32, v16
	v_subrev_u32_e32 v23, 28, v16
	v_cmp_gt_u32_e32 vcc, 8, v21
	v_lshrrev_b32_e32 v22, 3, v21
	v_sub_u32_e32 v16, 29, v16
	v_cndmask_b32_e32 v21, 0, v23, vcc
	v_cndmask_b32_e32 v16, v22, v16, vcc
	v_lshlrev_b64 v[22:23], v21, v[14:15]
	v_lshlrev_b32_e32 v15, 20, v22
	v_lshlrev_b32_e32 v21, 24, v14
	v_bfrev_b32_e32 v22, 60
	v_and_b32_e32 v15, 0x700000, v15
	v_and_b32_e32 v21, 0x80000000, v21
	v_lshl_add_u32 v16, v16, 23, v22
	v_or3_b32 v16, v21, v16, v15
.LBB469_614:
	s_or_b64 exec, exec, s[22:23]
.LBB469_615:
	s_or_b64 exec, exec, s[20:21]
	v_mov_b32_e32 v15, v16
.LBB469_616:
	s_or_b64 exec, exec, s[10:11]
	v_lshrrev_b16_e32 v16, 8, v14
	v_cmp_ne_u16_e32 vcc, 0, v16
	v_mov_b32_e32 v21, 0
	v_mov_b32_e32 v22, 0
	s_and_saveexec_b64 s[10:11], vcc
	s_cbranch_execz .LBB469_622
; %bb.617:
	s_movk_i32 s20, 0x80
	v_cmp_ne_u16_e32 vcc, s20, v16
	v_bfrev_b32_e32 v22, 1
	s_and_saveexec_b64 s[20:21], vcc
	s_cbranch_execz .LBB469_621
; %bb.618:
	s_movk_i32 s22, 0x7f
	v_and_b32_e32 v23, 0x7f, v16
	v_cmp_ne_u32_e32 vcc, s22, v23
	v_mov_b32_e32 v22, 0x7f800001
	s_and_saveexec_b64 s[22:23], vcc
	s_cbranch_execz .LBB469_620
; %bb.619:
	v_and_b32_e32 v22, 7, v16
	v_ffbh_u32_e32 v24, v22
	v_min_u32_e32 v27, 32, v24
	v_subrev_u32_e32 v24, 28, v27
	v_lshlrev_b64 v[24:25], v24, v[16:17]
	v_lshrrev_b32_e32 v26, 3, v23
	v_sub_u32_e32 v16, 29, v27
	v_and_b32_e32 v24, 7, v24
	v_cmp_gt_u32_e32 vcc, 8, v23
	v_cndmask_b32_e32 v16, v26, v16, vcc
	v_cndmask_b32_e32 v22, v22, v24, vcc
	v_lshlrev_b32_e32 v14, 16, v14
	v_bfrev_b32_e32 v23, 60
	v_lshlrev_b32_e32 v22, 20, v22
	v_and_b32_e32 v14, 0x80000000, v14
	v_lshl_add_u32 v16, v16, 23, v23
	v_or3_b32 v22, v14, v16, v22
.LBB469_620:
	s_or_b64 exec, exec, s[22:23]
.LBB469_621:
	s_or_b64 exec, exec, s[20:21]
.LBB469_622:
	s_or_b64 exec, exec, s[10:11]
	s_movk_i32 s10, 0xff
	v_and_b32_sdwa v16, v11, s10 dst_sel:DWORD dst_unused:UNUSED_PAD src0_sel:WORD_1 src1_sel:DWORD
	v_lshrrev_b32_e32 v14, 16, v11
	v_cmp_ne_u16_e32 vcc, 0, v16
	s_and_saveexec_b64 s[10:11], vcc
	s_cbranch_execz .LBB469_628
; %bb.623:
	s_movk_i32 s20, 0x80
	v_cmp_ne_u16_e32 vcc, s20, v16
	v_bfrev_b32_e32 v21, 1
	s_and_saveexec_b64 s[20:21], vcc
	s_cbranch_execz .LBB469_627
; %bb.624:
	v_bfe_u32 v16, v11, 16, 7
	s_movk_i32 s22, 0x7f
	v_cmp_ne_u32_e32 vcc, s22, v16
	v_mov_b32_e32 v21, 0x7f800001
	s_and_saveexec_b64 s[22:23], vcc
	s_cbranch_execz .LBB469_626
; %bb.625:
	v_and_b32_e32 v21, 7, v14
	v_ffbh_u32_e32 v24, v21
	v_min_u32_e32 v26, 32, v24
	v_subrev_u32_e32 v24, 28, v26
	v_lshlrev_b64 v[24:25], v24, v[14:15]
	v_and_b32_e32 v24, 7, v24
	v_cmp_gt_u32_e32 vcc, 8, v16
	v_lshrrev_b32_e32 v23, 3, v16
	v_sub_u32_e32 v14, 29, v26
	v_cndmask_b32_e32 v16, v21, v24, vcc
	v_mov_b32_e32 v21, 24
	v_cndmask_b32_e32 v14, v23, v14, vcc
	v_lshlrev_b32_sdwa v21, v21, v11 dst_sel:DWORD dst_unused:UNUSED_PAD src0_sel:DWORD src1_sel:WORD_1
	v_bfrev_b32_e32 v23, 60
	v_lshlrev_b32_e32 v16, 20, v16
	v_and_b32_e32 v21, 0x80000000, v21
	v_lshl_add_u32 v14, v14, 23, v23
	v_or3_b32 v21, v21, v14, v16
.LBB469_626:
	s_or_b64 exec, exec, s[22:23]
.LBB469_627:
	s_or_b64 exec, exec, s[20:21]
.LBB469_628:
	s_or_b64 exec, exec, s[10:11]
	s_mov_b32 s10, -1
	s_mov_b32 s11, 0xffffff
	v_cmp_lt_u64_e32 vcc, s[10:11], v[10:11]
	v_mov_b32_e32 v16, 0
	v_mov_b32_e32 v14, 0
	s_and_saveexec_b64 s[10:11], vcc
	s_cbranch_execz .LBB469_634
; %bb.629:
	v_lshrrev_b32_e32 v10, 24, v11
	s_movk_i32 s20, 0x80
	v_cmp_ne_u32_e32 vcc, s20, v10
	v_bfrev_b32_e32 v14, 1
	s_and_saveexec_b64 s[20:21], vcc
	s_cbranch_execz .LBB469_633
; %bb.630:
	v_bfe_u32 v11, v11, 24, 7
	s_movk_i32 s22, 0x7f
	v_cmp_ne_u32_e32 vcc, s22, v11
	v_mov_b32_e32 v14, 0x7f800001
	s_and_saveexec_b64 s[22:23], vcc
	s_cbranch_execz .LBB469_632
; %bb.631:
	v_and_b32_e32 v14, 7, v10
	v_ffbh_u32_e32 v24, v14
	v_min_u32_e32 v26, 32, v24
	v_subrev_u32_e32 v24, 28, v26
	v_lshlrev_b64 v[24:25], v24, v[10:11]
	v_lshrrev_b32_e32 v23, 3, v11
	v_sub_u32_e32 v25, 29, v26
	v_and_b32_e32 v24, 7, v24
	v_cmp_gt_u32_e32 vcc, 8, v11
	v_cndmask_b32_e32 v11, v23, v25, vcc
	v_cndmask_b32_e32 v14, v14, v24, vcc
	v_lshlrev_b32_e32 v10, 24, v10
	v_bfrev_b32_e32 v23, 60
	v_lshlrev_b32_e32 v14, 20, v14
	v_and_b32_e32 v10, 0x80000000, v10
	v_lshl_add_u32 v11, v11, 23, v23
	v_or3_b32 v14, v10, v11, v14
.LBB469_632:
	s_or_b64 exec, exec, s[22:23]
.LBB469_633:
	s_or_b64 exec, exec, s[20:21]
.LBB469_634:
	s_or_b64 exec, exec, s[10:11]
	v_cvt_pkrtz_f16_f32 v10, v18, v19
	v_cvt_pkrtz_f16_f32 v11, v17, v20
	;; [unrolled: 1-line block ×4, first 2 shown]
	v_mfma_f32_4x4x4f16 a[0:3], v[2:3], v[10:11], a[0:3] cbsz:4 abid:12
	v_cmp_ne_u16_sdwa s[20:21], v12, v16 src0_sel:BYTE_0 src1_sel:DWORD
	v_mfma_f32_4x4x4f16 a[0:3], v[4:5], v[18:19], a[0:3] cbsz:4 abid:12
	s_and_saveexec_b64 s[10:11], s[20:21]
	s_cbranch_execz .LBB469_640
; %bb.635:
	s_movk_i32 s20, 0x80
	v_cmp_ne_u16_sdwa s[22:23], v12, s20 src0_sel:BYTE_0 src1_sel:DWORD
	v_bfrev_b32_e32 v16, 1
	s_and_saveexec_b64 s[20:21], s[22:23]
	s_cbranch_execz .LBB469_639
; %bb.636:
	s_movk_i32 s22, 0x7f
	v_and_b32_e32 v10, 0x7f, v12
	v_cmp_ne_u32_e32 vcc, s22, v10
	v_mov_b32_e32 v16, 0x7f800001
	s_and_saveexec_b64 s[22:23], vcc
	s_cbranch_execz .LBB469_638
; %bb.637:
	v_and_b32_e32 v11, 7, v12
	v_ffbh_u32_e32 v11, v11
	v_min_u32_e32 v11, 32, v11
	v_subrev_u32_e32 v15, 28, v11
	v_cmp_gt_u32_e32 vcc, 8, v10
	v_lshrrev_b32_e32 v14, 3, v10
	v_sub_u32_e32 v11, 29, v11
	v_cndmask_b32_e32 v10, 0, v15, vcc
	v_cndmask_b32_e32 v14, v14, v11, vcc
	v_lshlrev_b64 v[10:11], v10, v[12:13]
	v_lshlrev_b32_e32 v10, 20, v10
	v_lshlrev_b32_e32 v11, 24, v12
	v_bfrev_b32_e32 v15, 60
	v_and_b32_e32 v10, 0x700000, v10
	v_and_b32_e32 v11, 0x80000000, v11
	v_lshl_add_u32 v14, v14, 23, v15
	v_or3_b32 v16, v11, v14, v10
.LBB469_638:
	s_or_b64 exec, exec, s[22:23]
.LBB469_639:
	s_or_b64 exec, exec, s[20:21]
.LBB469_640:
	s_or_b64 exec, exec, s[10:11]
	v_lshrrev_b16_e32 v10, 8, v12
	v_cmp_ne_u16_e32 vcc, 0, v10
	v_mov_b32_e32 v15, 0
	v_mov_b32_e32 v17, 0
	s_and_saveexec_b64 s[10:11], vcc
	s_cbranch_execz .LBB469_646
; %bb.641:
	s_movk_i32 s20, 0x80
	v_cmp_ne_u16_e32 vcc, s20, v10
	v_bfrev_b32_e32 v17, 1
	s_and_saveexec_b64 s[20:21], vcc
	s_cbranch_execz .LBB469_645
; %bb.642:
	s_movk_i32 s22, 0x7f
	v_and_b32_e32 v11, 0x7f, v10
	v_cmp_ne_u32_e32 vcc, s22, v11
	v_mov_b32_e32 v17, 0x7f800001
	s_and_saveexec_b64 s[22:23], vcc
	s_cbranch_execz .LBB469_644
; %bb.643:
	v_and_b32_e32 v14, 7, v10
	v_ffbh_u32_e32 v18, v14
	v_min_u32_e32 v20, 32, v18
	v_subrev_u32_e32 v18, 28, v20
	v_lshlrev_b64 v[18:19], v18, v[10:11]
	v_lshrrev_b32_e32 v17, 3, v11
	v_sub_u32_e32 v10, 29, v20
	v_and_b32_e32 v18, 7, v18
	v_cmp_gt_u32_e32 vcc, 8, v11
	v_cndmask_b32_e32 v10, v17, v10, vcc
	v_cndmask_b32_e32 v11, v14, v18, vcc
	v_lshlrev_b32_e32 v14, 16, v12
	v_bfrev_b32_e32 v17, 60
	v_lshlrev_b32_e32 v11, 20, v11
	v_and_b32_e32 v14, 0x80000000, v14
	v_lshl_add_u32 v10, v10, 23, v17
	v_or3_b32 v17, v14, v10, v11
.LBB469_644:
	s_or_b64 exec, exec, s[22:23]
.LBB469_645:
	s_or_b64 exec, exec, s[20:21]
.LBB469_646:
	s_or_b64 exec, exec, s[10:11]
	s_movk_i32 s10, 0xff
	v_and_b32_sdwa v11, v12, s10 dst_sel:DWORD dst_unused:UNUSED_PAD src0_sel:WORD_1 src1_sel:DWORD
	v_lshrrev_b32_e32 v10, 16, v12
	v_cmp_ne_u16_e32 vcc, 0, v11
	s_and_saveexec_b64 s[10:11], vcc
	s_cbranch_execz .LBB469_652
; %bb.647:
	s_movk_i32 s20, 0x80
	v_cmp_ne_u16_e32 vcc, s20, v11
	v_bfrev_b32_e32 v15, 1
	s_and_saveexec_b64 s[20:21], vcc
	s_cbranch_execz .LBB469_651
; %bb.648:
	v_bfe_u32 v11, v12, 16, 7
	s_movk_i32 s22, 0x7f
	v_cmp_ne_u32_e32 vcc, s22, v11
	v_mov_b32_e32 v15, 0x7f800001
	s_and_saveexec_b64 s[22:23], vcc
	s_cbranch_execz .LBB469_650
; %bb.649:
	v_and_b32_e32 v18, 7, v10
	v_ffbh_u32_e32 v14, v18
	v_min_u32_e32 v20, 32, v14
	v_subrev_u32_e32 v14, 28, v20
	v_lshlrev_b64 v[14:15], v14, v[10:11]
	v_and_b32_e32 v14, 7, v14
	v_cmp_gt_u32_e32 vcc, 8, v11
	v_lshrrev_b32_e32 v19, 3, v11
	v_sub_u32_e32 v10, 29, v20
	v_cndmask_b32_e32 v11, v18, v14, vcc
	v_mov_b32_e32 v14, 24
	v_cndmask_b32_e32 v10, v19, v10, vcc
	v_lshlrev_b32_sdwa v14, v14, v12 dst_sel:DWORD dst_unused:UNUSED_PAD src0_sel:DWORD src1_sel:WORD_1
	v_bfrev_b32_e32 v15, 60
	v_lshlrev_b32_e32 v11, 20, v11
	v_and_b32_e32 v14, 0x80000000, v14
	v_lshl_add_u32 v10, v10, 23, v15
	v_or3_b32 v15, v14, v10, v11
.LBB469_650:
	s_or_b64 exec, exec, s[22:23]
.LBB469_651:
	s_or_b64 exec, exec, s[20:21]
.LBB469_652:
	s_or_b64 exec, exec, s[10:11]
	s_mov_b32 s10, 0xffffff
	v_cmp_lt_u32_e32 vcc, s10, v12
	v_mov_b32_e32 v11, 0
	v_mov_b32_e32 v18, 0
	s_and_saveexec_b64 s[10:11], vcc
	s_cbranch_execz .LBB469_658
; %bb.653:
	v_lshrrev_b32_e32 v10, 24, v12
	s_movk_i32 s20, 0x80
	v_cmp_ne_u32_e32 vcc, s20, v10
	v_bfrev_b32_e32 v18, 1
	s_and_saveexec_b64 s[20:21], vcc
	s_cbranch_execz .LBB469_657
; %bb.654:
	v_bfe_u32 v14, v12, 24, 7
	s_movk_i32 s22, 0x7f
	v_cmp_ne_u32_e32 vcc, s22, v14
	v_mov_b32_e32 v18, 0x7f800001
	s_and_saveexec_b64 s[22:23], vcc
	s_cbranch_execz .LBB469_656
; %bb.655:
	v_and_b32_e32 v20, 7, v10
	v_ffbh_u32_e32 v18, v20
	v_min_u32_e32 v22, 32, v18
	v_subrev_u32_e32 v18, 28, v22
	v_lshlrev_b64 v[18:19], v18, v[10:11]
	v_lshrrev_b32_e32 v21, 3, v14
	v_sub_u32_e32 v19, 29, v22
	v_and_b32_e32 v18, 7, v18
	v_cmp_gt_u32_e32 vcc, 8, v14
	v_cndmask_b32_e32 v14, v21, v19, vcc
	v_cndmask_b32_e32 v18, v20, v18, vcc
	v_lshlrev_b32_e32 v10, 24, v10
	v_bfrev_b32_e32 v19, 60
	v_lshlrev_b32_e32 v18, 20, v18
	v_and_b32_e32 v10, 0x80000000, v10
	v_lshl_add_u32 v14, v14, 23, v19
	v_or3_b32 v18, v10, v14, v18
.LBB469_656:
	s_or_b64 exec, exec, s[22:23]
.LBB469_657:
	s_or_b64 exec, exec, s[20:21]
.LBB469_658:
	s_or_b64 exec, exec, s[10:11]
	v_mov_b32_e32 v10, v13
	v_cmp_ne_u16_sdwa s[20:21], v13, v11 src0_sel:BYTE_0 src1_sel:DWORD
	s_and_saveexec_b64 s[10:11], s[20:21]
	s_cbranch_execz .LBB469_664
; %bb.659:
	s_movk_i32 s20, 0x80
	v_cmp_ne_u16_sdwa s[22:23], v13, s20 src0_sel:BYTE_0 src1_sel:DWORD
	v_bfrev_b32_e32 v14, 1
	s_and_saveexec_b64 s[20:21], s[22:23]
	s_cbranch_execz .LBB469_663
; %bb.660:
	s_movk_i32 s22, 0x7f
	v_and_b32_e32 v19, 0x7f, v13
	v_cmp_ne_u32_e32 vcc, s22, v19
	v_mov_b32_e32 v14, 0x7f800001
	s_and_saveexec_b64 s[22:23], vcc
	s_cbranch_execz .LBB469_662
; %bb.661:
	v_and_b32_e32 v14, 7, v13
	v_ffbh_u32_e32 v14, v14
	v_min_u32_e32 v14, 32, v14
	v_subrev_u32_e32 v21, 28, v14
	v_cmp_gt_u32_e32 vcc, 8, v19
	v_lshrrev_b32_e32 v20, 3, v19
	v_sub_u32_e32 v14, 29, v14
	v_cndmask_b32_e32 v19, 0, v21, vcc
	v_cndmask_b32_e32 v14, v20, v14, vcc
	v_lshlrev_b64 v[20:21], v19, v[10:11]
	v_lshlrev_b32_e32 v11, 20, v20
	v_lshlrev_b32_e32 v19, 24, v10
	v_bfrev_b32_e32 v20, 60
	v_and_b32_e32 v11, 0x700000, v11
	v_and_b32_e32 v19, 0x80000000, v19
	v_lshl_add_u32 v14, v14, 23, v20
	v_or3_b32 v14, v19, v14, v11
.LBB469_662:
	s_or_b64 exec, exec, s[22:23]
.LBB469_663:
	s_or_b64 exec, exec, s[20:21]
	v_mov_b32_e32 v11, v14
.LBB469_664:
	s_or_b64 exec, exec, s[10:11]
	v_lshrrev_b16_e32 v14, 8, v10
	v_cmp_ne_u16_e32 vcc, 0, v14
	v_mov_b32_e32 v19, 0
	v_mov_b32_e32 v20, 0
	s_and_saveexec_b64 s[10:11], vcc
	s_cbranch_execz .LBB469_670
; %bb.665:
	s_movk_i32 s20, 0x80
	v_cmp_ne_u16_e32 vcc, s20, v14
	v_bfrev_b32_e32 v20, 1
	s_and_saveexec_b64 s[20:21], vcc
	s_cbranch_execz .LBB469_669
; %bb.666:
	s_movk_i32 s22, 0x7f
	v_and_b32_e32 v21, 0x7f, v14
	v_cmp_ne_u32_e32 vcc, s22, v21
	v_mov_b32_e32 v20, 0x7f800001
	s_and_saveexec_b64 s[22:23], vcc
	s_cbranch_execz .LBB469_668
; %bb.667:
	v_and_b32_e32 v20, 7, v14
	v_ffbh_u32_e32 v22, v20
	v_min_u32_e32 v25, 32, v22
	v_subrev_u32_e32 v22, 28, v25
	v_lshlrev_b64 v[22:23], v22, v[14:15]
	v_lshrrev_b32_e32 v24, 3, v21
	v_sub_u32_e32 v14, 29, v25
	v_and_b32_e32 v22, 7, v22
	v_cmp_gt_u32_e32 vcc, 8, v21
	v_cndmask_b32_e32 v14, v24, v14, vcc
	v_cndmask_b32_e32 v20, v20, v22, vcc
	v_lshlrev_b32_e32 v10, 16, v10
	v_bfrev_b32_e32 v21, 60
	v_lshlrev_b32_e32 v20, 20, v20
	v_and_b32_e32 v10, 0x80000000, v10
	v_lshl_add_u32 v14, v14, 23, v21
	v_or3_b32 v20, v10, v14, v20
.LBB469_668:
	s_or_b64 exec, exec, s[22:23]
.LBB469_669:
	s_or_b64 exec, exec, s[20:21]
.LBB469_670:
	s_or_b64 exec, exec, s[10:11]
	s_movk_i32 s10, 0xff
	v_and_b32_sdwa v14, v13, s10 dst_sel:DWORD dst_unused:UNUSED_PAD src0_sel:WORD_1 src1_sel:DWORD
	v_lshrrev_b32_e32 v10, 16, v13
	v_cmp_ne_u16_e32 vcc, 0, v14
	s_and_saveexec_b64 s[10:11], vcc
	s_cbranch_execz .LBB469_676
; %bb.671:
	s_movk_i32 s20, 0x80
	v_cmp_ne_u16_e32 vcc, s20, v14
	v_bfrev_b32_e32 v19, 1
	s_and_saveexec_b64 s[20:21], vcc
	s_cbranch_execz .LBB469_675
; %bb.672:
	v_bfe_u32 v14, v13, 16, 7
	s_movk_i32 s22, 0x7f
	v_cmp_ne_u32_e32 vcc, s22, v14
	v_mov_b32_e32 v19, 0x7f800001
	s_and_saveexec_b64 s[22:23], vcc
	s_cbranch_execz .LBB469_674
; %bb.673:
	v_and_b32_e32 v19, 7, v10
	v_ffbh_u32_e32 v22, v19
	v_min_u32_e32 v24, 32, v22
	v_subrev_u32_e32 v22, 28, v24
	v_lshlrev_b64 v[22:23], v22, v[10:11]
	v_and_b32_e32 v22, 7, v22
	v_cmp_gt_u32_e32 vcc, 8, v14
	v_lshrrev_b32_e32 v21, 3, v14
	v_sub_u32_e32 v10, 29, v24
	v_cndmask_b32_e32 v14, v19, v22, vcc
	v_mov_b32_e32 v19, 24
	v_cndmask_b32_e32 v10, v21, v10, vcc
	v_lshlrev_b32_sdwa v19, v19, v13 dst_sel:DWORD dst_unused:UNUSED_PAD src0_sel:DWORD src1_sel:WORD_1
	v_bfrev_b32_e32 v21, 60
	v_lshlrev_b32_e32 v14, 20, v14
	v_and_b32_e32 v19, 0x80000000, v19
	v_lshl_add_u32 v10, v10, 23, v21
	v_or3_b32 v19, v19, v10, v14
.LBB469_674:
	s_or_b64 exec, exec, s[22:23]
.LBB469_675:
	s_or_b64 exec, exec, s[20:21]
.LBB469_676:
	s_or_b64 exec, exec, s[10:11]
	s_mov_b32 s10, -1
	s_mov_b32 s11, 0xffffff
	v_cmp_lt_u64_e32 vcc, s[10:11], v[12:13]
	v_mov_b32_e32 v14, 0
	v_mov_b32_e32 v12, 0
	s_and_saveexec_b64 s[10:11], vcc
	s_cbranch_execz .LBB469_682
; %bb.677:
	v_lshrrev_b32_e32 v10, 24, v13
	s_movk_i32 s20, 0x80
	v_cmp_ne_u32_e32 vcc, s20, v10
	v_bfrev_b32_e32 v12, 1
	s_and_saveexec_b64 s[20:21], vcc
	s_cbranch_execz .LBB469_681
; %bb.678:
	v_bfe_u32 v13, v13, 24, 7
	s_movk_i32 s22, 0x7f
	v_cmp_ne_u32_e32 vcc, s22, v13
	v_mov_b32_e32 v12, 0x7f800001
	s_and_saveexec_b64 s[22:23], vcc
	s_cbranch_execz .LBB469_680
; %bb.679:
	v_and_b32_e32 v12, 7, v10
	v_ffbh_u32_e32 v22, v12
	v_min_u32_e32 v24, 32, v22
	v_subrev_u32_e32 v22, 28, v24
	v_lshlrev_b64 v[22:23], v22, v[10:11]
	v_lshrrev_b32_e32 v21, 3, v13
	v_sub_u32_e32 v23, 29, v24
	v_and_b32_e32 v22, 7, v22
	v_cmp_gt_u32_e32 vcc, 8, v13
	v_cndmask_b32_e32 v13, v21, v23, vcc
	v_cndmask_b32_e32 v12, v12, v22, vcc
	v_lshlrev_b32_e32 v10, 24, v10
	v_bfrev_b32_e32 v21, 60
	v_lshlrev_b32_e32 v12, 20, v12
	v_and_b32_e32 v10, 0x80000000, v10
	v_lshl_add_u32 v13, v13, 23, v21
	v_or3_b32 v12, v10, v13, v12
.LBB469_680:
	s_or_b64 exec, exec, s[22:23]
.LBB469_681:
	s_or_b64 exec, exec, s[20:21]
.LBB469_682:
	s_or_b64 exec, exec, s[10:11]
	v_cvt_pkrtz_f16_f32 v16, v16, v17
	v_cvt_pkrtz_f16_f32 v17, v15, v18
	;; [unrolled: 1-line block ×4, first 2 shown]
	v_mfma_f32_4x4x4f16 a[0:3], v[2:3], v[16:17], a[0:3] cbsz:4 abid:13
	s_waitcnt vmcnt(13)
	v_cmp_ne_u16_sdwa s[20:21], v6, v14 src0_sel:BYTE_0 src1_sel:DWORD
	v_mfma_f32_4x4x4f16 a[0:3], v[4:5], v[10:11], a[0:3] cbsz:4 abid:13
	s_and_saveexec_b64 s[10:11], s[20:21]
	s_cbranch_execz .LBB469_688
; %bb.683:
	s_movk_i32 s20, 0x80
	v_cmp_ne_u16_sdwa s[22:23], v6, s20 src0_sel:BYTE_0 src1_sel:DWORD
	v_bfrev_b32_e32 v14, 1
	s_and_saveexec_b64 s[20:21], s[22:23]
	s_cbranch_execz .LBB469_687
; %bb.684:
	s_movk_i32 s22, 0x7f
	v_and_b32_e32 v10, 0x7f, v6
	v_cmp_ne_u32_e32 vcc, s22, v10
	v_mov_b32_e32 v14, 0x7f800001
	s_and_saveexec_b64 s[22:23], vcc
	s_cbranch_execz .LBB469_686
; %bb.685:
	v_and_b32_e32 v11, 7, v6
	v_ffbh_u32_e32 v11, v11
	v_min_u32_e32 v11, 32, v11
	v_subrev_u32_e32 v13, 28, v11
	v_cmp_gt_u32_e32 vcc, 8, v10
	v_lshrrev_b32_e32 v12, 3, v10
	v_sub_u32_e32 v11, 29, v11
	v_cndmask_b32_e32 v10, 0, v13, vcc
	v_cndmask_b32_e32 v12, v12, v11, vcc
	v_lshlrev_b64 v[10:11], v10, v[6:7]
	v_lshlrev_b32_e32 v10, 20, v10
	v_lshlrev_b32_e32 v11, 24, v6
	v_bfrev_b32_e32 v13, 60
	v_and_b32_e32 v10, 0x700000, v10
	v_and_b32_e32 v11, 0x80000000, v11
	v_lshl_add_u32 v12, v12, 23, v13
	v_or3_b32 v14, v11, v12, v10
.LBB469_686:
	s_or_b64 exec, exec, s[22:23]
.LBB469_687:
	s_or_b64 exec, exec, s[20:21]
.LBB469_688:
	s_or_b64 exec, exec, s[10:11]
	v_lshrrev_b16_e32 v10, 8, v6
	v_cmp_ne_u16_e32 vcc, 0, v10
	v_mov_b32_e32 v13, 0
	v_mov_b32_e32 v15, 0
	s_and_saveexec_b64 s[10:11], vcc
	s_cbranch_execz .LBB469_694
; %bb.689:
	s_movk_i32 s20, 0x80
	v_cmp_ne_u16_e32 vcc, s20, v10
	v_bfrev_b32_e32 v15, 1
	s_and_saveexec_b64 s[20:21], vcc
	s_cbranch_execz .LBB469_693
; %bb.690:
	s_movk_i32 s22, 0x7f
	v_and_b32_e32 v11, 0x7f, v10
	v_cmp_ne_u32_e32 vcc, s22, v11
	v_mov_b32_e32 v15, 0x7f800001
	s_and_saveexec_b64 s[22:23], vcc
	s_cbranch_execz .LBB469_692
; %bb.691:
	v_and_b32_e32 v12, 7, v10
	v_ffbh_u32_e32 v16, v12
	v_min_u32_e32 v18, 32, v16
	v_subrev_u32_e32 v16, 28, v18
	v_lshlrev_b64 v[16:17], v16, v[10:11]
	v_lshrrev_b32_e32 v15, 3, v11
	v_sub_u32_e32 v10, 29, v18
	v_and_b32_e32 v16, 7, v16
	v_cmp_gt_u32_e32 vcc, 8, v11
	v_cndmask_b32_e32 v10, v15, v10, vcc
	v_cndmask_b32_e32 v11, v12, v16, vcc
	v_lshlrev_b32_e32 v12, 16, v6
	v_bfrev_b32_e32 v15, 60
	v_lshlrev_b32_e32 v11, 20, v11
	v_and_b32_e32 v12, 0x80000000, v12
	v_lshl_add_u32 v10, v10, 23, v15
	v_or3_b32 v15, v12, v10, v11
.LBB469_692:
	s_or_b64 exec, exec, s[22:23]
.LBB469_693:
	s_or_b64 exec, exec, s[20:21]
.LBB469_694:
	s_or_b64 exec, exec, s[10:11]
	s_movk_i32 s10, 0xff
	v_and_b32_sdwa v11, v6, s10 dst_sel:DWORD dst_unused:UNUSED_PAD src0_sel:WORD_1 src1_sel:DWORD
	v_lshrrev_b32_e32 v10, 16, v6
	v_cmp_ne_u16_e32 vcc, 0, v11
	s_and_saveexec_b64 s[10:11], vcc
	s_cbranch_execz .LBB469_700
; %bb.695:
	s_movk_i32 s20, 0x80
	v_cmp_ne_u16_e32 vcc, s20, v11
	v_bfrev_b32_e32 v13, 1
	s_and_saveexec_b64 s[20:21], vcc
	s_cbranch_execz .LBB469_699
; %bb.696:
	v_bfe_u32 v11, v6, 16, 7
	s_movk_i32 s22, 0x7f
	v_cmp_ne_u32_e32 vcc, s22, v11
	v_mov_b32_e32 v13, 0x7f800001
	s_and_saveexec_b64 s[22:23], vcc
	s_cbranch_execz .LBB469_698
; %bb.697:
	v_and_b32_e32 v16, 7, v10
	v_ffbh_u32_e32 v12, v16
	v_min_u32_e32 v18, 32, v12
	v_subrev_u32_e32 v12, 28, v18
	v_lshlrev_b64 v[12:13], v12, v[10:11]
	v_and_b32_e32 v12, 7, v12
	v_cmp_gt_u32_e32 vcc, 8, v11
	v_lshrrev_b32_e32 v17, 3, v11
	v_sub_u32_e32 v10, 29, v18
	v_cndmask_b32_e32 v11, v16, v12, vcc
	v_mov_b32_e32 v12, 24
	v_cndmask_b32_e32 v10, v17, v10, vcc
	v_lshlrev_b32_sdwa v12, v12, v6 dst_sel:DWORD dst_unused:UNUSED_PAD src0_sel:DWORD src1_sel:WORD_1
	v_bfrev_b32_e32 v13, 60
	v_lshlrev_b32_e32 v11, 20, v11
	v_and_b32_e32 v12, 0x80000000, v12
	v_lshl_add_u32 v10, v10, 23, v13
	v_or3_b32 v13, v12, v10, v11
.LBB469_698:
	s_or_b64 exec, exec, s[22:23]
.LBB469_699:
	s_or_b64 exec, exec, s[20:21]
.LBB469_700:
	s_or_b64 exec, exec, s[10:11]
	s_mov_b32 s10, 0xffffff
	v_cmp_lt_u32_e32 vcc, s10, v6
	v_mov_b32_e32 v11, 0
	v_mov_b32_e32 v16, 0
	s_and_saveexec_b64 s[10:11], vcc
	s_cbranch_execz .LBB469_706
; %bb.701:
	v_lshrrev_b32_e32 v10, 24, v6
	s_movk_i32 s20, 0x80
	v_cmp_ne_u32_e32 vcc, s20, v10
	v_bfrev_b32_e32 v16, 1
	s_and_saveexec_b64 s[20:21], vcc
	s_cbranch_execz .LBB469_705
; %bb.702:
	v_bfe_u32 v12, v6, 24, 7
	s_movk_i32 s22, 0x7f
	v_cmp_ne_u32_e32 vcc, s22, v12
	v_mov_b32_e32 v16, 0x7f800001
	s_and_saveexec_b64 s[22:23], vcc
	s_cbranch_execz .LBB469_704
; %bb.703:
	v_and_b32_e32 v18, 7, v10
	v_ffbh_u32_e32 v16, v18
	v_min_u32_e32 v20, 32, v16
	v_subrev_u32_e32 v16, 28, v20
	v_lshlrev_b64 v[16:17], v16, v[10:11]
	v_lshrrev_b32_e32 v19, 3, v12
	v_sub_u32_e32 v17, 29, v20
	v_and_b32_e32 v16, 7, v16
	v_cmp_gt_u32_e32 vcc, 8, v12
	v_cndmask_b32_e32 v12, v19, v17, vcc
	v_cndmask_b32_e32 v16, v18, v16, vcc
	v_lshlrev_b32_e32 v10, 24, v10
	v_bfrev_b32_e32 v17, 60
	v_lshlrev_b32_e32 v16, 20, v16
	v_and_b32_e32 v10, 0x80000000, v10
	v_lshl_add_u32 v12, v12, 23, v17
	v_or3_b32 v16, v10, v12, v16
.LBB469_704:
	s_or_b64 exec, exec, s[22:23]
.LBB469_705:
	s_or_b64 exec, exec, s[20:21]
.LBB469_706:
	s_or_b64 exec, exec, s[10:11]
	v_mov_b32_e32 v10, v7
	v_cmp_ne_u16_sdwa s[20:21], v7, v11 src0_sel:BYTE_0 src1_sel:DWORD
	s_and_saveexec_b64 s[10:11], s[20:21]
	s_cbranch_execz .LBB469_712
; %bb.707:
	s_movk_i32 s20, 0x80
	v_cmp_ne_u16_sdwa s[22:23], v7, s20 src0_sel:BYTE_0 src1_sel:DWORD
	v_bfrev_b32_e32 v12, 1
	s_and_saveexec_b64 s[20:21], s[22:23]
	s_cbranch_execz .LBB469_711
; %bb.708:
	s_movk_i32 s22, 0x7f
	v_and_b32_e32 v17, 0x7f, v7
	v_cmp_ne_u32_e32 vcc, s22, v17
	v_mov_b32_e32 v12, 0x7f800001
	s_and_saveexec_b64 s[22:23], vcc
	s_cbranch_execz .LBB469_710
; %bb.709:
	v_and_b32_e32 v12, 7, v7
	v_ffbh_u32_e32 v12, v12
	v_min_u32_e32 v12, 32, v12
	v_subrev_u32_e32 v19, 28, v12
	v_cmp_gt_u32_e32 vcc, 8, v17
	v_lshrrev_b32_e32 v18, 3, v17
	v_sub_u32_e32 v12, 29, v12
	v_cndmask_b32_e32 v17, 0, v19, vcc
	v_cndmask_b32_e32 v12, v18, v12, vcc
	v_lshlrev_b64 v[18:19], v17, v[10:11]
	v_lshlrev_b32_e32 v11, 20, v18
	v_lshlrev_b32_e32 v17, 24, v10
	v_bfrev_b32_e32 v18, 60
	v_and_b32_e32 v11, 0x700000, v11
	v_and_b32_e32 v17, 0x80000000, v17
	v_lshl_add_u32 v12, v12, 23, v18
	v_or3_b32 v12, v17, v12, v11
.LBB469_710:
	s_or_b64 exec, exec, s[22:23]
.LBB469_711:
	s_or_b64 exec, exec, s[20:21]
	v_mov_b32_e32 v11, v12
.LBB469_712:
	s_or_b64 exec, exec, s[10:11]
	v_lshrrev_b16_e32 v12, 8, v10
	v_cmp_ne_u16_e32 vcc, 0, v12
	v_mov_b32_e32 v17, 0
	v_mov_b32_e32 v18, 0
	s_and_saveexec_b64 s[10:11], vcc
	s_cbranch_execz .LBB469_718
; %bb.713:
	s_movk_i32 s20, 0x80
	v_cmp_ne_u16_e32 vcc, s20, v12
	v_bfrev_b32_e32 v18, 1
	s_and_saveexec_b64 s[20:21], vcc
	s_cbranch_execz .LBB469_717
; %bb.714:
	s_movk_i32 s22, 0x7f
	v_and_b32_e32 v19, 0x7f, v12
	v_cmp_ne_u32_e32 vcc, s22, v19
	v_mov_b32_e32 v18, 0x7f800001
	s_and_saveexec_b64 s[22:23], vcc
	s_cbranch_execz .LBB469_716
; %bb.715:
	v_and_b32_e32 v18, 7, v12
	v_ffbh_u32_e32 v20, v18
	v_min_u32_e32 v23, 32, v20
	v_subrev_u32_e32 v20, 28, v23
	v_lshlrev_b64 v[20:21], v20, v[12:13]
	v_lshrrev_b32_e32 v22, 3, v19
	v_sub_u32_e32 v12, 29, v23
	v_and_b32_e32 v20, 7, v20
	v_cmp_gt_u32_e32 vcc, 8, v19
	v_cndmask_b32_e32 v12, v22, v12, vcc
	v_cndmask_b32_e32 v18, v18, v20, vcc
	v_lshlrev_b32_e32 v10, 16, v10
	v_bfrev_b32_e32 v19, 60
	v_lshlrev_b32_e32 v18, 20, v18
	v_and_b32_e32 v10, 0x80000000, v10
	v_lshl_add_u32 v12, v12, 23, v19
	v_or3_b32 v18, v10, v12, v18
.LBB469_716:
	s_or_b64 exec, exec, s[22:23]
.LBB469_717:
	s_or_b64 exec, exec, s[20:21]
.LBB469_718:
	s_or_b64 exec, exec, s[10:11]
	s_movk_i32 s10, 0xff
	v_and_b32_sdwa v12, v7, s10 dst_sel:DWORD dst_unused:UNUSED_PAD src0_sel:WORD_1 src1_sel:DWORD
	v_lshrrev_b32_e32 v10, 16, v7
	v_cmp_ne_u16_e32 vcc, 0, v12
	s_and_saveexec_b64 s[10:11], vcc
	s_cbranch_execz .LBB469_724
; %bb.719:
	s_movk_i32 s20, 0x80
	v_cmp_ne_u16_e32 vcc, s20, v12
	v_bfrev_b32_e32 v17, 1
	s_and_saveexec_b64 s[20:21], vcc
	s_cbranch_execz .LBB469_723
; %bb.720:
	v_bfe_u32 v12, v7, 16, 7
	s_movk_i32 s22, 0x7f
	v_cmp_ne_u32_e32 vcc, s22, v12
	v_mov_b32_e32 v17, 0x7f800001
	s_and_saveexec_b64 s[22:23], vcc
	s_cbranch_execz .LBB469_722
; %bb.721:
	v_and_b32_e32 v17, 7, v10
	v_ffbh_u32_e32 v20, v17
	v_min_u32_e32 v22, 32, v20
	v_subrev_u32_e32 v20, 28, v22
	v_lshlrev_b64 v[20:21], v20, v[10:11]
	v_and_b32_e32 v20, 7, v20
	v_cmp_gt_u32_e32 vcc, 8, v12
	v_lshrrev_b32_e32 v19, 3, v12
	v_sub_u32_e32 v10, 29, v22
	v_cndmask_b32_e32 v12, v17, v20, vcc
	v_mov_b32_e32 v17, 24
	v_cndmask_b32_e32 v10, v19, v10, vcc
	v_lshlrev_b32_sdwa v17, v17, v7 dst_sel:DWORD dst_unused:UNUSED_PAD src0_sel:DWORD src1_sel:WORD_1
	v_bfrev_b32_e32 v19, 60
	v_lshlrev_b32_e32 v12, 20, v12
	v_and_b32_e32 v17, 0x80000000, v17
	v_lshl_add_u32 v10, v10, 23, v19
	v_or3_b32 v17, v17, v10, v12
.LBB469_722:
	s_or_b64 exec, exec, s[22:23]
.LBB469_723:
	s_or_b64 exec, exec, s[20:21]
.LBB469_724:
	s_or_b64 exec, exec, s[10:11]
	s_mov_b32 s10, -1
	s_mov_b32 s11, 0xffffff
	v_cmp_lt_u64_e32 vcc, s[10:11], v[6:7]
	v_mov_b32_e32 v12, 0
	v_mov_b32_e32 v10, 0
	s_and_saveexec_b64 s[10:11], vcc
	s_cbranch_execz .LBB469_730
; %bb.725:
	v_lshrrev_b32_e32 v6, 24, v7
	s_movk_i32 s20, 0x80
	v_cmp_ne_u32_e32 vcc, s20, v6
	v_bfrev_b32_e32 v10, 1
	s_and_saveexec_b64 s[20:21], vcc
	s_cbranch_execz .LBB469_729
; %bb.726:
	v_bfe_u32 v7, v7, 24, 7
	s_movk_i32 s22, 0x7f
	v_cmp_ne_u32_e32 vcc, s22, v7
	v_mov_b32_e32 v10, 0x7f800001
	s_and_saveexec_b64 s[22:23], vcc
	s_cbranch_execz .LBB469_728
; %bb.727:
	v_and_b32_e32 v10, 7, v6
	v_ffbh_u32_e32 v20, v10
	v_min_u32_e32 v22, 32, v20
	v_subrev_u32_e32 v20, 28, v22
	v_lshlrev_b64 v[20:21], v20, v[6:7]
	v_lshrrev_b32_e32 v19, 3, v7
	v_sub_u32_e32 v21, 29, v22
	v_and_b32_e32 v20, 7, v20
	v_cmp_gt_u32_e32 vcc, 8, v7
	v_cndmask_b32_e32 v7, v19, v21, vcc
	v_cndmask_b32_e32 v10, v10, v20, vcc
	v_lshlrev_b32_e32 v6, 24, v6
	v_bfrev_b32_e32 v19, 60
	v_lshlrev_b32_e32 v10, 20, v10
	v_and_b32_e32 v6, 0x80000000, v6
	v_lshl_add_u32 v7, v7, 23, v19
	v_or3_b32 v10, v6, v7, v10
.LBB469_728:
	s_or_b64 exec, exec, s[22:23]
.LBB469_729:
	s_or_b64 exec, exec, s[20:21]
.LBB469_730:
	s_or_b64 exec, exec, s[10:11]
	v_cvt_pkrtz_f16_f32 v6, v14, v15
	v_cvt_pkrtz_f16_f32 v7, v13, v16
	;; [unrolled: 1-line block ×4, first 2 shown]
	v_mfma_f32_4x4x4f16 a[0:3], v[2:3], v[6:7], a[0:3] cbsz:4 abid:14
	v_cmp_ne_u16_sdwa s[20:21], v8, v12 src0_sel:BYTE_0 src1_sel:DWORD
	v_mfma_f32_4x4x4f16 a[0:3], v[4:5], v[14:15], a[0:3] cbsz:4 abid:14
	s_and_saveexec_b64 s[10:11], s[20:21]
	s_cbranch_execz .LBB469_736
; %bb.731:
	s_movk_i32 s20, 0x80
	v_cmp_ne_u16_sdwa s[22:23], v8, s20 src0_sel:BYTE_0 src1_sel:DWORD
	v_bfrev_b32_e32 v12, 1
	s_and_saveexec_b64 s[20:21], s[22:23]
	s_cbranch_execz .LBB469_735
; %bb.732:
	s_movk_i32 s22, 0x7f
	v_and_b32_e32 v6, 0x7f, v8
	v_cmp_ne_u32_e32 vcc, s22, v6
	v_mov_b32_e32 v12, 0x7f800001
	s_and_saveexec_b64 s[22:23], vcc
	s_cbranch_execz .LBB469_734
; %bb.733:
	v_and_b32_e32 v7, 7, v8
	v_ffbh_u32_e32 v7, v7
	v_min_u32_e32 v7, 32, v7
	v_subrev_u32_e32 v11, 28, v7
	v_cmp_gt_u32_e32 vcc, 8, v6
	v_lshrrev_b32_e32 v10, 3, v6
	v_sub_u32_e32 v7, 29, v7
	v_cndmask_b32_e32 v6, 0, v11, vcc
	v_cndmask_b32_e32 v10, v10, v7, vcc
	v_lshlrev_b64 v[6:7], v6, v[8:9]
	v_lshlrev_b32_e32 v6, 20, v6
	v_lshlrev_b32_e32 v7, 24, v8
	v_bfrev_b32_e32 v11, 60
	v_and_b32_e32 v6, 0x700000, v6
	v_and_b32_e32 v7, 0x80000000, v7
	v_lshl_add_u32 v10, v10, 23, v11
	v_or3_b32 v12, v7, v10, v6
.LBB469_734:
	s_or_b64 exec, exec, s[22:23]
.LBB469_735:
	s_or_b64 exec, exec, s[20:21]
.LBB469_736:
	s_or_b64 exec, exec, s[10:11]
	v_lshrrev_b16_e32 v6, 8, v8
	v_cmp_ne_u16_e32 vcc, 0, v6
	v_mov_b32_e32 v11, 0
	v_mov_b32_e32 v13, 0
	s_and_saveexec_b64 s[10:11], vcc
	s_cbranch_execz .LBB469_742
; %bb.737:
	s_movk_i32 s20, 0x80
	v_cmp_ne_u16_e32 vcc, s20, v6
	v_bfrev_b32_e32 v13, 1
	s_and_saveexec_b64 s[20:21], vcc
	s_cbranch_execz .LBB469_741
; %bb.738:
	s_movk_i32 s22, 0x7f
	v_and_b32_e32 v7, 0x7f, v6
	v_cmp_ne_u32_e32 vcc, s22, v7
	v_mov_b32_e32 v13, 0x7f800001
	s_and_saveexec_b64 s[22:23], vcc
	s_cbranch_execz .LBB469_740
; %bb.739:
	v_and_b32_e32 v10, 7, v6
	v_ffbh_u32_e32 v14, v10
	v_min_u32_e32 v16, 32, v14
	v_subrev_u32_e32 v14, 28, v16
	v_lshlrev_b64 v[14:15], v14, v[6:7]
	v_lshrrev_b32_e32 v13, 3, v7
	v_sub_u32_e32 v6, 29, v16
	v_and_b32_e32 v14, 7, v14
	v_cmp_gt_u32_e32 vcc, 8, v7
	v_cndmask_b32_e32 v6, v13, v6, vcc
	v_cndmask_b32_e32 v7, v10, v14, vcc
	v_lshlrev_b32_e32 v10, 16, v8
	v_bfrev_b32_e32 v13, 60
	v_lshlrev_b32_e32 v7, 20, v7
	v_and_b32_e32 v10, 0x80000000, v10
	v_lshl_add_u32 v6, v6, 23, v13
	v_or3_b32 v13, v10, v6, v7
.LBB469_740:
	s_or_b64 exec, exec, s[22:23]
.LBB469_741:
	s_or_b64 exec, exec, s[20:21]
.LBB469_742:
	s_or_b64 exec, exec, s[10:11]
	s_movk_i32 s10, 0xff
	v_and_b32_sdwa v7, v8, s10 dst_sel:DWORD dst_unused:UNUSED_PAD src0_sel:WORD_1 src1_sel:DWORD
	v_lshrrev_b32_e32 v6, 16, v8
	v_cmp_ne_u16_e32 vcc, 0, v7
	s_and_saveexec_b64 s[10:11], vcc
	s_cbranch_execz .LBB469_748
; %bb.743:
	s_movk_i32 s20, 0x80
	v_cmp_ne_u16_e32 vcc, s20, v7
	v_bfrev_b32_e32 v11, 1
	s_and_saveexec_b64 s[20:21], vcc
	s_cbranch_execz .LBB469_747
; %bb.744:
	v_bfe_u32 v7, v8, 16, 7
	s_movk_i32 s22, 0x7f
	v_cmp_ne_u32_e32 vcc, s22, v7
	v_mov_b32_e32 v11, 0x7f800001
	s_and_saveexec_b64 s[22:23], vcc
	s_cbranch_execz .LBB469_746
; %bb.745:
	v_and_b32_e32 v14, 7, v6
	v_ffbh_u32_e32 v10, v14
	v_min_u32_e32 v16, 32, v10
	v_subrev_u32_e32 v10, 28, v16
	v_lshlrev_b64 v[10:11], v10, v[6:7]
	v_and_b32_e32 v10, 7, v10
	v_cmp_gt_u32_e32 vcc, 8, v7
	v_lshrrev_b32_e32 v15, 3, v7
	v_sub_u32_e32 v6, 29, v16
	v_cndmask_b32_e32 v7, v14, v10, vcc
	v_mov_b32_e32 v10, 24
	v_cndmask_b32_e32 v6, v15, v6, vcc
	v_lshlrev_b32_sdwa v10, v10, v8 dst_sel:DWORD dst_unused:UNUSED_PAD src0_sel:DWORD src1_sel:WORD_1
	v_bfrev_b32_e32 v11, 60
	v_lshlrev_b32_e32 v7, 20, v7
	v_and_b32_e32 v10, 0x80000000, v10
	v_lshl_add_u32 v6, v6, 23, v11
	v_or3_b32 v11, v10, v6, v7
.LBB469_746:
	s_or_b64 exec, exec, s[22:23]
.LBB469_747:
	s_or_b64 exec, exec, s[20:21]
.LBB469_748:
	s_or_b64 exec, exec, s[10:11]
	s_mov_b32 s10, 0xffffff
	v_cmp_lt_u32_e32 vcc, s10, v8
	v_mov_b32_e32 v7, 0
	v_mov_b32_e32 v14, 0
	s_and_saveexec_b64 s[10:11], vcc
	s_cbranch_execz .LBB469_754
; %bb.749:
	v_lshrrev_b32_e32 v6, 24, v8
	s_movk_i32 s20, 0x80
	v_cmp_ne_u32_e32 vcc, s20, v6
	v_bfrev_b32_e32 v14, 1
	s_and_saveexec_b64 s[20:21], vcc
	s_cbranch_execz .LBB469_753
; %bb.750:
	v_bfe_u32 v10, v8, 24, 7
	s_movk_i32 s22, 0x7f
	v_cmp_ne_u32_e32 vcc, s22, v10
	v_mov_b32_e32 v14, 0x7f800001
	s_and_saveexec_b64 s[22:23], vcc
	s_cbranch_execz .LBB469_752
; %bb.751:
	v_and_b32_e32 v16, 7, v6
	v_ffbh_u32_e32 v14, v16
	v_min_u32_e32 v18, 32, v14
	v_subrev_u32_e32 v14, 28, v18
	v_lshlrev_b64 v[14:15], v14, v[6:7]
	v_lshrrev_b32_e32 v17, 3, v10
	v_sub_u32_e32 v15, 29, v18
	v_and_b32_e32 v14, 7, v14
	v_cmp_gt_u32_e32 vcc, 8, v10
	v_cndmask_b32_e32 v10, v17, v15, vcc
	v_cndmask_b32_e32 v14, v16, v14, vcc
	v_lshlrev_b32_e32 v6, 24, v6
	v_bfrev_b32_e32 v15, 60
	v_lshlrev_b32_e32 v14, 20, v14
	v_and_b32_e32 v6, 0x80000000, v6
	v_lshl_add_u32 v10, v10, 23, v15
	v_or3_b32 v14, v6, v10, v14
.LBB469_752:
	s_or_b64 exec, exec, s[22:23]
.LBB469_753:
	s_or_b64 exec, exec, s[20:21]
.LBB469_754:
	s_or_b64 exec, exec, s[10:11]
	v_mov_b32_e32 v6, v9
	v_cmp_ne_u16_sdwa s[20:21], v9, v7 src0_sel:BYTE_0 src1_sel:DWORD
	s_and_saveexec_b64 s[10:11], s[20:21]
	s_cbranch_execz .LBB469_760
; %bb.755:
	s_movk_i32 s20, 0x80
	v_cmp_ne_u16_sdwa s[22:23], v9, s20 src0_sel:BYTE_0 src1_sel:DWORD
	v_bfrev_b32_e32 v10, 1
	s_and_saveexec_b64 s[20:21], s[22:23]
	s_cbranch_execz .LBB469_759
; %bb.756:
	s_movk_i32 s22, 0x7f
	v_and_b32_e32 v15, 0x7f, v9
	v_cmp_ne_u32_e32 vcc, s22, v15
	v_mov_b32_e32 v10, 0x7f800001
	s_and_saveexec_b64 s[22:23], vcc
	s_cbranch_execz .LBB469_758
; %bb.757:
	v_and_b32_e32 v10, 7, v9
	v_ffbh_u32_e32 v10, v10
	v_min_u32_e32 v10, 32, v10
	v_subrev_u32_e32 v17, 28, v10
	v_cmp_gt_u32_e32 vcc, 8, v15
	v_lshrrev_b32_e32 v16, 3, v15
	v_sub_u32_e32 v10, 29, v10
	v_cndmask_b32_e32 v15, 0, v17, vcc
	v_cndmask_b32_e32 v10, v16, v10, vcc
	v_lshlrev_b64 v[16:17], v15, v[6:7]
	v_lshlrev_b32_e32 v7, 20, v16
	v_lshlrev_b32_e32 v15, 24, v6
	v_bfrev_b32_e32 v16, 60
	v_and_b32_e32 v7, 0x700000, v7
	v_and_b32_e32 v15, 0x80000000, v15
	v_lshl_add_u32 v10, v10, 23, v16
	v_or3_b32 v10, v15, v10, v7
.LBB469_758:
	s_or_b64 exec, exec, s[22:23]
.LBB469_759:
	s_or_b64 exec, exec, s[20:21]
	v_mov_b32_e32 v7, v10
.LBB469_760:
	s_or_b64 exec, exec, s[10:11]
	v_lshrrev_b16_e32 v10, 8, v6
	v_cmp_ne_u16_e32 vcc, 0, v10
	v_mov_b32_e32 v15, 0
	v_mov_b32_e32 v16, 0
	s_and_saveexec_b64 s[10:11], vcc
	s_cbranch_execz .LBB469_766
; %bb.761:
	s_movk_i32 s20, 0x80
	v_cmp_ne_u16_e32 vcc, s20, v10
	v_bfrev_b32_e32 v16, 1
	s_and_saveexec_b64 s[20:21], vcc
	s_cbranch_execz .LBB469_765
; %bb.762:
	s_movk_i32 s22, 0x7f
	v_and_b32_e32 v17, 0x7f, v10
	v_cmp_ne_u32_e32 vcc, s22, v17
	v_mov_b32_e32 v16, 0x7f800001
	s_and_saveexec_b64 s[22:23], vcc
	s_cbranch_execz .LBB469_764
; %bb.763:
	v_and_b32_e32 v16, 7, v10
	v_ffbh_u32_e32 v18, v16
	v_min_u32_e32 v21, 32, v18
	v_subrev_u32_e32 v18, 28, v21
	v_lshlrev_b64 v[18:19], v18, v[10:11]
	v_lshrrev_b32_e32 v20, 3, v17
	v_sub_u32_e32 v10, 29, v21
	v_and_b32_e32 v18, 7, v18
	v_cmp_gt_u32_e32 vcc, 8, v17
	v_cndmask_b32_e32 v10, v20, v10, vcc
	v_cndmask_b32_e32 v16, v16, v18, vcc
	v_lshlrev_b32_e32 v6, 16, v6
	v_bfrev_b32_e32 v17, 60
	v_lshlrev_b32_e32 v16, 20, v16
	v_and_b32_e32 v6, 0x80000000, v6
	v_lshl_add_u32 v10, v10, 23, v17
	v_or3_b32 v16, v6, v10, v16
.LBB469_764:
	s_or_b64 exec, exec, s[22:23]
.LBB469_765:
	s_or_b64 exec, exec, s[20:21]
.LBB469_766:
	s_or_b64 exec, exec, s[10:11]
	s_movk_i32 s10, 0xff
	v_and_b32_sdwa v10, v9, s10 dst_sel:DWORD dst_unused:UNUSED_PAD src0_sel:WORD_1 src1_sel:DWORD
	v_lshrrev_b32_e32 v6, 16, v9
	v_cmp_ne_u16_e32 vcc, 0, v10
	s_and_saveexec_b64 s[10:11], vcc
	s_cbranch_execz .LBB469_772
; %bb.767:
	s_movk_i32 s20, 0x80
	v_cmp_ne_u16_e32 vcc, s20, v10
	v_bfrev_b32_e32 v15, 1
	s_and_saveexec_b64 s[20:21], vcc
	s_cbranch_execz .LBB469_771
; %bb.768:
	v_bfe_u32 v10, v9, 16, 7
	s_movk_i32 s22, 0x7f
	v_cmp_ne_u32_e32 vcc, s22, v10
	v_mov_b32_e32 v15, 0x7f800001
	s_and_saveexec_b64 s[22:23], vcc
	s_cbranch_execz .LBB469_770
; %bb.769:
	v_and_b32_e32 v15, 7, v6
	v_ffbh_u32_e32 v18, v15
	v_min_u32_e32 v20, 32, v18
	v_subrev_u32_e32 v18, 28, v20
	v_lshlrev_b64 v[18:19], v18, v[6:7]
	v_and_b32_e32 v18, 7, v18
	v_cmp_gt_u32_e32 vcc, 8, v10
	v_lshrrev_b32_e32 v17, 3, v10
	v_sub_u32_e32 v6, 29, v20
	v_cndmask_b32_e32 v10, v15, v18, vcc
	v_mov_b32_e32 v15, 24
	v_cndmask_b32_e32 v6, v17, v6, vcc
	v_lshlrev_b32_sdwa v15, v15, v9 dst_sel:DWORD dst_unused:UNUSED_PAD src0_sel:DWORD src1_sel:WORD_1
	v_bfrev_b32_e32 v17, 60
	v_lshlrev_b32_e32 v10, 20, v10
	v_and_b32_e32 v15, 0x80000000, v15
	v_lshl_add_u32 v6, v6, 23, v17
	v_or3_b32 v15, v15, v6, v10
.LBB469_770:
	s_or_b64 exec, exec, s[22:23]
.LBB469_771:
	s_or_b64 exec, exec, s[20:21]
.LBB469_772:
	s_or_b64 exec, exec, s[10:11]
	s_mov_b32 s10, -1
	s_mov_b32 s11, 0xffffff
	v_cmp_lt_u64_e32 vcc, s[10:11], v[8:9]
	v_mov_b32_e32 v8, 0
	s_and_saveexec_b64 s[10:11], vcc
	s_cbranch_execz .LBB469_778
; %bb.773:
	v_lshrrev_b32_e32 v6, 24, v9
	s_movk_i32 s20, 0x80
	v_cmp_ne_u32_e32 vcc, s20, v6
	v_bfrev_b32_e32 v8, 1
	s_and_saveexec_b64 s[20:21], vcc
	s_cbranch_execz .LBB469_777
; %bb.774:
	v_bfe_u32 v9, v9, 24, 7
	s_movk_i32 s22, 0x7f
	v_cmp_ne_u32_e32 vcc, s22, v9
	v_mov_b32_e32 v8, 0x7f800001
	s_and_saveexec_b64 s[22:23], vcc
	s_cbranch_execz .LBB469_776
; %bb.775:
	v_and_b32_e32 v8, 7, v6
	v_ffbh_u32_e32 v17, v8
	v_min_u32_e32 v17, 32, v17
	v_subrev_u32_e32 v18, 28, v17
	v_lshlrev_b64 v[18:19], v18, v[6:7]
	v_lshrrev_b32_e32 v10, 3, v9
	v_sub_u32_e32 v17, 29, v17
	v_and_b32_e32 v18, 7, v18
	v_cmp_gt_u32_e32 vcc, 8, v9
	v_cndmask_b32_e32 v9, v10, v17, vcc
	v_cndmask_b32_e32 v8, v8, v18, vcc
	v_lshlrev_b32_e32 v6, 24, v6
	v_bfrev_b32_e32 v10, 60
	v_lshlrev_b32_e32 v8, 20, v8
	v_and_b32_e32 v6, 0x80000000, v6
	v_lshl_add_u32 v9, v9, 23, v10
	v_or3_b32 v8, v6, v9, v8
.LBB469_776:
	s_or_b64 exec, exec, s[22:23]
.LBB469_777:
	s_or_b64 exec, exec, s[20:21]
.LBB469_778:
	s_or_b64 exec, exec, s[10:11]
	s_load_dword s4, s[4:5], 0x1c
	v_cvt_pkrtz_f16_f32 v10, v12, v13
	v_cvt_pkrtz_f16_f32 v11, v11, v14
	s_load_dword s5, s[12:13], 0x0
	v_cvt_pkrtz_f16_f32 v6, v7, v16
	v_mfma_f32_4x4x4f16 a[0:3], v[2:3], v[10:11], a[0:3] cbsz:4 abid:15
	v_cvt_pkrtz_f16_f32 v7, v15, v8
	s_waitcnt lgkmcnt(0)
	v_mov_b32_e32 v2, s4
	v_cmp_eq_u32_e32 vcc, 0, v44
	v_mfma_f32_4x4x4f16 a[0:3], v[4:5], v[6:7], a[0:3] cbsz:4 abid:15
	v_mul_f32_e32 v4, s5, v2
	v_mov_b32_e32 v9, 0xff7fffff
	s_nop 2
	v_accvgpr_read_b32 v7, a1
	v_accvgpr_read_b32 v6, a0
	v_pk_mul_f32 v[6:7], v[6:7], v[4:5] op_sel_hi:[1,0]
	v_accvgpr_read_b32 v3, a3
	v_accvgpr_read_b32 v2, a2
	v_pk_mul_f32 v[2:3], v[2:3], v[4:5] op_sel_hi:[1,0]
	v_cndmask_b32_e64 v4, 0, 1.0, vcc
	v_cmp_eq_u32_e32 vcc, 1, v44
	s_nop 0
	v_mfma_f32_4x4x1f32 a[0:3], v6, v4, 0
	v_cndmask_b32_e64 v4, 0, 1.0, vcc
	v_cmp_eq_u32_e32 vcc, 2, v44
	s_nop 0
	v_mfma_f32_4x4x1f32 a[0:3], v7, v4, a[0:3]
	;; [unrolled: 4-line block ×3, first 2 shown]
	v_cndmask_b32_e64 v2, 0, 1.0, vcc
	s_nop 1
	v_mfma_f32_4x4x1f32 a[0:3], v3, v2, a[0:3]
	v_and_b32_e32 v2, -4, v45
	v_subrev_u32_e32 v3, s9, v2
	v_add_u32_e32 v4, 1, v3
	v_cvt_f32_i32_e32 v4, v4
	v_add_u32_e32 v5, 2, v3
	v_cvt_f32_i32_e32 v5, v5
	v_accvgpr_read_b32 v6, a0
	s_waitcnt vmcnt(12)
	v_fma_f32 v4, v46, v4, v6
	v_accvgpr_read_b32 v6, a1
	v_fma_f32 v5, v46, v5, v6
	v_add_u32_e32 v6, 3, v3
	v_cvt_f32_i32_e32 v6, v6
	v_accvgpr_read_b32 v7, a2
	v_add_u32_e32 v3, 4, v3
	v_cmp_gt_i32_e32 vcc, s9, v2
	v_fma_f32 v7, v46, v6, v7
	v_max_f32_e32 v6, 0xff7fffff, v4
	v_cvt_f32_i32_e32 v3, v3
	v_cndmask_b32_e32 v6, v9, v6, vcc
	v_or_b32_e32 v9, 1, v2
	v_max_f32_e32 v10, v6, v5
	v_cmp_gt_i32_e64 s[4:5], s9, v9
	v_cndmask_b32_e64 v6, v6, v10, s[4:5]
	v_or_b32_e32 v2, 2, v2
	v_accvgpr_read_b32 v8, a3
	v_max_f32_e32 v9, v6, v7
	v_cmp_gt_i32_e64 s[10:11], s9, v2
	v_fmac_f32_e32 v8, v46, v3
	v_cndmask_b32_e64 v2, v6, v9, s[10:11]
	v_or_b32_e32 v6, 3, v45
	v_max_f32_e32 v9, v2, v8
	v_cmp_gt_i32_e64 s[12:13], s9, v6
	v_lshlrev_b32_e32 v3, 2, v0
	v_cndmask_b32_e64 v2, v2, v9, s[12:13]
	v_and_or_b32 v3, v3, 48, v44
	;;#ASMSTART
	v_nop
 v_nop
 v_max_f32_dpp v2, v2, v2 row_ror:4
	;;#ASMEND
	v_lshlrev_b32_e32 v9, 2, v3
	;;#ASMSTART
	v_nop
 v_nop
 v_max_f32_dpp v2, v2, v2 row_ror:8
	;;#ASMEND
	ds_bpermute_b32 v2, v9, v2
	s_waitcnt lgkmcnt(0)
	;;#ASMSTART
	v_nop
 v_nop
 v_max_f32_dpp v2, v2, v2 row_ror:4
	;;#ASMEND
	;;#ASMSTART
	v_nop
 v_nop
 v_max_f32_dpp v6, v2, v2 row_ror:8
	;;#ASMEND
	v_sub_f32_e32 v2, v4, v6
	v_mul_f32_e32 v2, 0x3fb8aa3b, v2
	v_sub_f32_e32 v3, v5, v6
	v_exp_f32_e32 v2, v2
	v_mul_f32_e32 v3, 0x3fb8aa3b, v3
	v_sub_f32_e32 v5, v7, v6
	v_exp_f32_e32 v3, v3
	;; [unrolled: 3-line block ×3, first 2 shown]
	v_mul_f32_e32 v7, 0x3fb8aa3b, v7
	v_exp_f32_e32 v7, v7
	v_cndmask_b32_e32 v2, 0, v2, vcc
	v_add_f32_e32 v4, 0, v2
	v_cndmask_b32_e64 v3, 0, v3, s[4:5]
	v_add_f32_e32 v8, v4, v3
	v_cndmask_b32_e64 v4, 0, v5, s[10:11]
	;; [unrolled: 2-line block ×3, first 2 shown]
	v_add_f32_e32 v7, v8, v5
	;;#ASMSTART
	v_nop
 v_nop
 v_add_f32_dpp v7, v7, v7 row_ror:4
	;;#ASMEND
	;;#ASMSTART
	v_nop
 v_nop
 v_add_f32_dpp v7, v7, v7 row_ror:8
	;;#ASMEND
	ds_bpermute_b32 v7, v9, v7
	s_waitcnt lgkmcnt(0)
	;;#ASMSTART
	v_nop
 v_nop
 v_add_f32_dpp v7, v7, v7 row_ror:4
	;;#ASMEND
	v_cmp_gt_u32_e32 vcc, 4, v1
	;;#ASMSTART
	v_nop
 v_nop
 v_add_f32_dpp v7, v7, v7 row_ror:8
	;;#ASMEND
	s_and_saveexec_b64 s[4:5], vcc
	s_cbranch_execz .LBB469_780
; %bb.779:
	v_mul_u32_u24_e32 v8, 20, v43
	v_lshl_add_u32 v8, v44, 2, v8
	v_add_u32_e32 v8, 0x1400, v8
	ds_write2_b32 v8, v6, v7 offset1:20
.LBB469_780:
	s_or_b64 exec, exec, s[4:5]
.LBB469_781:
	s_or_b64 exec, exec, s[36:37]
	v_lshlrev_b32_e32 v7, 2, v44
	v_add_u32_e32 v7, 0x1400, v7
	s_waitcnt lgkmcnt(0)
	s_barrier
	s_load_dword s4, s[34:35], 0x8
	ds_read2_b32 v[10:11], v7 offset1:5
	ds_read2_b32 v[12:13], v7 offset0:10 offset1:15
	s_mov_b32 s12, 0xff7fffff
	s_mul_i32 s5, s8, s48
	ds_read2_b32 v[14:15], v7 offset0:20 offset1:25
	s_waitcnt lgkmcnt(0)
	v_max3_f32 v8, v10, s12, v11
	v_max3_f32 v8, v8, v12, v13
	v_sub_f32_e32 v9, v10, v8
	v_sub_f32_e32 v10, v11, v8
	v_mul_f32_e32 v9, 0x3fb8aa3b, v9
	v_mul_f32_e32 v10, 0x3fb8aa3b, v10
	s_mul_i32 s5, s5, s4
	v_exp_f32_e32 v9, v9
	v_exp_f32_e32 v16, v10
	ds_read2_b32 v[10:11], v7 offset0:30 offset1:35
	v_sub_f32_e32 v7, v12, v8
	s_lshl_b32 s4, s5, 2
	s_mov_b32 s5, 0
	v_mul_f32_e32 v7, 0x3fb8aa3b, v7
	v_sub_f32_e32 v12, v13, v8
	s_lshl_b64 s[8:9], s[4:5], 2
	v_exp_f32_e32 v7, v7
	v_mul_f32_e32 v12, 0x3fb8aa3b, v12
	s_add_u32 s10, s16, s8
	v_exp_f32_e32 v12, v12
	s_addc_u32 s11, s17, s9
	v_fma_f32 v9, v9, v14, 0
	s_mov_b32 s29, s5
	s_add_u32 s12, s18, s8
	v_fmac_f32_e32 v9, v16, v15
	s_addc_u32 s13, s19, s9
	s_lshl_b64 s[8:9], s[28:29], 2
	s_waitcnt lgkmcnt(0)
	v_fmac_f32_e32 v9, v7, v10
	s_add_u32 s12, s12, s8
	v_fmac_f32_e32 v9, v12, v11
	v_mul_lo_u32 v10, s48, v38
	v_mov_b32_e32 v11, 0
	s_addc_u32 s13, s13, s9
	v_lshlrev_b64 v[10:11], 2, v[10:11]
	s_add_u32 s8, s10, s8
	v_mov_b32_e32 v7, s13
	v_add_co_u32_e32 v12, vcc, s12, v10
	s_addc_u32 s9, s11, s9
	v_addc_co_u32_e32 v13, vcc, v7, v11, vcc
	v_mov_b32_e32 v7, s9
	v_add_co_u32_e32 v10, vcc, s8, v10
	v_addc_co_u32_e32 v11, vcc, v7, v11, vcc
	v_lshlrev_b32_e32 v7, 3, v43
	global_store_dword v[12:13], v8, off
	global_store_dword v[10:11], v9, off
	s_and_saveexec_b64 s[8:9], s[6:7]
	s_xor_b64 s[6:7], exec, s[8:9]
	s_cbranch_execz .LBB469_783
; %bb.782:
	s_mov_b32 s8, s5
	s_mov_b32 s9, s5
	v_mad_u32_u24 v4, v1, 40, v7
	v_pk_mov_b32 v[2:3], s[8:9], s[8:9] op_sel:[0,1]
	ds_write2st64_b64 v4, v[2:3], v[2:3] offset1:5
                                        ; implicit-def: $vgpr7
                                        ; implicit-def: $vgpr6
                                        ; implicit-def: $vgpr8
                                        ; implicit-def: $vgpr9
                                        ; implicit-def: $vgpr4
                                        ; implicit-def: $vgpr2
.LBB469_783:
	s_andn2_saveexec_b64 s[6:7], s[6:7]
	s_cbranch_execz .LBB469_1171
; %bb.784:
	v_add_f32_e32 v9, 0x358637bd, v9
	v_div_scale_f32 v10, s[8:9], v9, v9, 1.0
	v_rcp_f32_e32 v11, v10
	v_sub_f32_e32 v6, v6, v8
	v_mul_f32_e32 v6, 0x3fb8aa3b, v6
	v_exp_f32_e32 v6, v6
	v_fma_f32 v8, -v10, v11, 1.0
	v_fmac_f32_e32 v11, v8, v11
	v_div_scale_f32 v8, vcc, 1.0, v9, 1.0
	v_mul_f32_e32 v12, v8, v11
	v_fma_f32 v13, -v10, v12, v8
	v_fmac_f32_e32 v12, v13, v11
	v_fma_f32 v8, -v10, v12, v8
	v_div_fmas_f32 v8, v8, v11, v12
	v_div_fixup_f32 v8, v8, v9, 1.0
	v_mul_f32_e32 v6, v6, v8
	v_pk_mul_f32 v[4:5], v[4:5], v[6:7] op_sel_hi:[1,0]
	v_pk_mul_f32 v[2:3], v[2:3], v[6:7] op_sel_hi:[1,0]
	s_load_dword s8, s[14:15], 0x0
	v_cvt_f16_f32_e32 v2, v2
	v_cvt_f16_f32_e32 v3, v3
	;; [unrolled: 1-line block ×4, first 2 shown]
	v_mov_b32_e32 v11, 0
	v_add_u32_e32 v5, 64, v11
	v_pack_b32_f16 v2, v2, v3
	v_pack_b32_f16 v3, v4, v6
	s_waitcnt lgkmcnt(0)
	s_mov_b32 s9, s8
	s_mov_b32 s10, s8
	;; [unrolled: 1-line block ×4, first 2 shown]
	s_mov_b64 s[12:13], -1
	s_movk_i32 s5, 0x80
	s_movk_i32 s21, 0x7f
	s_mov_b32 s22, 0xffffff
	v_mov_b32_e32 v9, 0
	v_bfrev_b32_e32 v10, 60
	s_branch .LBB469_788
.LBB469_785:                            ;   in Loop: Header=BB469_788 Depth=1
	s_or_b64 exec, exec, s[18:19]
.LBB469_786:                            ;   in Loop: Header=BB469_788 Depth=1
	s_or_b64 exec, exec, s[16:17]
.LBB469_787:                            ;   in Loop: Header=BB469_788 Depth=1
	s_or_b64 exec, exec, s[14:15]
	v_cvt_pkrtz_f16_f32 v12, v13, v12
	v_cvt_pkrtz_f16_f32 v13, v11, v15
	;; [unrolled: 1-line block ×4, first 2 shown]
	v_mfma_f32_4x4x4f16 a[0:3], v[2:3], v[12:13], a[0:3] cbsz:4 abid:14
	s_mul_i32 s14, s20, 0xa00
	v_mfma_f32_4x4x4f16 a[0:3], v[2:3], v[14:15], a[0:3] cbsz:4 abid:15
	s_mov_b32 s20, 1
	s_nop 3
	v_accvgpr_read_b32 v15, a1
	v_accvgpr_read_b32 v14, a0
	v_pk_mul_f32 v[14:15], v[14:15], s[8:9]
	v_accvgpr_read_b32 v13, a3
	v_accvgpr_read_b32 v12, a2
	v_cvt_f16_f32_e32 v4, v14
	v_cvt_f16_f32_e32 v6, v15
	v_pk_mul_f32 v[12:13], v[12:13], s[10:11]
	v_cvt_f16_f32_e32 v8, v12
	v_cvt_f16_f32_e32 v11, v13
	v_pack_b32_f16 v12, v4, v6
	v_mul_u32_u24_e32 v4, 40, v1
	v_add3_u32 v4, s14, v4, v7
	s_xor_b64 s[14:15], s[12:13], -1
	v_pack_b32_f16 v13, v8, v11
	s_mov_b64 s[12:13], 0
	s_andn2_b64 vcc, exec, s[14:15]
	v_mov_b32_e32 v11, v5
	ds_write_b64 v4, v[12:13]
	s_cbranch_vccz .LBB469_1171
.LBB469_788:                            ; =>This Inner Loop Header: Depth=1
	buffer_load_dword v6, v11, s[0:3], 0 offen
	buffer_load_dword v4, v11, s[0:3], 0 offen offset:4
	v_mov_b32_e32 v13, 0
	s_waitcnt vmcnt(1)
	v_cmp_ne_u16_sdwa s[16:17], v6, v9 src0_sel:BYTE_0 src1_sel:DWORD
	s_and_saveexec_b64 s[14:15], s[16:17]
	s_cbranch_execz .LBB469_794
; %bb.789:                              ;   in Loop: Header=BB469_788 Depth=1
	v_cmp_ne_u16_sdwa s[18:19], v6, s5 src0_sel:BYTE_0 src1_sel:DWORD
	v_bfrev_b32_e32 v13, 1
	s_and_saveexec_b64 s[16:17], s[18:19]
	s_cbranch_execz .LBB469_793
; %bb.790:                              ;   in Loop: Header=BB469_788 Depth=1
	v_and_b32_e32 v8, 0x7f, v6
	v_cmp_ne_u32_e32 vcc, s21, v8
	v_mov_b32_e32 v13, 0x7f800001
	s_and_saveexec_b64 s[18:19], vcc
	s_cbranch_execz .LBB469_792
; %bb.791:                              ;   in Loop: Header=BB469_788 Depth=1
	v_and_b32_e32 v14, 7, v6
	v_ffbh_u32_e32 v12, v14
	v_min_u32_e32 v16, 32, v12
	v_subrev_u32_e32 v12, 28, v16
	v_lshlrev_b64 v[12:13], v12, v[6:7]
	v_lshrrev_b32_e32 v15, 3, v8
	v_sub_u32_e32 v13, 29, v16
	v_and_b32_e32 v12, 7, v12
	v_cmp_gt_u32_e32 vcc, 8, v8
	v_cndmask_b32_e32 v8, v15, v13, vcc
	v_cndmask_b32_e32 v12, v14, v12, vcc
	v_lshlrev_b32_e32 v13, 24, v6
	v_lshlrev_b32_e32 v12, 20, v12
	v_and_b32_e32 v13, 0x80000000, v13
	v_lshl_add_u32 v8, v8, 23, v10
	v_or3_b32 v13, v13, v8, v12
.LBB469_792:                            ;   in Loop: Header=BB469_788 Depth=1
	s_or_b64 exec, exec, s[18:19]
.LBB469_793:                            ;   in Loop: Header=BB469_788 Depth=1
	s_or_b64 exec, exec, s[16:17]
.LBB469_794:                            ;   in Loop: Header=BB469_788 Depth=1
	s_or_b64 exec, exec, s[14:15]
	v_lshrrev_b16_e32 v8, 8, v6
	v_cmp_ne_u16_e32 vcc, 0, v8
	v_mov_b32_e32 v14, 0
	v_mov_b32_e32 v15, 0
	s_and_saveexec_b64 s[14:15], vcc
	s_cbranch_execz .LBB469_800
; %bb.795:                              ;   in Loop: Header=BB469_788 Depth=1
	v_cmp_ne_u16_e32 vcc, s5, v8
	v_bfrev_b32_e32 v15, 1
	s_and_saveexec_b64 s[16:17], vcc
	s_cbranch_execz .LBB469_799
; %bb.796:                              ;   in Loop: Header=BB469_788 Depth=1
	v_and_b32_e32 v12, 0x7f, v8
	v_cmp_ne_u32_e32 vcc, s21, v12
	v_mov_b32_e32 v15, 0x7f800001
	s_and_saveexec_b64 s[18:19], vcc
	s_cbranch_execz .LBB469_798
; %bb.797:                              ;   in Loop: Header=BB469_788 Depth=1
	v_and_b32_e32 v15, 7, v8
	v_ffbh_u32_e32 v16, v15
	v_min_u32_e32 v19, 32, v16
	v_subrev_u32_e32 v16, 28, v19
	v_lshlrev_b64 v[16:17], v16, v[8:9]
	v_lshrrev_b32_e32 v18, 3, v12
	v_sub_u32_e32 v8, 29, v19
	v_and_b32_e32 v16, 7, v16
	v_cmp_gt_u32_e32 vcc, 8, v12
	v_cndmask_b32_e32 v8, v18, v8, vcc
	v_cndmask_b32_e32 v12, v15, v16, vcc
	v_lshlrev_b32_e32 v15, 16, v6
	v_lshlrev_b32_e32 v12, 20, v12
	v_and_b32_e32 v15, 0x80000000, v15
	v_lshl_add_u32 v8, v8, 23, v10
	v_or3_b32 v15, v15, v8, v12
.LBB469_798:                            ;   in Loop: Header=BB469_788 Depth=1
	s_or_b64 exec, exec, s[18:19]
.LBB469_799:                            ;   in Loop: Header=BB469_788 Depth=1
	s_or_b64 exec, exec, s[16:17]
.LBB469_800:                            ;   in Loop: Header=BB469_788 Depth=1
	s_or_b64 exec, exec, s[14:15]
	v_lshrrev_b32_e32 v8, 16, v6
	v_cmp_ne_u16_sdwa s[16:17], v8, v9 src0_sel:BYTE_0 src1_sel:DWORD
	s_and_saveexec_b64 s[14:15], s[16:17]
	s_cbranch_execz .LBB469_806
; %bb.801:                              ;   in Loop: Header=BB469_788 Depth=1
	v_cmp_ne_u16_sdwa s[18:19], v8, s5 src0_sel:BYTE_0 src1_sel:DWORD
	v_bfrev_b32_e32 v14, 1
	s_and_saveexec_b64 s[16:17], s[18:19]
	s_cbranch_execz .LBB469_805
; %bb.802:                              ;   in Loop: Header=BB469_788 Depth=1
	v_bfe_u32 v12, v6, 16, 7
	v_cmp_ne_u32_e32 vcc, s21, v12
	v_mov_b32_e32 v14, 0x7f800001
	s_and_saveexec_b64 s[18:19], vcc
	s_cbranch_execz .LBB469_804
; %bb.803:                              ;   in Loop: Header=BB469_788 Depth=1
	v_and_b32_e32 v14, 7, v8
	v_ffbh_u32_e32 v16, v14
	v_min_u32_e32 v19, 32, v16
	v_subrev_u32_e32 v16, 28, v19
	v_lshlrev_b64 v[16:17], v16, v[8:9]
	v_lshrrev_b32_e32 v18, 3, v12
	v_sub_u32_e32 v17, 29, v19
	v_and_b32_e32 v16, 7, v16
	v_cmp_gt_u32_e32 vcc, 8, v12
	v_cndmask_b32_e32 v12, v18, v17, vcc
	v_cndmask_b32_e32 v14, v14, v16, vcc
	v_lshlrev_b32_e32 v8, 24, v8
	v_lshlrev_b32_e32 v14, 20, v14
	v_and_b32_e32 v8, 0x80000000, v8
	v_lshl_add_u32 v12, v12, 23, v10
	v_or3_b32 v14, v8, v12, v14
.LBB469_804:                            ;   in Loop: Header=BB469_788 Depth=1
	s_or_b64 exec, exec, s[18:19]
.LBB469_805:                            ;   in Loop: Header=BB469_788 Depth=1
	s_or_b64 exec, exec, s[16:17]
.LBB469_806:                            ;   in Loop: Header=BB469_788 Depth=1
	s_or_b64 exec, exec, s[14:15]
	v_cmp_lt_u32_e32 vcc, s22, v6
	v_mov_b32_e32 v16, 0
	v_mov_b32_e32 v17, 0
	s_and_saveexec_b64 s[14:15], vcc
	s_cbranch_execz .LBB469_812
; %bb.807:                              ;   in Loop: Header=BB469_788 Depth=1
	v_lshrrev_b32_e32 v8, 24, v6
	v_cmp_ne_u32_e32 vcc, s5, v8
	v_bfrev_b32_e32 v17, 1
	s_and_saveexec_b64 s[16:17], vcc
	s_cbranch_execz .LBB469_811
; %bb.808:                              ;   in Loop: Header=BB469_788 Depth=1
	v_bfe_u32 v6, v6, 24, 7
	v_cmp_ne_u32_e32 vcc, s21, v6
	v_mov_b32_e32 v17, 0x7f800001
	s_and_saveexec_b64 s[18:19], vcc
	s_cbranch_execz .LBB469_810
; %bb.809:                              ;   in Loop: Header=BB469_788 Depth=1
	v_and_b32_e32 v12, 7, v8
	v_ffbh_u32_e32 v18, v12
	v_min_u32_e32 v20, 32, v18
	v_subrev_u32_e32 v18, 28, v20
	v_lshlrev_b64 v[18:19], v18, v[8:9]
	v_lshrrev_b32_e32 v17, 3, v6
	v_sub_u32_e32 v19, 29, v20
	v_and_b32_e32 v18, 7, v18
	v_cmp_gt_u32_e32 vcc, 8, v6
	v_cndmask_b32_e32 v6, v17, v19, vcc
	v_cndmask_b32_e32 v12, v12, v18, vcc
	v_lshlrev_b32_e32 v8, 24, v8
	v_lshlrev_b32_e32 v12, 20, v12
	v_and_b32_e32 v8, 0x80000000, v8
	v_lshl_add_u32 v6, v6, 23, v10
	v_or3_b32 v17, v8, v6, v12
.LBB469_810:                            ;   in Loop: Header=BB469_788 Depth=1
	s_or_b64 exec, exec, s[18:19]
.LBB469_811:                            ;   in Loop: Header=BB469_788 Depth=1
	s_or_b64 exec, exec, s[16:17]
.LBB469_812:                            ;   in Loop: Header=BB469_788 Depth=1
	s_or_b64 exec, exec, s[14:15]
	s_waitcnt vmcnt(0)
	v_cmp_ne_u16_sdwa s[16:17], v4, v9 src0_sel:BYTE_0 src1_sel:DWORD
	s_and_saveexec_b64 s[14:15], s[16:17]
	s_cbranch_execz .LBB469_818
; %bb.813:                              ;   in Loop: Header=BB469_788 Depth=1
	v_cmp_ne_u16_sdwa s[18:19], v4, s5 src0_sel:BYTE_0 src1_sel:DWORD
	v_bfrev_b32_e32 v16, 1
	s_and_saveexec_b64 s[16:17], s[18:19]
	s_cbranch_execz .LBB469_817
; %bb.814:                              ;   in Loop: Header=BB469_788 Depth=1
	v_and_b32_e32 v6, 0x7f, v4
	v_cmp_ne_u32_e32 vcc, s21, v6
	v_mov_b32_e32 v16, 0x7f800001
	s_and_saveexec_b64 s[18:19], vcc
	s_cbranch_execz .LBB469_816
; %bb.815:                              ;   in Loop: Header=BB469_788 Depth=1
	v_and_b32_e32 v8, 7, v4
	v_ffbh_u32_e32 v16, v8
	v_min_u32_e32 v16, 32, v16
	v_subrev_u32_e32 v18, 28, v16
	v_lshlrev_b64 v[18:19], v18, v[4:5]
	v_lshrrev_b32_e32 v12, 3, v6
	v_sub_u32_e32 v16, 29, v16
	v_and_b32_e32 v18, 7, v18
	v_cmp_gt_u32_e32 vcc, 8, v6
	v_cndmask_b32_e32 v6, v12, v16, vcc
	v_cndmask_b32_e32 v8, v8, v18, vcc
	v_lshlrev_b32_e32 v12, 24, v4
	v_lshlrev_b32_e32 v8, 20, v8
	v_and_b32_e32 v12, 0x80000000, v12
	v_lshl_add_u32 v6, v6, 23, v10
	v_or3_b32 v16, v12, v6, v8
.LBB469_816:                            ;   in Loop: Header=BB469_788 Depth=1
	s_or_b64 exec, exec, s[18:19]
.LBB469_817:                            ;   in Loop: Header=BB469_788 Depth=1
	s_or_b64 exec, exec, s[16:17]
.LBB469_818:                            ;   in Loop: Header=BB469_788 Depth=1
	s_or_b64 exec, exec, s[14:15]
	v_lshrrev_b16_e32 v6, 8, v4
	v_cmp_ne_u16_e32 vcc, 0, v6
	v_mov_b32_e32 v8, 0
	v_mov_b32_e32 v18, 0
	s_and_saveexec_b64 s[14:15], vcc
	s_cbranch_execz .LBB469_824
; %bb.819:                              ;   in Loop: Header=BB469_788 Depth=1
	v_cmp_ne_u16_e32 vcc, s5, v6
	v_bfrev_b32_e32 v18, 1
	s_and_saveexec_b64 s[16:17], vcc
	s_cbranch_execz .LBB469_823
; %bb.820:                              ;   in Loop: Header=BB469_788 Depth=1
	v_and_b32_e32 v12, 0x7f, v6
	v_cmp_ne_u32_e32 vcc, s21, v12
	v_mov_b32_e32 v18, 0x7f800001
	s_and_saveexec_b64 s[18:19], vcc
	s_cbranch_execz .LBB469_822
; %bb.821:                              ;   in Loop: Header=BB469_788 Depth=1
	v_and_b32_e32 v20, 7, v6
	v_ffbh_u32_e32 v18, v20
	v_min_u32_e32 v22, 32, v18
	v_subrev_u32_e32 v18, 28, v22
	v_lshlrev_b64 v[18:19], v18, v[6:7]
	v_lshrrev_b32_e32 v21, 3, v12
	v_sub_u32_e32 v6, 29, v22
	v_and_b32_e32 v18, 7, v18
	v_cmp_gt_u32_e32 vcc, 8, v12
	v_cndmask_b32_e32 v6, v21, v6, vcc
	v_cndmask_b32_e32 v12, v20, v18, vcc
	v_lshlrev_b32_e32 v18, 16, v4
	v_lshlrev_b32_e32 v12, 20, v12
	v_and_b32_e32 v18, 0x80000000, v18
	v_lshl_add_u32 v6, v6, 23, v10
	v_or3_b32 v18, v18, v6, v12
.LBB469_822:                            ;   in Loop: Header=BB469_788 Depth=1
	s_or_b64 exec, exec, s[18:19]
.LBB469_823:                            ;   in Loop: Header=BB469_788 Depth=1
	s_or_b64 exec, exec, s[16:17]
.LBB469_824:                            ;   in Loop: Header=BB469_788 Depth=1
	s_or_b64 exec, exec, s[14:15]
	v_lshrrev_b32_e32 v6, 16, v4
	v_cmp_ne_u16_sdwa s[16:17], v6, v9 src0_sel:BYTE_0 src1_sel:DWORD
	s_and_saveexec_b64 s[14:15], s[16:17]
	s_cbranch_execz .LBB469_830
; %bb.825:                              ;   in Loop: Header=BB469_788 Depth=1
	v_cmp_ne_u16_sdwa s[18:19], v6, s5 src0_sel:BYTE_0 src1_sel:DWORD
	v_bfrev_b32_e32 v8, 1
	s_and_saveexec_b64 s[16:17], s[18:19]
	s_cbranch_execz .LBB469_829
; %bb.826:                              ;   in Loop: Header=BB469_788 Depth=1
	v_bfe_u32 v12, v4, 16, 7
	v_cmp_ne_u32_e32 vcc, s21, v12
	v_mov_b32_e32 v8, 0x7f800001
	s_and_saveexec_b64 s[18:19], vcc
	s_cbranch_execz .LBB469_828
; %bb.827:                              ;   in Loop: Header=BB469_788 Depth=1
	v_and_b32_e32 v8, 7, v6
	v_ffbh_u32_e32 v20, v8
	v_min_u32_e32 v22, 32, v20
	v_subrev_u32_e32 v20, 28, v22
	v_lshlrev_b64 v[20:21], v20, v[6:7]
	v_lshrrev_b32_e32 v19, 3, v12
	v_sub_u32_e32 v21, 29, v22
	v_and_b32_e32 v20, 7, v20
	v_cmp_gt_u32_e32 vcc, 8, v12
	v_cndmask_b32_e32 v12, v19, v21, vcc
	v_cndmask_b32_e32 v8, v8, v20, vcc
	v_lshlrev_b32_e32 v6, 24, v6
	v_lshlrev_b32_e32 v8, 20, v8
	v_and_b32_e32 v6, 0x80000000, v6
	v_lshl_add_u32 v12, v12, 23, v10
	v_or3_b32 v8, v6, v12, v8
.LBB469_828:                            ;   in Loop: Header=BB469_788 Depth=1
	s_or_b64 exec, exec, s[18:19]
.LBB469_829:                            ;   in Loop: Header=BB469_788 Depth=1
	s_or_b64 exec, exec, s[16:17]
.LBB469_830:                            ;   in Loop: Header=BB469_788 Depth=1
	s_or_b64 exec, exec, s[14:15]
	v_cmp_lt_u32_e32 vcc, s22, v4
	v_mov_b32_e32 v12, 0
	v_mov_b32_e32 v19, 0
	s_and_saveexec_b64 s[14:15], vcc
	s_cbranch_execz .LBB469_836
; %bb.831:                              ;   in Loop: Header=BB469_788 Depth=1
	v_lshrrev_b32_e32 v6, 24, v4
	v_cmp_ne_u32_e32 vcc, s5, v6
	v_bfrev_b32_e32 v19, 1
	s_and_saveexec_b64 s[16:17], vcc
	s_cbranch_execz .LBB469_835
; %bb.832:                              ;   in Loop: Header=BB469_788 Depth=1
	v_bfe_u32 v4, v4, 24, 7
	v_cmp_ne_u32_e32 vcc, s21, v4
	v_mov_b32_e32 v19, 0x7f800001
	s_and_saveexec_b64 s[18:19], vcc
	s_cbranch_execz .LBB469_834
; %bb.833:                              ;   in Loop: Header=BB469_788 Depth=1
	v_and_b32_e32 v19, 7, v6
	v_ffbh_u32_e32 v20, v19
	v_min_u32_e32 v23, 32, v20
	v_subrev_u32_e32 v20, 28, v23
	v_lshlrev_b64 v[20:21], v20, v[6:7]
	v_lshrrev_b32_e32 v22, 3, v4
	v_sub_u32_e32 v21, 29, v23
	v_and_b32_e32 v20, 7, v20
	v_cmp_gt_u32_e32 vcc, 8, v4
	v_cndmask_b32_e32 v4, v22, v21, vcc
	v_cndmask_b32_e32 v19, v19, v20, vcc
	v_lshlrev_b32_e32 v6, 24, v6
	v_lshlrev_b32_e32 v19, 20, v19
	v_and_b32_e32 v6, 0x80000000, v6
	v_lshl_add_u32 v4, v4, 23, v10
	v_or3_b32 v19, v6, v4, v19
.LBB469_834:                            ;   in Loop: Header=BB469_788 Depth=1
	s_or_b64 exec, exec, s[18:19]
.LBB469_835:                            ;   in Loop: Header=BB469_788 Depth=1
	s_or_b64 exec, exec, s[16:17]
.LBB469_836:                            ;   in Loop: Header=BB469_788 Depth=1
	s_or_b64 exec, exec, s[14:15]
	buffer_load_dword v6, v11, s[0:3], 0 offen offset:8
	buffer_load_dword v4, v11, s[0:3], 0 offen offset:12
	v_cvt_pkrtz_f16_f32 v20, v13, v15
	v_cvt_pkrtz_f16_f32 v21, v14, v17
	;; [unrolled: 1-line block ×4, first 2 shown]
	v_mfma_f32_4x4x4f16 a[0:3], v[2:3], v[20:21], 0 cbsz:4
	s_waitcnt vmcnt(1)
	v_cmp_ne_u16_sdwa s[16:17], v6, v9 src0_sel:BYTE_0 src1_sel:DWORD
	v_mfma_f32_4x4x4f16 a[0:3], v[2:3], v[14:15], a[0:3] cbsz:4 abid:1
	s_and_saveexec_b64 s[14:15], s[16:17]
	s_cbranch_execz .LBB469_842
; %bb.837:                              ;   in Loop: Header=BB469_788 Depth=1
	v_cmp_ne_u16_sdwa s[18:19], v6, s5 src0_sel:BYTE_0 src1_sel:DWORD
	v_bfrev_b32_e32 v12, 1
	s_and_saveexec_b64 s[16:17], s[18:19]
	s_cbranch_execz .LBB469_841
; %bb.838:                              ;   in Loop: Header=BB469_788 Depth=1
	v_and_b32_e32 v8, 0x7f, v6
	v_cmp_ne_u32_e32 vcc, s21, v8
	v_mov_b32_e32 v12, 0x7f800001
	s_and_saveexec_b64 s[18:19], vcc
	s_cbranch_execz .LBB469_840
; %bb.839:                              ;   in Loop: Header=BB469_788 Depth=1
	v_and_b32_e32 v14, 7, v6
	v_ffbh_u32_e32 v12, v14
	v_min_u32_e32 v16, 32, v12
	v_subrev_u32_e32 v12, 28, v16
	v_lshlrev_b64 v[12:13], v12, v[6:7]
	v_lshrrev_b32_e32 v15, 3, v8
	v_sub_u32_e32 v13, 29, v16
	v_and_b32_e32 v12, 7, v12
	v_cmp_gt_u32_e32 vcc, 8, v8
	v_cndmask_b32_e32 v8, v15, v13, vcc
	v_cndmask_b32_e32 v12, v14, v12, vcc
	v_lshlrev_b32_e32 v13, 24, v6
	v_lshlrev_b32_e32 v12, 20, v12
	v_and_b32_e32 v13, 0x80000000, v13
	v_lshl_add_u32 v8, v8, 23, v10
	v_or3_b32 v12, v13, v8, v12
.LBB469_840:                            ;   in Loop: Header=BB469_788 Depth=1
	s_or_b64 exec, exec, s[18:19]
.LBB469_841:                            ;   in Loop: Header=BB469_788 Depth=1
	s_or_b64 exec, exec, s[16:17]
.LBB469_842:                            ;   in Loop: Header=BB469_788 Depth=1
	s_or_b64 exec, exec, s[14:15]
	v_lshrrev_b16_e32 v8, 8, v6
	v_cmp_ne_u16_e32 vcc, 0, v8
	v_mov_b32_e32 v14, 0
	v_mov_b32_e32 v15, 0
	s_and_saveexec_b64 s[14:15], vcc
	s_cbranch_execz .LBB469_848
; %bb.843:                              ;   in Loop: Header=BB469_788 Depth=1
	v_cmp_ne_u16_e32 vcc, s5, v8
	v_bfrev_b32_e32 v15, 1
	s_and_saveexec_b64 s[16:17], vcc
	s_cbranch_execz .LBB469_847
; %bb.844:                              ;   in Loop: Header=BB469_788 Depth=1
	v_and_b32_e32 v13, 0x7f, v8
	v_cmp_ne_u32_e32 vcc, s21, v13
	v_mov_b32_e32 v15, 0x7f800001
	s_and_saveexec_b64 s[18:19], vcc
	s_cbranch_execz .LBB469_846
; %bb.845:                              ;   in Loop: Header=BB469_788 Depth=1
	v_and_b32_e32 v15, 7, v8
	v_ffbh_u32_e32 v16, v15
	v_min_u32_e32 v19, 32, v16
	v_subrev_u32_e32 v16, 28, v19
	v_lshlrev_b64 v[16:17], v16, v[8:9]
	v_lshrrev_b32_e32 v18, 3, v13
	v_sub_u32_e32 v8, 29, v19
	v_and_b32_e32 v16, 7, v16
	v_cmp_gt_u32_e32 vcc, 8, v13
	v_cndmask_b32_e32 v8, v18, v8, vcc
	v_cndmask_b32_e32 v13, v15, v16, vcc
	v_lshlrev_b32_e32 v15, 16, v6
	v_lshlrev_b32_e32 v13, 20, v13
	v_and_b32_e32 v15, 0x80000000, v15
	v_lshl_add_u32 v8, v8, 23, v10
	v_or3_b32 v15, v15, v8, v13
.LBB469_846:                            ;   in Loop: Header=BB469_788 Depth=1
	s_or_b64 exec, exec, s[18:19]
.LBB469_847:                            ;   in Loop: Header=BB469_788 Depth=1
	s_or_b64 exec, exec, s[16:17]
.LBB469_848:                            ;   in Loop: Header=BB469_788 Depth=1
	s_or_b64 exec, exec, s[14:15]
	v_lshrrev_b32_e32 v8, 16, v6
	v_cmp_ne_u16_sdwa s[16:17], v8, v9 src0_sel:BYTE_0 src1_sel:DWORD
	s_and_saveexec_b64 s[14:15], s[16:17]
	s_cbranch_execz .LBB469_854
; %bb.849:                              ;   in Loop: Header=BB469_788 Depth=1
	v_cmp_ne_u16_sdwa s[18:19], v8, s5 src0_sel:BYTE_0 src1_sel:DWORD
	v_bfrev_b32_e32 v14, 1
	s_and_saveexec_b64 s[16:17], s[18:19]
	s_cbranch_execz .LBB469_853
; %bb.850:                              ;   in Loop: Header=BB469_788 Depth=1
	v_bfe_u32 v13, v6, 16, 7
	v_cmp_ne_u32_e32 vcc, s21, v13
	v_mov_b32_e32 v14, 0x7f800001
	s_and_saveexec_b64 s[18:19], vcc
	s_cbranch_execz .LBB469_852
; %bb.851:                              ;   in Loop: Header=BB469_788 Depth=1
	v_and_b32_e32 v14, 7, v8
	v_ffbh_u32_e32 v16, v14
	v_min_u32_e32 v19, 32, v16
	v_subrev_u32_e32 v16, 28, v19
	v_lshlrev_b64 v[16:17], v16, v[8:9]
	v_lshrrev_b32_e32 v18, 3, v13
	v_sub_u32_e32 v17, 29, v19
	v_and_b32_e32 v16, 7, v16
	v_cmp_gt_u32_e32 vcc, 8, v13
	v_cndmask_b32_e32 v13, v18, v17, vcc
	v_cndmask_b32_e32 v14, v14, v16, vcc
	v_lshlrev_b32_e32 v8, 24, v8
	v_lshlrev_b32_e32 v14, 20, v14
	v_and_b32_e32 v8, 0x80000000, v8
	v_lshl_add_u32 v13, v13, 23, v10
	v_or3_b32 v14, v8, v13, v14
.LBB469_852:                            ;   in Loop: Header=BB469_788 Depth=1
	s_or_b64 exec, exec, s[18:19]
.LBB469_853:                            ;   in Loop: Header=BB469_788 Depth=1
	s_or_b64 exec, exec, s[16:17]
.LBB469_854:                            ;   in Loop: Header=BB469_788 Depth=1
	s_or_b64 exec, exec, s[14:15]
	v_cmp_lt_u32_e32 vcc, s22, v6
	v_mov_b32_e32 v16, 0
	v_mov_b32_e32 v17, 0
	s_and_saveexec_b64 s[14:15], vcc
	s_cbranch_execz .LBB469_860
; %bb.855:                              ;   in Loop: Header=BB469_788 Depth=1
	v_lshrrev_b32_e32 v8, 24, v6
	v_cmp_ne_u32_e32 vcc, s5, v8
	v_bfrev_b32_e32 v17, 1
	s_and_saveexec_b64 s[16:17], vcc
	s_cbranch_execz .LBB469_859
; %bb.856:                              ;   in Loop: Header=BB469_788 Depth=1
	v_bfe_u32 v6, v6, 24, 7
	v_cmp_ne_u32_e32 vcc, s21, v6
	v_mov_b32_e32 v17, 0x7f800001
	s_and_saveexec_b64 s[18:19], vcc
	s_cbranch_execz .LBB469_858
; %bb.857:                              ;   in Loop: Header=BB469_788 Depth=1
	v_and_b32_e32 v13, 7, v8
	v_ffbh_u32_e32 v18, v13
	v_min_u32_e32 v20, 32, v18
	v_subrev_u32_e32 v18, 28, v20
	v_lshlrev_b64 v[18:19], v18, v[8:9]
	v_lshrrev_b32_e32 v17, 3, v6
	v_sub_u32_e32 v19, 29, v20
	v_and_b32_e32 v18, 7, v18
	v_cmp_gt_u32_e32 vcc, 8, v6
	v_cndmask_b32_e32 v6, v17, v19, vcc
	v_cndmask_b32_e32 v13, v13, v18, vcc
	v_lshlrev_b32_e32 v8, 24, v8
	v_lshlrev_b32_e32 v13, 20, v13
	v_and_b32_e32 v8, 0x80000000, v8
	v_lshl_add_u32 v6, v6, 23, v10
	v_or3_b32 v17, v8, v6, v13
.LBB469_858:                            ;   in Loop: Header=BB469_788 Depth=1
	s_or_b64 exec, exec, s[18:19]
.LBB469_859:                            ;   in Loop: Header=BB469_788 Depth=1
	s_or_b64 exec, exec, s[16:17]
.LBB469_860:                            ;   in Loop: Header=BB469_788 Depth=1
	s_or_b64 exec, exec, s[14:15]
	s_waitcnt vmcnt(0)
	v_cmp_ne_u16_sdwa s[16:17], v4, v9 src0_sel:BYTE_0 src1_sel:DWORD
	s_and_saveexec_b64 s[14:15], s[16:17]
	s_cbranch_execz .LBB469_866
; %bb.861:                              ;   in Loop: Header=BB469_788 Depth=1
	v_cmp_ne_u16_sdwa s[18:19], v4, s5 src0_sel:BYTE_0 src1_sel:DWORD
	v_bfrev_b32_e32 v16, 1
	s_and_saveexec_b64 s[16:17], s[18:19]
	s_cbranch_execz .LBB469_865
; %bb.862:                              ;   in Loop: Header=BB469_788 Depth=1
	v_and_b32_e32 v6, 0x7f, v4
	v_cmp_ne_u32_e32 vcc, s21, v6
	v_mov_b32_e32 v16, 0x7f800001
	s_and_saveexec_b64 s[18:19], vcc
	s_cbranch_execz .LBB469_864
; %bb.863:                              ;   in Loop: Header=BB469_788 Depth=1
	v_and_b32_e32 v8, 7, v4
	v_ffbh_u32_e32 v16, v8
	v_min_u32_e32 v16, 32, v16
	v_subrev_u32_e32 v18, 28, v16
	v_lshlrev_b64 v[18:19], v18, v[4:5]
	v_lshrrev_b32_e32 v13, 3, v6
	v_sub_u32_e32 v16, 29, v16
	v_and_b32_e32 v18, 7, v18
	v_cmp_gt_u32_e32 vcc, 8, v6
	v_cndmask_b32_e32 v6, v13, v16, vcc
	v_cndmask_b32_e32 v8, v8, v18, vcc
	v_lshlrev_b32_e32 v13, 24, v4
	v_lshlrev_b32_e32 v8, 20, v8
	v_and_b32_e32 v13, 0x80000000, v13
	v_lshl_add_u32 v6, v6, 23, v10
	v_or3_b32 v16, v13, v6, v8
.LBB469_864:                            ;   in Loop: Header=BB469_788 Depth=1
	s_or_b64 exec, exec, s[18:19]
.LBB469_865:                            ;   in Loop: Header=BB469_788 Depth=1
	s_or_b64 exec, exec, s[16:17]
.LBB469_866:                            ;   in Loop: Header=BB469_788 Depth=1
	s_or_b64 exec, exec, s[14:15]
	v_lshrrev_b16_e32 v6, 8, v4
	v_cmp_ne_u16_e32 vcc, 0, v6
	v_mov_b32_e32 v8, 0
	v_mov_b32_e32 v18, 0
	s_and_saveexec_b64 s[14:15], vcc
	s_cbranch_execz .LBB469_872
; %bb.867:                              ;   in Loop: Header=BB469_788 Depth=1
	v_cmp_ne_u16_e32 vcc, s5, v6
	v_bfrev_b32_e32 v18, 1
	s_and_saveexec_b64 s[16:17], vcc
	s_cbranch_execz .LBB469_871
; %bb.868:                              ;   in Loop: Header=BB469_788 Depth=1
	v_and_b32_e32 v13, 0x7f, v6
	v_cmp_ne_u32_e32 vcc, s21, v13
	v_mov_b32_e32 v18, 0x7f800001
	s_and_saveexec_b64 s[18:19], vcc
	s_cbranch_execz .LBB469_870
; %bb.869:                              ;   in Loop: Header=BB469_788 Depth=1
	v_and_b32_e32 v20, 7, v6
	v_ffbh_u32_e32 v18, v20
	v_min_u32_e32 v22, 32, v18
	v_subrev_u32_e32 v18, 28, v22
	v_lshlrev_b64 v[18:19], v18, v[6:7]
	v_lshrrev_b32_e32 v21, 3, v13
	v_sub_u32_e32 v6, 29, v22
	v_and_b32_e32 v18, 7, v18
	v_cmp_gt_u32_e32 vcc, 8, v13
	v_cndmask_b32_e32 v6, v21, v6, vcc
	v_cndmask_b32_e32 v13, v20, v18, vcc
	v_lshlrev_b32_e32 v18, 16, v4
	v_lshlrev_b32_e32 v13, 20, v13
	v_and_b32_e32 v18, 0x80000000, v18
	v_lshl_add_u32 v6, v6, 23, v10
	v_or3_b32 v18, v18, v6, v13
.LBB469_870:                            ;   in Loop: Header=BB469_788 Depth=1
	s_or_b64 exec, exec, s[18:19]
.LBB469_871:                            ;   in Loop: Header=BB469_788 Depth=1
	s_or_b64 exec, exec, s[16:17]
.LBB469_872:                            ;   in Loop: Header=BB469_788 Depth=1
	s_or_b64 exec, exec, s[14:15]
	v_lshrrev_b32_e32 v6, 16, v4
	v_cmp_ne_u16_sdwa s[16:17], v6, v9 src0_sel:BYTE_0 src1_sel:DWORD
	s_and_saveexec_b64 s[14:15], s[16:17]
	s_cbranch_execz .LBB469_878
; %bb.873:                              ;   in Loop: Header=BB469_788 Depth=1
	v_cmp_ne_u16_sdwa s[18:19], v6, s5 src0_sel:BYTE_0 src1_sel:DWORD
	v_bfrev_b32_e32 v8, 1
	s_and_saveexec_b64 s[16:17], s[18:19]
	s_cbranch_execz .LBB469_877
; %bb.874:                              ;   in Loop: Header=BB469_788 Depth=1
	v_bfe_u32 v13, v4, 16, 7
	v_cmp_ne_u32_e32 vcc, s21, v13
	v_mov_b32_e32 v8, 0x7f800001
	s_and_saveexec_b64 s[18:19], vcc
	s_cbranch_execz .LBB469_876
; %bb.875:                              ;   in Loop: Header=BB469_788 Depth=1
	v_and_b32_e32 v8, 7, v6
	v_ffbh_u32_e32 v20, v8
	v_min_u32_e32 v22, 32, v20
	v_subrev_u32_e32 v20, 28, v22
	v_lshlrev_b64 v[20:21], v20, v[6:7]
	v_lshrrev_b32_e32 v19, 3, v13
	v_sub_u32_e32 v21, 29, v22
	v_and_b32_e32 v20, 7, v20
	v_cmp_gt_u32_e32 vcc, 8, v13
	v_cndmask_b32_e32 v13, v19, v21, vcc
	v_cndmask_b32_e32 v8, v8, v20, vcc
	v_lshlrev_b32_e32 v6, 24, v6
	v_lshlrev_b32_e32 v8, 20, v8
	v_and_b32_e32 v6, 0x80000000, v6
	v_lshl_add_u32 v13, v13, 23, v10
	v_or3_b32 v8, v6, v13, v8
.LBB469_876:                            ;   in Loop: Header=BB469_788 Depth=1
	s_or_b64 exec, exec, s[18:19]
.LBB469_877:                            ;   in Loop: Header=BB469_788 Depth=1
	s_or_b64 exec, exec, s[16:17]
.LBB469_878:                            ;   in Loop: Header=BB469_788 Depth=1
	s_or_b64 exec, exec, s[14:15]
	v_cmp_lt_u32_e32 vcc, s22, v4
	v_mov_b32_e32 v13, 0
	v_mov_b32_e32 v19, 0
	s_and_saveexec_b64 s[14:15], vcc
	s_cbranch_execz .LBB469_884
; %bb.879:                              ;   in Loop: Header=BB469_788 Depth=1
	v_lshrrev_b32_e32 v6, 24, v4
	v_cmp_ne_u32_e32 vcc, s5, v6
	v_bfrev_b32_e32 v19, 1
	s_and_saveexec_b64 s[16:17], vcc
	s_cbranch_execz .LBB469_883
; %bb.880:                              ;   in Loop: Header=BB469_788 Depth=1
	v_bfe_u32 v4, v4, 24, 7
	v_cmp_ne_u32_e32 vcc, s21, v4
	v_mov_b32_e32 v19, 0x7f800001
	s_and_saveexec_b64 s[18:19], vcc
	s_cbranch_execz .LBB469_882
; %bb.881:                              ;   in Loop: Header=BB469_788 Depth=1
	v_and_b32_e32 v19, 7, v6
	v_ffbh_u32_e32 v20, v19
	v_min_u32_e32 v23, 32, v20
	v_subrev_u32_e32 v20, 28, v23
	v_lshlrev_b64 v[20:21], v20, v[6:7]
	v_lshrrev_b32_e32 v22, 3, v4
	v_sub_u32_e32 v21, 29, v23
	v_and_b32_e32 v20, 7, v20
	v_cmp_gt_u32_e32 vcc, 8, v4
	v_cndmask_b32_e32 v4, v22, v21, vcc
	v_cndmask_b32_e32 v19, v19, v20, vcc
	v_lshlrev_b32_e32 v6, 24, v6
	v_lshlrev_b32_e32 v19, 20, v19
	v_and_b32_e32 v6, 0x80000000, v6
	v_lshl_add_u32 v4, v4, 23, v10
	v_or3_b32 v19, v6, v4, v19
.LBB469_882:                            ;   in Loop: Header=BB469_788 Depth=1
	s_or_b64 exec, exec, s[18:19]
.LBB469_883:                            ;   in Loop: Header=BB469_788 Depth=1
	s_or_b64 exec, exec, s[16:17]
.LBB469_884:                            ;   in Loop: Header=BB469_788 Depth=1
	s_or_b64 exec, exec, s[14:15]
	buffer_load_dword v6, v11, s[0:3], 0 offen offset:16
	buffer_load_dword v4, v11, s[0:3], 0 offen offset:20
	v_cvt_pkrtz_f16_f32 v20, v12, v15
	v_cvt_pkrtz_f16_f32 v21, v14, v17
	;; [unrolled: 1-line block ×4, first 2 shown]
	v_mfma_f32_4x4x4f16 a[0:3], v[2:3], v[20:21], a[0:3] cbsz:4 abid:2
	s_waitcnt vmcnt(1)
	v_cmp_ne_u16_sdwa s[16:17], v6, v9 src0_sel:BYTE_0 src1_sel:DWORD
	v_mfma_f32_4x4x4f16 a[0:3], v[2:3], v[14:15], a[0:3] cbsz:4 abid:3
	s_and_saveexec_b64 s[14:15], s[16:17]
	s_cbranch_execz .LBB469_890
; %bb.885:                              ;   in Loop: Header=BB469_788 Depth=1
	v_cmp_ne_u16_sdwa s[18:19], v6, s5 src0_sel:BYTE_0 src1_sel:DWORD
	v_bfrev_b32_e32 v13, 1
	s_and_saveexec_b64 s[16:17], s[18:19]
	s_cbranch_execz .LBB469_889
; %bb.886:                              ;   in Loop: Header=BB469_788 Depth=1
	v_and_b32_e32 v8, 0x7f, v6
	v_cmp_ne_u32_e32 vcc, s21, v8
	v_mov_b32_e32 v13, 0x7f800001
	s_and_saveexec_b64 s[18:19], vcc
	s_cbranch_execz .LBB469_888
; %bb.887:                              ;   in Loop: Header=BB469_788 Depth=1
	v_and_b32_e32 v14, 7, v6
	v_ffbh_u32_e32 v12, v14
	v_min_u32_e32 v16, 32, v12
	v_subrev_u32_e32 v12, 28, v16
	v_lshlrev_b64 v[12:13], v12, v[6:7]
	v_lshrrev_b32_e32 v15, 3, v8
	v_sub_u32_e32 v13, 29, v16
	v_and_b32_e32 v12, 7, v12
	v_cmp_gt_u32_e32 vcc, 8, v8
	v_cndmask_b32_e32 v8, v15, v13, vcc
	v_cndmask_b32_e32 v12, v14, v12, vcc
	v_lshlrev_b32_e32 v13, 24, v6
	v_lshlrev_b32_e32 v12, 20, v12
	v_and_b32_e32 v13, 0x80000000, v13
	v_lshl_add_u32 v8, v8, 23, v10
	v_or3_b32 v13, v13, v8, v12
.LBB469_888:                            ;   in Loop: Header=BB469_788 Depth=1
	s_or_b64 exec, exec, s[18:19]
.LBB469_889:                            ;   in Loop: Header=BB469_788 Depth=1
	s_or_b64 exec, exec, s[16:17]
.LBB469_890:                            ;   in Loop: Header=BB469_788 Depth=1
	s_or_b64 exec, exec, s[14:15]
	v_lshrrev_b16_e32 v8, 8, v6
	v_cmp_ne_u16_e32 vcc, 0, v8
	v_mov_b32_e32 v14, 0
	v_mov_b32_e32 v15, 0
	s_and_saveexec_b64 s[14:15], vcc
	s_cbranch_execz .LBB469_896
; %bb.891:                              ;   in Loop: Header=BB469_788 Depth=1
	v_cmp_ne_u16_e32 vcc, s5, v8
	v_bfrev_b32_e32 v15, 1
	s_and_saveexec_b64 s[16:17], vcc
	s_cbranch_execz .LBB469_895
; %bb.892:                              ;   in Loop: Header=BB469_788 Depth=1
	v_and_b32_e32 v12, 0x7f, v8
	v_cmp_ne_u32_e32 vcc, s21, v12
	v_mov_b32_e32 v15, 0x7f800001
	s_and_saveexec_b64 s[18:19], vcc
	s_cbranch_execz .LBB469_894
; %bb.893:                              ;   in Loop: Header=BB469_788 Depth=1
	v_and_b32_e32 v15, 7, v8
	v_ffbh_u32_e32 v16, v15
	v_min_u32_e32 v19, 32, v16
	v_subrev_u32_e32 v16, 28, v19
	v_lshlrev_b64 v[16:17], v16, v[8:9]
	v_lshrrev_b32_e32 v18, 3, v12
	v_sub_u32_e32 v8, 29, v19
	v_and_b32_e32 v16, 7, v16
	v_cmp_gt_u32_e32 vcc, 8, v12
	v_cndmask_b32_e32 v8, v18, v8, vcc
	v_cndmask_b32_e32 v12, v15, v16, vcc
	v_lshlrev_b32_e32 v15, 16, v6
	v_lshlrev_b32_e32 v12, 20, v12
	v_and_b32_e32 v15, 0x80000000, v15
	v_lshl_add_u32 v8, v8, 23, v10
	v_or3_b32 v15, v15, v8, v12
.LBB469_894:                            ;   in Loop: Header=BB469_788 Depth=1
	s_or_b64 exec, exec, s[18:19]
.LBB469_895:                            ;   in Loop: Header=BB469_788 Depth=1
	s_or_b64 exec, exec, s[16:17]
.LBB469_896:                            ;   in Loop: Header=BB469_788 Depth=1
	s_or_b64 exec, exec, s[14:15]
	v_lshrrev_b32_e32 v8, 16, v6
	v_cmp_ne_u16_sdwa s[16:17], v8, v9 src0_sel:BYTE_0 src1_sel:DWORD
	s_and_saveexec_b64 s[14:15], s[16:17]
	s_cbranch_execz .LBB469_902
; %bb.897:                              ;   in Loop: Header=BB469_788 Depth=1
	v_cmp_ne_u16_sdwa s[18:19], v8, s5 src0_sel:BYTE_0 src1_sel:DWORD
	v_bfrev_b32_e32 v14, 1
	s_and_saveexec_b64 s[16:17], s[18:19]
	s_cbranch_execz .LBB469_901
; %bb.898:                              ;   in Loop: Header=BB469_788 Depth=1
	v_bfe_u32 v12, v6, 16, 7
	v_cmp_ne_u32_e32 vcc, s21, v12
	v_mov_b32_e32 v14, 0x7f800001
	s_and_saveexec_b64 s[18:19], vcc
	s_cbranch_execz .LBB469_900
; %bb.899:                              ;   in Loop: Header=BB469_788 Depth=1
	v_and_b32_e32 v14, 7, v8
	v_ffbh_u32_e32 v16, v14
	v_min_u32_e32 v19, 32, v16
	v_subrev_u32_e32 v16, 28, v19
	v_lshlrev_b64 v[16:17], v16, v[8:9]
	v_lshrrev_b32_e32 v18, 3, v12
	v_sub_u32_e32 v17, 29, v19
	v_and_b32_e32 v16, 7, v16
	v_cmp_gt_u32_e32 vcc, 8, v12
	v_cndmask_b32_e32 v12, v18, v17, vcc
	v_cndmask_b32_e32 v14, v14, v16, vcc
	v_lshlrev_b32_e32 v8, 24, v8
	v_lshlrev_b32_e32 v14, 20, v14
	v_and_b32_e32 v8, 0x80000000, v8
	v_lshl_add_u32 v12, v12, 23, v10
	v_or3_b32 v14, v8, v12, v14
.LBB469_900:                            ;   in Loop: Header=BB469_788 Depth=1
	s_or_b64 exec, exec, s[18:19]
.LBB469_901:                            ;   in Loop: Header=BB469_788 Depth=1
	s_or_b64 exec, exec, s[16:17]
.LBB469_902:                            ;   in Loop: Header=BB469_788 Depth=1
	s_or_b64 exec, exec, s[14:15]
	v_cmp_lt_u32_e32 vcc, s22, v6
	v_mov_b32_e32 v16, 0
	v_mov_b32_e32 v17, 0
	s_and_saveexec_b64 s[14:15], vcc
	s_cbranch_execz .LBB469_908
; %bb.903:                              ;   in Loop: Header=BB469_788 Depth=1
	v_lshrrev_b32_e32 v8, 24, v6
	v_cmp_ne_u32_e32 vcc, s5, v8
	v_bfrev_b32_e32 v17, 1
	s_and_saveexec_b64 s[16:17], vcc
	s_cbranch_execz .LBB469_907
; %bb.904:                              ;   in Loop: Header=BB469_788 Depth=1
	v_bfe_u32 v6, v6, 24, 7
	v_cmp_ne_u32_e32 vcc, s21, v6
	v_mov_b32_e32 v17, 0x7f800001
	s_and_saveexec_b64 s[18:19], vcc
	s_cbranch_execz .LBB469_906
; %bb.905:                              ;   in Loop: Header=BB469_788 Depth=1
	v_and_b32_e32 v12, 7, v8
	v_ffbh_u32_e32 v18, v12
	v_min_u32_e32 v20, 32, v18
	v_subrev_u32_e32 v18, 28, v20
	v_lshlrev_b64 v[18:19], v18, v[8:9]
	v_lshrrev_b32_e32 v17, 3, v6
	v_sub_u32_e32 v19, 29, v20
	v_and_b32_e32 v18, 7, v18
	v_cmp_gt_u32_e32 vcc, 8, v6
	v_cndmask_b32_e32 v6, v17, v19, vcc
	v_cndmask_b32_e32 v12, v12, v18, vcc
	v_lshlrev_b32_e32 v8, 24, v8
	v_lshlrev_b32_e32 v12, 20, v12
	v_and_b32_e32 v8, 0x80000000, v8
	v_lshl_add_u32 v6, v6, 23, v10
	v_or3_b32 v17, v8, v6, v12
.LBB469_906:                            ;   in Loop: Header=BB469_788 Depth=1
	s_or_b64 exec, exec, s[18:19]
.LBB469_907:                            ;   in Loop: Header=BB469_788 Depth=1
	s_or_b64 exec, exec, s[16:17]
.LBB469_908:                            ;   in Loop: Header=BB469_788 Depth=1
	s_or_b64 exec, exec, s[14:15]
	s_waitcnt vmcnt(0)
	v_cmp_ne_u16_sdwa s[16:17], v4, v9 src0_sel:BYTE_0 src1_sel:DWORD
	s_and_saveexec_b64 s[14:15], s[16:17]
	s_cbranch_execz .LBB469_914
; %bb.909:                              ;   in Loop: Header=BB469_788 Depth=1
	v_cmp_ne_u16_sdwa s[18:19], v4, s5 src0_sel:BYTE_0 src1_sel:DWORD
	v_bfrev_b32_e32 v16, 1
	s_and_saveexec_b64 s[16:17], s[18:19]
	s_cbranch_execz .LBB469_913
; %bb.910:                              ;   in Loop: Header=BB469_788 Depth=1
	v_and_b32_e32 v6, 0x7f, v4
	v_cmp_ne_u32_e32 vcc, s21, v6
	v_mov_b32_e32 v16, 0x7f800001
	s_and_saveexec_b64 s[18:19], vcc
	s_cbranch_execz .LBB469_912
; %bb.911:                              ;   in Loop: Header=BB469_788 Depth=1
	v_and_b32_e32 v8, 7, v4
	v_ffbh_u32_e32 v16, v8
	v_min_u32_e32 v16, 32, v16
	v_subrev_u32_e32 v18, 28, v16
	v_lshlrev_b64 v[18:19], v18, v[4:5]
	v_lshrrev_b32_e32 v12, 3, v6
	v_sub_u32_e32 v16, 29, v16
	v_and_b32_e32 v18, 7, v18
	v_cmp_gt_u32_e32 vcc, 8, v6
	v_cndmask_b32_e32 v6, v12, v16, vcc
	v_cndmask_b32_e32 v8, v8, v18, vcc
	v_lshlrev_b32_e32 v12, 24, v4
	v_lshlrev_b32_e32 v8, 20, v8
	v_and_b32_e32 v12, 0x80000000, v12
	v_lshl_add_u32 v6, v6, 23, v10
	v_or3_b32 v16, v12, v6, v8
.LBB469_912:                            ;   in Loop: Header=BB469_788 Depth=1
	s_or_b64 exec, exec, s[18:19]
.LBB469_913:                            ;   in Loop: Header=BB469_788 Depth=1
	s_or_b64 exec, exec, s[16:17]
.LBB469_914:                            ;   in Loop: Header=BB469_788 Depth=1
	s_or_b64 exec, exec, s[14:15]
	v_lshrrev_b16_e32 v6, 8, v4
	v_cmp_ne_u16_e32 vcc, 0, v6
	v_mov_b32_e32 v8, 0
	v_mov_b32_e32 v18, 0
	s_and_saveexec_b64 s[14:15], vcc
	s_cbranch_execz .LBB469_920
; %bb.915:                              ;   in Loop: Header=BB469_788 Depth=1
	v_cmp_ne_u16_e32 vcc, s5, v6
	v_bfrev_b32_e32 v18, 1
	s_and_saveexec_b64 s[16:17], vcc
	s_cbranch_execz .LBB469_919
; %bb.916:                              ;   in Loop: Header=BB469_788 Depth=1
	v_and_b32_e32 v12, 0x7f, v6
	v_cmp_ne_u32_e32 vcc, s21, v12
	v_mov_b32_e32 v18, 0x7f800001
	s_and_saveexec_b64 s[18:19], vcc
	s_cbranch_execz .LBB469_918
; %bb.917:                              ;   in Loop: Header=BB469_788 Depth=1
	v_and_b32_e32 v20, 7, v6
	v_ffbh_u32_e32 v18, v20
	v_min_u32_e32 v22, 32, v18
	v_subrev_u32_e32 v18, 28, v22
	v_lshlrev_b64 v[18:19], v18, v[6:7]
	v_lshrrev_b32_e32 v21, 3, v12
	v_sub_u32_e32 v6, 29, v22
	v_and_b32_e32 v18, 7, v18
	v_cmp_gt_u32_e32 vcc, 8, v12
	v_cndmask_b32_e32 v6, v21, v6, vcc
	v_cndmask_b32_e32 v12, v20, v18, vcc
	v_lshlrev_b32_e32 v18, 16, v4
	v_lshlrev_b32_e32 v12, 20, v12
	v_and_b32_e32 v18, 0x80000000, v18
	v_lshl_add_u32 v6, v6, 23, v10
	v_or3_b32 v18, v18, v6, v12
.LBB469_918:                            ;   in Loop: Header=BB469_788 Depth=1
	s_or_b64 exec, exec, s[18:19]
.LBB469_919:                            ;   in Loop: Header=BB469_788 Depth=1
	s_or_b64 exec, exec, s[16:17]
.LBB469_920:                            ;   in Loop: Header=BB469_788 Depth=1
	s_or_b64 exec, exec, s[14:15]
	v_lshrrev_b32_e32 v6, 16, v4
	v_cmp_ne_u16_sdwa s[16:17], v6, v9 src0_sel:BYTE_0 src1_sel:DWORD
	s_and_saveexec_b64 s[14:15], s[16:17]
	s_cbranch_execz .LBB469_926
; %bb.921:                              ;   in Loop: Header=BB469_788 Depth=1
	v_cmp_ne_u16_sdwa s[18:19], v6, s5 src0_sel:BYTE_0 src1_sel:DWORD
	v_bfrev_b32_e32 v8, 1
	s_and_saveexec_b64 s[16:17], s[18:19]
	s_cbranch_execz .LBB469_925
; %bb.922:                              ;   in Loop: Header=BB469_788 Depth=1
	v_bfe_u32 v12, v4, 16, 7
	v_cmp_ne_u32_e32 vcc, s21, v12
	v_mov_b32_e32 v8, 0x7f800001
	s_and_saveexec_b64 s[18:19], vcc
	s_cbranch_execz .LBB469_924
; %bb.923:                              ;   in Loop: Header=BB469_788 Depth=1
	v_and_b32_e32 v8, 7, v6
	v_ffbh_u32_e32 v20, v8
	v_min_u32_e32 v22, 32, v20
	v_subrev_u32_e32 v20, 28, v22
	v_lshlrev_b64 v[20:21], v20, v[6:7]
	v_lshrrev_b32_e32 v19, 3, v12
	v_sub_u32_e32 v21, 29, v22
	v_and_b32_e32 v20, 7, v20
	v_cmp_gt_u32_e32 vcc, 8, v12
	v_cndmask_b32_e32 v12, v19, v21, vcc
	v_cndmask_b32_e32 v8, v8, v20, vcc
	v_lshlrev_b32_e32 v6, 24, v6
	v_lshlrev_b32_e32 v8, 20, v8
	v_and_b32_e32 v6, 0x80000000, v6
	v_lshl_add_u32 v12, v12, 23, v10
	v_or3_b32 v8, v6, v12, v8
.LBB469_924:                            ;   in Loop: Header=BB469_788 Depth=1
	s_or_b64 exec, exec, s[18:19]
.LBB469_925:                            ;   in Loop: Header=BB469_788 Depth=1
	s_or_b64 exec, exec, s[16:17]
.LBB469_926:                            ;   in Loop: Header=BB469_788 Depth=1
	s_or_b64 exec, exec, s[14:15]
	v_cmp_lt_u32_e32 vcc, s22, v4
	v_mov_b32_e32 v12, 0
	v_mov_b32_e32 v19, 0
	s_and_saveexec_b64 s[14:15], vcc
	s_cbranch_execz .LBB469_932
; %bb.927:                              ;   in Loop: Header=BB469_788 Depth=1
	v_lshrrev_b32_e32 v6, 24, v4
	v_cmp_ne_u32_e32 vcc, s5, v6
	v_bfrev_b32_e32 v19, 1
	s_and_saveexec_b64 s[16:17], vcc
	s_cbranch_execz .LBB469_931
; %bb.928:                              ;   in Loop: Header=BB469_788 Depth=1
	v_bfe_u32 v4, v4, 24, 7
	v_cmp_ne_u32_e32 vcc, s21, v4
	v_mov_b32_e32 v19, 0x7f800001
	s_and_saveexec_b64 s[18:19], vcc
	s_cbranch_execz .LBB469_930
; %bb.929:                              ;   in Loop: Header=BB469_788 Depth=1
	v_and_b32_e32 v19, 7, v6
	v_ffbh_u32_e32 v20, v19
	v_min_u32_e32 v23, 32, v20
	v_subrev_u32_e32 v20, 28, v23
	v_lshlrev_b64 v[20:21], v20, v[6:7]
	v_lshrrev_b32_e32 v22, 3, v4
	v_sub_u32_e32 v21, 29, v23
	v_and_b32_e32 v20, 7, v20
	v_cmp_gt_u32_e32 vcc, 8, v4
	v_cndmask_b32_e32 v4, v22, v21, vcc
	v_cndmask_b32_e32 v19, v19, v20, vcc
	v_lshlrev_b32_e32 v6, 24, v6
	v_lshlrev_b32_e32 v19, 20, v19
	v_and_b32_e32 v6, 0x80000000, v6
	v_lshl_add_u32 v4, v4, 23, v10
	v_or3_b32 v19, v6, v4, v19
.LBB469_930:                            ;   in Loop: Header=BB469_788 Depth=1
	s_or_b64 exec, exec, s[18:19]
.LBB469_931:                            ;   in Loop: Header=BB469_788 Depth=1
	s_or_b64 exec, exec, s[16:17]
.LBB469_932:                            ;   in Loop: Header=BB469_788 Depth=1
	s_or_b64 exec, exec, s[14:15]
	buffer_load_dword v6, v11, s[0:3], 0 offen offset:24
	buffer_load_dword v4, v11, s[0:3], 0 offen offset:28
	v_cvt_pkrtz_f16_f32 v20, v13, v15
	v_cvt_pkrtz_f16_f32 v21, v14, v17
	;; [unrolled: 1-line block ×4, first 2 shown]
	v_mfma_f32_4x4x4f16 a[0:3], v[2:3], v[20:21], a[0:3] cbsz:4 abid:4
	s_waitcnt vmcnt(1)
	v_cmp_ne_u16_sdwa s[16:17], v6, v9 src0_sel:BYTE_0 src1_sel:DWORD
	v_mfma_f32_4x4x4f16 a[0:3], v[2:3], v[14:15], a[0:3] cbsz:4 abid:5
	s_and_saveexec_b64 s[14:15], s[16:17]
	s_cbranch_execz .LBB469_938
; %bb.933:                              ;   in Loop: Header=BB469_788 Depth=1
	v_cmp_ne_u16_sdwa s[18:19], v6, s5 src0_sel:BYTE_0 src1_sel:DWORD
	v_bfrev_b32_e32 v12, 1
	s_and_saveexec_b64 s[16:17], s[18:19]
	s_cbranch_execz .LBB469_937
; %bb.934:                              ;   in Loop: Header=BB469_788 Depth=1
	v_and_b32_e32 v8, 0x7f, v6
	v_cmp_ne_u32_e32 vcc, s21, v8
	v_mov_b32_e32 v12, 0x7f800001
	s_and_saveexec_b64 s[18:19], vcc
	s_cbranch_execz .LBB469_936
; %bb.935:                              ;   in Loop: Header=BB469_788 Depth=1
	v_and_b32_e32 v14, 7, v6
	v_ffbh_u32_e32 v12, v14
	v_min_u32_e32 v16, 32, v12
	v_subrev_u32_e32 v12, 28, v16
	v_lshlrev_b64 v[12:13], v12, v[6:7]
	v_lshrrev_b32_e32 v15, 3, v8
	v_sub_u32_e32 v13, 29, v16
	v_and_b32_e32 v12, 7, v12
	v_cmp_gt_u32_e32 vcc, 8, v8
	v_cndmask_b32_e32 v8, v15, v13, vcc
	v_cndmask_b32_e32 v12, v14, v12, vcc
	v_lshlrev_b32_e32 v13, 24, v6
	v_lshlrev_b32_e32 v12, 20, v12
	v_and_b32_e32 v13, 0x80000000, v13
	v_lshl_add_u32 v8, v8, 23, v10
	v_or3_b32 v12, v13, v8, v12
.LBB469_936:                            ;   in Loop: Header=BB469_788 Depth=1
	s_or_b64 exec, exec, s[18:19]
.LBB469_937:                            ;   in Loop: Header=BB469_788 Depth=1
	s_or_b64 exec, exec, s[16:17]
.LBB469_938:                            ;   in Loop: Header=BB469_788 Depth=1
	s_or_b64 exec, exec, s[14:15]
	v_lshrrev_b16_e32 v8, 8, v6
	v_cmp_ne_u16_e32 vcc, 0, v8
	v_mov_b32_e32 v14, 0
	v_mov_b32_e32 v15, 0
	s_and_saveexec_b64 s[14:15], vcc
	s_cbranch_execz .LBB469_944
; %bb.939:                              ;   in Loop: Header=BB469_788 Depth=1
	v_cmp_ne_u16_e32 vcc, s5, v8
	v_bfrev_b32_e32 v15, 1
	s_and_saveexec_b64 s[16:17], vcc
	s_cbranch_execz .LBB469_943
; %bb.940:                              ;   in Loop: Header=BB469_788 Depth=1
	v_and_b32_e32 v13, 0x7f, v8
	v_cmp_ne_u32_e32 vcc, s21, v13
	v_mov_b32_e32 v15, 0x7f800001
	s_and_saveexec_b64 s[18:19], vcc
	s_cbranch_execz .LBB469_942
; %bb.941:                              ;   in Loop: Header=BB469_788 Depth=1
	v_and_b32_e32 v15, 7, v8
	v_ffbh_u32_e32 v16, v15
	v_min_u32_e32 v19, 32, v16
	v_subrev_u32_e32 v16, 28, v19
	v_lshlrev_b64 v[16:17], v16, v[8:9]
	v_lshrrev_b32_e32 v18, 3, v13
	v_sub_u32_e32 v8, 29, v19
	v_and_b32_e32 v16, 7, v16
	v_cmp_gt_u32_e32 vcc, 8, v13
	v_cndmask_b32_e32 v8, v18, v8, vcc
	v_cndmask_b32_e32 v13, v15, v16, vcc
	v_lshlrev_b32_e32 v15, 16, v6
	v_lshlrev_b32_e32 v13, 20, v13
	v_and_b32_e32 v15, 0x80000000, v15
	v_lshl_add_u32 v8, v8, 23, v10
	v_or3_b32 v15, v15, v8, v13
.LBB469_942:                            ;   in Loop: Header=BB469_788 Depth=1
	s_or_b64 exec, exec, s[18:19]
.LBB469_943:                            ;   in Loop: Header=BB469_788 Depth=1
	s_or_b64 exec, exec, s[16:17]
.LBB469_944:                            ;   in Loop: Header=BB469_788 Depth=1
	s_or_b64 exec, exec, s[14:15]
	v_lshrrev_b32_e32 v8, 16, v6
	v_cmp_ne_u16_sdwa s[16:17], v8, v9 src0_sel:BYTE_0 src1_sel:DWORD
	s_and_saveexec_b64 s[14:15], s[16:17]
	s_cbranch_execz .LBB469_950
; %bb.945:                              ;   in Loop: Header=BB469_788 Depth=1
	v_cmp_ne_u16_sdwa s[18:19], v8, s5 src0_sel:BYTE_0 src1_sel:DWORD
	v_bfrev_b32_e32 v14, 1
	s_and_saveexec_b64 s[16:17], s[18:19]
	s_cbranch_execz .LBB469_949
; %bb.946:                              ;   in Loop: Header=BB469_788 Depth=1
	v_bfe_u32 v13, v6, 16, 7
	v_cmp_ne_u32_e32 vcc, s21, v13
	v_mov_b32_e32 v14, 0x7f800001
	s_and_saveexec_b64 s[18:19], vcc
	s_cbranch_execz .LBB469_948
; %bb.947:                              ;   in Loop: Header=BB469_788 Depth=1
	v_and_b32_e32 v14, 7, v8
	v_ffbh_u32_e32 v16, v14
	v_min_u32_e32 v19, 32, v16
	v_subrev_u32_e32 v16, 28, v19
	v_lshlrev_b64 v[16:17], v16, v[8:9]
	v_lshrrev_b32_e32 v18, 3, v13
	v_sub_u32_e32 v17, 29, v19
	v_and_b32_e32 v16, 7, v16
	v_cmp_gt_u32_e32 vcc, 8, v13
	v_cndmask_b32_e32 v13, v18, v17, vcc
	v_cndmask_b32_e32 v14, v14, v16, vcc
	v_lshlrev_b32_e32 v8, 24, v8
	v_lshlrev_b32_e32 v14, 20, v14
	v_and_b32_e32 v8, 0x80000000, v8
	v_lshl_add_u32 v13, v13, 23, v10
	v_or3_b32 v14, v8, v13, v14
.LBB469_948:                            ;   in Loop: Header=BB469_788 Depth=1
	s_or_b64 exec, exec, s[18:19]
.LBB469_949:                            ;   in Loop: Header=BB469_788 Depth=1
	s_or_b64 exec, exec, s[16:17]
.LBB469_950:                            ;   in Loop: Header=BB469_788 Depth=1
	s_or_b64 exec, exec, s[14:15]
	v_cmp_lt_u32_e32 vcc, s22, v6
	v_mov_b32_e32 v16, 0
	v_mov_b32_e32 v17, 0
	s_and_saveexec_b64 s[14:15], vcc
	s_cbranch_execz .LBB469_956
; %bb.951:                              ;   in Loop: Header=BB469_788 Depth=1
	v_lshrrev_b32_e32 v8, 24, v6
	v_cmp_ne_u32_e32 vcc, s5, v8
	v_bfrev_b32_e32 v17, 1
	s_and_saveexec_b64 s[16:17], vcc
	s_cbranch_execz .LBB469_955
; %bb.952:                              ;   in Loop: Header=BB469_788 Depth=1
	v_bfe_u32 v6, v6, 24, 7
	v_cmp_ne_u32_e32 vcc, s21, v6
	v_mov_b32_e32 v17, 0x7f800001
	s_and_saveexec_b64 s[18:19], vcc
	s_cbranch_execz .LBB469_954
; %bb.953:                              ;   in Loop: Header=BB469_788 Depth=1
	v_and_b32_e32 v13, 7, v8
	v_ffbh_u32_e32 v18, v13
	v_min_u32_e32 v20, 32, v18
	v_subrev_u32_e32 v18, 28, v20
	v_lshlrev_b64 v[18:19], v18, v[8:9]
	v_lshrrev_b32_e32 v17, 3, v6
	v_sub_u32_e32 v19, 29, v20
	v_and_b32_e32 v18, 7, v18
	v_cmp_gt_u32_e32 vcc, 8, v6
	v_cndmask_b32_e32 v6, v17, v19, vcc
	v_cndmask_b32_e32 v13, v13, v18, vcc
	v_lshlrev_b32_e32 v8, 24, v8
	v_lshlrev_b32_e32 v13, 20, v13
	v_and_b32_e32 v8, 0x80000000, v8
	v_lshl_add_u32 v6, v6, 23, v10
	v_or3_b32 v17, v8, v6, v13
.LBB469_954:                            ;   in Loop: Header=BB469_788 Depth=1
	s_or_b64 exec, exec, s[18:19]
.LBB469_955:                            ;   in Loop: Header=BB469_788 Depth=1
	s_or_b64 exec, exec, s[16:17]
.LBB469_956:                            ;   in Loop: Header=BB469_788 Depth=1
	s_or_b64 exec, exec, s[14:15]
	s_waitcnt vmcnt(0)
	v_cmp_ne_u16_sdwa s[16:17], v4, v9 src0_sel:BYTE_0 src1_sel:DWORD
	s_and_saveexec_b64 s[14:15], s[16:17]
	s_cbranch_execz .LBB469_962
; %bb.957:                              ;   in Loop: Header=BB469_788 Depth=1
	v_cmp_ne_u16_sdwa s[18:19], v4, s5 src0_sel:BYTE_0 src1_sel:DWORD
	v_bfrev_b32_e32 v16, 1
	s_and_saveexec_b64 s[16:17], s[18:19]
	s_cbranch_execz .LBB469_961
; %bb.958:                              ;   in Loop: Header=BB469_788 Depth=1
	v_and_b32_e32 v6, 0x7f, v4
	v_cmp_ne_u32_e32 vcc, s21, v6
	v_mov_b32_e32 v16, 0x7f800001
	s_and_saveexec_b64 s[18:19], vcc
	s_cbranch_execz .LBB469_960
; %bb.959:                              ;   in Loop: Header=BB469_788 Depth=1
	v_and_b32_e32 v8, 7, v4
	v_ffbh_u32_e32 v16, v8
	v_min_u32_e32 v16, 32, v16
	v_subrev_u32_e32 v18, 28, v16
	v_lshlrev_b64 v[18:19], v18, v[4:5]
	v_lshrrev_b32_e32 v13, 3, v6
	v_sub_u32_e32 v16, 29, v16
	v_and_b32_e32 v18, 7, v18
	v_cmp_gt_u32_e32 vcc, 8, v6
	v_cndmask_b32_e32 v6, v13, v16, vcc
	v_cndmask_b32_e32 v8, v8, v18, vcc
	v_lshlrev_b32_e32 v13, 24, v4
	v_lshlrev_b32_e32 v8, 20, v8
	v_and_b32_e32 v13, 0x80000000, v13
	v_lshl_add_u32 v6, v6, 23, v10
	v_or3_b32 v16, v13, v6, v8
.LBB469_960:                            ;   in Loop: Header=BB469_788 Depth=1
	s_or_b64 exec, exec, s[18:19]
.LBB469_961:                            ;   in Loop: Header=BB469_788 Depth=1
	s_or_b64 exec, exec, s[16:17]
.LBB469_962:                            ;   in Loop: Header=BB469_788 Depth=1
	s_or_b64 exec, exec, s[14:15]
	v_lshrrev_b16_e32 v6, 8, v4
	v_cmp_ne_u16_e32 vcc, 0, v6
	v_mov_b32_e32 v8, 0
	v_mov_b32_e32 v18, 0
	s_and_saveexec_b64 s[14:15], vcc
	s_cbranch_execz .LBB469_968
; %bb.963:                              ;   in Loop: Header=BB469_788 Depth=1
	v_cmp_ne_u16_e32 vcc, s5, v6
	v_bfrev_b32_e32 v18, 1
	s_and_saveexec_b64 s[16:17], vcc
	s_cbranch_execz .LBB469_967
; %bb.964:                              ;   in Loop: Header=BB469_788 Depth=1
	v_and_b32_e32 v13, 0x7f, v6
	v_cmp_ne_u32_e32 vcc, s21, v13
	v_mov_b32_e32 v18, 0x7f800001
	s_and_saveexec_b64 s[18:19], vcc
	s_cbranch_execz .LBB469_966
; %bb.965:                              ;   in Loop: Header=BB469_788 Depth=1
	v_and_b32_e32 v20, 7, v6
	v_ffbh_u32_e32 v18, v20
	v_min_u32_e32 v22, 32, v18
	v_subrev_u32_e32 v18, 28, v22
	v_lshlrev_b64 v[18:19], v18, v[6:7]
	v_lshrrev_b32_e32 v21, 3, v13
	v_sub_u32_e32 v6, 29, v22
	v_and_b32_e32 v18, 7, v18
	v_cmp_gt_u32_e32 vcc, 8, v13
	v_cndmask_b32_e32 v6, v21, v6, vcc
	v_cndmask_b32_e32 v13, v20, v18, vcc
	v_lshlrev_b32_e32 v18, 16, v4
	v_lshlrev_b32_e32 v13, 20, v13
	v_and_b32_e32 v18, 0x80000000, v18
	v_lshl_add_u32 v6, v6, 23, v10
	v_or3_b32 v18, v18, v6, v13
.LBB469_966:                            ;   in Loop: Header=BB469_788 Depth=1
	s_or_b64 exec, exec, s[18:19]
.LBB469_967:                            ;   in Loop: Header=BB469_788 Depth=1
	s_or_b64 exec, exec, s[16:17]
.LBB469_968:                            ;   in Loop: Header=BB469_788 Depth=1
	s_or_b64 exec, exec, s[14:15]
	v_lshrrev_b32_e32 v6, 16, v4
	v_cmp_ne_u16_sdwa s[16:17], v6, v9 src0_sel:BYTE_0 src1_sel:DWORD
	s_and_saveexec_b64 s[14:15], s[16:17]
	s_cbranch_execz .LBB469_974
; %bb.969:                              ;   in Loop: Header=BB469_788 Depth=1
	v_cmp_ne_u16_sdwa s[18:19], v6, s5 src0_sel:BYTE_0 src1_sel:DWORD
	v_bfrev_b32_e32 v8, 1
	s_and_saveexec_b64 s[16:17], s[18:19]
	s_cbranch_execz .LBB469_973
; %bb.970:                              ;   in Loop: Header=BB469_788 Depth=1
	v_bfe_u32 v13, v4, 16, 7
	v_cmp_ne_u32_e32 vcc, s21, v13
	v_mov_b32_e32 v8, 0x7f800001
	s_and_saveexec_b64 s[18:19], vcc
	s_cbranch_execz .LBB469_972
; %bb.971:                              ;   in Loop: Header=BB469_788 Depth=1
	v_and_b32_e32 v8, 7, v6
	v_ffbh_u32_e32 v20, v8
	v_min_u32_e32 v22, 32, v20
	v_subrev_u32_e32 v20, 28, v22
	v_lshlrev_b64 v[20:21], v20, v[6:7]
	v_lshrrev_b32_e32 v19, 3, v13
	v_sub_u32_e32 v21, 29, v22
	v_and_b32_e32 v20, 7, v20
	v_cmp_gt_u32_e32 vcc, 8, v13
	v_cndmask_b32_e32 v13, v19, v21, vcc
	v_cndmask_b32_e32 v8, v8, v20, vcc
	v_lshlrev_b32_e32 v6, 24, v6
	v_lshlrev_b32_e32 v8, 20, v8
	v_and_b32_e32 v6, 0x80000000, v6
	v_lshl_add_u32 v13, v13, 23, v10
	v_or3_b32 v8, v6, v13, v8
.LBB469_972:                            ;   in Loop: Header=BB469_788 Depth=1
	s_or_b64 exec, exec, s[18:19]
.LBB469_973:                            ;   in Loop: Header=BB469_788 Depth=1
	s_or_b64 exec, exec, s[16:17]
.LBB469_974:                            ;   in Loop: Header=BB469_788 Depth=1
	s_or_b64 exec, exec, s[14:15]
	v_cmp_lt_u32_e32 vcc, s22, v4
	v_mov_b32_e32 v13, 0
	v_mov_b32_e32 v19, 0
	s_and_saveexec_b64 s[14:15], vcc
	s_cbranch_execz .LBB469_980
; %bb.975:                              ;   in Loop: Header=BB469_788 Depth=1
	v_lshrrev_b32_e32 v6, 24, v4
	v_cmp_ne_u32_e32 vcc, s5, v6
	v_bfrev_b32_e32 v19, 1
	s_and_saveexec_b64 s[16:17], vcc
	s_cbranch_execz .LBB469_979
; %bb.976:                              ;   in Loop: Header=BB469_788 Depth=1
	v_bfe_u32 v4, v4, 24, 7
	v_cmp_ne_u32_e32 vcc, s21, v4
	v_mov_b32_e32 v19, 0x7f800001
	s_and_saveexec_b64 s[18:19], vcc
	s_cbranch_execz .LBB469_978
; %bb.977:                              ;   in Loop: Header=BB469_788 Depth=1
	v_and_b32_e32 v19, 7, v6
	v_ffbh_u32_e32 v20, v19
	v_min_u32_e32 v23, 32, v20
	v_subrev_u32_e32 v20, 28, v23
	v_lshlrev_b64 v[20:21], v20, v[6:7]
	v_lshrrev_b32_e32 v22, 3, v4
	v_sub_u32_e32 v21, 29, v23
	v_and_b32_e32 v20, 7, v20
	v_cmp_gt_u32_e32 vcc, 8, v4
	v_cndmask_b32_e32 v4, v22, v21, vcc
	v_cndmask_b32_e32 v19, v19, v20, vcc
	v_lshlrev_b32_e32 v6, 24, v6
	v_lshlrev_b32_e32 v19, 20, v19
	v_and_b32_e32 v6, 0x80000000, v6
	v_lshl_add_u32 v4, v4, 23, v10
	v_or3_b32 v19, v6, v4, v19
.LBB469_978:                            ;   in Loop: Header=BB469_788 Depth=1
	s_or_b64 exec, exec, s[18:19]
.LBB469_979:                            ;   in Loop: Header=BB469_788 Depth=1
	s_or_b64 exec, exec, s[16:17]
.LBB469_980:                            ;   in Loop: Header=BB469_788 Depth=1
	s_or_b64 exec, exec, s[14:15]
	buffer_load_dword v6, v11, s[0:3], 0 offen offset:32
	buffer_load_dword v4, v11, s[0:3], 0 offen offset:36
	v_cvt_pkrtz_f16_f32 v20, v12, v15
	v_cvt_pkrtz_f16_f32 v21, v14, v17
	;; [unrolled: 1-line block ×4, first 2 shown]
	v_mfma_f32_4x4x4f16 a[0:3], v[2:3], v[20:21], a[0:3] cbsz:4 abid:6
	s_waitcnt vmcnt(1)
	v_cmp_ne_u16_sdwa s[16:17], v6, v9 src0_sel:BYTE_0 src1_sel:DWORD
	v_mfma_f32_4x4x4f16 a[0:3], v[2:3], v[14:15], a[0:3] cbsz:4 abid:7
	s_and_saveexec_b64 s[14:15], s[16:17]
	s_cbranch_execz .LBB469_986
; %bb.981:                              ;   in Loop: Header=BB469_788 Depth=1
	v_cmp_ne_u16_sdwa s[18:19], v6, s5 src0_sel:BYTE_0 src1_sel:DWORD
	v_bfrev_b32_e32 v13, 1
	s_and_saveexec_b64 s[16:17], s[18:19]
	s_cbranch_execz .LBB469_985
; %bb.982:                              ;   in Loop: Header=BB469_788 Depth=1
	v_and_b32_e32 v8, 0x7f, v6
	v_cmp_ne_u32_e32 vcc, s21, v8
	v_mov_b32_e32 v13, 0x7f800001
	s_and_saveexec_b64 s[18:19], vcc
	s_cbranch_execz .LBB469_984
; %bb.983:                              ;   in Loop: Header=BB469_788 Depth=1
	v_and_b32_e32 v14, 7, v6
	v_ffbh_u32_e32 v12, v14
	v_min_u32_e32 v16, 32, v12
	v_subrev_u32_e32 v12, 28, v16
	v_lshlrev_b64 v[12:13], v12, v[6:7]
	v_lshrrev_b32_e32 v15, 3, v8
	v_sub_u32_e32 v13, 29, v16
	v_and_b32_e32 v12, 7, v12
	v_cmp_gt_u32_e32 vcc, 8, v8
	v_cndmask_b32_e32 v8, v15, v13, vcc
	v_cndmask_b32_e32 v12, v14, v12, vcc
	v_lshlrev_b32_e32 v13, 24, v6
	v_lshlrev_b32_e32 v12, 20, v12
	v_and_b32_e32 v13, 0x80000000, v13
	v_lshl_add_u32 v8, v8, 23, v10
	v_or3_b32 v13, v13, v8, v12
.LBB469_984:                            ;   in Loop: Header=BB469_788 Depth=1
	s_or_b64 exec, exec, s[18:19]
.LBB469_985:                            ;   in Loop: Header=BB469_788 Depth=1
	s_or_b64 exec, exec, s[16:17]
.LBB469_986:                            ;   in Loop: Header=BB469_788 Depth=1
	s_or_b64 exec, exec, s[14:15]
	v_lshrrev_b16_e32 v8, 8, v6
	v_cmp_ne_u16_e32 vcc, 0, v8
	v_mov_b32_e32 v12, 0
	v_mov_b32_e32 v15, 0
	s_and_saveexec_b64 s[14:15], vcc
	s_cbranch_execz .LBB469_992
; %bb.987:                              ;   in Loop: Header=BB469_788 Depth=1
	v_cmp_ne_u16_e32 vcc, s5, v8
	v_bfrev_b32_e32 v15, 1
	s_and_saveexec_b64 s[16:17], vcc
	s_cbranch_execz .LBB469_991
; %bb.988:                              ;   in Loop: Header=BB469_788 Depth=1
	v_and_b32_e32 v14, 0x7f, v8
	v_cmp_ne_u32_e32 vcc, s21, v14
	v_mov_b32_e32 v15, 0x7f800001
	s_and_saveexec_b64 s[18:19], vcc
	s_cbranch_execz .LBB469_990
; %bb.989:                              ;   in Loop: Header=BB469_788 Depth=1
	v_and_b32_e32 v15, 7, v8
	v_ffbh_u32_e32 v16, v15
	v_min_u32_e32 v19, 32, v16
	v_subrev_u32_e32 v16, 28, v19
	v_lshlrev_b64 v[16:17], v16, v[8:9]
	v_lshrrev_b32_e32 v18, 3, v14
	v_sub_u32_e32 v8, 29, v19
	v_and_b32_e32 v16, 7, v16
	v_cmp_gt_u32_e32 vcc, 8, v14
	v_cndmask_b32_e32 v8, v18, v8, vcc
	v_cndmask_b32_e32 v14, v15, v16, vcc
	v_lshlrev_b32_e32 v15, 16, v6
	v_lshlrev_b32_e32 v14, 20, v14
	v_and_b32_e32 v15, 0x80000000, v15
	v_lshl_add_u32 v8, v8, 23, v10
	v_or3_b32 v15, v15, v8, v14
.LBB469_990:                            ;   in Loop: Header=BB469_788 Depth=1
	s_or_b64 exec, exec, s[18:19]
.LBB469_991:                            ;   in Loop: Header=BB469_788 Depth=1
	s_or_b64 exec, exec, s[16:17]
.LBB469_992:                            ;   in Loop: Header=BB469_788 Depth=1
	s_or_b64 exec, exec, s[14:15]
	v_lshrrev_b32_e32 v8, 16, v6
	v_cmp_ne_u16_sdwa s[16:17], v8, v9 src0_sel:BYTE_0 src1_sel:DWORD
	s_and_saveexec_b64 s[14:15], s[16:17]
	s_cbranch_execz .LBB469_998
; %bb.993:                              ;   in Loop: Header=BB469_788 Depth=1
	v_cmp_ne_u16_sdwa s[18:19], v8, s5 src0_sel:BYTE_0 src1_sel:DWORD
	v_bfrev_b32_e32 v12, 1
	s_and_saveexec_b64 s[16:17], s[18:19]
	s_cbranch_execz .LBB469_997
; %bb.994:                              ;   in Loop: Header=BB469_788 Depth=1
	v_bfe_u32 v14, v6, 16, 7
	v_cmp_ne_u32_e32 vcc, s21, v14
	v_mov_b32_e32 v12, 0x7f800001
	s_and_saveexec_b64 s[18:19], vcc
	s_cbranch_execz .LBB469_996
; %bb.995:                              ;   in Loop: Header=BB469_788 Depth=1
	v_and_b32_e32 v12, 7, v8
	v_ffbh_u32_e32 v16, v12
	v_min_u32_e32 v19, 32, v16
	v_subrev_u32_e32 v16, 28, v19
	v_lshlrev_b64 v[16:17], v16, v[8:9]
	v_lshrrev_b32_e32 v18, 3, v14
	v_sub_u32_e32 v17, 29, v19
	v_and_b32_e32 v16, 7, v16
	v_cmp_gt_u32_e32 vcc, 8, v14
	v_cndmask_b32_e32 v14, v18, v17, vcc
	v_cndmask_b32_e32 v12, v12, v16, vcc
	v_lshlrev_b32_e32 v8, 24, v8
	v_lshlrev_b32_e32 v12, 20, v12
	v_and_b32_e32 v8, 0x80000000, v8
	v_lshl_add_u32 v14, v14, 23, v10
	v_or3_b32 v12, v8, v14, v12
.LBB469_996:                            ;   in Loop: Header=BB469_788 Depth=1
	s_or_b64 exec, exec, s[18:19]
.LBB469_997:                            ;   in Loop: Header=BB469_788 Depth=1
	s_or_b64 exec, exec, s[16:17]
.LBB469_998:                            ;   in Loop: Header=BB469_788 Depth=1
	s_or_b64 exec, exec, s[14:15]
	v_cmp_lt_u32_e32 vcc, s22, v6
	v_mov_b32_e32 v16, 0
	v_mov_b32_e32 v17, 0
	s_and_saveexec_b64 s[14:15], vcc
	s_cbranch_execz .LBB469_1004
; %bb.999:                              ;   in Loop: Header=BB469_788 Depth=1
	v_lshrrev_b32_e32 v8, 24, v6
	v_cmp_ne_u32_e32 vcc, s5, v8
	v_bfrev_b32_e32 v17, 1
	s_and_saveexec_b64 s[16:17], vcc
	s_cbranch_execz .LBB469_1003
; %bb.1000:                             ;   in Loop: Header=BB469_788 Depth=1
	v_bfe_u32 v6, v6, 24, 7
	v_cmp_ne_u32_e32 vcc, s21, v6
	v_mov_b32_e32 v17, 0x7f800001
	s_and_saveexec_b64 s[18:19], vcc
	s_cbranch_execz .LBB469_1002
; %bb.1001:                             ;   in Loop: Header=BB469_788 Depth=1
	v_and_b32_e32 v14, 7, v8
	v_ffbh_u32_e32 v18, v14
	v_min_u32_e32 v20, 32, v18
	v_subrev_u32_e32 v18, 28, v20
	v_lshlrev_b64 v[18:19], v18, v[8:9]
	v_lshrrev_b32_e32 v17, 3, v6
	v_sub_u32_e32 v19, 29, v20
	v_and_b32_e32 v18, 7, v18
	v_cmp_gt_u32_e32 vcc, 8, v6
	v_cndmask_b32_e32 v6, v17, v19, vcc
	v_cndmask_b32_e32 v14, v14, v18, vcc
	v_lshlrev_b32_e32 v8, 24, v8
	v_lshlrev_b32_e32 v14, 20, v14
	v_and_b32_e32 v8, 0x80000000, v8
	v_lshl_add_u32 v6, v6, 23, v10
	v_or3_b32 v17, v8, v6, v14
.LBB469_1002:                           ;   in Loop: Header=BB469_788 Depth=1
	s_or_b64 exec, exec, s[18:19]
.LBB469_1003:                           ;   in Loop: Header=BB469_788 Depth=1
	s_or_b64 exec, exec, s[16:17]
.LBB469_1004:                           ;   in Loop: Header=BB469_788 Depth=1
	s_or_b64 exec, exec, s[14:15]
	s_waitcnt vmcnt(0)
	v_cmp_ne_u16_sdwa s[16:17], v4, v9 src0_sel:BYTE_0 src1_sel:DWORD
	s_and_saveexec_b64 s[14:15], s[16:17]
	s_cbranch_execz .LBB469_1010
; %bb.1005:                             ;   in Loop: Header=BB469_788 Depth=1
	v_cmp_ne_u16_sdwa s[18:19], v4, s5 src0_sel:BYTE_0 src1_sel:DWORD
	v_bfrev_b32_e32 v16, 1
	s_and_saveexec_b64 s[16:17], s[18:19]
	s_cbranch_execz .LBB469_1009
; %bb.1006:                             ;   in Loop: Header=BB469_788 Depth=1
	v_and_b32_e32 v6, 0x7f, v4
	v_cmp_ne_u32_e32 vcc, s21, v6
	v_mov_b32_e32 v16, 0x7f800001
	s_and_saveexec_b64 s[18:19], vcc
	s_cbranch_execz .LBB469_1008
; %bb.1007:                             ;   in Loop: Header=BB469_788 Depth=1
	v_and_b32_e32 v8, 7, v4
	v_ffbh_u32_e32 v16, v8
	v_min_u32_e32 v16, 32, v16
	v_subrev_u32_e32 v18, 28, v16
	v_lshlrev_b64 v[18:19], v18, v[4:5]
	v_lshrrev_b32_e32 v14, 3, v6
	v_sub_u32_e32 v16, 29, v16
	v_and_b32_e32 v18, 7, v18
	v_cmp_gt_u32_e32 vcc, 8, v6
	v_cndmask_b32_e32 v6, v14, v16, vcc
	v_cndmask_b32_e32 v8, v8, v18, vcc
	v_lshlrev_b32_e32 v14, 24, v4
	v_lshlrev_b32_e32 v8, 20, v8
	v_and_b32_e32 v14, 0x80000000, v14
	v_lshl_add_u32 v6, v6, 23, v10
	v_or3_b32 v16, v14, v6, v8
.LBB469_1008:                           ;   in Loop: Header=BB469_788 Depth=1
	s_or_b64 exec, exec, s[18:19]
.LBB469_1009:                           ;   in Loop: Header=BB469_788 Depth=1
	s_or_b64 exec, exec, s[16:17]
.LBB469_1010:                           ;   in Loop: Header=BB469_788 Depth=1
	s_or_b64 exec, exec, s[14:15]
	v_lshrrev_b16_e32 v6, 8, v4
	v_cmp_ne_u16_e32 vcc, 0, v6
	v_mov_b32_e32 v8, 0
	v_mov_b32_e32 v18, 0
	s_and_saveexec_b64 s[14:15], vcc
	s_cbranch_execz .LBB469_1016
; %bb.1011:                             ;   in Loop: Header=BB469_788 Depth=1
	v_cmp_ne_u16_e32 vcc, s5, v6
	v_bfrev_b32_e32 v18, 1
	s_and_saveexec_b64 s[16:17], vcc
	s_cbranch_execz .LBB469_1015
; %bb.1012:                             ;   in Loop: Header=BB469_788 Depth=1
	v_and_b32_e32 v14, 0x7f, v6
	v_cmp_ne_u32_e32 vcc, s21, v14
	v_mov_b32_e32 v18, 0x7f800001
	s_and_saveexec_b64 s[18:19], vcc
	s_cbranch_execz .LBB469_1014
; %bb.1013:                             ;   in Loop: Header=BB469_788 Depth=1
	v_and_b32_e32 v20, 7, v6
	v_ffbh_u32_e32 v18, v20
	v_min_u32_e32 v22, 32, v18
	v_subrev_u32_e32 v18, 28, v22
	v_lshlrev_b64 v[18:19], v18, v[6:7]
	v_lshrrev_b32_e32 v21, 3, v14
	v_sub_u32_e32 v6, 29, v22
	v_and_b32_e32 v18, 7, v18
	v_cmp_gt_u32_e32 vcc, 8, v14
	v_cndmask_b32_e32 v6, v21, v6, vcc
	v_cndmask_b32_e32 v14, v20, v18, vcc
	v_lshlrev_b32_e32 v18, 16, v4
	v_lshlrev_b32_e32 v14, 20, v14
	v_and_b32_e32 v18, 0x80000000, v18
	v_lshl_add_u32 v6, v6, 23, v10
	v_or3_b32 v18, v18, v6, v14
.LBB469_1014:                           ;   in Loop: Header=BB469_788 Depth=1
	s_or_b64 exec, exec, s[18:19]
.LBB469_1015:                           ;   in Loop: Header=BB469_788 Depth=1
	s_or_b64 exec, exec, s[16:17]
.LBB469_1016:                           ;   in Loop: Header=BB469_788 Depth=1
	s_or_b64 exec, exec, s[14:15]
	v_lshrrev_b32_e32 v6, 16, v4
	v_cmp_ne_u16_sdwa s[16:17], v6, v9 src0_sel:BYTE_0 src1_sel:DWORD
	s_and_saveexec_b64 s[14:15], s[16:17]
	s_cbranch_execz .LBB469_1022
; %bb.1017:                             ;   in Loop: Header=BB469_788 Depth=1
	v_cmp_ne_u16_sdwa s[18:19], v6, s5 src0_sel:BYTE_0 src1_sel:DWORD
	v_bfrev_b32_e32 v8, 1
	s_and_saveexec_b64 s[16:17], s[18:19]
	s_cbranch_execz .LBB469_1021
; %bb.1018:                             ;   in Loop: Header=BB469_788 Depth=1
	v_bfe_u32 v14, v4, 16, 7
	v_cmp_ne_u32_e32 vcc, s21, v14
	v_mov_b32_e32 v8, 0x7f800001
	s_and_saveexec_b64 s[18:19], vcc
	s_cbranch_execz .LBB469_1020
; %bb.1019:                             ;   in Loop: Header=BB469_788 Depth=1
	v_and_b32_e32 v8, 7, v6
	v_ffbh_u32_e32 v20, v8
	v_min_u32_e32 v22, 32, v20
	v_subrev_u32_e32 v20, 28, v22
	v_lshlrev_b64 v[20:21], v20, v[6:7]
	v_lshrrev_b32_e32 v19, 3, v14
	v_sub_u32_e32 v21, 29, v22
	v_and_b32_e32 v20, 7, v20
	v_cmp_gt_u32_e32 vcc, 8, v14
	v_cndmask_b32_e32 v14, v19, v21, vcc
	v_cndmask_b32_e32 v8, v8, v20, vcc
	v_lshlrev_b32_e32 v6, 24, v6
	v_lshlrev_b32_e32 v8, 20, v8
	v_and_b32_e32 v6, 0x80000000, v6
	v_lshl_add_u32 v14, v14, 23, v10
	v_or3_b32 v8, v6, v14, v8
.LBB469_1020:                           ;   in Loop: Header=BB469_788 Depth=1
	s_or_b64 exec, exec, s[18:19]
.LBB469_1021:                           ;   in Loop: Header=BB469_788 Depth=1
	s_or_b64 exec, exec, s[16:17]
.LBB469_1022:                           ;   in Loop: Header=BB469_788 Depth=1
	s_or_b64 exec, exec, s[14:15]
	v_cmp_lt_u32_e32 vcc, s22, v4
	v_mov_b32_e32 v14, 0
	v_mov_b32_e32 v19, 0
	s_and_saveexec_b64 s[14:15], vcc
	s_cbranch_execz .LBB469_1028
; %bb.1023:                             ;   in Loop: Header=BB469_788 Depth=1
	v_lshrrev_b32_e32 v6, 24, v4
	v_cmp_ne_u32_e32 vcc, s5, v6
	v_bfrev_b32_e32 v19, 1
	s_and_saveexec_b64 s[16:17], vcc
	s_cbranch_execz .LBB469_1027
; %bb.1024:                             ;   in Loop: Header=BB469_788 Depth=1
	v_bfe_u32 v4, v4, 24, 7
	v_cmp_ne_u32_e32 vcc, s21, v4
	v_mov_b32_e32 v19, 0x7f800001
	s_and_saveexec_b64 s[18:19], vcc
	s_cbranch_execz .LBB469_1026
; %bb.1025:                             ;   in Loop: Header=BB469_788 Depth=1
	v_and_b32_e32 v19, 7, v6
	v_ffbh_u32_e32 v20, v19
	v_min_u32_e32 v23, 32, v20
	v_subrev_u32_e32 v20, 28, v23
	v_lshlrev_b64 v[20:21], v20, v[6:7]
	v_lshrrev_b32_e32 v22, 3, v4
	v_sub_u32_e32 v21, 29, v23
	v_and_b32_e32 v20, 7, v20
	v_cmp_gt_u32_e32 vcc, 8, v4
	v_cndmask_b32_e32 v4, v22, v21, vcc
	v_cndmask_b32_e32 v19, v19, v20, vcc
	v_lshlrev_b32_e32 v6, 24, v6
	v_lshlrev_b32_e32 v19, 20, v19
	v_and_b32_e32 v6, 0x80000000, v6
	v_lshl_add_u32 v4, v4, 23, v10
	v_or3_b32 v19, v6, v4, v19
.LBB469_1026:                           ;   in Loop: Header=BB469_788 Depth=1
	s_or_b64 exec, exec, s[18:19]
.LBB469_1027:                           ;   in Loop: Header=BB469_788 Depth=1
	s_or_b64 exec, exec, s[16:17]
.LBB469_1028:                           ;   in Loop: Header=BB469_788 Depth=1
	s_or_b64 exec, exec, s[14:15]
	buffer_load_dword v6, v11, s[0:3], 0 offen offset:40
	buffer_load_dword v4, v11, s[0:3], 0 offen offset:44
	v_cvt_pkrtz_f16_f32 v20, v13, v15
	v_cvt_pkrtz_f16_f32 v21, v12, v17
	;; [unrolled: 1-line block ×4, first 2 shown]
	v_mfma_f32_4x4x4f16 a[0:3], v[2:3], v[20:21], a[0:3] cbsz:4 abid:8
	s_waitcnt vmcnt(1)
	v_cmp_ne_u16_sdwa s[16:17], v6, v9 src0_sel:BYTE_0 src1_sel:DWORD
	v_mfma_f32_4x4x4f16 a[0:3], v[2:3], v[12:13], a[0:3] cbsz:4 abid:9
	s_and_saveexec_b64 s[14:15], s[16:17]
	s_cbranch_execz .LBB469_1034
; %bb.1029:                             ;   in Loop: Header=BB469_788 Depth=1
	v_cmp_ne_u16_sdwa s[18:19], v6, s5 src0_sel:BYTE_0 src1_sel:DWORD
	v_bfrev_b32_e32 v14, 1
	s_and_saveexec_b64 s[16:17], s[18:19]
	s_cbranch_execz .LBB469_1033
; %bb.1030:                             ;   in Loop: Header=BB469_788 Depth=1
	v_and_b32_e32 v8, 0x7f, v6
	v_cmp_ne_u32_e32 vcc, s21, v8
	v_mov_b32_e32 v14, 0x7f800001
	s_and_saveexec_b64 s[18:19], vcc
	s_cbranch_execz .LBB469_1032
; %bb.1031:                             ;   in Loop: Header=BB469_788 Depth=1
	v_and_b32_e32 v14, 7, v6
	v_ffbh_u32_e32 v12, v14
	v_min_u32_e32 v16, 32, v12
	v_subrev_u32_e32 v12, 28, v16
	v_lshlrev_b64 v[12:13], v12, v[6:7]
	v_lshrrev_b32_e32 v15, 3, v8
	v_sub_u32_e32 v13, 29, v16
	v_and_b32_e32 v12, 7, v12
	v_cmp_gt_u32_e32 vcc, 8, v8
	v_cndmask_b32_e32 v8, v15, v13, vcc
	v_cndmask_b32_e32 v12, v14, v12, vcc
	v_lshlrev_b32_e32 v13, 24, v6
	v_lshlrev_b32_e32 v12, 20, v12
	v_and_b32_e32 v13, 0x80000000, v13
	v_lshl_add_u32 v8, v8, 23, v10
	v_or3_b32 v14, v13, v8, v12
.LBB469_1032:                           ;   in Loop: Header=BB469_788 Depth=1
	s_or_b64 exec, exec, s[18:19]
.LBB469_1033:                           ;   in Loop: Header=BB469_788 Depth=1
	s_or_b64 exec, exec, s[16:17]
.LBB469_1034:                           ;   in Loop: Header=BB469_788 Depth=1
	s_or_b64 exec, exec, s[14:15]
	v_lshrrev_b16_e32 v8, 8, v6
	v_cmp_ne_u16_e32 vcc, 0, v8
	v_mov_b32_e32 v13, 0
	v_mov_b32_e32 v15, 0
	s_and_saveexec_b64 s[14:15], vcc
	s_cbranch_execz .LBB469_1040
; %bb.1035:                             ;   in Loop: Header=BB469_788 Depth=1
	v_cmp_ne_u16_e32 vcc, s5, v8
	v_bfrev_b32_e32 v15, 1
	s_and_saveexec_b64 s[16:17], vcc
	s_cbranch_execz .LBB469_1039
; %bb.1036:                             ;   in Loop: Header=BB469_788 Depth=1
	v_and_b32_e32 v12, 0x7f, v8
	v_cmp_ne_u32_e32 vcc, s21, v12
	v_mov_b32_e32 v15, 0x7f800001
	s_and_saveexec_b64 s[18:19], vcc
	s_cbranch_execz .LBB469_1038
; %bb.1037:                             ;   in Loop: Header=BB469_788 Depth=1
	v_and_b32_e32 v15, 7, v8
	v_ffbh_u32_e32 v16, v15
	v_min_u32_e32 v19, 32, v16
	v_subrev_u32_e32 v16, 28, v19
	v_lshlrev_b64 v[16:17], v16, v[8:9]
	v_lshrrev_b32_e32 v18, 3, v12
	v_sub_u32_e32 v8, 29, v19
	v_and_b32_e32 v16, 7, v16
	v_cmp_gt_u32_e32 vcc, 8, v12
	v_cndmask_b32_e32 v8, v18, v8, vcc
	v_cndmask_b32_e32 v12, v15, v16, vcc
	v_lshlrev_b32_e32 v15, 16, v6
	v_lshlrev_b32_e32 v12, 20, v12
	v_and_b32_e32 v15, 0x80000000, v15
	v_lshl_add_u32 v8, v8, 23, v10
	v_or3_b32 v15, v15, v8, v12
.LBB469_1038:                           ;   in Loop: Header=BB469_788 Depth=1
	s_or_b64 exec, exec, s[18:19]
.LBB469_1039:                           ;   in Loop: Header=BB469_788 Depth=1
	s_or_b64 exec, exec, s[16:17]
.LBB469_1040:                           ;   in Loop: Header=BB469_788 Depth=1
	s_or_b64 exec, exec, s[14:15]
	v_lshrrev_b32_e32 v8, 16, v6
	v_cmp_ne_u16_sdwa s[16:17], v8, v9 src0_sel:BYTE_0 src1_sel:DWORD
	s_and_saveexec_b64 s[14:15], s[16:17]
	s_cbranch_execz .LBB469_1046
; %bb.1041:                             ;   in Loop: Header=BB469_788 Depth=1
	v_cmp_ne_u16_sdwa s[18:19], v8, s5 src0_sel:BYTE_0 src1_sel:DWORD
	v_bfrev_b32_e32 v13, 1
	s_and_saveexec_b64 s[16:17], s[18:19]
	s_cbranch_execz .LBB469_1045
; %bb.1042:                             ;   in Loop: Header=BB469_788 Depth=1
	v_bfe_u32 v12, v6, 16, 7
	v_cmp_ne_u32_e32 vcc, s21, v12
	v_mov_b32_e32 v13, 0x7f800001
	s_and_saveexec_b64 s[18:19], vcc
	s_cbranch_execz .LBB469_1044
; %bb.1043:                             ;   in Loop: Header=BB469_788 Depth=1
	v_and_b32_e32 v13, 7, v8
	v_ffbh_u32_e32 v16, v13
	v_min_u32_e32 v19, 32, v16
	v_subrev_u32_e32 v16, 28, v19
	v_lshlrev_b64 v[16:17], v16, v[8:9]
	v_lshrrev_b32_e32 v18, 3, v12
	v_sub_u32_e32 v17, 29, v19
	v_and_b32_e32 v16, 7, v16
	v_cmp_gt_u32_e32 vcc, 8, v12
	v_cndmask_b32_e32 v12, v18, v17, vcc
	v_cndmask_b32_e32 v13, v13, v16, vcc
	v_lshlrev_b32_e32 v8, 24, v8
	v_lshlrev_b32_e32 v13, 20, v13
	v_and_b32_e32 v8, 0x80000000, v8
	v_lshl_add_u32 v12, v12, 23, v10
	v_or3_b32 v13, v8, v12, v13
.LBB469_1044:                           ;   in Loop: Header=BB469_788 Depth=1
	s_or_b64 exec, exec, s[18:19]
.LBB469_1045:                           ;   in Loop: Header=BB469_788 Depth=1
	s_or_b64 exec, exec, s[16:17]
.LBB469_1046:                           ;   in Loop: Header=BB469_788 Depth=1
	s_or_b64 exec, exec, s[14:15]
	v_cmp_lt_u32_e32 vcc, s22, v6
	v_mov_b32_e32 v16, 0
	v_mov_b32_e32 v17, 0
	s_and_saveexec_b64 s[14:15], vcc
	s_cbranch_execz .LBB469_1052
; %bb.1047:                             ;   in Loop: Header=BB469_788 Depth=1
	v_lshrrev_b32_e32 v8, 24, v6
	v_cmp_ne_u32_e32 vcc, s5, v8
	v_bfrev_b32_e32 v17, 1
	s_and_saveexec_b64 s[16:17], vcc
	s_cbranch_execz .LBB469_1051
; %bb.1048:                             ;   in Loop: Header=BB469_788 Depth=1
	v_bfe_u32 v6, v6, 24, 7
	v_cmp_ne_u32_e32 vcc, s21, v6
	v_mov_b32_e32 v17, 0x7f800001
	s_and_saveexec_b64 s[18:19], vcc
	s_cbranch_execz .LBB469_1050
; %bb.1049:                             ;   in Loop: Header=BB469_788 Depth=1
	v_and_b32_e32 v12, 7, v8
	v_ffbh_u32_e32 v18, v12
	v_min_u32_e32 v20, 32, v18
	v_subrev_u32_e32 v18, 28, v20
	v_lshlrev_b64 v[18:19], v18, v[8:9]
	v_lshrrev_b32_e32 v17, 3, v6
	v_sub_u32_e32 v19, 29, v20
	v_and_b32_e32 v18, 7, v18
	v_cmp_gt_u32_e32 vcc, 8, v6
	v_cndmask_b32_e32 v6, v17, v19, vcc
	v_cndmask_b32_e32 v12, v12, v18, vcc
	v_lshlrev_b32_e32 v8, 24, v8
	v_lshlrev_b32_e32 v12, 20, v12
	v_and_b32_e32 v8, 0x80000000, v8
	v_lshl_add_u32 v6, v6, 23, v10
	v_or3_b32 v17, v8, v6, v12
.LBB469_1050:                           ;   in Loop: Header=BB469_788 Depth=1
	s_or_b64 exec, exec, s[18:19]
.LBB469_1051:                           ;   in Loop: Header=BB469_788 Depth=1
	s_or_b64 exec, exec, s[16:17]
.LBB469_1052:                           ;   in Loop: Header=BB469_788 Depth=1
	s_or_b64 exec, exec, s[14:15]
	s_waitcnt vmcnt(0)
	v_cmp_ne_u16_sdwa s[16:17], v4, v9 src0_sel:BYTE_0 src1_sel:DWORD
	s_and_saveexec_b64 s[14:15], s[16:17]
	s_cbranch_execz .LBB469_1058
; %bb.1053:                             ;   in Loop: Header=BB469_788 Depth=1
	v_cmp_ne_u16_sdwa s[18:19], v4, s5 src0_sel:BYTE_0 src1_sel:DWORD
	v_bfrev_b32_e32 v16, 1
	s_and_saveexec_b64 s[16:17], s[18:19]
	s_cbranch_execz .LBB469_1057
; %bb.1054:                             ;   in Loop: Header=BB469_788 Depth=1
	v_and_b32_e32 v6, 0x7f, v4
	v_cmp_ne_u32_e32 vcc, s21, v6
	v_mov_b32_e32 v16, 0x7f800001
	s_and_saveexec_b64 s[18:19], vcc
	s_cbranch_execz .LBB469_1056
; %bb.1055:                             ;   in Loop: Header=BB469_788 Depth=1
	v_and_b32_e32 v8, 7, v4
	v_ffbh_u32_e32 v16, v8
	v_min_u32_e32 v16, 32, v16
	v_subrev_u32_e32 v18, 28, v16
	v_lshlrev_b64 v[18:19], v18, v[4:5]
	v_lshrrev_b32_e32 v12, 3, v6
	v_sub_u32_e32 v16, 29, v16
	v_and_b32_e32 v18, 7, v18
	v_cmp_gt_u32_e32 vcc, 8, v6
	v_cndmask_b32_e32 v6, v12, v16, vcc
	v_cndmask_b32_e32 v8, v8, v18, vcc
	v_lshlrev_b32_e32 v12, 24, v4
	v_lshlrev_b32_e32 v8, 20, v8
	v_and_b32_e32 v12, 0x80000000, v12
	v_lshl_add_u32 v6, v6, 23, v10
	v_or3_b32 v16, v12, v6, v8
.LBB469_1056:                           ;   in Loop: Header=BB469_788 Depth=1
	s_or_b64 exec, exec, s[18:19]
.LBB469_1057:                           ;   in Loop: Header=BB469_788 Depth=1
	s_or_b64 exec, exec, s[16:17]
.LBB469_1058:                           ;   in Loop: Header=BB469_788 Depth=1
	s_or_b64 exec, exec, s[14:15]
	v_lshrrev_b16_e32 v6, 8, v4
	v_cmp_ne_u16_e32 vcc, 0, v6
	v_mov_b32_e32 v8, 0
	v_mov_b32_e32 v18, 0
	s_and_saveexec_b64 s[14:15], vcc
	s_cbranch_execz .LBB469_1064
; %bb.1059:                             ;   in Loop: Header=BB469_788 Depth=1
	v_cmp_ne_u16_e32 vcc, s5, v6
	v_bfrev_b32_e32 v18, 1
	s_and_saveexec_b64 s[16:17], vcc
	s_cbranch_execz .LBB469_1063
; %bb.1060:                             ;   in Loop: Header=BB469_788 Depth=1
	v_and_b32_e32 v12, 0x7f, v6
	v_cmp_ne_u32_e32 vcc, s21, v12
	v_mov_b32_e32 v18, 0x7f800001
	s_and_saveexec_b64 s[18:19], vcc
	s_cbranch_execz .LBB469_1062
; %bb.1061:                             ;   in Loop: Header=BB469_788 Depth=1
	v_and_b32_e32 v20, 7, v6
	v_ffbh_u32_e32 v18, v20
	v_min_u32_e32 v22, 32, v18
	v_subrev_u32_e32 v18, 28, v22
	v_lshlrev_b64 v[18:19], v18, v[6:7]
	v_lshrrev_b32_e32 v21, 3, v12
	v_sub_u32_e32 v6, 29, v22
	v_and_b32_e32 v18, 7, v18
	v_cmp_gt_u32_e32 vcc, 8, v12
	v_cndmask_b32_e32 v6, v21, v6, vcc
	v_cndmask_b32_e32 v12, v20, v18, vcc
	v_lshlrev_b32_e32 v18, 16, v4
	v_lshlrev_b32_e32 v12, 20, v12
	v_and_b32_e32 v18, 0x80000000, v18
	v_lshl_add_u32 v6, v6, 23, v10
	v_or3_b32 v18, v18, v6, v12
.LBB469_1062:                           ;   in Loop: Header=BB469_788 Depth=1
	s_or_b64 exec, exec, s[18:19]
.LBB469_1063:                           ;   in Loop: Header=BB469_788 Depth=1
	s_or_b64 exec, exec, s[16:17]
.LBB469_1064:                           ;   in Loop: Header=BB469_788 Depth=1
	s_or_b64 exec, exec, s[14:15]
	v_lshrrev_b32_e32 v6, 16, v4
	v_cmp_ne_u16_sdwa s[16:17], v6, v9 src0_sel:BYTE_0 src1_sel:DWORD
	s_and_saveexec_b64 s[14:15], s[16:17]
	s_cbranch_execz .LBB469_1070
; %bb.1065:                             ;   in Loop: Header=BB469_788 Depth=1
	v_cmp_ne_u16_sdwa s[18:19], v6, s5 src0_sel:BYTE_0 src1_sel:DWORD
	v_bfrev_b32_e32 v8, 1
	s_and_saveexec_b64 s[16:17], s[18:19]
	s_cbranch_execz .LBB469_1069
; %bb.1066:                             ;   in Loop: Header=BB469_788 Depth=1
	v_bfe_u32 v12, v4, 16, 7
	v_cmp_ne_u32_e32 vcc, s21, v12
	v_mov_b32_e32 v8, 0x7f800001
	s_and_saveexec_b64 s[18:19], vcc
	s_cbranch_execz .LBB469_1068
; %bb.1067:                             ;   in Loop: Header=BB469_788 Depth=1
	v_and_b32_e32 v8, 7, v6
	v_ffbh_u32_e32 v20, v8
	v_min_u32_e32 v22, 32, v20
	v_subrev_u32_e32 v20, 28, v22
	v_lshlrev_b64 v[20:21], v20, v[6:7]
	v_lshrrev_b32_e32 v19, 3, v12
	v_sub_u32_e32 v21, 29, v22
	v_and_b32_e32 v20, 7, v20
	v_cmp_gt_u32_e32 vcc, 8, v12
	v_cndmask_b32_e32 v12, v19, v21, vcc
	v_cndmask_b32_e32 v8, v8, v20, vcc
	v_lshlrev_b32_e32 v6, 24, v6
	v_lshlrev_b32_e32 v8, 20, v8
	v_and_b32_e32 v6, 0x80000000, v6
	v_lshl_add_u32 v12, v12, 23, v10
	v_or3_b32 v8, v6, v12, v8
.LBB469_1068:                           ;   in Loop: Header=BB469_788 Depth=1
	s_or_b64 exec, exec, s[18:19]
.LBB469_1069:                           ;   in Loop: Header=BB469_788 Depth=1
	s_or_b64 exec, exec, s[16:17]
.LBB469_1070:                           ;   in Loop: Header=BB469_788 Depth=1
	s_or_b64 exec, exec, s[14:15]
	v_cmp_lt_u32_e32 vcc, s22, v4
	v_mov_b32_e32 v12, 0
	v_mov_b32_e32 v19, 0
	s_and_saveexec_b64 s[14:15], vcc
	s_cbranch_execz .LBB469_1076
; %bb.1071:                             ;   in Loop: Header=BB469_788 Depth=1
	v_lshrrev_b32_e32 v6, 24, v4
	v_cmp_ne_u32_e32 vcc, s5, v6
	v_bfrev_b32_e32 v19, 1
	s_and_saveexec_b64 s[16:17], vcc
	s_cbranch_execz .LBB469_1075
; %bb.1072:                             ;   in Loop: Header=BB469_788 Depth=1
	v_bfe_u32 v4, v4, 24, 7
	v_cmp_ne_u32_e32 vcc, s21, v4
	v_mov_b32_e32 v19, 0x7f800001
	s_and_saveexec_b64 s[18:19], vcc
	s_cbranch_execz .LBB469_1074
; %bb.1073:                             ;   in Loop: Header=BB469_788 Depth=1
	v_and_b32_e32 v19, 7, v6
	v_ffbh_u32_e32 v20, v19
	v_min_u32_e32 v23, 32, v20
	v_subrev_u32_e32 v20, 28, v23
	v_lshlrev_b64 v[20:21], v20, v[6:7]
	v_lshrrev_b32_e32 v22, 3, v4
	v_sub_u32_e32 v21, 29, v23
	v_and_b32_e32 v20, 7, v20
	v_cmp_gt_u32_e32 vcc, 8, v4
	v_cndmask_b32_e32 v4, v22, v21, vcc
	v_cndmask_b32_e32 v19, v19, v20, vcc
	v_lshlrev_b32_e32 v6, 24, v6
	v_lshlrev_b32_e32 v19, 20, v19
	v_and_b32_e32 v6, 0x80000000, v6
	v_lshl_add_u32 v4, v4, 23, v10
	v_or3_b32 v19, v6, v4, v19
.LBB469_1074:                           ;   in Loop: Header=BB469_788 Depth=1
	s_or_b64 exec, exec, s[18:19]
.LBB469_1075:                           ;   in Loop: Header=BB469_788 Depth=1
	s_or_b64 exec, exec, s[16:17]
.LBB469_1076:                           ;   in Loop: Header=BB469_788 Depth=1
	s_or_b64 exec, exec, s[14:15]
	buffer_load_dword v6, v11, s[0:3], 0 offen offset:48
	buffer_load_dword v4, v11, s[0:3], 0 offen offset:52
	v_cvt_pkrtz_f16_f32 v14, v14, v15
	v_cvt_pkrtz_f16_f32 v15, v13, v17
	;; [unrolled: 1-line block ×4, first 2 shown]
	v_mfma_f32_4x4x4f16 a[0:3], v[2:3], v[14:15], a[0:3] cbsz:4 abid:10
	s_waitcnt vmcnt(1)
	v_cmp_ne_u16_sdwa s[16:17], v6, v9 src0_sel:BYTE_0 src1_sel:DWORD
	v_mfma_f32_4x4x4f16 a[0:3], v[2:3], v[16:17], a[0:3] cbsz:4 abid:11
	s_and_saveexec_b64 s[14:15], s[16:17]
	s_cbranch_execz .LBB469_1082
; %bb.1077:                             ;   in Loop: Header=BB469_788 Depth=1
	v_cmp_ne_u16_sdwa s[18:19], v6, s5 src0_sel:BYTE_0 src1_sel:DWORD
	v_bfrev_b32_e32 v12, 1
	s_and_saveexec_b64 s[16:17], s[18:19]
	s_cbranch_execz .LBB469_1081
; %bb.1078:                             ;   in Loop: Header=BB469_788 Depth=1
	v_and_b32_e32 v8, 0x7f, v6
	v_cmp_ne_u32_e32 vcc, s21, v8
	v_mov_b32_e32 v12, 0x7f800001
	s_and_saveexec_b64 s[18:19], vcc
	s_cbranch_execz .LBB469_1080
; %bb.1079:                             ;   in Loop: Header=BB469_788 Depth=1
	v_and_b32_e32 v14, 7, v6
	v_ffbh_u32_e32 v12, v14
	v_min_u32_e32 v16, 32, v12
	v_subrev_u32_e32 v12, 28, v16
	v_lshlrev_b64 v[12:13], v12, v[6:7]
	v_lshrrev_b32_e32 v15, 3, v8
	v_sub_u32_e32 v13, 29, v16
	v_and_b32_e32 v12, 7, v12
	v_cmp_gt_u32_e32 vcc, 8, v8
	v_cndmask_b32_e32 v8, v15, v13, vcc
	v_cndmask_b32_e32 v12, v14, v12, vcc
	v_lshlrev_b32_e32 v13, 24, v6
	v_lshlrev_b32_e32 v12, 20, v12
	v_and_b32_e32 v13, 0x80000000, v13
	v_lshl_add_u32 v8, v8, 23, v10
	v_or3_b32 v12, v13, v8, v12
.LBB469_1080:                           ;   in Loop: Header=BB469_788 Depth=1
	s_or_b64 exec, exec, s[18:19]
.LBB469_1081:                           ;   in Loop: Header=BB469_788 Depth=1
	s_or_b64 exec, exec, s[16:17]
.LBB469_1082:                           ;   in Loop: Header=BB469_788 Depth=1
	s_or_b64 exec, exec, s[14:15]
	v_lshrrev_b16_e32 v8, 8, v6
	v_cmp_ne_u16_e32 vcc, 0, v8
	v_mov_b32_e32 v14, 0
	v_mov_b32_e32 v15, 0
	s_and_saveexec_b64 s[14:15], vcc
	s_cbranch_execz .LBB469_1088
; %bb.1083:                             ;   in Loop: Header=BB469_788 Depth=1
	v_cmp_ne_u16_e32 vcc, s5, v8
	v_bfrev_b32_e32 v15, 1
	s_and_saveexec_b64 s[16:17], vcc
	s_cbranch_execz .LBB469_1087
; %bb.1084:                             ;   in Loop: Header=BB469_788 Depth=1
	v_and_b32_e32 v13, 0x7f, v8
	v_cmp_ne_u32_e32 vcc, s21, v13
	v_mov_b32_e32 v15, 0x7f800001
	s_and_saveexec_b64 s[18:19], vcc
	s_cbranch_execz .LBB469_1086
; %bb.1085:                             ;   in Loop: Header=BB469_788 Depth=1
	v_and_b32_e32 v15, 7, v8
	v_ffbh_u32_e32 v16, v15
	v_min_u32_e32 v19, 32, v16
	v_subrev_u32_e32 v16, 28, v19
	v_lshlrev_b64 v[16:17], v16, v[8:9]
	v_lshrrev_b32_e32 v18, 3, v13
	v_sub_u32_e32 v8, 29, v19
	v_and_b32_e32 v16, 7, v16
	v_cmp_gt_u32_e32 vcc, 8, v13
	v_cndmask_b32_e32 v8, v18, v8, vcc
	v_cndmask_b32_e32 v13, v15, v16, vcc
	v_lshlrev_b32_e32 v15, 16, v6
	v_lshlrev_b32_e32 v13, 20, v13
	v_and_b32_e32 v15, 0x80000000, v15
	v_lshl_add_u32 v8, v8, 23, v10
	v_or3_b32 v15, v15, v8, v13
.LBB469_1086:                           ;   in Loop: Header=BB469_788 Depth=1
	s_or_b64 exec, exec, s[18:19]
.LBB469_1087:                           ;   in Loop: Header=BB469_788 Depth=1
	s_or_b64 exec, exec, s[16:17]
.LBB469_1088:                           ;   in Loop: Header=BB469_788 Depth=1
	s_or_b64 exec, exec, s[14:15]
	v_lshrrev_b32_e32 v8, 16, v6
	v_cmp_ne_u16_sdwa s[16:17], v8, v9 src0_sel:BYTE_0 src1_sel:DWORD
	s_and_saveexec_b64 s[14:15], s[16:17]
	s_cbranch_execz .LBB469_1094
; %bb.1089:                             ;   in Loop: Header=BB469_788 Depth=1
	v_cmp_ne_u16_sdwa s[18:19], v8, s5 src0_sel:BYTE_0 src1_sel:DWORD
	v_bfrev_b32_e32 v14, 1
	s_and_saveexec_b64 s[16:17], s[18:19]
	s_cbranch_execz .LBB469_1093
; %bb.1090:                             ;   in Loop: Header=BB469_788 Depth=1
	v_bfe_u32 v13, v6, 16, 7
	v_cmp_ne_u32_e32 vcc, s21, v13
	v_mov_b32_e32 v14, 0x7f800001
	s_and_saveexec_b64 s[18:19], vcc
	s_cbranch_execz .LBB469_1092
; %bb.1091:                             ;   in Loop: Header=BB469_788 Depth=1
	v_and_b32_e32 v14, 7, v8
	v_ffbh_u32_e32 v16, v14
	v_min_u32_e32 v19, 32, v16
	v_subrev_u32_e32 v16, 28, v19
	v_lshlrev_b64 v[16:17], v16, v[8:9]
	v_lshrrev_b32_e32 v18, 3, v13
	v_sub_u32_e32 v17, 29, v19
	v_and_b32_e32 v16, 7, v16
	v_cmp_gt_u32_e32 vcc, 8, v13
	v_cndmask_b32_e32 v13, v18, v17, vcc
	v_cndmask_b32_e32 v14, v14, v16, vcc
	v_lshlrev_b32_e32 v8, 24, v8
	v_lshlrev_b32_e32 v14, 20, v14
	v_and_b32_e32 v8, 0x80000000, v8
	v_lshl_add_u32 v13, v13, 23, v10
	v_or3_b32 v14, v8, v13, v14
.LBB469_1092:                           ;   in Loop: Header=BB469_788 Depth=1
	s_or_b64 exec, exec, s[18:19]
.LBB469_1093:                           ;   in Loop: Header=BB469_788 Depth=1
	s_or_b64 exec, exec, s[16:17]
.LBB469_1094:                           ;   in Loop: Header=BB469_788 Depth=1
	s_or_b64 exec, exec, s[14:15]
	v_cmp_lt_u32_e32 vcc, s22, v6
	v_mov_b32_e32 v16, 0
	v_mov_b32_e32 v17, 0
	s_and_saveexec_b64 s[14:15], vcc
	s_cbranch_execz .LBB469_1100
; %bb.1095:                             ;   in Loop: Header=BB469_788 Depth=1
	v_lshrrev_b32_e32 v8, 24, v6
	v_cmp_ne_u32_e32 vcc, s5, v8
	v_bfrev_b32_e32 v17, 1
	s_and_saveexec_b64 s[16:17], vcc
	s_cbranch_execz .LBB469_1099
; %bb.1096:                             ;   in Loop: Header=BB469_788 Depth=1
	v_bfe_u32 v6, v6, 24, 7
	v_cmp_ne_u32_e32 vcc, s21, v6
	v_mov_b32_e32 v17, 0x7f800001
	s_and_saveexec_b64 s[18:19], vcc
	s_cbranch_execz .LBB469_1098
; %bb.1097:                             ;   in Loop: Header=BB469_788 Depth=1
	v_and_b32_e32 v13, 7, v8
	v_ffbh_u32_e32 v18, v13
	v_min_u32_e32 v20, 32, v18
	v_subrev_u32_e32 v18, 28, v20
	v_lshlrev_b64 v[18:19], v18, v[8:9]
	v_lshrrev_b32_e32 v17, 3, v6
	v_sub_u32_e32 v19, 29, v20
	v_and_b32_e32 v18, 7, v18
	v_cmp_gt_u32_e32 vcc, 8, v6
	v_cndmask_b32_e32 v6, v17, v19, vcc
	v_cndmask_b32_e32 v13, v13, v18, vcc
	v_lshlrev_b32_e32 v8, 24, v8
	v_lshlrev_b32_e32 v13, 20, v13
	v_and_b32_e32 v8, 0x80000000, v8
	v_lshl_add_u32 v6, v6, 23, v10
	v_or3_b32 v17, v8, v6, v13
.LBB469_1098:                           ;   in Loop: Header=BB469_788 Depth=1
	s_or_b64 exec, exec, s[18:19]
.LBB469_1099:                           ;   in Loop: Header=BB469_788 Depth=1
	s_or_b64 exec, exec, s[16:17]
.LBB469_1100:                           ;   in Loop: Header=BB469_788 Depth=1
	s_or_b64 exec, exec, s[14:15]
	s_waitcnt vmcnt(0)
	v_cmp_ne_u16_sdwa s[16:17], v4, v9 src0_sel:BYTE_0 src1_sel:DWORD
	s_and_saveexec_b64 s[14:15], s[16:17]
	s_cbranch_execz .LBB469_1106
; %bb.1101:                             ;   in Loop: Header=BB469_788 Depth=1
	v_cmp_ne_u16_sdwa s[18:19], v4, s5 src0_sel:BYTE_0 src1_sel:DWORD
	v_bfrev_b32_e32 v16, 1
	s_and_saveexec_b64 s[16:17], s[18:19]
	s_cbranch_execz .LBB469_1105
; %bb.1102:                             ;   in Loop: Header=BB469_788 Depth=1
	v_and_b32_e32 v6, 0x7f, v4
	v_cmp_ne_u32_e32 vcc, s21, v6
	v_mov_b32_e32 v16, 0x7f800001
	s_and_saveexec_b64 s[18:19], vcc
	s_cbranch_execz .LBB469_1104
; %bb.1103:                             ;   in Loop: Header=BB469_788 Depth=1
	v_and_b32_e32 v8, 7, v4
	v_ffbh_u32_e32 v16, v8
	v_min_u32_e32 v16, 32, v16
	v_subrev_u32_e32 v18, 28, v16
	v_lshlrev_b64 v[18:19], v18, v[4:5]
	v_lshrrev_b32_e32 v13, 3, v6
	v_sub_u32_e32 v16, 29, v16
	v_and_b32_e32 v18, 7, v18
	v_cmp_gt_u32_e32 vcc, 8, v6
	v_cndmask_b32_e32 v6, v13, v16, vcc
	v_cndmask_b32_e32 v8, v8, v18, vcc
	v_lshlrev_b32_e32 v13, 24, v4
	v_lshlrev_b32_e32 v8, 20, v8
	v_and_b32_e32 v13, 0x80000000, v13
	v_lshl_add_u32 v6, v6, 23, v10
	v_or3_b32 v16, v13, v6, v8
.LBB469_1104:                           ;   in Loop: Header=BB469_788 Depth=1
	s_or_b64 exec, exec, s[18:19]
.LBB469_1105:                           ;   in Loop: Header=BB469_788 Depth=1
	s_or_b64 exec, exec, s[16:17]
.LBB469_1106:                           ;   in Loop: Header=BB469_788 Depth=1
	s_or_b64 exec, exec, s[14:15]
	v_lshrrev_b16_e32 v6, 8, v4
	v_cmp_ne_u16_e32 vcc, 0, v6
	v_mov_b32_e32 v8, 0
	v_mov_b32_e32 v18, 0
	s_and_saveexec_b64 s[14:15], vcc
	s_cbranch_execz .LBB469_1112
; %bb.1107:                             ;   in Loop: Header=BB469_788 Depth=1
	v_cmp_ne_u16_e32 vcc, s5, v6
	v_bfrev_b32_e32 v18, 1
	s_and_saveexec_b64 s[16:17], vcc
	s_cbranch_execz .LBB469_1111
; %bb.1108:                             ;   in Loop: Header=BB469_788 Depth=1
	v_and_b32_e32 v13, 0x7f, v6
	v_cmp_ne_u32_e32 vcc, s21, v13
	v_mov_b32_e32 v18, 0x7f800001
	s_and_saveexec_b64 s[18:19], vcc
	s_cbranch_execz .LBB469_1110
; %bb.1109:                             ;   in Loop: Header=BB469_788 Depth=1
	v_and_b32_e32 v20, 7, v6
	v_ffbh_u32_e32 v18, v20
	v_min_u32_e32 v22, 32, v18
	v_subrev_u32_e32 v18, 28, v22
	v_lshlrev_b64 v[18:19], v18, v[6:7]
	v_lshrrev_b32_e32 v21, 3, v13
	v_sub_u32_e32 v6, 29, v22
	v_and_b32_e32 v18, 7, v18
	v_cmp_gt_u32_e32 vcc, 8, v13
	v_cndmask_b32_e32 v6, v21, v6, vcc
	v_cndmask_b32_e32 v13, v20, v18, vcc
	v_lshlrev_b32_e32 v18, 16, v4
	v_lshlrev_b32_e32 v13, 20, v13
	v_and_b32_e32 v18, 0x80000000, v18
	v_lshl_add_u32 v6, v6, 23, v10
	v_or3_b32 v18, v18, v6, v13
.LBB469_1110:                           ;   in Loop: Header=BB469_788 Depth=1
	s_or_b64 exec, exec, s[18:19]
.LBB469_1111:                           ;   in Loop: Header=BB469_788 Depth=1
	s_or_b64 exec, exec, s[16:17]
.LBB469_1112:                           ;   in Loop: Header=BB469_788 Depth=1
	s_or_b64 exec, exec, s[14:15]
	v_lshrrev_b32_e32 v6, 16, v4
	v_cmp_ne_u16_sdwa s[16:17], v6, v9 src0_sel:BYTE_0 src1_sel:DWORD
	s_and_saveexec_b64 s[14:15], s[16:17]
	s_cbranch_execz .LBB469_1118
; %bb.1113:                             ;   in Loop: Header=BB469_788 Depth=1
	v_cmp_ne_u16_sdwa s[18:19], v6, s5 src0_sel:BYTE_0 src1_sel:DWORD
	v_bfrev_b32_e32 v8, 1
	s_and_saveexec_b64 s[16:17], s[18:19]
	s_cbranch_execz .LBB469_1117
; %bb.1114:                             ;   in Loop: Header=BB469_788 Depth=1
	v_bfe_u32 v13, v4, 16, 7
	v_cmp_ne_u32_e32 vcc, s21, v13
	v_mov_b32_e32 v8, 0x7f800001
	s_and_saveexec_b64 s[18:19], vcc
	s_cbranch_execz .LBB469_1116
; %bb.1115:                             ;   in Loop: Header=BB469_788 Depth=1
	v_and_b32_e32 v8, 7, v6
	v_ffbh_u32_e32 v20, v8
	v_min_u32_e32 v22, 32, v20
	v_subrev_u32_e32 v20, 28, v22
	v_lshlrev_b64 v[20:21], v20, v[6:7]
	v_lshrrev_b32_e32 v19, 3, v13
	v_sub_u32_e32 v21, 29, v22
	v_and_b32_e32 v20, 7, v20
	v_cmp_gt_u32_e32 vcc, 8, v13
	v_cndmask_b32_e32 v13, v19, v21, vcc
	v_cndmask_b32_e32 v8, v8, v20, vcc
	v_lshlrev_b32_e32 v6, 24, v6
	v_lshlrev_b32_e32 v8, 20, v8
	v_and_b32_e32 v6, 0x80000000, v6
	v_lshl_add_u32 v13, v13, 23, v10
	v_or3_b32 v8, v6, v13, v8
.LBB469_1116:                           ;   in Loop: Header=BB469_788 Depth=1
	s_or_b64 exec, exec, s[18:19]
.LBB469_1117:                           ;   in Loop: Header=BB469_788 Depth=1
	s_or_b64 exec, exec, s[16:17]
.LBB469_1118:                           ;   in Loop: Header=BB469_788 Depth=1
	s_or_b64 exec, exec, s[14:15]
	v_cmp_lt_u32_e32 vcc, s22, v4
	v_mov_b32_e32 v13, 0
	v_mov_b32_e32 v19, 0
	s_and_saveexec_b64 s[14:15], vcc
	s_cbranch_execz .LBB469_1124
; %bb.1119:                             ;   in Loop: Header=BB469_788 Depth=1
	v_lshrrev_b32_e32 v6, 24, v4
	v_cmp_ne_u32_e32 vcc, s5, v6
	v_bfrev_b32_e32 v19, 1
	s_and_saveexec_b64 s[16:17], vcc
	s_cbranch_execz .LBB469_1123
; %bb.1120:                             ;   in Loop: Header=BB469_788 Depth=1
	v_bfe_u32 v4, v4, 24, 7
	v_cmp_ne_u32_e32 vcc, s21, v4
	v_mov_b32_e32 v19, 0x7f800001
	s_and_saveexec_b64 s[18:19], vcc
	s_cbranch_execz .LBB469_1122
; %bb.1121:                             ;   in Loop: Header=BB469_788 Depth=1
	v_and_b32_e32 v19, 7, v6
	v_ffbh_u32_e32 v20, v19
	v_min_u32_e32 v23, 32, v20
	v_subrev_u32_e32 v20, 28, v23
	v_lshlrev_b64 v[20:21], v20, v[6:7]
	v_lshrrev_b32_e32 v22, 3, v4
	v_sub_u32_e32 v21, 29, v23
	v_and_b32_e32 v20, 7, v20
	v_cmp_gt_u32_e32 vcc, 8, v4
	v_cndmask_b32_e32 v4, v22, v21, vcc
	v_cndmask_b32_e32 v19, v19, v20, vcc
	v_lshlrev_b32_e32 v6, 24, v6
	v_lshlrev_b32_e32 v19, 20, v19
	v_and_b32_e32 v6, 0x80000000, v6
	v_lshl_add_u32 v4, v4, 23, v10
	v_or3_b32 v19, v6, v4, v19
.LBB469_1122:                           ;   in Loop: Header=BB469_788 Depth=1
	s_or_b64 exec, exec, s[18:19]
.LBB469_1123:                           ;   in Loop: Header=BB469_788 Depth=1
	s_or_b64 exec, exec, s[16:17]
.LBB469_1124:                           ;   in Loop: Header=BB469_788 Depth=1
	s_or_b64 exec, exec, s[14:15]
	buffer_load_dword v6, v11, s[0:3], 0 offen offset:56
	buffer_load_dword v4, v11, s[0:3], 0 offen offset:60
	v_cvt_pkrtz_f16_f32 v20, v12, v15
	v_cvt_pkrtz_f16_f32 v21, v14, v17
	;; [unrolled: 1-line block ×4, first 2 shown]
	v_mfma_f32_4x4x4f16 a[0:3], v[2:3], v[20:21], a[0:3] cbsz:4 abid:12
	s_waitcnt vmcnt(1)
	v_cmp_ne_u16_sdwa s[16:17], v6, v9 src0_sel:BYTE_0 src1_sel:DWORD
	v_mfma_f32_4x4x4f16 a[0:3], v[2:3], v[14:15], a[0:3] cbsz:4 abid:13
	s_and_saveexec_b64 s[14:15], s[16:17]
	s_cbranch_execz .LBB469_1130
; %bb.1125:                             ;   in Loop: Header=BB469_788 Depth=1
	v_cmp_ne_u16_sdwa s[18:19], v6, s5 src0_sel:BYTE_0 src1_sel:DWORD
	v_bfrev_b32_e32 v13, 1
	s_and_saveexec_b64 s[16:17], s[18:19]
	s_cbranch_execz .LBB469_1129
; %bb.1126:                             ;   in Loop: Header=BB469_788 Depth=1
	v_and_b32_e32 v8, 0x7f, v6
	v_cmp_ne_u32_e32 vcc, s21, v8
	v_mov_b32_e32 v13, 0x7f800001
	s_and_saveexec_b64 s[18:19], vcc
	s_cbranch_execz .LBB469_1128
; %bb.1127:                             ;   in Loop: Header=BB469_788 Depth=1
	v_and_b32_e32 v11, 7, v6
	v_ffbh_u32_e32 v12, v11
	v_min_u32_e32 v15, 32, v12
	v_subrev_u32_e32 v12, 28, v15
	v_lshlrev_b64 v[12:13], v12, v[6:7]
	v_lshrrev_b32_e32 v14, 3, v8
	v_sub_u32_e32 v13, 29, v15
	v_and_b32_e32 v12, 7, v12
	v_cmp_gt_u32_e32 vcc, 8, v8
	v_cndmask_b32_e32 v8, v14, v13, vcc
	v_cndmask_b32_e32 v11, v11, v12, vcc
	v_lshlrev_b32_e32 v12, 24, v6
	v_lshlrev_b32_e32 v11, 20, v11
	v_and_b32_e32 v12, 0x80000000, v12
	v_lshl_add_u32 v8, v8, 23, v10
	v_or3_b32 v13, v12, v8, v11
.LBB469_1128:                           ;   in Loop: Header=BB469_788 Depth=1
	s_or_b64 exec, exec, s[18:19]
.LBB469_1129:                           ;   in Loop: Header=BB469_788 Depth=1
	s_or_b64 exec, exec, s[16:17]
.LBB469_1130:                           ;   in Loop: Header=BB469_788 Depth=1
	s_or_b64 exec, exec, s[14:15]
	v_lshrrev_b16_e32 v8, 8, v6
	v_cmp_ne_u16_e32 vcc, 0, v8
	v_mov_b32_e32 v11, 0
	v_mov_b32_e32 v12, 0
	s_and_saveexec_b64 s[14:15], vcc
	s_cbranch_execz .LBB469_1136
; %bb.1131:                             ;   in Loop: Header=BB469_788 Depth=1
	v_cmp_ne_u16_e32 vcc, s5, v8
	v_bfrev_b32_e32 v12, 1
	s_and_saveexec_b64 s[16:17], vcc
	s_cbranch_execz .LBB469_1135
; %bb.1132:                             ;   in Loop: Header=BB469_788 Depth=1
	v_and_b32_e32 v14, 0x7f, v8
	v_cmp_ne_u32_e32 vcc, s21, v14
	v_mov_b32_e32 v12, 0x7f800001
	s_and_saveexec_b64 s[18:19], vcc
	s_cbranch_execz .LBB469_1134
; %bb.1133:                             ;   in Loop: Header=BB469_788 Depth=1
	v_and_b32_e32 v12, 7, v8
	v_ffbh_u32_e32 v16, v12
	v_min_u32_e32 v18, 32, v16
	v_subrev_u32_e32 v16, 28, v18
	v_lshlrev_b64 v[16:17], v16, v[8:9]
	v_lshrrev_b32_e32 v15, 3, v14
	v_sub_u32_e32 v8, 29, v18
	v_and_b32_e32 v16, 7, v16
	v_cmp_gt_u32_e32 vcc, 8, v14
	v_cndmask_b32_e32 v8, v15, v8, vcc
	v_cndmask_b32_e32 v12, v12, v16, vcc
	v_lshlrev_b32_e32 v14, 16, v6
	v_lshlrev_b32_e32 v12, 20, v12
	v_and_b32_e32 v14, 0x80000000, v14
	v_lshl_add_u32 v8, v8, 23, v10
	v_or3_b32 v12, v14, v8, v12
.LBB469_1134:                           ;   in Loop: Header=BB469_788 Depth=1
	s_or_b64 exec, exec, s[18:19]
.LBB469_1135:                           ;   in Loop: Header=BB469_788 Depth=1
	s_or_b64 exec, exec, s[16:17]
.LBB469_1136:                           ;   in Loop: Header=BB469_788 Depth=1
	s_or_b64 exec, exec, s[14:15]
	v_lshrrev_b32_e32 v8, 16, v6
	v_cmp_ne_u16_sdwa s[16:17], v8, v9 src0_sel:BYTE_0 src1_sel:DWORD
	s_and_saveexec_b64 s[14:15], s[16:17]
	s_cbranch_execz .LBB469_1142
; %bb.1137:                             ;   in Loop: Header=BB469_788 Depth=1
	v_cmp_ne_u16_sdwa s[18:19], v8, s5 src0_sel:BYTE_0 src1_sel:DWORD
	v_bfrev_b32_e32 v11, 1
	s_and_saveexec_b64 s[16:17], s[18:19]
	s_cbranch_execz .LBB469_1141
; %bb.1138:                             ;   in Loop: Header=BB469_788 Depth=1
	v_bfe_u32 v14, v6, 16, 7
	v_cmp_ne_u32_e32 vcc, s21, v14
	v_mov_b32_e32 v11, 0x7f800001
	s_and_saveexec_b64 s[18:19], vcc
	s_cbranch_execz .LBB469_1140
; %bb.1139:                             ;   in Loop: Header=BB469_788 Depth=1
	v_and_b32_e32 v11, 7, v8
	v_ffbh_u32_e32 v16, v11
	v_min_u32_e32 v18, 32, v16
	v_subrev_u32_e32 v16, 28, v18
	v_lshlrev_b64 v[16:17], v16, v[8:9]
	v_lshrrev_b32_e32 v15, 3, v14
	v_sub_u32_e32 v17, 29, v18
	v_and_b32_e32 v16, 7, v16
	v_cmp_gt_u32_e32 vcc, 8, v14
	v_cndmask_b32_e32 v14, v15, v17, vcc
	v_cndmask_b32_e32 v11, v11, v16, vcc
	v_lshlrev_b32_e32 v8, 24, v8
	v_lshlrev_b32_e32 v11, 20, v11
	v_and_b32_e32 v8, 0x80000000, v8
	v_lshl_add_u32 v14, v14, 23, v10
	v_or3_b32 v11, v8, v14, v11
.LBB469_1140:                           ;   in Loop: Header=BB469_788 Depth=1
	s_or_b64 exec, exec, s[18:19]
.LBB469_1141:                           ;   in Loop: Header=BB469_788 Depth=1
	s_or_b64 exec, exec, s[16:17]
.LBB469_1142:                           ;   in Loop: Header=BB469_788 Depth=1
	s_or_b64 exec, exec, s[14:15]
	v_cmp_lt_u32_e32 vcc, s22, v6
	v_mov_b32_e32 v14, 0
	v_mov_b32_e32 v15, 0
	s_and_saveexec_b64 s[14:15], vcc
	s_cbranch_execz .LBB469_1148
; %bb.1143:                             ;   in Loop: Header=BB469_788 Depth=1
	v_lshrrev_b32_e32 v8, 24, v6
	v_cmp_ne_u32_e32 vcc, s5, v8
	v_bfrev_b32_e32 v15, 1
	s_and_saveexec_b64 s[16:17], vcc
	s_cbranch_execz .LBB469_1147
; %bb.1144:                             ;   in Loop: Header=BB469_788 Depth=1
	v_bfe_u32 v6, v6, 24, 7
	v_cmp_ne_u32_e32 vcc, s21, v6
	v_mov_b32_e32 v15, 0x7f800001
	s_and_saveexec_b64 s[18:19], vcc
	s_cbranch_execz .LBB469_1146
; %bb.1145:                             ;   in Loop: Header=BB469_788 Depth=1
	v_and_b32_e32 v15, 7, v8
	v_ffbh_u32_e32 v16, v15
	v_min_u32_e32 v19, 32, v16
	v_subrev_u32_e32 v16, 28, v19
	v_lshlrev_b64 v[16:17], v16, v[8:9]
	v_lshrrev_b32_e32 v18, 3, v6
	v_sub_u32_e32 v17, 29, v19
	v_and_b32_e32 v16, 7, v16
	v_cmp_gt_u32_e32 vcc, 8, v6
	v_cndmask_b32_e32 v6, v18, v17, vcc
	v_cndmask_b32_e32 v15, v15, v16, vcc
	v_lshlrev_b32_e32 v8, 24, v8
	v_lshlrev_b32_e32 v15, 20, v15
	v_and_b32_e32 v8, 0x80000000, v8
	v_lshl_add_u32 v6, v6, 23, v10
	v_or3_b32 v15, v8, v6, v15
.LBB469_1146:                           ;   in Loop: Header=BB469_788 Depth=1
	s_or_b64 exec, exec, s[18:19]
.LBB469_1147:                           ;   in Loop: Header=BB469_788 Depth=1
	s_or_b64 exec, exec, s[16:17]
.LBB469_1148:                           ;   in Loop: Header=BB469_788 Depth=1
	s_or_b64 exec, exec, s[14:15]
	s_waitcnt vmcnt(0)
	v_cmp_ne_u16_sdwa s[16:17], v4, v9 src0_sel:BYTE_0 src1_sel:DWORD
	s_and_saveexec_b64 s[14:15], s[16:17]
	s_cbranch_execz .LBB469_1154
; %bb.1149:                             ;   in Loop: Header=BB469_788 Depth=1
	v_cmp_ne_u16_sdwa s[18:19], v4, s5 src0_sel:BYTE_0 src1_sel:DWORD
	v_bfrev_b32_e32 v14, 1
	s_and_saveexec_b64 s[16:17], s[18:19]
	s_cbranch_execz .LBB469_1153
; %bb.1150:                             ;   in Loop: Header=BB469_788 Depth=1
	v_and_b32_e32 v6, 0x7f, v4
	v_cmp_ne_u32_e32 vcc, s21, v6
	v_mov_b32_e32 v14, 0x7f800001
	s_and_saveexec_b64 s[18:19], vcc
	s_cbranch_execz .LBB469_1152
; %bb.1151:                             ;   in Loop: Header=BB469_788 Depth=1
	v_and_b32_e32 v8, 7, v4
	v_ffbh_u32_e32 v16, v8
	v_min_u32_e32 v18, 32, v16
	v_subrev_u32_e32 v16, 28, v18
	v_lshlrev_b64 v[16:17], v16, v[4:5]
	v_lshrrev_b32_e32 v14, 3, v6
	v_sub_u32_e32 v17, 29, v18
	v_and_b32_e32 v16, 7, v16
	v_cmp_gt_u32_e32 vcc, 8, v6
	v_cndmask_b32_e32 v6, v14, v17, vcc
	v_cndmask_b32_e32 v8, v8, v16, vcc
	v_lshlrev_b32_e32 v14, 24, v4
	v_lshlrev_b32_e32 v8, 20, v8
	v_and_b32_e32 v14, 0x80000000, v14
	v_lshl_add_u32 v6, v6, 23, v10
	v_or3_b32 v14, v14, v6, v8
.LBB469_1152:                           ;   in Loop: Header=BB469_788 Depth=1
	s_or_b64 exec, exec, s[18:19]
.LBB469_1153:                           ;   in Loop: Header=BB469_788 Depth=1
	s_or_b64 exec, exec, s[16:17]
.LBB469_1154:                           ;   in Loop: Header=BB469_788 Depth=1
	s_or_b64 exec, exec, s[14:15]
	v_lshrrev_b16_e32 v6, 8, v4
	v_cmp_ne_u16_e32 vcc, 0, v6
	v_mov_b32_e32 v8, 0
	v_mov_b32_e32 v16, 0
	s_and_saveexec_b64 s[14:15], vcc
	s_cbranch_execz .LBB469_1160
; %bb.1155:                             ;   in Loop: Header=BB469_788 Depth=1
	v_cmp_ne_u16_e32 vcc, s5, v6
	v_bfrev_b32_e32 v16, 1
	s_and_saveexec_b64 s[16:17], vcc
	s_cbranch_execz .LBB469_1159
; %bb.1156:                             ;   in Loop: Header=BB469_788 Depth=1
	v_and_b32_e32 v17, 0x7f, v6
	v_cmp_ne_u32_e32 vcc, s21, v17
	v_mov_b32_e32 v16, 0x7f800001
	s_and_saveexec_b64 s[18:19], vcc
	s_cbranch_execz .LBB469_1158
; %bb.1157:                             ;   in Loop: Header=BB469_788 Depth=1
	v_and_b32_e32 v16, 7, v6
	v_ffbh_u32_e32 v18, v16
	v_min_u32_e32 v21, 32, v18
	v_subrev_u32_e32 v18, 28, v21
	v_lshlrev_b64 v[18:19], v18, v[6:7]
	v_lshrrev_b32_e32 v20, 3, v17
	v_sub_u32_e32 v6, 29, v21
	v_and_b32_e32 v18, 7, v18
	v_cmp_gt_u32_e32 vcc, 8, v17
	v_cndmask_b32_e32 v6, v20, v6, vcc
	v_cndmask_b32_e32 v16, v16, v18, vcc
	v_lshlrev_b32_e32 v17, 16, v4
	v_lshlrev_b32_e32 v16, 20, v16
	v_and_b32_e32 v17, 0x80000000, v17
	v_lshl_add_u32 v6, v6, 23, v10
	v_or3_b32 v16, v17, v6, v16
.LBB469_1158:                           ;   in Loop: Header=BB469_788 Depth=1
	s_or_b64 exec, exec, s[18:19]
.LBB469_1159:                           ;   in Loop: Header=BB469_788 Depth=1
	s_or_b64 exec, exec, s[16:17]
.LBB469_1160:                           ;   in Loop: Header=BB469_788 Depth=1
	s_or_b64 exec, exec, s[14:15]
	v_lshrrev_b32_e32 v6, 16, v4
	v_cmp_ne_u16_sdwa s[16:17], v6, v9 src0_sel:BYTE_0 src1_sel:DWORD
	s_and_saveexec_b64 s[14:15], s[16:17]
	s_cbranch_execz .LBB469_1166
; %bb.1161:                             ;   in Loop: Header=BB469_788 Depth=1
	v_cmp_ne_u16_sdwa s[18:19], v6, s5 src0_sel:BYTE_0 src1_sel:DWORD
	v_bfrev_b32_e32 v8, 1
	s_and_saveexec_b64 s[16:17], s[18:19]
	s_cbranch_execz .LBB469_1165
; %bb.1162:                             ;   in Loop: Header=BB469_788 Depth=1
	v_bfe_u32 v17, v4, 16, 7
	v_cmp_ne_u32_e32 vcc, s21, v17
	v_mov_b32_e32 v8, 0x7f800001
	s_and_saveexec_b64 s[18:19], vcc
	s_cbranch_execz .LBB469_1164
; %bb.1163:                             ;   in Loop: Header=BB469_788 Depth=1
	v_and_b32_e32 v8, 7, v6
	v_ffbh_u32_e32 v18, v8
	v_min_u32_e32 v21, 32, v18
	v_subrev_u32_e32 v18, 28, v21
	v_lshlrev_b64 v[18:19], v18, v[6:7]
	v_lshrrev_b32_e32 v20, 3, v17
	v_sub_u32_e32 v19, 29, v21
	v_and_b32_e32 v18, 7, v18
	v_cmp_gt_u32_e32 vcc, 8, v17
	v_cndmask_b32_e32 v17, v20, v19, vcc
	v_cndmask_b32_e32 v8, v8, v18, vcc
	v_lshlrev_b32_e32 v6, 24, v6
	v_lshlrev_b32_e32 v8, 20, v8
	v_and_b32_e32 v6, 0x80000000, v6
	v_lshl_add_u32 v17, v17, 23, v10
	v_or3_b32 v8, v6, v17, v8
.LBB469_1164:                           ;   in Loop: Header=BB469_788 Depth=1
	s_or_b64 exec, exec, s[18:19]
.LBB469_1165:                           ;   in Loop: Header=BB469_788 Depth=1
	s_or_b64 exec, exec, s[16:17]
.LBB469_1166:                           ;   in Loop: Header=BB469_788 Depth=1
	s_or_b64 exec, exec, s[14:15]
	v_cmp_lt_u32_e32 vcc, s22, v4
	v_mov_b32_e32 v17, 0
	s_and_saveexec_b64 s[14:15], vcc
	s_cbranch_execz .LBB469_787
; %bb.1167:                             ;   in Loop: Header=BB469_788 Depth=1
	v_lshrrev_b32_e32 v6, 24, v4
	v_cmp_ne_u32_e32 vcc, s5, v6
	v_bfrev_b32_e32 v17, 1
	s_and_saveexec_b64 s[16:17], vcc
	s_cbranch_execz .LBB469_786
; %bb.1168:                             ;   in Loop: Header=BB469_788 Depth=1
	v_bfe_u32 v4, v4, 24, 7
	v_cmp_ne_u32_e32 vcc, s21, v4
	v_mov_b32_e32 v17, 0x7f800001
	s_and_saveexec_b64 s[18:19], vcc
	s_cbranch_execz .LBB469_785
; %bb.1169:                             ;   in Loop: Header=BB469_788 Depth=1
	v_and_b32_e32 v17, 7, v6
	v_ffbh_u32_e32 v18, v17
	v_min_u32_e32 v21, 32, v18
	v_subrev_u32_e32 v18, 28, v21
	v_lshlrev_b64 v[18:19], v18, v[6:7]
	v_lshrrev_b32_e32 v20, 3, v4
	v_sub_u32_e32 v19, 29, v21
	v_and_b32_e32 v18, 7, v18
	v_cmp_gt_u32_e32 vcc, 8, v4
	v_cndmask_b32_e32 v4, v20, v19, vcc
	v_cndmask_b32_e32 v17, v17, v18, vcc
	v_lshlrev_b32_e32 v6, 24, v6
	v_lshlrev_b32_e32 v17, 20, v17
	v_and_b32_e32 v6, 0x80000000, v6
	v_lshl_add_u32 v4, v4, 23, v10
	v_or3_b32 v17, v6, v4, v17
	s_branch .LBB469_785
.LBB469_1170:
	s_mov_b64 s[12:13], 0
                                        ; implicit-def: $sgpr38_sgpr39
	s_branch .LBB469_2
.LBB469_1171:
	s_or_b64 exec, exec, s[6:7]
	v_cmp_gt_u32_e32 vcc, 64, v0
	s_waitcnt lgkmcnt(0)
	s_barrier
	s_and_saveexec_b64 s[6:7], vcc
	s_cbranch_execz .LBB469_1173
; %bb.1172:
	v_mul_u32_u24_e32 v6, 40, v1
	ds_read2_b64 v[2:5], v6 offset1:1
	ds_read2_b64 v[6:9], v6 offset0:2 offset1:3
	s_mov_b32 s5, 0
	s_lshl_b32 s4, s4, 7
	s_lshl_b64 s[6:7], s[4:5], 1
	s_waitcnt lgkmcnt(1)
	v_pk_add_f16 v2, v2, 0
	v_pk_add_f16 v2, v2, v4
	;; [unrolled: 1-line block ×3, first 2 shown]
	s_waitcnt lgkmcnt(0)
	v_pk_add_f16 v2, v2, v6
	v_pk_add_f16 v3, v3, v5
	;; [unrolled: 1-line block ×3, first 2 shown]
	v_mov_b32_e32 v2, 0xa00
	v_pk_add_f16 v6, v3, v7
	v_mad_u32_u24 v2, v1, 40, v2
	ds_read2_b64 v[2:5], v2 offset1:1
	v_pk_add_f16 v11, v6, v9
	v_mov_b32_e32 v6, 0xa10
	v_mad_u32_u24 v1, v1, 40, v6
	ds_read2_b64 v[6:9], v1 offset1:1
	s_add_u32 s6, s30, s6
	s_addc_u32 s7, s31, s7
	s_lshl_b32 s4, s28, 7
	s_lshl_b64 s[4:5], s[4:5], 1
	s_waitcnt lgkmcnt(1)
	v_pk_add_f16 v1, v2, 0
	v_pk_add_f16 v2, v3, 0
	s_add_u32 s4, s6, s4
	v_pk_add_f16 v2, v2, v5
	s_addc_u32 s5, s7, s5
	s_lshl_b32 s6, s48, 7
	s_waitcnt lgkmcnt(0)
	v_pk_add_f16 v2, v2, v7
	s_mul_i32 s7, s6, s33
	v_pk_add_f16 v1, v1, v4
	v_pk_add_f16 v13, v2, v9
	v_or_b32_e32 v2, s7, v0
	v_mov_b32_e32 v3, 0
	v_pk_add_f16 v1, v1, v6
	v_lshlrev_b64 v[4:5], 1, v[2:3]
	s_add_i32 s7, s7, s6
	v_pk_add_f16 v12, v1, v8
	v_mov_b32_e32 v1, s5
	v_add_co_u32_e32 v4, vcc, s4, v4
	v_or_b32_e32 v2, s7, v0
	v_addc_co_u32_e32 v5, vcc, v1, v5, vcc
	v_lshlrev_b64 v[6:7], 1, v[2:3]
	s_add_i32 s7, s7, s6
	v_add_co_u32_e32 v6, vcc, s4, v6
	v_or_b32_e32 v2, s7, v0
	v_addc_co_u32_e32 v7, vcc, v1, v7, vcc
	v_lshlrev_b64 v[8:9], 1, v[2:3]
	s_add_i32 s7, s7, s6
	v_add_co_u32_e32 v8, vcc, s4, v8
	v_or_b32_e32 v2, s7, v0
	v_addc_co_u32_e32 v9, vcc, v1, v9, vcc
	v_lshlrev_b64 v[0:1], 1, v[2:3]
	v_mov_b32_e32 v2, s5
	v_add_co_u32_e32 v0, vcc, s4, v0
	v_addc_co_u32_e32 v1, vcc, v2, v1, vcc
	global_store_short v[4:5], v10, off
	global_store_short_d16_hi v[6:7], v10, off
	global_store_short v[8:9], v11, off
	global_store_short_d16_hi v[0:1], v11, off
	global_store_short v[4:5], v12, off offset:128
	global_store_short_d16_hi v[6:7], v12, off offset:128
	global_store_short v[8:9], v13, off offset:128
	global_store_short_d16_hi v[0:1], v13, off offset:128
.LBB469_1173:
	s_endpgm
	.section	.rodata,"a",@progbits
	.p2align	6, 0x0
	.amdhsa_kernel _Z38paged_attention_ll4mi_QKV_mfma4_kernelIDF16_hLN4vllm18Fp8KVCacheDataTypeE1EDF16_Li16ELi128ELi256ELb1ELi4EEvPKT_PKT0_S7_ifPKiS9_S9_iPKfiiiPfSC_PS2_PT2_iSB_SB_
		.amdhsa_group_segment_fixed_size 5280
		.amdhsa_private_segment_fixed_size 144
		.amdhsa_kernarg_size 400
		.amdhsa_user_sgpr_count 8
		.amdhsa_user_sgpr_private_segment_buffer 1
		.amdhsa_user_sgpr_dispatch_ptr 0
		.amdhsa_user_sgpr_queue_ptr 0
		.amdhsa_user_sgpr_kernarg_segment_ptr 1
		.amdhsa_user_sgpr_dispatch_id 0
		.amdhsa_user_sgpr_flat_scratch_init 1
		.amdhsa_user_sgpr_kernarg_preload_length 0
		.amdhsa_user_sgpr_kernarg_preload_offset 0
		.amdhsa_user_sgpr_private_segment_size 0
		.amdhsa_uses_dynamic_stack 0
		.amdhsa_system_sgpr_private_segment_wavefront_offset 1
		.amdhsa_system_sgpr_workgroup_id_x 1
		.amdhsa_system_sgpr_workgroup_id_y 1
		.amdhsa_system_sgpr_workgroup_id_z 1
		.amdhsa_system_sgpr_workgroup_info 0
		.amdhsa_system_vgpr_workitem_id 0
		.amdhsa_next_free_vgpr 76
		.amdhsa_next_free_sgpr 49
		.amdhsa_accum_offset 72
		.amdhsa_reserve_vcc 1
		.amdhsa_reserve_flat_scratch 0
		.amdhsa_float_round_mode_32 0
		.amdhsa_float_round_mode_16_64 0
		.amdhsa_float_denorm_mode_32 3
		.amdhsa_float_denorm_mode_16_64 3
		.amdhsa_dx10_clamp 1
		.amdhsa_ieee_mode 1
		.amdhsa_fp16_overflow 0
		.amdhsa_tg_split 0
		.amdhsa_exception_fp_ieee_invalid_op 0
		.amdhsa_exception_fp_denorm_src 0
		.amdhsa_exception_fp_ieee_div_zero 0
		.amdhsa_exception_fp_ieee_overflow 0
		.amdhsa_exception_fp_ieee_underflow 0
		.amdhsa_exception_fp_ieee_inexact 0
		.amdhsa_exception_int_div_zero 0
	.end_amdhsa_kernel
	.section	.text._Z38paged_attention_ll4mi_QKV_mfma4_kernelIDF16_hLN4vllm18Fp8KVCacheDataTypeE1EDF16_Li16ELi128ELi256ELb1ELi4EEvPKT_PKT0_S7_ifPKiS9_S9_iPKfiiiPfSC_PS2_PT2_iSB_SB_,"axG",@progbits,_Z38paged_attention_ll4mi_QKV_mfma4_kernelIDF16_hLN4vllm18Fp8KVCacheDataTypeE1EDF16_Li16ELi128ELi256ELb1ELi4EEvPKT_PKT0_S7_ifPKiS9_S9_iPKfiiiPfSC_PS2_PT2_iSB_SB_,comdat
.Lfunc_end469:
	.size	_Z38paged_attention_ll4mi_QKV_mfma4_kernelIDF16_hLN4vllm18Fp8KVCacheDataTypeE1EDF16_Li16ELi128ELi256ELb1ELi4EEvPKT_PKT0_S7_ifPKiS9_S9_iPKfiiiPfSC_PS2_PT2_iSB_SB_, .Lfunc_end469-_Z38paged_attention_ll4mi_QKV_mfma4_kernelIDF16_hLN4vllm18Fp8KVCacheDataTypeE1EDF16_Li16ELi128ELi256ELb1ELi4EEvPKT_PKT0_S7_ifPKiS9_S9_iPKfiiiPfSC_PS2_PT2_iSB_SB_
                                        ; -- End function
	.section	.AMDGPU.csdata,"",@progbits
; Kernel info:
; codeLenInByte = 37944
; NumSgprs: 53
; NumVgprs: 72
; NumAgprs: 4
; TotalNumVgprs: 76
; ScratchSize: 144
; MemoryBound: 0
; FloatMode: 240
; IeeeMode: 1
; LDSByteSize: 5280 bytes/workgroup (compile time only)
; SGPRBlocks: 6
; VGPRBlocks: 9
; NumSGPRsForWavesPerEU: 53
; NumVGPRsForWavesPerEU: 76
; AccumOffset: 72
; Occupancy: 6
; WaveLimiterHint : 1
; COMPUTE_PGM_RSRC2:SCRATCH_EN: 1
; COMPUTE_PGM_RSRC2:USER_SGPR: 8
; COMPUTE_PGM_RSRC2:TRAP_HANDLER: 0
; COMPUTE_PGM_RSRC2:TGID_X_EN: 1
; COMPUTE_PGM_RSRC2:TGID_Y_EN: 1
; COMPUTE_PGM_RSRC2:TGID_Z_EN: 1
; COMPUTE_PGM_RSRC2:TIDIG_COMP_CNT: 0
; COMPUTE_PGM_RSRC3_GFX90A:ACCUM_OFFSET: 17
; COMPUTE_PGM_RSRC3_GFX90A:TG_SPLIT: 0
	.section	.text._Z39paged_attention_ll4mi_QKV_mfma16_kernelIDF16_hLN4vllm18Fp8KVCacheDataTypeE1EDF16_Li16ELi128ELi256ELb1ELi5EL8MFMAType1EEvPKT_PKT0_S8_ifPKiSA_SA_iPKfiiiPfSD_PS3_PT2_iSC_SC_,"axG",@progbits,_Z39paged_attention_ll4mi_QKV_mfma16_kernelIDF16_hLN4vllm18Fp8KVCacheDataTypeE1EDF16_Li16ELi128ELi256ELb1ELi5EL8MFMAType1EEvPKT_PKT0_S8_ifPKiSA_SA_iPKfiiiPfSD_PS3_PT2_iSC_SC_,comdat
	.protected	_Z39paged_attention_ll4mi_QKV_mfma16_kernelIDF16_hLN4vllm18Fp8KVCacheDataTypeE1EDF16_Li16ELi128ELi256ELb1ELi5EL8MFMAType1EEvPKT_PKT0_S8_ifPKiSA_SA_iPKfiiiPfSD_PS3_PT2_iSC_SC_ ; -- Begin function _Z39paged_attention_ll4mi_QKV_mfma16_kernelIDF16_hLN4vllm18Fp8KVCacheDataTypeE1EDF16_Li16ELi128ELi256ELb1ELi5EL8MFMAType1EEvPKT_PKT0_S8_ifPKiSA_SA_iPKfiiiPfSD_PS3_PT2_iSC_SC_
	.globl	_Z39paged_attention_ll4mi_QKV_mfma16_kernelIDF16_hLN4vllm18Fp8KVCacheDataTypeE1EDF16_Li16ELi128ELi256ELb1ELi5EL8MFMAType1EEvPKT_PKT0_S8_ifPKiSA_SA_iPKfiiiPfSD_PS3_PT2_iSC_SC_
	.p2align	8
	.type	_Z39paged_attention_ll4mi_QKV_mfma16_kernelIDF16_hLN4vllm18Fp8KVCacheDataTypeE1EDF16_Li16ELi128ELi256ELb1ELi5EL8MFMAType1EEvPKT_PKT0_S8_ifPKiSA_SA_iPKfiiiPfSD_PS3_PT2_iSC_SC_,@function
_Z39paged_attention_ll4mi_QKV_mfma16_kernelIDF16_hLN4vllm18Fp8KVCacheDataTypeE1EDF16_Li16ELi128ELi256ELb1ELi5EL8MFMAType1EEvPKT_PKT0_S8_ifPKiSA_SA_iPKfiiiPfSD_PS3_PT2_iSC_SC_: ; @_Z39paged_attention_ll4mi_QKV_mfma16_kernelIDF16_hLN4vllm18Fp8KVCacheDataTypeE1EDF16_Li16ELi128ELi256ELb1ELi5EL8MFMAType1EEvPKT_PKT0_S8_ifPKiSA_SA_iPKfiiiPfSD_PS3_PT2_iSC_SC_
; %bb.0:
	s_load_dwordx2 s[12:13], s[4:5], 0x30
	s_add_u32 flat_scratch_lo, s6, s11
	s_addc_u32 flat_scratch_hi, s7, 0
	s_add_u32 s0, s0, s11
	s_addc_u32 s1, s1, 0
	s_waitcnt lgkmcnt(0)
	s_cmp_lg_u64 s[12:13], 0
	s_cselect_b64 s[14:15], -1, 0
	s_mov_b32 s6, s9
	s_mov_b64 s[16:17], 0
	s_and_b64 vcc, exec, s[14:15]
	s_mov_b32 s32, 0
	s_cbranch_vccz .LBB470_11
; %bb.1:
	s_add_i32 s18, s8, 1
	s_mov_b32 s19, 0
	s_lshl_b64 s[20:21], s[18:19], 2
	s_add_u32 s20, s12, s20
	s_mov_b32 s9, s19
	s_addc_u32 s21, s13, s21
	s_lshl_b64 s[18:19], s[8:9], 2
	s_add_u32 s18, s12, s18
	s_addc_u32 s19, s13, s19
	s_load_dword s7, s[20:21], 0x0
	s_load_dword s11, s[18:19], 0x0
	s_waitcnt lgkmcnt(0)
	s_sub_i32 s7, s7, s11
	s_cmp_eq_u32 s7, 1
	s_cselect_b64 s[18:19], -1, 0
	s_andn2_b64 vcc, exec, s[16:17]
	s_cbranch_vccnz .LBB470_3
.LBB470_2:
	s_mov_b32 s9, 0
	s_mov_b64 s[18:19], -1
.LBB470_3:
	s_andn2_b64 vcc, exec, s[18:19]
	s_cbranch_vccnz .LBB470_10
; %bb.4:
	s_load_dwordx2 s[18:19], s[4:5], 0x28
	s_lshl_b64 s[16:17], s[8:9], 2
	s_waitcnt lgkmcnt(0)
	s_add_u32 s18, s18, s16
	s_addc_u32 s19, s19, s17
	s_load_dword s7, s[18:19], 0x0
	s_lshl_b32 s6, s6, 8
	s_waitcnt lgkmcnt(0)
	s_cmp_ge_i32 s6, s7
	s_cbranch_scc1 .LBB470_10
; %bb.5:
	s_andn2_b64 vcc, exec, s[14:15]
	s_cbranch_vccnz .LBB470_7
; %bb.6:
	s_add_u32 s6, s12, s16
	s_addc_u32 s7, s13, s17
	s_load_dword s8, s[6:7], 0x0
.LBB470_7:
	s_movk_i32 s6, 0x50
	v_cmp_gt_u32_e32 vcc, s6, v0
	s_and_saveexec_b64 s[6:7], vcc
	s_cbranch_execz .LBB470_9
; %bb.8:
	s_load_dword s11, s[4:5], 0x48
	s_load_dwordx2 s[12:13], s[4:5], 0x0
	v_lshrrev_b32_e32 v1, 4, v0
	s_mul_i32 s10, s10, 5
	v_add_lshl_u32 v2, v1, s10, 7
	s_waitcnt lgkmcnt(0)
	s_ashr_i32 s9, s11, 31
	s_mul_hi_u32 s14, s8, s11
	s_mul_i32 s9, s8, s9
	s_add_i32 s9, s14, s9
	s_mul_i32 s8, s8, s11
	s_lshl_b64 s[8:9], s[8:9], 1
	s_add_u32 s8, s12, s8
	v_ashrrev_i32_e32 v3, 31, v2
	s_addc_u32 s9, s13, s9
	v_lshlrev_b64 v[2:3], 1, v[2:3]
	v_and_b32_e32 v4, 15, v0
	v_mov_b32_e32 v5, s9
	v_add_co_u32_e32 v2, vcc, s8, v2
	v_addc_co_u32_e32 v3, vcc, v5, v3, vcc
	v_lshlrev_b32_e32 v4, 4, v4
	v_add_co_u32_e32 v2, vcc, v2, v4
	v_addc_co_u32_e32 v3, vcc, 0, v3, vcc
	global_load_dwordx4 v[2:5], v[2:3], off
	v_lshlrev_b32_e32 v6, 4, v0
	v_lshlrev_b32_e32 v0, 8, v0
	v_and_b32_e32 v6, 16, v6
	v_lshlrev_b32_e32 v1, 5, v1
	v_and_b32_e32 v0, 0xe00, v0
	v_or3_b32 v0, v0, v1, v6
	s_waitcnt vmcnt(0)
	ds_write_b128 v0, v[2:5]
.LBB470_9:
	s_or_b64 exec, exec, s[6:7]
	s_waitcnt lgkmcnt(0)
	s_add_u32 s8, s4, 0x90
	s_addc_u32 s9, s5, 0
	s_getpc_b64 s[4:5]
	s_add_u32 s4, s4, __PRETTY_FUNCTION__._Z39paged_attention_ll4mi_QKV_mfma16_kernelIDF16_hLN4vllm18Fp8KVCacheDataTypeE1EDF16_Li16ELi128ELi256ELb1ELi5EL8MFMAType1EEvPKT_PKT0_S8_ifPKiSA_SA_iPKfiiiPfSD_PS3_PT2_iSC_SC_@rel32@lo+4
	s_addc_u32 s5, s5, __PRETTY_FUNCTION__._Z39paged_attention_ll4mi_QKV_mfma16_kernelIDF16_hLN4vllm18Fp8KVCacheDataTypeE1EDF16_Li16ELi128ELi256ELb1ELi5EL8MFMAType1EEvPKT_PKT0_S8_ifPKiSA_SA_iPKfiiiPfSD_PS3_PT2_iSC_SC_@rel32@hi+12
	v_mov_b32_e32 v0, 0x288
	v_mov_b32_e32 v1, s4
	;; [unrolled: 1-line block ×3, first 2 shown]
	s_barrier
	s_getpc_b64 s[6:7]
	s_add_u32 s6, s6, __assert_fail@rel32@lo+4
	s_addc_u32 s7, s7, __assert_fail@rel32@hi+12
	s_swappc_b64 s[30:31], s[6:7]
	; divergent unreachable
.LBB470_10:
	s_endpgm
.LBB470_11:
	s_mov_b64 s[18:19], 0
	s_branch .LBB470_2
	.section	.rodata,"a",@progbits
	.p2align	6, 0x0
	.amdhsa_kernel _Z39paged_attention_ll4mi_QKV_mfma16_kernelIDF16_hLN4vllm18Fp8KVCacheDataTypeE1EDF16_Li16ELi128ELi256ELb1ELi5EL8MFMAType1EEvPKT_PKT0_S8_ifPKiSA_SA_iPKfiiiPfSD_PS3_PT2_iSC_SC_
		.amdhsa_group_segment_fixed_size 8192
		.amdhsa_private_segment_fixed_size 64
		.amdhsa_kernarg_size 400
		.amdhsa_user_sgpr_count 8
		.amdhsa_user_sgpr_private_segment_buffer 1
		.amdhsa_user_sgpr_dispatch_ptr 0
		.amdhsa_user_sgpr_queue_ptr 0
		.amdhsa_user_sgpr_kernarg_segment_ptr 1
		.amdhsa_user_sgpr_dispatch_id 0
		.amdhsa_user_sgpr_flat_scratch_init 1
		.amdhsa_user_sgpr_kernarg_preload_length 0
		.amdhsa_user_sgpr_kernarg_preload_offset 0
		.amdhsa_user_sgpr_private_segment_size 0
		.amdhsa_uses_dynamic_stack 0
		.amdhsa_system_sgpr_private_segment_wavefront_offset 1
		.amdhsa_system_sgpr_workgroup_id_x 1
		.amdhsa_system_sgpr_workgroup_id_y 1
		.amdhsa_system_sgpr_workgroup_id_z 1
		.amdhsa_system_sgpr_workgroup_info 0
		.amdhsa_system_vgpr_workitem_id 0
		.amdhsa_next_free_vgpr 45
		.amdhsa_next_free_sgpr 34
		.amdhsa_accum_offset 44
		.amdhsa_reserve_vcc 1
		.amdhsa_reserve_flat_scratch 1
		.amdhsa_float_round_mode_32 0
		.amdhsa_float_round_mode_16_64 0
		.amdhsa_float_denorm_mode_32 3
		.amdhsa_float_denorm_mode_16_64 3
		.amdhsa_dx10_clamp 1
		.amdhsa_ieee_mode 1
		.amdhsa_fp16_overflow 0
		.amdhsa_tg_split 0
		.amdhsa_exception_fp_ieee_invalid_op 0
		.amdhsa_exception_fp_denorm_src 0
		.amdhsa_exception_fp_ieee_div_zero 0
		.amdhsa_exception_fp_ieee_overflow 0
		.amdhsa_exception_fp_ieee_underflow 0
		.amdhsa_exception_fp_ieee_inexact 0
		.amdhsa_exception_int_div_zero 0
	.end_amdhsa_kernel
	.section	.text._Z39paged_attention_ll4mi_QKV_mfma16_kernelIDF16_hLN4vllm18Fp8KVCacheDataTypeE1EDF16_Li16ELi128ELi256ELb1ELi5EL8MFMAType1EEvPKT_PKT0_S8_ifPKiSA_SA_iPKfiiiPfSD_PS3_PT2_iSC_SC_,"axG",@progbits,_Z39paged_attention_ll4mi_QKV_mfma16_kernelIDF16_hLN4vllm18Fp8KVCacheDataTypeE1EDF16_Li16ELi128ELi256ELb1ELi5EL8MFMAType1EEvPKT_PKT0_S8_ifPKiSA_SA_iPKfiiiPfSD_PS3_PT2_iSC_SC_,comdat
.Lfunc_end470:
	.size	_Z39paged_attention_ll4mi_QKV_mfma16_kernelIDF16_hLN4vllm18Fp8KVCacheDataTypeE1EDF16_Li16ELi128ELi256ELb1ELi5EL8MFMAType1EEvPKT_PKT0_S8_ifPKiSA_SA_iPKfiiiPfSD_PS3_PT2_iSC_SC_, .Lfunc_end470-_Z39paged_attention_ll4mi_QKV_mfma16_kernelIDF16_hLN4vllm18Fp8KVCacheDataTypeE1EDF16_Li16ELi128ELi256ELb1ELi5EL8MFMAType1EEvPKT_PKT0_S8_ifPKiSA_SA_iPKfiiiPfSD_PS3_PT2_iSC_SC_
                                        ; -- End function
	.section	.AMDGPU.csdata,"",@progbits
; Kernel info:
; codeLenInByte = 492
; NumSgprs: 40
; NumVgprs: 42
; NumAgprs: 1
; TotalNumVgprs: 45
; ScratchSize: 64
; MemoryBound: 0
; FloatMode: 240
; IeeeMode: 1
; LDSByteSize: 8192 bytes/workgroup (compile time only)
; SGPRBlocks: 4
; VGPRBlocks: 5
; NumSGPRsForWavesPerEU: 40
; NumVGPRsForWavesPerEU: 45
; AccumOffset: 44
; Occupancy: 8
; WaveLimiterHint : 1
; COMPUTE_PGM_RSRC2:SCRATCH_EN: 1
; COMPUTE_PGM_RSRC2:USER_SGPR: 8
; COMPUTE_PGM_RSRC2:TRAP_HANDLER: 0
; COMPUTE_PGM_RSRC2:TGID_X_EN: 1
; COMPUTE_PGM_RSRC2:TGID_Y_EN: 1
; COMPUTE_PGM_RSRC2:TGID_Z_EN: 1
; COMPUTE_PGM_RSRC2:TIDIG_COMP_CNT: 0
; COMPUTE_PGM_RSRC3_GFX90A:ACCUM_OFFSET: 10
; COMPUTE_PGM_RSRC3_GFX90A:TG_SPLIT: 0
	.section	.text._Z39paged_attention_ll4mi_QKV_mfma16_kernelIDF16_hLN4vllm18Fp8KVCacheDataTypeE1EDF16_Li16ELi128ELi256ELb1ELi6EL8MFMAType1EEvPKT_PKT0_S8_ifPKiSA_SA_iPKfiiiPfSD_PS3_PT2_iSC_SC_,"axG",@progbits,_Z39paged_attention_ll4mi_QKV_mfma16_kernelIDF16_hLN4vllm18Fp8KVCacheDataTypeE1EDF16_Li16ELi128ELi256ELb1ELi6EL8MFMAType1EEvPKT_PKT0_S8_ifPKiSA_SA_iPKfiiiPfSD_PS3_PT2_iSC_SC_,comdat
	.protected	_Z39paged_attention_ll4mi_QKV_mfma16_kernelIDF16_hLN4vllm18Fp8KVCacheDataTypeE1EDF16_Li16ELi128ELi256ELb1ELi6EL8MFMAType1EEvPKT_PKT0_S8_ifPKiSA_SA_iPKfiiiPfSD_PS3_PT2_iSC_SC_ ; -- Begin function _Z39paged_attention_ll4mi_QKV_mfma16_kernelIDF16_hLN4vllm18Fp8KVCacheDataTypeE1EDF16_Li16ELi128ELi256ELb1ELi6EL8MFMAType1EEvPKT_PKT0_S8_ifPKiSA_SA_iPKfiiiPfSD_PS3_PT2_iSC_SC_
	.globl	_Z39paged_attention_ll4mi_QKV_mfma16_kernelIDF16_hLN4vllm18Fp8KVCacheDataTypeE1EDF16_Li16ELi128ELi256ELb1ELi6EL8MFMAType1EEvPKT_PKT0_S8_ifPKiSA_SA_iPKfiiiPfSD_PS3_PT2_iSC_SC_
	.p2align	8
	.type	_Z39paged_attention_ll4mi_QKV_mfma16_kernelIDF16_hLN4vllm18Fp8KVCacheDataTypeE1EDF16_Li16ELi128ELi256ELb1ELi6EL8MFMAType1EEvPKT_PKT0_S8_ifPKiSA_SA_iPKfiiiPfSD_PS3_PT2_iSC_SC_,@function
_Z39paged_attention_ll4mi_QKV_mfma16_kernelIDF16_hLN4vllm18Fp8KVCacheDataTypeE1EDF16_Li16ELi128ELi256ELb1ELi6EL8MFMAType1EEvPKT_PKT0_S8_ifPKiSA_SA_iPKfiiiPfSD_PS3_PT2_iSC_SC_: ; @_Z39paged_attention_ll4mi_QKV_mfma16_kernelIDF16_hLN4vllm18Fp8KVCacheDataTypeE1EDF16_Li16ELi128ELi256ELb1ELi6EL8MFMAType1EEvPKT_PKT0_S8_ifPKiSA_SA_iPKfiiiPfSD_PS3_PT2_iSC_SC_
; %bb.0:
	s_load_dwordx2 s[12:13], s[4:5], 0x30
	s_add_u32 flat_scratch_lo, s6, s11
	s_addc_u32 flat_scratch_hi, s7, 0
	s_add_u32 s0, s0, s11
	s_addc_u32 s1, s1, 0
	s_waitcnt lgkmcnt(0)
	s_cmp_lg_u64 s[12:13], 0
	s_cselect_b64 s[14:15], -1, 0
	s_mov_b32 s6, s9
	s_mov_b64 s[16:17], 0
	s_and_b64 vcc, exec, s[14:15]
	s_mov_b32 s32, 0
	s_cbranch_vccz .LBB471_11
; %bb.1:
	s_add_i32 s18, s8, 1
	s_mov_b32 s19, 0
	s_lshl_b64 s[20:21], s[18:19], 2
	s_add_u32 s20, s12, s20
	s_mov_b32 s9, s19
	s_addc_u32 s21, s13, s21
	s_lshl_b64 s[18:19], s[8:9], 2
	s_add_u32 s18, s12, s18
	s_addc_u32 s19, s13, s19
	s_load_dword s7, s[20:21], 0x0
	s_load_dword s11, s[18:19], 0x0
	s_waitcnt lgkmcnt(0)
	s_sub_i32 s7, s7, s11
	s_cmp_eq_u32 s7, 1
	s_cselect_b64 s[18:19], -1, 0
	s_andn2_b64 vcc, exec, s[16:17]
	s_cbranch_vccnz .LBB471_3
.LBB471_2:
	s_mov_b32 s9, 0
	s_mov_b64 s[18:19], -1
.LBB471_3:
	s_andn2_b64 vcc, exec, s[18:19]
	s_cbranch_vccnz .LBB471_10
; %bb.4:
	s_load_dwordx2 s[18:19], s[4:5], 0x28
	s_lshl_b64 s[16:17], s[8:9], 2
	s_waitcnt lgkmcnt(0)
	s_add_u32 s18, s18, s16
	s_addc_u32 s19, s19, s17
	s_load_dword s7, s[18:19], 0x0
	s_lshl_b32 s6, s6, 8
	s_waitcnt lgkmcnt(0)
	s_cmp_ge_i32 s6, s7
	s_cbranch_scc1 .LBB471_10
; %bb.5:
	s_andn2_b64 vcc, exec, s[14:15]
	s_cbranch_vccnz .LBB471_7
; %bb.6:
	s_add_u32 s6, s12, s16
	s_addc_u32 s7, s13, s17
	s_load_dword s8, s[6:7], 0x0
.LBB471_7:
	s_movk_i32 s6, 0x60
	v_cmp_gt_u32_e32 vcc, s6, v0
	s_and_saveexec_b64 s[6:7], vcc
	s_cbranch_execz .LBB471_9
; %bb.8:
	s_load_dword s11, s[4:5], 0x48
	s_load_dwordx2 s[12:13], s[4:5], 0x0
	v_lshrrev_b32_e32 v1, 4, v0
	s_mul_i32 s10, s10, 6
	v_add_lshl_u32 v2, v1, s10, 7
	s_waitcnt lgkmcnt(0)
	s_ashr_i32 s9, s11, 31
	s_mul_hi_u32 s14, s8, s11
	s_mul_i32 s9, s8, s9
	s_add_i32 s9, s14, s9
	s_mul_i32 s8, s8, s11
	s_lshl_b64 s[8:9], s[8:9], 1
	s_add_u32 s8, s12, s8
	v_ashrrev_i32_e32 v3, 31, v2
	s_addc_u32 s9, s13, s9
	v_lshlrev_b64 v[2:3], 1, v[2:3]
	v_and_b32_e32 v4, 15, v0
	v_mov_b32_e32 v5, s9
	v_add_co_u32_e32 v2, vcc, s8, v2
	v_addc_co_u32_e32 v3, vcc, v5, v3, vcc
	v_lshlrev_b32_e32 v4, 4, v4
	v_add_co_u32_e32 v2, vcc, v2, v4
	v_addc_co_u32_e32 v3, vcc, 0, v3, vcc
	global_load_dwordx4 v[2:5], v[2:3], off
	v_lshlrev_b32_e32 v6, 4, v0
	v_lshlrev_b32_e32 v0, 8, v0
	v_and_b32_e32 v6, 16, v6
	v_lshlrev_b32_e32 v1, 5, v1
	v_and_b32_e32 v0, 0xe00, v0
	v_or3_b32 v0, v0, v1, v6
	s_waitcnt vmcnt(0)
	ds_write_b128 v0, v[2:5]
.LBB471_9:
	s_or_b64 exec, exec, s[6:7]
	s_waitcnt lgkmcnt(0)
	s_add_u32 s8, s4, 0x90
	s_addc_u32 s9, s5, 0
	s_getpc_b64 s[4:5]
	s_add_u32 s4, s4, __PRETTY_FUNCTION__._Z39paged_attention_ll4mi_QKV_mfma16_kernelIDF16_hLN4vllm18Fp8KVCacheDataTypeE1EDF16_Li16ELi128ELi256ELb1ELi6EL8MFMAType1EEvPKT_PKT0_S8_ifPKiSA_SA_iPKfiiiPfSD_PS3_PT2_iSC_SC_@rel32@lo+4
	s_addc_u32 s5, s5, __PRETTY_FUNCTION__._Z39paged_attention_ll4mi_QKV_mfma16_kernelIDF16_hLN4vllm18Fp8KVCacheDataTypeE1EDF16_Li16ELi128ELi256ELb1ELi6EL8MFMAType1EEvPKT_PKT0_S8_ifPKiSA_SA_iPKfiiiPfSD_PS3_PT2_iSC_SC_@rel32@hi+12
	v_mov_b32_e32 v0, 0x288
	v_mov_b32_e32 v1, s4
	;; [unrolled: 1-line block ×3, first 2 shown]
	s_barrier
	s_getpc_b64 s[6:7]
	s_add_u32 s6, s6, __assert_fail@rel32@lo+4
	s_addc_u32 s7, s7, __assert_fail@rel32@hi+12
	s_swappc_b64 s[30:31], s[6:7]
	; divergent unreachable
.LBB471_10:
	s_endpgm
.LBB471_11:
	s_mov_b64 s[18:19], 0
	s_branch .LBB471_2
	.section	.rodata,"a",@progbits
	.p2align	6, 0x0
	.amdhsa_kernel _Z39paged_attention_ll4mi_QKV_mfma16_kernelIDF16_hLN4vllm18Fp8KVCacheDataTypeE1EDF16_Li16ELi128ELi256ELb1ELi6EL8MFMAType1EEvPKT_PKT0_S8_ifPKiSA_SA_iPKfiiiPfSD_PS3_PT2_iSC_SC_
		.amdhsa_group_segment_fixed_size 8192
		.amdhsa_private_segment_fixed_size 64
		.amdhsa_kernarg_size 400
		.amdhsa_user_sgpr_count 8
		.amdhsa_user_sgpr_private_segment_buffer 1
		.amdhsa_user_sgpr_dispatch_ptr 0
		.amdhsa_user_sgpr_queue_ptr 0
		.amdhsa_user_sgpr_kernarg_segment_ptr 1
		.amdhsa_user_sgpr_dispatch_id 0
		.amdhsa_user_sgpr_flat_scratch_init 1
		.amdhsa_user_sgpr_kernarg_preload_length 0
		.amdhsa_user_sgpr_kernarg_preload_offset 0
		.amdhsa_user_sgpr_private_segment_size 0
		.amdhsa_uses_dynamic_stack 0
		.amdhsa_system_sgpr_private_segment_wavefront_offset 1
		.amdhsa_system_sgpr_workgroup_id_x 1
		.amdhsa_system_sgpr_workgroup_id_y 1
		.amdhsa_system_sgpr_workgroup_id_z 1
		.amdhsa_system_sgpr_workgroup_info 0
		.amdhsa_system_vgpr_workitem_id 0
		.amdhsa_next_free_vgpr 45
		.amdhsa_next_free_sgpr 34
		.amdhsa_accum_offset 44
		.amdhsa_reserve_vcc 1
		.amdhsa_reserve_flat_scratch 1
		.amdhsa_float_round_mode_32 0
		.amdhsa_float_round_mode_16_64 0
		.amdhsa_float_denorm_mode_32 3
		.amdhsa_float_denorm_mode_16_64 3
		.amdhsa_dx10_clamp 1
		.amdhsa_ieee_mode 1
		.amdhsa_fp16_overflow 0
		.amdhsa_tg_split 0
		.amdhsa_exception_fp_ieee_invalid_op 0
		.amdhsa_exception_fp_denorm_src 0
		.amdhsa_exception_fp_ieee_div_zero 0
		.amdhsa_exception_fp_ieee_overflow 0
		.amdhsa_exception_fp_ieee_underflow 0
		.amdhsa_exception_fp_ieee_inexact 0
		.amdhsa_exception_int_div_zero 0
	.end_amdhsa_kernel
	.section	.text._Z39paged_attention_ll4mi_QKV_mfma16_kernelIDF16_hLN4vllm18Fp8KVCacheDataTypeE1EDF16_Li16ELi128ELi256ELb1ELi6EL8MFMAType1EEvPKT_PKT0_S8_ifPKiSA_SA_iPKfiiiPfSD_PS3_PT2_iSC_SC_,"axG",@progbits,_Z39paged_attention_ll4mi_QKV_mfma16_kernelIDF16_hLN4vllm18Fp8KVCacheDataTypeE1EDF16_Li16ELi128ELi256ELb1ELi6EL8MFMAType1EEvPKT_PKT0_S8_ifPKiSA_SA_iPKfiiiPfSD_PS3_PT2_iSC_SC_,comdat
.Lfunc_end471:
	.size	_Z39paged_attention_ll4mi_QKV_mfma16_kernelIDF16_hLN4vllm18Fp8KVCacheDataTypeE1EDF16_Li16ELi128ELi256ELb1ELi6EL8MFMAType1EEvPKT_PKT0_S8_ifPKiSA_SA_iPKfiiiPfSD_PS3_PT2_iSC_SC_, .Lfunc_end471-_Z39paged_attention_ll4mi_QKV_mfma16_kernelIDF16_hLN4vllm18Fp8KVCacheDataTypeE1EDF16_Li16ELi128ELi256ELb1ELi6EL8MFMAType1EEvPKT_PKT0_S8_ifPKiSA_SA_iPKfiiiPfSD_PS3_PT2_iSC_SC_
                                        ; -- End function
	.section	.AMDGPU.csdata,"",@progbits
; Kernel info:
; codeLenInByte = 492
; NumSgprs: 40
; NumVgprs: 42
; NumAgprs: 1
; TotalNumVgprs: 45
; ScratchSize: 64
; MemoryBound: 0
; FloatMode: 240
; IeeeMode: 1
; LDSByteSize: 8192 bytes/workgroup (compile time only)
; SGPRBlocks: 4
; VGPRBlocks: 5
; NumSGPRsForWavesPerEU: 40
; NumVGPRsForWavesPerEU: 45
; AccumOffset: 44
; Occupancy: 8
; WaveLimiterHint : 1
; COMPUTE_PGM_RSRC2:SCRATCH_EN: 1
; COMPUTE_PGM_RSRC2:USER_SGPR: 8
; COMPUTE_PGM_RSRC2:TRAP_HANDLER: 0
; COMPUTE_PGM_RSRC2:TGID_X_EN: 1
; COMPUTE_PGM_RSRC2:TGID_Y_EN: 1
; COMPUTE_PGM_RSRC2:TGID_Z_EN: 1
; COMPUTE_PGM_RSRC2:TIDIG_COMP_CNT: 0
; COMPUTE_PGM_RSRC3_GFX90A:ACCUM_OFFSET: 10
; COMPUTE_PGM_RSRC3_GFX90A:TG_SPLIT: 0
	.section	.text._Z39paged_attention_ll4mi_QKV_mfma16_kernelIDF16_hLN4vllm18Fp8KVCacheDataTypeE1EDF16_Li16ELi128ELi256ELb1ELi7EL8MFMAType1EEvPKT_PKT0_S8_ifPKiSA_SA_iPKfiiiPfSD_PS3_PT2_iSC_SC_,"axG",@progbits,_Z39paged_attention_ll4mi_QKV_mfma16_kernelIDF16_hLN4vllm18Fp8KVCacheDataTypeE1EDF16_Li16ELi128ELi256ELb1ELi7EL8MFMAType1EEvPKT_PKT0_S8_ifPKiSA_SA_iPKfiiiPfSD_PS3_PT2_iSC_SC_,comdat
	.protected	_Z39paged_attention_ll4mi_QKV_mfma16_kernelIDF16_hLN4vllm18Fp8KVCacheDataTypeE1EDF16_Li16ELi128ELi256ELb1ELi7EL8MFMAType1EEvPKT_PKT0_S8_ifPKiSA_SA_iPKfiiiPfSD_PS3_PT2_iSC_SC_ ; -- Begin function _Z39paged_attention_ll4mi_QKV_mfma16_kernelIDF16_hLN4vllm18Fp8KVCacheDataTypeE1EDF16_Li16ELi128ELi256ELb1ELi7EL8MFMAType1EEvPKT_PKT0_S8_ifPKiSA_SA_iPKfiiiPfSD_PS3_PT2_iSC_SC_
	.globl	_Z39paged_attention_ll4mi_QKV_mfma16_kernelIDF16_hLN4vllm18Fp8KVCacheDataTypeE1EDF16_Li16ELi128ELi256ELb1ELi7EL8MFMAType1EEvPKT_PKT0_S8_ifPKiSA_SA_iPKfiiiPfSD_PS3_PT2_iSC_SC_
	.p2align	8
	.type	_Z39paged_attention_ll4mi_QKV_mfma16_kernelIDF16_hLN4vllm18Fp8KVCacheDataTypeE1EDF16_Li16ELi128ELi256ELb1ELi7EL8MFMAType1EEvPKT_PKT0_S8_ifPKiSA_SA_iPKfiiiPfSD_PS3_PT2_iSC_SC_,@function
_Z39paged_attention_ll4mi_QKV_mfma16_kernelIDF16_hLN4vllm18Fp8KVCacheDataTypeE1EDF16_Li16ELi128ELi256ELb1ELi7EL8MFMAType1EEvPKT_PKT0_S8_ifPKiSA_SA_iPKfiiiPfSD_PS3_PT2_iSC_SC_: ; @_Z39paged_attention_ll4mi_QKV_mfma16_kernelIDF16_hLN4vllm18Fp8KVCacheDataTypeE1EDF16_Li16ELi128ELi256ELb1ELi7EL8MFMAType1EEvPKT_PKT0_S8_ifPKiSA_SA_iPKfiiiPfSD_PS3_PT2_iSC_SC_
; %bb.0:
	s_load_dwordx2 s[12:13], s[4:5], 0x30
	s_add_u32 flat_scratch_lo, s6, s11
	s_addc_u32 flat_scratch_hi, s7, 0
	s_add_u32 s0, s0, s11
	s_addc_u32 s1, s1, 0
	s_waitcnt lgkmcnt(0)
	s_cmp_lg_u64 s[12:13], 0
	s_cselect_b64 s[14:15], -1, 0
	s_mov_b32 s6, s9
	s_mov_b64 s[16:17], 0
	s_and_b64 vcc, exec, s[14:15]
	s_mov_b32 s32, 0
	s_cbranch_vccz .LBB472_11
; %bb.1:
	s_add_i32 s18, s8, 1
	s_mov_b32 s19, 0
	s_lshl_b64 s[20:21], s[18:19], 2
	s_add_u32 s20, s12, s20
	s_mov_b32 s9, s19
	s_addc_u32 s21, s13, s21
	s_lshl_b64 s[18:19], s[8:9], 2
	s_add_u32 s18, s12, s18
	s_addc_u32 s19, s13, s19
	s_load_dword s7, s[20:21], 0x0
	s_load_dword s11, s[18:19], 0x0
	s_waitcnt lgkmcnt(0)
	s_sub_i32 s7, s7, s11
	s_cmp_eq_u32 s7, 1
	s_cselect_b64 s[18:19], -1, 0
	s_andn2_b64 vcc, exec, s[16:17]
	s_cbranch_vccnz .LBB472_3
.LBB472_2:
	s_mov_b32 s9, 0
	s_mov_b64 s[18:19], -1
.LBB472_3:
	s_andn2_b64 vcc, exec, s[18:19]
	s_cbranch_vccnz .LBB472_10
; %bb.4:
	s_load_dwordx2 s[18:19], s[4:5], 0x28
	s_lshl_b64 s[16:17], s[8:9], 2
	s_waitcnt lgkmcnt(0)
	s_add_u32 s18, s18, s16
	s_addc_u32 s19, s19, s17
	s_load_dword s7, s[18:19], 0x0
	s_lshl_b32 s6, s6, 8
	s_waitcnt lgkmcnt(0)
	s_cmp_ge_i32 s6, s7
	s_cbranch_scc1 .LBB472_10
; %bb.5:
	s_andn2_b64 vcc, exec, s[14:15]
	s_cbranch_vccnz .LBB472_7
; %bb.6:
	s_add_u32 s6, s12, s16
	s_addc_u32 s7, s13, s17
	s_load_dword s8, s[6:7], 0x0
.LBB472_7:
	s_movk_i32 s6, 0x70
	v_cmp_gt_u32_e32 vcc, s6, v0
	s_and_saveexec_b64 s[6:7], vcc
	s_cbranch_execz .LBB472_9
; %bb.8:
	s_load_dword s11, s[4:5], 0x48
	s_load_dwordx2 s[12:13], s[4:5], 0x0
	v_lshrrev_b32_e32 v1, 4, v0
	s_mul_i32 s10, s10, 7
	v_add_lshl_u32 v2, v1, s10, 7
	s_waitcnt lgkmcnt(0)
	s_ashr_i32 s9, s11, 31
	s_mul_hi_u32 s14, s8, s11
	s_mul_i32 s9, s8, s9
	s_add_i32 s9, s14, s9
	s_mul_i32 s8, s8, s11
	s_lshl_b64 s[8:9], s[8:9], 1
	s_add_u32 s8, s12, s8
	v_ashrrev_i32_e32 v3, 31, v2
	s_addc_u32 s9, s13, s9
	v_lshlrev_b64 v[2:3], 1, v[2:3]
	v_and_b32_e32 v4, 15, v0
	v_mov_b32_e32 v5, s9
	v_add_co_u32_e32 v2, vcc, s8, v2
	v_addc_co_u32_e32 v3, vcc, v5, v3, vcc
	v_lshlrev_b32_e32 v4, 4, v4
	v_add_co_u32_e32 v2, vcc, v2, v4
	v_addc_co_u32_e32 v3, vcc, 0, v3, vcc
	global_load_dwordx4 v[2:5], v[2:3], off
	v_lshlrev_b32_e32 v6, 4, v0
	v_lshlrev_b32_e32 v0, 8, v0
	v_and_b32_e32 v6, 16, v6
	v_lshlrev_b32_e32 v1, 5, v1
	v_and_b32_e32 v0, 0xe00, v0
	v_or3_b32 v0, v0, v1, v6
	s_waitcnt vmcnt(0)
	ds_write_b128 v0, v[2:5]
.LBB472_9:
	s_or_b64 exec, exec, s[6:7]
	s_waitcnt lgkmcnt(0)
	s_add_u32 s8, s4, 0x90
	s_addc_u32 s9, s5, 0
	s_getpc_b64 s[4:5]
	s_add_u32 s4, s4, __PRETTY_FUNCTION__._Z39paged_attention_ll4mi_QKV_mfma16_kernelIDF16_hLN4vllm18Fp8KVCacheDataTypeE1EDF16_Li16ELi128ELi256ELb1ELi7EL8MFMAType1EEvPKT_PKT0_S8_ifPKiSA_SA_iPKfiiiPfSD_PS3_PT2_iSC_SC_@rel32@lo+4
	s_addc_u32 s5, s5, __PRETTY_FUNCTION__._Z39paged_attention_ll4mi_QKV_mfma16_kernelIDF16_hLN4vllm18Fp8KVCacheDataTypeE1EDF16_Li16ELi128ELi256ELb1ELi7EL8MFMAType1EEvPKT_PKT0_S8_ifPKiSA_SA_iPKfiiiPfSD_PS3_PT2_iSC_SC_@rel32@hi+12
	v_mov_b32_e32 v0, 0x288
	v_mov_b32_e32 v1, s4
	;; [unrolled: 1-line block ×3, first 2 shown]
	s_barrier
	s_getpc_b64 s[6:7]
	s_add_u32 s6, s6, __assert_fail@rel32@lo+4
	s_addc_u32 s7, s7, __assert_fail@rel32@hi+12
	s_swappc_b64 s[30:31], s[6:7]
	; divergent unreachable
.LBB472_10:
	s_endpgm
.LBB472_11:
	s_mov_b64 s[18:19], 0
	s_branch .LBB472_2
	.section	.rodata,"a",@progbits
	.p2align	6, 0x0
	.amdhsa_kernel _Z39paged_attention_ll4mi_QKV_mfma16_kernelIDF16_hLN4vllm18Fp8KVCacheDataTypeE1EDF16_Li16ELi128ELi256ELb1ELi7EL8MFMAType1EEvPKT_PKT0_S8_ifPKiSA_SA_iPKfiiiPfSD_PS3_PT2_iSC_SC_
		.amdhsa_group_segment_fixed_size 8192
		.amdhsa_private_segment_fixed_size 64
		.amdhsa_kernarg_size 400
		.amdhsa_user_sgpr_count 8
		.amdhsa_user_sgpr_private_segment_buffer 1
		.amdhsa_user_sgpr_dispatch_ptr 0
		.amdhsa_user_sgpr_queue_ptr 0
		.amdhsa_user_sgpr_kernarg_segment_ptr 1
		.amdhsa_user_sgpr_dispatch_id 0
		.amdhsa_user_sgpr_flat_scratch_init 1
		.amdhsa_user_sgpr_kernarg_preload_length 0
		.amdhsa_user_sgpr_kernarg_preload_offset 0
		.amdhsa_user_sgpr_private_segment_size 0
		.amdhsa_uses_dynamic_stack 0
		.amdhsa_system_sgpr_private_segment_wavefront_offset 1
		.amdhsa_system_sgpr_workgroup_id_x 1
		.amdhsa_system_sgpr_workgroup_id_y 1
		.amdhsa_system_sgpr_workgroup_id_z 1
		.amdhsa_system_sgpr_workgroup_info 0
		.amdhsa_system_vgpr_workitem_id 0
		.amdhsa_next_free_vgpr 45
		.amdhsa_next_free_sgpr 34
		.amdhsa_accum_offset 44
		.amdhsa_reserve_vcc 1
		.amdhsa_reserve_flat_scratch 1
		.amdhsa_float_round_mode_32 0
		.amdhsa_float_round_mode_16_64 0
		.amdhsa_float_denorm_mode_32 3
		.amdhsa_float_denorm_mode_16_64 3
		.amdhsa_dx10_clamp 1
		.amdhsa_ieee_mode 1
		.amdhsa_fp16_overflow 0
		.amdhsa_tg_split 0
		.amdhsa_exception_fp_ieee_invalid_op 0
		.amdhsa_exception_fp_denorm_src 0
		.amdhsa_exception_fp_ieee_div_zero 0
		.amdhsa_exception_fp_ieee_overflow 0
		.amdhsa_exception_fp_ieee_underflow 0
		.amdhsa_exception_fp_ieee_inexact 0
		.amdhsa_exception_int_div_zero 0
	.end_amdhsa_kernel
	.section	.text._Z39paged_attention_ll4mi_QKV_mfma16_kernelIDF16_hLN4vllm18Fp8KVCacheDataTypeE1EDF16_Li16ELi128ELi256ELb1ELi7EL8MFMAType1EEvPKT_PKT0_S8_ifPKiSA_SA_iPKfiiiPfSD_PS3_PT2_iSC_SC_,"axG",@progbits,_Z39paged_attention_ll4mi_QKV_mfma16_kernelIDF16_hLN4vllm18Fp8KVCacheDataTypeE1EDF16_Li16ELi128ELi256ELb1ELi7EL8MFMAType1EEvPKT_PKT0_S8_ifPKiSA_SA_iPKfiiiPfSD_PS3_PT2_iSC_SC_,comdat
.Lfunc_end472:
	.size	_Z39paged_attention_ll4mi_QKV_mfma16_kernelIDF16_hLN4vllm18Fp8KVCacheDataTypeE1EDF16_Li16ELi128ELi256ELb1ELi7EL8MFMAType1EEvPKT_PKT0_S8_ifPKiSA_SA_iPKfiiiPfSD_PS3_PT2_iSC_SC_, .Lfunc_end472-_Z39paged_attention_ll4mi_QKV_mfma16_kernelIDF16_hLN4vllm18Fp8KVCacheDataTypeE1EDF16_Li16ELi128ELi256ELb1ELi7EL8MFMAType1EEvPKT_PKT0_S8_ifPKiSA_SA_iPKfiiiPfSD_PS3_PT2_iSC_SC_
                                        ; -- End function
	.section	.AMDGPU.csdata,"",@progbits
; Kernel info:
; codeLenInByte = 492
; NumSgprs: 40
; NumVgprs: 42
; NumAgprs: 1
; TotalNumVgprs: 45
; ScratchSize: 64
; MemoryBound: 0
; FloatMode: 240
; IeeeMode: 1
; LDSByteSize: 8192 bytes/workgroup (compile time only)
; SGPRBlocks: 4
; VGPRBlocks: 5
; NumSGPRsForWavesPerEU: 40
; NumVGPRsForWavesPerEU: 45
; AccumOffset: 44
; Occupancy: 8
; WaveLimiterHint : 1
; COMPUTE_PGM_RSRC2:SCRATCH_EN: 1
; COMPUTE_PGM_RSRC2:USER_SGPR: 8
; COMPUTE_PGM_RSRC2:TRAP_HANDLER: 0
; COMPUTE_PGM_RSRC2:TGID_X_EN: 1
; COMPUTE_PGM_RSRC2:TGID_Y_EN: 1
; COMPUTE_PGM_RSRC2:TGID_Z_EN: 1
; COMPUTE_PGM_RSRC2:TIDIG_COMP_CNT: 0
; COMPUTE_PGM_RSRC3_GFX90A:ACCUM_OFFSET: 10
; COMPUTE_PGM_RSRC3_GFX90A:TG_SPLIT: 0
	.section	.text._Z39paged_attention_ll4mi_QKV_mfma16_kernelIDF16_hLN4vllm18Fp8KVCacheDataTypeE1EDF16_Li16ELi128ELi256ELb1ELi8EL8MFMAType1EEvPKT_PKT0_S8_ifPKiSA_SA_iPKfiiiPfSD_PS3_PT2_iSC_SC_,"axG",@progbits,_Z39paged_attention_ll4mi_QKV_mfma16_kernelIDF16_hLN4vllm18Fp8KVCacheDataTypeE1EDF16_Li16ELi128ELi256ELb1ELi8EL8MFMAType1EEvPKT_PKT0_S8_ifPKiSA_SA_iPKfiiiPfSD_PS3_PT2_iSC_SC_,comdat
	.protected	_Z39paged_attention_ll4mi_QKV_mfma16_kernelIDF16_hLN4vllm18Fp8KVCacheDataTypeE1EDF16_Li16ELi128ELi256ELb1ELi8EL8MFMAType1EEvPKT_PKT0_S8_ifPKiSA_SA_iPKfiiiPfSD_PS3_PT2_iSC_SC_ ; -- Begin function _Z39paged_attention_ll4mi_QKV_mfma16_kernelIDF16_hLN4vllm18Fp8KVCacheDataTypeE1EDF16_Li16ELi128ELi256ELb1ELi8EL8MFMAType1EEvPKT_PKT0_S8_ifPKiSA_SA_iPKfiiiPfSD_PS3_PT2_iSC_SC_
	.globl	_Z39paged_attention_ll4mi_QKV_mfma16_kernelIDF16_hLN4vllm18Fp8KVCacheDataTypeE1EDF16_Li16ELi128ELi256ELb1ELi8EL8MFMAType1EEvPKT_PKT0_S8_ifPKiSA_SA_iPKfiiiPfSD_PS3_PT2_iSC_SC_
	.p2align	8
	.type	_Z39paged_attention_ll4mi_QKV_mfma16_kernelIDF16_hLN4vllm18Fp8KVCacheDataTypeE1EDF16_Li16ELi128ELi256ELb1ELi8EL8MFMAType1EEvPKT_PKT0_S8_ifPKiSA_SA_iPKfiiiPfSD_PS3_PT2_iSC_SC_,@function
_Z39paged_attention_ll4mi_QKV_mfma16_kernelIDF16_hLN4vllm18Fp8KVCacheDataTypeE1EDF16_Li16ELi128ELi256ELb1ELi8EL8MFMAType1EEvPKT_PKT0_S8_ifPKiSA_SA_iPKfiiiPfSD_PS3_PT2_iSC_SC_: ; @_Z39paged_attention_ll4mi_QKV_mfma16_kernelIDF16_hLN4vllm18Fp8KVCacheDataTypeE1EDF16_Li16ELi128ELi256ELb1ELi8EL8MFMAType1EEvPKT_PKT0_S8_ifPKiSA_SA_iPKfiiiPfSD_PS3_PT2_iSC_SC_
; %bb.0:
	s_load_dwordx2 s[12:13], s[4:5], 0x30
	s_add_u32 flat_scratch_lo, s6, s11
	s_addc_u32 flat_scratch_hi, s7, 0
	s_add_u32 s0, s0, s11
	s_addc_u32 s1, s1, 0
	s_waitcnt lgkmcnt(0)
	s_cmp_lg_u64 s[12:13], 0
	s_cselect_b64 s[14:15], -1, 0
	s_mov_b32 s6, s9
	s_mov_b64 s[16:17], 0
	s_and_b64 vcc, exec, s[14:15]
	s_mov_b32 s32, 0
	s_cbranch_vccz .LBB473_11
; %bb.1:
	s_add_i32 s18, s8, 1
	s_mov_b32 s19, 0
	s_lshl_b64 s[20:21], s[18:19], 2
	s_add_u32 s20, s12, s20
	s_mov_b32 s9, s19
	s_addc_u32 s21, s13, s21
	s_lshl_b64 s[18:19], s[8:9], 2
	s_add_u32 s18, s12, s18
	s_addc_u32 s19, s13, s19
	s_load_dword s7, s[20:21], 0x0
	s_load_dword s11, s[18:19], 0x0
	s_waitcnt lgkmcnt(0)
	s_sub_i32 s7, s7, s11
	s_cmp_eq_u32 s7, 1
	s_cselect_b64 s[18:19], -1, 0
	s_andn2_b64 vcc, exec, s[16:17]
	s_cbranch_vccnz .LBB473_3
.LBB473_2:
	s_mov_b32 s9, 0
	s_mov_b64 s[18:19], -1
.LBB473_3:
	s_andn2_b64 vcc, exec, s[18:19]
	s_cbranch_vccnz .LBB473_10
; %bb.4:
	s_load_dwordx2 s[18:19], s[4:5], 0x28
	s_lshl_b64 s[16:17], s[8:9], 2
	s_waitcnt lgkmcnt(0)
	s_add_u32 s18, s18, s16
	s_addc_u32 s19, s19, s17
	s_load_dword s7, s[18:19], 0x0
	s_lshl_b32 s6, s6, 8
	s_waitcnt lgkmcnt(0)
	s_cmp_ge_i32 s6, s7
	s_cbranch_scc1 .LBB473_10
; %bb.5:
	s_andn2_b64 vcc, exec, s[14:15]
	s_cbranch_vccnz .LBB473_7
; %bb.6:
	s_add_u32 s6, s12, s16
	s_addc_u32 s7, s13, s17
	s_load_dword s8, s[6:7], 0x0
.LBB473_7:
	s_movk_i32 s6, 0x80
	v_cmp_gt_u32_e32 vcc, s6, v0
	s_and_saveexec_b64 s[6:7], vcc
	s_cbranch_execz .LBB473_9
; %bb.8:
	s_load_dword s11, s[4:5], 0x48
	s_load_dwordx2 s[12:13], s[4:5], 0x0
	v_lshrrev_b32_e32 v6, 4, v0
	v_lshlrev_b32_e32 v2, 7, v6
	v_lshl_or_b32 v2, s10, 10, v2
	s_waitcnt lgkmcnt(0)
	s_ashr_i32 s9, s11, 31
	s_mul_hi_u32 s14, s8, s11
	s_mul_i32 s9, s8, s9
	s_add_i32 s9, s14, s9
	s_mul_i32 s8, s8, s11
	s_lshl_b64 s[8:9], s[8:9], 1
	s_add_u32 s8, s12, s8
	v_ashrrev_i32_e32 v3, 31, v2
	s_addc_u32 s9, s13, s9
	v_lshlrev_b64 v[2:3], 1, v[2:3]
	v_and_b32_e32 v1, 15, v0
	v_mov_b32_e32 v4, s9
	v_add_co_u32_e32 v2, vcc, s8, v2
	v_addc_co_u32_e32 v3, vcc, v4, v3, vcc
	v_lshlrev_b32_e32 v1, 4, v1
	v_add_co_u32_e32 v2, vcc, v2, v1
	v_addc_co_u32_e32 v3, vcc, 0, v3, vcc
	global_load_dwordx4 v[2:5], v[2:3], off
	v_lshlrev_b32_e32 v1, 4, v0
	v_lshlrev_b32_e32 v0, 8, v0
	v_and_b32_e32 v1, 16, v1
	v_lshlrev_b32_e32 v6, 5, v6
	v_and_b32_e32 v0, 0xe00, v0
	v_or3_b32 v0, v0, v6, v1
	s_waitcnt vmcnt(0)
	ds_write_b128 v0, v[2:5]
.LBB473_9:
	s_or_b64 exec, exec, s[6:7]
	s_waitcnt lgkmcnt(0)
	s_add_u32 s8, s4, 0x90
	s_addc_u32 s9, s5, 0
	s_getpc_b64 s[4:5]
	s_add_u32 s4, s4, __PRETTY_FUNCTION__._Z39paged_attention_ll4mi_QKV_mfma16_kernelIDF16_hLN4vllm18Fp8KVCacheDataTypeE1EDF16_Li16ELi128ELi256ELb1ELi8EL8MFMAType1EEvPKT_PKT0_S8_ifPKiSA_SA_iPKfiiiPfSD_PS3_PT2_iSC_SC_@rel32@lo+4
	s_addc_u32 s5, s5, __PRETTY_FUNCTION__._Z39paged_attention_ll4mi_QKV_mfma16_kernelIDF16_hLN4vllm18Fp8KVCacheDataTypeE1EDF16_Li16ELi128ELi256ELb1ELi8EL8MFMAType1EEvPKT_PKT0_S8_ifPKiSA_SA_iPKfiiiPfSD_PS3_PT2_iSC_SC_@rel32@hi+12
	v_mov_b32_e32 v0, 0x288
	v_mov_b32_e32 v1, s4
	;; [unrolled: 1-line block ×3, first 2 shown]
	s_barrier
	s_getpc_b64 s[6:7]
	s_add_u32 s6, s6, __assert_fail@rel32@lo+4
	s_addc_u32 s7, s7, __assert_fail@rel32@hi+12
	s_swappc_b64 s[30:31], s[6:7]
	; divergent unreachable
.LBB473_10:
	s_endpgm
.LBB473_11:
	s_mov_b64 s[18:19], 0
	s_branch .LBB473_2
	.section	.rodata,"a",@progbits
	.p2align	6, 0x0
	.amdhsa_kernel _Z39paged_attention_ll4mi_QKV_mfma16_kernelIDF16_hLN4vllm18Fp8KVCacheDataTypeE1EDF16_Li16ELi128ELi256ELb1ELi8EL8MFMAType1EEvPKT_PKT0_S8_ifPKiSA_SA_iPKfiiiPfSD_PS3_PT2_iSC_SC_
		.amdhsa_group_segment_fixed_size 8192
		.amdhsa_private_segment_fixed_size 64
		.amdhsa_kernarg_size 400
		.amdhsa_user_sgpr_count 8
		.amdhsa_user_sgpr_private_segment_buffer 1
		.amdhsa_user_sgpr_dispatch_ptr 0
		.amdhsa_user_sgpr_queue_ptr 0
		.amdhsa_user_sgpr_kernarg_segment_ptr 1
		.amdhsa_user_sgpr_dispatch_id 0
		.amdhsa_user_sgpr_flat_scratch_init 1
		.amdhsa_user_sgpr_kernarg_preload_length 0
		.amdhsa_user_sgpr_kernarg_preload_offset 0
		.amdhsa_user_sgpr_private_segment_size 0
		.amdhsa_uses_dynamic_stack 0
		.amdhsa_system_sgpr_private_segment_wavefront_offset 1
		.amdhsa_system_sgpr_workgroup_id_x 1
		.amdhsa_system_sgpr_workgroup_id_y 1
		.amdhsa_system_sgpr_workgroup_id_z 1
		.amdhsa_system_sgpr_workgroup_info 0
		.amdhsa_system_vgpr_workitem_id 0
		.amdhsa_next_free_vgpr 45
		.amdhsa_next_free_sgpr 34
		.amdhsa_accum_offset 44
		.amdhsa_reserve_vcc 1
		.amdhsa_reserve_flat_scratch 1
		.amdhsa_float_round_mode_32 0
		.amdhsa_float_round_mode_16_64 0
		.amdhsa_float_denorm_mode_32 3
		.amdhsa_float_denorm_mode_16_64 3
		.amdhsa_dx10_clamp 1
		.amdhsa_ieee_mode 1
		.amdhsa_fp16_overflow 0
		.amdhsa_tg_split 0
		.amdhsa_exception_fp_ieee_invalid_op 0
		.amdhsa_exception_fp_denorm_src 0
		.amdhsa_exception_fp_ieee_div_zero 0
		.amdhsa_exception_fp_ieee_overflow 0
		.amdhsa_exception_fp_ieee_underflow 0
		.amdhsa_exception_fp_ieee_inexact 0
		.amdhsa_exception_int_div_zero 0
	.end_amdhsa_kernel
	.section	.text._Z39paged_attention_ll4mi_QKV_mfma16_kernelIDF16_hLN4vllm18Fp8KVCacheDataTypeE1EDF16_Li16ELi128ELi256ELb1ELi8EL8MFMAType1EEvPKT_PKT0_S8_ifPKiSA_SA_iPKfiiiPfSD_PS3_PT2_iSC_SC_,"axG",@progbits,_Z39paged_attention_ll4mi_QKV_mfma16_kernelIDF16_hLN4vllm18Fp8KVCacheDataTypeE1EDF16_Li16ELi128ELi256ELb1ELi8EL8MFMAType1EEvPKT_PKT0_S8_ifPKiSA_SA_iPKfiiiPfSD_PS3_PT2_iSC_SC_,comdat
.Lfunc_end473:
	.size	_Z39paged_attention_ll4mi_QKV_mfma16_kernelIDF16_hLN4vllm18Fp8KVCacheDataTypeE1EDF16_Li16ELi128ELi256ELb1ELi8EL8MFMAType1EEvPKT_PKT0_S8_ifPKiSA_SA_iPKfiiiPfSD_PS3_PT2_iSC_SC_, .Lfunc_end473-_Z39paged_attention_ll4mi_QKV_mfma16_kernelIDF16_hLN4vllm18Fp8KVCacheDataTypeE1EDF16_Li16ELi128ELi256ELb1ELi8EL8MFMAType1EEvPKT_PKT0_S8_ifPKiSA_SA_iPKfiiiPfSD_PS3_PT2_iSC_SC_
                                        ; -- End function
	.section	.AMDGPU.csdata,"",@progbits
; Kernel info:
; codeLenInByte = 492
; NumSgprs: 40
; NumVgprs: 42
; NumAgprs: 1
; TotalNumVgprs: 45
; ScratchSize: 64
; MemoryBound: 0
; FloatMode: 240
; IeeeMode: 1
; LDSByteSize: 8192 bytes/workgroup (compile time only)
; SGPRBlocks: 4
; VGPRBlocks: 5
; NumSGPRsForWavesPerEU: 40
; NumVGPRsForWavesPerEU: 45
; AccumOffset: 44
; Occupancy: 8
; WaveLimiterHint : 1
; COMPUTE_PGM_RSRC2:SCRATCH_EN: 1
; COMPUTE_PGM_RSRC2:USER_SGPR: 8
; COMPUTE_PGM_RSRC2:TRAP_HANDLER: 0
; COMPUTE_PGM_RSRC2:TGID_X_EN: 1
; COMPUTE_PGM_RSRC2:TGID_Y_EN: 1
; COMPUTE_PGM_RSRC2:TGID_Z_EN: 1
; COMPUTE_PGM_RSRC2:TIDIG_COMP_CNT: 0
; COMPUTE_PGM_RSRC3_GFX90A:ACCUM_OFFSET: 10
; COMPUTE_PGM_RSRC3_GFX90A:TG_SPLIT: 0
	.section	.text._Z39paged_attention_ll4mi_QKV_mfma16_kernelIDF16_hLN4vllm18Fp8KVCacheDataTypeE1EDF16_Li16ELi128ELi256ELb1ELi9EL8MFMAType1EEvPKT_PKT0_S8_ifPKiSA_SA_iPKfiiiPfSD_PS3_PT2_iSC_SC_,"axG",@progbits,_Z39paged_attention_ll4mi_QKV_mfma16_kernelIDF16_hLN4vllm18Fp8KVCacheDataTypeE1EDF16_Li16ELi128ELi256ELb1ELi9EL8MFMAType1EEvPKT_PKT0_S8_ifPKiSA_SA_iPKfiiiPfSD_PS3_PT2_iSC_SC_,comdat
	.protected	_Z39paged_attention_ll4mi_QKV_mfma16_kernelIDF16_hLN4vllm18Fp8KVCacheDataTypeE1EDF16_Li16ELi128ELi256ELb1ELi9EL8MFMAType1EEvPKT_PKT0_S8_ifPKiSA_SA_iPKfiiiPfSD_PS3_PT2_iSC_SC_ ; -- Begin function _Z39paged_attention_ll4mi_QKV_mfma16_kernelIDF16_hLN4vllm18Fp8KVCacheDataTypeE1EDF16_Li16ELi128ELi256ELb1ELi9EL8MFMAType1EEvPKT_PKT0_S8_ifPKiSA_SA_iPKfiiiPfSD_PS3_PT2_iSC_SC_
	.globl	_Z39paged_attention_ll4mi_QKV_mfma16_kernelIDF16_hLN4vllm18Fp8KVCacheDataTypeE1EDF16_Li16ELi128ELi256ELb1ELi9EL8MFMAType1EEvPKT_PKT0_S8_ifPKiSA_SA_iPKfiiiPfSD_PS3_PT2_iSC_SC_
	.p2align	8
	.type	_Z39paged_attention_ll4mi_QKV_mfma16_kernelIDF16_hLN4vllm18Fp8KVCacheDataTypeE1EDF16_Li16ELi128ELi256ELb1ELi9EL8MFMAType1EEvPKT_PKT0_S8_ifPKiSA_SA_iPKfiiiPfSD_PS3_PT2_iSC_SC_,@function
_Z39paged_attention_ll4mi_QKV_mfma16_kernelIDF16_hLN4vllm18Fp8KVCacheDataTypeE1EDF16_Li16ELi128ELi256ELb1ELi9EL8MFMAType1EEvPKT_PKT0_S8_ifPKiSA_SA_iPKfiiiPfSD_PS3_PT2_iSC_SC_: ; @_Z39paged_attention_ll4mi_QKV_mfma16_kernelIDF16_hLN4vllm18Fp8KVCacheDataTypeE1EDF16_Li16ELi128ELi256ELb1ELi9EL8MFMAType1EEvPKT_PKT0_S8_ifPKiSA_SA_iPKfiiiPfSD_PS3_PT2_iSC_SC_
; %bb.0:
	s_load_dwordx2 s[12:13], s[4:5], 0x30
	s_add_u32 flat_scratch_lo, s6, s11
	s_addc_u32 flat_scratch_hi, s7, 0
	s_add_u32 s0, s0, s11
	s_addc_u32 s1, s1, 0
	s_waitcnt lgkmcnt(0)
	s_cmp_lg_u64 s[12:13], 0
	s_cselect_b64 s[14:15], -1, 0
	s_mov_b32 s6, s9
	s_mov_b64 s[16:17], 0
	s_and_b64 vcc, exec, s[14:15]
	s_mov_b32 s32, 0
	s_cbranch_vccz .LBB474_11
; %bb.1:
	s_add_i32 s18, s8, 1
	s_mov_b32 s19, 0
	s_lshl_b64 s[20:21], s[18:19], 2
	s_add_u32 s20, s12, s20
	s_mov_b32 s9, s19
	s_addc_u32 s21, s13, s21
	s_lshl_b64 s[18:19], s[8:9], 2
	s_add_u32 s18, s12, s18
	s_addc_u32 s19, s13, s19
	s_load_dword s7, s[20:21], 0x0
	s_load_dword s11, s[18:19], 0x0
	s_waitcnt lgkmcnt(0)
	s_sub_i32 s7, s7, s11
	s_cmp_eq_u32 s7, 1
	s_cselect_b64 s[18:19], -1, 0
	s_andn2_b64 vcc, exec, s[16:17]
	s_cbranch_vccnz .LBB474_3
.LBB474_2:
	s_mov_b32 s9, 0
	s_mov_b64 s[18:19], -1
.LBB474_3:
	s_andn2_b64 vcc, exec, s[18:19]
	s_cbranch_vccnz .LBB474_10
; %bb.4:
	s_load_dwordx2 s[18:19], s[4:5], 0x28
	s_lshl_b64 s[16:17], s[8:9], 2
	s_waitcnt lgkmcnt(0)
	s_add_u32 s18, s18, s16
	s_addc_u32 s19, s19, s17
	s_load_dword s7, s[18:19], 0x0
	s_lshl_b32 s6, s6, 8
	s_waitcnt lgkmcnt(0)
	s_cmp_ge_i32 s6, s7
	s_cbranch_scc1 .LBB474_10
; %bb.5:
	s_andn2_b64 vcc, exec, s[14:15]
	s_cbranch_vccnz .LBB474_7
; %bb.6:
	s_add_u32 s6, s12, s16
	s_addc_u32 s7, s13, s17
	s_load_dword s8, s[6:7], 0x0
.LBB474_7:
	s_movk_i32 s6, 0x90
	v_cmp_gt_u32_e32 vcc, s6, v0
	s_and_saveexec_b64 s[6:7], vcc
	s_cbranch_execz .LBB474_9
; %bb.8:
	s_load_dword s11, s[4:5], 0x48
	s_load_dwordx2 s[12:13], s[4:5], 0x0
	v_lshrrev_b32_e32 v1, 4, v0
	s_mul_i32 s10, s10, 9
	v_add_lshl_u32 v2, v1, s10, 7
	s_waitcnt lgkmcnt(0)
	s_ashr_i32 s9, s11, 31
	s_mul_hi_u32 s14, s8, s11
	s_mul_i32 s9, s8, s9
	s_add_i32 s9, s14, s9
	s_mul_i32 s8, s8, s11
	s_lshl_b64 s[8:9], s[8:9], 1
	s_add_u32 s8, s12, s8
	v_ashrrev_i32_e32 v3, 31, v2
	s_addc_u32 s9, s13, s9
	v_lshlrev_b64 v[2:3], 1, v[2:3]
	v_and_b32_e32 v4, 15, v0
	v_mov_b32_e32 v5, s9
	v_add_co_u32_e32 v2, vcc, s8, v2
	v_addc_co_u32_e32 v3, vcc, v5, v3, vcc
	v_lshlrev_b32_e32 v4, 4, v4
	v_add_co_u32_e32 v2, vcc, v2, v4
	v_addc_co_u32_e32 v3, vcc, 0, v3, vcc
	global_load_dwordx4 v[2:5], v[2:3], off
	v_lshlrev_b32_e32 v6, 4, v0
	v_lshlrev_b32_e32 v0, 8, v0
	v_and_b32_e32 v6, 16, v6
	v_lshlrev_b32_e32 v1, 5, v1
	v_and_b32_e32 v0, 0xe00, v0
	v_or3_b32 v0, v0, v1, v6
	s_waitcnt vmcnt(0)
	ds_write_b128 v0, v[2:5]
.LBB474_9:
	s_or_b64 exec, exec, s[6:7]
	s_waitcnt lgkmcnt(0)
	s_add_u32 s8, s4, 0x90
	s_addc_u32 s9, s5, 0
	s_getpc_b64 s[4:5]
	s_add_u32 s4, s4, __PRETTY_FUNCTION__._Z39paged_attention_ll4mi_QKV_mfma16_kernelIDF16_hLN4vllm18Fp8KVCacheDataTypeE1EDF16_Li16ELi128ELi256ELb1ELi9EL8MFMAType1EEvPKT_PKT0_S8_ifPKiSA_SA_iPKfiiiPfSD_PS3_PT2_iSC_SC_@rel32@lo+4
	s_addc_u32 s5, s5, __PRETTY_FUNCTION__._Z39paged_attention_ll4mi_QKV_mfma16_kernelIDF16_hLN4vllm18Fp8KVCacheDataTypeE1EDF16_Li16ELi128ELi256ELb1ELi9EL8MFMAType1EEvPKT_PKT0_S8_ifPKiSA_SA_iPKfiiiPfSD_PS3_PT2_iSC_SC_@rel32@hi+12
	v_mov_b32_e32 v0, 0x288
	v_mov_b32_e32 v1, s4
	;; [unrolled: 1-line block ×3, first 2 shown]
	s_barrier
	s_getpc_b64 s[6:7]
	s_add_u32 s6, s6, __assert_fail@rel32@lo+4
	s_addc_u32 s7, s7, __assert_fail@rel32@hi+12
	s_swappc_b64 s[30:31], s[6:7]
	; divergent unreachable
.LBB474_10:
	s_endpgm
.LBB474_11:
	s_mov_b64 s[18:19], 0
	s_branch .LBB474_2
	.section	.rodata,"a",@progbits
	.p2align	6, 0x0
	.amdhsa_kernel _Z39paged_attention_ll4mi_QKV_mfma16_kernelIDF16_hLN4vllm18Fp8KVCacheDataTypeE1EDF16_Li16ELi128ELi256ELb1ELi9EL8MFMAType1EEvPKT_PKT0_S8_ifPKiSA_SA_iPKfiiiPfSD_PS3_PT2_iSC_SC_
		.amdhsa_group_segment_fixed_size 8192
		.amdhsa_private_segment_fixed_size 64
		.amdhsa_kernarg_size 400
		.amdhsa_user_sgpr_count 8
		.amdhsa_user_sgpr_private_segment_buffer 1
		.amdhsa_user_sgpr_dispatch_ptr 0
		.amdhsa_user_sgpr_queue_ptr 0
		.amdhsa_user_sgpr_kernarg_segment_ptr 1
		.amdhsa_user_sgpr_dispatch_id 0
		.amdhsa_user_sgpr_flat_scratch_init 1
		.amdhsa_user_sgpr_kernarg_preload_length 0
		.amdhsa_user_sgpr_kernarg_preload_offset 0
		.amdhsa_user_sgpr_private_segment_size 0
		.amdhsa_uses_dynamic_stack 0
		.amdhsa_system_sgpr_private_segment_wavefront_offset 1
		.amdhsa_system_sgpr_workgroup_id_x 1
		.amdhsa_system_sgpr_workgroup_id_y 1
		.amdhsa_system_sgpr_workgroup_id_z 1
		.amdhsa_system_sgpr_workgroup_info 0
		.amdhsa_system_vgpr_workitem_id 0
		.amdhsa_next_free_vgpr 45
		.amdhsa_next_free_sgpr 34
		.amdhsa_accum_offset 44
		.amdhsa_reserve_vcc 1
		.amdhsa_reserve_flat_scratch 1
		.amdhsa_float_round_mode_32 0
		.amdhsa_float_round_mode_16_64 0
		.amdhsa_float_denorm_mode_32 3
		.amdhsa_float_denorm_mode_16_64 3
		.amdhsa_dx10_clamp 1
		.amdhsa_ieee_mode 1
		.amdhsa_fp16_overflow 0
		.amdhsa_tg_split 0
		.amdhsa_exception_fp_ieee_invalid_op 0
		.amdhsa_exception_fp_denorm_src 0
		.amdhsa_exception_fp_ieee_div_zero 0
		.amdhsa_exception_fp_ieee_overflow 0
		.amdhsa_exception_fp_ieee_underflow 0
		.amdhsa_exception_fp_ieee_inexact 0
		.amdhsa_exception_int_div_zero 0
	.end_amdhsa_kernel
	.section	.text._Z39paged_attention_ll4mi_QKV_mfma16_kernelIDF16_hLN4vllm18Fp8KVCacheDataTypeE1EDF16_Li16ELi128ELi256ELb1ELi9EL8MFMAType1EEvPKT_PKT0_S8_ifPKiSA_SA_iPKfiiiPfSD_PS3_PT2_iSC_SC_,"axG",@progbits,_Z39paged_attention_ll4mi_QKV_mfma16_kernelIDF16_hLN4vllm18Fp8KVCacheDataTypeE1EDF16_Li16ELi128ELi256ELb1ELi9EL8MFMAType1EEvPKT_PKT0_S8_ifPKiSA_SA_iPKfiiiPfSD_PS3_PT2_iSC_SC_,comdat
.Lfunc_end474:
	.size	_Z39paged_attention_ll4mi_QKV_mfma16_kernelIDF16_hLN4vllm18Fp8KVCacheDataTypeE1EDF16_Li16ELi128ELi256ELb1ELi9EL8MFMAType1EEvPKT_PKT0_S8_ifPKiSA_SA_iPKfiiiPfSD_PS3_PT2_iSC_SC_, .Lfunc_end474-_Z39paged_attention_ll4mi_QKV_mfma16_kernelIDF16_hLN4vllm18Fp8KVCacheDataTypeE1EDF16_Li16ELi128ELi256ELb1ELi9EL8MFMAType1EEvPKT_PKT0_S8_ifPKiSA_SA_iPKfiiiPfSD_PS3_PT2_iSC_SC_
                                        ; -- End function
	.section	.AMDGPU.csdata,"",@progbits
; Kernel info:
; codeLenInByte = 492
; NumSgprs: 40
; NumVgprs: 42
; NumAgprs: 1
; TotalNumVgprs: 45
; ScratchSize: 64
; MemoryBound: 0
; FloatMode: 240
; IeeeMode: 1
; LDSByteSize: 8192 bytes/workgroup (compile time only)
; SGPRBlocks: 4
; VGPRBlocks: 5
; NumSGPRsForWavesPerEU: 40
; NumVGPRsForWavesPerEU: 45
; AccumOffset: 44
; Occupancy: 8
; WaveLimiterHint : 1
; COMPUTE_PGM_RSRC2:SCRATCH_EN: 1
; COMPUTE_PGM_RSRC2:USER_SGPR: 8
; COMPUTE_PGM_RSRC2:TRAP_HANDLER: 0
; COMPUTE_PGM_RSRC2:TGID_X_EN: 1
; COMPUTE_PGM_RSRC2:TGID_Y_EN: 1
; COMPUTE_PGM_RSRC2:TGID_Z_EN: 1
; COMPUTE_PGM_RSRC2:TIDIG_COMP_CNT: 0
; COMPUTE_PGM_RSRC3_GFX90A:ACCUM_OFFSET: 10
; COMPUTE_PGM_RSRC3_GFX90A:TG_SPLIT: 0
	.section	.text._Z39paged_attention_ll4mi_QKV_mfma16_kernelIDF16_hLN4vllm18Fp8KVCacheDataTypeE1EDF16_Li16ELi128ELi256ELb1ELi10EL8MFMAType1EEvPKT_PKT0_S8_ifPKiSA_SA_iPKfiiiPfSD_PS3_PT2_iSC_SC_,"axG",@progbits,_Z39paged_attention_ll4mi_QKV_mfma16_kernelIDF16_hLN4vllm18Fp8KVCacheDataTypeE1EDF16_Li16ELi128ELi256ELb1ELi10EL8MFMAType1EEvPKT_PKT0_S8_ifPKiSA_SA_iPKfiiiPfSD_PS3_PT2_iSC_SC_,comdat
	.protected	_Z39paged_attention_ll4mi_QKV_mfma16_kernelIDF16_hLN4vllm18Fp8KVCacheDataTypeE1EDF16_Li16ELi128ELi256ELb1ELi10EL8MFMAType1EEvPKT_PKT0_S8_ifPKiSA_SA_iPKfiiiPfSD_PS3_PT2_iSC_SC_ ; -- Begin function _Z39paged_attention_ll4mi_QKV_mfma16_kernelIDF16_hLN4vllm18Fp8KVCacheDataTypeE1EDF16_Li16ELi128ELi256ELb1ELi10EL8MFMAType1EEvPKT_PKT0_S8_ifPKiSA_SA_iPKfiiiPfSD_PS3_PT2_iSC_SC_
	.globl	_Z39paged_attention_ll4mi_QKV_mfma16_kernelIDF16_hLN4vllm18Fp8KVCacheDataTypeE1EDF16_Li16ELi128ELi256ELb1ELi10EL8MFMAType1EEvPKT_PKT0_S8_ifPKiSA_SA_iPKfiiiPfSD_PS3_PT2_iSC_SC_
	.p2align	8
	.type	_Z39paged_attention_ll4mi_QKV_mfma16_kernelIDF16_hLN4vllm18Fp8KVCacheDataTypeE1EDF16_Li16ELi128ELi256ELb1ELi10EL8MFMAType1EEvPKT_PKT0_S8_ifPKiSA_SA_iPKfiiiPfSD_PS3_PT2_iSC_SC_,@function
_Z39paged_attention_ll4mi_QKV_mfma16_kernelIDF16_hLN4vllm18Fp8KVCacheDataTypeE1EDF16_Li16ELi128ELi256ELb1ELi10EL8MFMAType1EEvPKT_PKT0_S8_ifPKiSA_SA_iPKfiiiPfSD_PS3_PT2_iSC_SC_: ; @_Z39paged_attention_ll4mi_QKV_mfma16_kernelIDF16_hLN4vllm18Fp8KVCacheDataTypeE1EDF16_Li16ELi128ELi256ELb1ELi10EL8MFMAType1EEvPKT_PKT0_S8_ifPKiSA_SA_iPKfiiiPfSD_PS3_PT2_iSC_SC_
; %bb.0:
	s_load_dwordx2 s[12:13], s[4:5], 0x30
	s_add_u32 flat_scratch_lo, s6, s11
	s_addc_u32 flat_scratch_hi, s7, 0
	s_add_u32 s0, s0, s11
	s_addc_u32 s1, s1, 0
	s_waitcnt lgkmcnt(0)
	s_cmp_lg_u64 s[12:13], 0
	s_cselect_b64 s[14:15], -1, 0
	s_mov_b32 s6, s9
	s_mov_b64 s[16:17], 0
	s_and_b64 vcc, exec, s[14:15]
	s_mov_b32 s32, 0
	s_cbranch_vccz .LBB475_11
; %bb.1:
	s_add_i32 s18, s8, 1
	s_mov_b32 s19, 0
	s_lshl_b64 s[20:21], s[18:19], 2
	s_add_u32 s20, s12, s20
	s_mov_b32 s9, s19
	s_addc_u32 s21, s13, s21
	s_lshl_b64 s[18:19], s[8:9], 2
	s_add_u32 s18, s12, s18
	s_addc_u32 s19, s13, s19
	s_load_dword s7, s[20:21], 0x0
	s_load_dword s11, s[18:19], 0x0
	s_waitcnt lgkmcnt(0)
	s_sub_i32 s7, s7, s11
	s_cmp_eq_u32 s7, 1
	s_cselect_b64 s[18:19], -1, 0
	s_andn2_b64 vcc, exec, s[16:17]
	s_cbranch_vccnz .LBB475_3
.LBB475_2:
	s_mov_b32 s9, 0
	s_mov_b64 s[18:19], -1
.LBB475_3:
	s_andn2_b64 vcc, exec, s[18:19]
	s_cbranch_vccnz .LBB475_10
; %bb.4:
	s_load_dwordx2 s[18:19], s[4:5], 0x28
	s_lshl_b64 s[16:17], s[8:9], 2
	s_waitcnt lgkmcnt(0)
	s_add_u32 s18, s18, s16
	s_addc_u32 s19, s19, s17
	s_load_dword s7, s[18:19], 0x0
	s_lshl_b32 s6, s6, 8
	s_waitcnt lgkmcnt(0)
	s_cmp_ge_i32 s6, s7
	s_cbranch_scc1 .LBB475_10
; %bb.5:
	s_andn2_b64 vcc, exec, s[14:15]
	s_cbranch_vccnz .LBB475_7
; %bb.6:
	s_add_u32 s6, s12, s16
	s_addc_u32 s7, s13, s17
	s_load_dword s8, s[6:7], 0x0
.LBB475_7:
	s_movk_i32 s6, 0xa0
	v_cmp_gt_u32_e32 vcc, s6, v0
	s_and_saveexec_b64 s[6:7], vcc
	s_cbranch_execz .LBB475_9
; %bb.8:
	s_load_dword s11, s[4:5], 0x48
	s_load_dwordx2 s[12:13], s[4:5], 0x0
	v_lshrrev_b32_e32 v1, 4, v0
	s_mul_i32 s10, s10, 10
	v_add_lshl_u32 v2, v1, s10, 7
	s_waitcnt lgkmcnt(0)
	s_ashr_i32 s9, s11, 31
	s_mul_hi_u32 s14, s8, s11
	s_mul_i32 s9, s8, s9
	s_add_i32 s9, s14, s9
	s_mul_i32 s8, s8, s11
	s_lshl_b64 s[8:9], s[8:9], 1
	s_add_u32 s8, s12, s8
	v_ashrrev_i32_e32 v3, 31, v2
	s_addc_u32 s9, s13, s9
	v_lshlrev_b64 v[2:3], 1, v[2:3]
	v_and_b32_e32 v4, 15, v0
	v_mov_b32_e32 v5, s9
	v_add_co_u32_e32 v2, vcc, s8, v2
	v_addc_co_u32_e32 v3, vcc, v5, v3, vcc
	v_lshlrev_b32_e32 v4, 4, v4
	v_add_co_u32_e32 v2, vcc, v2, v4
	v_addc_co_u32_e32 v3, vcc, 0, v3, vcc
	global_load_dwordx4 v[2:5], v[2:3], off
	v_lshlrev_b32_e32 v6, 4, v0
	v_lshlrev_b32_e32 v0, 8, v0
	v_and_b32_e32 v6, 16, v6
	v_lshlrev_b32_e32 v1, 5, v1
	v_and_b32_e32 v0, 0xe00, v0
	v_or3_b32 v0, v0, v1, v6
	s_waitcnt vmcnt(0)
	ds_write_b128 v0, v[2:5]
.LBB475_9:
	s_or_b64 exec, exec, s[6:7]
	s_waitcnt lgkmcnt(0)
	s_add_u32 s8, s4, 0x90
	s_addc_u32 s9, s5, 0
	s_getpc_b64 s[4:5]
	s_add_u32 s4, s4, __PRETTY_FUNCTION__._Z39paged_attention_ll4mi_QKV_mfma16_kernelIDF16_hLN4vllm18Fp8KVCacheDataTypeE1EDF16_Li16ELi128ELi256ELb1ELi10EL8MFMAType1EEvPKT_PKT0_S8_ifPKiSA_SA_iPKfiiiPfSD_PS3_PT2_iSC_SC_@rel32@lo+4
	s_addc_u32 s5, s5, __PRETTY_FUNCTION__._Z39paged_attention_ll4mi_QKV_mfma16_kernelIDF16_hLN4vllm18Fp8KVCacheDataTypeE1EDF16_Li16ELi128ELi256ELb1ELi10EL8MFMAType1EEvPKT_PKT0_S8_ifPKiSA_SA_iPKfiiiPfSD_PS3_PT2_iSC_SC_@rel32@hi+12
	v_mov_b32_e32 v0, 0x288
	v_mov_b32_e32 v1, s4
	;; [unrolled: 1-line block ×3, first 2 shown]
	s_barrier
	s_getpc_b64 s[6:7]
	s_add_u32 s6, s6, __assert_fail@rel32@lo+4
	s_addc_u32 s7, s7, __assert_fail@rel32@hi+12
	s_swappc_b64 s[30:31], s[6:7]
	; divergent unreachable
.LBB475_10:
	s_endpgm
.LBB475_11:
	s_mov_b64 s[18:19], 0
	s_branch .LBB475_2
	.section	.rodata,"a",@progbits
	.p2align	6, 0x0
	.amdhsa_kernel _Z39paged_attention_ll4mi_QKV_mfma16_kernelIDF16_hLN4vllm18Fp8KVCacheDataTypeE1EDF16_Li16ELi128ELi256ELb1ELi10EL8MFMAType1EEvPKT_PKT0_S8_ifPKiSA_SA_iPKfiiiPfSD_PS3_PT2_iSC_SC_
		.amdhsa_group_segment_fixed_size 8192
		.amdhsa_private_segment_fixed_size 64
		.amdhsa_kernarg_size 400
		.amdhsa_user_sgpr_count 8
		.amdhsa_user_sgpr_private_segment_buffer 1
		.amdhsa_user_sgpr_dispatch_ptr 0
		.amdhsa_user_sgpr_queue_ptr 0
		.amdhsa_user_sgpr_kernarg_segment_ptr 1
		.amdhsa_user_sgpr_dispatch_id 0
		.amdhsa_user_sgpr_flat_scratch_init 1
		.amdhsa_user_sgpr_kernarg_preload_length 0
		.amdhsa_user_sgpr_kernarg_preload_offset 0
		.amdhsa_user_sgpr_private_segment_size 0
		.amdhsa_uses_dynamic_stack 0
		.amdhsa_system_sgpr_private_segment_wavefront_offset 1
		.amdhsa_system_sgpr_workgroup_id_x 1
		.amdhsa_system_sgpr_workgroup_id_y 1
		.amdhsa_system_sgpr_workgroup_id_z 1
		.amdhsa_system_sgpr_workgroup_info 0
		.amdhsa_system_vgpr_workitem_id 0
		.amdhsa_next_free_vgpr 45
		.amdhsa_next_free_sgpr 34
		.amdhsa_accum_offset 44
		.amdhsa_reserve_vcc 1
		.amdhsa_reserve_flat_scratch 1
		.amdhsa_float_round_mode_32 0
		.amdhsa_float_round_mode_16_64 0
		.amdhsa_float_denorm_mode_32 3
		.amdhsa_float_denorm_mode_16_64 3
		.amdhsa_dx10_clamp 1
		.amdhsa_ieee_mode 1
		.amdhsa_fp16_overflow 0
		.amdhsa_tg_split 0
		.amdhsa_exception_fp_ieee_invalid_op 0
		.amdhsa_exception_fp_denorm_src 0
		.amdhsa_exception_fp_ieee_div_zero 0
		.amdhsa_exception_fp_ieee_overflow 0
		.amdhsa_exception_fp_ieee_underflow 0
		.amdhsa_exception_fp_ieee_inexact 0
		.amdhsa_exception_int_div_zero 0
	.end_amdhsa_kernel
	.section	.text._Z39paged_attention_ll4mi_QKV_mfma16_kernelIDF16_hLN4vllm18Fp8KVCacheDataTypeE1EDF16_Li16ELi128ELi256ELb1ELi10EL8MFMAType1EEvPKT_PKT0_S8_ifPKiSA_SA_iPKfiiiPfSD_PS3_PT2_iSC_SC_,"axG",@progbits,_Z39paged_attention_ll4mi_QKV_mfma16_kernelIDF16_hLN4vllm18Fp8KVCacheDataTypeE1EDF16_Li16ELi128ELi256ELb1ELi10EL8MFMAType1EEvPKT_PKT0_S8_ifPKiSA_SA_iPKfiiiPfSD_PS3_PT2_iSC_SC_,comdat
.Lfunc_end475:
	.size	_Z39paged_attention_ll4mi_QKV_mfma16_kernelIDF16_hLN4vllm18Fp8KVCacheDataTypeE1EDF16_Li16ELi128ELi256ELb1ELi10EL8MFMAType1EEvPKT_PKT0_S8_ifPKiSA_SA_iPKfiiiPfSD_PS3_PT2_iSC_SC_, .Lfunc_end475-_Z39paged_attention_ll4mi_QKV_mfma16_kernelIDF16_hLN4vllm18Fp8KVCacheDataTypeE1EDF16_Li16ELi128ELi256ELb1ELi10EL8MFMAType1EEvPKT_PKT0_S8_ifPKiSA_SA_iPKfiiiPfSD_PS3_PT2_iSC_SC_
                                        ; -- End function
	.section	.AMDGPU.csdata,"",@progbits
; Kernel info:
; codeLenInByte = 492
; NumSgprs: 40
; NumVgprs: 42
; NumAgprs: 1
; TotalNumVgprs: 45
; ScratchSize: 64
; MemoryBound: 0
; FloatMode: 240
; IeeeMode: 1
; LDSByteSize: 8192 bytes/workgroup (compile time only)
; SGPRBlocks: 4
; VGPRBlocks: 5
; NumSGPRsForWavesPerEU: 40
; NumVGPRsForWavesPerEU: 45
; AccumOffset: 44
; Occupancy: 8
; WaveLimiterHint : 1
; COMPUTE_PGM_RSRC2:SCRATCH_EN: 1
; COMPUTE_PGM_RSRC2:USER_SGPR: 8
; COMPUTE_PGM_RSRC2:TRAP_HANDLER: 0
; COMPUTE_PGM_RSRC2:TGID_X_EN: 1
; COMPUTE_PGM_RSRC2:TGID_Y_EN: 1
; COMPUTE_PGM_RSRC2:TGID_Z_EN: 1
; COMPUTE_PGM_RSRC2:TIDIG_COMP_CNT: 0
; COMPUTE_PGM_RSRC3_GFX90A:ACCUM_OFFSET: 10
; COMPUTE_PGM_RSRC3_GFX90A:TG_SPLIT: 0
	.section	.text._Z39paged_attention_ll4mi_QKV_mfma16_kernelIDF16_hLN4vllm18Fp8KVCacheDataTypeE1EDF16_Li16ELi128ELi256ELb1ELi11EL8MFMAType1EEvPKT_PKT0_S8_ifPKiSA_SA_iPKfiiiPfSD_PS3_PT2_iSC_SC_,"axG",@progbits,_Z39paged_attention_ll4mi_QKV_mfma16_kernelIDF16_hLN4vllm18Fp8KVCacheDataTypeE1EDF16_Li16ELi128ELi256ELb1ELi11EL8MFMAType1EEvPKT_PKT0_S8_ifPKiSA_SA_iPKfiiiPfSD_PS3_PT2_iSC_SC_,comdat
	.protected	_Z39paged_attention_ll4mi_QKV_mfma16_kernelIDF16_hLN4vllm18Fp8KVCacheDataTypeE1EDF16_Li16ELi128ELi256ELb1ELi11EL8MFMAType1EEvPKT_PKT0_S8_ifPKiSA_SA_iPKfiiiPfSD_PS3_PT2_iSC_SC_ ; -- Begin function _Z39paged_attention_ll4mi_QKV_mfma16_kernelIDF16_hLN4vllm18Fp8KVCacheDataTypeE1EDF16_Li16ELi128ELi256ELb1ELi11EL8MFMAType1EEvPKT_PKT0_S8_ifPKiSA_SA_iPKfiiiPfSD_PS3_PT2_iSC_SC_
	.globl	_Z39paged_attention_ll4mi_QKV_mfma16_kernelIDF16_hLN4vllm18Fp8KVCacheDataTypeE1EDF16_Li16ELi128ELi256ELb1ELi11EL8MFMAType1EEvPKT_PKT0_S8_ifPKiSA_SA_iPKfiiiPfSD_PS3_PT2_iSC_SC_
	.p2align	8
	.type	_Z39paged_attention_ll4mi_QKV_mfma16_kernelIDF16_hLN4vllm18Fp8KVCacheDataTypeE1EDF16_Li16ELi128ELi256ELb1ELi11EL8MFMAType1EEvPKT_PKT0_S8_ifPKiSA_SA_iPKfiiiPfSD_PS3_PT2_iSC_SC_,@function
_Z39paged_attention_ll4mi_QKV_mfma16_kernelIDF16_hLN4vllm18Fp8KVCacheDataTypeE1EDF16_Li16ELi128ELi256ELb1ELi11EL8MFMAType1EEvPKT_PKT0_S8_ifPKiSA_SA_iPKfiiiPfSD_PS3_PT2_iSC_SC_: ; @_Z39paged_attention_ll4mi_QKV_mfma16_kernelIDF16_hLN4vllm18Fp8KVCacheDataTypeE1EDF16_Li16ELi128ELi256ELb1ELi11EL8MFMAType1EEvPKT_PKT0_S8_ifPKiSA_SA_iPKfiiiPfSD_PS3_PT2_iSC_SC_
; %bb.0:
	s_load_dwordx2 s[12:13], s[4:5], 0x30
	s_add_u32 flat_scratch_lo, s6, s11
	s_addc_u32 flat_scratch_hi, s7, 0
	s_add_u32 s0, s0, s11
	s_addc_u32 s1, s1, 0
	s_waitcnt lgkmcnt(0)
	s_cmp_lg_u64 s[12:13], 0
	s_cselect_b64 s[14:15], -1, 0
	s_mov_b32 s6, s9
	s_mov_b64 s[16:17], 0
	s_and_b64 vcc, exec, s[14:15]
	s_mov_b32 s32, 0
	s_cbranch_vccz .LBB476_11
; %bb.1:
	s_add_i32 s18, s8, 1
	s_mov_b32 s19, 0
	s_lshl_b64 s[20:21], s[18:19], 2
	s_add_u32 s20, s12, s20
	s_mov_b32 s9, s19
	s_addc_u32 s21, s13, s21
	s_lshl_b64 s[18:19], s[8:9], 2
	s_add_u32 s18, s12, s18
	s_addc_u32 s19, s13, s19
	s_load_dword s7, s[20:21], 0x0
	s_load_dword s11, s[18:19], 0x0
	s_waitcnt lgkmcnt(0)
	s_sub_i32 s7, s7, s11
	s_cmp_eq_u32 s7, 1
	s_cselect_b64 s[18:19], -1, 0
	s_andn2_b64 vcc, exec, s[16:17]
	s_cbranch_vccnz .LBB476_3
.LBB476_2:
	s_mov_b32 s9, 0
	s_mov_b64 s[18:19], -1
.LBB476_3:
	s_andn2_b64 vcc, exec, s[18:19]
	s_cbranch_vccnz .LBB476_10
; %bb.4:
	s_load_dwordx2 s[18:19], s[4:5], 0x28
	s_lshl_b64 s[16:17], s[8:9], 2
	s_waitcnt lgkmcnt(0)
	s_add_u32 s18, s18, s16
	s_addc_u32 s19, s19, s17
	s_load_dword s7, s[18:19], 0x0
	s_lshl_b32 s6, s6, 8
	s_waitcnt lgkmcnt(0)
	s_cmp_ge_i32 s6, s7
	s_cbranch_scc1 .LBB476_10
; %bb.5:
	s_andn2_b64 vcc, exec, s[14:15]
	s_cbranch_vccnz .LBB476_7
; %bb.6:
	s_add_u32 s6, s12, s16
	s_addc_u32 s7, s13, s17
	s_load_dword s8, s[6:7], 0x0
.LBB476_7:
	s_movk_i32 s6, 0xb0
	v_cmp_gt_u32_e32 vcc, s6, v0
	s_and_saveexec_b64 s[6:7], vcc
	s_cbranch_execz .LBB476_9
; %bb.8:
	s_load_dword s11, s[4:5], 0x48
	s_load_dwordx2 s[12:13], s[4:5], 0x0
	v_lshrrev_b32_e32 v1, 4, v0
	s_mul_i32 s10, s10, 11
	v_add_lshl_u32 v2, v1, s10, 7
	s_waitcnt lgkmcnt(0)
	s_ashr_i32 s9, s11, 31
	s_mul_hi_u32 s14, s8, s11
	s_mul_i32 s9, s8, s9
	s_add_i32 s9, s14, s9
	s_mul_i32 s8, s8, s11
	s_lshl_b64 s[8:9], s[8:9], 1
	s_add_u32 s8, s12, s8
	v_ashrrev_i32_e32 v3, 31, v2
	s_addc_u32 s9, s13, s9
	v_lshlrev_b64 v[2:3], 1, v[2:3]
	v_and_b32_e32 v4, 15, v0
	v_mov_b32_e32 v5, s9
	v_add_co_u32_e32 v2, vcc, s8, v2
	v_addc_co_u32_e32 v3, vcc, v5, v3, vcc
	v_lshlrev_b32_e32 v4, 4, v4
	v_add_co_u32_e32 v2, vcc, v2, v4
	v_addc_co_u32_e32 v3, vcc, 0, v3, vcc
	global_load_dwordx4 v[2:5], v[2:3], off
	v_lshlrev_b32_e32 v6, 4, v0
	v_lshlrev_b32_e32 v0, 8, v0
	v_and_b32_e32 v6, 16, v6
	v_lshlrev_b32_e32 v1, 5, v1
	v_and_b32_e32 v0, 0xe00, v0
	v_or3_b32 v0, v0, v1, v6
	s_waitcnt vmcnt(0)
	ds_write_b128 v0, v[2:5]
.LBB476_9:
	s_or_b64 exec, exec, s[6:7]
	s_waitcnt lgkmcnt(0)
	s_add_u32 s8, s4, 0x90
	s_addc_u32 s9, s5, 0
	s_getpc_b64 s[4:5]
	s_add_u32 s4, s4, __PRETTY_FUNCTION__._Z39paged_attention_ll4mi_QKV_mfma16_kernelIDF16_hLN4vllm18Fp8KVCacheDataTypeE1EDF16_Li16ELi128ELi256ELb1ELi11EL8MFMAType1EEvPKT_PKT0_S8_ifPKiSA_SA_iPKfiiiPfSD_PS3_PT2_iSC_SC_@rel32@lo+4
	s_addc_u32 s5, s5, __PRETTY_FUNCTION__._Z39paged_attention_ll4mi_QKV_mfma16_kernelIDF16_hLN4vllm18Fp8KVCacheDataTypeE1EDF16_Li16ELi128ELi256ELb1ELi11EL8MFMAType1EEvPKT_PKT0_S8_ifPKiSA_SA_iPKfiiiPfSD_PS3_PT2_iSC_SC_@rel32@hi+12
	v_mov_b32_e32 v0, 0x288
	v_mov_b32_e32 v1, s4
	;; [unrolled: 1-line block ×3, first 2 shown]
	s_barrier
	s_getpc_b64 s[6:7]
	s_add_u32 s6, s6, __assert_fail@rel32@lo+4
	s_addc_u32 s7, s7, __assert_fail@rel32@hi+12
	s_swappc_b64 s[30:31], s[6:7]
	; divergent unreachable
.LBB476_10:
	s_endpgm
.LBB476_11:
	s_mov_b64 s[18:19], 0
	s_branch .LBB476_2
	.section	.rodata,"a",@progbits
	.p2align	6, 0x0
	.amdhsa_kernel _Z39paged_attention_ll4mi_QKV_mfma16_kernelIDF16_hLN4vllm18Fp8KVCacheDataTypeE1EDF16_Li16ELi128ELi256ELb1ELi11EL8MFMAType1EEvPKT_PKT0_S8_ifPKiSA_SA_iPKfiiiPfSD_PS3_PT2_iSC_SC_
		.amdhsa_group_segment_fixed_size 8192
		.amdhsa_private_segment_fixed_size 64
		.amdhsa_kernarg_size 400
		.amdhsa_user_sgpr_count 8
		.amdhsa_user_sgpr_private_segment_buffer 1
		.amdhsa_user_sgpr_dispatch_ptr 0
		.amdhsa_user_sgpr_queue_ptr 0
		.amdhsa_user_sgpr_kernarg_segment_ptr 1
		.amdhsa_user_sgpr_dispatch_id 0
		.amdhsa_user_sgpr_flat_scratch_init 1
		.amdhsa_user_sgpr_kernarg_preload_length 0
		.amdhsa_user_sgpr_kernarg_preload_offset 0
		.amdhsa_user_sgpr_private_segment_size 0
		.amdhsa_uses_dynamic_stack 0
		.amdhsa_system_sgpr_private_segment_wavefront_offset 1
		.amdhsa_system_sgpr_workgroup_id_x 1
		.amdhsa_system_sgpr_workgroup_id_y 1
		.amdhsa_system_sgpr_workgroup_id_z 1
		.amdhsa_system_sgpr_workgroup_info 0
		.amdhsa_system_vgpr_workitem_id 0
		.amdhsa_next_free_vgpr 45
		.amdhsa_next_free_sgpr 34
		.amdhsa_accum_offset 44
		.amdhsa_reserve_vcc 1
		.amdhsa_reserve_flat_scratch 1
		.amdhsa_float_round_mode_32 0
		.amdhsa_float_round_mode_16_64 0
		.amdhsa_float_denorm_mode_32 3
		.amdhsa_float_denorm_mode_16_64 3
		.amdhsa_dx10_clamp 1
		.amdhsa_ieee_mode 1
		.amdhsa_fp16_overflow 0
		.amdhsa_tg_split 0
		.amdhsa_exception_fp_ieee_invalid_op 0
		.amdhsa_exception_fp_denorm_src 0
		.amdhsa_exception_fp_ieee_div_zero 0
		.amdhsa_exception_fp_ieee_overflow 0
		.amdhsa_exception_fp_ieee_underflow 0
		.amdhsa_exception_fp_ieee_inexact 0
		.amdhsa_exception_int_div_zero 0
	.end_amdhsa_kernel
	.section	.text._Z39paged_attention_ll4mi_QKV_mfma16_kernelIDF16_hLN4vllm18Fp8KVCacheDataTypeE1EDF16_Li16ELi128ELi256ELb1ELi11EL8MFMAType1EEvPKT_PKT0_S8_ifPKiSA_SA_iPKfiiiPfSD_PS3_PT2_iSC_SC_,"axG",@progbits,_Z39paged_attention_ll4mi_QKV_mfma16_kernelIDF16_hLN4vllm18Fp8KVCacheDataTypeE1EDF16_Li16ELi128ELi256ELb1ELi11EL8MFMAType1EEvPKT_PKT0_S8_ifPKiSA_SA_iPKfiiiPfSD_PS3_PT2_iSC_SC_,comdat
.Lfunc_end476:
	.size	_Z39paged_attention_ll4mi_QKV_mfma16_kernelIDF16_hLN4vllm18Fp8KVCacheDataTypeE1EDF16_Li16ELi128ELi256ELb1ELi11EL8MFMAType1EEvPKT_PKT0_S8_ifPKiSA_SA_iPKfiiiPfSD_PS3_PT2_iSC_SC_, .Lfunc_end476-_Z39paged_attention_ll4mi_QKV_mfma16_kernelIDF16_hLN4vllm18Fp8KVCacheDataTypeE1EDF16_Li16ELi128ELi256ELb1ELi11EL8MFMAType1EEvPKT_PKT0_S8_ifPKiSA_SA_iPKfiiiPfSD_PS3_PT2_iSC_SC_
                                        ; -- End function
	.section	.AMDGPU.csdata,"",@progbits
; Kernel info:
; codeLenInByte = 492
; NumSgprs: 40
; NumVgprs: 42
; NumAgprs: 1
; TotalNumVgprs: 45
; ScratchSize: 64
; MemoryBound: 0
; FloatMode: 240
; IeeeMode: 1
; LDSByteSize: 8192 bytes/workgroup (compile time only)
; SGPRBlocks: 4
; VGPRBlocks: 5
; NumSGPRsForWavesPerEU: 40
; NumVGPRsForWavesPerEU: 45
; AccumOffset: 44
; Occupancy: 8
; WaveLimiterHint : 1
; COMPUTE_PGM_RSRC2:SCRATCH_EN: 1
; COMPUTE_PGM_RSRC2:USER_SGPR: 8
; COMPUTE_PGM_RSRC2:TRAP_HANDLER: 0
; COMPUTE_PGM_RSRC2:TGID_X_EN: 1
; COMPUTE_PGM_RSRC2:TGID_Y_EN: 1
; COMPUTE_PGM_RSRC2:TGID_Z_EN: 1
; COMPUTE_PGM_RSRC2:TIDIG_COMP_CNT: 0
; COMPUTE_PGM_RSRC3_GFX90A:ACCUM_OFFSET: 10
; COMPUTE_PGM_RSRC3_GFX90A:TG_SPLIT: 0
	.section	.text._Z39paged_attention_ll4mi_QKV_mfma16_kernelIDF16_hLN4vllm18Fp8KVCacheDataTypeE1EDF16_Li16ELi128ELi256ELb1ELi12EL8MFMAType1EEvPKT_PKT0_S8_ifPKiSA_SA_iPKfiiiPfSD_PS3_PT2_iSC_SC_,"axG",@progbits,_Z39paged_attention_ll4mi_QKV_mfma16_kernelIDF16_hLN4vllm18Fp8KVCacheDataTypeE1EDF16_Li16ELi128ELi256ELb1ELi12EL8MFMAType1EEvPKT_PKT0_S8_ifPKiSA_SA_iPKfiiiPfSD_PS3_PT2_iSC_SC_,comdat
	.protected	_Z39paged_attention_ll4mi_QKV_mfma16_kernelIDF16_hLN4vllm18Fp8KVCacheDataTypeE1EDF16_Li16ELi128ELi256ELb1ELi12EL8MFMAType1EEvPKT_PKT0_S8_ifPKiSA_SA_iPKfiiiPfSD_PS3_PT2_iSC_SC_ ; -- Begin function _Z39paged_attention_ll4mi_QKV_mfma16_kernelIDF16_hLN4vllm18Fp8KVCacheDataTypeE1EDF16_Li16ELi128ELi256ELb1ELi12EL8MFMAType1EEvPKT_PKT0_S8_ifPKiSA_SA_iPKfiiiPfSD_PS3_PT2_iSC_SC_
	.globl	_Z39paged_attention_ll4mi_QKV_mfma16_kernelIDF16_hLN4vllm18Fp8KVCacheDataTypeE1EDF16_Li16ELi128ELi256ELb1ELi12EL8MFMAType1EEvPKT_PKT0_S8_ifPKiSA_SA_iPKfiiiPfSD_PS3_PT2_iSC_SC_
	.p2align	8
	.type	_Z39paged_attention_ll4mi_QKV_mfma16_kernelIDF16_hLN4vllm18Fp8KVCacheDataTypeE1EDF16_Li16ELi128ELi256ELb1ELi12EL8MFMAType1EEvPKT_PKT0_S8_ifPKiSA_SA_iPKfiiiPfSD_PS3_PT2_iSC_SC_,@function
_Z39paged_attention_ll4mi_QKV_mfma16_kernelIDF16_hLN4vllm18Fp8KVCacheDataTypeE1EDF16_Li16ELi128ELi256ELb1ELi12EL8MFMAType1EEvPKT_PKT0_S8_ifPKiSA_SA_iPKfiiiPfSD_PS3_PT2_iSC_SC_: ; @_Z39paged_attention_ll4mi_QKV_mfma16_kernelIDF16_hLN4vllm18Fp8KVCacheDataTypeE1EDF16_Li16ELi128ELi256ELb1ELi12EL8MFMAType1EEvPKT_PKT0_S8_ifPKiSA_SA_iPKfiiiPfSD_PS3_PT2_iSC_SC_
; %bb.0:
	s_load_dwordx2 s[12:13], s[4:5], 0x30
	s_add_u32 flat_scratch_lo, s6, s11
	s_addc_u32 flat_scratch_hi, s7, 0
	s_add_u32 s0, s0, s11
	s_addc_u32 s1, s1, 0
	s_waitcnt lgkmcnt(0)
	s_cmp_lg_u64 s[12:13], 0
	s_cselect_b64 s[14:15], -1, 0
	s_mov_b32 s6, s9
	s_mov_b64 s[16:17], 0
	s_and_b64 vcc, exec, s[14:15]
	s_mov_b32 s32, 0
	s_cbranch_vccz .LBB477_11
; %bb.1:
	s_add_i32 s18, s8, 1
	s_mov_b32 s19, 0
	s_lshl_b64 s[20:21], s[18:19], 2
	s_add_u32 s20, s12, s20
	s_mov_b32 s9, s19
	s_addc_u32 s21, s13, s21
	s_lshl_b64 s[18:19], s[8:9], 2
	s_add_u32 s18, s12, s18
	s_addc_u32 s19, s13, s19
	s_load_dword s7, s[20:21], 0x0
	s_load_dword s11, s[18:19], 0x0
	s_waitcnt lgkmcnt(0)
	s_sub_i32 s7, s7, s11
	s_cmp_eq_u32 s7, 1
	s_cselect_b64 s[18:19], -1, 0
	s_andn2_b64 vcc, exec, s[16:17]
	s_cbranch_vccnz .LBB477_3
.LBB477_2:
	s_mov_b32 s9, 0
	s_mov_b64 s[18:19], -1
.LBB477_3:
	s_andn2_b64 vcc, exec, s[18:19]
	s_cbranch_vccnz .LBB477_10
; %bb.4:
	s_load_dwordx2 s[18:19], s[4:5], 0x28
	s_lshl_b64 s[16:17], s[8:9], 2
	s_waitcnt lgkmcnt(0)
	s_add_u32 s18, s18, s16
	s_addc_u32 s19, s19, s17
	s_load_dword s7, s[18:19], 0x0
	s_lshl_b32 s6, s6, 8
	s_waitcnt lgkmcnt(0)
	s_cmp_ge_i32 s6, s7
	s_cbranch_scc1 .LBB477_10
; %bb.5:
	s_andn2_b64 vcc, exec, s[14:15]
	s_cbranch_vccnz .LBB477_7
; %bb.6:
	s_add_u32 s6, s12, s16
	s_addc_u32 s7, s13, s17
	s_load_dword s8, s[6:7], 0x0
.LBB477_7:
	s_movk_i32 s6, 0xc0
	v_cmp_gt_u32_e32 vcc, s6, v0
	s_and_saveexec_b64 s[6:7], vcc
	s_cbranch_execz .LBB477_9
; %bb.8:
	s_load_dword s11, s[4:5], 0x48
	s_load_dwordx2 s[12:13], s[4:5], 0x0
	v_lshrrev_b32_e32 v1, 4, v0
	s_mul_i32 s10, s10, 12
	v_add_lshl_u32 v2, v1, s10, 7
	s_waitcnt lgkmcnt(0)
	s_ashr_i32 s9, s11, 31
	s_mul_hi_u32 s14, s8, s11
	s_mul_i32 s9, s8, s9
	s_add_i32 s9, s14, s9
	s_mul_i32 s8, s8, s11
	s_lshl_b64 s[8:9], s[8:9], 1
	s_add_u32 s8, s12, s8
	v_ashrrev_i32_e32 v3, 31, v2
	s_addc_u32 s9, s13, s9
	v_lshlrev_b64 v[2:3], 1, v[2:3]
	v_and_b32_e32 v4, 15, v0
	v_mov_b32_e32 v5, s9
	v_add_co_u32_e32 v2, vcc, s8, v2
	v_addc_co_u32_e32 v3, vcc, v5, v3, vcc
	v_lshlrev_b32_e32 v4, 4, v4
	v_add_co_u32_e32 v2, vcc, v2, v4
	v_addc_co_u32_e32 v3, vcc, 0, v3, vcc
	global_load_dwordx4 v[2:5], v[2:3], off
	v_lshlrev_b32_e32 v6, 4, v0
	v_lshlrev_b32_e32 v0, 8, v0
	v_and_b32_e32 v6, 16, v6
	v_lshlrev_b32_e32 v1, 5, v1
	v_and_b32_e32 v0, 0xe00, v0
	v_or3_b32 v0, v0, v1, v6
	s_waitcnt vmcnt(0)
	ds_write_b128 v0, v[2:5]
.LBB477_9:
	s_or_b64 exec, exec, s[6:7]
	s_waitcnt lgkmcnt(0)
	s_add_u32 s8, s4, 0x90
	s_addc_u32 s9, s5, 0
	s_getpc_b64 s[4:5]
	s_add_u32 s4, s4, __PRETTY_FUNCTION__._Z39paged_attention_ll4mi_QKV_mfma16_kernelIDF16_hLN4vllm18Fp8KVCacheDataTypeE1EDF16_Li16ELi128ELi256ELb1ELi12EL8MFMAType1EEvPKT_PKT0_S8_ifPKiSA_SA_iPKfiiiPfSD_PS3_PT2_iSC_SC_@rel32@lo+4
	s_addc_u32 s5, s5, __PRETTY_FUNCTION__._Z39paged_attention_ll4mi_QKV_mfma16_kernelIDF16_hLN4vllm18Fp8KVCacheDataTypeE1EDF16_Li16ELi128ELi256ELb1ELi12EL8MFMAType1EEvPKT_PKT0_S8_ifPKiSA_SA_iPKfiiiPfSD_PS3_PT2_iSC_SC_@rel32@hi+12
	v_mov_b32_e32 v0, 0x288
	v_mov_b32_e32 v1, s4
	;; [unrolled: 1-line block ×3, first 2 shown]
	s_barrier
	s_getpc_b64 s[6:7]
	s_add_u32 s6, s6, __assert_fail@rel32@lo+4
	s_addc_u32 s7, s7, __assert_fail@rel32@hi+12
	s_swappc_b64 s[30:31], s[6:7]
	; divergent unreachable
.LBB477_10:
	s_endpgm
.LBB477_11:
	s_mov_b64 s[18:19], 0
	s_branch .LBB477_2
	.section	.rodata,"a",@progbits
	.p2align	6, 0x0
	.amdhsa_kernel _Z39paged_attention_ll4mi_QKV_mfma16_kernelIDF16_hLN4vllm18Fp8KVCacheDataTypeE1EDF16_Li16ELi128ELi256ELb1ELi12EL8MFMAType1EEvPKT_PKT0_S8_ifPKiSA_SA_iPKfiiiPfSD_PS3_PT2_iSC_SC_
		.amdhsa_group_segment_fixed_size 8192
		.amdhsa_private_segment_fixed_size 64
		.amdhsa_kernarg_size 400
		.amdhsa_user_sgpr_count 8
		.amdhsa_user_sgpr_private_segment_buffer 1
		.amdhsa_user_sgpr_dispatch_ptr 0
		.amdhsa_user_sgpr_queue_ptr 0
		.amdhsa_user_sgpr_kernarg_segment_ptr 1
		.amdhsa_user_sgpr_dispatch_id 0
		.amdhsa_user_sgpr_flat_scratch_init 1
		.amdhsa_user_sgpr_kernarg_preload_length 0
		.amdhsa_user_sgpr_kernarg_preload_offset 0
		.amdhsa_user_sgpr_private_segment_size 0
		.amdhsa_uses_dynamic_stack 0
		.amdhsa_system_sgpr_private_segment_wavefront_offset 1
		.amdhsa_system_sgpr_workgroup_id_x 1
		.amdhsa_system_sgpr_workgroup_id_y 1
		.amdhsa_system_sgpr_workgroup_id_z 1
		.amdhsa_system_sgpr_workgroup_info 0
		.amdhsa_system_vgpr_workitem_id 0
		.amdhsa_next_free_vgpr 45
		.amdhsa_next_free_sgpr 34
		.amdhsa_accum_offset 44
		.amdhsa_reserve_vcc 1
		.amdhsa_reserve_flat_scratch 1
		.amdhsa_float_round_mode_32 0
		.amdhsa_float_round_mode_16_64 0
		.amdhsa_float_denorm_mode_32 3
		.amdhsa_float_denorm_mode_16_64 3
		.amdhsa_dx10_clamp 1
		.amdhsa_ieee_mode 1
		.amdhsa_fp16_overflow 0
		.amdhsa_tg_split 0
		.amdhsa_exception_fp_ieee_invalid_op 0
		.amdhsa_exception_fp_denorm_src 0
		.amdhsa_exception_fp_ieee_div_zero 0
		.amdhsa_exception_fp_ieee_overflow 0
		.amdhsa_exception_fp_ieee_underflow 0
		.amdhsa_exception_fp_ieee_inexact 0
		.amdhsa_exception_int_div_zero 0
	.end_amdhsa_kernel
	.section	.text._Z39paged_attention_ll4mi_QKV_mfma16_kernelIDF16_hLN4vllm18Fp8KVCacheDataTypeE1EDF16_Li16ELi128ELi256ELb1ELi12EL8MFMAType1EEvPKT_PKT0_S8_ifPKiSA_SA_iPKfiiiPfSD_PS3_PT2_iSC_SC_,"axG",@progbits,_Z39paged_attention_ll4mi_QKV_mfma16_kernelIDF16_hLN4vllm18Fp8KVCacheDataTypeE1EDF16_Li16ELi128ELi256ELb1ELi12EL8MFMAType1EEvPKT_PKT0_S8_ifPKiSA_SA_iPKfiiiPfSD_PS3_PT2_iSC_SC_,comdat
.Lfunc_end477:
	.size	_Z39paged_attention_ll4mi_QKV_mfma16_kernelIDF16_hLN4vllm18Fp8KVCacheDataTypeE1EDF16_Li16ELi128ELi256ELb1ELi12EL8MFMAType1EEvPKT_PKT0_S8_ifPKiSA_SA_iPKfiiiPfSD_PS3_PT2_iSC_SC_, .Lfunc_end477-_Z39paged_attention_ll4mi_QKV_mfma16_kernelIDF16_hLN4vllm18Fp8KVCacheDataTypeE1EDF16_Li16ELi128ELi256ELb1ELi12EL8MFMAType1EEvPKT_PKT0_S8_ifPKiSA_SA_iPKfiiiPfSD_PS3_PT2_iSC_SC_
                                        ; -- End function
	.section	.AMDGPU.csdata,"",@progbits
; Kernel info:
; codeLenInByte = 492
; NumSgprs: 40
; NumVgprs: 42
; NumAgprs: 1
; TotalNumVgprs: 45
; ScratchSize: 64
; MemoryBound: 0
; FloatMode: 240
; IeeeMode: 1
; LDSByteSize: 8192 bytes/workgroup (compile time only)
; SGPRBlocks: 4
; VGPRBlocks: 5
; NumSGPRsForWavesPerEU: 40
; NumVGPRsForWavesPerEU: 45
; AccumOffset: 44
; Occupancy: 8
; WaveLimiterHint : 1
; COMPUTE_PGM_RSRC2:SCRATCH_EN: 1
; COMPUTE_PGM_RSRC2:USER_SGPR: 8
; COMPUTE_PGM_RSRC2:TRAP_HANDLER: 0
; COMPUTE_PGM_RSRC2:TGID_X_EN: 1
; COMPUTE_PGM_RSRC2:TGID_Y_EN: 1
; COMPUTE_PGM_RSRC2:TGID_Z_EN: 1
; COMPUTE_PGM_RSRC2:TIDIG_COMP_CNT: 0
; COMPUTE_PGM_RSRC3_GFX90A:ACCUM_OFFSET: 10
; COMPUTE_PGM_RSRC3_GFX90A:TG_SPLIT: 0
	.section	.text._Z39paged_attention_ll4mi_QKV_mfma16_kernelIDF16_hLN4vllm18Fp8KVCacheDataTypeE1EDF16_Li16ELi128ELi256ELb1ELi13EL8MFMAType1EEvPKT_PKT0_S8_ifPKiSA_SA_iPKfiiiPfSD_PS3_PT2_iSC_SC_,"axG",@progbits,_Z39paged_attention_ll4mi_QKV_mfma16_kernelIDF16_hLN4vllm18Fp8KVCacheDataTypeE1EDF16_Li16ELi128ELi256ELb1ELi13EL8MFMAType1EEvPKT_PKT0_S8_ifPKiSA_SA_iPKfiiiPfSD_PS3_PT2_iSC_SC_,comdat
	.protected	_Z39paged_attention_ll4mi_QKV_mfma16_kernelIDF16_hLN4vllm18Fp8KVCacheDataTypeE1EDF16_Li16ELi128ELi256ELb1ELi13EL8MFMAType1EEvPKT_PKT0_S8_ifPKiSA_SA_iPKfiiiPfSD_PS3_PT2_iSC_SC_ ; -- Begin function _Z39paged_attention_ll4mi_QKV_mfma16_kernelIDF16_hLN4vllm18Fp8KVCacheDataTypeE1EDF16_Li16ELi128ELi256ELb1ELi13EL8MFMAType1EEvPKT_PKT0_S8_ifPKiSA_SA_iPKfiiiPfSD_PS3_PT2_iSC_SC_
	.globl	_Z39paged_attention_ll4mi_QKV_mfma16_kernelIDF16_hLN4vllm18Fp8KVCacheDataTypeE1EDF16_Li16ELi128ELi256ELb1ELi13EL8MFMAType1EEvPKT_PKT0_S8_ifPKiSA_SA_iPKfiiiPfSD_PS3_PT2_iSC_SC_
	.p2align	8
	.type	_Z39paged_attention_ll4mi_QKV_mfma16_kernelIDF16_hLN4vllm18Fp8KVCacheDataTypeE1EDF16_Li16ELi128ELi256ELb1ELi13EL8MFMAType1EEvPKT_PKT0_S8_ifPKiSA_SA_iPKfiiiPfSD_PS3_PT2_iSC_SC_,@function
_Z39paged_attention_ll4mi_QKV_mfma16_kernelIDF16_hLN4vllm18Fp8KVCacheDataTypeE1EDF16_Li16ELi128ELi256ELb1ELi13EL8MFMAType1EEvPKT_PKT0_S8_ifPKiSA_SA_iPKfiiiPfSD_PS3_PT2_iSC_SC_: ; @_Z39paged_attention_ll4mi_QKV_mfma16_kernelIDF16_hLN4vllm18Fp8KVCacheDataTypeE1EDF16_Li16ELi128ELi256ELb1ELi13EL8MFMAType1EEvPKT_PKT0_S8_ifPKiSA_SA_iPKfiiiPfSD_PS3_PT2_iSC_SC_
; %bb.0:
	s_load_dwordx2 s[12:13], s[4:5], 0x30
	s_add_u32 flat_scratch_lo, s6, s11
	s_addc_u32 flat_scratch_hi, s7, 0
	s_add_u32 s0, s0, s11
	s_addc_u32 s1, s1, 0
	s_waitcnt lgkmcnt(0)
	s_cmp_lg_u64 s[12:13], 0
	s_cselect_b64 s[14:15], -1, 0
	s_mov_b32 s6, s9
	s_mov_b64 s[16:17], 0
	s_and_b64 vcc, exec, s[14:15]
	s_mov_b32 s32, 0
	s_cbranch_vccz .LBB478_11
; %bb.1:
	s_add_i32 s18, s8, 1
	s_mov_b32 s19, 0
	s_lshl_b64 s[20:21], s[18:19], 2
	s_add_u32 s20, s12, s20
	s_mov_b32 s9, s19
	s_addc_u32 s21, s13, s21
	s_lshl_b64 s[18:19], s[8:9], 2
	s_add_u32 s18, s12, s18
	s_addc_u32 s19, s13, s19
	s_load_dword s7, s[20:21], 0x0
	s_load_dword s11, s[18:19], 0x0
	s_waitcnt lgkmcnt(0)
	s_sub_i32 s7, s7, s11
	s_cmp_eq_u32 s7, 1
	s_cselect_b64 s[18:19], -1, 0
	s_andn2_b64 vcc, exec, s[16:17]
	s_cbranch_vccnz .LBB478_3
.LBB478_2:
	s_mov_b32 s9, 0
	s_mov_b64 s[18:19], -1
.LBB478_3:
	s_andn2_b64 vcc, exec, s[18:19]
	s_cbranch_vccnz .LBB478_10
; %bb.4:
	s_load_dwordx2 s[18:19], s[4:5], 0x28
	s_lshl_b64 s[16:17], s[8:9], 2
	s_waitcnt lgkmcnt(0)
	s_add_u32 s18, s18, s16
	s_addc_u32 s19, s19, s17
	s_load_dword s7, s[18:19], 0x0
	s_lshl_b32 s6, s6, 8
	s_waitcnt lgkmcnt(0)
	s_cmp_ge_i32 s6, s7
	s_cbranch_scc1 .LBB478_10
; %bb.5:
	s_andn2_b64 vcc, exec, s[14:15]
	s_cbranch_vccnz .LBB478_7
; %bb.6:
	s_add_u32 s6, s12, s16
	s_addc_u32 s7, s13, s17
	s_load_dword s8, s[6:7], 0x0
.LBB478_7:
	s_movk_i32 s6, 0xd0
	v_cmp_gt_u32_e32 vcc, s6, v0
	s_and_saveexec_b64 s[6:7], vcc
	s_cbranch_execz .LBB478_9
; %bb.8:
	s_load_dword s11, s[4:5], 0x48
	s_load_dwordx2 s[12:13], s[4:5], 0x0
	v_lshrrev_b32_e32 v1, 4, v0
	s_mul_i32 s10, s10, 13
	v_add_lshl_u32 v2, v1, s10, 7
	s_waitcnt lgkmcnt(0)
	s_ashr_i32 s9, s11, 31
	s_mul_hi_u32 s14, s8, s11
	s_mul_i32 s9, s8, s9
	s_add_i32 s9, s14, s9
	s_mul_i32 s8, s8, s11
	s_lshl_b64 s[8:9], s[8:9], 1
	s_add_u32 s8, s12, s8
	v_ashrrev_i32_e32 v3, 31, v2
	s_addc_u32 s9, s13, s9
	v_lshlrev_b64 v[2:3], 1, v[2:3]
	v_and_b32_e32 v4, 15, v0
	v_mov_b32_e32 v5, s9
	v_add_co_u32_e32 v2, vcc, s8, v2
	v_addc_co_u32_e32 v3, vcc, v5, v3, vcc
	v_lshlrev_b32_e32 v4, 4, v4
	v_add_co_u32_e32 v2, vcc, v2, v4
	v_addc_co_u32_e32 v3, vcc, 0, v3, vcc
	global_load_dwordx4 v[2:5], v[2:3], off
	v_lshlrev_b32_e32 v6, 4, v0
	v_lshlrev_b32_e32 v0, 8, v0
	v_and_b32_e32 v6, 16, v6
	v_lshlrev_b32_e32 v1, 5, v1
	v_and_b32_e32 v0, 0xe00, v0
	v_or3_b32 v0, v0, v1, v6
	s_waitcnt vmcnt(0)
	ds_write_b128 v0, v[2:5]
.LBB478_9:
	s_or_b64 exec, exec, s[6:7]
	s_waitcnt lgkmcnt(0)
	s_add_u32 s8, s4, 0x90
	s_addc_u32 s9, s5, 0
	s_getpc_b64 s[4:5]
	s_add_u32 s4, s4, __PRETTY_FUNCTION__._Z39paged_attention_ll4mi_QKV_mfma16_kernelIDF16_hLN4vllm18Fp8KVCacheDataTypeE1EDF16_Li16ELi128ELi256ELb1ELi13EL8MFMAType1EEvPKT_PKT0_S8_ifPKiSA_SA_iPKfiiiPfSD_PS3_PT2_iSC_SC_@rel32@lo+4
	s_addc_u32 s5, s5, __PRETTY_FUNCTION__._Z39paged_attention_ll4mi_QKV_mfma16_kernelIDF16_hLN4vllm18Fp8KVCacheDataTypeE1EDF16_Li16ELi128ELi256ELb1ELi13EL8MFMAType1EEvPKT_PKT0_S8_ifPKiSA_SA_iPKfiiiPfSD_PS3_PT2_iSC_SC_@rel32@hi+12
	v_mov_b32_e32 v0, 0x288
	v_mov_b32_e32 v1, s4
	;; [unrolled: 1-line block ×3, first 2 shown]
	s_barrier
	s_getpc_b64 s[6:7]
	s_add_u32 s6, s6, __assert_fail@rel32@lo+4
	s_addc_u32 s7, s7, __assert_fail@rel32@hi+12
	s_swappc_b64 s[30:31], s[6:7]
	; divergent unreachable
.LBB478_10:
	s_endpgm
.LBB478_11:
	s_mov_b64 s[18:19], 0
	s_branch .LBB478_2
	.section	.rodata,"a",@progbits
	.p2align	6, 0x0
	.amdhsa_kernel _Z39paged_attention_ll4mi_QKV_mfma16_kernelIDF16_hLN4vllm18Fp8KVCacheDataTypeE1EDF16_Li16ELi128ELi256ELb1ELi13EL8MFMAType1EEvPKT_PKT0_S8_ifPKiSA_SA_iPKfiiiPfSD_PS3_PT2_iSC_SC_
		.amdhsa_group_segment_fixed_size 8192
		.amdhsa_private_segment_fixed_size 64
		.amdhsa_kernarg_size 400
		.amdhsa_user_sgpr_count 8
		.amdhsa_user_sgpr_private_segment_buffer 1
		.amdhsa_user_sgpr_dispatch_ptr 0
		.amdhsa_user_sgpr_queue_ptr 0
		.amdhsa_user_sgpr_kernarg_segment_ptr 1
		.amdhsa_user_sgpr_dispatch_id 0
		.amdhsa_user_sgpr_flat_scratch_init 1
		.amdhsa_user_sgpr_kernarg_preload_length 0
		.amdhsa_user_sgpr_kernarg_preload_offset 0
		.amdhsa_user_sgpr_private_segment_size 0
		.amdhsa_uses_dynamic_stack 0
		.amdhsa_system_sgpr_private_segment_wavefront_offset 1
		.amdhsa_system_sgpr_workgroup_id_x 1
		.amdhsa_system_sgpr_workgroup_id_y 1
		.amdhsa_system_sgpr_workgroup_id_z 1
		.amdhsa_system_sgpr_workgroup_info 0
		.amdhsa_system_vgpr_workitem_id 0
		.amdhsa_next_free_vgpr 45
		.amdhsa_next_free_sgpr 34
		.amdhsa_accum_offset 44
		.amdhsa_reserve_vcc 1
		.amdhsa_reserve_flat_scratch 1
		.amdhsa_float_round_mode_32 0
		.amdhsa_float_round_mode_16_64 0
		.amdhsa_float_denorm_mode_32 3
		.amdhsa_float_denorm_mode_16_64 3
		.amdhsa_dx10_clamp 1
		.amdhsa_ieee_mode 1
		.amdhsa_fp16_overflow 0
		.amdhsa_tg_split 0
		.amdhsa_exception_fp_ieee_invalid_op 0
		.amdhsa_exception_fp_denorm_src 0
		.amdhsa_exception_fp_ieee_div_zero 0
		.amdhsa_exception_fp_ieee_overflow 0
		.amdhsa_exception_fp_ieee_underflow 0
		.amdhsa_exception_fp_ieee_inexact 0
		.amdhsa_exception_int_div_zero 0
	.end_amdhsa_kernel
	.section	.text._Z39paged_attention_ll4mi_QKV_mfma16_kernelIDF16_hLN4vllm18Fp8KVCacheDataTypeE1EDF16_Li16ELi128ELi256ELb1ELi13EL8MFMAType1EEvPKT_PKT0_S8_ifPKiSA_SA_iPKfiiiPfSD_PS3_PT2_iSC_SC_,"axG",@progbits,_Z39paged_attention_ll4mi_QKV_mfma16_kernelIDF16_hLN4vllm18Fp8KVCacheDataTypeE1EDF16_Li16ELi128ELi256ELb1ELi13EL8MFMAType1EEvPKT_PKT0_S8_ifPKiSA_SA_iPKfiiiPfSD_PS3_PT2_iSC_SC_,comdat
.Lfunc_end478:
	.size	_Z39paged_attention_ll4mi_QKV_mfma16_kernelIDF16_hLN4vllm18Fp8KVCacheDataTypeE1EDF16_Li16ELi128ELi256ELb1ELi13EL8MFMAType1EEvPKT_PKT0_S8_ifPKiSA_SA_iPKfiiiPfSD_PS3_PT2_iSC_SC_, .Lfunc_end478-_Z39paged_attention_ll4mi_QKV_mfma16_kernelIDF16_hLN4vllm18Fp8KVCacheDataTypeE1EDF16_Li16ELi128ELi256ELb1ELi13EL8MFMAType1EEvPKT_PKT0_S8_ifPKiSA_SA_iPKfiiiPfSD_PS3_PT2_iSC_SC_
                                        ; -- End function
	.section	.AMDGPU.csdata,"",@progbits
; Kernel info:
; codeLenInByte = 492
; NumSgprs: 40
; NumVgprs: 42
; NumAgprs: 1
; TotalNumVgprs: 45
; ScratchSize: 64
; MemoryBound: 0
; FloatMode: 240
; IeeeMode: 1
; LDSByteSize: 8192 bytes/workgroup (compile time only)
; SGPRBlocks: 4
; VGPRBlocks: 5
; NumSGPRsForWavesPerEU: 40
; NumVGPRsForWavesPerEU: 45
; AccumOffset: 44
; Occupancy: 8
; WaveLimiterHint : 1
; COMPUTE_PGM_RSRC2:SCRATCH_EN: 1
; COMPUTE_PGM_RSRC2:USER_SGPR: 8
; COMPUTE_PGM_RSRC2:TRAP_HANDLER: 0
; COMPUTE_PGM_RSRC2:TGID_X_EN: 1
; COMPUTE_PGM_RSRC2:TGID_Y_EN: 1
; COMPUTE_PGM_RSRC2:TGID_Z_EN: 1
; COMPUTE_PGM_RSRC2:TIDIG_COMP_CNT: 0
; COMPUTE_PGM_RSRC3_GFX90A:ACCUM_OFFSET: 10
; COMPUTE_PGM_RSRC3_GFX90A:TG_SPLIT: 0
	.section	.text._Z39paged_attention_ll4mi_QKV_mfma16_kernelIDF16_hLN4vllm18Fp8KVCacheDataTypeE1EDF16_Li16ELi128ELi256ELb1ELi14EL8MFMAType1EEvPKT_PKT0_S8_ifPKiSA_SA_iPKfiiiPfSD_PS3_PT2_iSC_SC_,"axG",@progbits,_Z39paged_attention_ll4mi_QKV_mfma16_kernelIDF16_hLN4vllm18Fp8KVCacheDataTypeE1EDF16_Li16ELi128ELi256ELb1ELi14EL8MFMAType1EEvPKT_PKT0_S8_ifPKiSA_SA_iPKfiiiPfSD_PS3_PT2_iSC_SC_,comdat
	.protected	_Z39paged_attention_ll4mi_QKV_mfma16_kernelIDF16_hLN4vllm18Fp8KVCacheDataTypeE1EDF16_Li16ELi128ELi256ELb1ELi14EL8MFMAType1EEvPKT_PKT0_S8_ifPKiSA_SA_iPKfiiiPfSD_PS3_PT2_iSC_SC_ ; -- Begin function _Z39paged_attention_ll4mi_QKV_mfma16_kernelIDF16_hLN4vllm18Fp8KVCacheDataTypeE1EDF16_Li16ELi128ELi256ELb1ELi14EL8MFMAType1EEvPKT_PKT0_S8_ifPKiSA_SA_iPKfiiiPfSD_PS3_PT2_iSC_SC_
	.globl	_Z39paged_attention_ll4mi_QKV_mfma16_kernelIDF16_hLN4vllm18Fp8KVCacheDataTypeE1EDF16_Li16ELi128ELi256ELb1ELi14EL8MFMAType1EEvPKT_PKT0_S8_ifPKiSA_SA_iPKfiiiPfSD_PS3_PT2_iSC_SC_
	.p2align	8
	.type	_Z39paged_attention_ll4mi_QKV_mfma16_kernelIDF16_hLN4vllm18Fp8KVCacheDataTypeE1EDF16_Li16ELi128ELi256ELb1ELi14EL8MFMAType1EEvPKT_PKT0_S8_ifPKiSA_SA_iPKfiiiPfSD_PS3_PT2_iSC_SC_,@function
_Z39paged_attention_ll4mi_QKV_mfma16_kernelIDF16_hLN4vllm18Fp8KVCacheDataTypeE1EDF16_Li16ELi128ELi256ELb1ELi14EL8MFMAType1EEvPKT_PKT0_S8_ifPKiSA_SA_iPKfiiiPfSD_PS3_PT2_iSC_SC_: ; @_Z39paged_attention_ll4mi_QKV_mfma16_kernelIDF16_hLN4vllm18Fp8KVCacheDataTypeE1EDF16_Li16ELi128ELi256ELb1ELi14EL8MFMAType1EEvPKT_PKT0_S8_ifPKiSA_SA_iPKfiiiPfSD_PS3_PT2_iSC_SC_
; %bb.0:
	s_load_dwordx2 s[12:13], s[4:5], 0x30
	s_add_u32 flat_scratch_lo, s6, s11
	s_addc_u32 flat_scratch_hi, s7, 0
	s_add_u32 s0, s0, s11
	s_addc_u32 s1, s1, 0
	s_waitcnt lgkmcnt(0)
	s_cmp_lg_u64 s[12:13], 0
	s_cselect_b64 s[14:15], -1, 0
	s_mov_b32 s6, s9
	s_mov_b64 s[16:17], 0
	s_and_b64 vcc, exec, s[14:15]
	s_mov_b32 s32, 0
	s_cbranch_vccz .LBB479_11
; %bb.1:
	s_add_i32 s18, s8, 1
	s_mov_b32 s19, 0
	s_lshl_b64 s[20:21], s[18:19], 2
	s_add_u32 s20, s12, s20
	s_mov_b32 s9, s19
	s_addc_u32 s21, s13, s21
	s_lshl_b64 s[18:19], s[8:9], 2
	s_add_u32 s18, s12, s18
	s_addc_u32 s19, s13, s19
	s_load_dword s7, s[20:21], 0x0
	s_load_dword s11, s[18:19], 0x0
	s_waitcnt lgkmcnt(0)
	s_sub_i32 s7, s7, s11
	s_cmp_eq_u32 s7, 1
	s_cselect_b64 s[18:19], -1, 0
	s_andn2_b64 vcc, exec, s[16:17]
	s_cbranch_vccnz .LBB479_3
.LBB479_2:
	s_mov_b32 s9, 0
	s_mov_b64 s[18:19], -1
.LBB479_3:
	s_andn2_b64 vcc, exec, s[18:19]
	s_cbranch_vccnz .LBB479_10
; %bb.4:
	s_load_dwordx2 s[18:19], s[4:5], 0x28
	s_lshl_b64 s[16:17], s[8:9], 2
	s_waitcnt lgkmcnt(0)
	s_add_u32 s18, s18, s16
	s_addc_u32 s19, s19, s17
	s_load_dword s7, s[18:19], 0x0
	s_lshl_b32 s6, s6, 8
	s_waitcnt lgkmcnt(0)
	s_cmp_ge_i32 s6, s7
	s_cbranch_scc1 .LBB479_10
; %bb.5:
	s_andn2_b64 vcc, exec, s[14:15]
	s_cbranch_vccnz .LBB479_7
; %bb.6:
	s_add_u32 s6, s12, s16
	s_addc_u32 s7, s13, s17
	s_load_dword s8, s[6:7], 0x0
.LBB479_7:
	s_movk_i32 s6, 0xe0
	v_cmp_gt_u32_e32 vcc, s6, v0
	s_and_saveexec_b64 s[6:7], vcc
	s_cbranch_execz .LBB479_9
; %bb.8:
	s_load_dword s11, s[4:5], 0x48
	s_load_dwordx2 s[12:13], s[4:5], 0x0
	v_lshrrev_b32_e32 v1, 4, v0
	s_mul_i32 s10, s10, 14
	v_add_lshl_u32 v2, v1, s10, 7
	s_waitcnt lgkmcnt(0)
	s_ashr_i32 s9, s11, 31
	s_mul_hi_u32 s14, s8, s11
	s_mul_i32 s9, s8, s9
	s_add_i32 s9, s14, s9
	s_mul_i32 s8, s8, s11
	s_lshl_b64 s[8:9], s[8:9], 1
	s_add_u32 s8, s12, s8
	v_ashrrev_i32_e32 v3, 31, v2
	s_addc_u32 s9, s13, s9
	v_lshlrev_b64 v[2:3], 1, v[2:3]
	v_and_b32_e32 v4, 15, v0
	v_mov_b32_e32 v5, s9
	v_add_co_u32_e32 v2, vcc, s8, v2
	v_addc_co_u32_e32 v3, vcc, v5, v3, vcc
	v_lshlrev_b32_e32 v4, 4, v4
	v_add_co_u32_e32 v2, vcc, v2, v4
	v_addc_co_u32_e32 v3, vcc, 0, v3, vcc
	global_load_dwordx4 v[2:5], v[2:3], off
	v_lshlrev_b32_e32 v6, 4, v0
	v_lshlrev_b32_e32 v0, 8, v0
	v_and_b32_e32 v6, 16, v6
	v_lshlrev_b32_e32 v1, 5, v1
	v_and_b32_e32 v0, 0xe00, v0
	v_or3_b32 v0, v0, v1, v6
	s_waitcnt vmcnt(0)
	ds_write_b128 v0, v[2:5]
.LBB479_9:
	s_or_b64 exec, exec, s[6:7]
	s_waitcnt lgkmcnt(0)
	s_add_u32 s8, s4, 0x90
	s_addc_u32 s9, s5, 0
	s_getpc_b64 s[4:5]
	s_add_u32 s4, s4, __PRETTY_FUNCTION__._Z39paged_attention_ll4mi_QKV_mfma16_kernelIDF16_hLN4vllm18Fp8KVCacheDataTypeE1EDF16_Li16ELi128ELi256ELb1ELi14EL8MFMAType1EEvPKT_PKT0_S8_ifPKiSA_SA_iPKfiiiPfSD_PS3_PT2_iSC_SC_@rel32@lo+4
	s_addc_u32 s5, s5, __PRETTY_FUNCTION__._Z39paged_attention_ll4mi_QKV_mfma16_kernelIDF16_hLN4vllm18Fp8KVCacheDataTypeE1EDF16_Li16ELi128ELi256ELb1ELi14EL8MFMAType1EEvPKT_PKT0_S8_ifPKiSA_SA_iPKfiiiPfSD_PS3_PT2_iSC_SC_@rel32@hi+12
	v_mov_b32_e32 v0, 0x288
	v_mov_b32_e32 v1, s4
	;; [unrolled: 1-line block ×3, first 2 shown]
	s_barrier
	s_getpc_b64 s[6:7]
	s_add_u32 s6, s6, __assert_fail@rel32@lo+4
	s_addc_u32 s7, s7, __assert_fail@rel32@hi+12
	s_swappc_b64 s[30:31], s[6:7]
	; divergent unreachable
.LBB479_10:
	s_endpgm
.LBB479_11:
	s_mov_b64 s[18:19], 0
	s_branch .LBB479_2
	.section	.rodata,"a",@progbits
	.p2align	6, 0x0
	.amdhsa_kernel _Z39paged_attention_ll4mi_QKV_mfma16_kernelIDF16_hLN4vllm18Fp8KVCacheDataTypeE1EDF16_Li16ELi128ELi256ELb1ELi14EL8MFMAType1EEvPKT_PKT0_S8_ifPKiSA_SA_iPKfiiiPfSD_PS3_PT2_iSC_SC_
		.amdhsa_group_segment_fixed_size 8192
		.amdhsa_private_segment_fixed_size 64
		.amdhsa_kernarg_size 400
		.amdhsa_user_sgpr_count 8
		.amdhsa_user_sgpr_private_segment_buffer 1
		.amdhsa_user_sgpr_dispatch_ptr 0
		.amdhsa_user_sgpr_queue_ptr 0
		.amdhsa_user_sgpr_kernarg_segment_ptr 1
		.amdhsa_user_sgpr_dispatch_id 0
		.amdhsa_user_sgpr_flat_scratch_init 1
		.amdhsa_user_sgpr_kernarg_preload_length 0
		.amdhsa_user_sgpr_kernarg_preload_offset 0
		.amdhsa_user_sgpr_private_segment_size 0
		.amdhsa_uses_dynamic_stack 0
		.amdhsa_system_sgpr_private_segment_wavefront_offset 1
		.amdhsa_system_sgpr_workgroup_id_x 1
		.amdhsa_system_sgpr_workgroup_id_y 1
		.amdhsa_system_sgpr_workgroup_id_z 1
		.amdhsa_system_sgpr_workgroup_info 0
		.amdhsa_system_vgpr_workitem_id 0
		.amdhsa_next_free_vgpr 45
		.amdhsa_next_free_sgpr 34
		.amdhsa_accum_offset 44
		.amdhsa_reserve_vcc 1
		.amdhsa_reserve_flat_scratch 1
		.amdhsa_float_round_mode_32 0
		.amdhsa_float_round_mode_16_64 0
		.amdhsa_float_denorm_mode_32 3
		.amdhsa_float_denorm_mode_16_64 3
		.amdhsa_dx10_clamp 1
		.amdhsa_ieee_mode 1
		.amdhsa_fp16_overflow 0
		.amdhsa_tg_split 0
		.amdhsa_exception_fp_ieee_invalid_op 0
		.amdhsa_exception_fp_denorm_src 0
		.amdhsa_exception_fp_ieee_div_zero 0
		.amdhsa_exception_fp_ieee_overflow 0
		.amdhsa_exception_fp_ieee_underflow 0
		.amdhsa_exception_fp_ieee_inexact 0
		.amdhsa_exception_int_div_zero 0
	.end_amdhsa_kernel
	.section	.text._Z39paged_attention_ll4mi_QKV_mfma16_kernelIDF16_hLN4vllm18Fp8KVCacheDataTypeE1EDF16_Li16ELi128ELi256ELb1ELi14EL8MFMAType1EEvPKT_PKT0_S8_ifPKiSA_SA_iPKfiiiPfSD_PS3_PT2_iSC_SC_,"axG",@progbits,_Z39paged_attention_ll4mi_QKV_mfma16_kernelIDF16_hLN4vllm18Fp8KVCacheDataTypeE1EDF16_Li16ELi128ELi256ELb1ELi14EL8MFMAType1EEvPKT_PKT0_S8_ifPKiSA_SA_iPKfiiiPfSD_PS3_PT2_iSC_SC_,comdat
.Lfunc_end479:
	.size	_Z39paged_attention_ll4mi_QKV_mfma16_kernelIDF16_hLN4vllm18Fp8KVCacheDataTypeE1EDF16_Li16ELi128ELi256ELb1ELi14EL8MFMAType1EEvPKT_PKT0_S8_ifPKiSA_SA_iPKfiiiPfSD_PS3_PT2_iSC_SC_, .Lfunc_end479-_Z39paged_attention_ll4mi_QKV_mfma16_kernelIDF16_hLN4vllm18Fp8KVCacheDataTypeE1EDF16_Li16ELi128ELi256ELb1ELi14EL8MFMAType1EEvPKT_PKT0_S8_ifPKiSA_SA_iPKfiiiPfSD_PS3_PT2_iSC_SC_
                                        ; -- End function
	.section	.AMDGPU.csdata,"",@progbits
; Kernel info:
; codeLenInByte = 492
; NumSgprs: 40
; NumVgprs: 42
; NumAgprs: 1
; TotalNumVgprs: 45
; ScratchSize: 64
; MemoryBound: 0
; FloatMode: 240
; IeeeMode: 1
; LDSByteSize: 8192 bytes/workgroup (compile time only)
; SGPRBlocks: 4
; VGPRBlocks: 5
; NumSGPRsForWavesPerEU: 40
; NumVGPRsForWavesPerEU: 45
; AccumOffset: 44
; Occupancy: 8
; WaveLimiterHint : 1
; COMPUTE_PGM_RSRC2:SCRATCH_EN: 1
; COMPUTE_PGM_RSRC2:USER_SGPR: 8
; COMPUTE_PGM_RSRC2:TRAP_HANDLER: 0
; COMPUTE_PGM_RSRC2:TGID_X_EN: 1
; COMPUTE_PGM_RSRC2:TGID_Y_EN: 1
; COMPUTE_PGM_RSRC2:TGID_Z_EN: 1
; COMPUTE_PGM_RSRC2:TIDIG_COMP_CNT: 0
; COMPUTE_PGM_RSRC3_GFX90A:ACCUM_OFFSET: 10
; COMPUTE_PGM_RSRC3_GFX90A:TG_SPLIT: 0
	.section	.text._Z39paged_attention_ll4mi_QKV_mfma16_kernelIDF16_hLN4vllm18Fp8KVCacheDataTypeE1EDF16_Li16ELi128ELi256ELb1ELi15EL8MFMAType1EEvPKT_PKT0_S8_ifPKiSA_SA_iPKfiiiPfSD_PS3_PT2_iSC_SC_,"axG",@progbits,_Z39paged_attention_ll4mi_QKV_mfma16_kernelIDF16_hLN4vllm18Fp8KVCacheDataTypeE1EDF16_Li16ELi128ELi256ELb1ELi15EL8MFMAType1EEvPKT_PKT0_S8_ifPKiSA_SA_iPKfiiiPfSD_PS3_PT2_iSC_SC_,comdat
	.protected	_Z39paged_attention_ll4mi_QKV_mfma16_kernelIDF16_hLN4vllm18Fp8KVCacheDataTypeE1EDF16_Li16ELi128ELi256ELb1ELi15EL8MFMAType1EEvPKT_PKT0_S8_ifPKiSA_SA_iPKfiiiPfSD_PS3_PT2_iSC_SC_ ; -- Begin function _Z39paged_attention_ll4mi_QKV_mfma16_kernelIDF16_hLN4vllm18Fp8KVCacheDataTypeE1EDF16_Li16ELi128ELi256ELb1ELi15EL8MFMAType1EEvPKT_PKT0_S8_ifPKiSA_SA_iPKfiiiPfSD_PS3_PT2_iSC_SC_
	.globl	_Z39paged_attention_ll4mi_QKV_mfma16_kernelIDF16_hLN4vllm18Fp8KVCacheDataTypeE1EDF16_Li16ELi128ELi256ELb1ELi15EL8MFMAType1EEvPKT_PKT0_S8_ifPKiSA_SA_iPKfiiiPfSD_PS3_PT2_iSC_SC_
	.p2align	8
	.type	_Z39paged_attention_ll4mi_QKV_mfma16_kernelIDF16_hLN4vllm18Fp8KVCacheDataTypeE1EDF16_Li16ELi128ELi256ELb1ELi15EL8MFMAType1EEvPKT_PKT0_S8_ifPKiSA_SA_iPKfiiiPfSD_PS3_PT2_iSC_SC_,@function
_Z39paged_attention_ll4mi_QKV_mfma16_kernelIDF16_hLN4vllm18Fp8KVCacheDataTypeE1EDF16_Li16ELi128ELi256ELb1ELi15EL8MFMAType1EEvPKT_PKT0_S8_ifPKiSA_SA_iPKfiiiPfSD_PS3_PT2_iSC_SC_: ; @_Z39paged_attention_ll4mi_QKV_mfma16_kernelIDF16_hLN4vllm18Fp8KVCacheDataTypeE1EDF16_Li16ELi128ELi256ELb1ELi15EL8MFMAType1EEvPKT_PKT0_S8_ifPKiSA_SA_iPKfiiiPfSD_PS3_PT2_iSC_SC_
; %bb.0:
	s_load_dwordx2 s[12:13], s[4:5], 0x30
	s_add_u32 flat_scratch_lo, s6, s11
	s_addc_u32 flat_scratch_hi, s7, 0
	s_add_u32 s0, s0, s11
	s_addc_u32 s1, s1, 0
	s_waitcnt lgkmcnt(0)
	s_cmp_lg_u64 s[12:13], 0
	s_cselect_b64 s[14:15], -1, 0
	s_mov_b32 s6, s9
	s_mov_b64 s[16:17], 0
	s_and_b64 vcc, exec, s[14:15]
	s_mov_b32 s32, 0
	s_cbranch_vccz .LBB480_11
; %bb.1:
	s_add_i32 s18, s8, 1
	s_mov_b32 s19, 0
	s_lshl_b64 s[20:21], s[18:19], 2
	s_add_u32 s20, s12, s20
	s_mov_b32 s9, s19
	s_addc_u32 s21, s13, s21
	s_lshl_b64 s[18:19], s[8:9], 2
	s_add_u32 s18, s12, s18
	s_addc_u32 s19, s13, s19
	s_load_dword s7, s[20:21], 0x0
	s_load_dword s11, s[18:19], 0x0
	s_waitcnt lgkmcnt(0)
	s_sub_i32 s7, s7, s11
	s_cmp_eq_u32 s7, 1
	s_cselect_b64 s[18:19], -1, 0
	s_andn2_b64 vcc, exec, s[16:17]
	s_cbranch_vccnz .LBB480_3
.LBB480_2:
	s_mov_b32 s9, 0
	s_mov_b64 s[18:19], -1
.LBB480_3:
	s_andn2_b64 vcc, exec, s[18:19]
	s_cbranch_vccnz .LBB480_10
; %bb.4:
	s_load_dwordx2 s[18:19], s[4:5], 0x28
	s_lshl_b64 s[16:17], s[8:9], 2
	s_waitcnt lgkmcnt(0)
	s_add_u32 s18, s18, s16
	s_addc_u32 s19, s19, s17
	s_load_dword s7, s[18:19], 0x0
	s_lshl_b32 s6, s6, 8
	s_waitcnt lgkmcnt(0)
	s_cmp_ge_i32 s6, s7
	s_cbranch_scc1 .LBB480_10
; %bb.5:
	s_andn2_b64 vcc, exec, s[14:15]
	s_cbranch_vccnz .LBB480_7
; %bb.6:
	s_add_u32 s6, s12, s16
	s_addc_u32 s7, s13, s17
	s_load_dword s8, s[6:7], 0x0
.LBB480_7:
	s_movk_i32 s6, 0xf0
	v_cmp_gt_u32_e32 vcc, s6, v0
	s_and_saveexec_b64 s[6:7], vcc
	s_cbranch_execz .LBB480_9
; %bb.8:
	s_load_dword s11, s[4:5], 0x48
	s_load_dwordx2 s[12:13], s[4:5], 0x0
	v_lshrrev_b32_e32 v1, 4, v0
	s_mul_i32 s10, s10, 15
	v_add_lshl_u32 v2, v1, s10, 7
	s_waitcnt lgkmcnt(0)
	s_ashr_i32 s9, s11, 31
	s_mul_hi_u32 s14, s8, s11
	s_mul_i32 s9, s8, s9
	s_add_i32 s9, s14, s9
	s_mul_i32 s8, s8, s11
	s_lshl_b64 s[8:9], s[8:9], 1
	s_add_u32 s8, s12, s8
	v_ashrrev_i32_e32 v3, 31, v2
	s_addc_u32 s9, s13, s9
	v_lshlrev_b64 v[2:3], 1, v[2:3]
	v_and_b32_e32 v4, 15, v0
	v_mov_b32_e32 v5, s9
	v_add_co_u32_e32 v2, vcc, s8, v2
	v_addc_co_u32_e32 v3, vcc, v5, v3, vcc
	v_lshlrev_b32_e32 v4, 4, v4
	v_add_co_u32_e32 v2, vcc, v2, v4
	v_addc_co_u32_e32 v3, vcc, 0, v3, vcc
	global_load_dwordx4 v[2:5], v[2:3], off
	v_lshlrev_b32_e32 v6, 4, v0
	v_lshlrev_b32_e32 v0, 8, v0
	v_and_b32_e32 v6, 16, v6
	v_lshlrev_b32_e32 v1, 5, v1
	v_and_b32_e32 v0, 0xe00, v0
	v_or3_b32 v0, v0, v1, v6
	s_waitcnt vmcnt(0)
	ds_write_b128 v0, v[2:5]
.LBB480_9:
	s_or_b64 exec, exec, s[6:7]
	s_waitcnt lgkmcnt(0)
	s_add_u32 s8, s4, 0x90
	s_addc_u32 s9, s5, 0
	s_getpc_b64 s[4:5]
	s_add_u32 s4, s4, __PRETTY_FUNCTION__._Z39paged_attention_ll4mi_QKV_mfma16_kernelIDF16_hLN4vllm18Fp8KVCacheDataTypeE1EDF16_Li16ELi128ELi256ELb1ELi15EL8MFMAType1EEvPKT_PKT0_S8_ifPKiSA_SA_iPKfiiiPfSD_PS3_PT2_iSC_SC_@rel32@lo+4
	s_addc_u32 s5, s5, __PRETTY_FUNCTION__._Z39paged_attention_ll4mi_QKV_mfma16_kernelIDF16_hLN4vllm18Fp8KVCacheDataTypeE1EDF16_Li16ELi128ELi256ELb1ELi15EL8MFMAType1EEvPKT_PKT0_S8_ifPKiSA_SA_iPKfiiiPfSD_PS3_PT2_iSC_SC_@rel32@hi+12
	v_mov_b32_e32 v0, 0x288
	v_mov_b32_e32 v1, s4
	;; [unrolled: 1-line block ×3, first 2 shown]
	s_barrier
	s_getpc_b64 s[6:7]
	s_add_u32 s6, s6, __assert_fail@rel32@lo+4
	s_addc_u32 s7, s7, __assert_fail@rel32@hi+12
	s_swappc_b64 s[30:31], s[6:7]
	; divergent unreachable
.LBB480_10:
	s_endpgm
.LBB480_11:
	s_mov_b64 s[18:19], 0
	s_branch .LBB480_2
	.section	.rodata,"a",@progbits
	.p2align	6, 0x0
	.amdhsa_kernel _Z39paged_attention_ll4mi_QKV_mfma16_kernelIDF16_hLN4vllm18Fp8KVCacheDataTypeE1EDF16_Li16ELi128ELi256ELb1ELi15EL8MFMAType1EEvPKT_PKT0_S8_ifPKiSA_SA_iPKfiiiPfSD_PS3_PT2_iSC_SC_
		.amdhsa_group_segment_fixed_size 8192
		.amdhsa_private_segment_fixed_size 64
		.amdhsa_kernarg_size 400
		.amdhsa_user_sgpr_count 8
		.amdhsa_user_sgpr_private_segment_buffer 1
		.amdhsa_user_sgpr_dispatch_ptr 0
		.amdhsa_user_sgpr_queue_ptr 0
		.amdhsa_user_sgpr_kernarg_segment_ptr 1
		.amdhsa_user_sgpr_dispatch_id 0
		.amdhsa_user_sgpr_flat_scratch_init 1
		.amdhsa_user_sgpr_kernarg_preload_length 0
		.amdhsa_user_sgpr_kernarg_preload_offset 0
		.amdhsa_user_sgpr_private_segment_size 0
		.amdhsa_uses_dynamic_stack 0
		.amdhsa_system_sgpr_private_segment_wavefront_offset 1
		.amdhsa_system_sgpr_workgroup_id_x 1
		.amdhsa_system_sgpr_workgroup_id_y 1
		.amdhsa_system_sgpr_workgroup_id_z 1
		.amdhsa_system_sgpr_workgroup_info 0
		.amdhsa_system_vgpr_workitem_id 0
		.amdhsa_next_free_vgpr 45
		.amdhsa_next_free_sgpr 34
		.amdhsa_accum_offset 44
		.amdhsa_reserve_vcc 1
		.amdhsa_reserve_flat_scratch 1
		.amdhsa_float_round_mode_32 0
		.amdhsa_float_round_mode_16_64 0
		.amdhsa_float_denorm_mode_32 3
		.amdhsa_float_denorm_mode_16_64 3
		.amdhsa_dx10_clamp 1
		.amdhsa_ieee_mode 1
		.amdhsa_fp16_overflow 0
		.amdhsa_tg_split 0
		.amdhsa_exception_fp_ieee_invalid_op 0
		.amdhsa_exception_fp_denorm_src 0
		.amdhsa_exception_fp_ieee_div_zero 0
		.amdhsa_exception_fp_ieee_overflow 0
		.amdhsa_exception_fp_ieee_underflow 0
		.amdhsa_exception_fp_ieee_inexact 0
		.amdhsa_exception_int_div_zero 0
	.end_amdhsa_kernel
	.section	.text._Z39paged_attention_ll4mi_QKV_mfma16_kernelIDF16_hLN4vllm18Fp8KVCacheDataTypeE1EDF16_Li16ELi128ELi256ELb1ELi15EL8MFMAType1EEvPKT_PKT0_S8_ifPKiSA_SA_iPKfiiiPfSD_PS3_PT2_iSC_SC_,"axG",@progbits,_Z39paged_attention_ll4mi_QKV_mfma16_kernelIDF16_hLN4vllm18Fp8KVCacheDataTypeE1EDF16_Li16ELi128ELi256ELb1ELi15EL8MFMAType1EEvPKT_PKT0_S8_ifPKiSA_SA_iPKfiiiPfSD_PS3_PT2_iSC_SC_,comdat
.Lfunc_end480:
	.size	_Z39paged_attention_ll4mi_QKV_mfma16_kernelIDF16_hLN4vllm18Fp8KVCacheDataTypeE1EDF16_Li16ELi128ELi256ELb1ELi15EL8MFMAType1EEvPKT_PKT0_S8_ifPKiSA_SA_iPKfiiiPfSD_PS3_PT2_iSC_SC_, .Lfunc_end480-_Z39paged_attention_ll4mi_QKV_mfma16_kernelIDF16_hLN4vllm18Fp8KVCacheDataTypeE1EDF16_Li16ELi128ELi256ELb1ELi15EL8MFMAType1EEvPKT_PKT0_S8_ifPKiSA_SA_iPKfiiiPfSD_PS3_PT2_iSC_SC_
                                        ; -- End function
	.section	.AMDGPU.csdata,"",@progbits
; Kernel info:
; codeLenInByte = 492
; NumSgprs: 40
; NumVgprs: 42
; NumAgprs: 1
; TotalNumVgprs: 45
; ScratchSize: 64
; MemoryBound: 0
; FloatMode: 240
; IeeeMode: 1
; LDSByteSize: 8192 bytes/workgroup (compile time only)
; SGPRBlocks: 4
; VGPRBlocks: 5
; NumSGPRsForWavesPerEU: 40
; NumVGPRsForWavesPerEU: 45
; AccumOffset: 44
; Occupancy: 8
; WaveLimiterHint : 1
; COMPUTE_PGM_RSRC2:SCRATCH_EN: 1
; COMPUTE_PGM_RSRC2:USER_SGPR: 8
; COMPUTE_PGM_RSRC2:TRAP_HANDLER: 0
; COMPUTE_PGM_RSRC2:TGID_X_EN: 1
; COMPUTE_PGM_RSRC2:TGID_Y_EN: 1
; COMPUTE_PGM_RSRC2:TGID_Z_EN: 1
; COMPUTE_PGM_RSRC2:TIDIG_COMP_CNT: 0
; COMPUTE_PGM_RSRC3_GFX90A:ACCUM_OFFSET: 10
; COMPUTE_PGM_RSRC3_GFX90A:TG_SPLIT: 0
	.section	.text._Z39paged_attention_ll4mi_QKV_mfma16_kernelIDF16_hLN4vllm18Fp8KVCacheDataTypeE1EDF16_Li16ELi128ELi256ELb1ELi16EL8MFMAType1EEvPKT_PKT0_S8_ifPKiSA_SA_iPKfiiiPfSD_PS3_PT2_iSC_SC_,"axG",@progbits,_Z39paged_attention_ll4mi_QKV_mfma16_kernelIDF16_hLN4vllm18Fp8KVCacheDataTypeE1EDF16_Li16ELi128ELi256ELb1ELi16EL8MFMAType1EEvPKT_PKT0_S8_ifPKiSA_SA_iPKfiiiPfSD_PS3_PT2_iSC_SC_,comdat
	.protected	_Z39paged_attention_ll4mi_QKV_mfma16_kernelIDF16_hLN4vllm18Fp8KVCacheDataTypeE1EDF16_Li16ELi128ELi256ELb1ELi16EL8MFMAType1EEvPKT_PKT0_S8_ifPKiSA_SA_iPKfiiiPfSD_PS3_PT2_iSC_SC_ ; -- Begin function _Z39paged_attention_ll4mi_QKV_mfma16_kernelIDF16_hLN4vllm18Fp8KVCacheDataTypeE1EDF16_Li16ELi128ELi256ELb1ELi16EL8MFMAType1EEvPKT_PKT0_S8_ifPKiSA_SA_iPKfiiiPfSD_PS3_PT2_iSC_SC_
	.globl	_Z39paged_attention_ll4mi_QKV_mfma16_kernelIDF16_hLN4vllm18Fp8KVCacheDataTypeE1EDF16_Li16ELi128ELi256ELb1ELi16EL8MFMAType1EEvPKT_PKT0_S8_ifPKiSA_SA_iPKfiiiPfSD_PS3_PT2_iSC_SC_
	.p2align	8
	.type	_Z39paged_attention_ll4mi_QKV_mfma16_kernelIDF16_hLN4vllm18Fp8KVCacheDataTypeE1EDF16_Li16ELi128ELi256ELb1ELi16EL8MFMAType1EEvPKT_PKT0_S8_ifPKiSA_SA_iPKfiiiPfSD_PS3_PT2_iSC_SC_,@function
_Z39paged_attention_ll4mi_QKV_mfma16_kernelIDF16_hLN4vllm18Fp8KVCacheDataTypeE1EDF16_Li16ELi128ELi256ELb1ELi16EL8MFMAType1EEvPKT_PKT0_S8_ifPKiSA_SA_iPKfiiiPfSD_PS3_PT2_iSC_SC_: ; @_Z39paged_attention_ll4mi_QKV_mfma16_kernelIDF16_hLN4vllm18Fp8KVCacheDataTypeE1EDF16_Li16ELi128ELi256ELb1ELi16EL8MFMAType1EEvPKT_PKT0_S8_ifPKiSA_SA_iPKfiiiPfSD_PS3_PT2_iSC_SC_
; %bb.0:
	s_load_dwordx2 s[12:13], s[4:5], 0x30
	s_add_u32 flat_scratch_lo, s6, s11
	s_addc_u32 flat_scratch_hi, s7, 0
	s_add_u32 s0, s0, s11
	s_addc_u32 s1, s1, 0
	s_waitcnt lgkmcnt(0)
	s_cmp_lg_u64 s[12:13], 0
	s_cselect_b64 s[14:15], -1, 0
	s_mov_b32 s6, s9
	s_mov_b64 s[16:17], 0
	s_and_b64 vcc, exec, s[14:15]
	s_mov_b32 s32, 0
	s_cbranch_vccz .LBB481_11
; %bb.1:
	s_add_i32 s18, s8, 1
	s_mov_b32 s19, 0
	s_lshl_b64 s[20:21], s[18:19], 2
	s_add_u32 s20, s12, s20
	s_mov_b32 s9, s19
	s_addc_u32 s21, s13, s21
	s_lshl_b64 s[18:19], s[8:9], 2
	s_add_u32 s18, s12, s18
	s_addc_u32 s19, s13, s19
	s_load_dword s7, s[20:21], 0x0
	s_load_dword s11, s[18:19], 0x0
	s_waitcnt lgkmcnt(0)
	s_sub_i32 s7, s7, s11
	s_cmp_eq_u32 s7, 1
	s_cselect_b64 s[18:19], -1, 0
	s_andn2_b64 vcc, exec, s[16:17]
	s_cbranch_vccnz .LBB481_3
.LBB481_2:
	s_mov_b32 s9, 0
	s_mov_b64 s[18:19], -1
.LBB481_3:
	s_andn2_b64 vcc, exec, s[18:19]
	s_cbranch_vccnz .LBB481_10
; %bb.4:
	s_load_dwordx2 s[18:19], s[4:5], 0x28
	s_lshl_b64 s[16:17], s[8:9], 2
	s_waitcnt lgkmcnt(0)
	s_add_u32 s18, s18, s16
	s_addc_u32 s19, s19, s17
	s_load_dword s7, s[18:19], 0x0
	s_lshl_b32 s6, s6, 8
	s_waitcnt lgkmcnt(0)
	s_cmp_ge_i32 s6, s7
	s_cbranch_scc1 .LBB481_10
; %bb.5:
	s_andn2_b64 vcc, exec, s[14:15]
	s_cbranch_vccnz .LBB481_7
; %bb.6:
	s_add_u32 s6, s12, s16
	s_addc_u32 s7, s13, s17
	s_load_dword s8, s[6:7], 0x0
.LBB481_7:
	s_movk_i32 s6, 0x100
	v_cmp_gt_u32_e32 vcc, s6, v0
	s_and_saveexec_b64 s[6:7], vcc
	s_cbranch_execz .LBB481_9
; %bb.8:
	s_load_dword s11, s[4:5], 0x48
	s_load_dwordx2 s[12:13], s[4:5], 0x0
	v_lshrrev_b32_e32 v6, 4, v0
	v_lshlrev_b32_e32 v2, 7, v6
	v_lshl_or_b32 v2, s10, 11, v2
	s_waitcnt lgkmcnt(0)
	s_ashr_i32 s9, s11, 31
	s_mul_hi_u32 s14, s8, s11
	s_mul_i32 s9, s8, s9
	s_add_i32 s9, s14, s9
	s_mul_i32 s8, s8, s11
	s_lshl_b64 s[8:9], s[8:9], 1
	s_add_u32 s8, s12, s8
	v_ashrrev_i32_e32 v3, 31, v2
	s_addc_u32 s9, s13, s9
	v_lshlrev_b64 v[2:3], 1, v[2:3]
	v_and_b32_e32 v1, 15, v0
	v_mov_b32_e32 v4, s9
	v_add_co_u32_e32 v2, vcc, s8, v2
	v_addc_co_u32_e32 v3, vcc, v4, v3, vcc
	v_lshlrev_b32_e32 v1, 4, v1
	v_add_co_u32_e32 v2, vcc, v2, v1
	v_addc_co_u32_e32 v3, vcc, 0, v3, vcc
	global_load_dwordx4 v[2:5], v[2:3], off
	v_lshlrev_b32_e32 v1, 4, v0
	v_lshlrev_b32_e32 v0, 8, v0
	v_and_b32_e32 v1, 16, v1
	v_lshlrev_b32_e32 v6, 5, v6
	v_and_b32_e32 v0, 0xe00, v0
	v_or3_b32 v0, v0, v6, v1
	s_waitcnt vmcnt(0)
	ds_write_b128 v0, v[2:5]
.LBB481_9:
	s_or_b64 exec, exec, s[6:7]
	s_waitcnt lgkmcnt(0)
	s_add_u32 s8, s4, 0x90
	s_addc_u32 s9, s5, 0
	s_getpc_b64 s[4:5]
	s_add_u32 s4, s4, __PRETTY_FUNCTION__._Z39paged_attention_ll4mi_QKV_mfma16_kernelIDF16_hLN4vllm18Fp8KVCacheDataTypeE1EDF16_Li16ELi128ELi256ELb1ELi16EL8MFMAType1EEvPKT_PKT0_S8_ifPKiSA_SA_iPKfiiiPfSD_PS3_PT2_iSC_SC_@rel32@lo+4
	s_addc_u32 s5, s5, __PRETTY_FUNCTION__._Z39paged_attention_ll4mi_QKV_mfma16_kernelIDF16_hLN4vllm18Fp8KVCacheDataTypeE1EDF16_Li16ELi128ELi256ELb1ELi16EL8MFMAType1EEvPKT_PKT0_S8_ifPKiSA_SA_iPKfiiiPfSD_PS3_PT2_iSC_SC_@rel32@hi+12
	v_mov_b32_e32 v0, 0x288
	v_mov_b32_e32 v1, s4
	v_mov_b32_e32 v2, s5
	s_barrier
	s_getpc_b64 s[6:7]
	s_add_u32 s6, s6, __assert_fail@rel32@lo+4
	s_addc_u32 s7, s7, __assert_fail@rel32@hi+12
	s_swappc_b64 s[30:31], s[6:7]
	; divergent unreachable
.LBB481_10:
	s_endpgm
.LBB481_11:
	s_mov_b64 s[18:19], 0
	s_branch .LBB481_2
	.section	.rodata,"a",@progbits
	.p2align	6, 0x0
	.amdhsa_kernel _Z39paged_attention_ll4mi_QKV_mfma16_kernelIDF16_hLN4vllm18Fp8KVCacheDataTypeE1EDF16_Li16ELi128ELi256ELb1ELi16EL8MFMAType1EEvPKT_PKT0_S8_ifPKiSA_SA_iPKfiiiPfSD_PS3_PT2_iSC_SC_
		.amdhsa_group_segment_fixed_size 8192
		.amdhsa_private_segment_fixed_size 64
		.amdhsa_kernarg_size 400
		.amdhsa_user_sgpr_count 8
		.amdhsa_user_sgpr_private_segment_buffer 1
		.amdhsa_user_sgpr_dispatch_ptr 0
		.amdhsa_user_sgpr_queue_ptr 0
		.amdhsa_user_sgpr_kernarg_segment_ptr 1
		.amdhsa_user_sgpr_dispatch_id 0
		.amdhsa_user_sgpr_flat_scratch_init 1
		.amdhsa_user_sgpr_kernarg_preload_length 0
		.amdhsa_user_sgpr_kernarg_preload_offset 0
		.amdhsa_user_sgpr_private_segment_size 0
		.amdhsa_uses_dynamic_stack 0
		.amdhsa_system_sgpr_private_segment_wavefront_offset 1
		.amdhsa_system_sgpr_workgroup_id_x 1
		.amdhsa_system_sgpr_workgroup_id_y 1
		.amdhsa_system_sgpr_workgroup_id_z 1
		.amdhsa_system_sgpr_workgroup_info 0
		.amdhsa_system_vgpr_workitem_id 0
		.amdhsa_next_free_vgpr 45
		.amdhsa_next_free_sgpr 34
		.amdhsa_accum_offset 44
		.amdhsa_reserve_vcc 1
		.amdhsa_reserve_flat_scratch 1
		.amdhsa_float_round_mode_32 0
		.amdhsa_float_round_mode_16_64 0
		.amdhsa_float_denorm_mode_32 3
		.amdhsa_float_denorm_mode_16_64 3
		.amdhsa_dx10_clamp 1
		.amdhsa_ieee_mode 1
		.amdhsa_fp16_overflow 0
		.amdhsa_tg_split 0
		.amdhsa_exception_fp_ieee_invalid_op 0
		.amdhsa_exception_fp_denorm_src 0
		.amdhsa_exception_fp_ieee_div_zero 0
		.amdhsa_exception_fp_ieee_overflow 0
		.amdhsa_exception_fp_ieee_underflow 0
		.amdhsa_exception_fp_ieee_inexact 0
		.amdhsa_exception_int_div_zero 0
	.end_amdhsa_kernel
	.section	.text._Z39paged_attention_ll4mi_QKV_mfma16_kernelIDF16_hLN4vllm18Fp8KVCacheDataTypeE1EDF16_Li16ELi128ELi256ELb1ELi16EL8MFMAType1EEvPKT_PKT0_S8_ifPKiSA_SA_iPKfiiiPfSD_PS3_PT2_iSC_SC_,"axG",@progbits,_Z39paged_attention_ll4mi_QKV_mfma16_kernelIDF16_hLN4vllm18Fp8KVCacheDataTypeE1EDF16_Li16ELi128ELi256ELb1ELi16EL8MFMAType1EEvPKT_PKT0_S8_ifPKiSA_SA_iPKfiiiPfSD_PS3_PT2_iSC_SC_,comdat
.Lfunc_end481:
	.size	_Z39paged_attention_ll4mi_QKV_mfma16_kernelIDF16_hLN4vllm18Fp8KVCacheDataTypeE1EDF16_Li16ELi128ELi256ELb1ELi16EL8MFMAType1EEvPKT_PKT0_S8_ifPKiSA_SA_iPKfiiiPfSD_PS3_PT2_iSC_SC_, .Lfunc_end481-_Z39paged_attention_ll4mi_QKV_mfma16_kernelIDF16_hLN4vllm18Fp8KVCacheDataTypeE1EDF16_Li16ELi128ELi256ELb1ELi16EL8MFMAType1EEvPKT_PKT0_S8_ifPKiSA_SA_iPKfiiiPfSD_PS3_PT2_iSC_SC_
                                        ; -- End function
	.section	.AMDGPU.csdata,"",@progbits
; Kernel info:
; codeLenInByte = 492
; NumSgprs: 40
; NumVgprs: 42
; NumAgprs: 1
; TotalNumVgprs: 45
; ScratchSize: 64
; MemoryBound: 0
; FloatMode: 240
; IeeeMode: 1
; LDSByteSize: 8192 bytes/workgroup (compile time only)
; SGPRBlocks: 4
; VGPRBlocks: 5
; NumSGPRsForWavesPerEU: 40
; NumVGPRsForWavesPerEU: 45
; AccumOffset: 44
; Occupancy: 8
; WaveLimiterHint : 1
; COMPUTE_PGM_RSRC2:SCRATCH_EN: 1
; COMPUTE_PGM_RSRC2:USER_SGPR: 8
; COMPUTE_PGM_RSRC2:TRAP_HANDLER: 0
; COMPUTE_PGM_RSRC2:TGID_X_EN: 1
; COMPUTE_PGM_RSRC2:TGID_Y_EN: 1
; COMPUTE_PGM_RSRC2:TGID_Z_EN: 1
; COMPUTE_PGM_RSRC2:TIDIG_COMP_CNT: 0
; COMPUTE_PGM_RSRC3_GFX90A:ACCUM_OFFSET: 10
; COMPUTE_PGM_RSRC3_GFX90A:TG_SPLIT: 0
	.section	.text._Z39paged_attention_ll4mi_QKV_mfma16_kernelIDF16_hLN4vllm18Fp8KVCacheDataTypeE1EDF16_Li16ELi128ELi256ELb1ELi1EL8MFMAType1EEvPKT_PKT0_S8_ifPKiSA_SA_iPKfiiiPfSD_PS3_PT2_iSC_SC_,"axG",@progbits,_Z39paged_attention_ll4mi_QKV_mfma16_kernelIDF16_hLN4vllm18Fp8KVCacheDataTypeE1EDF16_Li16ELi128ELi256ELb1ELi1EL8MFMAType1EEvPKT_PKT0_S8_ifPKiSA_SA_iPKfiiiPfSD_PS3_PT2_iSC_SC_,comdat
	.protected	_Z39paged_attention_ll4mi_QKV_mfma16_kernelIDF16_hLN4vllm18Fp8KVCacheDataTypeE1EDF16_Li16ELi128ELi256ELb1ELi1EL8MFMAType1EEvPKT_PKT0_S8_ifPKiSA_SA_iPKfiiiPfSD_PS3_PT2_iSC_SC_ ; -- Begin function _Z39paged_attention_ll4mi_QKV_mfma16_kernelIDF16_hLN4vllm18Fp8KVCacheDataTypeE1EDF16_Li16ELi128ELi256ELb1ELi1EL8MFMAType1EEvPKT_PKT0_S8_ifPKiSA_SA_iPKfiiiPfSD_PS3_PT2_iSC_SC_
	.globl	_Z39paged_attention_ll4mi_QKV_mfma16_kernelIDF16_hLN4vllm18Fp8KVCacheDataTypeE1EDF16_Li16ELi128ELi256ELb1ELi1EL8MFMAType1EEvPKT_PKT0_S8_ifPKiSA_SA_iPKfiiiPfSD_PS3_PT2_iSC_SC_
	.p2align	8
	.type	_Z39paged_attention_ll4mi_QKV_mfma16_kernelIDF16_hLN4vllm18Fp8KVCacheDataTypeE1EDF16_Li16ELi128ELi256ELb1ELi1EL8MFMAType1EEvPKT_PKT0_S8_ifPKiSA_SA_iPKfiiiPfSD_PS3_PT2_iSC_SC_,@function
_Z39paged_attention_ll4mi_QKV_mfma16_kernelIDF16_hLN4vllm18Fp8KVCacheDataTypeE1EDF16_Li16ELi128ELi256ELb1ELi1EL8MFMAType1EEvPKT_PKT0_S8_ifPKiSA_SA_iPKfiiiPfSD_PS3_PT2_iSC_SC_: ; @_Z39paged_attention_ll4mi_QKV_mfma16_kernelIDF16_hLN4vllm18Fp8KVCacheDataTypeE1EDF16_Li16ELi128ELi256ELb1ELi1EL8MFMAType1EEvPKT_PKT0_S8_ifPKiSA_SA_iPKfiiiPfSD_PS3_PT2_iSC_SC_
; %bb.0:
	s_load_dwordx2 s[12:13], s[4:5], 0x30
	s_add_u32 flat_scratch_lo, s6, s11
	s_addc_u32 flat_scratch_hi, s7, 0
	s_add_u32 s0, s0, s11
	s_addc_u32 s1, s1, 0
	s_waitcnt lgkmcnt(0)
	s_cmp_lg_u64 s[12:13], 0
	s_cselect_b64 s[14:15], -1, 0
	s_mov_b32 s6, s9
	s_mov_b64 s[16:17], 0
	s_and_b64 vcc, exec, s[14:15]
	s_mov_b32 s32, 0
	s_cbranch_vccz .LBB482_11
; %bb.1:
	s_add_i32 s18, s8, 1
	s_mov_b32 s19, 0
	s_lshl_b64 s[20:21], s[18:19], 2
	s_add_u32 s20, s12, s20
	s_mov_b32 s9, s19
	s_addc_u32 s21, s13, s21
	s_lshl_b64 s[18:19], s[8:9], 2
	s_add_u32 s18, s12, s18
	s_addc_u32 s19, s13, s19
	s_load_dword s7, s[20:21], 0x0
	s_load_dword s11, s[18:19], 0x0
	s_waitcnt lgkmcnt(0)
	s_sub_i32 s7, s7, s11
	s_cmp_eq_u32 s7, 1
	s_cselect_b64 s[18:19], -1, 0
	s_andn2_b64 vcc, exec, s[16:17]
	s_cbranch_vccnz .LBB482_3
.LBB482_2:
	s_mov_b32 s9, 0
	s_mov_b64 s[18:19], -1
.LBB482_3:
	s_andn2_b64 vcc, exec, s[18:19]
	s_cbranch_vccnz .LBB482_10
; %bb.4:
	s_load_dwordx2 s[18:19], s[4:5], 0x28
	s_lshl_b64 s[16:17], s[8:9], 2
	s_waitcnt lgkmcnt(0)
	s_add_u32 s18, s18, s16
	s_addc_u32 s19, s19, s17
	s_load_dword s7, s[18:19], 0x0
	s_lshl_b32 s6, s6, 8
	s_waitcnt lgkmcnt(0)
	s_cmp_ge_i32 s6, s7
	s_cbranch_scc1 .LBB482_10
; %bb.5:
	s_andn2_b64 vcc, exec, s[14:15]
	s_cbranch_vccnz .LBB482_7
; %bb.6:
	s_add_u32 s6, s12, s16
	s_addc_u32 s7, s13, s17
	s_load_dword s8, s[6:7], 0x0
.LBB482_7:
	v_cmp_gt_u32_e32 vcc, 16, v0
	s_and_saveexec_b64 s[6:7], vcc
	s_cbranch_execz .LBB482_9
; %bb.8:
	s_load_dword s9, s[4:5], 0x48
	s_load_dwordx2 s[12:13], s[4:5], 0x0
	v_lshlrev_b32_e32 v1, 4, v0
	v_lshlrev_b32_e32 v0, 8, v0
	s_waitcnt lgkmcnt(0)
	s_ashr_i32 s11, s9, 31
	s_mul_hi_u32 s15, s8, s9
	s_mul_i32 s14, s8, s9
	s_mul_i32 s8, s8, s11
	s_add_i32 s15, s15, s8
	s_lshl_b64 s[8:9], s[14:15], 1
	s_add_u32 s11, s12, s8
	s_addc_u32 s12, s13, s9
	s_lshl_b32 s8, s10, 7
	s_ashr_i32 s9, s8, 31
	s_lshl_b64 s[8:9], s[8:9], 1
	s_add_u32 s8, s11, s8
	s_addc_u32 s9, s12, s9
	global_load_dwordx4 v[2:5], v1, s[8:9]
	v_and_b32_e32 v1, 16, v1
	s_mov_b32 s8, 0xfe00
	v_and_or_b32 v0, v0, s8, v1
	s_waitcnt vmcnt(0)
	ds_write_b128 v0, v[2:5]
.LBB482_9:
	s_or_b64 exec, exec, s[6:7]
	s_waitcnt lgkmcnt(0)
	s_add_u32 s8, s4, 0x90
	s_addc_u32 s9, s5, 0
	s_getpc_b64 s[4:5]
	s_add_u32 s4, s4, __PRETTY_FUNCTION__._Z39paged_attention_ll4mi_QKV_mfma16_kernelIDF16_hLN4vllm18Fp8KVCacheDataTypeE1EDF16_Li16ELi128ELi256ELb1ELi1EL8MFMAType1EEvPKT_PKT0_S8_ifPKiSA_SA_iPKfiiiPfSD_PS3_PT2_iSC_SC_@rel32@lo+4
	s_addc_u32 s5, s5, __PRETTY_FUNCTION__._Z39paged_attention_ll4mi_QKV_mfma16_kernelIDF16_hLN4vllm18Fp8KVCacheDataTypeE1EDF16_Li16ELi128ELi256ELb1ELi1EL8MFMAType1EEvPKT_PKT0_S8_ifPKiSA_SA_iPKfiiiPfSD_PS3_PT2_iSC_SC_@rel32@hi+12
	v_mov_b32_e32 v0, 0x288
	v_mov_b32_e32 v1, s4
	;; [unrolled: 1-line block ×3, first 2 shown]
	s_barrier
	s_getpc_b64 s[6:7]
	s_add_u32 s6, s6, __assert_fail@rel32@lo+4
	s_addc_u32 s7, s7, __assert_fail@rel32@hi+12
	s_swappc_b64 s[30:31], s[6:7]
	; divergent unreachable
.LBB482_10:
	s_endpgm
.LBB482_11:
	s_mov_b64 s[18:19], 0
	s_branch .LBB482_2
	.section	.rodata,"a",@progbits
	.p2align	6, 0x0
	.amdhsa_kernel _Z39paged_attention_ll4mi_QKV_mfma16_kernelIDF16_hLN4vllm18Fp8KVCacheDataTypeE1EDF16_Li16ELi128ELi256ELb1ELi1EL8MFMAType1EEvPKT_PKT0_S8_ifPKiSA_SA_iPKfiiiPfSD_PS3_PT2_iSC_SC_
		.amdhsa_group_segment_fixed_size 8192
		.amdhsa_private_segment_fixed_size 64
		.amdhsa_kernarg_size 400
		.amdhsa_user_sgpr_count 8
		.amdhsa_user_sgpr_private_segment_buffer 1
		.amdhsa_user_sgpr_dispatch_ptr 0
		.amdhsa_user_sgpr_queue_ptr 0
		.amdhsa_user_sgpr_kernarg_segment_ptr 1
		.amdhsa_user_sgpr_dispatch_id 0
		.amdhsa_user_sgpr_flat_scratch_init 1
		.amdhsa_user_sgpr_kernarg_preload_length 0
		.amdhsa_user_sgpr_kernarg_preload_offset 0
		.amdhsa_user_sgpr_private_segment_size 0
		.amdhsa_uses_dynamic_stack 0
		.amdhsa_system_sgpr_private_segment_wavefront_offset 1
		.amdhsa_system_sgpr_workgroup_id_x 1
		.amdhsa_system_sgpr_workgroup_id_y 1
		.amdhsa_system_sgpr_workgroup_id_z 1
		.amdhsa_system_sgpr_workgroup_info 0
		.amdhsa_system_vgpr_workitem_id 0
		.amdhsa_next_free_vgpr 45
		.amdhsa_next_free_sgpr 34
		.amdhsa_accum_offset 44
		.amdhsa_reserve_vcc 1
		.amdhsa_reserve_flat_scratch 1
		.amdhsa_float_round_mode_32 0
		.amdhsa_float_round_mode_16_64 0
		.amdhsa_float_denorm_mode_32 3
		.amdhsa_float_denorm_mode_16_64 3
		.amdhsa_dx10_clamp 1
		.amdhsa_ieee_mode 1
		.amdhsa_fp16_overflow 0
		.amdhsa_tg_split 0
		.amdhsa_exception_fp_ieee_invalid_op 0
		.amdhsa_exception_fp_denorm_src 0
		.amdhsa_exception_fp_ieee_div_zero 0
		.amdhsa_exception_fp_ieee_overflow 0
		.amdhsa_exception_fp_ieee_underflow 0
		.amdhsa_exception_fp_ieee_inexact 0
		.amdhsa_exception_int_div_zero 0
	.end_amdhsa_kernel
	.section	.text._Z39paged_attention_ll4mi_QKV_mfma16_kernelIDF16_hLN4vllm18Fp8KVCacheDataTypeE1EDF16_Li16ELi128ELi256ELb1ELi1EL8MFMAType1EEvPKT_PKT0_S8_ifPKiSA_SA_iPKfiiiPfSD_PS3_PT2_iSC_SC_,"axG",@progbits,_Z39paged_attention_ll4mi_QKV_mfma16_kernelIDF16_hLN4vllm18Fp8KVCacheDataTypeE1EDF16_Li16ELi128ELi256ELb1ELi1EL8MFMAType1EEvPKT_PKT0_S8_ifPKiSA_SA_iPKfiiiPfSD_PS3_PT2_iSC_SC_,comdat
.Lfunc_end482:
	.size	_Z39paged_attention_ll4mi_QKV_mfma16_kernelIDF16_hLN4vllm18Fp8KVCacheDataTypeE1EDF16_Li16ELi128ELi256ELb1ELi1EL8MFMAType1EEvPKT_PKT0_S8_ifPKiSA_SA_iPKfiiiPfSD_PS3_PT2_iSC_SC_, .Lfunc_end482-_Z39paged_attention_ll4mi_QKV_mfma16_kernelIDF16_hLN4vllm18Fp8KVCacheDataTypeE1EDF16_Li16ELi128ELi256ELb1ELi1EL8MFMAType1EEvPKT_PKT0_S8_ifPKiSA_SA_iPKfiiiPfSD_PS3_PT2_iSC_SC_
                                        ; -- End function
	.section	.AMDGPU.csdata,"",@progbits
; Kernel info:
; codeLenInByte = 448
; NumSgprs: 40
; NumVgprs: 42
; NumAgprs: 1
; TotalNumVgprs: 45
; ScratchSize: 64
; MemoryBound: 0
; FloatMode: 240
; IeeeMode: 1
; LDSByteSize: 8192 bytes/workgroup (compile time only)
; SGPRBlocks: 4
; VGPRBlocks: 5
; NumSGPRsForWavesPerEU: 40
; NumVGPRsForWavesPerEU: 45
; AccumOffset: 44
; Occupancy: 8
; WaveLimiterHint : 1
; COMPUTE_PGM_RSRC2:SCRATCH_EN: 1
; COMPUTE_PGM_RSRC2:USER_SGPR: 8
; COMPUTE_PGM_RSRC2:TRAP_HANDLER: 0
; COMPUTE_PGM_RSRC2:TGID_X_EN: 1
; COMPUTE_PGM_RSRC2:TGID_Y_EN: 1
; COMPUTE_PGM_RSRC2:TGID_Z_EN: 1
; COMPUTE_PGM_RSRC2:TIDIG_COMP_CNT: 0
; COMPUTE_PGM_RSRC3_GFX90A:ACCUM_OFFSET: 10
; COMPUTE_PGM_RSRC3_GFX90A:TG_SPLIT: 0
	.section	.text._Z39paged_attention_ll4mi_QKV_mfma16_kernelIDF16_hLN4vllm18Fp8KVCacheDataTypeE1EDF16_Li16ELi128ELi256ELb1ELi2EL8MFMAType1EEvPKT_PKT0_S8_ifPKiSA_SA_iPKfiiiPfSD_PS3_PT2_iSC_SC_,"axG",@progbits,_Z39paged_attention_ll4mi_QKV_mfma16_kernelIDF16_hLN4vllm18Fp8KVCacheDataTypeE1EDF16_Li16ELi128ELi256ELb1ELi2EL8MFMAType1EEvPKT_PKT0_S8_ifPKiSA_SA_iPKfiiiPfSD_PS3_PT2_iSC_SC_,comdat
	.protected	_Z39paged_attention_ll4mi_QKV_mfma16_kernelIDF16_hLN4vllm18Fp8KVCacheDataTypeE1EDF16_Li16ELi128ELi256ELb1ELi2EL8MFMAType1EEvPKT_PKT0_S8_ifPKiSA_SA_iPKfiiiPfSD_PS3_PT2_iSC_SC_ ; -- Begin function _Z39paged_attention_ll4mi_QKV_mfma16_kernelIDF16_hLN4vllm18Fp8KVCacheDataTypeE1EDF16_Li16ELi128ELi256ELb1ELi2EL8MFMAType1EEvPKT_PKT0_S8_ifPKiSA_SA_iPKfiiiPfSD_PS3_PT2_iSC_SC_
	.globl	_Z39paged_attention_ll4mi_QKV_mfma16_kernelIDF16_hLN4vllm18Fp8KVCacheDataTypeE1EDF16_Li16ELi128ELi256ELb1ELi2EL8MFMAType1EEvPKT_PKT0_S8_ifPKiSA_SA_iPKfiiiPfSD_PS3_PT2_iSC_SC_
	.p2align	8
	.type	_Z39paged_attention_ll4mi_QKV_mfma16_kernelIDF16_hLN4vllm18Fp8KVCacheDataTypeE1EDF16_Li16ELi128ELi256ELb1ELi2EL8MFMAType1EEvPKT_PKT0_S8_ifPKiSA_SA_iPKfiiiPfSD_PS3_PT2_iSC_SC_,@function
_Z39paged_attention_ll4mi_QKV_mfma16_kernelIDF16_hLN4vllm18Fp8KVCacheDataTypeE1EDF16_Li16ELi128ELi256ELb1ELi2EL8MFMAType1EEvPKT_PKT0_S8_ifPKiSA_SA_iPKfiiiPfSD_PS3_PT2_iSC_SC_: ; @_Z39paged_attention_ll4mi_QKV_mfma16_kernelIDF16_hLN4vllm18Fp8KVCacheDataTypeE1EDF16_Li16ELi128ELi256ELb1ELi2EL8MFMAType1EEvPKT_PKT0_S8_ifPKiSA_SA_iPKfiiiPfSD_PS3_PT2_iSC_SC_
; %bb.0:
	s_load_dwordx2 s[12:13], s[4:5], 0x30
	s_add_u32 flat_scratch_lo, s6, s11
	s_addc_u32 flat_scratch_hi, s7, 0
	s_add_u32 s0, s0, s11
	s_addc_u32 s1, s1, 0
	s_waitcnt lgkmcnt(0)
	s_cmp_lg_u64 s[12:13], 0
	s_cselect_b64 s[14:15], -1, 0
	s_mov_b32 s6, s9
	s_mov_b64 s[16:17], 0
	s_and_b64 vcc, exec, s[14:15]
	s_mov_b32 s32, 0
	s_cbranch_vccz .LBB483_11
; %bb.1:
	s_add_i32 s18, s8, 1
	s_mov_b32 s19, 0
	s_lshl_b64 s[20:21], s[18:19], 2
	s_add_u32 s20, s12, s20
	s_mov_b32 s9, s19
	s_addc_u32 s21, s13, s21
	s_lshl_b64 s[18:19], s[8:9], 2
	s_add_u32 s18, s12, s18
	s_addc_u32 s19, s13, s19
	s_load_dword s7, s[20:21], 0x0
	s_load_dword s11, s[18:19], 0x0
	s_waitcnt lgkmcnt(0)
	s_sub_i32 s7, s7, s11
	s_cmp_eq_u32 s7, 1
	s_cselect_b64 s[18:19], -1, 0
	s_andn2_b64 vcc, exec, s[16:17]
	s_cbranch_vccnz .LBB483_3
.LBB483_2:
	s_mov_b32 s9, 0
	s_mov_b64 s[18:19], -1
.LBB483_3:
	s_andn2_b64 vcc, exec, s[18:19]
	s_cbranch_vccnz .LBB483_10
; %bb.4:
	s_load_dwordx2 s[18:19], s[4:5], 0x28
	s_lshl_b64 s[16:17], s[8:9], 2
	s_waitcnt lgkmcnt(0)
	s_add_u32 s18, s18, s16
	s_addc_u32 s19, s19, s17
	s_load_dword s7, s[18:19], 0x0
	s_lshl_b32 s6, s6, 8
	s_waitcnt lgkmcnt(0)
	s_cmp_ge_i32 s6, s7
	s_cbranch_scc1 .LBB483_10
; %bb.5:
	s_andn2_b64 vcc, exec, s[14:15]
	s_cbranch_vccnz .LBB483_7
; %bb.6:
	s_add_u32 s6, s12, s16
	s_addc_u32 s7, s13, s17
	s_load_dword s8, s[6:7], 0x0
.LBB483_7:
	v_cmp_gt_u32_e32 vcc, 32, v0
	s_and_saveexec_b64 s[6:7], vcc
	s_cbranch_execz .LBB483_9
; %bb.8:
	s_load_dword s11, s[4:5], 0x48
	s_load_dwordx2 s[12:13], s[4:5], 0x0
	v_lshrrev_b32_e32 v6, 4, v0
	v_lshlrev_b32_e32 v2, 7, v6
	v_lshl_or_b32 v2, s10, 8, v2
	s_waitcnt lgkmcnt(0)
	s_ashr_i32 s9, s11, 31
	s_mul_hi_u32 s14, s8, s11
	s_mul_i32 s9, s8, s9
	s_add_i32 s9, s14, s9
	s_mul_i32 s8, s8, s11
	s_lshl_b64 s[8:9], s[8:9], 1
	s_add_u32 s8, s12, s8
	v_ashrrev_i32_e32 v3, 31, v2
	s_addc_u32 s9, s13, s9
	v_lshlrev_b64 v[2:3], 1, v[2:3]
	v_and_b32_e32 v1, 15, v0
	v_mov_b32_e32 v4, s9
	v_add_co_u32_e32 v2, vcc, s8, v2
	v_addc_co_u32_e32 v3, vcc, v4, v3, vcc
	v_lshlrev_b32_e32 v1, 4, v1
	v_add_co_u32_e32 v2, vcc, v2, v1
	v_addc_co_u32_e32 v3, vcc, 0, v3, vcc
	global_load_dwordx4 v[2:5], v[2:3], off
	v_lshlrev_b32_e32 v1, 4, v0
	v_lshlrev_b32_e32 v0, 8, v0
	v_and_b32_e32 v1, 16, v1
	v_lshlrev_b32_e32 v6, 5, v6
	v_and_b32_e32 v0, 0xe00, v0
	v_or3_b32 v0, v0, v6, v1
	s_waitcnt vmcnt(0)
	ds_write_b128 v0, v[2:5]
.LBB483_9:
	s_or_b64 exec, exec, s[6:7]
	s_waitcnt lgkmcnt(0)
	s_add_u32 s8, s4, 0x90
	s_addc_u32 s9, s5, 0
	s_getpc_b64 s[4:5]
	s_add_u32 s4, s4, __PRETTY_FUNCTION__._Z39paged_attention_ll4mi_QKV_mfma16_kernelIDF16_hLN4vllm18Fp8KVCacheDataTypeE1EDF16_Li16ELi128ELi256ELb1ELi2EL8MFMAType1EEvPKT_PKT0_S8_ifPKiSA_SA_iPKfiiiPfSD_PS3_PT2_iSC_SC_@rel32@lo+4
	s_addc_u32 s5, s5, __PRETTY_FUNCTION__._Z39paged_attention_ll4mi_QKV_mfma16_kernelIDF16_hLN4vllm18Fp8KVCacheDataTypeE1EDF16_Li16ELi128ELi256ELb1ELi2EL8MFMAType1EEvPKT_PKT0_S8_ifPKiSA_SA_iPKfiiiPfSD_PS3_PT2_iSC_SC_@rel32@hi+12
	v_mov_b32_e32 v0, 0x288
	v_mov_b32_e32 v1, s4
	;; [unrolled: 1-line block ×3, first 2 shown]
	s_barrier
	s_getpc_b64 s[6:7]
	s_add_u32 s6, s6, __assert_fail@rel32@lo+4
	s_addc_u32 s7, s7, __assert_fail@rel32@hi+12
	s_swappc_b64 s[30:31], s[6:7]
	; divergent unreachable
.LBB483_10:
	s_endpgm
.LBB483_11:
	s_mov_b64 s[18:19], 0
	s_branch .LBB483_2
	.section	.rodata,"a",@progbits
	.p2align	6, 0x0
	.amdhsa_kernel _Z39paged_attention_ll4mi_QKV_mfma16_kernelIDF16_hLN4vllm18Fp8KVCacheDataTypeE1EDF16_Li16ELi128ELi256ELb1ELi2EL8MFMAType1EEvPKT_PKT0_S8_ifPKiSA_SA_iPKfiiiPfSD_PS3_PT2_iSC_SC_
		.amdhsa_group_segment_fixed_size 8192
		.amdhsa_private_segment_fixed_size 64
		.amdhsa_kernarg_size 400
		.amdhsa_user_sgpr_count 8
		.amdhsa_user_sgpr_private_segment_buffer 1
		.amdhsa_user_sgpr_dispatch_ptr 0
		.amdhsa_user_sgpr_queue_ptr 0
		.amdhsa_user_sgpr_kernarg_segment_ptr 1
		.amdhsa_user_sgpr_dispatch_id 0
		.amdhsa_user_sgpr_flat_scratch_init 1
		.amdhsa_user_sgpr_kernarg_preload_length 0
		.amdhsa_user_sgpr_kernarg_preload_offset 0
		.amdhsa_user_sgpr_private_segment_size 0
		.amdhsa_uses_dynamic_stack 0
		.amdhsa_system_sgpr_private_segment_wavefront_offset 1
		.amdhsa_system_sgpr_workgroup_id_x 1
		.amdhsa_system_sgpr_workgroup_id_y 1
		.amdhsa_system_sgpr_workgroup_id_z 1
		.amdhsa_system_sgpr_workgroup_info 0
		.amdhsa_system_vgpr_workitem_id 0
		.amdhsa_next_free_vgpr 45
		.amdhsa_next_free_sgpr 34
		.amdhsa_accum_offset 44
		.amdhsa_reserve_vcc 1
		.amdhsa_reserve_flat_scratch 1
		.amdhsa_float_round_mode_32 0
		.amdhsa_float_round_mode_16_64 0
		.amdhsa_float_denorm_mode_32 3
		.amdhsa_float_denorm_mode_16_64 3
		.amdhsa_dx10_clamp 1
		.amdhsa_ieee_mode 1
		.amdhsa_fp16_overflow 0
		.amdhsa_tg_split 0
		.amdhsa_exception_fp_ieee_invalid_op 0
		.amdhsa_exception_fp_denorm_src 0
		.amdhsa_exception_fp_ieee_div_zero 0
		.amdhsa_exception_fp_ieee_overflow 0
		.amdhsa_exception_fp_ieee_underflow 0
		.amdhsa_exception_fp_ieee_inexact 0
		.amdhsa_exception_int_div_zero 0
	.end_amdhsa_kernel
	.section	.text._Z39paged_attention_ll4mi_QKV_mfma16_kernelIDF16_hLN4vllm18Fp8KVCacheDataTypeE1EDF16_Li16ELi128ELi256ELb1ELi2EL8MFMAType1EEvPKT_PKT0_S8_ifPKiSA_SA_iPKfiiiPfSD_PS3_PT2_iSC_SC_,"axG",@progbits,_Z39paged_attention_ll4mi_QKV_mfma16_kernelIDF16_hLN4vllm18Fp8KVCacheDataTypeE1EDF16_Li16ELi128ELi256ELb1ELi2EL8MFMAType1EEvPKT_PKT0_S8_ifPKiSA_SA_iPKfiiiPfSD_PS3_PT2_iSC_SC_,comdat
.Lfunc_end483:
	.size	_Z39paged_attention_ll4mi_QKV_mfma16_kernelIDF16_hLN4vllm18Fp8KVCacheDataTypeE1EDF16_Li16ELi128ELi256ELb1ELi2EL8MFMAType1EEvPKT_PKT0_S8_ifPKiSA_SA_iPKfiiiPfSD_PS3_PT2_iSC_SC_, .Lfunc_end483-_Z39paged_attention_ll4mi_QKV_mfma16_kernelIDF16_hLN4vllm18Fp8KVCacheDataTypeE1EDF16_Li16ELi128ELi256ELb1ELi2EL8MFMAType1EEvPKT_PKT0_S8_ifPKiSA_SA_iPKfiiiPfSD_PS3_PT2_iSC_SC_
                                        ; -- End function
	.section	.AMDGPU.csdata,"",@progbits
; Kernel info:
; codeLenInByte = 488
; NumSgprs: 40
; NumVgprs: 42
; NumAgprs: 1
; TotalNumVgprs: 45
; ScratchSize: 64
; MemoryBound: 0
; FloatMode: 240
; IeeeMode: 1
; LDSByteSize: 8192 bytes/workgroup (compile time only)
; SGPRBlocks: 4
; VGPRBlocks: 5
; NumSGPRsForWavesPerEU: 40
; NumVGPRsForWavesPerEU: 45
; AccumOffset: 44
; Occupancy: 8
; WaveLimiterHint : 1
; COMPUTE_PGM_RSRC2:SCRATCH_EN: 1
; COMPUTE_PGM_RSRC2:USER_SGPR: 8
; COMPUTE_PGM_RSRC2:TRAP_HANDLER: 0
; COMPUTE_PGM_RSRC2:TGID_X_EN: 1
; COMPUTE_PGM_RSRC2:TGID_Y_EN: 1
; COMPUTE_PGM_RSRC2:TGID_Z_EN: 1
; COMPUTE_PGM_RSRC2:TIDIG_COMP_CNT: 0
; COMPUTE_PGM_RSRC3_GFX90A:ACCUM_OFFSET: 10
; COMPUTE_PGM_RSRC3_GFX90A:TG_SPLIT: 0
	.section	.text._Z39paged_attention_ll4mi_QKV_mfma16_kernelIDF16_hLN4vllm18Fp8KVCacheDataTypeE1EDF16_Li16ELi128ELi256ELb1ELi3EL8MFMAType1EEvPKT_PKT0_S8_ifPKiSA_SA_iPKfiiiPfSD_PS3_PT2_iSC_SC_,"axG",@progbits,_Z39paged_attention_ll4mi_QKV_mfma16_kernelIDF16_hLN4vllm18Fp8KVCacheDataTypeE1EDF16_Li16ELi128ELi256ELb1ELi3EL8MFMAType1EEvPKT_PKT0_S8_ifPKiSA_SA_iPKfiiiPfSD_PS3_PT2_iSC_SC_,comdat
	.protected	_Z39paged_attention_ll4mi_QKV_mfma16_kernelIDF16_hLN4vllm18Fp8KVCacheDataTypeE1EDF16_Li16ELi128ELi256ELb1ELi3EL8MFMAType1EEvPKT_PKT0_S8_ifPKiSA_SA_iPKfiiiPfSD_PS3_PT2_iSC_SC_ ; -- Begin function _Z39paged_attention_ll4mi_QKV_mfma16_kernelIDF16_hLN4vllm18Fp8KVCacheDataTypeE1EDF16_Li16ELi128ELi256ELb1ELi3EL8MFMAType1EEvPKT_PKT0_S8_ifPKiSA_SA_iPKfiiiPfSD_PS3_PT2_iSC_SC_
	.globl	_Z39paged_attention_ll4mi_QKV_mfma16_kernelIDF16_hLN4vllm18Fp8KVCacheDataTypeE1EDF16_Li16ELi128ELi256ELb1ELi3EL8MFMAType1EEvPKT_PKT0_S8_ifPKiSA_SA_iPKfiiiPfSD_PS3_PT2_iSC_SC_
	.p2align	8
	.type	_Z39paged_attention_ll4mi_QKV_mfma16_kernelIDF16_hLN4vllm18Fp8KVCacheDataTypeE1EDF16_Li16ELi128ELi256ELb1ELi3EL8MFMAType1EEvPKT_PKT0_S8_ifPKiSA_SA_iPKfiiiPfSD_PS3_PT2_iSC_SC_,@function
_Z39paged_attention_ll4mi_QKV_mfma16_kernelIDF16_hLN4vllm18Fp8KVCacheDataTypeE1EDF16_Li16ELi128ELi256ELb1ELi3EL8MFMAType1EEvPKT_PKT0_S8_ifPKiSA_SA_iPKfiiiPfSD_PS3_PT2_iSC_SC_: ; @_Z39paged_attention_ll4mi_QKV_mfma16_kernelIDF16_hLN4vllm18Fp8KVCacheDataTypeE1EDF16_Li16ELi128ELi256ELb1ELi3EL8MFMAType1EEvPKT_PKT0_S8_ifPKiSA_SA_iPKfiiiPfSD_PS3_PT2_iSC_SC_
; %bb.0:
	s_load_dwordx2 s[12:13], s[4:5], 0x30
	s_add_u32 flat_scratch_lo, s6, s11
	s_addc_u32 flat_scratch_hi, s7, 0
	s_add_u32 s0, s0, s11
	s_addc_u32 s1, s1, 0
	s_waitcnt lgkmcnt(0)
	s_cmp_lg_u64 s[12:13], 0
	s_cselect_b64 s[14:15], -1, 0
	s_mov_b32 s6, s9
	s_mov_b64 s[16:17], 0
	s_and_b64 vcc, exec, s[14:15]
	s_mov_b32 s32, 0
	s_cbranch_vccz .LBB484_11
; %bb.1:
	s_add_i32 s18, s8, 1
	s_mov_b32 s19, 0
	s_lshl_b64 s[20:21], s[18:19], 2
	s_add_u32 s20, s12, s20
	s_mov_b32 s9, s19
	s_addc_u32 s21, s13, s21
	s_lshl_b64 s[18:19], s[8:9], 2
	s_add_u32 s18, s12, s18
	s_addc_u32 s19, s13, s19
	s_load_dword s7, s[20:21], 0x0
	s_load_dword s11, s[18:19], 0x0
	s_waitcnt lgkmcnt(0)
	s_sub_i32 s7, s7, s11
	s_cmp_eq_u32 s7, 1
	s_cselect_b64 s[18:19], -1, 0
	s_andn2_b64 vcc, exec, s[16:17]
	s_cbranch_vccnz .LBB484_3
.LBB484_2:
	s_mov_b32 s9, 0
	s_mov_b64 s[18:19], -1
.LBB484_3:
	s_andn2_b64 vcc, exec, s[18:19]
	s_cbranch_vccnz .LBB484_10
; %bb.4:
	s_load_dwordx2 s[18:19], s[4:5], 0x28
	s_lshl_b64 s[16:17], s[8:9], 2
	s_waitcnt lgkmcnt(0)
	s_add_u32 s18, s18, s16
	s_addc_u32 s19, s19, s17
	s_load_dword s7, s[18:19], 0x0
	s_lshl_b32 s6, s6, 8
	s_waitcnt lgkmcnt(0)
	s_cmp_ge_i32 s6, s7
	s_cbranch_scc1 .LBB484_10
; %bb.5:
	s_andn2_b64 vcc, exec, s[14:15]
	s_cbranch_vccnz .LBB484_7
; %bb.6:
	s_add_u32 s6, s12, s16
	s_addc_u32 s7, s13, s17
	s_load_dword s8, s[6:7], 0x0
.LBB484_7:
	v_cmp_gt_u32_e32 vcc, 48, v0
	s_and_saveexec_b64 s[6:7], vcc
	s_cbranch_execz .LBB484_9
; %bb.8:
	s_load_dword s11, s[4:5], 0x48
	s_load_dwordx2 s[12:13], s[4:5], 0x0
	v_lshrrev_b32_e32 v1, 4, v0
	s_mul_i32 s10, s10, 3
	v_add_lshl_u32 v2, v1, s10, 7
	s_waitcnt lgkmcnt(0)
	s_ashr_i32 s9, s11, 31
	s_mul_hi_u32 s14, s8, s11
	s_mul_i32 s9, s8, s9
	s_add_i32 s9, s14, s9
	s_mul_i32 s8, s8, s11
	s_lshl_b64 s[8:9], s[8:9], 1
	s_add_u32 s8, s12, s8
	v_ashrrev_i32_e32 v3, 31, v2
	s_addc_u32 s9, s13, s9
	v_lshlrev_b64 v[2:3], 1, v[2:3]
	v_and_b32_e32 v4, 15, v0
	v_mov_b32_e32 v5, s9
	v_add_co_u32_e32 v2, vcc, s8, v2
	v_addc_co_u32_e32 v3, vcc, v5, v3, vcc
	v_lshlrev_b32_e32 v4, 4, v4
	v_add_co_u32_e32 v2, vcc, v2, v4
	v_addc_co_u32_e32 v3, vcc, 0, v3, vcc
	global_load_dwordx4 v[2:5], v[2:3], off
	v_lshlrev_b32_e32 v6, 4, v0
	v_lshlrev_b32_e32 v0, 8, v0
	v_and_b32_e32 v6, 16, v6
	v_lshlrev_b32_e32 v1, 5, v1
	v_and_b32_e32 v0, 0xe00, v0
	v_or3_b32 v0, v0, v1, v6
	s_waitcnt vmcnt(0)
	ds_write_b128 v0, v[2:5]
.LBB484_9:
	s_or_b64 exec, exec, s[6:7]
	s_waitcnt lgkmcnt(0)
	s_add_u32 s8, s4, 0x90
	s_addc_u32 s9, s5, 0
	s_getpc_b64 s[4:5]
	s_add_u32 s4, s4, __PRETTY_FUNCTION__._Z39paged_attention_ll4mi_QKV_mfma16_kernelIDF16_hLN4vllm18Fp8KVCacheDataTypeE1EDF16_Li16ELi128ELi256ELb1ELi3EL8MFMAType1EEvPKT_PKT0_S8_ifPKiSA_SA_iPKfiiiPfSD_PS3_PT2_iSC_SC_@rel32@lo+4
	s_addc_u32 s5, s5, __PRETTY_FUNCTION__._Z39paged_attention_ll4mi_QKV_mfma16_kernelIDF16_hLN4vllm18Fp8KVCacheDataTypeE1EDF16_Li16ELi128ELi256ELb1ELi3EL8MFMAType1EEvPKT_PKT0_S8_ifPKiSA_SA_iPKfiiiPfSD_PS3_PT2_iSC_SC_@rel32@hi+12
	v_mov_b32_e32 v0, 0x288
	v_mov_b32_e32 v1, s4
	;; [unrolled: 1-line block ×3, first 2 shown]
	s_barrier
	s_getpc_b64 s[6:7]
	s_add_u32 s6, s6, __assert_fail@rel32@lo+4
	s_addc_u32 s7, s7, __assert_fail@rel32@hi+12
	s_swappc_b64 s[30:31], s[6:7]
	; divergent unreachable
.LBB484_10:
	s_endpgm
.LBB484_11:
	s_mov_b64 s[18:19], 0
	s_branch .LBB484_2
	.section	.rodata,"a",@progbits
	.p2align	6, 0x0
	.amdhsa_kernel _Z39paged_attention_ll4mi_QKV_mfma16_kernelIDF16_hLN4vllm18Fp8KVCacheDataTypeE1EDF16_Li16ELi128ELi256ELb1ELi3EL8MFMAType1EEvPKT_PKT0_S8_ifPKiSA_SA_iPKfiiiPfSD_PS3_PT2_iSC_SC_
		.amdhsa_group_segment_fixed_size 8192
		.amdhsa_private_segment_fixed_size 64
		.amdhsa_kernarg_size 400
		.amdhsa_user_sgpr_count 8
		.amdhsa_user_sgpr_private_segment_buffer 1
		.amdhsa_user_sgpr_dispatch_ptr 0
		.amdhsa_user_sgpr_queue_ptr 0
		.amdhsa_user_sgpr_kernarg_segment_ptr 1
		.amdhsa_user_sgpr_dispatch_id 0
		.amdhsa_user_sgpr_flat_scratch_init 1
		.amdhsa_user_sgpr_kernarg_preload_length 0
		.amdhsa_user_sgpr_kernarg_preload_offset 0
		.amdhsa_user_sgpr_private_segment_size 0
		.amdhsa_uses_dynamic_stack 0
		.amdhsa_system_sgpr_private_segment_wavefront_offset 1
		.amdhsa_system_sgpr_workgroup_id_x 1
		.amdhsa_system_sgpr_workgroup_id_y 1
		.amdhsa_system_sgpr_workgroup_id_z 1
		.amdhsa_system_sgpr_workgroup_info 0
		.amdhsa_system_vgpr_workitem_id 0
		.amdhsa_next_free_vgpr 45
		.amdhsa_next_free_sgpr 34
		.amdhsa_accum_offset 44
		.amdhsa_reserve_vcc 1
		.amdhsa_reserve_flat_scratch 1
		.amdhsa_float_round_mode_32 0
		.amdhsa_float_round_mode_16_64 0
		.amdhsa_float_denorm_mode_32 3
		.amdhsa_float_denorm_mode_16_64 3
		.amdhsa_dx10_clamp 1
		.amdhsa_ieee_mode 1
		.amdhsa_fp16_overflow 0
		.amdhsa_tg_split 0
		.amdhsa_exception_fp_ieee_invalid_op 0
		.amdhsa_exception_fp_denorm_src 0
		.amdhsa_exception_fp_ieee_div_zero 0
		.amdhsa_exception_fp_ieee_overflow 0
		.amdhsa_exception_fp_ieee_underflow 0
		.amdhsa_exception_fp_ieee_inexact 0
		.amdhsa_exception_int_div_zero 0
	.end_amdhsa_kernel
	.section	.text._Z39paged_attention_ll4mi_QKV_mfma16_kernelIDF16_hLN4vllm18Fp8KVCacheDataTypeE1EDF16_Li16ELi128ELi256ELb1ELi3EL8MFMAType1EEvPKT_PKT0_S8_ifPKiSA_SA_iPKfiiiPfSD_PS3_PT2_iSC_SC_,"axG",@progbits,_Z39paged_attention_ll4mi_QKV_mfma16_kernelIDF16_hLN4vllm18Fp8KVCacheDataTypeE1EDF16_Li16ELi128ELi256ELb1ELi3EL8MFMAType1EEvPKT_PKT0_S8_ifPKiSA_SA_iPKfiiiPfSD_PS3_PT2_iSC_SC_,comdat
.Lfunc_end484:
	.size	_Z39paged_attention_ll4mi_QKV_mfma16_kernelIDF16_hLN4vllm18Fp8KVCacheDataTypeE1EDF16_Li16ELi128ELi256ELb1ELi3EL8MFMAType1EEvPKT_PKT0_S8_ifPKiSA_SA_iPKfiiiPfSD_PS3_PT2_iSC_SC_, .Lfunc_end484-_Z39paged_attention_ll4mi_QKV_mfma16_kernelIDF16_hLN4vllm18Fp8KVCacheDataTypeE1EDF16_Li16ELi128ELi256ELb1ELi3EL8MFMAType1EEvPKT_PKT0_S8_ifPKiSA_SA_iPKfiiiPfSD_PS3_PT2_iSC_SC_
                                        ; -- End function
	.section	.AMDGPU.csdata,"",@progbits
; Kernel info:
; codeLenInByte = 488
; NumSgprs: 40
; NumVgprs: 42
; NumAgprs: 1
; TotalNumVgprs: 45
; ScratchSize: 64
; MemoryBound: 0
; FloatMode: 240
; IeeeMode: 1
; LDSByteSize: 8192 bytes/workgroup (compile time only)
; SGPRBlocks: 4
; VGPRBlocks: 5
; NumSGPRsForWavesPerEU: 40
; NumVGPRsForWavesPerEU: 45
; AccumOffset: 44
; Occupancy: 8
; WaveLimiterHint : 1
; COMPUTE_PGM_RSRC2:SCRATCH_EN: 1
; COMPUTE_PGM_RSRC2:USER_SGPR: 8
; COMPUTE_PGM_RSRC2:TRAP_HANDLER: 0
; COMPUTE_PGM_RSRC2:TGID_X_EN: 1
; COMPUTE_PGM_RSRC2:TGID_Y_EN: 1
; COMPUTE_PGM_RSRC2:TGID_Z_EN: 1
; COMPUTE_PGM_RSRC2:TIDIG_COMP_CNT: 0
; COMPUTE_PGM_RSRC3_GFX90A:ACCUM_OFFSET: 10
; COMPUTE_PGM_RSRC3_GFX90A:TG_SPLIT: 0
	.section	.text._Z39paged_attention_ll4mi_QKV_mfma16_kernelIDF16_hLN4vllm18Fp8KVCacheDataTypeE1EDF16_Li16ELi128ELi256ELb1ELi4EL8MFMAType1EEvPKT_PKT0_S8_ifPKiSA_SA_iPKfiiiPfSD_PS3_PT2_iSC_SC_,"axG",@progbits,_Z39paged_attention_ll4mi_QKV_mfma16_kernelIDF16_hLN4vllm18Fp8KVCacheDataTypeE1EDF16_Li16ELi128ELi256ELb1ELi4EL8MFMAType1EEvPKT_PKT0_S8_ifPKiSA_SA_iPKfiiiPfSD_PS3_PT2_iSC_SC_,comdat
	.protected	_Z39paged_attention_ll4mi_QKV_mfma16_kernelIDF16_hLN4vllm18Fp8KVCacheDataTypeE1EDF16_Li16ELi128ELi256ELb1ELi4EL8MFMAType1EEvPKT_PKT0_S8_ifPKiSA_SA_iPKfiiiPfSD_PS3_PT2_iSC_SC_ ; -- Begin function _Z39paged_attention_ll4mi_QKV_mfma16_kernelIDF16_hLN4vllm18Fp8KVCacheDataTypeE1EDF16_Li16ELi128ELi256ELb1ELi4EL8MFMAType1EEvPKT_PKT0_S8_ifPKiSA_SA_iPKfiiiPfSD_PS3_PT2_iSC_SC_
	.globl	_Z39paged_attention_ll4mi_QKV_mfma16_kernelIDF16_hLN4vllm18Fp8KVCacheDataTypeE1EDF16_Li16ELi128ELi256ELb1ELi4EL8MFMAType1EEvPKT_PKT0_S8_ifPKiSA_SA_iPKfiiiPfSD_PS3_PT2_iSC_SC_
	.p2align	8
	.type	_Z39paged_attention_ll4mi_QKV_mfma16_kernelIDF16_hLN4vllm18Fp8KVCacheDataTypeE1EDF16_Li16ELi128ELi256ELb1ELi4EL8MFMAType1EEvPKT_PKT0_S8_ifPKiSA_SA_iPKfiiiPfSD_PS3_PT2_iSC_SC_,@function
_Z39paged_attention_ll4mi_QKV_mfma16_kernelIDF16_hLN4vllm18Fp8KVCacheDataTypeE1EDF16_Li16ELi128ELi256ELb1ELi4EL8MFMAType1EEvPKT_PKT0_S8_ifPKiSA_SA_iPKfiiiPfSD_PS3_PT2_iSC_SC_: ; @_Z39paged_attention_ll4mi_QKV_mfma16_kernelIDF16_hLN4vllm18Fp8KVCacheDataTypeE1EDF16_Li16ELi128ELi256ELb1ELi4EL8MFMAType1EEvPKT_PKT0_S8_ifPKiSA_SA_iPKfiiiPfSD_PS3_PT2_iSC_SC_
; %bb.0:
	s_load_dwordx2 s[12:13], s[4:5], 0x30
	s_add_u32 flat_scratch_lo, s6, s11
	s_addc_u32 flat_scratch_hi, s7, 0
	s_add_u32 s0, s0, s11
	s_addc_u32 s1, s1, 0
	s_waitcnt lgkmcnt(0)
	s_cmp_lg_u64 s[12:13], 0
	s_cselect_b64 s[14:15], -1, 0
	s_mov_b32 s6, s9
	s_mov_b64 s[16:17], 0
	s_and_b64 vcc, exec, s[14:15]
	s_mov_b32 s32, 0
	s_cbranch_vccz .LBB485_11
; %bb.1:
	s_add_i32 s18, s8, 1
	s_mov_b32 s19, 0
	s_lshl_b64 s[20:21], s[18:19], 2
	s_add_u32 s20, s12, s20
	s_mov_b32 s9, s19
	s_addc_u32 s21, s13, s21
	s_lshl_b64 s[18:19], s[8:9], 2
	s_add_u32 s18, s12, s18
	s_addc_u32 s19, s13, s19
	s_load_dword s7, s[20:21], 0x0
	s_load_dword s11, s[18:19], 0x0
	s_waitcnt lgkmcnt(0)
	s_sub_i32 s7, s7, s11
	s_cmp_eq_u32 s7, 1
	s_cselect_b64 s[18:19], -1, 0
	s_andn2_b64 vcc, exec, s[16:17]
	s_cbranch_vccnz .LBB485_3
.LBB485_2:
	s_mov_b32 s9, 0
	s_mov_b64 s[18:19], -1
.LBB485_3:
	s_andn2_b64 vcc, exec, s[18:19]
	s_cbranch_vccnz .LBB485_10
; %bb.4:
	s_load_dwordx2 s[18:19], s[4:5], 0x28
	s_lshl_b64 s[16:17], s[8:9], 2
	s_waitcnt lgkmcnt(0)
	s_add_u32 s18, s18, s16
	s_addc_u32 s19, s19, s17
	s_load_dword s7, s[18:19], 0x0
	s_lshl_b32 s6, s6, 8
	s_waitcnt lgkmcnt(0)
	s_cmp_ge_i32 s6, s7
	s_cbranch_scc1 .LBB485_10
; %bb.5:
	s_andn2_b64 vcc, exec, s[14:15]
	s_cbranch_vccnz .LBB485_7
; %bb.6:
	s_add_u32 s6, s12, s16
	s_addc_u32 s7, s13, s17
	s_load_dword s8, s[6:7], 0x0
.LBB485_7:
	v_cmp_gt_u32_e32 vcc, 64, v0
	s_and_saveexec_b64 s[6:7], vcc
	s_cbranch_execz .LBB485_9
; %bb.8:
	s_load_dword s11, s[4:5], 0x48
	s_load_dwordx2 s[12:13], s[4:5], 0x0
	v_lshrrev_b32_e32 v6, 4, v0
	v_lshlrev_b32_e32 v2, 7, v6
	v_lshl_or_b32 v2, s10, 9, v2
	s_waitcnt lgkmcnt(0)
	s_ashr_i32 s9, s11, 31
	s_mul_hi_u32 s14, s8, s11
	s_mul_i32 s9, s8, s9
	s_add_i32 s9, s14, s9
	s_mul_i32 s8, s8, s11
	s_lshl_b64 s[8:9], s[8:9], 1
	s_add_u32 s8, s12, s8
	v_ashrrev_i32_e32 v3, 31, v2
	s_addc_u32 s9, s13, s9
	v_lshlrev_b64 v[2:3], 1, v[2:3]
	v_and_b32_e32 v1, 15, v0
	v_mov_b32_e32 v4, s9
	v_add_co_u32_e32 v2, vcc, s8, v2
	v_addc_co_u32_e32 v3, vcc, v4, v3, vcc
	v_lshlrev_b32_e32 v1, 4, v1
	v_add_co_u32_e32 v2, vcc, v2, v1
	v_addc_co_u32_e32 v3, vcc, 0, v3, vcc
	global_load_dwordx4 v[2:5], v[2:3], off
	v_lshlrev_b32_e32 v1, 4, v0
	v_lshlrev_b32_e32 v0, 8, v0
	v_and_b32_e32 v1, 16, v1
	v_lshlrev_b32_e32 v6, 5, v6
	v_and_b32_e32 v0, 0xe00, v0
	v_or3_b32 v0, v0, v6, v1
	s_waitcnt vmcnt(0)
	ds_write_b128 v0, v[2:5]
.LBB485_9:
	s_or_b64 exec, exec, s[6:7]
	s_waitcnt lgkmcnt(0)
	s_add_u32 s8, s4, 0x90
	s_addc_u32 s9, s5, 0
	s_getpc_b64 s[4:5]
	s_add_u32 s4, s4, __PRETTY_FUNCTION__._Z39paged_attention_ll4mi_QKV_mfma16_kernelIDF16_hLN4vllm18Fp8KVCacheDataTypeE1EDF16_Li16ELi128ELi256ELb1ELi4EL8MFMAType1EEvPKT_PKT0_S8_ifPKiSA_SA_iPKfiiiPfSD_PS3_PT2_iSC_SC_@rel32@lo+4
	s_addc_u32 s5, s5, __PRETTY_FUNCTION__._Z39paged_attention_ll4mi_QKV_mfma16_kernelIDF16_hLN4vllm18Fp8KVCacheDataTypeE1EDF16_Li16ELi128ELi256ELb1ELi4EL8MFMAType1EEvPKT_PKT0_S8_ifPKiSA_SA_iPKfiiiPfSD_PS3_PT2_iSC_SC_@rel32@hi+12
	v_mov_b32_e32 v0, 0x288
	v_mov_b32_e32 v1, s4
	;; [unrolled: 1-line block ×3, first 2 shown]
	s_barrier
	s_getpc_b64 s[6:7]
	s_add_u32 s6, s6, __assert_fail@rel32@lo+4
	s_addc_u32 s7, s7, __assert_fail@rel32@hi+12
	s_swappc_b64 s[30:31], s[6:7]
	; divergent unreachable
.LBB485_10:
	s_endpgm
.LBB485_11:
	s_mov_b64 s[18:19], 0
	s_branch .LBB485_2
	.section	.rodata,"a",@progbits
	.p2align	6, 0x0
	.amdhsa_kernel _Z39paged_attention_ll4mi_QKV_mfma16_kernelIDF16_hLN4vllm18Fp8KVCacheDataTypeE1EDF16_Li16ELi128ELi256ELb1ELi4EL8MFMAType1EEvPKT_PKT0_S8_ifPKiSA_SA_iPKfiiiPfSD_PS3_PT2_iSC_SC_
		.amdhsa_group_segment_fixed_size 8192
		.amdhsa_private_segment_fixed_size 64
		.amdhsa_kernarg_size 400
		.amdhsa_user_sgpr_count 8
		.amdhsa_user_sgpr_private_segment_buffer 1
		.amdhsa_user_sgpr_dispatch_ptr 0
		.amdhsa_user_sgpr_queue_ptr 0
		.amdhsa_user_sgpr_kernarg_segment_ptr 1
		.amdhsa_user_sgpr_dispatch_id 0
		.amdhsa_user_sgpr_flat_scratch_init 1
		.amdhsa_user_sgpr_kernarg_preload_length 0
		.amdhsa_user_sgpr_kernarg_preload_offset 0
		.amdhsa_user_sgpr_private_segment_size 0
		.amdhsa_uses_dynamic_stack 0
		.amdhsa_system_sgpr_private_segment_wavefront_offset 1
		.amdhsa_system_sgpr_workgroup_id_x 1
		.amdhsa_system_sgpr_workgroup_id_y 1
		.amdhsa_system_sgpr_workgroup_id_z 1
		.amdhsa_system_sgpr_workgroup_info 0
		.amdhsa_system_vgpr_workitem_id 0
		.amdhsa_next_free_vgpr 45
		.amdhsa_next_free_sgpr 34
		.amdhsa_accum_offset 44
		.amdhsa_reserve_vcc 1
		.amdhsa_reserve_flat_scratch 1
		.amdhsa_float_round_mode_32 0
		.amdhsa_float_round_mode_16_64 0
		.amdhsa_float_denorm_mode_32 3
		.amdhsa_float_denorm_mode_16_64 3
		.amdhsa_dx10_clamp 1
		.amdhsa_ieee_mode 1
		.amdhsa_fp16_overflow 0
		.amdhsa_tg_split 0
		.amdhsa_exception_fp_ieee_invalid_op 0
		.amdhsa_exception_fp_denorm_src 0
		.amdhsa_exception_fp_ieee_div_zero 0
		.amdhsa_exception_fp_ieee_overflow 0
		.amdhsa_exception_fp_ieee_underflow 0
		.amdhsa_exception_fp_ieee_inexact 0
		.amdhsa_exception_int_div_zero 0
	.end_amdhsa_kernel
	.section	.text._Z39paged_attention_ll4mi_QKV_mfma16_kernelIDF16_hLN4vllm18Fp8KVCacheDataTypeE1EDF16_Li16ELi128ELi256ELb1ELi4EL8MFMAType1EEvPKT_PKT0_S8_ifPKiSA_SA_iPKfiiiPfSD_PS3_PT2_iSC_SC_,"axG",@progbits,_Z39paged_attention_ll4mi_QKV_mfma16_kernelIDF16_hLN4vllm18Fp8KVCacheDataTypeE1EDF16_Li16ELi128ELi256ELb1ELi4EL8MFMAType1EEvPKT_PKT0_S8_ifPKiSA_SA_iPKfiiiPfSD_PS3_PT2_iSC_SC_,comdat
.Lfunc_end485:
	.size	_Z39paged_attention_ll4mi_QKV_mfma16_kernelIDF16_hLN4vllm18Fp8KVCacheDataTypeE1EDF16_Li16ELi128ELi256ELb1ELi4EL8MFMAType1EEvPKT_PKT0_S8_ifPKiSA_SA_iPKfiiiPfSD_PS3_PT2_iSC_SC_, .Lfunc_end485-_Z39paged_attention_ll4mi_QKV_mfma16_kernelIDF16_hLN4vllm18Fp8KVCacheDataTypeE1EDF16_Li16ELi128ELi256ELb1ELi4EL8MFMAType1EEvPKT_PKT0_S8_ifPKiSA_SA_iPKfiiiPfSD_PS3_PT2_iSC_SC_
                                        ; -- End function
	.section	.AMDGPU.csdata,"",@progbits
; Kernel info:
; codeLenInByte = 488
; NumSgprs: 40
; NumVgprs: 42
; NumAgprs: 1
; TotalNumVgprs: 45
; ScratchSize: 64
; MemoryBound: 0
; FloatMode: 240
; IeeeMode: 1
; LDSByteSize: 8192 bytes/workgroup (compile time only)
; SGPRBlocks: 4
; VGPRBlocks: 5
; NumSGPRsForWavesPerEU: 40
; NumVGPRsForWavesPerEU: 45
; AccumOffset: 44
; Occupancy: 8
; WaveLimiterHint : 1
; COMPUTE_PGM_RSRC2:SCRATCH_EN: 1
; COMPUTE_PGM_RSRC2:USER_SGPR: 8
; COMPUTE_PGM_RSRC2:TRAP_HANDLER: 0
; COMPUTE_PGM_RSRC2:TGID_X_EN: 1
; COMPUTE_PGM_RSRC2:TGID_Y_EN: 1
; COMPUTE_PGM_RSRC2:TGID_Z_EN: 1
; COMPUTE_PGM_RSRC2:TIDIG_COMP_CNT: 0
; COMPUTE_PGM_RSRC3_GFX90A:ACCUM_OFFSET: 10
; COMPUTE_PGM_RSRC3_GFX90A:TG_SPLIT: 0
	.section	.text._Z38paged_attention_ll4mi_QKV_mfma4_kernelIDF16_hLN4vllm18Fp8KVCacheDataTypeE1EDF16_Li16ELi128ELi256ELb0ELi1EEvPKT_PKT0_S7_ifPKiS9_S9_iPKfiiiPfSC_PS2_PT2_iSB_SB_,"axG",@progbits,_Z38paged_attention_ll4mi_QKV_mfma4_kernelIDF16_hLN4vllm18Fp8KVCacheDataTypeE1EDF16_Li16ELi128ELi256ELb0ELi1EEvPKT_PKT0_S7_ifPKiS9_S9_iPKfiiiPfSC_PS2_PT2_iSB_SB_,comdat
	.protected	_Z38paged_attention_ll4mi_QKV_mfma4_kernelIDF16_hLN4vllm18Fp8KVCacheDataTypeE1EDF16_Li16ELi128ELi256ELb0ELi1EEvPKT_PKT0_S7_ifPKiS9_S9_iPKfiiiPfSC_PS2_PT2_iSB_SB_ ; -- Begin function _Z38paged_attention_ll4mi_QKV_mfma4_kernelIDF16_hLN4vllm18Fp8KVCacheDataTypeE1EDF16_Li16ELi128ELi256ELb0ELi1EEvPKT_PKT0_S7_ifPKiS9_S9_iPKfiiiPfSC_PS2_PT2_iSB_SB_
	.globl	_Z38paged_attention_ll4mi_QKV_mfma4_kernelIDF16_hLN4vllm18Fp8KVCacheDataTypeE1EDF16_Li16ELi128ELi256ELb0ELi1EEvPKT_PKT0_S7_ifPKiS9_S9_iPKfiiiPfSC_PS2_PT2_iSB_SB_
	.p2align	8
	.type	_Z38paged_attention_ll4mi_QKV_mfma4_kernelIDF16_hLN4vllm18Fp8KVCacheDataTypeE1EDF16_Li16ELi128ELi256ELb0ELi1EEvPKT_PKT0_S7_ifPKiS9_S9_iPKfiiiPfSC_PS2_PT2_iSB_SB_,@function
_Z38paged_attention_ll4mi_QKV_mfma4_kernelIDF16_hLN4vllm18Fp8KVCacheDataTypeE1EDF16_Li16ELi128ELi256ELb0ELi1EEvPKT_PKT0_S7_ifPKiS9_S9_iPKfiiiPfSC_PS2_PT2_iSB_SB_: ; @_Z38paged_attention_ll4mi_QKV_mfma4_kernelIDF16_hLN4vllm18Fp8KVCacheDataTypeE1EDF16_Li16ELi128ELi256ELb0ELi1EEvPKT_PKT0_S7_ifPKiS9_S9_iPKfiiiPfSC_PS2_PT2_iSB_SB_
; %bb.0:
	s_load_dwordx2 s[24:25], s[4:5], 0x30
	s_add_u32 s0, s0, s11
	s_addc_u32 s1, s1, 0
	s_mov_b32 s28, s9
	s_mov_b64 s[6:7], 0
	s_waitcnt lgkmcnt(0)
	s_cmp_lg_u64 s[24:25], 0
	s_cselect_b64 s[26:27], -1, 0
	s_and_b64 vcc, exec, s[26:27]
	s_cbranch_vccz .LBB486_10
; %bb.1:
	s_add_i32 s12, s8, 1
	s_mov_b32 s13, 0
	s_lshl_b64 s[14:15], s[12:13], 2
	s_add_u32 s14, s24, s14
	s_mov_b32 s9, s13
	s_addc_u32 s15, s25, s15
	s_lshl_b64 s[12:13], s[8:9], 2
	s_add_u32 s12, s24, s12
	s_addc_u32 s13, s25, s13
	s_load_dword s11, s[14:15], 0x0
	s_load_dword s16, s[12:13], 0x0
	s_waitcnt lgkmcnt(0)
	s_sub_i32 s11, s11, s16
	s_cmp_eq_u32 s11, 1
	s_cselect_b64 s[12:13], -1, 0
	s_andn2_b64 vcc, exec, s[6:7]
	s_cbranch_vccnz .LBB486_3
.LBB486_2:
	s_mov_b32 s9, 0
	s_mov_b64 s[12:13], -1
.LBB486_3:
	s_andn2_b64 vcc, exec, s[12:13]
	s_cbranch_vccnz .LBB486_1178
; %bb.4:
	s_load_dword s11, s[4:5], 0x9c
	s_load_dwordx2 s[6:7], s[4:5], 0x28
	s_add_u32 s34, s4, 0x90
	s_addc_u32 s35, s5, 0
	s_lshl_b64 s[38:39], s[8:9], 2
	s_waitcnt lgkmcnt(0)
	s_and_b32 s11, s11, 0xffff
	s_add_u32 s6, s6, s38
	s_addc_u32 s7, s7, s39
	s_load_dword s9, s[6:7], 0x0
	s_mul_i32 s14, s28, s11
	s_waitcnt lgkmcnt(0)
	s_cmp_ge_i32 s14, s9
	s_cbranch_scc1 .LBB486_1178
; %bb.5:
	v_and_b32_e32 v1, 0xc0, v0
	v_add_u32_e32 v7, s14, v1
	v_lshrrev_b32_e32 v42, 6, v0
	v_cmp_le_i32_e64 s[6:7], s9, v7
                                        ; implicit-def: $sgpr29
                                        ; implicit-def: $sgpr15
	s_and_saveexec_b64 s[12:13], s[6:7]
	s_xor_b64 s[12:13], exec, s[12:13]
	s_cbranch_execz .LBB486_7
; %bb.6:
	v_mul_u32_u24_e32 v1, 20, v42
	v_or_b32_e32 v1, 0x1400, v1
	v_mov_b32_e32 v2, 0x1450
	v_mov_b32_e32 v3, 0xff7fffff
	v_mad_u32_u24 v2, v42, 20, v2
	ds_write2_b32 v1, v3, v3 offset1:1
	v_mov_b32_e32 v1, 0
	ds_write2_b32 v2, v1, v1 offset1:1
	v_mov_b32_e32 v2, 0x1408
	s_mov_b32 s15, 0xff7fffff
	s_mov_b32 s29, 0
	v_mad_u32_u24 v2, v42, 20, v2
	v_mov_b32_e32 v4, 0x1458
	v_mad_u32_u24 v4, v42, 20, v4
	ds_write2_b32 v2, v3, v3 offset1:1
	ds_write2_b32 v4, v1, v1 offset1:1
                                        ; implicit-def: $vgpr7
.LBB486_7:
	s_or_saveexec_b64 s[36:37], s[12:13]
	s_load_dwordx2 s[30:31], s[4:5], 0x68
	s_load_dwordx4 s[20:23], s[4:5], 0x58
	s_load_dword s11, s[34:35], 0x4
	s_load_dwordx4 s[16:19], s[4:5], 0x80
	v_and_b32_e32 v1, 63, v0
	v_and_b32_e32 v43, 3, v0
	v_mov_b32_e32 v5, s29
	v_mov_b32_e32 v6, s15
	;; [unrolled: 1-line block ×5, first 2 shown]
	s_xor_b64 exec, exec, s[36:37]
	s_cbranch_execz .LBB486_785
; %bb.8:
	s_add_i32 s29, s9, 15
	s_load_dwordx2 s[12:13], s[4:5], 0x20
	s_load_dword s15, s[4:5], 0x38
	s_ashr_i32 s33, s29, 31
	s_lshr_b32 s33, s33, 28
	v_add_u32_e32 v44, s14, v0
	s_add_i32 s29, s29, s33
	v_ashrrev_i32_e32 v2, 31, v44
	s_ashr_i32 s29, s29, 4
	v_lshrrev_b32_e32 v2, 28, v2
	s_add_i32 s29, s29, -1
	v_add_u32_e32 v2, v44, v2
	s_waitcnt lgkmcnt(0)
	s_mul_i32 s40, s8, s15
	s_mov_b32 s41, 0
	v_ashrrev_i32_e32 v2, 4, v2
	v_mov_b32_e32 v3, s29
	v_cmp_gt_i32_e32 vcc, s9, v44
	s_lshl_b64 s[40:41], s[40:41], 2
	v_cndmask_b32_e32 v2, v3, v2, vcc
	s_add_u32 s12, s12, s40
	v_ashrrev_i32_e32 v3, 31, v2
	s_addc_u32 s13, s13, s41
	v_lshlrev_b64 v[2:3], 2, v[2:3]
	v_mov_b32_e32 v4, s13
	v_add_co_u32_e32 v2, vcc, s12, v2
	v_addc_co_u32_e32 v3, vcc, v4, v3, vcc
	v_ashrrev_i32_e32 v4, 31, v7
	v_lshrrev_b32_e32 v4, 28, v4
	v_add_u32_e32 v4, v7, v4
	v_ashrrev_i32_e32 v8, 4, v4
	v_min_i32_e32 v4, s29, v8
	v_ashrrev_i32_e32 v5, 31, v4
	v_lshlrev_b64 v[4:5], 2, v[4:5]
	v_mov_b32_e32 v6, s13
	v_add_co_u32_e32 v4, vcc, s12, v4
	v_addc_co_u32_e32 v5, vcc, v6, v5, vcc
	v_add_u32_e32 v6, 1, v8
	v_min_i32_e32 v6, s29, v6
	v_ashrrev_i32_e32 v7, 31, v6
	v_lshlrev_b64 v[6:7], 2, v[6:7]
	v_add_co_u32_e32 v12, vcc, s12, v6
	v_add_u32_e32 v6, 2, v8
	v_mov_b32_e32 v9, s13
	v_min_i32_e32 v6, s29, v6
	v_addc_co_u32_e32 v13, vcc, v9, v7, vcc
	v_ashrrev_i32_e32 v7, 31, v6
	v_lshlrev_b64 v[6:7], 2, v[6:7]
	v_add_co_u32_e32 v14, vcc, s12, v6
	v_add_u32_e32 v6, 3, v8
	v_min_i32_e32 v6, s29, v6
	v_addc_co_u32_e32 v15, vcc, v9, v7, vcc
	v_ashrrev_i32_e32 v7, 31, v6
	v_lshlrev_b64 v[6:7], 2, v[6:7]
	v_mov_b32_e32 v8, s13
	v_add_co_u32_e32 v16, vcc, s12, v6
	v_addc_co_u32_e32 v17, vcc, v8, v7, vcc
	global_load_dword v7, v[2:3], off
	global_load_dword v10, v[4:5], off
	;; [unrolled: 1-line block ×5, first 2 shown]
	s_load_dwordx4 s[12:15], s[4:5], 0x8
	s_andn2_b64 vcc, exec, s[26:27]
	s_cbranch_vccnz .LBB486_11
; %bb.9:
	s_add_u32 s24, s24, s38
	s_addc_u32 s25, s25, s39
	s_load_dword s29, s[24:25], 0x0
	s_branch .LBB486_12
.LBB486_10:
	s_mov_b64 s[12:13], 0
	s_branch .LBB486_2
.LBB486_11:
	s_mov_b32 s29, s8
.LBB486_12:
	s_load_dwordx4 s[24:27], s[4:5], 0x48
	v_cmp_eq_u32_e32 vcc, 0, v43
	s_mov_b32 s41, 0
	v_mov_b32_e32 v39, 0
	v_mov_b32_e32 v2, 0
	;; [unrolled: 1-line block ×5, first 2 shown]
	s_and_saveexec_b64 s[38:39], vcc
	s_cbranch_execz .LBB486_14
; %bb.13:
	s_load_dwordx2 s[42:43], s[4:5], 0x0
	s_waitcnt lgkmcnt(0)
	s_ashr_i32 s27, s24, 31
	s_mul_hi_u32 s33, s29, s24
	s_mul_i32 s27, s29, s27
	s_add_i32 s45, s33, s27
	s_mul_i32 s44, s29, s24
	s_lshl_b64 s[44:45], s[44:45], 1
	s_add_u32 s24, s42, s44
	s_addc_u32 s27, s43, s45
	s_lshl_b32 s40, s10, 7
	s_lshl_b64 s[40:41], s[40:41], 1
	s_add_u32 s40, s24, s40
	s_addc_u32 s41, s27, s41
	v_lshlrev_b32_e32 v2, 2, v1
	global_load_dwordx4 v[2:5], v2, s[40:41]
.LBB486_14:
	s_or_b64 exec, exec, s[38:39]
	s_waitcnt lgkmcnt(0)
	s_mul_i32 s24, s10, s26
	s_waitcnt vmcnt(3)
	v_mul_hi_i32 v11, v10, s25
	s_add_u32 s26, s24, s12
	v_ashrrev_i32_e32 v11, 31, v11
	s_addc_u32 s27, 0, s13
	v_lshrrev_b32_e32 v38, 29, v11
	s_add_u32 s24, s14, s24
	v_mad_i64_i32 v[10:11], s[12:13], v10, s25, v[38:39]
	s_addc_u32 s29, s15, 0
	v_and_b32_e32 v10, -8, v10
	v_mov_b32_e32 v12, s29
	v_add_co_u32_e64 v10, s[12:13], s24, v10
	v_addc_co_u32_e64 v11, s[12:13], v12, v11, s[12:13]
	v_lshlrev_b32_e32 v45, 4, v1
	v_add_co_u32_e64 v14, s[12:13], v10, v45
	v_addc_co_u32_e64 v15, s[12:13], 0, v11, s[12:13]
	global_load_dwordx4 v[10:13], v[14:15], off
	global_load_dwordx4 v[46:49], v[14:15], off offset:1024
	s_waitcnt vmcnt(4)
	v_mul_hi_i32 v14, v9, s25
	v_ashrrev_i32_e32 v14, 31, v14
	v_lshrrev_b32_e32 v38, 29, v14
	v_mad_i64_i32 v[14:15], s[12:13], v9, s25, v[38:39]
	v_and_b32_e32 v9, -8, v14
	v_mov_b32_e32 v14, s29
	v_add_co_u32_e64 v9, s[12:13], s24, v9
	v_addc_co_u32_e64 v15, s[12:13], v14, v15, s[12:13]
	v_add_co_u32_e64 v14, s[12:13], v9, v45
	v_addc_co_u32_e64 v15, s[12:13], 0, v15, s[12:13]
	global_load_dwordx4 v[50:53], v[14:15], off
	global_load_dwordx4 v[54:57], v[14:15], off offset:1024
	s_waitcnt vmcnt(5)
	v_mul_hi_i32 v14, v8, s25
	s_waitcnt vmcnt(4)
	v_mul_hi_i32 v15, v6, s25
	v_lshlrev_b32_e32 v9, 4, v0
	v_ashrrev_i32_e32 v16, 31, v14
	v_ashrrev_i32_e32 v17, 31, v15
	v_pk_mov_b32 v[14:15], s[26:27], s[26:27] op_sel:[0,1]
	v_and_b32_e32 v9, 0xf0, v9
	v_mad_i64_i32 v[14:15], s[12:13], v7, s25, v[14:15]
	v_lshrrev_b32_e32 v38, 29, v16
	v_add_co_u32_e64 v40, s[12:13], v14, v9
	v_mad_i64_i32 v[8:9], s[14:15], v8, s25, v[38:39]
	v_lshrrev_b32_e32 v38, 29, v17
	v_addc_co_u32_e64 v41, s[12:13], 0, v15, s[12:13]
	v_and_b32_e32 v8, -8, v8
	v_mad_i64_i32 v[6:7], s[12:13], v6, s25, v[38:39]
	v_mov_b32_e32 v14, s29
	v_add_co_u32_e64 v8, s[12:13], s24, v8
	v_addc_co_u32_e64 v9, s[12:13], v14, v9, s[12:13]
	v_add_co_u32_e64 v8, s[12:13], v8, v45
	v_addc_co_u32_e64 v9, s[12:13], 0, v9, s[12:13]
	v_and_b32_e32 v6, -8, v6
	v_mov_b32_e32 v58, s29
	v_add_co_u32_e64 v6, s[12:13], s24, v6
	v_addc_co_u32_e64 v7, s[12:13], v58, v7, s[12:13]
	global_load_dwordx4 v[34:37], v[40:41], off
	global_load_dwordx4 v[30:33], v[40:41], off offset:256
	global_load_dwordx4 v[26:29], v[40:41], off offset:512
	global_load_dwordx4 v[22:25], v[40:41], off offset:768
	global_load_dwordx4 v[18:21], v[40:41], off offset:1024
	global_load_dwordx4 v[14:17], v[40:41], off offset:1280
	v_add_co_u32_e64 v6, s[12:13], v6, v45
	v_addc_co_u32_e64 v7, s[12:13], 0, v7, s[12:13]
	v_mov_b32_e32 v45, 0
	s_waitcnt vmcnt(9)
	buffer_store_dword v11, off, s[0:3], 0 offset:4
	buffer_store_dword v10, off, s[0:3], 0
	buffer_store_dword v13, off, s[0:3], 0 offset:12
	buffer_store_dword v12, off, s[0:3], 0 offset:8
	global_load_dwordx4 v[58:61], v[8:9], off
	global_load_dwordx4 v[62:65], v[8:9], off offset:1024
	s_waitcnt vmcnt(14)
	buffer_store_dword v47, off, s[0:3], 0 offset:68
	buffer_store_dword v46, off, s[0:3], 0 offset:64
	buffer_store_dword v49, off, s[0:3], 0 offset:76
	buffer_store_dword v48, off, s[0:3], 0 offset:72
	global_load_dwordx4 v[46:49], v[6:7], off
	s_waitcnt vmcnt(18)
	buffer_store_dword v51, off, s[0:3], 0 offset:20
	buffer_store_dword v50, off, s[0:3], 0 offset:16
	buffer_store_dword v53, off, s[0:3], 0 offset:28
	buffer_store_dword v52, off, s[0:3], 0 offset:24
	global_load_dwordx4 v[50:53], v[6:7], off offset:1024
	s_waitcnt vmcnt(22)
	buffer_store_dword v55, off, s[0:3], 0 offset:84
	buffer_store_dword v54, off, s[0:3], 0 offset:80
	;; [unrolled: 1-line block ×4, first 2 shown]
	global_load_dwordx4 v[10:13], v[40:41], off offset:1536
	global_load_dwordx4 v[6:9], v[40:41], off offset:1792
	s_waitcnt vmcnt(17)
	buffer_store_dword v59, off, s[0:3], 0 offset:36
	buffer_store_dword v58, off, s[0:3], 0 offset:32
	buffer_store_dword v61, off, s[0:3], 0 offset:44
	buffer_store_dword v60, off, s[0:3], 0 offset:40
	s_waitcnt vmcnt(20)
	buffer_store_dword v63, off, s[0:3], 0 offset:100
	buffer_store_dword v62, off, s[0:3], 0 offset:96
	buffer_store_dword v65, off, s[0:3], 0 offset:108
	buffer_store_dword v64, off, s[0:3], 0 offset:104
	;; [unrolled: 5-line block ×4, first 2 shown]
	v_cmp_ne_u16_sdwa s[12:13], v34, v39 src0_sel:BYTE_0 src1_sel:DWORD
	s_and_saveexec_b64 s[14:15], s[12:13]
	s_cbranch_execz .LBB486_20
; %bb.15:
	s_movk_i32 s12, 0x80
	v_cmp_ne_u16_sdwa s[12:13], v34, s12 src0_sel:BYTE_0 src1_sel:DWORD
	v_bfrev_b32_e32 v45, 1
	s_and_saveexec_b64 s[24:25], s[12:13]
	s_cbranch_execz .LBB486_19
; %bb.16:
	s_movk_i32 s12, 0x7f
	v_and_b32_e32 v38, 0x7f, v34
	v_cmp_ne_u32_e64 s[12:13], s12, v38
	v_mov_b32_e32 v45, 0x7f800001
	s_and_saveexec_b64 s[26:27], s[12:13]
	s_cbranch_execz .LBB486_18
; %bb.17:
	v_and_b32_e32 v40, 7, v34
	v_ffbh_u32_e32 v40, v40
	v_min_u32_e32 v40, 32, v40
	v_lshrrev_b32_e32 v41, 3, v38
	v_subrev_u32_e32 v45, 28, v40
	v_sub_u32_e32 v40, 29, v40
	v_cmp_gt_u32_e64 s[12:13], 8, v38
	v_cndmask_b32_e64 v38, v41, v40, s[12:13]
	v_cndmask_b32_e64 v40, 0, v45, s[12:13]
	v_lshlrev_b64 v[40:41], v40, v[34:35]
	v_lshlrev_b32_e32 v40, 20, v40
	v_lshlrev_b32_e32 v41, 24, v34
	v_bfrev_b32_e32 v45, 60
	v_and_b32_e32 v40, 0x700000, v40
	v_and_b32_e32 v41, 0x80000000, v41
	v_lshl_add_u32 v38, v38, 23, v45
	v_or3_b32 v45, v41, v38, v40
.LBB486_18:
	s_or_b64 exec, exec, s[26:27]
.LBB486_19:
	s_or_b64 exec, exec, s[24:25]
.LBB486_20:
	s_or_b64 exec, exec, s[14:15]
	v_lshrrev_b16_e32 v38, 8, v34
	v_cmp_ne_u16_e64 s[12:13], 0, v38
	s_and_saveexec_b64 s[14:15], s[12:13]
	s_cbranch_execz .LBB486_26
; %bb.21:
	s_movk_i32 s12, 0x80
	v_cmp_ne_u16_e64 s[12:13], s12, v38
	v_bfrev_b32_e32 v39, 1
	s_and_saveexec_b64 s[24:25], s[12:13]
	s_cbranch_execz .LBB486_25
; %bb.22:
	s_movk_i32 s12, 0x7f
	v_and_b32_e32 v40, 0x7f, v38
	v_cmp_ne_u32_e64 s[12:13], s12, v40
	v_mov_b32_e32 v39, 0x7f800001
	s_and_saveexec_b64 s[26:27], s[12:13]
	s_cbranch_execz .LBB486_24
; %bb.23:
	v_and_b32_e32 v41, 7, v38
	v_ffbh_u32_e32 v39, v41
	v_min_u32_e32 v47, 32, v39
	v_subrev_u32_e32 v39, 28, v47
	v_lshlrev_b64 v[38:39], v39, v[38:39]
	v_lshrrev_b32_e32 v46, 3, v40
	v_sub_u32_e32 v39, 29, v47
	v_and_b32_e32 v38, 7, v38
	v_cmp_gt_u32_e64 s[12:13], 8, v40
	v_cndmask_b32_e64 v39, v46, v39, s[12:13]
	v_cndmask_b32_e64 v38, v41, v38, s[12:13]
	v_lshlrev_b32_e32 v40, 16, v34
	v_bfrev_b32_e32 v41, 60
	v_lshlrev_b32_e32 v38, 20, v38
	v_and_b32_e32 v40, 0x80000000, v40
	v_lshl_add_u32 v39, v39, 23, v41
	v_or3_b32 v39, v40, v39, v38
.LBB486_24:
	s_or_b64 exec, exec, s[26:27]
.LBB486_25:
	s_or_b64 exec, exec, s[24:25]
.LBB486_26:
	s_or_b64 exec, exec, s[14:15]
	s_movk_i32 s12, 0xff
	v_and_b32_sdwa v40, v34, s12 dst_sel:DWORD dst_unused:UNUSED_PAD src0_sel:WORD_1 src1_sel:DWORD
	v_lshrrev_b32_e32 v38, 16, v34
	v_cmp_ne_u16_e64 s[12:13], 0, v40
	v_mov_b32_e32 v46, 0
	v_mov_b32_e32 v47, 0
	s_and_saveexec_b64 s[14:15], s[12:13]
	s_cbranch_execz .LBB486_32
; %bb.27:
	s_movk_i32 s12, 0x80
	v_cmp_ne_u16_e64 s[12:13], s12, v40
	v_bfrev_b32_e32 v47, 1
	s_and_saveexec_b64 s[24:25], s[12:13]
	s_cbranch_execz .LBB486_31
; %bb.28:
	v_bfe_u32 v40, v34, 16, 7
	s_movk_i32 s12, 0x7f
	v_cmp_ne_u32_e64 s[12:13], s12, v40
	v_mov_b32_e32 v47, 0x7f800001
	s_and_saveexec_b64 s[26:27], s[12:13]
	s_cbranch_execz .LBB486_30
; %bb.29:
	v_and_b32_e32 v41, 7, v38
	v_ffbh_u32_e32 v48, v41
	v_min_u32_e32 v50, 32, v48
	v_subrev_u32_e32 v48, 28, v50
	v_lshlrev_b64 v[48:49], v48, v[38:39]
	v_and_b32_e32 v48, 7, v48
	v_cmp_gt_u32_e64 s[12:13], 8, v40
	v_lshrrev_b32_e32 v47, 3, v40
	v_sub_u32_e32 v38, 29, v50
	v_cndmask_b32_e64 v40, v41, v48, s[12:13]
	v_mov_b32_e32 v41, 24
	v_cndmask_b32_e64 v38, v47, v38, s[12:13]
	v_lshlrev_b32_sdwa v41, v41, v34 dst_sel:DWORD dst_unused:UNUSED_PAD src0_sel:DWORD src1_sel:WORD_1
	v_bfrev_b32_e32 v47, 60
	v_lshlrev_b32_e32 v40, 20, v40
	v_and_b32_e32 v41, 0x80000000, v41
	v_lshl_add_u32 v38, v38, 23, v47
	v_or3_b32 v47, v41, v38, v40
.LBB486_30:
	s_or_b64 exec, exec, s[26:27]
.LBB486_31:
	s_or_b64 exec, exec, s[24:25]
.LBB486_32:
	s_or_b64 exec, exec, s[14:15]
	s_mov_b32 s12, 0xffffff
	v_cmp_lt_u32_e64 s[12:13], s12, v34
	s_and_saveexec_b64 s[14:15], s[12:13]
	s_cbranch_execz .LBB486_38
; %bb.33:
	v_lshrrev_b32_e32 v38, 24, v34
	s_movk_i32 s12, 0x80
	v_cmp_ne_u32_e64 s[12:13], s12, v38
	v_bfrev_b32_e32 v46, 1
	s_and_saveexec_b64 s[24:25], s[12:13]
	s_cbranch_execz .LBB486_37
; %bb.34:
	v_bfe_u32 v40, v34, 24, 7
	s_movk_i32 s12, 0x7f
	v_cmp_ne_u32_e64 s[12:13], s12, v40
	v_mov_b32_e32 v46, 0x7f800001
	s_and_saveexec_b64 s[26:27], s[12:13]
	s_cbranch_execz .LBB486_36
; %bb.35:
	v_and_b32_e32 v41, 7, v38
	v_ffbh_u32_e32 v48, v41
	v_min_u32_e32 v50, 32, v48
	v_subrev_u32_e32 v48, 28, v50
	v_lshlrev_b64 v[48:49], v48, v[38:39]
	v_lshrrev_b32_e32 v46, 3, v40
	v_sub_u32_e32 v49, 29, v50
	v_and_b32_e32 v48, 7, v48
	v_cmp_gt_u32_e64 s[12:13], 8, v40
	v_cndmask_b32_e64 v40, v46, v49, s[12:13]
	v_cndmask_b32_e64 v41, v41, v48, s[12:13]
	v_lshlrev_b32_e32 v38, 24, v38
	v_bfrev_b32_e32 v46, 60
	v_lshlrev_b32_e32 v41, 20, v41
	v_and_b32_e32 v38, 0x80000000, v38
	v_lshl_add_u32 v40, v40, 23, v46
	v_or3_b32 v46, v38, v40, v41
.LBB486_36:
	s_or_b64 exec, exec, s[26:27]
.LBB486_37:
	s_or_b64 exec, exec, s[24:25]
.LBB486_38:
	s_or_b64 exec, exec, s[14:15]
	v_mov_b32_e32 v41, 0
	v_mov_b32_e32 v40, v35
	v_cmp_ne_u16_sdwa s[12:13], v35, v41 src0_sel:BYTE_0 src1_sel:DWORD
	v_mov_b32_e32 v48, v41
	s_and_saveexec_b64 s[14:15], s[12:13]
	s_cbranch_execz .LBB486_44
; %bb.39:
	s_movk_i32 s12, 0x80
	v_cmp_ne_u16_sdwa s[12:13], v35, s12 src0_sel:BYTE_0 src1_sel:DWORD
	v_bfrev_b32_e32 v48, 1
	s_and_saveexec_b64 s[24:25], s[12:13]
	s_cbranch_execz .LBB486_43
; %bb.40:
	s_movk_i32 s12, 0x7f
	v_and_b32_e32 v38, 0x7f, v35
	v_cmp_ne_u32_e64 s[12:13], s12, v38
	v_mov_b32_e32 v48, 0x7f800001
	s_and_saveexec_b64 s[26:27], s[12:13]
	s_cbranch_execz .LBB486_42
; %bb.41:
	v_and_b32_e32 v48, 7, v35
	v_ffbh_u32_e32 v48, v48
	v_min_u32_e32 v48, 32, v48
	v_lshrrev_b32_e32 v49, 3, v38
	v_subrev_u32_e32 v50, 28, v48
	v_sub_u32_e32 v48, 29, v48
	v_cmp_gt_u32_e64 s[12:13], 8, v38
	v_cndmask_b32_e64 v38, v49, v48, s[12:13]
	v_cndmask_b32_e64 v48, 0, v50, s[12:13]
	v_lshlrev_b64 v[48:49], v48, v[40:41]
	v_lshlrev_b32_e32 v48, 20, v48
	v_lshlrev_b32_e32 v49, 24, v40
	v_bfrev_b32_e32 v50, 60
	v_and_b32_e32 v48, 0x700000, v48
	v_and_b32_e32 v49, 0x80000000, v49
	v_lshl_add_u32 v38, v38, 23, v50
	v_or3_b32 v48, v49, v38, v48
.LBB486_42:
	s_or_b64 exec, exec, s[26:27]
.LBB486_43:
	s_or_b64 exec, exec, s[24:25]
.LBB486_44:
	s_or_b64 exec, exec, s[14:15]
	v_lshrrev_b16_e32 v38, 8, v40
	v_cmp_ne_u16_e64 s[12:13], 0, v38
	s_and_saveexec_b64 s[14:15], s[12:13]
	s_cbranch_execz .LBB486_50
; %bb.45:
	s_movk_i32 s12, 0x80
	v_cmp_ne_u16_e64 s[12:13], s12, v38
	v_bfrev_b32_e32 v41, 1
	s_and_saveexec_b64 s[24:25], s[12:13]
	s_cbranch_execz .LBB486_49
; %bb.46:
	s_movk_i32 s12, 0x7f
	v_and_b32_e32 v49, 0x7f, v38
	v_cmp_ne_u32_e64 s[12:13], s12, v49
	v_mov_b32_e32 v41, 0x7f800001
	s_and_saveexec_b64 s[26:27], s[12:13]
	s_cbranch_execz .LBB486_48
; %bb.47:
	v_and_b32_e32 v41, 7, v38
	v_ffbh_u32_e32 v50, v41
	v_min_u32_e32 v53, 32, v50
	v_subrev_u32_e32 v50, 28, v53
	v_lshlrev_b64 v[50:51], v50, v[38:39]
	v_lshrrev_b32_e32 v52, 3, v49
	v_sub_u32_e32 v38, 29, v53
	v_and_b32_e32 v50, 7, v50
	v_cmp_gt_u32_e64 s[12:13], 8, v49
	v_cndmask_b32_e64 v38, v52, v38, s[12:13]
	v_cndmask_b32_e64 v41, v41, v50, s[12:13]
	v_lshlrev_b32_e32 v40, 16, v40
	v_bfrev_b32_e32 v49, 60
	v_lshlrev_b32_e32 v41, 20, v41
	v_and_b32_e32 v40, 0x80000000, v40
	v_lshl_add_u32 v38, v38, 23, v49
	v_or3_b32 v41, v40, v38, v41
.LBB486_48:
	s_or_b64 exec, exec, s[26:27]
.LBB486_49:
	s_or_b64 exec, exec, s[24:25]
.LBB486_50:
	s_or_b64 exec, exec, s[14:15]
	s_movk_i32 s12, 0xff
	v_and_b32_sdwa v50, v35, s12 dst_sel:DWORD dst_unused:UNUSED_PAD src0_sel:WORD_1 src1_sel:DWORD
	v_lshrrev_b32_e32 v38, 16, v35
	v_cmp_ne_u16_e64 s[12:13], 0, v50
	v_mov_b32_e32 v40, 0
	v_mov_b32_e32 v49, 0
	s_and_saveexec_b64 s[14:15], s[12:13]
	s_cbranch_execz .LBB486_56
; %bb.51:
	s_movk_i32 s12, 0x80
	v_cmp_ne_u16_e64 s[12:13], s12, v50
	v_bfrev_b32_e32 v49, 1
	s_and_saveexec_b64 s[24:25], s[12:13]
	s_cbranch_execz .LBB486_55
; %bb.52:
	v_bfe_u32 v50, v35, 16, 7
	s_movk_i32 s12, 0x7f
	v_cmp_ne_u32_e64 s[12:13], s12, v50
	v_mov_b32_e32 v49, 0x7f800001
	s_and_saveexec_b64 s[26:27], s[12:13]
	s_cbranch_execz .LBB486_54
; %bb.53:
	v_and_b32_e32 v49, 7, v38
	v_ffbh_u32_e32 v52, v49
	v_min_u32_e32 v54, 32, v52
	v_subrev_u32_e32 v52, 28, v54
	v_lshlrev_b64 v[52:53], v52, v[38:39]
	v_lshrrev_b32_e32 v51, 3, v50
	v_sub_u32_e32 v38, 29, v54
	v_and_b32_e32 v52, 7, v52
	v_cmp_gt_u32_e64 s[12:13], 8, v50
	v_mov_b32_e32 v50, 24
	v_cndmask_b32_e64 v38, v51, v38, s[12:13]
	v_cndmask_b32_e64 v49, v49, v52, s[12:13]
	v_lshlrev_b32_sdwa v50, v50, v35 dst_sel:DWORD dst_unused:UNUSED_PAD src0_sel:DWORD src1_sel:WORD_1
	v_bfrev_b32_e32 v51, 60
	v_lshlrev_b32_e32 v49, 20, v49
	v_and_b32_e32 v50, 0x80000000, v50
	v_lshl_add_u32 v38, v38, 23, v51
	v_or3_b32 v49, v50, v38, v49
.LBB486_54:
	s_or_b64 exec, exec, s[26:27]
.LBB486_55:
	s_or_b64 exec, exec, s[24:25]
.LBB486_56:
	s_or_b64 exec, exec, s[14:15]
	s_mov_b32 s12, -1
	s_mov_b32 s13, 0xffffff
	v_cmp_lt_u64_e64 s[12:13], s[12:13], v[34:35]
	s_and_saveexec_b64 s[14:15], s[12:13]
	s_cbranch_execz .LBB486_62
; %bb.57:
	v_lshrrev_b32_e32 v34, 24, v35
	s_movk_i32 s12, 0x80
	v_cmp_ne_u32_e64 s[12:13], s12, v34
	v_bfrev_b32_e32 v40, 1
	s_and_saveexec_b64 s[24:25], s[12:13]
	s_cbranch_execz .LBB486_61
; %bb.58:
	v_bfe_u32 v35, v35, 24, 7
	s_movk_i32 s12, 0x7f
	v_cmp_ne_u32_e64 s[12:13], s12, v35
	v_mov_b32_e32 v40, 0x7f800001
	s_and_saveexec_b64 s[26:27], s[12:13]
	s_cbranch_execz .LBB486_60
; %bb.59:
	v_and_b32_e32 v38, 7, v34
	v_ffbh_u32_e32 v50, v38
	v_min_u32_e32 v52, 32, v50
	v_subrev_u32_e32 v50, 28, v52
	v_lshlrev_b64 v[50:51], v50, v[34:35]
	v_lshrrev_b32_e32 v40, 3, v35
	v_sub_u32_e32 v51, 29, v52
	v_and_b32_e32 v50, 7, v50
	v_cmp_gt_u32_e64 s[12:13], 8, v35
	v_cndmask_b32_e64 v35, v40, v51, s[12:13]
	v_cndmask_b32_e64 v38, v38, v50, s[12:13]
	v_lshlrev_b32_e32 v34, 24, v34
	v_bfrev_b32_e32 v40, 60
	v_lshlrev_b32_e32 v38, 20, v38
	v_and_b32_e32 v34, 0x80000000, v34
	v_lshl_add_u32 v35, v35, 23, v40
	v_or3_b32 v40, v34, v35, v38
.LBB486_60:
	s_or_b64 exec, exec, s[26:27]
.LBB486_61:
	s_or_b64 exec, exec, s[24:25]
.LBB486_62:
	s_or_b64 exec, exec, s[14:15]
	v_cvt_pkrtz_f16_f32 v34, v45, v39
	v_cvt_pkrtz_f16_f32 v35, v47, v46
	;; [unrolled: 1-line block ×4, first 2 shown]
	v_mfma_f32_4x4x4f16 a[0:3], v[2:3], v[34:35], 0 cbsz:4
	v_mov_b32_e32 v40, 0
	v_mfma_f32_4x4x4f16 a[0:3], v[4:5], v[46:47], a[0:3] cbsz:4
	v_mov_b32_e32 v39, 0
	v_cmp_ne_u16_sdwa s[12:13], v36, v40 src0_sel:BYTE_0 src1_sel:DWORD
	s_and_saveexec_b64 s[14:15], s[12:13]
	s_cbranch_execz .LBB486_68
; %bb.63:
	s_movk_i32 s12, 0x80
	v_cmp_ne_u16_sdwa s[12:13], v36, s12 src0_sel:BYTE_0 src1_sel:DWORD
	v_bfrev_b32_e32 v39, 1
	s_and_saveexec_b64 s[24:25], s[12:13]
	s_cbranch_execz .LBB486_67
; %bb.64:
	s_movk_i32 s12, 0x7f
	v_and_b32_e32 v34, 0x7f, v36
	v_cmp_ne_u32_e64 s[12:13], s12, v34
	v_mov_b32_e32 v39, 0x7f800001
	s_and_saveexec_b64 s[26:27], s[12:13]
	s_cbranch_execz .LBB486_66
; %bb.65:
	v_and_b32_e32 v35, 7, v36
	v_ffbh_u32_e32 v35, v35
	v_min_u32_e32 v35, 32, v35
	v_subrev_u32_e32 v39, 28, v35
	v_cmp_gt_u32_e64 s[12:13], 8, v34
	v_lshrrev_b32_e32 v38, 3, v34
	v_sub_u32_e32 v35, 29, v35
	v_cndmask_b32_e64 v34, 0, v39, s[12:13]
	v_cndmask_b32_e64 v38, v38, v35, s[12:13]
	v_lshlrev_b64 v[34:35], v34, v[36:37]
	v_lshlrev_b32_e32 v34, 20, v34
	v_lshlrev_b32_e32 v35, 24, v36
	v_bfrev_b32_e32 v39, 60
	v_and_b32_e32 v34, 0x700000, v34
	v_and_b32_e32 v35, 0x80000000, v35
	v_lshl_add_u32 v38, v38, 23, v39
	v_or3_b32 v39, v35, v38, v34
.LBB486_66:
	s_or_b64 exec, exec, s[26:27]
.LBB486_67:
	s_or_b64 exec, exec, s[24:25]
.LBB486_68:
	s_or_b64 exec, exec, s[14:15]
	v_lshrrev_b16_e32 v34, 8, v36
	v_cmp_ne_u16_e64 s[12:13], 0, v34
	v_mov_b32_e32 v41, 0
	s_and_saveexec_b64 s[14:15], s[12:13]
	s_cbranch_execz .LBB486_74
; %bb.69:
	s_movk_i32 s12, 0x80
	v_cmp_ne_u16_e64 s[12:13], s12, v34
	v_bfrev_b32_e32 v41, 1
	s_and_saveexec_b64 s[24:25], s[12:13]
	s_cbranch_execz .LBB486_73
; %bb.70:
	s_movk_i32 s12, 0x7f
	v_and_b32_e32 v35, 0x7f, v34
	v_cmp_ne_u32_e64 s[12:13], s12, v35
	v_mov_b32_e32 v41, 0x7f800001
	s_and_saveexec_b64 s[26:27], s[12:13]
	s_cbranch_execz .LBB486_72
; %bb.71:
	v_and_b32_e32 v38, 7, v34
	v_ffbh_u32_e32 v45, v38
	v_min_u32_e32 v45, 32, v45
	v_subrev_u32_e32 v46, 28, v45
	v_lshlrev_b64 v[46:47], v46, v[34:35]
	v_lshrrev_b32_e32 v41, 3, v35
	v_sub_u32_e32 v34, 29, v45
	v_and_b32_e32 v45, 7, v46
	v_cmp_gt_u32_e64 s[12:13], 8, v35
	v_cndmask_b32_e64 v34, v41, v34, s[12:13]
	v_cndmask_b32_e64 v35, v38, v45, s[12:13]
	v_lshlrev_b32_e32 v38, 16, v36
	v_bfrev_b32_e32 v41, 60
	v_lshlrev_b32_e32 v35, 20, v35
	v_and_b32_e32 v38, 0x80000000, v38
	v_lshl_add_u32 v34, v34, 23, v41
	v_or3_b32 v41, v38, v34, v35
.LBB486_72:
	s_or_b64 exec, exec, s[26:27]
.LBB486_73:
	s_or_b64 exec, exec, s[24:25]
.LBB486_74:
	s_or_b64 exec, exec, s[14:15]
	s_movk_i32 s12, 0xff
	v_and_b32_sdwa v35, v36, s12 dst_sel:DWORD dst_unused:UNUSED_PAD src0_sel:WORD_1 src1_sel:DWORD
	v_lshrrev_b32_e32 v34, 16, v36
	v_cmp_ne_u16_e64 s[12:13], 0, v35
	s_and_saveexec_b64 s[14:15], s[12:13]
	s_cbranch_execz .LBB486_80
; %bb.75:
	s_movk_i32 s12, 0x80
	v_cmp_ne_u16_e64 s[12:13], s12, v35
	v_bfrev_b32_e32 v40, 1
	s_and_saveexec_b64 s[24:25], s[12:13]
	s_cbranch_execz .LBB486_79
; %bb.76:
	v_bfe_u32 v35, v36, 16, 7
	s_movk_i32 s12, 0x7f
	v_cmp_ne_u32_e64 s[12:13], s12, v35
	v_mov_b32_e32 v40, 0x7f800001
	s_and_saveexec_b64 s[26:27], s[12:13]
	s_cbranch_execz .LBB486_78
; %bb.77:
	v_and_b32_e32 v38, 7, v34
	v_ffbh_u32_e32 v45, v38
	v_min_u32_e32 v45, 32, v45
	v_subrev_u32_e32 v46, 28, v45
	v_lshlrev_b64 v[46:47], v46, v[34:35]
	v_sub_u32_e32 v34, 29, v45
	v_and_b32_e32 v45, 7, v46
	v_cmp_gt_u32_e64 s[12:13], 8, v35
	v_lshrrev_b32_e32 v40, 3, v35
	v_cndmask_b32_e64 v35, v38, v45, s[12:13]
	v_mov_b32_e32 v38, 24
	v_cndmask_b32_e64 v34, v40, v34, s[12:13]
	v_lshlrev_b32_sdwa v38, v38, v36 dst_sel:DWORD dst_unused:UNUSED_PAD src0_sel:DWORD src1_sel:WORD_1
	v_bfrev_b32_e32 v40, 60
	v_lshlrev_b32_e32 v35, 20, v35
	v_and_b32_e32 v38, 0x80000000, v38
	v_lshl_add_u32 v34, v34, 23, v40
	v_or3_b32 v40, v38, v34, v35
.LBB486_78:
	s_or_b64 exec, exec, s[26:27]
.LBB486_79:
	s_or_b64 exec, exec, s[24:25]
.LBB486_80:
	s_or_b64 exec, exec, s[14:15]
	s_mov_b32 s12, 0xffffff
	v_cmp_lt_u32_e64 s[12:13], s12, v36
	v_mov_b32_e32 v35, 0
	v_mov_b32_e32 v45, 0
	s_and_saveexec_b64 s[14:15], s[12:13]
	s_cbranch_execz .LBB486_86
; %bb.81:
	v_lshrrev_b32_e32 v34, 24, v36
	s_movk_i32 s12, 0x80
	v_cmp_ne_u32_e64 s[12:13], s12, v34
	v_bfrev_b32_e32 v45, 1
	s_and_saveexec_b64 s[24:25], s[12:13]
	s_cbranch_execz .LBB486_85
; %bb.82:
	v_bfe_u32 v38, v36, 24, 7
	s_movk_i32 s12, 0x7f
	v_cmp_ne_u32_e64 s[12:13], s12, v38
	v_mov_b32_e32 v45, 0x7f800001
	s_and_saveexec_b64 s[26:27], s[12:13]
	s_cbranch_execz .LBB486_84
; %bb.83:
	v_and_b32_e32 v45, 7, v34
	v_ffbh_u32_e32 v46, v45
	v_min_u32_e32 v49, 32, v46
	v_subrev_u32_e32 v46, 28, v49
	v_lshlrev_b64 v[46:47], v46, v[34:35]
	v_lshrrev_b32_e32 v48, 3, v38
	v_sub_u32_e32 v47, 29, v49
	v_and_b32_e32 v46, 7, v46
	v_cmp_gt_u32_e64 s[12:13], 8, v38
	v_cndmask_b32_e64 v38, v48, v47, s[12:13]
	v_cndmask_b32_e64 v45, v45, v46, s[12:13]
	v_lshlrev_b32_e32 v34, 24, v34
	v_bfrev_b32_e32 v46, 60
	v_lshlrev_b32_e32 v45, 20, v45
	v_and_b32_e32 v34, 0x80000000, v34
	v_lshl_add_u32 v38, v38, 23, v46
	v_or3_b32 v45, v34, v38, v45
.LBB486_84:
	s_or_b64 exec, exec, s[26:27]
.LBB486_85:
	s_or_b64 exec, exec, s[24:25]
.LBB486_86:
	s_or_b64 exec, exec, s[14:15]
	v_mov_b32_e32 v34, v37
	v_cmp_ne_u16_sdwa s[12:13], v37, v35 src0_sel:BYTE_0 src1_sel:DWORD
	s_and_saveexec_b64 s[14:15], s[12:13]
	s_cbranch_execz .LBB486_92
; %bb.87:
	s_movk_i32 s12, 0x80
	v_cmp_ne_u16_sdwa s[12:13], v37, s12 src0_sel:BYTE_0 src1_sel:DWORD
	v_bfrev_b32_e32 v38, 1
	s_and_saveexec_b64 s[24:25], s[12:13]
	s_cbranch_execz .LBB486_91
; %bb.88:
	s_movk_i32 s12, 0x7f
	v_and_b32_e32 v46, 0x7f, v37
	v_cmp_ne_u32_e64 s[12:13], s12, v46
	v_mov_b32_e32 v38, 0x7f800001
	s_and_saveexec_b64 s[26:27], s[12:13]
	s_cbranch_execz .LBB486_90
; %bb.89:
	v_and_b32_e32 v38, 7, v37
	v_ffbh_u32_e32 v38, v38
	v_min_u32_e32 v38, 32, v38
	v_subrev_u32_e32 v48, 28, v38
	v_cmp_gt_u32_e64 s[12:13], 8, v46
	v_lshrrev_b32_e32 v47, 3, v46
	v_sub_u32_e32 v38, 29, v38
	v_cndmask_b32_e64 v46, 0, v48, s[12:13]
	v_cndmask_b32_e64 v38, v47, v38, s[12:13]
	v_lshlrev_b64 v[46:47], v46, v[34:35]
	v_lshlrev_b32_e32 v35, 20, v46
	v_lshlrev_b32_e32 v46, 24, v34
	v_bfrev_b32_e32 v47, 60
	v_and_b32_e32 v35, 0x700000, v35
	v_and_b32_e32 v46, 0x80000000, v46
	v_lshl_add_u32 v38, v38, 23, v47
	v_or3_b32 v38, v46, v38, v35
.LBB486_90:
	s_or_b64 exec, exec, s[26:27]
.LBB486_91:
	s_or_b64 exec, exec, s[24:25]
	v_mov_b32_e32 v35, v38
.LBB486_92:
	s_or_b64 exec, exec, s[14:15]
	v_lshrrev_b16_e32 v38, 8, v34
	v_cmp_ne_u16_e64 s[12:13], 0, v38
	v_mov_b32_e32 v46, 0
	v_mov_b32_e32 v47, 0
	s_and_saveexec_b64 s[14:15], s[12:13]
	s_cbranch_execz .LBB486_98
; %bb.93:
	s_movk_i32 s12, 0x80
	v_cmp_ne_u16_e64 s[12:13], s12, v38
	v_bfrev_b32_e32 v47, 1
	s_and_saveexec_b64 s[24:25], s[12:13]
	s_cbranch_execz .LBB486_97
; %bb.94:
	s_movk_i32 s12, 0x7f
	v_and_b32_e32 v48, 0x7f, v38
	v_cmp_ne_u32_e64 s[12:13], s12, v48
	v_mov_b32_e32 v47, 0x7f800001
	s_and_saveexec_b64 s[26:27], s[12:13]
	s_cbranch_execz .LBB486_96
; %bb.95:
	v_and_b32_e32 v47, 7, v38
	v_ffbh_u32_e32 v50, v47
	v_min_u32_e32 v52, 32, v50
	v_subrev_u32_e32 v50, 28, v52
	v_lshlrev_b64 v[50:51], v50, v[38:39]
	v_lshrrev_b32_e32 v49, 3, v48
	v_sub_u32_e32 v38, 29, v52
	v_and_b32_e32 v50, 7, v50
	v_cmp_gt_u32_e64 s[12:13], 8, v48
	v_cndmask_b32_e64 v38, v49, v38, s[12:13]
	v_cndmask_b32_e64 v47, v47, v50, s[12:13]
	v_lshlrev_b32_e32 v34, 16, v34
	v_bfrev_b32_e32 v48, 60
	v_lshlrev_b32_e32 v47, 20, v47
	v_and_b32_e32 v34, 0x80000000, v34
	v_lshl_add_u32 v38, v38, 23, v48
	v_or3_b32 v47, v34, v38, v47
.LBB486_96:
	s_or_b64 exec, exec, s[26:27]
.LBB486_97:
	s_or_b64 exec, exec, s[24:25]
.LBB486_98:
	s_or_b64 exec, exec, s[14:15]
	s_movk_i32 s12, 0xff
	v_and_b32_sdwa v38, v37, s12 dst_sel:DWORD dst_unused:UNUSED_PAD src0_sel:WORD_1 src1_sel:DWORD
	v_lshrrev_b32_e32 v34, 16, v37
	v_cmp_ne_u16_e64 s[12:13], 0, v38
	s_and_saveexec_b64 s[14:15], s[12:13]
	s_cbranch_execz .LBB486_104
; %bb.99:
	s_movk_i32 s12, 0x80
	v_cmp_ne_u16_e64 s[12:13], s12, v38
	v_bfrev_b32_e32 v46, 1
	s_and_saveexec_b64 s[24:25], s[12:13]
	s_cbranch_execz .LBB486_103
; %bb.100:
	v_bfe_u32 v38, v37, 16, 7
	s_movk_i32 s12, 0x7f
	v_cmp_ne_u32_e64 s[12:13], s12, v38
	v_mov_b32_e32 v46, 0x7f800001
	s_and_saveexec_b64 s[26:27], s[12:13]
	s_cbranch_execz .LBB486_102
; %bb.101:
	v_and_b32_e32 v46, 7, v34
	v_ffbh_u32_e32 v48, v46
	v_min_u32_e32 v51, 32, v48
	v_subrev_u32_e32 v48, 28, v51
	v_lshlrev_b64 v[48:49], v48, v[34:35]
	v_and_b32_e32 v48, 7, v48
	v_cmp_gt_u32_e64 s[12:13], 8, v38
	v_lshrrev_b32_e32 v50, 3, v38
	v_sub_u32_e32 v34, 29, v51
	v_cndmask_b32_e64 v38, v46, v48, s[12:13]
	v_mov_b32_e32 v46, 24
	v_cndmask_b32_e64 v34, v50, v34, s[12:13]
	v_lshlrev_b32_sdwa v46, v46, v37 dst_sel:DWORD dst_unused:UNUSED_PAD src0_sel:DWORD src1_sel:WORD_1
	v_bfrev_b32_e32 v48, 60
	v_lshlrev_b32_e32 v38, 20, v38
	v_and_b32_e32 v46, 0x80000000, v46
	v_lshl_add_u32 v34, v34, 23, v48
	v_or3_b32 v46, v46, v34, v38
.LBB486_102:
	s_or_b64 exec, exec, s[26:27]
.LBB486_103:
	s_or_b64 exec, exec, s[24:25]
.LBB486_104:
	s_or_b64 exec, exec, s[14:15]
	s_mov_b32 s12, -1
	s_mov_b32 s13, 0xffffff
	v_cmp_lt_u64_e64 s[12:13], s[12:13], v[36:37]
	v_mov_b32_e32 v38, 0
	v_mov_b32_e32 v36, 0
	s_and_saveexec_b64 s[14:15], s[12:13]
	s_cbranch_execz .LBB486_110
; %bb.105:
	v_lshrrev_b32_e32 v34, 24, v37
	s_movk_i32 s12, 0x80
	v_cmp_ne_u32_e64 s[12:13], s12, v34
	v_bfrev_b32_e32 v36, 1
	s_and_saveexec_b64 s[24:25], s[12:13]
	s_cbranch_execz .LBB486_109
; %bb.106:
	v_bfe_u32 v37, v37, 24, 7
	s_movk_i32 s12, 0x7f
	v_cmp_ne_u32_e64 s[12:13], s12, v37
	v_mov_b32_e32 v36, 0x7f800001
	s_and_saveexec_b64 s[26:27], s[12:13]
	s_cbranch_execz .LBB486_108
; %bb.107:
	v_and_b32_e32 v36, 7, v34
	v_ffbh_u32_e32 v48, v36
	v_min_u32_e32 v51, 32, v48
	v_subrev_u32_e32 v48, 28, v51
	v_lshlrev_b64 v[48:49], v48, v[34:35]
	v_lshrrev_b32_e32 v50, 3, v37
	v_sub_u32_e32 v49, 29, v51
	v_and_b32_e32 v48, 7, v48
	v_cmp_gt_u32_e64 s[12:13], 8, v37
	v_cndmask_b32_e64 v37, v50, v49, s[12:13]
	v_cndmask_b32_e64 v36, v36, v48, s[12:13]
	v_lshlrev_b32_e32 v34, 24, v34
	v_bfrev_b32_e32 v48, 60
	v_lshlrev_b32_e32 v36, 20, v36
	v_and_b32_e32 v34, 0x80000000, v34
	v_lshl_add_u32 v37, v37, 23, v48
	v_or3_b32 v36, v34, v37, v36
.LBB486_108:
	s_or_b64 exec, exec, s[26:27]
.LBB486_109:
	s_or_b64 exec, exec, s[24:25]
.LBB486_110:
	s_or_b64 exec, exec, s[14:15]
	v_cvt_pkrtz_f16_f32 v48, v39, v41
	v_cvt_pkrtz_f16_f32 v49, v40, v45
	;; [unrolled: 1-line block ×4, first 2 shown]
	v_mfma_f32_4x4x4f16 a[0:3], v[2:3], v[48:49], a[0:3] cbsz:4 abid:1
	v_cmp_ne_u16_sdwa s[12:13], v30, v38 src0_sel:BYTE_0 src1_sel:DWORD
	v_mfma_f32_4x4x4f16 a[0:3], v[4:5], v[34:35], a[0:3] cbsz:4 abid:1
	s_and_saveexec_b64 s[14:15], s[12:13]
	s_cbranch_execz .LBB486_116
; %bb.111:
	s_movk_i32 s12, 0x80
	v_cmp_ne_u16_sdwa s[12:13], v30, s12 src0_sel:BYTE_0 src1_sel:DWORD
	v_bfrev_b32_e32 v38, 1
	s_and_saveexec_b64 s[24:25], s[12:13]
	s_cbranch_execz .LBB486_115
; %bb.112:
	s_movk_i32 s12, 0x7f
	v_and_b32_e32 v34, 0x7f, v30
	v_cmp_ne_u32_e64 s[12:13], s12, v34
	v_mov_b32_e32 v38, 0x7f800001
	s_and_saveexec_b64 s[26:27], s[12:13]
	s_cbranch_execz .LBB486_114
; %bb.113:
	v_and_b32_e32 v35, 7, v30
	v_ffbh_u32_e32 v35, v35
	v_min_u32_e32 v35, 32, v35
	v_subrev_u32_e32 v37, 28, v35
	v_cmp_gt_u32_e64 s[12:13], 8, v34
	v_lshrrev_b32_e32 v36, 3, v34
	v_sub_u32_e32 v35, 29, v35
	v_cndmask_b32_e64 v34, 0, v37, s[12:13]
	v_cndmask_b32_e64 v36, v36, v35, s[12:13]
	v_lshlrev_b64 v[34:35], v34, v[30:31]
	v_lshlrev_b32_e32 v34, 20, v34
	v_lshlrev_b32_e32 v35, 24, v30
	v_bfrev_b32_e32 v37, 60
	v_and_b32_e32 v34, 0x700000, v34
	v_and_b32_e32 v35, 0x80000000, v35
	v_lshl_add_u32 v36, v36, 23, v37
	v_or3_b32 v38, v35, v36, v34
.LBB486_114:
	s_or_b64 exec, exec, s[26:27]
.LBB486_115:
	s_or_b64 exec, exec, s[24:25]
.LBB486_116:
	s_or_b64 exec, exec, s[14:15]
	v_lshrrev_b16_e32 v34, 8, v30
	v_cmp_ne_u16_e64 s[12:13], 0, v34
	v_mov_b32_e32 v37, 0
	v_mov_b32_e32 v39, 0
	s_and_saveexec_b64 s[14:15], s[12:13]
	s_cbranch_execz .LBB486_122
; %bb.117:
	s_movk_i32 s12, 0x80
	v_cmp_ne_u16_e64 s[12:13], s12, v34
	v_bfrev_b32_e32 v39, 1
	s_and_saveexec_b64 s[24:25], s[12:13]
	s_cbranch_execz .LBB486_121
; %bb.118:
	s_movk_i32 s12, 0x7f
	v_and_b32_e32 v35, 0x7f, v34
	v_cmp_ne_u32_e64 s[12:13], s12, v35
	v_mov_b32_e32 v39, 0x7f800001
	s_and_saveexec_b64 s[26:27], s[12:13]
	s_cbranch_execz .LBB486_120
; %bb.119:
	v_and_b32_e32 v36, 7, v34
	v_ffbh_u32_e32 v40, v36
	v_min_u32_e32 v45, 32, v40
	v_subrev_u32_e32 v40, 28, v45
	v_lshlrev_b64 v[40:41], v40, v[34:35]
	v_lshrrev_b32_e32 v39, 3, v35
	v_sub_u32_e32 v34, 29, v45
	v_and_b32_e32 v40, 7, v40
	v_cmp_gt_u32_e64 s[12:13], 8, v35
	v_cndmask_b32_e64 v34, v39, v34, s[12:13]
	v_cndmask_b32_e64 v35, v36, v40, s[12:13]
	v_lshlrev_b32_e32 v36, 16, v30
	v_bfrev_b32_e32 v39, 60
	v_lshlrev_b32_e32 v35, 20, v35
	v_and_b32_e32 v36, 0x80000000, v36
	v_lshl_add_u32 v34, v34, 23, v39
	v_or3_b32 v39, v36, v34, v35
.LBB486_120:
	s_or_b64 exec, exec, s[26:27]
.LBB486_121:
	s_or_b64 exec, exec, s[24:25]
.LBB486_122:
	s_or_b64 exec, exec, s[14:15]
	s_movk_i32 s12, 0xff
	v_and_b32_sdwa v35, v30, s12 dst_sel:DWORD dst_unused:UNUSED_PAD src0_sel:WORD_1 src1_sel:DWORD
	v_lshrrev_b32_e32 v34, 16, v30
	v_cmp_ne_u16_e64 s[12:13], 0, v35
	s_and_saveexec_b64 s[14:15], s[12:13]
	s_cbranch_execz .LBB486_128
; %bb.123:
	s_movk_i32 s12, 0x80
	v_cmp_ne_u16_e64 s[12:13], s12, v35
	v_bfrev_b32_e32 v37, 1
	s_and_saveexec_b64 s[24:25], s[12:13]
	s_cbranch_execz .LBB486_127
; %bb.124:
	v_bfe_u32 v35, v30, 16, 7
	s_movk_i32 s12, 0x7f
	v_cmp_ne_u32_e64 s[12:13], s12, v35
	v_mov_b32_e32 v37, 0x7f800001
	s_and_saveexec_b64 s[26:27], s[12:13]
	s_cbranch_execz .LBB486_126
; %bb.125:
	v_and_b32_e32 v40, 7, v34
	v_ffbh_u32_e32 v36, v40
	v_min_u32_e32 v45, 32, v36
	v_subrev_u32_e32 v36, 28, v45
	v_lshlrev_b64 v[36:37], v36, v[34:35]
	v_and_b32_e32 v36, 7, v36
	v_cmp_gt_u32_e64 s[12:13], 8, v35
	v_lshrrev_b32_e32 v41, 3, v35
	v_sub_u32_e32 v34, 29, v45
	v_cndmask_b32_e64 v35, v40, v36, s[12:13]
	v_mov_b32_e32 v36, 24
	v_cndmask_b32_e64 v34, v41, v34, s[12:13]
	v_lshlrev_b32_sdwa v36, v36, v30 dst_sel:DWORD dst_unused:UNUSED_PAD src0_sel:DWORD src1_sel:WORD_1
	v_bfrev_b32_e32 v37, 60
	v_lshlrev_b32_e32 v35, 20, v35
	v_and_b32_e32 v36, 0x80000000, v36
	v_lshl_add_u32 v34, v34, 23, v37
	v_or3_b32 v37, v36, v34, v35
.LBB486_126:
	s_or_b64 exec, exec, s[26:27]
.LBB486_127:
	s_or_b64 exec, exec, s[24:25]
.LBB486_128:
	s_or_b64 exec, exec, s[14:15]
	s_mov_b32 s12, 0xffffff
	v_cmp_lt_u32_e64 s[12:13], s12, v30
	v_mov_b32_e32 v35, 0
	v_mov_b32_e32 v40, 0
	s_and_saveexec_b64 s[14:15], s[12:13]
	s_cbranch_execz .LBB486_134
; %bb.129:
	v_lshrrev_b32_e32 v34, 24, v30
	s_movk_i32 s12, 0x80
	v_cmp_ne_u32_e64 s[12:13], s12, v34
	v_bfrev_b32_e32 v40, 1
	s_and_saveexec_b64 s[24:25], s[12:13]
	s_cbranch_execz .LBB486_133
; %bb.130:
	v_bfe_u32 v36, v30, 24, 7
	s_movk_i32 s12, 0x7f
	v_cmp_ne_u32_e64 s[12:13], s12, v36
	v_mov_b32_e32 v40, 0x7f800001
	s_and_saveexec_b64 s[26:27], s[12:13]
	s_cbranch_execz .LBB486_132
; %bb.131:
	v_and_b32_e32 v45, 7, v34
	v_ffbh_u32_e32 v40, v45
	v_min_u32_e32 v47, 32, v40
	v_subrev_u32_e32 v40, 28, v47
	v_lshlrev_b64 v[40:41], v40, v[34:35]
	v_lshrrev_b32_e32 v46, 3, v36
	v_sub_u32_e32 v41, 29, v47
	v_and_b32_e32 v40, 7, v40
	v_cmp_gt_u32_e64 s[12:13], 8, v36
	v_cndmask_b32_e64 v36, v46, v41, s[12:13]
	v_cndmask_b32_e64 v40, v45, v40, s[12:13]
	v_lshlrev_b32_e32 v34, 24, v34
	v_bfrev_b32_e32 v41, 60
	v_lshlrev_b32_e32 v40, 20, v40
	v_and_b32_e32 v34, 0x80000000, v34
	v_lshl_add_u32 v36, v36, 23, v41
	v_or3_b32 v40, v34, v36, v40
.LBB486_132:
	s_or_b64 exec, exec, s[26:27]
.LBB486_133:
	s_or_b64 exec, exec, s[24:25]
.LBB486_134:
	s_or_b64 exec, exec, s[14:15]
	v_mov_b32_e32 v34, v31
	v_cmp_ne_u16_sdwa s[12:13], v31, v35 src0_sel:BYTE_0 src1_sel:DWORD
	s_and_saveexec_b64 s[14:15], s[12:13]
	s_cbranch_execz .LBB486_140
; %bb.135:
	s_movk_i32 s12, 0x80
	v_cmp_ne_u16_sdwa s[12:13], v31, s12 src0_sel:BYTE_0 src1_sel:DWORD
	v_bfrev_b32_e32 v36, 1
	s_and_saveexec_b64 s[24:25], s[12:13]
	s_cbranch_execz .LBB486_139
; %bb.136:
	s_movk_i32 s12, 0x7f
	v_and_b32_e32 v41, 0x7f, v31
	v_cmp_ne_u32_e64 s[12:13], s12, v41
	v_mov_b32_e32 v36, 0x7f800001
	s_and_saveexec_b64 s[26:27], s[12:13]
	s_cbranch_execz .LBB486_138
; %bb.137:
	v_and_b32_e32 v36, 7, v31
	v_ffbh_u32_e32 v36, v36
	v_min_u32_e32 v36, 32, v36
	v_subrev_u32_e32 v46, 28, v36
	v_cmp_gt_u32_e64 s[12:13], 8, v41
	v_lshrrev_b32_e32 v45, 3, v41
	v_cndmask_b32_e64 v41, 0, v46, s[12:13]
	v_sub_u32_e32 v36, 29, v36
	v_lshlrev_b64 v[46:47], v41, v[34:35]
	v_cndmask_b32_e64 v36, v45, v36, s[12:13]
	v_lshlrev_b32_e32 v35, 20, v46
	v_lshlrev_b32_e32 v41, 24, v34
	v_bfrev_b32_e32 v45, 60
	v_and_b32_e32 v35, 0x700000, v35
	v_and_b32_e32 v41, 0x80000000, v41
	v_lshl_add_u32 v36, v36, 23, v45
	v_or3_b32 v36, v41, v36, v35
.LBB486_138:
	s_or_b64 exec, exec, s[26:27]
.LBB486_139:
	s_or_b64 exec, exec, s[24:25]
	v_mov_b32_e32 v35, v36
.LBB486_140:
	s_or_b64 exec, exec, s[14:15]
	v_lshrrev_b16_e32 v36, 8, v34
	v_cmp_ne_u16_e64 s[12:13], 0, v36
	v_mov_b32_e32 v41, 0
	v_mov_b32_e32 v45, 0
	s_and_saveexec_b64 s[14:15], s[12:13]
	s_cbranch_execz .LBB486_146
; %bb.141:
	s_movk_i32 s12, 0x80
	v_cmp_ne_u16_e64 s[12:13], s12, v36
	v_bfrev_b32_e32 v45, 1
	s_and_saveexec_b64 s[24:25], s[12:13]
	s_cbranch_execz .LBB486_145
; %bb.142:
	s_movk_i32 s12, 0x7f
	v_and_b32_e32 v46, 0x7f, v36
	v_cmp_ne_u32_e64 s[12:13], s12, v46
	v_mov_b32_e32 v45, 0x7f800001
	s_and_saveexec_b64 s[26:27], s[12:13]
	s_cbranch_execz .LBB486_144
; %bb.143:
	v_and_b32_e32 v45, 7, v36
	v_ffbh_u32_e32 v48, v45
	v_min_u32_e32 v50, 32, v48
	v_subrev_u32_e32 v48, 28, v50
	v_lshlrev_b64 v[48:49], v48, v[36:37]
	v_lshrrev_b32_e32 v47, 3, v46
	v_sub_u32_e32 v36, 29, v50
	v_and_b32_e32 v48, 7, v48
	v_cmp_gt_u32_e64 s[12:13], 8, v46
	v_cndmask_b32_e64 v36, v47, v36, s[12:13]
	v_cndmask_b32_e64 v45, v45, v48, s[12:13]
	v_lshlrev_b32_e32 v34, 16, v34
	v_bfrev_b32_e32 v46, 60
	v_lshlrev_b32_e32 v45, 20, v45
	v_and_b32_e32 v34, 0x80000000, v34
	v_lshl_add_u32 v36, v36, 23, v46
	v_or3_b32 v45, v34, v36, v45
.LBB486_144:
	s_or_b64 exec, exec, s[26:27]
.LBB486_145:
	s_or_b64 exec, exec, s[24:25]
.LBB486_146:
	s_or_b64 exec, exec, s[14:15]
	s_movk_i32 s12, 0xff
	v_and_b32_sdwa v36, v31, s12 dst_sel:DWORD dst_unused:UNUSED_PAD src0_sel:WORD_1 src1_sel:DWORD
	v_lshrrev_b32_e32 v34, 16, v31
	v_cmp_ne_u16_e64 s[12:13], 0, v36
	s_and_saveexec_b64 s[14:15], s[12:13]
	s_cbranch_execz .LBB486_152
; %bb.147:
	s_movk_i32 s12, 0x80
	v_cmp_ne_u16_e64 s[12:13], s12, v36
	v_bfrev_b32_e32 v41, 1
	s_and_saveexec_b64 s[24:25], s[12:13]
	s_cbranch_execz .LBB486_151
; %bb.148:
	v_bfe_u32 v36, v31, 16, 7
	s_movk_i32 s12, 0x7f
	v_cmp_ne_u32_e64 s[12:13], s12, v36
	v_mov_b32_e32 v41, 0x7f800001
	s_and_saveexec_b64 s[26:27], s[12:13]
	s_cbranch_execz .LBB486_150
; %bb.149:
	v_and_b32_e32 v41, 7, v34
	v_ffbh_u32_e32 v46, v41
	v_min_u32_e32 v49, 32, v46
	v_subrev_u32_e32 v46, 28, v49
	v_lshlrev_b64 v[46:47], v46, v[34:35]
	v_and_b32_e32 v46, 7, v46
	v_cmp_gt_u32_e64 s[12:13], 8, v36
	v_lshrrev_b32_e32 v48, 3, v36
	v_sub_u32_e32 v34, 29, v49
	v_cndmask_b32_e64 v36, v41, v46, s[12:13]
	v_mov_b32_e32 v41, 24
	v_cndmask_b32_e64 v34, v48, v34, s[12:13]
	v_lshlrev_b32_sdwa v41, v41, v31 dst_sel:DWORD dst_unused:UNUSED_PAD src0_sel:DWORD src1_sel:WORD_1
	v_bfrev_b32_e32 v46, 60
	v_lshlrev_b32_e32 v36, 20, v36
	v_and_b32_e32 v41, 0x80000000, v41
	v_lshl_add_u32 v34, v34, 23, v46
	v_or3_b32 v41, v41, v34, v36
.LBB486_150:
	s_or_b64 exec, exec, s[26:27]
.LBB486_151:
	s_or_b64 exec, exec, s[24:25]
.LBB486_152:
	s_or_b64 exec, exec, s[14:15]
	s_mov_b32 s12, -1
	s_mov_b32 s13, 0xffffff
	v_cmp_lt_u64_e64 s[12:13], s[12:13], v[30:31]
	v_mov_b32_e32 v36, 0
	v_mov_b32_e32 v34, 0
	s_and_saveexec_b64 s[14:15], s[12:13]
	s_cbranch_execz .LBB486_158
; %bb.153:
	v_lshrrev_b32_e32 v30, 24, v31
	s_movk_i32 s12, 0x80
	v_cmp_ne_u32_e64 s[12:13], s12, v30
	v_bfrev_b32_e32 v34, 1
	s_and_saveexec_b64 s[24:25], s[12:13]
	s_cbranch_execz .LBB486_157
; %bb.154:
	v_bfe_u32 v31, v31, 24, 7
	s_movk_i32 s12, 0x7f
	v_cmp_ne_u32_e64 s[12:13], s12, v31
	v_mov_b32_e32 v34, 0x7f800001
	s_and_saveexec_b64 s[26:27], s[12:13]
	s_cbranch_execz .LBB486_156
; %bb.155:
	v_and_b32_e32 v34, 7, v30
	v_ffbh_u32_e32 v46, v34
	v_min_u32_e32 v49, 32, v46
	v_subrev_u32_e32 v46, 28, v49
	v_lshlrev_b64 v[46:47], v46, v[30:31]
	v_lshrrev_b32_e32 v48, 3, v31
	v_sub_u32_e32 v47, 29, v49
	v_and_b32_e32 v46, 7, v46
	v_cmp_gt_u32_e64 s[12:13], 8, v31
	v_cndmask_b32_e64 v31, v48, v47, s[12:13]
	v_cndmask_b32_e64 v34, v34, v46, s[12:13]
	v_lshlrev_b32_e32 v30, 24, v30
	v_bfrev_b32_e32 v46, 60
	v_lshlrev_b32_e32 v34, 20, v34
	v_and_b32_e32 v30, 0x80000000, v30
	v_lshl_add_u32 v31, v31, 23, v46
	v_or3_b32 v34, v30, v31, v34
.LBB486_156:
	s_or_b64 exec, exec, s[26:27]
.LBB486_157:
	s_or_b64 exec, exec, s[24:25]
.LBB486_158:
	s_or_b64 exec, exec, s[14:15]
	v_cvt_pkrtz_f16_f32 v30, v38, v39
	v_cvt_pkrtz_f16_f32 v31, v37, v40
	;; [unrolled: 1-line block ×4, first 2 shown]
	v_mfma_f32_4x4x4f16 a[0:3], v[2:3], v[30:31], a[0:3] cbsz:4 abid:2
	v_cmp_ne_u16_sdwa s[12:13], v32, v36 src0_sel:BYTE_0 src1_sel:DWORD
	v_mfma_f32_4x4x4f16 a[0:3], v[4:5], v[38:39], a[0:3] cbsz:4 abid:2
	s_and_saveexec_b64 s[14:15], s[12:13]
	s_cbranch_execz .LBB486_164
; %bb.159:
	s_movk_i32 s12, 0x80
	v_cmp_ne_u16_sdwa s[12:13], v32, s12 src0_sel:BYTE_0 src1_sel:DWORD
	v_bfrev_b32_e32 v36, 1
	s_and_saveexec_b64 s[24:25], s[12:13]
	s_cbranch_execz .LBB486_163
; %bb.160:
	s_movk_i32 s12, 0x7f
	v_and_b32_e32 v30, 0x7f, v32
	v_cmp_ne_u32_e64 s[12:13], s12, v30
	v_mov_b32_e32 v36, 0x7f800001
	s_and_saveexec_b64 s[26:27], s[12:13]
	s_cbranch_execz .LBB486_162
; %bb.161:
	v_and_b32_e32 v31, 7, v32
	v_ffbh_u32_e32 v31, v31
	v_min_u32_e32 v31, 32, v31
	v_subrev_u32_e32 v35, 28, v31
	v_cmp_gt_u32_e64 s[12:13], 8, v30
	v_lshrrev_b32_e32 v34, 3, v30
	v_sub_u32_e32 v31, 29, v31
	v_cndmask_b32_e64 v30, 0, v35, s[12:13]
	v_cndmask_b32_e64 v34, v34, v31, s[12:13]
	v_lshlrev_b64 v[30:31], v30, v[32:33]
	v_lshlrev_b32_e32 v30, 20, v30
	v_lshlrev_b32_e32 v31, 24, v32
	v_bfrev_b32_e32 v35, 60
	v_and_b32_e32 v30, 0x700000, v30
	v_and_b32_e32 v31, 0x80000000, v31
	v_lshl_add_u32 v34, v34, 23, v35
	v_or3_b32 v36, v31, v34, v30
.LBB486_162:
	s_or_b64 exec, exec, s[26:27]
.LBB486_163:
	s_or_b64 exec, exec, s[24:25]
.LBB486_164:
	s_or_b64 exec, exec, s[14:15]
	v_lshrrev_b16_e32 v30, 8, v32
	v_cmp_ne_u16_e64 s[12:13], 0, v30
	v_mov_b32_e32 v35, 0
	v_mov_b32_e32 v37, 0
	s_and_saveexec_b64 s[14:15], s[12:13]
	s_cbranch_execz .LBB486_170
; %bb.165:
	s_movk_i32 s12, 0x80
	v_cmp_ne_u16_e64 s[12:13], s12, v30
	v_bfrev_b32_e32 v37, 1
	s_and_saveexec_b64 s[24:25], s[12:13]
	s_cbranch_execz .LBB486_169
; %bb.166:
	s_movk_i32 s12, 0x7f
	v_and_b32_e32 v31, 0x7f, v30
	v_cmp_ne_u32_e64 s[12:13], s12, v31
	v_mov_b32_e32 v37, 0x7f800001
	s_and_saveexec_b64 s[26:27], s[12:13]
	s_cbranch_execz .LBB486_168
; %bb.167:
	v_and_b32_e32 v34, 7, v30
	v_ffbh_u32_e32 v38, v34
	v_min_u32_e32 v40, 32, v38
	v_subrev_u32_e32 v38, 28, v40
	v_lshlrev_b64 v[38:39], v38, v[30:31]
	v_lshrrev_b32_e32 v37, 3, v31
	v_sub_u32_e32 v30, 29, v40
	v_and_b32_e32 v38, 7, v38
	v_cmp_gt_u32_e64 s[12:13], 8, v31
	v_cndmask_b32_e64 v30, v37, v30, s[12:13]
	v_cndmask_b32_e64 v31, v34, v38, s[12:13]
	v_lshlrev_b32_e32 v34, 16, v32
	v_bfrev_b32_e32 v37, 60
	v_lshlrev_b32_e32 v31, 20, v31
	v_and_b32_e32 v34, 0x80000000, v34
	v_lshl_add_u32 v30, v30, 23, v37
	v_or3_b32 v37, v34, v30, v31
.LBB486_168:
	s_or_b64 exec, exec, s[26:27]
.LBB486_169:
	s_or_b64 exec, exec, s[24:25]
.LBB486_170:
	s_or_b64 exec, exec, s[14:15]
	s_movk_i32 s12, 0xff
	v_and_b32_sdwa v31, v32, s12 dst_sel:DWORD dst_unused:UNUSED_PAD src0_sel:WORD_1 src1_sel:DWORD
	v_lshrrev_b32_e32 v30, 16, v32
	v_cmp_ne_u16_e64 s[12:13], 0, v31
	s_and_saveexec_b64 s[14:15], s[12:13]
	s_cbranch_execz .LBB486_176
; %bb.171:
	s_movk_i32 s12, 0x80
	v_cmp_ne_u16_e64 s[12:13], s12, v31
	v_bfrev_b32_e32 v35, 1
	s_and_saveexec_b64 s[24:25], s[12:13]
	s_cbranch_execz .LBB486_175
; %bb.172:
	v_bfe_u32 v31, v32, 16, 7
	s_movk_i32 s12, 0x7f
	v_cmp_ne_u32_e64 s[12:13], s12, v31
	v_mov_b32_e32 v35, 0x7f800001
	s_and_saveexec_b64 s[26:27], s[12:13]
	s_cbranch_execz .LBB486_174
; %bb.173:
	v_and_b32_e32 v38, 7, v30
	v_ffbh_u32_e32 v34, v38
	v_min_u32_e32 v40, 32, v34
	v_subrev_u32_e32 v34, 28, v40
	v_lshlrev_b64 v[34:35], v34, v[30:31]
	v_and_b32_e32 v34, 7, v34
	v_cmp_gt_u32_e64 s[12:13], 8, v31
	v_lshrrev_b32_e32 v39, 3, v31
	v_sub_u32_e32 v30, 29, v40
	v_cndmask_b32_e64 v31, v38, v34, s[12:13]
	v_mov_b32_e32 v34, 24
	v_cndmask_b32_e64 v30, v39, v30, s[12:13]
	v_lshlrev_b32_sdwa v34, v34, v32 dst_sel:DWORD dst_unused:UNUSED_PAD src0_sel:DWORD src1_sel:WORD_1
	v_bfrev_b32_e32 v35, 60
	v_lshlrev_b32_e32 v31, 20, v31
	v_and_b32_e32 v34, 0x80000000, v34
	v_lshl_add_u32 v30, v30, 23, v35
	v_or3_b32 v35, v34, v30, v31
.LBB486_174:
	s_or_b64 exec, exec, s[26:27]
.LBB486_175:
	s_or_b64 exec, exec, s[24:25]
.LBB486_176:
	s_or_b64 exec, exec, s[14:15]
	s_mov_b32 s12, 0xffffff
	v_cmp_lt_u32_e64 s[12:13], s12, v32
	v_mov_b32_e32 v31, 0
	v_mov_b32_e32 v38, 0
	s_and_saveexec_b64 s[14:15], s[12:13]
	s_cbranch_execz .LBB486_182
; %bb.177:
	v_lshrrev_b32_e32 v30, 24, v32
	s_movk_i32 s12, 0x80
	v_cmp_ne_u32_e64 s[12:13], s12, v30
	v_bfrev_b32_e32 v38, 1
	s_and_saveexec_b64 s[24:25], s[12:13]
	s_cbranch_execz .LBB486_181
; %bb.178:
	v_bfe_u32 v34, v32, 24, 7
	s_movk_i32 s12, 0x7f
	v_cmp_ne_u32_e64 s[12:13], s12, v34
	v_mov_b32_e32 v38, 0x7f800001
	s_and_saveexec_b64 s[26:27], s[12:13]
	s_cbranch_execz .LBB486_180
; %bb.179:
	v_and_b32_e32 v40, 7, v30
	v_ffbh_u32_e32 v38, v40
	v_min_u32_e32 v45, 32, v38
	v_subrev_u32_e32 v38, 28, v45
	v_lshlrev_b64 v[38:39], v38, v[30:31]
	v_lshrrev_b32_e32 v41, 3, v34
	v_sub_u32_e32 v39, 29, v45
	v_and_b32_e32 v38, 7, v38
	v_cmp_gt_u32_e64 s[12:13], 8, v34
	v_cndmask_b32_e64 v34, v41, v39, s[12:13]
	v_cndmask_b32_e64 v38, v40, v38, s[12:13]
	v_lshlrev_b32_e32 v30, 24, v30
	v_bfrev_b32_e32 v39, 60
	v_lshlrev_b32_e32 v38, 20, v38
	v_and_b32_e32 v30, 0x80000000, v30
	v_lshl_add_u32 v34, v34, 23, v39
	v_or3_b32 v38, v30, v34, v38
.LBB486_180:
	s_or_b64 exec, exec, s[26:27]
.LBB486_181:
	s_or_b64 exec, exec, s[24:25]
.LBB486_182:
	s_or_b64 exec, exec, s[14:15]
	v_mov_b32_e32 v30, v33
	v_cmp_ne_u16_sdwa s[12:13], v33, v31 src0_sel:BYTE_0 src1_sel:DWORD
	s_and_saveexec_b64 s[14:15], s[12:13]
	s_cbranch_execz .LBB486_188
; %bb.183:
	s_movk_i32 s12, 0x80
	v_cmp_ne_u16_sdwa s[12:13], v33, s12 src0_sel:BYTE_0 src1_sel:DWORD
	v_bfrev_b32_e32 v34, 1
	s_and_saveexec_b64 s[24:25], s[12:13]
	s_cbranch_execz .LBB486_187
; %bb.184:
	s_movk_i32 s12, 0x7f
	v_and_b32_e32 v39, 0x7f, v33
	v_cmp_ne_u32_e64 s[12:13], s12, v39
	v_mov_b32_e32 v34, 0x7f800001
	s_and_saveexec_b64 s[26:27], s[12:13]
	s_cbranch_execz .LBB486_186
; %bb.185:
	v_and_b32_e32 v34, 7, v33
	v_ffbh_u32_e32 v34, v34
	v_min_u32_e32 v34, 32, v34
	v_subrev_u32_e32 v41, 28, v34
	v_cmp_gt_u32_e64 s[12:13], 8, v39
	v_lshrrev_b32_e32 v40, 3, v39
	v_sub_u32_e32 v34, 29, v34
	v_cndmask_b32_e64 v39, 0, v41, s[12:13]
	v_cndmask_b32_e64 v34, v40, v34, s[12:13]
	v_lshlrev_b64 v[40:41], v39, v[30:31]
	v_lshlrev_b32_e32 v31, 20, v40
	v_lshlrev_b32_e32 v39, 24, v30
	v_bfrev_b32_e32 v40, 60
	v_and_b32_e32 v31, 0x700000, v31
	v_and_b32_e32 v39, 0x80000000, v39
	v_lshl_add_u32 v34, v34, 23, v40
	v_or3_b32 v34, v39, v34, v31
.LBB486_186:
	s_or_b64 exec, exec, s[26:27]
.LBB486_187:
	s_or_b64 exec, exec, s[24:25]
	v_mov_b32_e32 v31, v34
.LBB486_188:
	s_or_b64 exec, exec, s[14:15]
	v_lshrrev_b16_e32 v34, 8, v30
	v_cmp_ne_u16_e64 s[12:13], 0, v34
	v_mov_b32_e32 v39, 0
	v_mov_b32_e32 v40, 0
	s_and_saveexec_b64 s[14:15], s[12:13]
	s_cbranch_execz .LBB486_194
; %bb.189:
	s_movk_i32 s12, 0x80
	v_cmp_ne_u16_e64 s[12:13], s12, v34
	v_bfrev_b32_e32 v40, 1
	s_and_saveexec_b64 s[24:25], s[12:13]
	s_cbranch_execz .LBB486_193
; %bb.190:
	s_movk_i32 s12, 0x7f
	v_and_b32_e32 v41, 0x7f, v34
	v_cmp_ne_u32_e64 s[12:13], s12, v41
	v_mov_b32_e32 v40, 0x7f800001
	s_and_saveexec_b64 s[26:27], s[12:13]
	s_cbranch_execz .LBB486_192
; %bb.191:
	v_and_b32_e32 v40, 7, v34
	v_ffbh_u32_e32 v46, v40
	v_min_u32_e32 v48, 32, v46
	v_subrev_u32_e32 v46, 28, v48
	v_lshlrev_b64 v[46:47], v46, v[34:35]
	v_lshrrev_b32_e32 v45, 3, v41
	v_sub_u32_e32 v34, 29, v48
	v_and_b32_e32 v46, 7, v46
	v_cmp_gt_u32_e64 s[12:13], 8, v41
	v_cndmask_b32_e64 v34, v45, v34, s[12:13]
	v_cndmask_b32_e64 v40, v40, v46, s[12:13]
	v_lshlrev_b32_e32 v30, 16, v30
	v_bfrev_b32_e32 v41, 60
	v_lshlrev_b32_e32 v40, 20, v40
	v_and_b32_e32 v30, 0x80000000, v30
	v_lshl_add_u32 v34, v34, 23, v41
	v_or3_b32 v40, v30, v34, v40
.LBB486_192:
	s_or_b64 exec, exec, s[26:27]
.LBB486_193:
	s_or_b64 exec, exec, s[24:25]
.LBB486_194:
	s_or_b64 exec, exec, s[14:15]
	s_movk_i32 s12, 0xff
	v_and_b32_sdwa v34, v33, s12 dst_sel:DWORD dst_unused:UNUSED_PAD src0_sel:WORD_1 src1_sel:DWORD
	v_lshrrev_b32_e32 v30, 16, v33
	v_cmp_ne_u16_e64 s[12:13], 0, v34
	s_and_saveexec_b64 s[14:15], s[12:13]
	s_cbranch_execz .LBB486_200
; %bb.195:
	s_movk_i32 s12, 0x80
	v_cmp_ne_u16_e64 s[12:13], s12, v34
	v_bfrev_b32_e32 v39, 1
	s_and_saveexec_b64 s[24:25], s[12:13]
	s_cbranch_execz .LBB486_199
; %bb.196:
	v_bfe_u32 v34, v33, 16, 7
	s_movk_i32 s12, 0x7f
	v_cmp_ne_u32_e64 s[12:13], s12, v34
	v_mov_b32_e32 v39, 0x7f800001
	s_and_saveexec_b64 s[26:27], s[12:13]
	s_cbranch_execz .LBB486_198
; %bb.197:
	v_and_b32_e32 v39, 7, v30
	v_ffbh_u32_e32 v45, v39
	v_min_u32_e32 v45, 32, v45
	v_subrev_u32_e32 v46, 28, v45
	v_lshlrev_b64 v[46:47], v46, v[30:31]
	v_sub_u32_e32 v30, 29, v45
	v_and_b32_e32 v45, 7, v46
	v_cmp_gt_u32_e64 s[12:13], 8, v34
	v_lshrrev_b32_e32 v41, 3, v34
	v_cndmask_b32_e64 v34, v39, v45, s[12:13]
	v_mov_b32_e32 v39, 24
	v_cndmask_b32_e64 v30, v41, v30, s[12:13]
	v_lshlrev_b32_sdwa v39, v39, v33 dst_sel:DWORD dst_unused:UNUSED_PAD src0_sel:DWORD src1_sel:WORD_1
	v_bfrev_b32_e32 v41, 60
	v_lshlrev_b32_e32 v34, 20, v34
	v_and_b32_e32 v39, 0x80000000, v39
	v_lshl_add_u32 v30, v30, 23, v41
	v_or3_b32 v39, v39, v30, v34
.LBB486_198:
	s_or_b64 exec, exec, s[26:27]
.LBB486_199:
	s_or_b64 exec, exec, s[24:25]
.LBB486_200:
	s_or_b64 exec, exec, s[14:15]
	s_mov_b32 s12, -1
	s_mov_b32 s13, 0xffffff
	v_cmp_lt_u64_e64 s[12:13], s[12:13], v[32:33]
	v_mov_b32_e32 v34, 0
	v_mov_b32_e32 v32, 0
	s_and_saveexec_b64 s[14:15], s[12:13]
	s_cbranch_execz .LBB486_206
; %bb.201:
	v_lshrrev_b32_e32 v30, 24, v33
	s_movk_i32 s12, 0x80
	v_cmp_ne_u32_e64 s[12:13], s12, v30
	v_bfrev_b32_e32 v32, 1
	s_and_saveexec_b64 s[24:25], s[12:13]
	s_cbranch_execz .LBB486_205
; %bb.202:
	v_bfe_u32 v33, v33, 24, 7
	s_movk_i32 s12, 0x7f
	v_cmp_ne_u32_e64 s[12:13], s12, v33
	v_mov_b32_e32 v32, 0x7f800001
	s_and_saveexec_b64 s[26:27], s[12:13]
	s_cbranch_execz .LBB486_204
; %bb.203:
	v_and_b32_e32 v32, 7, v30
	v_ffbh_u32_e32 v45, v32
	v_min_u32_e32 v45, 32, v45
	v_subrev_u32_e32 v46, 28, v45
	v_lshlrev_b64 v[46:47], v46, v[30:31]
	v_lshrrev_b32_e32 v41, 3, v33
	v_sub_u32_e32 v45, 29, v45
	v_and_b32_e32 v46, 7, v46
	v_cmp_gt_u32_e64 s[12:13], 8, v33
	v_cndmask_b32_e64 v33, v41, v45, s[12:13]
	v_cndmask_b32_e64 v32, v32, v46, s[12:13]
	v_lshlrev_b32_e32 v30, 24, v30
	v_bfrev_b32_e32 v41, 60
	v_lshlrev_b32_e32 v32, 20, v32
	v_and_b32_e32 v30, 0x80000000, v30
	v_lshl_add_u32 v33, v33, 23, v41
	v_or3_b32 v32, v30, v33, v32
.LBB486_204:
	s_or_b64 exec, exec, s[26:27]
.LBB486_205:
	s_or_b64 exec, exec, s[24:25]
.LBB486_206:
	s_or_b64 exec, exec, s[14:15]
	v_cvt_pkrtz_f16_f32 v36, v36, v37
	v_cvt_pkrtz_f16_f32 v37, v35, v38
	v_cvt_pkrtz_f16_f32 v30, v31, v40
	v_cvt_pkrtz_f16_f32 v31, v39, v32
	v_mfma_f32_4x4x4f16 a[0:3], v[2:3], v[36:37], a[0:3] cbsz:4 abid:3
	v_cmp_ne_u16_sdwa s[12:13], v26, v34 src0_sel:BYTE_0 src1_sel:DWORD
	v_mfma_f32_4x4x4f16 a[0:3], v[4:5], v[30:31], a[0:3] cbsz:4 abid:3
	s_and_saveexec_b64 s[14:15], s[12:13]
	s_cbranch_execz .LBB486_212
; %bb.207:
	s_movk_i32 s12, 0x80
	v_cmp_ne_u16_sdwa s[12:13], v26, s12 src0_sel:BYTE_0 src1_sel:DWORD
	v_bfrev_b32_e32 v34, 1
	s_and_saveexec_b64 s[24:25], s[12:13]
	s_cbranch_execz .LBB486_211
; %bb.208:
	s_movk_i32 s12, 0x7f
	v_and_b32_e32 v30, 0x7f, v26
	v_cmp_ne_u32_e64 s[12:13], s12, v30
	v_mov_b32_e32 v34, 0x7f800001
	s_and_saveexec_b64 s[26:27], s[12:13]
	s_cbranch_execz .LBB486_210
; %bb.209:
	v_and_b32_e32 v31, 7, v26
	v_ffbh_u32_e32 v31, v31
	v_min_u32_e32 v31, 32, v31
	v_subrev_u32_e32 v33, 28, v31
	v_cmp_gt_u32_e64 s[12:13], 8, v30
	v_lshrrev_b32_e32 v32, 3, v30
	v_sub_u32_e32 v31, 29, v31
	v_cndmask_b32_e64 v30, 0, v33, s[12:13]
	v_cndmask_b32_e64 v32, v32, v31, s[12:13]
	v_lshlrev_b64 v[30:31], v30, v[26:27]
	v_lshlrev_b32_e32 v30, 20, v30
	v_lshlrev_b32_e32 v31, 24, v26
	v_bfrev_b32_e32 v33, 60
	v_and_b32_e32 v30, 0x700000, v30
	v_and_b32_e32 v31, 0x80000000, v31
	v_lshl_add_u32 v32, v32, 23, v33
	v_or3_b32 v34, v31, v32, v30
.LBB486_210:
	s_or_b64 exec, exec, s[26:27]
.LBB486_211:
	s_or_b64 exec, exec, s[24:25]
.LBB486_212:
	s_or_b64 exec, exec, s[14:15]
	v_lshrrev_b16_e32 v30, 8, v26
	v_cmp_ne_u16_e64 s[12:13], 0, v30
	v_mov_b32_e32 v33, 0
	v_mov_b32_e32 v35, 0
	s_and_saveexec_b64 s[14:15], s[12:13]
	s_cbranch_execz .LBB486_218
; %bb.213:
	s_movk_i32 s12, 0x80
	v_cmp_ne_u16_e64 s[12:13], s12, v30
	v_bfrev_b32_e32 v35, 1
	s_and_saveexec_b64 s[24:25], s[12:13]
	s_cbranch_execz .LBB486_217
; %bb.214:
	s_movk_i32 s12, 0x7f
	v_and_b32_e32 v31, 0x7f, v30
	v_cmp_ne_u32_e64 s[12:13], s12, v31
	v_mov_b32_e32 v35, 0x7f800001
	s_and_saveexec_b64 s[26:27], s[12:13]
	s_cbranch_execz .LBB486_216
; %bb.215:
	v_and_b32_e32 v32, 7, v30
	v_ffbh_u32_e32 v36, v32
	v_min_u32_e32 v38, 32, v36
	v_subrev_u32_e32 v36, 28, v38
	v_lshlrev_b64 v[36:37], v36, v[30:31]
	v_lshrrev_b32_e32 v35, 3, v31
	v_sub_u32_e32 v30, 29, v38
	v_and_b32_e32 v36, 7, v36
	v_cmp_gt_u32_e64 s[12:13], 8, v31
	v_cndmask_b32_e64 v30, v35, v30, s[12:13]
	v_cndmask_b32_e64 v31, v32, v36, s[12:13]
	v_lshlrev_b32_e32 v32, 16, v26
	v_bfrev_b32_e32 v35, 60
	v_lshlrev_b32_e32 v31, 20, v31
	v_and_b32_e32 v32, 0x80000000, v32
	v_lshl_add_u32 v30, v30, 23, v35
	v_or3_b32 v35, v32, v30, v31
.LBB486_216:
	s_or_b64 exec, exec, s[26:27]
.LBB486_217:
	s_or_b64 exec, exec, s[24:25]
.LBB486_218:
	s_or_b64 exec, exec, s[14:15]
	s_movk_i32 s12, 0xff
	v_and_b32_sdwa v31, v26, s12 dst_sel:DWORD dst_unused:UNUSED_PAD src0_sel:WORD_1 src1_sel:DWORD
	v_lshrrev_b32_e32 v30, 16, v26
	v_cmp_ne_u16_e64 s[12:13], 0, v31
	s_and_saveexec_b64 s[14:15], s[12:13]
	s_cbranch_execz .LBB486_224
; %bb.219:
	s_movk_i32 s12, 0x80
	v_cmp_ne_u16_e64 s[12:13], s12, v31
	v_bfrev_b32_e32 v33, 1
	s_and_saveexec_b64 s[24:25], s[12:13]
	s_cbranch_execz .LBB486_223
; %bb.220:
	v_bfe_u32 v31, v26, 16, 7
	s_movk_i32 s12, 0x7f
	v_cmp_ne_u32_e64 s[12:13], s12, v31
	v_mov_b32_e32 v33, 0x7f800001
	s_and_saveexec_b64 s[26:27], s[12:13]
	s_cbranch_execz .LBB486_222
; %bb.221:
	v_and_b32_e32 v36, 7, v30
	v_ffbh_u32_e32 v32, v36
	v_min_u32_e32 v38, 32, v32
	v_subrev_u32_e32 v32, 28, v38
	v_lshlrev_b64 v[32:33], v32, v[30:31]
	v_and_b32_e32 v32, 7, v32
	v_cmp_gt_u32_e64 s[12:13], 8, v31
	v_lshrrev_b32_e32 v37, 3, v31
	v_sub_u32_e32 v30, 29, v38
	v_cndmask_b32_e64 v31, v36, v32, s[12:13]
	v_mov_b32_e32 v32, 24
	v_cndmask_b32_e64 v30, v37, v30, s[12:13]
	v_lshlrev_b32_sdwa v32, v32, v26 dst_sel:DWORD dst_unused:UNUSED_PAD src0_sel:DWORD src1_sel:WORD_1
	v_bfrev_b32_e32 v33, 60
	v_lshlrev_b32_e32 v31, 20, v31
	v_and_b32_e32 v32, 0x80000000, v32
	v_lshl_add_u32 v30, v30, 23, v33
	v_or3_b32 v33, v32, v30, v31
.LBB486_222:
	s_or_b64 exec, exec, s[26:27]
.LBB486_223:
	s_or_b64 exec, exec, s[24:25]
.LBB486_224:
	s_or_b64 exec, exec, s[14:15]
	s_mov_b32 s12, 0xffffff
	v_cmp_lt_u32_e64 s[12:13], s12, v26
	v_mov_b32_e32 v31, 0
	v_mov_b32_e32 v36, 0
	s_and_saveexec_b64 s[14:15], s[12:13]
	s_cbranch_execz .LBB486_230
; %bb.225:
	v_lshrrev_b32_e32 v30, 24, v26
	s_movk_i32 s12, 0x80
	v_cmp_ne_u32_e64 s[12:13], s12, v30
	v_bfrev_b32_e32 v36, 1
	s_and_saveexec_b64 s[24:25], s[12:13]
	s_cbranch_execz .LBB486_229
; %bb.226:
	v_bfe_u32 v32, v26, 24, 7
	s_movk_i32 s12, 0x7f
	v_cmp_ne_u32_e64 s[12:13], s12, v32
	v_mov_b32_e32 v36, 0x7f800001
	s_and_saveexec_b64 s[26:27], s[12:13]
	s_cbranch_execz .LBB486_228
; %bb.227:
	v_and_b32_e32 v38, 7, v30
	v_ffbh_u32_e32 v36, v38
	v_min_u32_e32 v40, 32, v36
	v_subrev_u32_e32 v36, 28, v40
	v_lshlrev_b64 v[36:37], v36, v[30:31]
	v_lshrrev_b32_e32 v39, 3, v32
	v_sub_u32_e32 v37, 29, v40
	v_and_b32_e32 v36, 7, v36
	v_cmp_gt_u32_e64 s[12:13], 8, v32
	v_cndmask_b32_e64 v32, v39, v37, s[12:13]
	v_cndmask_b32_e64 v36, v38, v36, s[12:13]
	v_lshlrev_b32_e32 v30, 24, v30
	v_bfrev_b32_e32 v37, 60
	v_lshlrev_b32_e32 v36, 20, v36
	v_and_b32_e32 v30, 0x80000000, v30
	v_lshl_add_u32 v32, v32, 23, v37
	v_or3_b32 v36, v30, v32, v36
.LBB486_228:
	s_or_b64 exec, exec, s[26:27]
.LBB486_229:
	s_or_b64 exec, exec, s[24:25]
.LBB486_230:
	s_or_b64 exec, exec, s[14:15]
	v_mov_b32_e32 v30, v27
	v_cmp_ne_u16_sdwa s[12:13], v27, v31 src0_sel:BYTE_0 src1_sel:DWORD
	s_and_saveexec_b64 s[14:15], s[12:13]
	s_cbranch_execz .LBB486_236
; %bb.231:
	s_movk_i32 s12, 0x80
	v_cmp_ne_u16_sdwa s[12:13], v27, s12 src0_sel:BYTE_0 src1_sel:DWORD
	v_bfrev_b32_e32 v32, 1
	s_and_saveexec_b64 s[24:25], s[12:13]
	s_cbranch_execz .LBB486_235
; %bb.232:
	s_movk_i32 s12, 0x7f
	v_and_b32_e32 v37, 0x7f, v27
	v_cmp_ne_u32_e64 s[12:13], s12, v37
	v_mov_b32_e32 v32, 0x7f800001
	s_and_saveexec_b64 s[26:27], s[12:13]
	s_cbranch_execz .LBB486_234
; %bb.233:
	v_and_b32_e32 v32, 7, v27
	v_ffbh_u32_e32 v32, v32
	v_min_u32_e32 v32, 32, v32
	v_subrev_u32_e32 v39, 28, v32
	v_cmp_gt_u32_e64 s[12:13], 8, v37
	v_lshrrev_b32_e32 v38, 3, v37
	v_sub_u32_e32 v32, 29, v32
	v_cndmask_b32_e64 v37, 0, v39, s[12:13]
	v_cndmask_b32_e64 v32, v38, v32, s[12:13]
	v_lshlrev_b64 v[38:39], v37, v[30:31]
	v_lshlrev_b32_e32 v31, 20, v38
	v_lshlrev_b32_e32 v37, 24, v30
	v_bfrev_b32_e32 v38, 60
	v_and_b32_e32 v31, 0x700000, v31
	v_and_b32_e32 v37, 0x80000000, v37
	v_lshl_add_u32 v32, v32, 23, v38
	v_or3_b32 v32, v37, v32, v31
.LBB486_234:
	s_or_b64 exec, exec, s[26:27]
.LBB486_235:
	s_or_b64 exec, exec, s[24:25]
	v_mov_b32_e32 v31, v32
.LBB486_236:
	s_or_b64 exec, exec, s[14:15]
	v_lshrrev_b16_e32 v32, 8, v30
	v_cmp_ne_u16_e64 s[12:13], 0, v32
	v_mov_b32_e32 v37, 0
	v_mov_b32_e32 v38, 0
	s_and_saveexec_b64 s[14:15], s[12:13]
	s_cbranch_execz .LBB486_242
; %bb.237:
	s_movk_i32 s12, 0x80
	v_cmp_ne_u16_e64 s[12:13], s12, v32
	v_bfrev_b32_e32 v38, 1
	s_and_saveexec_b64 s[24:25], s[12:13]
	s_cbranch_execz .LBB486_241
; %bb.238:
	s_movk_i32 s12, 0x7f
	v_and_b32_e32 v39, 0x7f, v32
	v_cmp_ne_u32_e64 s[12:13], s12, v39
	v_mov_b32_e32 v38, 0x7f800001
	s_and_saveexec_b64 s[26:27], s[12:13]
	s_cbranch_execz .LBB486_240
; %bb.239:
	v_and_b32_e32 v38, 7, v32
	v_ffbh_u32_e32 v40, v38
	v_min_u32_e32 v46, 32, v40
	v_subrev_u32_e32 v40, 28, v46
	v_lshlrev_b64 v[40:41], v40, v[32:33]
	v_lshrrev_b32_e32 v45, 3, v39
	v_sub_u32_e32 v32, 29, v46
	v_and_b32_e32 v40, 7, v40
	v_cmp_gt_u32_e64 s[12:13], 8, v39
	v_cndmask_b32_e64 v32, v45, v32, s[12:13]
	v_cndmask_b32_e64 v38, v38, v40, s[12:13]
	v_lshlrev_b32_e32 v30, 16, v30
	v_bfrev_b32_e32 v39, 60
	v_lshlrev_b32_e32 v38, 20, v38
	v_and_b32_e32 v30, 0x80000000, v30
	v_lshl_add_u32 v32, v32, 23, v39
	v_or3_b32 v38, v30, v32, v38
.LBB486_240:
	s_or_b64 exec, exec, s[26:27]
.LBB486_241:
	s_or_b64 exec, exec, s[24:25]
.LBB486_242:
	s_or_b64 exec, exec, s[14:15]
	s_movk_i32 s12, 0xff
	v_and_b32_sdwa v32, v27, s12 dst_sel:DWORD dst_unused:UNUSED_PAD src0_sel:WORD_1 src1_sel:DWORD
	v_lshrrev_b32_e32 v30, 16, v27
	v_cmp_ne_u16_e64 s[12:13], 0, v32
	s_and_saveexec_b64 s[14:15], s[12:13]
	s_cbranch_execz .LBB486_248
; %bb.243:
	s_movk_i32 s12, 0x80
	v_cmp_ne_u16_e64 s[12:13], s12, v32
	v_bfrev_b32_e32 v37, 1
	s_and_saveexec_b64 s[24:25], s[12:13]
	s_cbranch_execz .LBB486_247
; %bb.244:
	v_bfe_u32 v32, v27, 16, 7
	s_movk_i32 s12, 0x7f
	v_cmp_ne_u32_e64 s[12:13], s12, v32
	v_mov_b32_e32 v37, 0x7f800001
	s_and_saveexec_b64 s[26:27], s[12:13]
	s_cbranch_execz .LBB486_246
; %bb.245:
	v_and_b32_e32 v37, 7, v30
	v_ffbh_u32_e32 v40, v37
	v_min_u32_e32 v45, 32, v40
	v_subrev_u32_e32 v40, 28, v45
	v_lshlrev_b64 v[40:41], v40, v[30:31]
	v_and_b32_e32 v40, 7, v40
	v_cmp_gt_u32_e64 s[12:13], 8, v32
	v_lshrrev_b32_e32 v39, 3, v32
	v_sub_u32_e32 v30, 29, v45
	v_cndmask_b32_e64 v32, v37, v40, s[12:13]
	v_mov_b32_e32 v37, 24
	v_cndmask_b32_e64 v30, v39, v30, s[12:13]
	v_lshlrev_b32_sdwa v37, v37, v27 dst_sel:DWORD dst_unused:UNUSED_PAD src0_sel:DWORD src1_sel:WORD_1
	v_bfrev_b32_e32 v39, 60
	v_lshlrev_b32_e32 v32, 20, v32
	v_and_b32_e32 v37, 0x80000000, v37
	v_lshl_add_u32 v30, v30, 23, v39
	v_or3_b32 v37, v37, v30, v32
.LBB486_246:
	s_or_b64 exec, exec, s[26:27]
.LBB486_247:
	s_or_b64 exec, exec, s[24:25]
.LBB486_248:
	s_or_b64 exec, exec, s[14:15]
	s_mov_b32 s12, -1
	s_mov_b32 s13, 0xffffff
	v_cmp_lt_u64_e64 s[12:13], s[12:13], v[26:27]
	v_mov_b32_e32 v32, 0
	v_mov_b32_e32 v30, 0
	s_and_saveexec_b64 s[14:15], s[12:13]
	s_cbranch_execz .LBB486_254
; %bb.249:
	v_lshrrev_b32_e32 v26, 24, v27
	s_movk_i32 s12, 0x80
	v_cmp_ne_u32_e64 s[12:13], s12, v26
	v_bfrev_b32_e32 v30, 1
	s_and_saveexec_b64 s[24:25], s[12:13]
	s_cbranch_execz .LBB486_253
; %bb.250:
	v_bfe_u32 v27, v27, 24, 7
	s_movk_i32 s12, 0x7f
	v_cmp_ne_u32_e64 s[12:13], s12, v27
	v_mov_b32_e32 v30, 0x7f800001
	s_and_saveexec_b64 s[26:27], s[12:13]
	s_cbranch_execz .LBB486_252
; %bb.251:
	v_and_b32_e32 v30, 7, v26
	v_ffbh_u32_e32 v40, v30
	v_min_u32_e32 v45, 32, v40
	v_subrev_u32_e32 v40, 28, v45
	v_lshlrev_b64 v[40:41], v40, v[26:27]
	v_lshrrev_b32_e32 v39, 3, v27
	v_sub_u32_e32 v41, 29, v45
	v_and_b32_e32 v40, 7, v40
	v_cmp_gt_u32_e64 s[12:13], 8, v27
	v_cndmask_b32_e64 v27, v39, v41, s[12:13]
	v_cndmask_b32_e64 v30, v30, v40, s[12:13]
	v_lshlrev_b32_e32 v26, 24, v26
	v_bfrev_b32_e32 v39, 60
	v_lshlrev_b32_e32 v30, 20, v30
	v_and_b32_e32 v26, 0x80000000, v26
	v_lshl_add_u32 v27, v27, 23, v39
	v_or3_b32 v30, v26, v27, v30
.LBB486_252:
	s_or_b64 exec, exec, s[26:27]
.LBB486_253:
	s_or_b64 exec, exec, s[24:25]
.LBB486_254:
	s_or_b64 exec, exec, s[14:15]
	v_cvt_pkrtz_f16_f32 v26, v34, v35
	v_cvt_pkrtz_f16_f32 v27, v33, v36
	;; [unrolled: 1-line block ×4, first 2 shown]
	v_mfma_f32_4x4x4f16 a[0:3], v[2:3], v[26:27], a[0:3] cbsz:4 abid:4
	v_cmp_ne_u16_sdwa s[12:13], v28, v32 src0_sel:BYTE_0 src1_sel:DWORD
	v_mfma_f32_4x4x4f16 a[0:3], v[4:5], v[34:35], a[0:3] cbsz:4 abid:4
	s_and_saveexec_b64 s[14:15], s[12:13]
	s_cbranch_execz .LBB486_260
; %bb.255:
	s_movk_i32 s12, 0x80
	v_cmp_ne_u16_sdwa s[12:13], v28, s12 src0_sel:BYTE_0 src1_sel:DWORD
	v_bfrev_b32_e32 v32, 1
	s_and_saveexec_b64 s[24:25], s[12:13]
	s_cbranch_execz .LBB486_259
; %bb.256:
	s_movk_i32 s12, 0x7f
	v_and_b32_e32 v26, 0x7f, v28
	v_cmp_ne_u32_e64 s[12:13], s12, v26
	v_mov_b32_e32 v32, 0x7f800001
	s_and_saveexec_b64 s[26:27], s[12:13]
	s_cbranch_execz .LBB486_258
; %bb.257:
	v_and_b32_e32 v27, 7, v28
	v_ffbh_u32_e32 v27, v27
	v_min_u32_e32 v27, 32, v27
	v_subrev_u32_e32 v31, 28, v27
	v_cmp_gt_u32_e64 s[12:13], 8, v26
	v_lshrrev_b32_e32 v30, 3, v26
	v_sub_u32_e32 v27, 29, v27
	v_cndmask_b32_e64 v26, 0, v31, s[12:13]
	v_cndmask_b32_e64 v30, v30, v27, s[12:13]
	v_lshlrev_b64 v[26:27], v26, v[28:29]
	v_lshlrev_b32_e32 v26, 20, v26
	v_lshlrev_b32_e32 v27, 24, v28
	v_bfrev_b32_e32 v31, 60
	v_and_b32_e32 v26, 0x700000, v26
	v_and_b32_e32 v27, 0x80000000, v27
	v_lshl_add_u32 v30, v30, 23, v31
	v_or3_b32 v32, v27, v30, v26
.LBB486_258:
	s_or_b64 exec, exec, s[26:27]
.LBB486_259:
	s_or_b64 exec, exec, s[24:25]
.LBB486_260:
	s_or_b64 exec, exec, s[14:15]
	v_lshrrev_b16_e32 v26, 8, v28
	v_cmp_ne_u16_e64 s[12:13], 0, v26
	v_mov_b32_e32 v31, 0
	v_mov_b32_e32 v33, 0
	s_and_saveexec_b64 s[14:15], s[12:13]
	s_cbranch_execz .LBB486_266
; %bb.261:
	s_movk_i32 s12, 0x80
	v_cmp_ne_u16_e64 s[12:13], s12, v26
	v_bfrev_b32_e32 v33, 1
	s_and_saveexec_b64 s[24:25], s[12:13]
	s_cbranch_execz .LBB486_265
; %bb.262:
	s_movk_i32 s12, 0x7f
	v_and_b32_e32 v27, 0x7f, v26
	v_cmp_ne_u32_e64 s[12:13], s12, v27
	v_mov_b32_e32 v33, 0x7f800001
	s_and_saveexec_b64 s[26:27], s[12:13]
	s_cbranch_execz .LBB486_264
; %bb.263:
	v_and_b32_e32 v30, 7, v26
	v_ffbh_u32_e32 v34, v30
	v_min_u32_e32 v36, 32, v34
	v_subrev_u32_e32 v34, 28, v36
	v_lshlrev_b64 v[34:35], v34, v[26:27]
	v_lshrrev_b32_e32 v33, 3, v27
	v_sub_u32_e32 v26, 29, v36
	v_and_b32_e32 v34, 7, v34
	v_cmp_gt_u32_e64 s[12:13], 8, v27
	v_cndmask_b32_e64 v26, v33, v26, s[12:13]
	v_cndmask_b32_e64 v27, v30, v34, s[12:13]
	v_lshlrev_b32_e32 v30, 16, v28
	v_bfrev_b32_e32 v33, 60
	v_lshlrev_b32_e32 v27, 20, v27
	v_and_b32_e32 v30, 0x80000000, v30
	v_lshl_add_u32 v26, v26, 23, v33
	v_or3_b32 v33, v30, v26, v27
.LBB486_264:
	s_or_b64 exec, exec, s[26:27]
.LBB486_265:
	s_or_b64 exec, exec, s[24:25]
.LBB486_266:
	s_or_b64 exec, exec, s[14:15]
	s_movk_i32 s12, 0xff
	v_and_b32_sdwa v27, v28, s12 dst_sel:DWORD dst_unused:UNUSED_PAD src0_sel:WORD_1 src1_sel:DWORD
	v_lshrrev_b32_e32 v26, 16, v28
	v_cmp_ne_u16_e64 s[12:13], 0, v27
	s_and_saveexec_b64 s[14:15], s[12:13]
	s_cbranch_execz .LBB486_272
; %bb.267:
	s_movk_i32 s12, 0x80
	v_cmp_ne_u16_e64 s[12:13], s12, v27
	v_bfrev_b32_e32 v31, 1
	s_and_saveexec_b64 s[24:25], s[12:13]
	s_cbranch_execz .LBB486_271
; %bb.268:
	v_bfe_u32 v27, v28, 16, 7
	s_movk_i32 s12, 0x7f
	v_cmp_ne_u32_e64 s[12:13], s12, v27
	v_mov_b32_e32 v31, 0x7f800001
	s_and_saveexec_b64 s[26:27], s[12:13]
	s_cbranch_execz .LBB486_270
; %bb.269:
	v_and_b32_e32 v34, 7, v26
	v_ffbh_u32_e32 v30, v34
	v_min_u32_e32 v36, 32, v30
	v_subrev_u32_e32 v30, 28, v36
	v_lshlrev_b64 v[30:31], v30, v[26:27]
	v_and_b32_e32 v30, 7, v30
	v_cmp_gt_u32_e64 s[12:13], 8, v27
	v_lshrrev_b32_e32 v35, 3, v27
	v_sub_u32_e32 v26, 29, v36
	v_cndmask_b32_e64 v27, v34, v30, s[12:13]
	v_mov_b32_e32 v30, 24
	v_cndmask_b32_e64 v26, v35, v26, s[12:13]
	v_lshlrev_b32_sdwa v30, v30, v28 dst_sel:DWORD dst_unused:UNUSED_PAD src0_sel:DWORD src1_sel:WORD_1
	v_bfrev_b32_e32 v31, 60
	v_lshlrev_b32_e32 v27, 20, v27
	v_and_b32_e32 v30, 0x80000000, v30
	v_lshl_add_u32 v26, v26, 23, v31
	v_or3_b32 v31, v30, v26, v27
.LBB486_270:
	s_or_b64 exec, exec, s[26:27]
.LBB486_271:
	s_or_b64 exec, exec, s[24:25]
.LBB486_272:
	s_or_b64 exec, exec, s[14:15]
	s_mov_b32 s12, 0xffffff
	v_cmp_lt_u32_e64 s[12:13], s12, v28
	v_mov_b32_e32 v27, 0
	v_mov_b32_e32 v34, 0
	s_and_saveexec_b64 s[14:15], s[12:13]
	s_cbranch_execz .LBB486_278
; %bb.273:
	v_lshrrev_b32_e32 v26, 24, v28
	s_movk_i32 s12, 0x80
	v_cmp_ne_u32_e64 s[12:13], s12, v26
	v_bfrev_b32_e32 v34, 1
	s_and_saveexec_b64 s[24:25], s[12:13]
	s_cbranch_execz .LBB486_277
; %bb.274:
	v_bfe_u32 v30, v28, 24, 7
	s_movk_i32 s12, 0x7f
	v_cmp_ne_u32_e64 s[12:13], s12, v30
	v_mov_b32_e32 v34, 0x7f800001
	s_and_saveexec_b64 s[26:27], s[12:13]
	s_cbranch_execz .LBB486_276
; %bb.275:
	v_and_b32_e32 v36, 7, v26
	v_ffbh_u32_e32 v34, v36
	v_min_u32_e32 v38, 32, v34
	v_subrev_u32_e32 v34, 28, v38
	v_lshlrev_b64 v[34:35], v34, v[26:27]
	v_lshrrev_b32_e32 v37, 3, v30
	v_sub_u32_e32 v35, 29, v38
	v_and_b32_e32 v34, 7, v34
	v_cmp_gt_u32_e64 s[12:13], 8, v30
	v_cndmask_b32_e64 v30, v37, v35, s[12:13]
	v_cndmask_b32_e64 v34, v36, v34, s[12:13]
	v_lshlrev_b32_e32 v26, 24, v26
	v_bfrev_b32_e32 v35, 60
	v_lshlrev_b32_e32 v34, 20, v34
	v_and_b32_e32 v26, 0x80000000, v26
	v_lshl_add_u32 v30, v30, 23, v35
	v_or3_b32 v34, v26, v30, v34
.LBB486_276:
	s_or_b64 exec, exec, s[26:27]
.LBB486_277:
	s_or_b64 exec, exec, s[24:25]
.LBB486_278:
	s_or_b64 exec, exec, s[14:15]
	v_mov_b32_e32 v26, v29
	v_cmp_ne_u16_sdwa s[12:13], v29, v27 src0_sel:BYTE_0 src1_sel:DWORD
	s_and_saveexec_b64 s[14:15], s[12:13]
	s_cbranch_execz .LBB486_284
; %bb.279:
	s_movk_i32 s12, 0x80
	v_cmp_ne_u16_sdwa s[12:13], v29, s12 src0_sel:BYTE_0 src1_sel:DWORD
	v_bfrev_b32_e32 v30, 1
	s_and_saveexec_b64 s[24:25], s[12:13]
	s_cbranch_execz .LBB486_283
; %bb.280:
	s_movk_i32 s12, 0x7f
	v_and_b32_e32 v35, 0x7f, v29
	v_cmp_ne_u32_e64 s[12:13], s12, v35
	v_mov_b32_e32 v30, 0x7f800001
	s_and_saveexec_b64 s[26:27], s[12:13]
	s_cbranch_execz .LBB486_282
; %bb.281:
	v_and_b32_e32 v30, 7, v29
	v_ffbh_u32_e32 v30, v30
	v_min_u32_e32 v30, 32, v30
	v_subrev_u32_e32 v37, 28, v30
	v_cmp_gt_u32_e64 s[12:13], 8, v35
	v_lshrrev_b32_e32 v36, 3, v35
	v_sub_u32_e32 v30, 29, v30
	v_cndmask_b32_e64 v35, 0, v37, s[12:13]
	v_cndmask_b32_e64 v30, v36, v30, s[12:13]
	v_lshlrev_b64 v[36:37], v35, v[26:27]
	v_lshlrev_b32_e32 v27, 20, v36
	v_lshlrev_b32_e32 v35, 24, v26
	v_bfrev_b32_e32 v36, 60
	v_and_b32_e32 v27, 0x700000, v27
	v_and_b32_e32 v35, 0x80000000, v35
	v_lshl_add_u32 v30, v30, 23, v36
	v_or3_b32 v30, v35, v30, v27
.LBB486_282:
	s_or_b64 exec, exec, s[26:27]
.LBB486_283:
	s_or_b64 exec, exec, s[24:25]
	v_mov_b32_e32 v27, v30
.LBB486_284:
	s_or_b64 exec, exec, s[14:15]
	v_lshrrev_b16_e32 v30, 8, v26
	v_cmp_ne_u16_e64 s[12:13], 0, v30
	v_mov_b32_e32 v35, 0
	v_mov_b32_e32 v36, 0
	s_and_saveexec_b64 s[14:15], s[12:13]
	s_cbranch_execz .LBB486_290
; %bb.285:
	s_movk_i32 s12, 0x80
	v_cmp_ne_u16_e64 s[12:13], s12, v30
	v_bfrev_b32_e32 v36, 1
	s_and_saveexec_b64 s[24:25], s[12:13]
	s_cbranch_execz .LBB486_289
; %bb.286:
	s_movk_i32 s12, 0x7f
	v_and_b32_e32 v37, 0x7f, v30
	v_cmp_ne_u32_e64 s[12:13], s12, v37
	v_mov_b32_e32 v36, 0x7f800001
	s_and_saveexec_b64 s[26:27], s[12:13]
	s_cbranch_execz .LBB486_288
; %bb.287:
	v_and_b32_e32 v36, 7, v30
	v_ffbh_u32_e32 v38, v36
	v_min_u32_e32 v41, 32, v38
	v_subrev_u32_e32 v38, 28, v41
	v_lshlrev_b64 v[38:39], v38, v[30:31]
	v_lshrrev_b32_e32 v40, 3, v37
	v_sub_u32_e32 v30, 29, v41
	v_and_b32_e32 v38, 7, v38
	v_cmp_gt_u32_e64 s[12:13], 8, v37
	v_cndmask_b32_e64 v30, v40, v30, s[12:13]
	v_cndmask_b32_e64 v36, v36, v38, s[12:13]
	v_lshlrev_b32_e32 v26, 16, v26
	v_bfrev_b32_e32 v37, 60
	v_lshlrev_b32_e32 v36, 20, v36
	v_and_b32_e32 v26, 0x80000000, v26
	v_lshl_add_u32 v30, v30, 23, v37
	v_or3_b32 v36, v26, v30, v36
.LBB486_288:
	s_or_b64 exec, exec, s[26:27]
.LBB486_289:
	s_or_b64 exec, exec, s[24:25]
.LBB486_290:
	s_or_b64 exec, exec, s[14:15]
	s_movk_i32 s12, 0xff
	v_and_b32_sdwa v30, v29, s12 dst_sel:DWORD dst_unused:UNUSED_PAD src0_sel:WORD_1 src1_sel:DWORD
	v_lshrrev_b32_e32 v26, 16, v29
	v_cmp_ne_u16_e64 s[12:13], 0, v30
	s_and_saveexec_b64 s[14:15], s[12:13]
	s_cbranch_execz .LBB486_296
; %bb.291:
	s_movk_i32 s12, 0x80
	v_cmp_ne_u16_e64 s[12:13], s12, v30
	v_bfrev_b32_e32 v35, 1
	s_and_saveexec_b64 s[24:25], s[12:13]
	s_cbranch_execz .LBB486_295
; %bb.292:
	v_bfe_u32 v30, v29, 16, 7
	s_movk_i32 s12, 0x7f
	v_cmp_ne_u32_e64 s[12:13], s12, v30
	v_mov_b32_e32 v35, 0x7f800001
	s_and_saveexec_b64 s[26:27], s[12:13]
	s_cbranch_execz .LBB486_294
; %bb.293:
	v_and_b32_e32 v35, 7, v26
	v_ffbh_u32_e32 v38, v35
	v_min_u32_e32 v40, 32, v38
	v_subrev_u32_e32 v38, 28, v40
	v_lshlrev_b64 v[38:39], v38, v[26:27]
	v_and_b32_e32 v38, 7, v38
	v_cmp_gt_u32_e64 s[12:13], 8, v30
	v_lshrrev_b32_e32 v37, 3, v30
	v_sub_u32_e32 v26, 29, v40
	v_cndmask_b32_e64 v30, v35, v38, s[12:13]
	v_mov_b32_e32 v35, 24
	v_cndmask_b32_e64 v26, v37, v26, s[12:13]
	v_lshlrev_b32_sdwa v35, v35, v29 dst_sel:DWORD dst_unused:UNUSED_PAD src0_sel:DWORD src1_sel:WORD_1
	v_bfrev_b32_e32 v37, 60
	v_lshlrev_b32_e32 v30, 20, v30
	v_and_b32_e32 v35, 0x80000000, v35
	v_lshl_add_u32 v26, v26, 23, v37
	v_or3_b32 v35, v35, v26, v30
.LBB486_294:
	s_or_b64 exec, exec, s[26:27]
.LBB486_295:
	s_or_b64 exec, exec, s[24:25]
.LBB486_296:
	s_or_b64 exec, exec, s[14:15]
	s_mov_b32 s12, -1
	s_mov_b32 s13, 0xffffff
	v_cmp_lt_u64_e64 s[12:13], s[12:13], v[28:29]
	v_mov_b32_e32 v30, 0
	v_mov_b32_e32 v28, 0
	s_and_saveexec_b64 s[14:15], s[12:13]
	s_cbranch_execz .LBB486_302
; %bb.297:
	v_lshrrev_b32_e32 v26, 24, v29
	s_movk_i32 s12, 0x80
	v_cmp_ne_u32_e64 s[12:13], s12, v26
	v_bfrev_b32_e32 v28, 1
	s_and_saveexec_b64 s[24:25], s[12:13]
	s_cbranch_execz .LBB486_301
; %bb.298:
	v_bfe_u32 v29, v29, 24, 7
	s_movk_i32 s12, 0x7f
	v_cmp_ne_u32_e64 s[12:13], s12, v29
	v_mov_b32_e32 v28, 0x7f800001
	s_and_saveexec_b64 s[26:27], s[12:13]
	s_cbranch_execz .LBB486_300
; %bb.299:
	v_and_b32_e32 v28, 7, v26
	v_ffbh_u32_e32 v38, v28
	v_min_u32_e32 v40, 32, v38
	v_subrev_u32_e32 v38, 28, v40
	v_lshlrev_b64 v[38:39], v38, v[26:27]
	v_lshrrev_b32_e32 v37, 3, v29
	v_sub_u32_e32 v39, 29, v40
	v_and_b32_e32 v38, 7, v38
	v_cmp_gt_u32_e64 s[12:13], 8, v29
	v_cndmask_b32_e64 v29, v37, v39, s[12:13]
	v_cndmask_b32_e64 v28, v28, v38, s[12:13]
	v_lshlrev_b32_e32 v26, 24, v26
	v_bfrev_b32_e32 v37, 60
	v_lshlrev_b32_e32 v28, 20, v28
	v_and_b32_e32 v26, 0x80000000, v26
	v_lshl_add_u32 v29, v29, 23, v37
	v_or3_b32 v28, v26, v29, v28
.LBB486_300:
	s_or_b64 exec, exec, s[26:27]
.LBB486_301:
	s_or_b64 exec, exec, s[24:25]
.LBB486_302:
	s_or_b64 exec, exec, s[14:15]
	v_cvt_pkrtz_f16_f32 v32, v32, v33
	v_cvt_pkrtz_f16_f32 v33, v31, v34
	;; [unrolled: 1-line block ×4, first 2 shown]
	v_mfma_f32_4x4x4f16 a[0:3], v[2:3], v[32:33], a[0:3] cbsz:4 abid:5
	v_cmp_ne_u16_sdwa s[12:13], v22, v30 src0_sel:BYTE_0 src1_sel:DWORD
	v_mfma_f32_4x4x4f16 a[0:3], v[4:5], v[26:27], a[0:3] cbsz:4 abid:5
	s_and_saveexec_b64 s[14:15], s[12:13]
	s_cbranch_execz .LBB486_308
; %bb.303:
	s_movk_i32 s12, 0x80
	v_cmp_ne_u16_sdwa s[12:13], v22, s12 src0_sel:BYTE_0 src1_sel:DWORD
	v_bfrev_b32_e32 v30, 1
	s_and_saveexec_b64 s[24:25], s[12:13]
	s_cbranch_execz .LBB486_307
; %bb.304:
	s_movk_i32 s12, 0x7f
	v_and_b32_e32 v26, 0x7f, v22
	v_cmp_ne_u32_e64 s[12:13], s12, v26
	v_mov_b32_e32 v30, 0x7f800001
	s_and_saveexec_b64 s[26:27], s[12:13]
	s_cbranch_execz .LBB486_306
; %bb.305:
	v_and_b32_e32 v27, 7, v22
	v_ffbh_u32_e32 v27, v27
	v_min_u32_e32 v27, 32, v27
	v_subrev_u32_e32 v29, 28, v27
	v_cmp_gt_u32_e64 s[12:13], 8, v26
	v_lshrrev_b32_e32 v28, 3, v26
	v_sub_u32_e32 v27, 29, v27
	v_cndmask_b32_e64 v26, 0, v29, s[12:13]
	v_cndmask_b32_e64 v28, v28, v27, s[12:13]
	v_lshlrev_b64 v[26:27], v26, v[22:23]
	v_lshlrev_b32_e32 v26, 20, v26
	v_lshlrev_b32_e32 v27, 24, v22
	v_bfrev_b32_e32 v29, 60
	v_and_b32_e32 v26, 0x700000, v26
	v_and_b32_e32 v27, 0x80000000, v27
	v_lshl_add_u32 v28, v28, 23, v29
	v_or3_b32 v30, v27, v28, v26
.LBB486_306:
	s_or_b64 exec, exec, s[26:27]
.LBB486_307:
	s_or_b64 exec, exec, s[24:25]
.LBB486_308:
	s_or_b64 exec, exec, s[14:15]
	v_lshrrev_b16_e32 v26, 8, v22
	v_cmp_ne_u16_e64 s[12:13], 0, v26
	v_mov_b32_e32 v29, 0
	v_mov_b32_e32 v31, 0
	s_and_saveexec_b64 s[14:15], s[12:13]
	s_cbranch_execz .LBB486_314
; %bb.309:
	s_movk_i32 s12, 0x80
	v_cmp_ne_u16_e64 s[12:13], s12, v26
	v_bfrev_b32_e32 v31, 1
	s_and_saveexec_b64 s[24:25], s[12:13]
	s_cbranch_execz .LBB486_313
; %bb.310:
	s_movk_i32 s12, 0x7f
	v_and_b32_e32 v27, 0x7f, v26
	v_cmp_ne_u32_e64 s[12:13], s12, v27
	v_mov_b32_e32 v31, 0x7f800001
	s_and_saveexec_b64 s[26:27], s[12:13]
	s_cbranch_execz .LBB486_312
; %bb.311:
	v_and_b32_e32 v28, 7, v26
	v_ffbh_u32_e32 v32, v28
	v_min_u32_e32 v34, 32, v32
	v_subrev_u32_e32 v32, 28, v34
	v_lshlrev_b64 v[32:33], v32, v[26:27]
	v_lshrrev_b32_e32 v31, 3, v27
	v_sub_u32_e32 v26, 29, v34
	v_and_b32_e32 v32, 7, v32
	v_cmp_gt_u32_e64 s[12:13], 8, v27
	v_cndmask_b32_e64 v26, v31, v26, s[12:13]
	v_cndmask_b32_e64 v27, v28, v32, s[12:13]
	v_lshlrev_b32_e32 v28, 16, v22
	v_bfrev_b32_e32 v31, 60
	v_lshlrev_b32_e32 v27, 20, v27
	v_and_b32_e32 v28, 0x80000000, v28
	v_lshl_add_u32 v26, v26, 23, v31
	v_or3_b32 v31, v28, v26, v27
.LBB486_312:
	s_or_b64 exec, exec, s[26:27]
.LBB486_313:
	s_or_b64 exec, exec, s[24:25]
.LBB486_314:
	s_or_b64 exec, exec, s[14:15]
	s_movk_i32 s12, 0xff
	v_and_b32_sdwa v27, v22, s12 dst_sel:DWORD dst_unused:UNUSED_PAD src0_sel:WORD_1 src1_sel:DWORD
	v_lshrrev_b32_e32 v26, 16, v22
	v_cmp_ne_u16_e64 s[12:13], 0, v27
	s_and_saveexec_b64 s[14:15], s[12:13]
	s_cbranch_execz .LBB486_320
; %bb.315:
	s_movk_i32 s12, 0x80
	v_cmp_ne_u16_e64 s[12:13], s12, v27
	v_bfrev_b32_e32 v29, 1
	s_and_saveexec_b64 s[24:25], s[12:13]
	s_cbranch_execz .LBB486_319
; %bb.316:
	v_bfe_u32 v27, v22, 16, 7
	s_movk_i32 s12, 0x7f
	v_cmp_ne_u32_e64 s[12:13], s12, v27
	v_mov_b32_e32 v29, 0x7f800001
	s_and_saveexec_b64 s[26:27], s[12:13]
	s_cbranch_execz .LBB486_318
; %bb.317:
	v_and_b32_e32 v32, 7, v26
	v_ffbh_u32_e32 v28, v32
	v_min_u32_e32 v34, 32, v28
	v_subrev_u32_e32 v28, 28, v34
	v_lshlrev_b64 v[28:29], v28, v[26:27]
	v_and_b32_e32 v28, 7, v28
	v_cmp_gt_u32_e64 s[12:13], 8, v27
	v_lshrrev_b32_e32 v33, 3, v27
	v_sub_u32_e32 v26, 29, v34
	v_cndmask_b32_e64 v27, v32, v28, s[12:13]
	v_mov_b32_e32 v28, 24
	v_cndmask_b32_e64 v26, v33, v26, s[12:13]
	v_lshlrev_b32_sdwa v28, v28, v22 dst_sel:DWORD dst_unused:UNUSED_PAD src0_sel:DWORD src1_sel:WORD_1
	v_bfrev_b32_e32 v29, 60
	v_lshlrev_b32_e32 v27, 20, v27
	v_and_b32_e32 v28, 0x80000000, v28
	v_lshl_add_u32 v26, v26, 23, v29
	v_or3_b32 v29, v28, v26, v27
.LBB486_318:
	s_or_b64 exec, exec, s[26:27]
.LBB486_319:
	s_or_b64 exec, exec, s[24:25]
.LBB486_320:
	s_or_b64 exec, exec, s[14:15]
	s_mov_b32 s12, 0xffffff
	v_cmp_lt_u32_e64 s[12:13], s12, v22
	v_mov_b32_e32 v27, 0
	v_mov_b32_e32 v32, 0
	s_and_saveexec_b64 s[14:15], s[12:13]
	s_cbranch_execz .LBB486_326
; %bb.321:
	v_lshrrev_b32_e32 v26, 24, v22
	s_movk_i32 s12, 0x80
	v_cmp_ne_u32_e64 s[12:13], s12, v26
	v_bfrev_b32_e32 v32, 1
	s_and_saveexec_b64 s[24:25], s[12:13]
	s_cbranch_execz .LBB486_325
; %bb.322:
	v_bfe_u32 v28, v22, 24, 7
	s_movk_i32 s12, 0x7f
	v_cmp_ne_u32_e64 s[12:13], s12, v28
	v_mov_b32_e32 v32, 0x7f800001
	s_and_saveexec_b64 s[26:27], s[12:13]
	s_cbranch_execz .LBB486_324
; %bb.323:
	v_and_b32_e32 v34, 7, v26
	v_ffbh_u32_e32 v32, v34
	v_min_u32_e32 v36, 32, v32
	v_subrev_u32_e32 v32, 28, v36
	v_lshlrev_b64 v[32:33], v32, v[26:27]
	v_lshrrev_b32_e32 v35, 3, v28
	v_sub_u32_e32 v33, 29, v36
	v_and_b32_e32 v32, 7, v32
	v_cmp_gt_u32_e64 s[12:13], 8, v28
	v_cndmask_b32_e64 v28, v35, v33, s[12:13]
	v_cndmask_b32_e64 v32, v34, v32, s[12:13]
	v_lshlrev_b32_e32 v26, 24, v26
	v_bfrev_b32_e32 v33, 60
	v_lshlrev_b32_e32 v32, 20, v32
	v_and_b32_e32 v26, 0x80000000, v26
	v_lshl_add_u32 v28, v28, 23, v33
	v_or3_b32 v32, v26, v28, v32
.LBB486_324:
	s_or_b64 exec, exec, s[26:27]
.LBB486_325:
	s_or_b64 exec, exec, s[24:25]
.LBB486_326:
	s_or_b64 exec, exec, s[14:15]
	v_mov_b32_e32 v26, v23
	v_cmp_ne_u16_sdwa s[12:13], v23, v27 src0_sel:BYTE_0 src1_sel:DWORD
	s_and_saveexec_b64 s[14:15], s[12:13]
	s_cbranch_execz .LBB486_332
; %bb.327:
	s_movk_i32 s12, 0x80
	v_cmp_ne_u16_sdwa s[12:13], v23, s12 src0_sel:BYTE_0 src1_sel:DWORD
	v_bfrev_b32_e32 v28, 1
	s_and_saveexec_b64 s[24:25], s[12:13]
	s_cbranch_execz .LBB486_331
; %bb.328:
	s_movk_i32 s12, 0x7f
	v_and_b32_e32 v33, 0x7f, v23
	v_cmp_ne_u32_e64 s[12:13], s12, v33
	v_mov_b32_e32 v28, 0x7f800001
	s_and_saveexec_b64 s[26:27], s[12:13]
	s_cbranch_execz .LBB486_330
; %bb.329:
	v_and_b32_e32 v28, 7, v23
	v_ffbh_u32_e32 v28, v28
	v_min_u32_e32 v28, 32, v28
	v_subrev_u32_e32 v35, 28, v28
	v_cmp_gt_u32_e64 s[12:13], 8, v33
	v_lshrrev_b32_e32 v34, 3, v33
	v_sub_u32_e32 v28, 29, v28
	v_cndmask_b32_e64 v33, 0, v35, s[12:13]
	v_cndmask_b32_e64 v28, v34, v28, s[12:13]
	v_lshlrev_b64 v[34:35], v33, v[26:27]
	v_lshlrev_b32_e32 v27, 20, v34
	v_lshlrev_b32_e32 v33, 24, v26
	v_bfrev_b32_e32 v34, 60
	v_and_b32_e32 v27, 0x700000, v27
	v_and_b32_e32 v33, 0x80000000, v33
	v_lshl_add_u32 v28, v28, 23, v34
	v_or3_b32 v28, v33, v28, v27
.LBB486_330:
	s_or_b64 exec, exec, s[26:27]
.LBB486_331:
	s_or_b64 exec, exec, s[24:25]
	v_mov_b32_e32 v27, v28
.LBB486_332:
	s_or_b64 exec, exec, s[14:15]
	v_lshrrev_b16_e32 v28, 8, v26
	v_cmp_ne_u16_e64 s[12:13], 0, v28
	v_mov_b32_e32 v33, 0
	v_mov_b32_e32 v34, 0
	s_and_saveexec_b64 s[14:15], s[12:13]
	s_cbranch_execz .LBB486_338
; %bb.333:
	s_movk_i32 s12, 0x80
	v_cmp_ne_u16_e64 s[12:13], s12, v28
	v_bfrev_b32_e32 v34, 1
	s_and_saveexec_b64 s[24:25], s[12:13]
	s_cbranch_execz .LBB486_337
; %bb.334:
	s_movk_i32 s12, 0x7f
	v_and_b32_e32 v35, 0x7f, v28
	v_cmp_ne_u32_e64 s[12:13], s12, v35
	v_mov_b32_e32 v34, 0x7f800001
	s_and_saveexec_b64 s[26:27], s[12:13]
	s_cbranch_execz .LBB486_336
; %bb.335:
	v_and_b32_e32 v34, 7, v28
	v_ffbh_u32_e32 v36, v34
	v_min_u32_e32 v39, 32, v36
	v_subrev_u32_e32 v36, 28, v39
	v_lshlrev_b64 v[36:37], v36, v[28:29]
	v_lshrrev_b32_e32 v38, 3, v35
	v_sub_u32_e32 v28, 29, v39
	v_and_b32_e32 v36, 7, v36
	v_cmp_gt_u32_e64 s[12:13], 8, v35
	v_cndmask_b32_e64 v28, v38, v28, s[12:13]
	v_cndmask_b32_e64 v34, v34, v36, s[12:13]
	v_lshlrev_b32_e32 v26, 16, v26
	v_bfrev_b32_e32 v35, 60
	v_lshlrev_b32_e32 v34, 20, v34
	v_and_b32_e32 v26, 0x80000000, v26
	v_lshl_add_u32 v28, v28, 23, v35
	v_or3_b32 v34, v26, v28, v34
.LBB486_336:
	s_or_b64 exec, exec, s[26:27]
.LBB486_337:
	s_or_b64 exec, exec, s[24:25]
.LBB486_338:
	s_or_b64 exec, exec, s[14:15]
	s_movk_i32 s12, 0xff
	v_and_b32_sdwa v28, v23, s12 dst_sel:DWORD dst_unused:UNUSED_PAD src0_sel:WORD_1 src1_sel:DWORD
	v_lshrrev_b32_e32 v26, 16, v23
	v_cmp_ne_u16_e64 s[12:13], 0, v28
	s_and_saveexec_b64 s[14:15], s[12:13]
	s_cbranch_execz .LBB486_344
; %bb.339:
	s_movk_i32 s12, 0x80
	v_cmp_ne_u16_e64 s[12:13], s12, v28
	v_bfrev_b32_e32 v33, 1
	s_and_saveexec_b64 s[24:25], s[12:13]
	s_cbranch_execz .LBB486_343
; %bb.340:
	v_bfe_u32 v28, v23, 16, 7
	s_movk_i32 s12, 0x7f
	v_cmp_ne_u32_e64 s[12:13], s12, v28
	v_mov_b32_e32 v33, 0x7f800001
	s_and_saveexec_b64 s[26:27], s[12:13]
	s_cbranch_execz .LBB486_342
; %bb.341:
	v_and_b32_e32 v33, 7, v26
	v_ffbh_u32_e32 v36, v33
	v_min_u32_e32 v38, 32, v36
	v_subrev_u32_e32 v36, 28, v38
	v_lshlrev_b64 v[36:37], v36, v[26:27]
	v_and_b32_e32 v36, 7, v36
	v_cmp_gt_u32_e64 s[12:13], 8, v28
	v_lshrrev_b32_e32 v35, 3, v28
	v_sub_u32_e32 v26, 29, v38
	v_cndmask_b32_e64 v28, v33, v36, s[12:13]
	v_mov_b32_e32 v33, 24
	v_cndmask_b32_e64 v26, v35, v26, s[12:13]
	v_lshlrev_b32_sdwa v33, v33, v23 dst_sel:DWORD dst_unused:UNUSED_PAD src0_sel:DWORD src1_sel:WORD_1
	v_bfrev_b32_e32 v35, 60
	v_lshlrev_b32_e32 v28, 20, v28
	v_and_b32_e32 v33, 0x80000000, v33
	v_lshl_add_u32 v26, v26, 23, v35
	v_or3_b32 v33, v33, v26, v28
.LBB486_342:
	s_or_b64 exec, exec, s[26:27]
.LBB486_343:
	s_or_b64 exec, exec, s[24:25]
.LBB486_344:
	s_or_b64 exec, exec, s[14:15]
	s_mov_b32 s12, -1
	s_mov_b32 s13, 0xffffff
	v_cmp_lt_u64_e64 s[12:13], s[12:13], v[22:23]
	v_mov_b32_e32 v28, 0
	v_mov_b32_e32 v26, 0
	s_and_saveexec_b64 s[14:15], s[12:13]
	s_cbranch_execz .LBB486_350
; %bb.345:
	v_lshrrev_b32_e32 v22, 24, v23
	s_movk_i32 s12, 0x80
	v_cmp_ne_u32_e64 s[12:13], s12, v22
	v_bfrev_b32_e32 v26, 1
	s_and_saveexec_b64 s[24:25], s[12:13]
	s_cbranch_execz .LBB486_349
; %bb.346:
	v_bfe_u32 v23, v23, 24, 7
	s_movk_i32 s12, 0x7f
	v_cmp_ne_u32_e64 s[12:13], s12, v23
	v_mov_b32_e32 v26, 0x7f800001
	s_and_saveexec_b64 s[26:27], s[12:13]
	s_cbranch_execz .LBB486_348
; %bb.347:
	v_and_b32_e32 v26, 7, v22
	v_ffbh_u32_e32 v36, v26
	v_min_u32_e32 v38, 32, v36
	v_subrev_u32_e32 v36, 28, v38
	v_lshlrev_b64 v[36:37], v36, v[22:23]
	v_lshrrev_b32_e32 v35, 3, v23
	v_sub_u32_e32 v37, 29, v38
	v_and_b32_e32 v36, 7, v36
	v_cmp_gt_u32_e64 s[12:13], 8, v23
	v_cndmask_b32_e64 v23, v35, v37, s[12:13]
	v_cndmask_b32_e64 v26, v26, v36, s[12:13]
	v_lshlrev_b32_e32 v22, 24, v22
	v_bfrev_b32_e32 v35, 60
	v_lshlrev_b32_e32 v26, 20, v26
	v_and_b32_e32 v22, 0x80000000, v22
	v_lshl_add_u32 v23, v23, 23, v35
	v_or3_b32 v26, v22, v23, v26
.LBB486_348:
	s_or_b64 exec, exec, s[26:27]
.LBB486_349:
	s_or_b64 exec, exec, s[24:25]
.LBB486_350:
	s_or_b64 exec, exec, s[14:15]
	v_cvt_pkrtz_f16_f32 v22, v30, v31
	v_cvt_pkrtz_f16_f32 v23, v29, v32
	v_cvt_pkrtz_f16_f32 v30, v27, v34
	v_cvt_pkrtz_f16_f32 v31, v33, v26
	v_mfma_f32_4x4x4f16 a[0:3], v[2:3], v[22:23], a[0:3] cbsz:4 abid:6
	v_cmp_ne_u16_sdwa s[12:13], v24, v28 src0_sel:BYTE_0 src1_sel:DWORD
	v_mfma_f32_4x4x4f16 a[0:3], v[4:5], v[30:31], a[0:3] cbsz:4 abid:6
	s_and_saveexec_b64 s[14:15], s[12:13]
	s_cbranch_execz .LBB486_356
; %bb.351:
	s_movk_i32 s12, 0x80
	v_cmp_ne_u16_sdwa s[12:13], v24, s12 src0_sel:BYTE_0 src1_sel:DWORD
	v_bfrev_b32_e32 v28, 1
	s_and_saveexec_b64 s[24:25], s[12:13]
	s_cbranch_execz .LBB486_355
; %bb.352:
	s_movk_i32 s12, 0x7f
	v_and_b32_e32 v22, 0x7f, v24
	v_cmp_ne_u32_e64 s[12:13], s12, v22
	v_mov_b32_e32 v28, 0x7f800001
	s_and_saveexec_b64 s[26:27], s[12:13]
	s_cbranch_execz .LBB486_354
; %bb.353:
	v_and_b32_e32 v23, 7, v24
	v_ffbh_u32_e32 v23, v23
	v_min_u32_e32 v23, 32, v23
	v_subrev_u32_e32 v27, 28, v23
	v_cmp_gt_u32_e64 s[12:13], 8, v22
	v_lshrrev_b32_e32 v26, 3, v22
	v_sub_u32_e32 v23, 29, v23
	v_cndmask_b32_e64 v22, 0, v27, s[12:13]
	v_cndmask_b32_e64 v26, v26, v23, s[12:13]
	v_lshlrev_b64 v[22:23], v22, v[24:25]
	v_lshlrev_b32_e32 v22, 20, v22
	v_lshlrev_b32_e32 v23, 24, v24
	v_bfrev_b32_e32 v27, 60
	v_and_b32_e32 v22, 0x700000, v22
	v_and_b32_e32 v23, 0x80000000, v23
	v_lshl_add_u32 v26, v26, 23, v27
	v_or3_b32 v28, v23, v26, v22
.LBB486_354:
	s_or_b64 exec, exec, s[26:27]
.LBB486_355:
	s_or_b64 exec, exec, s[24:25]
.LBB486_356:
	s_or_b64 exec, exec, s[14:15]
	v_lshrrev_b16_e32 v22, 8, v24
	v_cmp_ne_u16_e64 s[12:13], 0, v22
	v_mov_b32_e32 v27, 0
	v_mov_b32_e32 v29, 0
	s_and_saveexec_b64 s[14:15], s[12:13]
	s_cbranch_execz .LBB486_362
; %bb.357:
	s_movk_i32 s12, 0x80
	v_cmp_ne_u16_e64 s[12:13], s12, v22
	v_bfrev_b32_e32 v29, 1
	s_and_saveexec_b64 s[24:25], s[12:13]
	s_cbranch_execz .LBB486_361
; %bb.358:
	s_movk_i32 s12, 0x7f
	v_and_b32_e32 v23, 0x7f, v22
	v_cmp_ne_u32_e64 s[12:13], s12, v23
	v_mov_b32_e32 v29, 0x7f800001
	s_and_saveexec_b64 s[26:27], s[12:13]
	s_cbranch_execz .LBB486_360
; %bb.359:
	v_and_b32_e32 v26, 7, v22
	v_ffbh_u32_e32 v30, v26
	v_min_u32_e32 v32, 32, v30
	v_subrev_u32_e32 v30, 28, v32
	v_lshlrev_b64 v[30:31], v30, v[22:23]
	v_lshrrev_b32_e32 v29, 3, v23
	v_sub_u32_e32 v22, 29, v32
	v_and_b32_e32 v30, 7, v30
	v_cmp_gt_u32_e64 s[12:13], 8, v23
	v_cndmask_b32_e64 v22, v29, v22, s[12:13]
	v_cndmask_b32_e64 v23, v26, v30, s[12:13]
	v_lshlrev_b32_e32 v26, 16, v24
	v_bfrev_b32_e32 v29, 60
	v_lshlrev_b32_e32 v23, 20, v23
	v_and_b32_e32 v26, 0x80000000, v26
	v_lshl_add_u32 v22, v22, 23, v29
	v_or3_b32 v29, v26, v22, v23
.LBB486_360:
	s_or_b64 exec, exec, s[26:27]
.LBB486_361:
	s_or_b64 exec, exec, s[24:25]
.LBB486_362:
	s_or_b64 exec, exec, s[14:15]
	s_movk_i32 s12, 0xff
	v_and_b32_sdwa v23, v24, s12 dst_sel:DWORD dst_unused:UNUSED_PAD src0_sel:WORD_1 src1_sel:DWORD
	v_lshrrev_b32_e32 v22, 16, v24
	v_cmp_ne_u16_e64 s[12:13], 0, v23
	s_and_saveexec_b64 s[14:15], s[12:13]
	s_cbranch_execz .LBB486_368
; %bb.363:
	s_movk_i32 s12, 0x80
	v_cmp_ne_u16_e64 s[12:13], s12, v23
	v_bfrev_b32_e32 v27, 1
	s_and_saveexec_b64 s[24:25], s[12:13]
	s_cbranch_execz .LBB486_367
; %bb.364:
	v_bfe_u32 v23, v24, 16, 7
	s_movk_i32 s12, 0x7f
	v_cmp_ne_u32_e64 s[12:13], s12, v23
	v_mov_b32_e32 v27, 0x7f800001
	s_and_saveexec_b64 s[26:27], s[12:13]
	s_cbranch_execz .LBB486_366
; %bb.365:
	v_and_b32_e32 v30, 7, v22
	v_ffbh_u32_e32 v26, v30
	v_min_u32_e32 v32, 32, v26
	v_subrev_u32_e32 v26, 28, v32
	v_lshlrev_b64 v[26:27], v26, v[22:23]
	v_and_b32_e32 v26, 7, v26
	v_cmp_gt_u32_e64 s[12:13], 8, v23
	v_lshrrev_b32_e32 v31, 3, v23
	v_sub_u32_e32 v22, 29, v32
	v_cndmask_b32_e64 v23, v30, v26, s[12:13]
	v_mov_b32_e32 v26, 24
	v_cndmask_b32_e64 v22, v31, v22, s[12:13]
	v_lshlrev_b32_sdwa v26, v26, v24 dst_sel:DWORD dst_unused:UNUSED_PAD src0_sel:DWORD src1_sel:WORD_1
	v_bfrev_b32_e32 v27, 60
	v_lshlrev_b32_e32 v23, 20, v23
	v_and_b32_e32 v26, 0x80000000, v26
	v_lshl_add_u32 v22, v22, 23, v27
	v_or3_b32 v27, v26, v22, v23
.LBB486_366:
	s_or_b64 exec, exec, s[26:27]
.LBB486_367:
	s_or_b64 exec, exec, s[24:25]
.LBB486_368:
	s_or_b64 exec, exec, s[14:15]
	s_mov_b32 s12, 0xffffff
	v_cmp_lt_u32_e64 s[12:13], s12, v24
	v_mov_b32_e32 v23, 0
	v_mov_b32_e32 v30, 0
	s_and_saveexec_b64 s[14:15], s[12:13]
	s_cbranch_execz .LBB486_374
; %bb.369:
	v_lshrrev_b32_e32 v22, 24, v24
	s_movk_i32 s12, 0x80
	v_cmp_ne_u32_e64 s[12:13], s12, v22
	v_bfrev_b32_e32 v30, 1
	s_and_saveexec_b64 s[24:25], s[12:13]
	s_cbranch_execz .LBB486_373
; %bb.370:
	v_bfe_u32 v26, v24, 24, 7
	s_movk_i32 s12, 0x7f
	v_cmp_ne_u32_e64 s[12:13], s12, v26
	v_mov_b32_e32 v30, 0x7f800001
	s_and_saveexec_b64 s[26:27], s[12:13]
	s_cbranch_execz .LBB486_372
; %bb.371:
	v_and_b32_e32 v32, 7, v22
	v_ffbh_u32_e32 v30, v32
	v_min_u32_e32 v34, 32, v30
	v_subrev_u32_e32 v30, 28, v34
	v_lshlrev_b64 v[30:31], v30, v[22:23]
	v_lshrrev_b32_e32 v33, 3, v26
	v_sub_u32_e32 v31, 29, v34
	v_and_b32_e32 v30, 7, v30
	v_cmp_gt_u32_e64 s[12:13], 8, v26
	v_cndmask_b32_e64 v26, v33, v31, s[12:13]
	v_cndmask_b32_e64 v30, v32, v30, s[12:13]
	v_lshlrev_b32_e32 v22, 24, v22
	v_bfrev_b32_e32 v31, 60
	v_lshlrev_b32_e32 v30, 20, v30
	v_and_b32_e32 v22, 0x80000000, v22
	v_lshl_add_u32 v26, v26, 23, v31
	v_or3_b32 v30, v22, v26, v30
.LBB486_372:
	s_or_b64 exec, exec, s[26:27]
.LBB486_373:
	s_or_b64 exec, exec, s[24:25]
.LBB486_374:
	s_or_b64 exec, exec, s[14:15]
	v_mov_b32_e32 v22, v25
	v_cmp_ne_u16_sdwa s[12:13], v25, v23 src0_sel:BYTE_0 src1_sel:DWORD
	s_and_saveexec_b64 s[14:15], s[12:13]
	s_cbranch_execz .LBB486_380
; %bb.375:
	s_movk_i32 s12, 0x80
	v_cmp_ne_u16_sdwa s[12:13], v25, s12 src0_sel:BYTE_0 src1_sel:DWORD
	v_bfrev_b32_e32 v26, 1
	s_and_saveexec_b64 s[24:25], s[12:13]
	s_cbranch_execz .LBB486_379
; %bb.376:
	s_movk_i32 s12, 0x7f
	v_and_b32_e32 v31, 0x7f, v25
	v_cmp_ne_u32_e64 s[12:13], s12, v31
	v_mov_b32_e32 v26, 0x7f800001
	s_and_saveexec_b64 s[26:27], s[12:13]
	s_cbranch_execz .LBB486_378
; %bb.377:
	v_and_b32_e32 v26, 7, v25
	v_ffbh_u32_e32 v26, v26
	v_min_u32_e32 v26, 32, v26
	v_subrev_u32_e32 v33, 28, v26
	v_cmp_gt_u32_e64 s[12:13], 8, v31
	v_lshrrev_b32_e32 v32, 3, v31
	v_sub_u32_e32 v26, 29, v26
	v_cndmask_b32_e64 v31, 0, v33, s[12:13]
	v_cndmask_b32_e64 v26, v32, v26, s[12:13]
	v_lshlrev_b64 v[32:33], v31, v[22:23]
	v_lshlrev_b32_e32 v23, 20, v32
	v_lshlrev_b32_e32 v31, 24, v22
	v_bfrev_b32_e32 v32, 60
	v_and_b32_e32 v23, 0x700000, v23
	v_and_b32_e32 v31, 0x80000000, v31
	v_lshl_add_u32 v26, v26, 23, v32
	v_or3_b32 v26, v31, v26, v23
.LBB486_378:
	s_or_b64 exec, exec, s[26:27]
.LBB486_379:
	s_or_b64 exec, exec, s[24:25]
	v_mov_b32_e32 v23, v26
.LBB486_380:
	s_or_b64 exec, exec, s[14:15]
	v_lshrrev_b16_e32 v26, 8, v22
	v_cmp_ne_u16_e64 s[12:13], 0, v26
	v_mov_b32_e32 v31, 0
	v_mov_b32_e32 v32, 0
	s_and_saveexec_b64 s[14:15], s[12:13]
	s_cbranch_execz .LBB486_386
; %bb.381:
	s_movk_i32 s12, 0x80
	v_cmp_ne_u16_e64 s[12:13], s12, v26
	v_bfrev_b32_e32 v32, 1
	s_and_saveexec_b64 s[24:25], s[12:13]
	s_cbranch_execz .LBB486_385
; %bb.382:
	s_movk_i32 s12, 0x7f
	v_and_b32_e32 v33, 0x7f, v26
	v_cmp_ne_u32_e64 s[12:13], s12, v33
	v_mov_b32_e32 v32, 0x7f800001
	s_and_saveexec_b64 s[26:27], s[12:13]
	s_cbranch_execz .LBB486_384
; %bb.383:
	v_and_b32_e32 v32, 7, v26
	v_ffbh_u32_e32 v34, v32
	v_min_u32_e32 v37, 32, v34
	v_subrev_u32_e32 v34, 28, v37
	v_lshlrev_b64 v[34:35], v34, v[26:27]
	v_lshrrev_b32_e32 v36, 3, v33
	v_sub_u32_e32 v26, 29, v37
	v_and_b32_e32 v34, 7, v34
	v_cmp_gt_u32_e64 s[12:13], 8, v33
	v_cndmask_b32_e64 v26, v36, v26, s[12:13]
	v_cndmask_b32_e64 v32, v32, v34, s[12:13]
	v_lshlrev_b32_e32 v22, 16, v22
	v_bfrev_b32_e32 v33, 60
	v_lshlrev_b32_e32 v32, 20, v32
	v_and_b32_e32 v22, 0x80000000, v22
	v_lshl_add_u32 v26, v26, 23, v33
	v_or3_b32 v32, v22, v26, v32
.LBB486_384:
	s_or_b64 exec, exec, s[26:27]
.LBB486_385:
	s_or_b64 exec, exec, s[24:25]
.LBB486_386:
	s_or_b64 exec, exec, s[14:15]
	s_movk_i32 s12, 0xff
	v_and_b32_sdwa v26, v25, s12 dst_sel:DWORD dst_unused:UNUSED_PAD src0_sel:WORD_1 src1_sel:DWORD
	v_lshrrev_b32_e32 v22, 16, v25
	v_cmp_ne_u16_e64 s[12:13], 0, v26
	s_and_saveexec_b64 s[14:15], s[12:13]
	s_cbranch_execz .LBB486_392
; %bb.387:
	s_movk_i32 s12, 0x80
	v_cmp_ne_u16_e64 s[12:13], s12, v26
	v_bfrev_b32_e32 v31, 1
	s_and_saveexec_b64 s[24:25], s[12:13]
	s_cbranch_execz .LBB486_391
; %bb.388:
	v_bfe_u32 v26, v25, 16, 7
	s_movk_i32 s12, 0x7f
	v_cmp_ne_u32_e64 s[12:13], s12, v26
	v_mov_b32_e32 v31, 0x7f800001
	s_and_saveexec_b64 s[26:27], s[12:13]
	s_cbranch_execz .LBB486_390
; %bb.389:
	v_and_b32_e32 v31, 7, v22
	v_ffbh_u32_e32 v34, v31
	v_min_u32_e32 v36, 32, v34
	v_subrev_u32_e32 v34, 28, v36
	v_lshlrev_b64 v[34:35], v34, v[22:23]
	v_and_b32_e32 v34, 7, v34
	v_cmp_gt_u32_e64 s[12:13], 8, v26
	v_lshrrev_b32_e32 v33, 3, v26
	v_sub_u32_e32 v22, 29, v36
	v_cndmask_b32_e64 v26, v31, v34, s[12:13]
	v_mov_b32_e32 v31, 24
	v_cndmask_b32_e64 v22, v33, v22, s[12:13]
	v_lshlrev_b32_sdwa v31, v31, v25 dst_sel:DWORD dst_unused:UNUSED_PAD src0_sel:DWORD src1_sel:WORD_1
	v_bfrev_b32_e32 v33, 60
	v_lshlrev_b32_e32 v26, 20, v26
	v_and_b32_e32 v31, 0x80000000, v31
	v_lshl_add_u32 v22, v22, 23, v33
	v_or3_b32 v31, v31, v22, v26
.LBB486_390:
	s_or_b64 exec, exec, s[26:27]
.LBB486_391:
	s_or_b64 exec, exec, s[24:25]
.LBB486_392:
	s_or_b64 exec, exec, s[14:15]
	s_mov_b32 s12, -1
	s_mov_b32 s13, 0xffffff
	v_cmp_lt_u64_e64 s[12:13], s[12:13], v[24:25]
	v_mov_b32_e32 v26, 0
	v_mov_b32_e32 v24, 0
	s_and_saveexec_b64 s[14:15], s[12:13]
	s_cbranch_execz .LBB486_398
; %bb.393:
	v_lshrrev_b32_e32 v22, 24, v25
	s_movk_i32 s12, 0x80
	v_cmp_ne_u32_e64 s[12:13], s12, v22
	v_bfrev_b32_e32 v24, 1
	s_and_saveexec_b64 s[24:25], s[12:13]
	s_cbranch_execz .LBB486_397
; %bb.394:
	v_bfe_u32 v25, v25, 24, 7
	s_movk_i32 s12, 0x7f
	v_cmp_ne_u32_e64 s[12:13], s12, v25
	v_mov_b32_e32 v24, 0x7f800001
	s_and_saveexec_b64 s[26:27], s[12:13]
	s_cbranch_execz .LBB486_396
; %bb.395:
	v_and_b32_e32 v24, 7, v22
	v_ffbh_u32_e32 v34, v24
	v_min_u32_e32 v36, 32, v34
	v_subrev_u32_e32 v34, 28, v36
	v_lshlrev_b64 v[34:35], v34, v[22:23]
	v_lshrrev_b32_e32 v33, 3, v25
	v_sub_u32_e32 v35, 29, v36
	v_and_b32_e32 v34, 7, v34
	v_cmp_gt_u32_e64 s[12:13], 8, v25
	v_cndmask_b32_e64 v25, v33, v35, s[12:13]
	v_cndmask_b32_e64 v24, v24, v34, s[12:13]
	v_lshlrev_b32_e32 v22, 24, v22
	v_bfrev_b32_e32 v33, 60
	v_lshlrev_b32_e32 v24, 20, v24
	v_and_b32_e32 v22, 0x80000000, v22
	v_lshl_add_u32 v25, v25, 23, v33
	v_or3_b32 v24, v22, v25, v24
.LBB486_396:
	s_or_b64 exec, exec, s[26:27]
.LBB486_397:
	s_or_b64 exec, exec, s[24:25]
.LBB486_398:
	s_or_b64 exec, exec, s[14:15]
	v_cvt_pkrtz_f16_f32 v28, v28, v29
	v_cvt_pkrtz_f16_f32 v29, v27, v30
	v_cvt_pkrtz_f16_f32 v22, v23, v32
	v_cvt_pkrtz_f16_f32 v23, v31, v24
	v_mfma_f32_4x4x4f16 a[0:3], v[2:3], v[28:29], a[0:3] cbsz:4 abid:7
	v_cmp_ne_u16_sdwa s[12:13], v18, v26 src0_sel:BYTE_0 src1_sel:DWORD
	v_mfma_f32_4x4x4f16 a[0:3], v[4:5], v[22:23], a[0:3] cbsz:4 abid:7
	s_and_saveexec_b64 s[14:15], s[12:13]
	s_cbranch_execz .LBB486_404
; %bb.399:
	s_movk_i32 s12, 0x80
	v_cmp_ne_u16_sdwa s[12:13], v18, s12 src0_sel:BYTE_0 src1_sel:DWORD
	v_bfrev_b32_e32 v26, 1
	s_and_saveexec_b64 s[24:25], s[12:13]
	s_cbranch_execz .LBB486_403
; %bb.400:
	s_movk_i32 s12, 0x7f
	v_and_b32_e32 v22, 0x7f, v18
	v_cmp_ne_u32_e64 s[12:13], s12, v22
	v_mov_b32_e32 v26, 0x7f800001
	s_and_saveexec_b64 s[26:27], s[12:13]
	s_cbranch_execz .LBB486_402
; %bb.401:
	v_and_b32_e32 v23, 7, v18
	v_ffbh_u32_e32 v23, v23
	v_min_u32_e32 v23, 32, v23
	v_subrev_u32_e32 v25, 28, v23
	v_cmp_gt_u32_e64 s[12:13], 8, v22
	v_lshrrev_b32_e32 v24, 3, v22
	v_sub_u32_e32 v23, 29, v23
	v_cndmask_b32_e64 v22, 0, v25, s[12:13]
	v_cndmask_b32_e64 v24, v24, v23, s[12:13]
	v_lshlrev_b64 v[22:23], v22, v[18:19]
	v_lshlrev_b32_e32 v22, 20, v22
	v_lshlrev_b32_e32 v23, 24, v18
	v_bfrev_b32_e32 v25, 60
	v_and_b32_e32 v22, 0x700000, v22
	v_and_b32_e32 v23, 0x80000000, v23
	v_lshl_add_u32 v24, v24, 23, v25
	v_or3_b32 v26, v23, v24, v22
.LBB486_402:
	s_or_b64 exec, exec, s[26:27]
.LBB486_403:
	s_or_b64 exec, exec, s[24:25]
.LBB486_404:
	s_or_b64 exec, exec, s[14:15]
	v_lshrrev_b16_e32 v22, 8, v18
	v_cmp_ne_u16_e64 s[12:13], 0, v22
	v_mov_b32_e32 v25, 0
	v_mov_b32_e32 v27, 0
	s_and_saveexec_b64 s[14:15], s[12:13]
	s_cbranch_execz .LBB486_410
; %bb.405:
	s_movk_i32 s12, 0x80
	v_cmp_ne_u16_e64 s[12:13], s12, v22
	v_bfrev_b32_e32 v27, 1
	s_and_saveexec_b64 s[24:25], s[12:13]
	s_cbranch_execz .LBB486_409
; %bb.406:
	s_movk_i32 s12, 0x7f
	v_and_b32_e32 v23, 0x7f, v22
	v_cmp_ne_u32_e64 s[12:13], s12, v23
	v_mov_b32_e32 v27, 0x7f800001
	s_and_saveexec_b64 s[26:27], s[12:13]
	s_cbranch_execz .LBB486_408
; %bb.407:
	v_and_b32_e32 v24, 7, v22
	v_ffbh_u32_e32 v28, v24
	v_min_u32_e32 v30, 32, v28
	v_subrev_u32_e32 v28, 28, v30
	v_lshlrev_b64 v[28:29], v28, v[22:23]
	v_lshrrev_b32_e32 v27, 3, v23
	v_sub_u32_e32 v22, 29, v30
	v_and_b32_e32 v28, 7, v28
	v_cmp_gt_u32_e64 s[12:13], 8, v23
	v_cndmask_b32_e64 v22, v27, v22, s[12:13]
	v_cndmask_b32_e64 v23, v24, v28, s[12:13]
	v_lshlrev_b32_e32 v24, 16, v18
	v_bfrev_b32_e32 v27, 60
	v_lshlrev_b32_e32 v23, 20, v23
	v_and_b32_e32 v24, 0x80000000, v24
	v_lshl_add_u32 v22, v22, 23, v27
	v_or3_b32 v27, v24, v22, v23
.LBB486_408:
	s_or_b64 exec, exec, s[26:27]
.LBB486_409:
	s_or_b64 exec, exec, s[24:25]
.LBB486_410:
	s_or_b64 exec, exec, s[14:15]
	s_movk_i32 s12, 0xff
	v_and_b32_sdwa v23, v18, s12 dst_sel:DWORD dst_unused:UNUSED_PAD src0_sel:WORD_1 src1_sel:DWORD
	v_lshrrev_b32_e32 v22, 16, v18
	v_cmp_ne_u16_e64 s[12:13], 0, v23
	s_and_saveexec_b64 s[14:15], s[12:13]
	s_cbranch_execz .LBB486_416
; %bb.411:
	s_movk_i32 s12, 0x80
	v_cmp_ne_u16_e64 s[12:13], s12, v23
	v_bfrev_b32_e32 v25, 1
	s_and_saveexec_b64 s[24:25], s[12:13]
	s_cbranch_execz .LBB486_415
; %bb.412:
	v_bfe_u32 v23, v18, 16, 7
	s_movk_i32 s12, 0x7f
	v_cmp_ne_u32_e64 s[12:13], s12, v23
	v_mov_b32_e32 v25, 0x7f800001
	s_and_saveexec_b64 s[26:27], s[12:13]
	s_cbranch_execz .LBB486_414
; %bb.413:
	v_and_b32_e32 v28, 7, v22
	v_ffbh_u32_e32 v24, v28
	v_min_u32_e32 v30, 32, v24
	v_subrev_u32_e32 v24, 28, v30
	v_lshlrev_b64 v[24:25], v24, v[22:23]
	v_and_b32_e32 v24, 7, v24
	v_cmp_gt_u32_e64 s[12:13], 8, v23
	v_lshrrev_b32_e32 v29, 3, v23
	v_sub_u32_e32 v22, 29, v30
	v_cndmask_b32_e64 v23, v28, v24, s[12:13]
	v_mov_b32_e32 v24, 24
	v_cndmask_b32_e64 v22, v29, v22, s[12:13]
	v_lshlrev_b32_sdwa v24, v24, v18 dst_sel:DWORD dst_unused:UNUSED_PAD src0_sel:DWORD src1_sel:WORD_1
	v_bfrev_b32_e32 v25, 60
	v_lshlrev_b32_e32 v23, 20, v23
	v_and_b32_e32 v24, 0x80000000, v24
	v_lshl_add_u32 v22, v22, 23, v25
	v_or3_b32 v25, v24, v22, v23
.LBB486_414:
	s_or_b64 exec, exec, s[26:27]
.LBB486_415:
	s_or_b64 exec, exec, s[24:25]
.LBB486_416:
	s_or_b64 exec, exec, s[14:15]
	s_mov_b32 s12, 0xffffff
	v_cmp_lt_u32_e64 s[12:13], s12, v18
	v_mov_b32_e32 v23, 0
	v_mov_b32_e32 v28, 0
	s_and_saveexec_b64 s[14:15], s[12:13]
	s_cbranch_execz .LBB486_422
; %bb.417:
	v_lshrrev_b32_e32 v22, 24, v18
	s_movk_i32 s12, 0x80
	v_cmp_ne_u32_e64 s[12:13], s12, v22
	v_bfrev_b32_e32 v28, 1
	s_and_saveexec_b64 s[24:25], s[12:13]
	s_cbranch_execz .LBB486_421
; %bb.418:
	v_bfe_u32 v24, v18, 24, 7
	s_movk_i32 s12, 0x7f
	v_cmp_ne_u32_e64 s[12:13], s12, v24
	v_mov_b32_e32 v28, 0x7f800001
	s_and_saveexec_b64 s[26:27], s[12:13]
	s_cbranch_execz .LBB486_420
; %bb.419:
	v_and_b32_e32 v30, 7, v22
	v_ffbh_u32_e32 v28, v30
	v_min_u32_e32 v32, 32, v28
	v_subrev_u32_e32 v28, 28, v32
	v_lshlrev_b64 v[28:29], v28, v[22:23]
	v_lshrrev_b32_e32 v31, 3, v24
	v_sub_u32_e32 v29, 29, v32
	v_and_b32_e32 v28, 7, v28
	v_cmp_gt_u32_e64 s[12:13], 8, v24
	v_cndmask_b32_e64 v24, v31, v29, s[12:13]
	v_cndmask_b32_e64 v28, v30, v28, s[12:13]
	v_lshlrev_b32_e32 v22, 24, v22
	v_bfrev_b32_e32 v29, 60
	v_lshlrev_b32_e32 v28, 20, v28
	v_and_b32_e32 v22, 0x80000000, v22
	v_lshl_add_u32 v24, v24, 23, v29
	v_or3_b32 v28, v22, v24, v28
.LBB486_420:
	s_or_b64 exec, exec, s[26:27]
.LBB486_421:
	s_or_b64 exec, exec, s[24:25]
.LBB486_422:
	s_or_b64 exec, exec, s[14:15]
	v_mov_b32_e32 v22, v19
	v_cmp_ne_u16_sdwa s[12:13], v19, v23 src0_sel:BYTE_0 src1_sel:DWORD
	s_and_saveexec_b64 s[14:15], s[12:13]
	s_cbranch_execz .LBB486_428
; %bb.423:
	s_movk_i32 s12, 0x80
	v_cmp_ne_u16_sdwa s[12:13], v19, s12 src0_sel:BYTE_0 src1_sel:DWORD
	v_bfrev_b32_e32 v24, 1
	s_and_saveexec_b64 s[24:25], s[12:13]
	s_cbranch_execz .LBB486_427
; %bb.424:
	s_movk_i32 s12, 0x7f
	v_and_b32_e32 v29, 0x7f, v19
	v_cmp_ne_u32_e64 s[12:13], s12, v29
	v_mov_b32_e32 v24, 0x7f800001
	s_and_saveexec_b64 s[26:27], s[12:13]
	s_cbranch_execz .LBB486_426
; %bb.425:
	v_and_b32_e32 v24, 7, v19
	v_ffbh_u32_e32 v24, v24
	v_min_u32_e32 v24, 32, v24
	v_subrev_u32_e32 v31, 28, v24
	v_cmp_gt_u32_e64 s[12:13], 8, v29
	v_lshrrev_b32_e32 v30, 3, v29
	v_sub_u32_e32 v24, 29, v24
	v_cndmask_b32_e64 v29, 0, v31, s[12:13]
	v_cndmask_b32_e64 v24, v30, v24, s[12:13]
	v_lshlrev_b64 v[30:31], v29, v[22:23]
	v_lshlrev_b32_e32 v23, 20, v30
	v_lshlrev_b32_e32 v29, 24, v22
	v_bfrev_b32_e32 v30, 60
	v_and_b32_e32 v23, 0x700000, v23
	v_and_b32_e32 v29, 0x80000000, v29
	v_lshl_add_u32 v24, v24, 23, v30
	v_or3_b32 v24, v29, v24, v23
.LBB486_426:
	s_or_b64 exec, exec, s[26:27]
.LBB486_427:
	s_or_b64 exec, exec, s[24:25]
	v_mov_b32_e32 v23, v24
.LBB486_428:
	s_or_b64 exec, exec, s[14:15]
	v_lshrrev_b16_e32 v24, 8, v22
	v_cmp_ne_u16_e64 s[12:13], 0, v24
	v_mov_b32_e32 v29, 0
	v_mov_b32_e32 v30, 0
	s_and_saveexec_b64 s[14:15], s[12:13]
	s_cbranch_execz .LBB486_434
; %bb.429:
	s_movk_i32 s12, 0x80
	v_cmp_ne_u16_e64 s[12:13], s12, v24
	v_bfrev_b32_e32 v30, 1
	s_and_saveexec_b64 s[24:25], s[12:13]
	s_cbranch_execz .LBB486_433
; %bb.430:
	s_movk_i32 s12, 0x7f
	v_and_b32_e32 v31, 0x7f, v24
	v_cmp_ne_u32_e64 s[12:13], s12, v31
	v_mov_b32_e32 v30, 0x7f800001
	s_and_saveexec_b64 s[26:27], s[12:13]
	s_cbranch_execz .LBB486_432
; %bb.431:
	v_and_b32_e32 v30, 7, v24
	v_ffbh_u32_e32 v32, v30
	v_min_u32_e32 v35, 32, v32
	v_subrev_u32_e32 v32, 28, v35
	v_lshlrev_b64 v[32:33], v32, v[24:25]
	v_lshrrev_b32_e32 v34, 3, v31
	v_sub_u32_e32 v24, 29, v35
	v_and_b32_e32 v32, 7, v32
	v_cmp_gt_u32_e64 s[12:13], 8, v31
	v_cndmask_b32_e64 v24, v34, v24, s[12:13]
	v_cndmask_b32_e64 v30, v30, v32, s[12:13]
	v_lshlrev_b32_e32 v22, 16, v22
	v_bfrev_b32_e32 v31, 60
	v_lshlrev_b32_e32 v30, 20, v30
	v_and_b32_e32 v22, 0x80000000, v22
	v_lshl_add_u32 v24, v24, 23, v31
	v_or3_b32 v30, v22, v24, v30
.LBB486_432:
	s_or_b64 exec, exec, s[26:27]
.LBB486_433:
	s_or_b64 exec, exec, s[24:25]
.LBB486_434:
	s_or_b64 exec, exec, s[14:15]
	s_movk_i32 s12, 0xff
	v_and_b32_sdwa v24, v19, s12 dst_sel:DWORD dst_unused:UNUSED_PAD src0_sel:WORD_1 src1_sel:DWORD
	v_lshrrev_b32_e32 v22, 16, v19
	v_cmp_ne_u16_e64 s[12:13], 0, v24
	s_and_saveexec_b64 s[14:15], s[12:13]
	s_cbranch_execz .LBB486_440
; %bb.435:
	s_movk_i32 s12, 0x80
	v_cmp_ne_u16_e64 s[12:13], s12, v24
	v_bfrev_b32_e32 v29, 1
	s_and_saveexec_b64 s[24:25], s[12:13]
	s_cbranch_execz .LBB486_439
; %bb.436:
	v_bfe_u32 v24, v19, 16, 7
	s_movk_i32 s12, 0x7f
	v_cmp_ne_u32_e64 s[12:13], s12, v24
	v_mov_b32_e32 v29, 0x7f800001
	s_and_saveexec_b64 s[26:27], s[12:13]
	s_cbranch_execz .LBB486_438
; %bb.437:
	v_and_b32_e32 v29, 7, v22
	v_ffbh_u32_e32 v32, v29
	v_min_u32_e32 v34, 32, v32
	v_subrev_u32_e32 v32, 28, v34
	v_lshlrev_b64 v[32:33], v32, v[22:23]
	v_and_b32_e32 v32, 7, v32
	v_cmp_gt_u32_e64 s[12:13], 8, v24
	v_lshrrev_b32_e32 v31, 3, v24
	v_sub_u32_e32 v22, 29, v34
	v_cndmask_b32_e64 v24, v29, v32, s[12:13]
	v_mov_b32_e32 v29, 24
	v_cndmask_b32_e64 v22, v31, v22, s[12:13]
	v_lshlrev_b32_sdwa v29, v29, v19 dst_sel:DWORD dst_unused:UNUSED_PAD src0_sel:DWORD src1_sel:WORD_1
	v_bfrev_b32_e32 v31, 60
	v_lshlrev_b32_e32 v24, 20, v24
	v_and_b32_e32 v29, 0x80000000, v29
	v_lshl_add_u32 v22, v22, 23, v31
	v_or3_b32 v29, v29, v22, v24
.LBB486_438:
	s_or_b64 exec, exec, s[26:27]
.LBB486_439:
	s_or_b64 exec, exec, s[24:25]
.LBB486_440:
	s_or_b64 exec, exec, s[14:15]
	s_mov_b32 s12, -1
	s_mov_b32 s13, 0xffffff
	v_cmp_lt_u64_e64 s[12:13], s[12:13], v[18:19]
	v_mov_b32_e32 v24, 0
	v_mov_b32_e32 v22, 0
	s_and_saveexec_b64 s[14:15], s[12:13]
	s_cbranch_execz .LBB486_446
; %bb.441:
	v_lshrrev_b32_e32 v18, 24, v19
	s_movk_i32 s12, 0x80
	v_cmp_ne_u32_e64 s[12:13], s12, v18
	v_bfrev_b32_e32 v22, 1
	s_and_saveexec_b64 s[24:25], s[12:13]
	s_cbranch_execz .LBB486_445
; %bb.442:
	v_bfe_u32 v19, v19, 24, 7
	s_movk_i32 s12, 0x7f
	v_cmp_ne_u32_e64 s[12:13], s12, v19
	v_mov_b32_e32 v22, 0x7f800001
	s_and_saveexec_b64 s[26:27], s[12:13]
	s_cbranch_execz .LBB486_444
; %bb.443:
	v_and_b32_e32 v22, 7, v18
	v_ffbh_u32_e32 v32, v22
	v_min_u32_e32 v34, 32, v32
	v_subrev_u32_e32 v32, 28, v34
	v_lshlrev_b64 v[32:33], v32, v[18:19]
	v_lshrrev_b32_e32 v31, 3, v19
	v_sub_u32_e32 v33, 29, v34
	v_and_b32_e32 v32, 7, v32
	v_cmp_gt_u32_e64 s[12:13], 8, v19
	v_cndmask_b32_e64 v19, v31, v33, s[12:13]
	v_cndmask_b32_e64 v22, v22, v32, s[12:13]
	v_lshlrev_b32_e32 v18, 24, v18
	v_bfrev_b32_e32 v31, 60
	v_lshlrev_b32_e32 v22, 20, v22
	v_and_b32_e32 v18, 0x80000000, v18
	v_lshl_add_u32 v19, v19, 23, v31
	v_or3_b32 v22, v18, v19, v22
.LBB486_444:
	s_or_b64 exec, exec, s[26:27]
.LBB486_445:
	s_or_b64 exec, exec, s[24:25]
.LBB486_446:
	s_or_b64 exec, exec, s[14:15]
	v_cvt_pkrtz_f16_f32 v18, v26, v27
	v_cvt_pkrtz_f16_f32 v19, v25, v28
	;; [unrolled: 1-line block ×4, first 2 shown]
	v_mfma_f32_4x4x4f16 a[0:3], v[2:3], v[18:19], a[0:3] cbsz:4 abid:8
	v_cmp_ne_u16_sdwa s[12:13], v20, v24 src0_sel:BYTE_0 src1_sel:DWORD
	v_mfma_f32_4x4x4f16 a[0:3], v[4:5], v[26:27], a[0:3] cbsz:4 abid:8
	s_and_saveexec_b64 s[14:15], s[12:13]
	s_cbranch_execz .LBB486_452
; %bb.447:
	s_movk_i32 s12, 0x80
	v_cmp_ne_u16_sdwa s[12:13], v20, s12 src0_sel:BYTE_0 src1_sel:DWORD
	v_bfrev_b32_e32 v24, 1
	s_and_saveexec_b64 s[24:25], s[12:13]
	s_cbranch_execz .LBB486_451
; %bb.448:
	s_movk_i32 s12, 0x7f
	v_and_b32_e32 v18, 0x7f, v20
	v_cmp_ne_u32_e64 s[12:13], s12, v18
	v_mov_b32_e32 v24, 0x7f800001
	s_and_saveexec_b64 s[26:27], s[12:13]
	s_cbranch_execz .LBB486_450
; %bb.449:
	v_and_b32_e32 v19, 7, v20
	v_ffbh_u32_e32 v19, v19
	v_min_u32_e32 v19, 32, v19
	v_subrev_u32_e32 v23, 28, v19
	v_cmp_gt_u32_e64 s[12:13], 8, v18
	v_lshrrev_b32_e32 v22, 3, v18
	v_sub_u32_e32 v19, 29, v19
	v_cndmask_b32_e64 v18, 0, v23, s[12:13]
	v_cndmask_b32_e64 v22, v22, v19, s[12:13]
	v_lshlrev_b64 v[18:19], v18, v[20:21]
	v_lshlrev_b32_e32 v18, 20, v18
	v_lshlrev_b32_e32 v19, 24, v20
	v_bfrev_b32_e32 v23, 60
	v_and_b32_e32 v18, 0x700000, v18
	v_and_b32_e32 v19, 0x80000000, v19
	v_lshl_add_u32 v22, v22, 23, v23
	v_or3_b32 v24, v19, v22, v18
.LBB486_450:
	s_or_b64 exec, exec, s[26:27]
.LBB486_451:
	s_or_b64 exec, exec, s[24:25]
.LBB486_452:
	s_or_b64 exec, exec, s[14:15]
	v_lshrrev_b16_e32 v18, 8, v20
	v_cmp_ne_u16_e64 s[12:13], 0, v18
	v_mov_b32_e32 v23, 0
	v_mov_b32_e32 v25, 0
	s_and_saveexec_b64 s[14:15], s[12:13]
	s_cbranch_execz .LBB486_458
; %bb.453:
	s_movk_i32 s12, 0x80
	v_cmp_ne_u16_e64 s[12:13], s12, v18
	v_bfrev_b32_e32 v25, 1
	s_and_saveexec_b64 s[24:25], s[12:13]
	s_cbranch_execz .LBB486_457
; %bb.454:
	s_movk_i32 s12, 0x7f
	v_and_b32_e32 v19, 0x7f, v18
	v_cmp_ne_u32_e64 s[12:13], s12, v19
	v_mov_b32_e32 v25, 0x7f800001
	s_and_saveexec_b64 s[26:27], s[12:13]
	s_cbranch_execz .LBB486_456
; %bb.455:
	v_and_b32_e32 v22, 7, v18
	v_ffbh_u32_e32 v26, v22
	v_min_u32_e32 v28, 32, v26
	v_subrev_u32_e32 v26, 28, v28
	v_lshlrev_b64 v[26:27], v26, v[18:19]
	v_lshrrev_b32_e32 v25, 3, v19
	v_sub_u32_e32 v18, 29, v28
	v_and_b32_e32 v26, 7, v26
	v_cmp_gt_u32_e64 s[12:13], 8, v19
	v_cndmask_b32_e64 v18, v25, v18, s[12:13]
	v_cndmask_b32_e64 v19, v22, v26, s[12:13]
	v_lshlrev_b32_e32 v22, 16, v20
	v_bfrev_b32_e32 v25, 60
	v_lshlrev_b32_e32 v19, 20, v19
	v_and_b32_e32 v22, 0x80000000, v22
	v_lshl_add_u32 v18, v18, 23, v25
	v_or3_b32 v25, v22, v18, v19
.LBB486_456:
	s_or_b64 exec, exec, s[26:27]
.LBB486_457:
	s_or_b64 exec, exec, s[24:25]
.LBB486_458:
	s_or_b64 exec, exec, s[14:15]
	s_movk_i32 s12, 0xff
	v_and_b32_sdwa v19, v20, s12 dst_sel:DWORD dst_unused:UNUSED_PAD src0_sel:WORD_1 src1_sel:DWORD
	v_lshrrev_b32_e32 v18, 16, v20
	v_cmp_ne_u16_e64 s[12:13], 0, v19
	s_and_saveexec_b64 s[14:15], s[12:13]
	s_cbranch_execz .LBB486_464
; %bb.459:
	s_movk_i32 s12, 0x80
	v_cmp_ne_u16_e64 s[12:13], s12, v19
	v_bfrev_b32_e32 v23, 1
	s_and_saveexec_b64 s[24:25], s[12:13]
	s_cbranch_execz .LBB486_463
; %bb.460:
	v_bfe_u32 v19, v20, 16, 7
	s_movk_i32 s12, 0x7f
	v_cmp_ne_u32_e64 s[12:13], s12, v19
	v_mov_b32_e32 v23, 0x7f800001
	s_and_saveexec_b64 s[26:27], s[12:13]
	s_cbranch_execz .LBB486_462
; %bb.461:
	v_and_b32_e32 v26, 7, v18
	v_ffbh_u32_e32 v22, v26
	v_min_u32_e32 v28, 32, v22
	v_subrev_u32_e32 v22, 28, v28
	v_lshlrev_b64 v[22:23], v22, v[18:19]
	v_and_b32_e32 v22, 7, v22
	v_cmp_gt_u32_e64 s[12:13], 8, v19
	v_lshrrev_b32_e32 v27, 3, v19
	v_sub_u32_e32 v18, 29, v28
	v_cndmask_b32_e64 v19, v26, v22, s[12:13]
	v_mov_b32_e32 v22, 24
	v_cndmask_b32_e64 v18, v27, v18, s[12:13]
	v_lshlrev_b32_sdwa v22, v22, v20 dst_sel:DWORD dst_unused:UNUSED_PAD src0_sel:DWORD src1_sel:WORD_1
	v_bfrev_b32_e32 v23, 60
	v_lshlrev_b32_e32 v19, 20, v19
	v_and_b32_e32 v22, 0x80000000, v22
	v_lshl_add_u32 v18, v18, 23, v23
	v_or3_b32 v23, v22, v18, v19
.LBB486_462:
	s_or_b64 exec, exec, s[26:27]
.LBB486_463:
	s_or_b64 exec, exec, s[24:25]
.LBB486_464:
	s_or_b64 exec, exec, s[14:15]
	s_mov_b32 s12, 0xffffff
	v_cmp_lt_u32_e64 s[12:13], s12, v20
	v_mov_b32_e32 v19, 0
	v_mov_b32_e32 v26, 0
	s_and_saveexec_b64 s[14:15], s[12:13]
	s_cbranch_execz .LBB486_470
; %bb.465:
	v_lshrrev_b32_e32 v18, 24, v20
	s_movk_i32 s12, 0x80
	v_cmp_ne_u32_e64 s[12:13], s12, v18
	v_bfrev_b32_e32 v26, 1
	s_and_saveexec_b64 s[24:25], s[12:13]
	s_cbranch_execz .LBB486_469
; %bb.466:
	v_bfe_u32 v22, v20, 24, 7
	s_movk_i32 s12, 0x7f
	v_cmp_ne_u32_e64 s[12:13], s12, v22
	v_mov_b32_e32 v26, 0x7f800001
	s_and_saveexec_b64 s[26:27], s[12:13]
	s_cbranch_execz .LBB486_468
; %bb.467:
	v_and_b32_e32 v28, 7, v18
	v_ffbh_u32_e32 v26, v28
	v_min_u32_e32 v30, 32, v26
	v_subrev_u32_e32 v26, 28, v30
	v_lshlrev_b64 v[26:27], v26, v[18:19]
	v_lshrrev_b32_e32 v29, 3, v22
	v_sub_u32_e32 v27, 29, v30
	v_and_b32_e32 v26, 7, v26
	v_cmp_gt_u32_e64 s[12:13], 8, v22
	v_cndmask_b32_e64 v22, v29, v27, s[12:13]
	v_cndmask_b32_e64 v26, v28, v26, s[12:13]
	v_lshlrev_b32_e32 v18, 24, v18
	v_bfrev_b32_e32 v27, 60
	v_lshlrev_b32_e32 v26, 20, v26
	v_and_b32_e32 v18, 0x80000000, v18
	v_lshl_add_u32 v22, v22, 23, v27
	v_or3_b32 v26, v18, v22, v26
.LBB486_468:
	s_or_b64 exec, exec, s[26:27]
.LBB486_469:
	s_or_b64 exec, exec, s[24:25]
.LBB486_470:
	s_or_b64 exec, exec, s[14:15]
	v_mov_b32_e32 v18, v21
	v_cmp_ne_u16_sdwa s[12:13], v21, v19 src0_sel:BYTE_0 src1_sel:DWORD
	s_and_saveexec_b64 s[14:15], s[12:13]
	s_cbranch_execz .LBB486_476
; %bb.471:
	s_movk_i32 s12, 0x80
	v_cmp_ne_u16_sdwa s[12:13], v21, s12 src0_sel:BYTE_0 src1_sel:DWORD
	v_bfrev_b32_e32 v22, 1
	s_and_saveexec_b64 s[24:25], s[12:13]
	s_cbranch_execz .LBB486_475
; %bb.472:
	s_movk_i32 s12, 0x7f
	v_and_b32_e32 v27, 0x7f, v21
	v_cmp_ne_u32_e64 s[12:13], s12, v27
	v_mov_b32_e32 v22, 0x7f800001
	s_and_saveexec_b64 s[26:27], s[12:13]
	s_cbranch_execz .LBB486_474
; %bb.473:
	v_and_b32_e32 v22, 7, v21
	v_ffbh_u32_e32 v22, v22
	v_min_u32_e32 v22, 32, v22
	v_subrev_u32_e32 v29, 28, v22
	v_cmp_gt_u32_e64 s[12:13], 8, v27
	v_lshrrev_b32_e32 v28, 3, v27
	v_sub_u32_e32 v22, 29, v22
	v_cndmask_b32_e64 v27, 0, v29, s[12:13]
	v_cndmask_b32_e64 v22, v28, v22, s[12:13]
	v_lshlrev_b64 v[28:29], v27, v[18:19]
	v_lshlrev_b32_e32 v19, 20, v28
	v_lshlrev_b32_e32 v27, 24, v18
	v_bfrev_b32_e32 v28, 60
	v_and_b32_e32 v19, 0x700000, v19
	v_and_b32_e32 v27, 0x80000000, v27
	v_lshl_add_u32 v22, v22, 23, v28
	v_or3_b32 v22, v27, v22, v19
.LBB486_474:
	s_or_b64 exec, exec, s[26:27]
.LBB486_475:
	s_or_b64 exec, exec, s[24:25]
	v_mov_b32_e32 v19, v22
.LBB486_476:
	s_or_b64 exec, exec, s[14:15]
	v_lshrrev_b16_e32 v22, 8, v18
	v_cmp_ne_u16_e64 s[12:13], 0, v22
	v_mov_b32_e32 v27, 0
	v_mov_b32_e32 v28, 0
	s_and_saveexec_b64 s[14:15], s[12:13]
	s_cbranch_execz .LBB486_482
; %bb.477:
	s_movk_i32 s12, 0x80
	v_cmp_ne_u16_e64 s[12:13], s12, v22
	v_bfrev_b32_e32 v28, 1
	s_and_saveexec_b64 s[24:25], s[12:13]
	s_cbranch_execz .LBB486_481
; %bb.478:
	s_movk_i32 s12, 0x7f
	v_and_b32_e32 v29, 0x7f, v22
	v_cmp_ne_u32_e64 s[12:13], s12, v29
	v_mov_b32_e32 v28, 0x7f800001
	s_and_saveexec_b64 s[26:27], s[12:13]
	s_cbranch_execz .LBB486_480
; %bb.479:
	v_and_b32_e32 v28, 7, v22
	v_ffbh_u32_e32 v30, v28
	v_min_u32_e32 v33, 32, v30
	v_subrev_u32_e32 v30, 28, v33
	v_lshlrev_b64 v[30:31], v30, v[22:23]
	v_lshrrev_b32_e32 v32, 3, v29
	v_sub_u32_e32 v22, 29, v33
	v_and_b32_e32 v30, 7, v30
	v_cmp_gt_u32_e64 s[12:13], 8, v29
	v_cndmask_b32_e64 v22, v32, v22, s[12:13]
	v_cndmask_b32_e64 v28, v28, v30, s[12:13]
	v_lshlrev_b32_e32 v18, 16, v18
	v_bfrev_b32_e32 v29, 60
	v_lshlrev_b32_e32 v28, 20, v28
	v_and_b32_e32 v18, 0x80000000, v18
	v_lshl_add_u32 v22, v22, 23, v29
	v_or3_b32 v28, v18, v22, v28
.LBB486_480:
	s_or_b64 exec, exec, s[26:27]
.LBB486_481:
	s_or_b64 exec, exec, s[24:25]
.LBB486_482:
	s_or_b64 exec, exec, s[14:15]
	s_movk_i32 s12, 0xff
	v_and_b32_sdwa v22, v21, s12 dst_sel:DWORD dst_unused:UNUSED_PAD src0_sel:WORD_1 src1_sel:DWORD
	v_lshrrev_b32_e32 v18, 16, v21
	v_cmp_ne_u16_e64 s[12:13], 0, v22
	s_and_saveexec_b64 s[14:15], s[12:13]
	s_cbranch_execz .LBB486_488
; %bb.483:
	s_movk_i32 s12, 0x80
	v_cmp_ne_u16_e64 s[12:13], s12, v22
	v_bfrev_b32_e32 v27, 1
	s_and_saveexec_b64 s[24:25], s[12:13]
	s_cbranch_execz .LBB486_487
; %bb.484:
	v_bfe_u32 v22, v21, 16, 7
	s_movk_i32 s12, 0x7f
	v_cmp_ne_u32_e64 s[12:13], s12, v22
	v_mov_b32_e32 v27, 0x7f800001
	s_and_saveexec_b64 s[26:27], s[12:13]
	s_cbranch_execz .LBB486_486
; %bb.485:
	v_and_b32_e32 v27, 7, v18
	v_ffbh_u32_e32 v30, v27
	v_min_u32_e32 v32, 32, v30
	v_subrev_u32_e32 v30, 28, v32
	v_lshlrev_b64 v[30:31], v30, v[18:19]
	v_and_b32_e32 v30, 7, v30
	v_cmp_gt_u32_e64 s[12:13], 8, v22
	v_lshrrev_b32_e32 v29, 3, v22
	v_sub_u32_e32 v18, 29, v32
	v_cndmask_b32_e64 v22, v27, v30, s[12:13]
	v_mov_b32_e32 v27, 24
	v_cndmask_b32_e64 v18, v29, v18, s[12:13]
	v_lshlrev_b32_sdwa v27, v27, v21 dst_sel:DWORD dst_unused:UNUSED_PAD src0_sel:DWORD src1_sel:WORD_1
	v_bfrev_b32_e32 v29, 60
	v_lshlrev_b32_e32 v22, 20, v22
	v_and_b32_e32 v27, 0x80000000, v27
	v_lshl_add_u32 v18, v18, 23, v29
	v_or3_b32 v27, v27, v18, v22
.LBB486_486:
	s_or_b64 exec, exec, s[26:27]
.LBB486_487:
	s_or_b64 exec, exec, s[24:25]
.LBB486_488:
	s_or_b64 exec, exec, s[14:15]
	s_mov_b32 s12, -1
	s_mov_b32 s13, 0xffffff
	v_cmp_lt_u64_e64 s[12:13], s[12:13], v[20:21]
	v_mov_b32_e32 v22, 0
	v_mov_b32_e32 v20, 0
	s_and_saveexec_b64 s[14:15], s[12:13]
	s_cbranch_execz .LBB486_494
; %bb.489:
	v_lshrrev_b32_e32 v18, 24, v21
	s_movk_i32 s12, 0x80
	v_cmp_ne_u32_e64 s[12:13], s12, v18
	v_bfrev_b32_e32 v20, 1
	s_and_saveexec_b64 s[24:25], s[12:13]
	s_cbranch_execz .LBB486_493
; %bb.490:
	v_bfe_u32 v21, v21, 24, 7
	s_movk_i32 s12, 0x7f
	v_cmp_ne_u32_e64 s[12:13], s12, v21
	v_mov_b32_e32 v20, 0x7f800001
	s_and_saveexec_b64 s[26:27], s[12:13]
	s_cbranch_execz .LBB486_492
; %bb.491:
	v_and_b32_e32 v20, 7, v18
	v_ffbh_u32_e32 v30, v20
	v_min_u32_e32 v32, 32, v30
	v_subrev_u32_e32 v30, 28, v32
	v_lshlrev_b64 v[30:31], v30, v[18:19]
	v_lshrrev_b32_e32 v29, 3, v21
	v_sub_u32_e32 v31, 29, v32
	v_and_b32_e32 v30, 7, v30
	v_cmp_gt_u32_e64 s[12:13], 8, v21
	v_cndmask_b32_e64 v21, v29, v31, s[12:13]
	v_cndmask_b32_e64 v20, v20, v30, s[12:13]
	v_lshlrev_b32_e32 v18, 24, v18
	v_bfrev_b32_e32 v29, 60
	v_lshlrev_b32_e32 v20, 20, v20
	v_and_b32_e32 v18, 0x80000000, v18
	v_lshl_add_u32 v21, v21, 23, v29
	v_or3_b32 v20, v18, v21, v20
.LBB486_492:
	s_or_b64 exec, exec, s[26:27]
.LBB486_493:
	s_or_b64 exec, exec, s[24:25]
.LBB486_494:
	s_or_b64 exec, exec, s[14:15]
	v_cvt_pkrtz_f16_f32 v24, v24, v25
	v_cvt_pkrtz_f16_f32 v25, v23, v26
	;; [unrolled: 1-line block ×4, first 2 shown]
	v_mfma_f32_4x4x4f16 a[0:3], v[2:3], v[24:25], a[0:3] cbsz:4 abid:9
	v_cmp_ne_u16_sdwa s[12:13], v14, v22 src0_sel:BYTE_0 src1_sel:DWORD
	v_mfma_f32_4x4x4f16 a[0:3], v[4:5], v[18:19], a[0:3] cbsz:4 abid:9
	s_and_saveexec_b64 s[14:15], s[12:13]
	s_cbranch_execz .LBB486_500
; %bb.495:
	s_movk_i32 s12, 0x80
	v_cmp_ne_u16_sdwa s[12:13], v14, s12 src0_sel:BYTE_0 src1_sel:DWORD
	v_bfrev_b32_e32 v22, 1
	s_and_saveexec_b64 s[24:25], s[12:13]
	s_cbranch_execz .LBB486_499
; %bb.496:
	s_movk_i32 s12, 0x7f
	v_and_b32_e32 v18, 0x7f, v14
	v_cmp_ne_u32_e64 s[12:13], s12, v18
	v_mov_b32_e32 v22, 0x7f800001
	s_and_saveexec_b64 s[26:27], s[12:13]
	s_cbranch_execz .LBB486_498
; %bb.497:
	v_and_b32_e32 v19, 7, v14
	v_ffbh_u32_e32 v19, v19
	v_min_u32_e32 v19, 32, v19
	v_subrev_u32_e32 v21, 28, v19
	v_cmp_gt_u32_e64 s[12:13], 8, v18
	v_lshrrev_b32_e32 v20, 3, v18
	v_sub_u32_e32 v19, 29, v19
	v_cndmask_b32_e64 v18, 0, v21, s[12:13]
	v_cndmask_b32_e64 v20, v20, v19, s[12:13]
	v_lshlrev_b64 v[18:19], v18, v[14:15]
	v_lshlrev_b32_e32 v18, 20, v18
	v_lshlrev_b32_e32 v19, 24, v14
	v_bfrev_b32_e32 v21, 60
	v_and_b32_e32 v18, 0x700000, v18
	v_and_b32_e32 v19, 0x80000000, v19
	v_lshl_add_u32 v20, v20, 23, v21
	v_or3_b32 v22, v19, v20, v18
.LBB486_498:
	s_or_b64 exec, exec, s[26:27]
.LBB486_499:
	s_or_b64 exec, exec, s[24:25]
.LBB486_500:
	s_or_b64 exec, exec, s[14:15]
	v_lshrrev_b16_e32 v18, 8, v14
	v_cmp_ne_u16_e64 s[12:13], 0, v18
	v_mov_b32_e32 v21, 0
	v_mov_b32_e32 v23, 0
	s_and_saveexec_b64 s[14:15], s[12:13]
	s_cbranch_execz .LBB486_506
; %bb.501:
	s_movk_i32 s12, 0x80
	v_cmp_ne_u16_e64 s[12:13], s12, v18
	v_bfrev_b32_e32 v23, 1
	s_and_saveexec_b64 s[24:25], s[12:13]
	s_cbranch_execz .LBB486_505
; %bb.502:
	s_movk_i32 s12, 0x7f
	v_and_b32_e32 v19, 0x7f, v18
	v_cmp_ne_u32_e64 s[12:13], s12, v19
	v_mov_b32_e32 v23, 0x7f800001
	s_and_saveexec_b64 s[26:27], s[12:13]
	s_cbranch_execz .LBB486_504
; %bb.503:
	v_and_b32_e32 v20, 7, v18
	v_ffbh_u32_e32 v24, v20
	v_min_u32_e32 v26, 32, v24
	v_subrev_u32_e32 v24, 28, v26
	v_lshlrev_b64 v[24:25], v24, v[18:19]
	v_lshrrev_b32_e32 v23, 3, v19
	v_sub_u32_e32 v18, 29, v26
	v_and_b32_e32 v24, 7, v24
	v_cmp_gt_u32_e64 s[12:13], 8, v19
	v_cndmask_b32_e64 v18, v23, v18, s[12:13]
	v_cndmask_b32_e64 v19, v20, v24, s[12:13]
	v_lshlrev_b32_e32 v20, 16, v14
	v_bfrev_b32_e32 v23, 60
	v_lshlrev_b32_e32 v19, 20, v19
	v_and_b32_e32 v20, 0x80000000, v20
	v_lshl_add_u32 v18, v18, 23, v23
	v_or3_b32 v23, v20, v18, v19
.LBB486_504:
	s_or_b64 exec, exec, s[26:27]
.LBB486_505:
	s_or_b64 exec, exec, s[24:25]
.LBB486_506:
	s_or_b64 exec, exec, s[14:15]
	s_movk_i32 s12, 0xff
	v_and_b32_sdwa v19, v14, s12 dst_sel:DWORD dst_unused:UNUSED_PAD src0_sel:WORD_1 src1_sel:DWORD
	v_lshrrev_b32_e32 v18, 16, v14
	v_cmp_ne_u16_e64 s[12:13], 0, v19
	s_and_saveexec_b64 s[14:15], s[12:13]
	s_cbranch_execz .LBB486_512
; %bb.507:
	s_movk_i32 s12, 0x80
	v_cmp_ne_u16_e64 s[12:13], s12, v19
	v_bfrev_b32_e32 v21, 1
	s_and_saveexec_b64 s[24:25], s[12:13]
	s_cbranch_execz .LBB486_511
; %bb.508:
	v_bfe_u32 v19, v14, 16, 7
	s_movk_i32 s12, 0x7f
	v_cmp_ne_u32_e64 s[12:13], s12, v19
	v_mov_b32_e32 v21, 0x7f800001
	s_and_saveexec_b64 s[26:27], s[12:13]
	s_cbranch_execz .LBB486_510
; %bb.509:
	v_and_b32_e32 v24, 7, v18
	v_ffbh_u32_e32 v20, v24
	v_min_u32_e32 v26, 32, v20
	v_subrev_u32_e32 v20, 28, v26
	v_lshlrev_b64 v[20:21], v20, v[18:19]
	v_and_b32_e32 v20, 7, v20
	v_cmp_gt_u32_e64 s[12:13], 8, v19
	v_lshrrev_b32_e32 v25, 3, v19
	v_sub_u32_e32 v18, 29, v26
	v_cndmask_b32_e64 v19, v24, v20, s[12:13]
	v_mov_b32_e32 v20, 24
	v_cndmask_b32_e64 v18, v25, v18, s[12:13]
	v_lshlrev_b32_sdwa v20, v20, v14 dst_sel:DWORD dst_unused:UNUSED_PAD src0_sel:DWORD src1_sel:WORD_1
	v_bfrev_b32_e32 v21, 60
	v_lshlrev_b32_e32 v19, 20, v19
	v_and_b32_e32 v20, 0x80000000, v20
	v_lshl_add_u32 v18, v18, 23, v21
	v_or3_b32 v21, v20, v18, v19
.LBB486_510:
	s_or_b64 exec, exec, s[26:27]
.LBB486_511:
	s_or_b64 exec, exec, s[24:25]
.LBB486_512:
	s_or_b64 exec, exec, s[14:15]
	s_mov_b32 s12, 0xffffff
	v_cmp_lt_u32_e64 s[12:13], s12, v14
	v_mov_b32_e32 v19, 0
	v_mov_b32_e32 v24, 0
	s_and_saveexec_b64 s[14:15], s[12:13]
	s_cbranch_execz .LBB486_518
; %bb.513:
	v_lshrrev_b32_e32 v18, 24, v14
	s_movk_i32 s12, 0x80
	v_cmp_ne_u32_e64 s[12:13], s12, v18
	v_bfrev_b32_e32 v24, 1
	s_and_saveexec_b64 s[24:25], s[12:13]
	s_cbranch_execz .LBB486_517
; %bb.514:
	v_bfe_u32 v20, v14, 24, 7
	s_movk_i32 s12, 0x7f
	v_cmp_ne_u32_e64 s[12:13], s12, v20
	v_mov_b32_e32 v24, 0x7f800001
	s_and_saveexec_b64 s[26:27], s[12:13]
	s_cbranch_execz .LBB486_516
; %bb.515:
	v_and_b32_e32 v26, 7, v18
	v_ffbh_u32_e32 v24, v26
	v_min_u32_e32 v28, 32, v24
	v_subrev_u32_e32 v24, 28, v28
	v_lshlrev_b64 v[24:25], v24, v[18:19]
	v_lshrrev_b32_e32 v27, 3, v20
	v_sub_u32_e32 v25, 29, v28
	v_and_b32_e32 v24, 7, v24
	v_cmp_gt_u32_e64 s[12:13], 8, v20
	v_cndmask_b32_e64 v20, v27, v25, s[12:13]
	v_cndmask_b32_e64 v24, v26, v24, s[12:13]
	v_lshlrev_b32_e32 v18, 24, v18
	v_bfrev_b32_e32 v25, 60
	v_lshlrev_b32_e32 v24, 20, v24
	v_and_b32_e32 v18, 0x80000000, v18
	v_lshl_add_u32 v20, v20, 23, v25
	v_or3_b32 v24, v18, v20, v24
.LBB486_516:
	s_or_b64 exec, exec, s[26:27]
.LBB486_517:
	s_or_b64 exec, exec, s[24:25]
.LBB486_518:
	s_or_b64 exec, exec, s[14:15]
	v_mov_b32_e32 v18, v15
	v_cmp_ne_u16_sdwa s[12:13], v15, v19 src0_sel:BYTE_0 src1_sel:DWORD
	s_and_saveexec_b64 s[14:15], s[12:13]
	s_cbranch_execz .LBB486_524
; %bb.519:
	s_movk_i32 s12, 0x80
	v_cmp_ne_u16_sdwa s[12:13], v15, s12 src0_sel:BYTE_0 src1_sel:DWORD
	v_bfrev_b32_e32 v20, 1
	s_and_saveexec_b64 s[24:25], s[12:13]
	s_cbranch_execz .LBB486_523
; %bb.520:
	s_movk_i32 s12, 0x7f
	v_and_b32_e32 v25, 0x7f, v15
	v_cmp_ne_u32_e64 s[12:13], s12, v25
	v_mov_b32_e32 v20, 0x7f800001
	s_and_saveexec_b64 s[26:27], s[12:13]
	s_cbranch_execz .LBB486_522
; %bb.521:
	v_and_b32_e32 v20, 7, v15
	v_ffbh_u32_e32 v20, v20
	v_min_u32_e32 v20, 32, v20
	v_subrev_u32_e32 v27, 28, v20
	v_cmp_gt_u32_e64 s[12:13], 8, v25
	v_lshrrev_b32_e32 v26, 3, v25
	v_sub_u32_e32 v20, 29, v20
	v_cndmask_b32_e64 v25, 0, v27, s[12:13]
	v_cndmask_b32_e64 v20, v26, v20, s[12:13]
	v_lshlrev_b64 v[26:27], v25, v[18:19]
	v_lshlrev_b32_e32 v19, 20, v26
	v_lshlrev_b32_e32 v25, 24, v18
	v_bfrev_b32_e32 v26, 60
	v_and_b32_e32 v19, 0x700000, v19
	v_and_b32_e32 v25, 0x80000000, v25
	v_lshl_add_u32 v20, v20, 23, v26
	v_or3_b32 v20, v25, v20, v19
.LBB486_522:
	s_or_b64 exec, exec, s[26:27]
.LBB486_523:
	s_or_b64 exec, exec, s[24:25]
	v_mov_b32_e32 v19, v20
.LBB486_524:
	s_or_b64 exec, exec, s[14:15]
	v_lshrrev_b16_e32 v20, 8, v18
	v_cmp_ne_u16_e64 s[12:13], 0, v20
	v_mov_b32_e32 v25, 0
	v_mov_b32_e32 v26, 0
	s_and_saveexec_b64 s[14:15], s[12:13]
	s_cbranch_execz .LBB486_530
; %bb.525:
	s_movk_i32 s12, 0x80
	v_cmp_ne_u16_e64 s[12:13], s12, v20
	v_bfrev_b32_e32 v26, 1
	s_and_saveexec_b64 s[24:25], s[12:13]
	s_cbranch_execz .LBB486_529
; %bb.526:
	s_movk_i32 s12, 0x7f
	v_and_b32_e32 v27, 0x7f, v20
	v_cmp_ne_u32_e64 s[12:13], s12, v27
	v_mov_b32_e32 v26, 0x7f800001
	s_and_saveexec_b64 s[26:27], s[12:13]
	s_cbranch_execz .LBB486_528
; %bb.527:
	v_and_b32_e32 v26, 7, v20
	v_ffbh_u32_e32 v28, v26
	v_min_u32_e32 v31, 32, v28
	v_subrev_u32_e32 v28, 28, v31
	v_lshlrev_b64 v[28:29], v28, v[20:21]
	v_lshrrev_b32_e32 v30, 3, v27
	v_sub_u32_e32 v20, 29, v31
	v_and_b32_e32 v28, 7, v28
	v_cmp_gt_u32_e64 s[12:13], 8, v27
	v_cndmask_b32_e64 v20, v30, v20, s[12:13]
	v_cndmask_b32_e64 v26, v26, v28, s[12:13]
	v_lshlrev_b32_e32 v18, 16, v18
	v_bfrev_b32_e32 v27, 60
	v_lshlrev_b32_e32 v26, 20, v26
	v_and_b32_e32 v18, 0x80000000, v18
	v_lshl_add_u32 v20, v20, 23, v27
	v_or3_b32 v26, v18, v20, v26
.LBB486_528:
	s_or_b64 exec, exec, s[26:27]
.LBB486_529:
	s_or_b64 exec, exec, s[24:25]
.LBB486_530:
	s_or_b64 exec, exec, s[14:15]
	s_movk_i32 s12, 0xff
	v_and_b32_sdwa v20, v15, s12 dst_sel:DWORD dst_unused:UNUSED_PAD src0_sel:WORD_1 src1_sel:DWORD
	v_lshrrev_b32_e32 v18, 16, v15
	v_cmp_ne_u16_e64 s[12:13], 0, v20
	s_and_saveexec_b64 s[14:15], s[12:13]
	s_cbranch_execz .LBB486_536
; %bb.531:
	s_movk_i32 s12, 0x80
	v_cmp_ne_u16_e64 s[12:13], s12, v20
	v_bfrev_b32_e32 v25, 1
	s_and_saveexec_b64 s[24:25], s[12:13]
	s_cbranch_execz .LBB486_535
; %bb.532:
	v_bfe_u32 v20, v15, 16, 7
	s_movk_i32 s12, 0x7f
	v_cmp_ne_u32_e64 s[12:13], s12, v20
	v_mov_b32_e32 v25, 0x7f800001
	s_and_saveexec_b64 s[26:27], s[12:13]
	s_cbranch_execz .LBB486_534
; %bb.533:
	v_and_b32_e32 v25, 7, v18
	v_ffbh_u32_e32 v28, v25
	v_min_u32_e32 v30, 32, v28
	v_subrev_u32_e32 v28, 28, v30
	v_lshlrev_b64 v[28:29], v28, v[18:19]
	v_and_b32_e32 v28, 7, v28
	v_cmp_gt_u32_e64 s[12:13], 8, v20
	v_lshrrev_b32_e32 v27, 3, v20
	v_sub_u32_e32 v18, 29, v30
	v_cndmask_b32_e64 v20, v25, v28, s[12:13]
	v_mov_b32_e32 v25, 24
	v_cndmask_b32_e64 v18, v27, v18, s[12:13]
	v_lshlrev_b32_sdwa v25, v25, v15 dst_sel:DWORD dst_unused:UNUSED_PAD src0_sel:DWORD src1_sel:WORD_1
	v_bfrev_b32_e32 v27, 60
	v_lshlrev_b32_e32 v20, 20, v20
	v_and_b32_e32 v25, 0x80000000, v25
	v_lshl_add_u32 v18, v18, 23, v27
	v_or3_b32 v25, v25, v18, v20
.LBB486_534:
	s_or_b64 exec, exec, s[26:27]
.LBB486_535:
	s_or_b64 exec, exec, s[24:25]
.LBB486_536:
	s_or_b64 exec, exec, s[14:15]
	s_mov_b32 s12, -1
	s_mov_b32 s13, 0xffffff
	v_cmp_lt_u64_e64 s[12:13], s[12:13], v[14:15]
	v_mov_b32_e32 v20, 0
	v_mov_b32_e32 v18, 0
	s_and_saveexec_b64 s[14:15], s[12:13]
	s_cbranch_execz .LBB486_542
; %bb.537:
	v_lshrrev_b32_e32 v14, 24, v15
	s_movk_i32 s12, 0x80
	v_cmp_ne_u32_e64 s[12:13], s12, v14
	v_bfrev_b32_e32 v18, 1
	s_and_saveexec_b64 s[24:25], s[12:13]
	s_cbranch_execz .LBB486_541
; %bb.538:
	v_bfe_u32 v15, v15, 24, 7
	s_movk_i32 s12, 0x7f
	v_cmp_ne_u32_e64 s[12:13], s12, v15
	v_mov_b32_e32 v18, 0x7f800001
	s_and_saveexec_b64 s[26:27], s[12:13]
	s_cbranch_execz .LBB486_540
; %bb.539:
	v_and_b32_e32 v18, 7, v14
	v_ffbh_u32_e32 v28, v18
	v_min_u32_e32 v30, 32, v28
	v_subrev_u32_e32 v28, 28, v30
	v_lshlrev_b64 v[28:29], v28, v[14:15]
	v_lshrrev_b32_e32 v27, 3, v15
	v_sub_u32_e32 v29, 29, v30
	v_and_b32_e32 v28, 7, v28
	v_cmp_gt_u32_e64 s[12:13], 8, v15
	v_cndmask_b32_e64 v15, v27, v29, s[12:13]
	v_cndmask_b32_e64 v18, v18, v28, s[12:13]
	v_lshlrev_b32_e32 v14, 24, v14
	v_bfrev_b32_e32 v27, 60
	v_lshlrev_b32_e32 v18, 20, v18
	v_and_b32_e32 v14, 0x80000000, v14
	v_lshl_add_u32 v15, v15, 23, v27
	v_or3_b32 v18, v14, v15, v18
.LBB486_540:
	s_or_b64 exec, exec, s[26:27]
.LBB486_541:
	s_or_b64 exec, exec, s[24:25]
.LBB486_542:
	s_or_b64 exec, exec, s[14:15]
	v_cvt_pkrtz_f16_f32 v14, v22, v23
	v_cvt_pkrtz_f16_f32 v15, v21, v24
	;; [unrolled: 1-line block ×4, first 2 shown]
	v_mfma_f32_4x4x4f16 a[0:3], v[2:3], v[14:15], a[0:3] cbsz:4 abid:10
	v_cmp_ne_u16_sdwa s[12:13], v16, v20 src0_sel:BYTE_0 src1_sel:DWORD
	v_mfma_f32_4x4x4f16 a[0:3], v[4:5], v[22:23], a[0:3] cbsz:4 abid:10
	s_and_saveexec_b64 s[14:15], s[12:13]
	s_cbranch_execz .LBB486_548
; %bb.543:
	s_movk_i32 s12, 0x80
	v_cmp_ne_u16_sdwa s[12:13], v16, s12 src0_sel:BYTE_0 src1_sel:DWORD
	v_bfrev_b32_e32 v20, 1
	s_and_saveexec_b64 s[24:25], s[12:13]
	s_cbranch_execz .LBB486_547
; %bb.544:
	s_movk_i32 s12, 0x7f
	v_and_b32_e32 v14, 0x7f, v16
	v_cmp_ne_u32_e64 s[12:13], s12, v14
	v_mov_b32_e32 v20, 0x7f800001
	s_and_saveexec_b64 s[26:27], s[12:13]
	s_cbranch_execz .LBB486_546
; %bb.545:
	v_and_b32_e32 v15, 7, v16
	v_ffbh_u32_e32 v15, v15
	v_min_u32_e32 v15, 32, v15
	v_subrev_u32_e32 v19, 28, v15
	v_cmp_gt_u32_e64 s[12:13], 8, v14
	v_lshrrev_b32_e32 v18, 3, v14
	v_sub_u32_e32 v15, 29, v15
	v_cndmask_b32_e64 v14, 0, v19, s[12:13]
	v_cndmask_b32_e64 v18, v18, v15, s[12:13]
	v_lshlrev_b64 v[14:15], v14, v[16:17]
	v_lshlrev_b32_e32 v14, 20, v14
	v_lshlrev_b32_e32 v15, 24, v16
	v_bfrev_b32_e32 v19, 60
	v_and_b32_e32 v14, 0x700000, v14
	v_and_b32_e32 v15, 0x80000000, v15
	v_lshl_add_u32 v18, v18, 23, v19
	v_or3_b32 v20, v15, v18, v14
.LBB486_546:
	s_or_b64 exec, exec, s[26:27]
.LBB486_547:
	s_or_b64 exec, exec, s[24:25]
.LBB486_548:
	s_or_b64 exec, exec, s[14:15]
	v_lshrrev_b16_e32 v14, 8, v16
	v_cmp_ne_u16_e64 s[12:13], 0, v14
	v_mov_b32_e32 v19, 0
	v_mov_b32_e32 v21, 0
	s_and_saveexec_b64 s[14:15], s[12:13]
	s_cbranch_execz .LBB486_554
; %bb.549:
	s_movk_i32 s12, 0x80
	v_cmp_ne_u16_e64 s[12:13], s12, v14
	v_bfrev_b32_e32 v21, 1
	s_and_saveexec_b64 s[24:25], s[12:13]
	s_cbranch_execz .LBB486_553
; %bb.550:
	s_movk_i32 s12, 0x7f
	v_and_b32_e32 v15, 0x7f, v14
	v_cmp_ne_u32_e64 s[12:13], s12, v15
	v_mov_b32_e32 v21, 0x7f800001
	s_and_saveexec_b64 s[26:27], s[12:13]
	s_cbranch_execz .LBB486_552
; %bb.551:
	v_and_b32_e32 v18, 7, v14
	v_ffbh_u32_e32 v22, v18
	v_min_u32_e32 v24, 32, v22
	v_subrev_u32_e32 v22, 28, v24
	v_lshlrev_b64 v[22:23], v22, v[14:15]
	v_lshrrev_b32_e32 v21, 3, v15
	v_sub_u32_e32 v14, 29, v24
	v_and_b32_e32 v22, 7, v22
	v_cmp_gt_u32_e64 s[12:13], 8, v15
	v_cndmask_b32_e64 v14, v21, v14, s[12:13]
	v_cndmask_b32_e64 v15, v18, v22, s[12:13]
	v_lshlrev_b32_e32 v18, 16, v16
	v_bfrev_b32_e32 v21, 60
	v_lshlrev_b32_e32 v15, 20, v15
	v_and_b32_e32 v18, 0x80000000, v18
	v_lshl_add_u32 v14, v14, 23, v21
	v_or3_b32 v21, v18, v14, v15
.LBB486_552:
	s_or_b64 exec, exec, s[26:27]
.LBB486_553:
	s_or_b64 exec, exec, s[24:25]
.LBB486_554:
	s_or_b64 exec, exec, s[14:15]
	s_movk_i32 s12, 0xff
	v_and_b32_sdwa v15, v16, s12 dst_sel:DWORD dst_unused:UNUSED_PAD src0_sel:WORD_1 src1_sel:DWORD
	v_lshrrev_b32_e32 v14, 16, v16
	v_cmp_ne_u16_e64 s[12:13], 0, v15
	s_and_saveexec_b64 s[14:15], s[12:13]
	s_cbranch_execz .LBB486_560
; %bb.555:
	s_movk_i32 s12, 0x80
	v_cmp_ne_u16_e64 s[12:13], s12, v15
	v_bfrev_b32_e32 v19, 1
	s_and_saveexec_b64 s[24:25], s[12:13]
	s_cbranch_execz .LBB486_559
; %bb.556:
	v_bfe_u32 v15, v16, 16, 7
	s_movk_i32 s12, 0x7f
	v_cmp_ne_u32_e64 s[12:13], s12, v15
	v_mov_b32_e32 v19, 0x7f800001
	s_and_saveexec_b64 s[26:27], s[12:13]
	s_cbranch_execz .LBB486_558
; %bb.557:
	v_and_b32_e32 v22, 7, v14
	v_ffbh_u32_e32 v18, v22
	v_min_u32_e32 v24, 32, v18
	v_subrev_u32_e32 v18, 28, v24
	v_lshlrev_b64 v[18:19], v18, v[14:15]
	v_and_b32_e32 v18, 7, v18
	v_cmp_gt_u32_e64 s[12:13], 8, v15
	v_lshrrev_b32_e32 v23, 3, v15
	v_sub_u32_e32 v14, 29, v24
	v_cndmask_b32_e64 v15, v22, v18, s[12:13]
	v_mov_b32_e32 v18, 24
	v_cndmask_b32_e64 v14, v23, v14, s[12:13]
	v_lshlrev_b32_sdwa v18, v18, v16 dst_sel:DWORD dst_unused:UNUSED_PAD src0_sel:DWORD src1_sel:WORD_1
	v_bfrev_b32_e32 v19, 60
	v_lshlrev_b32_e32 v15, 20, v15
	v_and_b32_e32 v18, 0x80000000, v18
	v_lshl_add_u32 v14, v14, 23, v19
	v_or3_b32 v19, v18, v14, v15
.LBB486_558:
	s_or_b64 exec, exec, s[26:27]
.LBB486_559:
	s_or_b64 exec, exec, s[24:25]
.LBB486_560:
	s_or_b64 exec, exec, s[14:15]
	s_mov_b32 s12, 0xffffff
	v_cmp_lt_u32_e64 s[12:13], s12, v16
	v_mov_b32_e32 v15, 0
	v_mov_b32_e32 v22, 0
	s_and_saveexec_b64 s[14:15], s[12:13]
	s_cbranch_execz .LBB486_566
; %bb.561:
	v_lshrrev_b32_e32 v14, 24, v16
	s_movk_i32 s12, 0x80
	v_cmp_ne_u32_e64 s[12:13], s12, v14
	v_bfrev_b32_e32 v22, 1
	s_and_saveexec_b64 s[24:25], s[12:13]
	s_cbranch_execz .LBB486_565
; %bb.562:
	v_bfe_u32 v18, v16, 24, 7
	s_movk_i32 s12, 0x7f
	v_cmp_ne_u32_e64 s[12:13], s12, v18
	v_mov_b32_e32 v22, 0x7f800001
	s_and_saveexec_b64 s[26:27], s[12:13]
	s_cbranch_execz .LBB486_564
; %bb.563:
	v_and_b32_e32 v24, 7, v14
	v_ffbh_u32_e32 v22, v24
	v_min_u32_e32 v26, 32, v22
	v_subrev_u32_e32 v22, 28, v26
	v_lshlrev_b64 v[22:23], v22, v[14:15]
	v_lshrrev_b32_e32 v25, 3, v18
	v_sub_u32_e32 v23, 29, v26
	v_and_b32_e32 v22, 7, v22
	v_cmp_gt_u32_e64 s[12:13], 8, v18
	v_cndmask_b32_e64 v18, v25, v23, s[12:13]
	v_cndmask_b32_e64 v22, v24, v22, s[12:13]
	v_lshlrev_b32_e32 v14, 24, v14
	v_bfrev_b32_e32 v23, 60
	v_lshlrev_b32_e32 v22, 20, v22
	v_and_b32_e32 v14, 0x80000000, v14
	v_lshl_add_u32 v18, v18, 23, v23
	v_or3_b32 v22, v14, v18, v22
.LBB486_564:
	s_or_b64 exec, exec, s[26:27]
.LBB486_565:
	s_or_b64 exec, exec, s[24:25]
.LBB486_566:
	s_or_b64 exec, exec, s[14:15]
	v_mov_b32_e32 v14, v17
	v_cmp_ne_u16_sdwa s[12:13], v17, v15 src0_sel:BYTE_0 src1_sel:DWORD
	s_and_saveexec_b64 s[14:15], s[12:13]
	s_cbranch_execz .LBB486_572
; %bb.567:
	s_movk_i32 s12, 0x80
	v_cmp_ne_u16_sdwa s[12:13], v17, s12 src0_sel:BYTE_0 src1_sel:DWORD
	v_bfrev_b32_e32 v18, 1
	s_and_saveexec_b64 s[24:25], s[12:13]
	s_cbranch_execz .LBB486_571
; %bb.568:
	s_movk_i32 s12, 0x7f
	v_and_b32_e32 v23, 0x7f, v17
	v_cmp_ne_u32_e64 s[12:13], s12, v23
	v_mov_b32_e32 v18, 0x7f800001
	s_and_saveexec_b64 s[26:27], s[12:13]
	s_cbranch_execz .LBB486_570
; %bb.569:
	v_and_b32_e32 v18, 7, v17
	v_ffbh_u32_e32 v18, v18
	v_min_u32_e32 v18, 32, v18
	v_subrev_u32_e32 v25, 28, v18
	v_cmp_gt_u32_e64 s[12:13], 8, v23
	v_lshrrev_b32_e32 v24, 3, v23
	v_sub_u32_e32 v18, 29, v18
	v_cndmask_b32_e64 v23, 0, v25, s[12:13]
	v_cndmask_b32_e64 v18, v24, v18, s[12:13]
	v_lshlrev_b64 v[24:25], v23, v[14:15]
	v_lshlrev_b32_e32 v15, 20, v24
	v_lshlrev_b32_e32 v23, 24, v14
	v_bfrev_b32_e32 v24, 60
	v_and_b32_e32 v15, 0x700000, v15
	v_and_b32_e32 v23, 0x80000000, v23
	v_lshl_add_u32 v18, v18, 23, v24
	v_or3_b32 v18, v23, v18, v15
.LBB486_570:
	s_or_b64 exec, exec, s[26:27]
.LBB486_571:
	s_or_b64 exec, exec, s[24:25]
	v_mov_b32_e32 v15, v18
.LBB486_572:
	s_or_b64 exec, exec, s[14:15]
	v_lshrrev_b16_e32 v18, 8, v14
	v_cmp_ne_u16_e64 s[12:13], 0, v18
	v_mov_b32_e32 v23, 0
	v_mov_b32_e32 v24, 0
	s_and_saveexec_b64 s[14:15], s[12:13]
	s_cbranch_execz .LBB486_578
; %bb.573:
	s_movk_i32 s12, 0x80
	v_cmp_ne_u16_e64 s[12:13], s12, v18
	v_bfrev_b32_e32 v24, 1
	s_and_saveexec_b64 s[24:25], s[12:13]
	s_cbranch_execz .LBB486_577
; %bb.574:
	s_movk_i32 s12, 0x7f
	v_and_b32_e32 v25, 0x7f, v18
	v_cmp_ne_u32_e64 s[12:13], s12, v25
	v_mov_b32_e32 v24, 0x7f800001
	s_and_saveexec_b64 s[26:27], s[12:13]
	s_cbranch_execz .LBB486_576
; %bb.575:
	v_and_b32_e32 v24, 7, v18
	v_ffbh_u32_e32 v26, v24
	v_min_u32_e32 v29, 32, v26
	v_subrev_u32_e32 v26, 28, v29
	v_lshlrev_b64 v[26:27], v26, v[18:19]
	v_lshrrev_b32_e32 v28, 3, v25
	v_sub_u32_e32 v18, 29, v29
	v_and_b32_e32 v26, 7, v26
	v_cmp_gt_u32_e64 s[12:13], 8, v25
	v_cndmask_b32_e64 v18, v28, v18, s[12:13]
	v_cndmask_b32_e64 v24, v24, v26, s[12:13]
	v_lshlrev_b32_e32 v14, 16, v14
	v_bfrev_b32_e32 v25, 60
	v_lshlrev_b32_e32 v24, 20, v24
	v_and_b32_e32 v14, 0x80000000, v14
	v_lshl_add_u32 v18, v18, 23, v25
	v_or3_b32 v24, v14, v18, v24
.LBB486_576:
	s_or_b64 exec, exec, s[26:27]
.LBB486_577:
	s_or_b64 exec, exec, s[24:25]
.LBB486_578:
	s_or_b64 exec, exec, s[14:15]
	s_movk_i32 s12, 0xff
	v_and_b32_sdwa v18, v17, s12 dst_sel:DWORD dst_unused:UNUSED_PAD src0_sel:WORD_1 src1_sel:DWORD
	v_lshrrev_b32_e32 v14, 16, v17
	v_cmp_ne_u16_e64 s[12:13], 0, v18
	s_and_saveexec_b64 s[14:15], s[12:13]
	s_cbranch_execz .LBB486_584
; %bb.579:
	s_movk_i32 s12, 0x80
	v_cmp_ne_u16_e64 s[12:13], s12, v18
	v_bfrev_b32_e32 v23, 1
	s_and_saveexec_b64 s[24:25], s[12:13]
	s_cbranch_execz .LBB486_583
; %bb.580:
	v_bfe_u32 v18, v17, 16, 7
	s_movk_i32 s12, 0x7f
	v_cmp_ne_u32_e64 s[12:13], s12, v18
	v_mov_b32_e32 v23, 0x7f800001
	s_and_saveexec_b64 s[26:27], s[12:13]
	s_cbranch_execz .LBB486_582
; %bb.581:
	v_and_b32_e32 v23, 7, v14
	v_ffbh_u32_e32 v26, v23
	v_min_u32_e32 v28, 32, v26
	v_subrev_u32_e32 v26, 28, v28
	v_lshlrev_b64 v[26:27], v26, v[14:15]
	v_and_b32_e32 v26, 7, v26
	v_cmp_gt_u32_e64 s[12:13], 8, v18
	v_lshrrev_b32_e32 v25, 3, v18
	v_sub_u32_e32 v14, 29, v28
	v_cndmask_b32_e64 v18, v23, v26, s[12:13]
	v_mov_b32_e32 v23, 24
	v_cndmask_b32_e64 v14, v25, v14, s[12:13]
	v_lshlrev_b32_sdwa v23, v23, v17 dst_sel:DWORD dst_unused:UNUSED_PAD src0_sel:DWORD src1_sel:WORD_1
	v_bfrev_b32_e32 v25, 60
	v_lshlrev_b32_e32 v18, 20, v18
	v_and_b32_e32 v23, 0x80000000, v23
	v_lshl_add_u32 v14, v14, 23, v25
	v_or3_b32 v23, v23, v14, v18
.LBB486_582:
	s_or_b64 exec, exec, s[26:27]
.LBB486_583:
	s_or_b64 exec, exec, s[24:25]
.LBB486_584:
	s_or_b64 exec, exec, s[14:15]
	s_mov_b32 s12, -1
	s_mov_b32 s13, 0xffffff
	v_cmp_lt_u64_e64 s[12:13], s[12:13], v[16:17]
	v_mov_b32_e32 v18, 0
	v_mov_b32_e32 v16, 0
	s_and_saveexec_b64 s[14:15], s[12:13]
	s_cbranch_execz .LBB486_590
; %bb.585:
	v_lshrrev_b32_e32 v14, 24, v17
	s_movk_i32 s12, 0x80
	v_cmp_ne_u32_e64 s[12:13], s12, v14
	v_bfrev_b32_e32 v16, 1
	s_and_saveexec_b64 s[24:25], s[12:13]
	s_cbranch_execz .LBB486_589
; %bb.586:
	v_bfe_u32 v17, v17, 24, 7
	s_movk_i32 s12, 0x7f
	v_cmp_ne_u32_e64 s[12:13], s12, v17
	v_mov_b32_e32 v16, 0x7f800001
	s_and_saveexec_b64 s[26:27], s[12:13]
	s_cbranch_execz .LBB486_588
; %bb.587:
	v_and_b32_e32 v16, 7, v14
	v_ffbh_u32_e32 v26, v16
	v_min_u32_e32 v28, 32, v26
	v_subrev_u32_e32 v26, 28, v28
	v_lshlrev_b64 v[26:27], v26, v[14:15]
	v_lshrrev_b32_e32 v25, 3, v17
	v_sub_u32_e32 v27, 29, v28
	v_and_b32_e32 v26, 7, v26
	v_cmp_gt_u32_e64 s[12:13], 8, v17
	v_cndmask_b32_e64 v17, v25, v27, s[12:13]
	v_cndmask_b32_e64 v16, v16, v26, s[12:13]
	v_lshlrev_b32_e32 v14, 24, v14
	v_bfrev_b32_e32 v25, 60
	v_lshlrev_b32_e32 v16, 20, v16
	v_and_b32_e32 v14, 0x80000000, v14
	v_lshl_add_u32 v17, v17, 23, v25
	v_or3_b32 v16, v14, v17, v16
.LBB486_588:
	s_or_b64 exec, exec, s[26:27]
.LBB486_589:
	s_or_b64 exec, exec, s[24:25]
.LBB486_590:
	s_or_b64 exec, exec, s[14:15]
	v_cvt_pkrtz_f16_f32 v20, v20, v21
	v_cvt_pkrtz_f16_f32 v21, v19, v22
	;; [unrolled: 1-line block ×4, first 2 shown]
	v_mfma_f32_4x4x4f16 a[0:3], v[2:3], v[20:21], a[0:3] cbsz:4 abid:11
	s_waitcnt vmcnt(17)
	v_cmp_ne_u16_sdwa s[12:13], v10, v18 src0_sel:BYTE_0 src1_sel:DWORD
	v_mfma_f32_4x4x4f16 a[0:3], v[4:5], v[14:15], a[0:3] cbsz:4 abid:11
	s_and_saveexec_b64 s[14:15], s[12:13]
	s_cbranch_execz .LBB486_596
; %bb.591:
	s_movk_i32 s12, 0x80
	v_cmp_ne_u16_sdwa s[12:13], v10, s12 src0_sel:BYTE_0 src1_sel:DWORD
	v_bfrev_b32_e32 v18, 1
	s_and_saveexec_b64 s[24:25], s[12:13]
	s_cbranch_execz .LBB486_595
; %bb.592:
	s_movk_i32 s12, 0x7f
	v_and_b32_e32 v14, 0x7f, v10
	v_cmp_ne_u32_e64 s[12:13], s12, v14
	v_mov_b32_e32 v18, 0x7f800001
	s_and_saveexec_b64 s[26:27], s[12:13]
	s_cbranch_execz .LBB486_594
; %bb.593:
	v_and_b32_e32 v15, 7, v10
	v_ffbh_u32_e32 v15, v15
	v_min_u32_e32 v15, 32, v15
	v_subrev_u32_e32 v17, 28, v15
	v_cmp_gt_u32_e64 s[12:13], 8, v14
	v_lshrrev_b32_e32 v16, 3, v14
	v_sub_u32_e32 v15, 29, v15
	v_cndmask_b32_e64 v14, 0, v17, s[12:13]
	v_cndmask_b32_e64 v16, v16, v15, s[12:13]
	v_lshlrev_b64 v[14:15], v14, v[10:11]
	v_lshlrev_b32_e32 v14, 20, v14
	v_lshlrev_b32_e32 v15, 24, v10
	v_bfrev_b32_e32 v17, 60
	v_and_b32_e32 v14, 0x700000, v14
	v_and_b32_e32 v15, 0x80000000, v15
	v_lshl_add_u32 v16, v16, 23, v17
	v_or3_b32 v18, v15, v16, v14
.LBB486_594:
	s_or_b64 exec, exec, s[26:27]
.LBB486_595:
	s_or_b64 exec, exec, s[24:25]
.LBB486_596:
	s_or_b64 exec, exec, s[14:15]
	v_lshrrev_b16_e32 v14, 8, v10
	v_cmp_ne_u16_e64 s[12:13], 0, v14
	v_mov_b32_e32 v17, 0
	v_mov_b32_e32 v19, 0
	s_and_saveexec_b64 s[14:15], s[12:13]
	s_cbranch_execz .LBB486_602
; %bb.597:
	s_movk_i32 s12, 0x80
	v_cmp_ne_u16_e64 s[12:13], s12, v14
	v_bfrev_b32_e32 v19, 1
	s_and_saveexec_b64 s[24:25], s[12:13]
	s_cbranch_execz .LBB486_601
; %bb.598:
	s_movk_i32 s12, 0x7f
	v_and_b32_e32 v15, 0x7f, v14
	v_cmp_ne_u32_e64 s[12:13], s12, v15
	v_mov_b32_e32 v19, 0x7f800001
	s_and_saveexec_b64 s[26:27], s[12:13]
	s_cbranch_execz .LBB486_600
; %bb.599:
	v_and_b32_e32 v16, 7, v14
	v_ffbh_u32_e32 v20, v16
	v_min_u32_e32 v22, 32, v20
	v_subrev_u32_e32 v20, 28, v22
	v_lshlrev_b64 v[20:21], v20, v[14:15]
	v_lshrrev_b32_e32 v19, 3, v15
	v_sub_u32_e32 v14, 29, v22
	v_and_b32_e32 v20, 7, v20
	v_cmp_gt_u32_e64 s[12:13], 8, v15
	v_cndmask_b32_e64 v14, v19, v14, s[12:13]
	v_cndmask_b32_e64 v15, v16, v20, s[12:13]
	v_lshlrev_b32_e32 v16, 16, v10
	v_bfrev_b32_e32 v19, 60
	v_lshlrev_b32_e32 v15, 20, v15
	v_and_b32_e32 v16, 0x80000000, v16
	v_lshl_add_u32 v14, v14, 23, v19
	v_or3_b32 v19, v16, v14, v15
.LBB486_600:
	s_or_b64 exec, exec, s[26:27]
.LBB486_601:
	s_or_b64 exec, exec, s[24:25]
.LBB486_602:
	s_or_b64 exec, exec, s[14:15]
	s_movk_i32 s12, 0xff
	v_and_b32_sdwa v15, v10, s12 dst_sel:DWORD dst_unused:UNUSED_PAD src0_sel:WORD_1 src1_sel:DWORD
	v_lshrrev_b32_e32 v14, 16, v10
	v_cmp_ne_u16_e64 s[12:13], 0, v15
	s_and_saveexec_b64 s[14:15], s[12:13]
	s_cbranch_execz .LBB486_608
; %bb.603:
	s_movk_i32 s12, 0x80
	v_cmp_ne_u16_e64 s[12:13], s12, v15
	v_bfrev_b32_e32 v17, 1
	s_and_saveexec_b64 s[24:25], s[12:13]
	s_cbranch_execz .LBB486_607
; %bb.604:
	v_bfe_u32 v15, v10, 16, 7
	s_movk_i32 s12, 0x7f
	v_cmp_ne_u32_e64 s[12:13], s12, v15
	v_mov_b32_e32 v17, 0x7f800001
	s_and_saveexec_b64 s[26:27], s[12:13]
	s_cbranch_execz .LBB486_606
; %bb.605:
	v_and_b32_e32 v20, 7, v14
	v_ffbh_u32_e32 v16, v20
	v_min_u32_e32 v22, 32, v16
	v_subrev_u32_e32 v16, 28, v22
	v_lshlrev_b64 v[16:17], v16, v[14:15]
	v_and_b32_e32 v16, 7, v16
	v_cmp_gt_u32_e64 s[12:13], 8, v15
	v_lshrrev_b32_e32 v21, 3, v15
	v_sub_u32_e32 v14, 29, v22
	v_cndmask_b32_e64 v15, v20, v16, s[12:13]
	v_mov_b32_e32 v16, 24
	v_cndmask_b32_e64 v14, v21, v14, s[12:13]
	v_lshlrev_b32_sdwa v16, v16, v10 dst_sel:DWORD dst_unused:UNUSED_PAD src0_sel:DWORD src1_sel:WORD_1
	v_bfrev_b32_e32 v17, 60
	v_lshlrev_b32_e32 v15, 20, v15
	v_and_b32_e32 v16, 0x80000000, v16
	v_lshl_add_u32 v14, v14, 23, v17
	v_or3_b32 v17, v16, v14, v15
.LBB486_606:
	s_or_b64 exec, exec, s[26:27]
.LBB486_607:
	s_or_b64 exec, exec, s[24:25]
.LBB486_608:
	s_or_b64 exec, exec, s[14:15]
	s_mov_b32 s12, 0xffffff
	v_cmp_lt_u32_e64 s[12:13], s12, v10
	v_mov_b32_e32 v15, 0
	v_mov_b32_e32 v20, 0
	s_and_saveexec_b64 s[14:15], s[12:13]
	s_cbranch_execz .LBB486_614
; %bb.609:
	v_lshrrev_b32_e32 v14, 24, v10
	s_movk_i32 s12, 0x80
	v_cmp_ne_u32_e64 s[12:13], s12, v14
	v_bfrev_b32_e32 v20, 1
	s_and_saveexec_b64 s[24:25], s[12:13]
	s_cbranch_execz .LBB486_613
; %bb.610:
	v_bfe_u32 v16, v10, 24, 7
	s_movk_i32 s12, 0x7f
	v_cmp_ne_u32_e64 s[12:13], s12, v16
	v_mov_b32_e32 v20, 0x7f800001
	s_and_saveexec_b64 s[26:27], s[12:13]
	s_cbranch_execz .LBB486_612
; %bb.611:
	v_and_b32_e32 v22, 7, v14
	v_ffbh_u32_e32 v20, v22
	v_min_u32_e32 v24, 32, v20
	v_subrev_u32_e32 v20, 28, v24
	v_lshlrev_b64 v[20:21], v20, v[14:15]
	v_lshrrev_b32_e32 v23, 3, v16
	v_sub_u32_e32 v21, 29, v24
	v_and_b32_e32 v20, 7, v20
	v_cmp_gt_u32_e64 s[12:13], 8, v16
	v_cndmask_b32_e64 v16, v23, v21, s[12:13]
	v_cndmask_b32_e64 v20, v22, v20, s[12:13]
	v_lshlrev_b32_e32 v14, 24, v14
	v_bfrev_b32_e32 v21, 60
	v_lshlrev_b32_e32 v20, 20, v20
	v_and_b32_e32 v14, 0x80000000, v14
	v_lshl_add_u32 v16, v16, 23, v21
	v_or3_b32 v20, v14, v16, v20
.LBB486_612:
	s_or_b64 exec, exec, s[26:27]
.LBB486_613:
	s_or_b64 exec, exec, s[24:25]
.LBB486_614:
	s_or_b64 exec, exec, s[14:15]
	v_mov_b32_e32 v14, v11
	v_cmp_ne_u16_sdwa s[12:13], v11, v15 src0_sel:BYTE_0 src1_sel:DWORD
	s_and_saveexec_b64 s[14:15], s[12:13]
	s_cbranch_execz .LBB486_620
; %bb.615:
	s_movk_i32 s12, 0x80
	v_cmp_ne_u16_sdwa s[12:13], v11, s12 src0_sel:BYTE_0 src1_sel:DWORD
	v_bfrev_b32_e32 v16, 1
	s_and_saveexec_b64 s[24:25], s[12:13]
	s_cbranch_execz .LBB486_619
; %bb.616:
	s_movk_i32 s12, 0x7f
	v_and_b32_e32 v21, 0x7f, v11
	v_cmp_ne_u32_e64 s[12:13], s12, v21
	v_mov_b32_e32 v16, 0x7f800001
	s_and_saveexec_b64 s[26:27], s[12:13]
	s_cbranch_execz .LBB486_618
; %bb.617:
	v_and_b32_e32 v16, 7, v11
	v_ffbh_u32_e32 v16, v16
	v_min_u32_e32 v16, 32, v16
	v_subrev_u32_e32 v23, 28, v16
	v_cmp_gt_u32_e64 s[12:13], 8, v21
	v_lshrrev_b32_e32 v22, 3, v21
	v_sub_u32_e32 v16, 29, v16
	v_cndmask_b32_e64 v21, 0, v23, s[12:13]
	v_cndmask_b32_e64 v16, v22, v16, s[12:13]
	v_lshlrev_b64 v[22:23], v21, v[14:15]
	v_lshlrev_b32_e32 v15, 20, v22
	v_lshlrev_b32_e32 v21, 24, v14
	v_bfrev_b32_e32 v22, 60
	v_and_b32_e32 v15, 0x700000, v15
	v_and_b32_e32 v21, 0x80000000, v21
	v_lshl_add_u32 v16, v16, 23, v22
	v_or3_b32 v16, v21, v16, v15
.LBB486_618:
	s_or_b64 exec, exec, s[26:27]
.LBB486_619:
	s_or_b64 exec, exec, s[24:25]
	v_mov_b32_e32 v15, v16
.LBB486_620:
	s_or_b64 exec, exec, s[14:15]
	v_lshrrev_b16_e32 v16, 8, v14
	v_cmp_ne_u16_e64 s[12:13], 0, v16
	v_mov_b32_e32 v21, 0
	v_mov_b32_e32 v22, 0
	s_and_saveexec_b64 s[14:15], s[12:13]
	s_cbranch_execz .LBB486_626
; %bb.621:
	s_movk_i32 s12, 0x80
	v_cmp_ne_u16_e64 s[12:13], s12, v16
	v_bfrev_b32_e32 v22, 1
	s_and_saveexec_b64 s[24:25], s[12:13]
	s_cbranch_execz .LBB486_625
; %bb.622:
	s_movk_i32 s12, 0x7f
	v_and_b32_e32 v23, 0x7f, v16
	v_cmp_ne_u32_e64 s[12:13], s12, v23
	v_mov_b32_e32 v22, 0x7f800001
	s_and_saveexec_b64 s[26:27], s[12:13]
	s_cbranch_execz .LBB486_624
; %bb.623:
	v_and_b32_e32 v22, 7, v16
	v_ffbh_u32_e32 v24, v22
	v_min_u32_e32 v27, 32, v24
	v_subrev_u32_e32 v24, 28, v27
	v_lshlrev_b64 v[24:25], v24, v[16:17]
	v_lshrrev_b32_e32 v26, 3, v23
	v_sub_u32_e32 v16, 29, v27
	v_and_b32_e32 v24, 7, v24
	v_cmp_gt_u32_e64 s[12:13], 8, v23
	v_cndmask_b32_e64 v16, v26, v16, s[12:13]
	v_cndmask_b32_e64 v22, v22, v24, s[12:13]
	v_lshlrev_b32_e32 v14, 16, v14
	v_bfrev_b32_e32 v23, 60
	v_lshlrev_b32_e32 v22, 20, v22
	v_and_b32_e32 v14, 0x80000000, v14
	v_lshl_add_u32 v16, v16, 23, v23
	v_or3_b32 v22, v14, v16, v22
.LBB486_624:
	s_or_b64 exec, exec, s[26:27]
.LBB486_625:
	s_or_b64 exec, exec, s[24:25]
.LBB486_626:
	s_or_b64 exec, exec, s[14:15]
	s_movk_i32 s12, 0xff
	v_and_b32_sdwa v16, v11, s12 dst_sel:DWORD dst_unused:UNUSED_PAD src0_sel:WORD_1 src1_sel:DWORD
	v_lshrrev_b32_e32 v14, 16, v11
	v_cmp_ne_u16_e64 s[12:13], 0, v16
	s_and_saveexec_b64 s[14:15], s[12:13]
	s_cbranch_execz .LBB486_632
; %bb.627:
	s_movk_i32 s12, 0x80
	v_cmp_ne_u16_e64 s[12:13], s12, v16
	v_bfrev_b32_e32 v21, 1
	s_and_saveexec_b64 s[24:25], s[12:13]
	s_cbranch_execz .LBB486_631
; %bb.628:
	v_bfe_u32 v16, v11, 16, 7
	s_movk_i32 s12, 0x7f
	v_cmp_ne_u32_e64 s[12:13], s12, v16
	v_mov_b32_e32 v21, 0x7f800001
	s_and_saveexec_b64 s[26:27], s[12:13]
	s_cbranch_execz .LBB486_630
; %bb.629:
	v_and_b32_e32 v21, 7, v14
	v_ffbh_u32_e32 v24, v21
	v_min_u32_e32 v26, 32, v24
	v_subrev_u32_e32 v24, 28, v26
	v_lshlrev_b64 v[24:25], v24, v[14:15]
	v_and_b32_e32 v24, 7, v24
	v_cmp_gt_u32_e64 s[12:13], 8, v16
	v_lshrrev_b32_e32 v23, 3, v16
	v_sub_u32_e32 v14, 29, v26
	v_cndmask_b32_e64 v16, v21, v24, s[12:13]
	v_mov_b32_e32 v21, 24
	v_cndmask_b32_e64 v14, v23, v14, s[12:13]
	v_lshlrev_b32_sdwa v21, v21, v11 dst_sel:DWORD dst_unused:UNUSED_PAD src0_sel:DWORD src1_sel:WORD_1
	v_bfrev_b32_e32 v23, 60
	v_lshlrev_b32_e32 v16, 20, v16
	v_and_b32_e32 v21, 0x80000000, v21
	v_lshl_add_u32 v14, v14, 23, v23
	v_or3_b32 v21, v21, v14, v16
.LBB486_630:
	s_or_b64 exec, exec, s[26:27]
.LBB486_631:
	s_or_b64 exec, exec, s[24:25]
.LBB486_632:
	s_or_b64 exec, exec, s[14:15]
	s_mov_b32 s12, -1
	s_mov_b32 s13, 0xffffff
	v_cmp_lt_u64_e64 s[12:13], s[12:13], v[10:11]
	v_mov_b32_e32 v16, 0
	v_mov_b32_e32 v14, 0
	s_and_saveexec_b64 s[14:15], s[12:13]
	s_cbranch_execz .LBB486_638
; %bb.633:
	v_lshrrev_b32_e32 v10, 24, v11
	s_movk_i32 s12, 0x80
	v_cmp_ne_u32_e64 s[12:13], s12, v10
	v_bfrev_b32_e32 v14, 1
	s_and_saveexec_b64 s[24:25], s[12:13]
	s_cbranch_execz .LBB486_637
; %bb.634:
	v_bfe_u32 v11, v11, 24, 7
	s_movk_i32 s12, 0x7f
	v_cmp_ne_u32_e64 s[12:13], s12, v11
	v_mov_b32_e32 v14, 0x7f800001
	s_and_saveexec_b64 s[26:27], s[12:13]
	s_cbranch_execz .LBB486_636
; %bb.635:
	v_and_b32_e32 v14, 7, v10
	v_ffbh_u32_e32 v24, v14
	v_min_u32_e32 v26, 32, v24
	v_subrev_u32_e32 v24, 28, v26
	v_lshlrev_b64 v[24:25], v24, v[10:11]
	v_lshrrev_b32_e32 v23, 3, v11
	v_sub_u32_e32 v25, 29, v26
	v_and_b32_e32 v24, 7, v24
	v_cmp_gt_u32_e64 s[12:13], 8, v11
	v_cndmask_b32_e64 v11, v23, v25, s[12:13]
	v_cndmask_b32_e64 v14, v14, v24, s[12:13]
	v_lshlrev_b32_e32 v10, 24, v10
	v_bfrev_b32_e32 v23, 60
	v_lshlrev_b32_e32 v14, 20, v14
	v_and_b32_e32 v10, 0x80000000, v10
	v_lshl_add_u32 v11, v11, 23, v23
	v_or3_b32 v14, v10, v11, v14
.LBB486_636:
	s_or_b64 exec, exec, s[26:27]
.LBB486_637:
	s_or_b64 exec, exec, s[24:25]
.LBB486_638:
	s_or_b64 exec, exec, s[14:15]
	v_cvt_pkrtz_f16_f32 v10, v18, v19
	v_cvt_pkrtz_f16_f32 v11, v17, v20
	;; [unrolled: 1-line block ×4, first 2 shown]
	v_mfma_f32_4x4x4f16 a[0:3], v[2:3], v[10:11], a[0:3] cbsz:4 abid:12
	v_cmp_ne_u16_sdwa s[12:13], v12, v16 src0_sel:BYTE_0 src1_sel:DWORD
	v_mfma_f32_4x4x4f16 a[0:3], v[4:5], v[18:19], a[0:3] cbsz:4 abid:12
	s_and_saveexec_b64 s[14:15], s[12:13]
	s_cbranch_execz .LBB486_644
; %bb.639:
	s_movk_i32 s12, 0x80
	v_cmp_ne_u16_sdwa s[12:13], v12, s12 src0_sel:BYTE_0 src1_sel:DWORD
	v_bfrev_b32_e32 v16, 1
	s_and_saveexec_b64 s[24:25], s[12:13]
	s_cbranch_execz .LBB486_643
; %bb.640:
	s_movk_i32 s12, 0x7f
	v_and_b32_e32 v10, 0x7f, v12
	v_cmp_ne_u32_e64 s[12:13], s12, v10
	v_mov_b32_e32 v16, 0x7f800001
	s_and_saveexec_b64 s[26:27], s[12:13]
	s_cbranch_execz .LBB486_642
; %bb.641:
	v_and_b32_e32 v11, 7, v12
	v_ffbh_u32_e32 v11, v11
	v_min_u32_e32 v11, 32, v11
	v_subrev_u32_e32 v15, 28, v11
	v_cmp_gt_u32_e64 s[12:13], 8, v10
	v_lshrrev_b32_e32 v14, 3, v10
	v_sub_u32_e32 v11, 29, v11
	v_cndmask_b32_e64 v10, 0, v15, s[12:13]
	v_cndmask_b32_e64 v14, v14, v11, s[12:13]
	v_lshlrev_b64 v[10:11], v10, v[12:13]
	v_lshlrev_b32_e32 v10, 20, v10
	v_lshlrev_b32_e32 v11, 24, v12
	v_bfrev_b32_e32 v15, 60
	v_and_b32_e32 v10, 0x700000, v10
	v_and_b32_e32 v11, 0x80000000, v11
	v_lshl_add_u32 v14, v14, 23, v15
	v_or3_b32 v16, v11, v14, v10
.LBB486_642:
	s_or_b64 exec, exec, s[26:27]
.LBB486_643:
	s_or_b64 exec, exec, s[24:25]
.LBB486_644:
	s_or_b64 exec, exec, s[14:15]
	v_lshrrev_b16_e32 v10, 8, v12
	v_cmp_ne_u16_e64 s[12:13], 0, v10
	v_mov_b32_e32 v15, 0
	v_mov_b32_e32 v17, 0
	s_and_saveexec_b64 s[14:15], s[12:13]
	s_cbranch_execz .LBB486_650
; %bb.645:
	s_movk_i32 s12, 0x80
	v_cmp_ne_u16_e64 s[12:13], s12, v10
	v_bfrev_b32_e32 v17, 1
	s_and_saveexec_b64 s[24:25], s[12:13]
	s_cbranch_execz .LBB486_649
; %bb.646:
	s_movk_i32 s12, 0x7f
	v_and_b32_e32 v11, 0x7f, v10
	v_cmp_ne_u32_e64 s[12:13], s12, v11
	v_mov_b32_e32 v17, 0x7f800001
	s_and_saveexec_b64 s[26:27], s[12:13]
	s_cbranch_execz .LBB486_648
; %bb.647:
	v_and_b32_e32 v14, 7, v10
	v_ffbh_u32_e32 v18, v14
	v_min_u32_e32 v20, 32, v18
	v_subrev_u32_e32 v18, 28, v20
	v_lshlrev_b64 v[18:19], v18, v[10:11]
	v_lshrrev_b32_e32 v17, 3, v11
	v_sub_u32_e32 v10, 29, v20
	v_and_b32_e32 v18, 7, v18
	v_cmp_gt_u32_e64 s[12:13], 8, v11
	v_cndmask_b32_e64 v10, v17, v10, s[12:13]
	v_cndmask_b32_e64 v11, v14, v18, s[12:13]
	v_lshlrev_b32_e32 v14, 16, v12
	v_bfrev_b32_e32 v17, 60
	v_lshlrev_b32_e32 v11, 20, v11
	v_and_b32_e32 v14, 0x80000000, v14
	v_lshl_add_u32 v10, v10, 23, v17
	v_or3_b32 v17, v14, v10, v11
.LBB486_648:
	s_or_b64 exec, exec, s[26:27]
.LBB486_649:
	s_or_b64 exec, exec, s[24:25]
.LBB486_650:
	s_or_b64 exec, exec, s[14:15]
	s_movk_i32 s12, 0xff
	v_and_b32_sdwa v11, v12, s12 dst_sel:DWORD dst_unused:UNUSED_PAD src0_sel:WORD_1 src1_sel:DWORD
	v_lshrrev_b32_e32 v10, 16, v12
	v_cmp_ne_u16_e64 s[12:13], 0, v11
	s_and_saveexec_b64 s[14:15], s[12:13]
	s_cbranch_execz .LBB486_656
; %bb.651:
	s_movk_i32 s12, 0x80
	v_cmp_ne_u16_e64 s[12:13], s12, v11
	v_bfrev_b32_e32 v15, 1
	s_and_saveexec_b64 s[24:25], s[12:13]
	s_cbranch_execz .LBB486_655
; %bb.652:
	v_bfe_u32 v11, v12, 16, 7
	s_movk_i32 s12, 0x7f
	v_cmp_ne_u32_e64 s[12:13], s12, v11
	v_mov_b32_e32 v15, 0x7f800001
	s_and_saveexec_b64 s[26:27], s[12:13]
	s_cbranch_execz .LBB486_654
; %bb.653:
	v_and_b32_e32 v18, 7, v10
	v_ffbh_u32_e32 v14, v18
	v_min_u32_e32 v20, 32, v14
	v_subrev_u32_e32 v14, 28, v20
	v_lshlrev_b64 v[14:15], v14, v[10:11]
	v_and_b32_e32 v14, 7, v14
	v_cmp_gt_u32_e64 s[12:13], 8, v11
	v_lshrrev_b32_e32 v19, 3, v11
	v_sub_u32_e32 v10, 29, v20
	v_cndmask_b32_e64 v11, v18, v14, s[12:13]
	v_mov_b32_e32 v14, 24
	v_cndmask_b32_e64 v10, v19, v10, s[12:13]
	v_lshlrev_b32_sdwa v14, v14, v12 dst_sel:DWORD dst_unused:UNUSED_PAD src0_sel:DWORD src1_sel:WORD_1
	v_bfrev_b32_e32 v15, 60
	v_lshlrev_b32_e32 v11, 20, v11
	v_and_b32_e32 v14, 0x80000000, v14
	v_lshl_add_u32 v10, v10, 23, v15
	v_or3_b32 v15, v14, v10, v11
.LBB486_654:
	s_or_b64 exec, exec, s[26:27]
.LBB486_655:
	s_or_b64 exec, exec, s[24:25]
.LBB486_656:
	s_or_b64 exec, exec, s[14:15]
	s_mov_b32 s12, 0xffffff
	v_cmp_lt_u32_e64 s[12:13], s12, v12
	v_mov_b32_e32 v11, 0
	v_mov_b32_e32 v18, 0
	s_and_saveexec_b64 s[14:15], s[12:13]
	s_cbranch_execz .LBB486_662
; %bb.657:
	v_lshrrev_b32_e32 v10, 24, v12
	s_movk_i32 s12, 0x80
	v_cmp_ne_u32_e64 s[12:13], s12, v10
	v_bfrev_b32_e32 v18, 1
	s_and_saveexec_b64 s[24:25], s[12:13]
	s_cbranch_execz .LBB486_661
; %bb.658:
	v_bfe_u32 v14, v12, 24, 7
	s_movk_i32 s12, 0x7f
	v_cmp_ne_u32_e64 s[12:13], s12, v14
	v_mov_b32_e32 v18, 0x7f800001
	s_and_saveexec_b64 s[26:27], s[12:13]
	s_cbranch_execz .LBB486_660
; %bb.659:
	v_and_b32_e32 v20, 7, v10
	v_ffbh_u32_e32 v18, v20
	v_min_u32_e32 v22, 32, v18
	v_subrev_u32_e32 v18, 28, v22
	v_lshlrev_b64 v[18:19], v18, v[10:11]
	v_lshrrev_b32_e32 v21, 3, v14
	v_sub_u32_e32 v19, 29, v22
	v_and_b32_e32 v18, 7, v18
	v_cmp_gt_u32_e64 s[12:13], 8, v14
	v_cndmask_b32_e64 v14, v21, v19, s[12:13]
	v_cndmask_b32_e64 v18, v20, v18, s[12:13]
	v_lshlrev_b32_e32 v10, 24, v10
	v_bfrev_b32_e32 v19, 60
	v_lshlrev_b32_e32 v18, 20, v18
	v_and_b32_e32 v10, 0x80000000, v10
	v_lshl_add_u32 v14, v14, 23, v19
	v_or3_b32 v18, v10, v14, v18
.LBB486_660:
	s_or_b64 exec, exec, s[26:27]
.LBB486_661:
	s_or_b64 exec, exec, s[24:25]
.LBB486_662:
	s_or_b64 exec, exec, s[14:15]
	v_mov_b32_e32 v10, v13
	v_cmp_ne_u16_sdwa s[12:13], v13, v11 src0_sel:BYTE_0 src1_sel:DWORD
	s_and_saveexec_b64 s[14:15], s[12:13]
	s_cbranch_execz .LBB486_668
; %bb.663:
	s_movk_i32 s12, 0x80
	v_cmp_ne_u16_sdwa s[12:13], v13, s12 src0_sel:BYTE_0 src1_sel:DWORD
	v_bfrev_b32_e32 v14, 1
	s_and_saveexec_b64 s[24:25], s[12:13]
	s_cbranch_execz .LBB486_667
; %bb.664:
	s_movk_i32 s12, 0x7f
	v_and_b32_e32 v19, 0x7f, v13
	v_cmp_ne_u32_e64 s[12:13], s12, v19
	v_mov_b32_e32 v14, 0x7f800001
	s_and_saveexec_b64 s[26:27], s[12:13]
	s_cbranch_execz .LBB486_666
; %bb.665:
	v_and_b32_e32 v14, 7, v13
	v_ffbh_u32_e32 v14, v14
	v_min_u32_e32 v14, 32, v14
	v_subrev_u32_e32 v21, 28, v14
	v_cmp_gt_u32_e64 s[12:13], 8, v19
	v_lshrrev_b32_e32 v20, 3, v19
	v_sub_u32_e32 v14, 29, v14
	v_cndmask_b32_e64 v19, 0, v21, s[12:13]
	v_cndmask_b32_e64 v14, v20, v14, s[12:13]
	v_lshlrev_b64 v[20:21], v19, v[10:11]
	v_lshlrev_b32_e32 v11, 20, v20
	v_lshlrev_b32_e32 v19, 24, v10
	v_bfrev_b32_e32 v20, 60
	v_and_b32_e32 v11, 0x700000, v11
	v_and_b32_e32 v19, 0x80000000, v19
	v_lshl_add_u32 v14, v14, 23, v20
	v_or3_b32 v14, v19, v14, v11
.LBB486_666:
	s_or_b64 exec, exec, s[26:27]
.LBB486_667:
	s_or_b64 exec, exec, s[24:25]
	v_mov_b32_e32 v11, v14
.LBB486_668:
	s_or_b64 exec, exec, s[14:15]
	v_lshrrev_b16_e32 v14, 8, v10
	v_cmp_ne_u16_e64 s[12:13], 0, v14
	v_mov_b32_e32 v19, 0
	v_mov_b32_e32 v20, 0
	s_and_saveexec_b64 s[14:15], s[12:13]
	s_cbranch_execz .LBB486_674
; %bb.669:
	s_movk_i32 s12, 0x80
	v_cmp_ne_u16_e64 s[12:13], s12, v14
	v_bfrev_b32_e32 v20, 1
	s_and_saveexec_b64 s[24:25], s[12:13]
	s_cbranch_execz .LBB486_673
; %bb.670:
	s_movk_i32 s12, 0x7f
	v_and_b32_e32 v21, 0x7f, v14
	v_cmp_ne_u32_e64 s[12:13], s12, v21
	v_mov_b32_e32 v20, 0x7f800001
	s_and_saveexec_b64 s[26:27], s[12:13]
	s_cbranch_execz .LBB486_672
; %bb.671:
	v_and_b32_e32 v20, 7, v14
	v_ffbh_u32_e32 v22, v20
	v_min_u32_e32 v25, 32, v22
	v_subrev_u32_e32 v22, 28, v25
	v_lshlrev_b64 v[22:23], v22, v[14:15]
	v_lshrrev_b32_e32 v24, 3, v21
	v_sub_u32_e32 v14, 29, v25
	v_and_b32_e32 v22, 7, v22
	v_cmp_gt_u32_e64 s[12:13], 8, v21
	v_cndmask_b32_e64 v14, v24, v14, s[12:13]
	v_cndmask_b32_e64 v20, v20, v22, s[12:13]
	v_lshlrev_b32_e32 v10, 16, v10
	v_bfrev_b32_e32 v21, 60
	v_lshlrev_b32_e32 v20, 20, v20
	v_and_b32_e32 v10, 0x80000000, v10
	v_lshl_add_u32 v14, v14, 23, v21
	v_or3_b32 v20, v10, v14, v20
.LBB486_672:
	s_or_b64 exec, exec, s[26:27]
.LBB486_673:
	s_or_b64 exec, exec, s[24:25]
.LBB486_674:
	s_or_b64 exec, exec, s[14:15]
	s_movk_i32 s12, 0xff
	v_and_b32_sdwa v14, v13, s12 dst_sel:DWORD dst_unused:UNUSED_PAD src0_sel:WORD_1 src1_sel:DWORD
	v_lshrrev_b32_e32 v10, 16, v13
	v_cmp_ne_u16_e64 s[12:13], 0, v14
	s_and_saveexec_b64 s[14:15], s[12:13]
	s_cbranch_execz .LBB486_680
; %bb.675:
	s_movk_i32 s12, 0x80
	v_cmp_ne_u16_e64 s[12:13], s12, v14
	v_bfrev_b32_e32 v19, 1
	s_and_saveexec_b64 s[24:25], s[12:13]
	s_cbranch_execz .LBB486_679
; %bb.676:
	v_bfe_u32 v14, v13, 16, 7
	s_movk_i32 s12, 0x7f
	v_cmp_ne_u32_e64 s[12:13], s12, v14
	v_mov_b32_e32 v19, 0x7f800001
	s_and_saveexec_b64 s[26:27], s[12:13]
	s_cbranch_execz .LBB486_678
; %bb.677:
	v_and_b32_e32 v19, 7, v10
	v_ffbh_u32_e32 v22, v19
	v_min_u32_e32 v24, 32, v22
	v_subrev_u32_e32 v22, 28, v24
	v_lshlrev_b64 v[22:23], v22, v[10:11]
	v_and_b32_e32 v22, 7, v22
	v_cmp_gt_u32_e64 s[12:13], 8, v14
	v_lshrrev_b32_e32 v21, 3, v14
	v_sub_u32_e32 v10, 29, v24
	v_cndmask_b32_e64 v14, v19, v22, s[12:13]
	v_mov_b32_e32 v19, 24
	v_cndmask_b32_e64 v10, v21, v10, s[12:13]
	v_lshlrev_b32_sdwa v19, v19, v13 dst_sel:DWORD dst_unused:UNUSED_PAD src0_sel:DWORD src1_sel:WORD_1
	v_bfrev_b32_e32 v21, 60
	v_lshlrev_b32_e32 v14, 20, v14
	v_and_b32_e32 v19, 0x80000000, v19
	v_lshl_add_u32 v10, v10, 23, v21
	v_or3_b32 v19, v19, v10, v14
.LBB486_678:
	s_or_b64 exec, exec, s[26:27]
.LBB486_679:
	s_or_b64 exec, exec, s[24:25]
.LBB486_680:
	s_or_b64 exec, exec, s[14:15]
	s_mov_b32 s12, -1
	s_mov_b32 s13, 0xffffff
	v_cmp_lt_u64_e64 s[12:13], s[12:13], v[12:13]
	v_mov_b32_e32 v14, 0
	v_mov_b32_e32 v12, 0
	s_and_saveexec_b64 s[14:15], s[12:13]
	s_cbranch_execz .LBB486_686
; %bb.681:
	v_lshrrev_b32_e32 v10, 24, v13
	s_movk_i32 s12, 0x80
	v_cmp_ne_u32_e64 s[12:13], s12, v10
	v_bfrev_b32_e32 v12, 1
	s_and_saveexec_b64 s[24:25], s[12:13]
	s_cbranch_execz .LBB486_685
; %bb.682:
	v_bfe_u32 v13, v13, 24, 7
	s_movk_i32 s12, 0x7f
	v_cmp_ne_u32_e64 s[12:13], s12, v13
	v_mov_b32_e32 v12, 0x7f800001
	s_and_saveexec_b64 s[26:27], s[12:13]
	s_cbranch_execz .LBB486_684
; %bb.683:
	v_and_b32_e32 v12, 7, v10
	v_ffbh_u32_e32 v22, v12
	v_min_u32_e32 v24, 32, v22
	v_subrev_u32_e32 v22, 28, v24
	v_lshlrev_b64 v[22:23], v22, v[10:11]
	v_lshrrev_b32_e32 v21, 3, v13
	v_sub_u32_e32 v23, 29, v24
	v_and_b32_e32 v22, 7, v22
	v_cmp_gt_u32_e64 s[12:13], 8, v13
	v_cndmask_b32_e64 v13, v21, v23, s[12:13]
	v_cndmask_b32_e64 v12, v12, v22, s[12:13]
	v_lshlrev_b32_e32 v10, 24, v10
	v_bfrev_b32_e32 v21, 60
	v_lshlrev_b32_e32 v12, 20, v12
	v_and_b32_e32 v10, 0x80000000, v10
	v_lshl_add_u32 v13, v13, 23, v21
	v_or3_b32 v12, v10, v13, v12
.LBB486_684:
	s_or_b64 exec, exec, s[26:27]
.LBB486_685:
	s_or_b64 exec, exec, s[24:25]
.LBB486_686:
	s_or_b64 exec, exec, s[14:15]
	v_cvt_pkrtz_f16_f32 v16, v16, v17
	v_cvt_pkrtz_f16_f32 v17, v15, v18
	;; [unrolled: 1-line block ×4, first 2 shown]
	v_mfma_f32_4x4x4f16 a[0:3], v[2:3], v[16:17], a[0:3] cbsz:4 abid:13
	s_waitcnt vmcnt(16)
	v_cmp_ne_u16_sdwa s[12:13], v6, v14 src0_sel:BYTE_0 src1_sel:DWORD
	v_mfma_f32_4x4x4f16 a[0:3], v[4:5], v[10:11], a[0:3] cbsz:4 abid:13
	s_and_saveexec_b64 s[14:15], s[12:13]
	s_cbranch_execz .LBB486_692
; %bb.687:
	s_movk_i32 s12, 0x80
	v_cmp_ne_u16_sdwa s[12:13], v6, s12 src0_sel:BYTE_0 src1_sel:DWORD
	v_bfrev_b32_e32 v14, 1
	s_and_saveexec_b64 s[24:25], s[12:13]
	s_cbranch_execz .LBB486_691
; %bb.688:
	s_movk_i32 s12, 0x7f
	v_and_b32_e32 v10, 0x7f, v6
	v_cmp_ne_u32_e64 s[12:13], s12, v10
	v_mov_b32_e32 v14, 0x7f800001
	s_and_saveexec_b64 s[26:27], s[12:13]
	s_cbranch_execz .LBB486_690
; %bb.689:
	v_and_b32_e32 v11, 7, v6
	v_ffbh_u32_e32 v11, v11
	v_min_u32_e32 v11, 32, v11
	v_subrev_u32_e32 v13, 28, v11
	v_cmp_gt_u32_e64 s[12:13], 8, v10
	v_lshrrev_b32_e32 v12, 3, v10
	v_sub_u32_e32 v11, 29, v11
	v_cndmask_b32_e64 v10, 0, v13, s[12:13]
	v_cndmask_b32_e64 v12, v12, v11, s[12:13]
	v_lshlrev_b64 v[10:11], v10, v[6:7]
	v_lshlrev_b32_e32 v10, 20, v10
	v_lshlrev_b32_e32 v11, 24, v6
	v_bfrev_b32_e32 v13, 60
	v_and_b32_e32 v10, 0x700000, v10
	v_and_b32_e32 v11, 0x80000000, v11
	v_lshl_add_u32 v12, v12, 23, v13
	v_or3_b32 v14, v11, v12, v10
.LBB486_690:
	s_or_b64 exec, exec, s[26:27]
.LBB486_691:
	s_or_b64 exec, exec, s[24:25]
.LBB486_692:
	s_or_b64 exec, exec, s[14:15]
	v_lshrrev_b16_e32 v10, 8, v6
	v_cmp_ne_u16_e64 s[12:13], 0, v10
	v_mov_b32_e32 v13, 0
	v_mov_b32_e32 v15, 0
	s_and_saveexec_b64 s[14:15], s[12:13]
	s_cbranch_execz .LBB486_698
; %bb.693:
	s_movk_i32 s12, 0x80
	v_cmp_ne_u16_e64 s[12:13], s12, v10
	v_bfrev_b32_e32 v15, 1
	s_and_saveexec_b64 s[24:25], s[12:13]
	s_cbranch_execz .LBB486_697
; %bb.694:
	s_movk_i32 s12, 0x7f
	v_and_b32_e32 v11, 0x7f, v10
	v_cmp_ne_u32_e64 s[12:13], s12, v11
	v_mov_b32_e32 v15, 0x7f800001
	s_and_saveexec_b64 s[26:27], s[12:13]
	s_cbranch_execz .LBB486_696
; %bb.695:
	v_and_b32_e32 v12, 7, v10
	v_ffbh_u32_e32 v16, v12
	v_min_u32_e32 v18, 32, v16
	v_subrev_u32_e32 v16, 28, v18
	v_lshlrev_b64 v[16:17], v16, v[10:11]
	v_lshrrev_b32_e32 v15, 3, v11
	v_sub_u32_e32 v10, 29, v18
	v_and_b32_e32 v16, 7, v16
	v_cmp_gt_u32_e64 s[12:13], 8, v11
	v_cndmask_b32_e64 v10, v15, v10, s[12:13]
	v_cndmask_b32_e64 v11, v12, v16, s[12:13]
	v_lshlrev_b32_e32 v12, 16, v6
	v_bfrev_b32_e32 v15, 60
	v_lshlrev_b32_e32 v11, 20, v11
	v_and_b32_e32 v12, 0x80000000, v12
	v_lshl_add_u32 v10, v10, 23, v15
	v_or3_b32 v15, v12, v10, v11
.LBB486_696:
	s_or_b64 exec, exec, s[26:27]
.LBB486_697:
	s_or_b64 exec, exec, s[24:25]
.LBB486_698:
	s_or_b64 exec, exec, s[14:15]
	s_movk_i32 s12, 0xff
	v_and_b32_sdwa v11, v6, s12 dst_sel:DWORD dst_unused:UNUSED_PAD src0_sel:WORD_1 src1_sel:DWORD
	v_lshrrev_b32_e32 v10, 16, v6
	v_cmp_ne_u16_e64 s[12:13], 0, v11
	s_and_saveexec_b64 s[14:15], s[12:13]
	s_cbranch_execz .LBB486_704
; %bb.699:
	s_movk_i32 s12, 0x80
	v_cmp_ne_u16_e64 s[12:13], s12, v11
	v_bfrev_b32_e32 v13, 1
	s_and_saveexec_b64 s[24:25], s[12:13]
	s_cbranch_execz .LBB486_703
; %bb.700:
	v_bfe_u32 v11, v6, 16, 7
	s_movk_i32 s12, 0x7f
	v_cmp_ne_u32_e64 s[12:13], s12, v11
	v_mov_b32_e32 v13, 0x7f800001
	s_and_saveexec_b64 s[26:27], s[12:13]
	s_cbranch_execz .LBB486_702
; %bb.701:
	v_and_b32_e32 v16, 7, v10
	v_ffbh_u32_e32 v12, v16
	v_min_u32_e32 v18, 32, v12
	v_subrev_u32_e32 v12, 28, v18
	v_lshlrev_b64 v[12:13], v12, v[10:11]
	v_and_b32_e32 v12, 7, v12
	v_cmp_gt_u32_e64 s[12:13], 8, v11
	v_lshrrev_b32_e32 v17, 3, v11
	v_sub_u32_e32 v10, 29, v18
	v_cndmask_b32_e64 v11, v16, v12, s[12:13]
	v_mov_b32_e32 v12, 24
	v_cndmask_b32_e64 v10, v17, v10, s[12:13]
	v_lshlrev_b32_sdwa v12, v12, v6 dst_sel:DWORD dst_unused:UNUSED_PAD src0_sel:DWORD src1_sel:WORD_1
	v_bfrev_b32_e32 v13, 60
	v_lshlrev_b32_e32 v11, 20, v11
	v_and_b32_e32 v12, 0x80000000, v12
	v_lshl_add_u32 v10, v10, 23, v13
	v_or3_b32 v13, v12, v10, v11
.LBB486_702:
	s_or_b64 exec, exec, s[26:27]
.LBB486_703:
	s_or_b64 exec, exec, s[24:25]
.LBB486_704:
	s_or_b64 exec, exec, s[14:15]
	s_mov_b32 s12, 0xffffff
	v_cmp_lt_u32_e64 s[12:13], s12, v6
	v_mov_b32_e32 v11, 0
	v_mov_b32_e32 v16, 0
	s_and_saveexec_b64 s[14:15], s[12:13]
	s_cbranch_execz .LBB486_710
; %bb.705:
	v_lshrrev_b32_e32 v10, 24, v6
	s_movk_i32 s12, 0x80
	v_cmp_ne_u32_e64 s[12:13], s12, v10
	v_bfrev_b32_e32 v16, 1
	s_and_saveexec_b64 s[24:25], s[12:13]
	s_cbranch_execz .LBB486_709
; %bb.706:
	v_bfe_u32 v12, v6, 24, 7
	s_movk_i32 s12, 0x7f
	v_cmp_ne_u32_e64 s[12:13], s12, v12
	v_mov_b32_e32 v16, 0x7f800001
	s_and_saveexec_b64 s[26:27], s[12:13]
	s_cbranch_execz .LBB486_708
; %bb.707:
	v_and_b32_e32 v18, 7, v10
	v_ffbh_u32_e32 v16, v18
	v_min_u32_e32 v20, 32, v16
	v_subrev_u32_e32 v16, 28, v20
	v_lshlrev_b64 v[16:17], v16, v[10:11]
	v_lshrrev_b32_e32 v19, 3, v12
	v_sub_u32_e32 v17, 29, v20
	v_and_b32_e32 v16, 7, v16
	v_cmp_gt_u32_e64 s[12:13], 8, v12
	v_cndmask_b32_e64 v12, v19, v17, s[12:13]
	v_cndmask_b32_e64 v16, v18, v16, s[12:13]
	v_lshlrev_b32_e32 v10, 24, v10
	v_bfrev_b32_e32 v17, 60
	v_lshlrev_b32_e32 v16, 20, v16
	v_and_b32_e32 v10, 0x80000000, v10
	v_lshl_add_u32 v12, v12, 23, v17
	v_or3_b32 v16, v10, v12, v16
.LBB486_708:
	s_or_b64 exec, exec, s[26:27]
.LBB486_709:
	s_or_b64 exec, exec, s[24:25]
.LBB486_710:
	s_or_b64 exec, exec, s[14:15]
	v_mov_b32_e32 v10, v7
	v_cmp_ne_u16_sdwa s[12:13], v7, v11 src0_sel:BYTE_0 src1_sel:DWORD
	s_and_saveexec_b64 s[14:15], s[12:13]
	s_cbranch_execz .LBB486_716
; %bb.711:
	s_movk_i32 s12, 0x80
	v_cmp_ne_u16_sdwa s[12:13], v7, s12 src0_sel:BYTE_0 src1_sel:DWORD
	v_bfrev_b32_e32 v12, 1
	s_and_saveexec_b64 s[24:25], s[12:13]
	s_cbranch_execz .LBB486_715
; %bb.712:
	s_movk_i32 s12, 0x7f
	v_and_b32_e32 v17, 0x7f, v7
	v_cmp_ne_u32_e64 s[12:13], s12, v17
	v_mov_b32_e32 v12, 0x7f800001
	s_and_saveexec_b64 s[26:27], s[12:13]
	s_cbranch_execz .LBB486_714
; %bb.713:
	v_and_b32_e32 v12, 7, v7
	v_ffbh_u32_e32 v12, v12
	v_min_u32_e32 v12, 32, v12
	v_subrev_u32_e32 v19, 28, v12
	v_cmp_gt_u32_e64 s[12:13], 8, v17
	v_lshrrev_b32_e32 v18, 3, v17
	v_sub_u32_e32 v12, 29, v12
	v_cndmask_b32_e64 v17, 0, v19, s[12:13]
	v_cndmask_b32_e64 v12, v18, v12, s[12:13]
	v_lshlrev_b64 v[18:19], v17, v[10:11]
	v_lshlrev_b32_e32 v11, 20, v18
	v_lshlrev_b32_e32 v17, 24, v10
	v_bfrev_b32_e32 v18, 60
	v_and_b32_e32 v11, 0x700000, v11
	v_and_b32_e32 v17, 0x80000000, v17
	v_lshl_add_u32 v12, v12, 23, v18
	v_or3_b32 v12, v17, v12, v11
.LBB486_714:
	s_or_b64 exec, exec, s[26:27]
.LBB486_715:
	s_or_b64 exec, exec, s[24:25]
	v_mov_b32_e32 v11, v12
.LBB486_716:
	s_or_b64 exec, exec, s[14:15]
	v_lshrrev_b16_e32 v12, 8, v10
	v_cmp_ne_u16_e64 s[12:13], 0, v12
	v_mov_b32_e32 v17, 0
	v_mov_b32_e32 v18, 0
	s_and_saveexec_b64 s[14:15], s[12:13]
	s_cbranch_execz .LBB486_722
; %bb.717:
	s_movk_i32 s12, 0x80
	v_cmp_ne_u16_e64 s[12:13], s12, v12
	v_bfrev_b32_e32 v18, 1
	s_and_saveexec_b64 s[24:25], s[12:13]
	s_cbranch_execz .LBB486_721
; %bb.718:
	s_movk_i32 s12, 0x7f
	v_and_b32_e32 v19, 0x7f, v12
	v_cmp_ne_u32_e64 s[12:13], s12, v19
	v_mov_b32_e32 v18, 0x7f800001
	s_and_saveexec_b64 s[26:27], s[12:13]
	s_cbranch_execz .LBB486_720
; %bb.719:
	v_and_b32_e32 v18, 7, v12
	v_ffbh_u32_e32 v20, v18
	v_min_u32_e32 v23, 32, v20
	v_subrev_u32_e32 v20, 28, v23
	v_lshlrev_b64 v[20:21], v20, v[12:13]
	v_lshrrev_b32_e32 v22, 3, v19
	v_sub_u32_e32 v12, 29, v23
	v_and_b32_e32 v20, 7, v20
	v_cmp_gt_u32_e64 s[12:13], 8, v19
	v_cndmask_b32_e64 v12, v22, v12, s[12:13]
	v_cndmask_b32_e64 v18, v18, v20, s[12:13]
	v_lshlrev_b32_e32 v10, 16, v10
	v_bfrev_b32_e32 v19, 60
	v_lshlrev_b32_e32 v18, 20, v18
	v_and_b32_e32 v10, 0x80000000, v10
	v_lshl_add_u32 v12, v12, 23, v19
	v_or3_b32 v18, v10, v12, v18
.LBB486_720:
	s_or_b64 exec, exec, s[26:27]
.LBB486_721:
	s_or_b64 exec, exec, s[24:25]
.LBB486_722:
	s_or_b64 exec, exec, s[14:15]
	s_movk_i32 s12, 0xff
	v_and_b32_sdwa v12, v7, s12 dst_sel:DWORD dst_unused:UNUSED_PAD src0_sel:WORD_1 src1_sel:DWORD
	v_lshrrev_b32_e32 v10, 16, v7
	v_cmp_ne_u16_e64 s[12:13], 0, v12
	s_and_saveexec_b64 s[14:15], s[12:13]
	s_cbranch_execz .LBB486_728
; %bb.723:
	s_movk_i32 s12, 0x80
	v_cmp_ne_u16_e64 s[12:13], s12, v12
	v_bfrev_b32_e32 v17, 1
	s_and_saveexec_b64 s[24:25], s[12:13]
	s_cbranch_execz .LBB486_727
; %bb.724:
	v_bfe_u32 v12, v7, 16, 7
	s_movk_i32 s12, 0x7f
	v_cmp_ne_u32_e64 s[12:13], s12, v12
	v_mov_b32_e32 v17, 0x7f800001
	s_and_saveexec_b64 s[26:27], s[12:13]
	s_cbranch_execz .LBB486_726
; %bb.725:
	v_and_b32_e32 v17, 7, v10
	v_ffbh_u32_e32 v20, v17
	v_min_u32_e32 v22, 32, v20
	v_subrev_u32_e32 v20, 28, v22
	v_lshlrev_b64 v[20:21], v20, v[10:11]
	v_and_b32_e32 v20, 7, v20
	v_cmp_gt_u32_e64 s[12:13], 8, v12
	v_lshrrev_b32_e32 v19, 3, v12
	v_sub_u32_e32 v10, 29, v22
	v_cndmask_b32_e64 v12, v17, v20, s[12:13]
	v_mov_b32_e32 v17, 24
	v_cndmask_b32_e64 v10, v19, v10, s[12:13]
	v_lshlrev_b32_sdwa v17, v17, v7 dst_sel:DWORD dst_unused:UNUSED_PAD src0_sel:DWORD src1_sel:WORD_1
	v_bfrev_b32_e32 v19, 60
	v_lshlrev_b32_e32 v12, 20, v12
	v_and_b32_e32 v17, 0x80000000, v17
	v_lshl_add_u32 v10, v10, 23, v19
	v_or3_b32 v17, v17, v10, v12
.LBB486_726:
	s_or_b64 exec, exec, s[26:27]
.LBB486_727:
	s_or_b64 exec, exec, s[24:25]
.LBB486_728:
	s_or_b64 exec, exec, s[14:15]
	s_mov_b32 s12, -1
	s_mov_b32 s13, 0xffffff
	v_cmp_lt_u64_e64 s[12:13], s[12:13], v[6:7]
	v_mov_b32_e32 v12, 0
	v_mov_b32_e32 v10, 0
	s_and_saveexec_b64 s[14:15], s[12:13]
	s_cbranch_execz .LBB486_734
; %bb.729:
	v_lshrrev_b32_e32 v6, 24, v7
	s_movk_i32 s12, 0x80
	v_cmp_ne_u32_e64 s[12:13], s12, v6
	v_bfrev_b32_e32 v10, 1
	s_and_saveexec_b64 s[24:25], s[12:13]
	s_cbranch_execz .LBB486_733
; %bb.730:
	v_bfe_u32 v7, v7, 24, 7
	s_movk_i32 s12, 0x7f
	v_cmp_ne_u32_e64 s[12:13], s12, v7
	v_mov_b32_e32 v10, 0x7f800001
	s_and_saveexec_b64 s[26:27], s[12:13]
	s_cbranch_execz .LBB486_732
; %bb.731:
	v_and_b32_e32 v10, 7, v6
	v_ffbh_u32_e32 v20, v10
	v_min_u32_e32 v22, 32, v20
	v_subrev_u32_e32 v20, 28, v22
	v_lshlrev_b64 v[20:21], v20, v[6:7]
	v_lshrrev_b32_e32 v19, 3, v7
	v_sub_u32_e32 v21, 29, v22
	v_and_b32_e32 v20, 7, v20
	v_cmp_gt_u32_e64 s[12:13], 8, v7
	v_cndmask_b32_e64 v7, v19, v21, s[12:13]
	v_cndmask_b32_e64 v10, v10, v20, s[12:13]
	v_lshlrev_b32_e32 v6, 24, v6
	v_bfrev_b32_e32 v19, 60
	v_lshlrev_b32_e32 v10, 20, v10
	v_and_b32_e32 v6, 0x80000000, v6
	v_lshl_add_u32 v7, v7, 23, v19
	v_or3_b32 v10, v6, v7, v10
.LBB486_732:
	s_or_b64 exec, exec, s[26:27]
.LBB486_733:
	s_or_b64 exec, exec, s[24:25]
.LBB486_734:
	s_or_b64 exec, exec, s[14:15]
	v_cvt_pkrtz_f16_f32 v6, v14, v15
	v_cvt_pkrtz_f16_f32 v7, v13, v16
	;; [unrolled: 1-line block ×4, first 2 shown]
	v_mfma_f32_4x4x4f16 a[0:3], v[2:3], v[6:7], a[0:3] cbsz:4 abid:14
	v_cmp_ne_u16_sdwa s[12:13], v8, v12 src0_sel:BYTE_0 src1_sel:DWORD
	v_mfma_f32_4x4x4f16 a[0:3], v[4:5], v[14:15], a[0:3] cbsz:4 abid:14
	s_and_saveexec_b64 s[14:15], s[12:13]
	s_cbranch_execz .LBB486_740
; %bb.735:
	s_movk_i32 s12, 0x80
	v_cmp_ne_u16_sdwa s[12:13], v8, s12 src0_sel:BYTE_0 src1_sel:DWORD
	v_bfrev_b32_e32 v12, 1
	s_and_saveexec_b64 s[24:25], s[12:13]
	s_cbranch_execz .LBB486_739
; %bb.736:
	s_movk_i32 s12, 0x7f
	v_and_b32_e32 v6, 0x7f, v8
	v_cmp_ne_u32_e64 s[12:13], s12, v6
	v_mov_b32_e32 v12, 0x7f800001
	s_and_saveexec_b64 s[26:27], s[12:13]
	s_cbranch_execz .LBB486_738
; %bb.737:
	v_and_b32_e32 v7, 7, v8
	v_ffbh_u32_e32 v7, v7
	v_min_u32_e32 v7, 32, v7
	v_subrev_u32_e32 v11, 28, v7
	v_cmp_gt_u32_e64 s[12:13], 8, v6
	v_lshrrev_b32_e32 v10, 3, v6
	v_sub_u32_e32 v7, 29, v7
	v_cndmask_b32_e64 v6, 0, v11, s[12:13]
	v_cndmask_b32_e64 v10, v10, v7, s[12:13]
	v_lshlrev_b64 v[6:7], v6, v[8:9]
	v_lshlrev_b32_e32 v6, 20, v6
	v_lshlrev_b32_e32 v7, 24, v8
	v_bfrev_b32_e32 v11, 60
	v_and_b32_e32 v6, 0x700000, v6
	v_and_b32_e32 v7, 0x80000000, v7
	v_lshl_add_u32 v10, v10, 23, v11
	v_or3_b32 v12, v7, v10, v6
.LBB486_738:
	s_or_b64 exec, exec, s[26:27]
.LBB486_739:
	s_or_b64 exec, exec, s[24:25]
.LBB486_740:
	s_or_b64 exec, exec, s[14:15]
	v_lshrrev_b16_e32 v6, 8, v8
	v_cmp_ne_u16_e64 s[12:13], 0, v6
	v_mov_b32_e32 v11, 0
	v_mov_b32_e32 v13, 0
	s_and_saveexec_b64 s[14:15], s[12:13]
	s_cbranch_execz .LBB486_746
; %bb.741:
	s_movk_i32 s12, 0x80
	v_cmp_ne_u16_e64 s[12:13], s12, v6
	v_bfrev_b32_e32 v13, 1
	s_and_saveexec_b64 s[24:25], s[12:13]
	s_cbranch_execz .LBB486_745
; %bb.742:
	s_movk_i32 s12, 0x7f
	v_and_b32_e32 v7, 0x7f, v6
	v_cmp_ne_u32_e64 s[12:13], s12, v7
	v_mov_b32_e32 v13, 0x7f800001
	s_and_saveexec_b64 s[26:27], s[12:13]
	s_cbranch_execz .LBB486_744
; %bb.743:
	v_and_b32_e32 v10, 7, v6
	v_ffbh_u32_e32 v14, v10
	v_min_u32_e32 v16, 32, v14
	v_subrev_u32_e32 v14, 28, v16
	v_lshlrev_b64 v[14:15], v14, v[6:7]
	v_lshrrev_b32_e32 v13, 3, v7
	v_sub_u32_e32 v6, 29, v16
	v_and_b32_e32 v14, 7, v14
	v_cmp_gt_u32_e64 s[12:13], 8, v7
	v_cndmask_b32_e64 v6, v13, v6, s[12:13]
	v_cndmask_b32_e64 v7, v10, v14, s[12:13]
	v_lshlrev_b32_e32 v10, 16, v8
	v_bfrev_b32_e32 v13, 60
	v_lshlrev_b32_e32 v7, 20, v7
	v_and_b32_e32 v10, 0x80000000, v10
	v_lshl_add_u32 v6, v6, 23, v13
	v_or3_b32 v13, v10, v6, v7
.LBB486_744:
	s_or_b64 exec, exec, s[26:27]
.LBB486_745:
	s_or_b64 exec, exec, s[24:25]
.LBB486_746:
	s_or_b64 exec, exec, s[14:15]
	s_movk_i32 s12, 0xff
	v_and_b32_sdwa v7, v8, s12 dst_sel:DWORD dst_unused:UNUSED_PAD src0_sel:WORD_1 src1_sel:DWORD
	v_lshrrev_b32_e32 v6, 16, v8
	v_cmp_ne_u16_e64 s[12:13], 0, v7
	s_and_saveexec_b64 s[14:15], s[12:13]
	s_cbranch_execz .LBB486_752
; %bb.747:
	s_movk_i32 s12, 0x80
	v_cmp_ne_u16_e64 s[12:13], s12, v7
	v_bfrev_b32_e32 v11, 1
	s_and_saveexec_b64 s[24:25], s[12:13]
	s_cbranch_execz .LBB486_751
; %bb.748:
	v_bfe_u32 v7, v8, 16, 7
	s_movk_i32 s12, 0x7f
	v_cmp_ne_u32_e64 s[12:13], s12, v7
	v_mov_b32_e32 v11, 0x7f800001
	s_and_saveexec_b64 s[26:27], s[12:13]
	s_cbranch_execz .LBB486_750
; %bb.749:
	v_and_b32_e32 v14, 7, v6
	v_ffbh_u32_e32 v10, v14
	v_min_u32_e32 v16, 32, v10
	v_subrev_u32_e32 v10, 28, v16
	v_lshlrev_b64 v[10:11], v10, v[6:7]
	v_and_b32_e32 v10, 7, v10
	v_cmp_gt_u32_e64 s[12:13], 8, v7
	v_lshrrev_b32_e32 v15, 3, v7
	v_sub_u32_e32 v6, 29, v16
	v_cndmask_b32_e64 v7, v14, v10, s[12:13]
	v_mov_b32_e32 v10, 24
	v_cndmask_b32_e64 v6, v15, v6, s[12:13]
	v_lshlrev_b32_sdwa v10, v10, v8 dst_sel:DWORD dst_unused:UNUSED_PAD src0_sel:DWORD src1_sel:WORD_1
	v_bfrev_b32_e32 v11, 60
	v_lshlrev_b32_e32 v7, 20, v7
	v_and_b32_e32 v10, 0x80000000, v10
	v_lshl_add_u32 v6, v6, 23, v11
	v_or3_b32 v11, v10, v6, v7
.LBB486_750:
	s_or_b64 exec, exec, s[26:27]
.LBB486_751:
	s_or_b64 exec, exec, s[24:25]
.LBB486_752:
	s_or_b64 exec, exec, s[14:15]
	s_mov_b32 s12, 0xffffff
	v_cmp_lt_u32_e64 s[12:13], s12, v8
	v_mov_b32_e32 v7, 0
	v_mov_b32_e32 v14, 0
	s_and_saveexec_b64 s[14:15], s[12:13]
	s_cbranch_execz .LBB486_758
; %bb.753:
	v_lshrrev_b32_e32 v6, 24, v8
	s_movk_i32 s12, 0x80
	v_cmp_ne_u32_e64 s[12:13], s12, v6
	v_bfrev_b32_e32 v14, 1
	s_and_saveexec_b64 s[24:25], s[12:13]
	s_cbranch_execz .LBB486_757
; %bb.754:
	v_bfe_u32 v10, v8, 24, 7
	s_movk_i32 s12, 0x7f
	v_cmp_ne_u32_e64 s[12:13], s12, v10
	v_mov_b32_e32 v14, 0x7f800001
	s_and_saveexec_b64 s[26:27], s[12:13]
	s_cbranch_execz .LBB486_756
; %bb.755:
	v_and_b32_e32 v16, 7, v6
	v_ffbh_u32_e32 v14, v16
	v_min_u32_e32 v18, 32, v14
	v_subrev_u32_e32 v14, 28, v18
	v_lshlrev_b64 v[14:15], v14, v[6:7]
	v_lshrrev_b32_e32 v17, 3, v10
	v_sub_u32_e32 v15, 29, v18
	v_and_b32_e32 v14, 7, v14
	v_cmp_gt_u32_e64 s[12:13], 8, v10
	v_cndmask_b32_e64 v10, v17, v15, s[12:13]
	v_cndmask_b32_e64 v14, v16, v14, s[12:13]
	v_lshlrev_b32_e32 v6, 24, v6
	v_bfrev_b32_e32 v15, 60
	v_lshlrev_b32_e32 v14, 20, v14
	v_and_b32_e32 v6, 0x80000000, v6
	v_lshl_add_u32 v10, v10, 23, v15
	v_or3_b32 v14, v6, v10, v14
.LBB486_756:
	s_or_b64 exec, exec, s[26:27]
.LBB486_757:
	s_or_b64 exec, exec, s[24:25]
.LBB486_758:
	s_or_b64 exec, exec, s[14:15]
	v_mov_b32_e32 v6, v9
	v_cmp_ne_u16_sdwa s[12:13], v9, v7 src0_sel:BYTE_0 src1_sel:DWORD
	s_and_saveexec_b64 s[14:15], s[12:13]
	s_cbranch_execz .LBB486_764
; %bb.759:
	s_movk_i32 s12, 0x80
	v_cmp_ne_u16_sdwa s[12:13], v9, s12 src0_sel:BYTE_0 src1_sel:DWORD
	v_bfrev_b32_e32 v10, 1
	s_and_saveexec_b64 s[24:25], s[12:13]
	s_cbranch_execz .LBB486_763
; %bb.760:
	s_movk_i32 s12, 0x7f
	v_and_b32_e32 v15, 0x7f, v9
	v_cmp_ne_u32_e64 s[12:13], s12, v15
	v_mov_b32_e32 v10, 0x7f800001
	s_and_saveexec_b64 s[26:27], s[12:13]
	s_cbranch_execz .LBB486_762
; %bb.761:
	v_and_b32_e32 v10, 7, v9
	v_ffbh_u32_e32 v10, v10
	v_min_u32_e32 v10, 32, v10
	v_subrev_u32_e32 v17, 28, v10
	v_cmp_gt_u32_e64 s[12:13], 8, v15
	v_lshrrev_b32_e32 v16, 3, v15
	v_sub_u32_e32 v10, 29, v10
	v_cndmask_b32_e64 v15, 0, v17, s[12:13]
	v_cndmask_b32_e64 v10, v16, v10, s[12:13]
	v_lshlrev_b64 v[16:17], v15, v[6:7]
	v_lshlrev_b32_e32 v7, 20, v16
	v_lshlrev_b32_e32 v15, 24, v6
	v_bfrev_b32_e32 v16, 60
	v_and_b32_e32 v7, 0x700000, v7
	v_and_b32_e32 v15, 0x80000000, v15
	v_lshl_add_u32 v10, v10, 23, v16
	v_or3_b32 v10, v15, v10, v7
.LBB486_762:
	s_or_b64 exec, exec, s[26:27]
.LBB486_763:
	s_or_b64 exec, exec, s[24:25]
	v_mov_b32_e32 v7, v10
.LBB486_764:
	s_or_b64 exec, exec, s[14:15]
	v_lshrrev_b16_e32 v10, 8, v6
	v_cmp_ne_u16_e64 s[12:13], 0, v10
	v_mov_b32_e32 v15, 0
	v_mov_b32_e32 v16, 0
	s_and_saveexec_b64 s[14:15], s[12:13]
	s_cbranch_execz .LBB486_770
; %bb.765:
	s_movk_i32 s12, 0x80
	v_cmp_ne_u16_e64 s[12:13], s12, v10
	v_bfrev_b32_e32 v16, 1
	s_and_saveexec_b64 s[24:25], s[12:13]
	s_cbranch_execz .LBB486_769
; %bb.766:
	s_movk_i32 s12, 0x7f
	v_and_b32_e32 v17, 0x7f, v10
	v_cmp_ne_u32_e64 s[12:13], s12, v17
	v_mov_b32_e32 v16, 0x7f800001
	s_and_saveexec_b64 s[26:27], s[12:13]
	s_cbranch_execz .LBB486_768
; %bb.767:
	v_and_b32_e32 v16, 7, v10
	v_ffbh_u32_e32 v18, v16
	v_min_u32_e32 v21, 32, v18
	v_subrev_u32_e32 v18, 28, v21
	v_lshlrev_b64 v[18:19], v18, v[10:11]
	v_lshrrev_b32_e32 v20, 3, v17
	v_sub_u32_e32 v10, 29, v21
	v_and_b32_e32 v18, 7, v18
	v_cmp_gt_u32_e64 s[12:13], 8, v17
	v_cndmask_b32_e64 v10, v20, v10, s[12:13]
	v_cndmask_b32_e64 v16, v16, v18, s[12:13]
	v_lshlrev_b32_e32 v6, 16, v6
	v_bfrev_b32_e32 v17, 60
	v_lshlrev_b32_e32 v16, 20, v16
	v_and_b32_e32 v6, 0x80000000, v6
	v_lshl_add_u32 v10, v10, 23, v17
	v_or3_b32 v16, v6, v10, v16
.LBB486_768:
	s_or_b64 exec, exec, s[26:27]
.LBB486_769:
	s_or_b64 exec, exec, s[24:25]
.LBB486_770:
	s_or_b64 exec, exec, s[14:15]
	s_movk_i32 s12, 0xff
	v_and_b32_sdwa v10, v9, s12 dst_sel:DWORD dst_unused:UNUSED_PAD src0_sel:WORD_1 src1_sel:DWORD
	v_lshrrev_b32_e32 v6, 16, v9
	v_cmp_ne_u16_e64 s[12:13], 0, v10
	s_and_saveexec_b64 s[14:15], s[12:13]
	s_cbranch_execz .LBB486_776
; %bb.771:
	s_movk_i32 s12, 0x80
	v_cmp_ne_u16_e64 s[12:13], s12, v10
	v_bfrev_b32_e32 v15, 1
	s_and_saveexec_b64 s[24:25], s[12:13]
	s_cbranch_execz .LBB486_775
; %bb.772:
	v_bfe_u32 v10, v9, 16, 7
	s_movk_i32 s12, 0x7f
	v_cmp_ne_u32_e64 s[12:13], s12, v10
	v_mov_b32_e32 v15, 0x7f800001
	s_and_saveexec_b64 s[26:27], s[12:13]
	s_cbranch_execz .LBB486_774
; %bb.773:
	v_and_b32_e32 v15, 7, v6
	v_ffbh_u32_e32 v18, v15
	v_min_u32_e32 v20, 32, v18
	v_subrev_u32_e32 v18, 28, v20
	v_lshlrev_b64 v[18:19], v18, v[6:7]
	v_and_b32_e32 v18, 7, v18
	v_cmp_gt_u32_e64 s[12:13], 8, v10
	v_lshrrev_b32_e32 v17, 3, v10
	v_sub_u32_e32 v6, 29, v20
	v_cndmask_b32_e64 v10, v15, v18, s[12:13]
	v_mov_b32_e32 v15, 24
	v_cndmask_b32_e64 v6, v17, v6, s[12:13]
	v_lshlrev_b32_sdwa v15, v15, v9 dst_sel:DWORD dst_unused:UNUSED_PAD src0_sel:DWORD src1_sel:WORD_1
	v_bfrev_b32_e32 v17, 60
	v_lshlrev_b32_e32 v10, 20, v10
	v_and_b32_e32 v15, 0x80000000, v15
	v_lshl_add_u32 v6, v6, 23, v17
	v_or3_b32 v15, v15, v6, v10
.LBB486_774:
	s_or_b64 exec, exec, s[26:27]
.LBB486_775:
	s_or_b64 exec, exec, s[24:25]
.LBB486_776:
	s_or_b64 exec, exec, s[14:15]
	s_mov_b32 s12, -1
	s_mov_b32 s13, 0xffffff
	v_cmp_lt_u64_e64 s[12:13], s[12:13], v[8:9]
	v_mov_b32_e32 v8, 0
	s_and_saveexec_b64 s[14:15], s[12:13]
	s_cbranch_execz .LBB486_782
; %bb.777:
	v_lshrrev_b32_e32 v6, 24, v9
	s_movk_i32 s12, 0x80
	v_cmp_ne_u32_e64 s[12:13], s12, v6
	v_bfrev_b32_e32 v8, 1
	s_and_saveexec_b64 s[24:25], s[12:13]
	s_cbranch_execz .LBB486_781
; %bb.778:
	v_bfe_u32 v9, v9, 24, 7
	s_movk_i32 s12, 0x7f
	v_cmp_ne_u32_e64 s[12:13], s12, v9
	v_mov_b32_e32 v8, 0x7f800001
	s_and_saveexec_b64 s[26:27], s[12:13]
	s_cbranch_execz .LBB486_780
; %bb.779:
	v_and_b32_e32 v8, 7, v6
	v_ffbh_u32_e32 v17, v8
	v_min_u32_e32 v17, 32, v17
	v_subrev_u32_e32 v18, 28, v17
	v_lshlrev_b64 v[18:19], v18, v[6:7]
	v_lshrrev_b32_e32 v10, 3, v9
	v_sub_u32_e32 v17, 29, v17
	v_and_b32_e32 v18, 7, v18
	v_cmp_gt_u32_e64 s[12:13], 8, v9
	v_cndmask_b32_e64 v9, v10, v17, s[12:13]
	v_cndmask_b32_e64 v8, v8, v18, s[12:13]
	v_lshlrev_b32_e32 v6, 24, v6
	v_bfrev_b32_e32 v10, 60
	v_lshlrev_b32_e32 v8, 20, v8
	v_and_b32_e32 v6, 0x80000000, v6
	v_lshl_add_u32 v9, v9, 23, v10
	v_or3_b32 v8, v6, v9, v8
.LBB486_780:
	s_or_b64 exec, exec, s[26:27]
.LBB486_781:
	s_or_b64 exec, exec, s[24:25]
.LBB486_782:
	s_or_b64 exec, exec, s[14:15]
	s_load_dword s4, s[4:5], 0x1c
	v_cvt_pkrtz_f16_f32 v10, v12, v13
	v_cvt_pkrtz_f16_f32 v11, v11, v14
	s_load_dword s5, s[16:17], 0x0
	v_cvt_pkrtz_f16_f32 v6, v7, v16
	v_mfma_f32_4x4x4f16 a[0:3], v[2:3], v[10:11], a[0:3] cbsz:4 abid:15
	v_cvt_pkrtz_f16_f32 v7, v15, v8
	s_waitcnt lgkmcnt(0)
	v_mov_b32_e32 v2, s4
	v_mul_f32_e32 v2, s5, v2
	v_mfma_f32_4x4x4f16 a[0:3], v[4:5], v[6:7], a[0:3] cbsz:4 abid:15
	s_nop 4
	v_accvgpr_read_b32 v5, a1
	v_accvgpr_read_b32 v4, a0
	v_pk_mul_f32 v[4:5], v[4:5], v[2:3] op_sel_hi:[1,0]
	v_accvgpr_read_b32 v7, a3
	v_accvgpr_read_b32 v6, a2
	v_pk_mul_f32 v[2:3], v[6:7], v[2:3] op_sel_hi:[1,0]
	v_cndmask_b32_e64 v6, 0, 1.0, vcc
	v_cmp_eq_u32_e32 vcc, 1, v43
	s_nop 0
	v_mfma_f32_4x4x1f32 a[0:3], v4, v6, 0
	v_cndmask_b32_e64 v4, 0, 1.0, vcc
	v_cmp_eq_u32_e32 vcc, 2, v43
	v_mov_b32_e32 v6, 0xff7fffff
	v_mfma_f32_4x4x1f32 a[0:3], v5, v4, a[0:3]
	v_cndmask_b32_e64 v4, 0, 1.0, vcc
	v_cmp_eq_u32_e32 vcc, 3, v43
	s_nop 0
	v_mfma_f32_4x4x1f32 a[0:3], v2, v4, a[0:3]
	v_cndmask_b32_e64 v2, 0, 1.0, vcc
	s_nop 1
	v_mfma_f32_4x4x1f32 a[0:3], v3, v2, a[0:3]
	v_and_b32_e32 v2, -4, v44
	v_cmp_gt_i32_e32 vcc, s9, v2
	v_lshlrev_b32_e32 v3, 2, v0
	v_and_or_b32 v3, v3, 48, v43
	v_lshlrev_b32_e32 v10, 2, v3
	v_accvgpr_read_b32 v4, a0
	v_max_f32_e32 v5, v4, v4
	v_max_f32_e32 v5, 0xff7fffff, v5
	v_accvgpr_read_b32 v7, a1
	v_cndmask_b32_e32 v5, v6, v5, vcc
	v_or_b32_e32 v6, 1, v2
	v_max_f32_e32 v8, v7, v7
	v_max_f32_e32 v8, v5, v8
	v_cmp_gt_i32_e64 s[4:5], s9, v6
	v_cndmask_b32_e64 v5, v5, v8, s[4:5]
	v_accvgpr_read_b32 v8, a2
	v_or_b32_e32 v2, 2, v2
	v_max_f32_e32 v6, v8, v8
	v_max_f32_e32 v6, v5, v6
	v_cmp_gt_i32_e64 s[12:13], s9, v2
	v_accvgpr_read_b32 v9, a3
	v_cndmask_b32_e64 v2, v5, v6, s[12:13]
	v_or_b32_e32 v5, 3, v44
	v_max_f32_e32 v6, v9, v9
	v_max_f32_e32 v6, v2, v6
	v_cmp_gt_i32_e64 s[14:15], s9, v5
	v_cndmask_b32_e64 v2, v2, v6, s[14:15]
	;;#ASMSTART
	v_nop
 v_nop
 v_max_f32_dpp v2, v2, v2 row_ror:4
	;;#ASMEND
	;;#ASMSTART
	v_nop
 v_nop
 v_max_f32_dpp v2, v2, v2 row_ror:8
	;;#ASMEND
	ds_bpermute_b32 v2, v10, v2
	s_waitcnt lgkmcnt(0)
	;;#ASMSTART
	v_nop
 v_nop
 v_max_f32_dpp v2, v2, v2 row_ror:4
	;;#ASMEND
	;;#ASMSTART
	v_nop
 v_nop
 v_max_f32_dpp v6, v2, v2 row_ror:8
	;;#ASMEND
	v_sub_f32_e32 v2, v4, v6
	v_mul_f32_e32 v2, 0x3fb8aa3b, v2
	v_sub_f32_e32 v3, v7, v6
	v_exp_f32_e32 v2, v2
	v_mul_f32_e32 v3, 0x3fb8aa3b, v3
	v_sub_f32_e32 v5, v8, v6
	v_exp_f32_e32 v3, v3
	;; [unrolled: 3-line block ×3, first 2 shown]
	v_mul_f32_e32 v7, 0x3fb8aa3b, v7
	v_exp_f32_e32 v7, v7
	v_cndmask_b32_e32 v2, 0, v2, vcc
	v_add_f32_e32 v4, 0, v2
	v_cndmask_b32_e64 v3, 0, v3, s[4:5]
	v_add_f32_e32 v8, v4, v3
	v_cndmask_b32_e64 v4, 0, v5, s[12:13]
	;; [unrolled: 2-line block ×3, first 2 shown]
	v_add_f32_e32 v7, v8, v5
	;;#ASMSTART
	v_nop
 v_nop
 v_add_f32_dpp v7, v7, v7 row_ror:4
	;;#ASMEND
	;;#ASMSTART
	v_nop
 v_nop
 v_add_f32_dpp v7, v7, v7 row_ror:8
	;;#ASMEND
	ds_bpermute_b32 v7, v10, v7
	s_waitcnt lgkmcnt(0)
	;;#ASMSTART
	v_nop
 v_nop
 v_add_f32_dpp v7, v7, v7 row_ror:4
	;;#ASMEND
	v_cmp_gt_u32_e32 vcc, 4, v1
	;;#ASMSTART
	v_nop
 v_nop
 v_add_f32_dpp v7, v7, v7 row_ror:8
	;;#ASMEND
	s_and_saveexec_b64 s[4:5], vcc
	s_cbranch_execz .LBB486_784
; %bb.783:
	v_mul_u32_u24_e32 v8, 20, v42
	v_lshl_add_u32 v8, v43, 2, v8
	v_add_u32_e32 v8, 0x1400, v8
	ds_write2_b32 v8, v6, v7 offset1:20
.LBB486_784:
	s_or_b64 exec, exec, s[4:5]
.LBB486_785:
	s_or_b64 exec, exec, s[36:37]
	s_waitcnt lgkmcnt(0)
	s_barrier
	s_load_dword s4, s[34:35], 0x8
	v_lshlrev_b32_e32 v7, 2, v43
	v_add_u32_e32 v9, 0x1400, v7
	ds_read2_b32 v[10:11], v9 offset1:5
	ds_read2_b32 v[12:13], v9 offset0:10 offset1:15
	s_mul_i32 s5, s11, s8
	s_waitcnt lgkmcnt(0)
	s_mul_i32 s4, s5, s4
	s_mov_b32 s5, 0xff7fffff
	v_max3_f32 v7, v10, s5, v11
	v_max3_f32 v8, v7, v12, v13
	v_sub_f32_e32 v7, v10, v8
	v_sub_f32_e32 v10, v11, v8
	v_mul_f32_e32 v10, 0x3fb8aa3b, v10
	ds_read2_b32 v[14:15], v9 offset0:20 offset1:25
	v_mul_f32_e32 v7, 0x3fb8aa3b, v7
	v_exp_f32_e32 v17, v10
	ds_read2_b32 v[10:11], v9 offset0:30 offset1:35
	v_sub_f32_e32 v9, v12, v8
	v_exp_f32_e32 v16, v7
	v_mul_f32_e32 v9, 0x3fb8aa3b, v9
	v_exp_f32_e32 v12, v9
	v_sub_f32_e32 v9, v13, v8
	v_mul_f32_e32 v9, 0x3fb8aa3b, v9
	v_exp_f32_e32 v13, v9
	s_waitcnt lgkmcnt(1)
	v_fma_f32 v9, v16, v14, 0
	v_fmac_f32_e32 v9, v17, v15
	s_waitcnt lgkmcnt(0)
	v_fmac_f32_e32 v9, v12, v10
	v_mov_b32_e32 v7, 0
	v_fmac_f32_e32 v9, v13, v11
	s_mov_b32 s5, 0
	v_cmp_eq_u32_e32 vcc, 0, v43
	s_and_saveexec_b64 s[8:9], vcc
	s_cbranch_execz .LBB486_787
; %bb.786:
	s_lshl_b64 s[12:13], s[4:5], 2
	s_add_u32 s16, s20, s12
	s_mov_b32 s29, s5
	s_addc_u32 s17, s21, s13
	s_lshl_b64 s[14:15], s[28:29], 2
	s_add_u32 s16, s16, s14
	s_addc_u32 s17, s17, s15
	s_add_u32 s12, s22, s12
	s_addc_u32 s13, s23, s13
	;; [unrolled: 2-line block ×3, first 2 shown]
	s_mul_i32 s12, s11, s10
	s_mov_b32 s13, s5
	s_lshl_b64 s[12:13], s[12:13], 2
	s_add_u32 s14, s16, s12
	s_addc_u32 s15, s17, s13
	s_add_u32 s12, s20, s12
	s_addc_u32 s13, s21, s13
	global_store_dword v7, v8, s[12:13]
	global_store_dword v7, v9, s[14:15]
.LBB486_787:
	s_or_b64 exec, exec, s[8:9]
	v_lshlrev_b32_e32 v7, 3, v42
	s_and_saveexec_b64 s[8:9], s[6:7]
	s_xor_b64 s[6:7], exec, s[8:9]
	s_cbranch_execz .LBB486_789
; %bb.788:
	s_mov_b32 s8, 0
	s_mov_b32 s9, s8
	v_mad_u32_u24 v4, v1, 40, v7
	v_pk_mov_b32 v[2:3], s[8:9], s[8:9] op_sel:[0,1]
	ds_write2st64_b64 v4, v[2:3], v[2:3] offset1:5
                                        ; implicit-def: $vgpr7
                                        ; implicit-def: $vgpr6
                                        ; implicit-def: $vgpr8
                                        ; implicit-def: $vgpr9
                                        ; implicit-def: $vgpr4
                                        ; implicit-def: $vgpr2
.LBB486_789:
	s_andn2_saveexec_b64 s[6:7], s[6:7]
	s_cbranch_execz .LBB486_1176
; %bb.790:
	v_add_f32_e32 v9, 0x358637bd, v9
	v_div_scale_f32 v10, s[8:9], v9, v9, 1.0
	v_rcp_f32_e32 v11, v10
	v_sub_f32_e32 v6, v6, v8
	v_mul_f32_e32 v6, 0x3fb8aa3b, v6
	v_exp_f32_e32 v6, v6
	v_fma_f32 v8, -v10, v11, 1.0
	v_fmac_f32_e32 v11, v8, v11
	v_div_scale_f32 v8, vcc, 1.0, v9, 1.0
	v_mul_f32_e32 v12, v8, v11
	v_fma_f32 v13, -v10, v12, v8
	v_fmac_f32_e32 v12, v13, v11
	v_fma_f32 v8, -v10, v12, v8
	v_div_fmas_f32 v8, v8, v11, v12
	v_div_fixup_f32 v8, v8, v9, 1.0
	v_mul_f32_e32 v6, v6, v8
	v_pk_mul_f32 v[4:5], v[4:5], v[6:7] op_sel_hi:[1,0]
	v_pk_mul_f32 v[2:3], v[2:3], v[6:7] op_sel_hi:[1,0]
	s_load_dword s8, s[18:19], 0x0
	v_cvt_f16_f32_e32 v2, v2
	v_cvt_f16_f32_e32 v3, v3
	;; [unrolled: 1-line block ×4, first 2 shown]
	v_mov_b32_e32 v11, 0
	v_add_u32_e32 v5, 64, v11
	v_pack_b32_f16 v2, v2, v3
	v_pack_b32_f16 v3, v4, v6
	s_waitcnt lgkmcnt(0)
	s_mov_b32 s9, s8
	s_mov_b32 s12, s8
	;; [unrolled: 1-line block ×4, first 2 shown]
	s_mov_b64 s[14:15], -1
	s_movk_i32 s5, 0x80
	s_movk_i32 s23, 0x7f
	s_mov_b32 s24, 0xffffff
	v_mov_b32_e32 v9, 0
	v_bfrev_b32_e32 v10, 60
	s_branch .LBB486_794
.LBB486_791:                            ;   in Loop: Header=BB486_794 Depth=1
	s_or_b64 exec, exec, s[20:21]
.LBB486_792:                            ;   in Loop: Header=BB486_794 Depth=1
	s_or_b64 exec, exec, s[18:19]
.LBB486_793:                            ;   in Loop: Header=BB486_794 Depth=1
	s_or_b64 exec, exec, s[16:17]
	v_cvt_pkrtz_f16_f32 v12, v13, v12
	v_cvt_pkrtz_f16_f32 v13, v11, v15
	;; [unrolled: 1-line block ×4, first 2 shown]
	v_mfma_f32_4x4x4f16 a[0:3], v[2:3], v[12:13], a[0:3] cbsz:4 abid:14
	s_mul_i32 s16, s22, 0xa00
	v_mfma_f32_4x4x4f16 a[0:3], v[2:3], v[14:15], a[0:3] cbsz:4 abid:15
	s_mov_b32 s22, 1
	s_nop 3
	v_accvgpr_read_b32 v15, a1
	v_accvgpr_read_b32 v14, a0
	v_pk_mul_f32 v[14:15], v[14:15], s[8:9]
	v_accvgpr_read_b32 v13, a3
	v_accvgpr_read_b32 v12, a2
	v_cvt_f16_f32_e32 v4, v14
	v_cvt_f16_f32_e32 v6, v15
	v_pk_mul_f32 v[12:13], v[12:13], s[12:13]
	v_cvt_f16_f32_e32 v8, v12
	v_cvt_f16_f32_e32 v11, v13
	v_pack_b32_f16 v12, v4, v6
	v_mul_u32_u24_e32 v4, 40, v1
	v_add3_u32 v4, s16, v4, v7
	s_xor_b64 s[16:17], s[14:15], -1
	v_pack_b32_f16 v13, v8, v11
	s_mov_b64 s[14:15], 0
	s_andn2_b64 vcc, exec, s[16:17]
	v_mov_b32_e32 v11, v5
	ds_write_b64 v4, v[12:13]
	s_cbranch_vccz .LBB486_1176
.LBB486_794:                            ; =>This Inner Loop Header: Depth=1
	buffer_load_dword v6, v11, s[0:3], 0 offen
	buffer_load_dword v4, v11, s[0:3], 0 offen offset:4
	v_mov_b32_e32 v13, 0
	s_waitcnt vmcnt(1)
	v_cmp_ne_u16_sdwa s[18:19], v6, v9 src0_sel:BYTE_0 src1_sel:DWORD
	s_and_saveexec_b64 s[16:17], s[18:19]
	s_cbranch_execz .LBB486_800
; %bb.795:                              ;   in Loop: Header=BB486_794 Depth=1
	v_cmp_ne_u16_sdwa s[20:21], v6, s5 src0_sel:BYTE_0 src1_sel:DWORD
	v_bfrev_b32_e32 v13, 1
	s_and_saveexec_b64 s[18:19], s[20:21]
	s_cbranch_execz .LBB486_799
; %bb.796:                              ;   in Loop: Header=BB486_794 Depth=1
	v_and_b32_e32 v8, 0x7f, v6
	v_cmp_ne_u32_e32 vcc, s23, v8
	v_mov_b32_e32 v13, 0x7f800001
	s_and_saveexec_b64 s[20:21], vcc
	s_cbranch_execz .LBB486_798
; %bb.797:                              ;   in Loop: Header=BB486_794 Depth=1
	v_and_b32_e32 v14, 7, v6
	v_ffbh_u32_e32 v12, v14
	v_min_u32_e32 v16, 32, v12
	v_subrev_u32_e32 v12, 28, v16
	v_lshlrev_b64 v[12:13], v12, v[6:7]
	v_lshrrev_b32_e32 v15, 3, v8
	v_sub_u32_e32 v13, 29, v16
	v_and_b32_e32 v12, 7, v12
	v_cmp_gt_u32_e32 vcc, 8, v8
	v_cndmask_b32_e32 v8, v15, v13, vcc
	v_cndmask_b32_e32 v12, v14, v12, vcc
	v_lshlrev_b32_e32 v13, 24, v6
	v_lshlrev_b32_e32 v12, 20, v12
	v_and_b32_e32 v13, 0x80000000, v13
	v_lshl_add_u32 v8, v8, 23, v10
	v_or3_b32 v13, v13, v8, v12
.LBB486_798:                            ;   in Loop: Header=BB486_794 Depth=1
	s_or_b64 exec, exec, s[20:21]
.LBB486_799:                            ;   in Loop: Header=BB486_794 Depth=1
	s_or_b64 exec, exec, s[18:19]
.LBB486_800:                            ;   in Loop: Header=BB486_794 Depth=1
	s_or_b64 exec, exec, s[16:17]
	v_lshrrev_b16_e32 v8, 8, v6
	v_cmp_ne_u16_e32 vcc, 0, v8
	v_mov_b32_e32 v14, 0
	v_mov_b32_e32 v15, 0
	s_and_saveexec_b64 s[16:17], vcc
	s_cbranch_execz .LBB486_806
; %bb.801:                              ;   in Loop: Header=BB486_794 Depth=1
	v_cmp_ne_u16_e32 vcc, s5, v8
	v_bfrev_b32_e32 v15, 1
	s_and_saveexec_b64 s[18:19], vcc
	s_cbranch_execz .LBB486_805
; %bb.802:                              ;   in Loop: Header=BB486_794 Depth=1
	v_and_b32_e32 v12, 0x7f, v8
	v_cmp_ne_u32_e32 vcc, s23, v12
	v_mov_b32_e32 v15, 0x7f800001
	s_and_saveexec_b64 s[20:21], vcc
	s_cbranch_execz .LBB486_804
; %bb.803:                              ;   in Loop: Header=BB486_794 Depth=1
	v_and_b32_e32 v15, 7, v8
	v_ffbh_u32_e32 v16, v15
	v_min_u32_e32 v19, 32, v16
	v_subrev_u32_e32 v16, 28, v19
	v_lshlrev_b64 v[16:17], v16, v[8:9]
	v_lshrrev_b32_e32 v18, 3, v12
	v_sub_u32_e32 v8, 29, v19
	v_and_b32_e32 v16, 7, v16
	v_cmp_gt_u32_e32 vcc, 8, v12
	v_cndmask_b32_e32 v8, v18, v8, vcc
	v_cndmask_b32_e32 v12, v15, v16, vcc
	v_lshlrev_b32_e32 v15, 16, v6
	v_lshlrev_b32_e32 v12, 20, v12
	v_and_b32_e32 v15, 0x80000000, v15
	v_lshl_add_u32 v8, v8, 23, v10
	v_or3_b32 v15, v15, v8, v12
.LBB486_804:                            ;   in Loop: Header=BB486_794 Depth=1
	s_or_b64 exec, exec, s[20:21]
.LBB486_805:                            ;   in Loop: Header=BB486_794 Depth=1
	s_or_b64 exec, exec, s[18:19]
.LBB486_806:                            ;   in Loop: Header=BB486_794 Depth=1
	s_or_b64 exec, exec, s[16:17]
	v_lshrrev_b32_e32 v8, 16, v6
	v_cmp_ne_u16_sdwa s[18:19], v8, v9 src0_sel:BYTE_0 src1_sel:DWORD
	s_and_saveexec_b64 s[16:17], s[18:19]
	s_cbranch_execz .LBB486_812
; %bb.807:                              ;   in Loop: Header=BB486_794 Depth=1
	v_cmp_ne_u16_sdwa s[20:21], v8, s5 src0_sel:BYTE_0 src1_sel:DWORD
	v_bfrev_b32_e32 v14, 1
	s_and_saveexec_b64 s[18:19], s[20:21]
	s_cbranch_execz .LBB486_811
; %bb.808:                              ;   in Loop: Header=BB486_794 Depth=1
	v_bfe_u32 v12, v6, 16, 7
	v_cmp_ne_u32_e32 vcc, s23, v12
	v_mov_b32_e32 v14, 0x7f800001
	s_and_saveexec_b64 s[20:21], vcc
	s_cbranch_execz .LBB486_810
; %bb.809:                              ;   in Loop: Header=BB486_794 Depth=1
	v_and_b32_e32 v14, 7, v8
	v_ffbh_u32_e32 v16, v14
	v_min_u32_e32 v19, 32, v16
	v_subrev_u32_e32 v16, 28, v19
	v_lshlrev_b64 v[16:17], v16, v[8:9]
	v_lshrrev_b32_e32 v18, 3, v12
	v_sub_u32_e32 v17, 29, v19
	v_and_b32_e32 v16, 7, v16
	v_cmp_gt_u32_e32 vcc, 8, v12
	v_cndmask_b32_e32 v12, v18, v17, vcc
	v_cndmask_b32_e32 v14, v14, v16, vcc
	v_lshlrev_b32_e32 v8, 24, v8
	v_lshlrev_b32_e32 v14, 20, v14
	v_and_b32_e32 v8, 0x80000000, v8
	v_lshl_add_u32 v12, v12, 23, v10
	v_or3_b32 v14, v8, v12, v14
.LBB486_810:                            ;   in Loop: Header=BB486_794 Depth=1
	s_or_b64 exec, exec, s[20:21]
.LBB486_811:                            ;   in Loop: Header=BB486_794 Depth=1
	s_or_b64 exec, exec, s[18:19]
.LBB486_812:                            ;   in Loop: Header=BB486_794 Depth=1
	s_or_b64 exec, exec, s[16:17]
	v_cmp_lt_u32_e32 vcc, s24, v6
	v_mov_b32_e32 v16, 0
	v_mov_b32_e32 v17, 0
	s_and_saveexec_b64 s[16:17], vcc
	s_cbranch_execz .LBB486_818
; %bb.813:                              ;   in Loop: Header=BB486_794 Depth=1
	v_lshrrev_b32_e32 v8, 24, v6
	v_cmp_ne_u32_e32 vcc, s5, v8
	v_bfrev_b32_e32 v17, 1
	s_and_saveexec_b64 s[18:19], vcc
	s_cbranch_execz .LBB486_817
; %bb.814:                              ;   in Loop: Header=BB486_794 Depth=1
	v_bfe_u32 v6, v6, 24, 7
	v_cmp_ne_u32_e32 vcc, s23, v6
	v_mov_b32_e32 v17, 0x7f800001
	s_and_saveexec_b64 s[20:21], vcc
	s_cbranch_execz .LBB486_816
; %bb.815:                              ;   in Loop: Header=BB486_794 Depth=1
	v_and_b32_e32 v12, 7, v8
	v_ffbh_u32_e32 v18, v12
	v_min_u32_e32 v20, 32, v18
	v_subrev_u32_e32 v18, 28, v20
	v_lshlrev_b64 v[18:19], v18, v[8:9]
	v_lshrrev_b32_e32 v17, 3, v6
	v_sub_u32_e32 v19, 29, v20
	v_and_b32_e32 v18, 7, v18
	v_cmp_gt_u32_e32 vcc, 8, v6
	v_cndmask_b32_e32 v6, v17, v19, vcc
	v_cndmask_b32_e32 v12, v12, v18, vcc
	v_lshlrev_b32_e32 v8, 24, v8
	v_lshlrev_b32_e32 v12, 20, v12
	v_and_b32_e32 v8, 0x80000000, v8
	v_lshl_add_u32 v6, v6, 23, v10
	v_or3_b32 v17, v8, v6, v12
.LBB486_816:                            ;   in Loop: Header=BB486_794 Depth=1
	s_or_b64 exec, exec, s[20:21]
.LBB486_817:                            ;   in Loop: Header=BB486_794 Depth=1
	s_or_b64 exec, exec, s[18:19]
.LBB486_818:                            ;   in Loop: Header=BB486_794 Depth=1
	s_or_b64 exec, exec, s[16:17]
	s_waitcnt vmcnt(0)
	v_cmp_ne_u16_sdwa s[18:19], v4, v9 src0_sel:BYTE_0 src1_sel:DWORD
	s_and_saveexec_b64 s[16:17], s[18:19]
	s_cbranch_execz .LBB486_824
; %bb.819:                              ;   in Loop: Header=BB486_794 Depth=1
	v_cmp_ne_u16_sdwa s[20:21], v4, s5 src0_sel:BYTE_0 src1_sel:DWORD
	v_bfrev_b32_e32 v16, 1
	s_and_saveexec_b64 s[18:19], s[20:21]
	s_cbranch_execz .LBB486_823
; %bb.820:                              ;   in Loop: Header=BB486_794 Depth=1
	v_and_b32_e32 v6, 0x7f, v4
	v_cmp_ne_u32_e32 vcc, s23, v6
	v_mov_b32_e32 v16, 0x7f800001
	s_and_saveexec_b64 s[20:21], vcc
	s_cbranch_execz .LBB486_822
; %bb.821:                              ;   in Loop: Header=BB486_794 Depth=1
	v_and_b32_e32 v8, 7, v4
	v_ffbh_u32_e32 v16, v8
	v_min_u32_e32 v16, 32, v16
	v_subrev_u32_e32 v18, 28, v16
	v_lshlrev_b64 v[18:19], v18, v[4:5]
	v_lshrrev_b32_e32 v12, 3, v6
	v_sub_u32_e32 v16, 29, v16
	v_and_b32_e32 v18, 7, v18
	v_cmp_gt_u32_e32 vcc, 8, v6
	v_cndmask_b32_e32 v6, v12, v16, vcc
	v_cndmask_b32_e32 v8, v8, v18, vcc
	v_lshlrev_b32_e32 v12, 24, v4
	v_lshlrev_b32_e32 v8, 20, v8
	v_and_b32_e32 v12, 0x80000000, v12
	v_lshl_add_u32 v6, v6, 23, v10
	v_or3_b32 v16, v12, v6, v8
.LBB486_822:                            ;   in Loop: Header=BB486_794 Depth=1
	s_or_b64 exec, exec, s[20:21]
.LBB486_823:                            ;   in Loop: Header=BB486_794 Depth=1
	s_or_b64 exec, exec, s[18:19]
.LBB486_824:                            ;   in Loop: Header=BB486_794 Depth=1
	s_or_b64 exec, exec, s[16:17]
	v_lshrrev_b16_e32 v6, 8, v4
	v_cmp_ne_u16_e32 vcc, 0, v6
	v_mov_b32_e32 v8, 0
	v_mov_b32_e32 v18, 0
	s_and_saveexec_b64 s[16:17], vcc
	s_cbranch_execz .LBB486_830
; %bb.825:                              ;   in Loop: Header=BB486_794 Depth=1
	v_cmp_ne_u16_e32 vcc, s5, v6
	v_bfrev_b32_e32 v18, 1
	s_and_saveexec_b64 s[18:19], vcc
	s_cbranch_execz .LBB486_829
; %bb.826:                              ;   in Loop: Header=BB486_794 Depth=1
	v_and_b32_e32 v12, 0x7f, v6
	v_cmp_ne_u32_e32 vcc, s23, v12
	v_mov_b32_e32 v18, 0x7f800001
	s_and_saveexec_b64 s[20:21], vcc
	s_cbranch_execz .LBB486_828
; %bb.827:                              ;   in Loop: Header=BB486_794 Depth=1
	v_and_b32_e32 v20, 7, v6
	v_ffbh_u32_e32 v18, v20
	v_min_u32_e32 v22, 32, v18
	v_subrev_u32_e32 v18, 28, v22
	v_lshlrev_b64 v[18:19], v18, v[6:7]
	v_lshrrev_b32_e32 v21, 3, v12
	v_sub_u32_e32 v6, 29, v22
	v_and_b32_e32 v18, 7, v18
	v_cmp_gt_u32_e32 vcc, 8, v12
	v_cndmask_b32_e32 v6, v21, v6, vcc
	v_cndmask_b32_e32 v12, v20, v18, vcc
	v_lshlrev_b32_e32 v18, 16, v4
	v_lshlrev_b32_e32 v12, 20, v12
	v_and_b32_e32 v18, 0x80000000, v18
	v_lshl_add_u32 v6, v6, 23, v10
	v_or3_b32 v18, v18, v6, v12
.LBB486_828:                            ;   in Loop: Header=BB486_794 Depth=1
	s_or_b64 exec, exec, s[20:21]
.LBB486_829:                            ;   in Loop: Header=BB486_794 Depth=1
	s_or_b64 exec, exec, s[18:19]
.LBB486_830:                            ;   in Loop: Header=BB486_794 Depth=1
	s_or_b64 exec, exec, s[16:17]
	v_lshrrev_b32_e32 v6, 16, v4
	v_cmp_ne_u16_sdwa s[18:19], v6, v9 src0_sel:BYTE_0 src1_sel:DWORD
	s_and_saveexec_b64 s[16:17], s[18:19]
	s_cbranch_execz .LBB486_836
; %bb.831:                              ;   in Loop: Header=BB486_794 Depth=1
	v_cmp_ne_u16_sdwa s[20:21], v6, s5 src0_sel:BYTE_0 src1_sel:DWORD
	v_bfrev_b32_e32 v8, 1
	s_and_saveexec_b64 s[18:19], s[20:21]
	s_cbranch_execz .LBB486_835
; %bb.832:                              ;   in Loop: Header=BB486_794 Depth=1
	v_bfe_u32 v12, v4, 16, 7
	v_cmp_ne_u32_e32 vcc, s23, v12
	v_mov_b32_e32 v8, 0x7f800001
	s_and_saveexec_b64 s[20:21], vcc
	s_cbranch_execz .LBB486_834
; %bb.833:                              ;   in Loop: Header=BB486_794 Depth=1
	v_and_b32_e32 v8, 7, v6
	v_ffbh_u32_e32 v20, v8
	v_min_u32_e32 v22, 32, v20
	v_subrev_u32_e32 v20, 28, v22
	v_lshlrev_b64 v[20:21], v20, v[6:7]
	v_lshrrev_b32_e32 v19, 3, v12
	v_sub_u32_e32 v21, 29, v22
	v_and_b32_e32 v20, 7, v20
	v_cmp_gt_u32_e32 vcc, 8, v12
	v_cndmask_b32_e32 v12, v19, v21, vcc
	v_cndmask_b32_e32 v8, v8, v20, vcc
	v_lshlrev_b32_e32 v6, 24, v6
	v_lshlrev_b32_e32 v8, 20, v8
	v_and_b32_e32 v6, 0x80000000, v6
	v_lshl_add_u32 v12, v12, 23, v10
	v_or3_b32 v8, v6, v12, v8
.LBB486_834:                            ;   in Loop: Header=BB486_794 Depth=1
	s_or_b64 exec, exec, s[20:21]
.LBB486_835:                            ;   in Loop: Header=BB486_794 Depth=1
	s_or_b64 exec, exec, s[18:19]
.LBB486_836:                            ;   in Loop: Header=BB486_794 Depth=1
	s_or_b64 exec, exec, s[16:17]
	v_cmp_lt_u32_e32 vcc, s24, v4
	v_mov_b32_e32 v12, 0
	v_mov_b32_e32 v19, 0
	s_and_saveexec_b64 s[16:17], vcc
	s_cbranch_execz .LBB486_842
; %bb.837:                              ;   in Loop: Header=BB486_794 Depth=1
	v_lshrrev_b32_e32 v6, 24, v4
	v_cmp_ne_u32_e32 vcc, s5, v6
	v_bfrev_b32_e32 v19, 1
	s_and_saveexec_b64 s[18:19], vcc
	s_cbranch_execz .LBB486_841
; %bb.838:                              ;   in Loop: Header=BB486_794 Depth=1
	v_bfe_u32 v4, v4, 24, 7
	v_cmp_ne_u32_e32 vcc, s23, v4
	v_mov_b32_e32 v19, 0x7f800001
	s_and_saveexec_b64 s[20:21], vcc
	s_cbranch_execz .LBB486_840
; %bb.839:                              ;   in Loop: Header=BB486_794 Depth=1
	v_and_b32_e32 v19, 7, v6
	v_ffbh_u32_e32 v20, v19
	v_min_u32_e32 v23, 32, v20
	v_subrev_u32_e32 v20, 28, v23
	v_lshlrev_b64 v[20:21], v20, v[6:7]
	v_lshrrev_b32_e32 v22, 3, v4
	v_sub_u32_e32 v21, 29, v23
	v_and_b32_e32 v20, 7, v20
	v_cmp_gt_u32_e32 vcc, 8, v4
	v_cndmask_b32_e32 v4, v22, v21, vcc
	v_cndmask_b32_e32 v19, v19, v20, vcc
	v_lshlrev_b32_e32 v6, 24, v6
	v_lshlrev_b32_e32 v19, 20, v19
	v_and_b32_e32 v6, 0x80000000, v6
	v_lshl_add_u32 v4, v4, 23, v10
	v_or3_b32 v19, v6, v4, v19
.LBB486_840:                            ;   in Loop: Header=BB486_794 Depth=1
	s_or_b64 exec, exec, s[20:21]
.LBB486_841:                            ;   in Loop: Header=BB486_794 Depth=1
	s_or_b64 exec, exec, s[18:19]
.LBB486_842:                            ;   in Loop: Header=BB486_794 Depth=1
	s_or_b64 exec, exec, s[16:17]
	buffer_load_dword v6, v11, s[0:3], 0 offen offset:8
	buffer_load_dword v4, v11, s[0:3], 0 offen offset:12
	v_cvt_pkrtz_f16_f32 v20, v13, v15
	v_cvt_pkrtz_f16_f32 v21, v14, v17
	;; [unrolled: 1-line block ×4, first 2 shown]
	v_mfma_f32_4x4x4f16 a[0:3], v[2:3], v[20:21], 0 cbsz:4
	s_waitcnt vmcnt(1)
	v_cmp_ne_u16_sdwa s[18:19], v6, v9 src0_sel:BYTE_0 src1_sel:DWORD
	v_mfma_f32_4x4x4f16 a[0:3], v[2:3], v[14:15], a[0:3] cbsz:4 abid:1
	s_and_saveexec_b64 s[16:17], s[18:19]
	s_cbranch_execz .LBB486_848
; %bb.843:                              ;   in Loop: Header=BB486_794 Depth=1
	v_cmp_ne_u16_sdwa s[20:21], v6, s5 src0_sel:BYTE_0 src1_sel:DWORD
	v_bfrev_b32_e32 v12, 1
	s_and_saveexec_b64 s[18:19], s[20:21]
	s_cbranch_execz .LBB486_847
; %bb.844:                              ;   in Loop: Header=BB486_794 Depth=1
	v_and_b32_e32 v8, 0x7f, v6
	v_cmp_ne_u32_e32 vcc, s23, v8
	v_mov_b32_e32 v12, 0x7f800001
	s_and_saveexec_b64 s[20:21], vcc
	s_cbranch_execz .LBB486_846
; %bb.845:                              ;   in Loop: Header=BB486_794 Depth=1
	v_and_b32_e32 v14, 7, v6
	v_ffbh_u32_e32 v12, v14
	v_min_u32_e32 v16, 32, v12
	v_subrev_u32_e32 v12, 28, v16
	v_lshlrev_b64 v[12:13], v12, v[6:7]
	v_lshrrev_b32_e32 v15, 3, v8
	v_sub_u32_e32 v13, 29, v16
	v_and_b32_e32 v12, 7, v12
	v_cmp_gt_u32_e32 vcc, 8, v8
	v_cndmask_b32_e32 v8, v15, v13, vcc
	v_cndmask_b32_e32 v12, v14, v12, vcc
	v_lshlrev_b32_e32 v13, 24, v6
	v_lshlrev_b32_e32 v12, 20, v12
	v_and_b32_e32 v13, 0x80000000, v13
	v_lshl_add_u32 v8, v8, 23, v10
	v_or3_b32 v12, v13, v8, v12
.LBB486_846:                            ;   in Loop: Header=BB486_794 Depth=1
	s_or_b64 exec, exec, s[20:21]
.LBB486_847:                            ;   in Loop: Header=BB486_794 Depth=1
	s_or_b64 exec, exec, s[18:19]
.LBB486_848:                            ;   in Loop: Header=BB486_794 Depth=1
	s_or_b64 exec, exec, s[16:17]
	v_lshrrev_b16_e32 v8, 8, v6
	v_cmp_ne_u16_e32 vcc, 0, v8
	v_mov_b32_e32 v14, 0
	v_mov_b32_e32 v15, 0
	s_and_saveexec_b64 s[16:17], vcc
	s_cbranch_execz .LBB486_854
; %bb.849:                              ;   in Loop: Header=BB486_794 Depth=1
	v_cmp_ne_u16_e32 vcc, s5, v8
	v_bfrev_b32_e32 v15, 1
	s_and_saveexec_b64 s[18:19], vcc
	s_cbranch_execz .LBB486_853
; %bb.850:                              ;   in Loop: Header=BB486_794 Depth=1
	v_and_b32_e32 v13, 0x7f, v8
	v_cmp_ne_u32_e32 vcc, s23, v13
	v_mov_b32_e32 v15, 0x7f800001
	s_and_saveexec_b64 s[20:21], vcc
	s_cbranch_execz .LBB486_852
; %bb.851:                              ;   in Loop: Header=BB486_794 Depth=1
	v_and_b32_e32 v15, 7, v8
	v_ffbh_u32_e32 v16, v15
	v_min_u32_e32 v19, 32, v16
	v_subrev_u32_e32 v16, 28, v19
	v_lshlrev_b64 v[16:17], v16, v[8:9]
	v_lshrrev_b32_e32 v18, 3, v13
	v_sub_u32_e32 v8, 29, v19
	v_and_b32_e32 v16, 7, v16
	v_cmp_gt_u32_e32 vcc, 8, v13
	v_cndmask_b32_e32 v8, v18, v8, vcc
	v_cndmask_b32_e32 v13, v15, v16, vcc
	v_lshlrev_b32_e32 v15, 16, v6
	v_lshlrev_b32_e32 v13, 20, v13
	v_and_b32_e32 v15, 0x80000000, v15
	v_lshl_add_u32 v8, v8, 23, v10
	v_or3_b32 v15, v15, v8, v13
.LBB486_852:                            ;   in Loop: Header=BB486_794 Depth=1
	s_or_b64 exec, exec, s[20:21]
.LBB486_853:                            ;   in Loop: Header=BB486_794 Depth=1
	s_or_b64 exec, exec, s[18:19]
.LBB486_854:                            ;   in Loop: Header=BB486_794 Depth=1
	s_or_b64 exec, exec, s[16:17]
	v_lshrrev_b32_e32 v8, 16, v6
	v_cmp_ne_u16_sdwa s[18:19], v8, v9 src0_sel:BYTE_0 src1_sel:DWORD
	s_and_saveexec_b64 s[16:17], s[18:19]
	s_cbranch_execz .LBB486_860
; %bb.855:                              ;   in Loop: Header=BB486_794 Depth=1
	v_cmp_ne_u16_sdwa s[20:21], v8, s5 src0_sel:BYTE_0 src1_sel:DWORD
	v_bfrev_b32_e32 v14, 1
	s_and_saveexec_b64 s[18:19], s[20:21]
	s_cbranch_execz .LBB486_859
; %bb.856:                              ;   in Loop: Header=BB486_794 Depth=1
	v_bfe_u32 v13, v6, 16, 7
	v_cmp_ne_u32_e32 vcc, s23, v13
	v_mov_b32_e32 v14, 0x7f800001
	s_and_saveexec_b64 s[20:21], vcc
	s_cbranch_execz .LBB486_858
; %bb.857:                              ;   in Loop: Header=BB486_794 Depth=1
	v_and_b32_e32 v14, 7, v8
	v_ffbh_u32_e32 v16, v14
	v_min_u32_e32 v19, 32, v16
	v_subrev_u32_e32 v16, 28, v19
	v_lshlrev_b64 v[16:17], v16, v[8:9]
	v_lshrrev_b32_e32 v18, 3, v13
	v_sub_u32_e32 v17, 29, v19
	v_and_b32_e32 v16, 7, v16
	v_cmp_gt_u32_e32 vcc, 8, v13
	v_cndmask_b32_e32 v13, v18, v17, vcc
	v_cndmask_b32_e32 v14, v14, v16, vcc
	v_lshlrev_b32_e32 v8, 24, v8
	v_lshlrev_b32_e32 v14, 20, v14
	v_and_b32_e32 v8, 0x80000000, v8
	v_lshl_add_u32 v13, v13, 23, v10
	v_or3_b32 v14, v8, v13, v14
.LBB486_858:                            ;   in Loop: Header=BB486_794 Depth=1
	s_or_b64 exec, exec, s[20:21]
.LBB486_859:                            ;   in Loop: Header=BB486_794 Depth=1
	s_or_b64 exec, exec, s[18:19]
.LBB486_860:                            ;   in Loop: Header=BB486_794 Depth=1
	s_or_b64 exec, exec, s[16:17]
	v_cmp_lt_u32_e32 vcc, s24, v6
	v_mov_b32_e32 v16, 0
	v_mov_b32_e32 v17, 0
	s_and_saveexec_b64 s[16:17], vcc
	s_cbranch_execz .LBB486_866
; %bb.861:                              ;   in Loop: Header=BB486_794 Depth=1
	v_lshrrev_b32_e32 v8, 24, v6
	v_cmp_ne_u32_e32 vcc, s5, v8
	v_bfrev_b32_e32 v17, 1
	s_and_saveexec_b64 s[18:19], vcc
	s_cbranch_execz .LBB486_865
; %bb.862:                              ;   in Loop: Header=BB486_794 Depth=1
	v_bfe_u32 v6, v6, 24, 7
	v_cmp_ne_u32_e32 vcc, s23, v6
	v_mov_b32_e32 v17, 0x7f800001
	s_and_saveexec_b64 s[20:21], vcc
	s_cbranch_execz .LBB486_864
; %bb.863:                              ;   in Loop: Header=BB486_794 Depth=1
	v_and_b32_e32 v13, 7, v8
	v_ffbh_u32_e32 v18, v13
	v_min_u32_e32 v20, 32, v18
	v_subrev_u32_e32 v18, 28, v20
	v_lshlrev_b64 v[18:19], v18, v[8:9]
	v_lshrrev_b32_e32 v17, 3, v6
	v_sub_u32_e32 v19, 29, v20
	v_and_b32_e32 v18, 7, v18
	v_cmp_gt_u32_e32 vcc, 8, v6
	v_cndmask_b32_e32 v6, v17, v19, vcc
	v_cndmask_b32_e32 v13, v13, v18, vcc
	v_lshlrev_b32_e32 v8, 24, v8
	v_lshlrev_b32_e32 v13, 20, v13
	v_and_b32_e32 v8, 0x80000000, v8
	v_lshl_add_u32 v6, v6, 23, v10
	v_or3_b32 v17, v8, v6, v13
.LBB486_864:                            ;   in Loop: Header=BB486_794 Depth=1
	s_or_b64 exec, exec, s[20:21]
.LBB486_865:                            ;   in Loop: Header=BB486_794 Depth=1
	s_or_b64 exec, exec, s[18:19]
.LBB486_866:                            ;   in Loop: Header=BB486_794 Depth=1
	s_or_b64 exec, exec, s[16:17]
	s_waitcnt vmcnt(0)
	v_cmp_ne_u16_sdwa s[18:19], v4, v9 src0_sel:BYTE_0 src1_sel:DWORD
	s_and_saveexec_b64 s[16:17], s[18:19]
	s_cbranch_execz .LBB486_872
; %bb.867:                              ;   in Loop: Header=BB486_794 Depth=1
	v_cmp_ne_u16_sdwa s[20:21], v4, s5 src0_sel:BYTE_0 src1_sel:DWORD
	v_bfrev_b32_e32 v16, 1
	s_and_saveexec_b64 s[18:19], s[20:21]
	s_cbranch_execz .LBB486_871
; %bb.868:                              ;   in Loop: Header=BB486_794 Depth=1
	v_and_b32_e32 v6, 0x7f, v4
	v_cmp_ne_u32_e32 vcc, s23, v6
	v_mov_b32_e32 v16, 0x7f800001
	s_and_saveexec_b64 s[20:21], vcc
	s_cbranch_execz .LBB486_870
; %bb.869:                              ;   in Loop: Header=BB486_794 Depth=1
	v_and_b32_e32 v8, 7, v4
	v_ffbh_u32_e32 v16, v8
	v_min_u32_e32 v16, 32, v16
	v_subrev_u32_e32 v18, 28, v16
	v_lshlrev_b64 v[18:19], v18, v[4:5]
	v_lshrrev_b32_e32 v13, 3, v6
	v_sub_u32_e32 v16, 29, v16
	v_and_b32_e32 v18, 7, v18
	v_cmp_gt_u32_e32 vcc, 8, v6
	v_cndmask_b32_e32 v6, v13, v16, vcc
	v_cndmask_b32_e32 v8, v8, v18, vcc
	v_lshlrev_b32_e32 v13, 24, v4
	v_lshlrev_b32_e32 v8, 20, v8
	v_and_b32_e32 v13, 0x80000000, v13
	v_lshl_add_u32 v6, v6, 23, v10
	v_or3_b32 v16, v13, v6, v8
.LBB486_870:                            ;   in Loop: Header=BB486_794 Depth=1
	s_or_b64 exec, exec, s[20:21]
.LBB486_871:                            ;   in Loop: Header=BB486_794 Depth=1
	s_or_b64 exec, exec, s[18:19]
.LBB486_872:                            ;   in Loop: Header=BB486_794 Depth=1
	s_or_b64 exec, exec, s[16:17]
	v_lshrrev_b16_e32 v6, 8, v4
	v_cmp_ne_u16_e32 vcc, 0, v6
	v_mov_b32_e32 v8, 0
	v_mov_b32_e32 v18, 0
	s_and_saveexec_b64 s[16:17], vcc
	s_cbranch_execz .LBB486_878
; %bb.873:                              ;   in Loop: Header=BB486_794 Depth=1
	v_cmp_ne_u16_e32 vcc, s5, v6
	v_bfrev_b32_e32 v18, 1
	s_and_saveexec_b64 s[18:19], vcc
	s_cbranch_execz .LBB486_877
; %bb.874:                              ;   in Loop: Header=BB486_794 Depth=1
	v_and_b32_e32 v13, 0x7f, v6
	v_cmp_ne_u32_e32 vcc, s23, v13
	v_mov_b32_e32 v18, 0x7f800001
	s_and_saveexec_b64 s[20:21], vcc
	s_cbranch_execz .LBB486_876
; %bb.875:                              ;   in Loop: Header=BB486_794 Depth=1
	v_and_b32_e32 v20, 7, v6
	v_ffbh_u32_e32 v18, v20
	v_min_u32_e32 v22, 32, v18
	v_subrev_u32_e32 v18, 28, v22
	v_lshlrev_b64 v[18:19], v18, v[6:7]
	v_lshrrev_b32_e32 v21, 3, v13
	v_sub_u32_e32 v6, 29, v22
	v_and_b32_e32 v18, 7, v18
	v_cmp_gt_u32_e32 vcc, 8, v13
	v_cndmask_b32_e32 v6, v21, v6, vcc
	v_cndmask_b32_e32 v13, v20, v18, vcc
	v_lshlrev_b32_e32 v18, 16, v4
	v_lshlrev_b32_e32 v13, 20, v13
	v_and_b32_e32 v18, 0x80000000, v18
	v_lshl_add_u32 v6, v6, 23, v10
	v_or3_b32 v18, v18, v6, v13
.LBB486_876:                            ;   in Loop: Header=BB486_794 Depth=1
	s_or_b64 exec, exec, s[20:21]
.LBB486_877:                            ;   in Loop: Header=BB486_794 Depth=1
	s_or_b64 exec, exec, s[18:19]
.LBB486_878:                            ;   in Loop: Header=BB486_794 Depth=1
	s_or_b64 exec, exec, s[16:17]
	v_lshrrev_b32_e32 v6, 16, v4
	v_cmp_ne_u16_sdwa s[18:19], v6, v9 src0_sel:BYTE_0 src1_sel:DWORD
	s_and_saveexec_b64 s[16:17], s[18:19]
	s_cbranch_execz .LBB486_884
; %bb.879:                              ;   in Loop: Header=BB486_794 Depth=1
	v_cmp_ne_u16_sdwa s[20:21], v6, s5 src0_sel:BYTE_0 src1_sel:DWORD
	v_bfrev_b32_e32 v8, 1
	s_and_saveexec_b64 s[18:19], s[20:21]
	s_cbranch_execz .LBB486_883
; %bb.880:                              ;   in Loop: Header=BB486_794 Depth=1
	v_bfe_u32 v13, v4, 16, 7
	v_cmp_ne_u32_e32 vcc, s23, v13
	v_mov_b32_e32 v8, 0x7f800001
	s_and_saveexec_b64 s[20:21], vcc
	s_cbranch_execz .LBB486_882
; %bb.881:                              ;   in Loop: Header=BB486_794 Depth=1
	v_and_b32_e32 v8, 7, v6
	v_ffbh_u32_e32 v20, v8
	v_min_u32_e32 v22, 32, v20
	v_subrev_u32_e32 v20, 28, v22
	v_lshlrev_b64 v[20:21], v20, v[6:7]
	v_lshrrev_b32_e32 v19, 3, v13
	v_sub_u32_e32 v21, 29, v22
	v_and_b32_e32 v20, 7, v20
	v_cmp_gt_u32_e32 vcc, 8, v13
	v_cndmask_b32_e32 v13, v19, v21, vcc
	v_cndmask_b32_e32 v8, v8, v20, vcc
	v_lshlrev_b32_e32 v6, 24, v6
	v_lshlrev_b32_e32 v8, 20, v8
	v_and_b32_e32 v6, 0x80000000, v6
	v_lshl_add_u32 v13, v13, 23, v10
	v_or3_b32 v8, v6, v13, v8
.LBB486_882:                            ;   in Loop: Header=BB486_794 Depth=1
	s_or_b64 exec, exec, s[20:21]
.LBB486_883:                            ;   in Loop: Header=BB486_794 Depth=1
	s_or_b64 exec, exec, s[18:19]
.LBB486_884:                            ;   in Loop: Header=BB486_794 Depth=1
	s_or_b64 exec, exec, s[16:17]
	v_cmp_lt_u32_e32 vcc, s24, v4
	v_mov_b32_e32 v13, 0
	v_mov_b32_e32 v19, 0
	s_and_saveexec_b64 s[16:17], vcc
	s_cbranch_execz .LBB486_890
; %bb.885:                              ;   in Loop: Header=BB486_794 Depth=1
	v_lshrrev_b32_e32 v6, 24, v4
	v_cmp_ne_u32_e32 vcc, s5, v6
	v_bfrev_b32_e32 v19, 1
	s_and_saveexec_b64 s[18:19], vcc
	s_cbranch_execz .LBB486_889
; %bb.886:                              ;   in Loop: Header=BB486_794 Depth=1
	v_bfe_u32 v4, v4, 24, 7
	v_cmp_ne_u32_e32 vcc, s23, v4
	v_mov_b32_e32 v19, 0x7f800001
	s_and_saveexec_b64 s[20:21], vcc
	s_cbranch_execz .LBB486_888
; %bb.887:                              ;   in Loop: Header=BB486_794 Depth=1
	v_and_b32_e32 v19, 7, v6
	v_ffbh_u32_e32 v20, v19
	v_min_u32_e32 v23, 32, v20
	v_subrev_u32_e32 v20, 28, v23
	v_lshlrev_b64 v[20:21], v20, v[6:7]
	v_lshrrev_b32_e32 v22, 3, v4
	v_sub_u32_e32 v21, 29, v23
	v_and_b32_e32 v20, 7, v20
	v_cmp_gt_u32_e32 vcc, 8, v4
	v_cndmask_b32_e32 v4, v22, v21, vcc
	v_cndmask_b32_e32 v19, v19, v20, vcc
	v_lshlrev_b32_e32 v6, 24, v6
	v_lshlrev_b32_e32 v19, 20, v19
	v_and_b32_e32 v6, 0x80000000, v6
	v_lshl_add_u32 v4, v4, 23, v10
	v_or3_b32 v19, v6, v4, v19
.LBB486_888:                            ;   in Loop: Header=BB486_794 Depth=1
	s_or_b64 exec, exec, s[20:21]
.LBB486_889:                            ;   in Loop: Header=BB486_794 Depth=1
	s_or_b64 exec, exec, s[18:19]
.LBB486_890:                            ;   in Loop: Header=BB486_794 Depth=1
	s_or_b64 exec, exec, s[16:17]
	buffer_load_dword v6, v11, s[0:3], 0 offen offset:16
	buffer_load_dword v4, v11, s[0:3], 0 offen offset:20
	v_cvt_pkrtz_f16_f32 v20, v12, v15
	v_cvt_pkrtz_f16_f32 v21, v14, v17
	;; [unrolled: 1-line block ×4, first 2 shown]
	v_mfma_f32_4x4x4f16 a[0:3], v[2:3], v[20:21], a[0:3] cbsz:4 abid:2
	s_waitcnt vmcnt(1)
	v_cmp_ne_u16_sdwa s[18:19], v6, v9 src0_sel:BYTE_0 src1_sel:DWORD
	v_mfma_f32_4x4x4f16 a[0:3], v[2:3], v[14:15], a[0:3] cbsz:4 abid:3
	s_and_saveexec_b64 s[16:17], s[18:19]
	s_cbranch_execz .LBB486_896
; %bb.891:                              ;   in Loop: Header=BB486_794 Depth=1
	v_cmp_ne_u16_sdwa s[20:21], v6, s5 src0_sel:BYTE_0 src1_sel:DWORD
	v_bfrev_b32_e32 v13, 1
	s_and_saveexec_b64 s[18:19], s[20:21]
	s_cbranch_execz .LBB486_895
; %bb.892:                              ;   in Loop: Header=BB486_794 Depth=1
	v_and_b32_e32 v8, 0x7f, v6
	v_cmp_ne_u32_e32 vcc, s23, v8
	v_mov_b32_e32 v13, 0x7f800001
	s_and_saveexec_b64 s[20:21], vcc
	s_cbranch_execz .LBB486_894
; %bb.893:                              ;   in Loop: Header=BB486_794 Depth=1
	v_and_b32_e32 v14, 7, v6
	v_ffbh_u32_e32 v12, v14
	v_min_u32_e32 v16, 32, v12
	v_subrev_u32_e32 v12, 28, v16
	v_lshlrev_b64 v[12:13], v12, v[6:7]
	v_lshrrev_b32_e32 v15, 3, v8
	v_sub_u32_e32 v13, 29, v16
	v_and_b32_e32 v12, 7, v12
	v_cmp_gt_u32_e32 vcc, 8, v8
	v_cndmask_b32_e32 v8, v15, v13, vcc
	v_cndmask_b32_e32 v12, v14, v12, vcc
	v_lshlrev_b32_e32 v13, 24, v6
	v_lshlrev_b32_e32 v12, 20, v12
	v_and_b32_e32 v13, 0x80000000, v13
	v_lshl_add_u32 v8, v8, 23, v10
	v_or3_b32 v13, v13, v8, v12
.LBB486_894:                            ;   in Loop: Header=BB486_794 Depth=1
	s_or_b64 exec, exec, s[20:21]
.LBB486_895:                            ;   in Loop: Header=BB486_794 Depth=1
	s_or_b64 exec, exec, s[18:19]
.LBB486_896:                            ;   in Loop: Header=BB486_794 Depth=1
	s_or_b64 exec, exec, s[16:17]
	v_lshrrev_b16_e32 v8, 8, v6
	v_cmp_ne_u16_e32 vcc, 0, v8
	v_mov_b32_e32 v14, 0
	v_mov_b32_e32 v15, 0
	s_and_saveexec_b64 s[16:17], vcc
	s_cbranch_execz .LBB486_902
; %bb.897:                              ;   in Loop: Header=BB486_794 Depth=1
	v_cmp_ne_u16_e32 vcc, s5, v8
	v_bfrev_b32_e32 v15, 1
	s_and_saveexec_b64 s[18:19], vcc
	s_cbranch_execz .LBB486_901
; %bb.898:                              ;   in Loop: Header=BB486_794 Depth=1
	v_and_b32_e32 v12, 0x7f, v8
	v_cmp_ne_u32_e32 vcc, s23, v12
	v_mov_b32_e32 v15, 0x7f800001
	s_and_saveexec_b64 s[20:21], vcc
	s_cbranch_execz .LBB486_900
; %bb.899:                              ;   in Loop: Header=BB486_794 Depth=1
	v_and_b32_e32 v15, 7, v8
	v_ffbh_u32_e32 v16, v15
	v_min_u32_e32 v19, 32, v16
	v_subrev_u32_e32 v16, 28, v19
	v_lshlrev_b64 v[16:17], v16, v[8:9]
	v_lshrrev_b32_e32 v18, 3, v12
	v_sub_u32_e32 v8, 29, v19
	v_and_b32_e32 v16, 7, v16
	v_cmp_gt_u32_e32 vcc, 8, v12
	v_cndmask_b32_e32 v8, v18, v8, vcc
	v_cndmask_b32_e32 v12, v15, v16, vcc
	v_lshlrev_b32_e32 v15, 16, v6
	v_lshlrev_b32_e32 v12, 20, v12
	v_and_b32_e32 v15, 0x80000000, v15
	v_lshl_add_u32 v8, v8, 23, v10
	v_or3_b32 v15, v15, v8, v12
.LBB486_900:                            ;   in Loop: Header=BB486_794 Depth=1
	s_or_b64 exec, exec, s[20:21]
.LBB486_901:                            ;   in Loop: Header=BB486_794 Depth=1
	s_or_b64 exec, exec, s[18:19]
.LBB486_902:                            ;   in Loop: Header=BB486_794 Depth=1
	s_or_b64 exec, exec, s[16:17]
	v_lshrrev_b32_e32 v8, 16, v6
	v_cmp_ne_u16_sdwa s[18:19], v8, v9 src0_sel:BYTE_0 src1_sel:DWORD
	s_and_saveexec_b64 s[16:17], s[18:19]
	s_cbranch_execz .LBB486_908
; %bb.903:                              ;   in Loop: Header=BB486_794 Depth=1
	v_cmp_ne_u16_sdwa s[20:21], v8, s5 src0_sel:BYTE_0 src1_sel:DWORD
	v_bfrev_b32_e32 v14, 1
	s_and_saveexec_b64 s[18:19], s[20:21]
	s_cbranch_execz .LBB486_907
; %bb.904:                              ;   in Loop: Header=BB486_794 Depth=1
	v_bfe_u32 v12, v6, 16, 7
	v_cmp_ne_u32_e32 vcc, s23, v12
	v_mov_b32_e32 v14, 0x7f800001
	s_and_saveexec_b64 s[20:21], vcc
	s_cbranch_execz .LBB486_906
; %bb.905:                              ;   in Loop: Header=BB486_794 Depth=1
	v_and_b32_e32 v14, 7, v8
	v_ffbh_u32_e32 v16, v14
	v_min_u32_e32 v19, 32, v16
	v_subrev_u32_e32 v16, 28, v19
	v_lshlrev_b64 v[16:17], v16, v[8:9]
	v_lshrrev_b32_e32 v18, 3, v12
	v_sub_u32_e32 v17, 29, v19
	v_and_b32_e32 v16, 7, v16
	v_cmp_gt_u32_e32 vcc, 8, v12
	v_cndmask_b32_e32 v12, v18, v17, vcc
	v_cndmask_b32_e32 v14, v14, v16, vcc
	v_lshlrev_b32_e32 v8, 24, v8
	v_lshlrev_b32_e32 v14, 20, v14
	v_and_b32_e32 v8, 0x80000000, v8
	v_lshl_add_u32 v12, v12, 23, v10
	v_or3_b32 v14, v8, v12, v14
.LBB486_906:                            ;   in Loop: Header=BB486_794 Depth=1
	s_or_b64 exec, exec, s[20:21]
.LBB486_907:                            ;   in Loop: Header=BB486_794 Depth=1
	s_or_b64 exec, exec, s[18:19]
.LBB486_908:                            ;   in Loop: Header=BB486_794 Depth=1
	s_or_b64 exec, exec, s[16:17]
	v_cmp_lt_u32_e32 vcc, s24, v6
	v_mov_b32_e32 v16, 0
	v_mov_b32_e32 v17, 0
	s_and_saveexec_b64 s[16:17], vcc
	s_cbranch_execz .LBB486_914
; %bb.909:                              ;   in Loop: Header=BB486_794 Depth=1
	v_lshrrev_b32_e32 v8, 24, v6
	v_cmp_ne_u32_e32 vcc, s5, v8
	v_bfrev_b32_e32 v17, 1
	s_and_saveexec_b64 s[18:19], vcc
	s_cbranch_execz .LBB486_913
; %bb.910:                              ;   in Loop: Header=BB486_794 Depth=1
	v_bfe_u32 v6, v6, 24, 7
	v_cmp_ne_u32_e32 vcc, s23, v6
	v_mov_b32_e32 v17, 0x7f800001
	s_and_saveexec_b64 s[20:21], vcc
	s_cbranch_execz .LBB486_912
; %bb.911:                              ;   in Loop: Header=BB486_794 Depth=1
	v_and_b32_e32 v12, 7, v8
	v_ffbh_u32_e32 v18, v12
	v_min_u32_e32 v20, 32, v18
	v_subrev_u32_e32 v18, 28, v20
	v_lshlrev_b64 v[18:19], v18, v[8:9]
	v_lshrrev_b32_e32 v17, 3, v6
	v_sub_u32_e32 v19, 29, v20
	v_and_b32_e32 v18, 7, v18
	v_cmp_gt_u32_e32 vcc, 8, v6
	v_cndmask_b32_e32 v6, v17, v19, vcc
	v_cndmask_b32_e32 v12, v12, v18, vcc
	v_lshlrev_b32_e32 v8, 24, v8
	v_lshlrev_b32_e32 v12, 20, v12
	v_and_b32_e32 v8, 0x80000000, v8
	v_lshl_add_u32 v6, v6, 23, v10
	v_or3_b32 v17, v8, v6, v12
.LBB486_912:                            ;   in Loop: Header=BB486_794 Depth=1
	s_or_b64 exec, exec, s[20:21]
.LBB486_913:                            ;   in Loop: Header=BB486_794 Depth=1
	s_or_b64 exec, exec, s[18:19]
.LBB486_914:                            ;   in Loop: Header=BB486_794 Depth=1
	s_or_b64 exec, exec, s[16:17]
	s_waitcnt vmcnt(0)
	v_cmp_ne_u16_sdwa s[18:19], v4, v9 src0_sel:BYTE_0 src1_sel:DWORD
	s_and_saveexec_b64 s[16:17], s[18:19]
	s_cbranch_execz .LBB486_920
; %bb.915:                              ;   in Loop: Header=BB486_794 Depth=1
	v_cmp_ne_u16_sdwa s[20:21], v4, s5 src0_sel:BYTE_0 src1_sel:DWORD
	v_bfrev_b32_e32 v16, 1
	s_and_saveexec_b64 s[18:19], s[20:21]
	s_cbranch_execz .LBB486_919
; %bb.916:                              ;   in Loop: Header=BB486_794 Depth=1
	v_and_b32_e32 v6, 0x7f, v4
	v_cmp_ne_u32_e32 vcc, s23, v6
	v_mov_b32_e32 v16, 0x7f800001
	s_and_saveexec_b64 s[20:21], vcc
	s_cbranch_execz .LBB486_918
; %bb.917:                              ;   in Loop: Header=BB486_794 Depth=1
	v_and_b32_e32 v8, 7, v4
	v_ffbh_u32_e32 v16, v8
	v_min_u32_e32 v16, 32, v16
	v_subrev_u32_e32 v18, 28, v16
	v_lshlrev_b64 v[18:19], v18, v[4:5]
	v_lshrrev_b32_e32 v12, 3, v6
	v_sub_u32_e32 v16, 29, v16
	v_and_b32_e32 v18, 7, v18
	v_cmp_gt_u32_e32 vcc, 8, v6
	v_cndmask_b32_e32 v6, v12, v16, vcc
	v_cndmask_b32_e32 v8, v8, v18, vcc
	v_lshlrev_b32_e32 v12, 24, v4
	v_lshlrev_b32_e32 v8, 20, v8
	v_and_b32_e32 v12, 0x80000000, v12
	v_lshl_add_u32 v6, v6, 23, v10
	v_or3_b32 v16, v12, v6, v8
.LBB486_918:                            ;   in Loop: Header=BB486_794 Depth=1
	s_or_b64 exec, exec, s[20:21]
.LBB486_919:                            ;   in Loop: Header=BB486_794 Depth=1
	s_or_b64 exec, exec, s[18:19]
.LBB486_920:                            ;   in Loop: Header=BB486_794 Depth=1
	s_or_b64 exec, exec, s[16:17]
	v_lshrrev_b16_e32 v6, 8, v4
	v_cmp_ne_u16_e32 vcc, 0, v6
	v_mov_b32_e32 v8, 0
	v_mov_b32_e32 v18, 0
	s_and_saveexec_b64 s[16:17], vcc
	s_cbranch_execz .LBB486_926
; %bb.921:                              ;   in Loop: Header=BB486_794 Depth=1
	v_cmp_ne_u16_e32 vcc, s5, v6
	v_bfrev_b32_e32 v18, 1
	s_and_saveexec_b64 s[18:19], vcc
	s_cbranch_execz .LBB486_925
; %bb.922:                              ;   in Loop: Header=BB486_794 Depth=1
	v_and_b32_e32 v12, 0x7f, v6
	v_cmp_ne_u32_e32 vcc, s23, v12
	v_mov_b32_e32 v18, 0x7f800001
	s_and_saveexec_b64 s[20:21], vcc
	s_cbranch_execz .LBB486_924
; %bb.923:                              ;   in Loop: Header=BB486_794 Depth=1
	v_and_b32_e32 v20, 7, v6
	v_ffbh_u32_e32 v18, v20
	v_min_u32_e32 v22, 32, v18
	v_subrev_u32_e32 v18, 28, v22
	v_lshlrev_b64 v[18:19], v18, v[6:7]
	v_lshrrev_b32_e32 v21, 3, v12
	v_sub_u32_e32 v6, 29, v22
	v_and_b32_e32 v18, 7, v18
	v_cmp_gt_u32_e32 vcc, 8, v12
	v_cndmask_b32_e32 v6, v21, v6, vcc
	v_cndmask_b32_e32 v12, v20, v18, vcc
	v_lshlrev_b32_e32 v18, 16, v4
	v_lshlrev_b32_e32 v12, 20, v12
	v_and_b32_e32 v18, 0x80000000, v18
	v_lshl_add_u32 v6, v6, 23, v10
	v_or3_b32 v18, v18, v6, v12
.LBB486_924:                            ;   in Loop: Header=BB486_794 Depth=1
	s_or_b64 exec, exec, s[20:21]
.LBB486_925:                            ;   in Loop: Header=BB486_794 Depth=1
	s_or_b64 exec, exec, s[18:19]
.LBB486_926:                            ;   in Loop: Header=BB486_794 Depth=1
	s_or_b64 exec, exec, s[16:17]
	v_lshrrev_b32_e32 v6, 16, v4
	v_cmp_ne_u16_sdwa s[18:19], v6, v9 src0_sel:BYTE_0 src1_sel:DWORD
	s_and_saveexec_b64 s[16:17], s[18:19]
	s_cbranch_execz .LBB486_932
; %bb.927:                              ;   in Loop: Header=BB486_794 Depth=1
	v_cmp_ne_u16_sdwa s[20:21], v6, s5 src0_sel:BYTE_0 src1_sel:DWORD
	v_bfrev_b32_e32 v8, 1
	s_and_saveexec_b64 s[18:19], s[20:21]
	s_cbranch_execz .LBB486_931
; %bb.928:                              ;   in Loop: Header=BB486_794 Depth=1
	v_bfe_u32 v12, v4, 16, 7
	v_cmp_ne_u32_e32 vcc, s23, v12
	v_mov_b32_e32 v8, 0x7f800001
	s_and_saveexec_b64 s[20:21], vcc
	s_cbranch_execz .LBB486_930
; %bb.929:                              ;   in Loop: Header=BB486_794 Depth=1
	v_and_b32_e32 v8, 7, v6
	v_ffbh_u32_e32 v20, v8
	v_min_u32_e32 v22, 32, v20
	v_subrev_u32_e32 v20, 28, v22
	v_lshlrev_b64 v[20:21], v20, v[6:7]
	v_lshrrev_b32_e32 v19, 3, v12
	v_sub_u32_e32 v21, 29, v22
	v_and_b32_e32 v20, 7, v20
	v_cmp_gt_u32_e32 vcc, 8, v12
	v_cndmask_b32_e32 v12, v19, v21, vcc
	v_cndmask_b32_e32 v8, v8, v20, vcc
	v_lshlrev_b32_e32 v6, 24, v6
	v_lshlrev_b32_e32 v8, 20, v8
	v_and_b32_e32 v6, 0x80000000, v6
	v_lshl_add_u32 v12, v12, 23, v10
	v_or3_b32 v8, v6, v12, v8
.LBB486_930:                            ;   in Loop: Header=BB486_794 Depth=1
	s_or_b64 exec, exec, s[20:21]
.LBB486_931:                            ;   in Loop: Header=BB486_794 Depth=1
	s_or_b64 exec, exec, s[18:19]
.LBB486_932:                            ;   in Loop: Header=BB486_794 Depth=1
	s_or_b64 exec, exec, s[16:17]
	v_cmp_lt_u32_e32 vcc, s24, v4
	v_mov_b32_e32 v12, 0
	v_mov_b32_e32 v19, 0
	s_and_saveexec_b64 s[16:17], vcc
	s_cbranch_execz .LBB486_938
; %bb.933:                              ;   in Loop: Header=BB486_794 Depth=1
	v_lshrrev_b32_e32 v6, 24, v4
	v_cmp_ne_u32_e32 vcc, s5, v6
	v_bfrev_b32_e32 v19, 1
	s_and_saveexec_b64 s[18:19], vcc
	s_cbranch_execz .LBB486_937
; %bb.934:                              ;   in Loop: Header=BB486_794 Depth=1
	v_bfe_u32 v4, v4, 24, 7
	v_cmp_ne_u32_e32 vcc, s23, v4
	v_mov_b32_e32 v19, 0x7f800001
	s_and_saveexec_b64 s[20:21], vcc
	s_cbranch_execz .LBB486_936
; %bb.935:                              ;   in Loop: Header=BB486_794 Depth=1
	v_and_b32_e32 v19, 7, v6
	v_ffbh_u32_e32 v20, v19
	v_min_u32_e32 v23, 32, v20
	v_subrev_u32_e32 v20, 28, v23
	v_lshlrev_b64 v[20:21], v20, v[6:7]
	v_lshrrev_b32_e32 v22, 3, v4
	v_sub_u32_e32 v21, 29, v23
	v_and_b32_e32 v20, 7, v20
	v_cmp_gt_u32_e32 vcc, 8, v4
	v_cndmask_b32_e32 v4, v22, v21, vcc
	v_cndmask_b32_e32 v19, v19, v20, vcc
	v_lshlrev_b32_e32 v6, 24, v6
	v_lshlrev_b32_e32 v19, 20, v19
	v_and_b32_e32 v6, 0x80000000, v6
	v_lshl_add_u32 v4, v4, 23, v10
	v_or3_b32 v19, v6, v4, v19
.LBB486_936:                            ;   in Loop: Header=BB486_794 Depth=1
	s_or_b64 exec, exec, s[20:21]
.LBB486_937:                            ;   in Loop: Header=BB486_794 Depth=1
	s_or_b64 exec, exec, s[18:19]
.LBB486_938:                            ;   in Loop: Header=BB486_794 Depth=1
	s_or_b64 exec, exec, s[16:17]
	buffer_load_dword v6, v11, s[0:3], 0 offen offset:24
	buffer_load_dword v4, v11, s[0:3], 0 offen offset:28
	v_cvt_pkrtz_f16_f32 v20, v13, v15
	v_cvt_pkrtz_f16_f32 v21, v14, v17
	v_cvt_pkrtz_f16_f32 v14, v16, v18
	v_cvt_pkrtz_f16_f32 v15, v8, v19
	v_mfma_f32_4x4x4f16 a[0:3], v[2:3], v[20:21], a[0:3] cbsz:4 abid:4
	s_waitcnt vmcnt(1)
	v_cmp_ne_u16_sdwa s[18:19], v6, v9 src0_sel:BYTE_0 src1_sel:DWORD
	v_mfma_f32_4x4x4f16 a[0:3], v[2:3], v[14:15], a[0:3] cbsz:4 abid:5
	s_and_saveexec_b64 s[16:17], s[18:19]
	s_cbranch_execz .LBB486_944
; %bb.939:                              ;   in Loop: Header=BB486_794 Depth=1
	v_cmp_ne_u16_sdwa s[20:21], v6, s5 src0_sel:BYTE_0 src1_sel:DWORD
	v_bfrev_b32_e32 v12, 1
	s_and_saveexec_b64 s[18:19], s[20:21]
	s_cbranch_execz .LBB486_943
; %bb.940:                              ;   in Loop: Header=BB486_794 Depth=1
	v_and_b32_e32 v8, 0x7f, v6
	v_cmp_ne_u32_e32 vcc, s23, v8
	v_mov_b32_e32 v12, 0x7f800001
	s_and_saveexec_b64 s[20:21], vcc
	s_cbranch_execz .LBB486_942
; %bb.941:                              ;   in Loop: Header=BB486_794 Depth=1
	v_and_b32_e32 v14, 7, v6
	v_ffbh_u32_e32 v12, v14
	v_min_u32_e32 v16, 32, v12
	v_subrev_u32_e32 v12, 28, v16
	v_lshlrev_b64 v[12:13], v12, v[6:7]
	v_lshrrev_b32_e32 v15, 3, v8
	v_sub_u32_e32 v13, 29, v16
	v_and_b32_e32 v12, 7, v12
	v_cmp_gt_u32_e32 vcc, 8, v8
	v_cndmask_b32_e32 v8, v15, v13, vcc
	v_cndmask_b32_e32 v12, v14, v12, vcc
	v_lshlrev_b32_e32 v13, 24, v6
	v_lshlrev_b32_e32 v12, 20, v12
	v_and_b32_e32 v13, 0x80000000, v13
	v_lshl_add_u32 v8, v8, 23, v10
	v_or3_b32 v12, v13, v8, v12
.LBB486_942:                            ;   in Loop: Header=BB486_794 Depth=1
	s_or_b64 exec, exec, s[20:21]
.LBB486_943:                            ;   in Loop: Header=BB486_794 Depth=1
	s_or_b64 exec, exec, s[18:19]
.LBB486_944:                            ;   in Loop: Header=BB486_794 Depth=1
	s_or_b64 exec, exec, s[16:17]
	v_lshrrev_b16_e32 v8, 8, v6
	v_cmp_ne_u16_e32 vcc, 0, v8
	v_mov_b32_e32 v14, 0
	v_mov_b32_e32 v15, 0
	s_and_saveexec_b64 s[16:17], vcc
	s_cbranch_execz .LBB486_950
; %bb.945:                              ;   in Loop: Header=BB486_794 Depth=1
	v_cmp_ne_u16_e32 vcc, s5, v8
	v_bfrev_b32_e32 v15, 1
	s_and_saveexec_b64 s[18:19], vcc
	s_cbranch_execz .LBB486_949
; %bb.946:                              ;   in Loop: Header=BB486_794 Depth=1
	v_and_b32_e32 v13, 0x7f, v8
	v_cmp_ne_u32_e32 vcc, s23, v13
	v_mov_b32_e32 v15, 0x7f800001
	s_and_saveexec_b64 s[20:21], vcc
	s_cbranch_execz .LBB486_948
; %bb.947:                              ;   in Loop: Header=BB486_794 Depth=1
	v_and_b32_e32 v15, 7, v8
	v_ffbh_u32_e32 v16, v15
	v_min_u32_e32 v19, 32, v16
	v_subrev_u32_e32 v16, 28, v19
	v_lshlrev_b64 v[16:17], v16, v[8:9]
	v_lshrrev_b32_e32 v18, 3, v13
	v_sub_u32_e32 v8, 29, v19
	v_and_b32_e32 v16, 7, v16
	v_cmp_gt_u32_e32 vcc, 8, v13
	v_cndmask_b32_e32 v8, v18, v8, vcc
	v_cndmask_b32_e32 v13, v15, v16, vcc
	v_lshlrev_b32_e32 v15, 16, v6
	v_lshlrev_b32_e32 v13, 20, v13
	v_and_b32_e32 v15, 0x80000000, v15
	v_lshl_add_u32 v8, v8, 23, v10
	v_or3_b32 v15, v15, v8, v13
.LBB486_948:                            ;   in Loop: Header=BB486_794 Depth=1
	s_or_b64 exec, exec, s[20:21]
.LBB486_949:                            ;   in Loop: Header=BB486_794 Depth=1
	s_or_b64 exec, exec, s[18:19]
.LBB486_950:                            ;   in Loop: Header=BB486_794 Depth=1
	s_or_b64 exec, exec, s[16:17]
	v_lshrrev_b32_e32 v8, 16, v6
	v_cmp_ne_u16_sdwa s[18:19], v8, v9 src0_sel:BYTE_0 src1_sel:DWORD
	s_and_saveexec_b64 s[16:17], s[18:19]
	s_cbranch_execz .LBB486_956
; %bb.951:                              ;   in Loop: Header=BB486_794 Depth=1
	v_cmp_ne_u16_sdwa s[20:21], v8, s5 src0_sel:BYTE_0 src1_sel:DWORD
	v_bfrev_b32_e32 v14, 1
	s_and_saveexec_b64 s[18:19], s[20:21]
	s_cbranch_execz .LBB486_955
; %bb.952:                              ;   in Loop: Header=BB486_794 Depth=1
	v_bfe_u32 v13, v6, 16, 7
	v_cmp_ne_u32_e32 vcc, s23, v13
	v_mov_b32_e32 v14, 0x7f800001
	s_and_saveexec_b64 s[20:21], vcc
	s_cbranch_execz .LBB486_954
; %bb.953:                              ;   in Loop: Header=BB486_794 Depth=1
	v_and_b32_e32 v14, 7, v8
	v_ffbh_u32_e32 v16, v14
	v_min_u32_e32 v19, 32, v16
	v_subrev_u32_e32 v16, 28, v19
	v_lshlrev_b64 v[16:17], v16, v[8:9]
	v_lshrrev_b32_e32 v18, 3, v13
	v_sub_u32_e32 v17, 29, v19
	v_and_b32_e32 v16, 7, v16
	v_cmp_gt_u32_e32 vcc, 8, v13
	v_cndmask_b32_e32 v13, v18, v17, vcc
	v_cndmask_b32_e32 v14, v14, v16, vcc
	v_lshlrev_b32_e32 v8, 24, v8
	v_lshlrev_b32_e32 v14, 20, v14
	v_and_b32_e32 v8, 0x80000000, v8
	v_lshl_add_u32 v13, v13, 23, v10
	v_or3_b32 v14, v8, v13, v14
.LBB486_954:                            ;   in Loop: Header=BB486_794 Depth=1
	s_or_b64 exec, exec, s[20:21]
.LBB486_955:                            ;   in Loop: Header=BB486_794 Depth=1
	s_or_b64 exec, exec, s[18:19]
.LBB486_956:                            ;   in Loop: Header=BB486_794 Depth=1
	s_or_b64 exec, exec, s[16:17]
	v_cmp_lt_u32_e32 vcc, s24, v6
	v_mov_b32_e32 v16, 0
	v_mov_b32_e32 v17, 0
	s_and_saveexec_b64 s[16:17], vcc
	s_cbranch_execz .LBB486_962
; %bb.957:                              ;   in Loop: Header=BB486_794 Depth=1
	v_lshrrev_b32_e32 v8, 24, v6
	v_cmp_ne_u32_e32 vcc, s5, v8
	v_bfrev_b32_e32 v17, 1
	s_and_saveexec_b64 s[18:19], vcc
	s_cbranch_execz .LBB486_961
; %bb.958:                              ;   in Loop: Header=BB486_794 Depth=1
	v_bfe_u32 v6, v6, 24, 7
	v_cmp_ne_u32_e32 vcc, s23, v6
	v_mov_b32_e32 v17, 0x7f800001
	s_and_saveexec_b64 s[20:21], vcc
	s_cbranch_execz .LBB486_960
; %bb.959:                              ;   in Loop: Header=BB486_794 Depth=1
	v_and_b32_e32 v13, 7, v8
	v_ffbh_u32_e32 v18, v13
	v_min_u32_e32 v20, 32, v18
	v_subrev_u32_e32 v18, 28, v20
	v_lshlrev_b64 v[18:19], v18, v[8:9]
	v_lshrrev_b32_e32 v17, 3, v6
	v_sub_u32_e32 v19, 29, v20
	v_and_b32_e32 v18, 7, v18
	v_cmp_gt_u32_e32 vcc, 8, v6
	v_cndmask_b32_e32 v6, v17, v19, vcc
	v_cndmask_b32_e32 v13, v13, v18, vcc
	v_lshlrev_b32_e32 v8, 24, v8
	v_lshlrev_b32_e32 v13, 20, v13
	v_and_b32_e32 v8, 0x80000000, v8
	v_lshl_add_u32 v6, v6, 23, v10
	v_or3_b32 v17, v8, v6, v13
.LBB486_960:                            ;   in Loop: Header=BB486_794 Depth=1
	s_or_b64 exec, exec, s[20:21]
.LBB486_961:                            ;   in Loop: Header=BB486_794 Depth=1
	s_or_b64 exec, exec, s[18:19]
.LBB486_962:                            ;   in Loop: Header=BB486_794 Depth=1
	s_or_b64 exec, exec, s[16:17]
	s_waitcnt vmcnt(0)
	v_cmp_ne_u16_sdwa s[18:19], v4, v9 src0_sel:BYTE_0 src1_sel:DWORD
	s_and_saveexec_b64 s[16:17], s[18:19]
	s_cbranch_execz .LBB486_968
; %bb.963:                              ;   in Loop: Header=BB486_794 Depth=1
	v_cmp_ne_u16_sdwa s[20:21], v4, s5 src0_sel:BYTE_0 src1_sel:DWORD
	v_bfrev_b32_e32 v16, 1
	s_and_saveexec_b64 s[18:19], s[20:21]
	s_cbranch_execz .LBB486_967
; %bb.964:                              ;   in Loop: Header=BB486_794 Depth=1
	v_and_b32_e32 v6, 0x7f, v4
	v_cmp_ne_u32_e32 vcc, s23, v6
	v_mov_b32_e32 v16, 0x7f800001
	s_and_saveexec_b64 s[20:21], vcc
	s_cbranch_execz .LBB486_966
; %bb.965:                              ;   in Loop: Header=BB486_794 Depth=1
	v_and_b32_e32 v8, 7, v4
	v_ffbh_u32_e32 v16, v8
	v_min_u32_e32 v16, 32, v16
	v_subrev_u32_e32 v18, 28, v16
	v_lshlrev_b64 v[18:19], v18, v[4:5]
	v_lshrrev_b32_e32 v13, 3, v6
	v_sub_u32_e32 v16, 29, v16
	v_and_b32_e32 v18, 7, v18
	v_cmp_gt_u32_e32 vcc, 8, v6
	v_cndmask_b32_e32 v6, v13, v16, vcc
	v_cndmask_b32_e32 v8, v8, v18, vcc
	v_lshlrev_b32_e32 v13, 24, v4
	v_lshlrev_b32_e32 v8, 20, v8
	v_and_b32_e32 v13, 0x80000000, v13
	v_lshl_add_u32 v6, v6, 23, v10
	v_or3_b32 v16, v13, v6, v8
.LBB486_966:                            ;   in Loop: Header=BB486_794 Depth=1
	s_or_b64 exec, exec, s[20:21]
.LBB486_967:                            ;   in Loop: Header=BB486_794 Depth=1
	s_or_b64 exec, exec, s[18:19]
.LBB486_968:                            ;   in Loop: Header=BB486_794 Depth=1
	s_or_b64 exec, exec, s[16:17]
	v_lshrrev_b16_e32 v6, 8, v4
	v_cmp_ne_u16_e32 vcc, 0, v6
	v_mov_b32_e32 v8, 0
	v_mov_b32_e32 v18, 0
	s_and_saveexec_b64 s[16:17], vcc
	s_cbranch_execz .LBB486_974
; %bb.969:                              ;   in Loop: Header=BB486_794 Depth=1
	v_cmp_ne_u16_e32 vcc, s5, v6
	v_bfrev_b32_e32 v18, 1
	s_and_saveexec_b64 s[18:19], vcc
	s_cbranch_execz .LBB486_973
; %bb.970:                              ;   in Loop: Header=BB486_794 Depth=1
	v_and_b32_e32 v13, 0x7f, v6
	v_cmp_ne_u32_e32 vcc, s23, v13
	v_mov_b32_e32 v18, 0x7f800001
	s_and_saveexec_b64 s[20:21], vcc
	s_cbranch_execz .LBB486_972
; %bb.971:                              ;   in Loop: Header=BB486_794 Depth=1
	v_and_b32_e32 v20, 7, v6
	v_ffbh_u32_e32 v18, v20
	v_min_u32_e32 v22, 32, v18
	v_subrev_u32_e32 v18, 28, v22
	v_lshlrev_b64 v[18:19], v18, v[6:7]
	v_lshrrev_b32_e32 v21, 3, v13
	v_sub_u32_e32 v6, 29, v22
	v_and_b32_e32 v18, 7, v18
	v_cmp_gt_u32_e32 vcc, 8, v13
	v_cndmask_b32_e32 v6, v21, v6, vcc
	v_cndmask_b32_e32 v13, v20, v18, vcc
	v_lshlrev_b32_e32 v18, 16, v4
	v_lshlrev_b32_e32 v13, 20, v13
	v_and_b32_e32 v18, 0x80000000, v18
	v_lshl_add_u32 v6, v6, 23, v10
	v_or3_b32 v18, v18, v6, v13
.LBB486_972:                            ;   in Loop: Header=BB486_794 Depth=1
	s_or_b64 exec, exec, s[20:21]
.LBB486_973:                            ;   in Loop: Header=BB486_794 Depth=1
	s_or_b64 exec, exec, s[18:19]
.LBB486_974:                            ;   in Loop: Header=BB486_794 Depth=1
	s_or_b64 exec, exec, s[16:17]
	v_lshrrev_b32_e32 v6, 16, v4
	v_cmp_ne_u16_sdwa s[18:19], v6, v9 src0_sel:BYTE_0 src1_sel:DWORD
	s_and_saveexec_b64 s[16:17], s[18:19]
	s_cbranch_execz .LBB486_980
; %bb.975:                              ;   in Loop: Header=BB486_794 Depth=1
	v_cmp_ne_u16_sdwa s[20:21], v6, s5 src0_sel:BYTE_0 src1_sel:DWORD
	v_bfrev_b32_e32 v8, 1
	s_and_saveexec_b64 s[18:19], s[20:21]
	s_cbranch_execz .LBB486_979
; %bb.976:                              ;   in Loop: Header=BB486_794 Depth=1
	v_bfe_u32 v13, v4, 16, 7
	v_cmp_ne_u32_e32 vcc, s23, v13
	v_mov_b32_e32 v8, 0x7f800001
	s_and_saveexec_b64 s[20:21], vcc
	s_cbranch_execz .LBB486_978
; %bb.977:                              ;   in Loop: Header=BB486_794 Depth=1
	v_and_b32_e32 v8, 7, v6
	v_ffbh_u32_e32 v20, v8
	v_min_u32_e32 v22, 32, v20
	v_subrev_u32_e32 v20, 28, v22
	v_lshlrev_b64 v[20:21], v20, v[6:7]
	v_lshrrev_b32_e32 v19, 3, v13
	v_sub_u32_e32 v21, 29, v22
	v_and_b32_e32 v20, 7, v20
	v_cmp_gt_u32_e32 vcc, 8, v13
	v_cndmask_b32_e32 v13, v19, v21, vcc
	v_cndmask_b32_e32 v8, v8, v20, vcc
	v_lshlrev_b32_e32 v6, 24, v6
	v_lshlrev_b32_e32 v8, 20, v8
	v_and_b32_e32 v6, 0x80000000, v6
	v_lshl_add_u32 v13, v13, 23, v10
	v_or3_b32 v8, v6, v13, v8
.LBB486_978:                            ;   in Loop: Header=BB486_794 Depth=1
	s_or_b64 exec, exec, s[20:21]
.LBB486_979:                            ;   in Loop: Header=BB486_794 Depth=1
	s_or_b64 exec, exec, s[18:19]
.LBB486_980:                            ;   in Loop: Header=BB486_794 Depth=1
	s_or_b64 exec, exec, s[16:17]
	v_cmp_lt_u32_e32 vcc, s24, v4
	v_mov_b32_e32 v13, 0
	v_mov_b32_e32 v19, 0
	s_and_saveexec_b64 s[16:17], vcc
	s_cbranch_execz .LBB486_986
; %bb.981:                              ;   in Loop: Header=BB486_794 Depth=1
	v_lshrrev_b32_e32 v6, 24, v4
	v_cmp_ne_u32_e32 vcc, s5, v6
	v_bfrev_b32_e32 v19, 1
	s_and_saveexec_b64 s[18:19], vcc
	s_cbranch_execz .LBB486_985
; %bb.982:                              ;   in Loop: Header=BB486_794 Depth=1
	v_bfe_u32 v4, v4, 24, 7
	v_cmp_ne_u32_e32 vcc, s23, v4
	v_mov_b32_e32 v19, 0x7f800001
	s_and_saveexec_b64 s[20:21], vcc
	s_cbranch_execz .LBB486_984
; %bb.983:                              ;   in Loop: Header=BB486_794 Depth=1
	v_and_b32_e32 v19, 7, v6
	v_ffbh_u32_e32 v20, v19
	v_min_u32_e32 v23, 32, v20
	v_subrev_u32_e32 v20, 28, v23
	v_lshlrev_b64 v[20:21], v20, v[6:7]
	v_lshrrev_b32_e32 v22, 3, v4
	v_sub_u32_e32 v21, 29, v23
	v_and_b32_e32 v20, 7, v20
	v_cmp_gt_u32_e32 vcc, 8, v4
	v_cndmask_b32_e32 v4, v22, v21, vcc
	v_cndmask_b32_e32 v19, v19, v20, vcc
	v_lshlrev_b32_e32 v6, 24, v6
	v_lshlrev_b32_e32 v19, 20, v19
	v_and_b32_e32 v6, 0x80000000, v6
	v_lshl_add_u32 v4, v4, 23, v10
	v_or3_b32 v19, v6, v4, v19
.LBB486_984:                            ;   in Loop: Header=BB486_794 Depth=1
	s_or_b64 exec, exec, s[20:21]
.LBB486_985:                            ;   in Loop: Header=BB486_794 Depth=1
	s_or_b64 exec, exec, s[18:19]
.LBB486_986:                            ;   in Loop: Header=BB486_794 Depth=1
	s_or_b64 exec, exec, s[16:17]
	buffer_load_dword v6, v11, s[0:3], 0 offen offset:32
	buffer_load_dword v4, v11, s[0:3], 0 offen offset:36
	v_cvt_pkrtz_f16_f32 v20, v12, v15
	v_cvt_pkrtz_f16_f32 v21, v14, v17
	;; [unrolled: 1-line block ×4, first 2 shown]
	v_mfma_f32_4x4x4f16 a[0:3], v[2:3], v[20:21], a[0:3] cbsz:4 abid:6
	s_waitcnt vmcnt(1)
	v_cmp_ne_u16_sdwa s[18:19], v6, v9 src0_sel:BYTE_0 src1_sel:DWORD
	v_mfma_f32_4x4x4f16 a[0:3], v[2:3], v[14:15], a[0:3] cbsz:4 abid:7
	s_and_saveexec_b64 s[16:17], s[18:19]
	s_cbranch_execz .LBB486_992
; %bb.987:                              ;   in Loop: Header=BB486_794 Depth=1
	v_cmp_ne_u16_sdwa s[20:21], v6, s5 src0_sel:BYTE_0 src1_sel:DWORD
	v_bfrev_b32_e32 v13, 1
	s_and_saveexec_b64 s[18:19], s[20:21]
	s_cbranch_execz .LBB486_991
; %bb.988:                              ;   in Loop: Header=BB486_794 Depth=1
	v_and_b32_e32 v8, 0x7f, v6
	v_cmp_ne_u32_e32 vcc, s23, v8
	v_mov_b32_e32 v13, 0x7f800001
	s_and_saveexec_b64 s[20:21], vcc
	s_cbranch_execz .LBB486_990
; %bb.989:                              ;   in Loop: Header=BB486_794 Depth=1
	v_and_b32_e32 v14, 7, v6
	v_ffbh_u32_e32 v12, v14
	v_min_u32_e32 v16, 32, v12
	v_subrev_u32_e32 v12, 28, v16
	v_lshlrev_b64 v[12:13], v12, v[6:7]
	v_lshrrev_b32_e32 v15, 3, v8
	v_sub_u32_e32 v13, 29, v16
	v_and_b32_e32 v12, 7, v12
	v_cmp_gt_u32_e32 vcc, 8, v8
	v_cndmask_b32_e32 v8, v15, v13, vcc
	v_cndmask_b32_e32 v12, v14, v12, vcc
	v_lshlrev_b32_e32 v13, 24, v6
	v_lshlrev_b32_e32 v12, 20, v12
	v_and_b32_e32 v13, 0x80000000, v13
	v_lshl_add_u32 v8, v8, 23, v10
	v_or3_b32 v13, v13, v8, v12
.LBB486_990:                            ;   in Loop: Header=BB486_794 Depth=1
	s_or_b64 exec, exec, s[20:21]
.LBB486_991:                            ;   in Loop: Header=BB486_794 Depth=1
	s_or_b64 exec, exec, s[18:19]
.LBB486_992:                            ;   in Loop: Header=BB486_794 Depth=1
	s_or_b64 exec, exec, s[16:17]
	v_lshrrev_b16_e32 v8, 8, v6
	v_cmp_ne_u16_e32 vcc, 0, v8
	v_mov_b32_e32 v12, 0
	v_mov_b32_e32 v15, 0
	s_and_saveexec_b64 s[16:17], vcc
	s_cbranch_execz .LBB486_998
; %bb.993:                              ;   in Loop: Header=BB486_794 Depth=1
	v_cmp_ne_u16_e32 vcc, s5, v8
	v_bfrev_b32_e32 v15, 1
	s_and_saveexec_b64 s[18:19], vcc
	s_cbranch_execz .LBB486_997
; %bb.994:                              ;   in Loop: Header=BB486_794 Depth=1
	v_and_b32_e32 v14, 0x7f, v8
	v_cmp_ne_u32_e32 vcc, s23, v14
	v_mov_b32_e32 v15, 0x7f800001
	s_and_saveexec_b64 s[20:21], vcc
	s_cbranch_execz .LBB486_996
; %bb.995:                              ;   in Loop: Header=BB486_794 Depth=1
	v_and_b32_e32 v15, 7, v8
	v_ffbh_u32_e32 v16, v15
	v_min_u32_e32 v19, 32, v16
	v_subrev_u32_e32 v16, 28, v19
	v_lshlrev_b64 v[16:17], v16, v[8:9]
	v_lshrrev_b32_e32 v18, 3, v14
	v_sub_u32_e32 v8, 29, v19
	v_and_b32_e32 v16, 7, v16
	v_cmp_gt_u32_e32 vcc, 8, v14
	v_cndmask_b32_e32 v8, v18, v8, vcc
	v_cndmask_b32_e32 v14, v15, v16, vcc
	v_lshlrev_b32_e32 v15, 16, v6
	v_lshlrev_b32_e32 v14, 20, v14
	v_and_b32_e32 v15, 0x80000000, v15
	v_lshl_add_u32 v8, v8, 23, v10
	v_or3_b32 v15, v15, v8, v14
.LBB486_996:                            ;   in Loop: Header=BB486_794 Depth=1
	s_or_b64 exec, exec, s[20:21]
.LBB486_997:                            ;   in Loop: Header=BB486_794 Depth=1
	s_or_b64 exec, exec, s[18:19]
.LBB486_998:                            ;   in Loop: Header=BB486_794 Depth=1
	s_or_b64 exec, exec, s[16:17]
	v_lshrrev_b32_e32 v8, 16, v6
	v_cmp_ne_u16_sdwa s[18:19], v8, v9 src0_sel:BYTE_0 src1_sel:DWORD
	s_and_saveexec_b64 s[16:17], s[18:19]
	s_cbranch_execz .LBB486_1004
; %bb.999:                              ;   in Loop: Header=BB486_794 Depth=1
	v_cmp_ne_u16_sdwa s[20:21], v8, s5 src0_sel:BYTE_0 src1_sel:DWORD
	v_bfrev_b32_e32 v12, 1
	s_and_saveexec_b64 s[18:19], s[20:21]
	s_cbranch_execz .LBB486_1003
; %bb.1000:                             ;   in Loop: Header=BB486_794 Depth=1
	v_bfe_u32 v14, v6, 16, 7
	v_cmp_ne_u32_e32 vcc, s23, v14
	v_mov_b32_e32 v12, 0x7f800001
	s_and_saveexec_b64 s[20:21], vcc
	s_cbranch_execz .LBB486_1002
; %bb.1001:                             ;   in Loop: Header=BB486_794 Depth=1
	v_and_b32_e32 v12, 7, v8
	v_ffbh_u32_e32 v16, v12
	v_min_u32_e32 v19, 32, v16
	v_subrev_u32_e32 v16, 28, v19
	v_lshlrev_b64 v[16:17], v16, v[8:9]
	v_lshrrev_b32_e32 v18, 3, v14
	v_sub_u32_e32 v17, 29, v19
	v_and_b32_e32 v16, 7, v16
	v_cmp_gt_u32_e32 vcc, 8, v14
	v_cndmask_b32_e32 v14, v18, v17, vcc
	v_cndmask_b32_e32 v12, v12, v16, vcc
	v_lshlrev_b32_e32 v8, 24, v8
	v_lshlrev_b32_e32 v12, 20, v12
	v_and_b32_e32 v8, 0x80000000, v8
	v_lshl_add_u32 v14, v14, 23, v10
	v_or3_b32 v12, v8, v14, v12
.LBB486_1002:                           ;   in Loop: Header=BB486_794 Depth=1
	s_or_b64 exec, exec, s[20:21]
.LBB486_1003:                           ;   in Loop: Header=BB486_794 Depth=1
	s_or_b64 exec, exec, s[18:19]
.LBB486_1004:                           ;   in Loop: Header=BB486_794 Depth=1
	s_or_b64 exec, exec, s[16:17]
	v_cmp_lt_u32_e32 vcc, s24, v6
	v_mov_b32_e32 v16, 0
	v_mov_b32_e32 v17, 0
	s_and_saveexec_b64 s[16:17], vcc
	s_cbranch_execz .LBB486_1010
; %bb.1005:                             ;   in Loop: Header=BB486_794 Depth=1
	v_lshrrev_b32_e32 v8, 24, v6
	v_cmp_ne_u32_e32 vcc, s5, v8
	v_bfrev_b32_e32 v17, 1
	s_and_saveexec_b64 s[18:19], vcc
	s_cbranch_execz .LBB486_1009
; %bb.1006:                             ;   in Loop: Header=BB486_794 Depth=1
	v_bfe_u32 v6, v6, 24, 7
	v_cmp_ne_u32_e32 vcc, s23, v6
	v_mov_b32_e32 v17, 0x7f800001
	s_and_saveexec_b64 s[20:21], vcc
	s_cbranch_execz .LBB486_1008
; %bb.1007:                             ;   in Loop: Header=BB486_794 Depth=1
	v_and_b32_e32 v14, 7, v8
	v_ffbh_u32_e32 v18, v14
	v_min_u32_e32 v20, 32, v18
	v_subrev_u32_e32 v18, 28, v20
	v_lshlrev_b64 v[18:19], v18, v[8:9]
	v_lshrrev_b32_e32 v17, 3, v6
	v_sub_u32_e32 v19, 29, v20
	v_and_b32_e32 v18, 7, v18
	v_cmp_gt_u32_e32 vcc, 8, v6
	v_cndmask_b32_e32 v6, v17, v19, vcc
	v_cndmask_b32_e32 v14, v14, v18, vcc
	v_lshlrev_b32_e32 v8, 24, v8
	v_lshlrev_b32_e32 v14, 20, v14
	v_and_b32_e32 v8, 0x80000000, v8
	v_lshl_add_u32 v6, v6, 23, v10
	v_or3_b32 v17, v8, v6, v14
.LBB486_1008:                           ;   in Loop: Header=BB486_794 Depth=1
	s_or_b64 exec, exec, s[20:21]
.LBB486_1009:                           ;   in Loop: Header=BB486_794 Depth=1
	s_or_b64 exec, exec, s[18:19]
.LBB486_1010:                           ;   in Loop: Header=BB486_794 Depth=1
	s_or_b64 exec, exec, s[16:17]
	s_waitcnt vmcnt(0)
	v_cmp_ne_u16_sdwa s[18:19], v4, v9 src0_sel:BYTE_0 src1_sel:DWORD
	s_and_saveexec_b64 s[16:17], s[18:19]
	s_cbranch_execz .LBB486_1016
; %bb.1011:                             ;   in Loop: Header=BB486_794 Depth=1
	v_cmp_ne_u16_sdwa s[20:21], v4, s5 src0_sel:BYTE_0 src1_sel:DWORD
	v_bfrev_b32_e32 v16, 1
	s_and_saveexec_b64 s[18:19], s[20:21]
	s_cbranch_execz .LBB486_1015
; %bb.1012:                             ;   in Loop: Header=BB486_794 Depth=1
	v_and_b32_e32 v6, 0x7f, v4
	v_cmp_ne_u32_e32 vcc, s23, v6
	v_mov_b32_e32 v16, 0x7f800001
	s_and_saveexec_b64 s[20:21], vcc
	s_cbranch_execz .LBB486_1014
; %bb.1013:                             ;   in Loop: Header=BB486_794 Depth=1
	v_and_b32_e32 v8, 7, v4
	v_ffbh_u32_e32 v16, v8
	v_min_u32_e32 v16, 32, v16
	v_subrev_u32_e32 v18, 28, v16
	v_lshlrev_b64 v[18:19], v18, v[4:5]
	v_lshrrev_b32_e32 v14, 3, v6
	v_sub_u32_e32 v16, 29, v16
	v_and_b32_e32 v18, 7, v18
	v_cmp_gt_u32_e32 vcc, 8, v6
	v_cndmask_b32_e32 v6, v14, v16, vcc
	v_cndmask_b32_e32 v8, v8, v18, vcc
	v_lshlrev_b32_e32 v14, 24, v4
	v_lshlrev_b32_e32 v8, 20, v8
	v_and_b32_e32 v14, 0x80000000, v14
	v_lshl_add_u32 v6, v6, 23, v10
	v_or3_b32 v16, v14, v6, v8
.LBB486_1014:                           ;   in Loop: Header=BB486_794 Depth=1
	s_or_b64 exec, exec, s[20:21]
.LBB486_1015:                           ;   in Loop: Header=BB486_794 Depth=1
	s_or_b64 exec, exec, s[18:19]
.LBB486_1016:                           ;   in Loop: Header=BB486_794 Depth=1
	s_or_b64 exec, exec, s[16:17]
	v_lshrrev_b16_e32 v6, 8, v4
	v_cmp_ne_u16_e32 vcc, 0, v6
	v_mov_b32_e32 v8, 0
	v_mov_b32_e32 v18, 0
	s_and_saveexec_b64 s[16:17], vcc
	s_cbranch_execz .LBB486_1022
; %bb.1017:                             ;   in Loop: Header=BB486_794 Depth=1
	v_cmp_ne_u16_e32 vcc, s5, v6
	v_bfrev_b32_e32 v18, 1
	s_and_saveexec_b64 s[18:19], vcc
	s_cbranch_execz .LBB486_1021
; %bb.1018:                             ;   in Loop: Header=BB486_794 Depth=1
	v_and_b32_e32 v14, 0x7f, v6
	v_cmp_ne_u32_e32 vcc, s23, v14
	v_mov_b32_e32 v18, 0x7f800001
	s_and_saveexec_b64 s[20:21], vcc
	s_cbranch_execz .LBB486_1020
; %bb.1019:                             ;   in Loop: Header=BB486_794 Depth=1
	v_and_b32_e32 v20, 7, v6
	v_ffbh_u32_e32 v18, v20
	v_min_u32_e32 v22, 32, v18
	v_subrev_u32_e32 v18, 28, v22
	v_lshlrev_b64 v[18:19], v18, v[6:7]
	v_lshrrev_b32_e32 v21, 3, v14
	v_sub_u32_e32 v6, 29, v22
	v_and_b32_e32 v18, 7, v18
	v_cmp_gt_u32_e32 vcc, 8, v14
	v_cndmask_b32_e32 v6, v21, v6, vcc
	v_cndmask_b32_e32 v14, v20, v18, vcc
	v_lshlrev_b32_e32 v18, 16, v4
	v_lshlrev_b32_e32 v14, 20, v14
	v_and_b32_e32 v18, 0x80000000, v18
	v_lshl_add_u32 v6, v6, 23, v10
	v_or3_b32 v18, v18, v6, v14
.LBB486_1020:                           ;   in Loop: Header=BB486_794 Depth=1
	s_or_b64 exec, exec, s[20:21]
.LBB486_1021:                           ;   in Loop: Header=BB486_794 Depth=1
	s_or_b64 exec, exec, s[18:19]
.LBB486_1022:                           ;   in Loop: Header=BB486_794 Depth=1
	s_or_b64 exec, exec, s[16:17]
	v_lshrrev_b32_e32 v6, 16, v4
	v_cmp_ne_u16_sdwa s[18:19], v6, v9 src0_sel:BYTE_0 src1_sel:DWORD
	s_and_saveexec_b64 s[16:17], s[18:19]
	s_cbranch_execz .LBB486_1028
; %bb.1023:                             ;   in Loop: Header=BB486_794 Depth=1
	v_cmp_ne_u16_sdwa s[20:21], v6, s5 src0_sel:BYTE_0 src1_sel:DWORD
	v_bfrev_b32_e32 v8, 1
	s_and_saveexec_b64 s[18:19], s[20:21]
	s_cbranch_execz .LBB486_1027
; %bb.1024:                             ;   in Loop: Header=BB486_794 Depth=1
	v_bfe_u32 v14, v4, 16, 7
	v_cmp_ne_u32_e32 vcc, s23, v14
	v_mov_b32_e32 v8, 0x7f800001
	s_and_saveexec_b64 s[20:21], vcc
	s_cbranch_execz .LBB486_1026
; %bb.1025:                             ;   in Loop: Header=BB486_794 Depth=1
	v_and_b32_e32 v8, 7, v6
	v_ffbh_u32_e32 v20, v8
	v_min_u32_e32 v22, 32, v20
	v_subrev_u32_e32 v20, 28, v22
	v_lshlrev_b64 v[20:21], v20, v[6:7]
	v_lshrrev_b32_e32 v19, 3, v14
	v_sub_u32_e32 v21, 29, v22
	v_and_b32_e32 v20, 7, v20
	v_cmp_gt_u32_e32 vcc, 8, v14
	v_cndmask_b32_e32 v14, v19, v21, vcc
	v_cndmask_b32_e32 v8, v8, v20, vcc
	v_lshlrev_b32_e32 v6, 24, v6
	v_lshlrev_b32_e32 v8, 20, v8
	v_and_b32_e32 v6, 0x80000000, v6
	v_lshl_add_u32 v14, v14, 23, v10
	v_or3_b32 v8, v6, v14, v8
.LBB486_1026:                           ;   in Loop: Header=BB486_794 Depth=1
	s_or_b64 exec, exec, s[20:21]
.LBB486_1027:                           ;   in Loop: Header=BB486_794 Depth=1
	s_or_b64 exec, exec, s[18:19]
.LBB486_1028:                           ;   in Loop: Header=BB486_794 Depth=1
	s_or_b64 exec, exec, s[16:17]
	v_cmp_lt_u32_e32 vcc, s24, v4
	v_mov_b32_e32 v14, 0
	v_mov_b32_e32 v19, 0
	s_and_saveexec_b64 s[16:17], vcc
	s_cbranch_execz .LBB486_1034
; %bb.1029:                             ;   in Loop: Header=BB486_794 Depth=1
	v_lshrrev_b32_e32 v6, 24, v4
	v_cmp_ne_u32_e32 vcc, s5, v6
	v_bfrev_b32_e32 v19, 1
	s_and_saveexec_b64 s[18:19], vcc
	s_cbranch_execz .LBB486_1033
; %bb.1030:                             ;   in Loop: Header=BB486_794 Depth=1
	v_bfe_u32 v4, v4, 24, 7
	v_cmp_ne_u32_e32 vcc, s23, v4
	v_mov_b32_e32 v19, 0x7f800001
	s_and_saveexec_b64 s[20:21], vcc
	s_cbranch_execz .LBB486_1032
; %bb.1031:                             ;   in Loop: Header=BB486_794 Depth=1
	v_and_b32_e32 v19, 7, v6
	v_ffbh_u32_e32 v20, v19
	v_min_u32_e32 v23, 32, v20
	v_subrev_u32_e32 v20, 28, v23
	v_lshlrev_b64 v[20:21], v20, v[6:7]
	v_lshrrev_b32_e32 v22, 3, v4
	v_sub_u32_e32 v21, 29, v23
	v_and_b32_e32 v20, 7, v20
	v_cmp_gt_u32_e32 vcc, 8, v4
	v_cndmask_b32_e32 v4, v22, v21, vcc
	v_cndmask_b32_e32 v19, v19, v20, vcc
	v_lshlrev_b32_e32 v6, 24, v6
	v_lshlrev_b32_e32 v19, 20, v19
	v_and_b32_e32 v6, 0x80000000, v6
	v_lshl_add_u32 v4, v4, 23, v10
	v_or3_b32 v19, v6, v4, v19
.LBB486_1032:                           ;   in Loop: Header=BB486_794 Depth=1
	s_or_b64 exec, exec, s[20:21]
.LBB486_1033:                           ;   in Loop: Header=BB486_794 Depth=1
	s_or_b64 exec, exec, s[18:19]
.LBB486_1034:                           ;   in Loop: Header=BB486_794 Depth=1
	s_or_b64 exec, exec, s[16:17]
	buffer_load_dword v6, v11, s[0:3], 0 offen offset:40
	buffer_load_dword v4, v11, s[0:3], 0 offen offset:44
	v_cvt_pkrtz_f16_f32 v20, v13, v15
	v_cvt_pkrtz_f16_f32 v21, v12, v17
	;; [unrolled: 1-line block ×4, first 2 shown]
	v_mfma_f32_4x4x4f16 a[0:3], v[2:3], v[20:21], a[0:3] cbsz:4 abid:8
	s_waitcnt vmcnt(1)
	v_cmp_ne_u16_sdwa s[18:19], v6, v9 src0_sel:BYTE_0 src1_sel:DWORD
	v_mfma_f32_4x4x4f16 a[0:3], v[2:3], v[12:13], a[0:3] cbsz:4 abid:9
	s_and_saveexec_b64 s[16:17], s[18:19]
	s_cbranch_execz .LBB486_1040
; %bb.1035:                             ;   in Loop: Header=BB486_794 Depth=1
	v_cmp_ne_u16_sdwa s[20:21], v6, s5 src0_sel:BYTE_0 src1_sel:DWORD
	v_bfrev_b32_e32 v14, 1
	s_and_saveexec_b64 s[18:19], s[20:21]
	s_cbranch_execz .LBB486_1039
; %bb.1036:                             ;   in Loop: Header=BB486_794 Depth=1
	v_and_b32_e32 v8, 0x7f, v6
	v_cmp_ne_u32_e32 vcc, s23, v8
	v_mov_b32_e32 v14, 0x7f800001
	s_and_saveexec_b64 s[20:21], vcc
	s_cbranch_execz .LBB486_1038
; %bb.1037:                             ;   in Loop: Header=BB486_794 Depth=1
	v_and_b32_e32 v14, 7, v6
	v_ffbh_u32_e32 v12, v14
	v_min_u32_e32 v16, 32, v12
	v_subrev_u32_e32 v12, 28, v16
	v_lshlrev_b64 v[12:13], v12, v[6:7]
	v_lshrrev_b32_e32 v15, 3, v8
	v_sub_u32_e32 v13, 29, v16
	v_and_b32_e32 v12, 7, v12
	v_cmp_gt_u32_e32 vcc, 8, v8
	v_cndmask_b32_e32 v8, v15, v13, vcc
	v_cndmask_b32_e32 v12, v14, v12, vcc
	v_lshlrev_b32_e32 v13, 24, v6
	v_lshlrev_b32_e32 v12, 20, v12
	v_and_b32_e32 v13, 0x80000000, v13
	v_lshl_add_u32 v8, v8, 23, v10
	v_or3_b32 v14, v13, v8, v12
.LBB486_1038:                           ;   in Loop: Header=BB486_794 Depth=1
	s_or_b64 exec, exec, s[20:21]
.LBB486_1039:                           ;   in Loop: Header=BB486_794 Depth=1
	s_or_b64 exec, exec, s[18:19]
.LBB486_1040:                           ;   in Loop: Header=BB486_794 Depth=1
	s_or_b64 exec, exec, s[16:17]
	v_lshrrev_b16_e32 v8, 8, v6
	v_cmp_ne_u16_e32 vcc, 0, v8
	v_mov_b32_e32 v13, 0
	v_mov_b32_e32 v15, 0
	s_and_saveexec_b64 s[16:17], vcc
	s_cbranch_execz .LBB486_1046
; %bb.1041:                             ;   in Loop: Header=BB486_794 Depth=1
	v_cmp_ne_u16_e32 vcc, s5, v8
	v_bfrev_b32_e32 v15, 1
	s_and_saveexec_b64 s[18:19], vcc
	s_cbranch_execz .LBB486_1045
; %bb.1042:                             ;   in Loop: Header=BB486_794 Depth=1
	v_and_b32_e32 v12, 0x7f, v8
	v_cmp_ne_u32_e32 vcc, s23, v12
	v_mov_b32_e32 v15, 0x7f800001
	s_and_saveexec_b64 s[20:21], vcc
	s_cbranch_execz .LBB486_1044
; %bb.1043:                             ;   in Loop: Header=BB486_794 Depth=1
	v_and_b32_e32 v15, 7, v8
	v_ffbh_u32_e32 v16, v15
	v_min_u32_e32 v19, 32, v16
	v_subrev_u32_e32 v16, 28, v19
	v_lshlrev_b64 v[16:17], v16, v[8:9]
	v_lshrrev_b32_e32 v18, 3, v12
	v_sub_u32_e32 v8, 29, v19
	v_and_b32_e32 v16, 7, v16
	v_cmp_gt_u32_e32 vcc, 8, v12
	v_cndmask_b32_e32 v8, v18, v8, vcc
	v_cndmask_b32_e32 v12, v15, v16, vcc
	v_lshlrev_b32_e32 v15, 16, v6
	v_lshlrev_b32_e32 v12, 20, v12
	v_and_b32_e32 v15, 0x80000000, v15
	v_lshl_add_u32 v8, v8, 23, v10
	v_or3_b32 v15, v15, v8, v12
.LBB486_1044:                           ;   in Loop: Header=BB486_794 Depth=1
	s_or_b64 exec, exec, s[20:21]
.LBB486_1045:                           ;   in Loop: Header=BB486_794 Depth=1
	s_or_b64 exec, exec, s[18:19]
.LBB486_1046:                           ;   in Loop: Header=BB486_794 Depth=1
	s_or_b64 exec, exec, s[16:17]
	v_lshrrev_b32_e32 v8, 16, v6
	v_cmp_ne_u16_sdwa s[18:19], v8, v9 src0_sel:BYTE_0 src1_sel:DWORD
	s_and_saveexec_b64 s[16:17], s[18:19]
	s_cbranch_execz .LBB486_1052
; %bb.1047:                             ;   in Loop: Header=BB486_794 Depth=1
	v_cmp_ne_u16_sdwa s[20:21], v8, s5 src0_sel:BYTE_0 src1_sel:DWORD
	v_bfrev_b32_e32 v13, 1
	s_and_saveexec_b64 s[18:19], s[20:21]
	s_cbranch_execz .LBB486_1051
; %bb.1048:                             ;   in Loop: Header=BB486_794 Depth=1
	v_bfe_u32 v12, v6, 16, 7
	v_cmp_ne_u32_e32 vcc, s23, v12
	v_mov_b32_e32 v13, 0x7f800001
	s_and_saveexec_b64 s[20:21], vcc
	s_cbranch_execz .LBB486_1050
; %bb.1049:                             ;   in Loop: Header=BB486_794 Depth=1
	v_and_b32_e32 v13, 7, v8
	v_ffbh_u32_e32 v16, v13
	v_min_u32_e32 v19, 32, v16
	v_subrev_u32_e32 v16, 28, v19
	v_lshlrev_b64 v[16:17], v16, v[8:9]
	v_lshrrev_b32_e32 v18, 3, v12
	v_sub_u32_e32 v17, 29, v19
	v_and_b32_e32 v16, 7, v16
	v_cmp_gt_u32_e32 vcc, 8, v12
	v_cndmask_b32_e32 v12, v18, v17, vcc
	v_cndmask_b32_e32 v13, v13, v16, vcc
	v_lshlrev_b32_e32 v8, 24, v8
	v_lshlrev_b32_e32 v13, 20, v13
	v_and_b32_e32 v8, 0x80000000, v8
	v_lshl_add_u32 v12, v12, 23, v10
	v_or3_b32 v13, v8, v12, v13
.LBB486_1050:                           ;   in Loop: Header=BB486_794 Depth=1
	s_or_b64 exec, exec, s[20:21]
.LBB486_1051:                           ;   in Loop: Header=BB486_794 Depth=1
	s_or_b64 exec, exec, s[18:19]
.LBB486_1052:                           ;   in Loop: Header=BB486_794 Depth=1
	s_or_b64 exec, exec, s[16:17]
	v_cmp_lt_u32_e32 vcc, s24, v6
	v_mov_b32_e32 v16, 0
	v_mov_b32_e32 v17, 0
	s_and_saveexec_b64 s[16:17], vcc
	s_cbranch_execz .LBB486_1058
; %bb.1053:                             ;   in Loop: Header=BB486_794 Depth=1
	v_lshrrev_b32_e32 v8, 24, v6
	v_cmp_ne_u32_e32 vcc, s5, v8
	v_bfrev_b32_e32 v17, 1
	s_and_saveexec_b64 s[18:19], vcc
	s_cbranch_execz .LBB486_1057
; %bb.1054:                             ;   in Loop: Header=BB486_794 Depth=1
	v_bfe_u32 v6, v6, 24, 7
	v_cmp_ne_u32_e32 vcc, s23, v6
	v_mov_b32_e32 v17, 0x7f800001
	s_and_saveexec_b64 s[20:21], vcc
	s_cbranch_execz .LBB486_1056
; %bb.1055:                             ;   in Loop: Header=BB486_794 Depth=1
	v_and_b32_e32 v12, 7, v8
	v_ffbh_u32_e32 v18, v12
	v_min_u32_e32 v20, 32, v18
	v_subrev_u32_e32 v18, 28, v20
	v_lshlrev_b64 v[18:19], v18, v[8:9]
	v_lshrrev_b32_e32 v17, 3, v6
	v_sub_u32_e32 v19, 29, v20
	v_and_b32_e32 v18, 7, v18
	v_cmp_gt_u32_e32 vcc, 8, v6
	v_cndmask_b32_e32 v6, v17, v19, vcc
	v_cndmask_b32_e32 v12, v12, v18, vcc
	v_lshlrev_b32_e32 v8, 24, v8
	v_lshlrev_b32_e32 v12, 20, v12
	v_and_b32_e32 v8, 0x80000000, v8
	v_lshl_add_u32 v6, v6, 23, v10
	v_or3_b32 v17, v8, v6, v12
.LBB486_1056:                           ;   in Loop: Header=BB486_794 Depth=1
	s_or_b64 exec, exec, s[20:21]
.LBB486_1057:                           ;   in Loop: Header=BB486_794 Depth=1
	s_or_b64 exec, exec, s[18:19]
.LBB486_1058:                           ;   in Loop: Header=BB486_794 Depth=1
	s_or_b64 exec, exec, s[16:17]
	s_waitcnt vmcnt(0)
	v_cmp_ne_u16_sdwa s[18:19], v4, v9 src0_sel:BYTE_0 src1_sel:DWORD
	s_and_saveexec_b64 s[16:17], s[18:19]
	s_cbranch_execz .LBB486_1064
; %bb.1059:                             ;   in Loop: Header=BB486_794 Depth=1
	v_cmp_ne_u16_sdwa s[20:21], v4, s5 src0_sel:BYTE_0 src1_sel:DWORD
	v_bfrev_b32_e32 v16, 1
	s_and_saveexec_b64 s[18:19], s[20:21]
	s_cbranch_execz .LBB486_1063
; %bb.1060:                             ;   in Loop: Header=BB486_794 Depth=1
	v_and_b32_e32 v6, 0x7f, v4
	v_cmp_ne_u32_e32 vcc, s23, v6
	v_mov_b32_e32 v16, 0x7f800001
	s_and_saveexec_b64 s[20:21], vcc
	s_cbranch_execz .LBB486_1062
; %bb.1061:                             ;   in Loop: Header=BB486_794 Depth=1
	v_and_b32_e32 v8, 7, v4
	v_ffbh_u32_e32 v16, v8
	v_min_u32_e32 v16, 32, v16
	v_subrev_u32_e32 v18, 28, v16
	v_lshlrev_b64 v[18:19], v18, v[4:5]
	v_lshrrev_b32_e32 v12, 3, v6
	v_sub_u32_e32 v16, 29, v16
	v_and_b32_e32 v18, 7, v18
	v_cmp_gt_u32_e32 vcc, 8, v6
	v_cndmask_b32_e32 v6, v12, v16, vcc
	v_cndmask_b32_e32 v8, v8, v18, vcc
	v_lshlrev_b32_e32 v12, 24, v4
	v_lshlrev_b32_e32 v8, 20, v8
	v_and_b32_e32 v12, 0x80000000, v12
	v_lshl_add_u32 v6, v6, 23, v10
	v_or3_b32 v16, v12, v6, v8
.LBB486_1062:                           ;   in Loop: Header=BB486_794 Depth=1
	s_or_b64 exec, exec, s[20:21]
.LBB486_1063:                           ;   in Loop: Header=BB486_794 Depth=1
	s_or_b64 exec, exec, s[18:19]
.LBB486_1064:                           ;   in Loop: Header=BB486_794 Depth=1
	s_or_b64 exec, exec, s[16:17]
	v_lshrrev_b16_e32 v6, 8, v4
	v_cmp_ne_u16_e32 vcc, 0, v6
	v_mov_b32_e32 v8, 0
	v_mov_b32_e32 v18, 0
	s_and_saveexec_b64 s[16:17], vcc
	s_cbranch_execz .LBB486_1070
; %bb.1065:                             ;   in Loop: Header=BB486_794 Depth=1
	v_cmp_ne_u16_e32 vcc, s5, v6
	v_bfrev_b32_e32 v18, 1
	s_and_saveexec_b64 s[18:19], vcc
	s_cbranch_execz .LBB486_1069
; %bb.1066:                             ;   in Loop: Header=BB486_794 Depth=1
	v_and_b32_e32 v12, 0x7f, v6
	v_cmp_ne_u32_e32 vcc, s23, v12
	v_mov_b32_e32 v18, 0x7f800001
	s_and_saveexec_b64 s[20:21], vcc
	s_cbranch_execz .LBB486_1068
; %bb.1067:                             ;   in Loop: Header=BB486_794 Depth=1
	v_and_b32_e32 v20, 7, v6
	v_ffbh_u32_e32 v18, v20
	v_min_u32_e32 v22, 32, v18
	v_subrev_u32_e32 v18, 28, v22
	v_lshlrev_b64 v[18:19], v18, v[6:7]
	v_lshrrev_b32_e32 v21, 3, v12
	v_sub_u32_e32 v6, 29, v22
	v_and_b32_e32 v18, 7, v18
	v_cmp_gt_u32_e32 vcc, 8, v12
	v_cndmask_b32_e32 v6, v21, v6, vcc
	v_cndmask_b32_e32 v12, v20, v18, vcc
	v_lshlrev_b32_e32 v18, 16, v4
	v_lshlrev_b32_e32 v12, 20, v12
	v_and_b32_e32 v18, 0x80000000, v18
	v_lshl_add_u32 v6, v6, 23, v10
	v_or3_b32 v18, v18, v6, v12
.LBB486_1068:                           ;   in Loop: Header=BB486_794 Depth=1
	s_or_b64 exec, exec, s[20:21]
.LBB486_1069:                           ;   in Loop: Header=BB486_794 Depth=1
	s_or_b64 exec, exec, s[18:19]
.LBB486_1070:                           ;   in Loop: Header=BB486_794 Depth=1
	s_or_b64 exec, exec, s[16:17]
	v_lshrrev_b32_e32 v6, 16, v4
	v_cmp_ne_u16_sdwa s[18:19], v6, v9 src0_sel:BYTE_0 src1_sel:DWORD
	s_and_saveexec_b64 s[16:17], s[18:19]
	s_cbranch_execz .LBB486_1076
; %bb.1071:                             ;   in Loop: Header=BB486_794 Depth=1
	v_cmp_ne_u16_sdwa s[20:21], v6, s5 src0_sel:BYTE_0 src1_sel:DWORD
	v_bfrev_b32_e32 v8, 1
	s_and_saveexec_b64 s[18:19], s[20:21]
	s_cbranch_execz .LBB486_1075
; %bb.1072:                             ;   in Loop: Header=BB486_794 Depth=1
	v_bfe_u32 v12, v4, 16, 7
	v_cmp_ne_u32_e32 vcc, s23, v12
	v_mov_b32_e32 v8, 0x7f800001
	s_and_saveexec_b64 s[20:21], vcc
	s_cbranch_execz .LBB486_1074
; %bb.1073:                             ;   in Loop: Header=BB486_794 Depth=1
	v_and_b32_e32 v8, 7, v6
	v_ffbh_u32_e32 v20, v8
	v_min_u32_e32 v22, 32, v20
	v_subrev_u32_e32 v20, 28, v22
	v_lshlrev_b64 v[20:21], v20, v[6:7]
	v_lshrrev_b32_e32 v19, 3, v12
	v_sub_u32_e32 v21, 29, v22
	v_and_b32_e32 v20, 7, v20
	v_cmp_gt_u32_e32 vcc, 8, v12
	v_cndmask_b32_e32 v12, v19, v21, vcc
	v_cndmask_b32_e32 v8, v8, v20, vcc
	v_lshlrev_b32_e32 v6, 24, v6
	v_lshlrev_b32_e32 v8, 20, v8
	v_and_b32_e32 v6, 0x80000000, v6
	v_lshl_add_u32 v12, v12, 23, v10
	v_or3_b32 v8, v6, v12, v8
.LBB486_1074:                           ;   in Loop: Header=BB486_794 Depth=1
	s_or_b64 exec, exec, s[20:21]
.LBB486_1075:                           ;   in Loop: Header=BB486_794 Depth=1
	s_or_b64 exec, exec, s[18:19]
.LBB486_1076:                           ;   in Loop: Header=BB486_794 Depth=1
	s_or_b64 exec, exec, s[16:17]
	v_cmp_lt_u32_e32 vcc, s24, v4
	v_mov_b32_e32 v12, 0
	v_mov_b32_e32 v19, 0
	s_and_saveexec_b64 s[16:17], vcc
	s_cbranch_execz .LBB486_1082
; %bb.1077:                             ;   in Loop: Header=BB486_794 Depth=1
	v_lshrrev_b32_e32 v6, 24, v4
	v_cmp_ne_u32_e32 vcc, s5, v6
	v_bfrev_b32_e32 v19, 1
	s_and_saveexec_b64 s[18:19], vcc
	s_cbranch_execz .LBB486_1081
; %bb.1078:                             ;   in Loop: Header=BB486_794 Depth=1
	v_bfe_u32 v4, v4, 24, 7
	v_cmp_ne_u32_e32 vcc, s23, v4
	v_mov_b32_e32 v19, 0x7f800001
	s_and_saveexec_b64 s[20:21], vcc
	s_cbranch_execz .LBB486_1080
; %bb.1079:                             ;   in Loop: Header=BB486_794 Depth=1
	v_and_b32_e32 v19, 7, v6
	v_ffbh_u32_e32 v20, v19
	v_min_u32_e32 v23, 32, v20
	v_subrev_u32_e32 v20, 28, v23
	v_lshlrev_b64 v[20:21], v20, v[6:7]
	v_lshrrev_b32_e32 v22, 3, v4
	v_sub_u32_e32 v21, 29, v23
	v_and_b32_e32 v20, 7, v20
	v_cmp_gt_u32_e32 vcc, 8, v4
	v_cndmask_b32_e32 v4, v22, v21, vcc
	v_cndmask_b32_e32 v19, v19, v20, vcc
	v_lshlrev_b32_e32 v6, 24, v6
	v_lshlrev_b32_e32 v19, 20, v19
	v_and_b32_e32 v6, 0x80000000, v6
	v_lshl_add_u32 v4, v4, 23, v10
	v_or3_b32 v19, v6, v4, v19
.LBB486_1080:                           ;   in Loop: Header=BB486_794 Depth=1
	s_or_b64 exec, exec, s[20:21]
.LBB486_1081:                           ;   in Loop: Header=BB486_794 Depth=1
	s_or_b64 exec, exec, s[18:19]
.LBB486_1082:                           ;   in Loop: Header=BB486_794 Depth=1
	s_or_b64 exec, exec, s[16:17]
	buffer_load_dword v6, v11, s[0:3], 0 offen offset:48
	buffer_load_dword v4, v11, s[0:3], 0 offen offset:52
	v_cvt_pkrtz_f16_f32 v14, v14, v15
	v_cvt_pkrtz_f16_f32 v15, v13, v17
	;; [unrolled: 1-line block ×4, first 2 shown]
	v_mfma_f32_4x4x4f16 a[0:3], v[2:3], v[14:15], a[0:3] cbsz:4 abid:10
	s_waitcnt vmcnt(1)
	v_cmp_ne_u16_sdwa s[18:19], v6, v9 src0_sel:BYTE_0 src1_sel:DWORD
	v_mfma_f32_4x4x4f16 a[0:3], v[2:3], v[16:17], a[0:3] cbsz:4 abid:11
	s_and_saveexec_b64 s[16:17], s[18:19]
	s_cbranch_execz .LBB486_1088
; %bb.1083:                             ;   in Loop: Header=BB486_794 Depth=1
	v_cmp_ne_u16_sdwa s[20:21], v6, s5 src0_sel:BYTE_0 src1_sel:DWORD
	v_bfrev_b32_e32 v12, 1
	s_and_saveexec_b64 s[18:19], s[20:21]
	s_cbranch_execz .LBB486_1087
; %bb.1084:                             ;   in Loop: Header=BB486_794 Depth=1
	v_and_b32_e32 v8, 0x7f, v6
	v_cmp_ne_u32_e32 vcc, s23, v8
	v_mov_b32_e32 v12, 0x7f800001
	s_and_saveexec_b64 s[20:21], vcc
	s_cbranch_execz .LBB486_1086
; %bb.1085:                             ;   in Loop: Header=BB486_794 Depth=1
	v_and_b32_e32 v14, 7, v6
	v_ffbh_u32_e32 v12, v14
	v_min_u32_e32 v16, 32, v12
	v_subrev_u32_e32 v12, 28, v16
	v_lshlrev_b64 v[12:13], v12, v[6:7]
	v_lshrrev_b32_e32 v15, 3, v8
	v_sub_u32_e32 v13, 29, v16
	v_and_b32_e32 v12, 7, v12
	v_cmp_gt_u32_e32 vcc, 8, v8
	v_cndmask_b32_e32 v8, v15, v13, vcc
	v_cndmask_b32_e32 v12, v14, v12, vcc
	v_lshlrev_b32_e32 v13, 24, v6
	v_lshlrev_b32_e32 v12, 20, v12
	v_and_b32_e32 v13, 0x80000000, v13
	v_lshl_add_u32 v8, v8, 23, v10
	v_or3_b32 v12, v13, v8, v12
.LBB486_1086:                           ;   in Loop: Header=BB486_794 Depth=1
	s_or_b64 exec, exec, s[20:21]
.LBB486_1087:                           ;   in Loop: Header=BB486_794 Depth=1
	s_or_b64 exec, exec, s[18:19]
.LBB486_1088:                           ;   in Loop: Header=BB486_794 Depth=1
	s_or_b64 exec, exec, s[16:17]
	v_lshrrev_b16_e32 v8, 8, v6
	v_cmp_ne_u16_e32 vcc, 0, v8
	v_mov_b32_e32 v14, 0
	v_mov_b32_e32 v15, 0
	s_and_saveexec_b64 s[16:17], vcc
	s_cbranch_execz .LBB486_1094
; %bb.1089:                             ;   in Loop: Header=BB486_794 Depth=1
	v_cmp_ne_u16_e32 vcc, s5, v8
	v_bfrev_b32_e32 v15, 1
	s_and_saveexec_b64 s[18:19], vcc
	s_cbranch_execz .LBB486_1093
; %bb.1090:                             ;   in Loop: Header=BB486_794 Depth=1
	v_and_b32_e32 v13, 0x7f, v8
	v_cmp_ne_u32_e32 vcc, s23, v13
	v_mov_b32_e32 v15, 0x7f800001
	s_and_saveexec_b64 s[20:21], vcc
	s_cbranch_execz .LBB486_1092
; %bb.1091:                             ;   in Loop: Header=BB486_794 Depth=1
	v_and_b32_e32 v15, 7, v8
	v_ffbh_u32_e32 v16, v15
	v_min_u32_e32 v19, 32, v16
	v_subrev_u32_e32 v16, 28, v19
	v_lshlrev_b64 v[16:17], v16, v[8:9]
	v_lshrrev_b32_e32 v18, 3, v13
	v_sub_u32_e32 v8, 29, v19
	v_and_b32_e32 v16, 7, v16
	v_cmp_gt_u32_e32 vcc, 8, v13
	v_cndmask_b32_e32 v8, v18, v8, vcc
	v_cndmask_b32_e32 v13, v15, v16, vcc
	v_lshlrev_b32_e32 v15, 16, v6
	v_lshlrev_b32_e32 v13, 20, v13
	v_and_b32_e32 v15, 0x80000000, v15
	v_lshl_add_u32 v8, v8, 23, v10
	v_or3_b32 v15, v15, v8, v13
.LBB486_1092:                           ;   in Loop: Header=BB486_794 Depth=1
	s_or_b64 exec, exec, s[20:21]
.LBB486_1093:                           ;   in Loop: Header=BB486_794 Depth=1
	s_or_b64 exec, exec, s[18:19]
.LBB486_1094:                           ;   in Loop: Header=BB486_794 Depth=1
	s_or_b64 exec, exec, s[16:17]
	v_lshrrev_b32_e32 v8, 16, v6
	v_cmp_ne_u16_sdwa s[18:19], v8, v9 src0_sel:BYTE_0 src1_sel:DWORD
	s_and_saveexec_b64 s[16:17], s[18:19]
	s_cbranch_execz .LBB486_1100
; %bb.1095:                             ;   in Loop: Header=BB486_794 Depth=1
	v_cmp_ne_u16_sdwa s[20:21], v8, s5 src0_sel:BYTE_0 src1_sel:DWORD
	v_bfrev_b32_e32 v14, 1
	s_and_saveexec_b64 s[18:19], s[20:21]
	s_cbranch_execz .LBB486_1099
; %bb.1096:                             ;   in Loop: Header=BB486_794 Depth=1
	v_bfe_u32 v13, v6, 16, 7
	v_cmp_ne_u32_e32 vcc, s23, v13
	v_mov_b32_e32 v14, 0x7f800001
	s_and_saveexec_b64 s[20:21], vcc
	s_cbranch_execz .LBB486_1098
; %bb.1097:                             ;   in Loop: Header=BB486_794 Depth=1
	v_and_b32_e32 v14, 7, v8
	v_ffbh_u32_e32 v16, v14
	v_min_u32_e32 v19, 32, v16
	v_subrev_u32_e32 v16, 28, v19
	v_lshlrev_b64 v[16:17], v16, v[8:9]
	v_lshrrev_b32_e32 v18, 3, v13
	v_sub_u32_e32 v17, 29, v19
	v_and_b32_e32 v16, 7, v16
	v_cmp_gt_u32_e32 vcc, 8, v13
	v_cndmask_b32_e32 v13, v18, v17, vcc
	v_cndmask_b32_e32 v14, v14, v16, vcc
	v_lshlrev_b32_e32 v8, 24, v8
	v_lshlrev_b32_e32 v14, 20, v14
	v_and_b32_e32 v8, 0x80000000, v8
	v_lshl_add_u32 v13, v13, 23, v10
	v_or3_b32 v14, v8, v13, v14
.LBB486_1098:                           ;   in Loop: Header=BB486_794 Depth=1
	s_or_b64 exec, exec, s[20:21]
.LBB486_1099:                           ;   in Loop: Header=BB486_794 Depth=1
	s_or_b64 exec, exec, s[18:19]
.LBB486_1100:                           ;   in Loop: Header=BB486_794 Depth=1
	s_or_b64 exec, exec, s[16:17]
	v_cmp_lt_u32_e32 vcc, s24, v6
	v_mov_b32_e32 v16, 0
	v_mov_b32_e32 v17, 0
	s_and_saveexec_b64 s[16:17], vcc
	s_cbranch_execz .LBB486_1106
; %bb.1101:                             ;   in Loop: Header=BB486_794 Depth=1
	v_lshrrev_b32_e32 v8, 24, v6
	v_cmp_ne_u32_e32 vcc, s5, v8
	v_bfrev_b32_e32 v17, 1
	s_and_saveexec_b64 s[18:19], vcc
	s_cbranch_execz .LBB486_1105
; %bb.1102:                             ;   in Loop: Header=BB486_794 Depth=1
	v_bfe_u32 v6, v6, 24, 7
	v_cmp_ne_u32_e32 vcc, s23, v6
	v_mov_b32_e32 v17, 0x7f800001
	s_and_saveexec_b64 s[20:21], vcc
	s_cbranch_execz .LBB486_1104
; %bb.1103:                             ;   in Loop: Header=BB486_794 Depth=1
	v_and_b32_e32 v13, 7, v8
	v_ffbh_u32_e32 v18, v13
	v_min_u32_e32 v20, 32, v18
	v_subrev_u32_e32 v18, 28, v20
	v_lshlrev_b64 v[18:19], v18, v[8:9]
	v_lshrrev_b32_e32 v17, 3, v6
	v_sub_u32_e32 v19, 29, v20
	v_and_b32_e32 v18, 7, v18
	v_cmp_gt_u32_e32 vcc, 8, v6
	v_cndmask_b32_e32 v6, v17, v19, vcc
	v_cndmask_b32_e32 v13, v13, v18, vcc
	v_lshlrev_b32_e32 v8, 24, v8
	v_lshlrev_b32_e32 v13, 20, v13
	v_and_b32_e32 v8, 0x80000000, v8
	v_lshl_add_u32 v6, v6, 23, v10
	v_or3_b32 v17, v8, v6, v13
.LBB486_1104:                           ;   in Loop: Header=BB486_794 Depth=1
	s_or_b64 exec, exec, s[20:21]
.LBB486_1105:                           ;   in Loop: Header=BB486_794 Depth=1
	s_or_b64 exec, exec, s[18:19]
.LBB486_1106:                           ;   in Loop: Header=BB486_794 Depth=1
	s_or_b64 exec, exec, s[16:17]
	s_waitcnt vmcnt(0)
	v_cmp_ne_u16_sdwa s[18:19], v4, v9 src0_sel:BYTE_0 src1_sel:DWORD
	s_and_saveexec_b64 s[16:17], s[18:19]
	s_cbranch_execz .LBB486_1112
; %bb.1107:                             ;   in Loop: Header=BB486_794 Depth=1
	v_cmp_ne_u16_sdwa s[20:21], v4, s5 src0_sel:BYTE_0 src1_sel:DWORD
	v_bfrev_b32_e32 v16, 1
	s_and_saveexec_b64 s[18:19], s[20:21]
	s_cbranch_execz .LBB486_1111
; %bb.1108:                             ;   in Loop: Header=BB486_794 Depth=1
	v_and_b32_e32 v6, 0x7f, v4
	v_cmp_ne_u32_e32 vcc, s23, v6
	v_mov_b32_e32 v16, 0x7f800001
	s_and_saveexec_b64 s[20:21], vcc
	s_cbranch_execz .LBB486_1110
; %bb.1109:                             ;   in Loop: Header=BB486_794 Depth=1
	v_and_b32_e32 v8, 7, v4
	v_ffbh_u32_e32 v16, v8
	v_min_u32_e32 v16, 32, v16
	v_subrev_u32_e32 v18, 28, v16
	v_lshlrev_b64 v[18:19], v18, v[4:5]
	v_lshrrev_b32_e32 v13, 3, v6
	v_sub_u32_e32 v16, 29, v16
	v_and_b32_e32 v18, 7, v18
	v_cmp_gt_u32_e32 vcc, 8, v6
	v_cndmask_b32_e32 v6, v13, v16, vcc
	v_cndmask_b32_e32 v8, v8, v18, vcc
	v_lshlrev_b32_e32 v13, 24, v4
	v_lshlrev_b32_e32 v8, 20, v8
	v_and_b32_e32 v13, 0x80000000, v13
	v_lshl_add_u32 v6, v6, 23, v10
	v_or3_b32 v16, v13, v6, v8
.LBB486_1110:                           ;   in Loop: Header=BB486_794 Depth=1
	s_or_b64 exec, exec, s[20:21]
.LBB486_1111:                           ;   in Loop: Header=BB486_794 Depth=1
	s_or_b64 exec, exec, s[18:19]
.LBB486_1112:                           ;   in Loop: Header=BB486_794 Depth=1
	s_or_b64 exec, exec, s[16:17]
	v_lshrrev_b16_e32 v6, 8, v4
	v_cmp_ne_u16_e32 vcc, 0, v6
	v_mov_b32_e32 v8, 0
	v_mov_b32_e32 v18, 0
	s_and_saveexec_b64 s[16:17], vcc
	s_cbranch_execz .LBB486_1118
; %bb.1113:                             ;   in Loop: Header=BB486_794 Depth=1
	v_cmp_ne_u16_e32 vcc, s5, v6
	v_bfrev_b32_e32 v18, 1
	s_and_saveexec_b64 s[18:19], vcc
	s_cbranch_execz .LBB486_1117
; %bb.1114:                             ;   in Loop: Header=BB486_794 Depth=1
	v_and_b32_e32 v13, 0x7f, v6
	v_cmp_ne_u32_e32 vcc, s23, v13
	v_mov_b32_e32 v18, 0x7f800001
	s_and_saveexec_b64 s[20:21], vcc
	s_cbranch_execz .LBB486_1116
; %bb.1115:                             ;   in Loop: Header=BB486_794 Depth=1
	v_and_b32_e32 v20, 7, v6
	v_ffbh_u32_e32 v18, v20
	v_min_u32_e32 v22, 32, v18
	v_subrev_u32_e32 v18, 28, v22
	v_lshlrev_b64 v[18:19], v18, v[6:7]
	v_lshrrev_b32_e32 v21, 3, v13
	v_sub_u32_e32 v6, 29, v22
	v_and_b32_e32 v18, 7, v18
	v_cmp_gt_u32_e32 vcc, 8, v13
	v_cndmask_b32_e32 v6, v21, v6, vcc
	v_cndmask_b32_e32 v13, v20, v18, vcc
	v_lshlrev_b32_e32 v18, 16, v4
	v_lshlrev_b32_e32 v13, 20, v13
	v_and_b32_e32 v18, 0x80000000, v18
	v_lshl_add_u32 v6, v6, 23, v10
	v_or3_b32 v18, v18, v6, v13
.LBB486_1116:                           ;   in Loop: Header=BB486_794 Depth=1
	s_or_b64 exec, exec, s[20:21]
.LBB486_1117:                           ;   in Loop: Header=BB486_794 Depth=1
	s_or_b64 exec, exec, s[18:19]
.LBB486_1118:                           ;   in Loop: Header=BB486_794 Depth=1
	s_or_b64 exec, exec, s[16:17]
	v_lshrrev_b32_e32 v6, 16, v4
	v_cmp_ne_u16_sdwa s[18:19], v6, v9 src0_sel:BYTE_0 src1_sel:DWORD
	s_and_saveexec_b64 s[16:17], s[18:19]
	s_cbranch_execz .LBB486_1124
; %bb.1119:                             ;   in Loop: Header=BB486_794 Depth=1
	v_cmp_ne_u16_sdwa s[20:21], v6, s5 src0_sel:BYTE_0 src1_sel:DWORD
	v_bfrev_b32_e32 v8, 1
	s_and_saveexec_b64 s[18:19], s[20:21]
	s_cbranch_execz .LBB486_1123
; %bb.1120:                             ;   in Loop: Header=BB486_794 Depth=1
	v_bfe_u32 v13, v4, 16, 7
	v_cmp_ne_u32_e32 vcc, s23, v13
	v_mov_b32_e32 v8, 0x7f800001
	s_and_saveexec_b64 s[20:21], vcc
	s_cbranch_execz .LBB486_1122
; %bb.1121:                             ;   in Loop: Header=BB486_794 Depth=1
	v_and_b32_e32 v8, 7, v6
	v_ffbh_u32_e32 v20, v8
	v_min_u32_e32 v22, 32, v20
	v_subrev_u32_e32 v20, 28, v22
	v_lshlrev_b64 v[20:21], v20, v[6:7]
	v_lshrrev_b32_e32 v19, 3, v13
	v_sub_u32_e32 v21, 29, v22
	v_and_b32_e32 v20, 7, v20
	v_cmp_gt_u32_e32 vcc, 8, v13
	v_cndmask_b32_e32 v13, v19, v21, vcc
	v_cndmask_b32_e32 v8, v8, v20, vcc
	v_lshlrev_b32_e32 v6, 24, v6
	v_lshlrev_b32_e32 v8, 20, v8
	v_and_b32_e32 v6, 0x80000000, v6
	v_lshl_add_u32 v13, v13, 23, v10
	v_or3_b32 v8, v6, v13, v8
.LBB486_1122:                           ;   in Loop: Header=BB486_794 Depth=1
	s_or_b64 exec, exec, s[20:21]
.LBB486_1123:                           ;   in Loop: Header=BB486_794 Depth=1
	s_or_b64 exec, exec, s[18:19]
.LBB486_1124:                           ;   in Loop: Header=BB486_794 Depth=1
	s_or_b64 exec, exec, s[16:17]
	v_cmp_lt_u32_e32 vcc, s24, v4
	v_mov_b32_e32 v13, 0
	v_mov_b32_e32 v19, 0
	s_and_saveexec_b64 s[16:17], vcc
	s_cbranch_execz .LBB486_1130
; %bb.1125:                             ;   in Loop: Header=BB486_794 Depth=1
	v_lshrrev_b32_e32 v6, 24, v4
	v_cmp_ne_u32_e32 vcc, s5, v6
	v_bfrev_b32_e32 v19, 1
	s_and_saveexec_b64 s[18:19], vcc
	s_cbranch_execz .LBB486_1129
; %bb.1126:                             ;   in Loop: Header=BB486_794 Depth=1
	v_bfe_u32 v4, v4, 24, 7
	v_cmp_ne_u32_e32 vcc, s23, v4
	v_mov_b32_e32 v19, 0x7f800001
	s_and_saveexec_b64 s[20:21], vcc
	s_cbranch_execz .LBB486_1128
; %bb.1127:                             ;   in Loop: Header=BB486_794 Depth=1
	v_and_b32_e32 v19, 7, v6
	v_ffbh_u32_e32 v20, v19
	v_min_u32_e32 v23, 32, v20
	v_subrev_u32_e32 v20, 28, v23
	v_lshlrev_b64 v[20:21], v20, v[6:7]
	v_lshrrev_b32_e32 v22, 3, v4
	v_sub_u32_e32 v21, 29, v23
	v_and_b32_e32 v20, 7, v20
	v_cmp_gt_u32_e32 vcc, 8, v4
	v_cndmask_b32_e32 v4, v22, v21, vcc
	v_cndmask_b32_e32 v19, v19, v20, vcc
	v_lshlrev_b32_e32 v6, 24, v6
	v_lshlrev_b32_e32 v19, 20, v19
	v_and_b32_e32 v6, 0x80000000, v6
	v_lshl_add_u32 v4, v4, 23, v10
	v_or3_b32 v19, v6, v4, v19
.LBB486_1128:                           ;   in Loop: Header=BB486_794 Depth=1
	s_or_b64 exec, exec, s[20:21]
.LBB486_1129:                           ;   in Loop: Header=BB486_794 Depth=1
	s_or_b64 exec, exec, s[18:19]
.LBB486_1130:                           ;   in Loop: Header=BB486_794 Depth=1
	s_or_b64 exec, exec, s[16:17]
	buffer_load_dword v6, v11, s[0:3], 0 offen offset:56
	buffer_load_dword v4, v11, s[0:3], 0 offen offset:60
	v_cvt_pkrtz_f16_f32 v20, v12, v15
	v_cvt_pkrtz_f16_f32 v21, v14, v17
	;; [unrolled: 1-line block ×4, first 2 shown]
	v_mfma_f32_4x4x4f16 a[0:3], v[2:3], v[20:21], a[0:3] cbsz:4 abid:12
	s_waitcnt vmcnt(1)
	v_cmp_ne_u16_sdwa s[18:19], v6, v9 src0_sel:BYTE_0 src1_sel:DWORD
	v_mfma_f32_4x4x4f16 a[0:3], v[2:3], v[14:15], a[0:3] cbsz:4 abid:13
	s_and_saveexec_b64 s[16:17], s[18:19]
	s_cbranch_execz .LBB486_1136
; %bb.1131:                             ;   in Loop: Header=BB486_794 Depth=1
	v_cmp_ne_u16_sdwa s[20:21], v6, s5 src0_sel:BYTE_0 src1_sel:DWORD
	v_bfrev_b32_e32 v13, 1
	s_and_saveexec_b64 s[18:19], s[20:21]
	s_cbranch_execz .LBB486_1135
; %bb.1132:                             ;   in Loop: Header=BB486_794 Depth=1
	v_and_b32_e32 v8, 0x7f, v6
	v_cmp_ne_u32_e32 vcc, s23, v8
	v_mov_b32_e32 v13, 0x7f800001
	s_and_saveexec_b64 s[20:21], vcc
	s_cbranch_execz .LBB486_1134
; %bb.1133:                             ;   in Loop: Header=BB486_794 Depth=1
	v_and_b32_e32 v11, 7, v6
	v_ffbh_u32_e32 v12, v11
	v_min_u32_e32 v15, 32, v12
	v_subrev_u32_e32 v12, 28, v15
	v_lshlrev_b64 v[12:13], v12, v[6:7]
	v_lshrrev_b32_e32 v14, 3, v8
	v_sub_u32_e32 v13, 29, v15
	v_and_b32_e32 v12, 7, v12
	v_cmp_gt_u32_e32 vcc, 8, v8
	v_cndmask_b32_e32 v8, v14, v13, vcc
	v_cndmask_b32_e32 v11, v11, v12, vcc
	v_lshlrev_b32_e32 v12, 24, v6
	v_lshlrev_b32_e32 v11, 20, v11
	v_and_b32_e32 v12, 0x80000000, v12
	v_lshl_add_u32 v8, v8, 23, v10
	v_or3_b32 v13, v12, v8, v11
.LBB486_1134:                           ;   in Loop: Header=BB486_794 Depth=1
	s_or_b64 exec, exec, s[20:21]
.LBB486_1135:                           ;   in Loop: Header=BB486_794 Depth=1
	s_or_b64 exec, exec, s[18:19]
.LBB486_1136:                           ;   in Loop: Header=BB486_794 Depth=1
	s_or_b64 exec, exec, s[16:17]
	v_lshrrev_b16_e32 v8, 8, v6
	v_cmp_ne_u16_e32 vcc, 0, v8
	v_mov_b32_e32 v11, 0
	v_mov_b32_e32 v12, 0
	s_and_saveexec_b64 s[16:17], vcc
	s_cbranch_execz .LBB486_1142
; %bb.1137:                             ;   in Loop: Header=BB486_794 Depth=1
	v_cmp_ne_u16_e32 vcc, s5, v8
	v_bfrev_b32_e32 v12, 1
	s_and_saveexec_b64 s[18:19], vcc
	s_cbranch_execz .LBB486_1141
; %bb.1138:                             ;   in Loop: Header=BB486_794 Depth=1
	v_and_b32_e32 v14, 0x7f, v8
	v_cmp_ne_u32_e32 vcc, s23, v14
	v_mov_b32_e32 v12, 0x7f800001
	s_and_saveexec_b64 s[20:21], vcc
	s_cbranch_execz .LBB486_1140
; %bb.1139:                             ;   in Loop: Header=BB486_794 Depth=1
	v_and_b32_e32 v12, 7, v8
	v_ffbh_u32_e32 v16, v12
	v_min_u32_e32 v18, 32, v16
	v_subrev_u32_e32 v16, 28, v18
	v_lshlrev_b64 v[16:17], v16, v[8:9]
	v_lshrrev_b32_e32 v15, 3, v14
	v_sub_u32_e32 v8, 29, v18
	v_and_b32_e32 v16, 7, v16
	v_cmp_gt_u32_e32 vcc, 8, v14
	v_cndmask_b32_e32 v8, v15, v8, vcc
	v_cndmask_b32_e32 v12, v12, v16, vcc
	v_lshlrev_b32_e32 v14, 16, v6
	v_lshlrev_b32_e32 v12, 20, v12
	v_and_b32_e32 v14, 0x80000000, v14
	v_lshl_add_u32 v8, v8, 23, v10
	v_or3_b32 v12, v14, v8, v12
.LBB486_1140:                           ;   in Loop: Header=BB486_794 Depth=1
	s_or_b64 exec, exec, s[20:21]
.LBB486_1141:                           ;   in Loop: Header=BB486_794 Depth=1
	s_or_b64 exec, exec, s[18:19]
.LBB486_1142:                           ;   in Loop: Header=BB486_794 Depth=1
	s_or_b64 exec, exec, s[16:17]
	v_lshrrev_b32_e32 v8, 16, v6
	v_cmp_ne_u16_sdwa s[18:19], v8, v9 src0_sel:BYTE_0 src1_sel:DWORD
	s_and_saveexec_b64 s[16:17], s[18:19]
	s_cbranch_execz .LBB486_1148
; %bb.1143:                             ;   in Loop: Header=BB486_794 Depth=1
	v_cmp_ne_u16_sdwa s[20:21], v8, s5 src0_sel:BYTE_0 src1_sel:DWORD
	v_bfrev_b32_e32 v11, 1
	s_and_saveexec_b64 s[18:19], s[20:21]
	s_cbranch_execz .LBB486_1147
; %bb.1144:                             ;   in Loop: Header=BB486_794 Depth=1
	v_bfe_u32 v14, v6, 16, 7
	v_cmp_ne_u32_e32 vcc, s23, v14
	v_mov_b32_e32 v11, 0x7f800001
	s_and_saveexec_b64 s[20:21], vcc
	s_cbranch_execz .LBB486_1146
; %bb.1145:                             ;   in Loop: Header=BB486_794 Depth=1
	v_and_b32_e32 v11, 7, v8
	v_ffbh_u32_e32 v16, v11
	v_min_u32_e32 v18, 32, v16
	v_subrev_u32_e32 v16, 28, v18
	v_lshlrev_b64 v[16:17], v16, v[8:9]
	v_lshrrev_b32_e32 v15, 3, v14
	v_sub_u32_e32 v17, 29, v18
	v_and_b32_e32 v16, 7, v16
	v_cmp_gt_u32_e32 vcc, 8, v14
	v_cndmask_b32_e32 v14, v15, v17, vcc
	v_cndmask_b32_e32 v11, v11, v16, vcc
	v_lshlrev_b32_e32 v8, 24, v8
	v_lshlrev_b32_e32 v11, 20, v11
	v_and_b32_e32 v8, 0x80000000, v8
	v_lshl_add_u32 v14, v14, 23, v10
	v_or3_b32 v11, v8, v14, v11
.LBB486_1146:                           ;   in Loop: Header=BB486_794 Depth=1
	s_or_b64 exec, exec, s[20:21]
.LBB486_1147:                           ;   in Loop: Header=BB486_794 Depth=1
	s_or_b64 exec, exec, s[18:19]
.LBB486_1148:                           ;   in Loop: Header=BB486_794 Depth=1
	s_or_b64 exec, exec, s[16:17]
	v_cmp_lt_u32_e32 vcc, s24, v6
	v_mov_b32_e32 v14, 0
	v_mov_b32_e32 v15, 0
	s_and_saveexec_b64 s[16:17], vcc
	s_cbranch_execz .LBB486_1154
; %bb.1149:                             ;   in Loop: Header=BB486_794 Depth=1
	v_lshrrev_b32_e32 v8, 24, v6
	v_cmp_ne_u32_e32 vcc, s5, v8
	v_bfrev_b32_e32 v15, 1
	s_and_saveexec_b64 s[18:19], vcc
	s_cbranch_execz .LBB486_1153
; %bb.1150:                             ;   in Loop: Header=BB486_794 Depth=1
	v_bfe_u32 v6, v6, 24, 7
	v_cmp_ne_u32_e32 vcc, s23, v6
	v_mov_b32_e32 v15, 0x7f800001
	s_and_saveexec_b64 s[20:21], vcc
	s_cbranch_execz .LBB486_1152
; %bb.1151:                             ;   in Loop: Header=BB486_794 Depth=1
	v_and_b32_e32 v15, 7, v8
	v_ffbh_u32_e32 v16, v15
	v_min_u32_e32 v19, 32, v16
	v_subrev_u32_e32 v16, 28, v19
	v_lshlrev_b64 v[16:17], v16, v[8:9]
	v_lshrrev_b32_e32 v18, 3, v6
	v_sub_u32_e32 v17, 29, v19
	v_and_b32_e32 v16, 7, v16
	v_cmp_gt_u32_e32 vcc, 8, v6
	v_cndmask_b32_e32 v6, v18, v17, vcc
	v_cndmask_b32_e32 v15, v15, v16, vcc
	v_lshlrev_b32_e32 v8, 24, v8
	v_lshlrev_b32_e32 v15, 20, v15
	v_and_b32_e32 v8, 0x80000000, v8
	v_lshl_add_u32 v6, v6, 23, v10
	v_or3_b32 v15, v8, v6, v15
.LBB486_1152:                           ;   in Loop: Header=BB486_794 Depth=1
	s_or_b64 exec, exec, s[20:21]
.LBB486_1153:                           ;   in Loop: Header=BB486_794 Depth=1
	s_or_b64 exec, exec, s[18:19]
.LBB486_1154:                           ;   in Loop: Header=BB486_794 Depth=1
	s_or_b64 exec, exec, s[16:17]
	s_waitcnt vmcnt(0)
	v_cmp_ne_u16_sdwa s[18:19], v4, v9 src0_sel:BYTE_0 src1_sel:DWORD
	s_and_saveexec_b64 s[16:17], s[18:19]
	s_cbranch_execz .LBB486_1160
; %bb.1155:                             ;   in Loop: Header=BB486_794 Depth=1
	v_cmp_ne_u16_sdwa s[20:21], v4, s5 src0_sel:BYTE_0 src1_sel:DWORD
	v_bfrev_b32_e32 v14, 1
	s_and_saveexec_b64 s[18:19], s[20:21]
	s_cbranch_execz .LBB486_1159
; %bb.1156:                             ;   in Loop: Header=BB486_794 Depth=1
	v_and_b32_e32 v6, 0x7f, v4
	v_cmp_ne_u32_e32 vcc, s23, v6
	v_mov_b32_e32 v14, 0x7f800001
	s_and_saveexec_b64 s[20:21], vcc
	s_cbranch_execz .LBB486_1158
; %bb.1157:                             ;   in Loop: Header=BB486_794 Depth=1
	v_and_b32_e32 v8, 7, v4
	v_ffbh_u32_e32 v16, v8
	v_min_u32_e32 v18, 32, v16
	v_subrev_u32_e32 v16, 28, v18
	v_lshlrev_b64 v[16:17], v16, v[4:5]
	v_lshrrev_b32_e32 v14, 3, v6
	v_sub_u32_e32 v17, 29, v18
	v_and_b32_e32 v16, 7, v16
	v_cmp_gt_u32_e32 vcc, 8, v6
	v_cndmask_b32_e32 v6, v14, v17, vcc
	v_cndmask_b32_e32 v8, v8, v16, vcc
	v_lshlrev_b32_e32 v14, 24, v4
	v_lshlrev_b32_e32 v8, 20, v8
	v_and_b32_e32 v14, 0x80000000, v14
	v_lshl_add_u32 v6, v6, 23, v10
	v_or3_b32 v14, v14, v6, v8
.LBB486_1158:                           ;   in Loop: Header=BB486_794 Depth=1
	s_or_b64 exec, exec, s[20:21]
.LBB486_1159:                           ;   in Loop: Header=BB486_794 Depth=1
	s_or_b64 exec, exec, s[18:19]
.LBB486_1160:                           ;   in Loop: Header=BB486_794 Depth=1
	s_or_b64 exec, exec, s[16:17]
	v_lshrrev_b16_e32 v6, 8, v4
	v_cmp_ne_u16_e32 vcc, 0, v6
	v_mov_b32_e32 v8, 0
	v_mov_b32_e32 v16, 0
	s_and_saveexec_b64 s[16:17], vcc
	s_cbranch_execz .LBB486_1166
; %bb.1161:                             ;   in Loop: Header=BB486_794 Depth=1
	v_cmp_ne_u16_e32 vcc, s5, v6
	v_bfrev_b32_e32 v16, 1
	s_and_saveexec_b64 s[18:19], vcc
	s_cbranch_execz .LBB486_1165
; %bb.1162:                             ;   in Loop: Header=BB486_794 Depth=1
	v_and_b32_e32 v17, 0x7f, v6
	v_cmp_ne_u32_e32 vcc, s23, v17
	v_mov_b32_e32 v16, 0x7f800001
	s_and_saveexec_b64 s[20:21], vcc
	s_cbranch_execz .LBB486_1164
; %bb.1163:                             ;   in Loop: Header=BB486_794 Depth=1
	v_and_b32_e32 v16, 7, v6
	v_ffbh_u32_e32 v18, v16
	v_min_u32_e32 v21, 32, v18
	v_subrev_u32_e32 v18, 28, v21
	v_lshlrev_b64 v[18:19], v18, v[6:7]
	v_lshrrev_b32_e32 v20, 3, v17
	v_sub_u32_e32 v6, 29, v21
	v_and_b32_e32 v18, 7, v18
	v_cmp_gt_u32_e32 vcc, 8, v17
	v_cndmask_b32_e32 v6, v20, v6, vcc
	v_cndmask_b32_e32 v16, v16, v18, vcc
	v_lshlrev_b32_e32 v17, 16, v4
	v_lshlrev_b32_e32 v16, 20, v16
	v_and_b32_e32 v17, 0x80000000, v17
	v_lshl_add_u32 v6, v6, 23, v10
	v_or3_b32 v16, v17, v6, v16
.LBB486_1164:                           ;   in Loop: Header=BB486_794 Depth=1
	s_or_b64 exec, exec, s[20:21]
.LBB486_1165:                           ;   in Loop: Header=BB486_794 Depth=1
	s_or_b64 exec, exec, s[18:19]
.LBB486_1166:                           ;   in Loop: Header=BB486_794 Depth=1
	s_or_b64 exec, exec, s[16:17]
	v_lshrrev_b32_e32 v6, 16, v4
	v_cmp_ne_u16_sdwa s[18:19], v6, v9 src0_sel:BYTE_0 src1_sel:DWORD
	s_and_saveexec_b64 s[16:17], s[18:19]
	s_cbranch_execz .LBB486_1172
; %bb.1167:                             ;   in Loop: Header=BB486_794 Depth=1
	v_cmp_ne_u16_sdwa s[20:21], v6, s5 src0_sel:BYTE_0 src1_sel:DWORD
	v_bfrev_b32_e32 v8, 1
	s_and_saveexec_b64 s[18:19], s[20:21]
	s_cbranch_execz .LBB486_1171
; %bb.1168:                             ;   in Loop: Header=BB486_794 Depth=1
	v_bfe_u32 v17, v4, 16, 7
	v_cmp_ne_u32_e32 vcc, s23, v17
	v_mov_b32_e32 v8, 0x7f800001
	s_and_saveexec_b64 s[20:21], vcc
	s_cbranch_execz .LBB486_1170
; %bb.1169:                             ;   in Loop: Header=BB486_794 Depth=1
	v_and_b32_e32 v8, 7, v6
	v_ffbh_u32_e32 v18, v8
	v_min_u32_e32 v21, 32, v18
	v_subrev_u32_e32 v18, 28, v21
	v_lshlrev_b64 v[18:19], v18, v[6:7]
	v_lshrrev_b32_e32 v20, 3, v17
	v_sub_u32_e32 v19, 29, v21
	v_and_b32_e32 v18, 7, v18
	v_cmp_gt_u32_e32 vcc, 8, v17
	v_cndmask_b32_e32 v17, v20, v19, vcc
	v_cndmask_b32_e32 v8, v8, v18, vcc
	v_lshlrev_b32_e32 v6, 24, v6
	v_lshlrev_b32_e32 v8, 20, v8
	v_and_b32_e32 v6, 0x80000000, v6
	v_lshl_add_u32 v17, v17, 23, v10
	v_or3_b32 v8, v6, v17, v8
.LBB486_1170:                           ;   in Loop: Header=BB486_794 Depth=1
	s_or_b64 exec, exec, s[20:21]
.LBB486_1171:                           ;   in Loop: Header=BB486_794 Depth=1
	s_or_b64 exec, exec, s[18:19]
.LBB486_1172:                           ;   in Loop: Header=BB486_794 Depth=1
	s_or_b64 exec, exec, s[16:17]
	v_cmp_lt_u32_e32 vcc, s24, v4
	v_mov_b32_e32 v17, 0
	s_and_saveexec_b64 s[16:17], vcc
	s_cbranch_execz .LBB486_793
; %bb.1173:                             ;   in Loop: Header=BB486_794 Depth=1
	v_lshrrev_b32_e32 v6, 24, v4
	v_cmp_ne_u32_e32 vcc, s5, v6
	v_bfrev_b32_e32 v17, 1
	s_and_saveexec_b64 s[18:19], vcc
	s_cbranch_execz .LBB486_792
; %bb.1174:                             ;   in Loop: Header=BB486_794 Depth=1
	v_bfe_u32 v4, v4, 24, 7
	v_cmp_ne_u32_e32 vcc, s23, v4
	v_mov_b32_e32 v17, 0x7f800001
	s_and_saveexec_b64 s[20:21], vcc
	s_cbranch_execz .LBB486_791
; %bb.1175:                             ;   in Loop: Header=BB486_794 Depth=1
	v_and_b32_e32 v17, 7, v6
	v_ffbh_u32_e32 v18, v17
	v_min_u32_e32 v21, 32, v18
	v_subrev_u32_e32 v18, 28, v21
	v_lshlrev_b64 v[18:19], v18, v[6:7]
	v_lshrrev_b32_e32 v20, 3, v4
	v_sub_u32_e32 v19, 29, v21
	v_and_b32_e32 v18, 7, v18
	v_cmp_gt_u32_e32 vcc, 8, v4
	v_cndmask_b32_e32 v4, v20, v19, vcc
	v_cndmask_b32_e32 v17, v17, v18, vcc
	v_lshlrev_b32_e32 v6, 24, v6
	v_lshlrev_b32_e32 v17, 20, v17
	v_and_b32_e32 v6, 0x80000000, v6
	v_lshl_add_u32 v4, v4, 23, v10
	v_or3_b32 v17, v6, v4, v17
	s_branch .LBB486_791
.LBB486_1176:
	s_or_b64 exec, exec, s[6:7]
	v_cmp_gt_u32_e32 vcc, 64, v0
	s_waitcnt lgkmcnt(0)
	s_barrier
	s_and_saveexec_b64 s[6:7], vcc
	s_cbranch_execz .LBB486_1178
; %bb.1177:
	v_mov_b32_e32 v2, 0xa00
	v_mad_u32_u24 v2, v1, 40, v2
	v_mov_b32_e32 v6, 0xa10
	ds_read2_b64 v[2:5], v2 offset1:1
	s_waitcnt lgkmcnt(0)
	v_mad_u32_u24 v3, v1, 40, v6
	ds_read2_b64 v[6:9], v3 offset1:1
	v_mul_u32_u24_e32 v5, 40, v1
	s_mul_i32 s10, s10, s11
	v_pk_add_f16 v1, v2, 0
	v_pk_add_f16 v1, v1, v4
	s_waitcnt lgkmcnt(0)
	v_pk_add_f16 v1, v1, v6
	s_mov_b32 s5, 0
	v_pk_add_f16 v10, v1, v8
	s_lshl_b32 s4, s4, 7
	v_lshl_or_b32 v0, s10, 7, v0
	v_mov_b32_e32 v1, 0
	s_lshl_b64 s[6:7], s[4:5], 1
	v_lshlrev_b64 v[8:9], 1, v[0:1]
	ds_read2_b64 v[0:3], v5 offset1:1
	ds_read2_b64 v[4:7], v5 offset0:2 offset1:3
	s_add_u32 s6, s30, s6
	s_addc_u32 s7, s31, s7
	s_lshl_b32 s4, s28, 7
	s_lshl_b64 s[4:5], s[4:5], 1
	s_add_u32 s4, s6, s4
	s_waitcnt lgkmcnt(1)
	v_pk_add_f16 v0, v0, 0
	s_addc_u32 s5, s7, s5
	v_pk_add_f16 v0, v0, v2
	v_mov_b32_e32 v11, s5
	v_add_co_u32_e32 v8, vcc, s4, v8
	s_waitcnt lgkmcnt(0)
	v_pk_add_f16 v0, v0, v4
	v_addc_co_u32_e32 v9, vcc, v11, v9, vcc
	v_pk_add_f16 v0, v0, v6
	global_store_short v[8:9], v0, off
	global_store_short v[8:9], v10, off offset:128
.LBB486_1178:
	s_endpgm
	.section	.rodata,"a",@progbits
	.p2align	6, 0x0
	.amdhsa_kernel _Z38paged_attention_ll4mi_QKV_mfma4_kernelIDF16_hLN4vllm18Fp8KVCacheDataTypeE1EDF16_Li16ELi128ELi256ELb0ELi1EEvPKT_PKT0_S7_ifPKiS9_S9_iPKfiiiPfSC_PS2_PT2_iSB_SB_
		.amdhsa_group_segment_fixed_size 5280
		.amdhsa_private_segment_fixed_size 144
		.amdhsa_kernarg_size 400
		.amdhsa_user_sgpr_count 8
		.amdhsa_user_sgpr_private_segment_buffer 1
		.amdhsa_user_sgpr_dispatch_ptr 0
		.amdhsa_user_sgpr_queue_ptr 0
		.amdhsa_user_sgpr_kernarg_segment_ptr 1
		.amdhsa_user_sgpr_dispatch_id 0
		.amdhsa_user_sgpr_flat_scratch_init 1
		.amdhsa_user_sgpr_kernarg_preload_length 0
		.amdhsa_user_sgpr_kernarg_preload_offset 0
		.amdhsa_user_sgpr_private_segment_size 0
		.amdhsa_uses_dynamic_stack 0
		.amdhsa_system_sgpr_private_segment_wavefront_offset 1
		.amdhsa_system_sgpr_workgroup_id_x 1
		.amdhsa_system_sgpr_workgroup_id_y 1
		.amdhsa_system_sgpr_workgroup_id_z 1
		.amdhsa_system_sgpr_workgroup_info 0
		.amdhsa_system_vgpr_workitem_id 0
		.amdhsa_next_free_vgpr 72
		.amdhsa_next_free_sgpr 46
		.amdhsa_accum_offset 68
		.amdhsa_reserve_vcc 1
		.amdhsa_reserve_flat_scratch 0
		.amdhsa_float_round_mode_32 0
		.amdhsa_float_round_mode_16_64 0
		.amdhsa_float_denorm_mode_32 3
		.amdhsa_float_denorm_mode_16_64 3
		.amdhsa_dx10_clamp 1
		.amdhsa_ieee_mode 1
		.amdhsa_fp16_overflow 0
		.amdhsa_tg_split 0
		.amdhsa_exception_fp_ieee_invalid_op 0
		.amdhsa_exception_fp_denorm_src 0
		.amdhsa_exception_fp_ieee_div_zero 0
		.amdhsa_exception_fp_ieee_overflow 0
		.amdhsa_exception_fp_ieee_underflow 0
		.amdhsa_exception_fp_ieee_inexact 0
		.amdhsa_exception_int_div_zero 0
	.end_amdhsa_kernel
	.section	.text._Z38paged_attention_ll4mi_QKV_mfma4_kernelIDF16_hLN4vllm18Fp8KVCacheDataTypeE1EDF16_Li16ELi128ELi256ELb0ELi1EEvPKT_PKT0_S7_ifPKiS9_S9_iPKfiiiPfSC_PS2_PT2_iSB_SB_,"axG",@progbits,_Z38paged_attention_ll4mi_QKV_mfma4_kernelIDF16_hLN4vllm18Fp8KVCacheDataTypeE1EDF16_Li16ELi128ELi256ELb0ELi1EEvPKT_PKT0_S7_ifPKiS9_S9_iPKfiiiPfSC_PS2_PT2_iSB_SB_,comdat
.Lfunc_end486:
	.size	_Z38paged_attention_ll4mi_QKV_mfma4_kernelIDF16_hLN4vllm18Fp8KVCacheDataTypeE1EDF16_Li16ELi128ELi256ELb0ELi1EEvPKT_PKT0_S7_ifPKiS9_S9_iPKfiiiPfSC_PS2_PT2_iSB_SB_, .Lfunc_end486-_Z38paged_attention_ll4mi_QKV_mfma4_kernelIDF16_hLN4vllm18Fp8KVCacheDataTypeE1EDF16_Li16ELi128ELi256ELb0ELi1EEvPKT_PKT0_S7_ifPKiS9_S9_iPKfiiiPfSC_PS2_PT2_iSB_SB_
                                        ; -- End function
	.section	.AMDGPU.csdata,"",@progbits
; Kernel info:
; codeLenInByte = 40524
; NumSgprs: 50
; NumVgprs: 66
; NumAgprs: 4
; TotalNumVgprs: 72
; ScratchSize: 144
; MemoryBound: 0
; FloatMode: 240
; IeeeMode: 1
; LDSByteSize: 5280 bytes/workgroup (compile time only)
; SGPRBlocks: 6
; VGPRBlocks: 8
; NumSGPRsForWavesPerEU: 50
; NumVGPRsForWavesPerEU: 72
; AccumOffset: 68
; Occupancy: 7
; WaveLimiterHint : 1
; COMPUTE_PGM_RSRC2:SCRATCH_EN: 1
; COMPUTE_PGM_RSRC2:USER_SGPR: 8
; COMPUTE_PGM_RSRC2:TRAP_HANDLER: 0
; COMPUTE_PGM_RSRC2:TGID_X_EN: 1
; COMPUTE_PGM_RSRC2:TGID_Y_EN: 1
; COMPUTE_PGM_RSRC2:TGID_Z_EN: 1
; COMPUTE_PGM_RSRC2:TIDIG_COMP_CNT: 0
; COMPUTE_PGM_RSRC3_GFX90A:ACCUM_OFFSET: 16
; COMPUTE_PGM_RSRC3_GFX90A:TG_SPLIT: 0
	.section	.text._Z38paged_attention_ll4mi_QKV_mfma4_kernelIDF16_hLN4vllm18Fp8KVCacheDataTypeE1EDF16_Li16ELi128ELi256ELb0ELi2EEvPKT_PKT0_S7_ifPKiS9_S9_iPKfiiiPfSC_PS2_PT2_iSB_SB_,"axG",@progbits,_Z38paged_attention_ll4mi_QKV_mfma4_kernelIDF16_hLN4vllm18Fp8KVCacheDataTypeE1EDF16_Li16ELi128ELi256ELb0ELi2EEvPKT_PKT0_S7_ifPKiS9_S9_iPKfiiiPfSC_PS2_PT2_iSB_SB_,comdat
	.protected	_Z38paged_attention_ll4mi_QKV_mfma4_kernelIDF16_hLN4vllm18Fp8KVCacheDataTypeE1EDF16_Li16ELi128ELi256ELb0ELi2EEvPKT_PKT0_S7_ifPKiS9_S9_iPKfiiiPfSC_PS2_PT2_iSB_SB_ ; -- Begin function _Z38paged_attention_ll4mi_QKV_mfma4_kernelIDF16_hLN4vllm18Fp8KVCacheDataTypeE1EDF16_Li16ELi128ELi256ELb0ELi2EEvPKT_PKT0_S7_ifPKiS9_S9_iPKfiiiPfSC_PS2_PT2_iSB_SB_
	.globl	_Z38paged_attention_ll4mi_QKV_mfma4_kernelIDF16_hLN4vllm18Fp8KVCacheDataTypeE1EDF16_Li16ELi128ELi256ELb0ELi2EEvPKT_PKT0_S7_ifPKiS9_S9_iPKfiiiPfSC_PS2_PT2_iSB_SB_
	.p2align	8
	.type	_Z38paged_attention_ll4mi_QKV_mfma4_kernelIDF16_hLN4vllm18Fp8KVCacheDataTypeE1EDF16_Li16ELi128ELi256ELb0ELi2EEvPKT_PKT0_S7_ifPKiS9_S9_iPKfiiiPfSC_PS2_PT2_iSB_SB_,@function
_Z38paged_attention_ll4mi_QKV_mfma4_kernelIDF16_hLN4vllm18Fp8KVCacheDataTypeE1EDF16_Li16ELi128ELi256ELb0ELi2EEvPKT_PKT0_S7_ifPKiS9_S9_iPKfiiiPfSC_PS2_PT2_iSB_SB_: ; @_Z38paged_attention_ll4mi_QKV_mfma4_kernelIDF16_hLN4vllm18Fp8KVCacheDataTypeE1EDF16_Li16ELi128ELi256ELb0ELi2EEvPKT_PKT0_S7_ifPKiS9_S9_iPKfiiiPfSC_PS2_PT2_iSB_SB_
; %bb.0:
	s_load_dwordx2 s[12:13], s[4:5], 0x30
	s_add_u32 s0, s0, s11
	s_addc_u32 s1, s1, 0
	s_mov_b32 s28, s9
	s_mov_b64 s[6:7], 0
	s_waitcnt lgkmcnt(0)
	s_cmp_lg_u64 s[12:13], 0
	s_cselect_b64 s[14:15], -1, 0
	s_and_b64 vcc, exec, s[14:15]
	s_cbranch_vccz .LBB487_10
; %bb.1:
	s_add_i32 s16, s8, 1
	s_mov_b32 s17, 0
	s_lshl_b64 s[18:19], s[16:17], 2
	s_add_u32 s18, s12, s18
	s_mov_b32 s9, s17
	s_addc_u32 s19, s13, s19
	s_lshl_b64 s[16:17], s[8:9], 2
	s_add_u32 s16, s12, s16
	s_addc_u32 s17, s13, s17
	s_load_dword s11, s[18:19], 0x0
	s_load_dword s20, s[16:17], 0x0
	s_waitcnt lgkmcnt(0)
	s_sub_i32 s11, s11, s20
	s_cmp_eq_u32 s11, 1
	s_cselect_b64 s[16:17], -1, 0
	s_andn2_b64 vcc, exec, s[6:7]
	s_cbranch_vccnz .LBB487_3
.LBB487_2:
	s_mov_b32 s9, 0
	s_mov_b64 s[16:17], -1
.LBB487_3:
	s_andn2_b64 vcc, exec, s[16:17]
	s_cbranch_vccnz .LBB487_1178
; %bb.4:
	s_load_dword s11, s[4:5], 0x9c
	s_load_dwordx2 s[6:7], s[4:5], 0x28
	s_add_u32 s34, s4, 0x90
	s_addc_u32 s35, s5, 0
	s_lshl_b64 s[38:39], s[8:9], 2
	s_waitcnt lgkmcnt(0)
	s_and_b32 s11, s11, 0xffff
	s_add_u32 s6, s6, s38
	s_addc_u32 s7, s7, s39
	s_load_dword s9, s[6:7], 0x0
	s_mul_i32 s11, s28, s11
	s_waitcnt lgkmcnt(0)
	s_cmp_ge_i32 s11, s9
	s_cbranch_scc1 .LBB487_1178
; %bb.5:
	v_and_b32_e32 v1, 0xc0, v0
	v_add_u32_e32 v7, s11, v1
	v_lshrrev_b32_e32 v42, 6, v0
	v_cmp_le_i32_e64 s[6:7], s9, v7
                                        ; implicit-def: $sgpr25
                                        ; implicit-def: $sgpr24
	s_and_saveexec_b64 s[16:17], s[6:7]
	s_xor_b64 s[16:17], exec, s[16:17]
	s_cbranch_execz .LBB487_7
; %bb.6:
	v_mul_u32_u24_e32 v1, 20, v42
	v_or_b32_e32 v1, 0x1400, v1
	v_mov_b32_e32 v2, 0x1450
	v_mov_b32_e32 v3, 0xff7fffff
	v_mad_u32_u24 v2, v42, 20, v2
	ds_write2_b32 v1, v3, v3 offset1:1
	v_mov_b32_e32 v1, 0
	ds_write2_b32 v2, v1, v1 offset1:1
	v_mov_b32_e32 v2, 0x1408
	s_mov_b32 s24, 0xff7fffff
	s_mov_b32 s25, 0
	v_mad_u32_u24 v2, v42, 20, v2
	v_mov_b32_e32 v4, 0x1458
	v_mad_u32_u24 v4, v42, 20, v4
	ds_write2_b32 v2, v3, v3 offset1:1
	ds_write2_b32 v4, v1, v1 offset1:1
                                        ; implicit-def: $vgpr7
.LBB487_7:
	s_or_saveexec_b64 s[36:37], s[16:17]
	s_load_dwordx2 s[30:31], s[4:5], 0x68
	s_load_dwordx4 s[20:23], s[4:5], 0x58
	s_load_dword s33, s[34:35], 0x4
	s_load_dwordx4 s[16:19], s[4:5], 0x80
	v_and_b32_e32 v1, 63, v0
	v_and_b32_e32 v43, 3, v0
	v_mov_b32_e32 v5, s25
	v_mov_b32_e32 v6, s24
	;; [unrolled: 1-line block ×5, first 2 shown]
	s_xor_b64 exec, exec, s[36:37]
	s_cbranch_execz .LBB487_785
; %bb.8:
	s_add_i32 s27, s9, 15
	s_load_dwordx2 s[24:25], s[4:5], 0x20
	s_load_dword s26, s[4:5], 0x38
	s_ashr_i32 s29, s27, 31
	s_lshr_b32 s29, s29, 28
	v_add_u32_e32 v44, s11, v0
	s_add_i32 s27, s27, s29
	v_ashrrev_i32_e32 v2, 31, v44
	s_ashr_i32 s27, s27, 4
	v_lshrrev_b32_e32 v2, 28, v2
	s_add_i32 s29, s27, -1
	v_add_u32_e32 v2, v44, v2
	s_waitcnt lgkmcnt(0)
	s_mul_i32 s26, s8, s26
	s_mov_b32 s27, 0
	v_ashrrev_i32_e32 v2, 4, v2
	v_mov_b32_e32 v3, s29
	v_cmp_gt_i32_e32 vcc, s9, v44
	s_lshl_b64 s[26:27], s[26:27], 2
	v_cndmask_b32_e32 v2, v3, v2, vcc
	s_add_u32 s24, s24, s26
	v_ashrrev_i32_e32 v3, 31, v2
	s_addc_u32 s25, s25, s27
	v_lshlrev_b64 v[2:3], 2, v[2:3]
	v_mov_b32_e32 v4, s25
	v_add_co_u32_e32 v2, vcc, s24, v2
	v_addc_co_u32_e32 v3, vcc, v4, v3, vcc
	v_ashrrev_i32_e32 v4, 31, v7
	v_lshrrev_b32_e32 v4, 28, v4
	v_add_u32_e32 v4, v7, v4
	v_ashrrev_i32_e32 v8, 4, v4
	v_min_i32_e32 v4, s29, v8
	v_ashrrev_i32_e32 v5, 31, v4
	v_lshlrev_b64 v[4:5], 2, v[4:5]
	v_mov_b32_e32 v6, s25
	v_add_co_u32_e32 v4, vcc, s24, v4
	v_addc_co_u32_e32 v5, vcc, v6, v5, vcc
	v_add_u32_e32 v6, 1, v8
	v_min_i32_e32 v6, s29, v6
	v_ashrrev_i32_e32 v7, 31, v6
	v_lshlrev_b64 v[6:7], 2, v[6:7]
	v_add_co_u32_e32 v12, vcc, s24, v6
	v_add_u32_e32 v6, 2, v8
	v_mov_b32_e32 v9, s25
	v_min_i32_e32 v6, s29, v6
	v_addc_co_u32_e32 v13, vcc, v9, v7, vcc
	v_ashrrev_i32_e32 v7, 31, v6
	v_lshlrev_b64 v[6:7], 2, v[6:7]
	v_add_co_u32_e32 v14, vcc, s24, v6
	v_add_u32_e32 v6, 3, v8
	v_min_i32_e32 v6, s29, v6
	v_addc_co_u32_e32 v15, vcc, v9, v7, vcc
	v_ashrrev_i32_e32 v7, 31, v6
	v_lshlrev_b64 v[6:7], 2, v[6:7]
	v_mov_b32_e32 v8, s25
	v_add_co_u32_e32 v16, vcc, s24, v6
	v_addc_co_u32_e32 v17, vcc, v8, v7, vcc
	global_load_dword v7, v[2:3], off
	global_load_dword v10, v[4:5], off
	;; [unrolled: 1-line block ×5, first 2 shown]
	s_load_dwordx4 s[24:27], s[4:5], 0x8
	s_andn2_b64 vcc, exec, s[14:15]
	s_cbranch_vccnz .LBB487_11
; %bb.9:
	s_add_u32 s12, s12, s38
	s_addc_u32 s13, s13, s39
	s_load_dword s11, s[12:13], 0x0
	s_branch .LBB487_12
.LBB487_10:
	s_mov_b64 s[16:17], 0
	s_branch .LBB487_2
.LBB487_11:
	s_mov_b32 s11, s8
.LBB487_12:
	s_load_dwordx4 s[12:15], s[4:5], 0x48
	v_cmp_gt_u32_e32 vcc, 2, v43
	s_mov_b32 s41, 0
	v_mov_b32_e32 v39, 0
	v_mov_b32_e32 v2, 0
	;; [unrolled: 1-line block ×5, first 2 shown]
	s_and_saveexec_b64 s[38:39], vcc
	s_cbranch_execz .LBB487_14
; %bb.13:
	s_load_dwordx2 s[42:43], s[4:5], 0x0
	s_waitcnt lgkmcnt(0)
	s_ashr_i32 s15, s12, 31
	s_mul_hi_u32 s29, s11, s12
	s_mul_i32 s15, s11, s15
	s_add_i32 s45, s29, s15
	s_mul_i32 s44, s11, s12
	s_lshl_b64 s[44:45], s[44:45], 1
	s_add_u32 s11, s42, s44
	s_addc_u32 s12, s43, s45
	s_lshl_b32 s40, s10, 8
	s_lshl_b64 s[40:41], s[40:41], 1
	v_lshlrev_b32_e32 v2, 2, v1
	s_add_u32 s40, s11, s40
	v_and_b32_e32 v2, 0xf0, v2
	s_addc_u32 s41, s12, s41
	v_lshl_or_b32 v2, v43, 8, v2
	global_load_dwordx4 v[2:5], v2, s[40:41]
.LBB487_14:
	s_or_b64 exec, exec, s[38:39]
	s_waitcnt lgkmcnt(0)
	s_mul_i32 s11, s10, s14
	s_waitcnt vmcnt(3)
	v_mul_hi_i32 v11, v10, s13
	s_add_u32 s14, s11, s24
	v_ashrrev_i32_e32 v11, 31, v11
	s_addc_u32 s15, 0, s25
	v_lshrrev_b32_e32 v38, 29, v11
	s_add_u32 s11, s26, s11
	v_mad_i64_i32 v[10:11], s[24:25], v10, s13, v[38:39]
	s_addc_u32 s12, s27, 0
	v_and_b32_e32 v10, -8, v10
	v_mov_b32_e32 v12, s12
	v_add_co_u32_e32 v10, vcc, s11, v10
	v_addc_co_u32_e32 v11, vcc, v12, v11, vcc
	v_lshlrev_b32_e32 v45, 4, v1
	v_add_co_u32_e32 v14, vcc, v10, v45
	v_addc_co_u32_e32 v15, vcc, 0, v11, vcc
	global_load_dwordx4 v[10:13], v[14:15], off
	global_load_dwordx4 v[46:49], v[14:15], off offset:1024
	s_waitcnt vmcnt(4)
	v_mul_hi_i32 v14, v9, s13
	v_ashrrev_i32_e32 v14, 31, v14
	v_lshrrev_b32_e32 v38, 29, v14
	v_mad_i64_i32 v[14:15], s[24:25], v9, s13, v[38:39]
	v_and_b32_e32 v9, -8, v14
	v_mov_b32_e32 v14, s12
	v_add_co_u32_e32 v9, vcc, s11, v9
	v_addc_co_u32_e32 v15, vcc, v14, v15, vcc
	v_add_co_u32_e32 v14, vcc, v9, v45
	v_addc_co_u32_e32 v15, vcc, 0, v15, vcc
	global_load_dwordx4 v[50:53], v[14:15], off
	global_load_dwordx4 v[54:57], v[14:15], off offset:1024
	s_waitcnt vmcnt(5)
	v_mul_hi_i32 v14, v8, s13
	s_waitcnt vmcnt(4)
	v_mul_hi_i32 v15, v6, s13
	v_lshlrev_b32_e32 v9, 4, v0
	v_ashrrev_i32_e32 v16, 31, v14
	v_ashrrev_i32_e32 v17, 31, v15
	v_pk_mov_b32 v[14:15], s[14:15], s[14:15] op_sel:[0,1]
	v_and_b32_e32 v9, 0xf0, v9
	v_mad_i64_i32 v[14:15], s[14:15], v7, s13, v[14:15]
	v_lshrrev_b32_e32 v38, 29, v16
	v_add_co_u32_e32 v40, vcc, v14, v9
	v_mad_i64_i32 v[8:9], s[14:15], v8, s13, v[38:39]
	v_addc_co_u32_e32 v41, vcc, 0, v15, vcc
	v_and_b32_e32 v8, -8, v8
	v_mov_b32_e32 v14, s12
	v_add_co_u32_e32 v8, vcc, s11, v8
	v_lshrrev_b32_e32 v38, 29, v17
	v_addc_co_u32_e32 v9, vcc, v14, v9, vcc
	v_mov_b32_e32 v58, s12
	v_mad_i64_i32 v[6:7], s[12:13], v6, s13, v[38:39]
	v_add_co_u32_e32 v8, vcc, v8, v45
	v_addc_co_u32_e32 v9, vcc, 0, v9, vcc
	v_and_b32_e32 v6, -8, v6
	v_add_co_u32_e32 v6, vcc, s11, v6
	v_addc_co_u32_e32 v7, vcc, v58, v7, vcc
	global_load_dwordx4 v[34:37], v[40:41], off
	global_load_dwordx4 v[30:33], v[40:41], off offset:256
	global_load_dwordx4 v[26:29], v[40:41], off offset:512
	;; [unrolled: 1-line block ×5, first 2 shown]
	v_add_co_u32_e32 v6, vcc, v6, v45
	v_addc_co_u32_e32 v7, vcc, 0, v7, vcc
	v_mov_b32_e32 v45, 0
	s_waitcnt vmcnt(9)
	buffer_store_dword v11, off, s[0:3], 0 offset:4
	buffer_store_dword v10, off, s[0:3], 0
	buffer_store_dword v13, off, s[0:3], 0 offset:12
	buffer_store_dword v12, off, s[0:3], 0 offset:8
	global_load_dwordx4 v[58:61], v[8:9], off
	global_load_dwordx4 v[62:65], v[8:9], off offset:1024
	s_waitcnt vmcnt(14)
	buffer_store_dword v47, off, s[0:3], 0 offset:68
	buffer_store_dword v46, off, s[0:3], 0 offset:64
	;; [unrolled: 1-line block ×4, first 2 shown]
	global_load_dwordx4 v[46:49], v[6:7], off
	s_waitcnt vmcnt(18)
	buffer_store_dword v51, off, s[0:3], 0 offset:20
	buffer_store_dword v50, off, s[0:3], 0 offset:16
	buffer_store_dword v53, off, s[0:3], 0 offset:28
	buffer_store_dword v52, off, s[0:3], 0 offset:24
	global_load_dwordx4 v[50:53], v[6:7], off offset:1024
	s_waitcnt vmcnt(22)
	buffer_store_dword v55, off, s[0:3], 0 offset:84
	buffer_store_dword v54, off, s[0:3], 0 offset:80
	;; [unrolled: 1-line block ×4, first 2 shown]
	global_load_dwordx4 v[10:13], v[40:41], off offset:1536
	global_load_dwordx4 v[6:9], v[40:41], off offset:1792
	s_waitcnt vmcnt(17)
	buffer_store_dword v59, off, s[0:3], 0 offset:36
	buffer_store_dword v58, off, s[0:3], 0 offset:32
	buffer_store_dword v61, off, s[0:3], 0 offset:44
	buffer_store_dword v60, off, s[0:3], 0 offset:40
	s_waitcnt vmcnt(20)
	buffer_store_dword v63, off, s[0:3], 0 offset:100
	buffer_store_dword v62, off, s[0:3], 0 offset:96
	buffer_store_dword v65, off, s[0:3], 0 offset:108
	buffer_store_dword v64, off, s[0:3], 0 offset:104
	;; [unrolled: 5-line block ×4, first 2 shown]
	v_cmp_ne_u16_sdwa s[14:15], v34, v39 src0_sel:BYTE_0 src1_sel:DWORD
	s_and_saveexec_b64 s[12:13], s[14:15]
	s_cbranch_execz .LBB487_20
; %bb.15:
	s_movk_i32 s11, 0x80
	v_cmp_ne_u16_sdwa s[24:25], v34, s11 src0_sel:BYTE_0 src1_sel:DWORD
	v_bfrev_b32_e32 v45, 1
	s_and_saveexec_b64 s[14:15], s[24:25]
	s_cbranch_execz .LBB487_19
; %bb.16:
	s_movk_i32 s11, 0x7f
	v_and_b32_e32 v38, 0x7f, v34
	v_cmp_ne_u32_e32 vcc, s11, v38
	v_mov_b32_e32 v45, 0x7f800001
	s_and_saveexec_b64 s[24:25], vcc
	s_cbranch_execz .LBB487_18
; %bb.17:
	v_and_b32_e32 v40, 7, v34
	v_ffbh_u32_e32 v40, v40
	v_min_u32_e32 v40, 32, v40
	v_lshrrev_b32_e32 v41, 3, v38
	v_subrev_u32_e32 v45, 28, v40
	v_sub_u32_e32 v40, 29, v40
	v_cmp_gt_u32_e32 vcc, 8, v38
	v_cndmask_b32_e32 v38, v41, v40, vcc
	v_cndmask_b32_e32 v40, 0, v45, vcc
	v_lshlrev_b64 v[40:41], v40, v[34:35]
	v_lshlrev_b32_e32 v40, 20, v40
	v_lshlrev_b32_e32 v41, 24, v34
	v_bfrev_b32_e32 v45, 60
	v_and_b32_e32 v40, 0x700000, v40
	v_and_b32_e32 v41, 0x80000000, v41
	v_lshl_add_u32 v38, v38, 23, v45
	v_or3_b32 v45, v41, v38, v40
.LBB487_18:
	s_or_b64 exec, exec, s[24:25]
.LBB487_19:
	s_or_b64 exec, exec, s[14:15]
.LBB487_20:
	s_or_b64 exec, exec, s[12:13]
	v_lshrrev_b16_e32 v38, 8, v34
	v_cmp_ne_u16_e32 vcc, 0, v38
	s_and_saveexec_b64 s[12:13], vcc
	s_cbranch_execz .LBB487_26
; %bb.21:
	s_movk_i32 s11, 0x80
	v_cmp_ne_u16_e32 vcc, s11, v38
	v_bfrev_b32_e32 v39, 1
	s_and_saveexec_b64 s[14:15], vcc
	s_cbranch_execz .LBB487_25
; %bb.22:
	s_movk_i32 s11, 0x7f
	v_and_b32_e32 v40, 0x7f, v38
	v_cmp_ne_u32_e32 vcc, s11, v40
	v_mov_b32_e32 v39, 0x7f800001
	s_and_saveexec_b64 s[24:25], vcc
	s_cbranch_execz .LBB487_24
; %bb.23:
	v_and_b32_e32 v41, 7, v38
	v_ffbh_u32_e32 v39, v41
	v_min_u32_e32 v47, 32, v39
	v_subrev_u32_e32 v39, 28, v47
	v_lshlrev_b64 v[38:39], v39, v[38:39]
	v_lshrrev_b32_e32 v46, 3, v40
	v_sub_u32_e32 v39, 29, v47
	v_and_b32_e32 v38, 7, v38
	v_cmp_gt_u32_e32 vcc, 8, v40
	v_cndmask_b32_e32 v39, v46, v39, vcc
	v_cndmask_b32_e32 v38, v41, v38, vcc
	v_lshlrev_b32_e32 v40, 16, v34
	v_bfrev_b32_e32 v41, 60
	v_lshlrev_b32_e32 v38, 20, v38
	v_and_b32_e32 v40, 0x80000000, v40
	v_lshl_add_u32 v39, v39, 23, v41
	v_or3_b32 v39, v40, v39, v38
.LBB487_24:
	s_or_b64 exec, exec, s[24:25]
.LBB487_25:
	s_or_b64 exec, exec, s[14:15]
.LBB487_26:
	s_or_b64 exec, exec, s[12:13]
	s_movk_i32 s11, 0xff
	v_and_b32_sdwa v40, v34, s11 dst_sel:DWORD dst_unused:UNUSED_PAD src0_sel:WORD_1 src1_sel:DWORD
	v_lshrrev_b32_e32 v38, 16, v34
	v_cmp_ne_u16_e32 vcc, 0, v40
	v_mov_b32_e32 v46, 0
	v_mov_b32_e32 v47, 0
	s_and_saveexec_b64 s[12:13], vcc
	s_cbranch_execz .LBB487_32
; %bb.27:
	s_movk_i32 s11, 0x80
	v_cmp_ne_u16_e32 vcc, s11, v40
	v_bfrev_b32_e32 v47, 1
	s_and_saveexec_b64 s[14:15], vcc
	s_cbranch_execz .LBB487_31
; %bb.28:
	v_bfe_u32 v40, v34, 16, 7
	s_movk_i32 s11, 0x7f
	v_cmp_ne_u32_e32 vcc, s11, v40
	v_mov_b32_e32 v47, 0x7f800001
	s_and_saveexec_b64 s[24:25], vcc
	s_cbranch_execz .LBB487_30
; %bb.29:
	v_and_b32_e32 v41, 7, v38
	v_ffbh_u32_e32 v48, v41
	v_min_u32_e32 v50, 32, v48
	v_subrev_u32_e32 v48, 28, v50
	v_lshlrev_b64 v[48:49], v48, v[38:39]
	v_and_b32_e32 v48, 7, v48
	v_cmp_gt_u32_e32 vcc, 8, v40
	v_lshrrev_b32_e32 v47, 3, v40
	v_sub_u32_e32 v38, 29, v50
	v_cndmask_b32_e32 v40, v41, v48, vcc
	v_mov_b32_e32 v41, 24
	v_cndmask_b32_e32 v38, v47, v38, vcc
	v_lshlrev_b32_sdwa v41, v41, v34 dst_sel:DWORD dst_unused:UNUSED_PAD src0_sel:DWORD src1_sel:WORD_1
	v_bfrev_b32_e32 v47, 60
	v_lshlrev_b32_e32 v40, 20, v40
	v_and_b32_e32 v41, 0x80000000, v41
	v_lshl_add_u32 v38, v38, 23, v47
	v_or3_b32 v47, v41, v38, v40
.LBB487_30:
	s_or_b64 exec, exec, s[24:25]
.LBB487_31:
	s_or_b64 exec, exec, s[14:15]
.LBB487_32:
	s_or_b64 exec, exec, s[12:13]
	s_mov_b32 s11, 0xffffff
	v_cmp_lt_u32_e32 vcc, s11, v34
	s_and_saveexec_b64 s[12:13], vcc
	s_cbranch_execz .LBB487_38
; %bb.33:
	v_lshrrev_b32_e32 v38, 24, v34
	s_movk_i32 s11, 0x80
	v_cmp_ne_u32_e32 vcc, s11, v38
	v_bfrev_b32_e32 v46, 1
	s_and_saveexec_b64 s[14:15], vcc
	s_cbranch_execz .LBB487_37
; %bb.34:
	v_bfe_u32 v40, v34, 24, 7
	s_movk_i32 s11, 0x7f
	v_cmp_ne_u32_e32 vcc, s11, v40
	v_mov_b32_e32 v46, 0x7f800001
	s_and_saveexec_b64 s[24:25], vcc
	s_cbranch_execz .LBB487_36
; %bb.35:
	v_and_b32_e32 v41, 7, v38
	v_ffbh_u32_e32 v48, v41
	v_min_u32_e32 v50, 32, v48
	v_subrev_u32_e32 v48, 28, v50
	v_lshlrev_b64 v[48:49], v48, v[38:39]
	v_lshrrev_b32_e32 v46, 3, v40
	v_sub_u32_e32 v49, 29, v50
	v_and_b32_e32 v48, 7, v48
	v_cmp_gt_u32_e32 vcc, 8, v40
	v_cndmask_b32_e32 v40, v46, v49, vcc
	v_cndmask_b32_e32 v41, v41, v48, vcc
	v_lshlrev_b32_e32 v38, 24, v38
	v_bfrev_b32_e32 v46, 60
	v_lshlrev_b32_e32 v41, 20, v41
	v_and_b32_e32 v38, 0x80000000, v38
	v_lshl_add_u32 v40, v40, 23, v46
	v_or3_b32 v46, v38, v40, v41
.LBB487_36:
	s_or_b64 exec, exec, s[24:25]
.LBB487_37:
	s_or_b64 exec, exec, s[14:15]
.LBB487_38:
	s_or_b64 exec, exec, s[12:13]
	v_mov_b32_e32 v41, 0
	v_mov_b32_e32 v40, v35
	v_cmp_ne_u16_sdwa s[14:15], v35, v41 src0_sel:BYTE_0 src1_sel:DWORD
	v_mov_b32_e32 v48, v41
	s_and_saveexec_b64 s[12:13], s[14:15]
	s_cbranch_execz .LBB487_44
; %bb.39:
	s_movk_i32 s11, 0x80
	v_cmp_ne_u16_sdwa s[24:25], v35, s11 src0_sel:BYTE_0 src1_sel:DWORD
	v_bfrev_b32_e32 v48, 1
	s_and_saveexec_b64 s[14:15], s[24:25]
	s_cbranch_execz .LBB487_43
; %bb.40:
	s_movk_i32 s11, 0x7f
	v_and_b32_e32 v38, 0x7f, v35
	v_cmp_ne_u32_e32 vcc, s11, v38
	v_mov_b32_e32 v48, 0x7f800001
	s_and_saveexec_b64 s[24:25], vcc
	s_cbranch_execz .LBB487_42
; %bb.41:
	v_and_b32_e32 v48, 7, v35
	v_ffbh_u32_e32 v48, v48
	v_min_u32_e32 v48, 32, v48
	v_lshrrev_b32_e32 v49, 3, v38
	v_subrev_u32_e32 v50, 28, v48
	v_sub_u32_e32 v48, 29, v48
	v_cmp_gt_u32_e32 vcc, 8, v38
	v_cndmask_b32_e32 v38, v49, v48, vcc
	v_cndmask_b32_e32 v48, 0, v50, vcc
	v_lshlrev_b64 v[48:49], v48, v[40:41]
	v_lshlrev_b32_e32 v48, 20, v48
	v_lshlrev_b32_e32 v49, 24, v40
	v_bfrev_b32_e32 v50, 60
	v_and_b32_e32 v48, 0x700000, v48
	v_and_b32_e32 v49, 0x80000000, v49
	v_lshl_add_u32 v38, v38, 23, v50
	v_or3_b32 v48, v49, v38, v48
.LBB487_42:
	s_or_b64 exec, exec, s[24:25]
.LBB487_43:
	s_or_b64 exec, exec, s[14:15]
.LBB487_44:
	s_or_b64 exec, exec, s[12:13]
	v_lshrrev_b16_e32 v38, 8, v40
	v_cmp_ne_u16_e32 vcc, 0, v38
	s_and_saveexec_b64 s[12:13], vcc
	s_cbranch_execz .LBB487_50
; %bb.45:
	s_movk_i32 s11, 0x80
	v_cmp_ne_u16_e32 vcc, s11, v38
	v_bfrev_b32_e32 v41, 1
	s_and_saveexec_b64 s[14:15], vcc
	s_cbranch_execz .LBB487_49
; %bb.46:
	s_movk_i32 s11, 0x7f
	v_and_b32_e32 v49, 0x7f, v38
	v_cmp_ne_u32_e32 vcc, s11, v49
	v_mov_b32_e32 v41, 0x7f800001
	s_and_saveexec_b64 s[24:25], vcc
	s_cbranch_execz .LBB487_48
; %bb.47:
	v_and_b32_e32 v41, 7, v38
	v_ffbh_u32_e32 v50, v41
	v_min_u32_e32 v53, 32, v50
	v_subrev_u32_e32 v50, 28, v53
	v_lshlrev_b64 v[50:51], v50, v[38:39]
	v_lshrrev_b32_e32 v52, 3, v49
	v_sub_u32_e32 v38, 29, v53
	v_and_b32_e32 v50, 7, v50
	v_cmp_gt_u32_e32 vcc, 8, v49
	v_cndmask_b32_e32 v38, v52, v38, vcc
	v_cndmask_b32_e32 v41, v41, v50, vcc
	v_lshlrev_b32_e32 v40, 16, v40
	v_bfrev_b32_e32 v49, 60
	v_lshlrev_b32_e32 v41, 20, v41
	v_and_b32_e32 v40, 0x80000000, v40
	v_lshl_add_u32 v38, v38, 23, v49
	v_or3_b32 v41, v40, v38, v41
.LBB487_48:
	s_or_b64 exec, exec, s[24:25]
.LBB487_49:
	s_or_b64 exec, exec, s[14:15]
.LBB487_50:
	s_or_b64 exec, exec, s[12:13]
	s_movk_i32 s11, 0xff
	v_and_b32_sdwa v50, v35, s11 dst_sel:DWORD dst_unused:UNUSED_PAD src0_sel:WORD_1 src1_sel:DWORD
	v_lshrrev_b32_e32 v38, 16, v35
	v_cmp_ne_u16_e32 vcc, 0, v50
	v_mov_b32_e32 v40, 0
	v_mov_b32_e32 v49, 0
	s_and_saveexec_b64 s[12:13], vcc
	s_cbranch_execz .LBB487_56
; %bb.51:
	s_movk_i32 s11, 0x80
	v_cmp_ne_u16_e32 vcc, s11, v50
	v_bfrev_b32_e32 v49, 1
	s_and_saveexec_b64 s[14:15], vcc
	s_cbranch_execz .LBB487_55
; %bb.52:
	v_bfe_u32 v50, v35, 16, 7
	s_movk_i32 s11, 0x7f
	v_cmp_ne_u32_e32 vcc, s11, v50
	v_mov_b32_e32 v49, 0x7f800001
	s_and_saveexec_b64 s[24:25], vcc
	s_cbranch_execz .LBB487_54
; %bb.53:
	v_and_b32_e32 v49, 7, v38
	v_ffbh_u32_e32 v52, v49
	v_min_u32_e32 v54, 32, v52
	v_subrev_u32_e32 v52, 28, v54
	v_lshlrev_b64 v[52:53], v52, v[38:39]
	v_lshrrev_b32_e32 v51, 3, v50
	v_sub_u32_e32 v38, 29, v54
	v_and_b32_e32 v52, 7, v52
	v_cmp_gt_u32_e32 vcc, 8, v50
	v_mov_b32_e32 v50, 24
	v_cndmask_b32_e32 v38, v51, v38, vcc
	v_cndmask_b32_e32 v49, v49, v52, vcc
	v_lshlrev_b32_sdwa v50, v50, v35 dst_sel:DWORD dst_unused:UNUSED_PAD src0_sel:DWORD src1_sel:WORD_1
	v_bfrev_b32_e32 v51, 60
	v_lshlrev_b32_e32 v49, 20, v49
	v_and_b32_e32 v50, 0x80000000, v50
	v_lshl_add_u32 v38, v38, 23, v51
	v_or3_b32 v49, v50, v38, v49
.LBB487_54:
	s_or_b64 exec, exec, s[24:25]
.LBB487_55:
	s_or_b64 exec, exec, s[14:15]
.LBB487_56:
	s_or_b64 exec, exec, s[12:13]
	s_mov_b32 s12, -1
	s_mov_b32 s13, 0xffffff
	v_cmp_lt_u64_e32 vcc, s[12:13], v[34:35]
	s_and_saveexec_b64 s[12:13], vcc
	s_cbranch_execz .LBB487_62
; %bb.57:
	v_lshrrev_b32_e32 v34, 24, v35
	s_movk_i32 s11, 0x80
	v_cmp_ne_u32_e32 vcc, s11, v34
	v_bfrev_b32_e32 v40, 1
	s_and_saveexec_b64 s[14:15], vcc
	s_cbranch_execz .LBB487_61
; %bb.58:
	v_bfe_u32 v35, v35, 24, 7
	s_movk_i32 s11, 0x7f
	v_cmp_ne_u32_e32 vcc, s11, v35
	v_mov_b32_e32 v40, 0x7f800001
	s_and_saveexec_b64 s[24:25], vcc
	s_cbranch_execz .LBB487_60
; %bb.59:
	v_and_b32_e32 v38, 7, v34
	v_ffbh_u32_e32 v50, v38
	v_min_u32_e32 v52, 32, v50
	v_subrev_u32_e32 v50, 28, v52
	v_lshlrev_b64 v[50:51], v50, v[34:35]
	v_lshrrev_b32_e32 v40, 3, v35
	v_sub_u32_e32 v51, 29, v52
	v_and_b32_e32 v50, 7, v50
	v_cmp_gt_u32_e32 vcc, 8, v35
	v_cndmask_b32_e32 v35, v40, v51, vcc
	v_cndmask_b32_e32 v38, v38, v50, vcc
	v_lshlrev_b32_e32 v34, 24, v34
	v_bfrev_b32_e32 v40, 60
	v_lshlrev_b32_e32 v38, 20, v38
	v_and_b32_e32 v34, 0x80000000, v34
	v_lshl_add_u32 v35, v35, 23, v40
	v_or3_b32 v40, v34, v35, v38
.LBB487_60:
	s_or_b64 exec, exec, s[24:25]
.LBB487_61:
	s_or_b64 exec, exec, s[14:15]
.LBB487_62:
	s_or_b64 exec, exec, s[12:13]
	v_cvt_pkrtz_f16_f32 v34, v45, v39
	v_cvt_pkrtz_f16_f32 v35, v47, v46
	;; [unrolled: 1-line block ×4, first 2 shown]
	v_mfma_f32_4x4x4f16 a[0:3], v[2:3], v[34:35], 0 cbsz:4
	v_mov_b32_e32 v40, 0
	v_mfma_f32_4x4x4f16 a[0:3], v[4:5], v[46:47], a[0:3] cbsz:4
	v_mov_b32_e32 v39, 0
	v_cmp_ne_u16_sdwa s[14:15], v36, v40 src0_sel:BYTE_0 src1_sel:DWORD
	s_and_saveexec_b64 s[12:13], s[14:15]
	s_cbranch_execz .LBB487_68
; %bb.63:
	s_movk_i32 s11, 0x80
	v_cmp_ne_u16_sdwa s[24:25], v36, s11 src0_sel:BYTE_0 src1_sel:DWORD
	v_bfrev_b32_e32 v39, 1
	s_and_saveexec_b64 s[14:15], s[24:25]
	s_cbranch_execz .LBB487_67
; %bb.64:
	s_movk_i32 s11, 0x7f
	v_and_b32_e32 v34, 0x7f, v36
	v_cmp_ne_u32_e32 vcc, s11, v34
	v_mov_b32_e32 v39, 0x7f800001
	s_and_saveexec_b64 s[24:25], vcc
	s_cbranch_execz .LBB487_66
; %bb.65:
	v_and_b32_e32 v35, 7, v36
	v_ffbh_u32_e32 v35, v35
	v_min_u32_e32 v35, 32, v35
	v_subrev_u32_e32 v39, 28, v35
	v_cmp_gt_u32_e32 vcc, 8, v34
	v_lshrrev_b32_e32 v38, 3, v34
	v_sub_u32_e32 v35, 29, v35
	v_cndmask_b32_e32 v34, 0, v39, vcc
	v_cndmask_b32_e32 v38, v38, v35, vcc
	v_lshlrev_b64 v[34:35], v34, v[36:37]
	v_lshlrev_b32_e32 v34, 20, v34
	v_lshlrev_b32_e32 v35, 24, v36
	v_bfrev_b32_e32 v39, 60
	v_and_b32_e32 v34, 0x700000, v34
	v_and_b32_e32 v35, 0x80000000, v35
	v_lshl_add_u32 v38, v38, 23, v39
	v_or3_b32 v39, v35, v38, v34
.LBB487_66:
	s_or_b64 exec, exec, s[24:25]
.LBB487_67:
	s_or_b64 exec, exec, s[14:15]
.LBB487_68:
	s_or_b64 exec, exec, s[12:13]
	v_lshrrev_b16_e32 v34, 8, v36
	v_cmp_ne_u16_e32 vcc, 0, v34
	v_mov_b32_e32 v41, 0
	s_and_saveexec_b64 s[12:13], vcc
	s_cbranch_execz .LBB487_74
; %bb.69:
	s_movk_i32 s11, 0x80
	v_cmp_ne_u16_e32 vcc, s11, v34
	v_bfrev_b32_e32 v41, 1
	s_and_saveexec_b64 s[14:15], vcc
	s_cbranch_execz .LBB487_73
; %bb.70:
	s_movk_i32 s11, 0x7f
	v_and_b32_e32 v35, 0x7f, v34
	v_cmp_ne_u32_e32 vcc, s11, v35
	v_mov_b32_e32 v41, 0x7f800001
	s_and_saveexec_b64 s[24:25], vcc
	s_cbranch_execz .LBB487_72
; %bb.71:
	v_and_b32_e32 v38, 7, v34
	v_ffbh_u32_e32 v45, v38
	v_min_u32_e32 v45, 32, v45
	v_subrev_u32_e32 v46, 28, v45
	v_lshlrev_b64 v[46:47], v46, v[34:35]
	v_lshrrev_b32_e32 v41, 3, v35
	v_sub_u32_e32 v34, 29, v45
	v_and_b32_e32 v45, 7, v46
	v_cmp_gt_u32_e32 vcc, 8, v35
	v_cndmask_b32_e32 v34, v41, v34, vcc
	v_cndmask_b32_e32 v35, v38, v45, vcc
	v_lshlrev_b32_e32 v38, 16, v36
	v_bfrev_b32_e32 v41, 60
	v_lshlrev_b32_e32 v35, 20, v35
	v_and_b32_e32 v38, 0x80000000, v38
	v_lshl_add_u32 v34, v34, 23, v41
	v_or3_b32 v41, v38, v34, v35
.LBB487_72:
	s_or_b64 exec, exec, s[24:25]
.LBB487_73:
	s_or_b64 exec, exec, s[14:15]
.LBB487_74:
	s_or_b64 exec, exec, s[12:13]
	s_movk_i32 s11, 0xff
	v_and_b32_sdwa v35, v36, s11 dst_sel:DWORD dst_unused:UNUSED_PAD src0_sel:WORD_1 src1_sel:DWORD
	v_lshrrev_b32_e32 v34, 16, v36
	v_cmp_ne_u16_e32 vcc, 0, v35
	s_and_saveexec_b64 s[12:13], vcc
	s_cbranch_execz .LBB487_80
; %bb.75:
	s_movk_i32 s11, 0x80
	v_cmp_ne_u16_e32 vcc, s11, v35
	v_bfrev_b32_e32 v40, 1
	s_and_saveexec_b64 s[14:15], vcc
	s_cbranch_execz .LBB487_79
; %bb.76:
	v_bfe_u32 v35, v36, 16, 7
	s_movk_i32 s11, 0x7f
	v_cmp_ne_u32_e32 vcc, s11, v35
	v_mov_b32_e32 v40, 0x7f800001
	s_and_saveexec_b64 s[24:25], vcc
	s_cbranch_execz .LBB487_78
; %bb.77:
	v_and_b32_e32 v38, 7, v34
	v_ffbh_u32_e32 v45, v38
	v_min_u32_e32 v45, 32, v45
	v_subrev_u32_e32 v46, 28, v45
	v_lshlrev_b64 v[46:47], v46, v[34:35]
	v_sub_u32_e32 v34, 29, v45
	v_and_b32_e32 v45, 7, v46
	v_cmp_gt_u32_e32 vcc, 8, v35
	v_lshrrev_b32_e32 v40, 3, v35
	v_cndmask_b32_e32 v35, v38, v45, vcc
	v_mov_b32_e32 v38, 24
	v_cndmask_b32_e32 v34, v40, v34, vcc
	v_lshlrev_b32_sdwa v38, v38, v36 dst_sel:DWORD dst_unused:UNUSED_PAD src0_sel:DWORD src1_sel:WORD_1
	v_bfrev_b32_e32 v40, 60
	v_lshlrev_b32_e32 v35, 20, v35
	v_and_b32_e32 v38, 0x80000000, v38
	v_lshl_add_u32 v34, v34, 23, v40
	v_or3_b32 v40, v38, v34, v35
.LBB487_78:
	s_or_b64 exec, exec, s[24:25]
.LBB487_79:
	s_or_b64 exec, exec, s[14:15]
.LBB487_80:
	s_or_b64 exec, exec, s[12:13]
	s_mov_b32 s11, 0xffffff
	v_cmp_lt_u32_e32 vcc, s11, v36
	v_mov_b32_e32 v35, 0
	v_mov_b32_e32 v45, 0
	s_and_saveexec_b64 s[12:13], vcc
	s_cbranch_execz .LBB487_86
; %bb.81:
	v_lshrrev_b32_e32 v34, 24, v36
	s_movk_i32 s11, 0x80
	v_cmp_ne_u32_e32 vcc, s11, v34
	v_bfrev_b32_e32 v45, 1
	s_and_saveexec_b64 s[14:15], vcc
	s_cbranch_execz .LBB487_85
; %bb.82:
	v_bfe_u32 v38, v36, 24, 7
	s_movk_i32 s11, 0x7f
	v_cmp_ne_u32_e32 vcc, s11, v38
	v_mov_b32_e32 v45, 0x7f800001
	s_and_saveexec_b64 s[24:25], vcc
	s_cbranch_execz .LBB487_84
; %bb.83:
	v_and_b32_e32 v45, 7, v34
	v_ffbh_u32_e32 v46, v45
	v_min_u32_e32 v49, 32, v46
	v_subrev_u32_e32 v46, 28, v49
	v_lshlrev_b64 v[46:47], v46, v[34:35]
	v_lshrrev_b32_e32 v48, 3, v38
	v_sub_u32_e32 v47, 29, v49
	v_and_b32_e32 v46, 7, v46
	v_cmp_gt_u32_e32 vcc, 8, v38
	v_cndmask_b32_e32 v38, v48, v47, vcc
	v_cndmask_b32_e32 v45, v45, v46, vcc
	v_lshlrev_b32_e32 v34, 24, v34
	v_bfrev_b32_e32 v46, 60
	v_lshlrev_b32_e32 v45, 20, v45
	v_and_b32_e32 v34, 0x80000000, v34
	v_lshl_add_u32 v38, v38, 23, v46
	v_or3_b32 v45, v34, v38, v45
.LBB487_84:
	s_or_b64 exec, exec, s[24:25]
.LBB487_85:
	s_or_b64 exec, exec, s[14:15]
.LBB487_86:
	s_or_b64 exec, exec, s[12:13]
	v_mov_b32_e32 v34, v37
	v_cmp_ne_u16_sdwa s[14:15], v37, v35 src0_sel:BYTE_0 src1_sel:DWORD
	s_and_saveexec_b64 s[12:13], s[14:15]
	s_cbranch_execz .LBB487_92
; %bb.87:
	s_movk_i32 s11, 0x80
	v_cmp_ne_u16_sdwa s[24:25], v37, s11 src0_sel:BYTE_0 src1_sel:DWORD
	v_bfrev_b32_e32 v38, 1
	s_and_saveexec_b64 s[14:15], s[24:25]
	s_cbranch_execz .LBB487_91
; %bb.88:
	s_movk_i32 s11, 0x7f
	v_and_b32_e32 v46, 0x7f, v37
	v_cmp_ne_u32_e32 vcc, s11, v46
	v_mov_b32_e32 v38, 0x7f800001
	s_and_saveexec_b64 s[24:25], vcc
	s_cbranch_execz .LBB487_90
; %bb.89:
	v_and_b32_e32 v38, 7, v37
	v_ffbh_u32_e32 v38, v38
	v_min_u32_e32 v38, 32, v38
	v_subrev_u32_e32 v48, 28, v38
	v_cmp_gt_u32_e32 vcc, 8, v46
	v_lshrrev_b32_e32 v47, 3, v46
	v_sub_u32_e32 v38, 29, v38
	v_cndmask_b32_e32 v46, 0, v48, vcc
	v_cndmask_b32_e32 v38, v47, v38, vcc
	v_lshlrev_b64 v[46:47], v46, v[34:35]
	v_lshlrev_b32_e32 v35, 20, v46
	v_lshlrev_b32_e32 v46, 24, v34
	v_bfrev_b32_e32 v47, 60
	v_and_b32_e32 v35, 0x700000, v35
	v_and_b32_e32 v46, 0x80000000, v46
	v_lshl_add_u32 v38, v38, 23, v47
	v_or3_b32 v38, v46, v38, v35
.LBB487_90:
	s_or_b64 exec, exec, s[24:25]
.LBB487_91:
	s_or_b64 exec, exec, s[14:15]
	v_mov_b32_e32 v35, v38
.LBB487_92:
	s_or_b64 exec, exec, s[12:13]
	v_lshrrev_b16_e32 v38, 8, v34
	v_cmp_ne_u16_e32 vcc, 0, v38
	v_mov_b32_e32 v46, 0
	v_mov_b32_e32 v47, 0
	s_and_saveexec_b64 s[12:13], vcc
	s_cbranch_execz .LBB487_98
; %bb.93:
	s_movk_i32 s11, 0x80
	v_cmp_ne_u16_e32 vcc, s11, v38
	v_bfrev_b32_e32 v47, 1
	s_and_saveexec_b64 s[14:15], vcc
	s_cbranch_execz .LBB487_97
; %bb.94:
	s_movk_i32 s11, 0x7f
	v_and_b32_e32 v48, 0x7f, v38
	v_cmp_ne_u32_e32 vcc, s11, v48
	v_mov_b32_e32 v47, 0x7f800001
	s_and_saveexec_b64 s[24:25], vcc
	s_cbranch_execz .LBB487_96
; %bb.95:
	v_and_b32_e32 v47, 7, v38
	v_ffbh_u32_e32 v50, v47
	v_min_u32_e32 v52, 32, v50
	v_subrev_u32_e32 v50, 28, v52
	v_lshlrev_b64 v[50:51], v50, v[38:39]
	v_lshrrev_b32_e32 v49, 3, v48
	v_sub_u32_e32 v38, 29, v52
	v_and_b32_e32 v50, 7, v50
	v_cmp_gt_u32_e32 vcc, 8, v48
	v_cndmask_b32_e32 v38, v49, v38, vcc
	v_cndmask_b32_e32 v47, v47, v50, vcc
	v_lshlrev_b32_e32 v34, 16, v34
	v_bfrev_b32_e32 v48, 60
	v_lshlrev_b32_e32 v47, 20, v47
	v_and_b32_e32 v34, 0x80000000, v34
	v_lshl_add_u32 v38, v38, 23, v48
	v_or3_b32 v47, v34, v38, v47
.LBB487_96:
	s_or_b64 exec, exec, s[24:25]
.LBB487_97:
	s_or_b64 exec, exec, s[14:15]
.LBB487_98:
	s_or_b64 exec, exec, s[12:13]
	s_movk_i32 s11, 0xff
	v_and_b32_sdwa v38, v37, s11 dst_sel:DWORD dst_unused:UNUSED_PAD src0_sel:WORD_1 src1_sel:DWORD
	v_lshrrev_b32_e32 v34, 16, v37
	v_cmp_ne_u16_e32 vcc, 0, v38
	s_and_saveexec_b64 s[12:13], vcc
	s_cbranch_execz .LBB487_104
; %bb.99:
	s_movk_i32 s11, 0x80
	v_cmp_ne_u16_e32 vcc, s11, v38
	v_bfrev_b32_e32 v46, 1
	s_and_saveexec_b64 s[14:15], vcc
	s_cbranch_execz .LBB487_103
; %bb.100:
	v_bfe_u32 v38, v37, 16, 7
	s_movk_i32 s11, 0x7f
	v_cmp_ne_u32_e32 vcc, s11, v38
	v_mov_b32_e32 v46, 0x7f800001
	s_and_saveexec_b64 s[24:25], vcc
	s_cbranch_execz .LBB487_102
; %bb.101:
	v_and_b32_e32 v46, 7, v34
	v_ffbh_u32_e32 v48, v46
	v_min_u32_e32 v51, 32, v48
	v_subrev_u32_e32 v48, 28, v51
	v_lshlrev_b64 v[48:49], v48, v[34:35]
	v_and_b32_e32 v48, 7, v48
	v_cmp_gt_u32_e32 vcc, 8, v38
	v_lshrrev_b32_e32 v50, 3, v38
	v_sub_u32_e32 v34, 29, v51
	v_cndmask_b32_e32 v38, v46, v48, vcc
	v_mov_b32_e32 v46, 24
	v_cndmask_b32_e32 v34, v50, v34, vcc
	v_lshlrev_b32_sdwa v46, v46, v37 dst_sel:DWORD dst_unused:UNUSED_PAD src0_sel:DWORD src1_sel:WORD_1
	v_bfrev_b32_e32 v48, 60
	v_lshlrev_b32_e32 v38, 20, v38
	v_and_b32_e32 v46, 0x80000000, v46
	v_lshl_add_u32 v34, v34, 23, v48
	v_or3_b32 v46, v46, v34, v38
.LBB487_102:
	s_or_b64 exec, exec, s[24:25]
.LBB487_103:
	s_or_b64 exec, exec, s[14:15]
.LBB487_104:
	s_or_b64 exec, exec, s[12:13]
	s_mov_b32 s12, -1
	s_mov_b32 s13, 0xffffff
	v_cmp_lt_u64_e32 vcc, s[12:13], v[36:37]
	v_mov_b32_e32 v38, 0
	v_mov_b32_e32 v36, 0
	s_and_saveexec_b64 s[12:13], vcc
	s_cbranch_execz .LBB487_110
; %bb.105:
	v_lshrrev_b32_e32 v34, 24, v37
	s_movk_i32 s11, 0x80
	v_cmp_ne_u32_e32 vcc, s11, v34
	v_bfrev_b32_e32 v36, 1
	s_and_saveexec_b64 s[14:15], vcc
	s_cbranch_execz .LBB487_109
; %bb.106:
	v_bfe_u32 v37, v37, 24, 7
	s_movk_i32 s11, 0x7f
	v_cmp_ne_u32_e32 vcc, s11, v37
	v_mov_b32_e32 v36, 0x7f800001
	s_and_saveexec_b64 s[24:25], vcc
	s_cbranch_execz .LBB487_108
; %bb.107:
	v_and_b32_e32 v36, 7, v34
	v_ffbh_u32_e32 v48, v36
	v_min_u32_e32 v51, 32, v48
	v_subrev_u32_e32 v48, 28, v51
	v_lshlrev_b64 v[48:49], v48, v[34:35]
	v_lshrrev_b32_e32 v50, 3, v37
	v_sub_u32_e32 v49, 29, v51
	v_and_b32_e32 v48, 7, v48
	v_cmp_gt_u32_e32 vcc, 8, v37
	v_cndmask_b32_e32 v37, v50, v49, vcc
	v_cndmask_b32_e32 v36, v36, v48, vcc
	v_lshlrev_b32_e32 v34, 24, v34
	v_bfrev_b32_e32 v48, 60
	v_lshlrev_b32_e32 v36, 20, v36
	v_and_b32_e32 v34, 0x80000000, v34
	v_lshl_add_u32 v37, v37, 23, v48
	v_or3_b32 v36, v34, v37, v36
.LBB487_108:
	s_or_b64 exec, exec, s[24:25]
.LBB487_109:
	s_or_b64 exec, exec, s[14:15]
.LBB487_110:
	s_or_b64 exec, exec, s[12:13]
	v_cvt_pkrtz_f16_f32 v48, v39, v41
	v_cvt_pkrtz_f16_f32 v49, v40, v45
	;; [unrolled: 1-line block ×4, first 2 shown]
	v_mfma_f32_4x4x4f16 a[0:3], v[2:3], v[48:49], a[0:3] cbsz:4 abid:1
	v_cmp_ne_u16_sdwa s[14:15], v30, v38 src0_sel:BYTE_0 src1_sel:DWORD
	v_mfma_f32_4x4x4f16 a[0:3], v[4:5], v[34:35], a[0:3] cbsz:4 abid:1
	s_and_saveexec_b64 s[12:13], s[14:15]
	s_cbranch_execz .LBB487_116
; %bb.111:
	s_movk_i32 s11, 0x80
	v_cmp_ne_u16_sdwa s[24:25], v30, s11 src0_sel:BYTE_0 src1_sel:DWORD
	v_bfrev_b32_e32 v38, 1
	s_and_saveexec_b64 s[14:15], s[24:25]
	s_cbranch_execz .LBB487_115
; %bb.112:
	s_movk_i32 s11, 0x7f
	v_and_b32_e32 v34, 0x7f, v30
	v_cmp_ne_u32_e32 vcc, s11, v34
	v_mov_b32_e32 v38, 0x7f800001
	s_and_saveexec_b64 s[24:25], vcc
	s_cbranch_execz .LBB487_114
; %bb.113:
	v_and_b32_e32 v35, 7, v30
	v_ffbh_u32_e32 v35, v35
	v_min_u32_e32 v35, 32, v35
	v_subrev_u32_e32 v37, 28, v35
	v_cmp_gt_u32_e32 vcc, 8, v34
	v_lshrrev_b32_e32 v36, 3, v34
	v_sub_u32_e32 v35, 29, v35
	v_cndmask_b32_e32 v34, 0, v37, vcc
	v_cndmask_b32_e32 v36, v36, v35, vcc
	v_lshlrev_b64 v[34:35], v34, v[30:31]
	v_lshlrev_b32_e32 v34, 20, v34
	v_lshlrev_b32_e32 v35, 24, v30
	v_bfrev_b32_e32 v37, 60
	v_and_b32_e32 v34, 0x700000, v34
	v_and_b32_e32 v35, 0x80000000, v35
	v_lshl_add_u32 v36, v36, 23, v37
	v_or3_b32 v38, v35, v36, v34
.LBB487_114:
	s_or_b64 exec, exec, s[24:25]
.LBB487_115:
	s_or_b64 exec, exec, s[14:15]
.LBB487_116:
	s_or_b64 exec, exec, s[12:13]
	v_lshrrev_b16_e32 v34, 8, v30
	v_cmp_ne_u16_e32 vcc, 0, v34
	v_mov_b32_e32 v37, 0
	v_mov_b32_e32 v39, 0
	s_and_saveexec_b64 s[12:13], vcc
	s_cbranch_execz .LBB487_122
; %bb.117:
	s_movk_i32 s11, 0x80
	v_cmp_ne_u16_e32 vcc, s11, v34
	v_bfrev_b32_e32 v39, 1
	s_and_saveexec_b64 s[14:15], vcc
	s_cbranch_execz .LBB487_121
; %bb.118:
	s_movk_i32 s11, 0x7f
	v_and_b32_e32 v35, 0x7f, v34
	v_cmp_ne_u32_e32 vcc, s11, v35
	v_mov_b32_e32 v39, 0x7f800001
	s_and_saveexec_b64 s[24:25], vcc
	s_cbranch_execz .LBB487_120
; %bb.119:
	v_and_b32_e32 v36, 7, v34
	v_ffbh_u32_e32 v40, v36
	v_min_u32_e32 v45, 32, v40
	v_subrev_u32_e32 v40, 28, v45
	v_lshlrev_b64 v[40:41], v40, v[34:35]
	v_lshrrev_b32_e32 v39, 3, v35
	v_sub_u32_e32 v34, 29, v45
	v_and_b32_e32 v40, 7, v40
	v_cmp_gt_u32_e32 vcc, 8, v35
	v_cndmask_b32_e32 v34, v39, v34, vcc
	v_cndmask_b32_e32 v35, v36, v40, vcc
	v_lshlrev_b32_e32 v36, 16, v30
	v_bfrev_b32_e32 v39, 60
	v_lshlrev_b32_e32 v35, 20, v35
	v_and_b32_e32 v36, 0x80000000, v36
	v_lshl_add_u32 v34, v34, 23, v39
	v_or3_b32 v39, v36, v34, v35
.LBB487_120:
	s_or_b64 exec, exec, s[24:25]
.LBB487_121:
	s_or_b64 exec, exec, s[14:15]
.LBB487_122:
	s_or_b64 exec, exec, s[12:13]
	s_movk_i32 s11, 0xff
	v_and_b32_sdwa v35, v30, s11 dst_sel:DWORD dst_unused:UNUSED_PAD src0_sel:WORD_1 src1_sel:DWORD
	v_lshrrev_b32_e32 v34, 16, v30
	v_cmp_ne_u16_e32 vcc, 0, v35
	s_and_saveexec_b64 s[12:13], vcc
	s_cbranch_execz .LBB487_128
; %bb.123:
	s_movk_i32 s11, 0x80
	v_cmp_ne_u16_e32 vcc, s11, v35
	v_bfrev_b32_e32 v37, 1
	s_and_saveexec_b64 s[14:15], vcc
	s_cbranch_execz .LBB487_127
; %bb.124:
	v_bfe_u32 v35, v30, 16, 7
	s_movk_i32 s11, 0x7f
	v_cmp_ne_u32_e32 vcc, s11, v35
	v_mov_b32_e32 v37, 0x7f800001
	s_and_saveexec_b64 s[24:25], vcc
	s_cbranch_execz .LBB487_126
; %bb.125:
	v_and_b32_e32 v40, 7, v34
	v_ffbh_u32_e32 v36, v40
	v_min_u32_e32 v45, 32, v36
	v_subrev_u32_e32 v36, 28, v45
	v_lshlrev_b64 v[36:37], v36, v[34:35]
	v_and_b32_e32 v36, 7, v36
	v_cmp_gt_u32_e32 vcc, 8, v35
	v_lshrrev_b32_e32 v41, 3, v35
	v_sub_u32_e32 v34, 29, v45
	v_cndmask_b32_e32 v35, v40, v36, vcc
	v_mov_b32_e32 v36, 24
	v_cndmask_b32_e32 v34, v41, v34, vcc
	v_lshlrev_b32_sdwa v36, v36, v30 dst_sel:DWORD dst_unused:UNUSED_PAD src0_sel:DWORD src1_sel:WORD_1
	v_bfrev_b32_e32 v37, 60
	v_lshlrev_b32_e32 v35, 20, v35
	v_and_b32_e32 v36, 0x80000000, v36
	v_lshl_add_u32 v34, v34, 23, v37
	v_or3_b32 v37, v36, v34, v35
.LBB487_126:
	s_or_b64 exec, exec, s[24:25]
.LBB487_127:
	s_or_b64 exec, exec, s[14:15]
.LBB487_128:
	s_or_b64 exec, exec, s[12:13]
	s_mov_b32 s11, 0xffffff
	v_cmp_lt_u32_e32 vcc, s11, v30
	v_mov_b32_e32 v35, 0
	v_mov_b32_e32 v40, 0
	s_and_saveexec_b64 s[12:13], vcc
	s_cbranch_execz .LBB487_134
; %bb.129:
	v_lshrrev_b32_e32 v34, 24, v30
	s_movk_i32 s11, 0x80
	v_cmp_ne_u32_e32 vcc, s11, v34
	v_bfrev_b32_e32 v40, 1
	s_and_saveexec_b64 s[14:15], vcc
	s_cbranch_execz .LBB487_133
; %bb.130:
	v_bfe_u32 v36, v30, 24, 7
	s_movk_i32 s11, 0x7f
	v_cmp_ne_u32_e32 vcc, s11, v36
	v_mov_b32_e32 v40, 0x7f800001
	s_and_saveexec_b64 s[24:25], vcc
	s_cbranch_execz .LBB487_132
; %bb.131:
	v_and_b32_e32 v45, 7, v34
	v_ffbh_u32_e32 v40, v45
	v_min_u32_e32 v47, 32, v40
	v_subrev_u32_e32 v40, 28, v47
	v_lshlrev_b64 v[40:41], v40, v[34:35]
	v_lshrrev_b32_e32 v46, 3, v36
	v_sub_u32_e32 v41, 29, v47
	v_and_b32_e32 v40, 7, v40
	v_cmp_gt_u32_e32 vcc, 8, v36
	v_cndmask_b32_e32 v36, v46, v41, vcc
	v_cndmask_b32_e32 v40, v45, v40, vcc
	v_lshlrev_b32_e32 v34, 24, v34
	v_bfrev_b32_e32 v41, 60
	v_lshlrev_b32_e32 v40, 20, v40
	v_and_b32_e32 v34, 0x80000000, v34
	v_lshl_add_u32 v36, v36, 23, v41
	v_or3_b32 v40, v34, v36, v40
.LBB487_132:
	s_or_b64 exec, exec, s[24:25]
.LBB487_133:
	s_or_b64 exec, exec, s[14:15]
.LBB487_134:
	s_or_b64 exec, exec, s[12:13]
	v_mov_b32_e32 v34, v31
	v_cmp_ne_u16_sdwa s[14:15], v31, v35 src0_sel:BYTE_0 src1_sel:DWORD
	s_and_saveexec_b64 s[12:13], s[14:15]
	s_cbranch_execz .LBB487_140
; %bb.135:
	s_movk_i32 s11, 0x80
	v_cmp_ne_u16_sdwa s[24:25], v31, s11 src0_sel:BYTE_0 src1_sel:DWORD
	v_bfrev_b32_e32 v36, 1
	s_and_saveexec_b64 s[14:15], s[24:25]
	s_cbranch_execz .LBB487_139
; %bb.136:
	s_movk_i32 s11, 0x7f
	v_and_b32_e32 v41, 0x7f, v31
	v_cmp_ne_u32_e32 vcc, s11, v41
	v_mov_b32_e32 v36, 0x7f800001
	s_and_saveexec_b64 s[24:25], vcc
	s_cbranch_execz .LBB487_138
; %bb.137:
	v_and_b32_e32 v36, 7, v31
	v_ffbh_u32_e32 v36, v36
	v_min_u32_e32 v36, 32, v36
	v_subrev_u32_e32 v46, 28, v36
	v_cmp_gt_u32_e32 vcc, 8, v41
	v_lshrrev_b32_e32 v45, 3, v41
	v_cndmask_b32_e32 v41, 0, v46, vcc
	v_sub_u32_e32 v36, 29, v36
	v_lshlrev_b64 v[46:47], v41, v[34:35]
	v_cndmask_b32_e32 v36, v45, v36, vcc
	v_lshlrev_b32_e32 v35, 20, v46
	v_lshlrev_b32_e32 v41, 24, v34
	v_bfrev_b32_e32 v45, 60
	v_and_b32_e32 v35, 0x700000, v35
	v_and_b32_e32 v41, 0x80000000, v41
	v_lshl_add_u32 v36, v36, 23, v45
	v_or3_b32 v36, v41, v36, v35
.LBB487_138:
	s_or_b64 exec, exec, s[24:25]
.LBB487_139:
	s_or_b64 exec, exec, s[14:15]
	v_mov_b32_e32 v35, v36
.LBB487_140:
	s_or_b64 exec, exec, s[12:13]
	v_lshrrev_b16_e32 v36, 8, v34
	v_cmp_ne_u16_e32 vcc, 0, v36
	v_mov_b32_e32 v41, 0
	v_mov_b32_e32 v45, 0
	s_and_saveexec_b64 s[12:13], vcc
	s_cbranch_execz .LBB487_146
; %bb.141:
	s_movk_i32 s11, 0x80
	v_cmp_ne_u16_e32 vcc, s11, v36
	v_bfrev_b32_e32 v45, 1
	s_and_saveexec_b64 s[14:15], vcc
	s_cbranch_execz .LBB487_145
; %bb.142:
	s_movk_i32 s11, 0x7f
	v_and_b32_e32 v46, 0x7f, v36
	v_cmp_ne_u32_e32 vcc, s11, v46
	v_mov_b32_e32 v45, 0x7f800001
	s_and_saveexec_b64 s[24:25], vcc
	s_cbranch_execz .LBB487_144
; %bb.143:
	v_and_b32_e32 v45, 7, v36
	v_ffbh_u32_e32 v48, v45
	v_min_u32_e32 v50, 32, v48
	v_subrev_u32_e32 v48, 28, v50
	v_lshlrev_b64 v[48:49], v48, v[36:37]
	v_lshrrev_b32_e32 v47, 3, v46
	v_sub_u32_e32 v36, 29, v50
	v_and_b32_e32 v48, 7, v48
	v_cmp_gt_u32_e32 vcc, 8, v46
	v_cndmask_b32_e32 v36, v47, v36, vcc
	v_cndmask_b32_e32 v45, v45, v48, vcc
	v_lshlrev_b32_e32 v34, 16, v34
	v_bfrev_b32_e32 v46, 60
	v_lshlrev_b32_e32 v45, 20, v45
	v_and_b32_e32 v34, 0x80000000, v34
	v_lshl_add_u32 v36, v36, 23, v46
	v_or3_b32 v45, v34, v36, v45
.LBB487_144:
	s_or_b64 exec, exec, s[24:25]
.LBB487_145:
	s_or_b64 exec, exec, s[14:15]
.LBB487_146:
	s_or_b64 exec, exec, s[12:13]
	s_movk_i32 s11, 0xff
	v_and_b32_sdwa v36, v31, s11 dst_sel:DWORD dst_unused:UNUSED_PAD src0_sel:WORD_1 src1_sel:DWORD
	v_lshrrev_b32_e32 v34, 16, v31
	v_cmp_ne_u16_e32 vcc, 0, v36
	s_and_saveexec_b64 s[12:13], vcc
	s_cbranch_execz .LBB487_152
; %bb.147:
	s_movk_i32 s11, 0x80
	v_cmp_ne_u16_e32 vcc, s11, v36
	v_bfrev_b32_e32 v41, 1
	s_and_saveexec_b64 s[14:15], vcc
	s_cbranch_execz .LBB487_151
; %bb.148:
	v_bfe_u32 v36, v31, 16, 7
	s_movk_i32 s11, 0x7f
	v_cmp_ne_u32_e32 vcc, s11, v36
	v_mov_b32_e32 v41, 0x7f800001
	s_and_saveexec_b64 s[24:25], vcc
	s_cbranch_execz .LBB487_150
; %bb.149:
	v_and_b32_e32 v41, 7, v34
	v_ffbh_u32_e32 v46, v41
	v_min_u32_e32 v49, 32, v46
	v_subrev_u32_e32 v46, 28, v49
	v_lshlrev_b64 v[46:47], v46, v[34:35]
	v_and_b32_e32 v46, 7, v46
	v_cmp_gt_u32_e32 vcc, 8, v36
	v_lshrrev_b32_e32 v48, 3, v36
	v_sub_u32_e32 v34, 29, v49
	v_cndmask_b32_e32 v36, v41, v46, vcc
	v_mov_b32_e32 v41, 24
	v_cndmask_b32_e32 v34, v48, v34, vcc
	v_lshlrev_b32_sdwa v41, v41, v31 dst_sel:DWORD dst_unused:UNUSED_PAD src0_sel:DWORD src1_sel:WORD_1
	v_bfrev_b32_e32 v46, 60
	v_lshlrev_b32_e32 v36, 20, v36
	v_and_b32_e32 v41, 0x80000000, v41
	v_lshl_add_u32 v34, v34, 23, v46
	v_or3_b32 v41, v41, v34, v36
.LBB487_150:
	s_or_b64 exec, exec, s[24:25]
.LBB487_151:
	s_or_b64 exec, exec, s[14:15]
.LBB487_152:
	s_or_b64 exec, exec, s[12:13]
	s_mov_b32 s12, -1
	s_mov_b32 s13, 0xffffff
	v_cmp_lt_u64_e32 vcc, s[12:13], v[30:31]
	v_mov_b32_e32 v36, 0
	v_mov_b32_e32 v34, 0
	s_and_saveexec_b64 s[12:13], vcc
	s_cbranch_execz .LBB487_158
; %bb.153:
	v_lshrrev_b32_e32 v30, 24, v31
	s_movk_i32 s11, 0x80
	v_cmp_ne_u32_e32 vcc, s11, v30
	v_bfrev_b32_e32 v34, 1
	s_and_saveexec_b64 s[14:15], vcc
	s_cbranch_execz .LBB487_157
; %bb.154:
	v_bfe_u32 v31, v31, 24, 7
	s_movk_i32 s11, 0x7f
	v_cmp_ne_u32_e32 vcc, s11, v31
	v_mov_b32_e32 v34, 0x7f800001
	s_and_saveexec_b64 s[24:25], vcc
	s_cbranch_execz .LBB487_156
; %bb.155:
	v_and_b32_e32 v34, 7, v30
	v_ffbh_u32_e32 v46, v34
	v_min_u32_e32 v49, 32, v46
	v_subrev_u32_e32 v46, 28, v49
	v_lshlrev_b64 v[46:47], v46, v[30:31]
	v_lshrrev_b32_e32 v48, 3, v31
	v_sub_u32_e32 v47, 29, v49
	v_and_b32_e32 v46, 7, v46
	v_cmp_gt_u32_e32 vcc, 8, v31
	v_cndmask_b32_e32 v31, v48, v47, vcc
	v_cndmask_b32_e32 v34, v34, v46, vcc
	v_lshlrev_b32_e32 v30, 24, v30
	v_bfrev_b32_e32 v46, 60
	v_lshlrev_b32_e32 v34, 20, v34
	v_and_b32_e32 v30, 0x80000000, v30
	v_lshl_add_u32 v31, v31, 23, v46
	v_or3_b32 v34, v30, v31, v34
.LBB487_156:
	s_or_b64 exec, exec, s[24:25]
.LBB487_157:
	s_or_b64 exec, exec, s[14:15]
.LBB487_158:
	s_or_b64 exec, exec, s[12:13]
	v_cvt_pkrtz_f16_f32 v30, v38, v39
	v_cvt_pkrtz_f16_f32 v31, v37, v40
	;; [unrolled: 1-line block ×4, first 2 shown]
	v_mfma_f32_4x4x4f16 a[0:3], v[2:3], v[30:31], a[0:3] cbsz:4 abid:2
	v_cmp_ne_u16_sdwa s[14:15], v32, v36 src0_sel:BYTE_0 src1_sel:DWORD
	v_mfma_f32_4x4x4f16 a[0:3], v[4:5], v[38:39], a[0:3] cbsz:4 abid:2
	s_and_saveexec_b64 s[12:13], s[14:15]
	s_cbranch_execz .LBB487_164
; %bb.159:
	s_movk_i32 s11, 0x80
	v_cmp_ne_u16_sdwa s[24:25], v32, s11 src0_sel:BYTE_0 src1_sel:DWORD
	v_bfrev_b32_e32 v36, 1
	s_and_saveexec_b64 s[14:15], s[24:25]
	s_cbranch_execz .LBB487_163
; %bb.160:
	s_movk_i32 s11, 0x7f
	v_and_b32_e32 v30, 0x7f, v32
	v_cmp_ne_u32_e32 vcc, s11, v30
	v_mov_b32_e32 v36, 0x7f800001
	s_and_saveexec_b64 s[24:25], vcc
	s_cbranch_execz .LBB487_162
; %bb.161:
	v_and_b32_e32 v31, 7, v32
	v_ffbh_u32_e32 v31, v31
	v_min_u32_e32 v31, 32, v31
	v_subrev_u32_e32 v35, 28, v31
	v_cmp_gt_u32_e32 vcc, 8, v30
	v_lshrrev_b32_e32 v34, 3, v30
	v_sub_u32_e32 v31, 29, v31
	v_cndmask_b32_e32 v30, 0, v35, vcc
	v_cndmask_b32_e32 v34, v34, v31, vcc
	v_lshlrev_b64 v[30:31], v30, v[32:33]
	v_lshlrev_b32_e32 v30, 20, v30
	v_lshlrev_b32_e32 v31, 24, v32
	v_bfrev_b32_e32 v35, 60
	v_and_b32_e32 v30, 0x700000, v30
	v_and_b32_e32 v31, 0x80000000, v31
	v_lshl_add_u32 v34, v34, 23, v35
	v_or3_b32 v36, v31, v34, v30
.LBB487_162:
	s_or_b64 exec, exec, s[24:25]
.LBB487_163:
	s_or_b64 exec, exec, s[14:15]
.LBB487_164:
	s_or_b64 exec, exec, s[12:13]
	v_lshrrev_b16_e32 v30, 8, v32
	v_cmp_ne_u16_e32 vcc, 0, v30
	v_mov_b32_e32 v35, 0
	v_mov_b32_e32 v37, 0
	s_and_saveexec_b64 s[12:13], vcc
	s_cbranch_execz .LBB487_170
; %bb.165:
	s_movk_i32 s11, 0x80
	v_cmp_ne_u16_e32 vcc, s11, v30
	v_bfrev_b32_e32 v37, 1
	s_and_saveexec_b64 s[14:15], vcc
	s_cbranch_execz .LBB487_169
; %bb.166:
	s_movk_i32 s11, 0x7f
	v_and_b32_e32 v31, 0x7f, v30
	v_cmp_ne_u32_e32 vcc, s11, v31
	v_mov_b32_e32 v37, 0x7f800001
	s_and_saveexec_b64 s[24:25], vcc
	s_cbranch_execz .LBB487_168
; %bb.167:
	v_and_b32_e32 v34, 7, v30
	v_ffbh_u32_e32 v38, v34
	v_min_u32_e32 v40, 32, v38
	v_subrev_u32_e32 v38, 28, v40
	v_lshlrev_b64 v[38:39], v38, v[30:31]
	v_lshrrev_b32_e32 v37, 3, v31
	v_sub_u32_e32 v30, 29, v40
	v_and_b32_e32 v38, 7, v38
	v_cmp_gt_u32_e32 vcc, 8, v31
	v_cndmask_b32_e32 v30, v37, v30, vcc
	v_cndmask_b32_e32 v31, v34, v38, vcc
	v_lshlrev_b32_e32 v34, 16, v32
	v_bfrev_b32_e32 v37, 60
	v_lshlrev_b32_e32 v31, 20, v31
	v_and_b32_e32 v34, 0x80000000, v34
	v_lshl_add_u32 v30, v30, 23, v37
	v_or3_b32 v37, v34, v30, v31
.LBB487_168:
	s_or_b64 exec, exec, s[24:25]
.LBB487_169:
	s_or_b64 exec, exec, s[14:15]
.LBB487_170:
	s_or_b64 exec, exec, s[12:13]
	s_movk_i32 s11, 0xff
	v_and_b32_sdwa v31, v32, s11 dst_sel:DWORD dst_unused:UNUSED_PAD src0_sel:WORD_1 src1_sel:DWORD
	v_lshrrev_b32_e32 v30, 16, v32
	v_cmp_ne_u16_e32 vcc, 0, v31
	s_and_saveexec_b64 s[12:13], vcc
	s_cbranch_execz .LBB487_176
; %bb.171:
	s_movk_i32 s11, 0x80
	v_cmp_ne_u16_e32 vcc, s11, v31
	v_bfrev_b32_e32 v35, 1
	s_and_saveexec_b64 s[14:15], vcc
	s_cbranch_execz .LBB487_175
; %bb.172:
	v_bfe_u32 v31, v32, 16, 7
	s_movk_i32 s11, 0x7f
	v_cmp_ne_u32_e32 vcc, s11, v31
	v_mov_b32_e32 v35, 0x7f800001
	s_and_saveexec_b64 s[24:25], vcc
	s_cbranch_execz .LBB487_174
; %bb.173:
	v_and_b32_e32 v38, 7, v30
	v_ffbh_u32_e32 v34, v38
	v_min_u32_e32 v40, 32, v34
	v_subrev_u32_e32 v34, 28, v40
	v_lshlrev_b64 v[34:35], v34, v[30:31]
	v_and_b32_e32 v34, 7, v34
	v_cmp_gt_u32_e32 vcc, 8, v31
	v_lshrrev_b32_e32 v39, 3, v31
	v_sub_u32_e32 v30, 29, v40
	v_cndmask_b32_e32 v31, v38, v34, vcc
	v_mov_b32_e32 v34, 24
	v_cndmask_b32_e32 v30, v39, v30, vcc
	v_lshlrev_b32_sdwa v34, v34, v32 dst_sel:DWORD dst_unused:UNUSED_PAD src0_sel:DWORD src1_sel:WORD_1
	v_bfrev_b32_e32 v35, 60
	v_lshlrev_b32_e32 v31, 20, v31
	v_and_b32_e32 v34, 0x80000000, v34
	v_lshl_add_u32 v30, v30, 23, v35
	v_or3_b32 v35, v34, v30, v31
.LBB487_174:
	s_or_b64 exec, exec, s[24:25]
.LBB487_175:
	s_or_b64 exec, exec, s[14:15]
.LBB487_176:
	s_or_b64 exec, exec, s[12:13]
	s_mov_b32 s11, 0xffffff
	v_cmp_lt_u32_e32 vcc, s11, v32
	v_mov_b32_e32 v31, 0
	v_mov_b32_e32 v38, 0
	s_and_saveexec_b64 s[12:13], vcc
	s_cbranch_execz .LBB487_182
; %bb.177:
	v_lshrrev_b32_e32 v30, 24, v32
	s_movk_i32 s11, 0x80
	v_cmp_ne_u32_e32 vcc, s11, v30
	v_bfrev_b32_e32 v38, 1
	s_and_saveexec_b64 s[14:15], vcc
	s_cbranch_execz .LBB487_181
; %bb.178:
	v_bfe_u32 v34, v32, 24, 7
	s_movk_i32 s11, 0x7f
	v_cmp_ne_u32_e32 vcc, s11, v34
	v_mov_b32_e32 v38, 0x7f800001
	s_and_saveexec_b64 s[24:25], vcc
	s_cbranch_execz .LBB487_180
; %bb.179:
	v_and_b32_e32 v40, 7, v30
	v_ffbh_u32_e32 v38, v40
	v_min_u32_e32 v45, 32, v38
	v_subrev_u32_e32 v38, 28, v45
	v_lshlrev_b64 v[38:39], v38, v[30:31]
	v_lshrrev_b32_e32 v41, 3, v34
	v_sub_u32_e32 v39, 29, v45
	v_and_b32_e32 v38, 7, v38
	v_cmp_gt_u32_e32 vcc, 8, v34
	v_cndmask_b32_e32 v34, v41, v39, vcc
	v_cndmask_b32_e32 v38, v40, v38, vcc
	v_lshlrev_b32_e32 v30, 24, v30
	v_bfrev_b32_e32 v39, 60
	v_lshlrev_b32_e32 v38, 20, v38
	v_and_b32_e32 v30, 0x80000000, v30
	v_lshl_add_u32 v34, v34, 23, v39
	v_or3_b32 v38, v30, v34, v38
.LBB487_180:
	s_or_b64 exec, exec, s[24:25]
.LBB487_181:
	s_or_b64 exec, exec, s[14:15]
.LBB487_182:
	s_or_b64 exec, exec, s[12:13]
	v_mov_b32_e32 v30, v33
	v_cmp_ne_u16_sdwa s[14:15], v33, v31 src0_sel:BYTE_0 src1_sel:DWORD
	s_and_saveexec_b64 s[12:13], s[14:15]
	s_cbranch_execz .LBB487_188
; %bb.183:
	s_movk_i32 s11, 0x80
	v_cmp_ne_u16_sdwa s[24:25], v33, s11 src0_sel:BYTE_0 src1_sel:DWORD
	v_bfrev_b32_e32 v34, 1
	s_and_saveexec_b64 s[14:15], s[24:25]
	s_cbranch_execz .LBB487_187
; %bb.184:
	s_movk_i32 s11, 0x7f
	v_and_b32_e32 v39, 0x7f, v33
	v_cmp_ne_u32_e32 vcc, s11, v39
	v_mov_b32_e32 v34, 0x7f800001
	s_and_saveexec_b64 s[24:25], vcc
	s_cbranch_execz .LBB487_186
; %bb.185:
	v_and_b32_e32 v34, 7, v33
	v_ffbh_u32_e32 v34, v34
	v_min_u32_e32 v34, 32, v34
	v_subrev_u32_e32 v41, 28, v34
	v_cmp_gt_u32_e32 vcc, 8, v39
	v_lshrrev_b32_e32 v40, 3, v39
	v_sub_u32_e32 v34, 29, v34
	v_cndmask_b32_e32 v39, 0, v41, vcc
	v_cndmask_b32_e32 v34, v40, v34, vcc
	v_lshlrev_b64 v[40:41], v39, v[30:31]
	v_lshlrev_b32_e32 v31, 20, v40
	v_lshlrev_b32_e32 v39, 24, v30
	v_bfrev_b32_e32 v40, 60
	v_and_b32_e32 v31, 0x700000, v31
	v_and_b32_e32 v39, 0x80000000, v39
	v_lshl_add_u32 v34, v34, 23, v40
	v_or3_b32 v34, v39, v34, v31
.LBB487_186:
	s_or_b64 exec, exec, s[24:25]
.LBB487_187:
	s_or_b64 exec, exec, s[14:15]
	v_mov_b32_e32 v31, v34
.LBB487_188:
	s_or_b64 exec, exec, s[12:13]
	v_lshrrev_b16_e32 v34, 8, v30
	v_cmp_ne_u16_e32 vcc, 0, v34
	v_mov_b32_e32 v39, 0
	v_mov_b32_e32 v40, 0
	s_and_saveexec_b64 s[12:13], vcc
	s_cbranch_execz .LBB487_194
; %bb.189:
	s_movk_i32 s11, 0x80
	v_cmp_ne_u16_e32 vcc, s11, v34
	v_bfrev_b32_e32 v40, 1
	s_and_saveexec_b64 s[14:15], vcc
	s_cbranch_execz .LBB487_193
; %bb.190:
	s_movk_i32 s11, 0x7f
	v_and_b32_e32 v41, 0x7f, v34
	v_cmp_ne_u32_e32 vcc, s11, v41
	v_mov_b32_e32 v40, 0x7f800001
	s_and_saveexec_b64 s[24:25], vcc
	s_cbranch_execz .LBB487_192
; %bb.191:
	v_and_b32_e32 v40, 7, v34
	v_ffbh_u32_e32 v46, v40
	v_min_u32_e32 v48, 32, v46
	v_subrev_u32_e32 v46, 28, v48
	v_lshlrev_b64 v[46:47], v46, v[34:35]
	v_lshrrev_b32_e32 v45, 3, v41
	v_sub_u32_e32 v34, 29, v48
	v_and_b32_e32 v46, 7, v46
	v_cmp_gt_u32_e32 vcc, 8, v41
	v_cndmask_b32_e32 v34, v45, v34, vcc
	v_cndmask_b32_e32 v40, v40, v46, vcc
	v_lshlrev_b32_e32 v30, 16, v30
	v_bfrev_b32_e32 v41, 60
	v_lshlrev_b32_e32 v40, 20, v40
	v_and_b32_e32 v30, 0x80000000, v30
	v_lshl_add_u32 v34, v34, 23, v41
	v_or3_b32 v40, v30, v34, v40
.LBB487_192:
	s_or_b64 exec, exec, s[24:25]
.LBB487_193:
	s_or_b64 exec, exec, s[14:15]
.LBB487_194:
	s_or_b64 exec, exec, s[12:13]
	s_movk_i32 s11, 0xff
	v_and_b32_sdwa v34, v33, s11 dst_sel:DWORD dst_unused:UNUSED_PAD src0_sel:WORD_1 src1_sel:DWORD
	v_lshrrev_b32_e32 v30, 16, v33
	v_cmp_ne_u16_e32 vcc, 0, v34
	s_and_saveexec_b64 s[12:13], vcc
	s_cbranch_execz .LBB487_200
; %bb.195:
	s_movk_i32 s11, 0x80
	v_cmp_ne_u16_e32 vcc, s11, v34
	v_bfrev_b32_e32 v39, 1
	s_and_saveexec_b64 s[14:15], vcc
	s_cbranch_execz .LBB487_199
; %bb.196:
	v_bfe_u32 v34, v33, 16, 7
	s_movk_i32 s11, 0x7f
	v_cmp_ne_u32_e32 vcc, s11, v34
	v_mov_b32_e32 v39, 0x7f800001
	s_and_saveexec_b64 s[24:25], vcc
	s_cbranch_execz .LBB487_198
; %bb.197:
	v_and_b32_e32 v39, 7, v30
	v_ffbh_u32_e32 v45, v39
	v_min_u32_e32 v45, 32, v45
	v_subrev_u32_e32 v46, 28, v45
	v_lshlrev_b64 v[46:47], v46, v[30:31]
	v_sub_u32_e32 v30, 29, v45
	v_and_b32_e32 v45, 7, v46
	v_cmp_gt_u32_e32 vcc, 8, v34
	v_lshrrev_b32_e32 v41, 3, v34
	v_cndmask_b32_e32 v34, v39, v45, vcc
	v_mov_b32_e32 v39, 24
	v_cndmask_b32_e32 v30, v41, v30, vcc
	v_lshlrev_b32_sdwa v39, v39, v33 dst_sel:DWORD dst_unused:UNUSED_PAD src0_sel:DWORD src1_sel:WORD_1
	v_bfrev_b32_e32 v41, 60
	v_lshlrev_b32_e32 v34, 20, v34
	v_and_b32_e32 v39, 0x80000000, v39
	v_lshl_add_u32 v30, v30, 23, v41
	v_or3_b32 v39, v39, v30, v34
.LBB487_198:
	s_or_b64 exec, exec, s[24:25]
.LBB487_199:
	s_or_b64 exec, exec, s[14:15]
.LBB487_200:
	s_or_b64 exec, exec, s[12:13]
	s_mov_b32 s12, -1
	s_mov_b32 s13, 0xffffff
	v_cmp_lt_u64_e32 vcc, s[12:13], v[32:33]
	v_mov_b32_e32 v34, 0
	v_mov_b32_e32 v32, 0
	s_and_saveexec_b64 s[12:13], vcc
	s_cbranch_execz .LBB487_206
; %bb.201:
	v_lshrrev_b32_e32 v30, 24, v33
	s_movk_i32 s11, 0x80
	v_cmp_ne_u32_e32 vcc, s11, v30
	v_bfrev_b32_e32 v32, 1
	s_and_saveexec_b64 s[14:15], vcc
	s_cbranch_execz .LBB487_205
; %bb.202:
	v_bfe_u32 v33, v33, 24, 7
	s_movk_i32 s11, 0x7f
	v_cmp_ne_u32_e32 vcc, s11, v33
	v_mov_b32_e32 v32, 0x7f800001
	s_and_saveexec_b64 s[24:25], vcc
	s_cbranch_execz .LBB487_204
; %bb.203:
	v_and_b32_e32 v32, 7, v30
	v_ffbh_u32_e32 v45, v32
	v_min_u32_e32 v45, 32, v45
	v_subrev_u32_e32 v46, 28, v45
	v_lshlrev_b64 v[46:47], v46, v[30:31]
	v_lshrrev_b32_e32 v41, 3, v33
	v_sub_u32_e32 v45, 29, v45
	v_and_b32_e32 v46, 7, v46
	v_cmp_gt_u32_e32 vcc, 8, v33
	v_cndmask_b32_e32 v33, v41, v45, vcc
	v_cndmask_b32_e32 v32, v32, v46, vcc
	v_lshlrev_b32_e32 v30, 24, v30
	v_bfrev_b32_e32 v41, 60
	v_lshlrev_b32_e32 v32, 20, v32
	v_and_b32_e32 v30, 0x80000000, v30
	v_lshl_add_u32 v33, v33, 23, v41
	v_or3_b32 v32, v30, v33, v32
.LBB487_204:
	s_or_b64 exec, exec, s[24:25]
.LBB487_205:
	s_or_b64 exec, exec, s[14:15]
.LBB487_206:
	s_or_b64 exec, exec, s[12:13]
	v_cvt_pkrtz_f16_f32 v36, v36, v37
	v_cvt_pkrtz_f16_f32 v37, v35, v38
	;; [unrolled: 1-line block ×4, first 2 shown]
	v_mfma_f32_4x4x4f16 a[0:3], v[2:3], v[36:37], a[0:3] cbsz:4 abid:3
	v_cmp_ne_u16_sdwa s[14:15], v26, v34 src0_sel:BYTE_0 src1_sel:DWORD
	v_mfma_f32_4x4x4f16 a[0:3], v[4:5], v[30:31], a[0:3] cbsz:4 abid:3
	s_and_saveexec_b64 s[12:13], s[14:15]
	s_cbranch_execz .LBB487_212
; %bb.207:
	s_movk_i32 s11, 0x80
	v_cmp_ne_u16_sdwa s[24:25], v26, s11 src0_sel:BYTE_0 src1_sel:DWORD
	v_bfrev_b32_e32 v34, 1
	s_and_saveexec_b64 s[14:15], s[24:25]
	s_cbranch_execz .LBB487_211
; %bb.208:
	s_movk_i32 s11, 0x7f
	v_and_b32_e32 v30, 0x7f, v26
	v_cmp_ne_u32_e32 vcc, s11, v30
	v_mov_b32_e32 v34, 0x7f800001
	s_and_saveexec_b64 s[24:25], vcc
	s_cbranch_execz .LBB487_210
; %bb.209:
	v_and_b32_e32 v31, 7, v26
	v_ffbh_u32_e32 v31, v31
	v_min_u32_e32 v31, 32, v31
	v_subrev_u32_e32 v33, 28, v31
	v_cmp_gt_u32_e32 vcc, 8, v30
	v_lshrrev_b32_e32 v32, 3, v30
	v_sub_u32_e32 v31, 29, v31
	v_cndmask_b32_e32 v30, 0, v33, vcc
	v_cndmask_b32_e32 v32, v32, v31, vcc
	v_lshlrev_b64 v[30:31], v30, v[26:27]
	v_lshlrev_b32_e32 v30, 20, v30
	v_lshlrev_b32_e32 v31, 24, v26
	v_bfrev_b32_e32 v33, 60
	v_and_b32_e32 v30, 0x700000, v30
	v_and_b32_e32 v31, 0x80000000, v31
	v_lshl_add_u32 v32, v32, 23, v33
	v_or3_b32 v34, v31, v32, v30
.LBB487_210:
	s_or_b64 exec, exec, s[24:25]
.LBB487_211:
	s_or_b64 exec, exec, s[14:15]
.LBB487_212:
	s_or_b64 exec, exec, s[12:13]
	v_lshrrev_b16_e32 v30, 8, v26
	v_cmp_ne_u16_e32 vcc, 0, v30
	v_mov_b32_e32 v33, 0
	v_mov_b32_e32 v35, 0
	s_and_saveexec_b64 s[12:13], vcc
	s_cbranch_execz .LBB487_218
; %bb.213:
	s_movk_i32 s11, 0x80
	v_cmp_ne_u16_e32 vcc, s11, v30
	v_bfrev_b32_e32 v35, 1
	s_and_saveexec_b64 s[14:15], vcc
	s_cbranch_execz .LBB487_217
; %bb.214:
	s_movk_i32 s11, 0x7f
	v_and_b32_e32 v31, 0x7f, v30
	v_cmp_ne_u32_e32 vcc, s11, v31
	v_mov_b32_e32 v35, 0x7f800001
	s_and_saveexec_b64 s[24:25], vcc
	s_cbranch_execz .LBB487_216
; %bb.215:
	v_and_b32_e32 v32, 7, v30
	v_ffbh_u32_e32 v36, v32
	v_min_u32_e32 v38, 32, v36
	v_subrev_u32_e32 v36, 28, v38
	v_lshlrev_b64 v[36:37], v36, v[30:31]
	v_lshrrev_b32_e32 v35, 3, v31
	v_sub_u32_e32 v30, 29, v38
	v_and_b32_e32 v36, 7, v36
	v_cmp_gt_u32_e32 vcc, 8, v31
	v_cndmask_b32_e32 v30, v35, v30, vcc
	v_cndmask_b32_e32 v31, v32, v36, vcc
	v_lshlrev_b32_e32 v32, 16, v26
	v_bfrev_b32_e32 v35, 60
	v_lshlrev_b32_e32 v31, 20, v31
	v_and_b32_e32 v32, 0x80000000, v32
	v_lshl_add_u32 v30, v30, 23, v35
	v_or3_b32 v35, v32, v30, v31
.LBB487_216:
	s_or_b64 exec, exec, s[24:25]
.LBB487_217:
	s_or_b64 exec, exec, s[14:15]
.LBB487_218:
	s_or_b64 exec, exec, s[12:13]
	s_movk_i32 s11, 0xff
	v_and_b32_sdwa v31, v26, s11 dst_sel:DWORD dst_unused:UNUSED_PAD src0_sel:WORD_1 src1_sel:DWORD
	v_lshrrev_b32_e32 v30, 16, v26
	v_cmp_ne_u16_e32 vcc, 0, v31
	s_and_saveexec_b64 s[12:13], vcc
	s_cbranch_execz .LBB487_224
; %bb.219:
	s_movk_i32 s11, 0x80
	v_cmp_ne_u16_e32 vcc, s11, v31
	v_bfrev_b32_e32 v33, 1
	s_and_saveexec_b64 s[14:15], vcc
	s_cbranch_execz .LBB487_223
; %bb.220:
	v_bfe_u32 v31, v26, 16, 7
	s_movk_i32 s11, 0x7f
	v_cmp_ne_u32_e32 vcc, s11, v31
	v_mov_b32_e32 v33, 0x7f800001
	s_and_saveexec_b64 s[24:25], vcc
	s_cbranch_execz .LBB487_222
; %bb.221:
	v_and_b32_e32 v36, 7, v30
	v_ffbh_u32_e32 v32, v36
	v_min_u32_e32 v38, 32, v32
	v_subrev_u32_e32 v32, 28, v38
	v_lshlrev_b64 v[32:33], v32, v[30:31]
	v_and_b32_e32 v32, 7, v32
	v_cmp_gt_u32_e32 vcc, 8, v31
	v_lshrrev_b32_e32 v37, 3, v31
	v_sub_u32_e32 v30, 29, v38
	v_cndmask_b32_e32 v31, v36, v32, vcc
	v_mov_b32_e32 v32, 24
	v_cndmask_b32_e32 v30, v37, v30, vcc
	v_lshlrev_b32_sdwa v32, v32, v26 dst_sel:DWORD dst_unused:UNUSED_PAD src0_sel:DWORD src1_sel:WORD_1
	v_bfrev_b32_e32 v33, 60
	v_lshlrev_b32_e32 v31, 20, v31
	v_and_b32_e32 v32, 0x80000000, v32
	v_lshl_add_u32 v30, v30, 23, v33
	v_or3_b32 v33, v32, v30, v31
.LBB487_222:
	s_or_b64 exec, exec, s[24:25]
.LBB487_223:
	s_or_b64 exec, exec, s[14:15]
.LBB487_224:
	s_or_b64 exec, exec, s[12:13]
	s_mov_b32 s11, 0xffffff
	v_cmp_lt_u32_e32 vcc, s11, v26
	v_mov_b32_e32 v31, 0
	v_mov_b32_e32 v36, 0
	s_and_saveexec_b64 s[12:13], vcc
	s_cbranch_execz .LBB487_230
; %bb.225:
	v_lshrrev_b32_e32 v30, 24, v26
	s_movk_i32 s11, 0x80
	v_cmp_ne_u32_e32 vcc, s11, v30
	v_bfrev_b32_e32 v36, 1
	s_and_saveexec_b64 s[14:15], vcc
	s_cbranch_execz .LBB487_229
; %bb.226:
	v_bfe_u32 v32, v26, 24, 7
	s_movk_i32 s11, 0x7f
	v_cmp_ne_u32_e32 vcc, s11, v32
	v_mov_b32_e32 v36, 0x7f800001
	s_and_saveexec_b64 s[24:25], vcc
	s_cbranch_execz .LBB487_228
; %bb.227:
	v_and_b32_e32 v38, 7, v30
	v_ffbh_u32_e32 v36, v38
	v_min_u32_e32 v40, 32, v36
	v_subrev_u32_e32 v36, 28, v40
	v_lshlrev_b64 v[36:37], v36, v[30:31]
	v_lshrrev_b32_e32 v39, 3, v32
	v_sub_u32_e32 v37, 29, v40
	v_and_b32_e32 v36, 7, v36
	v_cmp_gt_u32_e32 vcc, 8, v32
	v_cndmask_b32_e32 v32, v39, v37, vcc
	v_cndmask_b32_e32 v36, v38, v36, vcc
	v_lshlrev_b32_e32 v30, 24, v30
	v_bfrev_b32_e32 v37, 60
	v_lshlrev_b32_e32 v36, 20, v36
	v_and_b32_e32 v30, 0x80000000, v30
	v_lshl_add_u32 v32, v32, 23, v37
	v_or3_b32 v36, v30, v32, v36
.LBB487_228:
	s_or_b64 exec, exec, s[24:25]
.LBB487_229:
	s_or_b64 exec, exec, s[14:15]
.LBB487_230:
	s_or_b64 exec, exec, s[12:13]
	v_mov_b32_e32 v30, v27
	v_cmp_ne_u16_sdwa s[14:15], v27, v31 src0_sel:BYTE_0 src1_sel:DWORD
	s_and_saveexec_b64 s[12:13], s[14:15]
	s_cbranch_execz .LBB487_236
; %bb.231:
	s_movk_i32 s11, 0x80
	v_cmp_ne_u16_sdwa s[24:25], v27, s11 src0_sel:BYTE_0 src1_sel:DWORD
	v_bfrev_b32_e32 v32, 1
	s_and_saveexec_b64 s[14:15], s[24:25]
	s_cbranch_execz .LBB487_235
; %bb.232:
	s_movk_i32 s11, 0x7f
	v_and_b32_e32 v37, 0x7f, v27
	v_cmp_ne_u32_e32 vcc, s11, v37
	v_mov_b32_e32 v32, 0x7f800001
	s_and_saveexec_b64 s[24:25], vcc
	s_cbranch_execz .LBB487_234
; %bb.233:
	v_and_b32_e32 v32, 7, v27
	v_ffbh_u32_e32 v32, v32
	v_min_u32_e32 v32, 32, v32
	v_subrev_u32_e32 v39, 28, v32
	v_cmp_gt_u32_e32 vcc, 8, v37
	v_lshrrev_b32_e32 v38, 3, v37
	v_sub_u32_e32 v32, 29, v32
	v_cndmask_b32_e32 v37, 0, v39, vcc
	v_cndmask_b32_e32 v32, v38, v32, vcc
	v_lshlrev_b64 v[38:39], v37, v[30:31]
	v_lshlrev_b32_e32 v31, 20, v38
	v_lshlrev_b32_e32 v37, 24, v30
	v_bfrev_b32_e32 v38, 60
	v_and_b32_e32 v31, 0x700000, v31
	v_and_b32_e32 v37, 0x80000000, v37
	v_lshl_add_u32 v32, v32, 23, v38
	v_or3_b32 v32, v37, v32, v31
.LBB487_234:
	s_or_b64 exec, exec, s[24:25]
.LBB487_235:
	s_or_b64 exec, exec, s[14:15]
	v_mov_b32_e32 v31, v32
.LBB487_236:
	s_or_b64 exec, exec, s[12:13]
	v_lshrrev_b16_e32 v32, 8, v30
	v_cmp_ne_u16_e32 vcc, 0, v32
	v_mov_b32_e32 v37, 0
	v_mov_b32_e32 v38, 0
	s_and_saveexec_b64 s[12:13], vcc
	s_cbranch_execz .LBB487_242
; %bb.237:
	s_movk_i32 s11, 0x80
	v_cmp_ne_u16_e32 vcc, s11, v32
	v_bfrev_b32_e32 v38, 1
	s_and_saveexec_b64 s[14:15], vcc
	s_cbranch_execz .LBB487_241
; %bb.238:
	s_movk_i32 s11, 0x7f
	v_and_b32_e32 v39, 0x7f, v32
	v_cmp_ne_u32_e32 vcc, s11, v39
	v_mov_b32_e32 v38, 0x7f800001
	s_and_saveexec_b64 s[24:25], vcc
	s_cbranch_execz .LBB487_240
; %bb.239:
	v_and_b32_e32 v38, 7, v32
	v_ffbh_u32_e32 v40, v38
	v_min_u32_e32 v46, 32, v40
	v_subrev_u32_e32 v40, 28, v46
	v_lshlrev_b64 v[40:41], v40, v[32:33]
	v_lshrrev_b32_e32 v45, 3, v39
	v_sub_u32_e32 v32, 29, v46
	v_and_b32_e32 v40, 7, v40
	v_cmp_gt_u32_e32 vcc, 8, v39
	v_cndmask_b32_e32 v32, v45, v32, vcc
	v_cndmask_b32_e32 v38, v38, v40, vcc
	v_lshlrev_b32_e32 v30, 16, v30
	v_bfrev_b32_e32 v39, 60
	v_lshlrev_b32_e32 v38, 20, v38
	v_and_b32_e32 v30, 0x80000000, v30
	v_lshl_add_u32 v32, v32, 23, v39
	v_or3_b32 v38, v30, v32, v38
.LBB487_240:
	s_or_b64 exec, exec, s[24:25]
.LBB487_241:
	s_or_b64 exec, exec, s[14:15]
.LBB487_242:
	s_or_b64 exec, exec, s[12:13]
	s_movk_i32 s11, 0xff
	v_and_b32_sdwa v32, v27, s11 dst_sel:DWORD dst_unused:UNUSED_PAD src0_sel:WORD_1 src1_sel:DWORD
	v_lshrrev_b32_e32 v30, 16, v27
	v_cmp_ne_u16_e32 vcc, 0, v32
	s_and_saveexec_b64 s[12:13], vcc
	s_cbranch_execz .LBB487_248
; %bb.243:
	s_movk_i32 s11, 0x80
	v_cmp_ne_u16_e32 vcc, s11, v32
	v_bfrev_b32_e32 v37, 1
	s_and_saveexec_b64 s[14:15], vcc
	s_cbranch_execz .LBB487_247
; %bb.244:
	v_bfe_u32 v32, v27, 16, 7
	s_movk_i32 s11, 0x7f
	v_cmp_ne_u32_e32 vcc, s11, v32
	v_mov_b32_e32 v37, 0x7f800001
	s_and_saveexec_b64 s[24:25], vcc
	s_cbranch_execz .LBB487_246
; %bb.245:
	v_and_b32_e32 v37, 7, v30
	v_ffbh_u32_e32 v40, v37
	v_min_u32_e32 v45, 32, v40
	v_subrev_u32_e32 v40, 28, v45
	v_lshlrev_b64 v[40:41], v40, v[30:31]
	v_and_b32_e32 v40, 7, v40
	v_cmp_gt_u32_e32 vcc, 8, v32
	v_lshrrev_b32_e32 v39, 3, v32
	v_sub_u32_e32 v30, 29, v45
	v_cndmask_b32_e32 v32, v37, v40, vcc
	v_mov_b32_e32 v37, 24
	v_cndmask_b32_e32 v30, v39, v30, vcc
	v_lshlrev_b32_sdwa v37, v37, v27 dst_sel:DWORD dst_unused:UNUSED_PAD src0_sel:DWORD src1_sel:WORD_1
	v_bfrev_b32_e32 v39, 60
	v_lshlrev_b32_e32 v32, 20, v32
	v_and_b32_e32 v37, 0x80000000, v37
	v_lshl_add_u32 v30, v30, 23, v39
	v_or3_b32 v37, v37, v30, v32
.LBB487_246:
	s_or_b64 exec, exec, s[24:25]
.LBB487_247:
	s_or_b64 exec, exec, s[14:15]
.LBB487_248:
	s_or_b64 exec, exec, s[12:13]
	s_mov_b32 s12, -1
	s_mov_b32 s13, 0xffffff
	v_cmp_lt_u64_e32 vcc, s[12:13], v[26:27]
	v_mov_b32_e32 v32, 0
	v_mov_b32_e32 v30, 0
	s_and_saveexec_b64 s[12:13], vcc
	s_cbranch_execz .LBB487_254
; %bb.249:
	v_lshrrev_b32_e32 v26, 24, v27
	s_movk_i32 s11, 0x80
	v_cmp_ne_u32_e32 vcc, s11, v26
	v_bfrev_b32_e32 v30, 1
	s_and_saveexec_b64 s[14:15], vcc
	s_cbranch_execz .LBB487_253
; %bb.250:
	v_bfe_u32 v27, v27, 24, 7
	s_movk_i32 s11, 0x7f
	v_cmp_ne_u32_e32 vcc, s11, v27
	v_mov_b32_e32 v30, 0x7f800001
	s_and_saveexec_b64 s[24:25], vcc
	s_cbranch_execz .LBB487_252
; %bb.251:
	v_and_b32_e32 v30, 7, v26
	v_ffbh_u32_e32 v40, v30
	v_min_u32_e32 v45, 32, v40
	v_subrev_u32_e32 v40, 28, v45
	v_lshlrev_b64 v[40:41], v40, v[26:27]
	v_lshrrev_b32_e32 v39, 3, v27
	v_sub_u32_e32 v41, 29, v45
	v_and_b32_e32 v40, 7, v40
	v_cmp_gt_u32_e32 vcc, 8, v27
	v_cndmask_b32_e32 v27, v39, v41, vcc
	v_cndmask_b32_e32 v30, v30, v40, vcc
	v_lshlrev_b32_e32 v26, 24, v26
	v_bfrev_b32_e32 v39, 60
	v_lshlrev_b32_e32 v30, 20, v30
	v_and_b32_e32 v26, 0x80000000, v26
	v_lshl_add_u32 v27, v27, 23, v39
	v_or3_b32 v30, v26, v27, v30
.LBB487_252:
	s_or_b64 exec, exec, s[24:25]
.LBB487_253:
	s_or_b64 exec, exec, s[14:15]
.LBB487_254:
	s_or_b64 exec, exec, s[12:13]
	v_cvt_pkrtz_f16_f32 v26, v34, v35
	v_cvt_pkrtz_f16_f32 v27, v33, v36
	;; [unrolled: 1-line block ×4, first 2 shown]
	v_mfma_f32_4x4x4f16 a[0:3], v[2:3], v[26:27], a[0:3] cbsz:4 abid:4
	v_cmp_ne_u16_sdwa s[14:15], v28, v32 src0_sel:BYTE_0 src1_sel:DWORD
	v_mfma_f32_4x4x4f16 a[0:3], v[4:5], v[34:35], a[0:3] cbsz:4 abid:4
	s_and_saveexec_b64 s[12:13], s[14:15]
	s_cbranch_execz .LBB487_260
; %bb.255:
	s_movk_i32 s11, 0x80
	v_cmp_ne_u16_sdwa s[24:25], v28, s11 src0_sel:BYTE_0 src1_sel:DWORD
	v_bfrev_b32_e32 v32, 1
	s_and_saveexec_b64 s[14:15], s[24:25]
	s_cbranch_execz .LBB487_259
; %bb.256:
	s_movk_i32 s11, 0x7f
	v_and_b32_e32 v26, 0x7f, v28
	v_cmp_ne_u32_e32 vcc, s11, v26
	v_mov_b32_e32 v32, 0x7f800001
	s_and_saveexec_b64 s[24:25], vcc
	s_cbranch_execz .LBB487_258
; %bb.257:
	v_and_b32_e32 v27, 7, v28
	v_ffbh_u32_e32 v27, v27
	v_min_u32_e32 v27, 32, v27
	v_subrev_u32_e32 v31, 28, v27
	v_cmp_gt_u32_e32 vcc, 8, v26
	v_lshrrev_b32_e32 v30, 3, v26
	v_sub_u32_e32 v27, 29, v27
	v_cndmask_b32_e32 v26, 0, v31, vcc
	v_cndmask_b32_e32 v30, v30, v27, vcc
	v_lshlrev_b64 v[26:27], v26, v[28:29]
	v_lshlrev_b32_e32 v26, 20, v26
	v_lshlrev_b32_e32 v27, 24, v28
	v_bfrev_b32_e32 v31, 60
	v_and_b32_e32 v26, 0x700000, v26
	v_and_b32_e32 v27, 0x80000000, v27
	v_lshl_add_u32 v30, v30, 23, v31
	v_or3_b32 v32, v27, v30, v26
.LBB487_258:
	s_or_b64 exec, exec, s[24:25]
.LBB487_259:
	s_or_b64 exec, exec, s[14:15]
.LBB487_260:
	s_or_b64 exec, exec, s[12:13]
	v_lshrrev_b16_e32 v26, 8, v28
	v_cmp_ne_u16_e32 vcc, 0, v26
	v_mov_b32_e32 v31, 0
	v_mov_b32_e32 v33, 0
	s_and_saveexec_b64 s[12:13], vcc
	s_cbranch_execz .LBB487_266
; %bb.261:
	s_movk_i32 s11, 0x80
	v_cmp_ne_u16_e32 vcc, s11, v26
	v_bfrev_b32_e32 v33, 1
	s_and_saveexec_b64 s[14:15], vcc
	s_cbranch_execz .LBB487_265
; %bb.262:
	s_movk_i32 s11, 0x7f
	v_and_b32_e32 v27, 0x7f, v26
	v_cmp_ne_u32_e32 vcc, s11, v27
	v_mov_b32_e32 v33, 0x7f800001
	s_and_saveexec_b64 s[24:25], vcc
	s_cbranch_execz .LBB487_264
; %bb.263:
	v_and_b32_e32 v30, 7, v26
	v_ffbh_u32_e32 v34, v30
	v_min_u32_e32 v36, 32, v34
	v_subrev_u32_e32 v34, 28, v36
	v_lshlrev_b64 v[34:35], v34, v[26:27]
	v_lshrrev_b32_e32 v33, 3, v27
	v_sub_u32_e32 v26, 29, v36
	v_and_b32_e32 v34, 7, v34
	v_cmp_gt_u32_e32 vcc, 8, v27
	v_cndmask_b32_e32 v26, v33, v26, vcc
	v_cndmask_b32_e32 v27, v30, v34, vcc
	v_lshlrev_b32_e32 v30, 16, v28
	v_bfrev_b32_e32 v33, 60
	v_lshlrev_b32_e32 v27, 20, v27
	v_and_b32_e32 v30, 0x80000000, v30
	v_lshl_add_u32 v26, v26, 23, v33
	v_or3_b32 v33, v30, v26, v27
.LBB487_264:
	s_or_b64 exec, exec, s[24:25]
.LBB487_265:
	s_or_b64 exec, exec, s[14:15]
.LBB487_266:
	s_or_b64 exec, exec, s[12:13]
	s_movk_i32 s11, 0xff
	v_and_b32_sdwa v27, v28, s11 dst_sel:DWORD dst_unused:UNUSED_PAD src0_sel:WORD_1 src1_sel:DWORD
	v_lshrrev_b32_e32 v26, 16, v28
	v_cmp_ne_u16_e32 vcc, 0, v27
	s_and_saveexec_b64 s[12:13], vcc
	s_cbranch_execz .LBB487_272
; %bb.267:
	s_movk_i32 s11, 0x80
	v_cmp_ne_u16_e32 vcc, s11, v27
	v_bfrev_b32_e32 v31, 1
	s_and_saveexec_b64 s[14:15], vcc
	s_cbranch_execz .LBB487_271
; %bb.268:
	v_bfe_u32 v27, v28, 16, 7
	s_movk_i32 s11, 0x7f
	v_cmp_ne_u32_e32 vcc, s11, v27
	v_mov_b32_e32 v31, 0x7f800001
	s_and_saveexec_b64 s[24:25], vcc
	s_cbranch_execz .LBB487_270
; %bb.269:
	v_and_b32_e32 v34, 7, v26
	v_ffbh_u32_e32 v30, v34
	v_min_u32_e32 v36, 32, v30
	v_subrev_u32_e32 v30, 28, v36
	v_lshlrev_b64 v[30:31], v30, v[26:27]
	v_and_b32_e32 v30, 7, v30
	v_cmp_gt_u32_e32 vcc, 8, v27
	v_lshrrev_b32_e32 v35, 3, v27
	v_sub_u32_e32 v26, 29, v36
	v_cndmask_b32_e32 v27, v34, v30, vcc
	v_mov_b32_e32 v30, 24
	v_cndmask_b32_e32 v26, v35, v26, vcc
	v_lshlrev_b32_sdwa v30, v30, v28 dst_sel:DWORD dst_unused:UNUSED_PAD src0_sel:DWORD src1_sel:WORD_1
	v_bfrev_b32_e32 v31, 60
	v_lshlrev_b32_e32 v27, 20, v27
	v_and_b32_e32 v30, 0x80000000, v30
	v_lshl_add_u32 v26, v26, 23, v31
	v_or3_b32 v31, v30, v26, v27
.LBB487_270:
	s_or_b64 exec, exec, s[24:25]
.LBB487_271:
	s_or_b64 exec, exec, s[14:15]
.LBB487_272:
	s_or_b64 exec, exec, s[12:13]
	s_mov_b32 s11, 0xffffff
	v_cmp_lt_u32_e32 vcc, s11, v28
	v_mov_b32_e32 v27, 0
	v_mov_b32_e32 v34, 0
	s_and_saveexec_b64 s[12:13], vcc
	s_cbranch_execz .LBB487_278
; %bb.273:
	v_lshrrev_b32_e32 v26, 24, v28
	s_movk_i32 s11, 0x80
	v_cmp_ne_u32_e32 vcc, s11, v26
	v_bfrev_b32_e32 v34, 1
	s_and_saveexec_b64 s[14:15], vcc
	s_cbranch_execz .LBB487_277
; %bb.274:
	v_bfe_u32 v30, v28, 24, 7
	s_movk_i32 s11, 0x7f
	v_cmp_ne_u32_e32 vcc, s11, v30
	v_mov_b32_e32 v34, 0x7f800001
	s_and_saveexec_b64 s[24:25], vcc
	s_cbranch_execz .LBB487_276
; %bb.275:
	v_and_b32_e32 v36, 7, v26
	v_ffbh_u32_e32 v34, v36
	v_min_u32_e32 v38, 32, v34
	v_subrev_u32_e32 v34, 28, v38
	v_lshlrev_b64 v[34:35], v34, v[26:27]
	v_lshrrev_b32_e32 v37, 3, v30
	v_sub_u32_e32 v35, 29, v38
	v_and_b32_e32 v34, 7, v34
	v_cmp_gt_u32_e32 vcc, 8, v30
	v_cndmask_b32_e32 v30, v37, v35, vcc
	v_cndmask_b32_e32 v34, v36, v34, vcc
	v_lshlrev_b32_e32 v26, 24, v26
	v_bfrev_b32_e32 v35, 60
	v_lshlrev_b32_e32 v34, 20, v34
	v_and_b32_e32 v26, 0x80000000, v26
	v_lshl_add_u32 v30, v30, 23, v35
	v_or3_b32 v34, v26, v30, v34
.LBB487_276:
	s_or_b64 exec, exec, s[24:25]
.LBB487_277:
	s_or_b64 exec, exec, s[14:15]
.LBB487_278:
	s_or_b64 exec, exec, s[12:13]
	v_mov_b32_e32 v26, v29
	v_cmp_ne_u16_sdwa s[14:15], v29, v27 src0_sel:BYTE_0 src1_sel:DWORD
	s_and_saveexec_b64 s[12:13], s[14:15]
	s_cbranch_execz .LBB487_284
; %bb.279:
	s_movk_i32 s11, 0x80
	v_cmp_ne_u16_sdwa s[24:25], v29, s11 src0_sel:BYTE_0 src1_sel:DWORD
	v_bfrev_b32_e32 v30, 1
	s_and_saveexec_b64 s[14:15], s[24:25]
	s_cbranch_execz .LBB487_283
; %bb.280:
	s_movk_i32 s11, 0x7f
	v_and_b32_e32 v35, 0x7f, v29
	v_cmp_ne_u32_e32 vcc, s11, v35
	v_mov_b32_e32 v30, 0x7f800001
	s_and_saveexec_b64 s[24:25], vcc
	s_cbranch_execz .LBB487_282
; %bb.281:
	v_and_b32_e32 v30, 7, v29
	v_ffbh_u32_e32 v30, v30
	v_min_u32_e32 v30, 32, v30
	v_subrev_u32_e32 v37, 28, v30
	v_cmp_gt_u32_e32 vcc, 8, v35
	v_lshrrev_b32_e32 v36, 3, v35
	v_sub_u32_e32 v30, 29, v30
	v_cndmask_b32_e32 v35, 0, v37, vcc
	v_cndmask_b32_e32 v30, v36, v30, vcc
	v_lshlrev_b64 v[36:37], v35, v[26:27]
	v_lshlrev_b32_e32 v27, 20, v36
	v_lshlrev_b32_e32 v35, 24, v26
	v_bfrev_b32_e32 v36, 60
	v_and_b32_e32 v27, 0x700000, v27
	v_and_b32_e32 v35, 0x80000000, v35
	v_lshl_add_u32 v30, v30, 23, v36
	v_or3_b32 v30, v35, v30, v27
.LBB487_282:
	s_or_b64 exec, exec, s[24:25]
.LBB487_283:
	s_or_b64 exec, exec, s[14:15]
	v_mov_b32_e32 v27, v30
.LBB487_284:
	s_or_b64 exec, exec, s[12:13]
	v_lshrrev_b16_e32 v30, 8, v26
	v_cmp_ne_u16_e32 vcc, 0, v30
	v_mov_b32_e32 v35, 0
	v_mov_b32_e32 v36, 0
	s_and_saveexec_b64 s[12:13], vcc
	s_cbranch_execz .LBB487_290
; %bb.285:
	s_movk_i32 s11, 0x80
	v_cmp_ne_u16_e32 vcc, s11, v30
	v_bfrev_b32_e32 v36, 1
	s_and_saveexec_b64 s[14:15], vcc
	s_cbranch_execz .LBB487_289
; %bb.286:
	s_movk_i32 s11, 0x7f
	v_and_b32_e32 v37, 0x7f, v30
	v_cmp_ne_u32_e32 vcc, s11, v37
	v_mov_b32_e32 v36, 0x7f800001
	s_and_saveexec_b64 s[24:25], vcc
	s_cbranch_execz .LBB487_288
; %bb.287:
	v_and_b32_e32 v36, 7, v30
	v_ffbh_u32_e32 v38, v36
	v_min_u32_e32 v41, 32, v38
	v_subrev_u32_e32 v38, 28, v41
	v_lshlrev_b64 v[38:39], v38, v[30:31]
	v_lshrrev_b32_e32 v40, 3, v37
	v_sub_u32_e32 v30, 29, v41
	v_and_b32_e32 v38, 7, v38
	v_cmp_gt_u32_e32 vcc, 8, v37
	v_cndmask_b32_e32 v30, v40, v30, vcc
	v_cndmask_b32_e32 v36, v36, v38, vcc
	v_lshlrev_b32_e32 v26, 16, v26
	v_bfrev_b32_e32 v37, 60
	v_lshlrev_b32_e32 v36, 20, v36
	v_and_b32_e32 v26, 0x80000000, v26
	v_lshl_add_u32 v30, v30, 23, v37
	v_or3_b32 v36, v26, v30, v36
.LBB487_288:
	s_or_b64 exec, exec, s[24:25]
.LBB487_289:
	s_or_b64 exec, exec, s[14:15]
.LBB487_290:
	s_or_b64 exec, exec, s[12:13]
	s_movk_i32 s11, 0xff
	v_and_b32_sdwa v30, v29, s11 dst_sel:DWORD dst_unused:UNUSED_PAD src0_sel:WORD_1 src1_sel:DWORD
	v_lshrrev_b32_e32 v26, 16, v29
	v_cmp_ne_u16_e32 vcc, 0, v30
	s_and_saveexec_b64 s[12:13], vcc
	s_cbranch_execz .LBB487_296
; %bb.291:
	s_movk_i32 s11, 0x80
	v_cmp_ne_u16_e32 vcc, s11, v30
	v_bfrev_b32_e32 v35, 1
	s_and_saveexec_b64 s[14:15], vcc
	s_cbranch_execz .LBB487_295
; %bb.292:
	v_bfe_u32 v30, v29, 16, 7
	s_movk_i32 s11, 0x7f
	v_cmp_ne_u32_e32 vcc, s11, v30
	v_mov_b32_e32 v35, 0x7f800001
	s_and_saveexec_b64 s[24:25], vcc
	s_cbranch_execz .LBB487_294
; %bb.293:
	v_and_b32_e32 v35, 7, v26
	v_ffbh_u32_e32 v38, v35
	v_min_u32_e32 v40, 32, v38
	v_subrev_u32_e32 v38, 28, v40
	v_lshlrev_b64 v[38:39], v38, v[26:27]
	v_and_b32_e32 v38, 7, v38
	v_cmp_gt_u32_e32 vcc, 8, v30
	v_lshrrev_b32_e32 v37, 3, v30
	v_sub_u32_e32 v26, 29, v40
	v_cndmask_b32_e32 v30, v35, v38, vcc
	v_mov_b32_e32 v35, 24
	v_cndmask_b32_e32 v26, v37, v26, vcc
	v_lshlrev_b32_sdwa v35, v35, v29 dst_sel:DWORD dst_unused:UNUSED_PAD src0_sel:DWORD src1_sel:WORD_1
	v_bfrev_b32_e32 v37, 60
	v_lshlrev_b32_e32 v30, 20, v30
	v_and_b32_e32 v35, 0x80000000, v35
	v_lshl_add_u32 v26, v26, 23, v37
	v_or3_b32 v35, v35, v26, v30
.LBB487_294:
	s_or_b64 exec, exec, s[24:25]
.LBB487_295:
	s_or_b64 exec, exec, s[14:15]
.LBB487_296:
	s_or_b64 exec, exec, s[12:13]
	s_mov_b32 s12, -1
	s_mov_b32 s13, 0xffffff
	v_cmp_lt_u64_e32 vcc, s[12:13], v[28:29]
	v_mov_b32_e32 v30, 0
	v_mov_b32_e32 v28, 0
	s_and_saveexec_b64 s[12:13], vcc
	s_cbranch_execz .LBB487_302
; %bb.297:
	v_lshrrev_b32_e32 v26, 24, v29
	s_movk_i32 s11, 0x80
	v_cmp_ne_u32_e32 vcc, s11, v26
	v_bfrev_b32_e32 v28, 1
	s_and_saveexec_b64 s[14:15], vcc
	s_cbranch_execz .LBB487_301
; %bb.298:
	v_bfe_u32 v29, v29, 24, 7
	s_movk_i32 s11, 0x7f
	v_cmp_ne_u32_e32 vcc, s11, v29
	v_mov_b32_e32 v28, 0x7f800001
	s_and_saveexec_b64 s[24:25], vcc
	s_cbranch_execz .LBB487_300
; %bb.299:
	v_and_b32_e32 v28, 7, v26
	v_ffbh_u32_e32 v38, v28
	v_min_u32_e32 v40, 32, v38
	v_subrev_u32_e32 v38, 28, v40
	v_lshlrev_b64 v[38:39], v38, v[26:27]
	v_lshrrev_b32_e32 v37, 3, v29
	v_sub_u32_e32 v39, 29, v40
	v_and_b32_e32 v38, 7, v38
	v_cmp_gt_u32_e32 vcc, 8, v29
	v_cndmask_b32_e32 v29, v37, v39, vcc
	v_cndmask_b32_e32 v28, v28, v38, vcc
	v_lshlrev_b32_e32 v26, 24, v26
	v_bfrev_b32_e32 v37, 60
	v_lshlrev_b32_e32 v28, 20, v28
	v_and_b32_e32 v26, 0x80000000, v26
	v_lshl_add_u32 v29, v29, 23, v37
	v_or3_b32 v28, v26, v29, v28
.LBB487_300:
	s_or_b64 exec, exec, s[24:25]
.LBB487_301:
	s_or_b64 exec, exec, s[14:15]
.LBB487_302:
	s_or_b64 exec, exec, s[12:13]
	v_cvt_pkrtz_f16_f32 v32, v32, v33
	v_cvt_pkrtz_f16_f32 v33, v31, v34
	;; [unrolled: 1-line block ×4, first 2 shown]
	v_mfma_f32_4x4x4f16 a[0:3], v[2:3], v[32:33], a[0:3] cbsz:4 abid:5
	v_cmp_ne_u16_sdwa s[14:15], v22, v30 src0_sel:BYTE_0 src1_sel:DWORD
	v_mfma_f32_4x4x4f16 a[0:3], v[4:5], v[26:27], a[0:3] cbsz:4 abid:5
	s_and_saveexec_b64 s[12:13], s[14:15]
	s_cbranch_execz .LBB487_308
; %bb.303:
	s_movk_i32 s11, 0x80
	v_cmp_ne_u16_sdwa s[24:25], v22, s11 src0_sel:BYTE_0 src1_sel:DWORD
	v_bfrev_b32_e32 v30, 1
	s_and_saveexec_b64 s[14:15], s[24:25]
	s_cbranch_execz .LBB487_307
; %bb.304:
	s_movk_i32 s11, 0x7f
	v_and_b32_e32 v26, 0x7f, v22
	v_cmp_ne_u32_e32 vcc, s11, v26
	v_mov_b32_e32 v30, 0x7f800001
	s_and_saveexec_b64 s[24:25], vcc
	s_cbranch_execz .LBB487_306
; %bb.305:
	v_and_b32_e32 v27, 7, v22
	v_ffbh_u32_e32 v27, v27
	v_min_u32_e32 v27, 32, v27
	v_subrev_u32_e32 v29, 28, v27
	v_cmp_gt_u32_e32 vcc, 8, v26
	v_lshrrev_b32_e32 v28, 3, v26
	v_sub_u32_e32 v27, 29, v27
	v_cndmask_b32_e32 v26, 0, v29, vcc
	v_cndmask_b32_e32 v28, v28, v27, vcc
	v_lshlrev_b64 v[26:27], v26, v[22:23]
	v_lshlrev_b32_e32 v26, 20, v26
	v_lshlrev_b32_e32 v27, 24, v22
	v_bfrev_b32_e32 v29, 60
	v_and_b32_e32 v26, 0x700000, v26
	v_and_b32_e32 v27, 0x80000000, v27
	v_lshl_add_u32 v28, v28, 23, v29
	v_or3_b32 v30, v27, v28, v26
.LBB487_306:
	s_or_b64 exec, exec, s[24:25]
.LBB487_307:
	s_or_b64 exec, exec, s[14:15]
.LBB487_308:
	s_or_b64 exec, exec, s[12:13]
	v_lshrrev_b16_e32 v26, 8, v22
	v_cmp_ne_u16_e32 vcc, 0, v26
	v_mov_b32_e32 v29, 0
	v_mov_b32_e32 v31, 0
	s_and_saveexec_b64 s[12:13], vcc
	s_cbranch_execz .LBB487_314
; %bb.309:
	s_movk_i32 s11, 0x80
	v_cmp_ne_u16_e32 vcc, s11, v26
	v_bfrev_b32_e32 v31, 1
	s_and_saveexec_b64 s[14:15], vcc
	s_cbranch_execz .LBB487_313
; %bb.310:
	s_movk_i32 s11, 0x7f
	v_and_b32_e32 v27, 0x7f, v26
	v_cmp_ne_u32_e32 vcc, s11, v27
	v_mov_b32_e32 v31, 0x7f800001
	s_and_saveexec_b64 s[24:25], vcc
	s_cbranch_execz .LBB487_312
; %bb.311:
	v_and_b32_e32 v28, 7, v26
	v_ffbh_u32_e32 v32, v28
	v_min_u32_e32 v34, 32, v32
	v_subrev_u32_e32 v32, 28, v34
	v_lshlrev_b64 v[32:33], v32, v[26:27]
	v_lshrrev_b32_e32 v31, 3, v27
	v_sub_u32_e32 v26, 29, v34
	v_and_b32_e32 v32, 7, v32
	v_cmp_gt_u32_e32 vcc, 8, v27
	v_cndmask_b32_e32 v26, v31, v26, vcc
	v_cndmask_b32_e32 v27, v28, v32, vcc
	v_lshlrev_b32_e32 v28, 16, v22
	v_bfrev_b32_e32 v31, 60
	v_lshlrev_b32_e32 v27, 20, v27
	v_and_b32_e32 v28, 0x80000000, v28
	v_lshl_add_u32 v26, v26, 23, v31
	v_or3_b32 v31, v28, v26, v27
.LBB487_312:
	s_or_b64 exec, exec, s[24:25]
.LBB487_313:
	s_or_b64 exec, exec, s[14:15]
.LBB487_314:
	s_or_b64 exec, exec, s[12:13]
	s_movk_i32 s11, 0xff
	v_and_b32_sdwa v27, v22, s11 dst_sel:DWORD dst_unused:UNUSED_PAD src0_sel:WORD_1 src1_sel:DWORD
	v_lshrrev_b32_e32 v26, 16, v22
	v_cmp_ne_u16_e32 vcc, 0, v27
	s_and_saveexec_b64 s[12:13], vcc
	s_cbranch_execz .LBB487_320
; %bb.315:
	s_movk_i32 s11, 0x80
	v_cmp_ne_u16_e32 vcc, s11, v27
	v_bfrev_b32_e32 v29, 1
	s_and_saveexec_b64 s[14:15], vcc
	s_cbranch_execz .LBB487_319
; %bb.316:
	v_bfe_u32 v27, v22, 16, 7
	s_movk_i32 s11, 0x7f
	v_cmp_ne_u32_e32 vcc, s11, v27
	v_mov_b32_e32 v29, 0x7f800001
	s_and_saveexec_b64 s[24:25], vcc
	s_cbranch_execz .LBB487_318
; %bb.317:
	v_and_b32_e32 v32, 7, v26
	v_ffbh_u32_e32 v28, v32
	v_min_u32_e32 v34, 32, v28
	v_subrev_u32_e32 v28, 28, v34
	v_lshlrev_b64 v[28:29], v28, v[26:27]
	v_and_b32_e32 v28, 7, v28
	v_cmp_gt_u32_e32 vcc, 8, v27
	v_lshrrev_b32_e32 v33, 3, v27
	v_sub_u32_e32 v26, 29, v34
	v_cndmask_b32_e32 v27, v32, v28, vcc
	v_mov_b32_e32 v28, 24
	v_cndmask_b32_e32 v26, v33, v26, vcc
	v_lshlrev_b32_sdwa v28, v28, v22 dst_sel:DWORD dst_unused:UNUSED_PAD src0_sel:DWORD src1_sel:WORD_1
	v_bfrev_b32_e32 v29, 60
	v_lshlrev_b32_e32 v27, 20, v27
	v_and_b32_e32 v28, 0x80000000, v28
	v_lshl_add_u32 v26, v26, 23, v29
	v_or3_b32 v29, v28, v26, v27
.LBB487_318:
	s_or_b64 exec, exec, s[24:25]
.LBB487_319:
	s_or_b64 exec, exec, s[14:15]
.LBB487_320:
	s_or_b64 exec, exec, s[12:13]
	s_mov_b32 s11, 0xffffff
	v_cmp_lt_u32_e32 vcc, s11, v22
	v_mov_b32_e32 v27, 0
	v_mov_b32_e32 v32, 0
	s_and_saveexec_b64 s[12:13], vcc
	s_cbranch_execz .LBB487_326
; %bb.321:
	v_lshrrev_b32_e32 v26, 24, v22
	s_movk_i32 s11, 0x80
	v_cmp_ne_u32_e32 vcc, s11, v26
	v_bfrev_b32_e32 v32, 1
	s_and_saveexec_b64 s[14:15], vcc
	s_cbranch_execz .LBB487_325
; %bb.322:
	v_bfe_u32 v28, v22, 24, 7
	s_movk_i32 s11, 0x7f
	v_cmp_ne_u32_e32 vcc, s11, v28
	v_mov_b32_e32 v32, 0x7f800001
	s_and_saveexec_b64 s[24:25], vcc
	s_cbranch_execz .LBB487_324
; %bb.323:
	v_and_b32_e32 v34, 7, v26
	v_ffbh_u32_e32 v32, v34
	v_min_u32_e32 v36, 32, v32
	v_subrev_u32_e32 v32, 28, v36
	v_lshlrev_b64 v[32:33], v32, v[26:27]
	v_lshrrev_b32_e32 v35, 3, v28
	v_sub_u32_e32 v33, 29, v36
	v_and_b32_e32 v32, 7, v32
	v_cmp_gt_u32_e32 vcc, 8, v28
	v_cndmask_b32_e32 v28, v35, v33, vcc
	v_cndmask_b32_e32 v32, v34, v32, vcc
	v_lshlrev_b32_e32 v26, 24, v26
	v_bfrev_b32_e32 v33, 60
	v_lshlrev_b32_e32 v32, 20, v32
	v_and_b32_e32 v26, 0x80000000, v26
	v_lshl_add_u32 v28, v28, 23, v33
	v_or3_b32 v32, v26, v28, v32
.LBB487_324:
	s_or_b64 exec, exec, s[24:25]
.LBB487_325:
	s_or_b64 exec, exec, s[14:15]
.LBB487_326:
	s_or_b64 exec, exec, s[12:13]
	v_mov_b32_e32 v26, v23
	v_cmp_ne_u16_sdwa s[14:15], v23, v27 src0_sel:BYTE_0 src1_sel:DWORD
	s_and_saveexec_b64 s[12:13], s[14:15]
	s_cbranch_execz .LBB487_332
; %bb.327:
	s_movk_i32 s11, 0x80
	v_cmp_ne_u16_sdwa s[24:25], v23, s11 src0_sel:BYTE_0 src1_sel:DWORD
	v_bfrev_b32_e32 v28, 1
	s_and_saveexec_b64 s[14:15], s[24:25]
	s_cbranch_execz .LBB487_331
; %bb.328:
	s_movk_i32 s11, 0x7f
	v_and_b32_e32 v33, 0x7f, v23
	v_cmp_ne_u32_e32 vcc, s11, v33
	v_mov_b32_e32 v28, 0x7f800001
	s_and_saveexec_b64 s[24:25], vcc
	s_cbranch_execz .LBB487_330
; %bb.329:
	v_and_b32_e32 v28, 7, v23
	v_ffbh_u32_e32 v28, v28
	v_min_u32_e32 v28, 32, v28
	v_subrev_u32_e32 v35, 28, v28
	v_cmp_gt_u32_e32 vcc, 8, v33
	v_lshrrev_b32_e32 v34, 3, v33
	v_sub_u32_e32 v28, 29, v28
	v_cndmask_b32_e32 v33, 0, v35, vcc
	v_cndmask_b32_e32 v28, v34, v28, vcc
	v_lshlrev_b64 v[34:35], v33, v[26:27]
	v_lshlrev_b32_e32 v27, 20, v34
	v_lshlrev_b32_e32 v33, 24, v26
	v_bfrev_b32_e32 v34, 60
	v_and_b32_e32 v27, 0x700000, v27
	v_and_b32_e32 v33, 0x80000000, v33
	v_lshl_add_u32 v28, v28, 23, v34
	v_or3_b32 v28, v33, v28, v27
.LBB487_330:
	s_or_b64 exec, exec, s[24:25]
.LBB487_331:
	s_or_b64 exec, exec, s[14:15]
	v_mov_b32_e32 v27, v28
.LBB487_332:
	s_or_b64 exec, exec, s[12:13]
	v_lshrrev_b16_e32 v28, 8, v26
	v_cmp_ne_u16_e32 vcc, 0, v28
	v_mov_b32_e32 v33, 0
	v_mov_b32_e32 v34, 0
	s_and_saveexec_b64 s[12:13], vcc
	s_cbranch_execz .LBB487_338
; %bb.333:
	s_movk_i32 s11, 0x80
	v_cmp_ne_u16_e32 vcc, s11, v28
	v_bfrev_b32_e32 v34, 1
	s_and_saveexec_b64 s[14:15], vcc
	s_cbranch_execz .LBB487_337
; %bb.334:
	s_movk_i32 s11, 0x7f
	v_and_b32_e32 v35, 0x7f, v28
	v_cmp_ne_u32_e32 vcc, s11, v35
	v_mov_b32_e32 v34, 0x7f800001
	s_and_saveexec_b64 s[24:25], vcc
	s_cbranch_execz .LBB487_336
; %bb.335:
	v_and_b32_e32 v34, 7, v28
	v_ffbh_u32_e32 v36, v34
	v_min_u32_e32 v39, 32, v36
	v_subrev_u32_e32 v36, 28, v39
	v_lshlrev_b64 v[36:37], v36, v[28:29]
	v_lshrrev_b32_e32 v38, 3, v35
	v_sub_u32_e32 v28, 29, v39
	v_and_b32_e32 v36, 7, v36
	v_cmp_gt_u32_e32 vcc, 8, v35
	v_cndmask_b32_e32 v28, v38, v28, vcc
	v_cndmask_b32_e32 v34, v34, v36, vcc
	v_lshlrev_b32_e32 v26, 16, v26
	v_bfrev_b32_e32 v35, 60
	v_lshlrev_b32_e32 v34, 20, v34
	v_and_b32_e32 v26, 0x80000000, v26
	v_lshl_add_u32 v28, v28, 23, v35
	v_or3_b32 v34, v26, v28, v34
.LBB487_336:
	s_or_b64 exec, exec, s[24:25]
.LBB487_337:
	s_or_b64 exec, exec, s[14:15]
.LBB487_338:
	s_or_b64 exec, exec, s[12:13]
	s_movk_i32 s11, 0xff
	v_and_b32_sdwa v28, v23, s11 dst_sel:DWORD dst_unused:UNUSED_PAD src0_sel:WORD_1 src1_sel:DWORD
	v_lshrrev_b32_e32 v26, 16, v23
	v_cmp_ne_u16_e32 vcc, 0, v28
	s_and_saveexec_b64 s[12:13], vcc
	s_cbranch_execz .LBB487_344
; %bb.339:
	s_movk_i32 s11, 0x80
	v_cmp_ne_u16_e32 vcc, s11, v28
	v_bfrev_b32_e32 v33, 1
	s_and_saveexec_b64 s[14:15], vcc
	s_cbranch_execz .LBB487_343
; %bb.340:
	v_bfe_u32 v28, v23, 16, 7
	s_movk_i32 s11, 0x7f
	v_cmp_ne_u32_e32 vcc, s11, v28
	v_mov_b32_e32 v33, 0x7f800001
	s_and_saveexec_b64 s[24:25], vcc
	s_cbranch_execz .LBB487_342
; %bb.341:
	v_and_b32_e32 v33, 7, v26
	v_ffbh_u32_e32 v36, v33
	v_min_u32_e32 v38, 32, v36
	v_subrev_u32_e32 v36, 28, v38
	v_lshlrev_b64 v[36:37], v36, v[26:27]
	v_and_b32_e32 v36, 7, v36
	v_cmp_gt_u32_e32 vcc, 8, v28
	v_lshrrev_b32_e32 v35, 3, v28
	v_sub_u32_e32 v26, 29, v38
	v_cndmask_b32_e32 v28, v33, v36, vcc
	v_mov_b32_e32 v33, 24
	v_cndmask_b32_e32 v26, v35, v26, vcc
	v_lshlrev_b32_sdwa v33, v33, v23 dst_sel:DWORD dst_unused:UNUSED_PAD src0_sel:DWORD src1_sel:WORD_1
	v_bfrev_b32_e32 v35, 60
	v_lshlrev_b32_e32 v28, 20, v28
	v_and_b32_e32 v33, 0x80000000, v33
	v_lshl_add_u32 v26, v26, 23, v35
	v_or3_b32 v33, v33, v26, v28
.LBB487_342:
	s_or_b64 exec, exec, s[24:25]
.LBB487_343:
	s_or_b64 exec, exec, s[14:15]
.LBB487_344:
	s_or_b64 exec, exec, s[12:13]
	s_mov_b32 s12, -1
	s_mov_b32 s13, 0xffffff
	v_cmp_lt_u64_e32 vcc, s[12:13], v[22:23]
	v_mov_b32_e32 v28, 0
	v_mov_b32_e32 v26, 0
	s_and_saveexec_b64 s[12:13], vcc
	s_cbranch_execz .LBB487_350
; %bb.345:
	v_lshrrev_b32_e32 v22, 24, v23
	s_movk_i32 s11, 0x80
	v_cmp_ne_u32_e32 vcc, s11, v22
	v_bfrev_b32_e32 v26, 1
	s_and_saveexec_b64 s[14:15], vcc
	s_cbranch_execz .LBB487_349
; %bb.346:
	v_bfe_u32 v23, v23, 24, 7
	s_movk_i32 s11, 0x7f
	v_cmp_ne_u32_e32 vcc, s11, v23
	v_mov_b32_e32 v26, 0x7f800001
	s_and_saveexec_b64 s[24:25], vcc
	s_cbranch_execz .LBB487_348
; %bb.347:
	v_and_b32_e32 v26, 7, v22
	v_ffbh_u32_e32 v36, v26
	v_min_u32_e32 v38, 32, v36
	v_subrev_u32_e32 v36, 28, v38
	v_lshlrev_b64 v[36:37], v36, v[22:23]
	v_lshrrev_b32_e32 v35, 3, v23
	v_sub_u32_e32 v37, 29, v38
	v_and_b32_e32 v36, 7, v36
	v_cmp_gt_u32_e32 vcc, 8, v23
	v_cndmask_b32_e32 v23, v35, v37, vcc
	v_cndmask_b32_e32 v26, v26, v36, vcc
	v_lshlrev_b32_e32 v22, 24, v22
	v_bfrev_b32_e32 v35, 60
	v_lshlrev_b32_e32 v26, 20, v26
	v_and_b32_e32 v22, 0x80000000, v22
	v_lshl_add_u32 v23, v23, 23, v35
	v_or3_b32 v26, v22, v23, v26
.LBB487_348:
	s_or_b64 exec, exec, s[24:25]
.LBB487_349:
	s_or_b64 exec, exec, s[14:15]
.LBB487_350:
	s_or_b64 exec, exec, s[12:13]
	v_cvt_pkrtz_f16_f32 v22, v30, v31
	v_cvt_pkrtz_f16_f32 v23, v29, v32
	;; [unrolled: 1-line block ×4, first 2 shown]
	v_mfma_f32_4x4x4f16 a[0:3], v[2:3], v[22:23], a[0:3] cbsz:4 abid:6
	v_cmp_ne_u16_sdwa s[14:15], v24, v28 src0_sel:BYTE_0 src1_sel:DWORD
	v_mfma_f32_4x4x4f16 a[0:3], v[4:5], v[30:31], a[0:3] cbsz:4 abid:6
	s_and_saveexec_b64 s[12:13], s[14:15]
	s_cbranch_execz .LBB487_356
; %bb.351:
	s_movk_i32 s11, 0x80
	v_cmp_ne_u16_sdwa s[24:25], v24, s11 src0_sel:BYTE_0 src1_sel:DWORD
	v_bfrev_b32_e32 v28, 1
	s_and_saveexec_b64 s[14:15], s[24:25]
	s_cbranch_execz .LBB487_355
; %bb.352:
	s_movk_i32 s11, 0x7f
	v_and_b32_e32 v22, 0x7f, v24
	v_cmp_ne_u32_e32 vcc, s11, v22
	v_mov_b32_e32 v28, 0x7f800001
	s_and_saveexec_b64 s[24:25], vcc
	s_cbranch_execz .LBB487_354
; %bb.353:
	v_and_b32_e32 v23, 7, v24
	v_ffbh_u32_e32 v23, v23
	v_min_u32_e32 v23, 32, v23
	v_subrev_u32_e32 v27, 28, v23
	v_cmp_gt_u32_e32 vcc, 8, v22
	v_lshrrev_b32_e32 v26, 3, v22
	v_sub_u32_e32 v23, 29, v23
	v_cndmask_b32_e32 v22, 0, v27, vcc
	v_cndmask_b32_e32 v26, v26, v23, vcc
	v_lshlrev_b64 v[22:23], v22, v[24:25]
	v_lshlrev_b32_e32 v22, 20, v22
	v_lshlrev_b32_e32 v23, 24, v24
	v_bfrev_b32_e32 v27, 60
	v_and_b32_e32 v22, 0x700000, v22
	v_and_b32_e32 v23, 0x80000000, v23
	v_lshl_add_u32 v26, v26, 23, v27
	v_or3_b32 v28, v23, v26, v22
.LBB487_354:
	s_or_b64 exec, exec, s[24:25]
.LBB487_355:
	s_or_b64 exec, exec, s[14:15]
.LBB487_356:
	s_or_b64 exec, exec, s[12:13]
	v_lshrrev_b16_e32 v22, 8, v24
	v_cmp_ne_u16_e32 vcc, 0, v22
	v_mov_b32_e32 v27, 0
	v_mov_b32_e32 v29, 0
	s_and_saveexec_b64 s[12:13], vcc
	s_cbranch_execz .LBB487_362
; %bb.357:
	s_movk_i32 s11, 0x80
	v_cmp_ne_u16_e32 vcc, s11, v22
	v_bfrev_b32_e32 v29, 1
	s_and_saveexec_b64 s[14:15], vcc
	s_cbranch_execz .LBB487_361
; %bb.358:
	s_movk_i32 s11, 0x7f
	v_and_b32_e32 v23, 0x7f, v22
	v_cmp_ne_u32_e32 vcc, s11, v23
	v_mov_b32_e32 v29, 0x7f800001
	s_and_saveexec_b64 s[24:25], vcc
	s_cbranch_execz .LBB487_360
; %bb.359:
	v_and_b32_e32 v26, 7, v22
	v_ffbh_u32_e32 v30, v26
	v_min_u32_e32 v32, 32, v30
	v_subrev_u32_e32 v30, 28, v32
	v_lshlrev_b64 v[30:31], v30, v[22:23]
	v_lshrrev_b32_e32 v29, 3, v23
	v_sub_u32_e32 v22, 29, v32
	v_and_b32_e32 v30, 7, v30
	v_cmp_gt_u32_e32 vcc, 8, v23
	v_cndmask_b32_e32 v22, v29, v22, vcc
	v_cndmask_b32_e32 v23, v26, v30, vcc
	v_lshlrev_b32_e32 v26, 16, v24
	v_bfrev_b32_e32 v29, 60
	v_lshlrev_b32_e32 v23, 20, v23
	v_and_b32_e32 v26, 0x80000000, v26
	v_lshl_add_u32 v22, v22, 23, v29
	v_or3_b32 v29, v26, v22, v23
.LBB487_360:
	s_or_b64 exec, exec, s[24:25]
.LBB487_361:
	s_or_b64 exec, exec, s[14:15]
.LBB487_362:
	s_or_b64 exec, exec, s[12:13]
	s_movk_i32 s11, 0xff
	v_and_b32_sdwa v23, v24, s11 dst_sel:DWORD dst_unused:UNUSED_PAD src0_sel:WORD_1 src1_sel:DWORD
	v_lshrrev_b32_e32 v22, 16, v24
	v_cmp_ne_u16_e32 vcc, 0, v23
	s_and_saveexec_b64 s[12:13], vcc
	s_cbranch_execz .LBB487_368
; %bb.363:
	s_movk_i32 s11, 0x80
	v_cmp_ne_u16_e32 vcc, s11, v23
	v_bfrev_b32_e32 v27, 1
	s_and_saveexec_b64 s[14:15], vcc
	s_cbranch_execz .LBB487_367
; %bb.364:
	v_bfe_u32 v23, v24, 16, 7
	s_movk_i32 s11, 0x7f
	v_cmp_ne_u32_e32 vcc, s11, v23
	v_mov_b32_e32 v27, 0x7f800001
	s_and_saveexec_b64 s[24:25], vcc
	s_cbranch_execz .LBB487_366
; %bb.365:
	v_and_b32_e32 v30, 7, v22
	v_ffbh_u32_e32 v26, v30
	v_min_u32_e32 v32, 32, v26
	v_subrev_u32_e32 v26, 28, v32
	v_lshlrev_b64 v[26:27], v26, v[22:23]
	v_and_b32_e32 v26, 7, v26
	v_cmp_gt_u32_e32 vcc, 8, v23
	v_lshrrev_b32_e32 v31, 3, v23
	v_sub_u32_e32 v22, 29, v32
	v_cndmask_b32_e32 v23, v30, v26, vcc
	v_mov_b32_e32 v26, 24
	v_cndmask_b32_e32 v22, v31, v22, vcc
	v_lshlrev_b32_sdwa v26, v26, v24 dst_sel:DWORD dst_unused:UNUSED_PAD src0_sel:DWORD src1_sel:WORD_1
	v_bfrev_b32_e32 v27, 60
	v_lshlrev_b32_e32 v23, 20, v23
	v_and_b32_e32 v26, 0x80000000, v26
	v_lshl_add_u32 v22, v22, 23, v27
	v_or3_b32 v27, v26, v22, v23
.LBB487_366:
	s_or_b64 exec, exec, s[24:25]
.LBB487_367:
	s_or_b64 exec, exec, s[14:15]
.LBB487_368:
	s_or_b64 exec, exec, s[12:13]
	s_mov_b32 s11, 0xffffff
	v_cmp_lt_u32_e32 vcc, s11, v24
	v_mov_b32_e32 v23, 0
	v_mov_b32_e32 v30, 0
	s_and_saveexec_b64 s[12:13], vcc
	s_cbranch_execz .LBB487_374
; %bb.369:
	v_lshrrev_b32_e32 v22, 24, v24
	s_movk_i32 s11, 0x80
	v_cmp_ne_u32_e32 vcc, s11, v22
	v_bfrev_b32_e32 v30, 1
	s_and_saveexec_b64 s[14:15], vcc
	s_cbranch_execz .LBB487_373
; %bb.370:
	v_bfe_u32 v26, v24, 24, 7
	s_movk_i32 s11, 0x7f
	v_cmp_ne_u32_e32 vcc, s11, v26
	v_mov_b32_e32 v30, 0x7f800001
	s_and_saveexec_b64 s[24:25], vcc
	s_cbranch_execz .LBB487_372
; %bb.371:
	v_and_b32_e32 v32, 7, v22
	v_ffbh_u32_e32 v30, v32
	v_min_u32_e32 v34, 32, v30
	v_subrev_u32_e32 v30, 28, v34
	v_lshlrev_b64 v[30:31], v30, v[22:23]
	v_lshrrev_b32_e32 v33, 3, v26
	v_sub_u32_e32 v31, 29, v34
	v_and_b32_e32 v30, 7, v30
	v_cmp_gt_u32_e32 vcc, 8, v26
	v_cndmask_b32_e32 v26, v33, v31, vcc
	v_cndmask_b32_e32 v30, v32, v30, vcc
	v_lshlrev_b32_e32 v22, 24, v22
	v_bfrev_b32_e32 v31, 60
	v_lshlrev_b32_e32 v30, 20, v30
	v_and_b32_e32 v22, 0x80000000, v22
	v_lshl_add_u32 v26, v26, 23, v31
	v_or3_b32 v30, v22, v26, v30
.LBB487_372:
	s_or_b64 exec, exec, s[24:25]
.LBB487_373:
	s_or_b64 exec, exec, s[14:15]
.LBB487_374:
	s_or_b64 exec, exec, s[12:13]
	v_mov_b32_e32 v22, v25
	v_cmp_ne_u16_sdwa s[14:15], v25, v23 src0_sel:BYTE_0 src1_sel:DWORD
	s_and_saveexec_b64 s[12:13], s[14:15]
	s_cbranch_execz .LBB487_380
; %bb.375:
	s_movk_i32 s11, 0x80
	v_cmp_ne_u16_sdwa s[24:25], v25, s11 src0_sel:BYTE_0 src1_sel:DWORD
	v_bfrev_b32_e32 v26, 1
	s_and_saveexec_b64 s[14:15], s[24:25]
	s_cbranch_execz .LBB487_379
; %bb.376:
	s_movk_i32 s11, 0x7f
	v_and_b32_e32 v31, 0x7f, v25
	v_cmp_ne_u32_e32 vcc, s11, v31
	v_mov_b32_e32 v26, 0x7f800001
	s_and_saveexec_b64 s[24:25], vcc
	s_cbranch_execz .LBB487_378
; %bb.377:
	v_and_b32_e32 v26, 7, v25
	v_ffbh_u32_e32 v26, v26
	v_min_u32_e32 v26, 32, v26
	v_subrev_u32_e32 v33, 28, v26
	v_cmp_gt_u32_e32 vcc, 8, v31
	v_lshrrev_b32_e32 v32, 3, v31
	v_sub_u32_e32 v26, 29, v26
	v_cndmask_b32_e32 v31, 0, v33, vcc
	v_cndmask_b32_e32 v26, v32, v26, vcc
	v_lshlrev_b64 v[32:33], v31, v[22:23]
	v_lshlrev_b32_e32 v23, 20, v32
	v_lshlrev_b32_e32 v31, 24, v22
	v_bfrev_b32_e32 v32, 60
	v_and_b32_e32 v23, 0x700000, v23
	v_and_b32_e32 v31, 0x80000000, v31
	v_lshl_add_u32 v26, v26, 23, v32
	v_or3_b32 v26, v31, v26, v23
.LBB487_378:
	s_or_b64 exec, exec, s[24:25]
.LBB487_379:
	s_or_b64 exec, exec, s[14:15]
	v_mov_b32_e32 v23, v26
.LBB487_380:
	s_or_b64 exec, exec, s[12:13]
	v_lshrrev_b16_e32 v26, 8, v22
	v_cmp_ne_u16_e32 vcc, 0, v26
	v_mov_b32_e32 v31, 0
	v_mov_b32_e32 v32, 0
	s_and_saveexec_b64 s[12:13], vcc
	s_cbranch_execz .LBB487_386
; %bb.381:
	s_movk_i32 s11, 0x80
	v_cmp_ne_u16_e32 vcc, s11, v26
	v_bfrev_b32_e32 v32, 1
	s_and_saveexec_b64 s[14:15], vcc
	s_cbranch_execz .LBB487_385
; %bb.382:
	s_movk_i32 s11, 0x7f
	v_and_b32_e32 v33, 0x7f, v26
	v_cmp_ne_u32_e32 vcc, s11, v33
	v_mov_b32_e32 v32, 0x7f800001
	s_and_saveexec_b64 s[24:25], vcc
	s_cbranch_execz .LBB487_384
; %bb.383:
	v_and_b32_e32 v32, 7, v26
	v_ffbh_u32_e32 v34, v32
	v_min_u32_e32 v37, 32, v34
	v_subrev_u32_e32 v34, 28, v37
	v_lshlrev_b64 v[34:35], v34, v[26:27]
	v_lshrrev_b32_e32 v36, 3, v33
	v_sub_u32_e32 v26, 29, v37
	v_and_b32_e32 v34, 7, v34
	v_cmp_gt_u32_e32 vcc, 8, v33
	v_cndmask_b32_e32 v26, v36, v26, vcc
	v_cndmask_b32_e32 v32, v32, v34, vcc
	v_lshlrev_b32_e32 v22, 16, v22
	v_bfrev_b32_e32 v33, 60
	v_lshlrev_b32_e32 v32, 20, v32
	v_and_b32_e32 v22, 0x80000000, v22
	v_lshl_add_u32 v26, v26, 23, v33
	v_or3_b32 v32, v22, v26, v32
.LBB487_384:
	s_or_b64 exec, exec, s[24:25]
.LBB487_385:
	s_or_b64 exec, exec, s[14:15]
.LBB487_386:
	s_or_b64 exec, exec, s[12:13]
	s_movk_i32 s11, 0xff
	v_and_b32_sdwa v26, v25, s11 dst_sel:DWORD dst_unused:UNUSED_PAD src0_sel:WORD_1 src1_sel:DWORD
	v_lshrrev_b32_e32 v22, 16, v25
	v_cmp_ne_u16_e32 vcc, 0, v26
	s_and_saveexec_b64 s[12:13], vcc
	s_cbranch_execz .LBB487_392
; %bb.387:
	s_movk_i32 s11, 0x80
	v_cmp_ne_u16_e32 vcc, s11, v26
	v_bfrev_b32_e32 v31, 1
	s_and_saveexec_b64 s[14:15], vcc
	s_cbranch_execz .LBB487_391
; %bb.388:
	v_bfe_u32 v26, v25, 16, 7
	s_movk_i32 s11, 0x7f
	v_cmp_ne_u32_e32 vcc, s11, v26
	v_mov_b32_e32 v31, 0x7f800001
	s_and_saveexec_b64 s[24:25], vcc
	s_cbranch_execz .LBB487_390
; %bb.389:
	v_and_b32_e32 v31, 7, v22
	v_ffbh_u32_e32 v34, v31
	v_min_u32_e32 v36, 32, v34
	v_subrev_u32_e32 v34, 28, v36
	v_lshlrev_b64 v[34:35], v34, v[22:23]
	v_and_b32_e32 v34, 7, v34
	v_cmp_gt_u32_e32 vcc, 8, v26
	v_lshrrev_b32_e32 v33, 3, v26
	v_sub_u32_e32 v22, 29, v36
	v_cndmask_b32_e32 v26, v31, v34, vcc
	v_mov_b32_e32 v31, 24
	v_cndmask_b32_e32 v22, v33, v22, vcc
	v_lshlrev_b32_sdwa v31, v31, v25 dst_sel:DWORD dst_unused:UNUSED_PAD src0_sel:DWORD src1_sel:WORD_1
	v_bfrev_b32_e32 v33, 60
	v_lshlrev_b32_e32 v26, 20, v26
	v_and_b32_e32 v31, 0x80000000, v31
	v_lshl_add_u32 v22, v22, 23, v33
	v_or3_b32 v31, v31, v22, v26
.LBB487_390:
	s_or_b64 exec, exec, s[24:25]
.LBB487_391:
	s_or_b64 exec, exec, s[14:15]
.LBB487_392:
	s_or_b64 exec, exec, s[12:13]
	s_mov_b32 s12, -1
	s_mov_b32 s13, 0xffffff
	v_cmp_lt_u64_e32 vcc, s[12:13], v[24:25]
	v_mov_b32_e32 v26, 0
	v_mov_b32_e32 v24, 0
	s_and_saveexec_b64 s[12:13], vcc
	s_cbranch_execz .LBB487_398
; %bb.393:
	v_lshrrev_b32_e32 v22, 24, v25
	s_movk_i32 s11, 0x80
	v_cmp_ne_u32_e32 vcc, s11, v22
	v_bfrev_b32_e32 v24, 1
	s_and_saveexec_b64 s[14:15], vcc
	s_cbranch_execz .LBB487_397
; %bb.394:
	v_bfe_u32 v25, v25, 24, 7
	s_movk_i32 s11, 0x7f
	v_cmp_ne_u32_e32 vcc, s11, v25
	v_mov_b32_e32 v24, 0x7f800001
	s_and_saveexec_b64 s[24:25], vcc
	s_cbranch_execz .LBB487_396
; %bb.395:
	v_and_b32_e32 v24, 7, v22
	v_ffbh_u32_e32 v34, v24
	v_min_u32_e32 v36, 32, v34
	v_subrev_u32_e32 v34, 28, v36
	v_lshlrev_b64 v[34:35], v34, v[22:23]
	v_lshrrev_b32_e32 v33, 3, v25
	v_sub_u32_e32 v35, 29, v36
	v_and_b32_e32 v34, 7, v34
	v_cmp_gt_u32_e32 vcc, 8, v25
	v_cndmask_b32_e32 v25, v33, v35, vcc
	v_cndmask_b32_e32 v24, v24, v34, vcc
	v_lshlrev_b32_e32 v22, 24, v22
	v_bfrev_b32_e32 v33, 60
	v_lshlrev_b32_e32 v24, 20, v24
	v_and_b32_e32 v22, 0x80000000, v22
	v_lshl_add_u32 v25, v25, 23, v33
	v_or3_b32 v24, v22, v25, v24
.LBB487_396:
	s_or_b64 exec, exec, s[24:25]
.LBB487_397:
	s_or_b64 exec, exec, s[14:15]
.LBB487_398:
	s_or_b64 exec, exec, s[12:13]
	v_cvt_pkrtz_f16_f32 v28, v28, v29
	v_cvt_pkrtz_f16_f32 v29, v27, v30
	;; [unrolled: 1-line block ×4, first 2 shown]
	v_mfma_f32_4x4x4f16 a[0:3], v[2:3], v[28:29], a[0:3] cbsz:4 abid:7
	v_cmp_ne_u16_sdwa s[14:15], v18, v26 src0_sel:BYTE_0 src1_sel:DWORD
	v_mfma_f32_4x4x4f16 a[0:3], v[4:5], v[22:23], a[0:3] cbsz:4 abid:7
	s_and_saveexec_b64 s[12:13], s[14:15]
	s_cbranch_execz .LBB487_404
; %bb.399:
	s_movk_i32 s11, 0x80
	v_cmp_ne_u16_sdwa s[24:25], v18, s11 src0_sel:BYTE_0 src1_sel:DWORD
	v_bfrev_b32_e32 v26, 1
	s_and_saveexec_b64 s[14:15], s[24:25]
	s_cbranch_execz .LBB487_403
; %bb.400:
	s_movk_i32 s11, 0x7f
	v_and_b32_e32 v22, 0x7f, v18
	v_cmp_ne_u32_e32 vcc, s11, v22
	v_mov_b32_e32 v26, 0x7f800001
	s_and_saveexec_b64 s[24:25], vcc
	s_cbranch_execz .LBB487_402
; %bb.401:
	v_and_b32_e32 v23, 7, v18
	v_ffbh_u32_e32 v23, v23
	v_min_u32_e32 v23, 32, v23
	v_subrev_u32_e32 v25, 28, v23
	v_cmp_gt_u32_e32 vcc, 8, v22
	v_lshrrev_b32_e32 v24, 3, v22
	v_sub_u32_e32 v23, 29, v23
	v_cndmask_b32_e32 v22, 0, v25, vcc
	v_cndmask_b32_e32 v24, v24, v23, vcc
	v_lshlrev_b64 v[22:23], v22, v[18:19]
	v_lshlrev_b32_e32 v22, 20, v22
	v_lshlrev_b32_e32 v23, 24, v18
	v_bfrev_b32_e32 v25, 60
	v_and_b32_e32 v22, 0x700000, v22
	v_and_b32_e32 v23, 0x80000000, v23
	v_lshl_add_u32 v24, v24, 23, v25
	v_or3_b32 v26, v23, v24, v22
.LBB487_402:
	s_or_b64 exec, exec, s[24:25]
.LBB487_403:
	s_or_b64 exec, exec, s[14:15]
.LBB487_404:
	s_or_b64 exec, exec, s[12:13]
	v_lshrrev_b16_e32 v22, 8, v18
	v_cmp_ne_u16_e32 vcc, 0, v22
	v_mov_b32_e32 v25, 0
	v_mov_b32_e32 v27, 0
	s_and_saveexec_b64 s[12:13], vcc
	s_cbranch_execz .LBB487_410
; %bb.405:
	s_movk_i32 s11, 0x80
	v_cmp_ne_u16_e32 vcc, s11, v22
	v_bfrev_b32_e32 v27, 1
	s_and_saveexec_b64 s[14:15], vcc
	s_cbranch_execz .LBB487_409
; %bb.406:
	s_movk_i32 s11, 0x7f
	v_and_b32_e32 v23, 0x7f, v22
	v_cmp_ne_u32_e32 vcc, s11, v23
	v_mov_b32_e32 v27, 0x7f800001
	s_and_saveexec_b64 s[24:25], vcc
	s_cbranch_execz .LBB487_408
; %bb.407:
	v_and_b32_e32 v24, 7, v22
	v_ffbh_u32_e32 v28, v24
	v_min_u32_e32 v30, 32, v28
	v_subrev_u32_e32 v28, 28, v30
	v_lshlrev_b64 v[28:29], v28, v[22:23]
	v_lshrrev_b32_e32 v27, 3, v23
	v_sub_u32_e32 v22, 29, v30
	v_and_b32_e32 v28, 7, v28
	v_cmp_gt_u32_e32 vcc, 8, v23
	v_cndmask_b32_e32 v22, v27, v22, vcc
	v_cndmask_b32_e32 v23, v24, v28, vcc
	v_lshlrev_b32_e32 v24, 16, v18
	v_bfrev_b32_e32 v27, 60
	v_lshlrev_b32_e32 v23, 20, v23
	v_and_b32_e32 v24, 0x80000000, v24
	v_lshl_add_u32 v22, v22, 23, v27
	v_or3_b32 v27, v24, v22, v23
.LBB487_408:
	s_or_b64 exec, exec, s[24:25]
.LBB487_409:
	s_or_b64 exec, exec, s[14:15]
.LBB487_410:
	s_or_b64 exec, exec, s[12:13]
	s_movk_i32 s11, 0xff
	v_and_b32_sdwa v23, v18, s11 dst_sel:DWORD dst_unused:UNUSED_PAD src0_sel:WORD_1 src1_sel:DWORD
	v_lshrrev_b32_e32 v22, 16, v18
	v_cmp_ne_u16_e32 vcc, 0, v23
	s_and_saveexec_b64 s[12:13], vcc
	s_cbranch_execz .LBB487_416
; %bb.411:
	s_movk_i32 s11, 0x80
	v_cmp_ne_u16_e32 vcc, s11, v23
	v_bfrev_b32_e32 v25, 1
	s_and_saveexec_b64 s[14:15], vcc
	s_cbranch_execz .LBB487_415
; %bb.412:
	v_bfe_u32 v23, v18, 16, 7
	s_movk_i32 s11, 0x7f
	v_cmp_ne_u32_e32 vcc, s11, v23
	v_mov_b32_e32 v25, 0x7f800001
	s_and_saveexec_b64 s[24:25], vcc
	s_cbranch_execz .LBB487_414
; %bb.413:
	v_and_b32_e32 v28, 7, v22
	v_ffbh_u32_e32 v24, v28
	v_min_u32_e32 v30, 32, v24
	v_subrev_u32_e32 v24, 28, v30
	v_lshlrev_b64 v[24:25], v24, v[22:23]
	v_and_b32_e32 v24, 7, v24
	v_cmp_gt_u32_e32 vcc, 8, v23
	v_lshrrev_b32_e32 v29, 3, v23
	v_sub_u32_e32 v22, 29, v30
	v_cndmask_b32_e32 v23, v28, v24, vcc
	v_mov_b32_e32 v24, 24
	v_cndmask_b32_e32 v22, v29, v22, vcc
	v_lshlrev_b32_sdwa v24, v24, v18 dst_sel:DWORD dst_unused:UNUSED_PAD src0_sel:DWORD src1_sel:WORD_1
	v_bfrev_b32_e32 v25, 60
	v_lshlrev_b32_e32 v23, 20, v23
	v_and_b32_e32 v24, 0x80000000, v24
	v_lshl_add_u32 v22, v22, 23, v25
	v_or3_b32 v25, v24, v22, v23
.LBB487_414:
	s_or_b64 exec, exec, s[24:25]
.LBB487_415:
	s_or_b64 exec, exec, s[14:15]
.LBB487_416:
	s_or_b64 exec, exec, s[12:13]
	s_mov_b32 s11, 0xffffff
	v_cmp_lt_u32_e32 vcc, s11, v18
	v_mov_b32_e32 v23, 0
	v_mov_b32_e32 v28, 0
	s_and_saveexec_b64 s[12:13], vcc
	s_cbranch_execz .LBB487_422
; %bb.417:
	v_lshrrev_b32_e32 v22, 24, v18
	s_movk_i32 s11, 0x80
	v_cmp_ne_u32_e32 vcc, s11, v22
	v_bfrev_b32_e32 v28, 1
	s_and_saveexec_b64 s[14:15], vcc
	s_cbranch_execz .LBB487_421
; %bb.418:
	v_bfe_u32 v24, v18, 24, 7
	s_movk_i32 s11, 0x7f
	v_cmp_ne_u32_e32 vcc, s11, v24
	v_mov_b32_e32 v28, 0x7f800001
	s_and_saveexec_b64 s[24:25], vcc
	s_cbranch_execz .LBB487_420
; %bb.419:
	v_and_b32_e32 v30, 7, v22
	v_ffbh_u32_e32 v28, v30
	v_min_u32_e32 v32, 32, v28
	v_subrev_u32_e32 v28, 28, v32
	v_lshlrev_b64 v[28:29], v28, v[22:23]
	v_lshrrev_b32_e32 v31, 3, v24
	v_sub_u32_e32 v29, 29, v32
	v_and_b32_e32 v28, 7, v28
	v_cmp_gt_u32_e32 vcc, 8, v24
	v_cndmask_b32_e32 v24, v31, v29, vcc
	v_cndmask_b32_e32 v28, v30, v28, vcc
	v_lshlrev_b32_e32 v22, 24, v22
	v_bfrev_b32_e32 v29, 60
	v_lshlrev_b32_e32 v28, 20, v28
	v_and_b32_e32 v22, 0x80000000, v22
	v_lshl_add_u32 v24, v24, 23, v29
	v_or3_b32 v28, v22, v24, v28
.LBB487_420:
	s_or_b64 exec, exec, s[24:25]
.LBB487_421:
	s_or_b64 exec, exec, s[14:15]
.LBB487_422:
	s_or_b64 exec, exec, s[12:13]
	v_mov_b32_e32 v22, v19
	v_cmp_ne_u16_sdwa s[14:15], v19, v23 src0_sel:BYTE_0 src1_sel:DWORD
	s_and_saveexec_b64 s[12:13], s[14:15]
	s_cbranch_execz .LBB487_428
; %bb.423:
	s_movk_i32 s11, 0x80
	v_cmp_ne_u16_sdwa s[24:25], v19, s11 src0_sel:BYTE_0 src1_sel:DWORD
	v_bfrev_b32_e32 v24, 1
	s_and_saveexec_b64 s[14:15], s[24:25]
	s_cbranch_execz .LBB487_427
; %bb.424:
	s_movk_i32 s11, 0x7f
	v_and_b32_e32 v29, 0x7f, v19
	v_cmp_ne_u32_e32 vcc, s11, v29
	v_mov_b32_e32 v24, 0x7f800001
	s_and_saveexec_b64 s[24:25], vcc
	s_cbranch_execz .LBB487_426
; %bb.425:
	v_and_b32_e32 v24, 7, v19
	v_ffbh_u32_e32 v24, v24
	v_min_u32_e32 v24, 32, v24
	v_subrev_u32_e32 v31, 28, v24
	v_cmp_gt_u32_e32 vcc, 8, v29
	v_lshrrev_b32_e32 v30, 3, v29
	v_sub_u32_e32 v24, 29, v24
	v_cndmask_b32_e32 v29, 0, v31, vcc
	v_cndmask_b32_e32 v24, v30, v24, vcc
	v_lshlrev_b64 v[30:31], v29, v[22:23]
	v_lshlrev_b32_e32 v23, 20, v30
	v_lshlrev_b32_e32 v29, 24, v22
	v_bfrev_b32_e32 v30, 60
	v_and_b32_e32 v23, 0x700000, v23
	v_and_b32_e32 v29, 0x80000000, v29
	v_lshl_add_u32 v24, v24, 23, v30
	v_or3_b32 v24, v29, v24, v23
.LBB487_426:
	s_or_b64 exec, exec, s[24:25]
.LBB487_427:
	s_or_b64 exec, exec, s[14:15]
	v_mov_b32_e32 v23, v24
.LBB487_428:
	s_or_b64 exec, exec, s[12:13]
	v_lshrrev_b16_e32 v24, 8, v22
	v_cmp_ne_u16_e32 vcc, 0, v24
	v_mov_b32_e32 v29, 0
	v_mov_b32_e32 v30, 0
	s_and_saveexec_b64 s[12:13], vcc
	s_cbranch_execz .LBB487_434
; %bb.429:
	s_movk_i32 s11, 0x80
	v_cmp_ne_u16_e32 vcc, s11, v24
	v_bfrev_b32_e32 v30, 1
	s_and_saveexec_b64 s[14:15], vcc
	s_cbranch_execz .LBB487_433
; %bb.430:
	s_movk_i32 s11, 0x7f
	v_and_b32_e32 v31, 0x7f, v24
	v_cmp_ne_u32_e32 vcc, s11, v31
	v_mov_b32_e32 v30, 0x7f800001
	s_and_saveexec_b64 s[24:25], vcc
	s_cbranch_execz .LBB487_432
; %bb.431:
	v_and_b32_e32 v30, 7, v24
	v_ffbh_u32_e32 v32, v30
	v_min_u32_e32 v35, 32, v32
	v_subrev_u32_e32 v32, 28, v35
	v_lshlrev_b64 v[32:33], v32, v[24:25]
	v_lshrrev_b32_e32 v34, 3, v31
	v_sub_u32_e32 v24, 29, v35
	v_and_b32_e32 v32, 7, v32
	v_cmp_gt_u32_e32 vcc, 8, v31
	v_cndmask_b32_e32 v24, v34, v24, vcc
	v_cndmask_b32_e32 v30, v30, v32, vcc
	v_lshlrev_b32_e32 v22, 16, v22
	v_bfrev_b32_e32 v31, 60
	v_lshlrev_b32_e32 v30, 20, v30
	v_and_b32_e32 v22, 0x80000000, v22
	v_lshl_add_u32 v24, v24, 23, v31
	v_or3_b32 v30, v22, v24, v30
.LBB487_432:
	s_or_b64 exec, exec, s[24:25]
.LBB487_433:
	s_or_b64 exec, exec, s[14:15]
.LBB487_434:
	s_or_b64 exec, exec, s[12:13]
	s_movk_i32 s11, 0xff
	v_and_b32_sdwa v24, v19, s11 dst_sel:DWORD dst_unused:UNUSED_PAD src0_sel:WORD_1 src1_sel:DWORD
	v_lshrrev_b32_e32 v22, 16, v19
	v_cmp_ne_u16_e32 vcc, 0, v24
	s_and_saveexec_b64 s[12:13], vcc
	s_cbranch_execz .LBB487_440
; %bb.435:
	s_movk_i32 s11, 0x80
	v_cmp_ne_u16_e32 vcc, s11, v24
	v_bfrev_b32_e32 v29, 1
	s_and_saveexec_b64 s[14:15], vcc
	s_cbranch_execz .LBB487_439
; %bb.436:
	v_bfe_u32 v24, v19, 16, 7
	s_movk_i32 s11, 0x7f
	v_cmp_ne_u32_e32 vcc, s11, v24
	v_mov_b32_e32 v29, 0x7f800001
	s_and_saveexec_b64 s[24:25], vcc
	s_cbranch_execz .LBB487_438
; %bb.437:
	v_and_b32_e32 v29, 7, v22
	v_ffbh_u32_e32 v32, v29
	v_min_u32_e32 v34, 32, v32
	v_subrev_u32_e32 v32, 28, v34
	v_lshlrev_b64 v[32:33], v32, v[22:23]
	v_and_b32_e32 v32, 7, v32
	v_cmp_gt_u32_e32 vcc, 8, v24
	v_lshrrev_b32_e32 v31, 3, v24
	v_sub_u32_e32 v22, 29, v34
	v_cndmask_b32_e32 v24, v29, v32, vcc
	v_mov_b32_e32 v29, 24
	v_cndmask_b32_e32 v22, v31, v22, vcc
	v_lshlrev_b32_sdwa v29, v29, v19 dst_sel:DWORD dst_unused:UNUSED_PAD src0_sel:DWORD src1_sel:WORD_1
	v_bfrev_b32_e32 v31, 60
	v_lshlrev_b32_e32 v24, 20, v24
	v_and_b32_e32 v29, 0x80000000, v29
	v_lshl_add_u32 v22, v22, 23, v31
	v_or3_b32 v29, v29, v22, v24
.LBB487_438:
	s_or_b64 exec, exec, s[24:25]
.LBB487_439:
	s_or_b64 exec, exec, s[14:15]
.LBB487_440:
	s_or_b64 exec, exec, s[12:13]
	s_mov_b32 s12, -1
	s_mov_b32 s13, 0xffffff
	v_cmp_lt_u64_e32 vcc, s[12:13], v[18:19]
	v_mov_b32_e32 v24, 0
	v_mov_b32_e32 v22, 0
	s_and_saveexec_b64 s[12:13], vcc
	s_cbranch_execz .LBB487_446
; %bb.441:
	v_lshrrev_b32_e32 v18, 24, v19
	s_movk_i32 s11, 0x80
	v_cmp_ne_u32_e32 vcc, s11, v18
	v_bfrev_b32_e32 v22, 1
	s_and_saveexec_b64 s[14:15], vcc
	s_cbranch_execz .LBB487_445
; %bb.442:
	v_bfe_u32 v19, v19, 24, 7
	s_movk_i32 s11, 0x7f
	v_cmp_ne_u32_e32 vcc, s11, v19
	v_mov_b32_e32 v22, 0x7f800001
	s_and_saveexec_b64 s[24:25], vcc
	s_cbranch_execz .LBB487_444
; %bb.443:
	v_and_b32_e32 v22, 7, v18
	v_ffbh_u32_e32 v32, v22
	v_min_u32_e32 v34, 32, v32
	v_subrev_u32_e32 v32, 28, v34
	v_lshlrev_b64 v[32:33], v32, v[18:19]
	v_lshrrev_b32_e32 v31, 3, v19
	v_sub_u32_e32 v33, 29, v34
	v_and_b32_e32 v32, 7, v32
	v_cmp_gt_u32_e32 vcc, 8, v19
	v_cndmask_b32_e32 v19, v31, v33, vcc
	v_cndmask_b32_e32 v22, v22, v32, vcc
	v_lshlrev_b32_e32 v18, 24, v18
	v_bfrev_b32_e32 v31, 60
	v_lshlrev_b32_e32 v22, 20, v22
	v_and_b32_e32 v18, 0x80000000, v18
	v_lshl_add_u32 v19, v19, 23, v31
	v_or3_b32 v22, v18, v19, v22
.LBB487_444:
	s_or_b64 exec, exec, s[24:25]
.LBB487_445:
	s_or_b64 exec, exec, s[14:15]
.LBB487_446:
	s_or_b64 exec, exec, s[12:13]
	v_cvt_pkrtz_f16_f32 v18, v26, v27
	v_cvt_pkrtz_f16_f32 v19, v25, v28
	;; [unrolled: 1-line block ×4, first 2 shown]
	v_mfma_f32_4x4x4f16 a[0:3], v[2:3], v[18:19], a[0:3] cbsz:4 abid:8
	v_cmp_ne_u16_sdwa s[14:15], v20, v24 src0_sel:BYTE_0 src1_sel:DWORD
	v_mfma_f32_4x4x4f16 a[0:3], v[4:5], v[26:27], a[0:3] cbsz:4 abid:8
	s_and_saveexec_b64 s[12:13], s[14:15]
	s_cbranch_execz .LBB487_452
; %bb.447:
	s_movk_i32 s11, 0x80
	v_cmp_ne_u16_sdwa s[24:25], v20, s11 src0_sel:BYTE_0 src1_sel:DWORD
	v_bfrev_b32_e32 v24, 1
	s_and_saveexec_b64 s[14:15], s[24:25]
	s_cbranch_execz .LBB487_451
; %bb.448:
	s_movk_i32 s11, 0x7f
	v_and_b32_e32 v18, 0x7f, v20
	v_cmp_ne_u32_e32 vcc, s11, v18
	v_mov_b32_e32 v24, 0x7f800001
	s_and_saveexec_b64 s[24:25], vcc
	s_cbranch_execz .LBB487_450
; %bb.449:
	v_and_b32_e32 v19, 7, v20
	v_ffbh_u32_e32 v19, v19
	v_min_u32_e32 v19, 32, v19
	v_subrev_u32_e32 v23, 28, v19
	v_cmp_gt_u32_e32 vcc, 8, v18
	v_lshrrev_b32_e32 v22, 3, v18
	v_sub_u32_e32 v19, 29, v19
	v_cndmask_b32_e32 v18, 0, v23, vcc
	v_cndmask_b32_e32 v22, v22, v19, vcc
	v_lshlrev_b64 v[18:19], v18, v[20:21]
	v_lshlrev_b32_e32 v18, 20, v18
	v_lshlrev_b32_e32 v19, 24, v20
	v_bfrev_b32_e32 v23, 60
	v_and_b32_e32 v18, 0x700000, v18
	v_and_b32_e32 v19, 0x80000000, v19
	v_lshl_add_u32 v22, v22, 23, v23
	v_or3_b32 v24, v19, v22, v18
.LBB487_450:
	s_or_b64 exec, exec, s[24:25]
.LBB487_451:
	s_or_b64 exec, exec, s[14:15]
.LBB487_452:
	s_or_b64 exec, exec, s[12:13]
	v_lshrrev_b16_e32 v18, 8, v20
	v_cmp_ne_u16_e32 vcc, 0, v18
	v_mov_b32_e32 v23, 0
	v_mov_b32_e32 v25, 0
	s_and_saveexec_b64 s[12:13], vcc
	s_cbranch_execz .LBB487_458
; %bb.453:
	s_movk_i32 s11, 0x80
	v_cmp_ne_u16_e32 vcc, s11, v18
	v_bfrev_b32_e32 v25, 1
	s_and_saveexec_b64 s[14:15], vcc
	s_cbranch_execz .LBB487_457
; %bb.454:
	s_movk_i32 s11, 0x7f
	v_and_b32_e32 v19, 0x7f, v18
	v_cmp_ne_u32_e32 vcc, s11, v19
	v_mov_b32_e32 v25, 0x7f800001
	s_and_saveexec_b64 s[24:25], vcc
	s_cbranch_execz .LBB487_456
; %bb.455:
	v_and_b32_e32 v22, 7, v18
	v_ffbh_u32_e32 v26, v22
	v_min_u32_e32 v28, 32, v26
	v_subrev_u32_e32 v26, 28, v28
	v_lshlrev_b64 v[26:27], v26, v[18:19]
	v_lshrrev_b32_e32 v25, 3, v19
	v_sub_u32_e32 v18, 29, v28
	v_and_b32_e32 v26, 7, v26
	v_cmp_gt_u32_e32 vcc, 8, v19
	v_cndmask_b32_e32 v18, v25, v18, vcc
	v_cndmask_b32_e32 v19, v22, v26, vcc
	v_lshlrev_b32_e32 v22, 16, v20
	v_bfrev_b32_e32 v25, 60
	v_lshlrev_b32_e32 v19, 20, v19
	v_and_b32_e32 v22, 0x80000000, v22
	v_lshl_add_u32 v18, v18, 23, v25
	v_or3_b32 v25, v22, v18, v19
.LBB487_456:
	s_or_b64 exec, exec, s[24:25]
.LBB487_457:
	s_or_b64 exec, exec, s[14:15]
.LBB487_458:
	s_or_b64 exec, exec, s[12:13]
	s_movk_i32 s11, 0xff
	v_and_b32_sdwa v19, v20, s11 dst_sel:DWORD dst_unused:UNUSED_PAD src0_sel:WORD_1 src1_sel:DWORD
	v_lshrrev_b32_e32 v18, 16, v20
	v_cmp_ne_u16_e32 vcc, 0, v19
	s_and_saveexec_b64 s[12:13], vcc
	s_cbranch_execz .LBB487_464
; %bb.459:
	s_movk_i32 s11, 0x80
	v_cmp_ne_u16_e32 vcc, s11, v19
	v_bfrev_b32_e32 v23, 1
	s_and_saveexec_b64 s[14:15], vcc
	s_cbranch_execz .LBB487_463
; %bb.460:
	v_bfe_u32 v19, v20, 16, 7
	s_movk_i32 s11, 0x7f
	v_cmp_ne_u32_e32 vcc, s11, v19
	v_mov_b32_e32 v23, 0x7f800001
	s_and_saveexec_b64 s[24:25], vcc
	s_cbranch_execz .LBB487_462
; %bb.461:
	v_and_b32_e32 v26, 7, v18
	v_ffbh_u32_e32 v22, v26
	v_min_u32_e32 v28, 32, v22
	v_subrev_u32_e32 v22, 28, v28
	v_lshlrev_b64 v[22:23], v22, v[18:19]
	v_and_b32_e32 v22, 7, v22
	v_cmp_gt_u32_e32 vcc, 8, v19
	v_lshrrev_b32_e32 v27, 3, v19
	v_sub_u32_e32 v18, 29, v28
	v_cndmask_b32_e32 v19, v26, v22, vcc
	v_mov_b32_e32 v22, 24
	v_cndmask_b32_e32 v18, v27, v18, vcc
	v_lshlrev_b32_sdwa v22, v22, v20 dst_sel:DWORD dst_unused:UNUSED_PAD src0_sel:DWORD src1_sel:WORD_1
	v_bfrev_b32_e32 v23, 60
	v_lshlrev_b32_e32 v19, 20, v19
	v_and_b32_e32 v22, 0x80000000, v22
	v_lshl_add_u32 v18, v18, 23, v23
	v_or3_b32 v23, v22, v18, v19
.LBB487_462:
	s_or_b64 exec, exec, s[24:25]
.LBB487_463:
	s_or_b64 exec, exec, s[14:15]
.LBB487_464:
	s_or_b64 exec, exec, s[12:13]
	s_mov_b32 s11, 0xffffff
	v_cmp_lt_u32_e32 vcc, s11, v20
	v_mov_b32_e32 v19, 0
	v_mov_b32_e32 v26, 0
	s_and_saveexec_b64 s[12:13], vcc
	s_cbranch_execz .LBB487_470
; %bb.465:
	v_lshrrev_b32_e32 v18, 24, v20
	s_movk_i32 s11, 0x80
	v_cmp_ne_u32_e32 vcc, s11, v18
	v_bfrev_b32_e32 v26, 1
	s_and_saveexec_b64 s[14:15], vcc
	s_cbranch_execz .LBB487_469
; %bb.466:
	v_bfe_u32 v22, v20, 24, 7
	s_movk_i32 s11, 0x7f
	v_cmp_ne_u32_e32 vcc, s11, v22
	v_mov_b32_e32 v26, 0x7f800001
	s_and_saveexec_b64 s[24:25], vcc
	s_cbranch_execz .LBB487_468
; %bb.467:
	v_and_b32_e32 v28, 7, v18
	v_ffbh_u32_e32 v26, v28
	v_min_u32_e32 v30, 32, v26
	v_subrev_u32_e32 v26, 28, v30
	v_lshlrev_b64 v[26:27], v26, v[18:19]
	v_lshrrev_b32_e32 v29, 3, v22
	v_sub_u32_e32 v27, 29, v30
	v_and_b32_e32 v26, 7, v26
	v_cmp_gt_u32_e32 vcc, 8, v22
	v_cndmask_b32_e32 v22, v29, v27, vcc
	v_cndmask_b32_e32 v26, v28, v26, vcc
	v_lshlrev_b32_e32 v18, 24, v18
	v_bfrev_b32_e32 v27, 60
	v_lshlrev_b32_e32 v26, 20, v26
	v_and_b32_e32 v18, 0x80000000, v18
	v_lshl_add_u32 v22, v22, 23, v27
	v_or3_b32 v26, v18, v22, v26
.LBB487_468:
	s_or_b64 exec, exec, s[24:25]
.LBB487_469:
	s_or_b64 exec, exec, s[14:15]
.LBB487_470:
	s_or_b64 exec, exec, s[12:13]
	v_mov_b32_e32 v18, v21
	v_cmp_ne_u16_sdwa s[14:15], v21, v19 src0_sel:BYTE_0 src1_sel:DWORD
	s_and_saveexec_b64 s[12:13], s[14:15]
	s_cbranch_execz .LBB487_476
; %bb.471:
	s_movk_i32 s11, 0x80
	v_cmp_ne_u16_sdwa s[24:25], v21, s11 src0_sel:BYTE_0 src1_sel:DWORD
	v_bfrev_b32_e32 v22, 1
	s_and_saveexec_b64 s[14:15], s[24:25]
	s_cbranch_execz .LBB487_475
; %bb.472:
	s_movk_i32 s11, 0x7f
	v_and_b32_e32 v27, 0x7f, v21
	v_cmp_ne_u32_e32 vcc, s11, v27
	v_mov_b32_e32 v22, 0x7f800001
	s_and_saveexec_b64 s[24:25], vcc
	s_cbranch_execz .LBB487_474
; %bb.473:
	v_and_b32_e32 v22, 7, v21
	v_ffbh_u32_e32 v22, v22
	v_min_u32_e32 v22, 32, v22
	v_subrev_u32_e32 v29, 28, v22
	v_cmp_gt_u32_e32 vcc, 8, v27
	v_lshrrev_b32_e32 v28, 3, v27
	v_sub_u32_e32 v22, 29, v22
	v_cndmask_b32_e32 v27, 0, v29, vcc
	v_cndmask_b32_e32 v22, v28, v22, vcc
	v_lshlrev_b64 v[28:29], v27, v[18:19]
	v_lshlrev_b32_e32 v19, 20, v28
	v_lshlrev_b32_e32 v27, 24, v18
	v_bfrev_b32_e32 v28, 60
	v_and_b32_e32 v19, 0x700000, v19
	v_and_b32_e32 v27, 0x80000000, v27
	v_lshl_add_u32 v22, v22, 23, v28
	v_or3_b32 v22, v27, v22, v19
.LBB487_474:
	s_or_b64 exec, exec, s[24:25]
.LBB487_475:
	s_or_b64 exec, exec, s[14:15]
	v_mov_b32_e32 v19, v22
.LBB487_476:
	s_or_b64 exec, exec, s[12:13]
	v_lshrrev_b16_e32 v22, 8, v18
	v_cmp_ne_u16_e32 vcc, 0, v22
	v_mov_b32_e32 v27, 0
	v_mov_b32_e32 v28, 0
	s_and_saveexec_b64 s[12:13], vcc
	s_cbranch_execz .LBB487_482
; %bb.477:
	s_movk_i32 s11, 0x80
	v_cmp_ne_u16_e32 vcc, s11, v22
	v_bfrev_b32_e32 v28, 1
	s_and_saveexec_b64 s[14:15], vcc
	s_cbranch_execz .LBB487_481
; %bb.478:
	s_movk_i32 s11, 0x7f
	v_and_b32_e32 v29, 0x7f, v22
	v_cmp_ne_u32_e32 vcc, s11, v29
	v_mov_b32_e32 v28, 0x7f800001
	s_and_saveexec_b64 s[24:25], vcc
	s_cbranch_execz .LBB487_480
; %bb.479:
	v_and_b32_e32 v28, 7, v22
	v_ffbh_u32_e32 v30, v28
	v_min_u32_e32 v33, 32, v30
	v_subrev_u32_e32 v30, 28, v33
	v_lshlrev_b64 v[30:31], v30, v[22:23]
	v_lshrrev_b32_e32 v32, 3, v29
	v_sub_u32_e32 v22, 29, v33
	v_and_b32_e32 v30, 7, v30
	v_cmp_gt_u32_e32 vcc, 8, v29
	v_cndmask_b32_e32 v22, v32, v22, vcc
	v_cndmask_b32_e32 v28, v28, v30, vcc
	v_lshlrev_b32_e32 v18, 16, v18
	v_bfrev_b32_e32 v29, 60
	v_lshlrev_b32_e32 v28, 20, v28
	v_and_b32_e32 v18, 0x80000000, v18
	v_lshl_add_u32 v22, v22, 23, v29
	v_or3_b32 v28, v18, v22, v28
.LBB487_480:
	s_or_b64 exec, exec, s[24:25]
.LBB487_481:
	s_or_b64 exec, exec, s[14:15]
.LBB487_482:
	s_or_b64 exec, exec, s[12:13]
	s_movk_i32 s11, 0xff
	v_and_b32_sdwa v22, v21, s11 dst_sel:DWORD dst_unused:UNUSED_PAD src0_sel:WORD_1 src1_sel:DWORD
	v_lshrrev_b32_e32 v18, 16, v21
	v_cmp_ne_u16_e32 vcc, 0, v22
	s_and_saveexec_b64 s[12:13], vcc
	s_cbranch_execz .LBB487_488
; %bb.483:
	s_movk_i32 s11, 0x80
	v_cmp_ne_u16_e32 vcc, s11, v22
	v_bfrev_b32_e32 v27, 1
	s_and_saveexec_b64 s[14:15], vcc
	s_cbranch_execz .LBB487_487
; %bb.484:
	v_bfe_u32 v22, v21, 16, 7
	s_movk_i32 s11, 0x7f
	v_cmp_ne_u32_e32 vcc, s11, v22
	v_mov_b32_e32 v27, 0x7f800001
	s_and_saveexec_b64 s[24:25], vcc
	s_cbranch_execz .LBB487_486
; %bb.485:
	v_and_b32_e32 v27, 7, v18
	v_ffbh_u32_e32 v30, v27
	v_min_u32_e32 v32, 32, v30
	v_subrev_u32_e32 v30, 28, v32
	v_lshlrev_b64 v[30:31], v30, v[18:19]
	v_and_b32_e32 v30, 7, v30
	v_cmp_gt_u32_e32 vcc, 8, v22
	v_lshrrev_b32_e32 v29, 3, v22
	v_sub_u32_e32 v18, 29, v32
	v_cndmask_b32_e32 v22, v27, v30, vcc
	v_mov_b32_e32 v27, 24
	v_cndmask_b32_e32 v18, v29, v18, vcc
	v_lshlrev_b32_sdwa v27, v27, v21 dst_sel:DWORD dst_unused:UNUSED_PAD src0_sel:DWORD src1_sel:WORD_1
	v_bfrev_b32_e32 v29, 60
	v_lshlrev_b32_e32 v22, 20, v22
	v_and_b32_e32 v27, 0x80000000, v27
	v_lshl_add_u32 v18, v18, 23, v29
	v_or3_b32 v27, v27, v18, v22
.LBB487_486:
	s_or_b64 exec, exec, s[24:25]
.LBB487_487:
	s_or_b64 exec, exec, s[14:15]
.LBB487_488:
	s_or_b64 exec, exec, s[12:13]
	s_mov_b32 s12, -1
	s_mov_b32 s13, 0xffffff
	v_cmp_lt_u64_e32 vcc, s[12:13], v[20:21]
	v_mov_b32_e32 v22, 0
	v_mov_b32_e32 v20, 0
	s_and_saveexec_b64 s[12:13], vcc
	s_cbranch_execz .LBB487_494
; %bb.489:
	v_lshrrev_b32_e32 v18, 24, v21
	s_movk_i32 s11, 0x80
	v_cmp_ne_u32_e32 vcc, s11, v18
	v_bfrev_b32_e32 v20, 1
	s_and_saveexec_b64 s[14:15], vcc
	s_cbranch_execz .LBB487_493
; %bb.490:
	v_bfe_u32 v21, v21, 24, 7
	s_movk_i32 s11, 0x7f
	v_cmp_ne_u32_e32 vcc, s11, v21
	v_mov_b32_e32 v20, 0x7f800001
	s_and_saveexec_b64 s[24:25], vcc
	s_cbranch_execz .LBB487_492
; %bb.491:
	v_and_b32_e32 v20, 7, v18
	v_ffbh_u32_e32 v30, v20
	v_min_u32_e32 v32, 32, v30
	v_subrev_u32_e32 v30, 28, v32
	v_lshlrev_b64 v[30:31], v30, v[18:19]
	v_lshrrev_b32_e32 v29, 3, v21
	v_sub_u32_e32 v31, 29, v32
	v_and_b32_e32 v30, 7, v30
	v_cmp_gt_u32_e32 vcc, 8, v21
	v_cndmask_b32_e32 v21, v29, v31, vcc
	v_cndmask_b32_e32 v20, v20, v30, vcc
	v_lshlrev_b32_e32 v18, 24, v18
	v_bfrev_b32_e32 v29, 60
	v_lshlrev_b32_e32 v20, 20, v20
	v_and_b32_e32 v18, 0x80000000, v18
	v_lshl_add_u32 v21, v21, 23, v29
	v_or3_b32 v20, v18, v21, v20
.LBB487_492:
	s_or_b64 exec, exec, s[24:25]
.LBB487_493:
	s_or_b64 exec, exec, s[14:15]
.LBB487_494:
	s_or_b64 exec, exec, s[12:13]
	v_cvt_pkrtz_f16_f32 v24, v24, v25
	v_cvt_pkrtz_f16_f32 v25, v23, v26
	;; [unrolled: 1-line block ×4, first 2 shown]
	v_mfma_f32_4x4x4f16 a[0:3], v[2:3], v[24:25], a[0:3] cbsz:4 abid:9
	v_cmp_ne_u16_sdwa s[14:15], v14, v22 src0_sel:BYTE_0 src1_sel:DWORD
	v_mfma_f32_4x4x4f16 a[0:3], v[4:5], v[18:19], a[0:3] cbsz:4 abid:9
	s_and_saveexec_b64 s[12:13], s[14:15]
	s_cbranch_execz .LBB487_500
; %bb.495:
	s_movk_i32 s11, 0x80
	v_cmp_ne_u16_sdwa s[24:25], v14, s11 src0_sel:BYTE_0 src1_sel:DWORD
	v_bfrev_b32_e32 v22, 1
	s_and_saveexec_b64 s[14:15], s[24:25]
	s_cbranch_execz .LBB487_499
; %bb.496:
	s_movk_i32 s11, 0x7f
	v_and_b32_e32 v18, 0x7f, v14
	v_cmp_ne_u32_e32 vcc, s11, v18
	v_mov_b32_e32 v22, 0x7f800001
	s_and_saveexec_b64 s[24:25], vcc
	s_cbranch_execz .LBB487_498
; %bb.497:
	v_and_b32_e32 v19, 7, v14
	v_ffbh_u32_e32 v19, v19
	v_min_u32_e32 v19, 32, v19
	v_subrev_u32_e32 v21, 28, v19
	v_cmp_gt_u32_e32 vcc, 8, v18
	v_lshrrev_b32_e32 v20, 3, v18
	v_sub_u32_e32 v19, 29, v19
	v_cndmask_b32_e32 v18, 0, v21, vcc
	v_cndmask_b32_e32 v20, v20, v19, vcc
	v_lshlrev_b64 v[18:19], v18, v[14:15]
	v_lshlrev_b32_e32 v18, 20, v18
	v_lshlrev_b32_e32 v19, 24, v14
	v_bfrev_b32_e32 v21, 60
	v_and_b32_e32 v18, 0x700000, v18
	v_and_b32_e32 v19, 0x80000000, v19
	v_lshl_add_u32 v20, v20, 23, v21
	v_or3_b32 v22, v19, v20, v18
.LBB487_498:
	s_or_b64 exec, exec, s[24:25]
.LBB487_499:
	s_or_b64 exec, exec, s[14:15]
.LBB487_500:
	s_or_b64 exec, exec, s[12:13]
	v_lshrrev_b16_e32 v18, 8, v14
	v_cmp_ne_u16_e32 vcc, 0, v18
	v_mov_b32_e32 v21, 0
	v_mov_b32_e32 v23, 0
	s_and_saveexec_b64 s[12:13], vcc
	s_cbranch_execz .LBB487_506
; %bb.501:
	s_movk_i32 s11, 0x80
	v_cmp_ne_u16_e32 vcc, s11, v18
	v_bfrev_b32_e32 v23, 1
	s_and_saveexec_b64 s[14:15], vcc
	s_cbranch_execz .LBB487_505
; %bb.502:
	s_movk_i32 s11, 0x7f
	v_and_b32_e32 v19, 0x7f, v18
	v_cmp_ne_u32_e32 vcc, s11, v19
	v_mov_b32_e32 v23, 0x7f800001
	s_and_saveexec_b64 s[24:25], vcc
	s_cbranch_execz .LBB487_504
; %bb.503:
	v_and_b32_e32 v20, 7, v18
	v_ffbh_u32_e32 v24, v20
	v_min_u32_e32 v26, 32, v24
	v_subrev_u32_e32 v24, 28, v26
	v_lshlrev_b64 v[24:25], v24, v[18:19]
	v_lshrrev_b32_e32 v23, 3, v19
	v_sub_u32_e32 v18, 29, v26
	v_and_b32_e32 v24, 7, v24
	v_cmp_gt_u32_e32 vcc, 8, v19
	v_cndmask_b32_e32 v18, v23, v18, vcc
	v_cndmask_b32_e32 v19, v20, v24, vcc
	v_lshlrev_b32_e32 v20, 16, v14
	v_bfrev_b32_e32 v23, 60
	v_lshlrev_b32_e32 v19, 20, v19
	v_and_b32_e32 v20, 0x80000000, v20
	v_lshl_add_u32 v18, v18, 23, v23
	v_or3_b32 v23, v20, v18, v19
.LBB487_504:
	s_or_b64 exec, exec, s[24:25]
.LBB487_505:
	s_or_b64 exec, exec, s[14:15]
.LBB487_506:
	s_or_b64 exec, exec, s[12:13]
	s_movk_i32 s11, 0xff
	v_and_b32_sdwa v19, v14, s11 dst_sel:DWORD dst_unused:UNUSED_PAD src0_sel:WORD_1 src1_sel:DWORD
	v_lshrrev_b32_e32 v18, 16, v14
	v_cmp_ne_u16_e32 vcc, 0, v19
	s_and_saveexec_b64 s[12:13], vcc
	s_cbranch_execz .LBB487_512
; %bb.507:
	s_movk_i32 s11, 0x80
	v_cmp_ne_u16_e32 vcc, s11, v19
	v_bfrev_b32_e32 v21, 1
	s_and_saveexec_b64 s[14:15], vcc
	s_cbranch_execz .LBB487_511
; %bb.508:
	v_bfe_u32 v19, v14, 16, 7
	s_movk_i32 s11, 0x7f
	v_cmp_ne_u32_e32 vcc, s11, v19
	v_mov_b32_e32 v21, 0x7f800001
	s_and_saveexec_b64 s[24:25], vcc
	s_cbranch_execz .LBB487_510
; %bb.509:
	v_and_b32_e32 v24, 7, v18
	v_ffbh_u32_e32 v20, v24
	v_min_u32_e32 v26, 32, v20
	v_subrev_u32_e32 v20, 28, v26
	v_lshlrev_b64 v[20:21], v20, v[18:19]
	v_and_b32_e32 v20, 7, v20
	v_cmp_gt_u32_e32 vcc, 8, v19
	v_lshrrev_b32_e32 v25, 3, v19
	v_sub_u32_e32 v18, 29, v26
	v_cndmask_b32_e32 v19, v24, v20, vcc
	v_mov_b32_e32 v20, 24
	v_cndmask_b32_e32 v18, v25, v18, vcc
	v_lshlrev_b32_sdwa v20, v20, v14 dst_sel:DWORD dst_unused:UNUSED_PAD src0_sel:DWORD src1_sel:WORD_1
	v_bfrev_b32_e32 v21, 60
	v_lshlrev_b32_e32 v19, 20, v19
	v_and_b32_e32 v20, 0x80000000, v20
	v_lshl_add_u32 v18, v18, 23, v21
	v_or3_b32 v21, v20, v18, v19
.LBB487_510:
	s_or_b64 exec, exec, s[24:25]
.LBB487_511:
	s_or_b64 exec, exec, s[14:15]
.LBB487_512:
	s_or_b64 exec, exec, s[12:13]
	s_mov_b32 s11, 0xffffff
	v_cmp_lt_u32_e32 vcc, s11, v14
	v_mov_b32_e32 v19, 0
	v_mov_b32_e32 v24, 0
	s_and_saveexec_b64 s[12:13], vcc
	s_cbranch_execz .LBB487_518
; %bb.513:
	v_lshrrev_b32_e32 v18, 24, v14
	s_movk_i32 s11, 0x80
	v_cmp_ne_u32_e32 vcc, s11, v18
	v_bfrev_b32_e32 v24, 1
	s_and_saveexec_b64 s[14:15], vcc
	s_cbranch_execz .LBB487_517
; %bb.514:
	v_bfe_u32 v20, v14, 24, 7
	s_movk_i32 s11, 0x7f
	v_cmp_ne_u32_e32 vcc, s11, v20
	v_mov_b32_e32 v24, 0x7f800001
	s_and_saveexec_b64 s[24:25], vcc
	s_cbranch_execz .LBB487_516
; %bb.515:
	v_and_b32_e32 v26, 7, v18
	v_ffbh_u32_e32 v24, v26
	v_min_u32_e32 v28, 32, v24
	v_subrev_u32_e32 v24, 28, v28
	v_lshlrev_b64 v[24:25], v24, v[18:19]
	v_lshrrev_b32_e32 v27, 3, v20
	v_sub_u32_e32 v25, 29, v28
	v_and_b32_e32 v24, 7, v24
	v_cmp_gt_u32_e32 vcc, 8, v20
	v_cndmask_b32_e32 v20, v27, v25, vcc
	v_cndmask_b32_e32 v24, v26, v24, vcc
	v_lshlrev_b32_e32 v18, 24, v18
	v_bfrev_b32_e32 v25, 60
	v_lshlrev_b32_e32 v24, 20, v24
	v_and_b32_e32 v18, 0x80000000, v18
	v_lshl_add_u32 v20, v20, 23, v25
	v_or3_b32 v24, v18, v20, v24
.LBB487_516:
	s_or_b64 exec, exec, s[24:25]
.LBB487_517:
	s_or_b64 exec, exec, s[14:15]
.LBB487_518:
	s_or_b64 exec, exec, s[12:13]
	v_mov_b32_e32 v18, v15
	v_cmp_ne_u16_sdwa s[14:15], v15, v19 src0_sel:BYTE_0 src1_sel:DWORD
	s_and_saveexec_b64 s[12:13], s[14:15]
	s_cbranch_execz .LBB487_524
; %bb.519:
	s_movk_i32 s11, 0x80
	v_cmp_ne_u16_sdwa s[24:25], v15, s11 src0_sel:BYTE_0 src1_sel:DWORD
	v_bfrev_b32_e32 v20, 1
	s_and_saveexec_b64 s[14:15], s[24:25]
	s_cbranch_execz .LBB487_523
; %bb.520:
	s_movk_i32 s11, 0x7f
	v_and_b32_e32 v25, 0x7f, v15
	v_cmp_ne_u32_e32 vcc, s11, v25
	v_mov_b32_e32 v20, 0x7f800001
	s_and_saveexec_b64 s[24:25], vcc
	s_cbranch_execz .LBB487_522
; %bb.521:
	v_and_b32_e32 v20, 7, v15
	v_ffbh_u32_e32 v20, v20
	v_min_u32_e32 v20, 32, v20
	v_subrev_u32_e32 v27, 28, v20
	v_cmp_gt_u32_e32 vcc, 8, v25
	v_lshrrev_b32_e32 v26, 3, v25
	v_sub_u32_e32 v20, 29, v20
	v_cndmask_b32_e32 v25, 0, v27, vcc
	v_cndmask_b32_e32 v20, v26, v20, vcc
	v_lshlrev_b64 v[26:27], v25, v[18:19]
	v_lshlrev_b32_e32 v19, 20, v26
	v_lshlrev_b32_e32 v25, 24, v18
	v_bfrev_b32_e32 v26, 60
	v_and_b32_e32 v19, 0x700000, v19
	v_and_b32_e32 v25, 0x80000000, v25
	v_lshl_add_u32 v20, v20, 23, v26
	v_or3_b32 v20, v25, v20, v19
.LBB487_522:
	s_or_b64 exec, exec, s[24:25]
.LBB487_523:
	s_or_b64 exec, exec, s[14:15]
	v_mov_b32_e32 v19, v20
.LBB487_524:
	s_or_b64 exec, exec, s[12:13]
	v_lshrrev_b16_e32 v20, 8, v18
	v_cmp_ne_u16_e32 vcc, 0, v20
	v_mov_b32_e32 v25, 0
	v_mov_b32_e32 v26, 0
	s_and_saveexec_b64 s[12:13], vcc
	s_cbranch_execz .LBB487_530
; %bb.525:
	s_movk_i32 s11, 0x80
	v_cmp_ne_u16_e32 vcc, s11, v20
	v_bfrev_b32_e32 v26, 1
	s_and_saveexec_b64 s[14:15], vcc
	s_cbranch_execz .LBB487_529
; %bb.526:
	s_movk_i32 s11, 0x7f
	v_and_b32_e32 v27, 0x7f, v20
	v_cmp_ne_u32_e32 vcc, s11, v27
	v_mov_b32_e32 v26, 0x7f800001
	s_and_saveexec_b64 s[24:25], vcc
	s_cbranch_execz .LBB487_528
; %bb.527:
	v_and_b32_e32 v26, 7, v20
	v_ffbh_u32_e32 v28, v26
	v_min_u32_e32 v31, 32, v28
	v_subrev_u32_e32 v28, 28, v31
	v_lshlrev_b64 v[28:29], v28, v[20:21]
	v_lshrrev_b32_e32 v30, 3, v27
	v_sub_u32_e32 v20, 29, v31
	v_and_b32_e32 v28, 7, v28
	v_cmp_gt_u32_e32 vcc, 8, v27
	v_cndmask_b32_e32 v20, v30, v20, vcc
	v_cndmask_b32_e32 v26, v26, v28, vcc
	v_lshlrev_b32_e32 v18, 16, v18
	v_bfrev_b32_e32 v27, 60
	v_lshlrev_b32_e32 v26, 20, v26
	v_and_b32_e32 v18, 0x80000000, v18
	v_lshl_add_u32 v20, v20, 23, v27
	v_or3_b32 v26, v18, v20, v26
.LBB487_528:
	s_or_b64 exec, exec, s[24:25]
.LBB487_529:
	s_or_b64 exec, exec, s[14:15]
.LBB487_530:
	s_or_b64 exec, exec, s[12:13]
	s_movk_i32 s11, 0xff
	v_and_b32_sdwa v20, v15, s11 dst_sel:DWORD dst_unused:UNUSED_PAD src0_sel:WORD_1 src1_sel:DWORD
	v_lshrrev_b32_e32 v18, 16, v15
	v_cmp_ne_u16_e32 vcc, 0, v20
	s_and_saveexec_b64 s[12:13], vcc
	s_cbranch_execz .LBB487_536
; %bb.531:
	s_movk_i32 s11, 0x80
	v_cmp_ne_u16_e32 vcc, s11, v20
	v_bfrev_b32_e32 v25, 1
	s_and_saveexec_b64 s[14:15], vcc
	s_cbranch_execz .LBB487_535
; %bb.532:
	v_bfe_u32 v20, v15, 16, 7
	s_movk_i32 s11, 0x7f
	v_cmp_ne_u32_e32 vcc, s11, v20
	v_mov_b32_e32 v25, 0x7f800001
	s_and_saveexec_b64 s[24:25], vcc
	s_cbranch_execz .LBB487_534
; %bb.533:
	v_and_b32_e32 v25, 7, v18
	v_ffbh_u32_e32 v28, v25
	v_min_u32_e32 v30, 32, v28
	v_subrev_u32_e32 v28, 28, v30
	v_lshlrev_b64 v[28:29], v28, v[18:19]
	v_and_b32_e32 v28, 7, v28
	v_cmp_gt_u32_e32 vcc, 8, v20
	v_lshrrev_b32_e32 v27, 3, v20
	v_sub_u32_e32 v18, 29, v30
	v_cndmask_b32_e32 v20, v25, v28, vcc
	v_mov_b32_e32 v25, 24
	v_cndmask_b32_e32 v18, v27, v18, vcc
	v_lshlrev_b32_sdwa v25, v25, v15 dst_sel:DWORD dst_unused:UNUSED_PAD src0_sel:DWORD src1_sel:WORD_1
	v_bfrev_b32_e32 v27, 60
	v_lshlrev_b32_e32 v20, 20, v20
	v_and_b32_e32 v25, 0x80000000, v25
	v_lshl_add_u32 v18, v18, 23, v27
	v_or3_b32 v25, v25, v18, v20
.LBB487_534:
	s_or_b64 exec, exec, s[24:25]
.LBB487_535:
	s_or_b64 exec, exec, s[14:15]
.LBB487_536:
	s_or_b64 exec, exec, s[12:13]
	s_mov_b32 s12, -1
	s_mov_b32 s13, 0xffffff
	v_cmp_lt_u64_e32 vcc, s[12:13], v[14:15]
	v_mov_b32_e32 v20, 0
	v_mov_b32_e32 v18, 0
	s_and_saveexec_b64 s[12:13], vcc
	s_cbranch_execz .LBB487_542
; %bb.537:
	v_lshrrev_b32_e32 v14, 24, v15
	s_movk_i32 s11, 0x80
	v_cmp_ne_u32_e32 vcc, s11, v14
	v_bfrev_b32_e32 v18, 1
	s_and_saveexec_b64 s[14:15], vcc
	s_cbranch_execz .LBB487_541
; %bb.538:
	v_bfe_u32 v15, v15, 24, 7
	s_movk_i32 s11, 0x7f
	v_cmp_ne_u32_e32 vcc, s11, v15
	v_mov_b32_e32 v18, 0x7f800001
	s_and_saveexec_b64 s[24:25], vcc
	s_cbranch_execz .LBB487_540
; %bb.539:
	v_and_b32_e32 v18, 7, v14
	v_ffbh_u32_e32 v28, v18
	v_min_u32_e32 v30, 32, v28
	v_subrev_u32_e32 v28, 28, v30
	v_lshlrev_b64 v[28:29], v28, v[14:15]
	v_lshrrev_b32_e32 v27, 3, v15
	v_sub_u32_e32 v29, 29, v30
	v_and_b32_e32 v28, 7, v28
	v_cmp_gt_u32_e32 vcc, 8, v15
	v_cndmask_b32_e32 v15, v27, v29, vcc
	v_cndmask_b32_e32 v18, v18, v28, vcc
	v_lshlrev_b32_e32 v14, 24, v14
	v_bfrev_b32_e32 v27, 60
	v_lshlrev_b32_e32 v18, 20, v18
	v_and_b32_e32 v14, 0x80000000, v14
	v_lshl_add_u32 v15, v15, 23, v27
	v_or3_b32 v18, v14, v15, v18
.LBB487_540:
	s_or_b64 exec, exec, s[24:25]
.LBB487_541:
	s_or_b64 exec, exec, s[14:15]
.LBB487_542:
	s_or_b64 exec, exec, s[12:13]
	v_cvt_pkrtz_f16_f32 v14, v22, v23
	v_cvt_pkrtz_f16_f32 v15, v21, v24
	;; [unrolled: 1-line block ×4, first 2 shown]
	v_mfma_f32_4x4x4f16 a[0:3], v[2:3], v[14:15], a[0:3] cbsz:4 abid:10
	v_cmp_ne_u16_sdwa s[14:15], v16, v20 src0_sel:BYTE_0 src1_sel:DWORD
	v_mfma_f32_4x4x4f16 a[0:3], v[4:5], v[22:23], a[0:3] cbsz:4 abid:10
	s_and_saveexec_b64 s[12:13], s[14:15]
	s_cbranch_execz .LBB487_548
; %bb.543:
	s_movk_i32 s11, 0x80
	v_cmp_ne_u16_sdwa s[24:25], v16, s11 src0_sel:BYTE_0 src1_sel:DWORD
	v_bfrev_b32_e32 v20, 1
	s_and_saveexec_b64 s[14:15], s[24:25]
	s_cbranch_execz .LBB487_547
; %bb.544:
	s_movk_i32 s11, 0x7f
	v_and_b32_e32 v14, 0x7f, v16
	v_cmp_ne_u32_e32 vcc, s11, v14
	v_mov_b32_e32 v20, 0x7f800001
	s_and_saveexec_b64 s[24:25], vcc
	s_cbranch_execz .LBB487_546
; %bb.545:
	v_and_b32_e32 v15, 7, v16
	v_ffbh_u32_e32 v15, v15
	v_min_u32_e32 v15, 32, v15
	v_subrev_u32_e32 v19, 28, v15
	v_cmp_gt_u32_e32 vcc, 8, v14
	v_lshrrev_b32_e32 v18, 3, v14
	v_sub_u32_e32 v15, 29, v15
	v_cndmask_b32_e32 v14, 0, v19, vcc
	v_cndmask_b32_e32 v18, v18, v15, vcc
	v_lshlrev_b64 v[14:15], v14, v[16:17]
	v_lshlrev_b32_e32 v14, 20, v14
	v_lshlrev_b32_e32 v15, 24, v16
	v_bfrev_b32_e32 v19, 60
	v_and_b32_e32 v14, 0x700000, v14
	v_and_b32_e32 v15, 0x80000000, v15
	v_lshl_add_u32 v18, v18, 23, v19
	v_or3_b32 v20, v15, v18, v14
.LBB487_546:
	s_or_b64 exec, exec, s[24:25]
.LBB487_547:
	s_or_b64 exec, exec, s[14:15]
.LBB487_548:
	s_or_b64 exec, exec, s[12:13]
	v_lshrrev_b16_e32 v14, 8, v16
	v_cmp_ne_u16_e32 vcc, 0, v14
	v_mov_b32_e32 v19, 0
	v_mov_b32_e32 v21, 0
	s_and_saveexec_b64 s[12:13], vcc
	s_cbranch_execz .LBB487_554
; %bb.549:
	s_movk_i32 s11, 0x80
	v_cmp_ne_u16_e32 vcc, s11, v14
	v_bfrev_b32_e32 v21, 1
	s_and_saveexec_b64 s[14:15], vcc
	s_cbranch_execz .LBB487_553
; %bb.550:
	s_movk_i32 s11, 0x7f
	v_and_b32_e32 v15, 0x7f, v14
	v_cmp_ne_u32_e32 vcc, s11, v15
	v_mov_b32_e32 v21, 0x7f800001
	s_and_saveexec_b64 s[24:25], vcc
	s_cbranch_execz .LBB487_552
; %bb.551:
	v_and_b32_e32 v18, 7, v14
	v_ffbh_u32_e32 v22, v18
	v_min_u32_e32 v24, 32, v22
	v_subrev_u32_e32 v22, 28, v24
	v_lshlrev_b64 v[22:23], v22, v[14:15]
	v_lshrrev_b32_e32 v21, 3, v15
	v_sub_u32_e32 v14, 29, v24
	v_and_b32_e32 v22, 7, v22
	v_cmp_gt_u32_e32 vcc, 8, v15
	v_cndmask_b32_e32 v14, v21, v14, vcc
	v_cndmask_b32_e32 v15, v18, v22, vcc
	v_lshlrev_b32_e32 v18, 16, v16
	v_bfrev_b32_e32 v21, 60
	v_lshlrev_b32_e32 v15, 20, v15
	v_and_b32_e32 v18, 0x80000000, v18
	v_lshl_add_u32 v14, v14, 23, v21
	v_or3_b32 v21, v18, v14, v15
.LBB487_552:
	s_or_b64 exec, exec, s[24:25]
.LBB487_553:
	s_or_b64 exec, exec, s[14:15]
.LBB487_554:
	s_or_b64 exec, exec, s[12:13]
	s_movk_i32 s11, 0xff
	v_and_b32_sdwa v15, v16, s11 dst_sel:DWORD dst_unused:UNUSED_PAD src0_sel:WORD_1 src1_sel:DWORD
	v_lshrrev_b32_e32 v14, 16, v16
	v_cmp_ne_u16_e32 vcc, 0, v15
	s_and_saveexec_b64 s[12:13], vcc
	s_cbranch_execz .LBB487_560
; %bb.555:
	s_movk_i32 s11, 0x80
	v_cmp_ne_u16_e32 vcc, s11, v15
	v_bfrev_b32_e32 v19, 1
	s_and_saveexec_b64 s[14:15], vcc
	s_cbranch_execz .LBB487_559
; %bb.556:
	v_bfe_u32 v15, v16, 16, 7
	s_movk_i32 s11, 0x7f
	v_cmp_ne_u32_e32 vcc, s11, v15
	v_mov_b32_e32 v19, 0x7f800001
	s_and_saveexec_b64 s[24:25], vcc
	s_cbranch_execz .LBB487_558
; %bb.557:
	v_and_b32_e32 v22, 7, v14
	v_ffbh_u32_e32 v18, v22
	v_min_u32_e32 v24, 32, v18
	v_subrev_u32_e32 v18, 28, v24
	v_lshlrev_b64 v[18:19], v18, v[14:15]
	v_and_b32_e32 v18, 7, v18
	v_cmp_gt_u32_e32 vcc, 8, v15
	v_lshrrev_b32_e32 v23, 3, v15
	v_sub_u32_e32 v14, 29, v24
	v_cndmask_b32_e32 v15, v22, v18, vcc
	v_mov_b32_e32 v18, 24
	v_cndmask_b32_e32 v14, v23, v14, vcc
	v_lshlrev_b32_sdwa v18, v18, v16 dst_sel:DWORD dst_unused:UNUSED_PAD src0_sel:DWORD src1_sel:WORD_1
	v_bfrev_b32_e32 v19, 60
	v_lshlrev_b32_e32 v15, 20, v15
	v_and_b32_e32 v18, 0x80000000, v18
	v_lshl_add_u32 v14, v14, 23, v19
	v_or3_b32 v19, v18, v14, v15
.LBB487_558:
	s_or_b64 exec, exec, s[24:25]
.LBB487_559:
	s_or_b64 exec, exec, s[14:15]
.LBB487_560:
	s_or_b64 exec, exec, s[12:13]
	s_mov_b32 s11, 0xffffff
	v_cmp_lt_u32_e32 vcc, s11, v16
	v_mov_b32_e32 v15, 0
	v_mov_b32_e32 v22, 0
	s_and_saveexec_b64 s[12:13], vcc
	s_cbranch_execz .LBB487_566
; %bb.561:
	v_lshrrev_b32_e32 v14, 24, v16
	s_movk_i32 s11, 0x80
	v_cmp_ne_u32_e32 vcc, s11, v14
	v_bfrev_b32_e32 v22, 1
	s_and_saveexec_b64 s[14:15], vcc
	s_cbranch_execz .LBB487_565
; %bb.562:
	v_bfe_u32 v18, v16, 24, 7
	s_movk_i32 s11, 0x7f
	v_cmp_ne_u32_e32 vcc, s11, v18
	v_mov_b32_e32 v22, 0x7f800001
	s_and_saveexec_b64 s[24:25], vcc
	s_cbranch_execz .LBB487_564
; %bb.563:
	v_and_b32_e32 v24, 7, v14
	v_ffbh_u32_e32 v22, v24
	v_min_u32_e32 v26, 32, v22
	v_subrev_u32_e32 v22, 28, v26
	v_lshlrev_b64 v[22:23], v22, v[14:15]
	v_lshrrev_b32_e32 v25, 3, v18
	v_sub_u32_e32 v23, 29, v26
	v_and_b32_e32 v22, 7, v22
	v_cmp_gt_u32_e32 vcc, 8, v18
	v_cndmask_b32_e32 v18, v25, v23, vcc
	v_cndmask_b32_e32 v22, v24, v22, vcc
	v_lshlrev_b32_e32 v14, 24, v14
	v_bfrev_b32_e32 v23, 60
	v_lshlrev_b32_e32 v22, 20, v22
	v_and_b32_e32 v14, 0x80000000, v14
	v_lshl_add_u32 v18, v18, 23, v23
	v_or3_b32 v22, v14, v18, v22
.LBB487_564:
	s_or_b64 exec, exec, s[24:25]
.LBB487_565:
	s_or_b64 exec, exec, s[14:15]
.LBB487_566:
	s_or_b64 exec, exec, s[12:13]
	v_mov_b32_e32 v14, v17
	v_cmp_ne_u16_sdwa s[14:15], v17, v15 src0_sel:BYTE_0 src1_sel:DWORD
	s_and_saveexec_b64 s[12:13], s[14:15]
	s_cbranch_execz .LBB487_572
; %bb.567:
	s_movk_i32 s11, 0x80
	v_cmp_ne_u16_sdwa s[24:25], v17, s11 src0_sel:BYTE_0 src1_sel:DWORD
	v_bfrev_b32_e32 v18, 1
	s_and_saveexec_b64 s[14:15], s[24:25]
	s_cbranch_execz .LBB487_571
; %bb.568:
	s_movk_i32 s11, 0x7f
	v_and_b32_e32 v23, 0x7f, v17
	v_cmp_ne_u32_e32 vcc, s11, v23
	v_mov_b32_e32 v18, 0x7f800001
	s_and_saveexec_b64 s[24:25], vcc
	s_cbranch_execz .LBB487_570
; %bb.569:
	v_and_b32_e32 v18, 7, v17
	v_ffbh_u32_e32 v18, v18
	v_min_u32_e32 v18, 32, v18
	v_subrev_u32_e32 v25, 28, v18
	v_cmp_gt_u32_e32 vcc, 8, v23
	v_lshrrev_b32_e32 v24, 3, v23
	v_sub_u32_e32 v18, 29, v18
	v_cndmask_b32_e32 v23, 0, v25, vcc
	v_cndmask_b32_e32 v18, v24, v18, vcc
	v_lshlrev_b64 v[24:25], v23, v[14:15]
	v_lshlrev_b32_e32 v15, 20, v24
	v_lshlrev_b32_e32 v23, 24, v14
	v_bfrev_b32_e32 v24, 60
	v_and_b32_e32 v15, 0x700000, v15
	v_and_b32_e32 v23, 0x80000000, v23
	v_lshl_add_u32 v18, v18, 23, v24
	v_or3_b32 v18, v23, v18, v15
.LBB487_570:
	s_or_b64 exec, exec, s[24:25]
.LBB487_571:
	s_or_b64 exec, exec, s[14:15]
	v_mov_b32_e32 v15, v18
.LBB487_572:
	s_or_b64 exec, exec, s[12:13]
	v_lshrrev_b16_e32 v18, 8, v14
	v_cmp_ne_u16_e32 vcc, 0, v18
	v_mov_b32_e32 v23, 0
	v_mov_b32_e32 v24, 0
	s_and_saveexec_b64 s[12:13], vcc
	s_cbranch_execz .LBB487_578
; %bb.573:
	s_movk_i32 s11, 0x80
	v_cmp_ne_u16_e32 vcc, s11, v18
	v_bfrev_b32_e32 v24, 1
	s_and_saveexec_b64 s[14:15], vcc
	s_cbranch_execz .LBB487_577
; %bb.574:
	s_movk_i32 s11, 0x7f
	v_and_b32_e32 v25, 0x7f, v18
	v_cmp_ne_u32_e32 vcc, s11, v25
	v_mov_b32_e32 v24, 0x7f800001
	s_and_saveexec_b64 s[24:25], vcc
	s_cbranch_execz .LBB487_576
; %bb.575:
	v_and_b32_e32 v24, 7, v18
	v_ffbh_u32_e32 v26, v24
	v_min_u32_e32 v29, 32, v26
	v_subrev_u32_e32 v26, 28, v29
	v_lshlrev_b64 v[26:27], v26, v[18:19]
	v_lshrrev_b32_e32 v28, 3, v25
	v_sub_u32_e32 v18, 29, v29
	v_and_b32_e32 v26, 7, v26
	v_cmp_gt_u32_e32 vcc, 8, v25
	v_cndmask_b32_e32 v18, v28, v18, vcc
	v_cndmask_b32_e32 v24, v24, v26, vcc
	v_lshlrev_b32_e32 v14, 16, v14
	v_bfrev_b32_e32 v25, 60
	v_lshlrev_b32_e32 v24, 20, v24
	v_and_b32_e32 v14, 0x80000000, v14
	v_lshl_add_u32 v18, v18, 23, v25
	v_or3_b32 v24, v14, v18, v24
.LBB487_576:
	s_or_b64 exec, exec, s[24:25]
.LBB487_577:
	s_or_b64 exec, exec, s[14:15]
.LBB487_578:
	s_or_b64 exec, exec, s[12:13]
	s_movk_i32 s11, 0xff
	v_and_b32_sdwa v18, v17, s11 dst_sel:DWORD dst_unused:UNUSED_PAD src0_sel:WORD_1 src1_sel:DWORD
	v_lshrrev_b32_e32 v14, 16, v17
	v_cmp_ne_u16_e32 vcc, 0, v18
	s_and_saveexec_b64 s[12:13], vcc
	s_cbranch_execz .LBB487_584
; %bb.579:
	s_movk_i32 s11, 0x80
	v_cmp_ne_u16_e32 vcc, s11, v18
	v_bfrev_b32_e32 v23, 1
	s_and_saveexec_b64 s[14:15], vcc
	s_cbranch_execz .LBB487_583
; %bb.580:
	v_bfe_u32 v18, v17, 16, 7
	s_movk_i32 s11, 0x7f
	v_cmp_ne_u32_e32 vcc, s11, v18
	v_mov_b32_e32 v23, 0x7f800001
	s_and_saveexec_b64 s[24:25], vcc
	s_cbranch_execz .LBB487_582
; %bb.581:
	v_and_b32_e32 v23, 7, v14
	v_ffbh_u32_e32 v26, v23
	v_min_u32_e32 v28, 32, v26
	v_subrev_u32_e32 v26, 28, v28
	v_lshlrev_b64 v[26:27], v26, v[14:15]
	v_and_b32_e32 v26, 7, v26
	v_cmp_gt_u32_e32 vcc, 8, v18
	v_lshrrev_b32_e32 v25, 3, v18
	v_sub_u32_e32 v14, 29, v28
	v_cndmask_b32_e32 v18, v23, v26, vcc
	v_mov_b32_e32 v23, 24
	v_cndmask_b32_e32 v14, v25, v14, vcc
	v_lshlrev_b32_sdwa v23, v23, v17 dst_sel:DWORD dst_unused:UNUSED_PAD src0_sel:DWORD src1_sel:WORD_1
	v_bfrev_b32_e32 v25, 60
	v_lshlrev_b32_e32 v18, 20, v18
	v_and_b32_e32 v23, 0x80000000, v23
	v_lshl_add_u32 v14, v14, 23, v25
	v_or3_b32 v23, v23, v14, v18
.LBB487_582:
	s_or_b64 exec, exec, s[24:25]
.LBB487_583:
	s_or_b64 exec, exec, s[14:15]
.LBB487_584:
	s_or_b64 exec, exec, s[12:13]
	s_mov_b32 s12, -1
	s_mov_b32 s13, 0xffffff
	v_cmp_lt_u64_e32 vcc, s[12:13], v[16:17]
	v_mov_b32_e32 v18, 0
	v_mov_b32_e32 v16, 0
	s_and_saveexec_b64 s[12:13], vcc
	s_cbranch_execz .LBB487_590
; %bb.585:
	v_lshrrev_b32_e32 v14, 24, v17
	s_movk_i32 s11, 0x80
	v_cmp_ne_u32_e32 vcc, s11, v14
	v_bfrev_b32_e32 v16, 1
	s_and_saveexec_b64 s[14:15], vcc
	s_cbranch_execz .LBB487_589
; %bb.586:
	v_bfe_u32 v17, v17, 24, 7
	s_movk_i32 s11, 0x7f
	v_cmp_ne_u32_e32 vcc, s11, v17
	v_mov_b32_e32 v16, 0x7f800001
	s_and_saveexec_b64 s[24:25], vcc
	s_cbranch_execz .LBB487_588
; %bb.587:
	v_and_b32_e32 v16, 7, v14
	v_ffbh_u32_e32 v26, v16
	v_min_u32_e32 v28, 32, v26
	v_subrev_u32_e32 v26, 28, v28
	v_lshlrev_b64 v[26:27], v26, v[14:15]
	v_lshrrev_b32_e32 v25, 3, v17
	v_sub_u32_e32 v27, 29, v28
	v_and_b32_e32 v26, 7, v26
	v_cmp_gt_u32_e32 vcc, 8, v17
	v_cndmask_b32_e32 v17, v25, v27, vcc
	v_cndmask_b32_e32 v16, v16, v26, vcc
	v_lshlrev_b32_e32 v14, 24, v14
	v_bfrev_b32_e32 v25, 60
	v_lshlrev_b32_e32 v16, 20, v16
	v_and_b32_e32 v14, 0x80000000, v14
	v_lshl_add_u32 v17, v17, 23, v25
	v_or3_b32 v16, v14, v17, v16
.LBB487_588:
	s_or_b64 exec, exec, s[24:25]
.LBB487_589:
	s_or_b64 exec, exec, s[14:15]
.LBB487_590:
	s_or_b64 exec, exec, s[12:13]
	v_cvt_pkrtz_f16_f32 v20, v20, v21
	v_cvt_pkrtz_f16_f32 v21, v19, v22
	;; [unrolled: 1-line block ×4, first 2 shown]
	v_mfma_f32_4x4x4f16 a[0:3], v[2:3], v[20:21], a[0:3] cbsz:4 abid:11
	s_waitcnt vmcnt(17)
	v_cmp_ne_u16_sdwa s[14:15], v10, v18 src0_sel:BYTE_0 src1_sel:DWORD
	v_mfma_f32_4x4x4f16 a[0:3], v[4:5], v[14:15], a[0:3] cbsz:4 abid:11
	s_and_saveexec_b64 s[12:13], s[14:15]
	s_cbranch_execz .LBB487_596
; %bb.591:
	s_movk_i32 s11, 0x80
	v_cmp_ne_u16_sdwa s[24:25], v10, s11 src0_sel:BYTE_0 src1_sel:DWORD
	v_bfrev_b32_e32 v18, 1
	s_and_saveexec_b64 s[14:15], s[24:25]
	s_cbranch_execz .LBB487_595
; %bb.592:
	s_movk_i32 s11, 0x7f
	v_and_b32_e32 v14, 0x7f, v10
	v_cmp_ne_u32_e32 vcc, s11, v14
	v_mov_b32_e32 v18, 0x7f800001
	s_and_saveexec_b64 s[24:25], vcc
	s_cbranch_execz .LBB487_594
; %bb.593:
	v_and_b32_e32 v15, 7, v10
	v_ffbh_u32_e32 v15, v15
	v_min_u32_e32 v15, 32, v15
	v_subrev_u32_e32 v17, 28, v15
	v_cmp_gt_u32_e32 vcc, 8, v14
	v_lshrrev_b32_e32 v16, 3, v14
	v_sub_u32_e32 v15, 29, v15
	v_cndmask_b32_e32 v14, 0, v17, vcc
	v_cndmask_b32_e32 v16, v16, v15, vcc
	v_lshlrev_b64 v[14:15], v14, v[10:11]
	v_lshlrev_b32_e32 v14, 20, v14
	v_lshlrev_b32_e32 v15, 24, v10
	v_bfrev_b32_e32 v17, 60
	v_and_b32_e32 v14, 0x700000, v14
	v_and_b32_e32 v15, 0x80000000, v15
	v_lshl_add_u32 v16, v16, 23, v17
	v_or3_b32 v18, v15, v16, v14
.LBB487_594:
	s_or_b64 exec, exec, s[24:25]
.LBB487_595:
	s_or_b64 exec, exec, s[14:15]
.LBB487_596:
	s_or_b64 exec, exec, s[12:13]
	v_lshrrev_b16_e32 v14, 8, v10
	v_cmp_ne_u16_e32 vcc, 0, v14
	v_mov_b32_e32 v17, 0
	v_mov_b32_e32 v19, 0
	s_and_saveexec_b64 s[12:13], vcc
	s_cbranch_execz .LBB487_602
; %bb.597:
	s_movk_i32 s11, 0x80
	v_cmp_ne_u16_e32 vcc, s11, v14
	v_bfrev_b32_e32 v19, 1
	s_and_saveexec_b64 s[14:15], vcc
	s_cbranch_execz .LBB487_601
; %bb.598:
	s_movk_i32 s11, 0x7f
	v_and_b32_e32 v15, 0x7f, v14
	v_cmp_ne_u32_e32 vcc, s11, v15
	v_mov_b32_e32 v19, 0x7f800001
	s_and_saveexec_b64 s[24:25], vcc
	s_cbranch_execz .LBB487_600
; %bb.599:
	v_and_b32_e32 v16, 7, v14
	v_ffbh_u32_e32 v20, v16
	v_min_u32_e32 v22, 32, v20
	v_subrev_u32_e32 v20, 28, v22
	v_lshlrev_b64 v[20:21], v20, v[14:15]
	v_lshrrev_b32_e32 v19, 3, v15
	v_sub_u32_e32 v14, 29, v22
	v_and_b32_e32 v20, 7, v20
	v_cmp_gt_u32_e32 vcc, 8, v15
	v_cndmask_b32_e32 v14, v19, v14, vcc
	v_cndmask_b32_e32 v15, v16, v20, vcc
	v_lshlrev_b32_e32 v16, 16, v10
	v_bfrev_b32_e32 v19, 60
	v_lshlrev_b32_e32 v15, 20, v15
	v_and_b32_e32 v16, 0x80000000, v16
	v_lshl_add_u32 v14, v14, 23, v19
	v_or3_b32 v19, v16, v14, v15
.LBB487_600:
	s_or_b64 exec, exec, s[24:25]
.LBB487_601:
	s_or_b64 exec, exec, s[14:15]
.LBB487_602:
	s_or_b64 exec, exec, s[12:13]
	s_movk_i32 s11, 0xff
	v_and_b32_sdwa v15, v10, s11 dst_sel:DWORD dst_unused:UNUSED_PAD src0_sel:WORD_1 src1_sel:DWORD
	v_lshrrev_b32_e32 v14, 16, v10
	v_cmp_ne_u16_e32 vcc, 0, v15
	s_and_saveexec_b64 s[12:13], vcc
	s_cbranch_execz .LBB487_608
; %bb.603:
	s_movk_i32 s11, 0x80
	v_cmp_ne_u16_e32 vcc, s11, v15
	v_bfrev_b32_e32 v17, 1
	s_and_saveexec_b64 s[14:15], vcc
	s_cbranch_execz .LBB487_607
; %bb.604:
	v_bfe_u32 v15, v10, 16, 7
	s_movk_i32 s11, 0x7f
	v_cmp_ne_u32_e32 vcc, s11, v15
	v_mov_b32_e32 v17, 0x7f800001
	s_and_saveexec_b64 s[24:25], vcc
	s_cbranch_execz .LBB487_606
; %bb.605:
	v_and_b32_e32 v20, 7, v14
	v_ffbh_u32_e32 v16, v20
	v_min_u32_e32 v22, 32, v16
	v_subrev_u32_e32 v16, 28, v22
	v_lshlrev_b64 v[16:17], v16, v[14:15]
	v_and_b32_e32 v16, 7, v16
	v_cmp_gt_u32_e32 vcc, 8, v15
	v_lshrrev_b32_e32 v21, 3, v15
	v_sub_u32_e32 v14, 29, v22
	v_cndmask_b32_e32 v15, v20, v16, vcc
	v_mov_b32_e32 v16, 24
	v_cndmask_b32_e32 v14, v21, v14, vcc
	v_lshlrev_b32_sdwa v16, v16, v10 dst_sel:DWORD dst_unused:UNUSED_PAD src0_sel:DWORD src1_sel:WORD_1
	v_bfrev_b32_e32 v17, 60
	v_lshlrev_b32_e32 v15, 20, v15
	v_and_b32_e32 v16, 0x80000000, v16
	v_lshl_add_u32 v14, v14, 23, v17
	v_or3_b32 v17, v16, v14, v15
.LBB487_606:
	s_or_b64 exec, exec, s[24:25]
.LBB487_607:
	s_or_b64 exec, exec, s[14:15]
.LBB487_608:
	s_or_b64 exec, exec, s[12:13]
	s_mov_b32 s11, 0xffffff
	v_cmp_lt_u32_e32 vcc, s11, v10
	v_mov_b32_e32 v15, 0
	v_mov_b32_e32 v20, 0
	s_and_saveexec_b64 s[12:13], vcc
	s_cbranch_execz .LBB487_614
; %bb.609:
	v_lshrrev_b32_e32 v14, 24, v10
	s_movk_i32 s11, 0x80
	v_cmp_ne_u32_e32 vcc, s11, v14
	v_bfrev_b32_e32 v20, 1
	s_and_saveexec_b64 s[14:15], vcc
	s_cbranch_execz .LBB487_613
; %bb.610:
	v_bfe_u32 v16, v10, 24, 7
	s_movk_i32 s11, 0x7f
	v_cmp_ne_u32_e32 vcc, s11, v16
	v_mov_b32_e32 v20, 0x7f800001
	s_and_saveexec_b64 s[24:25], vcc
	s_cbranch_execz .LBB487_612
; %bb.611:
	v_and_b32_e32 v22, 7, v14
	v_ffbh_u32_e32 v20, v22
	v_min_u32_e32 v24, 32, v20
	v_subrev_u32_e32 v20, 28, v24
	v_lshlrev_b64 v[20:21], v20, v[14:15]
	v_lshrrev_b32_e32 v23, 3, v16
	v_sub_u32_e32 v21, 29, v24
	v_and_b32_e32 v20, 7, v20
	v_cmp_gt_u32_e32 vcc, 8, v16
	v_cndmask_b32_e32 v16, v23, v21, vcc
	v_cndmask_b32_e32 v20, v22, v20, vcc
	v_lshlrev_b32_e32 v14, 24, v14
	v_bfrev_b32_e32 v21, 60
	v_lshlrev_b32_e32 v20, 20, v20
	v_and_b32_e32 v14, 0x80000000, v14
	v_lshl_add_u32 v16, v16, 23, v21
	v_or3_b32 v20, v14, v16, v20
.LBB487_612:
	s_or_b64 exec, exec, s[24:25]
.LBB487_613:
	s_or_b64 exec, exec, s[14:15]
.LBB487_614:
	s_or_b64 exec, exec, s[12:13]
	v_mov_b32_e32 v14, v11
	v_cmp_ne_u16_sdwa s[14:15], v11, v15 src0_sel:BYTE_0 src1_sel:DWORD
	s_and_saveexec_b64 s[12:13], s[14:15]
	s_cbranch_execz .LBB487_620
; %bb.615:
	s_movk_i32 s11, 0x80
	v_cmp_ne_u16_sdwa s[24:25], v11, s11 src0_sel:BYTE_0 src1_sel:DWORD
	v_bfrev_b32_e32 v16, 1
	s_and_saveexec_b64 s[14:15], s[24:25]
	s_cbranch_execz .LBB487_619
; %bb.616:
	s_movk_i32 s11, 0x7f
	v_and_b32_e32 v21, 0x7f, v11
	v_cmp_ne_u32_e32 vcc, s11, v21
	v_mov_b32_e32 v16, 0x7f800001
	s_and_saveexec_b64 s[24:25], vcc
	s_cbranch_execz .LBB487_618
; %bb.617:
	v_and_b32_e32 v16, 7, v11
	v_ffbh_u32_e32 v16, v16
	v_min_u32_e32 v16, 32, v16
	v_subrev_u32_e32 v23, 28, v16
	v_cmp_gt_u32_e32 vcc, 8, v21
	v_lshrrev_b32_e32 v22, 3, v21
	v_sub_u32_e32 v16, 29, v16
	v_cndmask_b32_e32 v21, 0, v23, vcc
	v_cndmask_b32_e32 v16, v22, v16, vcc
	v_lshlrev_b64 v[22:23], v21, v[14:15]
	v_lshlrev_b32_e32 v15, 20, v22
	v_lshlrev_b32_e32 v21, 24, v14
	v_bfrev_b32_e32 v22, 60
	v_and_b32_e32 v15, 0x700000, v15
	v_and_b32_e32 v21, 0x80000000, v21
	v_lshl_add_u32 v16, v16, 23, v22
	v_or3_b32 v16, v21, v16, v15
.LBB487_618:
	s_or_b64 exec, exec, s[24:25]
.LBB487_619:
	s_or_b64 exec, exec, s[14:15]
	v_mov_b32_e32 v15, v16
.LBB487_620:
	s_or_b64 exec, exec, s[12:13]
	v_lshrrev_b16_e32 v16, 8, v14
	v_cmp_ne_u16_e32 vcc, 0, v16
	v_mov_b32_e32 v21, 0
	v_mov_b32_e32 v22, 0
	s_and_saveexec_b64 s[12:13], vcc
	s_cbranch_execz .LBB487_626
; %bb.621:
	s_movk_i32 s11, 0x80
	v_cmp_ne_u16_e32 vcc, s11, v16
	v_bfrev_b32_e32 v22, 1
	s_and_saveexec_b64 s[14:15], vcc
	s_cbranch_execz .LBB487_625
; %bb.622:
	s_movk_i32 s11, 0x7f
	v_and_b32_e32 v23, 0x7f, v16
	v_cmp_ne_u32_e32 vcc, s11, v23
	v_mov_b32_e32 v22, 0x7f800001
	s_and_saveexec_b64 s[24:25], vcc
	s_cbranch_execz .LBB487_624
; %bb.623:
	v_and_b32_e32 v22, 7, v16
	v_ffbh_u32_e32 v24, v22
	v_min_u32_e32 v27, 32, v24
	v_subrev_u32_e32 v24, 28, v27
	v_lshlrev_b64 v[24:25], v24, v[16:17]
	v_lshrrev_b32_e32 v26, 3, v23
	v_sub_u32_e32 v16, 29, v27
	v_and_b32_e32 v24, 7, v24
	v_cmp_gt_u32_e32 vcc, 8, v23
	v_cndmask_b32_e32 v16, v26, v16, vcc
	v_cndmask_b32_e32 v22, v22, v24, vcc
	v_lshlrev_b32_e32 v14, 16, v14
	v_bfrev_b32_e32 v23, 60
	v_lshlrev_b32_e32 v22, 20, v22
	v_and_b32_e32 v14, 0x80000000, v14
	v_lshl_add_u32 v16, v16, 23, v23
	v_or3_b32 v22, v14, v16, v22
.LBB487_624:
	s_or_b64 exec, exec, s[24:25]
.LBB487_625:
	s_or_b64 exec, exec, s[14:15]
.LBB487_626:
	s_or_b64 exec, exec, s[12:13]
	s_movk_i32 s11, 0xff
	v_and_b32_sdwa v16, v11, s11 dst_sel:DWORD dst_unused:UNUSED_PAD src0_sel:WORD_1 src1_sel:DWORD
	v_lshrrev_b32_e32 v14, 16, v11
	v_cmp_ne_u16_e32 vcc, 0, v16
	s_and_saveexec_b64 s[12:13], vcc
	s_cbranch_execz .LBB487_632
; %bb.627:
	s_movk_i32 s11, 0x80
	v_cmp_ne_u16_e32 vcc, s11, v16
	v_bfrev_b32_e32 v21, 1
	s_and_saveexec_b64 s[14:15], vcc
	s_cbranch_execz .LBB487_631
; %bb.628:
	v_bfe_u32 v16, v11, 16, 7
	s_movk_i32 s11, 0x7f
	v_cmp_ne_u32_e32 vcc, s11, v16
	v_mov_b32_e32 v21, 0x7f800001
	s_and_saveexec_b64 s[24:25], vcc
	s_cbranch_execz .LBB487_630
; %bb.629:
	v_and_b32_e32 v21, 7, v14
	v_ffbh_u32_e32 v24, v21
	v_min_u32_e32 v26, 32, v24
	v_subrev_u32_e32 v24, 28, v26
	v_lshlrev_b64 v[24:25], v24, v[14:15]
	v_and_b32_e32 v24, 7, v24
	v_cmp_gt_u32_e32 vcc, 8, v16
	v_lshrrev_b32_e32 v23, 3, v16
	v_sub_u32_e32 v14, 29, v26
	v_cndmask_b32_e32 v16, v21, v24, vcc
	v_mov_b32_e32 v21, 24
	v_cndmask_b32_e32 v14, v23, v14, vcc
	v_lshlrev_b32_sdwa v21, v21, v11 dst_sel:DWORD dst_unused:UNUSED_PAD src0_sel:DWORD src1_sel:WORD_1
	v_bfrev_b32_e32 v23, 60
	v_lshlrev_b32_e32 v16, 20, v16
	v_and_b32_e32 v21, 0x80000000, v21
	v_lshl_add_u32 v14, v14, 23, v23
	v_or3_b32 v21, v21, v14, v16
.LBB487_630:
	s_or_b64 exec, exec, s[24:25]
.LBB487_631:
	s_or_b64 exec, exec, s[14:15]
.LBB487_632:
	s_or_b64 exec, exec, s[12:13]
	s_mov_b32 s12, -1
	s_mov_b32 s13, 0xffffff
	v_cmp_lt_u64_e32 vcc, s[12:13], v[10:11]
	v_mov_b32_e32 v16, 0
	v_mov_b32_e32 v14, 0
	s_and_saveexec_b64 s[12:13], vcc
	s_cbranch_execz .LBB487_638
; %bb.633:
	v_lshrrev_b32_e32 v10, 24, v11
	s_movk_i32 s11, 0x80
	v_cmp_ne_u32_e32 vcc, s11, v10
	v_bfrev_b32_e32 v14, 1
	s_and_saveexec_b64 s[14:15], vcc
	s_cbranch_execz .LBB487_637
; %bb.634:
	v_bfe_u32 v11, v11, 24, 7
	s_movk_i32 s11, 0x7f
	v_cmp_ne_u32_e32 vcc, s11, v11
	v_mov_b32_e32 v14, 0x7f800001
	s_and_saveexec_b64 s[24:25], vcc
	s_cbranch_execz .LBB487_636
; %bb.635:
	v_and_b32_e32 v14, 7, v10
	v_ffbh_u32_e32 v24, v14
	v_min_u32_e32 v26, 32, v24
	v_subrev_u32_e32 v24, 28, v26
	v_lshlrev_b64 v[24:25], v24, v[10:11]
	v_lshrrev_b32_e32 v23, 3, v11
	v_sub_u32_e32 v25, 29, v26
	v_and_b32_e32 v24, 7, v24
	v_cmp_gt_u32_e32 vcc, 8, v11
	v_cndmask_b32_e32 v11, v23, v25, vcc
	v_cndmask_b32_e32 v14, v14, v24, vcc
	v_lshlrev_b32_e32 v10, 24, v10
	v_bfrev_b32_e32 v23, 60
	v_lshlrev_b32_e32 v14, 20, v14
	v_and_b32_e32 v10, 0x80000000, v10
	v_lshl_add_u32 v11, v11, 23, v23
	v_or3_b32 v14, v10, v11, v14
.LBB487_636:
	s_or_b64 exec, exec, s[24:25]
.LBB487_637:
	s_or_b64 exec, exec, s[14:15]
.LBB487_638:
	s_or_b64 exec, exec, s[12:13]
	v_cvt_pkrtz_f16_f32 v10, v18, v19
	v_cvt_pkrtz_f16_f32 v11, v17, v20
	v_cvt_pkrtz_f16_f32 v18, v15, v22
	v_cvt_pkrtz_f16_f32 v19, v21, v14
	v_mfma_f32_4x4x4f16 a[0:3], v[2:3], v[10:11], a[0:3] cbsz:4 abid:12
	v_cmp_ne_u16_sdwa s[14:15], v12, v16 src0_sel:BYTE_0 src1_sel:DWORD
	v_mfma_f32_4x4x4f16 a[0:3], v[4:5], v[18:19], a[0:3] cbsz:4 abid:12
	s_and_saveexec_b64 s[12:13], s[14:15]
	s_cbranch_execz .LBB487_644
; %bb.639:
	s_movk_i32 s11, 0x80
	v_cmp_ne_u16_sdwa s[24:25], v12, s11 src0_sel:BYTE_0 src1_sel:DWORD
	v_bfrev_b32_e32 v16, 1
	s_and_saveexec_b64 s[14:15], s[24:25]
	s_cbranch_execz .LBB487_643
; %bb.640:
	s_movk_i32 s11, 0x7f
	v_and_b32_e32 v10, 0x7f, v12
	v_cmp_ne_u32_e32 vcc, s11, v10
	v_mov_b32_e32 v16, 0x7f800001
	s_and_saveexec_b64 s[24:25], vcc
	s_cbranch_execz .LBB487_642
; %bb.641:
	v_and_b32_e32 v11, 7, v12
	v_ffbh_u32_e32 v11, v11
	v_min_u32_e32 v11, 32, v11
	v_subrev_u32_e32 v15, 28, v11
	v_cmp_gt_u32_e32 vcc, 8, v10
	v_lshrrev_b32_e32 v14, 3, v10
	v_sub_u32_e32 v11, 29, v11
	v_cndmask_b32_e32 v10, 0, v15, vcc
	v_cndmask_b32_e32 v14, v14, v11, vcc
	v_lshlrev_b64 v[10:11], v10, v[12:13]
	v_lshlrev_b32_e32 v10, 20, v10
	v_lshlrev_b32_e32 v11, 24, v12
	v_bfrev_b32_e32 v15, 60
	v_and_b32_e32 v10, 0x700000, v10
	v_and_b32_e32 v11, 0x80000000, v11
	v_lshl_add_u32 v14, v14, 23, v15
	v_or3_b32 v16, v11, v14, v10
.LBB487_642:
	s_or_b64 exec, exec, s[24:25]
.LBB487_643:
	s_or_b64 exec, exec, s[14:15]
.LBB487_644:
	s_or_b64 exec, exec, s[12:13]
	v_lshrrev_b16_e32 v10, 8, v12
	v_cmp_ne_u16_e32 vcc, 0, v10
	v_mov_b32_e32 v15, 0
	v_mov_b32_e32 v17, 0
	s_and_saveexec_b64 s[12:13], vcc
	s_cbranch_execz .LBB487_650
; %bb.645:
	s_movk_i32 s11, 0x80
	v_cmp_ne_u16_e32 vcc, s11, v10
	v_bfrev_b32_e32 v17, 1
	s_and_saveexec_b64 s[14:15], vcc
	s_cbranch_execz .LBB487_649
; %bb.646:
	s_movk_i32 s11, 0x7f
	v_and_b32_e32 v11, 0x7f, v10
	v_cmp_ne_u32_e32 vcc, s11, v11
	v_mov_b32_e32 v17, 0x7f800001
	s_and_saveexec_b64 s[24:25], vcc
	s_cbranch_execz .LBB487_648
; %bb.647:
	v_and_b32_e32 v14, 7, v10
	v_ffbh_u32_e32 v18, v14
	v_min_u32_e32 v20, 32, v18
	v_subrev_u32_e32 v18, 28, v20
	v_lshlrev_b64 v[18:19], v18, v[10:11]
	v_lshrrev_b32_e32 v17, 3, v11
	v_sub_u32_e32 v10, 29, v20
	v_and_b32_e32 v18, 7, v18
	v_cmp_gt_u32_e32 vcc, 8, v11
	v_cndmask_b32_e32 v10, v17, v10, vcc
	v_cndmask_b32_e32 v11, v14, v18, vcc
	v_lshlrev_b32_e32 v14, 16, v12
	v_bfrev_b32_e32 v17, 60
	v_lshlrev_b32_e32 v11, 20, v11
	v_and_b32_e32 v14, 0x80000000, v14
	v_lshl_add_u32 v10, v10, 23, v17
	v_or3_b32 v17, v14, v10, v11
.LBB487_648:
	s_or_b64 exec, exec, s[24:25]
.LBB487_649:
	s_or_b64 exec, exec, s[14:15]
.LBB487_650:
	s_or_b64 exec, exec, s[12:13]
	s_movk_i32 s11, 0xff
	v_and_b32_sdwa v11, v12, s11 dst_sel:DWORD dst_unused:UNUSED_PAD src0_sel:WORD_1 src1_sel:DWORD
	v_lshrrev_b32_e32 v10, 16, v12
	v_cmp_ne_u16_e32 vcc, 0, v11
	s_and_saveexec_b64 s[12:13], vcc
	s_cbranch_execz .LBB487_656
; %bb.651:
	s_movk_i32 s11, 0x80
	v_cmp_ne_u16_e32 vcc, s11, v11
	v_bfrev_b32_e32 v15, 1
	s_and_saveexec_b64 s[14:15], vcc
	s_cbranch_execz .LBB487_655
; %bb.652:
	v_bfe_u32 v11, v12, 16, 7
	s_movk_i32 s11, 0x7f
	v_cmp_ne_u32_e32 vcc, s11, v11
	v_mov_b32_e32 v15, 0x7f800001
	s_and_saveexec_b64 s[24:25], vcc
	s_cbranch_execz .LBB487_654
; %bb.653:
	v_and_b32_e32 v18, 7, v10
	v_ffbh_u32_e32 v14, v18
	v_min_u32_e32 v20, 32, v14
	v_subrev_u32_e32 v14, 28, v20
	v_lshlrev_b64 v[14:15], v14, v[10:11]
	v_and_b32_e32 v14, 7, v14
	v_cmp_gt_u32_e32 vcc, 8, v11
	v_lshrrev_b32_e32 v19, 3, v11
	v_sub_u32_e32 v10, 29, v20
	v_cndmask_b32_e32 v11, v18, v14, vcc
	v_mov_b32_e32 v14, 24
	v_cndmask_b32_e32 v10, v19, v10, vcc
	v_lshlrev_b32_sdwa v14, v14, v12 dst_sel:DWORD dst_unused:UNUSED_PAD src0_sel:DWORD src1_sel:WORD_1
	v_bfrev_b32_e32 v15, 60
	v_lshlrev_b32_e32 v11, 20, v11
	v_and_b32_e32 v14, 0x80000000, v14
	v_lshl_add_u32 v10, v10, 23, v15
	v_or3_b32 v15, v14, v10, v11
.LBB487_654:
	s_or_b64 exec, exec, s[24:25]
.LBB487_655:
	s_or_b64 exec, exec, s[14:15]
.LBB487_656:
	s_or_b64 exec, exec, s[12:13]
	s_mov_b32 s11, 0xffffff
	v_cmp_lt_u32_e32 vcc, s11, v12
	v_mov_b32_e32 v11, 0
	v_mov_b32_e32 v18, 0
	s_and_saveexec_b64 s[12:13], vcc
	s_cbranch_execz .LBB487_662
; %bb.657:
	v_lshrrev_b32_e32 v10, 24, v12
	s_movk_i32 s11, 0x80
	v_cmp_ne_u32_e32 vcc, s11, v10
	v_bfrev_b32_e32 v18, 1
	s_and_saveexec_b64 s[14:15], vcc
	s_cbranch_execz .LBB487_661
; %bb.658:
	v_bfe_u32 v14, v12, 24, 7
	s_movk_i32 s11, 0x7f
	v_cmp_ne_u32_e32 vcc, s11, v14
	v_mov_b32_e32 v18, 0x7f800001
	s_and_saveexec_b64 s[24:25], vcc
	s_cbranch_execz .LBB487_660
; %bb.659:
	v_and_b32_e32 v20, 7, v10
	v_ffbh_u32_e32 v18, v20
	v_min_u32_e32 v22, 32, v18
	v_subrev_u32_e32 v18, 28, v22
	v_lshlrev_b64 v[18:19], v18, v[10:11]
	v_lshrrev_b32_e32 v21, 3, v14
	v_sub_u32_e32 v19, 29, v22
	v_and_b32_e32 v18, 7, v18
	v_cmp_gt_u32_e32 vcc, 8, v14
	v_cndmask_b32_e32 v14, v21, v19, vcc
	v_cndmask_b32_e32 v18, v20, v18, vcc
	v_lshlrev_b32_e32 v10, 24, v10
	v_bfrev_b32_e32 v19, 60
	v_lshlrev_b32_e32 v18, 20, v18
	v_and_b32_e32 v10, 0x80000000, v10
	v_lshl_add_u32 v14, v14, 23, v19
	v_or3_b32 v18, v10, v14, v18
.LBB487_660:
	s_or_b64 exec, exec, s[24:25]
.LBB487_661:
	s_or_b64 exec, exec, s[14:15]
.LBB487_662:
	s_or_b64 exec, exec, s[12:13]
	v_mov_b32_e32 v10, v13
	v_cmp_ne_u16_sdwa s[14:15], v13, v11 src0_sel:BYTE_0 src1_sel:DWORD
	s_and_saveexec_b64 s[12:13], s[14:15]
	s_cbranch_execz .LBB487_668
; %bb.663:
	s_movk_i32 s11, 0x80
	v_cmp_ne_u16_sdwa s[24:25], v13, s11 src0_sel:BYTE_0 src1_sel:DWORD
	v_bfrev_b32_e32 v14, 1
	s_and_saveexec_b64 s[14:15], s[24:25]
	s_cbranch_execz .LBB487_667
; %bb.664:
	s_movk_i32 s11, 0x7f
	v_and_b32_e32 v19, 0x7f, v13
	v_cmp_ne_u32_e32 vcc, s11, v19
	v_mov_b32_e32 v14, 0x7f800001
	s_and_saveexec_b64 s[24:25], vcc
	s_cbranch_execz .LBB487_666
; %bb.665:
	v_and_b32_e32 v14, 7, v13
	v_ffbh_u32_e32 v14, v14
	v_min_u32_e32 v14, 32, v14
	v_subrev_u32_e32 v21, 28, v14
	v_cmp_gt_u32_e32 vcc, 8, v19
	v_lshrrev_b32_e32 v20, 3, v19
	v_sub_u32_e32 v14, 29, v14
	v_cndmask_b32_e32 v19, 0, v21, vcc
	v_cndmask_b32_e32 v14, v20, v14, vcc
	v_lshlrev_b64 v[20:21], v19, v[10:11]
	v_lshlrev_b32_e32 v11, 20, v20
	v_lshlrev_b32_e32 v19, 24, v10
	v_bfrev_b32_e32 v20, 60
	v_and_b32_e32 v11, 0x700000, v11
	v_and_b32_e32 v19, 0x80000000, v19
	v_lshl_add_u32 v14, v14, 23, v20
	v_or3_b32 v14, v19, v14, v11
.LBB487_666:
	s_or_b64 exec, exec, s[24:25]
.LBB487_667:
	s_or_b64 exec, exec, s[14:15]
	v_mov_b32_e32 v11, v14
.LBB487_668:
	s_or_b64 exec, exec, s[12:13]
	v_lshrrev_b16_e32 v14, 8, v10
	v_cmp_ne_u16_e32 vcc, 0, v14
	v_mov_b32_e32 v19, 0
	v_mov_b32_e32 v20, 0
	s_and_saveexec_b64 s[12:13], vcc
	s_cbranch_execz .LBB487_674
; %bb.669:
	s_movk_i32 s11, 0x80
	v_cmp_ne_u16_e32 vcc, s11, v14
	v_bfrev_b32_e32 v20, 1
	s_and_saveexec_b64 s[14:15], vcc
	s_cbranch_execz .LBB487_673
; %bb.670:
	s_movk_i32 s11, 0x7f
	v_and_b32_e32 v21, 0x7f, v14
	v_cmp_ne_u32_e32 vcc, s11, v21
	v_mov_b32_e32 v20, 0x7f800001
	s_and_saveexec_b64 s[24:25], vcc
	s_cbranch_execz .LBB487_672
; %bb.671:
	v_and_b32_e32 v20, 7, v14
	v_ffbh_u32_e32 v22, v20
	v_min_u32_e32 v25, 32, v22
	v_subrev_u32_e32 v22, 28, v25
	v_lshlrev_b64 v[22:23], v22, v[14:15]
	v_lshrrev_b32_e32 v24, 3, v21
	v_sub_u32_e32 v14, 29, v25
	v_and_b32_e32 v22, 7, v22
	v_cmp_gt_u32_e32 vcc, 8, v21
	v_cndmask_b32_e32 v14, v24, v14, vcc
	v_cndmask_b32_e32 v20, v20, v22, vcc
	v_lshlrev_b32_e32 v10, 16, v10
	v_bfrev_b32_e32 v21, 60
	v_lshlrev_b32_e32 v20, 20, v20
	v_and_b32_e32 v10, 0x80000000, v10
	v_lshl_add_u32 v14, v14, 23, v21
	v_or3_b32 v20, v10, v14, v20
.LBB487_672:
	s_or_b64 exec, exec, s[24:25]
.LBB487_673:
	s_or_b64 exec, exec, s[14:15]
.LBB487_674:
	s_or_b64 exec, exec, s[12:13]
	s_movk_i32 s11, 0xff
	v_and_b32_sdwa v14, v13, s11 dst_sel:DWORD dst_unused:UNUSED_PAD src0_sel:WORD_1 src1_sel:DWORD
	v_lshrrev_b32_e32 v10, 16, v13
	v_cmp_ne_u16_e32 vcc, 0, v14
	s_and_saveexec_b64 s[12:13], vcc
	s_cbranch_execz .LBB487_680
; %bb.675:
	s_movk_i32 s11, 0x80
	v_cmp_ne_u16_e32 vcc, s11, v14
	v_bfrev_b32_e32 v19, 1
	s_and_saveexec_b64 s[14:15], vcc
	s_cbranch_execz .LBB487_679
; %bb.676:
	v_bfe_u32 v14, v13, 16, 7
	s_movk_i32 s11, 0x7f
	v_cmp_ne_u32_e32 vcc, s11, v14
	v_mov_b32_e32 v19, 0x7f800001
	s_and_saveexec_b64 s[24:25], vcc
	s_cbranch_execz .LBB487_678
; %bb.677:
	v_and_b32_e32 v19, 7, v10
	v_ffbh_u32_e32 v22, v19
	v_min_u32_e32 v24, 32, v22
	v_subrev_u32_e32 v22, 28, v24
	v_lshlrev_b64 v[22:23], v22, v[10:11]
	v_and_b32_e32 v22, 7, v22
	v_cmp_gt_u32_e32 vcc, 8, v14
	v_lshrrev_b32_e32 v21, 3, v14
	v_sub_u32_e32 v10, 29, v24
	v_cndmask_b32_e32 v14, v19, v22, vcc
	v_mov_b32_e32 v19, 24
	v_cndmask_b32_e32 v10, v21, v10, vcc
	v_lshlrev_b32_sdwa v19, v19, v13 dst_sel:DWORD dst_unused:UNUSED_PAD src0_sel:DWORD src1_sel:WORD_1
	v_bfrev_b32_e32 v21, 60
	v_lshlrev_b32_e32 v14, 20, v14
	v_and_b32_e32 v19, 0x80000000, v19
	v_lshl_add_u32 v10, v10, 23, v21
	v_or3_b32 v19, v19, v10, v14
.LBB487_678:
	s_or_b64 exec, exec, s[24:25]
.LBB487_679:
	s_or_b64 exec, exec, s[14:15]
.LBB487_680:
	s_or_b64 exec, exec, s[12:13]
	s_mov_b32 s12, -1
	s_mov_b32 s13, 0xffffff
	v_cmp_lt_u64_e32 vcc, s[12:13], v[12:13]
	v_mov_b32_e32 v14, 0
	v_mov_b32_e32 v12, 0
	s_and_saveexec_b64 s[12:13], vcc
	s_cbranch_execz .LBB487_686
; %bb.681:
	v_lshrrev_b32_e32 v10, 24, v13
	s_movk_i32 s11, 0x80
	v_cmp_ne_u32_e32 vcc, s11, v10
	v_bfrev_b32_e32 v12, 1
	s_and_saveexec_b64 s[14:15], vcc
	s_cbranch_execz .LBB487_685
; %bb.682:
	v_bfe_u32 v13, v13, 24, 7
	s_movk_i32 s11, 0x7f
	v_cmp_ne_u32_e32 vcc, s11, v13
	v_mov_b32_e32 v12, 0x7f800001
	s_and_saveexec_b64 s[24:25], vcc
	s_cbranch_execz .LBB487_684
; %bb.683:
	v_and_b32_e32 v12, 7, v10
	v_ffbh_u32_e32 v22, v12
	v_min_u32_e32 v24, 32, v22
	v_subrev_u32_e32 v22, 28, v24
	v_lshlrev_b64 v[22:23], v22, v[10:11]
	v_lshrrev_b32_e32 v21, 3, v13
	v_sub_u32_e32 v23, 29, v24
	v_and_b32_e32 v22, 7, v22
	v_cmp_gt_u32_e32 vcc, 8, v13
	v_cndmask_b32_e32 v13, v21, v23, vcc
	v_cndmask_b32_e32 v12, v12, v22, vcc
	v_lshlrev_b32_e32 v10, 24, v10
	v_bfrev_b32_e32 v21, 60
	v_lshlrev_b32_e32 v12, 20, v12
	v_and_b32_e32 v10, 0x80000000, v10
	v_lshl_add_u32 v13, v13, 23, v21
	v_or3_b32 v12, v10, v13, v12
.LBB487_684:
	s_or_b64 exec, exec, s[24:25]
.LBB487_685:
	s_or_b64 exec, exec, s[14:15]
.LBB487_686:
	s_or_b64 exec, exec, s[12:13]
	v_cvt_pkrtz_f16_f32 v16, v16, v17
	v_cvt_pkrtz_f16_f32 v17, v15, v18
	;; [unrolled: 1-line block ×4, first 2 shown]
	v_mfma_f32_4x4x4f16 a[0:3], v[2:3], v[16:17], a[0:3] cbsz:4 abid:13
	s_waitcnt vmcnt(16)
	v_cmp_ne_u16_sdwa s[14:15], v6, v14 src0_sel:BYTE_0 src1_sel:DWORD
	v_mfma_f32_4x4x4f16 a[0:3], v[4:5], v[10:11], a[0:3] cbsz:4 abid:13
	s_and_saveexec_b64 s[12:13], s[14:15]
	s_cbranch_execz .LBB487_692
; %bb.687:
	s_movk_i32 s11, 0x80
	v_cmp_ne_u16_sdwa s[24:25], v6, s11 src0_sel:BYTE_0 src1_sel:DWORD
	v_bfrev_b32_e32 v14, 1
	s_and_saveexec_b64 s[14:15], s[24:25]
	s_cbranch_execz .LBB487_691
; %bb.688:
	s_movk_i32 s11, 0x7f
	v_and_b32_e32 v10, 0x7f, v6
	v_cmp_ne_u32_e32 vcc, s11, v10
	v_mov_b32_e32 v14, 0x7f800001
	s_and_saveexec_b64 s[24:25], vcc
	s_cbranch_execz .LBB487_690
; %bb.689:
	v_and_b32_e32 v11, 7, v6
	v_ffbh_u32_e32 v11, v11
	v_min_u32_e32 v11, 32, v11
	v_subrev_u32_e32 v13, 28, v11
	v_cmp_gt_u32_e32 vcc, 8, v10
	v_lshrrev_b32_e32 v12, 3, v10
	v_sub_u32_e32 v11, 29, v11
	v_cndmask_b32_e32 v10, 0, v13, vcc
	v_cndmask_b32_e32 v12, v12, v11, vcc
	v_lshlrev_b64 v[10:11], v10, v[6:7]
	v_lshlrev_b32_e32 v10, 20, v10
	v_lshlrev_b32_e32 v11, 24, v6
	v_bfrev_b32_e32 v13, 60
	v_and_b32_e32 v10, 0x700000, v10
	v_and_b32_e32 v11, 0x80000000, v11
	v_lshl_add_u32 v12, v12, 23, v13
	v_or3_b32 v14, v11, v12, v10
.LBB487_690:
	s_or_b64 exec, exec, s[24:25]
.LBB487_691:
	s_or_b64 exec, exec, s[14:15]
.LBB487_692:
	s_or_b64 exec, exec, s[12:13]
	v_lshrrev_b16_e32 v10, 8, v6
	v_cmp_ne_u16_e32 vcc, 0, v10
	v_mov_b32_e32 v13, 0
	v_mov_b32_e32 v15, 0
	s_and_saveexec_b64 s[12:13], vcc
	s_cbranch_execz .LBB487_698
; %bb.693:
	s_movk_i32 s11, 0x80
	v_cmp_ne_u16_e32 vcc, s11, v10
	v_bfrev_b32_e32 v15, 1
	s_and_saveexec_b64 s[14:15], vcc
	s_cbranch_execz .LBB487_697
; %bb.694:
	s_movk_i32 s11, 0x7f
	v_and_b32_e32 v11, 0x7f, v10
	v_cmp_ne_u32_e32 vcc, s11, v11
	v_mov_b32_e32 v15, 0x7f800001
	s_and_saveexec_b64 s[24:25], vcc
	s_cbranch_execz .LBB487_696
; %bb.695:
	v_and_b32_e32 v12, 7, v10
	v_ffbh_u32_e32 v16, v12
	v_min_u32_e32 v18, 32, v16
	v_subrev_u32_e32 v16, 28, v18
	v_lshlrev_b64 v[16:17], v16, v[10:11]
	v_lshrrev_b32_e32 v15, 3, v11
	v_sub_u32_e32 v10, 29, v18
	v_and_b32_e32 v16, 7, v16
	v_cmp_gt_u32_e32 vcc, 8, v11
	v_cndmask_b32_e32 v10, v15, v10, vcc
	v_cndmask_b32_e32 v11, v12, v16, vcc
	v_lshlrev_b32_e32 v12, 16, v6
	v_bfrev_b32_e32 v15, 60
	v_lshlrev_b32_e32 v11, 20, v11
	v_and_b32_e32 v12, 0x80000000, v12
	v_lshl_add_u32 v10, v10, 23, v15
	v_or3_b32 v15, v12, v10, v11
.LBB487_696:
	s_or_b64 exec, exec, s[24:25]
.LBB487_697:
	s_or_b64 exec, exec, s[14:15]
.LBB487_698:
	s_or_b64 exec, exec, s[12:13]
	s_movk_i32 s11, 0xff
	v_and_b32_sdwa v11, v6, s11 dst_sel:DWORD dst_unused:UNUSED_PAD src0_sel:WORD_1 src1_sel:DWORD
	v_lshrrev_b32_e32 v10, 16, v6
	v_cmp_ne_u16_e32 vcc, 0, v11
	s_and_saveexec_b64 s[12:13], vcc
	s_cbranch_execz .LBB487_704
; %bb.699:
	s_movk_i32 s11, 0x80
	v_cmp_ne_u16_e32 vcc, s11, v11
	v_bfrev_b32_e32 v13, 1
	s_and_saveexec_b64 s[14:15], vcc
	s_cbranch_execz .LBB487_703
; %bb.700:
	v_bfe_u32 v11, v6, 16, 7
	s_movk_i32 s11, 0x7f
	v_cmp_ne_u32_e32 vcc, s11, v11
	v_mov_b32_e32 v13, 0x7f800001
	s_and_saveexec_b64 s[24:25], vcc
	s_cbranch_execz .LBB487_702
; %bb.701:
	v_and_b32_e32 v16, 7, v10
	v_ffbh_u32_e32 v12, v16
	v_min_u32_e32 v18, 32, v12
	v_subrev_u32_e32 v12, 28, v18
	v_lshlrev_b64 v[12:13], v12, v[10:11]
	v_and_b32_e32 v12, 7, v12
	v_cmp_gt_u32_e32 vcc, 8, v11
	v_lshrrev_b32_e32 v17, 3, v11
	v_sub_u32_e32 v10, 29, v18
	v_cndmask_b32_e32 v11, v16, v12, vcc
	v_mov_b32_e32 v12, 24
	v_cndmask_b32_e32 v10, v17, v10, vcc
	v_lshlrev_b32_sdwa v12, v12, v6 dst_sel:DWORD dst_unused:UNUSED_PAD src0_sel:DWORD src1_sel:WORD_1
	v_bfrev_b32_e32 v13, 60
	v_lshlrev_b32_e32 v11, 20, v11
	v_and_b32_e32 v12, 0x80000000, v12
	v_lshl_add_u32 v10, v10, 23, v13
	v_or3_b32 v13, v12, v10, v11
.LBB487_702:
	s_or_b64 exec, exec, s[24:25]
.LBB487_703:
	s_or_b64 exec, exec, s[14:15]
.LBB487_704:
	s_or_b64 exec, exec, s[12:13]
	s_mov_b32 s11, 0xffffff
	v_cmp_lt_u32_e32 vcc, s11, v6
	v_mov_b32_e32 v11, 0
	v_mov_b32_e32 v16, 0
	s_and_saveexec_b64 s[12:13], vcc
	s_cbranch_execz .LBB487_710
; %bb.705:
	v_lshrrev_b32_e32 v10, 24, v6
	s_movk_i32 s11, 0x80
	v_cmp_ne_u32_e32 vcc, s11, v10
	v_bfrev_b32_e32 v16, 1
	s_and_saveexec_b64 s[14:15], vcc
	s_cbranch_execz .LBB487_709
; %bb.706:
	v_bfe_u32 v12, v6, 24, 7
	s_movk_i32 s11, 0x7f
	v_cmp_ne_u32_e32 vcc, s11, v12
	v_mov_b32_e32 v16, 0x7f800001
	s_and_saveexec_b64 s[24:25], vcc
	s_cbranch_execz .LBB487_708
; %bb.707:
	v_and_b32_e32 v18, 7, v10
	v_ffbh_u32_e32 v16, v18
	v_min_u32_e32 v20, 32, v16
	v_subrev_u32_e32 v16, 28, v20
	v_lshlrev_b64 v[16:17], v16, v[10:11]
	v_lshrrev_b32_e32 v19, 3, v12
	v_sub_u32_e32 v17, 29, v20
	v_and_b32_e32 v16, 7, v16
	v_cmp_gt_u32_e32 vcc, 8, v12
	v_cndmask_b32_e32 v12, v19, v17, vcc
	v_cndmask_b32_e32 v16, v18, v16, vcc
	v_lshlrev_b32_e32 v10, 24, v10
	v_bfrev_b32_e32 v17, 60
	v_lshlrev_b32_e32 v16, 20, v16
	v_and_b32_e32 v10, 0x80000000, v10
	v_lshl_add_u32 v12, v12, 23, v17
	v_or3_b32 v16, v10, v12, v16
.LBB487_708:
	s_or_b64 exec, exec, s[24:25]
.LBB487_709:
	s_or_b64 exec, exec, s[14:15]
.LBB487_710:
	s_or_b64 exec, exec, s[12:13]
	v_mov_b32_e32 v10, v7
	v_cmp_ne_u16_sdwa s[14:15], v7, v11 src0_sel:BYTE_0 src1_sel:DWORD
	s_and_saveexec_b64 s[12:13], s[14:15]
	s_cbranch_execz .LBB487_716
; %bb.711:
	s_movk_i32 s11, 0x80
	v_cmp_ne_u16_sdwa s[24:25], v7, s11 src0_sel:BYTE_0 src1_sel:DWORD
	v_bfrev_b32_e32 v12, 1
	s_and_saveexec_b64 s[14:15], s[24:25]
	s_cbranch_execz .LBB487_715
; %bb.712:
	s_movk_i32 s11, 0x7f
	v_and_b32_e32 v17, 0x7f, v7
	v_cmp_ne_u32_e32 vcc, s11, v17
	v_mov_b32_e32 v12, 0x7f800001
	s_and_saveexec_b64 s[24:25], vcc
	s_cbranch_execz .LBB487_714
; %bb.713:
	v_and_b32_e32 v12, 7, v7
	v_ffbh_u32_e32 v12, v12
	v_min_u32_e32 v12, 32, v12
	v_subrev_u32_e32 v19, 28, v12
	v_cmp_gt_u32_e32 vcc, 8, v17
	v_lshrrev_b32_e32 v18, 3, v17
	v_sub_u32_e32 v12, 29, v12
	v_cndmask_b32_e32 v17, 0, v19, vcc
	v_cndmask_b32_e32 v12, v18, v12, vcc
	v_lshlrev_b64 v[18:19], v17, v[10:11]
	v_lshlrev_b32_e32 v11, 20, v18
	v_lshlrev_b32_e32 v17, 24, v10
	v_bfrev_b32_e32 v18, 60
	v_and_b32_e32 v11, 0x700000, v11
	v_and_b32_e32 v17, 0x80000000, v17
	v_lshl_add_u32 v12, v12, 23, v18
	v_or3_b32 v12, v17, v12, v11
.LBB487_714:
	s_or_b64 exec, exec, s[24:25]
.LBB487_715:
	s_or_b64 exec, exec, s[14:15]
	v_mov_b32_e32 v11, v12
.LBB487_716:
	s_or_b64 exec, exec, s[12:13]
	v_lshrrev_b16_e32 v12, 8, v10
	v_cmp_ne_u16_e32 vcc, 0, v12
	v_mov_b32_e32 v17, 0
	v_mov_b32_e32 v18, 0
	s_and_saveexec_b64 s[12:13], vcc
	s_cbranch_execz .LBB487_722
; %bb.717:
	s_movk_i32 s11, 0x80
	v_cmp_ne_u16_e32 vcc, s11, v12
	v_bfrev_b32_e32 v18, 1
	s_and_saveexec_b64 s[14:15], vcc
	s_cbranch_execz .LBB487_721
; %bb.718:
	s_movk_i32 s11, 0x7f
	v_and_b32_e32 v19, 0x7f, v12
	v_cmp_ne_u32_e32 vcc, s11, v19
	v_mov_b32_e32 v18, 0x7f800001
	s_and_saveexec_b64 s[24:25], vcc
	s_cbranch_execz .LBB487_720
; %bb.719:
	v_and_b32_e32 v18, 7, v12
	v_ffbh_u32_e32 v20, v18
	v_min_u32_e32 v23, 32, v20
	v_subrev_u32_e32 v20, 28, v23
	v_lshlrev_b64 v[20:21], v20, v[12:13]
	v_lshrrev_b32_e32 v22, 3, v19
	v_sub_u32_e32 v12, 29, v23
	v_and_b32_e32 v20, 7, v20
	v_cmp_gt_u32_e32 vcc, 8, v19
	v_cndmask_b32_e32 v12, v22, v12, vcc
	v_cndmask_b32_e32 v18, v18, v20, vcc
	v_lshlrev_b32_e32 v10, 16, v10
	v_bfrev_b32_e32 v19, 60
	v_lshlrev_b32_e32 v18, 20, v18
	v_and_b32_e32 v10, 0x80000000, v10
	v_lshl_add_u32 v12, v12, 23, v19
	v_or3_b32 v18, v10, v12, v18
.LBB487_720:
	s_or_b64 exec, exec, s[24:25]
.LBB487_721:
	s_or_b64 exec, exec, s[14:15]
.LBB487_722:
	s_or_b64 exec, exec, s[12:13]
	s_movk_i32 s11, 0xff
	v_and_b32_sdwa v12, v7, s11 dst_sel:DWORD dst_unused:UNUSED_PAD src0_sel:WORD_1 src1_sel:DWORD
	v_lshrrev_b32_e32 v10, 16, v7
	v_cmp_ne_u16_e32 vcc, 0, v12
	s_and_saveexec_b64 s[12:13], vcc
	s_cbranch_execz .LBB487_728
; %bb.723:
	s_movk_i32 s11, 0x80
	v_cmp_ne_u16_e32 vcc, s11, v12
	v_bfrev_b32_e32 v17, 1
	s_and_saveexec_b64 s[14:15], vcc
	s_cbranch_execz .LBB487_727
; %bb.724:
	v_bfe_u32 v12, v7, 16, 7
	s_movk_i32 s11, 0x7f
	v_cmp_ne_u32_e32 vcc, s11, v12
	v_mov_b32_e32 v17, 0x7f800001
	s_and_saveexec_b64 s[24:25], vcc
	s_cbranch_execz .LBB487_726
; %bb.725:
	v_and_b32_e32 v17, 7, v10
	v_ffbh_u32_e32 v20, v17
	v_min_u32_e32 v22, 32, v20
	v_subrev_u32_e32 v20, 28, v22
	v_lshlrev_b64 v[20:21], v20, v[10:11]
	v_and_b32_e32 v20, 7, v20
	v_cmp_gt_u32_e32 vcc, 8, v12
	v_lshrrev_b32_e32 v19, 3, v12
	v_sub_u32_e32 v10, 29, v22
	v_cndmask_b32_e32 v12, v17, v20, vcc
	v_mov_b32_e32 v17, 24
	v_cndmask_b32_e32 v10, v19, v10, vcc
	v_lshlrev_b32_sdwa v17, v17, v7 dst_sel:DWORD dst_unused:UNUSED_PAD src0_sel:DWORD src1_sel:WORD_1
	v_bfrev_b32_e32 v19, 60
	v_lshlrev_b32_e32 v12, 20, v12
	v_and_b32_e32 v17, 0x80000000, v17
	v_lshl_add_u32 v10, v10, 23, v19
	v_or3_b32 v17, v17, v10, v12
.LBB487_726:
	s_or_b64 exec, exec, s[24:25]
.LBB487_727:
	s_or_b64 exec, exec, s[14:15]
.LBB487_728:
	s_or_b64 exec, exec, s[12:13]
	s_mov_b32 s12, -1
	s_mov_b32 s13, 0xffffff
	v_cmp_lt_u64_e32 vcc, s[12:13], v[6:7]
	v_mov_b32_e32 v12, 0
	v_mov_b32_e32 v10, 0
	s_and_saveexec_b64 s[12:13], vcc
	s_cbranch_execz .LBB487_734
; %bb.729:
	v_lshrrev_b32_e32 v6, 24, v7
	s_movk_i32 s11, 0x80
	v_cmp_ne_u32_e32 vcc, s11, v6
	v_bfrev_b32_e32 v10, 1
	s_and_saveexec_b64 s[14:15], vcc
	s_cbranch_execz .LBB487_733
; %bb.730:
	v_bfe_u32 v7, v7, 24, 7
	s_movk_i32 s11, 0x7f
	v_cmp_ne_u32_e32 vcc, s11, v7
	v_mov_b32_e32 v10, 0x7f800001
	s_and_saveexec_b64 s[24:25], vcc
	s_cbranch_execz .LBB487_732
; %bb.731:
	v_and_b32_e32 v10, 7, v6
	v_ffbh_u32_e32 v20, v10
	v_min_u32_e32 v22, 32, v20
	v_subrev_u32_e32 v20, 28, v22
	v_lshlrev_b64 v[20:21], v20, v[6:7]
	v_lshrrev_b32_e32 v19, 3, v7
	v_sub_u32_e32 v21, 29, v22
	v_and_b32_e32 v20, 7, v20
	v_cmp_gt_u32_e32 vcc, 8, v7
	v_cndmask_b32_e32 v7, v19, v21, vcc
	v_cndmask_b32_e32 v10, v10, v20, vcc
	v_lshlrev_b32_e32 v6, 24, v6
	v_bfrev_b32_e32 v19, 60
	v_lshlrev_b32_e32 v10, 20, v10
	v_and_b32_e32 v6, 0x80000000, v6
	v_lshl_add_u32 v7, v7, 23, v19
	v_or3_b32 v10, v6, v7, v10
.LBB487_732:
	s_or_b64 exec, exec, s[24:25]
.LBB487_733:
	s_or_b64 exec, exec, s[14:15]
.LBB487_734:
	s_or_b64 exec, exec, s[12:13]
	v_cvt_pkrtz_f16_f32 v6, v14, v15
	v_cvt_pkrtz_f16_f32 v7, v13, v16
	v_cvt_pkrtz_f16_f32 v14, v11, v18
	v_cvt_pkrtz_f16_f32 v15, v17, v10
	v_mfma_f32_4x4x4f16 a[0:3], v[2:3], v[6:7], a[0:3] cbsz:4 abid:14
	v_cmp_ne_u16_sdwa s[14:15], v8, v12 src0_sel:BYTE_0 src1_sel:DWORD
	v_mfma_f32_4x4x4f16 a[0:3], v[4:5], v[14:15], a[0:3] cbsz:4 abid:14
	s_and_saveexec_b64 s[12:13], s[14:15]
	s_cbranch_execz .LBB487_740
; %bb.735:
	s_movk_i32 s11, 0x80
	v_cmp_ne_u16_sdwa s[24:25], v8, s11 src0_sel:BYTE_0 src1_sel:DWORD
	v_bfrev_b32_e32 v12, 1
	s_and_saveexec_b64 s[14:15], s[24:25]
	s_cbranch_execz .LBB487_739
; %bb.736:
	s_movk_i32 s11, 0x7f
	v_and_b32_e32 v6, 0x7f, v8
	v_cmp_ne_u32_e32 vcc, s11, v6
	v_mov_b32_e32 v12, 0x7f800001
	s_and_saveexec_b64 s[24:25], vcc
	s_cbranch_execz .LBB487_738
; %bb.737:
	v_and_b32_e32 v7, 7, v8
	v_ffbh_u32_e32 v7, v7
	v_min_u32_e32 v7, 32, v7
	v_subrev_u32_e32 v11, 28, v7
	v_cmp_gt_u32_e32 vcc, 8, v6
	v_lshrrev_b32_e32 v10, 3, v6
	v_sub_u32_e32 v7, 29, v7
	v_cndmask_b32_e32 v6, 0, v11, vcc
	v_cndmask_b32_e32 v10, v10, v7, vcc
	v_lshlrev_b64 v[6:7], v6, v[8:9]
	v_lshlrev_b32_e32 v6, 20, v6
	v_lshlrev_b32_e32 v7, 24, v8
	v_bfrev_b32_e32 v11, 60
	v_and_b32_e32 v6, 0x700000, v6
	v_and_b32_e32 v7, 0x80000000, v7
	v_lshl_add_u32 v10, v10, 23, v11
	v_or3_b32 v12, v7, v10, v6
.LBB487_738:
	s_or_b64 exec, exec, s[24:25]
.LBB487_739:
	s_or_b64 exec, exec, s[14:15]
.LBB487_740:
	s_or_b64 exec, exec, s[12:13]
	v_lshrrev_b16_e32 v6, 8, v8
	v_cmp_ne_u16_e32 vcc, 0, v6
	v_mov_b32_e32 v11, 0
	v_mov_b32_e32 v13, 0
	s_and_saveexec_b64 s[12:13], vcc
	s_cbranch_execz .LBB487_746
; %bb.741:
	s_movk_i32 s11, 0x80
	v_cmp_ne_u16_e32 vcc, s11, v6
	v_bfrev_b32_e32 v13, 1
	s_and_saveexec_b64 s[14:15], vcc
	s_cbranch_execz .LBB487_745
; %bb.742:
	s_movk_i32 s11, 0x7f
	v_and_b32_e32 v7, 0x7f, v6
	v_cmp_ne_u32_e32 vcc, s11, v7
	v_mov_b32_e32 v13, 0x7f800001
	s_and_saveexec_b64 s[24:25], vcc
	s_cbranch_execz .LBB487_744
; %bb.743:
	v_and_b32_e32 v10, 7, v6
	v_ffbh_u32_e32 v14, v10
	v_min_u32_e32 v16, 32, v14
	v_subrev_u32_e32 v14, 28, v16
	v_lshlrev_b64 v[14:15], v14, v[6:7]
	v_lshrrev_b32_e32 v13, 3, v7
	v_sub_u32_e32 v6, 29, v16
	v_and_b32_e32 v14, 7, v14
	v_cmp_gt_u32_e32 vcc, 8, v7
	v_cndmask_b32_e32 v6, v13, v6, vcc
	v_cndmask_b32_e32 v7, v10, v14, vcc
	v_lshlrev_b32_e32 v10, 16, v8
	v_bfrev_b32_e32 v13, 60
	v_lshlrev_b32_e32 v7, 20, v7
	v_and_b32_e32 v10, 0x80000000, v10
	v_lshl_add_u32 v6, v6, 23, v13
	v_or3_b32 v13, v10, v6, v7
.LBB487_744:
	s_or_b64 exec, exec, s[24:25]
.LBB487_745:
	s_or_b64 exec, exec, s[14:15]
.LBB487_746:
	s_or_b64 exec, exec, s[12:13]
	s_movk_i32 s11, 0xff
	v_and_b32_sdwa v7, v8, s11 dst_sel:DWORD dst_unused:UNUSED_PAD src0_sel:WORD_1 src1_sel:DWORD
	v_lshrrev_b32_e32 v6, 16, v8
	v_cmp_ne_u16_e32 vcc, 0, v7
	s_and_saveexec_b64 s[12:13], vcc
	s_cbranch_execz .LBB487_752
; %bb.747:
	s_movk_i32 s11, 0x80
	v_cmp_ne_u16_e32 vcc, s11, v7
	v_bfrev_b32_e32 v11, 1
	s_and_saveexec_b64 s[14:15], vcc
	s_cbranch_execz .LBB487_751
; %bb.748:
	v_bfe_u32 v7, v8, 16, 7
	s_movk_i32 s11, 0x7f
	v_cmp_ne_u32_e32 vcc, s11, v7
	v_mov_b32_e32 v11, 0x7f800001
	s_and_saveexec_b64 s[24:25], vcc
	s_cbranch_execz .LBB487_750
; %bb.749:
	v_and_b32_e32 v14, 7, v6
	v_ffbh_u32_e32 v10, v14
	v_min_u32_e32 v16, 32, v10
	v_subrev_u32_e32 v10, 28, v16
	v_lshlrev_b64 v[10:11], v10, v[6:7]
	v_and_b32_e32 v10, 7, v10
	v_cmp_gt_u32_e32 vcc, 8, v7
	v_lshrrev_b32_e32 v15, 3, v7
	v_sub_u32_e32 v6, 29, v16
	v_cndmask_b32_e32 v7, v14, v10, vcc
	v_mov_b32_e32 v10, 24
	v_cndmask_b32_e32 v6, v15, v6, vcc
	v_lshlrev_b32_sdwa v10, v10, v8 dst_sel:DWORD dst_unused:UNUSED_PAD src0_sel:DWORD src1_sel:WORD_1
	v_bfrev_b32_e32 v11, 60
	v_lshlrev_b32_e32 v7, 20, v7
	v_and_b32_e32 v10, 0x80000000, v10
	v_lshl_add_u32 v6, v6, 23, v11
	v_or3_b32 v11, v10, v6, v7
.LBB487_750:
	s_or_b64 exec, exec, s[24:25]
.LBB487_751:
	s_or_b64 exec, exec, s[14:15]
.LBB487_752:
	s_or_b64 exec, exec, s[12:13]
	s_mov_b32 s11, 0xffffff
	v_cmp_lt_u32_e32 vcc, s11, v8
	v_mov_b32_e32 v7, 0
	v_mov_b32_e32 v14, 0
	s_and_saveexec_b64 s[12:13], vcc
	s_cbranch_execz .LBB487_758
; %bb.753:
	v_lshrrev_b32_e32 v6, 24, v8
	s_movk_i32 s11, 0x80
	v_cmp_ne_u32_e32 vcc, s11, v6
	v_bfrev_b32_e32 v14, 1
	s_and_saveexec_b64 s[14:15], vcc
	s_cbranch_execz .LBB487_757
; %bb.754:
	v_bfe_u32 v10, v8, 24, 7
	s_movk_i32 s11, 0x7f
	v_cmp_ne_u32_e32 vcc, s11, v10
	v_mov_b32_e32 v14, 0x7f800001
	s_and_saveexec_b64 s[24:25], vcc
	s_cbranch_execz .LBB487_756
; %bb.755:
	v_and_b32_e32 v16, 7, v6
	v_ffbh_u32_e32 v14, v16
	v_min_u32_e32 v18, 32, v14
	v_subrev_u32_e32 v14, 28, v18
	v_lshlrev_b64 v[14:15], v14, v[6:7]
	v_lshrrev_b32_e32 v17, 3, v10
	v_sub_u32_e32 v15, 29, v18
	v_and_b32_e32 v14, 7, v14
	v_cmp_gt_u32_e32 vcc, 8, v10
	v_cndmask_b32_e32 v10, v17, v15, vcc
	v_cndmask_b32_e32 v14, v16, v14, vcc
	v_lshlrev_b32_e32 v6, 24, v6
	v_bfrev_b32_e32 v15, 60
	v_lshlrev_b32_e32 v14, 20, v14
	v_and_b32_e32 v6, 0x80000000, v6
	v_lshl_add_u32 v10, v10, 23, v15
	v_or3_b32 v14, v6, v10, v14
.LBB487_756:
	s_or_b64 exec, exec, s[24:25]
.LBB487_757:
	s_or_b64 exec, exec, s[14:15]
.LBB487_758:
	s_or_b64 exec, exec, s[12:13]
	v_mov_b32_e32 v6, v9
	v_cmp_ne_u16_sdwa s[14:15], v9, v7 src0_sel:BYTE_0 src1_sel:DWORD
	s_and_saveexec_b64 s[12:13], s[14:15]
	s_cbranch_execz .LBB487_764
; %bb.759:
	s_movk_i32 s11, 0x80
	v_cmp_ne_u16_sdwa s[24:25], v9, s11 src0_sel:BYTE_0 src1_sel:DWORD
	v_bfrev_b32_e32 v10, 1
	s_and_saveexec_b64 s[14:15], s[24:25]
	s_cbranch_execz .LBB487_763
; %bb.760:
	s_movk_i32 s11, 0x7f
	v_and_b32_e32 v15, 0x7f, v9
	v_cmp_ne_u32_e32 vcc, s11, v15
	v_mov_b32_e32 v10, 0x7f800001
	s_and_saveexec_b64 s[24:25], vcc
	s_cbranch_execz .LBB487_762
; %bb.761:
	v_and_b32_e32 v10, 7, v9
	v_ffbh_u32_e32 v10, v10
	v_min_u32_e32 v10, 32, v10
	v_subrev_u32_e32 v17, 28, v10
	v_cmp_gt_u32_e32 vcc, 8, v15
	v_lshrrev_b32_e32 v16, 3, v15
	v_sub_u32_e32 v10, 29, v10
	v_cndmask_b32_e32 v15, 0, v17, vcc
	v_cndmask_b32_e32 v10, v16, v10, vcc
	v_lshlrev_b64 v[16:17], v15, v[6:7]
	v_lshlrev_b32_e32 v7, 20, v16
	v_lshlrev_b32_e32 v15, 24, v6
	v_bfrev_b32_e32 v16, 60
	v_and_b32_e32 v7, 0x700000, v7
	v_and_b32_e32 v15, 0x80000000, v15
	v_lshl_add_u32 v10, v10, 23, v16
	v_or3_b32 v10, v15, v10, v7
.LBB487_762:
	s_or_b64 exec, exec, s[24:25]
.LBB487_763:
	s_or_b64 exec, exec, s[14:15]
	v_mov_b32_e32 v7, v10
.LBB487_764:
	s_or_b64 exec, exec, s[12:13]
	v_lshrrev_b16_e32 v10, 8, v6
	v_cmp_ne_u16_e32 vcc, 0, v10
	v_mov_b32_e32 v15, 0
	v_mov_b32_e32 v16, 0
	s_and_saveexec_b64 s[12:13], vcc
	s_cbranch_execz .LBB487_770
; %bb.765:
	s_movk_i32 s11, 0x80
	v_cmp_ne_u16_e32 vcc, s11, v10
	v_bfrev_b32_e32 v16, 1
	s_and_saveexec_b64 s[14:15], vcc
	s_cbranch_execz .LBB487_769
; %bb.766:
	s_movk_i32 s11, 0x7f
	v_and_b32_e32 v17, 0x7f, v10
	v_cmp_ne_u32_e32 vcc, s11, v17
	v_mov_b32_e32 v16, 0x7f800001
	s_and_saveexec_b64 s[24:25], vcc
	s_cbranch_execz .LBB487_768
; %bb.767:
	v_and_b32_e32 v16, 7, v10
	v_ffbh_u32_e32 v18, v16
	v_min_u32_e32 v21, 32, v18
	v_subrev_u32_e32 v18, 28, v21
	v_lshlrev_b64 v[18:19], v18, v[10:11]
	v_lshrrev_b32_e32 v20, 3, v17
	v_sub_u32_e32 v10, 29, v21
	v_and_b32_e32 v18, 7, v18
	v_cmp_gt_u32_e32 vcc, 8, v17
	v_cndmask_b32_e32 v10, v20, v10, vcc
	v_cndmask_b32_e32 v16, v16, v18, vcc
	v_lshlrev_b32_e32 v6, 16, v6
	v_bfrev_b32_e32 v17, 60
	v_lshlrev_b32_e32 v16, 20, v16
	v_and_b32_e32 v6, 0x80000000, v6
	v_lshl_add_u32 v10, v10, 23, v17
	v_or3_b32 v16, v6, v10, v16
.LBB487_768:
	s_or_b64 exec, exec, s[24:25]
.LBB487_769:
	s_or_b64 exec, exec, s[14:15]
.LBB487_770:
	s_or_b64 exec, exec, s[12:13]
	s_movk_i32 s11, 0xff
	v_and_b32_sdwa v10, v9, s11 dst_sel:DWORD dst_unused:UNUSED_PAD src0_sel:WORD_1 src1_sel:DWORD
	v_lshrrev_b32_e32 v6, 16, v9
	v_cmp_ne_u16_e32 vcc, 0, v10
	s_and_saveexec_b64 s[12:13], vcc
	s_cbranch_execz .LBB487_776
; %bb.771:
	s_movk_i32 s11, 0x80
	v_cmp_ne_u16_e32 vcc, s11, v10
	v_bfrev_b32_e32 v15, 1
	s_and_saveexec_b64 s[14:15], vcc
	s_cbranch_execz .LBB487_775
; %bb.772:
	v_bfe_u32 v10, v9, 16, 7
	s_movk_i32 s11, 0x7f
	v_cmp_ne_u32_e32 vcc, s11, v10
	v_mov_b32_e32 v15, 0x7f800001
	s_and_saveexec_b64 s[24:25], vcc
	s_cbranch_execz .LBB487_774
; %bb.773:
	v_and_b32_e32 v15, 7, v6
	v_ffbh_u32_e32 v18, v15
	v_min_u32_e32 v20, 32, v18
	v_subrev_u32_e32 v18, 28, v20
	v_lshlrev_b64 v[18:19], v18, v[6:7]
	v_and_b32_e32 v18, 7, v18
	v_cmp_gt_u32_e32 vcc, 8, v10
	v_lshrrev_b32_e32 v17, 3, v10
	v_sub_u32_e32 v6, 29, v20
	v_cndmask_b32_e32 v10, v15, v18, vcc
	v_mov_b32_e32 v15, 24
	v_cndmask_b32_e32 v6, v17, v6, vcc
	v_lshlrev_b32_sdwa v15, v15, v9 dst_sel:DWORD dst_unused:UNUSED_PAD src0_sel:DWORD src1_sel:WORD_1
	v_bfrev_b32_e32 v17, 60
	v_lshlrev_b32_e32 v10, 20, v10
	v_and_b32_e32 v15, 0x80000000, v15
	v_lshl_add_u32 v6, v6, 23, v17
	v_or3_b32 v15, v15, v6, v10
.LBB487_774:
	s_or_b64 exec, exec, s[24:25]
.LBB487_775:
	s_or_b64 exec, exec, s[14:15]
.LBB487_776:
	s_or_b64 exec, exec, s[12:13]
	s_mov_b32 s12, -1
	s_mov_b32 s13, 0xffffff
	v_cmp_lt_u64_e32 vcc, s[12:13], v[8:9]
	v_mov_b32_e32 v8, 0
	s_and_saveexec_b64 s[12:13], vcc
	s_cbranch_execz .LBB487_782
; %bb.777:
	v_lshrrev_b32_e32 v6, 24, v9
	s_movk_i32 s11, 0x80
	v_cmp_ne_u32_e32 vcc, s11, v6
	v_bfrev_b32_e32 v8, 1
	s_and_saveexec_b64 s[14:15], vcc
	s_cbranch_execz .LBB487_781
; %bb.778:
	v_bfe_u32 v9, v9, 24, 7
	s_movk_i32 s11, 0x7f
	v_cmp_ne_u32_e32 vcc, s11, v9
	v_mov_b32_e32 v8, 0x7f800001
	s_and_saveexec_b64 s[24:25], vcc
	s_cbranch_execz .LBB487_780
; %bb.779:
	v_and_b32_e32 v8, 7, v6
	v_ffbh_u32_e32 v17, v8
	v_min_u32_e32 v17, 32, v17
	v_subrev_u32_e32 v18, 28, v17
	v_lshlrev_b64 v[18:19], v18, v[6:7]
	v_lshrrev_b32_e32 v10, 3, v9
	v_sub_u32_e32 v17, 29, v17
	v_and_b32_e32 v18, 7, v18
	v_cmp_gt_u32_e32 vcc, 8, v9
	v_cndmask_b32_e32 v9, v10, v17, vcc
	v_cndmask_b32_e32 v8, v8, v18, vcc
	v_lshlrev_b32_e32 v6, 24, v6
	v_bfrev_b32_e32 v10, 60
	v_lshlrev_b32_e32 v8, 20, v8
	v_and_b32_e32 v6, 0x80000000, v6
	v_lshl_add_u32 v9, v9, 23, v10
	v_or3_b32 v8, v6, v9, v8
.LBB487_780:
	s_or_b64 exec, exec, s[24:25]
.LBB487_781:
	s_or_b64 exec, exec, s[14:15]
.LBB487_782:
	s_or_b64 exec, exec, s[12:13]
	s_load_dword s4, s[4:5], 0x1c
	v_cvt_pkrtz_f16_f32 v10, v12, v13
	v_cvt_pkrtz_f16_f32 v11, v11, v14
	s_load_dword s5, s[16:17], 0x0
	v_cvt_pkrtz_f16_f32 v6, v7, v16
	v_mfma_f32_4x4x4f16 a[0:3], v[2:3], v[10:11], a[0:3] cbsz:4 abid:15
	v_cvt_pkrtz_f16_f32 v7, v15, v8
	s_waitcnt lgkmcnt(0)
	v_mov_b32_e32 v2, s4
	v_cmp_eq_u32_e32 vcc, 0, v43
	v_mfma_f32_4x4x4f16 a[0:3], v[4:5], v[6:7], a[0:3] cbsz:4 abid:15
	v_mul_f32_e32 v4, s5, v2
	s_nop 3
	v_accvgpr_read_b32 v7, a1
	v_accvgpr_read_b32 v6, a0
	v_pk_mul_f32 v[6:7], v[6:7], v[4:5] op_sel_hi:[1,0]
	v_accvgpr_read_b32 v3, a3
	v_accvgpr_read_b32 v2, a2
	v_pk_mul_f32 v[2:3], v[2:3], v[4:5] op_sel_hi:[1,0]
	v_cndmask_b32_e64 v4, 0, 1.0, vcc
	v_cmp_eq_u32_e32 vcc, 1, v43
	s_nop 0
	v_mfma_f32_4x4x1f32 a[0:3], v6, v4, 0
	v_cndmask_b32_e64 v4, 0, 1.0, vcc
	v_cmp_eq_u32_e32 vcc, 2, v43
	v_mov_b32_e32 v6, 0xff7fffff
	v_mfma_f32_4x4x1f32 a[0:3], v7, v4, a[0:3]
	v_cndmask_b32_e64 v4, 0, 1.0, vcc
	v_cmp_eq_u32_e32 vcc, 3, v43
	s_nop 0
	v_mfma_f32_4x4x1f32 a[0:3], v2, v4, a[0:3]
	v_cndmask_b32_e64 v2, 0, 1.0, vcc
	s_nop 1
	v_mfma_f32_4x4x1f32 a[0:3], v3, v2, a[0:3]
	v_and_b32_e32 v2, -4, v44
	v_cmp_gt_i32_e32 vcc, s9, v2
	v_lshlrev_b32_e32 v3, 2, v0
	v_and_or_b32 v3, v3, 48, v43
	v_lshlrev_b32_e32 v10, 2, v3
	v_accvgpr_read_b32 v4, a0
	v_max_f32_e32 v5, v4, v4
	v_max_f32_e32 v5, 0xff7fffff, v5
	v_accvgpr_read_b32 v7, a1
	v_cndmask_b32_e32 v5, v6, v5, vcc
	v_or_b32_e32 v6, 1, v2
	v_max_f32_e32 v8, v7, v7
	v_max_f32_e32 v8, v5, v8
	v_cmp_gt_i32_e64 s[4:5], s9, v6
	v_cndmask_b32_e64 v5, v5, v8, s[4:5]
	v_accvgpr_read_b32 v8, a2
	v_or_b32_e32 v2, 2, v2
	v_max_f32_e32 v6, v8, v8
	v_max_f32_e32 v6, v5, v6
	v_cmp_gt_i32_e64 s[12:13], s9, v2
	v_accvgpr_read_b32 v9, a3
	v_cndmask_b32_e64 v2, v5, v6, s[12:13]
	v_or_b32_e32 v5, 3, v44
	v_max_f32_e32 v6, v9, v9
	v_max_f32_e32 v6, v2, v6
	v_cmp_gt_i32_e64 s[14:15], s9, v5
	v_cndmask_b32_e64 v2, v2, v6, s[14:15]
	;;#ASMSTART
	v_nop
 v_nop
 v_max_f32_dpp v2, v2, v2 row_ror:4
	;;#ASMEND
	;;#ASMSTART
	v_nop
 v_nop
 v_max_f32_dpp v2, v2, v2 row_ror:8
	;;#ASMEND
	ds_bpermute_b32 v2, v10, v2
	s_waitcnt lgkmcnt(0)
	;;#ASMSTART
	v_nop
 v_nop
 v_max_f32_dpp v2, v2, v2 row_ror:4
	;;#ASMEND
	;;#ASMSTART
	v_nop
 v_nop
 v_max_f32_dpp v6, v2, v2 row_ror:8
	;;#ASMEND
	v_sub_f32_e32 v2, v4, v6
	v_mul_f32_e32 v2, 0x3fb8aa3b, v2
	v_sub_f32_e32 v3, v7, v6
	v_exp_f32_e32 v2, v2
	v_mul_f32_e32 v3, 0x3fb8aa3b, v3
	v_sub_f32_e32 v5, v8, v6
	v_exp_f32_e32 v3, v3
	;; [unrolled: 3-line block ×3, first 2 shown]
	v_mul_f32_e32 v7, 0x3fb8aa3b, v7
	v_exp_f32_e32 v7, v7
	v_cndmask_b32_e32 v2, 0, v2, vcc
	v_add_f32_e32 v4, 0, v2
	v_cndmask_b32_e64 v3, 0, v3, s[4:5]
	v_add_f32_e32 v8, v4, v3
	v_cndmask_b32_e64 v4, 0, v5, s[12:13]
	;; [unrolled: 2-line block ×3, first 2 shown]
	v_add_f32_e32 v7, v8, v5
	;;#ASMSTART
	v_nop
 v_nop
 v_add_f32_dpp v7, v7, v7 row_ror:4
	;;#ASMEND
	;;#ASMSTART
	v_nop
 v_nop
 v_add_f32_dpp v7, v7, v7 row_ror:8
	;;#ASMEND
	ds_bpermute_b32 v7, v10, v7
	s_waitcnt lgkmcnt(0)
	;;#ASMSTART
	v_nop
 v_nop
 v_add_f32_dpp v7, v7, v7 row_ror:4
	;;#ASMEND
	v_cmp_gt_u32_e32 vcc, 4, v1
	;;#ASMSTART
	v_nop
 v_nop
 v_add_f32_dpp v7, v7, v7 row_ror:8
	;;#ASMEND
	s_and_saveexec_b64 s[4:5], vcc
	s_cbranch_execz .LBB487_784
; %bb.783:
	v_mul_u32_u24_e32 v8, 20, v42
	v_lshl_add_u32 v8, v43, 2, v8
	v_add_u32_e32 v8, 0x1400, v8
	ds_write2_b32 v8, v6, v7 offset1:20
.LBB487_784:
	s_or_b64 exec, exec, s[4:5]
.LBB487_785:
	s_or_b64 exec, exec, s[36:37]
	s_waitcnt lgkmcnt(0)
	s_barrier
	s_load_dword s4, s[34:35], 0x8
	v_lshlrev_b32_e32 v7, 2, v43
	v_add_u32_e32 v7, 0x1400, v7
	ds_read2_b32 v[10:11], v7 offset1:5
	ds_read2_b32 v[12:13], v7 offset0:10 offset1:15
	s_mul_i32 s5, s8, s33
	s_waitcnt lgkmcnt(0)
	s_mul_i32 s5, s5, s4
	s_lshl_b32 s4, s5, 1
	s_mov_b32 s5, 0xff7fffff
	v_max3_f32 v8, v10, s5, v11
	v_max3_f32 v8, v8, v12, v13
	v_sub_f32_e32 v9, v10, v8
	v_sub_f32_e32 v10, v11, v8
	ds_read2_b32 v[14:15], v7 offset0:20 offset1:25
	v_mul_f32_e32 v9, 0x3fb8aa3b, v9
	v_mul_f32_e32 v10, 0x3fb8aa3b, v10
	v_exp_f32_e32 v9, v9
	v_exp_f32_e32 v16, v10
	ds_read2_b32 v[10:11], v7 offset0:30 offset1:35
	v_sub_f32_e32 v7, v12, v8
	v_mul_f32_e32 v7, 0x3fb8aa3b, v7
	v_sub_f32_e32 v12, v13, v8
	v_exp_f32_e32 v7, v7
	v_mul_f32_e32 v12, 0x3fb8aa3b, v12
	v_exp_f32_e32 v12, v12
	s_waitcnt lgkmcnt(1)
	v_fma_f32 v9, v9, v14, 0
	v_fmac_f32_e32 v9, v16, v15
	s_waitcnt lgkmcnt(0)
	v_fmac_f32_e32 v9, v7, v10
	s_lshl_b32 s24, s10, 1
	v_fmac_f32_e32 v9, v12, v11
	v_cmp_gt_u32_e32 vcc, 2, v43
	s_and_saveexec_b64 s[8:9], vcc
	s_cbranch_execz .LBB487_787
; %bb.786:
	s_mov_b32 s5, 0
	s_lshl_b64 s[10:11], s[4:5], 2
	s_add_u32 s14, s20, s10
	s_mov_b32 s29, s5
	s_addc_u32 s15, s21, s11
	s_lshl_b64 s[12:13], s[28:29], 2
	s_add_u32 s5, s14, s12
	s_addc_u32 s14, s15, s13
	v_or_b32_e32 v7, s24, v43
	s_add_u32 s10, s22, s10
	v_mul_lo_u32 v10, s33, v7
	v_mov_b32_e32 v11, 0
	s_addc_u32 s11, s23, s11
	v_lshlrev_b64 v[10:11], 2, v[10:11]
	s_add_u32 s10, s10, s12
	v_mov_b32_e32 v7, s14
	v_add_co_u32_e32 v12, vcc, s5, v10
	s_addc_u32 s11, s11, s13
	v_addc_co_u32_e32 v13, vcc, v7, v11, vcc
	v_mov_b32_e32 v7, s11
	v_add_co_u32_e32 v10, vcc, s10, v10
	v_addc_co_u32_e32 v11, vcc, v7, v11, vcc
	global_store_dword v[10:11], v8, off
	global_store_dword v[12:13], v9, off
.LBB487_787:
	s_or_b64 exec, exec, s[8:9]
	v_lshlrev_b32_e32 v7, 3, v42
	s_and_saveexec_b64 s[8:9], s[6:7]
	s_xor_b64 s[6:7], exec, s[8:9]
	s_cbranch_execz .LBB487_789
; %bb.788:
	s_mov_b32 s8, 0
	s_mov_b32 s9, s8
	v_mad_u32_u24 v4, v1, 40, v7
	v_pk_mov_b32 v[2:3], s[8:9], s[8:9] op_sel:[0,1]
	ds_write2st64_b64 v4, v[2:3], v[2:3] offset1:5
                                        ; implicit-def: $vgpr7
                                        ; implicit-def: $vgpr6
                                        ; implicit-def: $vgpr8
                                        ; implicit-def: $vgpr9
                                        ; implicit-def: $vgpr4
                                        ; implicit-def: $vgpr2
.LBB487_789:
	s_andn2_saveexec_b64 s[6:7], s[6:7]
	s_cbranch_execz .LBB487_1176
; %bb.790:
	v_add_f32_e32 v9, 0x358637bd, v9
	v_div_scale_f32 v10, s[8:9], v9, v9, 1.0
	v_rcp_f32_e32 v11, v10
	v_sub_f32_e32 v6, v6, v8
	v_mul_f32_e32 v6, 0x3fb8aa3b, v6
	v_exp_f32_e32 v6, v6
	v_fma_f32 v8, -v10, v11, 1.0
	v_fmac_f32_e32 v11, v8, v11
	v_div_scale_f32 v8, vcc, 1.0, v9, 1.0
	v_mul_f32_e32 v12, v8, v11
	v_fma_f32 v13, -v10, v12, v8
	v_fmac_f32_e32 v12, v13, v11
	v_fma_f32 v8, -v10, v12, v8
	v_div_fmas_f32 v8, v8, v11, v12
	v_div_fixup_f32 v8, v8, v9, 1.0
	v_mul_f32_e32 v6, v6, v8
	v_pk_mul_f32 v[4:5], v[4:5], v[6:7] op_sel_hi:[1,0]
	v_pk_mul_f32 v[2:3], v[2:3], v[6:7] op_sel_hi:[1,0]
	s_load_dword s8, s[18:19], 0x0
	v_cvt_f16_f32_e32 v2, v2
	v_cvt_f16_f32_e32 v3, v3
	;; [unrolled: 1-line block ×4, first 2 shown]
	v_mov_b32_e32 v11, 0
	v_add_u32_e32 v5, 64, v11
	v_pack_b32_f16 v2, v2, v3
	v_pack_b32_f16 v3, v4, v6
	s_waitcnt lgkmcnt(0)
	s_mov_b32 s9, s8
	s_mov_b32 s10, s8
	;; [unrolled: 1-line block ×4, first 2 shown]
	s_mov_b64 s[12:13], -1
	s_movk_i32 s5, 0x80
	s_movk_i32 s21, 0x7f
	s_mov_b32 s22, 0xffffff
	v_mov_b32_e32 v9, 0
	v_bfrev_b32_e32 v10, 60
	s_branch .LBB487_794
.LBB487_791:                            ;   in Loop: Header=BB487_794 Depth=1
	s_or_b64 exec, exec, s[18:19]
.LBB487_792:                            ;   in Loop: Header=BB487_794 Depth=1
	s_or_b64 exec, exec, s[16:17]
.LBB487_793:                            ;   in Loop: Header=BB487_794 Depth=1
	s_or_b64 exec, exec, s[14:15]
	v_cvt_pkrtz_f16_f32 v12, v13, v12
	v_cvt_pkrtz_f16_f32 v13, v11, v15
	;; [unrolled: 1-line block ×4, first 2 shown]
	v_mfma_f32_4x4x4f16 a[0:3], v[2:3], v[12:13], a[0:3] cbsz:4 abid:14
	s_mul_i32 s14, s20, 0xa00
	v_mfma_f32_4x4x4f16 a[0:3], v[2:3], v[14:15], a[0:3] cbsz:4 abid:15
	s_mov_b32 s20, 1
	s_nop 3
	v_accvgpr_read_b32 v15, a1
	v_accvgpr_read_b32 v14, a0
	v_pk_mul_f32 v[14:15], v[14:15], s[8:9]
	v_accvgpr_read_b32 v13, a3
	v_accvgpr_read_b32 v12, a2
	v_cvt_f16_f32_e32 v4, v14
	v_cvt_f16_f32_e32 v6, v15
	v_pk_mul_f32 v[12:13], v[12:13], s[10:11]
	v_cvt_f16_f32_e32 v8, v12
	v_cvt_f16_f32_e32 v11, v13
	v_pack_b32_f16 v12, v4, v6
	v_mul_u32_u24_e32 v4, 40, v1
	v_add3_u32 v4, s14, v4, v7
	s_xor_b64 s[14:15], s[12:13], -1
	v_pack_b32_f16 v13, v8, v11
	s_mov_b64 s[12:13], 0
	s_andn2_b64 vcc, exec, s[14:15]
	v_mov_b32_e32 v11, v5
	ds_write_b64 v4, v[12:13]
	s_cbranch_vccz .LBB487_1176
.LBB487_794:                            ; =>This Inner Loop Header: Depth=1
	buffer_load_dword v6, v11, s[0:3], 0 offen
	buffer_load_dword v4, v11, s[0:3], 0 offen offset:4
	v_mov_b32_e32 v13, 0
	s_waitcnt vmcnt(1)
	v_cmp_ne_u16_sdwa s[16:17], v6, v9 src0_sel:BYTE_0 src1_sel:DWORD
	s_and_saveexec_b64 s[14:15], s[16:17]
	s_cbranch_execz .LBB487_800
; %bb.795:                              ;   in Loop: Header=BB487_794 Depth=1
	v_cmp_ne_u16_sdwa s[18:19], v6, s5 src0_sel:BYTE_0 src1_sel:DWORD
	v_bfrev_b32_e32 v13, 1
	s_and_saveexec_b64 s[16:17], s[18:19]
	s_cbranch_execz .LBB487_799
; %bb.796:                              ;   in Loop: Header=BB487_794 Depth=1
	v_and_b32_e32 v8, 0x7f, v6
	v_cmp_ne_u32_e32 vcc, s21, v8
	v_mov_b32_e32 v13, 0x7f800001
	s_and_saveexec_b64 s[18:19], vcc
	s_cbranch_execz .LBB487_798
; %bb.797:                              ;   in Loop: Header=BB487_794 Depth=1
	v_and_b32_e32 v14, 7, v6
	v_ffbh_u32_e32 v12, v14
	v_min_u32_e32 v16, 32, v12
	v_subrev_u32_e32 v12, 28, v16
	v_lshlrev_b64 v[12:13], v12, v[6:7]
	v_lshrrev_b32_e32 v15, 3, v8
	v_sub_u32_e32 v13, 29, v16
	v_and_b32_e32 v12, 7, v12
	v_cmp_gt_u32_e32 vcc, 8, v8
	v_cndmask_b32_e32 v8, v15, v13, vcc
	v_cndmask_b32_e32 v12, v14, v12, vcc
	v_lshlrev_b32_e32 v13, 24, v6
	v_lshlrev_b32_e32 v12, 20, v12
	v_and_b32_e32 v13, 0x80000000, v13
	v_lshl_add_u32 v8, v8, 23, v10
	v_or3_b32 v13, v13, v8, v12
.LBB487_798:                            ;   in Loop: Header=BB487_794 Depth=1
	s_or_b64 exec, exec, s[18:19]
.LBB487_799:                            ;   in Loop: Header=BB487_794 Depth=1
	s_or_b64 exec, exec, s[16:17]
.LBB487_800:                            ;   in Loop: Header=BB487_794 Depth=1
	s_or_b64 exec, exec, s[14:15]
	v_lshrrev_b16_e32 v8, 8, v6
	v_cmp_ne_u16_e32 vcc, 0, v8
	v_mov_b32_e32 v14, 0
	v_mov_b32_e32 v15, 0
	s_and_saveexec_b64 s[14:15], vcc
	s_cbranch_execz .LBB487_806
; %bb.801:                              ;   in Loop: Header=BB487_794 Depth=1
	v_cmp_ne_u16_e32 vcc, s5, v8
	v_bfrev_b32_e32 v15, 1
	s_and_saveexec_b64 s[16:17], vcc
	s_cbranch_execz .LBB487_805
; %bb.802:                              ;   in Loop: Header=BB487_794 Depth=1
	v_and_b32_e32 v12, 0x7f, v8
	v_cmp_ne_u32_e32 vcc, s21, v12
	v_mov_b32_e32 v15, 0x7f800001
	s_and_saveexec_b64 s[18:19], vcc
	s_cbranch_execz .LBB487_804
; %bb.803:                              ;   in Loop: Header=BB487_794 Depth=1
	v_and_b32_e32 v15, 7, v8
	v_ffbh_u32_e32 v16, v15
	v_min_u32_e32 v19, 32, v16
	v_subrev_u32_e32 v16, 28, v19
	v_lshlrev_b64 v[16:17], v16, v[8:9]
	v_lshrrev_b32_e32 v18, 3, v12
	v_sub_u32_e32 v8, 29, v19
	v_and_b32_e32 v16, 7, v16
	v_cmp_gt_u32_e32 vcc, 8, v12
	v_cndmask_b32_e32 v8, v18, v8, vcc
	v_cndmask_b32_e32 v12, v15, v16, vcc
	v_lshlrev_b32_e32 v15, 16, v6
	v_lshlrev_b32_e32 v12, 20, v12
	v_and_b32_e32 v15, 0x80000000, v15
	v_lshl_add_u32 v8, v8, 23, v10
	v_or3_b32 v15, v15, v8, v12
.LBB487_804:                            ;   in Loop: Header=BB487_794 Depth=1
	s_or_b64 exec, exec, s[18:19]
.LBB487_805:                            ;   in Loop: Header=BB487_794 Depth=1
	s_or_b64 exec, exec, s[16:17]
.LBB487_806:                            ;   in Loop: Header=BB487_794 Depth=1
	s_or_b64 exec, exec, s[14:15]
	v_lshrrev_b32_e32 v8, 16, v6
	v_cmp_ne_u16_sdwa s[16:17], v8, v9 src0_sel:BYTE_0 src1_sel:DWORD
	s_and_saveexec_b64 s[14:15], s[16:17]
	s_cbranch_execz .LBB487_812
; %bb.807:                              ;   in Loop: Header=BB487_794 Depth=1
	v_cmp_ne_u16_sdwa s[18:19], v8, s5 src0_sel:BYTE_0 src1_sel:DWORD
	v_bfrev_b32_e32 v14, 1
	s_and_saveexec_b64 s[16:17], s[18:19]
	s_cbranch_execz .LBB487_811
; %bb.808:                              ;   in Loop: Header=BB487_794 Depth=1
	v_bfe_u32 v12, v6, 16, 7
	v_cmp_ne_u32_e32 vcc, s21, v12
	v_mov_b32_e32 v14, 0x7f800001
	s_and_saveexec_b64 s[18:19], vcc
	s_cbranch_execz .LBB487_810
; %bb.809:                              ;   in Loop: Header=BB487_794 Depth=1
	v_and_b32_e32 v14, 7, v8
	v_ffbh_u32_e32 v16, v14
	v_min_u32_e32 v19, 32, v16
	v_subrev_u32_e32 v16, 28, v19
	v_lshlrev_b64 v[16:17], v16, v[8:9]
	v_lshrrev_b32_e32 v18, 3, v12
	v_sub_u32_e32 v17, 29, v19
	v_and_b32_e32 v16, 7, v16
	v_cmp_gt_u32_e32 vcc, 8, v12
	v_cndmask_b32_e32 v12, v18, v17, vcc
	v_cndmask_b32_e32 v14, v14, v16, vcc
	v_lshlrev_b32_e32 v8, 24, v8
	v_lshlrev_b32_e32 v14, 20, v14
	v_and_b32_e32 v8, 0x80000000, v8
	v_lshl_add_u32 v12, v12, 23, v10
	v_or3_b32 v14, v8, v12, v14
.LBB487_810:                            ;   in Loop: Header=BB487_794 Depth=1
	s_or_b64 exec, exec, s[18:19]
.LBB487_811:                            ;   in Loop: Header=BB487_794 Depth=1
	s_or_b64 exec, exec, s[16:17]
.LBB487_812:                            ;   in Loop: Header=BB487_794 Depth=1
	s_or_b64 exec, exec, s[14:15]
	v_cmp_lt_u32_e32 vcc, s22, v6
	v_mov_b32_e32 v16, 0
	v_mov_b32_e32 v17, 0
	s_and_saveexec_b64 s[14:15], vcc
	s_cbranch_execz .LBB487_818
; %bb.813:                              ;   in Loop: Header=BB487_794 Depth=1
	v_lshrrev_b32_e32 v8, 24, v6
	v_cmp_ne_u32_e32 vcc, s5, v8
	v_bfrev_b32_e32 v17, 1
	s_and_saveexec_b64 s[16:17], vcc
	s_cbranch_execz .LBB487_817
; %bb.814:                              ;   in Loop: Header=BB487_794 Depth=1
	v_bfe_u32 v6, v6, 24, 7
	v_cmp_ne_u32_e32 vcc, s21, v6
	v_mov_b32_e32 v17, 0x7f800001
	s_and_saveexec_b64 s[18:19], vcc
	s_cbranch_execz .LBB487_816
; %bb.815:                              ;   in Loop: Header=BB487_794 Depth=1
	v_and_b32_e32 v12, 7, v8
	v_ffbh_u32_e32 v18, v12
	v_min_u32_e32 v20, 32, v18
	v_subrev_u32_e32 v18, 28, v20
	v_lshlrev_b64 v[18:19], v18, v[8:9]
	v_lshrrev_b32_e32 v17, 3, v6
	v_sub_u32_e32 v19, 29, v20
	v_and_b32_e32 v18, 7, v18
	v_cmp_gt_u32_e32 vcc, 8, v6
	v_cndmask_b32_e32 v6, v17, v19, vcc
	v_cndmask_b32_e32 v12, v12, v18, vcc
	v_lshlrev_b32_e32 v8, 24, v8
	v_lshlrev_b32_e32 v12, 20, v12
	v_and_b32_e32 v8, 0x80000000, v8
	v_lshl_add_u32 v6, v6, 23, v10
	v_or3_b32 v17, v8, v6, v12
.LBB487_816:                            ;   in Loop: Header=BB487_794 Depth=1
	s_or_b64 exec, exec, s[18:19]
.LBB487_817:                            ;   in Loop: Header=BB487_794 Depth=1
	s_or_b64 exec, exec, s[16:17]
.LBB487_818:                            ;   in Loop: Header=BB487_794 Depth=1
	s_or_b64 exec, exec, s[14:15]
	s_waitcnt vmcnt(0)
	v_cmp_ne_u16_sdwa s[16:17], v4, v9 src0_sel:BYTE_0 src1_sel:DWORD
	s_and_saveexec_b64 s[14:15], s[16:17]
	s_cbranch_execz .LBB487_824
; %bb.819:                              ;   in Loop: Header=BB487_794 Depth=1
	v_cmp_ne_u16_sdwa s[18:19], v4, s5 src0_sel:BYTE_0 src1_sel:DWORD
	v_bfrev_b32_e32 v16, 1
	s_and_saveexec_b64 s[16:17], s[18:19]
	s_cbranch_execz .LBB487_823
; %bb.820:                              ;   in Loop: Header=BB487_794 Depth=1
	v_and_b32_e32 v6, 0x7f, v4
	v_cmp_ne_u32_e32 vcc, s21, v6
	v_mov_b32_e32 v16, 0x7f800001
	s_and_saveexec_b64 s[18:19], vcc
	s_cbranch_execz .LBB487_822
; %bb.821:                              ;   in Loop: Header=BB487_794 Depth=1
	v_and_b32_e32 v8, 7, v4
	v_ffbh_u32_e32 v16, v8
	v_min_u32_e32 v16, 32, v16
	v_subrev_u32_e32 v18, 28, v16
	v_lshlrev_b64 v[18:19], v18, v[4:5]
	v_lshrrev_b32_e32 v12, 3, v6
	v_sub_u32_e32 v16, 29, v16
	v_and_b32_e32 v18, 7, v18
	v_cmp_gt_u32_e32 vcc, 8, v6
	v_cndmask_b32_e32 v6, v12, v16, vcc
	v_cndmask_b32_e32 v8, v8, v18, vcc
	v_lshlrev_b32_e32 v12, 24, v4
	v_lshlrev_b32_e32 v8, 20, v8
	v_and_b32_e32 v12, 0x80000000, v12
	v_lshl_add_u32 v6, v6, 23, v10
	v_or3_b32 v16, v12, v6, v8
.LBB487_822:                            ;   in Loop: Header=BB487_794 Depth=1
	s_or_b64 exec, exec, s[18:19]
.LBB487_823:                            ;   in Loop: Header=BB487_794 Depth=1
	s_or_b64 exec, exec, s[16:17]
.LBB487_824:                            ;   in Loop: Header=BB487_794 Depth=1
	s_or_b64 exec, exec, s[14:15]
	v_lshrrev_b16_e32 v6, 8, v4
	v_cmp_ne_u16_e32 vcc, 0, v6
	v_mov_b32_e32 v8, 0
	v_mov_b32_e32 v18, 0
	s_and_saveexec_b64 s[14:15], vcc
	s_cbranch_execz .LBB487_830
; %bb.825:                              ;   in Loop: Header=BB487_794 Depth=1
	v_cmp_ne_u16_e32 vcc, s5, v6
	v_bfrev_b32_e32 v18, 1
	s_and_saveexec_b64 s[16:17], vcc
	s_cbranch_execz .LBB487_829
; %bb.826:                              ;   in Loop: Header=BB487_794 Depth=1
	v_and_b32_e32 v12, 0x7f, v6
	v_cmp_ne_u32_e32 vcc, s21, v12
	v_mov_b32_e32 v18, 0x7f800001
	s_and_saveexec_b64 s[18:19], vcc
	s_cbranch_execz .LBB487_828
; %bb.827:                              ;   in Loop: Header=BB487_794 Depth=1
	v_and_b32_e32 v20, 7, v6
	v_ffbh_u32_e32 v18, v20
	v_min_u32_e32 v22, 32, v18
	v_subrev_u32_e32 v18, 28, v22
	v_lshlrev_b64 v[18:19], v18, v[6:7]
	v_lshrrev_b32_e32 v21, 3, v12
	v_sub_u32_e32 v6, 29, v22
	v_and_b32_e32 v18, 7, v18
	v_cmp_gt_u32_e32 vcc, 8, v12
	v_cndmask_b32_e32 v6, v21, v6, vcc
	v_cndmask_b32_e32 v12, v20, v18, vcc
	v_lshlrev_b32_e32 v18, 16, v4
	v_lshlrev_b32_e32 v12, 20, v12
	v_and_b32_e32 v18, 0x80000000, v18
	v_lshl_add_u32 v6, v6, 23, v10
	v_or3_b32 v18, v18, v6, v12
.LBB487_828:                            ;   in Loop: Header=BB487_794 Depth=1
	s_or_b64 exec, exec, s[18:19]
.LBB487_829:                            ;   in Loop: Header=BB487_794 Depth=1
	s_or_b64 exec, exec, s[16:17]
.LBB487_830:                            ;   in Loop: Header=BB487_794 Depth=1
	s_or_b64 exec, exec, s[14:15]
	v_lshrrev_b32_e32 v6, 16, v4
	v_cmp_ne_u16_sdwa s[16:17], v6, v9 src0_sel:BYTE_0 src1_sel:DWORD
	s_and_saveexec_b64 s[14:15], s[16:17]
	s_cbranch_execz .LBB487_836
; %bb.831:                              ;   in Loop: Header=BB487_794 Depth=1
	v_cmp_ne_u16_sdwa s[18:19], v6, s5 src0_sel:BYTE_0 src1_sel:DWORD
	v_bfrev_b32_e32 v8, 1
	s_and_saveexec_b64 s[16:17], s[18:19]
	s_cbranch_execz .LBB487_835
; %bb.832:                              ;   in Loop: Header=BB487_794 Depth=1
	v_bfe_u32 v12, v4, 16, 7
	v_cmp_ne_u32_e32 vcc, s21, v12
	v_mov_b32_e32 v8, 0x7f800001
	s_and_saveexec_b64 s[18:19], vcc
	s_cbranch_execz .LBB487_834
; %bb.833:                              ;   in Loop: Header=BB487_794 Depth=1
	v_and_b32_e32 v8, 7, v6
	v_ffbh_u32_e32 v20, v8
	v_min_u32_e32 v22, 32, v20
	v_subrev_u32_e32 v20, 28, v22
	v_lshlrev_b64 v[20:21], v20, v[6:7]
	v_lshrrev_b32_e32 v19, 3, v12
	v_sub_u32_e32 v21, 29, v22
	v_and_b32_e32 v20, 7, v20
	v_cmp_gt_u32_e32 vcc, 8, v12
	v_cndmask_b32_e32 v12, v19, v21, vcc
	v_cndmask_b32_e32 v8, v8, v20, vcc
	v_lshlrev_b32_e32 v6, 24, v6
	v_lshlrev_b32_e32 v8, 20, v8
	v_and_b32_e32 v6, 0x80000000, v6
	v_lshl_add_u32 v12, v12, 23, v10
	v_or3_b32 v8, v6, v12, v8
.LBB487_834:                            ;   in Loop: Header=BB487_794 Depth=1
	s_or_b64 exec, exec, s[18:19]
.LBB487_835:                            ;   in Loop: Header=BB487_794 Depth=1
	s_or_b64 exec, exec, s[16:17]
.LBB487_836:                            ;   in Loop: Header=BB487_794 Depth=1
	s_or_b64 exec, exec, s[14:15]
	v_cmp_lt_u32_e32 vcc, s22, v4
	v_mov_b32_e32 v12, 0
	v_mov_b32_e32 v19, 0
	s_and_saveexec_b64 s[14:15], vcc
	s_cbranch_execz .LBB487_842
; %bb.837:                              ;   in Loop: Header=BB487_794 Depth=1
	v_lshrrev_b32_e32 v6, 24, v4
	v_cmp_ne_u32_e32 vcc, s5, v6
	v_bfrev_b32_e32 v19, 1
	s_and_saveexec_b64 s[16:17], vcc
	s_cbranch_execz .LBB487_841
; %bb.838:                              ;   in Loop: Header=BB487_794 Depth=1
	v_bfe_u32 v4, v4, 24, 7
	v_cmp_ne_u32_e32 vcc, s21, v4
	v_mov_b32_e32 v19, 0x7f800001
	s_and_saveexec_b64 s[18:19], vcc
	s_cbranch_execz .LBB487_840
; %bb.839:                              ;   in Loop: Header=BB487_794 Depth=1
	v_and_b32_e32 v19, 7, v6
	v_ffbh_u32_e32 v20, v19
	v_min_u32_e32 v23, 32, v20
	v_subrev_u32_e32 v20, 28, v23
	v_lshlrev_b64 v[20:21], v20, v[6:7]
	v_lshrrev_b32_e32 v22, 3, v4
	v_sub_u32_e32 v21, 29, v23
	v_and_b32_e32 v20, 7, v20
	v_cmp_gt_u32_e32 vcc, 8, v4
	v_cndmask_b32_e32 v4, v22, v21, vcc
	v_cndmask_b32_e32 v19, v19, v20, vcc
	v_lshlrev_b32_e32 v6, 24, v6
	v_lshlrev_b32_e32 v19, 20, v19
	v_and_b32_e32 v6, 0x80000000, v6
	v_lshl_add_u32 v4, v4, 23, v10
	v_or3_b32 v19, v6, v4, v19
.LBB487_840:                            ;   in Loop: Header=BB487_794 Depth=1
	s_or_b64 exec, exec, s[18:19]
.LBB487_841:                            ;   in Loop: Header=BB487_794 Depth=1
	s_or_b64 exec, exec, s[16:17]
.LBB487_842:                            ;   in Loop: Header=BB487_794 Depth=1
	s_or_b64 exec, exec, s[14:15]
	buffer_load_dword v6, v11, s[0:3], 0 offen offset:8
	buffer_load_dword v4, v11, s[0:3], 0 offen offset:12
	v_cvt_pkrtz_f16_f32 v20, v13, v15
	v_cvt_pkrtz_f16_f32 v21, v14, v17
	;; [unrolled: 1-line block ×4, first 2 shown]
	v_mfma_f32_4x4x4f16 a[0:3], v[2:3], v[20:21], 0 cbsz:4
	s_waitcnt vmcnt(1)
	v_cmp_ne_u16_sdwa s[16:17], v6, v9 src0_sel:BYTE_0 src1_sel:DWORD
	v_mfma_f32_4x4x4f16 a[0:3], v[2:3], v[14:15], a[0:3] cbsz:4 abid:1
	s_and_saveexec_b64 s[14:15], s[16:17]
	s_cbranch_execz .LBB487_848
; %bb.843:                              ;   in Loop: Header=BB487_794 Depth=1
	v_cmp_ne_u16_sdwa s[18:19], v6, s5 src0_sel:BYTE_0 src1_sel:DWORD
	v_bfrev_b32_e32 v12, 1
	s_and_saveexec_b64 s[16:17], s[18:19]
	s_cbranch_execz .LBB487_847
; %bb.844:                              ;   in Loop: Header=BB487_794 Depth=1
	v_and_b32_e32 v8, 0x7f, v6
	v_cmp_ne_u32_e32 vcc, s21, v8
	v_mov_b32_e32 v12, 0x7f800001
	s_and_saveexec_b64 s[18:19], vcc
	s_cbranch_execz .LBB487_846
; %bb.845:                              ;   in Loop: Header=BB487_794 Depth=1
	v_and_b32_e32 v14, 7, v6
	v_ffbh_u32_e32 v12, v14
	v_min_u32_e32 v16, 32, v12
	v_subrev_u32_e32 v12, 28, v16
	v_lshlrev_b64 v[12:13], v12, v[6:7]
	v_lshrrev_b32_e32 v15, 3, v8
	v_sub_u32_e32 v13, 29, v16
	v_and_b32_e32 v12, 7, v12
	v_cmp_gt_u32_e32 vcc, 8, v8
	v_cndmask_b32_e32 v8, v15, v13, vcc
	v_cndmask_b32_e32 v12, v14, v12, vcc
	v_lshlrev_b32_e32 v13, 24, v6
	v_lshlrev_b32_e32 v12, 20, v12
	v_and_b32_e32 v13, 0x80000000, v13
	v_lshl_add_u32 v8, v8, 23, v10
	v_or3_b32 v12, v13, v8, v12
.LBB487_846:                            ;   in Loop: Header=BB487_794 Depth=1
	s_or_b64 exec, exec, s[18:19]
.LBB487_847:                            ;   in Loop: Header=BB487_794 Depth=1
	s_or_b64 exec, exec, s[16:17]
.LBB487_848:                            ;   in Loop: Header=BB487_794 Depth=1
	s_or_b64 exec, exec, s[14:15]
	v_lshrrev_b16_e32 v8, 8, v6
	v_cmp_ne_u16_e32 vcc, 0, v8
	v_mov_b32_e32 v14, 0
	v_mov_b32_e32 v15, 0
	s_and_saveexec_b64 s[14:15], vcc
	s_cbranch_execz .LBB487_854
; %bb.849:                              ;   in Loop: Header=BB487_794 Depth=1
	v_cmp_ne_u16_e32 vcc, s5, v8
	v_bfrev_b32_e32 v15, 1
	s_and_saveexec_b64 s[16:17], vcc
	s_cbranch_execz .LBB487_853
; %bb.850:                              ;   in Loop: Header=BB487_794 Depth=1
	v_and_b32_e32 v13, 0x7f, v8
	v_cmp_ne_u32_e32 vcc, s21, v13
	v_mov_b32_e32 v15, 0x7f800001
	s_and_saveexec_b64 s[18:19], vcc
	s_cbranch_execz .LBB487_852
; %bb.851:                              ;   in Loop: Header=BB487_794 Depth=1
	v_and_b32_e32 v15, 7, v8
	v_ffbh_u32_e32 v16, v15
	v_min_u32_e32 v19, 32, v16
	v_subrev_u32_e32 v16, 28, v19
	v_lshlrev_b64 v[16:17], v16, v[8:9]
	v_lshrrev_b32_e32 v18, 3, v13
	v_sub_u32_e32 v8, 29, v19
	v_and_b32_e32 v16, 7, v16
	v_cmp_gt_u32_e32 vcc, 8, v13
	v_cndmask_b32_e32 v8, v18, v8, vcc
	v_cndmask_b32_e32 v13, v15, v16, vcc
	v_lshlrev_b32_e32 v15, 16, v6
	v_lshlrev_b32_e32 v13, 20, v13
	v_and_b32_e32 v15, 0x80000000, v15
	v_lshl_add_u32 v8, v8, 23, v10
	v_or3_b32 v15, v15, v8, v13
.LBB487_852:                            ;   in Loop: Header=BB487_794 Depth=1
	s_or_b64 exec, exec, s[18:19]
.LBB487_853:                            ;   in Loop: Header=BB487_794 Depth=1
	s_or_b64 exec, exec, s[16:17]
.LBB487_854:                            ;   in Loop: Header=BB487_794 Depth=1
	s_or_b64 exec, exec, s[14:15]
	v_lshrrev_b32_e32 v8, 16, v6
	v_cmp_ne_u16_sdwa s[16:17], v8, v9 src0_sel:BYTE_0 src1_sel:DWORD
	s_and_saveexec_b64 s[14:15], s[16:17]
	s_cbranch_execz .LBB487_860
; %bb.855:                              ;   in Loop: Header=BB487_794 Depth=1
	v_cmp_ne_u16_sdwa s[18:19], v8, s5 src0_sel:BYTE_0 src1_sel:DWORD
	v_bfrev_b32_e32 v14, 1
	s_and_saveexec_b64 s[16:17], s[18:19]
	s_cbranch_execz .LBB487_859
; %bb.856:                              ;   in Loop: Header=BB487_794 Depth=1
	v_bfe_u32 v13, v6, 16, 7
	v_cmp_ne_u32_e32 vcc, s21, v13
	v_mov_b32_e32 v14, 0x7f800001
	s_and_saveexec_b64 s[18:19], vcc
	s_cbranch_execz .LBB487_858
; %bb.857:                              ;   in Loop: Header=BB487_794 Depth=1
	v_and_b32_e32 v14, 7, v8
	v_ffbh_u32_e32 v16, v14
	v_min_u32_e32 v19, 32, v16
	v_subrev_u32_e32 v16, 28, v19
	v_lshlrev_b64 v[16:17], v16, v[8:9]
	v_lshrrev_b32_e32 v18, 3, v13
	v_sub_u32_e32 v17, 29, v19
	v_and_b32_e32 v16, 7, v16
	v_cmp_gt_u32_e32 vcc, 8, v13
	v_cndmask_b32_e32 v13, v18, v17, vcc
	v_cndmask_b32_e32 v14, v14, v16, vcc
	v_lshlrev_b32_e32 v8, 24, v8
	v_lshlrev_b32_e32 v14, 20, v14
	v_and_b32_e32 v8, 0x80000000, v8
	v_lshl_add_u32 v13, v13, 23, v10
	v_or3_b32 v14, v8, v13, v14
.LBB487_858:                            ;   in Loop: Header=BB487_794 Depth=1
	s_or_b64 exec, exec, s[18:19]
.LBB487_859:                            ;   in Loop: Header=BB487_794 Depth=1
	s_or_b64 exec, exec, s[16:17]
.LBB487_860:                            ;   in Loop: Header=BB487_794 Depth=1
	s_or_b64 exec, exec, s[14:15]
	v_cmp_lt_u32_e32 vcc, s22, v6
	v_mov_b32_e32 v16, 0
	v_mov_b32_e32 v17, 0
	s_and_saveexec_b64 s[14:15], vcc
	s_cbranch_execz .LBB487_866
; %bb.861:                              ;   in Loop: Header=BB487_794 Depth=1
	v_lshrrev_b32_e32 v8, 24, v6
	v_cmp_ne_u32_e32 vcc, s5, v8
	v_bfrev_b32_e32 v17, 1
	s_and_saveexec_b64 s[16:17], vcc
	s_cbranch_execz .LBB487_865
; %bb.862:                              ;   in Loop: Header=BB487_794 Depth=1
	v_bfe_u32 v6, v6, 24, 7
	v_cmp_ne_u32_e32 vcc, s21, v6
	v_mov_b32_e32 v17, 0x7f800001
	s_and_saveexec_b64 s[18:19], vcc
	s_cbranch_execz .LBB487_864
; %bb.863:                              ;   in Loop: Header=BB487_794 Depth=1
	v_and_b32_e32 v13, 7, v8
	v_ffbh_u32_e32 v18, v13
	v_min_u32_e32 v20, 32, v18
	v_subrev_u32_e32 v18, 28, v20
	v_lshlrev_b64 v[18:19], v18, v[8:9]
	v_lshrrev_b32_e32 v17, 3, v6
	v_sub_u32_e32 v19, 29, v20
	v_and_b32_e32 v18, 7, v18
	v_cmp_gt_u32_e32 vcc, 8, v6
	v_cndmask_b32_e32 v6, v17, v19, vcc
	v_cndmask_b32_e32 v13, v13, v18, vcc
	v_lshlrev_b32_e32 v8, 24, v8
	v_lshlrev_b32_e32 v13, 20, v13
	v_and_b32_e32 v8, 0x80000000, v8
	v_lshl_add_u32 v6, v6, 23, v10
	v_or3_b32 v17, v8, v6, v13
.LBB487_864:                            ;   in Loop: Header=BB487_794 Depth=1
	s_or_b64 exec, exec, s[18:19]
.LBB487_865:                            ;   in Loop: Header=BB487_794 Depth=1
	s_or_b64 exec, exec, s[16:17]
.LBB487_866:                            ;   in Loop: Header=BB487_794 Depth=1
	s_or_b64 exec, exec, s[14:15]
	s_waitcnt vmcnt(0)
	v_cmp_ne_u16_sdwa s[16:17], v4, v9 src0_sel:BYTE_0 src1_sel:DWORD
	s_and_saveexec_b64 s[14:15], s[16:17]
	s_cbranch_execz .LBB487_872
; %bb.867:                              ;   in Loop: Header=BB487_794 Depth=1
	v_cmp_ne_u16_sdwa s[18:19], v4, s5 src0_sel:BYTE_0 src1_sel:DWORD
	v_bfrev_b32_e32 v16, 1
	s_and_saveexec_b64 s[16:17], s[18:19]
	s_cbranch_execz .LBB487_871
; %bb.868:                              ;   in Loop: Header=BB487_794 Depth=1
	v_and_b32_e32 v6, 0x7f, v4
	v_cmp_ne_u32_e32 vcc, s21, v6
	v_mov_b32_e32 v16, 0x7f800001
	s_and_saveexec_b64 s[18:19], vcc
	s_cbranch_execz .LBB487_870
; %bb.869:                              ;   in Loop: Header=BB487_794 Depth=1
	v_and_b32_e32 v8, 7, v4
	v_ffbh_u32_e32 v16, v8
	v_min_u32_e32 v16, 32, v16
	v_subrev_u32_e32 v18, 28, v16
	v_lshlrev_b64 v[18:19], v18, v[4:5]
	v_lshrrev_b32_e32 v13, 3, v6
	v_sub_u32_e32 v16, 29, v16
	v_and_b32_e32 v18, 7, v18
	v_cmp_gt_u32_e32 vcc, 8, v6
	v_cndmask_b32_e32 v6, v13, v16, vcc
	v_cndmask_b32_e32 v8, v8, v18, vcc
	v_lshlrev_b32_e32 v13, 24, v4
	v_lshlrev_b32_e32 v8, 20, v8
	v_and_b32_e32 v13, 0x80000000, v13
	v_lshl_add_u32 v6, v6, 23, v10
	v_or3_b32 v16, v13, v6, v8
.LBB487_870:                            ;   in Loop: Header=BB487_794 Depth=1
	s_or_b64 exec, exec, s[18:19]
.LBB487_871:                            ;   in Loop: Header=BB487_794 Depth=1
	s_or_b64 exec, exec, s[16:17]
.LBB487_872:                            ;   in Loop: Header=BB487_794 Depth=1
	s_or_b64 exec, exec, s[14:15]
	v_lshrrev_b16_e32 v6, 8, v4
	v_cmp_ne_u16_e32 vcc, 0, v6
	v_mov_b32_e32 v8, 0
	v_mov_b32_e32 v18, 0
	s_and_saveexec_b64 s[14:15], vcc
	s_cbranch_execz .LBB487_878
; %bb.873:                              ;   in Loop: Header=BB487_794 Depth=1
	v_cmp_ne_u16_e32 vcc, s5, v6
	v_bfrev_b32_e32 v18, 1
	s_and_saveexec_b64 s[16:17], vcc
	s_cbranch_execz .LBB487_877
; %bb.874:                              ;   in Loop: Header=BB487_794 Depth=1
	v_and_b32_e32 v13, 0x7f, v6
	v_cmp_ne_u32_e32 vcc, s21, v13
	v_mov_b32_e32 v18, 0x7f800001
	s_and_saveexec_b64 s[18:19], vcc
	s_cbranch_execz .LBB487_876
; %bb.875:                              ;   in Loop: Header=BB487_794 Depth=1
	v_and_b32_e32 v20, 7, v6
	v_ffbh_u32_e32 v18, v20
	v_min_u32_e32 v22, 32, v18
	v_subrev_u32_e32 v18, 28, v22
	v_lshlrev_b64 v[18:19], v18, v[6:7]
	v_lshrrev_b32_e32 v21, 3, v13
	v_sub_u32_e32 v6, 29, v22
	v_and_b32_e32 v18, 7, v18
	v_cmp_gt_u32_e32 vcc, 8, v13
	v_cndmask_b32_e32 v6, v21, v6, vcc
	v_cndmask_b32_e32 v13, v20, v18, vcc
	v_lshlrev_b32_e32 v18, 16, v4
	v_lshlrev_b32_e32 v13, 20, v13
	v_and_b32_e32 v18, 0x80000000, v18
	v_lshl_add_u32 v6, v6, 23, v10
	v_or3_b32 v18, v18, v6, v13
.LBB487_876:                            ;   in Loop: Header=BB487_794 Depth=1
	s_or_b64 exec, exec, s[18:19]
.LBB487_877:                            ;   in Loop: Header=BB487_794 Depth=1
	s_or_b64 exec, exec, s[16:17]
.LBB487_878:                            ;   in Loop: Header=BB487_794 Depth=1
	s_or_b64 exec, exec, s[14:15]
	v_lshrrev_b32_e32 v6, 16, v4
	v_cmp_ne_u16_sdwa s[16:17], v6, v9 src0_sel:BYTE_0 src1_sel:DWORD
	s_and_saveexec_b64 s[14:15], s[16:17]
	s_cbranch_execz .LBB487_884
; %bb.879:                              ;   in Loop: Header=BB487_794 Depth=1
	v_cmp_ne_u16_sdwa s[18:19], v6, s5 src0_sel:BYTE_0 src1_sel:DWORD
	v_bfrev_b32_e32 v8, 1
	s_and_saveexec_b64 s[16:17], s[18:19]
	s_cbranch_execz .LBB487_883
; %bb.880:                              ;   in Loop: Header=BB487_794 Depth=1
	v_bfe_u32 v13, v4, 16, 7
	v_cmp_ne_u32_e32 vcc, s21, v13
	v_mov_b32_e32 v8, 0x7f800001
	s_and_saveexec_b64 s[18:19], vcc
	s_cbranch_execz .LBB487_882
; %bb.881:                              ;   in Loop: Header=BB487_794 Depth=1
	v_and_b32_e32 v8, 7, v6
	v_ffbh_u32_e32 v20, v8
	v_min_u32_e32 v22, 32, v20
	v_subrev_u32_e32 v20, 28, v22
	v_lshlrev_b64 v[20:21], v20, v[6:7]
	v_lshrrev_b32_e32 v19, 3, v13
	v_sub_u32_e32 v21, 29, v22
	v_and_b32_e32 v20, 7, v20
	v_cmp_gt_u32_e32 vcc, 8, v13
	v_cndmask_b32_e32 v13, v19, v21, vcc
	v_cndmask_b32_e32 v8, v8, v20, vcc
	v_lshlrev_b32_e32 v6, 24, v6
	v_lshlrev_b32_e32 v8, 20, v8
	v_and_b32_e32 v6, 0x80000000, v6
	v_lshl_add_u32 v13, v13, 23, v10
	v_or3_b32 v8, v6, v13, v8
.LBB487_882:                            ;   in Loop: Header=BB487_794 Depth=1
	s_or_b64 exec, exec, s[18:19]
.LBB487_883:                            ;   in Loop: Header=BB487_794 Depth=1
	s_or_b64 exec, exec, s[16:17]
.LBB487_884:                            ;   in Loop: Header=BB487_794 Depth=1
	s_or_b64 exec, exec, s[14:15]
	v_cmp_lt_u32_e32 vcc, s22, v4
	v_mov_b32_e32 v13, 0
	v_mov_b32_e32 v19, 0
	s_and_saveexec_b64 s[14:15], vcc
	s_cbranch_execz .LBB487_890
; %bb.885:                              ;   in Loop: Header=BB487_794 Depth=1
	v_lshrrev_b32_e32 v6, 24, v4
	v_cmp_ne_u32_e32 vcc, s5, v6
	v_bfrev_b32_e32 v19, 1
	s_and_saveexec_b64 s[16:17], vcc
	s_cbranch_execz .LBB487_889
; %bb.886:                              ;   in Loop: Header=BB487_794 Depth=1
	v_bfe_u32 v4, v4, 24, 7
	v_cmp_ne_u32_e32 vcc, s21, v4
	v_mov_b32_e32 v19, 0x7f800001
	s_and_saveexec_b64 s[18:19], vcc
	s_cbranch_execz .LBB487_888
; %bb.887:                              ;   in Loop: Header=BB487_794 Depth=1
	v_and_b32_e32 v19, 7, v6
	v_ffbh_u32_e32 v20, v19
	v_min_u32_e32 v23, 32, v20
	v_subrev_u32_e32 v20, 28, v23
	v_lshlrev_b64 v[20:21], v20, v[6:7]
	v_lshrrev_b32_e32 v22, 3, v4
	v_sub_u32_e32 v21, 29, v23
	v_and_b32_e32 v20, 7, v20
	v_cmp_gt_u32_e32 vcc, 8, v4
	v_cndmask_b32_e32 v4, v22, v21, vcc
	v_cndmask_b32_e32 v19, v19, v20, vcc
	v_lshlrev_b32_e32 v6, 24, v6
	v_lshlrev_b32_e32 v19, 20, v19
	v_and_b32_e32 v6, 0x80000000, v6
	v_lshl_add_u32 v4, v4, 23, v10
	v_or3_b32 v19, v6, v4, v19
.LBB487_888:                            ;   in Loop: Header=BB487_794 Depth=1
	s_or_b64 exec, exec, s[18:19]
.LBB487_889:                            ;   in Loop: Header=BB487_794 Depth=1
	s_or_b64 exec, exec, s[16:17]
.LBB487_890:                            ;   in Loop: Header=BB487_794 Depth=1
	s_or_b64 exec, exec, s[14:15]
	buffer_load_dword v6, v11, s[0:3], 0 offen offset:16
	buffer_load_dword v4, v11, s[0:3], 0 offen offset:20
	v_cvt_pkrtz_f16_f32 v20, v12, v15
	v_cvt_pkrtz_f16_f32 v21, v14, v17
	;; [unrolled: 1-line block ×4, first 2 shown]
	v_mfma_f32_4x4x4f16 a[0:3], v[2:3], v[20:21], a[0:3] cbsz:4 abid:2
	s_waitcnt vmcnt(1)
	v_cmp_ne_u16_sdwa s[16:17], v6, v9 src0_sel:BYTE_0 src1_sel:DWORD
	v_mfma_f32_4x4x4f16 a[0:3], v[2:3], v[14:15], a[0:3] cbsz:4 abid:3
	s_and_saveexec_b64 s[14:15], s[16:17]
	s_cbranch_execz .LBB487_896
; %bb.891:                              ;   in Loop: Header=BB487_794 Depth=1
	v_cmp_ne_u16_sdwa s[18:19], v6, s5 src0_sel:BYTE_0 src1_sel:DWORD
	v_bfrev_b32_e32 v13, 1
	s_and_saveexec_b64 s[16:17], s[18:19]
	s_cbranch_execz .LBB487_895
; %bb.892:                              ;   in Loop: Header=BB487_794 Depth=1
	v_and_b32_e32 v8, 0x7f, v6
	v_cmp_ne_u32_e32 vcc, s21, v8
	v_mov_b32_e32 v13, 0x7f800001
	s_and_saveexec_b64 s[18:19], vcc
	s_cbranch_execz .LBB487_894
; %bb.893:                              ;   in Loop: Header=BB487_794 Depth=1
	v_and_b32_e32 v14, 7, v6
	v_ffbh_u32_e32 v12, v14
	v_min_u32_e32 v16, 32, v12
	v_subrev_u32_e32 v12, 28, v16
	v_lshlrev_b64 v[12:13], v12, v[6:7]
	v_lshrrev_b32_e32 v15, 3, v8
	v_sub_u32_e32 v13, 29, v16
	v_and_b32_e32 v12, 7, v12
	v_cmp_gt_u32_e32 vcc, 8, v8
	v_cndmask_b32_e32 v8, v15, v13, vcc
	v_cndmask_b32_e32 v12, v14, v12, vcc
	v_lshlrev_b32_e32 v13, 24, v6
	v_lshlrev_b32_e32 v12, 20, v12
	v_and_b32_e32 v13, 0x80000000, v13
	v_lshl_add_u32 v8, v8, 23, v10
	v_or3_b32 v13, v13, v8, v12
.LBB487_894:                            ;   in Loop: Header=BB487_794 Depth=1
	s_or_b64 exec, exec, s[18:19]
.LBB487_895:                            ;   in Loop: Header=BB487_794 Depth=1
	s_or_b64 exec, exec, s[16:17]
.LBB487_896:                            ;   in Loop: Header=BB487_794 Depth=1
	s_or_b64 exec, exec, s[14:15]
	v_lshrrev_b16_e32 v8, 8, v6
	v_cmp_ne_u16_e32 vcc, 0, v8
	v_mov_b32_e32 v14, 0
	v_mov_b32_e32 v15, 0
	s_and_saveexec_b64 s[14:15], vcc
	s_cbranch_execz .LBB487_902
; %bb.897:                              ;   in Loop: Header=BB487_794 Depth=1
	v_cmp_ne_u16_e32 vcc, s5, v8
	v_bfrev_b32_e32 v15, 1
	s_and_saveexec_b64 s[16:17], vcc
	s_cbranch_execz .LBB487_901
; %bb.898:                              ;   in Loop: Header=BB487_794 Depth=1
	v_and_b32_e32 v12, 0x7f, v8
	v_cmp_ne_u32_e32 vcc, s21, v12
	v_mov_b32_e32 v15, 0x7f800001
	s_and_saveexec_b64 s[18:19], vcc
	s_cbranch_execz .LBB487_900
; %bb.899:                              ;   in Loop: Header=BB487_794 Depth=1
	v_and_b32_e32 v15, 7, v8
	v_ffbh_u32_e32 v16, v15
	v_min_u32_e32 v19, 32, v16
	v_subrev_u32_e32 v16, 28, v19
	v_lshlrev_b64 v[16:17], v16, v[8:9]
	v_lshrrev_b32_e32 v18, 3, v12
	v_sub_u32_e32 v8, 29, v19
	v_and_b32_e32 v16, 7, v16
	v_cmp_gt_u32_e32 vcc, 8, v12
	v_cndmask_b32_e32 v8, v18, v8, vcc
	v_cndmask_b32_e32 v12, v15, v16, vcc
	v_lshlrev_b32_e32 v15, 16, v6
	v_lshlrev_b32_e32 v12, 20, v12
	v_and_b32_e32 v15, 0x80000000, v15
	v_lshl_add_u32 v8, v8, 23, v10
	v_or3_b32 v15, v15, v8, v12
.LBB487_900:                            ;   in Loop: Header=BB487_794 Depth=1
	s_or_b64 exec, exec, s[18:19]
.LBB487_901:                            ;   in Loop: Header=BB487_794 Depth=1
	s_or_b64 exec, exec, s[16:17]
.LBB487_902:                            ;   in Loop: Header=BB487_794 Depth=1
	s_or_b64 exec, exec, s[14:15]
	v_lshrrev_b32_e32 v8, 16, v6
	v_cmp_ne_u16_sdwa s[16:17], v8, v9 src0_sel:BYTE_0 src1_sel:DWORD
	s_and_saveexec_b64 s[14:15], s[16:17]
	s_cbranch_execz .LBB487_908
; %bb.903:                              ;   in Loop: Header=BB487_794 Depth=1
	v_cmp_ne_u16_sdwa s[18:19], v8, s5 src0_sel:BYTE_0 src1_sel:DWORD
	v_bfrev_b32_e32 v14, 1
	s_and_saveexec_b64 s[16:17], s[18:19]
	s_cbranch_execz .LBB487_907
; %bb.904:                              ;   in Loop: Header=BB487_794 Depth=1
	v_bfe_u32 v12, v6, 16, 7
	v_cmp_ne_u32_e32 vcc, s21, v12
	v_mov_b32_e32 v14, 0x7f800001
	s_and_saveexec_b64 s[18:19], vcc
	s_cbranch_execz .LBB487_906
; %bb.905:                              ;   in Loop: Header=BB487_794 Depth=1
	v_and_b32_e32 v14, 7, v8
	v_ffbh_u32_e32 v16, v14
	v_min_u32_e32 v19, 32, v16
	v_subrev_u32_e32 v16, 28, v19
	v_lshlrev_b64 v[16:17], v16, v[8:9]
	v_lshrrev_b32_e32 v18, 3, v12
	v_sub_u32_e32 v17, 29, v19
	v_and_b32_e32 v16, 7, v16
	v_cmp_gt_u32_e32 vcc, 8, v12
	v_cndmask_b32_e32 v12, v18, v17, vcc
	v_cndmask_b32_e32 v14, v14, v16, vcc
	v_lshlrev_b32_e32 v8, 24, v8
	v_lshlrev_b32_e32 v14, 20, v14
	v_and_b32_e32 v8, 0x80000000, v8
	v_lshl_add_u32 v12, v12, 23, v10
	v_or3_b32 v14, v8, v12, v14
.LBB487_906:                            ;   in Loop: Header=BB487_794 Depth=1
	s_or_b64 exec, exec, s[18:19]
.LBB487_907:                            ;   in Loop: Header=BB487_794 Depth=1
	s_or_b64 exec, exec, s[16:17]
.LBB487_908:                            ;   in Loop: Header=BB487_794 Depth=1
	s_or_b64 exec, exec, s[14:15]
	v_cmp_lt_u32_e32 vcc, s22, v6
	v_mov_b32_e32 v16, 0
	v_mov_b32_e32 v17, 0
	s_and_saveexec_b64 s[14:15], vcc
	s_cbranch_execz .LBB487_914
; %bb.909:                              ;   in Loop: Header=BB487_794 Depth=1
	v_lshrrev_b32_e32 v8, 24, v6
	v_cmp_ne_u32_e32 vcc, s5, v8
	v_bfrev_b32_e32 v17, 1
	s_and_saveexec_b64 s[16:17], vcc
	s_cbranch_execz .LBB487_913
; %bb.910:                              ;   in Loop: Header=BB487_794 Depth=1
	v_bfe_u32 v6, v6, 24, 7
	v_cmp_ne_u32_e32 vcc, s21, v6
	v_mov_b32_e32 v17, 0x7f800001
	s_and_saveexec_b64 s[18:19], vcc
	s_cbranch_execz .LBB487_912
; %bb.911:                              ;   in Loop: Header=BB487_794 Depth=1
	v_and_b32_e32 v12, 7, v8
	v_ffbh_u32_e32 v18, v12
	v_min_u32_e32 v20, 32, v18
	v_subrev_u32_e32 v18, 28, v20
	v_lshlrev_b64 v[18:19], v18, v[8:9]
	v_lshrrev_b32_e32 v17, 3, v6
	v_sub_u32_e32 v19, 29, v20
	v_and_b32_e32 v18, 7, v18
	v_cmp_gt_u32_e32 vcc, 8, v6
	v_cndmask_b32_e32 v6, v17, v19, vcc
	v_cndmask_b32_e32 v12, v12, v18, vcc
	v_lshlrev_b32_e32 v8, 24, v8
	v_lshlrev_b32_e32 v12, 20, v12
	v_and_b32_e32 v8, 0x80000000, v8
	v_lshl_add_u32 v6, v6, 23, v10
	v_or3_b32 v17, v8, v6, v12
.LBB487_912:                            ;   in Loop: Header=BB487_794 Depth=1
	s_or_b64 exec, exec, s[18:19]
.LBB487_913:                            ;   in Loop: Header=BB487_794 Depth=1
	s_or_b64 exec, exec, s[16:17]
.LBB487_914:                            ;   in Loop: Header=BB487_794 Depth=1
	s_or_b64 exec, exec, s[14:15]
	s_waitcnt vmcnt(0)
	v_cmp_ne_u16_sdwa s[16:17], v4, v9 src0_sel:BYTE_0 src1_sel:DWORD
	s_and_saveexec_b64 s[14:15], s[16:17]
	s_cbranch_execz .LBB487_920
; %bb.915:                              ;   in Loop: Header=BB487_794 Depth=1
	v_cmp_ne_u16_sdwa s[18:19], v4, s5 src0_sel:BYTE_0 src1_sel:DWORD
	v_bfrev_b32_e32 v16, 1
	s_and_saveexec_b64 s[16:17], s[18:19]
	s_cbranch_execz .LBB487_919
; %bb.916:                              ;   in Loop: Header=BB487_794 Depth=1
	v_and_b32_e32 v6, 0x7f, v4
	v_cmp_ne_u32_e32 vcc, s21, v6
	v_mov_b32_e32 v16, 0x7f800001
	s_and_saveexec_b64 s[18:19], vcc
	s_cbranch_execz .LBB487_918
; %bb.917:                              ;   in Loop: Header=BB487_794 Depth=1
	v_and_b32_e32 v8, 7, v4
	v_ffbh_u32_e32 v16, v8
	v_min_u32_e32 v16, 32, v16
	v_subrev_u32_e32 v18, 28, v16
	v_lshlrev_b64 v[18:19], v18, v[4:5]
	v_lshrrev_b32_e32 v12, 3, v6
	v_sub_u32_e32 v16, 29, v16
	v_and_b32_e32 v18, 7, v18
	v_cmp_gt_u32_e32 vcc, 8, v6
	v_cndmask_b32_e32 v6, v12, v16, vcc
	v_cndmask_b32_e32 v8, v8, v18, vcc
	v_lshlrev_b32_e32 v12, 24, v4
	v_lshlrev_b32_e32 v8, 20, v8
	v_and_b32_e32 v12, 0x80000000, v12
	v_lshl_add_u32 v6, v6, 23, v10
	v_or3_b32 v16, v12, v6, v8
.LBB487_918:                            ;   in Loop: Header=BB487_794 Depth=1
	s_or_b64 exec, exec, s[18:19]
.LBB487_919:                            ;   in Loop: Header=BB487_794 Depth=1
	s_or_b64 exec, exec, s[16:17]
.LBB487_920:                            ;   in Loop: Header=BB487_794 Depth=1
	s_or_b64 exec, exec, s[14:15]
	v_lshrrev_b16_e32 v6, 8, v4
	v_cmp_ne_u16_e32 vcc, 0, v6
	v_mov_b32_e32 v8, 0
	v_mov_b32_e32 v18, 0
	s_and_saveexec_b64 s[14:15], vcc
	s_cbranch_execz .LBB487_926
; %bb.921:                              ;   in Loop: Header=BB487_794 Depth=1
	v_cmp_ne_u16_e32 vcc, s5, v6
	v_bfrev_b32_e32 v18, 1
	s_and_saveexec_b64 s[16:17], vcc
	s_cbranch_execz .LBB487_925
; %bb.922:                              ;   in Loop: Header=BB487_794 Depth=1
	v_and_b32_e32 v12, 0x7f, v6
	v_cmp_ne_u32_e32 vcc, s21, v12
	v_mov_b32_e32 v18, 0x7f800001
	s_and_saveexec_b64 s[18:19], vcc
	s_cbranch_execz .LBB487_924
; %bb.923:                              ;   in Loop: Header=BB487_794 Depth=1
	v_and_b32_e32 v20, 7, v6
	v_ffbh_u32_e32 v18, v20
	v_min_u32_e32 v22, 32, v18
	v_subrev_u32_e32 v18, 28, v22
	v_lshlrev_b64 v[18:19], v18, v[6:7]
	v_lshrrev_b32_e32 v21, 3, v12
	v_sub_u32_e32 v6, 29, v22
	v_and_b32_e32 v18, 7, v18
	v_cmp_gt_u32_e32 vcc, 8, v12
	v_cndmask_b32_e32 v6, v21, v6, vcc
	v_cndmask_b32_e32 v12, v20, v18, vcc
	v_lshlrev_b32_e32 v18, 16, v4
	v_lshlrev_b32_e32 v12, 20, v12
	v_and_b32_e32 v18, 0x80000000, v18
	v_lshl_add_u32 v6, v6, 23, v10
	v_or3_b32 v18, v18, v6, v12
.LBB487_924:                            ;   in Loop: Header=BB487_794 Depth=1
	s_or_b64 exec, exec, s[18:19]
.LBB487_925:                            ;   in Loop: Header=BB487_794 Depth=1
	s_or_b64 exec, exec, s[16:17]
.LBB487_926:                            ;   in Loop: Header=BB487_794 Depth=1
	s_or_b64 exec, exec, s[14:15]
	v_lshrrev_b32_e32 v6, 16, v4
	v_cmp_ne_u16_sdwa s[16:17], v6, v9 src0_sel:BYTE_0 src1_sel:DWORD
	s_and_saveexec_b64 s[14:15], s[16:17]
	s_cbranch_execz .LBB487_932
; %bb.927:                              ;   in Loop: Header=BB487_794 Depth=1
	v_cmp_ne_u16_sdwa s[18:19], v6, s5 src0_sel:BYTE_0 src1_sel:DWORD
	v_bfrev_b32_e32 v8, 1
	s_and_saveexec_b64 s[16:17], s[18:19]
	s_cbranch_execz .LBB487_931
; %bb.928:                              ;   in Loop: Header=BB487_794 Depth=1
	v_bfe_u32 v12, v4, 16, 7
	v_cmp_ne_u32_e32 vcc, s21, v12
	v_mov_b32_e32 v8, 0x7f800001
	s_and_saveexec_b64 s[18:19], vcc
	s_cbranch_execz .LBB487_930
; %bb.929:                              ;   in Loop: Header=BB487_794 Depth=1
	v_and_b32_e32 v8, 7, v6
	v_ffbh_u32_e32 v20, v8
	v_min_u32_e32 v22, 32, v20
	v_subrev_u32_e32 v20, 28, v22
	v_lshlrev_b64 v[20:21], v20, v[6:7]
	v_lshrrev_b32_e32 v19, 3, v12
	v_sub_u32_e32 v21, 29, v22
	v_and_b32_e32 v20, 7, v20
	v_cmp_gt_u32_e32 vcc, 8, v12
	v_cndmask_b32_e32 v12, v19, v21, vcc
	v_cndmask_b32_e32 v8, v8, v20, vcc
	v_lshlrev_b32_e32 v6, 24, v6
	v_lshlrev_b32_e32 v8, 20, v8
	v_and_b32_e32 v6, 0x80000000, v6
	v_lshl_add_u32 v12, v12, 23, v10
	v_or3_b32 v8, v6, v12, v8
.LBB487_930:                            ;   in Loop: Header=BB487_794 Depth=1
	s_or_b64 exec, exec, s[18:19]
.LBB487_931:                            ;   in Loop: Header=BB487_794 Depth=1
	s_or_b64 exec, exec, s[16:17]
.LBB487_932:                            ;   in Loop: Header=BB487_794 Depth=1
	s_or_b64 exec, exec, s[14:15]
	v_cmp_lt_u32_e32 vcc, s22, v4
	v_mov_b32_e32 v12, 0
	v_mov_b32_e32 v19, 0
	s_and_saveexec_b64 s[14:15], vcc
	s_cbranch_execz .LBB487_938
; %bb.933:                              ;   in Loop: Header=BB487_794 Depth=1
	v_lshrrev_b32_e32 v6, 24, v4
	v_cmp_ne_u32_e32 vcc, s5, v6
	v_bfrev_b32_e32 v19, 1
	s_and_saveexec_b64 s[16:17], vcc
	s_cbranch_execz .LBB487_937
; %bb.934:                              ;   in Loop: Header=BB487_794 Depth=1
	v_bfe_u32 v4, v4, 24, 7
	v_cmp_ne_u32_e32 vcc, s21, v4
	v_mov_b32_e32 v19, 0x7f800001
	s_and_saveexec_b64 s[18:19], vcc
	s_cbranch_execz .LBB487_936
; %bb.935:                              ;   in Loop: Header=BB487_794 Depth=1
	v_and_b32_e32 v19, 7, v6
	v_ffbh_u32_e32 v20, v19
	v_min_u32_e32 v23, 32, v20
	v_subrev_u32_e32 v20, 28, v23
	v_lshlrev_b64 v[20:21], v20, v[6:7]
	v_lshrrev_b32_e32 v22, 3, v4
	v_sub_u32_e32 v21, 29, v23
	v_and_b32_e32 v20, 7, v20
	v_cmp_gt_u32_e32 vcc, 8, v4
	v_cndmask_b32_e32 v4, v22, v21, vcc
	v_cndmask_b32_e32 v19, v19, v20, vcc
	v_lshlrev_b32_e32 v6, 24, v6
	v_lshlrev_b32_e32 v19, 20, v19
	v_and_b32_e32 v6, 0x80000000, v6
	v_lshl_add_u32 v4, v4, 23, v10
	v_or3_b32 v19, v6, v4, v19
.LBB487_936:                            ;   in Loop: Header=BB487_794 Depth=1
	s_or_b64 exec, exec, s[18:19]
.LBB487_937:                            ;   in Loop: Header=BB487_794 Depth=1
	s_or_b64 exec, exec, s[16:17]
.LBB487_938:                            ;   in Loop: Header=BB487_794 Depth=1
	s_or_b64 exec, exec, s[14:15]
	buffer_load_dword v6, v11, s[0:3], 0 offen offset:24
	buffer_load_dword v4, v11, s[0:3], 0 offen offset:28
	v_cvt_pkrtz_f16_f32 v20, v13, v15
	v_cvt_pkrtz_f16_f32 v21, v14, v17
	;; [unrolled: 1-line block ×4, first 2 shown]
	v_mfma_f32_4x4x4f16 a[0:3], v[2:3], v[20:21], a[0:3] cbsz:4 abid:4
	s_waitcnt vmcnt(1)
	v_cmp_ne_u16_sdwa s[16:17], v6, v9 src0_sel:BYTE_0 src1_sel:DWORD
	v_mfma_f32_4x4x4f16 a[0:3], v[2:3], v[14:15], a[0:3] cbsz:4 abid:5
	s_and_saveexec_b64 s[14:15], s[16:17]
	s_cbranch_execz .LBB487_944
; %bb.939:                              ;   in Loop: Header=BB487_794 Depth=1
	v_cmp_ne_u16_sdwa s[18:19], v6, s5 src0_sel:BYTE_0 src1_sel:DWORD
	v_bfrev_b32_e32 v12, 1
	s_and_saveexec_b64 s[16:17], s[18:19]
	s_cbranch_execz .LBB487_943
; %bb.940:                              ;   in Loop: Header=BB487_794 Depth=1
	v_and_b32_e32 v8, 0x7f, v6
	v_cmp_ne_u32_e32 vcc, s21, v8
	v_mov_b32_e32 v12, 0x7f800001
	s_and_saveexec_b64 s[18:19], vcc
	s_cbranch_execz .LBB487_942
; %bb.941:                              ;   in Loop: Header=BB487_794 Depth=1
	v_and_b32_e32 v14, 7, v6
	v_ffbh_u32_e32 v12, v14
	v_min_u32_e32 v16, 32, v12
	v_subrev_u32_e32 v12, 28, v16
	v_lshlrev_b64 v[12:13], v12, v[6:7]
	v_lshrrev_b32_e32 v15, 3, v8
	v_sub_u32_e32 v13, 29, v16
	v_and_b32_e32 v12, 7, v12
	v_cmp_gt_u32_e32 vcc, 8, v8
	v_cndmask_b32_e32 v8, v15, v13, vcc
	v_cndmask_b32_e32 v12, v14, v12, vcc
	v_lshlrev_b32_e32 v13, 24, v6
	v_lshlrev_b32_e32 v12, 20, v12
	v_and_b32_e32 v13, 0x80000000, v13
	v_lshl_add_u32 v8, v8, 23, v10
	v_or3_b32 v12, v13, v8, v12
.LBB487_942:                            ;   in Loop: Header=BB487_794 Depth=1
	s_or_b64 exec, exec, s[18:19]
.LBB487_943:                            ;   in Loop: Header=BB487_794 Depth=1
	s_or_b64 exec, exec, s[16:17]
.LBB487_944:                            ;   in Loop: Header=BB487_794 Depth=1
	s_or_b64 exec, exec, s[14:15]
	v_lshrrev_b16_e32 v8, 8, v6
	v_cmp_ne_u16_e32 vcc, 0, v8
	v_mov_b32_e32 v14, 0
	v_mov_b32_e32 v15, 0
	s_and_saveexec_b64 s[14:15], vcc
	s_cbranch_execz .LBB487_950
; %bb.945:                              ;   in Loop: Header=BB487_794 Depth=1
	v_cmp_ne_u16_e32 vcc, s5, v8
	v_bfrev_b32_e32 v15, 1
	s_and_saveexec_b64 s[16:17], vcc
	s_cbranch_execz .LBB487_949
; %bb.946:                              ;   in Loop: Header=BB487_794 Depth=1
	v_and_b32_e32 v13, 0x7f, v8
	v_cmp_ne_u32_e32 vcc, s21, v13
	v_mov_b32_e32 v15, 0x7f800001
	s_and_saveexec_b64 s[18:19], vcc
	s_cbranch_execz .LBB487_948
; %bb.947:                              ;   in Loop: Header=BB487_794 Depth=1
	v_and_b32_e32 v15, 7, v8
	v_ffbh_u32_e32 v16, v15
	v_min_u32_e32 v19, 32, v16
	v_subrev_u32_e32 v16, 28, v19
	v_lshlrev_b64 v[16:17], v16, v[8:9]
	v_lshrrev_b32_e32 v18, 3, v13
	v_sub_u32_e32 v8, 29, v19
	v_and_b32_e32 v16, 7, v16
	v_cmp_gt_u32_e32 vcc, 8, v13
	v_cndmask_b32_e32 v8, v18, v8, vcc
	v_cndmask_b32_e32 v13, v15, v16, vcc
	v_lshlrev_b32_e32 v15, 16, v6
	v_lshlrev_b32_e32 v13, 20, v13
	v_and_b32_e32 v15, 0x80000000, v15
	v_lshl_add_u32 v8, v8, 23, v10
	v_or3_b32 v15, v15, v8, v13
.LBB487_948:                            ;   in Loop: Header=BB487_794 Depth=1
	s_or_b64 exec, exec, s[18:19]
.LBB487_949:                            ;   in Loop: Header=BB487_794 Depth=1
	s_or_b64 exec, exec, s[16:17]
.LBB487_950:                            ;   in Loop: Header=BB487_794 Depth=1
	s_or_b64 exec, exec, s[14:15]
	v_lshrrev_b32_e32 v8, 16, v6
	v_cmp_ne_u16_sdwa s[16:17], v8, v9 src0_sel:BYTE_0 src1_sel:DWORD
	s_and_saveexec_b64 s[14:15], s[16:17]
	s_cbranch_execz .LBB487_956
; %bb.951:                              ;   in Loop: Header=BB487_794 Depth=1
	v_cmp_ne_u16_sdwa s[18:19], v8, s5 src0_sel:BYTE_0 src1_sel:DWORD
	v_bfrev_b32_e32 v14, 1
	s_and_saveexec_b64 s[16:17], s[18:19]
	s_cbranch_execz .LBB487_955
; %bb.952:                              ;   in Loop: Header=BB487_794 Depth=1
	v_bfe_u32 v13, v6, 16, 7
	v_cmp_ne_u32_e32 vcc, s21, v13
	v_mov_b32_e32 v14, 0x7f800001
	s_and_saveexec_b64 s[18:19], vcc
	s_cbranch_execz .LBB487_954
; %bb.953:                              ;   in Loop: Header=BB487_794 Depth=1
	v_and_b32_e32 v14, 7, v8
	v_ffbh_u32_e32 v16, v14
	v_min_u32_e32 v19, 32, v16
	v_subrev_u32_e32 v16, 28, v19
	v_lshlrev_b64 v[16:17], v16, v[8:9]
	v_lshrrev_b32_e32 v18, 3, v13
	v_sub_u32_e32 v17, 29, v19
	v_and_b32_e32 v16, 7, v16
	v_cmp_gt_u32_e32 vcc, 8, v13
	v_cndmask_b32_e32 v13, v18, v17, vcc
	v_cndmask_b32_e32 v14, v14, v16, vcc
	v_lshlrev_b32_e32 v8, 24, v8
	v_lshlrev_b32_e32 v14, 20, v14
	v_and_b32_e32 v8, 0x80000000, v8
	v_lshl_add_u32 v13, v13, 23, v10
	v_or3_b32 v14, v8, v13, v14
.LBB487_954:                            ;   in Loop: Header=BB487_794 Depth=1
	s_or_b64 exec, exec, s[18:19]
.LBB487_955:                            ;   in Loop: Header=BB487_794 Depth=1
	s_or_b64 exec, exec, s[16:17]
.LBB487_956:                            ;   in Loop: Header=BB487_794 Depth=1
	s_or_b64 exec, exec, s[14:15]
	v_cmp_lt_u32_e32 vcc, s22, v6
	v_mov_b32_e32 v16, 0
	v_mov_b32_e32 v17, 0
	s_and_saveexec_b64 s[14:15], vcc
	s_cbranch_execz .LBB487_962
; %bb.957:                              ;   in Loop: Header=BB487_794 Depth=1
	v_lshrrev_b32_e32 v8, 24, v6
	v_cmp_ne_u32_e32 vcc, s5, v8
	v_bfrev_b32_e32 v17, 1
	s_and_saveexec_b64 s[16:17], vcc
	s_cbranch_execz .LBB487_961
; %bb.958:                              ;   in Loop: Header=BB487_794 Depth=1
	v_bfe_u32 v6, v6, 24, 7
	v_cmp_ne_u32_e32 vcc, s21, v6
	v_mov_b32_e32 v17, 0x7f800001
	s_and_saveexec_b64 s[18:19], vcc
	s_cbranch_execz .LBB487_960
; %bb.959:                              ;   in Loop: Header=BB487_794 Depth=1
	v_and_b32_e32 v13, 7, v8
	v_ffbh_u32_e32 v18, v13
	v_min_u32_e32 v20, 32, v18
	v_subrev_u32_e32 v18, 28, v20
	v_lshlrev_b64 v[18:19], v18, v[8:9]
	v_lshrrev_b32_e32 v17, 3, v6
	v_sub_u32_e32 v19, 29, v20
	v_and_b32_e32 v18, 7, v18
	v_cmp_gt_u32_e32 vcc, 8, v6
	v_cndmask_b32_e32 v6, v17, v19, vcc
	v_cndmask_b32_e32 v13, v13, v18, vcc
	v_lshlrev_b32_e32 v8, 24, v8
	v_lshlrev_b32_e32 v13, 20, v13
	v_and_b32_e32 v8, 0x80000000, v8
	v_lshl_add_u32 v6, v6, 23, v10
	v_or3_b32 v17, v8, v6, v13
.LBB487_960:                            ;   in Loop: Header=BB487_794 Depth=1
	s_or_b64 exec, exec, s[18:19]
.LBB487_961:                            ;   in Loop: Header=BB487_794 Depth=1
	s_or_b64 exec, exec, s[16:17]
.LBB487_962:                            ;   in Loop: Header=BB487_794 Depth=1
	s_or_b64 exec, exec, s[14:15]
	s_waitcnt vmcnt(0)
	v_cmp_ne_u16_sdwa s[16:17], v4, v9 src0_sel:BYTE_0 src1_sel:DWORD
	s_and_saveexec_b64 s[14:15], s[16:17]
	s_cbranch_execz .LBB487_968
; %bb.963:                              ;   in Loop: Header=BB487_794 Depth=1
	v_cmp_ne_u16_sdwa s[18:19], v4, s5 src0_sel:BYTE_0 src1_sel:DWORD
	v_bfrev_b32_e32 v16, 1
	s_and_saveexec_b64 s[16:17], s[18:19]
	s_cbranch_execz .LBB487_967
; %bb.964:                              ;   in Loop: Header=BB487_794 Depth=1
	v_and_b32_e32 v6, 0x7f, v4
	v_cmp_ne_u32_e32 vcc, s21, v6
	v_mov_b32_e32 v16, 0x7f800001
	s_and_saveexec_b64 s[18:19], vcc
	s_cbranch_execz .LBB487_966
; %bb.965:                              ;   in Loop: Header=BB487_794 Depth=1
	v_and_b32_e32 v8, 7, v4
	v_ffbh_u32_e32 v16, v8
	v_min_u32_e32 v16, 32, v16
	v_subrev_u32_e32 v18, 28, v16
	v_lshlrev_b64 v[18:19], v18, v[4:5]
	v_lshrrev_b32_e32 v13, 3, v6
	v_sub_u32_e32 v16, 29, v16
	v_and_b32_e32 v18, 7, v18
	v_cmp_gt_u32_e32 vcc, 8, v6
	v_cndmask_b32_e32 v6, v13, v16, vcc
	v_cndmask_b32_e32 v8, v8, v18, vcc
	v_lshlrev_b32_e32 v13, 24, v4
	v_lshlrev_b32_e32 v8, 20, v8
	v_and_b32_e32 v13, 0x80000000, v13
	v_lshl_add_u32 v6, v6, 23, v10
	v_or3_b32 v16, v13, v6, v8
.LBB487_966:                            ;   in Loop: Header=BB487_794 Depth=1
	s_or_b64 exec, exec, s[18:19]
.LBB487_967:                            ;   in Loop: Header=BB487_794 Depth=1
	s_or_b64 exec, exec, s[16:17]
.LBB487_968:                            ;   in Loop: Header=BB487_794 Depth=1
	s_or_b64 exec, exec, s[14:15]
	v_lshrrev_b16_e32 v6, 8, v4
	v_cmp_ne_u16_e32 vcc, 0, v6
	v_mov_b32_e32 v8, 0
	v_mov_b32_e32 v18, 0
	s_and_saveexec_b64 s[14:15], vcc
	s_cbranch_execz .LBB487_974
; %bb.969:                              ;   in Loop: Header=BB487_794 Depth=1
	v_cmp_ne_u16_e32 vcc, s5, v6
	v_bfrev_b32_e32 v18, 1
	s_and_saveexec_b64 s[16:17], vcc
	s_cbranch_execz .LBB487_973
; %bb.970:                              ;   in Loop: Header=BB487_794 Depth=1
	v_and_b32_e32 v13, 0x7f, v6
	v_cmp_ne_u32_e32 vcc, s21, v13
	v_mov_b32_e32 v18, 0x7f800001
	s_and_saveexec_b64 s[18:19], vcc
	s_cbranch_execz .LBB487_972
; %bb.971:                              ;   in Loop: Header=BB487_794 Depth=1
	v_and_b32_e32 v20, 7, v6
	v_ffbh_u32_e32 v18, v20
	v_min_u32_e32 v22, 32, v18
	v_subrev_u32_e32 v18, 28, v22
	v_lshlrev_b64 v[18:19], v18, v[6:7]
	v_lshrrev_b32_e32 v21, 3, v13
	v_sub_u32_e32 v6, 29, v22
	v_and_b32_e32 v18, 7, v18
	v_cmp_gt_u32_e32 vcc, 8, v13
	v_cndmask_b32_e32 v6, v21, v6, vcc
	v_cndmask_b32_e32 v13, v20, v18, vcc
	v_lshlrev_b32_e32 v18, 16, v4
	v_lshlrev_b32_e32 v13, 20, v13
	v_and_b32_e32 v18, 0x80000000, v18
	v_lshl_add_u32 v6, v6, 23, v10
	v_or3_b32 v18, v18, v6, v13
.LBB487_972:                            ;   in Loop: Header=BB487_794 Depth=1
	s_or_b64 exec, exec, s[18:19]
.LBB487_973:                            ;   in Loop: Header=BB487_794 Depth=1
	s_or_b64 exec, exec, s[16:17]
.LBB487_974:                            ;   in Loop: Header=BB487_794 Depth=1
	s_or_b64 exec, exec, s[14:15]
	v_lshrrev_b32_e32 v6, 16, v4
	v_cmp_ne_u16_sdwa s[16:17], v6, v9 src0_sel:BYTE_0 src1_sel:DWORD
	s_and_saveexec_b64 s[14:15], s[16:17]
	s_cbranch_execz .LBB487_980
; %bb.975:                              ;   in Loop: Header=BB487_794 Depth=1
	v_cmp_ne_u16_sdwa s[18:19], v6, s5 src0_sel:BYTE_0 src1_sel:DWORD
	v_bfrev_b32_e32 v8, 1
	s_and_saveexec_b64 s[16:17], s[18:19]
	s_cbranch_execz .LBB487_979
; %bb.976:                              ;   in Loop: Header=BB487_794 Depth=1
	v_bfe_u32 v13, v4, 16, 7
	v_cmp_ne_u32_e32 vcc, s21, v13
	v_mov_b32_e32 v8, 0x7f800001
	s_and_saveexec_b64 s[18:19], vcc
	s_cbranch_execz .LBB487_978
; %bb.977:                              ;   in Loop: Header=BB487_794 Depth=1
	v_and_b32_e32 v8, 7, v6
	v_ffbh_u32_e32 v20, v8
	v_min_u32_e32 v22, 32, v20
	v_subrev_u32_e32 v20, 28, v22
	v_lshlrev_b64 v[20:21], v20, v[6:7]
	v_lshrrev_b32_e32 v19, 3, v13
	v_sub_u32_e32 v21, 29, v22
	v_and_b32_e32 v20, 7, v20
	v_cmp_gt_u32_e32 vcc, 8, v13
	v_cndmask_b32_e32 v13, v19, v21, vcc
	v_cndmask_b32_e32 v8, v8, v20, vcc
	v_lshlrev_b32_e32 v6, 24, v6
	v_lshlrev_b32_e32 v8, 20, v8
	v_and_b32_e32 v6, 0x80000000, v6
	v_lshl_add_u32 v13, v13, 23, v10
	v_or3_b32 v8, v6, v13, v8
.LBB487_978:                            ;   in Loop: Header=BB487_794 Depth=1
	s_or_b64 exec, exec, s[18:19]
.LBB487_979:                            ;   in Loop: Header=BB487_794 Depth=1
	s_or_b64 exec, exec, s[16:17]
.LBB487_980:                            ;   in Loop: Header=BB487_794 Depth=1
	s_or_b64 exec, exec, s[14:15]
	v_cmp_lt_u32_e32 vcc, s22, v4
	v_mov_b32_e32 v13, 0
	v_mov_b32_e32 v19, 0
	s_and_saveexec_b64 s[14:15], vcc
	s_cbranch_execz .LBB487_986
; %bb.981:                              ;   in Loop: Header=BB487_794 Depth=1
	v_lshrrev_b32_e32 v6, 24, v4
	v_cmp_ne_u32_e32 vcc, s5, v6
	v_bfrev_b32_e32 v19, 1
	s_and_saveexec_b64 s[16:17], vcc
	s_cbranch_execz .LBB487_985
; %bb.982:                              ;   in Loop: Header=BB487_794 Depth=1
	v_bfe_u32 v4, v4, 24, 7
	v_cmp_ne_u32_e32 vcc, s21, v4
	v_mov_b32_e32 v19, 0x7f800001
	s_and_saveexec_b64 s[18:19], vcc
	s_cbranch_execz .LBB487_984
; %bb.983:                              ;   in Loop: Header=BB487_794 Depth=1
	v_and_b32_e32 v19, 7, v6
	v_ffbh_u32_e32 v20, v19
	v_min_u32_e32 v23, 32, v20
	v_subrev_u32_e32 v20, 28, v23
	v_lshlrev_b64 v[20:21], v20, v[6:7]
	v_lshrrev_b32_e32 v22, 3, v4
	v_sub_u32_e32 v21, 29, v23
	v_and_b32_e32 v20, 7, v20
	v_cmp_gt_u32_e32 vcc, 8, v4
	v_cndmask_b32_e32 v4, v22, v21, vcc
	v_cndmask_b32_e32 v19, v19, v20, vcc
	v_lshlrev_b32_e32 v6, 24, v6
	v_lshlrev_b32_e32 v19, 20, v19
	v_and_b32_e32 v6, 0x80000000, v6
	v_lshl_add_u32 v4, v4, 23, v10
	v_or3_b32 v19, v6, v4, v19
.LBB487_984:                            ;   in Loop: Header=BB487_794 Depth=1
	s_or_b64 exec, exec, s[18:19]
.LBB487_985:                            ;   in Loop: Header=BB487_794 Depth=1
	s_or_b64 exec, exec, s[16:17]
.LBB487_986:                            ;   in Loop: Header=BB487_794 Depth=1
	s_or_b64 exec, exec, s[14:15]
	buffer_load_dword v6, v11, s[0:3], 0 offen offset:32
	buffer_load_dword v4, v11, s[0:3], 0 offen offset:36
	v_cvt_pkrtz_f16_f32 v20, v12, v15
	v_cvt_pkrtz_f16_f32 v21, v14, v17
	;; [unrolled: 1-line block ×4, first 2 shown]
	v_mfma_f32_4x4x4f16 a[0:3], v[2:3], v[20:21], a[0:3] cbsz:4 abid:6
	s_waitcnt vmcnt(1)
	v_cmp_ne_u16_sdwa s[16:17], v6, v9 src0_sel:BYTE_0 src1_sel:DWORD
	v_mfma_f32_4x4x4f16 a[0:3], v[2:3], v[14:15], a[0:3] cbsz:4 abid:7
	s_and_saveexec_b64 s[14:15], s[16:17]
	s_cbranch_execz .LBB487_992
; %bb.987:                              ;   in Loop: Header=BB487_794 Depth=1
	v_cmp_ne_u16_sdwa s[18:19], v6, s5 src0_sel:BYTE_0 src1_sel:DWORD
	v_bfrev_b32_e32 v13, 1
	s_and_saveexec_b64 s[16:17], s[18:19]
	s_cbranch_execz .LBB487_991
; %bb.988:                              ;   in Loop: Header=BB487_794 Depth=1
	v_and_b32_e32 v8, 0x7f, v6
	v_cmp_ne_u32_e32 vcc, s21, v8
	v_mov_b32_e32 v13, 0x7f800001
	s_and_saveexec_b64 s[18:19], vcc
	s_cbranch_execz .LBB487_990
; %bb.989:                              ;   in Loop: Header=BB487_794 Depth=1
	v_and_b32_e32 v14, 7, v6
	v_ffbh_u32_e32 v12, v14
	v_min_u32_e32 v16, 32, v12
	v_subrev_u32_e32 v12, 28, v16
	v_lshlrev_b64 v[12:13], v12, v[6:7]
	v_lshrrev_b32_e32 v15, 3, v8
	v_sub_u32_e32 v13, 29, v16
	v_and_b32_e32 v12, 7, v12
	v_cmp_gt_u32_e32 vcc, 8, v8
	v_cndmask_b32_e32 v8, v15, v13, vcc
	v_cndmask_b32_e32 v12, v14, v12, vcc
	v_lshlrev_b32_e32 v13, 24, v6
	v_lshlrev_b32_e32 v12, 20, v12
	v_and_b32_e32 v13, 0x80000000, v13
	v_lshl_add_u32 v8, v8, 23, v10
	v_or3_b32 v13, v13, v8, v12
.LBB487_990:                            ;   in Loop: Header=BB487_794 Depth=1
	s_or_b64 exec, exec, s[18:19]
.LBB487_991:                            ;   in Loop: Header=BB487_794 Depth=1
	s_or_b64 exec, exec, s[16:17]
.LBB487_992:                            ;   in Loop: Header=BB487_794 Depth=1
	s_or_b64 exec, exec, s[14:15]
	v_lshrrev_b16_e32 v8, 8, v6
	v_cmp_ne_u16_e32 vcc, 0, v8
	v_mov_b32_e32 v12, 0
	v_mov_b32_e32 v15, 0
	s_and_saveexec_b64 s[14:15], vcc
	s_cbranch_execz .LBB487_998
; %bb.993:                              ;   in Loop: Header=BB487_794 Depth=1
	v_cmp_ne_u16_e32 vcc, s5, v8
	v_bfrev_b32_e32 v15, 1
	s_and_saveexec_b64 s[16:17], vcc
	s_cbranch_execz .LBB487_997
; %bb.994:                              ;   in Loop: Header=BB487_794 Depth=1
	v_and_b32_e32 v14, 0x7f, v8
	v_cmp_ne_u32_e32 vcc, s21, v14
	v_mov_b32_e32 v15, 0x7f800001
	s_and_saveexec_b64 s[18:19], vcc
	s_cbranch_execz .LBB487_996
; %bb.995:                              ;   in Loop: Header=BB487_794 Depth=1
	v_and_b32_e32 v15, 7, v8
	v_ffbh_u32_e32 v16, v15
	v_min_u32_e32 v19, 32, v16
	v_subrev_u32_e32 v16, 28, v19
	v_lshlrev_b64 v[16:17], v16, v[8:9]
	v_lshrrev_b32_e32 v18, 3, v14
	v_sub_u32_e32 v8, 29, v19
	v_and_b32_e32 v16, 7, v16
	v_cmp_gt_u32_e32 vcc, 8, v14
	v_cndmask_b32_e32 v8, v18, v8, vcc
	v_cndmask_b32_e32 v14, v15, v16, vcc
	v_lshlrev_b32_e32 v15, 16, v6
	v_lshlrev_b32_e32 v14, 20, v14
	v_and_b32_e32 v15, 0x80000000, v15
	v_lshl_add_u32 v8, v8, 23, v10
	v_or3_b32 v15, v15, v8, v14
.LBB487_996:                            ;   in Loop: Header=BB487_794 Depth=1
	s_or_b64 exec, exec, s[18:19]
.LBB487_997:                            ;   in Loop: Header=BB487_794 Depth=1
	s_or_b64 exec, exec, s[16:17]
.LBB487_998:                            ;   in Loop: Header=BB487_794 Depth=1
	s_or_b64 exec, exec, s[14:15]
	v_lshrrev_b32_e32 v8, 16, v6
	v_cmp_ne_u16_sdwa s[16:17], v8, v9 src0_sel:BYTE_0 src1_sel:DWORD
	s_and_saveexec_b64 s[14:15], s[16:17]
	s_cbranch_execz .LBB487_1004
; %bb.999:                              ;   in Loop: Header=BB487_794 Depth=1
	v_cmp_ne_u16_sdwa s[18:19], v8, s5 src0_sel:BYTE_0 src1_sel:DWORD
	v_bfrev_b32_e32 v12, 1
	s_and_saveexec_b64 s[16:17], s[18:19]
	s_cbranch_execz .LBB487_1003
; %bb.1000:                             ;   in Loop: Header=BB487_794 Depth=1
	v_bfe_u32 v14, v6, 16, 7
	v_cmp_ne_u32_e32 vcc, s21, v14
	v_mov_b32_e32 v12, 0x7f800001
	s_and_saveexec_b64 s[18:19], vcc
	s_cbranch_execz .LBB487_1002
; %bb.1001:                             ;   in Loop: Header=BB487_794 Depth=1
	v_and_b32_e32 v12, 7, v8
	v_ffbh_u32_e32 v16, v12
	v_min_u32_e32 v19, 32, v16
	v_subrev_u32_e32 v16, 28, v19
	v_lshlrev_b64 v[16:17], v16, v[8:9]
	v_lshrrev_b32_e32 v18, 3, v14
	v_sub_u32_e32 v17, 29, v19
	v_and_b32_e32 v16, 7, v16
	v_cmp_gt_u32_e32 vcc, 8, v14
	v_cndmask_b32_e32 v14, v18, v17, vcc
	v_cndmask_b32_e32 v12, v12, v16, vcc
	v_lshlrev_b32_e32 v8, 24, v8
	v_lshlrev_b32_e32 v12, 20, v12
	v_and_b32_e32 v8, 0x80000000, v8
	v_lshl_add_u32 v14, v14, 23, v10
	v_or3_b32 v12, v8, v14, v12
.LBB487_1002:                           ;   in Loop: Header=BB487_794 Depth=1
	s_or_b64 exec, exec, s[18:19]
.LBB487_1003:                           ;   in Loop: Header=BB487_794 Depth=1
	s_or_b64 exec, exec, s[16:17]
.LBB487_1004:                           ;   in Loop: Header=BB487_794 Depth=1
	s_or_b64 exec, exec, s[14:15]
	v_cmp_lt_u32_e32 vcc, s22, v6
	v_mov_b32_e32 v16, 0
	v_mov_b32_e32 v17, 0
	s_and_saveexec_b64 s[14:15], vcc
	s_cbranch_execz .LBB487_1010
; %bb.1005:                             ;   in Loop: Header=BB487_794 Depth=1
	v_lshrrev_b32_e32 v8, 24, v6
	v_cmp_ne_u32_e32 vcc, s5, v8
	v_bfrev_b32_e32 v17, 1
	s_and_saveexec_b64 s[16:17], vcc
	s_cbranch_execz .LBB487_1009
; %bb.1006:                             ;   in Loop: Header=BB487_794 Depth=1
	v_bfe_u32 v6, v6, 24, 7
	v_cmp_ne_u32_e32 vcc, s21, v6
	v_mov_b32_e32 v17, 0x7f800001
	s_and_saveexec_b64 s[18:19], vcc
	s_cbranch_execz .LBB487_1008
; %bb.1007:                             ;   in Loop: Header=BB487_794 Depth=1
	v_and_b32_e32 v14, 7, v8
	v_ffbh_u32_e32 v18, v14
	v_min_u32_e32 v20, 32, v18
	v_subrev_u32_e32 v18, 28, v20
	v_lshlrev_b64 v[18:19], v18, v[8:9]
	v_lshrrev_b32_e32 v17, 3, v6
	v_sub_u32_e32 v19, 29, v20
	v_and_b32_e32 v18, 7, v18
	v_cmp_gt_u32_e32 vcc, 8, v6
	v_cndmask_b32_e32 v6, v17, v19, vcc
	v_cndmask_b32_e32 v14, v14, v18, vcc
	v_lshlrev_b32_e32 v8, 24, v8
	v_lshlrev_b32_e32 v14, 20, v14
	v_and_b32_e32 v8, 0x80000000, v8
	v_lshl_add_u32 v6, v6, 23, v10
	v_or3_b32 v17, v8, v6, v14
.LBB487_1008:                           ;   in Loop: Header=BB487_794 Depth=1
	s_or_b64 exec, exec, s[18:19]
.LBB487_1009:                           ;   in Loop: Header=BB487_794 Depth=1
	s_or_b64 exec, exec, s[16:17]
.LBB487_1010:                           ;   in Loop: Header=BB487_794 Depth=1
	s_or_b64 exec, exec, s[14:15]
	s_waitcnt vmcnt(0)
	v_cmp_ne_u16_sdwa s[16:17], v4, v9 src0_sel:BYTE_0 src1_sel:DWORD
	s_and_saveexec_b64 s[14:15], s[16:17]
	s_cbranch_execz .LBB487_1016
; %bb.1011:                             ;   in Loop: Header=BB487_794 Depth=1
	v_cmp_ne_u16_sdwa s[18:19], v4, s5 src0_sel:BYTE_0 src1_sel:DWORD
	v_bfrev_b32_e32 v16, 1
	s_and_saveexec_b64 s[16:17], s[18:19]
	s_cbranch_execz .LBB487_1015
; %bb.1012:                             ;   in Loop: Header=BB487_794 Depth=1
	v_and_b32_e32 v6, 0x7f, v4
	v_cmp_ne_u32_e32 vcc, s21, v6
	v_mov_b32_e32 v16, 0x7f800001
	s_and_saveexec_b64 s[18:19], vcc
	s_cbranch_execz .LBB487_1014
; %bb.1013:                             ;   in Loop: Header=BB487_794 Depth=1
	v_and_b32_e32 v8, 7, v4
	v_ffbh_u32_e32 v16, v8
	v_min_u32_e32 v16, 32, v16
	v_subrev_u32_e32 v18, 28, v16
	v_lshlrev_b64 v[18:19], v18, v[4:5]
	v_lshrrev_b32_e32 v14, 3, v6
	v_sub_u32_e32 v16, 29, v16
	v_and_b32_e32 v18, 7, v18
	v_cmp_gt_u32_e32 vcc, 8, v6
	v_cndmask_b32_e32 v6, v14, v16, vcc
	v_cndmask_b32_e32 v8, v8, v18, vcc
	v_lshlrev_b32_e32 v14, 24, v4
	v_lshlrev_b32_e32 v8, 20, v8
	v_and_b32_e32 v14, 0x80000000, v14
	v_lshl_add_u32 v6, v6, 23, v10
	v_or3_b32 v16, v14, v6, v8
.LBB487_1014:                           ;   in Loop: Header=BB487_794 Depth=1
	s_or_b64 exec, exec, s[18:19]
.LBB487_1015:                           ;   in Loop: Header=BB487_794 Depth=1
	s_or_b64 exec, exec, s[16:17]
.LBB487_1016:                           ;   in Loop: Header=BB487_794 Depth=1
	s_or_b64 exec, exec, s[14:15]
	v_lshrrev_b16_e32 v6, 8, v4
	v_cmp_ne_u16_e32 vcc, 0, v6
	v_mov_b32_e32 v8, 0
	v_mov_b32_e32 v18, 0
	s_and_saveexec_b64 s[14:15], vcc
	s_cbranch_execz .LBB487_1022
; %bb.1017:                             ;   in Loop: Header=BB487_794 Depth=1
	v_cmp_ne_u16_e32 vcc, s5, v6
	v_bfrev_b32_e32 v18, 1
	s_and_saveexec_b64 s[16:17], vcc
	s_cbranch_execz .LBB487_1021
; %bb.1018:                             ;   in Loop: Header=BB487_794 Depth=1
	v_and_b32_e32 v14, 0x7f, v6
	v_cmp_ne_u32_e32 vcc, s21, v14
	v_mov_b32_e32 v18, 0x7f800001
	s_and_saveexec_b64 s[18:19], vcc
	s_cbranch_execz .LBB487_1020
; %bb.1019:                             ;   in Loop: Header=BB487_794 Depth=1
	v_and_b32_e32 v20, 7, v6
	v_ffbh_u32_e32 v18, v20
	v_min_u32_e32 v22, 32, v18
	v_subrev_u32_e32 v18, 28, v22
	v_lshlrev_b64 v[18:19], v18, v[6:7]
	v_lshrrev_b32_e32 v21, 3, v14
	v_sub_u32_e32 v6, 29, v22
	v_and_b32_e32 v18, 7, v18
	v_cmp_gt_u32_e32 vcc, 8, v14
	v_cndmask_b32_e32 v6, v21, v6, vcc
	v_cndmask_b32_e32 v14, v20, v18, vcc
	v_lshlrev_b32_e32 v18, 16, v4
	v_lshlrev_b32_e32 v14, 20, v14
	v_and_b32_e32 v18, 0x80000000, v18
	v_lshl_add_u32 v6, v6, 23, v10
	v_or3_b32 v18, v18, v6, v14
.LBB487_1020:                           ;   in Loop: Header=BB487_794 Depth=1
	s_or_b64 exec, exec, s[18:19]
.LBB487_1021:                           ;   in Loop: Header=BB487_794 Depth=1
	s_or_b64 exec, exec, s[16:17]
.LBB487_1022:                           ;   in Loop: Header=BB487_794 Depth=1
	s_or_b64 exec, exec, s[14:15]
	v_lshrrev_b32_e32 v6, 16, v4
	v_cmp_ne_u16_sdwa s[16:17], v6, v9 src0_sel:BYTE_0 src1_sel:DWORD
	s_and_saveexec_b64 s[14:15], s[16:17]
	s_cbranch_execz .LBB487_1028
; %bb.1023:                             ;   in Loop: Header=BB487_794 Depth=1
	v_cmp_ne_u16_sdwa s[18:19], v6, s5 src0_sel:BYTE_0 src1_sel:DWORD
	v_bfrev_b32_e32 v8, 1
	s_and_saveexec_b64 s[16:17], s[18:19]
	s_cbranch_execz .LBB487_1027
; %bb.1024:                             ;   in Loop: Header=BB487_794 Depth=1
	v_bfe_u32 v14, v4, 16, 7
	v_cmp_ne_u32_e32 vcc, s21, v14
	v_mov_b32_e32 v8, 0x7f800001
	s_and_saveexec_b64 s[18:19], vcc
	s_cbranch_execz .LBB487_1026
; %bb.1025:                             ;   in Loop: Header=BB487_794 Depth=1
	v_and_b32_e32 v8, 7, v6
	v_ffbh_u32_e32 v20, v8
	v_min_u32_e32 v22, 32, v20
	v_subrev_u32_e32 v20, 28, v22
	v_lshlrev_b64 v[20:21], v20, v[6:7]
	v_lshrrev_b32_e32 v19, 3, v14
	v_sub_u32_e32 v21, 29, v22
	v_and_b32_e32 v20, 7, v20
	v_cmp_gt_u32_e32 vcc, 8, v14
	v_cndmask_b32_e32 v14, v19, v21, vcc
	v_cndmask_b32_e32 v8, v8, v20, vcc
	v_lshlrev_b32_e32 v6, 24, v6
	v_lshlrev_b32_e32 v8, 20, v8
	v_and_b32_e32 v6, 0x80000000, v6
	v_lshl_add_u32 v14, v14, 23, v10
	v_or3_b32 v8, v6, v14, v8
.LBB487_1026:                           ;   in Loop: Header=BB487_794 Depth=1
	s_or_b64 exec, exec, s[18:19]
.LBB487_1027:                           ;   in Loop: Header=BB487_794 Depth=1
	s_or_b64 exec, exec, s[16:17]
.LBB487_1028:                           ;   in Loop: Header=BB487_794 Depth=1
	s_or_b64 exec, exec, s[14:15]
	v_cmp_lt_u32_e32 vcc, s22, v4
	v_mov_b32_e32 v14, 0
	v_mov_b32_e32 v19, 0
	s_and_saveexec_b64 s[14:15], vcc
	s_cbranch_execz .LBB487_1034
; %bb.1029:                             ;   in Loop: Header=BB487_794 Depth=1
	v_lshrrev_b32_e32 v6, 24, v4
	v_cmp_ne_u32_e32 vcc, s5, v6
	v_bfrev_b32_e32 v19, 1
	s_and_saveexec_b64 s[16:17], vcc
	s_cbranch_execz .LBB487_1033
; %bb.1030:                             ;   in Loop: Header=BB487_794 Depth=1
	v_bfe_u32 v4, v4, 24, 7
	v_cmp_ne_u32_e32 vcc, s21, v4
	v_mov_b32_e32 v19, 0x7f800001
	s_and_saveexec_b64 s[18:19], vcc
	s_cbranch_execz .LBB487_1032
; %bb.1031:                             ;   in Loop: Header=BB487_794 Depth=1
	v_and_b32_e32 v19, 7, v6
	v_ffbh_u32_e32 v20, v19
	v_min_u32_e32 v23, 32, v20
	v_subrev_u32_e32 v20, 28, v23
	v_lshlrev_b64 v[20:21], v20, v[6:7]
	v_lshrrev_b32_e32 v22, 3, v4
	v_sub_u32_e32 v21, 29, v23
	v_and_b32_e32 v20, 7, v20
	v_cmp_gt_u32_e32 vcc, 8, v4
	v_cndmask_b32_e32 v4, v22, v21, vcc
	v_cndmask_b32_e32 v19, v19, v20, vcc
	v_lshlrev_b32_e32 v6, 24, v6
	v_lshlrev_b32_e32 v19, 20, v19
	v_and_b32_e32 v6, 0x80000000, v6
	v_lshl_add_u32 v4, v4, 23, v10
	v_or3_b32 v19, v6, v4, v19
.LBB487_1032:                           ;   in Loop: Header=BB487_794 Depth=1
	s_or_b64 exec, exec, s[18:19]
.LBB487_1033:                           ;   in Loop: Header=BB487_794 Depth=1
	s_or_b64 exec, exec, s[16:17]
.LBB487_1034:                           ;   in Loop: Header=BB487_794 Depth=1
	s_or_b64 exec, exec, s[14:15]
	buffer_load_dword v6, v11, s[0:3], 0 offen offset:40
	buffer_load_dword v4, v11, s[0:3], 0 offen offset:44
	v_cvt_pkrtz_f16_f32 v20, v13, v15
	v_cvt_pkrtz_f16_f32 v21, v12, v17
	v_cvt_pkrtz_f16_f32 v12, v16, v18
	v_cvt_pkrtz_f16_f32 v13, v8, v19
	v_mfma_f32_4x4x4f16 a[0:3], v[2:3], v[20:21], a[0:3] cbsz:4 abid:8
	s_waitcnt vmcnt(1)
	v_cmp_ne_u16_sdwa s[16:17], v6, v9 src0_sel:BYTE_0 src1_sel:DWORD
	v_mfma_f32_4x4x4f16 a[0:3], v[2:3], v[12:13], a[0:3] cbsz:4 abid:9
	s_and_saveexec_b64 s[14:15], s[16:17]
	s_cbranch_execz .LBB487_1040
; %bb.1035:                             ;   in Loop: Header=BB487_794 Depth=1
	v_cmp_ne_u16_sdwa s[18:19], v6, s5 src0_sel:BYTE_0 src1_sel:DWORD
	v_bfrev_b32_e32 v14, 1
	s_and_saveexec_b64 s[16:17], s[18:19]
	s_cbranch_execz .LBB487_1039
; %bb.1036:                             ;   in Loop: Header=BB487_794 Depth=1
	v_and_b32_e32 v8, 0x7f, v6
	v_cmp_ne_u32_e32 vcc, s21, v8
	v_mov_b32_e32 v14, 0x7f800001
	s_and_saveexec_b64 s[18:19], vcc
	s_cbranch_execz .LBB487_1038
; %bb.1037:                             ;   in Loop: Header=BB487_794 Depth=1
	v_and_b32_e32 v14, 7, v6
	v_ffbh_u32_e32 v12, v14
	v_min_u32_e32 v16, 32, v12
	v_subrev_u32_e32 v12, 28, v16
	v_lshlrev_b64 v[12:13], v12, v[6:7]
	v_lshrrev_b32_e32 v15, 3, v8
	v_sub_u32_e32 v13, 29, v16
	v_and_b32_e32 v12, 7, v12
	v_cmp_gt_u32_e32 vcc, 8, v8
	v_cndmask_b32_e32 v8, v15, v13, vcc
	v_cndmask_b32_e32 v12, v14, v12, vcc
	v_lshlrev_b32_e32 v13, 24, v6
	v_lshlrev_b32_e32 v12, 20, v12
	v_and_b32_e32 v13, 0x80000000, v13
	v_lshl_add_u32 v8, v8, 23, v10
	v_or3_b32 v14, v13, v8, v12
.LBB487_1038:                           ;   in Loop: Header=BB487_794 Depth=1
	s_or_b64 exec, exec, s[18:19]
.LBB487_1039:                           ;   in Loop: Header=BB487_794 Depth=1
	s_or_b64 exec, exec, s[16:17]
.LBB487_1040:                           ;   in Loop: Header=BB487_794 Depth=1
	s_or_b64 exec, exec, s[14:15]
	v_lshrrev_b16_e32 v8, 8, v6
	v_cmp_ne_u16_e32 vcc, 0, v8
	v_mov_b32_e32 v13, 0
	v_mov_b32_e32 v15, 0
	s_and_saveexec_b64 s[14:15], vcc
	s_cbranch_execz .LBB487_1046
; %bb.1041:                             ;   in Loop: Header=BB487_794 Depth=1
	v_cmp_ne_u16_e32 vcc, s5, v8
	v_bfrev_b32_e32 v15, 1
	s_and_saveexec_b64 s[16:17], vcc
	s_cbranch_execz .LBB487_1045
; %bb.1042:                             ;   in Loop: Header=BB487_794 Depth=1
	v_and_b32_e32 v12, 0x7f, v8
	v_cmp_ne_u32_e32 vcc, s21, v12
	v_mov_b32_e32 v15, 0x7f800001
	s_and_saveexec_b64 s[18:19], vcc
	s_cbranch_execz .LBB487_1044
; %bb.1043:                             ;   in Loop: Header=BB487_794 Depth=1
	v_and_b32_e32 v15, 7, v8
	v_ffbh_u32_e32 v16, v15
	v_min_u32_e32 v19, 32, v16
	v_subrev_u32_e32 v16, 28, v19
	v_lshlrev_b64 v[16:17], v16, v[8:9]
	v_lshrrev_b32_e32 v18, 3, v12
	v_sub_u32_e32 v8, 29, v19
	v_and_b32_e32 v16, 7, v16
	v_cmp_gt_u32_e32 vcc, 8, v12
	v_cndmask_b32_e32 v8, v18, v8, vcc
	v_cndmask_b32_e32 v12, v15, v16, vcc
	v_lshlrev_b32_e32 v15, 16, v6
	v_lshlrev_b32_e32 v12, 20, v12
	v_and_b32_e32 v15, 0x80000000, v15
	v_lshl_add_u32 v8, v8, 23, v10
	v_or3_b32 v15, v15, v8, v12
.LBB487_1044:                           ;   in Loop: Header=BB487_794 Depth=1
	s_or_b64 exec, exec, s[18:19]
.LBB487_1045:                           ;   in Loop: Header=BB487_794 Depth=1
	s_or_b64 exec, exec, s[16:17]
.LBB487_1046:                           ;   in Loop: Header=BB487_794 Depth=1
	s_or_b64 exec, exec, s[14:15]
	v_lshrrev_b32_e32 v8, 16, v6
	v_cmp_ne_u16_sdwa s[16:17], v8, v9 src0_sel:BYTE_0 src1_sel:DWORD
	s_and_saveexec_b64 s[14:15], s[16:17]
	s_cbranch_execz .LBB487_1052
; %bb.1047:                             ;   in Loop: Header=BB487_794 Depth=1
	v_cmp_ne_u16_sdwa s[18:19], v8, s5 src0_sel:BYTE_0 src1_sel:DWORD
	v_bfrev_b32_e32 v13, 1
	s_and_saveexec_b64 s[16:17], s[18:19]
	s_cbranch_execz .LBB487_1051
; %bb.1048:                             ;   in Loop: Header=BB487_794 Depth=1
	v_bfe_u32 v12, v6, 16, 7
	v_cmp_ne_u32_e32 vcc, s21, v12
	v_mov_b32_e32 v13, 0x7f800001
	s_and_saveexec_b64 s[18:19], vcc
	s_cbranch_execz .LBB487_1050
; %bb.1049:                             ;   in Loop: Header=BB487_794 Depth=1
	v_and_b32_e32 v13, 7, v8
	v_ffbh_u32_e32 v16, v13
	v_min_u32_e32 v19, 32, v16
	v_subrev_u32_e32 v16, 28, v19
	v_lshlrev_b64 v[16:17], v16, v[8:9]
	v_lshrrev_b32_e32 v18, 3, v12
	v_sub_u32_e32 v17, 29, v19
	v_and_b32_e32 v16, 7, v16
	v_cmp_gt_u32_e32 vcc, 8, v12
	v_cndmask_b32_e32 v12, v18, v17, vcc
	v_cndmask_b32_e32 v13, v13, v16, vcc
	v_lshlrev_b32_e32 v8, 24, v8
	v_lshlrev_b32_e32 v13, 20, v13
	v_and_b32_e32 v8, 0x80000000, v8
	v_lshl_add_u32 v12, v12, 23, v10
	v_or3_b32 v13, v8, v12, v13
.LBB487_1050:                           ;   in Loop: Header=BB487_794 Depth=1
	s_or_b64 exec, exec, s[18:19]
.LBB487_1051:                           ;   in Loop: Header=BB487_794 Depth=1
	s_or_b64 exec, exec, s[16:17]
.LBB487_1052:                           ;   in Loop: Header=BB487_794 Depth=1
	s_or_b64 exec, exec, s[14:15]
	v_cmp_lt_u32_e32 vcc, s22, v6
	v_mov_b32_e32 v16, 0
	v_mov_b32_e32 v17, 0
	s_and_saveexec_b64 s[14:15], vcc
	s_cbranch_execz .LBB487_1058
; %bb.1053:                             ;   in Loop: Header=BB487_794 Depth=1
	v_lshrrev_b32_e32 v8, 24, v6
	v_cmp_ne_u32_e32 vcc, s5, v8
	v_bfrev_b32_e32 v17, 1
	s_and_saveexec_b64 s[16:17], vcc
	s_cbranch_execz .LBB487_1057
; %bb.1054:                             ;   in Loop: Header=BB487_794 Depth=1
	v_bfe_u32 v6, v6, 24, 7
	v_cmp_ne_u32_e32 vcc, s21, v6
	v_mov_b32_e32 v17, 0x7f800001
	s_and_saveexec_b64 s[18:19], vcc
	s_cbranch_execz .LBB487_1056
; %bb.1055:                             ;   in Loop: Header=BB487_794 Depth=1
	v_and_b32_e32 v12, 7, v8
	v_ffbh_u32_e32 v18, v12
	v_min_u32_e32 v20, 32, v18
	v_subrev_u32_e32 v18, 28, v20
	v_lshlrev_b64 v[18:19], v18, v[8:9]
	v_lshrrev_b32_e32 v17, 3, v6
	v_sub_u32_e32 v19, 29, v20
	v_and_b32_e32 v18, 7, v18
	v_cmp_gt_u32_e32 vcc, 8, v6
	v_cndmask_b32_e32 v6, v17, v19, vcc
	v_cndmask_b32_e32 v12, v12, v18, vcc
	v_lshlrev_b32_e32 v8, 24, v8
	v_lshlrev_b32_e32 v12, 20, v12
	v_and_b32_e32 v8, 0x80000000, v8
	v_lshl_add_u32 v6, v6, 23, v10
	v_or3_b32 v17, v8, v6, v12
.LBB487_1056:                           ;   in Loop: Header=BB487_794 Depth=1
	s_or_b64 exec, exec, s[18:19]
.LBB487_1057:                           ;   in Loop: Header=BB487_794 Depth=1
	s_or_b64 exec, exec, s[16:17]
.LBB487_1058:                           ;   in Loop: Header=BB487_794 Depth=1
	s_or_b64 exec, exec, s[14:15]
	s_waitcnt vmcnt(0)
	v_cmp_ne_u16_sdwa s[16:17], v4, v9 src0_sel:BYTE_0 src1_sel:DWORD
	s_and_saveexec_b64 s[14:15], s[16:17]
	s_cbranch_execz .LBB487_1064
; %bb.1059:                             ;   in Loop: Header=BB487_794 Depth=1
	v_cmp_ne_u16_sdwa s[18:19], v4, s5 src0_sel:BYTE_0 src1_sel:DWORD
	v_bfrev_b32_e32 v16, 1
	s_and_saveexec_b64 s[16:17], s[18:19]
	s_cbranch_execz .LBB487_1063
; %bb.1060:                             ;   in Loop: Header=BB487_794 Depth=1
	v_and_b32_e32 v6, 0x7f, v4
	v_cmp_ne_u32_e32 vcc, s21, v6
	v_mov_b32_e32 v16, 0x7f800001
	s_and_saveexec_b64 s[18:19], vcc
	s_cbranch_execz .LBB487_1062
; %bb.1061:                             ;   in Loop: Header=BB487_794 Depth=1
	v_and_b32_e32 v8, 7, v4
	v_ffbh_u32_e32 v16, v8
	v_min_u32_e32 v16, 32, v16
	v_subrev_u32_e32 v18, 28, v16
	v_lshlrev_b64 v[18:19], v18, v[4:5]
	v_lshrrev_b32_e32 v12, 3, v6
	v_sub_u32_e32 v16, 29, v16
	v_and_b32_e32 v18, 7, v18
	v_cmp_gt_u32_e32 vcc, 8, v6
	v_cndmask_b32_e32 v6, v12, v16, vcc
	v_cndmask_b32_e32 v8, v8, v18, vcc
	v_lshlrev_b32_e32 v12, 24, v4
	v_lshlrev_b32_e32 v8, 20, v8
	v_and_b32_e32 v12, 0x80000000, v12
	v_lshl_add_u32 v6, v6, 23, v10
	v_or3_b32 v16, v12, v6, v8
.LBB487_1062:                           ;   in Loop: Header=BB487_794 Depth=1
	s_or_b64 exec, exec, s[18:19]
.LBB487_1063:                           ;   in Loop: Header=BB487_794 Depth=1
	s_or_b64 exec, exec, s[16:17]
.LBB487_1064:                           ;   in Loop: Header=BB487_794 Depth=1
	s_or_b64 exec, exec, s[14:15]
	v_lshrrev_b16_e32 v6, 8, v4
	v_cmp_ne_u16_e32 vcc, 0, v6
	v_mov_b32_e32 v8, 0
	v_mov_b32_e32 v18, 0
	s_and_saveexec_b64 s[14:15], vcc
	s_cbranch_execz .LBB487_1070
; %bb.1065:                             ;   in Loop: Header=BB487_794 Depth=1
	v_cmp_ne_u16_e32 vcc, s5, v6
	v_bfrev_b32_e32 v18, 1
	s_and_saveexec_b64 s[16:17], vcc
	s_cbranch_execz .LBB487_1069
; %bb.1066:                             ;   in Loop: Header=BB487_794 Depth=1
	v_and_b32_e32 v12, 0x7f, v6
	v_cmp_ne_u32_e32 vcc, s21, v12
	v_mov_b32_e32 v18, 0x7f800001
	s_and_saveexec_b64 s[18:19], vcc
	s_cbranch_execz .LBB487_1068
; %bb.1067:                             ;   in Loop: Header=BB487_794 Depth=1
	v_and_b32_e32 v20, 7, v6
	v_ffbh_u32_e32 v18, v20
	v_min_u32_e32 v22, 32, v18
	v_subrev_u32_e32 v18, 28, v22
	v_lshlrev_b64 v[18:19], v18, v[6:7]
	v_lshrrev_b32_e32 v21, 3, v12
	v_sub_u32_e32 v6, 29, v22
	v_and_b32_e32 v18, 7, v18
	v_cmp_gt_u32_e32 vcc, 8, v12
	v_cndmask_b32_e32 v6, v21, v6, vcc
	v_cndmask_b32_e32 v12, v20, v18, vcc
	v_lshlrev_b32_e32 v18, 16, v4
	v_lshlrev_b32_e32 v12, 20, v12
	v_and_b32_e32 v18, 0x80000000, v18
	v_lshl_add_u32 v6, v6, 23, v10
	v_or3_b32 v18, v18, v6, v12
.LBB487_1068:                           ;   in Loop: Header=BB487_794 Depth=1
	s_or_b64 exec, exec, s[18:19]
.LBB487_1069:                           ;   in Loop: Header=BB487_794 Depth=1
	s_or_b64 exec, exec, s[16:17]
.LBB487_1070:                           ;   in Loop: Header=BB487_794 Depth=1
	s_or_b64 exec, exec, s[14:15]
	v_lshrrev_b32_e32 v6, 16, v4
	v_cmp_ne_u16_sdwa s[16:17], v6, v9 src0_sel:BYTE_0 src1_sel:DWORD
	s_and_saveexec_b64 s[14:15], s[16:17]
	s_cbranch_execz .LBB487_1076
; %bb.1071:                             ;   in Loop: Header=BB487_794 Depth=1
	v_cmp_ne_u16_sdwa s[18:19], v6, s5 src0_sel:BYTE_0 src1_sel:DWORD
	v_bfrev_b32_e32 v8, 1
	s_and_saveexec_b64 s[16:17], s[18:19]
	s_cbranch_execz .LBB487_1075
; %bb.1072:                             ;   in Loop: Header=BB487_794 Depth=1
	v_bfe_u32 v12, v4, 16, 7
	v_cmp_ne_u32_e32 vcc, s21, v12
	v_mov_b32_e32 v8, 0x7f800001
	s_and_saveexec_b64 s[18:19], vcc
	s_cbranch_execz .LBB487_1074
; %bb.1073:                             ;   in Loop: Header=BB487_794 Depth=1
	v_and_b32_e32 v8, 7, v6
	v_ffbh_u32_e32 v20, v8
	v_min_u32_e32 v22, 32, v20
	v_subrev_u32_e32 v20, 28, v22
	v_lshlrev_b64 v[20:21], v20, v[6:7]
	v_lshrrev_b32_e32 v19, 3, v12
	v_sub_u32_e32 v21, 29, v22
	v_and_b32_e32 v20, 7, v20
	v_cmp_gt_u32_e32 vcc, 8, v12
	v_cndmask_b32_e32 v12, v19, v21, vcc
	v_cndmask_b32_e32 v8, v8, v20, vcc
	v_lshlrev_b32_e32 v6, 24, v6
	v_lshlrev_b32_e32 v8, 20, v8
	v_and_b32_e32 v6, 0x80000000, v6
	v_lshl_add_u32 v12, v12, 23, v10
	v_or3_b32 v8, v6, v12, v8
.LBB487_1074:                           ;   in Loop: Header=BB487_794 Depth=1
	s_or_b64 exec, exec, s[18:19]
.LBB487_1075:                           ;   in Loop: Header=BB487_794 Depth=1
	s_or_b64 exec, exec, s[16:17]
.LBB487_1076:                           ;   in Loop: Header=BB487_794 Depth=1
	s_or_b64 exec, exec, s[14:15]
	v_cmp_lt_u32_e32 vcc, s22, v4
	v_mov_b32_e32 v12, 0
	v_mov_b32_e32 v19, 0
	s_and_saveexec_b64 s[14:15], vcc
	s_cbranch_execz .LBB487_1082
; %bb.1077:                             ;   in Loop: Header=BB487_794 Depth=1
	v_lshrrev_b32_e32 v6, 24, v4
	v_cmp_ne_u32_e32 vcc, s5, v6
	v_bfrev_b32_e32 v19, 1
	s_and_saveexec_b64 s[16:17], vcc
	s_cbranch_execz .LBB487_1081
; %bb.1078:                             ;   in Loop: Header=BB487_794 Depth=1
	v_bfe_u32 v4, v4, 24, 7
	v_cmp_ne_u32_e32 vcc, s21, v4
	v_mov_b32_e32 v19, 0x7f800001
	s_and_saveexec_b64 s[18:19], vcc
	s_cbranch_execz .LBB487_1080
; %bb.1079:                             ;   in Loop: Header=BB487_794 Depth=1
	v_and_b32_e32 v19, 7, v6
	v_ffbh_u32_e32 v20, v19
	v_min_u32_e32 v23, 32, v20
	v_subrev_u32_e32 v20, 28, v23
	v_lshlrev_b64 v[20:21], v20, v[6:7]
	v_lshrrev_b32_e32 v22, 3, v4
	v_sub_u32_e32 v21, 29, v23
	v_and_b32_e32 v20, 7, v20
	v_cmp_gt_u32_e32 vcc, 8, v4
	v_cndmask_b32_e32 v4, v22, v21, vcc
	v_cndmask_b32_e32 v19, v19, v20, vcc
	v_lshlrev_b32_e32 v6, 24, v6
	v_lshlrev_b32_e32 v19, 20, v19
	v_and_b32_e32 v6, 0x80000000, v6
	v_lshl_add_u32 v4, v4, 23, v10
	v_or3_b32 v19, v6, v4, v19
.LBB487_1080:                           ;   in Loop: Header=BB487_794 Depth=1
	s_or_b64 exec, exec, s[18:19]
.LBB487_1081:                           ;   in Loop: Header=BB487_794 Depth=1
	s_or_b64 exec, exec, s[16:17]
.LBB487_1082:                           ;   in Loop: Header=BB487_794 Depth=1
	s_or_b64 exec, exec, s[14:15]
	buffer_load_dword v6, v11, s[0:3], 0 offen offset:48
	buffer_load_dword v4, v11, s[0:3], 0 offen offset:52
	v_cvt_pkrtz_f16_f32 v14, v14, v15
	v_cvt_pkrtz_f16_f32 v15, v13, v17
	;; [unrolled: 1-line block ×4, first 2 shown]
	v_mfma_f32_4x4x4f16 a[0:3], v[2:3], v[14:15], a[0:3] cbsz:4 abid:10
	s_waitcnt vmcnt(1)
	v_cmp_ne_u16_sdwa s[16:17], v6, v9 src0_sel:BYTE_0 src1_sel:DWORD
	v_mfma_f32_4x4x4f16 a[0:3], v[2:3], v[16:17], a[0:3] cbsz:4 abid:11
	s_and_saveexec_b64 s[14:15], s[16:17]
	s_cbranch_execz .LBB487_1088
; %bb.1083:                             ;   in Loop: Header=BB487_794 Depth=1
	v_cmp_ne_u16_sdwa s[18:19], v6, s5 src0_sel:BYTE_0 src1_sel:DWORD
	v_bfrev_b32_e32 v12, 1
	s_and_saveexec_b64 s[16:17], s[18:19]
	s_cbranch_execz .LBB487_1087
; %bb.1084:                             ;   in Loop: Header=BB487_794 Depth=1
	v_and_b32_e32 v8, 0x7f, v6
	v_cmp_ne_u32_e32 vcc, s21, v8
	v_mov_b32_e32 v12, 0x7f800001
	s_and_saveexec_b64 s[18:19], vcc
	s_cbranch_execz .LBB487_1086
; %bb.1085:                             ;   in Loop: Header=BB487_794 Depth=1
	v_and_b32_e32 v14, 7, v6
	v_ffbh_u32_e32 v12, v14
	v_min_u32_e32 v16, 32, v12
	v_subrev_u32_e32 v12, 28, v16
	v_lshlrev_b64 v[12:13], v12, v[6:7]
	v_lshrrev_b32_e32 v15, 3, v8
	v_sub_u32_e32 v13, 29, v16
	v_and_b32_e32 v12, 7, v12
	v_cmp_gt_u32_e32 vcc, 8, v8
	v_cndmask_b32_e32 v8, v15, v13, vcc
	v_cndmask_b32_e32 v12, v14, v12, vcc
	v_lshlrev_b32_e32 v13, 24, v6
	v_lshlrev_b32_e32 v12, 20, v12
	v_and_b32_e32 v13, 0x80000000, v13
	v_lshl_add_u32 v8, v8, 23, v10
	v_or3_b32 v12, v13, v8, v12
.LBB487_1086:                           ;   in Loop: Header=BB487_794 Depth=1
	s_or_b64 exec, exec, s[18:19]
.LBB487_1087:                           ;   in Loop: Header=BB487_794 Depth=1
	s_or_b64 exec, exec, s[16:17]
.LBB487_1088:                           ;   in Loop: Header=BB487_794 Depth=1
	s_or_b64 exec, exec, s[14:15]
	v_lshrrev_b16_e32 v8, 8, v6
	v_cmp_ne_u16_e32 vcc, 0, v8
	v_mov_b32_e32 v14, 0
	v_mov_b32_e32 v15, 0
	s_and_saveexec_b64 s[14:15], vcc
	s_cbranch_execz .LBB487_1094
; %bb.1089:                             ;   in Loop: Header=BB487_794 Depth=1
	v_cmp_ne_u16_e32 vcc, s5, v8
	v_bfrev_b32_e32 v15, 1
	s_and_saveexec_b64 s[16:17], vcc
	s_cbranch_execz .LBB487_1093
; %bb.1090:                             ;   in Loop: Header=BB487_794 Depth=1
	v_and_b32_e32 v13, 0x7f, v8
	v_cmp_ne_u32_e32 vcc, s21, v13
	v_mov_b32_e32 v15, 0x7f800001
	s_and_saveexec_b64 s[18:19], vcc
	s_cbranch_execz .LBB487_1092
; %bb.1091:                             ;   in Loop: Header=BB487_794 Depth=1
	v_and_b32_e32 v15, 7, v8
	v_ffbh_u32_e32 v16, v15
	v_min_u32_e32 v19, 32, v16
	v_subrev_u32_e32 v16, 28, v19
	v_lshlrev_b64 v[16:17], v16, v[8:9]
	v_lshrrev_b32_e32 v18, 3, v13
	v_sub_u32_e32 v8, 29, v19
	v_and_b32_e32 v16, 7, v16
	v_cmp_gt_u32_e32 vcc, 8, v13
	v_cndmask_b32_e32 v8, v18, v8, vcc
	v_cndmask_b32_e32 v13, v15, v16, vcc
	v_lshlrev_b32_e32 v15, 16, v6
	v_lshlrev_b32_e32 v13, 20, v13
	v_and_b32_e32 v15, 0x80000000, v15
	v_lshl_add_u32 v8, v8, 23, v10
	v_or3_b32 v15, v15, v8, v13
.LBB487_1092:                           ;   in Loop: Header=BB487_794 Depth=1
	s_or_b64 exec, exec, s[18:19]
.LBB487_1093:                           ;   in Loop: Header=BB487_794 Depth=1
	s_or_b64 exec, exec, s[16:17]
.LBB487_1094:                           ;   in Loop: Header=BB487_794 Depth=1
	s_or_b64 exec, exec, s[14:15]
	v_lshrrev_b32_e32 v8, 16, v6
	v_cmp_ne_u16_sdwa s[16:17], v8, v9 src0_sel:BYTE_0 src1_sel:DWORD
	s_and_saveexec_b64 s[14:15], s[16:17]
	s_cbranch_execz .LBB487_1100
; %bb.1095:                             ;   in Loop: Header=BB487_794 Depth=1
	v_cmp_ne_u16_sdwa s[18:19], v8, s5 src0_sel:BYTE_0 src1_sel:DWORD
	v_bfrev_b32_e32 v14, 1
	s_and_saveexec_b64 s[16:17], s[18:19]
	s_cbranch_execz .LBB487_1099
; %bb.1096:                             ;   in Loop: Header=BB487_794 Depth=1
	v_bfe_u32 v13, v6, 16, 7
	v_cmp_ne_u32_e32 vcc, s21, v13
	v_mov_b32_e32 v14, 0x7f800001
	s_and_saveexec_b64 s[18:19], vcc
	s_cbranch_execz .LBB487_1098
; %bb.1097:                             ;   in Loop: Header=BB487_794 Depth=1
	v_and_b32_e32 v14, 7, v8
	v_ffbh_u32_e32 v16, v14
	v_min_u32_e32 v19, 32, v16
	v_subrev_u32_e32 v16, 28, v19
	v_lshlrev_b64 v[16:17], v16, v[8:9]
	v_lshrrev_b32_e32 v18, 3, v13
	v_sub_u32_e32 v17, 29, v19
	v_and_b32_e32 v16, 7, v16
	v_cmp_gt_u32_e32 vcc, 8, v13
	v_cndmask_b32_e32 v13, v18, v17, vcc
	v_cndmask_b32_e32 v14, v14, v16, vcc
	v_lshlrev_b32_e32 v8, 24, v8
	v_lshlrev_b32_e32 v14, 20, v14
	v_and_b32_e32 v8, 0x80000000, v8
	v_lshl_add_u32 v13, v13, 23, v10
	v_or3_b32 v14, v8, v13, v14
.LBB487_1098:                           ;   in Loop: Header=BB487_794 Depth=1
	s_or_b64 exec, exec, s[18:19]
.LBB487_1099:                           ;   in Loop: Header=BB487_794 Depth=1
	s_or_b64 exec, exec, s[16:17]
.LBB487_1100:                           ;   in Loop: Header=BB487_794 Depth=1
	s_or_b64 exec, exec, s[14:15]
	v_cmp_lt_u32_e32 vcc, s22, v6
	v_mov_b32_e32 v16, 0
	v_mov_b32_e32 v17, 0
	s_and_saveexec_b64 s[14:15], vcc
	s_cbranch_execz .LBB487_1106
; %bb.1101:                             ;   in Loop: Header=BB487_794 Depth=1
	v_lshrrev_b32_e32 v8, 24, v6
	v_cmp_ne_u32_e32 vcc, s5, v8
	v_bfrev_b32_e32 v17, 1
	s_and_saveexec_b64 s[16:17], vcc
	s_cbranch_execz .LBB487_1105
; %bb.1102:                             ;   in Loop: Header=BB487_794 Depth=1
	v_bfe_u32 v6, v6, 24, 7
	v_cmp_ne_u32_e32 vcc, s21, v6
	v_mov_b32_e32 v17, 0x7f800001
	s_and_saveexec_b64 s[18:19], vcc
	s_cbranch_execz .LBB487_1104
; %bb.1103:                             ;   in Loop: Header=BB487_794 Depth=1
	v_and_b32_e32 v13, 7, v8
	v_ffbh_u32_e32 v18, v13
	v_min_u32_e32 v20, 32, v18
	v_subrev_u32_e32 v18, 28, v20
	v_lshlrev_b64 v[18:19], v18, v[8:9]
	v_lshrrev_b32_e32 v17, 3, v6
	v_sub_u32_e32 v19, 29, v20
	v_and_b32_e32 v18, 7, v18
	v_cmp_gt_u32_e32 vcc, 8, v6
	v_cndmask_b32_e32 v6, v17, v19, vcc
	v_cndmask_b32_e32 v13, v13, v18, vcc
	v_lshlrev_b32_e32 v8, 24, v8
	v_lshlrev_b32_e32 v13, 20, v13
	v_and_b32_e32 v8, 0x80000000, v8
	v_lshl_add_u32 v6, v6, 23, v10
	v_or3_b32 v17, v8, v6, v13
.LBB487_1104:                           ;   in Loop: Header=BB487_794 Depth=1
	s_or_b64 exec, exec, s[18:19]
.LBB487_1105:                           ;   in Loop: Header=BB487_794 Depth=1
	s_or_b64 exec, exec, s[16:17]
.LBB487_1106:                           ;   in Loop: Header=BB487_794 Depth=1
	s_or_b64 exec, exec, s[14:15]
	s_waitcnt vmcnt(0)
	v_cmp_ne_u16_sdwa s[16:17], v4, v9 src0_sel:BYTE_0 src1_sel:DWORD
	s_and_saveexec_b64 s[14:15], s[16:17]
	s_cbranch_execz .LBB487_1112
; %bb.1107:                             ;   in Loop: Header=BB487_794 Depth=1
	v_cmp_ne_u16_sdwa s[18:19], v4, s5 src0_sel:BYTE_0 src1_sel:DWORD
	v_bfrev_b32_e32 v16, 1
	s_and_saveexec_b64 s[16:17], s[18:19]
	s_cbranch_execz .LBB487_1111
; %bb.1108:                             ;   in Loop: Header=BB487_794 Depth=1
	v_and_b32_e32 v6, 0x7f, v4
	v_cmp_ne_u32_e32 vcc, s21, v6
	v_mov_b32_e32 v16, 0x7f800001
	s_and_saveexec_b64 s[18:19], vcc
	s_cbranch_execz .LBB487_1110
; %bb.1109:                             ;   in Loop: Header=BB487_794 Depth=1
	v_and_b32_e32 v8, 7, v4
	v_ffbh_u32_e32 v16, v8
	v_min_u32_e32 v16, 32, v16
	v_subrev_u32_e32 v18, 28, v16
	v_lshlrev_b64 v[18:19], v18, v[4:5]
	v_lshrrev_b32_e32 v13, 3, v6
	v_sub_u32_e32 v16, 29, v16
	v_and_b32_e32 v18, 7, v18
	v_cmp_gt_u32_e32 vcc, 8, v6
	v_cndmask_b32_e32 v6, v13, v16, vcc
	v_cndmask_b32_e32 v8, v8, v18, vcc
	v_lshlrev_b32_e32 v13, 24, v4
	v_lshlrev_b32_e32 v8, 20, v8
	v_and_b32_e32 v13, 0x80000000, v13
	v_lshl_add_u32 v6, v6, 23, v10
	v_or3_b32 v16, v13, v6, v8
.LBB487_1110:                           ;   in Loop: Header=BB487_794 Depth=1
	s_or_b64 exec, exec, s[18:19]
.LBB487_1111:                           ;   in Loop: Header=BB487_794 Depth=1
	s_or_b64 exec, exec, s[16:17]
.LBB487_1112:                           ;   in Loop: Header=BB487_794 Depth=1
	s_or_b64 exec, exec, s[14:15]
	v_lshrrev_b16_e32 v6, 8, v4
	v_cmp_ne_u16_e32 vcc, 0, v6
	v_mov_b32_e32 v8, 0
	v_mov_b32_e32 v18, 0
	s_and_saveexec_b64 s[14:15], vcc
	s_cbranch_execz .LBB487_1118
; %bb.1113:                             ;   in Loop: Header=BB487_794 Depth=1
	v_cmp_ne_u16_e32 vcc, s5, v6
	v_bfrev_b32_e32 v18, 1
	s_and_saveexec_b64 s[16:17], vcc
	s_cbranch_execz .LBB487_1117
; %bb.1114:                             ;   in Loop: Header=BB487_794 Depth=1
	v_and_b32_e32 v13, 0x7f, v6
	v_cmp_ne_u32_e32 vcc, s21, v13
	v_mov_b32_e32 v18, 0x7f800001
	s_and_saveexec_b64 s[18:19], vcc
	s_cbranch_execz .LBB487_1116
; %bb.1115:                             ;   in Loop: Header=BB487_794 Depth=1
	v_and_b32_e32 v20, 7, v6
	v_ffbh_u32_e32 v18, v20
	v_min_u32_e32 v22, 32, v18
	v_subrev_u32_e32 v18, 28, v22
	v_lshlrev_b64 v[18:19], v18, v[6:7]
	v_lshrrev_b32_e32 v21, 3, v13
	v_sub_u32_e32 v6, 29, v22
	v_and_b32_e32 v18, 7, v18
	v_cmp_gt_u32_e32 vcc, 8, v13
	v_cndmask_b32_e32 v6, v21, v6, vcc
	v_cndmask_b32_e32 v13, v20, v18, vcc
	v_lshlrev_b32_e32 v18, 16, v4
	v_lshlrev_b32_e32 v13, 20, v13
	v_and_b32_e32 v18, 0x80000000, v18
	v_lshl_add_u32 v6, v6, 23, v10
	v_or3_b32 v18, v18, v6, v13
.LBB487_1116:                           ;   in Loop: Header=BB487_794 Depth=1
	s_or_b64 exec, exec, s[18:19]
.LBB487_1117:                           ;   in Loop: Header=BB487_794 Depth=1
	s_or_b64 exec, exec, s[16:17]
.LBB487_1118:                           ;   in Loop: Header=BB487_794 Depth=1
	s_or_b64 exec, exec, s[14:15]
	v_lshrrev_b32_e32 v6, 16, v4
	v_cmp_ne_u16_sdwa s[16:17], v6, v9 src0_sel:BYTE_0 src1_sel:DWORD
	s_and_saveexec_b64 s[14:15], s[16:17]
	s_cbranch_execz .LBB487_1124
; %bb.1119:                             ;   in Loop: Header=BB487_794 Depth=1
	v_cmp_ne_u16_sdwa s[18:19], v6, s5 src0_sel:BYTE_0 src1_sel:DWORD
	v_bfrev_b32_e32 v8, 1
	s_and_saveexec_b64 s[16:17], s[18:19]
	s_cbranch_execz .LBB487_1123
; %bb.1120:                             ;   in Loop: Header=BB487_794 Depth=1
	v_bfe_u32 v13, v4, 16, 7
	v_cmp_ne_u32_e32 vcc, s21, v13
	v_mov_b32_e32 v8, 0x7f800001
	s_and_saveexec_b64 s[18:19], vcc
	s_cbranch_execz .LBB487_1122
; %bb.1121:                             ;   in Loop: Header=BB487_794 Depth=1
	v_and_b32_e32 v8, 7, v6
	v_ffbh_u32_e32 v20, v8
	v_min_u32_e32 v22, 32, v20
	v_subrev_u32_e32 v20, 28, v22
	v_lshlrev_b64 v[20:21], v20, v[6:7]
	v_lshrrev_b32_e32 v19, 3, v13
	v_sub_u32_e32 v21, 29, v22
	v_and_b32_e32 v20, 7, v20
	v_cmp_gt_u32_e32 vcc, 8, v13
	v_cndmask_b32_e32 v13, v19, v21, vcc
	v_cndmask_b32_e32 v8, v8, v20, vcc
	v_lshlrev_b32_e32 v6, 24, v6
	v_lshlrev_b32_e32 v8, 20, v8
	v_and_b32_e32 v6, 0x80000000, v6
	v_lshl_add_u32 v13, v13, 23, v10
	v_or3_b32 v8, v6, v13, v8
.LBB487_1122:                           ;   in Loop: Header=BB487_794 Depth=1
	s_or_b64 exec, exec, s[18:19]
.LBB487_1123:                           ;   in Loop: Header=BB487_794 Depth=1
	s_or_b64 exec, exec, s[16:17]
.LBB487_1124:                           ;   in Loop: Header=BB487_794 Depth=1
	s_or_b64 exec, exec, s[14:15]
	v_cmp_lt_u32_e32 vcc, s22, v4
	v_mov_b32_e32 v13, 0
	v_mov_b32_e32 v19, 0
	s_and_saveexec_b64 s[14:15], vcc
	s_cbranch_execz .LBB487_1130
; %bb.1125:                             ;   in Loop: Header=BB487_794 Depth=1
	v_lshrrev_b32_e32 v6, 24, v4
	v_cmp_ne_u32_e32 vcc, s5, v6
	v_bfrev_b32_e32 v19, 1
	s_and_saveexec_b64 s[16:17], vcc
	s_cbranch_execz .LBB487_1129
; %bb.1126:                             ;   in Loop: Header=BB487_794 Depth=1
	v_bfe_u32 v4, v4, 24, 7
	v_cmp_ne_u32_e32 vcc, s21, v4
	v_mov_b32_e32 v19, 0x7f800001
	s_and_saveexec_b64 s[18:19], vcc
	s_cbranch_execz .LBB487_1128
; %bb.1127:                             ;   in Loop: Header=BB487_794 Depth=1
	v_and_b32_e32 v19, 7, v6
	v_ffbh_u32_e32 v20, v19
	v_min_u32_e32 v23, 32, v20
	v_subrev_u32_e32 v20, 28, v23
	v_lshlrev_b64 v[20:21], v20, v[6:7]
	v_lshrrev_b32_e32 v22, 3, v4
	v_sub_u32_e32 v21, 29, v23
	v_and_b32_e32 v20, 7, v20
	v_cmp_gt_u32_e32 vcc, 8, v4
	v_cndmask_b32_e32 v4, v22, v21, vcc
	v_cndmask_b32_e32 v19, v19, v20, vcc
	v_lshlrev_b32_e32 v6, 24, v6
	v_lshlrev_b32_e32 v19, 20, v19
	v_and_b32_e32 v6, 0x80000000, v6
	v_lshl_add_u32 v4, v4, 23, v10
	v_or3_b32 v19, v6, v4, v19
.LBB487_1128:                           ;   in Loop: Header=BB487_794 Depth=1
	s_or_b64 exec, exec, s[18:19]
.LBB487_1129:                           ;   in Loop: Header=BB487_794 Depth=1
	s_or_b64 exec, exec, s[16:17]
.LBB487_1130:                           ;   in Loop: Header=BB487_794 Depth=1
	s_or_b64 exec, exec, s[14:15]
	buffer_load_dword v6, v11, s[0:3], 0 offen offset:56
	buffer_load_dword v4, v11, s[0:3], 0 offen offset:60
	v_cvt_pkrtz_f16_f32 v20, v12, v15
	v_cvt_pkrtz_f16_f32 v21, v14, v17
	;; [unrolled: 1-line block ×4, first 2 shown]
	v_mfma_f32_4x4x4f16 a[0:3], v[2:3], v[20:21], a[0:3] cbsz:4 abid:12
	s_waitcnt vmcnt(1)
	v_cmp_ne_u16_sdwa s[16:17], v6, v9 src0_sel:BYTE_0 src1_sel:DWORD
	v_mfma_f32_4x4x4f16 a[0:3], v[2:3], v[14:15], a[0:3] cbsz:4 abid:13
	s_and_saveexec_b64 s[14:15], s[16:17]
	s_cbranch_execz .LBB487_1136
; %bb.1131:                             ;   in Loop: Header=BB487_794 Depth=1
	v_cmp_ne_u16_sdwa s[18:19], v6, s5 src0_sel:BYTE_0 src1_sel:DWORD
	v_bfrev_b32_e32 v13, 1
	s_and_saveexec_b64 s[16:17], s[18:19]
	s_cbranch_execz .LBB487_1135
; %bb.1132:                             ;   in Loop: Header=BB487_794 Depth=1
	v_and_b32_e32 v8, 0x7f, v6
	v_cmp_ne_u32_e32 vcc, s21, v8
	v_mov_b32_e32 v13, 0x7f800001
	s_and_saveexec_b64 s[18:19], vcc
	s_cbranch_execz .LBB487_1134
; %bb.1133:                             ;   in Loop: Header=BB487_794 Depth=1
	v_and_b32_e32 v11, 7, v6
	v_ffbh_u32_e32 v12, v11
	v_min_u32_e32 v15, 32, v12
	v_subrev_u32_e32 v12, 28, v15
	v_lshlrev_b64 v[12:13], v12, v[6:7]
	v_lshrrev_b32_e32 v14, 3, v8
	v_sub_u32_e32 v13, 29, v15
	v_and_b32_e32 v12, 7, v12
	v_cmp_gt_u32_e32 vcc, 8, v8
	v_cndmask_b32_e32 v8, v14, v13, vcc
	v_cndmask_b32_e32 v11, v11, v12, vcc
	v_lshlrev_b32_e32 v12, 24, v6
	v_lshlrev_b32_e32 v11, 20, v11
	v_and_b32_e32 v12, 0x80000000, v12
	v_lshl_add_u32 v8, v8, 23, v10
	v_or3_b32 v13, v12, v8, v11
.LBB487_1134:                           ;   in Loop: Header=BB487_794 Depth=1
	s_or_b64 exec, exec, s[18:19]
.LBB487_1135:                           ;   in Loop: Header=BB487_794 Depth=1
	s_or_b64 exec, exec, s[16:17]
.LBB487_1136:                           ;   in Loop: Header=BB487_794 Depth=1
	s_or_b64 exec, exec, s[14:15]
	v_lshrrev_b16_e32 v8, 8, v6
	v_cmp_ne_u16_e32 vcc, 0, v8
	v_mov_b32_e32 v11, 0
	v_mov_b32_e32 v12, 0
	s_and_saveexec_b64 s[14:15], vcc
	s_cbranch_execz .LBB487_1142
; %bb.1137:                             ;   in Loop: Header=BB487_794 Depth=1
	v_cmp_ne_u16_e32 vcc, s5, v8
	v_bfrev_b32_e32 v12, 1
	s_and_saveexec_b64 s[16:17], vcc
	s_cbranch_execz .LBB487_1141
; %bb.1138:                             ;   in Loop: Header=BB487_794 Depth=1
	v_and_b32_e32 v14, 0x7f, v8
	v_cmp_ne_u32_e32 vcc, s21, v14
	v_mov_b32_e32 v12, 0x7f800001
	s_and_saveexec_b64 s[18:19], vcc
	s_cbranch_execz .LBB487_1140
; %bb.1139:                             ;   in Loop: Header=BB487_794 Depth=1
	v_and_b32_e32 v12, 7, v8
	v_ffbh_u32_e32 v16, v12
	v_min_u32_e32 v18, 32, v16
	v_subrev_u32_e32 v16, 28, v18
	v_lshlrev_b64 v[16:17], v16, v[8:9]
	v_lshrrev_b32_e32 v15, 3, v14
	v_sub_u32_e32 v8, 29, v18
	v_and_b32_e32 v16, 7, v16
	v_cmp_gt_u32_e32 vcc, 8, v14
	v_cndmask_b32_e32 v8, v15, v8, vcc
	v_cndmask_b32_e32 v12, v12, v16, vcc
	v_lshlrev_b32_e32 v14, 16, v6
	v_lshlrev_b32_e32 v12, 20, v12
	v_and_b32_e32 v14, 0x80000000, v14
	v_lshl_add_u32 v8, v8, 23, v10
	v_or3_b32 v12, v14, v8, v12
.LBB487_1140:                           ;   in Loop: Header=BB487_794 Depth=1
	s_or_b64 exec, exec, s[18:19]
.LBB487_1141:                           ;   in Loop: Header=BB487_794 Depth=1
	s_or_b64 exec, exec, s[16:17]
.LBB487_1142:                           ;   in Loop: Header=BB487_794 Depth=1
	s_or_b64 exec, exec, s[14:15]
	v_lshrrev_b32_e32 v8, 16, v6
	v_cmp_ne_u16_sdwa s[16:17], v8, v9 src0_sel:BYTE_0 src1_sel:DWORD
	s_and_saveexec_b64 s[14:15], s[16:17]
	s_cbranch_execz .LBB487_1148
; %bb.1143:                             ;   in Loop: Header=BB487_794 Depth=1
	v_cmp_ne_u16_sdwa s[18:19], v8, s5 src0_sel:BYTE_0 src1_sel:DWORD
	v_bfrev_b32_e32 v11, 1
	s_and_saveexec_b64 s[16:17], s[18:19]
	s_cbranch_execz .LBB487_1147
; %bb.1144:                             ;   in Loop: Header=BB487_794 Depth=1
	v_bfe_u32 v14, v6, 16, 7
	v_cmp_ne_u32_e32 vcc, s21, v14
	v_mov_b32_e32 v11, 0x7f800001
	s_and_saveexec_b64 s[18:19], vcc
	s_cbranch_execz .LBB487_1146
; %bb.1145:                             ;   in Loop: Header=BB487_794 Depth=1
	v_and_b32_e32 v11, 7, v8
	v_ffbh_u32_e32 v16, v11
	v_min_u32_e32 v18, 32, v16
	v_subrev_u32_e32 v16, 28, v18
	v_lshlrev_b64 v[16:17], v16, v[8:9]
	v_lshrrev_b32_e32 v15, 3, v14
	v_sub_u32_e32 v17, 29, v18
	v_and_b32_e32 v16, 7, v16
	v_cmp_gt_u32_e32 vcc, 8, v14
	v_cndmask_b32_e32 v14, v15, v17, vcc
	v_cndmask_b32_e32 v11, v11, v16, vcc
	v_lshlrev_b32_e32 v8, 24, v8
	v_lshlrev_b32_e32 v11, 20, v11
	v_and_b32_e32 v8, 0x80000000, v8
	v_lshl_add_u32 v14, v14, 23, v10
	v_or3_b32 v11, v8, v14, v11
.LBB487_1146:                           ;   in Loop: Header=BB487_794 Depth=1
	s_or_b64 exec, exec, s[18:19]
.LBB487_1147:                           ;   in Loop: Header=BB487_794 Depth=1
	s_or_b64 exec, exec, s[16:17]
.LBB487_1148:                           ;   in Loop: Header=BB487_794 Depth=1
	s_or_b64 exec, exec, s[14:15]
	v_cmp_lt_u32_e32 vcc, s22, v6
	v_mov_b32_e32 v14, 0
	v_mov_b32_e32 v15, 0
	s_and_saveexec_b64 s[14:15], vcc
	s_cbranch_execz .LBB487_1154
; %bb.1149:                             ;   in Loop: Header=BB487_794 Depth=1
	v_lshrrev_b32_e32 v8, 24, v6
	v_cmp_ne_u32_e32 vcc, s5, v8
	v_bfrev_b32_e32 v15, 1
	s_and_saveexec_b64 s[16:17], vcc
	s_cbranch_execz .LBB487_1153
; %bb.1150:                             ;   in Loop: Header=BB487_794 Depth=1
	v_bfe_u32 v6, v6, 24, 7
	v_cmp_ne_u32_e32 vcc, s21, v6
	v_mov_b32_e32 v15, 0x7f800001
	s_and_saveexec_b64 s[18:19], vcc
	s_cbranch_execz .LBB487_1152
; %bb.1151:                             ;   in Loop: Header=BB487_794 Depth=1
	v_and_b32_e32 v15, 7, v8
	v_ffbh_u32_e32 v16, v15
	v_min_u32_e32 v19, 32, v16
	v_subrev_u32_e32 v16, 28, v19
	v_lshlrev_b64 v[16:17], v16, v[8:9]
	v_lshrrev_b32_e32 v18, 3, v6
	v_sub_u32_e32 v17, 29, v19
	v_and_b32_e32 v16, 7, v16
	v_cmp_gt_u32_e32 vcc, 8, v6
	v_cndmask_b32_e32 v6, v18, v17, vcc
	v_cndmask_b32_e32 v15, v15, v16, vcc
	v_lshlrev_b32_e32 v8, 24, v8
	v_lshlrev_b32_e32 v15, 20, v15
	v_and_b32_e32 v8, 0x80000000, v8
	v_lshl_add_u32 v6, v6, 23, v10
	v_or3_b32 v15, v8, v6, v15
.LBB487_1152:                           ;   in Loop: Header=BB487_794 Depth=1
	s_or_b64 exec, exec, s[18:19]
.LBB487_1153:                           ;   in Loop: Header=BB487_794 Depth=1
	s_or_b64 exec, exec, s[16:17]
.LBB487_1154:                           ;   in Loop: Header=BB487_794 Depth=1
	s_or_b64 exec, exec, s[14:15]
	s_waitcnt vmcnt(0)
	v_cmp_ne_u16_sdwa s[16:17], v4, v9 src0_sel:BYTE_0 src1_sel:DWORD
	s_and_saveexec_b64 s[14:15], s[16:17]
	s_cbranch_execz .LBB487_1160
; %bb.1155:                             ;   in Loop: Header=BB487_794 Depth=1
	v_cmp_ne_u16_sdwa s[18:19], v4, s5 src0_sel:BYTE_0 src1_sel:DWORD
	v_bfrev_b32_e32 v14, 1
	s_and_saveexec_b64 s[16:17], s[18:19]
	s_cbranch_execz .LBB487_1159
; %bb.1156:                             ;   in Loop: Header=BB487_794 Depth=1
	v_and_b32_e32 v6, 0x7f, v4
	v_cmp_ne_u32_e32 vcc, s21, v6
	v_mov_b32_e32 v14, 0x7f800001
	s_and_saveexec_b64 s[18:19], vcc
	s_cbranch_execz .LBB487_1158
; %bb.1157:                             ;   in Loop: Header=BB487_794 Depth=1
	v_and_b32_e32 v8, 7, v4
	v_ffbh_u32_e32 v16, v8
	v_min_u32_e32 v18, 32, v16
	v_subrev_u32_e32 v16, 28, v18
	v_lshlrev_b64 v[16:17], v16, v[4:5]
	v_lshrrev_b32_e32 v14, 3, v6
	v_sub_u32_e32 v17, 29, v18
	v_and_b32_e32 v16, 7, v16
	v_cmp_gt_u32_e32 vcc, 8, v6
	v_cndmask_b32_e32 v6, v14, v17, vcc
	v_cndmask_b32_e32 v8, v8, v16, vcc
	v_lshlrev_b32_e32 v14, 24, v4
	v_lshlrev_b32_e32 v8, 20, v8
	v_and_b32_e32 v14, 0x80000000, v14
	v_lshl_add_u32 v6, v6, 23, v10
	v_or3_b32 v14, v14, v6, v8
.LBB487_1158:                           ;   in Loop: Header=BB487_794 Depth=1
	s_or_b64 exec, exec, s[18:19]
.LBB487_1159:                           ;   in Loop: Header=BB487_794 Depth=1
	s_or_b64 exec, exec, s[16:17]
.LBB487_1160:                           ;   in Loop: Header=BB487_794 Depth=1
	s_or_b64 exec, exec, s[14:15]
	v_lshrrev_b16_e32 v6, 8, v4
	v_cmp_ne_u16_e32 vcc, 0, v6
	v_mov_b32_e32 v8, 0
	v_mov_b32_e32 v16, 0
	s_and_saveexec_b64 s[14:15], vcc
	s_cbranch_execz .LBB487_1166
; %bb.1161:                             ;   in Loop: Header=BB487_794 Depth=1
	v_cmp_ne_u16_e32 vcc, s5, v6
	v_bfrev_b32_e32 v16, 1
	s_and_saveexec_b64 s[16:17], vcc
	s_cbranch_execz .LBB487_1165
; %bb.1162:                             ;   in Loop: Header=BB487_794 Depth=1
	v_and_b32_e32 v17, 0x7f, v6
	v_cmp_ne_u32_e32 vcc, s21, v17
	v_mov_b32_e32 v16, 0x7f800001
	s_and_saveexec_b64 s[18:19], vcc
	s_cbranch_execz .LBB487_1164
; %bb.1163:                             ;   in Loop: Header=BB487_794 Depth=1
	v_and_b32_e32 v16, 7, v6
	v_ffbh_u32_e32 v18, v16
	v_min_u32_e32 v21, 32, v18
	v_subrev_u32_e32 v18, 28, v21
	v_lshlrev_b64 v[18:19], v18, v[6:7]
	v_lshrrev_b32_e32 v20, 3, v17
	v_sub_u32_e32 v6, 29, v21
	v_and_b32_e32 v18, 7, v18
	v_cmp_gt_u32_e32 vcc, 8, v17
	v_cndmask_b32_e32 v6, v20, v6, vcc
	v_cndmask_b32_e32 v16, v16, v18, vcc
	v_lshlrev_b32_e32 v17, 16, v4
	v_lshlrev_b32_e32 v16, 20, v16
	v_and_b32_e32 v17, 0x80000000, v17
	v_lshl_add_u32 v6, v6, 23, v10
	v_or3_b32 v16, v17, v6, v16
.LBB487_1164:                           ;   in Loop: Header=BB487_794 Depth=1
	s_or_b64 exec, exec, s[18:19]
.LBB487_1165:                           ;   in Loop: Header=BB487_794 Depth=1
	s_or_b64 exec, exec, s[16:17]
.LBB487_1166:                           ;   in Loop: Header=BB487_794 Depth=1
	s_or_b64 exec, exec, s[14:15]
	v_lshrrev_b32_e32 v6, 16, v4
	v_cmp_ne_u16_sdwa s[16:17], v6, v9 src0_sel:BYTE_0 src1_sel:DWORD
	s_and_saveexec_b64 s[14:15], s[16:17]
	s_cbranch_execz .LBB487_1172
; %bb.1167:                             ;   in Loop: Header=BB487_794 Depth=1
	v_cmp_ne_u16_sdwa s[18:19], v6, s5 src0_sel:BYTE_0 src1_sel:DWORD
	v_bfrev_b32_e32 v8, 1
	s_and_saveexec_b64 s[16:17], s[18:19]
	s_cbranch_execz .LBB487_1171
; %bb.1168:                             ;   in Loop: Header=BB487_794 Depth=1
	v_bfe_u32 v17, v4, 16, 7
	v_cmp_ne_u32_e32 vcc, s21, v17
	v_mov_b32_e32 v8, 0x7f800001
	s_and_saveexec_b64 s[18:19], vcc
	s_cbranch_execz .LBB487_1170
; %bb.1169:                             ;   in Loop: Header=BB487_794 Depth=1
	v_and_b32_e32 v8, 7, v6
	v_ffbh_u32_e32 v18, v8
	v_min_u32_e32 v21, 32, v18
	v_subrev_u32_e32 v18, 28, v21
	v_lshlrev_b64 v[18:19], v18, v[6:7]
	v_lshrrev_b32_e32 v20, 3, v17
	v_sub_u32_e32 v19, 29, v21
	v_and_b32_e32 v18, 7, v18
	v_cmp_gt_u32_e32 vcc, 8, v17
	v_cndmask_b32_e32 v17, v20, v19, vcc
	v_cndmask_b32_e32 v8, v8, v18, vcc
	v_lshlrev_b32_e32 v6, 24, v6
	v_lshlrev_b32_e32 v8, 20, v8
	v_and_b32_e32 v6, 0x80000000, v6
	v_lshl_add_u32 v17, v17, 23, v10
	v_or3_b32 v8, v6, v17, v8
.LBB487_1170:                           ;   in Loop: Header=BB487_794 Depth=1
	s_or_b64 exec, exec, s[18:19]
.LBB487_1171:                           ;   in Loop: Header=BB487_794 Depth=1
	s_or_b64 exec, exec, s[16:17]
.LBB487_1172:                           ;   in Loop: Header=BB487_794 Depth=1
	s_or_b64 exec, exec, s[14:15]
	v_cmp_lt_u32_e32 vcc, s22, v4
	v_mov_b32_e32 v17, 0
	s_and_saveexec_b64 s[14:15], vcc
	s_cbranch_execz .LBB487_793
; %bb.1173:                             ;   in Loop: Header=BB487_794 Depth=1
	v_lshrrev_b32_e32 v6, 24, v4
	v_cmp_ne_u32_e32 vcc, s5, v6
	v_bfrev_b32_e32 v17, 1
	s_and_saveexec_b64 s[16:17], vcc
	s_cbranch_execz .LBB487_792
; %bb.1174:                             ;   in Loop: Header=BB487_794 Depth=1
	v_bfe_u32 v4, v4, 24, 7
	v_cmp_ne_u32_e32 vcc, s21, v4
	v_mov_b32_e32 v17, 0x7f800001
	s_and_saveexec_b64 s[18:19], vcc
	s_cbranch_execz .LBB487_791
; %bb.1175:                             ;   in Loop: Header=BB487_794 Depth=1
	v_and_b32_e32 v17, 7, v6
	v_ffbh_u32_e32 v18, v17
	v_min_u32_e32 v21, 32, v18
	v_subrev_u32_e32 v18, 28, v21
	v_lshlrev_b64 v[18:19], v18, v[6:7]
	v_lshrrev_b32_e32 v20, 3, v4
	v_sub_u32_e32 v19, 29, v21
	v_and_b32_e32 v18, 7, v18
	v_cmp_gt_u32_e32 vcc, 8, v4
	v_cndmask_b32_e32 v4, v20, v19, vcc
	v_cndmask_b32_e32 v17, v17, v18, vcc
	v_lshlrev_b32_e32 v6, 24, v6
	v_lshlrev_b32_e32 v17, 20, v17
	v_and_b32_e32 v6, 0x80000000, v6
	v_lshl_add_u32 v4, v4, 23, v10
	v_or3_b32 v17, v6, v4, v17
	s_branch .LBB487_791
.LBB487_1176:
	s_or_b64 exec, exec, s[6:7]
	v_cmp_gt_u32_e32 vcc, 64, v0
	s_waitcnt lgkmcnt(0)
	s_barrier
	s_and_saveexec_b64 s[6:7], vcc
	s_cbranch_execz .LBB487_1178
; %bb.1177:
	v_mul_u32_u24_e32 v6, 40, v1
	ds_read2_b64 v[2:5], v6 offset1:1
	s_mov_b32 s5, 0
	s_waitcnt lgkmcnt(0)
	v_mov_b32_e32 v3, 0xa00
	s_lshl_b32 s4, s4, 7
	ds_read2_b64 v[6:9], v6 offset0:2 offset1:3
	v_mad_u32_u24 v3, v1, 40, v3
	v_pk_add_f16 v2, v2, 0
	s_lshl_b64 s[6:7], s[4:5], 1
	s_waitcnt lgkmcnt(0)
	v_pk_add_f16 v7, v2, v4
	v_mov_b32_e32 v9, 0xa10
	ds_read2_b64 v[2:5], v3 offset1:1
	s_add_u32 s6, s30, s6
	v_mad_u32_u24 v1, v1, 40, v9
	ds_read2_b64 v[10:13], v1 offset1:1
	s_addc_u32 s7, s31, s7
	s_lshl_b32 s4, s28, 7
	s_lshl_b64 s[4:5], s[4:5], 1
	s_add_u32 s4, s6, s4
	v_pk_add_f16 v1, v7, v6
	s_addc_u32 s5, s7, s5
	s_lshl_b32 s6, s33, 7
	v_pk_add_f16 v6, v1, v8
	s_waitcnt lgkmcnt(1)
	v_pk_add_f16 v1, v2, 0
	s_mul_i32 s7, s6, s24
	v_pk_add_f16 v1, v1, v4
	v_or_b32_e32 v2, s7, v0
	v_mov_b32_e32 v3, 0
	s_waitcnt lgkmcnt(0)
	v_pk_add_f16 v1, v1, v10
	v_lshlrev_b64 v[4:5], 1, v[2:3]
	s_add_i32 s7, s7, s6
	v_pk_add_f16 v7, v1, v12
	v_mov_b32_e32 v1, s5
	v_add_co_u32_e32 v4, vcc, s4, v4
	v_or_b32_e32 v2, s7, v0
	v_addc_co_u32_e32 v5, vcc, v1, v5, vcc
	v_lshlrev_b64 v[0:1], 1, v[2:3]
	v_mov_b32_e32 v2, s5
	v_add_co_u32_e32 v0, vcc, s4, v0
	v_addc_co_u32_e32 v1, vcc, v2, v1, vcc
	global_store_short v[4:5], v6, off
	global_store_short_d16_hi v[0:1], v6, off
	global_store_short v[4:5], v7, off offset:128
	global_store_short_d16_hi v[0:1], v7, off offset:128
.LBB487_1178:
	s_endpgm
	.section	.rodata,"a",@progbits
	.p2align	6, 0x0
	.amdhsa_kernel _Z38paged_attention_ll4mi_QKV_mfma4_kernelIDF16_hLN4vllm18Fp8KVCacheDataTypeE1EDF16_Li16ELi128ELi256ELb0ELi2EEvPKT_PKT0_S7_ifPKiS9_S9_iPKfiiiPfSC_PS2_PT2_iSB_SB_
		.amdhsa_group_segment_fixed_size 5280
		.amdhsa_private_segment_fixed_size 144
		.amdhsa_kernarg_size 400
		.amdhsa_user_sgpr_count 8
		.amdhsa_user_sgpr_private_segment_buffer 1
		.amdhsa_user_sgpr_dispatch_ptr 0
		.amdhsa_user_sgpr_queue_ptr 0
		.amdhsa_user_sgpr_kernarg_segment_ptr 1
		.amdhsa_user_sgpr_dispatch_id 0
		.amdhsa_user_sgpr_flat_scratch_init 1
		.amdhsa_user_sgpr_kernarg_preload_length 0
		.amdhsa_user_sgpr_kernarg_preload_offset 0
		.amdhsa_user_sgpr_private_segment_size 0
		.amdhsa_uses_dynamic_stack 0
		.amdhsa_system_sgpr_private_segment_wavefront_offset 1
		.amdhsa_system_sgpr_workgroup_id_x 1
		.amdhsa_system_sgpr_workgroup_id_y 1
		.amdhsa_system_sgpr_workgroup_id_z 1
		.amdhsa_system_sgpr_workgroup_info 0
		.amdhsa_system_vgpr_workitem_id 0
		.amdhsa_next_free_vgpr 72
		.amdhsa_next_free_sgpr 46
		.amdhsa_accum_offset 68
		.amdhsa_reserve_vcc 1
		.amdhsa_reserve_flat_scratch 0
		.amdhsa_float_round_mode_32 0
		.amdhsa_float_round_mode_16_64 0
		.amdhsa_float_denorm_mode_32 3
		.amdhsa_float_denorm_mode_16_64 3
		.amdhsa_dx10_clamp 1
		.amdhsa_ieee_mode 1
		.amdhsa_fp16_overflow 0
		.amdhsa_tg_split 0
		.amdhsa_exception_fp_ieee_invalid_op 0
		.amdhsa_exception_fp_denorm_src 0
		.amdhsa_exception_fp_ieee_div_zero 0
		.amdhsa_exception_fp_ieee_overflow 0
		.amdhsa_exception_fp_ieee_underflow 0
		.amdhsa_exception_fp_ieee_inexact 0
		.amdhsa_exception_int_div_zero 0
	.end_amdhsa_kernel
	.section	.text._Z38paged_attention_ll4mi_QKV_mfma4_kernelIDF16_hLN4vllm18Fp8KVCacheDataTypeE1EDF16_Li16ELi128ELi256ELb0ELi2EEvPKT_PKT0_S7_ifPKiS9_S9_iPKfiiiPfSC_PS2_PT2_iSB_SB_,"axG",@progbits,_Z38paged_attention_ll4mi_QKV_mfma4_kernelIDF16_hLN4vllm18Fp8KVCacheDataTypeE1EDF16_Li16ELi128ELi256ELb0ELi2EEvPKT_PKT0_S7_ifPKiS9_S9_iPKfiiiPfSC_PS2_PT2_iSB_SB_,comdat
.Lfunc_end487:
	.size	_Z38paged_attention_ll4mi_QKV_mfma4_kernelIDF16_hLN4vllm18Fp8KVCacheDataTypeE1EDF16_Li16ELi128ELi256ELb0ELi2EEvPKT_PKT0_S7_ifPKiS9_S9_iPKfiiiPfSC_PS2_PT2_iSB_SB_, .Lfunc_end487-_Z38paged_attention_ll4mi_QKV_mfma4_kernelIDF16_hLN4vllm18Fp8KVCacheDataTypeE1EDF16_Li16ELi128ELi256ELb0ELi2EEvPKT_PKT0_S7_ifPKiS9_S9_iPKfiiiPfSC_PS2_PT2_iSB_SB_
                                        ; -- End function
	.section	.AMDGPU.csdata,"",@progbits
; Kernel info:
; codeLenInByte = 37724
; NumSgprs: 50
; NumVgprs: 66
; NumAgprs: 4
; TotalNumVgprs: 72
; ScratchSize: 144
; MemoryBound: 0
; FloatMode: 240
; IeeeMode: 1
; LDSByteSize: 5280 bytes/workgroup (compile time only)
; SGPRBlocks: 6
; VGPRBlocks: 8
; NumSGPRsForWavesPerEU: 50
; NumVGPRsForWavesPerEU: 72
; AccumOffset: 68
; Occupancy: 7
; WaveLimiterHint : 1
; COMPUTE_PGM_RSRC2:SCRATCH_EN: 1
; COMPUTE_PGM_RSRC2:USER_SGPR: 8
; COMPUTE_PGM_RSRC2:TRAP_HANDLER: 0
; COMPUTE_PGM_RSRC2:TGID_X_EN: 1
; COMPUTE_PGM_RSRC2:TGID_Y_EN: 1
; COMPUTE_PGM_RSRC2:TGID_Z_EN: 1
; COMPUTE_PGM_RSRC2:TIDIG_COMP_CNT: 0
; COMPUTE_PGM_RSRC3_GFX90A:ACCUM_OFFSET: 16
; COMPUTE_PGM_RSRC3_GFX90A:TG_SPLIT: 0
	.section	.text._Z38paged_attention_ll4mi_QKV_mfma4_kernelIDF16_hLN4vllm18Fp8KVCacheDataTypeE1EDF16_Li16ELi128ELi256ELb0ELi3EEvPKT_PKT0_S7_ifPKiS9_S9_iPKfiiiPfSC_PS2_PT2_iSB_SB_,"axG",@progbits,_Z38paged_attention_ll4mi_QKV_mfma4_kernelIDF16_hLN4vllm18Fp8KVCacheDataTypeE1EDF16_Li16ELi128ELi256ELb0ELi3EEvPKT_PKT0_S7_ifPKiS9_S9_iPKfiiiPfSC_PS2_PT2_iSB_SB_,comdat
	.protected	_Z38paged_attention_ll4mi_QKV_mfma4_kernelIDF16_hLN4vllm18Fp8KVCacheDataTypeE1EDF16_Li16ELi128ELi256ELb0ELi3EEvPKT_PKT0_S7_ifPKiS9_S9_iPKfiiiPfSC_PS2_PT2_iSB_SB_ ; -- Begin function _Z38paged_attention_ll4mi_QKV_mfma4_kernelIDF16_hLN4vllm18Fp8KVCacheDataTypeE1EDF16_Li16ELi128ELi256ELb0ELi3EEvPKT_PKT0_S7_ifPKiS9_S9_iPKfiiiPfSC_PS2_PT2_iSB_SB_
	.globl	_Z38paged_attention_ll4mi_QKV_mfma4_kernelIDF16_hLN4vllm18Fp8KVCacheDataTypeE1EDF16_Li16ELi128ELi256ELb0ELi3EEvPKT_PKT0_S7_ifPKiS9_S9_iPKfiiiPfSC_PS2_PT2_iSB_SB_
	.p2align	8
	.type	_Z38paged_attention_ll4mi_QKV_mfma4_kernelIDF16_hLN4vllm18Fp8KVCacheDataTypeE1EDF16_Li16ELi128ELi256ELb0ELi3EEvPKT_PKT0_S7_ifPKiS9_S9_iPKfiiiPfSC_PS2_PT2_iSB_SB_,@function
_Z38paged_attention_ll4mi_QKV_mfma4_kernelIDF16_hLN4vllm18Fp8KVCacheDataTypeE1EDF16_Li16ELi128ELi256ELb0ELi3EEvPKT_PKT0_S7_ifPKiS9_S9_iPKfiiiPfSC_PS2_PT2_iSB_SB_: ; @_Z38paged_attention_ll4mi_QKV_mfma4_kernelIDF16_hLN4vllm18Fp8KVCacheDataTypeE1EDF16_Li16ELi128ELi256ELb0ELi3EEvPKT_PKT0_S7_ifPKiS9_S9_iPKfiiiPfSC_PS2_PT2_iSB_SB_
; %bb.0:
	s_load_dwordx2 s[12:13], s[4:5], 0x30
	s_add_u32 s0, s0, s11
	s_addc_u32 s1, s1, 0
	s_mov_b32 s34, s9
	s_mov_b64 s[6:7], 0
	s_waitcnt lgkmcnt(0)
	s_cmp_lg_u64 s[12:13], 0
	s_cselect_b64 s[14:15], -1, 0
	s_and_b64 vcc, exec, s[14:15]
	s_cbranch_vccz .LBB488_10
; %bb.1:
	s_add_i32 s16, s8, 1
	s_mov_b32 s17, 0
	s_lshl_b64 s[18:19], s[16:17], 2
	s_add_u32 s18, s12, s18
	s_mov_b32 s9, s17
	s_addc_u32 s19, s13, s19
	s_lshl_b64 s[16:17], s[8:9], 2
	s_add_u32 s16, s12, s16
	s_addc_u32 s17, s13, s17
	s_load_dword s11, s[18:19], 0x0
	s_load_dword s20, s[16:17], 0x0
	s_waitcnt lgkmcnt(0)
	s_sub_i32 s11, s11, s20
	s_cmp_eq_u32 s11, 1
	s_cselect_b64 s[16:17], -1, 0
	s_andn2_b64 vcc, exec, s[6:7]
	s_cbranch_vccnz .LBB488_3
.LBB488_2:
	s_mov_b32 s9, 0
	s_mov_b64 s[16:17], -1
.LBB488_3:
	s_andn2_b64 vcc, exec, s[16:17]
	s_cbranch_vccnz .LBB488_1178
; %bb.4:
	s_load_dword s11, s[4:5], 0x9c
	s_load_dwordx2 s[6:7], s[4:5], 0x28
	s_add_u32 s38, s4, 0x90
	s_addc_u32 s39, s5, 0
	s_lshl_b64 s[24:25], s[8:9], 2
	s_waitcnt lgkmcnt(0)
	s_and_b32 s11, s11, 0xffff
	s_add_u32 s6, s6, s24
	s_addc_u32 s7, s7, s25
	s_load_dword s9, s[6:7], 0x0
	s_mul_i32 s11, s34, s11
	s_waitcnt lgkmcnt(0)
	s_cmp_ge_i32 s11, s9
	s_cbranch_scc1 .LBB488_1178
; %bb.5:
	v_and_b32_e32 v1, 0xc0, v0
	v_add_u32_e32 v7, s11, v1
	v_lshrrev_b32_e32 v42, 6, v0
	v_cmp_le_i32_e64 s[6:7], s9, v7
                                        ; implicit-def: $sgpr27
                                        ; implicit-def: $sgpr26
	s_and_saveexec_b64 s[16:17], s[6:7]
	s_xor_b64 s[16:17], exec, s[16:17]
	s_cbranch_execz .LBB488_7
; %bb.6:
	v_mul_u32_u24_e32 v1, 20, v42
	v_or_b32_e32 v1, 0x1400, v1
	v_mov_b32_e32 v2, 0x1450
	v_mov_b32_e32 v3, 0xff7fffff
	v_mad_u32_u24 v2, v42, 20, v2
	ds_write2_b32 v1, v3, v3 offset1:1
	v_mov_b32_e32 v1, 0
	ds_write2_b32 v2, v1, v1 offset1:1
	v_mov_b32_e32 v2, 0x1408
	s_mov_b32 s26, 0xff7fffff
	s_mov_b32 s27, 0
	v_mad_u32_u24 v2, v42, 20, v2
	v_mov_b32_e32 v4, 0x1458
	v_mad_u32_u24 v4, v42, 20, v4
	ds_write2_b32 v2, v3, v3 offset1:1
	ds_write2_b32 v4, v1, v1 offset1:1
                                        ; implicit-def: $vgpr7
.LBB488_7:
	s_or_saveexec_b64 s[40:41], s[16:17]
	s_load_dwordx2 s[36:37], s[4:5], 0x68
	s_load_dwordx4 s[20:23], s[4:5], 0x58
	s_load_dword s33, s[38:39], 0x4
	s_load_dwordx4 s[16:19], s[4:5], 0x80
	v_and_b32_e32 v1, 63, v0
	v_and_b32_e32 v43, 3, v0
	v_mov_b32_e32 v5, s27
	v_mov_b32_e32 v6, s26
	;; [unrolled: 1-line block ×5, first 2 shown]
	s_xor_b64 exec, exec, s[40:41]
	s_cbranch_execz .LBB488_785
; %bb.8:
	s_add_i32 s29, s9, 15
	s_load_dwordx2 s[26:27], s[4:5], 0x20
	s_load_dword s28, s[4:5], 0x38
	s_ashr_i32 s30, s29, 31
	s_lshr_b32 s30, s30, 28
	v_add_u32_e32 v44, s11, v0
	s_add_i32 s29, s29, s30
	v_ashrrev_i32_e32 v2, 31, v44
	s_ashr_i32 s29, s29, 4
	v_lshrrev_b32_e32 v2, 28, v2
	s_add_i32 s30, s29, -1
	v_add_u32_e32 v2, v44, v2
	s_waitcnt lgkmcnt(0)
	s_mul_i32 s28, s8, s28
	s_mov_b32 s29, 0
	v_ashrrev_i32_e32 v2, 4, v2
	v_mov_b32_e32 v3, s30
	v_cmp_gt_i32_e32 vcc, s9, v44
	s_lshl_b64 s[28:29], s[28:29], 2
	v_cndmask_b32_e32 v2, v3, v2, vcc
	s_add_u32 s26, s26, s28
	v_ashrrev_i32_e32 v3, 31, v2
	s_addc_u32 s27, s27, s29
	v_lshlrev_b64 v[2:3], 2, v[2:3]
	v_mov_b32_e32 v4, s27
	v_add_co_u32_e32 v2, vcc, s26, v2
	v_addc_co_u32_e32 v3, vcc, v4, v3, vcc
	v_ashrrev_i32_e32 v4, 31, v7
	v_lshrrev_b32_e32 v4, 28, v4
	v_add_u32_e32 v4, v7, v4
	v_ashrrev_i32_e32 v8, 4, v4
	v_min_i32_e32 v4, s30, v8
	v_ashrrev_i32_e32 v5, 31, v4
	v_lshlrev_b64 v[4:5], 2, v[4:5]
	v_mov_b32_e32 v6, s27
	v_add_co_u32_e32 v4, vcc, s26, v4
	v_addc_co_u32_e32 v5, vcc, v6, v5, vcc
	v_add_u32_e32 v6, 1, v8
	v_min_i32_e32 v6, s30, v6
	v_ashrrev_i32_e32 v7, 31, v6
	v_lshlrev_b64 v[6:7], 2, v[6:7]
	v_add_co_u32_e32 v12, vcc, s26, v6
	v_add_u32_e32 v6, 2, v8
	v_mov_b32_e32 v9, s27
	v_min_i32_e32 v6, s30, v6
	v_addc_co_u32_e32 v13, vcc, v9, v7, vcc
	v_ashrrev_i32_e32 v7, 31, v6
	v_lshlrev_b64 v[6:7], 2, v[6:7]
	v_add_co_u32_e32 v14, vcc, s26, v6
	v_add_u32_e32 v6, 3, v8
	v_min_i32_e32 v6, s30, v6
	v_addc_co_u32_e32 v15, vcc, v9, v7, vcc
	v_ashrrev_i32_e32 v7, 31, v6
	v_lshlrev_b64 v[6:7], 2, v[6:7]
	v_mov_b32_e32 v8, s27
	v_add_co_u32_e32 v16, vcc, s26, v6
	v_addc_co_u32_e32 v17, vcc, v8, v7, vcc
	global_load_dword v7, v[2:3], off
	global_load_dword v10, v[4:5], off
	global_load_dword v9, v[12:13], off
	global_load_dword v8, v[14:15], off
	global_load_dword v6, v[16:17], off
	s_load_dwordx4 s[28:31], s[4:5], 0x8
	s_andn2_b64 vcc, exec, s[14:15]
	s_cbranch_vccnz .LBB488_11
; %bb.9:
	s_add_u32 s12, s12, s24
	s_addc_u32 s13, s13, s25
	s_load_dword s11, s[12:13], 0x0
	s_branch .LBB488_12
.LBB488_10:
	s_mov_b64 s[16:17], 0
	s_branch .LBB488_2
.LBB488_11:
	s_mov_b32 s11, s8
.LBB488_12:
	s_load_dwordx4 s[24:27], s[4:5], 0x48
	v_cmp_eq_u32_e32 vcc, 3, v43
	v_cmp_ne_u32_e64 s[12:13], 3, v43
	s_mov_b32 s43, 0
	v_mov_b32_e32 v39, 0
	v_mov_b32_e32 v2, 0
	;; [unrolled: 1-line block ×5, first 2 shown]
	s_and_saveexec_b64 s[14:15], s[12:13]
	s_cbranch_execz .LBB488_14
; %bb.13:
	s_load_dwordx2 s[12:13], s[4:5], 0x0
	s_waitcnt lgkmcnt(0)
	s_ashr_i32 s27, s24, 31
	s_mul_hi_u32 s35, s11, s24
	s_mul_i32 s27, s11, s27
	s_add_i32 s45, s35, s27
	s_mul_i32 s44, s11, s24
	s_lshl_b64 s[44:45], s[44:45], 1
	s_add_u32 s11, s12, s44
	s_mul_i32 s42, s10, 0x180
	s_addc_u32 s24, s13, s45
	s_lshl_b64 s[12:13], s[42:43], 1
	v_lshlrev_b32_e32 v2, 2, v1
	s_add_u32 s12, s11, s12
	v_and_b32_e32 v2, 0xf0, v2
	s_addc_u32 s13, s24, s13
	v_lshl_or_b32 v2, v43, 8, v2
	global_load_dwordx4 v[2:5], v2, s[12:13]
.LBB488_14:
	s_or_b64 exec, exec, s[14:15]
	s_waitcnt lgkmcnt(0)
	s_mul_i32 s11, s10, s26
	s_waitcnt vmcnt(3)
	v_mul_hi_i32 v11, v10, s25
	s_add_u32 s14, s11, s28
	v_ashrrev_i32_e32 v11, 31, v11
	s_addc_u32 s15, 0, s29
	v_lshrrev_b32_e32 v38, 29, v11
	s_add_u32 s11, s30, s11
	v_mad_i64_i32 v[10:11], s[12:13], v10, s25, v[38:39]
	s_addc_u32 s24, s31, 0
	v_and_b32_e32 v10, -8, v10
	v_mov_b32_e32 v12, s24
	v_add_co_u32_e64 v10, s[12:13], s11, v10
	v_addc_co_u32_e64 v11, s[12:13], v12, v11, s[12:13]
	v_lshlrev_b32_e32 v45, 4, v1
	v_add_co_u32_e64 v14, s[12:13], v10, v45
	v_addc_co_u32_e64 v15, s[12:13], 0, v11, s[12:13]
	global_load_dwordx4 v[10:13], v[14:15], off
	global_load_dwordx4 v[46:49], v[14:15], off offset:1024
	s_waitcnt vmcnt(4)
	v_mul_hi_i32 v14, v9, s25
	v_ashrrev_i32_e32 v14, 31, v14
	v_lshrrev_b32_e32 v38, 29, v14
	v_mad_i64_i32 v[14:15], s[12:13], v9, s25, v[38:39]
	v_and_b32_e32 v9, -8, v14
	v_mov_b32_e32 v14, s24
	v_add_co_u32_e64 v9, s[12:13], s11, v9
	v_addc_co_u32_e64 v15, s[12:13], v14, v15, s[12:13]
	v_add_co_u32_e64 v14, s[12:13], v9, v45
	v_addc_co_u32_e64 v15, s[12:13], 0, v15, s[12:13]
	global_load_dwordx4 v[50:53], v[14:15], off
	global_load_dwordx4 v[54:57], v[14:15], off offset:1024
	s_waitcnt vmcnt(5)
	v_mul_hi_i32 v14, v8, s25
	s_waitcnt vmcnt(4)
	v_mul_hi_i32 v15, v6, s25
	v_lshlrev_b32_e32 v9, 4, v0
	v_ashrrev_i32_e32 v16, 31, v14
	v_ashrrev_i32_e32 v17, 31, v15
	v_pk_mov_b32 v[14:15], s[14:15], s[14:15] op_sel:[0,1]
	v_and_b32_e32 v9, 0xf0, v9
	v_mad_i64_i32 v[14:15], s[12:13], v7, s25, v[14:15]
	v_lshrrev_b32_e32 v38, 29, v16
	v_add_co_u32_e64 v40, s[12:13], v14, v9
	v_mad_i64_i32 v[8:9], s[14:15], v8, s25, v[38:39]
	v_lshrrev_b32_e32 v38, 29, v17
	v_addc_co_u32_e64 v41, s[12:13], 0, v15, s[12:13]
	v_and_b32_e32 v8, -8, v8
	v_mad_i64_i32 v[6:7], s[12:13], v6, s25, v[38:39]
	v_mov_b32_e32 v14, s24
	v_add_co_u32_e64 v8, s[12:13], s11, v8
	v_addc_co_u32_e64 v9, s[12:13], v14, v9, s[12:13]
	v_add_co_u32_e64 v8, s[12:13], v8, v45
	v_addc_co_u32_e64 v9, s[12:13], 0, v9, s[12:13]
	v_and_b32_e32 v6, -8, v6
	v_mov_b32_e32 v58, s24
	v_add_co_u32_e64 v6, s[12:13], s11, v6
	v_addc_co_u32_e64 v7, s[12:13], v58, v7, s[12:13]
	global_load_dwordx4 v[34:37], v[40:41], off
	global_load_dwordx4 v[30:33], v[40:41], off offset:256
	global_load_dwordx4 v[26:29], v[40:41], off offset:512
	;; [unrolled: 1-line block ×5, first 2 shown]
	v_add_co_u32_e64 v6, s[12:13], v6, v45
	v_addc_co_u32_e64 v7, s[12:13], 0, v7, s[12:13]
	v_mov_b32_e32 v45, 0
	s_waitcnt vmcnt(9)
	buffer_store_dword v11, off, s[0:3], 0 offset:4
	buffer_store_dword v10, off, s[0:3], 0
	buffer_store_dword v13, off, s[0:3], 0 offset:12
	buffer_store_dword v12, off, s[0:3], 0 offset:8
	global_load_dwordx4 v[58:61], v[8:9], off
	global_load_dwordx4 v[62:65], v[8:9], off offset:1024
	s_waitcnt vmcnt(14)
	buffer_store_dword v47, off, s[0:3], 0 offset:68
	buffer_store_dword v46, off, s[0:3], 0 offset:64
	;; [unrolled: 1-line block ×4, first 2 shown]
	global_load_dwordx4 v[46:49], v[6:7], off
	s_waitcnt vmcnt(18)
	buffer_store_dword v51, off, s[0:3], 0 offset:20
	buffer_store_dword v50, off, s[0:3], 0 offset:16
	;; [unrolled: 1-line block ×4, first 2 shown]
	global_load_dwordx4 v[50:53], v[6:7], off offset:1024
	s_waitcnt vmcnt(22)
	buffer_store_dword v55, off, s[0:3], 0 offset:84
	buffer_store_dword v54, off, s[0:3], 0 offset:80
	buffer_store_dword v57, off, s[0:3], 0 offset:92
	buffer_store_dword v56, off, s[0:3], 0 offset:88
	global_load_dwordx4 v[10:13], v[40:41], off offset:1536
	global_load_dwordx4 v[6:9], v[40:41], off offset:1792
	s_waitcnt vmcnt(17)
	buffer_store_dword v59, off, s[0:3], 0 offset:36
	buffer_store_dword v58, off, s[0:3], 0 offset:32
	buffer_store_dword v61, off, s[0:3], 0 offset:44
	buffer_store_dword v60, off, s[0:3], 0 offset:40
	s_waitcnt vmcnt(20)
	buffer_store_dword v63, off, s[0:3], 0 offset:100
	buffer_store_dword v62, off, s[0:3], 0 offset:96
	buffer_store_dword v65, off, s[0:3], 0 offset:108
	buffer_store_dword v64, off, s[0:3], 0 offset:104
	;; [unrolled: 5-line block ×4, first 2 shown]
	v_cmp_ne_u16_sdwa s[12:13], v34, v39 src0_sel:BYTE_0 src1_sel:DWORD
	s_and_saveexec_b64 s[14:15], s[12:13]
	s_cbranch_execz .LBB488_20
; %bb.15:
	s_movk_i32 s11, 0x80
	v_cmp_ne_u16_sdwa s[12:13], v34, s11 src0_sel:BYTE_0 src1_sel:DWORD
	v_bfrev_b32_e32 v45, 1
	s_and_saveexec_b64 s[24:25], s[12:13]
	s_cbranch_execz .LBB488_19
; %bb.16:
	s_movk_i32 s11, 0x7f
	v_and_b32_e32 v38, 0x7f, v34
	v_cmp_ne_u32_e64 s[12:13], s11, v38
	v_mov_b32_e32 v45, 0x7f800001
	s_and_saveexec_b64 s[26:27], s[12:13]
	s_cbranch_execz .LBB488_18
; %bb.17:
	v_and_b32_e32 v40, 7, v34
	v_ffbh_u32_e32 v40, v40
	v_min_u32_e32 v40, 32, v40
	v_lshrrev_b32_e32 v41, 3, v38
	v_subrev_u32_e32 v45, 28, v40
	v_sub_u32_e32 v40, 29, v40
	v_cmp_gt_u32_e64 s[12:13], 8, v38
	v_cndmask_b32_e64 v38, v41, v40, s[12:13]
	v_cndmask_b32_e64 v40, 0, v45, s[12:13]
	v_lshlrev_b64 v[40:41], v40, v[34:35]
	v_lshlrev_b32_e32 v40, 20, v40
	v_lshlrev_b32_e32 v41, 24, v34
	v_bfrev_b32_e32 v45, 60
	v_and_b32_e32 v40, 0x700000, v40
	v_and_b32_e32 v41, 0x80000000, v41
	v_lshl_add_u32 v38, v38, 23, v45
	v_or3_b32 v45, v41, v38, v40
.LBB488_18:
	s_or_b64 exec, exec, s[26:27]
.LBB488_19:
	s_or_b64 exec, exec, s[24:25]
.LBB488_20:
	s_or_b64 exec, exec, s[14:15]
	v_lshrrev_b16_e32 v38, 8, v34
	v_cmp_ne_u16_e64 s[12:13], 0, v38
	s_and_saveexec_b64 s[14:15], s[12:13]
	s_cbranch_execz .LBB488_26
; %bb.21:
	s_movk_i32 s11, 0x80
	v_cmp_ne_u16_e64 s[12:13], s11, v38
	v_bfrev_b32_e32 v39, 1
	s_and_saveexec_b64 s[24:25], s[12:13]
	s_cbranch_execz .LBB488_25
; %bb.22:
	s_movk_i32 s11, 0x7f
	v_and_b32_e32 v40, 0x7f, v38
	v_cmp_ne_u32_e64 s[12:13], s11, v40
	v_mov_b32_e32 v39, 0x7f800001
	s_and_saveexec_b64 s[26:27], s[12:13]
	s_cbranch_execz .LBB488_24
; %bb.23:
	v_and_b32_e32 v41, 7, v38
	v_ffbh_u32_e32 v39, v41
	v_min_u32_e32 v47, 32, v39
	v_subrev_u32_e32 v39, 28, v47
	v_lshlrev_b64 v[38:39], v39, v[38:39]
	v_lshrrev_b32_e32 v46, 3, v40
	v_sub_u32_e32 v39, 29, v47
	v_and_b32_e32 v38, 7, v38
	v_cmp_gt_u32_e64 s[12:13], 8, v40
	v_cndmask_b32_e64 v39, v46, v39, s[12:13]
	v_cndmask_b32_e64 v38, v41, v38, s[12:13]
	v_lshlrev_b32_e32 v40, 16, v34
	v_bfrev_b32_e32 v41, 60
	v_lshlrev_b32_e32 v38, 20, v38
	v_and_b32_e32 v40, 0x80000000, v40
	v_lshl_add_u32 v39, v39, 23, v41
	v_or3_b32 v39, v40, v39, v38
.LBB488_24:
	s_or_b64 exec, exec, s[26:27]
.LBB488_25:
	s_or_b64 exec, exec, s[24:25]
.LBB488_26:
	s_or_b64 exec, exec, s[14:15]
	s_movk_i32 s11, 0xff
	v_and_b32_sdwa v40, v34, s11 dst_sel:DWORD dst_unused:UNUSED_PAD src0_sel:WORD_1 src1_sel:DWORD
	v_lshrrev_b32_e32 v38, 16, v34
	v_cmp_ne_u16_e64 s[12:13], 0, v40
	v_mov_b32_e32 v46, 0
	v_mov_b32_e32 v47, 0
	s_and_saveexec_b64 s[14:15], s[12:13]
	s_cbranch_execz .LBB488_32
; %bb.27:
	s_movk_i32 s11, 0x80
	v_cmp_ne_u16_e64 s[12:13], s11, v40
	v_bfrev_b32_e32 v47, 1
	s_and_saveexec_b64 s[24:25], s[12:13]
	s_cbranch_execz .LBB488_31
; %bb.28:
	v_bfe_u32 v40, v34, 16, 7
	s_movk_i32 s11, 0x7f
	v_cmp_ne_u32_e64 s[12:13], s11, v40
	v_mov_b32_e32 v47, 0x7f800001
	s_and_saveexec_b64 s[26:27], s[12:13]
	s_cbranch_execz .LBB488_30
; %bb.29:
	v_and_b32_e32 v41, 7, v38
	v_ffbh_u32_e32 v48, v41
	v_min_u32_e32 v50, 32, v48
	v_subrev_u32_e32 v48, 28, v50
	v_lshlrev_b64 v[48:49], v48, v[38:39]
	v_and_b32_e32 v48, 7, v48
	v_cmp_gt_u32_e64 s[12:13], 8, v40
	v_lshrrev_b32_e32 v47, 3, v40
	v_sub_u32_e32 v38, 29, v50
	v_cndmask_b32_e64 v40, v41, v48, s[12:13]
	v_mov_b32_e32 v41, 24
	v_cndmask_b32_e64 v38, v47, v38, s[12:13]
	v_lshlrev_b32_sdwa v41, v41, v34 dst_sel:DWORD dst_unused:UNUSED_PAD src0_sel:DWORD src1_sel:WORD_1
	v_bfrev_b32_e32 v47, 60
	v_lshlrev_b32_e32 v40, 20, v40
	v_and_b32_e32 v41, 0x80000000, v41
	v_lshl_add_u32 v38, v38, 23, v47
	v_or3_b32 v47, v41, v38, v40
.LBB488_30:
	s_or_b64 exec, exec, s[26:27]
.LBB488_31:
	s_or_b64 exec, exec, s[24:25]
.LBB488_32:
	s_or_b64 exec, exec, s[14:15]
	s_mov_b32 s11, 0xffffff
	v_cmp_lt_u32_e64 s[12:13], s11, v34
	s_and_saveexec_b64 s[14:15], s[12:13]
	s_cbranch_execz .LBB488_38
; %bb.33:
	v_lshrrev_b32_e32 v38, 24, v34
	s_movk_i32 s11, 0x80
	v_cmp_ne_u32_e64 s[12:13], s11, v38
	v_bfrev_b32_e32 v46, 1
	s_and_saveexec_b64 s[24:25], s[12:13]
	s_cbranch_execz .LBB488_37
; %bb.34:
	v_bfe_u32 v40, v34, 24, 7
	s_movk_i32 s11, 0x7f
	v_cmp_ne_u32_e64 s[12:13], s11, v40
	v_mov_b32_e32 v46, 0x7f800001
	s_and_saveexec_b64 s[26:27], s[12:13]
	s_cbranch_execz .LBB488_36
; %bb.35:
	v_and_b32_e32 v41, 7, v38
	v_ffbh_u32_e32 v48, v41
	v_min_u32_e32 v50, 32, v48
	v_subrev_u32_e32 v48, 28, v50
	v_lshlrev_b64 v[48:49], v48, v[38:39]
	v_lshrrev_b32_e32 v46, 3, v40
	v_sub_u32_e32 v49, 29, v50
	v_and_b32_e32 v48, 7, v48
	v_cmp_gt_u32_e64 s[12:13], 8, v40
	v_cndmask_b32_e64 v40, v46, v49, s[12:13]
	v_cndmask_b32_e64 v41, v41, v48, s[12:13]
	v_lshlrev_b32_e32 v38, 24, v38
	v_bfrev_b32_e32 v46, 60
	v_lshlrev_b32_e32 v41, 20, v41
	v_and_b32_e32 v38, 0x80000000, v38
	v_lshl_add_u32 v40, v40, 23, v46
	v_or3_b32 v46, v38, v40, v41
.LBB488_36:
	s_or_b64 exec, exec, s[26:27]
.LBB488_37:
	s_or_b64 exec, exec, s[24:25]
.LBB488_38:
	s_or_b64 exec, exec, s[14:15]
	v_mov_b32_e32 v41, 0
	v_mov_b32_e32 v40, v35
	v_cmp_ne_u16_sdwa s[12:13], v35, v41 src0_sel:BYTE_0 src1_sel:DWORD
	v_mov_b32_e32 v48, v41
	s_and_saveexec_b64 s[14:15], s[12:13]
	s_cbranch_execz .LBB488_44
; %bb.39:
	s_movk_i32 s11, 0x80
	v_cmp_ne_u16_sdwa s[12:13], v35, s11 src0_sel:BYTE_0 src1_sel:DWORD
	v_bfrev_b32_e32 v48, 1
	s_and_saveexec_b64 s[24:25], s[12:13]
	s_cbranch_execz .LBB488_43
; %bb.40:
	s_movk_i32 s11, 0x7f
	v_and_b32_e32 v38, 0x7f, v35
	v_cmp_ne_u32_e64 s[12:13], s11, v38
	v_mov_b32_e32 v48, 0x7f800001
	s_and_saveexec_b64 s[26:27], s[12:13]
	s_cbranch_execz .LBB488_42
; %bb.41:
	v_and_b32_e32 v48, 7, v35
	v_ffbh_u32_e32 v48, v48
	v_min_u32_e32 v48, 32, v48
	v_lshrrev_b32_e32 v49, 3, v38
	v_subrev_u32_e32 v50, 28, v48
	v_sub_u32_e32 v48, 29, v48
	v_cmp_gt_u32_e64 s[12:13], 8, v38
	v_cndmask_b32_e64 v38, v49, v48, s[12:13]
	v_cndmask_b32_e64 v48, 0, v50, s[12:13]
	v_lshlrev_b64 v[48:49], v48, v[40:41]
	v_lshlrev_b32_e32 v48, 20, v48
	v_lshlrev_b32_e32 v49, 24, v40
	v_bfrev_b32_e32 v50, 60
	v_and_b32_e32 v48, 0x700000, v48
	v_and_b32_e32 v49, 0x80000000, v49
	v_lshl_add_u32 v38, v38, 23, v50
	v_or3_b32 v48, v49, v38, v48
.LBB488_42:
	s_or_b64 exec, exec, s[26:27]
.LBB488_43:
	s_or_b64 exec, exec, s[24:25]
.LBB488_44:
	s_or_b64 exec, exec, s[14:15]
	v_lshrrev_b16_e32 v38, 8, v40
	v_cmp_ne_u16_e64 s[12:13], 0, v38
	s_and_saveexec_b64 s[14:15], s[12:13]
	s_cbranch_execz .LBB488_50
; %bb.45:
	s_movk_i32 s11, 0x80
	v_cmp_ne_u16_e64 s[12:13], s11, v38
	v_bfrev_b32_e32 v41, 1
	s_and_saveexec_b64 s[24:25], s[12:13]
	s_cbranch_execz .LBB488_49
; %bb.46:
	s_movk_i32 s11, 0x7f
	v_and_b32_e32 v49, 0x7f, v38
	v_cmp_ne_u32_e64 s[12:13], s11, v49
	v_mov_b32_e32 v41, 0x7f800001
	s_and_saveexec_b64 s[26:27], s[12:13]
	s_cbranch_execz .LBB488_48
; %bb.47:
	v_and_b32_e32 v41, 7, v38
	v_ffbh_u32_e32 v50, v41
	v_min_u32_e32 v53, 32, v50
	v_subrev_u32_e32 v50, 28, v53
	v_lshlrev_b64 v[50:51], v50, v[38:39]
	v_lshrrev_b32_e32 v52, 3, v49
	v_sub_u32_e32 v38, 29, v53
	v_and_b32_e32 v50, 7, v50
	v_cmp_gt_u32_e64 s[12:13], 8, v49
	v_cndmask_b32_e64 v38, v52, v38, s[12:13]
	v_cndmask_b32_e64 v41, v41, v50, s[12:13]
	v_lshlrev_b32_e32 v40, 16, v40
	v_bfrev_b32_e32 v49, 60
	v_lshlrev_b32_e32 v41, 20, v41
	v_and_b32_e32 v40, 0x80000000, v40
	v_lshl_add_u32 v38, v38, 23, v49
	v_or3_b32 v41, v40, v38, v41
.LBB488_48:
	s_or_b64 exec, exec, s[26:27]
.LBB488_49:
	s_or_b64 exec, exec, s[24:25]
.LBB488_50:
	s_or_b64 exec, exec, s[14:15]
	s_movk_i32 s11, 0xff
	v_and_b32_sdwa v50, v35, s11 dst_sel:DWORD dst_unused:UNUSED_PAD src0_sel:WORD_1 src1_sel:DWORD
	v_lshrrev_b32_e32 v38, 16, v35
	v_cmp_ne_u16_e64 s[12:13], 0, v50
	v_mov_b32_e32 v40, 0
	v_mov_b32_e32 v49, 0
	s_and_saveexec_b64 s[14:15], s[12:13]
	s_cbranch_execz .LBB488_56
; %bb.51:
	s_movk_i32 s11, 0x80
	v_cmp_ne_u16_e64 s[12:13], s11, v50
	v_bfrev_b32_e32 v49, 1
	s_and_saveexec_b64 s[24:25], s[12:13]
	s_cbranch_execz .LBB488_55
; %bb.52:
	v_bfe_u32 v50, v35, 16, 7
	s_movk_i32 s11, 0x7f
	v_cmp_ne_u32_e64 s[12:13], s11, v50
	v_mov_b32_e32 v49, 0x7f800001
	s_and_saveexec_b64 s[26:27], s[12:13]
	s_cbranch_execz .LBB488_54
; %bb.53:
	v_and_b32_e32 v49, 7, v38
	v_ffbh_u32_e32 v52, v49
	v_min_u32_e32 v54, 32, v52
	v_subrev_u32_e32 v52, 28, v54
	v_lshlrev_b64 v[52:53], v52, v[38:39]
	v_lshrrev_b32_e32 v51, 3, v50
	v_sub_u32_e32 v38, 29, v54
	v_and_b32_e32 v52, 7, v52
	v_cmp_gt_u32_e64 s[12:13], 8, v50
	v_mov_b32_e32 v50, 24
	v_cndmask_b32_e64 v38, v51, v38, s[12:13]
	v_cndmask_b32_e64 v49, v49, v52, s[12:13]
	v_lshlrev_b32_sdwa v50, v50, v35 dst_sel:DWORD dst_unused:UNUSED_PAD src0_sel:DWORD src1_sel:WORD_1
	v_bfrev_b32_e32 v51, 60
	v_lshlrev_b32_e32 v49, 20, v49
	v_and_b32_e32 v50, 0x80000000, v50
	v_lshl_add_u32 v38, v38, 23, v51
	v_or3_b32 v49, v50, v38, v49
.LBB488_54:
	s_or_b64 exec, exec, s[26:27]
.LBB488_55:
	s_or_b64 exec, exec, s[24:25]
.LBB488_56:
	s_or_b64 exec, exec, s[14:15]
	s_mov_b32 s12, -1
	s_mov_b32 s13, 0xffffff
	v_cmp_lt_u64_e64 s[12:13], s[12:13], v[34:35]
	s_and_saveexec_b64 s[14:15], s[12:13]
	s_cbranch_execz .LBB488_62
; %bb.57:
	v_lshrrev_b32_e32 v34, 24, v35
	s_movk_i32 s11, 0x80
	v_cmp_ne_u32_e64 s[12:13], s11, v34
	v_bfrev_b32_e32 v40, 1
	s_and_saveexec_b64 s[24:25], s[12:13]
	s_cbranch_execz .LBB488_61
; %bb.58:
	v_bfe_u32 v35, v35, 24, 7
	s_movk_i32 s11, 0x7f
	v_cmp_ne_u32_e64 s[12:13], s11, v35
	v_mov_b32_e32 v40, 0x7f800001
	s_and_saveexec_b64 s[26:27], s[12:13]
	s_cbranch_execz .LBB488_60
; %bb.59:
	v_and_b32_e32 v38, 7, v34
	v_ffbh_u32_e32 v50, v38
	v_min_u32_e32 v52, 32, v50
	v_subrev_u32_e32 v50, 28, v52
	v_lshlrev_b64 v[50:51], v50, v[34:35]
	v_lshrrev_b32_e32 v40, 3, v35
	v_sub_u32_e32 v51, 29, v52
	v_and_b32_e32 v50, 7, v50
	v_cmp_gt_u32_e64 s[12:13], 8, v35
	v_cndmask_b32_e64 v35, v40, v51, s[12:13]
	v_cndmask_b32_e64 v38, v38, v50, s[12:13]
	v_lshlrev_b32_e32 v34, 24, v34
	v_bfrev_b32_e32 v40, 60
	v_lshlrev_b32_e32 v38, 20, v38
	v_and_b32_e32 v34, 0x80000000, v34
	v_lshl_add_u32 v35, v35, 23, v40
	v_or3_b32 v40, v34, v35, v38
.LBB488_60:
	s_or_b64 exec, exec, s[26:27]
.LBB488_61:
	s_or_b64 exec, exec, s[24:25]
.LBB488_62:
	s_or_b64 exec, exec, s[14:15]
	v_cvt_pkrtz_f16_f32 v34, v45, v39
	v_cvt_pkrtz_f16_f32 v35, v47, v46
	;; [unrolled: 1-line block ×4, first 2 shown]
	v_mfma_f32_4x4x4f16 a[0:3], v[2:3], v[34:35], 0 cbsz:4
	v_mov_b32_e32 v40, 0
	v_mfma_f32_4x4x4f16 a[0:3], v[4:5], v[46:47], a[0:3] cbsz:4
	v_mov_b32_e32 v39, 0
	v_cmp_ne_u16_sdwa s[12:13], v36, v40 src0_sel:BYTE_0 src1_sel:DWORD
	s_and_saveexec_b64 s[14:15], s[12:13]
	s_cbranch_execz .LBB488_68
; %bb.63:
	s_movk_i32 s11, 0x80
	v_cmp_ne_u16_sdwa s[12:13], v36, s11 src0_sel:BYTE_0 src1_sel:DWORD
	v_bfrev_b32_e32 v39, 1
	s_and_saveexec_b64 s[24:25], s[12:13]
	s_cbranch_execz .LBB488_67
; %bb.64:
	s_movk_i32 s11, 0x7f
	v_and_b32_e32 v34, 0x7f, v36
	v_cmp_ne_u32_e64 s[12:13], s11, v34
	v_mov_b32_e32 v39, 0x7f800001
	s_and_saveexec_b64 s[26:27], s[12:13]
	s_cbranch_execz .LBB488_66
; %bb.65:
	v_and_b32_e32 v35, 7, v36
	v_ffbh_u32_e32 v35, v35
	v_min_u32_e32 v35, 32, v35
	v_subrev_u32_e32 v39, 28, v35
	v_cmp_gt_u32_e64 s[12:13], 8, v34
	v_lshrrev_b32_e32 v38, 3, v34
	v_sub_u32_e32 v35, 29, v35
	v_cndmask_b32_e64 v34, 0, v39, s[12:13]
	v_cndmask_b32_e64 v38, v38, v35, s[12:13]
	v_lshlrev_b64 v[34:35], v34, v[36:37]
	v_lshlrev_b32_e32 v34, 20, v34
	v_lshlrev_b32_e32 v35, 24, v36
	v_bfrev_b32_e32 v39, 60
	v_and_b32_e32 v34, 0x700000, v34
	v_and_b32_e32 v35, 0x80000000, v35
	v_lshl_add_u32 v38, v38, 23, v39
	v_or3_b32 v39, v35, v38, v34
.LBB488_66:
	s_or_b64 exec, exec, s[26:27]
.LBB488_67:
	s_or_b64 exec, exec, s[24:25]
.LBB488_68:
	s_or_b64 exec, exec, s[14:15]
	v_lshrrev_b16_e32 v34, 8, v36
	v_cmp_ne_u16_e64 s[12:13], 0, v34
	v_mov_b32_e32 v41, 0
	s_and_saveexec_b64 s[14:15], s[12:13]
	s_cbranch_execz .LBB488_74
; %bb.69:
	s_movk_i32 s11, 0x80
	v_cmp_ne_u16_e64 s[12:13], s11, v34
	v_bfrev_b32_e32 v41, 1
	s_and_saveexec_b64 s[24:25], s[12:13]
	s_cbranch_execz .LBB488_73
; %bb.70:
	s_movk_i32 s11, 0x7f
	v_and_b32_e32 v35, 0x7f, v34
	v_cmp_ne_u32_e64 s[12:13], s11, v35
	v_mov_b32_e32 v41, 0x7f800001
	s_and_saveexec_b64 s[26:27], s[12:13]
	s_cbranch_execz .LBB488_72
; %bb.71:
	v_and_b32_e32 v38, 7, v34
	v_ffbh_u32_e32 v45, v38
	v_min_u32_e32 v45, 32, v45
	v_subrev_u32_e32 v46, 28, v45
	v_lshlrev_b64 v[46:47], v46, v[34:35]
	v_lshrrev_b32_e32 v41, 3, v35
	v_sub_u32_e32 v34, 29, v45
	v_and_b32_e32 v45, 7, v46
	v_cmp_gt_u32_e64 s[12:13], 8, v35
	v_cndmask_b32_e64 v34, v41, v34, s[12:13]
	v_cndmask_b32_e64 v35, v38, v45, s[12:13]
	v_lshlrev_b32_e32 v38, 16, v36
	v_bfrev_b32_e32 v41, 60
	v_lshlrev_b32_e32 v35, 20, v35
	v_and_b32_e32 v38, 0x80000000, v38
	v_lshl_add_u32 v34, v34, 23, v41
	v_or3_b32 v41, v38, v34, v35
.LBB488_72:
	s_or_b64 exec, exec, s[26:27]
.LBB488_73:
	s_or_b64 exec, exec, s[24:25]
.LBB488_74:
	s_or_b64 exec, exec, s[14:15]
	s_movk_i32 s11, 0xff
	v_and_b32_sdwa v35, v36, s11 dst_sel:DWORD dst_unused:UNUSED_PAD src0_sel:WORD_1 src1_sel:DWORD
	v_lshrrev_b32_e32 v34, 16, v36
	v_cmp_ne_u16_e64 s[12:13], 0, v35
	s_and_saveexec_b64 s[14:15], s[12:13]
	s_cbranch_execz .LBB488_80
; %bb.75:
	s_movk_i32 s11, 0x80
	v_cmp_ne_u16_e64 s[12:13], s11, v35
	v_bfrev_b32_e32 v40, 1
	s_and_saveexec_b64 s[24:25], s[12:13]
	s_cbranch_execz .LBB488_79
; %bb.76:
	v_bfe_u32 v35, v36, 16, 7
	s_movk_i32 s11, 0x7f
	v_cmp_ne_u32_e64 s[12:13], s11, v35
	v_mov_b32_e32 v40, 0x7f800001
	s_and_saveexec_b64 s[26:27], s[12:13]
	s_cbranch_execz .LBB488_78
; %bb.77:
	v_and_b32_e32 v38, 7, v34
	v_ffbh_u32_e32 v45, v38
	v_min_u32_e32 v45, 32, v45
	v_subrev_u32_e32 v46, 28, v45
	v_lshlrev_b64 v[46:47], v46, v[34:35]
	v_sub_u32_e32 v34, 29, v45
	v_and_b32_e32 v45, 7, v46
	v_cmp_gt_u32_e64 s[12:13], 8, v35
	v_lshrrev_b32_e32 v40, 3, v35
	v_cndmask_b32_e64 v35, v38, v45, s[12:13]
	v_mov_b32_e32 v38, 24
	v_cndmask_b32_e64 v34, v40, v34, s[12:13]
	v_lshlrev_b32_sdwa v38, v38, v36 dst_sel:DWORD dst_unused:UNUSED_PAD src0_sel:DWORD src1_sel:WORD_1
	v_bfrev_b32_e32 v40, 60
	v_lshlrev_b32_e32 v35, 20, v35
	v_and_b32_e32 v38, 0x80000000, v38
	v_lshl_add_u32 v34, v34, 23, v40
	v_or3_b32 v40, v38, v34, v35
.LBB488_78:
	s_or_b64 exec, exec, s[26:27]
.LBB488_79:
	s_or_b64 exec, exec, s[24:25]
.LBB488_80:
	s_or_b64 exec, exec, s[14:15]
	s_mov_b32 s11, 0xffffff
	v_cmp_lt_u32_e64 s[12:13], s11, v36
	v_mov_b32_e32 v35, 0
	v_mov_b32_e32 v45, 0
	s_and_saveexec_b64 s[14:15], s[12:13]
	s_cbranch_execz .LBB488_86
; %bb.81:
	v_lshrrev_b32_e32 v34, 24, v36
	s_movk_i32 s11, 0x80
	v_cmp_ne_u32_e64 s[12:13], s11, v34
	v_bfrev_b32_e32 v45, 1
	s_and_saveexec_b64 s[24:25], s[12:13]
	s_cbranch_execz .LBB488_85
; %bb.82:
	v_bfe_u32 v38, v36, 24, 7
	s_movk_i32 s11, 0x7f
	v_cmp_ne_u32_e64 s[12:13], s11, v38
	v_mov_b32_e32 v45, 0x7f800001
	s_and_saveexec_b64 s[26:27], s[12:13]
	s_cbranch_execz .LBB488_84
; %bb.83:
	v_and_b32_e32 v45, 7, v34
	v_ffbh_u32_e32 v46, v45
	v_min_u32_e32 v49, 32, v46
	v_subrev_u32_e32 v46, 28, v49
	v_lshlrev_b64 v[46:47], v46, v[34:35]
	v_lshrrev_b32_e32 v48, 3, v38
	v_sub_u32_e32 v47, 29, v49
	v_and_b32_e32 v46, 7, v46
	v_cmp_gt_u32_e64 s[12:13], 8, v38
	v_cndmask_b32_e64 v38, v48, v47, s[12:13]
	v_cndmask_b32_e64 v45, v45, v46, s[12:13]
	v_lshlrev_b32_e32 v34, 24, v34
	v_bfrev_b32_e32 v46, 60
	v_lshlrev_b32_e32 v45, 20, v45
	v_and_b32_e32 v34, 0x80000000, v34
	v_lshl_add_u32 v38, v38, 23, v46
	v_or3_b32 v45, v34, v38, v45
.LBB488_84:
	s_or_b64 exec, exec, s[26:27]
.LBB488_85:
	s_or_b64 exec, exec, s[24:25]
.LBB488_86:
	s_or_b64 exec, exec, s[14:15]
	v_mov_b32_e32 v34, v37
	v_cmp_ne_u16_sdwa s[12:13], v37, v35 src0_sel:BYTE_0 src1_sel:DWORD
	s_and_saveexec_b64 s[14:15], s[12:13]
	s_cbranch_execz .LBB488_92
; %bb.87:
	s_movk_i32 s11, 0x80
	v_cmp_ne_u16_sdwa s[12:13], v37, s11 src0_sel:BYTE_0 src1_sel:DWORD
	v_bfrev_b32_e32 v38, 1
	s_and_saveexec_b64 s[24:25], s[12:13]
	s_cbranch_execz .LBB488_91
; %bb.88:
	s_movk_i32 s11, 0x7f
	v_and_b32_e32 v46, 0x7f, v37
	v_cmp_ne_u32_e64 s[12:13], s11, v46
	v_mov_b32_e32 v38, 0x7f800001
	s_and_saveexec_b64 s[26:27], s[12:13]
	s_cbranch_execz .LBB488_90
; %bb.89:
	v_and_b32_e32 v38, 7, v37
	v_ffbh_u32_e32 v38, v38
	v_min_u32_e32 v38, 32, v38
	v_subrev_u32_e32 v48, 28, v38
	v_cmp_gt_u32_e64 s[12:13], 8, v46
	v_lshrrev_b32_e32 v47, 3, v46
	v_sub_u32_e32 v38, 29, v38
	v_cndmask_b32_e64 v46, 0, v48, s[12:13]
	v_cndmask_b32_e64 v38, v47, v38, s[12:13]
	v_lshlrev_b64 v[46:47], v46, v[34:35]
	v_lshlrev_b32_e32 v35, 20, v46
	v_lshlrev_b32_e32 v46, 24, v34
	v_bfrev_b32_e32 v47, 60
	v_and_b32_e32 v35, 0x700000, v35
	v_and_b32_e32 v46, 0x80000000, v46
	v_lshl_add_u32 v38, v38, 23, v47
	v_or3_b32 v38, v46, v38, v35
.LBB488_90:
	s_or_b64 exec, exec, s[26:27]
.LBB488_91:
	s_or_b64 exec, exec, s[24:25]
	v_mov_b32_e32 v35, v38
.LBB488_92:
	s_or_b64 exec, exec, s[14:15]
	v_lshrrev_b16_e32 v38, 8, v34
	v_cmp_ne_u16_e64 s[12:13], 0, v38
	v_mov_b32_e32 v46, 0
	v_mov_b32_e32 v47, 0
	s_and_saveexec_b64 s[14:15], s[12:13]
	s_cbranch_execz .LBB488_98
; %bb.93:
	s_movk_i32 s11, 0x80
	v_cmp_ne_u16_e64 s[12:13], s11, v38
	v_bfrev_b32_e32 v47, 1
	s_and_saveexec_b64 s[24:25], s[12:13]
	s_cbranch_execz .LBB488_97
; %bb.94:
	s_movk_i32 s11, 0x7f
	v_and_b32_e32 v48, 0x7f, v38
	v_cmp_ne_u32_e64 s[12:13], s11, v48
	v_mov_b32_e32 v47, 0x7f800001
	s_and_saveexec_b64 s[26:27], s[12:13]
	s_cbranch_execz .LBB488_96
; %bb.95:
	v_and_b32_e32 v47, 7, v38
	v_ffbh_u32_e32 v50, v47
	v_min_u32_e32 v52, 32, v50
	v_subrev_u32_e32 v50, 28, v52
	v_lshlrev_b64 v[50:51], v50, v[38:39]
	v_lshrrev_b32_e32 v49, 3, v48
	v_sub_u32_e32 v38, 29, v52
	v_and_b32_e32 v50, 7, v50
	v_cmp_gt_u32_e64 s[12:13], 8, v48
	v_cndmask_b32_e64 v38, v49, v38, s[12:13]
	v_cndmask_b32_e64 v47, v47, v50, s[12:13]
	v_lshlrev_b32_e32 v34, 16, v34
	v_bfrev_b32_e32 v48, 60
	v_lshlrev_b32_e32 v47, 20, v47
	v_and_b32_e32 v34, 0x80000000, v34
	v_lshl_add_u32 v38, v38, 23, v48
	v_or3_b32 v47, v34, v38, v47
.LBB488_96:
	s_or_b64 exec, exec, s[26:27]
.LBB488_97:
	s_or_b64 exec, exec, s[24:25]
.LBB488_98:
	s_or_b64 exec, exec, s[14:15]
	s_movk_i32 s11, 0xff
	v_and_b32_sdwa v38, v37, s11 dst_sel:DWORD dst_unused:UNUSED_PAD src0_sel:WORD_1 src1_sel:DWORD
	v_lshrrev_b32_e32 v34, 16, v37
	v_cmp_ne_u16_e64 s[12:13], 0, v38
	s_and_saveexec_b64 s[14:15], s[12:13]
	s_cbranch_execz .LBB488_104
; %bb.99:
	s_movk_i32 s11, 0x80
	v_cmp_ne_u16_e64 s[12:13], s11, v38
	v_bfrev_b32_e32 v46, 1
	s_and_saveexec_b64 s[24:25], s[12:13]
	s_cbranch_execz .LBB488_103
; %bb.100:
	v_bfe_u32 v38, v37, 16, 7
	s_movk_i32 s11, 0x7f
	v_cmp_ne_u32_e64 s[12:13], s11, v38
	v_mov_b32_e32 v46, 0x7f800001
	s_and_saveexec_b64 s[26:27], s[12:13]
	s_cbranch_execz .LBB488_102
; %bb.101:
	v_and_b32_e32 v46, 7, v34
	v_ffbh_u32_e32 v48, v46
	v_min_u32_e32 v51, 32, v48
	v_subrev_u32_e32 v48, 28, v51
	v_lshlrev_b64 v[48:49], v48, v[34:35]
	v_and_b32_e32 v48, 7, v48
	v_cmp_gt_u32_e64 s[12:13], 8, v38
	v_lshrrev_b32_e32 v50, 3, v38
	v_sub_u32_e32 v34, 29, v51
	v_cndmask_b32_e64 v38, v46, v48, s[12:13]
	v_mov_b32_e32 v46, 24
	v_cndmask_b32_e64 v34, v50, v34, s[12:13]
	v_lshlrev_b32_sdwa v46, v46, v37 dst_sel:DWORD dst_unused:UNUSED_PAD src0_sel:DWORD src1_sel:WORD_1
	v_bfrev_b32_e32 v48, 60
	v_lshlrev_b32_e32 v38, 20, v38
	v_and_b32_e32 v46, 0x80000000, v46
	v_lshl_add_u32 v34, v34, 23, v48
	v_or3_b32 v46, v46, v34, v38
.LBB488_102:
	s_or_b64 exec, exec, s[26:27]
.LBB488_103:
	s_or_b64 exec, exec, s[24:25]
.LBB488_104:
	s_or_b64 exec, exec, s[14:15]
	s_mov_b32 s12, -1
	s_mov_b32 s13, 0xffffff
	v_cmp_lt_u64_e64 s[12:13], s[12:13], v[36:37]
	v_mov_b32_e32 v38, 0
	v_mov_b32_e32 v36, 0
	s_and_saveexec_b64 s[14:15], s[12:13]
	s_cbranch_execz .LBB488_110
; %bb.105:
	v_lshrrev_b32_e32 v34, 24, v37
	s_movk_i32 s11, 0x80
	v_cmp_ne_u32_e64 s[12:13], s11, v34
	v_bfrev_b32_e32 v36, 1
	s_and_saveexec_b64 s[24:25], s[12:13]
	s_cbranch_execz .LBB488_109
; %bb.106:
	v_bfe_u32 v37, v37, 24, 7
	s_movk_i32 s11, 0x7f
	v_cmp_ne_u32_e64 s[12:13], s11, v37
	v_mov_b32_e32 v36, 0x7f800001
	s_and_saveexec_b64 s[26:27], s[12:13]
	s_cbranch_execz .LBB488_108
; %bb.107:
	v_and_b32_e32 v36, 7, v34
	v_ffbh_u32_e32 v48, v36
	v_min_u32_e32 v51, 32, v48
	v_subrev_u32_e32 v48, 28, v51
	v_lshlrev_b64 v[48:49], v48, v[34:35]
	v_lshrrev_b32_e32 v50, 3, v37
	v_sub_u32_e32 v49, 29, v51
	v_and_b32_e32 v48, 7, v48
	v_cmp_gt_u32_e64 s[12:13], 8, v37
	v_cndmask_b32_e64 v37, v50, v49, s[12:13]
	v_cndmask_b32_e64 v36, v36, v48, s[12:13]
	v_lshlrev_b32_e32 v34, 24, v34
	v_bfrev_b32_e32 v48, 60
	v_lshlrev_b32_e32 v36, 20, v36
	v_and_b32_e32 v34, 0x80000000, v34
	v_lshl_add_u32 v37, v37, 23, v48
	v_or3_b32 v36, v34, v37, v36
.LBB488_108:
	s_or_b64 exec, exec, s[26:27]
.LBB488_109:
	s_or_b64 exec, exec, s[24:25]
.LBB488_110:
	s_or_b64 exec, exec, s[14:15]
	v_cvt_pkrtz_f16_f32 v48, v39, v41
	v_cvt_pkrtz_f16_f32 v49, v40, v45
	;; [unrolled: 1-line block ×4, first 2 shown]
	v_mfma_f32_4x4x4f16 a[0:3], v[2:3], v[48:49], a[0:3] cbsz:4 abid:1
	v_cmp_ne_u16_sdwa s[12:13], v30, v38 src0_sel:BYTE_0 src1_sel:DWORD
	v_mfma_f32_4x4x4f16 a[0:3], v[4:5], v[34:35], a[0:3] cbsz:4 abid:1
	s_and_saveexec_b64 s[14:15], s[12:13]
	s_cbranch_execz .LBB488_116
; %bb.111:
	s_movk_i32 s11, 0x80
	v_cmp_ne_u16_sdwa s[12:13], v30, s11 src0_sel:BYTE_0 src1_sel:DWORD
	v_bfrev_b32_e32 v38, 1
	s_and_saveexec_b64 s[24:25], s[12:13]
	s_cbranch_execz .LBB488_115
; %bb.112:
	s_movk_i32 s11, 0x7f
	v_and_b32_e32 v34, 0x7f, v30
	v_cmp_ne_u32_e64 s[12:13], s11, v34
	v_mov_b32_e32 v38, 0x7f800001
	s_and_saveexec_b64 s[26:27], s[12:13]
	s_cbranch_execz .LBB488_114
; %bb.113:
	v_and_b32_e32 v35, 7, v30
	v_ffbh_u32_e32 v35, v35
	v_min_u32_e32 v35, 32, v35
	v_subrev_u32_e32 v37, 28, v35
	v_cmp_gt_u32_e64 s[12:13], 8, v34
	v_lshrrev_b32_e32 v36, 3, v34
	v_sub_u32_e32 v35, 29, v35
	v_cndmask_b32_e64 v34, 0, v37, s[12:13]
	v_cndmask_b32_e64 v36, v36, v35, s[12:13]
	v_lshlrev_b64 v[34:35], v34, v[30:31]
	v_lshlrev_b32_e32 v34, 20, v34
	v_lshlrev_b32_e32 v35, 24, v30
	v_bfrev_b32_e32 v37, 60
	v_and_b32_e32 v34, 0x700000, v34
	v_and_b32_e32 v35, 0x80000000, v35
	v_lshl_add_u32 v36, v36, 23, v37
	v_or3_b32 v38, v35, v36, v34
.LBB488_114:
	s_or_b64 exec, exec, s[26:27]
.LBB488_115:
	s_or_b64 exec, exec, s[24:25]
.LBB488_116:
	s_or_b64 exec, exec, s[14:15]
	v_lshrrev_b16_e32 v34, 8, v30
	v_cmp_ne_u16_e64 s[12:13], 0, v34
	v_mov_b32_e32 v37, 0
	v_mov_b32_e32 v39, 0
	s_and_saveexec_b64 s[14:15], s[12:13]
	s_cbranch_execz .LBB488_122
; %bb.117:
	s_movk_i32 s11, 0x80
	v_cmp_ne_u16_e64 s[12:13], s11, v34
	v_bfrev_b32_e32 v39, 1
	s_and_saveexec_b64 s[24:25], s[12:13]
	s_cbranch_execz .LBB488_121
; %bb.118:
	s_movk_i32 s11, 0x7f
	v_and_b32_e32 v35, 0x7f, v34
	v_cmp_ne_u32_e64 s[12:13], s11, v35
	v_mov_b32_e32 v39, 0x7f800001
	s_and_saveexec_b64 s[26:27], s[12:13]
	s_cbranch_execz .LBB488_120
; %bb.119:
	v_and_b32_e32 v36, 7, v34
	v_ffbh_u32_e32 v40, v36
	v_min_u32_e32 v45, 32, v40
	v_subrev_u32_e32 v40, 28, v45
	v_lshlrev_b64 v[40:41], v40, v[34:35]
	v_lshrrev_b32_e32 v39, 3, v35
	v_sub_u32_e32 v34, 29, v45
	v_and_b32_e32 v40, 7, v40
	v_cmp_gt_u32_e64 s[12:13], 8, v35
	v_cndmask_b32_e64 v34, v39, v34, s[12:13]
	v_cndmask_b32_e64 v35, v36, v40, s[12:13]
	v_lshlrev_b32_e32 v36, 16, v30
	v_bfrev_b32_e32 v39, 60
	v_lshlrev_b32_e32 v35, 20, v35
	v_and_b32_e32 v36, 0x80000000, v36
	v_lshl_add_u32 v34, v34, 23, v39
	v_or3_b32 v39, v36, v34, v35
.LBB488_120:
	s_or_b64 exec, exec, s[26:27]
.LBB488_121:
	s_or_b64 exec, exec, s[24:25]
.LBB488_122:
	s_or_b64 exec, exec, s[14:15]
	s_movk_i32 s11, 0xff
	v_and_b32_sdwa v35, v30, s11 dst_sel:DWORD dst_unused:UNUSED_PAD src0_sel:WORD_1 src1_sel:DWORD
	v_lshrrev_b32_e32 v34, 16, v30
	v_cmp_ne_u16_e64 s[12:13], 0, v35
	s_and_saveexec_b64 s[14:15], s[12:13]
	s_cbranch_execz .LBB488_128
; %bb.123:
	s_movk_i32 s11, 0x80
	v_cmp_ne_u16_e64 s[12:13], s11, v35
	v_bfrev_b32_e32 v37, 1
	s_and_saveexec_b64 s[24:25], s[12:13]
	s_cbranch_execz .LBB488_127
; %bb.124:
	v_bfe_u32 v35, v30, 16, 7
	s_movk_i32 s11, 0x7f
	v_cmp_ne_u32_e64 s[12:13], s11, v35
	v_mov_b32_e32 v37, 0x7f800001
	s_and_saveexec_b64 s[26:27], s[12:13]
	s_cbranch_execz .LBB488_126
; %bb.125:
	v_and_b32_e32 v40, 7, v34
	v_ffbh_u32_e32 v36, v40
	v_min_u32_e32 v45, 32, v36
	v_subrev_u32_e32 v36, 28, v45
	v_lshlrev_b64 v[36:37], v36, v[34:35]
	v_and_b32_e32 v36, 7, v36
	v_cmp_gt_u32_e64 s[12:13], 8, v35
	v_lshrrev_b32_e32 v41, 3, v35
	v_sub_u32_e32 v34, 29, v45
	v_cndmask_b32_e64 v35, v40, v36, s[12:13]
	v_mov_b32_e32 v36, 24
	v_cndmask_b32_e64 v34, v41, v34, s[12:13]
	v_lshlrev_b32_sdwa v36, v36, v30 dst_sel:DWORD dst_unused:UNUSED_PAD src0_sel:DWORD src1_sel:WORD_1
	v_bfrev_b32_e32 v37, 60
	v_lshlrev_b32_e32 v35, 20, v35
	v_and_b32_e32 v36, 0x80000000, v36
	v_lshl_add_u32 v34, v34, 23, v37
	v_or3_b32 v37, v36, v34, v35
.LBB488_126:
	s_or_b64 exec, exec, s[26:27]
.LBB488_127:
	s_or_b64 exec, exec, s[24:25]
.LBB488_128:
	s_or_b64 exec, exec, s[14:15]
	s_mov_b32 s11, 0xffffff
	v_cmp_lt_u32_e64 s[12:13], s11, v30
	v_mov_b32_e32 v35, 0
	v_mov_b32_e32 v40, 0
	s_and_saveexec_b64 s[14:15], s[12:13]
	s_cbranch_execz .LBB488_134
; %bb.129:
	v_lshrrev_b32_e32 v34, 24, v30
	s_movk_i32 s11, 0x80
	v_cmp_ne_u32_e64 s[12:13], s11, v34
	v_bfrev_b32_e32 v40, 1
	s_and_saveexec_b64 s[24:25], s[12:13]
	s_cbranch_execz .LBB488_133
; %bb.130:
	v_bfe_u32 v36, v30, 24, 7
	s_movk_i32 s11, 0x7f
	v_cmp_ne_u32_e64 s[12:13], s11, v36
	v_mov_b32_e32 v40, 0x7f800001
	s_and_saveexec_b64 s[26:27], s[12:13]
	s_cbranch_execz .LBB488_132
; %bb.131:
	v_and_b32_e32 v45, 7, v34
	v_ffbh_u32_e32 v40, v45
	v_min_u32_e32 v47, 32, v40
	v_subrev_u32_e32 v40, 28, v47
	v_lshlrev_b64 v[40:41], v40, v[34:35]
	v_lshrrev_b32_e32 v46, 3, v36
	v_sub_u32_e32 v41, 29, v47
	v_and_b32_e32 v40, 7, v40
	v_cmp_gt_u32_e64 s[12:13], 8, v36
	v_cndmask_b32_e64 v36, v46, v41, s[12:13]
	v_cndmask_b32_e64 v40, v45, v40, s[12:13]
	v_lshlrev_b32_e32 v34, 24, v34
	v_bfrev_b32_e32 v41, 60
	v_lshlrev_b32_e32 v40, 20, v40
	v_and_b32_e32 v34, 0x80000000, v34
	v_lshl_add_u32 v36, v36, 23, v41
	v_or3_b32 v40, v34, v36, v40
.LBB488_132:
	s_or_b64 exec, exec, s[26:27]
.LBB488_133:
	s_or_b64 exec, exec, s[24:25]
.LBB488_134:
	s_or_b64 exec, exec, s[14:15]
	v_mov_b32_e32 v34, v31
	v_cmp_ne_u16_sdwa s[12:13], v31, v35 src0_sel:BYTE_0 src1_sel:DWORD
	s_and_saveexec_b64 s[14:15], s[12:13]
	s_cbranch_execz .LBB488_140
; %bb.135:
	s_movk_i32 s11, 0x80
	v_cmp_ne_u16_sdwa s[12:13], v31, s11 src0_sel:BYTE_0 src1_sel:DWORD
	v_bfrev_b32_e32 v36, 1
	s_and_saveexec_b64 s[24:25], s[12:13]
	s_cbranch_execz .LBB488_139
; %bb.136:
	s_movk_i32 s11, 0x7f
	v_and_b32_e32 v41, 0x7f, v31
	v_cmp_ne_u32_e64 s[12:13], s11, v41
	v_mov_b32_e32 v36, 0x7f800001
	s_and_saveexec_b64 s[26:27], s[12:13]
	s_cbranch_execz .LBB488_138
; %bb.137:
	v_and_b32_e32 v36, 7, v31
	v_ffbh_u32_e32 v36, v36
	v_min_u32_e32 v36, 32, v36
	v_subrev_u32_e32 v46, 28, v36
	v_cmp_gt_u32_e64 s[12:13], 8, v41
	v_lshrrev_b32_e32 v45, 3, v41
	v_cndmask_b32_e64 v41, 0, v46, s[12:13]
	v_sub_u32_e32 v36, 29, v36
	v_lshlrev_b64 v[46:47], v41, v[34:35]
	v_cndmask_b32_e64 v36, v45, v36, s[12:13]
	v_lshlrev_b32_e32 v35, 20, v46
	v_lshlrev_b32_e32 v41, 24, v34
	v_bfrev_b32_e32 v45, 60
	v_and_b32_e32 v35, 0x700000, v35
	v_and_b32_e32 v41, 0x80000000, v41
	v_lshl_add_u32 v36, v36, 23, v45
	v_or3_b32 v36, v41, v36, v35
.LBB488_138:
	s_or_b64 exec, exec, s[26:27]
.LBB488_139:
	s_or_b64 exec, exec, s[24:25]
	v_mov_b32_e32 v35, v36
.LBB488_140:
	s_or_b64 exec, exec, s[14:15]
	v_lshrrev_b16_e32 v36, 8, v34
	v_cmp_ne_u16_e64 s[12:13], 0, v36
	v_mov_b32_e32 v41, 0
	v_mov_b32_e32 v45, 0
	s_and_saveexec_b64 s[14:15], s[12:13]
	s_cbranch_execz .LBB488_146
; %bb.141:
	s_movk_i32 s11, 0x80
	v_cmp_ne_u16_e64 s[12:13], s11, v36
	v_bfrev_b32_e32 v45, 1
	s_and_saveexec_b64 s[24:25], s[12:13]
	s_cbranch_execz .LBB488_145
; %bb.142:
	s_movk_i32 s11, 0x7f
	v_and_b32_e32 v46, 0x7f, v36
	v_cmp_ne_u32_e64 s[12:13], s11, v46
	v_mov_b32_e32 v45, 0x7f800001
	s_and_saveexec_b64 s[26:27], s[12:13]
	s_cbranch_execz .LBB488_144
; %bb.143:
	v_and_b32_e32 v45, 7, v36
	v_ffbh_u32_e32 v48, v45
	v_min_u32_e32 v50, 32, v48
	v_subrev_u32_e32 v48, 28, v50
	v_lshlrev_b64 v[48:49], v48, v[36:37]
	v_lshrrev_b32_e32 v47, 3, v46
	v_sub_u32_e32 v36, 29, v50
	v_and_b32_e32 v48, 7, v48
	v_cmp_gt_u32_e64 s[12:13], 8, v46
	v_cndmask_b32_e64 v36, v47, v36, s[12:13]
	v_cndmask_b32_e64 v45, v45, v48, s[12:13]
	v_lshlrev_b32_e32 v34, 16, v34
	v_bfrev_b32_e32 v46, 60
	v_lshlrev_b32_e32 v45, 20, v45
	v_and_b32_e32 v34, 0x80000000, v34
	v_lshl_add_u32 v36, v36, 23, v46
	v_or3_b32 v45, v34, v36, v45
.LBB488_144:
	s_or_b64 exec, exec, s[26:27]
.LBB488_145:
	s_or_b64 exec, exec, s[24:25]
.LBB488_146:
	s_or_b64 exec, exec, s[14:15]
	s_movk_i32 s11, 0xff
	v_and_b32_sdwa v36, v31, s11 dst_sel:DWORD dst_unused:UNUSED_PAD src0_sel:WORD_1 src1_sel:DWORD
	v_lshrrev_b32_e32 v34, 16, v31
	v_cmp_ne_u16_e64 s[12:13], 0, v36
	s_and_saveexec_b64 s[14:15], s[12:13]
	s_cbranch_execz .LBB488_152
; %bb.147:
	s_movk_i32 s11, 0x80
	v_cmp_ne_u16_e64 s[12:13], s11, v36
	v_bfrev_b32_e32 v41, 1
	s_and_saveexec_b64 s[24:25], s[12:13]
	s_cbranch_execz .LBB488_151
; %bb.148:
	v_bfe_u32 v36, v31, 16, 7
	s_movk_i32 s11, 0x7f
	v_cmp_ne_u32_e64 s[12:13], s11, v36
	v_mov_b32_e32 v41, 0x7f800001
	s_and_saveexec_b64 s[26:27], s[12:13]
	s_cbranch_execz .LBB488_150
; %bb.149:
	v_and_b32_e32 v41, 7, v34
	v_ffbh_u32_e32 v46, v41
	v_min_u32_e32 v49, 32, v46
	v_subrev_u32_e32 v46, 28, v49
	v_lshlrev_b64 v[46:47], v46, v[34:35]
	v_and_b32_e32 v46, 7, v46
	v_cmp_gt_u32_e64 s[12:13], 8, v36
	v_lshrrev_b32_e32 v48, 3, v36
	v_sub_u32_e32 v34, 29, v49
	v_cndmask_b32_e64 v36, v41, v46, s[12:13]
	v_mov_b32_e32 v41, 24
	v_cndmask_b32_e64 v34, v48, v34, s[12:13]
	v_lshlrev_b32_sdwa v41, v41, v31 dst_sel:DWORD dst_unused:UNUSED_PAD src0_sel:DWORD src1_sel:WORD_1
	v_bfrev_b32_e32 v46, 60
	v_lshlrev_b32_e32 v36, 20, v36
	v_and_b32_e32 v41, 0x80000000, v41
	v_lshl_add_u32 v34, v34, 23, v46
	v_or3_b32 v41, v41, v34, v36
.LBB488_150:
	s_or_b64 exec, exec, s[26:27]
.LBB488_151:
	s_or_b64 exec, exec, s[24:25]
.LBB488_152:
	s_or_b64 exec, exec, s[14:15]
	s_mov_b32 s12, -1
	s_mov_b32 s13, 0xffffff
	v_cmp_lt_u64_e64 s[12:13], s[12:13], v[30:31]
	v_mov_b32_e32 v36, 0
	v_mov_b32_e32 v34, 0
	s_and_saveexec_b64 s[14:15], s[12:13]
	s_cbranch_execz .LBB488_158
; %bb.153:
	v_lshrrev_b32_e32 v30, 24, v31
	s_movk_i32 s11, 0x80
	v_cmp_ne_u32_e64 s[12:13], s11, v30
	v_bfrev_b32_e32 v34, 1
	s_and_saveexec_b64 s[24:25], s[12:13]
	s_cbranch_execz .LBB488_157
; %bb.154:
	v_bfe_u32 v31, v31, 24, 7
	s_movk_i32 s11, 0x7f
	v_cmp_ne_u32_e64 s[12:13], s11, v31
	v_mov_b32_e32 v34, 0x7f800001
	s_and_saveexec_b64 s[26:27], s[12:13]
	s_cbranch_execz .LBB488_156
; %bb.155:
	v_and_b32_e32 v34, 7, v30
	v_ffbh_u32_e32 v46, v34
	v_min_u32_e32 v49, 32, v46
	v_subrev_u32_e32 v46, 28, v49
	v_lshlrev_b64 v[46:47], v46, v[30:31]
	v_lshrrev_b32_e32 v48, 3, v31
	v_sub_u32_e32 v47, 29, v49
	v_and_b32_e32 v46, 7, v46
	v_cmp_gt_u32_e64 s[12:13], 8, v31
	v_cndmask_b32_e64 v31, v48, v47, s[12:13]
	v_cndmask_b32_e64 v34, v34, v46, s[12:13]
	v_lshlrev_b32_e32 v30, 24, v30
	v_bfrev_b32_e32 v46, 60
	v_lshlrev_b32_e32 v34, 20, v34
	v_and_b32_e32 v30, 0x80000000, v30
	v_lshl_add_u32 v31, v31, 23, v46
	v_or3_b32 v34, v30, v31, v34
.LBB488_156:
	s_or_b64 exec, exec, s[26:27]
.LBB488_157:
	s_or_b64 exec, exec, s[24:25]
.LBB488_158:
	s_or_b64 exec, exec, s[14:15]
	v_cvt_pkrtz_f16_f32 v30, v38, v39
	v_cvt_pkrtz_f16_f32 v31, v37, v40
	;; [unrolled: 1-line block ×4, first 2 shown]
	v_mfma_f32_4x4x4f16 a[0:3], v[2:3], v[30:31], a[0:3] cbsz:4 abid:2
	v_cmp_ne_u16_sdwa s[12:13], v32, v36 src0_sel:BYTE_0 src1_sel:DWORD
	v_mfma_f32_4x4x4f16 a[0:3], v[4:5], v[38:39], a[0:3] cbsz:4 abid:2
	s_and_saveexec_b64 s[14:15], s[12:13]
	s_cbranch_execz .LBB488_164
; %bb.159:
	s_movk_i32 s11, 0x80
	v_cmp_ne_u16_sdwa s[12:13], v32, s11 src0_sel:BYTE_0 src1_sel:DWORD
	v_bfrev_b32_e32 v36, 1
	s_and_saveexec_b64 s[24:25], s[12:13]
	s_cbranch_execz .LBB488_163
; %bb.160:
	s_movk_i32 s11, 0x7f
	v_and_b32_e32 v30, 0x7f, v32
	v_cmp_ne_u32_e64 s[12:13], s11, v30
	v_mov_b32_e32 v36, 0x7f800001
	s_and_saveexec_b64 s[26:27], s[12:13]
	s_cbranch_execz .LBB488_162
; %bb.161:
	v_and_b32_e32 v31, 7, v32
	v_ffbh_u32_e32 v31, v31
	v_min_u32_e32 v31, 32, v31
	v_subrev_u32_e32 v35, 28, v31
	v_cmp_gt_u32_e64 s[12:13], 8, v30
	v_lshrrev_b32_e32 v34, 3, v30
	v_sub_u32_e32 v31, 29, v31
	v_cndmask_b32_e64 v30, 0, v35, s[12:13]
	v_cndmask_b32_e64 v34, v34, v31, s[12:13]
	v_lshlrev_b64 v[30:31], v30, v[32:33]
	v_lshlrev_b32_e32 v30, 20, v30
	v_lshlrev_b32_e32 v31, 24, v32
	v_bfrev_b32_e32 v35, 60
	v_and_b32_e32 v30, 0x700000, v30
	v_and_b32_e32 v31, 0x80000000, v31
	v_lshl_add_u32 v34, v34, 23, v35
	v_or3_b32 v36, v31, v34, v30
.LBB488_162:
	s_or_b64 exec, exec, s[26:27]
.LBB488_163:
	s_or_b64 exec, exec, s[24:25]
.LBB488_164:
	s_or_b64 exec, exec, s[14:15]
	v_lshrrev_b16_e32 v30, 8, v32
	v_cmp_ne_u16_e64 s[12:13], 0, v30
	v_mov_b32_e32 v35, 0
	v_mov_b32_e32 v37, 0
	s_and_saveexec_b64 s[14:15], s[12:13]
	s_cbranch_execz .LBB488_170
; %bb.165:
	s_movk_i32 s11, 0x80
	v_cmp_ne_u16_e64 s[12:13], s11, v30
	v_bfrev_b32_e32 v37, 1
	s_and_saveexec_b64 s[24:25], s[12:13]
	s_cbranch_execz .LBB488_169
; %bb.166:
	s_movk_i32 s11, 0x7f
	v_and_b32_e32 v31, 0x7f, v30
	v_cmp_ne_u32_e64 s[12:13], s11, v31
	v_mov_b32_e32 v37, 0x7f800001
	s_and_saveexec_b64 s[26:27], s[12:13]
	s_cbranch_execz .LBB488_168
; %bb.167:
	v_and_b32_e32 v34, 7, v30
	v_ffbh_u32_e32 v38, v34
	v_min_u32_e32 v40, 32, v38
	v_subrev_u32_e32 v38, 28, v40
	v_lshlrev_b64 v[38:39], v38, v[30:31]
	v_lshrrev_b32_e32 v37, 3, v31
	v_sub_u32_e32 v30, 29, v40
	v_and_b32_e32 v38, 7, v38
	v_cmp_gt_u32_e64 s[12:13], 8, v31
	v_cndmask_b32_e64 v30, v37, v30, s[12:13]
	v_cndmask_b32_e64 v31, v34, v38, s[12:13]
	v_lshlrev_b32_e32 v34, 16, v32
	v_bfrev_b32_e32 v37, 60
	v_lshlrev_b32_e32 v31, 20, v31
	v_and_b32_e32 v34, 0x80000000, v34
	v_lshl_add_u32 v30, v30, 23, v37
	v_or3_b32 v37, v34, v30, v31
.LBB488_168:
	s_or_b64 exec, exec, s[26:27]
.LBB488_169:
	s_or_b64 exec, exec, s[24:25]
.LBB488_170:
	s_or_b64 exec, exec, s[14:15]
	s_movk_i32 s11, 0xff
	v_and_b32_sdwa v31, v32, s11 dst_sel:DWORD dst_unused:UNUSED_PAD src0_sel:WORD_1 src1_sel:DWORD
	v_lshrrev_b32_e32 v30, 16, v32
	v_cmp_ne_u16_e64 s[12:13], 0, v31
	s_and_saveexec_b64 s[14:15], s[12:13]
	s_cbranch_execz .LBB488_176
; %bb.171:
	s_movk_i32 s11, 0x80
	v_cmp_ne_u16_e64 s[12:13], s11, v31
	v_bfrev_b32_e32 v35, 1
	s_and_saveexec_b64 s[24:25], s[12:13]
	s_cbranch_execz .LBB488_175
; %bb.172:
	v_bfe_u32 v31, v32, 16, 7
	s_movk_i32 s11, 0x7f
	v_cmp_ne_u32_e64 s[12:13], s11, v31
	v_mov_b32_e32 v35, 0x7f800001
	s_and_saveexec_b64 s[26:27], s[12:13]
	s_cbranch_execz .LBB488_174
; %bb.173:
	v_and_b32_e32 v38, 7, v30
	v_ffbh_u32_e32 v34, v38
	v_min_u32_e32 v40, 32, v34
	v_subrev_u32_e32 v34, 28, v40
	v_lshlrev_b64 v[34:35], v34, v[30:31]
	v_and_b32_e32 v34, 7, v34
	v_cmp_gt_u32_e64 s[12:13], 8, v31
	v_lshrrev_b32_e32 v39, 3, v31
	v_sub_u32_e32 v30, 29, v40
	v_cndmask_b32_e64 v31, v38, v34, s[12:13]
	v_mov_b32_e32 v34, 24
	v_cndmask_b32_e64 v30, v39, v30, s[12:13]
	v_lshlrev_b32_sdwa v34, v34, v32 dst_sel:DWORD dst_unused:UNUSED_PAD src0_sel:DWORD src1_sel:WORD_1
	v_bfrev_b32_e32 v35, 60
	v_lshlrev_b32_e32 v31, 20, v31
	v_and_b32_e32 v34, 0x80000000, v34
	v_lshl_add_u32 v30, v30, 23, v35
	v_or3_b32 v35, v34, v30, v31
.LBB488_174:
	s_or_b64 exec, exec, s[26:27]
.LBB488_175:
	s_or_b64 exec, exec, s[24:25]
.LBB488_176:
	s_or_b64 exec, exec, s[14:15]
	s_mov_b32 s11, 0xffffff
	v_cmp_lt_u32_e64 s[12:13], s11, v32
	v_mov_b32_e32 v31, 0
	v_mov_b32_e32 v38, 0
	s_and_saveexec_b64 s[14:15], s[12:13]
	s_cbranch_execz .LBB488_182
; %bb.177:
	v_lshrrev_b32_e32 v30, 24, v32
	s_movk_i32 s11, 0x80
	v_cmp_ne_u32_e64 s[12:13], s11, v30
	v_bfrev_b32_e32 v38, 1
	s_and_saveexec_b64 s[24:25], s[12:13]
	s_cbranch_execz .LBB488_181
; %bb.178:
	v_bfe_u32 v34, v32, 24, 7
	s_movk_i32 s11, 0x7f
	v_cmp_ne_u32_e64 s[12:13], s11, v34
	v_mov_b32_e32 v38, 0x7f800001
	s_and_saveexec_b64 s[26:27], s[12:13]
	s_cbranch_execz .LBB488_180
; %bb.179:
	v_and_b32_e32 v40, 7, v30
	v_ffbh_u32_e32 v38, v40
	v_min_u32_e32 v45, 32, v38
	v_subrev_u32_e32 v38, 28, v45
	v_lshlrev_b64 v[38:39], v38, v[30:31]
	v_lshrrev_b32_e32 v41, 3, v34
	v_sub_u32_e32 v39, 29, v45
	v_and_b32_e32 v38, 7, v38
	v_cmp_gt_u32_e64 s[12:13], 8, v34
	v_cndmask_b32_e64 v34, v41, v39, s[12:13]
	v_cndmask_b32_e64 v38, v40, v38, s[12:13]
	v_lshlrev_b32_e32 v30, 24, v30
	v_bfrev_b32_e32 v39, 60
	v_lshlrev_b32_e32 v38, 20, v38
	v_and_b32_e32 v30, 0x80000000, v30
	v_lshl_add_u32 v34, v34, 23, v39
	v_or3_b32 v38, v30, v34, v38
.LBB488_180:
	s_or_b64 exec, exec, s[26:27]
.LBB488_181:
	s_or_b64 exec, exec, s[24:25]
.LBB488_182:
	s_or_b64 exec, exec, s[14:15]
	v_mov_b32_e32 v30, v33
	v_cmp_ne_u16_sdwa s[12:13], v33, v31 src0_sel:BYTE_0 src1_sel:DWORD
	s_and_saveexec_b64 s[14:15], s[12:13]
	s_cbranch_execz .LBB488_188
; %bb.183:
	s_movk_i32 s11, 0x80
	v_cmp_ne_u16_sdwa s[12:13], v33, s11 src0_sel:BYTE_0 src1_sel:DWORD
	v_bfrev_b32_e32 v34, 1
	s_and_saveexec_b64 s[24:25], s[12:13]
	s_cbranch_execz .LBB488_187
; %bb.184:
	s_movk_i32 s11, 0x7f
	v_and_b32_e32 v39, 0x7f, v33
	v_cmp_ne_u32_e64 s[12:13], s11, v39
	v_mov_b32_e32 v34, 0x7f800001
	s_and_saveexec_b64 s[26:27], s[12:13]
	s_cbranch_execz .LBB488_186
; %bb.185:
	v_and_b32_e32 v34, 7, v33
	v_ffbh_u32_e32 v34, v34
	v_min_u32_e32 v34, 32, v34
	v_subrev_u32_e32 v41, 28, v34
	v_cmp_gt_u32_e64 s[12:13], 8, v39
	v_lshrrev_b32_e32 v40, 3, v39
	v_sub_u32_e32 v34, 29, v34
	v_cndmask_b32_e64 v39, 0, v41, s[12:13]
	v_cndmask_b32_e64 v34, v40, v34, s[12:13]
	v_lshlrev_b64 v[40:41], v39, v[30:31]
	v_lshlrev_b32_e32 v31, 20, v40
	v_lshlrev_b32_e32 v39, 24, v30
	v_bfrev_b32_e32 v40, 60
	v_and_b32_e32 v31, 0x700000, v31
	v_and_b32_e32 v39, 0x80000000, v39
	v_lshl_add_u32 v34, v34, 23, v40
	v_or3_b32 v34, v39, v34, v31
.LBB488_186:
	s_or_b64 exec, exec, s[26:27]
.LBB488_187:
	s_or_b64 exec, exec, s[24:25]
	v_mov_b32_e32 v31, v34
.LBB488_188:
	s_or_b64 exec, exec, s[14:15]
	v_lshrrev_b16_e32 v34, 8, v30
	v_cmp_ne_u16_e64 s[12:13], 0, v34
	v_mov_b32_e32 v39, 0
	v_mov_b32_e32 v40, 0
	s_and_saveexec_b64 s[14:15], s[12:13]
	s_cbranch_execz .LBB488_194
; %bb.189:
	s_movk_i32 s11, 0x80
	v_cmp_ne_u16_e64 s[12:13], s11, v34
	v_bfrev_b32_e32 v40, 1
	s_and_saveexec_b64 s[24:25], s[12:13]
	s_cbranch_execz .LBB488_193
; %bb.190:
	s_movk_i32 s11, 0x7f
	v_and_b32_e32 v41, 0x7f, v34
	v_cmp_ne_u32_e64 s[12:13], s11, v41
	v_mov_b32_e32 v40, 0x7f800001
	s_and_saveexec_b64 s[26:27], s[12:13]
	s_cbranch_execz .LBB488_192
; %bb.191:
	v_and_b32_e32 v40, 7, v34
	v_ffbh_u32_e32 v46, v40
	v_min_u32_e32 v48, 32, v46
	v_subrev_u32_e32 v46, 28, v48
	v_lshlrev_b64 v[46:47], v46, v[34:35]
	v_lshrrev_b32_e32 v45, 3, v41
	v_sub_u32_e32 v34, 29, v48
	v_and_b32_e32 v46, 7, v46
	v_cmp_gt_u32_e64 s[12:13], 8, v41
	v_cndmask_b32_e64 v34, v45, v34, s[12:13]
	v_cndmask_b32_e64 v40, v40, v46, s[12:13]
	v_lshlrev_b32_e32 v30, 16, v30
	v_bfrev_b32_e32 v41, 60
	v_lshlrev_b32_e32 v40, 20, v40
	v_and_b32_e32 v30, 0x80000000, v30
	v_lshl_add_u32 v34, v34, 23, v41
	v_or3_b32 v40, v30, v34, v40
.LBB488_192:
	s_or_b64 exec, exec, s[26:27]
.LBB488_193:
	s_or_b64 exec, exec, s[24:25]
.LBB488_194:
	s_or_b64 exec, exec, s[14:15]
	s_movk_i32 s11, 0xff
	v_and_b32_sdwa v34, v33, s11 dst_sel:DWORD dst_unused:UNUSED_PAD src0_sel:WORD_1 src1_sel:DWORD
	v_lshrrev_b32_e32 v30, 16, v33
	v_cmp_ne_u16_e64 s[12:13], 0, v34
	s_and_saveexec_b64 s[14:15], s[12:13]
	s_cbranch_execz .LBB488_200
; %bb.195:
	s_movk_i32 s11, 0x80
	v_cmp_ne_u16_e64 s[12:13], s11, v34
	v_bfrev_b32_e32 v39, 1
	s_and_saveexec_b64 s[24:25], s[12:13]
	s_cbranch_execz .LBB488_199
; %bb.196:
	v_bfe_u32 v34, v33, 16, 7
	s_movk_i32 s11, 0x7f
	v_cmp_ne_u32_e64 s[12:13], s11, v34
	v_mov_b32_e32 v39, 0x7f800001
	s_and_saveexec_b64 s[26:27], s[12:13]
	s_cbranch_execz .LBB488_198
; %bb.197:
	v_and_b32_e32 v39, 7, v30
	v_ffbh_u32_e32 v45, v39
	v_min_u32_e32 v45, 32, v45
	v_subrev_u32_e32 v46, 28, v45
	v_lshlrev_b64 v[46:47], v46, v[30:31]
	v_sub_u32_e32 v30, 29, v45
	v_and_b32_e32 v45, 7, v46
	v_cmp_gt_u32_e64 s[12:13], 8, v34
	v_lshrrev_b32_e32 v41, 3, v34
	v_cndmask_b32_e64 v34, v39, v45, s[12:13]
	v_mov_b32_e32 v39, 24
	v_cndmask_b32_e64 v30, v41, v30, s[12:13]
	v_lshlrev_b32_sdwa v39, v39, v33 dst_sel:DWORD dst_unused:UNUSED_PAD src0_sel:DWORD src1_sel:WORD_1
	v_bfrev_b32_e32 v41, 60
	v_lshlrev_b32_e32 v34, 20, v34
	v_and_b32_e32 v39, 0x80000000, v39
	v_lshl_add_u32 v30, v30, 23, v41
	v_or3_b32 v39, v39, v30, v34
.LBB488_198:
	s_or_b64 exec, exec, s[26:27]
.LBB488_199:
	s_or_b64 exec, exec, s[24:25]
.LBB488_200:
	s_or_b64 exec, exec, s[14:15]
	s_mov_b32 s12, -1
	s_mov_b32 s13, 0xffffff
	v_cmp_lt_u64_e64 s[12:13], s[12:13], v[32:33]
	v_mov_b32_e32 v34, 0
	v_mov_b32_e32 v32, 0
	s_and_saveexec_b64 s[14:15], s[12:13]
	s_cbranch_execz .LBB488_206
; %bb.201:
	v_lshrrev_b32_e32 v30, 24, v33
	s_movk_i32 s11, 0x80
	v_cmp_ne_u32_e64 s[12:13], s11, v30
	v_bfrev_b32_e32 v32, 1
	s_and_saveexec_b64 s[24:25], s[12:13]
	s_cbranch_execz .LBB488_205
; %bb.202:
	v_bfe_u32 v33, v33, 24, 7
	s_movk_i32 s11, 0x7f
	v_cmp_ne_u32_e64 s[12:13], s11, v33
	v_mov_b32_e32 v32, 0x7f800001
	s_and_saveexec_b64 s[26:27], s[12:13]
	s_cbranch_execz .LBB488_204
; %bb.203:
	v_and_b32_e32 v32, 7, v30
	v_ffbh_u32_e32 v45, v32
	v_min_u32_e32 v45, 32, v45
	v_subrev_u32_e32 v46, 28, v45
	v_lshlrev_b64 v[46:47], v46, v[30:31]
	v_lshrrev_b32_e32 v41, 3, v33
	v_sub_u32_e32 v45, 29, v45
	v_and_b32_e32 v46, 7, v46
	v_cmp_gt_u32_e64 s[12:13], 8, v33
	v_cndmask_b32_e64 v33, v41, v45, s[12:13]
	v_cndmask_b32_e64 v32, v32, v46, s[12:13]
	v_lshlrev_b32_e32 v30, 24, v30
	v_bfrev_b32_e32 v41, 60
	v_lshlrev_b32_e32 v32, 20, v32
	v_and_b32_e32 v30, 0x80000000, v30
	v_lshl_add_u32 v33, v33, 23, v41
	v_or3_b32 v32, v30, v33, v32
.LBB488_204:
	s_or_b64 exec, exec, s[26:27]
.LBB488_205:
	s_or_b64 exec, exec, s[24:25]
.LBB488_206:
	s_or_b64 exec, exec, s[14:15]
	v_cvt_pkrtz_f16_f32 v36, v36, v37
	v_cvt_pkrtz_f16_f32 v37, v35, v38
	;; [unrolled: 1-line block ×4, first 2 shown]
	v_mfma_f32_4x4x4f16 a[0:3], v[2:3], v[36:37], a[0:3] cbsz:4 abid:3
	v_cmp_ne_u16_sdwa s[12:13], v26, v34 src0_sel:BYTE_0 src1_sel:DWORD
	v_mfma_f32_4x4x4f16 a[0:3], v[4:5], v[30:31], a[0:3] cbsz:4 abid:3
	s_and_saveexec_b64 s[14:15], s[12:13]
	s_cbranch_execz .LBB488_212
; %bb.207:
	s_movk_i32 s11, 0x80
	v_cmp_ne_u16_sdwa s[12:13], v26, s11 src0_sel:BYTE_0 src1_sel:DWORD
	v_bfrev_b32_e32 v34, 1
	s_and_saveexec_b64 s[24:25], s[12:13]
	s_cbranch_execz .LBB488_211
; %bb.208:
	s_movk_i32 s11, 0x7f
	v_and_b32_e32 v30, 0x7f, v26
	v_cmp_ne_u32_e64 s[12:13], s11, v30
	v_mov_b32_e32 v34, 0x7f800001
	s_and_saveexec_b64 s[26:27], s[12:13]
	s_cbranch_execz .LBB488_210
; %bb.209:
	v_and_b32_e32 v31, 7, v26
	v_ffbh_u32_e32 v31, v31
	v_min_u32_e32 v31, 32, v31
	v_subrev_u32_e32 v33, 28, v31
	v_cmp_gt_u32_e64 s[12:13], 8, v30
	v_lshrrev_b32_e32 v32, 3, v30
	v_sub_u32_e32 v31, 29, v31
	v_cndmask_b32_e64 v30, 0, v33, s[12:13]
	v_cndmask_b32_e64 v32, v32, v31, s[12:13]
	v_lshlrev_b64 v[30:31], v30, v[26:27]
	v_lshlrev_b32_e32 v30, 20, v30
	v_lshlrev_b32_e32 v31, 24, v26
	v_bfrev_b32_e32 v33, 60
	v_and_b32_e32 v30, 0x700000, v30
	v_and_b32_e32 v31, 0x80000000, v31
	v_lshl_add_u32 v32, v32, 23, v33
	v_or3_b32 v34, v31, v32, v30
.LBB488_210:
	s_or_b64 exec, exec, s[26:27]
.LBB488_211:
	s_or_b64 exec, exec, s[24:25]
.LBB488_212:
	s_or_b64 exec, exec, s[14:15]
	v_lshrrev_b16_e32 v30, 8, v26
	v_cmp_ne_u16_e64 s[12:13], 0, v30
	v_mov_b32_e32 v33, 0
	v_mov_b32_e32 v35, 0
	s_and_saveexec_b64 s[14:15], s[12:13]
	s_cbranch_execz .LBB488_218
; %bb.213:
	s_movk_i32 s11, 0x80
	v_cmp_ne_u16_e64 s[12:13], s11, v30
	v_bfrev_b32_e32 v35, 1
	s_and_saveexec_b64 s[24:25], s[12:13]
	s_cbranch_execz .LBB488_217
; %bb.214:
	s_movk_i32 s11, 0x7f
	v_and_b32_e32 v31, 0x7f, v30
	v_cmp_ne_u32_e64 s[12:13], s11, v31
	v_mov_b32_e32 v35, 0x7f800001
	s_and_saveexec_b64 s[26:27], s[12:13]
	s_cbranch_execz .LBB488_216
; %bb.215:
	v_and_b32_e32 v32, 7, v30
	v_ffbh_u32_e32 v36, v32
	v_min_u32_e32 v38, 32, v36
	v_subrev_u32_e32 v36, 28, v38
	v_lshlrev_b64 v[36:37], v36, v[30:31]
	v_lshrrev_b32_e32 v35, 3, v31
	v_sub_u32_e32 v30, 29, v38
	v_and_b32_e32 v36, 7, v36
	v_cmp_gt_u32_e64 s[12:13], 8, v31
	v_cndmask_b32_e64 v30, v35, v30, s[12:13]
	v_cndmask_b32_e64 v31, v32, v36, s[12:13]
	v_lshlrev_b32_e32 v32, 16, v26
	v_bfrev_b32_e32 v35, 60
	v_lshlrev_b32_e32 v31, 20, v31
	v_and_b32_e32 v32, 0x80000000, v32
	v_lshl_add_u32 v30, v30, 23, v35
	v_or3_b32 v35, v32, v30, v31
.LBB488_216:
	s_or_b64 exec, exec, s[26:27]
.LBB488_217:
	s_or_b64 exec, exec, s[24:25]
.LBB488_218:
	s_or_b64 exec, exec, s[14:15]
	s_movk_i32 s11, 0xff
	v_and_b32_sdwa v31, v26, s11 dst_sel:DWORD dst_unused:UNUSED_PAD src0_sel:WORD_1 src1_sel:DWORD
	v_lshrrev_b32_e32 v30, 16, v26
	v_cmp_ne_u16_e64 s[12:13], 0, v31
	s_and_saveexec_b64 s[14:15], s[12:13]
	s_cbranch_execz .LBB488_224
; %bb.219:
	s_movk_i32 s11, 0x80
	v_cmp_ne_u16_e64 s[12:13], s11, v31
	v_bfrev_b32_e32 v33, 1
	s_and_saveexec_b64 s[24:25], s[12:13]
	s_cbranch_execz .LBB488_223
; %bb.220:
	v_bfe_u32 v31, v26, 16, 7
	s_movk_i32 s11, 0x7f
	v_cmp_ne_u32_e64 s[12:13], s11, v31
	v_mov_b32_e32 v33, 0x7f800001
	s_and_saveexec_b64 s[26:27], s[12:13]
	s_cbranch_execz .LBB488_222
; %bb.221:
	v_and_b32_e32 v36, 7, v30
	v_ffbh_u32_e32 v32, v36
	v_min_u32_e32 v38, 32, v32
	v_subrev_u32_e32 v32, 28, v38
	v_lshlrev_b64 v[32:33], v32, v[30:31]
	v_and_b32_e32 v32, 7, v32
	v_cmp_gt_u32_e64 s[12:13], 8, v31
	v_lshrrev_b32_e32 v37, 3, v31
	v_sub_u32_e32 v30, 29, v38
	v_cndmask_b32_e64 v31, v36, v32, s[12:13]
	v_mov_b32_e32 v32, 24
	v_cndmask_b32_e64 v30, v37, v30, s[12:13]
	v_lshlrev_b32_sdwa v32, v32, v26 dst_sel:DWORD dst_unused:UNUSED_PAD src0_sel:DWORD src1_sel:WORD_1
	v_bfrev_b32_e32 v33, 60
	v_lshlrev_b32_e32 v31, 20, v31
	v_and_b32_e32 v32, 0x80000000, v32
	v_lshl_add_u32 v30, v30, 23, v33
	v_or3_b32 v33, v32, v30, v31
.LBB488_222:
	s_or_b64 exec, exec, s[26:27]
.LBB488_223:
	s_or_b64 exec, exec, s[24:25]
.LBB488_224:
	s_or_b64 exec, exec, s[14:15]
	s_mov_b32 s11, 0xffffff
	v_cmp_lt_u32_e64 s[12:13], s11, v26
	v_mov_b32_e32 v31, 0
	v_mov_b32_e32 v36, 0
	s_and_saveexec_b64 s[14:15], s[12:13]
	s_cbranch_execz .LBB488_230
; %bb.225:
	v_lshrrev_b32_e32 v30, 24, v26
	s_movk_i32 s11, 0x80
	v_cmp_ne_u32_e64 s[12:13], s11, v30
	v_bfrev_b32_e32 v36, 1
	s_and_saveexec_b64 s[24:25], s[12:13]
	s_cbranch_execz .LBB488_229
; %bb.226:
	v_bfe_u32 v32, v26, 24, 7
	s_movk_i32 s11, 0x7f
	v_cmp_ne_u32_e64 s[12:13], s11, v32
	v_mov_b32_e32 v36, 0x7f800001
	s_and_saveexec_b64 s[26:27], s[12:13]
	s_cbranch_execz .LBB488_228
; %bb.227:
	v_and_b32_e32 v38, 7, v30
	v_ffbh_u32_e32 v36, v38
	v_min_u32_e32 v40, 32, v36
	v_subrev_u32_e32 v36, 28, v40
	v_lshlrev_b64 v[36:37], v36, v[30:31]
	v_lshrrev_b32_e32 v39, 3, v32
	v_sub_u32_e32 v37, 29, v40
	v_and_b32_e32 v36, 7, v36
	v_cmp_gt_u32_e64 s[12:13], 8, v32
	v_cndmask_b32_e64 v32, v39, v37, s[12:13]
	v_cndmask_b32_e64 v36, v38, v36, s[12:13]
	v_lshlrev_b32_e32 v30, 24, v30
	v_bfrev_b32_e32 v37, 60
	v_lshlrev_b32_e32 v36, 20, v36
	v_and_b32_e32 v30, 0x80000000, v30
	v_lshl_add_u32 v32, v32, 23, v37
	v_or3_b32 v36, v30, v32, v36
.LBB488_228:
	s_or_b64 exec, exec, s[26:27]
.LBB488_229:
	s_or_b64 exec, exec, s[24:25]
.LBB488_230:
	s_or_b64 exec, exec, s[14:15]
	v_mov_b32_e32 v30, v27
	v_cmp_ne_u16_sdwa s[12:13], v27, v31 src0_sel:BYTE_0 src1_sel:DWORD
	s_and_saveexec_b64 s[14:15], s[12:13]
	s_cbranch_execz .LBB488_236
; %bb.231:
	s_movk_i32 s11, 0x80
	v_cmp_ne_u16_sdwa s[12:13], v27, s11 src0_sel:BYTE_0 src1_sel:DWORD
	v_bfrev_b32_e32 v32, 1
	s_and_saveexec_b64 s[24:25], s[12:13]
	s_cbranch_execz .LBB488_235
; %bb.232:
	s_movk_i32 s11, 0x7f
	v_and_b32_e32 v37, 0x7f, v27
	v_cmp_ne_u32_e64 s[12:13], s11, v37
	v_mov_b32_e32 v32, 0x7f800001
	s_and_saveexec_b64 s[26:27], s[12:13]
	s_cbranch_execz .LBB488_234
; %bb.233:
	v_and_b32_e32 v32, 7, v27
	v_ffbh_u32_e32 v32, v32
	v_min_u32_e32 v32, 32, v32
	v_subrev_u32_e32 v39, 28, v32
	v_cmp_gt_u32_e64 s[12:13], 8, v37
	v_lshrrev_b32_e32 v38, 3, v37
	v_sub_u32_e32 v32, 29, v32
	v_cndmask_b32_e64 v37, 0, v39, s[12:13]
	v_cndmask_b32_e64 v32, v38, v32, s[12:13]
	v_lshlrev_b64 v[38:39], v37, v[30:31]
	v_lshlrev_b32_e32 v31, 20, v38
	v_lshlrev_b32_e32 v37, 24, v30
	v_bfrev_b32_e32 v38, 60
	v_and_b32_e32 v31, 0x700000, v31
	v_and_b32_e32 v37, 0x80000000, v37
	v_lshl_add_u32 v32, v32, 23, v38
	v_or3_b32 v32, v37, v32, v31
.LBB488_234:
	s_or_b64 exec, exec, s[26:27]
.LBB488_235:
	s_or_b64 exec, exec, s[24:25]
	v_mov_b32_e32 v31, v32
.LBB488_236:
	s_or_b64 exec, exec, s[14:15]
	v_lshrrev_b16_e32 v32, 8, v30
	v_cmp_ne_u16_e64 s[12:13], 0, v32
	v_mov_b32_e32 v37, 0
	v_mov_b32_e32 v38, 0
	s_and_saveexec_b64 s[14:15], s[12:13]
	s_cbranch_execz .LBB488_242
; %bb.237:
	s_movk_i32 s11, 0x80
	v_cmp_ne_u16_e64 s[12:13], s11, v32
	v_bfrev_b32_e32 v38, 1
	s_and_saveexec_b64 s[24:25], s[12:13]
	s_cbranch_execz .LBB488_241
; %bb.238:
	s_movk_i32 s11, 0x7f
	v_and_b32_e32 v39, 0x7f, v32
	v_cmp_ne_u32_e64 s[12:13], s11, v39
	v_mov_b32_e32 v38, 0x7f800001
	s_and_saveexec_b64 s[26:27], s[12:13]
	s_cbranch_execz .LBB488_240
; %bb.239:
	v_and_b32_e32 v38, 7, v32
	v_ffbh_u32_e32 v40, v38
	v_min_u32_e32 v46, 32, v40
	v_subrev_u32_e32 v40, 28, v46
	v_lshlrev_b64 v[40:41], v40, v[32:33]
	v_lshrrev_b32_e32 v45, 3, v39
	v_sub_u32_e32 v32, 29, v46
	v_and_b32_e32 v40, 7, v40
	v_cmp_gt_u32_e64 s[12:13], 8, v39
	v_cndmask_b32_e64 v32, v45, v32, s[12:13]
	v_cndmask_b32_e64 v38, v38, v40, s[12:13]
	v_lshlrev_b32_e32 v30, 16, v30
	v_bfrev_b32_e32 v39, 60
	v_lshlrev_b32_e32 v38, 20, v38
	v_and_b32_e32 v30, 0x80000000, v30
	v_lshl_add_u32 v32, v32, 23, v39
	v_or3_b32 v38, v30, v32, v38
.LBB488_240:
	s_or_b64 exec, exec, s[26:27]
.LBB488_241:
	s_or_b64 exec, exec, s[24:25]
.LBB488_242:
	s_or_b64 exec, exec, s[14:15]
	s_movk_i32 s11, 0xff
	v_and_b32_sdwa v32, v27, s11 dst_sel:DWORD dst_unused:UNUSED_PAD src0_sel:WORD_1 src1_sel:DWORD
	v_lshrrev_b32_e32 v30, 16, v27
	v_cmp_ne_u16_e64 s[12:13], 0, v32
	s_and_saveexec_b64 s[14:15], s[12:13]
	s_cbranch_execz .LBB488_248
; %bb.243:
	s_movk_i32 s11, 0x80
	v_cmp_ne_u16_e64 s[12:13], s11, v32
	v_bfrev_b32_e32 v37, 1
	s_and_saveexec_b64 s[24:25], s[12:13]
	s_cbranch_execz .LBB488_247
; %bb.244:
	v_bfe_u32 v32, v27, 16, 7
	s_movk_i32 s11, 0x7f
	v_cmp_ne_u32_e64 s[12:13], s11, v32
	v_mov_b32_e32 v37, 0x7f800001
	s_and_saveexec_b64 s[26:27], s[12:13]
	s_cbranch_execz .LBB488_246
; %bb.245:
	v_and_b32_e32 v37, 7, v30
	v_ffbh_u32_e32 v40, v37
	v_min_u32_e32 v45, 32, v40
	v_subrev_u32_e32 v40, 28, v45
	v_lshlrev_b64 v[40:41], v40, v[30:31]
	v_and_b32_e32 v40, 7, v40
	v_cmp_gt_u32_e64 s[12:13], 8, v32
	v_lshrrev_b32_e32 v39, 3, v32
	v_sub_u32_e32 v30, 29, v45
	v_cndmask_b32_e64 v32, v37, v40, s[12:13]
	v_mov_b32_e32 v37, 24
	v_cndmask_b32_e64 v30, v39, v30, s[12:13]
	v_lshlrev_b32_sdwa v37, v37, v27 dst_sel:DWORD dst_unused:UNUSED_PAD src0_sel:DWORD src1_sel:WORD_1
	v_bfrev_b32_e32 v39, 60
	v_lshlrev_b32_e32 v32, 20, v32
	v_and_b32_e32 v37, 0x80000000, v37
	v_lshl_add_u32 v30, v30, 23, v39
	v_or3_b32 v37, v37, v30, v32
.LBB488_246:
	s_or_b64 exec, exec, s[26:27]
.LBB488_247:
	s_or_b64 exec, exec, s[24:25]
.LBB488_248:
	s_or_b64 exec, exec, s[14:15]
	s_mov_b32 s12, -1
	s_mov_b32 s13, 0xffffff
	v_cmp_lt_u64_e64 s[12:13], s[12:13], v[26:27]
	v_mov_b32_e32 v32, 0
	v_mov_b32_e32 v30, 0
	s_and_saveexec_b64 s[14:15], s[12:13]
	s_cbranch_execz .LBB488_254
; %bb.249:
	v_lshrrev_b32_e32 v26, 24, v27
	s_movk_i32 s11, 0x80
	v_cmp_ne_u32_e64 s[12:13], s11, v26
	v_bfrev_b32_e32 v30, 1
	s_and_saveexec_b64 s[24:25], s[12:13]
	s_cbranch_execz .LBB488_253
; %bb.250:
	v_bfe_u32 v27, v27, 24, 7
	s_movk_i32 s11, 0x7f
	v_cmp_ne_u32_e64 s[12:13], s11, v27
	v_mov_b32_e32 v30, 0x7f800001
	s_and_saveexec_b64 s[26:27], s[12:13]
	s_cbranch_execz .LBB488_252
; %bb.251:
	v_and_b32_e32 v30, 7, v26
	v_ffbh_u32_e32 v40, v30
	v_min_u32_e32 v45, 32, v40
	v_subrev_u32_e32 v40, 28, v45
	v_lshlrev_b64 v[40:41], v40, v[26:27]
	v_lshrrev_b32_e32 v39, 3, v27
	v_sub_u32_e32 v41, 29, v45
	v_and_b32_e32 v40, 7, v40
	v_cmp_gt_u32_e64 s[12:13], 8, v27
	v_cndmask_b32_e64 v27, v39, v41, s[12:13]
	v_cndmask_b32_e64 v30, v30, v40, s[12:13]
	v_lshlrev_b32_e32 v26, 24, v26
	v_bfrev_b32_e32 v39, 60
	v_lshlrev_b32_e32 v30, 20, v30
	v_and_b32_e32 v26, 0x80000000, v26
	v_lshl_add_u32 v27, v27, 23, v39
	v_or3_b32 v30, v26, v27, v30
.LBB488_252:
	s_or_b64 exec, exec, s[26:27]
.LBB488_253:
	s_or_b64 exec, exec, s[24:25]
.LBB488_254:
	s_or_b64 exec, exec, s[14:15]
	v_cvt_pkrtz_f16_f32 v26, v34, v35
	v_cvt_pkrtz_f16_f32 v27, v33, v36
	;; [unrolled: 1-line block ×4, first 2 shown]
	v_mfma_f32_4x4x4f16 a[0:3], v[2:3], v[26:27], a[0:3] cbsz:4 abid:4
	v_cmp_ne_u16_sdwa s[12:13], v28, v32 src0_sel:BYTE_0 src1_sel:DWORD
	v_mfma_f32_4x4x4f16 a[0:3], v[4:5], v[34:35], a[0:3] cbsz:4 abid:4
	s_and_saveexec_b64 s[14:15], s[12:13]
	s_cbranch_execz .LBB488_260
; %bb.255:
	s_movk_i32 s11, 0x80
	v_cmp_ne_u16_sdwa s[12:13], v28, s11 src0_sel:BYTE_0 src1_sel:DWORD
	v_bfrev_b32_e32 v32, 1
	s_and_saveexec_b64 s[24:25], s[12:13]
	s_cbranch_execz .LBB488_259
; %bb.256:
	s_movk_i32 s11, 0x7f
	v_and_b32_e32 v26, 0x7f, v28
	v_cmp_ne_u32_e64 s[12:13], s11, v26
	v_mov_b32_e32 v32, 0x7f800001
	s_and_saveexec_b64 s[26:27], s[12:13]
	s_cbranch_execz .LBB488_258
; %bb.257:
	v_and_b32_e32 v27, 7, v28
	v_ffbh_u32_e32 v27, v27
	v_min_u32_e32 v27, 32, v27
	v_subrev_u32_e32 v31, 28, v27
	v_cmp_gt_u32_e64 s[12:13], 8, v26
	v_lshrrev_b32_e32 v30, 3, v26
	v_sub_u32_e32 v27, 29, v27
	v_cndmask_b32_e64 v26, 0, v31, s[12:13]
	v_cndmask_b32_e64 v30, v30, v27, s[12:13]
	v_lshlrev_b64 v[26:27], v26, v[28:29]
	v_lshlrev_b32_e32 v26, 20, v26
	v_lshlrev_b32_e32 v27, 24, v28
	v_bfrev_b32_e32 v31, 60
	v_and_b32_e32 v26, 0x700000, v26
	v_and_b32_e32 v27, 0x80000000, v27
	v_lshl_add_u32 v30, v30, 23, v31
	v_or3_b32 v32, v27, v30, v26
.LBB488_258:
	s_or_b64 exec, exec, s[26:27]
.LBB488_259:
	s_or_b64 exec, exec, s[24:25]
.LBB488_260:
	s_or_b64 exec, exec, s[14:15]
	v_lshrrev_b16_e32 v26, 8, v28
	v_cmp_ne_u16_e64 s[12:13], 0, v26
	v_mov_b32_e32 v31, 0
	v_mov_b32_e32 v33, 0
	s_and_saveexec_b64 s[14:15], s[12:13]
	s_cbranch_execz .LBB488_266
; %bb.261:
	s_movk_i32 s11, 0x80
	v_cmp_ne_u16_e64 s[12:13], s11, v26
	v_bfrev_b32_e32 v33, 1
	s_and_saveexec_b64 s[24:25], s[12:13]
	s_cbranch_execz .LBB488_265
; %bb.262:
	s_movk_i32 s11, 0x7f
	v_and_b32_e32 v27, 0x7f, v26
	v_cmp_ne_u32_e64 s[12:13], s11, v27
	v_mov_b32_e32 v33, 0x7f800001
	s_and_saveexec_b64 s[26:27], s[12:13]
	s_cbranch_execz .LBB488_264
; %bb.263:
	v_and_b32_e32 v30, 7, v26
	v_ffbh_u32_e32 v34, v30
	v_min_u32_e32 v36, 32, v34
	v_subrev_u32_e32 v34, 28, v36
	v_lshlrev_b64 v[34:35], v34, v[26:27]
	v_lshrrev_b32_e32 v33, 3, v27
	v_sub_u32_e32 v26, 29, v36
	v_and_b32_e32 v34, 7, v34
	v_cmp_gt_u32_e64 s[12:13], 8, v27
	v_cndmask_b32_e64 v26, v33, v26, s[12:13]
	v_cndmask_b32_e64 v27, v30, v34, s[12:13]
	v_lshlrev_b32_e32 v30, 16, v28
	v_bfrev_b32_e32 v33, 60
	v_lshlrev_b32_e32 v27, 20, v27
	v_and_b32_e32 v30, 0x80000000, v30
	v_lshl_add_u32 v26, v26, 23, v33
	v_or3_b32 v33, v30, v26, v27
.LBB488_264:
	s_or_b64 exec, exec, s[26:27]
.LBB488_265:
	s_or_b64 exec, exec, s[24:25]
.LBB488_266:
	s_or_b64 exec, exec, s[14:15]
	s_movk_i32 s11, 0xff
	v_and_b32_sdwa v27, v28, s11 dst_sel:DWORD dst_unused:UNUSED_PAD src0_sel:WORD_1 src1_sel:DWORD
	v_lshrrev_b32_e32 v26, 16, v28
	v_cmp_ne_u16_e64 s[12:13], 0, v27
	s_and_saveexec_b64 s[14:15], s[12:13]
	s_cbranch_execz .LBB488_272
; %bb.267:
	s_movk_i32 s11, 0x80
	v_cmp_ne_u16_e64 s[12:13], s11, v27
	v_bfrev_b32_e32 v31, 1
	s_and_saveexec_b64 s[24:25], s[12:13]
	s_cbranch_execz .LBB488_271
; %bb.268:
	v_bfe_u32 v27, v28, 16, 7
	s_movk_i32 s11, 0x7f
	v_cmp_ne_u32_e64 s[12:13], s11, v27
	v_mov_b32_e32 v31, 0x7f800001
	s_and_saveexec_b64 s[26:27], s[12:13]
	s_cbranch_execz .LBB488_270
; %bb.269:
	v_and_b32_e32 v34, 7, v26
	v_ffbh_u32_e32 v30, v34
	v_min_u32_e32 v36, 32, v30
	v_subrev_u32_e32 v30, 28, v36
	v_lshlrev_b64 v[30:31], v30, v[26:27]
	v_and_b32_e32 v30, 7, v30
	v_cmp_gt_u32_e64 s[12:13], 8, v27
	v_lshrrev_b32_e32 v35, 3, v27
	v_sub_u32_e32 v26, 29, v36
	v_cndmask_b32_e64 v27, v34, v30, s[12:13]
	v_mov_b32_e32 v30, 24
	v_cndmask_b32_e64 v26, v35, v26, s[12:13]
	v_lshlrev_b32_sdwa v30, v30, v28 dst_sel:DWORD dst_unused:UNUSED_PAD src0_sel:DWORD src1_sel:WORD_1
	v_bfrev_b32_e32 v31, 60
	v_lshlrev_b32_e32 v27, 20, v27
	v_and_b32_e32 v30, 0x80000000, v30
	v_lshl_add_u32 v26, v26, 23, v31
	v_or3_b32 v31, v30, v26, v27
.LBB488_270:
	s_or_b64 exec, exec, s[26:27]
.LBB488_271:
	s_or_b64 exec, exec, s[24:25]
.LBB488_272:
	s_or_b64 exec, exec, s[14:15]
	s_mov_b32 s11, 0xffffff
	v_cmp_lt_u32_e64 s[12:13], s11, v28
	v_mov_b32_e32 v27, 0
	v_mov_b32_e32 v34, 0
	s_and_saveexec_b64 s[14:15], s[12:13]
	s_cbranch_execz .LBB488_278
; %bb.273:
	v_lshrrev_b32_e32 v26, 24, v28
	s_movk_i32 s11, 0x80
	v_cmp_ne_u32_e64 s[12:13], s11, v26
	v_bfrev_b32_e32 v34, 1
	s_and_saveexec_b64 s[24:25], s[12:13]
	s_cbranch_execz .LBB488_277
; %bb.274:
	v_bfe_u32 v30, v28, 24, 7
	s_movk_i32 s11, 0x7f
	v_cmp_ne_u32_e64 s[12:13], s11, v30
	v_mov_b32_e32 v34, 0x7f800001
	s_and_saveexec_b64 s[26:27], s[12:13]
	s_cbranch_execz .LBB488_276
; %bb.275:
	v_and_b32_e32 v36, 7, v26
	v_ffbh_u32_e32 v34, v36
	v_min_u32_e32 v38, 32, v34
	v_subrev_u32_e32 v34, 28, v38
	v_lshlrev_b64 v[34:35], v34, v[26:27]
	v_lshrrev_b32_e32 v37, 3, v30
	v_sub_u32_e32 v35, 29, v38
	v_and_b32_e32 v34, 7, v34
	v_cmp_gt_u32_e64 s[12:13], 8, v30
	v_cndmask_b32_e64 v30, v37, v35, s[12:13]
	v_cndmask_b32_e64 v34, v36, v34, s[12:13]
	v_lshlrev_b32_e32 v26, 24, v26
	v_bfrev_b32_e32 v35, 60
	v_lshlrev_b32_e32 v34, 20, v34
	v_and_b32_e32 v26, 0x80000000, v26
	v_lshl_add_u32 v30, v30, 23, v35
	v_or3_b32 v34, v26, v30, v34
.LBB488_276:
	s_or_b64 exec, exec, s[26:27]
.LBB488_277:
	s_or_b64 exec, exec, s[24:25]
.LBB488_278:
	s_or_b64 exec, exec, s[14:15]
	v_mov_b32_e32 v26, v29
	v_cmp_ne_u16_sdwa s[12:13], v29, v27 src0_sel:BYTE_0 src1_sel:DWORD
	s_and_saveexec_b64 s[14:15], s[12:13]
	s_cbranch_execz .LBB488_284
; %bb.279:
	s_movk_i32 s11, 0x80
	v_cmp_ne_u16_sdwa s[12:13], v29, s11 src0_sel:BYTE_0 src1_sel:DWORD
	v_bfrev_b32_e32 v30, 1
	s_and_saveexec_b64 s[24:25], s[12:13]
	s_cbranch_execz .LBB488_283
; %bb.280:
	s_movk_i32 s11, 0x7f
	v_and_b32_e32 v35, 0x7f, v29
	v_cmp_ne_u32_e64 s[12:13], s11, v35
	v_mov_b32_e32 v30, 0x7f800001
	s_and_saveexec_b64 s[26:27], s[12:13]
	s_cbranch_execz .LBB488_282
; %bb.281:
	v_and_b32_e32 v30, 7, v29
	v_ffbh_u32_e32 v30, v30
	v_min_u32_e32 v30, 32, v30
	v_subrev_u32_e32 v37, 28, v30
	v_cmp_gt_u32_e64 s[12:13], 8, v35
	v_lshrrev_b32_e32 v36, 3, v35
	v_sub_u32_e32 v30, 29, v30
	v_cndmask_b32_e64 v35, 0, v37, s[12:13]
	v_cndmask_b32_e64 v30, v36, v30, s[12:13]
	v_lshlrev_b64 v[36:37], v35, v[26:27]
	v_lshlrev_b32_e32 v27, 20, v36
	v_lshlrev_b32_e32 v35, 24, v26
	v_bfrev_b32_e32 v36, 60
	v_and_b32_e32 v27, 0x700000, v27
	v_and_b32_e32 v35, 0x80000000, v35
	v_lshl_add_u32 v30, v30, 23, v36
	v_or3_b32 v30, v35, v30, v27
.LBB488_282:
	s_or_b64 exec, exec, s[26:27]
.LBB488_283:
	s_or_b64 exec, exec, s[24:25]
	v_mov_b32_e32 v27, v30
.LBB488_284:
	s_or_b64 exec, exec, s[14:15]
	v_lshrrev_b16_e32 v30, 8, v26
	v_cmp_ne_u16_e64 s[12:13], 0, v30
	v_mov_b32_e32 v35, 0
	v_mov_b32_e32 v36, 0
	s_and_saveexec_b64 s[14:15], s[12:13]
	s_cbranch_execz .LBB488_290
; %bb.285:
	s_movk_i32 s11, 0x80
	v_cmp_ne_u16_e64 s[12:13], s11, v30
	v_bfrev_b32_e32 v36, 1
	s_and_saveexec_b64 s[24:25], s[12:13]
	s_cbranch_execz .LBB488_289
; %bb.286:
	s_movk_i32 s11, 0x7f
	v_and_b32_e32 v37, 0x7f, v30
	v_cmp_ne_u32_e64 s[12:13], s11, v37
	v_mov_b32_e32 v36, 0x7f800001
	s_and_saveexec_b64 s[26:27], s[12:13]
	s_cbranch_execz .LBB488_288
; %bb.287:
	v_and_b32_e32 v36, 7, v30
	v_ffbh_u32_e32 v38, v36
	v_min_u32_e32 v41, 32, v38
	v_subrev_u32_e32 v38, 28, v41
	v_lshlrev_b64 v[38:39], v38, v[30:31]
	v_lshrrev_b32_e32 v40, 3, v37
	v_sub_u32_e32 v30, 29, v41
	v_and_b32_e32 v38, 7, v38
	v_cmp_gt_u32_e64 s[12:13], 8, v37
	v_cndmask_b32_e64 v30, v40, v30, s[12:13]
	v_cndmask_b32_e64 v36, v36, v38, s[12:13]
	v_lshlrev_b32_e32 v26, 16, v26
	v_bfrev_b32_e32 v37, 60
	v_lshlrev_b32_e32 v36, 20, v36
	v_and_b32_e32 v26, 0x80000000, v26
	v_lshl_add_u32 v30, v30, 23, v37
	v_or3_b32 v36, v26, v30, v36
.LBB488_288:
	s_or_b64 exec, exec, s[26:27]
.LBB488_289:
	s_or_b64 exec, exec, s[24:25]
.LBB488_290:
	s_or_b64 exec, exec, s[14:15]
	s_movk_i32 s11, 0xff
	v_and_b32_sdwa v30, v29, s11 dst_sel:DWORD dst_unused:UNUSED_PAD src0_sel:WORD_1 src1_sel:DWORD
	v_lshrrev_b32_e32 v26, 16, v29
	v_cmp_ne_u16_e64 s[12:13], 0, v30
	s_and_saveexec_b64 s[14:15], s[12:13]
	s_cbranch_execz .LBB488_296
; %bb.291:
	s_movk_i32 s11, 0x80
	v_cmp_ne_u16_e64 s[12:13], s11, v30
	v_bfrev_b32_e32 v35, 1
	s_and_saveexec_b64 s[24:25], s[12:13]
	s_cbranch_execz .LBB488_295
; %bb.292:
	v_bfe_u32 v30, v29, 16, 7
	s_movk_i32 s11, 0x7f
	v_cmp_ne_u32_e64 s[12:13], s11, v30
	v_mov_b32_e32 v35, 0x7f800001
	s_and_saveexec_b64 s[26:27], s[12:13]
	s_cbranch_execz .LBB488_294
; %bb.293:
	v_and_b32_e32 v35, 7, v26
	v_ffbh_u32_e32 v38, v35
	v_min_u32_e32 v40, 32, v38
	v_subrev_u32_e32 v38, 28, v40
	v_lshlrev_b64 v[38:39], v38, v[26:27]
	v_and_b32_e32 v38, 7, v38
	v_cmp_gt_u32_e64 s[12:13], 8, v30
	v_lshrrev_b32_e32 v37, 3, v30
	v_sub_u32_e32 v26, 29, v40
	v_cndmask_b32_e64 v30, v35, v38, s[12:13]
	v_mov_b32_e32 v35, 24
	v_cndmask_b32_e64 v26, v37, v26, s[12:13]
	v_lshlrev_b32_sdwa v35, v35, v29 dst_sel:DWORD dst_unused:UNUSED_PAD src0_sel:DWORD src1_sel:WORD_1
	v_bfrev_b32_e32 v37, 60
	v_lshlrev_b32_e32 v30, 20, v30
	v_and_b32_e32 v35, 0x80000000, v35
	v_lshl_add_u32 v26, v26, 23, v37
	v_or3_b32 v35, v35, v26, v30
.LBB488_294:
	s_or_b64 exec, exec, s[26:27]
.LBB488_295:
	s_or_b64 exec, exec, s[24:25]
.LBB488_296:
	s_or_b64 exec, exec, s[14:15]
	s_mov_b32 s12, -1
	s_mov_b32 s13, 0xffffff
	v_cmp_lt_u64_e64 s[12:13], s[12:13], v[28:29]
	v_mov_b32_e32 v30, 0
	v_mov_b32_e32 v28, 0
	s_and_saveexec_b64 s[14:15], s[12:13]
	s_cbranch_execz .LBB488_302
; %bb.297:
	v_lshrrev_b32_e32 v26, 24, v29
	s_movk_i32 s11, 0x80
	v_cmp_ne_u32_e64 s[12:13], s11, v26
	v_bfrev_b32_e32 v28, 1
	s_and_saveexec_b64 s[24:25], s[12:13]
	s_cbranch_execz .LBB488_301
; %bb.298:
	v_bfe_u32 v29, v29, 24, 7
	s_movk_i32 s11, 0x7f
	v_cmp_ne_u32_e64 s[12:13], s11, v29
	v_mov_b32_e32 v28, 0x7f800001
	s_and_saveexec_b64 s[26:27], s[12:13]
	s_cbranch_execz .LBB488_300
; %bb.299:
	v_and_b32_e32 v28, 7, v26
	v_ffbh_u32_e32 v38, v28
	v_min_u32_e32 v40, 32, v38
	v_subrev_u32_e32 v38, 28, v40
	v_lshlrev_b64 v[38:39], v38, v[26:27]
	v_lshrrev_b32_e32 v37, 3, v29
	v_sub_u32_e32 v39, 29, v40
	v_and_b32_e32 v38, 7, v38
	v_cmp_gt_u32_e64 s[12:13], 8, v29
	v_cndmask_b32_e64 v29, v37, v39, s[12:13]
	v_cndmask_b32_e64 v28, v28, v38, s[12:13]
	v_lshlrev_b32_e32 v26, 24, v26
	v_bfrev_b32_e32 v37, 60
	v_lshlrev_b32_e32 v28, 20, v28
	v_and_b32_e32 v26, 0x80000000, v26
	v_lshl_add_u32 v29, v29, 23, v37
	v_or3_b32 v28, v26, v29, v28
.LBB488_300:
	s_or_b64 exec, exec, s[26:27]
.LBB488_301:
	s_or_b64 exec, exec, s[24:25]
.LBB488_302:
	s_or_b64 exec, exec, s[14:15]
	v_cvt_pkrtz_f16_f32 v32, v32, v33
	v_cvt_pkrtz_f16_f32 v33, v31, v34
	;; [unrolled: 1-line block ×4, first 2 shown]
	v_mfma_f32_4x4x4f16 a[0:3], v[2:3], v[32:33], a[0:3] cbsz:4 abid:5
	v_cmp_ne_u16_sdwa s[12:13], v22, v30 src0_sel:BYTE_0 src1_sel:DWORD
	v_mfma_f32_4x4x4f16 a[0:3], v[4:5], v[26:27], a[0:3] cbsz:4 abid:5
	s_and_saveexec_b64 s[14:15], s[12:13]
	s_cbranch_execz .LBB488_308
; %bb.303:
	s_movk_i32 s11, 0x80
	v_cmp_ne_u16_sdwa s[12:13], v22, s11 src0_sel:BYTE_0 src1_sel:DWORD
	v_bfrev_b32_e32 v30, 1
	s_and_saveexec_b64 s[24:25], s[12:13]
	s_cbranch_execz .LBB488_307
; %bb.304:
	s_movk_i32 s11, 0x7f
	v_and_b32_e32 v26, 0x7f, v22
	v_cmp_ne_u32_e64 s[12:13], s11, v26
	v_mov_b32_e32 v30, 0x7f800001
	s_and_saveexec_b64 s[26:27], s[12:13]
	s_cbranch_execz .LBB488_306
; %bb.305:
	v_and_b32_e32 v27, 7, v22
	v_ffbh_u32_e32 v27, v27
	v_min_u32_e32 v27, 32, v27
	v_subrev_u32_e32 v29, 28, v27
	v_cmp_gt_u32_e64 s[12:13], 8, v26
	v_lshrrev_b32_e32 v28, 3, v26
	v_sub_u32_e32 v27, 29, v27
	v_cndmask_b32_e64 v26, 0, v29, s[12:13]
	v_cndmask_b32_e64 v28, v28, v27, s[12:13]
	v_lshlrev_b64 v[26:27], v26, v[22:23]
	v_lshlrev_b32_e32 v26, 20, v26
	v_lshlrev_b32_e32 v27, 24, v22
	v_bfrev_b32_e32 v29, 60
	v_and_b32_e32 v26, 0x700000, v26
	v_and_b32_e32 v27, 0x80000000, v27
	v_lshl_add_u32 v28, v28, 23, v29
	v_or3_b32 v30, v27, v28, v26
.LBB488_306:
	s_or_b64 exec, exec, s[26:27]
.LBB488_307:
	s_or_b64 exec, exec, s[24:25]
.LBB488_308:
	s_or_b64 exec, exec, s[14:15]
	v_lshrrev_b16_e32 v26, 8, v22
	v_cmp_ne_u16_e64 s[12:13], 0, v26
	v_mov_b32_e32 v29, 0
	v_mov_b32_e32 v31, 0
	s_and_saveexec_b64 s[14:15], s[12:13]
	s_cbranch_execz .LBB488_314
; %bb.309:
	s_movk_i32 s11, 0x80
	v_cmp_ne_u16_e64 s[12:13], s11, v26
	v_bfrev_b32_e32 v31, 1
	s_and_saveexec_b64 s[24:25], s[12:13]
	s_cbranch_execz .LBB488_313
; %bb.310:
	s_movk_i32 s11, 0x7f
	v_and_b32_e32 v27, 0x7f, v26
	v_cmp_ne_u32_e64 s[12:13], s11, v27
	v_mov_b32_e32 v31, 0x7f800001
	s_and_saveexec_b64 s[26:27], s[12:13]
	s_cbranch_execz .LBB488_312
; %bb.311:
	v_and_b32_e32 v28, 7, v26
	v_ffbh_u32_e32 v32, v28
	v_min_u32_e32 v34, 32, v32
	v_subrev_u32_e32 v32, 28, v34
	v_lshlrev_b64 v[32:33], v32, v[26:27]
	v_lshrrev_b32_e32 v31, 3, v27
	v_sub_u32_e32 v26, 29, v34
	v_and_b32_e32 v32, 7, v32
	v_cmp_gt_u32_e64 s[12:13], 8, v27
	v_cndmask_b32_e64 v26, v31, v26, s[12:13]
	v_cndmask_b32_e64 v27, v28, v32, s[12:13]
	v_lshlrev_b32_e32 v28, 16, v22
	v_bfrev_b32_e32 v31, 60
	v_lshlrev_b32_e32 v27, 20, v27
	v_and_b32_e32 v28, 0x80000000, v28
	v_lshl_add_u32 v26, v26, 23, v31
	v_or3_b32 v31, v28, v26, v27
.LBB488_312:
	s_or_b64 exec, exec, s[26:27]
.LBB488_313:
	s_or_b64 exec, exec, s[24:25]
.LBB488_314:
	s_or_b64 exec, exec, s[14:15]
	s_movk_i32 s11, 0xff
	v_and_b32_sdwa v27, v22, s11 dst_sel:DWORD dst_unused:UNUSED_PAD src0_sel:WORD_1 src1_sel:DWORD
	v_lshrrev_b32_e32 v26, 16, v22
	v_cmp_ne_u16_e64 s[12:13], 0, v27
	s_and_saveexec_b64 s[14:15], s[12:13]
	s_cbranch_execz .LBB488_320
; %bb.315:
	s_movk_i32 s11, 0x80
	v_cmp_ne_u16_e64 s[12:13], s11, v27
	v_bfrev_b32_e32 v29, 1
	s_and_saveexec_b64 s[24:25], s[12:13]
	s_cbranch_execz .LBB488_319
; %bb.316:
	v_bfe_u32 v27, v22, 16, 7
	s_movk_i32 s11, 0x7f
	v_cmp_ne_u32_e64 s[12:13], s11, v27
	v_mov_b32_e32 v29, 0x7f800001
	s_and_saveexec_b64 s[26:27], s[12:13]
	s_cbranch_execz .LBB488_318
; %bb.317:
	v_and_b32_e32 v32, 7, v26
	v_ffbh_u32_e32 v28, v32
	v_min_u32_e32 v34, 32, v28
	v_subrev_u32_e32 v28, 28, v34
	v_lshlrev_b64 v[28:29], v28, v[26:27]
	v_and_b32_e32 v28, 7, v28
	v_cmp_gt_u32_e64 s[12:13], 8, v27
	v_lshrrev_b32_e32 v33, 3, v27
	v_sub_u32_e32 v26, 29, v34
	v_cndmask_b32_e64 v27, v32, v28, s[12:13]
	v_mov_b32_e32 v28, 24
	v_cndmask_b32_e64 v26, v33, v26, s[12:13]
	v_lshlrev_b32_sdwa v28, v28, v22 dst_sel:DWORD dst_unused:UNUSED_PAD src0_sel:DWORD src1_sel:WORD_1
	v_bfrev_b32_e32 v29, 60
	v_lshlrev_b32_e32 v27, 20, v27
	v_and_b32_e32 v28, 0x80000000, v28
	v_lshl_add_u32 v26, v26, 23, v29
	v_or3_b32 v29, v28, v26, v27
.LBB488_318:
	s_or_b64 exec, exec, s[26:27]
.LBB488_319:
	s_or_b64 exec, exec, s[24:25]
.LBB488_320:
	s_or_b64 exec, exec, s[14:15]
	s_mov_b32 s11, 0xffffff
	v_cmp_lt_u32_e64 s[12:13], s11, v22
	v_mov_b32_e32 v27, 0
	v_mov_b32_e32 v32, 0
	s_and_saveexec_b64 s[14:15], s[12:13]
	s_cbranch_execz .LBB488_326
; %bb.321:
	v_lshrrev_b32_e32 v26, 24, v22
	s_movk_i32 s11, 0x80
	v_cmp_ne_u32_e64 s[12:13], s11, v26
	v_bfrev_b32_e32 v32, 1
	s_and_saveexec_b64 s[24:25], s[12:13]
	s_cbranch_execz .LBB488_325
; %bb.322:
	v_bfe_u32 v28, v22, 24, 7
	s_movk_i32 s11, 0x7f
	v_cmp_ne_u32_e64 s[12:13], s11, v28
	v_mov_b32_e32 v32, 0x7f800001
	s_and_saveexec_b64 s[26:27], s[12:13]
	s_cbranch_execz .LBB488_324
; %bb.323:
	v_and_b32_e32 v34, 7, v26
	v_ffbh_u32_e32 v32, v34
	v_min_u32_e32 v36, 32, v32
	v_subrev_u32_e32 v32, 28, v36
	v_lshlrev_b64 v[32:33], v32, v[26:27]
	v_lshrrev_b32_e32 v35, 3, v28
	v_sub_u32_e32 v33, 29, v36
	v_and_b32_e32 v32, 7, v32
	v_cmp_gt_u32_e64 s[12:13], 8, v28
	v_cndmask_b32_e64 v28, v35, v33, s[12:13]
	v_cndmask_b32_e64 v32, v34, v32, s[12:13]
	v_lshlrev_b32_e32 v26, 24, v26
	v_bfrev_b32_e32 v33, 60
	v_lshlrev_b32_e32 v32, 20, v32
	v_and_b32_e32 v26, 0x80000000, v26
	v_lshl_add_u32 v28, v28, 23, v33
	v_or3_b32 v32, v26, v28, v32
.LBB488_324:
	s_or_b64 exec, exec, s[26:27]
.LBB488_325:
	s_or_b64 exec, exec, s[24:25]
.LBB488_326:
	s_or_b64 exec, exec, s[14:15]
	v_mov_b32_e32 v26, v23
	v_cmp_ne_u16_sdwa s[12:13], v23, v27 src0_sel:BYTE_0 src1_sel:DWORD
	s_and_saveexec_b64 s[14:15], s[12:13]
	s_cbranch_execz .LBB488_332
; %bb.327:
	s_movk_i32 s11, 0x80
	v_cmp_ne_u16_sdwa s[12:13], v23, s11 src0_sel:BYTE_0 src1_sel:DWORD
	v_bfrev_b32_e32 v28, 1
	s_and_saveexec_b64 s[24:25], s[12:13]
	s_cbranch_execz .LBB488_331
; %bb.328:
	s_movk_i32 s11, 0x7f
	v_and_b32_e32 v33, 0x7f, v23
	v_cmp_ne_u32_e64 s[12:13], s11, v33
	v_mov_b32_e32 v28, 0x7f800001
	s_and_saveexec_b64 s[26:27], s[12:13]
	s_cbranch_execz .LBB488_330
; %bb.329:
	v_and_b32_e32 v28, 7, v23
	v_ffbh_u32_e32 v28, v28
	v_min_u32_e32 v28, 32, v28
	v_subrev_u32_e32 v35, 28, v28
	v_cmp_gt_u32_e64 s[12:13], 8, v33
	v_lshrrev_b32_e32 v34, 3, v33
	v_sub_u32_e32 v28, 29, v28
	v_cndmask_b32_e64 v33, 0, v35, s[12:13]
	v_cndmask_b32_e64 v28, v34, v28, s[12:13]
	v_lshlrev_b64 v[34:35], v33, v[26:27]
	v_lshlrev_b32_e32 v27, 20, v34
	v_lshlrev_b32_e32 v33, 24, v26
	v_bfrev_b32_e32 v34, 60
	v_and_b32_e32 v27, 0x700000, v27
	v_and_b32_e32 v33, 0x80000000, v33
	v_lshl_add_u32 v28, v28, 23, v34
	v_or3_b32 v28, v33, v28, v27
.LBB488_330:
	s_or_b64 exec, exec, s[26:27]
.LBB488_331:
	s_or_b64 exec, exec, s[24:25]
	v_mov_b32_e32 v27, v28
.LBB488_332:
	s_or_b64 exec, exec, s[14:15]
	v_lshrrev_b16_e32 v28, 8, v26
	v_cmp_ne_u16_e64 s[12:13], 0, v28
	v_mov_b32_e32 v33, 0
	v_mov_b32_e32 v34, 0
	s_and_saveexec_b64 s[14:15], s[12:13]
	s_cbranch_execz .LBB488_338
; %bb.333:
	s_movk_i32 s11, 0x80
	v_cmp_ne_u16_e64 s[12:13], s11, v28
	v_bfrev_b32_e32 v34, 1
	s_and_saveexec_b64 s[24:25], s[12:13]
	s_cbranch_execz .LBB488_337
; %bb.334:
	s_movk_i32 s11, 0x7f
	v_and_b32_e32 v35, 0x7f, v28
	v_cmp_ne_u32_e64 s[12:13], s11, v35
	v_mov_b32_e32 v34, 0x7f800001
	s_and_saveexec_b64 s[26:27], s[12:13]
	s_cbranch_execz .LBB488_336
; %bb.335:
	v_and_b32_e32 v34, 7, v28
	v_ffbh_u32_e32 v36, v34
	v_min_u32_e32 v39, 32, v36
	v_subrev_u32_e32 v36, 28, v39
	v_lshlrev_b64 v[36:37], v36, v[28:29]
	v_lshrrev_b32_e32 v38, 3, v35
	v_sub_u32_e32 v28, 29, v39
	v_and_b32_e32 v36, 7, v36
	v_cmp_gt_u32_e64 s[12:13], 8, v35
	v_cndmask_b32_e64 v28, v38, v28, s[12:13]
	v_cndmask_b32_e64 v34, v34, v36, s[12:13]
	v_lshlrev_b32_e32 v26, 16, v26
	v_bfrev_b32_e32 v35, 60
	v_lshlrev_b32_e32 v34, 20, v34
	v_and_b32_e32 v26, 0x80000000, v26
	v_lshl_add_u32 v28, v28, 23, v35
	v_or3_b32 v34, v26, v28, v34
.LBB488_336:
	s_or_b64 exec, exec, s[26:27]
.LBB488_337:
	s_or_b64 exec, exec, s[24:25]
.LBB488_338:
	s_or_b64 exec, exec, s[14:15]
	s_movk_i32 s11, 0xff
	v_and_b32_sdwa v28, v23, s11 dst_sel:DWORD dst_unused:UNUSED_PAD src0_sel:WORD_1 src1_sel:DWORD
	v_lshrrev_b32_e32 v26, 16, v23
	v_cmp_ne_u16_e64 s[12:13], 0, v28
	s_and_saveexec_b64 s[14:15], s[12:13]
	s_cbranch_execz .LBB488_344
; %bb.339:
	s_movk_i32 s11, 0x80
	v_cmp_ne_u16_e64 s[12:13], s11, v28
	v_bfrev_b32_e32 v33, 1
	s_and_saveexec_b64 s[24:25], s[12:13]
	s_cbranch_execz .LBB488_343
; %bb.340:
	v_bfe_u32 v28, v23, 16, 7
	s_movk_i32 s11, 0x7f
	v_cmp_ne_u32_e64 s[12:13], s11, v28
	v_mov_b32_e32 v33, 0x7f800001
	s_and_saveexec_b64 s[26:27], s[12:13]
	s_cbranch_execz .LBB488_342
; %bb.341:
	v_and_b32_e32 v33, 7, v26
	v_ffbh_u32_e32 v36, v33
	v_min_u32_e32 v38, 32, v36
	v_subrev_u32_e32 v36, 28, v38
	v_lshlrev_b64 v[36:37], v36, v[26:27]
	v_and_b32_e32 v36, 7, v36
	v_cmp_gt_u32_e64 s[12:13], 8, v28
	v_lshrrev_b32_e32 v35, 3, v28
	v_sub_u32_e32 v26, 29, v38
	v_cndmask_b32_e64 v28, v33, v36, s[12:13]
	v_mov_b32_e32 v33, 24
	v_cndmask_b32_e64 v26, v35, v26, s[12:13]
	v_lshlrev_b32_sdwa v33, v33, v23 dst_sel:DWORD dst_unused:UNUSED_PAD src0_sel:DWORD src1_sel:WORD_1
	v_bfrev_b32_e32 v35, 60
	v_lshlrev_b32_e32 v28, 20, v28
	v_and_b32_e32 v33, 0x80000000, v33
	v_lshl_add_u32 v26, v26, 23, v35
	v_or3_b32 v33, v33, v26, v28
.LBB488_342:
	s_or_b64 exec, exec, s[26:27]
.LBB488_343:
	s_or_b64 exec, exec, s[24:25]
.LBB488_344:
	s_or_b64 exec, exec, s[14:15]
	s_mov_b32 s12, -1
	s_mov_b32 s13, 0xffffff
	v_cmp_lt_u64_e64 s[12:13], s[12:13], v[22:23]
	v_mov_b32_e32 v28, 0
	v_mov_b32_e32 v26, 0
	s_and_saveexec_b64 s[14:15], s[12:13]
	s_cbranch_execz .LBB488_350
; %bb.345:
	v_lshrrev_b32_e32 v22, 24, v23
	s_movk_i32 s11, 0x80
	v_cmp_ne_u32_e64 s[12:13], s11, v22
	v_bfrev_b32_e32 v26, 1
	s_and_saveexec_b64 s[24:25], s[12:13]
	s_cbranch_execz .LBB488_349
; %bb.346:
	v_bfe_u32 v23, v23, 24, 7
	s_movk_i32 s11, 0x7f
	v_cmp_ne_u32_e64 s[12:13], s11, v23
	v_mov_b32_e32 v26, 0x7f800001
	s_and_saveexec_b64 s[26:27], s[12:13]
	s_cbranch_execz .LBB488_348
; %bb.347:
	v_and_b32_e32 v26, 7, v22
	v_ffbh_u32_e32 v36, v26
	v_min_u32_e32 v38, 32, v36
	v_subrev_u32_e32 v36, 28, v38
	v_lshlrev_b64 v[36:37], v36, v[22:23]
	v_lshrrev_b32_e32 v35, 3, v23
	v_sub_u32_e32 v37, 29, v38
	v_and_b32_e32 v36, 7, v36
	v_cmp_gt_u32_e64 s[12:13], 8, v23
	v_cndmask_b32_e64 v23, v35, v37, s[12:13]
	v_cndmask_b32_e64 v26, v26, v36, s[12:13]
	v_lshlrev_b32_e32 v22, 24, v22
	v_bfrev_b32_e32 v35, 60
	v_lshlrev_b32_e32 v26, 20, v26
	v_and_b32_e32 v22, 0x80000000, v22
	v_lshl_add_u32 v23, v23, 23, v35
	v_or3_b32 v26, v22, v23, v26
.LBB488_348:
	s_or_b64 exec, exec, s[26:27]
.LBB488_349:
	s_or_b64 exec, exec, s[24:25]
.LBB488_350:
	s_or_b64 exec, exec, s[14:15]
	v_cvt_pkrtz_f16_f32 v22, v30, v31
	v_cvt_pkrtz_f16_f32 v23, v29, v32
	;; [unrolled: 1-line block ×4, first 2 shown]
	v_mfma_f32_4x4x4f16 a[0:3], v[2:3], v[22:23], a[0:3] cbsz:4 abid:6
	v_cmp_ne_u16_sdwa s[12:13], v24, v28 src0_sel:BYTE_0 src1_sel:DWORD
	v_mfma_f32_4x4x4f16 a[0:3], v[4:5], v[30:31], a[0:3] cbsz:4 abid:6
	s_and_saveexec_b64 s[14:15], s[12:13]
	s_cbranch_execz .LBB488_356
; %bb.351:
	s_movk_i32 s11, 0x80
	v_cmp_ne_u16_sdwa s[12:13], v24, s11 src0_sel:BYTE_0 src1_sel:DWORD
	v_bfrev_b32_e32 v28, 1
	s_and_saveexec_b64 s[24:25], s[12:13]
	s_cbranch_execz .LBB488_355
; %bb.352:
	s_movk_i32 s11, 0x7f
	v_and_b32_e32 v22, 0x7f, v24
	v_cmp_ne_u32_e64 s[12:13], s11, v22
	v_mov_b32_e32 v28, 0x7f800001
	s_and_saveexec_b64 s[26:27], s[12:13]
	s_cbranch_execz .LBB488_354
; %bb.353:
	v_and_b32_e32 v23, 7, v24
	v_ffbh_u32_e32 v23, v23
	v_min_u32_e32 v23, 32, v23
	v_subrev_u32_e32 v27, 28, v23
	v_cmp_gt_u32_e64 s[12:13], 8, v22
	v_lshrrev_b32_e32 v26, 3, v22
	v_sub_u32_e32 v23, 29, v23
	v_cndmask_b32_e64 v22, 0, v27, s[12:13]
	v_cndmask_b32_e64 v26, v26, v23, s[12:13]
	v_lshlrev_b64 v[22:23], v22, v[24:25]
	v_lshlrev_b32_e32 v22, 20, v22
	v_lshlrev_b32_e32 v23, 24, v24
	v_bfrev_b32_e32 v27, 60
	v_and_b32_e32 v22, 0x700000, v22
	v_and_b32_e32 v23, 0x80000000, v23
	v_lshl_add_u32 v26, v26, 23, v27
	v_or3_b32 v28, v23, v26, v22
.LBB488_354:
	s_or_b64 exec, exec, s[26:27]
.LBB488_355:
	s_or_b64 exec, exec, s[24:25]
.LBB488_356:
	s_or_b64 exec, exec, s[14:15]
	v_lshrrev_b16_e32 v22, 8, v24
	v_cmp_ne_u16_e64 s[12:13], 0, v22
	v_mov_b32_e32 v27, 0
	v_mov_b32_e32 v29, 0
	s_and_saveexec_b64 s[14:15], s[12:13]
	s_cbranch_execz .LBB488_362
; %bb.357:
	s_movk_i32 s11, 0x80
	v_cmp_ne_u16_e64 s[12:13], s11, v22
	v_bfrev_b32_e32 v29, 1
	s_and_saveexec_b64 s[24:25], s[12:13]
	s_cbranch_execz .LBB488_361
; %bb.358:
	s_movk_i32 s11, 0x7f
	v_and_b32_e32 v23, 0x7f, v22
	v_cmp_ne_u32_e64 s[12:13], s11, v23
	v_mov_b32_e32 v29, 0x7f800001
	s_and_saveexec_b64 s[26:27], s[12:13]
	s_cbranch_execz .LBB488_360
; %bb.359:
	v_and_b32_e32 v26, 7, v22
	v_ffbh_u32_e32 v30, v26
	v_min_u32_e32 v32, 32, v30
	v_subrev_u32_e32 v30, 28, v32
	v_lshlrev_b64 v[30:31], v30, v[22:23]
	v_lshrrev_b32_e32 v29, 3, v23
	v_sub_u32_e32 v22, 29, v32
	v_and_b32_e32 v30, 7, v30
	v_cmp_gt_u32_e64 s[12:13], 8, v23
	v_cndmask_b32_e64 v22, v29, v22, s[12:13]
	v_cndmask_b32_e64 v23, v26, v30, s[12:13]
	v_lshlrev_b32_e32 v26, 16, v24
	v_bfrev_b32_e32 v29, 60
	v_lshlrev_b32_e32 v23, 20, v23
	v_and_b32_e32 v26, 0x80000000, v26
	v_lshl_add_u32 v22, v22, 23, v29
	v_or3_b32 v29, v26, v22, v23
.LBB488_360:
	s_or_b64 exec, exec, s[26:27]
.LBB488_361:
	s_or_b64 exec, exec, s[24:25]
.LBB488_362:
	s_or_b64 exec, exec, s[14:15]
	s_movk_i32 s11, 0xff
	v_and_b32_sdwa v23, v24, s11 dst_sel:DWORD dst_unused:UNUSED_PAD src0_sel:WORD_1 src1_sel:DWORD
	v_lshrrev_b32_e32 v22, 16, v24
	v_cmp_ne_u16_e64 s[12:13], 0, v23
	s_and_saveexec_b64 s[14:15], s[12:13]
	s_cbranch_execz .LBB488_368
; %bb.363:
	s_movk_i32 s11, 0x80
	v_cmp_ne_u16_e64 s[12:13], s11, v23
	v_bfrev_b32_e32 v27, 1
	s_and_saveexec_b64 s[24:25], s[12:13]
	s_cbranch_execz .LBB488_367
; %bb.364:
	v_bfe_u32 v23, v24, 16, 7
	s_movk_i32 s11, 0x7f
	v_cmp_ne_u32_e64 s[12:13], s11, v23
	v_mov_b32_e32 v27, 0x7f800001
	s_and_saveexec_b64 s[26:27], s[12:13]
	s_cbranch_execz .LBB488_366
; %bb.365:
	v_and_b32_e32 v30, 7, v22
	v_ffbh_u32_e32 v26, v30
	v_min_u32_e32 v32, 32, v26
	v_subrev_u32_e32 v26, 28, v32
	v_lshlrev_b64 v[26:27], v26, v[22:23]
	v_and_b32_e32 v26, 7, v26
	v_cmp_gt_u32_e64 s[12:13], 8, v23
	v_lshrrev_b32_e32 v31, 3, v23
	v_sub_u32_e32 v22, 29, v32
	v_cndmask_b32_e64 v23, v30, v26, s[12:13]
	v_mov_b32_e32 v26, 24
	v_cndmask_b32_e64 v22, v31, v22, s[12:13]
	v_lshlrev_b32_sdwa v26, v26, v24 dst_sel:DWORD dst_unused:UNUSED_PAD src0_sel:DWORD src1_sel:WORD_1
	v_bfrev_b32_e32 v27, 60
	v_lshlrev_b32_e32 v23, 20, v23
	v_and_b32_e32 v26, 0x80000000, v26
	v_lshl_add_u32 v22, v22, 23, v27
	v_or3_b32 v27, v26, v22, v23
.LBB488_366:
	s_or_b64 exec, exec, s[26:27]
.LBB488_367:
	s_or_b64 exec, exec, s[24:25]
.LBB488_368:
	s_or_b64 exec, exec, s[14:15]
	s_mov_b32 s11, 0xffffff
	v_cmp_lt_u32_e64 s[12:13], s11, v24
	v_mov_b32_e32 v23, 0
	v_mov_b32_e32 v30, 0
	s_and_saveexec_b64 s[14:15], s[12:13]
	s_cbranch_execz .LBB488_374
; %bb.369:
	v_lshrrev_b32_e32 v22, 24, v24
	s_movk_i32 s11, 0x80
	v_cmp_ne_u32_e64 s[12:13], s11, v22
	v_bfrev_b32_e32 v30, 1
	s_and_saveexec_b64 s[24:25], s[12:13]
	s_cbranch_execz .LBB488_373
; %bb.370:
	v_bfe_u32 v26, v24, 24, 7
	s_movk_i32 s11, 0x7f
	v_cmp_ne_u32_e64 s[12:13], s11, v26
	v_mov_b32_e32 v30, 0x7f800001
	s_and_saveexec_b64 s[26:27], s[12:13]
	s_cbranch_execz .LBB488_372
; %bb.371:
	v_and_b32_e32 v32, 7, v22
	v_ffbh_u32_e32 v30, v32
	v_min_u32_e32 v34, 32, v30
	v_subrev_u32_e32 v30, 28, v34
	v_lshlrev_b64 v[30:31], v30, v[22:23]
	v_lshrrev_b32_e32 v33, 3, v26
	v_sub_u32_e32 v31, 29, v34
	v_and_b32_e32 v30, 7, v30
	v_cmp_gt_u32_e64 s[12:13], 8, v26
	v_cndmask_b32_e64 v26, v33, v31, s[12:13]
	v_cndmask_b32_e64 v30, v32, v30, s[12:13]
	v_lshlrev_b32_e32 v22, 24, v22
	v_bfrev_b32_e32 v31, 60
	v_lshlrev_b32_e32 v30, 20, v30
	v_and_b32_e32 v22, 0x80000000, v22
	v_lshl_add_u32 v26, v26, 23, v31
	v_or3_b32 v30, v22, v26, v30
.LBB488_372:
	s_or_b64 exec, exec, s[26:27]
.LBB488_373:
	s_or_b64 exec, exec, s[24:25]
.LBB488_374:
	s_or_b64 exec, exec, s[14:15]
	v_mov_b32_e32 v22, v25
	v_cmp_ne_u16_sdwa s[12:13], v25, v23 src0_sel:BYTE_0 src1_sel:DWORD
	s_and_saveexec_b64 s[14:15], s[12:13]
	s_cbranch_execz .LBB488_380
; %bb.375:
	s_movk_i32 s11, 0x80
	v_cmp_ne_u16_sdwa s[12:13], v25, s11 src0_sel:BYTE_0 src1_sel:DWORD
	v_bfrev_b32_e32 v26, 1
	s_and_saveexec_b64 s[24:25], s[12:13]
	s_cbranch_execz .LBB488_379
; %bb.376:
	s_movk_i32 s11, 0x7f
	v_and_b32_e32 v31, 0x7f, v25
	v_cmp_ne_u32_e64 s[12:13], s11, v31
	v_mov_b32_e32 v26, 0x7f800001
	s_and_saveexec_b64 s[26:27], s[12:13]
	s_cbranch_execz .LBB488_378
; %bb.377:
	v_and_b32_e32 v26, 7, v25
	v_ffbh_u32_e32 v26, v26
	v_min_u32_e32 v26, 32, v26
	v_subrev_u32_e32 v33, 28, v26
	v_cmp_gt_u32_e64 s[12:13], 8, v31
	v_lshrrev_b32_e32 v32, 3, v31
	v_sub_u32_e32 v26, 29, v26
	v_cndmask_b32_e64 v31, 0, v33, s[12:13]
	v_cndmask_b32_e64 v26, v32, v26, s[12:13]
	v_lshlrev_b64 v[32:33], v31, v[22:23]
	v_lshlrev_b32_e32 v23, 20, v32
	v_lshlrev_b32_e32 v31, 24, v22
	v_bfrev_b32_e32 v32, 60
	v_and_b32_e32 v23, 0x700000, v23
	v_and_b32_e32 v31, 0x80000000, v31
	v_lshl_add_u32 v26, v26, 23, v32
	v_or3_b32 v26, v31, v26, v23
.LBB488_378:
	s_or_b64 exec, exec, s[26:27]
.LBB488_379:
	s_or_b64 exec, exec, s[24:25]
	v_mov_b32_e32 v23, v26
.LBB488_380:
	s_or_b64 exec, exec, s[14:15]
	v_lshrrev_b16_e32 v26, 8, v22
	v_cmp_ne_u16_e64 s[12:13], 0, v26
	v_mov_b32_e32 v31, 0
	v_mov_b32_e32 v32, 0
	s_and_saveexec_b64 s[14:15], s[12:13]
	s_cbranch_execz .LBB488_386
; %bb.381:
	s_movk_i32 s11, 0x80
	v_cmp_ne_u16_e64 s[12:13], s11, v26
	v_bfrev_b32_e32 v32, 1
	s_and_saveexec_b64 s[24:25], s[12:13]
	s_cbranch_execz .LBB488_385
; %bb.382:
	s_movk_i32 s11, 0x7f
	v_and_b32_e32 v33, 0x7f, v26
	v_cmp_ne_u32_e64 s[12:13], s11, v33
	v_mov_b32_e32 v32, 0x7f800001
	s_and_saveexec_b64 s[26:27], s[12:13]
	s_cbranch_execz .LBB488_384
; %bb.383:
	v_and_b32_e32 v32, 7, v26
	v_ffbh_u32_e32 v34, v32
	v_min_u32_e32 v37, 32, v34
	v_subrev_u32_e32 v34, 28, v37
	v_lshlrev_b64 v[34:35], v34, v[26:27]
	v_lshrrev_b32_e32 v36, 3, v33
	v_sub_u32_e32 v26, 29, v37
	v_and_b32_e32 v34, 7, v34
	v_cmp_gt_u32_e64 s[12:13], 8, v33
	v_cndmask_b32_e64 v26, v36, v26, s[12:13]
	v_cndmask_b32_e64 v32, v32, v34, s[12:13]
	v_lshlrev_b32_e32 v22, 16, v22
	v_bfrev_b32_e32 v33, 60
	v_lshlrev_b32_e32 v32, 20, v32
	v_and_b32_e32 v22, 0x80000000, v22
	v_lshl_add_u32 v26, v26, 23, v33
	v_or3_b32 v32, v22, v26, v32
.LBB488_384:
	s_or_b64 exec, exec, s[26:27]
.LBB488_385:
	s_or_b64 exec, exec, s[24:25]
.LBB488_386:
	s_or_b64 exec, exec, s[14:15]
	s_movk_i32 s11, 0xff
	v_and_b32_sdwa v26, v25, s11 dst_sel:DWORD dst_unused:UNUSED_PAD src0_sel:WORD_1 src1_sel:DWORD
	v_lshrrev_b32_e32 v22, 16, v25
	v_cmp_ne_u16_e64 s[12:13], 0, v26
	s_and_saveexec_b64 s[14:15], s[12:13]
	s_cbranch_execz .LBB488_392
; %bb.387:
	s_movk_i32 s11, 0x80
	v_cmp_ne_u16_e64 s[12:13], s11, v26
	v_bfrev_b32_e32 v31, 1
	s_and_saveexec_b64 s[24:25], s[12:13]
	s_cbranch_execz .LBB488_391
; %bb.388:
	v_bfe_u32 v26, v25, 16, 7
	s_movk_i32 s11, 0x7f
	v_cmp_ne_u32_e64 s[12:13], s11, v26
	v_mov_b32_e32 v31, 0x7f800001
	s_and_saveexec_b64 s[26:27], s[12:13]
	s_cbranch_execz .LBB488_390
; %bb.389:
	v_and_b32_e32 v31, 7, v22
	v_ffbh_u32_e32 v34, v31
	v_min_u32_e32 v36, 32, v34
	v_subrev_u32_e32 v34, 28, v36
	v_lshlrev_b64 v[34:35], v34, v[22:23]
	v_and_b32_e32 v34, 7, v34
	v_cmp_gt_u32_e64 s[12:13], 8, v26
	v_lshrrev_b32_e32 v33, 3, v26
	v_sub_u32_e32 v22, 29, v36
	v_cndmask_b32_e64 v26, v31, v34, s[12:13]
	v_mov_b32_e32 v31, 24
	v_cndmask_b32_e64 v22, v33, v22, s[12:13]
	v_lshlrev_b32_sdwa v31, v31, v25 dst_sel:DWORD dst_unused:UNUSED_PAD src0_sel:DWORD src1_sel:WORD_1
	v_bfrev_b32_e32 v33, 60
	v_lshlrev_b32_e32 v26, 20, v26
	v_and_b32_e32 v31, 0x80000000, v31
	v_lshl_add_u32 v22, v22, 23, v33
	v_or3_b32 v31, v31, v22, v26
.LBB488_390:
	s_or_b64 exec, exec, s[26:27]
.LBB488_391:
	s_or_b64 exec, exec, s[24:25]
.LBB488_392:
	s_or_b64 exec, exec, s[14:15]
	s_mov_b32 s12, -1
	s_mov_b32 s13, 0xffffff
	v_cmp_lt_u64_e64 s[12:13], s[12:13], v[24:25]
	v_mov_b32_e32 v26, 0
	v_mov_b32_e32 v24, 0
	s_and_saveexec_b64 s[14:15], s[12:13]
	s_cbranch_execz .LBB488_398
; %bb.393:
	v_lshrrev_b32_e32 v22, 24, v25
	s_movk_i32 s11, 0x80
	v_cmp_ne_u32_e64 s[12:13], s11, v22
	v_bfrev_b32_e32 v24, 1
	s_and_saveexec_b64 s[24:25], s[12:13]
	s_cbranch_execz .LBB488_397
; %bb.394:
	v_bfe_u32 v25, v25, 24, 7
	s_movk_i32 s11, 0x7f
	v_cmp_ne_u32_e64 s[12:13], s11, v25
	v_mov_b32_e32 v24, 0x7f800001
	s_and_saveexec_b64 s[26:27], s[12:13]
	s_cbranch_execz .LBB488_396
; %bb.395:
	v_and_b32_e32 v24, 7, v22
	v_ffbh_u32_e32 v34, v24
	v_min_u32_e32 v36, 32, v34
	v_subrev_u32_e32 v34, 28, v36
	v_lshlrev_b64 v[34:35], v34, v[22:23]
	v_lshrrev_b32_e32 v33, 3, v25
	v_sub_u32_e32 v35, 29, v36
	v_and_b32_e32 v34, 7, v34
	v_cmp_gt_u32_e64 s[12:13], 8, v25
	v_cndmask_b32_e64 v25, v33, v35, s[12:13]
	v_cndmask_b32_e64 v24, v24, v34, s[12:13]
	v_lshlrev_b32_e32 v22, 24, v22
	v_bfrev_b32_e32 v33, 60
	v_lshlrev_b32_e32 v24, 20, v24
	v_and_b32_e32 v22, 0x80000000, v22
	v_lshl_add_u32 v25, v25, 23, v33
	v_or3_b32 v24, v22, v25, v24
.LBB488_396:
	s_or_b64 exec, exec, s[26:27]
.LBB488_397:
	s_or_b64 exec, exec, s[24:25]
.LBB488_398:
	s_or_b64 exec, exec, s[14:15]
	v_cvt_pkrtz_f16_f32 v28, v28, v29
	v_cvt_pkrtz_f16_f32 v29, v27, v30
	;; [unrolled: 1-line block ×4, first 2 shown]
	v_mfma_f32_4x4x4f16 a[0:3], v[2:3], v[28:29], a[0:3] cbsz:4 abid:7
	v_cmp_ne_u16_sdwa s[12:13], v18, v26 src0_sel:BYTE_0 src1_sel:DWORD
	v_mfma_f32_4x4x4f16 a[0:3], v[4:5], v[22:23], a[0:3] cbsz:4 abid:7
	s_and_saveexec_b64 s[14:15], s[12:13]
	s_cbranch_execz .LBB488_404
; %bb.399:
	s_movk_i32 s11, 0x80
	v_cmp_ne_u16_sdwa s[12:13], v18, s11 src0_sel:BYTE_0 src1_sel:DWORD
	v_bfrev_b32_e32 v26, 1
	s_and_saveexec_b64 s[24:25], s[12:13]
	s_cbranch_execz .LBB488_403
; %bb.400:
	s_movk_i32 s11, 0x7f
	v_and_b32_e32 v22, 0x7f, v18
	v_cmp_ne_u32_e64 s[12:13], s11, v22
	v_mov_b32_e32 v26, 0x7f800001
	s_and_saveexec_b64 s[26:27], s[12:13]
	s_cbranch_execz .LBB488_402
; %bb.401:
	v_and_b32_e32 v23, 7, v18
	v_ffbh_u32_e32 v23, v23
	v_min_u32_e32 v23, 32, v23
	v_subrev_u32_e32 v25, 28, v23
	v_cmp_gt_u32_e64 s[12:13], 8, v22
	v_lshrrev_b32_e32 v24, 3, v22
	v_sub_u32_e32 v23, 29, v23
	v_cndmask_b32_e64 v22, 0, v25, s[12:13]
	v_cndmask_b32_e64 v24, v24, v23, s[12:13]
	v_lshlrev_b64 v[22:23], v22, v[18:19]
	v_lshlrev_b32_e32 v22, 20, v22
	v_lshlrev_b32_e32 v23, 24, v18
	v_bfrev_b32_e32 v25, 60
	v_and_b32_e32 v22, 0x700000, v22
	v_and_b32_e32 v23, 0x80000000, v23
	v_lshl_add_u32 v24, v24, 23, v25
	v_or3_b32 v26, v23, v24, v22
.LBB488_402:
	s_or_b64 exec, exec, s[26:27]
.LBB488_403:
	s_or_b64 exec, exec, s[24:25]
.LBB488_404:
	s_or_b64 exec, exec, s[14:15]
	v_lshrrev_b16_e32 v22, 8, v18
	v_cmp_ne_u16_e64 s[12:13], 0, v22
	v_mov_b32_e32 v25, 0
	v_mov_b32_e32 v27, 0
	s_and_saveexec_b64 s[14:15], s[12:13]
	s_cbranch_execz .LBB488_410
; %bb.405:
	s_movk_i32 s11, 0x80
	v_cmp_ne_u16_e64 s[12:13], s11, v22
	v_bfrev_b32_e32 v27, 1
	s_and_saveexec_b64 s[24:25], s[12:13]
	s_cbranch_execz .LBB488_409
; %bb.406:
	s_movk_i32 s11, 0x7f
	v_and_b32_e32 v23, 0x7f, v22
	v_cmp_ne_u32_e64 s[12:13], s11, v23
	v_mov_b32_e32 v27, 0x7f800001
	s_and_saveexec_b64 s[26:27], s[12:13]
	s_cbranch_execz .LBB488_408
; %bb.407:
	v_and_b32_e32 v24, 7, v22
	v_ffbh_u32_e32 v28, v24
	v_min_u32_e32 v30, 32, v28
	v_subrev_u32_e32 v28, 28, v30
	v_lshlrev_b64 v[28:29], v28, v[22:23]
	v_lshrrev_b32_e32 v27, 3, v23
	v_sub_u32_e32 v22, 29, v30
	v_and_b32_e32 v28, 7, v28
	v_cmp_gt_u32_e64 s[12:13], 8, v23
	v_cndmask_b32_e64 v22, v27, v22, s[12:13]
	v_cndmask_b32_e64 v23, v24, v28, s[12:13]
	v_lshlrev_b32_e32 v24, 16, v18
	v_bfrev_b32_e32 v27, 60
	v_lshlrev_b32_e32 v23, 20, v23
	v_and_b32_e32 v24, 0x80000000, v24
	v_lshl_add_u32 v22, v22, 23, v27
	v_or3_b32 v27, v24, v22, v23
.LBB488_408:
	s_or_b64 exec, exec, s[26:27]
.LBB488_409:
	s_or_b64 exec, exec, s[24:25]
.LBB488_410:
	s_or_b64 exec, exec, s[14:15]
	s_movk_i32 s11, 0xff
	v_and_b32_sdwa v23, v18, s11 dst_sel:DWORD dst_unused:UNUSED_PAD src0_sel:WORD_1 src1_sel:DWORD
	v_lshrrev_b32_e32 v22, 16, v18
	v_cmp_ne_u16_e64 s[12:13], 0, v23
	s_and_saveexec_b64 s[14:15], s[12:13]
	s_cbranch_execz .LBB488_416
; %bb.411:
	s_movk_i32 s11, 0x80
	v_cmp_ne_u16_e64 s[12:13], s11, v23
	v_bfrev_b32_e32 v25, 1
	s_and_saveexec_b64 s[24:25], s[12:13]
	s_cbranch_execz .LBB488_415
; %bb.412:
	v_bfe_u32 v23, v18, 16, 7
	s_movk_i32 s11, 0x7f
	v_cmp_ne_u32_e64 s[12:13], s11, v23
	v_mov_b32_e32 v25, 0x7f800001
	s_and_saveexec_b64 s[26:27], s[12:13]
	s_cbranch_execz .LBB488_414
; %bb.413:
	v_and_b32_e32 v28, 7, v22
	v_ffbh_u32_e32 v24, v28
	v_min_u32_e32 v30, 32, v24
	v_subrev_u32_e32 v24, 28, v30
	v_lshlrev_b64 v[24:25], v24, v[22:23]
	v_and_b32_e32 v24, 7, v24
	v_cmp_gt_u32_e64 s[12:13], 8, v23
	v_lshrrev_b32_e32 v29, 3, v23
	v_sub_u32_e32 v22, 29, v30
	v_cndmask_b32_e64 v23, v28, v24, s[12:13]
	v_mov_b32_e32 v24, 24
	v_cndmask_b32_e64 v22, v29, v22, s[12:13]
	v_lshlrev_b32_sdwa v24, v24, v18 dst_sel:DWORD dst_unused:UNUSED_PAD src0_sel:DWORD src1_sel:WORD_1
	v_bfrev_b32_e32 v25, 60
	v_lshlrev_b32_e32 v23, 20, v23
	v_and_b32_e32 v24, 0x80000000, v24
	v_lshl_add_u32 v22, v22, 23, v25
	v_or3_b32 v25, v24, v22, v23
.LBB488_414:
	s_or_b64 exec, exec, s[26:27]
.LBB488_415:
	s_or_b64 exec, exec, s[24:25]
.LBB488_416:
	s_or_b64 exec, exec, s[14:15]
	s_mov_b32 s11, 0xffffff
	v_cmp_lt_u32_e64 s[12:13], s11, v18
	v_mov_b32_e32 v23, 0
	v_mov_b32_e32 v28, 0
	s_and_saveexec_b64 s[14:15], s[12:13]
	s_cbranch_execz .LBB488_422
; %bb.417:
	v_lshrrev_b32_e32 v22, 24, v18
	s_movk_i32 s11, 0x80
	v_cmp_ne_u32_e64 s[12:13], s11, v22
	v_bfrev_b32_e32 v28, 1
	s_and_saveexec_b64 s[24:25], s[12:13]
	s_cbranch_execz .LBB488_421
; %bb.418:
	v_bfe_u32 v24, v18, 24, 7
	s_movk_i32 s11, 0x7f
	v_cmp_ne_u32_e64 s[12:13], s11, v24
	v_mov_b32_e32 v28, 0x7f800001
	s_and_saveexec_b64 s[26:27], s[12:13]
	s_cbranch_execz .LBB488_420
; %bb.419:
	v_and_b32_e32 v30, 7, v22
	v_ffbh_u32_e32 v28, v30
	v_min_u32_e32 v32, 32, v28
	v_subrev_u32_e32 v28, 28, v32
	v_lshlrev_b64 v[28:29], v28, v[22:23]
	v_lshrrev_b32_e32 v31, 3, v24
	v_sub_u32_e32 v29, 29, v32
	v_and_b32_e32 v28, 7, v28
	v_cmp_gt_u32_e64 s[12:13], 8, v24
	v_cndmask_b32_e64 v24, v31, v29, s[12:13]
	v_cndmask_b32_e64 v28, v30, v28, s[12:13]
	v_lshlrev_b32_e32 v22, 24, v22
	v_bfrev_b32_e32 v29, 60
	v_lshlrev_b32_e32 v28, 20, v28
	v_and_b32_e32 v22, 0x80000000, v22
	v_lshl_add_u32 v24, v24, 23, v29
	v_or3_b32 v28, v22, v24, v28
.LBB488_420:
	s_or_b64 exec, exec, s[26:27]
.LBB488_421:
	s_or_b64 exec, exec, s[24:25]
.LBB488_422:
	s_or_b64 exec, exec, s[14:15]
	v_mov_b32_e32 v22, v19
	v_cmp_ne_u16_sdwa s[12:13], v19, v23 src0_sel:BYTE_0 src1_sel:DWORD
	s_and_saveexec_b64 s[14:15], s[12:13]
	s_cbranch_execz .LBB488_428
; %bb.423:
	s_movk_i32 s11, 0x80
	v_cmp_ne_u16_sdwa s[12:13], v19, s11 src0_sel:BYTE_0 src1_sel:DWORD
	v_bfrev_b32_e32 v24, 1
	s_and_saveexec_b64 s[24:25], s[12:13]
	s_cbranch_execz .LBB488_427
; %bb.424:
	s_movk_i32 s11, 0x7f
	v_and_b32_e32 v29, 0x7f, v19
	v_cmp_ne_u32_e64 s[12:13], s11, v29
	v_mov_b32_e32 v24, 0x7f800001
	s_and_saveexec_b64 s[26:27], s[12:13]
	s_cbranch_execz .LBB488_426
; %bb.425:
	v_and_b32_e32 v24, 7, v19
	v_ffbh_u32_e32 v24, v24
	v_min_u32_e32 v24, 32, v24
	v_subrev_u32_e32 v31, 28, v24
	v_cmp_gt_u32_e64 s[12:13], 8, v29
	v_lshrrev_b32_e32 v30, 3, v29
	v_sub_u32_e32 v24, 29, v24
	v_cndmask_b32_e64 v29, 0, v31, s[12:13]
	v_cndmask_b32_e64 v24, v30, v24, s[12:13]
	v_lshlrev_b64 v[30:31], v29, v[22:23]
	v_lshlrev_b32_e32 v23, 20, v30
	v_lshlrev_b32_e32 v29, 24, v22
	v_bfrev_b32_e32 v30, 60
	v_and_b32_e32 v23, 0x700000, v23
	v_and_b32_e32 v29, 0x80000000, v29
	v_lshl_add_u32 v24, v24, 23, v30
	v_or3_b32 v24, v29, v24, v23
.LBB488_426:
	s_or_b64 exec, exec, s[26:27]
.LBB488_427:
	s_or_b64 exec, exec, s[24:25]
	v_mov_b32_e32 v23, v24
.LBB488_428:
	s_or_b64 exec, exec, s[14:15]
	v_lshrrev_b16_e32 v24, 8, v22
	v_cmp_ne_u16_e64 s[12:13], 0, v24
	v_mov_b32_e32 v29, 0
	v_mov_b32_e32 v30, 0
	s_and_saveexec_b64 s[14:15], s[12:13]
	s_cbranch_execz .LBB488_434
; %bb.429:
	s_movk_i32 s11, 0x80
	v_cmp_ne_u16_e64 s[12:13], s11, v24
	v_bfrev_b32_e32 v30, 1
	s_and_saveexec_b64 s[24:25], s[12:13]
	s_cbranch_execz .LBB488_433
; %bb.430:
	s_movk_i32 s11, 0x7f
	v_and_b32_e32 v31, 0x7f, v24
	v_cmp_ne_u32_e64 s[12:13], s11, v31
	v_mov_b32_e32 v30, 0x7f800001
	s_and_saveexec_b64 s[26:27], s[12:13]
	s_cbranch_execz .LBB488_432
; %bb.431:
	v_and_b32_e32 v30, 7, v24
	v_ffbh_u32_e32 v32, v30
	v_min_u32_e32 v35, 32, v32
	v_subrev_u32_e32 v32, 28, v35
	v_lshlrev_b64 v[32:33], v32, v[24:25]
	v_lshrrev_b32_e32 v34, 3, v31
	v_sub_u32_e32 v24, 29, v35
	v_and_b32_e32 v32, 7, v32
	v_cmp_gt_u32_e64 s[12:13], 8, v31
	v_cndmask_b32_e64 v24, v34, v24, s[12:13]
	v_cndmask_b32_e64 v30, v30, v32, s[12:13]
	v_lshlrev_b32_e32 v22, 16, v22
	v_bfrev_b32_e32 v31, 60
	v_lshlrev_b32_e32 v30, 20, v30
	v_and_b32_e32 v22, 0x80000000, v22
	v_lshl_add_u32 v24, v24, 23, v31
	v_or3_b32 v30, v22, v24, v30
.LBB488_432:
	s_or_b64 exec, exec, s[26:27]
.LBB488_433:
	s_or_b64 exec, exec, s[24:25]
.LBB488_434:
	s_or_b64 exec, exec, s[14:15]
	s_movk_i32 s11, 0xff
	v_and_b32_sdwa v24, v19, s11 dst_sel:DWORD dst_unused:UNUSED_PAD src0_sel:WORD_1 src1_sel:DWORD
	v_lshrrev_b32_e32 v22, 16, v19
	v_cmp_ne_u16_e64 s[12:13], 0, v24
	s_and_saveexec_b64 s[14:15], s[12:13]
	s_cbranch_execz .LBB488_440
; %bb.435:
	s_movk_i32 s11, 0x80
	v_cmp_ne_u16_e64 s[12:13], s11, v24
	v_bfrev_b32_e32 v29, 1
	s_and_saveexec_b64 s[24:25], s[12:13]
	s_cbranch_execz .LBB488_439
; %bb.436:
	v_bfe_u32 v24, v19, 16, 7
	s_movk_i32 s11, 0x7f
	v_cmp_ne_u32_e64 s[12:13], s11, v24
	v_mov_b32_e32 v29, 0x7f800001
	s_and_saveexec_b64 s[26:27], s[12:13]
	s_cbranch_execz .LBB488_438
; %bb.437:
	v_and_b32_e32 v29, 7, v22
	v_ffbh_u32_e32 v32, v29
	v_min_u32_e32 v34, 32, v32
	v_subrev_u32_e32 v32, 28, v34
	v_lshlrev_b64 v[32:33], v32, v[22:23]
	v_and_b32_e32 v32, 7, v32
	v_cmp_gt_u32_e64 s[12:13], 8, v24
	v_lshrrev_b32_e32 v31, 3, v24
	v_sub_u32_e32 v22, 29, v34
	v_cndmask_b32_e64 v24, v29, v32, s[12:13]
	v_mov_b32_e32 v29, 24
	v_cndmask_b32_e64 v22, v31, v22, s[12:13]
	v_lshlrev_b32_sdwa v29, v29, v19 dst_sel:DWORD dst_unused:UNUSED_PAD src0_sel:DWORD src1_sel:WORD_1
	v_bfrev_b32_e32 v31, 60
	v_lshlrev_b32_e32 v24, 20, v24
	v_and_b32_e32 v29, 0x80000000, v29
	v_lshl_add_u32 v22, v22, 23, v31
	v_or3_b32 v29, v29, v22, v24
.LBB488_438:
	s_or_b64 exec, exec, s[26:27]
.LBB488_439:
	s_or_b64 exec, exec, s[24:25]
.LBB488_440:
	s_or_b64 exec, exec, s[14:15]
	s_mov_b32 s12, -1
	s_mov_b32 s13, 0xffffff
	v_cmp_lt_u64_e64 s[12:13], s[12:13], v[18:19]
	v_mov_b32_e32 v24, 0
	v_mov_b32_e32 v22, 0
	s_and_saveexec_b64 s[14:15], s[12:13]
	s_cbranch_execz .LBB488_446
; %bb.441:
	v_lshrrev_b32_e32 v18, 24, v19
	s_movk_i32 s11, 0x80
	v_cmp_ne_u32_e64 s[12:13], s11, v18
	v_bfrev_b32_e32 v22, 1
	s_and_saveexec_b64 s[24:25], s[12:13]
	s_cbranch_execz .LBB488_445
; %bb.442:
	v_bfe_u32 v19, v19, 24, 7
	s_movk_i32 s11, 0x7f
	v_cmp_ne_u32_e64 s[12:13], s11, v19
	v_mov_b32_e32 v22, 0x7f800001
	s_and_saveexec_b64 s[26:27], s[12:13]
	s_cbranch_execz .LBB488_444
; %bb.443:
	v_and_b32_e32 v22, 7, v18
	v_ffbh_u32_e32 v32, v22
	v_min_u32_e32 v34, 32, v32
	v_subrev_u32_e32 v32, 28, v34
	v_lshlrev_b64 v[32:33], v32, v[18:19]
	v_lshrrev_b32_e32 v31, 3, v19
	v_sub_u32_e32 v33, 29, v34
	v_and_b32_e32 v32, 7, v32
	v_cmp_gt_u32_e64 s[12:13], 8, v19
	v_cndmask_b32_e64 v19, v31, v33, s[12:13]
	v_cndmask_b32_e64 v22, v22, v32, s[12:13]
	v_lshlrev_b32_e32 v18, 24, v18
	v_bfrev_b32_e32 v31, 60
	v_lshlrev_b32_e32 v22, 20, v22
	v_and_b32_e32 v18, 0x80000000, v18
	v_lshl_add_u32 v19, v19, 23, v31
	v_or3_b32 v22, v18, v19, v22
.LBB488_444:
	s_or_b64 exec, exec, s[26:27]
.LBB488_445:
	s_or_b64 exec, exec, s[24:25]
.LBB488_446:
	s_or_b64 exec, exec, s[14:15]
	v_cvt_pkrtz_f16_f32 v18, v26, v27
	v_cvt_pkrtz_f16_f32 v19, v25, v28
	;; [unrolled: 1-line block ×4, first 2 shown]
	v_mfma_f32_4x4x4f16 a[0:3], v[2:3], v[18:19], a[0:3] cbsz:4 abid:8
	v_cmp_ne_u16_sdwa s[12:13], v20, v24 src0_sel:BYTE_0 src1_sel:DWORD
	v_mfma_f32_4x4x4f16 a[0:3], v[4:5], v[26:27], a[0:3] cbsz:4 abid:8
	s_and_saveexec_b64 s[14:15], s[12:13]
	s_cbranch_execz .LBB488_452
; %bb.447:
	s_movk_i32 s11, 0x80
	v_cmp_ne_u16_sdwa s[12:13], v20, s11 src0_sel:BYTE_0 src1_sel:DWORD
	v_bfrev_b32_e32 v24, 1
	s_and_saveexec_b64 s[24:25], s[12:13]
	s_cbranch_execz .LBB488_451
; %bb.448:
	s_movk_i32 s11, 0x7f
	v_and_b32_e32 v18, 0x7f, v20
	v_cmp_ne_u32_e64 s[12:13], s11, v18
	v_mov_b32_e32 v24, 0x7f800001
	s_and_saveexec_b64 s[26:27], s[12:13]
	s_cbranch_execz .LBB488_450
; %bb.449:
	v_and_b32_e32 v19, 7, v20
	v_ffbh_u32_e32 v19, v19
	v_min_u32_e32 v19, 32, v19
	v_subrev_u32_e32 v23, 28, v19
	v_cmp_gt_u32_e64 s[12:13], 8, v18
	v_lshrrev_b32_e32 v22, 3, v18
	v_sub_u32_e32 v19, 29, v19
	v_cndmask_b32_e64 v18, 0, v23, s[12:13]
	v_cndmask_b32_e64 v22, v22, v19, s[12:13]
	v_lshlrev_b64 v[18:19], v18, v[20:21]
	v_lshlrev_b32_e32 v18, 20, v18
	v_lshlrev_b32_e32 v19, 24, v20
	v_bfrev_b32_e32 v23, 60
	v_and_b32_e32 v18, 0x700000, v18
	v_and_b32_e32 v19, 0x80000000, v19
	v_lshl_add_u32 v22, v22, 23, v23
	v_or3_b32 v24, v19, v22, v18
.LBB488_450:
	s_or_b64 exec, exec, s[26:27]
.LBB488_451:
	s_or_b64 exec, exec, s[24:25]
.LBB488_452:
	s_or_b64 exec, exec, s[14:15]
	v_lshrrev_b16_e32 v18, 8, v20
	v_cmp_ne_u16_e64 s[12:13], 0, v18
	v_mov_b32_e32 v23, 0
	v_mov_b32_e32 v25, 0
	s_and_saveexec_b64 s[14:15], s[12:13]
	s_cbranch_execz .LBB488_458
; %bb.453:
	s_movk_i32 s11, 0x80
	v_cmp_ne_u16_e64 s[12:13], s11, v18
	v_bfrev_b32_e32 v25, 1
	s_and_saveexec_b64 s[24:25], s[12:13]
	s_cbranch_execz .LBB488_457
; %bb.454:
	s_movk_i32 s11, 0x7f
	v_and_b32_e32 v19, 0x7f, v18
	v_cmp_ne_u32_e64 s[12:13], s11, v19
	v_mov_b32_e32 v25, 0x7f800001
	s_and_saveexec_b64 s[26:27], s[12:13]
	s_cbranch_execz .LBB488_456
; %bb.455:
	v_and_b32_e32 v22, 7, v18
	v_ffbh_u32_e32 v26, v22
	v_min_u32_e32 v28, 32, v26
	v_subrev_u32_e32 v26, 28, v28
	v_lshlrev_b64 v[26:27], v26, v[18:19]
	v_lshrrev_b32_e32 v25, 3, v19
	v_sub_u32_e32 v18, 29, v28
	v_and_b32_e32 v26, 7, v26
	v_cmp_gt_u32_e64 s[12:13], 8, v19
	v_cndmask_b32_e64 v18, v25, v18, s[12:13]
	v_cndmask_b32_e64 v19, v22, v26, s[12:13]
	v_lshlrev_b32_e32 v22, 16, v20
	v_bfrev_b32_e32 v25, 60
	v_lshlrev_b32_e32 v19, 20, v19
	v_and_b32_e32 v22, 0x80000000, v22
	v_lshl_add_u32 v18, v18, 23, v25
	v_or3_b32 v25, v22, v18, v19
.LBB488_456:
	s_or_b64 exec, exec, s[26:27]
.LBB488_457:
	s_or_b64 exec, exec, s[24:25]
.LBB488_458:
	s_or_b64 exec, exec, s[14:15]
	s_movk_i32 s11, 0xff
	v_and_b32_sdwa v19, v20, s11 dst_sel:DWORD dst_unused:UNUSED_PAD src0_sel:WORD_1 src1_sel:DWORD
	v_lshrrev_b32_e32 v18, 16, v20
	v_cmp_ne_u16_e64 s[12:13], 0, v19
	s_and_saveexec_b64 s[14:15], s[12:13]
	s_cbranch_execz .LBB488_464
; %bb.459:
	s_movk_i32 s11, 0x80
	v_cmp_ne_u16_e64 s[12:13], s11, v19
	v_bfrev_b32_e32 v23, 1
	s_and_saveexec_b64 s[24:25], s[12:13]
	s_cbranch_execz .LBB488_463
; %bb.460:
	v_bfe_u32 v19, v20, 16, 7
	s_movk_i32 s11, 0x7f
	v_cmp_ne_u32_e64 s[12:13], s11, v19
	v_mov_b32_e32 v23, 0x7f800001
	s_and_saveexec_b64 s[26:27], s[12:13]
	s_cbranch_execz .LBB488_462
; %bb.461:
	v_and_b32_e32 v26, 7, v18
	v_ffbh_u32_e32 v22, v26
	v_min_u32_e32 v28, 32, v22
	v_subrev_u32_e32 v22, 28, v28
	v_lshlrev_b64 v[22:23], v22, v[18:19]
	v_and_b32_e32 v22, 7, v22
	v_cmp_gt_u32_e64 s[12:13], 8, v19
	v_lshrrev_b32_e32 v27, 3, v19
	v_sub_u32_e32 v18, 29, v28
	v_cndmask_b32_e64 v19, v26, v22, s[12:13]
	v_mov_b32_e32 v22, 24
	v_cndmask_b32_e64 v18, v27, v18, s[12:13]
	v_lshlrev_b32_sdwa v22, v22, v20 dst_sel:DWORD dst_unused:UNUSED_PAD src0_sel:DWORD src1_sel:WORD_1
	v_bfrev_b32_e32 v23, 60
	v_lshlrev_b32_e32 v19, 20, v19
	v_and_b32_e32 v22, 0x80000000, v22
	v_lshl_add_u32 v18, v18, 23, v23
	v_or3_b32 v23, v22, v18, v19
.LBB488_462:
	s_or_b64 exec, exec, s[26:27]
.LBB488_463:
	s_or_b64 exec, exec, s[24:25]
.LBB488_464:
	s_or_b64 exec, exec, s[14:15]
	s_mov_b32 s11, 0xffffff
	v_cmp_lt_u32_e64 s[12:13], s11, v20
	v_mov_b32_e32 v19, 0
	v_mov_b32_e32 v26, 0
	s_and_saveexec_b64 s[14:15], s[12:13]
	s_cbranch_execz .LBB488_470
; %bb.465:
	v_lshrrev_b32_e32 v18, 24, v20
	s_movk_i32 s11, 0x80
	v_cmp_ne_u32_e64 s[12:13], s11, v18
	v_bfrev_b32_e32 v26, 1
	s_and_saveexec_b64 s[24:25], s[12:13]
	s_cbranch_execz .LBB488_469
; %bb.466:
	v_bfe_u32 v22, v20, 24, 7
	s_movk_i32 s11, 0x7f
	v_cmp_ne_u32_e64 s[12:13], s11, v22
	v_mov_b32_e32 v26, 0x7f800001
	s_and_saveexec_b64 s[26:27], s[12:13]
	s_cbranch_execz .LBB488_468
; %bb.467:
	v_and_b32_e32 v28, 7, v18
	v_ffbh_u32_e32 v26, v28
	v_min_u32_e32 v30, 32, v26
	v_subrev_u32_e32 v26, 28, v30
	v_lshlrev_b64 v[26:27], v26, v[18:19]
	v_lshrrev_b32_e32 v29, 3, v22
	v_sub_u32_e32 v27, 29, v30
	v_and_b32_e32 v26, 7, v26
	v_cmp_gt_u32_e64 s[12:13], 8, v22
	v_cndmask_b32_e64 v22, v29, v27, s[12:13]
	v_cndmask_b32_e64 v26, v28, v26, s[12:13]
	v_lshlrev_b32_e32 v18, 24, v18
	v_bfrev_b32_e32 v27, 60
	v_lshlrev_b32_e32 v26, 20, v26
	v_and_b32_e32 v18, 0x80000000, v18
	v_lshl_add_u32 v22, v22, 23, v27
	v_or3_b32 v26, v18, v22, v26
.LBB488_468:
	s_or_b64 exec, exec, s[26:27]
.LBB488_469:
	s_or_b64 exec, exec, s[24:25]
.LBB488_470:
	s_or_b64 exec, exec, s[14:15]
	v_mov_b32_e32 v18, v21
	v_cmp_ne_u16_sdwa s[12:13], v21, v19 src0_sel:BYTE_0 src1_sel:DWORD
	s_and_saveexec_b64 s[14:15], s[12:13]
	s_cbranch_execz .LBB488_476
; %bb.471:
	s_movk_i32 s11, 0x80
	v_cmp_ne_u16_sdwa s[12:13], v21, s11 src0_sel:BYTE_0 src1_sel:DWORD
	v_bfrev_b32_e32 v22, 1
	s_and_saveexec_b64 s[24:25], s[12:13]
	s_cbranch_execz .LBB488_475
; %bb.472:
	s_movk_i32 s11, 0x7f
	v_and_b32_e32 v27, 0x7f, v21
	v_cmp_ne_u32_e64 s[12:13], s11, v27
	v_mov_b32_e32 v22, 0x7f800001
	s_and_saveexec_b64 s[26:27], s[12:13]
	s_cbranch_execz .LBB488_474
; %bb.473:
	v_and_b32_e32 v22, 7, v21
	v_ffbh_u32_e32 v22, v22
	v_min_u32_e32 v22, 32, v22
	v_subrev_u32_e32 v29, 28, v22
	v_cmp_gt_u32_e64 s[12:13], 8, v27
	v_lshrrev_b32_e32 v28, 3, v27
	v_sub_u32_e32 v22, 29, v22
	v_cndmask_b32_e64 v27, 0, v29, s[12:13]
	v_cndmask_b32_e64 v22, v28, v22, s[12:13]
	v_lshlrev_b64 v[28:29], v27, v[18:19]
	v_lshlrev_b32_e32 v19, 20, v28
	v_lshlrev_b32_e32 v27, 24, v18
	v_bfrev_b32_e32 v28, 60
	v_and_b32_e32 v19, 0x700000, v19
	v_and_b32_e32 v27, 0x80000000, v27
	v_lshl_add_u32 v22, v22, 23, v28
	v_or3_b32 v22, v27, v22, v19
.LBB488_474:
	s_or_b64 exec, exec, s[26:27]
.LBB488_475:
	s_or_b64 exec, exec, s[24:25]
	v_mov_b32_e32 v19, v22
.LBB488_476:
	s_or_b64 exec, exec, s[14:15]
	v_lshrrev_b16_e32 v22, 8, v18
	v_cmp_ne_u16_e64 s[12:13], 0, v22
	v_mov_b32_e32 v27, 0
	v_mov_b32_e32 v28, 0
	s_and_saveexec_b64 s[14:15], s[12:13]
	s_cbranch_execz .LBB488_482
; %bb.477:
	s_movk_i32 s11, 0x80
	v_cmp_ne_u16_e64 s[12:13], s11, v22
	v_bfrev_b32_e32 v28, 1
	s_and_saveexec_b64 s[24:25], s[12:13]
	s_cbranch_execz .LBB488_481
; %bb.478:
	s_movk_i32 s11, 0x7f
	v_and_b32_e32 v29, 0x7f, v22
	v_cmp_ne_u32_e64 s[12:13], s11, v29
	v_mov_b32_e32 v28, 0x7f800001
	s_and_saveexec_b64 s[26:27], s[12:13]
	s_cbranch_execz .LBB488_480
; %bb.479:
	v_and_b32_e32 v28, 7, v22
	v_ffbh_u32_e32 v30, v28
	v_min_u32_e32 v33, 32, v30
	v_subrev_u32_e32 v30, 28, v33
	v_lshlrev_b64 v[30:31], v30, v[22:23]
	v_lshrrev_b32_e32 v32, 3, v29
	v_sub_u32_e32 v22, 29, v33
	v_and_b32_e32 v30, 7, v30
	v_cmp_gt_u32_e64 s[12:13], 8, v29
	v_cndmask_b32_e64 v22, v32, v22, s[12:13]
	v_cndmask_b32_e64 v28, v28, v30, s[12:13]
	v_lshlrev_b32_e32 v18, 16, v18
	v_bfrev_b32_e32 v29, 60
	v_lshlrev_b32_e32 v28, 20, v28
	v_and_b32_e32 v18, 0x80000000, v18
	v_lshl_add_u32 v22, v22, 23, v29
	v_or3_b32 v28, v18, v22, v28
.LBB488_480:
	s_or_b64 exec, exec, s[26:27]
.LBB488_481:
	s_or_b64 exec, exec, s[24:25]
.LBB488_482:
	s_or_b64 exec, exec, s[14:15]
	s_movk_i32 s11, 0xff
	v_and_b32_sdwa v22, v21, s11 dst_sel:DWORD dst_unused:UNUSED_PAD src0_sel:WORD_1 src1_sel:DWORD
	v_lshrrev_b32_e32 v18, 16, v21
	v_cmp_ne_u16_e64 s[12:13], 0, v22
	s_and_saveexec_b64 s[14:15], s[12:13]
	s_cbranch_execz .LBB488_488
; %bb.483:
	s_movk_i32 s11, 0x80
	v_cmp_ne_u16_e64 s[12:13], s11, v22
	v_bfrev_b32_e32 v27, 1
	s_and_saveexec_b64 s[24:25], s[12:13]
	s_cbranch_execz .LBB488_487
; %bb.484:
	v_bfe_u32 v22, v21, 16, 7
	s_movk_i32 s11, 0x7f
	v_cmp_ne_u32_e64 s[12:13], s11, v22
	v_mov_b32_e32 v27, 0x7f800001
	s_and_saveexec_b64 s[26:27], s[12:13]
	s_cbranch_execz .LBB488_486
; %bb.485:
	v_and_b32_e32 v27, 7, v18
	v_ffbh_u32_e32 v30, v27
	v_min_u32_e32 v32, 32, v30
	v_subrev_u32_e32 v30, 28, v32
	v_lshlrev_b64 v[30:31], v30, v[18:19]
	v_and_b32_e32 v30, 7, v30
	v_cmp_gt_u32_e64 s[12:13], 8, v22
	v_lshrrev_b32_e32 v29, 3, v22
	v_sub_u32_e32 v18, 29, v32
	v_cndmask_b32_e64 v22, v27, v30, s[12:13]
	v_mov_b32_e32 v27, 24
	v_cndmask_b32_e64 v18, v29, v18, s[12:13]
	v_lshlrev_b32_sdwa v27, v27, v21 dst_sel:DWORD dst_unused:UNUSED_PAD src0_sel:DWORD src1_sel:WORD_1
	v_bfrev_b32_e32 v29, 60
	v_lshlrev_b32_e32 v22, 20, v22
	v_and_b32_e32 v27, 0x80000000, v27
	v_lshl_add_u32 v18, v18, 23, v29
	v_or3_b32 v27, v27, v18, v22
.LBB488_486:
	s_or_b64 exec, exec, s[26:27]
.LBB488_487:
	s_or_b64 exec, exec, s[24:25]
.LBB488_488:
	s_or_b64 exec, exec, s[14:15]
	s_mov_b32 s12, -1
	s_mov_b32 s13, 0xffffff
	v_cmp_lt_u64_e64 s[12:13], s[12:13], v[20:21]
	v_mov_b32_e32 v22, 0
	v_mov_b32_e32 v20, 0
	s_and_saveexec_b64 s[14:15], s[12:13]
	s_cbranch_execz .LBB488_494
; %bb.489:
	v_lshrrev_b32_e32 v18, 24, v21
	s_movk_i32 s11, 0x80
	v_cmp_ne_u32_e64 s[12:13], s11, v18
	v_bfrev_b32_e32 v20, 1
	s_and_saveexec_b64 s[24:25], s[12:13]
	s_cbranch_execz .LBB488_493
; %bb.490:
	v_bfe_u32 v21, v21, 24, 7
	s_movk_i32 s11, 0x7f
	v_cmp_ne_u32_e64 s[12:13], s11, v21
	v_mov_b32_e32 v20, 0x7f800001
	s_and_saveexec_b64 s[26:27], s[12:13]
	s_cbranch_execz .LBB488_492
; %bb.491:
	v_and_b32_e32 v20, 7, v18
	v_ffbh_u32_e32 v30, v20
	v_min_u32_e32 v32, 32, v30
	v_subrev_u32_e32 v30, 28, v32
	v_lshlrev_b64 v[30:31], v30, v[18:19]
	v_lshrrev_b32_e32 v29, 3, v21
	v_sub_u32_e32 v31, 29, v32
	v_and_b32_e32 v30, 7, v30
	v_cmp_gt_u32_e64 s[12:13], 8, v21
	v_cndmask_b32_e64 v21, v29, v31, s[12:13]
	v_cndmask_b32_e64 v20, v20, v30, s[12:13]
	v_lshlrev_b32_e32 v18, 24, v18
	v_bfrev_b32_e32 v29, 60
	v_lshlrev_b32_e32 v20, 20, v20
	v_and_b32_e32 v18, 0x80000000, v18
	v_lshl_add_u32 v21, v21, 23, v29
	v_or3_b32 v20, v18, v21, v20
.LBB488_492:
	s_or_b64 exec, exec, s[26:27]
.LBB488_493:
	s_or_b64 exec, exec, s[24:25]
.LBB488_494:
	s_or_b64 exec, exec, s[14:15]
	v_cvt_pkrtz_f16_f32 v24, v24, v25
	v_cvt_pkrtz_f16_f32 v25, v23, v26
	;; [unrolled: 1-line block ×4, first 2 shown]
	v_mfma_f32_4x4x4f16 a[0:3], v[2:3], v[24:25], a[0:3] cbsz:4 abid:9
	v_cmp_ne_u16_sdwa s[12:13], v14, v22 src0_sel:BYTE_0 src1_sel:DWORD
	v_mfma_f32_4x4x4f16 a[0:3], v[4:5], v[18:19], a[0:3] cbsz:4 abid:9
	s_and_saveexec_b64 s[14:15], s[12:13]
	s_cbranch_execz .LBB488_500
; %bb.495:
	s_movk_i32 s11, 0x80
	v_cmp_ne_u16_sdwa s[12:13], v14, s11 src0_sel:BYTE_0 src1_sel:DWORD
	v_bfrev_b32_e32 v22, 1
	s_and_saveexec_b64 s[24:25], s[12:13]
	s_cbranch_execz .LBB488_499
; %bb.496:
	s_movk_i32 s11, 0x7f
	v_and_b32_e32 v18, 0x7f, v14
	v_cmp_ne_u32_e64 s[12:13], s11, v18
	v_mov_b32_e32 v22, 0x7f800001
	s_and_saveexec_b64 s[26:27], s[12:13]
	s_cbranch_execz .LBB488_498
; %bb.497:
	v_and_b32_e32 v19, 7, v14
	v_ffbh_u32_e32 v19, v19
	v_min_u32_e32 v19, 32, v19
	v_subrev_u32_e32 v21, 28, v19
	v_cmp_gt_u32_e64 s[12:13], 8, v18
	v_lshrrev_b32_e32 v20, 3, v18
	v_sub_u32_e32 v19, 29, v19
	v_cndmask_b32_e64 v18, 0, v21, s[12:13]
	v_cndmask_b32_e64 v20, v20, v19, s[12:13]
	v_lshlrev_b64 v[18:19], v18, v[14:15]
	v_lshlrev_b32_e32 v18, 20, v18
	v_lshlrev_b32_e32 v19, 24, v14
	v_bfrev_b32_e32 v21, 60
	v_and_b32_e32 v18, 0x700000, v18
	v_and_b32_e32 v19, 0x80000000, v19
	v_lshl_add_u32 v20, v20, 23, v21
	v_or3_b32 v22, v19, v20, v18
.LBB488_498:
	s_or_b64 exec, exec, s[26:27]
.LBB488_499:
	s_or_b64 exec, exec, s[24:25]
.LBB488_500:
	s_or_b64 exec, exec, s[14:15]
	v_lshrrev_b16_e32 v18, 8, v14
	v_cmp_ne_u16_e64 s[12:13], 0, v18
	v_mov_b32_e32 v21, 0
	v_mov_b32_e32 v23, 0
	s_and_saveexec_b64 s[14:15], s[12:13]
	s_cbranch_execz .LBB488_506
; %bb.501:
	s_movk_i32 s11, 0x80
	v_cmp_ne_u16_e64 s[12:13], s11, v18
	v_bfrev_b32_e32 v23, 1
	s_and_saveexec_b64 s[24:25], s[12:13]
	s_cbranch_execz .LBB488_505
; %bb.502:
	s_movk_i32 s11, 0x7f
	v_and_b32_e32 v19, 0x7f, v18
	v_cmp_ne_u32_e64 s[12:13], s11, v19
	v_mov_b32_e32 v23, 0x7f800001
	s_and_saveexec_b64 s[26:27], s[12:13]
	s_cbranch_execz .LBB488_504
; %bb.503:
	v_and_b32_e32 v20, 7, v18
	v_ffbh_u32_e32 v24, v20
	v_min_u32_e32 v26, 32, v24
	v_subrev_u32_e32 v24, 28, v26
	v_lshlrev_b64 v[24:25], v24, v[18:19]
	v_lshrrev_b32_e32 v23, 3, v19
	v_sub_u32_e32 v18, 29, v26
	v_and_b32_e32 v24, 7, v24
	v_cmp_gt_u32_e64 s[12:13], 8, v19
	v_cndmask_b32_e64 v18, v23, v18, s[12:13]
	v_cndmask_b32_e64 v19, v20, v24, s[12:13]
	v_lshlrev_b32_e32 v20, 16, v14
	v_bfrev_b32_e32 v23, 60
	v_lshlrev_b32_e32 v19, 20, v19
	v_and_b32_e32 v20, 0x80000000, v20
	v_lshl_add_u32 v18, v18, 23, v23
	v_or3_b32 v23, v20, v18, v19
.LBB488_504:
	s_or_b64 exec, exec, s[26:27]
.LBB488_505:
	s_or_b64 exec, exec, s[24:25]
.LBB488_506:
	s_or_b64 exec, exec, s[14:15]
	s_movk_i32 s11, 0xff
	v_and_b32_sdwa v19, v14, s11 dst_sel:DWORD dst_unused:UNUSED_PAD src0_sel:WORD_1 src1_sel:DWORD
	v_lshrrev_b32_e32 v18, 16, v14
	v_cmp_ne_u16_e64 s[12:13], 0, v19
	s_and_saveexec_b64 s[14:15], s[12:13]
	s_cbranch_execz .LBB488_512
; %bb.507:
	s_movk_i32 s11, 0x80
	v_cmp_ne_u16_e64 s[12:13], s11, v19
	v_bfrev_b32_e32 v21, 1
	s_and_saveexec_b64 s[24:25], s[12:13]
	s_cbranch_execz .LBB488_511
; %bb.508:
	v_bfe_u32 v19, v14, 16, 7
	s_movk_i32 s11, 0x7f
	v_cmp_ne_u32_e64 s[12:13], s11, v19
	v_mov_b32_e32 v21, 0x7f800001
	s_and_saveexec_b64 s[26:27], s[12:13]
	s_cbranch_execz .LBB488_510
; %bb.509:
	v_and_b32_e32 v24, 7, v18
	v_ffbh_u32_e32 v20, v24
	v_min_u32_e32 v26, 32, v20
	v_subrev_u32_e32 v20, 28, v26
	v_lshlrev_b64 v[20:21], v20, v[18:19]
	v_and_b32_e32 v20, 7, v20
	v_cmp_gt_u32_e64 s[12:13], 8, v19
	v_lshrrev_b32_e32 v25, 3, v19
	v_sub_u32_e32 v18, 29, v26
	v_cndmask_b32_e64 v19, v24, v20, s[12:13]
	v_mov_b32_e32 v20, 24
	v_cndmask_b32_e64 v18, v25, v18, s[12:13]
	v_lshlrev_b32_sdwa v20, v20, v14 dst_sel:DWORD dst_unused:UNUSED_PAD src0_sel:DWORD src1_sel:WORD_1
	v_bfrev_b32_e32 v21, 60
	v_lshlrev_b32_e32 v19, 20, v19
	v_and_b32_e32 v20, 0x80000000, v20
	v_lshl_add_u32 v18, v18, 23, v21
	v_or3_b32 v21, v20, v18, v19
.LBB488_510:
	s_or_b64 exec, exec, s[26:27]
.LBB488_511:
	s_or_b64 exec, exec, s[24:25]
.LBB488_512:
	s_or_b64 exec, exec, s[14:15]
	s_mov_b32 s11, 0xffffff
	v_cmp_lt_u32_e64 s[12:13], s11, v14
	v_mov_b32_e32 v19, 0
	v_mov_b32_e32 v24, 0
	s_and_saveexec_b64 s[14:15], s[12:13]
	s_cbranch_execz .LBB488_518
; %bb.513:
	v_lshrrev_b32_e32 v18, 24, v14
	s_movk_i32 s11, 0x80
	v_cmp_ne_u32_e64 s[12:13], s11, v18
	v_bfrev_b32_e32 v24, 1
	s_and_saveexec_b64 s[24:25], s[12:13]
	s_cbranch_execz .LBB488_517
; %bb.514:
	v_bfe_u32 v20, v14, 24, 7
	s_movk_i32 s11, 0x7f
	v_cmp_ne_u32_e64 s[12:13], s11, v20
	v_mov_b32_e32 v24, 0x7f800001
	s_and_saveexec_b64 s[26:27], s[12:13]
	s_cbranch_execz .LBB488_516
; %bb.515:
	v_and_b32_e32 v26, 7, v18
	v_ffbh_u32_e32 v24, v26
	v_min_u32_e32 v28, 32, v24
	v_subrev_u32_e32 v24, 28, v28
	v_lshlrev_b64 v[24:25], v24, v[18:19]
	v_lshrrev_b32_e32 v27, 3, v20
	v_sub_u32_e32 v25, 29, v28
	v_and_b32_e32 v24, 7, v24
	v_cmp_gt_u32_e64 s[12:13], 8, v20
	v_cndmask_b32_e64 v20, v27, v25, s[12:13]
	v_cndmask_b32_e64 v24, v26, v24, s[12:13]
	v_lshlrev_b32_e32 v18, 24, v18
	v_bfrev_b32_e32 v25, 60
	v_lshlrev_b32_e32 v24, 20, v24
	v_and_b32_e32 v18, 0x80000000, v18
	v_lshl_add_u32 v20, v20, 23, v25
	v_or3_b32 v24, v18, v20, v24
.LBB488_516:
	s_or_b64 exec, exec, s[26:27]
.LBB488_517:
	s_or_b64 exec, exec, s[24:25]
.LBB488_518:
	s_or_b64 exec, exec, s[14:15]
	v_mov_b32_e32 v18, v15
	v_cmp_ne_u16_sdwa s[12:13], v15, v19 src0_sel:BYTE_0 src1_sel:DWORD
	s_and_saveexec_b64 s[14:15], s[12:13]
	s_cbranch_execz .LBB488_524
; %bb.519:
	s_movk_i32 s11, 0x80
	v_cmp_ne_u16_sdwa s[12:13], v15, s11 src0_sel:BYTE_0 src1_sel:DWORD
	v_bfrev_b32_e32 v20, 1
	s_and_saveexec_b64 s[24:25], s[12:13]
	s_cbranch_execz .LBB488_523
; %bb.520:
	s_movk_i32 s11, 0x7f
	v_and_b32_e32 v25, 0x7f, v15
	v_cmp_ne_u32_e64 s[12:13], s11, v25
	v_mov_b32_e32 v20, 0x7f800001
	s_and_saveexec_b64 s[26:27], s[12:13]
	s_cbranch_execz .LBB488_522
; %bb.521:
	v_and_b32_e32 v20, 7, v15
	v_ffbh_u32_e32 v20, v20
	v_min_u32_e32 v20, 32, v20
	v_subrev_u32_e32 v27, 28, v20
	v_cmp_gt_u32_e64 s[12:13], 8, v25
	v_lshrrev_b32_e32 v26, 3, v25
	v_sub_u32_e32 v20, 29, v20
	v_cndmask_b32_e64 v25, 0, v27, s[12:13]
	v_cndmask_b32_e64 v20, v26, v20, s[12:13]
	v_lshlrev_b64 v[26:27], v25, v[18:19]
	v_lshlrev_b32_e32 v19, 20, v26
	v_lshlrev_b32_e32 v25, 24, v18
	v_bfrev_b32_e32 v26, 60
	v_and_b32_e32 v19, 0x700000, v19
	v_and_b32_e32 v25, 0x80000000, v25
	v_lshl_add_u32 v20, v20, 23, v26
	v_or3_b32 v20, v25, v20, v19
.LBB488_522:
	s_or_b64 exec, exec, s[26:27]
.LBB488_523:
	s_or_b64 exec, exec, s[24:25]
	v_mov_b32_e32 v19, v20
.LBB488_524:
	s_or_b64 exec, exec, s[14:15]
	v_lshrrev_b16_e32 v20, 8, v18
	v_cmp_ne_u16_e64 s[12:13], 0, v20
	v_mov_b32_e32 v25, 0
	v_mov_b32_e32 v26, 0
	s_and_saveexec_b64 s[14:15], s[12:13]
	s_cbranch_execz .LBB488_530
; %bb.525:
	s_movk_i32 s11, 0x80
	v_cmp_ne_u16_e64 s[12:13], s11, v20
	v_bfrev_b32_e32 v26, 1
	s_and_saveexec_b64 s[24:25], s[12:13]
	s_cbranch_execz .LBB488_529
; %bb.526:
	s_movk_i32 s11, 0x7f
	v_and_b32_e32 v27, 0x7f, v20
	v_cmp_ne_u32_e64 s[12:13], s11, v27
	v_mov_b32_e32 v26, 0x7f800001
	s_and_saveexec_b64 s[26:27], s[12:13]
	s_cbranch_execz .LBB488_528
; %bb.527:
	v_and_b32_e32 v26, 7, v20
	v_ffbh_u32_e32 v28, v26
	v_min_u32_e32 v31, 32, v28
	v_subrev_u32_e32 v28, 28, v31
	v_lshlrev_b64 v[28:29], v28, v[20:21]
	v_lshrrev_b32_e32 v30, 3, v27
	v_sub_u32_e32 v20, 29, v31
	v_and_b32_e32 v28, 7, v28
	v_cmp_gt_u32_e64 s[12:13], 8, v27
	v_cndmask_b32_e64 v20, v30, v20, s[12:13]
	v_cndmask_b32_e64 v26, v26, v28, s[12:13]
	v_lshlrev_b32_e32 v18, 16, v18
	v_bfrev_b32_e32 v27, 60
	v_lshlrev_b32_e32 v26, 20, v26
	v_and_b32_e32 v18, 0x80000000, v18
	v_lshl_add_u32 v20, v20, 23, v27
	v_or3_b32 v26, v18, v20, v26
.LBB488_528:
	s_or_b64 exec, exec, s[26:27]
.LBB488_529:
	s_or_b64 exec, exec, s[24:25]
.LBB488_530:
	s_or_b64 exec, exec, s[14:15]
	s_movk_i32 s11, 0xff
	v_and_b32_sdwa v20, v15, s11 dst_sel:DWORD dst_unused:UNUSED_PAD src0_sel:WORD_1 src1_sel:DWORD
	v_lshrrev_b32_e32 v18, 16, v15
	v_cmp_ne_u16_e64 s[12:13], 0, v20
	s_and_saveexec_b64 s[14:15], s[12:13]
	s_cbranch_execz .LBB488_536
; %bb.531:
	s_movk_i32 s11, 0x80
	v_cmp_ne_u16_e64 s[12:13], s11, v20
	v_bfrev_b32_e32 v25, 1
	s_and_saveexec_b64 s[24:25], s[12:13]
	s_cbranch_execz .LBB488_535
; %bb.532:
	v_bfe_u32 v20, v15, 16, 7
	s_movk_i32 s11, 0x7f
	v_cmp_ne_u32_e64 s[12:13], s11, v20
	v_mov_b32_e32 v25, 0x7f800001
	s_and_saveexec_b64 s[26:27], s[12:13]
	s_cbranch_execz .LBB488_534
; %bb.533:
	v_and_b32_e32 v25, 7, v18
	v_ffbh_u32_e32 v28, v25
	v_min_u32_e32 v30, 32, v28
	v_subrev_u32_e32 v28, 28, v30
	v_lshlrev_b64 v[28:29], v28, v[18:19]
	v_and_b32_e32 v28, 7, v28
	v_cmp_gt_u32_e64 s[12:13], 8, v20
	v_lshrrev_b32_e32 v27, 3, v20
	v_sub_u32_e32 v18, 29, v30
	v_cndmask_b32_e64 v20, v25, v28, s[12:13]
	v_mov_b32_e32 v25, 24
	v_cndmask_b32_e64 v18, v27, v18, s[12:13]
	v_lshlrev_b32_sdwa v25, v25, v15 dst_sel:DWORD dst_unused:UNUSED_PAD src0_sel:DWORD src1_sel:WORD_1
	v_bfrev_b32_e32 v27, 60
	v_lshlrev_b32_e32 v20, 20, v20
	v_and_b32_e32 v25, 0x80000000, v25
	v_lshl_add_u32 v18, v18, 23, v27
	v_or3_b32 v25, v25, v18, v20
.LBB488_534:
	s_or_b64 exec, exec, s[26:27]
.LBB488_535:
	s_or_b64 exec, exec, s[24:25]
.LBB488_536:
	s_or_b64 exec, exec, s[14:15]
	s_mov_b32 s12, -1
	s_mov_b32 s13, 0xffffff
	v_cmp_lt_u64_e64 s[12:13], s[12:13], v[14:15]
	v_mov_b32_e32 v20, 0
	v_mov_b32_e32 v18, 0
	s_and_saveexec_b64 s[14:15], s[12:13]
	s_cbranch_execz .LBB488_542
; %bb.537:
	v_lshrrev_b32_e32 v14, 24, v15
	s_movk_i32 s11, 0x80
	v_cmp_ne_u32_e64 s[12:13], s11, v14
	v_bfrev_b32_e32 v18, 1
	s_and_saveexec_b64 s[24:25], s[12:13]
	s_cbranch_execz .LBB488_541
; %bb.538:
	v_bfe_u32 v15, v15, 24, 7
	s_movk_i32 s11, 0x7f
	v_cmp_ne_u32_e64 s[12:13], s11, v15
	v_mov_b32_e32 v18, 0x7f800001
	s_and_saveexec_b64 s[26:27], s[12:13]
	s_cbranch_execz .LBB488_540
; %bb.539:
	v_and_b32_e32 v18, 7, v14
	v_ffbh_u32_e32 v28, v18
	v_min_u32_e32 v30, 32, v28
	v_subrev_u32_e32 v28, 28, v30
	v_lshlrev_b64 v[28:29], v28, v[14:15]
	v_lshrrev_b32_e32 v27, 3, v15
	v_sub_u32_e32 v29, 29, v30
	v_and_b32_e32 v28, 7, v28
	v_cmp_gt_u32_e64 s[12:13], 8, v15
	v_cndmask_b32_e64 v15, v27, v29, s[12:13]
	v_cndmask_b32_e64 v18, v18, v28, s[12:13]
	v_lshlrev_b32_e32 v14, 24, v14
	v_bfrev_b32_e32 v27, 60
	v_lshlrev_b32_e32 v18, 20, v18
	v_and_b32_e32 v14, 0x80000000, v14
	v_lshl_add_u32 v15, v15, 23, v27
	v_or3_b32 v18, v14, v15, v18
.LBB488_540:
	s_or_b64 exec, exec, s[26:27]
.LBB488_541:
	s_or_b64 exec, exec, s[24:25]
.LBB488_542:
	s_or_b64 exec, exec, s[14:15]
	v_cvt_pkrtz_f16_f32 v14, v22, v23
	v_cvt_pkrtz_f16_f32 v15, v21, v24
	;; [unrolled: 1-line block ×4, first 2 shown]
	v_mfma_f32_4x4x4f16 a[0:3], v[2:3], v[14:15], a[0:3] cbsz:4 abid:10
	v_cmp_ne_u16_sdwa s[12:13], v16, v20 src0_sel:BYTE_0 src1_sel:DWORD
	v_mfma_f32_4x4x4f16 a[0:3], v[4:5], v[22:23], a[0:3] cbsz:4 abid:10
	s_and_saveexec_b64 s[14:15], s[12:13]
	s_cbranch_execz .LBB488_548
; %bb.543:
	s_movk_i32 s11, 0x80
	v_cmp_ne_u16_sdwa s[12:13], v16, s11 src0_sel:BYTE_0 src1_sel:DWORD
	v_bfrev_b32_e32 v20, 1
	s_and_saveexec_b64 s[24:25], s[12:13]
	s_cbranch_execz .LBB488_547
; %bb.544:
	s_movk_i32 s11, 0x7f
	v_and_b32_e32 v14, 0x7f, v16
	v_cmp_ne_u32_e64 s[12:13], s11, v14
	v_mov_b32_e32 v20, 0x7f800001
	s_and_saveexec_b64 s[26:27], s[12:13]
	s_cbranch_execz .LBB488_546
; %bb.545:
	v_and_b32_e32 v15, 7, v16
	v_ffbh_u32_e32 v15, v15
	v_min_u32_e32 v15, 32, v15
	v_subrev_u32_e32 v19, 28, v15
	v_cmp_gt_u32_e64 s[12:13], 8, v14
	v_lshrrev_b32_e32 v18, 3, v14
	v_sub_u32_e32 v15, 29, v15
	v_cndmask_b32_e64 v14, 0, v19, s[12:13]
	v_cndmask_b32_e64 v18, v18, v15, s[12:13]
	v_lshlrev_b64 v[14:15], v14, v[16:17]
	v_lshlrev_b32_e32 v14, 20, v14
	v_lshlrev_b32_e32 v15, 24, v16
	v_bfrev_b32_e32 v19, 60
	v_and_b32_e32 v14, 0x700000, v14
	v_and_b32_e32 v15, 0x80000000, v15
	v_lshl_add_u32 v18, v18, 23, v19
	v_or3_b32 v20, v15, v18, v14
.LBB488_546:
	s_or_b64 exec, exec, s[26:27]
.LBB488_547:
	s_or_b64 exec, exec, s[24:25]
.LBB488_548:
	s_or_b64 exec, exec, s[14:15]
	v_lshrrev_b16_e32 v14, 8, v16
	v_cmp_ne_u16_e64 s[12:13], 0, v14
	v_mov_b32_e32 v19, 0
	v_mov_b32_e32 v21, 0
	s_and_saveexec_b64 s[14:15], s[12:13]
	s_cbranch_execz .LBB488_554
; %bb.549:
	s_movk_i32 s11, 0x80
	v_cmp_ne_u16_e64 s[12:13], s11, v14
	v_bfrev_b32_e32 v21, 1
	s_and_saveexec_b64 s[24:25], s[12:13]
	s_cbranch_execz .LBB488_553
; %bb.550:
	s_movk_i32 s11, 0x7f
	v_and_b32_e32 v15, 0x7f, v14
	v_cmp_ne_u32_e64 s[12:13], s11, v15
	v_mov_b32_e32 v21, 0x7f800001
	s_and_saveexec_b64 s[26:27], s[12:13]
	s_cbranch_execz .LBB488_552
; %bb.551:
	v_and_b32_e32 v18, 7, v14
	v_ffbh_u32_e32 v22, v18
	v_min_u32_e32 v24, 32, v22
	v_subrev_u32_e32 v22, 28, v24
	v_lshlrev_b64 v[22:23], v22, v[14:15]
	v_lshrrev_b32_e32 v21, 3, v15
	v_sub_u32_e32 v14, 29, v24
	v_and_b32_e32 v22, 7, v22
	v_cmp_gt_u32_e64 s[12:13], 8, v15
	v_cndmask_b32_e64 v14, v21, v14, s[12:13]
	v_cndmask_b32_e64 v15, v18, v22, s[12:13]
	v_lshlrev_b32_e32 v18, 16, v16
	v_bfrev_b32_e32 v21, 60
	v_lshlrev_b32_e32 v15, 20, v15
	v_and_b32_e32 v18, 0x80000000, v18
	v_lshl_add_u32 v14, v14, 23, v21
	v_or3_b32 v21, v18, v14, v15
.LBB488_552:
	s_or_b64 exec, exec, s[26:27]
.LBB488_553:
	s_or_b64 exec, exec, s[24:25]
.LBB488_554:
	s_or_b64 exec, exec, s[14:15]
	s_movk_i32 s11, 0xff
	v_and_b32_sdwa v15, v16, s11 dst_sel:DWORD dst_unused:UNUSED_PAD src0_sel:WORD_1 src1_sel:DWORD
	v_lshrrev_b32_e32 v14, 16, v16
	v_cmp_ne_u16_e64 s[12:13], 0, v15
	s_and_saveexec_b64 s[14:15], s[12:13]
	s_cbranch_execz .LBB488_560
; %bb.555:
	s_movk_i32 s11, 0x80
	v_cmp_ne_u16_e64 s[12:13], s11, v15
	v_bfrev_b32_e32 v19, 1
	s_and_saveexec_b64 s[24:25], s[12:13]
	s_cbranch_execz .LBB488_559
; %bb.556:
	v_bfe_u32 v15, v16, 16, 7
	s_movk_i32 s11, 0x7f
	v_cmp_ne_u32_e64 s[12:13], s11, v15
	v_mov_b32_e32 v19, 0x7f800001
	s_and_saveexec_b64 s[26:27], s[12:13]
	s_cbranch_execz .LBB488_558
; %bb.557:
	v_and_b32_e32 v22, 7, v14
	v_ffbh_u32_e32 v18, v22
	v_min_u32_e32 v24, 32, v18
	v_subrev_u32_e32 v18, 28, v24
	v_lshlrev_b64 v[18:19], v18, v[14:15]
	v_and_b32_e32 v18, 7, v18
	v_cmp_gt_u32_e64 s[12:13], 8, v15
	v_lshrrev_b32_e32 v23, 3, v15
	v_sub_u32_e32 v14, 29, v24
	v_cndmask_b32_e64 v15, v22, v18, s[12:13]
	v_mov_b32_e32 v18, 24
	v_cndmask_b32_e64 v14, v23, v14, s[12:13]
	v_lshlrev_b32_sdwa v18, v18, v16 dst_sel:DWORD dst_unused:UNUSED_PAD src0_sel:DWORD src1_sel:WORD_1
	v_bfrev_b32_e32 v19, 60
	v_lshlrev_b32_e32 v15, 20, v15
	v_and_b32_e32 v18, 0x80000000, v18
	v_lshl_add_u32 v14, v14, 23, v19
	v_or3_b32 v19, v18, v14, v15
.LBB488_558:
	s_or_b64 exec, exec, s[26:27]
.LBB488_559:
	s_or_b64 exec, exec, s[24:25]
.LBB488_560:
	s_or_b64 exec, exec, s[14:15]
	s_mov_b32 s11, 0xffffff
	v_cmp_lt_u32_e64 s[12:13], s11, v16
	v_mov_b32_e32 v15, 0
	v_mov_b32_e32 v22, 0
	s_and_saveexec_b64 s[14:15], s[12:13]
	s_cbranch_execz .LBB488_566
; %bb.561:
	v_lshrrev_b32_e32 v14, 24, v16
	s_movk_i32 s11, 0x80
	v_cmp_ne_u32_e64 s[12:13], s11, v14
	v_bfrev_b32_e32 v22, 1
	s_and_saveexec_b64 s[24:25], s[12:13]
	s_cbranch_execz .LBB488_565
; %bb.562:
	v_bfe_u32 v18, v16, 24, 7
	s_movk_i32 s11, 0x7f
	v_cmp_ne_u32_e64 s[12:13], s11, v18
	v_mov_b32_e32 v22, 0x7f800001
	s_and_saveexec_b64 s[26:27], s[12:13]
	s_cbranch_execz .LBB488_564
; %bb.563:
	v_and_b32_e32 v24, 7, v14
	v_ffbh_u32_e32 v22, v24
	v_min_u32_e32 v26, 32, v22
	v_subrev_u32_e32 v22, 28, v26
	v_lshlrev_b64 v[22:23], v22, v[14:15]
	v_lshrrev_b32_e32 v25, 3, v18
	v_sub_u32_e32 v23, 29, v26
	v_and_b32_e32 v22, 7, v22
	v_cmp_gt_u32_e64 s[12:13], 8, v18
	v_cndmask_b32_e64 v18, v25, v23, s[12:13]
	v_cndmask_b32_e64 v22, v24, v22, s[12:13]
	v_lshlrev_b32_e32 v14, 24, v14
	v_bfrev_b32_e32 v23, 60
	v_lshlrev_b32_e32 v22, 20, v22
	v_and_b32_e32 v14, 0x80000000, v14
	v_lshl_add_u32 v18, v18, 23, v23
	v_or3_b32 v22, v14, v18, v22
.LBB488_564:
	s_or_b64 exec, exec, s[26:27]
.LBB488_565:
	s_or_b64 exec, exec, s[24:25]
.LBB488_566:
	s_or_b64 exec, exec, s[14:15]
	v_mov_b32_e32 v14, v17
	v_cmp_ne_u16_sdwa s[12:13], v17, v15 src0_sel:BYTE_0 src1_sel:DWORD
	s_and_saveexec_b64 s[14:15], s[12:13]
	s_cbranch_execz .LBB488_572
; %bb.567:
	s_movk_i32 s11, 0x80
	v_cmp_ne_u16_sdwa s[12:13], v17, s11 src0_sel:BYTE_0 src1_sel:DWORD
	v_bfrev_b32_e32 v18, 1
	s_and_saveexec_b64 s[24:25], s[12:13]
	s_cbranch_execz .LBB488_571
; %bb.568:
	s_movk_i32 s11, 0x7f
	v_and_b32_e32 v23, 0x7f, v17
	v_cmp_ne_u32_e64 s[12:13], s11, v23
	v_mov_b32_e32 v18, 0x7f800001
	s_and_saveexec_b64 s[26:27], s[12:13]
	s_cbranch_execz .LBB488_570
; %bb.569:
	v_and_b32_e32 v18, 7, v17
	v_ffbh_u32_e32 v18, v18
	v_min_u32_e32 v18, 32, v18
	v_subrev_u32_e32 v25, 28, v18
	v_cmp_gt_u32_e64 s[12:13], 8, v23
	v_lshrrev_b32_e32 v24, 3, v23
	v_sub_u32_e32 v18, 29, v18
	v_cndmask_b32_e64 v23, 0, v25, s[12:13]
	v_cndmask_b32_e64 v18, v24, v18, s[12:13]
	v_lshlrev_b64 v[24:25], v23, v[14:15]
	v_lshlrev_b32_e32 v15, 20, v24
	v_lshlrev_b32_e32 v23, 24, v14
	v_bfrev_b32_e32 v24, 60
	v_and_b32_e32 v15, 0x700000, v15
	v_and_b32_e32 v23, 0x80000000, v23
	v_lshl_add_u32 v18, v18, 23, v24
	v_or3_b32 v18, v23, v18, v15
.LBB488_570:
	s_or_b64 exec, exec, s[26:27]
.LBB488_571:
	s_or_b64 exec, exec, s[24:25]
	v_mov_b32_e32 v15, v18
.LBB488_572:
	s_or_b64 exec, exec, s[14:15]
	v_lshrrev_b16_e32 v18, 8, v14
	v_cmp_ne_u16_e64 s[12:13], 0, v18
	v_mov_b32_e32 v23, 0
	v_mov_b32_e32 v24, 0
	s_and_saveexec_b64 s[14:15], s[12:13]
	s_cbranch_execz .LBB488_578
; %bb.573:
	s_movk_i32 s11, 0x80
	v_cmp_ne_u16_e64 s[12:13], s11, v18
	v_bfrev_b32_e32 v24, 1
	s_and_saveexec_b64 s[24:25], s[12:13]
	s_cbranch_execz .LBB488_577
; %bb.574:
	s_movk_i32 s11, 0x7f
	v_and_b32_e32 v25, 0x7f, v18
	v_cmp_ne_u32_e64 s[12:13], s11, v25
	v_mov_b32_e32 v24, 0x7f800001
	s_and_saveexec_b64 s[26:27], s[12:13]
	s_cbranch_execz .LBB488_576
; %bb.575:
	v_and_b32_e32 v24, 7, v18
	v_ffbh_u32_e32 v26, v24
	v_min_u32_e32 v29, 32, v26
	v_subrev_u32_e32 v26, 28, v29
	v_lshlrev_b64 v[26:27], v26, v[18:19]
	v_lshrrev_b32_e32 v28, 3, v25
	v_sub_u32_e32 v18, 29, v29
	v_and_b32_e32 v26, 7, v26
	v_cmp_gt_u32_e64 s[12:13], 8, v25
	v_cndmask_b32_e64 v18, v28, v18, s[12:13]
	v_cndmask_b32_e64 v24, v24, v26, s[12:13]
	v_lshlrev_b32_e32 v14, 16, v14
	v_bfrev_b32_e32 v25, 60
	v_lshlrev_b32_e32 v24, 20, v24
	v_and_b32_e32 v14, 0x80000000, v14
	v_lshl_add_u32 v18, v18, 23, v25
	v_or3_b32 v24, v14, v18, v24
.LBB488_576:
	s_or_b64 exec, exec, s[26:27]
.LBB488_577:
	s_or_b64 exec, exec, s[24:25]
.LBB488_578:
	s_or_b64 exec, exec, s[14:15]
	s_movk_i32 s11, 0xff
	v_and_b32_sdwa v18, v17, s11 dst_sel:DWORD dst_unused:UNUSED_PAD src0_sel:WORD_1 src1_sel:DWORD
	v_lshrrev_b32_e32 v14, 16, v17
	v_cmp_ne_u16_e64 s[12:13], 0, v18
	s_and_saveexec_b64 s[14:15], s[12:13]
	s_cbranch_execz .LBB488_584
; %bb.579:
	s_movk_i32 s11, 0x80
	v_cmp_ne_u16_e64 s[12:13], s11, v18
	v_bfrev_b32_e32 v23, 1
	s_and_saveexec_b64 s[24:25], s[12:13]
	s_cbranch_execz .LBB488_583
; %bb.580:
	v_bfe_u32 v18, v17, 16, 7
	s_movk_i32 s11, 0x7f
	v_cmp_ne_u32_e64 s[12:13], s11, v18
	v_mov_b32_e32 v23, 0x7f800001
	s_and_saveexec_b64 s[26:27], s[12:13]
	s_cbranch_execz .LBB488_582
; %bb.581:
	v_and_b32_e32 v23, 7, v14
	v_ffbh_u32_e32 v26, v23
	v_min_u32_e32 v28, 32, v26
	v_subrev_u32_e32 v26, 28, v28
	v_lshlrev_b64 v[26:27], v26, v[14:15]
	v_and_b32_e32 v26, 7, v26
	v_cmp_gt_u32_e64 s[12:13], 8, v18
	v_lshrrev_b32_e32 v25, 3, v18
	v_sub_u32_e32 v14, 29, v28
	v_cndmask_b32_e64 v18, v23, v26, s[12:13]
	v_mov_b32_e32 v23, 24
	v_cndmask_b32_e64 v14, v25, v14, s[12:13]
	v_lshlrev_b32_sdwa v23, v23, v17 dst_sel:DWORD dst_unused:UNUSED_PAD src0_sel:DWORD src1_sel:WORD_1
	v_bfrev_b32_e32 v25, 60
	v_lshlrev_b32_e32 v18, 20, v18
	v_and_b32_e32 v23, 0x80000000, v23
	v_lshl_add_u32 v14, v14, 23, v25
	v_or3_b32 v23, v23, v14, v18
.LBB488_582:
	s_or_b64 exec, exec, s[26:27]
.LBB488_583:
	s_or_b64 exec, exec, s[24:25]
.LBB488_584:
	s_or_b64 exec, exec, s[14:15]
	s_mov_b32 s12, -1
	s_mov_b32 s13, 0xffffff
	v_cmp_lt_u64_e64 s[12:13], s[12:13], v[16:17]
	v_mov_b32_e32 v18, 0
	v_mov_b32_e32 v16, 0
	s_and_saveexec_b64 s[14:15], s[12:13]
	s_cbranch_execz .LBB488_590
; %bb.585:
	v_lshrrev_b32_e32 v14, 24, v17
	s_movk_i32 s11, 0x80
	v_cmp_ne_u32_e64 s[12:13], s11, v14
	v_bfrev_b32_e32 v16, 1
	s_and_saveexec_b64 s[24:25], s[12:13]
	s_cbranch_execz .LBB488_589
; %bb.586:
	v_bfe_u32 v17, v17, 24, 7
	s_movk_i32 s11, 0x7f
	v_cmp_ne_u32_e64 s[12:13], s11, v17
	v_mov_b32_e32 v16, 0x7f800001
	s_and_saveexec_b64 s[26:27], s[12:13]
	s_cbranch_execz .LBB488_588
; %bb.587:
	v_and_b32_e32 v16, 7, v14
	v_ffbh_u32_e32 v26, v16
	v_min_u32_e32 v28, 32, v26
	v_subrev_u32_e32 v26, 28, v28
	v_lshlrev_b64 v[26:27], v26, v[14:15]
	v_lshrrev_b32_e32 v25, 3, v17
	v_sub_u32_e32 v27, 29, v28
	v_and_b32_e32 v26, 7, v26
	v_cmp_gt_u32_e64 s[12:13], 8, v17
	v_cndmask_b32_e64 v17, v25, v27, s[12:13]
	v_cndmask_b32_e64 v16, v16, v26, s[12:13]
	v_lshlrev_b32_e32 v14, 24, v14
	v_bfrev_b32_e32 v25, 60
	v_lshlrev_b32_e32 v16, 20, v16
	v_and_b32_e32 v14, 0x80000000, v14
	v_lshl_add_u32 v17, v17, 23, v25
	v_or3_b32 v16, v14, v17, v16
.LBB488_588:
	s_or_b64 exec, exec, s[26:27]
.LBB488_589:
	s_or_b64 exec, exec, s[24:25]
.LBB488_590:
	s_or_b64 exec, exec, s[14:15]
	v_cvt_pkrtz_f16_f32 v20, v20, v21
	v_cvt_pkrtz_f16_f32 v21, v19, v22
	;; [unrolled: 1-line block ×4, first 2 shown]
	v_mfma_f32_4x4x4f16 a[0:3], v[2:3], v[20:21], a[0:3] cbsz:4 abid:11
	s_waitcnt vmcnt(17)
	v_cmp_ne_u16_sdwa s[12:13], v10, v18 src0_sel:BYTE_0 src1_sel:DWORD
	v_mfma_f32_4x4x4f16 a[0:3], v[4:5], v[14:15], a[0:3] cbsz:4 abid:11
	s_and_saveexec_b64 s[14:15], s[12:13]
	s_cbranch_execz .LBB488_596
; %bb.591:
	s_movk_i32 s11, 0x80
	v_cmp_ne_u16_sdwa s[12:13], v10, s11 src0_sel:BYTE_0 src1_sel:DWORD
	v_bfrev_b32_e32 v18, 1
	s_and_saveexec_b64 s[24:25], s[12:13]
	s_cbranch_execz .LBB488_595
; %bb.592:
	s_movk_i32 s11, 0x7f
	v_and_b32_e32 v14, 0x7f, v10
	v_cmp_ne_u32_e64 s[12:13], s11, v14
	v_mov_b32_e32 v18, 0x7f800001
	s_and_saveexec_b64 s[26:27], s[12:13]
	s_cbranch_execz .LBB488_594
; %bb.593:
	v_and_b32_e32 v15, 7, v10
	v_ffbh_u32_e32 v15, v15
	v_min_u32_e32 v15, 32, v15
	v_subrev_u32_e32 v17, 28, v15
	v_cmp_gt_u32_e64 s[12:13], 8, v14
	v_lshrrev_b32_e32 v16, 3, v14
	v_sub_u32_e32 v15, 29, v15
	v_cndmask_b32_e64 v14, 0, v17, s[12:13]
	v_cndmask_b32_e64 v16, v16, v15, s[12:13]
	v_lshlrev_b64 v[14:15], v14, v[10:11]
	v_lshlrev_b32_e32 v14, 20, v14
	v_lshlrev_b32_e32 v15, 24, v10
	v_bfrev_b32_e32 v17, 60
	v_and_b32_e32 v14, 0x700000, v14
	v_and_b32_e32 v15, 0x80000000, v15
	v_lshl_add_u32 v16, v16, 23, v17
	v_or3_b32 v18, v15, v16, v14
.LBB488_594:
	s_or_b64 exec, exec, s[26:27]
.LBB488_595:
	s_or_b64 exec, exec, s[24:25]
.LBB488_596:
	s_or_b64 exec, exec, s[14:15]
	v_lshrrev_b16_e32 v14, 8, v10
	v_cmp_ne_u16_e64 s[12:13], 0, v14
	v_mov_b32_e32 v17, 0
	v_mov_b32_e32 v19, 0
	s_and_saveexec_b64 s[14:15], s[12:13]
	s_cbranch_execz .LBB488_602
; %bb.597:
	s_movk_i32 s11, 0x80
	v_cmp_ne_u16_e64 s[12:13], s11, v14
	v_bfrev_b32_e32 v19, 1
	s_and_saveexec_b64 s[24:25], s[12:13]
	s_cbranch_execz .LBB488_601
; %bb.598:
	s_movk_i32 s11, 0x7f
	v_and_b32_e32 v15, 0x7f, v14
	v_cmp_ne_u32_e64 s[12:13], s11, v15
	v_mov_b32_e32 v19, 0x7f800001
	s_and_saveexec_b64 s[26:27], s[12:13]
	s_cbranch_execz .LBB488_600
; %bb.599:
	v_and_b32_e32 v16, 7, v14
	v_ffbh_u32_e32 v20, v16
	v_min_u32_e32 v22, 32, v20
	v_subrev_u32_e32 v20, 28, v22
	v_lshlrev_b64 v[20:21], v20, v[14:15]
	v_lshrrev_b32_e32 v19, 3, v15
	v_sub_u32_e32 v14, 29, v22
	v_and_b32_e32 v20, 7, v20
	v_cmp_gt_u32_e64 s[12:13], 8, v15
	v_cndmask_b32_e64 v14, v19, v14, s[12:13]
	v_cndmask_b32_e64 v15, v16, v20, s[12:13]
	v_lshlrev_b32_e32 v16, 16, v10
	v_bfrev_b32_e32 v19, 60
	v_lshlrev_b32_e32 v15, 20, v15
	v_and_b32_e32 v16, 0x80000000, v16
	v_lshl_add_u32 v14, v14, 23, v19
	v_or3_b32 v19, v16, v14, v15
.LBB488_600:
	s_or_b64 exec, exec, s[26:27]
.LBB488_601:
	s_or_b64 exec, exec, s[24:25]
.LBB488_602:
	s_or_b64 exec, exec, s[14:15]
	s_movk_i32 s11, 0xff
	v_and_b32_sdwa v15, v10, s11 dst_sel:DWORD dst_unused:UNUSED_PAD src0_sel:WORD_1 src1_sel:DWORD
	v_lshrrev_b32_e32 v14, 16, v10
	v_cmp_ne_u16_e64 s[12:13], 0, v15
	s_and_saveexec_b64 s[14:15], s[12:13]
	s_cbranch_execz .LBB488_608
; %bb.603:
	s_movk_i32 s11, 0x80
	v_cmp_ne_u16_e64 s[12:13], s11, v15
	v_bfrev_b32_e32 v17, 1
	s_and_saveexec_b64 s[24:25], s[12:13]
	s_cbranch_execz .LBB488_607
; %bb.604:
	v_bfe_u32 v15, v10, 16, 7
	s_movk_i32 s11, 0x7f
	v_cmp_ne_u32_e64 s[12:13], s11, v15
	v_mov_b32_e32 v17, 0x7f800001
	s_and_saveexec_b64 s[26:27], s[12:13]
	s_cbranch_execz .LBB488_606
; %bb.605:
	v_and_b32_e32 v20, 7, v14
	v_ffbh_u32_e32 v16, v20
	v_min_u32_e32 v22, 32, v16
	v_subrev_u32_e32 v16, 28, v22
	v_lshlrev_b64 v[16:17], v16, v[14:15]
	v_and_b32_e32 v16, 7, v16
	v_cmp_gt_u32_e64 s[12:13], 8, v15
	v_lshrrev_b32_e32 v21, 3, v15
	v_sub_u32_e32 v14, 29, v22
	v_cndmask_b32_e64 v15, v20, v16, s[12:13]
	v_mov_b32_e32 v16, 24
	v_cndmask_b32_e64 v14, v21, v14, s[12:13]
	v_lshlrev_b32_sdwa v16, v16, v10 dst_sel:DWORD dst_unused:UNUSED_PAD src0_sel:DWORD src1_sel:WORD_1
	v_bfrev_b32_e32 v17, 60
	v_lshlrev_b32_e32 v15, 20, v15
	v_and_b32_e32 v16, 0x80000000, v16
	v_lshl_add_u32 v14, v14, 23, v17
	v_or3_b32 v17, v16, v14, v15
.LBB488_606:
	s_or_b64 exec, exec, s[26:27]
.LBB488_607:
	s_or_b64 exec, exec, s[24:25]
.LBB488_608:
	s_or_b64 exec, exec, s[14:15]
	s_mov_b32 s11, 0xffffff
	v_cmp_lt_u32_e64 s[12:13], s11, v10
	v_mov_b32_e32 v15, 0
	v_mov_b32_e32 v20, 0
	s_and_saveexec_b64 s[14:15], s[12:13]
	s_cbranch_execz .LBB488_614
; %bb.609:
	v_lshrrev_b32_e32 v14, 24, v10
	s_movk_i32 s11, 0x80
	v_cmp_ne_u32_e64 s[12:13], s11, v14
	v_bfrev_b32_e32 v20, 1
	s_and_saveexec_b64 s[24:25], s[12:13]
	s_cbranch_execz .LBB488_613
; %bb.610:
	v_bfe_u32 v16, v10, 24, 7
	s_movk_i32 s11, 0x7f
	v_cmp_ne_u32_e64 s[12:13], s11, v16
	v_mov_b32_e32 v20, 0x7f800001
	s_and_saveexec_b64 s[26:27], s[12:13]
	s_cbranch_execz .LBB488_612
; %bb.611:
	v_and_b32_e32 v22, 7, v14
	v_ffbh_u32_e32 v20, v22
	v_min_u32_e32 v24, 32, v20
	v_subrev_u32_e32 v20, 28, v24
	v_lshlrev_b64 v[20:21], v20, v[14:15]
	v_lshrrev_b32_e32 v23, 3, v16
	v_sub_u32_e32 v21, 29, v24
	v_and_b32_e32 v20, 7, v20
	v_cmp_gt_u32_e64 s[12:13], 8, v16
	v_cndmask_b32_e64 v16, v23, v21, s[12:13]
	v_cndmask_b32_e64 v20, v22, v20, s[12:13]
	v_lshlrev_b32_e32 v14, 24, v14
	v_bfrev_b32_e32 v21, 60
	v_lshlrev_b32_e32 v20, 20, v20
	v_and_b32_e32 v14, 0x80000000, v14
	v_lshl_add_u32 v16, v16, 23, v21
	v_or3_b32 v20, v14, v16, v20
.LBB488_612:
	s_or_b64 exec, exec, s[26:27]
.LBB488_613:
	s_or_b64 exec, exec, s[24:25]
.LBB488_614:
	s_or_b64 exec, exec, s[14:15]
	v_mov_b32_e32 v14, v11
	v_cmp_ne_u16_sdwa s[12:13], v11, v15 src0_sel:BYTE_0 src1_sel:DWORD
	s_and_saveexec_b64 s[14:15], s[12:13]
	s_cbranch_execz .LBB488_620
; %bb.615:
	s_movk_i32 s11, 0x80
	v_cmp_ne_u16_sdwa s[12:13], v11, s11 src0_sel:BYTE_0 src1_sel:DWORD
	v_bfrev_b32_e32 v16, 1
	s_and_saveexec_b64 s[24:25], s[12:13]
	s_cbranch_execz .LBB488_619
; %bb.616:
	s_movk_i32 s11, 0x7f
	v_and_b32_e32 v21, 0x7f, v11
	v_cmp_ne_u32_e64 s[12:13], s11, v21
	v_mov_b32_e32 v16, 0x7f800001
	s_and_saveexec_b64 s[26:27], s[12:13]
	s_cbranch_execz .LBB488_618
; %bb.617:
	v_and_b32_e32 v16, 7, v11
	v_ffbh_u32_e32 v16, v16
	v_min_u32_e32 v16, 32, v16
	v_subrev_u32_e32 v23, 28, v16
	v_cmp_gt_u32_e64 s[12:13], 8, v21
	v_lshrrev_b32_e32 v22, 3, v21
	v_sub_u32_e32 v16, 29, v16
	v_cndmask_b32_e64 v21, 0, v23, s[12:13]
	v_cndmask_b32_e64 v16, v22, v16, s[12:13]
	v_lshlrev_b64 v[22:23], v21, v[14:15]
	v_lshlrev_b32_e32 v15, 20, v22
	v_lshlrev_b32_e32 v21, 24, v14
	v_bfrev_b32_e32 v22, 60
	v_and_b32_e32 v15, 0x700000, v15
	v_and_b32_e32 v21, 0x80000000, v21
	v_lshl_add_u32 v16, v16, 23, v22
	v_or3_b32 v16, v21, v16, v15
.LBB488_618:
	s_or_b64 exec, exec, s[26:27]
.LBB488_619:
	s_or_b64 exec, exec, s[24:25]
	v_mov_b32_e32 v15, v16
.LBB488_620:
	s_or_b64 exec, exec, s[14:15]
	v_lshrrev_b16_e32 v16, 8, v14
	v_cmp_ne_u16_e64 s[12:13], 0, v16
	v_mov_b32_e32 v21, 0
	v_mov_b32_e32 v22, 0
	s_and_saveexec_b64 s[14:15], s[12:13]
	s_cbranch_execz .LBB488_626
; %bb.621:
	s_movk_i32 s11, 0x80
	v_cmp_ne_u16_e64 s[12:13], s11, v16
	v_bfrev_b32_e32 v22, 1
	s_and_saveexec_b64 s[24:25], s[12:13]
	s_cbranch_execz .LBB488_625
; %bb.622:
	s_movk_i32 s11, 0x7f
	v_and_b32_e32 v23, 0x7f, v16
	v_cmp_ne_u32_e64 s[12:13], s11, v23
	v_mov_b32_e32 v22, 0x7f800001
	s_and_saveexec_b64 s[26:27], s[12:13]
	s_cbranch_execz .LBB488_624
; %bb.623:
	v_and_b32_e32 v22, 7, v16
	v_ffbh_u32_e32 v24, v22
	v_min_u32_e32 v27, 32, v24
	v_subrev_u32_e32 v24, 28, v27
	v_lshlrev_b64 v[24:25], v24, v[16:17]
	v_lshrrev_b32_e32 v26, 3, v23
	v_sub_u32_e32 v16, 29, v27
	v_and_b32_e32 v24, 7, v24
	v_cmp_gt_u32_e64 s[12:13], 8, v23
	v_cndmask_b32_e64 v16, v26, v16, s[12:13]
	v_cndmask_b32_e64 v22, v22, v24, s[12:13]
	v_lshlrev_b32_e32 v14, 16, v14
	v_bfrev_b32_e32 v23, 60
	v_lshlrev_b32_e32 v22, 20, v22
	v_and_b32_e32 v14, 0x80000000, v14
	v_lshl_add_u32 v16, v16, 23, v23
	v_or3_b32 v22, v14, v16, v22
.LBB488_624:
	s_or_b64 exec, exec, s[26:27]
.LBB488_625:
	s_or_b64 exec, exec, s[24:25]
.LBB488_626:
	s_or_b64 exec, exec, s[14:15]
	s_movk_i32 s11, 0xff
	v_and_b32_sdwa v16, v11, s11 dst_sel:DWORD dst_unused:UNUSED_PAD src0_sel:WORD_1 src1_sel:DWORD
	v_lshrrev_b32_e32 v14, 16, v11
	v_cmp_ne_u16_e64 s[12:13], 0, v16
	s_and_saveexec_b64 s[14:15], s[12:13]
	s_cbranch_execz .LBB488_632
; %bb.627:
	s_movk_i32 s11, 0x80
	v_cmp_ne_u16_e64 s[12:13], s11, v16
	v_bfrev_b32_e32 v21, 1
	s_and_saveexec_b64 s[24:25], s[12:13]
	s_cbranch_execz .LBB488_631
; %bb.628:
	v_bfe_u32 v16, v11, 16, 7
	s_movk_i32 s11, 0x7f
	v_cmp_ne_u32_e64 s[12:13], s11, v16
	v_mov_b32_e32 v21, 0x7f800001
	s_and_saveexec_b64 s[26:27], s[12:13]
	s_cbranch_execz .LBB488_630
; %bb.629:
	v_and_b32_e32 v21, 7, v14
	v_ffbh_u32_e32 v24, v21
	v_min_u32_e32 v26, 32, v24
	v_subrev_u32_e32 v24, 28, v26
	v_lshlrev_b64 v[24:25], v24, v[14:15]
	v_and_b32_e32 v24, 7, v24
	v_cmp_gt_u32_e64 s[12:13], 8, v16
	v_lshrrev_b32_e32 v23, 3, v16
	v_sub_u32_e32 v14, 29, v26
	v_cndmask_b32_e64 v16, v21, v24, s[12:13]
	v_mov_b32_e32 v21, 24
	v_cndmask_b32_e64 v14, v23, v14, s[12:13]
	v_lshlrev_b32_sdwa v21, v21, v11 dst_sel:DWORD dst_unused:UNUSED_PAD src0_sel:DWORD src1_sel:WORD_1
	v_bfrev_b32_e32 v23, 60
	v_lshlrev_b32_e32 v16, 20, v16
	v_and_b32_e32 v21, 0x80000000, v21
	v_lshl_add_u32 v14, v14, 23, v23
	v_or3_b32 v21, v21, v14, v16
.LBB488_630:
	s_or_b64 exec, exec, s[26:27]
.LBB488_631:
	s_or_b64 exec, exec, s[24:25]
.LBB488_632:
	s_or_b64 exec, exec, s[14:15]
	s_mov_b32 s12, -1
	s_mov_b32 s13, 0xffffff
	v_cmp_lt_u64_e64 s[12:13], s[12:13], v[10:11]
	v_mov_b32_e32 v16, 0
	v_mov_b32_e32 v14, 0
	s_and_saveexec_b64 s[14:15], s[12:13]
	s_cbranch_execz .LBB488_638
; %bb.633:
	v_lshrrev_b32_e32 v10, 24, v11
	s_movk_i32 s11, 0x80
	v_cmp_ne_u32_e64 s[12:13], s11, v10
	v_bfrev_b32_e32 v14, 1
	s_and_saveexec_b64 s[24:25], s[12:13]
	s_cbranch_execz .LBB488_637
; %bb.634:
	v_bfe_u32 v11, v11, 24, 7
	s_movk_i32 s11, 0x7f
	v_cmp_ne_u32_e64 s[12:13], s11, v11
	v_mov_b32_e32 v14, 0x7f800001
	s_and_saveexec_b64 s[26:27], s[12:13]
	s_cbranch_execz .LBB488_636
; %bb.635:
	v_and_b32_e32 v14, 7, v10
	v_ffbh_u32_e32 v24, v14
	v_min_u32_e32 v26, 32, v24
	v_subrev_u32_e32 v24, 28, v26
	v_lshlrev_b64 v[24:25], v24, v[10:11]
	v_lshrrev_b32_e32 v23, 3, v11
	v_sub_u32_e32 v25, 29, v26
	v_and_b32_e32 v24, 7, v24
	v_cmp_gt_u32_e64 s[12:13], 8, v11
	v_cndmask_b32_e64 v11, v23, v25, s[12:13]
	v_cndmask_b32_e64 v14, v14, v24, s[12:13]
	v_lshlrev_b32_e32 v10, 24, v10
	v_bfrev_b32_e32 v23, 60
	v_lshlrev_b32_e32 v14, 20, v14
	v_and_b32_e32 v10, 0x80000000, v10
	v_lshl_add_u32 v11, v11, 23, v23
	v_or3_b32 v14, v10, v11, v14
.LBB488_636:
	s_or_b64 exec, exec, s[26:27]
.LBB488_637:
	s_or_b64 exec, exec, s[24:25]
.LBB488_638:
	s_or_b64 exec, exec, s[14:15]
	v_cvt_pkrtz_f16_f32 v10, v18, v19
	v_cvt_pkrtz_f16_f32 v11, v17, v20
	;; [unrolled: 1-line block ×4, first 2 shown]
	v_mfma_f32_4x4x4f16 a[0:3], v[2:3], v[10:11], a[0:3] cbsz:4 abid:12
	v_cmp_ne_u16_sdwa s[12:13], v12, v16 src0_sel:BYTE_0 src1_sel:DWORD
	v_mfma_f32_4x4x4f16 a[0:3], v[4:5], v[18:19], a[0:3] cbsz:4 abid:12
	s_and_saveexec_b64 s[14:15], s[12:13]
	s_cbranch_execz .LBB488_644
; %bb.639:
	s_movk_i32 s11, 0x80
	v_cmp_ne_u16_sdwa s[12:13], v12, s11 src0_sel:BYTE_0 src1_sel:DWORD
	v_bfrev_b32_e32 v16, 1
	s_and_saveexec_b64 s[24:25], s[12:13]
	s_cbranch_execz .LBB488_643
; %bb.640:
	s_movk_i32 s11, 0x7f
	v_and_b32_e32 v10, 0x7f, v12
	v_cmp_ne_u32_e64 s[12:13], s11, v10
	v_mov_b32_e32 v16, 0x7f800001
	s_and_saveexec_b64 s[26:27], s[12:13]
	s_cbranch_execz .LBB488_642
; %bb.641:
	v_and_b32_e32 v11, 7, v12
	v_ffbh_u32_e32 v11, v11
	v_min_u32_e32 v11, 32, v11
	v_subrev_u32_e32 v15, 28, v11
	v_cmp_gt_u32_e64 s[12:13], 8, v10
	v_lshrrev_b32_e32 v14, 3, v10
	v_sub_u32_e32 v11, 29, v11
	v_cndmask_b32_e64 v10, 0, v15, s[12:13]
	v_cndmask_b32_e64 v14, v14, v11, s[12:13]
	v_lshlrev_b64 v[10:11], v10, v[12:13]
	v_lshlrev_b32_e32 v10, 20, v10
	v_lshlrev_b32_e32 v11, 24, v12
	v_bfrev_b32_e32 v15, 60
	v_and_b32_e32 v10, 0x700000, v10
	v_and_b32_e32 v11, 0x80000000, v11
	v_lshl_add_u32 v14, v14, 23, v15
	v_or3_b32 v16, v11, v14, v10
.LBB488_642:
	s_or_b64 exec, exec, s[26:27]
.LBB488_643:
	s_or_b64 exec, exec, s[24:25]
.LBB488_644:
	s_or_b64 exec, exec, s[14:15]
	v_lshrrev_b16_e32 v10, 8, v12
	v_cmp_ne_u16_e64 s[12:13], 0, v10
	v_mov_b32_e32 v15, 0
	v_mov_b32_e32 v17, 0
	s_and_saveexec_b64 s[14:15], s[12:13]
	s_cbranch_execz .LBB488_650
; %bb.645:
	s_movk_i32 s11, 0x80
	v_cmp_ne_u16_e64 s[12:13], s11, v10
	v_bfrev_b32_e32 v17, 1
	s_and_saveexec_b64 s[24:25], s[12:13]
	s_cbranch_execz .LBB488_649
; %bb.646:
	s_movk_i32 s11, 0x7f
	v_and_b32_e32 v11, 0x7f, v10
	v_cmp_ne_u32_e64 s[12:13], s11, v11
	v_mov_b32_e32 v17, 0x7f800001
	s_and_saveexec_b64 s[26:27], s[12:13]
	s_cbranch_execz .LBB488_648
; %bb.647:
	v_and_b32_e32 v14, 7, v10
	v_ffbh_u32_e32 v18, v14
	v_min_u32_e32 v20, 32, v18
	v_subrev_u32_e32 v18, 28, v20
	v_lshlrev_b64 v[18:19], v18, v[10:11]
	v_lshrrev_b32_e32 v17, 3, v11
	v_sub_u32_e32 v10, 29, v20
	v_and_b32_e32 v18, 7, v18
	v_cmp_gt_u32_e64 s[12:13], 8, v11
	v_cndmask_b32_e64 v10, v17, v10, s[12:13]
	v_cndmask_b32_e64 v11, v14, v18, s[12:13]
	v_lshlrev_b32_e32 v14, 16, v12
	v_bfrev_b32_e32 v17, 60
	v_lshlrev_b32_e32 v11, 20, v11
	v_and_b32_e32 v14, 0x80000000, v14
	v_lshl_add_u32 v10, v10, 23, v17
	v_or3_b32 v17, v14, v10, v11
.LBB488_648:
	s_or_b64 exec, exec, s[26:27]
.LBB488_649:
	s_or_b64 exec, exec, s[24:25]
.LBB488_650:
	s_or_b64 exec, exec, s[14:15]
	s_movk_i32 s11, 0xff
	v_and_b32_sdwa v11, v12, s11 dst_sel:DWORD dst_unused:UNUSED_PAD src0_sel:WORD_1 src1_sel:DWORD
	v_lshrrev_b32_e32 v10, 16, v12
	v_cmp_ne_u16_e64 s[12:13], 0, v11
	s_and_saveexec_b64 s[14:15], s[12:13]
	s_cbranch_execz .LBB488_656
; %bb.651:
	s_movk_i32 s11, 0x80
	v_cmp_ne_u16_e64 s[12:13], s11, v11
	v_bfrev_b32_e32 v15, 1
	s_and_saveexec_b64 s[24:25], s[12:13]
	s_cbranch_execz .LBB488_655
; %bb.652:
	v_bfe_u32 v11, v12, 16, 7
	s_movk_i32 s11, 0x7f
	v_cmp_ne_u32_e64 s[12:13], s11, v11
	v_mov_b32_e32 v15, 0x7f800001
	s_and_saveexec_b64 s[26:27], s[12:13]
	s_cbranch_execz .LBB488_654
; %bb.653:
	v_and_b32_e32 v18, 7, v10
	v_ffbh_u32_e32 v14, v18
	v_min_u32_e32 v20, 32, v14
	v_subrev_u32_e32 v14, 28, v20
	v_lshlrev_b64 v[14:15], v14, v[10:11]
	v_and_b32_e32 v14, 7, v14
	v_cmp_gt_u32_e64 s[12:13], 8, v11
	v_lshrrev_b32_e32 v19, 3, v11
	v_sub_u32_e32 v10, 29, v20
	v_cndmask_b32_e64 v11, v18, v14, s[12:13]
	v_mov_b32_e32 v14, 24
	v_cndmask_b32_e64 v10, v19, v10, s[12:13]
	v_lshlrev_b32_sdwa v14, v14, v12 dst_sel:DWORD dst_unused:UNUSED_PAD src0_sel:DWORD src1_sel:WORD_1
	v_bfrev_b32_e32 v15, 60
	v_lshlrev_b32_e32 v11, 20, v11
	v_and_b32_e32 v14, 0x80000000, v14
	v_lshl_add_u32 v10, v10, 23, v15
	v_or3_b32 v15, v14, v10, v11
.LBB488_654:
	s_or_b64 exec, exec, s[26:27]
.LBB488_655:
	s_or_b64 exec, exec, s[24:25]
.LBB488_656:
	s_or_b64 exec, exec, s[14:15]
	s_mov_b32 s11, 0xffffff
	v_cmp_lt_u32_e64 s[12:13], s11, v12
	v_mov_b32_e32 v11, 0
	v_mov_b32_e32 v18, 0
	s_and_saveexec_b64 s[14:15], s[12:13]
	s_cbranch_execz .LBB488_662
; %bb.657:
	v_lshrrev_b32_e32 v10, 24, v12
	s_movk_i32 s11, 0x80
	v_cmp_ne_u32_e64 s[12:13], s11, v10
	v_bfrev_b32_e32 v18, 1
	s_and_saveexec_b64 s[24:25], s[12:13]
	s_cbranch_execz .LBB488_661
; %bb.658:
	v_bfe_u32 v14, v12, 24, 7
	s_movk_i32 s11, 0x7f
	v_cmp_ne_u32_e64 s[12:13], s11, v14
	v_mov_b32_e32 v18, 0x7f800001
	s_and_saveexec_b64 s[26:27], s[12:13]
	s_cbranch_execz .LBB488_660
; %bb.659:
	v_and_b32_e32 v20, 7, v10
	v_ffbh_u32_e32 v18, v20
	v_min_u32_e32 v22, 32, v18
	v_subrev_u32_e32 v18, 28, v22
	v_lshlrev_b64 v[18:19], v18, v[10:11]
	v_lshrrev_b32_e32 v21, 3, v14
	v_sub_u32_e32 v19, 29, v22
	v_and_b32_e32 v18, 7, v18
	v_cmp_gt_u32_e64 s[12:13], 8, v14
	v_cndmask_b32_e64 v14, v21, v19, s[12:13]
	v_cndmask_b32_e64 v18, v20, v18, s[12:13]
	v_lshlrev_b32_e32 v10, 24, v10
	v_bfrev_b32_e32 v19, 60
	v_lshlrev_b32_e32 v18, 20, v18
	v_and_b32_e32 v10, 0x80000000, v10
	v_lshl_add_u32 v14, v14, 23, v19
	v_or3_b32 v18, v10, v14, v18
.LBB488_660:
	s_or_b64 exec, exec, s[26:27]
.LBB488_661:
	s_or_b64 exec, exec, s[24:25]
.LBB488_662:
	s_or_b64 exec, exec, s[14:15]
	v_mov_b32_e32 v10, v13
	v_cmp_ne_u16_sdwa s[12:13], v13, v11 src0_sel:BYTE_0 src1_sel:DWORD
	s_and_saveexec_b64 s[14:15], s[12:13]
	s_cbranch_execz .LBB488_668
; %bb.663:
	s_movk_i32 s11, 0x80
	v_cmp_ne_u16_sdwa s[12:13], v13, s11 src0_sel:BYTE_0 src1_sel:DWORD
	v_bfrev_b32_e32 v14, 1
	s_and_saveexec_b64 s[24:25], s[12:13]
	s_cbranch_execz .LBB488_667
; %bb.664:
	s_movk_i32 s11, 0x7f
	v_and_b32_e32 v19, 0x7f, v13
	v_cmp_ne_u32_e64 s[12:13], s11, v19
	v_mov_b32_e32 v14, 0x7f800001
	s_and_saveexec_b64 s[26:27], s[12:13]
	s_cbranch_execz .LBB488_666
; %bb.665:
	v_and_b32_e32 v14, 7, v13
	v_ffbh_u32_e32 v14, v14
	v_min_u32_e32 v14, 32, v14
	v_subrev_u32_e32 v21, 28, v14
	v_cmp_gt_u32_e64 s[12:13], 8, v19
	v_lshrrev_b32_e32 v20, 3, v19
	v_sub_u32_e32 v14, 29, v14
	v_cndmask_b32_e64 v19, 0, v21, s[12:13]
	v_cndmask_b32_e64 v14, v20, v14, s[12:13]
	v_lshlrev_b64 v[20:21], v19, v[10:11]
	v_lshlrev_b32_e32 v11, 20, v20
	v_lshlrev_b32_e32 v19, 24, v10
	v_bfrev_b32_e32 v20, 60
	v_and_b32_e32 v11, 0x700000, v11
	v_and_b32_e32 v19, 0x80000000, v19
	v_lshl_add_u32 v14, v14, 23, v20
	v_or3_b32 v14, v19, v14, v11
.LBB488_666:
	s_or_b64 exec, exec, s[26:27]
.LBB488_667:
	s_or_b64 exec, exec, s[24:25]
	v_mov_b32_e32 v11, v14
.LBB488_668:
	s_or_b64 exec, exec, s[14:15]
	v_lshrrev_b16_e32 v14, 8, v10
	v_cmp_ne_u16_e64 s[12:13], 0, v14
	v_mov_b32_e32 v19, 0
	v_mov_b32_e32 v20, 0
	s_and_saveexec_b64 s[14:15], s[12:13]
	s_cbranch_execz .LBB488_674
; %bb.669:
	s_movk_i32 s11, 0x80
	v_cmp_ne_u16_e64 s[12:13], s11, v14
	v_bfrev_b32_e32 v20, 1
	s_and_saveexec_b64 s[24:25], s[12:13]
	s_cbranch_execz .LBB488_673
; %bb.670:
	s_movk_i32 s11, 0x7f
	v_and_b32_e32 v21, 0x7f, v14
	v_cmp_ne_u32_e64 s[12:13], s11, v21
	v_mov_b32_e32 v20, 0x7f800001
	s_and_saveexec_b64 s[26:27], s[12:13]
	s_cbranch_execz .LBB488_672
; %bb.671:
	v_and_b32_e32 v20, 7, v14
	v_ffbh_u32_e32 v22, v20
	v_min_u32_e32 v25, 32, v22
	v_subrev_u32_e32 v22, 28, v25
	v_lshlrev_b64 v[22:23], v22, v[14:15]
	v_lshrrev_b32_e32 v24, 3, v21
	v_sub_u32_e32 v14, 29, v25
	v_and_b32_e32 v22, 7, v22
	v_cmp_gt_u32_e64 s[12:13], 8, v21
	v_cndmask_b32_e64 v14, v24, v14, s[12:13]
	v_cndmask_b32_e64 v20, v20, v22, s[12:13]
	v_lshlrev_b32_e32 v10, 16, v10
	v_bfrev_b32_e32 v21, 60
	v_lshlrev_b32_e32 v20, 20, v20
	v_and_b32_e32 v10, 0x80000000, v10
	v_lshl_add_u32 v14, v14, 23, v21
	v_or3_b32 v20, v10, v14, v20
.LBB488_672:
	s_or_b64 exec, exec, s[26:27]
.LBB488_673:
	s_or_b64 exec, exec, s[24:25]
.LBB488_674:
	s_or_b64 exec, exec, s[14:15]
	s_movk_i32 s11, 0xff
	v_and_b32_sdwa v14, v13, s11 dst_sel:DWORD dst_unused:UNUSED_PAD src0_sel:WORD_1 src1_sel:DWORD
	v_lshrrev_b32_e32 v10, 16, v13
	v_cmp_ne_u16_e64 s[12:13], 0, v14
	s_and_saveexec_b64 s[14:15], s[12:13]
	s_cbranch_execz .LBB488_680
; %bb.675:
	s_movk_i32 s11, 0x80
	v_cmp_ne_u16_e64 s[12:13], s11, v14
	v_bfrev_b32_e32 v19, 1
	s_and_saveexec_b64 s[24:25], s[12:13]
	s_cbranch_execz .LBB488_679
; %bb.676:
	v_bfe_u32 v14, v13, 16, 7
	s_movk_i32 s11, 0x7f
	v_cmp_ne_u32_e64 s[12:13], s11, v14
	v_mov_b32_e32 v19, 0x7f800001
	s_and_saveexec_b64 s[26:27], s[12:13]
	s_cbranch_execz .LBB488_678
; %bb.677:
	v_and_b32_e32 v19, 7, v10
	v_ffbh_u32_e32 v22, v19
	v_min_u32_e32 v24, 32, v22
	v_subrev_u32_e32 v22, 28, v24
	v_lshlrev_b64 v[22:23], v22, v[10:11]
	v_and_b32_e32 v22, 7, v22
	v_cmp_gt_u32_e64 s[12:13], 8, v14
	v_lshrrev_b32_e32 v21, 3, v14
	v_sub_u32_e32 v10, 29, v24
	v_cndmask_b32_e64 v14, v19, v22, s[12:13]
	v_mov_b32_e32 v19, 24
	v_cndmask_b32_e64 v10, v21, v10, s[12:13]
	v_lshlrev_b32_sdwa v19, v19, v13 dst_sel:DWORD dst_unused:UNUSED_PAD src0_sel:DWORD src1_sel:WORD_1
	v_bfrev_b32_e32 v21, 60
	v_lshlrev_b32_e32 v14, 20, v14
	v_and_b32_e32 v19, 0x80000000, v19
	v_lshl_add_u32 v10, v10, 23, v21
	v_or3_b32 v19, v19, v10, v14
.LBB488_678:
	s_or_b64 exec, exec, s[26:27]
.LBB488_679:
	s_or_b64 exec, exec, s[24:25]
.LBB488_680:
	s_or_b64 exec, exec, s[14:15]
	s_mov_b32 s12, -1
	s_mov_b32 s13, 0xffffff
	v_cmp_lt_u64_e64 s[12:13], s[12:13], v[12:13]
	v_mov_b32_e32 v14, 0
	v_mov_b32_e32 v12, 0
	s_and_saveexec_b64 s[14:15], s[12:13]
	s_cbranch_execz .LBB488_686
; %bb.681:
	v_lshrrev_b32_e32 v10, 24, v13
	s_movk_i32 s11, 0x80
	v_cmp_ne_u32_e64 s[12:13], s11, v10
	v_bfrev_b32_e32 v12, 1
	s_and_saveexec_b64 s[24:25], s[12:13]
	s_cbranch_execz .LBB488_685
; %bb.682:
	v_bfe_u32 v13, v13, 24, 7
	s_movk_i32 s11, 0x7f
	v_cmp_ne_u32_e64 s[12:13], s11, v13
	v_mov_b32_e32 v12, 0x7f800001
	s_and_saveexec_b64 s[26:27], s[12:13]
	s_cbranch_execz .LBB488_684
; %bb.683:
	v_and_b32_e32 v12, 7, v10
	v_ffbh_u32_e32 v22, v12
	v_min_u32_e32 v24, 32, v22
	v_subrev_u32_e32 v22, 28, v24
	v_lshlrev_b64 v[22:23], v22, v[10:11]
	v_lshrrev_b32_e32 v21, 3, v13
	v_sub_u32_e32 v23, 29, v24
	v_and_b32_e32 v22, 7, v22
	v_cmp_gt_u32_e64 s[12:13], 8, v13
	v_cndmask_b32_e64 v13, v21, v23, s[12:13]
	v_cndmask_b32_e64 v12, v12, v22, s[12:13]
	v_lshlrev_b32_e32 v10, 24, v10
	v_bfrev_b32_e32 v21, 60
	v_lshlrev_b32_e32 v12, 20, v12
	v_and_b32_e32 v10, 0x80000000, v10
	v_lshl_add_u32 v13, v13, 23, v21
	v_or3_b32 v12, v10, v13, v12
.LBB488_684:
	s_or_b64 exec, exec, s[26:27]
.LBB488_685:
	s_or_b64 exec, exec, s[24:25]
.LBB488_686:
	s_or_b64 exec, exec, s[14:15]
	v_cvt_pkrtz_f16_f32 v16, v16, v17
	v_cvt_pkrtz_f16_f32 v17, v15, v18
	;; [unrolled: 1-line block ×4, first 2 shown]
	v_mfma_f32_4x4x4f16 a[0:3], v[2:3], v[16:17], a[0:3] cbsz:4 abid:13
	s_waitcnt vmcnt(16)
	v_cmp_ne_u16_sdwa s[12:13], v6, v14 src0_sel:BYTE_0 src1_sel:DWORD
	v_mfma_f32_4x4x4f16 a[0:3], v[4:5], v[10:11], a[0:3] cbsz:4 abid:13
	s_and_saveexec_b64 s[14:15], s[12:13]
	s_cbranch_execz .LBB488_692
; %bb.687:
	s_movk_i32 s11, 0x80
	v_cmp_ne_u16_sdwa s[12:13], v6, s11 src0_sel:BYTE_0 src1_sel:DWORD
	v_bfrev_b32_e32 v14, 1
	s_and_saveexec_b64 s[24:25], s[12:13]
	s_cbranch_execz .LBB488_691
; %bb.688:
	s_movk_i32 s11, 0x7f
	v_and_b32_e32 v10, 0x7f, v6
	v_cmp_ne_u32_e64 s[12:13], s11, v10
	v_mov_b32_e32 v14, 0x7f800001
	s_and_saveexec_b64 s[26:27], s[12:13]
	s_cbranch_execz .LBB488_690
; %bb.689:
	v_and_b32_e32 v11, 7, v6
	v_ffbh_u32_e32 v11, v11
	v_min_u32_e32 v11, 32, v11
	v_subrev_u32_e32 v13, 28, v11
	v_cmp_gt_u32_e64 s[12:13], 8, v10
	v_lshrrev_b32_e32 v12, 3, v10
	v_sub_u32_e32 v11, 29, v11
	v_cndmask_b32_e64 v10, 0, v13, s[12:13]
	v_cndmask_b32_e64 v12, v12, v11, s[12:13]
	v_lshlrev_b64 v[10:11], v10, v[6:7]
	v_lshlrev_b32_e32 v10, 20, v10
	v_lshlrev_b32_e32 v11, 24, v6
	v_bfrev_b32_e32 v13, 60
	v_and_b32_e32 v10, 0x700000, v10
	v_and_b32_e32 v11, 0x80000000, v11
	v_lshl_add_u32 v12, v12, 23, v13
	v_or3_b32 v14, v11, v12, v10
.LBB488_690:
	s_or_b64 exec, exec, s[26:27]
.LBB488_691:
	s_or_b64 exec, exec, s[24:25]
.LBB488_692:
	s_or_b64 exec, exec, s[14:15]
	v_lshrrev_b16_e32 v10, 8, v6
	v_cmp_ne_u16_e64 s[12:13], 0, v10
	v_mov_b32_e32 v13, 0
	v_mov_b32_e32 v15, 0
	s_and_saveexec_b64 s[14:15], s[12:13]
	s_cbranch_execz .LBB488_698
; %bb.693:
	s_movk_i32 s11, 0x80
	v_cmp_ne_u16_e64 s[12:13], s11, v10
	v_bfrev_b32_e32 v15, 1
	s_and_saveexec_b64 s[24:25], s[12:13]
	s_cbranch_execz .LBB488_697
; %bb.694:
	s_movk_i32 s11, 0x7f
	v_and_b32_e32 v11, 0x7f, v10
	v_cmp_ne_u32_e64 s[12:13], s11, v11
	v_mov_b32_e32 v15, 0x7f800001
	s_and_saveexec_b64 s[26:27], s[12:13]
	s_cbranch_execz .LBB488_696
; %bb.695:
	v_and_b32_e32 v12, 7, v10
	v_ffbh_u32_e32 v16, v12
	v_min_u32_e32 v18, 32, v16
	v_subrev_u32_e32 v16, 28, v18
	v_lshlrev_b64 v[16:17], v16, v[10:11]
	v_lshrrev_b32_e32 v15, 3, v11
	v_sub_u32_e32 v10, 29, v18
	v_and_b32_e32 v16, 7, v16
	v_cmp_gt_u32_e64 s[12:13], 8, v11
	v_cndmask_b32_e64 v10, v15, v10, s[12:13]
	v_cndmask_b32_e64 v11, v12, v16, s[12:13]
	v_lshlrev_b32_e32 v12, 16, v6
	v_bfrev_b32_e32 v15, 60
	v_lshlrev_b32_e32 v11, 20, v11
	v_and_b32_e32 v12, 0x80000000, v12
	v_lshl_add_u32 v10, v10, 23, v15
	v_or3_b32 v15, v12, v10, v11
.LBB488_696:
	s_or_b64 exec, exec, s[26:27]
.LBB488_697:
	s_or_b64 exec, exec, s[24:25]
.LBB488_698:
	s_or_b64 exec, exec, s[14:15]
	s_movk_i32 s11, 0xff
	v_and_b32_sdwa v11, v6, s11 dst_sel:DWORD dst_unused:UNUSED_PAD src0_sel:WORD_1 src1_sel:DWORD
	v_lshrrev_b32_e32 v10, 16, v6
	v_cmp_ne_u16_e64 s[12:13], 0, v11
	s_and_saveexec_b64 s[14:15], s[12:13]
	s_cbranch_execz .LBB488_704
; %bb.699:
	s_movk_i32 s11, 0x80
	v_cmp_ne_u16_e64 s[12:13], s11, v11
	v_bfrev_b32_e32 v13, 1
	s_and_saveexec_b64 s[24:25], s[12:13]
	s_cbranch_execz .LBB488_703
; %bb.700:
	v_bfe_u32 v11, v6, 16, 7
	s_movk_i32 s11, 0x7f
	v_cmp_ne_u32_e64 s[12:13], s11, v11
	v_mov_b32_e32 v13, 0x7f800001
	s_and_saveexec_b64 s[26:27], s[12:13]
	s_cbranch_execz .LBB488_702
; %bb.701:
	v_and_b32_e32 v16, 7, v10
	v_ffbh_u32_e32 v12, v16
	v_min_u32_e32 v18, 32, v12
	v_subrev_u32_e32 v12, 28, v18
	v_lshlrev_b64 v[12:13], v12, v[10:11]
	v_and_b32_e32 v12, 7, v12
	v_cmp_gt_u32_e64 s[12:13], 8, v11
	v_lshrrev_b32_e32 v17, 3, v11
	v_sub_u32_e32 v10, 29, v18
	v_cndmask_b32_e64 v11, v16, v12, s[12:13]
	v_mov_b32_e32 v12, 24
	v_cndmask_b32_e64 v10, v17, v10, s[12:13]
	v_lshlrev_b32_sdwa v12, v12, v6 dst_sel:DWORD dst_unused:UNUSED_PAD src0_sel:DWORD src1_sel:WORD_1
	v_bfrev_b32_e32 v13, 60
	v_lshlrev_b32_e32 v11, 20, v11
	v_and_b32_e32 v12, 0x80000000, v12
	v_lshl_add_u32 v10, v10, 23, v13
	v_or3_b32 v13, v12, v10, v11
.LBB488_702:
	s_or_b64 exec, exec, s[26:27]
.LBB488_703:
	s_or_b64 exec, exec, s[24:25]
.LBB488_704:
	s_or_b64 exec, exec, s[14:15]
	s_mov_b32 s11, 0xffffff
	v_cmp_lt_u32_e64 s[12:13], s11, v6
	v_mov_b32_e32 v11, 0
	v_mov_b32_e32 v16, 0
	s_and_saveexec_b64 s[14:15], s[12:13]
	s_cbranch_execz .LBB488_710
; %bb.705:
	v_lshrrev_b32_e32 v10, 24, v6
	s_movk_i32 s11, 0x80
	v_cmp_ne_u32_e64 s[12:13], s11, v10
	v_bfrev_b32_e32 v16, 1
	s_and_saveexec_b64 s[24:25], s[12:13]
	s_cbranch_execz .LBB488_709
; %bb.706:
	v_bfe_u32 v12, v6, 24, 7
	s_movk_i32 s11, 0x7f
	v_cmp_ne_u32_e64 s[12:13], s11, v12
	v_mov_b32_e32 v16, 0x7f800001
	s_and_saveexec_b64 s[26:27], s[12:13]
	s_cbranch_execz .LBB488_708
; %bb.707:
	v_and_b32_e32 v18, 7, v10
	v_ffbh_u32_e32 v16, v18
	v_min_u32_e32 v20, 32, v16
	v_subrev_u32_e32 v16, 28, v20
	v_lshlrev_b64 v[16:17], v16, v[10:11]
	v_lshrrev_b32_e32 v19, 3, v12
	v_sub_u32_e32 v17, 29, v20
	v_and_b32_e32 v16, 7, v16
	v_cmp_gt_u32_e64 s[12:13], 8, v12
	v_cndmask_b32_e64 v12, v19, v17, s[12:13]
	v_cndmask_b32_e64 v16, v18, v16, s[12:13]
	v_lshlrev_b32_e32 v10, 24, v10
	v_bfrev_b32_e32 v17, 60
	v_lshlrev_b32_e32 v16, 20, v16
	v_and_b32_e32 v10, 0x80000000, v10
	v_lshl_add_u32 v12, v12, 23, v17
	v_or3_b32 v16, v10, v12, v16
.LBB488_708:
	s_or_b64 exec, exec, s[26:27]
.LBB488_709:
	s_or_b64 exec, exec, s[24:25]
.LBB488_710:
	s_or_b64 exec, exec, s[14:15]
	v_mov_b32_e32 v10, v7
	v_cmp_ne_u16_sdwa s[12:13], v7, v11 src0_sel:BYTE_0 src1_sel:DWORD
	s_and_saveexec_b64 s[14:15], s[12:13]
	s_cbranch_execz .LBB488_716
; %bb.711:
	s_movk_i32 s11, 0x80
	v_cmp_ne_u16_sdwa s[12:13], v7, s11 src0_sel:BYTE_0 src1_sel:DWORD
	v_bfrev_b32_e32 v12, 1
	s_and_saveexec_b64 s[24:25], s[12:13]
	s_cbranch_execz .LBB488_715
; %bb.712:
	s_movk_i32 s11, 0x7f
	v_and_b32_e32 v17, 0x7f, v7
	v_cmp_ne_u32_e64 s[12:13], s11, v17
	v_mov_b32_e32 v12, 0x7f800001
	s_and_saveexec_b64 s[26:27], s[12:13]
	s_cbranch_execz .LBB488_714
; %bb.713:
	v_and_b32_e32 v12, 7, v7
	v_ffbh_u32_e32 v12, v12
	v_min_u32_e32 v12, 32, v12
	v_subrev_u32_e32 v19, 28, v12
	v_cmp_gt_u32_e64 s[12:13], 8, v17
	v_lshrrev_b32_e32 v18, 3, v17
	v_sub_u32_e32 v12, 29, v12
	v_cndmask_b32_e64 v17, 0, v19, s[12:13]
	v_cndmask_b32_e64 v12, v18, v12, s[12:13]
	v_lshlrev_b64 v[18:19], v17, v[10:11]
	v_lshlrev_b32_e32 v11, 20, v18
	v_lshlrev_b32_e32 v17, 24, v10
	v_bfrev_b32_e32 v18, 60
	v_and_b32_e32 v11, 0x700000, v11
	v_and_b32_e32 v17, 0x80000000, v17
	v_lshl_add_u32 v12, v12, 23, v18
	v_or3_b32 v12, v17, v12, v11
.LBB488_714:
	s_or_b64 exec, exec, s[26:27]
.LBB488_715:
	s_or_b64 exec, exec, s[24:25]
	v_mov_b32_e32 v11, v12
.LBB488_716:
	s_or_b64 exec, exec, s[14:15]
	v_lshrrev_b16_e32 v12, 8, v10
	v_cmp_ne_u16_e64 s[12:13], 0, v12
	v_mov_b32_e32 v17, 0
	v_mov_b32_e32 v18, 0
	s_and_saveexec_b64 s[14:15], s[12:13]
	s_cbranch_execz .LBB488_722
; %bb.717:
	s_movk_i32 s11, 0x80
	v_cmp_ne_u16_e64 s[12:13], s11, v12
	v_bfrev_b32_e32 v18, 1
	s_and_saveexec_b64 s[24:25], s[12:13]
	s_cbranch_execz .LBB488_721
; %bb.718:
	s_movk_i32 s11, 0x7f
	v_and_b32_e32 v19, 0x7f, v12
	v_cmp_ne_u32_e64 s[12:13], s11, v19
	v_mov_b32_e32 v18, 0x7f800001
	s_and_saveexec_b64 s[26:27], s[12:13]
	s_cbranch_execz .LBB488_720
; %bb.719:
	v_and_b32_e32 v18, 7, v12
	v_ffbh_u32_e32 v20, v18
	v_min_u32_e32 v23, 32, v20
	v_subrev_u32_e32 v20, 28, v23
	v_lshlrev_b64 v[20:21], v20, v[12:13]
	v_lshrrev_b32_e32 v22, 3, v19
	v_sub_u32_e32 v12, 29, v23
	v_and_b32_e32 v20, 7, v20
	v_cmp_gt_u32_e64 s[12:13], 8, v19
	v_cndmask_b32_e64 v12, v22, v12, s[12:13]
	v_cndmask_b32_e64 v18, v18, v20, s[12:13]
	v_lshlrev_b32_e32 v10, 16, v10
	v_bfrev_b32_e32 v19, 60
	v_lshlrev_b32_e32 v18, 20, v18
	v_and_b32_e32 v10, 0x80000000, v10
	v_lshl_add_u32 v12, v12, 23, v19
	v_or3_b32 v18, v10, v12, v18
.LBB488_720:
	s_or_b64 exec, exec, s[26:27]
.LBB488_721:
	s_or_b64 exec, exec, s[24:25]
.LBB488_722:
	s_or_b64 exec, exec, s[14:15]
	s_movk_i32 s11, 0xff
	v_and_b32_sdwa v12, v7, s11 dst_sel:DWORD dst_unused:UNUSED_PAD src0_sel:WORD_1 src1_sel:DWORD
	v_lshrrev_b32_e32 v10, 16, v7
	v_cmp_ne_u16_e64 s[12:13], 0, v12
	s_and_saveexec_b64 s[14:15], s[12:13]
	s_cbranch_execz .LBB488_728
; %bb.723:
	s_movk_i32 s11, 0x80
	v_cmp_ne_u16_e64 s[12:13], s11, v12
	v_bfrev_b32_e32 v17, 1
	s_and_saveexec_b64 s[24:25], s[12:13]
	s_cbranch_execz .LBB488_727
; %bb.724:
	v_bfe_u32 v12, v7, 16, 7
	s_movk_i32 s11, 0x7f
	v_cmp_ne_u32_e64 s[12:13], s11, v12
	v_mov_b32_e32 v17, 0x7f800001
	s_and_saveexec_b64 s[26:27], s[12:13]
	s_cbranch_execz .LBB488_726
; %bb.725:
	v_and_b32_e32 v17, 7, v10
	v_ffbh_u32_e32 v20, v17
	v_min_u32_e32 v22, 32, v20
	v_subrev_u32_e32 v20, 28, v22
	v_lshlrev_b64 v[20:21], v20, v[10:11]
	v_and_b32_e32 v20, 7, v20
	v_cmp_gt_u32_e64 s[12:13], 8, v12
	v_lshrrev_b32_e32 v19, 3, v12
	v_sub_u32_e32 v10, 29, v22
	v_cndmask_b32_e64 v12, v17, v20, s[12:13]
	v_mov_b32_e32 v17, 24
	v_cndmask_b32_e64 v10, v19, v10, s[12:13]
	v_lshlrev_b32_sdwa v17, v17, v7 dst_sel:DWORD dst_unused:UNUSED_PAD src0_sel:DWORD src1_sel:WORD_1
	v_bfrev_b32_e32 v19, 60
	v_lshlrev_b32_e32 v12, 20, v12
	v_and_b32_e32 v17, 0x80000000, v17
	v_lshl_add_u32 v10, v10, 23, v19
	v_or3_b32 v17, v17, v10, v12
.LBB488_726:
	s_or_b64 exec, exec, s[26:27]
.LBB488_727:
	s_or_b64 exec, exec, s[24:25]
.LBB488_728:
	s_or_b64 exec, exec, s[14:15]
	s_mov_b32 s12, -1
	s_mov_b32 s13, 0xffffff
	v_cmp_lt_u64_e64 s[12:13], s[12:13], v[6:7]
	v_mov_b32_e32 v12, 0
	v_mov_b32_e32 v10, 0
	s_and_saveexec_b64 s[14:15], s[12:13]
	s_cbranch_execz .LBB488_734
; %bb.729:
	v_lshrrev_b32_e32 v6, 24, v7
	s_movk_i32 s11, 0x80
	v_cmp_ne_u32_e64 s[12:13], s11, v6
	v_bfrev_b32_e32 v10, 1
	s_and_saveexec_b64 s[24:25], s[12:13]
	s_cbranch_execz .LBB488_733
; %bb.730:
	v_bfe_u32 v7, v7, 24, 7
	s_movk_i32 s11, 0x7f
	v_cmp_ne_u32_e64 s[12:13], s11, v7
	v_mov_b32_e32 v10, 0x7f800001
	s_and_saveexec_b64 s[26:27], s[12:13]
	s_cbranch_execz .LBB488_732
; %bb.731:
	v_and_b32_e32 v10, 7, v6
	v_ffbh_u32_e32 v20, v10
	v_min_u32_e32 v22, 32, v20
	v_subrev_u32_e32 v20, 28, v22
	v_lshlrev_b64 v[20:21], v20, v[6:7]
	v_lshrrev_b32_e32 v19, 3, v7
	v_sub_u32_e32 v21, 29, v22
	v_and_b32_e32 v20, 7, v20
	v_cmp_gt_u32_e64 s[12:13], 8, v7
	v_cndmask_b32_e64 v7, v19, v21, s[12:13]
	v_cndmask_b32_e64 v10, v10, v20, s[12:13]
	v_lshlrev_b32_e32 v6, 24, v6
	v_bfrev_b32_e32 v19, 60
	v_lshlrev_b32_e32 v10, 20, v10
	v_and_b32_e32 v6, 0x80000000, v6
	v_lshl_add_u32 v7, v7, 23, v19
	v_or3_b32 v10, v6, v7, v10
.LBB488_732:
	s_or_b64 exec, exec, s[26:27]
.LBB488_733:
	s_or_b64 exec, exec, s[24:25]
.LBB488_734:
	s_or_b64 exec, exec, s[14:15]
	v_cvt_pkrtz_f16_f32 v6, v14, v15
	v_cvt_pkrtz_f16_f32 v7, v13, v16
	;; [unrolled: 1-line block ×4, first 2 shown]
	v_mfma_f32_4x4x4f16 a[0:3], v[2:3], v[6:7], a[0:3] cbsz:4 abid:14
	v_cmp_ne_u16_sdwa s[12:13], v8, v12 src0_sel:BYTE_0 src1_sel:DWORD
	v_mfma_f32_4x4x4f16 a[0:3], v[4:5], v[14:15], a[0:3] cbsz:4 abid:14
	s_and_saveexec_b64 s[14:15], s[12:13]
	s_cbranch_execz .LBB488_740
; %bb.735:
	s_movk_i32 s11, 0x80
	v_cmp_ne_u16_sdwa s[12:13], v8, s11 src0_sel:BYTE_0 src1_sel:DWORD
	v_bfrev_b32_e32 v12, 1
	s_and_saveexec_b64 s[24:25], s[12:13]
	s_cbranch_execz .LBB488_739
; %bb.736:
	s_movk_i32 s11, 0x7f
	v_and_b32_e32 v6, 0x7f, v8
	v_cmp_ne_u32_e64 s[12:13], s11, v6
	v_mov_b32_e32 v12, 0x7f800001
	s_and_saveexec_b64 s[26:27], s[12:13]
	s_cbranch_execz .LBB488_738
; %bb.737:
	v_and_b32_e32 v7, 7, v8
	v_ffbh_u32_e32 v7, v7
	v_min_u32_e32 v7, 32, v7
	v_subrev_u32_e32 v11, 28, v7
	v_cmp_gt_u32_e64 s[12:13], 8, v6
	v_lshrrev_b32_e32 v10, 3, v6
	v_sub_u32_e32 v7, 29, v7
	v_cndmask_b32_e64 v6, 0, v11, s[12:13]
	v_cndmask_b32_e64 v10, v10, v7, s[12:13]
	v_lshlrev_b64 v[6:7], v6, v[8:9]
	v_lshlrev_b32_e32 v6, 20, v6
	v_lshlrev_b32_e32 v7, 24, v8
	v_bfrev_b32_e32 v11, 60
	v_and_b32_e32 v6, 0x700000, v6
	v_and_b32_e32 v7, 0x80000000, v7
	v_lshl_add_u32 v10, v10, 23, v11
	v_or3_b32 v12, v7, v10, v6
.LBB488_738:
	s_or_b64 exec, exec, s[26:27]
.LBB488_739:
	s_or_b64 exec, exec, s[24:25]
.LBB488_740:
	s_or_b64 exec, exec, s[14:15]
	v_lshrrev_b16_e32 v6, 8, v8
	v_cmp_ne_u16_e64 s[12:13], 0, v6
	v_mov_b32_e32 v11, 0
	v_mov_b32_e32 v13, 0
	s_and_saveexec_b64 s[14:15], s[12:13]
	s_cbranch_execz .LBB488_746
; %bb.741:
	s_movk_i32 s11, 0x80
	v_cmp_ne_u16_e64 s[12:13], s11, v6
	v_bfrev_b32_e32 v13, 1
	s_and_saveexec_b64 s[24:25], s[12:13]
	s_cbranch_execz .LBB488_745
; %bb.742:
	s_movk_i32 s11, 0x7f
	v_and_b32_e32 v7, 0x7f, v6
	v_cmp_ne_u32_e64 s[12:13], s11, v7
	v_mov_b32_e32 v13, 0x7f800001
	s_and_saveexec_b64 s[26:27], s[12:13]
	s_cbranch_execz .LBB488_744
; %bb.743:
	v_and_b32_e32 v10, 7, v6
	v_ffbh_u32_e32 v14, v10
	v_min_u32_e32 v16, 32, v14
	v_subrev_u32_e32 v14, 28, v16
	v_lshlrev_b64 v[14:15], v14, v[6:7]
	v_lshrrev_b32_e32 v13, 3, v7
	v_sub_u32_e32 v6, 29, v16
	v_and_b32_e32 v14, 7, v14
	v_cmp_gt_u32_e64 s[12:13], 8, v7
	v_cndmask_b32_e64 v6, v13, v6, s[12:13]
	v_cndmask_b32_e64 v7, v10, v14, s[12:13]
	v_lshlrev_b32_e32 v10, 16, v8
	v_bfrev_b32_e32 v13, 60
	v_lshlrev_b32_e32 v7, 20, v7
	v_and_b32_e32 v10, 0x80000000, v10
	v_lshl_add_u32 v6, v6, 23, v13
	v_or3_b32 v13, v10, v6, v7
.LBB488_744:
	s_or_b64 exec, exec, s[26:27]
.LBB488_745:
	s_or_b64 exec, exec, s[24:25]
.LBB488_746:
	s_or_b64 exec, exec, s[14:15]
	s_movk_i32 s11, 0xff
	v_and_b32_sdwa v7, v8, s11 dst_sel:DWORD dst_unused:UNUSED_PAD src0_sel:WORD_1 src1_sel:DWORD
	v_lshrrev_b32_e32 v6, 16, v8
	v_cmp_ne_u16_e64 s[12:13], 0, v7
	s_and_saveexec_b64 s[14:15], s[12:13]
	s_cbranch_execz .LBB488_752
; %bb.747:
	s_movk_i32 s11, 0x80
	v_cmp_ne_u16_e64 s[12:13], s11, v7
	v_bfrev_b32_e32 v11, 1
	s_and_saveexec_b64 s[24:25], s[12:13]
	s_cbranch_execz .LBB488_751
; %bb.748:
	v_bfe_u32 v7, v8, 16, 7
	s_movk_i32 s11, 0x7f
	v_cmp_ne_u32_e64 s[12:13], s11, v7
	v_mov_b32_e32 v11, 0x7f800001
	s_and_saveexec_b64 s[26:27], s[12:13]
	s_cbranch_execz .LBB488_750
; %bb.749:
	v_and_b32_e32 v14, 7, v6
	v_ffbh_u32_e32 v10, v14
	v_min_u32_e32 v16, 32, v10
	v_subrev_u32_e32 v10, 28, v16
	v_lshlrev_b64 v[10:11], v10, v[6:7]
	v_and_b32_e32 v10, 7, v10
	v_cmp_gt_u32_e64 s[12:13], 8, v7
	v_lshrrev_b32_e32 v15, 3, v7
	v_sub_u32_e32 v6, 29, v16
	v_cndmask_b32_e64 v7, v14, v10, s[12:13]
	v_mov_b32_e32 v10, 24
	v_cndmask_b32_e64 v6, v15, v6, s[12:13]
	v_lshlrev_b32_sdwa v10, v10, v8 dst_sel:DWORD dst_unused:UNUSED_PAD src0_sel:DWORD src1_sel:WORD_1
	v_bfrev_b32_e32 v11, 60
	v_lshlrev_b32_e32 v7, 20, v7
	v_and_b32_e32 v10, 0x80000000, v10
	v_lshl_add_u32 v6, v6, 23, v11
	v_or3_b32 v11, v10, v6, v7
.LBB488_750:
	s_or_b64 exec, exec, s[26:27]
.LBB488_751:
	s_or_b64 exec, exec, s[24:25]
.LBB488_752:
	s_or_b64 exec, exec, s[14:15]
	s_mov_b32 s11, 0xffffff
	v_cmp_lt_u32_e64 s[12:13], s11, v8
	v_mov_b32_e32 v7, 0
	v_mov_b32_e32 v14, 0
	s_and_saveexec_b64 s[14:15], s[12:13]
	s_cbranch_execz .LBB488_758
; %bb.753:
	v_lshrrev_b32_e32 v6, 24, v8
	s_movk_i32 s11, 0x80
	v_cmp_ne_u32_e64 s[12:13], s11, v6
	v_bfrev_b32_e32 v14, 1
	s_and_saveexec_b64 s[24:25], s[12:13]
	s_cbranch_execz .LBB488_757
; %bb.754:
	v_bfe_u32 v10, v8, 24, 7
	s_movk_i32 s11, 0x7f
	v_cmp_ne_u32_e64 s[12:13], s11, v10
	v_mov_b32_e32 v14, 0x7f800001
	s_and_saveexec_b64 s[26:27], s[12:13]
	s_cbranch_execz .LBB488_756
; %bb.755:
	v_and_b32_e32 v16, 7, v6
	v_ffbh_u32_e32 v14, v16
	v_min_u32_e32 v18, 32, v14
	v_subrev_u32_e32 v14, 28, v18
	v_lshlrev_b64 v[14:15], v14, v[6:7]
	v_lshrrev_b32_e32 v17, 3, v10
	v_sub_u32_e32 v15, 29, v18
	v_and_b32_e32 v14, 7, v14
	v_cmp_gt_u32_e64 s[12:13], 8, v10
	v_cndmask_b32_e64 v10, v17, v15, s[12:13]
	v_cndmask_b32_e64 v14, v16, v14, s[12:13]
	v_lshlrev_b32_e32 v6, 24, v6
	v_bfrev_b32_e32 v15, 60
	v_lshlrev_b32_e32 v14, 20, v14
	v_and_b32_e32 v6, 0x80000000, v6
	v_lshl_add_u32 v10, v10, 23, v15
	v_or3_b32 v14, v6, v10, v14
.LBB488_756:
	s_or_b64 exec, exec, s[26:27]
.LBB488_757:
	s_or_b64 exec, exec, s[24:25]
.LBB488_758:
	s_or_b64 exec, exec, s[14:15]
	v_mov_b32_e32 v6, v9
	v_cmp_ne_u16_sdwa s[12:13], v9, v7 src0_sel:BYTE_0 src1_sel:DWORD
	s_and_saveexec_b64 s[14:15], s[12:13]
	s_cbranch_execz .LBB488_764
; %bb.759:
	s_movk_i32 s11, 0x80
	v_cmp_ne_u16_sdwa s[12:13], v9, s11 src0_sel:BYTE_0 src1_sel:DWORD
	v_bfrev_b32_e32 v10, 1
	s_and_saveexec_b64 s[24:25], s[12:13]
	s_cbranch_execz .LBB488_763
; %bb.760:
	s_movk_i32 s11, 0x7f
	v_and_b32_e32 v15, 0x7f, v9
	v_cmp_ne_u32_e64 s[12:13], s11, v15
	v_mov_b32_e32 v10, 0x7f800001
	s_and_saveexec_b64 s[26:27], s[12:13]
	s_cbranch_execz .LBB488_762
; %bb.761:
	v_and_b32_e32 v10, 7, v9
	v_ffbh_u32_e32 v10, v10
	v_min_u32_e32 v10, 32, v10
	v_subrev_u32_e32 v17, 28, v10
	v_cmp_gt_u32_e64 s[12:13], 8, v15
	v_lshrrev_b32_e32 v16, 3, v15
	v_sub_u32_e32 v10, 29, v10
	v_cndmask_b32_e64 v15, 0, v17, s[12:13]
	v_cndmask_b32_e64 v10, v16, v10, s[12:13]
	v_lshlrev_b64 v[16:17], v15, v[6:7]
	v_lshlrev_b32_e32 v7, 20, v16
	v_lshlrev_b32_e32 v15, 24, v6
	v_bfrev_b32_e32 v16, 60
	v_and_b32_e32 v7, 0x700000, v7
	v_and_b32_e32 v15, 0x80000000, v15
	v_lshl_add_u32 v10, v10, 23, v16
	v_or3_b32 v10, v15, v10, v7
.LBB488_762:
	s_or_b64 exec, exec, s[26:27]
.LBB488_763:
	s_or_b64 exec, exec, s[24:25]
	v_mov_b32_e32 v7, v10
.LBB488_764:
	s_or_b64 exec, exec, s[14:15]
	v_lshrrev_b16_e32 v10, 8, v6
	v_cmp_ne_u16_e64 s[12:13], 0, v10
	v_mov_b32_e32 v15, 0
	v_mov_b32_e32 v16, 0
	s_and_saveexec_b64 s[14:15], s[12:13]
	s_cbranch_execz .LBB488_770
; %bb.765:
	s_movk_i32 s11, 0x80
	v_cmp_ne_u16_e64 s[12:13], s11, v10
	v_bfrev_b32_e32 v16, 1
	s_and_saveexec_b64 s[24:25], s[12:13]
	s_cbranch_execz .LBB488_769
; %bb.766:
	s_movk_i32 s11, 0x7f
	v_and_b32_e32 v17, 0x7f, v10
	v_cmp_ne_u32_e64 s[12:13], s11, v17
	v_mov_b32_e32 v16, 0x7f800001
	s_and_saveexec_b64 s[26:27], s[12:13]
	s_cbranch_execz .LBB488_768
; %bb.767:
	v_and_b32_e32 v16, 7, v10
	v_ffbh_u32_e32 v18, v16
	v_min_u32_e32 v21, 32, v18
	v_subrev_u32_e32 v18, 28, v21
	v_lshlrev_b64 v[18:19], v18, v[10:11]
	v_lshrrev_b32_e32 v20, 3, v17
	v_sub_u32_e32 v10, 29, v21
	v_and_b32_e32 v18, 7, v18
	v_cmp_gt_u32_e64 s[12:13], 8, v17
	v_cndmask_b32_e64 v10, v20, v10, s[12:13]
	v_cndmask_b32_e64 v16, v16, v18, s[12:13]
	v_lshlrev_b32_e32 v6, 16, v6
	v_bfrev_b32_e32 v17, 60
	v_lshlrev_b32_e32 v16, 20, v16
	v_and_b32_e32 v6, 0x80000000, v6
	v_lshl_add_u32 v10, v10, 23, v17
	v_or3_b32 v16, v6, v10, v16
.LBB488_768:
	s_or_b64 exec, exec, s[26:27]
.LBB488_769:
	s_or_b64 exec, exec, s[24:25]
.LBB488_770:
	s_or_b64 exec, exec, s[14:15]
	s_movk_i32 s11, 0xff
	v_and_b32_sdwa v10, v9, s11 dst_sel:DWORD dst_unused:UNUSED_PAD src0_sel:WORD_1 src1_sel:DWORD
	v_lshrrev_b32_e32 v6, 16, v9
	v_cmp_ne_u16_e64 s[12:13], 0, v10
	s_and_saveexec_b64 s[14:15], s[12:13]
	s_cbranch_execz .LBB488_776
; %bb.771:
	s_movk_i32 s11, 0x80
	v_cmp_ne_u16_e64 s[12:13], s11, v10
	v_bfrev_b32_e32 v15, 1
	s_and_saveexec_b64 s[24:25], s[12:13]
	s_cbranch_execz .LBB488_775
; %bb.772:
	v_bfe_u32 v10, v9, 16, 7
	s_movk_i32 s11, 0x7f
	v_cmp_ne_u32_e64 s[12:13], s11, v10
	v_mov_b32_e32 v15, 0x7f800001
	s_and_saveexec_b64 s[26:27], s[12:13]
	s_cbranch_execz .LBB488_774
; %bb.773:
	v_and_b32_e32 v15, 7, v6
	v_ffbh_u32_e32 v18, v15
	v_min_u32_e32 v20, 32, v18
	v_subrev_u32_e32 v18, 28, v20
	v_lshlrev_b64 v[18:19], v18, v[6:7]
	v_and_b32_e32 v18, 7, v18
	v_cmp_gt_u32_e64 s[12:13], 8, v10
	v_lshrrev_b32_e32 v17, 3, v10
	v_sub_u32_e32 v6, 29, v20
	v_cndmask_b32_e64 v10, v15, v18, s[12:13]
	v_mov_b32_e32 v15, 24
	v_cndmask_b32_e64 v6, v17, v6, s[12:13]
	v_lshlrev_b32_sdwa v15, v15, v9 dst_sel:DWORD dst_unused:UNUSED_PAD src0_sel:DWORD src1_sel:WORD_1
	v_bfrev_b32_e32 v17, 60
	v_lshlrev_b32_e32 v10, 20, v10
	v_and_b32_e32 v15, 0x80000000, v15
	v_lshl_add_u32 v6, v6, 23, v17
	v_or3_b32 v15, v15, v6, v10
.LBB488_774:
	s_or_b64 exec, exec, s[26:27]
.LBB488_775:
	s_or_b64 exec, exec, s[24:25]
.LBB488_776:
	s_or_b64 exec, exec, s[14:15]
	s_mov_b32 s12, -1
	s_mov_b32 s13, 0xffffff
	v_cmp_lt_u64_e64 s[12:13], s[12:13], v[8:9]
	v_mov_b32_e32 v8, 0
	s_and_saveexec_b64 s[14:15], s[12:13]
	s_cbranch_execz .LBB488_782
; %bb.777:
	v_lshrrev_b32_e32 v6, 24, v9
	s_movk_i32 s11, 0x80
	v_cmp_ne_u32_e64 s[12:13], s11, v6
	v_bfrev_b32_e32 v8, 1
	s_and_saveexec_b64 s[24:25], s[12:13]
	s_cbranch_execz .LBB488_781
; %bb.778:
	v_bfe_u32 v9, v9, 24, 7
	s_movk_i32 s11, 0x7f
	v_cmp_ne_u32_e64 s[12:13], s11, v9
	v_mov_b32_e32 v8, 0x7f800001
	s_and_saveexec_b64 s[26:27], s[12:13]
	s_cbranch_execz .LBB488_780
; %bb.779:
	v_and_b32_e32 v8, 7, v6
	v_ffbh_u32_e32 v17, v8
	v_min_u32_e32 v17, 32, v17
	v_subrev_u32_e32 v18, 28, v17
	v_lshlrev_b64 v[18:19], v18, v[6:7]
	v_lshrrev_b32_e32 v10, 3, v9
	v_sub_u32_e32 v17, 29, v17
	v_and_b32_e32 v18, 7, v18
	v_cmp_gt_u32_e64 s[12:13], 8, v9
	v_cndmask_b32_e64 v9, v10, v17, s[12:13]
	v_cndmask_b32_e64 v8, v8, v18, s[12:13]
	v_lshlrev_b32_e32 v6, 24, v6
	v_bfrev_b32_e32 v10, 60
	v_lshlrev_b32_e32 v8, 20, v8
	v_and_b32_e32 v6, 0x80000000, v6
	v_lshl_add_u32 v9, v9, 23, v10
	v_or3_b32 v8, v6, v9, v8
.LBB488_780:
	s_or_b64 exec, exec, s[26:27]
.LBB488_781:
	s_or_b64 exec, exec, s[24:25]
.LBB488_782:
	s_or_b64 exec, exec, s[14:15]
	s_load_dword s4, s[4:5], 0x1c
	v_cvt_pkrtz_f16_f32 v10, v12, v13
	v_cvt_pkrtz_f16_f32 v11, v11, v14
	s_load_dword s5, s[16:17], 0x0
	v_cvt_pkrtz_f16_f32 v6, v7, v16
	v_mfma_f32_4x4x4f16 a[0:3], v[2:3], v[10:11], a[0:3] cbsz:4 abid:15
	v_cvt_pkrtz_f16_f32 v7, v15, v8
	s_waitcnt lgkmcnt(0)
	v_mov_b32_e32 v2, s4
	v_mfma_f32_4x4x4f16 a[0:3], v[4:5], v[6:7], a[0:3] cbsz:4 abid:15
	v_mul_f32_e32 v4, s5, v2
	v_cmp_eq_u32_e64 s[4:5], 0, v43
	s_nop 2
	v_accvgpr_read_b32 v7, a1
	v_accvgpr_read_b32 v6, a0
	v_pk_mul_f32 v[6:7], v[6:7], v[4:5] op_sel_hi:[1,0]
	v_accvgpr_read_b32 v3, a3
	v_accvgpr_read_b32 v2, a2
	v_pk_mul_f32 v[2:3], v[2:3], v[4:5] op_sel_hi:[1,0]
	v_cndmask_b32_e64 v4, 0, 1.0, s[4:5]
	v_cmp_eq_u32_e64 s[4:5], 1, v43
	s_nop 0
	v_mfma_f32_4x4x1f32 a[0:3], v6, v4, 0
	v_cndmask_b32_e64 v4, 0, 1.0, s[4:5]
	v_cmp_eq_u32_e64 s[4:5], 2, v43
	v_mov_b32_e32 v6, 0xff7fffff
	v_mfma_f32_4x4x1f32 a[0:3], v7, v4, a[0:3]
	v_cndmask_b32_e64 v4, 0, 1.0, s[4:5]
	s_nop 1
	v_mfma_f32_4x4x1f32 a[0:3], v2, v4, a[0:3]
	v_cndmask_b32_e64 v2, 0, 1.0, vcc
	s_nop 1
	v_mfma_f32_4x4x1f32 a[0:3], v3, v2, a[0:3]
	v_and_b32_e32 v2, -4, v44
	v_cmp_gt_i32_e32 vcc, s9, v2
	v_lshlrev_b32_e32 v3, 2, v0
	v_and_or_b32 v3, v3, 48, v43
	v_lshlrev_b32_e32 v10, 2, v3
	v_accvgpr_read_b32 v4, a0
	v_max_f32_e32 v5, v4, v4
	v_max_f32_e32 v5, 0xff7fffff, v5
	v_accvgpr_read_b32 v7, a1
	v_cndmask_b32_e32 v5, v6, v5, vcc
	v_or_b32_e32 v6, 1, v2
	v_max_f32_e32 v8, v7, v7
	v_max_f32_e32 v8, v5, v8
	v_cmp_gt_i32_e64 s[4:5], s9, v6
	v_cndmask_b32_e64 v5, v5, v8, s[4:5]
	v_accvgpr_read_b32 v8, a2
	v_or_b32_e32 v2, 2, v2
	v_max_f32_e32 v6, v8, v8
	v_max_f32_e32 v6, v5, v6
	v_cmp_gt_i32_e64 s[12:13], s9, v2
	v_accvgpr_read_b32 v9, a3
	v_cndmask_b32_e64 v2, v5, v6, s[12:13]
	v_or_b32_e32 v5, 3, v44
	v_max_f32_e32 v6, v9, v9
	v_max_f32_e32 v6, v2, v6
	v_cmp_gt_i32_e64 s[14:15], s9, v5
	v_cndmask_b32_e64 v2, v2, v6, s[14:15]
	;;#ASMSTART
	v_nop
 v_nop
 v_max_f32_dpp v2, v2, v2 row_ror:4
	;;#ASMEND
	;;#ASMSTART
	v_nop
 v_nop
 v_max_f32_dpp v2, v2, v2 row_ror:8
	;;#ASMEND
	ds_bpermute_b32 v2, v10, v2
	s_waitcnt lgkmcnt(0)
	;;#ASMSTART
	v_nop
 v_nop
 v_max_f32_dpp v2, v2, v2 row_ror:4
	;;#ASMEND
	;;#ASMSTART
	v_nop
 v_nop
 v_max_f32_dpp v6, v2, v2 row_ror:8
	;;#ASMEND
	v_sub_f32_e32 v2, v4, v6
	v_mul_f32_e32 v2, 0x3fb8aa3b, v2
	v_sub_f32_e32 v3, v7, v6
	v_exp_f32_e32 v2, v2
	v_mul_f32_e32 v3, 0x3fb8aa3b, v3
	v_sub_f32_e32 v5, v8, v6
	v_exp_f32_e32 v3, v3
	;; [unrolled: 3-line block ×3, first 2 shown]
	v_mul_f32_e32 v7, 0x3fb8aa3b, v7
	v_exp_f32_e32 v7, v7
	v_cndmask_b32_e32 v2, 0, v2, vcc
	v_add_f32_e32 v4, 0, v2
	v_cndmask_b32_e64 v3, 0, v3, s[4:5]
	v_add_f32_e32 v8, v4, v3
	v_cndmask_b32_e64 v4, 0, v5, s[12:13]
	;; [unrolled: 2-line block ×3, first 2 shown]
	v_add_f32_e32 v7, v8, v5
	;;#ASMSTART
	v_nop
 v_nop
 v_add_f32_dpp v7, v7, v7 row_ror:4
	;;#ASMEND
	;;#ASMSTART
	v_nop
 v_nop
 v_add_f32_dpp v7, v7, v7 row_ror:8
	;;#ASMEND
	ds_bpermute_b32 v7, v10, v7
	s_waitcnt lgkmcnt(0)
	;;#ASMSTART
	v_nop
 v_nop
 v_add_f32_dpp v7, v7, v7 row_ror:4
	;;#ASMEND
	v_cmp_gt_u32_e32 vcc, 4, v1
	;;#ASMSTART
	v_nop
 v_nop
 v_add_f32_dpp v7, v7, v7 row_ror:8
	;;#ASMEND
	s_and_saveexec_b64 s[4:5], vcc
	s_cbranch_execz .LBB488_784
; %bb.783:
	v_mul_u32_u24_e32 v8, 20, v42
	v_lshl_add_u32 v8, v43, 2, v8
	v_add_u32_e32 v8, 0x1400, v8
	ds_write2_b32 v8, v6, v7 offset1:20
.LBB488_784:
	s_or_b64 exec, exec, s[4:5]
.LBB488_785:
	s_or_b64 exec, exec, s[40:41]
	s_waitcnt lgkmcnt(0)
	s_barrier
	s_load_dword s4, s[38:39], 0x8
	v_lshlrev_b32_e32 v7, 2, v43
	v_add_u32_e32 v7, 0x1400, v7
	ds_read2_b32 v[10:11], v7 offset1:5
	ds_read2_b32 v[12:13], v7 offset0:10 offset1:15
	s_mul_i32 s5, s8, s33
	s_waitcnt lgkmcnt(0)
	s_mul_i32 s4, s5, s4
	s_mov_b32 s5, 0xff7fffff
	v_max3_f32 v8, v10, s5, v11
	v_max3_f32 v8, v8, v12, v13
	v_sub_f32_e32 v9, v10, v8
	v_sub_f32_e32 v10, v11, v8
	ds_read2_b32 v[14:15], v7 offset0:20 offset1:25
	v_mul_f32_e32 v9, 0x3fb8aa3b, v9
	v_mul_f32_e32 v10, 0x3fb8aa3b, v10
	v_exp_f32_e32 v9, v9
	v_exp_f32_e32 v16, v10
	ds_read2_b32 v[10:11], v7 offset0:30 offset1:35
	v_sub_f32_e32 v7, v12, v8
	v_mul_f32_e32 v7, 0x3fb8aa3b, v7
	v_sub_f32_e32 v12, v13, v8
	v_exp_f32_e32 v7, v7
	v_mul_f32_e32 v12, 0x3fb8aa3b, v12
	v_exp_f32_e32 v12, v12
	s_waitcnt lgkmcnt(1)
	v_fma_f32 v9, v9, v14, 0
	v_fmac_f32_e32 v9, v16, v15
	s_waitcnt lgkmcnt(0)
	v_fmac_f32_e32 v9, v7, v10
	s_mul_i32 s24, s10, 3
	s_mul_i32 s4, s4, 3
	v_fmac_f32_e32 v9, v12, v11
	v_cmp_ne_u32_e32 vcc, 3, v43
	s_and_saveexec_b64 s[8:9], vcc
	s_cbranch_execz .LBB488_787
; %bb.786:
	s_mov_b32 s5, 0
	s_lshl_b64 s[10:11], s[4:5], 2
	s_add_u32 s14, s20, s10
	s_mov_b32 s35, s5
	s_addc_u32 s15, s21, s11
	s_lshl_b64 s[12:13], s[34:35], 2
	s_add_u32 s5, s14, s12
	s_addc_u32 s14, s15, s13
	v_add_u32_e32 v7, s24, v43
	s_add_u32 s10, s22, s10
	v_mul_lo_u32 v10, s33, v7
	v_mov_b32_e32 v11, 0
	s_addc_u32 s11, s23, s11
	v_lshlrev_b64 v[10:11], 2, v[10:11]
	s_add_u32 s10, s10, s12
	v_mov_b32_e32 v7, s14
	v_add_co_u32_e32 v12, vcc, s5, v10
	s_addc_u32 s11, s11, s13
	v_addc_co_u32_e32 v13, vcc, v7, v11, vcc
	v_mov_b32_e32 v7, s11
	v_add_co_u32_e32 v10, vcc, s10, v10
	v_addc_co_u32_e32 v11, vcc, v7, v11, vcc
	global_store_dword v[10:11], v8, off
	global_store_dword v[12:13], v9, off
.LBB488_787:
	s_or_b64 exec, exec, s[8:9]
	v_lshlrev_b32_e32 v7, 3, v42
	s_and_saveexec_b64 s[8:9], s[6:7]
	s_xor_b64 s[6:7], exec, s[8:9]
	s_cbranch_execz .LBB488_789
; %bb.788:
	s_mov_b32 s8, 0
	s_mov_b32 s9, s8
	v_mad_u32_u24 v4, v1, 40, v7
	v_pk_mov_b32 v[2:3], s[8:9], s[8:9] op_sel:[0,1]
	ds_write2st64_b64 v4, v[2:3], v[2:3] offset1:5
                                        ; implicit-def: $vgpr7
                                        ; implicit-def: $vgpr6
                                        ; implicit-def: $vgpr8
                                        ; implicit-def: $vgpr9
                                        ; implicit-def: $vgpr4
                                        ; implicit-def: $vgpr2
.LBB488_789:
	s_andn2_saveexec_b64 s[6:7], s[6:7]
	s_cbranch_execz .LBB488_1176
; %bb.790:
	v_add_f32_e32 v9, 0x358637bd, v9
	v_div_scale_f32 v10, s[8:9], v9, v9, 1.0
	v_rcp_f32_e32 v11, v10
	v_sub_f32_e32 v6, v6, v8
	v_mul_f32_e32 v6, 0x3fb8aa3b, v6
	v_exp_f32_e32 v6, v6
	v_fma_f32 v8, -v10, v11, 1.0
	v_fmac_f32_e32 v11, v8, v11
	v_div_scale_f32 v8, vcc, 1.0, v9, 1.0
	v_mul_f32_e32 v12, v8, v11
	v_fma_f32 v13, -v10, v12, v8
	v_fmac_f32_e32 v12, v13, v11
	v_fma_f32 v8, -v10, v12, v8
	v_div_fmas_f32 v8, v8, v11, v12
	v_div_fixup_f32 v8, v8, v9, 1.0
	v_mul_f32_e32 v6, v6, v8
	v_pk_mul_f32 v[4:5], v[4:5], v[6:7] op_sel_hi:[1,0]
	v_pk_mul_f32 v[2:3], v[2:3], v[6:7] op_sel_hi:[1,0]
	s_load_dword s8, s[18:19], 0x0
	v_cvt_f16_f32_e32 v2, v2
	v_cvt_f16_f32_e32 v3, v3
	v_cvt_f16_f32_e32 v4, v4
	v_cvt_f16_f32_e32 v6, v5
	v_mov_b32_e32 v11, 0
	v_add_u32_e32 v5, 64, v11
	v_pack_b32_f16 v2, v2, v3
	v_pack_b32_f16 v3, v4, v6
	s_waitcnt lgkmcnt(0)
	s_mov_b32 s9, s8
	s_mov_b32 s10, s8
	;; [unrolled: 1-line block ×4, first 2 shown]
	s_mov_b64 s[12:13], -1
	s_movk_i32 s5, 0x80
	s_movk_i32 s21, 0x7f
	s_mov_b32 s22, 0xffffff
	v_mov_b32_e32 v9, 0
	v_bfrev_b32_e32 v10, 60
	s_branch .LBB488_794
.LBB488_791:                            ;   in Loop: Header=BB488_794 Depth=1
	s_or_b64 exec, exec, s[18:19]
.LBB488_792:                            ;   in Loop: Header=BB488_794 Depth=1
	s_or_b64 exec, exec, s[16:17]
.LBB488_793:                            ;   in Loop: Header=BB488_794 Depth=1
	s_or_b64 exec, exec, s[14:15]
	v_cvt_pkrtz_f16_f32 v12, v13, v12
	v_cvt_pkrtz_f16_f32 v13, v11, v15
	;; [unrolled: 1-line block ×4, first 2 shown]
	v_mfma_f32_4x4x4f16 a[0:3], v[2:3], v[12:13], a[0:3] cbsz:4 abid:14
	s_mul_i32 s14, s20, 0xa00
	v_mfma_f32_4x4x4f16 a[0:3], v[2:3], v[14:15], a[0:3] cbsz:4 abid:15
	s_mov_b32 s20, 1
	s_nop 3
	v_accvgpr_read_b32 v15, a1
	v_accvgpr_read_b32 v14, a0
	v_pk_mul_f32 v[14:15], v[14:15], s[8:9]
	v_accvgpr_read_b32 v13, a3
	v_accvgpr_read_b32 v12, a2
	v_cvt_f16_f32_e32 v4, v14
	v_cvt_f16_f32_e32 v6, v15
	v_pk_mul_f32 v[12:13], v[12:13], s[10:11]
	v_cvt_f16_f32_e32 v8, v12
	v_cvt_f16_f32_e32 v11, v13
	v_pack_b32_f16 v12, v4, v6
	v_mul_u32_u24_e32 v4, 40, v1
	v_add3_u32 v4, s14, v4, v7
	s_xor_b64 s[14:15], s[12:13], -1
	v_pack_b32_f16 v13, v8, v11
	s_mov_b64 s[12:13], 0
	s_andn2_b64 vcc, exec, s[14:15]
	v_mov_b32_e32 v11, v5
	ds_write_b64 v4, v[12:13]
	s_cbranch_vccz .LBB488_1176
.LBB488_794:                            ; =>This Inner Loop Header: Depth=1
	buffer_load_dword v6, v11, s[0:3], 0 offen
	buffer_load_dword v4, v11, s[0:3], 0 offen offset:4
	v_mov_b32_e32 v13, 0
	s_waitcnt vmcnt(1)
	v_cmp_ne_u16_sdwa s[16:17], v6, v9 src0_sel:BYTE_0 src1_sel:DWORD
	s_and_saveexec_b64 s[14:15], s[16:17]
	s_cbranch_execz .LBB488_800
; %bb.795:                              ;   in Loop: Header=BB488_794 Depth=1
	v_cmp_ne_u16_sdwa s[18:19], v6, s5 src0_sel:BYTE_0 src1_sel:DWORD
	v_bfrev_b32_e32 v13, 1
	s_and_saveexec_b64 s[16:17], s[18:19]
	s_cbranch_execz .LBB488_799
; %bb.796:                              ;   in Loop: Header=BB488_794 Depth=1
	v_and_b32_e32 v8, 0x7f, v6
	v_cmp_ne_u32_e32 vcc, s21, v8
	v_mov_b32_e32 v13, 0x7f800001
	s_and_saveexec_b64 s[18:19], vcc
	s_cbranch_execz .LBB488_798
; %bb.797:                              ;   in Loop: Header=BB488_794 Depth=1
	v_and_b32_e32 v14, 7, v6
	v_ffbh_u32_e32 v12, v14
	v_min_u32_e32 v16, 32, v12
	v_subrev_u32_e32 v12, 28, v16
	v_lshlrev_b64 v[12:13], v12, v[6:7]
	v_lshrrev_b32_e32 v15, 3, v8
	v_sub_u32_e32 v13, 29, v16
	v_and_b32_e32 v12, 7, v12
	v_cmp_gt_u32_e32 vcc, 8, v8
	v_cndmask_b32_e32 v8, v15, v13, vcc
	v_cndmask_b32_e32 v12, v14, v12, vcc
	v_lshlrev_b32_e32 v13, 24, v6
	v_lshlrev_b32_e32 v12, 20, v12
	v_and_b32_e32 v13, 0x80000000, v13
	v_lshl_add_u32 v8, v8, 23, v10
	v_or3_b32 v13, v13, v8, v12
.LBB488_798:                            ;   in Loop: Header=BB488_794 Depth=1
	s_or_b64 exec, exec, s[18:19]
.LBB488_799:                            ;   in Loop: Header=BB488_794 Depth=1
	s_or_b64 exec, exec, s[16:17]
.LBB488_800:                            ;   in Loop: Header=BB488_794 Depth=1
	s_or_b64 exec, exec, s[14:15]
	v_lshrrev_b16_e32 v8, 8, v6
	v_cmp_ne_u16_e32 vcc, 0, v8
	v_mov_b32_e32 v14, 0
	v_mov_b32_e32 v15, 0
	s_and_saveexec_b64 s[14:15], vcc
	s_cbranch_execz .LBB488_806
; %bb.801:                              ;   in Loop: Header=BB488_794 Depth=1
	v_cmp_ne_u16_e32 vcc, s5, v8
	v_bfrev_b32_e32 v15, 1
	s_and_saveexec_b64 s[16:17], vcc
	s_cbranch_execz .LBB488_805
; %bb.802:                              ;   in Loop: Header=BB488_794 Depth=1
	v_and_b32_e32 v12, 0x7f, v8
	v_cmp_ne_u32_e32 vcc, s21, v12
	v_mov_b32_e32 v15, 0x7f800001
	s_and_saveexec_b64 s[18:19], vcc
	s_cbranch_execz .LBB488_804
; %bb.803:                              ;   in Loop: Header=BB488_794 Depth=1
	v_and_b32_e32 v15, 7, v8
	v_ffbh_u32_e32 v16, v15
	v_min_u32_e32 v19, 32, v16
	v_subrev_u32_e32 v16, 28, v19
	v_lshlrev_b64 v[16:17], v16, v[8:9]
	v_lshrrev_b32_e32 v18, 3, v12
	v_sub_u32_e32 v8, 29, v19
	v_and_b32_e32 v16, 7, v16
	v_cmp_gt_u32_e32 vcc, 8, v12
	v_cndmask_b32_e32 v8, v18, v8, vcc
	v_cndmask_b32_e32 v12, v15, v16, vcc
	v_lshlrev_b32_e32 v15, 16, v6
	v_lshlrev_b32_e32 v12, 20, v12
	v_and_b32_e32 v15, 0x80000000, v15
	v_lshl_add_u32 v8, v8, 23, v10
	v_or3_b32 v15, v15, v8, v12
.LBB488_804:                            ;   in Loop: Header=BB488_794 Depth=1
	s_or_b64 exec, exec, s[18:19]
.LBB488_805:                            ;   in Loop: Header=BB488_794 Depth=1
	s_or_b64 exec, exec, s[16:17]
.LBB488_806:                            ;   in Loop: Header=BB488_794 Depth=1
	s_or_b64 exec, exec, s[14:15]
	v_lshrrev_b32_e32 v8, 16, v6
	v_cmp_ne_u16_sdwa s[16:17], v8, v9 src0_sel:BYTE_0 src1_sel:DWORD
	s_and_saveexec_b64 s[14:15], s[16:17]
	s_cbranch_execz .LBB488_812
; %bb.807:                              ;   in Loop: Header=BB488_794 Depth=1
	v_cmp_ne_u16_sdwa s[18:19], v8, s5 src0_sel:BYTE_0 src1_sel:DWORD
	v_bfrev_b32_e32 v14, 1
	s_and_saveexec_b64 s[16:17], s[18:19]
	s_cbranch_execz .LBB488_811
; %bb.808:                              ;   in Loop: Header=BB488_794 Depth=1
	v_bfe_u32 v12, v6, 16, 7
	v_cmp_ne_u32_e32 vcc, s21, v12
	v_mov_b32_e32 v14, 0x7f800001
	s_and_saveexec_b64 s[18:19], vcc
	s_cbranch_execz .LBB488_810
; %bb.809:                              ;   in Loop: Header=BB488_794 Depth=1
	v_and_b32_e32 v14, 7, v8
	v_ffbh_u32_e32 v16, v14
	v_min_u32_e32 v19, 32, v16
	v_subrev_u32_e32 v16, 28, v19
	v_lshlrev_b64 v[16:17], v16, v[8:9]
	v_lshrrev_b32_e32 v18, 3, v12
	v_sub_u32_e32 v17, 29, v19
	v_and_b32_e32 v16, 7, v16
	v_cmp_gt_u32_e32 vcc, 8, v12
	v_cndmask_b32_e32 v12, v18, v17, vcc
	v_cndmask_b32_e32 v14, v14, v16, vcc
	v_lshlrev_b32_e32 v8, 24, v8
	v_lshlrev_b32_e32 v14, 20, v14
	v_and_b32_e32 v8, 0x80000000, v8
	v_lshl_add_u32 v12, v12, 23, v10
	v_or3_b32 v14, v8, v12, v14
.LBB488_810:                            ;   in Loop: Header=BB488_794 Depth=1
	s_or_b64 exec, exec, s[18:19]
.LBB488_811:                            ;   in Loop: Header=BB488_794 Depth=1
	s_or_b64 exec, exec, s[16:17]
.LBB488_812:                            ;   in Loop: Header=BB488_794 Depth=1
	s_or_b64 exec, exec, s[14:15]
	v_cmp_lt_u32_e32 vcc, s22, v6
	v_mov_b32_e32 v16, 0
	v_mov_b32_e32 v17, 0
	s_and_saveexec_b64 s[14:15], vcc
	s_cbranch_execz .LBB488_818
; %bb.813:                              ;   in Loop: Header=BB488_794 Depth=1
	v_lshrrev_b32_e32 v8, 24, v6
	v_cmp_ne_u32_e32 vcc, s5, v8
	v_bfrev_b32_e32 v17, 1
	s_and_saveexec_b64 s[16:17], vcc
	s_cbranch_execz .LBB488_817
; %bb.814:                              ;   in Loop: Header=BB488_794 Depth=1
	v_bfe_u32 v6, v6, 24, 7
	v_cmp_ne_u32_e32 vcc, s21, v6
	v_mov_b32_e32 v17, 0x7f800001
	s_and_saveexec_b64 s[18:19], vcc
	s_cbranch_execz .LBB488_816
; %bb.815:                              ;   in Loop: Header=BB488_794 Depth=1
	v_and_b32_e32 v12, 7, v8
	v_ffbh_u32_e32 v18, v12
	v_min_u32_e32 v20, 32, v18
	v_subrev_u32_e32 v18, 28, v20
	v_lshlrev_b64 v[18:19], v18, v[8:9]
	v_lshrrev_b32_e32 v17, 3, v6
	v_sub_u32_e32 v19, 29, v20
	v_and_b32_e32 v18, 7, v18
	v_cmp_gt_u32_e32 vcc, 8, v6
	v_cndmask_b32_e32 v6, v17, v19, vcc
	v_cndmask_b32_e32 v12, v12, v18, vcc
	v_lshlrev_b32_e32 v8, 24, v8
	v_lshlrev_b32_e32 v12, 20, v12
	v_and_b32_e32 v8, 0x80000000, v8
	v_lshl_add_u32 v6, v6, 23, v10
	v_or3_b32 v17, v8, v6, v12
.LBB488_816:                            ;   in Loop: Header=BB488_794 Depth=1
	s_or_b64 exec, exec, s[18:19]
.LBB488_817:                            ;   in Loop: Header=BB488_794 Depth=1
	s_or_b64 exec, exec, s[16:17]
.LBB488_818:                            ;   in Loop: Header=BB488_794 Depth=1
	s_or_b64 exec, exec, s[14:15]
	s_waitcnt vmcnt(0)
	v_cmp_ne_u16_sdwa s[16:17], v4, v9 src0_sel:BYTE_0 src1_sel:DWORD
	s_and_saveexec_b64 s[14:15], s[16:17]
	s_cbranch_execz .LBB488_824
; %bb.819:                              ;   in Loop: Header=BB488_794 Depth=1
	v_cmp_ne_u16_sdwa s[18:19], v4, s5 src0_sel:BYTE_0 src1_sel:DWORD
	v_bfrev_b32_e32 v16, 1
	s_and_saveexec_b64 s[16:17], s[18:19]
	s_cbranch_execz .LBB488_823
; %bb.820:                              ;   in Loop: Header=BB488_794 Depth=1
	v_and_b32_e32 v6, 0x7f, v4
	v_cmp_ne_u32_e32 vcc, s21, v6
	v_mov_b32_e32 v16, 0x7f800001
	s_and_saveexec_b64 s[18:19], vcc
	s_cbranch_execz .LBB488_822
; %bb.821:                              ;   in Loop: Header=BB488_794 Depth=1
	v_and_b32_e32 v8, 7, v4
	v_ffbh_u32_e32 v16, v8
	v_min_u32_e32 v16, 32, v16
	v_subrev_u32_e32 v18, 28, v16
	v_lshlrev_b64 v[18:19], v18, v[4:5]
	v_lshrrev_b32_e32 v12, 3, v6
	v_sub_u32_e32 v16, 29, v16
	v_and_b32_e32 v18, 7, v18
	v_cmp_gt_u32_e32 vcc, 8, v6
	v_cndmask_b32_e32 v6, v12, v16, vcc
	v_cndmask_b32_e32 v8, v8, v18, vcc
	v_lshlrev_b32_e32 v12, 24, v4
	v_lshlrev_b32_e32 v8, 20, v8
	v_and_b32_e32 v12, 0x80000000, v12
	v_lshl_add_u32 v6, v6, 23, v10
	v_or3_b32 v16, v12, v6, v8
.LBB488_822:                            ;   in Loop: Header=BB488_794 Depth=1
	s_or_b64 exec, exec, s[18:19]
.LBB488_823:                            ;   in Loop: Header=BB488_794 Depth=1
	s_or_b64 exec, exec, s[16:17]
.LBB488_824:                            ;   in Loop: Header=BB488_794 Depth=1
	s_or_b64 exec, exec, s[14:15]
	v_lshrrev_b16_e32 v6, 8, v4
	v_cmp_ne_u16_e32 vcc, 0, v6
	v_mov_b32_e32 v8, 0
	v_mov_b32_e32 v18, 0
	s_and_saveexec_b64 s[14:15], vcc
	s_cbranch_execz .LBB488_830
; %bb.825:                              ;   in Loop: Header=BB488_794 Depth=1
	v_cmp_ne_u16_e32 vcc, s5, v6
	v_bfrev_b32_e32 v18, 1
	s_and_saveexec_b64 s[16:17], vcc
	s_cbranch_execz .LBB488_829
; %bb.826:                              ;   in Loop: Header=BB488_794 Depth=1
	v_and_b32_e32 v12, 0x7f, v6
	v_cmp_ne_u32_e32 vcc, s21, v12
	v_mov_b32_e32 v18, 0x7f800001
	s_and_saveexec_b64 s[18:19], vcc
	s_cbranch_execz .LBB488_828
; %bb.827:                              ;   in Loop: Header=BB488_794 Depth=1
	v_and_b32_e32 v20, 7, v6
	v_ffbh_u32_e32 v18, v20
	v_min_u32_e32 v22, 32, v18
	v_subrev_u32_e32 v18, 28, v22
	v_lshlrev_b64 v[18:19], v18, v[6:7]
	v_lshrrev_b32_e32 v21, 3, v12
	v_sub_u32_e32 v6, 29, v22
	v_and_b32_e32 v18, 7, v18
	v_cmp_gt_u32_e32 vcc, 8, v12
	v_cndmask_b32_e32 v6, v21, v6, vcc
	v_cndmask_b32_e32 v12, v20, v18, vcc
	v_lshlrev_b32_e32 v18, 16, v4
	v_lshlrev_b32_e32 v12, 20, v12
	v_and_b32_e32 v18, 0x80000000, v18
	v_lshl_add_u32 v6, v6, 23, v10
	v_or3_b32 v18, v18, v6, v12
.LBB488_828:                            ;   in Loop: Header=BB488_794 Depth=1
	s_or_b64 exec, exec, s[18:19]
.LBB488_829:                            ;   in Loop: Header=BB488_794 Depth=1
	s_or_b64 exec, exec, s[16:17]
.LBB488_830:                            ;   in Loop: Header=BB488_794 Depth=1
	s_or_b64 exec, exec, s[14:15]
	v_lshrrev_b32_e32 v6, 16, v4
	v_cmp_ne_u16_sdwa s[16:17], v6, v9 src0_sel:BYTE_0 src1_sel:DWORD
	s_and_saveexec_b64 s[14:15], s[16:17]
	s_cbranch_execz .LBB488_836
; %bb.831:                              ;   in Loop: Header=BB488_794 Depth=1
	v_cmp_ne_u16_sdwa s[18:19], v6, s5 src0_sel:BYTE_0 src1_sel:DWORD
	v_bfrev_b32_e32 v8, 1
	s_and_saveexec_b64 s[16:17], s[18:19]
	s_cbranch_execz .LBB488_835
; %bb.832:                              ;   in Loop: Header=BB488_794 Depth=1
	v_bfe_u32 v12, v4, 16, 7
	v_cmp_ne_u32_e32 vcc, s21, v12
	v_mov_b32_e32 v8, 0x7f800001
	s_and_saveexec_b64 s[18:19], vcc
	s_cbranch_execz .LBB488_834
; %bb.833:                              ;   in Loop: Header=BB488_794 Depth=1
	v_and_b32_e32 v8, 7, v6
	v_ffbh_u32_e32 v20, v8
	v_min_u32_e32 v22, 32, v20
	v_subrev_u32_e32 v20, 28, v22
	v_lshlrev_b64 v[20:21], v20, v[6:7]
	v_lshrrev_b32_e32 v19, 3, v12
	v_sub_u32_e32 v21, 29, v22
	v_and_b32_e32 v20, 7, v20
	v_cmp_gt_u32_e32 vcc, 8, v12
	v_cndmask_b32_e32 v12, v19, v21, vcc
	v_cndmask_b32_e32 v8, v8, v20, vcc
	v_lshlrev_b32_e32 v6, 24, v6
	v_lshlrev_b32_e32 v8, 20, v8
	v_and_b32_e32 v6, 0x80000000, v6
	v_lshl_add_u32 v12, v12, 23, v10
	v_or3_b32 v8, v6, v12, v8
.LBB488_834:                            ;   in Loop: Header=BB488_794 Depth=1
	s_or_b64 exec, exec, s[18:19]
.LBB488_835:                            ;   in Loop: Header=BB488_794 Depth=1
	s_or_b64 exec, exec, s[16:17]
.LBB488_836:                            ;   in Loop: Header=BB488_794 Depth=1
	s_or_b64 exec, exec, s[14:15]
	v_cmp_lt_u32_e32 vcc, s22, v4
	v_mov_b32_e32 v12, 0
	v_mov_b32_e32 v19, 0
	s_and_saveexec_b64 s[14:15], vcc
	s_cbranch_execz .LBB488_842
; %bb.837:                              ;   in Loop: Header=BB488_794 Depth=1
	v_lshrrev_b32_e32 v6, 24, v4
	v_cmp_ne_u32_e32 vcc, s5, v6
	v_bfrev_b32_e32 v19, 1
	s_and_saveexec_b64 s[16:17], vcc
	s_cbranch_execz .LBB488_841
; %bb.838:                              ;   in Loop: Header=BB488_794 Depth=1
	v_bfe_u32 v4, v4, 24, 7
	v_cmp_ne_u32_e32 vcc, s21, v4
	v_mov_b32_e32 v19, 0x7f800001
	s_and_saveexec_b64 s[18:19], vcc
	s_cbranch_execz .LBB488_840
; %bb.839:                              ;   in Loop: Header=BB488_794 Depth=1
	v_and_b32_e32 v19, 7, v6
	v_ffbh_u32_e32 v20, v19
	v_min_u32_e32 v23, 32, v20
	v_subrev_u32_e32 v20, 28, v23
	v_lshlrev_b64 v[20:21], v20, v[6:7]
	v_lshrrev_b32_e32 v22, 3, v4
	v_sub_u32_e32 v21, 29, v23
	v_and_b32_e32 v20, 7, v20
	v_cmp_gt_u32_e32 vcc, 8, v4
	v_cndmask_b32_e32 v4, v22, v21, vcc
	v_cndmask_b32_e32 v19, v19, v20, vcc
	v_lshlrev_b32_e32 v6, 24, v6
	v_lshlrev_b32_e32 v19, 20, v19
	v_and_b32_e32 v6, 0x80000000, v6
	v_lshl_add_u32 v4, v4, 23, v10
	v_or3_b32 v19, v6, v4, v19
.LBB488_840:                            ;   in Loop: Header=BB488_794 Depth=1
	s_or_b64 exec, exec, s[18:19]
.LBB488_841:                            ;   in Loop: Header=BB488_794 Depth=1
	s_or_b64 exec, exec, s[16:17]
.LBB488_842:                            ;   in Loop: Header=BB488_794 Depth=1
	s_or_b64 exec, exec, s[14:15]
	buffer_load_dword v6, v11, s[0:3], 0 offen offset:8
	buffer_load_dword v4, v11, s[0:3], 0 offen offset:12
	v_cvt_pkrtz_f16_f32 v20, v13, v15
	v_cvt_pkrtz_f16_f32 v21, v14, v17
	v_cvt_pkrtz_f16_f32 v14, v16, v18
	v_cvt_pkrtz_f16_f32 v15, v8, v19
	v_mfma_f32_4x4x4f16 a[0:3], v[2:3], v[20:21], 0 cbsz:4
	s_waitcnt vmcnt(1)
	v_cmp_ne_u16_sdwa s[16:17], v6, v9 src0_sel:BYTE_0 src1_sel:DWORD
	v_mfma_f32_4x4x4f16 a[0:3], v[2:3], v[14:15], a[0:3] cbsz:4 abid:1
	s_and_saveexec_b64 s[14:15], s[16:17]
	s_cbranch_execz .LBB488_848
; %bb.843:                              ;   in Loop: Header=BB488_794 Depth=1
	v_cmp_ne_u16_sdwa s[18:19], v6, s5 src0_sel:BYTE_0 src1_sel:DWORD
	v_bfrev_b32_e32 v12, 1
	s_and_saveexec_b64 s[16:17], s[18:19]
	s_cbranch_execz .LBB488_847
; %bb.844:                              ;   in Loop: Header=BB488_794 Depth=1
	v_and_b32_e32 v8, 0x7f, v6
	v_cmp_ne_u32_e32 vcc, s21, v8
	v_mov_b32_e32 v12, 0x7f800001
	s_and_saveexec_b64 s[18:19], vcc
	s_cbranch_execz .LBB488_846
; %bb.845:                              ;   in Loop: Header=BB488_794 Depth=1
	v_and_b32_e32 v14, 7, v6
	v_ffbh_u32_e32 v12, v14
	v_min_u32_e32 v16, 32, v12
	v_subrev_u32_e32 v12, 28, v16
	v_lshlrev_b64 v[12:13], v12, v[6:7]
	v_lshrrev_b32_e32 v15, 3, v8
	v_sub_u32_e32 v13, 29, v16
	v_and_b32_e32 v12, 7, v12
	v_cmp_gt_u32_e32 vcc, 8, v8
	v_cndmask_b32_e32 v8, v15, v13, vcc
	v_cndmask_b32_e32 v12, v14, v12, vcc
	v_lshlrev_b32_e32 v13, 24, v6
	v_lshlrev_b32_e32 v12, 20, v12
	v_and_b32_e32 v13, 0x80000000, v13
	v_lshl_add_u32 v8, v8, 23, v10
	v_or3_b32 v12, v13, v8, v12
.LBB488_846:                            ;   in Loop: Header=BB488_794 Depth=1
	s_or_b64 exec, exec, s[18:19]
.LBB488_847:                            ;   in Loop: Header=BB488_794 Depth=1
	s_or_b64 exec, exec, s[16:17]
.LBB488_848:                            ;   in Loop: Header=BB488_794 Depth=1
	s_or_b64 exec, exec, s[14:15]
	v_lshrrev_b16_e32 v8, 8, v6
	v_cmp_ne_u16_e32 vcc, 0, v8
	v_mov_b32_e32 v14, 0
	v_mov_b32_e32 v15, 0
	s_and_saveexec_b64 s[14:15], vcc
	s_cbranch_execz .LBB488_854
; %bb.849:                              ;   in Loop: Header=BB488_794 Depth=1
	v_cmp_ne_u16_e32 vcc, s5, v8
	v_bfrev_b32_e32 v15, 1
	s_and_saveexec_b64 s[16:17], vcc
	s_cbranch_execz .LBB488_853
; %bb.850:                              ;   in Loop: Header=BB488_794 Depth=1
	v_and_b32_e32 v13, 0x7f, v8
	v_cmp_ne_u32_e32 vcc, s21, v13
	v_mov_b32_e32 v15, 0x7f800001
	s_and_saveexec_b64 s[18:19], vcc
	s_cbranch_execz .LBB488_852
; %bb.851:                              ;   in Loop: Header=BB488_794 Depth=1
	v_and_b32_e32 v15, 7, v8
	v_ffbh_u32_e32 v16, v15
	v_min_u32_e32 v19, 32, v16
	v_subrev_u32_e32 v16, 28, v19
	v_lshlrev_b64 v[16:17], v16, v[8:9]
	v_lshrrev_b32_e32 v18, 3, v13
	v_sub_u32_e32 v8, 29, v19
	v_and_b32_e32 v16, 7, v16
	v_cmp_gt_u32_e32 vcc, 8, v13
	v_cndmask_b32_e32 v8, v18, v8, vcc
	v_cndmask_b32_e32 v13, v15, v16, vcc
	v_lshlrev_b32_e32 v15, 16, v6
	v_lshlrev_b32_e32 v13, 20, v13
	v_and_b32_e32 v15, 0x80000000, v15
	v_lshl_add_u32 v8, v8, 23, v10
	v_or3_b32 v15, v15, v8, v13
.LBB488_852:                            ;   in Loop: Header=BB488_794 Depth=1
	s_or_b64 exec, exec, s[18:19]
.LBB488_853:                            ;   in Loop: Header=BB488_794 Depth=1
	s_or_b64 exec, exec, s[16:17]
.LBB488_854:                            ;   in Loop: Header=BB488_794 Depth=1
	s_or_b64 exec, exec, s[14:15]
	v_lshrrev_b32_e32 v8, 16, v6
	v_cmp_ne_u16_sdwa s[16:17], v8, v9 src0_sel:BYTE_0 src1_sel:DWORD
	s_and_saveexec_b64 s[14:15], s[16:17]
	s_cbranch_execz .LBB488_860
; %bb.855:                              ;   in Loop: Header=BB488_794 Depth=1
	v_cmp_ne_u16_sdwa s[18:19], v8, s5 src0_sel:BYTE_0 src1_sel:DWORD
	v_bfrev_b32_e32 v14, 1
	s_and_saveexec_b64 s[16:17], s[18:19]
	s_cbranch_execz .LBB488_859
; %bb.856:                              ;   in Loop: Header=BB488_794 Depth=1
	v_bfe_u32 v13, v6, 16, 7
	v_cmp_ne_u32_e32 vcc, s21, v13
	v_mov_b32_e32 v14, 0x7f800001
	s_and_saveexec_b64 s[18:19], vcc
	s_cbranch_execz .LBB488_858
; %bb.857:                              ;   in Loop: Header=BB488_794 Depth=1
	v_and_b32_e32 v14, 7, v8
	v_ffbh_u32_e32 v16, v14
	v_min_u32_e32 v19, 32, v16
	v_subrev_u32_e32 v16, 28, v19
	v_lshlrev_b64 v[16:17], v16, v[8:9]
	v_lshrrev_b32_e32 v18, 3, v13
	v_sub_u32_e32 v17, 29, v19
	v_and_b32_e32 v16, 7, v16
	v_cmp_gt_u32_e32 vcc, 8, v13
	v_cndmask_b32_e32 v13, v18, v17, vcc
	v_cndmask_b32_e32 v14, v14, v16, vcc
	v_lshlrev_b32_e32 v8, 24, v8
	v_lshlrev_b32_e32 v14, 20, v14
	v_and_b32_e32 v8, 0x80000000, v8
	v_lshl_add_u32 v13, v13, 23, v10
	v_or3_b32 v14, v8, v13, v14
.LBB488_858:                            ;   in Loop: Header=BB488_794 Depth=1
	s_or_b64 exec, exec, s[18:19]
.LBB488_859:                            ;   in Loop: Header=BB488_794 Depth=1
	s_or_b64 exec, exec, s[16:17]
.LBB488_860:                            ;   in Loop: Header=BB488_794 Depth=1
	s_or_b64 exec, exec, s[14:15]
	v_cmp_lt_u32_e32 vcc, s22, v6
	v_mov_b32_e32 v16, 0
	v_mov_b32_e32 v17, 0
	s_and_saveexec_b64 s[14:15], vcc
	s_cbranch_execz .LBB488_866
; %bb.861:                              ;   in Loop: Header=BB488_794 Depth=1
	v_lshrrev_b32_e32 v8, 24, v6
	v_cmp_ne_u32_e32 vcc, s5, v8
	v_bfrev_b32_e32 v17, 1
	s_and_saveexec_b64 s[16:17], vcc
	s_cbranch_execz .LBB488_865
; %bb.862:                              ;   in Loop: Header=BB488_794 Depth=1
	v_bfe_u32 v6, v6, 24, 7
	v_cmp_ne_u32_e32 vcc, s21, v6
	v_mov_b32_e32 v17, 0x7f800001
	s_and_saveexec_b64 s[18:19], vcc
	s_cbranch_execz .LBB488_864
; %bb.863:                              ;   in Loop: Header=BB488_794 Depth=1
	v_and_b32_e32 v13, 7, v8
	v_ffbh_u32_e32 v18, v13
	v_min_u32_e32 v20, 32, v18
	v_subrev_u32_e32 v18, 28, v20
	v_lshlrev_b64 v[18:19], v18, v[8:9]
	v_lshrrev_b32_e32 v17, 3, v6
	v_sub_u32_e32 v19, 29, v20
	v_and_b32_e32 v18, 7, v18
	v_cmp_gt_u32_e32 vcc, 8, v6
	v_cndmask_b32_e32 v6, v17, v19, vcc
	v_cndmask_b32_e32 v13, v13, v18, vcc
	v_lshlrev_b32_e32 v8, 24, v8
	v_lshlrev_b32_e32 v13, 20, v13
	v_and_b32_e32 v8, 0x80000000, v8
	v_lshl_add_u32 v6, v6, 23, v10
	v_or3_b32 v17, v8, v6, v13
.LBB488_864:                            ;   in Loop: Header=BB488_794 Depth=1
	s_or_b64 exec, exec, s[18:19]
.LBB488_865:                            ;   in Loop: Header=BB488_794 Depth=1
	s_or_b64 exec, exec, s[16:17]
.LBB488_866:                            ;   in Loop: Header=BB488_794 Depth=1
	s_or_b64 exec, exec, s[14:15]
	s_waitcnt vmcnt(0)
	v_cmp_ne_u16_sdwa s[16:17], v4, v9 src0_sel:BYTE_0 src1_sel:DWORD
	s_and_saveexec_b64 s[14:15], s[16:17]
	s_cbranch_execz .LBB488_872
; %bb.867:                              ;   in Loop: Header=BB488_794 Depth=1
	v_cmp_ne_u16_sdwa s[18:19], v4, s5 src0_sel:BYTE_0 src1_sel:DWORD
	v_bfrev_b32_e32 v16, 1
	s_and_saveexec_b64 s[16:17], s[18:19]
	s_cbranch_execz .LBB488_871
; %bb.868:                              ;   in Loop: Header=BB488_794 Depth=1
	v_and_b32_e32 v6, 0x7f, v4
	v_cmp_ne_u32_e32 vcc, s21, v6
	v_mov_b32_e32 v16, 0x7f800001
	s_and_saveexec_b64 s[18:19], vcc
	s_cbranch_execz .LBB488_870
; %bb.869:                              ;   in Loop: Header=BB488_794 Depth=1
	v_and_b32_e32 v8, 7, v4
	v_ffbh_u32_e32 v16, v8
	v_min_u32_e32 v16, 32, v16
	v_subrev_u32_e32 v18, 28, v16
	v_lshlrev_b64 v[18:19], v18, v[4:5]
	v_lshrrev_b32_e32 v13, 3, v6
	v_sub_u32_e32 v16, 29, v16
	v_and_b32_e32 v18, 7, v18
	v_cmp_gt_u32_e32 vcc, 8, v6
	v_cndmask_b32_e32 v6, v13, v16, vcc
	v_cndmask_b32_e32 v8, v8, v18, vcc
	v_lshlrev_b32_e32 v13, 24, v4
	v_lshlrev_b32_e32 v8, 20, v8
	v_and_b32_e32 v13, 0x80000000, v13
	v_lshl_add_u32 v6, v6, 23, v10
	v_or3_b32 v16, v13, v6, v8
.LBB488_870:                            ;   in Loop: Header=BB488_794 Depth=1
	s_or_b64 exec, exec, s[18:19]
.LBB488_871:                            ;   in Loop: Header=BB488_794 Depth=1
	s_or_b64 exec, exec, s[16:17]
.LBB488_872:                            ;   in Loop: Header=BB488_794 Depth=1
	s_or_b64 exec, exec, s[14:15]
	v_lshrrev_b16_e32 v6, 8, v4
	v_cmp_ne_u16_e32 vcc, 0, v6
	v_mov_b32_e32 v8, 0
	v_mov_b32_e32 v18, 0
	s_and_saveexec_b64 s[14:15], vcc
	s_cbranch_execz .LBB488_878
; %bb.873:                              ;   in Loop: Header=BB488_794 Depth=1
	v_cmp_ne_u16_e32 vcc, s5, v6
	v_bfrev_b32_e32 v18, 1
	s_and_saveexec_b64 s[16:17], vcc
	s_cbranch_execz .LBB488_877
; %bb.874:                              ;   in Loop: Header=BB488_794 Depth=1
	v_and_b32_e32 v13, 0x7f, v6
	v_cmp_ne_u32_e32 vcc, s21, v13
	v_mov_b32_e32 v18, 0x7f800001
	s_and_saveexec_b64 s[18:19], vcc
	s_cbranch_execz .LBB488_876
; %bb.875:                              ;   in Loop: Header=BB488_794 Depth=1
	v_and_b32_e32 v20, 7, v6
	v_ffbh_u32_e32 v18, v20
	v_min_u32_e32 v22, 32, v18
	v_subrev_u32_e32 v18, 28, v22
	v_lshlrev_b64 v[18:19], v18, v[6:7]
	v_lshrrev_b32_e32 v21, 3, v13
	v_sub_u32_e32 v6, 29, v22
	v_and_b32_e32 v18, 7, v18
	v_cmp_gt_u32_e32 vcc, 8, v13
	v_cndmask_b32_e32 v6, v21, v6, vcc
	v_cndmask_b32_e32 v13, v20, v18, vcc
	v_lshlrev_b32_e32 v18, 16, v4
	v_lshlrev_b32_e32 v13, 20, v13
	v_and_b32_e32 v18, 0x80000000, v18
	v_lshl_add_u32 v6, v6, 23, v10
	v_or3_b32 v18, v18, v6, v13
.LBB488_876:                            ;   in Loop: Header=BB488_794 Depth=1
	s_or_b64 exec, exec, s[18:19]
.LBB488_877:                            ;   in Loop: Header=BB488_794 Depth=1
	s_or_b64 exec, exec, s[16:17]
.LBB488_878:                            ;   in Loop: Header=BB488_794 Depth=1
	s_or_b64 exec, exec, s[14:15]
	v_lshrrev_b32_e32 v6, 16, v4
	v_cmp_ne_u16_sdwa s[16:17], v6, v9 src0_sel:BYTE_0 src1_sel:DWORD
	s_and_saveexec_b64 s[14:15], s[16:17]
	s_cbranch_execz .LBB488_884
; %bb.879:                              ;   in Loop: Header=BB488_794 Depth=1
	v_cmp_ne_u16_sdwa s[18:19], v6, s5 src0_sel:BYTE_0 src1_sel:DWORD
	v_bfrev_b32_e32 v8, 1
	s_and_saveexec_b64 s[16:17], s[18:19]
	s_cbranch_execz .LBB488_883
; %bb.880:                              ;   in Loop: Header=BB488_794 Depth=1
	v_bfe_u32 v13, v4, 16, 7
	v_cmp_ne_u32_e32 vcc, s21, v13
	v_mov_b32_e32 v8, 0x7f800001
	s_and_saveexec_b64 s[18:19], vcc
	s_cbranch_execz .LBB488_882
; %bb.881:                              ;   in Loop: Header=BB488_794 Depth=1
	v_and_b32_e32 v8, 7, v6
	v_ffbh_u32_e32 v20, v8
	v_min_u32_e32 v22, 32, v20
	v_subrev_u32_e32 v20, 28, v22
	v_lshlrev_b64 v[20:21], v20, v[6:7]
	v_lshrrev_b32_e32 v19, 3, v13
	v_sub_u32_e32 v21, 29, v22
	v_and_b32_e32 v20, 7, v20
	v_cmp_gt_u32_e32 vcc, 8, v13
	v_cndmask_b32_e32 v13, v19, v21, vcc
	v_cndmask_b32_e32 v8, v8, v20, vcc
	v_lshlrev_b32_e32 v6, 24, v6
	v_lshlrev_b32_e32 v8, 20, v8
	v_and_b32_e32 v6, 0x80000000, v6
	v_lshl_add_u32 v13, v13, 23, v10
	v_or3_b32 v8, v6, v13, v8
.LBB488_882:                            ;   in Loop: Header=BB488_794 Depth=1
	s_or_b64 exec, exec, s[18:19]
.LBB488_883:                            ;   in Loop: Header=BB488_794 Depth=1
	s_or_b64 exec, exec, s[16:17]
.LBB488_884:                            ;   in Loop: Header=BB488_794 Depth=1
	s_or_b64 exec, exec, s[14:15]
	v_cmp_lt_u32_e32 vcc, s22, v4
	v_mov_b32_e32 v13, 0
	v_mov_b32_e32 v19, 0
	s_and_saveexec_b64 s[14:15], vcc
	s_cbranch_execz .LBB488_890
; %bb.885:                              ;   in Loop: Header=BB488_794 Depth=1
	v_lshrrev_b32_e32 v6, 24, v4
	v_cmp_ne_u32_e32 vcc, s5, v6
	v_bfrev_b32_e32 v19, 1
	s_and_saveexec_b64 s[16:17], vcc
	s_cbranch_execz .LBB488_889
; %bb.886:                              ;   in Loop: Header=BB488_794 Depth=1
	v_bfe_u32 v4, v4, 24, 7
	v_cmp_ne_u32_e32 vcc, s21, v4
	v_mov_b32_e32 v19, 0x7f800001
	s_and_saveexec_b64 s[18:19], vcc
	s_cbranch_execz .LBB488_888
; %bb.887:                              ;   in Loop: Header=BB488_794 Depth=1
	v_and_b32_e32 v19, 7, v6
	v_ffbh_u32_e32 v20, v19
	v_min_u32_e32 v23, 32, v20
	v_subrev_u32_e32 v20, 28, v23
	v_lshlrev_b64 v[20:21], v20, v[6:7]
	v_lshrrev_b32_e32 v22, 3, v4
	v_sub_u32_e32 v21, 29, v23
	v_and_b32_e32 v20, 7, v20
	v_cmp_gt_u32_e32 vcc, 8, v4
	v_cndmask_b32_e32 v4, v22, v21, vcc
	v_cndmask_b32_e32 v19, v19, v20, vcc
	v_lshlrev_b32_e32 v6, 24, v6
	v_lshlrev_b32_e32 v19, 20, v19
	v_and_b32_e32 v6, 0x80000000, v6
	v_lshl_add_u32 v4, v4, 23, v10
	v_or3_b32 v19, v6, v4, v19
.LBB488_888:                            ;   in Loop: Header=BB488_794 Depth=1
	s_or_b64 exec, exec, s[18:19]
.LBB488_889:                            ;   in Loop: Header=BB488_794 Depth=1
	s_or_b64 exec, exec, s[16:17]
.LBB488_890:                            ;   in Loop: Header=BB488_794 Depth=1
	s_or_b64 exec, exec, s[14:15]
	buffer_load_dword v6, v11, s[0:3], 0 offen offset:16
	buffer_load_dword v4, v11, s[0:3], 0 offen offset:20
	v_cvt_pkrtz_f16_f32 v20, v12, v15
	v_cvt_pkrtz_f16_f32 v21, v14, v17
	;; [unrolled: 1-line block ×4, first 2 shown]
	v_mfma_f32_4x4x4f16 a[0:3], v[2:3], v[20:21], a[0:3] cbsz:4 abid:2
	s_waitcnt vmcnt(1)
	v_cmp_ne_u16_sdwa s[16:17], v6, v9 src0_sel:BYTE_0 src1_sel:DWORD
	v_mfma_f32_4x4x4f16 a[0:3], v[2:3], v[14:15], a[0:3] cbsz:4 abid:3
	s_and_saveexec_b64 s[14:15], s[16:17]
	s_cbranch_execz .LBB488_896
; %bb.891:                              ;   in Loop: Header=BB488_794 Depth=1
	v_cmp_ne_u16_sdwa s[18:19], v6, s5 src0_sel:BYTE_0 src1_sel:DWORD
	v_bfrev_b32_e32 v13, 1
	s_and_saveexec_b64 s[16:17], s[18:19]
	s_cbranch_execz .LBB488_895
; %bb.892:                              ;   in Loop: Header=BB488_794 Depth=1
	v_and_b32_e32 v8, 0x7f, v6
	v_cmp_ne_u32_e32 vcc, s21, v8
	v_mov_b32_e32 v13, 0x7f800001
	s_and_saveexec_b64 s[18:19], vcc
	s_cbranch_execz .LBB488_894
; %bb.893:                              ;   in Loop: Header=BB488_794 Depth=1
	v_and_b32_e32 v14, 7, v6
	v_ffbh_u32_e32 v12, v14
	v_min_u32_e32 v16, 32, v12
	v_subrev_u32_e32 v12, 28, v16
	v_lshlrev_b64 v[12:13], v12, v[6:7]
	v_lshrrev_b32_e32 v15, 3, v8
	v_sub_u32_e32 v13, 29, v16
	v_and_b32_e32 v12, 7, v12
	v_cmp_gt_u32_e32 vcc, 8, v8
	v_cndmask_b32_e32 v8, v15, v13, vcc
	v_cndmask_b32_e32 v12, v14, v12, vcc
	v_lshlrev_b32_e32 v13, 24, v6
	v_lshlrev_b32_e32 v12, 20, v12
	v_and_b32_e32 v13, 0x80000000, v13
	v_lshl_add_u32 v8, v8, 23, v10
	v_or3_b32 v13, v13, v8, v12
.LBB488_894:                            ;   in Loop: Header=BB488_794 Depth=1
	s_or_b64 exec, exec, s[18:19]
.LBB488_895:                            ;   in Loop: Header=BB488_794 Depth=1
	s_or_b64 exec, exec, s[16:17]
.LBB488_896:                            ;   in Loop: Header=BB488_794 Depth=1
	s_or_b64 exec, exec, s[14:15]
	v_lshrrev_b16_e32 v8, 8, v6
	v_cmp_ne_u16_e32 vcc, 0, v8
	v_mov_b32_e32 v14, 0
	v_mov_b32_e32 v15, 0
	s_and_saveexec_b64 s[14:15], vcc
	s_cbranch_execz .LBB488_902
; %bb.897:                              ;   in Loop: Header=BB488_794 Depth=1
	v_cmp_ne_u16_e32 vcc, s5, v8
	v_bfrev_b32_e32 v15, 1
	s_and_saveexec_b64 s[16:17], vcc
	s_cbranch_execz .LBB488_901
; %bb.898:                              ;   in Loop: Header=BB488_794 Depth=1
	v_and_b32_e32 v12, 0x7f, v8
	v_cmp_ne_u32_e32 vcc, s21, v12
	v_mov_b32_e32 v15, 0x7f800001
	s_and_saveexec_b64 s[18:19], vcc
	s_cbranch_execz .LBB488_900
; %bb.899:                              ;   in Loop: Header=BB488_794 Depth=1
	v_and_b32_e32 v15, 7, v8
	v_ffbh_u32_e32 v16, v15
	v_min_u32_e32 v19, 32, v16
	v_subrev_u32_e32 v16, 28, v19
	v_lshlrev_b64 v[16:17], v16, v[8:9]
	v_lshrrev_b32_e32 v18, 3, v12
	v_sub_u32_e32 v8, 29, v19
	v_and_b32_e32 v16, 7, v16
	v_cmp_gt_u32_e32 vcc, 8, v12
	v_cndmask_b32_e32 v8, v18, v8, vcc
	v_cndmask_b32_e32 v12, v15, v16, vcc
	v_lshlrev_b32_e32 v15, 16, v6
	v_lshlrev_b32_e32 v12, 20, v12
	v_and_b32_e32 v15, 0x80000000, v15
	v_lshl_add_u32 v8, v8, 23, v10
	v_or3_b32 v15, v15, v8, v12
.LBB488_900:                            ;   in Loop: Header=BB488_794 Depth=1
	s_or_b64 exec, exec, s[18:19]
.LBB488_901:                            ;   in Loop: Header=BB488_794 Depth=1
	s_or_b64 exec, exec, s[16:17]
.LBB488_902:                            ;   in Loop: Header=BB488_794 Depth=1
	s_or_b64 exec, exec, s[14:15]
	v_lshrrev_b32_e32 v8, 16, v6
	v_cmp_ne_u16_sdwa s[16:17], v8, v9 src0_sel:BYTE_0 src1_sel:DWORD
	s_and_saveexec_b64 s[14:15], s[16:17]
	s_cbranch_execz .LBB488_908
; %bb.903:                              ;   in Loop: Header=BB488_794 Depth=1
	v_cmp_ne_u16_sdwa s[18:19], v8, s5 src0_sel:BYTE_0 src1_sel:DWORD
	v_bfrev_b32_e32 v14, 1
	s_and_saveexec_b64 s[16:17], s[18:19]
	s_cbranch_execz .LBB488_907
; %bb.904:                              ;   in Loop: Header=BB488_794 Depth=1
	v_bfe_u32 v12, v6, 16, 7
	v_cmp_ne_u32_e32 vcc, s21, v12
	v_mov_b32_e32 v14, 0x7f800001
	s_and_saveexec_b64 s[18:19], vcc
	s_cbranch_execz .LBB488_906
; %bb.905:                              ;   in Loop: Header=BB488_794 Depth=1
	v_and_b32_e32 v14, 7, v8
	v_ffbh_u32_e32 v16, v14
	v_min_u32_e32 v19, 32, v16
	v_subrev_u32_e32 v16, 28, v19
	v_lshlrev_b64 v[16:17], v16, v[8:9]
	v_lshrrev_b32_e32 v18, 3, v12
	v_sub_u32_e32 v17, 29, v19
	v_and_b32_e32 v16, 7, v16
	v_cmp_gt_u32_e32 vcc, 8, v12
	v_cndmask_b32_e32 v12, v18, v17, vcc
	v_cndmask_b32_e32 v14, v14, v16, vcc
	v_lshlrev_b32_e32 v8, 24, v8
	v_lshlrev_b32_e32 v14, 20, v14
	v_and_b32_e32 v8, 0x80000000, v8
	v_lshl_add_u32 v12, v12, 23, v10
	v_or3_b32 v14, v8, v12, v14
.LBB488_906:                            ;   in Loop: Header=BB488_794 Depth=1
	s_or_b64 exec, exec, s[18:19]
.LBB488_907:                            ;   in Loop: Header=BB488_794 Depth=1
	s_or_b64 exec, exec, s[16:17]
.LBB488_908:                            ;   in Loop: Header=BB488_794 Depth=1
	s_or_b64 exec, exec, s[14:15]
	v_cmp_lt_u32_e32 vcc, s22, v6
	v_mov_b32_e32 v16, 0
	v_mov_b32_e32 v17, 0
	s_and_saveexec_b64 s[14:15], vcc
	s_cbranch_execz .LBB488_914
; %bb.909:                              ;   in Loop: Header=BB488_794 Depth=1
	v_lshrrev_b32_e32 v8, 24, v6
	v_cmp_ne_u32_e32 vcc, s5, v8
	v_bfrev_b32_e32 v17, 1
	s_and_saveexec_b64 s[16:17], vcc
	s_cbranch_execz .LBB488_913
; %bb.910:                              ;   in Loop: Header=BB488_794 Depth=1
	v_bfe_u32 v6, v6, 24, 7
	v_cmp_ne_u32_e32 vcc, s21, v6
	v_mov_b32_e32 v17, 0x7f800001
	s_and_saveexec_b64 s[18:19], vcc
	s_cbranch_execz .LBB488_912
; %bb.911:                              ;   in Loop: Header=BB488_794 Depth=1
	v_and_b32_e32 v12, 7, v8
	v_ffbh_u32_e32 v18, v12
	v_min_u32_e32 v20, 32, v18
	v_subrev_u32_e32 v18, 28, v20
	v_lshlrev_b64 v[18:19], v18, v[8:9]
	v_lshrrev_b32_e32 v17, 3, v6
	v_sub_u32_e32 v19, 29, v20
	v_and_b32_e32 v18, 7, v18
	v_cmp_gt_u32_e32 vcc, 8, v6
	v_cndmask_b32_e32 v6, v17, v19, vcc
	v_cndmask_b32_e32 v12, v12, v18, vcc
	v_lshlrev_b32_e32 v8, 24, v8
	v_lshlrev_b32_e32 v12, 20, v12
	v_and_b32_e32 v8, 0x80000000, v8
	v_lshl_add_u32 v6, v6, 23, v10
	v_or3_b32 v17, v8, v6, v12
.LBB488_912:                            ;   in Loop: Header=BB488_794 Depth=1
	s_or_b64 exec, exec, s[18:19]
.LBB488_913:                            ;   in Loop: Header=BB488_794 Depth=1
	s_or_b64 exec, exec, s[16:17]
.LBB488_914:                            ;   in Loop: Header=BB488_794 Depth=1
	s_or_b64 exec, exec, s[14:15]
	s_waitcnt vmcnt(0)
	v_cmp_ne_u16_sdwa s[16:17], v4, v9 src0_sel:BYTE_0 src1_sel:DWORD
	s_and_saveexec_b64 s[14:15], s[16:17]
	s_cbranch_execz .LBB488_920
; %bb.915:                              ;   in Loop: Header=BB488_794 Depth=1
	v_cmp_ne_u16_sdwa s[18:19], v4, s5 src0_sel:BYTE_0 src1_sel:DWORD
	v_bfrev_b32_e32 v16, 1
	s_and_saveexec_b64 s[16:17], s[18:19]
	s_cbranch_execz .LBB488_919
; %bb.916:                              ;   in Loop: Header=BB488_794 Depth=1
	v_and_b32_e32 v6, 0x7f, v4
	v_cmp_ne_u32_e32 vcc, s21, v6
	v_mov_b32_e32 v16, 0x7f800001
	s_and_saveexec_b64 s[18:19], vcc
	s_cbranch_execz .LBB488_918
; %bb.917:                              ;   in Loop: Header=BB488_794 Depth=1
	v_and_b32_e32 v8, 7, v4
	v_ffbh_u32_e32 v16, v8
	v_min_u32_e32 v16, 32, v16
	v_subrev_u32_e32 v18, 28, v16
	v_lshlrev_b64 v[18:19], v18, v[4:5]
	v_lshrrev_b32_e32 v12, 3, v6
	v_sub_u32_e32 v16, 29, v16
	v_and_b32_e32 v18, 7, v18
	v_cmp_gt_u32_e32 vcc, 8, v6
	v_cndmask_b32_e32 v6, v12, v16, vcc
	v_cndmask_b32_e32 v8, v8, v18, vcc
	v_lshlrev_b32_e32 v12, 24, v4
	v_lshlrev_b32_e32 v8, 20, v8
	v_and_b32_e32 v12, 0x80000000, v12
	v_lshl_add_u32 v6, v6, 23, v10
	v_or3_b32 v16, v12, v6, v8
.LBB488_918:                            ;   in Loop: Header=BB488_794 Depth=1
	s_or_b64 exec, exec, s[18:19]
.LBB488_919:                            ;   in Loop: Header=BB488_794 Depth=1
	s_or_b64 exec, exec, s[16:17]
.LBB488_920:                            ;   in Loop: Header=BB488_794 Depth=1
	s_or_b64 exec, exec, s[14:15]
	v_lshrrev_b16_e32 v6, 8, v4
	v_cmp_ne_u16_e32 vcc, 0, v6
	v_mov_b32_e32 v8, 0
	v_mov_b32_e32 v18, 0
	s_and_saveexec_b64 s[14:15], vcc
	s_cbranch_execz .LBB488_926
; %bb.921:                              ;   in Loop: Header=BB488_794 Depth=1
	v_cmp_ne_u16_e32 vcc, s5, v6
	v_bfrev_b32_e32 v18, 1
	s_and_saveexec_b64 s[16:17], vcc
	s_cbranch_execz .LBB488_925
; %bb.922:                              ;   in Loop: Header=BB488_794 Depth=1
	v_and_b32_e32 v12, 0x7f, v6
	v_cmp_ne_u32_e32 vcc, s21, v12
	v_mov_b32_e32 v18, 0x7f800001
	s_and_saveexec_b64 s[18:19], vcc
	s_cbranch_execz .LBB488_924
; %bb.923:                              ;   in Loop: Header=BB488_794 Depth=1
	v_and_b32_e32 v20, 7, v6
	v_ffbh_u32_e32 v18, v20
	v_min_u32_e32 v22, 32, v18
	v_subrev_u32_e32 v18, 28, v22
	v_lshlrev_b64 v[18:19], v18, v[6:7]
	v_lshrrev_b32_e32 v21, 3, v12
	v_sub_u32_e32 v6, 29, v22
	v_and_b32_e32 v18, 7, v18
	v_cmp_gt_u32_e32 vcc, 8, v12
	v_cndmask_b32_e32 v6, v21, v6, vcc
	v_cndmask_b32_e32 v12, v20, v18, vcc
	v_lshlrev_b32_e32 v18, 16, v4
	v_lshlrev_b32_e32 v12, 20, v12
	v_and_b32_e32 v18, 0x80000000, v18
	v_lshl_add_u32 v6, v6, 23, v10
	v_or3_b32 v18, v18, v6, v12
.LBB488_924:                            ;   in Loop: Header=BB488_794 Depth=1
	s_or_b64 exec, exec, s[18:19]
.LBB488_925:                            ;   in Loop: Header=BB488_794 Depth=1
	s_or_b64 exec, exec, s[16:17]
.LBB488_926:                            ;   in Loop: Header=BB488_794 Depth=1
	s_or_b64 exec, exec, s[14:15]
	v_lshrrev_b32_e32 v6, 16, v4
	v_cmp_ne_u16_sdwa s[16:17], v6, v9 src0_sel:BYTE_0 src1_sel:DWORD
	s_and_saveexec_b64 s[14:15], s[16:17]
	s_cbranch_execz .LBB488_932
; %bb.927:                              ;   in Loop: Header=BB488_794 Depth=1
	v_cmp_ne_u16_sdwa s[18:19], v6, s5 src0_sel:BYTE_0 src1_sel:DWORD
	v_bfrev_b32_e32 v8, 1
	s_and_saveexec_b64 s[16:17], s[18:19]
	s_cbranch_execz .LBB488_931
; %bb.928:                              ;   in Loop: Header=BB488_794 Depth=1
	v_bfe_u32 v12, v4, 16, 7
	v_cmp_ne_u32_e32 vcc, s21, v12
	v_mov_b32_e32 v8, 0x7f800001
	s_and_saveexec_b64 s[18:19], vcc
	s_cbranch_execz .LBB488_930
; %bb.929:                              ;   in Loop: Header=BB488_794 Depth=1
	v_and_b32_e32 v8, 7, v6
	v_ffbh_u32_e32 v20, v8
	v_min_u32_e32 v22, 32, v20
	v_subrev_u32_e32 v20, 28, v22
	v_lshlrev_b64 v[20:21], v20, v[6:7]
	v_lshrrev_b32_e32 v19, 3, v12
	v_sub_u32_e32 v21, 29, v22
	v_and_b32_e32 v20, 7, v20
	v_cmp_gt_u32_e32 vcc, 8, v12
	v_cndmask_b32_e32 v12, v19, v21, vcc
	v_cndmask_b32_e32 v8, v8, v20, vcc
	v_lshlrev_b32_e32 v6, 24, v6
	v_lshlrev_b32_e32 v8, 20, v8
	v_and_b32_e32 v6, 0x80000000, v6
	v_lshl_add_u32 v12, v12, 23, v10
	v_or3_b32 v8, v6, v12, v8
.LBB488_930:                            ;   in Loop: Header=BB488_794 Depth=1
	s_or_b64 exec, exec, s[18:19]
.LBB488_931:                            ;   in Loop: Header=BB488_794 Depth=1
	s_or_b64 exec, exec, s[16:17]
.LBB488_932:                            ;   in Loop: Header=BB488_794 Depth=1
	s_or_b64 exec, exec, s[14:15]
	v_cmp_lt_u32_e32 vcc, s22, v4
	v_mov_b32_e32 v12, 0
	v_mov_b32_e32 v19, 0
	s_and_saveexec_b64 s[14:15], vcc
	s_cbranch_execz .LBB488_938
; %bb.933:                              ;   in Loop: Header=BB488_794 Depth=1
	v_lshrrev_b32_e32 v6, 24, v4
	v_cmp_ne_u32_e32 vcc, s5, v6
	v_bfrev_b32_e32 v19, 1
	s_and_saveexec_b64 s[16:17], vcc
	s_cbranch_execz .LBB488_937
; %bb.934:                              ;   in Loop: Header=BB488_794 Depth=1
	v_bfe_u32 v4, v4, 24, 7
	v_cmp_ne_u32_e32 vcc, s21, v4
	v_mov_b32_e32 v19, 0x7f800001
	s_and_saveexec_b64 s[18:19], vcc
	s_cbranch_execz .LBB488_936
; %bb.935:                              ;   in Loop: Header=BB488_794 Depth=1
	v_and_b32_e32 v19, 7, v6
	v_ffbh_u32_e32 v20, v19
	v_min_u32_e32 v23, 32, v20
	v_subrev_u32_e32 v20, 28, v23
	v_lshlrev_b64 v[20:21], v20, v[6:7]
	v_lshrrev_b32_e32 v22, 3, v4
	v_sub_u32_e32 v21, 29, v23
	v_and_b32_e32 v20, 7, v20
	v_cmp_gt_u32_e32 vcc, 8, v4
	v_cndmask_b32_e32 v4, v22, v21, vcc
	v_cndmask_b32_e32 v19, v19, v20, vcc
	v_lshlrev_b32_e32 v6, 24, v6
	v_lshlrev_b32_e32 v19, 20, v19
	v_and_b32_e32 v6, 0x80000000, v6
	v_lshl_add_u32 v4, v4, 23, v10
	v_or3_b32 v19, v6, v4, v19
.LBB488_936:                            ;   in Loop: Header=BB488_794 Depth=1
	s_or_b64 exec, exec, s[18:19]
.LBB488_937:                            ;   in Loop: Header=BB488_794 Depth=1
	s_or_b64 exec, exec, s[16:17]
.LBB488_938:                            ;   in Loop: Header=BB488_794 Depth=1
	s_or_b64 exec, exec, s[14:15]
	buffer_load_dword v6, v11, s[0:3], 0 offen offset:24
	buffer_load_dword v4, v11, s[0:3], 0 offen offset:28
	v_cvt_pkrtz_f16_f32 v20, v13, v15
	v_cvt_pkrtz_f16_f32 v21, v14, v17
	;; [unrolled: 1-line block ×4, first 2 shown]
	v_mfma_f32_4x4x4f16 a[0:3], v[2:3], v[20:21], a[0:3] cbsz:4 abid:4
	s_waitcnt vmcnt(1)
	v_cmp_ne_u16_sdwa s[16:17], v6, v9 src0_sel:BYTE_0 src1_sel:DWORD
	v_mfma_f32_4x4x4f16 a[0:3], v[2:3], v[14:15], a[0:3] cbsz:4 abid:5
	s_and_saveexec_b64 s[14:15], s[16:17]
	s_cbranch_execz .LBB488_944
; %bb.939:                              ;   in Loop: Header=BB488_794 Depth=1
	v_cmp_ne_u16_sdwa s[18:19], v6, s5 src0_sel:BYTE_0 src1_sel:DWORD
	v_bfrev_b32_e32 v12, 1
	s_and_saveexec_b64 s[16:17], s[18:19]
	s_cbranch_execz .LBB488_943
; %bb.940:                              ;   in Loop: Header=BB488_794 Depth=1
	v_and_b32_e32 v8, 0x7f, v6
	v_cmp_ne_u32_e32 vcc, s21, v8
	v_mov_b32_e32 v12, 0x7f800001
	s_and_saveexec_b64 s[18:19], vcc
	s_cbranch_execz .LBB488_942
; %bb.941:                              ;   in Loop: Header=BB488_794 Depth=1
	v_and_b32_e32 v14, 7, v6
	v_ffbh_u32_e32 v12, v14
	v_min_u32_e32 v16, 32, v12
	v_subrev_u32_e32 v12, 28, v16
	v_lshlrev_b64 v[12:13], v12, v[6:7]
	v_lshrrev_b32_e32 v15, 3, v8
	v_sub_u32_e32 v13, 29, v16
	v_and_b32_e32 v12, 7, v12
	v_cmp_gt_u32_e32 vcc, 8, v8
	v_cndmask_b32_e32 v8, v15, v13, vcc
	v_cndmask_b32_e32 v12, v14, v12, vcc
	v_lshlrev_b32_e32 v13, 24, v6
	v_lshlrev_b32_e32 v12, 20, v12
	v_and_b32_e32 v13, 0x80000000, v13
	v_lshl_add_u32 v8, v8, 23, v10
	v_or3_b32 v12, v13, v8, v12
.LBB488_942:                            ;   in Loop: Header=BB488_794 Depth=1
	s_or_b64 exec, exec, s[18:19]
.LBB488_943:                            ;   in Loop: Header=BB488_794 Depth=1
	s_or_b64 exec, exec, s[16:17]
.LBB488_944:                            ;   in Loop: Header=BB488_794 Depth=1
	s_or_b64 exec, exec, s[14:15]
	v_lshrrev_b16_e32 v8, 8, v6
	v_cmp_ne_u16_e32 vcc, 0, v8
	v_mov_b32_e32 v14, 0
	v_mov_b32_e32 v15, 0
	s_and_saveexec_b64 s[14:15], vcc
	s_cbranch_execz .LBB488_950
; %bb.945:                              ;   in Loop: Header=BB488_794 Depth=1
	v_cmp_ne_u16_e32 vcc, s5, v8
	v_bfrev_b32_e32 v15, 1
	s_and_saveexec_b64 s[16:17], vcc
	s_cbranch_execz .LBB488_949
; %bb.946:                              ;   in Loop: Header=BB488_794 Depth=1
	v_and_b32_e32 v13, 0x7f, v8
	v_cmp_ne_u32_e32 vcc, s21, v13
	v_mov_b32_e32 v15, 0x7f800001
	s_and_saveexec_b64 s[18:19], vcc
	s_cbranch_execz .LBB488_948
; %bb.947:                              ;   in Loop: Header=BB488_794 Depth=1
	v_and_b32_e32 v15, 7, v8
	v_ffbh_u32_e32 v16, v15
	v_min_u32_e32 v19, 32, v16
	v_subrev_u32_e32 v16, 28, v19
	v_lshlrev_b64 v[16:17], v16, v[8:9]
	v_lshrrev_b32_e32 v18, 3, v13
	v_sub_u32_e32 v8, 29, v19
	v_and_b32_e32 v16, 7, v16
	v_cmp_gt_u32_e32 vcc, 8, v13
	v_cndmask_b32_e32 v8, v18, v8, vcc
	v_cndmask_b32_e32 v13, v15, v16, vcc
	v_lshlrev_b32_e32 v15, 16, v6
	v_lshlrev_b32_e32 v13, 20, v13
	v_and_b32_e32 v15, 0x80000000, v15
	v_lshl_add_u32 v8, v8, 23, v10
	v_or3_b32 v15, v15, v8, v13
.LBB488_948:                            ;   in Loop: Header=BB488_794 Depth=1
	s_or_b64 exec, exec, s[18:19]
.LBB488_949:                            ;   in Loop: Header=BB488_794 Depth=1
	s_or_b64 exec, exec, s[16:17]
.LBB488_950:                            ;   in Loop: Header=BB488_794 Depth=1
	s_or_b64 exec, exec, s[14:15]
	v_lshrrev_b32_e32 v8, 16, v6
	v_cmp_ne_u16_sdwa s[16:17], v8, v9 src0_sel:BYTE_0 src1_sel:DWORD
	s_and_saveexec_b64 s[14:15], s[16:17]
	s_cbranch_execz .LBB488_956
; %bb.951:                              ;   in Loop: Header=BB488_794 Depth=1
	v_cmp_ne_u16_sdwa s[18:19], v8, s5 src0_sel:BYTE_0 src1_sel:DWORD
	v_bfrev_b32_e32 v14, 1
	s_and_saveexec_b64 s[16:17], s[18:19]
	s_cbranch_execz .LBB488_955
; %bb.952:                              ;   in Loop: Header=BB488_794 Depth=1
	v_bfe_u32 v13, v6, 16, 7
	v_cmp_ne_u32_e32 vcc, s21, v13
	v_mov_b32_e32 v14, 0x7f800001
	s_and_saveexec_b64 s[18:19], vcc
	s_cbranch_execz .LBB488_954
; %bb.953:                              ;   in Loop: Header=BB488_794 Depth=1
	v_and_b32_e32 v14, 7, v8
	v_ffbh_u32_e32 v16, v14
	v_min_u32_e32 v19, 32, v16
	v_subrev_u32_e32 v16, 28, v19
	v_lshlrev_b64 v[16:17], v16, v[8:9]
	v_lshrrev_b32_e32 v18, 3, v13
	v_sub_u32_e32 v17, 29, v19
	v_and_b32_e32 v16, 7, v16
	v_cmp_gt_u32_e32 vcc, 8, v13
	v_cndmask_b32_e32 v13, v18, v17, vcc
	v_cndmask_b32_e32 v14, v14, v16, vcc
	v_lshlrev_b32_e32 v8, 24, v8
	v_lshlrev_b32_e32 v14, 20, v14
	v_and_b32_e32 v8, 0x80000000, v8
	v_lshl_add_u32 v13, v13, 23, v10
	v_or3_b32 v14, v8, v13, v14
.LBB488_954:                            ;   in Loop: Header=BB488_794 Depth=1
	s_or_b64 exec, exec, s[18:19]
.LBB488_955:                            ;   in Loop: Header=BB488_794 Depth=1
	s_or_b64 exec, exec, s[16:17]
.LBB488_956:                            ;   in Loop: Header=BB488_794 Depth=1
	s_or_b64 exec, exec, s[14:15]
	v_cmp_lt_u32_e32 vcc, s22, v6
	v_mov_b32_e32 v16, 0
	v_mov_b32_e32 v17, 0
	s_and_saveexec_b64 s[14:15], vcc
	s_cbranch_execz .LBB488_962
; %bb.957:                              ;   in Loop: Header=BB488_794 Depth=1
	v_lshrrev_b32_e32 v8, 24, v6
	v_cmp_ne_u32_e32 vcc, s5, v8
	v_bfrev_b32_e32 v17, 1
	s_and_saveexec_b64 s[16:17], vcc
	s_cbranch_execz .LBB488_961
; %bb.958:                              ;   in Loop: Header=BB488_794 Depth=1
	v_bfe_u32 v6, v6, 24, 7
	v_cmp_ne_u32_e32 vcc, s21, v6
	v_mov_b32_e32 v17, 0x7f800001
	s_and_saveexec_b64 s[18:19], vcc
	s_cbranch_execz .LBB488_960
; %bb.959:                              ;   in Loop: Header=BB488_794 Depth=1
	v_and_b32_e32 v13, 7, v8
	v_ffbh_u32_e32 v18, v13
	v_min_u32_e32 v20, 32, v18
	v_subrev_u32_e32 v18, 28, v20
	v_lshlrev_b64 v[18:19], v18, v[8:9]
	v_lshrrev_b32_e32 v17, 3, v6
	v_sub_u32_e32 v19, 29, v20
	v_and_b32_e32 v18, 7, v18
	v_cmp_gt_u32_e32 vcc, 8, v6
	v_cndmask_b32_e32 v6, v17, v19, vcc
	v_cndmask_b32_e32 v13, v13, v18, vcc
	v_lshlrev_b32_e32 v8, 24, v8
	v_lshlrev_b32_e32 v13, 20, v13
	v_and_b32_e32 v8, 0x80000000, v8
	v_lshl_add_u32 v6, v6, 23, v10
	v_or3_b32 v17, v8, v6, v13
.LBB488_960:                            ;   in Loop: Header=BB488_794 Depth=1
	s_or_b64 exec, exec, s[18:19]
.LBB488_961:                            ;   in Loop: Header=BB488_794 Depth=1
	s_or_b64 exec, exec, s[16:17]
.LBB488_962:                            ;   in Loop: Header=BB488_794 Depth=1
	s_or_b64 exec, exec, s[14:15]
	s_waitcnt vmcnt(0)
	v_cmp_ne_u16_sdwa s[16:17], v4, v9 src0_sel:BYTE_0 src1_sel:DWORD
	s_and_saveexec_b64 s[14:15], s[16:17]
	s_cbranch_execz .LBB488_968
; %bb.963:                              ;   in Loop: Header=BB488_794 Depth=1
	v_cmp_ne_u16_sdwa s[18:19], v4, s5 src0_sel:BYTE_0 src1_sel:DWORD
	v_bfrev_b32_e32 v16, 1
	s_and_saveexec_b64 s[16:17], s[18:19]
	s_cbranch_execz .LBB488_967
; %bb.964:                              ;   in Loop: Header=BB488_794 Depth=1
	v_and_b32_e32 v6, 0x7f, v4
	v_cmp_ne_u32_e32 vcc, s21, v6
	v_mov_b32_e32 v16, 0x7f800001
	s_and_saveexec_b64 s[18:19], vcc
	s_cbranch_execz .LBB488_966
; %bb.965:                              ;   in Loop: Header=BB488_794 Depth=1
	v_and_b32_e32 v8, 7, v4
	v_ffbh_u32_e32 v16, v8
	v_min_u32_e32 v16, 32, v16
	v_subrev_u32_e32 v18, 28, v16
	v_lshlrev_b64 v[18:19], v18, v[4:5]
	v_lshrrev_b32_e32 v13, 3, v6
	v_sub_u32_e32 v16, 29, v16
	v_and_b32_e32 v18, 7, v18
	v_cmp_gt_u32_e32 vcc, 8, v6
	v_cndmask_b32_e32 v6, v13, v16, vcc
	v_cndmask_b32_e32 v8, v8, v18, vcc
	v_lshlrev_b32_e32 v13, 24, v4
	v_lshlrev_b32_e32 v8, 20, v8
	v_and_b32_e32 v13, 0x80000000, v13
	v_lshl_add_u32 v6, v6, 23, v10
	v_or3_b32 v16, v13, v6, v8
.LBB488_966:                            ;   in Loop: Header=BB488_794 Depth=1
	s_or_b64 exec, exec, s[18:19]
.LBB488_967:                            ;   in Loop: Header=BB488_794 Depth=1
	s_or_b64 exec, exec, s[16:17]
.LBB488_968:                            ;   in Loop: Header=BB488_794 Depth=1
	s_or_b64 exec, exec, s[14:15]
	v_lshrrev_b16_e32 v6, 8, v4
	v_cmp_ne_u16_e32 vcc, 0, v6
	v_mov_b32_e32 v8, 0
	v_mov_b32_e32 v18, 0
	s_and_saveexec_b64 s[14:15], vcc
	s_cbranch_execz .LBB488_974
; %bb.969:                              ;   in Loop: Header=BB488_794 Depth=1
	v_cmp_ne_u16_e32 vcc, s5, v6
	v_bfrev_b32_e32 v18, 1
	s_and_saveexec_b64 s[16:17], vcc
	s_cbranch_execz .LBB488_973
; %bb.970:                              ;   in Loop: Header=BB488_794 Depth=1
	v_and_b32_e32 v13, 0x7f, v6
	v_cmp_ne_u32_e32 vcc, s21, v13
	v_mov_b32_e32 v18, 0x7f800001
	s_and_saveexec_b64 s[18:19], vcc
	s_cbranch_execz .LBB488_972
; %bb.971:                              ;   in Loop: Header=BB488_794 Depth=1
	v_and_b32_e32 v20, 7, v6
	v_ffbh_u32_e32 v18, v20
	v_min_u32_e32 v22, 32, v18
	v_subrev_u32_e32 v18, 28, v22
	v_lshlrev_b64 v[18:19], v18, v[6:7]
	v_lshrrev_b32_e32 v21, 3, v13
	v_sub_u32_e32 v6, 29, v22
	v_and_b32_e32 v18, 7, v18
	v_cmp_gt_u32_e32 vcc, 8, v13
	v_cndmask_b32_e32 v6, v21, v6, vcc
	v_cndmask_b32_e32 v13, v20, v18, vcc
	v_lshlrev_b32_e32 v18, 16, v4
	v_lshlrev_b32_e32 v13, 20, v13
	v_and_b32_e32 v18, 0x80000000, v18
	v_lshl_add_u32 v6, v6, 23, v10
	v_or3_b32 v18, v18, v6, v13
.LBB488_972:                            ;   in Loop: Header=BB488_794 Depth=1
	s_or_b64 exec, exec, s[18:19]
.LBB488_973:                            ;   in Loop: Header=BB488_794 Depth=1
	s_or_b64 exec, exec, s[16:17]
.LBB488_974:                            ;   in Loop: Header=BB488_794 Depth=1
	s_or_b64 exec, exec, s[14:15]
	v_lshrrev_b32_e32 v6, 16, v4
	v_cmp_ne_u16_sdwa s[16:17], v6, v9 src0_sel:BYTE_0 src1_sel:DWORD
	s_and_saveexec_b64 s[14:15], s[16:17]
	s_cbranch_execz .LBB488_980
; %bb.975:                              ;   in Loop: Header=BB488_794 Depth=1
	v_cmp_ne_u16_sdwa s[18:19], v6, s5 src0_sel:BYTE_0 src1_sel:DWORD
	v_bfrev_b32_e32 v8, 1
	s_and_saveexec_b64 s[16:17], s[18:19]
	s_cbranch_execz .LBB488_979
; %bb.976:                              ;   in Loop: Header=BB488_794 Depth=1
	v_bfe_u32 v13, v4, 16, 7
	v_cmp_ne_u32_e32 vcc, s21, v13
	v_mov_b32_e32 v8, 0x7f800001
	s_and_saveexec_b64 s[18:19], vcc
	s_cbranch_execz .LBB488_978
; %bb.977:                              ;   in Loop: Header=BB488_794 Depth=1
	v_and_b32_e32 v8, 7, v6
	v_ffbh_u32_e32 v20, v8
	v_min_u32_e32 v22, 32, v20
	v_subrev_u32_e32 v20, 28, v22
	v_lshlrev_b64 v[20:21], v20, v[6:7]
	v_lshrrev_b32_e32 v19, 3, v13
	v_sub_u32_e32 v21, 29, v22
	v_and_b32_e32 v20, 7, v20
	v_cmp_gt_u32_e32 vcc, 8, v13
	v_cndmask_b32_e32 v13, v19, v21, vcc
	v_cndmask_b32_e32 v8, v8, v20, vcc
	v_lshlrev_b32_e32 v6, 24, v6
	v_lshlrev_b32_e32 v8, 20, v8
	v_and_b32_e32 v6, 0x80000000, v6
	v_lshl_add_u32 v13, v13, 23, v10
	v_or3_b32 v8, v6, v13, v8
.LBB488_978:                            ;   in Loop: Header=BB488_794 Depth=1
	s_or_b64 exec, exec, s[18:19]
.LBB488_979:                            ;   in Loop: Header=BB488_794 Depth=1
	s_or_b64 exec, exec, s[16:17]
.LBB488_980:                            ;   in Loop: Header=BB488_794 Depth=1
	s_or_b64 exec, exec, s[14:15]
	v_cmp_lt_u32_e32 vcc, s22, v4
	v_mov_b32_e32 v13, 0
	v_mov_b32_e32 v19, 0
	s_and_saveexec_b64 s[14:15], vcc
	s_cbranch_execz .LBB488_986
; %bb.981:                              ;   in Loop: Header=BB488_794 Depth=1
	v_lshrrev_b32_e32 v6, 24, v4
	v_cmp_ne_u32_e32 vcc, s5, v6
	v_bfrev_b32_e32 v19, 1
	s_and_saveexec_b64 s[16:17], vcc
	s_cbranch_execz .LBB488_985
; %bb.982:                              ;   in Loop: Header=BB488_794 Depth=1
	v_bfe_u32 v4, v4, 24, 7
	v_cmp_ne_u32_e32 vcc, s21, v4
	v_mov_b32_e32 v19, 0x7f800001
	s_and_saveexec_b64 s[18:19], vcc
	s_cbranch_execz .LBB488_984
; %bb.983:                              ;   in Loop: Header=BB488_794 Depth=1
	v_and_b32_e32 v19, 7, v6
	v_ffbh_u32_e32 v20, v19
	v_min_u32_e32 v23, 32, v20
	v_subrev_u32_e32 v20, 28, v23
	v_lshlrev_b64 v[20:21], v20, v[6:7]
	v_lshrrev_b32_e32 v22, 3, v4
	v_sub_u32_e32 v21, 29, v23
	v_and_b32_e32 v20, 7, v20
	v_cmp_gt_u32_e32 vcc, 8, v4
	v_cndmask_b32_e32 v4, v22, v21, vcc
	v_cndmask_b32_e32 v19, v19, v20, vcc
	v_lshlrev_b32_e32 v6, 24, v6
	v_lshlrev_b32_e32 v19, 20, v19
	v_and_b32_e32 v6, 0x80000000, v6
	v_lshl_add_u32 v4, v4, 23, v10
	v_or3_b32 v19, v6, v4, v19
.LBB488_984:                            ;   in Loop: Header=BB488_794 Depth=1
	s_or_b64 exec, exec, s[18:19]
.LBB488_985:                            ;   in Loop: Header=BB488_794 Depth=1
	s_or_b64 exec, exec, s[16:17]
.LBB488_986:                            ;   in Loop: Header=BB488_794 Depth=1
	s_or_b64 exec, exec, s[14:15]
	buffer_load_dword v6, v11, s[0:3], 0 offen offset:32
	buffer_load_dword v4, v11, s[0:3], 0 offen offset:36
	v_cvt_pkrtz_f16_f32 v20, v12, v15
	v_cvt_pkrtz_f16_f32 v21, v14, v17
	;; [unrolled: 1-line block ×4, first 2 shown]
	v_mfma_f32_4x4x4f16 a[0:3], v[2:3], v[20:21], a[0:3] cbsz:4 abid:6
	s_waitcnt vmcnt(1)
	v_cmp_ne_u16_sdwa s[16:17], v6, v9 src0_sel:BYTE_0 src1_sel:DWORD
	v_mfma_f32_4x4x4f16 a[0:3], v[2:3], v[14:15], a[0:3] cbsz:4 abid:7
	s_and_saveexec_b64 s[14:15], s[16:17]
	s_cbranch_execz .LBB488_992
; %bb.987:                              ;   in Loop: Header=BB488_794 Depth=1
	v_cmp_ne_u16_sdwa s[18:19], v6, s5 src0_sel:BYTE_0 src1_sel:DWORD
	v_bfrev_b32_e32 v13, 1
	s_and_saveexec_b64 s[16:17], s[18:19]
	s_cbranch_execz .LBB488_991
; %bb.988:                              ;   in Loop: Header=BB488_794 Depth=1
	v_and_b32_e32 v8, 0x7f, v6
	v_cmp_ne_u32_e32 vcc, s21, v8
	v_mov_b32_e32 v13, 0x7f800001
	s_and_saveexec_b64 s[18:19], vcc
	s_cbranch_execz .LBB488_990
; %bb.989:                              ;   in Loop: Header=BB488_794 Depth=1
	v_and_b32_e32 v14, 7, v6
	v_ffbh_u32_e32 v12, v14
	v_min_u32_e32 v16, 32, v12
	v_subrev_u32_e32 v12, 28, v16
	v_lshlrev_b64 v[12:13], v12, v[6:7]
	v_lshrrev_b32_e32 v15, 3, v8
	v_sub_u32_e32 v13, 29, v16
	v_and_b32_e32 v12, 7, v12
	v_cmp_gt_u32_e32 vcc, 8, v8
	v_cndmask_b32_e32 v8, v15, v13, vcc
	v_cndmask_b32_e32 v12, v14, v12, vcc
	v_lshlrev_b32_e32 v13, 24, v6
	v_lshlrev_b32_e32 v12, 20, v12
	v_and_b32_e32 v13, 0x80000000, v13
	v_lshl_add_u32 v8, v8, 23, v10
	v_or3_b32 v13, v13, v8, v12
.LBB488_990:                            ;   in Loop: Header=BB488_794 Depth=1
	s_or_b64 exec, exec, s[18:19]
.LBB488_991:                            ;   in Loop: Header=BB488_794 Depth=1
	s_or_b64 exec, exec, s[16:17]
.LBB488_992:                            ;   in Loop: Header=BB488_794 Depth=1
	s_or_b64 exec, exec, s[14:15]
	v_lshrrev_b16_e32 v8, 8, v6
	v_cmp_ne_u16_e32 vcc, 0, v8
	v_mov_b32_e32 v12, 0
	v_mov_b32_e32 v15, 0
	s_and_saveexec_b64 s[14:15], vcc
	s_cbranch_execz .LBB488_998
; %bb.993:                              ;   in Loop: Header=BB488_794 Depth=1
	v_cmp_ne_u16_e32 vcc, s5, v8
	v_bfrev_b32_e32 v15, 1
	s_and_saveexec_b64 s[16:17], vcc
	s_cbranch_execz .LBB488_997
; %bb.994:                              ;   in Loop: Header=BB488_794 Depth=1
	v_and_b32_e32 v14, 0x7f, v8
	v_cmp_ne_u32_e32 vcc, s21, v14
	v_mov_b32_e32 v15, 0x7f800001
	s_and_saveexec_b64 s[18:19], vcc
	s_cbranch_execz .LBB488_996
; %bb.995:                              ;   in Loop: Header=BB488_794 Depth=1
	v_and_b32_e32 v15, 7, v8
	v_ffbh_u32_e32 v16, v15
	v_min_u32_e32 v19, 32, v16
	v_subrev_u32_e32 v16, 28, v19
	v_lshlrev_b64 v[16:17], v16, v[8:9]
	v_lshrrev_b32_e32 v18, 3, v14
	v_sub_u32_e32 v8, 29, v19
	v_and_b32_e32 v16, 7, v16
	v_cmp_gt_u32_e32 vcc, 8, v14
	v_cndmask_b32_e32 v8, v18, v8, vcc
	v_cndmask_b32_e32 v14, v15, v16, vcc
	v_lshlrev_b32_e32 v15, 16, v6
	v_lshlrev_b32_e32 v14, 20, v14
	v_and_b32_e32 v15, 0x80000000, v15
	v_lshl_add_u32 v8, v8, 23, v10
	v_or3_b32 v15, v15, v8, v14
.LBB488_996:                            ;   in Loop: Header=BB488_794 Depth=1
	s_or_b64 exec, exec, s[18:19]
.LBB488_997:                            ;   in Loop: Header=BB488_794 Depth=1
	s_or_b64 exec, exec, s[16:17]
.LBB488_998:                            ;   in Loop: Header=BB488_794 Depth=1
	s_or_b64 exec, exec, s[14:15]
	v_lshrrev_b32_e32 v8, 16, v6
	v_cmp_ne_u16_sdwa s[16:17], v8, v9 src0_sel:BYTE_0 src1_sel:DWORD
	s_and_saveexec_b64 s[14:15], s[16:17]
	s_cbranch_execz .LBB488_1004
; %bb.999:                              ;   in Loop: Header=BB488_794 Depth=1
	v_cmp_ne_u16_sdwa s[18:19], v8, s5 src0_sel:BYTE_0 src1_sel:DWORD
	v_bfrev_b32_e32 v12, 1
	s_and_saveexec_b64 s[16:17], s[18:19]
	s_cbranch_execz .LBB488_1003
; %bb.1000:                             ;   in Loop: Header=BB488_794 Depth=1
	v_bfe_u32 v14, v6, 16, 7
	v_cmp_ne_u32_e32 vcc, s21, v14
	v_mov_b32_e32 v12, 0x7f800001
	s_and_saveexec_b64 s[18:19], vcc
	s_cbranch_execz .LBB488_1002
; %bb.1001:                             ;   in Loop: Header=BB488_794 Depth=1
	v_and_b32_e32 v12, 7, v8
	v_ffbh_u32_e32 v16, v12
	v_min_u32_e32 v19, 32, v16
	v_subrev_u32_e32 v16, 28, v19
	v_lshlrev_b64 v[16:17], v16, v[8:9]
	v_lshrrev_b32_e32 v18, 3, v14
	v_sub_u32_e32 v17, 29, v19
	v_and_b32_e32 v16, 7, v16
	v_cmp_gt_u32_e32 vcc, 8, v14
	v_cndmask_b32_e32 v14, v18, v17, vcc
	v_cndmask_b32_e32 v12, v12, v16, vcc
	v_lshlrev_b32_e32 v8, 24, v8
	v_lshlrev_b32_e32 v12, 20, v12
	v_and_b32_e32 v8, 0x80000000, v8
	v_lshl_add_u32 v14, v14, 23, v10
	v_or3_b32 v12, v8, v14, v12
.LBB488_1002:                           ;   in Loop: Header=BB488_794 Depth=1
	s_or_b64 exec, exec, s[18:19]
.LBB488_1003:                           ;   in Loop: Header=BB488_794 Depth=1
	s_or_b64 exec, exec, s[16:17]
.LBB488_1004:                           ;   in Loop: Header=BB488_794 Depth=1
	s_or_b64 exec, exec, s[14:15]
	v_cmp_lt_u32_e32 vcc, s22, v6
	v_mov_b32_e32 v16, 0
	v_mov_b32_e32 v17, 0
	s_and_saveexec_b64 s[14:15], vcc
	s_cbranch_execz .LBB488_1010
; %bb.1005:                             ;   in Loop: Header=BB488_794 Depth=1
	v_lshrrev_b32_e32 v8, 24, v6
	v_cmp_ne_u32_e32 vcc, s5, v8
	v_bfrev_b32_e32 v17, 1
	s_and_saveexec_b64 s[16:17], vcc
	s_cbranch_execz .LBB488_1009
; %bb.1006:                             ;   in Loop: Header=BB488_794 Depth=1
	v_bfe_u32 v6, v6, 24, 7
	v_cmp_ne_u32_e32 vcc, s21, v6
	v_mov_b32_e32 v17, 0x7f800001
	s_and_saveexec_b64 s[18:19], vcc
	s_cbranch_execz .LBB488_1008
; %bb.1007:                             ;   in Loop: Header=BB488_794 Depth=1
	v_and_b32_e32 v14, 7, v8
	v_ffbh_u32_e32 v18, v14
	v_min_u32_e32 v20, 32, v18
	v_subrev_u32_e32 v18, 28, v20
	v_lshlrev_b64 v[18:19], v18, v[8:9]
	v_lshrrev_b32_e32 v17, 3, v6
	v_sub_u32_e32 v19, 29, v20
	v_and_b32_e32 v18, 7, v18
	v_cmp_gt_u32_e32 vcc, 8, v6
	v_cndmask_b32_e32 v6, v17, v19, vcc
	v_cndmask_b32_e32 v14, v14, v18, vcc
	v_lshlrev_b32_e32 v8, 24, v8
	v_lshlrev_b32_e32 v14, 20, v14
	v_and_b32_e32 v8, 0x80000000, v8
	v_lshl_add_u32 v6, v6, 23, v10
	v_or3_b32 v17, v8, v6, v14
.LBB488_1008:                           ;   in Loop: Header=BB488_794 Depth=1
	s_or_b64 exec, exec, s[18:19]
.LBB488_1009:                           ;   in Loop: Header=BB488_794 Depth=1
	s_or_b64 exec, exec, s[16:17]
.LBB488_1010:                           ;   in Loop: Header=BB488_794 Depth=1
	s_or_b64 exec, exec, s[14:15]
	s_waitcnt vmcnt(0)
	v_cmp_ne_u16_sdwa s[16:17], v4, v9 src0_sel:BYTE_0 src1_sel:DWORD
	s_and_saveexec_b64 s[14:15], s[16:17]
	s_cbranch_execz .LBB488_1016
; %bb.1011:                             ;   in Loop: Header=BB488_794 Depth=1
	v_cmp_ne_u16_sdwa s[18:19], v4, s5 src0_sel:BYTE_0 src1_sel:DWORD
	v_bfrev_b32_e32 v16, 1
	s_and_saveexec_b64 s[16:17], s[18:19]
	s_cbranch_execz .LBB488_1015
; %bb.1012:                             ;   in Loop: Header=BB488_794 Depth=1
	v_and_b32_e32 v6, 0x7f, v4
	v_cmp_ne_u32_e32 vcc, s21, v6
	v_mov_b32_e32 v16, 0x7f800001
	s_and_saveexec_b64 s[18:19], vcc
	s_cbranch_execz .LBB488_1014
; %bb.1013:                             ;   in Loop: Header=BB488_794 Depth=1
	v_and_b32_e32 v8, 7, v4
	v_ffbh_u32_e32 v16, v8
	v_min_u32_e32 v16, 32, v16
	v_subrev_u32_e32 v18, 28, v16
	v_lshlrev_b64 v[18:19], v18, v[4:5]
	v_lshrrev_b32_e32 v14, 3, v6
	v_sub_u32_e32 v16, 29, v16
	v_and_b32_e32 v18, 7, v18
	v_cmp_gt_u32_e32 vcc, 8, v6
	v_cndmask_b32_e32 v6, v14, v16, vcc
	v_cndmask_b32_e32 v8, v8, v18, vcc
	v_lshlrev_b32_e32 v14, 24, v4
	v_lshlrev_b32_e32 v8, 20, v8
	v_and_b32_e32 v14, 0x80000000, v14
	v_lshl_add_u32 v6, v6, 23, v10
	v_or3_b32 v16, v14, v6, v8
.LBB488_1014:                           ;   in Loop: Header=BB488_794 Depth=1
	s_or_b64 exec, exec, s[18:19]
.LBB488_1015:                           ;   in Loop: Header=BB488_794 Depth=1
	s_or_b64 exec, exec, s[16:17]
.LBB488_1016:                           ;   in Loop: Header=BB488_794 Depth=1
	s_or_b64 exec, exec, s[14:15]
	v_lshrrev_b16_e32 v6, 8, v4
	v_cmp_ne_u16_e32 vcc, 0, v6
	v_mov_b32_e32 v8, 0
	v_mov_b32_e32 v18, 0
	s_and_saveexec_b64 s[14:15], vcc
	s_cbranch_execz .LBB488_1022
; %bb.1017:                             ;   in Loop: Header=BB488_794 Depth=1
	v_cmp_ne_u16_e32 vcc, s5, v6
	v_bfrev_b32_e32 v18, 1
	s_and_saveexec_b64 s[16:17], vcc
	s_cbranch_execz .LBB488_1021
; %bb.1018:                             ;   in Loop: Header=BB488_794 Depth=1
	v_and_b32_e32 v14, 0x7f, v6
	v_cmp_ne_u32_e32 vcc, s21, v14
	v_mov_b32_e32 v18, 0x7f800001
	s_and_saveexec_b64 s[18:19], vcc
	s_cbranch_execz .LBB488_1020
; %bb.1019:                             ;   in Loop: Header=BB488_794 Depth=1
	v_and_b32_e32 v20, 7, v6
	v_ffbh_u32_e32 v18, v20
	v_min_u32_e32 v22, 32, v18
	v_subrev_u32_e32 v18, 28, v22
	v_lshlrev_b64 v[18:19], v18, v[6:7]
	v_lshrrev_b32_e32 v21, 3, v14
	v_sub_u32_e32 v6, 29, v22
	v_and_b32_e32 v18, 7, v18
	v_cmp_gt_u32_e32 vcc, 8, v14
	v_cndmask_b32_e32 v6, v21, v6, vcc
	v_cndmask_b32_e32 v14, v20, v18, vcc
	v_lshlrev_b32_e32 v18, 16, v4
	v_lshlrev_b32_e32 v14, 20, v14
	v_and_b32_e32 v18, 0x80000000, v18
	v_lshl_add_u32 v6, v6, 23, v10
	v_or3_b32 v18, v18, v6, v14
.LBB488_1020:                           ;   in Loop: Header=BB488_794 Depth=1
	s_or_b64 exec, exec, s[18:19]
.LBB488_1021:                           ;   in Loop: Header=BB488_794 Depth=1
	s_or_b64 exec, exec, s[16:17]
.LBB488_1022:                           ;   in Loop: Header=BB488_794 Depth=1
	s_or_b64 exec, exec, s[14:15]
	v_lshrrev_b32_e32 v6, 16, v4
	v_cmp_ne_u16_sdwa s[16:17], v6, v9 src0_sel:BYTE_0 src1_sel:DWORD
	s_and_saveexec_b64 s[14:15], s[16:17]
	s_cbranch_execz .LBB488_1028
; %bb.1023:                             ;   in Loop: Header=BB488_794 Depth=1
	v_cmp_ne_u16_sdwa s[18:19], v6, s5 src0_sel:BYTE_0 src1_sel:DWORD
	v_bfrev_b32_e32 v8, 1
	s_and_saveexec_b64 s[16:17], s[18:19]
	s_cbranch_execz .LBB488_1027
; %bb.1024:                             ;   in Loop: Header=BB488_794 Depth=1
	v_bfe_u32 v14, v4, 16, 7
	v_cmp_ne_u32_e32 vcc, s21, v14
	v_mov_b32_e32 v8, 0x7f800001
	s_and_saveexec_b64 s[18:19], vcc
	s_cbranch_execz .LBB488_1026
; %bb.1025:                             ;   in Loop: Header=BB488_794 Depth=1
	v_and_b32_e32 v8, 7, v6
	v_ffbh_u32_e32 v20, v8
	v_min_u32_e32 v22, 32, v20
	v_subrev_u32_e32 v20, 28, v22
	v_lshlrev_b64 v[20:21], v20, v[6:7]
	v_lshrrev_b32_e32 v19, 3, v14
	v_sub_u32_e32 v21, 29, v22
	v_and_b32_e32 v20, 7, v20
	v_cmp_gt_u32_e32 vcc, 8, v14
	v_cndmask_b32_e32 v14, v19, v21, vcc
	v_cndmask_b32_e32 v8, v8, v20, vcc
	v_lshlrev_b32_e32 v6, 24, v6
	v_lshlrev_b32_e32 v8, 20, v8
	v_and_b32_e32 v6, 0x80000000, v6
	v_lshl_add_u32 v14, v14, 23, v10
	v_or3_b32 v8, v6, v14, v8
.LBB488_1026:                           ;   in Loop: Header=BB488_794 Depth=1
	s_or_b64 exec, exec, s[18:19]
.LBB488_1027:                           ;   in Loop: Header=BB488_794 Depth=1
	s_or_b64 exec, exec, s[16:17]
.LBB488_1028:                           ;   in Loop: Header=BB488_794 Depth=1
	s_or_b64 exec, exec, s[14:15]
	v_cmp_lt_u32_e32 vcc, s22, v4
	v_mov_b32_e32 v14, 0
	v_mov_b32_e32 v19, 0
	s_and_saveexec_b64 s[14:15], vcc
	s_cbranch_execz .LBB488_1034
; %bb.1029:                             ;   in Loop: Header=BB488_794 Depth=1
	v_lshrrev_b32_e32 v6, 24, v4
	v_cmp_ne_u32_e32 vcc, s5, v6
	v_bfrev_b32_e32 v19, 1
	s_and_saveexec_b64 s[16:17], vcc
	s_cbranch_execz .LBB488_1033
; %bb.1030:                             ;   in Loop: Header=BB488_794 Depth=1
	v_bfe_u32 v4, v4, 24, 7
	v_cmp_ne_u32_e32 vcc, s21, v4
	v_mov_b32_e32 v19, 0x7f800001
	s_and_saveexec_b64 s[18:19], vcc
	s_cbranch_execz .LBB488_1032
; %bb.1031:                             ;   in Loop: Header=BB488_794 Depth=1
	v_and_b32_e32 v19, 7, v6
	v_ffbh_u32_e32 v20, v19
	v_min_u32_e32 v23, 32, v20
	v_subrev_u32_e32 v20, 28, v23
	v_lshlrev_b64 v[20:21], v20, v[6:7]
	v_lshrrev_b32_e32 v22, 3, v4
	v_sub_u32_e32 v21, 29, v23
	v_and_b32_e32 v20, 7, v20
	v_cmp_gt_u32_e32 vcc, 8, v4
	v_cndmask_b32_e32 v4, v22, v21, vcc
	v_cndmask_b32_e32 v19, v19, v20, vcc
	v_lshlrev_b32_e32 v6, 24, v6
	v_lshlrev_b32_e32 v19, 20, v19
	v_and_b32_e32 v6, 0x80000000, v6
	v_lshl_add_u32 v4, v4, 23, v10
	v_or3_b32 v19, v6, v4, v19
.LBB488_1032:                           ;   in Loop: Header=BB488_794 Depth=1
	s_or_b64 exec, exec, s[18:19]
.LBB488_1033:                           ;   in Loop: Header=BB488_794 Depth=1
	s_or_b64 exec, exec, s[16:17]
.LBB488_1034:                           ;   in Loop: Header=BB488_794 Depth=1
	s_or_b64 exec, exec, s[14:15]
	buffer_load_dword v6, v11, s[0:3], 0 offen offset:40
	buffer_load_dword v4, v11, s[0:3], 0 offen offset:44
	v_cvt_pkrtz_f16_f32 v20, v13, v15
	v_cvt_pkrtz_f16_f32 v21, v12, v17
	;; [unrolled: 1-line block ×4, first 2 shown]
	v_mfma_f32_4x4x4f16 a[0:3], v[2:3], v[20:21], a[0:3] cbsz:4 abid:8
	s_waitcnt vmcnt(1)
	v_cmp_ne_u16_sdwa s[16:17], v6, v9 src0_sel:BYTE_0 src1_sel:DWORD
	v_mfma_f32_4x4x4f16 a[0:3], v[2:3], v[12:13], a[0:3] cbsz:4 abid:9
	s_and_saveexec_b64 s[14:15], s[16:17]
	s_cbranch_execz .LBB488_1040
; %bb.1035:                             ;   in Loop: Header=BB488_794 Depth=1
	v_cmp_ne_u16_sdwa s[18:19], v6, s5 src0_sel:BYTE_0 src1_sel:DWORD
	v_bfrev_b32_e32 v14, 1
	s_and_saveexec_b64 s[16:17], s[18:19]
	s_cbranch_execz .LBB488_1039
; %bb.1036:                             ;   in Loop: Header=BB488_794 Depth=1
	v_and_b32_e32 v8, 0x7f, v6
	v_cmp_ne_u32_e32 vcc, s21, v8
	v_mov_b32_e32 v14, 0x7f800001
	s_and_saveexec_b64 s[18:19], vcc
	s_cbranch_execz .LBB488_1038
; %bb.1037:                             ;   in Loop: Header=BB488_794 Depth=1
	v_and_b32_e32 v14, 7, v6
	v_ffbh_u32_e32 v12, v14
	v_min_u32_e32 v16, 32, v12
	v_subrev_u32_e32 v12, 28, v16
	v_lshlrev_b64 v[12:13], v12, v[6:7]
	v_lshrrev_b32_e32 v15, 3, v8
	v_sub_u32_e32 v13, 29, v16
	v_and_b32_e32 v12, 7, v12
	v_cmp_gt_u32_e32 vcc, 8, v8
	v_cndmask_b32_e32 v8, v15, v13, vcc
	v_cndmask_b32_e32 v12, v14, v12, vcc
	v_lshlrev_b32_e32 v13, 24, v6
	v_lshlrev_b32_e32 v12, 20, v12
	v_and_b32_e32 v13, 0x80000000, v13
	v_lshl_add_u32 v8, v8, 23, v10
	v_or3_b32 v14, v13, v8, v12
.LBB488_1038:                           ;   in Loop: Header=BB488_794 Depth=1
	s_or_b64 exec, exec, s[18:19]
.LBB488_1039:                           ;   in Loop: Header=BB488_794 Depth=1
	s_or_b64 exec, exec, s[16:17]
.LBB488_1040:                           ;   in Loop: Header=BB488_794 Depth=1
	s_or_b64 exec, exec, s[14:15]
	v_lshrrev_b16_e32 v8, 8, v6
	v_cmp_ne_u16_e32 vcc, 0, v8
	v_mov_b32_e32 v13, 0
	v_mov_b32_e32 v15, 0
	s_and_saveexec_b64 s[14:15], vcc
	s_cbranch_execz .LBB488_1046
; %bb.1041:                             ;   in Loop: Header=BB488_794 Depth=1
	v_cmp_ne_u16_e32 vcc, s5, v8
	v_bfrev_b32_e32 v15, 1
	s_and_saveexec_b64 s[16:17], vcc
	s_cbranch_execz .LBB488_1045
; %bb.1042:                             ;   in Loop: Header=BB488_794 Depth=1
	v_and_b32_e32 v12, 0x7f, v8
	v_cmp_ne_u32_e32 vcc, s21, v12
	v_mov_b32_e32 v15, 0x7f800001
	s_and_saveexec_b64 s[18:19], vcc
	s_cbranch_execz .LBB488_1044
; %bb.1043:                             ;   in Loop: Header=BB488_794 Depth=1
	v_and_b32_e32 v15, 7, v8
	v_ffbh_u32_e32 v16, v15
	v_min_u32_e32 v19, 32, v16
	v_subrev_u32_e32 v16, 28, v19
	v_lshlrev_b64 v[16:17], v16, v[8:9]
	v_lshrrev_b32_e32 v18, 3, v12
	v_sub_u32_e32 v8, 29, v19
	v_and_b32_e32 v16, 7, v16
	v_cmp_gt_u32_e32 vcc, 8, v12
	v_cndmask_b32_e32 v8, v18, v8, vcc
	v_cndmask_b32_e32 v12, v15, v16, vcc
	v_lshlrev_b32_e32 v15, 16, v6
	v_lshlrev_b32_e32 v12, 20, v12
	v_and_b32_e32 v15, 0x80000000, v15
	v_lshl_add_u32 v8, v8, 23, v10
	v_or3_b32 v15, v15, v8, v12
.LBB488_1044:                           ;   in Loop: Header=BB488_794 Depth=1
	s_or_b64 exec, exec, s[18:19]
.LBB488_1045:                           ;   in Loop: Header=BB488_794 Depth=1
	s_or_b64 exec, exec, s[16:17]
.LBB488_1046:                           ;   in Loop: Header=BB488_794 Depth=1
	s_or_b64 exec, exec, s[14:15]
	v_lshrrev_b32_e32 v8, 16, v6
	v_cmp_ne_u16_sdwa s[16:17], v8, v9 src0_sel:BYTE_0 src1_sel:DWORD
	s_and_saveexec_b64 s[14:15], s[16:17]
	s_cbranch_execz .LBB488_1052
; %bb.1047:                             ;   in Loop: Header=BB488_794 Depth=1
	v_cmp_ne_u16_sdwa s[18:19], v8, s5 src0_sel:BYTE_0 src1_sel:DWORD
	v_bfrev_b32_e32 v13, 1
	s_and_saveexec_b64 s[16:17], s[18:19]
	s_cbranch_execz .LBB488_1051
; %bb.1048:                             ;   in Loop: Header=BB488_794 Depth=1
	v_bfe_u32 v12, v6, 16, 7
	v_cmp_ne_u32_e32 vcc, s21, v12
	v_mov_b32_e32 v13, 0x7f800001
	s_and_saveexec_b64 s[18:19], vcc
	s_cbranch_execz .LBB488_1050
; %bb.1049:                             ;   in Loop: Header=BB488_794 Depth=1
	v_and_b32_e32 v13, 7, v8
	v_ffbh_u32_e32 v16, v13
	v_min_u32_e32 v19, 32, v16
	v_subrev_u32_e32 v16, 28, v19
	v_lshlrev_b64 v[16:17], v16, v[8:9]
	v_lshrrev_b32_e32 v18, 3, v12
	v_sub_u32_e32 v17, 29, v19
	v_and_b32_e32 v16, 7, v16
	v_cmp_gt_u32_e32 vcc, 8, v12
	v_cndmask_b32_e32 v12, v18, v17, vcc
	v_cndmask_b32_e32 v13, v13, v16, vcc
	v_lshlrev_b32_e32 v8, 24, v8
	v_lshlrev_b32_e32 v13, 20, v13
	v_and_b32_e32 v8, 0x80000000, v8
	v_lshl_add_u32 v12, v12, 23, v10
	v_or3_b32 v13, v8, v12, v13
.LBB488_1050:                           ;   in Loop: Header=BB488_794 Depth=1
	s_or_b64 exec, exec, s[18:19]
.LBB488_1051:                           ;   in Loop: Header=BB488_794 Depth=1
	s_or_b64 exec, exec, s[16:17]
.LBB488_1052:                           ;   in Loop: Header=BB488_794 Depth=1
	s_or_b64 exec, exec, s[14:15]
	v_cmp_lt_u32_e32 vcc, s22, v6
	v_mov_b32_e32 v16, 0
	v_mov_b32_e32 v17, 0
	s_and_saveexec_b64 s[14:15], vcc
	s_cbranch_execz .LBB488_1058
; %bb.1053:                             ;   in Loop: Header=BB488_794 Depth=1
	v_lshrrev_b32_e32 v8, 24, v6
	v_cmp_ne_u32_e32 vcc, s5, v8
	v_bfrev_b32_e32 v17, 1
	s_and_saveexec_b64 s[16:17], vcc
	s_cbranch_execz .LBB488_1057
; %bb.1054:                             ;   in Loop: Header=BB488_794 Depth=1
	v_bfe_u32 v6, v6, 24, 7
	v_cmp_ne_u32_e32 vcc, s21, v6
	v_mov_b32_e32 v17, 0x7f800001
	s_and_saveexec_b64 s[18:19], vcc
	s_cbranch_execz .LBB488_1056
; %bb.1055:                             ;   in Loop: Header=BB488_794 Depth=1
	v_and_b32_e32 v12, 7, v8
	v_ffbh_u32_e32 v18, v12
	v_min_u32_e32 v20, 32, v18
	v_subrev_u32_e32 v18, 28, v20
	v_lshlrev_b64 v[18:19], v18, v[8:9]
	v_lshrrev_b32_e32 v17, 3, v6
	v_sub_u32_e32 v19, 29, v20
	v_and_b32_e32 v18, 7, v18
	v_cmp_gt_u32_e32 vcc, 8, v6
	v_cndmask_b32_e32 v6, v17, v19, vcc
	v_cndmask_b32_e32 v12, v12, v18, vcc
	v_lshlrev_b32_e32 v8, 24, v8
	v_lshlrev_b32_e32 v12, 20, v12
	v_and_b32_e32 v8, 0x80000000, v8
	v_lshl_add_u32 v6, v6, 23, v10
	v_or3_b32 v17, v8, v6, v12
.LBB488_1056:                           ;   in Loop: Header=BB488_794 Depth=1
	s_or_b64 exec, exec, s[18:19]
.LBB488_1057:                           ;   in Loop: Header=BB488_794 Depth=1
	s_or_b64 exec, exec, s[16:17]
.LBB488_1058:                           ;   in Loop: Header=BB488_794 Depth=1
	s_or_b64 exec, exec, s[14:15]
	s_waitcnt vmcnt(0)
	v_cmp_ne_u16_sdwa s[16:17], v4, v9 src0_sel:BYTE_0 src1_sel:DWORD
	s_and_saveexec_b64 s[14:15], s[16:17]
	s_cbranch_execz .LBB488_1064
; %bb.1059:                             ;   in Loop: Header=BB488_794 Depth=1
	v_cmp_ne_u16_sdwa s[18:19], v4, s5 src0_sel:BYTE_0 src1_sel:DWORD
	v_bfrev_b32_e32 v16, 1
	s_and_saveexec_b64 s[16:17], s[18:19]
	s_cbranch_execz .LBB488_1063
; %bb.1060:                             ;   in Loop: Header=BB488_794 Depth=1
	v_and_b32_e32 v6, 0x7f, v4
	v_cmp_ne_u32_e32 vcc, s21, v6
	v_mov_b32_e32 v16, 0x7f800001
	s_and_saveexec_b64 s[18:19], vcc
	s_cbranch_execz .LBB488_1062
; %bb.1061:                             ;   in Loop: Header=BB488_794 Depth=1
	v_and_b32_e32 v8, 7, v4
	v_ffbh_u32_e32 v16, v8
	v_min_u32_e32 v16, 32, v16
	v_subrev_u32_e32 v18, 28, v16
	v_lshlrev_b64 v[18:19], v18, v[4:5]
	v_lshrrev_b32_e32 v12, 3, v6
	v_sub_u32_e32 v16, 29, v16
	v_and_b32_e32 v18, 7, v18
	v_cmp_gt_u32_e32 vcc, 8, v6
	v_cndmask_b32_e32 v6, v12, v16, vcc
	v_cndmask_b32_e32 v8, v8, v18, vcc
	v_lshlrev_b32_e32 v12, 24, v4
	v_lshlrev_b32_e32 v8, 20, v8
	v_and_b32_e32 v12, 0x80000000, v12
	v_lshl_add_u32 v6, v6, 23, v10
	v_or3_b32 v16, v12, v6, v8
.LBB488_1062:                           ;   in Loop: Header=BB488_794 Depth=1
	s_or_b64 exec, exec, s[18:19]
.LBB488_1063:                           ;   in Loop: Header=BB488_794 Depth=1
	s_or_b64 exec, exec, s[16:17]
.LBB488_1064:                           ;   in Loop: Header=BB488_794 Depth=1
	s_or_b64 exec, exec, s[14:15]
	v_lshrrev_b16_e32 v6, 8, v4
	v_cmp_ne_u16_e32 vcc, 0, v6
	v_mov_b32_e32 v8, 0
	v_mov_b32_e32 v18, 0
	s_and_saveexec_b64 s[14:15], vcc
	s_cbranch_execz .LBB488_1070
; %bb.1065:                             ;   in Loop: Header=BB488_794 Depth=1
	v_cmp_ne_u16_e32 vcc, s5, v6
	v_bfrev_b32_e32 v18, 1
	s_and_saveexec_b64 s[16:17], vcc
	s_cbranch_execz .LBB488_1069
; %bb.1066:                             ;   in Loop: Header=BB488_794 Depth=1
	v_and_b32_e32 v12, 0x7f, v6
	v_cmp_ne_u32_e32 vcc, s21, v12
	v_mov_b32_e32 v18, 0x7f800001
	s_and_saveexec_b64 s[18:19], vcc
	s_cbranch_execz .LBB488_1068
; %bb.1067:                             ;   in Loop: Header=BB488_794 Depth=1
	v_and_b32_e32 v20, 7, v6
	v_ffbh_u32_e32 v18, v20
	v_min_u32_e32 v22, 32, v18
	v_subrev_u32_e32 v18, 28, v22
	v_lshlrev_b64 v[18:19], v18, v[6:7]
	v_lshrrev_b32_e32 v21, 3, v12
	v_sub_u32_e32 v6, 29, v22
	v_and_b32_e32 v18, 7, v18
	v_cmp_gt_u32_e32 vcc, 8, v12
	v_cndmask_b32_e32 v6, v21, v6, vcc
	v_cndmask_b32_e32 v12, v20, v18, vcc
	v_lshlrev_b32_e32 v18, 16, v4
	v_lshlrev_b32_e32 v12, 20, v12
	v_and_b32_e32 v18, 0x80000000, v18
	v_lshl_add_u32 v6, v6, 23, v10
	v_or3_b32 v18, v18, v6, v12
.LBB488_1068:                           ;   in Loop: Header=BB488_794 Depth=1
	s_or_b64 exec, exec, s[18:19]
.LBB488_1069:                           ;   in Loop: Header=BB488_794 Depth=1
	s_or_b64 exec, exec, s[16:17]
.LBB488_1070:                           ;   in Loop: Header=BB488_794 Depth=1
	s_or_b64 exec, exec, s[14:15]
	v_lshrrev_b32_e32 v6, 16, v4
	v_cmp_ne_u16_sdwa s[16:17], v6, v9 src0_sel:BYTE_0 src1_sel:DWORD
	s_and_saveexec_b64 s[14:15], s[16:17]
	s_cbranch_execz .LBB488_1076
; %bb.1071:                             ;   in Loop: Header=BB488_794 Depth=1
	v_cmp_ne_u16_sdwa s[18:19], v6, s5 src0_sel:BYTE_0 src1_sel:DWORD
	v_bfrev_b32_e32 v8, 1
	s_and_saveexec_b64 s[16:17], s[18:19]
	s_cbranch_execz .LBB488_1075
; %bb.1072:                             ;   in Loop: Header=BB488_794 Depth=1
	v_bfe_u32 v12, v4, 16, 7
	v_cmp_ne_u32_e32 vcc, s21, v12
	v_mov_b32_e32 v8, 0x7f800001
	s_and_saveexec_b64 s[18:19], vcc
	s_cbranch_execz .LBB488_1074
; %bb.1073:                             ;   in Loop: Header=BB488_794 Depth=1
	v_and_b32_e32 v8, 7, v6
	v_ffbh_u32_e32 v20, v8
	v_min_u32_e32 v22, 32, v20
	v_subrev_u32_e32 v20, 28, v22
	v_lshlrev_b64 v[20:21], v20, v[6:7]
	v_lshrrev_b32_e32 v19, 3, v12
	v_sub_u32_e32 v21, 29, v22
	v_and_b32_e32 v20, 7, v20
	v_cmp_gt_u32_e32 vcc, 8, v12
	v_cndmask_b32_e32 v12, v19, v21, vcc
	v_cndmask_b32_e32 v8, v8, v20, vcc
	v_lshlrev_b32_e32 v6, 24, v6
	v_lshlrev_b32_e32 v8, 20, v8
	v_and_b32_e32 v6, 0x80000000, v6
	v_lshl_add_u32 v12, v12, 23, v10
	v_or3_b32 v8, v6, v12, v8
.LBB488_1074:                           ;   in Loop: Header=BB488_794 Depth=1
	s_or_b64 exec, exec, s[18:19]
.LBB488_1075:                           ;   in Loop: Header=BB488_794 Depth=1
	s_or_b64 exec, exec, s[16:17]
.LBB488_1076:                           ;   in Loop: Header=BB488_794 Depth=1
	s_or_b64 exec, exec, s[14:15]
	v_cmp_lt_u32_e32 vcc, s22, v4
	v_mov_b32_e32 v12, 0
	v_mov_b32_e32 v19, 0
	s_and_saveexec_b64 s[14:15], vcc
	s_cbranch_execz .LBB488_1082
; %bb.1077:                             ;   in Loop: Header=BB488_794 Depth=1
	v_lshrrev_b32_e32 v6, 24, v4
	v_cmp_ne_u32_e32 vcc, s5, v6
	v_bfrev_b32_e32 v19, 1
	s_and_saveexec_b64 s[16:17], vcc
	s_cbranch_execz .LBB488_1081
; %bb.1078:                             ;   in Loop: Header=BB488_794 Depth=1
	v_bfe_u32 v4, v4, 24, 7
	v_cmp_ne_u32_e32 vcc, s21, v4
	v_mov_b32_e32 v19, 0x7f800001
	s_and_saveexec_b64 s[18:19], vcc
	s_cbranch_execz .LBB488_1080
; %bb.1079:                             ;   in Loop: Header=BB488_794 Depth=1
	v_and_b32_e32 v19, 7, v6
	v_ffbh_u32_e32 v20, v19
	v_min_u32_e32 v23, 32, v20
	v_subrev_u32_e32 v20, 28, v23
	v_lshlrev_b64 v[20:21], v20, v[6:7]
	v_lshrrev_b32_e32 v22, 3, v4
	v_sub_u32_e32 v21, 29, v23
	v_and_b32_e32 v20, 7, v20
	v_cmp_gt_u32_e32 vcc, 8, v4
	v_cndmask_b32_e32 v4, v22, v21, vcc
	v_cndmask_b32_e32 v19, v19, v20, vcc
	v_lshlrev_b32_e32 v6, 24, v6
	v_lshlrev_b32_e32 v19, 20, v19
	v_and_b32_e32 v6, 0x80000000, v6
	v_lshl_add_u32 v4, v4, 23, v10
	v_or3_b32 v19, v6, v4, v19
.LBB488_1080:                           ;   in Loop: Header=BB488_794 Depth=1
	s_or_b64 exec, exec, s[18:19]
.LBB488_1081:                           ;   in Loop: Header=BB488_794 Depth=1
	s_or_b64 exec, exec, s[16:17]
.LBB488_1082:                           ;   in Loop: Header=BB488_794 Depth=1
	s_or_b64 exec, exec, s[14:15]
	buffer_load_dword v6, v11, s[0:3], 0 offen offset:48
	buffer_load_dword v4, v11, s[0:3], 0 offen offset:52
	v_cvt_pkrtz_f16_f32 v14, v14, v15
	v_cvt_pkrtz_f16_f32 v15, v13, v17
	;; [unrolled: 1-line block ×4, first 2 shown]
	v_mfma_f32_4x4x4f16 a[0:3], v[2:3], v[14:15], a[0:3] cbsz:4 abid:10
	s_waitcnt vmcnt(1)
	v_cmp_ne_u16_sdwa s[16:17], v6, v9 src0_sel:BYTE_0 src1_sel:DWORD
	v_mfma_f32_4x4x4f16 a[0:3], v[2:3], v[16:17], a[0:3] cbsz:4 abid:11
	s_and_saveexec_b64 s[14:15], s[16:17]
	s_cbranch_execz .LBB488_1088
; %bb.1083:                             ;   in Loop: Header=BB488_794 Depth=1
	v_cmp_ne_u16_sdwa s[18:19], v6, s5 src0_sel:BYTE_0 src1_sel:DWORD
	v_bfrev_b32_e32 v12, 1
	s_and_saveexec_b64 s[16:17], s[18:19]
	s_cbranch_execz .LBB488_1087
; %bb.1084:                             ;   in Loop: Header=BB488_794 Depth=1
	v_and_b32_e32 v8, 0x7f, v6
	v_cmp_ne_u32_e32 vcc, s21, v8
	v_mov_b32_e32 v12, 0x7f800001
	s_and_saveexec_b64 s[18:19], vcc
	s_cbranch_execz .LBB488_1086
; %bb.1085:                             ;   in Loop: Header=BB488_794 Depth=1
	v_and_b32_e32 v14, 7, v6
	v_ffbh_u32_e32 v12, v14
	v_min_u32_e32 v16, 32, v12
	v_subrev_u32_e32 v12, 28, v16
	v_lshlrev_b64 v[12:13], v12, v[6:7]
	v_lshrrev_b32_e32 v15, 3, v8
	v_sub_u32_e32 v13, 29, v16
	v_and_b32_e32 v12, 7, v12
	v_cmp_gt_u32_e32 vcc, 8, v8
	v_cndmask_b32_e32 v8, v15, v13, vcc
	v_cndmask_b32_e32 v12, v14, v12, vcc
	v_lshlrev_b32_e32 v13, 24, v6
	v_lshlrev_b32_e32 v12, 20, v12
	v_and_b32_e32 v13, 0x80000000, v13
	v_lshl_add_u32 v8, v8, 23, v10
	v_or3_b32 v12, v13, v8, v12
.LBB488_1086:                           ;   in Loop: Header=BB488_794 Depth=1
	s_or_b64 exec, exec, s[18:19]
.LBB488_1087:                           ;   in Loop: Header=BB488_794 Depth=1
	s_or_b64 exec, exec, s[16:17]
.LBB488_1088:                           ;   in Loop: Header=BB488_794 Depth=1
	s_or_b64 exec, exec, s[14:15]
	v_lshrrev_b16_e32 v8, 8, v6
	v_cmp_ne_u16_e32 vcc, 0, v8
	v_mov_b32_e32 v14, 0
	v_mov_b32_e32 v15, 0
	s_and_saveexec_b64 s[14:15], vcc
	s_cbranch_execz .LBB488_1094
; %bb.1089:                             ;   in Loop: Header=BB488_794 Depth=1
	v_cmp_ne_u16_e32 vcc, s5, v8
	v_bfrev_b32_e32 v15, 1
	s_and_saveexec_b64 s[16:17], vcc
	s_cbranch_execz .LBB488_1093
; %bb.1090:                             ;   in Loop: Header=BB488_794 Depth=1
	v_and_b32_e32 v13, 0x7f, v8
	v_cmp_ne_u32_e32 vcc, s21, v13
	v_mov_b32_e32 v15, 0x7f800001
	s_and_saveexec_b64 s[18:19], vcc
	s_cbranch_execz .LBB488_1092
; %bb.1091:                             ;   in Loop: Header=BB488_794 Depth=1
	v_and_b32_e32 v15, 7, v8
	v_ffbh_u32_e32 v16, v15
	v_min_u32_e32 v19, 32, v16
	v_subrev_u32_e32 v16, 28, v19
	v_lshlrev_b64 v[16:17], v16, v[8:9]
	v_lshrrev_b32_e32 v18, 3, v13
	v_sub_u32_e32 v8, 29, v19
	v_and_b32_e32 v16, 7, v16
	v_cmp_gt_u32_e32 vcc, 8, v13
	v_cndmask_b32_e32 v8, v18, v8, vcc
	v_cndmask_b32_e32 v13, v15, v16, vcc
	v_lshlrev_b32_e32 v15, 16, v6
	v_lshlrev_b32_e32 v13, 20, v13
	v_and_b32_e32 v15, 0x80000000, v15
	v_lshl_add_u32 v8, v8, 23, v10
	v_or3_b32 v15, v15, v8, v13
.LBB488_1092:                           ;   in Loop: Header=BB488_794 Depth=1
	s_or_b64 exec, exec, s[18:19]
.LBB488_1093:                           ;   in Loop: Header=BB488_794 Depth=1
	s_or_b64 exec, exec, s[16:17]
.LBB488_1094:                           ;   in Loop: Header=BB488_794 Depth=1
	s_or_b64 exec, exec, s[14:15]
	v_lshrrev_b32_e32 v8, 16, v6
	v_cmp_ne_u16_sdwa s[16:17], v8, v9 src0_sel:BYTE_0 src1_sel:DWORD
	s_and_saveexec_b64 s[14:15], s[16:17]
	s_cbranch_execz .LBB488_1100
; %bb.1095:                             ;   in Loop: Header=BB488_794 Depth=1
	v_cmp_ne_u16_sdwa s[18:19], v8, s5 src0_sel:BYTE_0 src1_sel:DWORD
	v_bfrev_b32_e32 v14, 1
	s_and_saveexec_b64 s[16:17], s[18:19]
	s_cbranch_execz .LBB488_1099
; %bb.1096:                             ;   in Loop: Header=BB488_794 Depth=1
	v_bfe_u32 v13, v6, 16, 7
	v_cmp_ne_u32_e32 vcc, s21, v13
	v_mov_b32_e32 v14, 0x7f800001
	s_and_saveexec_b64 s[18:19], vcc
	s_cbranch_execz .LBB488_1098
; %bb.1097:                             ;   in Loop: Header=BB488_794 Depth=1
	v_and_b32_e32 v14, 7, v8
	v_ffbh_u32_e32 v16, v14
	v_min_u32_e32 v19, 32, v16
	v_subrev_u32_e32 v16, 28, v19
	v_lshlrev_b64 v[16:17], v16, v[8:9]
	v_lshrrev_b32_e32 v18, 3, v13
	v_sub_u32_e32 v17, 29, v19
	v_and_b32_e32 v16, 7, v16
	v_cmp_gt_u32_e32 vcc, 8, v13
	v_cndmask_b32_e32 v13, v18, v17, vcc
	v_cndmask_b32_e32 v14, v14, v16, vcc
	v_lshlrev_b32_e32 v8, 24, v8
	v_lshlrev_b32_e32 v14, 20, v14
	v_and_b32_e32 v8, 0x80000000, v8
	v_lshl_add_u32 v13, v13, 23, v10
	v_or3_b32 v14, v8, v13, v14
.LBB488_1098:                           ;   in Loop: Header=BB488_794 Depth=1
	s_or_b64 exec, exec, s[18:19]
.LBB488_1099:                           ;   in Loop: Header=BB488_794 Depth=1
	s_or_b64 exec, exec, s[16:17]
.LBB488_1100:                           ;   in Loop: Header=BB488_794 Depth=1
	s_or_b64 exec, exec, s[14:15]
	v_cmp_lt_u32_e32 vcc, s22, v6
	v_mov_b32_e32 v16, 0
	v_mov_b32_e32 v17, 0
	s_and_saveexec_b64 s[14:15], vcc
	s_cbranch_execz .LBB488_1106
; %bb.1101:                             ;   in Loop: Header=BB488_794 Depth=1
	v_lshrrev_b32_e32 v8, 24, v6
	v_cmp_ne_u32_e32 vcc, s5, v8
	v_bfrev_b32_e32 v17, 1
	s_and_saveexec_b64 s[16:17], vcc
	s_cbranch_execz .LBB488_1105
; %bb.1102:                             ;   in Loop: Header=BB488_794 Depth=1
	v_bfe_u32 v6, v6, 24, 7
	v_cmp_ne_u32_e32 vcc, s21, v6
	v_mov_b32_e32 v17, 0x7f800001
	s_and_saveexec_b64 s[18:19], vcc
	s_cbranch_execz .LBB488_1104
; %bb.1103:                             ;   in Loop: Header=BB488_794 Depth=1
	v_and_b32_e32 v13, 7, v8
	v_ffbh_u32_e32 v18, v13
	v_min_u32_e32 v20, 32, v18
	v_subrev_u32_e32 v18, 28, v20
	v_lshlrev_b64 v[18:19], v18, v[8:9]
	v_lshrrev_b32_e32 v17, 3, v6
	v_sub_u32_e32 v19, 29, v20
	v_and_b32_e32 v18, 7, v18
	v_cmp_gt_u32_e32 vcc, 8, v6
	v_cndmask_b32_e32 v6, v17, v19, vcc
	v_cndmask_b32_e32 v13, v13, v18, vcc
	v_lshlrev_b32_e32 v8, 24, v8
	v_lshlrev_b32_e32 v13, 20, v13
	v_and_b32_e32 v8, 0x80000000, v8
	v_lshl_add_u32 v6, v6, 23, v10
	v_or3_b32 v17, v8, v6, v13
.LBB488_1104:                           ;   in Loop: Header=BB488_794 Depth=1
	s_or_b64 exec, exec, s[18:19]
.LBB488_1105:                           ;   in Loop: Header=BB488_794 Depth=1
	s_or_b64 exec, exec, s[16:17]
.LBB488_1106:                           ;   in Loop: Header=BB488_794 Depth=1
	s_or_b64 exec, exec, s[14:15]
	s_waitcnt vmcnt(0)
	v_cmp_ne_u16_sdwa s[16:17], v4, v9 src0_sel:BYTE_0 src1_sel:DWORD
	s_and_saveexec_b64 s[14:15], s[16:17]
	s_cbranch_execz .LBB488_1112
; %bb.1107:                             ;   in Loop: Header=BB488_794 Depth=1
	v_cmp_ne_u16_sdwa s[18:19], v4, s5 src0_sel:BYTE_0 src1_sel:DWORD
	v_bfrev_b32_e32 v16, 1
	s_and_saveexec_b64 s[16:17], s[18:19]
	s_cbranch_execz .LBB488_1111
; %bb.1108:                             ;   in Loop: Header=BB488_794 Depth=1
	v_and_b32_e32 v6, 0x7f, v4
	v_cmp_ne_u32_e32 vcc, s21, v6
	v_mov_b32_e32 v16, 0x7f800001
	s_and_saveexec_b64 s[18:19], vcc
	s_cbranch_execz .LBB488_1110
; %bb.1109:                             ;   in Loop: Header=BB488_794 Depth=1
	v_and_b32_e32 v8, 7, v4
	v_ffbh_u32_e32 v16, v8
	v_min_u32_e32 v16, 32, v16
	v_subrev_u32_e32 v18, 28, v16
	v_lshlrev_b64 v[18:19], v18, v[4:5]
	v_lshrrev_b32_e32 v13, 3, v6
	v_sub_u32_e32 v16, 29, v16
	v_and_b32_e32 v18, 7, v18
	v_cmp_gt_u32_e32 vcc, 8, v6
	v_cndmask_b32_e32 v6, v13, v16, vcc
	v_cndmask_b32_e32 v8, v8, v18, vcc
	v_lshlrev_b32_e32 v13, 24, v4
	v_lshlrev_b32_e32 v8, 20, v8
	v_and_b32_e32 v13, 0x80000000, v13
	v_lshl_add_u32 v6, v6, 23, v10
	v_or3_b32 v16, v13, v6, v8
.LBB488_1110:                           ;   in Loop: Header=BB488_794 Depth=1
	s_or_b64 exec, exec, s[18:19]
.LBB488_1111:                           ;   in Loop: Header=BB488_794 Depth=1
	s_or_b64 exec, exec, s[16:17]
.LBB488_1112:                           ;   in Loop: Header=BB488_794 Depth=1
	s_or_b64 exec, exec, s[14:15]
	v_lshrrev_b16_e32 v6, 8, v4
	v_cmp_ne_u16_e32 vcc, 0, v6
	v_mov_b32_e32 v8, 0
	v_mov_b32_e32 v18, 0
	s_and_saveexec_b64 s[14:15], vcc
	s_cbranch_execz .LBB488_1118
; %bb.1113:                             ;   in Loop: Header=BB488_794 Depth=1
	v_cmp_ne_u16_e32 vcc, s5, v6
	v_bfrev_b32_e32 v18, 1
	s_and_saveexec_b64 s[16:17], vcc
	s_cbranch_execz .LBB488_1117
; %bb.1114:                             ;   in Loop: Header=BB488_794 Depth=1
	v_and_b32_e32 v13, 0x7f, v6
	v_cmp_ne_u32_e32 vcc, s21, v13
	v_mov_b32_e32 v18, 0x7f800001
	s_and_saveexec_b64 s[18:19], vcc
	s_cbranch_execz .LBB488_1116
; %bb.1115:                             ;   in Loop: Header=BB488_794 Depth=1
	v_and_b32_e32 v20, 7, v6
	v_ffbh_u32_e32 v18, v20
	v_min_u32_e32 v22, 32, v18
	v_subrev_u32_e32 v18, 28, v22
	v_lshlrev_b64 v[18:19], v18, v[6:7]
	v_lshrrev_b32_e32 v21, 3, v13
	v_sub_u32_e32 v6, 29, v22
	v_and_b32_e32 v18, 7, v18
	v_cmp_gt_u32_e32 vcc, 8, v13
	v_cndmask_b32_e32 v6, v21, v6, vcc
	v_cndmask_b32_e32 v13, v20, v18, vcc
	v_lshlrev_b32_e32 v18, 16, v4
	v_lshlrev_b32_e32 v13, 20, v13
	v_and_b32_e32 v18, 0x80000000, v18
	v_lshl_add_u32 v6, v6, 23, v10
	v_or3_b32 v18, v18, v6, v13
.LBB488_1116:                           ;   in Loop: Header=BB488_794 Depth=1
	s_or_b64 exec, exec, s[18:19]
.LBB488_1117:                           ;   in Loop: Header=BB488_794 Depth=1
	s_or_b64 exec, exec, s[16:17]
.LBB488_1118:                           ;   in Loop: Header=BB488_794 Depth=1
	s_or_b64 exec, exec, s[14:15]
	v_lshrrev_b32_e32 v6, 16, v4
	v_cmp_ne_u16_sdwa s[16:17], v6, v9 src0_sel:BYTE_0 src1_sel:DWORD
	s_and_saveexec_b64 s[14:15], s[16:17]
	s_cbranch_execz .LBB488_1124
; %bb.1119:                             ;   in Loop: Header=BB488_794 Depth=1
	v_cmp_ne_u16_sdwa s[18:19], v6, s5 src0_sel:BYTE_0 src1_sel:DWORD
	v_bfrev_b32_e32 v8, 1
	s_and_saveexec_b64 s[16:17], s[18:19]
	s_cbranch_execz .LBB488_1123
; %bb.1120:                             ;   in Loop: Header=BB488_794 Depth=1
	v_bfe_u32 v13, v4, 16, 7
	v_cmp_ne_u32_e32 vcc, s21, v13
	v_mov_b32_e32 v8, 0x7f800001
	s_and_saveexec_b64 s[18:19], vcc
	s_cbranch_execz .LBB488_1122
; %bb.1121:                             ;   in Loop: Header=BB488_794 Depth=1
	v_and_b32_e32 v8, 7, v6
	v_ffbh_u32_e32 v20, v8
	v_min_u32_e32 v22, 32, v20
	v_subrev_u32_e32 v20, 28, v22
	v_lshlrev_b64 v[20:21], v20, v[6:7]
	v_lshrrev_b32_e32 v19, 3, v13
	v_sub_u32_e32 v21, 29, v22
	v_and_b32_e32 v20, 7, v20
	v_cmp_gt_u32_e32 vcc, 8, v13
	v_cndmask_b32_e32 v13, v19, v21, vcc
	v_cndmask_b32_e32 v8, v8, v20, vcc
	v_lshlrev_b32_e32 v6, 24, v6
	v_lshlrev_b32_e32 v8, 20, v8
	v_and_b32_e32 v6, 0x80000000, v6
	v_lshl_add_u32 v13, v13, 23, v10
	v_or3_b32 v8, v6, v13, v8
.LBB488_1122:                           ;   in Loop: Header=BB488_794 Depth=1
	s_or_b64 exec, exec, s[18:19]
.LBB488_1123:                           ;   in Loop: Header=BB488_794 Depth=1
	s_or_b64 exec, exec, s[16:17]
.LBB488_1124:                           ;   in Loop: Header=BB488_794 Depth=1
	s_or_b64 exec, exec, s[14:15]
	v_cmp_lt_u32_e32 vcc, s22, v4
	v_mov_b32_e32 v13, 0
	v_mov_b32_e32 v19, 0
	s_and_saveexec_b64 s[14:15], vcc
	s_cbranch_execz .LBB488_1130
; %bb.1125:                             ;   in Loop: Header=BB488_794 Depth=1
	v_lshrrev_b32_e32 v6, 24, v4
	v_cmp_ne_u32_e32 vcc, s5, v6
	v_bfrev_b32_e32 v19, 1
	s_and_saveexec_b64 s[16:17], vcc
	s_cbranch_execz .LBB488_1129
; %bb.1126:                             ;   in Loop: Header=BB488_794 Depth=1
	v_bfe_u32 v4, v4, 24, 7
	v_cmp_ne_u32_e32 vcc, s21, v4
	v_mov_b32_e32 v19, 0x7f800001
	s_and_saveexec_b64 s[18:19], vcc
	s_cbranch_execz .LBB488_1128
; %bb.1127:                             ;   in Loop: Header=BB488_794 Depth=1
	v_and_b32_e32 v19, 7, v6
	v_ffbh_u32_e32 v20, v19
	v_min_u32_e32 v23, 32, v20
	v_subrev_u32_e32 v20, 28, v23
	v_lshlrev_b64 v[20:21], v20, v[6:7]
	v_lshrrev_b32_e32 v22, 3, v4
	v_sub_u32_e32 v21, 29, v23
	v_and_b32_e32 v20, 7, v20
	v_cmp_gt_u32_e32 vcc, 8, v4
	v_cndmask_b32_e32 v4, v22, v21, vcc
	v_cndmask_b32_e32 v19, v19, v20, vcc
	v_lshlrev_b32_e32 v6, 24, v6
	v_lshlrev_b32_e32 v19, 20, v19
	v_and_b32_e32 v6, 0x80000000, v6
	v_lshl_add_u32 v4, v4, 23, v10
	v_or3_b32 v19, v6, v4, v19
.LBB488_1128:                           ;   in Loop: Header=BB488_794 Depth=1
	s_or_b64 exec, exec, s[18:19]
.LBB488_1129:                           ;   in Loop: Header=BB488_794 Depth=1
	s_or_b64 exec, exec, s[16:17]
.LBB488_1130:                           ;   in Loop: Header=BB488_794 Depth=1
	s_or_b64 exec, exec, s[14:15]
	buffer_load_dword v6, v11, s[0:3], 0 offen offset:56
	buffer_load_dword v4, v11, s[0:3], 0 offen offset:60
	v_cvt_pkrtz_f16_f32 v20, v12, v15
	v_cvt_pkrtz_f16_f32 v21, v14, v17
	;; [unrolled: 1-line block ×4, first 2 shown]
	v_mfma_f32_4x4x4f16 a[0:3], v[2:3], v[20:21], a[0:3] cbsz:4 abid:12
	s_waitcnt vmcnt(1)
	v_cmp_ne_u16_sdwa s[16:17], v6, v9 src0_sel:BYTE_0 src1_sel:DWORD
	v_mfma_f32_4x4x4f16 a[0:3], v[2:3], v[14:15], a[0:3] cbsz:4 abid:13
	s_and_saveexec_b64 s[14:15], s[16:17]
	s_cbranch_execz .LBB488_1136
; %bb.1131:                             ;   in Loop: Header=BB488_794 Depth=1
	v_cmp_ne_u16_sdwa s[18:19], v6, s5 src0_sel:BYTE_0 src1_sel:DWORD
	v_bfrev_b32_e32 v13, 1
	s_and_saveexec_b64 s[16:17], s[18:19]
	s_cbranch_execz .LBB488_1135
; %bb.1132:                             ;   in Loop: Header=BB488_794 Depth=1
	v_and_b32_e32 v8, 0x7f, v6
	v_cmp_ne_u32_e32 vcc, s21, v8
	v_mov_b32_e32 v13, 0x7f800001
	s_and_saveexec_b64 s[18:19], vcc
	s_cbranch_execz .LBB488_1134
; %bb.1133:                             ;   in Loop: Header=BB488_794 Depth=1
	v_and_b32_e32 v11, 7, v6
	v_ffbh_u32_e32 v12, v11
	v_min_u32_e32 v15, 32, v12
	v_subrev_u32_e32 v12, 28, v15
	v_lshlrev_b64 v[12:13], v12, v[6:7]
	v_lshrrev_b32_e32 v14, 3, v8
	v_sub_u32_e32 v13, 29, v15
	v_and_b32_e32 v12, 7, v12
	v_cmp_gt_u32_e32 vcc, 8, v8
	v_cndmask_b32_e32 v8, v14, v13, vcc
	v_cndmask_b32_e32 v11, v11, v12, vcc
	v_lshlrev_b32_e32 v12, 24, v6
	v_lshlrev_b32_e32 v11, 20, v11
	v_and_b32_e32 v12, 0x80000000, v12
	v_lshl_add_u32 v8, v8, 23, v10
	v_or3_b32 v13, v12, v8, v11
.LBB488_1134:                           ;   in Loop: Header=BB488_794 Depth=1
	s_or_b64 exec, exec, s[18:19]
.LBB488_1135:                           ;   in Loop: Header=BB488_794 Depth=1
	s_or_b64 exec, exec, s[16:17]
.LBB488_1136:                           ;   in Loop: Header=BB488_794 Depth=1
	s_or_b64 exec, exec, s[14:15]
	v_lshrrev_b16_e32 v8, 8, v6
	v_cmp_ne_u16_e32 vcc, 0, v8
	v_mov_b32_e32 v11, 0
	v_mov_b32_e32 v12, 0
	s_and_saveexec_b64 s[14:15], vcc
	s_cbranch_execz .LBB488_1142
; %bb.1137:                             ;   in Loop: Header=BB488_794 Depth=1
	v_cmp_ne_u16_e32 vcc, s5, v8
	v_bfrev_b32_e32 v12, 1
	s_and_saveexec_b64 s[16:17], vcc
	s_cbranch_execz .LBB488_1141
; %bb.1138:                             ;   in Loop: Header=BB488_794 Depth=1
	v_and_b32_e32 v14, 0x7f, v8
	v_cmp_ne_u32_e32 vcc, s21, v14
	v_mov_b32_e32 v12, 0x7f800001
	s_and_saveexec_b64 s[18:19], vcc
	s_cbranch_execz .LBB488_1140
; %bb.1139:                             ;   in Loop: Header=BB488_794 Depth=1
	v_and_b32_e32 v12, 7, v8
	v_ffbh_u32_e32 v16, v12
	v_min_u32_e32 v18, 32, v16
	v_subrev_u32_e32 v16, 28, v18
	v_lshlrev_b64 v[16:17], v16, v[8:9]
	v_lshrrev_b32_e32 v15, 3, v14
	v_sub_u32_e32 v8, 29, v18
	v_and_b32_e32 v16, 7, v16
	v_cmp_gt_u32_e32 vcc, 8, v14
	v_cndmask_b32_e32 v8, v15, v8, vcc
	v_cndmask_b32_e32 v12, v12, v16, vcc
	v_lshlrev_b32_e32 v14, 16, v6
	v_lshlrev_b32_e32 v12, 20, v12
	v_and_b32_e32 v14, 0x80000000, v14
	v_lshl_add_u32 v8, v8, 23, v10
	v_or3_b32 v12, v14, v8, v12
.LBB488_1140:                           ;   in Loop: Header=BB488_794 Depth=1
	s_or_b64 exec, exec, s[18:19]
.LBB488_1141:                           ;   in Loop: Header=BB488_794 Depth=1
	s_or_b64 exec, exec, s[16:17]
.LBB488_1142:                           ;   in Loop: Header=BB488_794 Depth=1
	s_or_b64 exec, exec, s[14:15]
	v_lshrrev_b32_e32 v8, 16, v6
	v_cmp_ne_u16_sdwa s[16:17], v8, v9 src0_sel:BYTE_0 src1_sel:DWORD
	s_and_saveexec_b64 s[14:15], s[16:17]
	s_cbranch_execz .LBB488_1148
; %bb.1143:                             ;   in Loop: Header=BB488_794 Depth=1
	v_cmp_ne_u16_sdwa s[18:19], v8, s5 src0_sel:BYTE_0 src1_sel:DWORD
	v_bfrev_b32_e32 v11, 1
	s_and_saveexec_b64 s[16:17], s[18:19]
	s_cbranch_execz .LBB488_1147
; %bb.1144:                             ;   in Loop: Header=BB488_794 Depth=1
	v_bfe_u32 v14, v6, 16, 7
	v_cmp_ne_u32_e32 vcc, s21, v14
	v_mov_b32_e32 v11, 0x7f800001
	s_and_saveexec_b64 s[18:19], vcc
	s_cbranch_execz .LBB488_1146
; %bb.1145:                             ;   in Loop: Header=BB488_794 Depth=1
	v_and_b32_e32 v11, 7, v8
	v_ffbh_u32_e32 v16, v11
	v_min_u32_e32 v18, 32, v16
	v_subrev_u32_e32 v16, 28, v18
	v_lshlrev_b64 v[16:17], v16, v[8:9]
	v_lshrrev_b32_e32 v15, 3, v14
	v_sub_u32_e32 v17, 29, v18
	v_and_b32_e32 v16, 7, v16
	v_cmp_gt_u32_e32 vcc, 8, v14
	v_cndmask_b32_e32 v14, v15, v17, vcc
	v_cndmask_b32_e32 v11, v11, v16, vcc
	v_lshlrev_b32_e32 v8, 24, v8
	v_lshlrev_b32_e32 v11, 20, v11
	v_and_b32_e32 v8, 0x80000000, v8
	v_lshl_add_u32 v14, v14, 23, v10
	v_or3_b32 v11, v8, v14, v11
.LBB488_1146:                           ;   in Loop: Header=BB488_794 Depth=1
	s_or_b64 exec, exec, s[18:19]
.LBB488_1147:                           ;   in Loop: Header=BB488_794 Depth=1
	s_or_b64 exec, exec, s[16:17]
.LBB488_1148:                           ;   in Loop: Header=BB488_794 Depth=1
	s_or_b64 exec, exec, s[14:15]
	v_cmp_lt_u32_e32 vcc, s22, v6
	v_mov_b32_e32 v14, 0
	v_mov_b32_e32 v15, 0
	s_and_saveexec_b64 s[14:15], vcc
	s_cbranch_execz .LBB488_1154
; %bb.1149:                             ;   in Loop: Header=BB488_794 Depth=1
	v_lshrrev_b32_e32 v8, 24, v6
	v_cmp_ne_u32_e32 vcc, s5, v8
	v_bfrev_b32_e32 v15, 1
	s_and_saveexec_b64 s[16:17], vcc
	s_cbranch_execz .LBB488_1153
; %bb.1150:                             ;   in Loop: Header=BB488_794 Depth=1
	v_bfe_u32 v6, v6, 24, 7
	v_cmp_ne_u32_e32 vcc, s21, v6
	v_mov_b32_e32 v15, 0x7f800001
	s_and_saveexec_b64 s[18:19], vcc
	s_cbranch_execz .LBB488_1152
; %bb.1151:                             ;   in Loop: Header=BB488_794 Depth=1
	v_and_b32_e32 v15, 7, v8
	v_ffbh_u32_e32 v16, v15
	v_min_u32_e32 v19, 32, v16
	v_subrev_u32_e32 v16, 28, v19
	v_lshlrev_b64 v[16:17], v16, v[8:9]
	v_lshrrev_b32_e32 v18, 3, v6
	v_sub_u32_e32 v17, 29, v19
	v_and_b32_e32 v16, 7, v16
	v_cmp_gt_u32_e32 vcc, 8, v6
	v_cndmask_b32_e32 v6, v18, v17, vcc
	v_cndmask_b32_e32 v15, v15, v16, vcc
	v_lshlrev_b32_e32 v8, 24, v8
	v_lshlrev_b32_e32 v15, 20, v15
	v_and_b32_e32 v8, 0x80000000, v8
	v_lshl_add_u32 v6, v6, 23, v10
	v_or3_b32 v15, v8, v6, v15
.LBB488_1152:                           ;   in Loop: Header=BB488_794 Depth=1
	s_or_b64 exec, exec, s[18:19]
.LBB488_1153:                           ;   in Loop: Header=BB488_794 Depth=1
	s_or_b64 exec, exec, s[16:17]
.LBB488_1154:                           ;   in Loop: Header=BB488_794 Depth=1
	s_or_b64 exec, exec, s[14:15]
	s_waitcnt vmcnt(0)
	v_cmp_ne_u16_sdwa s[16:17], v4, v9 src0_sel:BYTE_0 src1_sel:DWORD
	s_and_saveexec_b64 s[14:15], s[16:17]
	s_cbranch_execz .LBB488_1160
; %bb.1155:                             ;   in Loop: Header=BB488_794 Depth=1
	v_cmp_ne_u16_sdwa s[18:19], v4, s5 src0_sel:BYTE_0 src1_sel:DWORD
	v_bfrev_b32_e32 v14, 1
	s_and_saveexec_b64 s[16:17], s[18:19]
	s_cbranch_execz .LBB488_1159
; %bb.1156:                             ;   in Loop: Header=BB488_794 Depth=1
	v_and_b32_e32 v6, 0x7f, v4
	v_cmp_ne_u32_e32 vcc, s21, v6
	v_mov_b32_e32 v14, 0x7f800001
	s_and_saveexec_b64 s[18:19], vcc
	s_cbranch_execz .LBB488_1158
; %bb.1157:                             ;   in Loop: Header=BB488_794 Depth=1
	v_and_b32_e32 v8, 7, v4
	v_ffbh_u32_e32 v16, v8
	v_min_u32_e32 v18, 32, v16
	v_subrev_u32_e32 v16, 28, v18
	v_lshlrev_b64 v[16:17], v16, v[4:5]
	v_lshrrev_b32_e32 v14, 3, v6
	v_sub_u32_e32 v17, 29, v18
	v_and_b32_e32 v16, 7, v16
	v_cmp_gt_u32_e32 vcc, 8, v6
	v_cndmask_b32_e32 v6, v14, v17, vcc
	v_cndmask_b32_e32 v8, v8, v16, vcc
	v_lshlrev_b32_e32 v14, 24, v4
	v_lshlrev_b32_e32 v8, 20, v8
	v_and_b32_e32 v14, 0x80000000, v14
	v_lshl_add_u32 v6, v6, 23, v10
	v_or3_b32 v14, v14, v6, v8
.LBB488_1158:                           ;   in Loop: Header=BB488_794 Depth=1
	s_or_b64 exec, exec, s[18:19]
.LBB488_1159:                           ;   in Loop: Header=BB488_794 Depth=1
	s_or_b64 exec, exec, s[16:17]
.LBB488_1160:                           ;   in Loop: Header=BB488_794 Depth=1
	s_or_b64 exec, exec, s[14:15]
	v_lshrrev_b16_e32 v6, 8, v4
	v_cmp_ne_u16_e32 vcc, 0, v6
	v_mov_b32_e32 v8, 0
	v_mov_b32_e32 v16, 0
	s_and_saveexec_b64 s[14:15], vcc
	s_cbranch_execz .LBB488_1166
; %bb.1161:                             ;   in Loop: Header=BB488_794 Depth=1
	v_cmp_ne_u16_e32 vcc, s5, v6
	v_bfrev_b32_e32 v16, 1
	s_and_saveexec_b64 s[16:17], vcc
	s_cbranch_execz .LBB488_1165
; %bb.1162:                             ;   in Loop: Header=BB488_794 Depth=1
	v_and_b32_e32 v17, 0x7f, v6
	v_cmp_ne_u32_e32 vcc, s21, v17
	v_mov_b32_e32 v16, 0x7f800001
	s_and_saveexec_b64 s[18:19], vcc
	s_cbranch_execz .LBB488_1164
; %bb.1163:                             ;   in Loop: Header=BB488_794 Depth=1
	v_and_b32_e32 v16, 7, v6
	v_ffbh_u32_e32 v18, v16
	v_min_u32_e32 v21, 32, v18
	v_subrev_u32_e32 v18, 28, v21
	v_lshlrev_b64 v[18:19], v18, v[6:7]
	v_lshrrev_b32_e32 v20, 3, v17
	v_sub_u32_e32 v6, 29, v21
	v_and_b32_e32 v18, 7, v18
	v_cmp_gt_u32_e32 vcc, 8, v17
	v_cndmask_b32_e32 v6, v20, v6, vcc
	v_cndmask_b32_e32 v16, v16, v18, vcc
	v_lshlrev_b32_e32 v17, 16, v4
	v_lshlrev_b32_e32 v16, 20, v16
	v_and_b32_e32 v17, 0x80000000, v17
	v_lshl_add_u32 v6, v6, 23, v10
	v_or3_b32 v16, v17, v6, v16
.LBB488_1164:                           ;   in Loop: Header=BB488_794 Depth=1
	s_or_b64 exec, exec, s[18:19]
.LBB488_1165:                           ;   in Loop: Header=BB488_794 Depth=1
	s_or_b64 exec, exec, s[16:17]
.LBB488_1166:                           ;   in Loop: Header=BB488_794 Depth=1
	s_or_b64 exec, exec, s[14:15]
	v_lshrrev_b32_e32 v6, 16, v4
	v_cmp_ne_u16_sdwa s[16:17], v6, v9 src0_sel:BYTE_0 src1_sel:DWORD
	s_and_saveexec_b64 s[14:15], s[16:17]
	s_cbranch_execz .LBB488_1172
; %bb.1167:                             ;   in Loop: Header=BB488_794 Depth=1
	v_cmp_ne_u16_sdwa s[18:19], v6, s5 src0_sel:BYTE_0 src1_sel:DWORD
	v_bfrev_b32_e32 v8, 1
	s_and_saveexec_b64 s[16:17], s[18:19]
	s_cbranch_execz .LBB488_1171
; %bb.1168:                             ;   in Loop: Header=BB488_794 Depth=1
	v_bfe_u32 v17, v4, 16, 7
	v_cmp_ne_u32_e32 vcc, s21, v17
	v_mov_b32_e32 v8, 0x7f800001
	s_and_saveexec_b64 s[18:19], vcc
	s_cbranch_execz .LBB488_1170
; %bb.1169:                             ;   in Loop: Header=BB488_794 Depth=1
	v_and_b32_e32 v8, 7, v6
	v_ffbh_u32_e32 v18, v8
	v_min_u32_e32 v21, 32, v18
	v_subrev_u32_e32 v18, 28, v21
	v_lshlrev_b64 v[18:19], v18, v[6:7]
	v_lshrrev_b32_e32 v20, 3, v17
	v_sub_u32_e32 v19, 29, v21
	v_and_b32_e32 v18, 7, v18
	v_cmp_gt_u32_e32 vcc, 8, v17
	v_cndmask_b32_e32 v17, v20, v19, vcc
	v_cndmask_b32_e32 v8, v8, v18, vcc
	v_lshlrev_b32_e32 v6, 24, v6
	v_lshlrev_b32_e32 v8, 20, v8
	v_and_b32_e32 v6, 0x80000000, v6
	v_lshl_add_u32 v17, v17, 23, v10
	v_or3_b32 v8, v6, v17, v8
.LBB488_1170:                           ;   in Loop: Header=BB488_794 Depth=1
	s_or_b64 exec, exec, s[18:19]
.LBB488_1171:                           ;   in Loop: Header=BB488_794 Depth=1
	s_or_b64 exec, exec, s[16:17]
.LBB488_1172:                           ;   in Loop: Header=BB488_794 Depth=1
	s_or_b64 exec, exec, s[14:15]
	v_cmp_lt_u32_e32 vcc, s22, v4
	v_mov_b32_e32 v17, 0
	s_and_saveexec_b64 s[14:15], vcc
	s_cbranch_execz .LBB488_793
; %bb.1173:                             ;   in Loop: Header=BB488_794 Depth=1
	v_lshrrev_b32_e32 v6, 24, v4
	v_cmp_ne_u32_e32 vcc, s5, v6
	v_bfrev_b32_e32 v17, 1
	s_and_saveexec_b64 s[16:17], vcc
	s_cbranch_execz .LBB488_792
; %bb.1174:                             ;   in Loop: Header=BB488_794 Depth=1
	v_bfe_u32 v4, v4, 24, 7
	v_cmp_ne_u32_e32 vcc, s21, v4
	v_mov_b32_e32 v17, 0x7f800001
	s_and_saveexec_b64 s[18:19], vcc
	s_cbranch_execz .LBB488_791
; %bb.1175:                             ;   in Loop: Header=BB488_794 Depth=1
	v_and_b32_e32 v17, 7, v6
	v_ffbh_u32_e32 v18, v17
	v_min_u32_e32 v21, 32, v18
	v_subrev_u32_e32 v18, 28, v21
	v_lshlrev_b64 v[18:19], v18, v[6:7]
	v_lshrrev_b32_e32 v20, 3, v4
	v_sub_u32_e32 v19, 29, v21
	v_and_b32_e32 v18, 7, v18
	v_cmp_gt_u32_e32 vcc, 8, v4
	v_cndmask_b32_e32 v4, v20, v19, vcc
	v_cndmask_b32_e32 v17, v17, v18, vcc
	v_lshlrev_b32_e32 v6, 24, v6
	v_lshlrev_b32_e32 v17, 20, v17
	v_and_b32_e32 v6, 0x80000000, v6
	v_lshl_add_u32 v4, v4, 23, v10
	v_or3_b32 v17, v6, v4, v17
	s_branch .LBB488_791
.LBB488_1176:
	s_or_b64 exec, exec, s[6:7]
	v_cmp_gt_u32_e32 vcc, 64, v0
	s_waitcnt lgkmcnt(0)
	s_barrier
	s_and_saveexec_b64 s[6:7], vcc
	s_cbranch_execz .LBB488_1178
; %bb.1177:
	v_mul_u32_u24_e32 v6, 40, v1
	ds_read2_b64 v[2:5], v6 offset1:1
	ds_read2_b64 v[6:9], v6 offset0:2 offset1:3
	s_mov_b32 s5, 0
	s_lshl_b32 s4, s4, 7
	s_lshl_b64 s[6:7], s[4:5], 1
	s_waitcnt lgkmcnt(1)
	v_pk_add_f16 v2, v2, 0
	v_pk_add_f16 v2, v2, v4
	;; [unrolled: 1-line block ×3, first 2 shown]
	s_waitcnt lgkmcnt(0)
	v_pk_add_f16 v2, v2, v6
	v_pk_add_f16 v3, v3, v5
	;; [unrolled: 1-line block ×3, first 2 shown]
	v_mov_b32_e32 v2, 0xa00
	v_pk_add_f16 v6, v3, v7
	v_mad_u32_u24 v2, v1, 40, v2
	ds_read2_b64 v[2:5], v2 offset1:1
	v_pk_add_f16 v11, v6, v9
	v_mov_b32_e32 v6, 0xa10
	v_mad_u32_u24 v1, v1, 40, v6
	ds_read2_b64 v[6:9], v1 offset1:1
	s_add_u32 s6, s36, s6
	s_addc_u32 s7, s37, s7
	s_lshl_b32 s4, s34, 7
	s_lshl_b64 s[4:5], s[4:5], 1
	s_waitcnt lgkmcnt(1)
	v_pk_add_f16 v1, v2, 0
	v_pk_add_f16 v2, v3, 0
	s_add_u32 s4, s6, s4
	v_pk_add_f16 v2, v2, v5
	s_addc_u32 s5, s7, s5
	s_lshl_b32 s6, s33, 7
	s_waitcnt lgkmcnt(0)
	v_pk_add_f16 v2, v2, v7
	s_mul_i32 s7, s6, s24
	v_pk_add_f16 v1, v1, v4
	v_pk_add_f16 v9, v2, v9
	v_or_b32_e32 v2, s7, v0
	v_mov_b32_e32 v3, 0
	v_pk_add_f16 v1, v1, v6
	v_lshlrev_b64 v[4:5], 1, v[2:3]
	s_add_i32 s7, s7, s6
	v_pk_add_f16 v8, v1, v8
	v_mov_b32_e32 v1, s5
	v_add_co_u32_e32 v4, vcc, s4, v4
	v_or_b32_e32 v2, s7, v0
	v_addc_co_u32_e32 v5, vcc, v1, v5, vcc
	v_lshlrev_b64 v[6:7], 1, v[2:3]
	s_add_i32 s7, s7, s6
	v_add_co_u32_e32 v6, vcc, s4, v6
	v_or_b32_e32 v2, s7, v0
	v_addc_co_u32_e32 v7, vcc, v1, v7, vcc
	v_lshlrev_b64 v[0:1], 1, v[2:3]
	v_mov_b32_e32 v2, s5
	v_add_co_u32_e32 v0, vcc, s4, v0
	v_addc_co_u32_e32 v1, vcc, v2, v1, vcc
	global_store_short v[4:5], v10, off
	global_store_short_d16_hi v[6:7], v10, off
	global_store_short v[0:1], v11, off
	global_store_short v[4:5], v8, off offset:128
	global_store_short_d16_hi v[6:7], v8, off offset:128
	global_store_short v[0:1], v9, off offset:128
.LBB488_1178:
	s_endpgm
	.section	.rodata,"a",@progbits
	.p2align	6, 0x0
	.amdhsa_kernel _Z38paged_attention_ll4mi_QKV_mfma4_kernelIDF16_hLN4vllm18Fp8KVCacheDataTypeE1EDF16_Li16ELi128ELi256ELb0ELi3EEvPKT_PKT0_S7_ifPKiS9_S9_iPKfiiiPfSC_PS2_PT2_iSB_SB_
		.amdhsa_group_segment_fixed_size 5280
		.amdhsa_private_segment_fixed_size 144
		.amdhsa_kernarg_size 400
		.amdhsa_user_sgpr_count 8
		.amdhsa_user_sgpr_private_segment_buffer 1
		.amdhsa_user_sgpr_dispatch_ptr 0
		.amdhsa_user_sgpr_queue_ptr 0
		.amdhsa_user_sgpr_kernarg_segment_ptr 1
		.amdhsa_user_sgpr_dispatch_id 0
		.amdhsa_user_sgpr_flat_scratch_init 1
		.amdhsa_user_sgpr_kernarg_preload_length 0
		.amdhsa_user_sgpr_kernarg_preload_offset 0
		.amdhsa_user_sgpr_private_segment_size 0
		.amdhsa_uses_dynamic_stack 0
		.amdhsa_system_sgpr_private_segment_wavefront_offset 1
		.amdhsa_system_sgpr_workgroup_id_x 1
		.amdhsa_system_sgpr_workgroup_id_y 1
		.amdhsa_system_sgpr_workgroup_id_z 1
		.amdhsa_system_sgpr_workgroup_info 0
		.amdhsa_system_vgpr_workitem_id 0
		.amdhsa_next_free_vgpr 72
		.amdhsa_next_free_sgpr 46
		.amdhsa_accum_offset 68
		.amdhsa_reserve_vcc 1
		.amdhsa_reserve_flat_scratch 0
		.amdhsa_float_round_mode_32 0
		.amdhsa_float_round_mode_16_64 0
		.amdhsa_float_denorm_mode_32 3
		.amdhsa_float_denorm_mode_16_64 3
		.amdhsa_dx10_clamp 1
		.amdhsa_ieee_mode 1
		.amdhsa_fp16_overflow 0
		.amdhsa_tg_split 0
		.amdhsa_exception_fp_ieee_invalid_op 0
		.amdhsa_exception_fp_denorm_src 0
		.amdhsa_exception_fp_ieee_div_zero 0
		.amdhsa_exception_fp_ieee_overflow 0
		.amdhsa_exception_fp_ieee_underflow 0
		.amdhsa_exception_fp_ieee_inexact 0
		.amdhsa_exception_int_div_zero 0
	.end_amdhsa_kernel
	.section	.text._Z38paged_attention_ll4mi_QKV_mfma4_kernelIDF16_hLN4vllm18Fp8KVCacheDataTypeE1EDF16_Li16ELi128ELi256ELb0ELi3EEvPKT_PKT0_S7_ifPKiS9_S9_iPKfiiiPfSC_PS2_PT2_iSB_SB_,"axG",@progbits,_Z38paged_attention_ll4mi_QKV_mfma4_kernelIDF16_hLN4vllm18Fp8KVCacheDataTypeE1EDF16_Li16ELi128ELi256ELb0ELi3EEvPKT_PKT0_S7_ifPKiS9_S9_iPKfiiiPfSC_PS2_PT2_iSB_SB_,comdat
.Lfunc_end488:
	.size	_Z38paged_attention_ll4mi_QKV_mfma4_kernelIDF16_hLN4vllm18Fp8KVCacheDataTypeE1EDF16_Li16ELi128ELi256ELb0ELi3EEvPKT_PKT0_S7_ifPKiS9_S9_iPKfiiiPfSC_PS2_PT2_iSB_SB_, .Lfunc_end488-_Z38paged_attention_ll4mi_QKV_mfma4_kernelIDF16_hLN4vllm18Fp8KVCacheDataTypeE1EDF16_Li16ELi128ELi256ELb0ELi3EEvPKT_PKT0_S7_ifPKiS9_S9_iPKfiiiPfSC_PS2_PT2_iSB_SB_
                                        ; -- End function
	.section	.AMDGPU.csdata,"",@progbits
; Kernel info:
; codeLenInByte = 40736
; NumSgprs: 50
; NumVgprs: 66
; NumAgprs: 4
; TotalNumVgprs: 72
; ScratchSize: 144
; MemoryBound: 0
; FloatMode: 240
; IeeeMode: 1
; LDSByteSize: 5280 bytes/workgroup (compile time only)
; SGPRBlocks: 6
; VGPRBlocks: 8
; NumSGPRsForWavesPerEU: 50
; NumVGPRsForWavesPerEU: 72
; AccumOffset: 68
; Occupancy: 7
; WaveLimiterHint : 1
; COMPUTE_PGM_RSRC2:SCRATCH_EN: 1
; COMPUTE_PGM_RSRC2:USER_SGPR: 8
; COMPUTE_PGM_RSRC2:TRAP_HANDLER: 0
; COMPUTE_PGM_RSRC2:TGID_X_EN: 1
; COMPUTE_PGM_RSRC2:TGID_Y_EN: 1
; COMPUTE_PGM_RSRC2:TGID_Z_EN: 1
; COMPUTE_PGM_RSRC2:TIDIG_COMP_CNT: 0
; COMPUTE_PGM_RSRC3_GFX90A:ACCUM_OFFSET: 16
; COMPUTE_PGM_RSRC3_GFX90A:TG_SPLIT: 0
	.section	.text._Z38paged_attention_ll4mi_QKV_mfma4_kernelIDF16_hLN4vllm18Fp8KVCacheDataTypeE1EDF16_Li16ELi128ELi256ELb0ELi4EEvPKT_PKT0_S7_ifPKiS9_S9_iPKfiiiPfSC_PS2_PT2_iSB_SB_,"axG",@progbits,_Z38paged_attention_ll4mi_QKV_mfma4_kernelIDF16_hLN4vllm18Fp8KVCacheDataTypeE1EDF16_Li16ELi128ELi256ELb0ELi4EEvPKT_PKT0_S7_ifPKiS9_S9_iPKfiiiPfSC_PS2_PT2_iSB_SB_,comdat
	.protected	_Z38paged_attention_ll4mi_QKV_mfma4_kernelIDF16_hLN4vllm18Fp8KVCacheDataTypeE1EDF16_Li16ELi128ELi256ELb0ELi4EEvPKT_PKT0_S7_ifPKiS9_S9_iPKfiiiPfSC_PS2_PT2_iSB_SB_ ; -- Begin function _Z38paged_attention_ll4mi_QKV_mfma4_kernelIDF16_hLN4vllm18Fp8KVCacheDataTypeE1EDF16_Li16ELi128ELi256ELb0ELi4EEvPKT_PKT0_S7_ifPKiS9_S9_iPKfiiiPfSC_PS2_PT2_iSB_SB_
	.globl	_Z38paged_attention_ll4mi_QKV_mfma4_kernelIDF16_hLN4vllm18Fp8KVCacheDataTypeE1EDF16_Li16ELi128ELi256ELb0ELi4EEvPKT_PKT0_S7_ifPKiS9_S9_iPKfiiiPfSC_PS2_PT2_iSB_SB_
	.p2align	8
	.type	_Z38paged_attention_ll4mi_QKV_mfma4_kernelIDF16_hLN4vllm18Fp8KVCacheDataTypeE1EDF16_Li16ELi128ELi256ELb0ELi4EEvPKT_PKT0_S7_ifPKiS9_S9_iPKfiiiPfSC_PS2_PT2_iSB_SB_,@function
_Z38paged_attention_ll4mi_QKV_mfma4_kernelIDF16_hLN4vllm18Fp8KVCacheDataTypeE1EDF16_Li16ELi128ELi256ELb0ELi4EEvPKT_PKT0_S7_ifPKiS9_S9_iPKfiiiPfSC_PS2_PT2_iSB_SB_: ; @_Z38paged_attention_ll4mi_QKV_mfma4_kernelIDF16_hLN4vllm18Fp8KVCacheDataTypeE1EDF16_Li16ELi128ELi256ELb0ELi4EEvPKT_PKT0_S7_ifPKiS9_S9_iPKfiiiPfSC_PS2_PT2_iSB_SB_
; %bb.0:
	s_load_dwordx2 s[12:13], s[4:5], 0x30
	s_add_u32 s0, s0, s11
	s_addc_u32 s1, s1, 0
	s_mov_b32 s28, s9
	s_mov_b64 s[6:7], 0
	s_waitcnt lgkmcnt(0)
	s_cmp_lg_u64 s[12:13], 0
	s_cselect_b64 s[14:15], -1, 0
	s_and_b64 vcc, exec, s[14:15]
	s_cbranch_vccz .LBB489_1170
; %bb.1:
	s_add_i32 s16, s8, 1
	s_mov_b32 s17, 0
	s_lshl_b64 s[18:19], s[16:17], 2
	s_add_u32 s18, s12, s18
	s_mov_b32 s9, s17
	s_addc_u32 s19, s13, s19
	s_lshl_b64 s[16:17], s[8:9], 2
	s_add_u32 s16, s12, s16
	s_addc_u32 s17, s13, s17
	s_load_dword s11, s[18:19], 0x0
	s_load_dword s20, s[16:17], 0x0
	s_mov_b64 s[38:39], s[8:9]
	s_waitcnt lgkmcnt(0)
	s_sub_i32 s11, s11, s20
	s_cmp_eq_u32 s11, 1
	s_cselect_b64 s[16:17], -1, 0
	s_andn2_b64 vcc, exec, s[6:7]
	s_cbranch_vccnz .LBB489_3
.LBB489_2:
	s_mov_b32 s9, 0
	s_mov_b64 s[16:17], -1
	s_mov_b64 s[38:39], s[8:9]
.LBB489_3:
	s_andn2_b64 vcc, exec, s[16:17]
	s_cbranch_vccnz .LBB489_1173
; %bb.4:
	s_load_dword s9, s[4:5], 0x9c
	s_load_dwordx2 s[6:7], s[4:5], 0x28
	s_add_u32 s34, s4, 0x90
	s_addc_u32 s35, s5, 0
	s_lshl_b64 s[40:41], s[38:39], 2
	s_waitcnt lgkmcnt(0)
	s_and_b32 s11, s9, 0xffff
	s_add_u32 s6, s6, s40
	s_addc_u32 s7, s7, s41
	s_load_dword s9, s[6:7], 0x0
	s_mul_i32 s11, s28, s11
	s_waitcnt lgkmcnt(0)
	s_cmp_ge_i32 s11, s9
	s_cbranch_scc1 .LBB489_1173
; %bb.5:
	v_and_b32_e32 v1, 0xc0, v0
	v_add_u32_e32 v7, s11, v1
	v_lshrrev_b32_e32 v42, 6, v0
	v_cmp_le_i32_e64 s[6:7], s9, v7
                                        ; implicit-def: $sgpr19
                                        ; implicit-def: $sgpr18
	s_and_saveexec_b64 s[16:17], s[6:7]
	s_xor_b64 s[16:17], exec, s[16:17]
	s_cbranch_execz .LBB489_7
; %bb.6:
	v_mul_u32_u24_e32 v1, 20, v42
	v_or_b32_e32 v1, 0x1400, v1
	v_mov_b32_e32 v2, 0x1450
	v_mov_b32_e32 v3, 0xff7fffff
	v_mad_u32_u24 v2, v42, 20, v2
	ds_write2_b32 v1, v3, v3 offset1:1
	v_mov_b32_e32 v1, 0
	ds_write2_b32 v2, v1, v1 offset1:1
	v_mov_b32_e32 v2, 0x1408
	s_mov_b32 s18, 0xff7fffff
	s_mov_b32 s19, 0
	v_mad_u32_u24 v2, v42, 20, v2
	v_mov_b32_e32 v4, 0x1458
	v_mad_u32_u24 v4, v42, 20, v4
	ds_write2_b32 v2, v3, v3 offset1:1
	ds_write2_b32 v4, v1, v1 offset1:1
                                        ; implicit-def: $vgpr7
.LBB489_7:
	s_or_saveexec_b64 s[36:37], s[16:17]
	s_load_dwordx2 s[30:31], s[4:5], 0x68
	s_load_dwordx4 s[24:27], s[4:5], 0x58
	s_load_dword s33, s[34:35], 0x4
	s_load_dwordx4 s[20:23], s[4:5], 0x80
	v_and_b32_e32 v1, 63, v0
	v_and_b32_e32 v43, 3, v0
	v_mov_b32_e32 v5, s19
	v_mov_b32_e32 v6, s18
	;; [unrolled: 1-line block ×5, first 2 shown]
	s_xor_b64 exec, exec, s[36:37]
	s_cbranch_execz .LBB489_781
; %bb.8:
	s_add_i32 s19, s9, 15
	s_ashr_i32 s29, s19, 31
	s_load_dwordx2 s[16:17], s[4:5], 0x20
	s_load_dword s18, s[4:5], 0x38
	s_lshr_b32 s29, s29, 28
	v_add_u32_e32 v44, s11, v0
	s_add_i32 s19, s19, s29
	v_ashrrev_i32_e32 v2, 31, v44
	s_ashr_i32 s19, s19, 4
	v_lshrrev_b32_e32 v2, 28, v2
	s_add_i32 s29, s19, -1
	v_add_u32_e32 v2, v44, v2
	v_ashrrev_i32_e32 v2, 4, v2
	v_mov_b32_e32 v3, s29
	v_cmp_gt_i32_e32 vcc, s9, v44
	s_waitcnt lgkmcnt(0)
	s_mul_i32 s42, s8, s18
	s_mov_b32 s43, 0
	v_cndmask_b32_e32 v2, v3, v2, vcc
	s_lshl_b64 s[18:19], s[42:43], 2
	v_ashrrev_i32_e32 v3, 31, v2
	s_add_u32 s16, s16, s18
	v_lshlrev_b64 v[2:3], 2, v[2:3]
	v_add_co_u32_e32 v8, vcc, s16, v2
	v_ashrrev_i32_e32 v2, 31, v7
	s_addc_u32 s17, s17, s19
	v_lshrrev_b32_e32 v2, 28, v2
	v_mov_b32_e32 v4, s17
	v_add_u32_e32 v2, v7, v2
	v_addc_co_u32_e32 v9, vcc, v4, v3, vcc
	v_ashrrev_i32_e32 v4, 4, v2
	v_min_i32_e32 v2, s29, v4
	v_ashrrev_i32_e32 v3, 31, v2
	v_lshlrev_b64 v[2:3], 2, v[2:3]
	v_add_co_u32_e32 v10, vcc, s16, v2
	v_add_u32_e32 v2, 1, v4
	v_mov_b32_e32 v5, s17
	v_min_i32_e32 v2, s29, v2
	v_addc_co_u32_e32 v11, vcc, v5, v3, vcc
	v_ashrrev_i32_e32 v3, 31, v2
	v_lshlrev_b64 v[2:3], 2, v[2:3]
	v_add_co_u32_e32 v12, vcc, s16, v2
	v_add_u32_e32 v2, 2, v4
	v_min_i32_e32 v2, s29, v2
	v_addc_co_u32_e32 v13, vcc, v5, v3, vcc
	v_ashrrev_i32_e32 v3, 31, v2
	v_lshlrev_b64 v[2:3], 2, v[2:3]
	v_add_co_u32_e32 v14, vcc, s16, v2
	v_add_u32_e32 v2, 3, v4
	v_min_i32_e32 v2, s29, v2
	v_addc_co_u32_e32 v15, vcc, v5, v3, vcc
	v_ashrrev_i32_e32 v3, 31, v2
	v_lshlrev_b64 v[2:3], 2, v[2:3]
	v_mov_b32_e32 v4, s17
	v_add_co_u32_e32 v16, vcc, s16, v2
	v_addc_co_u32_e32 v17, vcc, v4, v3, vcc
	global_load_dword v6, v[8:9], off
	global_load_dword v5, v[10:11], off
	;; [unrolled: 1-line block ×5, first 2 shown]
	s_load_dwordx4 s[16:19], s[4:5], 0x0
	s_load_dwordx2 s[44:45], s[4:5], 0x10
	s_andn2_b64 vcc, exec, s[14:15]
	s_cbranch_vccnz .LBB489_10
; %bb.9:
	s_add_u32 s12, s12, s40
	s_addc_u32 s13, s13, s41
	s_load_dword s42, s[12:13], 0x0
	s_waitcnt lgkmcnt(0)
	s_mov_b64 s[38:39], s[42:43]
.LBB489_10:
	s_load_dwordx4 s[12:15], s[4:5], 0x48
	v_mov_b32_e32 v39, 0
	v_lshlrev_b32_e32 v45, 4, v1
	s_waitcnt lgkmcnt(0)
	s_ashr_i32 s11, s12, 31
	s_mul_hi_u32 s15, s38, s12
	s_mul_i32 s11, s38, s11
	s_mul_i32 s29, s39, s12
	s_add_i32 s11, s15, s11
	s_mul_i32 s40, s38, s12
	s_add_i32 s41, s11, s29
	s_lshl_b64 s[38:39], s[40:41], 1
	s_add_u32 s11, s16, s38
	s_addc_u32 s12, s17, s39
	s_lshl_b32 s42, s10, 9
	s_lshl_b64 s[16:17], s[42:43], 1
	s_add_u32 s16, s11, s16
	s_addc_u32 s17, s12, s17
	s_mul_i32 s11, s10, s14
	s_waitcnt vmcnt(3)
	v_mul_hi_i32 v7, v5, s13
	s_add_u32 s14, s11, s18
	v_ashrrev_i32_e32 v7, 31, v7
	s_addc_u32 s15, 0, s19
	v_lshrrev_b32_e32 v38, 29, v7
	s_add_u32 s11, s44, s11
	v_mad_i64_i32 v[8:9], s[18:19], v5, s13, v[38:39]
	s_addc_u32 s29, s45, 0
	v_and_b32_e32 v5, -8, v8
	v_mov_b32_e32 v7, s29
	v_add_co_u32_e32 v5, vcc, s11, v5
	v_addc_co_u32_e32 v7, vcc, v7, v9, vcc
	v_add_co_u32_e32 v12, vcc, v5, v45
	s_waitcnt vmcnt(2)
	v_mul_hi_i32 v5, v4, s13
	v_ashrrev_i32_e32 v5, 31, v5
	v_lshrrev_b32_e32 v38, 29, v5
	v_mad_i64_i32 v[4:5], s[18:19], v4, s13, v[38:39]
	v_addc_co_u32_e32 v13, vcc, 0, v7, vcc
	v_and_b32_e32 v4, -8, v4
	v_mov_b32_e32 v7, s29
	v_add_co_u32_e32 v4, vcc, s11, v4
	global_load_dwordx4 v[8:11], v[12:13], off
	global_load_dwordx4 v[46:49], v[12:13], off offset:1024
	v_addc_co_u32_e32 v5, vcc, v7, v5, vcc
	v_add_co_u32_e32 v4, vcc, v4, v45
	v_addc_co_u32_e32 v5, vcc, 0, v5, vcc
	global_load_dwordx4 v[50:53], v[4:5], off
	global_load_dwordx4 v[54:57], v[4:5], off offset:1024
	v_lshlrev_b32_e32 v5, 4, v0
	v_and_b32_e32 v16, 0xf0, v5
	s_waitcnt vmcnt(5)
	v_mul_hi_i32 v5, v2, s13
	s_waitcnt vmcnt(4)
	v_mul_hi_i32 v7, v3, s13
	v_ashrrev_i32_e32 v5, 31, v5
	v_ashrrev_i32_e32 v7, 31, v7
	v_lshrrev_b32_e32 v38, 29, v5
	v_lshlrev_b32_e32 v4, 2, v1
	v_mad_i64_i32 v[12:13], s[18:19], v2, s13, v[38:39]
	v_lshrrev_b32_e32 v38, 29, v7
	v_pk_mov_b32 v[14:15], s[14:15], s[14:15] op_sel:[0,1]
	v_and_b32_e32 v4, 0xf0, v4
	v_and_b32_e32 v12, -8, v12
	v_mad_i64_i32 v[40:41], s[18:19], v3, s13, v[38:39]
	v_mad_i64_i32 v[6:7], s[12:13], v6, s13, v[14:15]
	v_lshl_or_b32 v4, v43, 8, v4
	v_and_b32_e32 v17, -8, v40
	v_add_co_u32_e32 v12, vcc, s11, v12
	v_add_co_u32_e64 v66, s[14:15], v6, v16
	v_mov_b32_e32 v14, s29
	global_load_dwordx4 v[2:5], v4, s[16:17]
	v_add_co_u32_e64 v38, s[12:13], s11, v17
	v_add_co_u32_e64 v6, s[16:17], v12, v45
	v_mov_b32_e32 v12, s29
	v_addc_co_u32_e64 v67, s[14:15], 0, v7, s[14:15]
	v_addc_co_u32_e32 v7, vcc, v14, v13, vcc
	global_load_dwordx4 v[34:37], v[66:67], off
	global_load_dwordx4 v[30:33], v[66:67], off offset:256
	global_load_dwordx4 v[26:29], v[66:67], off offset:512
	;; [unrolled: 1-line block ×4, first 2 shown]
	v_addc_co_u32_e64 v7, vcc, 0, v7, s[16:17]
	s_waitcnt vmcnt(9)
	buffer_store_dword v9, off, s[0:3], 0 offset:4
	buffer_store_dword v8, off, s[0:3], 0
	buffer_store_dword v11, off, s[0:3], 0 offset:12
	buffer_store_dword v10, off, s[0:3], 0 offset:8
	v_addc_co_u32_e64 v9, vcc, v12, v41, s[12:13]
	v_add_co_u32_e32 v8, vcc, v38, v45
	global_load_dwordx4 v[14:17], v[66:67], off offset:1280
	global_load_dwordx4 v[58:61], v[6:7], off
	global_load_dwordx4 v[62:65], v[6:7], off offset:1024
	v_addc_co_u32_e32 v9, vcc, 0, v9, vcc
	s_waitcnt vmcnt(15)
	buffer_store_dword v47, off, s[0:3], 0 offset:68
	buffer_store_dword v46, off, s[0:3], 0 offset:64
	;; [unrolled: 1-line block ×4, first 2 shown]
	global_load_dwordx4 v[46:49], v[8:9], off
	s_waitcnt vmcnt(19)
	buffer_store_dword v51, off, s[0:3], 0 offset:20
	buffer_store_dword v50, off, s[0:3], 0 offset:16
	;; [unrolled: 1-line block ×4, first 2 shown]
	global_load_dwordx4 v[50:53], v[8:9], off offset:1024
	s_waitcnt vmcnt(23)
	buffer_store_dword v55, off, s[0:3], 0 offset:84
	buffer_store_dword v54, off, s[0:3], 0 offset:80
	;; [unrolled: 1-line block ×4, first 2 shown]
	global_load_dwordx4 v[10:13], v[66:67], off offset:1536
	global_load_dwordx4 v[6:9], v[66:67], off offset:1792
	v_mov_b32_e32 v45, 0
	s_waitcnt vmcnt(17)
	buffer_store_dword v59, off, s[0:3], 0 offset:36
	buffer_store_dword v58, off, s[0:3], 0 offset:32
	buffer_store_dword v61, off, s[0:3], 0 offset:44
	buffer_store_dword v60, off, s[0:3], 0 offset:40
	s_waitcnt vmcnt(20)
	buffer_store_dword v63, off, s[0:3], 0 offset:100
	buffer_store_dword v62, off, s[0:3], 0 offset:96
	buffer_store_dword v65, off, s[0:3], 0 offset:108
	buffer_store_dword v64, off, s[0:3], 0 offset:104
	;; [unrolled: 5-line block ×4, first 2 shown]
	v_cmp_ne_u16_sdwa s[14:15], v34, v39 src0_sel:BYTE_0 src1_sel:DWORD
	s_and_saveexec_b64 s[12:13], s[14:15]
	s_cbranch_execz .LBB489_16
; %bb.11:
	s_movk_i32 s11, 0x80
	v_cmp_ne_u16_sdwa s[16:17], v34, s11 src0_sel:BYTE_0 src1_sel:DWORD
	v_bfrev_b32_e32 v45, 1
	s_and_saveexec_b64 s[14:15], s[16:17]
	s_cbranch_execz .LBB489_15
; %bb.12:
	s_movk_i32 s11, 0x7f
	v_and_b32_e32 v38, 0x7f, v34
	v_cmp_ne_u32_e32 vcc, s11, v38
	v_mov_b32_e32 v45, 0x7f800001
	s_and_saveexec_b64 s[16:17], vcc
	s_cbranch_execz .LBB489_14
; %bb.13:
	v_and_b32_e32 v40, 7, v34
	v_ffbh_u32_e32 v40, v40
	v_min_u32_e32 v40, 32, v40
	v_lshrrev_b32_e32 v41, 3, v38
	v_subrev_u32_e32 v45, 28, v40
	v_sub_u32_e32 v40, 29, v40
	v_cmp_gt_u32_e32 vcc, 8, v38
	v_cndmask_b32_e32 v38, v41, v40, vcc
	v_cndmask_b32_e32 v40, 0, v45, vcc
	v_lshlrev_b64 v[40:41], v40, v[34:35]
	v_lshlrev_b32_e32 v40, 20, v40
	v_lshlrev_b32_e32 v41, 24, v34
	v_bfrev_b32_e32 v45, 60
	v_and_b32_e32 v40, 0x700000, v40
	v_and_b32_e32 v41, 0x80000000, v41
	v_lshl_add_u32 v38, v38, 23, v45
	v_or3_b32 v45, v41, v38, v40
.LBB489_14:
	s_or_b64 exec, exec, s[16:17]
.LBB489_15:
	s_or_b64 exec, exec, s[14:15]
.LBB489_16:
	s_or_b64 exec, exec, s[12:13]
	v_lshrrev_b16_e32 v38, 8, v34
	v_cmp_ne_u16_e32 vcc, 0, v38
	s_and_saveexec_b64 s[12:13], vcc
	s_cbranch_execz .LBB489_22
; %bb.17:
	s_movk_i32 s11, 0x80
	v_cmp_ne_u16_sdwa s[16:17], v34, s11 src0_sel:BYTE_1 src1_sel:DWORD
	v_bfrev_b32_e32 v39, 1
	s_and_saveexec_b64 s[14:15], s[16:17]
	s_cbranch_execz .LBB489_21
; %bb.18:
	s_movk_i32 s11, 0x7f
	v_and_b32_e32 v40, 0x7f, v38
	v_cmp_ne_u32_e32 vcc, s11, v40
	v_mov_b32_e32 v39, 0x7f800001
	s_and_saveexec_b64 s[16:17], vcc
	s_cbranch_execz .LBB489_20
; %bb.19:
	v_and_b32_e32 v41, 7, v38
	v_ffbh_u32_e32 v39, v41
	v_min_u32_e32 v47, 32, v39
	v_subrev_u32_e32 v39, 28, v47
	v_lshlrev_b64 v[38:39], v39, v[38:39]
	v_lshrrev_b32_e32 v46, 3, v40
	v_sub_u32_e32 v39, 29, v47
	v_and_b32_e32 v38, 7, v38
	v_cmp_gt_u32_e32 vcc, 8, v40
	v_cndmask_b32_e32 v39, v46, v39, vcc
	v_cndmask_b32_e32 v38, v41, v38, vcc
	v_lshlrev_b32_e32 v40, 16, v34
	v_bfrev_b32_e32 v41, 60
	v_lshlrev_b32_e32 v38, 20, v38
	v_and_b32_e32 v40, 0x80000000, v40
	v_lshl_add_u32 v39, v39, 23, v41
	v_or3_b32 v39, v40, v39, v38
.LBB489_20:
	s_or_b64 exec, exec, s[16:17]
.LBB489_21:
	s_or_b64 exec, exec, s[14:15]
.LBB489_22:
	s_or_b64 exec, exec, s[12:13]
	s_movk_i32 s11, 0xff
	v_and_b32_sdwa v40, v34, s11 dst_sel:DWORD dst_unused:UNUSED_PAD src0_sel:WORD_1 src1_sel:DWORD
	v_lshrrev_b32_e32 v38, 16, v34
	v_cmp_ne_u16_e32 vcc, 0, v40
	v_mov_b32_e32 v46, 0
	v_mov_b32_e32 v47, 0
	s_and_saveexec_b64 s[12:13], vcc
	s_cbranch_execz .LBB489_28
; %bb.23:
	s_movk_i32 s11, 0x80
	v_cmp_ne_u16_e32 vcc, s11, v40
	v_bfrev_b32_e32 v47, 1
	s_and_saveexec_b64 s[14:15], vcc
	s_cbranch_execz .LBB489_27
; %bb.24:
	v_bfe_u32 v40, v34, 16, 7
	s_movk_i32 s11, 0x7f
	v_cmp_ne_u32_e32 vcc, s11, v40
	v_mov_b32_e32 v47, 0x7f800001
	s_and_saveexec_b64 s[16:17], vcc
	s_cbranch_execz .LBB489_26
; %bb.25:
	v_and_b32_e32 v41, 7, v38
	v_ffbh_u32_e32 v48, v41
	v_min_u32_e32 v50, 32, v48
	v_subrev_u32_e32 v48, 28, v50
	v_lshlrev_b64 v[48:49], v48, v[38:39]
	v_and_b32_e32 v48, 7, v48
	v_cmp_gt_u32_e32 vcc, 8, v40
	v_lshrrev_b32_e32 v47, 3, v40
	v_sub_u32_e32 v38, 29, v50
	v_cndmask_b32_e32 v40, v41, v48, vcc
	v_mov_b32_e32 v41, 24
	v_cndmask_b32_e32 v38, v47, v38, vcc
	v_lshlrev_b32_sdwa v41, v41, v34 dst_sel:DWORD dst_unused:UNUSED_PAD src0_sel:DWORD src1_sel:WORD_1
	v_bfrev_b32_e32 v47, 60
	v_lshlrev_b32_e32 v40, 20, v40
	v_and_b32_e32 v41, 0x80000000, v41
	v_lshl_add_u32 v38, v38, 23, v47
	v_or3_b32 v47, v41, v38, v40
.LBB489_26:
	s_or_b64 exec, exec, s[16:17]
.LBB489_27:
	s_or_b64 exec, exec, s[14:15]
.LBB489_28:
	s_or_b64 exec, exec, s[12:13]
	s_mov_b32 s11, 0xffffff
	v_cmp_lt_u32_e32 vcc, s11, v34
	s_and_saveexec_b64 s[12:13], vcc
	s_cbranch_execz .LBB489_34
; %bb.29:
	v_lshrrev_b32_e32 v38, 24, v34
	s_movk_i32 s11, 0x80
	v_cmp_ne_u32_e32 vcc, s11, v38
	v_bfrev_b32_e32 v46, 1
	s_and_saveexec_b64 s[14:15], vcc
	s_cbranch_execz .LBB489_33
; %bb.30:
	v_bfe_u32 v40, v34, 24, 7
	s_movk_i32 s11, 0x7f
	v_cmp_ne_u32_e32 vcc, s11, v40
	v_mov_b32_e32 v46, 0x7f800001
	s_and_saveexec_b64 s[16:17], vcc
	s_cbranch_execz .LBB489_32
; %bb.31:
	v_and_b32_e32 v41, 7, v38
	v_ffbh_u32_e32 v48, v41
	v_min_u32_e32 v50, 32, v48
	v_subrev_u32_e32 v48, 28, v50
	v_lshlrev_b64 v[48:49], v48, v[38:39]
	v_lshrrev_b32_e32 v46, 3, v40
	v_sub_u32_e32 v49, 29, v50
	v_and_b32_e32 v48, 7, v48
	v_cmp_gt_u32_e32 vcc, 8, v40
	v_cndmask_b32_e32 v40, v46, v49, vcc
	v_cndmask_b32_e32 v41, v41, v48, vcc
	v_lshlrev_b32_e32 v38, 24, v38
	v_bfrev_b32_e32 v46, 60
	v_lshlrev_b32_e32 v41, 20, v41
	v_and_b32_e32 v38, 0x80000000, v38
	v_lshl_add_u32 v40, v40, 23, v46
	v_or3_b32 v46, v38, v40, v41
.LBB489_32:
	s_or_b64 exec, exec, s[16:17]
.LBB489_33:
	s_or_b64 exec, exec, s[14:15]
.LBB489_34:
	s_or_b64 exec, exec, s[12:13]
	v_mov_b32_e32 v41, 0
	v_mov_b32_e32 v40, v35
	v_cmp_ne_u16_sdwa s[14:15], v35, v41 src0_sel:BYTE_0 src1_sel:DWORD
	v_mov_b32_e32 v48, v41
	s_and_saveexec_b64 s[12:13], s[14:15]
	s_cbranch_execz .LBB489_40
; %bb.35:
	s_movk_i32 s11, 0x80
	v_cmp_ne_u16_sdwa s[16:17], v35, s11 src0_sel:BYTE_0 src1_sel:DWORD
	v_bfrev_b32_e32 v48, 1
	s_and_saveexec_b64 s[14:15], s[16:17]
	s_cbranch_execz .LBB489_39
; %bb.36:
	s_movk_i32 s11, 0x7f
	v_and_b32_e32 v38, 0x7f, v35
	v_cmp_ne_u32_e32 vcc, s11, v38
	v_mov_b32_e32 v48, 0x7f800001
	s_and_saveexec_b64 s[16:17], vcc
	s_cbranch_execz .LBB489_38
; %bb.37:
	v_and_b32_e32 v48, 7, v35
	v_ffbh_u32_e32 v48, v48
	v_min_u32_e32 v48, 32, v48
	v_lshrrev_b32_e32 v49, 3, v38
	v_subrev_u32_e32 v50, 28, v48
	v_sub_u32_e32 v48, 29, v48
	v_cmp_gt_u32_e32 vcc, 8, v38
	v_cndmask_b32_e32 v38, v49, v48, vcc
	v_cndmask_b32_e32 v48, 0, v50, vcc
	v_lshlrev_b64 v[48:49], v48, v[40:41]
	v_lshlrev_b32_e32 v48, 20, v48
	v_lshlrev_b32_e32 v49, 24, v40
	v_bfrev_b32_e32 v50, 60
	v_and_b32_e32 v48, 0x700000, v48
	v_and_b32_e32 v49, 0x80000000, v49
	v_lshl_add_u32 v38, v38, 23, v50
	v_or3_b32 v48, v49, v38, v48
.LBB489_38:
	s_or_b64 exec, exec, s[16:17]
.LBB489_39:
	s_or_b64 exec, exec, s[14:15]
.LBB489_40:
	s_or_b64 exec, exec, s[12:13]
	v_lshrrev_b16_e32 v38, 8, v40
	v_cmp_ne_u16_e32 vcc, 0, v38
	s_and_saveexec_b64 s[12:13], vcc
	s_cbranch_execz .LBB489_46
; %bb.41:
	s_movk_i32 s11, 0x80
	v_cmp_ne_u16_e32 vcc, s11, v38
	v_bfrev_b32_e32 v41, 1
	s_and_saveexec_b64 s[14:15], vcc
	s_cbranch_execz .LBB489_45
; %bb.42:
	s_movk_i32 s11, 0x7f
	v_and_b32_e32 v49, 0x7f, v38
	v_cmp_ne_u32_e32 vcc, s11, v49
	v_mov_b32_e32 v41, 0x7f800001
	s_and_saveexec_b64 s[16:17], vcc
	s_cbranch_execz .LBB489_44
; %bb.43:
	v_and_b32_e32 v41, 7, v38
	v_ffbh_u32_e32 v50, v41
	v_min_u32_e32 v53, 32, v50
	v_subrev_u32_e32 v50, 28, v53
	v_lshlrev_b64 v[50:51], v50, v[38:39]
	v_lshrrev_b32_e32 v52, 3, v49
	v_sub_u32_e32 v38, 29, v53
	v_and_b32_e32 v50, 7, v50
	v_cmp_gt_u32_e32 vcc, 8, v49
	v_cndmask_b32_e32 v38, v52, v38, vcc
	v_cndmask_b32_e32 v41, v41, v50, vcc
	v_lshlrev_b32_e32 v40, 16, v40
	v_bfrev_b32_e32 v49, 60
	v_lshlrev_b32_e32 v41, 20, v41
	v_and_b32_e32 v40, 0x80000000, v40
	v_lshl_add_u32 v38, v38, 23, v49
	v_or3_b32 v41, v40, v38, v41
.LBB489_44:
	s_or_b64 exec, exec, s[16:17]
.LBB489_45:
	s_or_b64 exec, exec, s[14:15]
.LBB489_46:
	s_or_b64 exec, exec, s[12:13]
	s_movk_i32 s11, 0xff
	v_and_b32_sdwa v50, v35, s11 dst_sel:DWORD dst_unused:UNUSED_PAD src0_sel:WORD_1 src1_sel:DWORD
	v_lshrrev_b32_e32 v38, 16, v35
	v_cmp_ne_u16_e32 vcc, 0, v50
	v_mov_b32_e32 v40, 0
	v_mov_b32_e32 v49, 0
	s_and_saveexec_b64 s[12:13], vcc
	s_cbranch_execz .LBB489_52
; %bb.47:
	s_movk_i32 s11, 0x80
	v_cmp_ne_u16_e32 vcc, s11, v50
	v_bfrev_b32_e32 v49, 1
	s_and_saveexec_b64 s[14:15], vcc
	s_cbranch_execz .LBB489_51
; %bb.48:
	v_bfe_u32 v50, v35, 16, 7
	s_movk_i32 s11, 0x7f
	v_cmp_ne_u32_e32 vcc, s11, v50
	v_mov_b32_e32 v49, 0x7f800001
	s_and_saveexec_b64 s[16:17], vcc
	s_cbranch_execz .LBB489_50
; %bb.49:
	v_and_b32_e32 v49, 7, v38
	v_ffbh_u32_e32 v52, v49
	v_min_u32_e32 v54, 32, v52
	v_subrev_u32_e32 v52, 28, v54
	v_lshlrev_b64 v[52:53], v52, v[38:39]
	v_lshrrev_b32_e32 v51, 3, v50
	v_sub_u32_e32 v38, 29, v54
	v_and_b32_e32 v52, 7, v52
	v_cmp_gt_u32_e32 vcc, 8, v50
	v_mov_b32_e32 v50, 24
	v_cndmask_b32_e32 v38, v51, v38, vcc
	v_cndmask_b32_e32 v49, v49, v52, vcc
	v_lshlrev_b32_sdwa v50, v50, v35 dst_sel:DWORD dst_unused:UNUSED_PAD src0_sel:DWORD src1_sel:WORD_1
	v_bfrev_b32_e32 v51, 60
	v_lshlrev_b32_e32 v49, 20, v49
	v_and_b32_e32 v50, 0x80000000, v50
	v_lshl_add_u32 v38, v38, 23, v51
	v_or3_b32 v49, v50, v38, v49
.LBB489_50:
	s_or_b64 exec, exec, s[16:17]
.LBB489_51:
	s_or_b64 exec, exec, s[14:15]
.LBB489_52:
	s_or_b64 exec, exec, s[12:13]
	s_mov_b32 s12, -1
	s_mov_b32 s13, 0xffffff
	v_cmp_lt_u64_e32 vcc, s[12:13], v[34:35]
	s_and_saveexec_b64 s[12:13], vcc
	s_cbranch_execz .LBB489_58
; %bb.53:
	v_lshrrev_b32_e32 v34, 24, v35
	s_movk_i32 s11, 0x80
	v_cmp_ne_u32_e32 vcc, s11, v34
	v_bfrev_b32_e32 v40, 1
	s_and_saveexec_b64 s[14:15], vcc
	s_cbranch_execz .LBB489_57
; %bb.54:
	v_bfe_u32 v35, v35, 24, 7
	s_movk_i32 s11, 0x7f
	v_cmp_ne_u32_e32 vcc, s11, v35
	v_mov_b32_e32 v40, 0x7f800001
	s_and_saveexec_b64 s[16:17], vcc
	s_cbranch_execz .LBB489_56
; %bb.55:
	v_and_b32_e32 v38, 7, v34
	v_ffbh_u32_e32 v50, v38
	v_min_u32_e32 v52, 32, v50
	v_subrev_u32_e32 v50, 28, v52
	v_lshlrev_b64 v[50:51], v50, v[34:35]
	v_lshrrev_b32_e32 v40, 3, v35
	v_sub_u32_e32 v51, 29, v52
	v_and_b32_e32 v50, 7, v50
	v_cmp_gt_u32_e32 vcc, 8, v35
	v_cndmask_b32_e32 v35, v40, v51, vcc
	v_cndmask_b32_e32 v38, v38, v50, vcc
	v_lshlrev_b32_e32 v34, 24, v34
	v_bfrev_b32_e32 v40, 60
	v_lshlrev_b32_e32 v38, 20, v38
	v_and_b32_e32 v34, 0x80000000, v34
	v_lshl_add_u32 v35, v35, 23, v40
	v_or3_b32 v40, v34, v35, v38
.LBB489_56:
	s_or_b64 exec, exec, s[16:17]
.LBB489_57:
	s_or_b64 exec, exec, s[14:15]
.LBB489_58:
	s_or_b64 exec, exec, s[12:13]
	v_cvt_pkrtz_f16_f32 v34, v45, v39
	v_cvt_pkrtz_f16_f32 v35, v47, v46
	;; [unrolled: 1-line block ×4, first 2 shown]
	v_mfma_f32_4x4x4f16 a[0:3], v[2:3], v[34:35], 0 cbsz:4
	v_mov_b32_e32 v40, 0
	v_mfma_f32_4x4x4f16 a[0:3], v[4:5], v[46:47], a[0:3] cbsz:4
	v_mov_b32_e32 v39, 0
	v_cmp_ne_u16_sdwa s[14:15], v36, v40 src0_sel:BYTE_0 src1_sel:DWORD
	s_and_saveexec_b64 s[12:13], s[14:15]
	s_cbranch_execz .LBB489_64
; %bb.59:
	s_movk_i32 s11, 0x80
	v_cmp_ne_u16_sdwa s[16:17], v36, s11 src0_sel:BYTE_0 src1_sel:DWORD
	v_bfrev_b32_e32 v39, 1
	s_and_saveexec_b64 s[14:15], s[16:17]
	s_cbranch_execz .LBB489_63
; %bb.60:
	s_movk_i32 s11, 0x7f
	v_and_b32_e32 v34, 0x7f, v36
	v_cmp_ne_u32_e32 vcc, s11, v34
	v_mov_b32_e32 v39, 0x7f800001
	s_and_saveexec_b64 s[16:17], vcc
	s_cbranch_execz .LBB489_62
; %bb.61:
	v_and_b32_e32 v35, 7, v36
	v_ffbh_u32_e32 v35, v35
	v_min_u32_e32 v35, 32, v35
	v_subrev_u32_e32 v39, 28, v35
	v_cmp_gt_u32_e32 vcc, 8, v34
	v_lshrrev_b32_e32 v38, 3, v34
	v_sub_u32_e32 v35, 29, v35
	v_cndmask_b32_e32 v34, 0, v39, vcc
	v_cndmask_b32_e32 v38, v38, v35, vcc
	v_lshlrev_b64 v[34:35], v34, v[36:37]
	v_lshlrev_b32_e32 v34, 20, v34
	v_lshlrev_b32_e32 v35, 24, v36
	v_bfrev_b32_e32 v39, 60
	v_and_b32_e32 v34, 0x700000, v34
	v_and_b32_e32 v35, 0x80000000, v35
	v_lshl_add_u32 v38, v38, 23, v39
	v_or3_b32 v39, v35, v38, v34
.LBB489_62:
	s_or_b64 exec, exec, s[16:17]
.LBB489_63:
	s_or_b64 exec, exec, s[14:15]
.LBB489_64:
	s_or_b64 exec, exec, s[12:13]
	v_lshrrev_b16_e32 v34, 8, v36
	v_cmp_ne_u16_e32 vcc, 0, v34
	v_mov_b32_e32 v41, 0
	s_and_saveexec_b64 s[12:13], vcc
	s_cbranch_execz .LBB489_70
; %bb.65:
	s_movk_i32 s11, 0x80
	v_cmp_ne_u16_e32 vcc, s11, v34
	v_bfrev_b32_e32 v41, 1
	s_and_saveexec_b64 s[14:15], vcc
	s_cbranch_execz .LBB489_69
; %bb.66:
	s_movk_i32 s11, 0x7f
	v_and_b32_e32 v35, 0x7f, v34
	v_cmp_ne_u32_e32 vcc, s11, v35
	v_mov_b32_e32 v41, 0x7f800001
	s_and_saveexec_b64 s[16:17], vcc
	s_cbranch_execz .LBB489_68
; %bb.67:
	v_and_b32_e32 v38, 7, v34
	v_ffbh_u32_e32 v45, v38
	v_min_u32_e32 v45, 32, v45
	v_subrev_u32_e32 v46, 28, v45
	v_lshlrev_b64 v[46:47], v46, v[34:35]
	v_lshrrev_b32_e32 v41, 3, v35
	v_sub_u32_e32 v34, 29, v45
	v_and_b32_e32 v45, 7, v46
	v_cmp_gt_u32_e32 vcc, 8, v35
	v_cndmask_b32_e32 v34, v41, v34, vcc
	v_cndmask_b32_e32 v35, v38, v45, vcc
	v_lshlrev_b32_e32 v38, 16, v36
	v_bfrev_b32_e32 v41, 60
	v_lshlrev_b32_e32 v35, 20, v35
	v_and_b32_e32 v38, 0x80000000, v38
	v_lshl_add_u32 v34, v34, 23, v41
	v_or3_b32 v41, v38, v34, v35
.LBB489_68:
	s_or_b64 exec, exec, s[16:17]
.LBB489_69:
	s_or_b64 exec, exec, s[14:15]
.LBB489_70:
	s_or_b64 exec, exec, s[12:13]
	s_movk_i32 s11, 0xff
	v_and_b32_sdwa v35, v36, s11 dst_sel:DWORD dst_unused:UNUSED_PAD src0_sel:WORD_1 src1_sel:DWORD
	v_lshrrev_b32_e32 v34, 16, v36
	v_cmp_ne_u16_e32 vcc, 0, v35
	s_and_saveexec_b64 s[12:13], vcc
	s_cbranch_execz .LBB489_76
; %bb.71:
	s_movk_i32 s11, 0x80
	v_cmp_ne_u16_e32 vcc, s11, v35
	v_bfrev_b32_e32 v40, 1
	s_and_saveexec_b64 s[14:15], vcc
	s_cbranch_execz .LBB489_75
; %bb.72:
	v_bfe_u32 v35, v36, 16, 7
	s_movk_i32 s11, 0x7f
	v_cmp_ne_u32_e32 vcc, s11, v35
	v_mov_b32_e32 v40, 0x7f800001
	s_and_saveexec_b64 s[16:17], vcc
	s_cbranch_execz .LBB489_74
; %bb.73:
	v_and_b32_e32 v38, 7, v34
	v_ffbh_u32_e32 v45, v38
	v_min_u32_e32 v45, 32, v45
	v_subrev_u32_e32 v46, 28, v45
	v_lshlrev_b64 v[46:47], v46, v[34:35]
	v_sub_u32_e32 v34, 29, v45
	v_and_b32_e32 v45, 7, v46
	v_cmp_gt_u32_e32 vcc, 8, v35
	v_lshrrev_b32_e32 v40, 3, v35
	v_cndmask_b32_e32 v35, v38, v45, vcc
	v_mov_b32_e32 v38, 24
	v_cndmask_b32_e32 v34, v40, v34, vcc
	v_lshlrev_b32_sdwa v38, v38, v36 dst_sel:DWORD dst_unused:UNUSED_PAD src0_sel:DWORD src1_sel:WORD_1
	v_bfrev_b32_e32 v40, 60
	v_lshlrev_b32_e32 v35, 20, v35
	v_and_b32_e32 v38, 0x80000000, v38
	v_lshl_add_u32 v34, v34, 23, v40
	v_or3_b32 v40, v38, v34, v35
.LBB489_74:
	s_or_b64 exec, exec, s[16:17]
.LBB489_75:
	s_or_b64 exec, exec, s[14:15]
.LBB489_76:
	s_or_b64 exec, exec, s[12:13]
	s_mov_b32 s11, 0xffffff
	v_cmp_lt_u32_e32 vcc, s11, v36
	v_mov_b32_e32 v35, 0
	v_mov_b32_e32 v45, 0
	s_and_saveexec_b64 s[12:13], vcc
	s_cbranch_execz .LBB489_82
; %bb.77:
	v_lshrrev_b32_e32 v34, 24, v36
	s_movk_i32 s11, 0x80
	v_cmp_ne_u32_e32 vcc, s11, v34
	v_bfrev_b32_e32 v45, 1
	s_and_saveexec_b64 s[14:15], vcc
	s_cbranch_execz .LBB489_81
; %bb.78:
	v_bfe_u32 v38, v36, 24, 7
	s_movk_i32 s11, 0x7f
	v_cmp_ne_u32_e32 vcc, s11, v38
	v_mov_b32_e32 v45, 0x7f800001
	s_and_saveexec_b64 s[16:17], vcc
	s_cbranch_execz .LBB489_80
; %bb.79:
	v_and_b32_e32 v45, 7, v34
	v_ffbh_u32_e32 v46, v45
	v_min_u32_e32 v49, 32, v46
	v_subrev_u32_e32 v46, 28, v49
	v_lshlrev_b64 v[46:47], v46, v[34:35]
	v_lshrrev_b32_e32 v48, 3, v38
	v_sub_u32_e32 v47, 29, v49
	v_and_b32_e32 v46, 7, v46
	v_cmp_gt_u32_e32 vcc, 8, v38
	v_cndmask_b32_e32 v38, v48, v47, vcc
	v_cndmask_b32_e32 v45, v45, v46, vcc
	v_lshlrev_b32_e32 v34, 24, v34
	v_bfrev_b32_e32 v46, 60
	v_lshlrev_b32_e32 v45, 20, v45
	v_and_b32_e32 v34, 0x80000000, v34
	v_lshl_add_u32 v38, v38, 23, v46
	v_or3_b32 v45, v34, v38, v45
.LBB489_80:
	s_or_b64 exec, exec, s[16:17]
.LBB489_81:
	s_or_b64 exec, exec, s[14:15]
.LBB489_82:
	s_or_b64 exec, exec, s[12:13]
	v_mov_b32_e32 v34, v37
	v_cmp_ne_u16_sdwa s[14:15], v37, v35 src0_sel:BYTE_0 src1_sel:DWORD
	s_and_saveexec_b64 s[12:13], s[14:15]
	s_cbranch_execz .LBB489_88
; %bb.83:
	s_movk_i32 s11, 0x80
	v_cmp_ne_u16_sdwa s[16:17], v37, s11 src0_sel:BYTE_0 src1_sel:DWORD
	v_bfrev_b32_e32 v38, 1
	s_and_saveexec_b64 s[14:15], s[16:17]
	s_cbranch_execz .LBB489_87
; %bb.84:
	s_movk_i32 s11, 0x7f
	v_and_b32_e32 v46, 0x7f, v37
	v_cmp_ne_u32_e32 vcc, s11, v46
	v_mov_b32_e32 v38, 0x7f800001
	s_and_saveexec_b64 s[16:17], vcc
	s_cbranch_execz .LBB489_86
; %bb.85:
	v_and_b32_e32 v38, 7, v37
	v_ffbh_u32_e32 v38, v38
	v_min_u32_e32 v38, 32, v38
	v_subrev_u32_e32 v48, 28, v38
	v_cmp_gt_u32_e32 vcc, 8, v46
	v_lshrrev_b32_e32 v47, 3, v46
	v_sub_u32_e32 v38, 29, v38
	v_cndmask_b32_e32 v46, 0, v48, vcc
	v_cndmask_b32_e32 v38, v47, v38, vcc
	v_lshlrev_b64 v[46:47], v46, v[34:35]
	v_lshlrev_b32_e32 v35, 20, v46
	v_lshlrev_b32_e32 v46, 24, v34
	v_bfrev_b32_e32 v47, 60
	v_and_b32_e32 v35, 0x700000, v35
	v_and_b32_e32 v46, 0x80000000, v46
	v_lshl_add_u32 v38, v38, 23, v47
	v_or3_b32 v38, v46, v38, v35
.LBB489_86:
	s_or_b64 exec, exec, s[16:17]
.LBB489_87:
	s_or_b64 exec, exec, s[14:15]
	v_mov_b32_e32 v35, v38
.LBB489_88:
	s_or_b64 exec, exec, s[12:13]
	v_lshrrev_b16_e32 v38, 8, v34
	v_cmp_ne_u16_e32 vcc, 0, v38
	v_mov_b32_e32 v46, 0
	v_mov_b32_e32 v47, 0
	s_and_saveexec_b64 s[12:13], vcc
	s_cbranch_execz .LBB489_94
; %bb.89:
	s_movk_i32 s11, 0x80
	v_cmp_ne_u16_e32 vcc, s11, v38
	v_bfrev_b32_e32 v47, 1
	s_and_saveexec_b64 s[14:15], vcc
	s_cbranch_execz .LBB489_93
; %bb.90:
	s_movk_i32 s11, 0x7f
	v_and_b32_e32 v48, 0x7f, v38
	v_cmp_ne_u32_e32 vcc, s11, v48
	v_mov_b32_e32 v47, 0x7f800001
	s_and_saveexec_b64 s[16:17], vcc
	s_cbranch_execz .LBB489_92
; %bb.91:
	v_and_b32_e32 v47, 7, v38
	v_ffbh_u32_e32 v50, v47
	v_min_u32_e32 v52, 32, v50
	v_subrev_u32_e32 v50, 28, v52
	v_lshlrev_b64 v[50:51], v50, v[38:39]
	v_lshrrev_b32_e32 v49, 3, v48
	v_sub_u32_e32 v38, 29, v52
	v_and_b32_e32 v50, 7, v50
	v_cmp_gt_u32_e32 vcc, 8, v48
	v_cndmask_b32_e32 v38, v49, v38, vcc
	v_cndmask_b32_e32 v47, v47, v50, vcc
	v_lshlrev_b32_e32 v34, 16, v34
	v_bfrev_b32_e32 v48, 60
	v_lshlrev_b32_e32 v47, 20, v47
	v_and_b32_e32 v34, 0x80000000, v34
	v_lshl_add_u32 v38, v38, 23, v48
	v_or3_b32 v47, v34, v38, v47
.LBB489_92:
	s_or_b64 exec, exec, s[16:17]
.LBB489_93:
	s_or_b64 exec, exec, s[14:15]
.LBB489_94:
	s_or_b64 exec, exec, s[12:13]
	s_movk_i32 s11, 0xff
	v_and_b32_sdwa v38, v37, s11 dst_sel:DWORD dst_unused:UNUSED_PAD src0_sel:WORD_1 src1_sel:DWORD
	v_lshrrev_b32_e32 v34, 16, v37
	v_cmp_ne_u16_e32 vcc, 0, v38
	s_and_saveexec_b64 s[12:13], vcc
	s_cbranch_execz .LBB489_100
; %bb.95:
	s_movk_i32 s11, 0x80
	v_cmp_ne_u16_e32 vcc, s11, v38
	v_bfrev_b32_e32 v46, 1
	s_and_saveexec_b64 s[14:15], vcc
	s_cbranch_execz .LBB489_99
; %bb.96:
	v_bfe_u32 v38, v37, 16, 7
	s_movk_i32 s11, 0x7f
	v_cmp_ne_u32_e32 vcc, s11, v38
	v_mov_b32_e32 v46, 0x7f800001
	s_and_saveexec_b64 s[16:17], vcc
	s_cbranch_execz .LBB489_98
; %bb.97:
	v_and_b32_e32 v46, 7, v34
	v_ffbh_u32_e32 v48, v46
	v_min_u32_e32 v51, 32, v48
	v_subrev_u32_e32 v48, 28, v51
	v_lshlrev_b64 v[48:49], v48, v[34:35]
	v_and_b32_e32 v48, 7, v48
	v_cmp_gt_u32_e32 vcc, 8, v38
	v_lshrrev_b32_e32 v50, 3, v38
	v_sub_u32_e32 v34, 29, v51
	v_cndmask_b32_e32 v38, v46, v48, vcc
	v_mov_b32_e32 v46, 24
	v_cndmask_b32_e32 v34, v50, v34, vcc
	v_lshlrev_b32_sdwa v46, v46, v37 dst_sel:DWORD dst_unused:UNUSED_PAD src0_sel:DWORD src1_sel:WORD_1
	v_bfrev_b32_e32 v48, 60
	v_lshlrev_b32_e32 v38, 20, v38
	v_and_b32_e32 v46, 0x80000000, v46
	v_lshl_add_u32 v34, v34, 23, v48
	v_or3_b32 v46, v46, v34, v38
.LBB489_98:
	s_or_b64 exec, exec, s[16:17]
.LBB489_99:
	s_or_b64 exec, exec, s[14:15]
.LBB489_100:
	s_or_b64 exec, exec, s[12:13]
	s_mov_b32 s12, -1
	s_mov_b32 s13, 0xffffff
	v_cmp_lt_u64_e32 vcc, s[12:13], v[36:37]
	v_mov_b32_e32 v38, 0
	v_mov_b32_e32 v36, 0
	s_and_saveexec_b64 s[12:13], vcc
	s_cbranch_execz .LBB489_106
; %bb.101:
	v_lshrrev_b32_e32 v34, 24, v37
	s_movk_i32 s11, 0x80
	v_cmp_ne_u32_e32 vcc, s11, v34
	v_bfrev_b32_e32 v36, 1
	s_and_saveexec_b64 s[14:15], vcc
	s_cbranch_execz .LBB489_105
; %bb.102:
	v_bfe_u32 v37, v37, 24, 7
	s_movk_i32 s11, 0x7f
	v_cmp_ne_u32_e32 vcc, s11, v37
	v_mov_b32_e32 v36, 0x7f800001
	s_and_saveexec_b64 s[16:17], vcc
	s_cbranch_execz .LBB489_104
; %bb.103:
	v_and_b32_e32 v36, 7, v34
	v_ffbh_u32_e32 v48, v36
	v_min_u32_e32 v51, 32, v48
	v_subrev_u32_e32 v48, 28, v51
	v_lshlrev_b64 v[48:49], v48, v[34:35]
	v_lshrrev_b32_e32 v50, 3, v37
	v_sub_u32_e32 v49, 29, v51
	v_and_b32_e32 v48, 7, v48
	v_cmp_gt_u32_e32 vcc, 8, v37
	v_cndmask_b32_e32 v37, v50, v49, vcc
	v_cndmask_b32_e32 v36, v36, v48, vcc
	v_lshlrev_b32_e32 v34, 24, v34
	v_bfrev_b32_e32 v48, 60
	v_lshlrev_b32_e32 v36, 20, v36
	v_and_b32_e32 v34, 0x80000000, v34
	v_lshl_add_u32 v37, v37, 23, v48
	v_or3_b32 v36, v34, v37, v36
.LBB489_104:
	s_or_b64 exec, exec, s[16:17]
.LBB489_105:
	s_or_b64 exec, exec, s[14:15]
.LBB489_106:
	s_or_b64 exec, exec, s[12:13]
	v_cvt_pkrtz_f16_f32 v48, v39, v41
	v_cvt_pkrtz_f16_f32 v49, v40, v45
	v_cvt_pkrtz_f16_f32 v34, v35, v47
	v_cvt_pkrtz_f16_f32 v35, v46, v36
	v_mfma_f32_4x4x4f16 a[0:3], v[2:3], v[48:49], a[0:3] cbsz:4 abid:1
	v_cmp_ne_u16_sdwa s[14:15], v30, v38 src0_sel:BYTE_0 src1_sel:DWORD
	v_mfma_f32_4x4x4f16 a[0:3], v[4:5], v[34:35], a[0:3] cbsz:4 abid:1
	s_and_saveexec_b64 s[12:13], s[14:15]
	s_cbranch_execz .LBB489_112
; %bb.107:
	s_movk_i32 s11, 0x80
	v_cmp_ne_u16_sdwa s[16:17], v30, s11 src0_sel:BYTE_0 src1_sel:DWORD
	v_bfrev_b32_e32 v38, 1
	s_and_saveexec_b64 s[14:15], s[16:17]
	s_cbranch_execz .LBB489_111
; %bb.108:
	s_movk_i32 s11, 0x7f
	v_and_b32_e32 v34, 0x7f, v30
	v_cmp_ne_u32_e32 vcc, s11, v34
	v_mov_b32_e32 v38, 0x7f800001
	s_and_saveexec_b64 s[16:17], vcc
	s_cbranch_execz .LBB489_110
; %bb.109:
	v_and_b32_e32 v35, 7, v30
	v_ffbh_u32_e32 v35, v35
	v_min_u32_e32 v35, 32, v35
	v_subrev_u32_e32 v37, 28, v35
	v_cmp_gt_u32_e32 vcc, 8, v34
	v_lshrrev_b32_e32 v36, 3, v34
	v_sub_u32_e32 v35, 29, v35
	v_cndmask_b32_e32 v34, 0, v37, vcc
	v_cndmask_b32_e32 v36, v36, v35, vcc
	v_lshlrev_b64 v[34:35], v34, v[30:31]
	v_lshlrev_b32_e32 v34, 20, v34
	v_lshlrev_b32_e32 v35, 24, v30
	v_bfrev_b32_e32 v37, 60
	v_and_b32_e32 v34, 0x700000, v34
	v_and_b32_e32 v35, 0x80000000, v35
	v_lshl_add_u32 v36, v36, 23, v37
	v_or3_b32 v38, v35, v36, v34
.LBB489_110:
	s_or_b64 exec, exec, s[16:17]
.LBB489_111:
	s_or_b64 exec, exec, s[14:15]
.LBB489_112:
	s_or_b64 exec, exec, s[12:13]
	v_lshrrev_b16_e32 v34, 8, v30
	v_cmp_ne_u16_e32 vcc, 0, v34
	v_mov_b32_e32 v37, 0
	v_mov_b32_e32 v39, 0
	s_and_saveexec_b64 s[12:13], vcc
	s_cbranch_execz .LBB489_118
; %bb.113:
	s_movk_i32 s11, 0x80
	v_cmp_ne_u16_e32 vcc, s11, v34
	v_bfrev_b32_e32 v39, 1
	s_and_saveexec_b64 s[14:15], vcc
	s_cbranch_execz .LBB489_117
; %bb.114:
	s_movk_i32 s11, 0x7f
	v_and_b32_e32 v35, 0x7f, v34
	v_cmp_ne_u32_e32 vcc, s11, v35
	v_mov_b32_e32 v39, 0x7f800001
	s_and_saveexec_b64 s[16:17], vcc
	s_cbranch_execz .LBB489_116
; %bb.115:
	v_and_b32_e32 v36, 7, v34
	v_ffbh_u32_e32 v40, v36
	v_min_u32_e32 v45, 32, v40
	v_subrev_u32_e32 v40, 28, v45
	v_lshlrev_b64 v[40:41], v40, v[34:35]
	v_lshrrev_b32_e32 v39, 3, v35
	v_sub_u32_e32 v34, 29, v45
	v_and_b32_e32 v40, 7, v40
	v_cmp_gt_u32_e32 vcc, 8, v35
	v_cndmask_b32_e32 v34, v39, v34, vcc
	v_cndmask_b32_e32 v35, v36, v40, vcc
	v_lshlrev_b32_e32 v36, 16, v30
	v_bfrev_b32_e32 v39, 60
	v_lshlrev_b32_e32 v35, 20, v35
	v_and_b32_e32 v36, 0x80000000, v36
	v_lshl_add_u32 v34, v34, 23, v39
	v_or3_b32 v39, v36, v34, v35
.LBB489_116:
	s_or_b64 exec, exec, s[16:17]
.LBB489_117:
	s_or_b64 exec, exec, s[14:15]
.LBB489_118:
	s_or_b64 exec, exec, s[12:13]
	s_movk_i32 s11, 0xff
	v_and_b32_sdwa v35, v30, s11 dst_sel:DWORD dst_unused:UNUSED_PAD src0_sel:WORD_1 src1_sel:DWORD
	v_lshrrev_b32_e32 v34, 16, v30
	v_cmp_ne_u16_e32 vcc, 0, v35
	s_and_saveexec_b64 s[12:13], vcc
	s_cbranch_execz .LBB489_124
; %bb.119:
	s_movk_i32 s11, 0x80
	v_cmp_ne_u16_e32 vcc, s11, v35
	v_bfrev_b32_e32 v37, 1
	s_and_saveexec_b64 s[14:15], vcc
	s_cbranch_execz .LBB489_123
; %bb.120:
	v_bfe_u32 v35, v30, 16, 7
	s_movk_i32 s11, 0x7f
	v_cmp_ne_u32_e32 vcc, s11, v35
	v_mov_b32_e32 v37, 0x7f800001
	s_and_saveexec_b64 s[16:17], vcc
	s_cbranch_execz .LBB489_122
; %bb.121:
	v_and_b32_e32 v40, 7, v34
	v_ffbh_u32_e32 v36, v40
	v_min_u32_e32 v45, 32, v36
	v_subrev_u32_e32 v36, 28, v45
	v_lshlrev_b64 v[36:37], v36, v[34:35]
	v_and_b32_e32 v36, 7, v36
	v_cmp_gt_u32_e32 vcc, 8, v35
	v_lshrrev_b32_e32 v41, 3, v35
	v_sub_u32_e32 v34, 29, v45
	v_cndmask_b32_e32 v35, v40, v36, vcc
	v_mov_b32_e32 v36, 24
	v_cndmask_b32_e32 v34, v41, v34, vcc
	v_lshlrev_b32_sdwa v36, v36, v30 dst_sel:DWORD dst_unused:UNUSED_PAD src0_sel:DWORD src1_sel:WORD_1
	v_bfrev_b32_e32 v37, 60
	v_lshlrev_b32_e32 v35, 20, v35
	v_and_b32_e32 v36, 0x80000000, v36
	v_lshl_add_u32 v34, v34, 23, v37
	v_or3_b32 v37, v36, v34, v35
.LBB489_122:
	s_or_b64 exec, exec, s[16:17]
.LBB489_123:
	s_or_b64 exec, exec, s[14:15]
.LBB489_124:
	s_or_b64 exec, exec, s[12:13]
	s_mov_b32 s11, 0xffffff
	v_cmp_lt_u32_e32 vcc, s11, v30
	v_mov_b32_e32 v35, 0
	v_mov_b32_e32 v40, 0
	s_and_saveexec_b64 s[12:13], vcc
	s_cbranch_execz .LBB489_130
; %bb.125:
	v_lshrrev_b32_e32 v34, 24, v30
	s_movk_i32 s11, 0x80
	v_cmp_ne_u32_e32 vcc, s11, v34
	v_bfrev_b32_e32 v40, 1
	s_and_saveexec_b64 s[14:15], vcc
	s_cbranch_execz .LBB489_129
; %bb.126:
	v_bfe_u32 v36, v30, 24, 7
	s_movk_i32 s11, 0x7f
	v_cmp_ne_u32_e32 vcc, s11, v36
	v_mov_b32_e32 v40, 0x7f800001
	s_and_saveexec_b64 s[16:17], vcc
	s_cbranch_execz .LBB489_128
; %bb.127:
	v_and_b32_e32 v45, 7, v34
	v_ffbh_u32_e32 v40, v45
	v_min_u32_e32 v47, 32, v40
	v_subrev_u32_e32 v40, 28, v47
	v_lshlrev_b64 v[40:41], v40, v[34:35]
	v_lshrrev_b32_e32 v46, 3, v36
	v_sub_u32_e32 v41, 29, v47
	v_and_b32_e32 v40, 7, v40
	v_cmp_gt_u32_e32 vcc, 8, v36
	v_cndmask_b32_e32 v36, v46, v41, vcc
	v_cndmask_b32_e32 v40, v45, v40, vcc
	v_lshlrev_b32_e32 v34, 24, v34
	v_bfrev_b32_e32 v41, 60
	v_lshlrev_b32_e32 v40, 20, v40
	v_and_b32_e32 v34, 0x80000000, v34
	v_lshl_add_u32 v36, v36, 23, v41
	v_or3_b32 v40, v34, v36, v40
.LBB489_128:
	s_or_b64 exec, exec, s[16:17]
.LBB489_129:
	s_or_b64 exec, exec, s[14:15]
.LBB489_130:
	s_or_b64 exec, exec, s[12:13]
	v_mov_b32_e32 v34, v31
	v_cmp_ne_u16_sdwa s[14:15], v31, v35 src0_sel:BYTE_0 src1_sel:DWORD
	s_and_saveexec_b64 s[12:13], s[14:15]
	s_cbranch_execz .LBB489_136
; %bb.131:
	s_movk_i32 s11, 0x80
	v_cmp_ne_u16_sdwa s[16:17], v31, s11 src0_sel:BYTE_0 src1_sel:DWORD
	v_bfrev_b32_e32 v36, 1
	s_and_saveexec_b64 s[14:15], s[16:17]
	s_cbranch_execz .LBB489_135
; %bb.132:
	s_movk_i32 s11, 0x7f
	v_and_b32_e32 v41, 0x7f, v31
	v_cmp_ne_u32_e32 vcc, s11, v41
	v_mov_b32_e32 v36, 0x7f800001
	s_and_saveexec_b64 s[16:17], vcc
	s_cbranch_execz .LBB489_134
; %bb.133:
	v_and_b32_e32 v36, 7, v31
	v_ffbh_u32_e32 v36, v36
	v_min_u32_e32 v36, 32, v36
	v_subrev_u32_e32 v46, 28, v36
	v_cmp_gt_u32_e32 vcc, 8, v41
	v_lshrrev_b32_e32 v45, 3, v41
	v_cndmask_b32_e32 v41, 0, v46, vcc
	v_sub_u32_e32 v36, 29, v36
	v_lshlrev_b64 v[46:47], v41, v[34:35]
	v_cndmask_b32_e32 v36, v45, v36, vcc
	v_lshlrev_b32_e32 v35, 20, v46
	v_lshlrev_b32_e32 v41, 24, v34
	v_bfrev_b32_e32 v45, 60
	v_and_b32_e32 v35, 0x700000, v35
	v_and_b32_e32 v41, 0x80000000, v41
	v_lshl_add_u32 v36, v36, 23, v45
	v_or3_b32 v36, v41, v36, v35
.LBB489_134:
	s_or_b64 exec, exec, s[16:17]
.LBB489_135:
	s_or_b64 exec, exec, s[14:15]
	v_mov_b32_e32 v35, v36
.LBB489_136:
	s_or_b64 exec, exec, s[12:13]
	v_lshrrev_b16_e32 v36, 8, v34
	v_cmp_ne_u16_e32 vcc, 0, v36
	v_mov_b32_e32 v41, 0
	v_mov_b32_e32 v45, 0
	s_and_saveexec_b64 s[12:13], vcc
	s_cbranch_execz .LBB489_142
; %bb.137:
	s_movk_i32 s11, 0x80
	v_cmp_ne_u16_e32 vcc, s11, v36
	v_bfrev_b32_e32 v45, 1
	s_and_saveexec_b64 s[14:15], vcc
	s_cbranch_execz .LBB489_141
; %bb.138:
	s_movk_i32 s11, 0x7f
	v_and_b32_e32 v46, 0x7f, v36
	v_cmp_ne_u32_e32 vcc, s11, v46
	v_mov_b32_e32 v45, 0x7f800001
	s_and_saveexec_b64 s[16:17], vcc
	s_cbranch_execz .LBB489_140
; %bb.139:
	v_and_b32_e32 v45, 7, v36
	v_ffbh_u32_e32 v48, v45
	v_min_u32_e32 v50, 32, v48
	v_subrev_u32_e32 v48, 28, v50
	v_lshlrev_b64 v[48:49], v48, v[36:37]
	v_lshrrev_b32_e32 v47, 3, v46
	v_sub_u32_e32 v36, 29, v50
	v_and_b32_e32 v48, 7, v48
	v_cmp_gt_u32_e32 vcc, 8, v46
	v_cndmask_b32_e32 v36, v47, v36, vcc
	v_cndmask_b32_e32 v45, v45, v48, vcc
	v_lshlrev_b32_e32 v34, 16, v34
	v_bfrev_b32_e32 v46, 60
	v_lshlrev_b32_e32 v45, 20, v45
	v_and_b32_e32 v34, 0x80000000, v34
	v_lshl_add_u32 v36, v36, 23, v46
	v_or3_b32 v45, v34, v36, v45
.LBB489_140:
	s_or_b64 exec, exec, s[16:17]
.LBB489_141:
	s_or_b64 exec, exec, s[14:15]
.LBB489_142:
	s_or_b64 exec, exec, s[12:13]
	s_movk_i32 s11, 0xff
	v_and_b32_sdwa v36, v31, s11 dst_sel:DWORD dst_unused:UNUSED_PAD src0_sel:WORD_1 src1_sel:DWORD
	v_lshrrev_b32_e32 v34, 16, v31
	v_cmp_ne_u16_e32 vcc, 0, v36
	s_and_saveexec_b64 s[12:13], vcc
	s_cbranch_execz .LBB489_148
; %bb.143:
	s_movk_i32 s11, 0x80
	v_cmp_ne_u16_e32 vcc, s11, v36
	v_bfrev_b32_e32 v41, 1
	s_and_saveexec_b64 s[14:15], vcc
	s_cbranch_execz .LBB489_147
; %bb.144:
	v_bfe_u32 v36, v31, 16, 7
	s_movk_i32 s11, 0x7f
	v_cmp_ne_u32_e32 vcc, s11, v36
	v_mov_b32_e32 v41, 0x7f800001
	s_and_saveexec_b64 s[16:17], vcc
	s_cbranch_execz .LBB489_146
; %bb.145:
	v_and_b32_e32 v41, 7, v34
	v_ffbh_u32_e32 v46, v41
	v_min_u32_e32 v49, 32, v46
	v_subrev_u32_e32 v46, 28, v49
	v_lshlrev_b64 v[46:47], v46, v[34:35]
	v_and_b32_e32 v46, 7, v46
	v_cmp_gt_u32_e32 vcc, 8, v36
	v_lshrrev_b32_e32 v48, 3, v36
	v_sub_u32_e32 v34, 29, v49
	v_cndmask_b32_e32 v36, v41, v46, vcc
	v_mov_b32_e32 v41, 24
	v_cndmask_b32_e32 v34, v48, v34, vcc
	v_lshlrev_b32_sdwa v41, v41, v31 dst_sel:DWORD dst_unused:UNUSED_PAD src0_sel:DWORD src1_sel:WORD_1
	v_bfrev_b32_e32 v46, 60
	v_lshlrev_b32_e32 v36, 20, v36
	v_and_b32_e32 v41, 0x80000000, v41
	v_lshl_add_u32 v34, v34, 23, v46
	v_or3_b32 v41, v41, v34, v36
.LBB489_146:
	s_or_b64 exec, exec, s[16:17]
.LBB489_147:
	s_or_b64 exec, exec, s[14:15]
.LBB489_148:
	s_or_b64 exec, exec, s[12:13]
	s_mov_b32 s12, -1
	s_mov_b32 s13, 0xffffff
	v_cmp_lt_u64_e32 vcc, s[12:13], v[30:31]
	v_mov_b32_e32 v36, 0
	v_mov_b32_e32 v34, 0
	s_and_saveexec_b64 s[12:13], vcc
	s_cbranch_execz .LBB489_154
; %bb.149:
	v_lshrrev_b32_e32 v30, 24, v31
	s_movk_i32 s11, 0x80
	v_cmp_ne_u32_e32 vcc, s11, v30
	v_bfrev_b32_e32 v34, 1
	s_and_saveexec_b64 s[14:15], vcc
	s_cbranch_execz .LBB489_153
; %bb.150:
	v_bfe_u32 v31, v31, 24, 7
	s_movk_i32 s11, 0x7f
	v_cmp_ne_u32_e32 vcc, s11, v31
	v_mov_b32_e32 v34, 0x7f800001
	s_and_saveexec_b64 s[16:17], vcc
	s_cbranch_execz .LBB489_152
; %bb.151:
	v_and_b32_e32 v34, 7, v30
	v_ffbh_u32_e32 v46, v34
	v_min_u32_e32 v49, 32, v46
	v_subrev_u32_e32 v46, 28, v49
	v_lshlrev_b64 v[46:47], v46, v[30:31]
	v_lshrrev_b32_e32 v48, 3, v31
	v_sub_u32_e32 v47, 29, v49
	v_and_b32_e32 v46, 7, v46
	v_cmp_gt_u32_e32 vcc, 8, v31
	v_cndmask_b32_e32 v31, v48, v47, vcc
	v_cndmask_b32_e32 v34, v34, v46, vcc
	v_lshlrev_b32_e32 v30, 24, v30
	v_bfrev_b32_e32 v46, 60
	v_lshlrev_b32_e32 v34, 20, v34
	v_and_b32_e32 v30, 0x80000000, v30
	v_lshl_add_u32 v31, v31, 23, v46
	v_or3_b32 v34, v30, v31, v34
.LBB489_152:
	s_or_b64 exec, exec, s[16:17]
.LBB489_153:
	s_or_b64 exec, exec, s[14:15]
.LBB489_154:
	s_or_b64 exec, exec, s[12:13]
	v_cvt_pkrtz_f16_f32 v30, v38, v39
	v_cvt_pkrtz_f16_f32 v31, v37, v40
	;; [unrolled: 1-line block ×4, first 2 shown]
	v_mfma_f32_4x4x4f16 a[0:3], v[2:3], v[30:31], a[0:3] cbsz:4 abid:2
	v_cmp_ne_u16_sdwa s[14:15], v32, v36 src0_sel:BYTE_0 src1_sel:DWORD
	v_mfma_f32_4x4x4f16 a[0:3], v[4:5], v[38:39], a[0:3] cbsz:4 abid:2
	s_and_saveexec_b64 s[12:13], s[14:15]
	s_cbranch_execz .LBB489_160
; %bb.155:
	s_movk_i32 s11, 0x80
	v_cmp_ne_u16_sdwa s[16:17], v32, s11 src0_sel:BYTE_0 src1_sel:DWORD
	v_bfrev_b32_e32 v36, 1
	s_and_saveexec_b64 s[14:15], s[16:17]
	s_cbranch_execz .LBB489_159
; %bb.156:
	s_movk_i32 s11, 0x7f
	v_and_b32_e32 v30, 0x7f, v32
	v_cmp_ne_u32_e32 vcc, s11, v30
	v_mov_b32_e32 v36, 0x7f800001
	s_and_saveexec_b64 s[16:17], vcc
	s_cbranch_execz .LBB489_158
; %bb.157:
	v_and_b32_e32 v31, 7, v32
	v_ffbh_u32_e32 v31, v31
	v_min_u32_e32 v31, 32, v31
	v_subrev_u32_e32 v35, 28, v31
	v_cmp_gt_u32_e32 vcc, 8, v30
	v_lshrrev_b32_e32 v34, 3, v30
	v_sub_u32_e32 v31, 29, v31
	v_cndmask_b32_e32 v30, 0, v35, vcc
	v_cndmask_b32_e32 v34, v34, v31, vcc
	v_lshlrev_b64 v[30:31], v30, v[32:33]
	v_lshlrev_b32_e32 v30, 20, v30
	v_lshlrev_b32_e32 v31, 24, v32
	v_bfrev_b32_e32 v35, 60
	v_and_b32_e32 v30, 0x700000, v30
	v_and_b32_e32 v31, 0x80000000, v31
	v_lshl_add_u32 v34, v34, 23, v35
	v_or3_b32 v36, v31, v34, v30
.LBB489_158:
	s_or_b64 exec, exec, s[16:17]
.LBB489_159:
	s_or_b64 exec, exec, s[14:15]
.LBB489_160:
	s_or_b64 exec, exec, s[12:13]
	v_lshrrev_b16_e32 v30, 8, v32
	v_cmp_ne_u16_e32 vcc, 0, v30
	v_mov_b32_e32 v35, 0
	v_mov_b32_e32 v37, 0
	s_and_saveexec_b64 s[12:13], vcc
	s_cbranch_execz .LBB489_166
; %bb.161:
	s_movk_i32 s11, 0x80
	v_cmp_ne_u16_e32 vcc, s11, v30
	v_bfrev_b32_e32 v37, 1
	s_and_saveexec_b64 s[14:15], vcc
	s_cbranch_execz .LBB489_165
; %bb.162:
	s_movk_i32 s11, 0x7f
	v_and_b32_e32 v31, 0x7f, v30
	v_cmp_ne_u32_e32 vcc, s11, v31
	v_mov_b32_e32 v37, 0x7f800001
	s_and_saveexec_b64 s[16:17], vcc
	s_cbranch_execz .LBB489_164
; %bb.163:
	v_and_b32_e32 v34, 7, v30
	v_ffbh_u32_e32 v38, v34
	v_min_u32_e32 v40, 32, v38
	v_subrev_u32_e32 v38, 28, v40
	v_lshlrev_b64 v[38:39], v38, v[30:31]
	v_lshrrev_b32_e32 v37, 3, v31
	v_sub_u32_e32 v30, 29, v40
	v_and_b32_e32 v38, 7, v38
	v_cmp_gt_u32_e32 vcc, 8, v31
	v_cndmask_b32_e32 v30, v37, v30, vcc
	v_cndmask_b32_e32 v31, v34, v38, vcc
	v_lshlrev_b32_e32 v34, 16, v32
	v_bfrev_b32_e32 v37, 60
	v_lshlrev_b32_e32 v31, 20, v31
	v_and_b32_e32 v34, 0x80000000, v34
	v_lshl_add_u32 v30, v30, 23, v37
	v_or3_b32 v37, v34, v30, v31
.LBB489_164:
	s_or_b64 exec, exec, s[16:17]
.LBB489_165:
	s_or_b64 exec, exec, s[14:15]
.LBB489_166:
	s_or_b64 exec, exec, s[12:13]
	s_movk_i32 s11, 0xff
	v_and_b32_sdwa v31, v32, s11 dst_sel:DWORD dst_unused:UNUSED_PAD src0_sel:WORD_1 src1_sel:DWORD
	v_lshrrev_b32_e32 v30, 16, v32
	v_cmp_ne_u16_e32 vcc, 0, v31
	s_and_saveexec_b64 s[12:13], vcc
	s_cbranch_execz .LBB489_172
; %bb.167:
	s_movk_i32 s11, 0x80
	v_cmp_ne_u16_e32 vcc, s11, v31
	v_bfrev_b32_e32 v35, 1
	s_and_saveexec_b64 s[14:15], vcc
	s_cbranch_execz .LBB489_171
; %bb.168:
	v_bfe_u32 v31, v32, 16, 7
	s_movk_i32 s11, 0x7f
	v_cmp_ne_u32_e32 vcc, s11, v31
	v_mov_b32_e32 v35, 0x7f800001
	s_and_saveexec_b64 s[16:17], vcc
	s_cbranch_execz .LBB489_170
; %bb.169:
	v_and_b32_e32 v38, 7, v30
	v_ffbh_u32_e32 v34, v38
	v_min_u32_e32 v40, 32, v34
	v_subrev_u32_e32 v34, 28, v40
	v_lshlrev_b64 v[34:35], v34, v[30:31]
	v_and_b32_e32 v34, 7, v34
	v_cmp_gt_u32_e32 vcc, 8, v31
	v_lshrrev_b32_e32 v39, 3, v31
	v_sub_u32_e32 v30, 29, v40
	v_cndmask_b32_e32 v31, v38, v34, vcc
	v_mov_b32_e32 v34, 24
	v_cndmask_b32_e32 v30, v39, v30, vcc
	v_lshlrev_b32_sdwa v34, v34, v32 dst_sel:DWORD dst_unused:UNUSED_PAD src0_sel:DWORD src1_sel:WORD_1
	v_bfrev_b32_e32 v35, 60
	v_lshlrev_b32_e32 v31, 20, v31
	v_and_b32_e32 v34, 0x80000000, v34
	v_lshl_add_u32 v30, v30, 23, v35
	v_or3_b32 v35, v34, v30, v31
.LBB489_170:
	s_or_b64 exec, exec, s[16:17]
.LBB489_171:
	s_or_b64 exec, exec, s[14:15]
.LBB489_172:
	s_or_b64 exec, exec, s[12:13]
	s_mov_b32 s11, 0xffffff
	v_cmp_lt_u32_e32 vcc, s11, v32
	v_mov_b32_e32 v31, 0
	v_mov_b32_e32 v38, 0
	s_and_saveexec_b64 s[12:13], vcc
	s_cbranch_execz .LBB489_178
; %bb.173:
	v_lshrrev_b32_e32 v30, 24, v32
	s_movk_i32 s11, 0x80
	v_cmp_ne_u32_e32 vcc, s11, v30
	v_bfrev_b32_e32 v38, 1
	s_and_saveexec_b64 s[14:15], vcc
	s_cbranch_execz .LBB489_177
; %bb.174:
	v_bfe_u32 v34, v32, 24, 7
	s_movk_i32 s11, 0x7f
	v_cmp_ne_u32_e32 vcc, s11, v34
	v_mov_b32_e32 v38, 0x7f800001
	s_and_saveexec_b64 s[16:17], vcc
	s_cbranch_execz .LBB489_176
; %bb.175:
	v_and_b32_e32 v40, 7, v30
	v_ffbh_u32_e32 v38, v40
	v_min_u32_e32 v45, 32, v38
	v_subrev_u32_e32 v38, 28, v45
	v_lshlrev_b64 v[38:39], v38, v[30:31]
	v_lshrrev_b32_e32 v41, 3, v34
	v_sub_u32_e32 v39, 29, v45
	v_and_b32_e32 v38, 7, v38
	v_cmp_gt_u32_e32 vcc, 8, v34
	v_cndmask_b32_e32 v34, v41, v39, vcc
	v_cndmask_b32_e32 v38, v40, v38, vcc
	v_lshlrev_b32_e32 v30, 24, v30
	v_bfrev_b32_e32 v39, 60
	v_lshlrev_b32_e32 v38, 20, v38
	v_and_b32_e32 v30, 0x80000000, v30
	v_lshl_add_u32 v34, v34, 23, v39
	v_or3_b32 v38, v30, v34, v38
.LBB489_176:
	s_or_b64 exec, exec, s[16:17]
.LBB489_177:
	s_or_b64 exec, exec, s[14:15]
.LBB489_178:
	s_or_b64 exec, exec, s[12:13]
	v_mov_b32_e32 v30, v33
	v_cmp_ne_u16_sdwa s[14:15], v33, v31 src0_sel:BYTE_0 src1_sel:DWORD
	s_and_saveexec_b64 s[12:13], s[14:15]
	s_cbranch_execz .LBB489_184
; %bb.179:
	s_movk_i32 s11, 0x80
	v_cmp_ne_u16_sdwa s[16:17], v33, s11 src0_sel:BYTE_0 src1_sel:DWORD
	v_bfrev_b32_e32 v34, 1
	s_and_saveexec_b64 s[14:15], s[16:17]
	s_cbranch_execz .LBB489_183
; %bb.180:
	s_movk_i32 s11, 0x7f
	v_and_b32_e32 v39, 0x7f, v33
	v_cmp_ne_u32_e32 vcc, s11, v39
	v_mov_b32_e32 v34, 0x7f800001
	s_and_saveexec_b64 s[16:17], vcc
	s_cbranch_execz .LBB489_182
; %bb.181:
	v_and_b32_e32 v34, 7, v33
	v_ffbh_u32_e32 v34, v34
	v_min_u32_e32 v34, 32, v34
	v_subrev_u32_e32 v41, 28, v34
	v_cmp_gt_u32_e32 vcc, 8, v39
	v_lshrrev_b32_e32 v40, 3, v39
	v_sub_u32_e32 v34, 29, v34
	v_cndmask_b32_e32 v39, 0, v41, vcc
	v_cndmask_b32_e32 v34, v40, v34, vcc
	v_lshlrev_b64 v[40:41], v39, v[30:31]
	v_lshlrev_b32_e32 v31, 20, v40
	v_lshlrev_b32_e32 v39, 24, v30
	v_bfrev_b32_e32 v40, 60
	v_and_b32_e32 v31, 0x700000, v31
	v_and_b32_e32 v39, 0x80000000, v39
	v_lshl_add_u32 v34, v34, 23, v40
	v_or3_b32 v34, v39, v34, v31
.LBB489_182:
	s_or_b64 exec, exec, s[16:17]
.LBB489_183:
	s_or_b64 exec, exec, s[14:15]
	v_mov_b32_e32 v31, v34
.LBB489_184:
	s_or_b64 exec, exec, s[12:13]
	v_lshrrev_b16_e32 v34, 8, v30
	v_cmp_ne_u16_e32 vcc, 0, v34
	v_mov_b32_e32 v39, 0
	v_mov_b32_e32 v40, 0
	s_and_saveexec_b64 s[12:13], vcc
	s_cbranch_execz .LBB489_190
; %bb.185:
	s_movk_i32 s11, 0x80
	v_cmp_ne_u16_e32 vcc, s11, v34
	v_bfrev_b32_e32 v40, 1
	s_and_saveexec_b64 s[14:15], vcc
	s_cbranch_execz .LBB489_189
; %bb.186:
	s_movk_i32 s11, 0x7f
	v_and_b32_e32 v41, 0x7f, v34
	v_cmp_ne_u32_e32 vcc, s11, v41
	v_mov_b32_e32 v40, 0x7f800001
	s_and_saveexec_b64 s[16:17], vcc
	s_cbranch_execz .LBB489_188
; %bb.187:
	v_and_b32_e32 v40, 7, v34
	v_ffbh_u32_e32 v46, v40
	v_min_u32_e32 v48, 32, v46
	v_subrev_u32_e32 v46, 28, v48
	v_lshlrev_b64 v[46:47], v46, v[34:35]
	v_lshrrev_b32_e32 v45, 3, v41
	v_sub_u32_e32 v34, 29, v48
	v_and_b32_e32 v46, 7, v46
	v_cmp_gt_u32_e32 vcc, 8, v41
	v_cndmask_b32_e32 v34, v45, v34, vcc
	v_cndmask_b32_e32 v40, v40, v46, vcc
	v_lshlrev_b32_e32 v30, 16, v30
	v_bfrev_b32_e32 v41, 60
	v_lshlrev_b32_e32 v40, 20, v40
	v_and_b32_e32 v30, 0x80000000, v30
	v_lshl_add_u32 v34, v34, 23, v41
	v_or3_b32 v40, v30, v34, v40
.LBB489_188:
	s_or_b64 exec, exec, s[16:17]
.LBB489_189:
	s_or_b64 exec, exec, s[14:15]
.LBB489_190:
	s_or_b64 exec, exec, s[12:13]
	s_movk_i32 s11, 0xff
	v_and_b32_sdwa v34, v33, s11 dst_sel:DWORD dst_unused:UNUSED_PAD src0_sel:WORD_1 src1_sel:DWORD
	v_lshrrev_b32_e32 v30, 16, v33
	v_cmp_ne_u16_e32 vcc, 0, v34
	s_and_saveexec_b64 s[12:13], vcc
	s_cbranch_execz .LBB489_196
; %bb.191:
	s_movk_i32 s11, 0x80
	v_cmp_ne_u16_e32 vcc, s11, v34
	v_bfrev_b32_e32 v39, 1
	s_and_saveexec_b64 s[14:15], vcc
	s_cbranch_execz .LBB489_195
; %bb.192:
	v_bfe_u32 v34, v33, 16, 7
	s_movk_i32 s11, 0x7f
	v_cmp_ne_u32_e32 vcc, s11, v34
	v_mov_b32_e32 v39, 0x7f800001
	s_and_saveexec_b64 s[16:17], vcc
	s_cbranch_execz .LBB489_194
; %bb.193:
	v_and_b32_e32 v39, 7, v30
	v_ffbh_u32_e32 v45, v39
	v_min_u32_e32 v45, 32, v45
	v_subrev_u32_e32 v46, 28, v45
	v_lshlrev_b64 v[46:47], v46, v[30:31]
	v_sub_u32_e32 v30, 29, v45
	v_and_b32_e32 v45, 7, v46
	v_cmp_gt_u32_e32 vcc, 8, v34
	v_lshrrev_b32_e32 v41, 3, v34
	v_cndmask_b32_e32 v34, v39, v45, vcc
	v_mov_b32_e32 v39, 24
	v_cndmask_b32_e32 v30, v41, v30, vcc
	v_lshlrev_b32_sdwa v39, v39, v33 dst_sel:DWORD dst_unused:UNUSED_PAD src0_sel:DWORD src1_sel:WORD_1
	v_bfrev_b32_e32 v41, 60
	v_lshlrev_b32_e32 v34, 20, v34
	v_and_b32_e32 v39, 0x80000000, v39
	v_lshl_add_u32 v30, v30, 23, v41
	v_or3_b32 v39, v39, v30, v34
.LBB489_194:
	s_or_b64 exec, exec, s[16:17]
.LBB489_195:
	s_or_b64 exec, exec, s[14:15]
.LBB489_196:
	s_or_b64 exec, exec, s[12:13]
	s_mov_b32 s12, -1
	s_mov_b32 s13, 0xffffff
	v_cmp_lt_u64_e32 vcc, s[12:13], v[32:33]
	v_mov_b32_e32 v34, 0
	v_mov_b32_e32 v32, 0
	s_and_saveexec_b64 s[12:13], vcc
	s_cbranch_execz .LBB489_202
; %bb.197:
	v_lshrrev_b32_e32 v30, 24, v33
	s_movk_i32 s11, 0x80
	v_cmp_ne_u32_e32 vcc, s11, v30
	v_bfrev_b32_e32 v32, 1
	s_and_saveexec_b64 s[14:15], vcc
	s_cbranch_execz .LBB489_201
; %bb.198:
	v_bfe_u32 v33, v33, 24, 7
	s_movk_i32 s11, 0x7f
	v_cmp_ne_u32_e32 vcc, s11, v33
	v_mov_b32_e32 v32, 0x7f800001
	s_and_saveexec_b64 s[16:17], vcc
	s_cbranch_execz .LBB489_200
; %bb.199:
	v_and_b32_e32 v32, 7, v30
	v_ffbh_u32_e32 v45, v32
	v_min_u32_e32 v45, 32, v45
	v_subrev_u32_e32 v46, 28, v45
	v_lshlrev_b64 v[46:47], v46, v[30:31]
	v_lshrrev_b32_e32 v41, 3, v33
	v_sub_u32_e32 v45, 29, v45
	v_and_b32_e32 v46, 7, v46
	v_cmp_gt_u32_e32 vcc, 8, v33
	v_cndmask_b32_e32 v33, v41, v45, vcc
	v_cndmask_b32_e32 v32, v32, v46, vcc
	v_lshlrev_b32_e32 v30, 24, v30
	v_bfrev_b32_e32 v41, 60
	v_lshlrev_b32_e32 v32, 20, v32
	v_and_b32_e32 v30, 0x80000000, v30
	v_lshl_add_u32 v33, v33, 23, v41
	v_or3_b32 v32, v30, v33, v32
.LBB489_200:
	s_or_b64 exec, exec, s[16:17]
.LBB489_201:
	s_or_b64 exec, exec, s[14:15]
.LBB489_202:
	s_or_b64 exec, exec, s[12:13]
	v_cvt_pkrtz_f16_f32 v36, v36, v37
	v_cvt_pkrtz_f16_f32 v37, v35, v38
	;; [unrolled: 1-line block ×4, first 2 shown]
	v_mfma_f32_4x4x4f16 a[0:3], v[2:3], v[36:37], a[0:3] cbsz:4 abid:3
	v_cmp_ne_u16_sdwa s[14:15], v26, v34 src0_sel:BYTE_0 src1_sel:DWORD
	v_mfma_f32_4x4x4f16 a[0:3], v[4:5], v[30:31], a[0:3] cbsz:4 abid:3
	s_and_saveexec_b64 s[12:13], s[14:15]
	s_cbranch_execz .LBB489_208
; %bb.203:
	s_movk_i32 s11, 0x80
	v_cmp_ne_u16_sdwa s[16:17], v26, s11 src0_sel:BYTE_0 src1_sel:DWORD
	v_bfrev_b32_e32 v34, 1
	s_and_saveexec_b64 s[14:15], s[16:17]
	s_cbranch_execz .LBB489_207
; %bb.204:
	s_movk_i32 s11, 0x7f
	v_and_b32_e32 v30, 0x7f, v26
	v_cmp_ne_u32_e32 vcc, s11, v30
	v_mov_b32_e32 v34, 0x7f800001
	s_and_saveexec_b64 s[16:17], vcc
	s_cbranch_execz .LBB489_206
; %bb.205:
	v_and_b32_e32 v31, 7, v26
	v_ffbh_u32_e32 v31, v31
	v_min_u32_e32 v31, 32, v31
	v_subrev_u32_e32 v33, 28, v31
	v_cmp_gt_u32_e32 vcc, 8, v30
	v_lshrrev_b32_e32 v32, 3, v30
	v_sub_u32_e32 v31, 29, v31
	v_cndmask_b32_e32 v30, 0, v33, vcc
	v_cndmask_b32_e32 v32, v32, v31, vcc
	v_lshlrev_b64 v[30:31], v30, v[26:27]
	v_lshlrev_b32_e32 v30, 20, v30
	v_lshlrev_b32_e32 v31, 24, v26
	v_bfrev_b32_e32 v33, 60
	v_and_b32_e32 v30, 0x700000, v30
	v_and_b32_e32 v31, 0x80000000, v31
	v_lshl_add_u32 v32, v32, 23, v33
	v_or3_b32 v34, v31, v32, v30
.LBB489_206:
	s_or_b64 exec, exec, s[16:17]
.LBB489_207:
	s_or_b64 exec, exec, s[14:15]
.LBB489_208:
	s_or_b64 exec, exec, s[12:13]
	v_lshrrev_b16_e32 v30, 8, v26
	v_cmp_ne_u16_e32 vcc, 0, v30
	v_mov_b32_e32 v33, 0
	v_mov_b32_e32 v35, 0
	s_and_saveexec_b64 s[12:13], vcc
	s_cbranch_execz .LBB489_214
; %bb.209:
	s_movk_i32 s11, 0x80
	v_cmp_ne_u16_e32 vcc, s11, v30
	v_bfrev_b32_e32 v35, 1
	s_and_saveexec_b64 s[14:15], vcc
	s_cbranch_execz .LBB489_213
; %bb.210:
	s_movk_i32 s11, 0x7f
	v_and_b32_e32 v31, 0x7f, v30
	v_cmp_ne_u32_e32 vcc, s11, v31
	v_mov_b32_e32 v35, 0x7f800001
	s_and_saveexec_b64 s[16:17], vcc
	s_cbranch_execz .LBB489_212
; %bb.211:
	v_and_b32_e32 v32, 7, v30
	v_ffbh_u32_e32 v36, v32
	v_min_u32_e32 v38, 32, v36
	v_subrev_u32_e32 v36, 28, v38
	v_lshlrev_b64 v[36:37], v36, v[30:31]
	v_lshrrev_b32_e32 v35, 3, v31
	v_sub_u32_e32 v30, 29, v38
	v_and_b32_e32 v36, 7, v36
	v_cmp_gt_u32_e32 vcc, 8, v31
	v_cndmask_b32_e32 v30, v35, v30, vcc
	v_cndmask_b32_e32 v31, v32, v36, vcc
	v_lshlrev_b32_e32 v32, 16, v26
	v_bfrev_b32_e32 v35, 60
	v_lshlrev_b32_e32 v31, 20, v31
	v_and_b32_e32 v32, 0x80000000, v32
	v_lshl_add_u32 v30, v30, 23, v35
	v_or3_b32 v35, v32, v30, v31
.LBB489_212:
	s_or_b64 exec, exec, s[16:17]
.LBB489_213:
	s_or_b64 exec, exec, s[14:15]
.LBB489_214:
	s_or_b64 exec, exec, s[12:13]
	s_movk_i32 s11, 0xff
	v_and_b32_sdwa v31, v26, s11 dst_sel:DWORD dst_unused:UNUSED_PAD src0_sel:WORD_1 src1_sel:DWORD
	v_lshrrev_b32_e32 v30, 16, v26
	v_cmp_ne_u16_e32 vcc, 0, v31
	s_and_saveexec_b64 s[12:13], vcc
	s_cbranch_execz .LBB489_220
; %bb.215:
	s_movk_i32 s11, 0x80
	v_cmp_ne_u16_e32 vcc, s11, v31
	v_bfrev_b32_e32 v33, 1
	s_and_saveexec_b64 s[14:15], vcc
	s_cbranch_execz .LBB489_219
; %bb.216:
	v_bfe_u32 v31, v26, 16, 7
	s_movk_i32 s11, 0x7f
	v_cmp_ne_u32_e32 vcc, s11, v31
	v_mov_b32_e32 v33, 0x7f800001
	s_and_saveexec_b64 s[16:17], vcc
	s_cbranch_execz .LBB489_218
; %bb.217:
	v_and_b32_e32 v36, 7, v30
	v_ffbh_u32_e32 v32, v36
	v_min_u32_e32 v38, 32, v32
	v_subrev_u32_e32 v32, 28, v38
	v_lshlrev_b64 v[32:33], v32, v[30:31]
	v_and_b32_e32 v32, 7, v32
	v_cmp_gt_u32_e32 vcc, 8, v31
	v_lshrrev_b32_e32 v37, 3, v31
	v_sub_u32_e32 v30, 29, v38
	v_cndmask_b32_e32 v31, v36, v32, vcc
	v_mov_b32_e32 v32, 24
	v_cndmask_b32_e32 v30, v37, v30, vcc
	v_lshlrev_b32_sdwa v32, v32, v26 dst_sel:DWORD dst_unused:UNUSED_PAD src0_sel:DWORD src1_sel:WORD_1
	v_bfrev_b32_e32 v33, 60
	v_lshlrev_b32_e32 v31, 20, v31
	v_and_b32_e32 v32, 0x80000000, v32
	v_lshl_add_u32 v30, v30, 23, v33
	v_or3_b32 v33, v32, v30, v31
.LBB489_218:
	s_or_b64 exec, exec, s[16:17]
.LBB489_219:
	s_or_b64 exec, exec, s[14:15]
.LBB489_220:
	s_or_b64 exec, exec, s[12:13]
	s_mov_b32 s11, 0xffffff
	v_cmp_lt_u32_e32 vcc, s11, v26
	v_mov_b32_e32 v31, 0
	v_mov_b32_e32 v36, 0
	s_and_saveexec_b64 s[12:13], vcc
	s_cbranch_execz .LBB489_226
; %bb.221:
	v_lshrrev_b32_e32 v30, 24, v26
	s_movk_i32 s11, 0x80
	v_cmp_ne_u32_e32 vcc, s11, v30
	v_bfrev_b32_e32 v36, 1
	s_and_saveexec_b64 s[14:15], vcc
	s_cbranch_execz .LBB489_225
; %bb.222:
	v_bfe_u32 v32, v26, 24, 7
	s_movk_i32 s11, 0x7f
	v_cmp_ne_u32_e32 vcc, s11, v32
	v_mov_b32_e32 v36, 0x7f800001
	s_and_saveexec_b64 s[16:17], vcc
	s_cbranch_execz .LBB489_224
; %bb.223:
	v_and_b32_e32 v38, 7, v30
	v_ffbh_u32_e32 v36, v38
	v_min_u32_e32 v40, 32, v36
	v_subrev_u32_e32 v36, 28, v40
	v_lshlrev_b64 v[36:37], v36, v[30:31]
	v_lshrrev_b32_e32 v39, 3, v32
	v_sub_u32_e32 v37, 29, v40
	v_and_b32_e32 v36, 7, v36
	v_cmp_gt_u32_e32 vcc, 8, v32
	v_cndmask_b32_e32 v32, v39, v37, vcc
	v_cndmask_b32_e32 v36, v38, v36, vcc
	v_lshlrev_b32_e32 v30, 24, v30
	v_bfrev_b32_e32 v37, 60
	v_lshlrev_b32_e32 v36, 20, v36
	v_and_b32_e32 v30, 0x80000000, v30
	v_lshl_add_u32 v32, v32, 23, v37
	v_or3_b32 v36, v30, v32, v36
.LBB489_224:
	s_or_b64 exec, exec, s[16:17]
.LBB489_225:
	s_or_b64 exec, exec, s[14:15]
.LBB489_226:
	s_or_b64 exec, exec, s[12:13]
	v_mov_b32_e32 v30, v27
	v_cmp_ne_u16_sdwa s[14:15], v27, v31 src0_sel:BYTE_0 src1_sel:DWORD
	s_and_saveexec_b64 s[12:13], s[14:15]
	s_cbranch_execz .LBB489_232
; %bb.227:
	s_movk_i32 s11, 0x80
	v_cmp_ne_u16_sdwa s[16:17], v27, s11 src0_sel:BYTE_0 src1_sel:DWORD
	v_bfrev_b32_e32 v32, 1
	s_and_saveexec_b64 s[14:15], s[16:17]
	s_cbranch_execz .LBB489_231
; %bb.228:
	s_movk_i32 s11, 0x7f
	v_and_b32_e32 v37, 0x7f, v27
	v_cmp_ne_u32_e32 vcc, s11, v37
	v_mov_b32_e32 v32, 0x7f800001
	s_and_saveexec_b64 s[16:17], vcc
	s_cbranch_execz .LBB489_230
; %bb.229:
	v_and_b32_e32 v32, 7, v27
	v_ffbh_u32_e32 v32, v32
	v_min_u32_e32 v32, 32, v32
	v_subrev_u32_e32 v39, 28, v32
	v_cmp_gt_u32_e32 vcc, 8, v37
	v_lshrrev_b32_e32 v38, 3, v37
	v_sub_u32_e32 v32, 29, v32
	v_cndmask_b32_e32 v37, 0, v39, vcc
	v_cndmask_b32_e32 v32, v38, v32, vcc
	v_lshlrev_b64 v[38:39], v37, v[30:31]
	v_lshlrev_b32_e32 v31, 20, v38
	v_lshlrev_b32_e32 v37, 24, v30
	v_bfrev_b32_e32 v38, 60
	v_and_b32_e32 v31, 0x700000, v31
	v_and_b32_e32 v37, 0x80000000, v37
	v_lshl_add_u32 v32, v32, 23, v38
	v_or3_b32 v32, v37, v32, v31
.LBB489_230:
	s_or_b64 exec, exec, s[16:17]
.LBB489_231:
	s_or_b64 exec, exec, s[14:15]
	v_mov_b32_e32 v31, v32
.LBB489_232:
	s_or_b64 exec, exec, s[12:13]
	v_lshrrev_b16_e32 v32, 8, v30
	v_cmp_ne_u16_e32 vcc, 0, v32
	v_mov_b32_e32 v37, 0
	v_mov_b32_e32 v38, 0
	s_and_saveexec_b64 s[12:13], vcc
	s_cbranch_execz .LBB489_238
; %bb.233:
	s_movk_i32 s11, 0x80
	v_cmp_ne_u16_e32 vcc, s11, v32
	v_bfrev_b32_e32 v38, 1
	s_and_saveexec_b64 s[14:15], vcc
	s_cbranch_execz .LBB489_237
; %bb.234:
	s_movk_i32 s11, 0x7f
	v_and_b32_e32 v39, 0x7f, v32
	v_cmp_ne_u32_e32 vcc, s11, v39
	v_mov_b32_e32 v38, 0x7f800001
	s_and_saveexec_b64 s[16:17], vcc
	s_cbranch_execz .LBB489_236
; %bb.235:
	v_and_b32_e32 v38, 7, v32
	v_ffbh_u32_e32 v40, v38
	v_min_u32_e32 v46, 32, v40
	v_subrev_u32_e32 v40, 28, v46
	v_lshlrev_b64 v[40:41], v40, v[32:33]
	v_lshrrev_b32_e32 v45, 3, v39
	v_sub_u32_e32 v32, 29, v46
	v_and_b32_e32 v40, 7, v40
	v_cmp_gt_u32_e32 vcc, 8, v39
	v_cndmask_b32_e32 v32, v45, v32, vcc
	v_cndmask_b32_e32 v38, v38, v40, vcc
	v_lshlrev_b32_e32 v30, 16, v30
	v_bfrev_b32_e32 v39, 60
	v_lshlrev_b32_e32 v38, 20, v38
	v_and_b32_e32 v30, 0x80000000, v30
	v_lshl_add_u32 v32, v32, 23, v39
	v_or3_b32 v38, v30, v32, v38
.LBB489_236:
	s_or_b64 exec, exec, s[16:17]
.LBB489_237:
	s_or_b64 exec, exec, s[14:15]
.LBB489_238:
	s_or_b64 exec, exec, s[12:13]
	s_movk_i32 s11, 0xff
	v_and_b32_sdwa v32, v27, s11 dst_sel:DWORD dst_unused:UNUSED_PAD src0_sel:WORD_1 src1_sel:DWORD
	v_lshrrev_b32_e32 v30, 16, v27
	v_cmp_ne_u16_e32 vcc, 0, v32
	s_and_saveexec_b64 s[12:13], vcc
	s_cbranch_execz .LBB489_244
; %bb.239:
	s_movk_i32 s11, 0x80
	v_cmp_ne_u16_e32 vcc, s11, v32
	v_bfrev_b32_e32 v37, 1
	s_and_saveexec_b64 s[14:15], vcc
	s_cbranch_execz .LBB489_243
; %bb.240:
	v_bfe_u32 v32, v27, 16, 7
	s_movk_i32 s11, 0x7f
	v_cmp_ne_u32_e32 vcc, s11, v32
	v_mov_b32_e32 v37, 0x7f800001
	s_and_saveexec_b64 s[16:17], vcc
	s_cbranch_execz .LBB489_242
; %bb.241:
	v_and_b32_e32 v37, 7, v30
	v_ffbh_u32_e32 v40, v37
	v_min_u32_e32 v45, 32, v40
	v_subrev_u32_e32 v40, 28, v45
	v_lshlrev_b64 v[40:41], v40, v[30:31]
	v_and_b32_e32 v40, 7, v40
	v_cmp_gt_u32_e32 vcc, 8, v32
	v_lshrrev_b32_e32 v39, 3, v32
	v_sub_u32_e32 v30, 29, v45
	v_cndmask_b32_e32 v32, v37, v40, vcc
	v_mov_b32_e32 v37, 24
	v_cndmask_b32_e32 v30, v39, v30, vcc
	v_lshlrev_b32_sdwa v37, v37, v27 dst_sel:DWORD dst_unused:UNUSED_PAD src0_sel:DWORD src1_sel:WORD_1
	v_bfrev_b32_e32 v39, 60
	v_lshlrev_b32_e32 v32, 20, v32
	v_and_b32_e32 v37, 0x80000000, v37
	v_lshl_add_u32 v30, v30, 23, v39
	v_or3_b32 v37, v37, v30, v32
.LBB489_242:
	s_or_b64 exec, exec, s[16:17]
.LBB489_243:
	s_or_b64 exec, exec, s[14:15]
.LBB489_244:
	s_or_b64 exec, exec, s[12:13]
	s_mov_b32 s12, -1
	s_mov_b32 s13, 0xffffff
	v_cmp_lt_u64_e32 vcc, s[12:13], v[26:27]
	v_mov_b32_e32 v32, 0
	v_mov_b32_e32 v30, 0
	s_and_saveexec_b64 s[12:13], vcc
	s_cbranch_execz .LBB489_250
; %bb.245:
	v_lshrrev_b32_e32 v26, 24, v27
	s_movk_i32 s11, 0x80
	v_cmp_ne_u32_e32 vcc, s11, v26
	v_bfrev_b32_e32 v30, 1
	s_and_saveexec_b64 s[14:15], vcc
	s_cbranch_execz .LBB489_249
; %bb.246:
	v_bfe_u32 v27, v27, 24, 7
	s_movk_i32 s11, 0x7f
	v_cmp_ne_u32_e32 vcc, s11, v27
	v_mov_b32_e32 v30, 0x7f800001
	s_and_saveexec_b64 s[16:17], vcc
	s_cbranch_execz .LBB489_248
; %bb.247:
	v_and_b32_e32 v30, 7, v26
	v_ffbh_u32_e32 v40, v30
	v_min_u32_e32 v45, 32, v40
	v_subrev_u32_e32 v40, 28, v45
	v_lshlrev_b64 v[40:41], v40, v[26:27]
	v_lshrrev_b32_e32 v39, 3, v27
	v_sub_u32_e32 v41, 29, v45
	v_and_b32_e32 v40, 7, v40
	v_cmp_gt_u32_e32 vcc, 8, v27
	v_cndmask_b32_e32 v27, v39, v41, vcc
	v_cndmask_b32_e32 v30, v30, v40, vcc
	v_lshlrev_b32_e32 v26, 24, v26
	v_bfrev_b32_e32 v39, 60
	v_lshlrev_b32_e32 v30, 20, v30
	v_and_b32_e32 v26, 0x80000000, v26
	v_lshl_add_u32 v27, v27, 23, v39
	v_or3_b32 v30, v26, v27, v30
.LBB489_248:
	s_or_b64 exec, exec, s[16:17]
.LBB489_249:
	s_or_b64 exec, exec, s[14:15]
.LBB489_250:
	s_or_b64 exec, exec, s[12:13]
	v_cvt_pkrtz_f16_f32 v26, v34, v35
	v_cvt_pkrtz_f16_f32 v27, v33, v36
	;; [unrolled: 1-line block ×4, first 2 shown]
	v_mfma_f32_4x4x4f16 a[0:3], v[2:3], v[26:27], a[0:3] cbsz:4 abid:4
	v_cmp_ne_u16_sdwa s[14:15], v28, v32 src0_sel:BYTE_0 src1_sel:DWORD
	v_mfma_f32_4x4x4f16 a[0:3], v[4:5], v[34:35], a[0:3] cbsz:4 abid:4
	s_and_saveexec_b64 s[12:13], s[14:15]
	s_cbranch_execz .LBB489_256
; %bb.251:
	s_movk_i32 s11, 0x80
	v_cmp_ne_u16_sdwa s[16:17], v28, s11 src0_sel:BYTE_0 src1_sel:DWORD
	v_bfrev_b32_e32 v32, 1
	s_and_saveexec_b64 s[14:15], s[16:17]
	s_cbranch_execz .LBB489_255
; %bb.252:
	s_movk_i32 s11, 0x7f
	v_and_b32_e32 v26, 0x7f, v28
	v_cmp_ne_u32_e32 vcc, s11, v26
	v_mov_b32_e32 v32, 0x7f800001
	s_and_saveexec_b64 s[16:17], vcc
	s_cbranch_execz .LBB489_254
; %bb.253:
	v_and_b32_e32 v27, 7, v28
	v_ffbh_u32_e32 v27, v27
	v_min_u32_e32 v27, 32, v27
	v_subrev_u32_e32 v31, 28, v27
	v_cmp_gt_u32_e32 vcc, 8, v26
	v_lshrrev_b32_e32 v30, 3, v26
	v_sub_u32_e32 v27, 29, v27
	v_cndmask_b32_e32 v26, 0, v31, vcc
	v_cndmask_b32_e32 v30, v30, v27, vcc
	v_lshlrev_b64 v[26:27], v26, v[28:29]
	v_lshlrev_b32_e32 v26, 20, v26
	v_lshlrev_b32_e32 v27, 24, v28
	v_bfrev_b32_e32 v31, 60
	v_and_b32_e32 v26, 0x700000, v26
	v_and_b32_e32 v27, 0x80000000, v27
	v_lshl_add_u32 v30, v30, 23, v31
	v_or3_b32 v32, v27, v30, v26
.LBB489_254:
	s_or_b64 exec, exec, s[16:17]
.LBB489_255:
	s_or_b64 exec, exec, s[14:15]
.LBB489_256:
	s_or_b64 exec, exec, s[12:13]
	v_lshrrev_b16_e32 v26, 8, v28
	v_cmp_ne_u16_e32 vcc, 0, v26
	v_mov_b32_e32 v31, 0
	v_mov_b32_e32 v33, 0
	s_and_saveexec_b64 s[12:13], vcc
	s_cbranch_execz .LBB489_262
; %bb.257:
	s_movk_i32 s11, 0x80
	v_cmp_ne_u16_e32 vcc, s11, v26
	v_bfrev_b32_e32 v33, 1
	s_and_saveexec_b64 s[14:15], vcc
	s_cbranch_execz .LBB489_261
; %bb.258:
	s_movk_i32 s11, 0x7f
	v_and_b32_e32 v27, 0x7f, v26
	v_cmp_ne_u32_e32 vcc, s11, v27
	v_mov_b32_e32 v33, 0x7f800001
	s_and_saveexec_b64 s[16:17], vcc
	s_cbranch_execz .LBB489_260
; %bb.259:
	v_and_b32_e32 v30, 7, v26
	v_ffbh_u32_e32 v34, v30
	v_min_u32_e32 v36, 32, v34
	v_subrev_u32_e32 v34, 28, v36
	v_lshlrev_b64 v[34:35], v34, v[26:27]
	v_lshrrev_b32_e32 v33, 3, v27
	v_sub_u32_e32 v26, 29, v36
	v_and_b32_e32 v34, 7, v34
	v_cmp_gt_u32_e32 vcc, 8, v27
	v_cndmask_b32_e32 v26, v33, v26, vcc
	v_cndmask_b32_e32 v27, v30, v34, vcc
	v_lshlrev_b32_e32 v30, 16, v28
	v_bfrev_b32_e32 v33, 60
	v_lshlrev_b32_e32 v27, 20, v27
	v_and_b32_e32 v30, 0x80000000, v30
	v_lshl_add_u32 v26, v26, 23, v33
	v_or3_b32 v33, v30, v26, v27
.LBB489_260:
	s_or_b64 exec, exec, s[16:17]
.LBB489_261:
	s_or_b64 exec, exec, s[14:15]
.LBB489_262:
	s_or_b64 exec, exec, s[12:13]
	s_movk_i32 s11, 0xff
	v_and_b32_sdwa v27, v28, s11 dst_sel:DWORD dst_unused:UNUSED_PAD src0_sel:WORD_1 src1_sel:DWORD
	v_lshrrev_b32_e32 v26, 16, v28
	v_cmp_ne_u16_e32 vcc, 0, v27
	s_and_saveexec_b64 s[12:13], vcc
	s_cbranch_execz .LBB489_268
; %bb.263:
	s_movk_i32 s11, 0x80
	v_cmp_ne_u16_e32 vcc, s11, v27
	v_bfrev_b32_e32 v31, 1
	s_and_saveexec_b64 s[14:15], vcc
	s_cbranch_execz .LBB489_267
; %bb.264:
	v_bfe_u32 v27, v28, 16, 7
	s_movk_i32 s11, 0x7f
	v_cmp_ne_u32_e32 vcc, s11, v27
	v_mov_b32_e32 v31, 0x7f800001
	s_and_saveexec_b64 s[16:17], vcc
	s_cbranch_execz .LBB489_266
; %bb.265:
	v_and_b32_e32 v34, 7, v26
	v_ffbh_u32_e32 v30, v34
	v_min_u32_e32 v36, 32, v30
	v_subrev_u32_e32 v30, 28, v36
	v_lshlrev_b64 v[30:31], v30, v[26:27]
	v_and_b32_e32 v30, 7, v30
	v_cmp_gt_u32_e32 vcc, 8, v27
	v_lshrrev_b32_e32 v35, 3, v27
	v_sub_u32_e32 v26, 29, v36
	v_cndmask_b32_e32 v27, v34, v30, vcc
	v_mov_b32_e32 v30, 24
	v_cndmask_b32_e32 v26, v35, v26, vcc
	v_lshlrev_b32_sdwa v30, v30, v28 dst_sel:DWORD dst_unused:UNUSED_PAD src0_sel:DWORD src1_sel:WORD_1
	v_bfrev_b32_e32 v31, 60
	v_lshlrev_b32_e32 v27, 20, v27
	v_and_b32_e32 v30, 0x80000000, v30
	v_lshl_add_u32 v26, v26, 23, v31
	v_or3_b32 v31, v30, v26, v27
.LBB489_266:
	s_or_b64 exec, exec, s[16:17]
.LBB489_267:
	s_or_b64 exec, exec, s[14:15]
.LBB489_268:
	s_or_b64 exec, exec, s[12:13]
	s_mov_b32 s11, 0xffffff
	v_cmp_lt_u32_e32 vcc, s11, v28
	v_mov_b32_e32 v27, 0
	v_mov_b32_e32 v34, 0
	s_and_saveexec_b64 s[12:13], vcc
	s_cbranch_execz .LBB489_274
; %bb.269:
	v_lshrrev_b32_e32 v26, 24, v28
	s_movk_i32 s11, 0x80
	v_cmp_ne_u32_e32 vcc, s11, v26
	v_bfrev_b32_e32 v34, 1
	s_and_saveexec_b64 s[14:15], vcc
	s_cbranch_execz .LBB489_273
; %bb.270:
	v_bfe_u32 v30, v28, 24, 7
	s_movk_i32 s11, 0x7f
	v_cmp_ne_u32_e32 vcc, s11, v30
	v_mov_b32_e32 v34, 0x7f800001
	s_and_saveexec_b64 s[16:17], vcc
	s_cbranch_execz .LBB489_272
; %bb.271:
	v_and_b32_e32 v36, 7, v26
	v_ffbh_u32_e32 v34, v36
	v_min_u32_e32 v38, 32, v34
	v_subrev_u32_e32 v34, 28, v38
	v_lshlrev_b64 v[34:35], v34, v[26:27]
	v_lshrrev_b32_e32 v37, 3, v30
	v_sub_u32_e32 v35, 29, v38
	v_and_b32_e32 v34, 7, v34
	v_cmp_gt_u32_e32 vcc, 8, v30
	v_cndmask_b32_e32 v30, v37, v35, vcc
	v_cndmask_b32_e32 v34, v36, v34, vcc
	v_lshlrev_b32_e32 v26, 24, v26
	v_bfrev_b32_e32 v35, 60
	v_lshlrev_b32_e32 v34, 20, v34
	v_and_b32_e32 v26, 0x80000000, v26
	v_lshl_add_u32 v30, v30, 23, v35
	v_or3_b32 v34, v26, v30, v34
.LBB489_272:
	s_or_b64 exec, exec, s[16:17]
.LBB489_273:
	s_or_b64 exec, exec, s[14:15]
.LBB489_274:
	s_or_b64 exec, exec, s[12:13]
	v_mov_b32_e32 v26, v29
	v_cmp_ne_u16_sdwa s[14:15], v29, v27 src0_sel:BYTE_0 src1_sel:DWORD
	s_and_saveexec_b64 s[12:13], s[14:15]
	s_cbranch_execz .LBB489_280
; %bb.275:
	s_movk_i32 s11, 0x80
	v_cmp_ne_u16_sdwa s[16:17], v29, s11 src0_sel:BYTE_0 src1_sel:DWORD
	v_bfrev_b32_e32 v30, 1
	s_and_saveexec_b64 s[14:15], s[16:17]
	s_cbranch_execz .LBB489_279
; %bb.276:
	s_movk_i32 s11, 0x7f
	v_and_b32_e32 v35, 0x7f, v29
	v_cmp_ne_u32_e32 vcc, s11, v35
	v_mov_b32_e32 v30, 0x7f800001
	s_and_saveexec_b64 s[16:17], vcc
	s_cbranch_execz .LBB489_278
; %bb.277:
	v_and_b32_e32 v30, 7, v29
	v_ffbh_u32_e32 v30, v30
	v_min_u32_e32 v30, 32, v30
	v_subrev_u32_e32 v37, 28, v30
	v_cmp_gt_u32_e32 vcc, 8, v35
	v_lshrrev_b32_e32 v36, 3, v35
	v_sub_u32_e32 v30, 29, v30
	v_cndmask_b32_e32 v35, 0, v37, vcc
	v_cndmask_b32_e32 v30, v36, v30, vcc
	v_lshlrev_b64 v[36:37], v35, v[26:27]
	v_lshlrev_b32_e32 v27, 20, v36
	v_lshlrev_b32_e32 v35, 24, v26
	v_bfrev_b32_e32 v36, 60
	v_and_b32_e32 v27, 0x700000, v27
	v_and_b32_e32 v35, 0x80000000, v35
	v_lshl_add_u32 v30, v30, 23, v36
	v_or3_b32 v30, v35, v30, v27
.LBB489_278:
	s_or_b64 exec, exec, s[16:17]
.LBB489_279:
	s_or_b64 exec, exec, s[14:15]
	v_mov_b32_e32 v27, v30
.LBB489_280:
	s_or_b64 exec, exec, s[12:13]
	v_lshrrev_b16_e32 v30, 8, v26
	v_cmp_ne_u16_e32 vcc, 0, v30
	v_mov_b32_e32 v35, 0
	v_mov_b32_e32 v36, 0
	s_and_saveexec_b64 s[12:13], vcc
	s_cbranch_execz .LBB489_286
; %bb.281:
	s_movk_i32 s11, 0x80
	v_cmp_ne_u16_e32 vcc, s11, v30
	v_bfrev_b32_e32 v36, 1
	s_and_saveexec_b64 s[14:15], vcc
	s_cbranch_execz .LBB489_285
; %bb.282:
	s_movk_i32 s11, 0x7f
	v_and_b32_e32 v37, 0x7f, v30
	v_cmp_ne_u32_e32 vcc, s11, v37
	v_mov_b32_e32 v36, 0x7f800001
	s_and_saveexec_b64 s[16:17], vcc
	s_cbranch_execz .LBB489_284
; %bb.283:
	v_and_b32_e32 v36, 7, v30
	v_ffbh_u32_e32 v38, v36
	v_min_u32_e32 v41, 32, v38
	v_subrev_u32_e32 v38, 28, v41
	v_lshlrev_b64 v[38:39], v38, v[30:31]
	v_lshrrev_b32_e32 v40, 3, v37
	v_sub_u32_e32 v30, 29, v41
	v_and_b32_e32 v38, 7, v38
	v_cmp_gt_u32_e32 vcc, 8, v37
	v_cndmask_b32_e32 v30, v40, v30, vcc
	v_cndmask_b32_e32 v36, v36, v38, vcc
	v_lshlrev_b32_e32 v26, 16, v26
	v_bfrev_b32_e32 v37, 60
	v_lshlrev_b32_e32 v36, 20, v36
	v_and_b32_e32 v26, 0x80000000, v26
	v_lshl_add_u32 v30, v30, 23, v37
	v_or3_b32 v36, v26, v30, v36
.LBB489_284:
	s_or_b64 exec, exec, s[16:17]
.LBB489_285:
	s_or_b64 exec, exec, s[14:15]
.LBB489_286:
	s_or_b64 exec, exec, s[12:13]
	s_movk_i32 s11, 0xff
	v_and_b32_sdwa v30, v29, s11 dst_sel:DWORD dst_unused:UNUSED_PAD src0_sel:WORD_1 src1_sel:DWORD
	v_lshrrev_b32_e32 v26, 16, v29
	v_cmp_ne_u16_e32 vcc, 0, v30
	s_and_saveexec_b64 s[12:13], vcc
	s_cbranch_execz .LBB489_292
; %bb.287:
	s_movk_i32 s11, 0x80
	v_cmp_ne_u16_e32 vcc, s11, v30
	v_bfrev_b32_e32 v35, 1
	s_and_saveexec_b64 s[14:15], vcc
	s_cbranch_execz .LBB489_291
; %bb.288:
	v_bfe_u32 v30, v29, 16, 7
	s_movk_i32 s11, 0x7f
	v_cmp_ne_u32_e32 vcc, s11, v30
	v_mov_b32_e32 v35, 0x7f800001
	s_and_saveexec_b64 s[16:17], vcc
	s_cbranch_execz .LBB489_290
; %bb.289:
	v_and_b32_e32 v35, 7, v26
	v_ffbh_u32_e32 v38, v35
	v_min_u32_e32 v40, 32, v38
	v_subrev_u32_e32 v38, 28, v40
	v_lshlrev_b64 v[38:39], v38, v[26:27]
	v_and_b32_e32 v38, 7, v38
	v_cmp_gt_u32_e32 vcc, 8, v30
	v_lshrrev_b32_e32 v37, 3, v30
	v_sub_u32_e32 v26, 29, v40
	v_cndmask_b32_e32 v30, v35, v38, vcc
	v_mov_b32_e32 v35, 24
	v_cndmask_b32_e32 v26, v37, v26, vcc
	v_lshlrev_b32_sdwa v35, v35, v29 dst_sel:DWORD dst_unused:UNUSED_PAD src0_sel:DWORD src1_sel:WORD_1
	v_bfrev_b32_e32 v37, 60
	v_lshlrev_b32_e32 v30, 20, v30
	v_and_b32_e32 v35, 0x80000000, v35
	v_lshl_add_u32 v26, v26, 23, v37
	v_or3_b32 v35, v35, v26, v30
.LBB489_290:
	s_or_b64 exec, exec, s[16:17]
.LBB489_291:
	s_or_b64 exec, exec, s[14:15]
.LBB489_292:
	s_or_b64 exec, exec, s[12:13]
	s_mov_b32 s12, -1
	s_mov_b32 s13, 0xffffff
	v_cmp_lt_u64_e32 vcc, s[12:13], v[28:29]
	v_mov_b32_e32 v30, 0
	v_mov_b32_e32 v28, 0
	s_and_saveexec_b64 s[12:13], vcc
	s_cbranch_execz .LBB489_298
; %bb.293:
	v_lshrrev_b32_e32 v26, 24, v29
	s_movk_i32 s11, 0x80
	v_cmp_ne_u32_e32 vcc, s11, v26
	v_bfrev_b32_e32 v28, 1
	s_and_saveexec_b64 s[14:15], vcc
	s_cbranch_execz .LBB489_297
; %bb.294:
	v_bfe_u32 v29, v29, 24, 7
	s_movk_i32 s11, 0x7f
	v_cmp_ne_u32_e32 vcc, s11, v29
	v_mov_b32_e32 v28, 0x7f800001
	s_and_saveexec_b64 s[16:17], vcc
	s_cbranch_execz .LBB489_296
; %bb.295:
	v_and_b32_e32 v28, 7, v26
	v_ffbh_u32_e32 v38, v28
	v_min_u32_e32 v40, 32, v38
	v_subrev_u32_e32 v38, 28, v40
	v_lshlrev_b64 v[38:39], v38, v[26:27]
	v_lshrrev_b32_e32 v37, 3, v29
	v_sub_u32_e32 v39, 29, v40
	v_and_b32_e32 v38, 7, v38
	v_cmp_gt_u32_e32 vcc, 8, v29
	v_cndmask_b32_e32 v29, v37, v39, vcc
	v_cndmask_b32_e32 v28, v28, v38, vcc
	v_lshlrev_b32_e32 v26, 24, v26
	v_bfrev_b32_e32 v37, 60
	v_lshlrev_b32_e32 v28, 20, v28
	v_and_b32_e32 v26, 0x80000000, v26
	v_lshl_add_u32 v29, v29, 23, v37
	v_or3_b32 v28, v26, v29, v28
.LBB489_296:
	s_or_b64 exec, exec, s[16:17]
.LBB489_297:
	s_or_b64 exec, exec, s[14:15]
.LBB489_298:
	s_or_b64 exec, exec, s[12:13]
	v_cvt_pkrtz_f16_f32 v32, v32, v33
	v_cvt_pkrtz_f16_f32 v33, v31, v34
	;; [unrolled: 1-line block ×4, first 2 shown]
	v_mfma_f32_4x4x4f16 a[0:3], v[2:3], v[32:33], a[0:3] cbsz:4 abid:5
	v_cmp_ne_u16_sdwa s[14:15], v22, v30 src0_sel:BYTE_0 src1_sel:DWORD
	v_mfma_f32_4x4x4f16 a[0:3], v[4:5], v[26:27], a[0:3] cbsz:4 abid:5
	s_and_saveexec_b64 s[12:13], s[14:15]
	s_cbranch_execz .LBB489_304
; %bb.299:
	s_movk_i32 s11, 0x80
	v_cmp_ne_u16_sdwa s[16:17], v22, s11 src0_sel:BYTE_0 src1_sel:DWORD
	v_bfrev_b32_e32 v30, 1
	s_and_saveexec_b64 s[14:15], s[16:17]
	s_cbranch_execz .LBB489_303
; %bb.300:
	s_movk_i32 s11, 0x7f
	v_and_b32_e32 v26, 0x7f, v22
	v_cmp_ne_u32_e32 vcc, s11, v26
	v_mov_b32_e32 v30, 0x7f800001
	s_and_saveexec_b64 s[16:17], vcc
	s_cbranch_execz .LBB489_302
; %bb.301:
	v_and_b32_e32 v27, 7, v22
	v_ffbh_u32_e32 v27, v27
	v_min_u32_e32 v27, 32, v27
	v_subrev_u32_e32 v29, 28, v27
	v_cmp_gt_u32_e32 vcc, 8, v26
	v_lshrrev_b32_e32 v28, 3, v26
	v_sub_u32_e32 v27, 29, v27
	v_cndmask_b32_e32 v26, 0, v29, vcc
	v_cndmask_b32_e32 v28, v28, v27, vcc
	v_lshlrev_b64 v[26:27], v26, v[22:23]
	v_lshlrev_b32_e32 v26, 20, v26
	v_lshlrev_b32_e32 v27, 24, v22
	v_bfrev_b32_e32 v29, 60
	v_and_b32_e32 v26, 0x700000, v26
	v_and_b32_e32 v27, 0x80000000, v27
	v_lshl_add_u32 v28, v28, 23, v29
	v_or3_b32 v30, v27, v28, v26
.LBB489_302:
	s_or_b64 exec, exec, s[16:17]
.LBB489_303:
	s_or_b64 exec, exec, s[14:15]
.LBB489_304:
	s_or_b64 exec, exec, s[12:13]
	v_lshrrev_b16_e32 v26, 8, v22
	v_cmp_ne_u16_e32 vcc, 0, v26
	v_mov_b32_e32 v29, 0
	v_mov_b32_e32 v31, 0
	s_and_saveexec_b64 s[12:13], vcc
	s_cbranch_execz .LBB489_310
; %bb.305:
	s_movk_i32 s11, 0x80
	v_cmp_ne_u16_e32 vcc, s11, v26
	v_bfrev_b32_e32 v31, 1
	s_and_saveexec_b64 s[14:15], vcc
	s_cbranch_execz .LBB489_309
; %bb.306:
	s_movk_i32 s11, 0x7f
	v_and_b32_e32 v27, 0x7f, v26
	v_cmp_ne_u32_e32 vcc, s11, v27
	v_mov_b32_e32 v31, 0x7f800001
	s_and_saveexec_b64 s[16:17], vcc
	s_cbranch_execz .LBB489_308
; %bb.307:
	v_and_b32_e32 v28, 7, v26
	v_ffbh_u32_e32 v32, v28
	v_min_u32_e32 v34, 32, v32
	v_subrev_u32_e32 v32, 28, v34
	v_lshlrev_b64 v[32:33], v32, v[26:27]
	v_lshrrev_b32_e32 v31, 3, v27
	v_sub_u32_e32 v26, 29, v34
	v_and_b32_e32 v32, 7, v32
	v_cmp_gt_u32_e32 vcc, 8, v27
	v_cndmask_b32_e32 v26, v31, v26, vcc
	v_cndmask_b32_e32 v27, v28, v32, vcc
	v_lshlrev_b32_e32 v28, 16, v22
	v_bfrev_b32_e32 v31, 60
	v_lshlrev_b32_e32 v27, 20, v27
	v_and_b32_e32 v28, 0x80000000, v28
	v_lshl_add_u32 v26, v26, 23, v31
	v_or3_b32 v31, v28, v26, v27
.LBB489_308:
	s_or_b64 exec, exec, s[16:17]
.LBB489_309:
	s_or_b64 exec, exec, s[14:15]
.LBB489_310:
	s_or_b64 exec, exec, s[12:13]
	s_movk_i32 s11, 0xff
	v_and_b32_sdwa v27, v22, s11 dst_sel:DWORD dst_unused:UNUSED_PAD src0_sel:WORD_1 src1_sel:DWORD
	v_lshrrev_b32_e32 v26, 16, v22
	v_cmp_ne_u16_e32 vcc, 0, v27
	s_and_saveexec_b64 s[12:13], vcc
	s_cbranch_execz .LBB489_316
; %bb.311:
	s_movk_i32 s11, 0x80
	v_cmp_ne_u16_e32 vcc, s11, v27
	v_bfrev_b32_e32 v29, 1
	s_and_saveexec_b64 s[14:15], vcc
	s_cbranch_execz .LBB489_315
; %bb.312:
	v_bfe_u32 v27, v22, 16, 7
	s_movk_i32 s11, 0x7f
	v_cmp_ne_u32_e32 vcc, s11, v27
	v_mov_b32_e32 v29, 0x7f800001
	s_and_saveexec_b64 s[16:17], vcc
	s_cbranch_execz .LBB489_314
; %bb.313:
	v_and_b32_e32 v32, 7, v26
	v_ffbh_u32_e32 v28, v32
	v_min_u32_e32 v34, 32, v28
	v_subrev_u32_e32 v28, 28, v34
	v_lshlrev_b64 v[28:29], v28, v[26:27]
	v_and_b32_e32 v28, 7, v28
	v_cmp_gt_u32_e32 vcc, 8, v27
	v_lshrrev_b32_e32 v33, 3, v27
	v_sub_u32_e32 v26, 29, v34
	v_cndmask_b32_e32 v27, v32, v28, vcc
	v_mov_b32_e32 v28, 24
	v_cndmask_b32_e32 v26, v33, v26, vcc
	v_lshlrev_b32_sdwa v28, v28, v22 dst_sel:DWORD dst_unused:UNUSED_PAD src0_sel:DWORD src1_sel:WORD_1
	v_bfrev_b32_e32 v29, 60
	v_lshlrev_b32_e32 v27, 20, v27
	v_and_b32_e32 v28, 0x80000000, v28
	v_lshl_add_u32 v26, v26, 23, v29
	v_or3_b32 v29, v28, v26, v27
.LBB489_314:
	s_or_b64 exec, exec, s[16:17]
.LBB489_315:
	s_or_b64 exec, exec, s[14:15]
.LBB489_316:
	s_or_b64 exec, exec, s[12:13]
	s_mov_b32 s11, 0xffffff
	v_cmp_lt_u32_e32 vcc, s11, v22
	v_mov_b32_e32 v27, 0
	v_mov_b32_e32 v32, 0
	s_and_saveexec_b64 s[12:13], vcc
	s_cbranch_execz .LBB489_322
; %bb.317:
	v_lshrrev_b32_e32 v26, 24, v22
	s_movk_i32 s11, 0x80
	v_cmp_ne_u32_e32 vcc, s11, v26
	v_bfrev_b32_e32 v32, 1
	s_and_saveexec_b64 s[14:15], vcc
	s_cbranch_execz .LBB489_321
; %bb.318:
	v_bfe_u32 v28, v22, 24, 7
	s_movk_i32 s11, 0x7f
	v_cmp_ne_u32_e32 vcc, s11, v28
	v_mov_b32_e32 v32, 0x7f800001
	s_and_saveexec_b64 s[16:17], vcc
	s_cbranch_execz .LBB489_320
; %bb.319:
	v_and_b32_e32 v34, 7, v26
	v_ffbh_u32_e32 v32, v34
	v_min_u32_e32 v36, 32, v32
	v_subrev_u32_e32 v32, 28, v36
	v_lshlrev_b64 v[32:33], v32, v[26:27]
	v_lshrrev_b32_e32 v35, 3, v28
	v_sub_u32_e32 v33, 29, v36
	v_and_b32_e32 v32, 7, v32
	v_cmp_gt_u32_e32 vcc, 8, v28
	v_cndmask_b32_e32 v28, v35, v33, vcc
	v_cndmask_b32_e32 v32, v34, v32, vcc
	v_lshlrev_b32_e32 v26, 24, v26
	v_bfrev_b32_e32 v33, 60
	v_lshlrev_b32_e32 v32, 20, v32
	v_and_b32_e32 v26, 0x80000000, v26
	v_lshl_add_u32 v28, v28, 23, v33
	v_or3_b32 v32, v26, v28, v32
.LBB489_320:
	s_or_b64 exec, exec, s[16:17]
.LBB489_321:
	s_or_b64 exec, exec, s[14:15]
.LBB489_322:
	s_or_b64 exec, exec, s[12:13]
	v_mov_b32_e32 v26, v23
	v_cmp_ne_u16_sdwa s[14:15], v23, v27 src0_sel:BYTE_0 src1_sel:DWORD
	s_and_saveexec_b64 s[12:13], s[14:15]
	s_cbranch_execz .LBB489_328
; %bb.323:
	s_movk_i32 s11, 0x80
	v_cmp_ne_u16_sdwa s[16:17], v23, s11 src0_sel:BYTE_0 src1_sel:DWORD
	v_bfrev_b32_e32 v28, 1
	s_and_saveexec_b64 s[14:15], s[16:17]
	s_cbranch_execz .LBB489_327
; %bb.324:
	s_movk_i32 s11, 0x7f
	v_and_b32_e32 v33, 0x7f, v23
	v_cmp_ne_u32_e32 vcc, s11, v33
	v_mov_b32_e32 v28, 0x7f800001
	s_and_saveexec_b64 s[16:17], vcc
	s_cbranch_execz .LBB489_326
; %bb.325:
	v_and_b32_e32 v28, 7, v23
	v_ffbh_u32_e32 v28, v28
	v_min_u32_e32 v28, 32, v28
	v_subrev_u32_e32 v35, 28, v28
	v_cmp_gt_u32_e32 vcc, 8, v33
	v_lshrrev_b32_e32 v34, 3, v33
	v_sub_u32_e32 v28, 29, v28
	v_cndmask_b32_e32 v33, 0, v35, vcc
	v_cndmask_b32_e32 v28, v34, v28, vcc
	v_lshlrev_b64 v[34:35], v33, v[26:27]
	v_lshlrev_b32_e32 v27, 20, v34
	v_lshlrev_b32_e32 v33, 24, v26
	v_bfrev_b32_e32 v34, 60
	v_and_b32_e32 v27, 0x700000, v27
	v_and_b32_e32 v33, 0x80000000, v33
	v_lshl_add_u32 v28, v28, 23, v34
	v_or3_b32 v28, v33, v28, v27
.LBB489_326:
	s_or_b64 exec, exec, s[16:17]
.LBB489_327:
	s_or_b64 exec, exec, s[14:15]
	v_mov_b32_e32 v27, v28
.LBB489_328:
	s_or_b64 exec, exec, s[12:13]
	v_lshrrev_b16_e32 v28, 8, v26
	v_cmp_ne_u16_e32 vcc, 0, v28
	v_mov_b32_e32 v33, 0
	v_mov_b32_e32 v34, 0
	s_and_saveexec_b64 s[12:13], vcc
	s_cbranch_execz .LBB489_334
; %bb.329:
	s_movk_i32 s11, 0x80
	v_cmp_ne_u16_e32 vcc, s11, v28
	v_bfrev_b32_e32 v34, 1
	s_and_saveexec_b64 s[14:15], vcc
	s_cbranch_execz .LBB489_333
; %bb.330:
	s_movk_i32 s11, 0x7f
	v_and_b32_e32 v35, 0x7f, v28
	v_cmp_ne_u32_e32 vcc, s11, v35
	v_mov_b32_e32 v34, 0x7f800001
	s_and_saveexec_b64 s[16:17], vcc
	s_cbranch_execz .LBB489_332
; %bb.331:
	v_and_b32_e32 v34, 7, v28
	v_ffbh_u32_e32 v36, v34
	v_min_u32_e32 v39, 32, v36
	v_subrev_u32_e32 v36, 28, v39
	v_lshlrev_b64 v[36:37], v36, v[28:29]
	v_lshrrev_b32_e32 v38, 3, v35
	v_sub_u32_e32 v28, 29, v39
	v_and_b32_e32 v36, 7, v36
	v_cmp_gt_u32_e32 vcc, 8, v35
	v_cndmask_b32_e32 v28, v38, v28, vcc
	v_cndmask_b32_e32 v34, v34, v36, vcc
	v_lshlrev_b32_e32 v26, 16, v26
	v_bfrev_b32_e32 v35, 60
	v_lshlrev_b32_e32 v34, 20, v34
	v_and_b32_e32 v26, 0x80000000, v26
	v_lshl_add_u32 v28, v28, 23, v35
	v_or3_b32 v34, v26, v28, v34
.LBB489_332:
	s_or_b64 exec, exec, s[16:17]
.LBB489_333:
	s_or_b64 exec, exec, s[14:15]
.LBB489_334:
	s_or_b64 exec, exec, s[12:13]
	s_movk_i32 s11, 0xff
	v_and_b32_sdwa v28, v23, s11 dst_sel:DWORD dst_unused:UNUSED_PAD src0_sel:WORD_1 src1_sel:DWORD
	v_lshrrev_b32_e32 v26, 16, v23
	v_cmp_ne_u16_e32 vcc, 0, v28
	s_and_saveexec_b64 s[12:13], vcc
	s_cbranch_execz .LBB489_340
; %bb.335:
	s_movk_i32 s11, 0x80
	v_cmp_ne_u16_e32 vcc, s11, v28
	v_bfrev_b32_e32 v33, 1
	s_and_saveexec_b64 s[14:15], vcc
	s_cbranch_execz .LBB489_339
; %bb.336:
	v_bfe_u32 v28, v23, 16, 7
	s_movk_i32 s11, 0x7f
	v_cmp_ne_u32_e32 vcc, s11, v28
	v_mov_b32_e32 v33, 0x7f800001
	s_and_saveexec_b64 s[16:17], vcc
	s_cbranch_execz .LBB489_338
; %bb.337:
	v_and_b32_e32 v33, 7, v26
	v_ffbh_u32_e32 v36, v33
	v_min_u32_e32 v38, 32, v36
	v_subrev_u32_e32 v36, 28, v38
	v_lshlrev_b64 v[36:37], v36, v[26:27]
	v_and_b32_e32 v36, 7, v36
	v_cmp_gt_u32_e32 vcc, 8, v28
	v_lshrrev_b32_e32 v35, 3, v28
	v_sub_u32_e32 v26, 29, v38
	v_cndmask_b32_e32 v28, v33, v36, vcc
	v_mov_b32_e32 v33, 24
	v_cndmask_b32_e32 v26, v35, v26, vcc
	v_lshlrev_b32_sdwa v33, v33, v23 dst_sel:DWORD dst_unused:UNUSED_PAD src0_sel:DWORD src1_sel:WORD_1
	v_bfrev_b32_e32 v35, 60
	v_lshlrev_b32_e32 v28, 20, v28
	v_and_b32_e32 v33, 0x80000000, v33
	v_lshl_add_u32 v26, v26, 23, v35
	v_or3_b32 v33, v33, v26, v28
.LBB489_338:
	s_or_b64 exec, exec, s[16:17]
.LBB489_339:
	s_or_b64 exec, exec, s[14:15]
.LBB489_340:
	s_or_b64 exec, exec, s[12:13]
	s_mov_b32 s12, -1
	s_mov_b32 s13, 0xffffff
	v_cmp_lt_u64_e32 vcc, s[12:13], v[22:23]
	v_mov_b32_e32 v28, 0
	v_mov_b32_e32 v26, 0
	s_and_saveexec_b64 s[12:13], vcc
	s_cbranch_execz .LBB489_346
; %bb.341:
	v_lshrrev_b32_e32 v22, 24, v23
	s_movk_i32 s11, 0x80
	v_cmp_ne_u32_e32 vcc, s11, v22
	v_bfrev_b32_e32 v26, 1
	s_and_saveexec_b64 s[14:15], vcc
	s_cbranch_execz .LBB489_345
; %bb.342:
	v_bfe_u32 v23, v23, 24, 7
	s_movk_i32 s11, 0x7f
	v_cmp_ne_u32_e32 vcc, s11, v23
	v_mov_b32_e32 v26, 0x7f800001
	s_and_saveexec_b64 s[16:17], vcc
	s_cbranch_execz .LBB489_344
; %bb.343:
	v_and_b32_e32 v26, 7, v22
	v_ffbh_u32_e32 v36, v26
	v_min_u32_e32 v38, 32, v36
	v_subrev_u32_e32 v36, 28, v38
	v_lshlrev_b64 v[36:37], v36, v[22:23]
	v_lshrrev_b32_e32 v35, 3, v23
	v_sub_u32_e32 v37, 29, v38
	v_and_b32_e32 v36, 7, v36
	v_cmp_gt_u32_e32 vcc, 8, v23
	v_cndmask_b32_e32 v23, v35, v37, vcc
	v_cndmask_b32_e32 v26, v26, v36, vcc
	v_lshlrev_b32_e32 v22, 24, v22
	v_bfrev_b32_e32 v35, 60
	v_lshlrev_b32_e32 v26, 20, v26
	v_and_b32_e32 v22, 0x80000000, v22
	v_lshl_add_u32 v23, v23, 23, v35
	v_or3_b32 v26, v22, v23, v26
.LBB489_344:
	s_or_b64 exec, exec, s[16:17]
.LBB489_345:
	s_or_b64 exec, exec, s[14:15]
.LBB489_346:
	s_or_b64 exec, exec, s[12:13]
	v_cvt_pkrtz_f16_f32 v22, v30, v31
	v_cvt_pkrtz_f16_f32 v23, v29, v32
	;; [unrolled: 1-line block ×4, first 2 shown]
	v_mfma_f32_4x4x4f16 a[0:3], v[2:3], v[22:23], a[0:3] cbsz:4 abid:6
	v_cmp_ne_u16_sdwa s[14:15], v24, v28 src0_sel:BYTE_0 src1_sel:DWORD
	v_mfma_f32_4x4x4f16 a[0:3], v[4:5], v[30:31], a[0:3] cbsz:4 abid:6
	s_and_saveexec_b64 s[12:13], s[14:15]
	s_cbranch_execz .LBB489_352
; %bb.347:
	s_movk_i32 s11, 0x80
	v_cmp_ne_u16_sdwa s[16:17], v24, s11 src0_sel:BYTE_0 src1_sel:DWORD
	v_bfrev_b32_e32 v28, 1
	s_and_saveexec_b64 s[14:15], s[16:17]
	s_cbranch_execz .LBB489_351
; %bb.348:
	s_movk_i32 s11, 0x7f
	v_and_b32_e32 v22, 0x7f, v24
	v_cmp_ne_u32_e32 vcc, s11, v22
	v_mov_b32_e32 v28, 0x7f800001
	s_and_saveexec_b64 s[16:17], vcc
	s_cbranch_execz .LBB489_350
; %bb.349:
	v_and_b32_e32 v23, 7, v24
	v_ffbh_u32_e32 v23, v23
	v_min_u32_e32 v23, 32, v23
	v_subrev_u32_e32 v27, 28, v23
	v_cmp_gt_u32_e32 vcc, 8, v22
	v_lshrrev_b32_e32 v26, 3, v22
	v_sub_u32_e32 v23, 29, v23
	v_cndmask_b32_e32 v22, 0, v27, vcc
	v_cndmask_b32_e32 v26, v26, v23, vcc
	v_lshlrev_b64 v[22:23], v22, v[24:25]
	v_lshlrev_b32_e32 v22, 20, v22
	v_lshlrev_b32_e32 v23, 24, v24
	v_bfrev_b32_e32 v27, 60
	v_and_b32_e32 v22, 0x700000, v22
	v_and_b32_e32 v23, 0x80000000, v23
	v_lshl_add_u32 v26, v26, 23, v27
	v_or3_b32 v28, v23, v26, v22
.LBB489_350:
	s_or_b64 exec, exec, s[16:17]
.LBB489_351:
	s_or_b64 exec, exec, s[14:15]
.LBB489_352:
	s_or_b64 exec, exec, s[12:13]
	v_lshrrev_b16_e32 v22, 8, v24
	v_cmp_ne_u16_e32 vcc, 0, v22
	v_mov_b32_e32 v27, 0
	v_mov_b32_e32 v29, 0
	s_and_saveexec_b64 s[12:13], vcc
	s_cbranch_execz .LBB489_358
; %bb.353:
	s_movk_i32 s11, 0x80
	v_cmp_ne_u16_e32 vcc, s11, v22
	v_bfrev_b32_e32 v29, 1
	s_and_saveexec_b64 s[14:15], vcc
	s_cbranch_execz .LBB489_357
; %bb.354:
	s_movk_i32 s11, 0x7f
	v_and_b32_e32 v23, 0x7f, v22
	v_cmp_ne_u32_e32 vcc, s11, v23
	v_mov_b32_e32 v29, 0x7f800001
	s_and_saveexec_b64 s[16:17], vcc
	s_cbranch_execz .LBB489_356
; %bb.355:
	v_and_b32_e32 v26, 7, v22
	v_ffbh_u32_e32 v30, v26
	v_min_u32_e32 v32, 32, v30
	v_subrev_u32_e32 v30, 28, v32
	v_lshlrev_b64 v[30:31], v30, v[22:23]
	v_lshrrev_b32_e32 v29, 3, v23
	v_sub_u32_e32 v22, 29, v32
	v_and_b32_e32 v30, 7, v30
	v_cmp_gt_u32_e32 vcc, 8, v23
	v_cndmask_b32_e32 v22, v29, v22, vcc
	v_cndmask_b32_e32 v23, v26, v30, vcc
	v_lshlrev_b32_e32 v26, 16, v24
	v_bfrev_b32_e32 v29, 60
	v_lshlrev_b32_e32 v23, 20, v23
	v_and_b32_e32 v26, 0x80000000, v26
	v_lshl_add_u32 v22, v22, 23, v29
	v_or3_b32 v29, v26, v22, v23
.LBB489_356:
	s_or_b64 exec, exec, s[16:17]
.LBB489_357:
	s_or_b64 exec, exec, s[14:15]
.LBB489_358:
	s_or_b64 exec, exec, s[12:13]
	s_movk_i32 s11, 0xff
	v_and_b32_sdwa v23, v24, s11 dst_sel:DWORD dst_unused:UNUSED_PAD src0_sel:WORD_1 src1_sel:DWORD
	v_lshrrev_b32_e32 v22, 16, v24
	v_cmp_ne_u16_e32 vcc, 0, v23
	s_and_saveexec_b64 s[12:13], vcc
	s_cbranch_execz .LBB489_364
; %bb.359:
	s_movk_i32 s11, 0x80
	v_cmp_ne_u16_e32 vcc, s11, v23
	v_bfrev_b32_e32 v27, 1
	s_and_saveexec_b64 s[14:15], vcc
	s_cbranch_execz .LBB489_363
; %bb.360:
	v_bfe_u32 v23, v24, 16, 7
	s_movk_i32 s11, 0x7f
	v_cmp_ne_u32_e32 vcc, s11, v23
	v_mov_b32_e32 v27, 0x7f800001
	s_and_saveexec_b64 s[16:17], vcc
	s_cbranch_execz .LBB489_362
; %bb.361:
	v_and_b32_e32 v30, 7, v22
	v_ffbh_u32_e32 v26, v30
	v_min_u32_e32 v32, 32, v26
	v_subrev_u32_e32 v26, 28, v32
	v_lshlrev_b64 v[26:27], v26, v[22:23]
	v_and_b32_e32 v26, 7, v26
	v_cmp_gt_u32_e32 vcc, 8, v23
	v_lshrrev_b32_e32 v31, 3, v23
	v_sub_u32_e32 v22, 29, v32
	v_cndmask_b32_e32 v23, v30, v26, vcc
	v_mov_b32_e32 v26, 24
	v_cndmask_b32_e32 v22, v31, v22, vcc
	v_lshlrev_b32_sdwa v26, v26, v24 dst_sel:DWORD dst_unused:UNUSED_PAD src0_sel:DWORD src1_sel:WORD_1
	v_bfrev_b32_e32 v27, 60
	v_lshlrev_b32_e32 v23, 20, v23
	v_and_b32_e32 v26, 0x80000000, v26
	v_lshl_add_u32 v22, v22, 23, v27
	v_or3_b32 v27, v26, v22, v23
.LBB489_362:
	s_or_b64 exec, exec, s[16:17]
.LBB489_363:
	s_or_b64 exec, exec, s[14:15]
.LBB489_364:
	s_or_b64 exec, exec, s[12:13]
	s_mov_b32 s11, 0xffffff
	v_cmp_lt_u32_e32 vcc, s11, v24
	v_mov_b32_e32 v23, 0
	v_mov_b32_e32 v30, 0
	s_and_saveexec_b64 s[12:13], vcc
	s_cbranch_execz .LBB489_370
; %bb.365:
	v_lshrrev_b32_e32 v22, 24, v24
	s_movk_i32 s11, 0x80
	v_cmp_ne_u32_e32 vcc, s11, v22
	v_bfrev_b32_e32 v30, 1
	s_and_saveexec_b64 s[14:15], vcc
	s_cbranch_execz .LBB489_369
; %bb.366:
	v_bfe_u32 v26, v24, 24, 7
	s_movk_i32 s11, 0x7f
	v_cmp_ne_u32_e32 vcc, s11, v26
	v_mov_b32_e32 v30, 0x7f800001
	s_and_saveexec_b64 s[16:17], vcc
	s_cbranch_execz .LBB489_368
; %bb.367:
	v_and_b32_e32 v32, 7, v22
	v_ffbh_u32_e32 v30, v32
	v_min_u32_e32 v34, 32, v30
	v_subrev_u32_e32 v30, 28, v34
	v_lshlrev_b64 v[30:31], v30, v[22:23]
	v_lshrrev_b32_e32 v33, 3, v26
	v_sub_u32_e32 v31, 29, v34
	v_and_b32_e32 v30, 7, v30
	v_cmp_gt_u32_e32 vcc, 8, v26
	v_cndmask_b32_e32 v26, v33, v31, vcc
	v_cndmask_b32_e32 v30, v32, v30, vcc
	v_lshlrev_b32_e32 v22, 24, v22
	v_bfrev_b32_e32 v31, 60
	v_lshlrev_b32_e32 v30, 20, v30
	v_and_b32_e32 v22, 0x80000000, v22
	v_lshl_add_u32 v26, v26, 23, v31
	v_or3_b32 v30, v22, v26, v30
.LBB489_368:
	s_or_b64 exec, exec, s[16:17]
.LBB489_369:
	s_or_b64 exec, exec, s[14:15]
.LBB489_370:
	s_or_b64 exec, exec, s[12:13]
	v_mov_b32_e32 v22, v25
	v_cmp_ne_u16_sdwa s[14:15], v25, v23 src0_sel:BYTE_0 src1_sel:DWORD
	s_and_saveexec_b64 s[12:13], s[14:15]
	s_cbranch_execz .LBB489_376
; %bb.371:
	s_movk_i32 s11, 0x80
	v_cmp_ne_u16_sdwa s[16:17], v25, s11 src0_sel:BYTE_0 src1_sel:DWORD
	v_bfrev_b32_e32 v26, 1
	s_and_saveexec_b64 s[14:15], s[16:17]
	s_cbranch_execz .LBB489_375
; %bb.372:
	s_movk_i32 s11, 0x7f
	v_and_b32_e32 v31, 0x7f, v25
	v_cmp_ne_u32_e32 vcc, s11, v31
	v_mov_b32_e32 v26, 0x7f800001
	s_and_saveexec_b64 s[16:17], vcc
	s_cbranch_execz .LBB489_374
; %bb.373:
	v_and_b32_e32 v26, 7, v25
	v_ffbh_u32_e32 v26, v26
	v_min_u32_e32 v26, 32, v26
	v_subrev_u32_e32 v33, 28, v26
	v_cmp_gt_u32_e32 vcc, 8, v31
	v_lshrrev_b32_e32 v32, 3, v31
	v_sub_u32_e32 v26, 29, v26
	v_cndmask_b32_e32 v31, 0, v33, vcc
	v_cndmask_b32_e32 v26, v32, v26, vcc
	v_lshlrev_b64 v[32:33], v31, v[22:23]
	v_lshlrev_b32_e32 v23, 20, v32
	v_lshlrev_b32_e32 v31, 24, v22
	v_bfrev_b32_e32 v32, 60
	v_and_b32_e32 v23, 0x700000, v23
	v_and_b32_e32 v31, 0x80000000, v31
	v_lshl_add_u32 v26, v26, 23, v32
	v_or3_b32 v26, v31, v26, v23
.LBB489_374:
	s_or_b64 exec, exec, s[16:17]
.LBB489_375:
	s_or_b64 exec, exec, s[14:15]
	v_mov_b32_e32 v23, v26
.LBB489_376:
	s_or_b64 exec, exec, s[12:13]
	v_lshrrev_b16_e32 v26, 8, v22
	v_cmp_ne_u16_e32 vcc, 0, v26
	v_mov_b32_e32 v31, 0
	v_mov_b32_e32 v32, 0
	s_and_saveexec_b64 s[12:13], vcc
	s_cbranch_execz .LBB489_382
; %bb.377:
	s_movk_i32 s11, 0x80
	v_cmp_ne_u16_e32 vcc, s11, v26
	v_bfrev_b32_e32 v32, 1
	s_and_saveexec_b64 s[14:15], vcc
	s_cbranch_execz .LBB489_381
; %bb.378:
	s_movk_i32 s11, 0x7f
	v_and_b32_e32 v33, 0x7f, v26
	v_cmp_ne_u32_e32 vcc, s11, v33
	v_mov_b32_e32 v32, 0x7f800001
	s_and_saveexec_b64 s[16:17], vcc
	s_cbranch_execz .LBB489_380
; %bb.379:
	v_and_b32_e32 v32, 7, v26
	v_ffbh_u32_e32 v34, v32
	v_min_u32_e32 v37, 32, v34
	v_subrev_u32_e32 v34, 28, v37
	v_lshlrev_b64 v[34:35], v34, v[26:27]
	v_lshrrev_b32_e32 v36, 3, v33
	v_sub_u32_e32 v26, 29, v37
	v_and_b32_e32 v34, 7, v34
	v_cmp_gt_u32_e32 vcc, 8, v33
	v_cndmask_b32_e32 v26, v36, v26, vcc
	v_cndmask_b32_e32 v32, v32, v34, vcc
	v_lshlrev_b32_e32 v22, 16, v22
	v_bfrev_b32_e32 v33, 60
	v_lshlrev_b32_e32 v32, 20, v32
	v_and_b32_e32 v22, 0x80000000, v22
	v_lshl_add_u32 v26, v26, 23, v33
	v_or3_b32 v32, v22, v26, v32
.LBB489_380:
	s_or_b64 exec, exec, s[16:17]
.LBB489_381:
	s_or_b64 exec, exec, s[14:15]
.LBB489_382:
	s_or_b64 exec, exec, s[12:13]
	s_movk_i32 s11, 0xff
	v_and_b32_sdwa v26, v25, s11 dst_sel:DWORD dst_unused:UNUSED_PAD src0_sel:WORD_1 src1_sel:DWORD
	v_lshrrev_b32_e32 v22, 16, v25
	v_cmp_ne_u16_e32 vcc, 0, v26
	s_and_saveexec_b64 s[12:13], vcc
	s_cbranch_execz .LBB489_388
; %bb.383:
	s_movk_i32 s11, 0x80
	v_cmp_ne_u16_e32 vcc, s11, v26
	v_bfrev_b32_e32 v31, 1
	s_and_saveexec_b64 s[14:15], vcc
	s_cbranch_execz .LBB489_387
; %bb.384:
	v_bfe_u32 v26, v25, 16, 7
	s_movk_i32 s11, 0x7f
	v_cmp_ne_u32_e32 vcc, s11, v26
	v_mov_b32_e32 v31, 0x7f800001
	s_and_saveexec_b64 s[16:17], vcc
	s_cbranch_execz .LBB489_386
; %bb.385:
	v_and_b32_e32 v31, 7, v22
	v_ffbh_u32_e32 v34, v31
	v_min_u32_e32 v36, 32, v34
	v_subrev_u32_e32 v34, 28, v36
	v_lshlrev_b64 v[34:35], v34, v[22:23]
	v_and_b32_e32 v34, 7, v34
	v_cmp_gt_u32_e32 vcc, 8, v26
	v_lshrrev_b32_e32 v33, 3, v26
	v_sub_u32_e32 v22, 29, v36
	v_cndmask_b32_e32 v26, v31, v34, vcc
	v_mov_b32_e32 v31, 24
	v_cndmask_b32_e32 v22, v33, v22, vcc
	v_lshlrev_b32_sdwa v31, v31, v25 dst_sel:DWORD dst_unused:UNUSED_PAD src0_sel:DWORD src1_sel:WORD_1
	v_bfrev_b32_e32 v33, 60
	v_lshlrev_b32_e32 v26, 20, v26
	v_and_b32_e32 v31, 0x80000000, v31
	v_lshl_add_u32 v22, v22, 23, v33
	v_or3_b32 v31, v31, v22, v26
.LBB489_386:
	s_or_b64 exec, exec, s[16:17]
.LBB489_387:
	s_or_b64 exec, exec, s[14:15]
.LBB489_388:
	s_or_b64 exec, exec, s[12:13]
	s_mov_b32 s12, -1
	s_mov_b32 s13, 0xffffff
	v_cmp_lt_u64_e32 vcc, s[12:13], v[24:25]
	v_mov_b32_e32 v26, 0
	v_mov_b32_e32 v24, 0
	s_and_saveexec_b64 s[12:13], vcc
	s_cbranch_execz .LBB489_394
; %bb.389:
	v_lshrrev_b32_e32 v22, 24, v25
	s_movk_i32 s11, 0x80
	v_cmp_ne_u32_e32 vcc, s11, v22
	v_bfrev_b32_e32 v24, 1
	s_and_saveexec_b64 s[14:15], vcc
	s_cbranch_execz .LBB489_393
; %bb.390:
	v_bfe_u32 v25, v25, 24, 7
	s_movk_i32 s11, 0x7f
	v_cmp_ne_u32_e32 vcc, s11, v25
	v_mov_b32_e32 v24, 0x7f800001
	s_and_saveexec_b64 s[16:17], vcc
	s_cbranch_execz .LBB489_392
; %bb.391:
	v_and_b32_e32 v24, 7, v22
	v_ffbh_u32_e32 v34, v24
	v_min_u32_e32 v36, 32, v34
	v_subrev_u32_e32 v34, 28, v36
	v_lshlrev_b64 v[34:35], v34, v[22:23]
	v_lshrrev_b32_e32 v33, 3, v25
	v_sub_u32_e32 v35, 29, v36
	v_and_b32_e32 v34, 7, v34
	v_cmp_gt_u32_e32 vcc, 8, v25
	v_cndmask_b32_e32 v25, v33, v35, vcc
	v_cndmask_b32_e32 v24, v24, v34, vcc
	v_lshlrev_b32_e32 v22, 24, v22
	v_bfrev_b32_e32 v33, 60
	v_lshlrev_b32_e32 v24, 20, v24
	v_and_b32_e32 v22, 0x80000000, v22
	v_lshl_add_u32 v25, v25, 23, v33
	v_or3_b32 v24, v22, v25, v24
.LBB489_392:
	s_or_b64 exec, exec, s[16:17]
.LBB489_393:
	s_or_b64 exec, exec, s[14:15]
.LBB489_394:
	s_or_b64 exec, exec, s[12:13]
	v_cvt_pkrtz_f16_f32 v28, v28, v29
	v_cvt_pkrtz_f16_f32 v29, v27, v30
	;; [unrolled: 1-line block ×4, first 2 shown]
	v_mfma_f32_4x4x4f16 a[0:3], v[2:3], v[28:29], a[0:3] cbsz:4 abid:7
	v_cmp_ne_u16_sdwa s[14:15], v18, v26 src0_sel:BYTE_0 src1_sel:DWORD
	v_mfma_f32_4x4x4f16 a[0:3], v[4:5], v[22:23], a[0:3] cbsz:4 abid:7
	s_and_saveexec_b64 s[12:13], s[14:15]
	s_cbranch_execz .LBB489_400
; %bb.395:
	s_movk_i32 s11, 0x80
	v_cmp_ne_u16_sdwa s[16:17], v18, s11 src0_sel:BYTE_0 src1_sel:DWORD
	v_bfrev_b32_e32 v26, 1
	s_and_saveexec_b64 s[14:15], s[16:17]
	s_cbranch_execz .LBB489_399
; %bb.396:
	s_movk_i32 s11, 0x7f
	v_and_b32_e32 v22, 0x7f, v18
	v_cmp_ne_u32_e32 vcc, s11, v22
	v_mov_b32_e32 v26, 0x7f800001
	s_and_saveexec_b64 s[16:17], vcc
	s_cbranch_execz .LBB489_398
; %bb.397:
	v_and_b32_e32 v23, 7, v18
	v_ffbh_u32_e32 v23, v23
	v_min_u32_e32 v23, 32, v23
	v_subrev_u32_e32 v25, 28, v23
	v_cmp_gt_u32_e32 vcc, 8, v22
	v_lshrrev_b32_e32 v24, 3, v22
	v_sub_u32_e32 v23, 29, v23
	v_cndmask_b32_e32 v22, 0, v25, vcc
	v_cndmask_b32_e32 v24, v24, v23, vcc
	v_lshlrev_b64 v[22:23], v22, v[18:19]
	v_lshlrev_b32_e32 v22, 20, v22
	v_lshlrev_b32_e32 v23, 24, v18
	v_bfrev_b32_e32 v25, 60
	v_and_b32_e32 v22, 0x700000, v22
	v_and_b32_e32 v23, 0x80000000, v23
	v_lshl_add_u32 v24, v24, 23, v25
	v_or3_b32 v26, v23, v24, v22
.LBB489_398:
	s_or_b64 exec, exec, s[16:17]
.LBB489_399:
	s_or_b64 exec, exec, s[14:15]
.LBB489_400:
	s_or_b64 exec, exec, s[12:13]
	v_lshrrev_b16_e32 v22, 8, v18
	v_cmp_ne_u16_e32 vcc, 0, v22
	v_mov_b32_e32 v25, 0
	v_mov_b32_e32 v27, 0
	s_and_saveexec_b64 s[12:13], vcc
	s_cbranch_execz .LBB489_406
; %bb.401:
	s_movk_i32 s11, 0x80
	v_cmp_ne_u16_e32 vcc, s11, v22
	v_bfrev_b32_e32 v27, 1
	s_and_saveexec_b64 s[14:15], vcc
	s_cbranch_execz .LBB489_405
; %bb.402:
	s_movk_i32 s11, 0x7f
	v_and_b32_e32 v23, 0x7f, v22
	v_cmp_ne_u32_e32 vcc, s11, v23
	v_mov_b32_e32 v27, 0x7f800001
	s_and_saveexec_b64 s[16:17], vcc
	s_cbranch_execz .LBB489_404
; %bb.403:
	v_and_b32_e32 v24, 7, v22
	v_ffbh_u32_e32 v28, v24
	v_min_u32_e32 v30, 32, v28
	v_subrev_u32_e32 v28, 28, v30
	v_lshlrev_b64 v[28:29], v28, v[22:23]
	v_lshrrev_b32_e32 v27, 3, v23
	v_sub_u32_e32 v22, 29, v30
	v_and_b32_e32 v28, 7, v28
	v_cmp_gt_u32_e32 vcc, 8, v23
	v_cndmask_b32_e32 v22, v27, v22, vcc
	v_cndmask_b32_e32 v23, v24, v28, vcc
	v_lshlrev_b32_e32 v24, 16, v18
	v_bfrev_b32_e32 v27, 60
	v_lshlrev_b32_e32 v23, 20, v23
	v_and_b32_e32 v24, 0x80000000, v24
	v_lshl_add_u32 v22, v22, 23, v27
	v_or3_b32 v27, v24, v22, v23
.LBB489_404:
	s_or_b64 exec, exec, s[16:17]
.LBB489_405:
	s_or_b64 exec, exec, s[14:15]
.LBB489_406:
	s_or_b64 exec, exec, s[12:13]
	s_movk_i32 s11, 0xff
	v_and_b32_sdwa v23, v18, s11 dst_sel:DWORD dst_unused:UNUSED_PAD src0_sel:WORD_1 src1_sel:DWORD
	v_lshrrev_b32_e32 v22, 16, v18
	v_cmp_ne_u16_e32 vcc, 0, v23
	s_and_saveexec_b64 s[12:13], vcc
	s_cbranch_execz .LBB489_412
; %bb.407:
	s_movk_i32 s11, 0x80
	v_cmp_ne_u16_e32 vcc, s11, v23
	v_bfrev_b32_e32 v25, 1
	s_and_saveexec_b64 s[14:15], vcc
	s_cbranch_execz .LBB489_411
; %bb.408:
	v_bfe_u32 v23, v18, 16, 7
	s_movk_i32 s11, 0x7f
	v_cmp_ne_u32_e32 vcc, s11, v23
	v_mov_b32_e32 v25, 0x7f800001
	s_and_saveexec_b64 s[16:17], vcc
	s_cbranch_execz .LBB489_410
; %bb.409:
	v_and_b32_e32 v28, 7, v22
	v_ffbh_u32_e32 v24, v28
	v_min_u32_e32 v30, 32, v24
	v_subrev_u32_e32 v24, 28, v30
	v_lshlrev_b64 v[24:25], v24, v[22:23]
	v_and_b32_e32 v24, 7, v24
	v_cmp_gt_u32_e32 vcc, 8, v23
	v_lshrrev_b32_e32 v29, 3, v23
	v_sub_u32_e32 v22, 29, v30
	v_cndmask_b32_e32 v23, v28, v24, vcc
	v_mov_b32_e32 v24, 24
	v_cndmask_b32_e32 v22, v29, v22, vcc
	v_lshlrev_b32_sdwa v24, v24, v18 dst_sel:DWORD dst_unused:UNUSED_PAD src0_sel:DWORD src1_sel:WORD_1
	v_bfrev_b32_e32 v25, 60
	v_lshlrev_b32_e32 v23, 20, v23
	v_and_b32_e32 v24, 0x80000000, v24
	v_lshl_add_u32 v22, v22, 23, v25
	v_or3_b32 v25, v24, v22, v23
.LBB489_410:
	s_or_b64 exec, exec, s[16:17]
.LBB489_411:
	s_or_b64 exec, exec, s[14:15]
.LBB489_412:
	s_or_b64 exec, exec, s[12:13]
	s_mov_b32 s11, 0xffffff
	v_cmp_lt_u32_e32 vcc, s11, v18
	v_mov_b32_e32 v23, 0
	v_mov_b32_e32 v28, 0
	s_and_saveexec_b64 s[12:13], vcc
	s_cbranch_execz .LBB489_418
; %bb.413:
	v_lshrrev_b32_e32 v22, 24, v18
	s_movk_i32 s11, 0x80
	v_cmp_ne_u32_e32 vcc, s11, v22
	v_bfrev_b32_e32 v28, 1
	s_and_saveexec_b64 s[14:15], vcc
	s_cbranch_execz .LBB489_417
; %bb.414:
	v_bfe_u32 v24, v18, 24, 7
	s_movk_i32 s11, 0x7f
	v_cmp_ne_u32_e32 vcc, s11, v24
	v_mov_b32_e32 v28, 0x7f800001
	s_and_saveexec_b64 s[16:17], vcc
	s_cbranch_execz .LBB489_416
; %bb.415:
	v_and_b32_e32 v30, 7, v22
	v_ffbh_u32_e32 v28, v30
	v_min_u32_e32 v32, 32, v28
	v_subrev_u32_e32 v28, 28, v32
	v_lshlrev_b64 v[28:29], v28, v[22:23]
	v_lshrrev_b32_e32 v31, 3, v24
	v_sub_u32_e32 v29, 29, v32
	v_and_b32_e32 v28, 7, v28
	v_cmp_gt_u32_e32 vcc, 8, v24
	v_cndmask_b32_e32 v24, v31, v29, vcc
	v_cndmask_b32_e32 v28, v30, v28, vcc
	v_lshlrev_b32_e32 v22, 24, v22
	v_bfrev_b32_e32 v29, 60
	v_lshlrev_b32_e32 v28, 20, v28
	v_and_b32_e32 v22, 0x80000000, v22
	v_lshl_add_u32 v24, v24, 23, v29
	v_or3_b32 v28, v22, v24, v28
.LBB489_416:
	s_or_b64 exec, exec, s[16:17]
.LBB489_417:
	s_or_b64 exec, exec, s[14:15]
.LBB489_418:
	s_or_b64 exec, exec, s[12:13]
	v_mov_b32_e32 v22, v19
	v_cmp_ne_u16_sdwa s[14:15], v19, v23 src0_sel:BYTE_0 src1_sel:DWORD
	s_and_saveexec_b64 s[12:13], s[14:15]
	s_cbranch_execz .LBB489_424
; %bb.419:
	s_movk_i32 s11, 0x80
	v_cmp_ne_u16_sdwa s[16:17], v19, s11 src0_sel:BYTE_0 src1_sel:DWORD
	v_bfrev_b32_e32 v24, 1
	s_and_saveexec_b64 s[14:15], s[16:17]
	s_cbranch_execz .LBB489_423
; %bb.420:
	s_movk_i32 s11, 0x7f
	v_and_b32_e32 v29, 0x7f, v19
	v_cmp_ne_u32_e32 vcc, s11, v29
	v_mov_b32_e32 v24, 0x7f800001
	s_and_saveexec_b64 s[16:17], vcc
	s_cbranch_execz .LBB489_422
; %bb.421:
	v_and_b32_e32 v24, 7, v19
	v_ffbh_u32_e32 v24, v24
	v_min_u32_e32 v24, 32, v24
	v_subrev_u32_e32 v31, 28, v24
	v_cmp_gt_u32_e32 vcc, 8, v29
	v_lshrrev_b32_e32 v30, 3, v29
	v_sub_u32_e32 v24, 29, v24
	v_cndmask_b32_e32 v29, 0, v31, vcc
	v_cndmask_b32_e32 v24, v30, v24, vcc
	v_lshlrev_b64 v[30:31], v29, v[22:23]
	v_lshlrev_b32_e32 v23, 20, v30
	v_lshlrev_b32_e32 v29, 24, v22
	v_bfrev_b32_e32 v30, 60
	v_and_b32_e32 v23, 0x700000, v23
	v_and_b32_e32 v29, 0x80000000, v29
	v_lshl_add_u32 v24, v24, 23, v30
	v_or3_b32 v24, v29, v24, v23
.LBB489_422:
	s_or_b64 exec, exec, s[16:17]
.LBB489_423:
	s_or_b64 exec, exec, s[14:15]
	v_mov_b32_e32 v23, v24
.LBB489_424:
	s_or_b64 exec, exec, s[12:13]
	v_lshrrev_b16_e32 v24, 8, v22
	v_cmp_ne_u16_e32 vcc, 0, v24
	v_mov_b32_e32 v29, 0
	v_mov_b32_e32 v30, 0
	s_and_saveexec_b64 s[12:13], vcc
	s_cbranch_execz .LBB489_430
; %bb.425:
	s_movk_i32 s11, 0x80
	v_cmp_ne_u16_e32 vcc, s11, v24
	v_bfrev_b32_e32 v30, 1
	s_and_saveexec_b64 s[14:15], vcc
	s_cbranch_execz .LBB489_429
; %bb.426:
	s_movk_i32 s11, 0x7f
	v_and_b32_e32 v31, 0x7f, v24
	v_cmp_ne_u32_e32 vcc, s11, v31
	v_mov_b32_e32 v30, 0x7f800001
	s_and_saveexec_b64 s[16:17], vcc
	s_cbranch_execz .LBB489_428
; %bb.427:
	v_and_b32_e32 v30, 7, v24
	v_ffbh_u32_e32 v32, v30
	v_min_u32_e32 v35, 32, v32
	v_subrev_u32_e32 v32, 28, v35
	v_lshlrev_b64 v[32:33], v32, v[24:25]
	v_lshrrev_b32_e32 v34, 3, v31
	v_sub_u32_e32 v24, 29, v35
	v_and_b32_e32 v32, 7, v32
	v_cmp_gt_u32_e32 vcc, 8, v31
	v_cndmask_b32_e32 v24, v34, v24, vcc
	v_cndmask_b32_e32 v30, v30, v32, vcc
	v_lshlrev_b32_e32 v22, 16, v22
	v_bfrev_b32_e32 v31, 60
	v_lshlrev_b32_e32 v30, 20, v30
	v_and_b32_e32 v22, 0x80000000, v22
	v_lshl_add_u32 v24, v24, 23, v31
	v_or3_b32 v30, v22, v24, v30
.LBB489_428:
	s_or_b64 exec, exec, s[16:17]
.LBB489_429:
	s_or_b64 exec, exec, s[14:15]
.LBB489_430:
	s_or_b64 exec, exec, s[12:13]
	s_movk_i32 s11, 0xff
	v_and_b32_sdwa v24, v19, s11 dst_sel:DWORD dst_unused:UNUSED_PAD src0_sel:WORD_1 src1_sel:DWORD
	v_lshrrev_b32_e32 v22, 16, v19
	v_cmp_ne_u16_e32 vcc, 0, v24
	s_and_saveexec_b64 s[12:13], vcc
	s_cbranch_execz .LBB489_436
; %bb.431:
	s_movk_i32 s11, 0x80
	v_cmp_ne_u16_e32 vcc, s11, v24
	v_bfrev_b32_e32 v29, 1
	s_and_saveexec_b64 s[14:15], vcc
	s_cbranch_execz .LBB489_435
; %bb.432:
	v_bfe_u32 v24, v19, 16, 7
	s_movk_i32 s11, 0x7f
	v_cmp_ne_u32_e32 vcc, s11, v24
	v_mov_b32_e32 v29, 0x7f800001
	s_and_saveexec_b64 s[16:17], vcc
	s_cbranch_execz .LBB489_434
; %bb.433:
	v_and_b32_e32 v29, 7, v22
	v_ffbh_u32_e32 v32, v29
	v_min_u32_e32 v34, 32, v32
	v_subrev_u32_e32 v32, 28, v34
	v_lshlrev_b64 v[32:33], v32, v[22:23]
	v_and_b32_e32 v32, 7, v32
	v_cmp_gt_u32_e32 vcc, 8, v24
	v_lshrrev_b32_e32 v31, 3, v24
	v_sub_u32_e32 v22, 29, v34
	v_cndmask_b32_e32 v24, v29, v32, vcc
	v_mov_b32_e32 v29, 24
	v_cndmask_b32_e32 v22, v31, v22, vcc
	v_lshlrev_b32_sdwa v29, v29, v19 dst_sel:DWORD dst_unused:UNUSED_PAD src0_sel:DWORD src1_sel:WORD_1
	v_bfrev_b32_e32 v31, 60
	v_lshlrev_b32_e32 v24, 20, v24
	v_and_b32_e32 v29, 0x80000000, v29
	v_lshl_add_u32 v22, v22, 23, v31
	v_or3_b32 v29, v29, v22, v24
.LBB489_434:
	s_or_b64 exec, exec, s[16:17]
.LBB489_435:
	s_or_b64 exec, exec, s[14:15]
.LBB489_436:
	s_or_b64 exec, exec, s[12:13]
	s_mov_b32 s12, -1
	s_mov_b32 s13, 0xffffff
	v_cmp_lt_u64_e32 vcc, s[12:13], v[18:19]
	v_mov_b32_e32 v24, 0
	v_mov_b32_e32 v22, 0
	s_and_saveexec_b64 s[12:13], vcc
	s_cbranch_execz .LBB489_442
; %bb.437:
	v_lshrrev_b32_e32 v18, 24, v19
	s_movk_i32 s11, 0x80
	v_cmp_ne_u32_e32 vcc, s11, v18
	v_bfrev_b32_e32 v22, 1
	s_and_saveexec_b64 s[14:15], vcc
	s_cbranch_execz .LBB489_441
; %bb.438:
	v_bfe_u32 v19, v19, 24, 7
	s_movk_i32 s11, 0x7f
	v_cmp_ne_u32_e32 vcc, s11, v19
	v_mov_b32_e32 v22, 0x7f800001
	s_and_saveexec_b64 s[16:17], vcc
	s_cbranch_execz .LBB489_440
; %bb.439:
	v_and_b32_e32 v22, 7, v18
	v_ffbh_u32_e32 v32, v22
	v_min_u32_e32 v34, 32, v32
	v_subrev_u32_e32 v32, 28, v34
	v_lshlrev_b64 v[32:33], v32, v[18:19]
	v_lshrrev_b32_e32 v31, 3, v19
	v_sub_u32_e32 v33, 29, v34
	v_and_b32_e32 v32, 7, v32
	v_cmp_gt_u32_e32 vcc, 8, v19
	v_cndmask_b32_e32 v19, v31, v33, vcc
	v_cndmask_b32_e32 v22, v22, v32, vcc
	v_lshlrev_b32_e32 v18, 24, v18
	v_bfrev_b32_e32 v31, 60
	v_lshlrev_b32_e32 v22, 20, v22
	v_and_b32_e32 v18, 0x80000000, v18
	v_lshl_add_u32 v19, v19, 23, v31
	v_or3_b32 v22, v18, v19, v22
.LBB489_440:
	s_or_b64 exec, exec, s[16:17]
.LBB489_441:
	s_or_b64 exec, exec, s[14:15]
.LBB489_442:
	s_or_b64 exec, exec, s[12:13]
	v_cvt_pkrtz_f16_f32 v18, v26, v27
	v_cvt_pkrtz_f16_f32 v19, v25, v28
	;; [unrolled: 1-line block ×4, first 2 shown]
	v_mfma_f32_4x4x4f16 a[0:3], v[2:3], v[18:19], a[0:3] cbsz:4 abid:8
	v_cmp_ne_u16_sdwa s[14:15], v20, v24 src0_sel:BYTE_0 src1_sel:DWORD
	v_mfma_f32_4x4x4f16 a[0:3], v[4:5], v[26:27], a[0:3] cbsz:4 abid:8
	s_and_saveexec_b64 s[12:13], s[14:15]
	s_cbranch_execz .LBB489_448
; %bb.443:
	s_movk_i32 s11, 0x80
	v_cmp_ne_u16_sdwa s[16:17], v20, s11 src0_sel:BYTE_0 src1_sel:DWORD
	v_bfrev_b32_e32 v24, 1
	s_and_saveexec_b64 s[14:15], s[16:17]
	s_cbranch_execz .LBB489_447
; %bb.444:
	s_movk_i32 s11, 0x7f
	v_and_b32_e32 v18, 0x7f, v20
	v_cmp_ne_u32_e32 vcc, s11, v18
	v_mov_b32_e32 v24, 0x7f800001
	s_and_saveexec_b64 s[16:17], vcc
	s_cbranch_execz .LBB489_446
; %bb.445:
	v_and_b32_e32 v19, 7, v20
	v_ffbh_u32_e32 v19, v19
	v_min_u32_e32 v19, 32, v19
	v_subrev_u32_e32 v23, 28, v19
	v_cmp_gt_u32_e32 vcc, 8, v18
	v_lshrrev_b32_e32 v22, 3, v18
	v_sub_u32_e32 v19, 29, v19
	v_cndmask_b32_e32 v18, 0, v23, vcc
	v_cndmask_b32_e32 v22, v22, v19, vcc
	v_lshlrev_b64 v[18:19], v18, v[20:21]
	v_lshlrev_b32_e32 v18, 20, v18
	v_lshlrev_b32_e32 v19, 24, v20
	v_bfrev_b32_e32 v23, 60
	v_and_b32_e32 v18, 0x700000, v18
	v_and_b32_e32 v19, 0x80000000, v19
	v_lshl_add_u32 v22, v22, 23, v23
	v_or3_b32 v24, v19, v22, v18
.LBB489_446:
	s_or_b64 exec, exec, s[16:17]
.LBB489_447:
	s_or_b64 exec, exec, s[14:15]
.LBB489_448:
	s_or_b64 exec, exec, s[12:13]
	v_lshrrev_b16_e32 v18, 8, v20
	v_cmp_ne_u16_e32 vcc, 0, v18
	v_mov_b32_e32 v23, 0
	v_mov_b32_e32 v25, 0
	s_and_saveexec_b64 s[12:13], vcc
	s_cbranch_execz .LBB489_454
; %bb.449:
	s_movk_i32 s11, 0x80
	v_cmp_ne_u16_e32 vcc, s11, v18
	v_bfrev_b32_e32 v25, 1
	s_and_saveexec_b64 s[14:15], vcc
	s_cbranch_execz .LBB489_453
; %bb.450:
	s_movk_i32 s11, 0x7f
	v_and_b32_e32 v19, 0x7f, v18
	v_cmp_ne_u32_e32 vcc, s11, v19
	v_mov_b32_e32 v25, 0x7f800001
	s_and_saveexec_b64 s[16:17], vcc
	s_cbranch_execz .LBB489_452
; %bb.451:
	v_and_b32_e32 v22, 7, v18
	v_ffbh_u32_e32 v26, v22
	v_min_u32_e32 v28, 32, v26
	v_subrev_u32_e32 v26, 28, v28
	v_lshlrev_b64 v[26:27], v26, v[18:19]
	v_lshrrev_b32_e32 v25, 3, v19
	v_sub_u32_e32 v18, 29, v28
	v_and_b32_e32 v26, 7, v26
	v_cmp_gt_u32_e32 vcc, 8, v19
	v_cndmask_b32_e32 v18, v25, v18, vcc
	v_cndmask_b32_e32 v19, v22, v26, vcc
	v_lshlrev_b32_e32 v22, 16, v20
	v_bfrev_b32_e32 v25, 60
	v_lshlrev_b32_e32 v19, 20, v19
	v_and_b32_e32 v22, 0x80000000, v22
	v_lshl_add_u32 v18, v18, 23, v25
	v_or3_b32 v25, v22, v18, v19
.LBB489_452:
	s_or_b64 exec, exec, s[16:17]
.LBB489_453:
	s_or_b64 exec, exec, s[14:15]
.LBB489_454:
	s_or_b64 exec, exec, s[12:13]
	s_movk_i32 s11, 0xff
	v_and_b32_sdwa v19, v20, s11 dst_sel:DWORD dst_unused:UNUSED_PAD src0_sel:WORD_1 src1_sel:DWORD
	v_lshrrev_b32_e32 v18, 16, v20
	v_cmp_ne_u16_e32 vcc, 0, v19
	s_and_saveexec_b64 s[12:13], vcc
	s_cbranch_execz .LBB489_460
; %bb.455:
	s_movk_i32 s11, 0x80
	v_cmp_ne_u16_e32 vcc, s11, v19
	v_bfrev_b32_e32 v23, 1
	s_and_saveexec_b64 s[14:15], vcc
	s_cbranch_execz .LBB489_459
; %bb.456:
	v_bfe_u32 v19, v20, 16, 7
	s_movk_i32 s11, 0x7f
	v_cmp_ne_u32_e32 vcc, s11, v19
	v_mov_b32_e32 v23, 0x7f800001
	s_and_saveexec_b64 s[16:17], vcc
	s_cbranch_execz .LBB489_458
; %bb.457:
	v_and_b32_e32 v26, 7, v18
	v_ffbh_u32_e32 v22, v26
	v_min_u32_e32 v28, 32, v22
	v_subrev_u32_e32 v22, 28, v28
	v_lshlrev_b64 v[22:23], v22, v[18:19]
	v_and_b32_e32 v22, 7, v22
	v_cmp_gt_u32_e32 vcc, 8, v19
	v_lshrrev_b32_e32 v27, 3, v19
	v_sub_u32_e32 v18, 29, v28
	v_cndmask_b32_e32 v19, v26, v22, vcc
	v_mov_b32_e32 v22, 24
	v_cndmask_b32_e32 v18, v27, v18, vcc
	v_lshlrev_b32_sdwa v22, v22, v20 dst_sel:DWORD dst_unused:UNUSED_PAD src0_sel:DWORD src1_sel:WORD_1
	v_bfrev_b32_e32 v23, 60
	v_lshlrev_b32_e32 v19, 20, v19
	v_and_b32_e32 v22, 0x80000000, v22
	v_lshl_add_u32 v18, v18, 23, v23
	v_or3_b32 v23, v22, v18, v19
.LBB489_458:
	s_or_b64 exec, exec, s[16:17]
.LBB489_459:
	s_or_b64 exec, exec, s[14:15]
.LBB489_460:
	s_or_b64 exec, exec, s[12:13]
	s_mov_b32 s11, 0xffffff
	v_cmp_lt_u32_e32 vcc, s11, v20
	v_mov_b32_e32 v19, 0
	v_mov_b32_e32 v26, 0
	s_and_saveexec_b64 s[12:13], vcc
	s_cbranch_execz .LBB489_466
; %bb.461:
	v_lshrrev_b32_e32 v18, 24, v20
	s_movk_i32 s11, 0x80
	v_cmp_ne_u32_e32 vcc, s11, v18
	v_bfrev_b32_e32 v26, 1
	s_and_saveexec_b64 s[14:15], vcc
	s_cbranch_execz .LBB489_465
; %bb.462:
	v_bfe_u32 v22, v20, 24, 7
	s_movk_i32 s11, 0x7f
	v_cmp_ne_u32_e32 vcc, s11, v22
	v_mov_b32_e32 v26, 0x7f800001
	s_and_saveexec_b64 s[16:17], vcc
	s_cbranch_execz .LBB489_464
; %bb.463:
	v_and_b32_e32 v28, 7, v18
	v_ffbh_u32_e32 v26, v28
	v_min_u32_e32 v30, 32, v26
	v_subrev_u32_e32 v26, 28, v30
	v_lshlrev_b64 v[26:27], v26, v[18:19]
	v_lshrrev_b32_e32 v29, 3, v22
	v_sub_u32_e32 v27, 29, v30
	v_and_b32_e32 v26, 7, v26
	v_cmp_gt_u32_e32 vcc, 8, v22
	v_cndmask_b32_e32 v22, v29, v27, vcc
	v_cndmask_b32_e32 v26, v28, v26, vcc
	v_lshlrev_b32_e32 v18, 24, v18
	v_bfrev_b32_e32 v27, 60
	v_lshlrev_b32_e32 v26, 20, v26
	v_and_b32_e32 v18, 0x80000000, v18
	v_lshl_add_u32 v22, v22, 23, v27
	v_or3_b32 v26, v18, v22, v26
.LBB489_464:
	s_or_b64 exec, exec, s[16:17]
.LBB489_465:
	s_or_b64 exec, exec, s[14:15]
.LBB489_466:
	s_or_b64 exec, exec, s[12:13]
	v_mov_b32_e32 v18, v21
	v_cmp_ne_u16_sdwa s[14:15], v21, v19 src0_sel:BYTE_0 src1_sel:DWORD
	s_and_saveexec_b64 s[12:13], s[14:15]
	s_cbranch_execz .LBB489_472
; %bb.467:
	s_movk_i32 s11, 0x80
	v_cmp_ne_u16_sdwa s[16:17], v21, s11 src0_sel:BYTE_0 src1_sel:DWORD
	v_bfrev_b32_e32 v22, 1
	s_and_saveexec_b64 s[14:15], s[16:17]
	s_cbranch_execz .LBB489_471
; %bb.468:
	s_movk_i32 s11, 0x7f
	v_and_b32_e32 v27, 0x7f, v21
	v_cmp_ne_u32_e32 vcc, s11, v27
	v_mov_b32_e32 v22, 0x7f800001
	s_and_saveexec_b64 s[16:17], vcc
	s_cbranch_execz .LBB489_470
; %bb.469:
	v_and_b32_e32 v22, 7, v21
	v_ffbh_u32_e32 v22, v22
	v_min_u32_e32 v22, 32, v22
	v_subrev_u32_e32 v29, 28, v22
	v_cmp_gt_u32_e32 vcc, 8, v27
	v_lshrrev_b32_e32 v28, 3, v27
	v_sub_u32_e32 v22, 29, v22
	v_cndmask_b32_e32 v27, 0, v29, vcc
	v_cndmask_b32_e32 v22, v28, v22, vcc
	v_lshlrev_b64 v[28:29], v27, v[18:19]
	v_lshlrev_b32_e32 v19, 20, v28
	v_lshlrev_b32_e32 v27, 24, v18
	v_bfrev_b32_e32 v28, 60
	v_and_b32_e32 v19, 0x700000, v19
	v_and_b32_e32 v27, 0x80000000, v27
	v_lshl_add_u32 v22, v22, 23, v28
	v_or3_b32 v22, v27, v22, v19
.LBB489_470:
	s_or_b64 exec, exec, s[16:17]
.LBB489_471:
	s_or_b64 exec, exec, s[14:15]
	v_mov_b32_e32 v19, v22
.LBB489_472:
	s_or_b64 exec, exec, s[12:13]
	v_lshrrev_b16_e32 v22, 8, v18
	v_cmp_ne_u16_e32 vcc, 0, v22
	v_mov_b32_e32 v27, 0
	v_mov_b32_e32 v28, 0
	s_and_saveexec_b64 s[12:13], vcc
	s_cbranch_execz .LBB489_478
; %bb.473:
	s_movk_i32 s11, 0x80
	v_cmp_ne_u16_e32 vcc, s11, v22
	v_bfrev_b32_e32 v28, 1
	s_and_saveexec_b64 s[14:15], vcc
	s_cbranch_execz .LBB489_477
; %bb.474:
	s_movk_i32 s11, 0x7f
	v_and_b32_e32 v29, 0x7f, v22
	v_cmp_ne_u32_e32 vcc, s11, v29
	v_mov_b32_e32 v28, 0x7f800001
	s_and_saveexec_b64 s[16:17], vcc
	s_cbranch_execz .LBB489_476
; %bb.475:
	v_and_b32_e32 v28, 7, v22
	v_ffbh_u32_e32 v30, v28
	v_min_u32_e32 v33, 32, v30
	v_subrev_u32_e32 v30, 28, v33
	v_lshlrev_b64 v[30:31], v30, v[22:23]
	v_lshrrev_b32_e32 v32, 3, v29
	v_sub_u32_e32 v22, 29, v33
	v_and_b32_e32 v30, 7, v30
	v_cmp_gt_u32_e32 vcc, 8, v29
	v_cndmask_b32_e32 v22, v32, v22, vcc
	v_cndmask_b32_e32 v28, v28, v30, vcc
	v_lshlrev_b32_e32 v18, 16, v18
	v_bfrev_b32_e32 v29, 60
	v_lshlrev_b32_e32 v28, 20, v28
	v_and_b32_e32 v18, 0x80000000, v18
	v_lshl_add_u32 v22, v22, 23, v29
	v_or3_b32 v28, v18, v22, v28
.LBB489_476:
	s_or_b64 exec, exec, s[16:17]
.LBB489_477:
	s_or_b64 exec, exec, s[14:15]
.LBB489_478:
	s_or_b64 exec, exec, s[12:13]
	s_movk_i32 s11, 0xff
	v_and_b32_sdwa v22, v21, s11 dst_sel:DWORD dst_unused:UNUSED_PAD src0_sel:WORD_1 src1_sel:DWORD
	v_lshrrev_b32_e32 v18, 16, v21
	v_cmp_ne_u16_e32 vcc, 0, v22
	s_and_saveexec_b64 s[12:13], vcc
	s_cbranch_execz .LBB489_484
; %bb.479:
	s_movk_i32 s11, 0x80
	v_cmp_ne_u16_e32 vcc, s11, v22
	v_bfrev_b32_e32 v27, 1
	s_and_saveexec_b64 s[14:15], vcc
	s_cbranch_execz .LBB489_483
; %bb.480:
	v_bfe_u32 v22, v21, 16, 7
	s_movk_i32 s11, 0x7f
	v_cmp_ne_u32_e32 vcc, s11, v22
	v_mov_b32_e32 v27, 0x7f800001
	s_and_saveexec_b64 s[16:17], vcc
	s_cbranch_execz .LBB489_482
; %bb.481:
	v_and_b32_e32 v27, 7, v18
	v_ffbh_u32_e32 v30, v27
	v_min_u32_e32 v32, 32, v30
	v_subrev_u32_e32 v30, 28, v32
	v_lshlrev_b64 v[30:31], v30, v[18:19]
	v_and_b32_e32 v30, 7, v30
	v_cmp_gt_u32_e32 vcc, 8, v22
	v_lshrrev_b32_e32 v29, 3, v22
	v_sub_u32_e32 v18, 29, v32
	v_cndmask_b32_e32 v22, v27, v30, vcc
	v_mov_b32_e32 v27, 24
	v_cndmask_b32_e32 v18, v29, v18, vcc
	v_lshlrev_b32_sdwa v27, v27, v21 dst_sel:DWORD dst_unused:UNUSED_PAD src0_sel:DWORD src1_sel:WORD_1
	v_bfrev_b32_e32 v29, 60
	v_lshlrev_b32_e32 v22, 20, v22
	v_and_b32_e32 v27, 0x80000000, v27
	v_lshl_add_u32 v18, v18, 23, v29
	v_or3_b32 v27, v27, v18, v22
.LBB489_482:
	s_or_b64 exec, exec, s[16:17]
.LBB489_483:
	s_or_b64 exec, exec, s[14:15]
.LBB489_484:
	s_or_b64 exec, exec, s[12:13]
	s_mov_b32 s12, -1
	s_mov_b32 s13, 0xffffff
	v_cmp_lt_u64_e32 vcc, s[12:13], v[20:21]
	v_mov_b32_e32 v22, 0
	v_mov_b32_e32 v20, 0
	s_and_saveexec_b64 s[12:13], vcc
	s_cbranch_execz .LBB489_490
; %bb.485:
	v_lshrrev_b32_e32 v18, 24, v21
	s_movk_i32 s11, 0x80
	v_cmp_ne_u32_e32 vcc, s11, v18
	v_bfrev_b32_e32 v20, 1
	s_and_saveexec_b64 s[14:15], vcc
	s_cbranch_execz .LBB489_489
; %bb.486:
	v_bfe_u32 v21, v21, 24, 7
	s_movk_i32 s11, 0x7f
	v_cmp_ne_u32_e32 vcc, s11, v21
	v_mov_b32_e32 v20, 0x7f800001
	s_and_saveexec_b64 s[16:17], vcc
	s_cbranch_execz .LBB489_488
; %bb.487:
	v_and_b32_e32 v20, 7, v18
	v_ffbh_u32_e32 v30, v20
	v_min_u32_e32 v32, 32, v30
	v_subrev_u32_e32 v30, 28, v32
	v_lshlrev_b64 v[30:31], v30, v[18:19]
	v_lshrrev_b32_e32 v29, 3, v21
	v_sub_u32_e32 v31, 29, v32
	v_and_b32_e32 v30, 7, v30
	v_cmp_gt_u32_e32 vcc, 8, v21
	v_cndmask_b32_e32 v21, v29, v31, vcc
	v_cndmask_b32_e32 v20, v20, v30, vcc
	v_lshlrev_b32_e32 v18, 24, v18
	v_bfrev_b32_e32 v29, 60
	v_lshlrev_b32_e32 v20, 20, v20
	v_and_b32_e32 v18, 0x80000000, v18
	v_lshl_add_u32 v21, v21, 23, v29
	v_or3_b32 v20, v18, v21, v20
.LBB489_488:
	s_or_b64 exec, exec, s[16:17]
.LBB489_489:
	s_or_b64 exec, exec, s[14:15]
.LBB489_490:
	s_or_b64 exec, exec, s[12:13]
	v_cvt_pkrtz_f16_f32 v24, v24, v25
	v_cvt_pkrtz_f16_f32 v25, v23, v26
	v_cvt_pkrtz_f16_f32 v18, v19, v28
	v_cvt_pkrtz_f16_f32 v19, v27, v20
	v_mfma_f32_4x4x4f16 a[0:3], v[2:3], v[24:25], a[0:3] cbsz:4 abid:9
	v_cmp_ne_u16_sdwa s[14:15], v14, v22 src0_sel:BYTE_0 src1_sel:DWORD
	v_mfma_f32_4x4x4f16 a[0:3], v[4:5], v[18:19], a[0:3] cbsz:4 abid:9
	s_and_saveexec_b64 s[12:13], s[14:15]
	s_cbranch_execz .LBB489_496
; %bb.491:
	s_movk_i32 s11, 0x80
	v_cmp_ne_u16_sdwa s[16:17], v14, s11 src0_sel:BYTE_0 src1_sel:DWORD
	v_bfrev_b32_e32 v22, 1
	s_and_saveexec_b64 s[14:15], s[16:17]
	s_cbranch_execz .LBB489_495
; %bb.492:
	s_movk_i32 s11, 0x7f
	v_and_b32_e32 v18, 0x7f, v14
	v_cmp_ne_u32_e32 vcc, s11, v18
	v_mov_b32_e32 v22, 0x7f800001
	s_and_saveexec_b64 s[16:17], vcc
	s_cbranch_execz .LBB489_494
; %bb.493:
	v_and_b32_e32 v19, 7, v14
	v_ffbh_u32_e32 v19, v19
	v_min_u32_e32 v19, 32, v19
	v_subrev_u32_e32 v21, 28, v19
	v_cmp_gt_u32_e32 vcc, 8, v18
	v_lshrrev_b32_e32 v20, 3, v18
	v_sub_u32_e32 v19, 29, v19
	v_cndmask_b32_e32 v18, 0, v21, vcc
	v_cndmask_b32_e32 v20, v20, v19, vcc
	v_lshlrev_b64 v[18:19], v18, v[14:15]
	v_lshlrev_b32_e32 v18, 20, v18
	v_lshlrev_b32_e32 v19, 24, v14
	v_bfrev_b32_e32 v21, 60
	v_and_b32_e32 v18, 0x700000, v18
	v_and_b32_e32 v19, 0x80000000, v19
	v_lshl_add_u32 v20, v20, 23, v21
	v_or3_b32 v22, v19, v20, v18
.LBB489_494:
	s_or_b64 exec, exec, s[16:17]
.LBB489_495:
	s_or_b64 exec, exec, s[14:15]
.LBB489_496:
	s_or_b64 exec, exec, s[12:13]
	v_lshrrev_b16_e32 v18, 8, v14
	v_cmp_ne_u16_e32 vcc, 0, v18
	v_mov_b32_e32 v21, 0
	v_mov_b32_e32 v23, 0
	s_and_saveexec_b64 s[12:13], vcc
	s_cbranch_execz .LBB489_502
; %bb.497:
	s_movk_i32 s11, 0x80
	v_cmp_ne_u16_e32 vcc, s11, v18
	v_bfrev_b32_e32 v23, 1
	s_and_saveexec_b64 s[14:15], vcc
	s_cbranch_execz .LBB489_501
; %bb.498:
	s_movk_i32 s11, 0x7f
	v_and_b32_e32 v19, 0x7f, v18
	v_cmp_ne_u32_e32 vcc, s11, v19
	v_mov_b32_e32 v23, 0x7f800001
	s_and_saveexec_b64 s[16:17], vcc
	s_cbranch_execz .LBB489_500
; %bb.499:
	v_and_b32_e32 v20, 7, v18
	v_ffbh_u32_e32 v24, v20
	v_min_u32_e32 v26, 32, v24
	v_subrev_u32_e32 v24, 28, v26
	v_lshlrev_b64 v[24:25], v24, v[18:19]
	v_lshrrev_b32_e32 v23, 3, v19
	v_sub_u32_e32 v18, 29, v26
	v_and_b32_e32 v24, 7, v24
	v_cmp_gt_u32_e32 vcc, 8, v19
	v_cndmask_b32_e32 v18, v23, v18, vcc
	v_cndmask_b32_e32 v19, v20, v24, vcc
	v_lshlrev_b32_e32 v20, 16, v14
	v_bfrev_b32_e32 v23, 60
	v_lshlrev_b32_e32 v19, 20, v19
	v_and_b32_e32 v20, 0x80000000, v20
	v_lshl_add_u32 v18, v18, 23, v23
	v_or3_b32 v23, v20, v18, v19
.LBB489_500:
	s_or_b64 exec, exec, s[16:17]
.LBB489_501:
	s_or_b64 exec, exec, s[14:15]
.LBB489_502:
	s_or_b64 exec, exec, s[12:13]
	s_movk_i32 s11, 0xff
	v_and_b32_sdwa v19, v14, s11 dst_sel:DWORD dst_unused:UNUSED_PAD src0_sel:WORD_1 src1_sel:DWORD
	v_lshrrev_b32_e32 v18, 16, v14
	v_cmp_ne_u16_e32 vcc, 0, v19
	s_and_saveexec_b64 s[12:13], vcc
	s_cbranch_execz .LBB489_508
; %bb.503:
	s_movk_i32 s11, 0x80
	v_cmp_ne_u16_e32 vcc, s11, v19
	v_bfrev_b32_e32 v21, 1
	s_and_saveexec_b64 s[14:15], vcc
	s_cbranch_execz .LBB489_507
; %bb.504:
	v_bfe_u32 v19, v14, 16, 7
	s_movk_i32 s11, 0x7f
	v_cmp_ne_u32_e32 vcc, s11, v19
	v_mov_b32_e32 v21, 0x7f800001
	s_and_saveexec_b64 s[16:17], vcc
	s_cbranch_execz .LBB489_506
; %bb.505:
	v_and_b32_e32 v24, 7, v18
	v_ffbh_u32_e32 v20, v24
	v_min_u32_e32 v26, 32, v20
	v_subrev_u32_e32 v20, 28, v26
	v_lshlrev_b64 v[20:21], v20, v[18:19]
	v_and_b32_e32 v20, 7, v20
	v_cmp_gt_u32_e32 vcc, 8, v19
	v_lshrrev_b32_e32 v25, 3, v19
	v_sub_u32_e32 v18, 29, v26
	v_cndmask_b32_e32 v19, v24, v20, vcc
	v_mov_b32_e32 v20, 24
	v_cndmask_b32_e32 v18, v25, v18, vcc
	v_lshlrev_b32_sdwa v20, v20, v14 dst_sel:DWORD dst_unused:UNUSED_PAD src0_sel:DWORD src1_sel:WORD_1
	v_bfrev_b32_e32 v21, 60
	v_lshlrev_b32_e32 v19, 20, v19
	v_and_b32_e32 v20, 0x80000000, v20
	v_lshl_add_u32 v18, v18, 23, v21
	v_or3_b32 v21, v20, v18, v19
.LBB489_506:
	s_or_b64 exec, exec, s[16:17]
.LBB489_507:
	s_or_b64 exec, exec, s[14:15]
.LBB489_508:
	s_or_b64 exec, exec, s[12:13]
	s_mov_b32 s11, 0xffffff
	v_cmp_lt_u32_e32 vcc, s11, v14
	v_mov_b32_e32 v19, 0
	v_mov_b32_e32 v24, 0
	s_and_saveexec_b64 s[12:13], vcc
	s_cbranch_execz .LBB489_514
; %bb.509:
	v_lshrrev_b32_e32 v18, 24, v14
	s_movk_i32 s11, 0x80
	v_cmp_ne_u32_e32 vcc, s11, v18
	v_bfrev_b32_e32 v24, 1
	s_and_saveexec_b64 s[14:15], vcc
	s_cbranch_execz .LBB489_513
; %bb.510:
	v_bfe_u32 v20, v14, 24, 7
	s_movk_i32 s11, 0x7f
	v_cmp_ne_u32_e32 vcc, s11, v20
	v_mov_b32_e32 v24, 0x7f800001
	s_and_saveexec_b64 s[16:17], vcc
	s_cbranch_execz .LBB489_512
; %bb.511:
	v_and_b32_e32 v26, 7, v18
	v_ffbh_u32_e32 v24, v26
	v_min_u32_e32 v28, 32, v24
	v_subrev_u32_e32 v24, 28, v28
	v_lshlrev_b64 v[24:25], v24, v[18:19]
	v_lshrrev_b32_e32 v27, 3, v20
	v_sub_u32_e32 v25, 29, v28
	v_and_b32_e32 v24, 7, v24
	v_cmp_gt_u32_e32 vcc, 8, v20
	v_cndmask_b32_e32 v20, v27, v25, vcc
	v_cndmask_b32_e32 v24, v26, v24, vcc
	v_lshlrev_b32_e32 v18, 24, v18
	v_bfrev_b32_e32 v25, 60
	v_lshlrev_b32_e32 v24, 20, v24
	v_and_b32_e32 v18, 0x80000000, v18
	v_lshl_add_u32 v20, v20, 23, v25
	v_or3_b32 v24, v18, v20, v24
.LBB489_512:
	s_or_b64 exec, exec, s[16:17]
.LBB489_513:
	s_or_b64 exec, exec, s[14:15]
.LBB489_514:
	s_or_b64 exec, exec, s[12:13]
	v_mov_b32_e32 v18, v15
	v_cmp_ne_u16_sdwa s[14:15], v15, v19 src0_sel:BYTE_0 src1_sel:DWORD
	s_and_saveexec_b64 s[12:13], s[14:15]
	s_cbranch_execz .LBB489_520
; %bb.515:
	s_movk_i32 s11, 0x80
	v_cmp_ne_u16_sdwa s[16:17], v15, s11 src0_sel:BYTE_0 src1_sel:DWORD
	v_bfrev_b32_e32 v20, 1
	s_and_saveexec_b64 s[14:15], s[16:17]
	s_cbranch_execz .LBB489_519
; %bb.516:
	s_movk_i32 s11, 0x7f
	v_and_b32_e32 v25, 0x7f, v15
	v_cmp_ne_u32_e32 vcc, s11, v25
	v_mov_b32_e32 v20, 0x7f800001
	s_and_saveexec_b64 s[16:17], vcc
	s_cbranch_execz .LBB489_518
; %bb.517:
	v_and_b32_e32 v20, 7, v15
	v_ffbh_u32_e32 v20, v20
	v_min_u32_e32 v20, 32, v20
	v_subrev_u32_e32 v27, 28, v20
	v_cmp_gt_u32_e32 vcc, 8, v25
	v_lshrrev_b32_e32 v26, 3, v25
	v_sub_u32_e32 v20, 29, v20
	v_cndmask_b32_e32 v25, 0, v27, vcc
	v_cndmask_b32_e32 v20, v26, v20, vcc
	v_lshlrev_b64 v[26:27], v25, v[18:19]
	v_lshlrev_b32_e32 v19, 20, v26
	v_lshlrev_b32_e32 v25, 24, v18
	v_bfrev_b32_e32 v26, 60
	v_and_b32_e32 v19, 0x700000, v19
	v_and_b32_e32 v25, 0x80000000, v25
	v_lshl_add_u32 v20, v20, 23, v26
	v_or3_b32 v20, v25, v20, v19
.LBB489_518:
	s_or_b64 exec, exec, s[16:17]
.LBB489_519:
	s_or_b64 exec, exec, s[14:15]
	v_mov_b32_e32 v19, v20
.LBB489_520:
	s_or_b64 exec, exec, s[12:13]
	v_lshrrev_b16_e32 v20, 8, v18
	v_cmp_ne_u16_e32 vcc, 0, v20
	v_mov_b32_e32 v25, 0
	v_mov_b32_e32 v26, 0
	s_and_saveexec_b64 s[12:13], vcc
	s_cbranch_execz .LBB489_526
; %bb.521:
	s_movk_i32 s11, 0x80
	v_cmp_ne_u16_e32 vcc, s11, v20
	v_bfrev_b32_e32 v26, 1
	s_and_saveexec_b64 s[14:15], vcc
	s_cbranch_execz .LBB489_525
; %bb.522:
	s_movk_i32 s11, 0x7f
	v_and_b32_e32 v27, 0x7f, v20
	v_cmp_ne_u32_e32 vcc, s11, v27
	v_mov_b32_e32 v26, 0x7f800001
	s_and_saveexec_b64 s[16:17], vcc
	s_cbranch_execz .LBB489_524
; %bb.523:
	v_and_b32_e32 v26, 7, v20
	v_ffbh_u32_e32 v28, v26
	v_min_u32_e32 v31, 32, v28
	v_subrev_u32_e32 v28, 28, v31
	v_lshlrev_b64 v[28:29], v28, v[20:21]
	v_lshrrev_b32_e32 v30, 3, v27
	v_sub_u32_e32 v20, 29, v31
	v_and_b32_e32 v28, 7, v28
	v_cmp_gt_u32_e32 vcc, 8, v27
	v_cndmask_b32_e32 v20, v30, v20, vcc
	v_cndmask_b32_e32 v26, v26, v28, vcc
	v_lshlrev_b32_e32 v18, 16, v18
	v_bfrev_b32_e32 v27, 60
	v_lshlrev_b32_e32 v26, 20, v26
	v_and_b32_e32 v18, 0x80000000, v18
	v_lshl_add_u32 v20, v20, 23, v27
	v_or3_b32 v26, v18, v20, v26
.LBB489_524:
	s_or_b64 exec, exec, s[16:17]
.LBB489_525:
	s_or_b64 exec, exec, s[14:15]
.LBB489_526:
	s_or_b64 exec, exec, s[12:13]
	s_movk_i32 s11, 0xff
	v_and_b32_sdwa v20, v15, s11 dst_sel:DWORD dst_unused:UNUSED_PAD src0_sel:WORD_1 src1_sel:DWORD
	v_lshrrev_b32_e32 v18, 16, v15
	v_cmp_ne_u16_e32 vcc, 0, v20
	s_and_saveexec_b64 s[12:13], vcc
	s_cbranch_execz .LBB489_532
; %bb.527:
	s_movk_i32 s11, 0x80
	v_cmp_ne_u16_e32 vcc, s11, v20
	v_bfrev_b32_e32 v25, 1
	s_and_saveexec_b64 s[14:15], vcc
	s_cbranch_execz .LBB489_531
; %bb.528:
	v_bfe_u32 v20, v15, 16, 7
	s_movk_i32 s11, 0x7f
	v_cmp_ne_u32_e32 vcc, s11, v20
	v_mov_b32_e32 v25, 0x7f800001
	s_and_saveexec_b64 s[16:17], vcc
	s_cbranch_execz .LBB489_530
; %bb.529:
	v_and_b32_e32 v25, 7, v18
	v_ffbh_u32_e32 v28, v25
	v_min_u32_e32 v30, 32, v28
	v_subrev_u32_e32 v28, 28, v30
	v_lshlrev_b64 v[28:29], v28, v[18:19]
	v_and_b32_e32 v28, 7, v28
	v_cmp_gt_u32_e32 vcc, 8, v20
	v_lshrrev_b32_e32 v27, 3, v20
	v_sub_u32_e32 v18, 29, v30
	v_cndmask_b32_e32 v20, v25, v28, vcc
	v_mov_b32_e32 v25, 24
	v_cndmask_b32_e32 v18, v27, v18, vcc
	v_lshlrev_b32_sdwa v25, v25, v15 dst_sel:DWORD dst_unused:UNUSED_PAD src0_sel:DWORD src1_sel:WORD_1
	v_bfrev_b32_e32 v27, 60
	v_lshlrev_b32_e32 v20, 20, v20
	v_and_b32_e32 v25, 0x80000000, v25
	v_lshl_add_u32 v18, v18, 23, v27
	v_or3_b32 v25, v25, v18, v20
.LBB489_530:
	s_or_b64 exec, exec, s[16:17]
.LBB489_531:
	s_or_b64 exec, exec, s[14:15]
.LBB489_532:
	s_or_b64 exec, exec, s[12:13]
	s_mov_b32 s12, -1
	s_mov_b32 s13, 0xffffff
	v_cmp_lt_u64_e32 vcc, s[12:13], v[14:15]
	v_mov_b32_e32 v20, 0
	v_mov_b32_e32 v18, 0
	s_and_saveexec_b64 s[12:13], vcc
	s_cbranch_execz .LBB489_538
; %bb.533:
	v_lshrrev_b32_e32 v14, 24, v15
	s_movk_i32 s11, 0x80
	v_cmp_ne_u32_e32 vcc, s11, v14
	v_bfrev_b32_e32 v18, 1
	s_and_saveexec_b64 s[14:15], vcc
	s_cbranch_execz .LBB489_537
; %bb.534:
	v_bfe_u32 v15, v15, 24, 7
	s_movk_i32 s11, 0x7f
	v_cmp_ne_u32_e32 vcc, s11, v15
	v_mov_b32_e32 v18, 0x7f800001
	s_and_saveexec_b64 s[16:17], vcc
	s_cbranch_execz .LBB489_536
; %bb.535:
	v_and_b32_e32 v18, 7, v14
	v_ffbh_u32_e32 v28, v18
	v_min_u32_e32 v30, 32, v28
	v_subrev_u32_e32 v28, 28, v30
	v_lshlrev_b64 v[28:29], v28, v[14:15]
	v_lshrrev_b32_e32 v27, 3, v15
	v_sub_u32_e32 v29, 29, v30
	v_and_b32_e32 v28, 7, v28
	v_cmp_gt_u32_e32 vcc, 8, v15
	v_cndmask_b32_e32 v15, v27, v29, vcc
	v_cndmask_b32_e32 v18, v18, v28, vcc
	v_lshlrev_b32_e32 v14, 24, v14
	v_bfrev_b32_e32 v27, 60
	v_lshlrev_b32_e32 v18, 20, v18
	v_and_b32_e32 v14, 0x80000000, v14
	v_lshl_add_u32 v15, v15, 23, v27
	v_or3_b32 v18, v14, v15, v18
.LBB489_536:
	s_or_b64 exec, exec, s[16:17]
.LBB489_537:
	s_or_b64 exec, exec, s[14:15]
.LBB489_538:
	s_or_b64 exec, exec, s[12:13]
	v_cvt_pkrtz_f16_f32 v14, v22, v23
	v_cvt_pkrtz_f16_f32 v15, v21, v24
	;; [unrolled: 1-line block ×4, first 2 shown]
	v_mfma_f32_4x4x4f16 a[0:3], v[2:3], v[14:15], a[0:3] cbsz:4 abid:10
	v_cmp_ne_u16_sdwa s[14:15], v16, v20 src0_sel:BYTE_0 src1_sel:DWORD
	v_mfma_f32_4x4x4f16 a[0:3], v[4:5], v[22:23], a[0:3] cbsz:4 abid:10
	s_and_saveexec_b64 s[12:13], s[14:15]
	s_cbranch_execz .LBB489_544
; %bb.539:
	s_movk_i32 s11, 0x80
	v_cmp_ne_u16_sdwa s[16:17], v16, s11 src0_sel:BYTE_0 src1_sel:DWORD
	v_bfrev_b32_e32 v20, 1
	s_and_saveexec_b64 s[14:15], s[16:17]
	s_cbranch_execz .LBB489_543
; %bb.540:
	s_movk_i32 s11, 0x7f
	v_and_b32_e32 v14, 0x7f, v16
	v_cmp_ne_u32_e32 vcc, s11, v14
	v_mov_b32_e32 v20, 0x7f800001
	s_and_saveexec_b64 s[16:17], vcc
	s_cbranch_execz .LBB489_542
; %bb.541:
	v_and_b32_e32 v15, 7, v16
	v_ffbh_u32_e32 v15, v15
	v_min_u32_e32 v15, 32, v15
	v_subrev_u32_e32 v19, 28, v15
	v_cmp_gt_u32_e32 vcc, 8, v14
	v_lshrrev_b32_e32 v18, 3, v14
	v_sub_u32_e32 v15, 29, v15
	v_cndmask_b32_e32 v14, 0, v19, vcc
	v_cndmask_b32_e32 v18, v18, v15, vcc
	v_lshlrev_b64 v[14:15], v14, v[16:17]
	v_lshlrev_b32_e32 v14, 20, v14
	v_lshlrev_b32_e32 v15, 24, v16
	v_bfrev_b32_e32 v19, 60
	v_and_b32_e32 v14, 0x700000, v14
	v_and_b32_e32 v15, 0x80000000, v15
	v_lshl_add_u32 v18, v18, 23, v19
	v_or3_b32 v20, v15, v18, v14
.LBB489_542:
	s_or_b64 exec, exec, s[16:17]
.LBB489_543:
	s_or_b64 exec, exec, s[14:15]
.LBB489_544:
	s_or_b64 exec, exec, s[12:13]
	v_lshrrev_b16_e32 v14, 8, v16
	v_cmp_ne_u16_e32 vcc, 0, v14
	v_mov_b32_e32 v19, 0
	v_mov_b32_e32 v21, 0
	s_and_saveexec_b64 s[12:13], vcc
	s_cbranch_execz .LBB489_550
; %bb.545:
	s_movk_i32 s11, 0x80
	v_cmp_ne_u16_e32 vcc, s11, v14
	v_bfrev_b32_e32 v21, 1
	s_and_saveexec_b64 s[14:15], vcc
	s_cbranch_execz .LBB489_549
; %bb.546:
	s_movk_i32 s11, 0x7f
	v_and_b32_e32 v15, 0x7f, v14
	v_cmp_ne_u32_e32 vcc, s11, v15
	v_mov_b32_e32 v21, 0x7f800001
	s_and_saveexec_b64 s[16:17], vcc
	s_cbranch_execz .LBB489_548
; %bb.547:
	v_and_b32_e32 v18, 7, v14
	v_ffbh_u32_e32 v22, v18
	v_min_u32_e32 v24, 32, v22
	v_subrev_u32_e32 v22, 28, v24
	v_lshlrev_b64 v[22:23], v22, v[14:15]
	v_lshrrev_b32_e32 v21, 3, v15
	v_sub_u32_e32 v14, 29, v24
	v_and_b32_e32 v22, 7, v22
	v_cmp_gt_u32_e32 vcc, 8, v15
	v_cndmask_b32_e32 v14, v21, v14, vcc
	v_cndmask_b32_e32 v15, v18, v22, vcc
	v_lshlrev_b32_e32 v18, 16, v16
	v_bfrev_b32_e32 v21, 60
	v_lshlrev_b32_e32 v15, 20, v15
	v_and_b32_e32 v18, 0x80000000, v18
	v_lshl_add_u32 v14, v14, 23, v21
	v_or3_b32 v21, v18, v14, v15
.LBB489_548:
	s_or_b64 exec, exec, s[16:17]
.LBB489_549:
	s_or_b64 exec, exec, s[14:15]
.LBB489_550:
	s_or_b64 exec, exec, s[12:13]
	s_movk_i32 s11, 0xff
	v_and_b32_sdwa v15, v16, s11 dst_sel:DWORD dst_unused:UNUSED_PAD src0_sel:WORD_1 src1_sel:DWORD
	v_lshrrev_b32_e32 v14, 16, v16
	v_cmp_ne_u16_e32 vcc, 0, v15
	s_and_saveexec_b64 s[12:13], vcc
	s_cbranch_execz .LBB489_556
; %bb.551:
	s_movk_i32 s11, 0x80
	v_cmp_ne_u16_e32 vcc, s11, v15
	v_bfrev_b32_e32 v19, 1
	s_and_saveexec_b64 s[14:15], vcc
	s_cbranch_execz .LBB489_555
; %bb.552:
	v_bfe_u32 v15, v16, 16, 7
	s_movk_i32 s11, 0x7f
	v_cmp_ne_u32_e32 vcc, s11, v15
	v_mov_b32_e32 v19, 0x7f800001
	s_and_saveexec_b64 s[16:17], vcc
	s_cbranch_execz .LBB489_554
; %bb.553:
	v_and_b32_e32 v22, 7, v14
	v_ffbh_u32_e32 v18, v22
	v_min_u32_e32 v24, 32, v18
	v_subrev_u32_e32 v18, 28, v24
	v_lshlrev_b64 v[18:19], v18, v[14:15]
	v_and_b32_e32 v18, 7, v18
	v_cmp_gt_u32_e32 vcc, 8, v15
	v_lshrrev_b32_e32 v23, 3, v15
	v_sub_u32_e32 v14, 29, v24
	v_cndmask_b32_e32 v15, v22, v18, vcc
	v_mov_b32_e32 v18, 24
	v_cndmask_b32_e32 v14, v23, v14, vcc
	v_lshlrev_b32_sdwa v18, v18, v16 dst_sel:DWORD dst_unused:UNUSED_PAD src0_sel:DWORD src1_sel:WORD_1
	v_bfrev_b32_e32 v19, 60
	v_lshlrev_b32_e32 v15, 20, v15
	v_and_b32_e32 v18, 0x80000000, v18
	v_lshl_add_u32 v14, v14, 23, v19
	v_or3_b32 v19, v18, v14, v15
.LBB489_554:
	s_or_b64 exec, exec, s[16:17]
.LBB489_555:
	s_or_b64 exec, exec, s[14:15]
.LBB489_556:
	s_or_b64 exec, exec, s[12:13]
	s_mov_b32 s11, 0xffffff
	v_cmp_lt_u32_e32 vcc, s11, v16
	v_mov_b32_e32 v15, 0
	v_mov_b32_e32 v22, 0
	s_and_saveexec_b64 s[12:13], vcc
	s_cbranch_execz .LBB489_562
; %bb.557:
	v_lshrrev_b32_e32 v14, 24, v16
	s_movk_i32 s11, 0x80
	v_cmp_ne_u32_e32 vcc, s11, v14
	v_bfrev_b32_e32 v22, 1
	s_and_saveexec_b64 s[14:15], vcc
	s_cbranch_execz .LBB489_561
; %bb.558:
	v_bfe_u32 v18, v16, 24, 7
	s_movk_i32 s11, 0x7f
	v_cmp_ne_u32_e32 vcc, s11, v18
	v_mov_b32_e32 v22, 0x7f800001
	s_and_saveexec_b64 s[16:17], vcc
	s_cbranch_execz .LBB489_560
; %bb.559:
	v_and_b32_e32 v24, 7, v14
	v_ffbh_u32_e32 v22, v24
	v_min_u32_e32 v26, 32, v22
	v_subrev_u32_e32 v22, 28, v26
	v_lshlrev_b64 v[22:23], v22, v[14:15]
	v_lshrrev_b32_e32 v25, 3, v18
	v_sub_u32_e32 v23, 29, v26
	v_and_b32_e32 v22, 7, v22
	v_cmp_gt_u32_e32 vcc, 8, v18
	v_cndmask_b32_e32 v18, v25, v23, vcc
	v_cndmask_b32_e32 v22, v24, v22, vcc
	v_lshlrev_b32_e32 v14, 24, v14
	v_bfrev_b32_e32 v23, 60
	v_lshlrev_b32_e32 v22, 20, v22
	v_and_b32_e32 v14, 0x80000000, v14
	v_lshl_add_u32 v18, v18, 23, v23
	v_or3_b32 v22, v14, v18, v22
.LBB489_560:
	s_or_b64 exec, exec, s[16:17]
.LBB489_561:
	s_or_b64 exec, exec, s[14:15]
.LBB489_562:
	s_or_b64 exec, exec, s[12:13]
	v_mov_b32_e32 v14, v17
	v_cmp_ne_u16_sdwa s[14:15], v17, v15 src0_sel:BYTE_0 src1_sel:DWORD
	s_and_saveexec_b64 s[12:13], s[14:15]
	s_cbranch_execz .LBB489_568
; %bb.563:
	s_movk_i32 s11, 0x80
	v_cmp_ne_u16_sdwa s[16:17], v17, s11 src0_sel:BYTE_0 src1_sel:DWORD
	v_bfrev_b32_e32 v18, 1
	s_and_saveexec_b64 s[14:15], s[16:17]
	s_cbranch_execz .LBB489_567
; %bb.564:
	s_movk_i32 s11, 0x7f
	v_and_b32_e32 v23, 0x7f, v17
	v_cmp_ne_u32_e32 vcc, s11, v23
	v_mov_b32_e32 v18, 0x7f800001
	s_and_saveexec_b64 s[16:17], vcc
	s_cbranch_execz .LBB489_566
; %bb.565:
	v_and_b32_e32 v18, 7, v17
	v_ffbh_u32_e32 v18, v18
	v_min_u32_e32 v18, 32, v18
	v_subrev_u32_e32 v25, 28, v18
	v_cmp_gt_u32_e32 vcc, 8, v23
	v_lshrrev_b32_e32 v24, 3, v23
	v_sub_u32_e32 v18, 29, v18
	v_cndmask_b32_e32 v23, 0, v25, vcc
	v_cndmask_b32_e32 v18, v24, v18, vcc
	v_lshlrev_b64 v[24:25], v23, v[14:15]
	v_lshlrev_b32_e32 v15, 20, v24
	v_lshlrev_b32_e32 v23, 24, v14
	v_bfrev_b32_e32 v24, 60
	v_and_b32_e32 v15, 0x700000, v15
	v_and_b32_e32 v23, 0x80000000, v23
	v_lshl_add_u32 v18, v18, 23, v24
	v_or3_b32 v18, v23, v18, v15
.LBB489_566:
	s_or_b64 exec, exec, s[16:17]
.LBB489_567:
	s_or_b64 exec, exec, s[14:15]
	v_mov_b32_e32 v15, v18
.LBB489_568:
	s_or_b64 exec, exec, s[12:13]
	v_lshrrev_b16_e32 v18, 8, v14
	v_cmp_ne_u16_e32 vcc, 0, v18
	v_mov_b32_e32 v23, 0
	v_mov_b32_e32 v24, 0
	s_and_saveexec_b64 s[12:13], vcc
	s_cbranch_execz .LBB489_574
; %bb.569:
	s_movk_i32 s11, 0x80
	v_cmp_ne_u16_e32 vcc, s11, v18
	v_bfrev_b32_e32 v24, 1
	s_and_saveexec_b64 s[14:15], vcc
	s_cbranch_execz .LBB489_573
; %bb.570:
	s_movk_i32 s11, 0x7f
	v_and_b32_e32 v25, 0x7f, v18
	v_cmp_ne_u32_e32 vcc, s11, v25
	v_mov_b32_e32 v24, 0x7f800001
	s_and_saveexec_b64 s[16:17], vcc
	s_cbranch_execz .LBB489_572
; %bb.571:
	v_and_b32_e32 v24, 7, v18
	v_ffbh_u32_e32 v26, v24
	v_min_u32_e32 v29, 32, v26
	v_subrev_u32_e32 v26, 28, v29
	v_lshlrev_b64 v[26:27], v26, v[18:19]
	v_lshrrev_b32_e32 v28, 3, v25
	v_sub_u32_e32 v18, 29, v29
	v_and_b32_e32 v26, 7, v26
	v_cmp_gt_u32_e32 vcc, 8, v25
	v_cndmask_b32_e32 v18, v28, v18, vcc
	v_cndmask_b32_e32 v24, v24, v26, vcc
	v_lshlrev_b32_e32 v14, 16, v14
	v_bfrev_b32_e32 v25, 60
	v_lshlrev_b32_e32 v24, 20, v24
	v_and_b32_e32 v14, 0x80000000, v14
	v_lshl_add_u32 v18, v18, 23, v25
	v_or3_b32 v24, v14, v18, v24
.LBB489_572:
	s_or_b64 exec, exec, s[16:17]
.LBB489_573:
	s_or_b64 exec, exec, s[14:15]
.LBB489_574:
	s_or_b64 exec, exec, s[12:13]
	s_movk_i32 s11, 0xff
	v_and_b32_sdwa v18, v17, s11 dst_sel:DWORD dst_unused:UNUSED_PAD src0_sel:WORD_1 src1_sel:DWORD
	v_lshrrev_b32_e32 v14, 16, v17
	v_cmp_ne_u16_e32 vcc, 0, v18
	s_and_saveexec_b64 s[12:13], vcc
	s_cbranch_execz .LBB489_580
; %bb.575:
	s_movk_i32 s11, 0x80
	v_cmp_ne_u16_e32 vcc, s11, v18
	v_bfrev_b32_e32 v23, 1
	s_and_saveexec_b64 s[14:15], vcc
	s_cbranch_execz .LBB489_579
; %bb.576:
	v_bfe_u32 v18, v17, 16, 7
	s_movk_i32 s11, 0x7f
	v_cmp_ne_u32_e32 vcc, s11, v18
	v_mov_b32_e32 v23, 0x7f800001
	s_and_saveexec_b64 s[16:17], vcc
	s_cbranch_execz .LBB489_578
; %bb.577:
	v_and_b32_e32 v23, 7, v14
	v_ffbh_u32_e32 v26, v23
	v_min_u32_e32 v28, 32, v26
	v_subrev_u32_e32 v26, 28, v28
	v_lshlrev_b64 v[26:27], v26, v[14:15]
	v_and_b32_e32 v26, 7, v26
	v_cmp_gt_u32_e32 vcc, 8, v18
	v_lshrrev_b32_e32 v25, 3, v18
	v_sub_u32_e32 v14, 29, v28
	v_cndmask_b32_e32 v18, v23, v26, vcc
	v_mov_b32_e32 v23, 24
	v_cndmask_b32_e32 v14, v25, v14, vcc
	v_lshlrev_b32_sdwa v23, v23, v17 dst_sel:DWORD dst_unused:UNUSED_PAD src0_sel:DWORD src1_sel:WORD_1
	v_bfrev_b32_e32 v25, 60
	v_lshlrev_b32_e32 v18, 20, v18
	v_and_b32_e32 v23, 0x80000000, v23
	v_lshl_add_u32 v14, v14, 23, v25
	v_or3_b32 v23, v23, v14, v18
.LBB489_578:
	s_or_b64 exec, exec, s[16:17]
.LBB489_579:
	s_or_b64 exec, exec, s[14:15]
.LBB489_580:
	s_or_b64 exec, exec, s[12:13]
	s_mov_b32 s12, -1
	s_mov_b32 s13, 0xffffff
	v_cmp_lt_u64_e32 vcc, s[12:13], v[16:17]
	v_mov_b32_e32 v18, 0
	v_mov_b32_e32 v16, 0
	s_and_saveexec_b64 s[12:13], vcc
	s_cbranch_execz .LBB489_586
; %bb.581:
	v_lshrrev_b32_e32 v14, 24, v17
	s_movk_i32 s11, 0x80
	v_cmp_ne_u32_e32 vcc, s11, v14
	v_bfrev_b32_e32 v16, 1
	s_and_saveexec_b64 s[14:15], vcc
	s_cbranch_execz .LBB489_585
; %bb.582:
	v_bfe_u32 v17, v17, 24, 7
	s_movk_i32 s11, 0x7f
	v_cmp_ne_u32_e32 vcc, s11, v17
	v_mov_b32_e32 v16, 0x7f800001
	s_and_saveexec_b64 s[16:17], vcc
	s_cbranch_execz .LBB489_584
; %bb.583:
	v_and_b32_e32 v16, 7, v14
	v_ffbh_u32_e32 v26, v16
	v_min_u32_e32 v28, 32, v26
	v_subrev_u32_e32 v26, 28, v28
	v_lshlrev_b64 v[26:27], v26, v[14:15]
	v_lshrrev_b32_e32 v25, 3, v17
	v_sub_u32_e32 v27, 29, v28
	v_and_b32_e32 v26, 7, v26
	v_cmp_gt_u32_e32 vcc, 8, v17
	v_cndmask_b32_e32 v17, v25, v27, vcc
	v_cndmask_b32_e32 v16, v16, v26, vcc
	v_lshlrev_b32_e32 v14, 24, v14
	v_bfrev_b32_e32 v25, 60
	v_lshlrev_b32_e32 v16, 20, v16
	v_and_b32_e32 v14, 0x80000000, v14
	v_lshl_add_u32 v17, v17, 23, v25
	v_or3_b32 v16, v14, v17, v16
.LBB489_584:
	s_or_b64 exec, exec, s[16:17]
.LBB489_585:
	s_or_b64 exec, exec, s[14:15]
.LBB489_586:
	s_or_b64 exec, exec, s[12:13]
	v_cvt_pkrtz_f16_f32 v20, v20, v21
	v_cvt_pkrtz_f16_f32 v21, v19, v22
	;; [unrolled: 1-line block ×4, first 2 shown]
	v_mfma_f32_4x4x4f16 a[0:3], v[2:3], v[20:21], a[0:3] cbsz:4 abid:11
	s_waitcnt vmcnt(17)
	v_cmp_ne_u16_sdwa s[14:15], v10, v18 src0_sel:BYTE_0 src1_sel:DWORD
	v_mfma_f32_4x4x4f16 a[0:3], v[4:5], v[14:15], a[0:3] cbsz:4 abid:11
	s_and_saveexec_b64 s[12:13], s[14:15]
	s_cbranch_execz .LBB489_592
; %bb.587:
	s_movk_i32 s11, 0x80
	v_cmp_ne_u16_sdwa s[16:17], v10, s11 src0_sel:BYTE_0 src1_sel:DWORD
	v_bfrev_b32_e32 v18, 1
	s_and_saveexec_b64 s[14:15], s[16:17]
	s_cbranch_execz .LBB489_591
; %bb.588:
	s_movk_i32 s11, 0x7f
	v_and_b32_e32 v14, 0x7f, v10
	v_cmp_ne_u32_e32 vcc, s11, v14
	v_mov_b32_e32 v18, 0x7f800001
	s_and_saveexec_b64 s[16:17], vcc
	s_cbranch_execz .LBB489_590
; %bb.589:
	v_and_b32_e32 v15, 7, v10
	v_ffbh_u32_e32 v15, v15
	v_min_u32_e32 v15, 32, v15
	v_subrev_u32_e32 v17, 28, v15
	v_cmp_gt_u32_e32 vcc, 8, v14
	v_lshrrev_b32_e32 v16, 3, v14
	v_sub_u32_e32 v15, 29, v15
	v_cndmask_b32_e32 v14, 0, v17, vcc
	v_cndmask_b32_e32 v16, v16, v15, vcc
	v_lshlrev_b64 v[14:15], v14, v[10:11]
	v_lshlrev_b32_e32 v14, 20, v14
	v_lshlrev_b32_e32 v15, 24, v10
	v_bfrev_b32_e32 v17, 60
	v_and_b32_e32 v14, 0x700000, v14
	v_and_b32_e32 v15, 0x80000000, v15
	v_lshl_add_u32 v16, v16, 23, v17
	v_or3_b32 v18, v15, v16, v14
.LBB489_590:
	s_or_b64 exec, exec, s[16:17]
.LBB489_591:
	s_or_b64 exec, exec, s[14:15]
.LBB489_592:
	s_or_b64 exec, exec, s[12:13]
	v_lshrrev_b16_e32 v14, 8, v10
	v_cmp_ne_u16_e32 vcc, 0, v14
	v_mov_b32_e32 v17, 0
	v_mov_b32_e32 v19, 0
	s_and_saveexec_b64 s[12:13], vcc
	s_cbranch_execz .LBB489_598
; %bb.593:
	s_movk_i32 s11, 0x80
	v_cmp_ne_u16_e32 vcc, s11, v14
	v_bfrev_b32_e32 v19, 1
	s_and_saveexec_b64 s[14:15], vcc
	s_cbranch_execz .LBB489_597
; %bb.594:
	s_movk_i32 s11, 0x7f
	v_and_b32_e32 v15, 0x7f, v14
	v_cmp_ne_u32_e32 vcc, s11, v15
	v_mov_b32_e32 v19, 0x7f800001
	s_and_saveexec_b64 s[16:17], vcc
	s_cbranch_execz .LBB489_596
; %bb.595:
	v_and_b32_e32 v16, 7, v14
	v_ffbh_u32_e32 v20, v16
	v_min_u32_e32 v22, 32, v20
	v_subrev_u32_e32 v20, 28, v22
	v_lshlrev_b64 v[20:21], v20, v[14:15]
	v_lshrrev_b32_e32 v19, 3, v15
	v_sub_u32_e32 v14, 29, v22
	v_and_b32_e32 v20, 7, v20
	v_cmp_gt_u32_e32 vcc, 8, v15
	v_cndmask_b32_e32 v14, v19, v14, vcc
	v_cndmask_b32_e32 v15, v16, v20, vcc
	v_lshlrev_b32_e32 v16, 16, v10
	v_bfrev_b32_e32 v19, 60
	v_lshlrev_b32_e32 v15, 20, v15
	v_and_b32_e32 v16, 0x80000000, v16
	v_lshl_add_u32 v14, v14, 23, v19
	v_or3_b32 v19, v16, v14, v15
.LBB489_596:
	s_or_b64 exec, exec, s[16:17]
.LBB489_597:
	s_or_b64 exec, exec, s[14:15]
.LBB489_598:
	s_or_b64 exec, exec, s[12:13]
	s_movk_i32 s11, 0xff
	v_and_b32_sdwa v15, v10, s11 dst_sel:DWORD dst_unused:UNUSED_PAD src0_sel:WORD_1 src1_sel:DWORD
	v_lshrrev_b32_e32 v14, 16, v10
	v_cmp_ne_u16_e32 vcc, 0, v15
	s_and_saveexec_b64 s[12:13], vcc
	s_cbranch_execz .LBB489_604
; %bb.599:
	s_movk_i32 s11, 0x80
	v_cmp_ne_u16_e32 vcc, s11, v15
	v_bfrev_b32_e32 v17, 1
	s_and_saveexec_b64 s[14:15], vcc
	s_cbranch_execz .LBB489_603
; %bb.600:
	v_bfe_u32 v15, v10, 16, 7
	s_movk_i32 s11, 0x7f
	v_cmp_ne_u32_e32 vcc, s11, v15
	v_mov_b32_e32 v17, 0x7f800001
	s_and_saveexec_b64 s[16:17], vcc
	s_cbranch_execz .LBB489_602
; %bb.601:
	v_and_b32_e32 v20, 7, v14
	v_ffbh_u32_e32 v16, v20
	v_min_u32_e32 v22, 32, v16
	v_subrev_u32_e32 v16, 28, v22
	v_lshlrev_b64 v[16:17], v16, v[14:15]
	v_and_b32_e32 v16, 7, v16
	v_cmp_gt_u32_e32 vcc, 8, v15
	v_lshrrev_b32_e32 v21, 3, v15
	v_sub_u32_e32 v14, 29, v22
	v_cndmask_b32_e32 v15, v20, v16, vcc
	v_mov_b32_e32 v16, 24
	v_cndmask_b32_e32 v14, v21, v14, vcc
	v_lshlrev_b32_sdwa v16, v16, v10 dst_sel:DWORD dst_unused:UNUSED_PAD src0_sel:DWORD src1_sel:WORD_1
	v_bfrev_b32_e32 v17, 60
	v_lshlrev_b32_e32 v15, 20, v15
	v_and_b32_e32 v16, 0x80000000, v16
	v_lshl_add_u32 v14, v14, 23, v17
	v_or3_b32 v17, v16, v14, v15
.LBB489_602:
	s_or_b64 exec, exec, s[16:17]
.LBB489_603:
	s_or_b64 exec, exec, s[14:15]
.LBB489_604:
	s_or_b64 exec, exec, s[12:13]
	s_mov_b32 s11, 0xffffff
	v_cmp_lt_u32_e32 vcc, s11, v10
	v_mov_b32_e32 v15, 0
	v_mov_b32_e32 v20, 0
	s_and_saveexec_b64 s[12:13], vcc
	s_cbranch_execz .LBB489_610
; %bb.605:
	v_lshrrev_b32_e32 v14, 24, v10
	s_movk_i32 s11, 0x80
	v_cmp_ne_u32_e32 vcc, s11, v14
	v_bfrev_b32_e32 v20, 1
	s_and_saveexec_b64 s[14:15], vcc
	s_cbranch_execz .LBB489_609
; %bb.606:
	v_bfe_u32 v16, v10, 24, 7
	s_movk_i32 s11, 0x7f
	v_cmp_ne_u32_e32 vcc, s11, v16
	v_mov_b32_e32 v20, 0x7f800001
	s_and_saveexec_b64 s[16:17], vcc
	s_cbranch_execz .LBB489_608
; %bb.607:
	v_and_b32_e32 v22, 7, v14
	v_ffbh_u32_e32 v20, v22
	v_min_u32_e32 v24, 32, v20
	v_subrev_u32_e32 v20, 28, v24
	v_lshlrev_b64 v[20:21], v20, v[14:15]
	v_lshrrev_b32_e32 v23, 3, v16
	v_sub_u32_e32 v21, 29, v24
	v_and_b32_e32 v20, 7, v20
	v_cmp_gt_u32_e32 vcc, 8, v16
	v_cndmask_b32_e32 v16, v23, v21, vcc
	v_cndmask_b32_e32 v20, v22, v20, vcc
	v_lshlrev_b32_e32 v14, 24, v14
	v_bfrev_b32_e32 v21, 60
	v_lshlrev_b32_e32 v20, 20, v20
	v_and_b32_e32 v14, 0x80000000, v14
	v_lshl_add_u32 v16, v16, 23, v21
	v_or3_b32 v20, v14, v16, v20
.LBB489_608:
	s_or_b64 exec, exec, s[16:17]
.LBB489_609:
	s_or_b64 exec, exec, s[14:15]
.LBB489_610:
	s_or_b64 exec, exec, s[12:13]
	v_mov_b32_e32 v14, v11
	v_cmp_ne_u16_sdwa s[14:15], v11, v15 src0_sel:BYTE_0 src1_sel:DWORD
	s_and_saveexec_b64 s[12:13], s[14:15]
	s_cbranch_execz .LBB489_616
; %bb.611:
	s_movk_i32 s11, 0x80
	v_cmp_ne_u16_sdwa s[16:17], v11, s11 src0_sel:BYTE_0 src1_sel:DWORD
	v_bfrev_b32_e32 v16, 1
	s_and_saveexec_b64 s[14:15], s[16:17]
	s_cbranch_execz .LBB489_615
; %bb.612:
	s_movk_i32 s11, 0x7f
	v_and_b32_e32 v21, 0x7f, v11
	v_cmp_ne_u32_e32 vcc, s11, v21
	v_mov_b32_e32 v16, 0x7f800001
	s_and_saveexec_b64 s[16:17], vcc
	s_cbranch_execz .LBB489_614
; %bb.613:
	v_and_b32_e32 v16, 7, v11
	v_ffbh_u32_e32 v16, v16
	v_min_u32_e32 v16, 32, v16
	v_subrev_u32_e32 v23, 28, v16
	v_cmp_gt_u32_e32 vcc, 8, v21
	v_lshrrev_b32_e32 v22, 3, v21
	v_sub_u32_e32 v16, 29, v16
	v_cndmask_b32_e32 v21, 0, v23, vcc
	v_cndmask_b32_e32 v16, v22, v16, vcc
	v_lshlrev_b64 v[22:23], v21, v[14:15]
	v_lshlrev_b32_e32 v15, 20, v22
	v_lshlrev_b32_e32 v21, 24, v14
	v_bfrev_b32_e32 v22, 60
	v_and_b32_e32 v15, 0x700000, v15
	v_and_b32_e32 v21, 0x80000000, v21
	v_lshl_add_u32 v16, v16, 23, v22
	v_or3_b32 v16, v21, v16, v15
.LBB489_614:
	s_or_b64 exec, exec, s[16:17]
.LBB489_615:
	s_or_b64 exec, exec, s[14:15]
	v_mov_b32_e32 v15, v16
.LBB489_616:
	s_or_b64 exec, exec, s[12:13]
	v_lshrrev_b16_e32 v16, 8, v14
	v_cmp_ne_u16_e32 vcc, 0, v16
	v_mov_b32_e32 v21, 0
	v_mov_b32_e32 v22, 0
	s_and_saveexec_b64 s[12:13], vcc
	s_cbranch_execz .LBB489_622
; %bb.617:
	s_movk_i32 s11, 0x80
	v_cmp_ne_u16_e32 vcc, s11, v16
	v_bfrev_b32_e32 v22, 1
	s_and_saveexec_b64 s[14:15], vcc
	s_cbranch_execz .LBB489_621
; %bb.618:
	s_movk_i32 s11, 0x7f
	v_and_b32_e32 v23, 0x7f, v16
	v_cmp_ne_u32_e32 vcc, s11, v23
	v_mov_b32_e32 v22, 0x7f800001
	s_and_saveexec_b64 s[16:17], vcc
	s_cbranch_execz .LBB489_620
; %bb.619:
	v_and_b32_e32 v22, 7, v16
	v_ffbh_u32_e32 v24, v22
	v_min_u32_e32 v27, 32, v24
	v_subrev_u32_e32 v24, 28, v27
	v_lshlrev_b64 v[24:25], v24, v[16:17]
	v_lshrrev_b32_e32 v26, 3, v23
	v_sub_u32_e32 v16, 29, v27
	v_and_b32_e32 v24, 7, v24
	v_cmp_gt_u32_e32 vcc, 8, v23
	v_cndmask_b32_e32 v16, v26, v16, vcc
	v_cndmask_b32_e32 v22, v22, v24, vcc
	v_lshlrev_b32_e32 v14, 16, v14
	v_bfrev_b32_e32 v23, 60
	v_lshlrev_b32_e32 v22, 20, v22
	v_and_b32_e32 v14, 0x80000000, v14
	v_lshl_add_u32 v16, v16, 23, v23
	v_or3_b32 v22, v14, v16, v22
.LBB489_620:
	s_or_b64 exec, exec, s[16:17]
.LBB489_621:
	s_or_b64 exec, exec, s[14:15]
.LBB489_622:
	s_or_b64 exec, exec, s[12:13]
	s_movk_i32 s11, 0xff
	v_and_b32_sdwa v16, v11, s11 dst_sel:DWORD dst_unused:UNUSED_PAD src0_sel:WORD_1 src1_sel:DWORD
	v_lshrrev_b32_e32 v14, 16, v11
	v_cmp_ne_u16_e32 vcc, 0, v16
	s_and_saveexec_b64 s[12:13], vcc
	s_cbranch_execz .LBB489_628
; %bb.623:
	s_movk_i32 s11, 0x80
	v_cmp_ne_u16_e32 vcc, s11, v16
	v_bfrev_b32_e32 v21, 1
	s_and_saveexec_b64 s[14:15], vcc
	s_cbranch_execz .LBB489_627
; %bb.624:
	v_bfe_u32 v16, v11, 16, 7
	s_movk_i32 s11, 0x7f
	v_cmp_ne_u32_e32 vcc, s11, v16
	v_mov_b32_e32 v21, 0x7f800001
	s_and_saveexec_b64 s[16:17], vcc
	s_cbranch_execz .LBB489_626
; %bb.625:
	v_and_b32_e32 v21, 7, v14
	v_ffbh_u32_e32 v24, v21
	v_min_u32_e32 v26, 32, v24
	v_subrev_u32_e32 v24, 28, v26
	v_lshlrev_b64 v[24:25], v24, v[14:15]
	v_and_b32_e32 v24, 7, v24
	v_cmp_gt_u32_e32 vcc, 8, v16
	v_lshrrev_b32_e32 v23, 3, v16
	v_sub_u32_e32 v14, 29, v26
	v_cndmask_b32_e32 v16, v21, v24, vcc
	v_mov_b32_e32 v21, 24
	v_cndmask_b32_e32 v14, v23, v14, vcc
	v_lshlrev_b32_sdwa v21, v21, v11 dst_sel:DWORD dst_unused:UNUSED_PAD src0_sel:DWORD src1_sel:WORD_1
	v_bfrev_b32_e32 v23, 60
	v_lshlrev_b32_e32 v16, 20, v16
	v_and_b32_e32 v21, 0x80000000, v21
	v_lshl_add_u32 v14, v14, 23, v23
	v_or3_b32 v21, v21, v14, v16
.LBB489_626:
	s_or_b64 exec, exec, s[16:17]
.LBB489_627:
	s_or_b64 exec, exec, s[14:15]
.LBB489_628:
	s_or_b64 exec, exec, s[12:13]
	s_mov_b32 s12, -1
	s_mov_b32 s13, 0xffffff
	v_cmp_lt_u64_e32 vcc, s[12:13], v[10:11]
	v_mov_b32_e32 v16, 0
	v_mov_b32_e32 v14, 0
	s_and_saveexec_b64 s[12:13], vcc
	s_cbranch_execz .LBB489_634
; %bb.629:
	v_lshrrev_b32_e32 v10, 24, v11
	s_movk_i32 s11, 0x80
	v_cmp_ne_u32_e32 vcc, s11, v10
	v_bfrev_b32_e32 v14, 1
	s_and_saveexec_b64 s[14:15], vcc
	s_cbranch_execz .LBB489_633
; %bb.630:
	v_bfe_u32 v11, v11, 24, 7
	s_movk_i32 s11, 0x7f
	v_cmp_ne_u32_e32 vcc, s11, v11
	v_mov_b32_e32 v14, 0x7f800001
	s_and_saveexec_b64 s[16:17], vcc
	s_cbranch_execz .LBB489_632
; %bb.631:
	v_and_b32_e32 v14, 7, v10
	v_ffbh_u32_e32 v24, v14
	v_min_u32_e32 v26, 32, v24
	v_subrev_u32_e32 v24, 28, v26
	v_lshlrev_b64 v[24:25], v24, v[10:11]
	v_lshrrev_b32_e32 v23, 3, v11
	v_sub_u32_e32 v25, 29, v26
	v_and_b32_e32 v24, 7, v24
	v_cmp_gt_u32_e32 vcc, 8, v11
	v_cndmask_b32_e32 v11, v23, v25, vcc
	v_cndmask_b32_e32 v14, v14, v24, vcc
	v_lshlrev_b32_e32 v10, 24, v10
	v_bfrev_b32_e32 v23, 60
	v_lshlrev_b32_e32 v14, 20, v14
	v_and_b32_e32 v10, 0x80000000, v10
	v_lshl_add_u32 v11, v11, 23, v23
	v_or3_b32 v14, v10, v11, v14
.LBB489_632:
	s_or_b64 exec, exec, s[16:17]
.LBB489_633:
	s_or_b64 exec, exec, s[14:15]
.LBB489_634:
	s_or_b64 exec, exec, s[12:13]
	v_cvt_pkrtz_f16_f32 v10, v18, v19
	v_cvt_pkrtz_f16_f32 v11, v17, v20
	;; [unrolled: 1-line block ×4, first 2 shown]
	v_mfma_f32_4x4x4f16 a[0:3], v[2:3], v[10:11], a[0:3] cbsz:4 abid:12
	v_cmp_ne_u16_sdwa s[14:15], v12, v16 src0_sel:BYTE_0 src1_sel:DWORD
	v_mfma_f32_4x4x4f16 a[0:3], v[4:5], v[18:19], a[0:3] cbsz:4 abid:12
	s_and_saveexec_b64 s[12:13], s[14:15]
	s_cbranch_execz .LBB489_640
; %bb.635:
	s_movk_i32 s11, 0x80
	v_cmp_ne_u16_sdwa s[16:17], v12, s11 src0_sel:BYTE_0 src1_sel:DWORD
	v_bfrev_b32_e32 v16, 1
	s_and_saveexec_b64 s[14:15], s[16:17]
	s_cbranch_execz .LBB489_639
; %bb.636:
	s_movk_i32 s11, 0x7f
	v_and_b32_e32 v10, 0x7f, v12
	v_cmp_ne_u32_e32 vcc, s11, v10
	v_mov_b32_e32 v16, 0x7f800001
	s_and_saveexec_b64 s[16:17], vcc
	s_cbranch_execz .LBB489_638
; %bb.637:
	v_and_b32_e32 v11, 7, v12
	v_ffbh_u32_e32 v11, v11
	v_min_u32_e32 v11, 32, v11
	v_subrev_u32_e32 v15, 28, v11
	v_cmp_gt_u32_e32 vcc, 8, v10
	v_lshrrev_b32_e32 v14, 3, v10
	v_sub_u32_e32 v11, 29, v11
	v_cndmask_b32_e32 v10, 0, v15, vcc
	v_cndmask_b32_e32 v14, v14, v11, vcc
	v_lshlrev_b64 v[10:11], v10, v[12:13]
	v_lshlrev_b32_e32 v10, 20, v10
	v_lshlrev_b32_e32 v11, 24, v12
	v_bfrev_b32_e32 v15, 60
	v_and_b32_e32 v10, 0x700000, v10
	v_and_b32_e32 v11, 0x80000000, v11
	v_lshl_add_u32 v14, v14, 23, v15
	v_or3_b32 v16, v11, v14, v10
.LBB489_638:
	s_or_b64 exec, exec, s[16:17]
.LBB489_639:
	s_or_b64 exec, exec, s[14:15]
.LBB489_640:
	s_or_b64 exec, exec, s[12:13]
	v_lshrrev_b16_e32 v10, 8, v12
	v_cmp_ne_u16_e32 vcc, 0, v10
	v_mov_b32_e32 v15, 0
	v_mov_b32_e32 v17, 0
	s_and_saveexec_b64 s[12:13], vcc
	s_cbranch_execz .LBB489_646
; %bb.641:
	s_movk_i32 s11, 0x80
	v_cmp_ne_u16_e32 vcc, s11, v10
	v_bfrev_b32_e32 v17, 1
	s_and_saveexec_b64 s[14:15], vcc
	s_cbranch_execz .LBB489_645
; %bb.642:
	s_movk_i32 s11, 0x7f
	v_and_b32_e32 v11, 0x7f, v10
	v_cmp_ne_u32_e32 vcc, s11, v11
	v_mov_b32_e32 v17, 0x7f800001
	s_and_saveexec_b64 s[16:17], vcc
	s_cbranch_execz .LBB489_644
; %bb.643:
	v_and_b32_e32 v14, 7, v10
	v_ffbh_u32_e32 v18, v14
	v_min_u32_e32 v20, 32, v18
	v_subrev_u32_e32 v18, 28, v20
	v_lshlrev_b64 v[18:19], v18, v[10:11]
	v_lshrrev_b32_e32 v17, 3, v11
	v_sub_u32_e32 v10, 29, v20
	v_and_b32_e32 v18, 7, v18
	v_cmp_gt_u32_e32 vcc, 8, v11
	v_cndmask_b32_e32 v10, v17, v10, vcc
	v_cndmask_b32_e32 v11, v14, v18, vcc
	v_lshlrev_b32_e32 v14, 16, v12
	v_bfrev_b32_e32 v17, 60
	v_lshlrev_b32_e32 v11, 20, v11
	v_and_b32_e32 v14, 0x80000000, v14
	v_lshl_add_u32 v10, v10, 23, v17
	v_or3_b32 v17, v14, v10, v11
.LBB489_644:
	s_or_b64 exec, exec, s[16:17]
.LBB489_645:
	s_or_b64 exec, exec, s[14:15]
.LBB489_646:
	s_or_b64 exec, exec, s[12:13]
	s_movk_i32 s11, 0xff
	v_and_b32_sdwa v11, v12, s11 dst_sel:DWORD dst_unused:UNUSED_PAD src0_sel:WORD_1 src1_sel:DWORD
	v_lshrrev_b32_e32 v10, 16, v12
	v_cmp_ne_u16_e32 vcc, 0, v11
	s_and_saveexec_b64 s[12:13], vcc
	s_cbranch_execz .LBB489_652
; %bb.647:
	s_movk_i32 s11, 0x80
	v_cmp_ne_u16_e32 vcc, s11, v11
	v_bfrev_b32_e32 v15, 1
	s_and_saveexec_b64 s[14:15], vcc
	s_cbranch_execz .LBB489_651
; %bb.648:
	v_bfe_u32 v11, v12, 16, 7
	s_movk_i32 s11, 0x7f
	v_cmp_ne_u32_e32 vcc, s11, v11
	v_mov_b32_e32 v15, 0x7f800001
	s_and_saveexec_b64 s[16:17], vcc
	s_cbranch_execz .LBB489_650
; %bb.649:
	v_and_b32_e32 v18, 7, v10
	v_ffbh_u32_e32 v14, v18
	v_min_u32_e32 v20, 32, v14
	v_subrev_u32_e32 v14, 28, v20
	v_lshlrev_b64 v[14:15], v14, v[10:11]
	v_and_b32_e32 v14, 7, v14
	v_cmp_gt_u32_e32 vcc, 8, v11
	v_lshrrev_b32_e32 v19, 3, v11
	v_sub_u32_e32 v10, 29, v20
	v_cndmask_b32_e32 v11, v18, v14, vcc
	v_mov_b32_e32 v14, 24
	v_cndmask_b32_e32 v10, v19, v10, vcc
	v_lshlrev_b32_sdwa v14, v14, v12 dst_sel:DWORD dst_unused:UNUSED_PAD src0_sel:DWORD src1_sel:WORD_1
	v_bfrev_b32_e32 v15, 60
	v_lshlrev_b32_e32 v11, 20, v11
	v_and_b32_e32 v14, 0x80000000, v14
	v_lshl_add_u32 v10, v10, 23, v15
	v_or3_b32 v15, v14, v10, v11
.LBB489_650:
	s_or_b64 exec, exec, s[16:17]
.LBB489_651:
	s_or_b64 exec, exec, s[14:15]
.LBB489_652:
	s_or_b64 exec, exec, s[12:13]
	s_mov_b32 s11, 0xffffff
	v_cmp_lt_u32_e32 vcc, s11, v12
	v_mov_b32_e32 v11, 0
	v_mov_b32_e32 v18, 0
	s_and_saveexec_b64 s[12:13], vcc
	s_cbranch_execz .LBB489_658
; %bb.653:
	v_lshrrev_b32_e32 v10, 24, v12
	s_movk_i32 s11, 0x80
	v_cmp_ne_u32_e32 vcc, s11, v10
	v_bfrev_b32_e32 v18, 1
	s_and_saveexec_b64 s[14:15], vcc
	s_cbranch_execz .LBB489_657
; %bb.654:
	v_bfe_u32 v14, v12, 24, 7
	s_movk_i32 s11, 0x7f
	v_cmp_ne_u32_e32 vcc, s11, v14
	v_mov_b32_e32 v18, 0x7f800001
	s_and_saveexec_b64 s[16:17], vcc
	s_cbranch_execz .LBB489_656
; %bb.655:
	v_and_b32_e32 v20, 7, v10
	v_ffbh_u32_e32 v18, v20
	v_min_u32_e32 v22, 32, v18
	v_subrev_u32_e32 v18, 28, v22
	v_lshlrev_b64 v[18:19], v18, v[10:11]
	v_lshrrev_b32_e32 v21, 3, v14
	v_sub_u32_e32 v19, 29, v22
	v_and_b32_e32 v18, 7, v18
	v_cmp_gt_u32_e32 vcc, 8, v14
	v_cndmask_b32_e32 v14, v21, v19, vcc
	v_cndmask_b32_e32 v18, v20, v18, vcc
	v_lshlrev_b32_e32 v10, 24, v10
	v_bfrev_b32_e32 v19, 60
	v_lshlrev_b32_e32 v18, 20, v18
	v_and_b32_e32 v10, 0x80000000, v10
	v_lshl_add_u32 v14, v14, 23, v19
	v_or3_b32 v18, v10, v14, v18
.LBB489_656:
	s_or_b64 exec, exec, s[16:17]
.LBB489_657:
	s_or_b64 exec, exec, s[14:15]
.LBB489_658:
	s_or_b64 exec, exec, s[12:13]
	v_mov_b32_e32 v10, v13
	v_cmp_ne_u16_sdwa s[14:15], v13, v11 src0_sel:BYTE_0 src1_sel:DWORD
	s_and_saveexec_b64 s[12:13], s[14:15]
	s_cbranch_execz .LBB489_664
; %bb.659:
	s_movk_i32 s11, 0x80
	v_cmp_ne_u16_sdwa s[16:17], v13, s11 src0_sel:BYTE_0 src1_sel:DWORD
	v_bfrev_b32_e32 v14, 1
	s_and_saveexec_b64 s[14:15], s[16:17]
	s_cbranch_execz .LBB489_663
; %bb.660:
	s_movk_i32 s11, 0x7f
	v_and_b32_e32 v19, 0x7f, v13
	v_cmp_ne_u32_e32 vcc, s11, v19
	v_mov_b32_e32 v14, 0x7f800001
	s_and_saveexec_b64 s[16:17], vcc
	s_cbranch_execz .LBB489_662
; %bb.661:
	v_and_b32_e32 v14, 7, v13
	v_ffbh_u32_e32 v14, v14
	v_min_u32_e32 v14, 32, v14
	v_subrev_u32_e32 v21, 28, v14
	v_cmp_gt_u32_e32 vcc, 8, v19
	v_lshrrev_b32_e32 v20, 3, v19
	v_sub_u32_e32 v14, 29, v14
	v_cndmask_b32_e32 v19, 0, v21, vcc
	v_cndmask_b32_e32 v14, v20, v14, vcc
	v_lshlrev_b64 v[20:21], v19, v[10:11]
	v_lshlrev_b32_e32 v11, 20, v20
	v_lshlrev_b32_e32 v19, 24, v10
	v_bfrev_b32_e32 v20, 60
	v_and_b32_e32 v11, 0x700000, v11
	v_and_b32_e32 v19, 0x80000000, v19
	v_lshl_add_u32 v14, v14, 23, v20
	v_or3_b32 v14, v19, v14, v11
.LBB489_662:
	s_or_b64 exec, exec, s[16:17]
.LBB489_663:
	s_or_b64 exec, exec, s[14:15]
	v_mov_b32_e32 v11, v14
.LBB489_664:
	s_or_b64 exec, exec, s[12:13]
	v_lshrrev_b16_e32 v14, 8, v10
	v_cmp_ne_u16_e32 vcc, 0, v14
	v_mov_b32_e32 v19, 0
	v_mov_b32_e32 v20, 0
	s_and_saveexec_b64 s[12:13], vcc
	s_cbranch_execz .LBB489_670
; %bb.665:
	s_movk_i32 s11, 0x80
	v_cmp_ne_u16_e32 vcc, s11, v14
	v_bfrev_b32_e32 v20, 1
	s_and_saveexec_b64 s[14:15], vcc
	s_cbranch_execz .LBB489_669
; %bb.666:
	s_movk_i32 s11, 0x7f
	v_and_b32_e32 v21, 0x7f, v14
	v_cmp_ne_u32_e32 vcc, s11, v21
	v_mov_b32_e32 v20, 0x7f800001
	s_and_saveexec_b64 s[16:17], vcc
	s_cbranch_execz .LBB489_668
; %bb.667:
	v_and_b32_e32 v20, 7, v14
	v_ffbh_u32_e32 v22, v20
	v_min_u32_e32 v25, 32, v22
	v_subrev_u32_e32 v22, 28, v25
	v_lshlrev_b64 v[22:23], v22, v[14:15]
	v_lshrrev_b32_e32 v24, 3, v21
	v_sub_u32_e32 v14, 29, v25
	v_and_b32_e32 v22, 7, v22
	v_cmp_gt_u32_e32 vcc, 8, v21
	v_cndmask_b32_e32 v14, v24, v14, vcc
	v_cndmask_b32_e32 v20, v20, v22, vcc
	v_lshlrev_b32_e32 v10, 16, v10
	v_bfrev_b32_e32 v21, 60
	v_lshlrev_b32_e32 v20, 20, v20
	v_and_b32_e32 v10, 0x80000000, v10
	v_lshl_add_u32 v14, v14, 23, v21
	v_or3_b32 v20, v10, v14, v20
.LBB489_668:
	s_or_b64 exec, exec, s[16:17]
.LBB489_669:
	s_or_b64 exec, exec, s[14:15]
.LBB489_670:
	s_or_b64 exec, exec, s[12:13]
	s_movk_i32 s11, 0xff
	v_and_b32_sdwa v14, v13, s11 dst_sel:DWORD dst_unused:UNUSED_PAD src0_sel:WORD_1 src1_sel:DWORD
	v_lshrrev_b32_e32 v10, 16, v13
	v_cmp_ne_u16_e32 vcc, 0, v14
	s_and_saveexec_b64 s[12:13], vcc
	s_cbranch_execz .LBB489_676
; %bb.671:
	s_movk_i32 s11, 0x80
	v_cmp_ne_u16_e32 vcc, s11, v14
	v_bfrev_b32_e32 v19, 1
	s_and_saveexec_b64 s[14:15], vcc
	s_cbranch_execz .LBB489_675
; %bb.672:
	v_bfe_u32 v14, v13, 16, 7
	s_movk_i32 s11, 0x7f
	v_cmp_ne_u32_e32 vcc, s11, v14
	v_mov_b32_e32 v19, 0x7f800001
	s_and_saveexec_b64 s[16:17], vcc
	s_cbranch_execz .LBB489_674
; %bb.673:
	v_and_b32_e32 v19, 7, v10
	v_ffbh_u32_e32 v22, v19
	v_min_u32_e32 v24, 32, v22
	v_subrev_u32_e32 v22, 28, v24
	v_lshlrev_b64 v[22:23], v22, v[10:11]
	v_and_b32_e32 v22, 7, v22
	v_cmp_gt_u32_e32 vcc, 8, v14
	v_lshrrev_b32_e32 v21, 3, v14
	v_sub_u32_e32 v10, 29, v24
	v_cndmask_b32_e32 v14, v19, v22, vcc
	v_mov_b32_e32 v19, 24
	v_cndmask_b32_e32 v10, v21, v10, vcc
	v_lshlrev_b32_sdwa v19, v19, v13 dst_sel:DWORD dst_unused:UNUSED_PAD src0_sel:DWORD src1_sel:WORD_1
	v_bfrev_b32_e32 v21, 60
	v_lshlrev_b32_e32 v14, 20, v14
	v_and_b32_e32 v19, 0x80000000, v19
	v_lshl_add_u32 v10, v10, 23, v21
	v_or3_b32 v19, v19, v10, v14
.LBB489_674:
	s_or_b64 exec, exec, s[16:17]
.LBB489_675:
	s_or_b64 exec, exec, s[14:15]
.LBB489_676:
	s_or_b64 exec, exec, s[12:13]
	s_mov_b32 s12, -1
	s_mov_b32 s13, 0xffffff
	v_cmp_lt_u64_e32 vcc, s[12:13], v[12:13]
	v_mov_b32_e32 v14, 0
	v_mov_b32_e32 v12, 0
	s_and_saveexec_b64 s[12:13], vcc
	s_cbranch_execz .LBB489_682
; %bb.677:
	v_lshrrev_b32_e32 v10, 24, v13
	s_movk_i32 s11, 0x80
	v_cmp_ne_u32_e32 vcc, s11, v10
	v_bfrev_b32_e32 v12, 1
	s_and_saveexec_b64 s[14:15], vcc
	s_cbranch_execz .LBB489_681
; %bb.678:
	v_bfe_u32 v13, v13, 24, 7
	s_movk_i32 s11, 0x7f
	v_cmp_ne_u32_e32 vcc, s11, v13
	v_mov_b32_e32 v12, 0x7f800001
	s_and_saveexec_b64 s[16:17], vcc
	s_cbranch_execz .LBB489_680
; %bb.679:
	v_and_b32_e32 v12, 7, v10
	v_ffbh_u32_e32 v22, v12
	v_min_u32_e32 v24, 32, v22
	v_subrev_u32_e32 v22, 28, v24
	v_lshlrev_b64 v[22:23], v22, v[10:11]
	v_lshrrev_b32_e32 v21, 3, v13
	v_sub_u32_e32 v23, 29, v24
	v_and_b32_e32 v22, 7, v22
	v_cmp_gt_u32_e32 vcc, 8, v13
	v_cndmask_b32_e32 v13, v21, v23, vcc
	v_cndmask_b32_e32 v12, v12, v22, vcc
	v_lshlrev_b32_e32 v10, 24, v10
	v_bfrev_b32_e32 v21, 60
	v_lshlrev_b32_e32 v12, 20, v12
	v_and_b32_e32 v10, 0x80000000, v10
	v_lshl_add_u32 v13, v13, 23, v21
	v_or3_b32 v12, v10, v13, v12
.LBB489_680:
	s_or_b64 exec, exec, s[16:17]
.LBB489_681:
	s_or_b64 exec, exec, s[14:15]
.LBB489_682:
	s_or_b64 exec, exec, s[12:13]
	v_cvt_pkrtz_f16_f32 v16, v16, v17
	v_cvt_pkrtz_f16_f32 v17, v15, v18
	;; [unrolled: 1-line block ×4, first 2 shown]
	v_mfma_f32_4x4x4f16 a[0:3], v[2:3], v[16:17], a[0:3] cbsz:4 abid:13
	s_waitcnt vmcnt(16)
	v_cmp_ne_u16_sdwa s[14:15], v6, v14 src0_sel:BYTE_0 src1_sel:DWORD
	v_mfma_f32_4x4x4f16 a[0:3], v[4:5], v[10:11], a[0:3] cbsz:4 abid:13
	s_and_saveexec_b64 s[12:13], s[14:15]
	s_cbranch_execz .LBB489_688
; %bb.683:
	s_movk_i32 s11, 0x80
	v_cmp_ne_u16_sdwa s[16:17], v6, s11 src0_sel:BYTE_0 src1_sel:DWORD
	v_bfrev_b32_e32 v14, 1
	s_and_saveexec_b64 s[14:15], s[16:17]
	s_cbranch_execz .LBB489_687
; %bb.684:
	s_movk_i32 s11, 0x7f
	v_and_b32_e32 v10, 0x7f, v6
	v_cmp_ne_u32_e32 vcc, s11, v10
	v_mov_b32_e32 v14, 0x7f800001
	s_and_saveexec_b64 s[16:17], vcc
	s_cbranch_execz .LBB489_686
; %bb.685:
	v_and_b32_e32 v11, 7, v6
	v_ffbh_u32_e32 v11, v11
	v_min_u32_e32 v11, 32, v11
	v_subrev_u32_e32 v13, 28, v11
	v_cmp_gt_u32_e32 vcc, 8, v10
	v_lshrrev_b32_e32 v12, 3, v10
	v_sub_u32_e32 v11, 29, v11
	v_cndmask_b32_e32 v10, 0, v13, vcc
	v_cndmask_b32_e32 v12, v12, v11, vcc
	v_lshlrev_b64 v[10:11], v10, v[6:7]
	v_lshlrev_b32_e32 v10, 20, v10
	v_lshlrev_b32_e32 v11, 24, v6
	v_bfrev_b32_e32 v13, 60
	v_and_b32_e32 v10, 0x700000, v10
	v_and_b32_e32 v11, 0x80000000, v11
	v_lshl_add_u32 v12, v12, 23, v13
	v_or3_b32 v14, v11, v12, v10
.LBB489_686:
	s_or_b64 exec, exec, s[16:17]
.LBB489_687:
	s_or_b64 exec, exec, s[14:15]
.LBB489_688:
	s_or_b64 exec, exec, s[12:13]
	v_lshrrev_b16_e32 v10, 8, v6
	v_cmp_ne_u16_e32 vcc, 0, v10
	v_mov_b32_e32 v13, 0
	v_mov_b32_e32 v15, 0
	s_and_saveexec_b64 s[12:13], vcc
	s_cbranch_execz .LBB489_694
; %bb.689:
	s_movk_i32 s11, 0x80
	v_cmp_ne_u16_e32 vcc, s11, v10
	v_bfrev_b32_e32 v15, 1
	s_and_saveexec_b64 s[14:15], vcc
	s_cbranch_execz .LBB489_693
; %bb.690:
	s_movk_i32 s11, 0x7f
	v_and_b32_e32 v11, 0x7f, v10
	v_cmp_ne_u32_e32 vcc, s11, v11
	v_mov_b32_e32 v15, 0x7f800001
	s_and_saveexec_b64 s[16:17], vcc
	s_cbranch_execz .LBB489_692
; %bb.691:
	v_and_b32_e32 v12, 7, v10
	v_ffbh_u32_e32 v16, v12
	v_min_u32_e32 v18, 32, v16
	v_subrev_u32_e32 v16, 28, v18
	v_lshlrev_b64 v[16:17], v16, v[10:11]
	v_lshrrev_b32_e32 v15, 3, v11
	v_sub_u32_e32 v10, 29, v18
	v_and_b32_e32 v16, 7, v16
	v_cmp_gt_u32_e32 vcc, 8, v11
	v_cndmask_b32_e32 v10, v15, v10, vcc
	v_cndmask_b32_e32 v11, v12, v16, vcc
	v_lshlrev_b32_e32 v12, 16, v6
	v_bfrev_b32_e32 v15, 60
	v_lshlrev_b32_e32 v11, 20, v11
	v_and_b32_e32 v12, 0x80000000, v12
	v_lshl_add_u32 v10, v10, 23, v15
	v_or3_b32 v15, v12, v10, v11
.LBB489_692:
	s_or_b64 exec, exec, s[16:17]
.LBB489_693:
	s_or_b64 exec, exec, s[14:15]
.LBB489_694:
	s_or_b64 exec, exec, s[12:13]
	s_movk_i32 s11, 0xff
	v_and_b32_sdwa v11, v6, s11 dst_sel:DWORD dst_unused:UNUSED_PAD src0_sel:WORD_1 src1_sel:DWORD
	v_lshrrev_b32_e32 v10, 16, v6
	v_cmp_ne_u16_e32 vcc, 0, v11
	s_and_saveexec_b64 s[12:13], vcc
	s_cbranch_execz .LBB489_700
; %bb.695:
	s_movk_i32 s11, 0x80
	v_cmp_ne_u16_e32 vcc, s11, v11
	v_bfrev_b32_e32 v13, 1
	s_and_saveexec_b64 s[14:15], vcc
	s_cbranch_execz .LBB489_699
; %bb.696:
	v_bfe_u32 v11, v6, 16, 7
	s_movk_i32 s11, 0x7f
	v_cmp_ne_u32_e32 vcc, s11, v11
	v_mov_b32_e32 v13, 0x7f800001
	s_and_saveexec_b64 s[16:17], vcc
	s_cbranch_execz .LBB489_698
; %bb.697:
	v_and_b32_e32 v16, 7, v10
	v_ffbh_u32_e32 v12, v16
	v_min_u32_e32 v18, 32, v12
	v_subrev_u32_e32 v12, 28, v18
	v_lshlrev_b64 v[12:13], v12, v[10:11]
	v_and_b32_e32 v12, 7, v12
	v_cmp_gt_u32_e32 vcc, 8, v11
	v_lshrrev_b32_e32 v17, 3, v11
	v_sub_u32_e32 v10, 29, v18
	v_cndmask_b32_e32 v11, v16, v12, vcc
	v_mov_b32_e32 v12, 24
	v_cndmask_b32_e32 v10, v17, v10, vcc
	v_lshlrev_b32_sdwa v12, v12, v6 dst_sel:DWORD dst_unused:UNUSED_PAD src0_sel:DWORD src1_sel:WORD_1
	v_bfrev_b32_e32 v13, 60
	v_lshlrev_b32_e32 v11, 20, v11
	v_and_b32_e32 v12, 0x80000000, v12
	v_lshl_add_u32 v10, v10, 23, v13
	v_or3_b32 v13, v12, v10, v11
.LBB489_698:
	s_or_b64 exec, exec, s[16:17]
.LBB489_699:
	s_or_b64 exec, exec, s[14:15]
.LBB489_700:
	s_or_b64 exec, exec, s[12:13]
	s_mov_b32 s11, 0xffffff
	v_cmp_lt_u32_e32 vcc, s11, v6
	v_mov_b32_e32 v11, 0
	v_mov_b32_e32 v16, 0
	s_and_saveexec_b64 s[12:13], vcc
	s_cbranch_execz .LBB489_706
; %bb.701:
	v_lshrrev_b32_e32 v10, 24, v6
	s_movk_i32 s11, 0x80
	v_cmp_ne_u32_e32 vcc, s11, v10
	v_bfrev_b32_e32 v16, 1
	s_and_saveexec_b64 s[14:15], vcc
	s_cbranch_execz .LBB489_705
; %bb.702:
	v_bfe_u32 v12, v6, 24, 7
	s_movk_i32 s11, 0x7f
	v_cmp_ne_u32_e32 vcc, s11, v12
	v_mov_b32_e32 v16, 0x7f800001
	s_and_saveexec_b64 s[16:17], vcc
	s_cbranch_execz .LBB489_704
; %bb.703:
	v_and_b32_e32 v18, 7, v10
	v_ffbh_u32_e32 v16, v18
	v_min_u32_e32 v20, 32, v16
	v_subrev_u32_e32 v16, 28, v20
	v_lshlrev_b64 v[16:17], v16, v[10:11]
	v_lshrrev_b32_e32 v19, 3, v12
	v_sub_u32_e32 v17, 29, v20
	v_and_b32_e32 v16, 7, v16
	v_cmp_gt_u32_e32 vcc, 8, v12
	v_cndmask_b32_e32 v12, v19, v17, vcc
	v_cndmask_b32_e32 v16, v18, v16, vcc
	v_lshlrev_b32_e32 v10, 24, v10
	v_bfrev_b32_e32 v17, 60
	v_lshlrev_b32_e32 v16, 20, v16
	v_and_b32_e32 v10, 0x80000000, v10
	v_lshl_add_u32 v12, v12, 23, v17
	v_or3_b32 v16, v10, v12, v16
.LBB489_704:
	s_or_b64 exec, exec, s[16:17]
.LBB489_705:
	s_or_b64 exec, exec, s[14:15]
.LBB489_706:
	s_or_b64 exec, exec, s[12:13]
	v_mov_b32_e32 v10, v7
	v_cmp_ne_u16_sdwa s[14:15], v7, v11 src0_sel:BYTE_0 src1_sel:DWORD
	s_and_saveexec_b64 s[12:13], s[14:15]
	s_cbranch_execz .LBB489_712
; %bb.707:
	s_movk_i32 s11, 0x80
	v_cmp_ne_u16_sdwa s[16:17], v7, s11 src0_sel:BYTE_0 src1_sel:DWORD
	v_bfrev_b32_e32 v12, 1
	s_and_saveexec_b64 s[14:15], s[16:17]
	s_cbranch_execz .LBB489_711
; %bb.708:
	s_movk_i32 s11, 0x7f
	v_and_b32_e32 v17, 0x7f, v7
	v_cmp_ne_u32_e32 vcc, s11, v17
	v_mov_b32_e32 v12, 0x7f800001
	s_and_saveexec_b64 s[16:17], vcc
	s_cbranch_execz .LBB489_710
; %bb.709:
	v_and_b32_e32 v12, 7, v7
	v_ffbh_u32_e32 v12, v12
	v_min_u32_e32 v12, 32, v12
	v_subrev_u32_e32 v19, 28, v12
	v_cmp_gt_u32_e32 vcc, 8, v17
	v_lshrrev_b32_e32 v18, 3, v17
	v_sub_u32_e32 v12, 29, v12
	v_cndmask_b32_e32 v17, 0, v19, vcc
	v_cndmask_b32_e32 v12, v18, v12, vcc
	v_lshlrev_b64 v[18:19], v17, v[10:11]
	v_lshlrev_b32_e32 v11, 20, v18
	v_lshlrev_b32_e32 v17, 24, v10
	v_bfrev_b32_e32 v18, 60
	v_and_b32_e32 v11, 0x700000, v11
	v_and_b32_e32 v17, 0x80000000, v17
	v_lshl_add_u32 v12, v12, 23, v18
	v_or3_b32 v12, v17, v12, v11
.LBB489_710:
	s_or_b64 exec, exec, s[16:17]
.LBB489_711:
	s_or_b64 exec, exec, s[14:15]
	v_mov_b32_e32 v11, v12
.LBB489_712:
	s_or_b64 exec, exec, s[12:13]
	v_lshrrev_b16_e32 v12, 8, v10
	v_cmp_ne_u16_e32 vcc, 0, v12
	v_mov_b32_e32 v17, 0
	v_mov_b32_e32 v18, 0
	s_and_saveexec_b64 s[12:13], vcc
	s_cbranch_execz .LBB489_718
; %bb.713:
	s_movk_i32 s11, 0x80
	v_cmp_ne_u16_e32 vcc, s11, v12
	v_bfrev_b32_e32 v18, 1
	s_and_saveexec_b64 s[14:15], vcc
	s_cbranch_execz .LBB489_717
; %bb.714:
	s_movk_i32 s11, 0x7f
	v_and_b32_e32 v19, 0x7f, v12
	v_cmp_ne_u32_e32 vcc, s11, v19
	v_mov_b32_e32 v18, 0x7f800001
	s_and_saveexec_b64 s[16:17], vcc
	s_cbranch_execz .LBB489_716
; %bb.715:
	v_and_b32_e32 v18, 7, v12
	v_ffbh_u32_e32 v20, v18
	v_min_u32_e32 v23, 32, v20
	v_subrev_u32_e32 v20, 28, v23
	v_lshlrev_b64 v[20:21], v20, v[12:13]
	v_lshrrev_b32_e32 v22, 3, v19
	v_sub_u32_e32 v12, 29, v23
	v_and_b32_e32 v20, 7, v20
	v_cmp_gt_u32_e32 vcc, 8, v19
	v_cndmask_b32_e32 v12, v22, v12, vcc
	v_cndmask_b32_e32 v18, v18, v20, vcc
	v_lshlrev_b32_e32 v10, 16, v10
	v_bfrev_b32_e32 v19, 60
	v_lshlrev_b32_e32 v18, 20, v18
	v_and_b32_e32 v10, 0x80000000, v10
	v_lshl_add_u32 v12, v12, 23, v19
	v_or3_b32 v18, v10, v12, v18
.LBB489_716:
	s_or_b64 exec, exec, s[16:17]
.LBB489_717:
	s_or_b64 exec, exec, s[14:15]
.LBB489_718:
	s_or_b64 exec, exec, s[12:13]
	s_movk_i32 s11, 0xff
	v_and_b32_sdwa v12, v7, s11 dst_sel:DWORD dst_unused:UNUSED_PAD src0_sel:WORD_1 src1_sel:DWORD
	v_lshrrev_b32_e32 v10, 16, v7
	v_cmp_ne_u16_e32 vcc, 0, v12
	s_and_saveexec_b64 s[12:13], vcc
	s_cbranch_execz .LBB489_724
; %bb.719:
	s_movk_i32 s11, 0x80
	v_cmp_ne_u16_e32 vcc, s11, v12
	v_bfrev_b32_e32 v17, 1
	s_and_saveexec_b64 s[14:15], vcc
	s_cbranch_execz .LBB489_723
; %bb.720:
	v_bfe_u32 v12, v7, 16, 7
	s_movk_i32 s11, 0x7f
	v_cmp_ne_u32_e32 vcc, s11, v12
	v_mov_b32_e32 v17, 0x7f800001
	s_and_saveexec_b64 s[16:17], vcc
	s_cbranch_execz .LBB489_722
; %bb.721:
	v_and_b32_e32 v17, 7, v10
	v_ffbh_u32_e32 v20, v17
	v_min_u32_e32 v22, 32, v20
	v_subrev_u32_e32 v20, 28, v22
	v_lshlrev_b64 v[20:21], v20, v[10:11]
	v_and_b32_e32 v20, 7, v20
	v_cmp_gt_u32_e32 vcc, 8, v12
	v_lshrrev_b32_e32 v19, 3, v12
	v_sub_u32_e32 v10, 29, v22
	v_cndmask_b32_e32 v12, v17, v20, vcc
	v_mov_b32_e32 v17, 24
	v_cndmask_b32_e32 v10, v19, v10, vcc
	v_lshlrev_b32_sdwa v17, v17, v7 dst_sel:DWORD dst_unused:UNUSED_PAD src0_sel:DWORD src1_sel:WORD_1
	v_bfrev_b32_e32 v19, 60
	v_lshlrev_b32_e32 v12, 20, v12
	v_and_b32_e32 v17, 0x80000000, v17
	v_lshl_add_u32 v10, v10, 23, v19
	v_or3_b32 v17, v17, v10, v12
.LBB489_722:
	s_or_b64 exec, exec, s[16:17]
.LBB489_723:
	s_or_b64 exec, exec, s[14:15]
.LBB489_724:
	s_or_b64 exec, exec, s[12:13]
	s_mov_b32 s12, -1
	s_mov_b32 s13, 0xffffff
	v_cmp_lt_u64_e32 vcc, s[12:13], v[6:7]
	v_mov_b32_e32 v12, 0
	v_mov_b32_e32 v10, 0
	s_and_saveexec_b64 s[12:13], vcc
	s_cbranch_execz .LBB489_730
; %bb.725:
	v_lshrrev_b32_e32 v6, 24, v7
	s_movk_i32 s11, 0x80
	v_cmp_ne_u32_e32 vcc, s11, v6
	v_bfrev_b32_e32 v10, 1
	s_and_saveexec_b64 s[14:15], vcc
	s_cbranch_execz .LBB489_729
; %bb.726:
	v_bfe_u32 v7, v7, 24, 7
	s_movk_i32 s11, 0x7f
	v_cmp_ne_u32_e32 vcc, s11, v7
	v_mov_b32_e32 v10, 0x7f800001
	s_and_saveexec_b64 s[16:17], vcc
	s_cbranch_execz .LBB489_728
; %bb.727:
	v_and_b32_e32 v10, 7, v6
	v_ffbh_u32_e32 v20, v10
	v_min_u32_e32 v22, 32, v20
	v_subrev_u32_e32 v20, 28, v22
	v_lshlrev_b64 v[20:21], v20, v[6:7]
	v_lshrrev_b32_e32 v19, 3, v7
	v_sub_u32_e32 v21, 29, v22
	v_and_b32_e32 v20, 7, v20
	v_cmp_gt_u32_e32 vcc, 8, v7
	v_cndmask_b32_e32 v7, v19, v21, vcc
	v_cndmask_b32_e32 v10, v10, v20, vcc
	v_lshlrev_b32_e32 v6, 24, v6
	v_bfrev_b32_e32 v19, 60
	v_lshlrev_b32_e32 v10, 20, v10
	v_and_b32_e32 v6, 0x80000000, v6
	v_lshl_add_u32 v7, v7, 23, v19
	v_or3_b32 v10, v6, v7, v10
.LBB489_728:
	s_or_b64 exec, exec, s[16:17]
.LBB489_729:
	s_or_b64 exec, exec, s[14:15]
.LBB489_730:
	s_or_b64 exec, exec, s[12:13]
	v_cvt_pkrtz_f16_f32 v6, v14, v15
	v_cvt_pkrtz_f16_f32 v7, v13, v16
	;; [unrolled: 1-line block ×4, first 2 shown]
	v_mfma_f32_4x4x4f16 a[0:3], v[2:3], v[6:7], a[0:3] cbsz:4 abid:14
	v_cmp_ne_u16_sdwa s[14:15], v8, v12 src0_sel:BYTE_0 src1_sel:DWORD
	v_mfma_f32_4x4x4f16 a[0:3], v[4:5], v[14:15], a[0:3] cbsz:4 abid:14
	s_and_saveexec_b64 s[12:13], s[14:15]
	s_cbranch_execz .LBB489_736
; %bb.731:
	s_movk_i32 s11, 0x80
	v_cmp_ne_u16_sdwa s[16:17], v8, s11 src0_sel:BYTE_0 src1_sel:DWORD
	v_bfrev_b32_e32 v12, 1
	s_and_saveexec_b64 s[14:15], s[16:17]
	s_cbranch_execz .LBB489_735
; %bb.732:
	s_movk_i32 s11, 0x7f
	v_and_b32_e32 v6, 0x7f, v8
	v_cmp_ne_u32_e32 vcc, s11, v6
	v_mov_b32_e32 v12, 0x7f800001
	s_and_saveexec_b64 s[16:17], vcc
	s_cbranch_execz .LBB489_734
; %bb.733:
	v_and_b32_e32 v7, 7, v8
	v_ffbh_u32_e32 v7, v7
	v_min_u32_e32 v7, 32, v7
	v_subrev_u32_e32 v11, 28, v7
	v_cmp_gt_u32_e32 vcc, 8, v6
	v_lshrrev_b32_e32 v10, 3, v6
	v_sub_u32_e32 v7, 29, v7
	v_cndmask_b32_e32 v6, 0, v11, vcc
	v_cndmask_b32_e32 v10, v10, v7, vcc
	v_lshlrev_b64 v[6:7], v6, v[8:9]
	v_lshlrev_b32_e32 v6, 20, v6
	v_lshlrev_b32_e32 v7, 24, v8
	v_bfrev_b32_e32 v11, 60
	v_and_b32_e32 v6, 0x700000, v6
	v_and_b32_e32 v7, 0x80000000, v7
	v_lshl_add_u32 v10, v10, 23, v11
	v_or3_b32 v12, v7, v10, v6
.LBB489_734:
	s_or_b64 exec, exec, s[16:17]
.LBB489_735:
	s_or_b64 exec, exec, s[14:15]
.LBB489_736:
	s_or_b64 exec, exec, s[12:13]
	v_lshrrev_b16_e32 v6, 8, v8
	v_cmp_ne_u16_e32 vcc, 0, v6
	v_mov_b32_e32 v11, 0
	v_mov_b32_e32 v13, 0
	s_and_saveexec_b64 s[12:13], vcc
	s_cbranch_execz .LBB489_742
; %bb.737:
	s_movk_i32 s11, 0x80
	v_cmp_ne_u16_e32 vcc, s11, v6
	v_bfrev_b32_e32 v13, 1
	s_and_saveexec_b64 s[14:15], vcc
	s_cbranch_execz .LBB489_741
; %bb.738:
	s_movk_i32 s11, 0x7f
	v_and_b32_e32 v7, 0x7f, v6
	v_cmp_ne_u32_e32 vcc, s11, v7
	v_mov_b32_e32 v13, 0x7f800001
	s_and_saveexec_b64 s[16:17], vcc
	s_cbranch_execz .LBB489_740
; %bb.739:
	v_and_b32_e32 v10, 7, v6
	v_ffbh_u32_e32 v14, v10
	v_min_u32_e32 v16, 32, v14
	v_subrev_u32_e32 v14, 28, v16
	v_lshlrev_b64 v[14:15], v14, v[6:7]
	v_lshrrev_b32_e32 v13, 3, v7
	v_sub_u32_e32 v6, 29, v16
	v_and_b32_e32 v14, 7, v14
	v_cmp_gt_u32_e32 vcc, 8, v7
	v_cndmask_b32_e32 v6, v13, v6, vcc
	v_cndmask_b32_e32 v7, v10, v14, vcc
	v_lshlrev_b32_e32 v10, 16, v8
	v_bfrev_b32_e32 v13, 60
	v_lshlrev_b32_e32 v7, 20, v7
	v_and_b32_e32 v10, 0x80000000, v10
	v_lshl_add_u32 v6, v6, 23, v13
	v_or3_b32 v13, v10, v6, v7
.LBB489_740:
	s_or_b64 exec, exec, s[16:17]
.LBB489_741:
	s_or_b64 exec, exec, s[14:15]
.LBB489_742:
	s_or_b64 exec, exec, s[12:13]
	s_movk_i32 s11, 0xff
	v_and_b32_sdwa v7, v8, s11 dst_sel:DWORD dst_unused:UNUSED_PAD src0_sel:WORD_1 src1_sel:DWORD
	v_lshrrev_b32_e32 v6, 16, v8
	v_cmp_ne_u16_e32 vcc, 0, v7
	s_and_saveexec_b64 s[12:13], vcc
	s_cbranch_execz .LBB489_748
; %bb.743:
	s_movk_i32 s11, 0x80
	v_cmp_ne_u16_e32 vcc, s11, v7
	v_bfrev_b32_e32 v11, 1
	s_and_saveexec_b64 s[14:15], vcc
	s_cbranch_execz .LBB489_747
; %bb.744:
	v_bfe_u32 v7, v8, 16, 7
	s_movk_i32 s11, 0x7f
	v_cmp_ne_u32_e32 vcc, s11, v7
	v_mov_b32_e32 v11, 0x7f800001
	s_and_saveexec_b64 s[16:17], vcc
	s_cbranch_execz .LBB489_746
; %bb.745:
	v_and_b32_e32 v14, 7, v6
	v_ffbh_u32_e32 v10, v14
	v_min_u32_e32 v16, 32, v10
	v_subrev_u32_e32 v10, 28, v16
	v_lshlrev_b64 v[10:11], v10, v[6:7]
	v_and_b32_e32 v10, 7, v10
	v_cmp_gt_u32_e32 vcc, 8, v7
	v_lshrrev_b32_e32 v15, 3, v7
	v_sub_u32_e32 v6, 29, v16
	v_cndmask_b32_e32 v7, v14, v10, vcc
	v_mov_b32_e32 v10, 24
	v_cndmask_b32_e32 v6, v15, v6, vcc
	v_lshlrev_b32_sdwa v10, v10, v8 dst_sel:DWORD dst_unused:UNUSED_PAD src0_sel:DWORD src1_sel:WORD_1
	v_bfrev_b32_e32 v11, 60
	v_lshlrev_b32_e32 v7, 20, v7
	v_and_b32_e32 v10, 0x80000000, v10
	v_lshl_add_u32 v6, v6, 23, v11
	v_or3_b32 v11, v10, v6, v7
.LBB489_746:
	s_or_b64 exec, exec, s[16:17]
.LBB489_747:
	s_or_b64 exec, exec, s[14:15]
.LBB489_748:
	s_or_b64 exec, exec, s[12:13]
	s_mov_b32 s11, 0xffffff
	v_cmp_lt_u32_e32 vcc, s11, v8
	v_mov_b32_e32 v7, 0
	v_mov_b32_e32 v14, 0
	s_and_saveexec_b64 s[12:13], vcc
	s_cbranch_execz .LBB489_754
; %bb.749:
	v_lshrrev_b32_e32 v6, 24, v8
	s_movk_i32 s11, 0x80
	v_cmp_ne_u32_e32 vcc, s11, v6
	v_bfrev_b32_e32 v14, 1
	s_and_saveexec_b64 s[14:15], vcc
	s_cbranch_execz .LBB489_753
; %bb.750:
	v_bfe_u32 v10, v8, 24, 7
	s_movk_i32 s11, 0x7f
	v_cmp_ne_u32_e32 vcc, s11, v10
	v_mov_b32_e32 v14, 0x7f800001
	s_and_saveexec_b64 s[16:17], vcc
	s_cbranch_execz .LBB489_752
; %bb.751:
	v_and_b32_e32 v16, 7, v6
	v_ffbh_u32_e32 v14, v16
	v_min_u32_e32 v18, 32, v14
	v_subrev_u32_e32 v14, 28, v18
	v_lshlrev_b64 v[14:15], v14, v[6:7]
	v_lshrrev_b32_e32 v17, 3, v10
	v_sub_u32_e32 v15, 29, v18
	v_and_b32_e32 v14, 7, v14
	v_cmp_gt_u32_e32 vcc, 8, v10
	v_cndmask_b32_e32 v10, v17, v15, vcc
	v_cndmask_b32_e32 v14, v16, v14, vcc
	v_lshlrev_b32_e32 v6, 24, v6
	v_bfrev_b32_e32 v15, 60
	v_lshlrev_b32_e32 v14, 20, v14
	v_and_b32_e32 v6, 0x80000000, v6
	v_lshl_add_u32 v10, v10, 23, v15
	v_or3_b32 v14, v6, v10, v14
.LBB489_752:
	s_or_b64 exec, exec, s[16:17]
.LBB489_753:
	s_or_b64 exec, exec, s[14:15]
.LBB489_754:
	s_or_b64 exec, exec, s[12:13]
	v_mov_b32_e32 v6, v9
	v_cmp_ne_u16_sdwa s[14:15], v9, v7 src0_sel:BYTE_0 src1_sel:DWORD
	s_and_saveexec_b64 s[12:13], s[14:15]
	s_cbranch_execz .LBB489_760
; %bb.755:
	s_movk_i32 s11, 0x80
	v_cmp_ne_u16_sdwa s[16:17], v9, s11 src0_sel:BYTE_0 src1_sel:DWORD
	v_bfrev_b32_e32 v10, 1
	s_and_saveexec_b64 s[14:15], s[16:17]
	s_cbranch_execz .LBB489_759
; %bb.756:
	s_movk_i32 s11, 0x7f
	v_and_b32_e32 v15, 0x7f, v9
	v_cmp_ne_u32_e32 vcc, s11, v15
	v_mov_b32_e32 v10, 0x7f800001
	s_and_saveexec_b64 s[16:17], vcc
	s_cbranch_execz .LBB489_758
; %bb.757:
	v_and_b32_e32 v10, 7, v9
	v_ffbh_u32_e32 v10, v10
	v_min_u32_e32 v10, 32, v10
	v_subrev_u32_e32 v17, 28, v10
	v_cmp_gt_u32_e32 vcc, 8, v15
	v_lshrrev_b32_e32 v16, 3, v15
	v_sub_u32_e32 v10, 29, v10
	v_cndmask_b32_e32 v15, 0, v17, vcc
	v_cndmask_b32_e32 v10, v16, v10, vcc
	v_lshlrev_b64 v[16:17], v15, v[6:7]
	v_lshlrev_b32_e32 v7, 20, v16
	v_lshlrev_b32_e32 v15, 24, v6
	v_bfrev_b32_e32 v16, 60
	v_and_b32_e32 v7, 0x700000, v7
	v_and_b32_e32 v15, 0x80000000, v15
	v_lshl_add_u32 v10, v10, 23, v16
	v_or3_b32 v10, v15, v10, v7
.LBB489_758:
	s_or_b64 exec, exec, s[16:17]
.LBB489_759:
	s_or_b64 exec, exec, s[14:15]
	v_mov_b32_e32 v7, v10
.LBB489_760:
	s_or_b64 exec, exec, s[12:13]
	v_lshrrev_b16_e32 v10, 8, v6
	v_cmp_ne_u16_e32 vcc, 0, v10
	v_mov_b32_e32 v15, 0
	v_mov_b32_e32 v16, 0
	s_and_saveexec_b64 s[12:13], vcc
	s_cbranch_execz .LBB489_766
; %bb.761:
	s_movk_i32 s11, 0x80
	v_cmp_ne_u16_e32 vcc, s11, v10
	v_bfrev_b32_e32 v16, 1
	s_and_saveexec_b64 s[14:15], vcc
	s_cbranch_execz .LBB489_765
; %bb.762:
	s_movk_i32 s11, 0x7f
	v_and_b32_e32 v17, 0x7f, v10
	v_cmp_ne_u32_e32 vcc, s11, v17
	v_mov_b32_e32 v16, 0x7f800001
	s_and_saveexec_b64 s[16:17], vcc
	s_cbranch_execz .LBB489_764
; %bb.763:
	v_and_b32_e32 v16, 7, v10
	v_ffbh_u32_e32 v18, v16
	v_min_u32_e32 v21, 32, v18
	v_subrev_u32_e32 v18, 28, v21
	v_lshlrev_b64 v[18:19], v18, v[10:11]
	v_lshrrev_b32_e32 v20, 3, v17
	v_sub_u32_e32 v10, 29, v21
	v_and_b32_e32 v18, 7, v18
	v_cmp_gt_u32_e32 vcc, 8, v17
	v_cndmask_b32_e32 v10, v20, v10, vcc
	v_cndmask_b32_e32 v16, v16, v18, vcc
	v_lshlrev_b32_e32 v6, 16, v6
	v_bfrev_b32_e32 v17, 60
	v_lshlrev_b32_e32 v16, 20, v16
	v_and_b32_e32 v6, 0x80000000, v6
	v_lshl_add_u32 v10, v10, 23, v17
	v_or3_b32 v16, v6, v10, v16
.LBB489_764:
	s_or_b64 exec, exec, s[16:17]
.LBB489_765:
	s_or_b64 exec, exec, s[14:15]
.LBB489_766:
	s_or_b64 exec, exec, s[12:13]
	s_movk_i32 s11, 0xff
	v_and_b32_sdwa v10, v9, s11 dst_sel:DWORD dst_unused:UNUSED_PAD src0_sel:WORD_1 src1_sel:DWORD
	v_lshrrev_b32_e32 v6, 16, v9
	v_cmp_ne_u16_e32 vcc, 0, v10
	s_and_saveexec_b64 s[12:13], vcc
	s_cbranch_execz .LBB489_772
; %bb.767:
	s_movk_i32 s11, 0x80
	v_cmp_ne_u16_e32 vcc, s11, v10
	v_bfrev_b32_e32 v15, 1
	s_and_saveexec_b64 s[14:15], vcc
	s_cbranch_execz .LBB489_771
; %bb.768:
	v_bfe_u32 v10, v9, 16, 7
	s_movk_i32 s11, 0x7f
	v_cmp_ne_u32_e32 vcc, s11, v10
	v_mov_b32_e32 v15, 0x7f800001
	s_and_saveexec_b64 s[16:17], vcc
	s_cbranch_execz .LBB489_770
; %bb.769:
	v_and_b32_e32 v15, 7, v6
	v_ffbh_u32_e32 v18, v15
	v_min_u32_e32 v20, 32, v18
	v_subrev_u32_e32 v18, 28, v20
	v_lshlrev_b64 v[18:19], v18, v[6:7]
	v_and_b32_e32 v18, 7, v18
	v_cmp_gt_u32_e32 vcc, 8, v10
	v_lshrrev_b32_e32 v17, 3, v10
	v_sub_u32_e32 v6, 29, v20
	v_cndmask_b32_e32 v10, v15, v18, vcc
	v_mov_b32_e32 v15, 24
	v_cndmask_b32_e32 v6, v17, v6, vcc
	v_lshlrev_b32_sdwa v15, v15, v9 dst_sel:DWORD dst_unused:UNUSED_PAD src0_sel:DWORD src1_sel:WORD_1
	v_bfrev_b32_e32 v17, 60
	v_lshlrev_b32_e32 v10, 20, v10
	v_and_b32_e32 v15, 0x80000000, v15
	v_lshl_add_u32 v6, v6, 23, v17
	v_or3_b32 v15, v15, v6, v10
.LBB489_770:
	s_or_b64 exec, exec, s[16:17]
.LBB489_771:
	s_or_b64 exec, exec, s[14:15]
.LBB489_772:
	s_or_b64 exec, exec, s[12:13]
	s_mov_b32 s12, -1
	s_mov_b32 s13, 0xffffff
	v_cmp_lt_u64_e32 vcc, s[12:13], v[8:9]
	v_mov_b32_e32 v8, 0
	s_and_saveexec_b64 s[12:13], vcc
	s_cbranch_execz .LBB489_778
; %bb.773:
	v_lshrrev_b32_e32 v6, 24, v9
	s_movk_i32 s11, 0x80
	v_cmp_ne_u32_e32 vcc, s11, v6
	v_bfrev_b32_e32 v8, 1
	s_and_saveexec_b64 s[14:15], vcc
	s_cbranch_execz .LBB489_777
; %bb.774:
	v_bfe_u32 v9, v9, 24, 7
	s_movk_i32 s11, 0x7f
	v_cmp_ne_u32_e32 vcc, s11, v9
	v_mov_b32_e32 v8, 0x7f800001
	s_and_saveexec_b64 s[16:17], vcc
	s_cbranch_execz .LBB489_776
; %bb.775:
	v_and_b32_e32 v8, 7, v6
	v_ffbh_u32_e32 v17, v8
	v_min_u32_e32 v17, 32, v17
	v_subrev_u32_e32 v18, 28, v17
	v_lshlrev_b64 v[18:19], v18, v[6:7]
	v_lshrrev_b32_e32 v10, 3, v9
	v_sub_u32_e32 v17, 29, v17
	v_and_b32_e32 v18, 7, v18
	v_cmp_gt_u32_e32 vcc, 8, v9
	v_cndmask_b32_e32 v9, v10, v17, vcc
	v_cndmask_b32_e32 v8, v8, v18, vcc
	v_lshlrev_b32_e32 v6, 24, v6
	v_bfrev_b32_e32 v10, 60
	v_lshlrev_b32_e32 v8, 20, v8
	v_and_b32_e32 v6, 0x80000000, v6
	v_lshl_add_u32 v9, v9, 23, v10
	v_or3_b32 v8, v6, v9, v8
.LBB489_776:
	s_or_b64 exec, exec, s[16:17]
.LBB489_777:
	s_or_b64 exec, exec, s[14:15]
.LBB489_778:
	s_or_b64 exec, exec, s[12:13]
	s_load_dword s4, s[4:5], 0x1c
	v_cvt_pkrtz_f16_f32 v10, v12, v13
	v_cvt_pkrtz_f16_f32 v11, v11, v14
	s_load_dword s5, s[20:21], 0x0
	v_cvt_pkrtz_f16_f32 v6, v7, v16
	v_mfma_f32_4x4x4f16 a[0:3], v[2:3], v[10:11], a[0:3] cbsz:4 abid:15
	v_cvt_pkrtz_f16_f32 v7, v15, v8
	s_waitcnt lgkmcnt(0)
	v_mov_b32_e32 v2, s4
	v_cmp_eq_u32_e32 vcc, 0, v43
	v_mfma_f32_4x4x4f16 a[0:3], v[4:5], v[6:7], a[0:3] cbsz:4 abid:15
	v_mul_f32_e32 v4, s5, v2
	s_nop 3
	v_accvgpr_read_b32 v7, a1
	v_accvgpr_read_b32 v6, a0
	v_pk_mul_f32 v[6:7], v[6:7], v[4:5] op_sel_hi:[1,0]
	v_accvgpr_read_b32 v3, a3
	v_accvgpr_read_b32 v2, a2
	v_pk_mul_f32 v[2:3], v[2:3], v[4:5] op_sel_hi:[1,0]
	v_cndmask_b32_e64 v4, 0, 1.0, vcc
	v_cmp_eq_u32_e32 vcc, 1, v43
	s_nop 0
	v_mfma_f32_4x4x1f32 a[0:3], v6, v4, 0
	v_cndmask_b32_e64 v4, 0, 1.0, vcc
	v_cmp_eq_u32_e32 vcc, 2, v43
	v_mov_b32_e32 v6, 0xff7fffff
	v_mfma_f32_4x4x1f32 a[0:3], v7, v4, a[0:3]
	v_cndmask_b32_e64 v4, 0, 1.0, vcc
	v_cmp_eq_u32_e32 vcc, 3, v43
	s_nop 0
	v_mfma_f32_4x4x1f32 a[0:3], v2, v4, a[0:3]
	v_cndmask_b32_e64 v2, 0, 1.0, vcc
	s_nop 1
	v_mfma_f32_4x4x1f32 a[0:3], v3, v2, a[0:3]
	v_and_b32_e32 v2, -4, v44
	v_cmp_gt_i32_e32 vcc, s9, v2
	v_lshlrev_b32_e32 v3, 2, v0
	v_and_or_b32 v3, v3, 48, v43
	v_lshlrev_b32_e32 v10, 2, v3
	v_accvgpr_read_b32 v4, a0
	v_max_f32_e32 v5, v4, v4
	v_max_f32_e32 v5, 0xff7fffff, v5
	v_accvgpr_read_b32 v7, a1
	v_cndmask_b32_e32 v5, v6, v5, vcc
	v_or_b32_e32 v6, 1, v2
	v_max_f32_e32 v8, v7, v7
	v_max_f32_e32 v8, v5, v8
	v_cmp_gt_i32_e64 s[4:5], s9, v6
	v_cndmask_b32_e64 v5, v5, v8, s[4:5]
	v_accvgpr_read_b32 v8, a2
	v_or_b32_e32 v2, 2, v2
	v_max_f32_e32 v6, v8, v8
	v_max_f32_e32 v6, v5, v6
	v_cmp_gt_i32_e64 s[12:13], s9, v2
	v_accvgpr_read_b32 v9, a3
	v_cndmask_b32_e64 v2, v5, v6, s[12:13]
	v_or_b32_e32 v5, 3, v44
	v_max_f32_e32 v6, v9, v9
	v_max_f32_e32 v6, v2, v6
	v_cmp_gt_i32_e64 s[14:15], s9, v5
	v_cndmask_b32_e64 v2, v2, v6, s[14:15]
	;;#ASMSTART
	v_nop
 v_nop
 v_max_f32_dpp v2, v2, v2 row_ror:4
	;;#ASMEND
	;;#ASMSTART
	v_nop
 v_nop
 v_max_f32_dpp v2, v2, v2 row_ror:8
	;;#ASMEND
	ds_bpermute_b32 v2, v10, v2
	s_waitcnt lgkmcnt(0)
	;;#ASMSTART
	v_nop
 v_nop
 v_max_f32_dpp v2, v2, v2 row_ror:4
	;;#ASMEND
	;;#ASMSTART
	v_nop
 v_nop
 v_max_f32_dpp v6, v2, v2 row_ror:8
	;;#ASMEND
	v_sub_f32_e32 v2, v4, v6
	v_mul_f32_e32 v2, 0x3fb8aa3b, v2
	v_sub_f32_e32 v3, v7, v6
	v_exp_f32_e32 v2, v2
	v_mul_f32_e32 v3, 0x3fb8aa3b, v3
	v_sub_f32_e32 v5, v8, v6
	v_exp_f32_e32 v3, v3
	;; [unrolled: 3-line block ×3, first 2 shown]
	v_mul_f32_e32 v7, 0x3fb8aa3b, v7
	v_exp_f32_e32 v7, v7
	v_cndmask_b32_e32 v2, 0, v2, vcc
	v_add_f32_e32 v4, 0, v2
	v_cndmask_b32_e64 v3, 0, v3, s[4:5]
	v_add_f32_e32 v8, v4, v3
	v_cndmask_b32_e64 v4, 0, v5, s[12:13]
	;; [unrolled: 2-line block ×3, first 2 shown]
	v_add_f32_e32 v7, v8, v5
	;;#ASMSTART
	v_nop
 v_nop
 v_add_f32_dpp v7, v7, v7 row_ror:4
	;;#ASMEND
	;;#ASMSTART
	v_nop
 v_nop
 v_add_f32_dpp v7, v7, v7 row_ror:8
	;;#ASMEND
	ds_bpermute_b32 v7, v10, v7
	s_waitcnt lgkmcnt(0)
	;;#ASMSTART
	v_nop
 v_nop
 v_add_f32_dpp v7, v7, v7 row_ror:4
	;;#ASMEND
	v_cmp_gt_u32_e32 vcc, 4, v1
	;;#ASMSTART
	v_nop
 v_nop
 v_add_f32_dpp v7, v7, v7 row_ror:8
	;;#ASMEND
	s_and_saveexec_b64 s[4:5], vcc
	s_cbranch_execz .LBB489_780
; %bb.779:
	v_mul_u32_u24_e32 v8, 20, v42
	v_lshl_add_u32 v8, v43, 2, v8
	v_add_u32_e32 v8, 0x1400, v8
	ds_write2_b32 v8, v6, v7 offset1:20
.LBB489_780:
	s_or_b64 exec, exec, s[4:5]
.LBB489_781:
	s_or_b64 exec, exec, s[36:37]
	v_lshlrev_b32_e32 v7, 2, v43
	v_add_u32_e32 v7, 0x1400, v7
	s_waitcnt lgkmcnt(0)
	s_barrier
	s_load_dword s4, s[34:35], 0x8
	ds_read2_b32 v[10:11], v7 offset1:5
	ds_read2_b32 v[12:13], v7 offset0:10 offset1:15
	s_mov_b32 s12, 0xff7fffff
	s_mul_i32 s5, s8, s33
	ds_read2_b32 v[14:15], v7 offset0:20 offset1:25
	s_waitcnt lgkmcnt(0)
	v_max3_f32 v8, v10, s12, v11
	v_max3_f32 v8, v8, v12, v13
	v_sub_f32_e32 v9, v10, v8
	v_sub_f32_e32 v10, v11, v8
	v_mul_f32_e32 v9, 0x3fb8aa3b, v9
	v_mul_f32_e32 v10, 0x3fb8aa3b, v10
	s_mul_i32 s5, s5, s4
	v_exp_f32_e32 v9, v9
	v_exp_f32_e32 v16, v10
	ds_read2_b32 v[10:11], v7 offset0:30 offset1:35
	v_sub_f32_e32 v7, v12, v8
	s_lshl_b32 s4, s5, 2
	s_mov_b32 s5, 0
	v_mul_f32_e32 v7, 0x3fb8aa3b, v7
	v_sub_f32_e32 v12, v13, v8
	s_lshl_b32 s20, s10, 2
	s_lshl_b64 s[8:9], s[4:5], 2
	v_exp_f32_e32 v7, v7
	v_mul_f32_e32 v12, 0x3fb8aa3b, v12
	s_add_u32 s10, s24, s8
	v_exp_f32_e32 v12, v12
	s_addc_u32 s11, s25, s9
	v_fma_f32 v9, v9, v14, 0
	s_mov_b32 s29, s5
	s_add_u32 s12, s26, s8
	v_fmac_f32_e32 v9, v16, v15
	s_addc_u32 s13, s27, s9
	s_lshl_b64 s[8:9], s[28:29], 2
	s_waitcnt lgkmcnt(0)
	v_fmac_f32_e32 v9, v7, v10
	v_or_b32_e32 v7, s20, v43
	s_add_u32 s12, s12, s8
	v_fmac_f32_e32 v9, v12, v11
	v_mul_lo_u32 v10, s33, v7
	v_mov_b32_e32 v11, 0
	s_addc_u32 s13, s13, s9
	v_lshlrev_b64 v[10:11], 2, v[10:11]
	s_add_u32 s8, s10, s8
	v_mov_b32_e32 v7, s13
	v_add_co_u32_e32 v12, vcc, s12, v10
	s_addc_u32 s9, s11, s9
	v_addc_co_u32_e32 v13, vcc, v7, v11, vcc
	v_mov_b32_e32 v7, s9
	v_add_co_u32_e32 v10, vcc, s8, v10
	v_addc_co_u32_e32 v11, vcc, v7, v11, vcc
	v_lshlrev_b32_e32 v7, 3, v42
	global_store_dword v[12:13], v8, off
	global_store_dword v[10:11], v9, off
	s_and_saveexec_b64 s[8:9], s[6:7]
	s_xor_b64 s[6:7], exec, s[8:9]
	s_cbranch_execz .LBB489_783
; %bb.782:
	s_mov_b32 s8, s5
	s_mov_b32 s9, s5
	v_mad_u32_u24 v4, v1, 40, v7
	v_pk_mov_b32 v[2:3], s[8:9], s[8:9] op_sel:[0,1]
	ds_write2st64_b64 v4, v[2:3], v[2:3] offset1:5
                                        ; implicit-def: $vgpr7
                                        ; implicit-def: $vgpr6
                                        ; implicit-def: $vgpr8
                                        ; implicit-def: $vgpr9
                                        ; implicit-def: $vgpr4
                                        ; implicit-def: $vgpr2
.LBB489_783:
	s_andn2_saveexec_b64 s[6:7], s[6:7]
	s_cbranch_execz .LBB489_1171
; %bb.784:
	v_add_f32_e32 v9, 0x358637bd, v9
	v_div_scale_f32 v10, s[8:9], v9, v9, 1.0
	v_rcp_f32_e32 v11, v10
	v_sub_f32_e32 v6, v6, v8
	v_mul_f32_e32 v6, 0x3fb8aa3b, v6
	v_exp_f32_e32 v6, v6
	v_fma_f32 v8, -v10, v11, 1.0
	v_fmac_f32_e32 v11, v8, v11
	v_div_scale_f32 v8, vcc, 1.0, v9, 1.0
	v_mul_f32_e32 v12, v8, v11
	v_fma_f32 v13, -v10, v12, v8
	v_fmac_f32_e32 v12, v13, v11
	v_fma_f32 v8, -v10, v12, v8
	v_div_fmas_f32 v8, v8, v11, v12
	v_div_fixup_f32 v8, v8, v9, 1.0
	v_mul_f32_e32 v6, v6, v8
	v_pk_mul_f32 v[4:5], v[4:5], v[6:7] op_sel_hi:[1,0]
	v_pk_mul_f32 v[2:3], v[2:3], v[6:7] op_sel_hi:[1,0]
	s_load_dword s8, s[22:23], 0x0
	v_cvt_f16_f32_e32 v2, v2
	v_cvt_f16_f32_e32 v3, v3
	;; [unrolled: 1-line block ×4, first 2 shown]
	v_mov_b32_e32 v11, 0
	v_add_u32_e32 v5, 64, v11
	v_pack_b32_f16 v2, v2, v3
	v_pack_b32_f16 v3, v4, v6
	s_waitcnt lgkmcnt(0)
	s_mov_b32 s9, s8
	s_mov_b32 s10, s8
	;; [unrolled: 1-line block ×4, first 2 shown]
	s_mov_b64 s[12:13], -1
	s_movk_i32 s5, 0x80
	s_movk_i32 s22, 0x7f
	s_mov_b32 s23, 0xffffff
	v_mov_b32_e32 v9, 0
	v_bfrev_b32_e32 v10, 60
	s_branch .LBB489_788
.LBB489_785:                            ;   in Loop: Header=BB489_788 Depth=1
	s_or_b64 exec, exec, s[18:19]
.LBB489_786:                            ;   in Loop: Header=BB489_788 Depth=1
	s_or_b64 exec, exec, s[16:17]
.LBB489_787:                            ;   in Loop: Header=BB489_788 Depth=1
	s_or_b64 exec, exec, s[14:15]
	v_cvt_pkrtz_f16_f32 v12, v13, v12
	v_cvt_pkrtz_f16_f32 v13, v11, v15
	;; [unrolled: 1-line block ×4, first 2 shown]
	v_mfma_f32_4x4x4f16 a[0:3], v[2:3], v[12:13], a[0:3] cbsz:4 abid:14
	s_mul_i32 s14, s21, 0xa00
	v_mfma_f32_4x4x4f16 a[0:3], v[2:3], v[14:15], a[0:3] cbsz:4 abid:15
	s_mov_b32 s21, 1
	s_nop 3
	v_accvgpr_read_b32 v15, a1
	v_accvgpr_read_b32 v14, a0
	v_pk_mul_f32 v[14:15], v[14:15], s[8:9]
	v_accvgpr_read_b32 v13, a3
	v_accvgpr_read_b32 v12, a2
	v_cvt_f16_f32_e32 v4, v14
	v_cvt_f16_f32_e32 v6, v15
	v_pk_mul_f32 v[12:13], v[12:13], s[10:11]
	v_cvt_f16_f32_e32 v8, v12
	v_cvt_f16_f32_e32 v11, v13
	v_pack_b32_f16 v12, v4, v6
	v_mul_u32_u24_e32 v4, 40, v1
	v_add3_u32 v4, s14, v4, v7
	s_xor_b64 s[14:15], s[12:13], -1
	v_pack_b32_f16 v13, v8, v11
	s_mov_b64 s[12:13], 0
	s_andn2_b64 vcc, exec, s[14:15]
	v_mov_b32_e32 v11, v5
	ds_write_b64 v4, v[12:13]
	s_cbranch_vccz .LBB489_1171
.LBB489_788:                            ; =>This Inner Loop Header: Depth=1
	buffer_load_dword v6, v11, s[0:3], 0 offen
	buffer_load_dword v4, v11, s[0:3], 0 offen offset:4
	v_mov_b32_e32 v13, 0
	s_waitcnt vmcnt(1)
	v_cmp_ne_u16_sdwa s[16:17], v6, v9 src0_sel:BYTE_0 src1_sel:DWORD
	s_and_saveexec_b64 s[14:15], s[16:17]
	s_cbranch_execz .LBB489_794
; %bb.789:                              ;   in Loop: Header=BB489_788 Depth=1
	v_cmp_ne_u16_sdwa s[18:19], v6, s5 src0_sel:BYTE_0 src1_sel:DWORD
	v_bfrev_b32_e32 v13, 1
	s_and_saveexec_b64 s[16:17], s[18:19]
	s_cbranch_execz .LBB489_793
; %bb.790:                              ;   in Loop: Header=BB489_788 Depth=1
	v_and_b32_e32 v8, 0x7f, v6
	v_cmp_ne_u32_e32 vcc, s22, v8
	v_mov_b32_e32 v13, 0x7f800001
	s_and_saveexec_b64 s[18:19], vcc
	s_cbranch_execz .LBB489_792
; %bb.791:                              ;   in Loop: Header=BB489_788 Depth=1
	v_and_b32_e32 v14, 7, v6
	v_ffbh_u32_e32 v12, v14
	v_min_u32_e32 v16, 32, v12
	v_subrev_u32_e32 v12, 28, v16
	v_lshlrev_b64 v[12:13], v12, v[6:7]
	v_lshrrev_b32_e32 v15, 3, v8
	v_sub_u32_e32 v13, 29, v16
	v_and_b32_e32 v12, 7, v12
	v_cmp_gt_u32_e32 vcc, 8, v8
	v_cndmask_b32_e32 v8, v15, v13, vcc
	v_cndmask_b32_e32 v12, v14, v12, vcc
	v_lshlrev_b32_e32 v13, 24, v6
	v_lshlrev_b32_e32 v12, 20, v12
	v_and_b32_e32 v13, 0x80000000, v13
	v_lshl_add_u32 v8, v8, 23, v10
	v_or3_b32 v13, v13, v8, v12
.LBB489_792:                            ;   in Loop: Header=BB489_788 Depth=1
	s_or_b64 exec, exec, s[18:19]
.LBB489_793:                            ;   in Loop: Header=BB489_788 Depth=1
	s_or_b64 exec, exec, s[16:17]
.LBB489_794:                            ;   in Loop: Header=BB489_788 Depth=1
	s_or_b64 exec, exec, s[14:15]
	v_lshrrev_b16_e32 v8, 8, v6
	v_cmp_ne_u16_e32 vcc, 0, v8
	v_mov_b32_e32 v14, 0
	v_mov_b32_e32 v15, 0
	s_and_saveexec_b64 s[14:15], vcc
	s_cbranch_execz .LBB489_800
; %bb.795:                              ;   in Loop: Header=BB489_788 Depth=1
	v_cmp_ne_u16_e32 vcc, s5, v8
	v_bfrev_b32_e32 v15, 1
	s_and_saveexec_b64 s[16:17], vcc
	s_cbranch_execz .LBB489_799
; %bb.796:                              ;   in Loop: Header=BB489_788 Depth=1
	v_and_b32_e32 v12, 0x7f, v8
	v_cmp_ne_u32_e32 vcc, s22, v12
	v_mov_b32_e32 v15, 0x7f800001
	s_and_saveexec_b64 s[18:19], vcc
	s_cbranch_execz .LBB489_798
; %bb.797:                              ;   in Loop: Header=BB489_788 Depth=1
	v_and_b32_e32 v15, 7, v8
	v_ffbh_u32_e32 v16, v15
	v_min_u32_e32 v19, 32, v16
	v_subrev_u32_e32 v16, 28, v19
	v_lshlrev_b64 v[16:17], v16, v[8:9]
	v_lshrrev_b32_e32 v18, 3, v12
	v_sub_u32_e32 v8, 29, v19
	v_and_b32_e32 v16, 7, v16
	v_cmp_gt_u32_e32 vcc, 8, v12
	v_cndmask_b32_e32 v8, v18, v8, vcc
	v_cndmask_b32_e32 v12, v15, v16, vcc
	v_lshlrev_b32_e32 v15, 16, v6
	v_lshlrev_b32_e32 v12, 20, v12
	v_and_b32_e32 v15, 0x80000000, v15
	v_lshl_add_u32 v8, v8, 23, v10
	v_or3_b32 v15, v15, v8, v12
.LBB489_798:                            ;   in Loop: Header=BB489_788 Depth=1
	s_or_b64 exec, exec, s[18:19]
.LBB489_799:                            ;   in Loop: Header=BB489_788 Depth=1
	s_or_b64 exec, exec, s[16:17]
.LBB489_800:                            ;   in Loop: Header=BB489_788 Depth=1
	s_or_b64 exec, exec, s[14:15]
	v_lshrrev_b32_e32 v8, 16, v6
	v_cmp_ne_u16_sdwa s[16:17], v8, v9 src0_sel:BYTE_0 src1_sel:DWORD
	s_and_saveexec_b64 s[14:15], s[16:17]
	s_cbranch_execz .LBB489_806
; %bb.801:                              ;   in Loop: Header=BB489_788 Depth=1
	v_cmp_ne_u16_sdwa s[18:19], v8, s5 src0_sel:BYTE_0 src1_sel:DWORD
	v_bfrev_b32_e32 v14, 1
	s_and_saveexec_b64 s[16:17], s[18:19]
	s_cbranch_execz .LBB489_805
; %bb.802:                              ;   in Loop: Header=BB489_788 Depth=1
	v_bfe_u32 v12, v6, 16, 7
	v_cmp_ne_u32_e32 vcc, s22, v12
	v_mov_b32_e32 v14, 0x7f800001
	s_and_saveexec_b64 s[18:19], vcc
	s_cbranch_execz .LBB489_804
; %bb.803:                              ;   in Loop: Header=BB489_788 Depth=1
	v_and_b32_e32 v14, 7, v8
	v_ffbh_u32_e32 v16, v14
	v_min_u32_e32 v19, 32, v16
	v_subrev_u32_e32 v16, 28, v19
	v_lshlrev_b64 v[16:17], v16, v[8:9]
	v_lshrrev_b32_e32 v18, 3, v12
	v_sub_u32_e32 v17, 29, v19
	v_and_b32_e32 v16, 7, v16
	v_cmp_gt_u32_e32 vcc, 8, v12
	v_cndmask_b32_e32 v12, v18, v17, vcc
	v_cndmask_b32_e32 v14, v14, v16, vcc
	v_lshlrev_b32_e32 v8, 24, v8
	v_lshlrev_b32_e32 v14, 20, v14
	v_and_b32_e32 v8, 0x80000000, v8
	v_lshl_add_u32 v12, v12, 23, v10
	v_or3_b32 v14, v8, v12, v14
.LBB489_804:                            ;   in Loop: Header=BB489_788 Depth=1
	s_or_b64 exec, exec, s[18:19]
.LBB489_805:                            ;   in Loop: Header=BB489_788 Depth=1
	s_or_b64 exec, exec, s[16:17]
.LBB489_806:                            ;   in Loop: Header=BB489_788 Depth=1
	s_or_b64 exec, exec, s[14:15]
	v_cmp_lt_u32_e32 vcc, s23, v6
	v_mov_b32_e32 v16, 0
	v_mov_b32_e32 v17, 0
	s_and_saveexec_b64 s[14:15], vcc
	s_cbranch_execz .LBB489_812
; %bb.807:                              ;   in Loop: Header=BB489_788 Depth=1
	v_lshrrev_b32_e32 v8, 24, v6
	v_cmp_ne_u32_e32 vcc, s5, v8
	v_bfrev_b32_e32 v17, 1
	s_and_saveexec_b64 s[16:17], vcc
	s_cbranch_execz .LBB489_811
; %bb.808:                              ;   in Loop: Header=BB489_788 Depth=1
	v_bfe_u32 v6, v6, 24, 7
	v_cmp_ne_u32_e32 vcc, s22, v6
	v_mov_b32_e32 v17, 0x7f800001
	s_and_saveexec_b64 s[18:19], vcc
	s_cbranch_execz .LBB489_810
; %bb.809:                              ;   in Loop: Header=BB489_788 Depth=1
	v_and_b32_e32 v12, 7, v8
	v_ffbh_u32_e32 v18, v12
	v_min_u32_e32 v20, 32, v18
	v_subrev_u32_e32 v18, 28, v20
	v_lshlrev_b64 v[18:19], v18, v[8:9]
	v_lshrrev_b32_e32 v17, 3, v6
	v_sub_u32_e32 v19, 29, v20
	v_and_b32_e32 v18, 7, v18
	v_cmp_gt_u32_e32 vcc, 8, v6
	v_cndmask_b32_e32 v6, v17, v19, vcc
	v_cndmask_b32_e32 v12, v12, v18, vcc
	v_lshlrev_b32_e32 v8, 24, v8
	v_lshlrev_b32_e32 v12, 20, v12
	v_and_b32_e32 v8, 0x80000000, v8
	v_lshl_add_u32 v6, v6, 23, v10
	v_or3_b32 v17, v8, v6, v12
.LBB489_810:                            ;   in Loop: Header=BB489_788 Depth=1
	s_or_b64 exec, exec, s[18:19]
.LBB489_811:                            ;   in Loop: Header=BB489_788 Depth=1
	s_or_b64 exec, exec, s[16:17]
.LBB489_812:                            ;   in Loop: Header=BB489_788 Depth=1
	s_or_b64 exec, exec, s[14:15]
	s_waitcnt vmcnt(0)
	v_cmp_ne_u16_sdwa s[16:17], v4, v9 src0_sel:BYTE_0 src1_sel:DWORD
	s_and_saveexec_b64 s[14:15], s[16:17]
	s_cbranch_execz .LBB489_818
; %bb.813:                              ;   in Loop: Header=BB489_788 Depth=1
	v_cmp_ne_u16_sdwa s[18:19], v4, s5 src0_sel:BYTE_0 src1_sel:DWORD
	v_bfrev_b32_e32 v16, 1
	s_and_saveexec_b64 s[16:17], s[18:19]
	s_cbranch_execz .LBB489_817
; %bb.814:                              ;   in Loop: Header=BB489_788 Depth=1
	v_and_b32_e32 v6, 0x7f, v4
	v_cmp_ne_u32_e32 vcc, s22, v6
	v_mov_b32_e32 v16, 0x7f800001
	s_and_saveexec_b64 s[18:19], vcc
	s_cbranch_execz .LBB489_816
; %bb.815:                              ;   in Loop: Header=BB489_788 Depth=1
	v_and_b32_e32 v8, 7, v4
	v_ffbh_u32_e32 v16, v8
	v_min_u32_e32 v16, 32, v16
	v_subrev_u32_e32 v18, 28, v16
	v_lshlrev_b64 v[18:19], v18, v[4:5]
	v_lshrrev_b32_e32 v12, 3, v6
	v_sub_u32_e32 v16, 29, v16
	v_and_b32_e32 v18, 7, v18
	v_cmp_gt_u32_e32 vcc, 8, v6
	v_cndmask_b32_e32 v6, v12, v16, vcc
	v_cndmask_b32_e32 v8, v8, v18, vcc
	v_lshlrev_b32_e32 v12, 24, v4
	v_lshlrev_b32_e32 v8, 20, v8
	v_and_b32_e32 v12, 0x80000000, v12
	v_lshl_add_u32 v6, v6, 23, v10
	v_or3_b32 v16, v12, v6, v8
.LBB489_816:                            ;   in Loop: Header=BB489_788 Depth=1
	s_or_b64 exec, exec, s[18:19]
.LBB489_817:                            ;   in Loop: Header=BB489_788 Depth=1
	s_or_b64 exec, exec, s[16:17]
.LBB489_818:                            ;   in Loop: Header=BB489_788 Depth=1
	s_or_b64 exec, exec, s[14:15]
	v_lshrrev_b16_e32 v6, 8, v4
	v_cmp_ne_u16_e32 vcc, 0, v6
	v_mov_b32_e32 v8, 0
	v_mov_b32_e32 v18, 0
	s_and_saveexec_b64 s[14:15], vcc
	s_cbranch_execz .LBB489_824
; %bb.819:                              ;   in Loop: Header=BB489_788 Depth=1
	v_cmp_ne_u16_e32 vcc, s5, v6
	v_bfrev_b32_e32 v18, 1
	s_and_saveexec_b64 s[16:17], vcc
	s_cbranch_execz .LBB489_823
; %bb.820:                              ;   in Loop: Header=BB489_788 Depth=1
	v_and_b32_e32 v12, 0x7f, v6
	v_cmp_ne_u32_e32 vcc, s22, v12
	v_mov_b32_e32 v18, 0x7f800001
	s_and_saveexec_b64 s[18:19], vcc
	s_cbranch_execz .LBB489_822
; %bb.821:                              ;   in Loop: Header=BB489_788 Depth=1
	v_and_b32_e32 v20, 7, v6
	v_ffbh_u32_e32 v18, v20
	v_min_u32_e32 v22, 32, v18
	v_subrev_u32_e32 v18, 28, v22
	v_lshlrev_b64 v[18:19], v18, v[6:7]
	v_lshrrev_b32_e32 v21, 3, v12
	v_sub_u32_e32 v6, 29, v22
	v_and_b32_e32 v18, 7, v18
	v_cmp_gt_u32_e32 vcc, 8, v12
	v_cndmask_b32_e32 v6, v21, v6, vcc
	v_cndmask_b32_e32 v12, v20, v18, vcc
	v_lshlrev_b32_e32 v18, 16, v4
	v_lshlrev_b32_e32 v12, 20, v12
	v_and_b32_e32 v18, 0x80000000, v18
	v_lshl_add_u32 v6, v6, 23, v10
	v_or3_b32 v18, v18, v6, v12
.LBB489_822:                            ;   in Loop: Header=BB489_788 Depth=1
	s_or_b64 exec, exec, s[18:19]
.LBB489_823:                            ;   in Loop: Header=BB489_788 Depth=1
	s_or_b64 exec, exec, s[16:17]
.LBB489_824:                            ;   in Loop: Header=BB489_788 Depth=1
	s_or_b64 exec, exec, s[14:15]
	v_lshrrev_b32_e32 v6, 16, v4
	v_cmp_ne_u16_sdwa s[16:17], v6, v9 src0_sel:BYTE_0 src1_sel:DWORD
	s_and_saveexec_b64 s[14:15], s[16:17]
	s_cbranch_execz .LBB489_830
; %bb.825:                              ;   in Loop: Header=BB489_788 Depth=1
	v_cmp_ne_u16_sdwa s[18:19], v6, s5 src0_sel:BYTE_0 src1_sel:DWORD
	v_bfrev_b32_e32 v8, 1
	s_and_saveexec_b64 s[16:17], s[18:19]
	s_cbranch_execz .LBB489_829
; %bb.826:                              ;   in Loop: Header=BB489_788 Depth=1
	v_bfe_u32 v12, v4, 16, 7
	v_cmp_ne_u32_e32 vcc, s22, v12
	v_mov_b32_e32 v8, 0x7f800001
	s_and_saveexec_b64 s[18:19], vcc
	s_cbranch_execz .LBB489_828
; %bb.827:                              ;   in Loop: Header=BB489_788 Depth=1
	v_and_b32_e32 v8, 7, v6
	v_ffbh_u32_e32 v20, v8
	v_min_u32_e32 v22, 32, v20
	v_subrev_u32_e32 v20, 28, v22
	v_lshlrev_b64 v[20:21], v20, v[6:7]
	v_lshrrev_b32_e32 v19, 3, v12
	v_sub_u32_e32 v21, 29, v22
	v_and_b32_e32 v20, 7, v20
	v_cmp_gt_u32_e32 vcc, 8, v12
	v_cndmask_b32_e32 v12, v19, v21, vcc
	v_cndmask_b32_e32 v8, v8, v20, vcc
	v_lshlrev_b32_e32 v6, 24, v6
	v_lshlrev_b32_e32 v8, 20, v8
	v_and_b32_e32 v6, 0x80000000, v6
	v_lshl_add_u32 v12, v12, 23, v10
	v_or3_b32 v8, v6, v12, v8
.LBB489_828:                            ;   in Loop: Header=BB489_788 Depth=1
	s_or_b64 exec, exec, s[18:19]
.LBB489_829:                            ;   in Loop: Header=BB489_788 Depth=1
	s_or_b64 exec, exec, s[16:17]
.LBB489_830:                            ;   in Loop: Header=BB489_788 Depth=1
	s_or_b64 exec, exec, s[14:15]
	v_cmp_lt_u32_e32 vcc, s23, v4
	v_mov_b32_e32 v12, 0
	v_mov_b32_e32 v19, 0
	s_and_saveexec_b64 s[14:15], vcc
	s_cbranch_execz .LBB489_836
; %bb.831:                              ;   in Loop: Header=BB489_788 Depth=1
	v_lshrrev_b32_e32 v6, 24, v4
	v_cmp_ne_u32_e32 vcc, s5, v6
	v_bfrev_b32_e32 v19, 1
	s_and_saveexec_b64 s[16:17], vcc
	s_cbranch_execz .LBB489_835
; %bb.832:                              ;   in Loop: Header=BB489_788 Depth=1
	v_bfe_u32 v4, v4, 24, 7
	v_cmp_ne_u32_e32 vcc, s22, v4
	v_mov_b32_e32 v19, 0x7f800001
	s_and_saveexec_b64 s[18:19], vcc
	s_cbranch_execz .LBB489_834
; %bb.833:                              ;   in Loop: Header=BB489_788 Depth=1
	v_and_b32_e32 v19, 7, v6
	v_ffbh_u32_e32 v20, v19
	v_min_u32_e32 v23, 32, v20
	v_subrev_u32_e32 v20, 28, v23
	v_lshlrev_b64 v[20:21], v20, v[6:7]
	v_lshrrev_b32_e32 v22, 3, v4
	v_sub_u32_e32 v21, 29, v23
	v_and_b32_e32 v20, 7, v20
	v_cmp_gt_u32_e32 vcc, 8, v4
	v_cndmask_b32_e32 v4, v22, v21, vcc
	v_cndmask_b32_e32 v19, v19, v20, vcc
	v_lshlrev_b32_e32 v6, 24, v6
	v_lshlrev_b32_e32 v19, 20, v19
	v_and_b32_e32 v6, 0x80000000, v6
	v_lshl_add_u32 v4, v4, 23, v10
	v_or3_b32 v19, v6, v4, v19
.LBB489_834:                            ;   in Loop: Header=BB489_788 Depth=1
	s_or_b64 exec, exec, s[18:19]
.LBB489_835:                            ;   in Loop: Header=BB489_788 Depth=1
	s_or_b64 exec, exec, s[16:17]
.LBB489_836:                            ;   in Loop: Header=BB489_788 Depth=1
	s_or_b64 exec, exec, s[14:15]
	buffer_load_dword v6, v11, s[0:3], 0 offen offset:8
	buffer_load_dword v4, v11, s[0:3], 0 offen offset:12
	v_cvt_pkrtz_f16_f32 v20, v13, v15
	v_cvt_pkrtz_f16_f32 v21, v14, v17
	v_cvt_pkrtz_f16_f32 v14, v16, v18
	v_cvt_pkrtz_f16_f32 v15, v8, v19
	v_mfma_f32_4x4x4f16 a[0:3], v[2:3], v[20:21], 0 cbsz:4
	s_waitcnt vmcnt(1)
	v_cmp_ne_u16_sdwa s[16:17], v6, v9 src0_sel:BYTE_0 src1_sel:DWORD
	v_mfma_f32_4x4x4f16 a[0:3], v[2:3], v[14:15], a[0:3] cbsz:4 abid:1
	s_and_saveexec_b64 s[14:15], s[16:17]
	s_cbranch_execz .LBB489_842
; %bb.837:                              ;   in Loop: Header=BB489_788 Depth=1
	v_cmp_ne_u16_sdwa s[18:19], v6, s5 src0_sel:BYTE_0 src1_sel:DWORD
	v_bfrev_b32_e32 v12, 1
	s_and_saveexec_b64 s[16:17], s[18:19]
	s_cbranch_execz .LBB489_841
; %bb.838:                              ;   in Loop: Header=BB489_788 Depth=1
	v_and_b32_e32 v8, 0x7f, v6
	v_cmp_ne_u32_e32 vcc, s22, v8
	v_mov_b32_e32 v12, 0x7f800001
	s_and_saveexec_b64 s[18:19], vcc
	s_cbranch_execz .LBB489_840
; %bb.839:                              ;   in Loop: Header=BB489_788 Depth=1
	v_and_b32_e32 v14, 7, v6
	v_ffbh_u32_e32 v12, v14
	v_min_u32_e32 v16, 32, v12
	v_subrev_u32_e32 v12, 28, v16
	v_lshlrev_b64 v[12:13], v12, v[6:7]
	v_lshrrev_b32_e32 v15, 3, v8
	v_sub_u32_e32 v13, 29, v16
	v_and_b32_e32 v12, 7, v12
	v_cmp_gt_u32_e32 vcc, 8, v8
	v_cndmask_b32_e32 v8, v15, v13, vcc
	v_cndmask_b32_e32 v12, v14, v12, vcc
	v_lshlrev_b32_e32 v13, 24, v6
	v_lshlrev_b32_e32 v12, 20, v12
	v_and_b32_e32 v13, 0x80000000, v13
	v_lshl_add_u32 v8, v8, 23, v10
	v_or3_b32 v12, v13, v8, v12
.LBB489_840:                            ;   in Loop: Header=BB489_788 Depth=1
	s_or_b64 exec, exec, s[18:19]
.LBB489_841:                            ;   in Loop: Header=BB489_788 Depth=1
	s_or_b64 exec, exec, s[16:17]
.LBB489_842:                            ;   in Loop: Header=BB489_788 Depth=1
	s_or_b64 exec, exec, s[14:15]
	v_lshrrev_b16_e32 v8, 8, v6
	v_cmp_ne_u16_e32 vcc, 0, v8
	v_mov_b32_e32 v14, 0
	v_mov_b32_e32 v15, 0
	s_and_saveexec_b64 s[14:15], vcc
	s_cbranch_execz .LBB489_848
; %bb.843:                              ;   in Loop: Header=BB489_788 Depth=1
	v_cmp_ne_u16_e32 vcc, s5, v8
	v_bfrev_b32_e32 v15, 1
	s_and_saveexec_b64 s[16:17], vcc
	s_cbranch_execz .LBB489_847
; %bb.844:                              ;   in Loop: Header=BB489_788 Depth=1
	v_and_b32_e32 v13, 0x7f, v8
	v_cmp_ne_u32_e32 vcc, s22, v13
	v_mov_b32_e32 v15, 0x7f800001
	s_and_saveexec_b64 s[18:19], vcc
	s_cbranch_execz .LBB489_846
; %bb.845:                              ;   in Loop: Header=BB489_788 Depth=1
	v_and_b32_e32 v15, 7, v8
	v_ffbh_u32_e32 v16, v15
	v_min_u32_e32 v19, 32, v16
	v_subrev_u32_e32 v16, 28, v19
	v_lshlrev_b64 v[16:17], v16, v[8:9]
	v_lshrrev_b32_e32 v18, 3, v13
	v_sub_u32_e32 v8, 29, v19
	v_and_b32_e32 v16, 7, v16
	v_cmp_gt_u32_e32 vcc, 8, v13
	v_cndmask_b32_e32 v8, v18, v8, vcc
	v_cndmask_b32_e32 v13, v15, v16, vcc
	v_lshlrev_b32_e32 v15, 16, v6
	v_lshlrev_b32_e32 v13, 20, v13
	v_and_b32_e32 v15, 0x80000000, v15
	v_lshl_add_u32 v8, v8, 23, v10
	v_or3_b32 v15, v15, v8, v13
.LBB489_846:                            ;   in Loop: Header=BB489_788 Depth=1
	s_or_b64 exec, exec, s[18:19]
.LBB489_847:                            ;   in Loop: Header=BB489_788 Depth=1
	s_or_b64 exec, exec, s[16:17]
.LBB489_848:                            ;   in Loop: Header=BB489_788 Depth=1
	s_or_b64 exec, exec, s[14:15]
	v_lshrrev_b32_e32 v8, 16, v6
	v_cmp_ne_u16_sdwa s[16:17], v8, v9 src0_sel:BYTE_0 src1_sel:DWORD
	s_and_saveexec_b64 s[14:15], s[16:17]
	s_cbranch_execz .LBB489_854
; %bb.849:                              ;   in Loop: Header=BB489_788 Depth=1
	v_cmp_ne_u16_sdwa s[18:19], v8, s5 src0_sel:BYTE_0 src1_sel:DWORD
	v_bfrev_b32_e32 v14, 1
	s_and_saveexec_b64 s[16:17], s[18:19]
	s_cbranch_execz .LBB489_853
; %bb.850:                              ;   in Loop: Header=BB489_788 Depth=1
	v_bfe_u32 v13, v6, 16, 7
	v_cmp_ne_u32_e32 vcc, s22, v13
	v_mov_b32_e32 v14, 0x7f800001
	s_and_saveexec_b64 s[18:19], vcc
	s_cbranch_execz .LBB489_852
; %bb.851:                              ;   in Loop: Header=BB489_788 Depth=1
	v_and_b32_e32 v14, 7, v8
	v_ffbh_u32_e32 v16, v14
	v_min_u32_e32 v19, 32, v16
	v_subrev_u32_e32 v16, 28, v19
	v_lshlrev_b64 v[16:17], v16, v[8:9]
	v_lshrrev_b32_e32 v18, 3, v13
	v_sub_u32_e32 v17, 29, v19
	v_and_b32_e32 v16, 7, v16
	v_cmp_gt_u32_e32 vcc, 8, v13
	v_cndmask_b32_e32 v13, v18, v17, vcc
	v_cndmask_b32_e32 v14, v14, v16, vcc
	v_lshlrev_b32_e32 v8, 24, v8
	v_lshlrev_b32_e32 v14, 20, v14
	v_and_b32_e32 v8, 0x80000000, v8
	v_lshl_add_u32 v13, v13, 23, v10
	v_or3_b32 v14, v8, v13, v14
.LBB489_852:                            ;   in Loop: Header=BB489_788 Depth=1
	s_or_b64 exec, exec, s[18:19]
.LBB489_853:                            ;   in Loop: Header=BB489_788 Depth=1
	s_or_b64 exec, exec, s[16:17]
.LBB489_854:                            ;   in Loop: Header=BB489_788 Depth=1
	s_or_b64 exec, exec, s[14:15]
	v_cmp_lt_u32_e32 vcc, s23, v6
	v_mov_b32_e32 v16, 0
	v_mov_b32_e32 v17, 0
	s_and_saveexec_b64 s[14:15], vcc
	s_cbranch_execz .LBB489_860
; %bb.855:                              ;   in Loop: Header=BB489_788 Depth=1
	v_lshrrev_b32_e32 v8, 24, v6
	v_cmp_ne_u32_e32 vcc, s5, v8
	v_bfrev_b32_e32 v17, 1
	s_and_saveexec_b64 s[16:17], vcc
	s_cbranch_execz .LBB489_859
; %bb.856:                              ;   in Loop: Header=BB489_788 Depth=1
	v_bfe_u32 v6, v6, 24, 7
	v_cmp_ne_u32_e32 vcc, s22, v6
	v_mov_b32_e32 v17, 0x7f800001
	s_and_saveexec_b64 s[18:19], vcc
	s_cbranch_execz .LBB489_858
; %bb.857:                              ;   in Loop: Header=BB489_788 Depth=1
	v_and_b32_e32 v13, 7, v8
	v_ffbh_u32_e32 v18, v13
	v_min_u32_e32 v20, 32, v18
	v_subrev_u32_e32 v18, 28, v20
	v_lshlrev_b64 v[18:19], v18, v[8:9]
	v_lshrrev_b32_e32 v17, 3, v6
	v_sub_u32_e32 v19, 29, v20
	v_and_b32_e32 v18, 7, v18
	v_cmp_gt_u32_e32 vcc, 8, v6
	v_cndmask_b32_e32 v6, v17, v19, vcc
	v_cndmask_b32_e32 v13, v13, v18, vcc
	v_lshlrev_b32_e32 v8, 24, v8
	v_lshlrev_b32_e32 v13, 20, v13
	v_and_b32_e32 v8, 0x80000000, v8
	v_lshl_add_u32 v6, v6, 23, v10
	v_or3_b32 v17, v8, v6, v13
.LBB489_858:                            ;   in Loop: Header=BB489_788 Depth=1
	s_or_b64 exec, exec, s[18:19]
.LBB489_859:                            ;   in Loop: Header=BB489_788 Depth=1
	s_or_b64 exec, exec, s[16:17]
.LBB489_860:                            ;   in Loop: Header=BB489_788 Depth=1
	s_or_b64 exec, exec, s[14:15]
	s_waitcnt vmcnt(0)
	v_cmp_ne_u16_sdwa s[16:17], v4, v9 src0_sel:BYTE_0 src1_sel:DWORD
	s_and_saveexec_b64 s[14:15], s[16:17]
	s_cbranch_execz .LBB489_866
; %bb.861:                              ;   in Loop: Header=BB489_788 Depth=1
	v_cmp_ne_u16_sdwa s[18:19], v4, s5 src0_sel:BYTE_0 src1_sel:DWORD
	v_bfrev_b32_e32 v16, 1
	s_and_saveexec_b64 s[16:17], s[18:19]
	s_cbranch_execz .LBB489_865
; %bb.862:                              ;   in Loop: Header=BB489_788 Depth=1
	v_and_b32_e32 v6, 0x7f, v4
	v_cmp_ne_u32_e32 vcc, s22, v6
	v_mov_b32_e32 v16, 0x7f800001
	s_and_saveexec_b64 s[18:19], vcc
	s_cbranch_execz .LBB489_864
; %bb.863:                              ;   in Loop: Header=BB489_788 Depth=1
	v_and_b32_e32 v8, 7, v4
	v_ffbh_u32_e32 v16, v8
	v_min_u32_e32 v16, 32, v16
	v_subrev_u32_e32 v18, 28, v16
	v_lshlrev_b64 v[18:19], v18, v[4:5]
	v_lshrrev_b32_e32 v13, 3, v6
	v_sub_u32_e32 v16, 29, v16
	v_and_b32_e32 v18, 7, v18
	v_cmp_gt_u32_e32 vcc, 8, v6
	v_cndmask_b32_e32 v6, v13, v16, vcc
	v_cndmask_b32_e32 v8, v8, v18, vcc
	v_lshlrev_b32_e32 v13, 24, v4
	v_lshlrev_b32_e32 v8, 20, v8
	v_and_b32_e32 v13, 0x80000000, v13
	v_lshl_add_u32 v6, v6, 23, v10
	v_or3_b32 v16, v13, v6, v8
.LBB489_864:                            ;   in Loop: Header=BB489_788 Depth=1
	s_or_b64 exec, exec, s[18:19]
.LBB489_865:                            ;   in Loop: Header=BB489_788 Depth=1
	s_or_b64 exec, exec, s[16:17]
.LBB489_866:                            ;   in Loop: Header=BB489_788 Depth=1
	s_or_b64 exec, exec, s[14:15]
	v_lshrrev_b16_e32 v6, 8, v4
	v_cmp_ne_u16_e32 vcc, 0, v6
	v_mov_b32_e32 v8, 0
	v_mov_b32_e32 v18, 0
	s_and_saveexec_b64 s[14:15], vcc
	s_cbranch_execz .LBB489_872
; %bb.867:                              ;   in Loop: Header=BB489_788 Depth=1
	v_cmp_ne_u16_e32 vcc, s5, v6
	v_bfrev_b32_e32 v18, 1
	s_and_saveexec_b64 s[16:17], vcc
	s_cbranch_execz .LBB489_871
; %bb.868:                              ;   in Loop: Header=BB489_788 Depth=1
	v_and_b32_e32 v13, 0x7f, v6
	v_cmp_ne_u32_e32 vcc, s22, v13
	v_mov_b32_e32 v18, 0x7f800001
	s_and_saveexec_b64 s[18:19], vcc
	s_cbranch_execz .LBB489_870
; %bb.869:                              ;   in Loop: Header=BB489_788 Depth=1
	v_and_b32_e32 v20, 7, v6
	v_ffbh_u32_e32 v18, v20
	v_min_u32_e32 v22, 32, v18
	v_subrev_u32_e32 v18, 28, v22
	v_lshlrev_b64 v[18:19], v18, v[6:7]
	v_lshrrev_b32_e32 v21, 3, v13
	v_sub_u32_e32 v6, 29, v22
	v_and_b32_e32 v18, 7, v18
	v_cmp_gt_u32_e32 vcc, 8, v13
	v_cndmask_b32_e32 v6, v21, v6, vcc
	v_cndmask_b32_e32 v13, v20, v18, vcc
	v_lshlrev_b32_e32 v18, 16, v4
	v_lshlrev_b32_e32 v13, 20, v13
	v_and_b32_e32 v18, 0x80000000, v18
	v_lshl_add_u32 v6, v6, 23, v10
	v_or3_b32 v18, v18, v6, v13
.LBB489_870:                            ;   in Loop: Header=BB489_788 Depth=1
	s_or_b64 exec, exec, s[18:19]
.LBB489_871:                            ;   in Loop: Header=BB489_788 Depth=1
	s_or_b64 exec, exec, s[16:17]
.LBB489_872:                            ;   in Loop: Header=BB489_788 Depth=1
	s_or_b64 exec, exec, s[14:15]
	v_lshrrev_b32_e32 v6, 16, v4
	v_cmp_ne_u16_sdwa s[16:17], v6, v9 src0_sel:BYTE_0 src1_sel:DWORD
	s_and_saveexec_b64 s[14:15], s[16:17]
	s_cbranch_execz .LBB489_878
; %bb.873:                              ;   in Loop: Header=BB489_788 Depth=1
	v_cmp_ne_u16_sdwa s[18:19], v6, s5 src0_sel:BYTE_0 src1_sel:DWORD
	v_bfrev_b32_e32 v8, 1
	s_and_saveexec_b64 s[16:17], s[18:19]
	s_cbranch_execz .LBB489_877
; %bb.874:                              ;   in Loop: Header=BB489_788 Depth=1
	v_bfe_u32 v13, v4, 16, 7
	v_cmp_ne_u32_e32 vcc, s22, v13
	v_mov_b32_e32 v8, 0x7f800001
	s_and_saveexec_b64 s[18:19], vcc
	s_cbranch_execz .LBB489_876
; %bb.875:                              ;   in Loop: Header=BB489_788 Depth=1
	v_and_b32_e32 v8, 7, v6
	v_ffbh_u32_e32 v20, v8
	v_min_u32_e32 v22, 32, v20
	v_subrev_u32_e32 v20, 28, v22
	v_lshlrev_b64 v[20:21], v20, v[6:7]
	v_lshrrev_b32_e32 v19, 3, v13
	v_sub_u32_e32 v21, 29, v22
	v_and_b32_e32 v20, 7, v20
	v_cmp_gt_u32_e32 vcc, 8, v13
	v_cndmask_b32_e32 v13, v19, v21, vcc
	v_cndmask_b32_e32 v8, v8, v20, vcc
	v_lshlrev_b32_e32 v6, 24, v6
	v_lshlrev_b32_e32 v8, 20, v8
	v_and_b32_e32 v6, 0x80000000, v6
	v_lshl_add_u32 v13, v13, 23, v10
	v_or3_b32 v8, v6, v13, v8
.LBB489_876:                            ;   in Loop: Header=BB489_788 Depth=1
	s_or_b64 exec, exec, s[18:19]
.LBB489_877:                            ;   in Loop: Header=BB489_788 Depth=1
	s_or_b64 exec, exec, s[16:17]
.LBB489_878:                            ;   in Loop: Header=BB489_788 Depth=1
	s_or_b64 exec, exec, s[14:15]
	v_cmp_lt_u32_e32 vcc, s23, v4
	v_mov_b32_e32 v13, 0
	v_mov_b32_e32 v19, 0
	s_and_saveexec_b64 s[14:15], vcc
	s_cbranch_execz .LBB489_884
; %bb.879:                              ;   in Loop: Header=BB489_788 Depth=1
	v_lshrrev_b32_e32 v6, 24, v4
	v_cmp_ne_u32_e32 vcc, s5, v6
	v_bfrev_b32_e32 v19, 1
	s_and_saveexec_b64 s[16:17], vcc
	s_cbranch_execz .LBB489_883
; %bb.880:                              ;   in Loop: Header=BB489_788 Depth=1
	v_bfe_u32 v4, v4, 24, 7
	v_cmp_ne_u32_e32 vcc, s22, v4
	v_mov_b32_e32 v19, 0x7f800001
	s_and_saveexec_b64 s[18:19], vcc
	s_cbranch_execz .LBB489_882
; %bb.881:                              ;   in Loop: Header=BB489_788 Depth=1
	v_and_b32_e32 v19, 7, v6
	v_ffbh_u32_e32 v20, v19
	v_min_u32_e32 v23, 32, v20
	v_subrev_u32_e32 v20, 28, v23
	v_lshlrev_b64 v[20:21], v20, v[6:7]
	v_lshrrev_b32_e32 v22, 3, v4
	v_sub_u32_e32 v21, 29, v23
	v_and_b32_e32 v20, 7, v20
	v_cmp_gt_u32_e32 vcc, 8, v4
	v_cndmask_b32_e32 v4, v22, v21, vcc
	v_cndmask_b32_e32 v19, v19, v20, vcc
	v_lshlrev_b32_e32 v6, 24, v6
	v_lshlrev_b32_e32 v19, 20, v19
	v_and_b32_e32 v6, 0x80000000, v6
	v_lshl_add_u32 v4, v4, 23, v10
	v_or3_b32 v19, v6, v4, v19
.LBB489_882:                            ;   in Loop: Header=BB489_788 Depth=1
	s_or_b64 exec, exec, s[18:19]
.LBB489_883:                            ;   in Loop: Header=BB489_788 Depth=1
	s_or_b64 exec, exec, s[16:17]
.LBB489_884:                            ;   in Loop: Header=BB489_788 Depth=1
	s_or_b64 exec, exec, s[14:15]
	buffer_load_dword v6, v11, s[0:3], 0 offen offset:16
	buffer_load_dword v4, v11, s[0:3], 0 offen offset:20
	v_cvt_pkrtz_f16_f32 v20, v12, v15
	v_cvt_pkrtz_f16_f32 v21, v14, v17
	;; [unrolled: 1-line block ×4, first 2 shown]
	v_mfma_f32_4x4x4f16 a[0:3], v[2:3], v[20:21], a[0:3] cbsz:4 abid:2
	s_waitcnt vmcnt(1)
	v_cmp_ne_u16_sdwa s[16:17], v6, v9 src0_sel:BYTE_0 src1_sel:DWORD
	v_mfma_f32_4x4x4f16 a[0:3], v[2:3], v[14:15], a[0:3] cbsz:4 abid:3
	s_and_saveexec_b64 s[14:15], s[16:17]
	s_cbranch_execz .LBB489_890
; %bb.885:                              ;   in Loop: Header=BB489_788 Depth=1
	v_cmp_ne_u16_sdwa s[18:19], v6, s5 src0_sel:BYTE_0 src1_sel:DWORD
	v_bfrev_b32_e32 v13, 1
	s_and_saveexec_b64 s[16:17], s[18:19]
	s_cbranch_execz .LBB489_889
; %bb.886:                              ;   in Loop: Header=BB489_788 Depth=1
	v_and_b32_e32 v8, 0x7f, v6
	v_cmp_ne_u32_e32 vcc, s22, v8
	v_mov_b32_e32 v13, 0x7f800001
	s_and_saveexec_b64 s[18:19], vcc
	s_cbranch_execz .LBB489_888
; %bb.887:                              ;   in Loop: Header=BB489_788 Depth=1
	v_and_b32_e32 v14, 7, v6
	v_ffbh_u32_e32 v12, v14
	v_min_u32_e32 v16, 32, v12
	v_subrev_u32_e32 v12, 28, v16
	v_lshlrev_b64 v[12:13], v12, v[6:7]
	v_lshrrev_b32_e32 v15, 3, v8
	v_sub_u32_e32 v13, 29, v16
	v_and_b32_e32 v12, 7, v12
	v_cmp_gt_u32_e32 vcc, 8, v8
	v_cndmask_b32_e32 v8, v15, v13, vcc
	v_cndmask_b32_e32 v12, v14, v12, vcc
	v_lshlrev_b32_e32 v13, 24, v6
	v_lshlrev_b32_e32 v12, 20, v12
	v_and_b32_e32 v13, 0x80000000, v13
	v_lshl_add_u32 v8, v8, 23, v10
	v_or3_b32 v13, v13, v8, v12
.LBB489_888:                            ;   in Loop: Header=BB489_788 Depth=1
	s_or_b64 exec, exec, s[18:19]
.LBB489_889:                            ;   in Loop: Header=BB489_788 Depth=1
	s_or_b64 exec, exec, s[16:17]
.LBB489_890:                            ;   in Loop: Header=BB489_788 Depth=1
	s_or_b64 exec, exec, s[14:15]
	v_lshrrev_b16_e32 v8, 8, v6
	v_cmp_ne_u16_e32 vcc, 0, v8
	v_mov_b32_e32 v14, 0
	v_mov_b32_e32 v15, 0
	s_and_saveexec_b64 s[14:15], vcc
	s_cbranch_execz .LBB489_896
; %bb.891:                              ;   in Loop: Header=BB489_788 Depth=1
	v_cmp_ne_u16_e32 vcc, s5, v8
	v_bfrev_b32_e32 v15, 1
	s_and_saveexec_b64 s[16:17], vcc
	s_cbranch_execz .LBB489_895
; %bb.892:                              ;   in Loop: Header=BB489_788 Depth=1
	v_and_b32_e32 v12, 0x7f, v8
	v_cmp_ne_u32_e32 vcc, s22, v12
	v_mov_b32_e32 v15, 0x7f800001
	s_and_saveexec_b64 s[18:19], vcc
	s_cbranch_execz .LBB489_894
; %bb.893:                              ;   in Loop: Header=BB489_788 Depth=1
	v_and_b32_e32 v15, 7, v8
	v_ffbh_u32_e32 v16, v15
	v_min_u32_e32 v19, 32, v16
	v_subrev_u32_e32 v16, 28, v19
	v_lshlrev_b64 v[16:17], v16, v[8:9]
	v_lshrrev_b32_e32 v18, 3, v12
	v_sub_u32_e32 v8, 29, v19
	v_and_b32_e32 v16, 7, v16
	v_cmp_gt_u32_e32 vcc, 8, v12
	v_cndmask_b32_e32 v8, v18, v8, vcc
	v_cndmask_b32_e32 v12, v15, v16, vcc
	v_lshlrev_b32_e32 v15, 16, v6
	v_lshlrev_b32_e32 v12, 20, v12
	v_and_b32_e32 v15, 0x80000000, v15
	v_lshl_add_u32 v8, v8, 23, v10
	v_or3_b32 v15, v15, v8, v12
.LBB489_894:                            ;   in Loop: Header=BB489_788 Depth=1
	s_or_b64 exec, exec, s[18:19]
.LBB489_895:                            ;   in Loop: Header=BB489_788 Depth=1
	s_or_b64 exec, exec, s[16:17]
.LBB489_896:                            ;   in Loop: Header=BB489_788 Depth=1
	s_or_b64 exec, exec, s[14:15]
	v_lshrrev_b32_e32 v8, 16, v6
	v_cmp_ne_u16_sdwa s[16:17], v8, v9 src0_sel:BYTE_0 src1_sel:DWORD
	s_and_saveexec_b64 s[14:15], s[16:17]
	s_cbranch_execz .LBB489_902
; %bb.897:                              ;   in Loop: Header=BB489_788 Depth=1
	v_cmp_ne_u16_sdwa s[18:19], v8, s5 src0_sel:BYTE_0 src1_sel:DWORD
	v_bfrev_b32_e32 v14, 1
	s_and_saveexec_b64 s[16:17], s[18:19]
	s_cbranch_execz .LBB489_901
; %bb.898:                              ;   in Loop: Header=BB489_788 Depth=1
	v_bfe_u32 v12, v6, 16, 7
	v_cmp_ne_u32_e32 vcc, s22, v12
	v_mov_b32_e32 v14, 0x7f800001
	s_and_saveexec_b64 s[18:19], vcc
	s_cbranch_execz .LBB489_900
; %bb.899:                              ;   in Loop: Header=BB489_788 Depth=1
	v_and_b32_e32 v14, 7, v8
	v_ffbh_u32_e32 v16, v14
	v_min_u32_e32 v19, 32, v16
	v_subrev_u32_e32 v16, 28, v19
	v_lshlrev_b64 v[16:17], v16, v[8:9]
	v_lshrrev_b32_e32 v18, 3, v12
	v_sub_u32_e32 v17, 29, v19
	v_and_b32_e32 v16, 7, v16
	v_cmp_gt_u32_e32 vcc, 8, v12
	v_cndmask_b32_e32 v12, v18, v17, vcc
	v_cndmask_b32_e32 v14, v14, v16, vcc
	v_lshlrev_b32_e32 v8, 24, v8
	v_lshlrev_b32_e32 v14, 20, v14
	v_and_b32_e32 v8, 0x80000000, v8
	v_lshl_add_u32 v12, v12, 23, v10
	v_or3_b32 v14, v8, v12, v14
.LBB489_900:                            ;   in Loop: Header=BB489_788 Depth=1
	s_or_b64 exec, exec, s[18:19]
.LBB489_901:                            ;   in Loop: Header=BB489_788 Depth=1
	s_or_b64 exec, exec, s[16:17]
.LBB489_902:                            ;   in Loop: Header=BB489_788 Depth=1
	s_or_b64 exec, exec, s[14:15]
	v_cmp_lt_u32_e32 vcc, s23, v6
	v_mov_b32_e32 v16, 0
	v_mov_b32_e32 v17, 0
	s_and_saveexec_b64 s[14:15], vcc
	s_cbranch_execz .LBB489_908
; %bb.903:                              ;   in Loop: Header=BB489_788 Depth=1
	v_lshrrev_b32_e32 v8, 24, v6
	v_cmp_ne_u32_e32 vcc, s5, v8
	v_bfrev_b32_e32 v17, 1
	s_and_saveexec_b64 s[16:17], vcc
	s_cbranch_execz .LBB489_907
; %bb.904:                              ;   in Loop: Header=BB489_788 Depth=1
	v_bfe_u32 v6, v6, 24, 7
	v_cmp_ne_u32_e32 vcc, s22, v6
	v_mov_b32_e32 v17, 0x7f800001
	s_and_saveexec_b64 s[18:19], vcc
	s_cbranch_execz .LBB489_906
; %bb.905:                              ;   in Loop: Header=BB489_788 Depth=1
	v_and_b32_e32 v12, 7, v8
	v_ffbh_u32_e32 v18, v12
	v_min_u32_e32 v20, 32, v18
	v_subrev_u32_e32 v18, 28, v20
	v_lshlrev_b64 v[18:19], v18, v[8:9]
	v_lshrrev_b32_e32 v17, 3, v6
	v_sub_u32_e32 v19, 29, v20
	v_and_b32_e32 v18, 7, v18
	v_cmp_gt_u32_e32 vcc, 8, v6
	v_cndmask_b32_e32 v6, v17, v19, vcc
	v_cndmask_b32_e32 v12, v12, v18, vcc
	v_lshlrev_b32_e32 v8, 24, v8
	v_lshlrev_b32_e32 v12, 20, v12
	v_and_b32_e32 v8, 0x80000000, v8
	v_lshl_add_u32 v6, v6, 23, v10
	v_or3_b32 v17, v8, v6, v12
.LBB489_906:                            ;   in Loop: Header=BB489_788 Depth=1
	s_or_b64 exec, exec, s[18:19]
.LBB489_907:                            ;   in Loop: Header=BB489_788 Depth=1
	s_or_b64 exec, exec, s[16:17]
.LBB489_908:                            ;   in Loop: Header=BB489_788 Depth=1
	s_or_b64 exec, exec, s[14:15]
	s_waitcnt vmcnt(0)
	v_cmp_ne_u16_sdwa s[16:17], v4, v9 src0_sel:BYTE_0 src1_sel:DWORD
	s_and_saveexec_b64 s[14:15], s[16:17]
	s_cbranch_execz .LBB489_914
; %bb.909:                              ;   in Loop: Header=BB489_788 Depth=1
	v_cmp_ne_u16_sdwa s[18:19], v4, s5 src0_sel:BYTE_0 src1_sel:DWORD
	v_bfrev_b32_e32 v16, 1
	s_and_saveexec_b64 s[16:17], s[18:19]
	s_cbranch_execz .LBB489_913
; %bb.910:                              ;   in Loop: Header=BB489_788 Depth=1
	v_and_b32_e32 v6, 0x7f, v4
	v_cmp_ne_u32_e32 vcc, s22, v6
	v_mov_b32_e32 v16, 0x7f800001
	s_and_saveexec_b64 s[18:19], vcc
	s_cbranch_execz .LBB489_912
; %bb.911:                              ;   in Loop: Header=BB489_788 Depth=1
	v_and_b32_e32 v8, 7, v4
	v_ffbh_u32_e32 v16, v8
	v_min_u32_e32 v16, 32, v16
	v_subrev_u32_e32 v18, 28, v16
	v_lshlrev_b64 v[18:19], v18, v[4:5]
	v_lshrrev_b32_e32 v12, 3, v6
	v_sub_u32_e32 v16, 29, v16
	v_and_b32_e32 v18, 7, v18
	v_cmp_gt_u32_e32 vcc, 8, v6
	v_cndmask_b32_e32 v6, v12, v16, vcc
	v_cndmask_b32_e32 v8, v8, v18, vcc
	v_lshlrev_b32_e32 v12, 24, v4
	v_lshlrev_b32_e32 v8, 20, v8
	v_and_b32_e32 v12, 0x80000000, v12
	v_lshl_add_u32 v6, v6, 23, v10
	v_or3_b32 v16, v12, v6, v8
.LBB489_912:                            ;   in Loop: Header=BB489_788 Depth=1
	s_or_b64 exec, exec, s[18:19]
.LBB489_913:                            ;   in Loop: Header=BB489_788 Depth=1
	s_or_b64 exec, exec, s[16:17]
.LBB489_914:                            ;   in Loop: Header=BB489_788 Depth=1
	s_or_b64 exec, exec, s[14:15]
	v_lshrrev_b16_e32 v6, 8, v4
	v_cmp_ne_u16_e32 vcc, 0, v6
	v_mov_b32_e32 v8, 0
	v_mov_b32_e32 v18, 0
	s_and_saveexec_b64 s[14:15], vcc
	s_cbranch_execz .LBB489_920
; %bb.915:                              ;   in Loop: Header=BB489_788 Depth=1
	v_cmp_ne_u16_e32 vcc, s5, v6
	v_bfrev_b32_e32 v18, 1
	s_and_saveexec_b64 s[16:17], vcc
	s_cbranch_execz .LBB489_919
; %bb.916:                              ;   in Loop: Header=BB489_788 Depth=1
	v_and_b32_e32 v12, 0x7f, v6
	v_cmp_ne_u32_e32 vcc, s22, v12
	v_mov_b32_e32 v18, 0x7f800001
	s_and_saveexec_b64 s[18:19], vcc
	s_cbranch_execz .LBB489_918
; %bb.917:                              ;   in Loop: Header=BB489_788 Depth=1
	v_and_b32_e32 v20, 7, v6
	v_ffbh_u32_e32 v18, v20
	v_min_u32_e32 v22, 32, v18
	v_subrev_u32_e32 v18, 28, v22
	v_lshlrev_b64 v[18:19], v18, v[6:7]
	v_lshrrev_b32_e32 v21, 3, v12
	v_sub_u32_e32 v6, 29, v22
	v_and_b32_e32 v18, 7, v18
	v_cmp_gt_u32_e32 vcc, 8, v12
	v_cndmask_b32_e32 v6, v21, v6, vcc
	v_cndmask_b32_e32 v12, v20, v18, vcc
	v_lshlrev_b32_e32 v18, 16, v4
	v_lshlrev_b32_e32 v12, 20, v12
	v_and_b32_e32 v18, 0x80000000, v18
	v_lshl_add_u32 v6, v6, 23, v10
	v_or3_b32 v18, v18, v6, v12
.LBB489_918:                            ;   in Loop: Header=BB489_788 Depth=1
	s_or_b64 exec, exec, s[18:19]
.LBB489_919:                            ;   in Loop: Header=BB489_788 Depth=1
	s_or_b64 exec, exec, s[16:17]
.LBB489_920:                            ;   in Loop: Header=BB489_788 Depth=1
	s_or_b64 exec, exec, s[14:15]
	v_lshrrev_b32_e32 v6, 16, v4
	v_cmp_ne_u16_sdwa s[16:17], v6, v9 src0_sel:BYTE_0 src1_sel:DWORD
	s_and_saveexec_b64 s[14:15], s[16:17]
	s_cbranch_execz .LBB489_926
; %bb.921:                              ;   in Loop: Header=BB489_788 Depth=1
	v_cmp_ne_u16_sdwa s[18:19], v6, s5 src0_sel:BYTE_0 src1_sel:DWORD
	v_bfrev_b32_e32 v8, 1
	s_and_saveexec_b64 s[16:17], s[18:19]
	s_cbranch_execz .LBB489_925
; %bb.922:                              ;   in Loop: Header=BB489_788 Depth=1
	v_bfe_u32 v12, v4, 16, 7
	v_cmp_ne_u32_e32 vcc, s22, v12
	v_mov_b32_e32 v8, 0x7f800001
	s_and_saveexec_b64 s[18:19], vcc
	s_cbranch_execz .LBB489_924
; %bb.923:                              ;   in Loop: Header=BB489_788 Depth=1
	v_and_b32_e32 v8, 7, v6
	v_ffbh_u32_e32 v20, v8
	v_min_u32_e32 v22, 32, v20
	v_subrev_u32_e32 v20, 28, v22
	v_lshlrev_b64 v[20:21], v20, v[6:7]
	v_lshrrev_b32_e32 v19, 3, v12
	v_sub_u32_e32 v21, 29, v22
	v_and_b32_e32 v20, 7, v20
	v_cmp_gt_u32_e32 vcc, 8, v12
	v_cndmask_b32_e32 v12, v19, v21, vcc
	v_cndmask_b32_e32 v8, v8, v20, vcc
	v_lshlrev_b32_e32 v6, 24, v6
	v_lshlrev_b32_e32 v8, 20, v8
	v_and_b32_e32 v6, 0x80000000, v6
	v_lshl_add_u32 v12, v12, 23, v10
	v_or3_b32 v8, v6, v12, v8
.LBB489_924:                            ;   in Loop: Header=BB489_788 Depth=1
	s_or_b64 exec, exec, s[18:19]
.LBB489_925:                            ;   in Loop: Header=BB489_788 Depth=1
	s_or_b64 exec, exec, s[16:17]
.LBB489_926:                            ;   in Loop: Header=BB489_788 Depth=1
	s_or_b64 exec, exec, s[14:15]
	v_cmp_lt_u32_e32 vcc, s23, v4
	v_mov_b32_e32 v12, 0
	v_mov_b32_e32 v19, 0
	s_and_saveexec_b64 s[14:15], vcc
	s_cbranch_execz .LBB489_932
; %bb.927:                              ;   in Loop: Header=BB489_788 Depth=1
	v_lshrrev_b32_e32 v6, 24, v4
	v_cmp_ne_u32_e32 vcc, s5, v6
	v_bfrev_b32_e32 v19, 1
	s_and_saveexec_b64 s[16:17], vcc
	s_cbranch_execz .LBB489_931
; %bb.928:                              ;   in Loop: Header=BB489_788 Depth=1
	v_bfe_u32 v4, v4, 24, 7
	v_cmp_ne_u32_e32 vcc, s22, v4
	v_mov_b32_e32 v19, 0x7f800001
	s_and_saveexec_b64 s[18:19], vcc
	s_cbranch_execz .LBB489_930
; %bb.929:                              ;   in Loop: Header=BB489_788 Depth=1
	v_and_b32_e32 v19, 7, v6
	v_ffbh_u32_e32 v20, v19
	v_min_u32_e32 v23, 32, v20
	v_subrev_u32_e32 v20, 28, v23
	v_lshlrev_b64 v[20:21], v20, v[6:7]
	v_lshrrev_b32_e32 v22, 3, v4
	v_sub_u32_e32 v21, 29, v23
	v_and_b32_e32 v20, 7, v20
	v_cmp_gt_u32_e32 vcc, 8, v4
	v_cndmask_b32_e32 v4, v22, v21, vcc
	v_cndmask_b32_e32 v19, v19, v20, vcc
	v_lshlrev_b32_e32 v6, 24, v6
	v_lshlrev_b32_e32 v19, 20, v19
	v_and_b32_e32 v6, 0x80000000, v6
	v_lshl_add_u32 v4, v4, 23, v10
	v_or3_b32 v19, v6, v4, v19
.LBB489_930:                            ;   in Loop: Header=BB489_788 Depth=1
	s_or_b64 exec, exec, s[18:19]
.LBB489_931:                            ;   in Loop: Header=BB489_788 Depth=1
	s_or_b64 exec, exec, s[16:17]
.LBB489_932:                            ;   in Loop: Header=BB489_788 Depth=1
	s_or_b64 exec, exec, s[14:15]
	buffer_load_dword v6, v11, s[0:3], 0 offen offset:24
	buffer_load_dword v4, v11, s[0:3], 0 offen offset:28
	v_cvt_pkrtz_f16_f32 v20, v13, v15
	v_cvt_pkrtz_f16_f32 v21, v14, v17
	;; [unrolled: 1-line block ×4, first 2 shown]
	v_mfma_f32_4x4x4f16 a[0:3], v[2:3], v[20:21], a[0:3] cbsz:4 abid:4
	s_waitcnt vmcnt(1)
	v_cmp_ne_u16_sdwa s[16:17], v6, v9 src0_sel:BYTE_0 src1_sel:DWORD
	v_mfma_f32_4x4x4f16 a[0:3], v[2:3], v[14:15], a[0:3] cbsz:4 abid:5
	s_and_saveexec_b64 s[14:15], s[16:17]
	s_cbranch_execz .LBB489_938
; %bb.933:                              ;   in Loop: Header=BB489_788 Depth=1
	v_cmp_ne_u16_sdwa s[18:19], v6, s5 src0_sel:BYTE_0 src1_sel:DWORD
	v_bfrev_b32_e32 v12, 1
	s_and_saveexec_b64 s[16:17], s[18:19]
	s_cbranch_execz .LBB489_937
; %bb.934:                              ;   in Loop: Header=BB489_788 Depth=1
	v_and_b32_e32 v8, 0x7f, v6
	v_cmp_ne_u32_e32 vcc, s22, v8
	v_mov_b32_e32 v12, 0x7f800001
	s_and_saveexec_b64 s[18:19], vcc
	s_cbranch_execz .LBB489_936
; %bb.935:                              ;   in Loop: Header=BB489_788 Depth=1
	v_and_b32_e32 v14, 7, v6
	v_ffbh_u32_e32 v12, v14
	v_min_u32_e32 v16, 32, v12
	v_subrev_u32_e32 v12, 28, v16
	v_lshlrev_b64 v[12:13], v12, v[6:7]
	v_lshrrev_b32_e32 v15, 3, v8
	v_sub_u32_e32 v13, 29, v16
	v_and_b32_e32 v12, 7, v12
	v_cmp_gt_u32_e32 vcc, 8, v8
	v_cndmask_b32_e32 v8, v15, v13, vcc
	v_cndmask_b32_e32 v12, v14, v12, vcc
	v_lshlrev_b32_e32 v13, 24, v6
	v_lshlrev_b32_e32 v12, 20, v12
	v_and_b32_e32 v13, 0x80000000, v13
	v_lshl_add_u32 v8, v8, 23, v10
	v_or3_b32 v12, v13, v8, v12
.LBB489_936:                            ;   in Loop: Header=BB489_788 Depth=1
	s_or_b64 exec, exec, s[18:19]
.LBB489_937:                            ;   in Loop: Header=BB489_788 Depth=1
	s_or_b64 exec, exec, s[16:17]
.LBB489_938:                            ;   in Loop: Header=BB489_788 Depth=1
	s_or_b64 exec, exec, s[14:15]
	v_lshrrev_b16_e32 v8, 8, v6
	v_cmp_ne_u16_e32 vcc, 0, v8
	v_mov_b32_e32 v14, 0
	v_mov_b32_e32 v15, 0
	s_and_saveexec_b64 s[14:15], vcc
	s_cbranch_execz .LBB489_944
; %bb.939:                              ;   in Loop: Header=BB489_788 Depth=1
	v_cmp_ne_u16_e32 vcc, s5, v8
	v_bfrev_b32_e32 v15, 1
	s_and_saveexec_b64 s[16:17], vcc
	s_cbranch_execz .LBB489_943
; %bb.940:                              ;   in Loop: Header=BB489_788 Depth=1
	v_and_b32_e32 v13, 0x7f, v8
	v_cmp_ne_u32_e32 vcc, s22, v13
	v_mov_b32_e32 v15, 0x7f800001
	s_and_saveexec_b64 s[18:19], vcc
	s_cbranch_execz .LBB489_942
; %bb.941:                              ;   in Loop: Header=BB489_788 Depth=1
	v_and_b32_e32 v15, 7, v8
	v_ffbh_u32_e32 v16, v15
	v_min_u32_e32 v19, 32, v16
	v_subrev_u32_e32 v16, 28, v19
	v_lshlrev_b64 v[16:17], v16, v[8:9]
	v_lshrrev_b32_e32 v18, 3, v13
	v_sub_u32_e32 v8, 29, v19
	v_and_b32_e32 v16, 7, v16
	v_cmp_gt_u32_e32 vcc, 8, v13
	v_cndmask_b32_e32 v8, v18, v8, vcc
	v_cndmask_b32_e32 v13, v15, v16, vcc
	v_lshlrev_b32_e32 v15, 16, v6
	v_lshlrev_b32_e32 v13, 20, v13
	v_and_b32_e32 v15, 0x80000000, v15
	v_lshl_add_u32 v8, v8, 23, v10
	v_or3_b32 v15, v15, v8, v13
.LBB489_942:                            ;   in Loop: Header=BB489_788 Depth=1
	s_or_b64 exec, exec, s[18:19]
.LBB489_943:                            ;   in Loop: Header=BB489_788 Depth=1
	s_or_b64 exec, exec, s[16:17]
.LBB489_944:                            ;   in Loop: Header=BB489_788 Depth=1
	s_or_b64 exec, exec, s[14:15]
	v_lshrrev_b32_e32 v8, 16, v6
	v_cmp_ne_u16_sdwa s[16:17], v8, v9 src0_sel:BYTE_0 src1_sel:DWORD
	s_and_saveexec_b64 s[14:15], s[16:17]
	s_cbranch_execz .LBB489_950
; %bb.945:                              ;   in Loop: Header=BB489_788 Depth=1
	v_cmp_ne_u16_sdwa s[18:19], v8, s5 src0_sel:BYTE_0 src1_sel:DWORD
	v_bfrev_b32_e32 v14, 1
	s_and_saveexec_b64 s[16:17], s[18:19]
	s_cbranch_execz .LBB489_949
; %bb.946:                              ;   in Loop: Header=BB489_788 Depth=1
	v_bfe_u32 v13, v6, 16, 7
	v_cmp_ne_u32_e32 vcc, s22, v13
	v_mov_b32_e32 v14, 0x7f800001
	s_and_saveexec_b64 s[18:19], vcc
	s_cbranch_execz .LBB489_948
; %bb.947:                              ;   in Loop: Header=BB489_788 Depth=1
	v_and_b32_e32 v14, 7, v8
	v_ffbh_u32_e32 v16, v14
	v_min_u32_e32 v19, 32, v16
	v_subrev_u32_e32 v16, 28, v19
	v_lshlrev_b64 v[16:17], v16, v[8:9]
	v_lshrrev_b32_e32 v18, 3, v13
	v_sub_u32_e32 v17, 29, v19
	v_and_b32_e32 v16, 7, v16
	v_cmp_gt_u32_e32 vcc, 8, v13
	v_cndmask_b32_e32 v13, v18, v17, vcc
	v_cndmask_b32_e32 v14, v14, v16, vcc
	v_lshlrev_b32_e32 v8, 24, v8
	v_lshlrev_b32_e32 v14, 20, v14
	v_and_b32_e32 v8, 0x80000000, v8
	v_lshl_add_u32 v13, v13, 23, v10
	v_or3_b32 v14, v8, v13, v14
.LBB489_948:                            ;   in Loop: Header=BB489_788 Depth=1
	s_or_b64 exec, exec, s[18:19]
.LBB489_949:                            ;   in Loop: Header=BB489_788 Depth=1
	s_or_b64 exec, exec, s[16:17]
.LBB489_950:                            ;   in Loop: Header=BB489_788 Depth=1
	s_or_b64 exec, exec, s[14:15]
	v_cmp_lt_u32_e32 vcc, s23, v6
	v_mov_b32_e32 v16, 0
	v_mov_b32_e32 v17, 0
	s_and_saveexec_b64 s[14:15], vcc
	s_cbranch_execz .LBB489_956
; %bb.951:                              ;   in Loop: Header=BB489_788 Depth=1
	v_lshrrev_b32_e32 v8, 24, v6
	v_cmp_ne_u32_e32 vcc, s5, v8
	v_bfrev_b32_e32 v17, 1
	s_and_saveexec_b64 s[16:17], vcc
	s_cbranch_execz .LBB489_955
; %bb.952:                              ;   in Loop: Header=BB489_788 Depth=1
	v_bfe_u32 v6, v6, 24, 7
	v_cmp_ne_u32_e32 vcc, s22, v6
	v_mov_b32_e32 v17, 0x7f800001
	s_and_saveexec_b64 s[18:19], vcc
	s_cbranch_execz .LBB489_954
; %bb.953:                              ;   in Loop: Header=BB489_788 Depth=1
	v_and_b32_e32 v13, 7, v8
	v_ffbh_u32_e32 v18, v13
	v_min_u32_e32 v20, 32, v18
	v_subrev_u32_e32 v18, 28, v20
	v_lshlrev_b64 v[18:19], v18, v[8:9]
	v_lshrrev_b32_e32 v17, 3, v6
	v_sub_u32_e32 v19, 29, v20
	v_and_b32_e32 v18, 7, v18
	v_cmp_gt_u32_e32 vcc, 8, v6
	v_cndmask_b32_e32 v6, v17, v19, vcc
	v_cndmask_b32_e32 v13, v13, v18, vcc
	v_lshlrev_b32_e32 v8, 24, v8
	v_lshlrev_b32_e32 v13, 20, v13
	v_and_b32_e32 v8, 0x80000000, v8
	v_lshl_add_u32 v6, v6, 23, v10
	v_or3_b32 v17, v8, v6, v13
.LBB489_954:                            ;   in Loop: Header=BB489_788 Depth=1
	s_or_b64 exec, exec, s[18:19]
.LBB489_955:                            ;   in Loop: Header=BB489_788 Depth=1
	s_or_b64 exec, exec, s[16:17]
.LBB489_956:                            ;   in Loop: Header=BB489_788 Depth=1
	s_or_b64 exec, exec, s[14:15]
	s_waitcnt vmcnt(0)
	v_cmp_ne_u16_sdwa s[16:17], v4, v9 src0_sel:BYTE_0 src1_sel:DWORD
	s_and_saveexec_b64 s[14:15], s[16:17]
	s_cbranch_execz .LBB489_962
; %bb.957:                              ;   in Loop: Header=BB489_788 Depth=1
	v_cmp_ne_u16_sdwa s[18:19], v4, s5 src0_sel:BYTE_0 src1_sel:DWORD
	v_bfrev_b32_e32 v16, 1
	s_and_saveexec_b64 s[16:17], s[18:19]
	s_cbranch_execz .LBB489_961
; %bb.958:                              ;   in Loop: Header=BB489_788 Depth=1
	v_and_b32_e32 v6, 0x7f, v4
	v_cmp_ne_u32_e32 vcc, s22, v6
	v_mov_b32_e32 v16, 0x7f800001
	s_and_saveexec_b64 s[18:19], vcc
	s_cbranch_execz .LBB489_960
; %bb.959:                              ;   in Loop: Header=BB489_788 Depth=1
	v_and_b32_e32 v8, 7, v4
	v_ffbh_u32_e32 v16, v8
	v_min_u32_e32 v16, 32, v16
	v_subrev_u32_e32 v18, 28, v16
	v_lshlrev_b64 v[18:19], v18, v[4:5]
	v_lshrrev_b32_e32 v13, 3, v6
	v_sub_u32_e32 v16, 29, v16
	v_and_b32_e32 v18, 7, v18
	v_cmp_gt_u32_e32 vcc, 8, v6
	v_cndmask_b32_e32 v6, v13, v16, vcc
	v_cndmask_b32_e32 v8, v8, v18, vcc
	v_lshlrev_b32_e32 v13, 24, v4
	v_lshlrev_b32_e32 v8, 20, v8
	v_and_b32_e32 v13, 0x80000000, v13
	v_lshl_add_u32 v6, v6, 23, v10
	v_or3_b32 v16, v13, v6, v8
.LBB489_960:                            ;   in Loop: Header=BB489_788 Depth=1
	s_or_b64 exec, exec, s[18:19]
.LBB489_961:                            ;   in Loop: Header=BB489_788 Depth=1
	s_or_b64 exec, exec, s[16:17]
.LBB489_962:                            ;   in Loop: Header=BB489_788 Depth=1
	s_or_b64 exec, exec, s[14:15]
	v_lshrrev_b16_e32 v6, 8, v4
	v_cmp_ne_u16_e32 vcc, 0, v6
	v_mov_b32_e32 v8, 0
	v_mov_b32_e32 v18, 0
	s_and_saveexec_b64 s[14:15], vcc
	s_cbranch_execz .LBB489_968
; %bb.963:                              ;   in Loop: Header=BB489_788 Depth=1
	v_cmp_ne_u16_e32 vcc, s5, v6
	v_bfrev_b32_e32 v18, 1
	s_and_saveexec_b64 s[16:17], vcc
	s_cbranch_execz .LBB489_967
; %bb.964:                              ;   in Loop: Header=BB489_788 Depth=1
	v_and_b32_e32 v13, 0x7f, v6
	v_cmp_ne_u32_e32 vcc, s22, v13
	v_mov_b32_e32 v18, 0x7f800001
	s_and_saveexec_b64 s[18:19], vcc
	s_cbranch_execz .LBB489_966
; %bb.965:                              ;   in Loop: Header=BB489_788 Depth=1
	v_and_b32_e32 v20, 7, v6
	v_ffbh_u32_e32 v18, v20
	v_min_u32_e32 v22, 32, v18
	v_subrev_u32_e32 v18, 28, v22
	v_lshlrev_b64 v[18:19], v18, v[6:7]
	v_lshrrev_b32_e32 v21, 3, v13
	v_sub_u32_e32 v6, 29, v22
	v_and_b32_e32 v18, 7, v18
	v_cmp_gt_u32_e32 vcc, 8, v13
	v_cndmask_b32_e32 v6, v21, v6, vcc
	v_cndmask_b32_e32 v13, v20, v18, vcc
	v_lshlrev_b32_e32 v18, 16, v4
	v_lshlrev_b32_e32 v13, 20, v13
	v_and_b32_e32 v18, 0x80000000, v18
	v_lshl_add_u32 v6, v6, 23, v10
	v_or3_b32 v18, v18, v6, v13
.LBB489_966:                            ;   in Loop: Header=BB489_788 Depth=1
	s_or_b64 exec, exec, s[18:19]
.LBB489_967:                            ;   in Loop: Header=BB489_788 Depth=1
	s_or_b64 exec, exec, s[16:17]
.LBB489_968:                            ;   in Loop: Header=BB489_788 Depth=1
	s_or_b64 exec, exec, s[14:15]
	v_lshrrev_b32_e32 v6, 16, v4
	v_cmp_ne_u16_sdwa s[16:17], v6, v9 src0_sel:BYTE_0 src1_sel:DWORD
	s_and_saveexec_b64 s[14:15], s[16:17]
	s_cbranch_execz .LBB489_974
; %bb.969:                              ;   in Loop: Header=BB489_788 Depth=1
	v_cmp_ne_u16_sdwa s[18:19], v6, s5 src0_sel:BYTE_0 src1_sel:DWORD
	v_bfrev_b32_e32 v8, 1
	s_and_saveexec_b64 s[16:17], s[18:19]
	s_cbranch_execz .LBB489_973
; %bb.970:                              ;   in Loop: Header=BB489_788 Depth=1
	v_bfe_u32 v13, v4, 16, 7
	v_cmp_ne_u32_e32 vcc, s22, v13
	v_mov_b32_e32 v8, 0x7f800001
	s_and_saveexec_b64 s[18:19], vcc
	s_cbranch_execz .LBB489_972
; %bb.971:                              ;   in Loop: Header=BB489_788 Depth=1
	v_and_b32_e32 v8, 7, v6
	v_ffbh_u32_e32 v20, v8
	v_min_u32_e32 v22, 32, v20
	v_subrev_u32_e32 v20, 28, v22
	v_lshlrev_b64 v[20:21], v20, v[6:7]
	v_lshrrev_b32_e32 v19, 3, v13
	v_sub_u32_e32 v21, 29, v22
	v_and_b32_e32 v20, 7, v20
	v_cmp_gt_u32_e32 vcc, 8, v13
	v_cndmask_b32_e32 v13, v19, v21, vcc
	v_cndmask_b32_e32 v8, v8, v20, vcc
	v_lshlrev_b32_e32 v6, 24, v6
	v_lshlrev_b32_e32 v8, 20, v8
	v_and_b32_e32 v6, 0x80000000, v6
	v_lshl_add_u32 v13, v13, 23, v10
	v_or3_b32 v8, v6, v13, v8
.LBB489_972:                            ;   in Loop: Header=BB489_788 Depth=1
	s_or_b64 exec, exec, s[18:19]
.LBB489_973:                            ;   in Loop: Header=BB489_788 Depth=1
	s_or_b64 exec, exec, s[16:17]
.LBB489_974:                            ;   in Loop: Header=BB489_788 Depth=1
	s_or_b64 exec, exec, s[14:15]
	v_cmp_lt_u32_e32 vcc, s23, v4
	v_mov_b32_e32 v13, 0
	v_mov_b32_e32 v19, 0
	s_and_saveexec_b64 s[14:15], vcc
	s_cbranch_execz .LBB489_980
; %bb.975:                              ;   in Loop: Header=BB489_788 Depth=1
	v_lshrrev_b32_e32 v6, 24, v4
	v_cmp_ne_u32_e32 vcc, s5, v6
	v_bfrev_b32_e32 v19, 1
	s_and_saveexec_b64 s[16:17], vcc
	s_cbranch_execz .LBB489_979
; %bb.976:                              ;   in Loop: Header=BB489_788 Depth=1
	v_bfe_u32 v4, v4, 24, 7
	v_cmp_ne_u32_e32 vcc, s22, v4
	v_mov_b32_e32 v19, 0x7f800001
	s_and_saveexec_b64 s[18:19], vcc
	s_cbranch_execz .LBB489_978
; %bb.977:                              ;   in Loop: Header=BB489_788 Depth=1
	v_and_b32_e32 v19, 7, v6
	v_ffbh_u32_e32 v20, v19
	v_min_u32_e32 v23, 32, v20
	v_subrev_u32_e32 v20, 28, v23
	v_lshlrev_b64 v[20:21], v20, v[6:7]
	v_lshrrev_b32_e32 v22, 3, v4
	v_sub_u32_e32 v21, 29, v23
	v_and_b32_e32 v20, 7, v20
	v_cmp_gt_u32_e32 vcc, 8, v4
	v_cndmask_b32_e32 v4, v22, v21, vcc
	v_cndmask_b32_e32 v19, v19, v20, vcc
	v_lshlrev_b32_e32 v6, 24, v6
	v_lshlrev_b32_e32 v19, 20, v19
	v_and_b32_e32 v6, 0x80000000, v6
	v_lshl_add_u32 v4, v4, 23, v10
	v_or3_b32 v19, v6, v4, v19
.LBB489_978:                            ;   in Loop: Header=BB489_788 Depth=1
	s_or_b64 exec, exec, s[18:19]
.LBB489_979:                            ;   in Loop: Header=BB489_788 Depth=1
	s_or_b64 exec, exec, s[16:17]
.LBB489_980:                            ;   in Loop: Header=BB489_788 Depth=1
	s_or_b64 exec, exec, s[14:15]
	buffer_load_dword v6, v11, s[0:3], 0 offen offset:32
	buffer_load_dword v4, v11, s[0:3], 0 offen offset:36
	v_cvt_pkrtz_f16_f32 v20, v12, v15
	v_cvt_pkrtz_f16_f32 v21, v14, v17
	;; [unrolled: 1-line block ×4, first 2 shown]
	v_mfma_f32_4x4x4f16 a[0:3], v[2:3], v[20:21], a[0:3] cbsz:4 abid:6
	s_waitcnt vmcnt(1)
	v_cmp_ne_u16_sdwa s[16:17], v6, v9 src0_sel:BYTE_0 src1_sel:DWORD
	v_mfma_f32_4x4x4f16 a[0:3], v[2:3], v[14:15], a[0:3] cbsz:4 abid:7
	s_and_saveexec_b64 s[14:15], s[16:17]
	s_cbranch_execz .LBB489_986
; %bb.981:                              ;   in Loop: Header=BB489_788 Depth=1
	v_cmp_ne_u16_sdwa s[18:19], v6, s5 src0_sel:BYTE_0 src1_sel:DWORD
	v_bfrev_b32_e32 v13, 1
	s_and_saveexec_b64 s[16:17], s[18:19]
	s_cbranch_execz .LBB489_985
; %bb.982:                              ;   in Loop: Header=BB489_788 Depth=1
	v_and_b32_e32 v8, 0x7f, v6
	v_cmp_ne_u32_e32 vcc, s22, v8
	v_mov_b32_e32 v13, 0x7f800001
	s_and_saveexec_b64 s[18:19], vcc
	s_cbranch_execz .LBB489_984
; %bb.983:                              ;   in Loop: Header=BB489_788 Depth=1
	v_and_b32_e32 v14, 7, v6
	v_ffbh_u32_e32 v12, v14
	v_min_u32_e32 v16, 32, v12
	v_subrev_u32_e32 v12, 28, v16
	v_lshlrev_b64 v[12:13], v12, v[6:7]
	v_lshrrev_b32_e32 v15, 3, v8
	v_sub_u32_e32 v13, 29, v16
	v_and_b32_e32 v12, 7, v12
	v_cmp_gt_u32_e32 vcc, 8, v8
	v_cndmask_b32_e32 v8, v15, v13, vcc
	v_cndmask_b32_e32 v12, v14, v12, vcc
	v_lshlrev_b32_e32 v13, 24, v6
	v_lshlrev_b32_e32 v12, 20, v12
	v_and_b32_e32 v13, 0x80000000, v13
	v_lshl_add_u32 v8, v8, 23, v10
	v_or3_b32 v13, v13, v8, v12
.LBB489_984:                            ;   in Loop: Header=BB489_788 Depth=1
	s_or_b64 exec, exec, s[18:19]
.LBB489_985:                            ;   in Loop: Header=BB489_788 Depth=1
	s_or_b64 exec, exec, s[16:17]
.LBB489_986:                            ;   in Loop: Header=BB489_788 Depth=1
	s_or_b64 exec, exec, s[14:15]
	v_lshrrev_b16_e32 v8, 8, v6
	v_cmp_ne_u16_e32 vcc, 0, v8
	v_mov_b32_e32 v12, 0
	v_mov_b32_e32 v15, 0
	s_and_saveexec_b64 s[14:15], vcc
	s_cbranch_execz .LBB489_992
; %bb.987:                              ;   in Loop: Header=BB489_788 Depth=1
	v_cmp_ne_u16_e32 vcc, s5, v8
	v_bfrev_b32_e32 v15, 1
	s_and_saveexec_b64 s[16:17], vcc
	s_cbranch_execz .LBB489_991
; %bb.988:                              ;   in Loop: Header=BB489_788 Depth=1
	v_and_b32_e32 v14, 0x7f, v8
	v_cmp_ne_u32_e32 vcc, s22, v14
	v_mov_b32_e32 v15, 0x7f800001
	s_and_saveexec_b64 s[18:19], vcc
	s_cbranch_execz .LBB489_990
; %bb.989:                              ;   in Loop: Header=BB489_788 Depth=1
	v_and_b32_e32 v15, 7, v8
	v_ffbh_u32_e32 v16, v15
	v_min_u32_e32 v19, 32, v16
	v_subrev_u32_e32 v16, 28, v19
	v_lshlrev_b64 v[16:17], v16, v[8:9]
	v_lshrrev_b32_e32 v18, 3, v14
	v_sub_u32_e32 v8, 29, v19
	v_and_b32_e32 v16, 7, v16
	v_cmp_gt_u32_e32 vcc, 8, v14
	v_cndmask_b32_e32 v8, v18, v8, vcc
	v_cndmask_b32_e32 v14, v15, v16, vcc
	v_lshlrev_b32_e32 v15, 16, v6
	v_lshlrev_b32_e32 v14, 20, v14
	v_and_b32_e32 v15, 0x80000000, v15
	v_lshl_add_u32 v8, v8, 23, v10
	v_or3_b32 v15, v15, v8, v14
.LBB489_990:                            ;   in Loop: Header=BB489_788 Depth=1
	s_or_b64 exec, exec, s[18:19]
.LBB489_991:                            ;   in Loop: Header=BB489_788 Depth=1
	s_or_b64 exec, exec, s[16:17]
.LBB489_992:                            ;   in Loop: Header=BB489_788 Depth=1
	s_or_b64 exec, exec, s[14:15]
	v_lshrrev_b32_e32 v8, 16, v6
	v_cmp_ne_u16_sdwa s[16:17], v8, v9 src0_sel:BYTE_0 src1_sel:DWORD
	s_and_saveexec_b64 s[14:15], s[16:17]
	s_cbranch_execz .LBB489_998
; %bb.993:                              ;   in Loop: Header=BB489_788 Depth=1
	v_cmp_ne_u16_sdwa s[18:19], v8, s5 src0_sel:BYTE_0 src1_sel:DWORD
	v_bfrev_b32_e32 v12, 1
	s_and_saveexec_b64 s[16:17], s[18:19]
	s_cbranch_execz .LBB489_997
; %bb.994:                              ;   in Loop: Header=BB489_788 Depth=1
	v_bfe_u32 v14, v6, 16, 7
	v_cmp_ne_u32_e32 vcc, s22, v14
	v_mov_b32_e32 v12, 0x7f800001
	s_and_saveexec_b64 s[18:19], vcc
	s_cbranch_execz .LBB489_996
; %bb.995:                              ;   in Loop: Header=BB489_788 Depth=1
	v_and_b32_e32 v12, 7, v8
	v_ffbh_u32_e32 v16, v12
	v_min_u32_e32 v19, 32, v16
	v_subrev_u32_e32 v16, 28, v19
	v_lshlrev_b64 v[16:17], v16, v[8:9]
	v_lshrrev_b32_e32 v18, 3, v14
	v_sub_u32_e32 v17, 29, v19
	v_and_b32_e32 v16, 7, v16
	v_cmp_gt_u32_e32 vcc, 8, v14
	v_cndmask_b32_e32 v14, v18, v17, vcc
	v_cndmask_b32_e32 v12, v12, v16, vcc
	v_lshlrev_b32_e32 v8, 24, v8
	v_lshlrev_b32_e32 v12, 20, v12
	v_and_b32_e32 v8, 0x80000000, v8
	v_lshl_add_u32 v14, v14, 23, v10
	v_or3_b32 v12, v8, v14, v12
.LBB489_996:                            ;   in Loop: Header=BB489_788 Depth=1
	s_or_b64 exec, exec, s[18:19]
.LBB489_997:                            ;   in Loop: Header=BB489_788 Depth=1
	s_or_b64 exec, exec, s[16:17]
.LBB489_998:                            ;   in Loop: Header=BB489_788 Depth=1
	s_or_b64 exec, exec, s[14:15]
	v_cmp_lt_u32_e32 vcc, s23, v6
	v_mov_b32_e32 v16, 0
	v_mov_b32_e32 v17, 0
	s_and_saveexec_b64 s[14:15], vcc
	s_cbranch_execz .LBB489_1004
; %bb.999:                              ;   in Loop: Header=BB489_788 Depth=1
	v_lshrrev_b32_e32 v8, 24, v6
	v_cmp_ne_u32_e32 vcc, s5, v8
	v_bfrev_b32_e32 v17, 1
	s_and_saveexec_b64 s[16:17], vcc
	s_cbranch_execz .LBB489_1003
; %bb.1000:                             ;   in Loop: Header=BB489_788 Depth=1
	v_bfe_u32 v6, v6, 24, 7
	v_cmp_ne_u32_e32 vcc, s22, v6
	v_mov_b32_e32 v17, 0x7f800001
	s_and_saveexec_b64 s[18:19], vcc
	s_cbranch_execz .LBB489_1002
; %bb.1001:                             ;   in Loop: Header=BB489_788 Depth=1
	v_and_b32_e32 v14, 7, v8
	v_ffbh_u32_e32 v18, v14
	v_min_u32_e32 v20, 32, v18
	v_subrev_u32_e32 v18, 28, v20
	v_lshlrev_b64 v[18:19], v18, v[8:9]
	v_lshrrev_b32_e32 v17, 3, v6
	v_sub_u32_e32 v19, 29, v20
	v_and_b32_e32 v18, 7, v18
	v_cmp_gt_u32_e32 vcc, 8, v6
	v_cndmask_b32_e32 v6, v17, v19, vcc
	v_cndmask_b32_e32 v14, v14, v18, vcc
	v_lshlrev_b32_e32 v8, 24, v8
	v_lshlrev_b32_e32 v14, 20, v14
	v_and_b32_e32 v8, 0x80000000, v8
	v_lshl_add_u32 v6, v6, 23, v10
	v_or3_b32 v17, v8, v6, v14
.LBB489_1002:                           ;   in Loop: Header=BB489_788 Depth=1
	s_or_b64 exec, exec, s[18:19]
.LBB489_1003:                           ;   in Loop: Header=BB489_788 Depth=1
	s_or_b64 exec, exec, s[16:17]
.LBB489_1004:                           ;   in Loop: Header=BB489_788 Depth=1
	s_or_b64 exec, exec, s[14:15]
	s_waitcnt vmcnt(0)
	v_cmp_ne_u16_sdwa s[16:17], v4, v9 src0_sel:BYTE_0 src1_sel:DWORD
	s_and_saveexec_b64 s[14:15], s[16:17]
	s_cbranch_execz .LBB489_1010
; %bb.1005:                             ;   in Loop: Header=BB489_788 Depth=1
	v_cmp_ne_u16_sdwa s[18:19], v4, s5 src0_sel:BYTE_0 src1_sel:DWORD
	v_bfrev_b32_e32 v16, 1
	s_and_saveexec_b64 s[16:17], s[18:19]
	s_cbranch_execz .LBB489_1009
; %bb.1006:                             ;   in Loop: Header=BB489_788 Depth=1
	v_and_b32_e32 v6, 0x7f, v4
	v_cmp_ne_u32_e32 vcc, s22, v6
	v_mov_b32_e32 v16, 0x7f800001
	s_and_saveexec_b64 s[18:19], vcc
	s_cbranch_execz .LBB489_1008
; %bb.1007:                             ;   in Loop: Header=BB489_788 Depth=1
	v_and_b32_e32 v8, 7, v4
	v_ffbh_u32_e32 v16, v8
	v_min_u32_e32 v16, 32, v16
	v_subrev_u32_e32 v18, 28, v16
	v_lshlrev_b64 v[18:19], v18, v[4:5]
	v_lshrrev_b32_e32 v14, 3, v6
	v_sub_u32_e32 v16, 29, v16
	v_and_b32_e32 v18, 7, v18
	v_cmp_gt_u32_e32 vcc, 8, v6
	v_cndmask_b32_e32 v6, v14, v16, vcc
	v_cndmask_b32_e32 v8, v8, v18, vcc
	v_lshlrev_b32_e32 v14, 24, v4
	v_lshlrev_b32_e32 v8, 20, v8
	v_and_b32_e32 v14, 0x80000000, v14
	v_lshl_add_u32 v6, v6, 23, v10
	v_or3_b32 v16, v14, v6, v8
.LBB489_1008:                           ;   in Loop: Header=BB489_788 Depth=1
	s_or_b64 exec, exec, s[18:19]
.LBB489_1009:                           ;   in Loop: Header=BB489_788 Depth=1
	s_or_b64 exec, exec, s[16:17]
.LBB489_1010:                           ;   in Loop: Header=BB489_788 Depth=1
	s_or_b64 exec, exec, s[14:15]
	v_lshrrev_b16_e32 v6, 8, v4
	v_cmp_ne_u16_e32 vcc, 0, v6
	v_mov_b32_e32 v8, 0
	v_mov_b32_e32 v18, 0
	s_and_saveexec_b64 s[14:15], vcc
	s_cbranch_execz .LBB489_1016
; %bb.1011:                             ;   in Loop: Header=BB489_788 Depth=1
	v_cmp_ne_u16_e32 vcc, s5, v6
	v_bfrev_b32_e32 v18, 1
	s_and_saveexec_b64 s[16:17], vcc
	s_cbranch_execz .LBB489_1015
; %bb.1012:                             ;   in Loop: Header=BB489_788 Depth=1
	v_and_b32_e32 v14, 0x7f, v6
	v_cmp_ne_u32_e32 vcc, s22, v14
	v_mov_b32_e32 v18, 0x7f800001
	s_and_saveexec_b64 s[18:19], vcc
	s_cbranch_execz .LBB489_1014
; %bb.1013:                             ;   in Loop: Header=BB489_788 Depth=1
	v_and_b32_e32 v20, 7, v6
	v_ffbh_u32_e32 v18, v20
	v_min_u32_e32 v22, 32, v18
	v_subrev_u32_e32 v18, 28, v22
	v_lshlrev_b64 v[18:19], v18, v[6:7]
	v_lshrrev_b32_e32 v21, 3, v14
	v_sub_u32_e32 v6, 29, v22
	v_and_b32_e32 v18, 7, v18
	v_cmp_gt_u32_e32 vcc, 8, v14
	v_cndmask_b32_e32 v6, v21, v6, vcc
	v_cndmask_b32_e32 v14, v20, v18, vcc
	v_lshlrev_b32_e32 v18, 16, v4
	v_lshlrev_b32_e32 v14, 20, v14
	v_and_b32_e32 v18, 0x80000000, v18
	v_lshl_add_u32 v6, v6, 23, v10
	v_or3_b32 v18, v18, v6, v14
.LBB489_1014:                           ;   in Loop: Header=BB489_788 Depth=1
	s_or_b64 exec, exec, s[18:19]
.LBB489_1015:                           ;   in Loop: Header=BB489_788 Depth=1
	s_or_b64 exec, exec, s[16:17]
.LBB489_1016:                           ;   in Loop: Header=BB489_788 Depth=1
	s_or_b64 exec, exec, s[14:15]
	v_lshrrev_b32_e32 v6, 16, v4
	v_cmp_ne_u16_sdwa s[16:17], v6, v9 src0_sel:BYTE_0 src1_sel:DWORD
	s_and_saveexec_b64 s[14:15], s[16:17]
	s_cbranch_execz .LBB489_1022
; %bb.1017:                             ;   in Loop: Header=BB489_788 Depth=1
	v_cmp_ne_u16_sdwa s[18:19], v6, s5 src0_sel:BYTE_0 src1_sel:DWORD
	v_bfrev_b32_e32 v8, 1
	s_and_saveexec_b64 s[16:17], s[18:19]
	s_cbranch_execz .LBB489_1021
; %bb.1018:                             ;   in Loop: Header=BB489_788 Depth=1
	v_bfe_u32 v14, v4, 16, 7
	v_cmp_ne_u32_e32 vcc, s22, v14
	v_mov_b32_e32 v8, 0x7f800001
	s_and_saveexec_b64 s[18:19], vcc
	s_cbranch_execz .LBB489_1020
; %bb.1019:                             ;   in Loop: Header=BB489_788 Depth=1
	v_and_b32_e32 v8, 7, v6
	v_ffbh_u32_e32 v20, v8
	v_min_u32_e32 v22, 32, v20
	v_subrev_u32_e32 v20, 28, v22
	v_lshlrev_b64 v[20:21], v20, v[6:7]
	v_lshrrev_b32_e32 v19, 3, v14
	v_sub_u32_e32 v21, 29, v22
	v_and_b32_e32 v20, 7, v20
	v_cmp_gt_u32_e32 vcc, 8, v14
	v_cndmask_b32_e32 v14, v19, v21, vcc
	v_cndmask_b32_e32 v8, v8, v20, vcc
	v_lshlrev_b32_e32 v6, 24, v6
	v_lshlrev_b32_e32 v8, 20, v8
	v_and_b32_e32 v6, 0x80000000, v6
	v_lshl_add_u32 v14, v14, 23, v10
	v_or3_b32 v8, v6, v14, v8
.LBB489_1020:                           ;   in Loop: Header=BB489_788 Depth=1
	s_or_b64 exec, exec, s[18:19]
.LBB489_1021:                           ;   in Loop: Header=BB489_788 Depth=1
	s_or_b64 exec, exec, s[16:17]
.LBB489_1022:                           ;   in Loop: Header=BB489_788 Depth=1
	s_or_b64 exec, exec, s[14:15]
	v_cmp_lt_u32_e32 vcc, s23, v4
	v_mov_b32_e32 v14, 0
	v_mov_b32_e32 v19, 0
	s_and_saveexec_b64 s[14:15], vcc
	s_cbranch_execz .LBB489_1028
; %bb.1023:                             ;   in Loop: Header=BB489_788 Depth=1
	v_lshrrev_b32_e32 v6, 24, v4
	v_cmp_ne_u32_e32 vcc, s5, v6
	v_bfrev_b32_e32 v19, 1
	s_and_saveexec_b64 s[16:17], vcc
	s_cbranch_execz .LBB489_1027
; %bb.1024:                             ;   in Loop: Header=BB489_788 Depth=1
	v_bfe_u32 v4, v4, 24, 7
	v_cmp_ne_u32_e32 vcc, s22, v4
	v_mov_b32_e32 v19, 0x7f800001
	s_and_saveexec_b64 s[18:19], vcc
	s_cbranch_execz .LBB489_1026
; %bb.1025:                             ;   in Loop: Header=BB489_788 Depth=1
	v_and_b32_e32 v19, 7, v6
	v_ffbh_u32_e32 v20, v19
	v_min_u32_e32 v23, 32, v20
	v_subrev_u32_e32 v20, 28, v23
	v_lshlrev_b64 v[20:21], v20, v[6:7]
	v_lshrrev_b32_e32 v22, 3, v4
	v_sub_u32_e32 v21, 29, v23
	v_and_b32_e32 v20, 7, v20
	v_cmp_gt_u32_e32 vcc, 8, v4
	v_cndmask_b32_e32 v4, v22, v21, vcc
	v_cndmask_b32_e32 v19, v19, v20, vcc
	v_lshlrev_b32_e32 v6, 24, v6
	v_lshlrev_b32_e32 v19, 20, v19
	v_and_b32_e32 v6, 0x80000000, v6
	v_lshl_add_u32 v4, v4, 23, v10
	v_or3_b32 v19, v6, v4, v19
.LBB489_1026:                           ;   in Loop: Header=BB489_788 Depth=1
	s_or_b64 exec, exec, s[18:19]
.LBB489_1027:                           ;   in Loop: Header=BB489_788 Depth=1
	s_or_b64 exec, exec, s[16:17]
.LBB489_1028:                           ;   in Loop: Header=BB489_788 Depth=1
	s_or_b64 exec, exec, s[14:15]
	buffer_load_dword v6, v11, s[0:3], 0 offen offset:40
	buffer_load_dword v4, v11, s[0:3], 0 offen offset:44
	v_cvt_pkrtz_f16_f32 v20, v13, v15
	v_cvt_pkrtz_f16_f32 v21, v12, v17
	;; [unrolled: 1-line block ×4, first 2 shown]
	v_mfma_f32_4x4x4f16 a[0:3], v[2:3], v[20:21], a[0:3] cbsz:4 abid:8
	s_waitcnt vmcnt(1)
	v_cmp_ne_u16_sdwa s[16:17], v6, v9 src0_sel:BYTE_0 src1_sel:DWORD
	v_mfma_f32_4x4x4f16 a[0:3], v[2:3], v[12:13], a[0:3] cbsz:4 abid:9
	s_and_saveexec_b64 s[14:15], s[16:17]
	s_cbranch_execz .LBB489_1034
; %bb.1029:                             ;   in Loop: Header=BB489_788 Depth=1
	v_cmp_ne_u16_sdwa s[18:19], v6, s5 src0_sel:BYTE_0 src1_sel:DWORD
	v_bfrev_b32_e32 v14, 1
	s_and_saveexec_b64 s[16:17], s[18:19]
	s_cbranch_execz .LBB489_1033
; %bb.1030:                             ;   in Loop: Header=BB489_788 Depth=1
	v_and_b32_e32 v8, 0x7f, v6
	v_cmp_ne_u32_e32 vcc, s22, v8
	v_mov_b32_e32 v14, 0x7f800001
	s_and_saveexec_b64 s[18:19], vcc
	s_cbranch_execz .LBB489_1032
; %bb.1031:                             ;   in Loop: Header=BB489_788 Depth=1
	v_and_b32_e32 v14, 7, v6
	v_ffbh_u32_e32 v12, v14
	v_min_u32_e32 v16, 32, v12
	v_subrev_u32_e32 v12, 28, v16
	v_lshlrev_b64 v[12:13], v12, v[6:7]
	v_lshrrev_b32_e32 v15, 3, v8
	v_sub_u32_e32 v13, 29, v16
	v_and_b32_e32 v12, 7, v12
	v_cmp_gt_u32_e32 vcc, 8, v8
	v_cndmask_b32_e32 v8, v15, v13, vcc
	v_cndmask_b32_e32 v12, v14, v12, vcc
	v_lshlrev_b32_e32 v13, 24, v6
	v_lshlrev_b32_e32 v12, 20, v12
	v_and_b32_e32 v13, 0x80000000, v13
	v_lshl_add_u32 v8, v8, 23, v10
	v_or3_b32 v14, v13, v8, v12
.LBB489_1032:                           ;   in Loop: Header=BB489_788 Depth=1
	s_or_b64 exec, exec, s[18:19]
.LBB489_1033:                           ;   in Loop: Header=BB489_788 Depth=1
	s_or_b64 exec, exec, s[16:17]
.LBB489_1034:                           ;   in Loop: Header=BB489_788 Depth=1
	s_or_b64 exec, exec, s[14:15]
	v_lshrrev_b16_e32 v8, 8, v6
	v_cmp_ne_u16_e32 vcc, 0, v8
	v_mov_b32_e32 v13, 0
	v_mov_b32_e32 v15, 0
	s_and_saveexec_b64 s[14:15], vcc
	s_cbranch_execz .LBB489_1040
; %bb.1035:                             ;   in Loop: Header=BB489_788 Depth=1
	v_cmp_ne_u16_e32 vcc, s5, v8
	v_bfrev_b32_e32 v15, 1
	s_and_saveexec_b64 s[16:17], vcc
	s_cbranch_execz .LBB489_1039
; %bb.1036:                             ;   in Loop: Header=BB489_788 Depth=1
	v_and_b32_e32 v12, 0x7f, v8
	v_cmp_ne_u32_e32 vcc, s22, v12
	v_mov_b32_e32 v15, 0x7f800001
	s_and_saveexec_b64 s[18:19], vcc
	s_cbranch_execz .LBB489_1038
; %bb.1037:                             ;   in Loop: Header=BB489_788 Depth=1
	v_and_b32_e32 v15, 7, v8
	v_ffbh_u32_e32 v16, v15
	v_min_u32_e32 v19, 32, v16
	v_subrev_u32_e32 v16, 28, v19
	v_lshlrev_b64 v[16:17], v16, v[8:9]
	v_lshrrev_b32_e32 v18, 3, v12
	v_sub_u32_e32 v8, 29, v19
	v_and_b32_e32 v16, 7, v16
	v_cmp_gt_u32_e32 vcc, 8, v12
	v_cndmask_b32_e32 v8, v18, v8, vcc
	v_cndmask_b32_e32 v12, v15, v16, vcc
	v_lshlrev_b32_e32 v15, 16, v6
	v_lshlrev_b32_e32 v12, 20, v12
	v_and_b32_e32 v15, 0x80000000, v15
	v_lshl_add_u32 v8, v8, 23, v10
	v_or3_b32 v15, v15, v8, v12
.LBB489_1038:                           ;   in Loop: Header=BB489_788 Depth=1
	s_or_b64 exec, exec, s[18:19]
.LBB489_1039:                           ;   in Loop: Header=BB489_788 Depth=1
	s_or_b64 exec, exec, s[16:17]
.LBB489_1040:                           ;   in Loop: Header=BB489_788 Depth=1
	s_or_b64 exec, exec, s[14:15]
	v_lshrrev_b32_e32 v8, 16, v6
	v_cmp_ne_u16_sdwa s[16:17], v8, v9 src0_sel:BYTE_0 src1_sel:DWORD
	s_and_saveexec_b64 s[14:15], s[16:17]
	s_cbranch_execz .LBB489_1046
; %bb.1041:                             ;   in Loop: Header=BB489_788 Depth=1
	v_cmp_ne_u16_sdwa s[18:19], v8, s5 src0_sel:BYTE_0 src1_sel:DWORD
	v_bfrev_b32_e32 v13, 1
	s_and_saveexec_b64 s[16:17], s[18:19]
	s_cbranch_execz .LBB489_1045
; %bb.1042:                             ;   in Loop: Header=BB489_788 Depth=1
	v_bfe_u32 v12, v6, 16, 7
	v_cmp_ne_u32_e32 vcc, s22, v12
	v_mov_b32_e32 v13, 0x7f800001
	s_and_saveexec_b64 s[18:19], vcc
	s_cbranch_execz .LBB489_1044
; %bb.1043:                             ;   in Loop: Header=BB489_788 Depth=1
	v_and_b32_e32 v13, 7, v8
	v_ffbh_u32_e32 v16, v13
	v_min_u32_e32 v19, 32, v16
	v_subrev_u32_e32 v16, 28, v19
	v_lshlrev_b64 v[16:17], v16, v[8:9]
	v_lshrrev_b32_e32 v18, 3, v12
	v_sub_u32_e32 v17, 29, v19
	v_and_b32_e32 v16, 7, v16
	v_cmp_gt_u32_e32 vcc, 8, v12
	v_cndmask_b32_e32 v12, v18, v17, vcc
	v_cndmask_b32_e32 v13, v13, v16, vcc
	v_lshlrev_b32_e32 v8, 24, v8
	v_lshlrev_b32_e32 v13, 20, v13
	v_and_b32_e32 v8, 0x80000000, v8
	v_lshl_add_u32 v12, v12, 23, v10
	v_or3_b32 v13, v8, v12, v13
.LBB489_1044:                           ;   in Loop: Header=BB489_788 Depth=1
	s_or_b64 exec, exec, s[18:19]
.LBB489_1045:                           ;   in Loop: Header=BB489_788 Depth=1
	s_or_b64 exec, exec, s[16:17]
.LBB489_1046:                           ;   in Loop: Header=BB489_788 Depth=1
	s_or_b64 exec, exec, s[14:15]
	v_cmp_lt_u32_e32 vcc, s23, v6
	v_mov_b32_e32 v16, 0
	v_mov_b32_e32 v17, 0
	s_and_saveexec_b64 s[14:15], vcc
	s_cbranch_execz .LBB489_1052
; %bb.1047:                             ;   in Loop: Header=BB489_788 Depth=1
	v_lshrrev_b32_e32 v8, 24, v6
	v_cmp_ne_u32_e32 vcc, s5, v8
	v_bfrev_b32_e32 v17, 1
	s_and_saveexec_b64 s[16:17], vcc
	s_cbranch_execz .LBB489_1051
; %bb.1048:                             ;   in Loop: Header=BB489_788 Depth=1
	v_bfe_u32 v6, v6, 24, 7
	v_cmp_ne_u32_e32 vcc, s22, v6
	v_mov_b32_e32 v17, 0x7f800001
	s_and_saveexec_b64 s[18:19], vcc
	s_cbranch_execz .LBB489_1050
; %bb.1049:                             ;   in Loop: Header=BB489_788 Depth=1
	v_and_b32_e32 v12, 7, v8
	v_ffbh_u32_e32 v18, v12
	v_min_u32_e32 v20, 32, v18
	v_subrev_u32_e32 v18, 28, v20
	v_lshlrev_b64 v[18:19], v18, v[8:9]
	v_lshrrev_b32_e32 v17, 3, v6
	v_sub_u32_e32 v19, 29, v20
	v_and_b32_e32 v18, 7, v18
	v_cmp_gt_u32_e32 vcc, 8, v6
	v_cndmask_b32_e32 v6, v17, v19, vcc
	v_cndmask_b32_e32 v12, v12, v18, vcc
	v_lshlrev_b32_e32 v8, 24, v8
	v_lshlrev_b32_e32 v12, 20, v12
	v_and_b32_e32 v8, 0x80000000, v8
	v_lshl_add_u32 v6, v6, 23, v10
	v_or3_b32 v17, v8, v6, v12
.LBB489_1050:                           ;   in Loop: Header=BB489_788 Depth=1
	s_or_b64 exec, exec, s[18:19]
.LBB489_1051:                           ;   in Loop: Header=BB489_788 Depth=1
	s_or_b64 exec, exec, s[16:17]
.LBB489_1052:                           ;   in Loop: Header=BB489_788 Depth=1
	s_or_b64 exec, exec, s[14:15]
	s_waitcnt vmcnt(0)
	v_cmp_ne_u16_sdwa s[16:17], v4, v9 src0_sel:BYTE_0 src1_sel:DWORD
	s_and_saveexec_b64 s[14:15], s[16:17]
	s_cbranch_execz .LBB489_1058
; %bb.1053:                             ;   in Loop: Header=BB489_788 Depth=1
	v_cmp_ne_u16_sdwa s[18:19], v4, s5 src0_sel:BYTE_0 src1_sel:DWORD
	v_bfrev_b32_e32 v16, 1
	s_and_saveexec_b64 s[16:17], s[18:19]
	s_cbranch_execz .LBB489_1057
; %bb.1054:                             ;   in Loop: Header=BB489_788 Depth=1
	v_and_b32_e32 v6, 0x7f, v4
	v_cmp_ne_u32_e32 vcc, s22, v6
	v_mov_b32_e32 v16, 0x7f800001
	s_and_saveexec_b64 s[18:19], vcc
	s_cbranch_execz .LBB489_1056
; %bb.1055:                             ;   in Loop: Header=BB489_788 Depth=1
	v_and_b32_e32 v8, 7, v4
	v_ffbh_u32_e32 v16, v8
	v_min_u32_e32 v16, 32, v16
	v_subrev_u32_e32 v18, 28, v16
	v_lshlrev_b64 v[18:19], v18, v[4:5]
	v_lshrrev_b32_e32 v12, 3, v6
	v_sub_u32_e32 v16, 29, v16
	v_and_b32_e32 v18, 7, v18
	v_cmp_gt_u32_e32 vcc, 8, v6
	v_cndmask_b32_e32 v6, v12, v16, vcc
	v_cndmask_b32_e32 v8, v8, v18, vcc
	v_lshlrev_b32_e32 v12, 24, v4
	v_lshlrev_b32_e32 v8, 20, v8
	v_and_b32_e32 v12, 0x80000000, v12
	v_lshl_add_u32 v6, v6, 23, v10
	v_or3_b32 v16, v12, v6, v8
.LBB489_1056:                           ;   in Loop: Header=BB489_788 Depth=1
	s_or_b64 exec, exec, s[18:19]
.LBB489_1057:                           ;   in Loop: Header=BB489_788 Depth=1
	s_or_b64 exec, exec, s[16:17]
.LBB489_1058:                           ;   in Loop: Header=BB489_788 Depth=1
	s_or_b64 exec, exec, s[14:15]
	v_lshrrev_b16_e32 v6, 8, v4
	v_cmp_ne_u16_e32 vcc, 0, v6
	v_mov_b32_e32 v8, 0
	v_mov_b32_e32 v18, 0
	s_and_saveexec_b64 s[14:15], vcc
	s_cbranch_execz .LBB489_1064
; %bb.1059:                             ;   in Loop: Header=BB489_788 Depth=1
	v_cmp_ne_u16_e32 vcc, s5, v6
	v_bfrev_b32_e32 v18, 1
	s_and_saveexec_b64 s[16:17], vcc
	s_cbranch_execz .LBB489_1063
; %bb.1060:                             ;   in Loop: Header=BB489_788 Depth=1
	v_and_b32_e32 v12, 0x7f, v6
	v_cmp_ne_u32_e32 vcc, s22, v12
	v_mov_b32_e32 v18, 0x7f800001
	s_and_saveexec_b64 s[18:19], vcc
	s_cbranch_execz .LBB489_1062
; %bb.1061:                             ;   in Loop: Header=BB489_788 Depth=1
	v_and_b32_e32 v20, 7, v6
	v_ffbh_u32_e32 v18, v20
	v_min_u32_e32 v22, 32, v18
	v_subrev_u32_e32 v18, 28, v22
	v_lshlrev_b64 v[18:19], v18, v[6:7]
	v_lshrrev_b32_e32 v21, 3, v12
	v_sub_u32_e32 v6, 29, v22
	v_and_b32_e32 v18, 7, v18
	v_cmp_gt_u32_e32 vcc, 8, v12
	v_cndmask_b32_e32 v6, v21, v6, vcc
	v_cndmask_b32_e32 v12, v20, v18, vcc
	v_lshlrev_b32_e32 v18, 16, v4
	v_lshlrev_b32_e32 v12, 20, v12
	v_and_b32_e32 v18, 0x80000000, v18
	v_lshl_add_u32 v6, v6, 23, v10
	v_or3_b32 v18, v18, v6, v12
.LBB489_1062:                           ;   in Loop: Header=BB489_788 Depth=1
	s_or_b64 exec, exec, s[18:19]
.LBB489_1063:                           ;   in Loop: Header=BB489_788 Depth=1
	s_or_b64 exec, exec, s[16:17]
.LBB489_1064:                           ;   in Loop: Header=BB489_788 Depth=1
	s_or_b64 exec, exec, s[14:15]
	v_lshrrev_b32_e32 v6, 16, v4
	v_cmp_ne_u16_sdwa s[16:17], v6, v9 src0_sel:BYTE_0 src1_sel:DWORD
	s_and_saveexec_b64 s[14:15], s[16:17]
	s_cbranch_execz .LBB489_1070
; %bb.1065:                             ;   in Loop: Header=BB489_788 Depth=1
	v_cmp_ne_u16_sdwa s[18:19], v6, s5 src0_sel:BYTE_0 src1_sel:DWORD
	v_bfrev_b32_e32 v8, 1
	s_and_saveexec_b64 s[16:17], s[18:19]
	s_cbranch_execz .LBB489_1069
; %bb.1066:                             ;   in Loop: Header=BB489_788 Depth=1
	v_bfe_u32 v12, v4, 16, 7
	v_cmp_ne_u32_e32 vcc, s22, v12
	v_mov_b32_e32 v8, 0x7f800001
	s_and_saveexec_b64 s[18:19], vcc
	s_cbranch_execz .LBB489_1068
; %bb.1067:                             ;   in Loop: Header=BB489_788 Depth=1
	v_and_b32_e32 v8, 7, v6
	v_ffbh_u32_e32 v20, v8
	v_min_u32_e32 v22, 32, v20
	v_subrev_u32_e32 v20, 28, v22
	v_lshlrev_b64 v[20:21], v20, v[6:7]
	v_lshrrev_b32_e32 v19, 3, v12
	v_sub_u32_e32 v21, 29, v22
	v_and_b32_e32 v20, 7, v20
	v_cmp_gt_u32_e32 vcc, 8, v12
	v_cndmask_b32_e32 v12, v19, v21, vcc
	v_cndmask_b32_e32 v8, v8, v20, vcc
	v_lshlrev_b32_e32 v6, 24, v6
	v_lshlrev_b32_e32 v8, 20, v8
	v_and_b32_e32 v6, 0x80000000, v6
	v_lshl_add_u32 v12, v12, 23, v10
	v_or3_b32 v8, v6, v12, v8
.LBB489_1068:                           ;   in Loop: Header=BB489_788 Depth=1
	s_or_b64 exec, exec, s[18:19]
.LBB489_1069:                           ;   in Loop: Header=BB489_788 Depth=1
	s_or_b64 exec, exec, s[16:17]
.LBB489_1070:                           ;   in Loop: Header=BB489_788 Depth=1
	s_or_b64 exec, exec, s[14:15]
	v_cmp_lt_u32_e32 vcc, s23, v4
	v_mov_b32_e32 v12, 0
	v_mov_b32_e32 v19, 0
	s_and_saveexec_b64 s[14:15], vcc
	s_cbranch_execz .LBB489_1076
; %bb.1071:                             ;   in Loop: Header=BB489_788 Depth=1
	v_lshrrev_b32_e32 v6, 24, v4
	v_cmp_ne_u32_e32 vcc, s5, v6
	v_bfrev_b32_e32 v19, 1
	s_and_saveexec_b64 s[16:17], vcc
	s_cbranch_execz .LBB489_1075
; %bb.1072:                             ;   in Loop: Header=BB489_788 Depth=1
	v_bfe_u32 v4, v4, 24, 7
	v_cmp_ne_u32_e32 vcc, s22, v4
	v_mov_b32_e32 v19, 0x7f800001
	s_and_saveexec_b64 s[18:19], vcc
	s_cbranch_execz .LBB489_1074
; %bb.1073:                             ;   in Loop: Header=BB489_788 Depth=1
	v_and_b32_e32 v19, 7, v6
	v_ffbh_u32_e32 v20, v19
	v_min_u32_e32 v23, 32, v20
	v_subrev_u32_e32 v20, 28, v23
	v_lshlrev_b64 v[20:21], v20, v[6:7]
	v_lshrrev_b32_e32 v22, 3, v4
	v_sub_u32_e32 v21, 29, v23
	v_and_b32_e32 v20, 7, v20
	v_cmp_gt_u32_e32 vcc, 8, v4
	v_cndmask_b32_e32 v4, v22, v21, vcc
	v_cndmask_b32_e32 v19, v19, v20, vcc
	v_lshlrev_b32_e32 v6, 24, v6
	v_lshlrev_b32_e32 v19, 20, v19
	v_and_b32_e32 v6, 0x80000000, v6
	v_lshl_add_u32 v4, v4, 23, v10
	v_or3_b32 v19, v6, v4, v19
.LBB489_1074:                           ;   in Loop: Header=BB489_788 Depth=1
	s_or_b64 exec, exec, s[18:19]
.LBB489_1075:                           ;   in Loop: Header=BB489_788 Depth=1
	s_or_b64 exec, exec, s[16:17]
.LBB489_1076:                           ;   in Loop: Header=BB489_788 Depth=1
	s_or_b64 exec, exec, s[14:15]
	buffer_load_dword v6, v11, s[0:3], 0 offen offset:48
	buffer_load_dword v4, v11, s[0:3], 0 offen offset:52
	v_cvt_pkrtz_f16_f32 v14, v14, v15
	v_cvt_pkrtz_f16_f32 v15, v13, v17
	;; [unrolled: 1-line block ×4, first 2 shown]
	v_mfma_f32_4x4x4f16 a[0:3], v[2:3], v[14:15], a[0:3] cbsz:4 abid:10
	s_waitcnt vmcnt(1)
	v_cmp_ne_u16_sdwa s[16:17], v6, v9 src0_sel:BYTE_0 src1_sel:DWORD
	v_mfma_f32_4x4x4f16 a[0:3], v[2:3], v[16:17], a[0:3] cbsz:4 abid:11
	s_and_saveexec_b64 s[14:15], s[16:17]
	s_cbranch_execz .LBB489_1082
; %bb.1077:                             ;   in Loop: Header=BB489_788 Depth=1
	v_cmp_ne_u16_sdwa s[18:19], v6, s5 src0_sel:BYTE_0 src1_sel:DWORD
	v_bfrev_b32_e32 v12, 1
	s_and_saveexec_b64 s[16:17], s[18:19]
	s_cbranch_execz .LBB489_1081
; %bb.1078:                             ;   in Loop: Header=BB489_788 Depth=1
	v_and_b32_e32 v8, 0x7f, v6
	v_cmp_ne_u32_e32 vcc, s22, v8
	v_mov_b32_e32 v12, 0x7f800001
	s_and_saveexec_b64 s[18:19], vcc
	s_cbranch_execz .LBB489_1080
; %bb.1079:                             ;   in Loop: Header=BB489_788 Depth=1
	v_and_b32_e32 v14, 7, v6
	v_ffbh_u32_e32 v12, v14
	v_min_u32_e32 v16, 32, v12
	v_subrev_u32_e32 v12, 28, v16
	v_lshlrev_b64 v[12:13], v12, v[6:7]
	v_lshrrev_b32_e32 v15, 3, v8
	v_sub_u32_e32 v13, 29, v16
	v_and_b32_e32 v12, 7, v12
	v_cmp_gt_u32_e32 vcc, 8, v8
	v_cndmask_b32_e32 v8, v15, v13, vcc
	v_cndmask_b32_e32 v12, v14, v12, vcc
	v_lshlrev_b32_e32 v13, 24, v6
	v_lshlrev_b32_e32 v12, 20, v12
	v_and_b32_e32 v13, 0x80000000, v13
	v_lshl_add_u32 v8, v8, 23, v10
	v_or3_b32 v12, v13, v8, v12
.LBB489_1080:                           ;   in Loop: Header=BB489_788 Depth=1
	s_or_b64 exec, exec, s[18:19]
.LBB489_1081:                           ;   in Loop: Header=BB489_788 Depth=1
	s_or_b64 exec, exec, s[16:17]
.LBB489_1082:                           ;   in Loop: Header=BB489_788 Depth=1
	s_or_b64 exec, exec, s[14:15]
	v_lshrrev_b16_e32 v8, 8, v6
	v_cmp_ne_u16_e32 vcc, 0, v8
	v_mov_b32_e32 v14, 0
	v_mov_b32_e32 v15, 0
	s_and_saveexec_b64 s[14:15], vcc
	s_cbranch_execz .LBB489_1088
; %bb.1083:                             ;   in Loop: Header=BB489_788 Depth=1
	v_cmp_ne_u16_e32 vcc, s5, v8
	v_bfrev_b32_e32 v15, 1
	s_and_saveexec_b64 s[16:17], vcc
	s_cbranch_execz .LBB489_1087
; %bb.1084:                             ;   in Loop: Header=BB489_788 Depth=1
	v_and_b32_e32 v13, 0x7f, v8
	v_cmp_ne_u32_e32 vcc, s22, v13
	v_mov_b32_e32 v15, 0x7f800001
	s_and_saveexec_b64 s[18:19], vcc
	s_cbranch_execz .LBB489_1086
; %bb.1085:                             ;   in Loop: Header=BB489_788 Depth=1
	v_and_b32_e32 v15, 7, v8
	v_ffbh_u32_e32 v16, v15
	v_min_u32_e32 v19, 32, v16
	v_subrev_u32_e32 v16, 28, v19
	v_lshlrev_b64 v[16:17], v16, v[8:9]
	v_lshrrev_b32_e32 v18, 3, v13
	v_sub_u32_e32 v8, 29, v19
	v_and_b32_e32 v16, 7, v16
	v_cmp_gt_u32_e32 vcc, 8, v13
	v_cndmask_b32_e32 v8, v18, v8, vcc
	v_cndmask_b32_e32 v13, v15, v16, vcc
	v_lshlrev_b32_e32 v15, 16, v6
	v_lshlrev_b32_e32 v13, 20, v13
	v_and_b32_e32 v15, 0x80000000, v15
	v_lshl_add_u32 v8, v8, 23, v10
	v_or3_b32 v15, v15, v8, v13
.LBB489_1086:                           ;   in Loop: Header=BB489_788 Depth=1
	s_or_b64 exec, exec, s[18:19]
.LBB489_1087:                           ;   in Loop: Header=BB489_788 Depth=1
	s_or_b64 exec, exec, s[16:17]
.LBB489_1088:                           ;   in Loop: Header=BB489_788 Depth=1
	s_or_b64 exec, exec, s[14:15]
	v_lshrrev_b32_e32 v8, 16, v6
	v_cmp_ne_u16_sdwa s[16:17], v8, v9 src0_sel:BYTE_0 src1_sel:DWORD
	s_and_saveexec_b64 s[14:15], s[16:17]
	s_cbranch_execz .LBB489_1094
; %bb.1089:                             ;   in Loop: Header=BB489_788 Depth=1
	v_cmp_ne_u16_sdwa s[18:19], v8, s5 src0_sel:BYTE_0 src1_sel:DWORD
	v_bfrev_b32_e32 v14, 1
	s_and_saveexec_b64 s[16:17], s[18:19]
	s_cbranch_execz .LBB489_1093
; %bb.1090:                             ;   in Loop: Header=BB489_788 Depth=1
	v_bfe_u32 v13, v6, 16, 7
	v_cmp_ne_u32_e32 vcc, s22, v13
	v_mov_b32_e32 v14, 0x7f800001
	s_and_saveexec_b64 s[18:19], vcc
	s_cbranch_execz .LBB489_1092
; %bb.1091:                             ;   in Loop: Header=BB489_788 Depth=1
	v_and_b32_e32 v14, 7, v8
	v_ffbh_u32_e32 v16, v14
	v_min_u32_e32 v19, 32, v16
	v_subrev_u32_e32 v16, 28, v19
	v_lshlrev_b64 v[16:17], v16, v[8:9]
	v_lshrrev_b32_e32 v18, 3, v13
	v_sub_u32_e32 v17, 29, v19
	v_and_b32_e32 v16, 7, v16
	v_cmp_gt_u32_e32 vcc, 8, v13
	v_cndmask_b32_e32 v13, v18, v17, vcc
	v_cndmask_b32_e32 v14, v14, v16, vcc
	v_lshlrev_b32_e32 v8, 24, v8
	v_lshlrev_b32_e32 v14, 20, v14
	v_and_b32_e32 v8, 0x80000000, v8
	v_lshl_add_u32 v13, v13, 23, v10
	v_or3_b32 v14, v8, v13, v14
.LBB489_1092:                           ;   in Loop: Header=BB489_788 Depth=1
	s_or_b64 exec, exec, s[18:19]
.LBB489_1093:                           ;   in Loop: Header=BB489_788 Depth=1
	s_or_b64 exec, exec, s[16:17]
.LBB489_1094:                           ;   in Loop: Header=BB489_788 Depth=1
	s_or_b64 exec, exec, s[14:15]
	v_cmp_lt_u32_e32 vcc, s23, v6
	v_mov_b32_e32 v16, 0
	v_mov_b32_e32 v17, 0
	s_and_saveexec_b64 s[14:15], vcc
	s_cbranch_execz .LBB489_1100
; %bb.1095:                             ;   in Loop: Header=BB489_788 Depth=1
	v_lshrrev_b32_e32 v8, 24, v6
	v_cmp_ne_u32_e32 vcc, s5, v8
	v_bfrev_b32_e32 v17, 1
	s_and_saveexec_b64 s[16:17], vcc
	s_cbranch_execz .LBB489_1099
; %bb.1096:                             ;   in Loop: Header=BB489_788 Depth=1
	v_bfe_u32 v6, v6, 24, 7
	v_cmp_ne_u32_e32 vcc, s22, v6
	v_mov_b32_e32 v17, 0x7f800001
	s_and_saveexec_b64 s[18:19], vcc
	s_cbranch_execz .LBB489_1098
; %bb.1097:                             ;   in Loop: Header=BB489_788 Depth=1
	v_and_b32_e32 v13, 7, v8
	v_ffbh_u32_e32 v18, v13
	v_min_u32_e32 v20, 32, v18
	v_subrev_u32_e32 v18, 28, v20
	v_lshlrev_b64 v[18:19], v18, v[8:9]
	v_lshrrev_b32_e32 v17, 3, v6
	v_sub_u32_e32 v19, 29, v20
	v_and_b32_e32 v18, 7, v18
	v_cmp_gt_u32_e32 vcc, 8, v6
	v_cndmask_b32_e32 v6, v17, v19, vcc
	v_cndmask_b32_e32 v13, v13, v18, vcc
	v_lshlrev_b32_e32 v8, 24, v8
	v_lshlrev_b32_e32 v13, 20, v13
	v_and_b32_e32 v8, 0x80000000, v8
	v_lshl_add_u32 v6, v6, 23, v10
	v_or3_b32 v17, v8, v6, v13
.LBB489_1098:                           ;   in Loop: Header=BB489_788 Depth=1
	s_or_b64 exec, exec, s[18:19]
.LBB489_1099:                           ;   in Loop: Header=BB489_788 Depth=1
	s_or_b64 exec, exec, s[16:17]
.LBB489_1100:                           ;   in Loop: Header=BB489_788 Depth=1
	s_or_b64 exec, exec, s[14:15]
	s_waitcnt vmcnt(0)
	v_cmp_ne_u16_sdwa s[16:17], v4, v9 src0_sel:BYTE_0 src1_sel:DWORD
	s_and_saveexec_b64 s[14:15], s[16:17]
	s_cbranch_execz .LBB489_1106
; %bb.1101:                             ;   in Loop: Header=BB489_788 Depth=1
	v_cmp_ne_u16_sdwa s[18:19], v4, s5 src0_sel:BYTE_0 src1_sel:DWORD
	v_bfrev_b32_e32 v16, 1
	s_and_saveexec_b64 s[16:17], s[18:19]
	s_cbranch_execz .LBB489_1105
; %bb.1102:                             ;   in Loop: Header=BB489_788 Depth=1
	v_and_b32_e32 v6, 0x7f, v4
	v_cmp_ne_u32_e32 vcc, s22, v6
	v_mov_b32_e32 v16, 0x7f800001
	s_and_saveexec_b64 s[18:19], vcc
	s_cbranch_execz .LBB489_1104
; %bb.1103:                             ;   in Loop: Header=BB489_788 Depth=1
	v_and_b32_e32 v8, 7, v4
	v_ffbh_u32_e32 v16, v8
	v_min_u32_e32 v16, 32, v16
	v_subrev_u32_e32 v18, 28, v16
	v_lshlrev_b64 v[18:19], v18, v[4:5]
	v_lshrrev_b32_e32 v13, 3, v6
	v_sub_u32_e32 v16, 29, v16
	v_and_b32_e32 v18, 7, v18
	v_cmp_gt_u32_e32 vcc, 8, v6
	v_cndmask_b32_e32 v6, v13, v16, vcc
	v_cndmask_b32_e32 v8, v8, v18, vcc
	v_lshlrev_b32_e32 v13, 24, v4
	v_lshlrev_b32_e32 v8, 20, v8
	v_and_b32_e32 v13, 0x80000000, v13
	v_lshl_add_u32 v6, v6, 23, v10
	v_or3_b32 v16, v13, v6, v8
.LBB489_1104:                           ;   in Loop: Header=BB489_788 Depth=1
	s_or_b64 exec, exec, s[18:19]
.LBB489_1105:                           ;   in Loop: Header=BB489_788 Depth=1
	s_or_b64 exec, exec, s[16:17]
.LBB489_1106:                           ;   in Loop: Header=BB489_788 Depth=1
	s_or_b64 exec, exec, s[14:15]
	v_lshrrev_b16_e32 v6, 8, v4
	v_cmp_ne_u16_e32 vcc, 0, v6
	v_mov_b32_e32 v8, 0
	v_mov_b32_e32 v18, 0
	s_and_saveexec_b64 s[14:15], vcc
	s_cbranch_execz .LBB489_1112
; %bb.1107:                             ;   in Loop: Header=BB489_788 Depth=1
	v_cmp_ne_u16_e32 vcc, s5, v6
	v_bfrev_b32_e32 v18, 1
	s_and_saveexec_b64 s[16:17], vcc
	s_cbranch_execz .LBB489_1111
; %bb.1108:                             ;   in Loop: Header=BB489_788 Depth=1
	v_and_b32_e32 v13, 0x7f, v6
	v_cmp_ne_u32_e32 vcc, s22, v13
	v_mov_b32_e32 v18, 0x7f800001
	s_and_saveexec_b64 s[18:19], vcc
	s_cbranch_execz .LBB489_1110
; %bb.1109:                             ;   in Loop: Header=BB489_788 Depth=1
	v_and_b32_e32 v20, 7, v6
	v_ffbh_u32_e32 v18, v20
	v_min_u32_e32 v22, 32, v18
	v_subrev_u32_e32 v18, 28, v22
	v_lshlrev_b64 v[18:19], v18, v[6:7]
	v_lshrrev_b32_e32 v21, 3, v13
	v_sub_u32_e32 v6, 29, v22
	v_and_b32_e32 v18, 7, v18
	v_cmp_gt_u32_e32 vcc, 8, v13
	v_cndmask_b32_e32 v6, v21, v6, vcc
	v_cndmask_b32_e32 v13, v20, v18, vcc
	v_lshlrev_b32_e32 v18, 16, v4
	v_lshlrev_b32_e32 v13, 20, v13
	v_and_b32_e32 v18, 0x80000000, v18
	v_lshl_add_u32 v6, v6, 23, v10
	v_or3_b32 v18, v18, v6, v13
.LBB489_1110:                           ;   in Loop: Header=BB489_788 Depth=1
	s_or_b64 exec, exec, s[18:19]
.LBB489_1111:                           ;   in Loop: Header=BB489_788 Depth=1
	s_or_b64 exec, exec, s[16:17]
.LBB489_1112:                           ;   in Loop: Header=BB489_788 Depth=1
	s_or_b64 exec, exec, s[14:15]
	v_lshrrev_b32_e32 v6, 16, v4
	v_cmp_ne_u16_sdwa s[16:17], v6, v9 src0_sel:BYTE_0 src1_sel:DWORD
	s_and_saveexec_b64 s[14:15], s[16:17]
	s_cbranch_execz .LBB489_1118
; %bb.1113:                             ;   in Loop: Header=BB489_788 Depth=1
	v_cmp_ne_u16_sdwa s[18:19], v6, s5 src0_sel:BYTE_0 src1_sel:DWORD
	v_bfrev_b32_e32 v8, 1
	s_and_saveexec_b64 s[16:17], s[18:19]
	s_cbranch_execz .LBB489_1117
; %bb.1114:                             ;   in Loop: Header=BB489_788 Depth=1
	v_bfe_u32 v13, v4, 16, 7
	v_cmp_ne_u32_e32 vcc, s22, v13
	v_mov_b32_e32 v8, 0x7f800001
	s_and_saveexec_b64 s[18:19], vcc
	s_cbranch_execz .LBB489_1116
; %bb.1115:                             ;   in Loop: Header=BB489_788 Depth=1
	v_and_b32_e32 v8, 7, v6
	v_ffbh_u32_e32 v20, v8
	v_min_u32_e32 v22, 32, v20
	v_subrev_u32_e32 v20, 28, v22
	v_lshlrev_b64 v[20:21], v20, v[6:7]
	v_lshrrev_b32_e32 v19, 3, v13
	v_sub_u32_e32 v21, 29, v22
	v_and_b32_e32 v20, 7, v20
	v_cmp_gt_u32_e32 vcc, 8, v13
	v_cndmask_b32_e32 v13, v19, v21, vcc
	v_cndmask_b32_e32 v8, v8, v20, vcc
	v_lshlrev_b32_e32 v6, 24, v6
	v_lshlrev_b32_e32 v8, 20, v8
	v_and_b32_e32 v6, 0x80000000, v6
	v_lshl_add_u32 v13, v13, 23, v10
	v_or3_b32 v8, v6, v13, v8
.LBB489_1116:                           ;   in Loop: Header=BB489_788 Depth=1
	s_or_b64 exec, exec, s[18:19]
.LBB489_1117:                           ;   in Loop: Header=BB489_788 Depth=1
	s_or_b64 exec, exec, s[16:17]
.LBB489_1118:                           ;   in Loop: Header=BB489_788 Depth=1
	s_or_b64 exec, exec, s[14:15]
	v_cmp_lt_u32_e32 vcc, s23, v4
	v_mov_b32_e32 v13, 0
	v_mov_b32_e32 v19, 0
	s_and_saveexec_b64 s[14:15], vcc
	s_cbranch_execz .LBB489_1124
; %bb.1119:                             ;   in Loop: Header=BB489_788 Depth=1
	v_lshrrev_b32_e32 v6, 24, v4
	v_cmp_ne_u32_e32 vcc, s5, v6
	v_bfrev_b32_e32 v19, 1
	s_and_saveexec_b64 s[16:17], vcc
	s_cbranch_execz .LBB489_1123
; %bb.1120:                             ;   in Loop: Header=BB489_788 Depth=1
	v_bfe_u32 v4, v4, 24, 7
	v_cmp_ne_u32_e32 vcc, s22, v4
	v_mov_b32_e32 v19, 0x7f800001
	s_and_saveexec_b64 s[18:19], vcc
	s_cbranch_execz .LBB489_1122
; %bb.1121:                             ;   in Loop: Header=BB489_788 Depth=1
	v_and_b32_e32 v19, 7, v6
	v_ffbh_u32_e32 v20, v19
	v_min_u32_e32 v23, 32, v20
	v_subrev_u32_e32 v20, 28, v23
	v_lshlrev_b64 v[20:21], v20, v[6:7]
	v_lshrrev_b32_e32 v22, 3, v4
	v_sub_u32_e32 v21, 29, v23
	v_and_b32_e32 v20, 7, v20
	v_cmp_gt_u32_e32 vcc, 8, v4
	v_cndmask_b32_e32 v4, v22, v21, vcc
	v_cndmask_b32_e32 v19, v19, v20, vcc
	v_lshlrev_b32_e32 v6, 24, v6
	v_lshlrev_b32_e32 v19, 20, v19
	v_and_b32_e32 v6, 0x80000000, v6
	v_lshl_add_u32 v4, v4, 23, v10
	v_or3_b32 v19, v6, v4, v19
.LBB489_1122:                           ;   in Loop: Header=BB489_788 Depth=1
	s_or_b64 exec, exec, s[18:19]
.LBB489_1123:                           ;   in Loop: Header=BB489_788 Depth=1
	s_or_b64 exec, exec, s[16:17]
.LBB489_1124:                           ;   in Loop: Header=BB489_788 Depth=1
	s_or_b64 exec, exec, s[14:15]
	buffer_load_dword v6, v11, s[0:3], 0 offen offset:56
	buffer_load_dword v4, v11, s[0:3], 0 offen offset:60
	v_cvt_pkrtz_f16_f32 v20, v12, v15
	v_cvt_pkrtz_f16_f32 v21, v14, v17
	;; [unrolled: 1-line block ×4, first 2 shown]
	v_mfma_f32_4x4x4f16 a[0:3], v[2:3], v[20:21], a[0:3] cbsz:4 abid:12
	s_waitcnt vmcnt(1)
	v_cmp_ne_u16_sdwa s[16:17], v6, v9 src0_sel:BYTE_0 src1_sel:DWORD
	v_mfma_f32_4x4x4f16 a[0:3], v[2:3], v[14:15], a[0:3] cbsz:4 abid:13
	s_and_saveexec_b64 s[14:15], s[16:17]
	s_cbranch_execz .LBB489_1130
; %bb.1125:                             ;   in Loop: Header=BB489_788 Depth=1
	v_cmp_ne_u16_sdwa s[18:19], v6, s5 src0_sel:BYTE_0 src1_sel:DWORD
	v_bfrev_b32_e32 v13, 1
	s_and_saveexec_b64 s[16:17], s[18:19]
	s_cbranch_execz .LBB489_1129
; %bb.1126:                             ;   in Loop: Header=BB489_788 Depth=1
	v_and_b32_e32 v8, 0x7f, v6
	v_cmp_ne_u32_e32 vcc, s22, v8
	v_mov_b32_e32 v13, 0x7f800001
	s_and_saveexec_b64 s[18:19], vcc
	s_cbranch_execz .LBB489_1128
; %bb.1127:                             ;   in Loop: Header=BB489_788 Depth=1
	v_and_b32_e32 v11, 7, v6
	v_ffbh_u32_e32 v12, v11
	v_min_u32_e32 v15, 32, v12
	v_subrev_u32_e32 v12, 28, v15
	v_lshlrev_b64 v[12:13], v12, v[6:7]
	v_lshrrev_b32_e32 v14, 3, v8
	v_sub_u32_e32 v13, 29, v15
	v_and_b32_e32 v12, 7, v12
	v_cmp_gt_u32_e32 vcc, 8, v8
	v_cndmask_b32_e32 v8, v14, v13, vcc
	v_cndmask_b32_e32 v11, v11, v12, vcc
	v_lshlrev_b32_e32 v12, 24, v6
	v_lshlrev_b32_e32 v11, 20, v11
	v_and_b32_e32 v12, 0x80000000, v12
	v_lshl_add_u32 v8, v8, 23, v10
	v_or3_b32 v13, v12, v8, v11
.LBB489_1128:                           ;   in Loop: Header=BB489_788 Depth=1
	s_or_b64 exec, exec, s[18:19]
.LBB489_1129:                           ;   in Loop: Header=BB489_788 Depth=1
	s_or_b64 exec, exec, s[16:17]
.LBB489_1130:                           ;   in Loop: Header=BB489_788 Depth=1
	s_or_b64 exec, exec, s[14:15]
	v_lshrrev_b16_e32 v8, 8, v6
	v_cmp_ne_u16_e32 vcc, 0, v8
	v_mov_b32_e32 v11, 0
	v_mov_b32_e32 v12, 0
	s_and_saveexec_b64 s[14:15], vcc
	s_cbranch_execz .LBB489_1136
; %bb.1131:                             ;   in Loop: Header=BB489_788 Depth=1
	v_cmp_ne_u16_e32 vcc, s5, v8
	v_bfrev_b32_e32 v12, 1
	s_and_saveexec_b64 s[16:17], vcc
	s_cbranch_execz .LBB489_1135
; %bb.1132:                             ;   in Loop: Header=BB489_788 Depth=1
	v_and_b32_e32 v14, 0x7f, v8
	v_cmp_ne_u32_e32 vcc, s22, v14
	v_mov_b32_e32 v12, 0x7f800001
	s_and_saveexec_b64 s[18:19], vcc
	s_cbranch_execz .LBB489_1134
; %bb.1133:                             ;   in Loop: Header=BB489_788 Depth=1
	v_and_b32_e32 v12, 7, v8
	v_ffbh_u32_e32 v16, v12
	v_min_u32_e32 v18, 32, v16
	v_subrev_u32_e32 v16, 28, v18
	v_lshlrev_b64 v[16:17], v16, v[8:9]
	v_lshrrev_b32_e32 v15, 3, v14
	v_sub_u32_e32 v8, 29, v18
	v_and_b32_e32 v16, 7, v16
	v_cmp_gt_u32_e32 vcc, 8, v14
	v_cndmask_b32_e32 v8, v15, v8, vcc
	v_cndmask_b32_e32 v12, v12, v16, vcc
	v_lshlrev_b32_e32 v14, 16, v6
	v_lshlrev_b32_e32 v12, 20, v12
	v_and_b32_e32 v14, 0x80000000, v14
	v_lshl_add_u32 v8, v8, 23, v10
	v_or3_b32 v12, v14, v8, v12
.LBB489_1134:                           ;   in Loop: Header=BB489_788 Depth=1
	s_or_b64 exec, exec, s[18:19]
.LBB489_1135:                           ;   in Loop: Header=BB489_788 Depth=1
	s_or_b64 exec, exec, s[16:17]
.LBB489_1136:                           ;   in Loop: Header=BB489_788 Depth=1
	s_or_b64 exec, exec, s[14:15]
	v_lshrrev_b32_e32 v8, 16, v6
	v_cmp_ne_u16_sdwa s[16:17], v8, v9 src0_sel:BYTE_0 src1_sel:DWORD
	s_and_saveexec_b64 s[14:15], s[16:17]
	s_cbranch_execz .LBB489_1142
; %bb.1137:                             ;   in Loop: Header=BB489_788 Depth=1
	v_cmp_ne_u16_sdwa s[18:19], v8, s5 src0_sel:BYTE_0 src1_sel:DWORD
	v_bfrev_b32_e32 v11, 1
	s_and_saveexec_b64 s[16:17], s[18:19]
	s_cbranch_execz .LBB489_1141
; %bb.1138:                             ;   in Loop: Header=BB489_788 Depth=1
	v_bfe_u32 v14, v6, 16, 7
	v_cmp_ne_u32_e32 vcc, s22, v14
	v_mov_b32_e32 v11, 0x7f800001
	s_and_saveexec_b64 s[18:19], vcc
	s_cbranch_execz .LBB489_1140
; %bb.1139:                             ;   in Loop: Header=BB489_788 Depth=1
	v_and_b32_e32 v11, 7, v8
	v_ffbh_u32_e32 v16, v11
	v_min_u32_e32 v18, 32, v16
	v_subrev_u32_e32 v16, 28, v18
	v_lshlrev_b64 v[16:17], v16, v[8:9]
	v_lshrrev_b32_e32 v15, 3, v14
	v_sub_u32_e32 v17, 29, v18
	v_and_b32_e32 v16, 7, v16
	v_cmp_gt_u32_e32 vcc, 8, v14
	v_cndmask_b32_e32 v14, v15, v17, vcc
	v_cndmask_b32_e32 v11, v11, v16, vcc
	v_lshlrev_b32_e32 v8, 24, v8
	v_lshlrev_b32_e32 v11, 20, v11
	v_and_b32_e32 v8, 0x80000000, v8
	v_lshl_add_u32 v14, v14, 23, v10
	v_or3_b32 v11, v8, v14, v11
.LBB489_1140:                           ;   in Loop: Header=BB489_788 Depth=1
	s_or_b64 exec, exec, s[18:19]
.LBB489_1141:                           ;   in Loop: Header=BB489_788 Depth=1
	s_or_b64 exec, exec, s[16:17]
.LBB489_1142:                           ;   in Loop: Header=BB489_788 Depth=1
	s_or_b64 exec, exec, s[14:15]
	v_cmp_lt_u32_e32 vcc, s23, v6
	v_mov_b32_e32 v14, 0
	v_mov_b32_e32 v15, 0
	s_and_saveexec_b64 s[14:15], vcc
	s_cbranch_execz .LBB489_1148
; %bb.1143:                             ;   in Loop: Header=BB489_788 Depth=1
	v_lshrrev_b32_e32 v8, 24, v6
	v_cmp_ne_u32_e32 vcc, s5, v8
	v_bfrev_b32_e32 v15, 1
	s_and_saveexec_b64 s[16:17], vcc
	s_cbranch_execz .LBB489_1147
; %bb.1144:                             ;   in Loop: Header=BB489_788 Depth=1
	v_bfe_u32 v6, v6, 24, 7
	v_cmp_ne_u32_e32 vcc, s22, v6
	v_mov_b32_e32 v15, 0x7f800001
	s_and_saveexec_b64 s[18:19], vcc
	s_cbranch_execz .LBB489_1146
; %bb.1145:                             ;   in Loop: Header=BB489_788 Depth=1
	v_and_b32_e32 v15, 7, v8
	v_ffbh_u32_e32 v16, v15
	v_min_u32_e32 v19, 32, v16
	v_subrev_u32_e32 v16, 28, v19
	v_lshlrev_b64 v[16:17], v16, v[8:9]
	v_lshrrev_b32_e32 v18, 3, v6
	v_sub_u32_e32 v17, 29, v19
	v_and_b32_e32 v16, 7, v16
	v_cmp_gt_u32_e32 vcc, 8, v6
	v_cndmask_b32_e32 v6, v18, v17, vcc
	v_cndmask_b32_e32 v15, v15, v16, vcc
	v_lshlrev_b32_e32 v8, 24, v8
	v_lshlrev_b32_e32 v15, 20, v15
	v_and_b32_e32 v8, 0x80000000, v8
	v_lshl_add_u32 v6, v6, 23, v10
	v_or3_b32 v15, v8, v6, v15
.LBB489_1146:                           ;   in Loop: Header=BB489_788 Depth=1
	s_or_b64 exec, exec, s[18:19]
.LBB489_1147:                           ;   in Loop: Header=BB489_788 Depth=1
	s_or_b64 exec, exec, s[16:17]
.LBB489_1148:                           ;   in Loop: Header=BB489_788 Depth=1
	s_or_b64 exec, exec, s[14:15]
	s_waitcnt vmcnt(0)
	v_cmp_ne_u16_sdwa s[16:17], v4, v9 src0_sel:BYTE_0 src1_sel:DWORD
	s_and_saveexec_b64 s[14:15], s[16:17]
	s_cbranch_execz .LBB489_1154
; %bb.1149:                             ;   in Loop: Header=BB489_788 Depth=1
	v_cmp_ne_u16_sdwa s[18:19], v4, s5 src0_sel:BYTE_0 src1_sel:DWORD
	v_bfrev_b32_e32 v14, 1
	s_and_saveexec_b64 s[16:17], s[18:19]
	s_cbranch_execz .LBB489_1153
; %bb.1150:                             ;   in Loop: Header=BB489_788 Depth=1
	v_and_b32_e32 v6, 0x7f, v4
	v_cmp_ne_u32_e32 vcc, s22, v6
	v_mov_b32_e32 v14, 0x7f800001
	s_and_saveexec_b64 s[18:19], vcc
	s_cbranch_execz .LBB489_1152
; %bb.1151:                             ;   in Loop: Header=BB489_788 Depth=1
	v_and_b32_e32 v8, 7, v4
	v_ffbh_u32_e32 v16, v8
	v_min_u32_e32 v18, 32, v16
	v_subrev_u32_e32 v16, 28, v18
	v_lshlrev_b64 v[16:17], v16, v[4:5]
	v_lshrrev_b32_e32 v14, 3, v6
	v_sub_u32_e32 v17, 29, v18
	v_and_b32_e32 v16, 7, v16
	v_cmp_gt_u32_e32 vcc, 8, v6
	v_cndmask_b32_e32 v6, v14, v17, vcc
	v_cndmask_b32_e32 v8, v8, v16, vcc
	v_lshlrev_b32_e32 v14, 24, v4
	v_lshlrev_b32_e32 v8, 20, v8
	v_and_b32_e32 v14, 0x80000000, v14
	v_lshl_add_u32 v6, v6, 23, v10
	v_or3_b32 v14, v14, v6, v8
.LBB489_1152:                           ;   in Loop: Header=BB489_788 Depth=1
	s_or_b64 exec, exec, s[18:19]
.LBB489_1153:                           ;   in Loop: Header=BB489_788 Depth=1
	s_or_b64 exec, exec, s[16:17]
.LBB489_1154:                           ;   in Loop: Header=BB489_788 Depth=1
	s_or_b64 exec, exec, s[14:15]
	v_lshrrev_b16_e32 v6, 8, v4
	v_cmp_ne_u16_e32 vcc, 0, v6
	v_mov_b32_e32 v8, 0
	v_mov_b32_e32 v16, 0
	s_and_saveexec_b64 s[14:15], vcc
	s_cbranch_execz .LBB489_1160
; %bb.1155:                             ;   in Loop: Header=BB489_788 Depth=1
	v_cmp_ne_u16_e32 vcc, s5, v6
	v_bfrev_b32_e32 v16, 1
	s_and_saveexec_b64 s[16:17], vcc
	s_cbranch_execz .LBB489_1159
; %bb.1156:                             ;   in Loop: Header=BB489_788 Depth=1
	v_and_b32_e32 v17, 0x7f, v6
	v_cmp_ne_u32_e32 vcc, s22, v17
	v_mov_b32_e32 v16, 0x7f800001
	s_and_saveexec_b64 s[18:19], vcc
	s_cbranch_execz .LBB489_1158
; %bb.1157:                             ;   in Loop: Header=BB489_788 Depth=1
	v_and_b32_e32 v16, 7, v6
	v_ffbh_u32_e32 v18, v16
	v_min_u32_e32 v21, 32, v18
	v_subrev_u32_e32 v18, 28, v21
	v_lshlrev_b64 v[18:19], v18, v[6:7]
	v_lshrrev_b32_e32 v20, 3, v17
	v_sub_u32_e32 v6, 29, v21
	v_and_b32_e32 v18, 7, v18
	v_cmp_gt_u32_e32 vcc, 8, v17
	v_cndmask_b32_e32 v6, v20, v6, vcc
	v_cndmask_b32_e32 v16, v16, v18, vcc
	v_lshlrev_b32_e32 v17, 16, v4
	v_lshlrev_b32_e32 v16, 20, v16
	v_and_b32_e32 v17, 0x80000000, v17
	v_lshl_add_u32 v6, v6, 23, v10
	v_or3_b32 v16, v17, v6, v16
.LBB489_1158:                           ;   in Loop: Header=BB489_788 Depth=1
	s_or_b64 exec, exec, s[18:19]
.LBB489_1159:                           ;   in Loop: Header=BB489_788 Depth=1
	s_or_b64 exec, exec, s[16:17]
.LBB489_1160:                           ;   in Loop: Header=BB489_788 Depth=1
	s_or_b64 exec, exec, s[14:15]
	v_lshrrev_b32_e32 v6, 16, v4
	v_cmp_ne_u16_sdwa s[16:17], v6, v9 src0_sel:BYTE_0 src1_sel:DWORD
	s_and_saveexec_b64 s[14:15], s[16:17]
	s_cbranch_execz .LBB489_1166
; %bb.1161:                             ;   in Loop: Header=BB489_788 Depth=1
	v_cmp_ne_u16_sdwa s[18:19], v6, s5 src0_sel:BYTE_0 src1_sel:DWORD
	v_bfrev_b32_e32 v8, 1
	s_and_saveexec_b64 s[16:17], s[18:19]
	s_cbranch_execz .LBB489_1165
; %bb.1162:                             ;   in Loop: Header=BB489_788 Depth=1
	v_bfe_u32 v17, v4, 16, 7
	v_cmp_ne_u32_e32 vcc, s22, v17
	v_mov_b32_e32 v8, 0x7f800001
	s_and_saveexec_b64 s[18:19], vcc
	s_cbranch_execz .LBB489_1164
; %bb.1163:                             ;   in Loop: Header=BB489_788 Depth=1
	v_and_b32_e32 v8, 7, v6
	v_ffbh_u32_e32 v18, v8
	v_min_u32_e32 v21, 32, v18
	v_subrev_u32_e32 v18, 28, v21
	v_lshlrev_b64 v[18:19], v18, v[6:7]
	v_lshrrev_b32_e32 v20, 3, v17
	v_sub_u32_e32 v19, 29, v21
	v_and_b32_e32 v18, 7, v18
	v_cmp_gt_u32_e32 vcc, 8, v17
	v_cndmask_b32_e32 v17, v20, v19, vcc
	v_cndmask_b32_e32 v8, v8, v18, vcc
	v_lshlrev_b32_e32 v6, 24, v6
	v_lshlrev_b32_e32 v8, 20, v8
	v_and_b32_e32 v6, 0x80000000, v6
	v_lshl_add_u32 v17, v17, 23, v10
	v_or3_b32 v8, v6, v17, v8
.LBB489_1164:                           ;   in Loop: Header=BB489_788 Depth=1
	s_or_b64 exec, exec, s[18:19]
.LBB489_1165:                           ;   in Loop: Header=BB489_788 Depth=1
	s_or_b64 exec, exec, s[16:17]
.LBB489_1166:                           ;   in Loop: Header=BB489_788 Depth=1
	s_or_b64 exec, exec, s[14:15]
	v_cmp_lt_u32_e32 vcc, s23, v4
	v_mov_b32_e32 v17, 0
	s_and_saveexec_b64 s[14:15], vcc
	s_cbranch_execz .LBB489_787
; %bb.1167:                             ;   in Loop: Header=BB489_788 Depth=1
	v_lshrrev_b32_e32 v6, 24, v4
	v_cmp_ne_u32_e32 vcc, s5, v6
	v_bfrev_b32_e32 v17, 1
	s_and_saveexec_b64 s[16:17], vcc
	s_cbranch_execz .LBB489_786
; %bb.1168:                             ;   in Loop: Header=BB489_788 Depth=1
	v_bfe_u32 v4, v4, 24, 7
	v_cmp_ne_u32_e32 vcc, s22, v4
	v_mov_b32_e32 v17, 0x7f800001
	s_and_saveexec_b64 s[18:19], vcc
	s_cbranch_execz .LBB489_785
; %bb.1169:                             ;   in Loop: Header=BB489_788 Depth=1
	v_and_b32_e32 v17, 7, v6
	v_ffbh_u32_e32 v18, v17
	v_min_u32_e32 v21, 32, v18
	v_subrev_u32_e32 v18, 28, v21
	v_lshlrev_b64 v[18:19], v18, v[6:7]
	v_lshrrev_b32_e32 v20, 3, v4
	v_sub_u32_e32 v19, 29, v21
	v_and_b32_e32 v18, 7, v18
	v_cmp_gt_u32_e32 vcc, 8, v4
	v_cndmask_b32_e32 v4, v20, v19, vcc
	v_cndmask_b32_e32 v17, v17, v18, vcc
	v_lshlrev_b32_e32 v6, 24, v6
	v_lshlrev_b32_e32 v17, 20, v17
	v_and_b32_e32 v6, 0x80000000, v6
	v_lshl_add_u32 v4, v4, 23, v10
	v_or3_b32 v17, v6, v4, v17
	s_branch .LBB489_785
.LBB489_1170:
	s_mov_b64 s[16:17], 0
                                        ; implicit-def: $sgpr38_sgpr39
	s_branch .LBB489_2
.LBB489_1171:
	s_or_b64 exec, exec, s[6:7]
	v_cmp_gt_u32_e32 vcc, 64, v0
	s_waitcnt lgkmcnt(0)
	s_barrier
	s_and_saveexec_b64 s[6:7], vcc
	s_cbranch_execz .LBB489_1173
; %bb.1172:
	v_mul_u32_u24_e32 v6, 40, v1
	ds_read2_b64 v[2:5], v6 offset1:1
	ds_read2_b64 v[6:9], v6 offset0:2 offset1:3
	s_mov_b32 s5, 0
	s_lshl_b32 s4, s4, 7
	s_lshl_b64 s[6:7], s[4:5], 1
	s_waitcnt lgkmcnt(1)
	v_pk_add_f16 v2, v2, 0
	v_pk_add_f16 v2, v2, v4
	;; [unrolled: 1-line block ×3, first 2 shown]
	s_waitcnt lgkmcnt(0)
	v_pk_add_f16 v2, v2, v6
	v_pk_add_f16 v3, v3, v5
	;; [unrolled: 1-line block ×3, first 2 shown]
	v_mov_b32_e32 v2, 0xa00
	v_pk_add_f16 v6, v3, v7
	v_mad_u32_u24 v2, v1, 40, v2
	ds_read2_b64 v[2:5], v2 offset1:1
	v_pk_add_f16 v11, v6, v9
	v_mov_b32_e32 v6, 0xa10
	v_mad_u32_u24 v1, v1, 40, v6
	ds_read2_b64 v[6:9], v1 offset1:1
	s_add_u32 s6, s30, s6
	s_addc_u32 s7, s31, s7
	s_lshl_b32 s4, s28, 7
	s_lshl_b64 s[4:5], s[4:5], 1
	s_waitcnt lgkmcnt(1)
	v_pk_add_f16 v1, v2, 0
	v_pk_add_f16 v2, v3, 0
	s_add_u32 s4, s6, s4
	v_pk_add_f16 v2, v2, v5
	s_addc_u32 s5, s7, s5
	s_lshl_b32 s6, s33, 7
	s_waitcnt lgkmcnt(0)
	v_pk_add_f16 v2, v2, v7
	s_mul_i32 s7, s6, s20
	v_pk_add_f16 v1, v1, v4
	v_pk_add_f16 v13, v2, v9
	v_or_b32_e32 v2, s7, v0
	v_mov_b32_e32 v3, 0
	v_pk_add_f16 v1, v1, v6
	v_lshlrev_b64 v[4:5], 1, v[2:3]
	s_add_i32 s7, s7, s6
	v_pk_add_f16 v12, v1, v8
	v_mov_b32_e32 v1, s5
	v_add_co_u32_e32 v4, vcc, s4, v4
	v_or_b32_e32 v2, s7, v0
	v_addc_co_u32_e32 v5, vcc, v1, v5, vcc
	v_lshlrev_b64 v[6:7], 1, v[2:3]
	s_add_i32 s7, s7, s6
	v_add_co_u32_e32 v6, vcc, s4, v6
	v_or_b32_e32 v2, s7, v0
	v_addc_co_u32_e32 v7, vcc, v1, v7, vcc
	v_lshlrev_b64 v[8:9], 1, v[2:3]
	s_add_i32 s7, s7, s6
	v_add_co_u32_e32 v8, vcc, s4, v8
	v_or_b32_e32 v2, s7, v0
	v_addc_co_u32_e32 v9, vcc, v1, v9, vcc
	v_lshlrev_b64 v[0:1], 1, v[2:3]
	v_mov_b32_e32 v2, s5
	v_add_co_u32_e32 v0, vcc, s4, v0
	v_addc_co_u32_e32 v1, vcc, v2, v1, vcc
	global_store_short v[4:5], v10, off
	global_store_short_d16_hi v[6:7], v10, off
	global_store_short v[8:9], v11, off
	global_store_short_d16_hi v[0:1], v11, off
	global_store_short v[4:5], v12, off offset:128
	global_store_short_d16_hi v[6:7], v12, off offset:128
	global_store_short v[8:9], v13, off offset:128
	global_store_short_d16_hi v[0:1], v13, off offset:128
.LBB489_1173:
	s_endpgm
	.section	.rodata,"a",@progbits
	.p2align	6, 0x0
	.amdhsa_kernel _Z38paged_attention_ll4mi_QKV_mfma4_kernelIDF16_hLN4vllm18Fp8KVCacheDataTypeE1EDF16_Li16ELi128ELi256ELb0ELi4EEvPKT_PKT0_S7_ifPKiS9_S9_iPKfiiiPfSC_PS2_PT2_iSB_SB_
		.amdhsa_group_segment_fixed_size 5280
		.amdhsa_private_segment_fixed_size 144
		.amdhsa_kernarg_size 400
		.amdhsa_user_sgpr_count 8
		.amdhsa_user_sgpr_private_segment_buffer 1
		.amdhsa_user_sgpr_dispatch_ptr 0
		.amdhsa_user_sgpr_queue_ptr 0
		.amdhsa_user_sgpr_kernarg_segment_ptr 1
		.amdhsa_user_sgpr_dispatch_id 0
		.amdhsa_user_sgpr_flat_scratch_init 1
		.amdhsa_user_sgpr_kernarg_preload_length 0
		.amdhsa_user_sgpr_kernarg_preload_offset 0
		.amdhsa_user_sgpr_private_segment_size 0
		.amdhsa_uses_dynamic_stack 0
		.amdhsa_system_sgpr_private_segment_wavefront_offset 1
		.amdhsa_system_sgpr_workgroup_id_x 1
		.amdhsa_system_sgpr_workgroup_id_y 1
		.amdhsa_system_sgpr_workgroup_id_z 1
		.amdhsa_system_sgpr_workgroup_info 0
		.amdhsa_system_vgpr_workitem_id 0
		.amdhsa_next_free_vgpr 72
		.amdhsa_next_free_sgpr 46
		.amdhsa_accum_offset 68
		.amdhsa_reserve_vcc 1
		.amdhsa_reserve_flat_scratch 0
		.amdhsa_float_round_mode_32 0
		.amdhsa_float_round_mode_16_64 0
		.amdhsa_float_denorm_mode_32 3
		.amdhsa_float_denorm_mode_16_64 3
		.amdhsa_dx10_clamp 1
		.amdhsa_ieee_mode 1
		.amdhsa_fp16_overflow 0
		.amdhsa_tg_split 0
		.amdhsa_exception_fp_ieee_invalid_op 0
		.amdhsa_exception_fp_denorm_src 0
		.amdhsa_exception_fp_ieee_div_zero 0
		.amdhsa_exception_fp_ieee_overflow 0
		.amdhsa_exception_fp_ieee_underflow 0
		.amdhsa_exception_fp_ieee_inexact 0
		.amdhsa_exception_int_div_zero 0
	.end_amdhsa_kernel
	.section	.text._Z38paged_attention_ll4mi_QKV_mfma4_kernelIDF16_hLN4vllm18Fp8KVCacheDataTypeE1EDF16_Li16ELi128ELi256ELb0ELi4EEvPKT_PKT0_S7_ifPKiS9_S9_iPKfiiiPfSC_PS2_PT2_iSB_SB_,"axG",@progbits,_Z38paged_attention_ll4mi_QKV_mfma4_kernelIDF16_hLN4vllm18Fp8KVCacheDataTypeE1EDF16_Li16ELi128ELi256ELb0ELi4EEvPKT_PKT0_S7_ifPKiS9_S9_iPKfiiiPfSC_PS2_PT2_iSB_SB_,comdat
.Lfunc_end489:
	.size	_Z38paged_attention_ll4mi_QKV_mfma4_kernelIDF16_hLN4vllm18Fp8KVCacheDataTypeE1EDF16_Li16ELi128ELi256ELb0ELi4EEvPKT_PKT0_S7_ifPKiS9_S9_iPKfiiiPfSC_PS2_PT2_iSB_SB_, .Lfunc_end489-_Z38paged_attention_ll4mi_QKV_mfma4_kernelIDF16_hLN4vllm18Fp8KVCacheDataTypeE1EDF16_Li16ELi128ELi256ELb0ELi4EEvPKT_PKT0_S7_ifPKiS9_S9_iPKfiiiPfSC_PS2_PT2_iSB_SB_
                                        ; -- End function
	.section	.AMDGPU.csdata,"",@progbits
; Kernel info:
; codeLenInByte = 37848
; NumSgprs: 50
; NumVgprs: 68
; NumAgprs: 4
; TotalNumVgprs: 72
; ScratchSize: 144
; MemoryBound: 0
; FloatMode: 240
; IeeeMode: 1
; LDSByteSize: 5280 bytes/workgroup (compile time only)
; SGPRBlocks: 6
; VGPRBlocks: 8
; NumSGPRsForWavesPerEU: 50
; NumVGPRsForWavesPerEU: 72
; AccumOffset: 68
; Occupancy: 7
; WaveLimiterHint : 1
; COMPUTE_PGM_RSRC2:SCRATCH_EN: 1
; COMPUTE_PGM_RSRC2:USER_SGPR: 8
; COMPUTE_PGM_RSRC2:TRAP_HANDLER: 0
; COMPUTE_PGM_RSRC2:TGID_X_EN: 1
; COMPUTE_PGM_RSRC2:TGID_Y_EN: 1
; COMPUTE_PGM_RSRC2:TGID_Z_EN: 1
; COMPUTE_PGM_RSRC2:TIDIG_COMP_CNT: 0
; COMPUTE_PGM_RSRC3_GFX90A:ACCUM_OFFSET: 16
; COMPUTE_PGM_RSRC3_GFX90A:TG_SPLIT: 0
	.section	.text._Z39paged_attention_ll4mi_QKV_mfma16_kernelIDF16_hLN4vllm18Fp8KVCacheDataTypeE1EDF16_Li16ELi128ELi256ELb0ELi5EL8MFMAType1EEvPKT_PKT0_S8_ifPKiSA_SA_iPKfiiiPfSD_PS3_PT2_iSC_SC_,"axG",@progbits,_Z39paged_attention_ll4mi_QKV_mfma16_kernelIDF16_hLN4vllm18Fp8KVCacheDataTypeE1EDF16_Li16ELi128ELi256ELb0ELi5EL8MFMAType1EEvPKT_PKT0_S8_ifPKiSA_SA_iPKfiiiPfSD_PS3_PT2_iSC_SC_,comdat
	.protected	_Z39paged_attention_ll4mi_QKV_mfma16_kernelIDF16_hLN4vllm18Fp8KVCacheDataTypeE1EDF16_Li16ELi128ELi256ELb0ELi5EL8MFMAType1EEvPKT_PKT0_S8_ifPKiSA_SA_iPKfiiiPfSD_PS3_PT2_iSC_SC_ ; -- Begin function _Z39paged_attention_ll4mi_QKV_mfma16_kernelIDF16_hLN4vllm18Fp8KVCacheDataTypeE1EDF16_Li16ELi128ELi256ELb0ELi5EL8MFMAType1EEvPKT_PKT0_S8_ifPKiSA_SA_iPKfiiiPfSD_PS3_PT2_iSC_SC_
	.globl	_Z39paged_attention_ll4mi_QKV_mfma16_kernelIDF16_hLN4vllm18Fp8KVCacheDataTypeE1EDF16_Li16ELi128ELi256ELb0ELi5EL8MFMAType1EEvPKT_PKT0_S8_ifPKiSA_SA_iPKfiiiPfSD_PS3_PT2_iSC_SC_
	.p2align	8
	.type	_Z39paged_attention_ll4mi_QKV_mfma16_kernelIDF16_hLN4vllm18Fp8KVCacheDataTypeE1EDF16_Li16ELi128ELi256ELb0ELi5EL8MFMAType1EEvPKT_PKT0_S8_ifPKiSA_SA_iPKfiiiPfSD_PS3_PT2_iSC_SC_,@function
_Z39paged_attention_ll4mi_QKV_mfma16_kernelIDF16_hLN4vllm18Fp8KVCacheDataTypeE1EDF16_Li16ELi128ELi256ELb0ELi5EL8MFMAType1EEvPKT_PKT0_S8_ifPKiSA_SA_iPKfiiiPfSD_PS3_PT2_iSC_SC_: ; @_Z39paged_attention_ll4mi_QKV_mfma16_kernelIDF16_hLN4vllm18Fp8KVCacheDataTypeE1EDF16_Li16ELi128ELi256ELb0ELi5EL8MFMAType1EEvPKT_PKT0_S8_ifPKiSA_SA_iPKfiiiPfSD_PS3_PT2_iSC_SC_
; %bb.0:
	s_load_dwordx2 s[12:13], s[4:5], 0x30
	s_add_u32 flat_scratch_lo, s6, s11
	s_addc_u32 flat_scratch_hi, s7, 0
	s_add_u32 s0, s0, s11
	s_addc_u32 s1, s1, 0
	s_waitcnt lgkmcnt(0)
	s_cmp_lg_u64 s[12:13], 0
	s_cselect_b64 s[14:15], -1, 0
	s_mov_b32 s6, s9
	s_mov_b64 s[16:17], 0
	s_and_b64 vcc, exec, s[14:15]
	s_mov_b32 s32, 0
	s_cbranch_vccz .LBB490_11
; %bb.1:
	s_add_i32 s18, s8, 1
	s_mov_b32 s19, 0
	s_lshl_b64 s[20:21], s[18:19], 2
	s_add_u32 s20, s12, s20
	s_mov_b32 s9, s19
	s_addc_u32 s21, s13, s21
	s_lshl_b64 s[18:19], s[8:9], 2
	s_add_u32 s18, s12, s18
	s_addc_u32 s19, s13, s19
	s_load_dword s7, s[20:21], 0x0
	s_load_dword s11, s[18:19], 0x0
	s_waitcnt lgkmcnt(0)
	s_sub_i32 s7, s7, s11
	s_cmp_eq_u32 s7, 1
	s_cselect_b64 s[18:19], -1, 0
	s_andn2_b64 vcc, exec, s[16:17]
	s_cbranch_vccnz .LBB490_3
.LBB490_2:
	s_mov_b32 s9, 0
	s_mov_b64 s[18:19], -1
.LBB490_3:
	s_andn2_b64 vcc, exec, s[18:19]
	s_cbranch_vccnz .LBB490_10
; %bb.4:
	s_load_dwordx2 s[18:19], s[4:5], 0x28
	s_lshl_b64 s[16:17], s[8:9], 2
	s_waitcnt lgkmcnt(0)
	s_add_u32 s18, s18, s16
	s_addc_u32 s19, s19, s17
	s_load_dword s7, s[18:19], 0x0
	s_lshl_b32 s6, s6, 8
	s_waitcnt lgkmcnt(0)
	s_cmp_ge_i32 s6, s7
	s_cbranch_scc1 .LBB490_10
; %bb.5:
	s_andn2_b64 vcc, exec, s[14:15]
	s_cbranch_vccnz .LBB490_7
; %bb.6:
	s_add_u32 s6, s12, s16
	s_addc_u32 s7, s13, s17
	s_load_dword s8, s[6:7], 0x0
.LBB490_7:
	s_movk_i32 s6, 0x50
	v_cmp_gt_u32_e32 vcc, s6, v0
	s_and_saveexec_b64 s[6:7], vcc
	s_cbranch_execz .LBB490_9
; %bb.8:
	s_load_dword s11, s[4:5], 0x48
	s_load_dwordx2 s[12:13], s[4:5], 0x0
	v_lshrrev_b32_e32 v1, 4, v0
	s_mul_i32 s10, s10, 5
	v_add_lshl_u32 v2, v1, s10, 7
	s_waitcnt lgkmcnt(0)
	s_ashr_i32 s9, s11, 31
	s_mul_hi_u32 s14, s8, s11
	s_mul_i32 s9, s8, s9
	s_add_i32 s9, s14, s9
	s_mul_i32 s8, s8, s11
	s_lshl_b64 s[8:9], s[8:9], 1
	s_add_u32 s8, s12, s8
	v_ashrrev_i32_e32 v3, 31, v2
	s_addc_u32 s9, s13, s9
	v_lshlrev_b64 v[2:3], 1, v[2:3]
	v_and_b32_e32 v4, 15, v0
	v_mov_b32_e32 v5, s9
	v_add_co_u32_e32 v2, vcc, s8, v2
	v_addc_co_u32_e32 v3, vcc, v5, v3, vcc
	v_lshlrev_b32_e32 v4, 4, v4
	v_add_co_u32_e32 v2, vcc, v2, v4
	v_addc_co_u32_e32 v3, vcc, 0, v3, vcc
	global_load_dwordx4 v[2:5], v[2:3], off
	v_lshlrev_b32_e32 v6, 4, v0
	v_lshlrev_b32_e32 v0, 8, v0
	v_and_b32_e32 v6, 16, v6
	v_lshlrev_b32_e32 v1, 5, v1
	v_and_b32_e32 v0, 0xe00, v0
	v_or3_b32 v0, v0, v1, v6
	s_waitcnt vmcnt(0)
	ds_write_b128 v0, v[2:5]
.LBB490_9:
	s_or_b64 exec, exec, s[6:7]
	s_waitcnt lgkmcnt(0)
	s_add_u32 s8, s4, 0x90
	s_addc_u32 s9, s5, 0
	s_getpc_b64 s[4:5]
	s_add_u32 s4, s4, __PRETTY_FUNCTION__._Z39paged_attention_ll4mi_QKV_mfma16_kernelIDF16_hLN4vllm18Fp8KVCacheDataTypeE1EDF16_Li16ELi128ELi256ELb0ELi5EL8MFMAType1EEvPKT_PKT0_S8_ifPKiSA_SA_iPKfiiiPfSD_PS3_PT2_iSC_SC_@rel32@lo+4
	s_addc_u32 s5, s5, __PRETTY_FUNCTION__._Z39paged_attention_ll4mi_QKV_mfma16_kernelIDF16_hLN4vllm18Fp8KVCacheDataTypeE1EDF16_Li16ELi128ELi256ELb0ELi5EL8MFMAType1EEvPKT_PKT0_S8_ifPKiSA_SA_iPKfiiiPfSD_PS3_PT2_iSC_SC_@rel32@hi+12
	v_mov_b32_e32 v0, 0x288
	v_mov_b32_e32 v1, s4
	v_mov_b32_e32 v2, s5
	s_barrier
	s_getpc_b64 s[6:7]
	s_add_u32 s6, s6, __assert_fail@rel32@lo+4
	s_addc_u32 s7, s7, __assert_fail@rel32@hi+12
	s_swappc_b64 s[30:31], s[6:7]
	; divergent unreachable
.LBB490_10:
	s_endpgm
.LBB490_11:
	s_mov_b64 s[18:19], 0
	s_branch .LBB490_2
	.section	.rodata,"a",@progbits
	.p2align	6, 0x0
	.amdhsa_kernel _Z39paged_attention_ll4mi_QKV_mfma16_kernelIDF16_hLN4vllm18Fp8KVCacheDataTypeE1EDF16_Li16ELi128ELi256ELb0ELi5EL8MFMAType1EEvPKT_PKT0_S8_ifPKiSA_SA_iPKfiiiPfSD_PS3_PT2_iSC_SC_
		.amdhsa_group_segment_fixed_size 8192
		.amdhsa_private_segment_fixed_size 64
		.amdhsa_kernarg_size 400
		.amdhsa_user_sgpr_count 8
		.amdhsa_user_sgpr_private_segment_buffer 1
		.amdhsa_user_sgpr_dispatch_ptr 0
		.amdhsa_user_sgpr_queue_ptr 0
		.amdhsa_user_sgpr_kernarg_segment_ptr 1
		.amdhsa_user_sgpr_dispatch_id 0
		.amdhsa_user_sgpr_flat_scratch_init 1
		.amdhsa_user_sgpr_kernarg_preload_length 0
		.amdhsa_user_sgpr_kernarg_preload_offset 0
		.amdhsa_user_sgpr_private_segment_size 0
		.amdhsa_uses_dynamic_stack 0
		.amdhsa_system_sgpr_private_segment_wavefront_offset 1
		.amdhsa_system_sgpr_workgroup_id_x 1
		.amdhsa_system_sgpr_workgroup_id_y 1
		.amdhsa_system_sgpr_workgroup_id_z 1
		.amdhsa_system_sgpr_workgroup_info 0
		.amdhsa_system_vgpr_workitem_id 0
		.amdhsa_next_free_vgpr 45
		.amdhsa_next_free_sgpr 34
		.amdhsa_accum_offset 44
		.amdhsa_reserve_vcc 1
		.amdhsa_reserve_flat_scratch 1
		.amdhsa_float_round_mode_32 0
		.amdhsa_float_round_mode_16_64 0
		.amdhsa_float_denorm_mode_32 3
		.amdhsa_float_denorm_mode_16_64 3
		.amdhsa_dx10_clamp 1
		.amdhsa_ieee_mode 1
		.amdhsa_fp16_overflow 0
		.amdhsa_tg_split 0
		.amdhsa_exception_fp_ieee_invalid_op 0
		.amdhsa_exception_fp_denorm_src 0
		.amdhsa_exception_fp_ieee_div_zero 0
		.amdhsa_exception_fp_ieee_overflow 0
		.amdhsa_exception_fp_ieee_underflow 0
		.amdhsa_exception_fp_ieee_inexact 0
		.amdhsa_exception_int_div_zero 0
	.end_amdhsa_kernel
	.section	.text._Z39paged_attention_ll4mi_QKV_mfma16_kernelIDF16_hLN4vllm18Fp8KVCacheDataTypeE1EDF16_Li16ELi128ELi256ELb0ELi5EL8MFMAType1EEvPKT_PKT0_S8_ifPKiSA_SA_iPKfiiiPfSD_PS3_PT2_iSC_SC_,"axG",@progbits,_Z39paged_attention_ll4mi_QKV_mfma16_kernelIDF16_hLN4vllm18Fp8KVCacheDataTypeE1EDF16_Li16ELi128ELi256ELb0ELi5EL8MFMAType1EEvPKT_PKT0_S8_ifPKiSA_SA_iPKfiiiPfSD_PS3_PT2_iSC_SC_,comdat
.Lfunc_end490:
	.size	_Z39paged_attention_ll4mi_QKV_mfma16_kernelIDF16_hLN4vllm18Fp8KVCacheDataTypeE1EDF16_Li16ELi128ELi256ELb0ELi5EL8MFMAType1EEvPKT_PKT0_S8_ifPKiSA_SA_iPKfiiiPfSD_PS3_PT2_iSC_SC_, .Lfunc_end490-_Z39paged_attention_ll4mi_QKV_mfma16_kernelIDF16_hLN4vllm18Fp8KVCacheDataTypeE1EDF16_Li16ELi128ELi256ELb0ELi5EL8MFMAType1EEvPKT_PKT0_S8_ifPKiSA_SA_iPKfiiiPfSD_PS3_PT2_iSC_SC_
                                        ; -- End function
	.section	.AMDGPU.csdata,"",@progbits
; Kernel info:
; codeLenInByte = 492
; NumSgprs: 40
; NumVgprs: 42
; NumAgprs: 1
; TotalNumVgprs: 45
; ScratchSize: 64
; MemoryBound: 0
; FloatMode: 240
; IeeeMode: 1
; LDSByteSize: 8192 bytes/workgroup (compile time only)
; SGPRBlocks: 4
; VGPRBlocks: 5
; NumSGPRsForWavesPerEU: 40
; NumVGPRsForWavesPerEU: 45
; AccumOffset: 44
; Occupancy: 8
; WaveLimiterHint : 1
; COMPUTE_PGM_RSRC2:SCRATCH_EN: 1
; COMPUTE_PGM_RSRC2:USER_SGPR: 8
; COMPUTE_PGM_RSRC2:TRAP_HANDLER: 0
; COMPUTE_PGM_RSRC2:TGID_X_EN: 1
; COMPUTE_PGM_RSRC2:TGID_Y_EN: 1
; COMPUTE_PGM_RSRC2:TGID_Z_EN: 1
; COMPUTE_PGM_RSRC2:TIDIG_COMP_CNT: 0
; COMPUTE_PGM_RSRC3_GFX90A:ACCUM_OFFSET: 10
; COMPUTE_PGM_RSRC3_GFX90A:TG_SPLIT: 0
	.section	.text._Z39paged_attention_ll4mi_QKV_mfma16_kernelIDF16_hLN4vllm18Fp8KVCacheDataTypeE1EDF16_Li16ELi128ELi256ELb0ELi6EL8MFMAType1EEvPKT_PKT0_S8_ifPKiSA_SA_iPKfiiiPfSD_PS3_PT2_iSC_SC_,"axG",@progbits,_Z39paged_attention_ll4mi_QKV_mfma16_kernelIDF16_hLN4vllm18Fp8KVCacheDataTypeE1EDF16_Li16ELi128ELi256ELb0ELi6EL8MFMAType1EEvPKT_PKT0_S8_ifPKiSA_SA_iPKfiiiPfSD_PS3_PT2_iSC_SC_,comdat
	.protected	_Z39paged_attention_ll4mi_QKV_mfma16_kernelIDF16_hLN4vllm18Fp8KVCacheDataTypeE1EDF16_Li16ELi128ELi256ELb0ELi6EL8MFMAType1EEvPKT_PKT0_S8_ifPKiSA_SA_iPKfiiiPfSD_PS3_PT2_iSC_SC_ ; -- Begin function _Z39paged_attention_ll4mi_QKV_mfma16_kernelIDF16_hLN4vllm18Fp8KVCacheDataTypeE1EDF16_Li16ELi128ELi256ELb0ELi6EL8MFMAType1EEvPKT_PKT0_S8_ifPKiSA_SA_iPKfiiiPfSD_PS3_PT2_iSC_SC_
	.globl	_Z39paged_attention_ll4mi_QKV_mfma16_kernelIDF16_hLN4vllm18Fp8KVCacheDataTypeE1EDF16_Li16ELi128ELi256ELb0ELi6EL8MFMAType1EEvPKT_PKT0_S8_ifPKiSA_SA_iPKfiiiPfSD_PS3_PT2_iSC_SC_
	.p2align	8
	.type	_Z39paged_attention_ll4mi_QKV_mfma16_kernelIDF16_hLN4vllm18Fp8KVCacheDataTypeE1EDF16_Li16ELi128ELi256ELb0ELi6EL8MFMAType1EEvPKT_PKT0_S8_ifPKiSA_SA_iPKfiiiPfSD_PS3_PT2_iSC_SC_,@function
_Z39paged_attention_ll4mi_QKV_mfma16_kernelIDF16_hLN4vllm18Fp8KVCacheDataTypeE1EDF16_Li16ELi128ELi256ELb0ELi6EL8MFMAType1EEvPKT_PKT0_S8_ifPKiSA_SA_iPKfiiiPfSD_PS3_PT2_iSC_SC_: ; @_Z39paged_attention_ll4mi_QKV_mfma16_kernelIDF16_hLN4vllm18Fp8KVCacheDataTypeE1EDF16_Li16ELi128ELi256ELb0ELi6EL8MFMAType1EEvPKT_PKT0_S8_ifPKiSA_SA_iPKfiiiPfSD_PS3_PT2_iSC_SC_
; %bb.0:
	s_load_dwordx2 s[12:13], s[4:5], 0x30
	s_add_u32 flat_scratch_lo, s6, s11
	s_addc_u32 flat_scratch_hi, s7, 0
	s_add_u32 s0, s0, s11
	s_addc_u32 s1, s1, 0
	s_waitcnt lgkmcnt(0)
	s_cmp_lg_u64 s[12:13], 0
	s_cselect_b64 s[14:15], -1, 0
	s_mov_b32 s6, s9
	s_mov_b64 s[16:17], 0
	s_and_b64 vcc, exec, s[14:15]
	s_mov_b32 s32, 0
	s_cbranch_vccz .LBB491_11
; %bb.1:
	s_add_i32 s18, s8, 1
	s_mov_b32 s19, 0
	s_lshl_b64 s[20:21], s[18:19], 2
	s_add_u32 s20, s12, s20
	s_mov_b32 s9, s19
	s_addc_u32 s21, s13, s21
	s_lshl_b64 s[18:19], s[8:9], 2
	s_add_u32 s18, s12, s18
	s_addc_u32 s19, s13, s19
	s_load_dword s7, s[20:21], 0x0
	s_load_dword s11, s[18:19], 0x0
	s_waitcnt lgkmcnt(0)
	s_sub_i32 s7, s7, s11
	s_cmp_eq_u32 s7, 1
	s_cselect_b64 s[18:19], -1, 0
	s_andn2_b64 vcc, exec, s[16:17]
	s_cbranch_vccnz .LBB491_3
.LBB491_2:
	s_mov_b32 s9, 0
	s_mov_b64 s[18:19], -1
.LBB491_3:
	s_andn2_b64 vcc, exec, s[18:19]
	s_cbranch_vccnz .LBB491_10
; %bb.4:
	s_load_dwordx2 s[18:19], s[4:5], 0x28
	s_lshl_b64 s[16:17], s[8:9], 2
	s_waitcnt lgkmcnt(0)
	s_add_u32 s18, s18, s16
	s_addc_u32 s19, s19, s17
	s_load_dword s7, s[18:19], 0x0
	s_lshl_b32 s6, s6, 8
	s_waitcnt lgkmcnt(0)
	s_cmp_ge_i32 s6, s7
	s_cbranch_scc1 .LBB491_10
; %bb.5:
	s_andn2_b64 vcc, exec, s[14:15]
	s_cbranch_vccnz .LBB491_7
; %bb.6:
	s_add_u32 s6, s12, s16
	s_addc_u32 s7, s13, s17
	s_load_dword s8, s[6:7], 0x0
.LBB491_7:
	s_movk_i32 s6, 0x60
	v_cmp_gt_u32_e32 vcc, s6, v0
	s_and_saveexec_b64 s[6:7], vcc
	s_cbranch_execz .LBB491_9
; %bb.8:
	s_load_dword s11, s[4:5], 0x48
	s_load_dwordx2 s[12:13], s[4:5], 0x0
	v_lshrrev_b32_e32 v1, 4, v0
	s_mul_i32 s10, s10, 6
	v_add_lshl_u32 v2, v1, s10, 7
	s_waitcnt lgkmcnt(0)
	s_ashr_i32 s9, s11, 31
	s_mul_hi_u32 s14, s8, s11
	s_mul_i32 s9, s8, s9
	s_add_i32 s9, s14, s9
	s_mul_i32 s8, s8, s11
	s_lshl_b64 s[8:9], s[8:9], 1
	s_add_u32 s8, s12, s8
	v_ashrrev_i32_e32 v3, 31, v2
	s_addc_u32 s9, s13, s9
	v_lshlrev_b64 v[2:3], 1, v[2:3]
	v_and_b32_e32 v4, 15, v0
	v_mov_b32_e32 v5, s9
	v_add_co_u32_e32 v2, vcc, s8, v2
	v_addc_co_u32_e32 v3, vcc, v5, v3, vcc
	v_lshlrev_b32_e32 v4, 4, v4
	v_add_co_u32_e32 v2, vcc, v2, v4
	v_addc_co_u32_e32 v3, vcc, 0, v3, vcc
	global_load_dwordx4 v[2:5], v[2:3], off
	v_lshlrev_b32_e32 v6, 4, v0
	v_lshlrev_b32_e32 v0, 8, v0
	v_and_b32_e32 v6, 16, v6
	v_lshlrev_b32_e32 v1, 5, v1
	v_and_b32_e32 v0, 0xe00, v0
	v_or3_b32 v0, v0, v1, v6
	s_waitcnt vmcnt(0)
	ds_write_b128 v0, v[2:5]
.LBB491_9:
	s_or_b64 exec, exec, s[6:7]
	s_waitcnt lgkmcnt(0)
	s_add_u32 s8, s4, 0x90
	s_addc_u32 s9, s5, 0
	s_getpc_b64 s[4:5]
	s_add_u32 s4, s4, __PRETTY_FUNCTION__._Z39paged_attention_ll4mi_QKV_mfma16_kernelIDF16_hLN4vllm18Fp8KVCacheDataTypeE1EDF16_Li16ELi128ELi256ELb0ELi6EL8MFMAType1EEvPKT_PKT0_S8_ifPKiSA_SA_iPKfiiiPfSD_PS3_PT2_iSC_SC_@rel32@lo+4
	s_addc_u32 s5, s5, __PRETTY_FUNCTION__._Z39paged_attention_ll4mi_QKV_mfma16_kernelIDF16_hLN4vllm18Fp8KVCacheDataTypeE1EDF16_Li16ELi128ELi256ELb0ELi6EL8MFMAType1EEvPKT_PKT0_S8_ifPKiSA_SA_iPKfiiiPfSD_PS3_PT2_iSC_SC_@rel32@hi+12
	v_mov_b32_e32 v0, 0x288
	v_mov_b32_e32 v1, s4
	v_mov_b32_e32 v2, s5
	s_barrier
	s_getpc_b64 s[6:7]
	s_add_u32 s6, s6, __assert_fail@rel32@lo+4
	s_addc_u32 s7, s7, __assert_fail@rel32@hi+12
	s_swappc_b64 s[30:31], s[6:7]
	; divergent unreachable
.LBB491_10:
	s_endpgm
.LBB491_11:
	s_mov_b64 s[18:19], 0
	s_branch .LBB491_2
	.section	.rodata,"a",@progbits
	.p2align	6, 0x0
	.amdhsa_kernel _Z39paged_attention_ll4mi_QKV_mfma16_kernelIDF16_hLN4vllm18Fp8KVCacheDataTypeE1EDF16_Li16ELi128ELi256ELb0ELi6EL8MFMAType1EEvPKT_PKT0_S8_ifPKiSA_SA_iPKfiiiPfSD_PS3_PT2_iSC_SC_
		.amdhsa_group_segment_fixed_size 8192
		.amdhsa_private_segment_fixed_size 64
		.amdhsa_kernarg_size 400
		.amdhsa_user_sgpr_count 8
		.amdhsa_user_sgpr_private_segment_buffer 1
		.amdhsa_user_sgpr_dispatch_ptr 0
		.amdhsa_user_sgpr_queue_ptr 0
		.amdhsa_user_sgpr_kernarg_segment_ptr 1
		.amdhsa_user_sgpr_dispatch_id 0
		.amdhsa_user_sgpr_flat_scratch_init 1
		.amdhsa_user_sgpr_kernarg_preload_length 0
		.amdhsa_user_sgpr_kernarg_preload_offset 0
		.amdhsa_user_sgpr_private_segment_size 0
		.amdhsa_uses_dynamic_stack 0
		.amdhsa_system_sgpr_private_segment_wavefront_offset 1
		.amdhsa_system_sgpr_workgroup_id_x 1
		.amdhsa_system_sgpr_workgroup_id_y 1
		.amdhsa_system_sgpr_workgroup_id_z 1
		.amdhsa_system_sgpr_workgroup_info 0
		.amdhsa_system_vgpr_workitem_id 0
		.amdhsa_next_free_vgpr 45
		.amdhsa_next_free_sgpr 34
		.amdhsa_accum_offset 44
		.amdhsa_reserve_vcc 1
		.amdhsa_reserve_flat_scratch 1
		.amdhsa_float_round_mode_32 0
		.amdhsa_float_round_mode_16_64 0
		.amdhsa_float_denorm_mode_32 3
		.amdhsa_float_denorm_mode_16_64 3
		.amdhsa_dx10_clamp 1
		.amdhsa_ieee_mode 1
		.amdhsa_fp16_overflow 0
		.amdhsa_tg_split 0
		.amdhsa_exception_fp_ieee_invalid_op 0
		.amdhsa_exception_fp_denorm_src 0
		.amdhsa_exception_fp_ieee_div_zero 0
		.amdhsa_exception_fp_ieee_overflow 0
		.amdhsa_exception_fp_ieee_underflow 0
		.amdhsa_exception_fp_ieee_inexact 0
		.amdhsa_exception_int_div_zero 0
	.end_amdhsa_kernel
	.section	.text._Z39paged_attention_ll4mi_QKV_mfma16_kernelIDF16_hLN4vllm18Fp8KVCacheDataTypeE1EDF16_Li16ELi128ELi256ELb0ELi6EL8MFMAType1EEvPKT_PKT0_S8_ifPKiSA_SA_iPKfiiiPfSD_PS3_PT2_iSC_SC_,"axG",@progbits,_Z39paged_attention_ll4mi_QKV_mfma16_kernelIDF16_hLN4vllm18Fp8KVCacheDataTypeE1EDF16_Li16ELi128ELi256ELb0ELi6EL8MFMAType1EEvPKT_PKT0_S8_ifPKiSA_SA_iPKfiiiPfSD_PS3_PT2_iSC_SC_,comdat
.Lfunc_end491:
	.size	_Z39paged_attention_ll4mi_QKV_mfma16_kernelIDF16_hLN4vllm18Fp8KVCacheDataTypeE1EDF16_Li16ELi128ELi256ELb0ELi6EL8MFMAType1EEvPKT_PKT0_S8_ifPKiSA_SA_iPKfiiiPfSD_PS3_PT2_iSC_SC_, .Lfunc_end491-_Z39paged_attention_ll4mi_QKV_mfma16_kernelIDF16_hLN4vllm18Fp8KVCacheDataTypeE1EDF16_Li16ELi128ELi256ELb0ELi6EL8MFMAType1EEvPKT_PKT0_S8_ifPKiSA_SA_iPKfiiiPfSD_PS3_PT2_iSC_SC_
                                        ; -- End function
	.section	.AMDGPU.csdata,"",@progbits
; Kernel info:
; codeLenInByte = 492
; NumSgprs: 40
; NumVgprs: 42
; NumAgprs: 1
; TotalNumVgprs: 45
; ScratchSize: 64
; MemoryBound: 0
; FloatMode: 240
; IeeeMode: 1
; LDSByteSize: 8192 bytes/workgroup (compile time only)
; SGPRBlocks: 4
; VGPRBlocks: 5
; NumSGPRsForWavesPerEU: 40
; NumVGPRsForWavesPerEU: 45
; AccumOffset: 44
; Occupancy: 8
; WaveLimiterHint : 1
; COMPUTE_PGM_RSRC2:SCRATCH_EN: 1
; COMPUTE_PGM_RSRC2:USER_SGPR: 8
; COMPUTE_PGM_RSRC2:TRAP_HANDLER: 0
; COMPUTE_PGM_RSRC2:TGID_X_EN: 1
; COMPUTE_PGM_RSRC2:TGID_Y_EN: 1
; COMPUTE_PGM_RSRC2:TGID_Z_EN: 1
; COMPUTE_PGM_RSRC2:TIDIG_COMP_CNT: 0
; COMPUTE_PGM_RSRC3_GFX90A:ACCUM_OFFSET: 10
; COMPUTE_PGM_RSRC3_GFX90A:TG_SPLIT: 0
	.section	.text._Z39paged_attention_ll4mi_QKV_mfma16_kernelIDF16_hLN4vllm18Fp8KVCacheDataTypeE1EDF16_Li16ELi128ELi256ELb0ELi7EL8MFMAType1EEvPKT_PKT0_S8_ifPKiSA_SA_iPKfiiiPfSD_PS3_PT2_iSC_SC_,"axG",@progbits,_Z39paged_attention_ll4mi_QKV_mfma16_kernelIDF16_hLN4vllm18Fp8KVCacheDataTypeE1EDF16_Li16ELi128ELi256ELb0ELi7EL8MFMAType1EEvPKT_PKT0_S8_ifPKiSA_SA_iPKfiiiPfSD_PS3_PT2_iSC_SC_,comdat
	.protected	_Z39paged_attention_ll4mi_QKV_mfma16_kernelIDF16_hLN4vllm18Fp8KVCacheDataTypeE1EDF16_Li16ELi128ELi256ELb0ELi7EL8MFMAType1EEvPKT_PKT0_S8_ifPKiSA_SA_iPKfiiiPfSD_PS3_PT2_iSC_SC_ ; -- Begin function _Z39paged_attention_ll4mi_QKV_mfma16_kernelIDF16_hLN4vllm18Fp8KVCacheDataTypeE1EDF16_Li16ELi128ELi256ELb0ELi7EL8MFMAType1EEvPKT_PKT0_S8_ifPKiSA_SA_iPKfiiiPfSD_PS3_PT2_iSC_SC_
	.globl	_Z39paged_attention_ll4mi_QKV_mfma16_kernelIDF16_hLN4vllm18Fp8KVCacheDataTypeE1EDF16_Li16ELi128ELi256ELb0ELi7EL8MFMAType1EEvPKT_PKT0_S8_ifPKiSA_SA_iPKfiiiPfSD_PS3_PT2_iSC_SC_
	.p2align	8
	.type	_Z39paged_attention_ll4mi_QKV_mfma16_kernelIDF16_hLN4vllm18Fp8KVCacheDataTypeE1EDF16_Li16ELi128ELi256ELb0ELi7EL8MFMAType1EEvPKT_PKT0_S8_ifPKiSA_SA_iPKfiiiPfSD_PS3_PT2_iSC_SC_,@function
_Z39paged_attention_ll4mi_QKV_mfma16_kernelIDF16_hLN4vllm18Fp8KVCacheDataTypeE1EDF16_Li16ELi128ELi256ELb0ELi7EL8MFMAType1EEvPKT_PKT0_S8_ifPKiSA_SA_iPKfiiiPfSD_PS3_PT2_iSC_SC_: ; @_Z39paged_attention_ll4mi_QKV_mfma16_kernelIDF16_hLN4vllm18Fp8KVCacheDataTypeE1EDF16_Li16ELi128ELi256ELb0ELi7EL8MFMAType1EEvPKT_PKT0_S8_ifPKiSA_SA_iPKfiiiPfSD_PS3_PT2_iSC_SC_
; %bb.0:
	s_load_dwordx2 s[12:13], s[4:5], 0x30
	s_add_u32 flat_scratch_lo, s6, s11
	s_addc_u32 flat_scratch_hi, s7, 0
	s_add_u32 s0, s0, s11
	s_addc_u32 s1, s1, 0
	s_waitcnt lgkmcnt(0)
	s_cmp_lg_u64 s[12:13], 0
	s_cselect_b64 s[14:15], -1, 0
	s_mov_b32 s6, s9
	s_mov_b64 s[16:17], 0
	s_and_b64 vcc, exec, s[14:15]
	s_mov_b32 s32, 0
	s_cbranch_vccz .LBB492_11
; %bb.1:
	s_add_i32 s18, s8, 1
	s_mov_b32 s19, 0
	s_lshl_b64 s[20:21], s[18:19], 2
	s_add_u32 s20, s12, s20
	s_mov_b32 s9, s19
	s_addc_u32 s21, s13, s21
	s_lshl_b64 s[18:19], s[8:9], 2
	s_add_u32 s18, s12, s18
	s_addc_u32 s19, s13, s19
	s_load_dword s7, s[20:21], 0x0
	s_load_dword s11, s[18:19], 0x0
	s_waitcnt lgkmcnt(0)
	s_sub_i32 s7, s7, s11
	s_cmp_eq_u32 s7, 1
	s_cselect_b64 s[18:19], -1, 0
	s_andn2_b64 vcc, exec, s[16:17]
	s_cbranch_vccnz .LBB492_3
.LBB492_2:
	s_mov_b32 s9, 0
	s_mov_b64 s[18:19], -1
.LBB492_3:
	s_andn2_b64 vcc, exec, s[18:19]
	s_cbranch_vccnz .LBB492_10
; %bb.4:
	s_load_dwordx2 s[18:19], s[4:5], 0x28
	s_lshl_b64 s[16:17], s[8:9], 2
	s_waitcnt lgkmcnt(0)
	s_add_u32 s18, s18, s16
	s_addc_u32 s19, s19, s17
	s_load_dword s7, s[18:19], 0x0
	s_lshl_b32 s6, s6, 8
	s_waitcnt lgkmcnt(0)
	s_cmp_ge_i32 s6, s7
	s_cbranch_scc1 .LBB492_10
; %bb.5:
	s_andn2_b64 vcc, exec, s[14:15]
	s_cbranch_vccnz .LBB492_7
; %bb.6:
	s_add_u32 s6, s12, s16
	s_addc_u32 s7, s13, s17
	s_load_dword s8, s[6:7], 0x0
.LBB492_7:
	s_movk_i32 s6, 0x70
	v_cmp_gt_u32_e32 vcc, s6, v0
	s_and_saveexec_b64 s[6:7], vcc
	s_cbranch_execz .LBB492_9
; %bb.8:
	s_load_dword s11, s[4:5], 0x48
	s_load_dwordx2 s[12:13], s[4:5], 0x0
	v_lshrrev_b32_e32 v1, 4, v0
	s_mul_i32 s10, s10, 7
	v_add_lshl_u32 v2, v1, s10, 7
	s_waitcnt lgkmcnt(0)
	s_ashr_i32 s9, s11, 31
	s_mul_hi_u32 s14, s8, s11
	s_mul_i32 s9, s8, s9
	s_add_i32 s9, s14, s9
	s_mul_i32 s8, s8, s11
	s_lshl_b64 s[8:9], s[8:9], 1
	s_add_u32 s8, s12, s8
	v_ashrrev_i32_e32 v3, 31, v2
	s_addc_u32 s9, s13, s9
	v_lshlrev_b64 v[2:3], 1, v[2:3]
	v_and_b32_e32 v4, 15, v0
	v_mov_b32_e32 v5, s9
	v_add_co_u32_e32 v2, vcc, s8, v2
	v_addc_co_u32_e32 v3, vcc, v5, v3, vcc
	v_lshlrev_b32_e32 v4, 4, v4
	v_add_co_u32_e32 v2, vcc, v2, v4
	v_addc_co_u32_e32 v3, vcc, 0, v3, vcc
	global_load_dwordx4 v[2:5], v[2:3], off
	v_lshlrev_b32_e32 v6, 4, v0
	v_lshlrev_b32_e32 v0, 8, v0
	v_and_b32_e32 v6, 16, v6
	v_lshlrev_b32_e32 v1, 5, v1
	v_and_b32_e32 v0, 0xe00, v0
	v_or3_b32 v0, v0, v1, v6
	s_waitcnt vmcnt(0)
	ds_write_b128 v0, v[2:5]
.LBB492_9:
	s_or_b64 exec, exec, s[6:7]
	s_waitcnt lgkmcnt(0)
	s_add_u32 s8, s4, 0x90
	s_addc_u32 s9, s5, 0
	s_getpc_b64 s[4:5]
	s_add_u32 s4, s4, __PRETTY_FUNCTION__._Z39paged_attention_ll4mi_QKV_mfma16_kernelIDF16_hLN4vllm18Fp8KVCacheDataTypeE1EDF16_Li16ELi128ELi256ELb0ELi7EL8MFMAType1EEvPKT_PKT0_S8_ifPKiSA_SA_iPKfiiiPfSD_PS3_PT2_iSC_SC_@rel32@lo+4
	s_addc_u32 s5, s5, __PRETTY_FUNCTION__._Z39paged_attention_ll4mi_QKV_mfma16_kernelIDF16_hLN4vllm18Fp8KVCacheDataTypeE1EDF16_Li16ELi128ELi256ELb0ELi7EL8MFMAType1EEvPKT_PKT0_S8_ifPKiSA_SA_iPKfiiiPfSD_PS3_PT2_iSC_SC_@rel32@hi+12
	v_mov_b32_e32 v0, 0x288
	v_mov_b32_e32 v1, s4
	;; [unrolled: 1-line block ×3, first 2 shown]
	s_barrier
	s_getpc_b64 s[6:7]
	s_add_u32 s6, s6, __assert_fail@rel32@lo+4
	s_addc_u32 s7, s7, __assert_fail@rel32@hi+12
	s_swappc_b64 s[30:31], s[6:7]
	; divergent unreachable
.LBB492_10:
	s_endpgm
.LBB492_11:
	s_mov_b64 s[18:19], 0
	s_branch .LBB492_2
	.section	.rodata,"a",@progbits
	.p2align	6, 0x0
	.amdhsa_kernel _Z39paged_attention_ll4mi_QKV_mfma16_kernelIDF16_hLN4vllm18Fp8KVCacheDataTypeE1EDF16_Li16ELi128ELi256ELb0ELi7EL8MFMAType1EEvPKT_PKT0_S8_ifPKiSA_SA_iPKfiiiPfSD_PS3_PT2_iSC_SC_
		.amdhsa_group_segment_fixed_size 8192
		.amdhsa_private_segment_fixed_size 64
		.amdhsa_kernarg_size 400
		.amdhsa_user_sgpr_count 8
		.amdhsa_user_sgpr_private_segment_buffer 1
		.amdhsa_user_sgpr_dispatch_ptr 0
		.amdhsa_user_sgpr_queue_ptr 0
		.amdhsa_user_sgpr_kernarg_segment_ptr 1
		.amdhsa_user_sgpr_dispatch_id 0
		.amdhsa_user_sgpr_flat_scratch_init 1
		.amdhsa_user_sgpr_kernarg_preload_length 0
		.amdhsa_user_sgpr_kernarg_preload_offset 0
		.amdhsa_user_sgpr_private_segment_size 0
		.amdhsa_uses_dynamic_stack 0
		.amdhsa_system_sgpr_private_segment_wavefront_offset 1
		.amdhsa_system_sgpr_workgroup_id_x 1
		.amdhsa_system_sgpr_workgroup_id_y 1
		.amdhsa_system_sgpr_workgroup_id_z 1
		.amdhsa_system_sgpr_workgroup_info 0
		.amdhsa_system_vgpr_workitem_id 0
		.amdhsa_next_free_vgpr 45
		.amdhsa_next_free_sgpr 34
		.amdhsa_accum_offset 44
		.amdhsa_reserve_vcc 1
		.amdhsa_reserve_flat_scratch 1
		.amdhsa_float_round_mode_32 0
		.amdhsa_float_round_mode_16_64 0
		.amdhsa_float_denorm_mode_32 3
		.amdhsa_float_denorm_mode_16_64 3
		.amdhsa_dx10_clamp 1
		.amdhsa_ieee_mode 1
		.amdhsa_fp16_overflow 0
		.amdhsa_tg_split 0
		.amdhsa_exception_fp_ieee_invalid_op 0
		.amdhsa_exception_fp_denorm_src 0
		.amdhsa_exception_fp_ieee_div_zero 0
		.amdhsa_exception_fp_ieee_overflow 0
		.amdhsa_exception_fp_ieee_underflow 0
		.amdhsa_exception_fp_ieee_inexact 0
		.amdhsa_exception_int_div_zero 0
	.end_amdhsa_kernel
	.section	.text._Z39paged_attention_ll4mi_QKV_mfma16_kernelIDF16_hLN4vllm18Fp8KVCacheDataTypeE1EDF16_Li16ELi128ELi256ELb0ELi7EL8MFMAType1EEvPKT_PKT0_S8_ifPKiSA_SA_iPKfiiiPfSD_PS3_PT2_iSC_SC_,"axG",@progbits,_Z39paged_attention_ll4mi_QKV_mfma16_kernelIDF16_hLN4vllm18Fp8KVCacheDataTypeE1EDF16_Li16ELi128ELi256ELb0ELi7EL8MFMAType1EEvPKT_PKT0_S8_ifPKiSA_SA_iPKfiiiPfSD_PS3_PT2_iSC_SC_,comdat
.Lfunc_end492:
	.size	_Z39paged_attention_ll4mi_QKV_mfma16_kernelIDF16_hLN4vllm18Fp8KVCacheDataTypeE1EDF16_Li16ELi128ELi256ELb0ELi7EL8MFMAType1EEvPKT_PKT0_S8_ifPKiSA_SA_iPKfiiiPfSD_PS3_PT2_iSC_SC_, .Lfunc_end492-_Z39paged_attention_ll4mi_QKV_mfma16_kernelIDF16_hLN4vllm18Fp8KVCacheDataTypeE1EDF16_Li16ELi128ELi256ELb0ELi7EL8MFMAType1EEvPKT_PKT0_S8_ifPKiSA_SA_iPKfiiiPfSD_PS3_PT2_iSC_SC_
                                        ; -- End function
	.section	.AMDGPU.csdata,"",@progbits
; Kernel info:
; codeLenInByte = 492
; NumSgprs: 40
; NumVgprs: 42
; NumAgprs: 1
; TotalNumVgprs: 45
; ScratchSize: 64
; MemoryBound: 0
; FloatMode: 240
; IeeeMode: 1
; LDSByteSize: 8192 bytes/workgroup (compile time only)
; SGPRBlocks: 4
; VGPRBlocks: 5
; NumSGPRsForWavesPerEU: 40
; NumVGPRsForWavesPerEU: 45
; AccumOffset: 44
; Occupancy: 8
; WaveLimiterHint : 1
; COMPUTE_PGM_RSRC2:SCRATCH_EN: 1
; COMPUTE_PGM_RSRC2:USER_SGPR: 8
; COMPUTE_PGM_RSRC2:TRAP_HANDLER: 0
; COMPUTE_PGM_RSRC2:TGID_X_EN: 1
; COMPUTE_PGM_RSRC2:TGID_Y_EN: 1
; COMPUTE_PGM_RSRC2:TGID_Z_EN: 1
; COMPUTE_PGM_RSRC2:TIDIG_COMP_CNT: 0
; COMPUTE_PGM_RSRC3_GFX90A:ACCUM_OFFSET: 10
; COMPUTE_PGM_RSRC3_GFX90A:TG_SPLIT: 0
	.section	.text._Z39paged_attention_ll4mi_QKV_mfma16_kernelIDF16_hLN4vllm18Fp8KVCacheDataTypeE1EDF16_Li16ELi128ELi256ELb0ELi8EL8MFMAType1EEvPKT_PKT0_S8_ifPKiSA_SA_iPKfiiiPfSD_PS3_PT2_iSC_SC_,"axG",@progbits,_Z39paged_attention_ll4mi_QKV_mfma16_kernelIDF16_hLN4vllm18Fp8KVCacheDataTypeE1EDF16_Li16ELi128ELi256ELb0ELi8EL8MFMAType1EEvPKT_PKT0_S8_ifPKiSA_SA_iPKfiiiPfSD_PS3_PT2_iSC_SC_,comdat
	.protected	_Z39paged_attention_ll4mi_QKV_mfma16_kernelIDF16_hLN4vllm18Fp8KVCacheDataTypeE1EDF16_Li16ELi128ELi256ELb0ELi8EL8MFMAType1EEvPKT_PKT0_S8_ifPKiSA_SA_iPKfiiiPfSD_PS3_PT2_iSC_SC_ ; -- Begin function _Z39paged_attention_ll4mi_QKV_mfma16_kernelIDF16_hLN4vllm18Fp8KVCacheDataTypeE1EDF16_Li16ELi128ELi256ELb0ELi8EL8MFMAType1EEvPKT_PKT0_S8_ifPKiSA_SA_iPKfiiiPfSD_PS3_PT2_iSC_SC_
	.globl	_Z39paged_attention_ll4mi_QKV_mfma16_kernelIDF16_hLN4vllm18Fp8KVCacheDataTypeE1EDF16_Li16ELi128ELi256ELb0ELi8EL8MFMAType1EEvPKT_PKT0_S8_ifPKiSA_SA_iPKfiiiPfSD_PS3_PT2_iSC_SC_
	.p2align	8
	.type	_Z39paged_attention_ll4mi_QKV_mfma16_kernelIDF16_hLN4vllm18Fp8KVCacheDataTypeE1EDF16_Li16ELi128ELi256ELb0ELi8EL8MFMAType1EEvPKT_PKT0_S8_ifPKiSA_SA_iPKfiiiPfSD_PS3_PT2_iSC_SC_,@function
_Z39paged_attention_ll4mi_QKV_mfma16_kernelIDF16_hLN4vllm18Fp8KVCacheDataTypeE1EDF16_Li16ELi128ELi256ELb0ELi8EL8MFMAType1EEvPKT_PKT0_S8_ifPKiSA_SA_iPKfiiiPfSD_PS3_PT2_iSC_SC_: ; @_Z39paged_attention_ll4mi_QKV_mfma16_kernelIDF16_hLN4vllm18Fp8KVCacheDataTypeE1EDF16_Li16ELi128ELi256ELb0ELi8EL8MFMAType1EEvPKT_PKT0_S8_ifPKiSA_SA_iPKfiiiPfSD_PS3_PT2_iSC_SC_
; %bb.0:
	s_load_dwordx2 s[12:13], s[4:5], 0x30
	s_add_u32 flat_scratch_lo, s6, s11
	s_addc_u32 flat_scratch_hi, s7, 0
	s_add_u32 s0, s0, s11
	s_addc_u32 s1, s1, 0
	s_waitcnt lgkmcnt(0)
	s_cmp_lg_u64 s[12:13], 0
	s_cselect_b64 s[14:15], -1, 0
	s_mov_b32 s6, s9
	s_mov_b64 s[16:17], 0
	s_and_b64 vcc, exec, s[14:15]
	s_mov_b32 s32, 0
	s_cbranch_vccz .LBB493_11
; %bb.1:
	s_add_i32 s18, s8, 1
	s_mov_b32 s19, 0
	s_lshl_b64 s[20:21], s[18:19], 2
	s_add_u32 s20, s12, s20
	s_mov_b32 s9, s19
	s_addc_u32 s21, s13, s21
	s_lshl_b64 s[18:19], s[8:9], 2
	s_add_u32 s18, s12, s18
	s_addc_u32 s19, s13, s19
	s_load_dword s7, s[20:21], 0x0
	s_load_dword s11, s[18:19], 0x0
	s_waitcnt lgkmcnt(0)
	s_sub_i32 s7, s7, s11
	s_cmp_eq_u32 s7, 1
	s_cselect_b64 s[18:19], -1, 0
	s_andn2_b64 vcc, exec, s[16:17]
	s_cbranch_vccnz .LBB493_3
.LBB493_2:
	s_mov_b32 s9, 0
	s_mov_b64 s[18:19], -1
.LBB493_3:
	s_andn2_b64 vcc, exec, s[18:19]
	s_cbranch_vccnz .LBB493_10
; %bb.4:
	s_load_dwordx2 s[18:19], s[4:5], 0x28
	s_lshl_b64 s[16:17], s[8:9], 2
	s_waitcnt lgkmcnt(0)
	s_add_u32 s18, s18, s16
	s_addc_u32 s19, s19, s17
	s_load_dword s7, s[18:19], 0x0
	s_lshl_b32 s6, s6, 8
	s_waitcnt lgkmcnt(0)
	s_cmp_ge_i32 s6, s7
	s_cbranch_scc1 .LBB493_10
; %bb.5:
	s_andn2_b64 vcc, exec, s[14:15]
	s_cbranch_vccnz .LBB493_7
; %bb.6:
	s_add_u32 s6, s12, s16
	s_addc_u32 s7, s13, s17
	s_load_dword s8, s[6:7], 0x0
.LBB493_7:
	s_movk_i32 s6, 0x80
	v_cmp_gt_u32_e32 vcc, s6, v0
	s_and_saveexec_b64 s[6:7], vcc
	s_cbranch_execz .LBB493_9
; %bb.8:
	s_load_dword s11, s[4:5], 0x48
	s_load_dwordx2 s[12:13], s[4:5], 0x0
	v_lshrrev_b32_e32 v6, 4, v0
	v_and_b32_e32 v1, 15, v0
	v_lshlrev_b32_e32 v1, 4, v1
	s_waitcnt lgkmcnt(0)
	s_ashr_i32 s9, s11, 31
	s_mul_hi_u32 s14, s8, s11
	s_mul_i32 s9, s8, s9
	s_add_i32 s9, s14, s9
	s_mul_i32 s8, s8, s11
	s_lshl_b64 s[8:9], s[8:9], 1
	s_add_u32 s8, s12, s8
	s_addc_u32 s9, s13, s9
	s_lshl_b32 s10, s10, 10
	v_lshl_or_b32 v2, v6, 7, s10
	v_ashrrev_i32_e32 v3, 31, v2
	v_lshlrev_b64 v[2:3], 1, v[2:3]
	v_mov_b32_e32 v4, s9
	v_add_co_u32_e32 v2, vcc, s8, v2
	v_addc_co_u32_e32 v3, vcc, v4, v3, vcc
	v_add_co_u32_e32 v2, vcc, v2, v1
	v_addc_co_u32_e32 v3, vcc, 0, v3, vcc
	global_load_dwordx4 v[2:5], v[2:3], off
	v_lshlrev_b32_e32 v1, 4, v0
	v_lshlrev_b32_e32 v0, 8, v0
	v_and_b32_e32 v1, 16, v1
	v_lshlrev_b32_e32 v6, 5, v6
	v_and_b32_e32 v0, 0xe00, v0
	v_or3_b32 v0, v0, v6, v1
	s_waitcnt vmcnt(0)
	ds_write_b128 v0, v[2:5]
.LBB493_9:
	s_or_b64 exec, exec, s[6:7]
	s_waitcnt lgkmcnt(0)
	s_add_u32 s8, s4, 0x90
	s_addc_u32 s9, s5, 0
	s_getpc_b64 s[4:5]
	s_add_u32 s4, s4, __PRETTY_FUNCTION__._Z39paged_attention_ll4mi_QKV_mfma16_kernelIDF16_hLN4vllm18Fp8KVCacheDataTypeE1EDF16_Li16ELi128ELi256ELb0ELi8EL8MFMAType1EEvPKT_PKT0_S8_ifPKiSA_SA_iPKfiiiPfSD_PS3_PT2_iSC_SC_@rel32@lo+4
	s_addc_u32 s5, s5, __PRETTY_FUNCTION__._Z39paged_attention_ll4mi_QKV_mfma16_kernelIDF16_hLN4vllm18Fp8KVCacheDataTypeE1EDF16_Li16ELi128ELi256ELb0ELi8EL8MFMAType1EEvPKT_PKT0_S8_ifPKiSA_SA_iPKfiiiPfSD_PS3_PT2_iSC_SC_@rel32@hi+12
	v_mov_b32_e32 v0, 0x288
	v_mov_b32_e32 v1, s4
	;; [unrolled: 1-line block ×3, first 2 shown]
	s_barrier
	s_getpc_b64 s[6:7]
	s_add_u32 s6, s6, __assert_fail@rel32@lo+4
	s_addc_u32 s7, s7, __assert_fail@rel32@hi+12
	s_swappc_b64 s[30:31], s[6:7]
	; divergent unreachable
.LBB493_10:
	s_endpgm
.LBB493_11:
	s_mov_b64 s[18:19], 0
	s_branch .LBB493_2
	.section	.rodata,"a",@progbits
	.p2align	6, 0x0
	.amdhsa_kernel _Z39paged_attention_ll4mi_QKV_mfma16_kernelIDF16_hLN4vllm18Fp8KVCacheDataTypeE1EDF16_Li16ELi128ELi256ELb0ELi8EL8MFMAType1EEvPKT_PKT0_S8_ifPKiSA_SA_iPKfiiiPfSD_PS3_PT2_iSC_SC_
		.amdhsa_group_segment_fixed_size 8192
		.amdhsa_private_segment_fixed_size 64
		.amdhsa_kernarg_size 400
		.amdhsa_user_sgpr_count 8
		.amdhsa_user_sgpr_private_segment_buffer 1
		.amdhsa_user_sgpr_dispatch_ptr 0
		.amdhsa_user_sgpr_queue_ptr 0
		.amdhsa_user_sgpr_kernarg_segment_ptr 1
		.amdhsa_user_sgpr_dispatch_id 0
		.amdhsa_user_sgpr_flat_scratch_init 1
		.amdhsa_user_sgpr_kernarg_preload_length 0
		.amdhsa_user_sgpr_kernarg_preload_offset 0
		.amdhsa_user_sgpr_private_segment_size 0
		.amdhsa_uses_dynamic_stack 0
		.amdhsa_system_sgpr_private_segment_wavefront_offset 1
		.amdhsa_system_sgpr_workgroup_id_x 1
		.amdhsa_system_sgpr_workgroup_id_y 1
		.amdhsa_system_sgpr_workgroup_id_z 1
		.amdhsa_system_sgpr_workgroup_info 0
		.amdhsa_system_vgpr_workitem_id 0
		.amdhsa_next_free_vgpr 45
		.amdhsa_next_free_sgpr 34
		.amdhsa_accum_offset 44
		.amdhsa_reserve_vcc 1
		.amdhsa_reserve_flat_scratch 1
		.amdhsa_float_round_mode_32 0
		.amdhsa_float_round_mode_16_64 0
		.amdhsa_float_denorm_mode_32 3
		.amdhsa_float_denorm_mode_16_64 3
		.amdhsa_dx10_clamp 1
		.amdhsa_ieee_mode 1
		.amdhsa_fp16_overflow 0
		.amdhsa_tg_split 0
		.amdhsa_exception_fp_ieee_invalid_op 0
		.amdhsa_exception_fp_denorm_src 0
		.amdhsa_exception_fp_ieee_div_zero 0
		.amdhsa_exception_fp_ieee_overflow 0
		.amdhsa_exception_fp_ieee_underflow 0
		.amdhsa_exception_fp_ieee_inexact 0
		.amdhsa_exception_int_div_zero 0
	.end_amdhsa_kernel
	.section	.text._Z39paged_attention_ll4mi_QKV_mfma16_kernelIDF16_hLN4vllm18Fp8KVCacheDataTypeE1EDF16_Li16ELi128ELi256ELb0ELi8EL8MFMAType1EEvPKT_PKT0_S8_ifPKiSA_SA_iPKfiiiPfSD_PS3_PT2_iSC_SC_,"axG",@progbits,_Z39paged_attention_ll4mi_QKV_mfma16_kernelIDF16_hLN4vllm18Fp8KVCacheDataTypeE1EDF16_Li16ELi128ELi256ELb0ELi8EL8MFMAType1EEvPKT_PKT0_S8_ifPKiSA_SA_iPKfiiiPfSD_PS3_PT2_iSC_SC_,comdat
.Lfunc_end493:
	.size	_Z39paged_attention_ll4mi_QKV_mfma16_kernelIDF16_hLN4vllm18Fp8KVCacheDataTypeE1EDF16_Li16ELi128ELi256ELb0ELi8EL8MFMAType1EEvPKT_PKT0_S8_ifPKiSA_SA_iPKfiiiPfSD_PS3_PT2_iSC_SC_, .Lfunc_end493-_Z39paged_attention_ll4mi_QKV_mfma16_kernelIDF16_hLN4vllm18Fp8KVCacheDataTypeE1EDF16_Li16ELi128ELi256ELb0ELi8EL8MFMAType1EEvPKT_PKT0_S8_ifPKiSA_SA_iPKfiiiPfSD_PS3_PT2_iSC_SC_
                                        ; -- End function
	.section	.AMDGPU.csdata,"",@progbits
; Kernel info:
; codeLenInByte = 492
; NumSgprs: 40
; NumVgprs: 42
; NumAgprs: 1
; TotalNumVgprs: 45
; ScratchSize: 64
; MemoryBound: 0
; FloatMode: 240
; IeeeMode: 1
; LDSByteSize: 8192 bytes/workgroup (compile time only)
; SGPRBlocks: 4
; VGPRBlocks: 5
; NumSGPRsForWavesPerEU: 40
; NumVGPRsForWavesPerEU: 45
; AccumOffset: 44
; Occupancy: 8
; WaveLimiterHint : 1
; COMPUTE_PGM_RSRC2:SCRATCH_EN: 1
; COMPUTE_PGM_RSRC2:USER_SGPR: 8
; COMPUTE_PGM_RSRC2:TRAP_HANDLER: 0
; COMPUTE_PGM_RSRC2:TGID_X_EN: 1
; COMPUTE_PGM_RSRC2:TGID_Y_EN: 1
; COMPUTE_PGM_RSRC2:TGID_Z_EN: 1
; COMPUTE_PGM_RSRC2:TIDIG_COMP_CNT: 0
; COMPUTE_PGM_RSRC3_GFX90A:ACCUM_OFFSET: 10
; COMPUTE_PGM_RSRC3_GFX90A:TG_SPLIT: 0
	.section	.text._Z39paged_attention_ll4mi_QKV_mfma16_kernelIDF16_hLN4vllm18Fp8KVCacheDataTypeE1EDF16_Li16ELi128ELi256ELb0ELi9EL8MFMAType1EEvPKT_PKT0_S8_ifPKiSA_SA_iPKfiiiPfSD_PS3_PT2_iSC_SC_,"axG",@progbits,_Z39paged_attention_ll4mi_QKV_mfma16_kernelIDF16_hLN4vllm18Fp8KVCacheDataTypeE1EDF16_Li16ELi128ELi256ELb0ELi9EL8MFMAType1EEvPKT_PKT0_S8_ifPKiSA_SA_iPKfiiiPfSD_PS3_PT2_iSC_SC_,comdat
	.protected	_Z39paged_attention_ll4mi_QKV_mfma16_kernelIDF16_hLN4vllm18Fp8KVCacheDataTypeE1EDF16_Li16ELi128ELi256ELb0ELi9EL8MFMAType1EEvPKT_PKT0_S8_ifPKiSA_SA_iPKfiiiPfSD_PS3_PT2_iSC_SC_ ; -- Begin function _Z39paged_attention_ll4mi_QKV_mfma16_kernelIDF16_hLN4vllm18Fp8KVCacheDataTypeE1EDF16_Li16ELi128ELi256ELb0ELi9EL8MFMAType1EEvPKT_PKT0_S8_ifPKiSA_SA_iPKfiiiPfSD_PS3_PT2_iSC_SC_
	.globl	_Z39paged_attention_ll4mi_QKV_mfma16_kernelIDF16_hLN4vllm18Fp8KVCacheDataTypeE1EDF16_Li16ELi128ELi256ELb0ELi9EL8MFMAType1EEvPKT_PKT0_S8_ifPKiSA_SA_iPKfiiiPfSD_PS3_PT2_iSC_SC_
	.p2align	8
	.type	_Z39paged_attention_ll4mi_QKV_mfma16_kernelIDF16_hLN4vllm18Fp8KVCacheDataTypeE1EDF16_Li16ELi128ELi256ELb0ELi9EL8MFMAType1EEvPKT_PKT0_S8_ifPKiSA_SA_iPKfiiiPfSD_PS3_PT2_iSC_SC_,@function
_Z39paged_attention_ll4mi_QKV_mfma16_kernelIDF16_hLN4vllm18Fp8KVCacheDataTypeE1EDF16_Li16ELi128ELi256ELb0ELi9EL8MFMAType1EEvPKT_PKT0_S8_ifPKiSA_SA_iPKfiiiPfSD_PS3_PT2_iSC_SC_: ; @_Z39paged_attention_ll4mi_QKV_mfma16_kernelIDF16_hLN4vllm18Fp8KVCacheDataTypeE1EDF16_Li16ELi128ELi256ELb0ELi9EL8MFMAType1EEvPKT_PKT0_S8_ifPKiSA_SA_iPKfiiiPfSD_PS3_PT2_iSC_SC_
; %bb.0:
	s_load_dwordx2 s[12:13], s[4:5], 0x30
	s_add_u32 flat_scratch_lo, s6, s11
	s_addc_u32 flat_scratch_hi, s7, 0
	s_add_u32 s0, s0, s11
	s_addc_u32 s1, s1, 0
	s_waitcnt lgkmcnt(0)
	s_cmp_lg_u64 s[12:13], 0
	s_cselect_b64 s[14:15], -1, 0
	s_mov_b32 s6, s9
	s_mov_b64 s[16:17], 0
	s_and_b64 vcc, exec, s[14:15]
	s_mov_b32 s32, 0
	s_cbranch_vccz .LBB494_11
; %bb.1:
	s_add_i32 s18, s8, 1
	s_mov_b32 s19, 0
	s_lshl_b64 s[20:21], s[18:19], 2
	s_add_u32 s20, s12, s20
	s_mov_b32 s9, s19
	s_addc_u32 s21, s13, s21
	s_lshl_b64 s[18:19], s[8:9], 2
	s_add_u32 s18, s12, s18
	s_addc_u32 s19, s13, s19
	s_load_dword s7, s[20:21], 0x0
	s_load_dword s11, s[18:19], 0x0
	s_waitcnt lgkmcnt(0)
	s_sub_i32 s7, s7, s11
	s_cmp_eq_u32 s7, 1
	s_cselect_b64 s[18:19], -1, 0
	s_andn2_b64 vcc, exec, s[16:17]
	s_cbranch_vccnz .LBB494_3
.LBB494_2:
	s_mov_b32 s9, 0
	s_mov_b64 s[18:19], -1
.LBB494_3:
	s_andn2_b64 vcc, exec, s[18:19]
	s_cbranch_vccnz .LBB494_10
; %bb.4:
	s_load_dwordx2 s[18:19], s[4:5], 0x28
	s_lshl_b64 s[16:17], s[8:9], 2
	s_waitcnt lgkmcnt(0)
	s_add_u32 s18, s18, s16
	s_addc_u32 s19, s19, s17
	s_load_dword s7, s[18:19], 0x0
	s_lshl_b32 s6, s6, 8
	s_waitcnt lgkmcnt(0)
	s_cmp_ge_i32 s6, s7
	s_cbranch_scc1 .LBB494_10
; %bb.5:
	s_andn2_b64 vcc, exec, s[14:15]
	s_cbranch_vccnz .LBB494_7
; %bb.6:
	s_add_u32 s6, s12, s16
	s_addc_u32 s7, s13, s17
	s_load_dword s8, s[6:7], 0x0
.LBB494_7:
	s_movk_i32 s6, 0x90
	v_cmp_gt_u32_e32 vcc, s6, v0
	s_and_saveexec_b64 s[6:7], vcc
	s_cbranch_execz .LBB494_9
; %bb.8:
	s_load_dword s11, s[4:5], 0x48
	s_load_dwordx2 s[12:13], s[4:5], 0x0
	v_lshrrev_b32_e32 v1, 4, v0
	s_mul_i32 s10, s10, 9
	v_add_lshl_u32 v2, v1, s10, 7
	s_waitcnt lgkmcnt(0)
	s_ashr_i32 s9, s11, 31
	s_mul_hi_u32 s14, s8, s11
	s_mul_i32 s9, s8, s9
	s_add_i32 s9, s14, s9
	s_mul_i32 s8, s8, s11
	s_lshl_b64 s[8:9], s[8:9], 1
	s_add_u32 s8, s12, s8
	v_ashrrev_i32_e32 v3, 31, v2
	s_addc_u32 s9, s13, s9
	v_lshlrev_b64 v[2:3], 1, v[2:3]
	v_and_b32_e32 v4, 15, v0
	v_mov_b32_e32 v5, s9
	v_add_co_u32_e32 v2, vcc, s8, v2
	v_addc_co_u32_e32 v3, vcc, v5, v3, vcc
	v_lshlrev_b32_e32 v4, 4, v4
	v_add_co_u32_e32 v2, vcc, v2, v4
	v_addc_co_u32_e32 v3, vcc, 0, v3, vcc
	global_load_dwordx4 v[2:5], v[2:3], off
	v_lshlrev_b32_e32 v6, 4, v0
	v_lshlrev_b32_e32 v0, 8, v0
	v_and_b32_e32 v6, 16, v6
	v_lshlrev_b32_e32 v1, 5, v1
	v_and_b32_e32 v0, 0xe00, v0
	v_or3_b32 v0, v0, v1, v6
	s_waitcnt vmcnt(0)
	ds_write_b128 v0, v[2:5]
.LBB494_9:
	s_or_b64 exec, exec, s[6:7]
	s_waitcnt lgkmcnt(0)
	s_add_u32 s8, s4, 0x90
	s_addc_u32 s9, s5, 0
	s_getpc_b64 s[4:5]
	s_add_u32 s4, s4, __PRETTY_FUNCTION__._Z39paged_attention_ll4mi_QKV_mfma16_kernelIDF16_hLN4vllm18Fp8KVCacheDataTypeE1EDF16_Li16ELi128ELi256ELb0ELi9EL8MFMAType1EEvPKT_PKT0_S8_ifPKiSA_SA_iPKfiiiPfSD_PS3_PT2_iSC_SC_@rel32@lo+4
	s_addc_u32 s5, s5, __PRETTY_FUNCTION__._Z39paged_attention_ll4mi_QKV_mfma16_kernelIDF16_hLN4vllm18Fp8KVCacheDataTypeE1EDF16_Li16ELi128ELi256ELb0ELi9EL8MFMAType1EEvPKT_PKT0_S8_ifPKiSA_SA_iPKfiiiPfSD_PS3_PT2_iSC_SC_@rel32@hi+12
	v_mov_b32_e32 v0, 0x288
	v_mov_b32_e32 v1, s4
	;; [unrolled: 1-line block ×3, first 2 shown]
	s_barrier
	s_getpc_b64 s[6:7]
	s_add_u32 s6, s6, __assert_fail@rel32@lo+4
	s_addc_u32 s7, s7, __assert_fail@rel32@hi+12
	s_swappc_b64 s[30:31], s[6:7]
	; divergent unreachable
.LBB494_10:
	s_endpgm
.LBB494_11:
	s_mov_b64 s[18:19], 0
	s_branch .LBB494_2
	.section	.rodata,"a",@progbits
	.p2align	6, 0x0
	.amdhsa_kernel _Z39paged_attention_ll4mi_QKV_mfma16_kernelIDF16_hLN4vllm18Fp8KVCacheDataTypeE1EDF16_Li16ELi128ELi256ELb0ELi9EL8MFMAType1EEvPKT_PKT0_S8_ifPKiSA_SA_iPKfiiiPfSD_PS3_PT2_iSC_SC_
		.amdhsa_group_segment_fixed_size 8192
		.amdhsa_private_segment_fixed_size 64
		.amdhsa_kernarg_size 400
		.amdhsa_user_sgpr_count 8
		.amdhsa_user_sgpr_private_segment_buffer 1
		.amdhsa_user_sgpr_dispatch_ptr 0
		.amdhsa_user_sgpr_queue_ptr 0
		.amdhsa_user_sgpr_kernarg_segment_ptr 1
		.amdhsa_user_sgpr_dispatch_id 0
		.amdhsa_user_sgpr_flat_scratch_init 1
		.amdhsa_user_sgpr_kernarg_preload_length 0
		.amdhsa_user_sgpr_kernarg_preload_offset 0
		.amdhsa_user_sgpr_private_segment_size 0
		.amdhsa_uses_dynamic_stack 0
		.amdhsa_system_sgpr_private_segment_wavefront_offset 1
		.amdhsa_system_sgpr_workgroup_id_x 1
		.amdhsa_system_sgpr_workgroup_id_y 1
		.amdhsa_system_sgpr_workgroup_id_z 1
		.amdhsa_system_sgpr_workgroup_info 0
		.amdhsa_system_vgpr_workitem_id 0
		.amdhsa_next_free_vgpr 45
		.amdhsa_next_free_sgpr 34
		.amdhsa_accum_offset 44
		.amdhsa_reserve_vcc 1
		.amdhsa_reserve_flat_scratch 1
		.amdhsa_float_round_mode_32 0
		.amdhsa_float_round_mode_16_64 0
		.amdhsa_float_denorm_mode_32 3
		.amdhsa_float_denorm_mode_16_64 3
		.amdhsa_dx10_clamp 1
		.amdhsa_ieee_mode 1
		.amdhsa_fp16_overflow 0
		.amdhsa_tg_split 0
		.amdhsa_exception_fp_ieee_invalid_op 0
		.amdhsa_exception_fp_denorm_src 0
		.amdhsa_exception_fp_ieee_div_zero 0
		.amdhsa_exception_fp_ieee_overflow 0
		.amdhsa_exception_fp_ieee_underflow 0
		.amdhsa_exception_fp_ieee_inexact 0
		.amdhsa_exception_int_div_zero 0
	.end_amdhsa_kernel
	.section	.text._Z39paged_attention_ll4mi_QKV_mfma16_kernelIDF16_hLN4vllm18Fp8KVCacheDataTypeE1EDF16_Li16ELi128ELi256ELb0ELi9EL8MFMAType1EEvPKT_PKT0_S8_ifPKiSA_SA_iPKfiiiPfSD_PS3_PT2_iSC_SC_,"axG",@progbits,_Z39paged_attention_ll4mi_QKV_mfma16_kernelIDF16_hLN4vllm18Fp8KVCacheDataTypeE1EDF16_Li16ELi128ELi256ELb0ELi9EL8MFMAType1EEvPKT_PKT0_S8_ifPKiSA_SA_iPKfiiiPfSD_PS3_PT2_iSC_SC_,comdat
.Lfunc_end494:
	.size	_Z39paged_attention_ll4mi_QKV_mfma16_kernelIDF16_hLN4vllm18Fp8KVCacheDataTypeE1EDF16_Li16ELi128ELi256ELb0ELi9EL8MFMAType1EEvPKT_PKT0_S8_ifPKiSA_SA_iPKfiiiPfSD_PS3_PT2_iSC_SC_, .Lfunc_end494-_Z39paged_attention_ll4mi_QKV_mfma16_kernelIDF16_hLN4vllm18Fp8KVCacheDataTypeE1EDF16_Li16ELi128ELi256ELb0ELi9EL8MFMAType1EEvPKT_PKT0_S8_ifPKiSA_SA_iPKfiiiPfSD_PS3_PT2_iSC_SC_
                                        ; -- End function
	.section	.AMDGPU.csdata,"",@progbits
; Kernel info:
; codeLenInByte = 492
; NumSgprs: 40
; NumVgprs: 42
; NumAgprs: 1
; TotalNumVgprs: 45
; ScratchSize: 64
; MemoryBound: 0
; FloatMode: 240
; IeeeMode: 1
; LDSByteSize: 8192 bytes/workgroup (compile time only)
; SGPRBlocks: 4
; VGPRBlocks: 5
; NumSGPRsForWavesPerEU: 40
; NumVGPRsForWavesPerEU: 45
; AccumOffset: 44
; Occupancy: 8
; WaveLimiterHint : 1
; COMPUTE_PGM_RSRC2:SCRATCH_EN: 1
; COMPUTE_PGM_RSRC2:USER_SGPR: 8
; COMPUTE_PGM_RSRC2:TRAP_HANDLER: 0
; COMPUTE_PGM_RSRC2:TGID_X_EN: 1
; COMPUTE_PGM_RSRC2:TGID_Y_EN: 1
; COMPUTE_PGM_RSRC2:TGID_Z_EN: 1
; COMPUTE_PGM_RSRC2:TIDIG_COMP_CNT: 0
; COMPUTE_PGM_RSRC3_GFX90A:ACCUM_OFFSET: 10
; COMPUTE_PGM_RSRC3_GFX90A:TG_SPLIT: 0
	.section	.text._Z39paged_attention_ll4mi_QKV_mfma16_kernelIDF16_hLN4vllm18Fp8KVCacheDataTypeE1EDF16_Li16ELi128ELi256ELb0ELi10EL8MFMAType1EEvPKT_PKT0_S8_ifPKiSA_SA_iPKfiiiPfSD_PS3_PT2_iSC_SC_,"axG",@progbits,_Z39paged_attention_ll4mi_QKV_mfma16_kernelIDF16_hLN4vllm18Fp8KVCacheDataTypeE1EDF16_Li16ELi128ELi256ELb0ELi10EL8MFMAType1EEvPKT_PKT0_S8_ifPKiSA_SA_iPKfiiiPfSD_PS3_PT2_iSC_SC_,comdat
	.protected	_Z39paged_attention_ll4mi_QKV_mfma16_kernelIDF16_hLN4vllm18Fp8KVCacheDataTypeE1EDF16_Li16ELi128ELi256ELb0ELi10EL8MFMAType1EEvPKT_PKT0_S8_ifPKiSA_SA_iPKfiiiPfSD_PS3_PT2_iSC_SC_ ; -- Begin function _Z39paged_attention_ll4mi_QKV_mfma16_kernelIDF16_hLN4vllm18Fp8KVCacheDataTypeE1EDF16_Li16ELi128ELi256ELb0ELi10EL8MFMAType1EEvPKT_PKT0_S8_ifPKiSA_SA_iPKfiiiPfSD_PS3_PT2_iSC_SC_
	.globl	_Z39paged_attention_ll4mi_QKV_mfma16_kernelIDF16_hLN4vllm18Fp8KVCacheDataTypeE1EDF16_Li16ELi128ELi256ELb0ELi10EL8MFMAType1EEvPKT_PKT0_S8_ifPKiSA_SA_iPKfiiiPfSD_PS3_PT2_iSC_SC_
	.p2align	8
	.type	_Z39paged_attention_ll4mi_QKV_mfma16_kernelIDF16_hLN4vllm18Fp8KVCacheDataTypeE1EDF16_Li16ELi128ELi256ELb0ELi10EL8MFMAType1EEvPKT_PKT0_S8_ifPKiSA_SA_iPKfiiiPfSD_PS3_PT2_iSC_SC_,@function
_Z39paged_attention_ll4mi_QKV_mfma16_kernelIDF16_hLN4vllm18Fp8KVCacheDataTypeE1EDF16_Li16ELi128ELi256ELb0ELi10EL8MFMAType1EEvPKT_PKT0_S8_ifPKiSA_SA_iPKfiiiPfSD_PS3_PT2_iSC_SC_: ; @_Z39paged_attention_ll4mi_QKV_mfma16_kernelIDF16_hLN4vllm18Fp8KVCacheDataTypeE1EDF16_Li16ELi128ELi256ELb0ELi10EL8MFMAType1EEvPKT_PKT0_S8_ifPKiSA_SA_iPKfiiiPfSD_PS3_PT2_iSC_SC_
; %bb.0:
	s_load_dwordx2 s[12:13], s[4:5], 0x30
	s_add_u32 flat_scratch_lo, s6, s11
	s_addc_u32 flat_scratch_hi, s7, 0
	s_add_u32 s0, s0, s11
	s_addc_u32 s1, s1, 0
	s_waitcnt lgkmcnt(0)
	s_cmp_lg_u64 s[12:13], 0
	s_cselect_b64 s[14:15], -1, 0
	s_mov_b32 s6, s9
	s_mov_b64 s[16:17], 0
	s_and_b64 vcc, exec, s[14:15]
	s_mov_b32 s32, 0
	s_cbranch_vccz .LBB495_11
; %bb.1:
	s_add_i32 s18, s8, 1
	s_mov_b32 s19, 0
	s_lshl_b64 s[20:21], s[18:19], 2
	s_add_u32 s20, s12, s20
	s_mov_b32 s9, s19
	s_addc_u32 s21, s13, s21
	s_lshl_b64 s[18:19], s[8:9], 2
	s_add_u32 s18, s12, s18
	s_addc_u32 s19, s13, s19
	s_load_dword s7, s[20:21], 0x0
	s_load_dword s11, s[18:19], 0x0
	s_waitcnt lgkmcnt(0)
	s_sub_i32 s7, s7, s11
	s_cmp_eq_u32 s7, 1
	s_cselect_b64 s[18:19], -1, 0
	s_andn2_b64 vcc, exec, s[16:17]
	s_cbranch_vccnz .LBB495_3
.LBB495_2:
	s_mov_b32 s9, 0
	s_mov_b64 s[18:19], -1
.LBB495_3:
	s_andn2_b64 vcc, exec, s[18:19]
	s_cbranch_vccnz .LBB495_10
; %bb.4:
	s_load_dwordx2 s[18:19], s[4:5], 0x28
	s_lshl_b64 s[16:17], s[8:9], 2
	s_waitcnt lgkmcnt(0)
	s_add_u32 s18, s18, s16
	s_addc_u32 s19, s19, s17
	s_load_dword s7, s[18:19], 0x0
	s_lshl_b32 s6, s6, 8
	s_waitcnt lgkmcnt(0)
	s_cmp_ge_i32 s6, s7
	s_cbranch_scc1 .LBB495_10
; %bb.5:
	s_andn2_b64 vcc, exec, s[14:15]
	s_cbranch_vccnz .LBB495_7
; %bb.6:
	s_add_u32 s6, s12, s16
	s_addc_u32 s7, s13, s17
	s_load_dword s8, s[6:7], 0x0
.LBB495_7:
	s_movk_i32 s6, 0xa0
	v_cmp_gt_u32_e32 vcc, s6, v0
	s_and_saveexec_b64 s[6:7], vcc
	s_cbranch_execz .LBB495_9
; %bb.8:
	s_load_dword s11, s[4:5], 0x48
	s_load_dwordx2 s[12:13], s[4:5], 0x0
	v_lshrrev_b32_e32 v1, 4, v0
	s_mul_i32 s10, s10, 10
	v_add_lshl_u32 v2, v1, s10, 7
	s_waitcnt lgkmcnt(0)
	s_ashr_i32 s9, s11, 31
	s_mul_hi_u32 s14, s8, s11
	s_mul_i32 s9, s8, s9
	s_add_i32 s9, s14, s9
	s_mul_i32 s8, s8, s11
	s_lshl_b64 s[8:9], s[8:9], 1
	s_add_u32 s8, s12, s8
	v_ashrrev_i32_e32 v3, 31, v2
	s_addc_u32 s9, s13, s9
	v_lshlrev_b64 v[2:3], 1, v[2:3]
	v_and_b32_e32 v4, 15, v0
	v_mov_b32_e32 v5, s9
	v_add_co_u32_e32 v2, vcc, s8, v2
	v_addc_co_u32_e32 v3, vcc, v5, v3, vcc
	v_lshlrev_b32_e32 v4, 4, v4
	v_add_co_u32_e32 v2, vcc, v2, v4
	v_addc_co_u32_e32 v3, vcc, 0, v3, vcc
	global_load_dwordx4 v[2:5], v[2:3], off
	v_lshlrev_b32_e32 v6, 4, v0
	v_lshlrev_b32_e32 v0, 8, v0
	v_and_b32_e32 v6, 16, v6
	v_lshlrev_b32_e32 v1, 5, v1
	v_and_b32_e32 v0, 0xe00, v0
	v_or3_b32 v0, v0, v1, v6
	s_waitcnt vmcnt(0)
	ds_write_b128 v0, v[2:5]
.LBB495_9:
	s_or_b64 exec, exec, s[6:7]
	s_waitcnt lgkmcnt(0)
	s_add_u32 s8, s4, 0x90
	s_addc_u32 s9, s5, 0
	s_getpc_b64 s[4:5]
	s_add_u32 s4, s4, __PRETTY_FUNCTION__._Z39paged_attention_ll4mi_QKV_mfma16_kernelIDF16_hLN4vllm18Fp8KVCacheDataTypeE1EDF16_Li16ELi128ELi256ELb0ELi10EL8MFMAType1EEvPKT_PKT0_S8_ifPKiSA_SA_iPKfiiiPfSD_PS3_PT2_iSC_SC_@rel32@lo+4
	s_addc_u32 s5, s5, __PRETTY_FUNCTION__._Z39paged_attention_ll4mi_QKV_mfma16_kernelIDF16_hLN4vllm18Fp8KVCacheDataTypeE1EDF16_Li16ELi128ELi256ELb0ELi10EL8MFMAType1EEvPKT_PKT0_S8_ifPKiSA_SA_iPKfiiiPfSD_PS3_PT2_iSC_SC_@rel32@hi+12
	v_mov_b32_e32 v0, 0x288
	v_mov_b32_e32 v1, s4
	;; [unrolled: 1-line block ×3, first 2 shown]
	s_barrier
	s_getpc_b64 s[6:7]
	s_add_u32 s6, s6, __assert_fail@rel32@lo+4
	s_addc_u32 s7, s7, __assert_fail@rel32@hi+12
	s_swappc_b64 s[30:31], s[6:7]
	; divergent unreachable
.LBB495_10:
	s_endpgm
.LBB495_11:
	s_mov_b64 s[18:19], 0
	s_branch .LBB495_2
	.section	.rodata,"a",@progbits
	.p2align	6, 0x0
	.amdhsa_kernel _Z39paged_attention_ll4mi_QKV_mfma16_kernelIDF16_hLN4vllm18Fp8KVCacheDataTypeE1EDF16_Li16ELi128ELi256ELb0ELi10EL8MFMAType1EEvPKT_PKT0_S8_ifPKiSA_SA_iPKfiiiPfSD_PS3_PT2_iSC_SC_
		.amdhsa_group_segment_fixed_size 8192
		.amdhsa_private_segment_fixed_size 64
		.amdhsa_kernarg_size 400
		.amdhsa_user_sgpr_count 8
		.amdhsa_user_sgpr_private_segment_buffer 1
		.amdhsa_user_sgpr_dispatch_ptr 0
		.amdhsa_user_sgpr_queue_ptr 0
		.amdhsa_user_sgpr_kernarg_segment_ptr 1
		.amdhsa_user_sgpr_dispatch_id 0
		.amdhsa_user_sgpr_flat_scratch_init 1
		.amdhsa_user_sgpr_kernarg_preload_length 0
		.amdhsa_user_sgpr_kernarg_preload_offset 0
		.amdhsa_user_sgpr_private_segment_size 0
		.amdhsa_uses_dynamic_stack 0
		.amdhsa_system_sgpr_private_segment_wavefront_offset 1
		.amdhsa_system_sgpr_workgroup_id_x 1
		.amdhsa_system_sgpr_workgroup_id_y 1
		.amdhsa_system_sgpr_workgroup_id_z 1
		.amdhsa_system_sgpr_workgroup_info 0
		.amdhsa_system_vgpr_workitem_id 0
		.amdhsa_next_free_vgpr 45
		.amdhsa_next_free_sgpr 34
		.amdhsa_accum_offset 44
		.amdhsa_reserve_vcc 1
		.amdhsa_reserve_flat_scratch 1
		.amdhsa_float_round_mode_32 0
		.amdhsa_float_round_mode_16_64 0
		.amdhsa_float_denorm_mode_32 3
		.amdhsa_float_denorm_mode_16_64 3
		.amdhsa_dx10_clamp 1
		.amdhsa_ieee_mode 1
		.amdhsa_fp16_overflow 0
		.amdhsa_tg_split 0
		.amdhsa_exception_fp_ieee_invalid_op 0
		.amdhsa_exception_fp_denorm_src 0
		.amdhsa_exception_fp_ieee_div_zero 0
		.amdhsa_exception_fp_ieee_overflow 0
		.amdhsa_exception_fp_ieee_underflow 0
		.amdhsa_exception_fp_ieee_inexact 0
		.amdhsa_exception_int_div_zero 0
	.end_amdhsa_kernel
	.section	.text._Z39paged_attention_ll4mi_QKV_mfma16_kernelIDF16_hLN4vllm18Fp8KVCacheDataTypeE1EDF16_Li16ELi128ELi256ELb0ELi10EL8MFMAType1EEvPKT_PKT0_S8_ifPKiSA_SA_iPKfiiiPfSD_PS3_PT2_iSC_SC_,"axG",@progbits,_Z39paged_attention_ll4mi_QKV_mfma16_kernelIDF16_hLN4vllm18Fp8KVCacheDataTypeE1EDF16_Li16ELi128ELi256ELb0ELi10EL8MFMAType1EEvPKT_PKT0_S8_ifPKiSA_SA_iPKfiiiPfSD_PS3_PT2_iSC_SC_,comdat
.Lfunc_end495:
	.size	_Z39paged_attention_ll4mi_QKV_mfma16_kernelIDF16_hLN4vllm18Fp8KVCacheDataTypeE1EDF16_Li16ELi128ELi256ELb0ELi10EL8MFMAType1EEvPKT_PKT0_S8_ifPKiSA_SA_iPKfiiiPfSD_PS3_PT2_iSC_SC_, .Lfunc_end495-_Z39paged_attention_ll4mi_QKV_mfma16_kernelIDF16_hLN4vllm18Fp8KVCacheDataTypeE1EDF16_Li16ELi128ELi256ELb0ELi10EL8MFMAType1EEvPKT_PKT0_S8_ifPKiSA_SA_iPKfiiiPfSD_PS3_PT2_iSC_SC_
                                        ; -- End function
	.section	.AMDGPU.csdata,"",@progbits
; Kernel info:
; codeLenInByte = 492
; NumSgprs: 40
; NumVgprs: 42
; NumAgprs: 1
; TotalNumVgprs: 45
; ScratchSize: 64
; MemoryBound: 0
; FloatMode: 240
; IeeeMode: 1
; LDSByteSize: 8192 bytes/workgroup (compile time only)
; SGPRBlocks: 4
; VGPRBlocks: 5
; NumSGPRsForWavesPerEU: 40
; NumVGPRsForWavesPerEU: 45
; AccumOffset: 44
; Occupancy: 8
; WaveLimiterHint : 1
; COMPUTE_PGM_RSRC2:SCRATCH_EN: 1
; COMPUTE_PGM_RSRC2:USER_SGPR: 8
; COMPUTE_PGM_RSRC2:TRAP_HANDLER: 0
; COMPUTE_PGM_RSRC2:TGID_X_EN: 1
; COMPUTE_PGM_RSRC2:TGID_Y_EN: 1
; COMPUTE_PGM_RSRC2:TGID_Z_EN: 1
; COMPUTE_PGM_RSRC2:TIDIG_COMP_CNT: 0
; COMPUTE_PGM_RSRC3_GFX90A:ACCUM_OFFSET: 10
; COMPUTE_PGM_RSRC3_GFX90A:TG_SPLIT: 0
	.section	.text._Z39paged_attention_ll4mi_QKV_mfma16_kernelIDF16_hLN4vllm18Fp8KVCacheDataTypeE1EDF16_Li16ELi128ELi256ELb0ELi11EL8MFMAType1EEvPKT_PKT0_S8_ifPKiSA_SA_iPKfiiiPfSD_PS3_PT2_iSC_SC_,"axG",@progbits,_Z39paged_attention_ll4mi_QKV_mfma16_kernelIDF16_hLN4vllm18Fp8KVCacheDataTypeE1EDF16_Li16ELi128ELi256ELb0ELi11EL8MFMAType1EEvPKT_PKT0_S8_ifPKiSA_SA_iPKfiiiPfSD_PS3_PT2_iSC_SC_,comdat
	.protected	_Z39paged_attention_ll4mi_QKV_mfma16_kernelIDF16_hLN4vllm18Fp8KVCacheDataTypeE1EDF16_Li16ELi128ELi256ELb0ELi11EL8MFMAType1EEvPKT_PKT0_S8_ifPKiSA_SA_iPKfiiiPfSD_PS3_PT2_iSC_SC_ ; -- Begin function _Z39paged_attention_ll4mi_QKV_mfma16_kernelIDF16_hLN4vllm18Fp8KVCacheDataTypeE1EDF16_Li16ELi128ELi256ELb0ELi11EL8MFMAType1EEvPKT_PKT0_S8_ifPKiSA_SA_iPKfiiiPfSD_PS3_PT2_iSC_SC_
	.globl	_Z39paged_attention_ll4mi_QKV_mfma16_kernelIDF16_hLN4vllm18Fp8KVCacheDataTypeE1EDF16_Li16ELi128ELi256ELb0ELi11EL8MFMAType1EEvPKT_PKT0_S8_ifPKiSA_SA_iPKfiiiPfSD_PS3_PT2_iSC_SC_
	.p2align	8
	.type	_Z39paged_attention_ll4mi_QKV_mfma16_kernelIDF16_hLN4vllm18Fp8KVCacheDataTypeE1EDF16_Li16ELi128ELi256ELb0ELi11EL8MFMAType1EEvPKT_PKT0_S8_ifPKiSA_SA_iPKfiiiPfSD_PS3_PT2_iSC_SC_,@function
_Z39paged_attention_ll4mi_QKV_mfma16_kernelIDF16_hLN4vllm18Fp8KVCacheDataTypeE1EDF16_Li16ELi128ELi256ELb0ELi11EL8MFMAType1EEvPKT_PKT0_S8_ifPKiSA_SA_iPKfiiiPfSD_PS3_PT2_iSC_SC_: ; @_Z39paged_attention_ll4mi_QKV_mfma16_kernelIDF16_hLN4vllm18Fp8KVCacheDataTypeE1EDF16_Li16ELi128ELi256ELb0ELi11EL8MFMAType1EEvPKT_PKT0_S8_ifPKiSA_SA_iPKfiiiPfSD_PS3_PT2_iSC_SC_
; %bb.0:
	s_load_dwordx2 s[12:13], s[4:5], 0x30
	s_add_u32 flat_scratch_lo, s6, s11
	s_addc_u32 flat_scratch_hi, s7, 0
	s_add_u32 s0, s0, s11
	s_addc_u32 s1, s1, 0
	s_waitcnt lgkmcnt(0)
	s_cmp_lg_u64 s[12:13], 0
	s_cselect_b64 s[14:15], -1, 0
	s_mov_b32 s6, s9
	s_mov_b64 s[16:17], 0
	s_and_b64 vcc, exec, s[14:15]
	s_mov_b32 s32, 0
	s_cbranch_vccz .LBB496_11
; %bb.1:
	s_add_i32 s18, s8, 1
	s_mov_b32 s19, 0
	s_lshl_b64 s[20:21], s[18:19], 2
	s_add_u32 s20, s12, s20
	s_mov_b32 s9, s19
	s_addc_u32 s21, s13, s21
	s_lshl_b64 s[18:19], s[8:9], 2
	s_add_u32 s18, s12, s18
	s_addc_u32 s19, s13, s19
	s_load_dword s7, s[20:21], 0x0
	s_load_dword s11, s[18:19], 0x0
	s_waitcnt lgkmcnt(0)
	s_sub_i32 s7, s7, s11
	s_cmp_eq_u32 s7, 1
	s_cselect_b64 s[18:19], -1, 0
	s_andn2_b64 vcc, exec, s[16:17]
	s_cbranch_vccnz .LBB496_3
.LBB496_2:
	s_mov_b32 s9, 0
	s_mov_b64 s[18:19], -1
.LBB496_3:
	s_andn2_b64 vcc, exec, s[18:19]
	s_cbranch_vccnz .LBB496_10
; %bb.4:
	s_load_dwordx2 s[18:19], s[4:5], 0x28
	s_lshl_b64 s[16:17], s[8:9], 2
	s_waitcnt lgkmcnt(0)
	s_add_u32 s18, s18, s16
	s_addc_u32 s19, s19, s17
	s_load_dword s7, s[18:19], 0x0
	s_lshl_b32 s6, s6, 8
	s_waitcnt lgkmcnt(0)
	s_cmp_ge_i32 s6, s7
	s_cbranch_scc1 .LBB496_10
; %bb.5:
	s_andn2_b64 vcc, exec, s[14:15]
	s_cbranch_vccnz .LBB496_7
; %bb.6:
	s_add_u32 s6, s12, s16
	s_addc_u32 s7, s13, s17
	s_load_dword s8, s[6:7], 0x0
.LBB496_7:
	s_movk_i32 s6, 0xb0
	v_cmp_gt_u32_e32 vcc, s6, v0
	s_and_saveexec_b64 s[6:7], vcc
	s_cbranch_execz .LBB496_9
; %bb.8:
	s_load_dword s11, s[4:5], 0x48
	s_load_dwordx2 s[12:13], s[4:5], 0x0
	v_lshrrev_b32_e32 v1, 4, v0
	s_mul_i32 s10, s10, 11
	v_add_lshl_u32 v2, v1, s10, 7
	s_waitcnt lgkmcnt(0)
	s_ashr_i32 s9, s11, 31
	s_mul_hi_u32 s14, s8, s11
	s_mul_i32 s9, s8, s9
	s_add_i32 s9, s14, s9
	s_mul_i32 s8, s8, s11
	s_lshl_b64 s[8:9], s[8:9], 1
	s_add_u32 s8, s12, s8
	v_ashrrev_i32_e32 v3, 31, v2
	s_addc_u32 s9, s13, s9
	v_lshlrev_b64 v[2:3], 1, v[2:3]
	v_and_b32_e32 v4, 15, v0
	v_mov_b32_e32 v5, s9
	v_add_co_u32_e32 v2, vcc, s8, v2
	v_addc_co_u32_e32 v3, vcc, v5, v3, vcc
	v_lshlrev_b32_e32 v4, 4, v4
	v_add_co_u32_e32 v2, vcc, v2, v4
	v_addc_co_u32_e32 v3, vcc, 0, v3, vcc
	global_load_dwordx4 v[2:5], v[2:3], off
	v_lshlrev_b32_e32 v6, 4, v0
	v_lshlrev_b32_e32 v0, 8, v0
	v_and_b32_e32 v6, 16, v6
	v_lshlrev_b32_e32 v1, 5, v1
	v_and_b32_e32 v0, 0xe00, v0
	v_or3_b32 v0, v0, v1, v6
	s_waitcnt vmcnt(0)
	ds_write_b128 v0, v[2:5]
.LBB496_9:
	s_or_b64 exec, exec, s[6:7]
	s_waitcnt lgkmcnt(0)
	s_add_u32 s8, s4, 0x90
	s_addc_u32 s9, s5, 0
	s_getpc_b64 s[4:5]
	s_add_u32 s4, s4, __PRETTY_FUNCTION__._Z39paged_attention_ll4mi_QKV_mfma16_kernelIDF16_hLN4vllm18Fp8KVCacheDataTypeE1EDF16_Li16ELi128ELi256ELb0ELi11EL8MFMAType1EEvPKT_PKT0_S8_ifPKiSA_SA_iPKfiiiPfSD_PS3_PT2_iSC_SC_@rel32@lo+4
	s_addc_u32 s5, s5, __PRETTY_FUNCTION__._Z39paged_attention_ll4mi_QKV_mfma16_kernelIDF16_hLN4vllm18Fp8KVCacheDataTypeE1EDF16_Li16ELi128ELi256ELb0ELi11EL8MFMAType1EEvPKT_PKT0_S8_ifPKiSA_SA_iPKfiiiPfSD_PS3_PT2_iSC_SC_@rel32@hi+12
	v_mov_b32_e32 v0, 0x288
	v_mov_b32_e32 v1, s4
	;; [unrolled: 1-line block ×3, first 2 shown]
	s_barrier
	s_getpc_b64 s[6:7]
	s_add_u32 s6, s6, __assert_fail@rel32@lo+4
	s_addc_u32 s7, s7, __assert_fail@rel32@hi+12
	s_swappc_b64 s[30:31], s[6:7]
	; divergent unreachable
.LBB496_10:
	s_endpgm
.LBB496_11:
	s_mov_b64 s[18:19], 0
	s_branch .LBB496_2
	.section	.rodata,"a",@progbits
	.p2align	6, 0x0
	.amdhsa_kernel _Z39paged_attention_ll4mi_QKV_mfma16_kernelIDF16_hLN4vllm18Fp8KVCacheDataTypeE1EDF16_Li16ELi128ELi256ELb0ELi11EL8MFMAType1EEvPKT_PKT0_S8_ifPKiSA_SA_iPKfiiiPfSD_PS3_PT2_iSC_SC_
		.amdhsa_group_segment_fixed_size 8192
		.amdhsa_private_segment_fixed_size 64
		.amdhsa_kernarg_size 400
		.amdhsa_user_sgpr_count 8
		.amdhsa_user_sgpr_private_segment_buffer 1
		.amdhsa_user_sgpr_dispatch_ptr 0
		.amdhsa_user_sgpr_queue_ptr 0
		.amdhsa_user_sgpr_kernarg_segment_ptr 1
		.amdhsa_user_sgpr_dispatch_id 0
		.amdhsa_user_sgpr_flat_scratch_init 1
		.amdhsa_user_sgpr_kernarg_preload_length 0
		.amdhsa_user_sgpr_kernarg_preload_offset 0
		.amdhsa_user_sgpr_private_segment_size 0
		.amdhsa_uses_dynamic_stack 0
		.amdhsa_system_sgpr_private_segment_wavefront_offset 1
		.amdhsa_system_sgpr_workgroup_id_x 1
		.amdhsa_system_sgpr_workgroup_id_y 1
		.amdhsa_system_sgpr_workgroup_id_z 1
		.amdhsa_system_sgpr_workgroup_info 0
		.amdhsa_system_vgpr_workitem_id 0
		.amdhsa_next_free_vgpr 45
		.amdhsa_next_free_sgpr 34
		.amdhsa_accum_offset 44
		.amdhsa_reserve_vcc 1
		.amdhsa_reserve_flat_scratch 1
		.amdhsa_float_round_mode_32 0
		.amdhsa_float_round_mode_16_64 0
		.amdhsa_float_denorm_mode_32 3
		.amdhsa_float_denorm_mode_16_64 3
		.amdhsa_dx10_clamp 1
		.amdhsa_ieee_mode 1
		.amdhsa_fp16_overflow 0
		.amdhsa_tg_split 0
		.amdhsa_exception_fp_ieee_invalid_op 0
		.amdhsa_exception_fp_denorm_src 0
		.amdhsa_exception_fp_ieee_div_zero 0
		.amdhsa_exception_fp_ieee_overflow 0
		.amdhsa_exception_fp_ieee_underflow 0
		.amdhsa_exception_fp_ieee_inexact 0
		.amdhsa_exception_int_div_zero 0
	.end_amdhsa_kernel
	.section	.text._Z39paged_attention_ll4mi_QKV_mfma16_kernelIDF16_hLN4vllm18Fp8KVCacheDataTypeE1EDF16_Li16ELi128ELi256ELb0ELi11EL8MFMAType1EEvPKT_PKT0_S8_ifPKiSA_SA_iPKfiiiPfSD_PS3_PT2_iSC_SC_,"axG",@progbits,_Z39paged_attention_ll4mi_QKV_mfma16_kernelIDF16_hLN4vllm18Fp8KVCacheDataTypeE1EDF16_Li16ELi128ELi256ELb0ELi11EL8MFMAType1EEvPKT_PKT0_S8_ifPKiSA_SA_iPKfiiiPfSD_PS3_PT2_iSC_SC_,comdat
.Lfunc_end496:
	.size	_Z39paged_attention_ll4mi_QKV_mfma16_kernelIDF16_hLN4vllm18Fp8KVCacheDataTypeE1EDF16_Li16ELi128ELi256ELb0ELi11EL8MFMAType1EEvPKT_PKT0_S8_ifPKiSA_SA_iPKfiiiPfSD_PS3_PT2_iSC_SC_, .Lfunc_end496-_Z39paged_attention_ll4mi_QKV_mfma16_kernelIDF16_hLN4vllm18Fp8KVCacheDataTypeE1EDF16_Li16ELi128ELi256ELb0ELi11EL8MFMAType1EEvPKT_PKT0_S8_ifPKiSA_SA_iPKfiiiPfSD_PS3_PT2_iSC_SC_
                                        ; -- End function
	.section	.AMDGPU.csdata,"",@progbits
; Kernel info:
; codeLenInByte = 492
; NumSgprs: 40
; NumVgprs: 42
; NumAgprs: 1
; TotalNumVgprs: 45
; ScratchSize: 64
; MemoryBound: 0
; FloatMode: 240
; IeeeMode: 1
; LDSByteSize: 8192 bytes/workgroup (compile time only)
; SGPRBlocks: 4
; VGPRBlocks: 5
; NumSGPRsForWavesPerEU: 40
; NumVGPRsForWavesPerEU: 45
; AccumOffset: 44
; Occupancy: 8
; WaveLimiterHint : 1
; COMPUTE_PGM_RSRC2:SCRATCH_EN: 1
; COMPUTE_PGM_RSRC2:USER_SGPR: 8
; COMPUTE_PGM_RSRC2:TRAP_HANDLER: 0
; COMPUTE_PGM_RSRC2:TGID_X_EN: 1
; COMPUTE_PGM_RSRC2:TGID_Y_EN: 1
; COMPUTE_PGM_RSRC2:TGID_Z_EN: 1
; COMPUTE_PGM_RSRC2:TIDIG_COMP_CNT: 0
; COMPUTE_PGM_RSRC3_GFX90A:ACCUM_OFFSET: 10
; COMPUTE_PGM_RSRC3_GFX90A:TG_SPLIT: 0
	.section	.text._Z39paged_attention_ll4mi_QKV_mfma16_kernelIDF16_hLN4vllm18Fp8KVCacheDataTypeE1EDF16_Li16ELi128ELi256ELb0ELi12EL8MFMAType1EEvPKT_PKT0_S8_ifPKiSA_SA_iPKfiiiPfSD_PS3_PT2_iSC_SC_,"axG",@progbits,_Z39paged_attention_ll4mi_QKV_mfma16_kernelIDF16_hLN4vllm18Fp8KVCacheDataTypeE1EDF16_Li16ELi128ELi256ELb0ELi12EL8MFMAType1EEvPKT_PKT0_S8_ifPKiSA_SA_iPKfiiiPfSD_PS3_PT2_iSC_SC_,comdat
	.protected	_Z39paged_attention_ll4mi_QKV_mfma16_kernelIDF16_hLN4vllm18Fp8KVCacheDataTypeE1EDF16_Li16ELi128ELi256ELb0ELi12EL8MFMAType1EEvPKT_PKT0_S8_ifPKiSA_SA_iPKfiiiPfSD_PS3_PT2_iSC_SC_ ; -- Begin function _Z39paged_attention_ll4mi_QKV_mfma16_kernelIDF16_hLN4vllm18Fp8KVCacheDataTypeE1EDF16_Li16ELi128ELi256ELb0ELi12EL8MFMAType1EEvPKT_PKT0_S8_ifPKiSA_SA_iPKfiiiPfSD_PS3_PT2_iSC_SC_
	.globl	_Z39paged_attention_ll4mi_QKV_mfma16_kernelIDF16_hLN4vllm18Fp8KVCacheDataTypeE1EDF16_Li16ELi128ELi256ELb0ELi12EL8MFMAType1EEvPKT_PKT0_S8_ifPKiSA_SA_iPKfiiiPfSD_PS3_PT2_iSC_SC_
	.p2align	8
	.type	_Z39paged_attention_ll4mi_QKV_mfma16_kernelIDF16_hLN4vllm18Fp8KVCacheDataTypeE1EDF16_Li16ELi128ELi256ELb0ELi12EL8MFMAType1EEvPKT_PKT0_S8_ifPKiSA_SA_iPKfiiiPfSD_PS3_PT2_iSC_SC_,@function
_Z39paged_attention_ll4mi_QKV_mfma16_kernelIDF16_hLN4vllm18Fp8KVCacheDataTypeE1EDF16_Li16ELi128ELi256ELb0ELi12EL8MFMAType1EEvPKT_PKT0_S8_ifPKiSA_SA_iPKfiiiPfSD_PS3_PT2_iSC_SC_: ; @_Z39paged_attention_ll4mi_QKV_mfma16_kernelIDF16_hLN4vllm18Fp8KVCacheDataTypeE1EDF16_Li16ELi128ELi256ELb0ELi12EL8MFMAType1EEvPKT_PKT0_S8_ifPKiSA_SA_iPKfiiiPfSD_PS3_PT2_iSC_SC_
; %bb.0:
	s_load_dwordx2 s[12:13], s[4:5], 0x30
	s_add_u32 flat_scratch_lo, s6, s11
	s_addc_u32 flat_scratch_hi, s7, 0
	s_add_u32 s0, s0, s11
	s_addc_u32 s1, s1, 0
	s_waitcnt lgkmcnt(0)
	s_cmp_lg_u64 s[12:13], 0
	s_cselect_b64 s[14:15], -1, 0
	s_mov_b32 s6, s9
	s_mov_b64 s[16:17], 0
	s_and_b64 vcc, exec, s[14:15]
	s_mov_b32 s32, 0
	s_cbranch_vccz .LBB497_11
; %bb.1:
	s_add_i32 s18, s8, 1
	s_mov_b32 s19, 0
	s_lshl_b64 s[20:21], s[18:19], 2
	s_add_u32 s20, s12, s20
	s_mov_b32 s9, s19
	s_addc_u32 s21, s13, s21
	s_lshl_b64 s[18:19], s[8:9], 2
	s_add_u32 s18, s12, s18
	s_addc_u32 s19, s13, s19
	s_load_dword s7, s[20:21], 0x0
	s_load_dword s11, s[18:19], 0x0
	s_waitcnt lgkmcnt(0)
	s_sub_i32 s7, s7, s11
	s_cmp_eq_u32 s7, 1
	s_cselect_b64 s[18:19], -1, 0
	s_andn2_b64 vcc, exec, s[16:17]
	s_cbranch_vccnz .LBB497_3
.LBB497_2:
	s_mov_b32 s9, 0
	s_mov_b64 s[18:19], -1
.LBB497_3:
	s_andn2_b64 vcc, exec, s[18:19]
	s_cbranch_vccnz .LBB497_10
; %bb.4:
	s_load_dwordx2 s[18:19], s[4:5], 0x28
	s_lshl_b64 s[16:17], s[8:9], 2
	s_waitcnt lgkmcnt(0)
	s_add_u32 s18, s18, s16
	s_addc_u32 s19, s19, s17
	s_load_dword s7, s[18:19], 0x0
	s_lshl_b32 s6, s6, 8
	s_waitcnt lgkmcnt(0)
	s_cmp_ge_i32 s6, s7
	s_cbranch_scc1 .LBB497_10
; %bb.5:
	s_andn2_b64 vcc, exec, s[14:15]
	s_cbranch_vccnz .LBB497_7
; %bb.6:
	s_add_u32 s6, s12, s16
	s_addc_u32 s7, s13, s17
	s_load_dword s8, s[6:7], 0x0
.LBB497_7:
	s_movk_i32 s6, 0xc0
	v_cmp_gt_u32_e32 vcc, s6, v0
	s_and_saveexec_b64 s[6:7], vcc
	s_cbranch_execz .LBB497_9
; %bb.8:
	s_load_dword s11, s[4:5], 0x48
	s_load_dwordx2 s[12:13], s[4:5], 0x0
	v_lshrrev_b32_e32 v1, 4, v0
	s_mul_i32 s10, s10, 12
	v_add_lshl_u32 v2, v1, s10, 7
	s_waitcnt lgkmcnt(0)
	s_ashr_i32 s9, s11, 31
	s_mul_hi_u32 s14, s8, s11
	s_mul_i32 s9, s8, s9
	s_add_i32 s9, s14, s9
	s_mul_i32 s8, s8, s11
	s_lshl_b64 s[8:9], s[8:9], 1
	s_add_u32 s8, s12, s8
	v_ashrrev_i32_e32 v3, 31, v2
	s_addc_u32 s9, s13, s9
	v_lshlrev_b64 v[2:3], 1, v[2:3]
	v_and_b32_e32 v4, 15, v0
	v_mov_b32_e32 v5, s9
	v_add_co_u32_e32 v2, vcc, s8, v2
	v_addc_co_u32_e32 v3, vcc, v5, v3, vcc
	v_lshlrev_b32_e32 v4, 4, v4
	v_add_co_u32_e32 v2, vcc, v2, v4
	v_addc_co_u32_e32 v3, vcc, 0, v3, vcc
	global_load_dwordx4 v[2:5], v[2:3], off
	v_lshlrev_b32_e32 v6, 4, v0
	v_lshlrev_b32_e32 v0, 8, v0
	v_and_b32_e32 v6, 16, v6
	v_lshlrev_b32_e32 v1, 5, v1
	v_and_b32_e32 v0, 0xe00, v0
	v_or3_b32 v0, v0, v1, v6
	s_waitcnt vmcnt(0)
	ds_write_b128 v0, v[2:5]
.LBB497_9:
	s_or_b64 exec, exec, s[6:7]
	s_waitcnt lgkmcnt(0)
	s_add_u32 s8, s4, 0x90
	s_addc_u32 s9, s5, 0
	s_getpc_b64 s[4:5]
	s_add_u32 s4, s4, __PRETTY_FUNCTION__._Z39paged_attention_ll4mi_QKV_mfma16_kernelIDF16_hLN4vllm18Fp8KVCacheDataTypeE1EDF16_Li16ELi128ELi256ELb0ELi12EL8MFMAType1EEvPKT_PKT0_S8_ifPKiSA_SA_iPKfiiiPfSD_PS3_PT2_iSC_SC_@rel32@lo+4
	s_addc_u32 s5, s5, __PRETTY_FUNCTION__._Z39paged_attention_ll4mi_QKV_mfma16_kernelIDF16_hLN4vllm18Fp8KVCacheDataTypeE1EDF16_Li16ELi128ELi256ELb0ELi12EL8MFMAType1EEvPKT_PKT0_S8_ifPKiSA_SA_iPKfiiiPfSD_PS3_PT2_iSC_SC_@rel32@hi+12
	v_mov_b32_e32 v0, 0x288
	v_mov_b32_e32 v1, s4
	;; [unrolled: 1-line block ×3, first 2 shown]
	s_barrier
	s_getpc_b64 s[6:7]
	s_add_u32 s6, s6, __assert_fail@rel32@lo+4
	s_addc_u32 s7, s7, __assert_fail@rel32@hi+12
	s_swappc_b64 s[30:31], s[6:7]
	; divergent unreachable
.LBB497_10:
	s_endpgm
.LBB497_11:
	s_mov_b64 s[18:19], 0
	s_branch .LBB497_2
	.section	.rodata,"a",@progbits
	.p2align	6, 0x0
	.amdhsa_kernel _Z39paged_attention_ll4mi_QKV_mfma16_kernelIDF16_hLN4vllm18Fp8KVCacheDataTypeE1EDF16_Li16ELi128ELi256ELb0ELi12EL8MFMAType1EEvPKT_PKT0_S8_ifPKiSA_SA_iPKfiiiPfSD_PS3_PT2_iSC_SC_
		.amdhsa_group_segment_fixed_size 8192
		.amdhsa_private_segment_fixed_size 64
		.amdhsa_kernarg_size 400
		.amdhsa_user_sgpr_count 8
		.amdhsa_user_sgpr_private_segment_buffer 1
		.amdhsa_user_sgpr_dispatch_ptr 0
		.amdhsa_user_sgpr_queue_ptr 0
		.amdhsa_user_sgpr_kernarg_segment_ptr 1
		.amdhsa_user_sgpr_dispatch_id 0
		.amdhsa_user_sgpr_flat_scratch_init 1
		.amdhsa_user_sgpr_kernarg_preload_length 0
		.amdhsa_user_sgpr_kernarg_preload_offset 0
		.amdhsa_user_sgpr_private_segment_size 0
		.amdhsa_uses_dynamic_stack 0
		.amdhsa_system_sgpr_private_segment_wavefront_offset 1
		.amdhsa_system_sgpr_workgroup_id_x 1
		.amdhsa_system_sgpr_workgroup_id_y 1
		.amdhsa_system_sgpr_workgroup_id_z 1
		.amdhsa_system_sgpr_workgroup_info 0
		.amdhsa_system_vgpr_workitem_id 0
		.amdhsa_next_free_vgpr 45
		.amdhsa_next_free_sgpr 34
		.amdhsa_accum_offset 44
		.amdhsa_reserve_vcc 1
		.amdhsa_reserve_flat_scratch 1
		.amdhsa_float_round_mode_32 0
		.amdhsa_float_round_mode_16_64 0
		.amdhsa_float_denorm_mode_32 3
		.amdhsa_float_denorm_mode_16_64 3
		.amdhsa_dx10_clamp 1
		.amdhsa_ieee_mode 1
		.amdhsa_fp16_overflow 0
		.amdhsa_tg_split 0
		.amdhsa_exception_fp_ieee_invalid_op 0
		.amdhsa_exception_fp_denorm_src 0
		.amdhsa_exception_fp_ieee_div_zero 0
		.amdhsa_exception_fp_ieee_overflow 0
		.amdhsa_exception_fp_ieee_underflow 0
		.amdhsa_exception_fp_ieee_inexact 0
		.amdhsa_exception_int_div_zero 0
	.end_amdhsa_kernel
	.section	.text._Z39paged_attention_ll4mi_QKV_mfma16_kernelIDF16_hLN4vllm18Fp8KVCacheDataTypeE1EDF16_Li16ELi128ELi256ELb0ELi12EL8MFMAType1EEvPKT_PKT0_S8_ifPKiSA_SA_iPKfiiiPfSD_PS3_PT2_iSC_SC_,"axG",@progbits,_Z39paged_attention_ll4mi_QKV_mfma16_kernelIDF16_hLN4vllm18Fp8KVCacheDataTypeE1EDF16_Li16ELi128ELi256ELb0ELi12EL8MFMAType1EEvPKT_PKT0_S8_ifPKiSA_SA_iPKfiiiPfSD_PS3_PT2_iSC_SC_,comdat
.Lfunc_end497:
	.size	_Z39paged_attention_ll4mi_QKV_mfma16_kernelIDF16_hLN4vllm18Fp8KVCacheDataTypeE1EDF16_Li16ELi128ELi256ELb0ELi12EL8MFMAType1EEvPKT_PKT0_S8_ifPKiSA_SA_iPKfiiiPfSD_PS3_PT2_iSC_SC_, .Lfunc_end497-_Z39paged_attention_ll4mi_QKV_mfma16_kernelIDF16_hLN4vllm18Fp8KVCacheDataTypeE1EDF16_Li16ELi128ELi256ELb0ELi12EL8MFMAType1EEvPKT_PKT0_S8_ifPKiSA_SA_iPKfiiiPfSD_PS3_PT2_iSC_SC_
                                        ; -- End function
	.section	.AMDGPU.csdata,"",@progbits
; Kernel info:
; codeLenInByte = 492
; NumSgprs: 40
; NumVgprs: 42
; NumAgprs: 1
; TotalNumVgprs: 45
; ScratchSize: 64
; MemoryBound: 0
; FloatMode: 240
; IeeeMode: 1
; LDSByteSize: 8192 bytes/workgroup (compile time only)
; SGPRBlocks: 4
; VGPRBlocks: 5
; NumSGPRsForWavesPerEU: 40
; NumVGPRsForWavesPerEU: 45
; AccumOffset: 44
; Occupancy: 8
; WaveLimiterHint : 1
; COMPUTE_PGM_RSRC2:SCRATCH_EN: 1
; COMPUTE_PGM_RSRC2:USER_SGPR: 8
; COMPUTE_PGM_RSRC2:TRAP_HANDLER: 0
; COMPUTE_PGM_RSRC2:TGID_X_EN: 1
; COMPUTE_PGM_RSRC2:TGID_Y_EN: 1
; COMPUTE_PGM_RSRC2:TGID_Z_EN: 1
; COMPUTE_PGM_RSRC2:TIDIG_COMP_CNT: 0
; COMPUTE_PGM_RSRC3_GFX90A:ACCUM_OFFSET: 10
; COMPUTE_PGM_RSRC3_GFX90A:TG_SPLIT: 0
	.section	.text._Z39paged_attention_ll4mi_QKV_mfma16_kernelIDF16_hLN4vllm18Fp8KVCacheDataTypeE1EDF16_Li16ELi128ELi256ELb0ELi13EL8MFMAType1EEvPKT_PKT0_S8_ifPKiSA_SA_iPKfiiiPfSD_PS3_PT2_iSC_SC_,"axG",@progbits,_Z39paged_attention_ll4mi_QKV_mfma16_kernelIDF16_hLN4vllm18Fp8KVCacheDataTypeE1EDF16_Li16ELi128ELi256ELb0ELi13EL8MFMAType1EEvPKT_PKT0_S8_ifPKiSA_SA_iPKfiiiPfSD_PS3_PT2_iSC_SC_,comdat
	.protected	_Z39paged_attention_ll4mi_QKV_mfma16_kernelIDF16_hLN4vllm18Fp8KVCacheDataTypeE1EDF16_Li16ELi128ELi256ELb0ELi13EL8MFMAType1EEvPKT_PKT0_S8_ifPKiSA_SA_iPKfiiiPfSD_PS3_PT2_iSC_SC_ ; -- Begin function _Z39paged_attention_ll4mi_QKV_mfma16_kernelIDF16_hLN4vllm18Fp8KVCacheDataTypeE1EDF16_Li16ELi128ELi256ELb0ELi13EL8MFMAType1EEvPKT_PKT0_S8_ifPKiSA_SA_iPKfiiiPfSD_PS3_PT2_iSC_SC_
	.globl	_Z39paged_attention_ll4mi_QKV_mfma16_kernelIDF16_hLN4vllm18Fp8KVCacheDataTypeE1EDF16_Li16ELi128ELi256ELb0ELi13EL8MFMAType1EEvPKT_PKT0_S8_ifPKiSA_SA_iPKfiiiPfSD_PS3_PT2_iSC_SC_
	.p2align	8
	.type	_Z39paged_attention_ll4mi_QKV_mfma16_kernelIDF16_hLN4vllm18Fp8KVCacheDataTypeE1EDF16_Li16ELi128ELi256ELb0ELi13EL8MFMAType1EEvPKT_PKT0_S8_ifPKiSA_SA_iPKfiiiPfSD_PS3_PT2_iSC_SC_,@function
_Z39paged_attention_ll4mi_QKV_mfma16_kernelIDF16_hLN4vllm18Fp8KVCacheDataTypeE1EDF16_Li16ELi128ELi256ELb0ELi13EL8MFMAType1EEvPKT_PKT0_S8_ifPKiSA_SA_iPKfiiiPfSD_PS3_PT2_iSC_SC_: ; @_Z39paged_attention_ll4mi_QKV_mfma16_kernelIDF16_hLN4vllm18Fp8KVCacheDataTypeE1EDF16_Li16ELi128ELi256ELb0ELi13EL8MFMAType1EEvPKT_PKT0_S8_ifPKiSA_SA_iPKfiiiPfSD_PS3_PT2_iSC_SC_
; %bb.0:
	s_load_dwordx2 s[12:13], s[4:5], 0x30
	s_add_u32 flat_scratch_lo, s6, s11
	s_addc_u32 flat_scratch_hi, s7, 0
	s_add_u32 s0, s0, s11
	s_addc_u32 s1, s1, 0
	s_waitcnt lgkmcnt(0)
	s_cmp_lg_u64 s[12:13], 0
	s_cselect_b64 s[14:15], -1, 0
	s_mov_b32 s6, s9
	s_mov_b64 s[16:17], 0
	s_and_b64 vcc, exec, s[14:15]
	s_mov_b32 s32, 0
	s_cbranch_vccz .LBB498_11
; %bb.1:
	s_add_i32 s18, s8, 1
	s_mov_b32 s19, 0
	s_lshl_b64 s[20:21], s[18:19], 2
	s_add_u32 s20, s12, s20
	s_mov_b32 s9, s19
	s_addc_u32 s21, s13, s21
	s_lshl_b64 s[18:19], s[8:9], 2
	s_add_u32 s18, s12, s18
	s_addc_u32 s19, s13, s19
	s_load_dword s7, s[20:21], 0x0
	s_load_dword s11, s[18:19], 0x0
	s_waitcnt lgkmcnt(0)
	s_sub_i32 s7, s7, s11
	s_cmp_eq_u32 s7, 1
	s_cselect_b64 s[18:19], -1, 0
	s_andn2_b64 vcc, exec, s[16:17]
	s_cbranch_vccnz .LBB498_3
.LBB498_2:
	s_mov_b32 s9, 0
	s_mov_b64 s[18:19], -1
.LBB498_3:
	s_andn2_b64 vcc, exec, s[18:19]
	s_cbranch_vccnz .LBB498_10
; %bb.4:
	s_load_dwordx2 s[18:19], s[4:5], 0x28
	s_lshl_b64 s[16:17], s[8:9], 2
	s_waitcnt lgkmcnt(0)
	s_add_u32 s18, s18, s16
	s_addc_u32 s19, s19, s17
	s_load_dword s7, s[18:19], 0x0
	s_lshl_b32 s6, s6, 8
	s_waitcnt lgkmcnt(0)
	s_cmp_ge_i32 s6, s7
	s_cbranch_scc1 .LBB498_10
; %bb.5:
	s_andn2_b64 vcc, exec, s[14:15]
	s_cbranch_vccnz .LBB498_7
; %bb.6:
	s_add_u32 s6, s12, s16
	s_addc_u32 s7, s13, s17
	s_load_dword s8, s[6:7], 0x0
.LBB498_7:
	s_movk_i32 s6, 0xd0
	v_cmp_gt_u32_e32 vcc, s6, v0
	s_and_saveexec_b64 s[6:7], vcc
	s_cbranch_execz .LBB498_9
; %bb.8:
	s_load_dword s11, s[4:5], 0x48
	s_load_dwordx2 s[12:13], s[4:5], 0x0
	v_lshrrev_b32_e32 v1, 4, v0
	s_mul_i32 s10, s10, 13
	v_add_lshl_u32 v2, v1, s10, 7
	s_waitcnt lgkmcnt(0)
	s_ashr_i32 s9, s11, 31
	s_mul_hi_u32 s14, s8, s11
	s_mul_i32 s9, s8, s9
	s_add_i32 s9, s14, s9
	s_mul_i32 s8, s8, s11
	s_lshl_b64 s[8:9], s[8:9], 1
	s_add_u32 s8, s12, s8
	v_ashrrev_i32_e32 v3, 31, v2
	s_addc_u32 s9, s13, s9
	v_lshlrev_b64 v[2:3], 1, v[2:3]
	v_and_b32_e32 v4, 15, v0
	v_mov_b32_e32 v5, s9
	v_add_co_u32_e32 v2, vcc, s8, v2
	v_addc_co_u32_e32 v3, vcc, v5, v3, vcc
	v_lshlrev_b32_e32 v4, 4, v4
	v_add_co_u32_e32 v2, vcc, v2, v4
	v_addc_co_u32_e32 v3, vcc, 0, v3, vcc
	global_load_dwordx4 v[2:5], v[2:3], off
	v_lshlrev_b32_e32 v6, 4, v0
	v_lshlrev_b32_e32 v0, 8, v0
	v_and_b32_e32 v6, 16, v6
	v_lshlrev_b32_e32 v1, 5, v1
	v_and_b32_e32 v0, 0xe00, v0
	v_or3_b32 v0, v0, v1, v6
	s_waitcnt vmcnt(0)
	ds_write_b128 v0, v[2:5]
.LBB498_9:
	s_or_b64 exec, exec, s[6:7]
	s_waitcnt lgkmcnt(0)
	s_add_u32 s8, s4, 0x90
	s_addc_u32 s9, s5, 0
	s_getpc_b64 s[4:5]
	s_add_u32 s4, s4, __PRETTY_FUNCTION__._Z39paged_attention_ll4mi_QKV_mfma16_kernelIDF16_hLN4vllm18Fp8KVCacheDataTypeE1EDF16_Li16ELi128ELi256ELb0ELi13EL8MFMAType1EEvPKT_PKT0_S8_ifPKiSA_SA_iPKfiiiPfSD_PS3_PT2_iSC_SC_@rel32@lo+4
	s_addc_u32 s5, s5, __PRETTY_FUNCTION__._Z39paged_attention_ll4mi_QKV_mfma16_kernelIDF16_hLN4vllm18Fp8KVCacheDataTypeE1EDF16_Li16ELi128ELi256ELb0ELi13EL8MFMAType1EEvPKT_PKT0_S8_ifPKiSA_SA_iPKfiiiPfSD_PS3_PT2_iSC_SC_@rel32@hi+12
	v_mov_b32_e32 v0, 0x288
	v_mov_b32_e32 v1, s4
	;; [unrolled: 1-line block ×3, first 2 shown]
	s_barrier
	s_getpc_b64 s[6:7]
	s_add_u32 s6, s6, __assert_fail@rel32@lo+4
	s_addc_u32 s7, s7, __assert_fail@rel32@hi+12
	s_swappc_b64 s[30:31], s[6:7]
	; divergent unreachable
.LBB498_10:
	s_endpgm
.LBB498_11:
	s_mov_b64 s[18:19], 0
	s_branch .LBB498_2
	.section	.rodata,"a",@progbits
	.p2align	6, 0x0
	.amdhsa_kernel _Z39paged_attention_ll4mi_QKV_mfma16_kernelIDF16_hLN4vllm18Fp8KVCacheDataTypeE1EDF16_Li16ELi128ELi256ELb0ELi13EL8MFMAType1EEvPKT_PKT0_S8_ifPKiSA_SA_iPKfiiiPfSD_PS3_PT2_iSC_SC_
		.amdhsa_group_segment_fixed_size 8192
		.amdhsa_private_segment_fixed_size 64
		.amdhsa_kernarg_size 400
		.amdhsa_user_sgpr_count 8
		.amdhsa_user_sgpr_private_segment_buffer 1
		.amdhsa_user_sgpr_dispatch_ptr 0
		.amdhsa_user_sgpr_queue_ptr 0
		.amdhsa_user_sgpr_kernarg_segment_ptr 1
		.amdhsa_user_sgpr_dispatch_id 0
		.amdhsa_user_sgpr_flat_scratch_init 1
		.amdhsa_user_sgpr_kernarg_preload_length 0
		.amdhsa_user_sgpr_kernarg_preload_offset 0
		.amdhsa_user_sgpr_private_segment_size 0
		.amdhsa_uses_dynamic_stack 0
		.amdhsa_system_sgpr_private_segment_wavefront_offset 1
		.amdhsa_system_sgpr_workgroup_id_x 1
		.amdhsa_system_sgpr_workgroup_id_y 1
		.amdhsa_system_sgpr_workgroup_id_z 1
		.amdhsa_system_sgpr_workgroup_info 0
		.amdhsa_system_vgpr_workitem_id 0
		.amdhsa_next_free_vgpr 45
		.amdhsa_next_free_sgpr 34
		.amdhsa_accum_offset 44
		.amdhsa_reserve_vcc 1
		.amdhsa_reserve_flat_scratch 1
		.amdhsa_float_round_mode_32 0
		.amdhsa_float_round_mode_16_64 0
		.amdhsa_float_denorm_mode_32 3
		.amdhsa_float_denorm_mode_16_64 3
		.amdhsa_dx10_clamp 1
		.amdhsa_ieee_mode 1
		.amdhsa_fp16_overflow 0
		.amdhsa_tg_split 0
		.amdhsa_exception_fp_ieee_invalid_op 0
		.amdhsa_exception_fp_denorm_src 0
		.amdhsa_exception_fp_ieee_div_zero 0
		.amdhsa_exception_fp_ieee_overflow 0
		.amdhsa_exception_fp_ieee_underflow 0
		.amdhsa_exception_fp_ieee_inexact 0
		.amdhsa_exception_int_div_zero 0
	.end_amdhsa_kernel
	.section	.text._Z39paged_attention_ll4mi_QKV_mfma16_kernelIDF16_hLN4vllm18Fp8KVCacheDataTypeE1EDF16_Li16ELi128ELi256ELb0ELi13EL8MFMAType1EEvPKT_PKT0_S8_ifPKiSA_SA_iPKfiiiPfSD_PS3_PT2_iSC_SC_,"axG",@progbits,_Z39paged_attention_ll4mi_QKV_mfma16_kernelIDF16_hLN4vllm18Fp8KVCacheDataTypeE1EDF16_Li16ELi128ELi256ELb0ELi13EL8MFMAType1EEvPKT_PKT0_S8_ifPKiSA_SA_iPKfiiiPfSD_PS3_PT2_iSC_SC_,comdat
.Lfunc_end498:
	.size	_Z39paged_attention_ll4mi_QKV_mfma16_kernelIDF16_hLN4vllm18Fp8KVCacheDataTypeE1EDF16_Li16ELi128ELi256ELb0ELi13EL8MFMAType1EEvPKT_PKT0_S8_ifPKiSA_SA_iPKfiiiPfSD_PS3_PT2_iSC_SC_, .Lfunc_end498-_Z39paged_attention_ll4mi_QKV_mfma16_kernelIDF16_hLN4vllm18Fp8KVCacheDataTypeE1EDF16_Li16ELi128ELi256ELb0ELi13EL8MFMAType1EEvPKT_PKT0_S8_ifPKiSA_SA_iPKfiiiPfSD_PS3_PT2_iSC_SC_
                                        ; -- End function
	.section	.AMDGPU.csdata,"",@progbits
; Kernel info:
; codeLenInByte = 492
; NumSgprs: 40
; NumVgprs: 42
; NumAgprs: 1
; TotalNumVgprs: 45
; ScratchSize: 64
; MemoryBound: 0
; FloatMode: 240
; IeeeMode: 1
; LDSByteSize: 8192 bytes/workgroup (compile time only)
; SGPRBlocks: 4
; VGPRBlocks: 5
; NumSGPRsForWavesPerEU: 40
; NumVGPRsForWavesPerEU: 45
; AccumOffset: 44
; Occupancy: 8
; WaveLimiterHint : 1
; COMPUTE_PGM_RSRC2:SCRATCH_EN: 1
; COMPUTE_PGM_RSRC2:USER_SGPR: 8
; COMPUTE_PGM_RSRC2:TRAP_HANDLER: 0
; COMPUTE_PGM_RSRC2:TGID_X_EN: 1
; COMPUTE_PGM_RSRC2:TGID_Y_EN: 1
; COMPUTE_PGM_RSRC2:TGID_Z_EN: 1
; COMPUTE_PGM_RSRC2:TIDIG_COMP_CNT: 0
; COMPUTE_PGM_RSRC3_GFX90A:ACCUM_OFFSET: 10
; COMPUTE_PGM_RSRC3_GFX90A:TG_SPLIT: 0
	.section	.text._Z39paged_attention_ll4mi_QKV_mfma16_kernelIDF16_hLN4vllm18Fp8KVCacheDataTypeE1EDF16_Li16ELi128ELi256ELb0ELi14EL8MFMAType1EEvPKT_PKT0_S8_ifPKiSA_SA_iPKfiiiPfSD_PS3_PT2_iSC_SC_,"axG",@progbits,_Z39paged_attention_ll4mi_QKV_mfma16_kernelIDF16_hLN4vllm18Fp8KVCacheDataTypeE1EDF16_Li16ELi128ELi256ELb0ELi14EL8MFMAType1EEvPKT_PKT0_S8_ifPKiSA_SA_iPKfiiiPfSD_PS3_PT2_iSC_SC_,comdat
	.protected	_Z39paged_attention_ll4mi_QKV_mfma16_kernelIDF16_hLN4vllm18Fp8KVCacheDataTypeE1EDF16_Li16ELi128ELi256ELb0ELi14EL8MFMAType1EEvPKT_PKT0_S8_ifPKiSA_SA_iPKfiiiPfSD_PS3_PT2_iSC_SC_ ; -- Begin function _Z39paged_attention_ll4mi_QKV_mfma16_kernelIDF16_hLN4vllm18Fp8KVCacheDataTypeE1EDF16_Li16ELi128ELi256ELb0ELi14EL8MFMAType1EEvPKT_PKT0_S8_ifPKiSA_SA_iPKfiiiPfSD_PS3_PT2_iSC_SC_
	.globl	_Z39paged_attention_ll4mi_QKV_mfma16_kernelIDF16_hLN4vllm18Fp8KVCacheDataTypeE1EDF16_Li16ELi128ELi256ELb0ELi14EL8MFMAType1EEvPKT_PKT0_S8_ifPKiSA_SA_iPKfiiiPfSD_PS3_PT2_iSC_SC_
	.p2align	8
	.type	_Z39paged_attention_ll4mi_QKV_mfma16_kernelIDF16_hLN4vllm18Fp8KVCacheDataTypeE1EDF16_Li16ELi128ELi256ELb0ELi14EL8MFMAType1EEvPKT_PKT0_S8_ifPKiSA_SA_iPKfiiiPfSD_PS3_PT2_iSC_SC_,@function
_Z39paged_attention_ll4mi_QKV_mfma16_kernelIDF16_hLN4vllm18Fp8KVCacheDataTypeE1EDF16_Li16ELi128ELi256ELb0ELi14EL8MFMAType1EEvPKT_PKT0_S8_ifPKiSA_SA_iPKfiiiPfSD_PS3_PT2_iSC_SC_: ; @_Z39paged_attention_ll4mi_QKV_mfma16_kernelIDF16_hLN4vllm18Fp8KVCacheDataTypeE1EDF16_Li16ELi128ELi256ELb0ELi14EL8MFMAType1EEvPKT_PKT0_S8_ifPKiSA_SA_iPKfiiiPfSD_PS3_PT2_iSC_SC_
; %bb.0:
	s_load_dwordx2 s[12:13], s[4:5], 0x30
	s_add_u32 flat_scratch_lo, s6, s11
	s_addc_u32 flat_scratch_hi, s7, 0
	s_add_u32 s0, s0, s11
	s_addc_u32 s1, s1, 0
	s_waitcnt lgkmcnt(0)
	s_cmp_lg_u64 s[12:13], 0
	s_cselect_b64 s[14:15], -1, 0
	s_mov_b32 s6, s9
	s_mov_b64 s[16:17], 0
	s_and_b64 vcc, exec, s[14:15]
	s_mov_b32 s32, 0
	s_cbranch_vccz .LBB499_11
; %bb.1:
	s_add_i32 s18, s8, 1
	s_mov_b32 s19, 0
	s_lshl_b64 s[20:21], s[18:19], 2
	s_add_u32 s20, s12, s20
	s_mov_b32 s9, s19
	s_addc_u32 s21, s13, s21
	s_lshl_b64 s[18:19], s[8:9], 2
	s_add_u32 s18, s12, s18
	s_addc_u32 s19, s13, s19
	s_load_dword s7, s[20:21], 0x0
	s_load_dword s11, s[18:19], 0x0
	s_waitcnt lgkmcnt(0)
	s_sub_i32 s7, s7, s11
	s_cmp_eq_u32 s7, 1
	s_cselect_b64 s[18:19], -1, 0
	s_andn2_b64 vcc, exec, s[16:17]
	s_cbranch_vccnz .LBB499_3
.LBB499_2:
	s_mov_b32 s9, 0
	s_mov_b64 s[18:19], -1
.LBB499_3:
	s_andn2_b64 vcc, exec, s[18:19]
	s_cbranch_vccnz .LBB499_10
; %bb.4:
	s_load_dwordx2 s[18:19], s[4:5], 0x28
	s_lshl_b64 s[16:17], s[8:9], 2
	s_waitcnt lgkmcnt(0)
	s_add_u32 s18, s18, s16
	s_addc_u32 s19, s19, s17
	s_load_dword s7, s[18:19], 0x0
	s_lshl_b32 s6, s6, 8
	s_waitcnt lgkmcnt(0)
	s_cmp_ge_i32 s6, s7
	s_cbranch_scc1 .LBB499_10
; %bb.5:
	s_andn2_b64 vcc, exec, s[14:15]
	s_cbranch_vccnz .LBB499_7
; %bb.6:
	s_add_u32 s6, s12, s16
	s_addc_u32 s7, s13, s17
	s_load_dword s8, s[6:7], 0x0
.LBB499_7:
	s_movk_i32 s6, 0xe0
	v_cmp_gt_u32_e32 vcc, s6, v0
	s_and_saveexec_b64 s[6:7], vcc
	s_cbranch_execz .LBB499_9
; %bb.8:
	s_load_dword s11, s[4:5], 0x48
	s_load_dwordx2 s[12:13], s[4:5], 0x0
	v_lshrrev_b32_e32 v1, 4, v0
	s_mul_i32 s10, s10, 14
	v_add_lshl_u32 v2, v1, s10, 7
	s_waitcnt lgkmcnt(0)
	s_ashr_i32 s9, s11, 31
	s_mul_hi_u32 s14, s8, s11
	s_mul_i32 s9, s8, s9
	s_add_i32 s9, s14, s9
	s_mul_i32 s8, s8, s11
	s_lshl_b64 s[8:9], s[8:9], 1
	s_add_u32 s8, s12, s8
	v_ashrrev_i32_e32 v3, 31, v2
	s_addc_u32 s9, s13, s9
	v_lshlrev_b64 v[2:3], 1, v[2:3]
	v_and_b32_e32 v4, 15, v0
	v_mov_b32_e32 v5, s9
	v_add_co_u32_e32 v2, vcc, s8, v2
	v_addc_co_u32_e32 v3, vcc, v5, v3, vcc
	v_lshlrev_b32_e32 v4, 4, v4
	v_add_co_u32_e32 v2, vcc, v2, v4
	v_addc_co_u32_e32 v3, vcc, 0, v3, vcc
	global_load_dwordx4 v[2:5], v[2:3], off
	v_lshlrev_b32_e32 v6, 4, v0
	v_lshlrev_b32_e32 v0, 8, v0
	v_and_b32_e32 v6, 16, v6
	v_lshlrev_b32_e32 v1, 5, v1
	v_and_b32_e32 v0, 0xe00, v0
	v_or3_b32 v0, v0, v1, v6
	s_waitcnt vmcnt(0)
	ds_write_b128 v0, v[2:5]
.LBB499_9:
	s_or_b64 exec, exec, s[6:7]
	s_waitcnt lgkmcnt(0)
	s_add_u32 s8, s4, 0x90
	s_addc_u32 s9, s5, 0
	s_getpc_b64 s[4:5]
	s_add_u32 s4, s4, __PRETTY_FUNCTION__._Z39paged_attention_ll4mi_QKV_mfma16_kernelIDF16_hLN4vllm18Fp8KVCacheDataTypeE1EDF16_Li16ELi128ELi256ELb0ELi14EL8MFMAType1EEvPKT_PKT0_S8_ifPKiSA_SA_iPKfiiiPfSD_PS3_PT2_iSC_SC_@rel32@lo+4
	s_addc_u32 s5, s5, __PRETTY_FUNCTION__._Z39paged_attention_ll4mi_QKV_mfma16_kernelIDF16_hLN4vllm18Fp8KVCacheDataTypeE1EDF16_Li16ELi128ELi256ELb0ELi14EL8MFMAType1EEvPKT_PKT0_S8_ifPKiSA_SA_iPKfiiiPfSD_PS3_PT2_iSC_SC_@rel32@hi+12
	v_mov_b32_e32 v0, 0x288
	v_mov_b32_e32 v1, s4
	v_mov_b32_e32 v2, s5
	s_barrier
	s_getpc_b64 s[6:7]
	s_add_u32 s6, s6, __assert_fail@rel32@lo+4
	s_addc_u32 s7, s7, __assert_fail@rel32@hi+12
	s_swappc_b64 s[30:31], s[6:7]
	; divergent unreachable
.LBB499_10:
	s_endpgm
.LBB499_11:
	s_mov_b64 s[18:19], 0
	s_branch .LBB499_2
	.section	.rodata,"a",@progbits
	.p2align	6, 0x0
	.amdhsa_kernel _Z39paged_attention_ll4mi_QKV_mfma16_kernelIDF16_hLN4vllm18Fp8KVCacheDataTypeE1EDF16_Li16ELi128ELi256ELb0ELi14EL8MFMAType1EEvPKT_PKT0_S8_ifPKiSA_SA_iPKfiiiPfSD_PS3_PT2_iSC_SC_
		.amdhsa_group_segment_fixed_size 8192
		.amdhsa_private_segment_fixed_size 64
		.amdhsa_kernarg_size 400
		.amdhsa_user_sgpr_count 8
		.amdhsa_user_sgpr_private_segment_buffer 1
		.amdhsa_user_sgpr_dispatch_ptr 0
		.amdhsa_user_sgpr_queue_ptr 0
		.amdhsa_user_sgpr_kernarg_segment_ptr 1
		.amdhsa_user_sgpr_dispatch_id 0
		.amdhsa_user_sgpr_flat_scratch_init 1
		.amdhsa_user_sgpr_kernarg_preload_length 0
		.amdhsa_user_sgpr_kernarg_preload_offset 0
		.amdhsa_user_sgpr_private_segment_size 0
		.amdhsa_uses_dynamic_stack 0
		.amdhsa_system_sgpr_private_segment_wavefront_offset 1
		.amdhsa_system_sgpr_workgroup_id_x 1
		.amdhsa_system_sgpr_workgroup_id_y 1
		.amdhsa_system_sgpr_workgroup_id_z 1
		.amdhsa_system_sgpr_workgroup_info 0
		.amdhsa_system_vgpr_workitem_id 0
		.amdhsa_next_free_vgpr 45
		.amdhsa_next_free_sgpr 34
		.amdhsa_accum_offset 44
		.amdhsa_reserve_vcc 1
		.amdhsa_reserve_flat_scratch 1
		.amdhsa_float_round_mode_32 0
		.amdhsa_float_round_mode_16_64 0
		.amdhsa_float_denorm_mode_32 3
		.amdhsa_float_denorm_mode_16_64 3
		.amdhsa_dx10_clamp 1
		.amdhsa_ieee_mode 1
		.amdhsa_fp16_overflow 0
		.amdhsa_tg_split 0
		.amdhsa_exception_fp_ieee_invalid_op 0
		.amdhsa_exception_fp_denorm_src 0
		.amdhsa_exception_fp_ieee_div_zero 0
		.amdhsa_exception_fp_ieee_overflow 0
		.amdhsa_exception_fp_ieee_underflow 0
		.amdhsa_exception_fp_ieee_inexact 0
		.amdhsa_exception_int_div_zero 0
	.end_amdhsa_kernel
	.section	.text._Z39paged_attention_ll4mi_QKV_mfma16_kernelIDF16_hLN4vllm18Fp8KVCacheDataTypeE1EDF16_Li16ELi128ELi256ELb0ELi14EL8MFMAType1EEvPKT_PKT0_S8_ifPKiSA_SA_iPKfiiiPfSD_PS3_PT2_iSC_SC_,"axG",@progbits,_Z39paged_attention_ll4mi_QKV_mfma16_kernelIDF16_hLN4vllm18Fp8KVCacheDataTypeE1EDF16_Li16ELi128ELi256ELb0ELi14EL8MFMAType1EEvPKT_PKT0_S8_ifPKiSA_SA_iPKfiiiPfSD_PS3_PT2_iSC_SC_,comdat
.Lfunc_end499:
	.size	_Z39paged_attention_ll4mi_QKV_mfma16_kernelIDF16_hLN4vllm18Fp8KVCacheDataTypeE1EDF16_Li16ELi128ELi256ELb0ELi14EL8MFMAType1EEvPKT_PKT0_S8_ifPKiSA_SA_iPKfiiiPfSD_PS3_PT2_iSC_SC_, .Lfunc_end499-_Z39paged_attention_ll4mi_QKV_mfma16_kernelIDF16_hLN4vllm18Fp8KVCacheDataTypeE1EDF16_Li16ELi128ELi256ELb0ELi14EL8MFMAType1EEvPKT_PKT0_S8_ifPKiSA_SA_iPKfiiiPfSD_PS3_PT2_iSC_SC_
                                        ; -- End function
	.section	.AMDGPU.csdata,"",@progbits
; Kernel info:
; codeLenInByte = 492
; NumSgprs: 40
; NumVgprs: 42
; NumAgprs: 1
; TotalNumVgprs: 45
; ScratchSize: 64
; MemoryBound: 0
; FloatMode: 240
; IeeeMode: 1
; LDSByteSize: 8192 bytes/workgroup (compile time only)
; SGPRBlocks: 4
; VGPRBlocks: 5
; NumSGPRsForWavesPerEU: 40
; NumVGPRsForWavesPerEU: 45
; AccumOffset: 44
; Occupancy: 8
; WaveLimiterHint : 1
; COMPUTE_PGM_RSRC2:SCRATCH_EN: 1
; COMPUTE_PGM_RSRC2:USER_SGPR: 8
; COMPUTE_PGM_RSRC2:TRAP_HANDLER: 0
; COMPUTE_PGM_RSRC2:TGID_X_EN: 1
; COMPUTE_PGM_RSRC2:TGID_Y_EN: 1
; COMPUTE_PGM_RSRC2:TGID_Z_EN: 1
; COMPUTE_PGM_RSRC2:TIDIG_COMP_CNT: 0
; COMPUTE_PGM_RSRC3_GFX90A:ACCUM_OFFSET: 10
; COMPUTE_PGM_RSRC3_GFX90A:TG_SPLIT: 0
	.section	.text._Z39paged_attention_ll4mi_QKV_mfma16_kernelIDF16_hLN4vllm18Fp8KVCacheDataTypeE1EDF16_Li16ELi128ELi256ELb0ELi15EL8MFMAType1EEvPKT_PKT0_S8_ifPKiSA_SA_iPKfiiiPfSD_PS3_PT2_iSC_SC_,"axG",@progbits,_Z39paged_attention_ll4mi_QKV_mfma16_kernelIDF16_hLN4vllm18Fp8KVCacheDataTypeE1EDF16_Li16ELi128ELi256ELb0ELi15EL8MFMAType1EEvPKT_PKT0_S8_ifPKiSA_SA_iPKfiiiPfSD_PS3_PT2_iSC_SC_,comdat
	.protected	_Z39paged_attention_ll4mi_QKV_mfma16_kernelIDF16_hLN4vllm18Fp8KVCacheDataTypeE1EDF16_Li16ELi128ELi256ELb0ELi15EL8MFMAType1EEvPKT_PKT0_S8_ifPKiSA_SA_iPKfiiiPfSD_PS3_PT2_iSC_SC_ ; -- Begin function _Z39paged_attention_ll4mi_QKV_mfma16_kernelIDF16_hLN4vllm18Fp8KVCacheDataTypeE1EDF16_Li16ELi128ELi256ELb0ELi15EL8MFMAType1EEvPKT_PKT0_S8_ifPKiSA_SA_iPKfiiiPfSD_PS3_PT2_iSC_SC_
	.globl	_Z39paged_attention_ll4mi_QKV_mfma16_kernelIDF16_hLN4vllm18Fp8KVCacheDataTypeE1EDF16_Li16ELi128ELi256ELb0ELi15EL8MFMAType1EEvPKT_PKT0_S8_ifPKiSA_SA_iPKfiiiPfSD_PS3_PT2_iSC_SC_
	.p2align	8
	.type	_Z39paged_attention_ll4mi_QKV_mfma16_kernelIDF16_hLN4vllm18Fp8KVCacheDataTypeE1EDF16_Li16ELi128ELi256ELb0ELi15EL8MFMAType1EEvPKT_PKT0_S8_ifPKiSA_SA_iPKfiiiPfSD_PS3_PT2_iSC_SC_,@function
_Z39paged_attention_ll4mi_QKV_mfma16_kernelIDF16_hLN4vllm18Fp8KVCacheDataTypeE1EDF16_Li16ELi128ELi256ELb0ELi15EL8MFMAType1EEvPKT_PKT0_S8_ifPKiSA_SA_iPKfiiiPfSD_PS3_PT2_iSC_SC_: ; @_Z39paged_attention_ll4mi_QKV_mfma16_kernelIDF16_hLN4vllm18Fp8KVCacheDataTypeE1EDF16_Li16ELi128ELi256ELb0ELi15EL8MFMAType1EEvPKT_PKT0_S8_ifPKiSA_SA_iPKfiiiPfSD_PS3_PT2_iSC_SC_
; %bb.0:
	s_load_dwordx2 s[12:13], s[4:5], 0x30
	s_add_u32 flat_scratch_lo, s6, s11
	s_addc_u32 flat_scratch_hi, s7, 0
	s_add_u32 s0, s0, s11
	s_addc_u32 s1, s1, 0
	s_waitcnt lgkmcnt(0)
	s_cmp_lg_u64 s[12:13], 0
	s_cselect_b64 s[14:15], -1, 0
	s_mov_b32 s6, s9
	s_mov_b64 s[16:17], 0
	s_and_b64 vcc, exec, s[14:15]
	s_mov_b32 s32, 0
	s_cbranch_vccz .LBB500_11
; %bb.1:
	s_add_i32 s18, s8, 1
	s_mov_b32 s19, 0
	s_lshl_b64 s[20:21], s[18:19], 2
	s_add_u32 s20, s12, s20
	s_mov_b32 s9, s19
	s_addc_u32 s21, s13, s21
	s_lshl_b64 s[18:19], s[8:9], 2
	s_add_u32 s18, s12, s18
	s_addc_u32 s19, s13, s19
	s_load_dword s7, s[20:21], 0x0
	s_load_dword s11, s[18:19], 0x0
	s_waitcnt lgkmcnt(0)
	s_sub_i32 s7, s7, s11
	s_cmp_eq_u32 s7, 1
	s_cselect_b64 s[18:19], -1, 0
	s_andn2_b64 vcc, exec, s[16:17]
	s_cbranch_vccnz .LBB500_3
.LBB500_2:
	s_mov_b32 s9, 0
	s_mov_b64 s[18:19], -1
.LBB500_3:
	s_andn2_b64 vcc, exec, s[18:19]
	s_cbranch_vccnz .LBB500_10
; %bb.4:
	s_load_dwordx2 s[18:19], s[4:5], 0x28
	s_lshl_b64 s[16:17], s[8:9], 2
	s_waitcnt lgkmcnt(0)
	s_add_u32 s18, s18, s16
	s_addc_u32 s19, s19, s17
	s_load_dword s7, s[18:19], 0x0
	s_lshl_b32 s6, s6, 8
	s_waitcnt lgkmcnt(0)
	s_cmp_ge_i32 s6, s7
	s_cbranch_scc1 .LBB500_10
; %bb.5:
	s_andn2_b64 vcc, exec, s[14:15]
	s_cbranch_vccnz .LBB500_7
; %bb.6:
	s_add_u32 s6, s12, s16
	s_addc_u32 s7, s13, s17
	s_load_dword s8, s[6:7], 0x0
.LBB500_7:
	s_movk_i32 s6, 0xf0
	v_cmp_gt_u32_e32 vcc, s6, v0
	s_and_saveexec_b64 s[6:7], vcc
	s_cbranch_execz .LBB500_9
; %bb.8:
	s_load_dword s11, s[4:5], 0x48
	s_load_dwordx2 s[12:13], s[4:5], 0x0
	v_lshrrev_b32_e32 v1, 4, v0
	s_mul_i32 s10, s10, 15
	v_add_lshl_u32 v2, v1, s10, 7
	s_waitcnt lgkmcnt(0)
	s_ashr_i32 s9, s11, 31
	s_mul_hi_u32 s14, s8, s11
	s_mul_i32 s9, s8, s9
	s_add_i32 s9, s14, s9
	s_mul_i32 s8, s8, s11
	s_lshl_b64 s[8:9], s[8:9], 1
	s_add_u32 s8, s12, s8
	v_ashrrev_i32_e32 v3, 31, v2
	s_addc_u32 s9, s13, s9
	v_lshlrev_b64 v[2:3], 1, v[2:3]
	v_and_b32_e32 v4, 15, v0
	v_mov_b32_e32 v5, s9
	v_add_co_u32_e32 v2, vcc, s8, v2
	v_addc_co_u32_e32 v3, vcc, v5, v3, vcc
	v_lshlrev_b32_e32 v4, 4, v4
	v_add_co_u32_e32 v2, vcc, v2, v4
	v_addc_co_u32_e32 v3, vcc, 0, v3, vcc
	global_load_dwordx4 v[2:5], v[2:3], off
	v_lshlrev_b32_e32 v6, 4, v0
	v_lshlrev_b32_e32 v0, 8, v0
	v_and_b32_e32 v6, 16, v6
	v_lshlrev_b32_e32 v1, 5, v1
	v_and_b32_e32 v0, 0xe00, v0
	v_or3_b32 v0, v0, v1, v6
	s_waitcnt vmcnt(0)
	ds_write_b128 v0, v[2:5]
.LBB500_9:
	s_or_b64 exec, exec, s[6:7]
	s_waitcnt lgkmcnt(0)
	s_add_u32 s8, s4, 0x90
	s_addc_u32 s9, s5, 0
	s_getpc_b64 s[4:5]
	s_add_u32 s4, s4, __PRETTY_FUNCTION__._Z39paged_attention_ll4mi_QKV_mfma16_kernelIDF16_hLN4vllm18Fp8KVCacheDataTypeE1EDF16_Li16ELi128ELi256ELb0ELi15EL8MFMAType1EEvPKT_PKT0_S8_ifPKiSA_SA_iPKfiiiPfSD_PS3_PT2_iSC_SC_@rel32@lo+4
	s_addc_u32 s5, s5, __PRETTY_FUNCTION__._Z39paged_attention_ll4mi_QKV_mfma16_kernelIDF16_hLN4vllm18Fp8KVCacheDataTypeE1EDF16_Li16ELi128ELi256ELb0ELi15EL8MFMAType1EEvPKT_PKT0_S8_ifPKiSA_SA_iPKfiiiPfSD_PS3_PT2_iSC_SC_@rel32@hi+12
	v_mov_b32_e32 v0, 0x288
	v_mov_b32_e32 v1, s4
	;; [unrolled: 1-line block ×3, first 2 shown]
	s_barrier
	s_getpc_b64 s[6:7]
	s_add_u32 s6, s6, __assert_fail@rel32@lo+4
	s_addc_u32 s7, s7, __assert_fail@rel32@hi+12
	s_swappc_b64 s[30:31], s[6:7]
	; divergent unreachable
.LBB500_10:
	s_endpgm
.LBB500_11:
	s_mov_b64 s[18:19], 0
	s_branch .LBB500_2
	.section	.rodata,"a",@progbits
	.p2align	6, 0x0
	.amdhsa_kernel _Z39paged_attention_ll4mi_QKV_mfma16_kernelIDF16_hLN4vllm18Fp8KVCacheDataTypeE1EDF16_Li16ELi128ELi256ELb0ELi15EL8MFMAType1EEvPKT_PKT0_S8_ifPKiSA_SA_iPKfiiiPfSD_PS3_PT2_iSC_SC_
		.amdhsa_group_segment_fixed_size 8192
		.amdhsa_private_segment_fixed_size 64
		.amdhsa_kernarg_size 400
		.amdhsa_user_sgpr_count 8
		.amdhsa_user_sgpr_private_segment_buffer 1
		.amdhsa_user_sgpr_dispatch_ptr 0
		.amdhsa_user_sgpr_queue_ptr 0
		.amdhsa_user_sgpr_kernarg_segment_ptr 1
		.amdhsa_user_sgpr_dispatch_id 0
		.amdhsa_user_sgpr_flat_scratch_init 1
		.amdhsa_user_sgpr_kernarg_preload_length 0
		.amdhsa_user_sgpr_kernarg_preload_offset 0
		.amdhsa_user_sgpr_private_segment_size 0
		.amdhsa_uses_dynamic_stack 0
		.amdhsa_system_sgpr_private_segment_wavefront_offset 1
		.amdhsa_system_sgpr_workgroup_id_x 1
		.amdhsa_system_sgpr_workgroup_id_y 1
		.amdhsa_system_sgpr_workgroup_id_z 1
		.amdhsa_system_sgpr_workgroup_info 0
		.amdhsa_system_vgpr_workitem_id 0
		.amdhsa_next_free_vgpr 45
		.amdhsa_next_free_sgpr 34
		.amdhsa_accum_offset 44
		.amdhsa_reserve_vcc 1
		.amdhsa_reserve_flat_scratch 1
		.amdhsa_float_round_mode_32 0
		.amdhsa_float_round_mode_16_64 0
		.amdhsa_float_denorm_mode_32 3
		.amdhsa_float_denorm_mode_16_64 3
		.amdhsa_dx10_clamp 1
		.amdhsa_ieee_mode 1
		.amdhsa_fp16_overflow 0
		.amdhsa_tg_split 0
		.amdhsa_exception_fp_ieee_invalid_op 0
		.amdhsa_exception_fp_denorm_src 0
		.amdhsa_exception_fp_ieee_div_zero 0
		.amdhsa_exception_fp_ieee_overflow 0
		.amdhsa_exception_fp_ieee_underflow 0
		.amdhsa_exception_fp_ieee_inexact 0
		.amdhsa_exception_int_div_zero 0
	.end_amdhsa_kernel
	.section	.text._Z39paged_attention_ll4mi_QKV_mfma16_kernelIDF16_hLN4vllm18Fp8KVCacheDataTypeE1EDF16_Li16ELi128ELi256ELb0ELi15EL8MFMAType1EEvPKT_PKT0_S8_ifPKiSA_SA_iPKfiiiPfSD_PS3_PT2_iSC_SC_,"axG",@progbits,_Z39paged_attention_ll4mi_QKV_mfma16_kernelIDF16_hLN4vllm18Fp8KVCacheDataTypeE1EDF16_Li16ELi128ELi256ELb0ELi15EL8MFMAType1EEvPKT_PKT0_S8_ifPKiSA_SA_iPKfiiiPfSD_PS3_PT2_iSC_SC_,comdat
.Lfunc_end500:
	.size	_Z39paged_attention_ll4mi_QKV_mfma16_kernelIDF16_hLN4vllm18Fp8KVCacheDataTypeE1EDF16_Li16ELi128ELi256ELb0ELi15EL8MFMAType1EEvPKT_PKT0_S8_ifPKiSA_SA_iPKfiiiPfSD_PS3_PT2_iSC_SC_, .Lfunc_end500-_Z39paged_attention_ll4mi_QKV_mfma16_kernelIDF16_hLN4vllm18Fp8KVCacheDataTypeE1EDF16_Li16ELi128ELi256ELb0ELi15EL8MFMAType1EEvPKT_PKT0_S8_ifPKiSA_SA_iPKfiiiPfSD_PS3_PT2_iSC_SC_
                                        ; -- End function
	.section	.AMDGPU.csdata,"",@progbits
; Kernel info:
; codeLenInByte = 492
; NumSgprs: 40
; NumVgprs: 42
; NumAgprs: 1
; TotalNumVgprs: 45
; ScratchSize: 64
; MemoryBound: 0
; FloatMode: 240
; IeeeMode: 1
; LDSByteSize: 8192 bytes/workgroup (compile time only)
; SGPRBlocks: 4
; VGPRBlocks: 5
; NumSGPRsForWavesPerEU: 40
; NumVGPRsForWavesPerEU: 45
; AccumOffset: 44
; Occupancy: 8
; WaveLimiterHint : 1
; COMPUTE_PGM_RSRC2:SCRATCH_EN: 1
; COMPUTE_PGM_RSRC2:USER_SGPR: 8
; COMPUTE_PGM_RSRC2:TRAP_HANDLER: 0
; COMPUTE_PGM_RSRC2:TGID_X_EN: 1
; COMPUTE_PGM_RSRC2:TGID_Y_EN: 1
; COMPUTE_PGM_RSRC2:TGID_Z_EN: 1
; COMPUTE_PGM_RSRC2:TIDIG_COMP_CNT: 0
; COMPUTE_PGM_RSRC3_GFX90A:ACCUM_OFFSET: 10
; COMPUTE_PGM_RSRC3_GFX90A:TG_SPLIT: 0
	.section	.text._Z39paged_attention_ll4mi_QKV_mfma16_kernelIDF16_hLN4vllm18Fp8KVCacheDataTypeE1EDF16_Li16ELi128ELi256ELb0ELi16EL8MFMAType1EEvPKT_PKT0_S8_ifPKiSA_SA_iPKfiiiPfSD_PS3_PT2_iSC_SC_,"axG",@progbits,_Z39paged_attention_ll4mi_QKV_mfma16_kernelIDF16_hLN4vllm18Fp8KVCacheDataTypeE1EDF16_Li16ELi128ELi256ELb0ELi16EL8MFMAType1EEvPKT_PKT0_S8_ifPKiSA_SA_iPKfiiiPfSD_PS3_PT2_iSC_SC_,comdat
	.protected	_Z39paged_attention_ll4mi_QKV_mfma16_kernelIDF16_hLN4vllm18Fp8KVCacheDataTypeE1EDF16_Li16ELi128ELi256ELb0ELi16EL8MFMAType1EEvPKT_PKT0_S8_ifPKiSA_SA_iPKfiiiPfSD_PS3_PT2_iSC_SC_ ; -- Begin function _Z39paged_attention_ll4mi_QKV_mfma16_kernelIDF16_hLN4vllm18Fp8KVCacheDataTypeE1EDF16_Li16ELi128ELi256ELb0ELi16EL8MFMAType1EEvPKT_PKT0_S8_ifPKiSA_SA_iPKfiiiPfSD_PS3_PT2_iSC_SC_
	.globl	_Z39paged_attention_ll4mi_QKV_mfma16_kernelIDF16_hLN4vllm18Fp8KVCacheDataTypeE1EDF16_Li16ELi128ELi256ELb0ELi16EL8MFMAType1EEvPKT_PKT0_S8_ifPKiSA_SA_iPKfiiiPfSD_PS3_PT2_iSC_SC_
	.p2align	8
	.type	_Z39paged_attention_ll4mi_QKV_mfma16_kernelIDF16_hLN4vllm18Fp8KVCacheDataTypeE1EDF16_Li16ELi128ELi256ELb0ELi16EL8MFMAType1EEvPKT_PKT0_S8_ifPKiSA_SA_iPKfiiiPfSD_PS3_PT2_iSC_SC_,@function
_Z39paged_attention_ll4mi_QKV_mfma16_kernelIDF16_hLN4vllm18Fp8KVCacheDataTypeE1EDF16_Li16ELi128ELi256ELb0ELi16EL8MFMAType1EEvPKT_PKT0_S8_ifPKiSA_SA_iPKfiiiPfSD_PS3_PT2_iSC_SC_: ; @_Z39paged_attention_ll4mi_QKV_mfma16_kernelIDF16_hLN4vllm18Fp8KVCacheDataTypeE1EDF16_Li16ELi128ELi256ELb0ELi16EL8MFMAType1EEvPKT_PKT0_S8_ifPKiSA_SA_iPKfiiiPfSD_PS3_PT2_iSC_SC_
; %bb.0:
	s_load_dwordx2 s[12:13], s[4:5], 0x30
	s_add_u32 flat_scratch_lo, s6, s11
	s_addc_u32 flat_scratch_hi, s7, 0
	s_add_u32 s0, s0, s11
	s_addc_u32 s1, s1, 0
	s_waitcnt lgkmcnt(0)
	s_cmp_lg_u64 s[12:13], 0
	s_cselect_b64 s[14:15], -1, 0
	s_mov_b32 s6, s9
	s_mov_b64 s[16:17], 0
	s_and_b64 vcc, exec, s[14:15]
	s_mov_b32 s32, 0
	s_cbranch_vccz .LBB501_11
; %bb.1:
	s_add_i32 s18, s8, 1
	s_mov_b32 s19, 0
	s_lshl_b64 s[20:21], s[18:19], 2
	s_add_u32 s20, s12, s20
	s_mov_b32 s9, s19
	s_addc_u32 s21, s13, s21
	s_lshl_b64 s[18:19], s[8:9], 2
	s_add_u32 s18, s12, s18
	s_addc_u32 s19, s13, s19
	s_load_dword s7, s[20:21], 0x0
	s_load_dword s11, s[18:19], 0x0
	s_waitcnt lgkmcnt(0)
	s_sub_i32 s7, s7, s11
	s_cmp_eq_u32 s7, 1
	s_cselect_b64 s[18:19], -1, 0
	s_andn2_b64 vcc, exec, s[16:17]
	s_cbranch_vccnz .LBB501_3
.LBB501_2:
	s_mov_b32 s9, 0
	s_mov_b64 s[18:19], -1
.LBB501_3:
	s_andn2_b64 vcc, exec, s[18:19]
	s_cbranch_vccnz .LBB501_10
; %bb.4:
	s_load_dwordx2 s[18:19], s[4:5], 0x28
	s_lshl_b64 s[16:17], s[8:9], 2
	s_waitcnt lgkmcnt(0)
	s_add_u32 s18, s18, s16
	s_addc_u32 s19, s19, s17
	s_load_dword s7, s[18:19], 0x0
	s_lshl_b32 s6, s6, 8
	s_waitcnt lgkmcnt(0)
	s_cmp_ge_i32 s6, s7
	s_cbranch_scc1 .LBB501_10
; %bb.5:
	s_andn2_b64 vcc, exec, s[14:15]
	s_cbranch_vccnz .LBB501_7
; %bb.6:
	s_add_u32 s6, s12, s16
	s_addc_u32 s7, s13, s17
	s_load_dword s8, s[6:7], 0x0
.LBB501_7:
	s_movk_i32 s6, 0x100
	v_cmp_gt_u32_e32 vcc, s6, v0
	s_and_saveexec_b64 s[6:7], vcc
	s_cbranch_execz .LBB501_9
; %bb.8:
	s_load_dword s11, s[4:5], 0x48
	s_load_dwordx2 s[12:13], s[4:5], 0x0
	v_lshrrev_b32_e32 v6, 4, v0
	v_and_b32_e32 v1, 15, v0
	v_lshlrev_b32_e32 v1, 4, v1
	s_waitcnt lgkmcnt(0)
	s_ashr_i32 s9, s11, 31
	s_mul_hi_u32 s14, s8, s11
	s_mul_i32 s9, s8, s9
	s_add_i32 s9, s14, s9
	s_mul_i32 s8, s8, s11
	s_lshl_b64 s[8:9], s[8:9], 1
	s_add_u32 s8, s12, s8
	s_addc_u32 s9, s13, s9
	s_lshl_b32 s10, s10, 11
	v_lshl_or_b32 v2, v6, 7, s10
	v_ashrrev_i32_e32 v3, 31, v2
	v_lshlrev_b64 v[2:3], 1, v[2:3]
	v_mov_b32_e32 v4, s9
	v_add_co_u32_e32 v2, vcc, s8, v2
	v_addc_co_u32_e32 v3, vcc, v4, v3, vcc
	v_add_co_u32_e32 v2, vcc, v2, v1
	v_addc_co_u32_e32 v3, vcc, 0, v3, vcc
	global_load_dwordx4 v[2:5], v[2:3], off
	v_lshlrev_b32_e32 v1, 4, v0
	v_lshlrev_b32_e32 v0, 8, v0
	v_and_b32_e32 v1, 16, v1
	v_lshlrev_b32_e32 v6, 5, v6
	v_and_b32_e32 v0, 0xe00, v0
	v_or3_b32 v0, v0, v6, v1
	s_waitcnt vmcnt(0)
	ds_write_b128 v0, v[2:5]
.LBB501_9:
	s_or_b64 exec, exec, s[6:7]
	s_waitcnt lgkmcnt(0)
	s_add_u32 s8, s4, 0x90
	s_addc_u32 s9, s5, 0
	s_getpc_b64 s[4:5]
	s_add_u32 s4, s4, __PRETTY_FUNCTION__._Z39paged_attention_ll4mi_QKV_mfma16_kernelIDF16_hLN4vllm18Fp8KVCacheDataTypeE1EDF16_Li16ELi128ELi256ELb0ELi16EL8MFMAType1EEvPKT_PKT0_S8_ifPKiSA_SA_iPKfiiiPfSD_PS3_PT2_iSC_SC_@rel32@lo+4
	s_addc_u32 s5, s5, __PRETTY_FUNCTION__._Z39paged_attention_ll4mi_QKV_mfma16_kernelIDF16_hLN4vllm18Fp8KVCacheDataTypeE1EDF16_Li16ELi128ELi256ELb0ELi16EL8MFMAType1EEvPKT_PKT0_S8_ifPKiSA_SA_iPKfiiiPfSD_PS3_PT2_iSC_SC_@rel32@hi+12
	v_mov_b32_e32 v0, 0x288
	v_mov_b32_e32 v1, s4
	v_mov_b32_e32 v2, s5
	s_barrier
	s_getpc_b64 s[6:7]
	s_add_u32 s6, s6, __assert_fail@rel32@lo+4
	s_addc_u32 s7, s7, __assert_fail@rel32@hi+12
	s_swappc_b64 s[30:31], s[6:7]
	; divergent unreachable
.LBB501_10:
	s_endpgm
.LBB501_11:
	s_mov_b64 s[18:19], 0
	s_branch .LBB501_2
	.section	.rodata,"a",@progbits
	.p2align	6, 0x0
	.amdhsa_kernel _Z39paged_attention_ll4mi_QKV_mfma16_kernelIDF16_hLN4vllm18Fp8KVCacheDataTypeE1EDF16_Li16ELi128ELi256ELb0ELi16EL8MFMAType1EEvPKT_PKT0_S8_ifPKiSA_SA_iPKfiiiPfSD_PS3_PT2_iSC_SC_
		.amdhsa_group_segment_fixed_size 8192
		.amdhsa_private_segment_fixed_size 64
		.amdhsa_kernarg_size 400
		.amdhsa_user_sgpr_count 8
		.amdhsa_user_sgpr_private_segment_buffer 1
		.amdhsa_user_sgpr_dispatch_ptr 0
		.amdhsa_user_sgpr_queue_ptr 0
		.amdhsa_user_sgpr_kernarg_segment_ptr 1
		.amdhsa_user_sgpr_dispatch_id 0
		.amdhsa_user_sgpr_flat_scratch_init 1
		.amdhsa_user_sgpr_kernarg_preload_length 0
		.amdhsa_user_sgpr_kernarg_preload_offset 0
		.amdhsa_user_sgpr_private_segment_size 0
		.amdhsa_uses_dynamic_stack 0
		.amdhsa_system_sgpr_private_segment_wavefront_offset 1
		.amdhsa_system_sgpr_workgroup_id_x 1
		.amdhsa_system_sgpr_workgroup_id_y 1
		.amdhsa_system_sgpr_workgroup_id_z 1
		.amdhsa_system_sgpr_workgroup_info 0
		.amdhsa_system_vgpr_workitem_id 0
		.amdhsa_next_free_vgpr 45
		.amdhsa_next_free_sgpr 34
		.amdhsa_accum_offset 44
		.amdhsa_reserve_vcc 1
		.amdhsa_reserve_flat_scratch 1
		.amdhsa_float_round_mode_32 0
		.amdhsa_float_round_mode_16_64 0
		.amdhsa_float_denorm_mode_32 3
		.amdhsa_float_denorm_mode_16_64 3
		.amdhsa_dx10_clamp 1
		.amdhsa_ieee_mode 1
		.amdhsa_fp16_overflow 0
		.amdhsa_tg_split 0
		.amdhsa_exception_fp_ieee_invalid_op 0
		.amdhsa_exception_fp_denorm_src 0
		.amdhsa_exception_fp_ieee_div_zero 0
		.amdhsa_exception_fp_ieee_overflow 0
		.amdhsa_exception_fp_ieee_underflow 0
		.amdhsa_exception_fp_ieee_inexact 0
		.amdhsa_exception_int_div_zero 0
	.end_amdhsa_kernel
	.section	.text._Z39paged_attention_ll4mi_QKV_mfma16_kernelIDF16_hLN4vllm18Fp8KVCacheDataTypeE1EDF16_Li16ELi128ELi256ELb0ELi16EL8MFMAType1EEvPKT_PKT0_S8_ifPKiSA_SA_iPKfiiiPfSD_PS3_PT2_iSC_SC_,"axG",@progbits,_Z39paged_attention_ll4mi_QKV_mfma16_kernelIDF16_hLN4vllm18Fp8KVCacheDataTypeE1EDF16_Li16ELi128ELi256ELb0ELi16EL8MFMAType1EEvPKT_PKT0_S8_ifPKiSA_SA_iPKfiiiPfSD_PS3_PT2_iSC_SC_,comdat
.Lfunc_end501:
	.size	_Z39paged_attention_ll4mi_QKV_mfma16_kernelIDF16_hLN4vllm18Fp8KVCacheDataTypeE1EDF16_Li16ELi128ELi256ELb0ELi16EL8MFMAType1EEvPKT_PKT0_S8_ifPKiSA_SA_iPKfiiiPfSD_PS3_PT2_iSC_SC_, .Lfunc_end501-_Z39paged_attention_ll4mi_QKV_mfma16_kernelIDF16_hLN4vllm18Fp8KVCacheDataTypeE1EDF16_Li16ELi128ELi256ELb0ELi16EL8MFMAType1EEvPKT_PKT0_S8_ifPKiSA_SA_iPKfiiiPfSD_PS3_PT2_iSC_SC_
                                        ; -- End function
	.section	.AMDGPU.csdata,"",@progbits
; Kernel info:
; codeLenInByte = 492
; NumSgprs: 40
; NumVgprs: 42
; NumAgprs: 1
; TotalNumVgprs: 45
; ScratchSize: 64
; MemoryBound: 0
; FloatMode: 240
; IeeeMode: 1
; LDSByteSize: 8192 bytes/workgroup (compile time only)
; SGPRBlocks: 4
; VGPRBlocks: 5
; NumSGPRsForWavesPerEU: 40
; NumVGPRsForWavesPerEU: 45
; AccumOffset: 44
; Occupancy: 8
; WaveLimiterHint : 1
; COMPUTE_PGM_RSRC2:SCRATCH_EN: 1
; COMPUTE_PGM_RSRC2:USER_SGPR: 8
; COMPUTE_PGM_RSRC2:TRAP_HANDLER: 0
; COMPUTE_PGM_RSRC2:TGID_X_EN: 1
; COMPUTE_PGM_RSRC2:TGID_Y_EN: 1
; COMPUTE_PGM_RSRC2:TGID_Z_EN: 1
; COMPUTE_PGM_RSRC2:TIDIG_COMP_CNT: 0
; COMPUTE_PGM_RSRC3_GFX90A:ACCUM_OFFSET: 10
; COMPUTE_PGM_RSRC3_GFX90A:TG_SPLIT: 0
	.section	.text._Z39paged_attention_ll4mi_QKV_mfma16_kernelIDF16_hLN4vllm18Fp8KVCacheDataTypeE1EDF16_Li16ELi128ELi256ELb0ELi1EL8MFMAType1EEvPKT_PKT0_S8_ifPKiSA_SA_iPKfiiiPfSD_PS3_PT2_iSC_SC_,"axG",@progbits,_Z39paged_attention_ll4mi_QKV_mfma16_kernelIDF16_hLN4vllm18Fp8KVCacheDataTypeE1EDF16_Li16ELi128ELi256ELb0ELi1EL8MFMAType1EEvPKT_PKT0_S8_ifPKiSA_SA_iPKfiiiPfSD_PS3_PT2_iSC_SC_,comdat
	.protected	_Z39paged_attention_ll4mi_QKV_mfma16_kernelIDF16_hLN4vllm18Fp8KVCacheDataTypeE1EDF16_Li16ELi128ELi256ELb0ELi1EL8MFMAType1EEvPKT_PKT0_S8_ifPKiSA_SA_iPKfiiiPfSD_PS3_PT2_iSC_SC_ ; -- Begin function _Z39paged_attention_ll4mi_QKV_mfma16_kernelIDF16_hLN4vllm18Fp8KVCacheDataTypeE1EDF16_Li16ELi128ELi256ELb0ELi1EL8MFMAType1EEvPKT_PKT0_S8_ifPKiSA_SA_iPKfiiiPfSD_PS3_PT2_iSC_SC_
	.globl	_Z39paged_attention_ll4mi_QKV_mfma16_kernelIDF16_hLN4vllm18Fp8KVCacheDataTypeE1EDF16_Li16ELi128ELi256ELb0ELi1EL8MFMAType1EEvPKT_PKT0_S8_ifPKiSA_SA_iPKfiiiPfSD_PS3_PT2_iSC_SC_
	.p2align	8
	.type	_Z39paged_attention_ll4mi_QKV_mfma16_kernelIDF16_hLN4vllm18Fp8KVCacheDataTypeE1EDF16_Li16ELi128ELi256ELb0ELi1EL8MFMAType1EEvPKT_PKT0_S8_ifPKiSA_SA_iPKfiiiPfSD_PS3_PT2_iSC_SC_,@function
_Z39paged_attention_ll4mi_QKV_mfma16_kernelIDF16_hLN4vllm18Fp8KVCacheDataTypeE1EDF16_Li16ELi128ELi256ELb0ELi1EL8MFMAType1EEvPKT_PKT0_S8_ifPKiSA_SA_iPKfiiiPfSD_PS3_PT2_iSC_SC_: ; @_Z39paged_attention_ll4mi_QKV_mfma16_kernelIDF16_hLN4vllm18Fp8KVCacheDataTypeE1EDF16_Li16ELi128ELi256ELb0ELi1EL8MFMAType1EEvPKT_PKT0_S8_ifPKiSA_SA_iPKfiiiPfSD_PS3_PT2_iSC_SC_
; %bb.0:
	s_load_dwordx2 s[12:13], s[4:5], 0x30
	s_add_u32 flat_scratch_lo, s6, s11
	s_addc_u32 flat_scratch_hi, s7, 0
	s_add_u32 s0, s0, s11
	s_addc_u32 s1, s1, 0
	s_waitcnt lgkmcnt(0)
	s_cmp_lg_u64 s[12:13], 0
	s_cselect_b64 s[14:15], -1, 0
	s_mov_b32 s6, s9
	s_mov_b64 s[16:17], 0
	s_and_b64 vcc, exec, s[14:15]
	s_mov_b32 s32, 0
	s_cbranch_vccz .LBB502_11
; %bb.1:
	s_add_i32 s18, s8, 1
	s_mov_b32 s19, 0
	s_lshl_b64 s[20:21], s[18:19], 2
	s_add_u32 s20, s12, s20
	s_mov_b32 s9, s19
	s_addc_u32 s21, s13, s21
	s_lshl_b64 s[18:19], s[8:9], 2
	s_add_u32 s18, s12, s18
	s_addc_u32 s19, s13, s19
	s_load_dword s7, s[20:21], 0x0
	s_load_dword s11, s[18:19], 0x0
	s_waitcnt lgkmcnt(0)
	s_sub_i32 s7, s7, s11
	s_cmp_eq_u32 s7, 1
	s_cselect_b64 s[18:19], -1, 0
	s_andn2_b64 vcc, exec, s[16:17]
	s_cbranch_vccnz .LBB502_3
.LBB502_2:
	s_mov_b32 s9, 0
	s_mov_b64 s[18:19], -1
.LBB502_3:
	s_andn2_b64 vcc, exec, s[18:19]
	s_cbranch_vccnz .LBB502_10
; %bb.4:
	s_load_dwordx2 s[18:19], s[4:5], 0x28
	s_lshl_b64 s[16:17], s[8:9], 2
	s_waitcnt lgkmcnt(0)
	s_add_u32 s18, s18, s16
	s_addc_u32 s19, s19, s17
	s_load_dword s7, s[18:19], 0x0
	s_lshl_b32 s6, s6, 8
	s_waitcnt lgkmcnt(0)
	s_cmp_ge_i32 s6, s7
	s_cbranch_scc1 .LBB502_10
; %bb.5:
	s_andn2_b64 vcc, exec, s[14:15]
	s_cbranch_vccnz .LBB502_7
; %bb.6:
	s_add_u32 s6, s12, s16
	s_addc_u32 s7, s13, s17
	s_load_dword s8, s[6:7], 0x0
.LBB502_7:
	v_cmp_gt_u32_e32 vcc, 16, v0
	s_and_saveexec_b64 s[6:7], vcc
	s_cbranch_execz .LBB502_9
; %bb.8:
	s_load_dword s9, s[4:5], 0x48
	s_load_dwordx2 s[12:13], s[4:5], 0x0
	v_lshlrev_b32_e32 v1, 4, v0
	v_lshlrev_b32_e32 v0, 8, v0
	s_waitcnt lgkmcnt(0)
	s_ashr_i32 s11, s9, 31
	s_mul_hi_u32 s15, s8, s9
	s_mul_i32 s14, s8, s9
	s_mul_i32 s8, s8, s11
	s_add_i32 s15, s15, s8
	s_lshl_b64 s[8:9], s[14:15], 1
	s_add_u32 s11, s12, s8
	s_addc_u32 s12, s13, s9
	s_lshl_b32 s8, s10, 7
	s_ashr_i32 s9, s8, 31
	s_lshl_b64 s[8:9], s[8:9], 1
	s_add_u32 s8, s11, s8
	s_addc_u32 s9, s12, s9
	global_load_dwordx4 v[2:5], v1, s[8:9]
	v_and_b32_e32 v1, 16, v1
	s_mov_b32 s8, 0xfe00
	v_and_or_b32 v0, v0, s8, v1
	s_waitcnt vmcnt(0)
	ds_write_b128 v0, v[2:5]
.LBB502_9:
	s_or_b64 exec, exec, s[6:7]
	s_waitcnt lgkmcnt(0)
	s_add_u32 s8, s4, 0x90
	s_addc_u32 s9, s5, 0
	s_getpc_b64 s[4:5]
	s_add_u32 s4, s4, __PRETTY_FUNCTION__._Z39paged_attention_ll4mi_QKV_mfma16_kernelIDF16_hLN4vllm18Fp8KVCacheDataTypeE1EDF16_Li16ELi128ELi256ELb0ELi1EL8MFMAType1EEvPKT_PKT0_S8_ifPKiSA_SA_iPKfiiiPfSD_PS3_PT2_iSC_SC_@rel32@lo+4
	s_addc_u32 s5, s5, __PRETTY_FUNCTION__._Z39paged_attention_ll4mi_QKV_mfma16_kernelIDF16_hLN4vllm18Fp8KVCacheDataTypeE1EDF16_Li16ELi128ELi256ELb0ELi1EL8MFMAType1EEvPKT_PKT0_S8_ifPKiSA_SA_iPKfiiiPfSD_PS3_PT2_iSC_SC_@rel32@hi+12
	v_mov_b32_e32 v0, 0x288
	v_mov_b32_e32 v1, s4
	;; [unrolled: 1-line block ×3, first 2 shown]
	s_barrier
	s_getpc_b64 s[6:7]
	s_add_u32 s6, s6, __assert_fail@rel32@lo+4
	s_addc_u32 s7, s7, __assert_fail@rel32@hi+12
	s_swappc_b64 s[30:31], s[6:7]
	; divergent unreachable
.LBB502_10:
	s_endpgm
.LBB502_11:
	s_mov_b64 s[18:19], 0
	s_branch .LBB502_2
	.section	.rodata,"a",@progbits
	.p2align	6, 0x0
	.amdhsa_kernel _Z39paged_attention_ll4mi_QKV_mfma16_kernelIDF16_hLN4vllm18Fp8KVCacheDataTypeE1EDF16_Li16ELi128ELi256ELb0ELi1EL8MFMAType1EEvPKT_PKT0_S8_ifPKiSA_SA_iPKfiiiPfSD_PS3_PT2_iSC_SC_
		.amdhsa_group_segment_fixed_size 8192
		.amdhsa_private_segment_fixed_size 64
		.amdhsa_kernarg_size 400
		.amdhsa_user_sgpr_count 8
		.amdhsa_user_sgpr_private_segment_buffer 1
		.amdhsa_user_sgpr_dispatch_ptr 0
		.amdhsa_user_sgpr_queue_ptr 0
		.amdhsa_user_sgpr_kernarg_segment_ptr 1
		.amdhsa_user_sgpr_dispatch_id 0
		.amdhsa_user_sgpr_flat_scratch_init 1
		.amdhsa_user_sgpr_kernarg_preload_length 0
		.amdhsa_user_sgpr_kernarg_preload_offset 0
		.amdhsa_user_sgpr_private_segment_size 0
		.amdhsa_uses_dynamic_stack 0
		.amdhsa_system_sgpr_private_segment_wavefront_offset 1
		.amdhsa_system_sgpr_workgroup_id_x 1
		.amdhsa_system_sgpr_workgroup_id_y 1
		.amdhsa_system_sgpr_workgroup_id_z 1
		.amdhsa_system_sgpr_workgroup_info 0
		.amdhsa_system_vgpr_workitem_id 0
		.amdhsa_next_free_vgpr 45
		.amdhsa_next_free_sgpr 34
		.amdhsa_accum_offset 44
		.amdhsa_reserve_vcc 1
		.amdhsa_reserve_flat_scratch 1
		.amdhsa_float_round_mode_32 0
		.amdhsa_float_round_mode_16_64 0
		.amdhsa_float_denorm_mode_32 3
		.amdhsa_float_denorm_mode_16_64 3
		.amdhsa_dx10_clamp 1
		.amdhsa_ieee_mode 1
		.amdhsa_fp16_overflow 0
		.amdhsa_tg_split 0
		.amdhsa_exception_fp_ieee_invalid_op 0
		.amdhsa_exception_fp_denorm_src 0
		.amdhsa_exception_fp_ieee_div_zero 0
		.amdhsa_exception_fp_ieee_overflow 0
		.amdhsa_exception_fp_ieee_underflow 0
		.amdhsa_exception_fp_ieee_inexact 0
		.amdhsa_exception_int_div_zero 0
	.end_amdhsa_kernel
	.section	.text._Z39paged_attention_ll4mi_QKV_mfma16_kernelIDF16_hLN4vllm18Fp8KVCacheDataTypeE1EDF16_Li16ELi128ELi256ELb0ELi1EL8MFMAType1EEvPKT_PKT0_S8_ifPKiSA_SA_iPKfiiiPfSD_PS3_PT2_iSC_SC_,"axG",@progbits,_Z39paged_attention_ll4mi_QKV_mfma16_kernelIDF16_hLN4vllm18Fp8KVCacheDataTypeE1EDF16_Li16ELi128ELi256ELb0ELi1EL8MFMAType1EEvPKT_PKT0_S8_ifPKiSA_SA_iPKfiiiPfSD_PS3_PT2_iSC_SC_,comdat
.Lfunc_end502:
	.size	_Z39paged_attention_ll4mi_QKV_mfma16_kernelIDF16_hLN4vllm18Fp8KVCacheDataTypeE1EDF16_Li16ELi128ELi256ELb0ELi1EL8MFMAType1EEvPKT_PKT0_S8_ifPKiSA_SA_iPKfiiiPfSD_PS3_PT2_iSC_SC_, .Lfunc_end502-_Z39paged_attention_ll4mi_QKV_mfma16_kernelIDF16_hLN4vllm18Fp8KVCacheDataTypeE1EDF16_Li16ELi128ELi256ELb0ELi1EL8MFMAType1EEvPKT_PKT0_S8_ifPKiSA_SA_iPKfiiiPfSD_PS3_PT2_iSC_SC_
                                        ; -- End function
	.section	.AMDGPU.csdata,"",@progbits
; Kernel info:
; codeLenInByte = 448
; NumSgprs: 40
; NumVgprs: 42
; NumAgprs: 1
; TotalNumVgprs: 45
; ScratchSize: 64
; MemoryBound: 0
; FloatMode: 240
; IeeeMode: 1
; LDSByteSize: 8192 bytes/workgroup (compile time only)
; SGPRBlocks: 4
; VGPRBlocks: 5
; NumSGPRsForWavesPerEU: 40
; NumVGPRsForWavesPerEU: 45
; AccumOffset: 44
; Occupancy: 8
; WaveLimiterHint : 1
; COMPUTE_PGM_RSRC2:SCRATCH_EN: 1
; COMPUTE_PGM_RSRC2:USER_SGPR: 8
; COMPUTE_PGM_RSRC2:TRAP_HANDLER: 0
; COMPUTE_PGM_RSRC2:TGID_X_EN: 1
; COMPUTE_PGM_RSRC2:TGID_Y_EN: 1
; COMPUTE_PGM_RSRC2:TGID_Z_EN: 1
; COMPUTE_PGM_RSRC2:TIDIG_COMP_CNT: 0
; COMPUTE_PGM_RSRC3_GFX90A:ACCUM_OFFSET: 10
; COMPUTE_PGM_RSRC3_GFX90A:TG_SPLIT: 0
	.section	.text._Z39paged_attention_ll4mi_QKV_mfma16_kernelIDF16_hLN4vllm18Fp8KVCacheDataTypeE1EDF16_Li16ELi128ELi256ELb0ELi2EL8MFMAType1EEvPKT_PKT0_S8_ifPKiSA_SA_iPKfiiiPfSD_PS3_PT2_iSC_SC_,"axG",@progbits,_Z39paged_attention_ll4mi_QKV_mfma16_kernelIDF16_hLN4vllm18Fp8KVCacheDataTypeE1EDF16_Li16ELi128ELi256ELb0ELi2EL8MFMAType1EEvPKT_PKT0_S8_ifPKiSA_SA_iPKfiiiPfSD_PS3_PT2_iSC_SC_,comdat
	.protected	_Z39paged_attention_ll4mi_QKV_mfma16_kernelIDF16_hLN4vllm18Fp8KVCacheDataTypeE1EDF16_Li16ELi128ELi256ELb0ELi2EL8MFMAType1EEvPKT_PKT0_S8_ifPKiSA_SA_iPKfiiiPfSD_PS3_PT2_iSC_SC_ ; -- Begin function _Z39paged_attention_ll4mi_QKV_mfma16_kernelIDF16_hLN4vllm18Fp8KVCacheDataTypeE1EDF16_Li16ELi128ELi256ELb0ELi2EL8MFMAType1EEvPKT_PKT0_S8_ifPKiSA_SA_iPKfiiiPfSD_PS3_PT2_iSC_SC_
	.globl	_Z39paged_attention_ll4mi_QKV_mfma16_kernelIDF16_hLN4vllm18Fp8KVCacheDataTypeE1EDF16_Li16ELi128ELi256ELb0ELi2EL8MFMAType1EEvPKT_PKT0_S8_ifPKiSA_SA_iPKfiiiPfSD_PS3_PT2_iSC_SC_
	.p2align	8
	.type	_Z39paged_attention_ll4mi_QKV_mfma16_kernelIDF16_hLN4vllm18Fp8KVCacheDataTypeE1EDF16_Li16ELi128ELi256ELb0ELi2EL8MFMAType1EEvPKT_PKT0_S8_ifPKiSA_SA_iPKfiiiPfSD_PS3_PT2_iSC_SC_,@function
_Z39paged_attention_ll4mi_QKV_mfma16_kernelIDF16_hLN4vllm18Fp8KVCacheDataTypeE1EDF16_Li16ELi128ELi256ELb0ELi2EL8MFMAType1EEvPKT_PKT0_S8_ifPKiSA_SA_iPKfiiiPfSD_PS3_PT2_iSC_SC_: ; @_Z39paged_attention_ll4mi_QKV_mfma16_kernelIDF16_hLN4vllm18Fp8KVCacheDataTypeE1EDF16_Li16ELi128ELi256ELb0ELi2EL8MFMAType1EEvPKT_PKT0_S8_ifPKiSA_SA_iPKfiiiPfSD_PS3_PT2_iSC_SC_
; %bb.0:
	s_load_dwordx2 s[12:13], s[4:5], 0x30
	s_add_u32 flat_scratch_lo, s6, s11
	s_addc_u32 flat_scratch_hi, s7, 0
	s_add_u32 s0, s0, s11
	s_addc_u32 s1, s1, 0
	s_waitcnt lgkmcnt(0)
	s_cmp_lg_u64 s[12:13], 0
	s_cselect_b64 s[14:15], -1, 0
	s_mov_b32 s6, s9
	s_mov_b64 s[16:17], 0
	s_and_b64 vcc, exec, s[14:15]
	s_mov_b32 s32, 0
	s_cbranch_vccz .LBB503_11
; %bb.1:
	s_add_i32 s18, s8, 1
	s_mov_b32 s19, 0
	s_lshl_b64 s[20:21], s[18:19], 2
	s_add_u32 s20, s12, s20
	s_mov_b32 s9, s19
	s_addc_u32 s21, s13, s21
	s_lshl_b64 s[18:19], s[8:9], 2
	s_add_u32 s18, s12, s18
	s_addc_u32 s19, s13, s19
	s_load_dword s7, s[20:21], 0x0
	s_load_dword s11, s[18:19], 0x0
	s_waitcnt lgkmcnt(0)
	s_sub_i32 s7, s7, s11
	s_cmp_eq_u32 s7, 1
	s_cselect_b64 s[18:19], -1, 0
	s_andn2_b64 vcc, exec, s[16:17]
	s_cbranch_vccnz .LBB503_3
.LBB503_2:
	s_mov_b32 s9, 0
	s_mov_b64 s[18:19], -1
.LBB503_3:
	s_andn2_b64 vcc, exec, s[18:19]
	s_cbranch_vccnz .LBB503_10
; %bb.4:
	s_load_dwordx2 s[18:19], s[4:5], 0x28
	s_lshl_b64 s[16:17], s[8:9], 2
	s_waitcnt lgkmcnt(0)
	s_add_u32 s18, s18, s16
	s_addc_u32 s19, s19, s17
	s_load_dword s7, s[18:19], 0x0
	s_lshl_b32 s6, s6, 8
	s_waitcnt lgkmcnt(0)
	s_cmp_ge_i32 s6, s7
	s_cbranch_scc1 .LBB503_10
; %bb.5:
	s_andn2_b64 vcc, exec, s[14:15]
	s_cbranch_vccnz .LBB503_7
; %bb.6:
	s_add_u32 s6, s12, s16
	s_addc_u32 s7, s13, s17
	s_load_dword s8, s[6:7], 0x0
.LBB503_7:
	v_cmp_gt_u32_e32 vcc, 32, v0
	s_and_saveexec_b64 s[6:7], vcc
	s_cbranch_execz .LBB503_9
; %bb.8:
	s_load_dword s11, s[4:5], 0x48
	s_load_dwordx2 s[12:13], s[4:5], 0x0
	v_lshrrev_b32_e32 v6, 4, v0
	v_and_b32_e32 v1, 15, v0
	v_lshlrev_b32_e32 v1, 4, v1
	s_waitcnt lgkmcnt(0)
	s_ashr_i32 s9, s11, 31
	s_mul_hi_u32 s14, s8, s11
	s_mul_i32 s9, s8, s9
	s_add_i32 s9, s14, s9
	s_mul_i32 s8, s8, s11
	s_lshl_b64 s[8:9], s[8:9], 1
	s_add_u32 s8, s12, s8
	s_addc_u32 s9, s13, s9
	s_lshl_b32 s10, s10, 8
	v_lshl_or_b32 v2, v6, 7, s10
	v_ashrrev_i32_e32 v3, 31, v2
	v_lshlrev_b64 v[2:3], 1, v[2:3]
	v_mov_b32_e32 v4, s9
	v_add_co_u32_e32 v2, vcc, s8, v2
	v_addc_co_u32_e32 v3, vcc, v4, v3, vcc
	v_add_co_u32_e32 v2, vcc, v2, v1
	v_addc_co_u32_e32 v3, vcc, 0, v3, vcc
	global_load_dwordx4 v[2:5], v[2:3], off
	v_lshlrev_b32_e32 v1, 4, v0
	v_lshlrev_b32_e32 v0, 8, v0
	v_and_b32_e32 v1, 16, v1
	v_lshlrev_b32_e32 v6, 5, v6
	v_and_b32_e32 v0, 0xe00, v0
	v_or3_b32 v0, v0, v6, v1
	s_waitcnt vmcnt(0)
	ds_write_b128 v0, v[2:5]
.LBB503_9:
	s_or_b64 exec, exec, s[6:7]
	s_waitcnt lgkmcnt(0)
	s_add_u32 s8, s4, 0x90
	s_addc_u32 s9, s5, 0
	s_getpc_b64 s[4:5]
	s_add_u32 s4, s4, __PRETTY_FUNCTION__._Z39paged_attention_ll4mi_QKV_mfma16_kernelIDF16_hLN4vllm18Fp8KVCacheDataTypeE1EDF16_Li16ELi128ELi256ELb0ELi2EL8MFMAType1EEvPKT_PKT0_S8_ifPKiSA_SA_iPKfiiiPfSD_PS3_PT2_iSC_SC_@rel32@lo+4
	s_addc_u32 s5, s5, __PRETTY_FUNCTION__._Z39paged_attention_ll4mi_QKV_mfma16_kernelIDF16_hLN4vllm18Fp8KVCacheDataTypeE1EDF16_Li16ELi128ELi256ELb0ELi2EL8MFMAType1EEvPKT_PKT0_S8_ifPKiSA_SA_iPKfiiiPfSD_PS3_PT2_iSC_SC_@rel32@hi+12
	v_mov_b32_e32 v0, 0x288
	v_mov_b32_e32 v1, s4
	v_mov_b32_e32 v2, s5
	s_barrier
	s_getpc_b64 s[6:7]
	s_add_u32 s6, s6, __assert_fail@rel32@lo+4
	s_addc_u32 s7, s7, __assert_fail@rel32@hi+12
	s_swappc_b64 s[30:31], s[6:7]
	; divergent unreachable
.LBB503_10:
	s_endpgm
.LBB503_11:
	s_mov_b64 s[18:19], 0
	s_branch .LBB503_2
	.section	.rodata,"a",@progbits
	.p2align	6, 0x0
	.amdhsa_kernel _Z39paged_attention_ll4mi_QKV_mfma16_kernelIDF16_hLN4vllm18Fp8KVCacheDataTypeE1EDF16_Li16ELi128ELi256ELb0ELi2EL8MFMAType1EEvPKT_PKT0_S8_ifPKiSA_SA_iPKfiiiPfSD_PS3_PT2_iSC_SC_
		.amdhsa_group_segment_fixed_size 8192
		.amdhsa_private_segment_fixed_size 64
		.amdhsa_kernarg_size 400
		.amdhsa_user_sgpr_count 8
		.amdhsa_user_sgpr_private_segment_buffer 1
		.amdhsa_user_sgpr_dispatch_ptr 0
		.amdhsa_user_sgpr_queue_ptr 0
		.amdhsa_user_sgpr_kernarg_segment_ptr 1
		.amdhsa_user_sgpr_dispatch_id 0
		.amdhsa_user_sgpr_flat_scratch_init 1
		.amdhsa_user_sgpr_kernarg_preload_length 0
		.amdhsa_user_sgpr_kernarg_preload_offset 0
		.amdhsa_user_sgpr_private_segment_size 0
		.amdhsa_uses_dynamic_stack 0
		.amdhsa_system_sgpr_private_segment_wavefront_offset 1
		.amdhsa_system_sgpr_workgroup_id_x 1
		.amdhsa_system_sgpr_workgroup_id_y 1
		.amdhsa_system_sgpr_workgroup_id_z 1
		.amdhsa_system_sgpr_workgroup_info 0
		.amdhsa_system_vgpr_workitem_id 0
		.amdhsa_next_free_vgpr 45
		.amdhsa_next_free_sgpr 34
		.amdhsa_accum_offset 44
		.amdhsa_reserve_vcc 1
		.amdhsa_reserve_flat_scratch 1
		.amdhsa_float_round_mode_32 0
		.amdhsa_float_round_mode_16_64 0
		.amdhsa_float_denorm_mode_32 3
		.amdhsa_float_denorm_mode_16_64 3
		.amdhsa_dx10_clamp 1
		.amdhsa_ieee_mode 1
		.amdhsa_fp16_overflow 0
		.amdhsa_tg_split 0
		.amdhsa_exception_fp_ieee_invalid_op 0
		.amdhsa_exception_fp_denorm_src 0
		.amdhsa_exception_fp_ieee_div_zero 0
		.amdhsa_exception_fp_ieee_overflow 0
		.amdhsa_exception_fp_ieee_underflow 0
		.amdhsa_exception_fp_ieee_inexact 0
		.amdhsa_exception_int_div_zero 0
	.end_amdhsa_kernel
	.section	.text._Z39paged_attention_ll4mi_QKV_mfma16_kernelIDF16_hLN4vllm18Fp8KVCacheDataTypeE1EDF16_Li16ELi128ELi256ELb0ELi2EL8MFMAType1EEvPKT_PKT0_S8_ifPKiSA_SA_iPKfiiiPfSD_PS3_PT2_iSC_SC_,"axG",@progbits,_Z39paged_attention_ll4mi_QKV_mfma16_kernelIDF16_hLN4vllm18Fp8KVCacheDataTypeE1EDF16_Li16ELi128ELi256ELb0ELi2EL8MFMAType1EEvPKT_PKT0_S8_ifPKiSA_SA_iPKfiiiPfSD_PS3_PT2_iSC_SC_,comdat
.Lfunc_end503:
	.size	_Z39paged_attention_ll4mi_QKV_mfma16_kernelIDF16_hLN4vllm18Fp8KVCacheDataTypeE1EDF16_Li16ELi128ELi256ELb0ELi2EL8MFMAType1EEvPKT_PKT0_S8_ifPKiSA_SA_iPKfiiiPfSD_PS3_PT2_iSC_SC_, .Lfunc_end503-_Z39paged_attention_ll4mi_QKV_mfma16_kernelIDF16_hLN4vllm18Fp8KVCacheDataTypeE1EDF16_Li16ELi128ELi256ELb0ELi2EL8MFMAType1EEvPKT_PKT0_S8_ifPKiSA_SA_iPKfiiiPfSD_PS3_PT2_iSC_SC_
                                        ; -- End function
	.section	.AMDGPU.csdata,"",@progbits
; Kernel info:
; codeLenInByte = 488
; NumSgprs: 40
; NumVgprs: 42
; NumAgprs: 1
; TotalNumVgprs: 45
; ScratchSize: 64
; MemoryBound: 0
; FloatMode: 240
; IeeeMode: 1
; LDSByteSize: 8192 bytes/workgroup (compile time only)
; SGPRBlocks: 4
; VGPRBlocks: 5
; NumSGPRsForWavesPerEU: 40
; NumVGPRsForWavesPerEU: 45
; AccumOffset: 44
; Occupancy: 8
; WaveLimiterHint : 1
; COMPUTE_PGM_RSRC2:SCRATCH_EN: 1
; COMPUTE_PGM_RSRC2:USER_SGPR: 8
; COMPUTE_PGM_RSRC2:TRAP_HANDLER: 0
; COMPUTE_PGM_RSRC2:TGID_X_EN: 1
; COMPUTE_PGM_RSRC2:TGID_Y_EN: 1
; COMPUTE_PGM_RSRC2:TGID_Z_EN: 1
; COMPUTE_PGM_RSRC2:TIDIG_COMP_CNT: 0
; COMPUTE_PGM_RSRC3_GFX90A:ACCUM_OFFSET: 10
; COMPUTE_PGM_RSRC3_GFX90A:TG_SPLIT: 0
	.section	.text._Z39paged_attention_ll4mi_QKV_mfma16_kernelIDF16_hLN4vllm18Fp8KVCacheDataTypeE1EDF16_Li16ELi128ELi256ELb0ELi3EL8MFMAType1EEvPKT_PKT0_S8_ifPKiSA_SA_iPKfiiiPfSD_PS3_PT2_iSC_SC_,"axG",@progbits,_Z39paged_attention_ll4mi_QKV_mfma16_kernelIDF16_hLN4vllm18Fp8KVCacheDataTypeE1EDF16_Li16ELi128ELi256ELb0ELi3EL8MFMAType1EEvPKT_PKT0_S8_ifPKiSA_SA_iPKfiiiPfSD_PS3_PT2_iSC_SC_,comdat
	.protected	_Z39paged_attention_ll4mi_QKV_mfma16_kernelIDF16_hLN4vllm18Fp8KVCacheDataTypeE1EDF16_Li16ELi128ELi256ELb0ELi3EL8MFMAType1EEvPKT_PKT0_S8_ifPKiSA_SA_iPKfiiiPfSD_PS3_PT2_iSC_SC_ ; -- Begin function _Z39paged_attention_ll4mi_QKV_mfma16_kernelIDF16_hLN4vllm18Fp8KVCacheDataTypeE1EDF16_Li16ELi128ELi256ELb0ELi3EL8MFMAType1EEvPKT_PKT0_S8_ifPKiSA_SA_iPKfiiiPfSD_PS3_PT2_iSC_SC_
	.globl	_Z39paged_attention_ll4mi_QKV_mfma16_kernelIDF16_hLN4vllm18Fp8KVCacheDataTypeE1EDF16_Li16ELi128ELi256ELb0ELi3EL8MFMAType1EEvPKT_PKT0_S8_ifPKiSA_SA_iPKfiiiPfSD_PS3_PT2_iSC_SC_
	.p2align	8
	.type	_Z39paged_attention_ll4mi_QKV_mfma16_kernelIDF16_hLN4vllm18Fp8KVCacheDataTypeE1EDF16_Li16ELi128ELi256ELb0ELi3EL8MFMAType1EEvPKT_PKT0_S8_ifPKiSA_SA_iPKfiiiPfSD_PS3_PT2_iSC_SC_,@function
_Z39paged_attention_ll4mi_QKV_mfma16_kernelIDF16_hLN4vllm18Fp8KVCacheDataTypeE1EDF16_Li16ELi128ELi256ELb0ELi3EL8MFMAType1EEvPKT_PKT0_S8_ifPKiSA_SA_iPKfiiiPfSD_PS3_PT2_iSC_SC_: ; @_Z39paged_attention_ll4mi_QKV_mfma16_kernelIDF16_hLN4vllm18Fp8KVCacheDataTypeE1EDF16_Li16ELi128ELi256ELb0ELi3EL8MFMAType1EEvPKT_PKT0_S8_ifPKiSA_SA_iPKfiiiPfSD_PS3_PT2_iSC_SC_
; %bb.0:
	s_load_dwordx2 s[12:13], s[4:5], 0x30
	s_add_u32 flat_scratch_lo, s6, s11
	s_addc_u32 flat_scratch_hi, s7, 0
	s_add_u32 s0, s0, s11
	s_addc_u32 s1, s1, 0
	s_waitcnt lgkmcnt(0)
	s_cmp_lg_u64 s[12:13], 0
	s_cselect_b64 s[14:15], -1, 0
	s_mov_b32 s6, s9
	s_mov_b64 s[16:17], 0
	s_and_b64 vcc, exec, s[14:15]
	s_mov_b32 s32, 0
	s_cbranch_vccz .LBB504_11
; %bb.1:
	s_add_i32 s18, s8, 1
	s_mov_b32 s19, 0
	s_lshl_b64 s[20:21], s[18:19], 2
	s_add_u32 s20, s12, s20
	s_mov_b32 s9, s19
	s_addc_u32 s21, s13, s21
	s_lshl_b64 s[18:19], s[8:9], 2
	s_add_u32 s18, s12, s18
	s_addc_u32 s19, s13, s19
	s_load_dword s7, s[20:21], 0x0
	s_load_dword s11, s[18:19], 0x0
	s_waitcnt lgkmcnt(0)
	s_sub_i32 s7, s7, s11
	s_cmp_eq_u32 s7, 1
	s_cselect_b64 s[18:19], -1, 0
	s_andn2_b64 vcc, exec, s[16:17]
	s_cbranch_vccnz .LBB504_3
.LBB504_2:
	s_mov_b32 s9, 0
	s_mov_b64 s[18:19], -1
.LBB504_3:
	s_andn2_b64 vcc, exec, s[18:19]
	s_cbranch_vccnz .LBB504_10
; %bb.4:
	s_load_dwordx2 s[18:19], s[4:5], 0x28
	s_lshl_b64 s[16:17], s[8:9], 2
	s_waitcnt lgkmcnt(0)
	s_add_u32 s18, s18, s16
	s_addc_u32 s19, s19, s17
	s_load_dword s7, s[18:19], 0x0
	s_lshl_b32 s6, s6, 8
	s_waitcnt lgkmcnt(0)
	s_cmp_ge_i32 s6, s7
	s_cbranch_scc1 .LBB504_10
; %bb.5:
	s_andn2_b64 vcc, exec, s[14:15]
	s_cbranch_vccnz .LBB504_7
; %bb.6:
	s_add_u32 s6, s12, s16
	s_addc_u32 s7, s13, s17
	s_load_dword s8, s[6:7], 0x0
.LBB504_7:
	v_cmp_gt_u32_e32 vcc, 48, v0
	s_and_saveexec_b64 s[6:7], vcc
	s_cbranch_execz .LBB504_9
; %bb.8:
	s_load_dword s11, s[4:5], 0x48
	s_load_dwordx2 s[12:13], s[4:5], 0x0
	v_lshrrev_b32_e32 v1, 4, v0
	s_mul_i32 s10, s10, 3
	v_add_lshl_u32 v2, v1, s10, 7
	s_waitcnt lgkmcnt(0)
	s_ashr_i32 s9, s11, 31
	s_mul_hi_u32 s14, s8, s11
	s_mul_i32 s9, s8, s9
	s_add_i32 s9, s14, s9
	s_mul_i32 s8, s8, s11
	s_lshl_b64 s[8:9], s[8:9], 1
	s_add_u32 s8, s12, s8
	v_ashrrev_i32_e32 v3, 31, v2
	s_addc_u32 s9, s13, s9
	v_lshlrev_b64 v[2:3], 1, v[2:3]
	v_and_b32_e32 v4, 15, v0
	v_mov_b32_e32 v5, s9
	v_add_co_u32_e32 v2, vcc, s8, v2
	v_addc_co_u32_e32 v3, vcc, v5, v3, vcc
	v_lshlrev_b32_e32 v4, 4, v4
	v_add_co_u32_e32 v2, vcc, v2, v4
	v_addc_co_u32_e32 v3, vcc, 0, v3, vcc
	global_load_dwordx4 v[2:5], v[2:3], off
	v_lshlrev_b32_e32 v6, 4, v0
	v_lshlrev_b32_e32 v0, 8, v0
	v_and_b32_e32 v6, 16, v6
	v_lshlrev_b32_e32 v1, 5, v1
	v_and_b32_e32 v0, 0xe00, v0
	v_or3_b32 v0, v0, v1, v6
	s_waitcnt vmcnt(0)
	ds_write_b128 v0, v[2:5]
.LBB504_9:
	s_or_b64 exec, exec, s[6:7]
	s_waitcnt lgkmcnt(0)
	s_add_u32 s8, s4, 0x90
	s_addc_u32 s9, s5, 0
	s_getpc_b64 s[4:5]
	s_add_u32 s4, s4, __PRETTY_FUNCTION__._Z39paged_attention_ll4mi_QKV_mfma16_kernelIDF16_hLN4vllm18Fp8KVCacheDataTypeE1EDF16_Li16ELi128ELi256ELb0ELi3EL8MFMAType1EEvPKT_PKT0_S8_ifPKiSA_SA_iPKfiiiPfSD_PS3_PT2_iSC_SC_@rel32@lo+4
	s_addc_u32 s5, s5, __PRETTY_FUNCTION__._Z39paged_attention_ll4mi_QKV_mfma16_kernelIDF16_hLN4vllm18Fp8KVCacheDataTypeE1EDF16_Li16ELi128ELi256ELb0ELi3EL8MFMAType1EEvPKT_PKT0_S8_ifPKiSA_SA_iPKfiiiPfSD_PS3_PT2_iSC_SC_@rel32@hi+12
	v_mov_b32_e32 v0, 0x288
	v_mov_b32_e32 v1, s4
	;; [unrolled: 1-line block ×3, first 2 shown]
	s_barrier
	s_getpc_b64 s[6:7]
	s_add_u32 s6, s6, __assert_fail@rel32@lo+4
	s_addc_u32 s7, s7, __assert_fail@rel32@hi+12
	s_swappc_b64 s[30:31], s[6:7]
	; divergent unreachable
.LBB504_10:
	s_endpgm
.LBB504_11:
	s_mov_b64 s[18:19], 0
	s_branch .LBB504_2
	.section	.rodata,"a",@progbits
	.p2align	6, 0x0
	.amdhsa_kernel _Z39paged_attention_ll4mi_QKV_mfma16_kernelIDF16_hLN4vllm18Fp8KVCacheDataTypeE1EDF16_Li16ELi128ELi256ELb0ELi3EL8MFMAType1EEvPKT_PKT0_S8_ifPKiSA_SA_iPKfiiiPfSD_PS3_PT2_iSC_SC_
		.amdhsa_group_segment_fixed_size 8192
		.amdhsa_private_segment_fixed_size 64
		.amdhsa_kernarg_size 400
		.amdhsa_user_sgpr_count 8
		.amdhsa_user_sgpr_private_segment_buffer 1
		.amdhsa_user_sgpr_dispatch_ptr 0
		.amdhsa_user_sgpr_queue_ptr 0
		.amdhsa_user_sgpr_kernarg_segment_ptr 1
		.amdhsa_user_sgpr_dispatch_id 0
		.amdhsa_user_sgpr_flat_scratch_init 1
		.amdhsa_user_sgpr_kernarg_preload_length 0
		.amdhsa_user_sgpr_kernarg_preload_offset 0
		.amdhsa_user_sgpr_private_segment_size 0
		.amdhsa_uses_dynamic_stack 0
		.amdhsa_system_sgpr_private_segment_wavefront_offset 1
		.amdhsa_system_sgpr_workgroup_id_x 1
		.amdhsa_system_sgpr_workgroup_id_y 1
		.amdhsa_system_sgpr_workgroup_id_z 1
		.amdhsa_system_sgpr_workgroup_info 0
		.amdhsa_system_vgpr_workitem_id 0
		.amdhsa_next_free_vgpr 45
		.amdhsa_next_free_sgpr 34
		.amdhsa_accum_offset 44
		.amdhsa_reserve_vcc 1
		.amdhsa_reserve_flat_scratch 1
		.amdhsa_float_round_mode_32 0
		.amdhsa_float_round_mode_16_64 0
		.amdhsa_float_denorm_mode_32 3
		.amdhsa_float_denorm_mode_16_64 3
		.amdhsa_dx10_clamp 1
		.amdhsa_ieee_mode 1
		.amdhsa_fp16_overflow 0
		.amdhsa_tg_split 0
		.amdhsa_exception_fp_ieee_invalid_op 0
		.amdhsa_exception_fp_denorm_src 0
		.amdhsa_exception_fp_ieee_div_zero 0
		.amdhsa_exception_fp_ieee_overflow 0
		.amdhsa_exception_fp_ieee_underflow 0
		.amdhsa_exception_fp_ieee_inexact 0
		.amdhsa_exception_int_div_zero 0
	.end_amdhsa_kernel
	.section	.text._Z39paged_attention_ll4mi_QKV_mfma16_kernelIDF16_hLN4vllm18Fp8KVCacheDataTypeE1EDF16_Li16ELi128ELi256ELb0ELi3EL8MFMAType1EEvPKT_PKT0_S8_ifPKiSA_SA_iPKfiiiPfSD_PS3_PT2_iSC_SC_,"axG",@progbits,_Z39paged_attention_ll4mi_QKV_mfma16_kernelIDF16_hLN4vllm18Fp8KVCacheDataTypeE1EDF16_Li16ELi128ELi256ELb0ELi3EL8MFMAType1EEvPKT_PKT0_S8_ifPKiSA_SA_iPKfiiiPfSD_PS3_PT2_iSC_SC_,comdat
.Lfunc_end504:
	.size	_Z39paged_attention_ll4mi_QKV_mfma16_kernelIDF16_hLN4vllm18Fp8KVCacheDataTypeE1EDF16_Li16ELi128ELi256ELb0ELi3EL8MFMAType1EEvPKT_PKT0_S8_ifPKiSA_SA_iPKfiiiPfSD_PS3_PT2_iSC_SC_, .Lfunc_end504-_Z39paged_attention_ll4mi_QKV_mfma16_kernelIDF16_hLN4vllm18Fp8KVCacheDataTypeE1EDF16_Li16ELi128ELi256ELb0ELi3EL8MFMAType1EEvPKT_PKT0_S8_ifPKiSA_SA_iPKfiiiPfSD_PS3_PT2_iSC_SC_
                                        ; -- End function
	.section	.AMDGPU.csdata,"",@progbits
; Kernel info:
; codeLenInByte = 488
; NumSgprs: 40
; NumVgprs: 42
; NumAgprs: 1
; TotalNumVgprs: 45
; ScratchSize: 64
; MemoryBound: 0
; FloatMode: 240
; IeeeMode: 1
; LDSByteSize: 8192 bytes/workgroup (compile time only)
; SGPRBlocks: 4
; VGPRBlocks: 5
; NumSGPRsForWavesPerEU: 40
; NumVGPRsForWavesPerEU: 45
; AccumOffset: 44
; Occupancy: 8
; WaveLimiterHint : 1
; COMPUTE_PGM_RSRC2:SCRATCH_EN: 1
; COMPUTE_PGM_RSRC2:USER_SGPR: 8
; COMPUTE_PGM_RSRC2:TRAP_HANDLER: 0
; COMPUTE_PGM_RSRC2:TGID_X_EN: 1
; COMPUTE_PGM_RSRC2:TGID_Y_EN: 1
; COMPUTE_PGM_RSRC2:TGID_Z_EN: 1
; COMPUTE_PGM_RSRC2:TIDIG_COMP_CNT: 0
; COMPUTE_PGM_RSRC3_GFX90A:ACCUM_OFFSET: 10
; COMPUTE_PGM_RSRC3_GFX90A:TG_SPLIT: 0
	.section	.text._Z39paged_attention_ll4mi_QKV_mfma16_kernelIDF16_hLN4vllm18Fp8KVCacheDataTypeE1EDF16_Li16ELi128ELi256ELb0ELi4EL8MFMAType1EEvPKT_PKT0_S8_ifPKiSA_SA_iPKfiiiPfSD_PS3_PT2_iSC_SC_,"axG",@progbits,_Z39paged_attention_ll4mi_QKV_mfma16_kernelIDF16_hLN4vllm18Fp8KVCacheDataTypeE1EDF16_Li16ELi128ELi256ELb0ELi4EL8MFMAType1EEvPKT_PKT0_S8_ifPKiSA_SA_iPKfiiiPfSD_PS3_PT2_iSC_SC_,comdat
	.protected	_Z39paged_attention_ll4mi_QKV_mfma16_kernelIDF16_hLN4vllm18Fp8KVCacheDataTypeE1EDF16_Li16ELi128ELi256ELb0ELi4EL8MFMAType1EEvPKT_PKT0_S8_ifPKiSA_SA_iPKfiiiPfSD_PS3_PT2_iSC_SC_ ; -- Begin function _Z39paged_attention_ll4mi_QKV_mfma16_kernelIDF16_hLN4vllm18Fp8KVCacheDataTypeE1EDF16_Li16ELi128ELi256ELb0ELi4EL8MFMAType1EEvPKT_PKT0_S8_ifPKiSA_SA_iPKfiiiPfSD_PS3_PT2_iSC_SC_
	.globl	_Z39paged_attention_ll4mi_QKV_mfma16_kernelIDF16_hLN4vllm18Fp8KVCacheDataTypeE1EDF16_Li16ELi128ELi256ELb0ELi4EL8MFMAType1EEvPKT_PKT0_S8_ifPKiSA_SA_iPKfiiiPfSD_PS3_PT2_iSC_SC_
	.p2align	8
	.type	_Z39paged_attention_ll4mi_QKV_mfma16_kernelIDF16_hLN4vllm18Fp8KVCacheDataTypeE1EDF16_Li16ELi128ELi256ELb0ELi4EL8MFMAType1EEvPKT_PKT0_S8_ifPKiSA_SA_iPKfiiiPfSD_PS3_PT2_iSC_SC_,@function
_Z39paged_attention_ll4mi_QKV_mfma16_kernelIDF16_hLN4vllm18Fp8KVCacheDataTypeE1EDF16_Li16ELi128ELi256ELb0ELi4EL8MFMAType1EEvPKT_PKT0_S8_ifPKiSA_SA_iPKfiiiPfSD_PS3_PT2_iSC_SC_: ; @_Z39paged_attention_ll4mi_QKV_mfma16_kernelIDF16_hLN4vllm18Fp8KVCacheDataTypeE1EDF16_Li16ELi128ELi256ELb0ELi4EL8MFMAType1EEvPKT_PKT0_S8_ifPKiSA_SA_iPKfiiiPfSD_PS3_PT2_iSC_SC_
; %bb.0:
	s_load_dwordx2 s[12:13], s[4:5], 0x30
	s_add_u32 flat_scratch_lo, s6, s11
	s_addc_u32 flat_scratch_hi, s7, 0
	s_add_u32 s0, s0, s11
	s_addc_u32 s1, s1, 0
	s_waitcnt lgkmcnt(0)
	s_cmp_lg_u64 s[12:13], 0
	s_cselect_b64 s[14:15], -1, 0
	s_mov_b32 s6, s9
	s_mov_b64 s[16:17], 0
	s_and_b64 vcc, exec, s[14:15]
	s_mov_b32 s32, 0
	s_cbranch_vccz .LBB505_11
; %bb.1:
	s_add_i32 s18, s8, 1
	s_mov_b32 s19, 0
	s_lshl_b64 s[20:21], s[18:19], 2
	s_add_u32 s20, s12, s20
	s_mov_b32 s9, s19
	s_addc_u32 s21, s13, s21
	s_lshl_b64 s[18:19], s[8:9], 2
	s_add_u32 s18, s12, s18
	s_addc_u32 s19, s13, s19
	s_load_dword s7, s[20:21], 0x0
	s_load_dword s11, s[18:19], 0x0
	s_waitcnt lgkmcnt(0)
	s_sub_i32 s7, s7, s11
	s_cmp_eq_u32 s7, 1
	s_cselect_b64 s[18:19], -1, 0
	s_andn2_b64 vcc, exec, s[16:17]
	s_cbranch_vccnz .LBB505_3
.LBB505_2:
	s_mov_b32 s9, 0
	s_mov_b64 s[18:19], -1
.LBB505_3:
	s_andn2_b64 vcc, exec, s[18:19]
	s_cbranch_vccnz .LBB505_10
; %bb.4:
	s_load_dwordx2 s[18:19], s[4:5], 0x28
	s_lshl_b64 s[16:17], s[8:9], 2
	s_waitcnt lgkmcnt(0)
	s_add_u32 s18, s18, s16
	s_addc_u32 s19, s19, s17
	s_load_dword s7, s[18:19], 0x0
	s_lshl_b32 s6, s6, 8
	s_waitcnt lgkmcnt(0)
	s_cmp_ge_i32 s6, s7
	s_cbranch_scc1 .LBB505_10
; %bb.5:
	s_andn2_b64 vcc, exec, s[14:15]
	s_cbranch_vccnz .LBB505_7
; %bb.6:
	s_add_u32 s6, s12, s16
	s_addc_u32 s7, s13, s17
	s_load_dword s8, s[6:7], 0x0
.LBB505_7:
	v_cmp_gt_u32_e32 vcc, 64, v0
	s_and_saveexec_b64 s[6:7], vcc
	s_cbranch_execz .LBB505_9
; %bb.8:
	s_load_dword s11, s[4:5], 0x48
	s_load_dwordx2 s[12:13], s[4:5], 0x0
	v_lshrrev_b32_e32 v6, 4, v0
	v_and_b32_e32 v1, 15, v0
	v_lshlrev_b32_e32 v1, 4, v1
	s_waitcnt lgkmcnt(0)
	s_ashr_i32 s9, s11, 31
	s_mul_hi_u32 s14, s8, s11
	s_mul_i32 s9, s8, s9
	s_add_i32 s9, s14, s9
	s_mul_i32 s8, s8, s11
	s_lshl_b64 s[8:9], s[8:9], 1
	s_add_u32 s8, s12, s8
	s_addc_u32 s9, s13, s9
	s_lshl_b32 s10, s10, 9
	v_lshl_or_b32 v2, v6, 7, s10
	v_ashrrev_i32_e32 v3, 31, v2
	v_lshlrev_b64 v[2:3], 1, v[2:3]
	v_mov_b32_e32 v4, s9
	v_add_co_u32_e32 v2, vcc, s8, v2
	v_addc_co_u32_e32 v3, vcc, v4, v3, vcc
	v_add_co_u32_e32 v2, vcc, v2, v1
	v_addc_co_u32_e32 v3, vcc, 0, v3, vcc
	global_load_dwordx4 v[2:5], v[2:3], off
	v_lshlrev_b32_e32 v1, 4, v0
	v_lshlrev_b32_e32 v0, 8, v0
	v_and_b32_e32 v1, 16, v1
	v_lshlrev_b32_e32 v6, 5, v6
	v_and_b32_e32 v0, 0xe00, v0
	v_or3_b32 v0, v0, v6, v1
	s_waitcnt vmcnt(0)
	ds_write_b128 v0, v[2:5]
.LBB505_9:
	s_or_b64 exec, exec, s[6:7]
	s_waitcnt lgkmcnt(0)
	s_add_u32 s8, s4, 0x90
	s_addc_u32 s9, s5, 0
	s_getpc_b64 s[4:5]
	s_add_u32 s4, s4, __PRETTY_FUNCTION__._Z39paged_attention_ll4mi_QKV_mfma16_kernelIDF16_hLN4vllm18Fp8KVCacheDataTypeE1EDF16_Li16ELi128ELi256ELb0ELi4EL8MFMAType1EEvPKT_PKT0_S8_ifPKiSA_SA_iPKfiiiPfSD_PS3_PT2_iSC_SC_@rel32@lo+4
	s_addc_u32 s5, s5, __PRETTY_FUNCTION__._Z39paged_attention_ll4mi_QKV_mfma16_kernelIDF16_hLN4vllm18Fp8KVCacheDataTypeE1EDF16_Li16ELi128ELi256ELb0ELi4EL8MFMAType1EEvPKT_PKT0_S8_ifPKiSA_SA_iPKfiiiPfSD_PS3_PT2_iSC_SC_@rel32@hi+12
	v_mov_b32_e32 v0, 0x288
	v_mov_b32_e32 v1, s4
	;; [unrolled: 1-line block ×3, first 2 shown]
	s_barrier
	s_getpc_b64 s[6:7]
	s_add_u32 s6, s6, __assert_fail@rel32@lo+4
	s_addc_u32 s7, s7, __assert_fail@rel32@hi+12
	s_swappc_b64 s[30:31], s[6:7]
	; divergent unreachable
.LBB505_10:
	s_endpgm
.LBB505_11:
	s_mov_b64 s[18:19], 0
	s_branch .LBB505_2
	.section	.rodata,"a",@progbits
	.p2align	6, 0x0
	.amdhsa_kernel _Z39paged_attention_ll4mi_QKV_mfma16_kernelIDF16_hLN4vllm18Fp8KVCacheDataTypeE1EDF16_Li16ELi128ELi256ELb0ELi4EL8MFMAType1EEvPKT_PKT0_S8_ifPKiSA_SA_iPKfiiiPfSD_PS3_PT2_iSC_SC_
		.amdhsa_group_segment_fixed_size 8192
		.amdhsa_private_segment_fixed_size 64
		.amdhsa_kernarg_size 400
		.amdhsa_user_sgpr_count 8
		.amdhsa_user_sgpr_private_segment_buffer 1
		.amdhsa_user_sgpr_dispatch_ptr 0
		.amdhsa_user_sgpr_queue_ptr 0
		.amdhsa_user_sgpr_kernarg_segment_ptr 1
		.amdhsa_user_sgpr_dispatch_id 0
		.amdhsa_user_sgpr_flat_scratch_init 1
		.amdhsa_user_sgpr_kernarg_preload_length 0
		.amdhsa_user_sgpr_kernarg_preload_offset 0
		.amdhsa_user_sgpr_private_segment_size 0
		.amdhsa_uses_dynamic_stack 0
		.amdhsa_system_sgpr_private_segment_wavefront_offset 1
		.amdhsa_system_sgpr_workgroup_id_x 1
		.amdhsa_system_sgpr_workgroup_id_y 1
		.amdhsa_system_sgpr_workgroup_id_z 1
		.amdhsa_system_sgpr_workgroup_info 0
		.amdhsa_system_vgpr_workitem_id 0
		.amdhsa_next_free_vgpr 45
		.amdhsa_next_free_sgpr 34
		.amdhsa_accum_offset 44
		.amdhsa_reserve_vcc 1
		.amdhsa_reserve_flat_scratch 1
		.amdhsa_float_round_mode_32 0
		.amdhsa_float_round_mode_16_64 0
		.amdhsa_float_denorm_mode_32 3
		.amdhsa_float_denorm_mode_16_64 3
		.amdhsa_dx10_clamp 1
		.amdhsa_ieee_mode 1
		.amdhsa_fp16_overflow 0
		.amdhsa_tg_split 0
		.amdhsa_exception_fp_ieee_invalid_op 0
		.amdhsa_exception_fp_denorm_src 0
		.amdhsa_exception_fp_ieee_div_zero 0
		.amdhsa_exception_fp_ieee_overflow 0
		.amdhsa_exception_fp_ieee_underflow 0
		.amdhsa_exception_fp_ieee_inexact 0
		.amdhsa_exception_int_div_zero 0
	.end_amdhsa_kernel
	.section	.text._Z39paged_attention_ll4mi_QKV_mfma16_kernelIDF16_hLN4vllm18Fp8KVCacheDataTypeE1EDF16_Li16ELi128ELi256ELb0ELi4EL8MFMAType1EEvPKT_PKT0_S8_ifPKiSA_SA_iPKfiiiPfSD_PS3_PT2_iSC_SC_,"axG",@progbits,_Z39paged_attention_ll4mi_QKV_mfma16_kernelIDF16_hLN4vllm18Fp8KVCacheDataTypeE1EDF16_Li16ELi128ELi256ELb0ELi4EL8MFMAType1EEvPKT_PKT0_S8_ifPKiSA_SA_iPKfiiiPfSD_PS3_PT2_iSC_SC_,comdat
.Lfunc_end505:
	.size	_Z39paged_attention_ll4mi_QKV_mfma16_kernelIDF16_hLN4vllm18Fp8KVCacheDataTypeE1EDF16_Li16ELi128ELi256ELb0ELi4EL8MFMAType1EEvPKT_PKT0_S8_ifPKiSA_SA_iPKfiiiPfSD_PS3_PT2_iSC_SC_, .Lfunc_end505-_Z39paged_attention_ll4mi_QKV_mfma16_kernelIDF16_hLN4vllm18Fp8KVCacheDataTypeE1EDF16_Li16ELi128ELi256ELb0ELi4EL8MFMAType1EEvPKT_PKT0_S8_ifPKiSA_SA_iPKfiiiPfSD_PS3_PT2_iSC_SC_
                                        ; -- End function
	.section	.AMDGPU.csdata,"",@progbits
; Kernel info:
; codeLenInByte = 488
; NumSgprs: 40
; NumVgprs: 42
; NumAgprs: 1
; TotalNumVgprs: 45
; ScratchSize: 64
; MemoryBound: 0
; FloatMode: 240
; IeeeMode: 1
; LDSByteSize: 8192 bytes/workgroup (compile time only)
; SGPRBlocks: 4
; VGPRBlocks: 5
; NumSGPRsForWavesPerEU: 40
; NumVGPRsForWavesPerEU: 45
; AccumOffset: 44
; Occupancy: 8
; WaveLimiterHint : 1
; COMPUTE_PGM_RSRC2:SCRATCH_EN: 1
; COMPUTE_PGM_RSRC2:USER_SGPR: 8
; COMPUTE_PGM_RSRC2:TRAP_HANDLER: 0
; COMPUTE_PGM_RSRC2:TGID_X_EN: 1
; COMPUTE_PGM_RSRC2:TGID_Y_EN: 1
; COMPUTE_PGM_RSRC2:TGID_Z_EN: 1
; COMPUTE_PGM_RSRC2:TIDIG_COMP_CNT: 0
; COMPUTE_PGM_RSRC3_GFX90A:ACCUM_OFFSET: 10
; COMPUTE_PGM_RSRC3_GFX90A:TG_SPLIT: 0
	.section	.text._Z38paged_attention_ll4mi_QKV_mfma4_kernelIDF16_hLN4vllm18Fp8KVCacheDataTypeE1EDF16_Li32ELi128ELi256ELb1ELi1EEvPKT_PKT0_S7_ifPKiS9_S9_iPKfiiiPfSC_PS2_PT2_iSB_SB_,"axG",@progbits,_Z38paged_attention_ll4mi_QKV_mfma4_kernelIDF16_hLN4vllm18Fp8KVCacheDataTypeE1EDF16_Li32ELi128ELi256ELb1ELi1EEvPKT_PKT0_S7_ifPKiS9_S9_iPKfiiiPfSC_PS2_PT2_iSB_SB_,comdat
	.protected	_Z38paged_attention_ll4mi_QKV_mfma4_kernelIDF16_hLN4vllm18Fp8KVCacheDataTypeE1EDF16_Li32ELi128ELi256ELb1ELi1EEvPKT_PKT0_S7_ifPKiS9_S9_iPKfiiiPfSC_PS2_PT2_iSB_SB_ ; -- Begin function _Z38paged_attention_ll4mi_QKV_mfma4_kernelIDF16_hLN4vllm18Fp8KVCacheDataTypeE1EDF16_Li32ELi128ELi256ELb1ELi1EEvPKT_PKT0_S7_ifPKiS9_S9_iPKfiiiPfSC_PS2_PT2_iSB_SB_
	.globl	_Z38paged_attention_ll4mi_QKV_mfma4_kernelIDF16_hLN4vllm18Fp8KVCacheDataTypeE1EDF16_Li32ELi128ELi256ELb1ELi1EEvPKT_PKT0_S7_ifPKiS9_S9_iPKfiiiPfSC_PS2_PT2_iSB_SB_
	.p2align	8
	.type	_Z38paged_attention_ll4mi_QKV_mfma4_kernelIDF16_hLN4vllm18Fp8KVCacheDataTypeE1EDF16_Li32ELi128ELi256ELb1ELi1EEvPKT_PKT0_S7_ifPKiS9_S9_iPKfiiiPfSC_PS2_PT2_iSB_SB_,@function
_Z38paged_attention_ll4mi_QKV_mfma4_kernelIDF16_hLN4vllm18Fp8KVCacheDataTypeE1EDF16_Li32ELi128ELi256ELb1ELi1EEvPKT_PKT0_S7_ifPKiS9_S9_iPKfiiiPfSC_PS2_PT2_iSB_SB_: ; @_Z38paged_attention_ll4mi_QKV_mfma4_kernelIDF16_hLN4vllm18Fp8KVCacheDataTypeE1EDF16_Li32ELi128ELi256ELb1ELi1EEvPKT_PKT0_S7_ifPKiS9_S9_iPKfiiiPfSC_PS2_PT2_iSB_SB_
; %bb.0:
	s_load_dwordx2 s[12:13], s[4:5], 0x30
	s_add_u32 s0, s0, s11
	s_addc_u32 s1, s1, 0
	s_mov_b32 s28, s9
	s_mov_b64 s[6:7], 0
	s_waitcnt lgkmcnt(0)
	s_cmp_lg_u64 s[12:13], 0
	s_cselect_b64 s[14:15], -1, 0
	s_and_b64 vcc, exec, s[14:15]
	s_cbranch_vccz .LBB506_10
; %bb.1:
	s_add_i32 s16, s8, 1
	s_mov_b32 s17, 0
	s_lshl_b64 s[18:19], s[16:17], 2
	s_add_u32 s18, s12, s18
	s_mov_b32 s9, s17
	s_addc_u32 s19, s13, s19
	s_lshl_b64 s[16:17], s[8:9], 2
	s_add_u32 s16, s12, s16
	s_addc_u32 s17, s13, s17
	s_load_dword s11, s[18:19], 0x0
	s_load_dword s20, s[16:17], 0x0
	s_waitcnt lgkmcnt(0)
	s_sub_i32 s11, s11, s20
	s_cmp_eq_u32 s11, 1
	s_cselect_b64 s[16:17], -1, 0
	s_andn2_b64 vcc, exec, s[6:7]
	s_cbranch_vccnz .LBB506_3
.LBB506_2:
	s_mov_b32 s9, 0
	s_mov_b64 s[16:17], -1
.LBB506_3:
	s_andn2_b64 vcc, exec, s[16:17]
	s_cbranch_vccnz .LBB506_1180
; %bb.4:
	s_load_dword s11, s[4:5], 0x9c
	s_load_dwordx2 s[6:7], s[4:5], 0x28
	s_add_u32 s34, s4, 0x90
	s_addc_u32 s35, s5, 0
	s_lshl_b64 s[24:25], s[8:9], 2
	s_waitcnt lgkmcnt(0)
	s_and_b32 s11, s11, 0xffff
	s_add_u32 s6, s6, s24
	s_addc_u32 s7, s7, s25
	s_load_dword s9, s[6:7], 0x0
	s_mul_i32 s11, s28, s11
	s_waitcnt lgkmcnt(0)
	s_cmp_ge_i32 s11, s9
	s_cbranch_scc1 .LBB506_1180
; %bb.5:
	v_and_b32_e32 v1, 0xc0, v0
	v_add_u32_e32 v7, s11, v1
	v_lshrrev_b32_e32 v42, 6, v0
	v_cmp_le_i32_e64 s[6:7], s9, v7
                                        ; implicit-def: $sgpr27
                                        ; implicit-def: $sgpr26
	s_and_saveexec_b64 s[16:17], s[6:7]
	s_xor_b64 s[16:17], exec, s[16:17]
	s_cbranch_execz .LBB506_7
; %bb.6:
	v_mul_u32_u24_e32 v1, 20, v42
	v_or_b32_e32 v1, 0x1400, v1
	v_mov_b32_e32 v2, 0x1450
	v_mov_b32_e32 v3, 0xff7fffff
	v_mad_u32_u24 v2, v42, 20, v2
	ds_write2_b32 v1, v3, v3 offset1:1
	v_mov_b32_e32 v1, 0
	ds_write2_b32 v2, v1, v1 offset1:1
	v_mov_b32_e32 v2, 0x1408
	s_mov_b32 s26, 0xff7fffff
	s_mov_b32 s27, 0
	v_mad_u32_u24 v2, v42, 20, v2
	v_mov_b32_e32 v4, 0x1458
	v_mad_u32_u24 v4, v42, 20, v4
	ds_write2_b32 v2, v3, v3 offset1:1
	ds_write2_b32 v4, v1, v1 offset1:1
                                        ; implicit-def: $vgpr7
.LBB506_7:
	s_or_saveexec_b64 s[36:37], s[16:17]
	s_load_dwordx2 s[30:31], s[4:5], 0x68
	s_load_dwordx4 s[20:23], s[4:5], 0x58
	s_load_dword s33, s[34:35], 0x4
	s_load_dwordx4 s[16:19], s[4:5], 0x80
	v_and_b32_e32 v1, 63, v0
	v_and_b32_e32 v43, 3, v0
	v_mov_b32_e32 v5, s27
	v_mov_b32_e32 v6, s26
	;; [unrolled: 1-line block ×5, first 2 shown]
	s_xor_b64 exec, exec, s[36:37]
	s_cbranch_execz .LBB506_787
; %bb.8:
	s_add_i32 s38, s9, 31
	s_load_dwordx2 s[26:27], s[4:5], 0x20
	s_load_dword s29, s[4:5], 0x38
	s_ashr_i32 s39, s38, 31
	s_lshr_b32 s39, s39, 27
	v_add_u32_e32 v44, s11, v0
	s_add_i32 s38, s38, s39
	v_ashrrev_i32_e32 v2, 31, v44
	s_ashr_i32 s38, s38, 5
	v_lshrrev_b32_e32 v2, 27, v2
	s_add_i32 s40, s38, -1
	v_add_u32_e32 v2, v44, v2
	s_waitcnt lgkmcnt(0)
	s_mul_i32 s38, s8, s29
	s_mov_b32 s39, 0
	v_ashrrev_i32_e32 v2, 5, v2
	v_mov_b32_e32 v3, s40
	v_cmp_gt_i32_e32 vcc, s9, v44
	s_lshl_b64 s[38:39], s[38:39], 2
	v_cndmask_b32_e32 v2, v3, v2, vcc
	s_add_u32 s26, s26, s38
	v_ashrrev_i32_e32 v3, 31, v2
	s_addc_u32 s27, s27, s39
	v_lshlrev_b64 v[2:3], 2, v[2:3]
	v_mov_b32_e32 v4, s27
	v_add_co_u32_e32 v2, vcc, s26, v2
	v_addc_co_u32_e32 v3, vcc, v4, v3, vcc
	v_ashrrev_i32_e32 v4, 31, v7
	v_lshrrev_b32_e32 v4, 27, v4
	v_add_u32_e32 v4, v7, v4
	v_ashrrev_i32_e32 v6, 5, v4
	v_min_i32_e32 v4, s40, v6
	v_ashrrev_i32_e32 v5, 31, v4
	v_lshlrev_b64 v[4:5], 2, v[4:5]
	v_add_u32_e32 v6, 1, v6
	v_mov_b32_e32 v7, s27
	v_add_co_u32_e32 v4, vcc, s26, v4
	v_min_i32_e32 v6, s40, v6
	v_addc_co_u32_e32 v5, vcc, v7, v5, vcc
	v_ashrrev_i32_e32 v7, 31, v6
	v_lshlrev_b64 v[6:7], 2, v[6:7]
	v_mov_b32_e32 v9, s27
	v_add_co_u32_e32 v8, vcc, s26, v6
	v_addc_co_u32_e32 v9, vcc, v9, v7, vcc
	global_load_dword v6, v[2:3], off
	global_load_dword v41, v[4:5], off
	;; [unrolled: 1-line block ×3, first 2 shown]
	s_load_dwordx2 s[38:39], s[4:5], 0x8
	s_andn2_b64 vcc, exec, s[14:15]
	s_cbranch_vccnz .LBB506_11
; %bb.9:
	s_add_u32 s12, s12, s24
	s_addc_u32 s13, s13, s25
	s_load_dword s11, s[12:13], 0x0
	s_branch .LBB506_12
.LBB506_10:
	s_mov_b64 s[16:17], 0
	s_branch .LBB506_2
.LBB506_11:
	s_mov_b32 s11, s8
.LBB506_12:
	s_load_dwordx2 s[14:15], s[4:5], 0x10
	s_load_dwordx4 s[24:27], s[4:5], 0x48
	v_cmp_eq_u32_e32 vcc, 0, v43
	s_mov_b32 s41, 0
	v_mov_b32_e32 v46, 0
	v_mov_b32_e32 v2, 0
	;; [unrolled: 1-line block ×5, first 2 shown]
	s_and_saveexec_b64 s[12:13], vcc
	s_cbranch_execz .LBB506_14
; %bb.13:
	s_load_dwordx2 s[42:43], s[4:5], 0x0
	s_waitcnt lgkmcnt(0)
	s_ashr_i32 s27, s24, 31
	s_mul_hi_u32 s29, s11, s24
	s_mul_i32 s27, s11, s27
	s_add_i32 s45, s29, s27
	s_mul_i32 s44, s11, s24
	s_lshl_b64 s[44:45], s[44:45], 1
	s_add_u32 s11, s42, s44
	s_addc_u32 s24, s43, s45
	s_lshl_b32 s40, s10, 7
	s_lshl_b64 s[40:41], s[40:41], 1
	s_add_u32 s40, s11, s40
	s_addc_u32 s41, s24, s41
	v_lshlrev_b32_e32 v2, 2, v1
	global_load_dwordx4 v[2:5], v2, s[40:41]
.LBB506_14:
	s_or_b64 exec, exec, s[12:13]
	s_waitcnt lgkmcnt(0)
	s_mul_i32 s24, s10, s26
	s_add_u32 s12, s24, s38
	s_addc_u32 s13, 0, s39
	v_pk_mov_b32 v[8:9], s[12:13], s[12:13] op_sel:[0,1]
	s_waitcnt vmcnt(2)
	v_mad_i64_i32 v[6:7], s[12:13], v6, s25, v[8:9]
	v_lshlrev_b32_e32 v8, 4, v0
	v_and_b32_e32 v8, 0x1f0, v8
	v_add_co_u32_e64 v38, s[12:13], v6, v8
	v_addc_co_u32_e64 v39, s[12:13], 0, v7, s[12:13]
	global_load_dwordx4 v[34:37], v[38:39], off
	global_load_dwordx4 v[30:33], v[38:39], off offset:512
	global_load_dwordx4 v[26:29], v[38:39], off offset:1024
	;; [unrolled: 1-line block ×7, first 2 shown]
	v_mov_b32_e32 v45, 0
	s_and_saveexec_b64 s[12:13], vcc
	s_cbranch_execz .LBB506_16
; %bb.15:
	s_load_dwordx2 s[26:27], s[4:5], 0x40
	s_mov_b32 s11, 0
	s_lshl_b64 s[38:39], s[10:11], 2
	s_waitcnt lgkmcnt(0)
	s_add_u32 s26, s26, s38
	s_addc_u32 s27, s27, s39
	s_load_dword s11, s[26:27], 0x0
	s_waitcnt lgkmcnt(0)
	v_mov_b32_e32 v45, s11
.LBB506_16:
	s_or_b64 exec, exec, s[12:13]
	s_waitcnt vmcnt(9)
	v_mul_hi_i32 v38, v41, s25
	v_ashrrev_i32_e32 v38, 31, v38
	v_lshrrev_b32_e32 v38, 29, v38
	v_mov_b32_e32 v39, 0
	s_add_u32 s11, s14, s24
	v_mad_i64_i32 v[48:49], s[12:13], v41, s25, v[38:39]
	s_addc_u32 s14, s15, 0
	v_and_b32_e32 v38, -8, v48
	v_mov_b32_e32 v41, s14
	v_add_co_u32_e64 v38, s[12:13], s11, v38
	v_addc_co_u32_e64 v41, s[12:13], v41, v49, s[12:13]
	v_lshlrev_b32_e32 v47, 5, v1
	v_add_co_u32_e64 v64, s[12:13], v38, v47
	s_waitcnt vmcnt(8)
	v_mul_hi_i32 v38, v40, s25
	v_ashrrev_i32_e32 v38, 31, v38
	v_lshrrev_b32_e32 v38, 29, v38
	v_addc_co_u32_e64 v65, s[12:13], 0, v41, s[12:13]
	v_mad_i64_i32 v[40:41], s[12:13], v40, s25, v[38:39]
	v_and_b32_e32 v38, -8, v40
	v_mov_b32_e32 v40, s14
	v_add_co_u32_e64 v38, s[12:13], s11, v38
	v_addc_co_u32_e64 v41, s[12:13], v40, v41, s[12:13]
	v_add_co_u32_e64 v40, s[12:13], v38, v47
	v_addc_co_u32_e64 v41, s[12:13], 0, v41, s[12:13]
	global_load_dwordx4 v[48:51], v[64:65], off offset:16
	global_load_dwordx4 v[52:55], v[64:65], off
	global_load_dwordx4 v[56:59], v[64:65], off offset:2064
	global_load_dwordx4 v[60:63], v[64:65], off offset:2048
	s_nop 0
	global_load_dwordx4 v[64:67], v[40:41], off
	global_load_dwordx4 v[68:71], v[40:41], off offset:16
	global_load_dwordx4 v[72:75], v[40:41], off offset:2048
	global_load_dwordx4 v[76:79], v[40:41], off offset:2064
	s_waitcnt vmcnt(15)
	v_cmp_ne_u16_sdwa s[12:13], v34, v39 src0_sel:BYTE_0 src1_sel:DWORD
	s_waitcnt vmcnt(6)
	buffer_store_dword v53, off, s[0:3], 0 offset:4
	buffer_store_dword v52, off, s[0:3], 0
	buffer_store_dword v55, off, s[0:3], 0 offset:12
	buffer_store_dword v54, off, s[0:3], 0 offset:8
	;; [unrolled: 1-line block ×6, first 2 shown]
	s_waitcnt vmcnt(12)
	buffer_store_dword v61, off, s[0:3], 0 offset:68
	buffer_store_dword v60, off, s[0:3], 0 offset:64
	;; [unrolled: 1-line block ×8, first 2 shown]
	s_waitcnt vmcnt(19)
	buffer_store_dword v65, off, s[0:3], 0 offset:36
	buffer_store_dword v64, off, s[0:3], 0 offset:32
	buffer_store_dword v67, off, s[0:3], 0 offset:44
	buffer_store_dword v66, off, s[0:3], 0 offset:40
	s_waitcnt vmcnt(22)
	buffer_store_dword v69, off, s[0:3], 0 offset:52
	buffer_store_dword v68, off, s[0:3], 0 offset:48
	buffer_store_dword v71, off, s[0:3], 0 offset:60
	buffer_store_dword v70, off, s[0:3], 0 offset:56
	;; [unrolled: 5-line block ×4, first 2 shown]
	s_and_saveexec_b64 s[14:15], s[12:13]
	s_cbranch_execz .LBB506_22
; %bb.17:
	s_movk_i32 s11, 0x80
	v_cmp_ne_u16_sdwa s[12:13], v34, s11 src0_sel:BYTE_0 src1_sel:DWORD
	v_bfrev_b32_e32 v46, 1
	s_and_saveexec_b64 s[24:25], s[12:13]
	s_cbranch_execz .LBB506_21
; %bb.18:
	s_movk_i32 s11, 0x7f
	v_and_b32_e32 v38, 0x7f, v34
	v_cmp_ne_u32_e64 s[12:13], s11, v38
	v_mov_b32_e32 v46, 0x7f800001
	s_and_saveexec_b64 s[26:27], s[12:13]
	s_cbranch_execz .LBB506_20
; %bb.19:
	v_and_b32_e32 v40, 7, v34
	v_ffbh_u32_e32 v40, v40
	v_min_u32_e32 v40, 32, v40
	v_lshrrev_b32_e32 v41, 3, v38
	v_subrev_u32_e32 v46, 28, v40
	v_sub_u32_e32 v40, 29, v40
	v_cmp_gt_u32_e64 s[12:13], 8, v38
	v_cndmask_b32_e64 v38, v41, v40, s[12:13]
	v_cndmask_b32_e64 v40, 0, v46, s[12:13]
	v_lshlrev_b64 v[40:41], v40, v[34:35]
	v_lshlrev_b32_e32 v40, 20, v40
	v_lshlrev_b32_e32 v41, 24, v34
	v_bfrev_b32_e32 v46, 60
	v_and_b32_e32 v40, 0x700000, v40
	v_and_b32_e32 v41, 0x80000000, v41
	v_lshl_add_u32 v38, v38, 23, v46
	v_or3_b32 v46, v41, v38, v40
.LBB506_20:
	s_or_b64 exec, exec, s[26:27]
.LBB506_21:
	s_or_b64 exec, exec, s[24:25]
.LBB506_22:
	s_or_b64 exec, exec, s[14:15]
	v_lshrrev_b16_e32 v38, 8, v34
	v_cmp_ne_u16_e64 s[12:13], 0, v38
	v_mov_b32_e32 v47, 0
	s_and_saveexec_b64 s[14:15], s[12:13]
	s_cbranch_execz .LBB506_28
; %bb.23:
	s_movk_i32 s11, 0x80
	v_cmp_ne_u16_e64 s[12:13], s11, v38
	v_bfrev_b32_e32 v47, 1
	s_and_saveexec_b64 s[24:25], s[12:13]
	s_cbranch_execz .LBB506_27
; %bb.24:
	s_movk_i32 s11, 0x7f
	v_and_b32_e32 v40, 0x7f, v38
	v_cmp_ne_u32_e64 s[12:13], s11, v40
	v_mov_b32_e32 v47, 0x7f800001
	s_and_saveexec_b64 s[26:27], s[12:13]
	s_cbranch_execz .LBB506_26
; %bb.25:
	v_and_b32_e32 v41, 7, v38
	v_ffbh_u32_e32 v48, v41
	v_min_u32_e32 v50, 32, v48
	v_subrev_u32_e32 v48, 28, v50
	v_lshlrev_b64 v[48:49], v48, v[38:39]
	v_lshrrev_b32_e32 v47, 3, v40
	v_sub_u32_e32 v38, 29, v50
	v_and_b32_e32 v48, 7, v48
	v_cmp_gt_u32_e64 s[12:13], 8, v40
	v_cndmask_b32_e64 v38, v47, v38, s[12:13]
	v_cndmask_b32_e64 v40, v41, v48, s[12:13]
	v_lshlrev_b32_e32 v41, 16, v34
	v_bfrev_b32_e32 v47, 60
	v_lshlrev_b32_e32 v40, 20, v40
	v_and_b32_e32 v41, 0x80000000, v41
	v_lshl_add_u32 v38, v38, 23, v47
	v_or3_b32 v47, v41, v38, v40
.LBB506_26:
	s_or_b64 exec, exec, s[26:27]
.LBB506_27:
	s_or_b64 exec, exec, s[24:25]
.LBB506_28:
	s_or_b64 exec, exec, s[14:15]
	s_movk_i32 s11, 0xff
	v_and_b32_sdwa v40, v34, s11 dst_sel:DWORD dst_unused:UNUSED_PAD src0_sel:WORD_1 src1_sel:DWORD
	v_lshrrev_b32_e32 v38, 16, v34
	v_cmp_ne_u16_e64 s[12:13], 0, v40
	s_and_saveexec_b64 s[14:15], s[12:13]
	s_cbranch_execz .LBB506_34
; %bb.29:
	s_movk_i32 s11, 0x80
	v_cmp_ne_u16_e64 s[12:13], s11, v40
	v_bfrev_b32_e32 v39, 1
	s_and_saveexec_b64 s[24:25], s[12:13]
	s_cbranch_execz .LBB506_33
; %bb.30:
	v_bfe_u32 v40, v34, 16, 7
	s_movk_i32 s11, 0x7f
	v_cmp_ne_u32_e64 s[12:13], s11, v40
	v_mov_b32_e32 v39, 0x7f800001
	s_and_saveexec_b64 s[26:27], s[12:13]
	s_cbranch_execz .LBB506_32
; %bb.31:
	v_and_b32_e32 v41, 7, v38
	v_ffbh_u32_e32 v39, v41
	v_min_u32_e32 v49, 32, v39
	v_subrev_u32_e32 v39, 28, v49
	v_lshlrev_b64 v[38:39], v39, v[38:39]
	v_lshrrev_b32_e32 v48, 3, v40
	v_sub_u32_e32 v39, 29, v49
	v_and_b32_e32 v38, 7, v38
	v_cmp_gt_u32_e64 s[12:13], 8, v40
	v_mov_b32_e32 v40, 24
	v_cndmask_b32_e64 v39, v48, v39, s[12:13]
	v_cndmask_b32_e64 v38, v41, v38, s[12:13]
	v_lshlrev_b32_sdwa v40, v40, v34 dst_sel:DWORD dst_unused:UNUSED_PAD src0_sel:DWORD src1_sel:WORD_1
	v_bfrev_b32_e32 v41, 60
	v_lshlrev_b32_e32 v38, 20, v38
	v_and_b32_e32 v40, 0x80000000, v40
	v_lshl_add_u32 v39, v39, 23, v41
	v_or3_b32 v39, v40, v39, v38
.LBB506_32:
	s_or_b64 exec, exec, s[26:27]
.LBB506_33:
	s_or_b64 exec, exec, s[24:25]
.LBB506_34:
	s_or_b64 exec, exec, s[14:15]
	s_mov_b32 s11, 0xffffff
	v_cmp_lt_u32_e64 s[12:13], s11, v34
	v_mov_b32_e32 v41, 0
	v_mov_b32_e32 v48, 0
	s_and_saveexec_b64 s[14:15], s[12:13]
	s_cbranch_execz .LBB506_40
; %bb.35:
	v_lshrrev_b32_e32 v38, 24, v34
	s_movk_i32 s11, 0x80
	v_cmp_ne_u32_e64 s[12:13], s11, v38
	v_bfrev_b32_e32 v48, 1
	s_and_saveexec_b64 s[24:25], s[12:13]
	s_cbranch_execz .LBB506_39
; %bb.36:
	v_bfe_u32 v40, v34, 24, 7
	s_movk_i32 s11, 0x7f
	v_cmp_ne_u32_e64 s[12:13], s11, v40
	v_mov_b32_e32 v48, 0x7f800001
	s_and_saveexec_b64 s[26:27], s[12:13]
	s_cbranch_execz .LBB506_38
; %bb.37:
	v_and_b32_e32 v50, 7, v38
	v_ffbh_u32_e32 v48, v50
	v_min_u32_e32 v52, 32, v48
	v_subrev_u32_e32 v48, 28, v52
	v_lshlrev_b64 v[48:49], v48, v[38:39]
	v_lshrrev_b32_e32 v51, 3, v40
	v_sub_u32_e32 v49, 29, v52
	v_and_b32_e32 v48, 7, v48
	v_cmp_gt_u32_e64 s[12:13], 8, v40
	v_cndmask_b32_e64 v40, v51, v49, s[12:13]
	v_cndmask_b32_e64 v48, v50, v48, s[12:13]
	v_lshlrev_b32_e32 v38, 24, v38
	v_bfrev_b32_e32 v49, 60
	v_lshlrev_b32_e32 v48, 20, v48
	v_and_b32_e32 v38, 0x80000000, v38
	v_lshl_add_u32 v40, v40, 23, v49
	v_or3_b32 v48, v38, v40, v48
.LBB506_38:
	s_or_b64 exec, exec, s[26:27]
.LBB506_39:
	s_or_b64 exec, exec, s[24:25]
.LBB506_40:
	s_or_b64 exec, exec, s[14:15]
	v_mov_b32_e32 v40, v35
	v_cmp_ne_u16_sdwa s[12:13], v35, v41 src0_sel:BYTE_0 src1_sel:DWORD
	s_and_saveexec_b64 s[14:15], s[12:13]
	s_cbranch_execz .LBB506_46
; %bb.41:
	s_movk_i32 s11, 0x80
	v_cmp_ne_u16_sdwa s[12:13], v35, s11 src0_sel:BYTE_0 src1_sel:DWORD
	v_bfrev_b32_e32 v38, 1
	s_and_saveexec_b64 s[24:25], s[12:13]
	s_cbranch_execz .LBB506_45
; %bb.42:
	s_movk_i32 s11, 0x7f
	v_and_b32_e32 v49, 0x7f, v35
	v_cmp_ne_u32_e64 s[12:13], s11, v49
	v_mov_b32_e32 v38, 0x7f800001
	s_and_saveexec_b64 s[26:27], s[12:13]
	s_cbranch_execz .LBB506_44
; %bb.43:
	v_and_b32_e32 v38, 7, v35
	v_ffbh_u32_e32 v38, v38
	v_min_u32_e32 v38, 32, v38
	v_subrev_u32_e32 v51, 28, v38
	v_cmp_gt_u32_e64 s[12:13], 8, v49
	v_lshrrev_b32_e32 v50, 3, v49
	v_sub_u32_e32 v38, 29, v38
	v_cndmask_b32_e64 v49, 0, v51, s[12:13]
	v_cndmask_b32_e64 v38, v50, v38, s[12:13]
	v_lshlrev_b64 v[50:51], v49, v[40:41]
	v_lshlrev_b32_e32 v41, 20, v50
	v_lshlrev_b32_e32 v49, 24, v40
	v_bfrev_b32_e32 v50, 60
	v_and_b32_e32 v41, 0x700000, v41
	v_and_b32_e32 v49, 0x80000000, v49
	v_lshl_add_u32 v38, v38, 23, v50
	v_or3_b32 v38, v49, v38, v41
.LBB506_44:
	s_or_b64 exec, exec, s[26:27]
.LBB506_45:
	s_or_b64 exec, exec, s[24:25]
	v_mov_b32_e32 v41, v38
.LBB506_46:
	s_or_b64 exec, exec, s[14:15]
	v_lshrrev_b16_e32 v38, 8, v40
	v_cmp_ne_u16_e64 s[12:13], 0, v38
	v_mov_b32_e32 v49, 0
	v_mov_b32_e32 v50, 0
	s_and_saveexec_b64 s[14:15], s[12:13]
	s_cbranch_execz .LBB506_52
; %bb.47:
	s_movk_i32 s11, 0x80
	v_cmp_ne_u16_e64 s[12:13], s11, v38
	v_bfrev_b32_e32 v50, 1
	s_and_saveexec_b64 s[24:25], s[12:13]
	s_cbranch_execz .LBB506_51
; %bb.48:
	s_movk_i32 s11, 0x7f
	v_and_b32_e32 v51, 0x7f, v38
	v_cmp_ne_u32_e64 s[12:13], s11, v51
	v_mov_b32_e32 v50, 0x7f800001
	s_and_saveexec_b64 s[26:27], s[12:13]
	s_cbranch_execz .LBB506_50
; %bb.49:
	v_and_b32_e32 v50, 7, v38
	v_ffbh_u32_e32 v52, v50
	v_min_u32_e32 v55, 32, v52
	v_subrev_u32_e32 v52, 28, v55
	v_lshlrev_b64 v[52:53], v52, v[38:39]
	v_lshrrev_b32_e32 v54, 3, v51
	v_sub_u32_e32 v38, 29, v55
	v_and_b32_e32 v52, 7, v52
	v_cmp_gt_u32_e64 s[12:13], 8, v51
	v_cndmask_b32_e64 v38, v54, v38, s[12:13]
	v_cndmask_b32_e64 v50, v50, v52, s[12:13]
	v_lshlrev_b32_e32 v40, 16, v40
	v_bfrev_b32_e32 v51, 60
	v_lshlrev_b32_e32 v50, 20, v50
	v_and_b32_e32 v40, 0x80000000, v40
	v_lshl_add_u32 v38, v38, 23, v51
	v_or3_b32 v50, v40, v38, v50
.LBB506_50:
	s_or_b64 exec, exec, s[26:27]
.LBB506_51:
	s_or_b64 exec, exec, s[24:25]
.LBB506_52:
	s_or_b64 exec, exec, s[14:15]
	s_movk_i32 s11, 0xff
	v_and_b32_sdwa v40, v35, s11 dst_sel:DWORD dst_unused:UNUSED_PAD src0_sel:WORD_1 src1_sel:DWORD
	v_lshrrev_b32_e32 v38, 16, v35
	v_cmp_ne_u16_e64 s[12:13], 0, v40
	s_and_saveexec_b64 s[14:15], s[12:13]
	s_cbranch_execz .LBB506_58
; %bb.53:
	s_movk_i32 s11, 0x80
	v_cmp_ne_u16_e64 s[12:13], s11, v40
	v_bfrev_b32_e32 v49, 1
	s_and_saveexec_b64 s[24:25], s[12:13]
	s_cbranch_execz .LBB506_57
; %bb.54:
	v_bfe_u32 v40, v35, 16, 7
	s_movk_i32 s11, 0x7f
	v_cmp_ne_u32_e64 s[12:13], s11, v40
	v_mov_b32_e32 v49, 0x7f800001
	s_and_saveexec_b64 s[26:27], s[12:13]
	s_cbranch_execz .LBB506_56
; %bb.55:
	v_and_b32_e32 v49, 7, v38
	v_ffbh_u32_e32 v52, v49
	v_min_u32_e32 v54, 32, v52
	v_subrev_u32_e32 v52, 28, v54
	v_lshlrev_b64 v[52:53], v52, v[38:39]
	v_and_b32_e32 v52, 7, v52
	v_cmp_gt_u32_e64 s[12:13], 8, v40
	v_lshrrev_b32_e32 v51, 3, v40
	v_sub_u32_e32 v38, 29, v54
	v_cndmask_b32_e64 v40, v49, v52, s[12:13]
	v_mov_b32_e32 v49, 24
	v_cndmask_b32_e64 v38, v51, v38, s[12:13]
	v_lshlrev_b32_sdwa v49, v49, v35 dst_sel:DWORD dst_unused:UNUSED_PAD src0_sel:DWORD src1_sel:WORD_1
	v_bfrev_b32_e32 v51, 60
	v_lshlrev_b32_e32 v40, 20, v40
	v_and_b32_e32 v49, 0x80000000, v49
	v_lshl_add_u32 v38, v38, 23, v51
	v_or3_b32 v49, v49, v38, v40
.LBB506_56:
	s_or_b64 exec, exec, s[26:27]
.LBB506_57:
	s_or_b64 exec, exec, s[24:25]
.LBB506_58:
	s_or_b64 exec, exec, s[14:15]
	s_mov_b32 s12, -1
	s_mov_b32 s13, 0xffffff
	v_cmp_lt_u64_e64 s[12:13], s[12:13], v[34:35]
	v_mov_b32_e32 v40, 0
	v_mov_b32_e32 v38, 0
	s_and_saveexec_b64 s[14:15], s[12:13]
	s_cbranch_execz .LBB506_64
; %bb.59:
	v_lshrrev_b32_e32 v34, 24, v35
	s_movk_i32 s11, 0x80
	v_cmp_ne_u32_e64 s[12:13], s11, v34
	v_bfrev_b32_e32 v38, 1
	s_and_saveexec_b64 s[24:25], s[12:13]
	s_cbranch_execz .LBB506_63
; %bb.60:
	v_bfe_u32 v35, v35, 24, 7
	s_movk_i32 s11, 0x7f
	v_cmp_ne_u32_e64 s[12:13], s11, v35
	v_mov_b32_e32 v38, 0x7f800001
	s_and_saveexec_b64 s[26:27], s[12:13]
	s_cbranch_execz .LBB506_62
; %bb.61:
	v_and_b32_e32 v38, 7, v34
	v_ffbh_u32_e32 v52, v38
	v_min_u32_e32 v54, 32, v52
	v_subrev_u32_e32 v52, 28, v54
	v_lshlrev_b64 v[52:53], v52, v[34:35]
	v_lshrrev_b32_e32 v51, 3, v35
	v_sub_u32_e32 v53, 29, v54
	v_and_b32_e32 v52, 7, v52
	v_cmp_gt_u32_e64 s[12:13], 8, v35
	v_cndmask_b32_e64 v35, v51, v53, s[12:13]
	v_cndmask_b32_e64 v38, v38, v52, s[12:13]
	v_lshlrev_b32_e32 v34, 24, v34
	v_bfrev_b32_e32 v51, 60
	v_lshlrev_b32_e32 v38, 20, v38
	v_and_b32_e32 v34, 0x80000000, v34
	v_lshl_add_u32 v35, v35, 23, v51
	v_or3_b32 v38, v34, v35, v38
.LBB506_62:
	s_or_b64 exec, exec, s[26:27]
.LBB506_63:
	s_or_b64 exec, exec, s[24:25]
.LBB506_64:
	s_or_b64 exec, exec, s[14:15]
	v_cvt_pkrtz_f16_f32 v34, v46, v47
	v_cvt_pkrtz_f16_f32 v35, v39, v48
	v_cvt_pkrtz_f16_f32 v46, v41, v50
	v_cvt_pkrtz_f16_f32 v47, v49, v38
	v_mfma_f32_4x4x4f16 a[0:3], v[2:3], v[34:35], 0 cbsz:4
	v_cmp_ne_u16_sdwa s[12:13], v36, v40 src0_sel:BYTE_0 src1_sel:DWORD
	v_mfma_f32_4x4x4f16 a[0:3], v[4:5], v[46:47], a[0:3] cbsz:4
	s_and_saveexec_b64 s[14:15], s[12:13]
	s_cbranch_execz .LBB506_70
; %bb.65:
	s_movk_i32 s11, 0x80
	v_cmp_ne_u16_sdwa s[12:13], v36, s11 src0_sel:BYTE_0 src1_sel:DWORD
	v_bfrev_b32_e32 v40, 1
	s_and_saveexec_b64 s[24:25], s[12:13]
	s_cbranch_execz .LBB506_69
; %bb.66:
	s_movk_i32 s11, 0x7f
	v_and_b32_e32 v34, 0x7f, v36
	v_cmp_ne_u32_e64 s[12:13], s11, v34
	v_mov_b32_e32 v40, 0x7f800001
	s_and_saveexec_b64 s[26:27], s[12:13]
	s_cbranch_execz .LBB506_68
; %bb.67:
	v_and_b32_e32 v35, 7, v36
	v_ffbh_u32_e32 v35, v35
	v_min_u32_e32 v35, 32, v35
	v_subrev_u32_e32 v39, 28, v35
	v_cmp_gt_u32_e64 s[12:13], 8, v34
	v_lshrrev_b32_e32 v38, 3, v34
	v_sub_u32_e32 v35, 29, v35
	v_cndmask_b32_e64 v34, 0, v39, s[12:13]
	v_cndmask_b32_e64 v38, v38, v35, s[12:13]
	v_lshlrev_b64 v[34:35], v34, v[36:37]
	v_lshlrev_b32_e32 v34, 20, v34
	v_lshlrev_b32_e32 v35, 24, v36
	v_bfrev_b32_e32 v39, 60
	v_and_b32_e32 v34, 0x700000, v34
	v_and_b32_e32 v35, 0x80000000, v35
	v_lshl_add_u32 v38, v38, 23, v39
	v_or3_b32 v40, v35, v38, v34
.LBB506_68:
	s_or_b64 exec, exec, s[26:27]
.LBB506_69:
	s_or_b64 exec, exec, s[24:25]
.LBB506_70:
	s_or_b64 exec, exec, s[14:15]
	v_lshrrev_b16_e32 v34, 8, v36
	v_cmp_ne_u16_e64 s[12:13], 0, v34
	v_mov_b32_e32 v39, 0
	v_mov_b32_e32 v41, 0
	s_and_saveexec_b64 s[14:15], s[12:13]
	s_cbranch_execz .LBB506_76
; %bb.71:
	s_movk_i32 s11, 0x80
	v_cmp_ne_u16_e64 s[12:13], s11, v34
	v_bfrev_b32_e32 v41, 1
	s_and_saveexec_b64 s[24:25], s[12:13]
	s_cbranch_execz .LBB506_75
; %bb.72:
	s_movk_i32 s11, 0x7f
	v_and_b32_e32 v35, 0x7f, v34
	v_cmp_ne_u32_e64 s[12:13], s11, v35
	v_mov_b32_e32 v41, 0x7f800001
	s_and_saveexec_b64 s[26:27], s[12:13]
	s_cbranch_execz .LBB506_74
; %bb.73:
	v_and_b32_e32 v38, 7, v34
	v_ffbh_u32_e32 v46, v38
	v_min_u32_e32 v48, 32, v46
	v_subrev_u32_e32 v46, 28, v48
	v_lshlrev_b64 v[46:47], v46, v[34:35]
	v_lshrrev_b32_e32 v41, 3, v35
	v_sub_u32_e32 v34, 29, v48
	v_and_b32_e32 v46, 7, v46
	v_cmp_gt_u32_e64 s[12:13], 8, v35
	v_cndmask_b32_e64 v34, v41, v34, s[12:13]
	v_cndmask_b32_e64 v35, v38, v46, s[12:13]
	v_lshlrev_b32_e32 v38, 16, v36
	v_bfrev_b32_e32 v41, 60
	v_lshlrev_b32_e32 v35, 20, v35
	v_and_b32_e32 v38, 0x80000000, v38
	v_lshl_add_u32 v34, v34, 23, v41
	v_or3_b32 v41, v38, v34, v35
.LBB506_74:
	s_or_b64 exec, exec, s[26:27]
.LBB506_75:
	s_or_b64 exec, exec, s[24:25]
.LBB506_76:
	s_or_b64 exec, exec, s[14:15]
	s_movk_i32 s11, 0xff
	v_and_b32_sdwa v35, v36, s11 dst_sel:DWORD dst_unused:UNUSED_PAD src0_sel:WORD_1 src1_sel:DWORD
	v_lshrrev_b32_e32 v34, 16, v36
	v_cmp_ne_u16_e64 s[12:13], 0, v35
	s_and_saveexec_b64 s[14:15], s[12:13]
	s_cbranch_execz .LBB506_82
; %bb.77:
	s_movk_i32 s11, 0x80
	v_cmp_ne_u16_e64 s[12:13], s11, v35
	v_bfrev_b32_e32 v39, 1
	s_and_saveexec_b64 s[24:25], s[12:13]
	s_cbranch_execz .LBB506_81
; %bb.78:
	v_bfe_u32 v35, v36, 16, 7
	s_movk_i32 s11, 0x7f
	v_cmp_ne_u32_e64 s[12:13], s11, v35
	v_mov_b32_e32 v39, 0x7f800001
	s_and_saveexec_b64 s[26:27], s[12:13]
	s_cbranch_execz .LBB506_80
; %bb.79:
	v_and_b32_e32 v46, 7, v34
	v_ffbh_u32_e32 v38, v46
	v_min_u32_e32 v48, 32, v38
	v_subrev_u32_e32 v38, 28, v48
	v_lshlrev_b64 v[38:39], v38, v[34:35]
	v_and_b32_e32 v38, 7, v38
	v_cmp_gt_u32_e64 s[12:13], 8, v35
	v_lshrrev_b32_e32 v47, 3, v35
	v_sub_u32_e32 v34, 29, v48
	v_cndmask_b32_e64 v35, v46, v38, s[12:13]
	v_mov_b32_e32 v38, 24
	v_cndmask_b32_e64 v34, v47, v34, s[12:13]
	v_lshlrev_b32_sdwa v38, v38, v36 dst_sel:DWORD dst_unused:UNUSED_PAD src0_sel:DWORD src1_sel:WORD_1
	v_bfrev_b32_e32 v39, 60
	v_lshlrev_b32_e32 v35, 20, v35
	v_and_b32_e32 v38, 0x80000000, v38
	v_lshl_add_u32 v34, v34, 23, v39
	v_or3_b32 v39, v38, v34, v35
.LBB506_80:
	s_or_b64 exec, exec, s[26:27]
.LBB506_81:
	s_or_b64 exec, exec, s[24:25]
.LBB506_82:
	s_or_b64 exec, exec, s[14:15]
	s_mov_b32 s11, 0xffffff
	v_cmp_lt_u32_e64 s[12:13], s11, v36
	v_mov_b32_e32 v35, 0
	v_mov_b32_e32 v46, 0
	s_and_saveexec_b64 s[14:15], s[12:13]
	s_cbranch_execz .LBB506_88
; %bb.83:
	v_lshrrev_b32_e32 v34, 24, v36
	s_movk_i32 s11, 0x80
	v_cmp_ne_u32_e64 s[12:13], s11, v34
	v_bfrev_b32_e32 v46, 1
	s_and_saveexec_b64 s[24:25], s[12:13]
	s_cbranch_execz .LBB506_87
; %bb.84:
	v_bfe_u32 v38, v36, 24, 7
	s_movk_i32 s11, 0x7f
	v_cmp_ne_u32_e64 s[12:13], s11, v38
	v_mov_b32_e32 v46, 0x7f800001
	s_and_saveexec_b64 s[26:27], s[12:13]
	s_cbranch_execz .LBB506_86
; %bb.85:
	v_and_b32_e32 v48, 7, v34
	v_ffbh_u32_e32 v46, v48
	v_min_u32_e32 v50, 32, v46
	v_subrev_u32_e32 v46, 28, v50
	v_lshlrev_b64 v[46:47], v46, v[34:35]
	v_lshrrev_b32_e32 v49, 3, v38
	v_sub_u32_e32 v47, 29, v50
	v_and_b32_e32 v46, 7, v46
	v_cmp_gt_u32_e64 s[12:13], 8, v38
	v_cndmask_b32_e64 v38, v49, v47, s[12:13]
	v_cndmask_b32_e64 v46, v48, v46, s[12:13]
	v_lshlrev_b32_e32 v34, 24, v34
	v_bfrev_b32_e32 v47, 60
	v_lshlrev_b32_e32 v46, 20, v46
	v_and_b32_e32 v34, 0x80000000, v34
	v_lshl_add_u32 v38, v38, 23, v47
	v_or3_b32 v46, v34, v38, v46
.LBB506_86:
	s_or_b64 exec, exec, s[26:27]
.LBB506_87:
	s_or_b64 exec, exec, s[24:25]
.LBB506_88:
	s_or_b64 exec, exec, s[14:15]
	v_mov_b32_e32 v34, v37
	v_cmp_ne_u16_sdwa s[12:13], v37, v35 src0_sel:BYTE_0 src1_sel:DWORD
	s_and_saveexec_b64 s[14:15], s[12:13]
	s_cbranch_execz .LBB506_94
; %bb.89:
	s_movk_i32 s11, 0x80
	v_cmp_ne_u16_sdwa s[12:13], v37, s11 src0_sel:BYTE_0 src1_sel:DWORD
	v_bfrev_b32_e32 v38, 1
	s_and_saveexec_b64 s[24:25], s[12:13]
	s_cbranch_execz .LBB506_93
; %bb.90:
	s_movk_i32 s11, 0x7f
	v_and_b32_e32 v47, 0x7f, v37
	v_cmp_ne_u32_e64 s[12:13], s11, v47
	v_mov_b32_e32 v38, 0x7f800001
	s_and_saveexec_b64 s[26:27], s[12:13]
	s_cbranch_execz .LBB506_92
; %bb.91:
	v_and_b32_e32 v38, 7, v37
	v_ffbh_u32_e32 v38, v38
	v_min_u32_e32 v38, 32, v38
	v_subrev_u32_e32 v49, 28, v38
	v_cmp_gt_u32_e64 s[12:13], 8, v47
	v_lshrrev_b32_e32 v48, 3, v47
	v_sub_u32_e32 v38, 29, v38
	v_cndmask_b32_e64 v47, 0, v49, s[12:13]
	v_cndmask_b32_e64 v38, v48, v38, s[12:13]
	v_lshlrev_b64 v[48:49], v47, v[34:35]
	v_lshlrev_b32_e32 v35, 20, v48
	v_lshlrev_b32_e32 v47, 24, v34
	v_bfrev_b32_e32 v48, 60
	v_and_b32_e32 v35, 0x700000, v35
	v_and_b32_e32 v47, 0x80000000, v47
	v_lshl_add_u32 v38, v38, 23, v48
	v_or3_b32 v38, v47, v38, v35
.LBB506_92:
	s_or_b64 exec, exec, s[26:27]
.LBB506_93:
	s_or_b64 exec, exec, s[24:25]
	v_mov_b32_e32 v35, v38
.LBB506_94:
	s_or_b64 exec, exec, s[14:15]
	v_lshrrev_b16_e32 v38, 8, v34
	v_cmp_ne_u16_e64 s[12:13], 0, v38
	v_mov_b32_e32 v47, 0
	v_mov_b32_e32 v48, 0
	s_and_saveexec_b64 s[14:15], s[12:13]
	s_cbranch_execz .LBB506_100
; %bb.95:
	s_movk_i32 s11, 0x80
	v_cmp_ne_u16_e64 s[12:13], s11, v38
	v_bfrev_b32_e32 v48, 1
	s_and_saveexec_b64 s[24:25], s[12:13]
	s_cbranch_execz .LBB506_99
; %bb.96:
	s_movk_i32 s11, 0x7f
	v_and_b32_e32 v49, 0x7f, v38
	v_cmp_ne_u32_e64 s[12:13], s11, v49
	v_mov_b32_e32 v48, 0x7f800001
	s_and_saveexec_b64 s[26:27], s[12:13]
	s_cbranch_execz .LBB506_98
; %bb.97:
	v_and_b32_e32 v48, 7, v38
	v_ffbh_u32_e32 v50, v48
	v_min_u32_e32 v53, 32, v50
	v_subrev_u32_e32 v50, 28, v53
	v_lshlrev_b64 v[50:51], v50, v[38:39]
	v_lshrrev_b32_e32 v52, 3, v49
	v_sub_u32_e32 v38, 29, v53
	v_and_b32_e32 v50, 7, v50
	v_cmp_gt_u32_e64 s[12:13], 8, v49
	v_cndmask_b32_e64 v38, v52, v38, s[12:13]
	v_cndmask_b32_e64 v48, v48, v50, s[12:13]
	v_lshlrev_b32_e32 v34, 16, v34
	v_bfrev_b32_e32 v49, 60
	v_lshlrev_b32_e32 v48, 20, v48
	v_and_b32_e32 v34, 0x80000000, v34
	v_lshl_add_u32 v38, v38, 23, v49
	v_or3_b32 v48, v34, v38, v48
.LBB506_98:
	s_or_b64 exec, exec, s[26:27]
.LBB506_99:
	s_or_b64 exec, exec, s[24:25]
.LBB506_100:
	s_or_b64 exec, exec, s[14:15]
	s_movk_i32 s11, 0xff
	v_and_b32_sdwa v38, v37, s11 dst_sel:DWORD dst_unused:UNUSED_PAD src0_sel:WORD_1 src1_sel:DWORD
	v_lshrrev_b32_e32 v34, 16, v37
	v_cmp_ne_u16_e64 s[12:13], 0, v38
	s_and_saveexec_b64 s[14:15], s[12:13]
	s_cbranch_execz .LBB506_106
; %bb.101:
	s_movk_i32 s11, 0x80
	v_cmp_ne_u16_e64 s[12:13], s11, v38
	v_bfrev_b32_e32 v47, 1
	s_and_saveexec_b64 s[24:25], s[12:13]
	s_cbranch_execz .LBB506_105
; %bb.102:
	v_bfe_u32 v38, v37, 16, 7
	s_movk_i32 s11, 0x7f
	v_cmp_ne_u32_e64 s[12:13], s11, v38
	v_mov_b32_e32 v47, 0x7f800001
	s_and_saveexec_b64 s[26:27], s[12:13]
	s_cbranch_execz .LBB506_104
; %bb.103:
	v_and_b32_e32 v47, 7, v34
	v_ffbh_u32_e32 v50, v47
	v_min_u32_e32 v52, 32, v50
	v_subrev_u32_e32 v50, 28, v52
	v_lshlrev_b64 v[50:51], v50, v[34:35]
	v_and_b32_e32 v50, 7, v50
	v_cmp_gt_u32_e64 s[12:13], 8, v38
	v_lshrrev_b32_e32 v49, 3, v38
	v_sub_u32_e32 v34, 29, v52
	v_cndmask_b32_e64 v38, v47, v50, s[12:13]
	v_mov_b32_e32 v47, 24
	v_cndmask_b32_e64 v34, v49, v34, s[12:13]
	v_lshlrev_b32_sdwa v47, v47, v37 dst_sel:DWORD dst_unused:UNUSED_PAD src0_sel:DWORD src1_sel:WORD_1
	v_bfrev_b32_e32 v49, 60
	v_lshlrev_b32_e32 v38, 20, v38
	v_and_b32_e32 v47, 0x80000000, v47
	v_lshl_add_u32 v34, v34, 23, v49
	v_or3_b32 v47, v47, v34, v38
.LBB506_104:
	s_or_b64 exec, exec, s[26:27]
.LBB506_105:
	s_or_b64 exec, exec, s[24:25]
.LBB506_106:
	s_or_b64 exec, exec, s[14:15]
	s_mov_b32 s12, -1
	s_mov_b32 s13, 0xffffff
	v_cmp_lt_u64_e64 s[12:13], s[12:13], v[36:37]
	v_mov_b32_e32 v38, 0
	v_mov_b32_e32 v36, 0
	s_and_saveexec_b64 s[14:15], s[12:13]
	s_cbranch_execz .LBB506_112
; %bb.107:
	v_lshrrev_b32_e32 v34, 24, v37
	s_movk_i32 s11, 0x80
	v_cmp_ne_u32_e64 s[12:13], s11, v34
	v_bfrev_b32_e32 v36, 1
	s_and_saveexec_b64 s[24:25], s[12:13]
	s_cbranch_execz .LBB506_111
; %bb.108:
	v_bfe_u32 v37, v37, 24, 7
	s_movk_i32 s11, 0x7f
	v_cmp_ne_u32_e64 s[12:13], s11, v37
	v_mov_b32_e32 v36, 0x7f800001
	s_and_saveexec_b64 s[26:27], s[12:13]
	s_cbranch_execz .LBB506_110
; %bb.109:
	v_and_b32_e32 v36, 7, v34
	v_ffbh_u32_e32 v50, v36
	v_min_u32_e32 v52, 32, v50
	v_subrev_u32_e32 v50, 28, v52
	v_lshlrev_b64 v[50:51], v50, v[34:35]
	v_lshrrev_b32_e32 v49, 3, v37
	v_sub_u32_e32 v51, 29, v52
	v_and_b32_e32 v50, 7, v50
	v_cmp_gt_u32_e64 s[12:13], 8, v37
	v_cndmask_b32_e64 v37, v49, v51, s[12:13]
	v_cndmask_b32_e64 v36, v36, v50, s[12:13]
	v_lshlrev_b32_e32 v34, 24, v34
	v_bfrev_b32_e32 v49, 60
	v_lshlrev_b32_e32 v36, 20, v36
	v_and_b32_e32 v34, 0x80000000, v34
	v_lshl_add_u32 v37, v37, 23, v49
	v_or3_b32 v36, v34, v37, v36
.LBB506_110:
	s_or_b64 exec, exec, s[26:27]
.LBB506_111:
	s_or_b64 exec, exec, s[24:25]
.LBB506_112:
	s_or_b64 exec, exec, s[14:15]
	v_cvt_pkrtz_f16_f32 v40, v40, v41
	v_cvt_pkrtz_f16_f32 v41, v39, v46
	;; [unrolled: 1-line block ×4, first 2 shown]
	v_mfma_f32_4x4x4f16 a[0:3], v[2:3], v[40:41], a[0:3] cbsz:4 abid:1
	v_cmp_ne_u16_sdwa s[12:13], v30, v38 src0_sel:BYTE_0 src1_sel:DWORD
	v_mfma_f32_4x4x4f16 a[0:3], v[4:5], v[34:35], a[0:3] cbsz:4 abid:1
	s_and_saveexec_b64 s[14:15], s[12:13]
	s_cbranch_execz .LBB506_118
; %bb.113:
	s_movk_i32 s11, 0x80
	v_cmp_ne_u16_sdwa s[12:13], v30, s11 src0_sel:BYTE_0 src1_sel:DWORD
	v_bfrev_b32_e32 v38, 1
	s_and_saveexec_b64 s[24:25], s[12:13]
	s_cbranch_execz .LBB506_117
; %bb.114:
	s_movk_i32 s11, 0x7f
	v_and_b32_e32 v34, 0x7f, v30
	v_cmp_ne_u32_e64 s[12:13], s11, v34
	v_mov_b32_e32 v38, 0x7f800001
	s_and_saveexec_b64 s[26:27], s[12:13]
	s_cbranch_execz .LBB506_116
; %bb.115:
	v_and_b32_e32 v35, 7, v30
	v_ffbh_u32_e32 v35, v35
	v_min_u32_e32 v35, 32, v35
	v_subrev_u32_e32 v37, 28, v35
	v_cmp_gt_u32_e64 s[12:13], 8, v34
	v_lshrrev_b32_e32 v36, 3, v34
	v_sub_u32_e32 v35, 29, v35
	v_cndmask_b32_e64 v34, 0, v37, s[12:13]
	v_cndmask_b32_e64 v36, v36, v35, s[12:13]
	v_lshlrev_b64 v[34:35], v34, v[30:31]
	v_lshlrev_b32_e32 v34, 20, v34
	v_lshlrev_b32_e32 v35, 24, v30
	v_bfrev_b32_e32 v37, 60
	v_and_b32_e32 v34, 0x700000, v34
	v_and_b32_e32 v35, 0x80000000, v35
	v_lshl_add_u32 v36, v36, 23, v37
	v_or3_b32 v38, v35, v36, v34
.LBB506_116:
	s_or_b64 exec, exec, s[26:27]
.LBB506_117:
	s_or_b64 exec, exec, s[24:25]
.LBB506_118:
	s_or_b64 exec, exec, s[14:15]
	v_lshrrev_b16_e32 v34, 8, v30
	v_cmp_ne_u16_e64 s[12:13], 0, v34
	v_mov_b32_e32 v37, 0
	v_mov_b32_e32 v39, 0
	s_and_saveexec_b64 s[14:15], s[12:13]
	s_cbranch_execz .LBB506_124
; %bb.119:
	s_movk_i32 s11, 0x80
	v_cmp_ne_u16_e64 s[12:13], s11, v34
	v_bfrev_b32_e32 v39, 1
	s_and_saveexec_b64 s[24:25], s[12:13]
	s_cbranch_execz .LBB506_123
; %bb.120:
	s_movk_i32 s11, 0x7f
	v_and_b32_e32 v35, 0x7f, v34
	v_cmp_ne_u32_e64 s[12:13], s11, v35
	v_mov_b32_e32 v39, 0x7f800001
	s_and_saveexec_b64 s[26:27], s[12:13]
	s_cbranch_execz .LBB506_122
; %bb.121:
	v_and_b32_e32 v36, 7, v34
	v_ffbh_u32_e32 v40, v36
	v_min_u32_e32 v46, 32, v40
	v_subrev_u32_e32 v40, 28, v46
	v_lshlrev_b64 v[40:41], v40, v[34:35]
	v_lshrrev_b32_e32 v39, 3, v35
	v_sub_u32_e32 v34, 29, v46
	v_and_b32_e32 v40, 7, v40
	v_cmp_gt_u32_e64 s[12:13], 8, v35
	v_cndmask_b32_e64 v34, v39, v34, s[12:13]
	v_cndmask_b32_e64 v35, v36, v40, s[12:13]
	v_lshlrev_b32_e32 v36, 16, v30
	v_bfrev_b32_e32 v39, 60
	v_lshlrev_b32_e32 v35, 20, v35
	v_and_b32_e32 v36, 0x80000000, v36
	v_lshl_add_u32 v34, v34, 23, v39
	v_or3_b32 v39, v36, v34, v35
.LBB506_122:
	s_or_b64 exec, exec, s[26:27]
.LBB506_123:
	s_or_b64 exec, exec, s[24:25]
.LBB506_124:
	s_or_b64 exec, exec, s[14:15]
	s_movk_i32 s11, 0xff
	v_and_b32_sdwa v35, v30, s11 dst_sel:DWORD dst_unused:UNUSED_PAD src0_sel:WORD_1 src1_sel:DWORD
	v_lshrrev_b32_e32 v34, 16, v30
	v_cmp_ne_u16_e64 s[12:13], 0, v35
	s_and_saveexec_b64 s[14:15], s[12:13]
	s_cbranch_execz .LBB506_130
; %bb.125:
	s_movk_i32 s11, 0x80
	v_cmp_ne_u16_e64 s[12:13], s11, v35
	v_bfrev_b32_e32 v37, 1
	s_and_saveexec_b64 s[24:25], s[12:13]
	s_cbranch_execz .LBB506_129
; %bb.126:
	v_bfe_u32 v35, v30, 16, 7
	s_movk_i32 s11, 0x7f
	v_cmp_ne_u32_e64 s[12:13], s11, v35
	v_mov_b32_e32 v37, 0x7f800001
	s_and_saveexec_b64 s[26:27], s[12:13]
	s_cbranch_execz .LBB506_128
; %bb.127:
	v_and_b32_e32 v40, 7, v34
	v_ffbh_u32_e32 v36, v40
	v_min_u32_e32 v46, 32, v36
	v_subrev_u32_e32 v36, 28, v46
	v_lshlrev_b64 v[36:37], v36, v[34:35]
	v_and_b32_e32 v36, 7, v36
	v_cmp_gt_u32_e64 s[12:13], 8, v35
	v_lshrrev_b32_e32 v41, 3, v35
	v_sub_u32_e32 v34, 29, v46
	v_cndmask_b32_e64 v35, v40, v36, s[12:13]
	v_mov_b32_e32 v36, 24
	v_cndmask_b32_e64 v34, v41, v34, s[12:13]
	v_lshlrev_b32_sdwa v36, v36, v30 dst_sel:DWORD dst_unused:UNUSED_PAD src0_sel:DWORD src1_sel:WORD_1
	v_bfrev_b32_e32 v37, 60
	v_lshlrev_b32_e32 v35, 20, v35
	v_and_b32_e32 v36, 0x80000000, v36
	v_lshl_add_u32 v34, v34, 23, v37
	v_or3_b32 v37, v36, v34, v35
.LBB506_128:
	s_or_b64 exec, exec, s[26:27]
.LBB506_129:
	s_or_b64 exec, exec, s[24:25]
.LBB506_130:
	s_or_b64 exec, exec, s[14:15]
	s_mov_b32 s11, 0xffffff
	v_cmp_lt_u32_e64 s[12:13], s11, v30
	v_mov_b32_e32 v35, 0
	v_mov_b32_e32 v40, 0
	s_and_saveexec_b64 s[14:15], s[12:13]
	s_cbranch_execz .LBB506_136
; %bb.131:
	v_lshrrev_b32_e32 v34, 24, v30
	s_movk_i32 s11, 0x80
	v_cmp_ne_u32_e64 s[12:13], s11, v34
	v_bfrev_b32_e32 v40, 1
	s_and_saveexec_b64 s[24:25], s[12:13]
	s_cbranch_execz .LBB506_135
; %bb.132:
	v_bfe_u32 v36, v30, 24, 7
	s_movk_i32 s11, 0x7f
	v_cmp_ne_u32_e64 s[12:13], s11, v36
	v_mov_b32_e32 v40, 0x7f800001
	s_and_saveexec_b64 s[26:27], s[12:13]
	s_cbranch_execz .LBB506_134
; %bb.133:
	v_and_b32_e32 v46, 7, v34
	v_ffbh_u32_e32 v40, v46
	v_min_u32_e32 v48, 32, v40
	v_subrev_u32_e32 v40, 28, v48
	v_lshlrev_b64 v[40:41], v40, v[34:35]
	v_lshrrev_b32_e32 v47, 3, v36
	v_sub_u32_e32 v41, 29, v48
	v_and_b32_e32 v40, 7, v40
	v_cmp_gt_u32_e64 s[12:13], 8, v36
	v_cndmask_b32_e64 v36, v47, v41, s[12:13]
	v_cndmask_b32_e64 v40, v46, v40, s[12:13]
	v_lshlrev_b32_e32 v34, 24, v34
	v_bfrev_b32_e32 v41, 60
	v_lshlrev_b32_e32 v40, 20, v40
	v_and_b32_e32 v34, 0x80000000, v34
	v_lshl_add_u32 v36, v36, 23, v41
	v_or3_b32 v40, v34, v36, v40
.LBB506_134:
	s_or_b64 exec, exec, s[26:27]
.LBB506_135:
	s_or_b64 exec, exec, s[24:25]
.LBB506_136:
	s_or_b64 exec, exec, s[14:15]
	v_mov_b32_e32 v34, v31
	v_cmp_ne_u16_sdwa s[12:13], v31, v35 src0_sel:BYTE_0 src1_sel:DWORD
	s_and_saveexec_b64 s[14:15], s[12:13]
	s_cbranch_execz .LBB506_142
; %bb.137:
	s_movk_i32 s11, 0x80
	v_cmp_ne_u16_sdwa s[12:13], v31, s11 src0_sel:BYTE_0 src1_sel:DWORD
	v_bfrev_b32_e32 v36, 1
	s_and_saveexec_b64 s[24:25], s[12:13]
	s_cbranch_execz .LBB506_141
; %bb.138:
	s_movk_i32 s11, 0x7f
	v_and_b32_e32 v41, 0x7f, v31
	v_cmp_ne_u32_e64 s[12:13], s11, v41
	v_mov_b32_e32 v36, 0x7f800001
	s_and_saveexec_b64 s[26:27], s[12:13]
	s_cbranch_execz .LBB506_140
; %bb.139:
	v_and_b32_e32 v36, 7, v31
	v_ffbh_u32_e32 v36, v36
	v_min_u32_e32 v36, 32, v36
	v_subrev_u32_e32 v47, 28, v36
	v_cmp_gt_u32_e64 s[12:13], 8, v41
	v_lshrrev_b32_e32 v46, 3, v41
	v_sub_u32_e32 v36, 29, v36
	v_cndmask_b32_e64 v41, 0, v47, s[12:13]
	v_cndmask_b32_e64 v36, v46, v36, s[12:13]
	v_lshlrev_b64 v[46:47], v41, v[34:35]
	v_lshlrev_b32_e32 v35, 20, v46
	v_lshlrev_b32_e32 v41, 24, v34
	v_bfrev_b32_e32 v46, 60
	v_and_b32_e32 v35, 0x700000, v35
	v_and_b32_e32 v41, 0x80000000, v41
	v_lshl_add_u32 v36, v36, 23, v46
	v_or3_b32 v36, v41, v36, v35
.LBB506_140:
	s_or_b64 exec, exec, s[26:27]
.LBB506_141:
	s_or_b64 exec, exec, s[24:25]
	v_mov_b32_e32 v35, v36
.LBB506_142:
	s_or_b64 exec, exec, s[14:15]
	v_lshrrev_b16_e32 v36, 8, v34
	v_cmp_ne_u16_e64 s[12:13], 0, v36
	v_mov_b32_e32 v41, 0
	v_mov_b32_e32 v46, 0
	s_and_saveexec_b64 s[14:15], s[12:13]
	s_cbranch_execz .LBB506_148
; %bb.143:
	s_movk_i32 s11, 0x80
	v_cmp_ne_u16_e64 s[12:13], s11, v36
	v_bfrev_b32_e32 v46, 1
	s_and_saveexec_b64 s[24:25], s[12:13]
	s_cbranch_execz .LBB506_147
; %bb.144:
	s_movk_i32 s11, 0x7f
	v_and_b32_e32 v47, 0x7f, v36
	v_cmp_ne_u32_e64 s[12:13], s11, v47
	v_mov_b32_e32 v46, 0x7f800001
	s_and_saveexec_b64 s[26:27], s[12:13]
	s_cbranch_execz .LBB506_146
; %bb.145:
	v_and_b32_e32 v46, 7, v36
	v_ffbh_u32_e32 v48, v46
	v_min_u32_e32 v51, 32, v48
	v_subrev_u32_e32 v48, 28, v51
	v_lshlrev_b64 v[48:49], v48, v[36:37]
	v_lshrrev_b32_e32 v50, 3, v47
	v_sub_u32_e32 v36, 29, v51
	v_and_b32_e32 v48, 7, v48
	v_cmp_gt_u32_e64 s[12:13], 8, v47
	v_cndmask_b32_e64 v36, v50, v36, s[12:13]
	v_cndmask_b32_e64 v46, v46, v48, s[12:13]
	v_lshlrev_b32_e32 v34, 16, v34
	v_bfrev_b32_e32 v47, 60
	v_lshlrev_b32_e32 v46, 20, v46
	v_and_b32_e32 v34, 0x80000000, v34
	v_lshl_add_u32 v36, v36, 23, v47
	v_or3_b32 v46, v34, v36, v46
.LBB506_146:
	s_or_b64 exec, exec, s[26:27]
.LBB506_147:
	s_or_b64 exec, exec, s[24:25]
.LBB506_148:
	s_or_b64 exec, exec, s[14:15]
	s_movk_i32 s11, 0xff
	v_and_b32_sdwa v36, v31, s11 dst_sel:DWORD dst_unused:UNUSED_PAD src0_sel:WORD_1 src1_sel:DWORD
	v_lshrrev_b32_e32 v34, 16, v31
	v_cmp_ne_u16_e64 s[12:13], 0, v36
	s_and_saveexec_b64 s[14:15], s[12:13]
	s_cbranch_execz .LBB506_154
; %bb.149:
	s_movk_i32 s11, 0x80
	v_cmp_ne_u16_e64 s[12:13], s11, v36
	v_bfrev_b32_e32 v41, 1
	s_and_saveexec_b64 s[24:25], s[12:13]
	s_cbranch_execz .LBB506_153
; %bb.150:
	v_bfe_u32 v36, v31, 16, 7
	s_movk_i32 s11, 0x7f
	v_cmp_ne_u32_e64 s[12:13], s11, v36
	v_mov_b32_e32 v41, 0x7f800001
	s_and_saveexec_b64 s[26:27], s[12:13]
	s_cbranch_execz .LBB506_152
; %bb.151:
	v_and_b32_e32 v41, 7, v34
	v_ffbh_u32_e32 v48, v41
	v_min_u32_e32 v50, 32, v48
	v_subrev_u32_e32 v48, 28, v50
	v_lshlrev_b64 v[48:49], v48, v[34:35]
	v_and_b32_e32 v48, 7, v48
	v_cmp_gt_u32_e64 s[12:13], 8, v36
	v_lshrrev_b32_e32 v47, 3, v36
	v_sub_u32_e32 v34, 29, v50
	v_cndmask_b32_e64 v36, v41, v48, s[12:13]
	v_mov_b32_e32 v41, 24
	v_cndmask_b32_e64 v34, v47, v34, s[12:13]
	v_lshlrev_b32_sdwa v41, v41, v31 dst_sel:DWORD dst_unused:UNUSED_PAD src0_sel:DWORD src1_sel:WORD_1
	v_bfrev_b32_e32 v47, 60
	v_lshlrev_b32_e32 v36, 20, v36
	v_and_b32_e32 v41, 0x80000000, v41
	v_lshl_add_u32 v34, v34, 23, v47
	v_or3_b32 v41, v41, v34, v36
.LBB506_152:
	s_or_b64 exec, exec, s[26:27]
.LBB506_153:
	s_or_b64 exec, exec, s[24:25]
.LBB506_154:
	s_or_b64 exec, exec, s[14:15]
	s_mov_b32 s12, -1
	s_mov_b32 s13, 0xffffff
	v_cmp_lt_u64_e64 s[12:13], s[12:13], v[30:31]
	v_mov_b32_e32 v36, 0
	v_mov_b32_e32 v34, 0
	s_and_saveexec_b64 s[14:15], s[12:13]
	s_cbranch_execz .LBB506_160
; %bb.155:
	v_lshrrev_b32_e32 v30, 24, v31
	s_movk_i32 s11, 0x80
	v_cmp_ne_u32_e64 s[12:13], s11, v30
	v_bfrev_b32_e32 v34, 1
	s_and_saveexec_b64 s[24:25], s[12:13]
	s_cbranch_execz .LBB506_159
; %bb.156:
	v_bfe_u32 v31, v31, 24, 7
	s_movk_i32 s11, 0x7f
	v_cmp_ne_u32_e64 s[12:13], s11, v31
	v_mov_b32_e32 v34, 0x7f800001
	s_and_saveexec_b64 s[26:27], s[12:13]
	s_cbranch_execz .LBB506_158
; %bb.157:
	v_and_b32_e32 v34, 7, v30
	v_ffbh_u32_e32 v48, v34
	v_min_u32_e32 v50, 32, v48
	v_subrev_u32_e32 v48, 28, v50
	v_lshlrev_b64 v[48:49], v48, v[30:31]
	v_lshrrev_b32_e32 v47, 3, v31
	v_sub_u32_e32 v49, 29, v50
	v_and_b32_e32 v48, 7, v48
	v_cmp_gt_u32_e64 s[12:13], 8, v31
	v_cndmask_b32_e64 v31, v47, v49, s[12:13]
	v_cndmask_b32_e64 v34, v34, v48, s[12:13]
	v_lshlrev_b32_e32 v30, 24, v30
	v_bfrev_b32_e32 v47, 60
	v_lshlrev_b32_e32 v34, 20, v34
	v_and_b32_e32 v30, 0x80000000, v30
	v_lshl_add_u32 v31, v31, 23, v47
	v_or3_b32 v34, v30, v31, v34
.LBB506_158:
	s_or_b64 exec, exec, s[26:27]
.LBB506_159:
	s_or_b64 exec, exec, s[24:25]
.LBB506_160:
	s_or_b64 exec, exec, s[14:15]
	v_cvt_pkrtz_f16_f32 v30, v38, v39
	v_cvt_pkrtz_f16_f32 v31, v37, v40
	;; [unrolled: 1-line block ×4, first 2 shown]
	v_mfma_f32_4x4x4f16 a[0:3], v[2:3], v[30:31], a[0:3] cbsz:4 abid:2
	v_cmp_ne_u16_sdwa s[12:13], v32, v36 src0_sel:BYTE_0 src1_sel:DWORD
	v_mfma_f32_4x4x4f16 a[0:3], v[4:5], v[38:39], a[0:3] cbsz:4 abid:2
	s_and_saveexec_b64 s[14:15], s[12:13]
	s_cbranch_execz .LBB506_166
; %bb.161:
	s_movk_i32 s11, 0x80
	v_cmp_ne_u16_sdwa s[12:13], v32, s11 src0_sel:BYTE_0 src1_sel:DWORD
	v_bfrev_b32_e32 v36, 1
	s_and_saveexec_b64 s[24:25], s[12:13]
	s_cbranch_execz .LBB506_165
; %bb.162:
	s_movk_i32 s11, 0x7f
	v_and_b32_e32 v30, 0x7f, v32
	v_cmp_ne_u32_e64 s[12:13], s11, v30
	v_mov_b32_e32 v36, 0x7f800001
	s_and_saveexec_b64 s[26:27], s[12:13]
	s_cbranch_execz .LBB506_164
; %bb.163:
	v_and_b32_e32 v31, 7, v32
	v_ffbh_u32_e32 v31, v31
	v_min_u32_e32 v31, 32, v31
	v_subrev_u32_e32 v35, 28, v31
	v_cmp_gt_u32_e64 s[12:13], 8, v30
	v_lshrrev_b32_e32 v34, 3, v30
	v_sub_u32_e32 v31, 29, v31
	v_cndmask_b32_e64 v30, 0, v35, s[12:13]
	v_cndmask_b32_e64 v34, v34, v31, s[12:13]
	v_lshlrev_b64 v[30:31], v30, v[32:33]
	v_lshlrev_b32_e32 v30, 20, v30
	v_lshlrev_b32_e32 v31, 24, v32
	v_bfrev_b32_e32 v35, 60
	v_and_b32_e32 v30, 0x700000, v30
	v_and_b32_e32 v31, 0x80000000, v31
	v_lshl_add_u32 v34, v34, 23, v35
	v_or3_b32 v36, v31, v34, v30
.LBB506_164:
	s_or_b64 exec, exec, s[26:27]
.LBB506_165:
	s_or_b64 exec, exec, s[24:25]
.LBB506_166:
	s_or_b64 exec, exec, s[14:15]
	v_lshrrev_b16_e32 v30, 8, v32
	v_cmp_ne_u16_e64 s[12:13], 0, v30
	v_mov_b32_e32 v35, 0
	v_mov_b32_e32 v37, 0
	s_and_saveexec_b64 s[14:15], s[12:13]
	s_cbranch_execz .LBB506_172
; %bb.167:
	s_movk_i32 s11, 0x80
	v_cmp_ne_u16_e64 s[12:13], s11, v30
	v_bfrev_b32_e32 v37, 1
	s_and_saveexec_b64 s[24:25], s[12:13]
	s_cbranch_execz .LBB506_171
; %bb.168:
	s_movk_i32 s11, 0x7f
	v_and_b32_e32 v31, 0x7f, v30
	v_cmp_ne_u32_e64 s[12:13], s11, v31
	v_mov_b32_e32 v37, 0x7f800001
	s_and_saveexec_b64 s[26:27], s[12:13]
	s_cbranch_execz .LBB506_170
; %bb.169:
	v_and_b32_e32 v34, 7, v30
	v_ffbh_u32_e32 v38, v34
	v_min_u32_e32 v40, 32, v38
	v_subrev_u32_e32 v38, 28, v40
	v_lshlrev_b64 v[38:39], v38, v[30:31]
	v_lshrrev_b32_e32 v37, 3, v31
	v_sub_u32_e32 v30, 29, v40
	v_and_b32_e32 v38, 7, v38
	v_cmp_gt_u32_e64 s[12:13], 8, v31
	v_cndmask_b32_e64 v30, v37, v30, s[12:13]
	v_cndmask_b32_e64 v31, v34, v38, s[12:13]
	v_lshlrev_b32_e32 v34, 16, v32
	v_bfrev_b32_e32 v37, 60
	v_lshlrev_b32_e32 v31, 20, v31
	v_and_b32_e32 v34, 0x80000000, v34
	v_lshl_add_u32 v30, v30, 23, v37
	v_or3_b32 v37, v34, v30, v31
.LBB506_170:
	s_or_b64 exec, exec, s[26:27]
.LBB506_171:
	s_or_b64 exec, exec, s[24:25]
.LBB506_172:
	s_or_b64 exec, exec, s[14:15]
	s_movk_i32 s11, 0xff
	v_and_b32_sdwa v31, v32, s11 dst_sel:DWORD dst_unused:UNUSED_PAD src0_sel:WORD_1 src1_sel:DWORD
	v_lshrrev_b32_e32 v30, 16, v32
	v_cmp_ne_u16_e64 s[12:13], 0, v31
	s_and_saveexec_b64 s[14:15], s[12:13]
	s_cbranch_execz .LBB506_178
; %bb.173:
	s_movk_i32 s11, 0x80
	v_cmp_ne_u16_e64 s[12:13], s11, v31
	v_bfrev_b32_e32 v35, 1
	s_and_saveexec_b64 s[24:25], s[12:13]
	s_cbranch_execz .LBB506_177
; %bb.174:
	v_bfe_u32 v31, v32, 16, 7
	s_movk_i32 s11, 0x7f
	v_cmp_ne_u32_e64 s[12:13], s11, v31
	v_mov_b32_e32 v35, 0x7f800001
	s_and_saveexec_b64 s[26:27], s[12:13]
	s_cbranch_execz .LBB506_176
; %bb.175:
	v_and_b32_e32 v38, 7, v30
	v_ffbh_u32_e32 v34, v38
	v_min_u32_e32 v40, 32, v34
	v_subrev_u32_e32 v34, 28, v40
	v_lshlrev_b64 v[34:35], v34, v[30:31]
	v_and_b32_e32 v34, 7, v34
	v_cmp_gt_u32_e64 s[12:13], 8, v31
	v_lshrrev_b32_e32 v39, 3, v31
	v_sub_u32_e32 v30, 29, v40
	v_cndmask_b32_e64 v31, v38, v34, s[12:13]
	v_mov_b32_e32 v34, 24
	v_cndmask_b32_e64 v30, v39, v30, s[12:13]
	v_lshlrev_b32_sdwa v34, v34, v32 dst_sel:DWORD dst_unused:UNUSED_PAD src0_sel:DWORD src1_sel:WORD_1
	v_bfrev_b32_e32 v35, 60
	v_lshlrev_b32_e32 v31, 20, v31
	v_and_b32_e32 v34, 0x80000000, v34
	v_lshl_add_u32 v30, v30, 23, v35
	v_or3_b32 v35, v34, v30, v31
.LBB506_176:
	s_or_b64 exec, exec, s[26:27]
.LBB506_177:
	s_or_b64 exec, exec, s[24:25]
.LBB506_178:
	s_or_b64 exec, exec, s[14:15]
	s_mov_b32 s11, 0xffffff
	v_cmp_lt_u32_e64 s[12:13], s11, v32
	v_mov_b32_e32 v31, 0
	v_mov_b32_e32 v38, 0
	s_and_saveexec_b64 s[14:15], s[12:13]
	s_cbranch_execz .LBB506_184
; %bb.179:
	v_lshrrev_b32_e32 v30, 24, v32
	s_movk_i32 s11, 0x80
	v_cmp_ne_u32_e64 s[12:13], s11, v30
	v_bfrev_b32_e32 v38, 1
	s_and_saveexec_b64 s[24:25], s[12:13]
	s_cbranch_execz .LBB506_183
; %bb.180:
	v_bfe_u32 v34, v32, 24, 7
	s_movk_i32 s11, 0x7f
	v_cmp_ne_u32_e64 s[12:13], s11, v34
	v_mov_b32_e32 v38, 0x7f800001
	s_and_saveexec_b64 s[26:27], s[12:13]
	s_cbranch_execz .LBB506_182
; %bb.181:
	v_and_b32_e32 v40, 7, v30
	v_ffbh_u32_e32 v38, v40
	v_min_u32_e32 v46, 32, v38
	v_subrev_u32_e32 v38, 28, v46
	v_lshlrev_b64 v[38:39], v38, v[30:31]
	v_lshrrev_b32_e32 v41, 3, v34
	v_sub_u32_e32 v39, 29, v46
	v_and_b32_e32 v38, 7, v38
	v_cmp_gt_u32_e64 s[12:13], 8, v34
	v_cndmask_b32_e64 v34, v41, v39, s[12:13]
	v_cndmask_b32_e64 v38, v40, v38, s[12:13]
	v_lshlrev_b32_e32 v30, 24, v30
	v_bfrev_b32_e32 v39, 60
	v_lshlrev_b32_e32 v38, 20, v38
	v_and_b32_e32 v30, 0x80000000, v30
	v_lshl_add_u32 v34, v34, 23, v39
	v_or3_b32 v38, v30, v34, v38
.LBB506_182:
	s_or_b64 exec, exec, s[26:27]
.LBB506_183:
	s_or_b64 exec, exec, s[24:25]
.LBB506_184:
	s_or_b64 exec, exec, s[14:15]
	v_mov_b32_e32 v30, v33
	v_cmp_ne_u16_sdwa s[12:13], v33, v31 src0_sel:BYTE_0 src1_sel:DWORD
	s_and_saveexec_b64 s[14:15], s[12:13]
	s_cbranch_execz .LBB506_190
; %bb.185:
	s_movk_i32 s11, 0x80
	v_cmp_ne_u16_sdwa s[12:13], v33, s11 src0_sel:BYTE_0 src1_sel:DWORD
	v_bfrev_b32_e32 v34, 1
	s_and_saveexec_b64 s[24:25], s[12:13]
	s_cbranch_execz .LBB506_189
; %bb.186:
	s_movk_i32 s11, 0x7f
	v_and_b32_e32 v39, 0x7f, v33
	v_cmp_ne_u32_e64 s[12:13], s11, v39
	v_mov_b32_e32 v34, 0x7f800001
	s_and_saveexec_b64 s[26:27], s[12:13]
	s_cbranch_execz .LBB506_188
; %bb.187:
	v_and_b32_e32 v34, 7, v33
	v_ffbh_u32_e32 v34, v34
	v_min_u32_e32 v34, 32, v34
	v_subrev_u32_e32 v41, 28, v34
	v_cmp_gt_u32_e64 s[12:13], 8, v39
	v_lshrrev_b32_e32 v40, 3, v39
	v_sub_u32_e32 v34, 29, v34
	v_cndmask_b32_e64 v39, 0, v41, s[12:13]
	v_cndmask_b32_e64 v34, v40, v34, s[12:13]
	v_lshlrev_b64 v[40:41], v39, v[30:31]
	v_lshlrev_b32_e32 v31, 20, v40
	v_lshlrev_b32_e32 v39, 24, v30
	v_bfrev_b32_e32 v40, 60
	v_and_b32_e32 v31, 0x700000, v31
	v_and_b32_e32 v39, 0x80000000, v39
	v_lshl_add_u32 v34, v34, 23, v40
	v_or3_b32 v34, v39, v34, v31
.LBB506_188:
	s_or_b64 exec, exec, s[26:27]
.LBB506_189:
	s_or_b64 exec, exec, s[24:25]
	v_mov_b32_e32 v31, v34
.LBB506_190:
	s_or_b64 exec, exec, s[14:15]
	v_lshrrev_b16_e32 v34, 8, v30
	v_cmp_ne_u16_e64 s[12:13], 0, v34
	v_mov_b32_e32 v39, 0
	v_mov_b32_e32 v40, 0
	s_and_saveexec_b64 s[14:15], s[12:13]
	s_cbranch_execz .LBB506_196
; %bb.191:
	s_movk_i32 s11, 0x80
	v_cmp_ne_u16_e64 s[12:13], s11, v34
	v_bfrev_b32_e32 v40, 1
	s_and_saveexec_b64 s[24:25], s[12:13]
	s_cbranch_execz .LBB506_195
; %bb.192:
	s_movk_i32 s11, 0x7f
	v_and_b32_e32 v41, 0x7f, v34
	v_cmp_ne_u32_e64 s[12:13], s11, v41
	v_mov_b32_e32 v40, 0x7f800001
	s_and_saveexec_b64 s[26:27], s[12:13]
	s_cbranch_execz .LBB506_194
; %bb.193:
	v_and_b32_e32 v40, 7, v34
	v_ffbh_u32_e32 v46, v40
	v_min_u32_e32 v49, 32, v46
	v_subrev_u32_e32 v46, 28, v49
	v_lshlrev_b64 v[46:47], v46, v[34:35]
	v_lshrrev_b32_e32 v48, 3, v41
	v_sub_u32_e32 v34, 29, v49
	v_and_b32_e32 v46, 7, v46
	v_cmp_gt_u32_e64 s[12:13], 8, v41
	v_cndmask_b32_e64 v34, v48, v34, s[12:13]
	v_cndmask_b32_e64 v40, v40, v46, s[12:13]
	v_lshlrev_b32_e32 v30, 16, v30
	v_bfrev_b32_e32 v41, 60
	v_lshlrev_b32_e32 v40, 20, v40
	v_and_b32_e32 v30, 0x80000000, v30
	v_lshl_add_u32 v34, v34, 23, v41
	v_or3_b32 v40, v30, v34, v40
.LBB506_194:
	s_or_b64 exec, exec, s[26:27]
.LBB506_195:
	s_or_b64 exec, exec, s[24:25]
.LBB506_196:
	s_or_b64 exec, exec, s[14:15]
	s_movk_i32 s11, 0xff
	v_and_b32_sdwa v34, v33, s11 dst_sel:DWORD dst_unused:UNUSED_PAD src0_sel:WORD_1 src1_sel:DWORD
	v_lshrrev_b32_e32 v30, 16, v33
	v_cmp_ne_u16_e64 s[12:13], 0, v34
	s_and_saveexec_b64 s[14:15], s[12:13]
	s_cbranch_execz .LBB506_202
; %bb.197:
	s_movk_i32 s11, 0x80
	v_cmp_ne_u16_e64 s[12:13], s11, v34
	v_bfrev_b32_e32 v39, 1
	s_and_saveexec_b64 s[24:25], s[12:13]
	s_cbranch_execz .LBB506_201
; %bb.198:
	v_bfe_u32 v34, v33, 16, 7
	s_movk_i32 s11, 0x7f
	v_cmp_ne_u32_e64 s[12:13], s11, v34
	v_mov_b32_e32 v39, 0x7f800001
	s_and_saveexec_b64 s[26:27], s[12:13]
	s_cbranch_execz .LBB506_200
; %bb.199:
	v_and_b32_e32 v39, 7, v30
	v_ffbh_u32_e32 v46, v39
	v_min_u32_e32 v48, 32, v46
	v_subrev_u32_e32 v46, 28, v48
	v_lshlrev_b64 v[46:47], v46, v[30:31]
	v_and_b32_e32 v46, 7, v46
	v_cmp_gt_u32_e64 s[12:13], 8, v34
	v_lshrrev_b32_e32 v41, 3, v34
	v_sub_u32_e32 v30, 29, v48
	v_cndmask_b32_e64 v34, v39, v46, s[12:13]
	v_mov_b32_e32 v39, 24
	v_cndmask_b32_e64 v30, v41, v30, s[12:13]
	v_lshlrev_b32_sdwa v39, v39, v33 dst_sel:DWORD dst_unused:UNUSED_PAD src0_sel:DWORD src1_sel:WORD_1
	v_bfrev_b32_e32 v41, 60
	v_lshlrev_b32_e32 v34, 20, v34
	v_and_b32_e32 v39, 0x80000000, v39
	v_lshl_add_u32 v30, v30, 23, v41
	v_or3_b32 v39, v39, v30, v34
.LBB506_200:
	s_or_b64 exec, exec, s[26:27]
.LBB506_201:
	s_or_b64 exec, exec, s[24:25]
.LBB506_202:
	s_or_b64 exec, exec, s[14:15]
	s_mov_b32 s12, -1
	s_mov_b32 s13, 0xffffff
	v_cmp_lt_u64_e64 s[12:13], s[12:13], v[32:33]
	v_mov_b32_e32 v34, 0
	v_mov_b32_e32 v32, 0
	s_and_saveexec_b64 s[14:15], s[12:13]
	s_cbranch_execz .LBB506_208
; %bb.203:
	v_lshrrev_b32_e32 v30, 24, v33
	s_movk_i32 s11, 0x80
	v_cmp_ne_u32_e64 s[12:13], s11, v30
	v_bfrev_b32_e32 v32, 1
	s_and_saveexec_b64 s[24:25], s[12:13]
	s_cbranch_execz .LBB506_207
; %bb.204:
	v_bfe_u32 v33, v33, 24, 7
	s_movk_i32 s11, 0x7f
	v_cmp_ne_u32_e64 s[12:13], s11, v33
	v_mov_b32_e32 v32, 0x7f800001
	s_and_saveexec_b64 s[26:27], s[12:13]
	s_cbranch_execz .LBB506_206
; %bb.205:
	v_and_b32_e32 v32, 7, v30
	v_ffbh_u32_e32 v46, v32
	v_min_u32_e32 v48, 32, v46
	v_subrev_u32_e32 v46, 28, v48
	v_lshlrev_b64 v[46:47], v46, v[30:31]
	v_lshrrev_b32_e32 v41, 3, v33
	v_sub_u32_e32 v47, 29, v48
	v_and_b32_e32 v46, 7, v46
	v_cmp_gt_u32_e64 s[12:13], 8, v33
	v_cndmask_b32_e64 v33, v41, v47, s[12:13]
	v_cndmask_b32_e64 v32, v32, v46, s[12:13]
	v_lshlrev_b32_e32 v30, 24, v30
	v_bfrev_b32_e32 v41, 60
	v_lshlrev_b32_e32 v32, 20, v32
	v_and_b32_e32 v30, 0x80000000, v30
	v_lshl_add_u32 v33, v33, 23, v41
	v_or3_b32 v32, v30, v33, v32
.LBB506_206:
	s_or_b64 exec, exec, s[26:27]
.LBB506_207:
	s_or_b64 exec, exec, s[24:25]
.LBB506_208:
	s_or_b64 exec, exec, s[14:15]
	v_cvt_pkrtz_f16_f32 v36, v36, v37
	v_cvt_pkrtz_f16_f32 v37, v35, v38
	;; [unrolled: 1-line block ×4, first 2 shown]
	v_mfma_f32_4x4x4f16 a[0:3], v[2:3], v[36:37], a[0:3] cbsz:4 abid:3
	v_cmp_ne_u16_sdwa s[12:13], v26, v34 src0_sel:BYTE_0 src1_sel:DWORD
	v_mfma_f32_4x4x4f16 a[0:3], v[4:5], v[30:31], a[0:3] cbsz:4 abid:3
	s_and_saveexec_b64 s[14:15], s[12:13]
	s_cbranch_execz .LBB506_214
; %bb.209:
	s_movk_i32 s11, 0x80
	v_cmp_ne_u16_sdwa s[12:13], v26, s11 src0_sel:BYTE_0 src1_sel:DWORD
	v_bfrev_b32_e32 v34, 1
	s_and_saveexec_b64 s[24:25], s[12:13]
	s_cbranch_execz .LBB506_213
; %bb.210:
	s_movk_i32 s11, 0x7f
	v_and_b32_e32 v30, 0x7f, v26
	v_cmp_ne_u32_e64 s[12:13], s11, v30
	v_mov_b32_e32 v34, 0x7f800001
	s_and_saveexec_b64 s[26:27], s[12:13]
	s_cbranch_execz .LBB506_212
; %bb.211:
	v_and_b32_e32 v31, 7, v26
	v_ffbh_u32_e32 v31, v31
	v_min_u32_e32 v31, 32, v31
	v_subrev_u32_e32 v33, 28, v31
	v_cmp_gt_u32_e64 s[12:13], 8, v30
	v_lshrrev_b32_e32 v32, 3, v30
	v_sub_u32_e32 v31, 29, v31
	v_cndmask_b32_e64 v30, 0, v33, s[12:13]
	v_cndmask_b32_e64 v32, v32, v31, s[12:13]
	v_lshlrev_b64 v[30:31], v30, v[26:27]
	v_lshlrev_b32_e32 v30, 20, v30
	v_lshlrev_b32_e32 v31, 24, v26
	v_bfrev_b32_e32 v33, 60
	v_and_b32_e32 v30, 0x700000, v30
	v_and_b32_e32 v31, 0x80000000, v31
	v_lshl_add_u32 v32, v32, 23, v33
	v_or3_b32 v34, v31, v32, v30
.LBB506_212:
	s_or_b64 exec, exec, s[26:27]
.LBB506_213:
	s_or_b64 exec, exec, s[24:25]
.LBB506_214:
	s_or_b64 exec, exec, s[14:15]
	v_lshrrev_b16_e32 v30, 8, v26
	v_cmp_ne_u16_e64 s[12:13], 0, v30
	v_mov_b32_e32 v33, 0
	v_mov_b32_e32 v35, 0
	s_and_saveexec_b64 s[14:15], s[12:13]
	s_cbranch_execz .LBB506_220
; %bb.215:
	s_movk_i32 s11, 0x80
	v_cmp_ne_u16_e64 s[12:13], s11, v30
	v_bfrev_b32_e32 v35, 1
	s_and_saveexec_b64 s[24:25], s[12:13]
	s_cbranch_execz .LBB506_219
; %bb.216:
	s_movk_i32 s11, 0x7f
	v_and_b32_e32 v31, 0x7f, v30
	v_cmp_ne_u32_e64 s[12:13], s11, v31
	v_mov_b32_e32 v35, 0x7f800001
	s_and_saveexec_b64 s[26:27], s[12:13]
	s_cbranch_execz .LBB506_218
; %bb.217:
	v_and_b32_e32 v32, 7, v30
	v_ffbh_u32_e32 v36, v32
	v_min_u32_e32 v38, 32, v36
	v_subrev_u32_e32 v36, 28, v38
	v_lshlrev_b64 v[36:37], v36, v[30:31]
	v_lshrrev_b32_e32 v35, 3, v31
	v_sub_u32_e32 v30, 29, v38
	v_and_b32_e32 v36, 7, v36
	v_cmp_gt_u32_e64 s[12:13], 8, v31
	v_cndmask_b32_e64 v30, v35, v30, s[12:13]
	v_cndmask_b32_e64 v31, v32, v36, s[12:13]
	v_lshlrev_b32_e32 v32, 16, v26
	v_bfrev_b32_e32 v35, 60
	v_lshlrev_b32_e32 v31, 20, v31
	v_and_b32_e32 v32, 0x80000000, v32
	v_lshl_add_u32 v30, v30, 23, v35
	v_or3_b32 v35, v32, v30, v31
.LBB506_218:
	s_or_b64 exec, exec, s[26:27]
.LBB506_219:
	s_or_b64 exec, exec, s[24:25]
.LBB506_220:
	s_or_b64 exec, exec, s[14:15]
	s_movk_i32 s11, 0xff
	v_and_b32_sdwa v31, v26, s11 dst_sel:DWORD dst_unused:UNUSED_PAD src0_sel:WORD_1 src1_sel:DWORD
	v_lshrrev_b32_e32 v30, 16, v26
	v_cmp_ne_u16_e64 s[12:13], 0, v31
	s_and_saveexec_b64 s[14:15], s[12:13]
	s_cbranch_execz .LBB506_226
; %bb.221:
	s_movk_i32 s11, 0x80
	v_cmp_ne_u16_e64 s[12:13], s11, v31
	v_bfrev_b32_e32 v33, 1
	s_and_saveexec_b64 s[24:25], s[12:13]
	s_cbranch_execz .LBB506_225
; %bb.222:
	v_bfe_u32 v31, v26, 16, 7
	s_movk_i32 s11, 0x7f
	v_cmp_ne_u32_e64 s[12:13], s11, v31
	v_mov_b32_e32 v33, 0x7f800001
	s_and_saveexec_b64 s[26:27], s[12:13]
	s_cbranch_execz .LBB506_224
; %bb.223:
	v_and_b32_e32 v36, 7, v30
	v_ffbh_u32_e32 v32, v36
	v_min_u32_e32 v38, 32, v32
	v_subrev_u32_e32 v32, 28, v38
	v_lshlrev_b64 v[32:33], v32, v[30:31]
	v_and_b32_e32 v32, 7, v32
	v_cmp_gt_u32_e64 s[12:13], 8, v31
	v_lshrrev_b32_e32 v37, 3, v31
	v_sub_u32_e32 v30, 29, v38
	v_cndmask_b32_e64 v31, v36, v32, s[12:13]
	v_mov_b32_e32 v32, 24
	v_cndmask_b32_e64 v30, v37, v30, s[12:13]
	v_lshlrev_b32_sdwa v32, v32, v26 dst_sel:DWORD dst_unused:UNUSED_PAD src0_sel:DWORD src1_sel:WORD_1
	v_bfrev_b32_e32 v33, 60
	v_lshlrev_b32_e32 v31, 20, v31
	v_and_b32_e32 v32, 0x80000000, v32
	v_lshl_add_u32 v30, v30, 23, v33
	v_or3_b32 v33, v32, v30, v31
.LBB506_224:
	s_or_b64 exec, exec, s[26:27]
.LBB506_225:
	s_or_b64 exec, exec, s[24:25]
.LBB506_226:
	s_or_b64 exec, exec, s[14:15]
	s_mov_b32 s11, 0xffffff
	v_cmp_lt_u32_e64 s[12:13], s11, v26
	v_mov_b32_e32 v31, 0
	v_mov_b32_e32 v36, 0
	s_and_saveexec_b64 s[14:15], s[12:13]
	s_cbranch_execz .LBB506_232
; %bb.227:
	v_lshrrev_b32_e32 v30, 24, v26
	s_movk_i32 s11, 0x80
	v_cmp_ne_u32_e64 s[12:13], s11, v30
	v_bfrev_b32_e32 v36, 1
	s_and_saveexec_b64 s[24:25], s[12:13]
	s_cbranch_execz .LBB506_231
; %bb.228:
	v_bfe_u32 v32, v26, 24, 7
	s_movk_i32 s11, 0x7f
	v_cmp_ne_u32_e64 s[12:13], s11, v32
	v_mov_b32_e32 v36, 0x7f800001
	s_and_saveexec_b64 s[26:27], s[12:13]
	s_cbranch_execz .LBB506_230
; %bb.229:
	v_and_b32_e32 v38, 7, v30
	v_ffbh_u32_e32 v36, v38
	v_min_u32_e32 v40, 32, v36
	v_subrev_u32_e32 v36, 28, v40
	v_lshlrev_b64 v[36:37], v36, v[30:31]
	v_lshrrev_b32_e32 v39, 3, v32
	v_sub_u32_e32 v37, 29, v40
	v_and_b32_e32 v36, 7, v36
	v_cmp_gt_u32_e64 s[12:13], 8, v32
	v_cndmask_b32_e64 v32, v39, v37, s[12:13]
	v_cndmask_b32_e64 v36, v38, v36, s[12:13]
	v_lshlrev_b32_e32 v30, 24, v30
	v_bfrev_b32_e32 v37, 60
	v_lshlrev_b32_e32 v36, 20, v36
	v_and_b32_e32 v30, 0x80000000, v30
	v_lshl_add_u32 v32, v32, 23, v37
	v_or3_b32 v36, v30, v32, v36
.LBB506_230:
	s_or_b64 exec, exec, s[26:27]
.LBB506_231:
	s_or_b64 exec, exec, s[24:25]
.LBB506_232:
	s_or_b64 exec, exec, s[14:15]
	v_mov_b32_e32 v30, v27
	v_cmp_ne_u16_sdwa s[12:13], v27, v31 src0_sel:BYTE_0 src1_sel:DWORD
	s_and_saveexec_b64 s[14:15], s[12:13]
	s_cbranch_execz .LBB506_238
; %bb.233:
	s_movk_i32 s11, 0x80
	v_cmp_ne_u16_sdwa s[12:13], v27, s11 src0_sel:BYTE_0 src1_sel:DWORD
	v_bfrev_b32_e32 v32, 1
	s_and_saveexec_b64 s[24:25], s[12:13]
	s_cbranch_execz .LBB506_237
; %bb.234:
	s_movk_i32 s11, 0x7f
	v_and_b32_e32 v37, 0x7f, v27
	v_cmp_ne_u32_e64 s[12:13], s11, v37
	v_mov_b32_e32 v32, 0x7f800001
	s_and_saveexec_b64 s[26:27], s[12:13]
	s_cbranch_execz .LBB506_236
; %bb.235:
	v_and_b32_e32 v32, 7, v27
	v_ffbh_u32_e32 v32, v32
	v_min_u32_e32 v32, 32, v32
	v_subrev_u32_e32 v39, 28, v32
	v_cmp_gt_u32_e64 s[12:13], 8, v37
	v_lshrrev_b32_e32 v38, 3, v37
	v_sub_u32_e32 v32, 29, v32
	v_cndmask_b32_e64 v37, 0, v39, s[12:13]
	v_cndmask_b32_e64 v32, v38, v32, s[12:13]
	v_lshlrev_b64 v[38:39], v37, v[30:31]
	v_lshlrev_b32_e32 v31, 20, v38
	v_lshlrev_b32_e32 v37, 24, v30
	v_bfrev_b32_e32 v38, 60
	v_and_b32_e32 v31, 0x700000, v31
	v_and_b32_e32 v37, 0x80000000, v37
	v_lshl_add_u32 v32, v32, 23, v38
	v_or3_b32 v32, v37, v32, v31
.LBB506_236:
	s_or_b64 exec, exec, s[26:27]
.LBB506_237:
	s_or_b64 exec, exec, s[24:25]
	v_mov_b32_e32 v31, v32
.LBB506_238:
	s_or_b64 exec, exec, s[14:15]
	v_lshrrev_b16_e32 v32, 8, v30
	v_cmp_ne_u16_e64 s[12:13], 0, v32
	v_mov_b32_e32 v37, 0
	v_mov_b32_e32 v38, 0
	s_and_saveexec_b64 s[14:15], s[12:13]
	s_cbranch_execz .LBB506_244
; %bb.239:
	s_movk_i32 s11, 0x80
	v_cmp_ne_u16_e64 s[12:13], s11, v32
	v_bfrev_b32_e32 v38, 1
	s_and_saveexec_b64 s[24:25], s[12:13]
	s_cbranch_execz .LBB506_243
; %bb.240:
	s_movk_i32 s11, 0x7f
	v_and_b32_e32 v39, 0x7f, v32
	v_cmp_ne_u32_e64 s[12:13], s11, v39
	v_mov_b32_e32 v38, 0x7f800001
	s_and_saveexec_b64 s[26:27], s[12:13]
	s_cbranch_execz .LBB506_242
; %bb.241:
	v_and_b32_e32 v38, 7, v32
	v_ffbh_u32_e32 v40, v38
	v_min_u32_e32 v47, 32, v40
	v_subrev_u32_e32 v40, 28, v47
	v_lshlrev_b64 v[40:41], v40, v[32:33]
	v_lshrrev_b32_e32 v46, 3, v39
	v_sub_u32_e32 v32, 29, v47
	v_and_b32_e32 v40, 7, v40
	v_cmp_gt_u32_e64 s[12:13], 8, v39
	v_cndmask_b32_e64 v32, v46, v32, s[12:13]
	v_cndmask_b32_e64 v38, v38, v40, s[12:13]
	v_lshlrev_b32_e32 v30, 16, v30
	v_bfrev_b32_e32 v39, 60
	v_lshlrev_b32_e32 v38, 20, v38
	v_and_b32_e32 v30, 0x80000000, v30
	v_lshl_add_u32 v32, v32, 23, v39
	v_or3_b32 v38, v30, v32, v38
.LBB506_242:
	s_or_b64 exec, exec, s[26:27]
.LBB506_243:
	s_or_b64 exec, exec, s[24:25]
.LBB506_244:
	s_or_b64 exec, exec, s[14:15]
	s_movk_i32 s11, 0xff
	v_and_b32_sdwa v32, v27, s11 dst_sel:DWORD dst_unused:UNUSED_PAD src0_sel:WORD_1 src1_sel:DWORD
	v_lshrrev_b32_e32 v30, 16, v27
	v_cmp_ne_u16_e64 s[12:13], 0, v32
	s_and_saveexec_b64 s[14:15], s[12:13]
	s_cbranch_execz .LBB506_250
; %bb.245:
	s_movk_i32 s11, 0x80
	v_cmp_ne_u16_e64 s[12:13], s11, v32
	v_bfrev_b32_e32 v37, 1
	s_and_saveexec_b64 s[24:25], s[12:13]
	s_cbranch_execz .LBB506_249
; %bb.246:
	v_bfe_u32 v32, v27, 16, 7
	s_movk_i32 s11, 0x7f
	v_cmp_ne_u32_e64 s[12:13], s11, v32
	v_mov_b32_e32 v37, 0x7f800001
	s_and_saveexec_b64 s[26:27], s[12:13]
	s_cbranch_execz .LBB506_248
; %bb.247:
	v_and_b32_e32 v37, 7, v30
	v_ffbh_u32_e32 v40, v37
	v_min_u32_e32 v46, 32, v40
	v_subrev_u32_e32 v40, 28, v46
	v_lshlrev_b64 v[40:41], v40, v[30:31]
	v_and_b32_e32 v40, 7, v40
	v_cmp_gt_u32_e64 s[12:13], 8, v32
	v_lshrrev_b32_e32 v39, 3, v32
	v_sub_u32_e32 v30, 29, v46
	v_cndmask_b32_e64 v32, v37, v40, s[12:13]
	v_mov_b32_e32 v37, 24
	v_cndmask_b32_e64 v30, v39, v30, s[12:13]
	v_lshlrev_b32_sdwa v37, v37, v27 dst_sel:DWORD dst_unused:UNUSED_PAD src0_sel:DWORD src1_sel:WORD_1
	v_bfrev_b32_e32 v39, 60
	v_lshlrev_b32_e32 v32, 20, v32
	v_and_b32_e32 v37, 0x80000000, v37
	v_lshl_add_u32 v30, v30, 23, v39
	v_or3_b32 v37, v37, v30, v32
.LBB506_248:
	s_or_b64 exec, exec, s[26:27]
.LBB506_249:
	s_or_b64 exec, exec, s[24:25]
.LBB506_250:
	s_or_b64 exec, exec, s[14:15]
	s_mov_b32 s12, -1
	s_mov_b32 s13, 0xffffff
	v_cmp_lt_u64_e64 s[12:13], s[12:13], v[26:27]
	v_mov_b32_e32 v32, 0
	v_mov_b32_e32 v30, 0
	s_and_saveexec_b64 s[14:15], s[12:13]
	s_cbranch_execz .LBB506_256
; %bb.251:
	v_lshrrev_b32_e32 v26, 24, v27
	s_movk_i32 s11, 0x80
	v_cmp_ne_u32_e64 s[12:13], s11, v26
	v_bfrev_b32_e32 v30, 1
	s_and_saveexec_b64 s[24:25], s[12:13]
	s_cbranch_execz .LBB506_255
; %bb.252:
	v_bfe_u32 v27, v27, 24, 7
	s_movk_i32 s11, 0x7f
	v_cmp_ne_u32_e64 s[12:13], s11, v27
	v_mov_b32_e32 v30, 0x7f800001
	s_and_saveexec_b64 s[26:27], s[12:13]
	s_cbranch_execz .LBB506_254
; %bb.253:
	v_and_b32_e32 v30, 7, v26
	v_ffbh_u32_e32 v40, v30
	v_min_u32_e32 v46, 32, v40
	v_subrev_u32_e32 v40, 28, v46
	v_lshlrev_b64 v[40:41], v40, v[26:27]
	v_lshrrev_b32_e32 v39, 3, v27
	v_sub_u32_e32 v41, 29, v46
	v_and_b32_e32 v40, 7, v40
	v_cmp_gt_u32_e64 s[12:13], 8, v27
	v_cndmask_b32_e64 v27, v39, v41, s[12:13]
	v_cndmask_b32_e64 v30, v30, v40, s[12:13]
	v_lshlrev_b32_e32 v26, 24, v26
	v_bfrev_b32_e32 v39, 60
	v_lshlrev_b32_e32 v30, 20, v30
	v_and_b32_e32 v26, 0x80000000, v26
	v_lshl_add_u32 v27, v27, 23, v39
	v_or3_b32 v30, v26, v27, v30
.LBB506_254:
	s_or_b64 exec, exec, s[26:27]
.LBB506_255:
	s_or_b64 exec, exec, s[24:25]
.LBB506_256:
	s_or_b64 exec, exec, s[14:15]
	v_cvt_pkrtz_f16_f32 v26, v34, v35
	v_cvt_pkrtz_f16_f32 v27, v33, v36
	;; [unrolled: 1-line block ×4, first 2 shown]
	v_mfma_f32_4x4x4f16 a[0:3], v[2:3], v[26:27], a[0:3] cbsz:4 abid:4
	v_cmp_ne_u16_sdwa s[12:13], v28, v32 src0_sel:BYTE_0 src1_sel:DWORD
	v_mfma_f32_4x4x4f16 a[0:3], v[4:5], v[34:35], a[0:3] cbsz:4 abid:4
	s_and_saveexec_b64 s[14:15], s[12:13]
	s_cbranch_execz .LBB506_262
; %bb.257:
	s_movk_i32 s11, 0x80
	v_cmp_ne_u16_sdwa s[12:13], v28, s11 src0_sel:BYTE_0 src1_sel:DWORD
	v_bfrev_b32_e32 v32, 1
	s_and_saveexec_b64 s[24:25], s[12:13]
	s_cbranch_execz .LBB506_261
; %bb.258:
	s_movk_i32 s11, 0x7f
	v_and_b32_e32 v26, 0x7f, v28
	v_cmp_ne_u32_e64 s[12:13], s11, v26
	v_mov_b32_e32 v32, 0x7f800001
	s_and_saveexec_b64 s[26:27], s[12:13]
	s_cbranch_execz .LBB506_260
; %bb.259:
	v_and_b32_e32 v27, 7, v28
	v_ffbh_u32_e32 v27, v27
	v_min_u32_e32 v27, 32, v27
	v_subrev_u32_e32 v31, 28, v27
	v_cmp_gt_u32_e64 s[12:13], 8, v26
	v_lshrrev_b32_e32 v30, 3, v26
	v_sub_u32_e32 v27, 29, v27
	v_cndmask_b32_e64 v26, 0, v31, s[12:13]
	v_cndmask_b32_e64 v30, v30, v27, s[12:13]
	v_lshlrev_b64 v[26:27], v26, v[28:29]
	v_lshlrev_b32_e32 v26, 20, v26
	v_lshlrev_b32_e32 v27, 24, v28
	v_bfrev_b32_e32 v31, 60
	v_and_b32_e32 v26, 0x700000, v26
	v_and_b32_e32 v27, 0x80000000, v27
	v_lshl_add_u32 v30, v30, 23, v31
	v_or3_b32 v32, v27, v30, v26
.LBB506_260:
	s_or_b64 exec, exec, s[26:27]
.LBB506_261:
	s_or_b64 exec, exec, s[24:25]
.LBB506_262:
	s_or_b64 exec, exec, s[14:15]
	v_lshrrev_b16_e32 v26, 8, v28
	v_cmp_ne_u16_e64 s[12:13], 0, v26
	v_mov_b32_e32 v31, 0
	v_mov_b32_e32 v33, 0
	s_and_saveexec_b64 s[14:15], s[12:13]
	s_cbranch_execz .LBB506_268
; %bb.263:
	s_movk_i32 s11, 0x80
	v_cmp_ne_u16_e64 s[12:13], s11, v26
	v_bfrev_b32_e32 v33, 1
	s_and_saveexec_b64 s[24:25], s[12:13]
	s_cbranch_execz .LBB506_267
; %bb.264:
	s_movk_i32 s11, 0x7f
	v_and_b32_e32 v27, 0x7f, v26
	v_cmp_ne_u32_e64 s[12:13], s11, v27
	v_mov_b32_e32 v33, 0x7f800001
	s_and_saveexec_b64 s[26:27], s[12:13]
	s_cbranch_execz .LBB506_266
; %bb.265:
	v_and_b32_e32 v30, 7, v26
	v_ffbh_u32_e32 v34, v30
	v_min_u32_e32 v36, 32, v34
	v_subrev_u32_e32 v34, 28, v36
	v_lshlrev_b64 v[34:35], v34, v[26:27]
	v_lshrrev_b32_e32 v33, 3, v27
	v_sub_u32_e32 v26, 29, v36
	v_and_b32_e32 v34, 7, v34
	v_cmp_gt_u32_e64 s[12:13], 8, v27
	v_cndmask_b32_e64 v26, v33, v26, s[12:13]
	v_cndmask_b32_e64 v27, v30, v34, s[12:13]
	v_lshlrev_b32_e32 v30, 16, v28
	v_bfrev_b32_e32 v33, 60
	v_lshlrev_b32_e32 v27, 20, v27
	v_and_b32_e32 v30, 0x80000000, v30
	v_lshl_add_u32 v26, v26, 23, v33
	v_or3_b32 v33, v30, v26, v27
.LBB506_266:
	s_or_b64 exec, exec, s[26:27]
.LBB506_267:
	s_or_b64 exec, exec, s[24:25]
.LBB506_268:
	s_or_b64 exec, exec, s[14:15]
	s_movk_i32 s11, 0xff
	v_and_b32_sdwa v27, v28, s11 dst_sel:DWORD dst_unused:UNUSED_PAD src0_sel:WORD_1 src1_sel:DWORD
	v_lshrrev_b32_e32 v26, 16, v28
	v_cmp_ne_u16_e64 s[12:13], 0, v27
	s_and_saveexec_b64 s[14:15], s[12:13]
	s_cbranch_execz .LBB506_274
; %bb.269:
	s_movk_i32 s11, 0x80
	v_cmp_ne_u16_e64 s[12:13], s11, v27
	v_bfrev_b32_e32 v31, 1
	s_and_saveexec_b64 s[24:25], s[12:13]
	s_cbranch_execz .LBB506_273
; %bb.270:
	v_bfe_u32 v27, v28, 16, 7
	s_movk_i32 s11, 0x7f
	v_cmp_ne_u32_e64 s[12:13], s11, v27
	v_mov_b32_e32 v31, 0x7f800001
	s_and_saveexec_b64 s[26:27], s[12:13]
	s_cbranch_execz .LBB506_272
; %bb.271:
	v_and_b32_e32 v34, 7, v26
	v_ffbh_u32_e32 v30, v34
	v_min_u32_e32 v36, 32, v30
	v_subrev_u32_e32 v30, 28, v36
	v_lshlrev_b64 v[30:31], v30, v[26:27]
	v_and_b32_e32 v30, 7, v30
	v_cmp_gt_u32_e64 s[12:13], 8, v27
	v_lshrrev_b32_e32 v35, 3, v27
	v_sub_u32_e32 v26, 29, v36
	v_cndmask_b32_e64 v27, v34, v30, s[12:13]
	v_mov_b32_e32 v30, 24
	v_cndmask_b32_e64 v26, v35, v26, s[12:13]
	v_lshlrev_b32_sdwa v30, v30, v28 dst_sel:DWORD dst_unused:UNUSED_PAD src0_sel:DWORD src1_sel:WORD_1
	v_bfrev_b32_e32 v31, 60
	v_lshlrev_b32_e32 v27, 20, v27
	v_and_b32_e32 v30, 0x80000000, v30
	v_lshl_add_u32 v26, v26, 23, v31
	v_or3_b32 v31, v30, v26, v27
.LBB506_272:
	s_or_b64 exec, exec, s[26:27]
.LBB506_273:
	s_or_b64 exec, exec, s[24:25]
.LBB506_274:
	s_or_b64 exec, exec, s[14:15]
	s_mov_b32 s11, 0xffffff
	v_cmp_lt_u32_e64 s[12:13], s11, v28
	v_mov_b32_e32 v27, 0
	v_mov_b32_e32 v34, 0
	s_and_saveexec_b64 s[14:15], s[12:13]
	s_cbranch_execz .LBB506_280
; %bb.275:
	v_lshrrev_b32_e32 v26, 24, v28
	s_movk_i32 s11, 0x80
	v_cmp_ne_u32_e64 s[12:13], s11, v26
	v_bfrev_b32_e32 v34, 1
	s_and_saveexec_b64 s[24:25], s[12:13]
	s_cbranch_execz .LBB506_279
; %bb.276:
	v_bfe_u32 v30, v28, 24, 7
	s_movk_i32 s11, 0x7f
	v_cmp_ne_u32_e64 s[12:13], s11, v30
	v_mov_b32_e32 v34, 0x7f800001
	s_and_saveexec_b64 s[26:27], s[12:13]
	s_cbranch_execz .LBB506_278
; %bb.277:
	v_and_b32_e32 v36, 7, v26
	v_ffbh_u32_e32 v34, v36
	v_min_u32_e32 v38, 32, v34
	v_subrev_u32_e32 v34, 28, v38
	v_lshlrev_b64 v[34:35], v34, v[26:27]
	v_lshrrev_b32_e32 v37, 3, v30
	v_sub_u32_e32 v35, 29, v38
	v_and_b32_e32 v34, 7, v34
	v_cmp_gt_u32_e64 s[12:13], 8, v30
	v_cndmask_b32_e64 v30, v37, v35, s[12:13]
	v_cndmask_b32_e64 v34, v36, v34, s[12:13]
	v_lshlrev_b32_e32 v26, 24, v26
	v_bfrev_b32_e32 v35, 60
	v_lshlrev_b32_e32 v34, 20, v34
	v_and_b32_e32 v26, 0x80000000, v26
	v_lshl_add_u32 v30, v30, 23, v35
	v_or3_b32 v34, v26, v30, v34
.LBB506_278:
	s_or_b64 exec, exec, s[26:27]
.LBB506_279:
	s_or_b64 exec, exec, s[24:25]
.LBB506_280:
	s_or_b64 exec, exec, s[14:15]
	v_mov_b32_e32 v26, v29
	v_cmp_ne_u16_sdwa s[12:13], v29, v27 src0_sel:BYTE_0 src1_sel:DWORD
	s_and_saveexec_b64 s[14:15], s[12:13]
	s_cbranch_execz .LBB506_286
; %bb.281:
	s_movk_i32 s11, 0x80
	v_cmp_ne_u16_sdwa s[12:13], v29, s11 src0_sel:BYTE_0 src1_sel:DWORD
	v_bfrev_b32_e32 v30, 1
	s_and_saveexec_b64 s[24:25], s[12:13]
	s_cbranch_execz .LBB506_285
; %bb.282:
	s_movk_i32 s11, 0x7f
	v_and_b32_e32 v35, 0x7f, v29
	v_cmp_ne_u32_e64 s[12:13], s11, v35
	v_mov_b32_e32 v30, 0x7f800001
	s_and_saveexec_b64 s[26:27], s[12:13]
	s_cbranch_execz .LBB506_284
; %bb.283:
	v_and_b32_e32 v30, 7, v29
	v_ffbh_u32_e32 v30, v30
	v_min_u32_e32 v30, 32, v30
	v_subrev_u32_e32 v37, 28, v30
	v_cmp_gt_u32_e64 s[12:13], 8, v35
	v_lshrrev_b32_e32 v36, 3, v35
	v_sub_u32_e32 v30, 29, v30
	v_cndmask_b32_e64 v35, 0, v37, s[12:13]
	v_cndmask_b32_e64 v30, v36, v30, s[12:13]
	v_lshlrev_b64 v[36:37], v35, v[26:27]
	v_lshlrev_b32_e32 v27, 20, v36
	v_lshlrev_b32_e32 v35, 24, v26
	v_bfrev_b32_e32 v36, 60
	v_and_b32_e32 v27, 0x700000, v27
	v_and_b32_e32 v35, 0x80000000, v35
	v_lshl_add_u32 v30, v30, 23, v36
	v_or3_b32 v30, v35, v30, v27
.LBB506_284:
	s_or_b64 exec, exec, s[26:27]
.LBB506_285:
	s_or_b64 exec, exec, s[24:25]
	v_mov_b32_e32 v27, v30
.LBB506_286:
	s_or_b64 exec, exec, s[14:15]
	v_lshrrev_b16_e32 v30, 8, v26
	v_cmp_ne_u16_e64 s[12:13], 0, v30
	v_mov_b32_e32 v35, 0
	v_mov_b32_e32 v36, 0
	s_and_saveexec_b64 s[14:15], s[12:13]
	s_cbranch_execz .LBB506_292
; %bb.287:
	s_movk_i32 s11, 0x80
	v_cmp_ne_u16_e64 s[12:13], s11, v30
	v_bfrev_b32_e32 v36, 1
	s_and_saveexec_b64 s[24:25], s[12:13]
	s_cbranch_execz .LBB506_291
; %bb.288:
	s_movk_i32 s11, 0x7f
	v_and_b32_e32 v37, 0x7f, v30
	v_cmp_ne_u32_e64 s[12:13], s11, v37
	v_mov_b32_e32 v36, 0x7f800001
	s_and_saveexec_b64 s[26:27], s[12:13]
	s_cbranch_execz .LBB506_290
; %bb.289:
	v_and_b32_e32 v36, 7, v30
	v_ffbh_u32_e32 v38, v36
	v_min_u32_e32 v41, 32, v38
	v_subrev_u32_e32 v38, 28, v41
	v_lshlrev_b64 v[38:39], v38, v[30:31]
	v_lshrrev_b32_e32 v40, 3, v37
	v_sub_u32_e32 v30, 29, v41
	v_and_b32_e32 v38, 7, v38
	v_cmp_gt_u32_e64 s[12:13], 8, v37
	v_cndmask_b32_e64 v30, v40, v30, s[12:13]
	v_cndmask_b32_e64 v36, v36, v38, s[12:13]
	v_lshlrev_b32_e32 v26, 16, v26
	v_bfrev_b32_e32 v37, 60
	v_lshlrev_b32_e32 v36, 20, v36
	v_and_b32_e32 v26, 0x80000000, v26
	v_lshl_add_u32 v30, v30, 23, v37
	v_or3_b32 v36, v26, v30, v36
.LBB506_290:
	s_or_b64 exec, exec, s[26:27]
.LBB506_291:
	s_or_b64 exec, exec, s[24:25]
.LBB506_292:
	s_or_b64 exec, exec, s[14:15]
	s_movk_i32 s11, 0xff
	v_and_b32_sdwa v30, v29, s11 dst_sel:DWORD dst_unused:UNUSED_PAD src0_sel:WORD_1 src1_sel:DWORD
	v_lshrrev_b32_e32 v26, 16, v29
	v_cmp_ne_u16_e64 s[12:13], 0, v30
	s_and_saveexec_b64 s[14:15], s[12:13]
	s_cbranch_execz .LBB506_298
; %bb.293:
	s_movk_i32 s11, 0x80
	v_cmp_ne_u16_e64 s[12:13], s11, v30
	v_bfrev_b32_e32 v35, 1
	s_and_saveexec_b64 s[24:25], s[12:13]
	s_cbranch_execz .LBB506_297
; %bb.294:
	v_bfe_u32 v30, v29, 16, 7
	s_movk_i32 s11, 0x7f
	v_cmp_ne_u32_e64 s[12:13], s11, v30
	v_mov_b32_e32 v35, 0x7f800001
	s_and_saveexec_b64 s[26:27], s[12:13]
	s_cbranch_execz .LBB506_296
; %bb.295:
	v_and_b32_e32 v35, 7, v26
	v_ffbh_u32_e32 v38, v35
	v_min_u32_e32 v40, 32, v38
	v_subrev_u32_e32 v38, 28, v40
	v_lshlrev_b64 v[38:39], v38, v[26:27]
	v_and_b32_e32 v38, 7, v38
	v_cmp_gt_u32_e64 s[12:13], 8, v30
	v_lshrrev_b32_e32 v37, 3, v30
	v_sub_u32_e32 v26, 29, v40
	v_cndmask_b32_e64 v30, v35, v38, s[12:13]
	v_mov_b32_e32 v35, 24
	v_cndmask_b32_e64 v26, v37, v26, s[12:13]
	v_lshlrev_b32_sdwa v35, v35, v29 dst_sel:DWORD dst_unused:UNUSED_PAD src0_sel:DWORD src1_sel:WORD_1
	v_bfrev_b32_e32 v37, 60
	v_lshlrev_b32_e32 v30, 20, v30
	v_and_b32_e32 v35, 0x80000000, v35
	v_lshl_add_u32 v26, v26, 23, v37
	v_or3_b32 v35, v35, v26, v30
.LBB506_296:
	s_or_b64 exec, exec, s[26:27]
.LBB506_297:
	s_or_b64 exec, exec, s[24:25]
.LBB506_298:
	s_or_b64 exec, exec, s[14:15]
	s_mov_b32 s12, -1
	s_mov_b32 s13, 0xffffff
	v_cmp_lt_u64_e64 s[12:13], s[12:13], v[28:29]
	v_mov_b32_e32 v30, 0
	v_mov_b32_e32 v28, 0
	s_and_saveexec_b64 s[14:15], s[12:13]
	s_cbranch_execz .LBB506_304
; %bb.299:
	v_lshrrev_b32_e32 v26, 24, v29
	s_movk_i32 s11, 0x80
	v_cmp_ne_u32_e64 s[12:13], s11, v26
	v_bfrev_b32_e32 v28, 1
	s_and_saveexec_b64 s[24:25], s[12:13]
	s_cbranch_execz .LBB506_303
; %bb.300:
	v_bfe_u32 v29, v29, 24, 7
	s_movk_i32 s11, 0x7f
	v_cmp_ne_u32_e64 s[12:13], s11, v29
	v_mov_b32_e32 v28, 0x7f800001
	s_and_saveexec_b64 s[26:27], s[12:13]
	s_cbranch_execz .LBB506_302
; %bb.301:
	v_and_b32_e32 v28, 7, v26
	v_ffbh_u32_e32 v38, v28
	v_min_u32_e32 v40, 32, v38
	v_subrev_u32_e32 v38, 28, v40
	v_lshlrev_b64 v[38:39], v38, v[26:27]
	v_lshrrev_b32_e32 v37, 3, v29
	v_sub_u32_e32 v39, 29, v40
	v_and_b32_e32 v38, 7, v38
	v_cmp_gt_u32_e64 s[12:13], 8, v29
	v_cndmask_b32_e64 v29, v37, v39, s[12:13]
	v_cndmask_b32_e64 v28, v28, v38, s[12:13]
	v_lshlrev_b32_e32 v26, 24, v26
	v_bfrev_b32_e32 v37, 60
	v_lshlrev_b32_e32 v28, 20, v28
	v_and_b32_e32 v26, 0x80000000, v26
	v_lshl_add_u32 v29, v29, 23, v37
	v_or3_b32 v28, v26, v29, v28
.LBB506_302:
	s_or_b64 exec, exec, s[26:27]
.LBB506_303:
	s_or_b64 exec, exec, s[24:25]
.LBB506_304:
	s_or_b64 exec, exec, s[14:15]
	v_cvt_pkrtz_f16_f32 v32, v32, v33
	v_cvt_pkrtz_f16_f32 v33, v31, v34
	;; [unrolled: 1-line block ×4, first 2 shown]
	v_mfma_f32_4x4x4f16 a[0:3], v[2:3], v[32:33], a[0:3] cbsz:4 abid:5
	v_cmp_ne_u16_sdwa s[12:13], v22, v30 src0_sel:BYTE_0 src1_sel:DWORD
	v_mfma_f32_4x4x4f16 a[0:3], v[4:5], v[26:27], a[0:3] cbsz:4 abid:5
	s_and_saveexec_b64 s[14:15], s[12:13]
	s_cbranch_execz .LBB506_310
; %bb.305:
	s_movk_i32 s11, 0x80
	v_cmp_ne_u16_sdwa s[12:13], v22, s11 src0_sel:BYTE_0 src1_sel:DWORD
	v_bfrev_b32_e32 v30, 1
	s_and_saveexec_b64 s[24:25], s[12:13]
	s_cbranch_execz .LBB506_309
; %bb.306:
	s_movk_i32 s11, 0x7f
	v_and_b32_e32 v26, 0x7f, v22
	v_cmp_ne_u32_e64 s[12:13], s11, v26
	v_mov_b32_e32 v30, 0x7f800001
	s_and_saveexec_b64 s[26:27], s[12:13]
	s_cbranch_execz .LBB506_308
; %bb.307:
	v_and_b32_e32 v27, 7, v22
	v_ffbh_u32_e32 v27, v27
	v_min_u32_e32 v27, 32, v27
	v_subrev_u32_e32 v29, 28, v27
	v_cmp_gt_u32_e64 s[12:13], 8, v26
	v_lshrrev_b32_e32 v28, 3, v26
	v_sub_u32_e32 v27, 29, v27
	v_cndmask_b32_e64 v26, 0, v29, s[12:13]
	v_cndmask_b32_e64 v28, v28, v27, s[12:13]
	v_lshlrev_b64 v[26:27], v26, v[22:23]
	v_lshlrev_b32_e32 v26, 20, v26
	v_lshlrev_b32_e32 v27, 24, v22
	v_bfrev_b32_e32 v29, 60
	v_and_b32_e32 v26, 0x700000, v26
	v_and_b32_e32 v27, 0x80000000, v27
	v_lshl_add_u32 v28, v28, 23, v29
	v_or3_b32 v30, v27, v28, v26
.LBB506_308:
	s_or_b64 exec, exec, s[26:27]
.LBB506_309:
	s_or_b64 exec, exec, s[24:25]
.LBB506_310:
	s_or_b64 exec, exec, s[14:15]
	v_lshrrev_b16_e32 v26, 8, v22
	v_cmp_ne_u16_e64 s[12:13], 0, v26
	v_mov_b32_e32 v29, 0
	v_mov_b32_e32 v31, 0
	s_and_saveexec_b64 s[14:15], s[12:13]
	s_cbranch_execz .LBB506_316
; %bb.311:
	s_movk_i32 s11, 0x80
	v_cmp_ne_u16_e64 s[12:13], s11, v26
	v_bfrev_b32_e32 v31, 1
	s_and_saveexec_b64 s[24:25], s[12:13]
	s_cbranch_execz .LBB506_315
; %bb.312:
	s_movk_i32 s11, 0x7f
	v_and_b32_e32 v27, 0x7f, v26
	v_cmp_ne_u32_e64 s[12:13], s11, v27
	v_mov_b32_e32 v31, 0x7f800001
	s_and_saveexec_b64 s[26:27], s[12:13]
	s_cbranch_execz .LBB506_314
; %bb.313:
	v_and_b32_e32 v28, 7, v26
	v_ffbh_u32_e32 v32, v28
	v_min_u32_e32 v34, 32, v32
	v_subrev_u32_e32 v32, 28, v34
	v_lshlrev_b64 v[32:33], v32, v[26:27]
	v_lshrrev_b32_e32 v31, 3, v27
	v_sub_u32_e32 v26, 29, v34
	v_and_b32_e32 v32, 7, v32
	v_cmp_gt_u32_e64 s[12:13], 8, v27
	v_cndmask_b32_e64 v26, v31, v26, s[12:13]
	v_cndmask_b32_e64 v27, v28, v32, s[12:13]
	v_lshlrev_b32_e32 v28, 16, v22
	v_bfrev_b32_e32 v31, 60
	v_lshlrev_b32_e32 v27, 20, v27
	v_and_b32_e32 v28, 0x80000000, v28
	v_lshl_add_u32 v26, v26, 23, v31
	v_or3_b32 v31, v28, v26, v27
.LBB506_314:
	s_or_b64 exec, exec, s[26:27]
.LBB506_315:
	s_or_b64 exec, exec, s[24:25]
.LBB506_316:
	s_or_b64 exec, exec, s[14:15]
	s_movk_i32 s11, 0xff
	v_and_b32_sdwa v27, v22, s11 dst_sel:DWORD dst_unused:UNUSED_PAD src0_sel:WORD_1 src1_sel:DWORD
	v_lshrrev_b32_e32 v26, 16, v22
	v_cmp_ne_u16_e64 s[12:13], 0, v27
	s_and_saveexec_b64 s[14:15], s[12:13]
	s_cbranch_execz .LBB506_322
; %bb.317:
	s_movk_i32 s11, 0x80
	v_cmp_ne_u16_e64 s[12:13], s11, v27
	v_bfrev_b32_e32 v29, 1
	s_and_saveexec_b64 s[24:25], s[12:13]
	s_cbranch_execz .LBB506_321
; %bb.318:
	v_bfe_u32 v27, v22, 16, 7
	s_movk_i32 s11, 0x7f
	v_cmp_ne_u32_e64 s[12:13], s11, v27
	v_mov_b32_e32 v29, 0x7f800001
	s_and_saveexec_b64 s[26:27], s[12:13]
	s_cbranch_execz .LBB506_320
; %bb.319:
	v_and_b32_e32 v32, 7, v26
	v_ffbh_u32_e32 v28, v32
	v_min_u32_e32 v34, 32, v28
	v_subrev_u32_e32 v28, 28, v34
	v_lshlrev_b64 v[28:29], v28, v[26:27]
	v_and_b32_e32 v28, 7, v28
	v_cmp_gt_u32_e64 s[12:13], 8, v27
	v_lshrrev_b32_e32 v33, 3, v27
	v_sub_u32_e32 v26, 29, v34
	v_cndmask_b32_e64 v27, v32, v28, s[12:13]
	v_mov_b32_e32 v28, 24
	v_cndmask_b32_e64 v26, v33, v26, s[12:13]
	v_lshlrev_b32_sdwa v28, v28, v22 dst_sel:DWORD dst_unused:UNUSED_PAD src0_sel:DWORD src1_sel:WORD_1
	v_bfrev_b32_e32 v29, 60
	v_lshlrev_b32_e32 v27, 20, v27
	v_and_b32_e32 v28, 0x80000000, v28
	v_lshl_add_u32 v26, v26, 23, v29
	v_or3_b32 v29, v28, v26, v27
.LBB506_320:
	s_or_b64 exec, exec, s[26:27]
.LBB506_321:
	s_or_b64 exec, exec, s[24:25]
.LBB506_322:
	s_or_b64 exec, exec, s[14:15]
	s_mov_b32 s11, 0xffffff
	v_cmp_lt_u32_e64 s[12:13], s11, v22
	v_mov_b32_e32 v27, 0
	v_mov_b32_e32 v32, 0
	s_and_saveexec_b64 s[14:15], s[12:13]
	s_cbranch_execz .LBB506_328
; %bb.323:
	v_lshrrev_b32_e32 v26, 24, v22
	s_movk_i32 s11, 0x80
	v_cmp_ne_u32_e64 s[12:13], s11, v26
	v_bfrev_b32_e32 v32, 1
	s_and_saveexec_b64 s[24:25], s[12:13]
	s_cbranch_execz .LBB506_327
; %bb.324:
	v_bfe_u32 v28, v22, 24, 7
	s_movk_i32 s11, 0x7f
	v_cmp_ne_u32_e64 s[12:13], s11, v28
	v_mov_b32_e32 v32, 0x7f800001
	s_and_saveexec_b64 s[26:27], s[12:13]
	s_cbranch_execz .LBB506_326
; %bb.325:
	v_and_b32_e32 v34, 7, v26
	v_ffbh_u32_e32 v32, v34
	v_min_u32_e32 v36, 32, v32
	v_subrev_u32_e32 v32, 28, v36
	v_lshlrev_b64 v[32:33], v32, v[26:27]
	v_lshrrev_b32_e32 v35, 3, v28
	v_sub_u32_e32 v33, 29, v36
	v_and_b32_e32 v32, 7, v32
	v_cmp_gt_u32_e64 s[12:13], 8, v28
	v_cndmask_b32_e64 v28, v35, v33, s[12:13]
	v_cndmask_b32_e64 v32, v34, v32, s[12:13]
	v_lshlrev_b32_e32 v26, 24, v26
	v_bfrev_b32_e32 v33, 60
	v_lshlrev_b32_e32 v32, 20, v32
	v_and_b32_e32 v26, 0x80000000, v26
	v_lshl_add_u32 v28, v28, 23, v33
	v_or3_b32 v32, v26, v28, v32
.LBB506_326:
	s_or_b64 exec, exec, s[26:27]
.LBB506_327:
	s_or_b64 exec, exec, s[24:25]
.LBB506_328:
	s_or_b64 exec, exec, s[14:15]
	v_mov_b32_e32 v26, v23
	v_cmp_ne_u16_sdwa s[12:13], v23, v27 src0_sel:BYTE_0 src1_sel:DWORD
	s_and_saveexec_b64 s[14:15], s[12:13]
	s_cbranch_execz .LBB506_334
; %bb.329:
	s_movk_i32 s11, 0x80
	v_cmp_ne_u16_sdwa s[12:13], v23, s11 src0_sel:BYTE_0 src1_sel:DWORD
	v_bfrev_b32_e32 v28, 1
	s_and_saveexec_b64 s[24:25], s[12:13]
	s_cbranch_execz .LBB506_333
; %bb.330:
	s_movk_i32 s11, 0x7f
	v_and_b32_e32 v33, 0x7f, v23
	v_cmp_ne_u32_e64 s[12:13], s11, v33
	v_mov_b32_e32 v28, 0x7f800001
	s_and_saveexec_b64 s[26:27], s[12:13]
	s_cbranch_execz .LBB506_332
; %bb.331:
	v_and_b32_e32 v28, 7, v23
	v_ffbh_u32_e32 v28, v28
	v_min_u32_e32 v28, 32, v28
	v_subrev_u32_e32 v35, 28, v28
	v_cmp_gt_u32_e64 s[12:13], 8, v33
	v_lshrrev_b32_e32 v34, 3, v33
	v_sub_u32_e32 v28, 29, v28
	v_cndmask_b32_e64 v33, 0, v35, s[12:13]
	v_cndmask_b32_e64 v28, v34, v28, s[12:13]
	v_lshlrev_b64 v[34:35], v33, v[26:27]
	v_lshlrev_b32_e32 v27, 20, v34
	v_lshlrev_b32_e32 v33, 24, v26
	v_bfrev_b32_e32 v34, 60
	v_and_b32_e32 v27, 0x700000, v27
	v_and_b32_e32 v33, 0x80000000, v33
	v_lshl_add_u32 v28, v28, 23, v34
	v_or3_b32 v28, v33, v28, v27
.LBB506_332:
	s_or_b64 exec, exec, s[26:27]
.LBB506_333:
	s_or_b64 exec, exec, s[24:25]
	v_mov_b32_e32 v27, v28
.LBB506_334:
	s_or_b64 exec, exec, s[14:15]
	v_lshrrev_b16_e32 v28, 8, v26
	v_cmp_ne_u16_e64 s[12:13], 0, v28
	v_mov_b32_e32 v33, 0
	v_mov_b32_e32 v34, 0
	s_and_saveexec_b64 s[14:15], s[12:13]
	s_cbranch_execz .LBB506_340
; %bb.335:
	s_movk_i32 s11, 0x80
	v_cmp_ne_u16_e64 s[12:13], s11, v28
	v_bfrev_b32_e32 v34, 1
	s_and_saveexec_b64 s[24:25], s[12:13]
	s_cbranch_execz .LBB506_339
; %bb.336:
	s_movk_i32 s11, 0x7f
	v_and_b32_e32 v35, 0x7f, v28
	v_cmp_ne_u32_e64 s[12:13], s11, v35
	v_mov_b32_e32 v34, 0x7f800001
	s_and_saveexec_b64 s[26:27], s[12:13]
	s_cbranch_execz .LBB506_338
; %bb.337:
	v_and_b32_e32 v34, 7, v28
	v_ffbh_u32_e32 v36, v34
	v_min_u32_e32 v39, 32, v36
	v_subrev_u32_e32 v36, 28, v39
	v_lshlrev_b64 v[36:37], v36, v[28:29]
	v_lshrrev_b32_e32 v38, 3, v35
	v_sub_u32_e32 v28, 29, v39
	v_and_b32_e32 v36, 7, v36
	v_cmp_gt_u32_e64 s[12:13], 8, v35
	v_cndmask_b32_e64 v28, v38, v28, s[12:13]
	v_cndmask_b32_e64 v34, v34, v36, s[12:13]
	v_lshlrev_b32_e32 v26, 16, v26
	v_bfrev_b32_e32 v35, 60
	v_lshlrev_b32_e32 v34, 20, v34
	v_and_b32_e32 v26, 0x80000000, v26
	v_lshl_add_u32 v28, v28, 23, v35
	v_or3_b32 v34, v26, v28, v34
.LBB506_338:
	s_or_b64 exec, exec, s[26:27]
.LBB506_339:
	s_or_b64 exec, exec, s[24:25]
.LBB506_340:
	s_or_b64 exec, exec, s[14:15]
	s_movk_i32 s11, 0xff
	v_and_b32_sdwa v28, v23, s11 dst_sel:DWORD dst_unused:UNUSED_PAD src0_sel:WORD_1 src1_sel:DWORD
	v_lshrrev_b32_e32 v26, 16, v23
	v_cmp_ne_u16_e64 s[12:13], 0, v28
	s_and_saveexec_b64 s[14:15], s[12:13]
	s_cbranch_execz .LBB506_346
; %bb.341:
	s_movk_i32 s11, 0x80
	v_cmp_ne_u16_e64 s[12:13], s11, v28
	v_bfrev_b32_e32 v33, 1
	s_and_saveexec_b64 s[24:25], s[12:13]
	s_cbranch_execz .LBB506_345
; %bb.342:
	v_bfe_u32 v28, v23, 16, 7
	s_movk_i32 s11, 0x7f
	v_cmp_ne_u32_e64 s[12:13], s11, v28
	v_mov_b32_e32 v33, 0x7f800001
	s_and_saveexec_b64 s[26:27], s[12:13]
	s_cbranch_execz .LBB506_344
; %bb.343:
	v_and_b32_e32 v33, 7, v26
	v_ffbh_u32_e32 v36, v33
	v_min_u32_e32 v38, 32, v36
	v_subrev_u32_e32 v36, 28, v38
	v_lshlrev_b64 v[36:37], v36, v[26:27]
	v_and_b32_e32 v36, 7, v36
	v_cmp_gt_u32_e64 s[12:13], 8, v28
	v_lshrrev_b32_e32 v35, 3, v28
	v_sub_u32_e32 v26, 29, v38
	v_cndmask_b32_e64 v28, v33, v36, s[12:13]
	v_mov_b32_e32 v33, 24
	v_cndmask_b32_e64 v26, v35, v26, s[12:13]
	v_lshlrev_b32_sdwa v33, v33, v23 dst_sel:DWORD dst_unused:UNUSED_PAD src0_sel:DWORD src1_sel:WORD_1
	v_bfrev_b32_e32 v35, 60
	v_lshlrev_b32_e32 v28, 20, v28
	v_and_b32_e32 v33, 0x80000000, v33
	v_lshl_add_u32 v26, v26, 23, v35
	v_or3_b32 v33, v33, v26, v28
.LBB506_344:
	s_or_b64 exec, exec, s[26:27]
.LBB506_345:
	s_or_b64 exec, exec, s[24:25]
.LBB506_346:
	s_or_b64 exec, exec, s[14:15]
	s_mov_b32 s12, -1
	s_mov_b32 s13, 0xffffff
	v_cmp_lt_u64_e64 s[12:13], s[12:13], v[22:23]
	v_mov_b32_e32 v28, 0
	v_mov_b32_e32 v26, 0
	s_and_saveexec_b64 s[14:15], s[12:13]
	s_cbranch_execz .LBB506_352
; %bb.347:
	v_lshrrev_b32_e32 v22, 24, v23
	s_movk_i32 s11, 0x80
	v_cmp_ne_u32_e64 s[12:13], s11, v22
	v_bfrev_b32_e32 v26, 1
	s_and_saveexec_b64 s[24:25], s[12:13]
	s_cbranch_execz .LBB506_351
; %bb.348:
	v_bfe_u32 v23, v23, 24, 7
	s_movk_i32 s11, 0x7f
	v_cmp_ne_u32_e64 s[12:13], s11, v23
	v_mov_b32_e32 v26, 0x7f800001
	s_and_saveexec_b64 s[26:27], s[12:13]
	s_cbranch_execz .LBB506_350
; %bb.349:
	v_and_b32_e32 v26, 7, v22
	v_ffbh_u32_e32 v36, v26
	v_min_u32_e32 v38, 32, v36
	v_subrev_u32_e32 v36, 28, v38
	v_lshlrev_b64 v[36:37], v36, v[22:23]
	v_lshrrev_b32_e32 v35, 3, v23
	v_sub_u32_e32 v37, 29, v38
	v_and_b32_e32 v36, 7, v36
	v_cmp_gt_u32_e64 s[12:13], 8, v23
	v_cndmask_b32_e64 v23, v35, v37, s[12:13]
	v_cndmask_b32_e64 v26, v26, v36, s[12:13]
	v_lshlrev_b32_e32 v22, 24, v22
	v_bfrev_b32_e32 v35, 60
	v_lshlrev_b32_e32 v26, 20, v26
	v_and_b32_e32 v22, 0x80000000, v22
	v_lshl_add_u32 v23, v23, 23, v35
	v_or3_b32 v26, v22, v23, v26
.LBB506_350:
	s_or_b64 exec, exec, s[26:27]
.LBB506_351:
	s_or_b64 exec, exec, s[24:25]
.LBB506_352:
	s_or_b64 exec, exec, s[14:15]
	v_cvt_pkrtz_f16_f32 v22, v30, v31
	v_cvt_pkrtz_f16_f32 v23, v29, v32
	;; [unrolled: 1-line block ×4, first 2 shown]
	v_mfma_f32_4x4x4f16 a[0:3], v[2:3], v[22:23], a[0:3] cbsz:4 abid:6
	v_cmp_ne_u16_sdwa s[12:13], v24, v28 src0_sel:BYTE_0 src1_sel:DWORD
	v_mfma_f32_4x4x4f16 a[0:3], v[4:5], v[30:31], a[0:3] cbsz:4 abid:6
	s_and_saveexec_b64 s[14:15], s[12:13]
	s_cbranch_execz .LBB506_358
; %bb.353:
	s_movk_i32 s11, 0x80
	v_cmp_ne_u16_sdwa s[12:13], v24, s11 src0_sel:BYTE_0 src1_sel:DWORD
	v_bfrev_b32_e32 v28, 1
	s_and_saveexec_b64 s[24:25], s[12:13]
	s_cbranch_execz .LBB506_357
; %bb.354:
	s_movk_i32 s11, 0x7f
	v_and_b32_e32 v22, 0x7f, v24
	v_cmp_ne_u32_e64 s[12:13], s11, v22
	v_mov_b32_e32 v28, 0x7f800001
	s_and_saveexec_b64 s[26:27], s[12:13]
	s_cbranch_execz .LBB506_356
; %bb.355:
	v_and_b32_e32 v23, 7, v24
	v_ffbh_u32_e32 v23, v23
	v_min_u32_e32 v23, 32, v23
	v_subrev_u32_e32 v27, 28, v23
	v_cmp_gt_u32_e64 s[12:13], 8, v22
	v_lshrrev_b32_e32 v26, 3, v22
	v_sub_u32_e32 v23, 29, v23
	v_cndmask_b32_e64 v22, 0, v27, s[12:13]
	v_cndmask_b32_e64 v26, v26, v23, s[12:13]
	v_lshlrev_b64 v[22:23], v22, v[24:25]
	v_lshlrev_b32_e32 v22, 20, v22
	v_lshlrev_b32_e32 v23, 24, v24
	v_bfrev_b32_e32 v27, 60
	v_and_b32_e32 v22, 0x700000, v22
	v_and_b32_e32 v23, 0x80000000, v23
	v_lshl_add_u32 v26, v26, 23, v27
	v_or3_b32 v28, v23, v26, v22
.LBB506_356:
	s_or_b64 exec, exec, s[26:27]
.LBB506_357:
	s_or_b64 exec, exec, s[24:25]
.LBB506_358:
	s_or_b64 exec, exec, s[14:15]
	v_lshrrev_b16_e32 v22, 8, v24
	v_cmp_ne_u16_e64 s[12:13], 0, v22
	v_mov_b32_e32 v27, 0
	v_mov_b32_e32 v29, 0
	s_and_saveexec_b64 s[14:15], s[12:13]
	s_cbranch_execz .LBB506_364
; %bb.359:
	s_movk_i32 s11, 0x80
	v_cmp_ne_u16_e64 s[12:13], s11, v22
	v_bfrev_b32_e32 v29, 1
	s_and_saveexec_b64 s[24:25], s[12:13]
	s_cbranch_execz .LBB506_363
; %bb.360:
	s_movk_i32 s11, 0x7f
	v_and_b32_e32 v23, 0x7f, v22
	v_cmp_ne_u32_e64 s[12:13], s11, v23
	v_mov_b32_e32 v29, 0x7f800001
	s_and_saveexec_b64 s[26:27], s[12:13]
	s_cbranch_execz .LBB506_362
; %bb.361:
	v_and_b32_e32 v26, 7, v22
	v_ffbh_u32_e32 v30, v26
	v_min_u32_e32 v32, 32, v30
	v_subrev_u32_e32 v30, 28, v32
	v_lshlrev_b64 v[30:31], v30, v[22:23]
	v_lshrrev_b32_e32 v29, 3, v23
	v_sub_u32_e32 v22, 29, v32
	v_and_b32_e32 v30, 7, v30
	v_cmp_gt_u32_e64 s[12:13], 8, v23
	v_cndmask_b32_e64 v22, v29, v22, s[12:13]
	v_cndmask_b32_e64 v23, v26, v30, s[12:13]
	v_lshlrev_b32_e32 v26, 16, v24
	v_bfrev_b32_e32 v29, 60
	v_lshlrev_b32_e32 v23, 20, v23
	v_and_b32_e32 v26, 0x80000000, v26
	v_lshl_add_u32 v22, v22, 23, v29
	v_or3_b32 v29, v26, v22, v23
.LBB506_362:
	s_or_b64 exec, exec, s[26:27]
.LBB506_363:
	s_or_b64 exec, exec, s[24:25]
.LBB506_364:
	s_or_b64 exec, exec, s[14:15]
	s_movk_i32 s11, 0xff
	v_and_b32_sdwa v23, v24, s11 dst_sel:DWORD dst_unused:UNUSED_PAD src0_sel:WORD_1 src1_sel:DWORD
	v_lshrrev_b32_e32 v22, 16, v24
	v_cmp_ne_u16_e64 s[12:13], 0, v23
	s_and_saveexec_b64 s[14:15], s[12:13]
	s_cbranch_execz .LBB506_370
; %bb.365:
	s_movk_i32 s11, 0x80
	v_cmp_ne_u16_e64 s[12:13], s11, v23
	v_bfrev_b32_e32 v27, 1
	s_and_saveexec_b64 s[24:25], s[12:13]
	s_cbranch_execz .LBB506_369
; %bb.366:
	v_bfe_u32 v23, v24, 16, 7
	s_movk_i32 s11, 0x7f
	v_cmp_ne_u32_e64 s[12:13], s11, v23
	v_mov_b32_e32 v27, 0x7f800001
	s_and_saveexec_b64 s[26:27], s[12:13]
	s_cbranch_execz .LBB506_368
; %bb.367:
	v_and_b32_e32 v30, 7, v22
	v_ffbh_u32_e32 v26, v30
	v_min_u32_e32 v32, 32, v26
	v_subrev_u32_e32 v26, 28, v32
	v_lshlrev_b64 v[26:27], v26, v[22:23]
	v_and_b32_e32 v26, 7, v26
	v_cmp_gt_u32_e64 s[12:13], 8, v23
	v_lshrrev_b32_e32 v31, 3, v23
	v_sub_u32_e32 v22, 29, v32
	v_cndmask_b32_e64 v23, v30, v26, s[12:13]
	v_mov_b32_e32 v26, 24
	v_cndmask_b32_e64 v22, v31, v22, s[12:13]
	v_lshlrev_b32_sdwa v26, v26, v24 dst_sel:DWORD dst_unused:UNUSED_PAD src0_sel:DWORD src1_sel:WORD_1
	v_bfrev_b32_e32 v27, 60
	v_lshlrev_b32_e32 v23, 20, v23
	v_and_b32_e32 v26, 0x80000000, v26
	v_lshl_add_u32 v22, v22, 23, v27
	v_or3_b32 v27, v26, v22, v23
.LBB506_368:
	s_or_b64 exec, exec, s[26:27]
.LBB506_369:
	s_or_b64 exec, exec, s[24:25]
.LBB506_370:
	s_or_b64 exec, exec, s[14:15]
	s_mov_b32 s11, 0xffffff
	v_cmp_lt_u32_e64 s[12:13], s11, v24
	v_mov_b32_e32 v23, 0
	v_mov_b32_e32 v30, 0
	s_and_saveexec_b64 s[14:15], s[12:13]
	s_cbranch_execz .LBB506_376
; %bb.371:
	v_lshrrev_b32_e32 v22, 24, v24
	s_movk_i32 s11, 0x80
	v_cmp_ne_u32_e64 s[12:13], s11, v22
	v_bfrev_b32_e32 v30, 1
	s_and_saveexec_b64 s[24:25], s[12:13]
	s_cbranch_execz .LBB506_375
; %bb.372:
	v_bfe_u32 v26, v24, 24, 7
	s_movk_i32 s11, 0x7f
	v_cmp_ne_u32_e64 s[12:13], s11, v26
	v_mov_b32_e32 v30, 0x7f800001
	s_and_saveexec_b64 s[26:27], s[12:13]
	s_cbranch_execz .LBB506_374
; %bb.373:
	v_and_b32_e32 v32, 7, v22
	v_ffbh_u32_e32 v30, v32
	v_min_u32_e32 v34, 32, v30
	v_subrev_u32_e32 v30, 28, v34
	v_lshlrev_b64 v[30:31], v30, v[22:23]
	v_lshrrev_b32_e32 v33, 3, v26
	v_sub_u32_e32 v31, 29, v34
	v_and_b32_e32 v30, 7, v30
	v_cmp_gt_u32_e64 s[12:13], 8, v26
	v_cndmask_b32_e64 v26, v33, v31, s[12:13]
	v_cndmask_b32_e64 v30, v32, v30, s[12:13]
	v_lshlrev_b32_e32 v22, 24, v22
	v_bfrev_b32_e32 v31, 60
	v_lshlrev_b32_e32 v30, 20, v30
	v_and_b32_e32 v22, 0x80000000, v22
	v_lshl_add_u32 v26, v26, 23, v31
	v_or3_b32 v30, v22, v26, v30
.LBB506_374:
	s_or_b64 exec, exec, s[26:27]
.LBB506_375:
	s_or_b64 exec, exec, s[24:25]
.LBB506_376:
	s_or_b64 exec, exec, s[14:15]
	v_mov_b32_e32 v22, v25
	v_cmp_ne_u16_sdwa s[12:13], v25, v23 src0_sel:BYTE_0 src1_sel:DWORD
	s_and_saveexec_b64 s[14:15], s[12:13]
	s_cbranch_execz .LBB506_382
; %bb.377:
	s_movk_i32 s11, 0x80
	v_cmp_ne_u16_sdwa s[12:13], v25, s11 src0_sel:BYTE_0 src1_sel:DWORD
	v_bfrev_b32_e32 v26, 1
	s_and_saveexec_b64 s[24:25], s[12:13]
	s_cbranch_execz .LBB506_381
; %bb.378:
	s_movk_i32 s11, 0x7f
	v_and_b32_e32 v31, 0x7f, v25
	v_cmp_ne_u32_e64 s[12:13], s11, v31
	v_mov_b32_e32 v26, 0x7f800001
	s_and_saveexec_b64 s[26:27], s[12:13]
	s_cbranch_execz .LBB506_380
; %bb.379:
	v_and_b32_e32 v26, 7, v25
	v_ffbh_u32_e32 v26, v26
	v_min_u32_e32 v26, 32, v26
	v_subrev_u32_e32 v33, 28, v26
	v_cmp_gt_u32_e64 s[12:13], 8, v31
	v_lshrrev_b32_e32 v32, 3, v31
	v_sub_u32_e32 v26, 29, v26
	v_cndmask_b32_e64 v31, 0, v33, s[12:13]
	v_cndmask_b32_e64 v26, v32, v26, s[12:13]
	v_lshlrev_b64 v[32:33], v31, v[22:23]
	v_lshlrev_b32_e32 v23, 20, v32
	v_lshlrev_b32_e32 v31, 24, v22
	v_bfrev_b32_e32 v32, 60
	v_and_b32_e32 v23, 0x700000, v23
	v_and_b32_e32 v31, 0x80000000, v31
	v_lshl_add_u32 v26, v26, 23, v32
	v_or3_b32 v26, v31, v26, v23
.LBB506_380:
	s_or_b64 exec, exec, s[26:27]
.LBB506_381:
	s_or_b64 exec, exec, s[24:25]
	v_mov_b32_e32 v23, v26
.LBB506_382:
	s_or_b64 exec, exec, s[14:15]
	v_lshrrev_b16_e32 v26, 8, v22
	v_cmp_ne_u16_e64 s[12:13], 0, v26
	v_mov_b32_e32 v31, 0
	v_mov_b32_e32 v32, 0
	s_and_saveexec_b64 s[14:15], s[12:13]
	s_cbranch_execz .LBB506_388
; %bb.383:
	s_movk_i32 s11, 0x80
	v_cmp_ne_u16_e64 s[12:13], s11, v26
	v_bfrev_b32_e32 v32, 1
	s_and_saveexec_b64 s[24:25], s[12:13]
	s_cbranch_execz .LBB506_387
; %bb.384:
	s_movk_i32 s11, 0x7f
	v_and_b32_e32 v33, 0x7f, v26
	v_cmp_ne_u32_e64 s[12:13], s11, v33
	v_mov_b32_e32 v32, 0x7f800001
	s_and_saveexec_b64 s[26:27], s[12:13]
	s_cbranch_execz .LBB506_386
; %bb.385:
	v_and_b32_e32 v32, 7, v26
	v_ffbh_u32_e32 v34, v32
	v_min_u32_e32 v37, 32, v34
	v_subrev_u32_e32 v34, 28, v37
	v_lshlrev_b64 v[34:35], v34, v[26:27]
	v_lshrrev_b32_e32 v36, 3, v33
	v_sub_u32_e32 v26, 29, v37
	v_and_b32_e32 v34, 7, v34
	v_cmp_gt_u32_e64 s[12:13], 8, v33
	v_cndmask_b32_e64 v26, v36, v26, s[12:13]
	v_cndmask_b32_e64 v32, v32, v34, s[12:13]
	v_lshlrev_b32_e32 v22, 16, v22
	v_bfrev_b32_e32 v33, 60
	v_lshlrev_b32_e32 v32, 20, v32
	v_and_b32_e32 v22, 0x80000000, v22
	v_lshl_add_u32 v26, v26, 23, v33
	v_or3_b32 v32, v22, v26, v32
.LBB506_386:
	s_or_b64 exec, exec, s[26:27]
.LBB506_387:
	s_or_b64 exec, exec, s[24:25]
.LBB506_388:
	s_or_b64 exec, exec, s[14:15]
	s_movk_i32 s11, 0xff
	v_and_b32_sdwa v26, v25, s11 dst_sel:DWORD dst_unused:UNUSED_PAD src0_sel:WORD_1 src1_sel:DWORD
	v_lshrrev_b32_e32 v22, 16, v25
	v_cmp_ne_u16_e64 s[12:13], 0, v26
	s_and_saveexec_b64 s[14:15], s[12:13]
	s_cbranch_execz .LBB506_394
; %bb.389:
	s_movk_i32 s11, 0x80
	v_cmp_ne_u16_e64 s[12:13], s11, v26
	v_bfrev_b32_e32 v31, 1
	s_and_saveexec_b64 s[24:25], s[12:13]
	s_cbranch_execz .LBB506_393
; %bb.390:
	v_bfe_u32 v26, v25, 16, 7
	s_movk_i32 s11, 0x7f
	v_cmp_ne_u32_e64 s[12:13], s11, v26
	v_mov_b32_e32 v31, 0x7f800001
	s_and_saveexec_b64 s[26:27], s[12:13]
	s_cbranch_execz .LBB506_392
; %bb.391:
	v_and_b32_e32 v31, 7, v22
	v_ffbh_u32_e32 v34, v31
	v_min_u32_e32 v36, 32, v34
	v_subrev_u32_e32 v34, 28, v36
	v_lshlrev_b64 v[34:35], v34, v[22:23]
	v_and_b32_e32 v34, 7, v34
	v_cmp_gt_u32_e64 s[12:13], 8, v26
	v_lshrrev_b32_e32 v33, 3, v26
	v_sub_u32_e32 v22, 29, v36
	v_cndmask_b32_e64 v26, v31, v34, s[12:13]
	v_mov_b32_e32 v31, 24
	v_cndmask_b32_e64 v22, v33, v22, s[12:13]
	v_lshlrev_b32_sdwa v31, v31, v25 dst_sel:DWORD dst_unused:UNUSED_PAD src0_sel:DWORD src1_sel:WORD_1
	v_bfrev_b32_e32 v33, 60
	v_lshlrev_b32_e32 v26, 20, v26
	v_and_b32_e32 v31, 0x80000000, v31
	v_lshl_add_u32 v22, v22, 23, v33
	v_or3_b32 v31, v31, v22, v26
.LBB506_392:
	s_or_b64 exec, exec, s[26:27]
.LBB506_393:
	s_or_b64 exec, exec, s[24:25]
.LBB506_394:
	s_or_b64 exec, exec, s[14:15]
	s_mov_b32 s12, -1
	s_mov_b32 s13, 0xffffff
	v_cmp_lt_u64_e64 s[12:13], s[12:13], v[24:25]
	v_mov_b32_e32 v26, 0
	v_mov_b32_e32 v24, 0
	s_and_saveexec_b64 s[14:15], s[12:13]
	s_cbranch_execz .LBB506_400
; %bb.395:
	v_lshrrev_b32_e32 v22, 24, v25
	s_movk_i32 s11, 0x80
	v_cmp_ne_u32_e64 s[12:13], s11, v22
	v_bfrev_b32_e32 v24, 1
	s_and_saveexec_b64 s[24:25], s[12:13]
	s_cbranch_execz .LBB506_399
; %bb.396:
	v_bfe_u32 v25, v25, 24, 7
	s_movk_i32 s11, 0x7f
	v_cmp_ne_u32_e64 s[12:13], s11, v25
	v_mov_b32_e32 v24, 0x7f800001
	s_and_saveexec_b64 s[26:27], s[12:13]
	s_cbranch_execz .LBB506_398
; %bb.397:
	v_and_b32_e32 v24, 7, v22
	v_ffbh_u32_e32 v34, v24
	v_min_u32_e32 v36, 32, v34
	v_subrev_u32_e32 v34, 28, v36
	v_lshlrev_b64 v[34:35], v34, v[22:23]
	v_lshrrev_b32_e32 v33, 3, v25
	v_sub_u32_e32 v35, 29, v36
	v_and_b32_e32 v34, 7, v34
	v_cmp_gt_u32_e64 s[12:13], 8, v25
	v_cndmask_b32_e64 v25, v33, v35, s[12:13]
	v_cndmask_b32_e64 v24, v24, v34, s[12:13]
	v_lshlrev_b32_e32 v22, 24, v22
	v_bfrev_b32_e32 v33, 60
	v_lshlrev_b32_e32 v24, 20, v24
	v_and_b32_e32 v22, 0x80000000, v22
	v_lshl_add_u32 v25, v25, 23, v33
	v_or3_b32 v24, v22, v25, v24
.LBB506_398:
	s_or_b64 exec, exec, s[26:27]
.LBB506_399:
	s_or_b64 exec, exec, s[24:25]
.LBB506_400:
	s_or_b64 exec, exec, s[14:15]
	v_cvt_pkrtz_f16_f32 v28, v28, v29
	v_cvt_pkrtz_f16_f32 v29, v27, v30
	;; [unrolled: 1-line block ×4, first 2 shown]
	v_mfma_f32_4x4x4f16 a[0:3], v[2:3], v[28:29], a[0:3] cbsz:4 abid:7
	v_cmp_ne_u16_sdwa s[12:13], v18, v26 src0_sel:BYTE_0 src1_sel:DWORD
	v_mfma_f32_4x4x4f16 a[0:3], v[4:5], v[22:23], a[0:3] cbsz:4 abid:7
	s_and_saveexec_b64 s[14:15], s[12:13]
	s_cbranch_execz .LBB506_406
; %bb.401:
	s_movk_i32 s11, 0x80
	v_cmp_ne_u16_sdwa s[12:13], v18, s11 src0_sel:BYTE_0 src1_sel:DWORD
	v_bfrev_b32_e32 v26, 1
	s_and_saveexec_b64 s[24:25], s[12:13]
	s_cbranch_execz .LBB506_405
; %bb.402:
	s_movk_i32 s11, 0x7f
	v_and_b32_e32 v22, 0x7f, v18
	v_cmp_ne_u32_e64 s[12:13], s11, v22
	v_mov_b32_e32 v26, 0x7f800001
	s_and_saveexec_b64 s[26:27], s[12:13]
	s_cbranch_execz .LBB506_404
; %bb.403:
	v_and_b32_e32 v23, 7, v18
	v_ffbh_u32_e32 v23, v23
	v_min_u32_e32 v23, 32, v23
	v_subrev_u32_e32 v25, 28, v23
	v_cmp_gt_u32_e64 s[12:13], 8, v22
	v_lshrrev_b32_e32 v24, 3, v22
	v_sub_u32_e32 v23, 29, v23
	v_cndmask_b32_e64 v22, 0, v25, s[12:13]
	v_cndmask_b32_e64 v24, v24, v23, s[12:13]
	v_lshlrev_b64 v[22:23], v22, v[18:19]
	v_lshlrev_b32_e32 v22, 20, v22
	v_lshlrev_b32_e32 v23, 24, v18
	v_bfrev_b32_e32 v25, 60
	v_and_b32_e32 v22, 0x700000, v22
	v_and_b32_e32 v23, 0x80000000, v23
	v_lshl_add_u32 v24, v24, 23, v25
	v_or3_b32 v26, v23, v24, v22
.LBB506_404:
	s_or_b64 exec, exec, s[26:27]
.LBB506_405:
	s_or_b64 exec, exec, s[24:25]
.LBB506_406:
	s_or_b64 exec, exec, s[14:15]
	v_lshrrev_b16_e32 v22, 8, v18
	v_cmp_ne_u16_e64 s[12:13], 0, v22
	v_mov_b32_e32 v25, 0
	v_mov_b32_e32 v27, 0
	s_and_saveexec_b64 s[14:15], s[12:13]
	s_cbranch_execz .LBB506_412
; %bb.407:
	s_movk_i32 s11, 0x80
	v_cmp_ne_u16_e64 s[12:13], s11, v22
	v_bfrev_b32_e32 v27, 1
	s_and_saveexec_b64 s[24:25], s[12:13]
	s_cbranch_execz .LBB506_411
; %bb.408:
	s_movk_i32 s11, 0x7f
	v_and_b32_e32 v23, 0x7f, v22
	v_cmp_ne_u32_e64 s[12:13], s11, v23
	v_mov_b32_e32 v27, 0x7f800001
	s_and_saveexec_b64 s[26:27], s[12:13]
	s_cbranch_execz .LBB506_410
; %bb.409:
	v_and_b32_e32 v24, 7, v22
	v_ffbh_u32_e32 v28, v24
	v_min_u32_e32 v30, 32, v28
	v_subrev_u32_e32 v28, 28, v30
	v_lshlrev_b64 v[28:29], v28, v[22:23]
	v_lshrrev_b32_e32 v27, 3, v23
	v_sub_u32_e32 v22, 29, v30
	v_and_b32_e32 v28, 7, v28
	v_cmp_gt_u32_e64 s[12:13], 8, v23
	v_cndmask_b32_e64 v22, v27, v22, s[12:13]
	v_cndmask_b32_e64 v23, v24, v28, s[12:13]
	v_lshlrev_b32_e32 v24, 16, v18
	v_bfrev_b32_e32 v27, 60
	v_lshlrev_b32_e32 v23, 20, v23
	v_and_b32_e32 v24, 0x80000000, v24
	v_lshl_add_u32 v22, v22, 23, v27
	v_or3_b32 v27, v24, v22, v23
.LBB506_410:
	s_or_b64 exec, exec, s[26:27]
.LBB506_411:
	s_or_b64 exec, exec, s[24:25]
.LBB506_412:
	s_or_b64 exec, exec, s[14:15]
	s_movk_i32 s11, 0xff
	v_and_b32_sdwa v23, v18, s11 dst_sel:DWORD dst_unused:UNUSED_PAD src0_sel:WORD_1 src1_sel:DWORD
	v_lshrrev_b32_e32 v22, 16, v18
	v_cmp_ne_u16_e64 s[12:13], 0, v23
	s_and_saveexec_b64 s[14:15], s[12:13]
	s_cbranch_execz .LBB506_418
; %bb.413:
	s_movk_i32 s11, 0x80
	v_cmp_ne_u16_e64 s[12:13], s11, v23
	v_bfrev_b32_e32 v25, 1
	s_and_saveexec_b64 s[24:25], s[12:13]
	s_cbranch_execz .LBB506_417
; %bb.414:
	v_bfe_u32 v23, v18, 16, 7
	s_movk_i32 s11, 0x7f
	v_cmp_ne_u32_e64 s[12:13], s11, v23
	v_mov_b32_e32 v25, 0x7f800001
	s_and_saveexec_b64 s[26:27], s[12:13]
	s_cbranch_execz .LBB506_416
; %bb.415:
	v_and_b32_e32 v28, 7, v22
	v_ffbh_u32_e32 v24, v28
	v_min_u32_e32 v30, 32, v24
	v_subrev_u32_e32 v24, 28, v30
	v_lshlrev_b64 v[24:25], v24, v[22:23]
	v_and_b32_e32 v24, 7, v24
	v_cmp_gt_u32_e64 s[12:13], 8, v23
	v_lshrrev_b32_e32 v29, 3, v23
	v_sub_u32_e32 v22, 29, v30
	v_cndmask_b32_e64 v23, v28, v24, s[12:13]
	v_mov_b32_e32 v24, 24
	v_cndmask_b32_e64 v22, v29, v22, s[12:13]
	v_lshlrev_b32_sdwa v24, v24, v18 dst_sel:DWORD dst_unused:UNUSED_PAD src0_sel:DWORD src1_sel:WORD_1
	v_bfrev_b32_e32 v25, 60
	v_lshlrev_b32_e32 v23, 20, v23
	v_and_b32_e32 v24, 0x80000000, v24
	v_lshl_add_u32 v22, v22, 23, v25
	v_or3_b32 v25, v24, v22, v23
.LBB506_416:
	s_or_b64 exec, exec, s[26:27]
.LBB506_417:
	s_or_b64 exec, exec, s[24:25]
.LBB506_418:
	s_or_b64 exec, exec, s[14:15]
	s_mov_b32 s11, 0xffffff
	v_cmp_lt_u32_e64 s[12:13], s11, v18
	v_mov_b32_e32 v23, 0
	v_mov_b32_e32 v28, 0
	s_and_saveexec_b64 s[14:15], s[12:13]
	s_cbranch_execz .LBB506_424
; %bb.419:
	v_lshrrev_b32_e32 v22, 24, v18
	s_movk_i32 s11, 0x80
	v_cmp_ne_u32_e64 s[12:13], s11, v22
	v_bfrev_b32_e32 v28, 1
	s_and_saveexec_b64 s[24:25], s[12:13]
	s_cbranch_execz .LBB506_423
; %bb.420:
	v_bfe_u32 v24, v18, 24, 7
	s_movk_i32 s11, 0x7f
	v_cmp_ne_u32_e64 s[12:13], s11, v24
	v_mov_b32_e32 v28, 0x7f800001
	s_and_saveexec_b64 s[26:27], s[12:13]
	s_cbranch_execz .LBB506_422
; %bb.421:
	v_and_b32_e32 v30, 7, v22
	v_ffbh_u32_e32 v28, v30
	v_min_u32_e32 v32, 32, v28
	v_subrev_u32_e32 v28, 28, v32
	v_lshlrev_b64 v[28:29], v28, v[22:23]
	v_lshrrev_b32_e32 v31, 3, v24
	v_sub_u32_e32 v29, 29, v32
	v_and_b32_e32 v28, 7, v28
	v_cmp_gt_u32_e64 s[12:13], 8, v24
	v_cndmask_b32_e64 v24, v31, v29, s[12:13]
	v_cndmask_b32_e64 v28, v30, v28, s[12:13]
	v_lshlrev_b32_e32 v22, 24, v22
	v_bfrev_b32_e32 v29, 60
	v_lshlrev_b32_e32 v28, 20, v28
	v_and_b32_e32 v22, 0x80000000, v22
	v_lshl_add_u32 v24, v24, 23, v29
	v_or3_b32 v28, v22, v24, v28
.LBB506_422:
	s_or_b64 exec, exec, s[26:27]
.LBB506_423:
	s_or_b64 exec, exec, s[24:25]
.LBB506_424:
	s_or_b64 exec, exec, s[14:15]
	v_mov_b32_e32 v22, v19
	v_cmp_ne_u16_sdwa s[12:13], v19, v23 src0_sel:BYTE_0 src1_sel:DWORD
	s_and_saveexec_b64 s[14:15], s[12:13]
	s_cbranch_execz .LBB506_430
; %bb.425:
	s_movk_i32 s11, 0x80
	v_cmp_ne_u16_sdwa s[12:13], v19, s11 src0_sel:BYTE_0 src1_sel:DWORD
	v_bfrev_b32_e32 v24, 1
	s_and_saveexec_b64 s[24:25], s[12:13]
	s_cbranch_execz .LBB506_429
; %bb.426:
	s_movk_i32 s11, 0x7f
	v_and_b32_e32 v29, 0x7f, v19
	v_cmp_ne_u32_e64 s[12:13], s11, v29
	v_mov_b32_e32 v24, 0x7f800001
	s_and_saveexec_b64 s[26:27], s[12:13]
	s_cbranch_execz .LBB506_428
; %bb.427:
	v_and_b32_e32 v24, 7, v19
	v_ffbh_u32_e32 v24, v24
	v_min_u32_e32 v24, 32, v24
	v_subrev_u32_e32 v31, 28, v24
	v_cmp_gt_u32_e64 s[12:13], 8, v29
	v_lshrrev_b32_e32 v30, 3, v29
	v_sub_u32_e32 v24, 29, v24
	v_cndmask_b32_e64 v29, 0, v31, s[12:13]
	v_cndmask_b32_e64 v24, v30, v24, s[12:13]
	v_lshlrev_b64 v[30:31], v29, v[22:23]
	v_lshlrev_b32_e32 v23, 20, v30
	v_lshlrev_b32_e32 v29, 24, v22
	v_bfrev_b32_e32 v30, 60
	v_and_b32_e32 v23, 0x700000, v23
	v_and_b32_e32 v29, 0x80000000, v29
	v_lshl_add_u32 v24, v24, 23, v30
	v_or3_b32 v24, v29, v24, v23
.LBB506_428:
	s_or_b64 exec, exec, s[26:27]
.LBB506_429:
	s_or_b64 exec, exec, s[24:25]
	v_mov_b32_e32 v23, v24
.LBB506_430:
	s_or_b64 exec, exec, s[14:15]
	v_lshrrev_b16_e32 v24, 8, v22
	v_cmp_ne_u16_e64 s[12:13], 0, v24
	v_mov_b32_e32 v29, 0
	v_mov_b32_e32 v30, 0
	s_and_saveexec_b64 s[14:15], s[12:13]
	s_cbranch_execz .LBB506_436
; %bb.431:
	s_movk_i32 s11, 0x80
	v_cmp_ne_u16_e64 s[12:13], s11, v24
	v_bfrev_b32_e32 v30, 1
	s_and_saveexec_b64 s[24:25], s[12:13]
	s_cbranch_execz .LBB506_435
; %bb.432:
	s_movk_i32 s11, 0x7f
	v_and_b32_e32 v31, 0x7f, v24
	v_cmp_ne_u32_e64 s[12:13], s11, v31
	v_mov_b32_e32 v30, 0x7f800001
	s_and_saveexec_b64 s[26:27], s[12:13]
	s_cbranch_execz .LBB506_434
; %bb.433:
	v_and_b32_e32 v30, 7, v24
	v_ffbh_u32_e32 v32, v30
	v_min_u32_e32 v35, 32, v32
	v_subrev_u32_e32 v32, 28, v35
	v_lshlrev_b64 v[32:33], v32, v[24:25]
	v_lshrrev_b32_e32 v34, 3, v31
	v_sub_u32_e32 v24, 29, v35
	v_and_b32_e32 v32, 7, v32
	v_cmp_gt_u32_e64 s[12:13], 8, v31
	v_cndmask_b32_e64 v24, v34, v24, s[12:13]
	v_cndmask_b32_e64 v30, v30, v32, s[12:13]
	v_lshlrev_b32_e32 v22, 16, v22
	v_bfrev_b32_e32 v31, 60
	v_lshlrev_b32_e32 v30, 20, v30
	v_and_b32_e32 v22, 0x80000000, v22
	v_lshl_add_u32 v24, v24, 23, v31
	v_or3_b32 v30, v22, v24, v30
.LBB506_434:
	s_or_b64 exec, exec, s[26:27]
.LBB506_435:
	s_or_b64 exec, exec, s[24:25]
.LBB506_436:
	s_or_b64 exec, exec, s[14:15]
	s_movk_i32 s11, 0xff
	v_and_b32_sdwa v24, v19, s11 dst_sel:DWORD dst_unused:UNUSED_PAD src0_sel:WORD_1 src1_sel:DWORD
	v_lshrrev_b32_e32 v22, 16, v19
	v_cmp_ne_u16_e64 s[12:13], 0, v24
	s_and_saveexec_b64 s[14:15], s[12:13]
	s_cbranch_execz .LBB506_442
; %bb.437:
	s_movk_i32 s11, 0x80
	v_cmp_ne_u16_e64 s[12:13], s11, v24
	v_bfrev_b32_e32 v29, 1
	s_and_saveexec_b64 s[24:25], s[12:13]
	s_cbranch_execz .LBB506_441
; %bb.438:
	v_bfe_u32 v24, v19, 16, 7
	s_movk_i32 s11, 0x7f
	v_cmp_ne_u32_e64 s[12:13], s11, v24
	v_mov_b32_e32 v29, 0x7f800001
	s_and_saveexec_b64 s[26:27], s[12:13]
	s_cbranch_execz .LBB506_440
; %bb.439:
	v_and_b32_e32 v29, 7, v22
	v_ffbh_u32_e32 v32, v29
	v_min_u32_e32 v34, 32, v32
	v_subrev_u32_e32 v32, 28, v34
	v_lshlrev_b64 v[32:33], v32, v[22:23]
	v_and_b32_e32 v32, 7, v32
	v_cmp_gt_u32_e64 s[12:13], 8, v24
	v_lshrrev_b32_e32 v31, 3, v24
	v_sub_u32_e32 v22, 29, v34
	v_cndmask_b32_e64 v24, v29, v32, s[12:13]
	v_mov_b32_e32 v29, 24
	v_cndmask_b32_e64 v22, v31, v22, s[12:13]
	v_lshlrev_b32_sdwa v29, v29, v19 dst_sel:DWORD dst_unused:UNUSED_PAD src0_sel:DWORD src1_sel:WORD_1
	v_bfrev_b32_e32 v31, 60
	v_lshlrev_b32_e32 v24, 20, v24
	v_and_b32_e32 v29, 0x80000000, v29
	v_lshl_add_u32 v22, v22, 23, v31
	v_or3_b32 v29, v29, v22, v24
.LBB506_440:
	s_or_b64 exec, exec, s[26:27]
.LBB506_441:
	s_or_b64 exec, exec, s[24:25]
.LBB506_442:
	s_or_b64 exec, exec, s[14:15]
	s_mov_b32 s12, -1
	s_mov_b32 s13, 0xffffff
	v_cmp_lt_u64_e64 s[12:13], s[12:13], v[18:19]
	v_mov_b32_e32 v24, 0
	v_mov_b32_e32 v22, 0
	s_and_saveexec_b64 s[14:15], s[12:13]
	s_cbranch_execz .LBB506_448
; %bb.443:
	v_lshrrev_b32_e32 v18, 24, v19
	s_movk_i32 s11, 0x80
	v_cmp_ne_u32_e64 s[12:13], s11, v18
	v_bfrev_b32_e32 v22, 1
	s_and_saveexec_b64 s[24:25], s[12:13]
	s_cbranch_execz .LBB506_447
; %bb.444:
	v_bfe_u32 v19, v19, 24, 7
	s_movk_i32 s11, 0x7f
	v_cmp_ne_u32_e64 s[12:13], s11, v19
	v_mov_b32_e32 v22, 0x7f800001
	s_and_saveexec_b64 s[26:27], s[12:13]
	s_cbranch_execz .LBB506_446
; %bb.445:
	v_and_b32_e32 v22, 7, v18
	v_ffbh_u32_e32 v32, v22
	v_min_u32_e32 v34, 32, v32
	v_subrev_u32_e32 v32, 28, v34
	v_lshlrev_b64 v[32:33], v32, v[18:19]
	v_lshrrev_b32_e32 v31, 3, v19
	v_sub_u32_e32 v33, 29, v34
	v_and_b32_e32 v32, 7, v32
	v_cmp_gt_u32_e64 s[12:13], 8, v19
	v_cndmask_b32_e64 v19, v31, v33, s[12:13]
	v_cndmask_b32_e64 v22, v22, v32, s[12:13]
	v_lshlrev_b32_e32 v18, 24, v18
	v_bfrev_b32_e32 v31, 60
	v_lshlrev_b32_e32 v22, 20, v22
	v_and_b32_e32 v18, 0x80000000, v18
	v_lshl_add_u32 v19, v19, 23, v31
	v_or3_b32 v22, v18, v19, v22
.LBB506_446:
	s_or_b64 exec, exec, s[26:27]
.LBB506_447:
	s_or_b64 exec, exec, s[24:25]
.LBB506_448:
	s_or_b64 exec, exec, s[14:15]
	v_cvt_pkrtz_f16_f32 v18, v26, v27
	v_cvt_pkrtz_f16_f32 v19, v25, v28
	;; [unrolled: 1-line block ×4, first 2 shown]
	v_mfma_f32_4x4x4f16 a[0:3], v[2:3], v[18:19], a[0:3] cbsz:4 abid:8
	v_cmp_ne_u16_sdwa s[12:13], v20, v24 src0_sel:BYTE_0 src1_sel:DWORD
	v_mfma_f32_4x4x4f16 a[0:3], v[4:5], v[26:27], a[0:3] cbsz:4 abid:8
	s_and_saveexec_b64 s[14:15], s[12:13]
	s_cbranch_execz .LBB506_454
; %bb.449:
	s_movk_i32 s11, 0x80
	v_cmp_ne_u16_sdwa s[12:13], v20, s11 src0_sel:BYTE_0 src1_sel:DWORD
	v_bfrev_b32_e32 v24, 1
	s_and_saveexec_b64 s[24:25], s[12:13]
	s_cbranch_execz .LBB506_453
; %bb.450:
	s_movk_i32 s11, 0x7f
	v_and_b32_e32 v18, 0x7f, v20
	v_cmp_ne_u32_e64 s[12:13], s11, v18
	v_mov_b32_e32 v24, 0x7f800001
	s_and_saveexec_b64 s[26:27], s[12:13]
	s_cbranch_execz .LBB506_452
; %bb.451:
	v_and_b32_e32 v19, 7, v20
	v_ffbh_u32_e32 v19, v19
	v_min_u32_e32 v19, 32, v19
	v_subrev_u32_e32 v23, 28, v19
	v_cmp_gt_u32_e64 s[12:13], 8, v18
	v_lshrrev_b32_e32 v22, 3, v18
	v_sub_u32_e32 v19, 29, v19
	v_cndmask_b32_e64 v18, 0, v23, s[12:13]
	v_cndmask_b32_e64 v22, v22, v19, s[12:13]
	v_lshlrev_b64 v[18:19], v18, v[20:21]
	v_lshlrev_b32_e32 v18, 20, v18
	v_lshlrev_b32_e32 v19, 24, v20
	v_bfrev_b32_e32 v23, 60
	v_and_b32_e32 v18, 0x700000, v18
	v_and_b32_e32 v19, 0x80000000, v19
	v_lshl_add_u32 v22, v22, 23, v23
	v_or3_b32 v24, v19, v22, v18
.LBB506_452:
	s_or_b64 exec, exec, s[26:27]
.LBB506_453:
	s_or_b64 exec, exec, s[24:25]
.LBB506_454:
	s_or_b64 exec, exec, s[14:15]
	v_lshrrev_b16_e32 v18, 8, v20
	v_cmp_ne_u16_e64 s[12:13], 0, v18
	v_mov_b32_e32 v23, 0
	v_mov_b32_e32 v25, 0
	s_and_saveexec_b64 s[14:15], s[12:13]
	s_cbranch_execz .LBB506_460
; %bb.455:
	s_movk_i32 s11, 0x80
	v_cmp_ne_u16_e64 s[12:13], s11, v18
	v_bfrev_b32_e32 v25, 1
	s_and_saveexec_b64 s[24:25], s[12:13]
	s_cbranch_execz .LBB506_459
; %bb.456:
	s_movk_i32 s11, 0x7f
	v_and_b32_e32 v19, 0x7f, v18
	v_cmp_ne_u32_e64 s[12:13], s11, v19
	v_mov_b32_e32 v25, 0x7f800001
	s_and_saveexec_b64 s[26:27], s[12:13]
	s_cbranch_execz .LBB506_458
; %bb.457:
	v_and_b32_e32 v22, 7, v18
	v_ffbh_u32_e32 v26, v22
	v_min_u32_e32 v28, 32, v26
	v_subrev_u32_e32 v26, 28, v28
	v_lshlrev_b64 v[26:27], v26, v[18:19]
	v_lshrrev_b32_e32 v25, 3, v19
	v_sub_u32_e32 v18, 29, v28
	v_and_b32_e32 v26, 7, v26
	v_cmp_gt_u32_e64 s[12:13], 8, v19
	v_cndmask_b32_e64 v18, v25, v18, s[12:13]
	v_cndmask_b32_e64 v19, v22, v26, s[12:13]
	v_lshlrev_b32_e32 v22, 16, v20
	v_bfrev_b32_e32 v25, 60
	v_lshlrev_b32_e32 v19, 20, v19
	v_and_b32_e32 v22, 0x80000000, v22
	v_lshl_add_u32 v18, v18, 23, v25
	v_or3_b32 v25, v22, v18, v19
.LBB506_458:
	s_or_b64 exec, exec, s[26:27]
.LBB506_459:
	s_or_b64 exec, exec, s[24:25]
.LBB506_460:
	s_or_b64 exec, exec, s[14:15]
	s_movk_i32 s11, 0xff
	v_and_b32_sdwa v19, v20, s11 dst_sel:DWORD dst_unused:UNUSED_PAD src0_sel:WORD_1 src1_sel:DWORD
	v_lshrrev_b32_e32 v18, 16, v20
	v_cmp_ne_u16_e64 s[12:13], 0, v19
	s_and_saveexec_b64 s[14:15], s[12:13]
	s_cbranch_execz .LBB506_466
; %bb.461:
	s_movk_i32 s11, 0x80
	v_cmp_ne_u16_e64 s[12:13], s11, v19
	v_bfrev_b32_e32 v23, 1
	s_and_saveexec_b64 s[24:25], s[12:13]
	s_cbranch_execz .LBB506_465
; %bb.462:
	v_bfe_u32 v19, v20, 16, 7
	s_movk_i32 s11, 0x7f
	v_cmp_ne_u32_e64 s[12:13], s11, v19
	v_mov_b32_e32 v23, 0x7f800001
	s_and_saveexec_b64 s[26:27], s[12:13]
	s_cbranch_execz .LBB506_464
; %bb.463:
	v_and_b32_e32 v26, 7, v18
	v_ffbh_u32_e32 v22, v26
	v_min_u32_e32 v28, 32, v22
	v_subrev_u32_e32 v22, 28, v28
	v_lshlrev_b64 v[22:23], v22, v[18:19]
	v_and_b32_e32 v22, 7, v22
	v_cmp_gt_u32_e64 s[12:13], 8, v19
	v_lshrrev_b32_e32 v27, 3, v19
	v_sub_u32_e32 v18, 29, v28
	v_cndmask_b32_e64 v19, v26, v22, s[12:13]
	v_mov_b32_e32 v22, 24
	v_cndmask_b32_e64 v18, v27, v18, s[12:13]
	v_lshlrev_b32_sdwa v22, v22, v20 dst_sel:DWORD dst_unused:UNUSED_PAD src0_sel:DWORD src1_sel:WORD_1
	v_bfrev_b32_e32 v23, 60
	v_lshlrev_b32_e32 v19, 20, v19
	v_and_b32_e32 v22, 0x80000000, v22
	v_lshl_add_u32 v18, v18, 23, v23
	v_or3_b32 v23, v22, v18, v19
.LBB506_464:
	s_or_b64 exec, exec, s[26:27]
.LBB506_465:
	s_or_b64 exec, exec, s[24:25]
.LBB506_466:
	s_or_b64 exec, exec, s[14:15]
	s_mov_b32 s11, 0xffffff
	v_cmp_lt_u32_e64 s[12:13], s11, v20
	v_mov_b32_e32 v19, 0
	v_mov_b32_e32 v26, 0
	s_and_saveexec_b64 s[14:15], s[12:13]
	s_cbranch_execz .LBB506_472
; %bb.467:
	v_lshrrev_b32_e32 v18, 24, v20
	s_movk_i32 s11, 0x80
	v_cmp_ne_u32_e64 s[12:13], s11, v18
	v_bfrev_b32_e32 v26, 1
	s_and_saveexec_b64 s[24:25], s[12:13]
	s_cbranch_execz .LBB506_471
; %bb.468:
	v_bfe_u32 v22, v20, 24, 7
	s_movk_i32 s11, 0x7f
	v_cmp_ne_u32_e64 s[12:13], s11, v22
	v_mov_b32_e32 v26, 0x7f800001
	s_and_saveexec_b64 s[26:27], s[12:13]
	s_cbranch_execz .LBB506_470
; %bb.469:
	v_and_b32_e32 v28, 7, v18
	v_ffbh_u32_e32 v26, v28
	v_min_u32_e32 v30, 32, v26
	v_subrev_u32_e32 v26, 28, v30
	v_lshlrev_b64 v[26:27], v26, v[18:19]
	v_lshrrev_b32_e32 v29, 3, v22
	v_sub_u32_e32 v27, 29, v30
	v_and_b32_e32 v26, 7, v26
	v_cmp_gt_u32_e64 s[12:13], 8, v22
	v_cndmask_b32_e64 v22, v29, v27, s[12:13]
	v_cndmask_b32_e64 v26, v28, v26, s[12:13]
	v_lshlrev_b32_e32 v18, 24, v18
	v_bfrev_b32_e32 v27, 60
	v_lshlrev_b32_e32 v26, 20, v26
	v_and_b32_e32 v18, 0x80000000, v18
	v_lshl_add_u32 v22, v22, 23, v27
	v_or3_b32 v26, v18, v22, v26
.LBB506_470:
	s_or_b64 exec, exec, s[26:27]
.LBB506_471:
	s_or_b64 exec, exec, s[24:25]
.LBB506_472:
	s_or_b64 exec, exec, s[14:15]
	v_mov_b32_e32 v18, v21
	v_cmp_ne_u16_sdwa s[12:13], v21, v19 src0_sel:BYTE_0 src1_sel:DWORD
	s_and_saveexec_b64 s[14:15], s[12:13]
	s_cbranch_execz .LBB506_478
; %bb.473:
	s_movk_i32 s11, 0x80
	v_cmp_ne_u16_sdwa s[12:13], v21, s11 src0_sel:BYTE_0 src1_sel:DWORD
	v_bfrev_b32_e32 v22, 1
	s_and_saveexec_b64 s[24:25], s[12:13]
	s_cbranch_execz .LBB506_477
; %bb.474:
	s_movk_i32 s11, 0x7f
	v_and_b32_e32 v27, 0x7f, v21
	v_cmp_ne_u32_e64 s[12:13], s11, v27
	v_mov_b32_e32 v22, 0x7f800001
	s_and_saveexec_b64 s[26:27], s[12:13]
	s_cbranch_execz .LBB506_476
; %bb.475:
	v_and_b32_e32 v22, 7, v21
	v_ffbh_u32_e32 v22, v22
	v_min_u32_e32 v22, 32, v22
	v_subrev_u32_e32 v29, 28, v22
	v_cmp_gt_u32_e64 s[12:13], 8, v27
	v_lshrrev_b32_e32 v28, 3, v27
	v_sub_u32_e32 v22, 29, v22
	v_cndmask_b32_e64 v27, 0, v29, s[12:13]
	v_cndmask_b32_e64 v22, v28, v22, s[12:13]
	v_lshlrev_b64 v[28:29], v27, v[18:19]
	v_lshlrev_b32_e32 v19, 20, v28
	v_lshlrev_b32_e32 v27, 24, v18
	v_bfrev_b32_e32 v28, 60
	v_and_b32_e32 v19, 0x700000, v19
	v_and_b32_e32 v27, 0x80000000, v27
	v_lshl_add_u32 v22, v22, 23, v28
	v_or3_b32 v22, v27, v22, v19
.LBB506_476:
	s_or_b64 exec, exec, s[26:27]
.LBB506_477:
	s_or_b64 exec, exec, s[24:25]
	v_mov_b32_e32 v19, v22
.LBB506_478:
	s_or_b64 exec, exec, s[14:15]
	v_lshrrev_b16_e32 v22, 8, v18
	v_cmp_ne_u16_e64 s[12:13], 0, v22
	v_mov_b32_e32 v27, 0
	v_mov_b32_e32 v28, 0
	s_and_saveexec_b64 s[14:15], s[12:13]
	s_cbranch_execz .LBB506_484
; %bb.479:
	s_movk_i32 s11, 0x80
	v_cmp_ne_u16_e64 s[12:13], s11, v22
	v_bfrev_b32_e32 v28, 1
	s_and_saveexec_b64 s[24:25], s[12:13]
	s_cbranch_execz .LBB506_483
; %bb.480:
	s_movk_i32 s11, 0x7f
	v_and_b32_e32 v29, 0x7f, v22
	v_cmp_ne_u32_e64 s[12:13], s11, v29
	v_mov_b32_e32 v28, 0x7f800001
	s_and_saveexec_b64 s[26:27], s[12:13]
	s_cbranch_execz .LBB506_482
; %bb.481:
	v_and_b32_e32 v28, 7, v22
	v_ffbh_u32_e32 v30, v28
	v_min_u32_e32 v33, 32, v30
	v_subrev_u32_e32 v30, 28, v33
	v_lshlrev_b64 v[30:31], v30, v[22:23]
	v_lshrrev_b32_e32 v32, 3, v29
	v_sub_u32_e32 v22, 29, v33
	v_and_b32_e32 v30, 7, v30
	v_cmp_gt_u32_e64 s[12:13], 8, v29
	v_cndmask_b32_e64 v22, v32, v22, s[12:13]
	v_cndmask_b32_e64 v28, v28, v30, s[12:13]
	v_lshlrev_b32_e32 v18, 16, v18
	v_bfrev_b32_e32 v29, 60
	v_lshlrev_b32_e32 v28, 20, v28
	v_and_b32_e32 v18, 0x80000000, v18
	v_lshl_add_u32 v22, v22, 23, v29
	v_or3_b32 v28, v18, v22, v28
.LBB506_482:
	s_or_b64 exec, exec, s[26:27]
.LBB506_483:
	s_or_b64 exec, exec, s[24:25]
.LBB506_484:
	s_or_b64 exec, exec, s[14:15]
	s_movk_i32 s11, 0xff
	v_and_b32_sdwa v22, v21, s11 dst_sel:DWORD dst_unused:UNUSED_PAD src0_sel:WORD_1 src1_sel:DWORD
	v_lshrrev_b32_e32 v18, 16, v21
	v_cmp_ne_u16_e64 s[12:13], 0, v22
	s_and_saveexec_b64 s[14:15], s[12:13]
	s_cbranch_execz .LBB506_490
; %bb.485:
	s_movk_i32 s11, 0x80
	v_cmp_ne_u16_e64 s[12:13], s11, v22
	v_bfrev_b32_e32 v27, 1
	s_and_saveexec_b64 s[24:25], s[12:13]
	s_cbranch_execz .LBB506_489
; %bb.486:
	v_bfe_u32 v22, v21, 16, 7
	s_movk_i32 s11, 0x7f
	v_cmp_ne_u32_e64 s[12:13], s11, v22
	v_mov_b32_e32 v27, 0x7f800001
	s_and_saveexec_b64 s[26:27], s[12:13]
	s_cbranch_execz .LBB506_488
; %bb.487:
	v_and_b32_e32 v27, 7, v18
	v_ffbh_u32_e32 v30, v27
	v_min_u32_e32 v32, 32, v30
	v_subrev_u32_e32 v30, 28, v32
	v_lshlrev_b64 v[30:31], v30, v[18:19]
	v_and_b32_e32 v30, 7, v30
	v_cmp_gt_u32_e64 s[12:13], 8, v22
	v_lshrrev_b32_e32 v29, 3, v22
	v_sub_u32_e32 v18, 29, v32
	v_cndmask_b32_e64 v22, v27, v30, s[12:13]
	v_mov_b32_e32 v27, 24
	v_cndmask_b32_e64 v18, v29, v18, s[12:13]
	v_lshlrev_b32_sdwa v27, v27, v21 dst_sel:DWORD dst_unused:UNUSED_PAD src0_sel:DWORD src1_sel:WORD_1
	v_bfrev_b32_e32 v29, 60
	v_lshlrev_b32_e32 v22, 20, v22
	v_and_b32_e32 v27, 0x80000000, v27
	v_lshl_add_u32 v18, v18, 23, v29
	v_or3_b32 v27, v27, v18, v22
.LBB506_488:
	s_or_b64 exec, exec, s[26:27]
.LBB506_489:
	s_or_b64 exec, exec, s[24:25]
.LBB506_490:
	s_or_b64 exec, exec, s[14:15]
	s_mov_b32 s12, -1
	s_mov_b32 s13, 0xffffff
	v_cmp_lt_u64_e64 s[12:13], s[12:13], v[20:21]
	v_mov_b32_e32 v22, 0
	v_mov_b32_e32 v20, 0
	s_and_saveexec_b64 s[14:15], s[12:13]
	s_cbranch_execz .LBB506_496
; %bb.491:
	v_lshrrev_b32_e32 v18, 24, v21
	s_movk_i32 s11, 0x80
	v_cmp_ne_u32_e64 s[12:13], s11, v18
	v_bfrev_b32_e32 v20, 1
	s_and_saveexec_b64 s[24:25], s[12:13]
	s_cbranch_execz .LBB506_495
; %bb.492:
	v_bfe_u32 v21, v21, 24, 7
	s_movk_i32 s11, 0x7f
	v_cmp_ne_u32_e64 s[12:13], s11, v21
	v_mov_b32_e32 v20, 0x7f800001
	s_and_saveexec_b64 s[26:27], s[12:13]
	s_cbranch_execz .LBB506_494
; %bb.493:
	v_and_b32_e32 v20, 7, v18
	v_ffbh_u32_e32 v30, v20
	v_min_u32_e32 v32, 32, v30
	v_subrev_u32_e32 v30, 28, v32
	v_lshlrev_b64 v[30:31], v30, v[18:19]
	v_lshrrev_b32_e32 v29, 3, v21
	v_sub_u32_e32 v31, 29, v32
	v_and_b32_e32 v30, 7, v30
	v_cmp_gt_u32_e64 s[12:13], 8, v21
	v_cndmask_b32_e64 v21, v29, v31, s[12:13]
	v_cndmask_b32_e64 v20, v20, v30, s[12:13]
	v_lshlrev_b32_e32 v18, 24, v18
	v_bfrev_b32_e32 v29, 60
	v_lshlrev_b32_e32 v20, 20, v20
	v_and_b32_e32 v18, 0x80000000, v18
	v_lshl_add_u32 v21, v21, 23, v29
	v_or3_b32 v20, v18, v21, v20
.LBB506_494:
	s_or_b64 exec, exec, s[26:27]
.LBB506_495:
	s_or_b64 exec, exec, s[24:25]
.LBB506_496:
	s_or_b64 exec, exec, s[14:15]
	v_cvt_pkrtz_f16_f32 v24, v24, v25
	v_cvt_pkrtz_f16_f32 v25, v23, v26
	;; [unrolled: 1-line block ×4, first 2 shown]
	v_mfma_f32_4x4x4f16 a[0:3], v[2:3], v[24:25], a[0:3] cbsz:4 abid:9
	v_cmp_ne_u16_sdwa s[12:13], v14, v22 src0_sel:BYTE_0 src1_sel:DWORD
	v_mfma_f32_4x4x4f16 a[0:3], v[4:5], v[18:19], a[0:3] cbsz:4 abid:9
	s_and_saveexec_b64 s[14:15], s[12:13]
	s_cbranch_execz .LBB506_502
; %bb.497:
	s_movk_i32 s11, 0x80
	v_cmp_ne_u16_sdwa s[12:13], v14, s11 src0_sel:BYTE_0 src1_sel:DWORD
	v_bfrev_b32_e32 v22, 1
	s_and_saveexec_b64 s[24:25], s[12:13]
	s_cbranch_execz .LBB506_501
; %bb.498:
	s_movk_i32 s11, 0x7f
	v_and_b32_e32 v18, 0x7f, v14
	v_cmp_ne_u32_e64 s[12:13], s11, v18
	v_mov_b32_e32 v22, 0x7f800001
	s_and_saveexec_b64 s[26:27], s[12:13]
	s_cbranch_execz .LBB506_500
; %bb.499:
	v_and_b32_e32 v19, 7, v14
	v_ffbh_u32_e32 v19, v19
	v_min_u32_e32 v19, 32, v19
	v_subrev_u32_e32 v21, 28, v19
	v_cmp_gt_u32_e64 s[12:13], 8, v18
	v_lshrrev_b32_e32 v20, 3, v18
	v_sub_u32_e32 v19, 29, v19
	v_cndmask_b32_e64 v18, 0, v21, s[12:13]
	v_cndmask_b32_e64 v20, v20, v19, s[12:13]
	v_lshlrev_b64 v[18:19], v18, v[14:15]
	v_lshlrev_b32_e32 v18, 20, v18
	v_lshlrev_b32_e32 v19, 24, v14
	v_bfrev_b32_e32 v21, 60
	v_and_b32_e32 v18, 0x700000, v18
	v_and_b32_e32 v19, 0x80000000, v19
	v_lshl_add_u32 v20, v20, 23, v21
	v_or3_b32 v22, v19, v20, v18
.LBB506_500:
	s_or_b64 exec, exec, s[26:27]
.LBB506_501:
	s_or_b64 exec, exec, s[24:25]
.LBB506_502:
	s_or_b64 exec, exec, s[14:15]
	v_lshrrev_b16_e32 v18, 8, v14
	v_cmp_ne_u16_e64 s[12:13], 0, v18
	v_mov_b32_e32 v21, 0
	v_mov_b32_e32 v23, 0
	s_and_saveexec_b64 s[14:15], s[12:13]
	s_cbranch_execz .LBB506_508
; %bb.503:
	s_movk_i32 s11, 0x80
	v_cmp_ne_u16_e64 s[12:13], s11, v18
	v_bfrev_b32_e32 v23, 1
	s_and_saveexec_b64 s[24:25], s[12:13]
	s_cbranch_execz .LBB506_507
; %bb.504:
	s_movk_i32 s11, 0x7f
	v_and_b32_e32 v19, 0x7f, v18
	v_cmp_ne_u32_e64 s[12:13], s11, v19
	v_mov_b32_e32 v23, 0x7f800001
	s_and_saveexec_b64 s[26:27], s[12:13]
	s_cbranch_execz .LBB506_506
; %bb.505:
	v_and_b32_e32 v20, 7, v18
	v_ffbh_u32_e32 v24, v20
	v_min_u32_e32 v26, 32, v24
	v_subrev_u32_e32 v24, 28, v26
	v_lshlrev_b64 v[24:25], v24, v[18:19]
	v_lshrrev_b32_e32 v23, 3, v19
	v_sub_u32_e32 v18, 29, v26
	v_and_b32_e32 v24, 7, v24
	v_cmp_gt_u32_e64 s[12:13], 8, v19
	v_cndmask_b32_e64 v18, v23, v18, s[12:13]
	v_cndmask_b32_e64 v19, v20, v24, s[12:13]
	v_lshlrev_b32_e32 v20, 16, v14
	v_bfrev_b32_e32 v23, 60
	v_lshlrev_b32_e32 v19, 20, v19
	v_and_b32_e32 v20, 0x80000000, v20
	v_lshl_add_u32 v18, v18, 23, v23
	v_or3_b32 v23, v20, v18, v19
.LBB506_506:
	s_or_b64 exec, exec, s[26:27]
.LBB506_507:
	s_or_b64 exec, exec, s[24:25]
.LBB506_508:
	s_or_b64 exec, exec, s[14:15]
	s_movk_i32 s11, 0xff
	v_and_b32_sdwa v19, v14, s11 dst_sel:DWORD dst_unused:UNUSED_PAD src0_sel:WORD_1 src1_sel:DWORD
	v_lshrrev_b32_e32 v18, 16, v14
	v_cmp_ne_u16_e64 s[12:13], 0, v19
	s_and_saveexec_b64 s[14:15], s[12:13]
	s_cbranch_execz .LBB506_514
; %bb.509:
	s_movk_i32 s11, 0x80
	v_cmp_ne_u16_e64 s[12:13], s11, v19
	v_bfrev_b32_e32 v21, 1
	s_and_saveexec_b64 s[24:25], s[12:13]
	s_cbranch_execz .LBB506_513
; %bb.510:
	v_bfe_u32 v19, v14, 16, 7
	s_movk_i32 s11, 0x7f
	v_cmp_ne_u32_e64 s[12:13], s11, v19
	v_mov_b32_e32 v21, 0x7f800001
	s_and_saveexec_b64 s[26:27], s[12:13]
	s_cbranch_execz .LBB506_512
; %bb.511:
	v_and_b32_e32 v24, 7, v18
	v_ffbh_u32_e32 v20, v24
	v_min_u32_e32 v26, 32, v20
	v_subrev_u32_e32 v20, 28, v26
	v_lshlrev_b64 v[20:21], v20, v[18:19]
	v_and_b32_e32 v20, 7, v20
	v_cmp_gt_u32_e64 s[12:13], 8, v19
	v_lshrrev_b32_e32 v25, 3, v19
	v_sub_u32_e32 v18, 29, v26
	v_cndmask_b32_e64 v19, v24, v20, s[12:13]
	v_mov_b32_e32 v20, 24
	v_cndmask_b32_e64 v18, v25, v18, s[12:13]
	v_lshlrev_b32_sdwa v20, v20, v14 dst_sel:DWORD dst_unused:UNUSED_PAD src0_sel:DWORD src1_sel:WORD_1
	v_bfrev_b32_e32 v21, 60
	v_lshlrev_b32_e32 v19, 20, v19
	v_and_b32_e32 v20, 0x80000000, v20
	v_lshl_add_u32 v18, v18, 23, v21
	v_or3_b32 v21, v20, v18, v19
.LBB506_512:
	s_or_b64 exec, exec, s[26:27]
.LBB506_513:
	s_or_b64 exec, exec, s[24:25]
.LBB506_514:
	s_or_b64 exec, exec, s[14:15]
	s_mov_b32 s11, 0xffffff
	v_cmp_lt_u32_e64 s[12:13], s11, v14
	v_mov_b32_e32 v19, 0
	v_mov_b32_e32 v24, 0
	s_and_saveexec_b64 s[14:15], s[12:13]
	s_cbranch_execz .LBB506_520
; %bb.515:
	v_lshrrev_b32_e32 v18, 24, v14
	s_movk_i32 s11, 0x80
	v_cmp_ne_u32_e64 s[12:13], s11, v18
	v_bfrev_b32_e32 v24, 1
	s_and_saveexec_b64 s[24:25], s[12:13]
	s_cbranch_execz .LBB506_519
; %bb.516:
	v_bfe_u32 v20, v14, 24, 7
	s_movk_i32 s11, 0x7f
	v_cmp_ne_u32_e64 s[12:13], s11, v20
	v_mov_b32_e32 v24, 0x7f800001
	s_and_saveexec_b64 s[26:27], s[12:13]
	s_cbranch_execz .LBB506_518
; %bb.517:
	v_and_b32_e32 v26, 7, v18
	v_ffbh_u32_e32 v24, v26
	v_min_u32_e32 v28, 32, v24
	v_subrev_u32_e32 v24, 28, v28
	v_lshlrev_b64 v[24:25], v24, v[18:19]
	v_lshrrev_b32_e32 v27, 3, v20
	v_sub_u32_e32 v25, 29, v28
	v_and_b32_e32 v24, 7, v24
	v_cmp_gt_u32_e64 s[12:13], 8, v20
	v_cndmask_b32_e64 v20, v27, v25, s[12:13]
	v_cndmask_b32_e64 v24, v26, v24, s[12:13]
	v_lshlrev_b32_e32 v18, 24, v18
	v_bfrev_b32_e32 v25, 60
	v_lshlrev_b32_e32 v24, 20, v24
	v_and_b32_e32 v18, 0x80000000, v18
	v_lshl_add_u32 v20, v20, 23, v25
	v_or3_b32 v24, v18, v20, v24
.LBB506_518:
	s_or_b64 exec, exec, s[26:27]
.LBB506_519:
	s_or_b64 exec, exec, s[24:25]
.LBB506_520:
	s_or_b64 exec, exec, s[14:15]
	v_mov_b32_e32 v18, v15
	v_cmp_ne_u16_sdwa s[12:13], v15, v19 src0_sel:BYTE_0 src1_sel:DWORD
	s_and_saveexec_b64 s[14:15], s[12:13]
	s_cbranch_execz .LBB506_526
; %bb.521:
	s_movk_i32 s11, 0x80
	v_cmp_ne_u16_sdwa s[12:13], v15, s11 src0_sel:BYTE_0 src1_sel:DWORD
	v_bfrev_b32_e32 v20, 1
	s_and_saveexec_b64 s[24:25], s[12:13]
	s_cbranch_execz .LBB506_525
; %bb.522:
	s_movk_i32 s11, 0x7f
	v_and_b32_e32 v25, 0x7f, v15
	v_cmp_ne_u32_e64 s[12:13], s11, v25
	v_mov_b32_e32 v20, 0x7f800001
	s_and_saveexec_b64 s[26:27], s[12:13]
	s_cbranch_execz .LBB506_524
; %bb.523:
	v_and_b32_e32 v20, 7, v15
	v_ffbh_u32_e32 v20, v20
	v_min_u32_e32 v20, 32, v20
	v_subrev_u32_e32 v27, 28, v20
	v_cmp_gt_u32_e64 s[12:13], 8, v25
	v_lshrrev_b32_e32 v26, 3, v25
	v_sub_u32_e32 v20, 29, v20
	v_cndmask_b32_e64 v25, 0, v27, s[12:13]
	v_cndmask_b32_e64 v20, v26, v20, s[12:13]
	v_lshlrev_b64 v[26:27], v25, v[18:19]
	v_lshlrev_b32_e32 v19, 20, v26
	v_lshlrev_b32_e32 v25, 24, v18
	v_bfrev_b32_e32 v26, 60
	v_and_b32_e32 v19, 0x700000, v19
	v_and_b32_e32 v25, 0x80000000, v25
	v_lshl_add_u32 v20, v20, 23, v26
	v_or3_b32 v20, v25, v20, v19
.LBB506_524:
	s_or_b64 exec, exec, s[26:27]
.LBB506_525:
	s_or_b64 exec, exec, s[24:25]
	v_mov_b32_e32 v19, v20
.LBB506_526:
	s_or_b64 exec, exec, s[14:15]
	v_lshrrev_b16_e32 v20, 8, v18
	v_cmp_ne_u16_e64 s[12:13], 0, v20
	v_mov_b32_e32 v25, 0
	v_mov_b32_e32 v26, 0
	s_and_saveexec_b64 s[14:15], s[12:13]
	s_cbranch_execz .LBB506_532
; %bb.527:
	s_movk_i32 s11, 0x80
	v_cmp_ne_u16_e64 s[12:13], s11, v20
	v_bfrev_b32_e32 v26, 1
	s_and_saveexec_b64 s[24:25], s[12:13]
	s_cbranch_execz .LBB506_531
; %bb.528:
	s_movk_i32 s11, 0x7f
	v_and_b32_e32 v27, 0x7f, v20
	v_cmp_ne_u32_e64 s[12:13], s11, v27
	v_mov_b32_e32 v26, 0x7f800001
	s_and_saveexec_b64 s[26:27], s[12:13]
	s_cbranch_execz .LBB506_530
; %bb.529:
	v_and_b32_e32 v26, 7, v20
	v_ffbh_u32_e32 v28, v26
	v_min_u32_e32 v31, 32, v28
	v_subrev_u32_e32 v28, 28, v31
	v_lshlrev_b64 v[28:29], v28, v[20:21]
	v_lshrrev_b32_e32 v30, 3, v27
	v_sub_u32_e32 v20, 29, v31
	v_and_b32_e32 v28, 7, v28
	v_cmp_gt_u32_e64 s[12:13], 8, v27
	v_cndmask_b32_e64 v20, v30, v20, s[12:13]
	v_cndmask_b32_e64 v26, v26, v28, s[12:13]
	v_lshlrev_b32_e32 v18, 16, v18
	v_bfrev_b32_e32 v27, 60
	v_lshlrev_b32_e32 v26, 20, v26
	v_and_b32_e32 v18, 0x80000000, v18
	v_lshl_add_u32 v20, v20, 23, v27
	v_or3_b32 v26, v18, v20, v26
.LBB506_530:
	s_or_b64 exec, exec, s[26:27]
.LBB506_531:
	s_or_b64 exec, exec, s[24:25]
.LBB506_532:
	s_or_b64 exec, exec, s[14:15]
	s_movk_i32 s11, 0xff
	v_and_b32_sdwa v20, v15, s11 dst_sel:DWORD dst_unused:UNUSED_PAD src0_sel:WORD_1 src1_sel:DWORD
	v_lshrrev_b32_e32 v18, 16, v15
	v_cmp_ne_u16_e64 s[12:13], 0, v20
	s_and_saveexec_b64 s[14:15], s[12:13]
	s_cbranch_execz .LBB506_538
; %bb.533:
	s_movk_i32 s11, 0x80
	v_cmp_ne_u16_e64 s[12:13], s11, v20
	v_bfrev_b32_e32 v25, 1
	s_and_saveexec_b64 s[24:25], s[12:13]
	s_cbranch_execz .LBB506_537
; %bb.534:
	v_bfe_u32 v20, v15, 16, 7
	s_movk_i32 s11, 0x7f
	v_cmp_ne_u32_e64 s[12:13], s11, v20
	v_mov_b32_e32 v25, 0x7f800001
	s_and_saveexec_b64 s[26:27], s[12:13]
	s_cbranch_execz .LBB506_536
; %bb.535:
	v_and_b32_e32 v25, 7, v18
	v_ffbh_u32_e32 v28, v25
	v_min_u32_e32 v30, 32, v28
	v_subrev_u32_e32 v28, 28, v30
	v_lshlrev_b64 v[28:29], v28, v[18:19]
	v_and_b32_e32 v28, 7, v28
	v_cmp_gt_u32_e64 s[12:13], 8, v20
	v_lshrrev_b32_e32 v27, 3, v20
	v_sub_u32_e32 v18, 29, v30
	v_cndmask_b32_e64 v20, v25, v28, s[12:13]
	v_mov_b32_e32 v25, 24
	v_cndmask_b32_e64 v18, v27, v18, s[12:13]
	v_lshlrev_b32_sdwa v25, v25, v15 dst_sel:DWORD dst_unused:UNUSED_PAD src0_sel:DWORD src1_sel:WORD_1
	v_bfrev_b32_e32 v27, 60
	v_lshlrev_b32_e32 v20, 20, v20
	v_and_b32_e32 v25, 0x80000000, v25
	v_lshl_add_u32 v18, v18, 23, v27
	v_or3_b32 v25, v25, v18, v20
.LBB506_536:
	s_or_b64 exec, exec, s[26:27]
.LBB506_537:
	s_or_b64 exec, exec, s[24:25]
.LBB506_538:
	s_or_b64 exec, exec, s[14:15]
	s_mov_b32 s12, -1
	s_mov_b32 s13, 0xffffff
	v_cmp_lt_u64_e64 s[12:13], s[12:13], v[14:15]
	v_mov_b32_e32 v20, 0
	v_mov_b32_e32 v18, 0
	s_and_saveexec_b64 s[14:15], s[12:13]
	s_cbranch_execz .LBB506_544
; %bb.539:
	v_lshrrev_b32_e32 v14, 24, v15
	s_movk_i32 s11, 0x80
	v_cmp_ne_u32_e64 s[12:13], s11, v14
	v_bfrev_b32_e32 v18, 1
	s_and_saveexec_b64 s[24:25], s[12:13]
	s_cbranch_execz .LBB506_543
; %bb.540:
	v_bfe_u32 v15, v15, 24, 7
	s_movk_i32 s11, 0x7f
	v_cmp_ne_u32_e64 s[12:13], s11, v15
	v_mov_b32_e32 v18, 0x7f800001
	s_and_saveexec_b64 s[26:27], s[12:13]
	s_cbranch_execz .LBB506_542
; %bb.541:
	v_and_b32_e32 v18, 7, v14
	v_ffbh_u32_e32 v28, v18
	v_min_u32_e32 v30, 32, v28
	v_subrev_u32_e32 v28, 28, v30
	v_lshlrev_b64 v[28:29], v28, v[14:15]
	v_lshrrev_b32_e32 v27, 3, v15
	v_sub_u32_e32 v29, 29, v30
	v_and_b32_e32 v28, 7, v28
	v_cmp_gt_u32_e64 s[12:13], 8, v15
	v_cndmask_b32_e64 v15, v27, v29, s[12:13]
	v_cndmask_b32_e64 v18, v18, v28, s[12:13]
	v_lshlrev_b32_e32 v14, 24, v14
	v_bfrev_b32_e32 v27, 60
	v_lshlrev_b32_e32 v18, 20, v18
	v_and_b32_e32 v14, 0x80000000, v14
	v_lshl_add_u32 v15, v15, 23, v27
	v_or3_b32 v18, v14, v15, v18
.LBB506_542:
	s_or_b64 exec, exec, s[26:27]
.LBB506_543:
	s_or_b64 exec, exec, s[24:25]
.LBB506_544:
	s_or_b64 exec, exec, s[14:15]
	v_cvt_pkrtz_f16_f32 v14, v22, v23
	v_cvt_pkrtz_f16_f32 v15, v21, v24
	;; [unrolled: 1-line block ×4, first 2 shown]
	v_mfma_f32_4x4x4f16 a[0:3], v[2:3], v[14:15], a[0:3] cbsz:4 abid:10
	v_cmp_ne_u16_sdwa s[12:13], v16, v20 src0_sel:BYTE_0 src1_sel:DWORD
	v_mfma_f32_4x4x4f16 a[0:3], v[4:5], v[22:23], a[0:3] cbsz:4 abid:10
	s_and_saveexec_b64 s[14:15], s[12:13]
	s_cbranch_execz .LBB506_550
; %bb.545:
	s_movk_i32 s11, 0x80
	v_cmp_ne_u16_sdwa s[12:13], v16, s11 src0_sel:BYTE_0 src1_sel:DWORD
	v_bfrev_b32_e32 v20, 1
	s_and_saveexec_b64 s[24:25], s[12:13]
	s_cbranch_execz .LBB506_549
; %bb.546:
	s_movk_i32 s11, 0x7f
	v_and_b32_e32 v14, 0x7f, v16
	v_cmp_ne_u32_e64 s[12:13], s11, v14
	v_mov_b32_e32 v20, 0x7f800001
	s_and_saveexec_b64 s[26:27], s[12:13]
	s_cbranch_execz .LBB506_548
; %bb.547:
	v_and_b32_e32 v15, 7, v16
	v_ffbh_u32_e32 v15, v15
	v_min_u32_e32 v15, 32, v15
	v_subrev_u32_e32 v19, 28, v15
	v_cmp_gt_u32_e64 s[12:13], 8, v14
	v_lshrrev_b32_e32 v18, 3, v14
	v_sub_u32_e32 v15, 29, v15
	v_cndmask_b32_e64 v14, 0, v19, s[12:13]
	v_cndmask_b32_e64 v18, v18, v15, s[12:13]
	v_lshlrev_b64 v[14:15], v14, v[16:17]
	v_lshlrev_b32_e32 v14, 20, v14
	v_lshlrev_b32_e32 v15, 24, v16
	v_bfrev_b32_e32 v19, 60
	v_and_b32_e32 v14, 0x700000, v14
	v_and_b32_e32 v15, 0x80000000, v15
	v_lshl_add_u32 v18, v18, 23, v19
	v_or3_b32 v20, v15, v18, v14
.LBB506_548:
	s_or_b64 exec, exec, s[26:27]
.LBB506_549:
	s_or_b64 exec, exec, s[24:25]
.LBB506_550:
	s_or_b64 exec, exec, s[14:15]
	v_lshrrev_b16_e32 v14, 8, v16
	v_cmp_ne_u16_e64 s[12:13], 0, v14
	v_mov_b32_e32 v19, 0
	v_mov_b32_e32 v21, 0
	s_and_saveexec_b64 s[14:15], s[12:13]
	s_cbranch_execz .LBB506_556
; %bb.551:
	s_movk_i32 s11, 0x80
	v_cmp_ne_u16_e64 s[12:13], s11, v14
	v_bfrev_b32_e32 v21, 1
	s_and_saveexec_b64 s[24:25], s[12:13]
	s_cbranch_execz .LBB506_555
; %bb.552:
	s_movk_i32 s11, 0x7f
	v_and_b32_e32 v15, 0x7f, v14
	v_cmp_ne_u32_e64 s[12:13], s11, v15
	v_mov_b32_e32 v21, 0x7f800001
	s_and_saveexec_b64 s[26:27], s[12:13]
	s_cbranch_execz .LBB506_554
; %bb.553:
	v_and_b32_e32 v18, 7, v14
	v_ffbh_u32_e32 v22, v18
	v_min_u32_e32 v24, 32, v22
	v_subrev_u32_e32 v22, 28, v24
	v_lshlrev_b64 v[22:23], v22, v[14:15]
	v_lshrrev_b32_e32 v21, 3, v15
	v_sub_u32_e32 v14, 29, v24
	v_and_b32_e32 v22, 7, v22
	v_cmp_gt_u32_e64 s[12:13], 8, v15
	v_cndmask_b32_e64 v14, v21, v14, s[12:13]
	v_cndmask_b32_e64 v15, v18, v22, s[12:13]
	v_lshlrev_b32_e32 v18, 16, v16
	v_bfrev_b32_e32 v21, 60
	v_lshlrev_b32_e32 v15, 20, v15
	v_and_b32_e32 v18, 0x80000000, v18
	v_lshl_add_u32 v14, v14, 23, v21
	v_or3_b32 v21, v18, v14, v15
.LBB506_554:
	s_or_b64 exec, exec, s[26:27]
.LBB506_555:
	s_or_b64 exec, exec, s[24:25]
.LBB506_556:
	s_or_b64 exec, exec, s[14:15]
	s_movk_i32 s11, 0xff
	v_and_b32_sdwa v15, v16, s11 dst_sel:DWORD dst_unused:UNUSED_PAD src0_sel:WORD_1 src1_sel:DWORD
	v_lshrrev_b32_e32 v14, 16, v16
	v_cmp_ne_u16_e64 s[12:13], 0, v15
	s_and_saveexec_b64 s[14:15], s[12:13]
	s_cbranch_execz .LBB506_562
; %bb.557:
	s_movk_i32 s11, 0x80
	v_cmp_ne_u16_e64 s[12:13], s11, v15
	v_bfrev_b32_e32 v19, 1
	s_and_saveexec_b64 s[24:25], s[12:13]
	s_cbranch_execz .LBB506_561
; %bb.558:
	v_bfe_u32 v15, v16, 16, 7
	s_movk_i32 s11, 0x7f
	v_cmp_ne_u32_e64 s[12:13], s11, v15
	v_mov_b32_e32 v19, 0x7f800001
	s_and_saveexec_b64 s[26:27], s[12:13]
	s_cbranch_execz .LBB506_560
; %bb.559:
	v_and_b32_e32 v22, 7, v14
	v_ffbh_u32_e32 v18, v22
	v_min_u32_e32 v24, 32, v18
	v_subrev_u32_e32 v18, 28, v24
	v_lshlrev_b64 v[18:19], v18, v[14:15]
	v_and_b32_e32 v18, 7, v18
	v_cmp_gt_u32_e64 s[12:13], 8, v15
	v_lshrrev_b32_e32 v23, 3, v15
	v_sub_u32_e32 v14, 29, v24
	v_cndmask_b32_e64 v15, v22, v18, s[12:13]
	v_mov_b32_e32 v18, 24
	v_cndmask_b32_e64 v14, v23, v14, s[12:13]
	v_lshlrev_b32_sdwa v18, v18, v16 dst_sel:DWORD dst_unused:UNUSED_PAD src0_sel:DWORD src1_sel:WORD_1
	v_bfrev_b32_e32 v19, 60
	v_lshlrev_b32_e32 v15, 20, v15
	v_and_b32_e32 v18, 0x80000000, v18
	v_lshl_add_u32 v14, v14, 23, v19
	v_or3_b32 v19, v18, v14, v15
.LBB506_560:
	s_or_b64 exec, exec, s[26:27]
.LBB506_561:
	s_or_b64 exec, exec, s[24:25]
.LBB506_562:
	s_or_b64 exec, exec, s[14:15]
	s_mov_b32 s11, 0xffffff
	v_cmp_lt_u32_e64 s[12:13], s11, v16
	v_mov_b32_e32 v15, 0
	v_mov_b32_e32 v22, 0
	s_and_saveexec_b64 s[14:15], s[12:13]
	s_cbranch_execz .LBB506_568
; %bb.563:
	v_lshrrev_b32_e32 v14, 24, v16
	s_movk_i32 s11, 0x80
	v_cmp_ne_u32_e64 s[12:13], s11, v14
	v_bfrev_b32_e32 v22, 1
	s_and_saveexec_b64 s[24:25], s[12:13]
	s_cbranch_execz .LBB506_567
; %bb.564:
	v_bfe_u32 v18, v16, 24, 7
	s_movk_i32 s11, 0x7f
	v_cmp_ne_u32_e64 s[12:13], s11, v18
	v_mov_b32_e32 v22, 0x7f800001
	s_and_saveexec_b64 s[26:27], s[12:13]
	s_cbranch_execz .LBB506_566
; %bb.565:
	v_and_b32_e32 v24, 7, v14
	v_ffbh_u32_e32 v22, v24
	v_min_u32_e32 v26, 32, v22
	v_subrev_u32_e32 v22, 28, v26
	v_lshlrev_b64 v[22:23], v22, v[14:15]
	v_lshrrev_b32_e32 v25, 3, v18
	v_sub_u32_e32 v23, 29, v26
	v_and_b32_e32 v22, 7, v22
	v_cmp_gt_u32_e64 s[12:13], 8, v18
	v_cndmask_b32_e64 v18, v25, v23, s[12:13]
	v_cndmask_b32_e64 v22, v24, v22, s[12:13]
	v_lshlrev_b32_e32 v14, 24, v14
	v_bfrev_b32_e32 v23, 60
	v_lshlrev_b32_e32 v22, 20, v22
	v_and_b32_e32 v14, 0x80000000, v14
	v_lshl_add_u32 v18, v18, 23, v23
	v_or3_b32 v22, v14, v18, v22
.LBB506_566:
	s_or_b64 exec, exec, s[26:27]
.LBB506_567:
	s_or_b64 exec, exec, s[24:25]
.LBB506_568:
	s_or_b64 exec, exec, s[14:15]
	v_mov_b32_e32 v14, v17
	v_cmp_ne_u16_sdwa s[12:13], v17, v15 src0_sel:BYTE_0 src1_sel:DWORD
	s_and_saveexec_b64 s[14:15], s[12:13]
	s_cbranch_execz .LBB506_574
; %bb.569:
	s_movk_i32 s11, 0x80
	v_cmp_ne_u16_sdwa s[12:13], v17, s11 src0_sel:BYTE_0 src1_sel:DWORD
	v_bfrev_b32_e32 v18, 1
	s_and_saveexec_b64 s[24:25], s[12:13]
	s_cbranch_execz .LBB506_573
; %bb.570:
	s_movk_i32 s11, 0x7f
	v_and_b32_e32 v23, 0x7f, v17
	v_cmp_ne_u32_e64 s[12:13], s11, v23
	v_mov_b32_e32 v18, 0x7f800001
	s_and_saveexec_b64 s[26:27], s[12:13]
	s_cbranch_execz .LBB506_572
; %bb.571:
	v_and_b32_e32 v18, 7, v17
	v_ffbh_u32_e32 v18, v18
	v_min_u32_e32 v18, 32, v18
	v_subrev_u32_e32 v25, 28, v18
	v_cmp_gt_u32_e64 s[12:13], 8, v23
	v_lshrrev_b32_e32 v24, 3, v23
	v_sub_u32_e32 v18, 29, v18
	v_cndmask_b32_e64 v23, 0, v25, s[12:13]
	v_cndmask_b32_e64 v18, v24, v18, s[12:13]
	v_lshlrev_b64 v[24:25], v23, v[14:15]
	v_lshlrev_b32_e32 v15, 20, v24
	v_lshlrev_b32_e32 v23, 24, v14
	v_bfrev_b32_e32 v24, 60
	v_and_b32_e32 v15, 0x700000, v15
	v_and_b32_e32 v23, 0x80000000, v23
	v_lshl_add_u32 v18, v18, 23, v24
	v_or3_b32 v18, v23, v18, v15
.LBB506_572:
	s_or_b64 exec, exec, s[26:27]
.LBB506_573:
	s_or_b64 exec, exec, s[24:25]
	v_mov_b32_e32 v15, v18
.LBB506_574:
	s_or_b64 exec, exec, s[14:15]
	v_lshrrev_b16_e32 v18, 8, v14
	v_cmp_ne_u16_e64 s[12:13], 0, v18
	v_mov_b32_e32 v23, 0
	v_mov_b32_e32 v24, 0
	s_and_saveexec_b64 s[14:15], s[12:13]
	s_cbranch_execz .LBB506_580
; %bb.575:
	s_movk_i32 s11, 0x80
	v_cmp_ne_u16_e64 s[12:13], s11, v18
	v_bfrev_b32_e32 v24, 1
	s_and_saveexec_b64 s[24:25], s[12:13]
	s_cbranch_execz .LBB506_579
; %bb.576:
	s_movk_i32 s11, 0x7f
	v_and_b32_e32 v25, 0x7f, v18
	v_cmp_ne_u32_e64 s[12:13], s11, v25
	v_mov_b32_e32 v24, 0x7f800001
	s_and_saveexec_b64 s[26:27], s[12:13]
	s_cbranch_execz .LBB506_578
; %bb.577:
	v_and_b32_e32 v24, 7, v18
	v_ffbh_u32_e32 v26, v24
	v_min_u32_e32 v29, 32, v26
	v_subrev_u32_e32 v26, 28, v29
	v_lshlrev_b64 v[26:27], v26, v[18:19]
	v_lshrrev_b32_e32 v28, 3, v25
	v_sub_u32_e32 v18, 29, v29
	v_and_b32_e32 v26, 7, v26
	v_cmp_gt_u32_e64 s[12:13], 8, v25
	v_cndmask_b32_e64 v18, v28, v18, s[12:13]
	v_cndmask_b32_e64 v24, v24, v26, s[12:13]
	v_lshlrev_b32_e32 v14, 16, v14
	v_bfrev_b32_e32 v25, 60
	v_lshlrev_b32_e32 v24, 20, v24
	v_and_b32_e32 v14, 0x80000000, v14
	v_lshl_add_u32 v18, v18, 23, v25
	v_or3_b32 v24, v14, v18, v24
.LBB506_578:
	s_or_b64 exec, exec, s[26:27]
.LBB506_579:
	s_or_b64 exec, exec, s[24:25]
.LBB506_580:
	s_or_b64 exec, exec, s[14:15]
	s_movk_i32 s11, 0xff
	v_and_b32_sdwa v18, v17, s11 dst_sel:DWORD dst_unused:UNUSED_PAD src0_sel:WORD_1 src1_sel:DWORD
	v_lshrrev_b32_e32 v14, 16, v17
	v_cmp_ne_u16_e64 s[12:13], 0, v18
	s_and_saveexec_b64 s[14:15], s[12:13]
	s_cbranch_execz .LBB506_586
; %bb.581:
	s_movk_i32 s11, 0x80
	v_cmp_ne_u16_e64 s[12:13], s11, v18
	v_bfrev_b32_e32 v23, 1
	s_and_saveexec_b64 s[24:25], s[12:13]
	s_cbranch_execz .LBB506_585
; %bb.582:
	v_bfe_u32 v18, v17, 16, 7
	s_movk_i32 s11, 0x7f
	v_cmp_ne_u32_e64 s[12:13], s11, v18
	v_mov_b32_e32 v23, 0x7f800001
	s_and_saveexec_b64 s[26:27], s[12:13]
	s_cbranch_execz .LBB506_584
; %bb.583:
	v_and_b32_e32 v23, 7, v14
	v_ffbh_u32_e32 v26, v23
	v_min_u32_e32 v28, 32, v26
	v_subrev_u32_e32 v26, 28, v28
	v_lshlrev_b64 v[26:27], v26, v[14:15]
	v_and_b32_e32 v26, 7, v26
	v_cmp_gt_u32_e64 s[12:13], 8, v18
	v_lshrrev_b32_e32 v25, 3, v18
	v_sub_u32_e32 v14, 29, v28
	v_cndmask_b32_e64 v18, v23, v26, s[12:13]
	v_mov_b32_e32 v23, 24
	v_cndmask_b32_e64 v14, v25, v14, s[12:13]
	v_lshlrev_b32_sdwa v23, v23, v17 dst_sel:DWORD dst_unused:UNUSED_PAD src0_sel:DWORD src1_sel:WORD_1
	v_bfrev_b32_e32 v25, 60
	v_lshlrev_b32_e32 v18, 20, v18
	v_and_b32_e32 v23, 0x80000000, v23
	v_lshl_add_u32 v14, v14, 23, v25
	v_or3_b32 v23, v23, v14, v18
.LBB506_584:
	s_or_b64 exec, exec, s[26:27]
.LBB506_585:
	s_or_b64 exec, exec, s[24:25]
.LBB506_586:
	s_or_b64 exec, exec, s[14:15]
	s_mov_b32 s12, -1
	s_mov_b32 s13, 0xffffff
	v_cmp_lt_u64_e64 s[12:13], s[12:13], v[16:17]
	v_mov_b32_e32 v18, 0
	v_mov_b32_e32 v16, 0
	s_and_saveexec_b64 s[14:15], s[12:13]
	s_cbranch_execz .LBB506_592
; %bb.587:
	v_lshrrev_b32_e32 v14, 24, v17
	s_movk_i32 s11, 0x80
	v_cmp_ne_u32_e64 s[12:13], s11, v14
	v_bfrev_b32_e32 v16, 1
	s_and_saveexec_b64 s[24:25], s[12:13]
	s_cbranch_execz .LBB506_591
; %bb.588:
	v_bfe_u32 v17, v17, 24, 7
	s_movk_i32 s11, 0x7f
	v_cmp_ne_u32_e64 s[12:13], s11, v17
	v_mov_b32_e32 v16, 0x7f800001
	s_and_saveexec_b64 s[26:27], s[12:13]
	s_cbranch_execz .LBB506_590
; %bb.589:
	v_and_b32_e32 v16, 7, v14
	v_ffbh_u32_e32 v26, v16
	v_min_u32_e32 v28, 32, v26
	v_subrev_u32_e32 v26, 28, v28
	v_lshlrev_b64 v[26:27], v26, v[14:15]
	v_lshrrev_b32_e32 v25, 3, v17
	v_sub_u32_e32 v27, 29, v28
	v_and_b32_e32 v26, 7, v26
	v_cmp_gt_u32_e64 s[12:13], 8, v17
	v_cndmask_b32_e64 v17, v25, v27, s[12:13]
	v_cndmask_b32_e64 v16, v16, v26, s[12:13]
	v_lshlrev_b32_e32 v14, 24, v14
	v_bfrev_b32_e32 v25, 60
	v_lshlrev_b32_e32 v16, 20, v16
	v_and_b32_e32 v14, 0x80000000, v14
	v_lshl_add_u32 v17, v17, 23, v25
	v_or3_b32 v16, v14, v17, v16
.LBB506_590:
	s_or_b64 exec, exec, s[26:27]
.LBB506_591:
	s_or_b64 exec, exec, s[24:25]
.LBB506_592:
	s_or_b64 exec, exec, s[14:15]
	v_cvt_pkrtz_f16_f32 v20, v20, v21
	v_cvt_pkrtz_f16_f32 v21, v19, v22
	;; [unrolled: 1-line block ×4, first 2 shown]
	v_mfma_f32_4x4x4f16 a[0:3], v[2:3], v[20:21], a[0:3] cbsz:4 abid:11
	v_cmp_ne_u16_sdwa s[12:13], v10, v18 src0_sel:BYTE_0 src1_sel:DWORD
	v_mfma_f32_4x4x4f16 a[0:3], v[4:5], v[14:15], a[0:3] cbsz:4 abid:11
	s_and_saveexec_b64 s[14:15], s[12:13]
	s_cbranch_execz .LBB506_598
; %bb.593:
	s_movk_i32 s11, 0x80
	v_cmp_ne_u16_sdwa s[12:13], v10, s11 src0_sel:BYTE_0 src1_sel:DWORD
	v_bfrev_b32_e32 v18, 1
	s_and_saveexec_b64 s[24:25], s[12:13]
	s_cbranch_execz .LBB506_597
; %bb.594:
	s_movk_i32 s11, 0x7f
	v_and_b32_e32 v14, 0x7f, v10
	v_cmp_ne_u32_e64 s[12:13], s11, v14
	v_mov_b32_e32 v18, 0x7f800001
	s_and_saveexec_b64 s[26:27], s[12:13]
	s_cbranch_execz .LBB506_596
; %bb.595:
	v_and_b32_e32 v15, 7, v10
	v_ffbh_u32_e32 v15, v15
	v_min_u32_e32 v15, 32, v15
	v_subrev_u32_e32 v17, 28, v15
	v_cmp_gt_u32_e64 s[12:13], 8, v14
	v_lshrrev_b32_e32 v16, 3, v14
	v_sub_u32_e32 v15, 29, v15
	v_cndmask_b32_e64 v14, 0, v17, s[12:13]
	v_cndmask_b32_e64 v16, v16, v15, s[12:13]
	v_lshlrev_b64 v[14:15], v14, v[10:11]
	v_lshlrev_b32_e32 v14, 20, v14
	v_lshlrev_b32_e32 v15, 24, v10
	v_bfrev_b32_e32 v17, 60
	v_and_b32_e32 v14, 0x700000, v14
	v_and_b32_e32 v15, 0x80000000, v15
	v_lshl_add_u32 v16, v16, 23, v17
	v_or3_b32 v18, v15, v16, v14
.LBB506_596:
	s_or_b64 exec, exec, s[26:27]
.LBB506_597:
	s_or_b64 exec, exec, s[24:25]
.LBB506_598:
	s_or_b64 exec, exec, s[14:15]
	v_lshrrev_b16_e32 v14, 8, v10
	v_cmp_ne_u16_e64 s[12:13], 0, v14
	v_mov_b32_e32 v17, 0
	v_mov_b32_e32 v19, 0
	s_and_saveexec_b64 s[14:15], s[12:13]
	s_cbranch_execz .LBB506_604
; %bb.599:
	s_movk_i32 s11, 0x80
	v_cmp_ne_u16_e64 s[12:13], s11, v14
	v_bfrev_b32_e32 v19, 1
	s_and_saveexec_b64 s[24:25], s[12:13]
	s_cbranch_execz .LBB506_603
; %bb.600:
	s_movk_i32 s11, 0x7f
	v_and_b32_e32 v15, 0x7f, v14
	v_cmp_ne_u32_e64 s[12:13], s11, v15
	v_mov_b32_e32 v19, 0x7f800001
	s_and_saveexec_b64 s[26:27], s[12:13]
	s_cbranch_execz .LBB506_602
; %bb.601:
	v_and_b32_e32 v16, 7, v14
	v_ffbh_u32_e32 v20, v16
	v_min_u32_e32 v22, 32, v20
	v_subrev_u32_e32 v20, 28, v22
	v_lshlrev_b64 v[20:21], v20, v[14:15]
	v_lshrrev_b32_e32 v19, 3, v15
	v_sub_u32_e32 v14, 29, v22
	v_and_b32_e32 v20, 7, v20
	v_cmp_gt_u32_e64 s[12:13], 8, v15
	v_cndmask_b32_e64 v14, v19, v14, s[12:13]
	v_cndmask_b32_e64 v15, v16, v20, s[12:13]
	v_lshlrev_b32_e32 v16, 16, v10
	v_bfrev_b32_e32 v19, 60
	v_lshlrev_b32_e32 v15, 20, v15
	v_and_b32_e32 v16, 0x80000000, v16
	v_lshl_add_u32 v14, v14, 23, v19
	v_or3_b32 v19, v16, v14, v15
.LBB506_602:
	s_or_b64 exec, exec, s[26:27]
.LBB506_603:
	s_or_b64 exec, exec, s[24:25]
.LBB506_604:
	s_or_b64 exec, exec, s[14:15]
	s_movk_i32 s11, 0xff
	v_and_b32_sdwa v15, v10, s11 dst_sel:DWORD dst_unused:UNUSED_PAD src0_sel:WORD_1 src1_sel:DWORD
	v_lshrrev_b32_e32 v14, 16, v10
	v_cmp_ne_u16_e64 s[12:13], 0, v15
	s_and_saveexec_b64 s[14:15], s[12:13]
	s_cbranch_execz .LBB506_610
; %bb.605:
	s_movk_i32 s11, 0x80
	v_cmp_ne_u16_e64 s[12:13], s11, v15
	v_bfrev_b32_e32 v17, 1
	s_and_saveexec_b64 s[24:25], s[12:13]
	s_cbranch_execz .LBB506_609
; %bb.606:
	v_bfe_u32 v15, v10, 16, 7
	s_movk_i32 s11, 0x7f
	v_cmp_ne_u32_e64 s[12:13], s11, v15
	v_mov_b32_e32 v17, 0x7f800001
	s_and_saveexec_b64 s[26:27], s[12:13]
	s_cbranch_execz .LBB506_608
; %bb.607:
	v_and_b32_e32 v20, 7, v14
	v_ffbh_u32_e32 v16, v20
	v_min_u32_e32 v22, 32, v16
	v_subrev_u32_e32 v16, 28, v22
	v_lshlrev_b64 v[16:17], v16, v[14:15]
	v_and_b32_e32 v16, 7, v16
	v_cmp_gt_u32_e64 s[12:13], 8, v15
	v_lshrrev_b32_e32 v21, 3, v15
	v_sub_u32_e32 v14, 29, v22
	v_cndmask_b32_e64 v15, v20, v16, s[12:13]
	v_mov_b32_e32 v16, 24
	v_cndmask_b32_e64 v14, v21, v14, s[12:13]
	v_lshlrev_b32_sdwa v16, v16, v10 dst_sel:DWORD dst_unused:UNUSED_PAD src0_sel:DWORD src1_sel:WORD_1
	v_bfrev_b32_e32 v17, 60
	v_lshlrev_b32_e32 v15, 20, v15
	v_and_b32_e32 v16, 0x80000000, v16
	v_lshl_add_u32 v14, v14, 23, v17
	v_or3_b32 v17, v16, v14, v15
.LBB506_608:
	s_or_b64 exec, exec, s[26:27]
.LBB506_609:
	s_or_b64 exec, exec, s[24:25]
.LBB506_610:
	s_or_b64 exec, exec, s[14:15]
	s_mov_b32 s11, 0xffffff
	v_cmp_lt_u32_e64 s[12:13], s11, v10
	v_mov_b32_e32 v15, 0
	v_mov_b32_e32 v20, 0
	s_and_saveexec_b64 s[14:15], s[12:13]
	s_cbranch_execz .LBB506_616
; %bb.611:
	v_lshrrev_b32_e32 v14, 24, v10
	s_movk_i32 s11, 0x80
	v_cmp_ne_u32_e64 s[12:13], s11, v14
	v_bfrev_b32_e32 v20, 1
	s_and_saveexec_b64 s[24:25], s[12:13]
	s_cbranch_execz .LBB506_615
; %bb.612:
	v_bfe_u32 v16, v10, 24, 7
	s_movk_i32 s11, 0x7f
	v_cmp_ne_u32_e64 s[12:13], s11, v16
	v_mov_b32_e32 v20, 0x7f800001
	s_and_saveexec_b64 s[26:27], s[12:13]
	s_cbranch_execz .LBB506_614
; %bb.613:
	v_and_b32_e32 v22, 7, v14
	v_ffbh_u32_e32 v20, v22
	v_min_u32_e32 v24, 32, v20
	v_subrev_u32_e32 v20, 28, v24
	v_lshlrev_b64 v[20:21], v20, v[14:15]
	v_lshrrev_b32_e32 v23, 3, v16
	v_sub_u32_e32 v21, 29, v24
	v_and_b32_e32 v20, 7, v20
	v_cmp_gt_u32_e64 s[12:13], 8, v16
	v_cndmask_b32_e64 v16, v23, v21, s[12:13]
	v_cndmask_b32_e64 v20, v22, v20, s[12:13]
	v_lshlrev_b32_e32 v14, 24, v14
	v_bfrev_b32_e32 v21, 60
	v_lshlrev_b32_e32 v20, 20, v20
	v_and_b32_e32 v14, 0x80000000, v14
	v_lshl_add_u32 v16, v16, 23, v21
	v_or3_b32 v20, v14, v16, v20
.LBB506_614:
	s_or_b64 exec, exec, s[26:27]
.LBB506_615:
	s_or_b64 exec, exec, s[24:25]
.LBB506_616:
	s_or_b64 exec, exec, s[14:15]
	v_mov_b32_e32 v14, v11
	v_cmp_ne_u16_sdwa s[12:13], v11, v15 src0_sel:BYTE_0 src1_sel:DWORD
	s_and_saveexec_b64 s[14:15], s[12:13]
	s_cbranch_execz .LBB506_622
; %bb.617:
	s_movk_i32 s11, 0x80
	v_cmp_ne_u16_sdwa s[12:13], v11, s11 src0_sel:BYTE_0 src1_sel:DWORD
	v_bfrev_b32_e32 v16, 1
	s_and_saveexec_b64 s[24:25], s[12:13]
	s_cbranch_execz .LBB506_621
; %bb.618:
	s_movk_i32 s11, 0x7f
	v_and_b32_e32 v21, 0x7f, v11
	v_cmp_ne_u32_e64 s[12:13], s11, v21
	v_mov_b32_e32 v16, 0x7f800001
	s_and_saveexec_b64 s[26:27], s[12:13]
	s_cbranch_execz .LBB506_620
; %bb.619:
	v_and_b32_e32 v16, 7, v11
	v_ffbh_u32_e32 v16, v16
	v_min_u32_e32 v16, 32, v16
	v_subrev_u32_e32 v23, 28, v16
	v_cmp_gt_u32_e64 s[12:13], 8, v21
	v_lshrrev_b32_e32 v22, 3, v21
	v_sub_u32_e32 v16, 29, v16
	v_cndmask_b32_e64 v21, 0, v23, s[12:13]
	v_cndmask_b32_e64 v16, v22, v16, s[12:13]
	v_lshlrev_b64 v[22:23], v21, v[14:15]
	v_lshlrev_b32_e32 v15, 20, v22
	v_lshlrev_b32_e32 v21, 24, v14
	v_bfrev_b32_e32 v22, 60
	v_and_b32_e32 v15, 0x700000, v15
	v_and_b32_e32 v21, 0x80000000, v21
	v_lshl_add_u32 v16, v16, 23, v22
	v_or3_b32 v16, v21, v16, v15
.LBB506_620:
	s_or_b64 exec, exec, s[26:27]
.LBB506_621:
	s_or_b64 exec, exec, s[24:25]
	v_mov_b32_e32 v15, v16
.LBB506_622:
	s_or_b64 exec, exec, s[14:15]
	v_lshrrev_b16_e32 v16, 8, v14
	v_cmp_ne_u16_e64 s[12:13], 0, v16
	v_mov_b32_e32 v21, 0
	v_mov_b32_e32 v22, 0
	s_and_saveexec_b64 s[14:15], s[12:13]
	s_cbranch_execz .LBB506_628
; %bb.623:
	s_movk_i32 s11, 0x80
	v_cmp_ne_u16_e64 s[12:13], s11, v16
	v_bfrev_b32_e32 v22, 1
	s_and_saveexec_b64 s[24:25], s[12:13]
	s_cbranch_execz .LBB506_627
; %bb.624:
	s_movk_i32 s11, 0x7f
	v_and_b32_e32 v23, 0x7f, v16
	v_cmp_ne_u32_e64 s[12:13], s11, v23
	v_mov_b32_e32 v22, 0x7f800001
	s_and_saveexec_b64 s[26:27], s[12:13]
	s_cbranch_execz .LBB506_626
; %bb.625:
	v_and_b32_e32 v22, 7, v16
	v_ffbh_u32_e32 v24, v22
	v_min_u32_e32 v27, 32, v24
	v_subrev_u32_e32 v24, 28, v27
	v_lshlrev_b64 v[24:25], v24, v[16:17]
	v_lshrrev_b32_e32 v26, 3, v23
	v_sub_u32_e32 v16, 29, v27
	v_and_b32_e32 v24, 7, v24
	v_cmp_gt_u32_e64 s[12:13], 8, v23
	v_cndmask_b32_e64 v16, v26, v16, s[12:13]
	v_cndmask_b32_e64 v22, v22, v24, s[12:13]
	v_lshlrev_b32_e32 v14, 16, v14
	v_bfrev_b32_e32 v23, 60
	v_lshlrev_b32_e32 v22, 20, v22
	v_and_b32_e32 v14, 0x80000000, v14
	v_lshl_add_u32 v16, v16, 23, v23
	v_or3_b32 v22, v14, v16, v22
.LBB506_626:
	s_or_b64 exec, exec, s[26:27]
.LBB506_627:
	s_or_b64 exec, exec, s[24:25]
.LBB506_628:
	s_or_b64 exec, exec, s[14:15]
	s_movk_i32 s11, 0xff
	v_and_b32_sdwa v16, v11, s11 dst_sel:DWORD dst_unused:UNUSED_PAD src0_sel:WORD_1 src1_sel:DWORD
	v_lshrrev_b32_e32 v14, 16, v11
	v_cmp_ne_u16_e64 s[12:13], 0, v16
	s_and_saveexec_b64 s[14:15], s[12:13]
	s_cbranch_execz .LBB506_634
; %bb.629:
	s_movk_i32 s11, 0x80
	v_cmp_ne_u16_e64 s[12:13], s11, v16
	v_bfrev_b32_e32 v21, 1
	s_and_saveexec_b64 s[24:25], s[12:13]
	s_cbranch_execz .LBB506_633
; %bb.630:
	v_bfe_u32 v16, v11, 16, 7
	s_movk_i32 s11, 0x7f
	v_cmp_ne_u32_e64 s[12:13], s11, v16
	v_mov_b32_e32 v21, 0x7f800001
	s_and_saveexec_b64 s[26:27], s[12:13]
	s_cbranch_execz .LBB506_632
; %bb.631:
	v_and_b32_e32 v21, 7, v14
	v_ffbh_u32_e32 v24, v21
	v_min_u32_e32 v26, 32, v24
	v_subrev_u32_e32 v24, 28, v26
	v_lshlrev_b64 v[24:25], v24, v[14:15]
	v_and_b32_e32 v24, 7, v24
	v_cmp_gt_u32_e64 s[12:13], 8, v16
	v_lshrrev_b32_e32 v23, 3, v16
	v_sub_u32_e32 v14, 29, v26
	v_cndmask_b32_e64 v16, v21, v24, s[12:13]
	v_mov_b32_e32 v21, 24
	v_cndmask_b32_e64 v14, v23, v14, s[12:13]
	v_lshlrev_b32_sdwa v21, v21, v11 dst_sel:DWORD dst_unused:UNUSED_PAD src0_sel:DWORD src1_sel:WORD_1
	v_bfrev_b32_e32 v23, 60
	v_lshlrev_b32_e32 v16, 20, v16
	v_and_b32_e32 v21, 0x80000000, v21
	v_lshl_add_u32 v14, v14, 23, v23
	v_or3_b32 v21, v21, v14, v16
.LBB506_632:
	s_or_b64 exec, exec, s[26:27]
.LBB506_633:
	s_or_b64 exec, exec, s[24:25]
.LBB506_634:
	s_or_b64 exec, exec, s[14:15]
	s_mov_b32 s12, -1
	s_mov_b32 s13, 0xffffff
	v_cmp_lt_u64_e64 s[12:13], s[12:13], v[10:11]
	v_mov_b32_e32 v16, 0
	v_mov_b32_e32 v14, 0
	s_and_saveexec_b64 s[14:15], s[12:13]
	s_cbranch_execz .LBB506_640
; %bb.635:
	v_lshrrev_b32_e32 v10, 24, v11
	s_movk_i32 s11, 0x80
	v_cmp_ne_u32_e64 s[12:13], s11, v10
	v_bfrev_b32_e32 v14, 1
	s_and_saveexec_b64 s[24:25], s[12:13]
	s_cbranch_execz .LBB506_639
; %bb.636:
	v_bfe_u32 v11, v11, 24, 7
	s_movk_i32 s11, 0x7f
	v_cmp_ne_u32_e64 s[12:13], s11, v11
	v_mov_b32_e32 v14, 0x7f800001
	s_and_saveexec_b64 s[26:27], s[12:13]
	s_cbranch_execz .LBB506_638
; %bb.637:
	v_and_b32_e32 v14, 7, v10
	v_ffbh_u32_e32 v24, v14
	v_min_u32_e32 v26, 32, v24
	v_subrev_u32_e32 v24, 28, v26
	v_lshlrev_b64 v[24:25], v24, v[10:11]
	v_lshrrev_b32_e32 v23, 3, v11
	v_sub_u32_e32 v25, 29, v26
	v_and_b32_e32 v24, 7, v24
	v_cmp_gt_u32_e64 s[12:13], 8, v11
	v_cndmask_b32_e64 v11, v23, v25, s[12:13]
	v_cndmask_b32_e64 v14, v14, v24, s[12:13]
	v_lshlrev_b32_e32 v10, 24, v10
	v_bfrev_b32_e32 v23, 60
	v_lshlrev_b32_e32 v14, 20, v14
	v_and_b32_e32 v10, 0x80000000, v10
	v_lshl_add_u32 v11, v11, 23, v23
	v_or3_b32 v14, v10, v11, v14
.LBB506_638:
	s_or_b64 exec, exec, s[26:27]
.LBB506_639:
	s_or_b64 exec, exec, s[24:25]
.LBB506_640:
	s_or_b64 exec, exec, s[14:15]
	v_cvt_pkrtz_f16_f32 v10, v18, v19
	v_cvt_pkrtz_f16_f32 v11, v17, v20
	;; [unrolled: 1-line block ×4, first 2 shown]
	v_mfma_f32_4x4x4f16 a[0:3], v[2:3], v[10:11], a[0:3] cbsz:4 abid:12
	v_cmp_ne_u16_sdwa s[12:13], v12, v16 src0_sel:BYTE_0 src1_sel:DWORD
	v_mfma_f32_4x4x4f16 a[0:3], v[4:5], v[18:19], a[0:3] cbsz:4 abid:12
	s_and_saveexec_b64 s[14:15], s[12:13]
	s_cbranch_execz .LBB506_646
; %bb.641:
	s_movk_i32 s11, 0x80
	v_cmp_ne_u16_sdwa s[12:13], v12, s11 src0_sel:BYTE_0 src1_sel:DWORD
	v_bfrev_b32_e32 v16, 1
	s_and_saveexec_b64 s[24:25], s[12:13]
	s_cbranch_execz .LBB506_645
; %bb.642:
	s_movk_i32 s11, 0x7f
	v_and_b32_e32 v10, 0x7f, v12
	v_cmp_ne_u32_e64 s[12:13], s11, v10
	v_mov_b32_e32 v16, 0x7f800001
	s_and_saveexec_b64 s[26:27], s[12:13]
	s_cbranch_execz .LBB506_644
; %bb.643:
	v_and_b32_e32 v11, 7, v12
	v_ffbh_u32_e32 v11, v11
	v_min_u32_e32 v11, 32, v11
	v_subrev_u32_e32 v15, 28, v11
	v_cmp_gt_u32_e64 s[12:13], 8, v10
	v_lshrrev_b32_e32 v14, 3, v10
	v_sub_u32_e32 v11, 29, v11
	v_cndmask_b32_e64 v10, 0, v15, s[12:13]
	v_cndmask_b32_e64 v14, v14, v11, s[12:13]
	v_lshlrev_b64 v[10:11], v10, v[12:13]
	v_lshlrev_b32_e32 v10, 20, v10
	v_lshlrev_b32_e32 v11, 24, v12
	v_bfrev_b32_e32 v15, 60
	v_and_b32_e32 v10, 0x700000, v10
	v_and_b32_e32 v11, 0x80000000, v11
	v_lshl_add_u32 v14, v14, 23, v15
	v_or3_b32 v16, v11, v14, v10
.LBB506_644:
	s_or_b64 exec, exec, s[26:27]
.LBB506_645:
	s_or_b64 exec, exec, s[24:25]
.LBB506_646:
	s_or_b64 exec, exec, s[14:15]
	v_lshrrev_b16_e32 v10, 8, v12
	v_cmp_ne_u16_e64 s[12:13], 0, v10
	v_mov_b32_e32 v15, 0
	v_mov_b32_e32 v17, 0
	s_and_saveexec_b64 s[14:15], s[12:13]
	s_cbranch_execz .LBB506_652
; %bb.647:
	s_movk_i32 s11, 0x80
	v_cmp_ne_u16_e64 s[12:13], s11, v10
	v_bfrev_b32_e32 v17, 1
	s_and_saveexec_b64 s[24:25], s[12:13]
	s_cbranch_execz .LBB506_651
; %bb.648:
	s_movk_i32 s11, 0x7f
	v_and_b32_e32 v11, 0x7f, v10
	v_cmp_ne_u32_e64 s[12:13], s11, v11
	v_mov_b32_e32 v17, 0x7f800001
	s_and_saveexec_b64 s[26:27], s[12:13]
	s_cbranch_execz .LBB506_650
; %bb.649:
	v_and_b32_e32 v14, 7, v10
	v_ffbh_u32_e32 v18, v14
	v_min_u32_e32 v20, 32, v18
	v_subrev_u32_e32 v18, 28, v20
	v_lshlrev_b64 v[18:19], v18, v[10:11]
	v_lshrrev_b32_e32 v17, 3, v11
	v_sub_u32_e32 v10, 29, v20
	v_and_b32_e32 v18, 7, v18
	v_cmp_gt_u32_e64 s[12:13], 8, v11
	v_cndmask_b32_e64 v10, v17, v10, s[12:13]
	v_cndmask_b32_e64 v11, v14, v18, s[12:13]
	v_lshlrev_b32_e32 v14, 16, v12
	v_bfrev_b32_e32 v17, 60
	v_lshlrev_b32_e32 v11, 20, v11
	v_and_b32_e32 v14, 0x80000000, v14
	v_lshl_add_u32 v10, v10, 23, v17
	v_or3_b32 v17, v14, v10, v11
.LBB506_650:
	s_or_b64 exec, exec, s[26:27]
.LBB506_651:
	s_or_b64 exec, exec, s[24:25]
.LBB506_652:
	s_or_b64 exec, exec, s[14:15]
	s_movk_i32 s11, 0xff
	v_and_b32_sdwa v11, v12, s11 dst_sel:DWORD dst_unused:UNUSED_PAD src0_sel:WORD_1 src1_sel:DWORD
	v_lshrrev_b32_e32 v10, 16, v12
	v_cmp_ne_u16_e64 s[12:13], 0, v11
	s_and_saveexec_b64 s[14:15], s[12:13]
	s_cbranch_execz .LBB506_658
; %bb.653:
	s_movk_i32 s11, 0x80
	v_cmp_ne_u16_e64 s[12:13], s11, v11
	v_bfrev_b32_e32 v15, 1
	s_and_saveexec_b64 s[24:25], s[12:13]
	s_cbranch_execz .LBB506_657
; %bb.654:
	v_bfe_u32 v11, v12, 16, 7
	s_movk_i32 s11, 0x7f
	v_cmp_ne_u32_e64 s[12:13], s11, v11
	v_mov_b32_e32 v15, 0x7f800001
	s_and_saveexec_b64 s[26:27], s[12:13]
	s_cbranch_execz .LBB506_656
; %bb.655:
	v_and_b32_e32 v18, 7, v10
	v_ffbh_u32_e32 v14, v18
	v_min_u32_e32 v20, 32, v14
	v_subrev_u32_e32 v14, 28, v20
	v_lshlrev_b64 v[14:15], v14, v[10:11]
	v_and_b32_e32 v14, 7, v14
	v_cmp_gt_u32_e64 s[12:13], 8, v11
	v_lshrrev_b32_e32 v19, 3, v11
	v_sub_u32_e32 v10, 29, v20
	v_cndmask_b32_e64 v11, v18, v14, s[12:13]
	v_mov_b32_e32 v14, 24
	v_cndmask_b32_e64 v10, v19, v10, s[12:13]
	v_lshlrev_b32_sdwa v14, v14, v12 dst_sel:DWORD dst_unused:UNUSED_PAD src0_sel:DWORD src1_sel:WORD_1
	v_bfrev_b32_e32 v15, 60
	v_lshlrev_b32_e32 v11, 20, v11
	v_and_b32_e32 v14, 0x80000000, v14
	v_lshl_add_u32 v10, v10, 23, v15
	v_or3_b32 v15, v14, v10, v11
.LBB506_656:
	s_or_b64 exec, exec, s[26:27]
.LBB506_657:
	s_or_b64 exec, exec, s[24:25]
.LBB506_658:
	s_or_b64 exec, exec, s[14:15]
	s_mov_b32 s11, 0xffffff
	v_cmp_lt_u32_e64 s[12:13], s11, v12
	v_mov_b32_e32 v11, 0
	v_mov_b32_e32 v18, 0
	s_and_saveexec_b64 s[14:15], s[12:13]
	s_cbranch_execz .LBB506_664
; %bb.659:
	v_lshrrev_b32_e32 v10, 24, v12
	s_movk_i32 s11, 0x80
	v_cmp_ne_u32_e64 s[12:13], s11, v10
	v_bfrev_b32_e32 v18, 1
	s_and_saveexec_b64 s[24:25], s[12:13]
	s_cbranch_execz .LBB506_663
; %bb.660:
	v_bfe_u32 v14, v12, 24, 7
	s_movk_i32 s11, 0x7f
	v_cmp_ne_u32_e64 s[12:13], s11, v14
	v_mov_b32_e32 v18, 0x7f800001
	s_and_saveexec_b64 s[26:27], s[12:13]
	s_cbranch_execz .LBB506_662
; %bb.661:
	v_and_b32_e32 v20, 7, v10
	v_ffbh_u32_e32 v18, v20
	v_min_u32_e32 v22, 32, v18
	v_subrev_u32_e32 v18, 28, v22
	v_lshlrev_b64 v[18:19], v18, v[10:11]
	v_lshrrev_b32_e32 v21, 3, v14
	v_sub_u32_e32 v19, 29, v22
	v_and_b32_e32 v18, 7, v18
	v_cmp_gt_u32_e64 s[12:13], 8, v14
	v_cndmask_b32_e64 v14, v21, v19, s[12:13]
	v_cndmask_b32_e64 v18, v20, v18, s[12:13]
	v_lshlrev_b32_e32 v10, 24, v10
	v_bfrev_b32_e32 v19, 60
	v_lshlrev_b32_e32 v18, 20, v18
	v_and_b32_e32 v10, 0x80000000, v10
	v_lshl_add_u32 v14, v14, 23, v19
	v_or3_b32 v18, v10, v14, v18
.LBB506_662:
	s_or_b64 exec, exec, s[26:27]
.LBB506_663:
	s_or_b64 exec, exec, s[24:25]
.LBB506_664:
	s_or_b64 exec, exec, s[14:15]
	v_mov_b32_e32 v10, v13
	v_cmp_ne_u16_sdwa s[12:13], v13, v11 src0_sel:BYTE_0 src1_sel:DWORD
	s_and_saveexec_b64 s[14:15], s[12:13]
	s_cbranch_execz .LBB506_670
; %bb.665:
	s_movk_i32 s11, 0x80
	v_cmp_ne_u16_sdwa s[12:13], v13, s11 src0_sel:BYTE_0 src1_sel:DWORD
	v_bfrev_b32_e32 v14, 1
	s_and_saveexec_b64 s[24:25], s[12:13]
	s_cbranch_execz .LBB506_669
; %bb.666:
	s_movk_i32 s11, 0x7f
	v_and_b32_e32 v19, 0x7f, v13
	v_cmp_ne_u32_e64 s[12:13], s11, v19
	v_mov_b32_e32 v14, 0x7f800001
	s_and_saveexec_b64 s[26:27], s[12:13]
	s_cbranch_execz .LBB506_668
; %bb.667:
	v_and_b32_e32 v14, 7, v13
	v_ffbh_u32_e32 v14, v14
	v_min_u32_e32 v14, 32, v14
	v_subrev_u32_e32 v21, 28, v14
	v_cmp_gt_u32_e64 s[12:13], 8, v19
	v_lshrrev_b32_e32 v20, 3, v19
	v_sub_u32_e32 v14, 29, v14
	v_cndmask_b32_e64 v19, 0, v21, s[12:13]
	v_cndmask_b32_e64 v14, v20, v14, s[12:13]
	v_lshlrev_b64 v[20:21], v19, v[10:11]
	v_lshlrev_b32_e32 v11, 20, v20
	v_lshlrev_b32_e32 v19, 24, v10
	v_bfrev_b32_e32 v20, 60
	v_and_b32_e32 v11, 0x700000, v11
	v_and_b32_e32 v19, 0x80000000, v19
	v_lshl_add_u32 v14, v14, 23, v20
	v_or3_b32 v14, v19, v14, v11
.LBB506_668:
	s_or_b64 exec, exec, s[26:27]
.LBB506_669:
	s_or_b64 exec, exec, s[24:25]
	v_mov_b32_e32 v11, v14
.LBB506_670:
	s_or_b64 exec, exec, s[14:15]
	v_lshrrev_b16_e32 v14, 8, v10
	v_cmp_ne_u16_e64 s[12:13], 0, v14
	v_mov_b32_e32 v19, 0
	v_mov_b32_e32 v20, 0
	s_and_saveexec_b64 s[14:15], s[12:13]
	s_cbranch_execz .LBB506_676
; %bb.671:
	s_movk_i32 s11, 0x80
	v_cmp_ne_u16_e64 s[12:13], s11, v14
	v_bfrev_b32_e32 v20, 1
	s_and_saveexec_b64 s[24:25], s[12:13]
	s_cbranch_execz .LBB506_675
; %bb.672:
	s_movk_i32 s11, 0x7f
	v_and_b32_e32 v21, 0x7f, v14
	v_cmp_ne_u32_e64 s[12:13], s11, v21
	v_mov_b32_e32 v20, 0x7f800001
	s_and_saveexec_b64 s[26:27], s[12:13]
	s_cbranch_execz .LBB506_674
; %bb.673:
	v_and_b32_e32 v20, 7, v14
	v_ffbh_u32_e32 v22, v20
	v_min_u32_e32 v25, 32, v22
	v_subrev_u32_e32 v22, 28, v25
	v_lshlrev_b64 v[22:23], v22, v[14:15]
	v_lshrrev_b32_e32 v24, 3, v21
	v_sub_u32_e32 v14, 29, v25
	v_and_b32_e32 v22, 7, v22
	v_cmp_gt_u32_e64 s[12:13], 8, v21
	v_cndmask_b32_e64 v14, v24, v14, s[12:13]
	v_cndmask_b32_e64 v20, v20, v22, s[12:13]
	v_lshlrev_b32_e32 v10, 16, v10
	v_bfrev_b32_e32 v21, 60
	v_lshlrev_b32_e32 v20, 20, v20
	v_and_b32_e32 v10, 0x80000000, v10
	v_lshl_add_u32 v14, v14, 23, v21
	v_or3_b32 v20, v10, v14, v20
.LBB506_674:
	s_or_b64 exec, exec, s[26:27]
.LBB506_675:
	s_or_b64 exec, exec, s[24:25]
.LBB506_676:
	s_or_b64 exec, exec, s[14:15]
	s_movk_i32 s11, 0xff
	v_and_b32_sdwa v14, v13, s11 dst_sel:DWORD dst_unused:UNUSED_PAD src0_sel:WORD_1 src1_sel:DWORD
	v_lshrrev_b32_e32 v10, 16, v13
	v_cmp_ne_u16_e64 s[12:13], 0, v14
	s_and_saveexec_b64 s[14:15], s[12:13]
	s_cbranch_execz .LBB506_682
; %bb.677:
	s_movk_i32 s11, 0x80
	v_cmp_ne_u16_e64 s[12:13], s11, v14
	v_bfrev_b32_e32 v19, 1
	s_and_saveexec_b64 s[24:25], s[12:13]
	s_cbranch_execz .LBB506_681
; %bb.678:
	v_bfe_u32 v14, v13, 16, 7
	s_movk_i32 s11, 0x7f
	v_cmp_ne_u32_e64 s[12:13], s11, v14
	v_mov_b32_e32 v19, 0x7f800001
	s_and_saveexec_b64 s[26:27], s[12:13]
	s_cbranch_execz .LBB506_680
; %bb.679:
	v_and_b32_e32 v19, 7, v10
	v_ffbh_u32_e32 v22, v19
	v_min_u32_e32 v24, 32, v22
	v_subrev_u32_e32 v22, 28, v24
	v_lshlrev_b64 v[22:23], v22, v[10:11]
	v_and_b32_e32 v22, 7, v22
	v_cmp_gt_u32_e64 s[12:13], 8, v14
	v_lshrrev_b32_e32 v21, 3, v14
	v_sub_u32_e32 v10, 29, v24
	v_cndmask_b32_e64 v14, v19, v22, s[12:13]
	v_mov_b32_e32 v19, 24
	v_cndmask_b32_e64 v10, v21, v10, s[12:13]
	v_lshlrev_b32_sdwa v19, v19, v13 dst_sel:DWORD dst_unused:UNUSED_PAD src0_sel:DWORD src1_sel:WORD_1
	v_bfrev_b32_e32 v21, 60
	v_lshlrev_b32_e32 v14, 20, v14
	v_and_b32_e32 v19, 0x80000000, v19
	v_lshl_add_u32 v10, v10, 23, v21
	v_or3_b32 v19, v19, v10, v14
.LBB506_680:
	s_or_b64 exec, exec, s[26:27]
.LBB506_681:
	s_or_b64 exec, exec, s[24:25]
.LBB506_682:
	s_or_b64 exec, exec, s[14:15]
	s_mov_b32 s12, -1
	s_mov_b32 s13, 0xffffff
	v_cmp_lt_u64_e64 s[12:13], s[12:13], v[12:13]
	v_mov_b32_e32 v14, 0
	v_mov_b32_e32 v12, 0
	s_and_saveexec_b64 s[14:15], s[12:13]
	s_cbranch_execz .LBB506_688
; %bb.683:
	v_lshrrev_b32_e32 v10, 24, v13
	s_movk_i32 s11, 0x80
	v_cmp_ne_u32_e64 s[12:13], s11, v10
	v_bfrev_b32_e32 v12, 1
	s_and_saveexec_b64 s[24:25], s[12:13]
	s_cbranch_execz .LBB506_687
; %bb.684:
	v_bfe_u32 v13, v13, 24, 7
	s_movk_i32 s11, 0x7f
	v_cmp_ne_u32_e64 s[12:13], s11, v13
	v_mov_b32_e32 v12, 0x7f800001
	s_and_saveexec_b64 s[26:27], s[12:13]
	s_cbranch_execz .LBB506_686
; %bb.685:
	v_and_b32_e32 v12, 7, v10
	v_ffbh_u32_e32 v22, v12
	v_min_u32_e32 v24, 32, v22
	v_subrev_u32_e32 v22, 28, v24
	v_lshlrev_b64 v[22:23], v22, v[10:11]
	v_lshrrev_b32_e32 v21, 3, v13
	v_sub_u32_e32 v23, 29, v24
	v_and_b32_e32 v22, 7, v22
	v_cmp_gt_u32_e64 s[12:13], 8, v13
	v_cndmask_b32_e64 v13, v21, v23, s[12:13]
	v_cndmask_b32_e64 v12, v12, v22, s[12:13]
	v_lshlrev_b32_e32 v10, 24, v10
	v_bfrev_b32_e32 v21, 60
	v_lshlrev_b32_e32 v12, 20, v12
	v_and_b32_e32 v10, 0x80000000, v10
	v_lshl_add_u32 v13, v13, 23, v21
	v_or3_b32 v12, v10, v13, v12
.LBB506_686:
	s_or_b64 exec, exec, s[26:27]
.LBB506_687:
	s_or_b64 exec, exec, s[24:25]
.LBB506_688:
	s_or_b64 exec, exec, s[14:15]
	v_cvt_pkrtz_f16_f32 v16, v16, v17
	v_cvt_pkrtz_f16_f32 v17, v15, v18
	;; [unrolled: 1-line block ×4, first 2 shown]
	v_mfma_f32_4x4x4f16 a[0:3], v[2:3], v[16:17], a[0:3] cbsz:4 abid:13
	v_cmp_ne_u16_sdwa s[12:13], v6, v14 src0_sel:BYTE_0 src1_sel:DWORD
	v_mfma_f32_4x4x4f16 a[0:3], v[4:5], v[10:11], a[0:3] cbsz:4 abid:13
	s_and_saveexec_b64 s[14:15], s[12:13]
	s_cbranch_execz .LBB506_694
; %bb.689:
	s_movk_i32 s11, 0x80
	v_cmp_ne_u16_sdwa s[12:13], v6, s11 src0_sel:BYTE_0 src1_sel:DWORD
	v_bfrev_b32_e32 v14, 1
	s_and_saveexec_b64 s[24:25], s[12:13]
	s_cbranch_execz .LBB506_693
; %bb.690:
	s_movk_i32 s11, 0x7f
	v_and_b32_e32 v10, 0x7f, v6
	v_cmp_ne_u32_e64 s[12:13], s11, v10
	v_mov_b32_e32 v14, 0x7f800001
	s_and_saveexec_b64 s[26:27], s[12:13]
	s_cbranch_execz .LBB506_692
; %bb.691:
	v_and_b32_e32 v11, 7, v6
	v_ffbh_u32_e32 v11, v11
	v_min_u32_e32 v11, 32, v11
	v_subrev_u32_e32 v13, 28, v11
	v_cmp_gt_u32_e64 s[12:13], 8, v10
	v_lshrrev_b32_e32 v12, 3, v10
	v_sub_u32_e32 v11, 29, v11
	v_cndmask_b32_e64 v10, 0, v13, s[12:13]
	v_cndmask_b32_e64 v12, v12, v11, s[12:13]
	v_lshlrev_b64 v[10:11], v10, v[6:7]
	v_lshlrev_b32_e32 v10, 20, v10
	v_lshlrev_b32_e32 v11, 24, v6
	v_bfrev_b32_e32 v13, 60
	v_and_b32_e32 v10, 0x700000, v10
	v_and_b32_e32 v11, 0x80000000, v11
	v_lshl_add_u32 v12, v12, 23, v13
	v_or3_b32 v14, v11, v12, v10
.LBB506_692:
	s_or_b64 exec, exec, s[26:27]
.LBB506_693:
	s_or_b64 exec, exec, s[24:25]
.LBB506_694:
	s_or_b64 exec, exec, s[14:15]
	v_lshrrev_b16_e32 v10, 8, v6
	v_cmp_ne_u16_e64 s[12:13], 0, v10
	v_mov_b32_e32 v13, 0
	v_mov_b32_e32 v15, 0
	s_and_saveexec_b64 s[14:15], s[12:13]
	s_cbranch_execz .LBB506_700
; %bb.695:
	s_movk_i32 s11, 0x80
	v_cmp_ne_u16_e64 s[12:13], s11, v10
	v_bfrev_b32_e32 v15, 1
	s_and_saveexec_b64 s[24:25], s[12:13]
	s_cbranch_execz .LBB506_699
; %bb.696:
	s_movk_i32 s11, 0x7f
	v_and_b32_e32 v11, 0x7f, v10
	v_cmp_ne_u32_e64 s[12:13], s11, v11
	v_mov_b32_e32 v15, 0x7f800001
	s_and_saveexec_b64 s[26:27], s[12:13]
	s_cbranch_execz .LBB506_698
; %bb.697:
	v_and_b32_e32 v12, 7, v10
	v_ffbh_u32_e32 v16, v12
	v_min_u32_e32 v18, 32, v16
	v_subrev_u32_e32 v16, 28, v18
	v_lshlrev_b64 v[16:17], v16, v[10:11]
	v_lshrrev_b32_e32 v15, 3, v11
	v_sub_u32_e32 v10, 29, v18
	v_and_b32_e32 v16, 7, v16
	v_cmp_gt_u32_e64 s[12:13], 8, v11
	v_cndmask_b32_e64 v10, v15, v10, s[12:13]
	v_cndmask_b32_e64 v11, v12, v16, s[12:13]
	v_lshlrev_b32_e32 v12, 16, v6
	v_bfrev_b32_e32 v15, 60
	v_lshlrev_b32_e32 v11, 20, v11
	v_and_b32_e32 v12, 0x80000000, v12
	v_lshl_add_u32 v10, v10, 23, v15
	v_or3_b32 v15, v12, v10, v11
.LBB506_698:
	s_or_b64 exec, exec, s[26:27]
.LBB506_699:
	s_or_b64 exec, exec, s[24:25]
.LBB506_700:
	s_or_b64 exec, exec, s[14:15]
	s_movk_i32 s11, 0xff
	v_and_b32_sdwa v11, v6, s11 dst_sel:DWORD dst_unused:UNUSED_PAD src0_sel:WORD_1 src1_sel:DWORD
	v_lshrrev_b32_e32 v10, 16, v6
	v_cmp_ne_u16_e64 s[12:13], 0, v11
	s_and_saveexec_b64 s[14:15], s[12:13]
	s_cbranch_execz .LBB506_706
; %bb.701:
	s_movk_i32 s11, 0x80
	v_cmp_ne_u16_e64 s[12:13], s11, v11
	v_bfrev_b32_e32 v13, 1
	s_and_saveexec_b64 s[24:25], s[12:13]
	s_cbranch_execz .LBB506_705
; %bb.702:
	v_bfe_u32 v11, v6, 16, 7
	s_movk_i32 s11, 0x7f
	v_cmp_ne_u32_e64 s[12:13], s11, v11
	v_mov_b32_e32 v13, 0x7f800001
	s_and_saveexec_b64 s[26:27], s[12:13]
	s_cbranch_execz .LBB506_704
; %bb.703:
	v_and_b32_e32 v16, 7, v10
	v_ffbh_u32_e32 v12, v16
	v_min_u32_e32 v18, 32, v12
	v_subrev_u32_e32 v12, 28, v18
	v_lshlrev_b64 v[12:13], v12, v[10:11]
	v_and_b32_e32 v12, 7, v12
	v_cmp_gt_u32_e64 s[12:13], 8, v11
	v_lshrrev_b32_e32 v17, 3, v11
	v_sub_u32_e32 v10, 29, v18
	v_cndmask_b32_e64 v11, v16, v12, s[12:13]
	v_mov_b32_e32 v12, 24
	v_cndmask_b32_e64 v10, v17, v10, s[12:13]
	v_lshlrev_b32_sdwa v12, v12, v6 dst_sel:DWORD dst_unused:UNUSED_PAD src0_sel:DWORD src1_sel:WORD_1
	v_bfrev_b32_e32 v13, 60
	v_lshlrev_b32_e32 v11, 20, v11
	v_and_b32_e32 v12, 0x80000000, v12
	v_lshl_add_u32 v10, v10, 23, v13
	v_or3_b32 v13, v12, v10, v11
.LBB506_704:
	s_or_b64 exec, exec, s[26:27]
.LBB506_705:
	s_or_b64 exec, exec, s[24:25]
.LBB506_706:
	s_or_b64 exec, exec, s[14:15]
	s_mov_b32 s11, 0xffffff
	v_cmp_lt_u32_e64 s[12:13], s11, v6
	v_mov_b32_e32 v11, 0
	v_mov_b32_e32 v16, 0
	s_and_saveexec_b64 s[14:15], s[12:13]
	s_cbranch_execz .LBB506_712
; %bb.707:
	v_lshrrev_b32_e32 v10, 24, v6
	s_movk_i32 s11, 0x80
	v_cmp_ne_u32_e64 s[12:13], s11, v10
	v_bfrev_b32_e32 v16, 1
	s_and_saveexec_b64 s[24:25], s[12:13]
	s_cbranch_execz .LBB506_711
; %bb.708:
	v_bfe_u32 v12, v6, 24, 7
	s_movk_i32 s11, 0x7f
	v_cmp_ne_u32_e64 s[12:13], s11, v12
	v_mov_b32_e32 v16, 0x7f800001
	s_and_saveexec_b64 s[26:27], s[12:13]
	s_cbranch_execz .LBB506_710
; %bb.709:
	v_and_b32_e32 v18, 7, v10
	v_ffbh_u32_e32 v16, v18
	v_min_u32_e32 v20, 32, v16
	v_subrev_u32_e32 v16, 28, v20
	v_lshlrev_b64 v[16:17], v16, v[10:11]
	v_lshrrev_b32_e32 v19, 3, v12
	v_sub_u32_e32 v17, 29, v20
	v_and_b32_e32 v16, 7, v16
	v_cmp_gt_u32_e64 s[12:13], 8, v12
	v_cndmask_b32_e64 v12, v19, v17, s[12:13]
	v_cndmask_b32_e64 v16, v18, v16, s[12:13]
	v_lshlrev_b32_e32 v10, 24, v10
	v_bfrev_b32_e32 v17, 60
	v_lshlrev_b32_e32 v16, 20, v16
	v_and_b32_e32 v10, 0x80000000, v10
	v_lshl_add_u32 v12, v12, 23, v17
	v_or3_b32 v16, v10, v12, v16
.LBB506_710:
	s_or_b64 exec, exec, s[26:27]
.LBB506_711:
	s_or_b64 exec, exec, s[24:25]
.LBB506_712:
	s_or_b64 exec, exec, s[14:15]
	v_mov_b32_e32 v10, v7
	v_cmp_ne_u16_sdwa s[12:13], v7, v11 src0_sel:BYTE_0 src1_sel:DWORD
	s_and_saveexec_b64 s[14:15], s[12:13]
	s_cbranch_execz .LBB506_718
; %bb.713:
	s_movk_i32 s11, 0x80
	v_cmp_ne_u16_sdwa s[12:13], v7, s11 src0_sel:BYTE_0 src1_sel:DWORD
	v_bfrev_b32_e32 v12, 1
	s_and_saveexec_b64 s[24:25], s[12:13]
	s_cbranch_execz .LBB506_717
; %bb.714:
	s_movk_i32 s11, 0x7f
	v_and_b32_e32 v17, 0x7f, v7
	v_cmp_ne_u32_e64 s[12:13], s11, v17
	v_mov_b32_e32 v12, 0x7f800001
	s_and_saveexec_b64 s[26:27], s[12:13]
	s_cbranch_execz .LBB506_716
; %bb.715:
	v_and_b32_e32 v12, 7, v7
	v_ffbh_u32_e32 v12, v12
	v_min_u32_e32 v12, 32, v12
	v_subrev_u32_e32 v19, 28, v12
	v_cmp_gt_u32_e64 s[12:13], 8, v17
	v_lshrrev_b32_e32 v18, 3, v17
	v_sub_u32_e32 v12, 29, v12
	v_cndmask_b32_e64 v17, 0, v19, s[12:13]
	v_cndmask_b32_e64 v12, v18, v12, s[12:13]
	v_lshlrev_b64 v[18:19], v17, v[10:11]
	v_lshlrev_b32_e32 v11, 20, v18
	v_lshlrev_b32_e32 v17, 24, v10
	v_bfrev_b32_e32 v18, 60
	v_and_b32_e32 v11, 0x700000, v11
	v_and_b32_e32 v17, 0x80000000, v17
	v_lshl_add_u32 v12, v12, 23, v18
	v_or3_b32 v12, v17, v12, v11
.LBB506_716:
	s_or_b64 exec, exec, s[26:27]
.LBB506_717:
	s_or_b64 exec, exec, s[24:25]
	v_mov_b32_e32 v11, v12
.LBB506_718:
	s_or_b64 exec, exec, s[14:15]
	v_lshrrev_b16_e32 v12, 8, v10
	v_cmp_ne_u16_e64 s[12:13], 0, v12
	v_mov_b32_e32 v17, 0
	v_mov_b32_e32 v18, 0
	s_and_saveexec_b64 s[14:15], s[12:13]
	s_cbranch_execz .LBB506_724
; %bb.719:
	s_movk_i32 s11, 0x80
	v_cmp_ne_u16_e64 s[12:13], s11, v12
	v_bfrev_b32_e32 v18, 1
	s_and_saveexec_b64 s[24:25], s[12:13]
	s_cbranch_execz .LBB506_723
; %bb.720:
	s_movk_i32 s11, 0x7f
	v_and_b32_e32 v19, 0x7f, v12
	v_cmp_ne_u32_e64 s[12:13], s11, v19
	v_mov_b32_e32 v18, 0x7f800001
	s_and_saveexec_b64 s[26:27], s[12:13]
	s_cbranch_execz .LBB506_722
; %bb.721:
	v_and_b32_e32 v18, 7, v12
	v_ffbh_u32_e32 v20, v18
	v_min_u32_e32 v23, 32, v20
	v_subrev_u32_e32 v20, 28, v23
	v_lshlrev_b64 v[20:21], v20, v[12:13]
	v_lshrrev_b32_e32 v22, 3, v19
	v_sub_u32_e32 v12, 29, v23
	v_and_b32_e32 v20, 7, v20
	v_cmp_gt_u32_e64 s[12:13], 8, v19
	v_cndmask_b32_e64 v12, v22, v12, s[12:13]
	v_cndmask_b32_e64 v18, v18, v20, s[12:13]
	v_lshlrev_b32_e32 v10, 16, v10
	v_bfrev_b32_e32 v19, 60
	v_lshlrev_b32_e32 v18, 20, v18
	v_and_b32_e32 v10, 0x80000000, v10
	v_lshl_add_u32 v12, v12, 23, v19
	v_or3_b32 v18, v10, v12, v18
.LBB506_722:
	s_or_b64 exec, exec, s[26:27]
.LBB506_723:
	s_or_b64 exec, exec, s[24:25]
.LBB506_724:
	s_or_b64 exec, exec, s[14:15]
	s_movk_i32 s11, 0xff
	v_and_b32_sdwa v12, v7, s11 dst_sel:DWORD dst_unused:UNUSED_PAD src0_sel:WORD_1 src1_sel:DWORD
	v_lshrrev_b32_e32 v10, 16, v7
	v_cmp_ne_u16_e64 s[12:13], 0, v12
	s_and_saveexec_b64 s[14:15], s[12:13]
	s_cbranch_execz .LBB506_730
; %bb.725:
	s_movk_i32 s11, 0x80
	v_cmp_ne_u16_e64 s[12:13], s11, v12
	v_bfrev_b32_e32 v17, 1
	s_and_saveexec_b64 s[24:25], s[12:13]
	s_cbranch_execz .LBB506_729
; %bb.726:
	v_bfe_u32 v12, v7, 16, 7
	s_movk_i32 s11, 0x7f
	v_cmp_ne_u32_e64 s[12:13], s11, v12
	v_mov_b32_e32 v17, 0x7f800001
	s_and_saveexec_b64 s[26:27], s[12:13]
	s_cbranch_execz .LBB506_728
; %bb.727:
	v_and_b32_e32 v17, 7, v10
	v_ffbh_u32_e32 v20, v17
	v_min_u32_e32 v22, 32, v20
	v_subrev_u32_e32 v20, 28, v22
	v_lshlrev_b64 v[20:21], v20, v[10:11]
	v_and_b32_e32 v20, 7, v20
	v_cmp_gt_u32_e64 s[12:13], 8, v12
	v_lshrrev_b32_e32 v19, 3, v12
	v_sub_u32_e32 v10, 29, v22
	v_cndmask_b32_e64 v12, v17, v20, s[12:13]
	v_mov_b32_e32 v17, 24
	v_cndmask_b32_e64 v10, v19, v10, s[12:13]
	v_lshlrev_b32_sdwa v17, v17, v7 dst_sel:DWORD dst_unused:UNUSED_PAD src0_sel:DWORD src1_sel:WORD_1
	v_bfrev_b32_e32 v19, 60
	v_lshlrev_b32_e32 v12, 20, v12
	v_and_b32_e32 v17, 0x80000000, v17
	v_lshl_add_u32 v10, v10, 23, v19
	v_or3_b32 v17, v17, v10, v12
.LBB506_728:
	s_or_b64 exec, exec, s[26:27]
.LBB506_729:
	s_or_b64 exec, exec, s[24:25]
.LBB506_730:
	s_or_b64 exec, exec, s[14:15]
	s_mov_b32 s12, -1
	s_mov_b32 s13, 0xffffff
	v_cmp_lt_u64_e64 s[12:13], s[12:13], v[6:7]
	v_mov_b32_e32 v12, 0
	v_mov_b32_e32 v10, 0
	s_and_saveexec_b64 s[14:15], s[12:13]
	s_cbranch_execz .LBB506_736
; %bb.731:
	v_lshrrev_b32_e32 v6, 24, v7
	s_movk_i32 s11, 0x80
	v_cmp_ne_u32_e64 s[12:13], s11, v6
	v_bfrev_b32_e32 v10, 1
	s_and_saveexec_b64 s[24:25], s[12:13]
	s_cbranch_execz .LBB506_735
; %bb.732:
	v_bfe_u32 v7, v7, 24, 7
	s_movk_i32 s11, 0x7f
	v_cmp_ne_u32_e64 s[12:13], s11, v7
	v_mov_b32_e32 v10, 0x7f800001
	s_and_saveexec_b64 s[26:27], s[12:13]
	s_cbranch_execz .LBB506_734
; %bb.733:
	v_and_b32_e32 v10, 7, v6
	v_ffbh_u32_e32 v20, v10
	v_min_u32_e32 v22, 32, v20
	v_subrev_u32_e32 v20, 28, v22
	v_lshlrev_b64 v[20:21], v20, v[6:7]
	v_lshrrev_b32_e32 v19, 3, v7
	v_sub_u32_e32 v21, 29, v22
	v_and_b32_e32 v20, 7, v20
	v_cmp_gt_u32_e64 s[12:13], 8, v7
	v_cndmask_b32_e64 v7, v19, v21, s[12:13]
	v_cndmask_b32_e64 v10, v10, v20, s[12:13]
	v_lshlrev_b32_e32 v6, 24, v6
	v_bfrev_b32_e32 v19, 60
	v_lshlrev_b32_e32 v10, 20, v10
	v_and_b32_e32 v6, 0x80000000, v6
	v_lshl_add_u32 v7, v7, 23, v19
	v_or3_b32 v10, v6, v7, v10
.LBB506_734:
	s_or_b64 exec, exec, s[26:27]
.LBB506_735:
	s_or_b64 exec, exec, s[24:25]
.LBB506_736:
	s_or_b64 exec, exec, s[14:15]
	v_cvt_pkrtz_f16_f32 v6, v14, v15
	v_cvt_pkrtz_f16_f32 v7, v13, v16
	;; [unrolled: 1-line block ×4, first 2 shown]
	v_mfma_f32_4x4x4f16 a[0:3], v[2:3], v[6:7], a[0:3] cbsz:4 abid:14
	v_cmp_ne_u16_sdwa s[12:13], v8, v12 src0_sel:BYTE_0 src1_sel:DWORD
	v_mfma_f32_4x4x4f16 a[0:3], v[4:5], v[14:15], a[0:3] cbsz:4 abid:14
	s_and_saveexec_b64 s[14:15], s[12:13]
	s_cbranch_execz .LBB506_742
; %bb.737:
	s_movk_i32 s11, 0x80
	v_cmp_ne_u16_sdwa s[12:13], v8, s11 src0_sel:BYTE_0 src1_sel:DWORD
	v_bfrev_b32_e32 v12, 1
	s_and_saveexec_b64 s[24:25], s[12:13]
	s_cbranch_execz .LBB506_741
; %bb.738:
	s_movk_i32 s11, 0x7f
	v_and_b32_e32 v6, 0x7f, v8
	v_cmp_ne_u32_e64 s[12:13], s11, v6
	v_mov_b32_e32 v12, 0x7f800001
	s_and_saveexec_b64 s[26:27], s[12:13]
	s_cbranch_execz .LBB506_740
; %bb.739:
	v_and_b32_e32 v7, 7, v8
	v_ffbh_u32_e32 v7, v7
	v_min_u32_e32 v7, 32, v7
	v_subrev_u32_e32 v11, 28, v7
	v_cmp_gt_u32_e64 s[12:13], 8, v6
	v_lshrrev_b32_e32 v10, 3, v6
	v_sub_u32_e32 v7, 29, v7
	v_cndmask_b32_e64 v6, 0, v11, s[12:13]
	v_cndmask_b32_e64 v10, v10, v7, s[12:13]
	v_lshlrev_b64 v[6:7], v6, v[8:9]
	v_lshlrev_b32_e32 v6, 20, v6
	v_lshlrev_b32_e32 v7, 24, v8
	v_bfrev_b32_e32 v11, 60
	v_and_b32_e32 v6, 0x700000, v6
	v_and_b32_e32 v7, 0x80000000, v7
	v_lshl_add_u32 v10, v10, 23, v11
	v_or3_b32 v12, v7, v10, v6
.LBB506_740:
	s_or_b64 exec, exec, s[26:27]
.LBB506_741:
	s_or_b64 exec, exec, s[24:25]
.LBB506_742:
	s_or_b64 exec, exec, s[14:15]
	v_lshrrev_b16_e32 v6, 8, v8
	v_cmp_ne_u16_e64 s[12:13], 0, v6
	v_mov_b32_e32 v11, 0
	v_mov_b32_e32 v13, 0
	s_and_saveexec_b64 s[14:15], s[12:13]
	s_cbranch_execz .LBB506_748
; %bb.743:
	s_movk_i32 s11, 0x80
	v_cmp_ne_u16_e64 s[12:13], s11, v6
	v_bfrev_b32_e32 v13, 1
	s_and_saveexec_b64 s[24:25], s[12:13]
	s_cbranch_execz .LBB506_747
; %bb.744:
	s_movk_i32 s11, 0x7f
	v_and_b32_e32 v7, 0x7f, v6
	v_cmp_ne_u32_e64 s[12:13], s11, v7
	v_mov_b32_e32 v13, 0x7f800001
	s_and_saveexec_b64 s[26:27], s[12:13]
	s_cbranch_execz .LBB506_746
; %bb.745:
	v_and_b32_e32 v10, 7, v6
	v_ffbh_u32_e32 v14, v10
	v_min_u32_e32 v16, 32, v14
	v_subrev_u32_e32 v14, 28, v16
	v_lshlrev_b64 v[14:15], v14, v[6:7]
	v_lshrrev_b32_e32 v13, 3, v7
	v_sub_u32_e32 v6, 29, v16
	v_and_b32_e32 v14, 7, v14
	v_cmp_gt_u32_e64 s[12:13], 8, v7
	v_cndmask_b32_e64 v6, v13, v6, s[12:13]
	v_cndmask_b32_e64 v7, v10, v14, s[12:13]
	v_lshlrev_b32_e32 v10, 16, v8
	v_bfrev_b32_e32 v13, 60
	v_lshlrev_b32_e32 v7, 20, v7
	v_and_b32_e32 v10, 0x80000000, v10
	v_lshl_add_u32 v6, v6, 23, v13
	v_or3_b32 v13, v10, v6, v7
.LBB506_746:
	s_or_b64 exec, exec, s[26:27]
.LBB506_747:
	s_or_b64 exec, exec, s[24:25]
.LBB506_748:
	s_or_b64 exec, exec, s[14:15]
	s_movk_i32 s11, 0xff
	v_and_b32_sdwa v7, v8, s11 dst_sel:DWORD dst_unused:UNUSED_PAD src0_sel:WORD_1 src1_sel:DWORD
	v_lshrrev_b32_e32 v6, 16, v8
	v_cmp_ne_u16_e64 s[12:13], 0, v7
	s_and_saveexec_b64 s[14:15], s[12:13]
	s_cbranch_execz .LBB506_754
; %bb.749:
	s_movk_i32 s11, 0x80
	v_cmp_ne_u16_e64 s[12:13], s11, v7
	v_bfrev_b32_e32 v11, 1
	s_and_saveexec_b64 s[24:25], s[12:13]
	s_cbranch_execz .LBB506_753
; %bb.750:
	v_bfe_u32 v7, v8, 16, 7
	s_movk_i32 s11, 0x7f
	v_cmp_ne_u32_e64 s[12:13], s11, v7
	v_mov_b32_e32 v11, 0x7f800001
	s_and_saveexec_b64 s[26:27], s[12:13]
	s_cbranch_execz .LBB506_752
; %bb.751:
	v_and_b32_e32 v14, 7, v6
	v_ffbh_u32_e32 v10, v14
	v_min_u32_e32 v16, 32, v10
	v_subrev_u32_e32 v10, 28, v16
	v_lshlrev_b64 v[10:11], v10, v[6:7]
	v_and_b32_e32 v10, 7, v10
	v_cmp_gt_u32_e64 s[12:13], 8, v7
	v_lshrrev_b32_e32 v15, 3, v7
	v_sub_u32_e32 v6, 29, v16
	v_cndmask_b32_e64 v7, v14, v10, s[12:13]
	v_mov_b32_e32 v10, 24
	v_cndmask_b32_e64 v6, v15, v6, s[12:13]
	v_lshlrev_b32_sdwa v10, v10, v8 dst_sel:DWORD dst_unused:UNUSED_PAD src0_sel:DWORD src1_sel:WORD_1
	v_bfrev_b32_e32 v11, 60
	v_lshlrev_b32_e32 v7, 20, v7
	v_and_b32_e32 v10, 0x80000000, v10
	v_lshl_add_u32 v6, v6, 23, v11
	v_or3_b32 v11, v10, v6, v7
.LBB506_752:
	s_or_b64 exec, exec, s[26:27]
.LBB506_753:
	s_or_b64 exec, exec, s[24:25]
.LBB506_754:
	s_or_b64 exec, exec, s[14:15]
	s_mov_b32 s11, 0xffffff
	v_cmp_lt_u32_e64 s[12:13], s11, v8
	v_mov_b32_e32 v7, 0
	v_mov_b32_e32 v14, 0
	s_and_saveexec_b64 s[14:15], s[12:13]
	s_cbranch_execz .LBB506_760
; %bb.755:
	v_lshrrev_b32_e32 v6, 24, v8
	s_movk_i32 s11, 0x80
	v_cmp_ne_u32_e64 s[12:13], s11, v6
	v_bfrev_b32_e32 v14, 1
	s_and_saveexec_b64 s[24:25], s[12:13]
	s_cbranch_execz .LBB506_759
; %bb.756:
	v_bfe_u32 v10, v8, 24, 7
	s_movk_i32 s11, 0x7f
	v_cmp_ne_u32_e64 s[12:13], s11, v10
	v_mov_b32_e32 v14, 0x7f800001
	s_and_saveexec_b64 s[26:27], s[12:13]
	s_cbranch_execz .LBB506_758
; %bb.757:
	v_and_b32_e32 v16, 7, v6
	v_ffbh_u32_e32 v14, v16
	v_min_u32_e32 v18, 32, v14
	v_subrev_u32_e32 v14, 28, v18
	v_lshlrev_b64 v[14:15], v14, v[6:7]
	v_lshrrev_b32_e32 v17, 3, v10
	v_sub_u32_e32 v15, 29, v18
	v_and_b32_e32 v14, 7, v14
	v_cmp_gt_u32_e64 s[12:13], 8, v10
	v_cndmask_b32_e64 v10, v17, v15, s[12:13]
	v_cndmask_b32_e64 v14, v16, v14, s[12:13]
	v_lshlrev_b32_e32 v6, 24, v6
	v_bfrev_b32_e32 v15, 60
	v_lshlrev_b32_e32 v14, 20, v14
	v_and_b32_e32 v6, 0x80000000, v6
	v_lshl_add_u32 v10, v10, 23, v15
	v_or3_b32 v14, v6, v10, v14
.LBB506_758:
	s_or_b64 exec, exec, s[26:27]
.LBB506_759:
	s_or_b64 exec, exec, s[24:25]
.LBB506_760:
	s_or_b64 exec, exec, s[14:15]
	v_mov_b32_e32 v6, v9
	v_cmp_ne_u16_sdwa s[12:13], v9, v7 src0_sel:BYTE_0 src1_sel:DWORD
	s_and_saveexec_b64 s[14:15], s[12:13]
	s_cbranch_execz .LBB506_766
; %bb.761:
	s_movk_i32 s11, 0x80
	v_cmp_ne_u16_sdwa s[12:13], v9, s11 src0_sel:BYTE_0 src1_sel:DWORD
	v_bfrev_b32_e32 v10, 1
	s_and_saveexec_b64 s[24:25], s[12:13]
	s_cbranch_execz .LBB506_765
; %bb.762:
	s_movk_i32 s11, 0x7f
	v_and_b32_e32 v15, 0x7f, v9
	v_cmp_ne_u32_e64 s[12:13], s11, v15
	v_mov_b32_e32 v10, 0x7f800001
	s_and_saveexec_b64 s[26:27], s[12:13]
	s_cbranch_execz .LBB506_764
; %bb.763:
	v_and_b32_e32 v10, 7, v9
	v_ffbh_u32_e32 v10, v10
	v_min_u32_e32 v10, 32, v10
	v_subrev_u32_e32 v17, 28, v10
	v_cmp_gt_u32_e64 s[12:13], 8, v15
	v_lshrrev_b32_e32 v16, 3, v15
	v_sub_u32_e32 v10, 29, v10
	v_cndmask_b32_e64 v15, 0, v17, s[12:13]
	v_cndmask_b32_e64 v10, v16, v10, s[12:13]
	v_lshlrev_b64 v[16:17], v15, v[6:7]
	v_lshlrev_b32_e32 v7, 20, v16
	v_lshlrev_b32_e32 v15, 24, v6
	v_bfrev_b32_e32 v16, 60
	v_and_b32_e32 v7, 0x700000, v7
	v_and_b32_e32 v15, 0x80000000, v15
	v_lshl_add_u32 v10, v10, 23, v16
	v_or3_b32 v10, v15, v10, v7
.LBB506_764:
	s_or_b64 exec, exec, s[26:27]
.LBB506_765:
	s_or_b64 exec, exec, s[24:25]
	v_mov_b32_e32 v7, v10
.LBB506_766:
	s_or_b64 exec, exec, s[14:15]
	v_lshrrev_b16_e32 v10, 8, v6
	v_cmp_ne_u16_e64 s[12:13], 0, v10
	v_mov_b32_e32 v15, 0
	v_mov_b32_e32 v16, 0
	s_and_saveexec_b64 s[14:15], s[12:13]
	s_cbranch_execz .LBB506_772
; %bb.767:
	s_movk_i32 s11, 0x80
	v_cmp_ne_u16_e64 s[12:13], s11, v10
	v_bfrev_b32_e32 v16, 1
	s_and_saveexec_b64 s[24:25], s[12:13]
	s_cbranch_execz .LBB506_771
; %bb.768:
	s_movk_i32 s11, 0x7f
	v_and_b32_e32 v17, 0x7f, v10
	v_cmp_ne_u32_e64 s[12:13], s11, v17
	v_mov_b32_e32 v16, 0x7f800001
	s_and_saveexec_b64 s[26:27], s[12:13]
	s_cbranch_execz .LBB506_770
; %bb.769:
	v_and_b32_e32 v16, 7, v10
	v_ffbh_u32_e32 v18, v16
	v_min_u32_e32 v21, 32, v18
	v_subrev_u32_e32 v18, 28, v21
	v_lshlrev_b64 v[18:19], v18, v[10:11]
	v_lshrrev_b32_e32 v20, 3, v17
	v_sub_u32_e32 v10, 29, v21
	v_and_b32_e32 v18, 7, v18
	v_cmp_gt_u32_e64 s[12:13], 8, v17
	v_cndmask_b32_e64 v10, v20, v10, s[12:13]
	v_cndmask_b32_e64 v16, v16, v18, s[12:13]
	v_lshlrev_b32_e32 v6, 16, v6
	v_bfrev_b32_e32 v17, 60
	v_lshlrev_b32_e32 v16, 20, v16
	v_and_b32_e32 v6, 0x80000000, v6
	v_lshl_add_u32 v10, v10, 23, v17
	v_or3_b32 v16, v6, v10, v16
.LBB506_770:
	s_or_b64 exec, exec, s[26:27]
.LBB506_771:
	s_or_b64 exec, exec, s[24:25]
.LBB506_772:
	s_or_b64 exec, exec, s[14:15]
	s_movk_i32 s11, 0xff
	v_and_b32_sdwa v10, v9, s11 dst_sel:DWORD dst_unused:UNUSED_PAD src0_sel:WORD_1 src1_sel:DWORD
	v_lshrrev_b32_e32 v6, 16, v9
	v_cmp_ne_u16_e64 s[12:13], 0, v10
	s_and_saveexec_b64 s[14:15], s[12:13]
	s_cbranch_execz .LBB506_778
; %bb.773:
	s_movk_i32 s11, 0x80
	v_cmp_ne_u16_e64 s[12:13], s11, v10
	v_bfrev_b32_e32 v15, 1
	s_and_saveexec_b64 s[24:25], s[12:13]
	s_cbranch_execz .LBB506_777
; %bb.774:
	v_bfe_u32 v10, v9, 16, 7
	s_movk_i32 s11, 0x7f
	v_cmp_ne_u32_e64 s[12:13], s11, v10
	v_mov_b32_e32 v15, 0x7f800001
	s_and_saveexec_b64 s[26:27], s[12:13]
	s_cbranch_execz .LBB506_776
; %bb.775:
	v_and_b32_e32 v15, 7, v6
	v_ffbh_u32_e32 v18, v15
	v_min_u32_e32 v20, 32, v18
	v_subrev_u32_e32 v18, 28, v20
	v_lshlrev_b64 v[18:19], v18, v[6:7]
	v_and_b32_e32 v18, 7, v18
	v_cmp_gt_u32_e64 s[12:13], 8, v10
	v_lshrrev_b32_e32 v17, 3, v10
	v_sub_u32_e32 v6, 29, v20
	v_cndmask_b32_e64 v10, v15, v18, s[12:13]
	v_mov_b32_e32 v15, 24
	v_cndmask_b32_e64 v6, v17, v6, s[12:13]
	v_lshlrev_b32_sdwa v15, v15, v9 dst_sel:DWORD dst_unused:UNUSED_PAD src0_sel:DWORD src1_sel:WORD_1
	v_bfrev_b32_e32 v17, 60
	v_lshlrev_b32_e32 v10, 20, v10
	v_and_b32_e32 v15, 0x80000000, v15
	v_lshl_add_u32 v6, v6, 23, v17
	v_or3_b32 v15, v15, v6, v10
.LBB506_776:
	s_or_b64 exec, exec, s[26:27]
.LBB506_777:
	s_or_b64 exec, exec, s[24:25]
.LBB506_778:
	s_or_b64 exec, exec, s[14:15]
	s_mov_b32 s12, -1
	s_mov_b32 s13, 0xffffff
	v_cmp_lt_u64_e64 s[12:13], s[12:13], v[8:9]
	v_mov_b32_e32 v8, 0
	s_and_saveexec_b64 s[14:15], s[12:13]
	s_cbranch_execz .LBB506_784
; %bb.779:
	v_lshrrev_b32_e32 v6, 24, v9
	s_movk_i32 s11, 0x80
	v_cmp_ne_u32_e64 s[12:13], s11, v6
	v_bfrev_b32_e32 v8, 1
	s_and_saveexec_b64 s[24:25], s[12:13]
	s_cbranch_execz .LBB506_783
; %bb.780:
	v_bfe_u32 v9, v9, 24, 7
	s_movk_i32 s11, 0x7f
	v_cmp_ne_u32_e64 s[12:13], s11, v9
	v_mov_b32_e32 v8, 0x7f800001
	s_and_saveexec_b64 s[26:27], s[12:13]
	s_cbranch_execz .LBB506_782
; %bb.781:
	v_and_b32_e32 v8, 7, v6
	v_ffbh_u32_e32 v17, v8
	v_min_u32_e32 v17, 32, v17
	v_subrev_u32_e32 v18, 28, v17
	v_lshlrev_b64 v[18:19], v18, v[6:7]
	v_lshrrev_b32_e32 v10, 3, v9
	v_sub_u32_e32 v17, 29, v17
	v_and_b32_e32 v18, 7, v18
	v_cmp_gt_u32_e64 s[12:13], 8, v9
	v_cndmask_b32_e64 v9, v10, v17, s[12:13]
	v_cndmask_b32_e64 v8, v8, v18, s[12:13]
	v_lshlrev_b32_e32 v6, 24, v6
	v_bfrev_b32_e32 v10, 60
	v_lshlrev_b32_e32 v8, 20, v8
	v_and_b32_e32 v6, 0x80000000, v6
	v_lshl_add_u32 v9, v9, 23, v10
	v_or3_b32 v8, v6, v9, v8
.LBB506_782:
	s_or_b64 exec, exec, s[26:27]
.LBB506_783:
	s_or_b64 exec, exec, s[24:25]
.LBB506_784:
	s_or_b64 exec, exec, s[14:15]
	s_load_dword s4, s[4:5], 0x1c
	v_cvt_pkrtz_f16_f32 v10, v12, v13
	v_cvt_pkrtz_f16_f32 v11, v11, v14
	s_load_dword s5, s[16:17], 0x0
	v_cvt_pkrtz_f16_f32 v6, v7, v16
	v_mfma_f32_4x4x4f16 a[0:3], v[2:3], v[10:11], a[0:3] cbsz:4 abid:15
	v_cvt_pkrtz_f16_f32 v7, v15, v8
	s_waitcnt lgkmcnt(0)
	v_mov_b32_e32 v2, s4
	v_mul_f32_e32 v2, s5, v2
	v_mfma_f32_4x4x4f16 a[0:3], v[4:5], v[6:7], a[0:3] cbsz:4 abid:15
	v_mov_b32_e32 v9, 0xff7fffff
	s_nop 3
	v_accvgpr_read_b32 v5, a1
	v_accvgpr_read_b32 v4, a0
	v_pk_mul_f32 v[4:5], v[4:5], v[2:3] op_sel_hi:[1,0]
	v_accvgpr_read_b32 v7, a3
	v_accvgpr_read_b32 v6, a2
	v_pk_mul_f32 v[2:3], v[6:7], v[2:3] op_sel_hi:[1,0]
	v_cndmask_b32_e64 v6, 0, 1.0, vcc
	v_cmp_eq_u32_e32 vcc, 1, v43
	s_nop 0
	v_mfma_f32_4x4x1f32 a[0:3], v4, v6, 0
	v_cndmask_b32_e64 v4, 0, 1.0, vcc
	v_cmp_eq_u32_e32 vcc, 2, v43
	s_nop 0
	v_mfma_f32_4x4x1f32 a[0:3], v5, v4, a[0:3]
	;; [unrolled: 4-line block ×3, first 2 shown]
	v_cndmask_b32_e64 v2, 0, 1.0, vcc
	s_nop 1
	v_mfma_f32_4x4x1f32 a[0:3], v3, v2, a[0:3]
	v_and_b32_e32 v2, -4, v44
	v_subrev_u32_e32 v3, s9, v2
	v_add_u32_e32 v4, 1, v3
	v_cvt_f32_i32_e32 v4, v4
	v_add_u32_e32 v5, 2, v3
	v_cvt_f32_i32_e32 v5, v5
	v_accvgpr_read_b32 v6, a0
	v_fma_f32 v4, v45, v4, v6
	v_accvgpr_read_b32 v6, a1
	v_fma_f32 v5, v45, v5, v6
	v_add_u32_e32 v6, 3, v3
	v_cvt_f32_i32_e32 v6, v6
	v_accvgpr_read_b32 v7, a2
	v_add_u32_e32 v3, 4, v3
	v_cmp_gt_i32_e32 vcc, s9, v2
	v_fma_f32 v7, v45, v6, v7
	v_max_f32_e32 v6, 0xff7fffff, v4
	v_cvt_f32_i32_e32 v3, v3
	v_cndmask_b32_e32 v6, v9, v6, vcc
	v_or_b32_e32 v9, 1, v2
	v_max_f32_e32 v10, v6, v5
	v_cmp_gt_i32_e64 s[4:5], s9, v9
	v_cndmask_b32_e64 v6, v6, v10, s[4:5]
	v_or_b32_e32 v2, 2, v2
	v_accvgpr_read_b32 v8, a3
	v_max_f32_e32 v9, v6, v7
	v_cmp_gt_i32_e64 s[12:13], s9, v2
	v_fmac_f32_e32 v8, v45, v3
	v_cndmask_b32_e64 v2, v6, v9, s[12:13]
	v_or_b32_e32 v6, 3, v44
	v_max_f32_e32 v9, v2, v8
	v_cmp_gt_i32_e64 s[14:15], s9, v6
	v_lshlrev_b32_e32 v3, 2, v0
	v_cndmask_b32_e64 v2, v2, v9, s[14:15]
	v_and_or_b32 v3, v3, 48, v43
	;;#ASMSTART
	v_nop
 v_nop
 v_max_f32_dpp v2, v2, v2 row_ror:4
	;;#ASMEND
	v_lshlrev_b32_e32 v9, 2, v3
	;;#ASMSTART
	v_nop
 v_nop
 v_max_f32_dpp v2, v2, v2 row_ror:8
	;;#ASMEND
	ds_bpermute_b32 v2, v9, v2
	s_waitcnt lgkmcnt(0)
	;;#ASMSTART
	v_nop
 v_nop
 v_max_f32_dpp v2, v2, v2 row_ror:4
	;;#ASMEND
	;;#ASMSTART
	v_nop
 v_nop
 v_max_f32_dpp v6, v2, v2 row_ror:8
	;;#ASMEND
	v_sub_f32_e32 v2, v4, v6
	v_mul_f32_e32 v2, 0x3fb8aa3b, v2
	v_sub_f32_e32 v3, v5, v6
	v_exp_f32_e32 v2, v2
	v_mul_f32_e32 v3, 0x3fb8aa3b, v3
	v_sub_f32_e32 v5, v7, v6
	v_exp_f32_e32 v3, v3
	;; [unrolled: 3-line block ×3, first 2 shown]
	v_mul_f32_e32 v7, 0x3fb8aa3b, v7
	v_exp_f32_e32 v7, v7
	v_cndmask_b32_e32 v2, 0, v2, vcc
	v_add_f32_e32 v4, 0, v2
	v_cndmask_b32_e64 v3, 0, v3, s[4:5]
	v_add_f32_e32 v8, v4, v3
	v_cndmask_b32_e64 v4, 0, v5, s[12:13]
	;; [unrolled: 2-line block ×3, first 2 shown]
	v_add_f32_e32 v7, v8, v5
	;;#ASMSTART
	v_nop
 v_nop
 v_add_f32_dpp v7, v7, v7 row_ror:4
	;;#ASMEND
	;;#ASMSTART
	v_nop
 v_nop
 v_add_f32_dpp v7, v7, v7 row_ror:8
	;;#ASMEND
	ds_bpermute_b32 v7, v9, v7
	s_waitcnt lgkmcnt(0)
	;;#ASMSTART
	v_nop
 v_nop
 v_add_f32_dpp v7, v7, v7 row_ror:4
	;;#ASMEND
	v_cmp_gt_u32_e32 vcc, 4, v1
	;;#ASMSTART
	v_nop
 v_nop
 v_add_f32_dpp v7, v7, v7 row_ror:8
	;;#ASMEND
	s_and_saveexec_b64 s[4:5], vcc
	s_cbranch_execz .LBB506_786
; %bb.785:
	v_mul_u32_u24_e32 v8, 20, v42
	v_lshl_add_u32 v8, v43, 2, v8
	v_add_u32_e32 v8, 0x1400, v8
	ds_write2_b32 v8, v6, v7 offset1:20
.LBB506_786:
	s_or_b64 exec, exec, s[4:5]
.LBB506_787:
	s_or_b64 exec, exec, s[36:37]
	s_waitcnt lgkmcnt(0)
	s_barrier
	s_load_dword s4, s[34:35], 0x8
	v_lshlrev_b32_e32 v7, 2, v43
	v_add_u32_e32 v9, 0x1400, v7
	ds_read2_b32 v[10:11], v9 offset1:5
	ds_read2_b32 v[12:13], v9 offset0:10 offset1:15
	s_mul_i32 s5, s33, s8
	s_waitcnt lgkmcnt(0)
	s_mul_i32 s4, s5, s4
	s_mov_b32 s5, 0xff7fffff
	v_max3_f32 v7, v10, s5, v11
	v_max3_f32 v8, v7, v12, v13
	v_sub_f32_e32 v7, v10, v8
	v_sub_f32_e32 v10, v11, v8
	v_mul_f32_e32 v10, 0x3fb8aa3b, v10
	ds_read2_b32 v[14:15], v9 offset0:20 offset1:25
	v_mul_f32_e32 v7, 0x3fb8aa3b, v7
	v_exp_f32_e32 v17, v10
	ds_read2_b32 v[10:11], v9 offset0:30 offset1:35
	v_sub_f32_e32 v9, v12, v8
	v_exp_f32_e32 v16, v7
	v_mul_f32_e32 v9, 0x3fb8aa3b, v9
	v_exp_f32_e32 v12, v9
	v_sub_f32_e32 v9, v13, v8
	v_mul_f32_e32 v9, 0x3fb8aa3b, v9
	v_exp_f32_e32 v13, v9
	s_waitcnt lgkmcnt(1)
	v_fma_f32 v9, v16, v14, 0
	v_fmac_f32_e32 v9, v17, v15
	s_waitcnt lgkmcnt(0)
	v_fmac_f32_e32 v9, v12, v10
	v_mov_b32_e32 v7, 0
	v_fmac_f32_e32 v9, v13, v11
	s_mov_b32 s5, 0
	v_cmp_eq_u32_e32 vcc, 0, v43
	s_and_saveexec_b64 s[8:9], vcc
	s_cbranch_execz .LBB506_789
; %bb.788:
	s_lshl_b64 s[12:13], s[4:5], 2
	s_add_u32 s11, s20, s12
	s_mov_b32 s29, s5
	s_addc_u32 s16, s21, s13
	s_lshl_b64 s[14:15], s[28:29], 2
	s_add_u32 s11, s11, s14
	s_addc_u32 s16, s16, s15
	s_add_u32 s12, s22, s12
	s_addc_u32 s13, s23, s13
	;; [unrolled: 2-line block ×3, first 2 shown]
	s_mul_i32 s12, s33, s10
	s_mov_b32 s13, s5
	s_lshl_b64 s[12:13], s[12:13], 2
	s_add_u32 s14, s11, s12
	s_addc_u32 s15, s16, s13
	s_add_u32 s12, s17, s12
	s_addc_u32 s13, s20, s13
	global_store_dword v7, v8, s[12:13]
	global_store_dword v7, v9, s[14:15]
.LBB506_789:
	s_or_b64 exec, exec, s[8:9]
	v_lshlrev_b32_e32 v7, 3, v42
	s_and_saveexec_b64 s[8:9], s[6:7]
	s_xor_b64 s[6:7], exec, s[8:9]
	s_cbranch_execz .LBB506_791
; %bb.790:
	s_mov_b32 s8, 0
	s_mov_b32 s9, s8
	v_mad_u32_u24 v4, v1, 40, v7
	v_pk_mov_b32 v[2:3], s[8:9], s[8:9] op_sel:[0,1]
	ds_write2st64_b64 v4, v[2:3], v[2:3] offset1:5
                                        ; implicit-def: $vgpr7
                                        ; implicit-def: $vgpr6
                                        ; implicit-def: $vgpr8
                                        ; implicit-def: $vgpr9
                                        ; implicit-def: $vgpr4
                                        ; implicit-def: $vgpr2
.LBB506_791:
	s_andn2_saveexec_b64 s[6:7], s[6:7]
	s_cbranch_execz .LBB506_1178
; %bb.792:
	v_add_f32_e32 v9, 0x358637bd, v9
	v_div_scale_f32 v10, s[8:9], v9, v9, 1.0
	v_rcp_f32_e32 v11, v10
	v_sub_f32_e32 v6, v6, v8
	v_mul_f32_e32 v6, 0x3fb8aa3b, v6
	v_exp_f32_e32 v6, v6
	v_fma_f32 v8, -v10, v11, 1.0
	v_fmac_f32_e32 v11, v8, v11
	v_div_scale_f32 v8, vcc, 1.0, v9, 1.0
	v_mul_f32_e32 v12, v8, v11
	v_fma_f32 v13, -v10, v12, v8
	v_fmac_f32_e32 v12, v13, v11
	v_fma_f32 v8, -v10, v12, v8
	v_div_fmas_f32 v8, v8, v11, v12
	v_div_fixup_f32 v8, v8, v9, 1.0
	v_mul_f32_e32 v6, v6, v8
	v_pk_mul_f32 v[4:5], v[4:5], v[6:7] op_sel_hi:[1,0]
	v_pk_mul_f32 v[2:3], v[2:3], v[6:7] op_sel_hi:[1,0]
	s_load_dword s8, s[18:19], 0x0
	v_cvt_f16_f32_e32 v2, v2
	v_cvt_f16_f32_e32 v3, v3
	;; [unrolled: 1-line block ×4, first 2 shown]
	v_mov_b32_e32 v11, 0
	v_add_u32_e32 v5, 64, v11
	v_pack_b32_f16 v2, v2, v3
	v_pack_b32_f16 v3, v4, v6
	s_waitcnt lgkmcnt(0)
	s_mov_b32 s9, s8
	s_mov_b32 s12, s8
	;; [unrolled: 1-line block ×4, first 2 shown]
	s_mov_b64 s[14:15], -1
	s_movk_i32 s5, 0x80
	s_movk_i32 s22, 0x7f
	s_mov_b32 s23, 0xffffff
	v_mov_b32_e32 v9, 0
	v_bfrev_b32_e32 v10, 60
	s_branch .LBB506_796
.LBB506_793:                            ;   in Loop: Header=BB506_796 Depth=1
	s_or_b64 exec, exec, s[20:21]
.LBB506_794:                            ;   in Loop: Header=BB506_796 Depth=1
	s_or_b64 exec, exec, s[18:19]
.LBB506_795:                            ;   in Loop: Header=BB506_796 Depth=1
	s_or_b64 exec, exec, s[16:17]
	v_cvt_pkrtz_f16_f32 v12, v13, v12
	v_cvt_pkrtz_f16_f32 v13, v11, v15
	;; [unrolled: 1-line block ×4, first 2 shown]
	v_mfma_f32_4x4x4f16 a[0:3], v[2:3], v[12:13], a[0:3] cbsz:4 abid:14
	s_mulk_i32 s11, 0xa00
	v_mfma_f32_4x4x4f16 a[0:3], v[2:3], v[14:15], a[0:3] cbsz:4 abid:15
	s_xor_b64 s[16:17], s[14:15], -1
	s_mov_b64 s[14:15], 0
	s_andn2_b64 vcc, exec, s[16:17]
	s_nop 1
	v_accvgpr_read_b32 v15, a1
	v_accvgpr_read_b32 v14, a0
	;; [unrolled: 1-line block ×4, first 2 shown]
	v_pk_mul_f32 v[14:15], v[14:15], s[8:9]
	v_pk_mul_f32 v[12:13], v[12:13], s[12:13]
	v_cvt_f16_f32_e32 v4, v14
	v_cvt_f16_f32_e32 v6, v15
	;; [unrolled: 1-line block ×4, first 2 shown]
	v_pack_b32_f16 v12, v4, v6
	v_mul_u32_u24_e32 v4, 40, v1
	v_pack_b32_f16 v13, v8, v11
	v_add3_u32 v4, s11, v4, v7
	s_mov_b32 s11, 1
	v_mov_b32_e32 v11, v5
	ds_write_b64 v4, v[12:13]
	s_cbranch_vccz .LBB506_1178
.LBB506_796:                            ; =>This Inner Loop Header: Depth=1
	buffer_load_dword v6, v11, s[0:3], 0 offen
	buffer_load_dword v4, v11, s[0:3], 0 offen offset:4
	v_mov_b32_e32 v13, 0
	s_waitcnt vmcnt(1)
	v_cmp_ne_u16_sdwa s[18:19], v6, v9 src0_sel:BYTE_0 src1_sel:DWORD
	s_and_saveexec_b64 s[16:17], s[18:19]
	s_cbranch_execz .LBB506_802
; %bb.797:                              ;   in Loop: Header=BB506_796 Depth=1
	v_cmp_ne_u16_sdwa s[20:21], v6, s5 src0_sel:BYTE_0 src1_sel:DWORD
	v_bfrev_b32_e32 v13, 1
	s_and_saveexec_b64 s[18:19], s[20:21]
	s_cbranch_execz .LBB506_801
; %bb.798:                              ;   in Loop: Header=BB506_796 Depth=1
	v_and_b32_e32 v8, 0x7f, v6
	v_cmp_ne_u32_e32 vcc, s22, v8
	v_mov_b32_e32 v13, 0x7f800001
	s_and_saveexec_b64 s[20:21], vcc
	s_cbranch_execz .LBB506_800
; %bb.799:                              ;   in Loop: Header=BB506_796 Depth=1
	v_and_b32_e32 v14, 7, v6
	v_ffbh_u32_e32 v12, v14
	v_min_u32_e32 v16, 32, v12
	v_subrev_u32_e32 v12, 28, v16
	v_lshlrev_b64 v[12:13], v12, v[6:7]
	v_lshrrev_b32_e32 v15, 3, v8
	v_sub_u32_e32 v13, 29, v16
	v_and_b32_e32 v12, 7, v12
	v_cmp_gt_u32_e32 vcc, 8, v8
	v_cndmask_b32_e32 v8, v15, v13, vcc
	v_cndmask_b32_e32 v12, v14, v12, vcc
	v_lshlrev_b32_e32 v13, 24, v6
	v_lshlrev_b32_e32 v12, 20, v12
	v_and_b32_e32 v13, 0x80000000, v13
	v_lshl_add_u32 v8, v8, 23, v10
	v_or3_b32 v13, v13, v8, v12
.LBB506_800:                            ;   in Loop: Header=BB506_796 Depth=1
	s_or_b64 exec, exec, s[20:21]
.LBB506_801:                            ;   in Loop: Header=BB506_796 Depth=1
	s_or_b64 exec, exec, s[18:19]
.LBB506_802:                            ;   in Loop: Header=BB506_796 Depth=1
	s_or_b64 exec, exec, s[16:17]
	v_lshrrev_b16_e32 v8, 8, v6
	v_cmp_ne_u16_e32 vcc, 0, v8
	v_mov_b32_e32 v14, 0
	v_mov_b32_e32 v15, 0
	s_and_saveexec_b64 s[16:17], vcc
	s_cbranch_execz .LBB506_808
; %bb.803:                              ;   in Loop: Header=BB506_796 Depth=1
	v_cmp_ne_u16_e32 vcc, s5, v8
	v_bfrev_b32_e32 v15, 1
	s_and_saveexec_b64 s[18:19], vcc
	s_cbranch_execz .LBB506_807
; %bb.804:                              ;   in Loop: Header=BB506_796 Depth=1
	v_and_b32_e32 v12, 0x7f, v8
	v_cmp_ne_u32_e32 vcc, s22, v12
	v_mov_b32_e32 v15, 0x7f800001
	s_and_saveexec_b64 s[20:21], vcc
	s_cbranch_execz .LBB506_806
; %bb.805:                              ;   in Loop: Header=BB506_796 Depth=1
	v_and_b32_e32 v15, 7, v8
	v_ffbh_u32_e32 v16, v15
	v_min_u32_e32 v19, 32, v16
	v_subrev_u32_e32 v16, 28, v19
	v_lshlrev_b64 v[16:17], v16, v[8:9]
	v_lshrrev_b32_e32 v18, 3, v12
	v_sub_u32_e32 v8, 29, v19
	v_and_b32_e32 v16, 7, v16
	v_cmp_gt_u32_e32 vcc, 8, v12
	v_cndmask_b32_e32 v8, v18, v8, vcc
	v_cndmask_b32_e32 v12, v15, v16, vcc
	v_lshlrev_b32_e32 v15, 16, v6
	v_lshlrev_b32_e32 v12, 20, v12
	v_and_b32_e32 v15, 0x80000000, v15
	v_lshl_add_u32 v8, v8, 23, v10
	v_or3_b32 v15, v15, v8, v12
.LBB506_806:                            ;   in Loop: Header=BB506_796 Depth=1
	s_or_b64 exec, exec, s[20:21]
.LBB506_807:                            ;   in Loop: Header=BB506_796 Depth=1
	s_or_b64 exec, exec, s[18:19]
.LBB506_808:                            ;   in Loop: Header=BB506_796 Depth=1
	s_or_b64 exec, exec, s[16:17]
	v_lshrrev_b32_e32 v8, 16, v6
	v_cmp_ne_u16_sdwa s[18:19], v8, v9 src0_sel:BYTE_0 src1_sel:DWORD
	s_and_saveexec_b64 s[16:17], s[18:19]
	s_cbranch_execz .LBB506_814
; %bb.809:                              ;   in Loop: Header=BB506_796 Depth=1
	v_cmp_ne_u16_sdwa s[20:21], v8, s5 src0_sel:BYTE_0 src1_sel:DWORD
	v_bfrev_b32_e32 v14, 1
	s_and_saveexec_b64 s[18:19], s[20:21]
	s_cbranch_execz .LBB506_813
; %bb.810:                              ;   in Loop: Header=BB506_796 Depth=1
	v_bfe_u32 v12, v6, 16, 7
	v_cmp_ne_u32_e32 vcc, s22, v12
	v_mov_b32_e32 v14, 0x7f800001
	s_and_saveexec_b64 s[20:21], vcc
	s_cbranch_execz .LBB506_812
; %bb.811:                              ;   in Loop: Header=BB506_796 Depth=1
	v_and_b32_e32 v14, 7, v8
	v_ffbh_u32_e32 v16, v14
	v_min_u32_e32 v19, 32, v16
	v_subrev_u32_e32 v16, 28, v19
	v_lshlrev_b64 v[16:17], v16, v[8:9]
	v_lshrrev_b32_e32 v18, 3, v12
	v_sub_u32_e32 v17, 29, v19
	v_and_b32_e32 v16, 7, v16
	v_cmp_gt_u32_e32 vcc, 8, v12
	v_cndmask_b32_e32 v12, v18, v17, vcc
	v_cndmask_b32_e32 v14, v14, v16, vcc
	v_lshlrev_b32_e32 v8, 24, v8
	v_lshlrev_b32_e32 v14, 20, v14
	v_and_b32_e32 v8, 0x80000000, v8
	v_lshl_add_u32 v12, v12, 23, v10
	v_or3_b32 v14, v8, v12, v14
.LBB506_812:                            ;   in Loop: Header=BB506_796 Depth=1
	s_or_b64 exec, exec, s[20:21]
.LBB506_813:                            ;   in Loop: Header=BB506_796 Depth=1
	s_or_b64 exec, exec, s[18:19]
.LBB506_814:                            ;   in Loop: Header=BB506_796 Depth=1
	s_or_b64 exec, exec, s[16:17]
	v_cmp_lt_u32_e32 vcc, s23, v6
	v_mov_b32_e32 v16, 0
	v_mov_b32_e32 v17, 0
	s_and_saveexec_b64 s[16:17], vcc
	s_cbranch_execz .LBB506_820
; %bb.815:                              ;   in Loop: Header=BB506_796 Depth=1
	v_lshrrev_b32_e32 v8, 24, v6
	v_cmp_ne_u32_e32 vcc, s5, v8
	v_bfrev_b32_e32 v17, 1
	s_and_saveexec_b64 s[18:19], vcc
	s_cbranch_execz .LBB506_819
; %bb.816:                              ;   in Loop: Header=BB506_796 Depth=1
	v_bfe_u32 v6, v6, 24, 7
	v_cmp_ne_u32_e32 vcc, s22, v6
	v_mov_b32_e32 v17, 0x7f800001
	s_and_saveexec_b64 s[20:21], vcc
	s_cbranch_execz .LBB506_818
; %bb.817:                              ;   in Loop: Header=BB506_796 Depth=1
	v_and_b32_e32 v12, 7, v8
	v_ffbh_u32_e32 v18, v12
	v_min_u32_e32 v20, 32, v18
	v_subrev_u32_e32 v18, 28, v20
	v_lshlrev_b64 v[18:19], v18, v[8:9]
	v_lshrrev_b32_e32 v17, 3, v6
	v_sub_u32_e32 v19, 29, v20
	v_and_b32_e32 v18, 7, v18
	v_cmp_gt_u32_e32 vcc, 8, v6
	v_cndmask_b32_e32 v6, v17, v19, vcc
	v_cndmask_b32_e32 v12, v12, v18, vcc
	v_lshlrev_b32_e32 v8, 24, v8
	v_lshlrev_b32_e32 v12, 20, v12
	v_and_b32_e32 v8, 0x80000000, v8
	v_lshl_add_u32 v6, v6, 23, v10
	v_or3_b32 v17, v8, v6, v12
.LBB506_818:                            ;   in Loop: Header=BB506_796 Depth=1
	s_or_b64 exec, exec, s[20:21]
.LBB506_819:                            ;   in Loop: Header=BB506_796 Depth=1
	s_or_b64 exec, exec, s[18:19]
.LBB506_820:                            ;   in Loop: Header=BB506_796 Depth=1
	s_or_b64 exec, exec, s[16:17]
	s_waitcnt vmcnt(0)
	v_cmp_ne_u16_sdwa s[18:19], v4, v9 src0_sel:BYTE_0 src1_sel:DWORD
	s_and_saveexec_b64 s[16:17], s[18:19]
	s_cbranch_execz .LBB506_826
; %bb.821:                              ;   in Loop: Header=BB506_796 Depth=1
	v_cmp_ne_u16_sdwa s[20:21], v4, s5 src0_sel:BYTE_0 src1_sel:DWORD
	v_bfrev_b32_e32 v16, 1
	s_and_saveexec_b64 s[18:19], s[20:21]
	s_cbranch_execz .LBB506_825
; %bb.822:                              ;   in Loop: Header=BB506_796 Depth=1
	v_and_b32_e32 v6, 0x7f, v4
	v_cmp_ne_u32_e32 vcc, s22, v6
	v_mov_b32_e32 v16, 0x7f800001
	s_and_saveexec_b64 s[20:21], vcc
	s_cbranch_execz .LBB506_824
; %bb.823:                              ;   in Loop: Header=BB506_796 Depth=1
	v_and_b32_e32 v8, 7, v4
	v_ffbh_u32_e32 v16, v8
	v_min_u32_e32 v16, 32, v16
	v_subrev_u32_e32 v18, 28, v16
	v_lshlrev_b64 v[18:19], v18, v[4:5]
	v_lshrrev_b32_e32 v12, 3, v6
	v_sub_u32_e32 v16, 29, v16
	v_and_b32_e32 v18, 7, v18
	v_cmp_gt_u32_e32 vcc, 8, v6
	v_cndmask_b32_e32 v6, v12, v16, vcc
	v_cndmask_b32_e32 v8, v8, v18, vcc
	v_lshlrev_b32_e32 v12, 24, v4
	v_lshlrev_b32_e32 v8, 20, v8
	v_and_b32_e32 v12, 0x80000000, v12
	v_lshl_add_u32 v6, v6, 23, v10
	v_or3_b32 v16, v12, v6, v8
.LBB506_824:                            ;   in Loop: Header=BB506_796 Depth=1
	s_or_b64 exec, exec, s[20:21]
.LBB506_825:                            ;   in Loop: Header=BB506_796 Depth=1
	s_or_b64 exec, exec, s[18:19]
.LBB506_826:                            ;   in Loop: Header=BB506_796 Depth=1
	s_or_b64 exec, exec, s[16:17]
	v_lshrrev_b16_e32 v6, 8, v4
	v_cmp_ne_u16_e32 vcc, 0, v6
	v_mov_b32_e32 v8, 0
	v_mov_b32_e32 v18, 0
	s_and_saveexec_b64 s[16:17], vcc
	s_cbranch_execz .LBB506_832
; %bb.827:                              ;   in Loop: Header=BB506_796 Depth=1
	v_cmp_ne_u16_e32 vcc, s5, v6
	v_bfrev_b32_e32 v18, 1
	s_and_saveexec_b64 s[18:19], vcc
	s_cbranch_execz .LBB506_831
; %bb.828:                              ;   in Loop: Header=BB506_796 Depth=1
	v_and_b32_e32 v12, 0x7f, v6
	v_cmp_ne_u32_e32 vcc, s22, v12
	v_mov_b32_e32 v18, 0x7f800001
	s_and_saveexec_b64 s[20:21], vcc
	s_cbranch_execz .LBB506_830
; %bb.829:                              ;   in Loop: Header=BB506_796 Depth=1
	v_and_b32_e32 v20, 7, v6
	v_ffbh_u32_e32 v18, v20
	v_min_u32_e32 v22, 32, v18
	v_subrev_u32_e32 v18, 28, v22
	v_lshlrev_b64 v[18:19], v18, v[6:7]
	v_lshrrev_b32_e32 v21, 3, v12
	v_sub_u32_e32 v6, 29, v22
	v_and_b32_e32 v18, 7, v18
	v_cmp_gt_u32_e32 vcc, 8, v12
	v_cndmask_b32_e32 v6, v21, v6, vcc
	v_cndmask_b32_e32 v12, v20, v18, vcc
	v_lshlrev_b32_e32 v18, 16, v4
	v_lshlrev_b32_e32 v12, 20, v12
	v_and_b32_e32 v18, 0x80000000, v18
	v_lshl_add_u32 v6, v6, 23, v10
	v_or3_b32 v18, v18, v6, v12
.LBB506_830:                            ;   in Loop: Header=BB506_796 Depth=1
	s_or_b64 exec, exec, s[20:21]
.LBB506_831:                            ;   in Loop: Header=BB506_796 Depth=1
	s_or_b64 exec, exec, s[18:19]
.LBB506_832:                            ;   in Loop: Header=BB506_796 Depth=1
	s_or_b64 exec, exec, s[16:17]
	v_lshrrev_b32_e32 v6, 16, v4
	v_cmp_ne_u16_sdwa s[18:19], v6, v9 src0_sel:BYTE_0 src1_sel:DWORD
	s_and_saveexec_b64 s[16:17], s[18:19]
	s_cbranch_execz .LBB506_838
; %bb.833:                              ;   in Loop: Header=BB506_796 Depth=1
	v_cmp_ne_u16_sdwa s[20:21], v6, s5 src0_sel:BYTE_0 src1_sel:DWORD
	v_bfrev_b32_e32 v8, 1
	s_and_saveexec_b64 s[18:19], s[20:21]
	s_cbranch_execz .LBB506_837
; %bb.834:                              ;   in Loop: Header=BB506_796 Depth=1
	v_bfe_u32 v12, v4, 16, 7
	v_cmp_ne_u32_e32 vcc, s22, v12
	v_mov_b32_e32 v8, 0x7f800001
	s_and_saveexec_b64 s[20:21], vcc
	s_cbranch_execz .LBB506_836
; %bb.835:                              ;   in Loop: Header=BB506_796 Depth=1
	v_and_b32_e32 v8, 7, v6
	v_ffbh_u32_e32 v20, v8
	v_min_u32_e32 v22, 32, v20
	v_subrev_u32_e32 v20, 28, v22
	v_lshlrev_b64 v[20:21], v20, v[6:7]
	v_lshrrev_b32_e32 v19, 3, v12
	v_sub_u32_e32 v21, 29, v22
	v_and_b32_e32 v20, 7, v20
	v_cmp_gt_u32_e32 vcc, 8, v12
	v_cndmask_b32_e32 v12, v19, v21, vcc
	v_cndmask_b32_e32 v8, v8, v20, vcc
	v_lshlrev_b32_e32 v6, 24, v6
	v_lshlrev_b32_e32 v8, 20, v8
	v_and_b32_e32 v6, 0x80000000, v6
	v_lshl_add_u32 v12, v12, 23, v10
	v_or3_b32 v8, v6, v12, v8
.LBB506_836:                            ;   in Loop: Header=BB506_796 Depth=1
	s_or_b64 exec, exec, s[20:21]
.LBB506_837:                            ;   in Loop: Header=BB506_796 Depth=1
	s_or_b64 exec, exec, s[18:19]
.LBB506_838:                            ;   in Loop: Header=BB506_796 Depth=1
	s_or_b64 exec, exec, s[16:17]
	v_cmp_lt_u32_e32 vcc, s23, v4
	v_mov_b32_e32 v12, 0
	v_mov_b32_e32 v19, 0
	s_and_saveexec_b64 s[16:17], vcc
	s_cbranch_execz .LBB506_844
; %bb.839:                              ;   in Loop: Header=BB506_796 Depth=1
	v_lshrrev_b32_e32 v6, 24, v4
	v_cmp_ne_u32_e32 vcc, s5, v6
	v_bfrev_b32_e32 v19, 1
	s_and_saveexec_b64 s[18:19], vcc
	s_cbranch_execz .LBB506_843
; %bb.840:                              ;   in Loop: Header=BB506_796 Depth=1
	v_bfe_u32 v4, v4, 24, 7
	v_cmp_ne_u32_e32 vcc, s22, v4
	v_mov_b32_e32 v19, 0x7f800001
	s_and_saveexec_b64 s[20:21], vcc
	s_cbranch_execz .LBB506_842
; %bb.841:                              ;   in Loop: Header=BB506_796 Depth=1
	v_and_b32_e32 v19, 7, v6
	v_ffbh_u32_e32 v20, v19
	v_min_u32_e32 v23, 32, v20
	v_subrev_u32_e32 v20, 28, v23
	v_lshlrev_b64 v[20:21], v20, v[6:7]
	v_lshrrev_b32_e32 v22, 3, v4
	v_sub_u32_e32 v21, 29, v23
	v_and_b32_e32 v20, 7, v20
	v_cmp_gt_u32_e32 vcc, 8, v4
	v_cndmask_b32_e32 v4, v22, v21, vcc
	v_cndmask_b32_e32 v19, v19, v20, vcc
	v_lshlrev_b32_e32 v6, 24, v6
	v_lshlrev_b32_e32 v19, 20, v19
	v_and_b32_e32 v6, 0x80000000, v6
	v_lshl_add_u32 v4, v4, 23, v10
	v_or3_b32 v19, v6, v4, v19
.LBB506_842:                            ;   in Loop: Header=BB506_796 Depth=1
	s_or_b64 exec, exec, s[20:21]
.LBB506_843:                            ;   in Loop: Header=BB506_796 Depth=1
	s_or_b64 exec, exec, s[18:19]
.LBB506_844:                            ;   in Loop: Header=BB506_796 Depth=1
	s_or_b64 exec, exec, s[16:17]
	buffer_load_dword v6, v11, s[0:3], 0 offen offset:8
	buffer_load_dword v4, v11, s[0:3], 0 offen offset:12
	v_cvt_pkrtz_f16_f32 v20, v13, v15
	v_cvt_pkrtz_f16_f32 v21, v14, v17
	;; [unrolled: 1-line block ×4, first 2 shown]
	v_mfma_f32_4x4x4f16 a[0:3], v[2:3], v[20:21], 0 cbsz:4
	s_waitcnt vmcnt(1)
	v_cmp_ne_u16_sdwa s[18:19], v6, v9 src0_sel:BYTE_0 src1_sel:DWORD
	v_mfma_f32_4x4x4f16 a[0:3], v[2:3], v[14:15], a[0:3] cbsz:4 abid:1
	s_and_saveexec_b64 s[16:17], s[18:19]
	s_cbranch_execz .LBB506_850
; %bb.845:                              ;   in Loop: Header=BB506_796 Depth=1
	v_cmp_ne_u16_sdwa s[20:21], v6, s5 src0_sel:BYTE_0 src1_sel:DWORD
	v_bfrev_b32_e32 v12, 1
	s_and_saveexec_b64 s[18:19], s[20:21]
	s_cbranch_execz .LBB506_849
; %bb.846:                              ;   in Loop: Header=BB506_796 Depth=1
	v_and_b32_e32 v8, 0x7f, v6
	v_cmp_ne_u32_e32 vcc, s22, v8
	v_mov_b32_e32 v12, 0x7f800001
	s_and_saveexec_b64 s[20:21], vcc
	s_cbranch_execz .LBB506_848
; %bb.847:                              ;   in Loop: Header=BB506_796 Depth=1
	v_and_b32_e32 v14, 7, v6
	v_ffbh_u32_e32 v12, v14
	v_min_u32_e32 v16, 32, v12
	v_subrev_u32_e32 v12, 28, v16
	v_lshlrev_b64 v[12:13], v12, v[6:7]
	v_lshrrev_b32_e32 v15, 3, v8
	v_sub_u32_e32 v13, 29, v16
	v_and_b32_e32 v12, 7, v12
	v_cmp_gt_u32_e32 vcc, 8, v8
	v_cndmask_b32_e32 v8, v15, v13, vcc
	v_cndmask_b32_e32 v12, v14, v12, vcc
	v_lshlrev_b32_e32 v13, 24, v6
	v_lshlrev_b32_e32 v12, 20, v12
	v_and_b32_e32 v13, 0x80000000, v13
	v_lshl_add_u32 v8, v8, 23, v10
	v_or3_b32 v12, v13, v8, v12
.LBB506_848:                            ;   in Loop: Header=BB506_796 Depth=1
	s_or_b64 exec, exec, s[20:21]
.LBB506_849:                            ;   in Loop: Header=BB506_796 Depth=1
	s_or_b64 exec, exec, s[18:19]
.LBB506_850:                            ;   in Loop: Header=BB506_796 Depth=1
	s_or_b64 exec, exec, s[16:17]
	v_lshrrev_b16_e32 v8, 8, v6
	v_cmp_ne_u16_e32 vcc, 0, v8
	v_mov_b32_e32 v14, 0
	v_mov_b32_e32 v15, 0
	s_and_saveexec_b64 s[16:17], vcc
	s_cbranch_execz .LBB506_856
; %bb.851:                              ;   in Loop: Header=BB506_796 Depth=1
	v_cmp_ne_u16_e32 vcc, s5, v8
	v_bfrev_b32_e32 v15, 1
	s_and_saveexec_b64 s[18:19], vcc
	s_cbranch_execz .LBB506_855
; %bb.852:                              ;   in Loop: Header=BB506_796 Depth=1
	v_and_b32_e32 v13, 0x7f, v8
	v_cmp_ne_u32_e32 vcc, s22, v13
	v_mov_b32_e32 v15, 0x7f800001
	s_and_saveexec_b64 s[20:21], vcc
	s_cbranch_execz .LBB506_854
; %bb.853:                              ;   in Loop: Header=BB506_796 Depth=1
	v_and_b32_e32 v15, 7, v8
	v_ffbh_u32_e32 v16, v15
	v_min_u32_e32 v19, 32, v16
	v_subrev_u32_e32 v16, 28, v19
	v_lshlrev_b64 v[16:17], v16, v[8:9]
	v_lshrrev_b32_e32 v18, 3, v13
	v_sub_u32_e32 v8, 29, v19
	v_and_b32_e32 v16, 7, v16
	v_cmp_gt_u32_e32 vcc, 8, v13
	v_cndmask_b32_e32 v8, v18, v8, vcc
	v_cndmask_b32_e32 v13, v15, v16, vcc
	v_lshlrev_b32_e32 v15, 16, v6
	v_lshlrev_b32_e32 v13, 20, v13
	v_and_b32_e32 v15, 0x80000000, v15
	v_lshl_add_u32 v8, v8, 23, v10
	v_or3_b32 v15, v15, v8, v13
.LBB506_854:                            ;   in Loop: Header=BB506_796 Depth=1
	s_or_b64 exec, exec, s[20:21]
.LBB506_855:                            ;   in Loop: Header=BB506_796 Depth=1
	s_or_b64 exec, exec, s[18:19]
.LBB506_856:                            ;   in Loop: Header=BB506_796 Depth=1
	s_or_b64 exec, exec, s[16:17]
	v_lshrrev_b32_e32 v8, 16, v6
	v_cmp_ne_u16_sdwa s[18:19], v8, v9 src0_sel:BYTE_0 src1_sel:DWORD
	s_and_saveexec_b64 s[16:17], s[18:19]
	s_cbranch_execz .LBB506_862
; %bb.857:                              ;   in Loop: Header=BB506_796 Depth=1
	v_cmp_ne_u16_sdwa s[20:21], v8, s5 src0_sel:BYTE_0 src1_sel:DWORD
	v_bfrev_b32_e32 v14, 1
	s_and_saveexec_b64 s[18:19], s[20:21]
	s_cbranch_execz .LBB506_861
; %bb.858:                              ;   in Loop: Header=BB506_796 Depth=1
	v_bfe_u32 v13, v6, 16, 7
	v_cmp_ne_u32_e32 vcc, s22, v13
	v_mov_b32_e32 v14, 0x7f800001
	s_and_saveexec_b64 s[20:21], vcc
	s_cbranch_execz .LBB506_860
; %bb.859:                              ;   in Loop: Header=BB506_796 Depth=1
	v_and_b32_e32 v14, 7, v8
	v_ffbh_u32_e32 v16, v14
	v_min_u32_e32 v19, 32, v16
	v_subrev_u32_e32 v16, 28, v19
	v_lshlrev_b64 v[16:17], v16, v[8:9]
	v_lshrrev_b32_e32 v18, 3, v13
	v_sub_u32_e32 v17, 29, v19
	v_and_b32_e32 v16, 7, v16
	v_cmp_gt_u32_e32 vcc, 8, v13
	v_cndmask_b32_e32 v13, v18, v17, vcc
	v_cndmask_b32_e32 v14, v14, v16, vcc
	v_lshlrev_b32_e32 v8, 24, v8
	v_lshlrev_b32_e32 v14, 20, v14
	v_and_b32_e32 v8, 0x80000000, v8
	v_lshl_add_u32 v13, v13, 23, v10
	v_or3_b32 v14, v8, v13, v14
.LBB506_860:                            ;   in Loop: Header=BB506_796 Depth=1
	s_or_b64 exec, exec, s[20:21]
.LBB506_861:                            ;   in Loop: Header=BB506_796 Depth=1
	s_or_b64 exec, exec, s[18:19]
.LBB506_862:                            ;   in Loop: Header=BB506_796 Depth=1
	s_or_b64 exec, exec, s[16:17]
	v_cmp_lt_u32_e32 vcc, s23, v6
	v_mov_b32_e32 v16, 0
	v_mov_b32_e32 v17, 0
	s_and_saveexec_b64 s[16:17], vcc
	s_cbranch_execz .LBB506_868
; %bb.863:                              ;   in Loop: Header=BB506_796 Depth=1
	v_lshrrev_b32_e32 v8, 24, v6
	v_cmp_ne_u32_e32 vcc, s5, v8
	v_bfrev_b32_e32 v17, 1
	s_and_saveexec_b64 s[18:19], vcc
	s_cbranch_execz .LBB506_867
; %bb.864:                              ;   in Loop: Header=BB506_796 Depth=1
	v_bfe_u32 v6, v6, 24, 7
	v_cmp_ne_u32_e32 vcc, s22, v6
	v_mov_b32_e32 v17, 0x7f800001
	s_and_saveexec_b64 s[20:21], vcc
	s_cbranch_execz .LBB506_866
; %bb.865:                              ;   in Loop: Header=BB506_796 Depth=1
	v_and_b32_e32 v13, 7, v8
	v_ffbh_u32_e32 v18, v13
	v_min_u32_e32 v20, 32, v18
	v_subrev_u32_e32 v18, 28, v20
	v_lshlrev_b64 v[18:19], v18, v[8:9]
	v_lshrrev_b32_e32 v17, 3, v6
	v_sub_u32_e32 v19, 29, v20
	v_and_b32_e32 v18, 7, v18
	v_cmp_gt_u32_e32 vcc, 8, v6
	v_cndmask_b32_e32 v6, v17, v19, vcc
	v_cndmask_b32_e32 v13, v13, v18, vcc
	v_lshlrev_b32_e32 v8, 24, v8
	v_lshlrev_b32_e32 v13, 20, v13
	v_and_b32_e32 v8, 0x80000000, v8
	v_lshl_add_u32 v6, v6, 23, v10
	v_or3_b32 v17, v8, v6, v13
.LBB506_866:                            ;   in Loop: Header=BB506_796 Depth=1
	s_or_b64 exec, exec, s[20:21]
.LBB506_867:                            ;   in Loop: Header=BB506_796 Depth=1
	s_or_b64 exec, exec, s[18:19]
.LBB506_868:                            ;   in Loop: Header=BB506_796 Depth=1
	s_or_b64 exec, exec, s[16:17]
	s_waitcnt vmcnt(0)
	v_cmp_ne_u16_sdwa s[18:19], v4, v9 src0_sel:BYTE_0 src1_sel:DWORD
	s_and_saveexec_b64 s[16:17], s[18:19]
	s_cbranch_execz .LBB506_874
; %bb.869:                              ;   in Loop: Header=BB506_796 Depth=1
	v_cmp_ne_u16_sdwa s[20:21], v4, s5 src0_sel:BYTE_0 src1_sel:DWORD
	v_bfrev_b32_e32 v16, 1
	s_and_saveexec_b64 s[18:19], s[20:21]
	s_cbranch_execz .LBB506_873
; %bb.870:                              ;   in Loop: Header=BB506_796 Depth=1
	v_and_b32_e32 v6, 0x7f, v4
	v_cmp_ne_u32_e32 vcc, s22, v6
	v_mov_b32_e32 v16, 0x7f800001
	s_and_saveexec_b64 s[20:21], vcc
	s_cbranch_execz .LBB506_872
; %bb.871:                              ;   in Loop: Header=BB506_796 Depth=1
	v_and_b32_e32 v8, 7, v4
	v_ffbh_u32_e32 v16, v8
	v_min_u32_e32 v16, 32, v16
	v_subrev_u32_e32 v18, 28, v16
	v_lshlrev_b64 v[18:19], v18, v[4:5]
	v_lshrrev_b32_e32 v13, 3, v6
	v_sub_u32_e32 v16, 29, v16
	v_and_b32_e32 v18, 7, v18
	v_cmp_gt_u32_e32 vcc, 8, v6
	v_cndmask_b32_e32 v6, v13, v16, vcc
	v_cndmask_b32_e32 v8, v8, v18, vcc
	v_lshlrev_b32_e32 v13, 24, v4
	v_lshlrev_b32_e32 v8, 20, v8
	v_and_b32_e32 v13, 0x80000000, v13
	v_lshl_add_u32 v6, v6, 23, v10
	v_or3_b32 v16, v13, v6, v8
.LBB506_872:                            ;   in Loop: Header=BB506_796 Depth=1
	s_or_b64 exec, exec, s[20:21]
.LBB506_873:                            ;   in Loop: Header=BB506_796 Depth=1
	s_or_b64 exec, exec, s[18:19]
.LBB506_874:                            ;   in Loop: Header=BB506_796 Depth=1
	s_or_b64 exec, exec, s[16:17]
	v_lshrrev_b16_e32 v6, 8, v4
	v_cmp_ne_u16_e32 vcc, 0, v6
	v_mov_b32_e32 v8, 0
	v_mov_b32_e32 v18, 0
	s_and_saveexec_b64 s[16:17], vcc
	s_cbranch_execz .LBB506_880
; %bb.875:                              ;   in Loop: Header=BB506_796 Depth=1
	v_cmp_ne_u16_e32 vcc, s5, v6
	v_bfrev_b32_e32 v18, 1
	s_and_saveexec_b64 s[18:19], vcc
	s_cbranch_execz .LBB506_879
; %bb.876:                              ;   in Loop: Header=BB506_796 Depth=1
	v_and_b32_e32 v13, 0x7f, v6
	v_cmp_ne_u32_e32 vcc, s22, v13
	v_mov_b32_e32 v18, 0x7f800001
	s_and_saveexec_b64 s[20:21], vcc
	s_cbranch_execz .LBB506_878
; %bb.877:                              ;   in Loop: Header=BB506_796 Depth=1
	v_and_b32_e32 v20, 7, v6
	v_ffbh_u32_e32 v18, v20
	v_min_u32_e32 v22, 32, v18
	v_subrev_u32_e32 v18, 28, v22
	v_lshlrev_b64 v[18:19], v18, v[6:7]
	v_lshrrev_b32_e32 v21, 3, v13
	v_sub_u32_e32 v6, 29, v22
	v_and_b32_e32 v18, 7, v18
	v_cmp_gt_u32_e32 vcc, 8, v13
	v_cndmask_b32_e32 v6, v21, v6, vcc
	v_cndmask_b32_e32 v13, v20, v18, vcc
	v_lshlrev_b32_e32 v18, 16, v4
	v_lshlrev_b32_e32 v13, 20, v13
	v_and_b32_e32 v18, 0x80000000, v18
	v_lshl_add_u32 v6, v6, 23, v10
	v_or3_b32 v18, v18, v6, v13
.LBB506_878:                            ;   in Loop: Header=BB506_796 Depth=1
	s_or_b64 exec, exec, s[20:21]
.LBB506_879:                            ;   in Loop: Header=BB506_796 Depth=1
	s_or_b64 exec, exec, s[18:19]
.LBB506_880:                            ;   in Loop: Header=BB506_796 Depth=1
	s_or_b64 exec, exec, s[16:17]
	v_lshrrev_b32_e32 v6, 16, v4
	v_cmp_ne_u16_sdwa s[18:19], v6, v9 src0_sel:BYTE_0 src1_sel:DWORD
	s_and_saveexec_b64 s[16:17], s[18:19]
	s_cbranch_execz .LBB506_886
; %bb.881:                              ;   in Loop: Header=BB506_796 Depth=1
	v_cmp_ne_u16_sdwa s[20:21], v6, s5 src0_sel:BYTE_0 src1_sel:DWORD
	v_bfrev_b32_e32 v8, 1
	s_and_saveexec_b64 s[18:19], s[20:21]
	s_cbranch_execz .LBB506_885
; %bb.882:                              ;   in Loop: Header=BB506_796 Depth=1
	v_bfe_u32 v13, v4, 16, 7
	v_cmp_ne_u32_e32 vcc, s22, v13
	v_mov_b32_e32 v8, 0x7f800001
	s_and_saveexec_b64 s[20:21], vcc
	s_cbranch_execz .LBB506_884
; %bb.883:                              ;   in Loop: Header=BB506_796 Depth=1
	v_and_b32_e32 v8, 7, v6
	v_ffbh_u32_e32 v20, v8
	v_min_u32_e32 v22, 32, v20
	v_subrev_u32_e32 v20, 28, v22
	v_lshlrev_b64 v[20:21], v20, v[6:7]
	v_lshrrev_b32_e32 v19, 3, v13
	v_sub_u32_e32 v21, 29, v22
	v_and_b32_e32 v20, 7, v20
	v_cmp_gt_u32_e32 vcc, 8, v13
	v_cndmask_b32_e32 v13, v19, v21, vcc
	v_cndmask_b32_e32 v8, v8, v20, vcc
	v_lshlrev_b32_e32 v6, 24, v6
	v_lshlrev_b32_e32 v8, 20, v8
	v_and_b32_e32 v6, 0x80000000, v6
	v_lshl_add_u32 v13, v13, 23, v10
	v_or3_b32 v8, v6, v13, v8
.LBB506_884:                            ;   in Loop: Header=BB506_796 Depth=1
	s_or_b64 exec, exec, s[20:21]
.LBB506_885:                            ;   in Loop: Header=BB506_796 Depth=1
	s_or_b64 exec, exec, s[18:19]
.LBB506_886:                            ;   in Loop: Header=BB506_796 Depth=1
	s_or_b64 exec, exec, s[16:17]
	v_cmp_lt_u32_e32 vcc, s23, v4
	v_mov_b32_e32 v13, 0
	v_mov_b32_e32 v19, 0
	s_and_saveexec_b64 s[16:17], vcc
	s_cbranch_execz .LBB506_892
; %bb.887:                              ;   in Loop: Header=BB506_796 Depth=1
	v_lshrrev_b32_e32 v6, 24, v4
	v_cmp_ne_u32_e32 vcc, s5, v6
	v_bfrev_b32_e32 v19, 1
	s_and_saveexec_b64 s[18:19], vcc
	s_cbranch_execz .LBB506_891
; %bb.888:                              ;   in Loop: Header=BB506_796 Depth=1
	v_bfe_u32 v4, v4, 24, 7
	v_cmp_ne_u32_e32 vcc, s22, v4
	v_mov_b32_e32 v19, 0x7f800001
	s_and_saveexec_b64 s[20:21], vcc
	s_cbranch_execz .LBB506_890
; %bb.889:                              ;   in Loop: Header=BB506_796 Depth=1
	v_and_b32_e32 v19, 7, v6
	v_ffbh_u32_e32 v20, v19
	v_min_u32_e32 v23, 32, v20
	v_subrev_u32_e32 v20, 28, v23
	v_lshlrev_b64 v[20:21], v20, v[6:7]
	v_lshrrev_b32_e32 v22, 3, v4
	v_sub_u32_e32 v21, 29, v23
	v_and_b32_e32 v20, 7, v20
	v_cmp_gt_u32_e32 vcc, 8, v4
	v_cndmask_b32_e32 v4, v22, v21, vcc
	v_cndmask_b32_e32 v19, v19, v20, vcc
	v_lshlrev_b32_e32 v6, 24, v6
	v_lshlrev_b32_e32 v19, 20, v19
	v_and_b32_e32 v6, 0x80000000, v6
	v_lshl_add_u32 v4, v4, 23, v10
	v_or3_b32 v19, v6, v4, v19
.LBB506_890:                            ;   in Loop: Header=BB506_796 Depth=1
	s_or_b64 exec, exec, s[20:21]
.LBB506_891:                            ;   in Loop: Header=BB506_796 Depth=1
	s_or_b64 exec, exec, s[18:19]
.LBB506_892:                            ;   in Loop: Header=BB506_796 Depth=1
	s_or_b64 exec, exec, s[16:17]
	buffer_load_dword v6, v11, s[0:3], 0 offen offset:16
	buffer_load_dword v4, v11, s[0:3], 0 offen offset:20
	v_cvt_pkrtz_f16_f32 v20, v12, v15
	v_cvt_pkrtz_f16_f32 v21, v14, v17
	;; [unrolled: 1-line block ×4, first 2 shown]
	v_mfma_f32_4x4x4f16 a[0:3], v[2:3], v[20:21], a[0:3] cbsz:4 abid:2
	s_waitcnt vmcnt(1)
	v_cmp_ne_u16_sdwa s[18:19], v6, v9 src0_sel:BYTE_0 src1_sel:DWORD
	v_mfma_f32_4x4x4f16 a[0:3], v[2:3], v[14:15], a[0:3] cbsz:4 abid:3
	s_and_saveexec_b64 s[16:17], s[18:19]
	s_cbranch_execz .LBB506_898
; %bb.893:                              ;   in Loop: Header=BB506_796 Depth=1
	v_cmp_ne_u16_sdwa s[20:21], v6, s5 src0_sel:BYTE_0 src1_sel:DWORD
	v_bfrev_b32_e32 v13, 1
	s_and_saveexec_b64 s[18:19], s[20:21]
	s_cbranch_execz .LBB506_897
; %bb.894:                              ;   in Loop: Header=BB506_796 Depth=1
	v_and_b32_e32 v8, 0x7f, v6
	v_cmp_ne_u32_e32 vcc, s22, v8
	v_mov_b32_e32 v13, 0x7f800001
	s_and_saveexec_b64 s[20:21], vcc
	s_cbranch_execz .LBB506_896
; %bb.895:                              ;   in Loop: Header=BB506_796 Depth=1
	v_and_b32_e32 v14, 7, v6
	v_ffbh_u32_e32 v12, v14
	v_min_u32_e32 v16, 32, v12
	v_subrev_u32_e32 v12, 28, v16
	v_lshlrev_b64 v[12:13], v12, v[6:7]
	v_lshrrev_b32_e32 v15, 3, v8
	v_sub_u32_e32 v13, 29, v16
	v_and_b32_e32 v12, 7, v12
	v_cmp_gt_u32_e32 vcc, 8, v8
	v_cndmask_b32_e32 v8, v15, v13, vcc
	v_cndmask_b32_e32 v12, v14, v12, vcc
	v_lshlrev_b32_e32 v13, 24, v6
	v_lshlrev_b32_e32 v12, 20, v12
	v_and_b32_e32 v13, 0x80000000, v13
	v_lshl_add_u32 v8, v8, 23, v10
	v_or3_b32 v13, v13, v8, v12
.LBB506_896:                            ;   in Loop: Header=BB506_796 Depth=1
	s_or_b64 exec, exec, s[20:21]
.LBB506_897:                            ;   in Loop: Header=BB506_796 Depth=1
	s_or_b64 exec, exec, s[18:19]
.LBB506_898:                            ;   in Loop: Header=BB506_796 Depth=1
	s_or_b64 exec, exec, s[16:17]
	v_lshrrev_b16_e32 v8, 8, v6
	v_cmp_ne_u16_e32 vcc, 0, v8
	v_mov_b32_e32 v14, 0
	v_mov_b32_e32 v15, 0
	s_and_saveexec_b64 s[16:17], vcc
	s_cbranch_execz .LBB506_904
; %bb.899:                              ;   in Loop: Header=BB506_796 Depth=1
	v_cmp_ne_u16_e32 vcc, s5, v8
	v_bfrev_b32_e32 v15, 1
	s_and_saveexec_b64 s[18:19], vcc
	s_cbranch_execz .LBB506_903
; %bb.900:                              ;   in Loop: Header=BB506_796 Depth=1
	v_and_b32_e32 v12, 0x7f, v8
	v_cmp_ne_u32_e32 vcc, s22, v12
	v_mov_b32_e32 v15, 0x7f800001
	s_and_saveexec_b64 s[20:21], vcc
	s_cbranch_execz .LBB506_902
; %bb.901:                              ;   in Loop: Header=BB506_796 Depth=1
	v_and_b32_e32 v15, 7, v8
	v_ffbh_u32_e32 v16, v15
	v_min_u32_e32 v19, 32, v16
	v_subrev_u32_e32 v16, 28, v19
	v_lshlrev_b64 v[16:17], v16, v[8:9]
	v_lshrrev_b32_e32 v18, 3, v12
	v_sub_u32_e32 v8, 29, v19
	v_and_b32_e32 v16, 7, v16
	v_cmp_gt_u32_e32 vcc, 8, v12
	v_cndmask_b32_e32 v8, v18, v8, vcc
	v_cndmask_b32_e32 v12, v15, v16, vcc
	v_lshlrev_b32_e32 v15, 16, v6
	v_lshlrev_b32_e32 v12, 20, v12
	v_and_b32_e32 v15, 0x80000000, v15
	v_lshl_add_u32 v8, v8, 23, v10
	v_or3_b32 v15, v15, v8, v12
.LBB506_902:                            ;   in Loop: Header=BB506_796 Depth=1
	s_or_b64 exec, exec, s[20:21]
.LBB506_903:                            ;   in Loop: Header=BB506_796 Depth=1
	s_or_b64 exec, exec, s[18:19]
.LBB506_904:                            ;   in Loop: Header=BB506_796 Depth=1
	s_or_b64 exec, exec, s[16:17]
	v_lshrrev_b32_e32 v8, 16, v6
	v_cmp_ne_u16_sdwa s[18:19], v8, v9 src0_sel:BYTE_0 src1_sel:DWORD
	s_and_saveexec_b64 s[16:17], s[18:19]
	s_cbranch_execz .LBB506_910
; %bb.905:                              ;   in Loop: Header=BB506_796 Depth=1
	v_cmp_ne_u16_sdwa s[20:21], v8, s5 src0_sel:BYTE_0 src1_sel:DWORD
	v_bfrev_b32_e32 v14, 1
	s_and_saveexec_b64 s[18:19], s[20:21]
	s_cbranch_execz .LBB506_909
; %bb.906:                              ;   in Loop: Header=BB506_796 Depth=1
	v_bfe_u32 v12, v6, 16, 7
	v_cmp_ne_u32_e32 vcc, s22, v12
	v_mov_b32_e32 v14, 0x7f800001
	s_and_saveexec_b64 s[20:21], vcc
	s_cbranch_execz .LBB506_908
; %bb.907:                              ;   in Loop: Header=BB506_796 Depth=1
	v_and_b32_e32 v14, 7, v8
	v_ffbh_u32_e32 v16, v14
	v_min_u32_e32 v19, 32, v16
	v_subrev_u32_e32 v16, 28, v19
	v_lshlrev_b64 v[16:17], v16, v[8:9]
	v_lshrrev_b32_e32 v18, 3, v12
	v_sub_u32_e32 v17, 29, v19
	v_and_b32_e32 v16, 7, v16
	v_cmp_gt_u32_e32 vcc, 8, v12
	v_cndmask_b32_e32 v12, v18, v17, vcc
	v_cndmask_b32_e32 v14, v14, v16, vcc
	v_lshlrev_b32_e32 v8, 24, v8
	v_lshlrev_b32_e32 v14, 20, v14
	v_and_b32_e32 v8, 0x80000000, v8
	v_lshl_add_u32 v12, v12, 23, v10
	v_or3_b32 v14, v8, v12, v14
.LBB506_908:                            ;   in Loop: Header=BB506_796 Depth=1
	s_or_b64 exec, exec, s[20:21]
.LBB506_909:                            ;   in Loop: Header=BB506_796 Depth=1
	s_or_b64 exec, exec, s[18:19]
.LBB506_910:                            ;   in Loop: Header=BB506_796 Depth=1
	s_or_b64 exec, exec, s[16:17]
	v_cmp_lt_u32_e32 vcc, s23, v6
	v_mov_b32_e32 v16, 0
	v_mov_b32_e32 v17, 0
	s_and_saveexec_b64 s[16:17], vcc
	s_cbranch_execz .LBB506_916
; %bb.911:                              ;   in Loop: Header=BB506_796 Depth=1
	v_lshrrev_b32_e32 v8, 24, v6
	v_cmp_ne_u32_e32 vcc, s5, v8
	v_bfrev_b32_e32 v17, 1
	s_and_saveexec_b64 s[18:19], vcc
	s_cbranch_execz .LBB506_915
; %bb.912:                              ;   in Loop: Header=BB506_796 Depth=1
	v_bfe_u32 v6, v6, 24, 7
	v_cmp_ne_u32_e32 vcc, s22, v6
	v_mov_b32_e32 v17, 0x7f800001
	s_and_saveexec_b64 s[20:21], vcc
	s_cbranch_execz .LBB506_914
; %bb.913:                              ;   in Loop: Header=BB506_796 Depth=1
	v_and_b32_e32 v12, 7, v8
	v_ffbh_u32_e32 v18, v12
	v_min_u32_e32 v20, 32, v18
	v_subrev_u32_e32 v18, 28, v20
	v_lshlrev_b64 v[18:19], v18, v[8:9]
	v_lshrrev_b32_e32 v17, 3, v6
	v_sub_u32_e32 v19, 29, v20
	v_and_b32_e32 v18, 7, v18
	v_cmp_gt_u32_e32 vcc, 8, v6
	v_cndmask_b32_e32 v6, v17, v19, vcc
	v_cndmask_b32_e32 v12, v12, v18, vcc
	v_lshlrev_b32_e32 v8, 24, v8
	v_lshlrev_b32_e32 v12, 20, v12
	v_and_b32_e32 v8, 0x80000000, v8
	v_lshl_add_u32 v6, v6, 23, v10
	v_or3_b32 v17, v8, v6, v12
.LBB506_914:                            ;   in Loop: Header=BB506_796 Depth=1
	s_or_b64 exec, exec, s[20:21]
.LBB506_915:                            ;   in Loop: Header=BB506_796 Depth=1
	s_or_b64 exec, exec, s[18:19]
.LBB506_916:                            ;   in Loop: Header=BB506_796 Depth=1
	s_or_b64 exec, exec, s[16:17]
	s_waitcnt vmcnt(0)
	v_cmp_ne_u16_sdwa s[18:19], v4, v9 src0_sel:BYTE_0 src1_sel:DWORD
	s_and_saveexec_b64 s[16:17], s[18:19]
	s_cbranch_execz .LBB506_922
; %bb.917:                              ;   in Loop: Header=BB506_796 Depth=1
	v_cmp_ne_u16_sdwa s[20:21], v4, s5 src0_sel:BYTE_0 src1_sel:DWORD
	v_bfrev_b32_e32 v16, 1
	s_and_saveexec_b64 s[18:19], s[20:21]
	s_cbranch_execz .LBB506_921
; %bb.918:                              ;   in Loop: Header=BB506_796 Depth=1
	v_and_b32_e32 v6, 0x7f, v4
	v_cmp_ne_u32_e32 vcc, s22, v6
	v_mov_b32_e32 v16, 0x7f800001
	s_and_saveexec_b64 s[20:21], vcc
	s_cbranch_execz .LBB506_920
; %bb.919:                              ;   in Loop: Header=BB506_796 Depth=1
	v_and_b32_e32 v8, 7, v4
	v_ffbh_u32_e32 v16, v8
	v_min_u32_e32 v16, 32, v16
	v_subrev_u32_e32 v18, 28, v16
	v_lshlrev_b64 v[18:19], v18, v[4:5]
	v_lshrrev_b32_e32 v12, 3, v6
	v_sub_u32_e32 v16, 29, v16
	v_and_b32_e32 v18, 7, v18
	v_cmp_gt_u32_e32 vcc, 8, v6
	v_cndmask_b32_e32 v6, v12, v16, vcc
	v_cndmask_b32_e32 v8, v8, v18, vcc
	v_lshlrev_b32_e32 v12, 24, v4
	v_lshlrev_b32_e32 v8, 20, v8
	v_and_b32_e32 v12, 0x80000000, v12
	v_lshl_add_u32 v6, v6, 23, v10
	v_or3_b32 v16, v12, v6, v8
.LBB506_920:                            ;   in Loop: Header=BB506_796 Depth=1
	s_or_b64 exec, exec, s[20:21]
.LBB506_921:                            ;   in Loop: Header=BB506_796 Depth=1
	s_or_b64 exec, exec, s[18:19]
.LBB506_922:                            ;   in Loop: Header=BB506_796 Depth=1
	s_or_b64 exec, exec, s[16:17]
	v_lshrrev_b16_e32 v6, 8, v4
	v_cmp_ne_u16_e32 vcc, 0, v6
	v_mov_b32_e32 v8, 0
	v_mov_b32_e32 v18, 0
	s_and_saveexec_b64 s[16:17], vcc
	s_cbranch_execz .LBB506_928
; %bb.923:                              ;   in Loop: Header=BB506_796 Depth=1
	v_cmp_ne_u16_e32 vcc, s5, v6
	v_bfrev_b32_e32 v18, 1
	s_and_saveexec_b64 s[18:19], vcc
	s_cbranch_execz .LBB506_927
; %bb.924:                              ;   in Loop: Header=BB506_796 Depth=1
	v_and_b32_e32 v12, 0x7f, v6
	v_cmp_ne_u32_e32 vcc, s22, v12
	v_mov_b32_e32 v18, 0x7f800001
	s_and_saveexec_b64 s[20:21], vcc
	s_cbranch_execz .LBB506_926
; %bb.925:                              ;   in Loop: Header=BB506_796 Depth=1
	v_and_b32_e32 v20, 7, v6
	v_ffbh_u32_e32 v18, v20
	v_min_u32_e32 v22, 32, v18
	v_subrev_u32_e32 v18, 28, v22
	v_lshlrev_b64 v[18:19], v18, v[6:7]
	v_lshrrev_b32_e32 v21, 3, v12
	v_sub_u32_e32 v6, 29, v22
	v_and_b32_e32 v18, 7, v18
	v_cmp_gt_u32_e32 vcc, 8, v12
	v_cndmask_b32_e32 v6, v21, v6, vcc
	v_cndmask_b32_e32 v12, v20, v18, vcc
	v_lshlrev_b32_e32 v18, 16, v4
	v_lshlrev_b32_e32 v12, 20, v12
	v_and_b32_e32 v18, 0x80000000, v18
	v_lshl_add_u32 v6, v6, 23, v10
	v_or3_b32 v18, v18, v6, v12
.LBB506_926:                            ;   in Loop: Header=BB506_796 Depth=1
	s_or_b64 exec, exec, s[20:21]
.LBB506_927:                            ;   in Loop: Header=BB506_796 Depth=1
	s_or_b64 exec, exec, s[18:19]
.LBB506_928:                            ;   in Loop: Header=BB506_796 Depth=1
	s_or_b64 exec, exec, s[16:17]
	v_lshrrev_b32_e32 v6, 16, v4
	v_cmp_ne_u16_sdwa s[18:19], v6, v9 src0_sel:BYTE_0 src1_sel:DWORD
	s_and_saveexec_b64 s[16:17], s[18:19]
	s_cbranch_execz .LBB506_934
; %bb.929:                              ;   in Loop: Header=BB506_796 Depth=1
	v_cmp_ne_u16_sdwa s[20:21], v6, s5 src0_sel:BYTE_0 src1_sel:DWORD
	v_bfrev_b32_e32 v8, 1
	s_and_saveexec_b64 s[18:19], s[20:21]
	s_cbranch_execz .LBB506_933
; %bb.930:                              ;   in Loop: Header=BB506_796 Depth=1
	v_bfe_u32 v12, v4, 16, 7
	v_cmp_ne_u32_e32 vcc, s22, v12
	v_mov_b32_e32 v8, 0x7f800001
	s_and_saveexec_b64 s[20:21], vcc
	s_cbranch_execz .LBB506_932
; %bb.931:                              ;   in Loop: Header=BB506_796 Depth=1
	v_and_b32_e32 v8, 7, v6
	v_ffbh_u32_e32 v20, v8
	v_min_u32_e32 v22, 32, v20
	v_subrev_u32_e32 v20, 28, v22
	v_lshlrev_b64 v[20:21], v20, v[6:7]
	v_lshrrev_b32_e32 v19, 3, v12
	v_sub_u32_e32 v21, 29, v22
	v_and_b32_e32 v20, 7, v20
	v_cmp_gt_u32_e32 vcc, 8, v12
	v_cndmask_b32_e32 v12, v19, v21, vcc
	v_cndmask_b32_e32 v8, v8, v20, vcc
	v_lshlrev_b32_e32 v6, 24, v6
	v_lshlrev_b32_e32 v8, 20, v8
	v_and_b32_e32 v6, 0x80000000, v6
	v_lshl_add_u32 v12, v12, 23, v10
	v_or3_b32 v8, v6, v12, v8
.LBB506_932:                            ;   in Loop: Header=BB506_796 Depth=1
	s_or_b64 exec, exec, s[20:21]
.LBB506_933:                            ;   in Loop: Header=BB506_796 Depth=1
	s_or_b64 exec, exec, s[18:19]
.LBB506_934:                            ;   in Loop: Header=BB506_796 Depth=1
	s_or_b64 exec, exec, s[16:17]
	v_cmp_lt_u32_e32 vcc, s23, v4
	v_mov_b32_e32 v12, 0
	v_mov_b32_e32 v19, 0
	s_and_saveexec_b64 s[16:17], vcc
	s_cbranch_execz .LBB506_940
; %bb.935:                              ;   in Loop: Header=BB506_796 Depth=1
	v_lshrrev_b32_e32 v6, 24, v4
	v_cmp_ne_u32_e32 vcc, s5, v6
	v_bfrev_b32_e32 v19, 1
	s_and_saveexec_b64 s[18:19], vcc
	s_cbranch_execz .LBB506_939
; %bb.936:                              ;   in Loop: Header=BB506_796 Depth=1
	v_bfe_u32 v4, v4, 24, 7
	v_cmp_ne_u32_e32 vcc, s22, v4
	v_mov_b32_e32 v19, 0x7f800001
	s_and_saveexec_b64 s[20:21], vcc
	s_cbranch_execz .LBB506_938
; %bb.937:                              ;   in Loop: Header=BB506_796 Depth=1
	v_and_b32_e32 v19, 7, v6
	v_ffbh_u32_e32 v20, v19
	v_min_u32_e32 v23, 32, v20
	v_subrev_u32_e32 v20, 28, v23
	v_lshlrev_b64 v[20:21], v20, v[6:7]
	v_lshrrev_b32_e32 v22, 3, v4
	v_sub_u32_e32 v21, 29, v23
	v_and_b32_e32 v20, 7, v20
	v_cmp_gt_u32_e32 vcc, 8, v4
	v_cndmask_b32_e32 v4, v22, v21, vcc
	v_cndmask_b32_e32 v19, v19, v20, vcc
	v_lshlrev_b32_e32 v6, 24, v6
	v_lshlrev_b32_e32 v19, 20, v19
	v_and_b32_e32 v6, 0x80000000, v6
	v_lshl_add_u32 v4, v4, 23, v10
	v_or3_b32 v19, v6, v4, v19
.LBB506_938:                            ;   in Loop: Header=BB506_796 Depth=1
	s_or_b64 exec, exec, s[20:21]
.LBB506_939:                            ;   in Loop: Header=BB506_796 Depth=1
	s_or_b64 exec, exec, s[18:19]
.LBB506_940:                            ;   in Loop: Header=BB506_796 Depth=1
	s_or_b64 exec, exec, s[16:17]
	buffer_load_dword v6, v11, s[0:3], 0 offen offset:24
	buffer_load_dword v4, v11, s[0:3], 0 offen offset:28
	v_cvt_pkrtz_f16_f32 v20, v13, v15
	v_cvt_pkrtz_f16_f32 v21, v14, v17
	;; [unrolled: 1-line block ×4, first 2 shown]
	v_mfma_f32_4x4x4f16 a[0:3], v[2:3], v[20:21], a[0:3] cbsz:4 abid:4
	s_waitcnt vmcnt(1)
	v_cmp_ne_u16_sdwa s[18:19], v6, v9 src0_sel:BYTE_0 src1_sel:DWORD
	v_mfma_f32_4x4x4f16 a[0:3], v[2:3], v[14:15], a[0:3] cbsz:4 abid:5
	s_and_saveexec_b64 s[16:17], s[18:19]
	s_cbranch_execz .LBB506_946
; %bb.941:                              ;   in Loop: Header=BB506_796 Depth=1
	v_cmp_ne_u16_sdwa s[20:21], v6, s5 src0_sel:BYTE_0 src1_sel:DWORD
	v_bfrev_b32_e32 v12, 1
	s_and_saveexec_b64 s[18:19], s[20:21]
	s_cbranch_execz .LBB506_945
; %bb.942:                              ;   in Loop: Header=BB506_796 Depth=1
	v_and_b32_e32 v8, 0x7f, v6
	v_cmp_ne_u32_e32 vcc, s22, v8
	v_mov_b32_e32 v12, 0x7f800001
	s_and_saveexec_b64 s[20:21], vcc
	s_cbranch_execz .LBB506_944
; %bb.943:                              ;   in Loop: Header=BB506_796 Depth=1
	v_and_b32_e32 v14, 7, v6
	v_ffbh_u32_e32 v12, v14
	v_min_u32_e32 v16, 32, v12
	v_subrev_u32_e32 v12, 28, v16
	v_lshlrev_b64 v[12:13], v12, v[6:7]
	v_lshrrev_b32_e32 v15, 3, v8
	v_sub_u32_e32 v13, 29, v16
	v_and_b32_e32 v12, 7, v12
	v_cmp_gt_u32_e32 vcc, 8, v8
	v_cndmask_b32_e32 v8, v15, v13, vcc
	v_cndmask_b32_e32 v12, v14, v12, vcc
	v_lshlrev_b32_e32 v13, 24, v6
	v_lshlrev_b32_e32 v12, 20, v12
	v_and_b32_e32 v13, 0x80000000, v13
	v_lshl_add_u32 v8, v8, 23, v10
	v_or3_b32 v12, v13, v8, v12
.LBB506_944:                            ;   in Loop: Header=BB506_796 Depth=1
	s_or_b64 exec, exec, s[20:21]
.LBB506_945:                            ;   in Loop: Header=BB506_796 Depth=1
	s_or_b64 exec, exec, s[18:19]
.LBB506_946:                            ;   in Loop: Header=BB506_796 Depth=1
	s_or_b64 exec, exec, s[16:17]
	v_lshrrev_b16_e32 v8, 8, v6
	v_cmp_ne_u16_e32 vcc, 0, v8
	v_mov_b32_e32 v14, 0
	v_mov_b32_e32 v15, 0
	s_and_saveexec_b64 s[16:17], vcc
	s_cbranch_execz .LBB506_952
; %bb.947:                              ;   in Loop: Header=BB506_796 Depth=1
	v_cmp_ne_u16_e32 vcc, s5, v8
	v_bfrev_b32_e32 v15, 1
	s_and_saveexec_b64 s[18:19], vcc
	s_cbranch_execz .LBB506_951
; %bb.948:                              ;   in Loop: Header=BB506_796 Depth=1
	v_and_b32_e32 v13, 0x7f, v8
	v_cmp_ne_u32_e32 vcc, s22, v13
	v_mov_b32_e32 v15, 0x7f800001
	s_and_saveexec_b64 s[20:21], vcc
	s_cbranch_execz .LBB506_950
; %bb.949:                              ;   in Loop: Header=BB506_796 Depth=1
	v_and_b32_e32 v15, 7, v8
	v_ffbh_u32_e32 v16, v15
	v_min_u32_e32 v19, 32, v16
	v_subrev_u32_e32 v16, 28, v19
	v_lshlrev_b64 v[16:17], v16, v[8:9]
	v_lshrrev_b32_e32 v18, 3, v13
	v_sub_u32_e32 v8, 29, v19
	v_and_b32_e32 v16, 7, v16
	v_cmp_gt_u32_e32 vcc, 8, v13
	v_cndmask_b32_e32 v8, v18, v8, vcc
	v_cndmask_b32_e32 v13, v15, v16, vcc
	v_lshlrev_b32_e32 v15, 16, v6
	v_lshlrev_b32_e32 v13, 20, v13
	v_and_b32_e32 v15, 0x80000000, v15
	v_lshl_add_u32 v8, v8, 23, v10
	v_or3_b32 v15, v15, v8, v13
.LBB506_950:                            ;   in Loop: Header=BB506_796 Depth=1
	s_or_b64 exec, exec, s[20:21]
.LBB506_951:                            ;   in Loop: Header=BB506_796 Depth=1
	s_or_b64 exec, exec, s[18:19]
.LBB506_952:                            ;   in Loop: Header=BB506_796 Depth=1
	s_or_b64 exec, exec, s[16:17]
	v_lshrrev_b32_e32 v8, 16, v6
	v_cmp_ne_u16_sdwa s[18:19], v8, v9 src0_sel:BYTE_0 src1_sel:DWORD
	s_and_saveexec_b64 s[16:17], s[18:19]
	s_cbranch_execz .LBB506_958
; %bb.953:                              ;   in Loop: Header=BB506_796 Depth=1
	v_cmp_ne_u16_sdwa s[20:21], v8, s5 src0_sel:BYTE_0 src1_sel:DWORD
	v_bfrev_b32_e32 v14, 1
	s_and_saveexec_b64 s[18:19], s[20:21]
	s_cbranch_execz .LBB506_957
; %bb.954:                              ;   in Loop: Header=BB506_796 Depth=1
	v_bfe_u32 v13, v6, 16, 7
	v_cmp_ne_u32_e32 vcc, s22, v13
	v_mov_b32_e32 v14, 0x7f800001
	s_and_saveexec_b64 s[20:21], vcc
	s_cbranch_execz .LBB506_956
; %bb.955:                              ;   in Loop: Header=BB506_796 Depth=1
	v_and_b32_e32 v14, 7, v8
	v_ffbh_u32_e32 v16, v14
	v_min_u32_e32 v19, 32, v16
	v_subrev_u32_e32 v16, 28, v19
	v_lshlrev_b64 v[16:17], v16, v[8:9]
	v_lshrrev_b32_e32 v18, 3, v13
	v_sub_u32_e32 v17, 29, v19
	v_and_b32_e32 v16, 7, v16
	v_cmp_gt_u32_e32 vcc, 8, v13
	v_cndmask_b32_e32 v13, v18, v17, vcc
	v_cndmask_b32_e32 v14, v14, v16, vcc
	v_lshlrev_b32_e32 v8, 24, v8
	v_lshlrev_b32_e32 v14, 20, v14
	v_and_b32_e32 v8, 0x80000000, v8
	v_lshl_add_u32 v13, v13, 23, v10
	v_or3_b32 v14, v8, v13, v14
.LBB506_956:                            ;   in Loop: Header=BB506_796 Depth=1
	s_or_b64 exec, exec, s[20:21]
.LBB506_957:                            ;   in Loop: Header=BB506_796 Depth=1
	s_or_b64 exec, exec, s[18:19]
.LBB506_958:                            ;   in Loop: Header=BB506_796 Depth=1
	s_or_b64 exec, exec, s[16:17]
	v_cmp_lt_u32_e32 vcc, s23, v6
	v_mov_b32_e32 v16, 0
	v_mov_b32_e32 v17, 0
	s_and_saveexec_b64 s[16:17], vcc
	s_cbranch_execz .LBB506_964
; %bb.959:                              ;   in Loop: Header=BB506_796 Depth=1
	v_lshrrev_b32_e32 v8, 24, v6
	v_cmp_ne_u32_e32 vcc, s5, v8
	v_bfrev_b32_e32 v17, 1
	s_and_saveexec_b64 s[18:19], vcc
	s_cbranch_execz .LBB506_963
; %bb.960:                              ;   in Loop: Header=BB506_796 Depth=1
	v_bfe_u32 v6, v6, 24, 7
	v_cmp_ne_u32_e32 vcc, s22, v6
	v_mov_b32_e32 v17, 0x7f800001
	s_and_saveexec_b64 s[20:21], vcc
	s_cbranch_execz .LBB506_962
; %bb.961:                              ;   in Loop: Header=BB506_796 Depth=1
	v_and_b32_e32 v13, 7, v8
	v_ffbh_u32_e32 v18, v13
	v_min_u32_e32 v20, 32, v18
	v_subrev_u32_e32 v18, 28, v20
	v_lshlrev_b64 v[18:19], v18, v[8:9]
	v_lshrrev_b32_e32 v17, 3, v6
	v_sub_u32_e32 v19, 29, v20
	v_and_b32_e32 v18, 7, v18
	v_cmp_gt_u32_e32 vcc, 8, v6
	v_cndmask_b32_e32 v6, v17, v19, vcc
	v_cndmask_b32_e32 v13, v13, v18, vcc
	v_lshlrev_b32_e32 v8, 24, v8
	v_lshlrev_b32_e32 v13, 20, v13
	v_and_b32_e32 v8, 0x80000000, v8
	v_lshl_add_u32 v6, v6, 23, v10
	v_or3_b32 v17, v8, v6, v13
.LBB506_962:                            ;   in Loop: Header=BB506_796 Depth=1
	s_or_b64 exec, exec, s[20:21]
.LBB506_963:                            ;   in Loop: Header=BB506_796 Depth=1
	s_or_b64 exec, exec, s[18:19]
.LBB506_964:                            ;   in Loop: Header=BB506_796 Depth=1
	s_or_b64 exec, exec, s[16:17]
	s_waitcnt vmcnt(0)
	v_cmp_ne_u16_sdwa s[18:19], v4, v9 src0_sel:BYTE_0 src1_sel:DWORD
	s_and_saveexec_b64 s[16:17], s[18:19]
	s_cbranch_execz .LBB506_970
; %bb.965:                              ;   in Loop: Header=BB506_796 Depth=1
	v_cmp_ne_u16_sdwa s[20:21], v4, s5 src0_sel:BYTE_0 src1_sel:DWORD
	v_bfrev_b32_e32 v16, 1
	s_and_saveexec_b64 s[18:19], s[20:21]
	s_cbranch_execz .LBB506_969
; %bb.966:                              ;   in Loop: Header=BB506_796 Depth=1
	v_and_b32_e32 v6, 0x7f, v4
	v_cmp_ne_u32_e32 vcc, s22, v6
	v_mov_b32_e32 v16, 0x7f800001
	s_and_saveexec_b64 s[20:21], vcc
	s_cbranch_execz .LBB506_968
; %bb.967:                              ;   in Loop: Header=BB506_796 Depth=1
	v_and_b32_e32 v8, 7, v4
	v_ffbh_u32_e32 v16, v8
	v_min_u32_e32 v16, 32, v16
	v_subrev_u32_e32 v18, 28, v16
	v_lshlrev_b64 v[18:19], v18, v[4:5]
	v_lshrrev_b32_e32 v13, 3, v6
	v_sub_u32_e32 v16, 29, v16
	v_and_b32_e32 v18, 7, v18
	v_cmp_gt_u32_e32 vcc, 8, v6
	v_cndmask_b32_e32 v6, v13, v16, vcc
	v_cndmask_b32_e32 v8, v8, v18, vcc
	v_lshlrev_b32_e32 v13, 24, v4
	v_lshlrev_b32_e32 v8, 20, v8
	v_and_b32_e32 v13, 0x80000000, v13
	v_lshl_add_u32 v6, v6, 23, v10
	v_or3_b32 v16, v13, v6, v8
.LBB506_968:                            ;   in Loop: Header=BB506_796 Depth=1
	s_or_b64 exec, exec, s[20:21]
.LBB506_969:                            ;   in Loop: Header=BB506_796 Depth=1
	s_or_b64 exec, exec, s[18:19]
.LBB506_970:                            ;   in Loop: Header=BB506_796 Depth=1
	s_or_b64 exec, exec, s[16:17]
	v_lshrrev_b16_e32 v6, 8, v4
	v_cmp_ne_u16_e32 vcc, 0, v6
	v_mov_b32_e32 v8, 0
	v_mov_b32_e32 v18, 0
	s_and_saveexec_b64 s[16:17], vcc
	s_cbranch_execz .LBB506_976
; %bb.971:                              ;   in Loop: Header=BB506_796 Depth=1
	v_cmp_ne_u16_e32 vcc, s5, v6
	v_bfrev_b32_e32 v18, 1
	s_and_saveexec_b64 s[18:19], vcc
	s_cbranch_execz .LBB506_975
; %bb.972:                              ;   in Loop: Header=BB506_796 Depth=1
	v_and_b32_e32 v13, 0x7f, v6
	v_cmp_ne_u32_e32 vcc, s22, v13
	v_mov_b32_e32 v18, 0x7f800001
	s_and_saveexec_b64 s[20:21], vcc
	s_cbranch_execz .LBB506_974
; %bb.973:                              ;   in Loop: Header=BB506_796 Depth=1
	v_and_b32_e32 v20, 7, v6
	v_ffbh_u32_e32 v18, v20
	v_min_u32_e32 v22, 32, v18
	v_subrev_u32_e32 v18, 28, v22
	v_lshlrev_b64 v[18:19], v18, v[6:7]
	v_lshrrev_b32_e32 v21, 3, v13
	v_sub_u32_e32 v6, 29, v22
	v_and_b32_e32 v18, 7, v18
	v_cmp_gt_u32_e32 vcc, 8, v13
	v_cndmask_b32_e32 v6, v21, v6, vcc
	v_cndmask_b32_e32 v13, v20, v18, vcc
	v_lshlrev_b32_e32 v18, 16, v4
	v_lshlrev_b32_e32 v13, 20, v13
	v_and_b32_e32 v18, 0x80000000, v18
	v_lshl_add_u32 v6, v6, 23, v10
	v_or3_b32 v18, v18, v6, v13
.LBB506_974:                            ;   in Loop: Header=BB506_796 Depth=1
	s_or_b64 exec, exec, s[20:21]
.LBB506_975:                            ;   in Loop: Header=BB506_796 Depth=1
	s_or_b64 exec, exec, s[18:19]
.LBB506_976:                            ;   in Loop: Header=BB506_796 Depth=1
	s_or_b64 exec, exec, s[16:17]
	v_lshrrev_b32_e32 v6, 16, v4
	v_cmp_ne_u16_sdwa s[18:19], v6, v9 src0_sel:BYTE_0 src1_sel:DWORD
	s_and_saveexec_b64 s[16:17], s[18:19]
	s_cbranch_execz .LBB506_982
; %bb.977:                              ;   in Loop: Header=BB506_796 Depth=1
	v_cmp_ne_u16_sdwa s[20:21], v6, s5 src0_sel:BYTE_0 src1_sel:DWORD
	v_bfrev_b32_e32 v8, 1
	s_and_saveexec_b64 s[18:19], s[20:21]
	s_cbranch_execz .LBB506_981
; %bb.978:                              ;   in Loop: Header=BB506_796 Depth=1
	v_bfe_u32 v13, v4, 16, 7
	v_cmp_ne_u32_e32 vcc, s22, v13
	v_mov_b32_e32 v8, 0x7f800001
	s_and_saveexec_b64 s[20:21], vcc
	s_cbranch_execz .LBB506_980
; %bb.979:                              ;   in Loop: Header=BB506_796 Depth=1
	v_and_b32_e32 v8, 7, v6
	v_ffbh_u32_e32 v20, v8
	v_min_u32_e32 v22, 32, v20
	v_subrev_u32_e32 v20, 28, v22
	v_lshlrev_b64 v[20:21], v20, v[6:7]
	v_lshrrev_b32_e32 v19, 3, v13
	v_sub_u32_e32 v21, 29, v22
	v_and_b32_e32 v20, 7, v20
	v_cmp_gt_u32_e32 vcc, 8, v13
	v_cndmask_b32_e32 v13, v19, v21, vcc
	v_cndmask_b32_e32 v8, v8, v20, vcc
	v_lshlrev_b32_e32 v6, 24, v6
	v_lshlrev_b32_e32 v8, 20, v8
	v_and_b32_e32 v6, 0x80000000, v6
	v_lshl_add_u32 v13, v13, 23, v10
	v_or3_b32 v8, v6, v13, v8
.LBB506_980:                            ;   in Loop: Header=BB506_796 Depth=1
	s_or_b64 exec, exec, s[20:21]
.LBB506_981:                            ;   in Loop: Header=BB506_796 Depth=1
	s_or_b64 exec, exec, s[18:19]
.LBB506_982:                            ;   in Loop: Header=BB506_796 Depth=1
	s_or_b64 exec, exec, s[16:17]
	v_cmp_lt_u32_e32 vcc, s23, v4
	v_mov_b32_e32 v13, 0
	v_mov_b32_e32 v19, 0
	s_and_saveexec_b64 s[16:17], vcc
	s_cbranch_execz .LBB506_988
; %bb.983:                              ;   in Loop: Header=BB506_796 Depth=1
	v_lshrrev_b32_e32 v6, 24, v4
	v_cmp_ne_u32_e32 vcc, s5, v6
	v_bfrev_b32_e32 v19, 1
	s_and_saveexec_b64 s[18:19], vcc
	s_cbranch_execz .LBB506_987
; %bb.984:                              ;   in Loop: Header=BB506_796 Depth=1
	v_bfe_u32 v4, v4, 24, 7
	v_cmp_ne_u32_e32 vcc, s22, v4
	v_mov_b32_e32 v19, 0x7f800001
	s_and_saveexec_b64 s[20:21], vcc
	s_cbranch_execz .LBB506_986
; %bb.985:                              ;   in Loop: Header=BB506_796 Depth=1
	v_and_b32_e32 v19, 7, v6
	v_ffbh_u32_e32 v20, v19
	v_min_u32_e32 v23, 32, v20
	v_subrev_u32_e32 v20, 28, v23
	v_lshlrev_b64 v[20:21], v20, v[6:7]
	v_lshrrev_b32_e32 v22, 3, v4
	v_sub_u32_e32 v21, 29, v23
	v_and_b32_e32 v20, 7, v20
	v_cmp_gt_u32_e32 vcc, 8, v4
	v_cndmask_b32_e32 v4, v22, v21, vcc
	v_cndmask_b32_e32 v19, v19, v20, vcc
	v_lshlrev_b32_e32 v6, 24, v6
	v_lshlrev_b32_e32 v19, 20, v19
	v_and_b32_e32 v6, 0x80000000, v6
	v_lshl_add_u32 v4, v4, 23, v10
	v_or3_b32 v19, v6, v4, v19
.LBB506_986:                            ;   in Loop: Header=BB506_796 Depth=1
	s_or_b64 exec, exec, s[20:21]
.LBB506_987:                            ;   in Loop: Header=BB506_796 Depth=1
	s_or_b64 exec, exec, s[18:19]
.LBB506_988:                            ;   in Loop: Header=BB506_796 Depth=1
	s_or_b64 exec, exec, s[16:17]
	buffer_load_dword v6, v11, s[0:3], 0 offen offset:32
	buffer_load_dword v4, v11, s[0:3], 0 offen offset:36
	v_cvt_pkrtz_f16_f32 v20, v12, v15
	v_cvt_pkrtz_f16_f32 v21, v14, v17
	;; [unrolled: 1-line block ×4, first 2 shown]
	v_mfma_f32_4x4x4f16 a[0:3], v[2:3], v[20:21], a[0:3] cbsz:4 abid:6
	s_waitcnt vmcnt(1)
	v_cmp_ne_u16_sdwa s[18:19], v6, v9 src0_sel:BYTE_0 src1_sel:DWORD
	v_mfma_f32_4x4x4f16 a[0:3], v[2:3], v[14:15], a[0:3] cbsz:4 abid:7
	s_and_saveexec_b64 s[16:17], s[18:19]
	s_cbranch_execz .LBB506_994
; %bb.989:                              ;   in Loop: Header=BB506_796 Depth=1
	v_cmp_ne_u16_sdwa s[20:21], v6, s5 src0_sel:BYTE_0 src1_sel:DWORD
	v_bfrev_b32_e32 v13, 1
	s_and_saveexec_b64 s[18:19], s[20:21]
	s_cbranch_execz .LBB506_993
; %bb.990:                              ;   in Loop: Header=BB506_796 Depth=1
	v_and_b32_e32 v8, 0x7f, v6
	v_cmp_ne_u32_e32 vcc, s22, v8
	v_mov_b32_e32 v13, 0x7f800001
	s_and_saveexec_b64 s[20:21], vcc
	s_cbranch_execz .LBB506_992
; %bb.991:                              ;   in Loop: Header=BB506_796 Depth=1
	v_and_b32_e32 v14, 7, v6
	v_ffbh_u32_e32 v12, v14
	v_min_u32_e32 v16, 32, v12
	v_subrev_u32_e32 v12, 28, v16
	v_lshlrev_b64 v[12:13], v12, v[6:7]
	v_lshrrev_b32_e32 v15, 3, v8
	v_sub_u32_e32 v13, 29, v16
	v_and_b32_e32 v12, 7, v12
	v_cmp_gt_u32_e32 vcc, 8, v8
	v_cndmask_b32_e32 v8, v15, v13, vcc
	v_cndmask_b32_e32 v12, v14, v12, vcc
	v_lshlrev_b32_e32 v13, 24, v6
	v_lshlrev_b32_e32 v12, 20, v12
	v_and_b32_e32 v13, 0x80000000, v13
	v_lshl_add_u32 v8, v8, 23, v10
	v_or3_b32 v13, v13, v8, v12
.LBB506_992:                            ;   in Loop: Header=BB506_796 Depth=1
	s_or_b64 exec, exec, s[20:21]
.LBB506_993:                            ;   in Loop: Header=BB506_796 Depth=1
	s_or_b64 exec, exec, s[18:19]
.LBB506_994:                            ;   in Loop: Header=BB506_796 Depth=1
	s_or_b64 exec, exec, s[16:17]
	v_lshrrev_b16_e32 v8, 8, v6
	v_cmp_ne_u16_e32 vcc, 0, v8
	v_mov_b32_e32 v12, 0
	v_mov_b32_e32 v15, 0
	s_and_saveexec_b64 s[16:17], vcc
	s_cbranch_execz .LBB506_1000
; %bb.995:                              ;   in Loop: Header=BB506_796 Depth=1
	v_cmp_ne_u16_e32 vcc, s5, v8
	v_bfrev_b32_e32 v15, 1
	s_and_saveexec_b64 s[18:19], vcc
	s_cbranch_execz .LBB506_999
; %bb.996:                              ;   in Loop: Header=BB506_796 Depth=1
	v_and_b32_e32 v14, 0x7f, v8
	v_cmp_ne_u32_e32 vcc, s22, v14
	v_mov_b32_e32 v15, 0x7f800001
	s_and_saveexec_b64 s[20:21], vcc
	s_cbranch_execz .LBB506_998
; %bb.997:                              ;   in Loop: Header=BB506_796 Depth=1
	v_and_b32_e32 v15, 7, v8
	v_ffbh_u32_e32 v16, v15
	v_min_u32_e32 v19, 32, v16
	v_subrev_u32_e32 v16, 28, v19
	v_lshlrev_b64 v[16:17], v16, v[8:9]
	v_lshrrev_b32_e32 v18, 3, v14
	v_sub_u32_e32 v8, 29, v19
	v_and_b32_e32 v16, 7, v16
	v_cmp_gt_u32_e32 vcc, 8, v14
	v_cndmask_b32_e32 v8, v18, v8, vcc
	v_cndmask_b32_e32 v14, v15, v16, vcc
	v_lshlrev_b32_e32 v15, 16, v6
	v_lshlrev_b32_e32 v14, 20, v14
	v_and_b32_e32 v15, 0x80000000, v15
	v_lshl_add_u32 v8, v8, 23, v10
	v_or3_b32 v15, v15, v8, v14
.LBB506_998:                            ;   in Loop: Header=BB506_796 Depth=1
	s_or_b64 exec, exec, s[20:21]
.LBB506_999:                            ;   in Loop: Header=BB506_796 Depth=1
	s_or_b64 exec, exec, s[18:19]
.LBB506_1000:                           ;   in Loop: Header=BB506_796 Depth=1
	s_or_b64 exec, exec, s[16:17]
	v_lshrrev_b32_e32 v8, 16, v6
	v_cmp_ne_u16_sdwa s[18:19], v8, v9 src0_sel:BYTE_0 src1_sel:DWORD
	s_and_saveexec_b64 s[16:17], s[18:19]
	s_cbranch_execz .LBB506_1006
; %bb.1001:                             ;   in Loop: Header=BB506_796 Depth=1
	v_cmp_ne_u16_sdwa s[20:21], v8, s5 src0_sel:BYTE_0 src1_sel:DWORD
	v_bfrev_b32_e32 v12, 1
	s_and_saveexec_b64 s[18:19], s[20:21]
	s_cbranch_execz .LBB506_1005
; %bb.1002:                             ;   in Loop: Header=BB506_796 Depth=1
	v_bfe_u32 v14, v6, 16, 7
	v_cmp_ne_u32_e32 vcc, s22, v14
	v_mov_b32_e32 v12, 0x7f800001
	s_and_saveexec_b64 s[20:21], vcc
	s_cbranch_execz .LBB506_1004
; %bb.1003:                             ;   in Loop: Header=BB506_796 Depth=1
	v_and_b32_e32 v12, 7, v8
	v_ffbh_u32_e32 v16, v12
	v_min_u32_e32 v19, 32, v16
	v_subrev_u32_e32 v16, 28, v19
	v_lshlrev_b64 v[16:17], v16, v[8:9]
	v_lshrrev_b32_e32 v18, 3, v14
	v_sub_u32_e32 v17, 29, v19
	v_and_b32_e32 v16, 7, v16
	v_cmp_gt_u32_e32 vcc, 8, v14
	v_cndmask_b32_e32 v14, v18, v17, vcc
	v_cndmask_b32_e32 v12, v12, v16, vcc
	v_lshlrev_b32_e32 v8, 24, v8
	v_lshlrev_b32_e32 v12, 20, v12
	v_and_b32_e32 v8, 0x80000000, v8
	v_lshl_add_u32 v14, v14, 23, v10
	v_or3_b32 v12, v8, v14, v12
.LBB506_1004:                           ;   in Loop: Header=BB506_796 Depth=1
	s_or_b64 exec, exec, s[20:21]
.LBB506_1005:                           ;   in Loop: Header=BB506_796 Depth=1
	s_or_b64 exec, exec, s[18:19]
.LBB506_1006:                           ;   in Loop: Header=BB506_796 Depth=1
	s_or_b64 exec, exec, s[16:17]
	v_cmp_lt_u32_e32 vcc, s23, v6
	v_mov_b32_e32 v16, 0
	v_mov_b32_e32 v17, 0
	s_and_saveexec_b64 s[16:17], vcc
	s_cbranch_execz .LBB506_1012
; %bb.1007:                             ;   in Loop: Header=BB506_796 Depth=1
	v_lshrrev_b32_e32 v8, 24, v6
	v_cmp_ne_u32_e32 vcc, s5, v8
	v_bfrev_b32_e32 v17, 1
	s_and_saveexec_b64 s[18:19], vcc
	s_cbranch_execz .LBB506_1011
; %bb.1008:                             ;   in Loop: Header=BB506_796 Depth=1
	v_bfe_u32 v6, v6, 24, 7
	v_cmp_ne_u32_e32 vcc, s22, v6
	v_mov_b32_e32 v17, 0x7f800001
	s_and_saveexec_b64 s[20:21], vcc
	s_cbranch_execz .LBB506_1010
; %bb.1009:                             ;   in Loop: Header=BB506_796 Depth=1
	v_and_b32_e32 v14, 7, v8
	v_ffbh_u32_e32 v18, v14
	v_min_u32_e32 v20, 32, v18
	v_subrev_u32_e32 v18, 28, v20
	v_lshlrev_b64 v[18:19], v18, v[8:9]
	v_lshrrev_b32_e32 v17, 3, v6
	v_sub_u32_e32 v19, 29, v20
	v_and_b32_e32 v18, 7, v18
	v_cmp_gt_u32_e32 vcc, 8, v6
	v_cndmask_b32_e32 v6, v17, v19, vcc
	v_cndmask_b32_e32 v14, v14, v18, vcc
	v_lshlrev_b32_e32 v8, 24, v8
	v_lshlrev_b32_e32 v14, 20, v14
	v_and_b32_e32 v8, 0x80000000, v8
	v_lshl_add_u32 v6, v6, 23, v10
	v_or3_b32 v17, v8, v6, v14
.LBB506_1010:                           ;   in Loop: Header=BB506_796 Depth=1
	s_or_b64 exec, exec, s[20:21]
.LBB506_1011:                           ;   in Loop: Header=BB506_796 Depth=1
	s_or_b64 exec, exec, s[18:19]
.LBB506_1012:                           ;   in Loop: Header=BB506_796 Depth=1
	s_or_b64 exec, exec, s[16:17]
	s_waitcnt vmcnt(0)
	v_cmp_ne_u16_sdwa s[18:19], v4, v9 src0_sel:BYTE_0 src1_sel:DWORD
	s_and_saveexec_b64 s[16:17], s[18:19]
	s_cbranch_execz .LBB506_1018
; %bb.1013:                             ;   in Loop: Header=BB506_796 Depth=1
	v_cmp_ne_u16_sdwa s[20:21], v4, s5 src0_sel:BYTE_0 src1_sel:DWORD
	v_bfrev_b32_e32 v16, 1
	s_and_saveexec_b64 s[18:19], s[20:21]
	s_cbranch_execz .LBB506_1017
; %bb.1014:                             ;   in Loop: Header=BB506_796 Depth=1
	v_and_b32_e32 v6, 0x7f, v4
	v_cmp_ne_u32_e32 vcc, s22, v6
	v_mov_b32_e32 v16, 0x7f800001
	s_and_saveexec_b64 s[20:21], vcc
	s_cbranch_execz .LBB506_1016
; %bb.1015:                             ;   in Loop: Header=BB506_796 Depth=1
	v_and_b32_e32 v8, 7, v4
	v_ffbh_u32_e32 v16, v8
	v_min_u32_e32 v16, 32, v16
	v_subrev_u32_e32 v18, 28, v16
	v_lshlrev_b64 v[18:19], v18, v[4:5]
	v_lshrrev_b32_e32 v14, 3, v6
	v_sub_u32_e32 v16, 29, v16
	v_and_b32_e32 v18, 7, v18
	v_cmp_gt_u32_e32 vcc, 8, v6
	v_cndmask_b32_e32 v6, v14, v16, vcc
	v_cndmask_b32_e32 v8, v8, v18, vcc
	v_lshlrev_b32_e32 v14, 24, v4
	v_lshlrev_b32_e32 v8, 20, v8
	v_and_b32_e32 v14, 0x80000000, v14
	v_lshl_add_u32 v6, v6, 23, v10
	v_or3_b32 v16, v14, v6, v8
.LBB506_1016:                           ;   in Loop: Header=BB506_796 Depth=1
	s_or_b64 exec, exec, s[20:21]
.LBB506_1017:                           ;   in Loop: Header=BB506_796 Depth=1
	s_or_b64 exec, exec, s[18:19]
.LBB506_1018:                           ;   in Loop: Header=BB506_796 Depth=1
	s_or_b64 exec, exec, s[16:17]
	v_lshrrev_b16_e32 v6, 8, v4
	v_cmp_ne_u16_e32 vcc, 0, v6
	v_mov_b32_e32 v8, 0
	v_mov_b32_e32 v18, 0
	s_and_saveexec_b64 s[16:17], vcc
	s_cbranch_execz .LBB506_1024
; %bb.1019:                             ;   in Loop: Header=BB506_796 Depth=1
	v_cmp_ne_u16_e32 vcc, s5, v6
	v_bfrev_b32_e32 v18, 1
	s_and_saveexec_b64 s[18:19], vcc
	s_cbranch_execz .LBB506_1023
; %bb.1020:                             ;   in Loop: Header=BB506_796 Depth=1
	v_and_b32_e32 v14, 0x7f, v6
	v_cmp_ne_u32_e32 vcc, s22, v14
	v_mov_b32_e32 v18, 0x7f800001
	s_and_saveexec_b64 s[20:21], vcc
	s_cbranch_execz .LBB506_1022
; %bb.1021:                             ;   in Loop: Header=BB506_796 Depth=1
	v_and_b32_e32 v20, 7, v6
	v_ffbh_u32_e32 v18, v20
	v_min_u32_e32 v22, 32, v18
	v_subrev_u32_e32 v18, 28, v22
	v_lshlrev_b64 v[18:19], v18, v[6:7]
	v_lshrrev_b32_e32 v21, 3, v14
	v_sub_u32_e32 v6, 29, v22
	v_and_b32_e32 v18, 7, v18
	v_cmp_gt_u32_e32 vcc, 8, v14
	v_cndmask_b32_e32 v6, v21, v6, vcc
	v_cndmask_b32_e32 v14, v20, v18, vcc
	v_lshlrev_b32_e32 v18, 16, v4
	v_lshlrev_b32_e32 v14, 20, v14
	v_and_b32_e32 v18, 0x80000000, v18
	v_lshl_add_u32 v6, v6, 23, v10
	v_or3_b32 v18, v18, v6, v14
.LBB506_1022:                           ;   in Loop: Header=BB506_796 Depth=1
	s_or_b64 exec, exec, s[20:21]
.LBB506_1023:                           ;   in Loop: Header=BB506_796 Depth=1
	s_or_b64 exec, exec, s[18:19]
.LBB506_1024:                           ;   in Loop: Header=BB506_796 Depth=1
	s_or_b64 exec, exec, s[16:17]
	v_lshrrev_b32_e32 v6, 16, v4
	v_cmp_ne_u16_sdwa s[18:19], v6, v9 src0_sel:BYTE_0 src1_sel:DWORD
	s_and_saveexec_b64 s[16:17], s[18:19]
	s_cbranch_execz .LBB506_1030
; %bb.1025:                             ;   in Loop: Header=BB506_796 Depth=1
	v_cmp_ne_u16_sdwa s[20:21], v6, s5 src0_sel:BYTE_0 src1_sel:DWORD
	v_bfrev_b32_e32 v8, 1
	s_and_saveexec_b64 s[18:19], s[20:21]
	s_cbranch_execz .LBB506_1029
; %bb.1026:                             ;   in Loop: Header=BB506_796 Depth=1
	v_bfe_u32 v14, v4, 16, 7
	v_cmp_ne_u32_e32 vcc, s22, v14
	v_mov_b32_e32 v8, 0x7f800001
	s_and_saveexec_b64 s[20:21], vcc
	s_cbranch_execz .LBB506_1028
; %bb.1027:                             ;   in Loop: Header=BB506_796 Depth=1
	v_and_b32_e32 v8, 7, v6
	v_ffbh_u32_e32 v20, v8
	v_min_u32_e32 v22, 32, v20
	v_subrev_u32_e32 v20, 28, v22
	v_lshlrev_b64 v[20:21], v20, v[6:7]
	v_lshrrev_b32_e32 v19, 3, v14
	v_sub_u32_e32 v21, 29, v22
	v_and_b32_e32 v20, 7, v20
	v_cmp_gt_u32_e32 vcc, 8, v14
	v_cndmask_b32_e32 v14, v19, v21, vcc
	v_cndmask_b32_e32 v8, v8, v20, vcc
	v_lshlrev_b32_e32 v6, 24, v6
	v_lshlrev_b32_e32 v8, 20, v8
	v_and_b32_e32 v6, 0x80000000, v6
	v_lshl_add_u32 v14, v14, 23, v10
	v_or3_b32 v8, v6, v14, v8
.LBB506_1028:                           ;   in Loop: Header=BB506_796 Depth=1
	s_or_b64 exec, exec, s[20:21]
.LBB506_1029:                           ;   in Loop: Header=BB506_796 Depth=1
	s_or_b64 exec, exec, s[18:19]
.LBB506_1030:                           ;   in Loop: Header=BB506_796 Depth=1
	s_or_b64 exec, exec, s[16:17]
	v_cmp_lt_u32_e32 vcc, s23, v4
	v_mov_b32_e32 v14, 0
	v_mov_b32_e32 v19, 0
	s_and_saveexec_b64 s[16:17], vcc
	s_cbranch_execz .LBB506_1036
; %bb.1031:                             ;   in Loop: Header=BB506_796 Depth=1
	v_lshrrev_b32_e32 v6, 24, v4
	v_cmp_ne_u32_e32 vcc, s5, v6
	v_bfrev_b32_e32 v19, 1
	s_and_saveexec_b64 s[18:19], vcc
	s_cbranch_execz .LBB506_1035
; %bb.1032:                             ;   in Loop: Header=BB506_796 Depth=1
	v_bfe_u32 v4, v4, 24, 7
	v_cmp_ne_u32_e32 vcc, s22, v4
	v_mov_b32_e32 v19, 0x7f800001
	s_and_saveexec_b64 s[20:21], vcc
	s_cbranch_execz .LBB506_1034
; %bb.1033:                             ;   in Loop: Header=BB506_796 Depth=1
	v_and_b32_e32 v19, 7, v6
	v_ffbh_u32_e32 v20, v19
	v_min_u32_e32 v23, 32, v20
	v_subrev_u32_e32 v20, 28, v23
	v_lshlrev_b64 v[20:21], v20, v[6:7]
	v_lshrrev_b32_e32 v22, 3, v4
	v_sub_u32_e32 v21, 29, v23
	v_and_b32_e32 v20, 7, v20
	v_cmp_gt_u32_e32 vcc, 8, v4
	v_cndmask_b32_e32 v4, v22, v21, vcc
	v_cndmask_b32_e32 v19, v19, v20, vcc
	v_lshlrev_b32_e32 v6, 24, v6
	v_lshlrev_b32_e32 v19, 20, v19
	v_and_b32_e32 v6, 0x80000000, v6
	v_lshl_add_u32 v4, v4, 23, v10
	v_or3_b32 v19, v6, v4, v19
.LBB506_1034:                           ;   in Loop: Header=BB506_796 Depth=1
	s_or_b64 exec, exec, s[20:21]
.LBB506_1035:                           ;   in Loop: Header=BB506_796 Depth=1
	s_or_b64 exec, exec, s[18:19]
.LBB506_1036:                           ;   in Loop: Header=BB506_796 Depth=1
	s_or_b64 exec, exec, s[16:17]
	buffer_load_dword v6, v11, s[0:3], 0 offen offset:40
	buffer_load_dword v4, v11, s[0:3], 0 offen offset:44
	v_cvt_pkrtz_f16_f32 v20, v13, v15
	v_cvt_pkrtz_f16_f32 v21, v12, v17
	;; [unrolled: 1-line block ×4, first 2 shown]
	v_mfma_f32_4x4x4f16 a[0:3], v[2:3], v[20:21], a[0:3] cbsz:4 abid:8
	s_waitcnt vmcnt(1)
	v_cmp_ne_u16_sdwa s[18:19], v6, v9 src0_sel:BYTE_0 src1_sel:DWORD
	v_mfma_f32_4x4x4f16 a[0:3], v[2:3], v[12:13], a[0:3] cbsz:4 abid:9
	s_and_saveexec_b64 s[16:17], s[18:19]
	s_cbranch_execz .LBB506_1042
; %bb.1037:                             ;   in Loop: Header=BB506_796 Depth=1
	v_cmp_ne_u16_sdwa s[20:21], v6, s5 src0_sel:BYTE_0 src1_sel:DWORD
	v_bfrev_b32_e32 v14, 1
	s_and_saveexec_b64 s[18:19], s[20:21]
	s_cbranch_execz .LBB506_1041
; %bb.1038:                             ;   in Loop: Header=BB506_796 Depth=1
	v_and_b32_e32 v8, 0x7f, v6
	v_cmp_ne_u32_e32 vcc, s22, v8
	v_mov_b32_e32 v14, 0x7f800001
	s_and_saveexec_b64 s[20:21], vcc
	s_cbranch_execz .LBB506_1040
; %bb.1039:                             ;   in Loop: Header=BB506_796 Depth=1
	v_and_b32_e32 v14, 7, v6
	v_ffbh_u32_e32 v12, v14
	v_min_u32_e32 v16, 32, v12
	v_subrev_u32_e32 v12, 28, v16
	v_lshlrev_b64 v[12:13], v12, v[6:7]
	v_lshrrev_b32_e32 v15, 3, v8
	v_sub_u32_e32 v13, 29, v16
	v_and_b32_e32 v12, 7, v12
	v_cmp_gt_u32_e32 vcc, 8, v8
	v_cndmask_b32_e32 v8, v15, v13, vcc
	v_cndmask_b32_e32 v12, v14, v12, vcc
	v_lshlrev_b32_e32 v13, 24, v6
	v_lshlrev_b32_e32 v12, 20, v12
	v_and_b32_e32 v13, 0x80000000, v13
	v_lshl_add_u32 v8, v8, 23, v10
	v_or3_b32 v14, v13, v8, v12
.LBB506_1040:                           ;   in Loop: Header=BB506_796 Depth=1
	s_or_b64 exec, exec, s[20:21]
.LBB506_1041:                           ;   in Loop: Header=BB506_796 Depth=1
	s_or_b64 exec, exec, s[18:19]
.LBB506_1042:                           ;   in Loop: Header=BB506_796 Depth=1
	s_or_b64 exec, exec, s[16:17]
	v_lshrrev_b16_e32 v8, 8, v6
	v_cmp_ne_u16_e32 vcc, 0, v8
	v_mov_b32_e32 v13, 0
	v_mov_b32_e32 v15, 0
	s_and_saveexec_b64 s[16:17], vcc
	s_cbranch_execz .LBB506_1048
; %bb.1043:                             ;   in Loop: Header=BB506_796 Depth=1
	v_cmp_ne_u16_e32 vcc, s5, v8
	v_bfrev_b32_e32 v15, 1
	s_and_saveexec_b64 s[18:19], vcc
	s_cbranch_execz .LBB506_1047
; %bb.1044:                             ;   in Loop: Header=BB506_796 Depth=1
	v_and_b32_e32 v12, 0x7f, v8
	v_cmp_ne_u32_e32 vcc, s22, v12
	v_mov_b32_e32 v15, 0x7f800001
	s_and_saveexec_b64 s[20:21], vcc
	s_cbranch_execz .LBB506_1046
; %bb.1045:                             ;   in Loop: Header=BB506_796 Depth=1
	v_and_b32_e32 v15, 7, v8
	v_ffbh_u32_e32 v16, v15
	v_min_u32_e32 v19, 32, v16
	v_subrev_u32_e32 v16, 28, v19
	v_lshlrev_b64 v[16:17], v16, v[8:9]
	v_lshrrev_b32_e32 v18, 3, v12
	v_sub_u32_e32 v8, 29, v19
	v_and_b32_e32 v16, 7, v16
	v_cmp_gt_u32_e32 vcc, 8, v12
	v_cndmask_b32_e32 v8, v18, v8, vcc
	v_cndmask_b32_e32 v12, v15, v16, vcc
	v_lshlrev_b32_e32 v15, 16, v6
	v_lshlrev_b32_e32 v12, 20, v12
	v_and_b32_e32 v15, 0x80000000, v15
	v_lshl_add_u32 v8, v8, 23, v10
	v_or3_b32 v15, v15, v8, v12
.LBB506_1046:                           ;   in Loop: Header=BB506_796 Depth=1
	s_or_b64 exec, exec, s[20:21]
.LBB506_1047:                           ;   in Loop: Header=BB506_796 Depth=1
	s_or_b64 exec, exec, s[18:19]
.LBB506_1048:                           ;   in Loop: Header=BB506_796 Depth=1
	s_or_b64 exec, exec, s[16:17]
	v_lshrrev_b32_e32 v8, 16, v6
	v_cmp_ne_u16_sdwa s[18:19], v8, v9 src0_sel:BYTE_0 src1_sel:DWORD
	s_and_saveexec_b64 s[16:17], s[18:19]
	s_cbranch_execz .LBB506_1054
; %bb.1049:                             ;   in Loop: Header=BB506_796 Depth=1
	v_cmp_ne_u16_sdwa s[20:21], v8, s5 src0_sel:BYTE_0 src1_sel:DWORD
	v_bfrev_b32_e32 v13, 1
	s_and_saveexec_b64 s[18:19], s[20:21]
	s_cbranch_execz .LBB506_1053
; %bb.1050:                             ;   in Loop: Header=BB506_796 Depth=1
	v_bfe_u32 v12, v6, 16, 7
	v_cmp_ne_u32_e32 vcc, s22, v12
	v_mov_b32_e32 v13, 0x7f800001
	s_and_saveexec_b64 s[20:21], vcc
	s_cbranch_execz .LBB506_1052
; %bb.1051:                             ;   in Loop: Header=BB506_796 Depth=1
	v_and_b32_e32 v13, 7, v8
	v_ffbh_u32_e32 v16, v13
	v_min_u32_e32 v19, 32, v16
	v_subrev_u32_e32 v16, 28, v19
	v_lshlrev_b64 v[16:17], v16, v[8:9]
	v_lshrrev_b32_e32 v18, 3, v12
	v_sub_u32_e32 v17, 29, v19
	v_and_b32_e32 v16, 7, v16
	v_cmp_gt_u32_e32 vcc, 8, v12
	v_cndmask_b32_e32 v12, v18, v17, vcc
	v_cndmask_b32_e32 v13, v13, v16, vcc
	v_lshlrev_b32_e32 v8, 24, v8
	v_lshlrev_b32_e32 v13, 20, v13
	v_and_b32_e32 v8, 0x80000000, v8
	v_lshl_add_u32 v12, v12, 23, v10
	v_or3_b32 v13, v8, v12, v13
.LBB506_1052:                           ;   in Loop: Header=BB506_796 Depth=1
	s_or_b64 exec, exec, s[20:21]
.LBB506_1053:                           ;   in Loop: Header=BB506_796 Depth=1
	s_or_b64 exec, exec, s[18:19]
.LBB506_1054:                           ;   in Loop: Header=BB506_796 Depth=1
	s_or_b64 exec, exec, s[16:17]
	v_cmp_lt_u32_e32 vcc, s23, v6
	v_mov_b32_e32 v16, 0
	v_mov_b32_e32 v17, 0
	s_and_saveexec_b64 s[16:17], vcc
	s_cbranch_execz .LBB506_1060
; %bb.1055:                             ;   in Loop: Header=BB506_796 Depth=1
	v_lshrrev_b32_e32 v8, 24, v6
	v_cmp_ne_u32_e32 vcc, s5, v8
	v_bfrev_b32_e32 v17, 1
	s_and_saveexec_b64 s[18:19], vcc
	s_cbranch_execz .LBB506_1059
; %bb.1056:                             ;   in Loop: Header=BB506_796 Depth=1
	v_bfe_u32 v6, v6, 24, 7
	v_cmp_ne_u32_e32 vcc, s22, v6
	v_mov_b32_e32 v17, 0x7f800001
	s_and_saveexec_b64 s[20:21], vcc
	s_cbranch_execz .LBB506_1058
; %bb.1057:                             ;   in Loop: Header=BB506_796 Depth=1
	v_and_b32_e32 v12, 7, v8
	v_ffbh_u32_e32 v18, v12
	v_min_u32_e32 v20, 32, v18
	v_subrev_u32_e32 v18, 28, v20
	v_lshlrev_b64 v[18:19], v18, v[8:9]
	v_lshrrev_b32_e32 v17, 3, v6
	v_sub_u32_e32 v19, 29, v20
	v_and_b32_e32 v18, 7, v18
	v_cmp_gt_u32_e32 vcc, 8, v6
	v_cndmask_b32_e32 v6, v17, v19, vcc
	v_cndmask_b32_e32 v12, v12, v18, vcc
	v_lshlrev_b32_e32 v8, 24, v8
	v_lshlrev_b32_e32 v12, 20, v12
	v_and_b32_e32 v8, 0x80000000, v8
	v_lshl_add_u32 v6, v6, 23, v10
	v_or3_b32 v17, v8, v6, v12
.LBB506_1058:                           ;   in Loop: Header=BB506_796 Depth=1
	s_or_b64 exec, exec, s[20:21]
.LBB506_1059:                           ;   in Loop: Header=BB506_796 Depth=1
	s_or_b64 exec, exec, s[18:19]
.LBB506_1060:                           ;   in Loop: Header=BB506_796 Depth=1
	s_or_b64 exec, exec, s[16:17]
	s_waitcnt vmcnt(0)
	v_cmp_ne_u16_sdwa s[18:19], v4, v9 src0_sel:BYTE_0 src1_sel:DWORD
	s_and_saveexec_b64 s[16:17], s[18:19]
	s_cbranch_execz .LBB506_1066
; %bb.1061:                             ;   in Loop: Header=BB506_796 Depth=1
	v_cmp_ne_u16_sdwa s[20:21], v4, s5 src0_sel:BYTE_0 src1_sel:DWORD
	v_bfrev_b32_e32 v16, 1
	s_and_saveexec_b64 s[18:19], s[20:21]
	s_cbranch_execz .LBB506_1065
; %bb.1062:                             ;   in Loop: Header=BB506_796 Depth=1
	v_and_b32_e32 v6, 0x7f, v4
	v_cmp_ne_u32_e32 vcc, s22, v6
	v_mov_b32_e32 v16, 0x7f800001
	s_and_saveexec_b64 s[20:21], vcc
	s_cbranch_execz .LBB506_1064
; %bb.1063:                             ;   in Loop: Header=BB506_796 Depth=1
	v_and_b32_e32 v8, 7, v4
	v_ffbh_u32_e32 v16, v8
	v_min_u32_e32 v16, 32, v16
	v_subrev_u32_e32 v18, 28, v16
	v_lshlrev_b64 v[18:19], v18, v[4:5]
	v_lshrrev_b32_e32 v12, 3, v6
	v_sub_u32_e32 v16, 29, v16
	v_and_b32_e32 v18, 7, v18
	v_cmp_gt_u32_e32 vcc, 8, v6
	v_cndmask_b32_e32 v6, v12, v16, vcc
	v_cndmask_b32_e32 v8, v8, v18, vcc
	v_lshlrev_b32_e32 v12, 24, v4
	v_lshlrev_b32_e32 v8, 20, v8
	v_and_b32_e32 v12, 0x80000000, v12
	v_lshl_add_u32 v6, v6, 23, v10
	v_or3_b32 v16, v12, v6, v8
.LBB506_1064:                           ;   in Loop: Header=BB506_796 Depth=1
	s_or_b64 exec, exec, s[20:21]
.LBB506_1065:                           ;   in Loop: Header=BB506_796 Depth=1
	s_or_b64 exec, exec, s[18:19]
.LBB506_1066:                           ;   in Loop: Header=BB506_796 Depth=1
	s_or_b64 exec, exec, s[16:17]
	v_lshrrev_b16_e32 v6, 8, v4
	v_cmp_ne_u16_e32 vcc, 0, v6
	v_mov_b32_e32 v8, 0
	v_mov_b32_e32 v18, 0
	s_and_saveexec_b64 s[16:17], vcc
	s_cbranch_execz .LBB506_1072
; %bb.1067:                             ;   in Loop: Header=BB506_796 Depth=1
	v_cmp_ne_u16_e32 vcc, s5, v6
	v_bfrev_b32_e32 v18, 1
	s_and_saveexec_b64 s[18:19], vcc
	s_cbranch_execz .LBB506_1071
; %bb.1068:                             ;   in Loop: Header=BB506_796 Depth=1
	v_and_b32_e32 v12, 0x7f, v6
	v_cmp_ne_u32_e32 vcc, s22, v12
	v_mov_b32_e32 v18, 0x7f800001
	s_and_saveexec_b64 s[20:21], vcc
	s_cbranch_execz .LBB506_1070
; %bb.1069:                             ;   in Loop: Header=BB506_796 Depth=1
	v_and_b32_e32 v20, 7, v6
	v_ffbh_u32_e32 v18, v20
	v_min_u32_e32 v22, 32, v18
	v_subrev_u32_e32 v18, 28, v22
	v_lshlrev_b64 v[18:19], v18, v[6:7]
	v_lshrrev_b32_e32 v21, 3, v12
	v_sub_u32_e32 v6, 29, v22
	v_and_b32_e32 v18, 7, v18
	v_cmp_gt_u32_e32 vcc, 8, v12
	v_cndmask_b32_e32 v6, v21, v6, vcc
	v_cndmask_b32_e32 v12, v20, v18, vcc
	v_lshlrev_b32_e32 v18, 16, v4
	v_lshlrev_b32_e32 v12, 20, v12
	v_and_b32_e32 v18, 0x80000000, v18
	v_lshl_add_u32 v6, v6, 23, v10
	v_or3_b32 v18, v18, v6, v12
.LBB506_1070:                           ;   in Loop: Header=BB506_796 Depth=1
	s_or_b64 exec, exec, s[20:21]
.LBB506_1071:                           ;   in Loop: Header=BB506_796 Depth=1
	s_or_b64 exec, exec, s[18:19]
.LBB506_1072:                           ;   in Loop: Header=BB506_796 Depth=1
	s_or_b64 exec, exec, s[16:17]
	v_lshrrev_b32_e32 v6, 16, v4
	v_cmp_ne_u16_sdwa s[18:19], v6, v9 src0_sel:BYTE_0 src1_sel:DWORD
	s_and_saveexec_b64 s[16:17], s[18:19]
	s_cbranch_execz .LBB506_1078
; %bb.1073:                             ;   in Loop: Header=BB506_796 Depth=1
	v_cmp_ne_u16_sdwa s[20:21], v6, s5 src0_sel:BYTE_0 src1_sel:DWORD
	v_bfrev_b32_e32 v8, 1
	s_and_saveexec_b64 s[18:19], s[20:21]
	s_cbranch_execz .LBB506_1077
; %bb.1074:                             ;   in Loop: Header=BB506_796 Depth=1
	v_bfe_u32 v12, v4, 16, 7
	v_cmp_ne_u32_e32 vcc, s22, v12
	v_mov_b32_e32 v8, 0x7f800001
	s_and_saveexec_b64 s[20:21], vcc
	s_cbranch_execz .LBB506_1076
; %bb.1075:                             ;   in Loop: Header=BB506_796 Depth=1
	v_and_b32_e32 v8, 7, v6
	v_ffbh_u32_e32 v20, v8
	v_min_u32_e32 v22, 32, v20
	v_subrev_u32_e32 v20, 28, v22
	v_lshlrev_b64 v[20:21], v20, v[6:7]
	v_lshrrev_b32_e32 v19, 3, v12
	v_sub_u32_e32 v21, 29, v22
	v_and_b32_e32 v20, 7, v20
	v_cmp_gt_u32_e32 vcc, 8, v12
	v_cndmask_b32_e32 v12, v19, v21, vcc
	v_cndmask_b32_e32 v8, v8, v20, vcc
	v_lshlrev_b32_e32 v6, 24, v6
	v_lshlrev_b32_e32 v8, 20, v8
	v_and_b32_e32 v6, 0x80000000, v6
	v_lshl_add_u32 v12, v12, 23, v10
	v_or3_b32 v8, v6, v12, v8
.LBB506_1076:                           ;   in Loop: Header=BB506_796 Depth=1
	s_or_b64 exec, exec, s[20:21]
.LBB506_1077:                           ;   in Loop: Header=BB506_796 Depth=1
	s_or_b64 exec, exec, s[18:19]
.LBB506_1078:                           ;   in Loop: Header=BB506_796 Depth=1
	s_or_b64 exec, exec, s[16:17]
	v_cmp_lt_u32_e32 vcc, s23, v4
	v_mov_b32_e32 v12, 0
	v_mov_b32_e32 v19, 0
	s_and_saveexec_b64 s[16:17], vcc
	s_cbranch_execz .LBB506_1084
; %bb.1079:                             ;   in Loop: Header=BB506_796 Depth=1
	v_lshrrev_b32_e32 v6, 24, v4
	v_cmp_ne_u32_e32 vcc, s5, v6
	v_bfrev_b32_e32 v19, 1
	s_and_saveexec_b64 s[18:19], vcc
	s_cbranch_execz .LBB506_1083
; %bb.1080:                             ;   in Loop: Header=BB506_796 Depth=1
	v_bfe_u32 v4, v4, 24, 7
	v_cmp_ne_u32_e32 vcc, s22, v4
	v_mov_b32_e32 v19, 0x7f800001
	s_and_saveexec_b64 s[20:21], vcc
	s_cbranch_execz .LBB506_1082
; %bb.1081:                             ;   in Loop: Header=BB506_796 Depth=1
	v_and_b32_e32 v19, 7, v6
	v_ffbh_u32_e32 v20, v19
	v_min_u32_e32 v23, 32, v20
	v_subrev_u32_e32 v20, 28, v23
	v_lshlrev_b64 v[20:21], v20, v[6:7]
	v_lshrrev_b32_e32 v22, 3, v4
	v_sub_u32_e32 v21, 29, v23
	v_and_b32_e32 v20, 7, v20
	v_cmp_gt_u32_e32 vcc, 8, v4
	v_cndmask_b32_e32 v4, v22, v21, vcc
	v_cndmask_b32_e32 v19, v19, v20, vcc
	v_lshlrev_b32_e32 v6, 24, v6
	v_lshlrev_b32_e32 v19, 20, v19
	v_and_b32_e32 v6, 0x80000000, v6
	v_lshl_add_u32 v4, v4, 23, v10
	v_or3_b32 v19, v6, v4, v19
.LBB506_1082:                           ;   in Loop: Header=BB506_796 Depth=1
	s_or_b64 exec, exec, s[20:21]
.LBB506_1083:                           ;   in Loop: Header=BB506_796 Depth=1
	s_or_b64 exec, exec, s[18:19]
.LBB506_1084:                           ;   in Loop: Header=BB506_796 Depth=1
	s_or_b64 exec, exec, s[16:17]
	buffer_load_dword v6, v11, s[0:3], 0 offen offset:48
	buffer_load_dword v4, v11, s[0:3], 0 offen offset:52
	v_cvt_pkrtz_f16_f32 v14, v14, v15
	v_cvt_pkrtz_f16_f32 v15, v13, v17
	;; [unrolled: 1-line block ×4, first 2 shown]
	v_mfma_f32_4x4x4f16 a[0:3], v[2:3], v[14:15], a[0:3] cbsz:4 abid:10
	s_waitcnt vmcnt(1)
	v_cmp_ne_u16_sdwa s[18:19], v6, v9 src0_sel:BYTE_0 src1_sel:DWORD
	v_mfma_f32_4x4x4f16 a[0:3], v[2:3], v[16:17], a[0:3] cbsz:4 abid:11
	s_and_saveexec_b64 s[16:17], s[18:19]
	s_cbranch_execz .LBB506_1090
; %bb.1085:                             ;   in Loop: Header=BB506_796 Depth=1
	v_cmp_ne_u16_sdwa s[20:21], v6, s5 src0_sel:BYTE_0 src1_sel:DWORD
	v_bfrev_b32_e32 v12, 1
	s_and_saveexec_b64 s[18:19], s[20:21]
	s_cbranch_execz .LBB506_1089
; %bb.1086:                             ;   in Loop: Header=BB506_796 Depth=1
	v_and_b32_e32 v8, 0x7f, v6
	v_cmp_ne_u32_e32 vcc, s22, v8
	v_mov_b32_e32 v12, 0x7f800001
	s_and_saveexec_b64 s[20:21], vcc
	s_cbranch_execz .LBB506_1088
; %bb.1087:                             ;   in Loop: Header=BB506_796 Depth=1
	v_and_b32_e32 v14, 7, v6
	v_ffbh_u32_e32 v12, v14
	v_min_u32_e32 v16, 32, v12
	v_subrev_u32_e32 v12, 28, v16
	v_lshlrev_b64 v[12:13], v12, v[6:7]
	v_lshrrev_b32_e32 v15, 3, v8
	v_sub_u32_e32 v13, 29, v16
	v_and_b32_e32 v12, 7, v12
	v_cmp_gt_u32_e32 vcc, 8, v8
	v_cndmask_b32_e32 v8, v15, v13, vcc
	v_cndmask_b32_e32 v12, v14, v12, vcc
	v_lshlrev_b32_e32 v13, 24, v6
	v_lshlrev_b32_e32 v12, 20, v12
	v_and_b32_e32 v13, 0x80000000, v13
	v_lshl_add_u32 v8, v8, 23, v10
	v_or3_b32 v12, v13, v8, v12
.LBB506_1088:                           ;   in Loop: Header=BB506_796 Depth=1
	s_or_b64 exec, exec, s[20:21]
.LBB506_1089:                           ;   in Loop: Header=BB506_796 Depth=1
	s_or_b64 exec, exec, s[18:19]
.LBB506_1090:                           ;   in Loop: Header=BB506_796 Depth=1
	s_or_b64 exec, exec, s[16:17]
	v_lshrrev_b16_e32 v8, 8, v6
	v_cmp_ne_u16_e32 vcc, 0, v8
	v_mov_b32_e32 v14, 0
	v_mov_b32_e32 v15, 0
	s_and_saveexec_b64 s[16:17], vcc
	s_cbranch_execz .LBB506_1096
; %bb.1091:                             ;   in Loop: Header=BB506_796 Depth=1
	v_cmp_ne_u16_e32 vcc, s5, v8
	v_bfrev_b32_e32 v15, 1
	s_and_saveexec_b64 s[18:19], vcc
	s_cbranch_execz .LBB506_1095
; %bb.1092:                             ;   in Loop: Header=BB506_796 Depth=1
	v_and_b32_e32 v13, 0x7f, v8
	v_cmp_ne_u32_e32 vcc, s22, v13
	v_mov_b32_e32 v15, 0x7f800001
	s_and_saveexec_b64 s[20:21], vcc
	s_cbranch_execz .LBB506_1094
; %bb.1093:                             ;   in Loop: Header=BB506_796 Depth=1
	v_and_b32_e32 v15, 7, v8
	v_ffbh_u32_e32 v16, v15
	v_min_u32_e32 v19, 32, v16
	v_subrev_u32_e32 v16, 28, v19
	v_lshlrev_b64 v[16:17], v16, v[8:9]
	v_lshrrev_b32_e32 v18, 3, v13
	v_sub_u32_e32 v8, 29, v19
	v_and_b32_e32 v16, 7, v16
	v_cmp_gt_u32_e32 vcc, 8, v13
	v_cndmask_b32_e32 v8, v18, v8, vcc
	v_cndmask_b32_e32 v13, v15, v16, vcc
	v_lshlrev_b32_e32 v15, 16, v6
	v_lshlrev_b32_e32 v13, 20, v13
	v_and_b32_e32 v15, 0x80000000, v15
	v_lshl_add_u32 v8, v8, 23, v10
	v_or3_b32 v15, v15, v8, v13
.LBB506_1094:                           ;   in Loop: Header=BB506_796 Depth=1
	s_or_b64 exec, exec, s[20:21]
.LBB506_1095:                           ;   in Loop: Header=BB506_796 Depth=1
	s_or_b64 exec, exec, s[18:19]
.LBB506_1096:                           ;   in Loop: Header=BB506_796 Depth=1
	s_or_b64 exec, exec, s[16:17]
	v_lshrrev_b32_e32 v8, 16, v6
	v_cmp_ne_u16_sdwa s[18:19], v8, v9 src0_sel:BYTE_0 src1_sel:DWORD
	s_and_saveexec_b64 s[16:17], s[18:19]
	s_cbranch_execz .LBB506_1102
; %bb.1097:                             ;   in Loop: Header=BB506_796 Depth=1
	v_cmp_ne_u16_sdwa s[20:21], v8, s5 src0_sel:BYTE_0 src1_sel:DWORD
	v_bfrev_b32_e32 v14, 1
	s_and_saveexec_b64 s[18:19], s[20:21]
	s_cbranch_execz .LBB506_1101
; %bb.1098:                             ;   in Loop: Header=BB506_796 Depth=1
	v_bfe_u32 v13, v6, 16, 7
	v_cmp_ne_u32_e32 vcc, s22, v13
	v_mov_b32_e32 v14, 0x7f800001
	s_and_saveexec_b64 s[20:21], vcc
	s_cbranch_execz .LBB506_1100
; %bb.1099:                             ;   in Loop: Header=BB506_796 Depth=1
	v_and_b32_e32 v14, 7, v8
	v_ffbh_u32_e32 v16, v14
	v_min_u32_e32 v19, 32, v16
	v_subrev_u32_e32 v16, 28, v19
	v_lshlrev_b64 v[16:17], v16, v[8:9]
	v_lshrrev_b32_e32 v18, 3, v13
	v_sub_u32_e32 v17, 29, v19
	v_and_b32_e32 v16, 7, v16
	v_cmp_gt_u32_e32 vcc, 8, v13
	v_cndmask_b32_e32 v13, v18, v17, vcc
	v_cndmask_b32_e32 v14, v14, v16, vcc
	v_lshlrev_b32_e32 v8, 24, v8
	v_lshlrev_b32_e32 v14, 20, v14
	v_and_b32_e32 v8, 0x80000000, v8
	v_lshl_add_u32 v13, v13, 23, v10
	v_or3_b32 v14, v8, v13, v14
.LBB506_1100:                           ;   in Loop: Header=BB506_796 Depth=1
	s_or_b64 exec, exec, s[20:21]
.LBB506_1101:                           ;   in Loop: Header=BB506_796 Depth=1
	s_or_b64 exec, exec, s[18:19]
.LBB506_1102:                           ;   in Loop: Header=BB506_796 Depth=1
	s_or_b64 exec, exec, s[16:17]
	v_cmp_lt_u32_e32 vcc, s23, v6
	v_mov_b32_e32 v16, 0
	v_mov_b32_e32 v17, 0
	s_and_saveexec_b64 s[16:17], vcc
	s_cbranch_execz .LBB506_1108
; %bb.1103:                             ;   in Loop: Header=BB506_796 Depth=1
	v_lshrrev_b32_e32 v8, 24, v6
	v_cmp_ne_u32_e32 vcc, s5, v8
	v_bfrev_b32_e32 v17, 1
	s_and_saveexec_b64 s[18:19], vcc
	s_cbranch_execz .LBB506_1107
; %bb.1104:                             ;   in Loop: Header=BB506_796 Depth=1
	v_bfe_u32 v6, v6, 24, 7
	v_cmp_ne_u32_e32 vcc, s22, v6
	v_mov_b32_e32 v17, 0x7f800001
	s_and_saveexec_b64 s[20:21], vcc
	s_cbranch_execz .LBB506_1106
; %bb.1105:                             ;   in Loop: Header=BB506_796 Depth=1
	v_and_b32_e32 v13, 7, v8
	v_ffbh_u32_e32 v18, v13
	v_min_u32_e32 v20, 32, v18
	v_subrev_u32_e32 v18, 28, v20
	v_lshlrev_b64 v[18:19], v18, v[8:9]
	v_lshrrev_b32_e32 v17, 3, v6
	v_sub_u32_e32 v19, 29, v20
	v_and_b32_e32 v18, 7, v18
	v_cmp_gt_u32_e32 vcc, 8, v6
	v_cndmask_b32_e32 v6, v17, v19, vcc
	v_cndmask_b32_e32 v13, v13, v18, vcc
	v_lshlrev_b32_e32 v8, 24, v8
	v_lshlrev_b32_e32 v13, 20, v13
	v_and_b32_e32 v8, 0x80000000, v8
	v_lshl_add_u32 v6, v6, 23, v10
	v_or3_b32 v17, v8, v6, v13
.LBB506_1106:                           ;   in Loop: Header=BB506_796 Depth=1
	s_or_b64 exec, exec, s[20:21]
.LBB506_1107:                           ;   in Loop: Header=BB506_796 Depth=1
	s_or_b64 exec, exec, s[18:19]
.LBB506_1108:                           ;   in Loop: Header=BB506_796 Depth=1
	s_or_b64 exec, exec, s[16:17]
	s_waitcnt vmcnt(0)
	v_cmp_ne_u16_sdwa s[18:19], v4, v9 src0_sel:BYTE_0 src1_sel:DWORD
	s_and_saveexec_b64 s[16:17], s[18:19]
	s_cbranch_execz .LBB506_1114
; %bb.1109:                             ;   in Loop: Header=BB506_796 Depth=1
	v_cmp_ne_u16_sdwa s[20:21], v4, s5 src0_sel:BYTE_0 src1_sel:DWORD
	v_bfrev_b32_e32 v16, 1
	s_and_saveexec_b64 s[18:19], s[20:21]
	s_cbranch_execz .LBB506_1113
; %bb.1110:                             ;   in Loop: Header=BB506_796 Depth=1
	v_and_b32_e32 v6, 0x7f, v4
	v_cmp_ne_u32_e32 vcc, s22, v6
	v_mov_b32_e32 v16, 0x7f800001
	s_and_saveexec_b64 s[20:21], vcc
	s_cbranch_execz .LBB506_1112
; %bb.1111:                             ;   in Loop: Header=BB506_796 Depth=1
	v_and_b32_e32 v8, 7, v4
	v_ffbh_u32_e32 v16, v8
	v_min_u32_e32 v16, 32, v16
	v_subrev_u32_e32 v18, 28, v16
	v_lshlrev_b64 v[18:19], v18, v[4:5]
	v_lshrrev_b32_e32 v13, 3, v6
	v_sub_u32_e32 v16, 29, v16
	v_and_b32_e32 v18, 7, v18
	v_cmp_gt_u32_e32 vcc, 8, v6
	v_cndmask_b32_e32 v6, v13, v16, vcc
	v_cndmask_b32_e32 v8, v8, v18, vcc
	v_lshlrev_b32_e32 v13, 24, v4
	v_lshlrev_b32_e32 v8, 20, v8
	v_and_b32_e32 v13, 0x80000000, v13
	v_lshl_add_u32 v6, v6, 23, v10
	v_or3_b32 v16, v13, v6, v8
.LBB506_1112:                           ;   in Loop: Header=BB506_796 Depth=1
	s_or_b64 exec, exec, s[20:21]
.LBB506_1113:                           ;   in Loop: Header=BB506_796 Depth=1
	s_or_b64 exec, exec, s[18:19]
.LBB506_1114:                           ;   in Loop: Header=BB506_796 Depth=1
	s_or_b64 exec, exec, s[16:17]
	v_lshrrev_b16_e32 v6, 8, v4
	v_cmp_ne_u16_e32 vcc, 0, v6
	v_mov_b32_e32 v8, 0
	v_mov_b32_e32 v18, 0
	s_and_saveexec_b64 s[16:17], vcc
	s_cbranch_execz .LBB506_1120
; %bb.1115:                             ;   in Loop: Header=BB506_796 Depth=1
	v_cmp_ne_u16_e32 vcc, s5, v6
	v_bfrev_b32_e32 v18, 1
	s_and_saveexec_b64 s[18:19], vcc
	s_cbranch_execz .LBB506_1119
; %bb.1116:                             ;   in Loop: Header=BB506_796 Depth=1
	v_and_b32_e32 v13, 0x7f, v6
	v_cmp_ne_u32_e32 vcc, s22, v13
	v_mov_b32_e32 v18, 0x7f800001
	s_and_saveexec_b64 s[20:21], vcc
	s_cbranch_execz .LBB506_1118
; %bb.1117:                             ;   in Loop: Header=BB506_796 Depth=1
	v_and_b32_e32 v20, 7, v6
	v_ffbh_u32_e32 v18, v20
	v_min_u32_e32 v22, 32, v18
	v_subrev_u32_e32 v18, 28, v22
	v_lshlrev_b64 v[18:19], v18, v[6:7]
	v_lshrrev_b32_e32 v21, 3, v13
	v_sub_u32_e32 v6, 29, v22
	v_and_b32_e32 v18, 7, v18
	v_cmp_gt_u32_e32 vcc, 8, v13
	v_cndmask_b32_e32 v6, v21, v6, vcc
	v_cndmask_b32_e32 v13, v20, v18, vcc
	v_lshlrev_b32_e32 v18, 16, v4
	v_lshlrev_b32_e32 v13, 20, v13
	v_and_b32_e32 v18, 0x80000000, v18
	v_lshl_add_u32 v6, v6, 23, v10
	v_or3_b32 v18, v18, v6, v13
.LBB506_1118:                           ;   in Loop: Header=BB506_796 Depth=1
	s_or_b64 exec, exec, s[20:21]
.LBB506_1119:                           ;   in Loop: Header=BB506_796 Depth=1
	s_or_b64 exec, exec, s[18:19]
.LBB506_1120:                           ;   in Loop: Header=BB506_796 Depth=1
	s_or_b64 exec, exec, s[16:17]
	v_lshrrev_b32_e32 v6, 16, v4
	v_cmp_ne_u16_sdwa s[18:19], v6, v9 src0_sel:BYTE_0 src1_sel:DWORD
	s_and_saveexec_b64 s[16:17], s[18:19]
	s_cbranch_execz .LBB506_1126
; %bb.1121:                             ;   in Loop: Header=BB506_796 Depth=1
	v_cmp_ne_u16_sdwa s[20:21], v6, s5 src0_sel:BYTE_0 src1_sel:DWORD
	v_bfrev_b32_e32 v8, 1
	s_and_saveexec_b64 s[18:19], s[20:21]
	s_cbranch_execz .LBB506_1125
; %bb.1122:                             ;   in Loop: Header=BB506_796 Depth=1
	v_bfe_u32 v13, v4, 16, 7
	v_cmp_ne_u32_e32 vcc, s22, v13
	v_mov_b32_e32 v8, 0x7f800001
	s_and_saveexec_b64 s[20:21], vcc
	s_cbranch_execz .LBB506_1124
; %bb.1123:                             ;   in Loop: Header=BB506_796 Depth=1
	v_and_b32_e32 v8, 7, v6
	v_ffbh_u32_e32 v20, v8
	v_min_u32_e32 v22, 32, v20
	v_subrev_u32_e32 v20, 28, v22
	v_lshlrev_b64 v[20:21], v20, v[6:7]
	v_lshrrev_b32_e32 v19, 3, v13
	v_sub_u32_e32 v21, 29, v22
	v_and_b32_e32 v20, 7, v20
	v_cmp_gt_u32_e32 vcc, 8, v13
	v_cndmask_b32_e32 v13, v19, v21, vcc
	v_cndmask_b32_e32 v8, v8, v20, vcc
	v_lshlrev_b32_e32 v6, 24, v6
	v_lshlrev_b32_e32 v8, 20, v8
	v_and_b32_e32 v6, 0x80000000, v6
	v_lshl_add_u32 v13, v13, 23, v10
	v_or3_b32 v8, v6, v13, v8
.LBB506_1124:                           ;   in Loop: Header=BB506_796 Depth=1
	s_or_b64 exec, exec, s[20:21]
.LBB506_1125:                           ;   in Loop: Header=BB506_796 Depth=1
	s_or_b64 exec, exec, s[18:19]
.LBB506_1126:                           ;   in Loop: Header=BB506_796 Depth=1
	s_or_b64 exec, exec, s[16:17]
	v_cmp_lt_u32_e32 vcc, s23, v4
	v_mov_b32_e32 v13, 0
	v_mov_b32_e32 v19, 0
	s_and_saveexec_b64 s[16:17], vcc
	s_cbranch_execz .LBB506_1132
; %bb.1127:                             ;   in Loop: Header=BB506_796 Depth=1
	v_lshrrev_b32_e32 v6, 24, v4
	v_cmp_ne_u32_e32 vcc, s5, v6
	v_bfrev_b32_e32 v19, 1
	s_and_saveexec_b64 s[18:19], vcc
	s_cbranch_execz .LBB506_1131
; %bb.1128:                             ;   in Loop: Header=BB506_796 Depth=1
	v_bfe_u32 v4, v4, 24, 7
	v_cmp_ne_u32_e32 vcc, s22, v4
	v_mov_b32_e32 v19, 0x7f800001
	s_and_saveexec_b64 s[20:21], vcc
	s_cbranch_execz .LBB506_1130
; %bb.1129:                             ;   in Loop: Header=BB506_796 Depth=1
	v_and_b32_e32 v19, 7, v6
	v_ffbh_u32_e32 v20, v19
	v_min_u32_e32 v23, 32, v20
	v_subrev_u32_e32 v20, 28, v23
	v_lshlrev_b64 v[20:21], v20, v[6:7]
	v_lshrrev_b32_e32 v22, 3, v4
	v_sub_u32_e32 v21, 29, v23
	v_and_b32_e32 v20, 7, v20
	v_cmp_gt_u32_e32 vcc, 8, v4
	v_cndmask_b32_e32 v4, v22, v21, vcc
	v_cndmask_b32_e32 v19, v19, v20, vcc
	v_lshlrev_b32_e32 v6, 24, v6
	v_lshlrev_b32_e32 v19, 20, v19
	v_and_b32_e32 v6, 0x80000000, v6
	v_lshl_add_u32 v4, v4, 23, v10
	v_or3_b32 v19, v6, v4, v19
.LBB506_1130:                           ;   in Loop: Header=BB506_796 Depth=1
	s_or_b64 exec, exec, s[20:21]
.LBB506_1131:                           ;   in Loop: Header=BB506_796 Depth=1
	s_or_b64 exec, exec, s[18:19]
.LBB506_1132:                           ;   in Loop: Header=BB506_796 Depth=1
	s_or_b64 exec, exec, s[16:17]
	buffer_load_dword v6, v11, s[0:3], 0 offen offset:56
	buffer_load_dword v4, v11, s[0:3], 0 offen offset:60
	v_cvt_pkrtz_f16_f32 v20, v12, v15
	v_cvt_pkrtz_f16_f32 v21, v14, v17
	;; [unrolled: 1-line block ×4, first 2 shown]
	v_mfma_f32_4x4x4f16 a[0:3], v[2:3], v[20:21], a[0:3] cbsz:4 abid:12
	s_waitcnt vmcnt(1)
	v_cmp_ne_u16_sdwa s[18:19], v6, v9 src0_sel:BYTE_0 src1_sel:DWORD
	v_mfma_f32_4x4x4f16 a[0:3], v[2:3], v[14:15], a[0:3] cbsz:4 abid:13
	s_and_saveexec_b64 s[16:17], s[18:19]
	s_cbranch_execz .LBB506_1138
; %bb.1133:                             ;   in Loop: Header=BB506_796 Depth=1
	v_cmp_ne_u16_sdwa s[20:21], v6, s5 src0_sel:BYTE_0 src1_sel:DWORD
	v_bfrev_b32_e32 v13, 1
	s_and_saveexec_b64 s[18:19], s[20:21]
	s_cbranch_execz .LBB506_1137
; %bb.1134:                             ;   in Loop: Header=BB506_796 Depth=1
	v_and_b32_e32 v8, 0x7f, v6
	v_cmp_ne_u32_e32 vcc, s22, v8
	v_mov_b32_e32 v13, 0x7f800001
	s_and_saveexec_b64 s[20:21], vcc
	s_cbranch_execz .LBB506_1136
; %bb.1135:                             ;   in Loop: Header=BB506_796 Depth=1
	v_and_b32_e32 v11, 7, v6
	v_ffbh_u32_e32 v12, v11
	v_min_u32_e32 v15, 32, v12
	v_subrev_u32_e32 v12, 28, v15
	v_lshlrev_b64 v[12:13], v12, v[6:7]
	v_lshrrev_b32_e32 v14, 3, v8
	v_sub_u32_e32 v13, 29, v15
	v_and_b32_e32 v12, 7, v12
	v_cmp_gt_u32_e32 vcc, 8, v8
	v_cndmask_b32_e32 v8, v14, v13, vcc
	v_cndmask_b32_e32 v11, v11, v12, vcc
	v_lshlrev_b32_e32 v12, 24, v6
	v_lshlrev_b32_e32 v11, 20, v11
	v_and_b32_e32 v12, 0x80000000, v12
	v_lshl_add_u32 v8, v8, 23, v10
	v_or3_b32 v13, v12, v8, v11
.LBB506_1136:                           ;   in Loop: Header=BB506_796 Depth=1
	s_or_b64 exec, exec, s[20:21]
.LBB506_1137:                           ;   in Loop: Header=BB506_796 Depth=1
	s_or_b64 exec, exec, s[18:19]
.LBB506_1138:                           ;   in Loop: Header=BB506_796 Depth=1
	s_or_b64 exec, exec, s[16:17]
	v_lshrrev_b16_e32 v8, 8, v6
	v_cmp_ne_u16_e32 vcc, 0, v8
	v_mov_b32_e32 v11, 0
	v_mov_b32_e32 v12, 0
	s_and_saveexec_b64 s[16:17], vcc
	s_cbranch_execz .LBB506_1144
; %bb.1139:                             ;   in Loop: Header=BB506_796 Depth=1
	v_cmp_ne_u16_e32 vcc, s5, v8
	v_bfrev_b32_e32 v12, 1
	s_and_saveexec_b64 s[18:19], vcc
	s_cbranch_execz .LBB506_1143
; %bb.1140:                             ;   in Loop: Header=BB506_796 Depth=1
	v_and_b32_e32 v14, 0x7f, v8
	v_cmp_ne_u32_e32 vcc, s22, v14
	v_mov_b32_e32 v12, 0x7f800001
	s_and_saveexec_b64 s[20:21], vcc
	s_cbranch_execz .LBB506_1142
; %bb.1141:                             ;   in Loop: Header=BB506_796 Depth=1
	v_and_b32_e32 v12, 7, v8
	v_ffbh_u32_e32 v16, v12
	v_min_u32_e32 v18, 32, v16
	v_subrev_u32_e32 v16, 28, v18
	v_lshlrev_b64 v[16:17], v16, v[8:9]
	v_lshrrev_b32_e32 v15, 3, v14
	v_sub_u32_e32 v8, 29, v18
	v_and_b32_e32 v16, 7, v16
	v_cmp_gt_u32_e32 vcc, 8, v14
	v_cndmask_b32_e32 v8, v15, v8, vcc
	v_cndmask_b32_e32 v12, v12, v16, vcc
	v_lshlrev_b32_e32 v14, 16, v6
	v_lshlrev_b32_e32 v12, 20, v12
	v_and_b32_e32 v14, 0x80000000, v14
	v_lshl_add_u32 v8, v8, 23, v10
	v_or3_b32 v12, v14, v8, v12
.LBB506_1142:                           ;   in Loop: Header=BB506_796 Depth=1
	s_or_b64 exec, exec, s[20:21]
.LBB506_1143:                           ;   in Loop: Header=BB506_796 Depth=1
	s_or_b64 exec, exec, s[18:19]
.LBB506_1144:                           ;   in Loop: Header=BB506_796 Depth=1
	s_or_b64 exec, exec, s[16:17]
	v_lshrrev_b32_e32 v8, 16, v6
	v_cmp_ne_u16_sdwa s[18:19], v8, v9 src0_sel:BYTE_0 src1_sel:DWORD
	s_and_saveexec_b64 s[16:17], s[18:19]
	s_cbranch_execz .LBB506_1150
; %bb.1145:                             ;   in Loop: Header=BB506_796 Depth=1
	v_cmp_ne_u16_sdwa s[20:21], v8, s5 src0_sel:BYTE_0 src1_sel:DWORD
	v_bfrev_b32_e32 v11, 1
	s_and_saveexec_b64 s[18:19], s[20:21]
	s_cbranch_execz .LBB506_1149
; %bb.1146:                             ;   in Loop: Header=BB506_796 Depth=1
	v_bfe_u32 v14, v6, 16, 7
	v_cmp_ne_u32_e32 vcc, s22, v14
	v_mov_b32_e32 v11, 0x7f800001
	s_and_saveexec_b64 s[20:21], vcc
	s_cbranch_execz .LBB506_1148
; %bb.1147:                             ;   in Loop: Header=BB506_796 Depth=1
	v_and_b32_e32 v11, 7, v8
	v_ffbh_u32_e32 v16, v11
	v_min_u32_e32 v18, 32, v16
	v_subrev_u32_e32 v16, 28, v18
	v_lshlrev_b64 v[16:17], v16, v[8:9]
	v_lshrrev_b32_e32 v15, 3, v14
	v_sub_u32_e32 v17, 29, v18
	v_and_b32_e32 v16, 7, v16
	v_cmp_gt_u32_e32 vcc, 8, v14
	v_cndmask_b32_e32 v14, v15, v17, vcc
	v_cndmask_b32_e32 v11, v11, v16, vcc
	v_lshlrev_b32_e32 v8, 24, v8
	v_lshlrev_b32_e32 v11, 20, v11
	v_and_b32_e32 v8, 0x80000000, v8
	v_lshl_add_u32 v14, v14, 23, v10
	v_or3_b32 v11, v8, v14, v11
.LBB506_1148:                           ;   in Loop: Header=BB506_796 Depth=1
	s_or_b64 exec, exec, s[20:21]
.LBB506_1149:                           ;   in Loop: Header=BB506_796 Depth=1
	s_or_b64 exec, exec, s[18:19]
.LBB506_1150:                           ;   in Loop: Header=BB506_796 Depth=1
	s_or_b64 exec, exec, s[16:17]
	v_cmp_lt_u32_e32 vcc, s23, v6
	v_mov_b32_e32 v14, 0
	v_mov_b32_e32 v15, 0
	s_and_saveexec_b64 s[16:17], vcc
	s_cbranch_execz .LBB506_1156
; %bb.1151:                             ;   in Loop: Header=BB506_796 Depth=1
	v_lshrrev_b32_e32 v8, 24, v6
	v_cmp_ne_u32_e32 vcc, s5, v8
	v_bfrev_b32_e32 v15, 1
	s_and_saveexec_b64 s[18:19], vcc
	s_cbranch_execz .LBB506_1155
; %bb.1152:                             ;   in Loop: Header=BB506_796 Depth=1
	v_bfe_u32 v6, v6, 24, 7
	v_cmp_ne_u32_e32 vcc, s22, v6
	v_mov_b32_e32 v15, 0x7f800001
	s_and_saveexec_b64 s[20:21], vcc
	s_cbranch_execz .LBB506_1154
; %bb.1153:                             ;   in Loop: Header=BB506_796 Depth=1
	v_and_b32_e32 v15, 7, v8
	v_ffbh_u32_e32 v16, v15
	v_min_u32_e32 v19, 32, v16
	v_subrev_u32_e32 v16, 28, v19
	v_lshlrev_b64 v[16:17], v16, v[8:9]
	v_lshrrev_b32_e32 v18, 3, v6
	v_sub_u32_e32 v17, 29, v19
	v_and_b32_e32 v16, 7, v16
	v_cmp_gt_u32_e32 vcc, 8, v6
	v_cndmask_b32_e32 v6, v18, v17, vcc
	v_cndmask_b32_e32 v15, v15, v16, vcc
	v_lshlrev_b32_e32 v8, 24, v8
	v_lshlrev_b32_e32 v15, 20, v15
	v_and_b32_e32 v8, 0x80000000, v8
	v_lshl_add_u32 v6, v6, 23, v10
	v_or3_b32 v15, v8, v6, v15
.LBB506_1154:                           ;   in Loop: Header=BB506_796 Depth=1
	s_or_b64 exec, exec, s[20:21]
.LBB506_1155:                           ;   in Loop: Header=BB506_796 Depth=1
	s_or_b64 exec, exec, s[18:19]
.LBB506_1156:                           ;   in Loop: Header=BB506_796 Depth=1
	s_or_b64 exec, exec, s[16:17]
	s_waitcnt vmcnt(0)
	v_cmp_ne_u16_sdwa s[18:19], v4, v9 src0_sel:BYTE_0 src1_sel:DWORD
	s_and_saveexec_b64 s[16:17], s[18:19]
	s_cbranch_execz .LBB506_1162
; %bb.1157:                             ;   in Loop: Header=BB506_796 Depth=1
	v_cmp_ne_u16_sdwa s[20:21], v4, s5 src0_sel:BYTE_0 src1_sel:DWORD
	v_bfrev_b32_e32 v14, 1
	s_and_saveexec_b64 s[18:19], s[20:21]
	s_cbranch_execz .LBB506_1161
; %bb.1158:                             ;   in Loop: Header=BB506_796 Depth=1
	v_and_b32_e32 v6, 0x7f, v4
	v_cmp_ne_u32_e32 vcc, s22, v6
	v_mov_b32_e32 v14, 0x7f800001
	s_and_saveexec_b64 s[20:21], vcc
	s_cbranch_execz .LBB506_1160
; %bb.1159:                             ;   in Loop: Header=BB506_796 Depth=1
	v_and_b32_e32 v8, 7, v4
	v_ffbh_u32_e32 v16, v8
	v_min_u32_e32 v18, 32, v16
	v_subrev_u32_e32 v16, 28, v18
	v_lshlrev_b64 v[16:17], v16, v[4:5]
	v_lshrrev_b32_e32 v14, 3, v6
	v_sub_u32_e32 v17, 29, v18
	v_and_b32_e32 v16, 7, v16
	v_cmp_gt_u32_e32 vcc, 8, v6
	v_cndmask_b32_e32 v6, v14, v17, vcc
	v_cndmask_b32_e32 v8, v8, v16, vcc
	v_lshlrev_b32_e32 v14, 24, v4
	v_lshlrev_b32_e32 v8, 20, v8
	v_and_b32_e32 v14, 0x80000000, v14
	v_lshl_add_u32 v6, v6, 23, v10
	v_or3_b32 v14, v14, v6, v8
.LBB506_1160:                           ;   in Loop: Header=BB506_796 Depth=1
	s_or_b64 exec, exec, s[20:21]
.LBB506_1161:                           ;   in Loop: Header=BB506_796 Depth=1
	s_or_b64 exec, exec, s[18:19]
.LBB506_1162:                           ;   in Loop: Header=BB506_796 Depth=1
	s_or_b64 exec, exec, s[16:17]
	v_lshrrev_b16_e32 v6, 8, v4
	v_cmp_ne_u16_e32 vcc, 0, v6
	v_mov_b32_e32 v8, 0
	v_mov_b32_e32 v16, 0
	s_and_saveexec_b64 s[16:17], vcc
	s_cbranch_execz .LBB506_1168
; %bb.1163:                             ;   in Loop: Header=BB506_796 Depth=1
	v_cmp_ne_u16_e32 vcc, s5, v6
	v_bfrev_b32_e32 v16, 1
	s_and_saveexec_b64 s[18:19], vcc
	s_cbranch_execz .LBB506_1167
; %bb.1164:                             ;   in Loop: Header=BB506_796 Depth=1
	v_and_b32_e32 v17, 0x7f, v6
	v_cmp_ne_u32_e32 vcc, s22, v17
	v_mov_b32_e32 v16, 0x7f800001
	s_and_saveexec_b64 s[20:21], vcc
	s_cbranch_execz .LBB506_1166
; %bb.1165:                             ;   in Loop: Header=BB506_796 Depth=1
	v_and_b32_e32 v16, 7, v6
	v_ffbh_u32_e32 v18, v16
	v_min_u32_e32 v21, 32, v18
	v_subrev_u32_e32 v18, 28, v21
	v_lshlrev_b64 v[18:19], v18, v[6:7]
	v_lshrrev_b32_e32 v20, 3, v17
	v_sub_u32_e32 v6, 29, v21
	v_and_b32_e32 v18, 7, v18
	v_cmp_gt_u32_e32 vcc, 8, v17
	v_cndmask_b32_e32 v6, v20, v6, vcc
	v_cndmask_b32_e32 v16, v16, v18, vcc
	v_lshlrev_b32_e32 v17, 16, v4
	v_lshlrev_b32_e32 v16, 20, v16
	v_and_b32_e32 v17, 0x80000000, v17
	v_lshl_add_u32 v6, v6, 23, v10
	v_or3_b32 v16, v17, v6, v16
.LBB506_1166:                           ;   in Loop: Header=BB506_796 Depth=1
	s_or_b64 exec, exec, s[20:21]
.LBB506_1167:                           ;   in Loop: Header=BB506_796 Depth=1
	s_or_b64 exec, exec, s[18:19]
.LBB506_1168:                           ;   in Loop: Header=BB506_796 Depth=1
	s_or_b64 exec, exec, s[16:17]
	v_lshrrev_b32_e32 v6, 16, v4
	v_cmp_ne_u16_sdwa s[18:19], v6, v9 src0_sel:BYTE_0 src1_sel:DWORD
	s_and_saveexec_b64 s[16:17], s[18:19]
	s_cbranch_execz .LBB506_1174
; %bb.1169:                             ;   in Loop: Header=BB506_796 Depth=1
	v_cmp_ne_u16_sdwa s[20:21], v6, s5 src0_sel:BYTE_0 src1_sel:DWORD
	v_bfrev_b32_e32 v8, 1
	s_and_saveexec_b64 s[18:19], s[20:21]
	s_cbranch_execz .LBB506_1173
; %bb.1170:                             ;   in Loop: Header=BB506_796 Depth=1
	v_bfe_u32 v17, v4, 16, 7
	v_cmp_ne_u32_e32 vcc, s22, v17
	v_mov_b32_e32 v8, 0x7f800001
	s_and_saveexec_b64 s[20:21], vcc
	s_cbranch_execz .LBB506_1172
; %bb.1171:                             ;   in Loop: Header=BB506_796 Depth=1
	v_and_b32_e32 v8, 7, v6
	v_ffbh_u32_e32 v18, v8
	v_min_u32_e32 v21, 32, v18
	v_subrev_u32_e32 v18, 28, v21
	v_lshlrev_b64 v[18:19], v18, v[6:7]
	v_lshrrev_b32_e32 v20, 3, v17
	v_sub_u32_e32 v19, 29, v21
	v_and_b32_e32 v18, 7, v18
	v_cmp_gt_u32_e32 vcc, 8, v17
	v_cndmask_b32_e32 v17, v20, v19, vcc
	v_cndmask_b32_e32 v8, v8, v18, vcc
	v_lshlrev_b32_e32 v6, 24, v6
	v_lshlrev_b32_e32 v8, 20, v8
	v_and_b32_e32 v6, 0x80000000, v6
	v_lshl_add_u32 v17, v17, 23, v10
	v_or3_b32 v8, v6, v17, v8
.LBB506_1172:                           ;   in Loop: Header=BB506_796 Depth=1
	s_or_b64 exec, exec, s[20:21]
.LBB506_1173:                           ;   in Loop: Header=BB506_796 Depth=1
	s_or_b64 exec, exec, s[18:19]
.LBB506_1174:                           ;   in Loop: Header=BB506_796 Depth=1
	s_or_b64 exec, exec, s[16:17]
	v_cmp_lt_u32_e32 vcc, s23, v4
	v_mov_b32_e32 v17, 0
	s_and_saveexec_b64 s[16:17], vcc
	s_cbranch_execz .LBB506_795
; %bb.1175:                             ;   in Loop: Header=BB506_796 Depth=1
	v_lshrrev_b32_e32 v6, 24, v4
	v_cmp_ne_u32_e32 vcc, s5, v6
	v_bfrev_b32_e32 v17, 1
	s_and_saveexec_b64 s[18:19], vcc
	s_cbranch_execz .LBB506_794
; %bb.1176:                             ;   in Loop: Header=BB506_796 Depth=1
	v_bfe_u32 v4, v4, 24, 7
	v_cmp_ne_u32_e32 vcc, s22, v4
	v_mov_b32_e32 v17, 0x7f800001
	s_and_saveexec_b64 s[20:21], vcc
	s_cbranch_execz .LBB506_793
; %bb.1177:                             ;   in Loop: Header=BB506_796 Depth=1
	v_and_b32_e32 v17, 7, v6
	v_ffbh_u32_e32 v18, v17
	v_min_u32_e32 v21, 32, v18
	v_subrev_u32_e32 v18, 28, v21
	v_lshlrev_b64 v[18:19], v18, v[6:7]
	v_lshrrev_b32_e32 v20, 3, v4
	v_sub_u32_e32 v19, 29, v21
	v_and_b32_e32 v18, 7, v18
	v_cmp_gt_u32_e32 vcc, 8, v4
	v_cndmask_b32_e32 v4, v20, v19, vcc
	v_cndmask_b32_e32 v17, v17, v18, vcc
	v_lshlrev_b32_e32 v6, 24, v6
	v_lshlrev_b32_e32 v17, 20, v17
	v_and_b32_e32 v6, 0x80000000, v6
	v_lshl_add_u32 v4, v4, 23, v10
	v_or3_b32 v17, v6, v4, v17
	s_branch .LBB506_793
.LBB506_1178:
	s_or_b64 exec, exec, s[6:7]
	v_cmp_gt_u32_e32 vcc, 64, v0
	s_waitcnt lgkmcnt(0)
	s_barrier
	s_and_saveexec_b64 s[6:7], vcc
	s_cbranch_execz .LBB506_1180
; %bb.1179:
	v_mov_b32_e32 v2, 0xa00
	v_mad_u32_u24 v2, v1, 40, v2
	v_mov_b32_e32 v6, 0xa10
	ds_read2_b64 v[2:5], v2 offset1:1
	s_waitcnt lgkmcnt(0)
	v_mad_u32_u24 v3, v1, 40, v6
	ds_read2_b64 v[6:9], v3 offset1:1
	s_mov_b32 s5, 0
	s_lshl_b32 s4, s4, 7
	s_lshl_b64 s[6:7], s[4:5], 1
	s_add_u32 s6, s30, s6
	v_mul_u32_u24_e32 v5, 40, v1
	v_pk_add_f16 v1, v2, 0
	s_addc_u32 s7, s31, s7
	s_lshl_b32 s4, s28, 7
	v_pk_add_f16 v1, v1, v4
	s_lshl_b64 s[4:5], s[4:5], 1
	s_waitcnt lgkmcnt(0)
	v_pk_add_f16 v1, v1, v6
	s_add_u32 s4, s6, s4
	s_mul_i32 s6, s10, s33
	v_pk_add_f16 v10, v1, v8
	v_lshl_or_b32 v0, s6, 7, v0
	v_mov_b32_e32 v1, 0
	v_lshlrev_b64 v[8:9], 1, v[0:1]
	ds_read2_b64 v[0:3], v5 offset1:1
	ds_read2_b64 v[4:7], v5 offset0:2 offset1:3
	s_addc_u32 s5, s7, s5
	v_mov_b32_e32 v11, s5
	v_add_co_u32_e32 v8, vcc, s4, v8
	s_waitcnt lgkmcnt(1)
	v_pk_add_f16 v0, v0, 0
	v_pk_add_f16 v0, v0, v2
	s_waitcnt lgkmcnt(0)
	v_pk_add_f16 v0, v0, v4
	v_addc_co_u32_e32 v9, vcc, v11, v9, vcc
	v_pk_add_f16 v0, v0, v6
	global_store_short v[8:9], v0, off
	global_store_short v[8:9], v10, off offset:128
.LBB506_1180:
	s_endpgm
	.section	.rodata,"a",@progbits
	.p2align	6, 0x0
	.amdhsa_kernel _Z38paged_attention_ll4mi_QKV_mfma4_kernelIDF16_hLN4vllm18Fp8KVCacheDataTypeE1EDF16_Li32ELi128ELi256ELb1ELi1EEvPKT_PKT0_S7_ifPKiS9_S9_iPKfiiiPfSC_PS2_PT2_iSB_SB_
		.amdhsa_group_segment_fixed_size 5280
		.amdhsa_private_segment_fixed_size 144
		.amdhsa_kernarg_size 400
		.amdhsa_user_sgpr_count 8
		.amdhsa_user_sgpr_private_segment_buffer 1
		.amdhsa_user_sgpr_dispatch_ptr 0
		.amdhsa_user_sgpr_queue_ptr 0
		.amdhsa_user_sgpr_kernarg_segment_ptr 1
		.amdhsa_user_sgpr_dispatch_id 0
		.amdhsa_user_sgpr_flat_scratch_init 1
		.amdhsa_user_sgpr_kernarg_preload_length 0
		.amdhsa_user_sgpr_kernarg_preload_offset 0
		.amdhsa_user_sgpr_private_segment_size 0
		.amdhsa_uses_dynamic_stack 0
		.amdhsa_system_sgpr_private_segment_wavefront_offset 1
		.amdhsa_system_sgpr_workgroup_id_x 1
		.amdhsa_system_sgpr_workgroup_id_y 1
		.amdhsa_system_sgpr_workgroup_id_z 1
		.amdhsa_system_sgpr_workgroup_info 0
		.amdhsa_system_vgpr_workitem_id 0
		.amdhsa_next_free_vgpr 84
		.amdhsa_next_free_sgpr 46
		.amdhsa_accum_offset 80
		.amdhsa_reserve_vcc 1
		.amdhsa_reserve_flat_scratch 0
		.amdhsa_float_round_mode_32 0
		.amdhsa_float_round_mode_16_64 0
		.amdhsa_float_denorm_mode_32 3
		.amdhsa_float_denorm_mode_16_64 3
		.amdhsa_dx10_clamp 1
		.amdhsa_ieee_mode 1
		.amdhsa_fp16_overflow 0
		.amdhsa_tg_split 0
		.amdhsa_exception_fp_ieee_invalid_op 0
		.amdhsa_exception_fp_denorm_src 0
		.amdhsa_exception_fp_ieee_div_zero 0
		.amdhsa_exception_fp_ieee_overflow 0
		.amdhsa_exception_fp_ieee_underflow 0
		.amdhsa_exception_fp_ieee_inexact 0
		.amdhsa_exception_int_div_zero 0
	.end_amdhsa_kernel
	.section	.text._Z38paged_attention_ll4mi_QKV_mfma4_kernelIDF16_hLN4vllm18Fp8KVCacheDataTypeE1EDF16_Li32ELi128ELi256ELb1ELi1EEvPKT_PKT0_S7_ifPKiS9_S9_iPKfiiiPfSC_PS2_PT2_iSB_SB_,"axG",@progbits,_Z38paged_attention_ll4mi_QKV_mfma4_kernelIDF16_hLN4vllm18Fp8KVCacheDataTypeE1EDF16_Li32ELi128ELi256ELb1ELi1EEvPKT_PKT0_S7_ifPKiS9_S9_iPKfiiiPfSC_PS2_PT2_iSB_SB_,comdat
.Lfunc_end506:
	.size	_Z38paged_attention_ll4mi_QKV_mfma4_kernelIDF16_hLN4vllm18Fp8KVCacheDataTypeE1EDF16_Li32ELi128ELi256ELb1ELi1EEvPKT_PKT0_S7_ifPKiS9_S9_iPKfiiiPfSC_PS2_PT2_iSB_SB_, .Lfunc_end506-_Z38paged_attention_ll4mi_QKV_mfma4_kernelIDF16_hLN4vllm18Fp8KVCacheDataTypeE1EDF16_Li32ELi128ELi256ELb1ELi1EEvPKT_PKT0_S7_ifPKiS9_S9_iPKfiiiPfSC_PS2_PT2_iSB_SB_
                                        ; -- End function
	.section	.AMDGPU.csdata,"",@progbits
; Kernel info:
; codeLenInByte = 40428
; NumSgprs: 50
; NumVgprs: 80
; NumAgprs: 4
; TotalNumVgprs: 84
; ScratchSize: 144
; MemoryBound: 0
; FloatMode: 240
; IeeeMode: 1
; LDSByteSize: 5280 bytes/workgroup (compile time only)
; SGPRBlocks: 6
; VGPRBlocks: 10
; NumSGPRsForWavesPerEU: 50
; NumVGPRsForWavesPerEU: 84
; AccumOffset: 80
; Occupancy: 5
; WaveLimiterHint : 1
; COMPUTE_PGM_RSRC2:SCRATCH_EN: 1
; COMPUTE_PGM_RSRC2:USER_SGPR: 8
; COMPUTE_PGM_RSRC2:TRAP_HANDLER: 0
; COMPUTE_PGM_RSRC2:TGID_X_EN: 1
; COMPUTE_PGM_RSRC2:TGID_Y_EN: 1
; COMPUTE_PGM_RSRC2:TGID_Z_EN: 1
; COMPUTE_PGM_RSRC2:TIDIG_COMP_CNT: 0
; COMPUTE_PGM_RSRC3_GFX90A:ACCUM_OFFSET: 19
; COMPUTE_PGM_RSRC3_GFX90A:TG_SPLIT: 0
	.section	.text._Z38paged_attention_ll4mi_QKV_mfma4_kernelIDF16_hLN4vllm18Fp8KVCacheDataTypeE1EDF16_Li32ELi128ELi256ELb1ELi2EEvPKT_PKT0_S7_ifPKiS9_S9_iPKfiiiPfSC_PS2_PT2_iSB_SB_,"axG",@progbits,_Z38paged_attention_ll4mi_QKV_mfma4_kernelIDF16_hLN4vllm18Fp8KVCacheDataTypeE1EDF16_Li32ELi128ELi256ELb1ELi2EEvPKT_PKT0_S7_ifPKiS9_S9_iPKfiiiPfSC_PS2_PT2_iSB_SB_,comdat
	.protected	_Z38paged_attention_ll4mi_QKV_mfma4_kernelIDF16_hLN4vllm18Fp8KVCacheDataTypeE1EDF16_Li32ELi128ELi256ELb1ELi2EEvPKT_PKT0_S7_ifPKiS9_S9_iPKfiiiPfSC_PS2_PT2_iSB_SB_ ; -- Begin function _Z38paged_attention_ll4mi_QKV_mfma4_kernelIDF16_hLN4vllm18Fp8KVCacheDataTypeE1EDF16_Li32ELi128ELi256ELb1ELi2EEvPKT_PKT0_S7_ifPKiS9_S9_iPKfiiiPfSC_PS2_PT2_iSB_SB_
	.globl	_Z38paged_attention_ll4mi_QKV_mfma4_kernelIDF16_hLN4vllm18Fp8KVCacheDataTypeE1EDF16_Li32ELi128ELi256ELb1ELi2EEvPKT_PKT0_S7_ifPKiS9_S9_iPKfiiiPfSC_PS2_PT2_iSB_SB_
	.p2align	8
	.type	_Z38paged_attention_ll4mi_QKV_mfma4_kernelIDF16_hLN4vllm18Fp8KVCacheDataTypeE1EDF16_Li32ELi128ELi256ELb1ELi2EEvPKT_PKT0_S7_ifPKiS9_S9_iPKfiiiPfSC_PS2_PT2_iSB_SB_,@function
_Z38paged_attention_ll4mi_QKV_mfma4_kernelIDF16_hLN4vllm18Fp8KVCacheDataTypeE1EDF16_Li32ELi128ELi256ELb1ELi2EEvPKT_PKT0_S7_ifPKiS9_S9_iPKfiiiPfSC_PS2_PT2_iSB_SB_: ; @_Z38paged_attention_ll4mi_QKV_mfma4_kernelIDF16_hLN4vllm18Fp8KVCacheDataTypeE1EDF16_Li32ELi128ELi256ELb1ELi2EEvPKT_PKT0_S7_ifPKiS9_S9_iPKfiiiPfSC_PS2_PT2_iSB_SB_
; %bb.0:
	s_load_dwordx2 s[20:21], s[4:5], 0x30
	s_add_u32 s0, s0, s11
	s_addc_u32 s1, s1, 0
	s_mov_b32 s24, s9
	s_mov_b64 s[6:7], 0
	s_waitcnt lgkmcnt(0)
	s_cmp_lg_u64 s[20:21], 0
	s_cselect_b64 s[22:23], -1, 0
	s_and_b64 vcc, exec, s[22:23]
	s_cbranch_vccz .LBB507_10
; %bb.1:
	s_add_i32 s12, s8, 1
	s_mov_b32 s13, 0
	s_lshl_b64 s[14:15], s[12:13], 2
	s_add_u32 s14, s20, s14
	s_mov_b32 s9, s13
	s_addc_u32 s15, s21, s15
	s_lshl_b64 s[12:13], s[8:9], 2
	s_add_u32 s12, s20, s12
	s_addc_u32 s13, s21, s13
	s_load_dword s11, s[14:15], 0x0
	s_load_dword s16, s[12:13], 0x0
	s_waitcnt lgkmcnt(0)
	s_sub_i32 s11, s11, s16
	s_cmp_eq_u32 s11, 1
	s_cselect_b64 s[12:13], -1, 0
	s_andn2_b64 vcc, exec, s[6:7]
	s_cbranch_vccnz .LBB507_3
.LBB507_2:
	s_mov_b32 s9, 0
	s_mov_b64 s[12:13], -1
.LBB507_3:
	s_andn2_b64 vcc, exec, s[12:13]
	s_cbranch_vccnz .LBB507_1180
; %bb.4:
	s_load_dword s11, s[4:5], 0x9c
	s_load_dwordx2 s[6:7], s[4:5], 0x28
	s_add_u32 s28, s4, 0x90
	s_addc_u32 s29, s5, 0
	s_lshl_b64 s[34:35], s[8:9], 2
	s_waitcnt lgkmcnt(0)
	s_and_b32 s11, s11, 0xffff
	s_add_u32 s6, s6, s34
	s_addc_u32 s7, s7, s35
	s_load_dword s9, s[6:7], 0x0
	s_mul_i32 s11, s24, s11
	s_waitcnt lgkmcnt(0)
	s_cmp_ge_i32 s11, s9
	s_cbranch_scc1 .LBB507_1180
; %bb.5:
	v_and_b32_e32 v1, 0xc0, v0
	v_add_u32_e32 v7, s11, v1
	v_lshrrev_b32_e32 v42, 6, v0
	v_cmp_le_i32_e64 s[6:7], s9, v7
                                        ; implicit-def: $sgpr36
                                        ; implicit-def: $sgpr25
	s_and_saveexec_b64 s[12:13], s[6:7]
	s_xor_b64 s[12:13], exec, s[12:13]
	s_cbranch_execz .LBB507_7
; %bb.6:
	v_mul_u32_u24_e32 v1, 20, v42
	v_or_b32_e32 v1, 0x1400, v1
	v_mov_b32_e32 v2, 0x1450
	v_mov_b32_e32 v3, 0xff7fffff
	v_mad_u32_u24 v2, v42, 20, v2
	ds_write2_b32 v1, v3, v3 offset1:1
	v_mov_b32_e32 v1, 0
	ds_write2_b32 v2, v1, v1 offset1:1
	v_mov_b32_e32 v2, 0x1408
	s_mov_b32 s25, 0xff7fffff
	s_mov_b32 s36, 0
	v_mad_u32_u24 v2, v42, 20, v2
	v_mov_b32_e32 v4, 0x1458
	v_mad_u32_u24 v4, v42, 20, v4
	ds_write2_b32 v2, v3, v3 offset1:1
	ds_write2_b32 v4, v1, v1 offset1:1
                                        ; implicit-def: $vgpr7
.LBB507_7:
	s_or_saveexec_b64 s[30:31], s[12:13]
	s_load_dwordx2 s[26:27], s[4:5], 0x68
	s_load_dwordx4 s[16:19], s[4:5], 0x58
	s_load_dword s33, s[28:29], 0x4
	s_load_dwordx4 s[12:15], s[4:5], 0x80
	v_and_b32_e32 v1, 63, v0
	v_and_b32_e32 v43, 3, v0
	s_lshl_b32 s42, s10, 1
	v_mov_b32_e32 v5, s36
	v_mov_b32_e32 v6, s25
	;; [unrolled: 1-line block ×5, first 2 shown]
	s_xor_b64 exec, exec, s[30:31]
	s_cbranch_execz .LBB507_787
; %bb.8:
	s_add_i32 s38, s9, 31
	s_load_dwordx2 s[36:37], s[4:5], 0x20
	s_load_dword s25, s[4:5], 0x38
	s_ashr_i32 s39, s38, 31
	s_lshr_b32 s39, s39, 27
	v_add_u32_e32 v44, s11, v0
	s_add_i32 s38, s38, s39
	v_ashrrev_i32_e32 v2, 31, v44
	s_ashr_i32 s38, s38, 5
	v_lshrrev_b32_e32 v2, 27, v2
	s_add_i32 s40, s38, -1
	v_add_u32_e32 v2, v44, v2
	s_waitcnt lgkmcnt(0)
	s_mul_i32 s38, s8, s25
	s_mov_b32 s39, 0
	v_ashrrev_i32_e32 v2, 5, v2
	v_mov_b32_e32 v3, s40
	v_cmp_gt_i32_e32 vcc, s9, v44
	s_lshl_b64 s[38:39], s[38:39], 2
	v_cndmask_b32_e32 v2, v3, v2, vcc
	s_add_u32 s25, s36, s38
	v_ashrrev_i32_e32 v3, 31, v2
	s_addc_u32 s36, s37, s39
	v_lshlrev_b64 v[2:3], 2, v[2:3]
	v_mov_b32_e32 v4, s36
	v_add_co_u32_e32 v2, vcc, s25, v2
	v_addc_co_u32_e32 v3, vcc, v4, v3, vcc
	v_ashrrev_i32_e32 v4, 31, v7
	v_lshrrev_b32_e32 v4, 27, v4
	v_add_u32_e32 v4, v7, v4
	v_ashrrev_i32_e32 v6, 5, v4
	v_min_i32_e32 v4, s40, v6
	v_ashrrev_i32_e32 v5, 31, v4
	v_lshlrev_b64 v[4:5], 2, v[4:5]
	v_add_u32_e32 v6, 1, v6
	v_mov_b32_e32 v7, s36
	v_add_co_u32_e32 v4, vcc, s25, v4
	v_min_i32_e32 v6, s40, v6
	v_addc_co_u32_e32 v5, vcc, v7, v5, vcc
	v_ashrrev_i32_e32 v7, 31, v6
	v_lshlrev_b64 v[6:7], 2, v[6:7]
	v_mov_b32_e32 v9, s36
	v_add_co_u32_e32 v8, vcc, s25, v6
	v_addc_co_u32_e32 v9, vcc, v9, v7, vcc
	global_load_dword v6, v[2:3], off
	global_load_dword v41, v[4:5], off
	;; [unrolled: 1-line block ×3, first 2 shown]
	s_load_dwordx2 s[36:37], s[4:5], 0x8
	s_andn2_b64 vcc, exec, s[22:23]
	s_cbranch_vccnz .LBB507_11
; %bb.9:
	s_add_u32 s20, s20, s34
	s_addc_u32 s21, s21, s35
	s_load_dword s11, s[20:21], 0x0
	s_branch .LBB507_12
.LBB507_10:
	s_mov_b64 s[12:13], 0
	s_branch .LBB507_2
.LBB507_11:
	s_mov_b32 s11, s8
.LBB507_12:
	s_load_dwordx2 s[34:35], s[4:5], 0x10
	s_load_dwordx4 s[20:23], s[4:5], 0x48
	v_cmp_gt_u32_e32 vcc, 2, v43
	s_mov_b32 s41, 0
	v_mov_b32_e32 v46, 0
	v_mov_b32_e32 v2, 0
	;; [unrolled: 1-line block ×5, first 2 shown]
	s_and_saveexec_b64 s[38:39], vcc
	s_cbranch_execz .LBB507_14
; %bb.13:
	s_load_dwordx2 s[44:45], s[4:5], 0x0
	s_waitcnt lgkmcnt(0)
	s_ashr_i32 s23, s20, 31
	s_mul_hi_u32 s25, s11, s20
	s_mul_i32 s23, s11, s23
	s_add_i32 s47, s25, s23
	s_mul_i32 s46, s11, s20
	s_lshl_b64 s[46:47], s[46:47], 1
	s_add_u32 s11, s44, s46
	s_addc_u32 s20, s45, s47
	s_lshl_b32 s40, s10, 8
	s_lshl_b64 s[40:41], s[40:41], 1
	v_lshlrev_b32_e32 v2, 2, v1
	s_add_u32 s40, s11, s40
	v_and_b32_e32 v2, 0xf0, v2
	s_addc_u32 s41, s20, s41
	v_lshl_or_b32 v2, v43, 8, v2
	global_load_dwordx4 v[2:5], v2, s[40:41]
.LBB507_14:
	s_or_b64 exec, exec, s[38:39]
	s_waitcnt lgkmcnt(0)
	s_mul_i32 s20, s10, s22
	s_add_u32 s10, s20, s36
	s_addc_u32 s11, 0, s37
	v_pk_mov_b32 v[8:9], s[10:11], s[10:11] op_sel:[0,1]
	s_waitcnt vmcnt(2)
	v_mad_i64_i32 v[6:7], s[10:11], v6, s21, v[8:9]
	v_lshlrev_b32_e32 v8, 4, v0
	v_and_b32_e32 v8, 0x1f0, v8
	v_add_co_u32_e64 v38, s[10:11], v6, v8
	v_addc_co_u32_e64 v39, s[10:11], 0, v7, s[10:11]
	global_load_dwordx4 v[34:37], v[38:39], off
	global_load_dwordx4 v[30:33], v[38:39], off offset:512
	global_load_dwordx4 v[26:29], v[38:39], off offset:1024
	;; [unrolled: 1-line block ×7, first 2 shown]
	v_mov_b32_e32 v45, 0
	s_and_saveexec_b64 s[10:11], vcc
	s_cbranch_execz .LBB507_16
; %bb.15:
	s_load_dwordx2 s[22:23], s[4:5], 0x40
	v_or_b32_e32 v38, s42, v43
	v_mov_b32_e32 v39, 0
	v_lshlrev_b64 v[38:39], 2, v[38:39]
	s_waitcnt lgkmcnt(0)
	v_mov_b32_e32 v45, s23
	v_add_co_u32_e32 v38, vcc, s22, v38
	v_addc_co_u32_e32 v39, vcc, v45, v39, vcc
	global_load_dword v45, v[38:39], off
.LBB507_16:
	s_or_b64 exec, exec, s[10:11]
	s_waitcnt vmcnt(9)
	v_mul_hi_i32 v38, v41, s21
	v_ashrrev_i32_e32 v38, 31, v38
	v_lshrrev_b32_e32 v38, 29, v38
	v_mov_b32_e32 v39, 0
	s_add_u32 s20, s34, s20
	v_mad_i64_i32 v[48:49], s[10:11], v41, s21, v[38:39]
	s_addc_u32 s22, s35, 0
	v_and_b32_e32 v38, -8, v48
	v_mov_b32_e32 v41, s22
	v_add_co_u32_e32 v38, vcc, s20, v38
	v_addc_co_u32_e32 v41, vcc, v41, v49, vcc
	v_lshlrev_b32_e32 v47, 5, v1
	v_add_co_u32_e32 v64, vcc, v38, v47
	s_waitcnt vmcnt(8)
	v_mul_hi_i32 v38, v40, s21
	v_ashrrev_i32_e32 v38, 31, v38
	v_lshrrev_b32_e32 v38, 29, v38
	v_addc_co_u32_e32 v65, vcc, 0, v41, vcc
	v_mad_i64_i32 v[40:41], s[10:11], v40, s21, v[38:39]
	v_and_b32_e32 v38, -8, v40
	v_mov_b32_e32 v40, s22
	v_add_co_u32_e32 v38, vcc, s20, v38
	v_addc_co_u32_e32 v41, vcc, v40, v41, vcc
	v_add_co_u32_e32 v40, vcc, v38, v47
	v_addc_co_u32_e32 v41, vcc, 0, v41, vcc
	global_load_dwordx4 v[48:51], v[64:65], off offset:16
	global_load_dwordx4 v[52:55], v[64:65], off
	global_load_dwordx4 v[56:59], v[64:65], off offset:2064
	global_load_dwordx4 v[60:63], v[64:65], off offset:2048
	s_nop 0
	global_load_dwordx4 v[64:67], v[40:41], off
	global_load_dwordx4 v[68:71], v[40:41], off offset:16
	global_load_dwordx4 v[72:75], v[40:41], off offset:2048
	;; [unrolled: 1-line block ×3, first 2 shown]
	s_waitcnt vmcnt(15)
	v_cmp_ne_u16_sdwa s[20:21], v34, v39 src0_sel:BYTE_0 src1_sel:DWORD
	s_waitcnt vmcnt(6)
	buffer_store_dword v53, off, s[0:3], 0 offset:4
	buffer_store_dword v52, off, s[0:3], 0
	buffer_store_dword v55, off, s[0:3], 0 offset:12
	buffer_store_dword v54, off, s[0:3], 0 offset:8
	;; [unrolled: 1-line block ×6, first 2 shown]
	s_waitcnt vmcnt(12)
	buffer_store_dword v61, off, s[0:3], 0 offset:68
	buffer_store_dword v60, off, s[0:3], 0 offset:64
	buffer_store_dword v63, off, s[0:3], 0 offset:76
	buffer_store_dword v62, off, s[0:3], 0 offset:72
	buffer_store_dword v57, off, s[0:3], 0 offset:84
	buffer_store_dword v56, off, s[0:3], 0 offset:80
	buffer_store_dword v59, off, s[0:3], 0 offset:92
	buffer_store_dword v58, off, s[0:3], 0 offset:88
	s_waitcnt vmcnt(19)
	buffer_store_dword v65, off, s[0:3], 0 offset:36
	buffer_store_dword v64, off, s[0:3], 0 offset:32
	buffer_store_dword v67, off, s[0:3], 0 offset:44
	buffer_store_dword v66, off, s[0:3], 0 offset:40
	s_waitcnt vmcnt(22)
	buffer_store_dword v69, off, s[0:3], 0 offset:52
	buffer_store_dword v68, off, s[0:3], 0 offset:48
	buffer_store_dword v71, off, s[0:3], 0 offset:60
	buffer_store_dword v70, off, s[0:3], 0 offset:56
	;; [unrolled: 5-line block ×4, first 2 shown]
	s_and_saveexec_b64 s[10:11], s[20:21]
	s_cbranch_execz .LBB507_22
; %bb.17:
	s_movk_i32 s20, 0x80
	v_cmp_ne_u16_sdwa s[22:23], v34, s20 src0_sel:BYTE_0 src1_sel:DWORD
	v_bfrev_b32_e32 v46, 1
	s_and_saveexec_b64 s[20:21], s[22:23]
	s_cbranch_execz .LBB507_21
; %bb.18:
	s_movk_i32 s22, 0x7f
	v_and_b32_e32 v38, 0x7f, v34
	v_cmp_ne_u32_e32 vcc, s22, v38
	v_mov_b32_e32 v46, 0x7f800001
	s_and_saveexec_b64 s[22:23], vcc
	s_cbranch_execz .LBB507_20
; %bb.19:
	v_and_b32_e32 v40, 7, v34
	v_ffbh_u32_e32 v40, v40
	v_min_u32_e32 v40, 32, v40
	v_lshrrev_b32_e32 v41, 3, v38
	v_subrev_u32_e32 v46, 28, v40
	v_sub_u32_e32 v40, 29, v40
	v_cmp_gt_u32_e32 vcc, 8, v38
	v_cndmask_b32_e32 v38, v41, v40, vcc
	v_cndmask_b32_e32 v40, 0, v46, vcc
	v_lshlrev_b64 v[40:41], v40, v[34:35]
	v_lshlrev_b32_e32 v40, 20, v40
	v_lshlrev_b32_e32 v41, 24, v34
	v_bfrev_b32_e32 v46, 60
	v_and_b32_e32 v40, 0x700000, v40
	v_and_b32_e32 v41, 0x80000000, v41
	v_lshl_add_u32 v38, v38, 23, v46
	v_or3_b32 v46, v41, v38, v40
.LBB507_20:
	s_or_b64 exec, exec, s[22:23]
.LBB507_21:
	s_or_b64 exec, exec, s[20:21]
.LBB507_22:
	s_or_b64 exec, exec, s[10:11]
	v_lshrrev_b16_e32 v38, 8, v34
	v_cmp_ne_u16_e32 vcc, 0, v38
	v_mov_b32_e32 v47, 0
	s_and_saveexec_b64 s[10:11], vcc
	s_cbranch_execz .LBB507_28
; %bb.23:
	s_movk_i32 s20, 0x80
	v_cmp_ne_u16_e32 vcc, s20, v38
	v_bfrev_b32_e32 v47, 1
	s_and_saveexec_b64 s[20:21], vcc
	s_cbranch_execz .LBB507_27
; %bb.24:
	s_movk_i32 s22, 0x7f
	v_and_b32_e32 v40, 0x7f, v38
	v_cmp_ne_u32_e32 vcc, s22, v40
	v_mov_b32_e32 v47, 0x7f800001
	s_and_saveexec_b64 s[22:23], vcc
	s_cbranch_execz .LBB507_26
; %bb.25:
	v_and_b32_e32 v41, 7, v38
	v_ffbh_u32_e32 v48, v41
	v_min_u32_e32 v50, 32, v48
	v_subrev_u32_e32 v48, 28, v50
	v_lshlrev_b64 v[48:49], v48, v[38:39]
	v_lshrrev_b32_e32 v47, 3, v40
	v_sub_u32_e32 v38, 29, v50
	v_and_b32_e32 v48, 7, v48
	v_cmp_gt_u32_e32 vcc, 8, v40
	v_cndmask_b32_e32 v38, v47, v38, vcc
	v_cndmask_b32_e32 v40, v41, v48, vcc
	v_lshlrev_b32_e32 v41, 16, v34
	v_bfrev_b32_e32 v47, 60
	v_lshlrev_b32_e32 v40, 20, v40
	v_and_b32_e32 v41, 0x80000000, v41
	v_lshl_add_u32 v38, v38, 23, v47
	v_or3_b32 v47, v41, v38, v40
.LBB507_26:
	s_or_b64 exec, exec, s[22:23]
.LBB507_27:
	s_or_b64 exec, exec, s[20:21]
.LBB507_28:
	s_or_b64 exec, exec, s[10:11]
	s_movk_i32 s10, 0xff
	v_and_b32_sdwa v40, v34, s10 dst_sel:DWORD dst_unused:UNUSED_PAD src0_sel:WORD_1 src1_sel:DWORD
	v_lshrrev_b32_e32 v38, 16, v34
	v_cmp_ne_u16_e32 vcc, 0, v40
	s_and_saveexec_b64 s[10:11], vcc
	s_cbranch_execz .LBB507_34
; %bb.29:
	s_movk_i32 s20, 0x80
	v_cmp_ne_u16_e32 vcc, s20, v40
	v_bfrev_b32_e32 v39, 1
	s_and_saveexec_b64 s[20:21], vcc
	s_cbranch_execz .LBB507_33
; %bb.30:
	v_bfe_u32 v40, v34, 16, 7
	s_movk_i32 s22, 0x7f
	v_cmp_ne_u32_e32 vcc, s22, v40
	v_mov_b32_e32 v39, 0x7f800001
	s_and_saveexec_b64 s[22:23], vcc
	s_cbranch_execz .LBB507_32
; %bb.31:
	v_and_b32_e32 v41, 7, v38
	v_ffbh_u32_e32 v39, v41
	v_min_u32_e32 v49, 32, v39
	v_subrev_u32_e32 v39, 28, v49
	v_lshlrev_b64 v[38:39], v39, v[38:39]
	v_lshrrev_b32_e32 v48, 3, v40
	v_sub_u32_e32 v39, 29, v49
	v_and_b32_e32 v38, 7, v38
	v_cmp_gt_u32_e32 vcc, 8, v40
	v_mov_b32_e32 v40, 24
	v_cndmask_b32_e32 v39, v48, v39, vcc
	v_cndmask_b32_e32 v38, v41, v38, vcc
	v_lshlrev_b32_sdwa v40, v40, v34 dst_sel:DWORD dst_unused:UNUSED_PAD src0_sel:DWORD src1_sel:WORD_1
	v_bfrev_b32_e32 v41, 60
	v_lshlrev_b32_e32 v38, 20, v38
	v_and_b32_e32 v40, 0x80000000, v40
	v_lshl_add_u32 v39, v39, 23, v41
	v_or3_b32 v39, v40, v39, v38
.LBB507_32:
	s_or_b64 exec, exec, s[22:23]
.LBB507_33:
	s_or_b64 exec, exec, s[20:21]
.LBB507_34:
	s_or_b64 exec, exec, s[10:11]
	s_mov_b32 s10, 0xffffff
	v_cmp_lt_u32_e32 vcc, s10, v34
	v_mov_b32_e32 v41, 0
	v_mov_b32_e32 v48, 0
	s_and_saveexec_b64 s[10:11], vcc
	s_cbranch_execz .LBB507_40
; %bb.35:
	v_lshrrev_b32_e32 v38, 24, v34
	s_movk_i32 s20, 0x80
	v_cmp_ne_u32_e32 vcc, s20, v38
	v_bfrev_b32_e32 v48, 1
	s_and_saveexec_b64 s[20:21], vcc
	s_cbranch_execz .LBB507_39
; %bb.36:
	v_bfe_u32 v40, v34, 24, 7
	s_movk_i32 s22, 0x7f
	v_cmp_ne_u32_e32 vcc, s22, v40
	v_mov_b32_e32 v48, 0x7f800001
	s_and_saveexec_b64 s[22:23], vcc
	s_cbranch_execz .LBB507_38
; %bb.37:
	v_and_b32_e32 v50, 7, v38
	v_ffbh_u32_e32 v48, v50
	v_min_u32_e32 v52, 32, v48
	v_subrev_u32_e32 v48, 28, v52
	v_lshlrev_b64 v[48:49], v48, v[38:39]
	v_lshrrev_b32_e32 v51, 3, v40
	v_sub_u32_e32 v49, 29, v52
	v_and_b32_e32 v48, 7, v48
	v_cmp_gt_u32_e32 vcc, 8, v40
	v_cndmask_b32_e32 v40, v51, v49, vcc
	v_cndmask_b32_e32 v48, v50, v48, vcc
	v_lshlrev_b32_e32 v38, 24, v38
	v_bfrev_b32_e32 v49, 60
	v_lshlrev_b32_e32 v48, 20, v48
	v_and_b32_e32 v38, 0x80000000, v38
	v_lshl_add_u32 v40, v40, 23, v49
	v_or3_b32 v48, v38, v40, v48
.LBB507_38:
	s_or_b64 exec, exec, s[22:23]
.LBB507_39:
	s_or_b64 exec, exec, s[20:21]
.LBB507_40:
	s_or_b64 exec, exec, s[10:11]
	v_mov_b32_e32 v40, v35
	v_cmp_ne_u16_sdwa s[20:21], v35, v41 src0_sel:BYTE_0 src1_sel:DWORD
	s_and_saveexec_b64 s[10:11], s[20:21]
	s_cbranch_execz .LBB507_46
; %bb.41:
	s_movk_i32 s20, 0x80
	v_cmp_ne_u16_sdwa s[22:23], v35, s20 src0_sel:BYTE_0 src1_sel:DWORD
	v_bfrev_b32_e32 v38, 1
	s_and_saveexec_b64 s[20:21], s[22:23]
	s_cbranch_execz .LBB507_45
; %bb.42:
	s_movk_i32 s22, 0x7f
	v_and_b32_e32 v49, 0x7f, v35
	v_cmp_ne_u32_e32 vcc, s22, v49
	v_mov_b32_e32 v38, 0x7f800001
	s_and_saveexec_b64 s[22:23], vcc
	s_cbranch_execz .LBB507_44
; %bb.43:
	v_and_b32_e32 v38, 7, v35
	v_ffbh_u32_e32 v38, v38
	v_min_u32_e32 v38, 32, v38
	v_subrev_u32_e32 v51, 28, v38
	v_cmp_gt_u32_e32 vcc, 8, v49
	v_lshrrev_b32_e32 v50, 3, v49
	v_sub_u32_e32 v38, 29, v38
	v_cndmask_b32_e32 v49, 0, v51, vcc
	v_cndmask_b32_e32 v38, v50, v38, vcc
	v_lshlrev_b64 v[50:51], v49, v[40:41]
	v_lshlrev_b32_e32 v41, 20, v50
	v_lshlrev_b32_e32 v49, 24, v40
	v_bfrev_b32_e32 v50, 60
	v_and_b32_e32 v41, 0x700000, v41
	v_and_b32_e32 v49, 0x80000000, v49
	v_lshl_add_u32 v38, v38, 23, v50
	v_or3_b32 v38, v49, v38, v41
.LBB507_44:
	s_or_b64 exec, exec, s[22:23]
.LBB507_45:
	s_or_b64 exec, exec, s[20:21]
	v_mov_b32_e32 v41, v38
.LBB507_46:
	s_or_b64 exec, exec, s[10:11]
	v_lshrrev_b16_e32 v38, 8, v40
	v_cmp_ne_u16_e32 vcc, 0, v38
	v_mov_b32_e32 v49, 0
	v_mov_b32_e32 v50, 0
	s_and_saveexec_b64 s[10:11], vcc
	s_cbranch_execz .LBB507_52
; %bb.47:
	s_movk_i32 s20, 0x80
	v_cmp_ne_u16_e32 vcc, s20, v38
	v_bfrev_b32_e32 v50, 1
	s_and_saveexec_b64 s[20:21], vcc
	s_cbranch_execz .LBB507_51
; %bb.48:
	s_movk_i32 s22, 0x7f
	v_and_b32_e32 v51, 0x7f, v38
	v_cmp_ne_u32_e32 vcc, s22, v51
	v_mov_b32_e32 v50, 0x7f800001
	s_and_saveexec_b64 s[22:23], vcc
	s_cbranch_execz .LBB507_50
; %bb.49:
	v_and_b32_e32 v50, 7, v38
	v_ffbh_u32_e32 v52, v50
	v_min_u32_e32 v55, 32, v52
	v_subrev_u32_e32 v52, 28, v55
	v_lshlrev_b64 v[52:53], v52, v[38:39]
	v_lshrrev_b32_e32 v54, 3, v51
	v_sub_u32_e32 v38, 29, v55
	v_and_b32_e32 v52, 7, v52
	v_cmp_gt_u32_e32 vcc, 8, v51
	v_cndmask_b32_e32 v38, v54, v38, vcc
	v_cndmask_b32_e32 v50, v50, v52, vcc
	v_lshlrev_b32_e32 v40, 16, v40
	v_bfrev_b32_e32 v51, 60
	v_lshlrev_b32_e32 v50, 20, v50
	v_and_b32_e32 v40, 0x80000000, v40
	v_lshl_add_u32 v38, v38, 23, v51
	v_or3_b32 v50, v40, v38, v50
.LBB507_50:
	s_or_b64 exec, exec, s[22:23]
.LBB507_51:
	s_or_b64 exec, exec, s[20:21]
.LBB507_52:
	s_or_b64 exec, exec, s[10:11]
	s_movk_i32 s10, 0xff
	v_and_b32_sdwa v40, v35, s10 dst_sel:DWORD dst_unused:UNUSED_PAD src0_sel:WORD_1 src1_sel:DWORD
	v_lshrrev_b32_e32 v38, 16, v35
	v_cmp_ne_u16_e32 vcc, 0, v40
	s_and_saveexec_b64 s[10:11], vcc
	s_cbranch_execz .LBB507_58
; %bb.53:
	s_movk_i32 s20, 0x80
	v_cmp_ne_u16_e32 vcc, s20, v40
	v_bfrev_b32_e32 v49, 1
	s_and_saveexec_b64 s[20:21], vcc
	s_cbranch_execz .LBB507_57
; %bb.54:
	v_bfe_u32 v40, v35, 16, 7
	s_movk_i32 s22, 0x7f
	v_cmp_ne_u32_e32 vcc, s22, v40
	v_mov_b32_e32 v49, 0x7f800001
	s_and_saveexec_b64 s[22:23], vcc
	s_cbranch_execz .LBB507_56
; %bb.55:
	v_and_b32_e32 v49, 7, v38
	v_ffbh_u32_e32 v52, v49
	v_min_u32_e32 v54, 32, v52
	v_subrev_u32_e32 v52, 28, v54
	v_lshlrev_b64 v[52:53], v52, v[38:39]
	v_and_b32_e32 v52, 7, v52
	v_cmp_gt_u32_e32 vcc, 8, v40
	v_lshrrev_b32_e32 v51, 3, v40
	v_sub_u32_e32 v38, 29, v54
	v_cndmask_b32_e32 v40, v49, v52, vcc
	v_mov_b32_e32 v49, 24
	v_cndmask_b32_e32 v38, v51, v38, vcc
	v_lshlrev_b32_sdwa v49, v49, v35 dst_sel:DWORD dst_unused:UNUSED_PAD src0_sel:DWORD src1_sel:WORD_1
	v_bfrev_b32_e32 v51, 60
	v_lshlrev_b32_e32 v40, 20, v40
	v_and_b32_e32 v49, 0x80000000, v49
	v_lshl_add_u32 v38, v38, 23, v51
	v_or3_b32 v49, v49, v38, v40
.LBB507_56:
	s_or_b64 exec, exec, s[22:23]
.LBB507_57:
	s_or_b64 exec, exec, s[20:21]
.LBB507_58:
	s_or_b64 exec, exec, s[10:11]
	s_mov_b32 s10, -1
	s_mov_b32 s11, 0xffffff
	v_cmp_lt_u64_e32 vcc, s[10:11], v[34:35]
	v_mov_b32_e32 v40, 0
	v_mov_b32_e32 v38, 0
	s_and_saveexec_b64 s[10:11], vcc
	s_cbranch_execz .LBB507_64
; %bb.59:
	v_lshrrev_b32_e32 v34, 24, v35
	s_movk_i32 s20, 0x80
	v_cmp_ne_u32_e32 vcc, s20, v34
	v_bfrev_b32_e32 v38, 1
	s_and_saveexec_b64 s[20:21], vcc
	s_cbranch_execz .LBB507_63
; %bb.60:
	v_bfe_u32 v35, v35, 24, 7
	s_movk_i32 s22, 0x7f
	v_cmp_ne_u32_e32 vcc, s22, v35
	v_mov_b32_e32 v38, 0x7f800001
	s_and_saveexec_b64 s[22:23], vcc
	s_cbranch_execz .LBB507_62
; %bb.61:
	v_and_b32_e32 v38, 7, v34
	v_ffbh_u32_e32 v52, v38
	v_min_u32_e32 v54, 32, v52
	v_subrev_u32_e32 v52, 28, v54
	v_lshlrev_b64 v[52:53], v52, v[34:35]
	v_lshrrev_b32_e32 v51, 3, v35
	v_sub_u32_e32 v53, 29, v54
	v_and_b32_e32 v52, 7, v52
	v_cmp_gt_u32_e32 vcc, 8, v35
	v_cndmask_b32_e32 v35, v51, v53, vcc
	v_cndmask_b32_e32 v38, v38, v52, vcc
	v_lshlrev_b32_e32 v34, 24, v34
	v_bfrev_b32_e32 v51, 60
	v_lshlrev_b32_e32 v38, 20, v38
	v_and_b32_e32 v34, 0x80000000, v34
	v_lshl_add_u32 v35, v35, 23, v51
	v_or3_b32 v38, v34, v35, v38
.LBB507_62:
	s_or_b64 exec, exec, s[22:23]
.LBB507_63:
	s_or_b64 exec, exec, s[20:21]
.LBB507_64:
	s_or_b64 exec, exec, s[10:11]
	v_cvt_pkrtz_f16_f32 v34, v46, v47
	v_cvt_pkrtz_f16_f32 v35, v39, v48
	;; [unrolled: 1-line block ×4, first 2 shown]
	v_mfma_f32_4x4x4f16 a[0:3], v[2:3], v[34:35], 0 cbsz:4
	v_cmp_ne_u16_sdwa s[20:21], v36, v40 src0_sel:BYTE_0 src1_sel:DWORD
	v_mfma_f32_4x4x4f16 a[0:3], v[4:5], v[46:47], a[0:3] cbsz:4
	s_and_saveexec_b64 s[10:11], s[20:21]
	s_cbranch_execz .LBB507_70
; %bb.65:
	s_movk_i32 s20, 0x80
	v_cmp_ne_u16_sdwa s[22:23], v36, s20 src0_sel:BYTE_0 src1_sel:DWORD
	v_bfrev_b32_e32 v40, 1
	s_and_saveexec_b64 s[20:21], s[22:23]
	s_cbranch_execz .LBB507_69
; %bb.66:
	s_movk_i32 s22, 0x7f
	v_and_b32_e32 v34, 0x7f, v36
	v_cmp_ne_u32_e32 vcc, s22, v34
	v_mov_b32_e32 v40, 0x7f800001
	s_and_saveexec_b64 s[22:23], vcc
	s_cbranch_execz .LBB507_68
; %bb.67:
	v_and_b32_e32 v35, 7, v36
	v_ffbh_u32_e32 v35, v35
	v_min_u32_e32 v35, 32, v35
	v_subrev_u32_e32 v39, 28, v35
	v_cmp_gt_u32_e32 vcc, 8, v34
	v_lshrrev_b32_e32 v38, 3, v34
	v_sub_u32_e32 v35, 29, v35
	v_cndmask_b32_e32 v34, 0, v39, vcc
	v_cndmask_b32_e32 v38, v38, v35, vcc
	v_lshlrev_b64 v[34:35], v34, v[36:37]
	v_lshlrev_b32_e32 v34, 20, v34
	v_lshlrev_b32_e32 v35, 24, v36
	v_bfrev_b32_e32 v39, 60
	v_and_b32_e32 v34, 0x700000, v34
	v_and_b32_e32 v35, 0x80000000, v35
	v_lshl_add_u32 v38, v38, 23, v39
	v_or3_b32 v40, v35, v38, v34
.LBB507_68:
	s_or_b64 exec, exec, s[22:23]
.LBB507_69:
	s_or_b64 exec, exec, s[20:21]
.LBB507_70:
	s_or_b64 exec, exec, s[10:11]
	v_lshrrev_b16_e32 v34, 8, v36
	v_cmp_ne_u16_e32 vcc, 0, v34
	v_mov_b32_e32 v39, 0
	v_mov_b32_e32 v41, 0
	s_and_saveexec_b64 s[10:11], vcc
	s_cbranch_execz .LBB507_76
; %bb.71:
	s_movk_i32 s20, 0x80
	v_cmp_ne_u16_e32 vcc, s20, v34
	v_bfrev_b32_e32 v41, 1
	s_and_saveexec_b64 s[20:21], vcc
	s_cbranch_execz .LBB507_75
; %bb.72:
	s_movk_i32 s22, 0x7f
	v_and_b32_e32 v35, 0x7f, v34
	v_cmp_ne_u32_e32 vcc, s22, v35
	v_mov_b32_e32 v41, 0x7f800001
	s_and_saveexec_b64 s[22:23], vcc
	s_cbranch_execz .LBB507_74
; %bb.73:
	v_and_b32_e32 v38, 7, v34
	v_ffbh_u32_e32 v46, v38
	v_min_u32_e32 v48, 32, v46
	v_subrev_u32_e32 v46, 28, v48
	v_lshlrev_b64 v[46:47], v46, v[34:35]
	v_lshrrev_b32_e32 v41, 3, v35
	v_sub_u32_e32 v34, 29, v48
	v_and_b32_e32 v46, 7, v46
	v_cmp_gt_u32_e32 vcc, 8, v35
	v_cndmask_b32_e32 v34, v41, v34, vcc
	v_cndmask_b32_e32 v35, v38, v46, vcc
	v_lshlrev_b32_e32 v38, 16, v36
	v_bfrev_b32_e32 v41, 60
	v_lshlrev_b32_e32 v35, 20, v35
	v_and_b32_e32 v38, 0x80000000, v38
	v_lshl_add_u32 v34, v34, 23, v41
	v_or3_b32 v41, v38, v34, v35
.LBB507_74:
	s_or_b64 exec, exec, s[22:23]
.LBB507_75:
	s_or_b64 exec, exec, s[20:21]
.LBB507_76:
	s_or_b64 exec, exec, s[10:11]
	s_movk_i32 s10, 0xff
	v_and_b32_sdwa v35, v36, s10 dst_sel:DWORD dst_unused:UNUSED_PAD src0_sel:WORD_1 src1_sel:DWORD
	v_lshrrev_b32_e32 v34, 16, v36
	v_cmp_ne_u16_e32 vcc, 0, v35
	s_and_saveexec_b64 s[10:11], vcc
	s_cbranch_execz .LBB507_82
; %bb.77:
	s_movk_i32 s20, 0x80
	v_cmp_ne_u16_e32 vcc, s20, v35
	v_bfrev_b32_e32 v39, 1
	s_and_saveexec_b64 s[20:21], vcc
	s_cbranch_execz .LBB507_81
; %bb.78:
	v_bfe_u32 v35, v36, 16, 7
	s_movk_i32 s22, 0x7f
	v_cmp_ne_u32_e32 vcc, s22, v35
	v_mov_b32_e32 v39, 0x7f800001
	s_and_saveexec_b64 s[22:23], vcc
	s_cbranch_execz .LBB507_80
; %bb.79:
	v_and_b32_e32 v46, 7, v34
	v_ffbh_u32_e32 v38, v46
	v_min_u32_e32 v48, 32, v38
	v_subrev_u32_e32 v38, 28, v48
	v_lshlrev_b64 v[38:39], v38, v[34:35]
	v_and_b32_e32 v38, 7, v38
	v_cmp_gt_u32_e32 vcc, 8, v35
	v_lshrrev_b32_e32 v47, 3, v35
	v_sub_u32_e32 v34, 29, v48
	v_cndmask_b32_e32 v35, v46, v38, vcc
	v_mov_b32_e32 v38, 24
	v_cndmask_b32_e32 v34, v47, v34, vcc
	v_lshlrev_b32_sdwa v38, v38, v36 dst_sel:DWORD dst_unused:UNUSED_PAD src0_sel:DWORD src1_sel:WORD_1
	v_bfrev_b32_e32 v39, 60
	v_lshlrev_b32_e32 v35, 20, v35
	v_and_b32_e32 v38, 0x80000000, v38
	v_lshl_add_u32 v34, v34, 23, v39
	v_or3_b32 v39, v38, v34, v35
.LBB507_80:
	s_or_b64 exec, exec, s[22:23]
.LBB507_81:
	s_or_b64 exec, exec, s[20:21]
.LBB507_82:
	s_or_b64 exec, exec, s[10:11]
	s_mov_b32 s10, 0xffffff
	v_cmp_lt_u32_e32 vcc, s10, v36
	v_mov_b32_e32 v35, 0
	v_mov_b32_e32 v46, 0
	s_and_saveexec_b64 s[10:11], vcc
	s_cbranch_execz .LBB507_88
; %bb.83:
	v_lshrrev_b32_e32 v34, 24, v36
	s_movk_i32 s20, 0x80
	v_cmp_ne_u32_e32 vcc, s20, v34
	v_bfrev_b32_e32 v46, 1
	s_and_saveexec_b64 s[20:21], vcc
	s_cbranch_execz .LBB507_87
; %bb.84:
	v_bfe_u32 v38, v36, 24, 7
	s_movk_i32 s22, 0x7f
	v_cmp_ne_u32_e32 vcc, s22, v38
	v_mov_b32_e32 v46, 0x7f800001
	s_and_saveexec_b64 s[22:23], vcc
	s_cbranch_execz .LBB507_86
; %bb.85:
	v_and_b32_e32 v48, 7, v34
	v_ffbh_u32_e32 v46, v48
	v_min_u32_e32 v50, 32, v46
	v_subrev_u32_e32 v46, 28, v50
	v_lshlrev_b64 v[46:47], v46, v[34:35]
	v_lshrrev_b32_e32 v49, 3, v38
	v_sub_u32_e32 v47, 29, v50
	v_and_b32_e32 v46, 7, v46
	v_cmp_gt_u32_e32 vcc, 8, v38
	v_cndmask_b32_e32 v38, v49, v47, vcc
	v_cndmask_b32_e32 v46, v48, v46, vcc
	v_lshlrev_b32_e32 v34, 24, v34
	v_bfrev_b32_e32 v47, 60
	v_lshlrev_b32_e32 v46, 20, v46
	v_and_b32_e32 v34, 0x80000000, v34
	v_lshl_add_u32 v38, v38, 23, v47
	v_or3_b32 v46, v34, v38, v46
.LBB507_86:
	s_or_b64 exec, exec, s[22:23]
.LBB507_87:
	s_or_b64 exec, exec, s[20:21]
.LBB507_88:
	s_or_b64 exec, exec, s[10:11]
	v_mov_b32_e32 v34, v37
	v_cmp_ne_u16_sdwa s[20:21], v37, v35 src0_sel:BYTE_0 src1_sel:DWORD
	s_and_saveexec_b64 s[10:11], s[20:21]
	s_cbranch_execz .LBB507_94
; %bb.89:
	s_movk_i32 s20, 0x80
	v_cmp_ne_u16_sdwa s[22:23], v37, s20 src0_sel:BYTE_0 src1_sel:DWORD
	v_bfrev_b32_e32 v38, 1
	s_and_saveexec_b64 s[20:21], s[22:23]
	s_cbranch_execz .LBB507_93
; %bb.90:
	s_movk_i32 s22, 0x7f
	v_and_b32_e32 v47, 0x7f, v37
	v_cmp_ne_u32_e32 vcc, s22, v47
	v_mov_b32_e32 v38, 0x7f800001
	s_and_saveexec_b64 s[22:23], vcc
	s_cbranch_execz .LBB507_92
; %bb.91:
	v_and_b32_e32 v38, 7, v37
	v_ffbh_u32_e32 v38, v38
	v_min_u32_e32 v38, 32, v38
	v_subrev_u32_e32 v49, 28, v38
	v_cmp_gt_u32_e32 vcc, 8, v47
	v_lshrrev_b32_e32 v48, 3, v47
	v_sub_u32_e32 v38, 29, v38
	v_cndmask_b32_e32 v47, 0, v49, vcc
	v_cndmask_b32_e32 v38, v48, v38, vcc
	v_lshlrev_b64 v[48:49], v47, v[34:35]
	v_lshlrev_b32_e32 v35, 20, v48
	v_lshlrev_b32_e32 v47, 24, v34
	v_bfrev_b32_e32 v48, 60
	v_and_b32_e32 v35, 0x700000, v35
	v_and_b32_e32 v47, 0x80000000, v47
	v_lshl_add_u32 v38, v38, 23, v48
	v_or3_b32 v38, v47, v38, v35
.LBB507_92:
	s_or_b64 exec, exec, s[22:23]
.LBB507_93:
	s_or_b64 exec, exec, s[20:21]
	v_mov_b32_e32 v35, v38
.LBB507_94:
	s_or_b64 exec, exec, s[10:11]
	v_lshrrev_b16_e32 v38, 8, v34
	v_cmp_ne_u16_e32 vcc, 0, v38
	v_mov_b32_e32 v47, 0
	v_mov_b32_e32 v48, 0
	s_and_saveexec_b64 s[10:11], vcc
	s_cbranch_execz .LBB507_100
; %bb.95:
	s_movk_i32 s20, 0x80
	v_cmp_ne_u16_e32 vcc, s20, v38
	v_bfrev_b32_e32 v48, 1
	s_and_saveexec_b64 s[20:21], vcc
	s_cbranch_execz .LBB507_99
; %bb.96:
	s_movk_i32 s22, 0x7f
	v_and_b32_e32 v49, 0x7f, v38
	v_cmp_ne_u32_e32 vcc, s22, v49
	v_mov_b32_e32 v48, 0x7f800001
	s_and_saveexec_b64 s[22:23], vcc
	s_cbranch_execz .LBB507_98
; %bb.97:
	v_and_b32_e32 v48, 7, v38
	v_ffbh_u32_e32 v50, v48
	v_min_u32_e32 v53, 32, v50
	v_subrev_u32_e32 v50, 28, v53
	v_lshlrev_b64 v[50:51], v50, v[38:39]
	v_lshrrev_b32_e32 v52, 3, v49
	v_sub_u32_e32 v38, 29, v53
	v_and_b32_e32 v50, 7, v50
	v_cmp_gt_u32_e32 vcc, 8, v49
	v_cndmask_b32_e32 v38, v52, v38, vcc
	v_cndmask_b32_e32 v48, v48, v50, vcc
	v_lshlrev_b32_e32 v34, 16, v34
	v_bfrev_b32_e32 v49, 60
	v_lshlrev_b32_e32 v48, 20, v48
	v_and_b32_e32 v34, 0x80000000, v34
	v_lshl_add_u32 v38, v38, 23, v49
	v_or3_b32 v48, v34, v38, v48
.LBB507_98:
	s_or_b64 exec, exec, s[22:23]
.LBB507_99:
	s_or_b64 exec, exec, s[20:21]
.LBB507_100:
	s_or_b64 exec, exec, s[10:11]
	s_movk_i32 s10, 0xff
	v_and_b32_sdwa v38, v37, s10 dst_sel:DWORD dst_unused:UNUSED_PAD src0_sel:WORD_1 src1_sel:DWORD
	v_lshrrev_b32_e32 v34, 16, v37
	v_cmp_ne_u16_e32 vcc, 0, v38
	s_and_saveexec_b64 s[10:11], vcc
	s_cbranch_execz .LBB507_106
; %bb.101:
	s_movk_i32 s20, 0x80
	v_cmp_ne_u16_e32 vcc, s20, v38
	v_bfrev_b32_e32 v47, 1
	s_and_saveexec_b64 s[20:21], vcc
	s_cbranch_execz .LBB507_105
; %bb.102:
	v_bfe_u32 v38, v37, 16, 7
	s_movk_i32 s22, 0x7f
	v_cmp_ne_u32_e32 vcc, s22, v38
	v_mov_b32_e32 v47, 0x7f800001
	s_and_saveexec_b64 s[22:23], vcc
	s_cbranch_execz .LBB507_104
; %bb.103:
	v_and_b32_e32 v47, 7, v34
	v_ffbh_u32_e32 v50, v47
	v_min_u32_e32 v52, 32, v50
	v_subrev_u32_e32 v50, 28, v52
	v_lshlrev_b64 v[50:51], v50, v[34:35]
	v_and_b32_e32 v50, 7, v50
	v_cmp_gt_u32_e32 vcc, 8, v38
	v_lshrrev_b32_e32 v49, 3, v38
	v_sub_u32_e32 v34, 29, v52
	v_cndmask_b32_e32 v38, v47, v50, vcc
	v_mov_b32_e32 v47, 24
	v_cndmask_b32_e32 v34, v49, v34, vcc
	v_lshlrev_b32_sdwa v47, v47, v37 dst_sel:DWORD dst_unused:UNUSED_PAD src0_sel:DWORD src1_sel:WORD_1
	v_bfrev_b32_e32 v49, 60
	v_lshlrev_b32_e32 v38, 20, v38
	v_and_b32_e32 v47, 0x80000000, v47
	v_lshl_add_u32 v34, v34, 23, v49
	v_or3_b32 v47, v47, v34, v38
.LBB507_104:
	s_or_b64 exec, exec, s[22:23]
.LBB507_105:
	s_or_b64 exec, exec, s[20:21]
.LBB507_106:
	s_or_b64 exec, exec, s[10:11]
	s_mov_b32 s10, -1
	s_mov_b32 s11, 0xffffff
	v_cmp_lt_u64_e32 vcc, s[10:11], v[36:37]
	v_mov_b32_e32 v38, 0
	v_mov_b32_e32 v36, 0
	s_and_saveexec_b64 s[10:11], vcc
	s_cbranch_execz .LBB507_112
; %bb.107:
	v_lshrrev_b32_e32 v34, 24, v37
	s_movk_i32 s20, 0x80
	v_cmp_ne_u32_e32 vcc, s20, v34
	v_bfrev_b32_e32 v36, 1
	s_and_saveexec_b64 s[20:21], vcc
	s_cbranch_execz .LBB507_111
; %bb.108:
	v_bfe_u32 v37, v37, 24, 7
	s_movk_i32 s22, 0x7f
	v_cmp_ne_u32_e32 vcc, s22, v37
	v_mov_b32_e32 v36, 0x7f800001
	s_and_saveexec_b64 s[22:23], vcc
	s_cbranch_execz .LBB507_110
; %bb.109:
	v_and_b32_e32 v36, 7, v34
	v_ffbh_u32_e32 v50, v36
	v_min_u32_e32 v52, 32, v50
	v_subrev_u32_e32 v50, 28, v52
	v_lshlrev_b64 v[50:51], v50, v[34:35]
	v_lshrrev_b32_e32 v49, 3, v37
	v_sub_u32_e32 v51, 29, v52
	v_and_b32_e32 v50, 7, v50
	v_cmp_gt_u32_e32 vcc, 8, v37
	v_cndmask_b32_e32 v37, v49, v51, vcc
	v_cndmask_b32_e32 v36, v36, v50, vcc
	v_lshlrev_b32_e32 v34, 24, v34
	v_bfrev_b32_e32 v49, 60
	v_lshlrev_b32_e32 v36, 20, v36
	v_and_b32_e32 v34, 0x80000000, v34
	v_lshl_add_u32 v37, v37, 23, v49
	v_or3_b32 v36, v34, v37, v36
.LBB507_110:
	s_or_b64 exec, exec, s[22:23]
.LBB507_111:
	s_or_b64 exec, exec, s[20:21]
.LBB507_112:
	s_or_b64 exec, exec, s[10:11]
	v_cvt_pkrtz_f16_f32 v40, v40, v41
	v_cvt_pkrtz_f16_f32 v41, v39, v46
	v_cvt_pkrtz_f16_f32 v34, v35, v48
	v_cvt_pkrtz_f16_f32 v35, v47, v36
	v_mfma_f32_4x4x4f16 a[0:3], v[2:3], v[40:41], a[0:3] cbsz:4 abid:1
	v_cmp_ne_u16_sdwa s[20:21], v30, v38 src0_sel:BYTE_0 src1_sel:DWORD
	v_mfma_f32_4x4x4f16 a[0:3], v[4:5], v[34:35], a[0:3] cbsz:4 abid:1
	s_and_saveexec_b64 s[10:11], s[20:21]
	s_cbranch_execz .LBB507_118
; %bb.113:
	s_movk_i32 s20, 0x80
	v_cmp_ne_u16_sdwa s[22:23], v30, s20 src0_sel:BYTE_0 src1_sel:DWORD
	v_bfrev_b32_e32 v38, 1
	s_and_saveexec_b64 s[20:21], s[22:23]
	s_cbranch_execz .LBB507_117
; %bb.114:
	s_movk_i32 s22, 0x7f
	v_and_b32_e32 v34, 0x7f, v30
	v_cmp_ne_u32_e32 vcc, s22, v34
	v_mov_b32_e32 v38, 0x7f800001
	s_and_saveexec_b64 s[22:23], vcc
	s_cbranch_execz .LBB507_116
; %bb.115:
	v_and_b32_e32 v35, 7, v30
	v_ffbh_u32_e32 v35, v35
	v_min_u32_e32 v35, 32, v35
	v_subrev_u32_e32 v37, 28, v35
	v_cmp_gt_u32_e32 vcc, 8, v34
	v_lshrrev_b32_e32 v36, 3, v34
	v_sub_u32_e32 v35, 29, v35
	v_cndmask_b32_e32 v34, 0, v37, vcc
	v_cndmask_b32_e32 v36, v36, v35, vcc
	v_lshlrev_b64 v[34:35], v34, v[30:31]
	v_lshlrev_b32_e32 v34, 20, v34
	v_lshlrev_b32_e32 v35, 24, v30
	v_bfrev_b32_e32 v37, 60
	v_and_b32_e32 v34, 0x700000, v34
	v_and_b32_e32 v35, 0x80000000, v35
	v_lshl_add_u32 v36, v36, 23, v37
	v_or3_b32 v38, v35, v36, v34
.LBB507_116:
	s_or_b64 exec, exec, s[22:23]
.LBB507_117:
	s_or_b64 exec, exec, s[20:21]
.LBB507_118:
	s_or_b64 exec, exec, s[10:11]
	v_lshrrev_b16_e32 v34, 8, v30
	v_cmp_ne_u16_e32 vcc, 0, v34
	v_mov_b32_e32 v37, 0
	v_mov_b32_e32 v39, 0
	s_and_saveexec_b64 s[10:11], vcc
	s_cbranch_execz .LBB507_124
; %bb.119:
	s_movk_i32 s20, 0x80
	v_cmp_ne_u16_e32 vcc, s20, v34
	v_bfrev_b32_e32 v39, 1
	s_and_saveexec_b64 s[20:21], vcc
	s_cbranch_execz .LBB507_123
; %bb.120:
	s_movk_i32 s22, 0x7f
	v_and_b32_e32 v35, 0x7f, v34
	v_cmp_ne_u32_e32 vcc, s22, v35
	v_mov_b32_e32 v39, 0x7f800001
	s_and_saveexec_b64 s[22:23], vcc
	s_cbranch_execz .LBB507_122
; %bb.121:
	v_and_b32_e32 v36, 7, v34
	v_ffbh_u32_e32 v40, v36
	v_min_u32_e32 v46, 32, v40
	v_subrev_u32_e32 v40, 28, v46
	v_lshlrev_b64 v[40:41], v40, v[34:35]
	v_lshrrev_b32_e32 v39, 3, v35
	v_sub_u32_e32 v34, 29, v46
	v_and_b32_e32 v40, 7, v40
	v_cmp_gt_u32_e32 vcc, 8, v35
	v_cndmask_b32_e32 v34, v39, v34, vcc
	v_cndmask_b32_e32 v35, v36, v40, vcc
	v_lshlrev_b32_e32 v36, 16, v30
	v_bfrev_b32_e32 v39, 60
	v_lshlrev_b32_e32 v35, 20, v35
	v_and_b32_e32 v36, 0x80000000, v36
	v_lshl_add_u32 v34, v34, 23, v39
	v_or3_b32 v39, v36, v34, v35
.LBB507_122:
	s_or_b64 exec, exec, s[22:23]
.LBB507_123:
	s_or_b64 exec, exec, s[20:21]
.LBB507_124:
	s_or_b64 exec, exec, s[10:11]
	s_movk_i32 s10, 0xff
	v_and_b32_sdwa v35, v30, s10 dst_sel:DWORD dst_unused:UNUSED_PAD src0_sel:WORD_1 src1_sel:DWORD
	v_lshrrev_b32_e32 v34, 16, v30
	v_cmp_ne_u16_e32 vcc, 0, v35
	s_and_saveexec_b64 s[10:11], vcc
	s_cbranch_execz .LBB507_130
; %bb.125:
	s_movk_i32 s20, 0x80
	v_cmp_ne_u16_e32 vcc, s20, v35
	v_bfrev_b32_e32 v37, 1
	s_and_saveexec_b64 s[20:21], vcc
	s_cbranch_execz .LBB507_129
; %bb.126:
	v_bfe_u32 v35, v30, 16, 7
	s_movk_i32 s22, 0x7f
	v_cmp_ne_u32_e32 vcc, s22, v35
	v_mov_b32_e32 v37, 0x7f800001
	s_and_saveexec_b64 s[22:23], vcc
	s_cbranch_execz .LBB507_128
; %bb.127:
	v_and_b32_e32 v40, 7, v34
	v_ffbh_u32_e32 v36, v40
	v_min_u32_e32 v46, 32, v36
	v_subrev_u32_e32 v36, 28, v46
	v_lshlrev_b64 v[36:37], v36, v[34:35]
	v_and_b32_e32 v36, 7, v36
	v_cmp_gt_u32_e32 vcc, 8, v35
	v_lshrrev_b32_e32 v41, 3, v35
	v_sub_u32_e32 v34, 29, v46
	v_cndmask_b32_e32 v35, v40, v36, vcc
	v_mov_b32_e32 v36, 24
	v_cndmask_b32_e32 v34, v41, v34, vcc
	v_lshlrev_b32_sdwa v36, v36, v30 dst_sel:DWORD dst_unused:UNUSED_PAD src0_sel:DWORD src1_sel:WORD_1
	v_bfrev_b32_e32 v37, 60
	v_lshlrev_b32_e32 v35, 20, v35
	v_and_b32_e32 v36, 0x80000000, v36
	v_lshl_add_u32 v34, v34, 23, v37
	v_or3_b32 v37, v36, v34, v35
.LBB507_128:
	s_or_b64 exec, exec, s[22:23]
.LBB507_129:
	s_or_b64 exec, exec, s[20:21]
.LBB507_130:
	s_or_b64 exec, exec, s[10:11]
	s_mov_b32 s10, 0xffffff
	v_cmp_lt_u32_e32 vcc, s10, v30
	v_mov_b32_e32 v35, 0
	v_mov_b32_e32 v40, 0
	s_and_saveexec_b64 s[10:11], vcc
	s_cbranch_execz .LBB507_136
; %bb.131:
	v_lshrrev_b32_e32 v34, 24, v30
	s_movk_i32 s20, 0x80
	v_cmp_ne_u32_e32 vcc, s20, v34
	v_bfrev_b32_e32 v40, 1
	s_and_saveexec_b64 s[20:21], vcc
	s_cbranch_execz .LBB507_135
; %bb.132:
	v_bfe_u32 v36, v30, 24, 7
	s_movk_i32 s22, 0x7f
	v_cmp_ne_u32_e32 vcc, s22, v36
	v_mov_b32_e32 v40, 0x7f800001
	s_and_saveexec_b64 s[22:23], vcc
	s_cbranch_execz .LBB507_134
; %bb.133:
	v_and_b32_e32 v46, 7, v34
	v_ffbh_u32_e32 v40, v46
	v_min_u32_e32 v48, 32, v40
	v_subrev_u32_e32 v40, 28, v48
	v_lshlrev_b64 v[40:41], v40, v[34:35]
	v_lshrrev_b32_e32 v47, 3, v36
	v_sub_u32_e32 v41, 29, v48
	v_and_b32_e32 v40, 7, v40
	v_cmp_gt_u32_e32 vcc, 8, v36
	v_cndmask_b32_e32 v36, v47, v41, vcc
	v_cndmask_b32_e32 v40, v46, v40, vcc
	v_lshlrev_b32_e32 v34, 24, v34
	v_bfrev_b32_e32 v41, 60
	v_lshlrev_b32_e32 v40, 20, v40
	v_and_b32_e32 v34, 0x80000000, v34
	v_lshl_add_u32 v36, v36, 23, v41
	v_or3_b32 v40, v34, v36, v40
.LBB507_134:
	s_or_b64 exec, exec, s[22:23]
.LBB507_135:
	s_or_b64 exec, exec, s[20:21]
.LBB507_136:
	s_or_b64 exec, exec, s[10:11]
	v_mov_b32_e32 v34, v31
	v_cmp_ne_u16_sdwa s[20:21], v31, v35 src0_sel:BYTE_0 src1_sel:DWORD
	s_and_saveexec_b64 s[10:11], s[20:21]
	s_cbranch_execz .LBB507_142
; %bb.137:
	s_movk_i32 s20, 0x80
	v_cmp_ne_u16_sdwa s[22:23], v31, s20 src0_sel:BYTE_0 src1_sel:DWORD
	v_bfrev_b32_e32 v36, 1
	s_and_saveexec_b64 s[20:21], s[22:23]
	s_cbranch_execz .LBB507_141
; %bb.138:
	s_movk_i32 s22, 0x7f
	v_and_b32_e32 v41, 0x7f, v31
	v_cmp_ne_u32_e32 vcc, s22, v41
	v_mov_b32_e32 v36, 0x7f800001
	s_and_saveexec_b64 s[22:23], vcc
	s_cbranch_execz .LBB507_140
; %bb.139:
	v_and_b32_e32 v36, 7, v31
	v_ffbh_u32_e32 v36, v36
	v_min_u32_e32 v36, 32, v36
	v_subrev_u32_e32 v47, 28, v36
	v_cmp_gt_u32_e32 vcc, 8, v41
	v_lshrrev_b32_e32 v46, 3, v41
	v_sub_u32_e32 v36, 29, v36
	v_cndmask_b32_e32 v41, 0, v47, vcc
	v_cndmask_b32_e32 v36, v46, v36, vcc
	v_lshlrev_b64 v[46:47], v41, v[34:35]
	v_lshlrev_b32_e32 v35, 20, v46
	v_lshlrev_b32_e32 v41, 24, v34
	v_bfrev_b32_e32 v46, 60
	v_and_b32_e32 v35, 0x700000, v35
	v_and_b32_e32 v41, 0x80000000, v41
	v_lshl_add_u32 v36, v36, 23, v46
	v_or3_b32 v36, v41, v36, v35
.LBB507_140:
	s_or_b64 exec, exec, s[22:23]
.LBB507_141:
	s_or_b64 exec, exec, s[20:21]
	v_mov_b32_e32 v35, v36
.LBB507_142:
	s_or_b64 exec, exec, s[10:11]
	v_lshrrev_b16_e32 v36, 8, v34
	v_cmp_ne_u16_e32 vcc, 0, v36
	v_mov_b32_e32 v41, 0
	v_mov_b32_e32 v46, 0
	s_and_saveexec_b64 s[10:11], vcc
	s_cbranch_execz .LBB507_148
; %bb.143:
	s_movk_i32 s20, 0x80
	v_cmp_ne_u16_e32 vcc, s20, v36
	v_bfrev_b32_e32 v46, 1
	s_and_saveexec_b64 s[20:21], vcc
	s_cbranch_execz .LBB507_147
; %bb.144:
	s_movk_i32 s22, 0x7f
	v_and_b32_e32 v47, 0x7f, v36
	v_cmp_ne_u32_e32 vcc, s22, v47
	v_mov_b32_e32 v46, 0x7f800001
	s_and_saveexec_b64 s[22:23], vcc
	s_cbranch_execz .LBB507_146
; %bb.145:
	v_and_b32_e32 v46, 7, v36
	v_ffbh_u32_e32 v48, v46
	v_min_u32_e32 v51, 32, v48
	v_subrev_u32_e32 v48, 28, v51
	v_lshlrev_b64 v[48:49], v48, v[36:37]
	v_lshrrev_b32_e32 v50, 3, v47
	v_sub_u32_e32 v36, 29, v51
	v_and_b32_e32 v48, 7, v48
	v_cmp_gt_u32_e32 vcc, 8, v47
	v_cndmask_b32_e32 v36, v50, v36, vcc
	v_cndmask_b32_e32 v46, v46, v48, vcc
	v_lshlrev_b32_e32 v34, 16, v34
	v_bfrev_b32_e32 v47, 60
	v_lshlrev_b32_e32 v46, 20, v46
	v_and_b32_e32 v34, 0x80000000, v34
	v_lshl_add_u32 v36, v36, 23, v47
	v_or3_b32 v46, v34, v36, v46
.LBB507_146:
	s_or_b64 exec, exec, s[22:23]
.LBB507_147:
	s_or_b64 exec, exec, s[20:21]
.LBB507_148:
	s_or_b64 exec, exec, s[10:11]
	s_movk_i32 s10, 0xff
	v_and_b32_sdwa v36, v31, s10 dst_sel:DWORD dst_unused:UNUSED_PAD src0_sel:WORD_1 src1_sel:DWORD
	v_lshrrev_b32_e32 v34, 16, v31
	v_cmp_ne_u16_e32 vcc, 0, v36
	s_and_saveexec_b64 s[10:11], vcc
	s_cbranch_execz .LBB507_154
; %bb.149:
	s_movk_i32 s20, 0x80
	v_cmp_ne_u16_e32 vcc, s20, v36
	v_bfrev_b32_e32 v41, 1
	s_and_saveexec_b64 s[20:21], vcc
	s_cbranch_execz .LBB507_153
; %bb.150:
	v_bfe_u32 v36, v31, 16, 7
	s_movk_i32 s22, 0x7f
	v_cmp_ne_u32_e32 vcc, s22, v36
	v_mov_b32_e32 v41, 0x7f800001
	s_and_saveexec_b64 s[22:23], vcc
	s_cbranch_execz .LBB507_152
; %bb.151:
	v_and_b32_e32 v41, 7, v34
	v_ffbh_u32_e32 v48, v41
	v_min_u32_e32 v50, 32, v48
	v_subrev_u32_e32 v48, 28, v50
	v_lshlrev_b64 v[48:49], v48, v[34:35]
	v_and_b32_e32 v48, 7, v48
	v_cmp_gt_u32_e32 vcc, 8, v36
	v_lshrrev_b32_e32 v47, 3, v36
	v_sub_u32_e32 v34, 29, v50
	v_cndmask_b32_e32 v36, v41, v48, vcc
	v_mov_b32_e32 v41, 24
	v_cndmask_b32_e32 v34, v47, v34, vcc
	v_lshlrev_b32_sdwa v41, v41, v31 dst_sel:DWORD dst_unused:UNUSED_PAD src0_sel:DWORD src1_sel:WORD_1
	v_bfrev_b32_e32 v47, 60
	v_lshlrev_b32_e32 v36, 20, v36
	v_and_b32_e32 v41, 0x80000000, v41
	v_lshl_add_u32 v34, v34, 23, v47
	v_or3_b32 v41, v41, v34, v36
.LBB507_152:
	s_or_b64 exec, exec, s[22:23]
.LBB507_153:
	s_or_b64 exec, exec, s[20:21]
.LBB507_154:
	s_or_b64 exec, exec, s[10:11]
	s_mov_b32 s10, -1
	s_mov_b32 s11, 0xffffff
	v_cmp_lt_u64_e32 vcc, s[10:11], v[30:31]
	v_mov_b32_e32 v36, 0
	v_mov_b32_e32 v34, 0
	s_and_saveexec_b64 s[10:11], vcc
	s_cbranch_execz .LBB507_160
; %bb.155:
	v_lshrrev_b32_e32 v30, 24, v31
	s_movk_i32 s20, 0x80
	v_cmp_ne_u32_e32 vcc, s20, v30
	v_bfrev_b32_e32 v34, 1
	s_and_saveexec_b64 s[20:21], vcc
	s_cbranch_execz .LBB507_159
; %bb.156:
	v_bfe_u32 v31, v31, 24, 7
	s_movk_i32 s22, 0x7f
	v_cmp_ne_u32_e32 vcc, s22, v31
	v_mov_b32_e32 v34, 0x7f800001
	s_and_saveexec_b64 s[22:23], vcc
	s_cbranch_execz .LBB507_158
; %bb.157:
	v_and_b32_e32 v34, 7, v30
	v_ffbh_u32_e32 v48, v34
	v_min_u32_e32 v50, 32, v48
	v_subrev_u32_e32 v48, 28, v50
	v_lshlrev_b64 v[48:49], v48, v[30:31]
	v_lshrrev_b32_e32 v47, 3, v31
	v_sub_u32_e32 v49, 29, v50
	v_and_b32_e32 v48, 7, v48
	v_cmp_gt_u32_e32 vcc, 8, v31
	v_cndmask_b32_e32 v31, v47, v49, vcc
	v_cndmask_b32_e32 v34, v34, v48, vcc
	v_lshlrev_b32_e32 v30, 24, v30
	v_bfrev_b32_e32 v47, 60
	v_lshlrev_b32_e32 v34, 20, v34
	v_and_b32_e32 v30, 0x80000000, v30
	v_lshl_add_u32 v31, v31, 23, v47
	v_or3_b32 v34, v30, v31, v34
.LBB507_158:
	s_or_b64 exec, exec, s[22:23]
.LBB507_159:
	s_or_b64 exec, exec, s[20:21]
.LBB507_160:
	s_or_b64 exec, exec, s[10:11]
	v_cvt_pkrtz_f16_f32 v30, v38, v39
	v_cvt_pkrtz_f16_f32 v31, v37, v40
	;; [unrolled: 1-line block ×4, first 2 shown]
	v_mfma_f32_4x4x4f16 a[0:3], v[2:3], v[30:31], a[0:3] cbsz:4 abid:2
	v_cmp_ne_u16_sdwa s[20:21], v32, v36 src0_sel:BYTE_0 src1_sel:DWORD
	v_mfma_f32_4x4x4f16 a[0:3], v[4:5], v[38:39], a[0:3] cbsz:4 abid:2
	s_and_saveexec_b64 s[10:11], s[20:21]
	s_cbranch_execz .LBB507_166
; %bb.161:
	s_movk_i32 s20, 0x80
	v_cmp_ne_u16_sdwa s[22:23], v32, s20 src0_sel:BYTE_0 src1_sel:DWORD
	v_bfrev_b32_e32 v36, 1
	s_and_saveexec_b64 s[20:21], s[22:23]
	s_cbranch_execz .LBB507_165
; %bb.162:
	s_movk_i32 s22, 0x7f
	v_and_b32_e32 v30, 0x7f, v32
	v_cmp_ne_u32_e32 vcc, s22, v30
	v_mov_b32_e32 v36, 0x7f800001
	s_and_saveexec_b64 s[22:23], vcc
	s_cbranch_execz .LBB507_164
; %bb.163:
	v_and_b32_e32 v31, 7, v32
	v_ffbh_u32_e32 v31, v31
	v_min_u32_e32 v31, 32, v31
	v_subrev_u32_e32 v35, 28, v31
	v_cmp_gt_u32_e32 vcc, 8, v30
	v_lshrrev_b32_e32 v34, 3, v30
	v_sub_u32_e32 v31, 29, v31
	v_cndmask_b32_e32 v30, 0, v35, vcc
	v_cndmask_b32_e32 v34, v34, v31, vcc
	v_lshlrev_b64 v[30:31], v30, v[32:33]
	v_lshlrev_b32_e32 v30, 20, v30
	v_lshlrev_b32_e32 v31, 24, v32
	v_bfrev_b32_e32 v35, 60
	v_and_b32_e32 v30, 0x700000, v30
	v_and_b32_e32 v31, 0x80000000, v31
	v_lshl_add_u32 v34, v34, 23, v35
	v_or3_b32 v36, v31, v34, v30
.LBB507_164:
	s_or_b64 exec, exec, s[22:23]
.LBB507_165:
	s_or_b64 exec, exec, s[20:21]
.LBB507_166:
	s_or_b64 exec, exec, s[10:11]
	v_lshrrev_b16_e32 v30, 8, v32
	v_cmp_ne_u16_e32 vcc, 0, v30
	v_mov_b32_e32 v35, 0
	v_mov_b32_e32 v37, 0
	s_and_saveexec_b64 s[10:11], vcc
	s_cbranch_execz .LBB507_172
; %bb.167:
	s_movk_i32 s20, 0x80
	v_cmp_ne_u16_e32 vcc, s20, v30
	v_bfrev_b32_e32 v37, 1
	s_and_saveexec_b64 s[20:21], vcc
	s_cbranch_execz .LBB507_171
; %bb.168:
	s_movk_i32 s22, 0x7f
	v_and_b32_e32 v31, 0x7f, v30
	v_cmp_ne_u32_e32 vcc, s22, v31
	v_mov_b32_e32 v37, 0x7f800001
	s_and_saveexec_b64 s[22:23], vcc
	s_cbranch_execz .LBB507_170
; %bb.169:
	v_and_b32_e32 v34, 7, v30
	v_ffbh_u32_e32 v38, v34
	v_min_u32_e32 v40, 32, v38
	v_subrev_u32_e32 v38, 28, v40
	v_lshlrev_b64 v[38:39], v38, v[30:31]
	v_lshrrev_b32_e32 v37, 3, v31
	v_sub_u32_e32 v30, 29, v40
	v_and_b32_e32 v38, 7, v38
	v_cmp_gt_u32_e32 vcc, 8, v31
	v_cndmask_b32_e32 v30, v37, v30, vcc
	v_cndmask_b32_e32 v31, v34, v38, vcc
	v_lshlrev_b32_e32 v34, 16, v32
	v_bfrev_b32_e32 v37, 60
	v_lshlrev_b32_e32 v31, 20, v31
	v_and_b32_e32 v34, 0x80000000, v34
	v_lshl_add_u32 v30, v30, 23, v37
	v_or3_b32 v37, v34, v30, v31
.LBB507_170:
	s_or_b64 exec, exec, s[22:23]
.LBB507_171:
	s_or_b64 exec, exec, s[20:21]
.LBB507_172:
	s_or_b64 exec, exec, s[10:11]
	s_movk_i32 s10, 0xff
	v_and_b32_sdwa v31, v32, s10 dst_sel:DWORD dst_unused:UNUSED_PAD src0_sel:WORD_1 src1_sel:DWORD
	v_lshrrev_b32_e32 v30, 16, v32
	v_cmp_ne_u16_e32 vcc, 0, v31
	s_and_saveexec_b64 s[10:11], vcc
	s_cbranch_execz .LBB507_178
; %bb.173:
	s_movk_i32 s20, 0x80
	v_cmp_ne_u16_e32 vcc, s20, v31
	v_bfrev_b32_e32 v35, 1
	s_and_saveexec_b64 s[20:21], vcc
	s_cbranch_execz .LBB507_177
; %bb.174:
	v_bfe_u32 v31, v32, 16, 7
	s_movk_i32 s22, 0x7f
	v_cmp_ne_u32_e32 vcc, s22, v31
	v_mov_b32_e32 v35, 0x7f800001
	s_and_saveexec_b64 s[22:23], vcc
	s_cbranch_execz .LBB507_176
; %bb.175:
	v_and_b32_e32 v38, 7, v30
	v_ffbh_u32_e32 v34, v38
	v_min_u32_e32 v40, 32, v34
	v_subrev_u32_e32 v34, 28, v40
	v_lshlrev_b64 v[34:35], v34, v[30:31]
	v_and_b32_e32 v34, 7, v34
	v_cmp_gt_u32_e32 vcc, 8, v31
	v_lshrrev_b32_e32 v39, 3, v31
	v_sub_u32_e32 v30, 29, v40
	v_cndmask_b32_e32 v31, v38, v34, vcc
	v_mov_b32_e32 v34, 24
	v_cndmask_b32_e32 v30, v39, v30, vcc
	v_lshlrev_b32_sdwa v34, v34, v32 dst_sel:DWORD dst_unused:UNUSED_PAD src0_sel:DWORD src1_sel:WORD_1
	v_bfrev_b32_e32 v35, 60
	v_lshlrev_b32_e32 v31, 20, v31
	v_and_b32_e32 v34, 0x80000000, v34
	v_lshl_add_u32 v30, v30, 23, v35
	v_or3_b32 v35, v34, v30, v31
.LBB507_176:
	s_or_b64 exec, exec, s[22:23]
.LBB507_177:
	s_or_b64 exec, exec, s[20:21]
.LBB507_178:
	s_or_b64 exec, exec, s[10:11]
	s_mov_b32 s10, 0xffffff
	v_cmp_lt_u32_e32 vcc, s10, v32
	v_mov_b32_e32 v31, 0
	v_mov_b32_e32 v38, 0
	s_and_saveexec_b64 s[10:11], vcc
	s_cbranch_execz .LBB507_184
; %bb.179:
	v_lshrrev_b32_e32 v30, 24, v32
	s_movk_i32 s20, 0x80
	v_cmp_ne_u32_e32 vcc, s20, v30
	v_bfrev_b32_e32 v38, 1
	s_and_saveexec_b64 s[20:21], vcc
	s_cbranch_execz .LBB507_183
; %bb.180:
	v_bfe_u32 v34, v32, 24, 7
	s_movk_i32 s22, 0x7f
	v_cmp_ne_u32_e32 vcc, s22, v34
	v_mov_b32_e32 v38, 0x7f800001
	s_and_saveexec_b64 s[22:23], vcc
	s_cbranch_execz .LBB507_182
; %bb.181:
	v_and_b32_e32 v40, 7, v30
	v_ffbh_u32_e32 v38, v40
	v_min_u32_e32 v46, 32, v38
	v_subrev_u32_e32 v38, 28, v46
	v_lshlrev_b64 v[38:39], v38, v[30:31]
	v_lshrrev_b32_e32 v41, 3, v34
	v_sub_u32_e32 v39, 29, v46
	v_and_b32_e32 v38, 7, v38
	v_cmp_gt_u32_e32 vcc, 8, v34
	v_cndmask_b32_e32 v34, v41, v39, vcc
	v_cndmask_b32_e32 v38, v40, v38, vcc
	v_lshlrev_b32_e32 v30, 24, v30
	v_bfrev_b32_e32 v39, 60
	v_lshlrev_b32_e32 v38, 20, v38
	v_and_b32_e32 v30, 0x80000000, v30
	v_lshl_add_u32 v34, v34, 23, v39
	v_or3_b32 v38, v30, v34, v38
.LBB507_182:
	s_or_b64 exec, exec, s[22:23]
.LBB507_183:
	s_or_b64 exec, exec, s[20:21]
.LBB507_184:
	s_or_b64 exec, exec, s[10:11]
	v_mov_b32_e32 v30, v33
	v_cmp_ne_u16_sdwa s[20:21], v33, v31 src0_sel:BYTE_0 src1_sel:DWORD
	s_and_saveexec_b64 s[10:11], s[20:21]
	s_cbranch_execz .LBB507_190
; %bb.185:
	s_movk_i32 s20, 0x80
	v_cmp_ne_u16_sdwa s[22:23], v33, s20 src0_sel:BYTE_0 src1_sel:DWORD
	v_bfrev_b32_e32 v34, 1
	s_and_saveexec_b64 s[20:21], s[22:23]
	s_cbranch_execz .LBB507_189
; %bb.186:
	s_movk_i32 s22, 0x7f
	v_and_b32_e32 v39, 0x7f, v33
	v_cmp_ne_u32_e32 vcc, s22, v39
	v_mov_b32_e32 v34, 0x7f800001
	s_and_saveexec_b64 s[22:23], vcc
	s_cbranch_execz .LBB507_188
; %bb.187:
	v_and_b32_e32 v34, 7, v33
	v_ffbh_u32_e32 v34, v34
	v_min_u32_e32 v34, 32, v34
	v_subrev_u32_e32 v41, 28, v34
	v_cmp_gt_u32_e32 vcc, 8, v39
	v_lshrrev_b32_e32 v40, 3, v39
	v_sub_u32_e32 v34, 29, v34
	v_cndmask_b32_e32 v39, 0, v41, vcc
	v_cndmask_b32_e32 v34, v40, v34, vcc
	v_lshlrev_b64 v[40:41], v39, v[30:31]
	v_lshlrev_b32_e32 v31, 20, v40
	v_lshlrev_b32_e32 v39, 24, v30
	v_bfrev_b32_e32 v40, 60
	v_and_b32_e32 v31, 0x700000, v31
	v_and_b32_e32 v39, 0x80000000, v39
	v_lshl_add_u32 v34, v34, 23, v40
	v_or3_b32 v34, v39, v34, v31
.LBB507_188:
	s_or_b64 exec, exec, s[22:23]
.LBB507_189:
	s_or_b64 exec, exec, s[20:21]
	v_mov_b32_e32 v31, v34
.LBB507_190:
	s_or_b64 exec, exec, s[10:11]
	v_lshrrev_b16_e32 v34, 8, v30
	v_cmp_ne_u16_e32 vcc, 0, v34
	v_mov_b32_e32 v39, 0
	v_mov_b32_e32 v40, 0
	s_and_saveexec_b64 s[10:11], vcc
	s_cbranch_execz .LBB507_196
; %bb.191:
	s_movk_i32 s20, 0x80
	v_cmp_ne_u16_e32 vcc, s20, v34
	v_bfrev_b32_e32 v40, 1
	s_and_saveexec_b64 s[20:21], vcc
	s_cbranch_execz .LBB507_195
; %bb.192:
	s_movk_i32 s22, 0x7f
	v_and_b32_e32 v41, 0x7f, v34
	v_cmp_ne_u32_e32 vcc, s22, v41
	v_mov_b32_e32 v40, 0x7f800001
	s_and_saveexec_b64 s[22:23], vcc
	s_cbranch_execz .LBB507_194
; %bb.193:
	v_and_b32_e32 v40, 7, v34
	v_ffbh_u32_e32 v46, v40
	v_min_u32_e32 v49, 32, v46
	v_subrev_u32_e32 v46, 28, v49
	v_lshlrev_b64 v[46:47], v46, v[34:35]
	v_lshrrev_b32_e32 v48, 3, v41
	v_sub_u32_e32 v34, 29, v49
	v_and_b32_e32 v46, 7, v46
	v_cmp_gt_u32_e32 vcc, 8, v41
	v_cndmask_b32_e32 v34, v48, v34, vcc
	v_cndmask_b32_e32 v40, v40, v46, vcc
	v_lshlrev_b32_e32 v30, 16, v30
	v_bfrev_b32_e32 v41, 60
	v_lshlrev_b32_e32 v40, 20, v40
	v_and_b32_e32 v30, 0x80000000, v30
	v_lshl_add_u32 v34, v34, 23, v41
	v_or3_b32 v40, v30, v34, v40
.LBB507_194:
	s_or_b64 exec, exec, s[22:23]
.LBB507_195:
	s_or_b64 exec, exec, s[20:21]
.LBB507_196:
	s_or_b64 exec, exec, s[10:11]
	s_movk_i32 s10, 0xff
	v_and_b32_sdwa v34, v33, s10 dst_sel:DWORD dst_unused:UNUSED_PAD src0_sel:WORD_1 src1_sel:DWORD
	v_lshrrev_b32_e32 v30, 16, v33
	v_cmp_ne_u16_e32 vcc, 0, v34
	s_and_saveexec_b64 s[10:11], vcc
	s_cbranch_execz .LBB507_202
; %bb.197:
	s_movk_i32 s20, 0x80
	v_cmp_ne_u16_e32 vcc, s20, v34
	v_bfrev_b32_e32 v39, 1
	s_and_saveexec_b64 s[20:21], vcc
	s_cbranch_execz .LBB507_201
; %bb.198:
	v_bfe_u32 v34, v33, 16, 7
	s_movk_i32 s22, 0x7f
	v_cmp_ne_u32_e32 vcc, s22, v34
	v_mov_b32_e32 v39, 0x7f800001
	s_and_saveexec_b64 s[22:23], vcc
	s_cbranch_execz .LBB507_200
; %bb.199:
	v_and_b32_e32 v39, 7, v30
	v_ffbh_u32_e32 v46, v39
	v_min_u32_e32 v48, 32, v46
	v_subrev_u32_e32 v46, 28, v48
	v_lshlrev_b64 v[46:47], v46, v[30:31]
	v_and_b32_e32 v46, 7, v46
	v_cmp_gt_u32_e32 vcc, 8, v34
	v_lshrrev_b32_e32 v41, 3, v34
	v_sub_u32_e32 v30, 29, v48
	v_cndmask_b32_e32 v34, v39, v46, vcc
	v_mov_b32_e32 v39, 24
	v_cndmask_b32_e32 v30, v41, v30, vcc
	v_lshlrev_b32_sdwa v39, v39, v33 dst_sel:DWORD dst_unused:UNUSED_PAD src0_sel:DWORD src1_sel:WORD_1
	v_bfrev_b32_e32 v41, 60
	v_lshlrev_b32_e32 v34, 20, v34
	v_and_b32_e32 v39, 0x80000000, v39
	v_lshl_add_u32 v30, v30, 23, v41
	v_or3_b32 v39, v39, v30, v34
.LBB507_200:
	s_or_b64 exec, exec, s[22:23]
.LBB507_201:
	s_or_b64 exec, exec, s[20:21]
.LBB507_202:
	s_or_b64 exec, exec, s[10:11]
	s_mov_b32 s10, -1
	s_mov_b32 s11, 0xffffff
	v_cmp_lt_u64_e32 vcc, s[10:11], v[32:33]
	v_mov_b32_e32 v34, 0
	v_mov_b32_e32 v32, 0
	s_and_saveexec_b64 s[10:11], vcc
	s_cbranch_execz .LBB507_208
; %bb.203:
	v_lshrrev_b32_e32 v30, 24, v33
	s_movk_i32 s20, 0x80
	v_cmp_ne_u32_e32 vcc, s20, v30
	v_bfrev_b32_e32 v32, 1
	s_and_saveexec_b64 s[20:21], vcc
	s_cbranch_execz .LBB507_207
; %bb.204:
	v_bfe_u32 v33, v33, 24, 7
	s_movk_i32 s22, 0x7f
	v_cmp_ne_u32_e32 vcc, s22, v33
	v_mov_b32_e32 v32, 0x7f800001
	s_and_saveexec_b64 s[22:23], vcc
	s_cbranch_execz .LBB507_206
; %bb.205:
	v_and_b32_e32 v32, 7, v30
	v_ffbh_u32_e32 v46, v32
	v_min_u32_e32 v48, 32, v46
	v_subrev_u32_e32 v46, 28, v48
	v_lshlrev_b64 v[46:47], v46, v[30:31]
	v_lshrrev_b32_e32 v41, 3, v33
	v_sub_u32_e32 v47, 29, v48
	v_and_b32_e32 v46, 7, v46
	v_cmp_gt_u32_e32 vcc, 8, v33
	v_cndmask_b32_e32 v33, v41, v47, vcc
	v_cndmask_b32_e32 v32, v32, v46, vcc
	v_lshlrev_b32_e32 v30, 24, v30
	v_bfrev_b32_e32 v41, 60
	v_lshlrev_b32_e32 v32, 20, v32
	v_and_b32_e32 v30, 0x80000000, v30
	v_lshl_add_u32 v33, v33, 23, v41
	v_or3_b32 v32, v30, v33, v32
.LBB507_206:
	s_or_b64 exec, exec, s[22:23]
.LBB507_207:
	s_or_b64 exec, exec, s[20:21]
.LBB507_208:
	s_or_b64 exec, exec, s[10:11]
	v_cvt_pkrtz_f16_f32 v36, v36, v37
	v_cvt_pkrtz_f16_f32 v37, v35, v38
	;; [unrolled: 1-line block ×4, first 2 shown]
	v_mfma_f32_4x4x4f16 a[0:3], v[2:3], v[36:37], a[0:3] cbsz:4 abid:3
	v_cmp_ne_u16_sdwa s[20:21], v26, v34 src0_sel:BYTE_0 src1_sel:DWORD
	v_mfma_f32_4x4x4f16 a[0:3], v[4:5], v[30:31], a[0:3] cbsz:4 abid:3
	s_and_saveexec_b64 s[10:11], s[20:21]
	s_cbranch_execz .LBB507_214
; %bb.209:
	s_movk_i32 s20, 0x80
	v_cmp_ne_u16_sdwa s[22:23], v26, s20 src0_sel:BYTE_0 src1_sel:DWORD
	v_bfrev_b32_e32 v34, 1
	s_and_saveexec_b64 s[20:21], s[22:23]
	s_cbranch_execz .LBB507_213
; %bb.210:
	s_movk_i32 s22, 0x7f
	v_and_b32_e32 v30, 0x7f, v26
	v_cmp_ne_u32_e32 vcc, s22, v30
	v_mov_b32_e32 v34, 0x7f800001
	s_and_saveexec_b64 s[22:23], vcc
	s_cbranch_execz .LBB507_212
; %bb.211:
	v_and_b32_e32 v31, 7, v26
	v_ffbh_u32_e32 v31, v31
	v_min_u32_e32 v31, 32, v31
	v_subrev_u32_e32 v33, 28, v31
	v_cmp_gt_u32_e32 vcc, 8, v30
	v_lshrrev_b32_e32 v32, 3, v30
	v_sub_u32_e32 v31, 29, v31
	v_cndmask_b32_e32 v30, 0, v33, vcc
	v_cndmask_b32_e32 v32, v32, v31, vcc
	v_lshlrev_b64 v[30:31], v30, v[26:27]
	v_lshlrev_b32_e32 v30, 20, v30
	v_lshlrev_b32_e32 v31, 24, v26
	v_bfrev_b32_e32 v33, 60
	v_and_b32_e32 v30, 0x700000, v30
	v_and_b32_e32 v31, 0x80000000, v31
	v_lshl_add_u32 v32, v32, 23, v33
	v_or3_b32 v34, v31, v32, v30
.LBB507_212:
	s_or_b64 exec, exec, s[22:23]
.LBB507_213:
	s_or_b64 exec, exec, s[20:21]
.LBB507_214:
	s_or_b64 exec, exec, s[10:11]
	v_lshrrev_b16_e32 v30, 8, v26
	v_cmp_ne_u16_e32 vcc, 0, v30
	v_mov_b32_e32 v33, 0
	v_mov_b32_e32 v35, 0
	s_and_saveexec_b64 s[10:11], vcc
	s_cbranch_execz .LBB507_220
; %bb.215:
	s_movk_i32 s20, 0x80
	v_cmp_ne_u16_e32 vcc, s20, v30
	v_bfrev_b32_e32 v35, 1
	s_and_saveexec_b64 s[20:21], vcc
	s_cbranch_execz .LBB507_219
; %bb.216:
	s_movk_i32 s22, 0x7f
	v_and_b32_e32 v31, 0x7f, v30
	v_cmp_ne_u32_e32 vcc, s22, v31
	v_mov_b32_e32 v35, 0x7f800001
	s_and_saveexec_b64 s[22:23], vcc
	s_cbranch_execz .LBB507_218
; %bb.217:
	v_and_b32_e32 v32, 7, v30
	v_ffbh_u32_e32 v36, v32
	v_min_u32_e32 v38, 32, v36
	v_subrev_u32_e32 v36, 28, v38
	v_lshlrev_b64 v[36:37], v36, v[30:31]
	v_lshrrev_b32_e32 v35, 3, v31
	v_sub_u32_e32 v30, 29, v38
	v_and_b32_e32 v36, 7, v36
	v_cmp_gt_u32_e32 vcc, 8, v31
	v_cndmask_b32_e32 v30, v35, v30, vcc
	v_cndmask_b32_e32 v31, v32, v36, vcc
	v_lshlrev_b32_e32 v32, 16, v26
	v_bfrev_b32_e32 v35, 60
	v_lshlrev_b32_e32 v31, 20, v31
	v_and_b32_e32 v32, 0x80000000, v32
	v_lshl_add_u32 v30, v30, 23, v35
	v_or3_b32 v35, v32, v30, v31
.LBB507_218:
	s_or_b64 exec, exec, s[22:23]
.LBB507_219:
	s_or_b64 exec, exec, s[20:21]
.LBB507_220:
	s_or_b64 exec, exec, s[10:11]
	s_movk_i32 s10, 0xff
	v_and_b32_sdwa v31, v26, s10 dst_sel:DWORD dst_unused:UNUSED_PAD src0_sel:WORD_1 src1_sel:DWORD
	v_lshrrev_b32_e32 v30, 16, v26
	v_cmp_ne_u16_e32 vcc, 0, v31
	s_and_saveexec_b64 s[10:11], vcc
	s_cbranch_execz .LBB507_226
; %bb.221:
	s_movk_i32 s20, 0x80
	v_cmp_ne_u16_e32 vcc, s20, v31
	v_bfrev_b32_e32 v33, 1
	s_and_saveexec_b64 s[20:21], vcc
	s_cbranch_execz .LBB507_225
; %bb.222:
	v_bfe_u32 v31, v26, 16, 7
	s_movk_i32 s22, 0x7f
	v_cmp_ne_u32_e32 vcc, s22, v31
	v_mov_b32_e32 v33, 0x7f800001
	s_and_saveexec_b64 s[22:23], vcc
	s_cbranch_execz .LBB507_224
; %bb.223:
	v_and_b32_e32 v36, 7, v30
	v_ffbh_u32_e32 v32, v36
	v_min_u32_e32 v38, 32, v32
	v_subrev_u32_e32 v32, 28, v38
	v_lshlrev_b64 v[32:33], v32, v[30:31]
	v_and_b32_e32 v32, 7, v32
	v_cmp_gt_u32_e32 vcc, 8, v31
	v_lshrrev_b32_e32 v37, 3, v31
	v_sub_u32_e32 v30, 29, v38
	v_cndmask_b32_e32 v31, v36, v32, vcc
	v_mov_b32_e32 v32, 24
	v_cndmask_b32_e32 v30, v37, v30, vcc
	v_lshlrev_b32_sdwa v32, v32, v26 dst_sel:DWORD dst_unused:UNUSED_PAD src0_sel:DWORD src1_sel:WORD_1
	v_bfrev_b32_e32 v33, 60
	v_lshlrev_b32_e32 v31, 20, v31
	v_and_b32_e32 v32, 0x80000000, v32
	v_lshl_add_u32 v30, v30, 23, v33
	v_or3_b32 v33, v32, v30, v31
.LBB507_224:
	s_or_b64 exec, exec, s[22:23]
.LBB507_225:
	s_or_b64 exec, exec, s[20:21]
.LBB507_226:
	s_or_b64 exec, exec, s[10:11]
	s_mov_b32 s10, 0xffffff
	v_cmp_lt_u32_e32 vcc, s10, v26
	v_mov_b32_e32 v31, 0
	v_mov_b32_e32 v36, 0
	s_and_saveexec_b64 s[10:11], vcc
	s_cbranch_execz .LBB507_232
; %bb.227:
	v_lshrrev_b32_e32 v30, 24, v26
	s_movk_i32 s20, 0x80
	v_cmp_ne_u32_e32 vcc, s20, v30
	v_bfrev_b32_e32 v36, 1
	s_and_saveexec_b64 s[20:21], vcc
	s_cbranch_execz .LBB507_231
; %bb.228:
	v_bfe_u32 v32, v26, 24, 7
	s_movk_i32 s22, 0x7f
	v_cmp_ne_u32_e32 vcc, s22, v32
	v_mov_b32_e32 v36, 0x7f800001
	s_and_saveexec_b64 s[22:23], vcc
	s_cbranch_execz .LBB507_230
; %bb.229:
	v_and_b32_e32 v38, 7, v30
	v_ffbh_u32_e32 v36, v38
	v_min_u32_e32 v40, 32, v36
	v_subrev_u32_e32 v36, 28, v40
	v_lshlrev_b64 v[36:37], v36, v[30:31]
	v_lshrrev_b32_e32 v39, 3, v32
	v_sub_u32_e32 v37, 29, v40
	v_and_b32_e32 v36, 7, v36
	v_cmp_gt_u32_e32 vcc, 8, v32
	v_cndmask_b32_e32 v32, v39, v37, vcc
	v_cndmask_b32_e32 v36, v38, v36, vcc
	v_lshlrev_b32_e32 v30, 24, v30
	v_bfrev_b32_e32 v37, 60
	v_lshlrev_b32_e32 v36, 20, v36
	v_and_b32_e32 v30, 0x80000000, v30
	v_lshl_add_u32 v32, v32, 23, v37
	v_or3_b32 v36, v30, v32, v36
.LBB507_230:
	s_or_b64 exec, exec, s[22:23]
.LBB507_231:
	s_or_b64 exec, exec, s[20:21]
.LBB507_232:
	s_or_b64 exec, exec, s[10:11]
	v_mov_b32_e32 v30, v27
	v_cmp_ne_u16_sdwa s[20:21], v27, v31 src0_sel:BYTE_0 src1_sel:DWORD
	s_and_saveexec_b64 s[10:11], s[20:21]
	s_cbranch_execz .LBB507_238
; %bb.233:
	s_movk_i32 s20, 0x80
	v_cmp_ne_u16_sdwa s[22:23], v27, s20 src0_sel:BYTE_0 src1_sel:DWORD
	v_bfrev_b32_e32 v32, 1
	s_and_saveexec_b64 s[20:21], s[22:23]
	s_cbranch_execz .LBB507_237
; %bb.234:
	s_movk_i32 s22, 0x7f
	v_and_b32_e32 v37, 0x7f, v27
	v_cmp_ne_u32_e32 vcc, s22, v37
	v_mov_b32_e32 v32, 0x7f800001
	s_and_saveexec_b64 s[22:23], vcc
	s_cbranch_execz .LBB507_236
; %bb.235:
	v_and_b32_e32 v32, 7, v27
	v_ffbh_u32_e32 v32, v32
	v_min_u32_e32 v32, 32, v32
	v_subrev_u32_e32 v39, 28, v32
	v_cmp_gt_u32_e32 vcc, 8, v37
	v_lshrrev_b32_e32 v38, 3, v37
	v_sub_u32_e32 v32, 29, v32
	v_cndmask_b32_e32 v37, 0, v39, vcc
	v_cndmask_b32_e32 v32, v38, v32, vcc
	v_lshlrev_b64 v[38:39], v37, v[30:31]
	v_lshlrev_b32_e32 v31, 20, v38
	v_lshlrev_b32_e32 v37, 24, v30
	v_bfrev_b32_e32 v38, 60
	v_and_b32_e32 v31, 0x700000, v31
	v_and_b32_e32 v37, 0x80000000, v37
	v_lshl_add_u32 v32, v32, 23, v38
	v_or3_b32 v32, v37, v32, v31
.LBB507_236:
	s_or_b64 exec, exec, s[22:23]
.LBB507_237:
	s_or_b64 exec, exec, s[20:21]
	v_mov_b32_e32 v31, v32
.LBB507_238:
	s_or_b64 exec, exec, s[10:11]
	v_lshrrev_b16_e32 v32, 8, v30
	v_cmp_ne_u16_e32 vcc, 0, v32
	v_mov_b32_e32 v37, 0
	v_mov_b32_e32 v38, 0
	s_and_saveexec_b64 s[10:11], vcc
	s_cbranch_execz .LBB507_244
; %bb.239:
	s_movk_i32 s20, 0x80
	v_cmp_ne_u16_e32 vcc, s20, v32
	v_bfrev_b32_e32 v38, 1
	s_and_saveexec_b64 s[20:21], vcc
	s_cbranch_execz .LBB507_243
; %bb.240:
	s_movk_i32 s22, 0x7f
	v_and_b32_e32 v39, 0x7f, v32
	v_cmp_ne_u32_e32 vcc, s22, v39
	v_mov_b32_e32 v38, 0x7f800001
	s_and_saveexec_b64 s[22:23], vcc
	s_cbranch_execz .LBB507_242
; %bb.241:
	v_and_b32_e32 v38, 7, v32
	v_ffbh_u32_e32 v40, v38
	v_min_u32_e32 v47, 32, v40
	v_subrev_u32_e32 v40, 28, v47
	v_lshlrev_b64 v[40:41], v40, v[32:33]
	v_lshrrev_b32_e32 v46, 3, v39
	v_sub_u32_e32 v32, 29, v47
	v_and_b32_e32 v40, 7, v40
	v_cmp_gt_u32_e32 vcc, 8, v39
	v_cndmask_b32_e32 v32, v46, v32, vcc
	v_cndmask_b32_e32 v38, v38, v40, vcc
	v_lshlrev_b32_e32 v30, 16, v30
	v_bfrev_b32_e32 v39, 60
	v_lshlrev_b32_e32 v38, 20, v38
	v_and_b32_e32 v30, 0x80000000, v30
	v_lshl_add_u32 v32, v32, 23, v39
	v_or3_b32 v38, v30, v32, v38
.LBB507_242:
	s_or_b64 exec, exec, s[22:23]
.LBB507_243:
	s_or_b64 exec, exec, s[20:21]
.LBB507_244:
	s_or_b64 exec, exec, s[10:11]
	s_movk_i32 s10, 0xff
	v_and_b32_sdwa v32, v27, s10 dst_sel:DWORD dst_unused:UNUSED_PAD src0_sel:WORD_1 src1_sel:DWORD
	v_lshrrev_b32_e32 v30, 16, v27
	v_cmp_ne_u16_e32 vcc, 0, v32
	s_and_saveexec_b64 s[10:11], vcc
	s_cbranch_execz .LBB507_250
; %bb.245:
	s_movk_i32 s20, 0x80
	v_cmp_ne_u16_e32 vcc, s20, v32
	v_bfrev_b32_e32 v37, 1
	s_and_saveexec_b64 s[20:21], vcc
	s_cbranch_execz .LBB507_249
; %bb.246:
	v_bfe_u32 v32, v27, 16, 7
	s_movk_i32 s22, 0x7f
	v_cmp_ne_u32_e32 vcc, s22, v32
	v_mov_b32_e32 v37, 0x7f800001
	s_and_saveexec_b64 s[22:23], vcc
	s_cbranch_execz .LBB507_248
; %bb.247:
	v_and_b32_e32 v37, 7, v30
	v_ffbh_u32_e32 v40, v37
	v_min_u32_e32 v46, 32, v40
	v_subrev_u32_e32 v40, 28, v46
	v_lshlrev_b64 v[40:41], v40, v[30:31]
	v_and_b32_e32 v40, 7, v40
	v_cmp_gt_u32_e32 vcc, 8, v32
	v_lshrrev_b32_e32 v39, 3, v32
	v_sub_u32_e32 v30, 29, v46
	v_cndmask_b32_e32 v32, v37, v40, vcc
	v_mov_b32_e32 v37, 24
	v_cndmask_b32_e32 v30, v39, v30, vcc
	v_lshlrev_b32_sdwa v37, v37, v27 dst_sel:DWORD dst_unused:UNUSED_PAD src0_sel:DWORD src1_sel:WORD_1
	v_bfrev_b32_e32 v39, 60
	v_lshlrev_b32_e32 v32, 20, v32
	v_and_b32_e32 v37, 0x80000000, v37
	v_lshl_add_u32 v30, v30, 23, v39
	v_or3_b32 v37, v37, v30, v32
.LBB507_248:
	s_or_b64 exec, exec, s[22:23]
.LBB507_249:
	s_or_b64 exec, exec, s[20:21]
.LBB507_250:
	s_or_b64 exec, exec, s[10:11]
	s_mov_b32 s10, -1
	s_mov_b32 s11, 0xffffff
	v_cmp_lt_u64_e32 vcc, s[10:11], v[26:27]
	v_mov_b32_e32 v32, 0
	v_mov_b32_e32 v30, 0
	s_and_saveexec_b64 s[10:11], vcc
	s_cbranch_execz .LBB507_256
; %bb.251:
	v_lshrrev_b32_e32 v26, 24, v27
	s_movk_i32 s20, 0x80
	v_cmp_ne_u32_e32 vcc, s20, v26
	v_bfrev_b32_e32 v30, 1
	s_and_saveexec_b64 s[20:21], vcc
	s_cbranch_execz .LBB507_255
; %bb.252:
	v_bfe_u32 v27, v27, 24, 7
	s_movk_i32 s22, 0x7f
	v_cmp_ne_u32_e32 vcc, s22, v27
	v_mov_b32_e32 v30, 0x7f800001
	s_and_saveexec_b64 s[22:23], vcc
	s_cbranch_execz .LBB507_254
; %bb.253:
	v_and_b32_e32 v30, 7, v26
	v_ffbh_u32_e32 v40, v30
	v_min_u32_e32 v46, 32, v40
	v_subrev_u32_e32 v40, 28, v46
	v_lshlrev_b64 v[40:41], v40, v[26:27]
	v_lshrrev_b32_e32 v39, 3, v27
	v_sub_u32_e32 v41, 29, v46
	v_and_b32_e32 v40, 7, v40
	v_cmp_gt_u32_e32 vcc, 8, v27
	v_cndmask_b32_e32 v27, v39, v41, vcc
	v_cndmask_b32_e32 v30, v30, v40, vcc
	v_lshlrev_b32_e32 v26, 24, v26
	v_bfrev_b32_e32 v39, 60
	v_lshlrev_b32_e32 v30, 20, v30
	v_and_b32_e32 v26, 0x80000000, v26
	v_lshl_add_u32 v27, v27, 23, v39
	v_or3_b32 v30, v26, v27, v30
.LBB507_254:
	s_or_b64 exec, exec, s[22:23]
.LBB507_255:
	s_or_b64 exec, exec, s[20:21]
.LBB507_256:
	s_or_b64 exec, exec, s[10:11]
	v_cvt_pkrtz_f16_f32 v26, v34, v35
	v_cvt_pkrtz_f16_f32 v27, v33, v36
	;; [unrolled: 1-line block ×4, first 2 shown]
	v_mfma_f32_4x4x4f16 a[0:3], v[2:3], v[26:27], a[0:3] cbsz:4 abid:4
	v_cmp_ne_u16_sdwa s[20:21], v28, v32 src0_sel:BYTE_0 src1_sel:DWORD
	v_mfma_f32_4x4x4f16 a[0:3], v[4:5], v[34:35], a[0:3] cbsz:4 abid:4
	s_and_saveexec_b64 s[10:11], s[20:21]
	s_cbranch_execz .LBB507_262
; %bb.257:
	s_movk_i32 s20, 0x80
	v_cmp_ne_u16_sdwa s[22:23], v28, s20 src0_sel:BYTE_0 src1_sel:DWORD
	v_bfrev_b32_e32 v32, 1
	s_and_saveexec_b64 s[20:21], s[22:23]
	s_cbranch_execz .LBB507_261
; %bb.258:
	s_movk_i32 s22, 0x7f
	v_and_b32_e32 v26, 0x7f, v28
	v_cmp_ne_u32_e32 vcc, s22, v26
	v_mov_b32_e32 v32, 0x7f800001
	s_and_saveexec_b64 s[22:23], vcc
	s_cbranch_execz .LBB507_260
; %bb.259:
	v_and_b32_e32 v27, 7, v28
	v_ffbh_u32_e32 v27, v27
	v_min_u32_e32 v27, 32, v27
	v_subrev_u32_e32 v31, 28, v27
	v_cmp_gt_u32_e32 vcc, 8, v26
	v_lshrrev_b32_e32 v30, 3, v26
	v_sub_u32_e32 v27, 29, v27
	v_cndmask_b32_e32 v26, 0, v31, vcc
	v_cndmask_b32_e32 v30, v30, v27, vcc
	v_lshlrev_b64 v[26:27], v26, v[28:29]
	v_lshlrev_b32_e32 v26, 20, v26
	v_lshlrev_b32_e32 v27, 24, v28
	v_bfrev_b32_e32 v31, 60
	v_and_b32_e32 v26, 0x700000, v26
	v_and_b32_e32 v27, 0x80000000, v27
	v_lshl_add_u32 v30, v30, 23, v31
	v_or3_b32 v32, v27, v30, v26
.LBB507_260:
	s_or_b64 exec, exec, s[22:23]
.LBB507_261:
	s_or_b64 exec, exec, s[20:21]
.LBB507_262:
	s_or_b64 exec, exec, s[10:11]
	v_lshrrev_b16_e32 v26, 8, v28
	v_cmp_ne_u16_e32 vcc, 0, v26
	v_mov_b32_e32 v31, 0
	v_mov_b32_e32 v33, 0
	s_and_saveexec_b64 s[10:11], vcc
	s_cbranch_execz .LBB507_268
; %bb.263:
	s_movk_i32 s20, 0x80
	v_cmp_ne_u16_e32 vcc, s20, v26
	v_bfrev_b32_e32 v33, 1
	s_and_saveexec_b64 s[20:21], vcc
	s_cbranch_execz .LBB507_267
; %bb.264:
	s_movk_i32 s22, 0x7f
	v_and_b32_e32 v27, 0x7f, v26
	v_cmp_ne_u32_e32 vcc, s22, v27
	v_mov_b32_e32 v33, 0x7f800001
	s_and_saveexec_b64 s[22:23], vcc
	s_cbranch_execz .LBB507_266
; %bb.265:
	v_and_b32_e32 v30, 7, v26
	v_ffbh_u32_e32 v34, v30
	v_min_u32_e32 v36, 32, v34
	v_subrev_u32_e32 v34, 28, v36
	v_lshlrev_b64 v[34:35], v34, v[26:27]
	v_lshrrev_b32_e32 v33, 3, v27
	v_sub_u32_e32 v26, 29, v36
	v_and_b32_e32 v34, 7, v34
	v_cmp_gt_u32_e32 vcc, 8, v27
	v_cndmask_b32_e32 v26, v33, v26, vcc
	v_cndmask_b32_e32 v27, v30, v34, vcc
	v_lshlrev_b32_e32 v30, 16, v28
	v_bfrev_b32_e32 v33, 60
	v_lshlrev_b32_e32 v27, 20, v27
	v_and_b32_e32 v30, 0x80000000, v30
	v_lshl_add_u32 v26, v26, 23, v33
	v_or3_b32 v33, v30, v26, v27
.LBB507_266:
	s_or_b64 exec, exec, s[22:23]
.LBB507_267:
	s_or_b64 exec, exec, s[20:21]
.LBB507_268:
	s_or_b64 exec, exec, s[10:11]
	s_movk_i32 s10, 0xff
	v_and_b32_sdwa v27, v28, s10 dst_sel:DWORD dst_unused:UNUSED_PAD src0_sel:WORD_1 src1_sel:DWORD
	v_lshrrev_b32_e32 v26, 16, v28
	v_cmp_ne_u16_e32 vcc, 0, v27
	s_and_saveexec_b64 s[10:11], vcc
	s_cbranch_execz .LBB507_274
; %bb.269:
	s_movk_i32 s20, 0x80
	v_cmp_ne_u16_e32 vcc, s20, v27
	v_bfrev_b32_e32 v31, 1
	s_and_saveexec_b64 s[20:21], vcc
	s_cbranch_execz .LBB507_273
; %bb.270:
	v_bfe_u32 v27, v28, 16, 7
	s_movk_i32 s22, 0x7f
	v_cmp_ne_u32_e32 vcc, s22, v27
	v_mov_b32_e32 v31, 0x7f800001
	s_and_saveexec_b64 s[22:23], vcc
	s_cbranch_execz .LBB507_272
; %bb.271:
	v_and_b32_e32 v34, 7, v26
	v_ffbh_u32_e32 v30, v34
	v_min_u32_e32 v36, 32, v30
	v_subrev_u32_e32 v30, 28, v36
	v_lshlrev_b64 v[30:31], v30, v[26:27]
	v_and_b32_e32 v30, 7, v30
	v_cmp_gt_u32_e32 vcc, 8, v27
	v_lshrrev_b32_e32 v35, 3, v27
	v_sub_u32_e32 v26, 29, v36
	v_cndmask_b32_e32 v27, v34, v30, vcc
	v_mov_b32_e32 v30, 24
	v_cndmask_b32_e32 v26, v35, v26, vcc
	v_lshlrev_b32_sdwa v30, v30, v28 dst_sel:DWORD dst_unused:UNUSED_PAD src0_sel:DWORD src1_sel:WORD_1
	v_bfrev_b32_e32 v31, 60
	v_lshlrev_b32_e32 v27, 20, v27
	v_and_b32_e32 v30, 0x80000000, v30
	v_lshl_add_u32 v26, v26, 23, v31
	v_or3_b32 v31, v30, v26, v27
.LBB507_272:
	s_or_b64 exec, exec, s[22:23]
.LBB507_273:
	s_or_b64 exec, exec, s[20:21]
.LBB507_274:
	s_or_b64 exec, exec, s[10:11]
	s_mov_b32 s10, 0xffffff
	v_cmp_lt_u32_e32 vcc, s10, v28
	v_mov_b32_e32 v27, 0
	v_mov_b32_e32 v34, 0
	s_and_saveexec_b64 s[10:11], vcc
	s_cbranch_execz .LBB507_280
; %bb.275:
	v_lshrrev_b32_e32 v26, 24, v28
	s_movk_i32 s20, 0x80
	v_cmp_ne_u32_e32 vcc, s20, v26
	v_bfrev_b32_e32 v34, 1
	s_and_saveexec_b64 s[20:21], vcc
	s_cbranch_execz .LBB507_279
; %bb.276:
	v_bfe_u32 v30, v28, 24, 7
	s_movk_i32 s22, 0x7f
	v_cmp_ne_u32_e32 vcc, s22, v30
	v_mov_b32_e32 v34, 0x7f800001
	s_and_saveexec_b64 s[22:23], vcc
	s_cbranch_execz .LBB507_278
; %bb.277:
	v_and_b32_e32 v36, 7, v26
	v_ffbh_u32_e32 v34, v36
	v_min_u32_e32 v38, 32, v34
	v_subrev_u32_e32 v34, 28, v38
	v_lshlrev_b64 v[34:35], v34, v[26:27]
	v_lshrrev_b32_e32 v37, 3, v30
	v_sub_u32_e32 v35, 29, v38
	v_and_b32_e32 v34, 7, v34
	v_cmp_gt_u32_e32 vcc, 8, v30
	v_cndmask_b32_e32 v30, v37, v35, vcc
	v_cndmask_b32_e32 v34, v36, v34, vcc
	v_lshlrev_b32_e32 v26, 24, v26
	v_bfrev_b32_e32 v35, 60
	v_lshlrev_b32_e32 v34, 20, v34
	v_and_b32_e32 v26, 0x80000000, v26
	v_lshl_add_u32 v30, v30, 23, v35
	v_or3_b32 v34, v26, v30, v34
.LBB507_278:
	s_or_b64 exec, exec, s[22:23]
.LBB507_279:
	s_or_b64 exec, exec, s[20:21]
.LBB507_280:
	s_or_b64 exec, exec, s[10:11]
	v_mov_b32_e32 v26, v29
	v_cmp_ne_u16_sdwa s[20:21], v29, v27 src0_sel:BYTE_0 src1_sel:DWORD
	s_and_saveexec_b64 s[10:11], s[20:21]
	s_cbranch_execz .LBB507_286
; %bb.281:
	s_movk_i32 s20, 0x80
	v_cmp_ne_u16_sdwa s[22:23], v29, s20 src0_sel:BYTE_0 src1_sel:DWORD
	v_bfrev_b32_e32 v30, 1
	s_and_saveexec_b64 s[20:21], s[22:23]
	s_cbranch_execz .LBB507_285
; %bb.282:
	s_movk_i32 s22, 0x7f
	v_and_b32_e32 v35, 0x7f, v29
	v_cmp_ne_u32_e32 vcc, s22, v35
	v_mov_b32_e32 v30, 0x7f800001
	s_and_saveexec_b64 s[22:23], vcc
	s_cbranch_execz .LBB507_284
; %bb.283:
	v_and_b32_e32 v30, 7, v29
	v_ffbh_u32_e32 v30, v30
	v_min_u32_e32 v30, 32, v30
	v_subrev_u32_e32 v37, 28, v30
	v_cmp_gt_u32_e32 vcc, 8, v35
	v_lshrrev_b32_e32 v36, 3, v35
	v_sub_u32_e32 v30, 29, v30
	v_cndmask_b32_e32 v35, 0, v37, vcc
	v_cndmask_b32_e32 v30, v36, v30, vcc
	v_lshlrev_b64 v[36:37], v35, v[26:27]
	v_lshlrev_b32_e32 v27, 20, v36
	v_lshlrev_b32_e32 v35, 24, v26
	v_bfrev_b32_e32 v36, 60
	v_and_b32_e32 v27, 0x700000, v27
	v_and_b32_e32 v35, 0x80000000, v35
	v_lshl_add_u32 v30, v30, 23, v36
	v_or3_b32 v30, v35, v30, v27
.LBB507_284:
	s_or_b64 exec, exec, s[22:23]
.LBB507_285:
	s_or_b64 exec, exec, s[20:21]
	v_mov_b32_e32 v27, v30
.LBB507_286:
	s_or_b64 exec, exec, s[10:11]
	v_lshrrev_b16_e32 v30, 8, v26
	v_cmp_ne_u16_e32 vcc, 0, v30
	v_mov_b32_e32 v35, 0
	v_mov_b32_e32 v36, 0
	s_and_saveexec_b64 s[10:11], vcc
	s_cbranch_execz .LBB507_292
; %bb.287:
	s_movk_i32 s20, 0x80
	v_cmp_ne_u16_e32 vcc, s20, v30
	v_bfrev_b32_e32 v36, 1
	s_and_saveexec_b64 s[20:21], vcc
	s_cbranch_execz .LBB507_291
; %bb.288:
	s_movk_i32 s22, 0x7f
	v_and_b32_e32 v37, 0x7f, v30
	v_cmp_ne_u32_e32 vcc, s22, v37
	v_mov_b32_e32 v36, 0x7f800001
	s_and_saveexec_b64 s[22:23], vcc
	s_cbranch_execz .LBB507_290
; %bb.289:
	v_and_b32_e32 v36, 7, v30
	v_ffbh_u32_e32 v38, v36
	v_min_u32_e32 v41, 32, v38
	v_subrev_u32_e32 v38, 28, v41
	v_lshlrev_b64 v[38:39], v38, v[30:31]
	v_lshrrev_b32_e32 v40, 3, v37
	v_sub_u32_e32 v30, 29, v41
	v_and_b32_e32 v38, 7, v38
	v_cmp_gt_u32_e32 vcc, 8, v37
	v_cndmask_b32_e32 v30, v40, v30, vcc
	v_cndmask_b32_e32 v36, v36, v38, vcc
	v_lshlrev_b32_e32 v26, 16, v26
	v_bfrev_b32_e32 v37, 60
	v_lshlrev_b32_e32 v36, 20, v36
	v_and_b32_e32 v26, 0x80000000, v26
	v_lshl_add_u32 v30, v30, 23, v37
	v_or3_b32 v36, v26, v30, v36
.LBB507_290:
	s_or_b64 exec, exec, s[22:23]
.LBB507_291:
	s_or_b64 exec, exec, s[20:21]
.LBB507_292:
	s_or_b64 exec, exec, s[10:11]
	s_movk_i32 s10, 0xff
	v_and_b32_sdwa v30, v29, s10 dst_sel:DWORD dst_unused:UNUSED_PAD src0_sel:WORD_1 src1_sel:DWORD
	v_lshrrev_b32_e32 v26, 16, v29
	v_cmp_ne_u16_e32 vcc, 0, v30
	s_and_saveexec_b64 s[10:11], vcc
	s_cbranch_execz .LBB507_298
; %bb.293:
	s_movk_i32 s20, 0x80
	v_cmp_ne_u16_e32 vcc, s20, v30
	v_bfrev_b32_e32 v35, 1
	s_and_saveexec_b64 s[20:21], vcc
	s_cbranch_execz .LBB507_297
; %bb.294:
	v_bfe_u32 v30, v29, 16, 7
	s_movk_i32 s22, 0x7f
	v_cmp_ne_u32_e32 vcc, s22, v30
	v_mov_b32_e32 v35, 0x7f800001
	s_and_saveexec_b64 s[22:23], vcc
	s_cbranch_execz .LBB507_296
; %bb.295:
	v_and_b32_e32 v35, 7, v26
	v_ffbh_u32_e32 v38, v35
	v_min_u32_e32 v40, 32, v38
	v_subrev_u32_e32 v38, 28, v40
	v_lshlrev_b64 v[38:39], v38, v[26:27]
	v_and_b32_e32 v38, 7, v38
	v_cmp_gt_u32_e32 vcc, 8, v30
	v_lshrrev_b32_e32 v37, 3, v30
	v_sub_u32_e32 v26, 29, v40
	v_cndmask_b32_e32 v30, v35, v38, vcc
	v_mov_b32_e32 v35, 24
	v_cndmask_b32_e32 v26, v37, v26, vcc
	v_lshlrev_b32_sdwa v35, v35, v29 dst_sel:DWORD dst_unused:UNUSED_PAD src0_sel:DWORD src1_sel:WORD_1
	v_bfrev_b32_e32 v37, 60
	v_lshlrev_b32_e32 v30, 20, v30
	v_and_b32_e32 v35, 0x80000000, v35
	v_lshl_add_u32 v26, v26, 23, v37
	v_or3_b32 v35, v35, v26, v30
.LBB507_296:
	s_or_b64 exec, exec, s[22:23]
.LBB507_297:
	s_or_b64 exec, exec, s[20:21]
.LBB507_298:
	s_or_b64 exec, exec, s[10:11]
	s_mov_b32 s10, -1
	s_mov_b32 s11, 0xffffff
	v_cmp_lt_u64_e32 vcc, s[10:11], v[28:29]
	v_mov_b32_e32 v30, 0
	v_mov_b32_e32 v28, 0
	s_and_saveexec_b64 s[10:11], vcc
	s_cbranch_execz .LBB507_304
; %bb.299:
	v_lshrrev_b32_e32 v26, 24, v29
	s_movk_i32 s20, 0x80
	v_cmp_ne_u32_e32 vcc, s20, v26
	v_bfrev_b32_e32 v28, 1
	s_and_saveexec_b64 s[20:21], vcc
	s_cbranch_execz .LBB507_303
; %bb.300:
	v_bfe_u32 v29, v29, 24, 7
	s_movk_i32 s22, 0x7f
	v_cmp_ne_u32_e32 vcc, s22, v29
	v_mov_b32_e32 v28, 0x7f800001
	s_and_saveexec_b64 s[22:23], vcc
	s_cbranch_execz .LBB507_302
; %bb.301:
	v_and_b32_e32 v28, 7, v26
	v_ffbh_u32_e32 v38, v28
	v_min_u32_e32 v40, 32, v38
	v_subrev_u32_e32 v38, 28, v40
	v_lshlrev_b64 v[38:39], v38, v[26:27]
	v_lshrrev_b32_e32 v37, 3, v29
	v_sub_u32_e32 v39, 29, v40
	v_and_b32_e32 v38, 7, v38
	v_cmp_gt_u32_e32 vcc, 8, v29
	v_cndmask_b32_e32 v29, v37, v39, vcc
	v_cndmask_b32_e32 v28, v28, v38, vcc
	v_lshlrev_b32_e32 v26, 24, v26
	v_bfrev_b32_e32 v37, 60
	v_lshlrev_b32_e32 v28, 20, v28
	v_and_b32_e32 v26, 0x80000000, v26
	v_lshl_add_u32 v29, v29, 23, v37
	v_or3_b32 v28, v26, v29, v28
.LBB507_302:
	s_or_b64 exec, exec, s[22:23]
.LBB507_303:
	s_or_b64 exec, exec, s[20:21]
.LBB507_304:
	s_or_b64 exec, exec, s[10:11]
	v_cvt_pkrtz_f16_f32 v32, v32, v33
	v_cvt_pkrtz_f16_f32 v33, v31, v34
	;; [unrolled: 1-line block ×4, first 2 shown]
	v_mfma_f32_4x4x4f16 a[0:3], v[2:3], v[32:33], a[0:3] cbsz:4 abid:5
	v_cmp_ne_u16_sdwa s[20:21], v22, v30 src0_sel:BYTE_0 src1_sel:DWORD
	v_mfma_f32_4x4x4f16 a[0:3], v[4:5], v[26:27], a[0:3] cbsz:4 abid:5
	s_and_saveexec_b64 s[10:11], s[20:21]
	s_cbranch_execz .LBB507_310
; %bb.305:
	s_movk_i32 s20, 0x80
	v_cmp_ne_u16_sdwa s[22:23], v22, s20 src0_sel:BYTE_0 src1_sel:DWORD
	v_bfrev_b32_e32 v30, 1
	s_and_saveexec_b64 s[20:21], s[22:23]
	s_cbranch_execz .LBB507_309
; %bb.306:
	s_movk_i32 s22, 0x7f
	v_and_b32_e32 v26, 0x7f, v22
	v_cmp_ne_u32_e32 vcc, s22, v26
	v_mov_b32_e32 v30, 0x7f800001
	s_and_saveexec_b64 s[22:23], vcc
	s_cbranch_execz .LBB507_308
; %bb.307:
	v_and_b32_e32 v27, 7, v22
	v_ffbh_u32_e32 v27, v27
	v_min_u32_e32 v27, 32, v27
	v_subrev_u32_e32 v29, 28, v27
	v_cmp_gt_u32_e32 vcc, 8, v26
	v_lshrrev_b32_e32 v28, 3, v26
	v_sub_u32_e32 v27, 29, v27
	v_cndmask_b32_e32 v26, 0, v29, vcc
	v_cndmask_b32_e32 v28, v28, v27, vcc
	v_lshlrev_b64 v[26:27], v26, v[22:23]
	v_lshlrev_b32_e32 v26, 20, v26
	v_lshlrev_b32_e32 v27, 24, v22
	v_bfrev_b32_e32 v29, 60
	v_and_b32_e32 v26, 0x700000, v26
	v_and_b32_e32 v27, 0x80000000, v27
	v_lshl_add_u32 v28, v28, 23, v29
	v_or3_b32 v30, v27, v28, v26
.LBB507_308:
	s_or_b64 exec, exec, s[22:23]
.LBB507_309:
	s_or_b64 exec, exec, s[20:21]
.LBB507_310:
	s_or_b64 exec, exec, s[10:11]
	v_lshrrev_b16_e32 v26, 8, v22
	v_cmp_ne_u16_e32 vcc, 0, v26
	v_mov_b32_e32 v29, 0
	v_mov_b32_e32 v31, 0
	s_and_saveexec_b64 s[10:11], vcc
	s_cbranch_execz .LBB507_316
; %bb.311:
	s_movk_i32 s20, 0x80
	v_cmp_ne_u16_e32 vcc, s20, v26
	v_bfrev_b32_e32 v31, 1
	s_and_saveexec_b64 s[20:21], vcc
	s_cbranch_execz .LBB507_315
; %bb.312:
	s_movk_i32 s22, 0x7f
	v_and_b32_e32 v27, 0x7f, v26
	v_cmp_ne_u32_e32 vcc, s22, v27
	v_mov_b32_e32 v31, 0x7f800001
	s_and_saveexec_b64 s[22:23], vcc
	s_cbranch_execz .LBB507_314
; %bb.313:
	v_and_b32_e32 v28, 7, v26
	v_ffbh_u32_e32 v32, v28
	v_min_u32_e32 v34, 32, v32
	v_subrev_u32_e32 v32, 28, v34
	v_lshlrev_b64 v[32:33], v32, v[26:27]
	v_lshrrev_b32_e32 v31, 3, v27
	v_sub_u32_e32 v26, 29, v34
	v_and_b32_e32 v32, 7, v32
	v_cmp_gt_u32_e32 vcc, 8, v27
	v_cndmask_b32_e32 v26, v31, v26, vcc
	v_cndmask_b32_e32 v27, v28, v32, vcc
	v_lshlrev_b32_e32 v28, 16, v22
	v_bfrev_b32_e32 v31, 60
	v_lshlrev_b32_e32 v27, 20, v27
	v_and_b32_e32 v28, 0x80000000, v28
	v_lshl_add_u32 v26, v26, 23, v31
	v_or3_b32 v31, v28, v26, v27
.LBB507_314:
	s_or_b64 exec, exec, s[22:23]
.LBB507_315:
	s_or_b64 exec, exec, s[20:21]
.LBB507_316:
	s_or_b64 exec, exec, s[10:11]
	s_movk_i32 s10, 0xff
	v_and_b32_sdwa v27, v22, s10 dst_sel:DWORD dst_unused:UNUSED_PAD src0_sel:WORD_1 src1_sel:DWORD
	v_lshrrev_b32_e32 v26, 16, v22
	v_cmp_ne_u16_e32 vcc, 0, v27
	s_and_saveexec_b64 s[10:11], vcc
	s_cbranch_execz .LBB507_322
; %bb.317:
	s_movk_i32 s20, 0x80
	v_cmp_ne_u16_e32 vcc, s20, v27
	v_bfrev_b32_e32 v29, 1
	s_and_saveexec_b64 s[20:21], vcc
	s_cbranch_execz .LBB507_321
; %bb.318:
	v_bfe_u32 v27, v22, 16, 7
	s_movk_i32 s22, 0x7f
	v_cmp_ne_u32_e32 vcc, s22, v27
	v_mov_b32_e32 v29, 0x7f800001
	s_and_saveexec_b64 s[22:23], vcc
	s_cbranch_execz .LBB507_320
; %bb.319:
	v_and_b32_e32 v32, 7, v26
	v_ffbh_u32_e32 v28, v32
	v_min_u32_e32 v34, 32, v28
	v_subrev_u32_e32 v28, 28, v34
	v_lshlrev_b64 v[28:29], v28, v[26:27]
	v_and_b32_e32 v28, 7, v28
	v_cmp_gt_u32_e32 vcc, 8, v27
	v_lshrrev_b32_e32 v33, 3, v27
	v_sub_u32_e32 v26, 29, v34
	v_cndmask_b32_e32 v27, v32, v28, vcc
	v_mov_b32_e32 v28, 24
	v_cndmask_b32_e32 v26, v33, v26, vcc
	v_lshlrev_b32_sdwa v28, v28, v22 dst_sel:DWORD dst_unused:UNUSED_PAD src0_sel:DWORD src1_sel:WORD_1
	v_bfrev_b32_e32 v29, 60
	v_lshlrev_b32_e32 v27, 20, v27
	v_and_b32_e32 v28, 0x80000000, v28
	v_lshl_add_u32 v26, v26, 23, v29
	v_or3_b32 v29, v28, v26, v27
.LBB507_320:
	s_or_b64 exec, exec, s[22:23]
.LBB507_321:
	s_or_b64 exec, exec, s[20:21]
.LBB507_322:
	s_or_b64 exec, exec, s[10:11]
	s_mov_b32 s10, 0xffffff
	v_cmp_lt_u32_e32 vcc, s10, v22
	v_mov_b32_e32 v27, 0
	v_mov_b32_e32 v32, 0
	s_and_saveexec_b64 s[10:11], vcc
	s_cbranch_execz .LBB507_328
; %bb.323:
	v_lshrrev_b32_e32 v26, 24, v22
	s_movk_i32 s20, 0x80
	v_cmp_ne_u32_e32 vcc, s20, v26
	v_bfrev_b32_e32 v32, 1
	s_and_saveexec_b64 s[20:21], vcc
	s_cbranch_execz .LBB507_327
; %bb.324:
	v_bfe_u32 v28, v22, 24, 7
	s_movk_i32 s22, 0x7f
	v_cmp_ne_u32_e32 vcc, s22, v28
	v_mov_b32_e32 v32, 0x7f800001
	s_and_saveexec_b64 s[22:23], vcc
	s_cbranch_execz .LBB507_326
; %bb.325:
	v_and_b32_e32 v34, 7, v26
	v_ffbh_u32_e32 v32, v34
	v_min_u32_e32 v36, 32, v32
	v_subrev_u32_e32 v32, 28, v36
	v_lshlrev_b64 v[32:33], v32, v[26:27]
	v_lshrrev_b32_e32 v35, 3, v28
	v_sub_u32_e32 v33, 29, v36
	v_and_b32_e32 v32, 7, v32
	v_cmp_gt_u32_e32 vcc, 8, v28
	v_cndmask_b32_e32 v28, v35, v33, vcc
	v_cndmask_b32_e32 v32, v34, v32, vcc
	v_lshlrev_b32_e32 v26, 24, v26
	v_bfrev_b32_e32 v33, 60
	v_lshlrev_b32_e32 v32, 20, v32
	v_and_b32_e32 v26, 0x80000000, v26
	v_lshl_add_u32 v28, v28, 23, v33
	v_or3_b32 v32, v26, v28, v32
.LBB507_326:
	s_or_b64 exec, exec, s[22:23]
.LBB507_327:
	s_or_b64 exec, exec, s[20:21]
.LBB507_328:
	s_or_b64 exec, exec, s[10:11]
	v_mov_b32_e32 v26, v23
	v_cmp_ne_u16_sdwa s[20:21], v23, v27 src0_sel:BYTE_0 src1_sel:DWORD
	s_and_saveexec_b64 s[10:11], s[20:21]
	s_cbranch_execz .LBB507_334
; %bb.329:
	s_movk_i32 s20, 0x80
	v_cmp_ne_u16_sdwa s[22:23], v23, s20 src0_sel:BYTE_0 src1_sel:DWORD
	v_bfrev_b32_e32 v28, 1
	s_and_saveexec_b64 s[20:21], s[22:23]
	s_cbranch_execz .LBB507_333
; %bb.330:
	s_movk_i32 s22, 0x7f
	v_and_b32_e32 v33, 0x7f, v23
	v_cmp_ne_u32_e32 vcc, s22, v33
	v_mov_b32_e32 v28, 0x7f800001
	s_and_saveexec_b64 s[22:23], vcc
	s_cbranch_execz .LBB507_332
; %bb.331:
	v_and_b32_e32 v28, 7, v23
	v_ffbh_u32_e32 v28, v28
	v_min_u32_e32 v28, 32, v28
	v_subrev_u32_e32 v35, 28, v28
	v_cmp_gt_u32_e32 vcc, 8, v33
	v_lshrrev_b32_e32 v34, 3, v33
	v_sub_u32_e32 v28, 29, v28
	v_cndmask_b32_e32 v33, 0, v35, vcc
	v_cndmask_b32_e32 v28, v34, v28, vcc
	v_lshlrev_b64 v[34:35], v33, v[26:27]
	v_lshlrev_b32_e32 v27, 20, v34
	v_lshlrev_b32_e32 v33, 24, v26
	v_bfrev_b32_e32 v34, 60
	v_and_b32_e32 v27, 0x700000, v27
	v_and_b32_e32 v33, 0x80000000, v33
	v_lshl_add_u32 v28, v28, 23, v34
	v_or3_b32 v28, v33, v28, v27
.LBB507_332:
	s_or_b64 exec, exec, s[22:23]
.LBB507_333:
	s_or_b64 exec, exec, s[20:21]
	v_mov_b32_e32 v27, v28
.LBB507_334:
	s_or_b64 exec, exec, s[10:11]
	v_lshrrev_b16_e32 v28, 8, v26
	v_cmp_ne_u16_e32 vcc, 0, v28
	v_mov_b32_e32 v33, 0
	v_mov_b32_e32 v34, 0
	s_and_saveexec_b64 s[10:11], vcc
	s_cbranch_execz .LBB507_340
; %bb.335:
	s_movk_i32 s20, 0x80
	v_cmp_ne_u16_e32 vcc, s20, v28
	v_bfrev_b32_e32 v34, 1
	s_and_saveexec_b64 s[20:21], vcc
	s_cbranch_execz .LBB507_339
; %bb.336:
	s_movk_i32 s22, 0x7f
	v_and_b32_e32 v35, 0x7f, v28
	v_cmp_ne_u32_e32 vcc, s22, v35
	v_mov_b32_e32 v34, 0x7f800001
	s_and_saveexec_b64 s[22:23], vcc
	s_cbranch_execz .LBB507_338
; %bb.337:
	v_and_b32_e32 v34, 7, v28
	v_ffbh_u32_e32 v36, v34
	v_min_u32_e32 v39, 32, v36
	v_subrev_u32_e32 v36, 28, v39
	v_lshlrev_b64 v[36:37], v36, v[28:29]
	v_lshrrev_b32_e32 v38, 3, v35
	v_sub_u32_e32 v28, 29, v39
	v_and_b32_e32 v36, 7, v36
	v_cmp_gt_u32_e32 vcc, 8, v35
	v_cndmask_b32_e32 v28, v38, v28, vcc
	v_cndmask_b32_e32 v34, v34, v36, vcc
	v_lshlrev_b32_e32 v26, 16, v26
	v_bfrev_b32_e32 v35, 60
	v_lshlrev_b32_e32 v34, 20, v34
	v_and_b32_e32 v26, 0x80000000, v26
	v_lshl_add_u32 v28, v28, 23, v35
	v_or3_b32 v34, v26, v28, v34
.LBB507_338:
	s_or_b64 exec, exec, s[22:23]
.LBB507_339:
	s_or_b64 exec, exec, s[20:21]
.LBB507_340:
	s_or_b64 exec, exec, s[10:11]
	s_movk_i32 s10, 0xff
	v_and_b32_sdwa v28, v23, s10 dst_sel:DWORD dst_unused:UNUSED_PAD src0_sel:WORD_1 src1_sel:DWORD
	v_lshrrev_b32_e32 v26, 16, v23
	v_cmp_ne_u16_e32 vcc, 0, v28
	s_and_saveexec_b64 s[10:11], vcc
	s_cbranch_execz .LBB507_346
; %bb.341:
	s_movk_i32 s20, 0x80
	v_cmp_ne_u16_e32 vcc, s20, v28
	v_bfrev_b32_e32 v33, 1
	s_and_saveexec_b64 s[20:21], vcc
	s_cbranch_execz .LBB507_345
; %bb.342:
	v_bfe_u32 v28, v23, 16, 7
	s_movk_i32 s22, 0x7f
	v_cmp_ne_u32_e32 vcc, s22, v28
	v_mov_b32_e32 v33, 0x7f800001
	s_and_saveexec_b64 s[22:23], vcc
	s_cbranch_execz .LBB507_344
; %bb.343:
	v_and_b32_e32 v33, 7, v26
	v_ffbh_u32_e32 v36, v33
	v_min_u32_e32 v38, 32, v36
	v_subrev_u32_e32 v36, 28, v38
	v_lshlrev_b64 v[36:37], v36, v[26:27]
	v_and_b32_e32 v36, 7, v36
	v_cmp_gt_u32_e32 vcc, 8, v28
	v_lshrrev_b32_e32 v35, 3, v28
	v_sub_u32_e32 v26, 29, v38
	v_cndmask_b32_e32 v28, v33, v36, vcc
	v_mov_b32_e32 v33, 24
	v_cndmask_b32_e32 v26, v35, v26, vcc
	v_lshlrev_b32_sdwa v33, v33, v23 dst_sel:DWORD dst_unused:UNUSED_PAD src0_sel:DWORD src1_sel:WORD_1
	v_bfrev_b32_e32 v35, 60
	v_lshlrev_b32_e32 v28, 20, v28
	v_and_b32_e32 v33, 0x80000000, v33
	v_lshl_add_u32 v26, v26, 23, v35
	v_or3_b32 v33, v33, v26, v28
.LBB507_344:
	s_or_b64 exec, exec, s[22:23]
.LBB507_345:
	s_or_b64 exec, exec, s[20:21]
.LBB507_346:
	s_or_b64 exec, exec, s[10:11]
	s_mov_b32 s10, -1
	s_mov_b32 s11, 0xffffff
	v_cmp_lt_u64_e32 vcc, s[10:11], v[22:23]
	v_mov_b32_e32 v28, 0
	v_mov_b32_e32 v26, 0
	s_and_saveexec_b64 s[10:11], vcc
	s_cbranch_execz .LBB507_352
; %bb.347:
	v_lshrrev_b32_e32 v22, 24, v23
	s_movk_i32 s20, 0x80
	v_cmp_ne_u32_e32 vcc, s20, v22
	v_bfrev_b32_e32 v26, 1
	s_and_saveexec_b64 s[20:21], vcc
	s_cbranch_execz .LBB507_351
; %bb.348:
	v_bfe_u32 v23, v23, 24, 7
	s_movk_i32 s22, 0x7f
	v_cmp_ne_u32_e32 vcc, s22, v23
	v_mov_b32_e32 v26, 0x7f800001
	s_and_saveexec_b64 s[22:23], vcc
	s_cbranch_execz .LBB507_350
; %bb.349:
	v_and_b32_e32 v26, 7, v22
	v_ffbh_u32_e32 v36, v26
	v_min_u32_e32 v38, 32, v36
	v_subrev_u32_e32 v36, 28, v38
	v_lshlrev_b64 v[36:37], v36, v[22:23]
	v_lshrrev_b32_e32 v35, 3, v23
	v_sub_u32_e32 v37, 29, v38
	v_and_b32_e32 v36, 7, v36
	v_cmp_gt_u32_e32 vcc, 8, v23
	v_cndmask_b32_e32 v23, v35, v37, vcc
	v_cndmask_b32_e32 v26, v26, v36, vcc
	v_lshlrev_b32_e32 v22, 24, v22
	v_bfrev_b32_e32 v35, 60
	v_lshlrev_b32_e32 v26, 20, v26
	v_and_b32_e32 v22, 0x80000000, v22
	v_lshl_add_u32 v23, v23, 23, v35
	v_or3_b32 v26, v22, v23, v26
.LBB507_350:
	s_or_b64 exec, exec, s[22:23]
.LBB507_351:
	s_or_b64 exec, exec, s[20:21]
.LBB507_352:
	s_or_b64 exec, exec, s[10:11]
	v_cvt_pkrtz_f16_f32 v22, v30, v31
	v_cvt_pkrtz_f16_f32 v23, v29, v32
	;; [unrolled: 1-line block ×4, first 2 shown]
	v_mfma_f32_4x4x4f16 a[0:3], v[2:3], v[22:23], a[0:3] cbsz:4 abid:6
	v_cmp_ne_u16_sdwa s[20:21], v24, v28 src0_sel:BYTE_0 src1_sel:DWORD
	v_mfma_f32_4x4x4f16 a[0:3], v[4:5], v[30:31], a[0:3] cbsz:4 abid:6
	s_and_saveexec_b64 s[10:11], s[20:21]
	s_cbranch_execz .LBB507_358
; %bb.353:
	s_movk_i32 s20, 0x80
	v_cmp_ne_u16_sdwa s[22:23], v24, s20 src0_sel:BYTE_0 src1_sel:DWORD
	v_bfrev_b32_e32 v28, 1
	s_and_saveexec_b64 s[20:21], s[22:23]
	s_cbranch_execz .LBB507_357
; %bb.354:
	s_movk_i32 s22, 0x7f
	v_and_b32_e32 v22, 0x7f, v24
	v_cmp_ne_u32_e32 vcc, s22, v22
	v_mov_b32_e32 v28, 0x7f800001
	s_and_saveexec_b64 s[22:23], vcc
	s_cbranch_execz .LBB507_356
; %bb.355:
	v_and_b32_e32 v23, 7, v24
	v_ffbh_u32_e32 v23, v23
	v_min_u32_e32 v23, 32, v23
	v_subrev_u32_e32 v27, 28, v23
	v_cmp_gt_u32_e32 vcc, 8, v22
	v_lshrrev_b32_e32 v26, 3, v22
	v_sub_u32_e32 v23, 29, v23
	v_cndmask_b32_e32 v22, 0, v27, vcc
	v_cndmask_b32_e32 v26, v26, v23, vcc
	v_lshlrev_b64 v[22:23], v22, v[24:25]
	v_lshlrev_b32_e32 v22, 20, v22
	v_lshlrev_b32_e32 v23, 24, v24
	v_bfrev_b32_e32 v27, 60
	v_and_b32_e32 v22, 0x700000, v22
	v_and_b32_e32 v23, 0x80000000, v23
	v_lshl_add_u32 v26, v26, 23, v27
	v_or3_b32 v28, v23, v26, v22
.LBB507_356:
	s_or_b64 exec, exec, s[22:23]
.LBB507_357:
	s_or_b64 exec, exec, s[20:21]
.LBB507_358:
	s_or_b64 exec, exec, s[10:11]
	v_lshrrev_b16_e32 v22, 8, v24
	v_cmp_ne_u16_e32 vcc, 0, v22
	v_mov_b32_e32 v27, 0
	v_mov_b32_e32 v29, 0
	s_and_saveexec_b64 s[10:11], vcc
	s_cbranch_execz .LBB507_364
; %bb.359:
	s_movk_i32 s20, 0x80
	v_cmp_ne_u16_e32 vcc, s20, v22
	v_bfrev_b32_e32 v29, 1
	s_and_saveexec_b64 s[20:21], vcc
	s_cbranch_execz .LBB507_363
; %bb.360:
	s_movk_i32 s22, 0x7f
	v_and_b32_e32 v23, 0x7f, v22
	v_cmp_ne_u32_e32 vcc, s22, v23
	v_mov_b32_e32 v29, 0x7f800001
	s_and_saveexec_b64 s[22:23], vcc
	s_cbranch_execz .LBB507_362
; %bb.361:
	v_and_b32_e32 v26, 7, v22
	v_ffbh_u32_e32 v30, v26
	v_min_u32_e32 v32, 32, v30
	v_subrev_u32_e32 v30, 28, v32
	v_lshlrev_b64 v[30:31], v30, v[22:23]
	v_lshrrev_b32_e32 v29, 3, v23
	v_sub_u32_e32 v22, 29, v32
	v_and_b32_e32 v30, 7, v30
	v_cmp_gt_u32_e32 vcc, 8, v23
	v_cndmask_b32_e32 v22, v29, v22, vcc
	v_cndmask_b32_e32 v23, v26, v30, vcc
	v_lshlrev_b32_e32 v26, 16, v24
	v_bfrev_b32_e32 v29, 60
	v_lshlrev_b32_e32 v23, 20, v23
	v_and_b32_e32 v26, 0x80000000, v26
	v_lshl_add_u32 v22, v22, 23, v29
	v_or3_b32 v29, v26, v22, v23
.LBB507_362:
	s_or_b64 exec, exec, s[22:23]
.LBB507_363:
	s_or_b64 exec, exec, s[20:21]
.LBB507_364:
	s_or_b64 exec, exec, s[10:11]
	s_movk_i32 s10, 0xff
	v_and_b32_sdwa v23, v24, s10 dst_sel:DWORD dst_unused:UNUSED_PAD src0_sel:WORD_1 src1_sel:DWORD
	v_lshrrev_b32_e32 v22, 16, v24
	v_cmp_ne_u16_e32 vcc, 0, v23
	s_and_saveexec_b64 s[10:11], vcc
	s_cbranch_execz .LBB507_370
; %bb.365:
	s_movk_i32 s20, 0x80
	v_cmp_ne_u16_e32 vcc, s20, v23
	v_bfrev_b32_e32 v27, 1
	s_and_saveexec_b64 s[20:21], vcc
	s_cbranch_execz .LBB507_369
; %bb.366:
	v_bfe_u32 v23, v24, 16, 7
	s_movk_i32 s22, 0x7f
	v_cmp_ne_u32_e32 vcc, s22, v23
	v_mov_b32_e32 v27, 0x7f800001
	s_and_saveexec_b64 s[22:23], vcc
	s_cbranch_execz .LBB507_368
; %bb.367:
	v_and_b32_e32 v30, 7, v22
	v_ffbh_u32_e32 v26, v30
	v_min_u32_e32 v32, 32, v26
	v_subrev_u32_e32 v26, 28, v32
	v_lshlrev_b64 v[26:27], v26, v[22:23]
	v_and_b32_e32 v26, 7, v26
	v_cmp_gt_u32_e32 vcc, 8, v23
	v_lshrrev_b32_e32 v31, 3, v23
	v_sub_u32_e32 v22, 29, v32
	v_cndmask_b32_e32 v23, v30, v26, vcc
	v_mov_b32_e32 v26, 24
	v_cndmask_b32_e32 v22, v31, v22, vcc
	v_lshlrev_b32_sdwa v26, v26, v24 dst_sel:DWORD dst_unused:UNUSED_PAD src0_sel:DWORD src1_sel:WORD_1
	v_bfrev_b32_e32 v27, 60
	v_lshlrev_b32_e32 v23, 20, v23
	v_and_b32_e32 v26, 0x80000000, v26
	v_lshl_add_u32 v22, v22, 23, v27
	v_or3_b32 v27, v26, v22, v23
.LBB507_368:
	s_or_b64 exec, exec, s[22:23]
.LBB507_369:
	s_or_b64 exec, exec, s[20:21]
.LBB507_370:
	s_or_b64 exec, exec, s[10:11]
	s_mov_b32 s10, 0xffffff
	v_cmp_lt_u32_e32 vcc, s10, v24
	v_mov_b32_e32 v23, 0
	v_mov_b32_e32 v30, 0
	s_and_saveexec_b64 s[10:11], vcc
	s_cbranch_execz .LBB507_376
; %bb.371:
	v_lshrrev_b32_e32 v22, 24, v24
	s_movk_i32 s20, 0x80
	v_cmp_ne_u32_e32 vcc, s20, v22
	v_bfrev_b32_e32 v30, 1
	s_and_saveexec_b64 s[20:21], vcc
	s_cbranch_execz .LBB507_375
; %bb.372:
	v_bfe_u32 v26, v24, 24, 7
	s_movk_i32 s22, 0x7f
	v_cmp_ne_u32_e32 vcc, s22, v26
	v_mov_b32_e32 v30, 0x7f800001
	s_and_saveexec_b64 s[22:23], vcc
	s_cbranch_execz .LBB507_374
; %bb.373:
	v_and_b32_e32 v32, 7, v22
	v_ffbh_u32_e32 v30, v32
	v_min_u32_e32 v34, 32, v30
	v_subrev_u32_e32 v30, 28, v34
	v_lshlrev_b64 v[30:31], v30, v[22:23]
	v_lshrrev_b32_e32 v33, 3, v26
	v_sub_u32_e32 v31, 29, v34
	v_and_b32_e32 v30, 7, v30
	v_cmp_gt_u32_e32 vcc, 8, v26
	v_cndmask_b32_e32 v26, v33, v31, vcc
	v_cndmask_b32_e32 v30, v32, v30, vcc
	v_lshlrev_b32_e32 v22, 24, v22
	v_bfrev_b32_e32 v31, 60
	v_lshlrev_b32_e32 v30, 20, v30
	v_and_b32_e32 v22, 0x80000000, v22
	v_lshl_add_u32 v26, v26, 23, v31
	v_or3_b32 v30, v22, v26, v30
.LBB507_374:
	s_or_b64 exec, exec, s[22:23]
.LBB507_375:
	s_or_b64 exec, exec, s[20:21]
.LBB507_376:
	s_or_b64 exec, exec, s[10:11]
	v_mov_b32_e32 v22, v25
	v_cmp_ne_u16_sdwa s[20:21], v25, v23 src0_sel:BYTE_0 src1_sel:DWORD
	s_and_saveexec_b64 s[10:11], s[20:21]
	s_cbranch_execz .LBB507_382
; %bb.377:
	s_movk_i32 s20, 0x80
	v_cmp_ne_u16_sdwa s[22:23], v25, s20 src0_sel:BYTE_0 src1_sel:DWORD
	v_bfrev_b32_e32 v26, 1
	s_and_saveexec_b64 s[20:21], s[22:23]
	s_cbranch_execz .LBB507_381
; %bb.378:
	s_movk_i32 s22, 0x7f
	v_and_b32_e32 v31, 0x7f, v25
	v_cmp_ne_u32_e32 vcc, s22, v31
	v_mov_b32_e32 v26, 0x7f800001
	s_and_saveexec_b64 s[22:23], vcc
	s_cbranch_execz .LBB507_380
; %bb.379:
	v_and_b32_e32 v26, 7, v25
	v_ffbh_u32_e32 v26, v26
	v_min_u32_e32 v26, 32, v26
	v_subrev_u32_e32 v33, 28, v26
	v_cmp_gt_u32_e32 vcc, 8, v31
	v_lshrrev_b32_e32 v32, 3, v31
	v_sub_u32_e32 v26, 29, v26
	v_cndmask_b32_e32 v31, 0, v33, vcc
	v_cndmask_b32_e32 v26, v32, v26, vcc
	v_lshlrev_b64 v[32:33], v31, v[22:23]
	v_lshlrev_b32_e32 v23, 20, v32
	v_lshlrev_b32_e32 v31, 24, v22
	v_bfrev_b32_e32 v32, 60
	v_and_b32_e32 v23, 0x700000, v23
	v_and_b32_e32 v31, 0x80000000, v31
	v_lshl_add_u32 v26, v26, 23, v32
	v_or3_b32 v26, v31, v26, v23
.LBB507_380:
	s_or_b64 exec, exec, s[22:23]
.LBB507_381:
	s_or_b64 exec, exec, s[20:21]
	v_mov_b32_e32 v23, v26
.LBB507_382:
	s_or_b64 exec, exec, s[10:11]
	v_lshrrev_b16_e32 v26, 8, v22
	v_cmp_ne_u16_e32 vcc, 0, v26
	v_mov_b32_e32 v31, 0
	v_mov_b32_e32 v32, 0
	s_and_saveexec_b64 s[10:11], vcc
	s_cbranch_execz .LBB507_388
; %bb.383:
	s_movk_i32 s20, 0x80
	v_cmp_ne_u16_e32 vcc, s20, v26
	v_bfrev_b32_e32 v32, 1
	s_and_saveexec_b64 s[20:21], vcc
	s_cbranch_execz .LBB507_387
; %bb.384:
	s_movk_i32 s22, 0x7f
	v_and_b32_e32 v33, 0x7f, v26
	v_cmp_ne_u32_e32 vcc, s22, v33
	v_mov_b32_e32 v32, 0x7f800001
	s_and_saveexec_b64 s[22:23], vcc
	s_cbranch_execz .LBB507_386
; %bb.385:
	v_and_b32_e32 v32, 7, v26
	v_ffbh_u32_e32 v34, v32
	v_min_u32_e32 v37, 32, v34
	v_subrev_u32_e32 v34, 28, v37
	v_lshlrev_b64 v[34:35], v34, v[26:27]
	v_lshrrev_b32_e32 v36, 3, v33
	v_sub_u32_e32 v26, 29, v37
	v_and_b32_e32 v34, 7, v34
	v_cmp_gt_u32_e32 vcc, 8, v33
	v_cndmask_b32_e32 v26, v36, v26, vcc
	v_cndmask_b32_e32 v32, v32, v34, vcc
	v_lshlrev_b32_e32 v22, 16, v22
	v_bfrev_b32_e32 v33, 60
	v_lshlrev_b32_e32 v32, 20, v32
	v_and_b32_e32 v22, 0x80000000, v22
	v_lshl_add_u32 v26, v26, 23, v33
	v_or3_b32 v32, v22, v26, v32
.LBB507_386:
	s_or_b64 exec, exec, s[22:23]
.LBB507_387:
	s_or_b64 exec, exec, s[20:21]
.LBB507_388:
	s_or_b64 exec, exec, s[10:11]
	s_movk_i32 s10, 0xff
	v_and_b32_sdwa v26, v25, s10 dst_sel:DWORD dst_unused:UNUSED_PAD src0_sel:WORD_1 src1_sel:DWORD
	v_lshrrev_b32_e32 v22, 16, v25
	v_cmp_ne_u16_e32 vcc, 0, v26
	s_and_saveexec_b64 s[10:11], vcc
	s_cbranch_execz .LBB507_394
; %bb.389:
	s_movk_i32 s20, 0x80
	v_cmp_ne_u16_e32 vcc, s20, v26
	v_bfrev_b32_e32 v31, 1
	s_and_saveexec_b64 s[20:21], vcc
	s_cbranch_execz .LBB507_393
; %bb.390:
	v_bfe_u32 v26, v25, 16, 7
	s_movk_i32 s22, 0x7f
	v_cmp_ne_u32_e32 vcc, s22, v26
	v_mov_b32_e32 v31, 0x7f800001
	s_and_saveexec_b64 s[22:23], vcc
	s_cbranch_execz .LBB507_392
; %bb.391:
	v_and_b32_e32 v31, 7, v22
	v_ffbh_u32_e32 v34, v31
	v_min_u32_e32 v36, 32, v34
	v_subrev_u32_e32 v34, 28, v36
	v_lshlrev_b64 v[34:35], v34, v[22:23]
	v_and_b32_e32 v34, 7, v34
	v_cmp_gt_u32_e32 vcc, 8, v26
	v_lshrrev_b32_e32 v33, 3, v26
	v_sub_u32_e32 v22, 29, v36
	v_cndmask_b32_e32 v26, v31, v34, vcc
	v_mov_b32_e32 v31, 24
	v_cndmask_b32_e32 v22, v33, v22, vcc
	v_lshlrev_b32_sdwa v31, v31, v25 dst_sel:DWORD dst_unused:UNUSED_PAD src0_sel:DWORD src1_sel:WORD_1
	v_bfrev_b32_e32 v33, 60
	v_lshlrev_b32_e32 v26, 20, v26
	v_and_b32_e32 v31, 0x80000000, v31
	v_lshl_add_u32 v22, v22, 23, v33
	v_or3_b32 v31, v31, v22, v26
.LBB507_392:
	s_or_b64 exec, exec, s[22:23]
.LBB507_393:
	s_or_b64 exec, exec, s[20:21]
.LBB507_394:
	s_or_b64 exec, exec, s[10:11]
	s_mov_b32 s10, -1
	s_mov_b32 s11, 0xffffff
	v_cmp_lt_u64_e32 vcc, s[10:11], v[24:25]
	v_mov_b32_e32 v26, 0
	v_mov_b32_e32 v24, 0
	s_and_saveexec_b64 s[10:11], vcc
	s_cbranch_execz .LBB507_400
; %bb.395:
	v_lshrrev_b32_e32 v22, 24, v25
	s_movk_i32 s20, 0x80
	v_cmp_ne_u32_e32 vcc, s20, v22
	v_bfrev_b32_e32 v24, 1
	s_and_saveexec_b64 s[20:21], vcc
	s_cbranch_execz .LBB507_399
; %bb.396:
	v_bfe_u32 v25, v25, 24, 7
	s_movk_i32 s22, 0x7f
	v_cmp_ne_u32_e32 vcc, s22, v25
	v_mov_b32_e32 v24, 0x7f800001
	s_and_saveexec_b64 s[22:23], vcc
	s_cbranch_execz .LBB507_398
; %bb.397:
	v_and_b32_e32 v24, 7, v22
	v_ffbh_u32_e32 v34, v24
	v_min_u32_e32 v36, 32, v34
	v_subrev_u32_e32 v34, 28, v36
	v_lshlrev_b64 v[34:35], v34, v[22:23]
	v_lshrrev_b32_e32 v33, 3, v25
	v_sub_u32_e32 v35, 29, v36
	v_and_b32_e32 v34, 7, v34
	v_cmp_gt_u32_e32 vcc, 8, v25
	v_cndmask_b32_e32 v25, v33, v35, vcc
	v_cndmask_b32_e32 v24, v24, v34, vcc
	v_lshlrev_b32_e32 v22, 24, v22
	v_bfrev_b32_e32 v33, 60
	v_lshlrev_b32_e32 v24, 20, v24
	v_and_b32_e32 v22, 0x80000000, v22
	v_lshl_add_u32 v25, v25, 23, v33
	v_or3_b32 v24, v22, v25, v24
.LBB507_398:
	s_or_b64 exec, exec, s[22:23]
.LBB507_399:
	s_or_b64 exec, exec, s[20:21]
.LBB507_400:
	s_or_b64 exec, exec, s[10:11]
	v_cvt_pkrtz_f16_f32 v28, v28, v29
	v_cvt_pkrtz_f16_f32 v29, v27, v30
	;; [unrolled: 1-line block ×4, first 2 shown]
	v_mfma_f32_4x4x4f16 a[0:3], v[2:3], v[28:29], a[0:3] cbsz:4 abid:7
	v_cmp_ne_u16_sdwa s[20:21], v18, v26 src0_sel:BYTE_0 src1_sel:DWORD
	v_mfma_f32_4x4x4f16 a[0:3], v[4:5], v[22:23], a[0:3] cbsz:4 abid:7
	s_and_saveexec_b64 s[10:11], s[20:21]
	s_cbranch_execz .LBB507_406
; %bb.401:
	s_movk_i32 s20, 0x80
	v_cmp_ne_u16_sdwa s[22:23], v18, s20 src0_sel:BYTE_0 src1_sel:DWORD
	v_bfrev_b32_e32 v26, 1
	s_and_saveexec_b64 s[20:21], s[22:23]
	s_cbranch_execz .LBB507_405
; %bb.402:
	s_movk_i32 s22, 0x7f
	v_and_b32_e32 v22, 0x7f, v18
	v_cmp_ne_u32_e32 vcc, s22, v22
	v_mov_b32_e32 v26, 0x7f800001
	s_and_saveexec_b64 s[22:23], vcc
	s_cbranch_execz .LBB507_404
; %bb.403:
	v_and_b32_e32 v23, 7, v18
	v_ffbh_u32_e32 v23, v23
	v_min_u32_e32 v23, 32, v23
	v_subrev_u32_e32 v25, 28, v23
	v_cmp_gt_u32_e32 vcc, 8, v22
	v_lshrrev_b32_e32 v24, 3, v22
	v_sub_u32_e32 v23, 29, v23
	v_cndmask_b32_e32 v22, 0, v25, vcc
	v_cndmask_b32_e32 v24, v24, v23, vcc
	v_lshlrev_b64 v[22:23], v22, v[18:19]
	v_lshlrev_b32_e32 v22, 20, v22
	v_lshlrev_b32_e32 v23, 24, v18
	v_bfrev_b32_e32 v25, 60
	v_and_b32_e32 v22, 0x700000, v22
	v_and_b32_e32 v23, 0x80000000, v23
	v_lshl_add_u32 v24, v24, 23, v25
	v_or3_b32 v26, v23, v24, v22
.LBB507_404:
	s_or_b64 exec, exec, s[22:23]
.LBB507_405:
	s_or_b64 exec, exec, s[20:21]
.LBB507_406:
	s_or_b64 exec, exec, s[10:11]
	v_lshrrev_b16_e32 v22, 8, v18
	v_cmp_ne_u16_e32 vcc, 0, v22
	v_mov_b32_e32 v25, 0
	v_mov_b32_e32 v27, 0
	s_and_saveexec_b64 s[10:11], vcc
	s_cbranch_execz .LBB507_412
; %bb.407:
	s_movk_i32 s20, 0x80
	v_cmp_ne_u16_e32 vcc, s20, v22
	v_bfrev_b32_e32 v27, 1
	s_and_saveexec_b64 s[20:21], vcc
	s_cbranch_execz .LBB507_411
; %bb.408:
	s_movk_i32 s22, 0x7f
	v_and_b32_e32 v23, 0x7f, v22
	v_cmp_ne_u32_e32 vcc, s22, v23
	v_mov_b32_e32 v27, 0x7f800001
	s_and_saveexec_b64 s[22:23], vcc
	s_cbranch_execz .LBB507_410
; %bb.409:
	v_and_b32_e32 v24, 7, v22
	v_ffbh_u32_e32 v28, v24
	v_min_u32_e32 v30, 32, v28
	v_subrev_u32_e32 v28, 28, v30
	v_lshlrev_b64 v[28:29], v28, v[22:23]
	v_lshrrev_b32_e32 v27, 3, v23
	v_sub_u32_e32 v22, 29, v30
	v_and_b32_e32 v28, 7, v28
	v_cmp_gt_u32_e32 vcc, 8, v23
	v_cndmask_b32_e32 v22, v27, v22, vcc
	v_cndmask_b32_e32 v23, v24, v28, vcc
	v_lshlrev_b32_e32 v24, 16, v18
	v_bfrev_b32_e32 v27, 60
	v_lshlrev_b32_e32 v23, 20, v23
	v_and_b32_e32 v24, 0x80000000, v24
	v_lshl_add_u32 v22, v22, 23, v27
	v_or3_b32 v27, v24, v22, v23
.LBB507_410:
	s_or_b64 exec, exec, s[22:23]
.LBB507_411:
	s_or_b64 exec, exec, s[20:21]
.LBB507_412:
	s_or_b64 exec, exec, s[10:11]
	s_movk_i32 s10, 0xff
	v_and_b32_sdwa v23, v18, s10 dst_sel:DWORD dst_unused:UNUSED_PAD src0_sel:WORD_1 src1_sel:DWORD
	v_lshrrev_b32_e32 v22, 16, v18
	v_cmp_ne_u16_e32 vcc, 0, v23
	s_and_saveexec_b64 s[10:11], vcc
	s_cbranch_execz .LBB507_418
; %bb.413:
	s_movk_i32 s20, 0x80
	v_cmp_ne_u16_e32 vcc, s20, v23
	v_bfrev_b32_e32 v25, 1
	s_and_saveexec_b64 s[20:21], vcc
	s_cbranch_execz .LBB507_417
; %bb.414:
	v_bfe_u32 v23, v18, 16, 7
	s_movk_i32 s22, 0x7f
	v_cmp_ne_u32_e32 vcc, s22, v23
	v_mov_b32_e32 v25, 0x7f800001
	s_and_saveexec_b64 s[22:23], vcc
	s_cbranch_execz .LBB507_416
; %bb.415:
	v_and_b32_e32 v28, 7, v22
	v_ffbh_u32_e32 v24, v28
	v_min_u32_e32 v30, 32, v24
	v_subrev_u32_e32 v24, 28, v30
	v_lshlrev_b64 v[24:25], v24, v[22:23]
	v_and_b32_e32 v24, 7, v24
	v_cmp_gt_u32_e32 vcc, 8, v23
	v_lshrrev_b32_e32 v29, 3, v23
	v_sub_u32_e32 v22, 29, v30
	v_cndmask_b32_e32 v23, v28, v24, vcc
	v_mov_b32_e32 v24, 24
	v_cndmask_b32_e32 v22, v29, v22, vcc
	v_lshlrev_b32_sdwa v24, v24, v18 dst_sel:DWORD dst_unused:UNUSED_PAD src0_sel:DWORD src1_sel:WORD_1
	v_bfrev_b32_e32 v25, 60
	v_lshlrev_b32_e32 v23, 20, v23
	v_and_b32_e32 v24, 0x80000000, v24
	v_lshl_add_u32 v22, v22, 23, v25
	v_or3_b32 v25, v24, v22, v23
.LBB507_416:
	s_or_b64 exec, exec, s[22:23]
.LBB507_417:
	s_or_b64 exec, exec, s[20:21]
.LBB507_418:
	s_or_b64 exec, exec, s[10:11]
	s_mov_b32 s10, 0xffffff
	v_cmp_lt_u32_e32 vcc, s10, v18
	v_mov_b32_e32 v23, 0
	v_mov_b32_e32 v28, 0
	s_and_saveexec_b64 s[10:11], vcc
	s_cbranch_execz .LBB507_424
; %bb.419:
	v_lshrrev_b32_e32 v22, 24, v18
	s_movk_i32 s20, 0x80
	v_cmp_ne_u32_e32 vcc, s20, v22
	v_bfrev_b32_e32 v28, 1
	s_and_saveexec_b64 s[20:21], vcc
	s_cbranch_execz .LBB507_423
; %bb.420:
	v_bfe_u32 v24, v18, 24, 7
	s_movk_i32 s22, 0x7f
	v_cmp_ne_u32_e32 vcc, s22, v24
	v_mov_b32_e32 v28, 0x7f800001
	s_and_saveexec_b64 s[22:23], vcc
	s_cbranch_execz .LBB507_422
; %bb.421:
	v_and_b32_e32 v30, 7, v22
	v_ffbh_u32_e32 v28, v30
	v_min_u32_e32 v32, 32, v28
	v_subrev_u32_e32 v28, 28, v32
	v_lshlrev_b64 v[28:29], v28, v[22:23]
	v_lshrrev_b32_e32 v31, 3, v24
	v_sub_u32_e32 v29, 29, v32
	v_and_b32_e32 v28, 7, v28
	v_cmp_gt_u32_e32 vcc, 8, v24
	v_cndmask_b32_e32 v24, v31, v29, vcc
	v_cndmask_b32_e32 v28, v30, v28, vcc
	v_lshlrev_b32_e32 v22, 24, v22
	v_bfrev_b32_e32 v29, 60
	v_lshlrev_b32_e32 v28, 20, v28
	v_and_b32_e32 v22, 0x80000000, v22
	v_lshl_add_u32 v24, v24, 23, v29
	v_or3_b32 v28, v22, v24, v28
.LBB507_422:
	s_or_b64 exec, exec, s[22:23]
.LBB507_423:
	s_or_b64 exec, exec, s[20:21]
.LBB507_424:
	s_or_b64 exec, exec, s[10:11]
	v_mov_b32_e32 v22, v19
	v_cmp_ne_u16_sdwa s[20:21], v19, v23 src0_sel:BYTE_0 src1_sel:DWORD
	s_and_saveexec_b64 s[10:11], s[20:21]
	s_cbranch_execz .LBB507_430
; %bb.425:
	s_movk_i32 s20, 0x80
	v_cmp_ne_u16_sdwa s[22:23], v19, s20 src0_sel:BYTE_0 src1_sel:DWORD
	v_bfrev_b32_e32 v24, 1
	s_and_saveexec_b64 s[20:21], s[22:23]
	s_cbranch_execz .LBB507_429
; %bb.426:
	s_movk_i32 s22, 0x7f
	v_and_b32_e32 v29, 0x7f, v19
	v_cmp_ne_u32_e32 vcc, s22, v29
	v_mov_b32_e32 v24, 0x7f800001
	s_and_saveexec_b64 s[22:23], vcc
	s_cbranch_execz .LBB507_428
; %bb.427:
	v_and_b32_e32 v24, 7, v19
	v_ffbh_u32_e32 v24, v24
	v_min_u32_e32 v24, 32, v24
	v_subrev_u32_e32 v31, 28, v24
	v_cmp_gt_u32_e32 vcc, 8, v29
	v_lshrrev_b32_e32 v30, 3, v29
	v_sub_u32_e32 v24, 29, v24
	v_cndmask_b32_e32 v29, 0, v31, vcc
	v_cndmask_b32_e32 v24, v30, v24, vcc
	v_lshlrev_b64 v[30:31], v29, v[22:23]
	v_lshlrev_b32_e32 v23, 20, v30
	v_lshlrev_b32_e32 v29, 24, v22
	v_bfrev_b32_e32 v30, 60
	v_and_b32_e32 v23, 0x700000, v23
	v_and_b32_e32 v29, 0x80000000, v29
	v_lshl_add_u32 v24, v24, 23, v30
	v_or3_b32 v24, v29, v24, v23
.LBB507_428:
	s_or_b64 exec, exec, s[22:23]
.LBB507_429:
	s_or_b64 exec, exec, s[20:21]
	v_mov_b32_e32 v23, v24
.LBB507_430:
	s_or_b64 exec, exec, s[10:11]
	v_lshrrev_b16_e32 v24, 8, v22
	v_cmp_ne_u16_e32 vcc, 0, v24
	v_mov_b32_e32 v29, 0
	v_mov_b32_e32 v30, 0
	s_and_saveexec_b64 s[10:11], vcc
	s_cbranch_execz .LBB507_436
; %bb.431:
	s_movk_i32 s20, 0x80
	v_cmp_ne_u16_e32 vcc, s20, v24
	v_bfrev_b32_e32 v30, 1
	s_and_saveexec_b64 s[20:21], vcc
	s_cbranch_execz .LBB507_435
; %bb.432:
	s_movk_i32 s22, 0x7f
	v_and_b32_e32 v31, 0x7f, v24
	v_cmp_ne_u32_e32 vcc, s22, v31
	v_mov_b32_e32 v30, 0x7f800001
	s_and_saveexec_b64 s[22:23], vcc
	s_cbranch_execz .LBB507_434
; %bb.433:
	v_and_b32_e32 v30, 7, v24
	v_ffbh_u32_e32 v32, v30
	v_min_u32_e32 v35, 32, v32
	v_subrev_u32_e32 v32, 28, v35
	v_lshlrev_b64 v[32:33], v32, v[24:25]
	v_lshrrev_b32_e32 v34, 3, v31
	v_sub_u32_e32 v24, 29, v35
	v_and_b32_e32 v32, 7, v32
	v_cmp_gt_u32_e32 vcc, 8, v31
	v_cndmask_b32_e32 v24, v34, v24, vcc
	v_cndmask_b32_e32 v30, v30, v32, vcc
	v_lshlrev_b32_e32 v22, 16, v22
	v_bfrev_b32_e32 v31, 60
	v_lshlrev_b32_e32 v30, 20, v30
	v_and_b32_e32 v22, 0x80000000, v22
	v_lshl_add_u32 v24, v24, 23, v31
	v_or3_b32 v30, v22, v24, v30
.LBB507_434:
	s_or_b64 exec, exec, s[22:23]
.LBB507_435:
	s_or_b64 exec, exec, s[20:21]
.LBB507_436:
	s_or_b64 exec, exec, s[10:11]
	s_movk_i32 s10, 0xff
	v_and_b32_sdwa v24, v19, s10 dst_sel:DWORD dst_unused:UNUSED_PAD src0_sel:WORD_1 src1_sel:DWORD
	v_lshrrev_b32_e32 v22, 16, v19
	v_cmp_ne_u16_e32 vcc, 0, v24
	s_and_saveexec_b64 s[10:11], vcc
	s_cbranch_execz .LBB507_442
; %bb.437:
	s_movk_i32 s20, 0x80
	v_cmp_ne_u16_e32 vcc, s20, v24
	v_bfrev_b32_e32 v29, 1
	s_and_saveexec_b64 s[20:21], vcc
	s_cbranch_execz .LBB507_441
; %bb.438:
	v_bfe_u32 v24, v19, 16, 7
	s_movk_i32 s22, 0x7f
	v_cmp_ne_u32_e32 vcc, s22, v24
	v_mov_b32_e32 v29, 0x7f800001
	s_and_saveexec_b64 s[22:23], vcc
	s_cbranch_execz .LBB507_440
; %bb.439:
	v_and_b32_e32 v29, 7, v22
	v_ffbh_u32_e32 v32, v29
	v_min_u32_e32 v34, 32, v32
	v_subrev_u32_e32 v32, 28, v34
	v_lshlrev_b64 v[32:33], v32, v[22:23]
	v_and_b32_e32 v32, 7, v32
	v_cmp_gt_u32_e32 vcc, 8, v24
	v_lshrrev_b32_e32 v31, 3, v24
	v_sub_u32_e32 v22, 29, v34
	v_cndmask_b32_e32 v24, v29, v32, vcc
	v_mov_b32_e32 v29, 24
	v_cndmask_b32_e32 v22, v31, v22, vcc
	v_lshlrev_b32_sdwa v29, v29, v19 dst_sel:DWORD dst_unused:UNUSED_PAD src0_sel:DWORD src1_sel:WORD_1
	v_bfrev_b32_e32 v31, 60
	v_lshlrev_b32_e32 v24, 20, v24
	v_and_b32_e32 v29, 0x80000000, v29
	v_lshl_add_u32 v22, v22, 23, v31
	v_or3_b32 v29, v29, v22, v24
.LBB507_440:
	s_or_b64 exec, exec, s[22:23]
.LBB507_441:
	s_or_b64 exec, exec, s[20:21]
.LBB507_442:
	s_or_b64 exec, exec, s[10:11]
	s_mov_b32 s10, -1
	s_mov_b32 s11, 0xffffff
	v_cmp_lt_u64_e32 vcc, s[10:11], v[18:19]
	v_mov_b32_e32 v24, 0
	v_mov_b32_e32 v22, 0
	s_and_saveexec_b64 s[10:11], vcc
	s_cbranch_execz .LBB507_448
; %bb.443:
	v_lshrrev_b32_e32 v18, 24, v19
	s_movk_i32 s20, 0x80
	v_cmp_ne_u32_e32 vcc, s20, v18
	v_bfrev_b32_e32 v22, 1
	s_and_saveexec_b64 s[20:21], vcc
	s_cbranch_execz .LBB507_447
; %bb.444:
	v_bfe_u32 v19, v19, 24, 7
	s_movk_i32 s22, 0x7f
	v_cmp_ne_u32_e32 vcc, s22, v19
	v_mov_b32_e32 v22, 0x7f800001
	s_and_saveexec_b64 s[22:23], vcc
	s_cbranch_execz .LBB507_446
; %bb.445:
	v_and_b32_e32 v22, 7, v18
	v_ffbh_u32_e32 v32, v22
	v_min_u32_e32 v34, 32, v32
	v_subrev_u32_e32 v32, 28, v34
	v_lshlrev_b64 v[32:33], v32, v[18:19]
	v_lshrrev_b32_e32 v31, 3, v19
	v_sub_u32_e32 v33, 29, v34
	v_and_b32_e32 v32, 7, v32
	v_cmp_gt_u32_e32 vcc, 8, v19
	v_cndmask_b32_e32 v19, v31, v33, vcc
	v_cndmask_b32_e32 v22, v22, v32, vcc
	v_lshlrev_b32_e32 v18, 24, v18
	v_bfrev_b32_e32 v31, 60
	v_lshlrev_b32_e32 v22, 20, v22
	v_and_b32_e32 v18, 0x80000000, v18
	v_lshl_add_u32 v19, v19, 23, v31
	v_or3_b32 v22, v18, v19, v22
.LBB507_446:
	s_or_b64 exec, exec, s[22:23]
.LBB507_447:
	s_or_b64 exec, exec, s[20:21]
.LBB507_448:
	s_or_b64 exec, exec, s[10:11]
	v_cvt_pkrtz_f16_f32 v18, v26, v27
	v_cvt_pkrtz_f16_f32 v19, v25, v28
	;; [unrolled: 1-line block ×4, first 2 shown]
	v_mfma_f32_4x4x4f16 a[0:3], v[2:3], v[18:19], a[0:3] cbsz:4 abid:8
	v_cmp_ne_u16_sdwa s[20:21], v20, v24 src0_sel:BYTE_0 src1_sel:DWORD
	v_mfma_f32_4x4x4f16 a[0:3], v[4:5], v[26:27], a[0:3] cbsz:4 abid:8
	s_and_saveexec_b64 s[10:11], s[20:21]
	s_cbranch_execz .LBB507_454
; %bb.449:
	s_movk_i32 s20, 0x80
	v_cmp_ne_u16_sdwa s[22:23], v20, s20 src0_sel:BYTE_0 src1_sel:DWORD
	v_bfrev_b32_e32 v24, 1
	s_and_saveexec_b64 s[20:21], s[22:23]
	s_cbranch_execz .LBB507_453
; %bb.450:
	s_movk_i32 s22, 0x7f
	v_and_b32_e32 v18, 0x7f, v20
	v_cmp_ne_u32_e32 vcc, s22, v18
	v_mov_b32_e32 v24, 0x7f800001
	s_and_saveexec_b64 s[22:23], vcc
	s_cbranch_execz .LBB507_452
; %bb.451:
	v_and_b32_e32 v19, 7, v20
	v_ffbh_u32_e32 v19, v19
	v_min_u32_e32 v19, 32, v19
	v_subrev_u32_e32 v23, 28, v19
	v_cmp_gt_u32_e32 vcc, 8, v18
	v_lshrrev_b32_e32 v22, 3, v18
	v_sub_u32_e32 v19, 29, v19
	v_cndmask_b32_e32 v18, 0, v23, vcc
	v_cndmask_b32_e32 v22, v22, v19, vcc
	v_lshlrev_b64 v[18:19], v18, v[20:21]
	v_lshlrev_b32_e32 v18, 20, v18
	v_lshlrev_b32_e32 v19, 24, v20
	v_bfrev_b32_e32 v23, 60
	v_and_b32_e32 v18, 0x700000, v18
	v_and_b32_e32 v19, 0x80000000, v19
	v_lshl_add_u32 v22, v22, 23, v23
	v_or3_b32 v24, v19, v22, v18
.LBB507_452:
	s_or_b64 exec, exec, s[22:23]
.LBB507_453:
	s_or_b64 exec, exec, s[20:21]
.LBB507_454:
	s_or_b64 exec, exec, s[10:11]
	v_lshrrev_b16_e32 v18, 8, v20
	v_cmp_ne_u16_e32 vcc, 0, v18
	v_mov_b32_e32 v23, 0
	v_mov_b32_e32 v25, 0
	s_and_saveexec_b64 s[10:11], vcc
	s_cbranch_execz .LBB507_460
; %bb.455:
	s_movk_i32 s20, 0x80
	v_cmp_ne_u16_e32 vcc, s20, v18
	v_bfrev_b32_e32 v25, 1
	s_and_saveexec_b64 s[20:21], vcc
	s_cbranch_execz .LBB507_459
; %bb.456:
	s_movk_i32 s22, 0x7f
	v_and_b32_e32 v19, 0x7f, v18
	v_cmp_ne_u32_e32 vcc, s22, v19
	v_mov_b32_e32 v25, 0x7f800001
	s_and_saveexec_b64 s[22:23], vcc
	s_cbranch_execz .LBB507_458
; %bb.457:
	v_and_b32_e32 v22, 7, v18
	v_ffbh_u32_e32 v26, v22
	v_min_u32_e32 v28, 32, v26
	v_subrev_u32_e32 v26, 28, v28
	v_lshlrev_b64 v[26:27], v26, v[18:19]
	v_lshrrev_b32_e32 v25, 3, v19
	v_sub_u32_e32 v18, 29, v28
	v_and_b32_e32 v26, 7, v26
	v_cmp_gt_u32_e32 vcc, 8, v19
	v_cndmask_b32_e32 v18, v25, v18, vcc
	v_cndmask_b32_e32 v19, v22, v26, vcc
	v_lshlrev_b32_e32 v22, 16, v20
	v_bfrev_b32_e32 v25, 60
	v_lshlrev_b32_e32 v19, 20, v19
	v_and_b32_e32 v22, 0x80000000, v22
	v_lshl_add_u32 v18, v18, 23, v25
	v_or3_b32 v25, v22, v18, v19
.LBB507_458:
	s_or_b64 exec, exec, s[22:23]
.LBB507_459:
	s_or_b64 exec, exec, s[20:21]
.LBB507_460:
	s_or_b64 exec, exec, s[10:11]
	s_movk_i32 s10, 0xff
	v_and_b32_sdwa v19, v20, s10 dst_sel:DWORD dst_unused:UNUSED_PAD src0_sel:WORD_1 src1_sel:DWORD
	v_lshrrev_b32_e32 v18, 16, v20
	v_cmp_ne_u16_e32 vcc, 0, v19
	s_and_saveexec_b64 s[10:11], vcc
	s_cbranch_execz .LBB507_466
; %bb.461:
	s_movk_i32 s20, 0x80
	v_cmp_ne_u16_e32 vcc, s20, v19
	v_bfrev_b32_e32 v23, 1
	s_and_saveexec_b64 s[20:21], vcc
	s_cbranch_execz .LBB507_465
; %bb.462:
	v_bfe_u32 v19, v20, 16, 7
	s_movk_i32 s22, 0x7f
	v_cmp_ne_u32_e32 vcc, s22, v19
	v_mov_b32_e32 v23, 0x7f800001
	s_and_saveexec_b64 s[22:23], vcc
	s_cbranch_execz .LBB507_464
; %bb.463:
	v_and_b32_e32 v26, 7, v18
	v_ffbh_u32_e32 v22, v26
	v_min_u32_e32 v28, 32, v22
	v_subrev_u32_e32 v22, 28, v28
	v_lshlrev_b64 v[22:23], v22, v[18:19]
	v_and_b32_e32 v22, 7, v22
	v_cmp_gt_u32_e32 vcc, 8, v19
	v_lshrrev_b32_e32 v27, 3, v19
	v_sub_u32_e32 v18, 29, v28
	v_cndmask_b32_e32 v19, v26, v22, vcc
	v_mov_b32_e32 v22, 24
	v_cndmask_b32_e32 v18, v27, v18, vcc
	v_lshlrev_b32_sdwa v22, v22, v20 dst_sel:DWORD dst_unused:UNUSED_PAD src0_sel:DWORD src1_sel:WORD_1
	v_bfrev_b32_e32 v23, 60
	v_lshlrev_b32_e32 v19, 20, v19
	v_and_b32_e32 v22, 0x80000000, v22
	v_lshl_add_u32 v18, v18, 23, v23
	v_or3_b32 v23, v22, v18, v19
.LBB507_464:
	s_or_b64 exec, exec, s[22:23]
.LBB507_465:
	s_or_b64 exec, exec, s[20:21]
.LBB507_466:
	s_or_b64 exec, exec, s[10:11]
	s_mov_b32 s10, 0xffffff
	v_cmp_lt_u32_e32 vcc, s10, v20
	v_mov_b32_e32 v19, 0
	v_mov_b32_e32 v26, 0
	s_and_saveexec_b64 s[10:11], vcc
	s_cbranch_execz .LBB507_472
; %bb.467:
	v_lshrrev_b32_e32 v18, 24, v20
	s_movk_i32 s20, 0x80
	v_cmp_ne_u32_e32 vcc, s20, v18
	v_bfrev_b32_e32 v26, 1
	s_and_saveexec_b64 s[20:21], vcc
	s_cbranch_execz .LBB507_471
; %bb.468:
	v_bfe_u32 v22, v20, 24, 7
	s_movk_i32 s22, 0x7f
	v_cmp_ne_u32_e32 vcc, s22, v22
	v_mov_b32_e32 v26, 0x7f800001
	s_and_saveexec_b64 s[22:23], vcc
	s_cbranch_execz .LBB507_470
; %bb.469:
	v_and_b32_e32 v28, 7, v18
	v_ffbh_u32_e32 v26, v28
	v_min_u32_e32 v30, 32, v26
	v_subrev_u32_e32 v26, 28, v30
	v_lshlrev_b64 v[26:27], v26, v[18:19]
	v_lshrrev_b32_e32 v29, 3, v22
	v_sub_u32_e32 v27, 29, v30
	v_and_b32_e32 v26, 7, v26
	v_cmp_gt_u32_e32 vcc, 8, v22
	v_cndmask_b32_e32 v22, v29, v27, vcc
	v_cndmask_b32_e32 v26, v28, v26, vcc
	v_lshlrev_b32_e32 v18, 24, v18
	v_bfrev_b32_e32 v27, 60
	v_lshlrev_b32_e32 v26, 20, v26
	v_and_b32_e32 v18, 0x80000000, v18
	v_lshl_add_u32 v22, v22, 23, v27
	v_or3_b32 v26, v18, v22, v26
.LBB507_470:
	s_or_b64 exec, exec, s[22:23]
.LBB507_471:
	s_or_b64 exec, exec, s[20:21]
.LBB507_472:
	s_or_b64 exec, exec, s[10:11]
	v_mov_b32_e32 v18, v21
	v_cmp_ne_u16_sdwa s[20:21], v21, v19 src0_sel:BYTE_0 src1_sel:DWORD
	s_and_saveexec_b64 s[10:11], s[20:21]
	s_cbranch_execz .LBB507_478
; %bb.473:
	s_movk_i32 s20, 0x80
	v_cmp_ne_u16_sdwa s[22:23], v21, s20 src0_sel:BYTE_0 src1_sel:DWORD
	v_bfrev_b32_e32 v22, 1
	s_and_saveexec_b64 s[20:21], s[22:23]
	s_cbranch_execz .LBB507_477
; %bb.474:
	s_movk_i32 s22, 0x7f
	v_and_b32_e32 v27, 0x7f, v21
	v_cmp_ne_u32_e32 vcc, s22, v27
	v_mov_b32_e32 v22, 0x7f800001
	s_and_saveexec_b64 s[22:23], vcc
	s_cbranch_execz .LBB507_476
; %bb.475:
	v_and_b32_e32 v22, 7, v21
	v_ffbh_u32_e32 v22, v22
	v_min_u32_e32 v22, 32, v22
	v_subrev_u32_e32 v29, 28, v22
	v_cmp_gt_u32_e32 vcc, 8, v27
	v_lshrrev_b32_e32 v28, 3, v27
	v_sub_u32_e32 v22, 29, v22
	v_cndmask_b32_e32 v27, 0, v29, vcc
	v_cndmask_b32_e32 v22, v28, v22, vcc
	v_lshlrev_b64 v[28:29], v27, v[18:19]
	v_lshlrev_b32_e32 v19, 20, v28
	v_lshlrev_b32_e32 v27, 24, v18
	v_bfrev_b32_e32 v28, 60
	v_and_b32_e32 v19, 0x700000, v19
	v_and_b32_e32 v27, 0x80000000, v27
	v_lshl_add_u32 v22, v22, 23, v28
	v_or3_b32 v22, v27, v22, v19
.LBB507_476:
	s_or_b64 exec, exec, s[22:23]
.LBB507_477:
	s_or_b64 exec, exec, s[20:21]
	v_mov_b32_e32 v19, v22
.LBB507_478:
	s_or_b64 exec, exec, s[10:11]
	v_lshrrev_b16_e32 v22, 8, v18
	v_cmp_ne_u16_e32 vcc, 0, v22
	v_mov_b32_e32 v27, 0
	v_mov_b32_e32 v28, 0
	s_and_saveexec_b64 s[10:11], vcc
	s_cbranch_execz .LBB507_484
; %bb.479:
	s_movk_i32 s20, 0x80
	v_cmp_ne_u16_e32 vcc, s20, v22
	v_bfrev_b32_e32 v28, 1
	s_and_saveexec_b64 s[20:21], vcc
	s_cbranch_execz .LBB507_483
; %bb.480:
	s_movk_i32 s22, 0x7f
	v_and_b32_e32 v29, 0x7f, v22
	v_cmp_ne_u32_e32 vcc, s22, v29
	v_mov_b32_e32 v28, 0x7f800001
	s_and_saveexec_b64 s[22:23], vcc
	s_cbranch_execz .LBB507_482
; %bb.481:
	v_and_b32_e32 v28, 7, v22
	v_ffbh_u32_e32 v30, v28
	v_min_u32_e32 v33, 32, v30
	v_subrev_u32_e32 v30, 28, v33
	v_lshlrev_b64 v[30:31], v30, v[22:23]
	v_lshrrev_b32_e32 v32, 3, v29
	v_sub_u32_e32 v22, 29, v33
	v_and_b32_e32 v30, 7, v30
	v_cmp_gt_u32_e32 vcc, 8, v29
	v_cndmask_b32_e32 v22, v32, v22, vcc
	v_cndmask_b32_e32 v28, v28, v30, vcc
	v_lshlrev_b32_e32 v18, 16, v18
	v_bfrev_b32_e32 v29, 60
	v_lshlrev_b32_e32 v28, 20, v28
	v_and_b32_e32 v18, 0x80000000, v18
	v_lshl_add_u32 v22, v22, 23, v29
	v_or3_b32 v28, v18, v22, v28
.LBB507_482:
	s_or_b64 exec, exec, s[22:23]
.LBB507_483:
	s_or_b64 exec, exec, s[20:21]
.LBB507_484:
	s_or_b64 exec, exec, s[10:11]
	s_movk_i32 s10, 0xff
	v_and_b32_sdwa v22, v21, s10 dst_sel:DWORD dst_unused:UNUSED_PAD src0_sel:WORD_1 src1_sel:DWORD
	v_lshrrev_b32_e32 v18, 16, v21
	v_cmp_ne_u16_e32 vcc, 0, v22
	s_and_saveexec_b64 s[10:11], vcc
	s_cbranch_execz .LBB507_490
; %bb.485:
	s_movk_i32 s20, 0x80
	v_cmp_ne_u16_e32 vcc, s20, v22
	v_bfrev_b32_e32 v27, 1
	s_and_saveexec_b64 s[20:21], vcc
	s_cbranch_execz .LBB507_489
; %bb.486:
	v_bfe_u32 v22, v21, 16, 7
	s_movk_i32 s22, 0x7f
	v_cmp_ne_u32_e32 vcc, s22, v22
	v_mov_b32_e32 v27, 0x7f800001
	s_and_saveexec_b64 s[22:23], vcc
	s_cbranch_execz .LBB507_488
; %bb.487:
	v_and_b32_e32 v27, 7, v18
	v_ffbh_u32_e32 v30, v27
	v_min_u32_e32 v32, 32, v30
	v_subrev_u32_e32 v30, 28, v32
	v_lshlrev_b64 v[30:31], v30, v[18:19]
	v_and_b32_e32 v30, 7, v30
	v_cmp_gt_u32_e32 vcc, 8, v22
	v_lshrrev_b32_e32 v29, 3, v22
	v_sub_u32_e32 v18, 29, v32
	v_cndmask_b32_e32 v22, v27, v30, vcc
	v_mov_b32_e32 v27, 24
	v_cndmask_b32_e32 v18, v29, v18, vcc
	v_lshlrev_b32_sdwa v27, v27, v21 dst_sel:DWORD dst_unused:UNUSED_PAD src0_sel:DWORD src1_sel:WORD_1
	v_bfrev_b32_e32 v29, 60
	v_lshlrev_b32_e32 v22, 20, v22
	v_and_b32_e32 v27, 0x80000000, v27
	v_lshl_add_u32 v18, v18, 23, v29
	v_or3_b32 v27, v27, v18, v22
.LBB507_488:
	s_or_b64 exec, exec, s[22:23]
.LBB507_489:
	s_or_b64 exec, exec, s[20:21]
.LBB507_490:
	s_or_b64 exec, exec, s[10:11]
	s_mov_b32 s10, -1
	s_mov_b32 s11, 0xffffff
	v_cmp_lt_u64_e32 vcc, s[10:11], v[20:21]
	v_mov_b32_e32 v22, 0
	v_mov_b32_e32 v20, 0
	s_and_saveexec_b64 s[10:11], vcc
	s_cbranch_execz .LBB507_496
; %bb.491:
	v_lshrrev_b32_e32 v18, 24, v21
	s_movk_i32 s20, 0x80
	v_cmp_ne_u32_e32 vcc, s20, v18
	v_bfrev_b32_e32 v20, 1
	s_and_saveexec_b64 s[20:21], vcc
	s_cbranch_execz .LBB507_495
; %bb.492:
	v_bfe_u32 v21, v21, 24, 7
	s_movk_i32 s22, 0x7f
	v_cmp_ne_u32_e32 vcc, s22, v21
	v_mov_b32_e32 v20, 0x7f800001
	s_and_saveexec_b64 s[22:23], vcc
	s_cbranch_execz .LBB507_494
; %bb.493:
	v_and_b32_e32 v20, 7, v18
	v_ffbh_u32_e32 v30, v20
	v_min_u32_e32 v32, 32, v30
	v_subrev_u32_e32 v30, 28, v32
	v_lshlrev_b64 v[30:31], v30, v[18:19]
	v_lshrrev_b32_e32 v29, 3, v21
	v_sub_u32_e32 v31, 29, v32
	v_and_b32_e32 v30, 7, v30
	v_cmp_gt_u32_e32 vcc, 8, v21
	v_cndmask_b32_e32 v21, v29, v31, vcc
	v_cndmask_b32_e32 v20, v20, v30, vcc
	v_lshlrev_b32_e32 v18, 24, v18
	v_bfrev_b32_e32 v29, 60
	v_lshlrev_b32_e32 v20, 20, v20
	v_and_b32_e32 v18, 0x80000000, v18
	v_lshl_add_u32 v21, v21, 23, v29
	v_or3_b32 v20, v18, v21, v20
.LBB507_494:
	s_or_b64 exec, exec, s[22:23]
.LBB507_495:
	s_or_b64 exec, exec, s[20:21]
.LBB507_496:
	s_or_b64 exec, exec, s[10:11]
	v_cvt_pkrtz_f16_f32 v24, v24, v25
	v_cvt_pkrtz_f16_f32 v25, v23, v26
	;; [unrolled: 1-line block ×4, first 2 shown]
	v_mfma_f32_4x4x4f16 a[0:3], v[2:3], v[24:25], a[0:3] cbsz:4 abid:9
	v_cmp_ne_u16_sdwa s[20:21], v14, v22 src0_sel:BYTE_0 src1_sel:DWORD
	v_mfma_f32_4x4x4f16 a[0:3], v[4:5], v[18:19], a[0:3] cbsz:4 abid:9
	s_and_saveexec_b64 s[10:11], s[20:21]
	s_cbranch_execz .LBB507_502
; %bb.497:
	s_movk_i32 s20, 0x80
	v_cmp_ne_u16_sdwa s[22:23], v14, s20 src0_sel:BYTE_0 src1_sel:DWORD
	v_bfrev_b32_e32 v22, 1
	s_and_saveexec_b64 s[20:21], s[22:23]
	s_cbranch_execz .LBB507_501
; %bb.498:
	s_movk_i32 s22, 0x7f
	v_and_b32_e32 v18, 0x7f, v14
	v_cmp_ne_u32_e32 vcc, s22, v18
	v_mov_b32_e32 v22, 0x7f800001
	s_and_saveexec_b64 s[22:23], vcc
	s_cbranch_execz .LBB507_500
; %bb.499:
	v_and_b32_e32 v19, 7, v14
	v_ffbh_u32_e32 v19, v19
	v_min_u32_e32 v19, 32, v19
	v_subrev_u32_e32 v21, 28, v19
	v_cmp_gt_u32_e32 vcc, 8, v18
	v_lshrrev_b32_e32 v20, 3, v18
	v_sub_u32_e32 v19, 29, v19
	v_cndmask_b32_e32 v18, 0, v21, vcc
	v_cndmask_b32_e32 v20, v20, v19, vcc
	v_lshlrev_b64 v[18:19], v18, v[14:15]
	v_lshlrev_b32_e32 v18, 20, v18
	v_lshlrev_b32_e32 v19, 24, v14
	v_bfrev_b32_e32 v21, 60
	v_and_b32_e32 v18, 0x700000, v18
	v_and_b32_e32 v19, 0x80000000, v19
	v_lshl_add_u32 v20, v20, 23, v21
	v_or3_b32 v22, v19, v20, v18
.LBB507_500:
	s_or_b64 exec, exec, s[22:23]
.LBB507_501:
	s_or_b64 exec, exec, s[20:21]
.LBB507_502:
	s_or_b64 exec, exec, s[10:11]
	v_lshrrev_b16_e32 v18, 8, v14
	v_cmp_ne_u16_e32 vcc, 0, v18
	v_mov_b32_e32 v21, 0
	v_mov_b32_e32 v23, 0
	s_and_saveexec_b64 s[10:11], vcc
	s_cbranch_execz .LBB507_508
; %bb.503:
	s_movk_i32 s20, 0x80
	v_cmp_ne_u16_e32 vcc, s20, v18
	v_bfrev_b32_e32 v23, 1
	s_and_saveexec_b64 s[20:21], vcc
	s_cbranch_execz .LBB507_507
; %bb.504:
	s_movk_i32 s22, 0x7f
	v_and_b32_e32 v19, 0x7f, v18
	v_cmp_ne_u32_e32 vcc, s22, v19
	v_mov_b32_e32 v23, 0x7f800001
	s_and_saveexec_b64 s[22:23], vcc
	s_cbranch_execz .LBB507_506
; %bb.505:
	v_and_b32_e32 v20, 7, v18
	v_ffbh_u32_e32 v24, v20
	v_min_u32_e32 v26, 32, v24
	v_subrev_u32_e32 v24, 28, v26
	v_lshlrev_b64 v[24:25], v24, v[18:19]
	v_lshrrev_b32_e32 v23, 3, v19
	v_sub_u32_e32 v18, 29, v26
	v_and_b32_e32 v24, 7, v24
	v_cmp_gt_u32_e32 vcc, 8, v19
	v_cndmask_b32_e32 v18, v23, v18, vcc
	v_cndmask_b32_e32 v19, v20, v24, vcc
	v_lshlrev_b32_e32 v20, 16, v14
	v_bfrev_b32_e32 v23, 60
	v_lshlrev_b32_e32 v19, 20, v19
	v_and_b32_e32 v20, 0x80000000, v20
	v_lshl_add_u32 v18, v18, 23, v23
	v_or3_b32 v23, v20, v18, v19
.LBB507_506:
	s_or_b64 exec, exec, s[22:23]
.LBB507_507:
	s_or_b64 exec, exec, s[20:21]
.LBB507_508:
	s_or_b64 exec, exec, s[10:11]
	s_movk_i32 s10, 0xff
	v_and_b32_sdwa v19, v14, s10 dst_sel:DWORD dst_unused:UNUSED_PAD src0_sel:WORD_1 src1_sel:DWORD
	v_lshrrev_b32_e32 v18, 16, v14
	v_cmp_ne_u16_e32 vcc, 0, v19
	s_and_saveexec_b64 s[10:11], vcc
	s_cbranch_execz .LBB507_514
; %bb.509:
	s_movk_i32 s20, 0x80
	v_cmp_ne_u16_e32 vcc, s20, v19
	v_bfrev_b32_e32 v21, 1
	s_and_saveexec_b64 s[20:21], vcc
	s_cbranch_execz .LBB507_513
; %bb.510:
	v_bfe_u32 v19, v14, 16, 7
	s_movk_i32 s22, 0x7f
	v_cmp_ne_u32_e32 vcc, s22, v19
	v_mov_b32_e32 v21, 0x7f800001
	s_and_saveexec_b64 s[22:23], vcc
	s_cbranch_execz .LBB507_512
; %bb.511:
	v_and_b32_e32 v24, 7, v18
	v_ffbh_u32_e32 v20, v24
	v_min_u32_e32 v26, 32, v20
	v_subrev_u32_e32 v20, 28, v26
	v_lshlrev_b64 v[20:21], v20, v[18:19]
	v_and_b32_e32 v20, 7, v20
	v_cmp_gt_u32_e32 vcc, 8, v19
	v_lshrrev_b32_e32 v25, 3, v19
	v_sub_u32_e32 v18, 29, v26
	v_cndmask_b32_e32 v19, v24, v20, vcc
	v_mov_b32_e32 v20, 24
	v_cndmask_b32_e32 v18, v25, v18, vcc
	v_lshlrev_b32_sdwa v20, v20, v14 dst_sel:DWORD dst_unused:UNUSED_PAD src0_sel:DWORD src1_sel:WORD_1
	v_bfrev_b32_e32 v21, 60
	v_lshlrev_b32_e32 v19, 20, v19
	v_and_b32_e32 v20, 0x80000000, v20
	v_lshl_add_u32 v18, v18, 23, v21
	v_or3_b32 v21, v20, v18, v19
.LBB507_512:
	s_or_b64 exec, exec, s[22:23]
.LBB507_513:
	s_or_b64 exec, exec, s[20:21]
.LBB507_514:
	s_or_b64 exec, exec, s[10:11]
	s_mov_b32 s10, 0xffffff
	v_cmp_lt_u32_e32 vcc, s10, v14
	v_mov_b32_e32 v19, 0
	v_mov_b32_e32 v24, 0
	s_and_saveexec_b64 s[10:11], vcc
	s_cbranch_execz .LBB507_520
; %bb.515:
	v_lshrrev_b32_e32 v18, 24, v14
	s_movk_i32 s20, 0x80
	v_cmp_ne_u32_e32 vcc, s20, v18
	v_bfrev_b32_e32 v24, 1
	s_and_saveexec_b64 s[20:21], vcc
	s_cbranch_execz .LBB507_519
; %bb.516:
	v_bfe_u32 v20, v14, 24, 7
	s_movk_i32 s22, 0x7f
	v_cmp_ne_u32_e32 vcc, s22, v20
	v_mov_b32_e32 v24, 0x7f800001
	s_and_saveexec_b64 s[22:23], vcc
	s_cbranch_execz .LBB507_518
; %bb.517:
	v_and_b32_e32 v26, 7, v18
	v_ffbh_u32_e32 v24, v26
	v_min_u32_e32 v28, 32, v24
	v_subrev_u32_e32 v24, 28, v28
	v_lshlrev_b64 v[24:25], v24, v[18:19]
	v_lshrrev_b32_e32 v27, 3, v20
	v_sub_u32_e32 v25, 29, v28
	v_and_b32_e32 v24, 7, v24
	v_cmp_gt_u32_e32 vcc, 8, v20
	v_cndmask_b32_e32 v20, v27, v25, vcc
	v_cndmask_b32_e32 v24, v26, v24, vcc
	v_lshlrev_b32_e32 v18, 24, v18
	v_bfrev_b32_e32 v25, 60
	v_lshlrev_b32_e32 v24, 20, v24
	v_and_b32_e32 v18, 0x80000000, v18
	v_lshl_add_u32 v20, v20, 23, v25
	v_or3_b32 v24, v18, v20, v24
.LBB507_518:
	s_or_b64 exec, exec, s[22:23]
.LBB507_519:
	s_or_b64 exec, exec, s[20:21]
.LBB507_520:
	s_or_b64 exec, exec, s[10:11]
	v_mov_b32_e32 v18, v15
	v_cmp_ne_u16_sdwa s[20:21], v15, v19 src0_sel:BYTE_0 src1_sel:DWORD
	s_and_saveexec_b64 s[10:11], s[20:21]
	s_cbranch_execz .LBB507_526
; %bb.521:
	s_movk_i32 s20, 0x80
	v_cmp_ne_u16_sdwa s[22:23], v15, s20 src0_sel:BYTE_0 src1_sel:DWORD
	v_bfrev_b32_e32 v20, 1
	s_and_saveexec_b64 s[20:21], s[22:23]
	s_cbranch_execz .LBB507_525
; %bb.522:
	s_movk_i32 s22, 0x7f
	v_and_b32_e32 v25, 0x7f, v15
	v_cmp_ne_u32_e32 vcc, s22, v25
	v_mov_b32_e32 v20, 0x7f800001
	s_and_saveexec_b64 s[22:23], vcc
	s_cbranch_execz .LBB507_524
; %bb.523:
	v_and_b32_e32 v20, 7, v15
	v_ffbh_u32_e32 v20, v20
	v_min_u32_e32 v20, 32, v20
	v_subrev_u32_e32 v27, 28, v20
	v_cmp_gt_u32_e32 vcc, 8, v25
	v_lshrrev_b32_e32 v26, 3, v25
	v_sub_u32_e32 v20, 29, v20
	v_cndmask_b32_e32 v25, 0, v27, vcc
	v_cndmask_b32_e32 v20, v26, v20, vcc
	v_lshlrev_b64 v[26:27], v25, v[18:19]
	v_lshlrev_b32_e32 v19, 20, v26
	v_lshlrev_b32_e32 v25, 24, v18
	v_bfrev_b32_e32 v26, 60
	v_and_b32_e32 v19, 0x700000, v19
	v_and_b32_e32 v25, 0x80000000, v25
	v_lshl_add_u32 v20, v20, 23, v26
	v_or3_b32 v20, v25, v20, v19
.LBB507_524:
	s_or_b64 exec, exec, s[22:23]
.LBB507_525:
	s_or_b64 exec, exec, s[20:21]
	v_mov_b32_e32 v19, v20
.LBB507_526:
	s_or_b64 exec, exec, s[10:11]
	v_lshrrev_b16_e32 v20, 8, v18
	v_cmp_ne_u16_e32 vcc, 0, v20
	v_mov_b32_e32 v25, 0
	v_mov_b32_e32 v26, 0
	s_and_saveexec_b64 s[10:11], vcc
	s_cbranch_execz .LBB507_532
; %bb.527:
	s_movk_i32 s20, 0x80
	v_cmp_ne_u16_e32 vcc, s20, v20
	v_bfrev_b32_e32 v26, 1
	s_and_saveexec_b64 s[20:21], vcc
	s_cbranch_execz .LBB507_531
; %bb.528:
	s_movk_i32 s22, 0x7f
	v_and_b32_e32 v27, 0x7f, v20
	v_cmp_ne_u32_e32 vcc, s22, v27
	v_mov_b32_e32 v26, 0x7f800001
	s_and_saveexec_b64 s[22:23], vcc
	s_cbranch_execz .LBB507_530
; %bb.529:
	v_and_b32_e32 v26, 7, v20
	v_ffbh_u32_e32 v28, v26
	v_min_u32_e32 v31, 32, v28
	v_subrev_u32_e32 v28, 28, v31
	v_lshlrev_b64 v[28:29], v28, v[20:21]
	v_lshrrev_b32_e32 v30, 3, v27
	v_sub_u32_e32 v20, 29, v31
	v_and_b32_e32 v28, 7, v28
	v_cmp_gt_u32_e32 vcc, 8, v27
	v_cndmask_b32_e32 v20, v30, v20, vcc
	v_cndmask_b32_e32 v26, v26, v28, vcc
	v_lshlrev_b32_e32 v18, 16, v18
	v_bfrev_b32_e32 v27, 60
	v_lshlrev_b32_e32 v26, 20, v26
	v_and_b32_e32 v18, 0x80000000, v18
	v_lshl_add_u32 v20, v20, 23, v27
	v_or3_b32 v26, v18, v20, v26
.LBB507_530:
	s_or_b64 exec, exec, s[22:23]
.LBB507_531:
	s_or_b64 exec, exec, s[20:21]
.LBB507_532:
	s_or_b64 exec, exec, s[10:11]
	s_movk_i32 s10, 0xff
	v_and_b32_sdwa v20, v15, s10 dst_sel:DWORD dst_unused:UNUSED_PAD src0_sel:WORD_1 src1_sel:DWORD
	v_lshrrev_b32_e32 v18, 16, v15
	v_cmp_ne_u16_e32 vcc, 0, v20
	s_and_saveexec_b64 s[10:11], vcc
	s_cbranch_execz .LBB507_538
; %bb.533:
	s_movk_i32 s20, 0x80
	v_cmp_ne_u16_e32 vcc, s20, v20
	v_bfrev_b32_e32 v25, 1
	s_and_saveexec_b64 s[20:21], vcc
	s_cbranch_execz .LBB507_537
; %bb.534:
	v_bfe_u32 v20, v15, 16, 7
	s_movk_i32 s22, 0x7f
	v_cmp_ne_u32_e32 vcc, s22, v20
	v_mov_b32_e32 v25, 0x7f800001
	s_and_saveexec_b64 s[22:23], vcc
	s_cbranch_execz .LBB507_536
; %bb.535:
	v_and_b32_e32 v25, 7, v18
	v_ffbh_u32_e32 v28, v25
	v_min_u32_e32 v30, 32, v28
	v_subrev_u32_e32 v28, 28, v30
	v_lshlrev_b64 v[28:29], v28, v[18:19]
	v_and_b32_e32 v28, 7, v28
	v_cmp_gt_u32_e32 vcc, 8, v20
	v_lshrrev_b32_e32 v27, 3, v20
	v_sub_u32_e32 v18, 29, v30
	v_cndmask_b32_e32 v20, v25, v28, vcc
	v_mov_b32_e32 v25, 24
	v_cndmask_b32_e32 v18, v27, v18, vcc
	v_lshlrev_b32_sdwa v25, v25, v15 dst_sel:DWORD dst_unused:UNUSED_PAD src0_sel:DWORD src1_sel:WORD_1
	v_bfrev_b32_e32 v27, 60
	v_lshlrev_b32_e32 v20, 20, v20
	v_and_b32_e32 v25, 0x80000000, v25
	v_lshl_add_u32 v18, v18, 23, v27
	v_or3_b32 v25, v25, v18, v20
.LBB507_536:
	s_or_b64 exec, exec, s[22:23]
.LBB507_537:
	s_or_b64 exec, exec, s[20:21]
.LBB507_538:
	s_or_b64 exec, exec, s[10:11]
	s_mov_b32 s10, -1
	s_mov_b32 s11, 0xffffff
	v_cmp_lt_u64_e32 vcc, s[10:11], v[14:15]
	v_mov_b32_e32 v20, 0
	v_mov_b32_e32 v18, 0
	s_and_saveexec_b64 s[10:11], vcc
	s_cbranch_execz .LBB507_544
; %bb.539:
	v_lshrrev_b32_e32 v14, 24, v15
	s_movk_i32 s20, 0x80
	v_cmp_ne_u32_e32 vcc, s20, v14
	v_bfrev_b32_e32 v18, 1
	s_and_saveexec_b64 s[20:21], vcc
	s_cbranch_execz .LBB507_543
; %bb.540:
	v_bfe_u32 v15, v15, 24, 7
	s_movk_i32 s22, 0x7f
	v_cmp_ne_u32_e32 vcc, s22, v15
	v_mov_b32_e32 v18, 0x7f800001
	s_and_saveexec_b64 s[22:23], vcc
	s_cbranch_execz .LBB507_542
; %bb.541:
	v_and_b32_e32 v18, 7, v14
	v_ffbh_u32_e32 v28, v18
	v_min_u32_e32 v30, 32, v28
	v_subrev_u32_e32 v28, 28, v30
	v_lshlrev_b64 v[28:29], v28, v[14:15]
	v_lshrrev_b32_e32 v27, 3, v15
	v_sub_u32_e32 v29, 29, v30
	v_and_b32_e32 v28, 7, v28
	v_cmp_gt_u32_e32 vcc, 8, v15
	v_cndmask_b32_e32 v15, v27, v29, vcc
	v_cndmask_b32_e32 v18, v18, v28, vcc
	v_lshlrev_b32_e32 v14, 24, v14
	v_bfrev_b32_e32 v27, 60
	v_lshlrev_b32_e32 v18, 20, v18
	v_and_b32_e32 v14, 0x80000000, v14
	v_lshl_add_u32 v15, v15, 23, v27
	v_or3_b32 v18, v14, v15, v18
.LBB507_542:
	s_or_b64 exec, exec, s[22:23]
.LBB507_543:
	s_or_b64 exec, exec, s[20:21]
.LBB507_544:
	s_or_b64 exec, exec, s[10:11]
	v_cvt_pkrtz_f16_f32 v14, v22, v23
	v_cvt_pkrtz_f16_f32 v15, v21, v24
	;; [unrolled: 1-line block ×4, first 2 shown]
	v_mfma_f32_4x4x4f16 a[0:3], v[2:3], v[14:15], a[0:3] cbsz:4 abid:10
	v_cmp_ne_u16_sdwa s[20:21], v16, v20 src0_sel:BYTE_0 src1_sel:DWORD
	v_mfma_f32_4x4x4f16 a[0:3], v[4:5], v[22:23], a[0:3] cbsz:4 abid:10
	s_and_saveexec_b64 s[10:11], s[20:21]
	s_cbranch_execz .LBB507_550
; %bb.545:
	s_movk_i32 s20, 0x80
	v_cmp_ne_u16_sdwa s[22:23], v16, s20 src0_sel:BYTE_0 src1_sel:DWORD
	v_bfrev_b32_e32 v20, 1
	s_and_saveexec_b64 s[20:21], s[22:23]
	s_cbranch_execz .LBB507_549
; %bb.546:
	s_movk_i32 s22, 0x7f
	v_and_b32_e32 v14, 0x7f, v16
	v_cmp_ne_u32_e32 vcc, s22, v14
	v_mov_b32_e32 v20, 0x7f800001
	s_and_saveexec_b64 s[22:23], vcc
	s_cbranch_execz .LBB507_548
; %bb.547:
	v_and_b32_e32 v15, 7, v16
	v_ffbh_u32_e32 v15, v15
	v_min_u32_e32 v15, 32, v15
	v_subrev_u32_e32 v19, 28, v15
	v_cmp_gt_u32_e32 vcc, 8, v14
	v_lshrrev_b32_e32 v18, 3, v14
	v_sub_u32_e32 v15, 29, v15
	v_cndmask_b32_e32 v14, 0, v19, vcc
	v_cndmask_b32_e32 v18, v18, v15, vcc
	v_lshlrev_b64 v[14:15], v14, v[16:17]
	v_lshlrev_b32_e32 v14, 20, v14
	v_lshlrev_b32_e32 v15, 24, v16
	v_bfrev_b32_e32 v19, 60
	v_and_b32_e32 v14, 0x700000, v14
	v_and_b32_e32 v15, 0x80000000, v15
	v_lshl_add_u32 v18, v18, 23, v19
	v_or3_b32 v20, v15, v18, v14
.LBB507_548:
	s_or_b64 exec, exec, s[22:23]
.LBB507_549:
	s_or_b64 exec, exec, s[20:21]
.LBB507_550:
	s_or_b64 exec, exec, s[10:11]
	v_lshrrev_b16_e32 v14, 8, v16
	v_cmp_ne_u16_e32 vcc, 0, v14
	v_mov_b32_e32 v19, 0
	v_mov_b32_e32 v21, 0
	s_and_saveexec_b64 s[10:11], vcc
	s_cbranch_execz .LBB507_556
; %bb.551:
	s_movk_i32 s20, 0x80
	v_cmp_ne_u16_e32 vcc, s20, v14
	v_bfrev_b32_e32 v21, 1
	s_and_saveexec_b64 s[20:21], vcc
	s_cbranch_execz .LBB507_555
; %bb.552:
	s_movk_i32 s22, 0x7f
	v_and_b32_e32 v15, 0x7f, v14
	v_cmp_ne_u32_e32 vcc, s22, v15
	v_mov_b32_e32 v21, 0x7f800001
	s_and_saveexec_b64 s[22:23], vcc
	s_cbranch_execz .LBB507_554
; %bb.553:
	v_and_b32_e32 v18, 7, v14
	v_ffbh_u32_e32 v22, v18
	v_min_u32_e32 v24, 32, v22
	v_subrev_u32_e32 v22, 28, v24
	v_lshlrev_b64 v[22:23], v22, v[14:15]
	v_lshrrev_b32_e32 v21, 3, v15
	v_sub_u32_e32 v14, 29, v24
	v_and_b32_e32 v22, 7, v22
	v_cmp_gt_u32_e32 vcc, 8, v15
	v_cndmask_b32_e32 v14, v21, v14, vcc
	v_cndmask_b32_e32 v15, v18, v22, vcc
	v_lshlrev_b32_e32 v18, 16, v16
	v_bfrev_b32_e32 v21, 60
	v_lshlrev_b32_e32 v15, 20, v15
	v_and_b32_e32 v18, 0x80000000, v18
	v_lshl_add_u32 v14, v14, 23, v21
	v_or3_b32 v21, v18, v14, v15
.LBB507_554:
	s_or_b64 exec, exec, s[22:23]
.LBB507_555:
	s_or_b64 exec, exec, s[20:21]
.LBB507_556:
	s_or_b64 exec, exec, s[10:11]
	s_movk_i32 s10, 0xff
	v_and_b32_sdwa v15, v16, s10 dst_sel:DWORD dst_unused:UNUSED_PAD src0_sel:WORD_1 src1_sel:DWORD
	v_lshrrev_b32_e32 v14, 16, v16
	v_cmp_ne_u16_e32 vcc, 0, v15
	s_and_saveexec_b64 s[10:11], vcc
	s_cbranch_execz .LBB507_562
; %bb.557:
	s_movk_i32 s20, 0x80
	v_cmp_ne_u16_e32 vcc, s20, v15
	v_bfrev_b32_e32 v19, 1
	s_and_saveexec_b64 s[20:21], vcc
	s_cbranch_execz .LBB507_561
; %bb.558:
	v_bfe_u32 v15, v16, 16, 7
	s_movk_i32 s22, 0x7f
	v_cmp_ne_u32_e32 vcc, s22, v15
	v_mov_b32_e32 v19, 0x7f800001
	s_and_saveexec_b64 s[22:23], vcc
	s_cbranch_execz .LBB507_560
; %bb.559:
	v_and_b32_e32 v22, 7, v14
	v_ffbh_u32_e32 v18, v22
	v_min_u32_e32 v24, 32, v18
	v_subrev_u32_e32 v18, 28, v24
	v_lshlrev_b64 v[18:19], v18, v[14:15]
	v_and_b32_e32 v18, 7, v18
	v_cmp_gt_u32_e32 vcc, 8, v15
	v_lshrrev_b32_e32 v23, 3, v15
	v_sub_u32_e32 v14, 29, v24
	v_cndmask_b32_e32 v15, v22, v18, vcc
	v_mov_b32_e32 v18, 24
	v_cndmask_b32_e32 v14, v23, v14, vcc
	v_lshlrev_b32_sdwa v18, v18, v16 dst_sel:DWORD dst_unused:UNUSED_PAD src0_sel:DWORD src1_sel:WORD_1
	v_bfrev_b32_e32 v19, 60
	v_lshlrev_b32_e32 v15, 20, v15
	v_and_b32_e32 v18, 0x80000000, v18
	v_lshl_add_u32 v14, v14, 23, v19
	v_or3_b32 v19, v18, v14, v15
.LBB507_560:
	s_or_b64 exec, exec, s[22:23]
.LBB507_561:
	s_or_b64 exec, exec, s[20:21]
.LBB507_562:
	s_or_b64 exec, exec, s[10:11]
	s_mov_b32 s10, 0xffffff
	v_cmp_lt_u32_e32 vcc, s10, v16
	v_mov_b32_e32 v15, 0
	v_mov_b32_e32 v22, 0
	s_and_saveexec_b64 s[10:11], vcc
	s_cbranch_execz .LBB507_568
; %bb.563:
	v_lshrrev_b32_e32 v14, 24, v16
	s_movk_i32 s20, 0x80
	v_cmp_ne_u32_e32 vcc, s20, v14
	v_bfrev_b32_e32 v22, 1
	s_and_saveexec_b64 s[20:21], vcc
	s_cbranch_execz .LBB507_567
; %bb.564:
	v_bfe_u32 v18, v16, 24, 7
	s_movk_i32 s22, 0x7f
	v_cmp_ne_u32_e32 vcc, s22, v18
	v_mov_b32_e32 v22, 0x7f800001
	s_and_saveexec_b64 s[22:23], vcc
	s_cbranch_execz .LBB507_566
; %bb.565:
	v_and_b32_e32 v24, 7, v14
	v_ffbh_u32_e32 v22, v24
	v_min_u32_e32 v26, 32, v22
	v_subrev_u32_e32 v22, 28, v26
	v_lshlrev_b64 v[22:23], v22, v[14:15]
	v_lshrrev_b32_e32 v25, 3, v18
	v_sub_u32_e32 v23, 29, v26
	v_and_b32_e32 v22, 7, v22
	v_cmp_gt_u32_e32 vcc, 8, v18
	v_cndmask_b32_e32 v18, v25, v23, vcc
	v_cndmask_b32_e32 v22, v24, v22, vcc
	v_lshlrev_b32_e32 v14, 24, v14
	v_bfrev_b32_e32 v23, 60
	v_lshlrev_b32_e32 v22, 20, v22
	v_and_b32_e32 v14, 0x80000000, v14
	v_lshl_add_u32 v18, v18, 23, v23
	v_or3_b32 v22, v14, v18, v22
.LBB507_566:
	s_or_b64 exec, exec, s[22:23]
.LBB507_567:
	s_or_b64 exec, exec, s[20:21]
.LBB507_568:
	s_or_b64 exec, exec, s[10:11]
	v_mov_b32_e32 v14, v17
	v_cmp_ne_u16_sdwa s[20:21], v17, v15 src0_sel:BYTE_0 src1_sel:DWORD
	s_and_saveexec_b64 s[10:11], s[20:21]
	s_cbranch_execz .LBB507_574
; %bb.569:
	s_movk_i32 s20, 0x80
	v_cmp_ne_u16_sdwa s[22:23], v17, s20 src0_sel:BYTE_0 src1_sel:DWORD
	v_bfrev_b32_e32 v18, 1
	s_and_saveexec_b64 s[20:21], s[22:23]
	s_cbranch_execz .LBB507_573
; %bb.570:
	s_movk_i32 s22, 0x7f
	v_and_b32_e32 v23, 0x7f, v17
	v_cmp_ne_u32_e32 vcc, s22, v23
	v_mov_b32_e32 v18, 0x7f800001
	s_and_saveexec_b64 s[22:23], vcc
	s_cbranch_execz .LBB507_572
; %bb.571:
	v_and_b32_e32 v18, 7, v17
	v_ffbh_u32_e32 v18, v18
	v_min_u32_e32 v18, 32, v18
	v_subrev_u32_e32 v25, 28, v18
	v_cmp_gt_u32_e32 vcc, 8, v23
	v_lshrrev_b32_e32 v24, 3, v23
	v_sub_u32_e32 v18, 29, v18
	v_cndmask_b32_e32 v23, 0, v25, vcc
	v_cndmask_b32_e32 v18, v24, v18, vcc
	v_lshlrev_b64 v[24:25], v23, v[14:15]
	v_lshlrev_b32_e32 v15, 20, v24
	v_lshlrev_b32_e32 v23, 24, v14
	v_bfrev_b32_e32 v24, 60
	v_and_b32_e32 v15, 0x700000, v15
	v_and_b32_e32 v23, 0x80000000, v23
	v_lshl_add_u32 v18, v18, 23, v24
	v_or3_b32 v18, v23, v18, v15
.LBB507_572:
	s_or_b64 exec, exec, s[22:23]
.LBB507_573:
	s_or_b64 exec, exec, s[20:21]
	v_mov_b32_e32 v15, v18
.LBB507_574:
	s_or_b64 exec, exec, s[10:11]
	v_lshrrev_b16_e32 v18, 8, v14
	v_cmp_ne_u16_e32 vcc, 0, v18
	v_mov_b32_e32 v23, 0
	v_mov_b32_e32 v24, 0
	s_and_saveexec_b64 s[10:11], vcc
	s_cbranch_execz .LBB507_580
; %bb.575:
	s_movk_i32 s20, 0x80
	v_cmp_ne_u16_e32 vcc, s20, v18
	v_bfrev_b32_e32 v24, 1
	s_and_saveexec_b64 s[20:21], vcc
	s_cbranch_execz .LBB507_579
; %bb.576:
	s_movk_i32 s22, 0x7f
	v_and_b32_e32 v25, 0x7f, v18
	v_cmp_ne_u32_e32 vcc, s22, v25
	v_mov_b32_e32 v24, 0x7f800001
	s_and_saveexec_b64 s[22:23], vcc
	s_cbranch_execz .LBB507_578
; %bb.577:
	v_and_b32_e32 v24, 7, v18
	v_ffbh_u32_e32 v26, v24
	v_min_u32_e32 v29, 32, v26
	v_subrev_u32_e32 v26, 28, v29
	v_lshlrev_b64 v[26:27], v26, v[18:19]
	v_lshrrev_b32_e32 v28, 3, v25
	v_sub_u32_e32 v18, 29, v29
	v_and_b32_e32 v26, 7, v26
	v_cmp_gt_u32_e32 vcc, 8, v25
	v_cndmask_b32_e32 v18, v28, v18, vcc
	v_cndmask_b32_e32 v24, v24, v26, vcc
	v_lshlrev_b32_e32 v14, 16, v14
	v_bfrev_b32_e32 v25, 60
	v_lshlrev_b32_e32 v24, 20, v24
	v_and_b32_e32 v14, 0x80000000, v14
	v_lshl_add_u32 v18, v18, 23, v25
	v_or3_b32 v24, v14, v18, v24
.LBB507_578:
	s_or_b64 exec, exec, s[22:23]
.LBB507_579:
	s_or_b64 exec, exec, s[20:21]
.LBB507_580:
	s_or_b64 exec, exec, s[10:11]
	s_movk_i32 s10, 0xff
	v_and_b32_sdwa v18, v17, s10 dst_sel:DWORD dst_unused:UNUSED_PAD src0_sel:WORD_1 src1_sel:DWORD
	v_lshrrev_b32_e32 v14, 16, v17
	v_cmp_ne_u16_e32 vcc, 0, v18
	s_and_saveexec_b64 s[10:11], vcc
	s_cbranch_execz .LBB507_586
; %bb.581:
	s_movk_i32 s20, 0x80
	v_cmp_ne_u16_e32 vcc, s20, v18
	v_bfrev_b32_e32 v23, 1
	s_and_saveexec_b64 s[20:21], vcc
	s_cbranch_execz .LBB507_585
; %bb.582:
	v_bfe_u32 v18, v17, 16, 7
	s_movk_i32 s22, 0x7f
	v_cmp_ne_u32_e32 vcc, s22, v18
	v_mov_b32_e32 v23, 0x7f800001
	s_and_saveexec_b64 s[22:23], vcc
	s_cbranch_execz .LBB507_584
; %bb.583:
	v_and_b32_e32 v23, 7, v14
	v_ffbh_u32_e32 v26, v23
	v_min_u32_e32 v28, 32, v26
	v_subrev_u32_e32 v26, 28, v28
	v_lshlrev_b64 v[26:27], v26, v[14:15]
	v_and_b32_e32 v26, 7, v26
	v_cmp_gt_u32_e32 vcc, 8, v18
	v_lshrrev_b32_e32 v25, 3, v18
	v_sub_u32_e32 v14, 29, v28
	v_cndmask_b32_e32 v18, v23, v26, vcc
	v_mov_b32_e32 v23, 24
	v_cndmask_b32_e32 v14, v25, v14, vcc
	v_lshlrev_b32_sdwa v23, v23, v17 dst_sel:DWORD dst_unused:UNUSED_PAD src0_sel:DWORD src1_sel:WORD_1
	v_bfrev_b32_e32 v25, 60
	v_lshlrev_b32_e32 v18, 20, v18
	v_and_b32_e32 v23, 0x80000000, v23
	v_lshl_add_u32 v14, v14, 23, v25
	v_or3_b32 v23, v23, v14, v18
.LBB507_584:
	s_or_b64 exec, exec, s[22:23]
.LBB507_585:
	s_or_b64 exec, exec, s[20:21]
.LBB507_586:
	s_or_b64 exec, exec, s[10:11]
	s_mov_b32 s10, -1
	s_mov_b32 s11, 0xffffff
	v_cmp_lt_u64_e32 vcc, s[10:11], v[16:17]
	v_mov_b32_e32 v18, 0
	v_mov_b32_e32 v16, 0
	s_and_saveexec_b64 s[10:11], vcc
	s_cbranch_execz .LBB507_592
; %bb.587:
	v_lshrrev_b32_e32 v14, 24, v17
	s_movk_i32 s20, 0x80
	v_cmp_ne_u32_e32 vcc, s20, v14
	v_bfrev_b32_e32 v16, 1
	s_and_saveexec_b64 s[20:21], vcc
	s_cbranch_execz .LBB507_591
; %bb.588:
	v_bfe_u32 v17, v17, 24, 7
	s_movk_i32 s22, 0x7f
	v_cmp_ne_u32_e32 vcc, s22, v17
	v_mov_b32_e32 v16, 0x7f800001
	s_and_saveexec_b64 s[22:23], vcc
	s_cbranch_execz .LBB507_590
; %bb.589:
	v_and_b32_e32 v16, 7, v14
	v_ffbh_u32_e32 v26, v16
	v_min_u32_e32 v28, 32, v26
	v_subrev_u32_e32 v26, 28, v28
	v_lshlrev_b64 v[26:27], v26, v[14:15]
	v_lshrrev_b32_e32 v25, 3, v17
	v_sub_u32_e32 v27, 29, v28
	v_and_b32_e32 v26, 7, v26
	v_cmp_gt_u32_e32 vcc, 8, v17
	v_cndmask_b32_e32 v17, v25, v27, vcc
	v_cndmask_b32_e32 v16, v16, v26, vcc
	v_lshlrev_b32_e32 v14, 24, v14
	v_bfrev_b32_e32 v25, 60
	v_lshlrev_b32_e32 v16, 20, v16
	v_and_b32_e32 v14, 0x80000000, v14
	v_lshl_add_u32 v17, v17, 23, v25
	v_or3_b32 v16, v14, v17, v16
.LBB507_590:
	s_or_b64 exec, exec, s[22:23]
.LBB507_591:
	s_or_b64 exec, exec, s[20:21]
.LBB507_592:
	s_or_b64 exec, exec, s[10:11]
	v_cvt_pkrtz_f16_f32 v20, v20, v21
	v_cvt_pkrtz_f16_f32 v21, v19, v22
	;; [unrolled: 1-line block ×4, first 2 shown]
	v_mfma_f32_4x4x4f16 a[0:3], v[2:3], v[20:21], a[0:3] cbsz:4 abid:11
	v_cmp_ne_u16_sdwa s[20:21], v10, v18 src0_sel:BYTE_0 src1_sel:DWORD
	v_mfma_f32_4x4x4f16 a[0:3], v[4:5], v[14:15], a[0:3] cbsz:4 abid:11
	s_and_saveexec_b64 s[10:11], s[20:21]
	s_cbranch_execz .LBB507_598
; %bb.593:
	s_movk_i32 s20, 0x80
	v_cmp_ne_u16_sdwa s[22:23], v10, s20 src0_sel:BYTE_0 src1_sel:DWORD
	v_bfrev_b32_e32 v18, 1
	s_and_saveexec_b64 s[20:21], s[22:23]
	s_cbranch_execz .LBB507_597
; %bb.594:
	s_movk_i32 s22, 0x7f
	v_and_b32_e32 v14, 0x7f, v10
	v_cmp_ne_u32_e32 vcc, s22, v14
	v_mov_b32_e32 v18, 0x7f800001
	s_and_saveexec_b64 s[22:23], vcc
	s_cbranch_execz .LBB507_596
; %bb.595:
	v_and_b32_e32 v15, 7, v10
	v_ffbh_u32_e32 v15, v15
	v_min_u32_e32 v15, 32, v15
	v_subrev_u32_e32 v17, 28, v15
	v_cmp_gt_u32_e32 vcc, 8, v14
	v_lshrrev_b32_e32 v16, 3, v14
	v_sub_u32_e32 v15, 29, v15
	v_cndmask_b32_e32 v14, 0, v17, vcc
	v_cndmask_b32_e32 v16, v16, v15, vcc
	v_lshlrev_b64 v[14:15], v14, v[10:11]
	v_lshlrev_b32_e32 v14, 20, v14
	v_lshlrev_b32_e32 v15, 24, v10
	v_bfrev_b32_e32 v17, 60
	v_and_b32_e32 v14, 0x700000, v14
	v_and_b32_e32 v15, 0x80000000, v15
	v_lshl_add_u32 v16, v16, 23, v17
	v_or3_b32 v18, v15, v16, v14
.LBB507_596:
	s_or_b64 exec, exec, s[22:23]
.LBB507_597:
	s_or_b64 exec, exec, s[20:21]
.LBB507_598:
	s_or_b64 exec, exec, s[10:11]
	v_lshrrev_b16_e32 v14, 8, v10
	v_cmp_ne_u16_e32 vcc, 0, v14
	v_mov_b32_e32 v17, 0
	v_mov_b32_e32 v19, 0
	s_and_saveexec_b64 s[10:11], vcc
	s_cbranch_execz .LBB507_604
; %bb.599:
	s_movk_i32 s20, 0x80
	v_cmp_ne_u16_e32 vcc, s20, v14
	v_bfrev_b32_e32 v19, 1
	s_and_saveexec_b64 s[20:21], vcc
	s_cbranch_execz .LBB507_603
; %bb.600:
	s_movk_i32 s22, 0x7f
	v_and_b32_e32 v15, 0x7f, v14
	v_cmp_ne_u32_e32 vcc, s22, v15
	v_mov_b32_e32 v19, 0x7f800001
	s_and_saveexec_b64 s[22:23], vcc
	s_cbranch_execz .LBB507_602
; %bb.601:
	v_and_b32_e32 v16, 7, v14
	v_ffbh_u32_e32 v20, v16
	v_min_u32_e32 v22, 32, v20
	v_subrev_u32_e32 v20, 28, v22
	v_lshlrev_b64 v[20:21], v20, v[14:15]
	v_lshrrev_b32_e32 v19, 3, v15
	v_sub_u32_e32 v14, 29, v22
	v_and_b32_e32 v20, 7, v20
	v_cmp_gt_u32_e32 vcc, 8, v15
	v_cndmask_b32_e32 v14, v19, v14, vcc
	v_cndmask_b32_e32 v15, v16, v20, vcc
	v_lshlrev_b32_e32 v16, 16, v10
	v_bfrev_b32_e32 v19, 60
	v_lshlrev_b32_e32 v15, 20, v15
	v_and_b32_e32 v16, 0x80000000, v16
	v_lshl_add_u32 v14, v14, 23, v19
	v_or3_b32 v19, v16, v14, v15
.LBB507_602:
	s_or_b64 exec, exec, s[22:23]
.LBB507_603:
	s_or_b64 exec, exec, s[20:21]
.LBB507_604:
	s_or_b64 exec, exec, s[10:11]
	s_movk_i32 s10, 0xff
	v_and_b32_sdwa v15, v10, s10 dst_sel:DWORD dst_unused:UNUSED_PAD src0_sel:WORD_1 src1_sel:DWORD
	v_lshrrev_b32_e32 v14, 16, v10
	v_cmp_ne_u16_e32 vcc, 0, v15
	s_and_saveexec_b64 s[10:11], vcc
	s_cbranch_execz .LBB507_610
; %bb.605:
	s_movk_i32 s20, 0x80
	v_cmp_ne_u16_e32 vcc, s20, v15
	v_bfrev_b32_e32 v17, 1
	s_and_saveexec_b64 s[20:21], vcc
	s_cbranch_execz .LBB507_609
; %bb.606:
	v_bfe_u32 v15, v10, 16, 7
	s_movk_i32 s22, 0x7f
	v_cmp_ne_u32_e32 vcc, s22, v15
	v_mov_b32_e32 v17, 0x7f800001
	s_and_saveexec_b64 s[22:23], vcc
	s_cbranch_execz .LBB507_608
; %bb.607:
	v_and_b32_e32 v20, 7, v14
	v_ffbh_u32_e32 v16, v20
	v_min_u32_e32 v22, 32, v16
	v_subrev_u32_e32 v16, 28, v22
	v_lshlrev_b64 v[16:17], v16, v[14:15]
	v_and_b32_e32 v16, 7, v16
	v_cmp_gt_u32_e32 vcc, 8, v15
	v_lshrrev_b32_e32 v21, 3, v15
	v_sub_u32_e32 v14, 29, v22
	v_cndmask_b32_e32 v15, v20, v16, vcc
	v_mov_b32_e32 v16, 24
	v_cndmask_b32_e32 v14, v21, v14, vcc
	v_lshlrev_b32_sdwa v16, v16, v10 dst_sel:DWORD dst_unused:UNUSED_PAD src0_sel:DWORD src1_sel:WORD_1
	v_bfrev_b32_e32 v17, 60
	v_lshlrev_b32_e32 v15, 20, v15
	v_and_b32_e32 v16, 0x80000000, v16
	v_lshl_add_u32 v14, v14, 23, v17
	v_or3_b32 v17, v16, v14, v15
.LBB507_608:
	s_or_b64 exec, exec, s[22:23]
.LBB507_609:
	s_or_b64 exec, exec, s[20:21]
.LBB507_610:
	s_or_b64 exec, exec, s[10:11]
	s_mov_b32 s10, 0xffffff
	v_cmp_lt_u32_e32 vcc, s10, v10
	v_mov_b32_e32 v15, 0
	v_mov_b32_e32 v20, 0
	s_and_saveexec_b64 s[10:11], vcc
	s_cbranch_execz .LBB507_616
; %bb.611:
	v_lshrrev_b32_e32 v14, 24, v10
	s_movk_i32 s20, 0x80
	v_cmp_ne_u32_e32 vcc, s20, v14
	v_bfrev_b32_e32 v20, 1
	s_and_saveexec_b64 s[20:21], vcc
	s_cbranch_execz .LBB507_615
; %bb.612:
	v_bfe_u32 v16, v10, 24, 7
	s_movk_i32 s22, 0x7f
	v_cmp_ne_u32_e32 vcc, s22, v16
	v_mov_b32_e32 v20, 0x7f800001
	s_and_saveexec_b64 s[22:23], vcc
	s_cbranch_execz .LBB507_614
; %bb.613:
	v_and_b32_e32 v22, 7, v14
	v_ffbh_u32_e32 v20, v22
	v_min_u32_e32 v24, 32, v20
	v_subrev_u32_e32 v20, 28, v24
	v_lshlrev_b64 v[20:21], v20, v[14:15]
	v_lshrrev_b32_e32 v23, 3, v16
	v_sub_u32_e32 v21, 29, v24
	v_and_b32_e32 v20, 7, v20
	v_cmp_gt_u32_e32 vcc, 8, v16
	v_cndmask_b32_e32 v16, v23, v21, vcc
	v_cndmask_b32_e32 v20, v22, v20, vcc
	v_lshlrev_b32_e32 v14, 24, v14
	v_bfrev_b32_e32 v21, 60
	v_lshlrev_b32_e32 v20, 20, v20
	v_and_b32_e32 v14, 0x80000000, v14
	v_lshl_add_u32 v16, v16, 23, v21
	v_or3_b32 v20, v14, v16, v20
.LBB507_614:
	s_or_b64 exec, exec, s[22:23]
.LBB507_615:
	s_or_b64 exec, exec, s[20:21]
.LBB507_616:
	s_or_b64 exec, exec, s[10:11]
	v_mov_b32_e32 v14, v11
	v_cmp_ne_u16_sdwa s[20:21], v11, v15 src0_sel:BYTE_0 src1_sel:DWORD
	s_and_saveexec_b64 s[10:11], s[20:21]
	s_cbranch_execz .LBB507_622
; %bb.617:
	s_movk_i32 s20, 0x80
	v_cmp_ne_u16_sdwa s[22:23], v11, s20 src0_sel:BYTE_0 src1_sel:DWORD
	v_bfrev_b32_e32 v16, 1
	s_and_saveexec_b64 s[20:21], s[22:23]
	s_cbranch_execz .LBB507_621
; %bb.618:
	s_movk_i32 s22, 0x7f
	v_and_b32_e32 v21, 0x7f, v11
	v_cmp_ne_u32_e32 vcc, s22, v21
	v_mov_b32_e32 v16, 0x7f800001
	s_and_saveexec_b64 s[22:23], vcc
	s_cbranch_execz .LBB507_620
; %bb.619:
	v_and_b32_e32 v16, 7, v11
	v_ffbh_u32_e32 v16, v16
	v_min_u32_e32 v16, 32, v16
	v_subrev_u32_e32 v23, 28, v16
	v_cmp_gt_u32_e32 vcc, 8, v21
	v_lshrrev_b32_e32 v22, 3, v21
	v_sub_u32_e32 v16, 29, v16
	v_cndmask_b32_e32 v21, 0, v23, vcc
	v_cndmask_b32_e32 v16, v22, v16, vcc
	v_lshlrev_b64 v[22:23], v21, v[14:15]
	v_lshlrev_b32_e32 v15, 20, v22
	v_lshlrev_b32_e32 v21, 24, v14
	v_bfrev_b32_e32 v22, 60
	v_and_b32_e32 v15, 0x700000, v15
	v_and_b32_e32 v21, 0x80000000, v21
	v_lshl_add_u32 v16, v16, 23, v22
	v_or3_b32 v16, v21, v16, v15
.LBB507_620:
	s_or_b64 exec, exec, s[22:23]
.LBB507_621:
	s_or_b64 exec, exec, s[20:21]
	v_mov_b32_e32 v15, v16
.LBB507_622:
	s_or_b64 exec, exec, s[10:11]
	v_lshrrev_b16_e32 v16, 8, v14
	v_cmp_ne_u16_e32 vcc, 0, v16
	v_mov_b32_e32 v21, 0
	v_mov_b32_e32 v22, 0
	s_and_saveexec_b64 s[10:11], vcc
	s_cbranch_execz .LBB507_628
; %bb.623:
	s_movk_i32 s20, 0x80
	v_cmp_ne_u16_e32 vcc, s20, v16
	v_bfrev_b32_e32 v22, 1
	s_and_saveexec_b64 s[20:21], vcc
	s_cbranch_execz .LBB507_627
; %bb.624:
	s_movk_i32 s22, 0x7f
	v_and_b32_e32 v23, 0x7f, v16
	v_cmp_ne_u32_e32 vcc, s22, v23
	v_mov_b32_e32 v22, 0x7f800001
	s_and_saveexec_b64 s[22:23], vcc
	s_cbranch_execz .LBB507_626
; %bb.625:
	v_and_b32_e32 v22, 7, v16
	v_ffbh_u32_e32 v24, v22
	v_min_u32_e32 v27, 32, v24
	v_subrev_u32_e32 v24, 28, v27
	v_lshlrev_b64 v[24:25], v24, v[16:17]
	v_lshrrev_b32_e32 v26, 3, v23
	v_sub_u32_e32 v16, 29, v27
	v_and_b32_e32 v24, 7, v24
	v_cmp_gt_u32_e32 vcc, 8, v23
	v_cndmask_b32_e32 v16, v26, v16, vcc
	v_cndmask_b32_e32 v22, v22, v24, vcc
	v_lshlrev_b32_e32 v14, 16, v14
	v_bfrev_b32_e32 v23, 60
	v_lshlrev_b32_e32 v22, 20, v22
	v_and_b32_e32 v14, 0x80000000, v14
	v_lshl_add_u32 v16, v16, 23, v23
	v_or3_b32 v22, v14, v16, v22
.LBB507_626:
	s_or_b64 exec, exec, s[22:23]
.LBB507_627:
	s_or_b64 exec, exec, s[20:21]
.LBB507_628:
	s_or_b64 exec, exec, s[10:11]
	s_movk_i32 s10, 0xff
	v_and_b32_sdwa v16, v11, s10 dst_sel:DWORD dst_unused:UNUSED_PAD src0_sel:WORD_1 src1_sel:DWORD
	v_lshrrev_b32_e32 v14, 16, v11
	v_cmp_ne_u16_e32 vcc, 0, v16
	s_and_saveexec_b64 s[10:11], vcc
	s_cbranch_execz .LBB507_634
; %bb.629:
	s_movk_i32 s20, 0x80
	v_cmp_ne_u16_e32 vcc, s20, v16
	v_bfrev_b32_e32 v21, 1
	s_and_saveexec_b64 s[20:21], vcc
	s_cbranch_execz .LBB507_633
; %bb.630:
	v_bfe_u32 v16, v11, 16, 7
	s_movk_i32 s22, 0x7f
	v_cmp_ne_u32_e32 vcc, s22, v16
	v_mov_b32_e32 v21, 0x7f800001
	s_and_saveexec_b64 s[22:23], vcc
	s_cbranch_execz .LBB507_632
; %bb.631:
	v_and_b32_e32 v21, 7, v14
	v_ffbh_u32_e32 v24, v21
	v_min_u32_e32 v26, 32, v24
	v_subrev_u32_e32 v24, 28, v26
	v_lshlrev_b64 v[24:25], v24, v[14:15]
	v_and_b32_e32 v24, 7, v24
	v_cmp_gt_u32_e32 vcc, 8, v16
	v_lshrrev_b32_e32 v23, 3, v16
	v_sub_u32_e32 v14, 29, v26
	v_cndmask_b32_e32 v16, v21, v24, vcc
	v_mov_b32_e32 v21, 24
	v_cndmask_b32_e32 v14, v23, v14, vcc
	v_lshlrev_b32_sdwa v21, v21, v11 dst_sel:DWORD dst_unused:UNUSED_PAD src0_sel:DWORD src1_sel:WORD_1
	v_bfrev_b32_e32 v23, 60
	v_lshlrev_b32_e32 v16, 20, v16
	v_and_b32_e32 v21, 0x80000000, v21
	v_lshl_add_u32 v14, v14, 23, v23
	v_or3_b32 v21, v21, v14, v16
.LBB507_632:
	s_or_b64 exec, exec, s[22:23]
.LBB507_633:
	s_or_b64 exec, exec, s[20:21]
.LBB507_634:
	s_or_b64 exec, exec, s[10:11]
	s_mov_b32 s10, -1
	s_mov_b32 s11, 0xffffff
	v_cmp_lt_u64_e32 vcc, s[10:11], v[10:11]
	v_mov_b32_e32 v16, 0
	v_mov_b32_e32 v14, 0
	s_and_saveexec_b64 s[10:11], vcc
	s_cbranch_execz .LBB507_640
; %bb.635:
	v_lshrrev_b32_e32 v10, 24, v11
	s_movk_i32 s20, 0x80
	v_cmp_ne_u32_e32 vcc, s20, v10
	v_bfrev_b32_e32 v14, 1
	s_and_saveexec_b64 s[20:21], vcc
	s_cbranch_execz .LBB507_639
; %bb.636:
	v_bfe_u32 v11, v11, 24, 7
	s_movk_i32 s22, 0x7f
	v_cmp_ne_u32_e32 vcc, s22, v11
	v_mov_b32_e32 v14, 0x7f800001
	s_and_saveexec_b64 s[22:23], vcc
	s_cbranch_execz .LBB507_638
; %bb.637:
	v_and_b32_e32 v14, 7, v10
	v_ffbh_u32_e32 v24, v14
	v_min_u32_e32 v26, 32, v24
	v_subrev_u32_e32 v24, 28, v26
	v_lshlrev_b64 v[24:25], v24, v[10:11]
	v_lshrrev_b32_e32 v23, 3, v11
	v_sub_u32_e32 v25, 29, v26
	v_and_b32_e32 v24, 7, v24
	v_cmp_gt_u32_e32 vcc, 8, v11
	v_cndmask_b32_e32 v11, v23, v25, vcc
	v_cndmask_b32_e32 v14, v14, v24, vcc
	v_lshlrev_b32_e32 v10, 24, v10
	v_bfrev_b32_e32 v23, 60
	v_lshlrev_b32_e32 v14, 20, v14
	v_and_b32_e32 v10, 0x80000000, v10
	v_lshl_add_u32 v11, v11, 23, v23
	v_or3_b32 v14, v10, v11, v14
.LBB507_638:
	s_or_b64 exec, exec, s[22:23]
.LBB507_639:
	s_or_b64 exec, exec, s[20:21]
.LBB507_640:
	s_or_b64 exec, exec, s[10:11]
	v_cvt_pkrtz_f16_f32 v10, v18, v19
	v_cvt_pkrtz_f16_f32 v11, v17, v20
	;; [unrolled: 1-line block ×4, first 2 shown]
	v_mfma_f32_4x4x4f16 a[0:3], v[2:3], v[10:11], a[0:3] cbsz:4 abid:12
	v_cmp_ne_u16_sdwa s[20:21], v12, v16 src0_sel:BYTE_0 src1_sel:DWORD
	v_mfma_f32_4x4x4f16 a[0:3], v[4:5], v[18:19], a[0:3] cbsz:4 abid:12
	s_and_saveexec_b64 s[10:11], s[20:21]
	s_cbranch_execz .LBB507_646
; %bb.641:
	s_movk_i32 s20, 0x80
	v_cmp_ne_u16_sdwa s[22:23], v12, s20 src0_sel:BYTE_0 src1_sel:DWORD
	v_bfrev_b32_e32 v16, 1
	s_and_saveexec_b64 s[20:21], s[22:23]
	s_cbranch_execz .LBB507_645
; %bb.642:
	s_movk_i32 s22, 0x7f
	v_and_b32_e32 v10, 0x7f, v12
	v_cmp_ne_u32_e32 vcc, s22, v10
	v_mov_b32_e32 v16, 0x7f800001
	s_and_saveexec_b64 s[22:23], vcc
	s_cbranch_execz .LBB507_644
; %bb.643:
	v_and_b32_e32 v11, 7, v12
	v_ffbh_u32_e32 v11, v11
	v_min_u32_e32 v11, 32, v11
	v_subrev_u32_e32 v15, 28, v11
	v_cmp_gt_u32_e32 vcc, 8, v10
	v_lshrrev_b32_e32 v14, 3, v10
	v_sub_u32_e32 v11, 29, v11
	v_cndmask_b32_e32 v10, 0, v15, vcc
	v_cndmask_b32_e32 v14, v14, v11, vcc
	v_lshlrev_b64 v[10:11], v10, v[12:13]
	v_lshlrev_b32_e32 v10, 20, v10
	v_lshlrev_b32_e32 v11, 24, v12
	v_bfrev_b32_e32 v15, 60
	v_and_b32_e32 v10, 0x700000, v10
	v_and_b32_e32 v11, 0x80000000, v11
	v_lshl_add_u32 v14, v14, 23, v15
	v_or3_b32 v16, v11, v14, v10
.LBB507_644:
	s_or_b64 exec, exec, s[22:23]
.LBB507_645:
	s_or_b64 exec, exec, s[20:21]
.LBB507_646:
	s_or_b64 exec, exec, s[10:11]
	v_lshrrev_b16_e32 v10, 8, v12
	v_cmp_ne_u16_e32 vcc, 0, v10
	v_mov_b32_e32 v15, 0
	v_mov_b32_e32 v17, 0
	s_and_saveexec_b64 s[10:11], vcc
	s_cbranch_execz .LBB507_652
; %bb.647:
	s_movk_i32 s20, 0x80
	v_cmp_ne_u16_e32 vcc, s20, v10
	v_bfrev_b32_e32 v17, 1
	s_and_saveexec_b64 s[20:21], vcc
	s_cbranch_execz .LBB507_651
; %bb.648:
	s_movk_i32 s22, 0x7f
	v_and_b32_e32 v11, 0x7f, v10
	v_cmp_ne_u32_e32 vcc, s22, v11
	v_mov_b32_e32 v17, 0x7f800001
	s_and_saveexec_b64 s[22:23], vcc
	s_cbranch_execz .LBB507_650
; %bb.649:
	v_and_b32_e32 v14, 7, v10
	v_ffbh_u32_e32 v18, v14
	v_min_u32_e32 v20, 32, v18
	v_subrev_u32_e32 v18, 28, v20
	v_lshlrev_b64 v[18:19], v18, v[10:11]
	v_lshrrev_b32_e32 v17, 3, v11
	v_sub_u32_e32 v10, 29, v20
	v_and_b32_e32 v18, 7, v18
	v_cmp_gt_u32_e32 vcc, 8, v11
	v_cndmask_b32_e32 v10, v17, v10, vcc
	v_cndmask_b32_e32 v11, v14, v18, vcc
	v_lshlrev_b32_e32 v14, 16, v12
	v_bfrev_b32_e32 v17, 60
	v_lshlrev_b32_e32 v11, 20, v11
	v_and_b32_e32 v14, 0x80000000, v14
	v_lshl_add_u32 v10, v10, 23, v17
	v_or3_b32 v17, v14, v10, v11
.LBB507_650:
	s_or_b64 exec, exec, s[22:23]
.LBB507_651:
	s_or_b64 exec, exec, s[20:21]
.LBB507_652:
	s_or_b64 exec, exec, s[10:11]
	s_movk_i32 s10, 0xff
	v_and_b32_sdwa v11, v12, s10 dst_sel:DWORD dst_unused:UNUSED_PAD src0_sel:WORD_1 src1_sel:DWORD
	v_lshrrev_b32_e32 v10, 16, v12
	v_cmp_ne_u16_e32 vcc, 0, v11
	s_and_saveexec_b64 s[10:11], vcc
	s_cbranch_execz .LBB507_658
; %bb.653:
	s_movk_i32 s20, 0x80
	v_cmp_ne_u16_e32 vcc, s20, v11
	v_bfrev_b32_e32 v15, 1
	s_and_saveexec_b64 s[20:21], vcc
	s_cbranch_execz .LBB507_657
; %bb.654:
	v_bfe_u32 v11, v12, 16, 7
	s_movk_i32 s22, 0x7f
	v_cmp_ne_u32_e32 vcc, s22, v11
	v_mov_b32_e32 v15, 0x7f800001
	s_and_saveexec_b64 s[22:23], vcc
	s_cbranch_execz .LBB507_656
; %bb.655:
	v_and_b32_e32 v18, 7, v10
	v_ffbh_u32_e32 v14, v18
	v_min_u32_e32 v20, 32, v14
	v_subrev_u32_e32 v14, 28, v20
	v_lshlrev_b64 v[14:15], v14, v[10:11]
	v_and_b32_e32 v14, 7, v14
	v_cmp_gt_u32_e32 vcc, 8, v11
	v_lshrrev_b32_e32 v19, 3, v11
	v_sub_u32_e32 v10, 29, v20
	v_cndmask_b32_e32 v11, v18, v14, vcc
	v_mov_b32_e32 v14, 24
	v_cndmask_b32_e32 v10, v19, v10, vcc
	v_lshlrev_b32_sdwa v14, v14, v12 dst_sel:DWORD dst_unused:UNUSED_PAD src0_sel:DWORD src1_sel:WORD_1
	v_bfrev_b32_e32 v15, 60
	v_lshlrev_b32_e32 v11, 20, v11
	v_and_b32_e32 v14, 0x80000000, v14
	v_lshl_add_u32 v10, v10, 23, v15
	v_or3_b32 v15, v14, v10, v11
.LBB507_656:
	s_or_b64 exec, exec, s[22:23]
.LBB507_657:
	s_or_b64 exec, exec, s[20:21]
.LBB507_658:
	s_or_b64 exec, exec, s[10:11]
	s_mov_b32 s10, 0xffffff
	v_cmp_lt_u32_e32 vcc, s10, v12
	v_mov_b32_e32 v11, 0
	v_mov_b32_e32 v18, 0
	s_and_saveexec_b64 s[10:11], vcc
	s_cbranch_execz .LBB507_664
; %bb.659:
	v_lshrrev_b32_e32 v10, 24, v12
	s_movk_i32 s20, 0x80
	v_cmp_ne_u32_e32 vcc, s20, v10
	v_bfrev_b32_e32 v18, 1
	s_and_saveexec_b64 s[20:21], vcc
	s_cbranch_execz .LBB507_663
; %bb.660:
	v_bfe_u32 v14, v12, 24, 7
	s_movk_i32 s22, 0x7f
	v_cmp_ne_u32_e32 vcc, s22, v14
	v_mov_b32_e32 v18, 0x7f800001
	s_and_saveexec_b64 s[22:23], vcc
	s_cbranch_execz .LBB507_662
; %bb.661:
	v_and_b32_e32 v20, 7, v10
	v_ffbh_u32_e32 v18, v20
	v_min_u32_e32 v22, 32, v18
	v_subrev_u32_e32 v18, 28, v22
	v_lshlrev_b64 v[18:19], v18, v[10:11]
	v_lshrrev_b32_e32 v21, 3, v14
	v_sub_u32_e32 v19, 29, v22
	v_and_b32_e32 v18, 7, v18
	v_cmp_gt_u32_e32 vcc, 8, v14
	v_cndmask_b32_e32 v14, v21, v19, vcc
	v_cndmask_b32_e32 v18, v20, v18, vcc
	v_lshlrev_b32_e32 v10, 24, v10
	v_bfrev_b32_e32 v19, 60
	v_lshlrev_b32_e32 v18, 20, v18
	v_and_b32_e32 v10, 0x80000000, v10
	v_lshl_add_u32 v14, v14, 23, v19
	v_or3_b32 v18, v10, v14, v18
.LBB507_662:
	s_or_b64 exec, exec, s[22:23]
.LBB507_663:
	s_or_b64 exec, exec, s[20:21]
.LBB507_664:
	s_or_b64 exec, exec, s[10:11]
	v_mov_b32_e32 v10, v13
	v_cmp_ne_u16_sdwa s[20:21], v13, v11 src0_sel:BYTE_0 src1_sel:DWORD
	s_and_saveexec_b64 s[10:11], s[20:21]
	s_cbranch_execz .LBB507_670
; %bb.665:
	s_movk_i32 s20, 0x80
	v_cmp_ne_u16_sdwa s[22:23], v13, s20 src0_sel:BYTE_0 src1_sel:DWORD
	v_bfrev_b32_e32 v14, 1
	s_and_saveexec_b64 s[20:21], s[22:23]
	s_cbranch_execz .LBB507_669
; %bb.666:
	s_movk_i32 s22, 0x7f
	v_and_b32_e32 v19, 0x7f, v13
	v_cmp_ne_u32_e32 vcc, s22, v19
	v_mov_b32_e32 v14, 0x7f800001
	s_and_saveexec_b64 s[22:23], vcc
	s_cbranch_execz .LBB507_668
; %bb.667:
	v_and_b32_e32 v14, 7, v13
	v_ffbh_u32_e32 v14, v14
	v_min_u32_e32 v14, 32, v14
	v_subrev_u32_e32 v21, 28, v14
	v_cmp_gt_u32_e32 vcc, 8, v19
	v_lshrrev_b32_e32 v20, 3, v19
	v_sub_u32_e32 v14, 29, v14
	v_cndmask_b32_e32 v19, 0, v21, vcc
	v_cndmask_b32_e32 v14, v20, v14, vcc
	v_lshlrev_b64 v[20:21], v19, v[10:11]
	v_lshlrev_b32_e32 v11, 20, v20
	v_lshlrev_b32_e32 v19, 24, v10
	v_bfrev_b32_e32 v20, 60
	v_and_b32_e32 v11, 0x700000, v11
	v_and_b32_e32 v19, 0x80000000, v19
	v_lshl_add_u32 v14, v14, 23, v20
	v_or3_b32 v14, v19, v14, v11
.LBB507_668:
	s_or_b64 exec, exec, s[22:23]
.LBB507_669:
	s_or_b64 exec, exec, s[20:21]
	v_mov_b32_e32 v11, v14
.LBB507_670:
	s_or_b64 exec, exec, s[10:11]
	v_lshrrev_b16_e32 v14, 8, v10
	v_cmp_ne_u16_e32 vcc, 0, v14
	v_mov_b32_e32 v19, 0
	v_mov_b32_e32 v20, 0
	s_and_saveexec_b64 s[10:11], vcc
	s_cbranch_execz .LBB507_676
; %bb.671:
	s_movk_i32 s20, 0x80
	v_cmp_ne_u16_e32 vcc, s20, v14
	v_bfrev_b32_e32 v20, 1
	s_and_saveexec_b64 s[20:21], vcc
	s_cbranch_execz .LBB507_675
; %bb.672:
	s_movk_i32 s22, 0x7f
	v_and_b32_e32 v21, 0x7f, v14
	v_cmp_ne_u32_e32 vcc, s22, v21
	v_mov_b32_e32 v20, 0x7f800001
	s_and_saveexec_b64 s[22:23], vcc
	s_cbranch_execz .LBB507_674
; %bb.673:
	v_and_b32_e32 v20, 7, v14
	v_ffbh_u32_e32 v22, v20
	v_min_u32_e32 v25, 32, v22
	v_subrev_u32_e32 v22, 28, v25
	v_lshlrev_b64 v[22:23], v22, v[14:15]
	v_lshrrev_b32_e32 v24, 3, v21
	v_sub_u32_e32 v14, 29, v25
	v_and_b32_e32 v22, 7, v22
	v_cmp_gt_u32_e32 vcc, 8, v21
	v_cndmask_b32_e32 v14, v24, v14, vcc
	v_cndmask_b32_e32 v20, v20, v22, vcc
	v_lshlrev_b32_e32 v10, 16, v10
	v_bfrev_b32_e32 v21, 60
	v_lshlrev_b32_e32 v20, 20, v20
	v_and_b32_e32 v10, 0x80000000, v10
	v_lshl_add_u32 v14, v14, 23, v21
	v_or3_b32 v20, v10, v14, v20
.LBB507_674:
	s_or_b64 exec, exec, s[22:23]
.LBB507_675:
	s_or_b64 exec, exec, s[20:21]
.LBB507_676:
	s_or_b64 exec, exec, s[10:11]
	s_movk_i32 s10, 0xff
	v_and_b32_sdwa v14, v13, s10 dst_sel:DWORD dst_unused:UNUSED_PAD src0_sel:WORD_1 src1_sel:DWORD
	v_lshrrev_b32_e32 v10, 16, v13
	v_cmp_ne_u16_e32 vcc, 0, v14
	s_and_saveexec_b64 s[10:11], vcc
	s_cbranch_execz .LBB507_682
; %bb.677:
	s_movk_i32 s20, 0x80
	v_cmp_ne_u16_e32 vcc, s20, v14
	v_bfrev_b32_e32 v19, 1
	s_and_saveexec_b64 s[20:21], vcc
	s_cbranch_execz .LBB507_681
; %bb.678:
	v_bfe_u32 v14, v13, 16, 7
	s_movk_i32 s22, 0x7f
	v_cmp_ne_u32_e32 vcc, s22, v14
	v_mov_b32_e32 v19, 0x7f800001
	s_and_saveexec_b64 s[22:23], vcc
	s_cbranch_execz .LBB507_680
; %bb.679:
	v_and_b32_e32 v19, 7, v10
	v_ffbh_u32_e32 v22, v19
	v_min_u32_e32 v24, 32, v22
	v_subrev_u32_e32 v22, 28, v24
	v_lshlrev_b64 v[22:23], v22, v[10:11]
	v_and_b32_e32 v22, 7, v22
	v_cmp_gt_u32_e32 vcc, 8, v14
	v_lshrrev_b32_e32 v21, 3, v14
	v_sub_u32_e32 v10, 29, v24
	v_cndmask_b32_e32 v14, v19, v22, vcc
	v_mov_b32_e32 v19, 24
	v_cndmask_b32_e32 v10, v21, v10, vcc
	v_lshlrev_b32_sdwa v19, v19, v13 dst_sel:DWORD dst_unused:UNUSED_PAD src0_sel:DWORD src1_sel:WORD_1
	v_bfrev_b32_e32 v21, 60
	v_lshlrev_b32_e32 v14, 20, v14
	v_and_b32_e32 v19, 0x80000000, v19
	v_lshl_add_u32 v10, v10, 23, v21
	v_or3_b32 v19, v19, v10, v14
.LBB507_680:
	s_or_b64 exec, exec, s[22:23]
.LBB507_681:
	s_or_b64 exec, exec, s[20:21]
.LBB507_682:
	s_or_b64 exec, exec, s[10:11]
	s_mov_b32 s10, -1
	s_mov_b32 s11, 0xffffff
	v_cmp_lt_u64_e32 vcc, s[10:11], v[12:13]
	v_mov_b32_e32 v14, 0
	v_mov_b32_e32 v12, 0
	s_and_saveexec_b64 s[10:11], vcc
	s_cbranch_execz .LBB507_688
; %bb.683:
	v_lshrrev_b32_e32 v10, 24, v13
	s_movk_i32 s20, 0x80
	v_cmp_ne_u32_e32 vcc, s20, v10
	v_bfrev_b32_e32 v12, 1
	s_and_saveexec_b64 s[20:21], vcc
	s_cbranch_execz .LBB507_687
; %bb.684:
	v_bfe_u32 v13, v13, 24, 7
	s_movk_i32 s22, 0x7f
	v_cmp_ne_u32_e32 vcc, s22, v13
	v_mov_b32_e32 v12, 0x7f800001
	s_and_saveexec_b64 s[22:23], vcc
	s_cbranch_execz .LBB507_686
; %bb.685:
	v_and_b32_e32 v12, 7, v10
	v_ffbh_u32_e32 v22, v12
	v_min_u32_e32 v24, 32, v22
	v_subrev_u32_e32 v22, 28, v24
	v_lshlrev_b64 v[22:23], v22, v[10:11]
	v_lshrrev_b32_e32 v21, 3, v13
	v_sub_u32_e32 v23, 29, v24
	v_and_b32_e32 v22, 7, v22
	v_cmp_gt_u32_e32 vcc, 8, v13
	v_cndmask_b32_e32 v13, v21, v23, vcc
	v_cndmask_b32_e32 v12, v12, v22, vcc
	v_lshlrev_b32_e32 v10, 24, v10
	v_bfrev_b32_e32 v21, 60
	v_lshlrev_b32_e32 v12, 20, v12
	v_and_b32_e32 v10, 0x80000000, v10
	v_lshl_add_u32 v13, v13, 23, v21
	v_or3_b32 v12, v10, v13, v12
.LBB507_686:
	s_or_b64 exec, exec, s[22:23]
.LBB507_687:
	s_or_b64 exec, exec, s[20:21]
.LBB507_688:
	s_or_b64 exec, exec, s[10:11]
	v_cvt_pkrtz_f16_f32 v16, v16, v17
	v_cvt_pkrtz_f16_f32 v17, v15, v18
	;; [unrolled: 1-line block ×4, first 2 shown]
	v_mfma_f32_4x4x4f16 a[0:3], v[2:3], v[16:17], a[0:3] cbsz:4 abid:13
	v_cmp_ne_u16_sdwa s[20:21], v6, v14 src0_sel:BYTE_0 src1_sel:DWORD
	v_mfma_f32_4x4x4f16 a[0:3], v[4:5], v[10:11], a[0:3] cbsz:4 abid:13
	s_and_saveexec_b64 s[10:11], s[20:21]
	s_cbranch_execz .LBB507_694
; %bb.689:
	s_movk_i32 s20, 0x80
	v_cmp_ne_u16_sdwa s[22:23], v6, s20 src0_sel:BYTE_0 src1_sel:DWORD
	v_bfrev_b32_e32 v14, 1
	s_and_saveexec_b64 s[20:21], s[22:23]
	s_cbranch_execz .LBB507_693
; %bb.690:
	s_movk_i32 s22, 0x7f
	v_and_b32_e32 v10, 0x7f, v6
	v_cmp_ne_u32_e32 vcc, s22, v10
	v_mov_b32_e32 v14, 0x7f800001
	s_and_saveexec_b64 s[22:23], vcc
	s_cbranch_execz .LBB507_692
; %bb.691:
	v_and_b32_e32 v11, 7, v6
	v_ffbh_u32_e32 v11, v11
	v_min_u32_e32 v11, 32, v11
	v_subrev_u32_e32 v13, 28, v11
	v_cmp_gt_u32_e32 vcc, 8, v10
	v_lshrrev_b32_e32 v12, 3, v10
	v_sub_u32_e32 v11, 29, v11
	v_cndmask_b32_e32 v10, 0, v13, vcc
	v_cndmask_b32_e32 v12, v12, v11, vcc
	v_lshlrev_b64 v[10:11], v10, v[6:7]
	v_lshlrev_b32_e32 v10, 20, v10
	v_lshlrev_b32_e32 v11, 24, v6
	v_bfrev_b32_e32 v13, 60
	v_and_b32_e32 v10, 0x700000, v10
	v_and_b32_e32 v11, 0x80000000, v11
	v_lshl_add_u32 v12, v12, 23, v13
	v_or3_b32 v14, v11, v12, v10
.LBB507_692:
	s_or_b64 exec, exec, s[22:23]
.LBB507_693:
	s_or_b64 exec, exec, s[20:21]
.LBB507_694:
	s_or_b64 exec, exec, s[10:11]
	v_lshrrev_b16_e32 v10, 8, v6
	v_cmp_ne_u16_e32 vcc, 0, v10
	v_mov_b32_e32 v13, 0
	v_mov_b32_e32 v15, 0
	s_and_saveexec_b64 s[10:11], vcc
	s_cbranch_execz .LBB507_700
; %bb.695:
	s_movk_i32 s20, 0x80
	v_cmp_ne_u16_e32 vcc, s20, v10
	v_bfrev_b32_e32 v15, 1
	s_and_saveexec_b64 s[20:21], vcc
	s_cbranch_execz .LBB507_699
; %bb.696:
	s_movk_i32 s22, 0x7f
	v_and_b32_e32 v11, 0x7f, v10
	v_cmp_ne_u32_e32 vcc, s22, v11
	v_mov_b32_e32 v15, 0x7f800001
	s_and_saveexec_b64 s[22:23], vcc
	s_cbranch_execz .LBB507_698
; %bb.697:
	v_and_b32_e32 v12, 7, v10
	v_ffbh_u32_e32 v16, v12
	v_min_u32_e32 v18, 32, v16
	v_subrev_u32_e32 v16, 28, v18
	v_lshlrev_b64 v[16:17], v16, v[10:11]
	v_lshrrev_b32_e32 v15, 3, v11
	v_sub_u32_e32 v10, 29, v18
	v_and_b32_e32 v16, 7, v16
	v_cmp_gt_u32_e32 vcc, 8, v11
	v_cndmask_b32_e32 v10, v15, v10, vcc
	v_cndmask_b32_e32 v11, v12, v16, vcc
	v_lshlrev_b32_e32 v12, 16, v6
	v_bfrev_b32_e32 v15, 60
	v_lshlrev_b32_e32 v11, 20, v11
	v_and_b32_e32 v12, 0x80000000, v12
	v_lshl_add_u32 v10, v10, 23, v15
	v_or3_b32 v15, v12, v10, v11
.LBB507_698:
	s_or_b64 exec, exec, s[22:23]
.LBB507_699:
	s_or_b64 exec, exec, s[20:21]
.LBB507_700:
	s_or_b64 exec, exec, s[10:11]
	s_movk_i32 s10, 0xff
	v_and_b32_sdwa v11, v6, s10 dst_sel:DWORD dst_unused:UNUSED_PAD src0_sel:WORD_1 src1_sel:DWORD
	v_lshrrev_b32_e32 v10, 16, v6
	v_cmp_ne_u16_e32 vcc, 0, v11
	s_and_saveexec_b64 s[10:11], vcc
	s_cbranch_execz .LBB507_706
; %bb.701:
	s_movk_i32 s20, 0x80
	v_cmp_ne_u16_e32 vcc, s20, v11
	v_bfrev_b32_e32 v13, 1
	s_and_saveexec_b64 s[20:21], vcc
	s_cbranch_execz .LBB507_705
; %bb.702:
	v_bfe_u32 v11, v6, 16, 7
	s_movk_i32 s22, 0x7f
	v_cmp_ne_u32_e32 vcc, s22, v11
	v_mov_b32_e32 v13, 0x7f800001
	s_and_saveexec_b64 s[22:23], vcc
	s_cbranch_execz .LBB507_704
; %bb.703:
	v_and_b32_e32 v16, 7, v10
	v_ffbh_u32_e32 v12, v16
	v_min_u32_e32 v18, 32, v12
	v_subrev_u32_e32 v12, 28, v18
	v_lshlrev_b64 v[12:13], v12, v[10:11]
	v_and_b32_e32 v12, 7, v12
	v_cmp_gt_u32_e32 vcc, 8, v11
	v_lshrrev_b32_e32 v17, 3, v11
	v_sub_u32_e32 v10, 29, v18
	v_cndmask_b32_e32 v11, v16, v12, vcc
	v_mov_b32_e32 v12, 24
	v_cndmask_b32_e32 v10, v17, v10, vcc
	v_lshlrev_b32_sdwa v12, v12, v6 dst_sel:DWORD dst_unused:UNUSED_PAD src0_sel:DWORD src1_sel:WORD_1
	v_bfrev_b32_e32 v13, 60
	v_lshlrev_b32_e32 v11, 20, v11
	v_and_b32_e32 v12, 0x80000000, v12
	v_lshl_add_u32 v10, v10, 23, v13
	v_or3_b32 v13, v12, v10, v11
.LBB507_704:
	s_or_b64 exec, exec, s[22:23]
.LBB507_705:
	s_or_b64 exec, exec, s[20:21]
.LBB507_706:
	s_or_b64 exec, exec, s[10:11]
	s_mov_b32 s10, 0xffffff
	v_cmp_lt_u32_e32 vcc, s10, v6
	v_mov_b32_e32 v11, 0
	v_mov_b32_e32 v16, 0
	s_and_saveexec_b64 s[10:11], vcc
	s_cbranch_execz .LBB507_712
; %bb.707:
	v_lshrrev_b32_e32 v10, 24, v6
	s_movk_i32 s20, 0x80
	v_cmp_ne_u32_e32 vcc, s20, v10
	v_bfrev_b32_e32 v16, 1
	s_and_saveexec_b64 s[20:21], vcc
	s_cbranch_execz .LBB507_711
; %bb.708:
	v_bfe_u32 v12, v6, 24, 7
	s_movk_i32 s22, 0x7f
	v_cmp_ne_u32_e32 vcc, s22, v12
	v_mov_b32_e32 v16, 0x7f800001
	s_and_saveexec_b64 s[22:23], vcc
	s_cbranch_execz .LBB507_710
; %bb.709:
	v_and_b32_e32 v18, 7, v10
	v_ffbh_u32_e32 v16, v18
	v_min_u32_e32 v20, 32, v16
	v_subrev_u32_e32 v16, 28, v20
	v_lshlrev_b64 v[16:17], v16, v[10:11]
	v_lshrrev_b32_e32 v19, 3, v12
	v_sub_u32_e32 v17, 29, v20
	v_and_b32_e32 v16, 7, v16
	v_cmp_gt_u32_e32 vcc, 8, v12
	v_cndmask_b32_e32 v12, v19, v17, vcc
	v_cndmask_b32_e32 v16, v18, v16, vcc
	v_lshlrev_b32_e32 v10, 24, v10
	v_bfrev_b32_e32 v17, 60
	v_lshlrev_b32_e32 v16, 20, v16
	v_and_b32_e32 v10, 0x80000000, v10
	v_lshl_add_u32 v12, v12, 23, v17
	v_or3_b32 v16, v10, v12, v16
.LBB507_710:
	s_or_b64 exec, exec, s[22:23]
.LBB507_711:
	s_or_b64 exec, exec, s[20:21]
.LBB507_712:
	s_or_b64 exec, exec, s[10:11]
	v_mov_b32_e32 v10, v7
	v_cmp_ne_u16_sdwa s[20:21], v7, v11 src0_sel:BYTE_0 src1_sel:DWORD
	s_and_saveexec_b64 s[10:11], s[20:21]
	s_cbranch_execz .LBB507_718
; %bb.713:
	s_movk_i32 s20, 0x80
	v_cmp_ne_u16_sdwa s[22:23], v7, s20 src0_sel:BYTE_0 src1_sel:DWORD
	v_bfrev_b32_e32 v12, 1
	s_and_saveexec_b64 s[20:21], s[22:23]
	s_cbranch_execz .LBB507_717
; %bb.714:
	s_movk_i32 s22, 0x7f
	v_and_b32_e32 v17, 0x7f, v7
	v_cmp_ne_u32_e32 vcc, s22, v17
	v_mov_b32_e32 v12, 0x7f800001
	s_and_saveexec_b64 s[22:23], vcc
	s_cbranch_execz .LBB507_716
; %bb.715:
	v_and_b32_e32 v12, 7, v7
	v_ffbh_u32_e32 v12, v12
	v_min_u32_e32 v12, 32, v12
	v_subrev_u32_e32 v19, 28, v12
	v_cmp_gt_u32_e32 vcc, 8, v17
	v_lshrrev_b32_e32 v18, 3, v17
	v_sub_u32_e32 v12, 29, v12
	v_cndmask_b32_e32 v17, 0, v19, vcc
	v_cndmask_b32_e32 v12, v18, v12, vcc
	v_lshlrev_b64 v[18:19], v17, v[10:11]
	v_lshlrev_b32_e32 v11, 20, v18
	v_lshlrev_b32_e32 v17, 24, v10
	v_bfrev_b32_e32 v18, 60
	v_and_b32_e32 v11, 0x700000, v11
	v_and_b32_e32 v17, 0x80000000, v17
	v_lshl_add_u32 v12, v12, 23, v18
	v_or3_b32 v12, v17, v12, v11
.LBB507_716:
	s_or_b64 exec, exec, s[22:23]
.LBB507_717:
	s_or_b64 exec, exec, s[20:21]
	v_mov_b32_e32 v11, v12
.LBB507_718:
	s_or_b64 exec, exec, s[10:11]
	v_lshrrev_b16_e32 v12, 8, v10
	v_cmp_ne_u16_e32 vcc, 0, v12
	v_mov_b32_e32 v17, 0
	v_mov_b32_e32 v18, 0
	s_and_saveexec_b64 s[10:11], vcc
	s_cbranch_execz .LBB507_724
; %bb.719:
	s_movk_i32 s20, 0x80
	v_cmp_ne_u16_e32 vcc, s20, v12
	v_bfrev_b32_e32 v18, 1
	s_and_saveexec_b64 s[20:21], vcc
	s_cbranch_execz .LBB507_723
; %bb.720:
	s_movk_i32 s22, 0x7f
	v_and_b32_e32 v19, 0x7f, v12
	v_cmp_ne_u32_e32 vcc, s22, v19
	v_mov_b32_e32 v18, 0x7f800001
	s_and_saveexec_b64 s[22:23], vcc
	s_cbranch_execz .LBB507_722
; %bb.721:
	v_and_b32_e32 v18, 7, v12
	v_ffbh_u32_e32 v20, v18
	v_min_u32_e32 v23, 32, v20
	v_subrev_u32_e32 v20, 28, v23
	v_lshlrev_b64 v[20:21], v20, v[12:13]
	v_lshrrev_b32_e32 v22, 3, v19
	v_sub_u32_e32 v12, 29, v23
	v_and_b32_e32 v20, 7, v20
	v_cmp_gt_u32_e32 vcc, 8, v19
	v_cndmask_b32_e32 v12, v22, v12, vcc
	v_cndmask_b32_e32 v18, v18, v20, vcc
	v_lshlrev_b32_e32 v10, 16, v10
	v_bfrev_b32_e32 v19, 60
	v_lshlrev_b32_e32 v18, 20, v18
	v_and_b32_e32 v10, 0x80000000, v10
	v_lshl_add_u32 v12, v12, 23, v19
	v_or3_b32 v18, v10, v12, v18
.LBB507_722:
	s_or_b64 exec, exec, s[22:23]
.LBB507_723:
	s_or_b64 exec, exec, s[20:21]
.LBB507_724:
	s_or_b64 exec, exec, s[10:11]
	s_movk_i32 s10, 0xff
	v_and_b32_sdwa v12, v7, s10 dst_sel:DWORD dst_unused:UNUSED_PAD src0_sel:WORD_1 src1_sel:DWORD
	v_lshrrev_b32_e32 v10, 16, v7
	v_cmp_ne_u16_e32 vcc, 0, v12
	s_and_saveexec_b64 s[10:11], vcc
	s_cbranch_execz .LBB507_730
; %bb.725:
	s_movk_i32 s20, 0x80
	v_cmp_ne_u16_e32 vcc, s20, v12
	v_bfrev_b32_e32 v17, 1
	s_and_saveexec_b64 s[20:21], vcc
	s_cbranch_execz .LBB507_729
; %bb.726:
	v_bfe_u32 v12, v7, 16, 7
	s_movk_i32 s22, 0x7f
	v_cmp_ne_u32_e32 vcc, s22, v12
	v_mov_b32_e32 v17, 0x7f800001
	s_and_saveexec_b64 s[22:23], vcc
	s_cbranch_execz .LBB507_728
; %bb.727:
	v_and_b32_e32 v17, 7, v10
	v_ffbh_u32_e32 v20, v17
	v_min_u32_e32 v22, 32, v20
	v_subrev_u32_e32 v20, 28, v22
	v_lshlrev_b64 v[20:21], v20, v[10:11]
	v_and_b32_e32 v20, 7, v20
	v_cmp_gt_u32_e32 vcc, 8, v12
	v_lshrrev_b32_e32 v19, 3, v12
	v_sub_u32_e32 v10, 29, v22
	v_cndmask_b32_e32 v12, v17, v20, vcc
	v_mov_b32_e32 v17, 24
	v_cndmask_b32_e32 v10, v19, v10, vcc
	v_lshlrev_b32_sdwa v17, v17, v7 dst_sel:DWORD dst_unused:UNUSED_PAD src0_sel:DWORD src1_sel:WORD_1
	v_bfrev_b32_e32 v19, 60
	v_lshlrev_b32_e32 v12, 20, v12
	v_and_b32_e32 v17, 0x80000000, v17
	v_lshl_add_u32 v10, v10, 23, v19
	v_or3_b32 v17, v17, v10, v12
.LBB507_728:
	s_or_b64 exec, exec, s[22:23]
.LBB507_729:
	s_or_b64 exec, exec, s[20:21]
.LBB507_730:
	s_or_b64 exec, exec, s[10:11]
	s_mov_b32 s10, -1
	s_mov_b32 s11, 0xffffff
	v_cmp_lt_u64_e32 vcc, s[10:11], v[6:7]
	v_mov_b32_e32 v12, 0
	v_mov_b32_e32 v10, 0
	s_and_saveexec_b64 s[10:11], vcc
	s_cbranch_execz .LBB507_736
; %bb.731:
	v_lshrrev_b32_e32 v6, 24, v7
	s_movk_i32 s20, 0x80
	v_cmp_ne_u32_e32 vcc, s20, v6
	v_bfrev_b32_e32 v10, 1
	s_and_saveexec_b64 s[20:21], vcc
	s_cbranch_execz .LBB507_735
; %bb.732:
	v_bfe_u32 v7, v7, 24, 7
	s_movk_i32 s22, 0x7f
	v_cmp_ne_u32_e32 vcc, s22, v7
	v_mov_b32_e32 v10, 0x7f800001
	s_and_saveexec_b64 s[22:23], vcc
	s_cbranch_execz .LBB507_734
; %bb.733:
	v_and_b32_e32 v10, 7, v6
	v_ffbh_u32_e32 v20, v10
	v_min_u32_e32 v22, 32, v20
	v_subrev_u32_e32 v20, 28, v22
	v_lshlrev_b64 v[20:21], v20, v[6:7]
	v_lshrrev_b32_e32 v19, 3, v7
	v_sub_u32_e32 v21, 29, v22
	v_and_b32_e32 v20, 7, v20
	v_cmp_gt_u32_e32 vcc, 8, v7
	v_cndmask_b32_e32 v7, v19, v21, vcc
	v_cndmask_b32_e32 v10, v10, v20, vcc
	v_lshlrev_b32_e32 v6, 24, v6
	v_bfrev_b32_e32 v19, 60
	v_lshlrev_b32_e32 v10, 20, v10
	v_and_b32_e32 v6, 0x80000000, v6
	v_lshl_add_u32 v7, v7, 23, v19
	v_or3_b32 v10, v6, v7, v10
.LBB507_734:
	s_or_b64 exec, exec, s[22:23]
.LBB507_735:
	s_or_b64 exec, exec, s[20:21]
.LBB507_736:
	s_or_b64 exec, exec, s[10:11]
	v_cvt_pkrtz_f16_f32 v6, v14, v15
	v_cvt_pkrtz_f16_f32 v7, v13, v16
	;; [unrolled: 1-line block ×4, first 2 shown]
	v_mfma_f32_4x4x4f16 a[0:3], v[2:3], v[6:7], a[0:3] cbsz:4 abid:14
	v_cmp_ne_u16_sdwa s[20:21], v8, v12 src0_sel:BYTE_0 src1_sel:DWORD
	v_mfma_f32_4x4x4f16 a[0:3], v[4:5], v[14:15], a[0:3] cbsz:4 abid:14
	s_and_saveexec_b64 s[10:11], s[20:21]
	s_cbranch_execz .LBB507_742
; %bb.737:
	s_movk_i32 s20, 0x80
	v_cmp_ne_u16_sdwa s[22:23], v8, s20 src0_sel:BYTE_0 src1_sel:DWORD
	v_bfrev_b32_e32 v12, 1
	s_and_saveexec_b64 s[20:21], s[22:23]
	s_cbranch_execz .LBB507_741
; %bb.738:
	s_movk_i32 s22, 0x7f
	v_and_b32_e32 v6, 0x7f, v8
	v_cmp_ne_u32_e32 vcc, s22, v6
	v_mov_b32_e32 v12, 0x7f800001
	s_and_saveexec_b64 s[22:23], vcc
	s_cbranch_execz .LBB507_740
; %bb.739:
	v_and_b32_e32 v7, 7, v8
	v_ffbh_u32_e32 v7, v7
	v_min_u32_e32 v7, 32, v7
	v_subrev_u32_e32 v11, 28, v7
	v_cmp_gt_u32_e32 vcc, 8, v6
	v_lshrrev_b32_e32 v10, 3, v6
	v_sub_u32_e32 v7, 29, v7
	v_cndmask_b32_e32 v6, 0, v11, vcc
	v_cndmask_b32_e32 v10, v10, v7, vcc
	v_lshlrev_b64 v[6:7], v6, v[8:9]
	v_lshlrev_b32_e32 v6, 20, v6
	v_lshlrev_b32_e32 v7, 24, v8
	v_bfrev_b32_e32 v11, 60
	v_and_b32_e32 v6, 0x700000, v6
	v_and_b32_e32 v7, 0x80000000, v7
	v_lshl_add_u32 v10, v10, 23, v11
	v_or3_b32 v12, v7, v10, v6
.LBB507_740:
	s_or_b64 exec, exec, s[22:23]
.LBB507_741:
	s_or_b64 exec, exec, s[20:21]
.LBB507_742:
	s_or_b64 exec, exec, s[10:11]
	v_lshrrev_b16_e32 v6, 8, v8
	v_cmp_ne_u16_e32 vcc, 0, v6
	v_mov_b32_e32 v11, 0
	v_mov_b32_e32 v13, 0
	s_and_saveexec_b64 s[10:11], vcc
	s_cbranch_execz .LBB507_748
; %bb.743:
	s_movk_i32 s20, 0x80
	v_cmp_ne_u16_e32 vcc, s20, v6
	v_bfrev_b32_e32 v13, 1
	s_and_saveexec_b64 s[20:21], vcc
	s_cbranch_execz .LBB507_747
; %bb.744:
	s_movk_i32 s22, 0x7f
	v_and_b32_e32 v7, 0x7f, v6
	v_cmp_ne_u32_e32 vcc, s22, v7
	v_mov_b32_e32 v13, 0x7f800001
	s_and_saveexec_b64 s[22:23], vcc
	s_cbranch_execz .LBB507_746
; %bb.745:
	v_and_b32_e32 v10, 7, v6
	v_ffbh_u32_e32 v14, v10
	v_min_u32_e32 v16, 32, v14
	v_subrev_u32_e32 v14, 28, v16
	v_lshlrev_b64 v[14:15], v14, v[6:7]
	v_lshrrev_b32_e32 v13, 3, v7
	v_sub_u32_e32 v6, 29, v16
	v_and_b32_e32 v14, 7, v14
	v_cmp_gt_u32_e32 vcc, 8, v7
	v_cndmask_b32_e32 v6, v13, v6, vcc
	v_cndmask_b32_e32 v7, v10, v14, vcc
	v_lshlrev_b32_e32 v10, 16, v8
	v_bfrev_b32_e32 v13, 60
	v_lshlrev_b32_e32 v7, 20, v7
	v_and_b32_e32 v10, 0x80000000, v10
	v_lshl_add_u32 v6, v6, 23, v13
	v_or3_b32 v13, v10, v6, v7
.LBB507_746:
	s_or_b64 exec, exec, s[22:23]
.LBB507_747:
	s_or_b64 exec, exec, s[20:21]
.LBB507_748:
	s_or_b64 exec, exec, s[10:11]
	s_movk_i32 s10, 0xff
	v_and_b32_sdwa v7, v8, s10 dst_sel:DWORD dst_unused:UNUSED_PAD src0_sel:WORD_1 src1_sel:DWORD
	v_lshrrev_b32_e32 v6, 16, v8
	v_cmp_ne_u16_e32 vcc, 0, v7
	s_and_saveexec_b64 s[10:11], vcc
	s_cbranch_execz .LBB507_754
; %bb.749:
	s_movk_i32 s20, 0x80
	v_cmp_ne_u16_e32 vcc, s20, v7
	v_bfrev_b32_e32 v11, 1
	s_and_saveexec_b64 s[20:21], vcc
	s_cbranch_execz .LBB507_753
; %bb.750:
	v_bfe_u32 v7, v8, 16, 7
	s_movk_i32 s22, 0x7f
	v_cmp_ne_u32_e32 vcc, s22, v7
	v_mov_b32_e32 v11, 0x7f800001
	s_and_saveexec_b64 s[22:23], vcc
	s_cbranch_execz .LBB507_752
; %bb.751:
	v_and_b32_e32 v14, 7, v6
	v_ffbh_u32_e32 v10, v14
	v_min_u32_e32 v16, 32, v10
	v_subrev_u32_e32 v10, 28, v16
	v_lshlrev_b64 v[10:11], v10, v[6:7]
	v_and_b32_e32 v10, 7, v10
	v_cmp_gt_u32_e32 vcc, 8, v7
	v_lshrrev_b32_e32 v15, 3, v7
	v_sub_u32_e32 v6, 29, v16
	v_cndmask_b32_e32 v7, v14, v10, vcc
	v_mov_b32_e32 v10, 24
	v_cndmask_b32_e32 v6, v15, v6, vcc
	v_lshlrev_b32_sdwa v10, v10, v8 dst_sel:DWORD dst_unused:UNUSED_PAD src0_sel:DWORD src1_sel:WORD_1
	v_bfrev_b32_e32 v11, 60
	v_lshlrev_b32_e32 v7, 20, v7
	v_and_b32_e32 v10, 0x80000000, v10
	v_lshl_add_u32 v6, v6, 23, v11
	v_or3_b32 v11, v10, v6, v7
.LBB507_752:
	s_or_b64 exec, exec, s[22:23]
.LBB507_753:
	s_or_b64 exec, exec, s[20:21]
.LBB507_754:
	s_or_b64 exec, exec, s[10:11]
	s_mov_b32 s10, 0xffffff
	v_cmp_lt_u32_e32 vcc, s10, v8
	v_mov_b32_e32 v7, 0
	v_mov_b32_e32 v14, 0
	s_and_saveexec_b64 s[10:11], vcc
	s_cbranch_execz .LBB507_760
; %bb.755:
	v_lshrrev_b32_e32 v6, 24, v8
	s_movk_i32 s20, 0x80
	v_cmp_ne_u32_e32 vcc, s20, v6
	v_bfrev_b32_e32 v14, 1
	s_and_saveexec_b64 s[20:21], vcc
	s_cbranch_execz .LBB507_759
; %bb.756:
	v_bfe_u32 v10, v8, 24, 7
	s_movk_i32 s22, 0x7f
	v_cmp_ne_u32_e32 vcc, s22, v10
	v_mov_b32_e32 v14, 0x7f800001
	s_and_saveexec_b64 s[22:23], vcc
	s_cbranch_execz .LBB507_758
; %bb.757:
	v_and_b32_e32 v16, 7, v6
	v_ffbh_u32_e32 v14, v16
	v_min_u32_e32 v18, 32, v14
	v_subrev_u32_e32 v14, 28, v18
	v_lshlrev_b64 v[14:15], v14, v[6:7]
	v_lshrrev_b32_e32 v17, 3, v10
	v_sub_u32_e32 v15, 29, v18
	v_and_b32_e32 v14, 7, v14
	v_cmp_gt_u32_e32 vcc, 8, v10
	v_cndmask_b32_e32 v10, v17, v15, vcc
	v_cndmask_b32_e32 v14, v16, v14, vcc
	v_lshlrev_b32_e32 v6, 24, v6
	v_bfrev_b32_e32 v15, 60
	v_lshlrev_b32_e32 v14, 20, v14
	v_and_b32_e32 v6, 0x80000000, v6
	v_lshl_add_u32 v10, v10, 23, v15
	v_or3_b32 v14, v6, v10, v14
.LBB507_758:
	s_or_b64 exec, exec, s[22:23]
.LBB507_759:
	s_or_b64 exec, exec, s[20:21]
.LBB507_760:
	s_or_b64 exec, exec, s[10:11]
	v_mov_b32_e32 v6, v9
	v_cmp_ne_u16_sdwa s[20:21], v9, v7 src0_sel:BYTE_0 src1_sel:DWORD
	s_and_saveexec_b64 s[10:11], s[20:21]
	s_cbranch_execz .LBB507_766
; %bb.761:
	s_movk_i32 s20, 0x80
	v_cmp_ne_u16_sdwa s[22:23], v9, s20 src0_sel:BYTE_0 src1_sel:DWORD
	v_bfrev_b32_e32 v10, 1
	s_and_saveexec_b64 s[20:21], s[22:23]
	s_cbranch_execz .LBB507_765
; %bb.762:
	s_movk_i32 s22, 0x7f
	v_and_b32_e32 v15, 0x7f, v9
	v_cmp_ne_u32_e32 vcc, s22, v15
	v_mov_b32_e32 v10, 0x7f800001
	s_and_saveexec_b64 s[22:23], vcc
	s_cbranch_execz .LBB507_764
; %bb.763:
	v_and_b32_e32 v10, 7, v9
	v_ffbh_u32_e32 v10, v10
	v_min_u32_e32 v10, 32, v10
	v_subrev_u32_e32 v17, 28, v10
	v_cmp_gt_u32_e32 vcc, 8, v15
	v_lshrrev_b32_e32 v16, 3, v15
	v_sub_u32_e32 v10, 29, v10
	v_cndmask_b32_e32 v15, 0, v17, vcc
	v_cndmask_b32_e32 v10, v16, v10, vcc
	v_lshlrev_b64 v[16:17], v15, v[6:7]
	v_lshlrev_b32_e32 v7, 20, v16
	v_lshlrev_b32_e32 v15, 24, v6
	v_bfrev_b32_e32 v16, 60
	v_and_b32_e32 v7, 0x700000, v7
	v_and_b32_e32 v15, 0x80000000, v15
	v_lshl_add_u32 v10, v10, 23, v16
	v_or3_b32 v10, v15, v10, v7
.LBB507_764:
	s_or_b64 exec, exec, s[22:23]
.LBB507_765:
	s_or_b64 exec, exec, s[20:21]
	v_mov_b32_e32 v7, v10
.LBB507_766:
	s_or_b64 exec, exec, s[10:11]
	v_lshrrev_b16_e32 v10, 8, v6
	v_cmp_ne_u16_e32 vcc, 0, v10
	v_mov_b32_e32 v15, 0
	v_mov_b32_e32 v16, 0
	s_and_saveexec_b64 s[10:11], vcc
	s_cbranch_execz .LBB507_772
; %bb.767:
	s_movk_i32 s20, 0x80
	v_cmp_ne_u16_e32 vcc, s20, v10
	v_bfrev_b32_e32 v16, 1
	s_and_saveexec_b64 s[20:21], vcc
	s_cbranch_execz .LBB507_771
; %bb.768:
	s_movk_i32 s22, 0x7f
	v_and_b32_e32 v17, 0x7f, v10
	v_cmp_ne_u32_e32 vcc, s22, v17
	v_mov_b32_e32 v16, 0x7f800001
	s_and_saveexec_b64 s[22:23], vcc
	s_cbranch_execz .LBB507_770
; %bb.769:
	v_and_b32_e32 v16, 7, v10
	v_ffbh_u32_e32 v18, v16
	v_min_u32_e32 v21, 32, v18
	v_subrev_u32_e32 v18, 28, v21
	v_lshlrev_b64 v[18:19], v18, v[10:11]
	v_lshrrev_b32_e32 v20, 3, v17
	v_sub_u32_e32 v10, 29, v21
	v_and_b32_e32 v18, 7, v18
	v_cmp_gt_u32_e32 vcc, 8, v17
	v_cndmask_b32_e32 v10, v20, v10, vcc
	v_cndmask_b32_e32 v16, v16, v18, vcc
	v_lshlrev_b32_e32 v6, 16, v6
	v_bfrev_b32_e32 v17, 60
	v_lshlrev_b32_e32 v16, 20, v16
	v_and_b32_e32 v6, 0x80000000, v6
	v_lshl_add_u32 v10, v10, 23, v17
	v_or3_b32 v16, v6, v10, v16
.LBB507_770:
	s_or_b64 exec, exec, s[22:23]
.LBB507_771:
	s_or_b64 exec, exec, s[20:21]
.LBB507_772:
	s_or_b64 exec, exec, s[10:11]
	s_movk_i32 s10, 0xff
	v_and_b32_sdwa v10, v9, s10 dst_sel:DWORD dst_unused:UNUSED_PAD src0_sel:WORD_1 src1_sel:DWORD
	v_lshrrev_b32_e32 v6, 16, v9
	v_cmp_ne_u16_e32 vcc, 0, v10
	s_and_saveexec_b64 s[10:11], vcc
	s_cbranch_execz .LBB507_778
; %bb.773:
	s_movk_i32 s20, 0x80
	v_cmp_ne_u16_e32 vcc, s20, v10
	v_bfrev_b32_e32 v15, 1
	s_and_saveexec_b64 s[20:21], vcc
	s_cbranch_execz .LBB507_777
; %bb.774:
	v_bfe_u32 v10, v9, 16, 7
	s_movk_i32 s22, 0x7f
	v_cmp_ne_u32_e32 vcc, s22, v10
	v_mov_b32_e32 v15, 0x7f800001
	s_and_saveexec_b64 s[22:23], vcc
	s_cbranch_execz .LBB507_776
; %bb.775:
	v_and_b32_e32 v15, 7, v6
	v_ffbh_u32_e32 v18, v15
	v_min_u32_e32 v20, 32, v18
	v_subrev_u32_e32 v18, 28, v20
	v_lshlrev_b64 v[18:19], v18, v[6:7]
	v_and_b32_e32 v18, 7, v18
	v_cmp_gt_u32_e32 vcc, 8, v10
	v_lshrrev_b32_e32 v17, 3, v10
	v_sub_u32_e32 v6, 29, v20
	v_cndmask_b32_e32 v10, v15, v18, vcc
	v_mov_b32_e32 v15, 24
	v_cndmask_b32_e32 v6, v17, v6, vcc
	v_lshlrev_b32_sdwa v15, v15, v9 dst_sel:DWORD dst_unused:UNUSED_PAD src0_sel:DWORD src1_sel:WORD_1
	v_bfrev_b32_e32 v17, 60
	v_lshlrev_b32_e32 v10, 20, v10
	v_and_b32_e32 v15, 0x80000000, v15
	v_lshl_add_u32 v6, v6, 23, v17
	v_or3_b32 v15, v15, v6, v10
.LBB507_776:
	s_or_b64 exec, exec, s[22:23]
.LBB507_777:
	s_or_b64 exec, exec, s[20:21]
.LBB507_778:
	s_or_b64 exec, exec, s[10:11]
	s_mov_b32 s10, -1
	s_mov_b32 s11, 0xffffff
	v_cmp_lt_u64_e32 vcc, s[10:11], v[8:9]
	v_mov_b32_e32 v8, 0
	s_and_saveexec_b64 s[10:11], vcc
	s_cbranch_execz .LBB507_784
; %bb.779:
	v_lshrrev_b32_e32 v6, 24, v9
	s_movk_i32 s20, 0x80
	v_cmp_ne_u32_e32 vcc, s20, v6
	v_bfrev_b32_e32 v8, 1
	s_and_saveexec_b64 s[20:21], vcc
	s_cbranch_execz .LBB507_783
; %bb.780:
	v_bfe_u32 v9, v9, 24, 7
	s_movk_i32 s22, 0x7f
	v_cmp_ne_u32_e32 vcc, s22, v9
	v_mov_b32_e32 v8, 0x7f800001
	s_and_saveexec_b64 s[22:23], vcc
	s_cbranch_execz .LBB507_782
; %bb.781:
	v_and_b32_e32 v8, 7, v6
	v_ffbh_u32_e32 v17, v8
	v_min_u32_e32 v17, 32, v17
	v_subrev_u32_e32 v18, 28, v17
	v_lshlrev_b64 v[18:19], v18, v[6:7]
	v_lshrrev_b32_e32 v10, 3, v9
	v_sub_u32_e32 v17, 29, v17
	v_and_b32_e32 v18, 7, v18
	v_cmp_gt_u32_e32 vcc, 8, v9
	v_cndmask_b32_e32 v9, v10, v17, vcc
	v_cndmask_b32_e32 v8, v8, v18, vcc
	v_lshlrev_b32_e32 v6, 24, v6
	v_bfrev_b32_e32 v10, 60
	v_lshlrev_b32_e32 v8, 20, v8
	v_and_b32_e32 v6, 0x80000000, v6
	v_lshl_add_u32 v9, v9, 23, v10
	v_or3_b32 v8, v6, v9, v8
.LBB507_782:
	s_or_b64 exec, exec, s[22:23]
.LBB507_783:
	s_or_b64 exec, exec, s[20:21]
.LBB507_784:
	s_or_b64 exec, exec, s[10:11]
	s_load_dword s4, s[4:5], 0x1c
	v_cvt_pkrtz_f16_f32 v10, v12, v13
	v_cvt_pkrtz_f16_f32 v11, v11, v14
	s_load_dword s5, s[12:13], 0x0
	v_cvt_pkrtz_f16_f32 v6, v7, v16
	v_mfma_f32_4x4x4f16 a[0:3], v[2:3], v[10:11], a[0:3] cbsz:4 abid:15
	v_cvt_pkrtz_f16_f32 v7, v15, v8
	s_waitcnt lgkmcnt(0)
	v_mov_b32_e32 v2, s4
	v_cmp_eq_u32_e32 vcc, 0, v43
	v_mfma_f32_4x4x4f16 a[0:3], v[4:5], v[6:7], a[0:3] cbsz:4 abid:15
	v_mul_f32_e32 v4, s5, v2
	v_mov_b32_e32 v9, 0xff7fffff
	s_nop 2
	v_accvgpr_read_b32 v7, a1
	v_accvgpr_read_b32 v6, a0
	v_pk_mul_f32 v[6:7], v[6:7], v[4:5] op_sel_hi:[1,0]
	v_accvgpr_read_b32 v3, a3
	v_accvgpr_read_b32 v2, a2
	v_pk_mul_f32 v[2:3], v[2:3], v[4:5] op_sel_hi:[1,0]
	v_cndmask_b32_e64 v4, 0, 1.0, vcc
	v_cmp_eq_u32_e32 vcc, 1, v43
	s_nop 0
	v_mfma_f32_4x4x1f32 a[0:3], v6, v4, 0
	v_cndmask_b32_e64 v4, 0, 1.0, vcc
	v_cmp_eq_u32_e32 vcc, 2, v43
	s_nop 0
	v_mfma_f32_4x4x1f32 a[0:3], v7, v4, a[0:3]
	;; [unrolled: 4-line block ×3, first 2 shown]
	v_cndmask_b32_e64 v2, 0, 1.0, vcc
	s_nop 1
	v_mfma_f32_4x4x1f32 a[0:3], v3, v2, a[0:3]
	v_and_b32_e32 v2, -4, v44
	v_subrev_u32_e32 v3, s9, v2
	v_add_u32_e32 v4, 1, v3
	v_cvt_f32_i32_e32 v4, v4
	v_add_u32_e32 v5, 2, v3
	v_cvt_f32_i32_e32 v5, v5
	v_accvgpr_read_b32 v6, a0
	v_fma_f32 v4, v45, v4, v6
	v_accvgpr_read_b32 v6, a1
	v_fma_f32 v5, v45, v5, v6
	v_add_u32_e32 v6, 3, v3
	v_cvt_f32_i32_e32 v6, v6
	v_accvgpr_read_b32 v7, a2
	v_add_u32_e32 v3, 4, v3
	v_cmp_gt_i32_e32 vcc, s9, v2
	v_fma_f32 v7, v45, v6, v7
	v_max_f32_e32 v6, 0xff7fffff, v4
	v_cvt_f32_i32_e32 v3, v3
	v_cndmask_b32_e32 v6, v9, v6, vcc
	v_or_b32_e32 v9, 1, v2
	v_max_f32_e32 v10, v6, v5
	v_cmp_gt_i32_e64 s[4:5], s9, v9
	v_cndmask_b32_e64 v6, v6, v10, s[4:5]
	v_or_b32_e32 v2, 2, v2
	v_accvgpr_read_b32 v8, a3
	v_max_f32_e32 v9, v6, v7
	v_cmp_gt_i32_e64 s[10:11], s9, v2
	v_fmac_f32_e32 v8, v45, v3
	v_cndmask_b32_e64 v2, v6, v9, s[10:11]
	v_or_b32_e32 v6, 3, v44
	v_max_f32_e32 v9, v2, v8
	v_cmp_gt_i32_e64 s[12:13], s9, v6
	v_lshlrev_b32_e32 v3, 2, v0
	v_cndmask_b32_e64 v2, v2, v9, s[12:13]
	v_and_or_b32 v3, v3, 48, v43
	;;#ASMSTART
	v_nop
 v_nop
 v_max_f32_dpp v2, v2, v2 row_ror:4
	;;#ASMEND
	v_lshlrev_b32_e32 v9, 2, v3
	;;#ASMSTART
	v_nop
 v_nop
 v_max_f32_dpp v2, v2, v2 row_ror:8
	;;#ASMEND
	ds_bpermute_b32 v2, v9, v2
	s_waitcnt lgkmcnt(0)
	;;#ASMSTART
	v_nop
 v_nop
 v_max_f32_dpp v2, v2, v2 row_ror:4
	;;#ASMEND
	;;#ASMSTART
	v_nop
 v_nop
 v_max_f32_dpp v6, v2, v2 row_ror:8
	;;#ASMEND
	v_sub_f32_e32 v2, v4, v6
	v_mul_f32_e32 v2, 0x3fb8aa3b, v2
	v_sub_f32_e32 v3, v5, v6
	v_exp_f32_e32 v2, v2
	v_mul_f32_e32 v3, 0x3fb8aa3b, v3
	v_sub_f32_e32 v5, v7, v6
	v_exp_f32_e32 v3, v3
	;; [unrolled: 3-line block ×3, first 2 shown]
	v_mul_f32_e32 v7, 0x3fb8aa3b, v7
	v_exp_f32_e32 v7, v7
	v_cndmask_b32_e32 v2, 0, v2, vcc
	v_add_f32_e32 v4, 0, v2
	v_cndmask_b32_e64 v3, 0, v3, s[4:5]
	v_add_f32_e32 v8, v4, v3
	v_cndmask_b32_e64 v4, 0, v5, s[10:11]
	;; [unrolled: 2-line block ×3, first 2 shown]
	v_add_f32_e32 v7, v8, v5
	;;#ASMSTART
	v_nop
 v_nop
 v_add_f32_dpp v7, v7, v7 row_ror:4
	;;#ASMEND
	;;#ASMSTART
	v_nop
 v_nop
 v_add_f32_dpp v7, v7, v7 row_ror:8
	;;#ASMEND
	ds_bpermute_b32 v7, v9, v7
	s_waitcnt lgkmcnt(0)
	;;#ASMSTART
	v_nop
 v_nop
 v_add_f32_dpp v7, v7, v7 row_ror:4
	;;#ASMEND
	v_cmp_gt_u32_e32 vcc, 4, v1
	;;#ASMSTART
	v_nop
 v_nop
 v_add_f32_dpp v7, v7, v7 row_ror:8
	;;#ASMEND
	s_and_saveexec_b64 s[4:5], vcc
	s_cbranch_execz .LBB507_786
; %bb.785:
	v_mul_u32_u24_e32 v8, 20, v42
	v_lshl_add_u32 v8, v43, 2, v8
	v_add_u32_e32 v8, 0x1400, v8
	ds_write2_b32 v8, v6, v7 offset1:20
.LBB507_786:
	s_or_b64 exec, exec, s[4:5]
.LBB507_787:
	s_or_b64 exec, exec, s[30:31]
	s_waitcnt lgkmcnt(0)
	s_barrier
	s_load_dword s4, s[28:29], 0x8
	v_lshlrev_b32_e32 v7, 2, v43
	v_add_u32_e32 v7, 0x1400, v7
	ds_read2_b32 v[10:11], v7 offset1:5
	ds_read2_b32 v[12:13], v7 offset0:10 offset1:15
	s_mul_i32 s5, s8, s33
	s_waitcnt lgkmcnt(0)
	s_mul_i32 s5, s5, s4
	s_lshl_b32 s4, s5, 1
	s_mov_b32 s5, 0xff7fffff
	v_max3_f32 v8, v10, s5, v11
	v_max3_f32 v8, v8, v12, v13
	v_sub_f32_e32 v9, v10, v8
	v_sub_f32_e32 v10, v11, v8
	ds_read2_b32 v[14:15], v7 offset0:20 offset1:25
	v_mul_f32_e32 v9, 0x3fb8aa3b, v9
	v_mul_f32_e32 v10, 0x3fb8aa3b, v10
	v_exp_f32_e32 v9, v9
	v_exp_f32_e32 v16, v10
	ds_read2_b32 v[10:11], v7 offset0:30 offset1:35
	v_sub_f32_e32 v7, v12, v8
	v_mul_f32_e32 v7, 0x3fb8aa3b, v7
	v_sub_f32_e32 v12, v13, v8
	v_exp_f32_e32 v7, v7
	v_mul_f32_e32 v12, 0x3fb8aa3b, v12
	v_exp_f32_e32 v12, v12
	s_waitcnt lgkmcnt(1)
	v_fma_f32 v9, v9, v14, 0
	v_fmac_f32_e32 v9, v16, v15
	s_waitcnt lgkmcnt(0)
	v_fmac_f32_e32 v9, v7, v10
	v_fmac_f32_e32 v9, v12, v11
	v_cmp_gt_u32_e32 vcc, 2, v43
	s_and_saveexec_b64 s[8:9], vcc
	s_cbranch_execz .LBB507_789
; %bb.788:
	s_mov_b32 s5, 0
	s_lshl_b64 s[10:11], s[4:5], 2
	s_add_u32 s16, s16, s10
	s_mov_b32 s25, s5
	s_addc_u32 s17, s17, s11
	s_lshl_b64 s[12:13], s[24:25], 2
	s_add_u32 s5, s16, s12
	s_addc_u32 s16, s17, s13
	v_or_b32_e32 v7, s42, v43
	s_add_u32 s10, s18, s10
	v_mul_lo_u32 v10, s33, v7
	v_mov_b32_e32 v11, 0
	s_addc_u32 s11, s19, s11
	v_lshlrev_b64 v[10:11], 2, v[10:11]
	s_add_u32 s10, s10, s12
	v_mov_b32_e32 v7, s16
	v_add_co_u32_e32 v12, vcc, s5, v10
	s_addc_u32 s11, s11, s13
	v_addc_co_u32_e32 v13, vcc, v7, v11, vcc
	v_mov_b32_e32 v7, s11
	v_add_co_u32_e32 v10, vcc, s10, v10
	v_addc_co_u32_e32 v11, vcc, v7, v11, vcc
	global_store_dword v[10:11], v8, off
	global_store_dword v[12:13], v9, off
.LBB507_789:
	s_or_b64 exec, exec, s[8:9]
	v_lshlrev_b32_e32 v7, 3, v42
	s_and_saveexec_b64 s[8:9], s[6:7]
	s_xor_b64 s[6:7], exec, s[8:9]
	s_cbranch_execz .LBB507_791
; %bb.790:
	s_mov_b32 s8, 0
	s_mov_b32 s9, s8
	v_mad_u32_u24 v4, v1, 40, v7
	v_pk_mov_b32 v[2:3], s[8:9], s[8:9] op_sel:[0,1]
	ds_write2st64_b64 v4, v[2:3], v[2:3] offset1:5
                                        ; implicit-def: $vgpr7
                                        ; implicit-def: $vgpr6
                                        ; implicit-def: $vgpr8
                                        ; implicit-def: $vgpr9
                                        ; implicit-def: $vgpr4
                                        ; implicit-def: $vgpr2
.LBB507_791:
	s_andn2_saveexec_b64 s[6:7], s[6:7]
	s_cbranch_execz .LBB507_1178
; %bb.792:
	v_add_f32_e32 v9, 0x358637bd, v9
	v_div_scale_f32 v10, s[8:9], v9, v9, 1.0
	v_rcp_f32_e32 v11, v10
	v_sub_f32_e32 v6, v6, v8
	v_mul_f32_e32 v6, 0x3fb8aa3b, v6
	v_exp_f32_e32 v6, v6
	v_fma_f32 v8, -v10, v11, 1.0
	v_fmac_f32_e32 v11, v8, v11
	v_div_scale_f32 v8, vcc, 1.0, v9, 1.0
	v_mul_f32_e32 v12, v8, v11
	v_fma_f32 v13, -v10, v12, v8
	v_fmac_f32_e32 v12, v13, v11
	v_fma_f32 v8, -v10, v12, v8
	v_div_fmas_f32 v8, v8, v11, v12
	v_div_fixup_f32 v8, v8, v9, 1.0
	v_mul_f32_e32 v6, v6, v8
	v_pk_mul_f32 v[4:5], v[4:5], v[6:7] op_sel_hi:[1,0]
	v_pk_mul_f32 v[2:3], v[2:3], v[6:7] op_sel_hi:[1,0]
	s_load_dword s8, s[14:15], 0x0
	v_cvt_f16_f32_e32 v2, v2
	v_cvt_f16_f32_e32 v3, v3
	;; [unrolled: 1-line block ×4, first 2 shown]
	v_mov_b32_e32 v11, 0
	v_add_u32_e32 v5, 64, v11
	v_pack_b32_f16 v2, v2, v3
	v_pack_b32_f16 v3, v4, v6
	s_waitcnt lgkmcnt(0)
	s_mov_b32 s9, s8
	s_mov_b32 s10, s8
	;; [unrolled: 1-line block ×4, first 2 shown]
	s_mov_b64 s[12:13], -1
	s_movk_i32 s5, 0x80
	s_movk_i32 s21, 0x7f
	s_mov_b32 s22, 0xffffff
	v_mov_b32_e32 v9, 0
	v_bfrev_b32_e32 v10, 60
	s_branch .LBB507_796
.LBB507_793:                            ;   in Loop: Header=BB507_796 Depth=1
	s_or_b64 exec, exec, s[18:19]
.LBB507_794:                            ;   in Loop: Header=BB507_796 Depth=1
	s_or_b64 exec, exec, s[16:17]
.LBB507_795:                            ;   in Loop: Header=BB507_796 Depth=1
	s_or_b64 exec, exec, s[14:15]
	v_cvt_pkrtz_f16_f32 v12, v13, v12
	v_cvt_pkrtz_f16_f32 v13, v11, v15
	;; [unrolled: 1-line block ×4, first 2 shown]
	v_mfma_f32_4x4x4f16 a[0:3], v[2:3], v[12:13], a[0:3] cbsz:4 abid:14
	s_mul_i32 s14, s20, 0xa00
	v_mfma_f32_4x4x4f16 a[0:3], v[2:3], v[14:15], a[0:3] cbsz:4 abid:15
	s_mov_b32 s20, 1
	s_nop 3
	v_accvgpr_read_b32 v15, a1
	v_accvgpr_read_b32 v14, a0
	v_pk_mul_f32 v[14:15], v[14:15], s[8:9]
	v_accvgpr_read_b32 v13, a3
	v_accvgpr_read_b32 v12, a2
	v_cvt_f16_f32_e32 v4, v14
	v_cvt_f16_f32_e32 v6, v15
	v_pk_mul_f32 v[12:13], v[12:13], s[10:11]
	v_cvt_f16_f32_e32 v8, v12
	v_cvt_f16_f32_e32 v11, v13
	v_pack_b32_f16 v12, v4, v6
	v_mul_u32_u24_e32 v4, 40, v1
	v_add3_u32 v4, s14, v4, v7
	s_xor_b64 s[14:15], s[12:13], -1
	v_pack_b32_f16 v13, v8, v11
	s_mov_b64 s[12:13], 0
	s_andn2_b64 vcc, exec, s[14:15]
	v_mov_b32_e32 v11, v5
	ds_write_b64 v4, v[12:13]
	s_cbranch_vccz .LBB507_1178
.LBB507_796:                            ; =>This Inner Loop Header: Depth=1
	buffer_load_dword v6, v11, s[0:3], 0 offen
	buffer_load_dword v4, v11, s[0:3], 0 offen offset:4
	v_mov_b32_e32 v13, 0
	s_waitcnt vmcnt(1)
	v_cmp_ne_u16_sdwa s[16:17], v6, v9 src0_sel:BYTE_0 src1_sel:DWORD
	s_and_saveexec_b64 s[14:15], s[16:17]
	s_cbranch_execz .LBB507_802
; %bb.797:                              ;   in Loop: Header=BB507_796 Depth=1
	v_cmp_ne_u16_sdwa s[18:19], v6, s5 src0_sel:BYTE_0 src1_sel:DWORD
	v_bfrev_b32_e32 v13, 1
	s_and_saveexec_b64 s[16:17], s[18:19]
	s_cbranch_execz .LBB507_801
; %bb.798:                              ;   in Loop: Header=BB507_796 Depth=1
	v_and_b32_e32 v8, 0x7f, v6
	v_cmp_ne_u32_e32 vcc, s21, v8
	v_mov_b32_e32 v13, 0x7f800001
	s_and_saveexec_b64 s[18:19], vcc
	s_cbranch_execz .LBB507_800
; %bb.799:                              ;   in Loop: Header=BB507_796 Depth=1
	v_and_b32_e32 v14, 7, v6
	v_ffbh_u32_e32 v12, v14
	v_min_u32_e32 v16, 32, v12
	v_subrev_u32_e32 v12, 28, v16
	v_lshlrev_b64 v[12:13], v12, v[6:7]
	v_lshrrev_b32_e32 v15, 3, v8
	v_sub_u32_e32 v13, 29, v16
	v_and_b32_e32 v12, 7, v12
	v_cmp_gt_u32_e32 vcc, 8, v8
	v_cndmask_b32_e32 v8, v15, v13, vcc
	v_cndmask_b32_e32 v12, v14, v12, vcc
	v_lshlrev_b32_e32 v13, 24, v6
	v_lshlrev_b32_e32 v12, 20, v12
	v_and_b32_e32 v13, 0x80000000, v13
	v_lshl_add_u32 v8, v8, 23, v10
	v_or3_b32 v13, v13, v8, v12
.LBB507_800:                            ;   in Loop: Header=BB507_796 Depth=1
	s_or_b64 exec, exec, s[18:19]
.LBB507_801:                            ;   in Loop: Header=BB507_796 Depth=1
	s_or_b64 exec, exec, s[16:17]
.LBB507_802:                            ;   in Loop: Header=BB507_796 Depth=1
	s_or_b64 exec, exec, s[14:15]
	v_lshrrev_b16_e32 v8, 8, v6
	v_cmp_ne_u16_e32 vcc, 0, v8
	v_mov_b32_e32 v14, 0
	v_mov_b32_e32 v15, 0
	s_and_saveexec_b64 s[14:15], vcc
	s_cbranch_execz .LBB507_808
; %bb.803:                              ;   in Loop: Header=BB507_796 Depth=1
	v_cmp_ne_u16_e32 vcc, s5, v8
	v_bfrev_b32_e32 v15, 1
	s_and_saveexec_b64 s[16:17], vcc
	s_cbranch_execz .LBB507_807
; %bb.804:                              ;   in Loop: Header=BB507_796 Depth=1
	v_and_b32_e32 v12, 0x7f, v8
	v_cmp_ne_u32_e32 vcc, s21, v12
	v_mov_b32_e32 v15, 0x7f800001
	s_and_saveexec_b64 s[18:19], vcc
	s_cbranch_execz .LBB507_806
; %bb.805:                              ;   in Loop: Header=BB507_796 Depth=1
	v_and_b32_e32 v15, 7, v8
	v_ffbh_u32_e32 v16, v15
	v_min_u32_e32 v19, 32, v16
	v_subrev_u32_e32 v16, 28, v19
	v_lshlrev_b64 v[16:17], v16, v[8:9]
	v_lshrrev_b32_e32 v18, 3, v12
	v_sub_u32_e32 v8, 29, v19
	v_and_b32_e32 v16, 7, v16
	v_cmp_gt_u32_e32 vcc, 8, v12
	v_cndmask_b32_e32 v8, v18, v8, vcc
	v_cndmask_b32_e32 v12, v15, v16, vcc
	v_lshlrev_b32_e32 v15, 16, v6
	v_lshlrev_b32_e32 v12, 20, v12
	v_and_b32_e32 v15, 0x80000000, v15
	v_lshl_add_u32 v8, v8, 23, v10
	v_or3_b32 v15, v15, v8, v12
.LBB507_806:                            ;   in Loop: Header=BB507_796 Depth=1
	s_or_b64 exec, exec, s[18:19]
.LBB507_807:                            ;   in Loop: Header=BB507_796 Depth=1
	s_or_b64 exec, exec, s[16:17]
.LBB507_808:                            ;   in Loop: Header=BB507_796 Depth=1
	s_or_b64 exec, exec, s[14:15]
	v_lshrrev_b32_e32 v8, 16, v6
	v_cmp_ne_u16_sdwa s[16:17], v8, v9 src0_sel:BYTE_0 src1_sel:DWORD
	s_and_saveexec_b64 s[14:15], s[16:17]
	s_cbranch_execz .LBB507_814
; %bb.809:                              ;   in Loop: Header=BB507_796 Depth=1
	v_cmp_ne_u16_sdwa s[18:19], v8, s5 src0_sel:BYTE_0 src1_sel:DWORD
	v_bfrev_b32_e32 v14, 1
	s_and_saveexec_b64 s[16:17], s[18:19]
	s_cbranch_execz .LBB507_813
; %bb.810:                              ;   in Loop: Header=BB507_796 Depth=1
	v_bfe_u32 v12, v6, 16, 7
	v_cmp_ne_u32_e32 vcc, s21, v12
	v_mov_b32_e32 v14, 0x7f800001
	s_and_saveexec_b64 s[18:19], vcc
	s_cbranch_execz .LBB507_812
; %bb.811:                              ;   in Loop: Header=BB507_796 Depth=1
	v_and_b32_e32 v14, 7, v8
	v_ffbh_u32_e32 v16, v14
	v_min_u32_e32 v19, 32, v16
	v_subrev_u32_e32 v16, 28, v19
	v_lshlrev_b64 v[16:17], v16, v[8:9]
	v_lshrrev_b32_e32 v18, 3, v12
	v_sub_u32_e32 v17, 29, v19
	v_and_b32_e32 v16, 7, v16
	v_cmp_gt_u32_e32 vcc, 8, v12
	v_cndmask_b32_e32 v12, v18, v17, vcc
	v_cndmask_b32_e32 v14, v14, v16, vcc
	v_lshlrev_b32_e32 v8, 24, v8
	v_lshlrev_b32_e32 v14, 20, v14
	v_and_b32_e32 v8, 0x80000000, v8
	v_lshl_add_u32 v12, v12, 23, v10
	v_or3_b32 v14, v8, v12, v14
.LBB507_812:                            ;   in Loop: Header=BB507_796 Depth=1
	s_or_b64 exec, exec, s[18:19]
.LBB507_813:                            ;   in Loop: Header=BB507_796 Depth=1
	s_or_b64 exec, exec, s[16:17]
.LBB507_814:                            ;   in Loop: Header=BB507_796 Depth=1
	s_or_b64 exec, exec, s[14:15]
	v_cmp_lt_u32_e32 vcc, s22, v6
	v_mov_b32_e32 v16, 0
	v_mov_b32_e32 v17, 0
	s_and_saveexec_b64 s[14:15], vcc
	s_cbranch_execz .LBB507_820
; %bb.815:                              ;   in Loop: Header=BB507_796 Depth=1
	v_lshrrev_b32_e32 v8, 24, v6
	v_cmp_ne_u32_e32 vcc, s5, v8
	v_bfrev_b32_e32 v17, 1
	s_and_saveexec_b64 s[16:17], vcc
	s_cbranch_execz .LBB507_819
; %bb.816:                              ;   in Loop: Header=BB507_796 Depth=1
	v_bfe_u32 v6, v6, 24, 7
	v_cmp_ne_u32_e32 vcc, s21, v6
	v_mov_b32_e32 v17, 0x7f800001
	s_and_saveexec_b64 s[18:19], vcc
	s_cbranch_execz .LBB507_818
; %bb.817:                              ;   in Loop: Header=BB507_796 Depth=1
	v_and_b32_e32 v12, 7, v8
	v_ffbh_u32_e32 v18, v12
	v_min_u32_e32 v20, 32, v18
	v_subrev_u32_e32 v18, 28, v20
	v_lshlrev_b64 v[18:19], v18, v[8:9]
	v_lshrrev_b32_e32 v17, 3, v6
	v_sub_u32_e32 v19, 29, v20
	v_and_b32_e32 v18, 7, v18
	v_cmp_gt_u32_e32 vcc, 8, v6
	v_cndmask_b32_e32 v6, v17, v19, vcc
	v_cndmask_b32_e32 v12, v12, v18, vcc
	v_lshlrev_b32_e32 v8, 24, v8
	v_lshlrev_b32_e32 v12, 20, v12
	v_and_b32_e32 v8, 0x80000000, v8
	v_lshl_add_u32 v6, v6, 23, v10
	v_or3_b32 v17, v8, v6, v12
.LBB507_818:                            ;   in Loop: Header=BB507_796 Depth=1
	s_or_b64 exec, exec, s[18:19]
.LBB507_819:                            ;   in Loop: Header=BB507_796 Depth=1
	s_or_b64 exec, exec, s[16:17]
.LBB507_820:                            ;   in Loop: Header=BB507_796 Depth=1
	s_or_b64 exec, exec, s[14:15]
	s_waitcnt vmcnt(0)
	v_cmp_ne_u16_sdwa s[16:17], v4, v9 src0_sel:BYTE_0 src1_sel:DWORD
	s_and_saveexec_b64 s[14:15], s[16:17]
	s_cbranch_execz .LBB507_826
; %bb.821:                              ;   in Loop: Header=BB507_796 Depth=1
	v_cmp_ne_u16_sdwa s[18:19], v4, s5 src0_sel:BYTE_0 src1_sel:DWORD
	v_bfrev_b32_e32 v16, 1
	s_and_saveexec_b64 s[16:17], s[18:19]
	s_cbranch_execz .LBB507_825
; %bb.822:                              ;   in Loop: Header=BB507_796 Depth=1
	v_and_b32_e32 v6, 0x7f, v4
	v_cmp_ne_u32_e32 vcc, s21, v6
	v_mov_b32_e32 v16, 0x7f800001
	s_and_saveexec_b64 s[18:19], vcc
	s_cbranch_execz .LBB507_824
; %bb.823:                              ;   in Loop: Header=BB507_796 Depth=1
	v_and_b32_e32 v8, 7, v4
	v_ffbh_u32_e32 v16, v8
	v_min_u32_e32 v16, 32, v16
	v_subrev_u32_e32 v18, 28, v16
	v_lshlrev_b64 v[18:19], v18, v[4:5]
	v_lshrrev_b32_e32 v12, 3, v6
	v_sub_u32_e32 v16, 29, v16
	v_and_b32_e32 v18, 7, v18
	v_cmp_gt_u32_e32 vcc, 8, v6
	v_cndmask_b32_e32 v6, v12, v16, vcc
	v_cndmask_b32_e32 v8, v8, v18, vcc
	v_lshlrev_b32_e32 v12, 24, v4
	v_lshlrev_b32_e32 v8, 20, v8
	v_and_b32_e32 v12, 0x80000000, v12
	v_lshl_add_u32 v6, v6, 23, v10
	v_or3_b32 v16, v12, v6, v8
.LBB507_824:                            ;   in Loop: Header=BB507_796 Depth=1
	s_or_b64 exec, exec, s[18:19]
.LBB507_825:                            ;   in Loop: Header=BB507_796 Depth=1
	s_or_b64 exec, exec, s[16:17]
.LBB507_826:                            ;   in Loop: Header=BB507_796 Depth=1
	s_or_b64 exec, exec, s[14:15]
	v_lshrrev_b16_e32 v6, 8, v4
	v_cmp_ne_u16_e32 vcc, 0, v6
	v_mov_b32_e32 v8, 0
	v_mov_b32_e32 v18, 0
	s_and_saveexec_b64 s[14:15], vcc
	s_cbranch_execz .LBB507_832
; %bb.827:                              ;   in Loop: Header=BB507_796 Depth=1
	v_cmp_ne_u16_e32 vcc, s5, v6
	v_bfrev_b32_e32 v18, 1
	s_and_saveexec_b64 s[16:17], vcc
	s_cbranch_execz .LBB507_831
; %bb.828:                              ;   in Loop: Header=BB507_796 Depth=1
	v_and_b32_e32 v12, 0x7f, v6
	v_cmp_ne_u32_e32 vcc, s21, v12
	v_mov_b32_e32 v18, 0x7f800001
	s_and_saveexec_b64 s[18:19], vcc
	s_cbranch_execz .LBB507_830
; %bb.829:                              ;   in Loop: Header=BB507_796 Depth=1
	v_and_b32_e32 v20, 7, v6
	v_ffbh_u32_e32 v18, v20
	v_min_u32_e32 v22, 32, v18
	v_subrev_u32_e32 v18, 28, v22
	v_lshlrev_b64 v[18:19], v18, v[6:7]
	v_lshrrev_b32_e32 v21, 3, v12
	v_sub_u32_e32 v6, 29, v22
	v_and_b32_e32 v18, 7, v18
	v_cmp_gt_u32_e32 vcc, 8, v12
	v_cndmask_b32_e32 v6, v21, v6, vcc
	v_cndmask_b32_e32 v12, v20, v18, vcc
	v_lshlrev_b32_e32 v18, 16, v4
	v_lshlrev_b32_e32 v12, 20, v12
	v_and_b32_e32 v18, 0x80000000, v18
	v_lshl_add_u32 v6, v6, 23, v10
	v_or3_b32 v18, v18, v6, v12
.LBB507_830:                            ;   in Loop: Header=BB507_796 Depth=1
	s_or_b64 exec, exec, s[18:19]
.LBB507_831:                            ;   in Loop: Header=BB507_796 Depth=1
	s_or_b64 exec, exec, s[16:17]
.LBB507_832:                            ;   in Loop: Header=BB507_796 Depth=1
	s_or_b64 exec, exec, s[14:15]
	v_lshrrev_b32_e32 v6, 16, v4
	v_cmp_ne_u16_sdwa s[16:17], v6, v9 src0_sel:BYTE_0 src1_sel:DWORD
	s_and_saveexec_b64 s[14:15], s[16:17]
	s_cbranch_execz .LBB507_838
; %bb.833:                              ;   in Loop: Header=BB507_796 Depth=1
	v_cmp_ne_u16_sdwa s[18:19], v6, s5 src0_sel:BYTE_0 src1_sel:DWORD
	v_bfrev_b32_e32 v8, 1
	s_and_saveexec_b64 s[16:17], s[18:19]
	s_cbranch_execz .LBB507_837
; %bb.834:                              ;   in Loop: Header=BB507_796 Depth=1
	v_bfe_u32 v12, v4, 16, 7
	v_cmp_ne_u32_e32 vcc, s21, v12
	v_mov_b32_e32 v8, 0x7f800001
	s_and_saveexec_b64 s[18:19], vcc
	s_cbranch_execz .LBB507_836
; %bb.835:                              ;   in Loop: Header=BB507_796 Depth=1
	v_and_b32_e32 v8, 7, v6
	v_ffbh_u32_e32 v20, v8
	v_min_u32_e32 v22, 32, v20
	v_subrev_u32_e32 v20, 28, v22
	v_lshlrev_b64 v[20:21], v20, v[6:7]
	v_lshrrev_b32_e32 v19, 3, v12
	v_sub_u32_e32 v21, 29, v22
	v_and_b32_e32 v20, 7, v20
	v_cmp_gt_u32_e32 vcc, 8, v12
	v_cndmask_b32_e32 v12, v19, v21, vcc
	v_cndmask_b32_e32 v8, v8, v20, vcc
	v_lshlrev_b32_e32 v6, 24, v6
	v_lshlrev_b32_e32 v8, 20, v8
	v_and_b32_e32 v6, 0x80000000, v6
	v_lshl_add_u32 v12, v12, 23, v10
	v_or3_b32 v8, v6, v12, v8
.LBB507_836:                            ;   in Loop: Header=BB507_796 Depth=1
	s_or_b64 exec, exec, s[18:19]
.LBB507_837:                            ;   in Loop: Header=BB507_796 Depth=1
	s_or_b64 exec, exec, s[16:17]
.LBB507_838:                            ;   in Loop: Header=BB507_796 Depth=1
	s_or_b64 exec, exec, s[14:15]
	v_cmp_lt_u32_e32 vcc, s22, v4
	v_mov_b32_e32 v12, 0
	v_mov_b32_e32 v19, 0
	s_and_saveexec_b64 s[14:15], vcc
	s_cbranch_execz .LBB507_844
; %bb.839:                              ;   in Loop: Header=BB507_796 Depth=1
	v_lshrrev_b32_e32 v6, 24, v4
	v_cmp_ne_u32_e32 vcc, s5, v6
	v_bfrev_b32_e32 v19, 1
	s_and_saveexec_b64 s[16:17], vcc
	s_cbranch_execz .LBB507_843
; %bb.840:                              ;   in Loop: Header=BB507_796 Depth=1
	v_bfe_u32 v4, v4, 24, 7
	v_cmp_ne_u32_e32 vcc, s21, v4
	v_mov_b32_e32 v19, 0x7f800001
	s_and_saveexec_b64 s[18:19], vcc
	s_cbranch_execz .LBB507_842
; %bb.841:                              ;   in Loop: Header=BB507_796 Depth=1
	v_and_b32_e32 v19, 7, v6
	v_ffbh_u32_e32 v20, v19
	v_min_u32_e32 v23, 32, v20
	v_subrev_u32_e32 v20, 28, v23
	v_lshlrev_b64 v[20:21], v20, v[6:7]
	v_lshrrev_b32_e32 v22, 3, v4
	v_sub_u32_e32 v21, 29, v23
	v_and_b32_e32 v20, 7, v20
	v_cmp_gt_u32_e32 vcc, 8, v4
	v_cndmask_b32_e32 v4, v22, v21, vcc
	v_cndmask_b32_e32 v19, v19, v20, vcc
	v_lshlrev_b32_e32 v6, 24, v6
	v_lshlrev_b32_e32 v19, 20, v19
	v_and_b32_e32 v6, 0x80000000, v6
	v_lshl_add_u32 v4, v4, 23, v10
	v_or3_b32 v19, v6, v4, v19
.LBB507_842:                            ;   in Loop: Header=BB507_796 Depth=1
	s_or_b64 exec, exec, s[18:19]
.LBB507_843:                            ;   in Loop: Header=BB507_796 Depth=1
	s_or_b64 exec, exec, s[16:17]
.LBB507_844:                            ;   in Loop: Header=BB507_796 Depth=1
	s_or_b64 exec, exec, s[14:15]
	buffer_load_dword v6, v11, s[0:3], 0 offen offset:8
	buffer_load_dword v4, v11, s[0:3], 0 offen offset:12
	v_cvt_pkrtz_f16_f32 v20, v13, v15
	v_cvt_pkrtz_f16_f32 v21, v14, v17
	;; [unrolled: 1-line block ×4, first 2 shown]
	v_mfma_f32_4x4x4f16 a[0:3], v[2:3], v[20:21], 0 cbsz:4
	s_waitcnt vmcnt(1)
	v_cmp_ne_u16_sdwa s[16:17], v6, v9 src0_sel:BYTE_0 src1_sel:DWORD
	v_mfma_f32_4x4x4f16 a[0:3], v[2:3], v[14:15], a[0:3] cbsz:4 abid:1
	s_and_saveexec_b64 s[14:15], s[16:17]
	s_cbranch_execz .LBB507_850
; %bb.845:                              ;   in Loop: Header=BB507_796 Depth=1
	v_cmp_ne_u16_sdwa s[18:19], v6, s5 src0_sel:BYTE_0 src1_sel:DWORD
	v_bfrev_b32_e32 v12, 1
	s_and_saveexec_b64 s[16:17], s[18:19]
	s_cbranch_execz .LBB507_849
; %bb.846:                              ;   in Loop: Header=BB507_796 Depth=1
	v_and_b32_e32 v8, 0x7f, v6
	v_cmp_ne_u32_e32 vcc, s21, v8
	v_mov_b32_e32 v12, 0x7f800001
	s_and_saveexec_b64 s[18:19], vcc
	s_cbranch_execz .LBB507_848
; %bb.847:                              ;   in Loop: Header=BB507_796 Depth=1
	v_and_b32_e32 v14, 7, v6
	v_ffbh_u32_e32 v12, v14
	v_min_u32_e32 v16, 32, v12
	v_subrev_u32_e32 v12, 28, v16
	v_lshlrev_b64 v[12:13], v12, v[6:7]
	v_lshrrev_b32_e32 v15, 3, v8
	v_sub_u32_e32 v13, 29, v16
	v_and_b32_e32 v12, 7, v12
	v_cmp_gt_u32_e32 vcc, 8, v8
	v_cndmask_b32_e32 v8, v15, v13, vcc
	v_cndmask_b32_e32 v12, v14, v12, vcc
	v_lshlrev_b32_e32 v13, 24, v6
	v_lshlrev_b32_e32 v12, 20, v12
	v_and_b32_e32 v13, 0x80000000, v13
	v_lshl_add_u32 v8, v8, 23, v10
	v_or3_b32 v12, v13, v8, v12
.LBB507_848:                            ;   in Loop: Header=BB507_796 Depth=1
	s_or_b64 exec, exec, s[18:19]
.LBB507_849:                            ;   in Loop: Header=BB507_796 Depth=1
	s_or_b64 exec, exec, s[16:17]
.LBB507_850:                            ;   in Loop: Header=BB507_796 Depth=1
	s_or_b64 exec, exec, s[14:15]
	v_lshrrev_b16_e32 v8, 8, v6
	v_cmp_ne_u16_e32 vcc, 0, v8
	v_mov_b32_e32 v14, 0
	v_mov_b32_e32 v15, 0
	s_and_saveexec_b64 s[14:15], vcc
	s_cbranch_execz .LBB507_856
; %bb.851:                              ;   in Loop: Header=BB507_796 Depth=1
	v_cmp_ne_u16_e32 vcc, s5, v8
	v_bfrev_b32_e32 v15, 1
	s_and_saveexec_b64 s[16:17], vcc
	s_cbranch_execz .LBB507_855
; %bb.852:                              ;   in Loop: Header=BB507_796 Depth=1
	v_and_b32_e32 v13, 0x7f, v8
	v_cmp_ne_u32_e32 vcc, s21, v13
	v_mov_b32_e32 v15, 0x7f800001
	s_and_saveexec_b64 s[18:19], vcc
	s_cbranch_execz .LBB507_854
; %bb.853:                              ;   in Loop: Header=BB507_796 Depth=1
	v_and_b32_e32 v15, 7, v8
	v_ffbh_u32_e32 v16, v15
	v_min_u32_e32 v19, 32, v16
	v_subrev_u32_e32 v16, 28, v19
	v_lshlrev_b64 v[16:17], v16, v[8:9]
	v_lshrrev_b32_e32 v18, 3, v13
	v_sub_u32_e32 v8, 29, v19
	v_and_b32_e32 v16, 7, v16
	v_cmp_gt_u32_e32 vcc, 8, v13
	v_cndmask_b32_e32 v8, v18, v8, vcc
	v_cndmask_b32_e32 v13, v15, v16, vcc
	v_lshlrev_b32_e32 v15, 16, v6
	v_lshlrev_b32_e32 v13, 20, v13
	v_and_b32_e32 v15, 0x80000000, v15
	v_lshl_add_u32 v8, v8, 23, v10
	v_or3_b32 v15, v15, v8, v13
.LBB507_854:                            ;   in Loop: Header=BB507_796 Depth=1
	s_or_b64 exec, exec, s[18:19]
.LBB507_855:                            ;   in Loop: Header=BB507_796 Depth=1
	s_or_b64 exec, exec, s[16:17]
.LBB507_856:                            ;   in Loop: Header=BB507_796 Depth=1
	s_or_b64 exec, exec, s[14:15]
	v_lshrrev_b32_e32 v8, 16, v6
	v_cmp_ne_u16_sdwa s[16:17], v8, v9 src0_sel:BYTE_0 src1_sel:DWORD
	s_and_saveexec_b64 s[14:15], s[16:17]
	s_cbranch_execz .LBB507_862
; %bb.857:                              ;   in Loop: Header=BB507_796 Depth=1
	v_cmp_ne_u16_sdwa s[18:19], v8, s5 src0_sel:BYTE_0 src1_sel:DWORD
	v_bfrev_b32_e32 v14, 1
	s_and_saveexec_b64 s[16:17], s[18:19]
	s_cbranch_execz .LBB507_861
; %bb.858:                              ;   in Loop: Header=BB507_796 Depth=1
	v_bfe_u32 v13, v6, 16, 7
	v_cmp_ne_u32_e32 vcc, s21, v13
	v_mov_b32_e32 v14, 0x7f800001
	s_and_saveexec_b64 s[18:19], vcc
	s_cbranch_execz .LBB507_860
; %bb.859:                              ;   in Loop: Header=BB507_796 Depth=1
	v_and_b32_e32 v14, 7, v8
	v_ffbh_u32_e32 v16, v14
	v_min_u32_e32 v19, 32, v16
	v_subrev_u32_e32 v16, 28, v19
	v_lshlrev_b64 v[16:17], v16, v[8:9]
	v_lshrrev_b32_e32 v18, 3, v13
	v_sub_u32_e32 v17, 29, v19
	v_and_b32_e32 v16, 7, v16
	v_cmp_gt_u32_e32 vcc, 8, v13
	v_cndmask_b32_e32 v13, v18, v17, vcc
	v_cndmask_b32_e32 v14, v14, v16, vcc
	v_lshlrev_b32_e32 v8, 24, v8
	v_lshlrev_b32_e32 v14, 20, v14
	v_and_b32_e32 v8, 0x80000000, v8
	v_lshl_add_u32 v13, v13, 23, v10
	v_or3_b32 v14, v8, v13, v14
.LBB507_860:                            ;   in Loop: Header=BB507_796 Depth=1
	s_or_b64 exec, exec, s[18:19]
.LBB507_861:                            ;   in Loop: Header=BB507_796 Depth=1
	s_or_b64 exec, exec, s[16:17]
.LBB507_862:                            ;   in Loop: Header=BB507_796 Depth=1
	s_or_b64 exec, exec, s[14:15]
	v_cmp_lt_u32_e32 vcc, s22, v6
	v_mov_b32_e32 v16, 0
	v_mov_b32_e32 v17, 0
	s_and_saveexec_b64 s[14:15], vcc
	s_cbranch_execz .LBB507_868
; %bb.863:                              ;   in Loop: Header=BB507_796 Depth=1
	v_lshrrev_b32_e32 v8, 24, v6
	v_cmp_ne_u32_e32 vcc, s5, v8
	v_bfrev_b32_e32 v17, 1
	s_and_saveexec_b64 s[16:17], vcc
	s_cbranch_execz .LBB507_867
; %bb.864:                              ;   in Loop: Header=BB507_796 Depth=1
	v_bfe_u32 v6, v6, 24, 7
	v_cmp_ne_u32_e32 vcc, s21, v6
	v_mov_b32_e32 v17, 0x7f800001
	s_and_saveexec_b64 s[18:19], vcc
	s_cbranch_execz .LBB507_866
; %bb.865:                              ;   in Loop: Header=BB507_796 Depth=1
	v_and_b32_e32 v13, 7, v8
	v_ffbh_u32_e32 v18, v13
	v_min_u32_e32 v20, 32, v18
	v_subrev_u32_e32 v18, 28, v20
	v_lshlrev_b64 v[18:19], v18, v[8:9]
	v_lshrrev_b32_e32 v17, 3, v6
	v_sub_u32_e32 v19, 29, v20
	v_and_b32_e32 v18, 7, v18
	v_cmp_gt_u32_e32 vcc, 8, v6
	v_cndmask_b32_e32 v6, v17, v19, vcc
	v_cndmask_b32_e32 v13, v13, v18, vcc
	v_lshlrev_b32_e32 v8, 24, v8
	v_lshlrev_b32_e32 v13, 20, v13
	v_and_b32_e32 v8, 0x80000000, v8
	v_lshl_add_u32 v6, v6, 23, v10
	v_or3_b32 v17, v8, v6, v13
.LBB507_866:                            ;   in Loop: Header=BB507_796 Depth=1
	s_or_b64 exec, exec, s[18:19]
.LBB507_867:                            ;   in Loop: Header=BB507_796 Depth=1
	s_or_b64 exec, exec, s[16:17]
.LBB507_868:                            ;   in Loop: Header=BB507_796 Depth=1
	s_or_b64 exec, exec, s[14:15]
	s_waitcnt vmcnt(0)
	v_cmp_ne_u16_sdwa s[16:17], v4, v9 src0_sel:BYTE_0 src1_sel:DWORD
	s_and_saveexec_b64 s[14:15], s[16:17]
	s_cbranch_execz .LBB507_874
; %bb.869:                              ;   in Loop: Header=BB507_796 Depth=1
	v_cmp_ne_u16_sdwa s[18:19], v4, s5 src0_sel:BYTE_0 src1_sel:DWORD
	v_bfrev_b32_e32 v16, 1
	s_and_saveexec_b64 s[16:17], s[18:19]
	s_cbranch_execz .LBB507_873
; %bb.870:                              ;   in Loop: Header=BB507_796 Depth=1
	v_and_b32_e32 v6, 0x7f, v4
	v_cmp_ne_u32_e32 vcc, s21, v6
	v_mov_b32_e32 v16, 0x7f800001
	s_and_saveexec_b64 s[18:19], vcc
	s_cbranch_execz .LBB507_872
; %bb.871:                              ;   in Loop: Header=BB507_796 Depth=1
	v_and_b32_e32 v8, 7, v4
	v_ffbh_u32_e32 v16, v8
	v_min_u32_e32 v16, 32, v16
	v_subrev_u32_e32 v18, 28, v16
	v_lshlrev_b64 v[18:19], v18, v[4:5]
	v_lshrrev_b32_e32 v13, 3, v6
	v_sub_u32_e32 v16, 29, v16
	v_and_b32_e32 v18, 7, v18
	v_cmp_gt_u32_e32 vcc, 8, v6
	v_cndmask_b32_e32 v6, v13, v16, vcc
	v_cndmask_b32_e32 v8, v8, v18, vcc
	v_lshlrev_b32_e32 v13, 24, v4
	v_lshlrev_b32_e32 v8, 20, v8
	v_and_b32_e32 v13, 0x80000000, v13
	v_lshl_add_u32 v6, v6, 23, v10
	v_or3_b32 v16, v13, v6, v8
.LBB507_872:                            ;   in Loop: Header=BB507_796 Depth=1
	s_or_b64 exec, exec, s[18:19]
.LBB507_873:                            ;   in Loop: Header=BB507_796 Depth=1
	s_or_b64 exec, exec, s[16:17]
.LBB507_874:                            ;   in Loop: Header=BB507_796 Depth=1
	s_or_b64 exec, exec, s[14:15]
	v_lshrrev_b16_e32 v6, 8, v4
	v_cmp_ne_u16_e32 vcc, 0, v6
	v_mov_b32_e32 v8, 0
	v_mov_b32_e32 v18, 0
	s_and_saveexec_b64 s[14:15], vcc
	s_cbranch_execz .LBB507_880
; %bb.875:                              ;   in Loop: Header=BB507_796 Depth=1
	v_cmp_ne_u16_e32 vcc, s5, v6
	v_bfrev_b32_e32 v18, 1
	s_and_saveexec_b64 s[16:17], vcc
	s_cbranch_execz .LBB507_879
; %bb.876:                              ;   in Loop: Header=BB507_796 Depth=1
	v_and_b32_e32 v13, 0x7f, v6
	v_cmp_ne_u32_e32 vcc, s21, v13
	v_mov_b32_e32 v18, 0x7f800001
	s_and_saveexec_b64 s[18:19], vcc
	s_cbranch_execz .LBB507_878
; %bb.877:                              ;   in Loop: Header=BB507_796 Depth=1
	v_and_b32_e32 v20, 7, v6
	v_ffbh_u32_e32 v18, v20
	v_min_u32_e32 v22, 32, v18
	v_subrev_u32_e32 v18, 28, v22
	v_lshlrev_b64 v[18:19], v18, v[6:7]
	v_lshrrev_b32_e32 v21, 3, v13
	v_sub_u32_e32 v6, 29, v22
	v_and_b32_e32 v18, 7, v18
	v_cmp_gt_u32_e32 vcc, 8, v13
	v_cndmask_b32_e32 v6, v21, v6, vcc
	v_cndmask_b32_e32 v13, v20, v18, vcc
	v_lshlrev_b32_e32 v18, 16, v4
	v_lshlrev_b32_e32 v13, 20, v13
	v_and_b32_e32 v18, 0x80000000, v18
	v_lshl_add_u32 v6, v6, 23, v10
	v_or3_b32 v18, v18, v6, v13
.LBB507_878:                            ;   in Loop: Header=BB507_796 Depth=1
	s_or_b64 exec, exec, s[18:19]
.LBB507_879:                            ;   in Loop: Header=BB507_796 Depth=1
	s_or_b64 exec, exec, s[16:17]
.LBB507_880:                            ;   in Loop: Header=BB507_796 Depth=1
	s_or_b64 exec, exec, s[14:15]
	v_lshrrev_b32_e32 v6, 16, v4
	v_cmp_ne_u16_sdwa s[16:17], v6, v9 src0_sel:BYTE_0 src1_sel:DWORD
	s_and_saveexec_b64 s[14:15], s[16:17]
	s_cbranch_execz .LBB507_886
; %bb.881:                              ;   in Loop: Header=BB507_796 Depth=1
	v_cmp_ne_u16_sdwa s[18:19], v6, s5 src0_sel:BYTE_0 src1_sel:DWORD
	v_bfrev_b32_e32 v8, 1
	s_and_saveexec_b64 s[16:17], s[18:19]
	s_cbranch_execz .LBB507_885
; %bb.882:                              ;   in Loop: Header=BB507_796 Depth=1
	v_bfe_u32 v13, v4, 16, 7
	v_cmp_ne_u32_e32 vcc, s21, v13
	v_mov_b32_e32 v8, 0x7f800001
	s_and_saveexec_b64 s[18:19], vcc
	s_cbranch_execz .LBB507_884
; %bb.883:                              ;   in Loop: Header=BB507_796 Depth=1
	v_and_b32_e32 v8, 7, v6
	v_ffbh_u32_e32 v20, v8
	v_min_u32_e32 v22, 32, v20
	v_subrev_u32_e32 v20, 28, v22
	v_lshlrev_b64 v[20:21], v20, v[6:7]
	v_lshrrev_b32_e32 v19, 3, v13
	v_sub_u32_e32 v21, 29, v22
	v_and_b32_e32 v20, 7, v20
	v_cmp_gt_u32_e32 vcc, 8, v13
	v_cndmask_b32_e32 v13, v19, v21, vcc
	v_cndmask_b32_e32 v8, v8, v20, vcc
	v_lshlrev_b32_e32 v6, 24, v6
	v_lshlrev_b32_e32 v8, 20, v8
	v_and_b32_e32 v6, 0x80000000, v6
	v_lshl_add_u32 v13, v13, 23, v10
	v_or3_b32 v8, v6, v13, v8
.LBB507_884:                            ;   in Loop: Header=BB507_796 Depth=1
	s_or_b64 exec, exec, s[18:19]
.LBB507_885:                            ;   in Loop: Header=BB507_796 Depth=1
	s_or_b64 exec, exec, s[16:17]
.LBB507_886:                            ;   in Loop: Header=BB507_796 Depth=1
	s_or_b64 exec, exec, s[14:15]
	v_cmp_lt_u32_e32 vcc, s22, v4
	v_mov_b32_e32 v13, 0
	v_mov_b32_e32 v19, 0
	s_and_saveexec_b64 s[14:15], vcc
	s_cbranch_execz .LBB507_892
; %bb.887:                              ;   in Loop: Header=BB507_796 Depth=1
	v_lshrrev_b32_e32 v6, 24, v4
	v_cmp_ne_u32_e32 vcc, s5, v6
	v_bfrev_b32_e32 v19, 1
	s_and_saveexec_b64 s[16:17], vcc
	s_cbranch_execz .LBB507_891
; %bb.888:                              ;   in Loop: Header=BB507_796 Depth=1
	v_bfe_u32 v4, v4, 24, 7
	v_cmp_ne_u32_e32 vcc, s21, v4
	v_mov_b32_e32 v19, 0x7f800001
	s_and_saveexec_b64 s[18:19], vcc
	s_cbranch_execz .LBB507_890
; %bb.889:                              ;   in Loop: Header=BB507_796 Depth=1
	v_and_b32_e32 v19, 7, v6
	v_ffbh_u32_e32 v20, v19
	v_min_u32_e32 v23, 32, v20
	v_subrev_u32_e32 v20, 28, v23
	v_lshlrev_b64 v[20:21], v20, v[6:7]
	v_lshrrev_b32_e32 v22, 3, v4
	v_sub_u32_e32 v21, 29, v23
	v_and_b32_e32 v20, 7, v20
	v_cmp_gt_u32_e32 vcc, 8, v4
	v_cndmask_b32_e32 v4, v22, v21, vcc
	v_cndmask_b32_e32 v19, v19, v20, vcc
	v_lshlrev_b32_e32 v6, 24, v6
	v_lshlrev_b32_e32 v19, 20, v19
	v_and_b32_e32 v6, 0x80000000, v6
	v_lshl_add_u32 v4, v4, 23, v10
	v_or3_b32 v19, v6, v4, v19
.LBB507_890:                            ;   in Loop: Header=BB507_796 Depth=1
	s_or_b64 exec, exec, s[18:19]
.LBB507_891:                            ;   in Loop: Header=BB507_796 Depth=1
	s_or_b64 exec, exec, s[16:17]
.LBB507_892:                            ;   in Loop: Header=BB507_796 Depth=1
	s_or_b64 exec, exec, s[14:15]
	buffer_load_dword v6, v11, s[0:3], 0 offen offset:16
	buffer_load_dword v4, v11, s[0:3], 0 offen offset:20
	v_cvt_pkrtz_f16_f32 v20, v12, v15
	v_cvt_pkrtz_f16_f32 v21, v14, v17
	;; [unrolled: 1-line block ×4, first 2 shown]
	v_mfma_f32_4x4x4f16 a[0:3], v[2:3], v[20:21], a[0:3] cbsz:4 abid:2
	s_waitcnt vmcnt(1)
	v_cmp_ne_u16_sdwa s[16:17], v6, v9 src0_sel:BYTE_0 src1_sel:DWORD
	v_mfma_f32_4x4x4f16 a[0:3], v[2:3], v[14:15], a[0:3] cbsz:4 abid:3
	s_and_saveexec_b64 s[14:15], s[16:17]
	s_cbranch_execz .LBB507_898
; %bb.893:                              ;   in Loop: Header=BB507_796 Depth=1
	v_cmp_ne_u16_sdwa s[18:19], v6, s5 src0_sel:BYTE_0 src1_sel:DWORD
	v_bfrev_b32_e32 v13, 1
	s_and_saveexec_b64 s[16:17], s[18:19]
	s_cbranch_execz .LBB507_897
; %bb.894:                              ;   in Loop: Header=BB507_796 Depth=1
	v_and_b32_e32 v8, 0x7f, v6
	v_cmp_ne_u32_e32 vcc, s21, v8
	v_mov_b32_e32 v13, 0x7f800001
	s_and_saveexec_b64 s[18:19], vcc
	s_cbranch_execz .LBB507_896
; %bb.895:                              ;   in Loop: Header=BB507_796 Depth=1
	v_and_b32_e32 v14, 7, v6
	v_ffbh_u32_e32 v12, v14
	v_min_u32_e32 v16, 32, v12
	v_subrev_u32_e32 v12, 28, v16
	v_lshlrev_b64 v[12:13], v12, v[6:7]
	v_lshrrev_b32_e32 v15, 3, v8
	v_sub_u32_e32 v13, 29, v16
	v_and_b32_e32 v12, 7, v12
	v_cmp_gt_u32_e32 vcc, 8, v8
	v_cndmask_b32_e32 v8, v15, v13, vcc
	v_cndmask_b32_e32 v12, v14, v12, vcc
	v_lshlrev_b32_e32 v13, 24, v6
	v_lshlrev_b32_e32 v12, 20, v12
	v_and_b32_e32 v13, 0x80000000, v13
	v_lshl_add_u32 v8, v8, 23, v10
	v_or3_b32 v13, v13, v8, v12
.LBB507_896:                            ;   in Loop: Header=BB507_796 Depth=1
	s_or_b64 exec, exec, s[18:19]
.LBB507_897:                            ;   in Loop: Header=BB507_796 Depth=1
	s_or_b64 exec, exec, s[16:17]
.LBB507_898:                            ;   in Loop: Header=BB507_796 Depth=1
	s_or_b64 exec, exec, s[14:15]
	v_lshrrev_b16_e32 v8, 8, v6
	v_cmp_ne_u16_e32 vcc, 0, v8
	v_mov_b32_e32 v14, 0
	v_mov_b32_e32 v15, 0
	s_and_saveexec_b64 s[14:15], vcc
	s_cbranch_execz .LBB507_904
; %bb.899:                              ;   in Loop: Header=BB507_796 Depth=1
	v_cmp_ne_u16_e32 vcc, s5, v8
	v_bfrev_b32_e32 v15, 1
	s_and_saveexec_b64 s[16:17], vcc
	s_cbranch_execz .LBB507_903
; %bb.900:                              ;   in Loop: Header=BB507_796 Depth=1
	v_and_b32_e32 v12, 0x7f, v8
	v_cmp_ne_u32_e32 vcc, s21, v12
	v_mov_b32_e32 v15, 0x7f800001
	s_and_saveexec_b64 s[18:19], vcc
	s_cbranch_execz .LBB507_902
; %bb.901:                              ;   in Loop: Header=BB507_796 Depth=1
	v_and_b32_e32 v15, 7, v8
	v_ffbh_u32_e32 v16, v15
	v_min_u32_e32 v19, 32, v16
	v_subrev_u32_e32 v16, 28, v19
	v_lshlrev_b64 v[16:17], v16, v[8:9]
	v_lshrrev_b32_e32 v18, 3, v12
	v_sub_u32_e32 v8, 29, v19
	v_and_b32_e32 v16, 7, v16
	v_cmp_gt_u32_e32 vcc, 8, v12
	v_cndmask_b32_e32 v8, v18, v8, vcc
	v_cndmask_b32_e32 v12, v15, v16, vcc
	v_lshlrev_b32_e32 v15, 16, v6
	v_lshlrev_b32_e32 v12, 20, v12
	v_and_b32_e32 v15, 0x80000000, v15
	v_lshl_add_u32 v8, v8, 23, v10
	v_or3_b32 v15, v15, v8, v12
.LBB507_902:                            ;   in Loop: Header=BB507_796 Depth=1
	s_or_b64 exec, exec, s[18:19]
.LBB507_903:                            ;   in Loop: Header=BB507_796 Depth=1
	s_or_b64 exec, exec, s[16:17]
.LBB507_904:                            ;   in Loop: Header=BB507_796 Depth=1
	s_or_b64 exec, exec, s[14:15]
	v_lshrrev_b32_e32 v8, 16, v6
	v_cmp_ne_u16_sdwa s[16:17], v8, v9 src0_sel:BYTE_0 src1_sel:DWORD
	s_and_saveexec_b64 s[14:15], s[16:17]
	s_cbranch_execz .LBB507_910
; %bb.905:                              ;   in Loop: Header=BB507_796 Depth=1
	v_cmp_ne_u16_sdwa s[18:19], v8, s5 src0_sel:BYTE_0 src1_sel:DWORD
	v_bfrev_b32_e32 v14, 1
	s_and_saveexec_b64 s[16:17], s[18:19]
	s_cbranch_execz .LBB507_909
; %bb.906:                              ;   in Loop: Header=BB507_796 Depth=1
	v_bfe_u32 v12, v6, 16, 7
	v_cmp_ne_u32_e32 vcc, s21, v12
	v_mov_b32_e32 v14, 0x7f800001
	s_and_saveexec_b64 s[18:19], vcc
	s_cbranch_execz .LBB507_908
; %bb.907:                              ;   in Loop: Header=BB507_796 Depth=1
	v_and_b32_e32 v14, 7, v8
	v_ffbh_u32_e32 v16, v14
	v_min_u32_e32 v19, 32, v16
	v_subrev_u32_e32 v16, 28, v19
	v_lshlrev_b64 v[16:17], v16, v[8:9]
	v_lshrrev_b32_e32 v18, 3, v12
	v_sub_u32_e32 v17, 29, v19
	v_and_b32_e32 v16, 7, v16
	v_cmp_gt_u32_e32 vcc, 8, v12
	v_cndmask_b32_e32 v12, v18, v17, vcc
	v_cndmask_b32_e32 v14, v14, v16, vcc
	v_lshlrev_b32_e32 v8, 24, v8
	v_lshlrev_b32_e32 v14, 20, v14
	v_and_b32_e32 v8, 0x80000000, v8
	v_lshl_add_u32 v12, v12, 23, v10
	v_or3_b32 v14, v8, v12, v14
.LBB507_908:                            ;   in Loop: Header=BB507_796 Depth=1
	s_or_b64 exec, exec, s[18:19]
.LBB507_909:                            ;   in Loop: Header=BB507_796 Depth=1
	s_or_b64 exec, exec, s[16:17]
.LBB507_910:                            ;   in Loop: Header=BB507_796 Depth=1
	s_or_b64 exec, exec, s[14:15]
	v_cmp_lt_u32_e32 vcc, s22, v6
	v_mov_b32_e32 v16, 0
	v_mov_b32_e32 v17, 0
	s_and_saveexec_b64 s[14:15], vcc
	s_cbranch_execz .LBB507_916
; %bb.911:                              ;   in Loop: Header=BB507_796 Depth=1
	v_lshrrev_b32_e32 v8, 24, v6
	v_cmp_ne_u32_e32 vcc, s5, v8
	v_bfrev_b32_e32 v17, 1
	s_and_saveexec_b64 s[16:17], vcc
	s_cbranch_execz .LBB507_915
; %bb.912:                              ;   in Loop: Header=BB507_796 Depth=1
	v_bfe_u32 v6, v6, 24, 7
	v_cmp_ne_u32_e32 vcc, s21, v6
	v_mov_b32_e32 v17, 0x7f800001
	s_and_saveexec_b64 s[18:19], vcc
	s_cbranch_execz .LBB507_914
; %bb.913:                              ;   in Loop: Header=BB507_796 Depth=1
	v_and_b32_e32 v12, 7, v8
	v_ffbh_u32_e32 v18, v12
	v_min_u32_e32 v20, 32, v18
	v_subrev_u32_e32 v18, 28, v20
	v_lshlrev_b64 v[18:19], v18, v[8:9]
	v_lshrrev_b32_e32 v17, 3, v6
	v_sub_u32_e32 v19, 29, v20
	v_and_b32_e32 v18, 7, v18
	v_cmp_gt_u32_e32 vcc, 8, v6
	v_cndmask_b32_e32 v6, v17, v19, vcc
	v_cndmask_b32_e32 v12, v12, v18, vcc
	v_lshlrev_b32_e32 v8, 24, v8
	v_lshlrev_b32_e32 v12, 20, v12
	v_and_b32_e32 v8, 0x80000000, v8
	v_lshl_add_u32 v6, v6, 23, v10
	v_or3_b32 v17, v8, v6, v12
.LBB507_914:                            ;   in Loop: Header=BB507_796 Depth=1
	s_or_b64 exec, exec, s[18:19]
.LBB507_915:                            ;   in Loop: Header=BB507_796 Depth=1
	s_or_b64 exec, exec, s[16:17]
.LBB507_916:                            ;   in Loop: Header=BB507_796 Depth=1
	s_or_b64 exec, exec, s[14:15]
	s_waitcnt vmcnt(0)
	v_cmp_ne_u16_sdwa s[16:17], v4, v9 src0_sel:BYTE_0 src1_sel:DWORD
	s_and_saveexec_b64 s[14:15], s[16:17]
	s_cbranch_execz .LBB507_922
; %bb.917:                              ;   in Loop: Header=BB507_796 Depth=1
	v_cmp_ne_u16_sdwa s[18:19], v4, s5 src0_sel:BYTE_0 src1_sel:DWORD
	v_bfrev_b32_e32 v16, 1
	s_and_saveexec_b64 s[16:17], s[18:19]
	s_cbranch_execz .LBB507_921
; %bb.918:                              ;   in Loop: Header=BB507_796 Depth=1
	v_and_b32_e32 v6, 0x7f, v4
	v_cmp_ne_u32_e32 vcc, s21, v6
	v_mov_b32_e32 v16, 0x7f800001
	s_and_saveexec_b64 s[18:19], vcc
	s_cbranch_execz .LBB507_920
; %bb.919:                              ;   in Loop: Header=BB507_796 Depth=1
	v_and_b32_e32 v8, 7, v4
	v_ffbh_u32_e32 v16, v8
	v_min_u32_e32 v16, 32, v16
	v_subrev_u32_e32 v18, 28, v16
	v_lshlrev_b64 v[18:19], v18, v[4:5]
	v_lshrrev_b32_e32 v12, 3, v6
	v_sub_u32_e32 v16, 29, v16
	v_and_b32_e32 v18, 7, v18
	v_cmp_gt_u32_e32 vcc, 8, v6
	v_cndmask_b32_e32 v6, v12, v16, vcc
	v_cndmask_b32_e32 v8, v8, v18, vcc
	v_lshlrev_b32_e32 v12, 24, v4
	v_lshlrev_b32_e32 v8, 20, v8
	v_and_b32_e32 v12, 0x80000000, v12
	v_lshl_add_u32 v6, v6, 23, v10
	v_or3_b32 v16, v12, v6, v8
.LBB507_920:                            ;   in Loop: Header=BB507_796 Depth=1
	s_or_b64 exec, exec, s[18:19]
.LBB507_921:                            ;   in Loop: Header=BB507_796 Depth=1
	s_or_b64 exec, exec, s[16:17]
.LBB507_922:                            ;   in Loop: Header=BB507_796 Depth=1
	s_or_b64 exec, exec, s[14:15]
	v_lshrrev_b16_e32 v6, 8, v4
	v_cmp_ne_u16_e32 vcc, 0, v6
	v_mov_b32_e32 v8, 0
	v_mov_b32_e32 v18, 0
	s_and_saveexec_b64 s[14:15], vcc
	s_cbranch_execz .LBB507_928
; %bb.923:                              ;   in Loop: Header=BB507_796 Depth=1
	v_cmp_ne_u16_e32 vcc, s5, v6
	v_bfrev_b32_e32 v18, 1
	s_and_saveexec_b64 s[16:17], vcc
	s_cbranch_execz .LBB507_927
; %bb.924:                              ;   in Loop: Header=BB507_796 Depth=1
	v_and_b32_e32 v12, 0x7f, v6
	v_cmp_ne_u32_e32 vcc, s21, v12
	v_mov_b32_e32 v18, 0x7f800001
	s_and_saveexec_b64 s[18:19], vcc
	s_cbranch_execz .LBB507_926
; %bb.925:                              ;   in Loop: Header=BB507_796 Depth=1
	v_and_b32_e32 v20, 7, v6
	v_ffbh_u32_e32 v18, v20
	v_min_u32_e32 v22, 32, v18
	v_subrev_u32_e32 v18, 28, v22
	v_lshlrev_b64 v[18:19], v18, v[6:7]
	v_lshrrev_b32_e32 v21, 3, v12
	v_sub_u32_e32 v6, 29, v22
	v_and_b32_e32 v18, 7, v18
	v_cmp_gt_u32_e32 vcc, 8, v12
	v_cndmask_b32_e32 v6, v21, v6, vcc
	v_cndmask_b32_e32 v12, v20, v18, vcc
	v_lshlrev_b32_e32 v18, 16, v4
	v_lshlrev_b32_e32 v12, 20, v12
	v_and_b32_e32 v18, 0x80000000, v18
	v_lshl_add_u32 v6, v6, 23, v10
	v_or3_b32 v18, v18, v6, v12
.LBB507_926:                            ;   in Loop: Header=BB507_796 Depth=1
	s_or_b64 exec, exec, s[18:19]
.LBB507_927:                            ;   in Loop: Header=BB507_796 Depth=1
	s_or_b64 exec, exec, s[16:17]
.LBB507_928:                            ;   in Loop: Header=BB507_796 Depth=1
	s_or_b64 exec, exec, s[14:15]
	v_lshrrev_b32_e32 v6, 16, v4
	v_cmp_ne_u16_sdwa s[16:17], v6, v9 src0_sel:BYTE_0 src1_sel:DWORD
	s_and_saveexec_b64 s[14:15], s[16:17]
	s_cbranch_execz .LBB507_934
; %bb.929:                              ;   in Loop: Header=BB507_796 Depth=1
	v_cmp_ne_u16_sdwa s[18:19], v6, s5 src0_sel:BYTE_0 src1_sel:DWORD
	v_bfrev_b32_e32 v8, 1
	s_and_saveexec_b64 s[16:17], s[18:19]
	s_cbranch_execz .LBB507_933
; %bb.930:                              ;   in Loop: Header=BB507_796 Depth=1
	v_bfe_u32 v12, v4, 16, 7
	v_cmp_ne_u32_e32 vcc, s21, v12
	v_mov_b32_e32 v8, 0x7f800001
	s_and_saveexec_b64 s[18:19], vcc
	s_cbranch_execz .LBB507_932
; %bb.931:                              ;   in Loop: Header=BB507_796 Depth=1
	v_and_b32_e32 v8, 7, v6
	v_ffbh_u32_e32 v20, v8
	v_min_u32_e32 v22, 32, v20
	v_subrev_u32_e32 v20, 28, v22
	v_lshlrev_b64 v[20:21], v20, v[6:7]
	v_lshrrev_b32_e32 v19, 3, v12
	v_sub_u32_e32 v21, 29, v22
	v_and_b32_e32 v20, 7, v20
	v_cmp_gt_u32_e32 vcc, 8, v12
	v_cndmask_b32_e32 v12, v19, v21, vcc
	v_cndmask_b32_e32 v8, v8, v20, vcc
	v_lshlrev_b32_e32 v6, 24, v6
	v_lshlrev_b32_e32 v8, 20, v8
	v_and_b32_e32 v6, 0x80000000, v6
	v_lshl_add_u32 v12, v12, 23, v10
	v_or3_b32 v8, v6, v12, v8
.LBB507_932:                            ;   in Loop: Header=BB507_796 Depth=1
	s_or_b64 exec, exec, s[18:19]
.LBB507_933:                            ;   in Loop: Header=BB507_796 Depth=1
	s_or_b64 exec, exec, s[16:17]
.LBB507_934:                            ;   in Loop: Header=BB507_796 Depth=1
	s_or_b64 exec, exec, s[14:15]
	v_cmp_lt_u32_e32 vcc, s22, v4
	v_mov_b32_e32 v12, 0
	v_mov_b32_e32 v19, 0
	s_and_saveexec_b64 s[14:15], vcc
	s_cbranch_execz .LBB507_940
; %bb.935:                              ;   in Loop: Header=BB507_796 Depth=1
	v_lshrrev_b32_e32 v6, 24, v4
	v_cmp_ne_u32_e32 vcc, s5, v6
	v_bfrev_b32_e32 v19, 1
	s_and_saveexec_b64 s[16:17], vcc
	s_cbranch_execz .LBB507_939
; %bb.936:                              ;   in Loop: Header=BB507_796 Depth=1
	v_bfe_u32 v4, v4, 24, 7
	v_cmp_ne_u32_e32 vcc, s21, v4
	v_mov_b32_e32 v19, 0x7f800001
	s_and_saveexec_b64 s[18:19], vcc
	s_cbranch_execz .LBB507_938
; %bb.937:                              ;   in Loop: Header=BB507_796 Depth=1
	v_and_b32_e32 v19, 7, v6
	v_ffbh_u32_e32 v20, v19
	v_min_u32_e32 v23, 32, v20
	v_subrev_u32_e32 v20, 28, v23
	v_lshlrev_b64 v[20:21], v20, v[6:7]
	v_lshrrev_b32_e32 v22, 3, v4
	v_sub_u32_e32 v21, 29, v23
	v_and_b32_e32 v20, 7, v20
	v_cmp_gt_u32_e32 vcc, 8, v4
	v_cndmask_b32_e32 v4, v22, v21, vcc
	v_cndmask_b32_e32 v19, v19, v20, vcc
	v_lshlrev_b32_e32 v6, 24, v6
	v_lshlrev_b32_e32 v19, 20, v19
	v_and_b32_e32 v6, 0x80000000, v6
	v_lshl_add_u32 v4, v4, 23, v10
	v_or3_b32 v19, v6, v4, v19
.LBB507_938:                            ;   in Loop: Header=BB507_796 Depth=1
	s_or_b64 exec, exec, s[18:19]
.LBB507_939:                            ;   in Loop: Header=BB507_796 Depth=1
	s_or_b64 exec, exec, s[16:17]
.LBB507_940:                            ;   in Loop: Header=BB507_796 Depth=1
	s_or_b64 exec, exec, s[14:15]
	buffer_load_dword v6, v11, s[0:3], 0 offen offset:24
	buffer_load_dword v4, v11, s[0:3], 0 offen offset:28
	v_cvt_pkrtz_f16_f32 v20, v13, v15
	v_cvt_pkrtz_f16_f32 v21, v14, v17
	v_cvt_pkrtz_f16_f32 v14, v16, v18
	v_cvt_pkrtz_f16_f32 v15, v8, v19
	v_mfma_f32_4x4x4f16 a[0:3], v[2:3], v[20:21], a[0:3] cbsz:4 abid:4
	s_waitcnt vmcnt(1)
	v_cmp_ne_u16_sdwa s[16:17], v6, v9 src0_sel:BYTE_0 src1_sel:DWORD
	v_mfma_f32_4x4x4f16 a[0:3], v[2:3], v[14:15], a[0:3] cbsz:4 abid:5
	s_and_saveexec_b64 s[14:15], s[16:17]
	s_cbranch_execz .LBB507_946
; %bb.941:                              ;   in Loop: Header=BB507_796 Depth=1
	v_cmp_ne_u16_sdwa s[18:19], v6, s5 src0_sel:BYTE_0 src1_sel:DWORD
	v_bfrev_b32_e32 v12, 1
	s_and_saveexec_b64 s[16:17], s[18:19]
	s_cbranch_execz .LBB507_945
; %bb.942:                              ;   in Loop: Header=BB507_796 Depth=1
	v_and_b32_e32 v8, 0x7f, v6
	v_cmp_ne_u32_e32 vcc, s21, v8
	v_mov_b32_e32 v12, 0x7f800001
	s_and_saveexec_b64 s[18:19], vcc
	s_cbranch_execz .LBB507_944
; %bb.943:                              ;   in Loop: Header=BB507_796 Depth=1
	v_and_b32_e32 v14, 7, v6
	v_ffbh_u32_e32 v12, v14
	v_min_u32_e32 v16, 32, v12
	v_subrev_u32_e32 v12, 28, v16
	v_lshlrev_b64 v[12:13], v12, v[6:7]
	v_lshrrev_b32_e32 v15, 3, v8
	v_sub_u32_e32 v13, 29, v16
	v_and_b32_e32 v12, 7, v12
	v_cmp_gt_u32_e32 vcc, 8, v8
	v_cndmask_b32_e32 v8, v15, v13, vcc
	v_cndmask_b32_e32 v12, v14, v12, vcc
	v_lshlrev_b32_e32 v13, 24, v6
	v_lshlrev_b32_e32 v12, 20, v12
	v_and_b32_e32 v13, 0x80000000, v13
	v_lshl_add_u32 v8, v8, 23, v10
	v_or3_b32 v12, v13, v8, v12
.LBB507_944:                            ;   in Loop: Header=BB507_796 Depth=1
	s_or_b64 exec, exec, s[18:19]
.LBB507_945:                            ;   in Loop: Header=BB507_796 Depth=1
	s_or_b64 exec, exec, s[16:17]
.LBB507_946:                            ;   in Loop: Header=BB507_796 Depth=1
	s_or_b64 exec, exec, s[14:15]
	v_lshrrev_b16_e32 v8, 8, v6
	v_cmp_ne_u16_e32 vcc, 0, v8
	v_mov_b32_e32 v14, 0
	v_mov_b32_e32 v15, 0
	s_and_saveexec_b64 s[14:15], vcc
	s_cbranch_execz .LBB507_952
; %bb.947:                              ;   in Loop: Header=BB507_796 Depth=1
	v_cmp_ne_u16_e32 vcc, s5, v8
	v_bfrev_b32_e32 v15, 1
	s_and_saveexec_b64 s[16:17], vcc
	s_cbranch_execz .LBB507_951
; %bb.948:                              ;   in Loop: Header=BB507_796 Depth=1
	v_and_b32_e32 v13, 0x7f, v8
	v_cmp_ne_u32_e32 vcc, s21, v13
	v_mov_b32_e32 v15, 0x7f800001
	s_and_saveexec_b64 s[18:19], vcc
	s_cbranch_execz .LBB507_950
; %bb.949:                              ;   in Loop: Header=BB507_796 Depth=1
	v_and_b32_e32 v15, 7, v8
	v_ffbh_u32_e32 v16, v15
	v_min_u32_e32 v19, 32, v16
	v_subrev_u32_e32 v16, 28, v19
	v_lshlrev_b64 v[16:17], v16, v[8:9]
	v_lshrrev_b32_e32 v18, 3, v13
	v_sub_u32_e32 v8, 29, v19
	v_and_b32_e32 v16, 7, v16
	v_cmp_gt_u32_e32 vcc, 8, v13
	v_cndmask_b32_e32 v8, v18, v8, vcc
	v_cndmask_b32_e32 v13, v15, v16, vcc
	v_lshlrev_b32_e32 v15, 16, v6
	v_lshlrev_b32_e32 v13, 20, v13
	v_and_b32_e32 v15, 0x80000000, v15
	v_lshl_add_u32 v8, v8, 23, v10
	v_or3_b32 v15, v15, v8, v13
.LBB507_950:                            ;   in Loop: Header=BB507_796 Depth=1
	s_or_b64 exec, exec, s[18:19]
.LBB507_951:                            ;   in Loop: Header=BB507_796 Depth=1
	s_or_b64 exec, exec, s[16:17]
.LBB507_952:                            ;   in Loop: Header=BB507_796 Depth=1
	s_or_b64 exec, exec, s[14:15]
	v_lshrrev_b32_e32 v8, 16, v6
	v_cmp_ne_u16_sdwa s[16:17], v8, v9 src0_sel:BYTE_0 src1_sel:DWORD
	s_and_saveexec_b64 s[14:15], s[16:17]
	s_cbranch_execz .LBB507_958
; %bb.953:                              ;   in Loop: Header=BB507_796 Depth=1
	v_cmp_ne_u16_sdwa s[18:19], v8, s5 src0_sel:BYTE_0 src1_sel:DWORD
	v_bfrev_b32_e32 v14, 1
	s_and_saveexec_b64 s[16:17], s[18:19]
	s_cbranch_execz .LBB507_957
; %bb.954:                              ;   in Loop: Header=BB507_796 Depth=1
	v_bfe_u32 v13, v6, 16, 7
	v_cmp_ne_u32_e32 vcc, s21, v13
	v_mov_b32_e32 v14, 0x7f800001
	s_and_saveexec_b64 s[18:19], vcc
	s_cbranch_execz .LBB507_956
; %bb.955:                              ;   in Loop: Header=BB507_796 Depth=1
	v_and_b32_e32 v14, 7, v8
	v_ffbh_u32_e32 v16, v14
	v_min_u32_e32 v19, 32, v16
	v_subrev_u32_e32 v16, 28, v19
	v_lshlrev_b64 v[16:17], v16, v[8:9]
	v_lshrrev_b32_e32 v18, 3, v13
	v_sub_u32_e32 v17, 29, v19
	v_and_b32_e32 v16, 7, v16
	v_cmp_gt_u32_e32 vcc, 8, v13
	v_cndmask_b32_e32 v13, v18, v17, vcc
	v_cndmask_b32_e32 v14, v14, v16, vcc
	v_lshlrev_b32_e32 v8, 24, v8
	v_lshlrev_b32_e32 v14, 20, v14
	v_and_b32_e32 v8, 0x80000000, v8
	v_lshl_add_u32 v13, v13, 23, v10
	v_or3_b32 v14, v8, v13, v14
.LBB507_956:                            ;   in Loop: Header=BB507_796 Depth=1
	s_or_b64 exec, exec, s[18:19]
.LBB507_957:                            ;   in Loop: Header=BB507_796 Depth=1
	s_or_b64 exec, exec, s[16:17]
.LBB507_958:                            ;   in Loop: Header=BB507_796 Depth=1
	s_or_b64 exec, exec, s[14:15]
	v_cmp_lt_u32_e32 vcc, s22, v6
	v_mov_b32_e32 v16, 0
	v_mov_b32_e32 v17, 0
	s_and_saveexec_b64 s[14:15], vcc
	s_cbranch_execz .LBB507_964
; %bb.959:                              ;   in Loop: Header=BB507_796 Depth=1
	v_lshrrev_b32_e32 v8, 24, v6
	v_cmp_ne_u32_e32 vcc, s5, v8
	v_bfrev_b32_e32 v17, 1
	s_and_saveexec_b64 s[16:17], vcc
	s_cbranch_execz .LBB507_963
; %bb.960:                              ;   in Loop: Header=BB507_796 Depth=1
	v_bfe_u32 v6, v6, 24, 7
	v_cmp_ne_u32_e32 vcc, s21, v6
	v_mov_b32_e32 v17, 0x7f800001
	s_and_saveexec_b64 s[18:19], vcc
	s_cbranch_execz .LBB507_962
; %bb.961:                              ;   in Loop: Header=BB507_796 Depth=1
	v_and_b32_e32 v13, 7, v8
	v_ffbh_u32_e32 v18, v13
	v_min_u32_e32 v20, 32, v18
	v_subrev_u32_e32 v18, 28, v20
	v_lshlrev_b64 v[18:19], v18, v[8:9]
	v_lshrrev_b32_e32 v17, 3, v6
	v_sub_u32_e32 v19, 29, v20
	v_and_b32_e32 v18, 7, v18
	v_cmp_gt_u32_e32 vcc, 8, v6
	v_cndmask_b32_e32 v6, v17, v19, vcc
	v_cndmask_b32_e32 v13, v13, v18, vcc
	v_lshlrev_b32_e32 v8, 24, v8
	v_lshlrev_b32_e32 v13, 20, v13
	v_and_b32_e32 v8, 0x80000000, v8
	v_lshl_add_u32 v6, v6, 23, v10
	v_or3_b32 v17, v8, v6, v13
.LBB507_962:                            ;   in Loop: Header=BB507_796 Depth=1
	s_or_b64 exec, exec, s[18:19]
.LBB507_963:                            ;   in Loop: Header=BB507_796 Depth=1
	s_or_b64 exec, exec, s[16:17]
.LBB507_964:                            ;   in Loop: Header=BB507_796 Depth=1
	s_or_b64 exec, exec, s[14:15]
	s_waitcnt vmcnt(0)
	v_cmp_ne_u16_sdwa s[16:17], v4, v9 src0_sel:BYTE_0 src1_sel:DWORD
	s_and_saveexec_b64 s[14:15], s[16:17]
	s_cbranch_execz .LBB507_970
; %bb.965:                              ;   in Loop: Header=BB507_796 Depth=1
	v_cmp_ne_u16_sdwa s[18:19], v4, s5 src0_sel:BYTE_0 src1_sel:DWORD
	v_bfrev_b32_e32 v16, 1
	s_and_saveexec_b64 s[16:17], s[18:19]
	s_cbranch_execz .LBB507_969
; %bb.966:                              ;   in Loop: Header=BB507_796 Depth=1
	v_and_b32_e32 v6, 0x7f, v4
	v_cmp_ne_u32_e32 vcc, s21, v6
	v_mov_b32_e32 v16, 0x7f800001
	s_and_saveexec_b64 s[18:19], vcc
	s_cbranch_execz .LBB507_968
; %bb.967:                              ;   in Loop: Header=BB507_796 Depth=1
	v_and_b32_e32 v8, 7, v4
	v_ffbh_u32_e32 v16, v8
	v_min_u32_e32 v16, 32, v16
	v_subrev_u32_e32 v18, 28, v16
	v_lshlrev_b64 v[18:19], v18, v[4:5]
	v_lshrrev_b32_e32 v13, 3, v6
	v_sub_u32_e32 v16, 29, v16
	v_and_b32_e32 v18, 7, v18
	v_cmp_gt_u32_e32 vcc, 8, v6
	v_cndmask_b32_e32 v6, v13, v16, vcc
	v_cndmask_b32_e32 v8, v8, v18, vcc
	v_lshlrev_b32_e32 v13, 24, v4
	v_lshlrev_b32_e32 v8, 20, v8
	v_and_b32_e32 v13, 0x80000000, v13
	v_lshl_add_u32 v6, v6, 23, v10
	v_or3_b32 v16, v13, v6, v8
.LBB507_968:                            ;   in Loop: Header=BB507_796 Depth=1
	s_or_b64 exec, exec, s[18:19]
.LBB507_969:                            ;   in Loop: Header=BB507_796 Depth=1
	s_or_b64 exec, exec, s[16:17]
.LBB507_970:                            ;   in Loop: Header=BB507_796 Depth=1
	s_or_b64 exec, exec, s[14:15]
	v_lshrrev_b16_e32 v6, 8, v4
	v_cmp_ne_u16_e32 vcc, 0, v6
	v_mov_b32_e32 v8, 0
	v_mov_b32_e32 v18, 0
	s_and_saveexec_b64 s[14:15], vcc
	s_cbranch_execz .LBB507_976
; %bb.971:                              ;   in Loop: Header=BB507_796 Depth=1
	v_cmp_ne_u16_e32 vcc, s5, v6
	v_bfrev_b32_e32 v18, 1
	s_and_saveexec_b64 s[16:17], vcc
	s_cbranch_execz .LBB507_975
; %bb.972:                              ;   in Loop: Header=BB507_796 Depth=1
	v_and_b32_e32 v13, 0x7f, v6
	v_cmp_ne_u32_e32 vcc, s21, v13
	v_mov_b32_e32 v18, 0x7f800001
	s_and_saveexec_b64 s[18:19], vcc
	s_cbranch_execz .LBB507_974
; %bb.973:                              ;   in Loop: Header=BB507_796 Depth=1
	v_and_b32_e32 v20, 7, v6
	v_ffbh_u32_e32 v18, v20
	v_min_u32_e32 v22, 32, v18
	v_subrev_u32_e32 v18, 28, v22
	v_lshlrev_b64 v[18:19], v18, v[6:7]
	v_lshrrev_b32_e32 v21, 3, v13
	v_sub_u32_e32 v6, 29, v22
	v_and_b32_e32 v18, 7, v18
	v_cmp_gt_u32_e32 vcc, 8, v13
	v_cndmask_b32_e32 v6, v21, v6, vcc
	v_cndmask_b32_e32 v13, v20, v18, vcc
	v_lshlrev_b32_e32 v18, 16, v4
	v_lshlrev_b32_e32 v13, 20, v13
	v_and_b32_e32 v18, 0x80000000, v18
	v_lshl_add_u32 v6, v6, 23, v10
	v_or3_b32 v18, v18, v6, v13
.LBB507_974:                            ;   in Loop: Header=BB507_796 Depth=1
	s_or_b64 exec, exec, s[18:19]
.LBB507_975:                            ;   in Loop: Header=BB507_796 Depth=1
	s_or_b64 exec, exec, s[16:17]
.LBB507_976:                            ;   in Loop: Header=BB507_796 Depth=1
	s_or_b64 exec, exec, s[14:15]
	v_lshrrev_b32_e32 v6, 16, v4
	v_cmp_ne_u16_sdwa s[16:17], v6, v9 src0_sel:BYTE_0 src1_sel:DWORD
	s_and_saveexec_b64 s[14:15], s[16:17]
	s_cbranch_execz .LBB507_982
; %bb.977:                              ;   in Loop: Header=BB507_796 Depth=1
	v_cmp_ne_u16_sdwa s[18:19], v6, s5 src0_sel:BYTE_0 src1_sel:DWORD
	v_bfrev_b32_e32 v8, 1
	s_and_saveexec_b64 s[16:17], s[18:19]
	s_cbranch_execz .LBB507_981
; %bb.978:                              ;   in Loop: Header=BB507_796 Depth=1
	v_bfe_u32 v13, v4, 16, 7
	v_cmp_ne_u32_e32 vcc, s21, v13
	v_mov_b32_e32 v8, 0x7f800001
	s_and_saveexec_b64 s[18:19], vcc
	s_cbranch_execz .LBB507_980
; %bb.979:                              ;   in Loop: Header=BB507_796 Depth=1
	v_and_b32_e32 v8, 7, v6
	v_ffbh_u32_e32 v20, v8
	v_min_u32_e32 v22, 32, v20
	v_subrev_u32_e32 v20, 28, v22
	v_lshlrev_b64 v[20:21], v20, v[6:7]
	v_lshrrev_b32_e32 v19, 3, v13
	v_sub_u32_e32 v21, 29, v22
	v_and_b32_e32 v20, 7, v20
	v_cmp_gt_u32_e32 vcc, 8, v13
	v_cndmask_b32_e32 v13, v19, v21, vcc
	v_cndmask_b32_e32 v8, v8, v20, vcc
	v_lshlrev_b32_e32 v6, 24, v6
	v_lshlrev_b32_e32 v8, 20, v8
	v_and_b32_e32 v6, 0x80000000, v6
	v_lshl_add_u32 v13, v13, 23, v10
	v_or3_b32 v8, v6, v13, v8
.LBB507_980:                            ;   in Loop: Header=BB507_796 Depth=1
	s_or_b64 exec, exec, s[18:19]
.LBB507_981:                            ;   in Loop: Header=BB507_796 Depth=1
	s_or_b64 exec, exec, s[16:17]
.LBB507_982:                            ;   in Loop: Header=BB507_796 Depth=1
	s_or_b64 exec, exec, s[14:15]
	v_cmp_lt_u32_e32 vcc, s22, v4
	v_mov_b32_e32 v13, 0
	v_mov_b32_e32 v19, 0
	s_and_saveexec_b64 s[14:15], vcc
	s_cbranch_execz .LBB507_988
; %bb.983:                              ;   in Loop: Header=BB507_796 Depth=1
	v_lshrrev_b32_e32 v6, 24, v4
	v_cmp_ne_u32_e32 vcc, s5, v6
	v_bfrev_b32_e32 v19, 1
	s_and_saveexec_b64 s[16:17], vcc
	s_cbranch_execz .LBB507_987
; %bb.984:                              ;   in Loop: Header=BB507_796 Depth=1
	v_bfe_u32 v4, v4, 24, 7
	v_cmp_ne_u32_e32 vcc, s21, v4
	v_mov_b32_e32 v19, 0x7f800001
	s_and_saveexec_b64 s[18:19], vcc
	s_cbranch_execz .LBB507_986
; %bb.985:                              ;   in Loop: Header=BB507_796 Depth=1
	v_and_b32_e32 v19, 7, v6
	v_ffbh_u32_e32 v20, v19
	v_min_u32_e32 v23, 32, v20
	v_subrev_u32_e32 v20, 28, v23
	v_lshlrev_b64 v[20:21], v20, v[6:7]
	v_lshrrev_b32_e32 v22, 3, v4
	v_sub_u32_e32 v21, 29, v23
	v_and_b32_e32 v20, 7, v20
	v_cmp_gt_u32_e32 vcc, 8, v4
	v_cndmask_b32_e32 v4, v22, v21, vcc
	v_cndmask_b32_e32 v19, v19, v20, vcc
	v_lshlrev_b32_e32 v6, 24, v6
	v_lshlrev_b32_e32 v19, 20, v19
	v_and_b32_e32 v6, 0x80000000, v6
	v_lshl_add_u32 v4, v4, 23, v10
	v_or3_b32 v19, v6, v4, v19
.LBB507_986:                            ;   in Loop: Header=BB507_796 Depth=1
	s_or_b64 exec, exec, s[18:19]
.LBB507_987:                            ;   in Loop: Header=BB507_796 Depth=1
	s_or_b64 exec, exec, s[16:17]
.LBB507_988:                            ;   in Loop: Header=BB507_796 Depth=1
	s_or_b64 exec, exec, s[14:15]
	buffer_load_dword v6, v11, s[0:3], 0 offen offset:32
	buffer_load_dword v4, v11, s[0:3], 0 offen offset:36
	v_cvt_pkrtz_f16_f32 v20, v12, v15
	v_cvt_pkrtz_f16_f32 v21, v14, v17
	;; [unrolled: 1-line block ×4, first 2 shown]
	v_mfma_f32_4x4x4f16 a[0:3], v[2:3], v[20:21], a[0:3] cbsz:4 abid:6
	s_waitcnt vmcnt(1)
	v_cmp_ne_u16_sdwa s[16:17], v6, v9 src0_sel:BYTE_0 src1_sel:DWORD
	v_mfma_f32_4x4x4f16 a[0:3], v[2:3], v[14:15], a[0:3] cbsz:4 abid:7
	s_and_saveexec_b64 s[14:15], s[16:17]
	s_cbranch_execz .LBB507_994
; %bb.989:                              ;   in Loop: Header=BB507_796 Depth=1
	v_cmp_ne_u16_sdwa s[18:19], v6, s5 src0_sel:BYTE_0 src1_sel:DWORD
	v_bfrev_b32_e32 v13, 1
	s_and_saveexec_b64 s[16:17], s[18:19]
	s_cbranch_execz .LBB507_993
; %bb.990:                              ;   in Loop: Header=BB507_796 Depth=1
	v_and_b32_e32 v8, 0x7f, v6
	v_cmp_ne_u32_e32 vcc, s21, v8
	v_mov_b32_e32 v13, 0x7f800001
	s_and_saveexec_b64 s[18:19], vcc
	s_cbranch_execz .LBB507_992
; %bb.991:                              ;   in Loop: Header=BB507_796 Depth=1
	v_and_b32_e32 v14, 7, v6
	v_ffbh_u32_e32 v12, v14
	v_min_u32_e32 v16, 32, v12
	v_subrev_u32_e32 v12, 28, v16
	v_lshlrev_b64 v[12:13], v12, v[6:7]
	v_lshrrev_b32_e32 v15, 3, v8
	v_sub_u32_e32 v13, 29, v16
	v_and_b32_e32 v12, 7, v12
	v_cmp_gt_u32_e32 vcc, 8, v8
	v_cndmask_b32_e32 v8, v15, v13, vcc
	v_cndmask_b32_e32 v12, v14, v12, vcc
	v_lshlrev_b32_e32 v13, 24, v6
	v_lshlrev_b32_e32 v12, 20, v12
	v_and_b32_e32 v13, 0x80000000, v13
	v_lshl_add_u32 v8, v8, 23, v10
	v_or3_b32 v13, v13, v8, v12
.LBB507_992:                            ;   in Loop: Header=BB507_796 Depth=1
	s_or_b64 exec, exec, s[18:19]
.LBB507_993:                            ;   in Loop: Header=BB507_796 Depth=1
	s_or_b64 exec, exec, s[16:17]
.LBB507_994:                            ;   in Loop: Header=BB507_796 Depth=1
	s_or_b64 exec, exec, s[14:15]
	v_lshrrev_b16_e32 v8, 8, v6
	v_cmp_ne_u16_e32 vcc, 0, v8
	v_mov_b32_e32 v12, 0
	v_mov_b32_e32 v15, 0
	s_and_saveexec_b64 s[14:15], vcc
	s_cbranch_execz .LBB507_1000
; %bb.995:                              ;   in Loop: Header=BB507_796 Depth=1
	v_cmp_ne_u16_e32 vcc, s5, v8
	v_bfrev_b32_e32 v15, 1
	s_and_saveexec_b64 s[16:17], vcc
	s_cbranch_execz .LBB507_999
; %bb.996:                              ;   in Loop: Header=BB507_796 Depth=1
	v_and_b32_e32 v14, 0x7f, v8
	v_cmp_ne_u32_e32 vcc, s21, v14
	v_mov_b32_e32 v15, 0x7f800001
	s_and_saveexec_b64 s[18:19], vcc
	s_cbranch_execz .LBB507_998
; %bb.997:                              ;   in Loop: Header=BB507_796 Depth=1
	v_and_b32_e32 v15, 7, v8
	v_ffbh_u32_e32 v16, v15
	v_min_u32_e32 v19, 32, v16
	v_subrev_u32_e32 v16, 28, v19
	v_lshlrev_b64 v[16:17], v16, v[8:9]
	v_lshrrev_b32_e32 v18, 3, v14
	v_sub_u32_e32 v8, 29, v19
	v_and_b32_e32 v16, 7, v16
	v_cmp_gt_u32_e32 vcc, 8, v14
	v_cndmask_b32_e32 v8, v18, v8, vcc
	v_cndmask_b32_e32 v14, v15, v16, vcc
	v_lshlrev_b32_e32 v15, 16, v6
	v_lshlrev_b32_e32 v14, 20, v14
	v_and_b32_e32 v15, 0x80000000, v15
	v_lshl_add_u32 v8, v8, 23, v10
	v_or3_b32 v15, v15, v8, v14
.LBB507_998:                            ;   in Loop: Header=BB507_796 Depth=1
	s_or_b64 exec, exec, s[18:19]
.LBB507_999:                            ;   in Loop: Header=BB507_796 Depth=1
	s_or_b64 exec, exec, s[16:17]
.LBB507_1000:                           ;   in Loop: Header=BB507_796 Depth=1
	s_or_b64 exec, exec, s[14:15]
	v_lshrrev_b32_e32 v8, 16, v6
	v_cmp_ne_u16_sdwa s[16:17], v8, v9 src0_sel:BYTE_0 src1_sel:DWORD
	s_and_saveexec_b64 s[14:15], s[16:17]
	s_cbranch_execz .LBB507_1006
; %bb.1001:                             ;   in Loop: Header=BB507_796 Depth=1
	v_cmp_ne_u16_sdwa s[18:19], v8, s5 src0_sel:BYTE_0 src1_sel:DWORD
	v_bfrev_b32_e32 v12, 1
	s_and_saveexec_b64 s[16:17], s[18:19]
	s_cbranch_execz .LBB507_1005
; %bb.1002:                             ;   in Loop: Header=BB507_796 Depth=1
	v_bfe_u32 v14, v6, 16, 7
	v_cmp_ne_u32_e32 vcc, s21, v14
	v_mov_b32_e32 v12, 0x7f800001
	s_and_saveexec_b64 s[18:19], vcc
	s_cbranch_execz .LBB507_1004
; %bb.1003:                             ;   in Loop: Header=BB507_796 Depth=1
	v_and_b32_e32 v12, 7, v8
	v_ffbh_u32_e32 v16, v12
	v_min_u32_e32 v19, 32, v16
	v_subrev_u32_e32 v16, 28, v19
	v_lshlrev_b64 v[16:17], v16, v[8:9]
	v_lshrrev_b32_e32 v18, 3, v14
	v_sub_u32_e32 v17, 29, v19
	v_and_b32_e32 v16, 7, v16
	v_cmp_gt_u32_e32 vcc, 8, v14
	v_cndmask_b32_e32 v14, v18, v17, vcc
	v_cndmask_b32_e32 v12, v12, v16, vcc
	v_lshlrev_b32_e32 v8, 24, v8
	v_lshlrev_b32_e32 v12, 20, v12
	v_and_b32_e32 v8, 0x80000000, v8
	v_lshl_add_u32 v14, v14, 23, v10
	v_or3_b32 v12, v8, v14, v12
.LBB507_1004:                           ;   in Loop: Header=BB507_796 Depth=1
	s_or_b64 exec, exec, s[18:19]
.LBB507_1005:                           ;   in Loop: Header=BB507_796 Depth=1
	s_or_b64 exec, exec, s[16:17]
.LBB507_1006:                           ;   in Loop: Header=BB507_796 Depth=1
	s_or_b64 exec, exec, s[14:15]
	v_cmp_lt_u32_e32 vcc, s22, v6
	v_mov_b32_e32 v16, 0
	v_mov_b32_e32 v17, 0
	s_and_saveexec_b64 s[14:15], vcc
	s_cbranch_execz .LBB507_1012
; %bb.1007:                             ;   in Loop: Header=BB507_796 Depth=1
	v_lshrrev_b32_e32 v8, 24, v6
	v_cmp_ne_u32_e32 vcc, s5, v8
	v_bfrev_b32_e32 v17, 1
	s_and_saveexec_b64 s[16:17], vcc
	s_cbranch_execz .LBB507_1011
; %bb.1008:                             ;   in Loop: Header=BB507_796 Depth=1
	v_bfe_u32 v6, v6, 24, 7
	v_cmp_ne_u32_e32 vcc, s21, v6
	v_mov_b32_e32 v17, 0x7f800001
	s_and_saveexec_b64 s[18:19], vcc
	s_cbranch_execz .LBB507_1010
; %bb.1009:                             ;   in Loop: Header=BB507_796 Depth=1
	v_and_b32_e32 v14, 7, v8
	v_ffbh_u32_e32 v18, v14
	v_min_u32_e32 v20, 32, v18
	v_subrev_u32_e32 v18, 28, v20
	v_lshlrev_b64 v[18:19], v18, v[8:9]
	v_lshrrev_b32_e32 v17, 3, v6
	v_sub_u32_e32 v19, 29, v20
	v_and_b32_e32 v18, 7, v18
	v_cmp_gt_u32_e32 vcc, 8, v6
	v_cndmask_b32_e32 v6, v17, v19, vcc
	v_cndmask_b32_e32 v14, v14, v18, vcc
	v_lshlrev_b32_e32 v8, 24, v8
	v_lshlrev_b32_e32 v14, 20, v14
	v_and_b32_e32 v8, 0x80000000, v8
	v_lshl_add_u32 v6, v6, 23, v10
	v_or3_b32 v17, v8, v6, v14
.LBB507_1010:                           ;   in Loop: Header=BB507_796 Depth=1
	s_or_b64 exec, exec, s[18:19]
.LBB507_1011:                           ;   in Loop: Header=BB507_796 Depth=1
	s_or_b64 exec, exec, s[16:17]
.LBB507_1012:                           ;   in Loop: Header=BB507_796 Depth=1
	s_or_b64 exec, exec, s[14:15]
	s_waitcnt vmcnt(0)
	v_cmp_ne_u16_sdwa s[16:17], v4, v9 src0_sel:BYTE_0 src1_sel:DWORD
	s_and_saveexec_b64 s[14:15], s[16:17]
	s_cbranch_execz .LBB507_1018
; %bb.1013:                             ;   in Loop: Header=BB507_796 Depth=1
	v_cmp_ne_u16_sdwa s[18:19], v4, s5 src0_sel:BYTE_0 src1_sel:DWORD
	v_bfrev_b32_e32 v16, 1
	s_and_saveexec_b64 s[16:17], s[18:19]
	s_cbranch_execz .LBB507_1017
; %bb.1014:                             ;   in Loop: Header=BB507_796 Depth=1
	v_and_b32_e32 v6, 0x7f, v4
	v_cmp_ne_u32_e32 vcc, s21, v6
	v_mov_b32_e32 v16, 0x7f800001
	s_and_saveexec_b64 s[18:19], vcc
	s_cbranch_execz .LBB507_1016
; %bb.1015:                             ;   in Loop: Header=BB507_796 Depth=1
	v_and_b32_e32 v8, 7, v4
	v_ffbh_u32_e32 v16, v8
	v_min_u32_e32 v16, 32, v16
	v_subrev_u32_e32 v18, 28, v16
	v_lshlrev_b64 v[18:19], v18, v[4:5]
	v_lshrrev_b32_e32 v14, 3, v6
	v_sub_u32_e32 v16, 29, v16
	v_and_b32_e32 v18, 7, v18
	v_cmp_gt_u32_e32 vcc, 8, v6
	v_cndmask_b32_e32 v6, v14, v16, vcc
	v_cndmask_b32_e32 v8, v8, v18, vcc
	v_lshlrev_b32_e32 v14, 24, v4
	v_lshlrev_b32_e32 v8, 20, v8
	v_and_b32_e32 v14, 0x80000000, v14
	v_lshl_add_u32 v6, v6, 23, v10
	v_or3_b32 v16, v14, v6, v8
.LBB507_1016:                           ;   in Loop: Header=BB507_796 Depth=1
	s_or_b64 exec, exec, s[18:19]
.LBB507_1017:                           ;   in Loop: Header=BB507_796 Depth=1
	s_or_b64 exec, exec, s[16:17]
.LBB507_1018:                           ;   in Loop: Header=BB507_796 Depth=1
	s_or_b64 exec, exec, s[14:15]
	v_lshrrev_b16_e32 v6, 8, v4
	v_cmp_ne_u16_e32 vcc, 0, v6
	v_mov_b32_e32 v8, 0
	v_mov_b32_e32 v18, 0
	s_and_saveexec_b64 s[14:15], vcc
	s_cbranch_execz .LBB507_1024
; %bb.1019:                             ;   in Loop: Header=BB507_796 Depth=1
	v_cmp_ne_u16_e32 vcc, s5, v6
	v_bfrev_b32_e32 v18, 1
	s_and_saveexec_b64 s[16:17], vcc
	s_cbranch_execz .LBB507_1023
; %bb.1020:                             ;   in Loop: Header=BB507_796 Depth=1
	v_and_b32_e32 v14, 0x7f, v6
	v_cmp_ne_u32_e32 vcc, s21, v14
	v_mov_b32_e32 v18, 0x7f800001
	s_and_saveexec_b64 s[18:19], vcc
	s_cbranch_execz .LBB507_1022
; %bb.1021:                             ;   in Loop: Header=BB507_796 Depth=1
	v_and_b32_e32 v20, 7, v6
	v_ffbh_u32_e32 v18, v20
	v_min_u32_e32 v22, 32, v18
	v_subrev_u32_e32 v18, 28, v22
	v_lshlrev_b64 v[18:19], v18, v[6:7]
	v_lshrrev_b32_e32 v21, 3, v14
	v_sub_u32_e32 v6, 29, v22
	v_and_b32_e32 v18, 7, v18
	v_cmp_gt_u32_e32 vcc, 8, v14
	v_cndmask_b32_e32 v6, v21, v6, vcc
	v_cndmask_b32_e32 v14, v20, v18, vcc
	v_lshlrev_b32_e32 v18, 16, v4
	v_lshlrev_b32_e32 v14, 20, v14
	v_and_b32_e32 v18, 0x80000000, v18
	v_lshl_add_u32 v6, v6, 23, v10
	v_or3_b32 v18, v18, v6, v14
.LBB507_1022:                           ;   in Loop: Header=BB507_796 Depth=1
	s_or_b64 exec, exec, s[18:19]
.LBB507_1023:                           ;   in Loop: Header=BB507_796 Depth=1
	s_or_b64 exec, exec, s[16:17]
.LBB507_1024:                           ;   in Loop: Header=BB507_796 Depth=1
	s_or_b64 exec, exec, s[14:15]
	v_lshrrev_b32_e32 v6, 16, v4
	v_cmp_ne_u16_sdwa s[16:17], v6, v9 src0_sel:BYTE_0 src1_sel:DWORD
	s_and_saveexec_b64 s[14:15], s[16:17]
	s_cbranch_execz .LBB507_1030
; %bb.1025:                             ;   in Loop: Header=BB507_796 Depth=1
	v_cmp_ne_u16_sdwa s[18:19], v6, s5 src0_sel:BYTE_0 src1_sel:DWORD
	v_bfrev_b32_e32 v8, 1
	s_and_saveexec_b64 s[16:17], s[18:19]
	s_cbranch_execz .LBB507_1029
; %bb.1026:                             ;   in Loop: Header=BB507_796 Depth=1
	v_bfe_u32 v14, v4, 16, 7
	v_cmp_ne_u32_e32 vcc, s21, v14
	v_mov_b32_e32 v8, 0x7f800001
	s_and_saveexec_b64 s[18:19], vcc
	s_cbranch_execz .LBB507_1028
; %bb.1027:                             ;   in Loop: Header=BB507_796 Depth=1
	v_and_b32_e32 v8, 7, v6
	v_ffbh_u32_e32 v20, v8
	v_min_u32_e32 v22, 32, v20
	v_subrev_u32_e32 v20, 28, v22
	v_lshlrev_b64 v[20:21], v20, v[6:7]
	v_lshrrev_b32_e32 v19, 3, v14
	v_sub_u32_e32 v21, 29, v22
	v_and_b32_e32 v20, 7, v20
	v_cmp_gt_u32_e32 vcc, 8, v14
	v_cndmask_b32_e32 v14, v19, v21, vcc
	v_cndmask_b32_e32 v8, v8, v20, vcc
	v_lshlrev_b32_e32 v6, 24, v6
	v_lshlrev_b32_e32 v8, 20, v8
	v_and_b32_e32 v6, 0x80000000, v6
	v_lshl_add_u32 v14, v14, 23, v10
	v_or3_b32 v8, v6, v14, v8
.LBB507_1028:                           ;   in Loop: Header=BB507_796 Depth=1
	s_or_b64 exec, exec, s[18:19]
.LBB507_1029:                           ;   in Loop: Header=BB507_796 Depth=1
	s_or_b64 exec, exec, s[16:17]
.LBB507_1030:                           ;   in Loop: Header=BB507_796 Depth=1
	s_or_b64 exec, exec, s[14:15]
	v_cmp_lt_u32_e32 vcc, s22, v4
	v_mov_b32_e32 v14, 0
	v_mov_b32_e32 v19, 0
	s_and_saveexec_b64 s[14:15], vcc
	s_cbranch_execz .LBB507_1036
; %bb.1031:                             ;   in Loop: Header=BB507_796 Depth=1
	v_lshrrev_b32_e32 v6, 24, v4
	v_cmp_ne_u32_e32 vcc, s5, v6
	v_bfrev_b32_e32 v19, 1
	s_and_saveexec_b64 s[16:17], vcc
	s_cbranch_execz .LBB507_1035
; %bb.1032:                             ;   in Loop: Header=BB507_796 Depth=1
	v_bfe_u32 v4, v4, 24, 7
	v_cmp_ne_u32_e32 vcc, s21, v4
	v_mov_b32_e32 v19, 0x7f800001
	s_and_saveexec_b64 s[18:19], vcc
	s_cbranch_execz .LBB507_1034
; %bb.1033:                             ;   in Loop: Header=BB507_796 Depth=1
	v_and_b32_e32 v19, 7, v6
	v_ffbh_u32_e32 v20, v19
	v_min_u32_e32 v23, 32, v20
	v_subrev_u32_e32 v20, 28, v23
	v_lshlrev_b64 v[20:21], v20, v[6:7]
	v_lshrrev_b32_e32 v22, 3, v4
	v_sub_u32_e32 v21, 29, v23
	v_and_b32_e32 v20, 7, v20
	v_cmp_gt_u32_e32 vcc, 8, v4
	v_cndmask_b32_e32 v4, v22, v21, vcc
	v_cndmask_b32_e32 v19, v19, v20, vcc
	v_lshlrev_b32_e32 v6, 24, v6
	v_lshlrev_b32_e32 v19, 20, v19
	v_and_b32_e32 v6, 0x80000000, v6
	v_lshl_add_u32 v4, v4, 23, v10
	v_or3_b32 v19, v6, v4, v19
.LBB507_1034:                           ;   in Loop: Header=BB507_796 Depth=1
	s_or_b64 exec, exec, s[18:19]
.LBB507_1035:                           ;   in Loop: Header=BB507_796 Depth=1
	s_or_b64 exec, exec, s[16:17]
.LBB507_1036:                           ;   in Loop: Header=BB507_796 Depth=1
	s_or_b64 exec, exec, s[14:15]
	buffer_load_dword v6, v11, s[0:3], 0 offen offset:40
	buffer_load_dword v4, v11, s[0:3], 0 offen offset:44
	v_cvt_pkrtz_f16_f32 v20, v13, v15
	v_cvt_pkrtz_f16_f32 v21, v12, v17
	v_cvt_pkrtz_f16_f32 v12, v16, v18
	v_cvt_pkrtz_f16_f32 v13, v8, v19
	v_mfma_f32_4x4x4f16 a[0:3], v[2:3], v[20:21], a[0:3] cbsz:4 abid:8
	s_waitcnt vmcnt(1)
	v_cmp_ne_u16_sdwa s[16:17], v6, v9 src0_sel:BYTE_0 src1_sel:DWORD
	v_mfma_f32_4x4x4f16 a[0:3], v[2:3], v[12:13], a[0:3] cbsz:4 abid:9
	s_and_saveexec_b64 s[14:15], s[16:17]
	s_cbranch_execz .LBB507_1042
; %bb.1037:                             ;   in Loop: Header=BB507_796 Depth=1
	v_cmp_ne_u16_sdwa s[18:19], v6, s5 src0_sel:BYTE_0 src1_sel:DWORD
	v_bfrev_b32_e32 v14, 1
	s_and_saveexec_b64 s[16:17], s[18:19]
	s_cbranch_execz .LBB507_1041
; %bb.1038:                             ;   in Loop: Header=BB507_796 Depth=1
	v_and_b32_e32 v8, 0x7f, v6
	v_cmp_ne_u32_e32 vcc, s21, v8
	v_mov_b32_e32 v14, 0x7f800001
	s_and_saveexec_b64 s[18:19], vcc
	s_cbranch_execz .LBB507_1040
; %bb.1039:                             ;   in Loop: Header=BB507_796 Depth=1
	v_and_b32_e32 v14, 7, v6
	v_ffbh_u32_e32 v12, v14
	v_min_u32_e32 v16, 32, v12
	v_subrev_u32_e32 v12, 28, v16
	v_lshlrev_b64 v[12:13], v12, v[6:7]
	v_lshrrev_b32_e32 v15, 3, v8
	v_sub_u32_e32 v13, 29, v16
	v_and_b32_e32 v12, 7, v12
	v_cmp_gt_u32_e32 vcc, 8, v8
	v_cndmask_b32_e32 v8, v15, v13, vcc
	v_cndmask_b32_e32 v12, v14, v12, vcc
	v_lshlrev_b32_e32 v13, 24, v6
	v_lshlrev_b32_e32 v12, 20, v12
	v_and_b32_e32 v13, 0x80000000, v13
	v_lshl_add_u32 v8, v8, 23, v10
	v_or3_b32 v14, v13, v8, v12
.LBB507_1040:                           ;   in Loop: Header=BB507_796 Depth=1
	s_or_b64 exec, exec, s[18:19]
.LBB507_1041:                           ;   in Loop: Header=BB507_796 Depth=1
	s_or_b64 exec, exec, s[16:17]
.LBB507_1042:                           ;   in Loop: Header=BB507_796 Depth=1
	s_or_b64 exec, exec, s[14:15]
	v_lshrrev_b16_e32 v8, 8, v6
	v_cmp_ne_u16_e32 vcc, 0, v8
	v_mov_b32_e32 v13, 0
	v_mov_b32_e32 v15, 0
	s_and_saveexec_b64 s[14:15], vcc
	s_cbranch_execz .LBB507_1048
; %bb.1043:                             ;   in Loop: Header=BB507_796 Depth=1
	v_cmp_ne_u16_e32 vcc, s5, v8
	v_bfrev_b32_e32 v15, 1
	s_and_saveexec_b64 s[16:17], vcc
	s_cbranch_execz .LBB507_1047
; %bb.1044:                             ;   in Loop: Header=BB507_796 Depth=1
	v_and_b32_e32 v12, 0x7f, v8
	v_cmp_ne_u32_e32 vcc, s21, v12
	v_mov_b32_e32 v15, 0x7f800001
	s_and_saveexec_b64 s[18:19], vcc
	s_cbranch_execz .LBB507_1046
; %bb.1045:                             ;   in Loop: Header=BB507_796 Depth=1
	v_and_b32_e32 v15, 7, v8
	v_ffbh_u32_e32 v16, v15
	v_min_u32_e32 v19, 32, v16
	v_subrev_u32_e32 v16, 28, v19
	v_lshlrev_b64 v[16:17], v16, v[8:9]
	v_lshrrev_b32_e32 v18, 3, v12
	v_sub_u32_e32 v8, 29, v19
	v_and_b32_e32 v16, 7, v16
	v_cmp_gt_u32_e32 vcc, 8, v12
	v_cndmask_b32_e32 v8, v18, v8, vcc
	v_cndmask_b32_e32 v12, v15, v16, vcc
	v_lshlrev_b32_e32 v15, 16, v6
	v_lshlrev_b32_e32 v12, 20, v12
	v_and_b32_e32 v15, 0x80000000, v15
	v_lshl_add_u32 v8, v8, 23, v10
	v_or3_b32 v15, v15, v8, v12
.LBB507_1046:                           ;   in Loop: Header=BB507_796 Depth=1
	s_or_b64 exec, exec, s[18:19]
.LBB507_1047:                           ;   in Loop: Header=BB507_796 Depth=1
	s_or_b64 exec, exec, s[16:17]
.LBB507_1048:                           ;   in Loop: Header=BB507_796 Depth=1
	s_or_b64 exec, exec, s[14:15]
	v_lshrrev_b32_e32 v8, 16, v6
	v_cmp_ne_u16_sdwa s[16:17], v8, v9 src0_sel:BYTE_0 src1_sel:DWORD
	s_and_saveexec_b64 s[14:15], s[16:17]
	s_cbranch_execz .LBB507_1054
; %bb.1049:                             ;   in Loop: Header=BB507_796 Depth=1
	v_cmp_ne_u16_sdwa s[18:19], v8, s5 src0_sel:BYTE_0 src1_sel:DWORD
	v_bfrev_b32_e32 v13, 1
	s_and_saveexec_b64 s[16:17], s[18:19]
	s_cbranch_execz .LBB507_1053
; %bb.1050:                             ;   in Loop: Header=BB507_796 Depth=1
	v_bfe_u32 v12, v6, 16, 7
	v_cmp_ne_u32_e32 vcc, s21, v12
	v_mov_b32_e32 v13, 0x7f800001
	s_and_saveexec_b64 s[18:19], vcc
	s_cbranch_execz .LBB507_1052
; %bb.1051:                             ;   in Loop: Header=BB507_796 Depth=1
	v_and_b32_e32 v13, 7, v8
	v_ffbh_u32_e32 v16, v13
	v_min_u32_e32 v19, 32, v16
	v_subrev_u32_e32 v16, 28, v19
	v_lshlrev_b64 v[16:17], v16, v[8:9]
	v_lshrrev_b32_e32 v18, 3, v12
	v_sub_u32_e32 v17, 29, v19
	v_and_b32_e32 v16, 7, v16
	v_cmp_gt_u32_e32 vcc, 8, v12
	v_cndmask_b32_e32 v12, v18, v17, vcc
	v_cndmask_b32_e32 v13, v13, v16, vcc
	v_lshlrev_b32_e32 v8, 24, v8
	v_lshlrev_b32_e32 v13, 20, v13
	v_and_b32_e32 v8, 0x80000000, v8
	v_lshl_add_u32 v12, v12, 23, v10
	v_or3_b32 v13, v8, v12, v13
.LBB507_1052:                           ;   in Loop: Header=BB507_796 Depth=1
	s_or_b64 exec, exec, s[18:19]
.LBB507_1053:                           ;   in Loop: Header=BB507_796 Depth=1
	s_or_b64 exec, exec, s[16:17]
.LBB507_1054:                           ;   in Loop: Header=BB507_796 Depth=1
	s_or_b64 exec, exec, s[14:15]
	v_cmp_lt_u32_e32 vcc, s22, v6
	v_mov_b32_e32 v16, 0
	v_mov_b32_e32 v17, 0
	s_and_saveexec_b64 s[14:15], vcc
	s_cbranch_execz .LBB507_1060
; %bb.1055:                             ;   in Loop: Header=BB507_796 Depth=1
	v_lshrrev_b32_e32 v8, 24, v6
	v_cmp_ne_u32_e32 vcc, s5, v8
	v_bfrev_b32_e32 v17, 1
	s_and_saveexec_b64 s[16:17], vcc
	s_cbranch_execz .LBB507_1059
; %bb.1056:                             ;   in Loop: Header=BB507_796 Depth=1
	v_bfe_u32 v6, v6, 24, 7
	v_cmp_ne_u32_e32 vcc, s21, v6
	v_mov_b32_e32 v17, 0x7f800001
	s_and_saveexec_b64 s[18:19], vcc
	s_cbranch_execz .LBB507_1058
; %bb.1057:                             ;   in Loop: Header=BB507_796 Depth=1
	v_and_b32_e32 v12, 7, v8
	v_ffbh_u32_e32 v18, v12
	v_min_u32_e32 v20, 32, v18
	v_subrev_u32_e32 v18, 28, v20
	v_lshlrev_b64 v[18:19], v18, v[8:9]
	v_lshrrev_b32_e32 v17, 3, v6
	v_sub_u32_e32 v19, 29, v20
	v_and_b32_e32 v18, 7, v18
	v_cmp_gt_u32_e32 vcc, 8, v6
	v_cndmask_b32_e32 v6, v17, v19, vcc
	v_cndmask_b32_e32 v12, v12, v18, vcc
	v_lshlrev_b32_e32 v8, 24, v8
	v_lshlrev_b32_e32 v12, 20, v12
	v_and_b32_e32 v8, 0x80000000, v8
	v_lshl_add_u32 v6, v6, 23, v10
	v_or3_b32 v17, v8, v6, v12
.LBB507_1058:                           ;   in Loop: Header=BB507_796 Depth=1
	s_or_b64 exec, exec, s[18:19]
.LBB507_1059:                           ;   in Loop: Header=BB507_796 Depth=1
	s_or_b64 exec, exec, s[16:17]
.LBB507_1060:                           ;   in Loop: Header=BB507_796 Depth=1
	s_or_b64 exec, exec, s[14:15]
	s_waitcnt vmcnt(0)
	v_cmp_ne_u16_sdwa s[16:17], v4, v9 src0_sel:BYTE_0 src1_sel:DWORD
	s_and_saveexec_b64 s[14:15], s[16:17]
	s_cbranch_execz .LBB507_1066
; %bb.1061:                             ;   in Loop: Header=BB507_796 Depth=1
	v_cmp_ne_u16_sdwa s[18:19], v4, s5 src0_sel:BYTE_0 src1_sel:DWORD
	v_bfrev_b32_e32 v16, 1
	s_and_saveexec_b64 s[16:17], s[18:19]
	s_cbranch_execz .LBB507_1065
; %bb.1062:                             ;   in Loop: Header=BB507_796 Depth=1
	v_and_b32_e32 v6, 0x7f, v4
	v_cmp_ne_u32_e32 vcc, s21, v6
	v_mov_b32_e32 v16, 0x7f800001
	s_and_saveexec_b64 s[18:19], vcc
	s_cbranch_execz .LBB507_1064
; %bb.1063:                             ;   in Loop: Header=BB507_796 Depth=1
	v_and_b32_e32 v8, 7, v4
	v_ffbh_u32_e32 v16, v8
	v_min_u32_e32 v16, 32, v16
	v_subrev_u32_e32 v18, 28, v16
	v_lshlrev_b64 v[18:19], v18, v[4:5]
	v_lshrrev_b32_e32 v12, 3, v6
	v_sub_u32_e32 v16, 29, v16
	v_and_b32_e32 v18, 7, v18
	v_cmp_gt_u32_e32 vcc, 8, v6
	v_cndmask_b32_e32 v6, v12, v16, vcc
	v_cndmask_b32_e32 v8, v8, v18, vcc
	v_lshlrev_b32_e32 v12, 24, v4
	v_lshlrev_b32_e32 v8, 20, v8
	v_and_b32_e32 v12, 0x80000000, v12
	v_lshl_add_u32 v6, v6, 23, v10
	v_or3_b32 v16, v12, v6, v8
.LBB507_1064:                           ;   in Loop: Header=BB507_796 Depth=1
	s_or_b64 exec, exec, s[18:19]
.LBB507_1065:                           ;   in Loop: Header=BB507_796 Depth=1
	s_or_b64 exec, exec, s[16:17]
.LBB507_1066:                           ;   in Loop: Header=BB507_796 Depth=1
	s_or_b64 exec, exec, s[14:15]
	v_lshrrev_b16_e32 v6, 8, v4
	v_cmp_ne_u16_e32 vcc, 0, v6
	v_mov_b32_e32 v8, 0
	v_mov_b32_e32 v18, 0
	s_and_saveexec_b64 s[14:15], vcc
	s_cbranch_execz .LBB507_1072
; %bb.1067:                             ;   in Loop: Header=BB507_796 Depth=1
	v_cmp_ne_u16_e32 vcc, s5, v6
	v_bfrev_b32_e32 v18, 1
	s_and_saveexec_b64 s[16:17], vcc
	s_cbranch_execz .LBB507_1071
; %bb.1068:                             ;   in Loop: Header=BB507_796 Depth=1
	v_and_b32_e32 v12, 0x7f, v6
	v_cmp_ne_u32_e32 vcc, s21, v12
	v_mov_b32_e32 v18, 0x7f800001
	s_and_saveexec_b64 s[18:19], vcc
	s_cbranch_execz .LBB507_1070
; %bb.1069:                             ;   in Loop: Header=BB507_796 Depth=1
	v_and_b32_e32 v20, 7, v6
	v_ffbh_u32_e32 v18, v20
	v_min_u32_e32 v22, 32, v18
	v_subrev_u32_e32 v18, 28, v22
	v_lshlrev_b64 v[18:19], v18, v[6:7]
	v_lshrrev_b32_e32 v21, 3, v12
	v_sub_u32_e32 v6, 29, v22
	v_and_b32_e32 v18, 7, v18
	v_cmp_gt_u32_e32 vcc, 8, v12
	v_cndmask_b32_e32 v6, v21, v6, vcc
	v_cndmask_b32_e32 v12, v20, v18, vcc
	v_lshlrev_b32_e32 v18, 16, v4
	v_lshlrev_b32_e32 v12, 20, v12
	v_and_b32_e32 v18, 0x80000000, v18
	v_lshl_add_u32 v6, v6, 23, v10
	v_or3_b32 v18, v18, v6, v12
.LBB507_1070:                           ;   in Loop: Header=BB507_796 Depth=1
	s_or_b64 exec, exec, s[18:19]
.LBB507_1071:                           ;   in Loop: Header=BB507_796 Depth=1
	s_or_b64 exec, exec, s[16:17]
.LBB507_1072:                           ;   in Loop: Header=BB507_796 Depth=1
	s_or_b64 exec, exec, s[14:15]
	v_lshrrev_b32_e32 v6, 16, v4
	v_cmp_ne_u16_sdwa s[16:17], v6, v9 src0_sel:BYTE_0 src1_sel:DWORD
	s_and_saveexec_b64 s[14:15], s[16:17]
	s_cbranch_execz .LBB507_1078
; %bb.1073:                             ;   in Loop: Header=BB507_796 Depth=1
	v_cmp_ne_u16_sdwa s[18:19], v6, s5 src0_sel:BYTE_0 src1_sel:DWORD
	v_bfrev_b32_e32 v8, 1
	s_and_saveexec_b64 s[16:17], s[18:19]
	s_cbranch_execz .LBB507_1077
; %bb.1074:                             ;   in Loop: Header=BB507_796 Depth=1
	v_bfe_u32 v12, v4, 16, 7
	v_cmp_ne_u32_e32 vcc, s21, v12
	v_mov_b32_e32 v8, 0x7f800001
	s_and_saveexec_b64 s[18:19], vcc
	s_cbranch_execz .LBB507_1076
; %bb.1075:                             ;   in Loop: Header=BB507_796 Depth=1
	v_and_b32_e32 v8, 7, v6
	v_ffbh_u32_e32 v20, v8
	v_min_u32_e32 v22, 32, v20
	v_subrev_u32_e32 v20, 28, v22
	v_lshlrev_b64 v[20:21], v20, v[6:7]
	v_lshrrev_b32_e32 v19, 3, v12
	v_sub_u32_e32 v21, 29, v22
	v_and_b32_e32 v20, 7, v20
	v_cmp_gt_u32_e32 vcc, 8, v12
	v_cndmask_b32_e32 v12, v19, v21, vcc
	v_cndmask_b32_e32 v8, v8, v20, vcc
	v_lshlrev_b32_e32 v6, 24, v6
	v_lshlrev_b32_e32 v8, 20, v8
	v_and_b32_e32 v6, 0x80000000, v6
	v_lshl_add_u32 v12, v12, 23, v10
	v_or3_b32 v8, v6, v12, v8
.LBB507_1076:                           ;   in Loop: Header=BB507_796 Depth=1
	s_or_b64 exec, exec, s[18:19]
.LBB507_1077:                           ;   in Loop: Header=BB507_796 Depth=1
	s_or_b64 exec, exec, s[16:17]
.LBB507_1078:                           ;   in Loop: Header=BB507_796 Depth=1
	s_or_b64 exec, exec, s[14:15]
	v_cmp_lt_u32_e32 vcc, s22, v4
	v_mov_b32_e32 v12, 0
	v_mov_b32_e32 v19, 0
	s_and_saveexec_b64 s[14:15], vcc
	s_cbranch_execz .LBB507_1084
; %bb.1079:                             ;   in Loop: Header=BB507_796 Depth=1
	v_lshrrev_b32_e32 v6, 24, v4
	v_cmp_ne_u32_e32 vcc, s5, v6
	v_bfrev_b32_e32 v19, 1
	s_and_saveexec_b64 s[16:17], vcc
	s_cbranch_execz .LBB507_1083
; %bb.1080:                             ;   in Loop: Header=BB507_796 Depth=1
	v_bfe_u32 v4, v4, 24, 7
	v_cmp_ne_u32_e32 vcc, s21, v4
	v_mov_b32_e32 v19, 0x7f800001
	s_and_saveexec_b64 s[18:19], vcc
	s_cbranch_execz .LBB507_1082
; %bb.1081:                             ;   in Loop: Header=BB507_796 Depth=1
	v_and_b32_e32 v19, 7, v6
	v_ffbh_u32_e32 v20, v19
	v_min_u32_e32 v23, 32, v20
	v_subrev_u32_e32 v20, 28, v23
	v_lshlrev_b64 v[20:21], v20, v[6:7]
	v_lshrrev_b32_e32 v22, 3, v4
	v_sub_u32_e32 v21, 29, v23
	v_and_b32_e32 v20, 7, v20
	v_cmp_gt_u32_e32 vcc, 8, v4
	v_cndmask_b32_e32 v4, v22, v21, vcc
	v_cndmask_b32_e32 v19, v19, v20, vcc
	v_lshlrev_b32_e32 v6, 24, v6
	v_lshlrev_b32_e32 v19, 20, v19
	v_and_b32_e32 v6, 0x80000000, v6
	v_lshl_add_u32 v4, v4, 23, v10
	v_or3_b32 v19, v6, v4, v19
.LBB507_1082:                           ;   in Loop: Header=BB507_796 Depth=1
	s_or_b64 exec, exec, s[18:19]
.LBB507_1083:                           ;   in Loop: Header=BB507_796 Depth=1
	s_or_b64 exec, exec, s[16:17]
.LBB507_1084:                           ;   in Loop: Header=BB507_796 Depth=1
	s_or_b64 exec, exec, s[14:15]
	buffer_load_dword v6, v11, s[0:3], 0 offen offset:48
	buffer_load_dword v4, v11, s[0:3], 0 offen offset:52
	v_cvt_pkrtz_f16_f32 v14, v14, v15
	v_cvt_pkrtz_f16_f32 v15, v13, v17
	;; [unrolled: 1-line block ×4, first 2 shown]
	v_mfma_f32_4x4x4f16 a[0:3], v[2:3], v[14:15], a[0:3] cbsz:4 abid:10
	s_waitcnt vmcnt(1)
	v_cmp_ne_u16_sdwa s[16:17], v6, v9 src0_sel:BYTE_0 src1_sel:DWORD
	v_mfma_f32_4x4x4f16 a[0:3], v[2:3], v[16:17], a[0:3] cbsz:4 abid:11
	s_and_saveexec_b64 s[14:15], s[16:17]
	s_cbranch_execz .LBB507_1090
; %bb.1085:                             ;   in Loop: Header=BB507_796 Depth=1
	v_cmp_ne_u16_sdwa s[18:19], v6, s5 src0_sel:BYTE_0 src1_sel:DWORD
	v_bfrev_b32_e32 v12, 1
	s_and_saveexec_b64 s[16:17], s[18:19]
	s_cbranch_execz .LBB507_1089
; %bb.1086:                             ;   in Loop: Header=BB507_796 Depth=1
	v_and_b32_e32 v8, 0x7f, v6
	v_cmp_ne_u32_e32 vcc, s21, v8
	v_mov_b32_e32 v12, 0x7f800001
	s_and_saveexec_b64 s[18:19], vcc
	s_cbranch_execz .LBB507_1088
; %bb.1087:                             ;   in Loop: Header=BB507_796 Depth=1
	v_and_b32_e32 v14, 7, v6
	v_ffbh_u32_e32 v12, v14
	v_min_u32_e32 v16, 32, v12
	v_subrev_u32_e32 v12, 28, v16
	v_lshlrev_b64 v[12:13], v12, v[6:7]
	v_lshrrev_b32_e32 v15, 3, v8
	v_sub_u32_e32 v13, 29, v16
	v_and_b32_e32 v12, 7, v12
	v_cmp_gt_u32_e32 vcc, 8, v8
	v_cndmask_b32_e32 v8, v15, v13, vcc
	v_cndmask_b32_e32 v12, v14, v12, vcc
	v_lshlrev_b32_e32 v13, 24, v6
	v_lshlrev_b32_e32 v12, 20, v12
	v_and_b32_e32 v13, 0x80000000, v13
	v_lshl_add_u32 v8, v8, 23, v10
	v_or3_b32 v12, v13, v8, v12
.LBB507_1088:                           ;   in Loop: Header=BB507_796 Depth=1
	s_or_b64 exec, exec, s[18:19]
.LBB507_1089:                           ;   in Loop: Header=BB507_796 Depth=1
	s_or_b64 exec, exec, s[16:17]
.LBB507_1090:                           ;   in Loop: Header=BB507_796 Depth=1
	s_or_b64 exec, exec, s[14:15]
	v_lshrrev_b16_e32 v8, 8, v6
	v_cmp_ne_u16_e32 vcc, 0, v8
	v_mov_b32_e32 v14, 0
	v_mov_b32_e32 v15, 0
	s_and_saveexec_b64 s[14:15], vcc
	s_cbranch_execz .LBB507_1096
; %bb.1091:                             ;   in Loop: Header=BB507_796 Depth=1
	v_cmp_ne_u16_e32 vcc, s5, v8
	v_bfrev_b32_e32 v15, 1
	s_and_saveexec_b64 s[16:17], vcc
	s_cbranch_execz .LBB507_1095
; %bb.1092:                             ;   in Loop: Header=BB507_796 Depth=1
	v_and_b32_e32 v13, 0x7f, v8
	v_cmp_ne_u32_e32 vcc, s21, v13
	v_mov_b32_e32 v15, 0x7f800001
	s_and_saveexec_b64 s[18:19], vcc
	s_cbranch_execz .LBB507_1094
; %bb.1093:                             ;   in Loop: Header=BB507_796 Depth=1
	v_and_b32_e32 v15, 7, v8
	v_ffbh_u32_e32 v16, v15
	v_min_u32_e32 v19, 32, v16
	v_subrev_u32_e32 v16, 28, v19
	v_lshlrev_b64 v[16:17], v16, v[8:9]
	v_lshrrev_b32_e32 v18, 3, v13
	v_sub_u32_e32 v8, 29, v19
	v_and_b32_e32 v16, 7, v16
	v_cmp_gt_u32_e32 vcc, 8, v13
	v_cndmask_b32_e32 v8, v18, v8, vcc
	v_cndmask_b32_e32 v13, v15, v16, vcc
	v_lshlrev_b32_e32 v15, 16, v6
	v_lshlrev_b32_e32 v13, 20, v13
	v_and_b32_e32 v15, 0x80000000, v15
	v_lshl_add_u32 v8, v8, 23, v10
	v_or3_b32 v15, v15, v8, v13
.LBB507_1094:                           ;   in Loop: Header=BB507_796 Depth=1
	s_or_b64 exec, exec, s[18:19]
.LBB507_1095:                           ;   in Loop: Header=BB507_796 Depth=1
	s_or_b64 exec, exec, s[16:17]
.LBB507_1096:                           ;   in Loop: Header=BB507_796 Depth=1
	s_or_b64 exec, exec, s[14:15]
	v_lshrrev_b32_e32 v8, 16, v6
	v_cmp_ne_u16_sdwa s[16:17], v8, v9 src0_sel:BYTE_0 src1_sel:DWORD
	s_and_saveexec_b64 s[14:15], s[16:17]
	s_cbranch_execz .LBB507_1102
; %bb.1097:                             ;   in Loop: Header=BB507_796 Depth=1
	v_cmp_ne_u16_sdwa s[18:19], v8, s5 src0_sel:BYTE_0 src1_sel:DWORD
	v_bfrev_b32_e32 v14, 1
	s_and_saveexec_b64 s[16:17], s[18:19]
	s_cbranch_execz .LBB507_1101
; %bb.1098:                             ;   in Loop: Header=BB507_796 Depth=1
	v_bfe_u32 v13, v6, 16, 7
	v_cmp_ne_u32_e32 vcc, s21, v13
	v_mov_b32_e32 v14, 0x7f800001
	s_and_saveexec_b64 s[18:19], vcc
	s_cbranch_execz .LBB507_1100
; %bb.1099:                             ;   in Loop: Header=BB507_796 Depth=1
	v_and_b32_e32 v14, 7, v8
	v_ffbh_u32_e32 v16, v14
	v_min_u32_e32 v19, 32, v16
	v_subrev_u32_e32 v16, 28, v19
	v_lshlrev_b64 v[16:17], v16, v[8:9]
	v_lshrrev_b32_e32 v18, 3, v13
	v_sub_u32_e32 v17, 29, v19
	v_and_b32_e32 v16, 7, v16
	v_cmp_gt_u32_e32 vcc, 8, v13
	v_cndmask_b32_e32 v13, v18, v17, vcc
	v_cndmask_b32_e32 v14, v14, v16, vcc
	v_lshlrev_b32_e32 v8, 24, v8
	v_lshlrev_b32_e32 v14, 20, v14
	v_and_b32_e32 v8, 0x80000000, v8
	v_lshl_add_u32 v13, v13, 23, v10
	v_or3_b32 v14, v8, v13, v14
.LBB507_1100:                           ;   in Loop: Header=BB507_796 Depth=1
	s_or_b64 exec, exec, s[18:19]
.LBB507_1101:                           ;   in Loop: Header=BB507_796 Depth=1
	s_or_b64 exec, exec, s[16:17]
.LBB507_1102:                           ;   in Loop: Header=BB507_796 Depth=1
	s_or_b64 exec, exec, s[14:15]
	v_cmp_lt_u32_e32 vcc, s22, v6
	v_mov_b32_e32 v16, 0
	v_mov_b32_e32 v17, 0
	s_and_saveexec_b64 s[14:15], vcc
	s_cbranch_execz .LBB507_1108
; %bb.1103:                             ;   in Loop: Header=BB507_796 Depth=1
	v_lshrrev_b32_e32 v8, 24, v6
	v_cmp_ne_u32_e32 vcc, s5, v8
	v_bfrev_b32_e32 v17, 1
	s_and_saveexec_b64 s[16:17], vcc
	s_cbranch_execz .LBB507_1107
; %bb.1104:                             ;   in Loop: Header=BB507_796 Depth=1
	v_bfe_u32 v6, v6, 24, 7
	v_cmp_ne_u32_e32 vcc, s21, v6
	v_mov_b32_e32 v17, 0x7f800001
	s_and_saveexec_b64 s[18:19], vcc
	s_cbranch_execz .LBB507_1106
; %bb.1105:                             ;   in Loop: Header=BB507_796 Depth=1
	v_and_b32_e32 v13, 7, v8
	v_ffbh_u32_e32 v18, v13
	v_min_u32_e32 v20, 32, v18
	v_subrev_u32_e32 v18, 28, v20
	v_lshlrev_b64 v[18:19], v18, v[8:9]
	v_lshrrev_b32_e32 v17, 3, v6
	v_sub_u32_e32 v19, 29, v20
	v_and_b32_e32 v18, 7, v18
	v_cmp_gt_u32_e32 vcc, 8, v6
	v_cndmask_b32_e32 v6, v17, v19, vcc
	v_cndmask_b32_e32 v13, v13, v18, vcc
	v_lshlrev_b32_e32 v8, 24, v8
	v_lshlrev_b32_e32 v13, 20, v13
	v_and_b32_e32 v8, 0x80000000, v8
	v_lshl_add_u32 v6, v6, 23, v10
	v_or3_b32 v17, v8, v6, v13
.LBB507_1106:                           ;   in Loop: Header=BB507_796 Depth=1
	s_or_b64 exec, exec, s[18:19]
.LBB507_1107:                           ;   in Loop: Header=BB507_796 Depth=1
	s_or_b64 exec, exec, s[16:17]
.LBB507_1108:                           ;   in Loop: Header=BB507_796 Depth=1
	s_or_b64 exec, exec, s[14:15]
	s_waitcnt vmcnt(0)
	v_cmp_ne_u16_sdwa s[16:17], v4, v9 src0_sel:BYTE_0 src1_sel:DWORD
	s_and_saveexec_b64 s[14:15], s[16:17]
	s_cbranch_execz .LBB507_1114
; %bb.1109:                             ;   in Loop: Header=BB507_796 Depth=1
	v_cmp_ne_u16_sdwa s[18:19], v4, s5 src0_sel:BYTE_0 src1_sel:DWORD
	v_bfrev_b32_e32 v16, 1
	s_and_saveexec_b64 s[16:17], s[18:19]
	s_cbranch_execz .LBB507_1113
; %bb.1110:                             ;   in Loop: Header=BB507_796 Depth=1
	v_and_b32_e32 v6, 0x7f, v4
	v_cmp_ne_u32_e32 vcc, s21, v6
	v_mov_b32_e32 v16, 0x7f800001
	s_and_saveexec_b64 s[18:19], vcc
	s_cbranch_execz .LBB507_1112
; %bb.1111:                             ;   in Loop: Header=BB507_796 Depth=1
	v_and_b32_e32 v8, 7, v4
	v_ffbh_u32_e32 v16, v8
	v_min_u32_e32 v16, 32, v16
	v_subrev_u32_e32 v18, 28, v16
	v_lshlrev_b64 v[18:19], v18, v[4:5]
	v_lshrrev_b32_e32 v13, 3, v6
	v_sub_u32_e32 v16, 29, v16
	v_and_b32_e32 v18, 7, v18
	v_cmp_gt_u32_e32 vcc, 8, v6
	v_cndmask_b32_e32 v6, v13, v16, vcc
	v_cndmask_b32_e32 v8, v8, v18, vcc
	v_lshlrev_b32_e32 v13, 24, v4
	v_lshlrev_b32_e32 v8, 20, v8
	v_and_b32_e32 v13, 0x80000000, v13
	v_lshl_add_u32 v6, v6, 23, v10
	v_or3_b32 v16, v13, v6, v8
.LBB507_1112:                           ;   in Loop: Header=BB507_796 Depth=1
	s_or_b64 exec, exec, s[18:19]
.LBB507_1113:                           ;   in Loop: Header=BB507_796 Depth=1
	s_or_b64 exec, exec, s[16:17]
.LBB507_1114:                           ;   in Loop: Header=BB507_796 Depth=1
	s_or_b64 exec, exec, s[14:15]
	v_lshrrev_b16_e32 v6, 8, v4
	v_cmp_ne_u16_e32 vcc, 0, v6
	v_mov_b32_e32 v8, 0
	v_mov_b32_e32 v18, 0
	s_and_saveexec_b64 s[14:15], vcc
	s_cbranch_execz .LBB507_1120
; %bb.1115:                             ;   in Loop: Header=BB507_796 Depth=1
	v_cmp_ne_u16_e32 vcc, s5, v6
	v_bfrev_b32_e32 v18, 1
	s_and_saveexec_b64 s[16:17], vcc
	s_cbranch_execz .LBB507_1119
; %bb.1116:                             ;   in Loop: Header=BB507_796 Depth=1
	v_and_b32_e32 v13, 0x7f, v6
	v_cmp_ne_u32_e32 vcc, s21, v13
	v_mov_b32_e32 v18, 0x7f800001
	s_and_saveexec_b64 s[18:19], vcc
	s_cbranch_execz .LBB507_1118
; %bb.1117:                             ;   in Loop: Header=BB507_796 Depth=1
	v_and_b32_e32 v20, 7, v6
	v_ffbh_u32_e32 v18, v20
	v_min_u32_e32 v22, 32, v18
	v_subrev_u32_e32 v18, 28, v22
	v_lshlrev_b64 v[18:19], v18, v[6:7]
	v_lshrrev_b32_e32 v21, 3, v13
	v_sub_u32_e32 v6, 29, v22
	v_and_b32_e32 v18, 7, v18
	v_cmp_gt_u32_e32 vcc, 8, v13
	v_cndmask_b32_e32 v6, v21, v6, vcc
	v_cndmask_b32_e32 v13, v20, v18, vcc
	v_lshlrev_b32_e32 v18, 16, v4
	v_lshlrev_b32_e32 v13, 20, v13
	v_and_b32_e32 v18, 0x80000000, v18
	v_lshl_add_u32 v6, v6, 23, v10
	v_or3_b32 v18, v18, v6, v13
.LBB507_1118:                           ;   in Loop: Header=BB507_796 Depth=1
	s_or_b64 exec, exec, s[18:19]
.LBB507_1119:                           ;   in Loop: Header=BB507_796 Depth=1
	s_or_b64 exec, exec, s[16:17]
.LBB507_1120:                           ;   in Loop: Header=BB507_796 Depth=1
	s_or_b64 exec, exec, s[14:15]
	v_lshrrev_b32_e32 v6, 16, v4
	v_cmp_ne_u16_sdwa s[16:17], v6, v9 src0_sel:BYTE_0 src1_sel:DWORD
	s_and_saveexec_b64 s[14:15], s[16:17]
	s_cbranch_execz .LBB507_1126
; %bb.1121:                             ;   in Loop: Header=BB507_796 Depth=1
	v_cmp_ne_u16_sdwa s[18:19], v6, s5 src0_sel:BYTE_0 src1_sel:DWORD
	v_bfrev_b32_e32 v8, 1
	s_and_saveexec_b64 s[16:17], s[18:19]
	s_cbranch_execz .LBB507_1125
; %bb.1122:                             ;   in Loop: Header=BB507_796 Depth=1
	v_bfe_u32 v13, v4, 16, 7
	v_cmp_ne_u32_e32 vcc, s21, v13
	v_mov_b32_e32 v8, 0x7f800001
	s_and_saveexec_b64 s[18:19], vcc
	s_cbranch_execz .LBB507_1124
; %bb.1123:                             ;   in Loop: Header=BB507_796 Depth=1
	v_and_b32_e32 v8, 7, v6
	v_ffbh_u32_e32 v20, v8
	v_min_u32_e32 v22, 32, v20
	v_subrev_u32_e32 v20, 28, v22
	v_lshlrev_b64 v[20:21], v20, v[6:7]
	v_lshrrev_b32_e32 v19, 3, v13
	v_sub_u32_e32 v21, 29, v22
	v_and_b32_e32 v20, 7, v20
	v_cmp_gt_u32_e32 vcc, 8, v13
	v_cndmask_b32_e32 v13, v19, v21, vcc
	v_cndmask_b32_e32 v8, v8, v20, vcc
	v_lshlrev_b32_e32 v6, 24, v6
	v_lshlrev_b32_e32 v8, 20, v8
	v_and_b32_e32 v6, 0x80000000, v6
	v_lshl_add_u32 v13, v13, 23, v10
	v_or3_b32 v8, v6, v13, v8
.LBB507_1124:                           ;   in Loop: Header=BB507_796 Depth=1
	s_or_b64 exec, exec, s[18:19]
.LBB507_1125:                           ;   in Loop: Header=BB507_796 Depth=1
	s_or_b64 exec, exec, s[16:17]
.LBB507_1126:                           ;   in Loop: Header=BB507_796 Depth=1
	s_or_b64 exec, exec, s[14:15]
	v_cmp_lt_u32_e32 vcc, s22, v4
	v_mov_b32_e32 v13, 0
	v_mov_b32_e32 v19, 0
	s_and_saveexec_b64 s[14:15], vcc
	s_cbranch_execz .LBB507_1132
; %bb.1127:                             ;   in Loop: Header=BB507_796 Depth=1
	v_lshrrev_b32_e32 v6, 24, v4
	v_cmp_ne_u32_e32 vcc, s5, v6
	v_bfrev_b32_e32 v19, 1
	s_and_saveexec_b64 s[16:17], vcc
	s_cbranch_execz .LBB507_1131
; %bb.1128:                             ;   in Loop: Header=BB507_796 Depth=1
	v_bfe_u32 v4, v4, 24, 7
	v_cmp_ne_u32_e32 vcc, s21, v4
	v_mov_b32_e32 v19, 0x7f800001
	s_and_saveexec_b64 s[18:19], vcc
	s_cbranch_execz .LBB507_1130
; %bb.1129:                             ;   in Loop: Header=BB507_796 Depth=1
	v_and_b32_e32 v19, 7, v6
	v_ffbh_u32_e32 v20, v19
	v_min_u32_e32 v23, 32, v20
	v_subrev_u32_e32 v20, 28, v23
	v_lshlrev_b64 v[20:21], v20, v[6:7]
	v_lshrrev_b32_e32 v22, 3, v4
	v_sub_u32_e32 v21, 29, v23
	v_and_b32_e32 v20, 7, v20
	v_cmp_gt_u32_e32 vcc, 8, v4
	v_cndmask_b32_e32 v4, v22, v21, vcc
	v_cndmask_b32_e32 v19, v19, v20, vcc
	v_lshlrev_b32_e32 v6, 24, v6
	v_lshlrev_b32_e32 v19, 20, v19
	v_and_b32_e32 v6, 0x80000000, v6
	v_lshl_add_u32 v4, v4, 23, v10
	v_or3_b32 v19, v6, v4, v19
.LBB507_1130:                           ;   in Loop: Header=BB507_796 Depth=1
	s_or_b64 exec, exec, s[18:19]
.LBB507_1131:                           ;   in Loop: Header=BB507_796 Depth=1
	s_or_b64 exec, exec, s[16:17]
.LBB507_1132:                           ;   in Loop: Header=BB507_796 Depth=1
	s_or_b64 exec, exec, s[14:15]
	buffer_load_dword v6, v11, s[0:3], 0 offen offset:56
	buffer_load_dword v4, v11, s[0:3], 0 offen offset:60
	v_cvt_pkrtz_f16_f32 v20, v12, v15
	v_cvt_pkrtz_f16_f32 v21, v14, v17
	;; [unrolled: 1-line block ×4, first 2 shown]
	v_mfma_f32_4x4x4f16 a[0:3], v[2:3], v[20:21], a[0:3] cbsz:4 abid:12
	s_waitcnt vmcnt(1)
	v_cmp_ne_u16_sdwa s[16:17], v6, v9 src0_sel:BYTE_0 src1_sel:DWORD
	v_mfma_f32_4x4x4f16 a[0:3], v[2:3], v[14:15], a[0:3] cbsz:4 abid:13
	s_and_saveexec_b64 s[14:15], s[16:17]
	s_cbranch_execz .LBB507_1138
; %bb.1133:                             ;   in Loop: Header=BB507_796 Depth=1
	v_cmp_ne_u16_sdwa s[18:19], v6, s5 src0_sel:BYTE_0 src1_sel:DWORD
	v_bfrev_b32_e32 v13, 1
	s_and_saveexec_b64 s[16:17], s[18:19]
	s_cbranch_execz .LBB507_1137
; %bb.1134:                             ;   in Loop: Header=BB507_796 Depth=1
	v_and_b32_e32 v8, 0x7f, v6
	v_cmp_ne_u32_e32 vcc, s21, v8
	v_mov_b32_e32 v13, 0x7f800001
	s_and_saveexec_b64 s[18:19], vcc
	s_cbranch_execz .LBB507_1136
; %bb.1135:                             ;   in Loop: Header=BB507_796 Depth=1
	v_and_b32_e32 v11, 7, v6
	v_ffbh_u32_e32 v12, v11
	v_min_u32_e32 v15, 32, v12
	v_subrev_u32_e32 v12, 28, v15
	v_lshlrev_b64 v[12:13], v12, v[6:7]
	v_lshrrev_b32_e32 v14, 3, v8
	v_sub_u32_e32 v13, 29, v15
	v_and_b32_e32 v12, 7, v12
	v_cmp_gt_u32_e32 vcc, 8, v8
	v_cndmask_b32_e32 v8, v14, v13, vcc
	v_cndmask_b32_e32 v11, v11, v12, vcc
	v_lshlrev_b32_e32 v12, 24, v6
	v_lshlrev_b32_e32 v11, 20, v11
	v_and_b32_e32 v12, 0x80000000, v12
	v_lshl_add_u32 v8, v8, 23, v10
	v_or3_b32 v13, v12, v8, v11
.LBB507_1136:                           ;   in Loop: Header=BB507_796 Depth=1
	s_or_b64 exec, exec, s[18:19]
.LBB507_1137:                           ;   in Loop: Header=BB507_796 Depth=1
	s_or_b64 exec, exec, s[16:17]
.LBB507_1138:                           ;   in Loop: Header=BB507_796 Depth=1
	s_or_b64 exec, exec, s[14:15]
	v_lshrrev_b16_e32 v8, 8, v6
	v_cmp_ne_u16_e32 vcc, 0, v8
	v_mov_b32_e32 v11, 0
	v_mov_b32_e32 v12, 0
	s_and_saveexec_b64 s[14:15], vcc
	s_cbranch_execz .LBB507_1144
; %bb.1139:                             ;   in Loop: Header=BB507_796 Depth=1
	v_cmp_ne_u16_e32 vcc, s5, v8
	v_bfrev_b32_e32 v12, 1
	s_and_saveexec_b64 s[16:17], vcc
	s_cbranch_execz .LBB507_1143
; %bb.1140:                             ;   in Loop: Header=BB507_796 Depth=1
	v_and_b32_e32 v14, 0x7f, v8
	v_cmp_ne_u32_e32 vcc, s21, v14
	v_mov_b32_e32 v12, 0x7f800001
	s_and_saveexec_b64 s[18:19], vcc
	s_cbranch_execz .LBB507_1142
; %bb.1141:                             ;   in Loop: Header=BB507_796 Depth=1
	v_and_b32_e32 v12, 7, v8
	v_ffbh_u32_e32 v16, v12
	v_min_u32_e32 v18, 32, v16
	v_subrev_u32_e32 v16, 28, v18
	v_lshlrev_b64 v[16:17], v16, v[8:9]
	v_lshrrev_b32_e32 v15, 3, v14
	v_sub_u32_e32 v8, 29, v18
	v_and_b32_e32 v16, 7, v16
	v_cmp_gt_u32_e32 vcc, 8, v14
	v_cndmask_b32_e32 v8, v15, v8, vcc
	v_cndmask_b32_e32 v12, v12, v16, vcc
	v_lshlrev_b32_e32 v14, 16, v6
	v_lshlrev_b32_e32 v12, 20, v12
	v_and_b32_e32 v14, 0x80000000, v14
	v_lshl_add_u32 v8, v8, 23, v10
	v_or3_b32 v12, v14, v8, v12
.LBB507_1142:                           ;   in Loop: Header=BB507_796 Depth=1
	s_or_b64 exec, exec, s[18:19]
.LBB507_1143:                           ;   in Loop: Header=BB507_796 Depth=1
	s_or_b64 exec, exec, s[16:17]
.LBB507_1144:                           ;   in Loop: Header=BB507_796 Depth=1
	s_or_b64 exec, exec, s[14:15]
	v_lshrrev_b32_e32 v8, 16, v6
	v_cmp_ne_u16_sdwa s[16:17], v8, v9 src0_sel:BYTE_0 src1_sel:DWORD
	s_and_saveexec_b64 s[14:15], s[16:17]
	s_cbranch_execz .LBB507_1150
; %bb.1145:                             ;   in Loop: Header=BB507_796 Depth=1
	v_cmp_ne_u16_sdwa s[18:19], v8, s5 src0_sel:BYTE_0 src1_sel:DWORD
	v_bfrev_b32_e32 v11, 1
	s_and_saveexec_b64 s[16:17], s[18:19]
	s_cbranch_execz .LBB507_1149
; %bb.1146:                             ;   in Loop: Header=BB507_796 Depth=1
	v_bfe_u32 v14, v6, 16, 7
	v_cmp_ne_u32_e32 vcc, s21, v14
	v_mov_b32_e32 v11, 0x7f800001
	s_and_saveexec_b64 s[18:19], vcc
	s_cbranch_execz .LBB507_1148
; %bb.1147:                             ;   in Loop: Header=BB507_796 Depth=1
	v_and_b32_e32 v11, 7, v8
	v_ffbh_u32_e32 v16, v11
	v_min_u32_e32 v18, 32, v16
	v_subrev_u32_e32 v16, 28, v18
	v_lshlrev_b64 v[16:17], v16, v[8:9]
	v_lshrrev_b32_e32 v15, 3, v14
	v_sub_u32_e32 v17, 29, v18
	v_and_b32_e32 v16, 7, v16
	v_cmp_gt_u32_e32 vcc, 8, v14
	v_cndmask_b32_e32 v14, v15, v17, vcc
	v_cndmask_b32_e32 v11, v11, v16, vcc
	v_lshlrev_b32_e32 v8, 24, v8
	v_lshlrev_b32_e32 v11, 20, v11
	v_and_b32_e32 v8, 0x80000000, v8
	v_lshl_add_u32 v14, v14, 23, v10
	v_or3_b32 v11, v8, v14, v11
.LBB507_1148:                           ;   in Loop: Header=BB507_796 Depth=1
	s_or_b64 exec, exec, s[18:19]
.LBB507_1149:                           ;   in Loop: Header=BB507_796 Depth=1
	s_or_b64 exec, exec, s[16:17]
.LBB507_1150:                           ;   in Loop: Header=BB507_796 Depth=1
	s_or_b64 exec, exec, s[14:15]
	v_cmp_lt_u32_e32 vcc, s22, v6
	v_mov_b32_e32 v14, 0
	v_mov_b32_e32 v15, 0
	s_and_saveexec_b64 s[14:15], vcc
	s_cbranch_execz .LBB507_1156
; %bb.1151:                             ;   in Loop: Header=BB507_796 Depth=1
	v_lshrrev_b32_e32 v8, 24, v6
	v_cmp_ne_u32_e32 vcc, s5, v8
	v_bfrev_b32_e32 v15, 1
	s_and_saveexec_b64 s[16:17], vcc
	s_cbranch_execz .LBB507_1155
; %bb.1152:                             ;   in Loop: Header=BB507_796 Depth=1
	v_bfe_u32 v6, v6, 24, 7
	v_cmp_ne_u32_e32 vcc, s21, v6
	v_mov_b32_e32 v15, 0x7f800001
	s_and_saveexec_b64 s[18:19], vcc
	s_cbranch_execz .LBB507_1154
; %bb.1153:                             ;   in Loop: Header=BB507_796 Depth=1
	v_and_b32_e32 v15, 7, v8
	v_ffbh_u32_e32 v16, v15
	v_min_u32_e32 v19, 32, v16
	v_subrev_u32_e32 v16, 28, v19
	v_lshlrev_b64 v[16:17], v16, v[8:9]
	v_lshrrev_b32_e32 v18, 3, v6
	v_sub_u32_e32 v17, 29, v19
	v_and_b32_e32 v16, 7, v16
	v_cmp_gt_u32_e32 vcc, 8, v6
	v_cndmask_b32_e32 v6, v18, v17, vcc
	v_cndmask_b32_e32 v15, v15, v16, vcc
	v_lshlrev_b32_e32 v8, 24, v8
	v_lshlrev_b32_e32 v15, 20, v15
	v_and_b32_e32 v8, 0x80000000, v8
	v_lshl_add_u32 v6, v6, 23, v10
	v_or3_b32 v15, v8, v6, v15
.LBB507_1154:                           ;   in Loop: Header=BB507_796 Depth=1
	s_or_b64 exec, exec, s[18:19]
.LBB507_1155:                           ;   in Loop: Header=BB507_796 Depth=1
	s_or_b64 exec, exec, s[16:17]
.LBB507_1156:                           ;   in Loop: Header=BB507_796 Depth=1
	s_or_b64 exec, exec, s[14:15]
	s_waitcnt vmcnt(0)
	v_cmp_ne_u16_sdwa s[16:17], v4, v9 src0_sel:BYTE_0 src1_sel:DWORD
	s_and_saveexec_b64 s[14:15], s[16:17]
	s_cbranch_execz .LBB507_1162
; %bb.1157:                             ;   in Loop: Header=BB507_796 Depth=1
	v_cmp_ne_u16_sdwa s[18:19], v4, s5 src0_sel:BYTE_0 src1_sel:DWORD
	v_bfrev_b32_e32 v14, 1
	s_and_saveexec_b64 s[16:17], s[18:19]
	s_cbranch_execz .LBB507_1161
; %bb.1158:                             ;   in Loop: Header=BB507_796 Depth=1
	v_and_b32_e32 v6, 0x7f, v4
	v_cmp_ne_u32_e32 vcc, s21, v6
	v_mov_b32_e32 v14, 0x7f800001
	s_and_saveexec_b64 s[18:19], vcc
	s_cbranch_execz .LBB507_1160
; %bb.1159:                             ;   in Loop: Header=BB507_796 Depth=1
	v_and_b32_e32 v8, 7, v4
	v_ffbh_u32_e32 v16, v8
	v_min_u32_e32 v18, 32, v16
	v_subrev_u32_e32 v16, 28, v18
	v_lshlrev_b64 v[16:17], v16, v[4:5]
	v_lshrrev_b32_e32 v14, 3, v6
	v_sub_u32_e32 v17, 29, v18
	v_and_b32_e32 v16, 7, v16
	v_cmp_gt_u32_e32 vcc, 8, v6
	v_cndmask_b32_e32 v6, v14, v17, vcc
	v_cndmask_b32_e32 v8, v8, v16, vcc
	v_lshlrev_b32_e32 v14, 24, v4
	v_lshlrev_b32_e32 v8, 20, v8
	v_and_b32_e32 v14, 0x80000000, v14
	v_lshl_add_u32 v6, v6, 23, v10
	v_or3_b32 v14, v14, v6, v8
.LBB507_1160:                           ;   in Loop: Header=BB507_796 Depth=1
	s_or_b64 exec, exec, s[18:19]
.LBB507_1161:                           ;   in Loop: Header=BB507_796 Depth=1
	s_or_b64 exec, exec, s[16:17]
.LBB507_1162:                           ;   in Loop: Header=BB507_796 Depth=1
	s_or_b64 exec, exec, s[14:15]
	v_lshrrev_b16_e32 v6, 8, v4
	v_cmp_ne_u16_e32 vcc, 0, v6
	v_mov_b32_e32 v8, 0
	v_mov_b32_e32 v16, 0
	s_and_saveexec_b64 s[14:15], vcc
	s_cbranch_execz .LBB507_1168
; %bb.1163:                             ;   in Loop: Header=BB507_796 Depth=1
	v_cmp_ne_u16_e32 vcc, s5, v6
	v_bfrev_b32_e32 v16, 1
	s_and_saveexec_b64 s[16:17], vcc
	s_cbranch_execz .LBB507_1167
; %bb.1164:                             ;   in Loop: Header=BB507_796 Depth=1
	v_and_b32_e32 v17, 0x7f, v6
	v_cmp_ne_u32_e32 vcc, s21, v17
	v_mov_b32_e32 v16, 0x7f800001
	s_and_saveexec_b64 s[18:19], vcc
	s_cbranch_execz .LBB507_1166
; %bb.1165:                             ;   in Loop: Header=BB507_796 Depth=1
	v_and_b32_e32 v16, 7, v6
	v_ffbh_u32_e32 v18, v16
	v_min_u32_e32 v21, 32, v18
	v_subrev_u32_e32 v18, 28, v21
	v_lshlrev_b64 v[18:19], v18, v[6:7]
	v_lshrrev_b32_e32 v20, 3, v17
	v_sub_u32_e32 v6, 29, v21
	v_and_b32_e32 v18, 7, v18
	v_cmp_gt_u32_e32 vcc, 8, v17
	v_cndmask_b32_e32 v6, v20, v6, vcc
	v_cndmask_b32_e32 v16, v16, v18, vcc
	v_lshlrev_b32_e32 v17, 16, v4
	v_lshlrev_b32_e32 v16, 20, v16
	v_and_b32_e32 v17, 0x80000000, v17
	v_lshl_add_u32 v6, v6, 23, v10
	v_or3_b32 v16, v17, v6, v16
.LBB507_1166:                           ;   in Loop: Header=BB507_796 Depth=1
	s_or_b64 exec, exec, s[18:19]
.LBB507_1167:                           ;   in Loop: Header=BB507_796 Depth=1
	s_or_b64 exec, exec, s[16:17]
.LBB507_1168:                           ;   in Loop: Header=BB507_796 Depth=1
	s_or_b64 exec, exec, s[14:15]
	v_lshrrev_b32_e32 v6, 16, v4
	v_cmp_ne_u16_sdwa s[16:17], v6, v9 src0_sel:BYTE_0 src1_sel:DWORD
	s_and_saveexec_b64 s[14:15], s[16:17]
	s_cbranch_execz .LBB507_1174
; %bb.1169:                             ;   in Loop: Header=BB507_796 Depth=1
	v_cmp_ne_u16_sdwa s[18:19], v6, s5 src0_sel:BYTE_0 src1_sel:DWORD
	v_bfrev_b32_e32 v8, 1
	s_and_saveexec_b64 s[16:17], s[18:19]
	s_cbranch_execz .LBB507_1173
; %bb.1170:                             ;   in Loop: Header=BB507_796 Depth=1
	v_bfe_u32 v17, v4, 16, 7
	v_cmp_ne_u32_e32 vcc, s21, v17
	v_mov_b32_e32 v8, 0x7f800001
	s_and_saveexec_b64 s[18:19], vcc
	s_cbranch_execz .LBB507_1172
; %bb.1171:                             ;   in Loop: Header=BB507_796 Depth=1
	v_and_b32_e32 v8, 7, v6
	v_ffbh_u32_e32 v18, v8
	v_min_u32_e32 v21, 32, v18
	v_subrev_u32_e32 v18, 28, v21
	v_lshlrev_b64 v[18:19], v18, v[6:7]
	v_lshrrev_b32_e32 v20, 3, v17
	v_sub_u32_e32 v19, 29, v21
	v_and_b32_e32 v18, 7, v18
	v_cmp_gt_u32_e32 vcc, 8, v17
	v_cndmask_b32_e32 v17, v20, v19, vcc
	v_cndmask_b32_e32 v8, v8, v18, vcc
	v_lshlrev_b32_e32 v6, 24, v6
	v_lshlrev_b32_e32 v8, 20, v8
	v_and_b32_e32 v6, 0x80000000, v6
	v_lshl_add_u32 v17, v17, 23, v10
	v_or3_b32 v8, v6, v17, v8
.LBB507_1172:                           ;   in Loop: Header=BB507_796 Depth=1
	s_or_b64 exec, exec, s[18:19]
.LBB507_1173:                           ;   in Loop: Header=BB507_796 Depth=1
	s_or_b64 exec, exec, s[16:17]
.LBB507_1174:                           ;   in Loop: Header=BB507_796 Depth=1
	s_or_b64 exec, exec, s[14:15]
	v_cmp_lt_u32_e32 vcc, s22, v4
	v_mov_b32_e32 v17, 0
	s_and_saveexec_b64 s[14:15], vcc
	s_cbranch_execz .LBB507_795
; %bb.1175:                             ;   in Loop: Header=BB507_796 Depth=1
	v_lshrrev_b32_e32 v6, 24, v4
	v_cmp_ne_u32_e32 vcc, s5, v6
	v_bfrev_b32_e32 v17, 1
	s_and_saveexec_b64 s[16:17], vcc
	s_cbranch_execz .LBB507_794
; %bb.1176:                             ;   in Loop: Header=BB507_796 Depth=1
	v_bfe_u32 v4, v4, 24, 7
	v_cmp_ne_u32_e32 vcc, s21, v4
	v_mov_b32_e32 v17, 0x7f800001
	s_and_saveexec_b64 s[18:19], vcc
	s_cbranch_execz .LBB507_793
; %bb.1177:                             ;   in Loop: Header=BB507_796 Depth=1
	v_and_b32_e32 v17, 7, v6
	v_ffbh_u32_e32 v18, v17
	v_min_u32_e32 v21, 32, v18
	v_subrev_u32_e32 v18, 28, v21
	v_lshlrev_b64 v[18:19], v18, v[6:7]
	v_lshrrev_b32_e32 v20, 3, v4
	v_sub_u32_e32 v19, 29, v21
	v_and_b32_e32 v18, 7, v18
	v_cmp_gt_u32_e32 vcc, 8, v4
	v_cndmask_b32_e32 v4, v20, v19, vcc
	v_cndmask_b32_e32 v17, v17, v18, vcc
	v_lshlrev_b32_e32 v6, 24, v6
	v_lshlrev_b32_e32 v17, 20, v17
	v_and_b32_e32 v6, 0x80000000, v6
	v_lshl_add_u32 v4, v4, 23, v10
	v_or3_b32 v17, v6, v4, v17
	s_branch .LBB507_793
.LBB507_1178:
	s_or_b64 exec, exec, s[6:7]
	v_cmp_gt_u32_e32 vcc, 64, v0
	s_waitcnt lgkmcnt(0)
	s_barrier
	s_and_saveexec_b64 s[6:7], vcc
	s_cbranch_execz .LBB507_1180
; %bb.1179:
	v_mul_u32_u24_e32 v6, 40, v1
	ds_read2_b64 v[2:5], v6 offset1:1
	s_mov_b32 s5, 0
	s_waitcnt lgkmcnt(0)
	v_mov_b32_e32 v3, 0xa00
	s_lshl_b32 s4, s4, 7
	ds_read2_b64 v[6:9], v6 offset0:2 offset1:3
	v_mad_u32_u24 v3, v1, 40, v3
	v_pk_add_f16 v2, v2, 0
	s_lshl_b64 s[6:7], s[4:5], 1
	s_waitcnt lgkmcnt(0)
	v_pk_add_f16 v7, v2, v4
	v_mov_b32_e32 v9, 0xa10
	ds_read2_b64 v[2:5], v3 offset1:1
	s_add_u32 s6, s26, s6
	v_mad_u32_u24 v1, v1, 40, v9
	ds_read2_b64 v[10:13], v1 offset1:1
	s_addc_u32 s7, s27, s7
	s_lshl_b32 s4, s24, 7
	s_lshl_b64 s[4:5], s[4:5], 1
	s_add_u32 s4, s6, s4
	v_pk_add_f16 v1, v7, v6
	s_addc_u32 s5, s7, s5
	s_lshl_b32 s6, s33, 7
	v_pk_add_f16 v6, v1, v8
	s_waitcnt lgkmcnt(1)
	v_pk_add_f16 v1, v2, 0
	s_mul_i32 s7, s6, s42
	v_pk_add_f16 v1, v1, v4
	v_or_b32_e32 v2, s7, v0
	v_mov_b32_e32 v3, 0
	s_waitcnt lgkmcnt(0)
	v_pk_add_f16 v1, v1, v10
	v_lshlrev_b64 v[4:5], 1, v[2:3]
	s_add_i32 s7, s7, s6
	v_pk_add_f16 v7, v1, v12
	v_mov_b32_e32 v1, s5
	v_add_co_u32_e32 v4, vcc, s4, v4
	v_or_b32_e32 v2, s7, v0
	v_addc_co_u32_e32 v5, vcc, v1, v5, vcc
	v_lshlrev_b64 v[0:1], 1, v[2:3]
	v_mov_b32_e32 v2, s5
	v_add_co_u32_e32 v0, vcc, s4, v0
	v_addc_co_u32_e32 v1, vcc, v2, v1, vcc
	global_store_short v[4:5], v6, off
	global_store_short_d16_hi v[0:1], v6, off
	global_store_short v[4:5], v7, off offset:128
	global_store_short_d16_hi v[0:1], v7, off offset:128
.LBB507_1180:
	s_endpgm
	.section	.rodata,"a",@progbits
	.p2align	6, 0x0
	.amdhsa_kernel _Z38paged_attention_ll4mi_QKV_mfma4_kernelIDF16_hLN4vllm18Fp8KVCacheDataTypeE1EDF16_Li32ELi128ELi256ELb1ELi2EEvPKT_PKT0_S7_ifPKiS9_S9_iPKfiiiPfSC_PS2_PT2_iSB_SB_
		.amdhsa_group_segment_fixed_size 5280
		.amdhsa_private_segment_fixed_size 144
		.amdhsa_kernarg_size 400
		.amdhsa_user_sgpr_count 8
		.amdhsa_user_sgpr_private_segment_buffer 1
		.amdhsa_user_sgpr_dispatch_ptr 0
		.amdhsa_user_sgpr_queue_ptr 0
		.amdhsa_user_sgpr_kernarg_segment_ptr 1
		.amdhsa_user_sgpr_dispatch_id 0
		.amdhsa_user_sgpr_flat_scratch_init 1
		.amdhsa_user_sgpr_kernarg_preload_length 0
		.amdhsa_user_sgpr_kernarg_preload_offset 0
		.amdhsa_user_sgpr_private_segment_size 0
		.amdhsa_uses_dynamic_stack 0
		.amdhsa_system_sgpr_private_segment_wavefront_offset 1
		.amdhsa_system_sgpr_workgroup_id_x 1
		.amdhsa_system_sgpr_workgroup_id_y 1
		.amdhsa_system_sgpr_workgroup_id_z 1
		.amdhsa_system_sgpr_workgroup_info 0
		.amdhsa_system_vgpr_workitem_id 0
		.amdhsa_next_free_vgpr 84
		.amdhsa_next_free_sgpr 48
		.amdhsa_accum_offset 80
		.amdhsa_reserve_vcc 1
		.amdhsa_reserve_flat_scratch 0
		.amdhsa_float_round_mode_32 0
		.amdhsa_float_round_mode_16_64 0
		.amdhsa_float_denorm_mode_32 3
		.amdhsa_float_denorm_mode_16_64 3
		.amdhsa_dx10_clamp 1
		.amdhsa_ieee_mode 1
		.amdhsa_fp16_overflow 0
		.amdhsa_tg_split 0
		.amdhsa_exception_fp_ieee_invalid_op 0
		.amdhsa_exception_fp_denorm_src 0
		.amdhsa_exception_fp_ieee_div_zero 0
		.amdhsa_exception_fp_ieee_overflow 0
		.amdhsa_exception_fp_ieee_underflow 0
		.amdhsa_exception_fp_ieee_inexact 0
		.amdhsa_exception_int_div_zero 0
	.end_amdhsa_kernel
	.section	.text._Z38paged_attention_ll4mi_QKV_mfma4_kernelIDF16_hLN4vllm18Fp8KVCacheDataTypeE1EDF16_Li32ELi128ELi256ELb1ELi2EEvPKT_PKT0_S7_ifPKiS9_S9_iPKfiiiPfSC_PS2_PT2_iSB_SB_,"axG",@progbits,_Z38paged_attention_ll4mi_QKV_mfma4_kernelIDF16_hLN4vllm18Fp8KVCacheDataTypeE1EDF16_Li32ELi128ELi256ELb1ELi2EEvPKT_PKT0_S7_ifPKiS9_S9_iPKfiiiPfSC_PS2_PT2_iSB_SB_,comdat
.Lfunc_end507:
	.size	_Z38paged_attention_ll4mi_QKV_mfma4_kernelIDF16_hLN4vllm18Fp8KVCacheDataTypeE1EDF16_Li32ELi128ELi256ELb1ELi2EEvPKT_PKT0_S7_ifPKiS9_S9_iPKfiiiPfSC_PS2_PT2_iSB_SB_, .Lfunc_end507-_Z38paged_attention_ll4mi_QKV_mfma4_kernelIDF16_hLN4vllm18Fp8KVCacheDataTypeE1EDF16_Li32ELi128ELi256ELb1ELi2EEvPKT_PKT0_S7_ifPKiS9_S9_iPKfiiiPfSC_PS2_PT2_iSB_SB_
                                        ; -- End function
	.section	.AMDGPU.csdata,"",@progbits
; Kernel info:
; codeLenInByte = 37676
; NumSgprs: 52
; NumVgprs: 80
; NumAgprs: 4
; TotalNumVgprs: 84
; ScratchSize: 144
; MemoryBound: 0
; FloatMode: 240
; IeeeMode: 1
; LDSByteSize: 5280 bytes/workgroup (compile time only)
; SGPRBlocks: 6
; VGPRBlocks: 10
; NumSGPRsForWavesPerEU: 52
; NumVGPRsForWavesPerEU: 84
; AccumOffset: 80
; Occupancy: 5
; WaveLimiterHint : 1
; COMPUTE_PGM_RSRC2:SCRATCH_EN: 1
; COMPUTE_PGM_RSRC2:USER_SGPR: 8
; COMPUTE_PGM_RSRC2:TRAP_HANDLER: 0
; COMPUTE_PGM_RSRC2:TGID_X_EN: 1
; COMPUTE_PGM_RSRC2:TGID_Y_EN: 1
; COMPUTE_PGM_RSRC2:TGID_Z_EN: 1
; COMPUTE_PGM_RSRC2:TIDIG_COMP_CNT: 0
; COMPUTE_PGM_RSRC3_GFX90A:ACCUM_OFFSET: 19
; COMPUTE_PGM_RSRC3_GFX90A:TG_SPLIT: 0
	.section	.text._Z38paged_attention_ll4mi_QKV_mfma4_kernelIDF16_hLN4vllm18Fp8KVCacheDataTypeE1EDF16_Li32ELi128ELi256ELb1ELi3EEvPKT_PKT0_S7_ifPKiS9_S9_iPKfiiiPfSC_PS2_PT2_iSB_SB_,"axG",@progbits,_Z38paged_attention_ll4mi_QKV_mfma4_kernelIDF16_hLN4vllm18Fp8KVCacheDataTypeE1EDF16_Li32ELi128ELi256ELb1ELi3EEvPKT_PKT0_S7_ifPKiS9_S9_iPKfiiiPfSC_PS2_PT2_iSB_SB_,comdat
	.protected	_Z38paged_attention_ll4mi_QKV_mfma4_kernelIDF16_hLN4vllm18Fp8KVCacheDataTypeE1EDF16_Li32ELi128ELi256ELb1ELi3EEvPKT_PKT0_S7_ifPKiS9_S9_iPKfiiiPfSC_PS2_PT2_iSB_SB_ ; -- Begin function _Z38paged_attention_ll4mi_QKV_mfma4_kernelIDF16_hLN4vllm18Fp8KVCacheDataTypeE1EDF16_Li32ELi128ELi256ELb1ELi3EEvPKT_PKT0_S7_ifPKiS9_S9_iPKfiiiPfSC_PS2_PT2_iSB_SB_
	.globl	_Z38paged_attention_ll4mi_QKV_mfma4_kernelIDF16_hLN4vllm18Fp8KVCacheDataTypeE1EDF16_Li32ELi128ELi256ELb1ELi3EEvPKT_PKT0_S7_ifPKiS9_S9_iPKfiiiPfSC_PS2_PT2_iSB_SB_
	.p2align	8
	.type	_Z38paged_attention_ll4mi_QKV_mfma4_kernelIDF16_hLN4vllm18Fp8KVCacheDataTypeE1EDF16_Li32ELi128ELi256ELb1ELi3EEvPKT_PKT0_S7_ifPKiS9_S9_iPKfiiiPfSC_PS2_PT2_iSB_SB_,@function
_Z38paged_attention_ll4mi_QKV_mfma4_kernelIDF16_hLN4vllm18Fp8KVCacheDataTypeE1EDF16_Li32ELi128ELi256ELb1ELi3EEvPKT_PKT0_S7_ifPKiS9_S9_iPKfiiiPfSC_PS2_PT2_iSB_SB_: ; @_Z38paged_attention_ll4mi_QKV_mfma4_kernelIDF16_hLN4vllm18Fp8KVCacheDataTypeE1EDF16_Li32ELi128ELi256ELb1ELi3EEvPKT_PKT0_S7_ifPKiS9_S9_iPKfiiiPfSC_PS2_PT2_iSB_SB_
; %bb.0:
	s_load_dwordx2 s[12:13], s[4:5], 0x30
	s_add_u32 s0, s0, s11
	s_addc_u32 s1, s1, 0
	s_mov_b32 s14, s9
	s_mov_b64 s[6:7], 0
	s_waitcnt lgkmcnt(0)
	s_cmp_lg_u64 s[12:13], 0
	s_cselect_b64 s[24:25], -1, 0
	s_and_b64 vcc, exec, s[24:25]
	s_cbranch_vccz .LBB508_10
; %bb.1:
	s_add_i32 s16, s8, 1
	s_mov_b32 s17, 0
	s_lshl_b64 s[18:19], s[16:17], 2
	s_add_u32 s18, s12, s18
	s_mov_b32 s9, s17
	s_addc_u32 s19, s13, s19
	s_lshl_b64 s[16:17], s[8:9], 2
	s_add_u32 s16, s12, s16
	s_addc_u32 s17, s13, s17
	s_load_dword s11, s[18:19], 0x0
	s_load_dword s15, s[16:17], 0x0
	s_waitcnt lgkmcnt(0)
	s_sub_i32 s11, s11, s15
	s_cmp_eq_u32 s11, 1
	s_cselect_b64 s[16:17], -1, 0
	s_andn2_b64 vcc, exec, s[6:7]
	s_cbranch_vccnz .LBB508_3
.LBB508_2:
	s_mov_b32 s9, 0
	s_mov_b64 s[16:17], -1
.LBB508_3:
	s_andn2_b64 vcc, exec, s[16:17]
	s_cbranch_vccnz .LBB508_1180
; %bb.4:
	s_load_dword s11, s[4:5], 0x9c
	s_load_dwordx2 s[6:7], s[4:5], 0x28
	s_add_u32 s30, s4, 0x90
	s_addc_u32 s31, s5, 0
	s_lshl_b64 s[26:27], s[8:9], 2
	s_waitcnt lgkmcnt(0)
	s_and_b32 s11, s11, 0xffff
	s_add_u32 s6, s6, s26
	s_addc_u32 s7, s7, s27
	s_load_dword s9, s[6:7], 0x0
	s_mul_i32 s11, s14, s11
	s_waitcnt lgkmcnt(0)
	s_cmp_ge_i32 s11, s9
	s_cbranch_scc1 .LBB508_1180
; %bb.5:
	v_and_b32_e32 v1, 0xc0, v0
	v_add_u32_e32 v7, s11, v1
	v_lshrrev_b32_e32 v42, 6, v0
	v_cmp_le_i32_e64 s[6:7], s9, v7
                                        ; implicit-def: $sgpr36
                                        ; implicit-def: $sgpr15
	s_and_saveexec_b64 s[16:17], s[6:7]
	s_xor_b64 s[16:17], exec, s[16:17]
	s_cbranch_execz .LBB508_7
; %bb.6:
	v_mul_u32_u24_e32 v1, 20, v42
	v_or_b32_e32 v1, 0x1400, v1
	v_mov_b32_e32 v2, 0x1450
	v_mov_b32_e32 v3, 0xff7fffff
	v_mad_u32_u24 v2, v42, 20, v2
	ds_write2_b32 v1, v3, v3 offset1:1
	v_mov_b32_e32 v1, 0
	ds_write2_b32 v2, v1, v1 offset1:1
	v_mov_b32_e32 v2, 0x1408
	s_mov_b32 s15, 0xff7fffff
	s_mov_b32 s36, 0
	v_mad_u32_u24 v2, v42, 20, v2
	v_mov_b32_e32 v4, 0x1458
	v_mad_u32_u24 v4, v42, 20, v4
	ds_write2_b32 v2, v3, v3 offset1:1
	ds_write2_b32 v4, v1, v1 offset1:1
                                        ; implicit-def: $vgpr7
.LBB508_7:
	s_or_saveexec_b64 s[34:35], s[16:17]
	s_load_dwordx2 s[28:29], s[4:5], 0x68
	s_load_dwordx4 s[20:23], s[4:5], 0x58
	s_load_dword s33, s[30:31], 0x4
	s_load_dwordx4 s[16:19], s[4:5], 0x80
	v_and_b32_e32 v1, 63, v0
	v_and_b32_e32 v43, 3, v0
	s_mul_i32 s44, s10, 3
	v_mov_b32_e32 v5, s36
	v_mov_b32_e32 v6, s15
	v_mov_b32_e32 v4, s36
	v_mov_b32_e32 v3, s36
	v_mov_b32_e32 v2, s36
	s_xor_b64 exec, exec, s[34:35]
	s_cbranch_execz .LBB508_787
; %bb.8:
	s_add_i32 s38, s9, 31
	s_load_dwordx2 s[36:37], s[4:5], 0x20
	s_load_dword s15, s[4:5], 0x38
	s_ashr_i32 s39, s38, 31
	s_lshr_b32 s39, s39, 27
	v_add_u32_e32 v44, s11, v0
	s_add_i32 s38, s38, s39
	v_ashrrev_i32_e32 v2, 31, v44
	s_ashr_i32 s38, s38, 5
	v_lshrrev_b32_e32 v2, 27, v2
	s_add_i32 s40, s38, -1
	v_add_u32_e32 v2, v44, v2
	s_waitcnt lgkmcnt(0)
	s_mul_i32 s38, s8, s15
	s_mov_b32 s39, 0
	v_ashrrev_i32_e32 v2, 5, v2
	v_mov_b32_e32 v3, s40
	v_cmp_gt_i32_e32 vcc, s9, v44
	s_lshl_b64 s[38:39], s[38:39], 2
	v_cndmask_b32_e32 v2, v3, v2, vcc
	s_add_u32 s15, s36, s38
	v_ashrrev_i32_e32 v3, 31, v2
	s_addc_u32 s36, s37, s39
	v_lshlrev_b64 v[2:3], 2, v[2:3]
	v_mov_b32_e32 v4, s36
	v_add_co_u32_e32 v2, vcc, s15, v2
	v_addc_co_u32_e32 v3, vcc, v4, v3, vcc
	v_ashrrev_i32_e32 v4, 31, v7
	v_lshrrev_b32_e32 v4, 27, v4
	v_add_u32_e32 v4, v7, v4
	v_ashrrev_i32_e32 v6, 5, v4
	v_min_i32_e32 v4, s40, v6
	v_ashrrev_i32_e32 v5, 31, v4
	v_lshlrev_b64 v[4:5], 2, v[4:5]
	v_add_u32_e32 v6, 1, v6
	v_mov_b32_e32 v7, s36
	v_add_co_u32_e32 v4, vcc, s15, v4
	v_min_i32_e32 v6, s40, v6
	v_addc_co_u32_e32 v5, vcc, v7, v5, vcc
	v_ashrrev_i32_e32 v7, 31, v6
	v_lshlrev_b64 v[6:7], 2, v[6:7]
	v_mov_b32_e32 v9, s36
	v_add_co_u32_e32 v8, vcc, s15, v6
	v_addc_co_u32_e32 v9, vcc, v9, v7, vcc
	global_load_dword v6, v[2:3], off
	global_load_dword v41, v[4:5], off
	;; [unrolled: 1-line block ×3, first 2 shown]
	s_load_dwordx2 s[38:39], s[4:5], 0x8
	s_andn2_b64 vcc, exec, s[24:25]
	s_cbranch_vccnz .LBB508_11
; %bb.9:
	s_add_u32 s12, s12, s26
	s_addc_u32 s13, s13, s27
	s_load_dword s11, s[12:13], 0x0
	s_branch .LBB508_12
.LBB508_10:
	s_mov_b64 s[16:17], 0
	s_branch .LBB508_2
.LBB508_11:
	s_mov_b32 s11, s8
.LBB508_12:
	s_load_dwordx2 s[36:37], s[4:5], 0x10
	s_load_dwordx4 s[24:27], s[4:5], 0x48
	v_cmp_eq_u32_e32 vcc, 3, v43
	v_cmp_ne_u32_e64 s[12:13], 3, v43
	s_mov_b32 s43, 0
	v_mov_b32_e32 v46, 0
	v_mov_b32_e32 v2, 0
	v_mov_b32_e32 v3, 0
	v_mov_b32_e32 v4, 0
	v_mov_b32_e32 v5, 0
	s_and_saveexec_b64 s[40:41], s[12:13]
	s_cbranch_execz .LBB508_14
; %bb.13:
	s_load_dwordx2 s[46:47], s[4:5], 0x0
	s_waitcnt lgkmcnt(0)
	s_ashr_i32 s15, s24, 31
	s_mul_hi_u32 s27, s11, s24
	s_mul_i32 s15, s11, s15
	s_add_i32 s49, s27, s15
	s_mul_i32 s48, s11, s24
	s_lshl_b64 s[48:49], s[48:49], 1
	s_add_u32 s11, s46, s48
	s_mul_i32 s42, s10, 0x180
	s_addc_u32 s15, s47, s49
	s_lshl_b64 s[42:43], s[42:43], 1
	v_lshlrev_b32_e32 v2, 2, v1
	s_add_u32 s42, s11, s42
	v_and_b32_e32 v2, 0xf0, v2
	s_addc_u32 s43, s15, s43
	v_lshl_or_b32 v2, v43, 8, v2
	global_load_dwordx4 v[2:5], v2, s[42:43]
.LBB508_14:
	s_or_b64 exec, exec, s[40:41]
	s_waitcnt lgkmcnt(0)
	s_mul_i32 s15, s10, s26
	s_add_u32 s10, s15, s38
	s_addc_u32 s11, 0, s39
	v_pk_mov_b32 v[8:9], s[10:11], s[10:11] op_sel:[0,1]
	s_waitcnt vmcnt(2)
	v_mad_i64_i32 v[6:7], s[10:11], v6, s25, v[8:9]
	v_lshlrev_b32_e32 v8, 4, v0
	v_and_b32_e32 v8, 0x1f0, v8
	v_add_co_u32_e64 v38, s[10:11], v6, v8
	v_addc_co_u32_e64 v39, s[10:11], 0, v7, s[10:11]
	global_load_dwordx4 v[34:37], v[38:39], off
	global_load_dwordx4 v[30:33], v[38:39], off offset:512
	global_load_dwordx4 v[26:29], v[38:39], off offset:1024
	global_load_dwordx4 v[22:25], v[38:39], off offset:1536
	global_load_dwordx4 v[18:21], v[38:39], off offset:2048
	global_load_dwordx4 v[14:17], v[38:39], off offset:2560
	global_load_dwordx4 v[10:13], v[38:39], off offset:3072
	global_load_dwordx4 v[6:9], v[38:39], off offset:3584
	v_mov_b32_e32 v45, 0
	s_and_saveexec_b64 s[26:27], s[12:13]
	s_cbranch_execz .LBB508_16
; %bb.15:
	s_load_dwordx2 s[10:11], s[4:5], 0x40
	v_add_u32_e32 v38, s44, v43
	v_mov_b32_e32 v39, 0
	v_lshlrev_b64 v[38:39], 2, v[38:39]
	s_waitcnt lgkmcnt(0)
	v_mov_b32_e32 v45, s11
	v_add_co_u32_e64 v38, s[10:11], s10, v38
	v_addc_co_u32_e64 v39, s[10:11], v45, v39, s[10:11]
	global_load_dword v45, v[38:39], off
.LBB508_16:
	s_or_b64 exec, exec, s[26:27]
	s_waitcnt vmcnt(9)
	v_mul_hi_i32 v38, v41, s25
	v_ashrrev_i32_e32 v38, 31, v38
	v_lshrrev_b32_e32 v38, 29, v38
	v_mov_b32_e32 v39, 0
	s_add_u32 s12, s36, s15
	v_mad_i64_i32 v[48:49], s[10:11], v41, s25, v[38:39]
	s_addc_u32 s13, s37, 0
	v_and_b32_e32 v38, -8, v48
	v_mov_b32_e32 v41, s13
	v_add_co_u32_e64 v38, s[10:11], s12, v38
	v_addc_co_u32_e64 v41, s[10:11], v41, v49, s[10:11]
	v_lshlrev_b32_e32 v47, 5, v1
	v_add_co_u32_e64 v64, s[10:11], v38, v47
	s_waitcnt vmcnt(8)
	v_mul_hi_i32 v38, v40, s25
	v_ashrrev_i32_e32 v38, 31, v38
	v_lshrrev_b32_e32 v38, 29, v38
	v_addc_co_u32_e64 v65, s[10:11], 0, v41, s[10:11]
	v_mad_i64_i32 v[40:41], s[10:11], v40, s25, v[38:39]
	v_and_b32_e32 v38, -8, v40
	v_mov_b32_e32 v40, s13
	v_add_co_u32_e64 v38, s[10:11], s12, v38
	v_addc_co_u32_e64 v41, s[10:11], v40, v41, s[10:11]
	v_add_co_u32_e64 v40, s[10:11], v38, v47
	v_addc_co_u32_e64 v41, s[10:11], 0, v41, s[10:11]
	global_load_dwordx4 v[48:51], v[64:65], off offset:16
	global_load_dwordx4 v[52:55], v[64:65], off
	global_load_dwordx4 v[56:59], v[64:65], off offset:2064
	global_load_dwordx4 v[60:63], v[64:65], off offset:2048
	s_nop 0
	global_load_dwordx4 v[64:67], v[40:41], off
	global_load_dwordx4 v[68:71], v[40:41], off offset:16
	global_load_dwordx4 v[72:75], v[40:41], off offset:2048
	;; [unrolled: 1-line block ×3, first 2 shown]
	s_waitcnt vmcnt(15)
	v_cmp_ne_u16_sdwa s[10:11], v34, v39 src0_sel:BYTE_0 src1_sel:DWORD
	s_waitcnt vmcnt(6)
	buffer_store_dword v53, off, s[0:3], 0 offset:4
	buffer_store_dword v52, off, s[0:3], 0
	buffer_store_dword v55, off, s[0:3], 0 offset:12
	buffer_store_dword v54, off, s[0:3], 0 offset:8
	;; [unrolled: 1-line block ×6, first 2 shown]
	s_waitcnt vmcnt(12)
	buffer_store_dword v61, off, s[0:3], 0 offset:68
	buffer_store_dword v60, off, s[0:3], 0 offset:64
	;; [unrolled: 1-line block ×8, first 2 shown]
	s_waitcnt vmcnt(19)
	buffer_store_dword v65, off, s[0:3], 0 offset:36
	buffer_store_dword v64, off, s[0:3], 0 offset:32
	buffer_store_dword v67, off, s[0:3], 0 offset:44
	buffer_store_dword v66, off, s[0:3], 0 offset:40
	s_waitcnt vmcnt(22)
	buffer_store_dword v69, off, s[0:3], 0 offset:52
	buffer_store_dword v68, off, s[0:3], 0 offset:48
	buffer_store_dword v71, off, s[0:3], 0 offset:60
	buffer_store_dword v70, off, s[0:3], 0 offset:56
	;; [unrolled: 5-line block ×4, first 2 shown]
	s_and_saveexec_b64 s[12:13], s[10:11]
	s_cbranch_execz .LBB508_22
; %bb.17:
	s_movk_i32 s10, 0x80
	v_cmp_ne_u16_sdwa s[10:11], v34, s10 src0_sel:BYTE_0 src1_sel:DWORD
	v_bfrev_b32_e32 v46, 1
	s_and_saveexec_b64 s[24:25], s[10:11]
	s_cbranch_execz .LBB508_21
; %bb.18:
	s_movk_i32 s10, 0x7f
	v_and_b32_e32 v38, 0x7f, v34
	v_cmp_ne_u32_e64 s[10:11], s10, v38
	v_mov_b32_e32 v46, 0x7f800001
	s_and_saveexec_b64 s[26:27], s[10:11]
	s_cbranch_execz .LBB508_20
; %bb.19:
	v_and_b32_e32 v40, 7, v34
	v_ffbh_u32_e32 v40, v40
	v_min_u32_e32 v40, 32, v40
	v_lshrrev_b32_e32 v41, 3, v38
	v_subrev_u32_e32 v46, 28, v40
	v_sub_u32_e32 v40, 29, v40
	v_cmp_gt_u32_e64 s[10:11], 8, v38
	v_cndmask_b32_e64 v38, v41, v40, s[10:11]
	v_cndmask_b32_e64 v40, 0, v46, s[10:11]
	v_lshlrev_b64 v[40:41], v40, v[34:35]
	v_lshlrev_b32_e32 v40, 20, v40
	v_lshlrev_b32_e32 v41, 24, v34
	v_bfrev_b32_e32 v46, 60
	v_and_b32_e32 v40, 0x700000, v40
	v_and_b32_e32 v41, 0x80000000, v41
	v_lshl_add_u32 v38, v38, 23, v46
	v_or3_b32 v46, v41, v38, v40
.LBB508_20:
	s_or_b64 exec, exec, s[26:27]
.LBB508_21:
	s_or_b64 exec, exec, s[24:25]
.LBB508_22:
	s_or_b64 exec, exec, s[12:13]
	v_lshrrev_b16_e32 v38, 8, v34
	v_cmp_ne_u16_e64 s[10:11], 0, v38
	v_mov_b32_e32 v47, 0
	s_and_saveexec_b64 s[12:13], s[10:11]
	s_cbranch_execz .LBB508_28
; %bb.23:
	s_movk_i32 s10, 0x80
	v_cmp_ne_u16_e64 s[10:11], s10, v38
	v_bfrev_b32_e32 v47, 1
	s_and_saveexec_b64 s[24:25], s[10:11]
	s_cbranch_execz .LBB508_27
; %bb.24:
	s_movk_i32 s10, 0x7f
	v_and_b32_e32 v40, 0x7f, v38
	v_cmp_ne_u32_e64 s[10:11], s10, v40
	v_mov_b32_e32 v47, 0x7f800001
	s_and_saveexec_b64 s[26:27], s[10:11]
	s_cbranch_execz .LBB508_26
; %bb.25:
	v_and_b32_e32 v41, 7, v38
	v_ffbh_u32_e32 v48, v41
	v_min_u32_e32 v50, 32, v48
	v_subrev_u32_e32 v48, 28, v50
	v_lshlrev_b64 v[48:49], v48, v[38:39]
	v_lshrrev_b32_e32 v47, 3, v40
	v_sub_u32_e32 v38, 29, v50
	v_and_b32_e32 v48, 7, v48
	v_cmp_gt_u32_e64 s[10:11], 8, v40
	v_cndmask_b32_e64 v38, v47, v38, s[10:11]
	v_cndmask_b32_e64 v40, v41, v48, s[10:11]
	v_lshlrev_b32_e32 v41, 16, v34
	v_bfrev_b32_e32 v47, 60
	v_lshlrev_b32_e32 v40, 20, v40
	v_and_b32_e32 v41, 0x80000000, v41
	v_lshl_add_u32 v38, v38, 23, v47
	v_or3_b32 v47, v41, v38, v40
.LBB508_26:
	s_or_b64 exec, exec, s[26:27]
.LBB508_27:
	s_or_b64 exec, exec, s[24:25]
.LBB508_28:
	s_or_b64 exec, exec, s[12:13]
	s_movk_i32 s10, 0xff
	v_and_b32_sdwa v40, v34, s10 dst_sel:DWORD dst_unused:UNUSED_PAD src0_sel:WORD_1 src1_sel:DWORD
	v_lshrrev_b32_e32 v38, 16, v34
	v_cmp_ne_u16_e64 s[10:11], 0, v40
	s_and_saveexec_b64 s[12:13], s[10:11]
	s_cbranch_execz .LBB508_34
; %bb.29:
	s_movk_i32 s10, 0x80
	v_cmp_ne_u16_e64 s[10:11], s10, v40
	v_bfrev_b32_e32 v39, 1
	s_and_saveexec_b64 s[24:25], s[10:11]
	s_cbranch_execz .LBB508_33
; %bb.30:
	v_bfe_u32 v40, v34, 16, 7
	s_movk_i32 s10, 0x7f
	v_cmp_ne_u32_e64 s[10:11], s10, v40
	v_mov_b32_e32 v39, 0x7f800001
	s_and_saveexec_b64 s[26:27], s[10:11]
	s_cbranch_execz .LBB508_32
; %bb.31:
	v_and_b32_e32 v41, 7, v38
	v_ffbh_u32_e32 v39, v41
	v_min_u32_e32 v49, 32, v39
	v_subrev_u32_e32 v39, 28, v49
	v_lshlrev_b64 v[38:39], v39, v[38:39]
	v_lshrrev_b32_e32 v48, 3, v40
	v_sub_u32_e32 v39, 29, v49
	v_and_b32_e32 v38, 7, v38
	v_cmp_gt_u32_e64 s[10:11], 8, v40
	v_mov_b32_e32 v40, 24
	v_cndmask_b32_e64 v39, v48, v39, s[10:11]
	v_cndmask_b32_e64 v38, v41, v38, s[10:11]
	v_lshlrev_b32_sdwa v40, v40, v34 dst_sel:DWORD dst_unused:UNUSED_PAD src0_sel:DWORD src1_sel:WORD_1
	v_bfrev_b32_e32 v41, 60
	v_lshlrev_b32_e32 v38, 20, v38
	v_and_b32_e32 v40, 0x80000000, v40
	v_lshl_add_u32 v39, v39, 23, v41
	v_or3_b32 v39, v40, v39, v38
.LBB508_32:
	s_or_b64 exec, exec, s[26:27]
.LBB508_33:
	s_or_b64 exec, exec, s[24:25]
.LBB508_34:
	s_or_b64 exec, exec, s[12:13]
	s_mov_b32 s10, 0xffffff
	v_cmp_lt_u32_e64 s[10:11], s10, v34
	v_mov_b32_e32 v41, 0
	v_mov_b32_e32 v48, 0
	s_and_saveexec_b64 s[12:13], s[10:11]
	s_cbranch_execz .LBB508_40
; %bb.35:
	v_lshrrev_b32_e32 v38, 24, v34
	s_movk_i32 s10, 0x80
	v_cmp_ne_u32_e64 s[10:11], s10, v38
	v_bfrev_b32_e32 v48, 1
	s_and_saveexec_b64 s[24:25], s[10:11]
	s_cbranch_execz .LBB508_39
; %bb.36:
	v_bfe_u32 v40, v34, 24, 7
	s_movk_i32 s10, 0x7f
	v_cmp_ne_u32_e64 s[10:11], s10, v40
	v_mov_b32_e32 v48, 0x7f800001
	s_and_saveexec_b64 s[26:27], s[10:11]
	s_cbranch_execz .LBB508_38
; %bb.37:
	v_and_b32_e32 v50, 7, v38
	v_ffbh_u32_e32 v48, v50
	v_min_u32_e32 v52, 32, v48
	v_subrev_u32_e32 v48, 28, v52
	v_lshlrev_b64 v[48:49], v48, v[38:39]
	v_lshrrev_b32_e32 v51, 3, v40
	v_sub_u32_e32 v49, 29, v52
	v_and_b32_e32 v48, 7, v48
	v_cmp_gt_u32_e64 s[10:11], 8, v40
	v_cndmask_b32_e64 v40, v51, v49, s[10:11]
	v_cndmask_b32_e64 v48, v50, v48, s[10:11]
	v_lshlrev_b32_e32 v38, 24, v38
	v_bfrev_b32_e32 v49, 60
	v_lshlrev_b32_e32 v48, 20, v48
	v_and_b32_e32 v38, 0x80000000, v38
	v_lshl_add_u32 v40, v40, 23, v49
	v_or3_b32 v48, v38, v40, v48
.LBB508_38:
	s_or_b64 exec, exec, s[26:27]
.LBB508_39:
	s_or_b64 exec, exec, s[24:25]
.LBB508_40:
	s_or_b64 exec, exec, s[12:13]
	v_mov_b32_e32 v40, v35
	v_cmp_ne_u16_sdwa s[10:11], v35, v41 src0_sel:BYTE_0 src1_sel:DWORD
	s_and_saveexec_b64 s[12:13], s[10:11]
	s_cbranch_execz .LBB508_46
; %bb.41:
	s_movk_i32 s10, 0x80
	v_cmp_ne_u16_sdwa s[10:11], v35, s10 src0_sel:BYTE_0 src1_sel:DWORD
	v_bfrev_b32_e32 v38, 1
	s_and_saveexec_b64 s[24:25], s[10:11]
	s_cbranch_execz .LBB508_45
; %bb.42:
	s_movk_i32 s10, 0x7f
	v_and_b32_e32 v49, 0x7f, v35
	v_cmp_ne_u32_e64 s[10:11], s10, v49
	v_mov_b32_e32 v38, 0x7f800001
	s_and_saveexec_b64 s[26:27], s[10:11]
	s_cbranch_execz .LBB508_44
; %bb.43:
	v_and_b32_e32 v38, 7, v35
	v_ffbh_u32_e32 v38, v38
	v_min_u32_e32 v38, 32, v38
	v_subrev_u32_e32 v51, 28, v38
	v_cmp_gt_u32_e64 s[10:11], 8, v49
	v_lshrrev_b32_e32 v50, 3, v49
	v_sub_u32_e32 v38, 29, v38
	v_cndmask_b32_e64 v49, 0, v51, s[10:11]
	v_cndmask_b32_e64 v38, v50, v38, s[10:11]
	v_lshlrev_b64 v[50:51], v49, v[40:41]
	v_lshlrev_b32_e32 v41, 20, v50
	v_lshlrev_b32_e32 v49, 24, v40
	v_bfrev_b32_e32 v50, 60
	v_and_b32_e32 v41, 0x700000, v41
	v_and_b32_e32 v49, 0x80000000, v49
	v_lshl_add_u32 v38, v38, 23, v50
	v_or3_b32 v38, v49, v38, v41
.LBB508_44:
	s_or_b64 exec, exec, s[26:27]
.LBB508_45:
	s_or_b64 exec, exec, s[24:25]
	v_mov_b32_e32 v41, v38
.LBB508_46:
	s_or_b64 exec, exec, s[12:13]
	v_lshrrev_b16_e32 v38, 8, v40
	v_cmp_ne_u16_e64 s[10:11], 0, v38
	v_mov_b32_e32 v49, 0
	v_mov_b32_e32 v50, 0
	s_and_saveexec_b64 s[12:13], s[10:11]
	s_cbranch_execz .LBB508_52
; %bb.47:
	s_movk_i32 s10, 0x80
	v_cmp_ne_u16_e64 s[10:11], s10, v38
	v_bfrev_b32_e32 v50, 1
	s_and_saveexec_b64 s[24:25], s[10:11]
	s_cbranch_execz .LBB508_51
; %bb.48:
	s_movk_i32 s10, 0x7f
	v_and_b32_e32 v51, 0x7f, v38
	v_cmp_ne_u32_e64 s[10:11], s10, v51
	v_mov_b32_e32 v50, 0x7f800001
	s_and_saveexec_b64 s[26:27], s[10:11]
	s_cbranch_execz .LBB508_50
; %bb.49:
	v_and_b32_e32 v50, 7, v38
	v_ffbh_u32_e32 v52, v50
	v_min_u32_e32 v55, 32, v52
	v_subrev_u32_e32 v52, 28, v55
	v_lshlrev_b64 v[52:53], v52, v[38:39]
	v_lshrrev_b32_e32 v54, 3, v51
	v_sub_u32_e32 v38, 29, v55
	v_and_b32_e32 v52, 7, v52
	v_cmp_gt_u32_e64 s[10:11], 8, v51
	v_cndmask_b32_e64 v38, v54, v38, s[10:11]
	v_cndmask_b32_e64 v50, v50, v52, s[10:11]
	v_lshlrev_b32_e32 v40, 16, v40
	v_bfrev_b32_e32 v51, 60
	v_lshlrev_b32_e32 v50, 20, v50
	v_and_b32_e32 v40, 0x80000000, v40
	v_lshl_add_u32 v38, v38, 23, v51
	v_or3_b32 v50, v40, v38, v50
.LBB508_50:
	s_or_b64 exec, exec, s[26:27]
.LBB508_51:
	s_or_b64 exec, exec, s[24:25]
.LBB508_52:
	s_or_b64 exec, exec, s[12:13]
	s_movk_i32 s10, 0xff
	v_and_b32_sdwa v40, v35, s10 dst_sel:DWORD dst_unused:UNUSED_PAD src0_sel:WORD_1 src1_sel:DWORD
	v_lshrrev_b32_e32 v38, 16, v35
	v_cmp_ne_u16_e64 s[10:11], 0, v40
	s_and_saveexec_b64 s[12:13], s[10:11]
	s_cbranch_execz .LBB508_58
; %bb.53:
	s_movk_i32 s10, 0x80
	v_cmp_ne_u16_e64 s[10:11], s10, v40
	v_bfrev_b32_e32 v49, 1
	s_and_saveexec_b64 s[24:25], s[10:11]
	s_cbranch_execz .LBB508_57
; %bb.54:
	v_bfe_u32 v40, v35, 16, 7
	s_movk_i32 s10, 0x7f
	v_cmp_ne_u32_e64 s[10:11], s10, v40
	v_mov_b32_e32 v49, 0x7f800001
	s_and_saveexec_b64 s[26:27], s[10:11]
	s_cbranch_execz .LBB508_56
; %bb.55:
	v_and_b32_e32 v49, 7, v38
	v_ffbh_u32_e32 v52, v49
	v_min_u32_e32 v54, 32, v52
	v_subrev_u32_e32 v52, 28, v54
	v_lshlrev_b64 v[52:53], v52, v[38:39]
	v_and_b32_e32 v52, 7, v52
	v_cmp_gt_u32_e64 s[10:11], 8, v40
	v_lshrrev_b32_e32 v51, 3, v40
	v_sub_u32_e32 v38, 29, v54
	v_cndmask_b32_e64 v40, v49, v52, s[10:11]
	v_mov_b32_e32 v49, 24
	v_cndmask_b32_e64 v38, v51, v38, s[10:11]
	v_lshlrev_b32_sdwa v49, v49, v35 dst_sel:DWORD dst_unused:UNUSED_PAD src0_sel:DWORD src1_sel:WORD_1
	v_bfrev_b32_e32 v51, 60
	v_lshlrev_b32_e32 v40, 20, v40
	v_and_b32_e32 v49, 0x80000000, v49
	v_lshl_add_u32 v38, v38, 23, v51
	v_or3_b32 v49, v49, v38, v40
.LBB508_56:
	s_or_b64 exec, exec, s[26:27]
.LBB508_57:
	s_or_b64 exec, exec, s[24:25]
.LBB508_58:
	s_or_b64 exec, exec, s[12:13]
	s_mov_b32 s10, -1
	s_mov_b32 s11, 0xffffff
	v_cmp_lt_u64_e64 s[10:11], s[10:11], v[34:35]
	v_mov_b32_e32 v40, 0
	v_mov_b32_e32 v38, 0
	s_and_saveexec_b64 s[12:13], s[10:11]
	s_cbranch_execz .LBB508_64
; %bb.59:
	v_lshrrev_b32_e32 v34, 24, v35
	s_movk_i32 s10, 0x80
	v_cmp_ne_u32_e64 s[10:11], s10, v34
	v_bfrev_b32_e32 v38, 1
	s_and_saveexec_b64 s[24:25], s[10:11]
	s_cbranch_execz .LBB508_63
; %bb.60:
	v_bfe_u32 v35, v35, 24, 7
	s_movk_i32 s10, 0x7f
	v_cmp_ne_u32_e64 s[10:11], s10, v35
	v_mov_b32_e32 v38, 0x7f800001
	s_and_saveexec_b64 s[26:27], s[10:11]
	s_cbranch_execz .LBB508_62
; %bb.61:
	v_and_b32_e32 v38, 7, v34
	v_ffbh_u32_e32 v52, v38
	v_min_u32_e32 v54, 32, v52
	v_subrev_u32_e32 v52, 28, v54
	v_lshlrev_b64 v[52:53], v52, v[34:35]
	v_lshrrev_b32_e32 v51, 3, v35
	v_sub_u32_e32 v53, 29, v54
	v_and_b32_e32 v52, 7, v52
	v_cmp_gt_u32_e64 s[10:11], 8, v35
	v_cndmask_b32_e64 v35, v51, v53, s[10:11]
	v_cndmask_b32_e64 v38, v38, v52, s[10:11]
	v_lshlrev_b32_e32 v34, 24, v34
	v_bfrev_b32_e32 v51, 60
	v_lshlrev_b32_e32 v38, 20, v38
	v_and_b32_e32 v34, 0x80000000, v34
	v_lshl_add_u32 v35, v35, 23, v51
	v_or3_b32 v38, v34, v35, v38
.LBB508_62:
	s_or_b64 exec, exec, s[26:27]
.LBB508_63:
	s_or_b64 exec, exec, s[24:25]
.LBB508_64:
	s_or_b64 exec, exec, s[12:13]
	v_cvt_pkrtz_f16_f32 v34, v46, v47
	v_cvt_pkrtz_f16_f32 v35, v39, v48
	;; [unrolled: 1-line block ×4, first 2 shown]
	v_mfma_f32_4x4x4f16 a[0:3], v[2:3], v[34:35], 0 cbsz:4
	v_cmp_ne_u16_sdwa s[10:11], v36, v40 src0_sel:BYTE_0 src1_sel:DWORD
	v_mfma_f32_4x4x4f16 a[0:3], v[4:5], v[46:47], a[0:3] cbsz:4
	s_and_saveexec_b64 s[12:13], s[10:11]
	s_cbranch_execz .LBB508_70
; %bb.65:
	s_movk_i32 s10, 0x80
	v_cmp_ne_u16_sdwa s[10:11], v36, s10 src0_sel:BYTE_0 src1_sel:DWORD
	v_bfrev_b32_e32 v40, 1
	s_and_saveexec_b64 s[24:25], s[10:11]
	s_cbranch_execz .LBB508_69
; %bb.66:
	s_movk_i32 s10, 0x7f
	v_and_b32_e32 v34, 0x7f, v36
	v_cmp_ne_u32_e64 s[10:11], s10, v34
	v_mov_b32_e32 v40, 0x7f800001
	s_and_saveexec_b64 s[26:27], s[10:11]
	s_cbranch_execz .LBB508_68
; %bb.67:
	v_and_b32_e32 v35, 7, v36
	v_ffbh_u32_e32 v35, v35
	v_min_u32_e32 v35, 32, v35
	v_subrev_u32_e32 v39, 28, v35
	v_cmp_gt_u32_e64 s[10:11], 8, v34
	v_lshrrev_b32_e32 v38, 3, v34
	v_sub_u32_e32 v35, 29, v35
	v_cndmask_b32_e64 v34, 0, v39, s[10:11]
	v_cndmask_b32_e64 v38, v38, v35, s[10:11]
	v_lshlrev_b64 v[34:35], v34, v[36:37]
	v_lshlrev_b32_e32 v34, 20, v34
	v_lshlrev_b32_e32 v35, 24, v36
	v_bfrev_b32_e32 v39, 60
	v_and_b32_e32 v34, 0x700000, v34
	v_and_b32_e32 v35, 0x80000000, v35
	v_lshl_add_u32 v38, v38, 23, v39
	v_or3_b32 v40, v35, v38, v34
.LBB508_68:
	s_or_b64 exec, exec, s[26:27]
.LBB508_69:
	s_or_b64 exec, exec, s[24:25]
.LBB508_70:
	s_or_b64 exec, exec, s[12:13]
	v_lshrrev_b16_e32 v34, 8, v36
	v_cmp_ne_u16_e64 s[10:11], 0, v34
	v_mov_b32_e32 v39, 0
	v_mov_b32_e32 v41, 0
	s_and_saveexec_b64 s[12:13], s[10:11]
	s_cbranch_execz .LBB508_76
; %bb.71:
	s_movk_i32 s10, 0x80
	v_cmp_ne_u16_e64 s[10:11], s10, v34
	v_bfrev_b32_e32 v41, 1
	s_and_saveexec_b64 s[24:25], s[10:11]
	s_cbranch_execz .LBB508_75
; %bb.72:
	s_movk_i32 s10, 0x7f
	v_and_b32_e32 v35, 0x7f, v34
	v_cmp_ne_u32_e64 s[10:11], s10, v35
	v_mov_b32_e32 v41, 0x7f800001
	s_and_saveexec_b64 s[26:27], s[10:11]
	s_cbranch_execz .LBB508_74
; %bb.73:
	v_and_b32_e32 v38, 7, v34
	v_ffbh_u32_e32 v46, v38
	v_min_u32_e32 v48, 32, v46
	v_subrev_u32_e32 v46, 28, v48
	v_lshlrev_b64 v[46:47], v46, v[34:35]
	v_lshrrev_b32_e32 v41, 3, v35
	v_sub_u32_e32 v34, 29, v48
	v_and_b32_e32 v46, 7, v46
	v_cmp_gt_u32_e64 s[10:11], 8, v35
	v_cndmask_b32_e64 v34, v41, v34, s[10:11]
	v_cndmask_b32_e64 v35, v38, v46, s[10:11]
	v_lshlrev_b32_e32 v38, 16, v36
	v_bfrev_b32_e32 v41, 60
	v_lshlrev_b32_e32 v35, 20, v35
	v_and_b32_e32 v38, 0x80000000, v38
	v_lshl_add_u32 v34, v34, 23, v41
	v_or3_b32 v41, v38, v34, v35
.LBB508_74:
	s_or_b64 exec, exec, s[26:27]
.LBB508_75:
	s_or_b64 exec, exec, s[24:25]
.LBB508_76:
	s_or_b64 exec, exec, s[12:13]
	s_movk_i32 s10, 0xff
	v_and_b32_sdwa v35, v36, s10 dst_sel:DWORD dst_unused:UNUSED_PAD src0_sel:WORD_1 src1_sel:DWORD
	v_lshrrev_b32_e32 v34, 16, v36
	v_cmp_ne_u16_e64 s[10:11], 0, v35
	s_and_saveexec_b64 s[12:13], s[10:11]
	s_cbranch_execz .LBB508_82
; %bb.77:
	s_movk_i32 s10, 0x80
	v_cmp_ne_u16_e64 s[10:11], s10, v35
	v_bfrev_b32_e32 v39, 1
	s_and_saveexec_b64 s[24:25], s[10:11]
	s_cbranch_execz .LBB508_81
; %bb.78:
	v_bfe_u32 v35, v36, 16, 7
	s_movk_i32 s10, 0x7f
	v_cmp_ne_u32_e64 s[10:11], s10, v35
	v_mov_b32_e32 v39, 0x7f800001
	s_and_saveexec_b64 s[26:27], s[10:11]
	s_cbranch_execz .LBB508_80
; %bb.79:
	v_and_b32_e32 v46, 7, v34
	v_ffbh_u32_e32 v38, v46
	v_min_u32_e32 v48, 32, v38
	v_subrev_u32_e32 v38, 28, v48
	v_lshlrev_b64 v[38:39], v38, v[34:35]
	v_and_b32_e32 v38, 7, v38
	v_cmp_gt_u32_e64 s[10:11], 8, v35
	v_lshrrev_b32_e32 v47, 3, v35
	v_sub_u32_e32 v34, 29, v48
	v_cndmask_b32_e64 v35, v46, v38, s[10:11]
	v_mov_b32_e32 v38, 24
	v_cndmask_b32_e64 v34, v47, v34, s[10:11]
	v_lshlrev_b32_sdwa v38, v38, v36 dst_sel:DWORD dst_unused:UNUSED_PAD src0_sel:DWORD src1_sel:WORD_1
	v_bfrev_b32_e32 v39, 60
	v_lshlrev_b32_e32 v35, 20, v35
	v_and_b32_e32 v38, 0x80000000, v38
	v_lshl_add_u32 v34, v34, 23, v39
	v_or3_b32 v39, v38, v34, v35
.LBB508_80:
	s_or_b64 exec, exec, s[26:27]
.LBB508_81:
	s_or_b64 exec, exec, s[24:25]
.LBB508_82:
	s_or_b64 exec, exec, s[12:13]
	s_mov_b32 s10, 0xffffff
	v_cmp_lt_u32_e64 s[10:11], s10, v36
	v_mov_b32_e32 v35, 0
	v_mov_b32_e32 v46, 0
	s_and_saveexec_b64 s[12:13], s[10:11]
	s_cbranch_execz .LBB508_88
; %bb.83:
	v_lshrrev_b32_e32 v34, 24, v36
	s_movk_i32 s10, 0x80
	v_cmp_ne_u32_e64 s[10:11], s10, v34
	v_bfrev_b32_e32 v46, 1
	s_and_saveexec_b64 s[24:25], s[10:11]
	s_cbranch_execz .LBB508_87
; %bb.84:
	v_bfe_u32 v38, v36, 24, 7
	s_movk_i32 s10, 0x7f
	v_cmp_ne_u32_e64 s[10:11], s10, v38
	v_mov_b32_e32 v46, 0x7f800001
	s_and_saveexec_b64 s[26:27], s[10:11]
	s_cbranch_execz .LBB508_86
; %bb.85:
	v_and_b32_e32 v48, 7, v34
	v_ffbh_u32_e32 v46, v48
	v_min_u32_e32 v50, 32, v46
	v_subrev_u32_e32 v46, 28, v50
	v_lshlrev_b64 v[46:47], v46, v[34:35]
	v_lshrrev_b32_e32 v49, 3, v38
	v_sub_u32_e32 v47, 29, v50
	v_and_b32_e32 v46, 7, v46
	v_cmp_gt_u32_e64 s[10:11], 8, v38
	v_cndmask_b32_e64 v38, v49, v47, s[10:11]
	v_cndmask_b32_e64 v46, v48, v46, s[10:11]
	v_lshlrev_b32_e32 v34, 24, v34
	v_bfrev_b32_e32 v47, 60
	v_lshlrev_b32_e32 v46, 20, v46
	v_and_b32_e32 v34, 0x80000000, v34
	v_lshl_add_u32 v38, v38, 23, v47
	v_or3_b32 v46, v34, v38, v46
.LBB508_86:
	s_or_b64 exec, exec, s[26:27]
.LBB508_87:
	s_or_b64 exec, exec, s[24:25]
.LBB508_88:
	s_or_b64 exec, exec, s[12:13]
	v_mov_b32_e32 v34, v37
	v_cmp_ne_u16_sdwa s[10:11], v37, v35 src0_sel:BYTE_0 src1_sel:DWORD
	s_and_saveexec_b64 s[12:13], s[10:11]
	s_cbranch_execz .LBB508_94
; %bb.89:
	s_movk_i32 s10, 0x80
	v_cmp_ne_u16_sdwa s[10:11], v37, s10 src0_sel:BYTE_0 src1_sel:DWORD
	v_bfrev_b32_e32 v38, 1
	s_and_saveexec_b64 s[24:25], s[10:11]
	s_cbranch_execz .LBB508_93
; %bb.90:
	s_movk_i32 s10, 0x7f
	v_and_b32_e32 v47, 0x7f, v37
	v_cmp_ne_u32_e64 s[10:11], s10, v47
	v_mov_b32_e32 v38, 0x7f800001
	s_and_saveexec_b64 s[26:27], s[10:11]
	s_cbranch_execz .LBB508_92
; %bb.91:
	v_and_b32_e32 v38, 7, v37
	v_ffbh_u32_e32 v38, v38
	v_min_u32_e32 v38, 32, v38
	v_subrev_u32_e32 v49, 28, v38
	v_cmp_gt_u32_e64 s[10:11], 8, v47
	v_lshrrev_b32_e32 v48, 3, v47
	v_sub_u32_e32 v38, 29, v38
	v_cndmask_b32_e64 v47, 0, v49, s[10:11]
	v_cndmask_b32_e64 v38, v48, v38, s[10:11]
	v_lshlrev_b64 v[48:49], v47, v[34:35]
	v_lshlrev_b32_e32 v35, 20, v48
	v_lshlrev_b32_e32 v47, 24, v34
	v_bfrev_b32_e32 v48, 60
	v_and_b32_e32 v35, 0x700000, v35
	v_and_b32_e32 v47, 0x80000000, v47
	v_lshl_add_u32 v38, v38, 23, v48
	v_or3_b32 v38, v47, v38, v35
.LBB508_92:
	s_or_b64 exec, exec, s[26:27]
.LBB508_93:
	s_or_b64 exec, exec, s[24:25]
	v_mov_b32_e32 v35, v38
.LBB508_94:
	s_or_b64 exec, exec, s[12:13]
	v_lshrrev_b16_e32 v38, 8, v34
	v_cmp_ne_u16_e64 s[10:11], 0, v38
	v_mov_b32_e32 v47, 0
	v_mov_b32_e32 v48, 0
	s_and_saveexec_b64 s[12:13], s[10:11]
	s_cbranch_execz .LBB508_100
; %bb.95:
	s_movk_i32 s10, 0x80
	v_cmp_ne_u16_e64 s[10:11], s10, v38
	v_bfrev_b32_e32 v48, 1
	s_and_saveexec_b64 s[24:25], s[10:11]
	s_cbranch_execz .LBB508_99
; %bb.96:
	s_movk_i32 s10, 0x7f
	v_and_b32_e32 v49, 0x7f, v38
	v_cmp_ne_u32_e64 s[10:11], s10, v49
	v_mov_b32_e32 v48, 0x7f800001
	s_and_saveexec_b64 s[26:27], s[10:11]
	s_cbranch_execz .LBB508_98
; %bb.97:
	v_and_b32_e32 v48, 7, v38
	v_ffbh_u32_e32 v50, v48
	v_min_u32_e32 v53, 32, v50
	v_subrev_u32_e32 v50, 28, v53
	v_lshlrev_b64 v[50:51], v50, v[38:39]
	v_lshrrev_b32_e32 v52, 3, v49
	v_sub_u32_e32 v38, 29, v53
	v_and_b32_e32 v50, 7, v50
	v_cmp_gt_u32_e64 s[10:11], 8, v49
	v_cndmask_b32_e64 v38, v52, v38, s[10:11]
	v_cndmask_b32_e64 v48, v48, v50, s[10:11]
	v_lshlrev_b32_e32 v34, 16, v34
	v_bfrev_b32_e32 v49, 60
	v_lshlrev_b32_e32 v48, 20, v48
	v_and_b32_e32 v34, 0x80000000, v34
	v_lshl_add_u32 v38, v38, 23, v49
	v_or3_b32 v48, v34, v38, v48
.LBB508_98:
	s_or_b64 exec, exec, s[26:27]
.LBB508_99:
	s_or_b64 exec, exec, s[24:25]
.LBB508_100:
	s_or_b64 exec, exec, s[12:13]
	s_movk_i32 s10, 0xff
	v_and_b32_sdwa v38, v37, s10 dst_sel:DWORD dst_unused:UNUSED_PAD src0_sel:WORD_1 src1_sel:DWORD
	v_lshrrev_b32_e32 v34, 16, v37
	v_cmp_ne_u16_e64 s[10:11], 0, v38
	s_and_saveexec_b64 s[12:13], s[10:11]
	s_cbranch_execz .LBB508_106
; %bb.101:
	s_movk_i32 s10, 0x80
	v_cmp_ne_u16_e64 s[10:11], s10, v38
	v_bfrev_b32_e32 v47, 1
	s_and_saveexec_b64 s[24:25], s[10:11]
	s_cbranch_execz .LBB508_105
; %bb.102:
	v_bfe_u32 v38, v37, 16, 7
	s_movk_i32 s10, 0x7f
	v_cmp_ne_u32_e64 s[10:11], s10, v38
	v_mov_b32_e32 v47, 0x7f800001
	s_and_saveexec_b64 s[26:27], s[10:11]
	s_cbranch_execz .LBB508_104
; %bb.103:
	v_and_b32_e32 v47, 7, v34
	v_ffbh_u32_e32 v50, v47
	v_min_u32_e32 v52, 32, v50
	v_subrev_u32_e32 v50, 28, v52
	v_lshlrev_b64 v[50:51], v50, v[34:35]
	v_and_b32_e32 v50, 7, v50
	v_cmp_gt_u32_e64 s[10:11], 8, v38
	v_lshrrev_b32_e32 v49, 3, v38
	v_sub_u32_e32 v34, 29, v52
	v_cndmask_b32_e64 v38, v47, v50, s[10:11]
	v_mov_b32_e32 v47, 24
	v_cndmask_b32_e64 v34, v49, v34, s[10:11]
	v_lshlrev_b32_sdwa v47, v47, v37 dst_sel:DWORD dst_unused:UNUSED_PAD src0_sel:DWORD src1_sel:WORD_1
	v_bfrev_b32_e32 v49, 60
	v_lshlrev_b32_e32 v38, 20, v38
	v_and_b32_e32 v47, 0x80000000, v47
	v_lshl_add_u32 v34, v34, 23, v49
	v_or3_b32 v47, v47, v34, v38
.LBB508_104:
	s_or_b64 exec, exec, s[26:27]
.LBB508_105:
	s_or_b64 exec, exec, s[24:25]
.LBB508_106:
	s_or_b64 exec, exec, s[12:13]
	s_mov_b32 s10, -1
	s_mov_b32 s11, 0xffffff
	v_cmp_lt_u64_e64 s[10:11], s[10:11], v[36:37]
	v_mov_b32_e32 v38, 0
	v_mov_b32_e32 v36, 0
	s_and_saveexec_b64 s[12:13], s[10:11]
	s_cbranch_execz .LBB508_112
; %bb.107:
	v_lshrrev_b32_e32 v34, 24, v37
	s_movk_i32 s10, 0x80
	v_cmp_ne_u32_e64 s[10:11], s10, v34
	v_bfrev_b32_e32 v36, 1
	s_and_saveexec_b64 s[24:25], s[10:11]
	s_cbranch_execz .LBB508_111
; %bb.108:
	v_bfe_u32 v37, v37, 24, 7
	s_movk_i32 s10, 0x7f
	v_cmp_ne_u32_e64 s[10:11], s10, v37
	v_mov_b32_e32 v36, 0x7f800001
	s_and_saveexec_b64 s[26:27], s[10:11]
	s_cbranch_execz .LBB508_110
; %bb.109:
	v_and_b32_e32 v36, 7, v34
	v_ffbh_u32_e32 v50, v36
	v_min_u32_e32 v52, 32, v50
	v_subrev_u32_e32 v50, 28, v52
	v_lshlrev_b64 v[50:51], v50, v[34:35]
	v_lshrrev_b32_e32 v49, 3, v37
	v_sub_u32_e32 v51, 29, v52
	v_and_b32_e32 v50, 7, v50
	v_cmp_gt_u32_e64 s[10:11], 8, v37
	v_cndmask_b32_e64 v37, v49, v51, s[10:11]
	v_cndmask_b32_e64 v36, v36, v50, s[10:11]
	v_lshlrev_b32_e32 v34, 24, v34
	v_bfrev_b32_e32 v49, 60
	v_lshlrev_b32_e32 v36, 20, v36
	v_and_b32_e32 v34, 0x80000000, v34
	v_lshl_add_u32 v37, v37, 23, v49
	v_or3_b32 v36, v34, v37, v36
.LBB508_110:
	s_or_b64 exec, exec, s[26:27]
.LBB508_111:
	s_or_b64 exec, exec, s[24:25]
.LBB508_112:
	s_or_b64 exec, exec, s[12:13]
	v_cvt_pkrtz_f16_f32 v40, v40, v41
	v_cvt_pkrtz_f16_f32 v41, v39, v46
	;; [unrolled: 1-line block ×4, first 2 shown]
	v_mfma_f32_4x4x4f16 a[0:3], v[2:3], v[40:41], a[0:3] cbsz:4 abid:1
	v_cmp_ne_u16_sdwa s[10:11], v30, v38 src0_sel:BYTE_0 src1_sel:DWORD
	v_mfma_f32_4x4x4f16 a[0:3], v[4:5], v[34:35], a[0:3] cbsz:4 abid:1
	s_and_saveexec_b64 s[12:13], s[10:11]
	s_cbranch_execz .LBB508_118
; %bb.113:
	s_movk_i32 s10, 0x80
	v_cmp_ne_u16_sdwa s[10:11], v30, s10 src0_sel:BYTE_0 src1_sel:DWORD
	v_bfrev_b32_e32 v38, 1
	s_and_saveexec_b64 s[24:25], s[10:11]
	s_cbranch_execz .LBB508_117
; %bb.114:
	s_movk_i32 s10, 0x7f
	v_and_b32_e32 v34, 0x7f, v30
	v_cmp_ne_u32_e64 s[10:11], s10, v34
	v_mov_b32_e32 v38, 0x7f800001
	s_and_saveexec_b64 s[26:27], s[10:11]
	s_cbranch_execz .LBB508_116
; %bb.115:
	v_and_b32_e32 v35, 7, v30
	v_ffbh_u32_e32 v35, v35
	v_min_u32_e32 v35, 32, v35
	v_subrev_u32_e32 v37, 28, v35
	v_cmp_gt_u32_e64 s[10:11], 8, v34
	v_lshrrev_b32_e32 v36, 3, v34
	v_sub_u32_e32 v35, 29, v35
	v_cndmask_b32_e64 v34, 0, v37, s[10:11]
	v_cndmask_b32_e64 v36, v36, v35, s[10:11]
	v_lshlrev_b64 v[34:35], v34, v[30:31]
	v_lshlrev_b32_e32 v34, 20, v34
	v_lshlrev_b32_e32 v35, 24, v30
	v_bfrev_b32_e32 v37, 60
	v_and_b32_e32 v34, 0x700000, v34
	v_and_b32_e32 v35, 0x80000000, v35
	v_lshl_add_u32 v36, v36, 23, v37
	v_or3_b32 v38, v35, v36, v34
.LBB508_116:
	s_or_b64 exec, exec, s[26:27]
.LBB508_117:
	s_or_b64 exec, exec, s[24:25]
.LBB508_118:
	s_or_b64 exec, exec, s[12:13]
	v_lshrrev_b16_e32 v34, 8, v30
	v_cmp_ne_u16_e64 s[10:11], 0, v34
	v_mov_b32_e32 v37, 0
	v_mov_b32_e32 v39, 0
	s_and_saveexec_b64 s[12:13], s[10:11]
	s_cbranch_execz .LBB508_124
; %bb.119:
	s_movk_i32 s10, 0x80
	v_cmp_ne_u16_e64 s[10:11], s10, v34
	v_bfrev_b32_e32 v39, 1
	s_and_saveexec_b64 s[24:25], s[10:11]
	s_cbranch_execz .LBB508_123
; %bb.120:
	s_movk_i32 s10, 0x7f
	v_and_b32_e32 v35, 0x7f, v34
	v_cmp_ne_u32_e64 s[10:11], s10, v35
	v_mov_b32_e32 v39, 0x7f800001
	s_and_saveexec_b64 s[26:27], s[10:11]
	s_cbranch_execz .LBB508_122
; %bb.121:
	v_and_b32_e32 v36, 7, v34
	v_ffbh_u32_e32 v40, v36
	v_min_u32_e32 v46, 32, v40
	v_subrev_u32_e32 v40, 28, v46
	v_lshlrev_b64 v[40:41], v40, v[34:35]
	v_lshrrev_b32_e32 v39, 3, v35
	v_sub_u32_e32 v34, 29, v46
	v_and_b32_e32 v40, 7, v40
	v_cmp_gt_u32_e64 s[10:11], 8, v35
	v_cndmask_b32_e64 v34, v39, v34, s[10:11]
	v_cndmask_b32_e64 v35, v36, v40, s[10:11]
	v_lshlrev_b32_e32 v36, 16, v30
	v_bfrev_b32_e32 v39, 60
	v_lshlrev_b32_e32 v35, 20, v35
	v_and_b32_e32 v36, 0x80000000, v36
	v_lshl_add_u32 v34, v34, 23, v39
	v_or3_b32 v39, v36, v34, v35
.LBB508_122:
	s_or_b64 exec, exec, s[26:27]
.LBB508_123:
	s_or_b64 exec, exec, s[24:25]
.LBB508_124:
	s_or_b64 exec, exec, s[12:13]
	s_movk_i32 s10, 0xff
	v_and_b32_sdwa v35, v30, s10 dst_sel:DWORD dst_unused:UNUSED_PAD src0_sel:WORD_1 src1_sel:DWORD
	v_lshrrev_b32_e32 v34, 16, v30
	v_cmp_ne_u16_e64 s[10:11], 0, v35
	s_and_saveexec_b64 s[12:13], s[10:11]
	s_cbranch_execz .LBB508_130
; %bb.125:
	s_movk_i32 s10, 0x80
	v_cmp_ne_u16_e64 s[10:11], s10, v35
	v_bfrev_b32_e32 v37, 1
	s_and_saveexec_b64 s[24:25], s[10:11]
	s_cbranch_execz .LBB508_129
; %bb.126:
	v_bfe_u32 v35, v30, 16, 7
	s_movk_i32 s10, 0x7f
	v_cmp_ne_u32_e64 s[10:11], s10, v35
	v_mov_b32_e32 v37, 0x7f800001
	s_and_saveexec_b64 s[26:27], s[10:11]
	s_cbranch_execz .LBB508_128
; %bb.127:
	v_and_b32_e32 v40, 7, v34
	v_ffbh_u32_e32 v36, v40
	v_min_u32_e32 v46, 32, v36
	v_subrev_u32_e32 v36, 28, v46
	v_lshlrev_b64 v[36:37], v36, v[34:35]
	v_and_b32_e32 v36, 7, v36
	v_cmp_gt_u32_e64 s[10:11], 8, v35
	v_lshrrev_b32_e32 v41, 3, v35
	v_sub_u32_e32 v34, 29, v46
	v_cndmask_b32_e64 v35, v40, v36, s[10:11]
	v_mov_b32_e32 v36, 24
	v_cndmask_b32_e64 v34, v41, v34, s[10:11]
	v_lshlrev_b32_sdwa v36, v36, v30 dst_sel:DWORD dst_unused:UNUSED_PAD src0_sel:DWORD src1_sel:WORD_1
	v_bfrev_b32_e32 v37, 60
	v_lshlrev_b32_e32 v35, 20, v35
	v_and_b32_e32 v36, 0x80000000, v36
	v_lshl_add_u32 v34, v34, 23, v37
	v_or3_b32 v37, v36, v34, v35
.LBB508_128:
	s_or_b64 exec, exec, s[26:27]
.LBB508_129:
	s_or_b64 exec, exec, s[24:25]
.LBB508_130:
	s_or_b64 exec, exec, s[12:13]
	s_mov_b32 s10, 0xffffff
	v_cmp_lt_u32_e64 s[10:11], s10, v30
	v_mov_b32_e32 v35, 0
	v_mov_b32_e32 v40, 0
	s_and_saveexec_b64 s[12:13], s[10:11]
	s_cbranch_execz .LBB508_136
; %bb.131:
	v_lshrrev_b32_e32 v34, 24, v30
	s_movk_i32 s10, 0x80
	v_cmp_ne_u32_e64 s[10:11], s10, v34
	v_bfrev_b32_e32 v40, 1
	s_and_saveexec_b64 s[24:25], s[10:11]
	s_cbranch_execz .LBB508_135
; %bb.132:
	v_bfe_u32 v36, v30, 24, 7
	s_movk_i32 s10, 0x7f
	v_cmp_ne_u32_e64 s[10:11], s10, v36
	v_mov_b32_e32 v40, 0x7f800001
	s_and_saveexec_b64 s[26:27], s[10:11]
	s_cbranch_execz .LBB508_134
; %bb.133:
	v_and_b32_e32 v46, 7, v34
	v_ffbh_u32_e32 v40, v46
	v_min_u32_e32 v48, 32, v40
	v_subrev_u32_e32 v40, 28, v48
	v_lshlrev_b64 v[40:41], v40, v[34:35]
	v_lshrrev_b32_e32 v47, 3, v36
	v_sub_u32_e32 v41, 29, v48
	v_and_b32_e32 v40, 7, v40
	v_cmp_gt_u32_e64 s[10:11], 8, v36
	v_cndmask_b32_e64 v36, v47, v41, s[10:11]
	v_cndmask_b32_e64 v40, v46, v40, s[10:11]
	v_lshlrev_b32_e32 v34, 24, v34
	v_bfrev_b32_e32 v41, 60
	v_lshlrev_b32_e32 v40, 20, v40
	v_and_b32_e32 v34, 0x80000000, v34
	v_lshl_add_u32 v36, v36, 23, v41
	v_or3_b32 v40, v34, v36, v40
.LBB508_134:
	s_or_b64 exec, exec, s[26:27]
.LBB508_135:
	s_or_b64 exec, exec, s[24:25]
.LBB508_136:
	s_or_b64 exec, exec, s[12:13]
	v_mov_b32_e32 v34, v31
	v_cmp_ne_u16_sdwa s[10:11], v31, v35 src0_sel:BYTE_0 src1_sel:DWORD
	s_and_saveexec_b64 s[12:13], s[10:11]
	s_cbranch_execz .LBB508_142
; %bb.137:
	s_movk_i32 s10, 0x80
	v_cmp_ne_u16_sdwa s[10:11], v31, s10 src0_sel:BYTE_0 src1_sel:DWORD
	v_bfrev_b32_e32 v36, 1
	s_and_saveexec_b64 s[24:25], s[10:11]
	s_cbranch_execz .LBB508_141
; %bb.138:
	s_movk_i32 s10, 0x7f
	v_and_b32_e32 v41, 0x7f, v31
	v_cmp_ne_u32_e64 s[10:11], s10, v41
	v_mov_b32_e32 v36, 0x7f800001
	s_and_saveexec_b64 s[26:27], s[10:11]
	s_cbranch_execz .LBB508_140
; %bb.139:
	v_and_b32_e32 v36, 7, v31
	v_ffbh_u32_e32 v36, v36
	v_min_u32_e32 v36, 32, v36
	v_subrev_u32_e32 v47, 28, v36
	v_cmp_gt_u32_e64 s[10:11], 8, v41
	v_lshrrev_b32_e32 v46, 3, v41
	v_sub_u32_e32 v36, 29, v36
	v_cndmask_b32_e64 v41, 0, v47, s[10:11]
	v_cndmask_b32_e64 v36, v46, v36, s[10:11]
	v_lshlrev_b64 v[46:47], v41, v[34:35]
	v_lshlrev_b32_e32 v35, 20, v46
	v_lshlrev_b32_e32 v41, 24, v34
	v_bfrev_b32_e32 v46, 60
	v_and_b32_e32 v35, 0x700000, v35
	v_and_b32_e32 v41, 0x80000000, v41
	v_lshl_add_u32 v36, v36, 23, v46
	v_or3_b32 v36, v41, v36, v35
.LBB508_140:
	s_or_b64 exec, exec, s[26:27]
.LBB508_141:
	s_or_b64 exec, exec, s[24:25]
	v_mov_b32_e32 v35, v36
.LBB508_142:
	s_or_b64 exec, exec, s[12:13]
	v_lshrrev_b16_e32 v36, 8, v34
	v_cmp_ne_u16_e64 s[10:11], 0, v36
	v_mov_b32_e32 v41, 0
	v_mov_b32_e32 v46, 0
	s_and_saveexec_b64 s[12:13], s[10:11]
	s_cbranch_execz .LBB508_148
; %bb.143:
	s_movk_i32 s10, 0x80
	v_cmp_ne_u16_e64 s[10:11], s10, v36
	v_bfrev_b32_e32 v46, 1
	s_and_saveexec_b64 s[24:25], s[10:11]
	s_cbranch_execz .LBB508_147
; %bb.144:
	s_movk_i32 s10, 0x7f
	v_and_b32_e32 v47, 0x7f, v36
	v_cmp_ne_u32_e64 s[10:11], s10, v47
	v_mov_b32_e32 v46, 0x7f800001
	s_and_saveexec_b64 s[26:27], s[10:11]
	s_cbranch_execz .LBB508_146
; %bb.145:
	v_and_b32_e32 v46, 7, v36
	v_ffbh_u32_e32 v48, v46
	v_min_u32_e32 v51, 32, v48
	v_subrev_u32_e32 v48, 28, v51
	v_lshlrev_b64 v[48:49], v48, v[36:37]
	v_lshrrev_b32_e32 v50, 3, v47
	v_sub_u32_e32 v36, 29, v51
	v_and_b32_e32 v48, 7, v48
	v_cmp_gt_u32_e64 s[10:11], 8, v47
	v_cndmask_b32_e64 v36, v50, v36, s[10:11]
	v_cndmask_b32_e64 v46, v46, v48, s[10:11]
	v_lshlrev_b32_e32 v34, 16, v34
	v_bfrev_b32_e32 v47, 60
	v_lshlrev_b32_e32 v46, 20, v46
	v_and_b32_e32 v34, 0x80000000, v34
	v_lshl_add_u32 v36, v36, 23, v47
	v_or3_b32 v46, v34, v36, v46
.LBB508_146:
	s_or_b64 exec, exec, s[26:27]
.LBB508_147:
	s_or_b64 exec, exec, s[24:25]
.LBB508_148:
	s_or_b64 exec, exec, s[12:13]
	s_movk_i32 s10, 0xff
	v_and_b32_sdwa v36, v31, s10 dst_sel:DWORD dst_unused:UNUSED_PAD src0_sel:WORD_1 src1_sel:DWORD
	v_lshrrev_b32_e32 v34, 16, v31
	v_cmp_ne_u16_e64 s[10:11], 0, v36
	s_and_saveexec_b64 s[12:13], s[10:11]
	s_cbranch_execz .LBB508_154
; %bb.149:
	s_movk_i32 s10, 0x80
	v_cmp_ne_u16_e64 s[10:11], s10, v36
	v_bfrev_b32_e32 v41, 1
	s_and_saveexec_b64 s[24:25], s[10:11]
	s_cbranch_execz .LBB508_153
; %bb.150:
	v_bfe_u32 v36, v31, 16, 7
	s_movk_i32 s10, 0x7f
	v_cmp_ne_u32_e64 s[10:11], s10, v36
	v_mov_b32_e32 v41, 0x7f800001
	s_and_saveexec_b64 s[26:27], s[10:11]
	s_cbranch_execz .LBB508_152
; %bb.151:
	v_and_b32_e32 v41, 7, v34
	v_ffbh_u32_e32 v48, v41
	v_min_u32_e32 v50, 32, v48
	v_subrev_u32_e32 v48, 28, v50
	v_lshlrev_b64 v[48:49], v48, v[34:35]
	v_and_b32_e32 v48, 7, v48
	v_cmp_gt_u32_e64 s[10:11], 8, v36
	v_lshrrev_b32_e32 v47, 3, v36
	v_sub_u32_e32 v34, 29, v50
	v_cndmask_b32_e64 v36, v41, v48, s[10:11]
	v_mov_b32_e32 v41, 24
	v_cndmask_b32_e64 v34, v47, v34, s[10:11]
	v_lshlrev_b32_sdwa v41, v41, v31 dst_sel:DWORD dst_unused:UNUSED_PAD src0_sel:DWORD src1_sel:WORD_1
	v_bfrev_b32_e32 v47, 60
	v_lshlrev_b32_e32 v36, 20, v36
	v_and_b32_e32 v41, 0x80000000, v41
	v_lshl_add_u32 v34, v34, 23, v47
	v_or3_b32 v41, v41, v34, v36
.LBB508_152:
	s_or_b64 exec, exec, s[26:27]
.LBB508_153:
	s_or_b64 exec, exec, s[24:25]
.LBB508_154:
	s_or_b64 exec, exec, s[12:13]
	s_mov_b32 s10, -1
	s_mov_b32 s11, 0xffffff
	v_cmp_lt_u64_e64 s[10:11], s[10:11], v[30:31]
	v_mov_b32_e32 v36, 0
	v_mov_b32_e32 v34, 0
	s_and_saveexec_b64 s[12:13], s[10:11]
	s_cbranch_execz .LBB508_160
; %bb.155:
	v_lshrrev_b32_e32 v30, 24, v31
	s_movk_i32 s10, 0x80
	v_cmp_ne_u32_e64 s[10:11], s10, v30
	v_bfrev_b32_e32 v34, 1
	s_and_saveexec_b64 s[24:25], s[10:11]
	s_cbranch_execz .LBB508_159
; %bb.156:
	v_bfe_u32 v31, v31, 24, 7
	s_movk_i32 s10, 0x7f
	v_cmp_ne_u32_e64 s[10:11], s10, v31
	v_mov_b32_e32 v34, 0x7f800001
	s_and_saveexec_b64 s[26:27], s[10:11]
	s_cbranch_execz .LBB508_158
; %bb.157:
	v_and_b32_e32 v34, 7, v30
	v_ffbh_u32_e32 v48, v34
	v_min_u32_e32 v50, 32, v48
	v_subrev_u32_e32 v48, 28, v50
	v_lshlrev_b64 v[48:49], v48, v[30:31]
	v_lshrrev_b32_e32 v47, 3, v31
	v_sub_u32_e32 v49, 29, v50
	v_and_b32_e32 v48, 7, v48
	v_cmp_gt_u32_e64 s[10:11], 8, v31
	v_cndmask_b32_e64 v31, v47, v49, s[10:11]
	v_cndmask_b32_e64 v34, v34, v48, s[10:11]
	v_lshlrev_b32_e32 v30, 24, v30
	v_bfrev_b32_e32 v47, 60
	v_lshlrev_b32_e32 v34, 20, v34
	v_and_b32_e32 v30, 0x80000000, v30
	v_lshl_add_u32 v31, v31, 23, v47
	v_or3_b32 v34, v30, v31, v34
.LBB508_158:
	s_or_b64 exec, exec, s[26:27]
.LBB508_159:
	s_or_b64 exec, exec, s[24:25]
.LBB508_160:
	s_or_b64 exec, exec, s[12:13]
	v_cvt_pkrtz_f16_f32 v30, v38, v39
	v_cvt_pkrtz_f16_f32 v31, v37, v40
	;; [unrolled: 1-line block ×4, first 2 shown]
	v_mfma_f32_4x4x4f16 a[0:3], v[2:3], v[30:31], a[0:3] cbsz:4 abid:2
	v_cmp_ne_u16_sdwa s[10:11], v32, v36 src0_sel:BYTE_0 src1_sel:DWORD
	v_mfma_f32_4x4x4f16 a[0:3], v[4:5], v[38:39], a[0:3] cbsz:4 abid:2
	s_and_saveexec_b64 s[12:13], s[10:11]
	s_cbranch_execz .LBB508_166
; %bb.161:
	s_movk_i32 s10, 0x80
	v_cmp_ne_u16_sdwa s[10:11], v32, s10 src0_sel:BYTE_0 src1_sel:DWORD
	v_bfrev_b32_e32 v36, 1
	s_and_saveexec_b64 s[24:25], s[10:11]
	s_cbranch_execz .LBB508_165
; %bb.162:
	s_movk_i32 s10, 0x7f
	v_and_b32_e32 v30, 0x7f, v32
	v_cmp_ne_u32_e64 s[10:11], s10, v30
	v_mov_b32_e32 v36, 0x7f800001
	s_and_saveexec_b64 s[26:27], s[10:11]
	s_cbranch_execz .LBB508_164
; %bb.163:
	v_and_b32_e32 v31, 7, v32
	v_ffbh_u32_e32 v31, v31
	v_min_u32_e32 v31, 32, v31
	v_subrev_u32_e32 v35, 28, v31
	v_cmp_gt_u32_e64 s[10:11], 8, v30
	v_lshrrev_b32_e32 v34, 3, v30
	v_sub_u32_e32 v31, 29, v31
	v_cndmask_b32_e64 v30, 0, v35, s[10:11]
	v_cndmask_b32_e64 v34, v34, v31, s[10:11]
	v_lshlrev_b64 v[30:31], v30, v[32:33]
	v_lshlrev_b32_e32 v30, 20, v30
	v_lshlrev_b32_e32 v31, 24, v32
	v_bfrev_b32_e32 v35, 60
	v_and_b32_e32 v30, 0x700000, v30
	v_and_b32_e32 v31, 0x80000000, v31
	v_lshl_add_u32 v34, v34, 23, v35
	v_or3_b32 v36, v31, v34, v30
.LBB508_164:
	s_or_b64 exec, exec, s[26:27]
.LBB508_165:
	s_or_b64 exec, exec, s[24:25]
.LBB508_166:
	s_or_b64 exec, exec, s[12:13]
	v_lshrrev_b16_e32 v30, 8, v32
	v_cmp_ne_u16_e64 s[10:11], 0, v30
	v_mov_b32_e32 v35, 0
	v_mov_b32_e32 v37, 0
	s_and_saveexec_b64 s[12:13], s[10:11]
	s_cbranch_execz .LBB508_172
; %bb.167:
	s_movk_i32 s10, 0x80
	v_cmp_ne_u16_e64 s[10:11], s10, v30
	v_bfrev_b32_e32 v37, 1
	s_and_saveexec_b64 s[24:25], s[10:11]
	s_cbranch_execz .LBB508_171
; %bb.168:
	s_movk_i32 s10, 0x7f
	v_and_b32_e32 v31, 0x7f, v30
	v_cmp_ne_u32_e64 s[10:11], s10, v31
	v_mov_b32_e32 v37, 0x7f800001
	s_and_saveexec_b64 s[26:27], s[10:11]
	s_cbranch_execz .LBB508_170
; %bb.169:
	v_and_b32_e32 v34, 7, v30
	v_ffbh_u32_e32 v38, v34
	v_min_u32_e32 v40, 32, v38
	v_subrev_u32_e32 v38, 28, v40
	v_lshlrev_b64 v[38:39], v38, v[30:31]
	v_lshrrev_b32_e32 v37, 3, v31
	v_sub_u32_e32 v30, 29, v40
	v_and_b32_e32 v38, 7, v38
	v_cmp_gt_u32_e64 s[10:11], 8, v31
	v_cndmask_b32_e64 v30, v37, v30, s[10:11]
	v_cndmask_b32_e64 v31, v34, v38, s[10:11]
	v_lshlrev_b32_e32 v34, 16, v32
	v_bfrev_b32_e32 v37, 60
	v_lshlrev_b32_e32 v31, 20, v31
	v_and_b32_e32 v34, 0x80000000, v34
	v_lshl_add_u32 v30, v30, 23, v37
	v_or3_b32 v37, v34, v30, v31
.LBB508_170:
	s_or_b64 exec, exec, s[26:27]
.LBB508_171:
	s_or_b64 exec, exec, s[24:25]
.LBB508_172:
	s_or_b64 exec, exec, s[12:13]
	s_movk_i32 s10, 0xff
	v_and_b32_sdwa v31, v32, s10 dst_sel:DWORD dst_unused:UNUSED_PAD src0_sel:WORD_1 src1_sel:DWORD
	v_lshrrev_b32_e32 v30, 16, v32
	v_cmp_ne_u16_e64 s[10:11], 0, v31
	s_and_saveexec_b64 s[12:13], s[10:11]
	s_cbranch_execz .LBB508_178
; %bb.173:
	s_movk_i32 s10, 0x80
	v_cmp_ne_u16_e64 s[10:11], s10, v31
	v_bfrev_b32_e32 v35, 1
	s_and_saveexec_b64 s[24:25], s[10:11]
	s_cbranch_execz .LBB508_177
; %bb.174:
	v_bfe_u32 v31, v32, 16, 7
	s_movk_i32 s10, 0x7f
	v_cmp_ne_u32_e64 s[10:11], s10, v31
	v_mov_b32_e32 v35, 0x7f800001
	s_and_saveexec_b64 s[26:27], s[10:11]
	s_cbranch_execz .LBB508_176
; %bb.175:
	v_and_b32_e32 v38, 7, v30
	v_ffbh_u32_e32 v34, v38
	v_min_u32_e32 v40, 32, v34
	v_subrev_u32_e32 v34, 28, v40
	v_lshlrev_b64 v[34:35], v34, v[30:31]
	v_and_b32_e32 v34, 7, v34
	v_cmp_gt_u32_e64 s[10:11], 8, v31
	v_lshrrev_b32_e32 v39, 3, v31
	v_sub_u32_e32 v30, 29, v40
	v_cndmask_b32_e64 v31, v38, v34, s[10:11]
	v_mov_b32_e32 v34, 24
	v_cndmask_b32_e64 v30, v39, v30, s[10:11]
	v_lshlrev_b32_sdwa v34, v34, v32 dst_sel:DWORD dst_unused:UNUSED_PAD src0_sel:DWORD src1_sel:WORD_1
	v_bfrev_b32_e32 v35, 60
	v_lshlrev_b32_e32 v31, 20, v31
	v_and_b32_e32 v34, 0x80000000, v34
	v_lshl_add_u32 v30, v30, 23, v35
	v_or3_b32 v35, v34, v30, v31
.LBB508_176:
	s_or_b64 exec, exec, s[26:27]
.LBB508_177:
	s_or_b64 exec, exec, s[24:25]
.LBB508_178:
	s_or_b64 exec, exec, s[12:13]
	s_mov_b32 s10, 0xffffff
	v_cmp_lt_u32_e64 s[10:11], s10, v32
	v_mov_b32_e32 v31, 0
	v_mov_b32_e32 v38, 0
	s_and_saveexec_b64 s[12:13], s[10:11]
	s_cbranch_execz .LBB508_184
; %bb.179:
	v_lshrrev_b32_e32 v30, 24, v32
	s_movk_i32 s10, 0x80
	v_cmp_ne_u32_e64 s[10:11], s10, v30
	v_bfrev_b32_e32 v38, 1
	s_and_saveexec_b64 s[24:25], s[10:11]
	s_cbranch_execz .LBB508_183
; %bb.180:
	v_bfe_u32 v34, v32, 24, 7
	s_movk_i32 s10, 0x7f
	v_cmp_ne_u32_e64 s[10:11], s10, v34
	v_mov_b32_e32 v38, 0x7f800001
	s_and_saveexec_b64 s[26:27], s[10:11]
	s_cbranch_execz .LBB508_182
; %bb.181:
	v_and_b32_e32 v40, 7, v30
	v_ffbh_u32_e32 v38, v40
	v_min_u32_e32 v46, 32, v38
	v_subrev_u32_e32 v38, 28, v46
	v_lshlrev_b64 v[38:39], v38, v[30:31]
	v_lshrrev_b32_e32 v41, 3, v34
	v_sub_u32_e32 v39, 29, v46
	v_and_b32_e32 v38, 7, v38
	v_cmp_gt_u32_e64 s[10:11], 8, v34
	v_cndmask_b32_e64 v34, v41, v39, s[10:11]
	v_cndmask_b32_e64 v38, v40, v38, s[10:11]
	v_lshlrev_b32_e32 v30, 24, v30
	v_bfrev_b32_e32 v39, 60
	v_lshlrev_b32_e32 v38, 20, v38
	v_and_b32_e32 v30, 0x80000000, v30
	v_lshl_add_u32 v34, v34, 23, v39
	v_or3_b32 v38, v30, v34, v38
.LBB508_182:
	s_or_b64 exec, exec, s[26:27]
.LBB508_183:
	s_or_b64 exec, exec, s[24:25]
.LBB508_184:
	s_or_b64 exec, exec, s[12:13]
	v_mov_b32_e32 v30, v33
	v_cmp_ne_u16_sdwa s[10:11], v33, v31 src0_sel:BYTE_0 src1_sel:DWORD
	s_and_saveexec_b64 s[12:13], s[10:11]
	s_cbranch_execz .LBB508_190
; %bb.185:
	s_movk_i32 s10, 0x80
	v_cmp_ne_u16_sdwa s[10:11], v33, s10 src0_sel:BYTE_0 src1_sel:DWORD
	v_bfrev_b32_e32 v34, 1
	s_and_saveexec_b64 s[24:25], s[10:11]
	s_cbranch_execz .LBB508_189
; %bb.186:
	s_movk_i32 s10, 0x7f
	v_and_b32_e32 v39, 0x7f, v33
	v_cmp_ne_u32_e64 s[10:11], s10, v39
	v_mov_b32_e32 v34, 0x7f800001
	s_and_saveexec_b64 s[26:27], s[10:11]
	s_cbranch_execz .LBB508_188
; %bb.187:
	v_and_b32_e32 v34, 7, v33
	v_ffbh_u32_e32 v34, v34
	v_min_u32_e32 v34, 32, v34
	v_subrev_u32_e32 v41, 28, v34
	v_cmp_gt_u32_e64 s[10:11], 8, v39
	v_lshrrev_b32_e32 v40, 3, v39
	v_sub_u32_e32 v34, 29, v34
	v_cndmask_b32_e64 v39, 0, v41, s[10:11]
	v_cndmask_b32_e64 v34, v40, v34, s[10:11]
	v_lshlrev_b64 v[40:41], v39, v[30:31]
	v_lshlrev_b32_e32 v31, 20, v40
	v_lshlrev_b32_e32 v39, 24, v30
	v_bfrev_b32_e32 v40, 60
	v_and_b32_e32 v31, 0x700000, v31
	v_and_b32_e32 v39, 0x80000000, v39
	v_lshl_add_u32 v34, v34, 23, v40
	v_or3_b32 v34, v39, v34, v31
.LBB508_188:
	s_or_b64 exec, exec, s[26:27]
.LBB508_189:
	s_or_b64 exec, exec, s[24:25]
	v_mov_b32_e32 v31, v34
.LBB508_190:
	s_or_b64 exec, exec, s[12:13]
	v_lshrrev_b16_e32 v34, 8, v30
	v_cmp_ne_u16_e64 s[10:11], 0, v34
	v_mov_b32_e32 v39, 0
	v_mov_b32_e32 v40, 0
	s_and_saveexec_b64 s[12:13], s[10:11]
	s_cbranch_execz .LBB508_196
; %bb.191:
	s_movk_i32 s10, 0x80
	v_cmp_ne_u16_e64 s[10:11], s10, v34
	v_bfrev_b32_e32 v40, 1
	s_and_saveexec_b64 s[24:25], s[10:11]
	s_cbranch_execz .LBB508_195
; %bb.192:
	s_movk_i32 s10, 0x7f
	v_and_b32_e32 v41, 0x7f, v34
	v_cmp_ne_u32_e64 s[10:11], s10, v41
	v_mov_b32_e32 v40, 0x7f800001
	s_and_saveexec_b64 s[26:27], s[10:11]
	s_cbranch_execz .LBB508_194
; %bb.193:
	v_and_b32_e32 v40, 7, v34
	v_ffbh_u32_e32 v46, v40
	v_min_u32_e32 v49, 32, v46
	v_subrev_u32_e32 v46, 28, v49
	v_lshlrev_b64 v[46:47], v46, v[34:35]
	v_lshrrev_b32_e32 v48, 3, v41
	v_sub_u32_e32 v34, 29, v49
	v_and_b32_e32 v46, 7, v46
	v_cmp_gt_u32_e64 s[10:11], 8, v41
	v_cndmask_b32_e64 v34, v48, v34, s[10:11]
	v_cndmask_b32_e64 v40, v40, v46, s[10:11]
	v_lshlrev_b32_e32 v30, 16, v30
	v_bfrev_b32_e32 v41, 60
	v_lshlrev_b32_e32 v40, 20, v40
	v_and_b32_e32 v30, 0x80000000, v30
	v_lshl_add_u32 v34, v34, 23, v41
	v_or3_b32 v40, v30, v34, v40
.LBB508_194:
	s_or_b64 exec, exec, s[26:27]
.LBB508_195:
	s_or_b64 exec, exec, s[24:25]
.LBB508_196:
	s_or_b64 exec, exec, s[12:13]
	s_movk_i32 s10, 0xff
	v_and_b32_sdwa v34, v33, s10 dst_sel:DWORD dst_unused:UNUSED_PAD src0_sel:WORD_1 src1_sel:DWORD
	v_lshrrev_b32_e32 v30, 16, v33
	v_cmp_ne_u16_e64 s[10:11], 0, v34
	s_and_saveexec_b64 s[12:13], s[10:11]
	s_cbranch_execz .LBB508_202
; %bb.197:
	s_movk_i32 s10, 0x80
	v_cmp_ne_u16_e64 s[10:11], s10, v34
	v_bfrev_b32_e32 v39, 1
	s_and_saveexec_b64 s[24:25], s[10:11]
	s_cbranch_execz .LBB508_201
; %bb.198:
	v_bfe_u32 v34, v33, 16, 7
	s_movk_i32 s10, 0x7f
	v_cmp_ne_u32_e64 s[10:11], s10, v34
	v_mov_b32_e32 v39, 0x7f800001
	s_and_saveexec_b64 s[26:27], s[10:11]
	s_cbranch_execz .LBB508_200
; %bb.199:
	v_and_b32_e32 v39, 7, v30
	v_ffbh_u32_e32 v46, v39
	v_min_u32_e32 v48, 32, v46
	v_subrev_u32_e32 v46, 28, v48
	v_lshlrev_b64 v[46:47], v46, v[30:31]
	v_and_b32_e32 v46, 7, v46
	v_cmp_gt_u32_e64 s[10:11], 8, v34
	v_lshrrev_b32_e32 v41, 3, v34
	v_sub_u32_e32 v30, 29, v48
	v_cndmask_b32_e64 v34, v39, v46, s[10:11]
	v_mov_b32_e32 v39, 24
	v_cndmask_b32_e64 v30, v41, v30, s[10:11]
	v_lshlrev_b32_sdwa v39, v39, v33 dst_sel:DWORD dst_unused:UNUSED_PAD src0_sel:DWORD src1_sel:WORD_1
	v_bfrev_b32_e32 v41, 60
	v_lshlrev_b32_e32 v34, 20, v34
	v_and_b32_e32 v39, 0x80000000, v39
	v_lshl_add_u32 v30, v30, 23, v41
	v_or3_b32 v39, v39, v30, v34
.LBB508_200:
	s_or_b64 exec, exec, s[26:27]
.LBB508_201:
	s_or_b64 exec, exec, s[24:25]
.LBB508_202:
	s_or_b64 exec, exec, s[12:13]
	s_mov_b32 s10, -1
	s_mov_b32 s11, 0xffffff
	v_cmp_lt_u64_e64 s[10:11], s[10:11], v[32:33]
	v_mov_b32_e32 v34, 0
	v_mov_b32_e32 v32, 0
	s_and_saveexec_b64 s[12:13], s[10:11]
	s_cbranch_execz .LBB508_208
; %bb.203:
	v_lshrrev_b32_e32 v30, 24, v33
	s_movk_i32 s10, 0x80
	v_cmp_ne_u32_e64 s[10:11], s10, v30
	v_bfrev_b32_e32 v32, 1
	s_and_saveexec_b64 s[24:25], s[10:11]
	s_cbranch_execz .LBB508_207
; %bb.204:
	v_bfe_u32 v33, v33, 24, 7
	s_movk_i32 s10, 0x7f
	v_cmp_ne_u32_e64 s[10:11], s10, v33
	v_mov_b32_e32 v32, 0x7f800001
	s_and_saveexec_b64 s[26:27], s[10:11]
	s_cbranch_execz .LBB508_206
; %bb.205:
	v_and_b32_e32 v32, 7, v30
	v_ffbh_u32_e32 v46, v32
	v_min_u32_e32 v48, 32, v46
	v_subrev_u32_e32 v46, 28, v48
	v_lshlrev_b64 v[46:47], v46, v[30:31]
	v_lshrrev_b32_e32 v41, 3, v33
	v_sub_u32_e32 v47, 29, v48
	v_and_b32_e32 v46, 7, v46
	v_cmp_gt_u32_e64 s[10:11], 8, v33
	v_cndmask_b32_e64 v33, v41, v47, s[10:11]
	v_cndmask_b32_e64 v32, v32, v46, s[10:11]
	v_lshlrev_b32_e32 v30, 24, v30
	v_bfrev_b32_e32 v41, 60
	v_lshlrev_b32_e32 v32, 20, v32
	v_and_b32_e32 v30, 0x80000000, v30
	v_lshl_add_u32 v33, v33, 23, v41
	v_or3_b32 v32, v30, v33, v32
.LBB508_206:
	s_or_b64 exec, exec, s[26:27]
.LBB508_207:
	s_or_b64 exec, exec, s[24:25]
.LBB508_208:
	s_or_b64 exec, exec, s[12:13]
	v_cvt_pkrtz_f16_f32 v36, v36, v37
	v_cvt_pkrtz_f16_f32 v37, v35, v38
	;; [unrolled: 1-line block ×4, first 2 shown]
	v_mfma_f32_4x4x4f16 a[0:3], v[2:3], v[36:37], a[0:3] cbsz:4 abid:3
	v_cmp_ne_u16_sdwa s[10:11], v26, v34 src0_sel:BYTE_0 src1_sel:DWORD
	v_mfma_f32_4x4x4f16 a[0:3], v[4:5], v[30:31], a[0:3] cbsz:4 abid:3
	s_and_saveexec_b64 s[12:13], s[10:11]
	s_cbranch_execz .LBB508_214
; %bb.209:
	s_movk_i32 s10, 0x80
	v_cmp_ne_u16_sdwa s[10:11], v26, s10 src0_sel:BYTE_0 src1_sel:DWORD
	v_bfrev_b32_e32 v34, 1
	s_and_saveexec_b64 s[24:25], s[10:11]
	s_cbranch_execz .LBB508_213
; %bb.210:
	s_movk_i32 s10, 0x7f
	v_and_b32_e32 v30, 0x7f, v26
	v_cmp_ne_u32_e64 s[10:11], s10, v30
	v_mov_b32_e32 v34, 0x7f800001
	s_and_saveexec_b64 s[26:27], s[10:11]
	s_cbranch_execz .LBB508_212
; %bb.211:
	v_and_b32_e32 v31, 7, v26
	v_ffbh_u32_e32 v31, v31
	v_min_u32_e32 v31, 32, v31
	v_subrev_u32_e32 v33, 28, v31
	v_cmp_gt_u32_e64 s[10:11], 8, v30
	v_lshrrev_b32_e32 v32, 3, v30
	v_sub_u32_e32 v31, 29, v31
	v_cndmask_b32_e64 v30, 0, v33, s[10:11]
	v_cndmask_b32_e64 v32, v32, v31, s[10:11]
	v_lshlrev_b64 v[30:31], v30, v[26:27]
	v_lshlrev_b32_e32 v30, 20, v30
	v_lshlrev_b32_e32 v31, 24, v26
	v_bfrev_b32_e32 v33, 60
	v_and_b32_e32 v30, 0x700000, v30
	v_and_b32_e32 v31, 0x80000000, v31
	v_lshl_add_u32 v32, v32, 23, v33
	v_or3_b32 v34, v31, v32, v30
.LBB508_212:
	s_or_b64 exec, exec, s[26:27]
.LBB508_213:
	s_or_b64 exec, exec, s[24:25]
.LBB508_214:
	s_or_b64 exec, exec, s[12:13]
	v_lshrrev_b16_e32 v30, 8, v26
	v_cmp_ne_u16_e64 s[10:11], 0, v30
	v_mov_b32_e32 v33, 0
	v_mov_b32_e32 v35, 0
	s_and_saveexec_b64 s[12:13], s[10:11]
	s_cbranch_execz .LBB508_220
; %bb.215:
	s_movk_i32 s10, 0x80
	v_cmp_ne_u16_e64 s[10:11], s10, v30
	v_bfrev_b32_e32 v35, 1
	s_and_saveexec_b64 s[24:25], s[10:11]
	s_cbranch_execz .LBB508_219
; %bb.216:
	s_movk_i32 s10, 0x7f
	v_and_b32_e32 v31, 0x7f, v30
	v_cmp_ne_u32_e64 s[10:11], s10, v31
	v_mov_b32_e32 v35, 0x7f800001
	s_and_saveexec_b64 s[26:27], s[10:11]
	s_cbranch_execz .LBB508_218
; %bb.217:
	v_and_b32_e32 v32, 7, v30
	v_ffbh_u32_e32 v36, v32
	v_min_u32_e32 v38, 32, v36
	v_subrev_u32_e32 v36, 28, v38
	v_lshlrev_b64 v[36:37], v36, v[30:31]
	v_lshrrev_b32_e32 v35, 3, v31
	v_sub_u32_e32 v30, 29, v38
	v_and_b32_e32 v36, 7, v36
	v_cmp_gt_u32_e64 s[10:11], 8, v31
	v_cndmask_b32_e64 v30, v35, v30, s[10:11]
	v_cndmask_b32_e64 v31, v32, v36, s[10:11]
	v_lshlrev_b32_e32 v32, 16, v26
	v_bfrev_b32_e32 v35, 60
	v_lshlrev_b32_e32 v31, 20, v31
	v_and_b32_e32 v32, 0x80000000, v32
	v_lshl_add_u32 v30, v30, 23, v35
	v_or3_b32 v35, v32, v30, v31
.LBB508_218:
	s_or_b64 exec, exec, s[26:27]
.LBB508_219:
	s_or_b64 exec, exec, s[24:25]
.LBB508_220:
	s_or_b64 exec, exec, s[12:13]
	s_movk_i32 s10, 0xff
	v_and_b32_sdwa v31, v26, s10 dst_sel:DWORD dst_unused:UNUSED_PAD src0_sel:WORD_1 src1_sel:DWORD
	v_lshrrev_b32_e32 v30, 16, v26
	v_cmp_ne_u16_e64 s[10:11], 0, v31
	s_and_saveexec_b64 s[12:13], s[10:11]
	s_cbranch_execz .LBB508_226
; %bb.221:
	s_movk_i32 s10, 0x80
	v_cmp_ne_u16_e64 s[10:11], s10, v31
	v_bfrev_b32_e32 v33, 1
	s_and_saveexec_b64 s[24:25], s[10:11]
	s_cbranch_execz .LBB508_225
; %bb.222:
	v_bfe_u32 v31, v26, 16, 7
	s_movk_i32 s10, 0x7f
	v_cmp_ne_u32_e64 s[10:11], s10, v31
	v_mov_b32_e32 v33, 0x7f800001
	s_and_saveexec_b64 s[26:27], s[10:11]
	s_cbranch_execz .LBB508_224
; %bb.223:
	v_and_b32_e32 v36, 7, v30
	v_ffbh_u32_e32 v32, v36
	v_min_u32_e32 v38, 32, v32
	v_subrev_u32_e32 v32, 28, v38
	v_lshlrev_b64 v[32:33], v32, v[30:31]
	v_and_b32_e32 v32, 7, v32
	v_cmp_gt_u32_e64 s[10:11], 8, v31
	v_lshrrev_b32_e32 v37, 3, v31
	v_sub_u32_e32 v30, 29, v38
	v_cndmask_b32_e64 v31, v36, v32, s[10:11]
	v_mov_b32_e32 v32, 24
	v_cndmask_b32_e64 v30, v37, v30, s[10:11]
	v_lshlrev_b32_sdwa v32, v32, v26 dst_sel:DWORD dst_unused:UNUSED_PAD src0_sel:DWORD src1_sel:WORD_1
	v_bfrev_b32_e32 v33, 60
	v_lshlrev_b32_e32 v31, 20, v31
	v_and_b32_e32 v32, 0x80000000, v32
	v_lshl_add_u32 v30, v30, 23, v33
	v_or3_b32 v33, v32, v30, v31
.LBB508_224:
	s_or_b64 exec, exec, s[26:27]
.LBB508_225:
	s_or_b64 exec, exec, s[24:25]
.LBB508_226:
	s_or_b64 exec, exec, s[12:13]
	s_mov_b32 s10, 0xffffff
	v_cmp_lt_u32_e64 s[10:11], s10, v26
	v_mov_b32_e32 v31, 0
	v_mov_b32_e32 v36, 0
	s_and_saveexec_b64 s[12:13], s[10:11]
	s_cbranch_execz .LBB508_232
; %bb.227:
	v_lshrrev_b32_e32 v30, 24, v26
	s_movk_i32 s10, 0x80
	v_cmp_ne_u32_e64 s[10:11], s10, v30
	v_bfrev_b32_e32 v36, 1
	s_and_saveexec_b64 s[24:25], s[10:11]
	s_cbranch_execz .LBB508_231
; %bb.228:
	v_bfe_u32 v32, v26, 24, 7
	s_movk_i32 s10, 0x7f
	v_cmp_ne_u32_e64 s[10:11], s10, v32
	v_mov_b32_e32 v36, 0x7f800001
	s_and_saveexec_b64 s[26:27], s[10:11]
	s_cbranch_execz .LBB508_230
; %bb.229:
	v_and_b32_e32 v38, 7, v30
	v_ffbh_u32_e32 v36, v38
	v_min_u32_e32 v40, 32, v36
	v_subrev_u32_e32 v36, 28, v40
	v_lshlrev_b64 v[36:37], v36, v[30:31]
	v_lshrrev_b32_e32 v39, 3, v32
	v_sub_u32_e32 v37, 29, v40
	v_and_b32_e32 v36, 7, v36
	v_cmp_gt_u32_e64 s[10:11], 8, v32
	v_cndmask_b32_e64 v32, v39, v37, s[10:11]
	v_cndmask_b32_e64 v36, v38, v36, s[10:11]
	v_lshlrev_b32_e32 v30, 24, v30
	v_bfrev_b32_e32 v37, 60
	v_lshlrev_b32_e32 v36, 20, v36
	v_and_b32_e32 v30, 0x80000000, v30
	v_lshl_add_u32 v32, v32, 23, v37
	v_or3_b32 v36, v30, v32, v36
.LBB508_230:
	s_or_b64 exec, exec, s[26:27]
.LBB508_231:
	s_or_b64 exec, exec, s[24:25]
.LBB508_232:
	s_or_b64 exec, exec, s[12:13]
	v_mov_b32_e32 v30, v27
	v_cmp_ne_u16_sdwa s[10:11], v27, v31 src0_sel:BYTE_0 src1_sel:DWORD
	s_and_saveexec_b64 s[12:13], s[10:11]
	s_cbranch_execz .LBB508_238
; %bb.233:
	s_movk_i32 s10, 0x80
	v_cmp_ne_u16_sdwa s[10:11], v27, s10 src0_sel:BYTE_0 src1_sel:DWORD
	v_bfrev_b32_e32 v32, 1
	s_and_saveexec_b64 s[24:25], s[10:11]
	s_cbranch_execz .LBB508_237
; %bb.234:
	s_movk_i32 s10, 0x7f
	v_and_b32_e32 v37, 0x7f, v27
	v_cmp_ne_u32_e64 s[10:11], s10, v37
	v_mov_b32_e32 v32, 0x7f800001
	s_and_saveexec_b64 s[26:27], s[10:11]
	s_cbranch_execz .LBB508_236
; %bb.235:
	v_and_b32_e32 v32, 7, v27
	v_ffbh_u32_e32 v32, v32
	v_min_u32_e32 v32, 32, v32
	v_subrev_u32_e32 v39, 28, v32
	v_cmp_gt_u32_e64 s[10:11], 8, v37
	v_lshrrev_b32_e32 v38, 3, v37
	v_sub_u32_e32 v32, 29, v32
	v_cndmask_b32_e64 v37, 0, v39, s[10:11]
	v_cndmask_b32_e64 v32, v38, v32, s[10:11]
	v_lshlrev_b64 v[38:39], v37, v[30:31]
	v_lshlrev_b32_e32 v31, 20, v38
	v_lshlrev_b32_e32 v37, 24, v30
	v_bfrev_b32_e32 v38, 60
	v_and_b32_e32 v31, 0x700000, v31
	v_and_b32_e32 v37, 0x80000000, v37
	v_lshl_add_u32 v32, v32, 23, v38
	v_or3_b32 v32, v37, v32, v31
.LBB508_236:
	s_or_b64 exec, exec, s[26:27]
.LBB508_237:
	s_or_b64 exec, exec, s[24:25]
	v_mov_b32_e32 v31, v32
.LBB508_238:
	s_or_b64 exec, exec, s[12:13]
	v_lshrrev_b16_e32 v32, 8, v30
	v_cmp_ne_u16_e64 s[10:11], 0, v32
	v_mov_b32_e32 v37, 0
	v_mov_b32_e32 v38, 0
	s_and_saveexec_b64 s[12:13], s[10:11]
	s_cbranch_execz .LBB508_244
; %bb.239:
	s_movk_i32 s10, 0x80
	v_cmp_ne_u16_e64 s[10:11], s10, v32
	v_bfrev_b32_e32 v38, 1
	s_and_saveexec_b64 s[24:25], s[10:11]
	s_cbranch_execz .LBB508_243
; %bb.240:
	s_movk_i32 s10, 0x7f
	v_and_b32_e32 v39, 0x7f, v32
	v_cmp_ne_u32_e64 s[10:11], s10, v39
	v_mov_b32_e32 v38, 0x7f800001
	s_and_saveexec_b64 s[26:27], s[10:11]
	s_cbranch_execz .LBB508_242
; %bb.241:
	v_and_b32_e32 v38, 7, v32
	v_ffbh_u32_e32 v40, v38
	v_min_u32_e32 v47, 32, v40
	v_subrev_u32_e32 v40, 28, v47
	v_lshlrev_b64 v[40:41], v40, v[32:33]
	v_lshrrev_b32_e32 v46, 3, v39
	v_sub_u32_e32 v32, 29, v47
	v_and_b32_e32 v40, 7, v40
	v_cmp_gt_u32_e64 s[10:11], 8, v39
	v_cndmask_b32_e64 v32, v46, v32, s[10:11]
	v_cndmask_b32_e64 v38, v38, v40, s[10:11]
	v_lshlrev_b32_e32 v30, 16, v30
	v_bfrev_b32_e32 v39, 60
	v_lshlrev_b32_e32 v38, 20, v38
	v_and_b32_e32 v30, 0x80000000, v30
	v_lshl_add_u32 v32, v32, 23, v39
	v_or3_b32 v38, v30, v32, v38
.LBB508_242:
	s_or_b64 exec, exec, s[26:27]
.LBB508_243:
	s_or_b64 exec, exec, s[24:25]
.LBB508_244:
	s_or_b64 exec, exec, s[12:13]
	s_movk_i32 s10, 0xff
	v_and_b32_sdwa v32, v27, s10 dst_sel:DWORD dst_unused:UNUSED_PAD src0_sel:WORD_1 src1_sel:DWORD
	v_lshrrev_b32_e32 v30, 16, v27
	v_cmp_ne_u16_e64 s[10:11], 0, v32
	s_and_saveexec_b64 s[12:13], s[10:11]
	s_cbranch_execz .LBB508_250
; %bb.245:
	s_movk_i32 s10, 0x80
	v_cmp_ne_u16_e64 s[10:11], s10, v32
	v_bfrev_b32_e32 v37, 1
	s_and_saveexec_b64 s[24:25], s[10:11]
	s_cbranch_execz .LBB508_249
; %bb.246:
	v_bfe_u32 v32, v27, 16, 7
	s_movk_i32 s10, 0x7f
	v_cmp_ne_u32_e64 s[10:11], s10, v32
	v_mov_b32_e32 v37, 0x7f800001
	s_and_saveexec_b64 s[26:27], s[10:11]
	s_cbranch_execz .LBB508_248
; %bb.247:
	v_and_b32_e32 v37, 7, v30
	v_ffbh_u32_e32 v40, v37
	v_min_u32_e32 v46, 32, v40
	v_subrev_u32_e32 v40, 28, v46
	v_lshlrev_b64 v[40:41], v40, v[30:31]
	v_and_b32_e32 v40, 7, v40
	v_cmp_gt_u32_e64 s[10:11], 8, v32
	v_lshrrev_b32_e32 v39, 3, v32
	v_sub_u32_e32 v30, 29, v46
	v_cndmask_b32_e64 v32, v37, v40, s[10:11]
	v_mov_b32_e32 v37, 24
	v_cndmask_b32_e64 v30, v39, v30, s[10:11]
	v_lshlrev_b32_sdwa v37, v37, v27 dst_sel:DWORD dst_unused:UNUSED_PAD src0_sel:DWORD src1_sel:WORD_1
	v_bfrev_b32_e32 v39, 60
	v_lshlrev_b32_e32 v32, 20, v32
	v_and_b32_e32 v37, 0x80000000, v37
	v_lshl_add_u32 v30, v30, 23, v39
	v_or3_b32 v37, v37, v30, v32
.LBB508_248:
	s_or_b64 exec, exec, s[26:27]
.LBB508_249:
	s_or_b64 exec, exec, s[24:25]
.LBB508_250:
	s_or_b64 exec, exec, s[12:13]
	s_mov_b32 s10, -1
	s_mov_b32 s11, 0xffffff
	v_cmp_lt_u64_e64 s[10:11], s[10:11], v[26:27]
	v_mov_b32_e32 v32, 0
	v_mov_b32_e32 v30, 0
	s_and_saveexec_b64 s[12:13], s[10:11]
	s_cbranch_execz .LBB508_256
; %bb.251:
	v_lshrrev_b32_e32 v26, 24, v27
	s_movk_i32 s10, 0x80
	v_cmp_ne_u32_e64 s[10:11], s10, v26
	v_bfrev_b32_e32 v30, 1
	s_and_saveexec_b64 s[24:25], s[10:11]
	s_cbranch_execz .LBB508_255
; %bb.252:
	v_bfe_u32 v27, v27, 24, 7
	s_movk_i32 s10, 0x7f
	v_cmp_ne_u32_e64 s[10:11], s10, v27
	v_mov_b32_e32 v30, 0x7f800001
	s_and_saveexec_b64 s[26:27], s[10:11]
	s_cbranch_execz .LBB508_254
; %bb.253:
	v_and_b32_e32 v30, 7, v26
	v_ffbh_u32_e32 v40, v30
	v_min_u32_e32 v46, 32, v40
	v_subrev_u32_e32 v40, 28, v46
	v_lshlrev_b64 v[40:41], v40, v[26:27]
	v_lshrrev_b32_e32 v39, 3, v27
	v_sub_u32_e32 v41, 29, v46
	v_and_b32_e32 v40, 7, v40
	v_cmp_gt_u32_e64 s[10:11], 8, v27
	v_cndmask_b32_e64 v27, v39, v41, s[10:11]
	v_cndmask_b32_e64 v30, v30, v40, s[10:11]
	v_lshlrev_b32_e32 v26, 24, v26
	v_bfrev_b32_e32 v39, 60
	v_lshlrev_b32_e32 v30, 20, v30
	v_and_b32_e32 v26, 0x80000000, v26
	v_lshl_add_u32 v27, v27, 23, v39
	v_or3_b32 v30, v26, v27, v30
.LBB508_254:
	s_or_b64 exec, exec, s[26:27]
.LBB508_255:
	s_or_b64 exec, exec, s[24:25]
.LBB508_256:
	s_or_b64 exec, exec, s[12:13]
	v_cvt_pkrtz_f16_f32 v26, v34, v35
	v_cvt_pkrtz_f16_f32 v27, v33, v36
	;; [unrolled: 1-line block ×4, first 2 shown]
	v_mfma_f32_4x4x4f16 a[0:3], v[2:3], v[26:27], a[0:3] cbsz:4 abid:4
	v_cmp_ne_u16_sdwa s[10:11], v28, v32 src0_sel:BYTE_0 src1_sel:DWORD
	v_mfma_f32_4x4x4f16 a[0:3], v[4:5], v[34:35], a[0:3] cbsz:4 abid:4
	s_and_saveexec_b64 s[12:13], s[10:11]
	s_cbranch_execz .LBB508_262
; %bb.257:
	s_movk_i32 s10, 0x80
	v_cmp_ne_u16_sdwa s[10:11], v28, s10 src0_sel:BYTE_0 src1_sel:DWORD
	v_bfrev_b32_e32 v32, 1
	s_and_saveexec_b64 s[24:25], s[10:11]
	s_cbranch_execz .LBB508_261
; %bb.258:
	s_movk_i32 s10, 0x7f
	v_and_b32_e32 v26, 0x7f, v28
	v_cmp_ne_u32_e64 s[10:11], s10, v26
	v_mov_b32_e32 v32, 0x7f800001
	s_and_saveexec_b64 s[26:27], s[10:11]
	s_cbranch_execz .LBB508_260
; %bb.259:
	v_and_b32_e32 v27, 7, v28
	v_ffbh_u32_e32 v27, v27
	v_min_u32_e32 v27, 32, v27
	v_subrev_u32_e32 v31, 28, v27
	v_cmp_gt_u32_e64 s[10:11], 8, v26
	v_lshrrev_b32_e32 v30, 3, v26
	v_sub_u32_e32 v27, 29, v27
	v_cndmask_b32_e64 v26, 0, v31, s[10:11]
	v_cndmask_b32_e64 v30, v30, v27, s[10:11]
	v_lshlrev_b64 v[26:27], v26, v[28:29]
	v_lshlrev_b32_e32 v26, 20, v26
	v_lshlrev_b32_e32 v27, 24, v28
	v_bfrev_b32_e32 v31, 60
	v_and_b32_e32 v26, 0x700000, v26
	v_and_b32_e32 v27, 0x80000000, v27
	v_lshl_add_u32 v30, v30, 23, v31
	v_or3_b32 v32, v27, v30, v26
.LBB508_260:
	s_or_b64 exec, exec, s[26:27]
.LBB508_261:
	s_or_b64 exec, exec, s[24:25]
.LBB508_262:
	s_or_b64 exec, exec, s[12:13]
	v_lshrrev_b16_e32 v26, 8, v28
	v_cmp_ne_u16_e64 s[10:11], 0, v26
	v_mov_b32_e32 v31, 0
	v_mov_b32_e32 v33, 0
	s_and_saveexec_b64 s[12:13], s[10:11]
	s_cbranch_execz .LBB508_268
; %bb.263:
	s_movk_i32 s10, 0x80
	v_cmp_ne_u16_e64 s[10:11], s10, v26
	v_bfrev_b32_e32 v33, 1
	s_and_saveexec_b64 s[24:25], s[10:11]
	s_cbranch_execz .LBB508_267
; %bb.264:
	s_movk_i32 s10, 0x7f
	v_and_b32_e32 v27, 0x7f, v26
	v_cmp_ne_u32_e64 s[10:11], s10, v27
	v_mov_b32_e32 v33, 0x7f800001
	s_and_saveexec_b64 s[26:27], s[10:11]
	s_cbranch_execz .LBB508_266
; %bb.265:
	v_and_b32_e32 v30, 7, v26
	v_ffbh_u32_e32 v34, v30
	v_min_u32_e32 v36, 32, v34
	v_subrev_u32_e32 v34, 28, v36
	v_lshlrev_b64 v[34:35], v34, v[26:27]
	v_lshrrev_b32_e32 v33, 3, v27
	v_sub_u32_e32 v26, 29, v36
	v_and_b32_e32 v34, 7, v34
	v_cmp_gt_u32_e64 s[10:11], 8, v27
	v_cndmask_b32_e64 v26, v33, v26, s[10:11]
	v_cndmask_b32_e64 v27, v30, v34, s[10:11]
	v_lshlrev_b32_e32 v30, 16, v28
	v_bfrev_b32_e32 v33, 60
	v_lshlrev_b32_e32 v27, 20, v27
	v_and_b32_e32 v30, 0x80000000, v30
	v_lshl_add_u32 v26, v26, 23, v33
	v_or3_b32 v33, v30, v26, v27
.LBB508_266:
	s_or_b64 exec, exec, s[26:27]
.LBB508_267:
	s_or_b64 exec, exec, s[24:25]
.LBB508_268:
	s_or_b64 exec, exec, s[12:13]
	s_movk_i32 s10, 0xff
	v_and_b32_sdwa v27, v28, s10 dst_sel:DWORD dst_unused:UNUSED_PAD src0_sel:WORD_1 src1_sel:DWORD
	v_lshrrev_b32_e32 v26, 16, v28
	v_cmp_ne_u16_e64 s[10:11], 0, v27
	s_and_saveexec_b64 s[12:13], s[10:11]
	s_cbranch_execz .LBB508_274
; %bb.269:
	s_movk_i32 s10, 0x80
	v_cmp_ne_u16_e64 s[10:11], s10, v27
	v_bfrev_b32_e32 v31, 1
	s_and_saveexec_b64 s[24:25], s[10:11]
	s_cbranch_execz .LBB508_273
; %bb.270:
	v_bfe_u32 v27, v28, 16, 7
	s_movk_i32 s10, 0x7f
	v_cmp_ne_u32_e64 s[10:11], s10, v27
	v_mov_b32_e32 v31, 0x7f800001
	s_and_saveexec_b64 s[26:27], s[10:11]
	s_cbranch_execz .LBB508_272
; %bb.271:
	v_and_b32_e32 v34, 7, v26
	v_ffbh_u32_e32 v30, v34
	v_min_u32_e32 v36, 32, v30
	v_subrev_u32_e32 v30, 28, v36
	v_lshlrev_b64 v[30:31], v30, v[26:27]
	v_and_b32_e32 v30, 7, v30
	v_cmp_gt_u32_e64 s[10:11], 8, v27
	v_lshrrev_b32_e32 v35, 3, v27
	v_sub_u32_e32 v26, 29, v36
	v_cndmask_b32_e64 v27, v34, v30, s[10:11]
	v_mov_b32_e32 v30, 24
	v_cndmask_b32_e64 v26, v35, v26, s[10:11]
	v_lshlrev_b32_sdwa v30, v30, v28 dst_sel:DWORD dst_unused:UNUSED_PAD src0_sel:DWORD src1_sel:WORD_1
	v_bfrev_b32_e32 v31, 60
	v_lshlrev_b32_e32 v27, 20, v27
	v_and_b32_e32 v30, 0x80000000, v30
	v_lshl_add_u32 v26, v26, 23, v31
	v_or3_b32 v31, v30, v26, v27
.LBB508_272:
	s_or_b64 exec, exec, s[26:27]
.LBB508_273:
	s_or_b64 exec, exec, s[24:25]
.LBB508_274:
	s_or_b64 exec, exec, s[12:13]
	s_mov_b32 s10, 0xffffff
	v_cmp_lt_u32_e64 s[10:11], s10, v28
	v_mov_b32_e32 v27, 0
	v_mov_b32_e32 v34, 0
	s_and_saveexec_b64 s[12:13], s[10:11]
	s_cbranch_execz .LBB508_280
; %bb.275:
	v_lshrrev_b32_e32 v26, 24, v28
	s_movk_i32 s10, 0x80
	v_cmp_ne_u32_e64 s[10:11], s10, v26
	v_bfrev_b32_e32 v34, 1
	s_and_saveexec_b64 s[24:25], s[10:11]
	s_cbranch_execz .LBB508_279
; %bb.276:
	v_bfe_u32 v30, v28, 24, 7
	s_movk_i32 s10, 0x7f
	v_cmp_ne_u32_e64 s[10:11], s10, v30
	v_mov_b32_e32 v34, 0x7f800001
	s_and_saveexec_b64 s[26:27], s[10:11]
	s_cbranch_execz .LBB508_278
; %bb.277:
	v_and_b32_e32 v36, 7, v26
	v_ffbh_u32_e32 v34, v36
	v_min_u32_e32 v38, 32, v34
	v_subrev_u32_e32 v34, 28, v38
	v_lshlrev_b64 v[34:35], v34, v[26:27]
	v_lshrrev_b32_e32 v37, 3, v30
	v_sub_u32_e32 v35, 29, v38
	v_and_b32_e32 v34, 7, v34
	v_cmp_gt_u32_e64 s[10:11], 8, v30
	v_cndmask_b32_e64 v30, v37, v35, s[10:11]
	v_cndmask_b32_e64 v34, v36, v34, s[10:11]
	v_lshlrev_b32_e32 v26, 24, v26
	v_bfrev_b32_e32 v35, 60
	v_lshlrev_b32_e32 v34, 20, v34
	v_and_b32_e32 v26, 0x80000000, v26
	v_lshl_add_u32 v30, v30, 23, v35
	v_or3_b32 v34, v26, v30, v34
.LBB508_278:
	s_or_b64 exec, exec, s[26:27]
.LBB508_279:
	s_or_b64 exec, exec, s[24:25]
.LBB508_280:
	s_or_b64 exec, exec, s[12:13]
	v_mov_b32_e32 v26, v29
	v_cmp_ne_u16_sdwa s[10:11], v29, v27 src0_sel:BYTE_0 src1_sel:DWORD
	s_and_saveexec_b64 s[12:13], s[10:11]
	s_cbranch_execz .LBB508_286
; %bb.281:
	s_movk_i32 s10, 0x80
	v_cmp_ne_u16_sdwa s[10:11], v29, s10 src0_sel:BYTE_0 src1_sel:DWORD
	v_bfrev_b32_e32 v30, 1
	s_and_saveexec_b64 s[24:25], s[10:11]
	s_cbranch_execz .LBB508_285
; %bb.282:
	s_movk_i32 s10, 0x7f
	v_and_b32_e32 v35, 0x7f, v29
	v_cmp_ne_u32_e64 s[10:11], s10, v35
	v_mov_b32_e32 v30, 0x7f800001
	s_and_saveexec_b64 s[26:27], s[10:11]
	s_cbranch_execz .LBB508_284
; %bb.283:
	v_and_b32_e32 v30, 7, v29
	v_ffbh_u32_e32 v30, v30
	v_min_u32_e32 v30, 32, v30
	v_subrev_u32_e32 v37, 28, v30
	v_cmp_gt_u32_e64 s[10:11], 8, v35
	v_lshrrev_b32_e32 v36, 3, v35
	v_sub_u32_e32 v30, 29, v30
	v_cndmask_b32_e64 v35, 0, v37, s[10:11]
	v_cndmask_b32_e64 v30, v36, v30, s[10:11]
	v_lshlrev_b64 v[36:37], v35, v[26:27]
	v_lshlrev_b32_e32 v27, 20, v36
	v_lshlrev_b32_e32 v35, 24, v26
	v_bfrev_b32_e32 v36, 60
	v_and_b32_e32 v27, 0x700000, v27
	v_and_b32_e32 v35, 0x80000000, v35
	v_lshl_add_u32 v30, v30, 23, v36
	v_or3_b32 v30, v35, v30, v27
.LBB508_284:
	s_or_b64 exec, exec, s[26:27]
.LBB508_285:
	s_or_b64 exec, exec, s[24:25]
	v_mov_b32_e32 v27, v30
.LBB508_286:
	s_or_b64 exec, exec, s[12:13]
	v_lshrrev_b16_e32 v30, 8, v26
	v_cmp_ne_u16_e64 s[10:11], 0, v30
	v_mov_b32_e32 v35, 0
	v_mov_b32_e32 v36, 0
	s_and_saveexec_b64 s[12:13], s[10:11]
	s_cbranch_execz .LBB508_292
; %bb.287:
	s_movk_i32 s10, 0x80
	v_cmp_ne_u16_e64 s[10:11], s10, v30
	v_bfrev_b32_e32 v36, 1
	s_and_saveexec_b64 s[24:25], s[10:11]
	s_cbranch_execz .LBB508_291
; %bb.288:
	s_movk_i32 s10, 0x7f
	v_and_b32_e32 v37, 0x7f, v30
	v_cmp_ne_u32_e64 s[10:11], s10, v37
	v_mov_b32_e32 v36, 0x7f800001
	s_and_saveexec_b64 s[26:27], s[10:11]
	s_cbranch_execz .LBB508_290
; %bb.289:
	v_and_b32_e32 v36, 7, v30
	v_ffbh_u32_e32 v38, v36
	v_min_u32_e32 v41, 32, v38
	v_subrev_u32_e32 v38, 28, v41
	v_lshlrev_b64 v[38:39], v38, v[30:31]
	v_lshrrev_b32_e32 v40, 3, v37
	v_sub_u32_e32 v30, 29, v41
	v_and_b32_e32 v38, 7, v38
	v_cmp_gt_u32_e64 s[10:11], 8, v37
	v_cndmask_b32_e64 v30, v40, v30, s[10:11]
	v_cndmask_b32_e64 v36, v36, v38, s[10:11]
	v_lshlrev_b32_e32 v26, 16, v26
	v_bfrev_b32_e32 v37, 60
	v_lshlrev_b32_e32 v36, 20, v36
	v_and_b32_e32 v26, 0x80000000, v26
	v_lshl_add_u32 v30, v30, 23, v37
	v_or3_b32 v36, v26, v30, v36
.LBB508_290:
	s_or_b64 exec, exec, s[26:27]
.LBB508_291:
	s_or_b64 exec, exec, s[24:25]
.LBB508_292:
	s_or_b64 exec, exec, s[12:13]
	s_movk_i32 s10, 0xff
	v_and_b32_sdwa v30, v29, s10 dst_sel:DWORD dst_unused:UNUSED_PAD src0_sel:WORD_1 src1_sel:DWORD
	v_lshrrev_b32_e32 v26, 16, v29
	v_cmp_ne_u16_e64 s[10:11], 0, v30
	s_and_saveexec_b64 s[12:13], s[10:11]
	s_cbranch_execz .LBB508_298
; %bb.293:
	s_movk_i32 s10, 0x80
	v_cmp_ne_u16_e64 s[10:11], s10, v30
	v_bfrev_b32_e32 v35, 1
	s_and_saveexec_b64 s[24:25], s[10:11]
	s_cbranch_execz .LBB508_297
; %bb.294:
	v_bfe_u32 v30, v29, 16, 7
	s_movk_i32 s10, 0x7f
	v_cmp_ne_u32_e64 s[10:11], s10, v30
	v_mov_b32_e32 v35, 0x7f800001
	s_and_saveexec_b64 s[26:27], s[10:11]
	s_cbranch_execz .LBB508_296
; %bb.295:
	v_and_b32_e32 v35, 7, v26
	v_ffbh_u32_e32 v38, v35
	v_min_u32_e32 v40, 32, v38
	v_subrev_u32_e32 v38, 28, v40
	v_lshlrev_b64 v[38:39], v38, v[26:27]
	v_and_b32_e32 v38, 7, v38
	v_cmp_gt_u32_e64 s[10:11], 8, v30
	v_lshrrev_b32_e32 v37, 3, v30
	v_sub_u32_e32 v26, 29, v40
	v_cndmask_b32_e64 v30, v35, v38, s[10:11]
	v_mov_b32_e32 v35, 24
	v_cndmask_b32_e64 v26, v37, v26, s[10:11]
	v_lshlrev_b32_sdwa v35, v35, v29 dst_sel:DWORD dst_unused:UNUSED_PAD src0_sel:DWORD src1_sel:WORD_1
	v_bfrev_b32_e32 v37, 60
	v_lshlrev_b32_e32 v30, 20, v30
	v_and_b32_e32 v35, 0x80000000, v35
	v_lshl_add_u32 v26, v26, 23, v37
	v_or3_b32 v35, v35, v26, v30
.LBB508_296:
	s_or_b64 exec, exec, s[26:27]
.LBB508_297:
	s_or_b64 exec, exec, s[24:25]
.LBB508_298:
	s_or_b64 exec, exec, s[12:13]
	s_mov_b32 s10, -1
	s_mov_b32 s11, 0xffffff
	v_cmp_lt_u64_e64 s[10:11], s[10:11], v[28:29]
	v_mov_b32_e32 v30, 0
	v_mov_b32_e32 v28, 0
	s_and_saveexec_b64 s[12:13], s[10:11]
	s_cbranch_execz .LBB508_304
; %bb.299:
	v_lshrrev_b32_e32 v26, 24, v29
	s_movk_i32 s10, 0x80
	v_cmp_ne_u32_e64 s[10:11], s10, v26
	v_bfrev_b32_e32 v28, 1
	s_and_saveexec_b64 s[24:25], s[10:11]
	s_cbranch_execz .LBB508_303
; %bb.300:
	v_bfe_u32 v29, v29, 24, 7
	s_movk_i32 s10, 0x7f
	v_cmp_ne_u32_e64 s[10:11], s10, v29
	v_mov_b32_e32 v28, 0x7f800001
	s_and_saveexec_b64 s[26:27], s[10:11]
	s_cbranch_execz .LBB508_302
; %bb.301:
	v_and_b32_e32 v28, 7, v26
	v_ffbh_u32_e32 v38, v28
	v_min_u32_e32 v40, 32, v38
	v_subrev_u32_e32 v38, 28, v40
	v_lshlrev_b64 v[38:39], v38, v[26:27]
	v_lshrrev_b32_e32 v37, 3, v29
	v_sub_u32_e32 v39, 29, v40
	v_and_b32_e32 v38, 7, v38
	v_cmp_gt_u32_e64 s[10:11], 8, v29
	v_cndmask_b32_e64 v29, v37, v39, s[10:11]
	v_cndmask_b32_e64 v28, v28, v38, s[10:11]
	v_lshlrev_b32_e32 v26, 24, v26
	v_bfrev_b32_e32 v37, 60
	v_lshlrev_b32_e32 v28, 20, v28
	v_and_b32_e32 v26, 0x80000000, v26
	v_lshl_add_u32 v29, v29, 23, v37
	v_or3_b32 v28, v26, v29, v28
.LBB508_302:
	s_or_b64 exec, exec, s[26:27]
.LBB508_303:
	s_or_b64 exec, exec, s[24:25]
.LBB508_304:
	s_or_b64 exec, exec, s[12:13]
	v_cvt_pkrtz_f16_f32 v32, v32, v33
	v_cvt_pkrtz_f16_f32 v33, v31, v34
	;; [unrolled: 1-line block ×4, first 2 shown]
	v_mfma_f32_4x4x4f16 a[0:3], v[2:3], v[32:33], a[0:3] cbsz:4 abid:5
	v_cmp_ne_u16_sdwa s[10:11], v22, v30 src0_sel:BYTE_0 src1_sel:DWORD
	v_mfma_f32_4x4x4f16 a[0:3], v[4:5], v[26:27], a[0:3] cbsz:4 abid:5
	s_and_saveexec_b64 s[12:13], s[10:11]
	s_cbranch_execz .LBB508_310
; %bb.305:
	s_movk_i32 s10, 0x80
	v_cmp_ne_u16_sdwa s[10:11], v22, s10 src0_sel:BYTE_0 src1_sel:DWORD
	v_bfrev_b32_e32 v30, 1
	s_and_saveexec_b64 s[24:25], s[10:11]
	s_cbranch_execz .LBB508_309
; %bb.306:
	s_movk_i32 s10, 0x7f
	v_and_b32_e32 v26, 0x7f, v22
	v_cmp_ne_u32_e64 s[10:11], s10, v26
	v_mov_b32_e32 v30, 0x7f800001
	s_and_saveexec_b64 s[26:27], s[10:11]
	s_cbranch_execz .LBB508_308
; %bb.307:
	v_and_b32_e32 v27, 7, v22
	v_ffbh_u32_e32 v27, v27
	v_min_u32_e32 v27, 32, v27
	v_subrev_u32_e32 v29, 28, v27
	v_cmp_gt_u32_e64 s[10:11], 8, v26
	v_lshrrev_b32_e32 v28, 3, v26
	v_sub_u32_e32 v27, 29, v27
	v_cndmask_b32_e64 v26, 0, v29, s[10:11]
	v_cndmask_b32_e64 v28, v28, v27, s[10:11]
	v_lshlrev_b64 v[26:27], v26, v[22:23]
	v_lshlrev_b32_e32 v26, 20, v26
	v_lshlrev_b32_e32 v27, 24, v22
	v_bfrev_b32_e32 v29, 60
	v_and_b32_e32 v26, 0x700000, v26
	v_and_b32_e32 v27, 0x80000000, v27
	v_lshl_add_u32 v28, v28, 23, v29
	v_or3_b32 v30, v27, v28, v26
.LBB508_308:
	s_or_b64 exec, exec, s[26:27]
.LBB508_309:
	s_or_b64 exec, exec, s[24:25]
.LBB508_310:
	s_or_b64 exec, exec, s[12:13]
	v_lshrrev_b16_e32 v26, 8, v22
	v_cmp_ne_u16_e64 s[10:11], 0, v26
	v_mov_b32_e32 v29, 0
	v_mov_b32_e32 v31, 0
	s_and_saveexec_b64 s[12:13], s[10:11]
	s_cbranch_execz .LBB508_316
; %bb.311:
	s_movk_i32 s10, 0x80
	v_cmp_ne_u16_e64 s[10:11], s10, v26
	v_bfrev_b32_e32 v31, 1
	s_and_saveexec_b64 s[24:25], s[10:11]
	s_cbranch_execz .LBB508_315
; %bb.312:
	s_movk_i32 s10, 0x7f
	v_and_b32_e32 v27, 0x7f, v26
	v_cmp_ne_u32_e64 s[10:11], s10, v27
	v_mov_b32_e32 v31, 0x7f800001
	s_and_saveexec_b64 s[26:27], s[10:11]
	s_cbranch_execz .LBB508_314
; %bb.313:
	v_and_b32_e32 v28, 7, v26
	v_ffbh_u32_e32 v32, v28
	v_min_u32_e32 v34, 32, v32
	v_subrev_u32_e32 v32, 28, v34
	v_lshlrev_b64 v[32:33], v32, v[26:27]
	v_lshrrev_b32_e32 v31, 3, v27
	v_sub_u32_e32 v26, 29, v34
	v_and_b32_e32 v32, 7, v32
	v_cmp_gt_u32_e64 s[10:11], 8, v27
	v_cndmask_b32_e64 v26, v31, v26, s[10:11]
	v_cndmask_b32_e64 v27, v28, v32, s[10:11]
	v_lshlrev_b32_e32 v28, 16, v22
	v_bfrev_b32_e32 v31, 60
	v_lshlrev_b32_e32 v27, 20, v27
	v_and_b32_e32 v28, 0x80000000, v28
	v_lshl_add_u32 v26, v26, 23, v31
	v_or3_b32 v31, v28, v26, v27
.LBB508_314:
	s_or_b64 exec, exec, s[26:27]
.LBB508_315:
	s_or_b64 exec, exec, s[24:25]
.LBB508_316:
	s_or_b64 exec, exec, s[12:13]
	s_movk_i32 s10, 0xff
	v_and_b32_sdwa v27, v22, s10 dst_sel:DWORD dst_unused:UNUSED_PAD src0_sel:WORD_1 src1_sel:DWORD
	v_lshrrev_b32_e32 v26, 16, v22
	v_cmp_ne_u16_e64 s[10:11], 0, v27
	s_and_saveexec_b64 s[12:13], s[10:11]
	s_cbranch_execz .LBB508_322
; %bb.317:
	s_movk_i32 s10, 0x80
	v_cmp_ne_u16_e64 s[10:11], s10, v27
	v_bfrev_b32_e32 v29, 1
	s_and_saveexec_b64 s[24:25], s[10:11]
	s_cbranch_execz .LBB508_321
; %bb.318:
	v_bfe_u32 v27, v22, 16, 7
	s_movk_i32 s10, 0x7f
	v_cmp_ne_u32_e64 s[10:11], s10, v27
	v_mov_b32_e32 v29, 0x7f800001
	s_and_saveexec_b64 s[26:27], s[10:11]
	s_cbranch_execz .LBB508_320
; %bb.319:
	v_and_b32_e32 v32, 7, v26
	v_ffbh_u32_e32 v28, v32
	v_min_u32_e32 v34, 32, v28
	v_subrev_u32_e32 v28, 28, v34
	v_lshlrev_b64 v[28:29], v28, v[26:27]
	v_and_b32_e32 v28, 7, v28
	v_cmp_gt_u32_e64 s[10:11], 8, v27
	v_lshrrev_b32_e32 v33, 3, v27
	v_sub_u32_e32 v26, 29, v34
	v_cndmask_b32_e64 v27, v32, v28, s[10:11]
	v_mov_b32_e32 v28, 24
	v_cndmask_b32_e64 v26, v33, v26, s[10:11]
	v_lshlrev_b32_sdwa v28, v28, v22 dst_sel:DWORD dst_unused:UNUSED_PAD src0_sel:DWORD src1_sel:WORD_1
	v_bfrev_b32_e32 v29, 60
	v_lshlrev_b32_e32 v27, 20, v27
	v_and_b32_e32 v28, 0x80000000, v28
	v_lshl_add_u32 v26, v26, 23, v29
	v_or3_b32 v29, v28, v26, v27
.LBB508_320:
	s_or_b64 exec, exec, s[26:27]
.LBB508_321:
	s_or_b64 exec, exec, s[24:25]
.LBB508_322:
	s_or_b64 exec, exec, s[12:13]
	s_mov_b32 s10, 0xffffff
	v_cmp_lt_u32_e64 s[10:11], s10, v22
	v_mov_b32_e32 v27, 0
	v_mov_b32_e32 v32, 0
	s_and_saveexec_b64 s[12:13], s[10:11]
	s_cbranch_execz .LBB508_328
; %bb.323:
	v_lshrrev_b32_e32 v26, 24, v22
	s_movk_i32 s10, 0x80
	v_cmp_ne_u32_e64 s[10:11], s10, v26
	v_bfrev_b32_e32 v32, 1
	s_and_saveexec_b64 s[24:25], s[10:11]
	s_cbranch_execz .LBB508_327
; %bb.324:
	v_bfe_u32 v28, v22, 24, 7
	s_movk_i32 s10, 0x7f
	v_cmp_ne_u32_e64 s[10:11], s10, v28
	v_mov_b32_e32 v32, 0x7f800001
	s_and_saveexec_b64 s[26:27], s[10:11]
	s_cbranch_execz .LBB508_326
; %bb.325:
	v_and_b32_e32 v34, 7, v26
	v_ffbh_u32_e32 v32, v34
	v_min_u32_e32 v36, 32, v32
	v_subrev_u32_e32 v32, 28, v36
	v_lshlrev_b64 v[32:33], v32, v[26:27]
	v_lshrrev_b32_e32 v35, 3, v28
	v_sub_u32_e32 v33, 29, v36
	v_and_b32_e32 v32, 7, v32
	v_cmp_gt_u32_e64 s[10:11], 8, v28
	v_cndmask_b32_e64 v28, v35, v33, s[10:11]
	v_cndmask_b32_e64 v32, v34, v32, s[10:11]
	v_lshlrev_b32_e32 v26, 24, v26
	v_bfrev_b32_e32 v33, 60
	v_lshlrev_b32_e32 v32, 20, v32
	v_and_b32_e32 v26, 0x80000000, v26
	v_lshl_add_u32 v28, v28, 23, v33
	v_or3_b32 v32, v26, v28, v32
.LBB508_326:
	s_or_b64 exec, exec, s[26:27]
.LBB508_327:
	s_or_b64 exec, exec, s[24:25]
.LBB508_328:
	s_or_b64 exec, exec, s[12:13]
	v_mov_b32_e32 v26, v23
	v_cmp_ne_u16_sdwa s[10:11], v23, v27 src0_sel:BYTE_0 src1_sel:DWORD
	s_and_saveexec_b64 s[12:13], s[10:11]
	s_cbranch_execz .LBB508_334
; %bb.329:
	s_movk_i32 s10, 0x80
	v_cmp_ne_u16_sdwa s[10:11], v23, s10 src0_sel:BYTE_0 src1_sel:DWORD
	v_bfrev_b32_e32 v28, 1
	s_and_saveexec_b64 s[24:25], s[10:11]
	s_cbranch_execz .LBB508_333
; %bb.330:
	s_movk_i32 s10, 0x7f
	v_and_b32_e32 v33, 0x7f, v23
	v_cmp_ne_u32_e64 s[10:11], s10, v33
	v_mov_b32_e32 v28, 0x7f800001
	s_and_saveexec_b64 s[26:27], s[10:11]
	s_cbranch_execz .LBB508_332
; %bb.331:
	v_and_b32_e32 v28, 7, v23
	v_ffbh_u32_e32 v28, v28
	v_min_u32_e32 v28, 32, v28
	v_subrev_u32_e32 v35, 28, v28
	v_cmp_gt_u32_e64 s[10:11], 8, v33
	v_lshrrev_b32_e32 v34, 3, v33
	v_sub_u32_e32 v28, 29, v28
	v_cndmask_b32_e64 v33, 0, v35, s[10:11]
	v_cndmask_b32_e64 v28, v34, v28, s[10:11]
	v_lshlrev_b64 v[34:35], v33, v[26:27]
	v_lshlrev_b32_e32 v27, 20, v34
	v_lshlrev_b32_e32 v33, 24, v26
	v_bfrev_b32_e32 v34, 60
	v_and_b32_e32 v27, 0x700000, v27
	v_and_b32_e32 v33, 0x80000000, v33
	v_lshl_add_u32 v28, v28, 23, v34
	v_or3_b32 v28, v33, v28, v27
.LBB508_332:
	s_or_b64 exec, exec, s[26:27]
.LBB508_333:
	s_or_b64 exec, exec, s[24:25]
	v_mov_b32_e32 v27, v28
.LBB508_334:
	s_or_b64 exec, exec, s[12:13]
	v_lshrrev_b16_e32 v28, 8, v26
	v_cmp_ne_u16_e64 s[10:11], 0, v28
	v_mov_b32_e32 v33, 0
	v_mov_b32_e32 v34, 0
	s_and_saveexec_b64 s[12:13], s[10:11]
	s_cbranch_execz .LBB508_340
; %bb.335:
	s_movk_i32 s10, 0x80
	v_cmp_ne_u16_e64 s[10:11], s10, v28
	v_bfrev_b32_e32 v34, 1
	s_and_saveexec_b64 s[24:25], s[10:11]
	s_cbranch_execz .LBB508_339
; %bb.336:
	s_movk_i32 s10, 0x7f
	v_and_b32_e32 v35, 0x7f, v28
	v_cmp_ne_u32_e64 s[10:11], s10, v35
	v_mov_b32_e32 v34, 0x7f800001
	s_and_saveexec_b64 s[26:27], s[10:11]
	s_cbranch_execz .LBB508_338
; %bb.337:
	v_and_b32_e32 v34, 7, v28
	v_ffbh_u32_e32 v36, v34
	v_min_u32_e32 v39, 32, v36
	v_subrev_u32_e32 v36, 28, v39
	v_lshlrev_b64 v[36:37], v36, v[28:29]
	v_lshrrev_b32_e32 v38, 3, v35
	v_sub_u32_e32 v28, 29, v39
	v_and_b32_e32 v36, 7, v36
	v_cmp_gt_u32_e64 s[10:11], 8, v35
	v_cndmask_b32_e64 v28, v38, v28, s[10:11]
	v_cndmask_b32_e64 v34, v34, v36, s[10:11]
	v_lshlrev_b32_e32 v26, 16, v26
	v_bfrev_b32_e32 v35, 60
	v_lshlrev_b32_e32 v34, 20, v34
	v_and_b32_e32 v26, 0x80000000, v26
	v_lshl_add_u32 v28, v28, 23, v35
	v_or3_b32 v34, v26, v28, v34
.LBB508_338:
	s_or_b64 exec, exec, s[26:27]
.LBB508_339:
	s_or_b64 exec, exec, s[24:25]
.LBB508_340:
	s_or_b64 exec, exec, s[12:13]
	s_movk_i32 s10, 0xff
	v_and_b32_sdwa v28, v23, s10 dst_sel:DWORD dst_unused:UNUSED_PAD src0_sel:WORD_1 src1_sel:DWORD
	v_lshrrev_b32_e32 v26, 16, v23
	v_cmp_ne_u16_e64 s[10:11], 0, v28
	s_and_saveexec_b64 s[12:13], s[10:11]
	s_cbranch_execz .LBB508_346
; %bb.341:
	s_movk_i32 s10, 0x80
	v_cmp_ne_u16_e64 s[10:11], s10, v28
	v_bfrev_b32_e32 v33, 1
	s_and_saveexec_b64 s[24:25], s[10:11]
	s_cbranch_execz .LBB508_345
; %bb.342:
	v_bfe_u32 v28, v23, 16, 7
	s_movk_i32 s10, 0x7f
	v_cmp_ne_u32_e64 s[10:11], s10, v28
	v_mov_b32_e32 v33, 0x7f800001
	s_and_saveexec_b64 s[26:27], s[10:11]
	s_cbranch_execz .LBB508_344
; %bb.343:
	v_and_b32_e32 v33, 7, v26
	v_ffbh_u32_e32 v36, v33
	v_min_u32_e32 v38, 32, v36
	v_subrev_u32_e32 v36, 28, v38
	v_lshlrev_b64 v[36:37], v36, v[26:27]
	v_and_b32_e32 v36, 7, v36
	v_cmp_gt_u32_e64 s[10:11], 8, v28
	v_lshrrev_b32_e32 v35, 3, v28
	v_sub_u32_e32 v26, 29, v38
	v_cndmask_b32_e64 v28, v33, v36, s[10:11]
	v_mov_b32_e32 v33, 24
	v_cndmask_b32_e64 v26, v35, v26, s[10:11]
	v_lshlrev_b32_sdwa v33, v33, v23 dst_sel:DWORD dst_unused:UNUSED_PAD src0_sel:DWORD src1_sel:WORD_1
	v_bfrev_b32_e32 v35, 60
	v_lshlrev_b32_e32 v28, 20, v28
	v_and_b32_e32 v33, 0x80000000, v33
	v_lshl_add_u32 v26, v26, 23, v35
	v_or3_b32 v33, v33, v26, v28
.LBB508_344:
	s_or_b64 exec, exec, s[26:27]
.LBB508_345:
	s_or_b64 exec, exec, s[24:25]
.LBB508_346:
	s_or_b64 exec, exec, s[12:13]
	s_mov_b32 s10, -1
	s_mov_b32 s11, 0xffffff
	v_cmp_lt_u64_e64 s[10:11], s[10:11], v[22:23]
	v_mov_b32_e32 v28, 0
	v_mov_b32_e32 v26, 0
	s_and_saveexec_b64 s[12:13], s[10:11]
	s_cbranch_execz .LBB508_352
; %bb.347:
	v_lshrrev_b32_e32 v22, 24, v23
	s_movk_i32 s10, 0x80
	v_cmp_ne_u32_e64 s[10:11], s10, v22
	v_bfrev_b32_e32 v26, 1
	s_and_saveexec_b64 s[24:25], s[10:11]
	s_cbranch_execz .LBB508_351
; %bb.348:
	v_bfe_u32 v23, v23, 24, 7
	s_movk_i32 s10, 0x7f
	v_cmp_ne_u32_e64 s[10:11], s10, v23
	v_mov_b32_e32 v26, 0x7f800001
	s_and_saveexec_b64 s[26:27], s[10:11]
	s_cbranch_execz .LBB508_350
; %bb.349:
	v_and_b32_e32 v26, 7, v22
	v_ffbh_u32_e32 v36, v26
	v_min_u32_e32 v38, 32, v36
	v_subrev_u32_e32 v36, 28, v38
	v_lshlrev_b64 v[36:37], v36, v[22:23]
	v_lshrrev_b32_e32 v35, 3, v23
	v_sub_u32_e32 v37, 29, v38
	v_and_b32_e32 v36, 7, v36
	v_cmp_gt_u32_e64 s[10:11], 8, v23
	v_cndmask_b32_e64 v23, v35, v37, s[10:11]
	v_cndmask_b32_e64 v26, v26, v36, s[10:11]
	v_lshlrev_b32_e32 v22, 24, v22
	v_bfrev_b32_e32 v35, 60
	v_lshlrev_b32_e32 v26, 20, v26
	v_and_b32_e32 v22, 0x80000000, v22
	v_lshl_add_u32 v23, v23, 23, v35
	v_or3_b32 v26, v22, v23, v26
.LBB508_350:
	s_or_b64 exec, exec, s[26:27]
.LBB508_351:
	s_or_b64 exec, exec, s[24:25]
.LBB508_352:
	s_or_b64 exec, exec, s[12:13]
	v_cvt_pkrtz_f16_f32 v22, v30, v31
	v_cvt_pkrtz_f16_f32 v23, v29, v32
	;; [unrolled: 1-line block ×4, first 2 shown]
	v_mfma_f32_4x4x4f16 a[0:3], v[2:3], v[22:23], a[0:3] cbsz:4 abid:6
	v_cmp_ne_u16_sdwa s[10:11], v24, v28 src0_sel:BYTE_0 src1_sel:DWORD
	v_mfma_f32_4x4x4f16 a[0:3], v[4:5], v[30:31], a[0:3] cbsz:4 abid:6
	s_and_saveexec_b64 s[12:13], s[10:11]
	s_cbranch_execz .LBB508_358
; %bb.353:
	s_movk_i32 s10, 0x80
	v_cmp_ne_u16_sdwa s[10:11], v24, s10 src0_sel:BYTE_0 src1_sel:DWORD
	v_bfrev_b32_e32 v28, 1
	s_and_saveexec_b64 s[24:25], s[10:11]
	s_cbranch_execz .LBB508_357
; %bb.354:
	s_movk_i32 s10, 0x7f
	v_and_b32_e32 v22, 0x7f, v24
	v_cmp_ne_u32_e64 s[10:11], s10, v22
	v_mov_b32_e32 v28, 0x7f800001
	s_and_saveexec_b64 s[26:27], s[10:11]
	s_cbranch_execz .LBB508_356
; %bb.355:
	v_and_b32_e32 v23, 7, v24
	v_ffbh_u32_e32 v23, v23
	v_min_u32_e32 v23, 32, v23
	v_subrev_u32_e32 v27, 28, v23
	v_cmp_gt_u32_e64 s[10:11], 8, v22
	v_lshrrev_b32_e32 v26, 3, v22
	v_sub_u32_e32 v23, 29, v23
	v_cndmask_b32_e64 v22, 0, v27, s[10:11]
	v_cndmask_b32_e64 v26, v26, v23, s[10:11]
	v_lshlrev_b64 v[22:23], v22, v[24:25]
	v_lshlrev_b32_e32 v22, 20, v22
	v_lshlrev_b32_e32 v23, 24, v24
	v_bfrev_b32_e32 v27, 60
	v_and_b32_e32 v22, 0x700000, v22
	v_and_b32_e32 v23, 0x80000000, v23
	v_lshl_add_u32 v26, v26, 23, v27
	v_or3_b32 v28, v23, v26, v22
.LBB508_356:
	s_or_b64 exec, exec, s[26:27]
.LBB508_357:
	s_or_b64 exec, exec, s[24:25]
.LBB508_358:
	s_or_b64 exec, exec, s[12:13]
	v_lshrrev_b16_e32 v22, 8, v24
	v_cmp_ne_u16_e64 s[10:11], 0, v22
	v_mov_b32_e32 v27, 0
	v_mov_b32_e32 v29, 0
	s_and_saveexec_b64 s[12:13], s[10:11]
	s_cbranch_execz .LBB508_364
; %bb.359:
	s_movk_i32 s10, 0x80
	v_cmp_ne_u16_e64 s[10:11], s10, v22
	v_bfrev_b32_e32 v29, 1
	s_and_saveexec_b64 s[24:25], s[10:11]
	s_cbranch_execz .LBB508_363
; %bb.360:
	s_movk_i32 s10, 0x7f
	v_and_b32_e32 v23, 0x7f, v22
	v_cmp_ne_u32_e64 s[10:11], s10, v23
	v_mov_b32_e32 v29, 0x7f800001
	s_and_saveexec_b64 s[26:27], s[10:11]
	s_cbranch_execz .LBB508_362
; %bb.361:
	v_and_b32_e32 v26, 7, v22
	v_ffbh_u32_e32 v30, v26
	v_min_u32_e32 v32, 32, v30
	v_subrev_u32_e32 v30, 28, v32
	v_lshlrev_b64 v[30:31], v30, v[22:23]
	v_lshrrev_b32_e32 v29, 3, v23
	v_sub_u32_e32 v22, 29, v32
	v_and_b32_e32 v30, 7, v30
	v_cmp_gt_u32_e64 s[10:11], 8, v23
	v_cndmask_b32_e64 v22, v29, v22, s[10:11]
	v_cndmask_b32_e64 v23, v26, v30, s[10:11]
	v_lshlrev_b32_e32 v26, 16, v24
	v_bfrev_b32_e32 v29, 60
	v_lshlrev_b32_e32 v23, 20, v23
	v_and_b32_e32 v26, 0x80000000, v26
	v_lshl_add_u32 v22, v22, 23, v29
	v_or3_b32 v29, v26, v22, v23
.LBB508_362:
	s_or_b64 exec, exec, s[26:27]
.LBB508_363:
	s_or_b64 exec, exec, s[24:25]
.LBB508_364:
	s_or_b64 exec, exec, s[12:13]
	s_movk_i32 s10, 0xff
	v_and_b32_sdwa v23, v24, s10 dst_sel:DWORD dst_unused:UNUSED_PAD src0_sel:WORD_1 src1_sel:DWORD
	v_lshrrev_b32_e32 v22, 16, v24
	v_cmp_ne_u16_e64 s[10:11], 0, v23
	s_and_saveexec_b64 s[12:13], s[10:11]
	s_cbranch_execz .LBB508_370
; %bb.365:
	s_movk_i32 s10, 0x80
	v_cmp_ne_u16_e64 s[10:11], s10, v23
	v_bfrev_b32_e32 v27, 1
	s_and_saveexec_b64 s[24:25], s[10:11]
	s_cbranch_execz .LBB508_369
; %bb.366:
	v_bfe_u32 v23, v24, 16, 7
	s_movk_i32 s10, 0x7f
	v_cmp_ne_u32_e64 s[10:11], s10, v23
	v_mov_b32_e32 v27, 0x7f800001
	s_and_saveexec_b64 s[26:27], s[10:11]
	s_cbranch_execz .LBB508_368
; %bb.367:
	v_and_b32_e32 v30, 7, v22
	v_ffbh_u32_e32 v26, v30
	v_min_u32_e32 v32, 32, v26
	v_subrev_u32_e32 v26, 28, v32
	v_lshlrev_b64 v[26:27], v26, v[22:23]
	v_and_b32_e32 v26, 7, v26
	v_cmp_gt_u32_e64 s[10:11], 8, v23
	v_lshrrev_b32_e32 v31, 3, v23
	v_sub_u32_e32 v22, 29, v32
	v_cndmask_b32_e64 v23, v30, v26, s[10:11]
	v_mov_b32_e32 v26, 24
	v_cndmask_b32_e64 v22, v31, v22, s[10:11]
	v_lshlrev_b32_sdwa v26, v26, v24 dst_sel:DWORD dst_unused:UNUSED_PAD src0_sel:DWORD src1_sel:WORD_1
	v_bfrev_b32_e32 v27, 60
	v_lshlrev_b32_e32 v23, 20, v23
	v_and_b32_e32 v26, 0x80000000, v26
	v_lshl_add_u32 v22, v22, 23, v27
	v_or3_b32 v27, v26, v22, v23
.LBB508_368:
	s_or_b64 exec, exec, s[26:27]
.LBB508_369:
	s_or_b64 exec, exec, s[24:25]
.LBB508_370:
	s_or_b64 exec, exec, s[12:13]
	s_mov_b32 s10, 0xffffff
	v_cmp_lt_u32_e64 s[10:11], s10, v24
	v_mov_b32_e32 v23, 0
	v_mov_b32_e32 v30, 0
	s_and_saveexec_b64 s[12:13], s[10:11]
	s_cbranch_execz .LBB508_376
; %bb.371:
	v_lshrrev_b32_e32 v22, 24, v24
	s_movk_i32 s10, 0x80
	v_cmp_ne_u32_e64 s[10:11], s10, v22
	v_bfrev_b32_e32 v30, 1
	s_and_saveexec_b64 s[24:25], s[10:11]
	s_cbranch_execz .LBB508_375
; %bb.372:
	v_bfe_u32 v26, v24, 24, 7
	s_movk_i32 s10, 0x7f
	v_cmp_ne_u32_e64 s[10:11], s10, v26
	v_mov_b32_e32 v30, 0x7f800001
	s_and_saveexec_b64 s[26:27], s[10:11]
	s_cbranch_execz .LBB508_374
; %bb.373:
	v_and_b32_e32 v32, 7, v22
	v_ffbh_u32_e32 v30, v32
	v_min_u32_e32 v34, 32, v30
	v_subrev_u32_e32 v30, 28, v34
	v_lshlrev_b64 v[30:31], v30, v[22:23]
	v_lshrrev_b32_e32 v33, 3, v26
	v_sub_u32_e32 v31, 29, v34
	v_and_b32_e32 v30, 7, v30
	v_cmp_gt_u32_e64 s[10:11], 8, v26
	v_cndmask_b32_e64 v26, v33, v31, s[10:11]
	v_cndmask_b32_e64 v30, v32, v30, s[10:11]
	v_lshlrev_b32_e32 v22, 24, v22
	v_bfrev_b32_e32 v31, 60
	v_lshlrev_b32_e32 v30, 20, v30
	v_and_b32_e32 v22, 0x80000000, v22
	v_lshl_add_u32 v26, v26, 23, v31
	v_or3_b32 v30, v22, v26, v30
.LBB508_374:
	s_or_b64 exec, exec, s[26:27]
.LBB508_375:
	s_or_b64 exec, exec, s[24:25]
.LBB508_376:
	s_or_b64 exec, exec, s[12:13]
	v_mov_b32_e32 v22, v25
	v_cmp_ne_u16_sdwa s[10:11], v25, v23 src0_sel:BYTE_0 src1_sel:DWORD
	s_and_saveexec_b64 s[12:13], s[10:11]
	s_cbranch_execz .LBB508_382
; %bb.377:
	s_movk_i32 s10, 0x80
	v_cmp_ne_u16_sdwa s[10:11], v25, s10 src0_sel:BYTE_0 src1_sel:DWORD
	v_bfrev_b32_e32 v26, 1
	s_and_saveexec_b64 s[24:25], s[10:11]
	s_cbranch_execz .LBB508_381
; %bb.378:
	s_movk_i32 s10, 0x7f
	v_and_b32_e32 v31, 0x7f, v25
	v_cmp_ne_u32_e64 s[10:11], s10, v31
	v_mov_b32_e32 v26, 0x7f800001
	s_and_saveexec_b64 s[26:27], s[10:11]
	s_cbranch_execz .LBB508_380
; %bb.379:
	v_and_b32_e32 v26, 7, v25
	v_ffbh_u32_e32 v26, v26
	v_min_u32_e32 v26, 32, v26
	v_subrev_u32_e32 v33, 28, v26
	v_cmp_gt_u32_e64 s[10:11], 8, v31
	v_lshrrev_b32_e32 v32, 3, v31
	v_sub_u32_e32 v26, 29, v26
	v_cndmask_b32_e64 v31, 0, v33, s[10:11]
	v_cndmask_b32_e64 v26, v32, v26, s[10:11]
	v_lshlrev_b64 v[32:33], v31, v[22:23]
	v_lshlrev_b32_e32 v23, 20, v32
	v_lshlrev_b32_e32 v31, 24, v22
	v_bfrev_b32_e32 v32, 60
	v_and_b32_e32 v23, 0x700000, v23
	v_and_b32_e32 v31, 0x80000000, v31
	v_lshl_add_u32 v26, v26, 23, v32
	v_or3_b32 v26, v31, v26, v23
.LBB508_380:
	s_or_b64 exec, exec, s[26:27]
.LBB508_381:
	s_or_b64 exec, exec, s[24:25]
	v_mov_b32_e32 v23, v26
.LBB508_382:
	s_or_b64 exec, exec, s[12:13]
	v_lshrrev_b16_e32 v26, 8, v22
	v_cmp_ne_u16_e64 s[10:11], 0, v26
	v_mov_b32_e32 v31, 0
	v_mov_b32_e32 v32, 0
	s_and_saveexec_b64 s[12:13], s[10:11]
	s_cbranch_execz .LBB508_388
; %bb.383:
	s_movk_i32 s10, 0x80
	v_cmp_ne_u16_e64 s[10:11], s10, v26
	v_bfrev_b32_e32 v32, 1
	s_and_saveexec_b64 s[24:25], s[10:11]
	s_cbranch_execz .LBB508_387
; %bb.384:
	s_movk_i32 s10, 0x7f
	v_and_b32_e32 v33, 0x7f, v26
	v_cmp_ne_u32_e64 s[10:11], s10, v33
	v_mov_b32_e32 v32, 0x7f800001
	s_and_saveexec_b64 s[26:27], s[10:11]
	s_cbranch_execz .LBB508_386
; %bb.385:
	v_and_b32_e32 v32, 7, v26
	v_ffbh_u32_e32 v34, v32
	v_min_u32_e32 v37, 32, v34
	v_subrev_u32_e32 v34, 28, v37
	v_lshlrev_b64 v[34:35], v34, v[26:27]
	v_lshrrev_b32_e32 v36, 3, v33
	v_sub_u32_e32 v26, 29, v37
	v_and_b32_e32 v34, 7, v34
	v_cmp_gt_u32_e64 s[10:11], 8, v33
	v_cndmask_b32_e64 v26, v36, v26, s[10:11]
	v_cndmask_b32_e64 v32, v32, v34, s[10:11]
	v_lshlrev_b32_e32 v22, 16, v22
	v_bfrev_b32_e32 v33, 60
	v_lshlrev_b32_e32 v32, 20, v32
	v_and_b32_e32 v22, 0x80000000, v22
	v_lshl_add_u32 v26, v26, 23, v33
	v_or3_b32 v32, v22, v26, v32
.LBB508_386:
	s_or_b64 exec, exec, s[26:27]
.LBB508_387:
	s_or_b64 exec, exec, s[24:25]
.LBB508_388:
	s_or_b64 exec, exec, s[12:13]
	s_movk_i32 s10, 0xff
	v_and_b32_sdwa v26, v25, s10 dst_sel:DWORD dst_unused:UNUSED_PAD src0_sel:WORD_1 src1_sel:DWORD
	v_lshrrev_b32_e32 v22, 16, v25
	v_cmp_ne_u16_e64 s[10:11], 0, v26
	s_and_saveexec_b64 s[12:13], s[10:11]
	s_cbranch_execz .LBB508_394
; %bb.389:
	s_movk_i32 s10, 0x80
	v_cmp_ne_u16_e64 s[10:11], s10, v26
	v_bfrev_b32_e32 v31, 1
	s_and_saveexec_b64 s[24:25], s[10:11]
	s_cbranch_execz .LBB508_393
; %bb.390:
	v_bfe_u32 v26, v25, 16, 7
	s_movk_i32 s10, 0x7f
	v_cmp_ne_u32_e64 s[10:11], s10, v26
	v_mov_b32_e32 v31, 0x7f800001
	s_and_saveexec_b64 s[26:27], s[10:11]
	s_cbranch_execz .LBB508_392
; %bb.391:
	v_and_b32_e32 v31, 7, v22
	v_ffbh_u32_e32 v34, v31
	v_min_u32_e32 v36, 32, v34
	v_subrev_u32_e32 v34, 28, v36
	v_lshlrev_b64 v[34:35], v34, v[22:23]
	v_and_b32_e32 v34, 7, v34
	v_cmp_gt_u32_e64 s[10:11], 8, v26
	v_lshrrev_b32_e32 v33, 3, v26
	v_sub_u32_e32 v22, 29, v36
	v_cndmask_b32_e64 v26, v31, v34, s[10:11]
	v_mov_b32_e32 v31, 24
	v_cndmask_b32_e64 v22, v33, v22, s[10:11]
	v_lshlrev_b32_sdwa v31, v31, v25 dst_sel:DWORD dst_unused:UNUSED_PAD src0_sel:DWORD src1_sel:WORD_1
	v_bfrev_b32_e32 v33, 60
	v_lshlrev_b32_e32 v26, 20, v26
	v_and_b32_e32 v31, 0x80000000, v31
	v_lshl_add_u32 v22, v22, 23, v33
	v_or3_b32 v31, v31, v22, v26
.LBB508_392:
	s_or_b64 exec, exec, s[26:27]
.LBB508_393:
	s_or_b64 exec, exec, s[24:25]
.LBB508_394:
	s_or_b64 exec, exec, s[12:13]
	s_mov_b32 s10, -1
	s_mov_b32 s11, 0xffffff
	v_cmp_lt_u64_e64 s[10:11], s[10:11], v[24:25]
	v_mov_b32_e32 v26, 0
	v_mov_b32_e32 v24, 0
	s_and_saveexec_b64 s[12:13], s[10:11]
	s_cbranch_execz .LBB508_400
; %bb.395:
	v_lshrrev_b32_e32 v22, 24, v25
	s_movk_i32 s10, 0x80
	v_cmp_ne_u32_e64 s[10:11], s10, v22
	v_bfrev_b32_e32 v24, 1
	s_and_saveexec_b64 s[24:25], s[10:11]
	s_cbranch_execz .LBB508_399
; %bb.396:
	v_bfe_u32 v25, v25, 24, 7
	s_movk_i32 s10, 0x7f
	v_cmp_ne_u32_e64 s[10:11], s10, v25
	v_mov_b32_e32 v24, 0x7f800001
	s_and_saveexec_b64 s[26:27], s[10:11]
	s_cbranch_execz .LBB508_398
; %bb.397:
	v_and_b32_e32 v24, 7, v22
	v_ffbh_u32_e32 v34, v24
	v_min_u32_e32 v36, 32, v34
	v_subrev_u32_e32 v34, 28, v36
	v_lshlrev_b64 v[34:35], v34, v[22:23]
	v_lshrrev_b32_e32 v33, 3, v25
	v_sub_u32_e32 v35, 29, v36
	v_and_b32_e32 v34, 7, v34
	v_cmp_gt_u32_e64 s[10:11], 8, v25
	v_cndmask_b32_e64 v25, v33, v35, s[10:11]
	v_cndmask_b32_e64 v24, v24, v34, s[10:11]
	v_lshlrev_b32_e32 v22, 24, v22
	v_bfrev_b32_e32 v33, 60
	v_lshlrev_b32_e32 v24, 20, v24
	v_and_b32_e32 v22, 0x80000000, v22
	v_lshl_add_u32 v25, v25, 23, v33
	v_or3_b32 v24, v22, v25, v24
.LBB508_398:
	s_or_b64 exec, exec, s[26:27]
.LBB508_399:
	s_or_b64 exec, exec, s[24:25]
.LBB508_400:
	s_or_b64 exec, exec, s[12:13]
	v_cvt_pkrtz_f16_f32 v28, v28, v29
	v_cvt_pkrtz_f16_f32 v29, v27, v30
	;; [unrolled: 1-line block ×4, first 2 shown]
	v_mfma_f32_4x4x4f16 a[0:3], v[2:3], v[28:29], a[0:3] cbsz:4 abid:7
	v_cmp_ne_u16_sdwa s[10:11], v18, v26 src0_sel:BYTE_0 src1_sel:DWORD
	v_mfma_f32_4x4x4f16 a[0:3], v[4:5], v[22:23], a[0:3] cbsz:4 abid:7
	s_and_saveexec_b64 s[12:13], s[10:11]
	s_cbranch_execz .LBB508_406
; %bb.401:
	s_movk_i32 s10, 0x80
	v_cmp_ne_u16_sdwa s[10:11], v18, s10 src0_sel:BYTE_0 src1_sel:DWORD
	v_bfrev_b32_e32 v26, 1
	s_and_saveexec_b64 s[24:25], s[10:11]
	s_cbranch_execz .LBB508_405
; %bb.402:
	s_movk_i32 s10, 0x7f
	v_and_b32_e32 v22, 0x7f, v18
	v_cmp_ne_u32_e64 s[10:11], s10, v22
	v_mov_b32_e32 v26, 0x7f800001
	s_and_saveexec_b64 s[26:27], s[10:11]
	s_cbranch_execz .LBB508_404
; %bb.403:
	v_and_b32_e32 v23, 7, v18
	v_ffbh_u32_e32 v23, v23
	v_min_u32_e32 v23, 32, v23
	v_subrev_u32_e32 v25, 28, v23
	v_cmp_gt_u32_e64 s[10:11], 8, v22
	v_lshrrev_b32_e32 v24, 3, v22
	v_sub_u32_e32 v23, 29, v23
	v_cndmask_b32_e64 v22, 0, v25, s[10:11]
	v_cndmask_b32_e64 v24, v24, v23, s[10:11]
	v_lshlrev_b64 v[22:23], v22, v[18:19]
	v_lshlrev_b32_e32 v22, 20, v22
	v_lshlrev_b32_e32 v23, 24, v18
	v_bfrev_b32_e32 v25, 60
	v_and_b32_e32 v22, 0x700000, v22
	v_and_b32_e32 v23, 0x80000000, v23
	v_lshl_add_u32 v24, v24, 23, v25
	v_or3_b32 v26, v23, v24, v22
.LBB508_404:
	s_or_b64 exec, exec, s[26:27]
.LBB508_405:
	s_or_b64 exec, exec, s[24:25]
.LBB508_406:
	s_or_b64 exec, exec, s[12:13]
	v_lshrrev_b16_e32 v22, 8, v18
	v_cmp_ne_u16_e64 s[10:11], 0, v22
	v_mov_b32_e32 v25, 0
	v_mov_b32_e32 v27, 0
	s_and_saveexec_b64 s[12:13], s[10:11]
	s_cbranch_execz .LBB508_412
; %bb.407:
	s_movk_i32 s10, 0x80
	v_cmp_ne_u16_e64 s[10:11], s10, v22
	v_bfrev_b32_e32 v27, 1
	s_and_saveexec_b64 s[24:25], s[10:11]
	s_cbranch_execz .LBB508_411
; %bb.408:
	s_movk_i32 s10, 0x7f
	v_and_b32_e32 v23, 0x7f, v22
	v_cmp_ne_u32_e64 s[10:11], s10, v23
	v_mov_b32_e32 v27, 0x7f800001
	s_and_saveexec_b64 s[26:27], s[10:11]
	s_cbranch_execz .LBB508_410
; %bb.409:
	v_and_b32_e32 v24, 7, v22
	v_ffbh_u32_e32 v28, v24
	v_min_u32_e32 v30, 32, v28
	v_subrev_u32_e32 v28, 28, v30
	v_lshlrev_b64 v[28:29], v28, v[22:23]
	v_lshrrev_b32_e32 v27, 3, v23
	v_sub_u32_e32 v22, 29, v30
	v_and_b32_e32 v28, 7, v28
	v_cmp_gt_u32_e64 s[10:11], 8, v23
	v_cndmask_b32_e64 v22, v27, v22, s[10:11]
	v_cndmask_b32_e64 v23, v24, v28, s[10:11]
	v_lshlrev_b32_e32 v24, 16, v18
	v_bfrev_b32_e32 v27, 60
	v_lshlrev_b32_e32 v23, 20, v23
	v_and_b32_e32 v24, 0x80000000, v24
	v_lshl_add_u32 v22, v22, 23, v27
	v_or3_b32 v27, v24, v22, v23
.LBB508_410:
	s_or_b64 exec, exec, s[26:27]
.LBB508_411:
	s_or_b64 exec, exec, s[24:25]
.LBB508_412:
	s_or_b64 exec, exec, s[12:13]
	s_movk_i32 s10, 0xff
	v_and_b32_sdwa v23, v18, s10 dst_sel:DWORD dst_unused:UNUSED_PAD src0_sel:WORD_1 src1_sel:DWORD
	v_lshrrev_b32_e32 v22, 16, v18
	v_cmp_ne_u16_e64 s[10:11], 0, v23
	s_and_saveexec_b64 s[12:13], s[10:11]
	s_cbranch_execz .LBB508_418
; %bb.413:
	s_movk_i32 s10, 0x80
	v_cmp_ne_u16_e64 s[10:11], s10, v23
	v_bfrev_b32_e32 v25, 1
	s_and_saveexec_b64 s[24:25], s[10:11]
	s_cbranch_execz .LBB508_417
; %bb.414:
	v_bfe_u32 v23, v18, 16, 7
	s_movk_i32 s10, 0x7f
	v_cmp_ne_u32_e64 s[10:11], s10, v23
	v_mov_b32_e32 v25, 0x7f800001
	s_and_saveexec_b64 s[26:27], s[10:11]
	s_cbranch_execz .LBB508_416
; %bb.415:
	v_and_b32_e32 v28, 7, v22
	v_ffbh_u32_e32 v24, v28
	v_min_u32_e32 v30, 32, v24
	v_subrev_u32_e32 v24, 28, v30
	v_lshlrev_b64 v[24:25], v24, v[22:23]
	v_and_b32_e32 v24, 7, v24
	v_cmp_gt_u32_e64 s[10:11], 8, v23
	v_lshrrev_b32_e32 v29, 3, v23
	v_sub_u32_e32 v22, 29, v30
	v_cndmask_b32_e64 v23, v28, v24, s[10:11]
	v_mov_b32_e32 v24, 24
	v_cndmask_b32_e64 v22, v29, v22, s[10:11]
	v_lshlrev_b32_sdwa v24, v24, v18 dst_sel:DWORD dst_unused:UNUSED_PAD src0_sel:DWORD src1_sel:WORD_1
	v_bfrev_b32_e32 v25, 60
	v_lshlrev_b32_e32 v23, 20, v23
	v_and_b32_e32 v24, 0x80000000, v24
	v_lshl_add_u32 v22, v22, 23, v25
	v_or3_b32 v25, v24, v22, v23
.LBB508_416:
	s_or_b64 exec, exec, s[26:27]
.LBB508_417:
	s_or_b64 exec, exec, s[24:25]
.LBB508_418:
	s_or_b64 exec, exec, s[12:13]
	s_mov_b32 s10, 0xffffff
	v_cmp_lt_u32_e64 s[10:11], s10, v18
	v_mov_b32_e32 v23, 0
	v_mov_b32_e32 v28, 0
	s_and_saveexec_b64 s[12:13], s[10:11]
	s_cbranch_execz .LBB508_424
; %bb.419:
	v_lshrrev_b32_e32 v22, 24, v18
	s_movk_i32 s10, 0x80
	v_cmp_ne_u32_e64 s[10:11], s10, v22
	v_bfrev_b32_e32 v28, 1
	s_and_saveexec_b64 s[24:25], s[10:11]
	s_cbranch_execz .LBB508_423
; %bb.420:
	v_bfe_u32 v24, v18, 24, 7
	s_movk_i32 s10, 0x7f
	v_cmp_ne_u32_e64 s[10:11], s10, v24
	v_mov_b32_e32 v28, 0x7f800001
	s_and_saveexec_b64 s[26:27], s[10:11]
	s_cbranch_execz .LBB508_422
; %bb.421:
	v_and_b32_e32 v30, 7, v22
	v_ffbh_u32_e32 v28, v30
	v_min_u32_e32 v32, 32, v28
	v_subrev_u32_e32 v28, 28, v32
	v_lshlrev_b64 v[28:29], v28, v[22:23]
	v_lshrrev_b32_e32 v31, 3, v24
	v_sub_u32_e32 v29, 29, v32
	v_and_b32_e32 v28, 7, v28
	v_cmp_gt_u32_e64 s[10:11], 8, v24
	v_cndmask_b32_e64 v24, v31, v29, s[10:11]
	v_cndmask_b32_e64 v28, v30, v28, s[10:11]
	v_lshlrev_b32_e32 v22, 24, v22
	v_bfrev_b32_e32 v29, 60
	v_lshlrev_b32_e32 v28, 20, v28
	v_and_b32_e32 v22, 0x80000000, v22
	v_lshl_add_u32 v24, v24, 23, v29
	v_or3_b32 v28, v22, v24, v28
.LBB508_422:
	s_or_b64 exec, exec, s[26:27]
.LBB508_423:
	s_or_b64 exec, exec, s[24:25]
.LBB508_424:
	s_or_b64 exec, exec, s[12:13]
	v_mov_b32_e32 v22, v19
	v_cmp_ne_u16_sdwa s[10:11], v19, v23 src0_sel:BYTE_0 src1_sel:DWORD
	s_and_saveexec_b64 s[12:13], s[10:11]
	s_cbranch_execz .LBB508_430
; %bb.425:
	s_movk_i32 s10, 0x80
	v_cmp_ne_u16_sdwa s[10:11], v19, s10 src0_sel:BYTE_0 src1_sel:DWORD
	v_bfrev_b32_e32 v24, 1
	s_and_saveexec_b64 s[24:25], s[10:11]
	s_cbranch_execz .LBB508_429
; %bb.426:
	s_movk_i32 s10, 0x7f
	v_and_b32_e32 v29, 0x7f, v19
	v_cmp_ne_u32_e64 s[10:11], s10, v29
	v_mov_b32_e32 v24, 0x7f800001
	s_and_saveexec_b64 s[26:27], s[10:11]
	s_cbranch_execz .LBB508_428
; %bb.427:
	v_and_b32_e32 v24, 7, v19
	v_ffbh_u32_e32 v24, v24
	v_min_u32_e32 v24, 32, v24
	v_subrev_u32_e32 v31, 28, v24
	v_cmp_gt_u32_e64 s[10:11], 8, v29
	v_lshrrev_b32_e32 v30, 3, v29
	v_sub_u32_e32 v24, 29, v24
	v_cndmask_b32_e64 v29, 0, v31, s[10:11]
	v_cndmask_b32_e64 v24, v30, v24, s[10:11]
	v_lshlrev_b64 v[30:31], v29, v[22:23]
	v_lshlrev_b32_e32 v23, 20, v30
	v_lshlrev_b32_e32 v29, 24, v22
	v_bfrev_b32_e32 v30, 60
	v_and_b32_e32 v23, 0x700000, v23
	v_and_b32_e32 v29, 0x80000000, v29
	v_lshl_add_u32 v24, v24, 23, v30
	v_or3_b32 v24, v29, v24, v23
.LBB508_428:
	s_or_b64 exec, exec, s[26:27]
.LBB508_429:
	s_or_b64 exec, exec, s[24:25]
	v_mov_b32_e32 v23, v24
.LBB508_430:
	s_or_b64 exec, exec, s[12:13]
	v_lshrrev_b16_e32 v24, 8, v22
	v_cmp_ne_u16_e64 s[10:11], 0, v24
	v_mov_b32_e32 v29, 0
	v_mov_b32_e32 v30, 0
	s_and_saveexec_b64 s[12:13], s[10:11]
	s_cbranch_execz .LBB508_436
; %bb.431:
	s_movk_i32 s10, 0x80
	v_cmp_ne_u16_e64 s[10:11], s10, v24
	v_bfrev_b32_e32 v30, 1
	s_and_saveexec_b64 s[24:25], s[10:11]
	s_cbranch_execz .LBB508_435
; %bb.432:
	s_movk_i32 s10, 0x7f
	v_and_b32_e32 v31, 0x7f, v24
	v_cmp_ne_u32_e64 s[10:11], s10, v31
	v_mov_b32_e32 v30, 0x7f800001
	s_and_saveexec_b64 s[26:27], s[10:11]
	s_cbranch_execz .LBB508_434
; %bb.433:
	v_and_b32_e32 v30, 7, v24
	v_ffbh_u32_e32 v32, v30
	v_min_u32_e32 v35, 32, v32
	v_subrev_u32_e32 v32, 28, v35
	v_lshlrev_b64 v[32:33], v32, v[24:25]
	v_lshrrev_b32_e32 v34, 3, v31
	v_sub_u32_e32 v24, 29, v35
	v_and_b32_e32 v32, 7, v32
	v_cmp_gt_u32_e64 s[10:11], 8, v31
	v_cndmask_b32_e64 v24, v34, v24, s[10:11]
	v_cndmask_b32_e64 v30, v30, v32, s[10:11]
	v_lshlrev_b32_e32 v22, 16, v22
	v_bfrev_b32_e32 v31, 60
	v_lshlrev_b32_e32 v30, 20, v30
	v_and_b32_e32 v22, 0x80000000, v22
	v_lshl_add_u32 v24, v24, 23, v31
	v_or3_b32 v30, v22, v24, v30
.LBB508_434:
	s_or_b64 exec, exec, s[26:27]
.LBB508_435:
	s_or_b64 exec, exec, s[24:25]
.LBB508_436:
	s_or_b64 exec, exec, s[12:13]
	s_movk_i32 s10, 0xff
	v_and_b32_sdwa v24, v19, s10 dst_sel:DWORD dst_unused:UNUSED_PAD src0_sel:WORD_1 src1_sel:DWORD
	v_lshrrev_b32_e32 v22, 16, v19
	v_cmp_ne_u16_e64 s[10:11], 0, v24
	s_and_saveexec_b64 s[12:13], s[10:11]
	s_cbranch_execz .LBB508_442
; %bb.437:
	s_movk_i32 s10, 0x80
	v_cmp_ne_u16_e64 s[10:11], s10, v24
	v_bfrev_b32_e32 v29, 1
	s_and_saveexec_b64 s[24:25], s[10:11]
	s_cbranch_execz .LBB508_441
; %bb.438:
	v_bfe_u32 v24, v19, 16, 7
	s_movk_i32 s10, 0x7f
	v_cmp_ne_u32_e64 s[10:11], s10, v24
	v_mov_b32_e32 v29, 0x7f800001
	s_and_saveexec_b64 s[26:27], s[10:11]
	s_cbranch_execz .LBB508_440
; %bb.439:
	v_and_b32_e32 v29, 7, v22
	v_ffbh_u32_e32 v32, v29
	v_min_u32_e32 v34, 32, v32
	v_subrev_u32_e32 v32, 28, v34
	v_lshlrev_b64 v[32:33], v32, v[22:23]
	v_and_b32_e32 v32, 7, v32
	v_cmp_gt_u32_e64 s[10:11], 8, v24
	v_lshrrev_b32_e32 v31, 3, v24
	v_sub_u32_e32 v22, 29, v34
	v_cndmask_b32_e64 v24, v29, v32, s[10:11]
	v_mov_b32_e32 v29, 24
	v_cndmask_b32_e64 v22, v31, v22, s[10:11]
	v_lshlrev_b32_sdwa v29, v29, v19 dst_sel:DWORD dst_unused:UNUSED_PAD src0_sel:DWORD src1_sel:WORD_1
	v_bfrev_b32_e32 v31, 60
	v_lshlrev_b32_e32 v24, 20, v24
	v_and_b32_e32 v29, 0x80000000, v29
	v_lshl_add_u32 v22, v22, 23, v31
	v_or3_b32 v29, v29, v22, v24
.LBB508_440:
	s_or_b64 exec, exec, s[26:27]
.LBB508_441:
	s_or_b64 exec, exec, s[24:25]
.LBB508_442:
	s_or_b64 exec, exec, s[12:13]
	s_mov_b32 s10, -1
	s_mov_b32 s11, 0xffffff
	v_cmp_lt_u64_e64 s[10:11], s[10:11], v[18:19]
	v_mov_b32_e32 v24, 0
	v_mov_b32_e32 v22, 0
	s_and_saveexec_b64 s[12:13], s[10:11]
	s_cbranch_execz .LBB508_448
; %bb.443:
	v_lshrrev_b32_e32 v18, 24, v19
	s_movk_i32 s10, 0x80
	v_cmp_ne_u32_e64 s[10:11], s10, v18
	v_bfrev_b32_e32 v22, 1
	s_and_saveexec_b64 s[24:25], s[10:11]
	s_cbranch_execz .LBB508_447
; %bb.444:
	v_bfe_u32 v19, v19, 24, 7
	s_movk_i32 s10, 0x7f
	v_cmp_ne_u32_e64 s[10:11], s10, v19
	v_mov_b32_e32 v22, 0x7f800001
	s_and_saveexec_b64 s[26:27], s[10:11]
	s_cbranch_execz .LBB508_446
; %bb.445:
	v_and_b32_e32 v22, 7, v18
	v_ffbh_u32_e32 v32, v22
	v_min_u32_e32 v34, 32, v32
	v_subrev_u32_e32 v32, 28, v34
	v_lshlrev_b64 v[32:33], v32, v[18:19]
	v_lshrrev_b32_e32 v31, 3, v19
	v_sub_u32_e32 v33, 29, v34
	v_and_b32_e32 v32, 7, v32
	v_cmp_gt_u32_e64 s[10:11], 8, v19
	v_cndmask_b32_e64 v19, v31, v33, s[10:11]
	v_cndmask_b32_e64 v22, v22, v32, s[10:11]
	v_lshlrev_b32_e32 v18, 24, v18
	v_bfrev_b32_e32 v31, 60
	v_lshlrev_b32_e32 v22, 20, v22
	v_and_b32_e32 v18, 0x80000000, v18
	v_lshl_add_u32 v19, v19, 23, v31
	v_or3_b32 v22, v18, v19, v22
.LBB508_446:
	s_or_b64 exec, exec, s[26:27]
.LBB508_447:
	s_or_b64 exec, exec, s[24:25]
.LBB508_448:
	s_or_b64 exec, exec, s[12:13]
	v_cvt_pkrtz_f16_f32 v18, v26, v27
	v_cvt_pkrtz_f16_f32 v19, v25, v28
	;; [unrolled: 1-line block ×4, first 2 shown]
	v_mfma_f32_4x4x4f16 a[0:3], v[2:3], v[18:19], a[0:3] cbsz:4 abid:8
	v_cmp_ne_u16_sdwa s[10:11], v20, v24 src0_sel:BYTE_0 src1_sel:DWORD
	v_mfma_f32_4x4x4f16 a[0:3], v[4:5], v[26:27], a[0:3] cbsz:4 abid:8
	s_and_saveexec_b64 s[12:13], s[10:11]
	s_cbranch_execz .LBB508_454
; %bb.449:
	s_movk_i32 s10, 0x80
	v_cmp_ne_u16_sdwa s[10:11], v20, s10 src0_sel:BYTE_0 src1_sel:DWORD
	v_bfrev_b32_e32 v24, 1
	s_and_saveexec_b64 s[24:25], s[10:11]
	s_cbranch_execz .LBB508_453
; %bb.450:
	s_movk_i32 s10, 0x7f
	v_and_b32_e32 v18, 0x7f, v20
	v_cmp_ne_u32_e64 s[10:11], s10, v18
	v_mov_b32_e32 v24, 0x7f800001
	s_and_saveexec_b64 s[26:27], s[10:11]
	s_cbranch_execz .LBB508_452
; %bb.451:
	v_and_b32_e32 v19, 7, v20
	v_ffbh_u32_e32 v19, v19
	v_min_u32_e32 v19, 32, v19
	v_subrev_u32_e32 v23, 28, v19
	v_cmp_gt_u32_e64 s[10:11], 8, v18
	v_lshrrev_b32_e32 v22, 3, v18
	v_sub_u32_e32 v19, 29, v19
	v_cndmask_b32_e64 v18, 0, v23, s[10:11]
	v_cndmask_b32_e64 v22, v22, v19, s[10:11]
	v_lshlrev_b64 v[18:19], v18, v[20:21]
	v_lshlrev_b32_e32 v18, 20, v18
	v_lshlrev_b32_e32 v19, 24, v20
	v_bfrev_b32_e32 v23, 60
	v_and_b32_e32 v18, 0x700000, v18
	v_and_b32_e32 v19, 0x80000000, v19
	v_lshl_add_u32 v22, v22, 23, v23
	v_or3_b32 v24, v19, v22, v18
.LBB508_452:
	s_or_b64 exec, exec, s[26:27]
.LBB508_453:
	s_or_b64 exec, exec, s[24:25]
.LBB508_454:
	s_or_b64 exec, exec, s[12:13]
	v_lshrrev_b16_e32 v18, 8, v20
	v_cmp_ne_u16_e64 s[10:11], 0, v18
	v_mov_b32_e32 v23, 0
	v_mov_b32_e32 v25, 0
	s_and_saveexec_b64 s[12:13], s[10:11]
	s_cbranch_execz .LBB508_460
; %bb.455:
	s_movk_i32 s10, 0x80
	v_cmp_ne_u16_e64 s[10:11], s10, v18
	v_bfrev_b32_e32 v25, 1
	s_and_saveexec_b64 s[24:25], s[10:11]
	s_cbranch_execz .LBB508_459
; %bb.456:
	s_movk_i32 s10, 0x7f
	v_and_b32_e32 v19, 0x7f, v18
	v_cmp_ne_u32_e64 s[10:11], s10, v19
	v_mov_b32_e32 v25, 0x7f800001
	s_and_saveexec_b64 s[26:27], s[10:11]
	s_cbranch_execz .LBB508_458
; %bb.457:
	v_and_b32_e32 v22, 7, v18
	v_ffbh_u32_e32 v26, v22
	v_min_u32_e32 v28, 32, v26
	v_subrev_u32_e32 v26, 28, v28
	v_lshlrev_b64 v[26:27], v26, v[18:19]
	v_lshrrev_b32_e32 v25, 3, v19
	v_sub_u32_e32 v18, 29, v28
	v_and_b32_e32 v26, 7, v26
	v_cmp_gt_u32_e64 s[10:11], 8, v19
	v_cndmask_b32_e64 v18, v25, v18, s[10:11]
	v_cndmask_b32_e64 v19, v22, v26, s[10:11]
	v_lshlrev_b32_e32 v22, 16, v20
	v_bfrev_b32_e32 v25, 60
	v_lshlrev_b32_e32 v19, 20, v19
	v_and_b32_e32 v22, 0x80000000, v22
	v_lshl_add_u32 v18, v18, 23, v25
	v_or3_b32 v25, v22, v18, v19
.LBB508_458:
	s_or_b64 exec, exec, s[26:27]
.LBB508_459:
	s_or_b64 exec, exec, s[24:25]
.LBB508_460:
	s_or_b64 exec, exec, s[12:13]
	s_movk_i32 s10, 0xff
	v_and_b32_sdwa v19, v20, s10 dst_sel:DWORD dst_unused:UNUSED_PAD src0_sel:WORD_1 src1_sel:DWORD
	v_lshrrev_b32_e32 v18, 16, v20
	v_cmp_ne_u16_e64 s[10:11], 0, v19
	s_and_saveexec_b64 s[12:13], s[10:11]
	s_cbranch_execz .LBB508_466
; %bb.461:
	s_movk_i32 s10, 0x80
	v_cmp_ne_u16_e64 s[10:11], s10, v19
	v_bfrev_b32_e32 v23, 1
	s_and_saveexec_b64 s[24:25], s[10:11]
	s_cbranch_execz .LBB508_465
; %bb.462:
	v_bfe_u32 v19, v20, 16, 7
	s_movk_i32 s10, 0x7f
	v_cmp_ne_u32_e64 s[10:11], s10, v19
	v_mov_b32_e32 v23, 0x7f800001
	s_and_saveexec_b64 s[26:27], s[10:11]
	s_cbranch_execz .LBB508_464
; %bb.463:
	v_and_b32_e32 v26, 7, v18
	v_ffbh_u32_e32 v22, v26
	v_min_u32_e32 v28, 32, v22
	v_subrev_u32_e32 v22, 28, v28
	v_lshlrev_b64 v[22:23], v22, v[18:19]
	v_and_b32_e32 v22, 7, v22
	v_cmp_gt_u32_e64 s[10:11], 8, v19
	v_lshrrev_b32_e32 v27, 3, v19
	v_sub_u32_e32 v18, 29, v28
	v_cndmask_b32_e64 v19, v26, v22, s[10:11]
	v_mov_b32_e32 v22, 24
	v_cndmask_b32_e64 v18, v27, v18, s[10:11]
	v_lshlrev_b32_sdwa v22, v22, v20 dst_sel:DWORD dst_unused:UNUSED_PAD src0_sel:DWORD src1_sel:WORD_1
	v_bfrev_b32_e32 v23, 60
	v_lshlrev_b32_e32 v19, 20, v19
	v_and_b32_e32 v22, 0x80000000, v22
	v_lshl_add_u32 v18, v18, 23, v23
	v_or3_b32 v23, v22, v18, v19
.LBB508_464:
	s_or_b64 exec, exec, s[26:27]
.LBB508_465:
	s_or_b64 exec, exec, s[24:25]
.LBB508_466:
	s_or_b64 exec, exec, s[12:13]
	s_mov_b32 s10, 0xffffff
	v_cmp_lt_u32_e64 s[10:11], s10, v20
	v_mov_b32_e32 v19, 0
	v_mov_b32_e32 v26, 0
	s_and_saveexec_b64 s[12:13], s[10:11]
	s_cbranch_execz .LBB508_472
; %bb.467:
	v_lshrrev_b32_e32 v18, 24, v20
	s_movk_i32 s10, 0x80
	v_cmp_ne_u32_e64 s[10:11], s10, v18
	v_bfrev_b32_e32 v26, 1
	s_and_saveexec_b64 s[24:25], s[10:11]
	s_cbranch_execz .LBB508_471
; %bb.468:
	v_bfe_u32 v22, v20, 24, 7
	s_movk_i32 s10, 0x7f
	v_cmp_ne_u32_e64 s[10:11], s10, v22
	v_mov_b32_e32 v26, 0x7f800001
	s_and_saveexec_b64 s[26:27], s[10:11]
	s_cbranch_execz .LBB508_470
; %bb.469:
	v_and_b32_e32 v28, 7, v18
	v_ffbh_u32_e32 v26, v28
	v_min_u32_e32 v30, 32, v26
	v_subrev_u32_e32 v26, 28, v30
	v_lshlrev_b64 v[26:27], v26, v[18:19]
	v_lshrrev_b32_e32 v29, 3, v22
	v_sub_u32_e32 v27, 29, v30
	v_and_b32_e32 v26, 7, v26
	v_cmp_gt_u32_e64 s[10:11], 8, v22
	v_cndmask_b32_e64 v22, v29, v27, s[10:11]
	v_cndmask_b32_e64 v26, v28, v26, s[10:11]
	v_lshlrev_b32_e32 v18, 24, v18
	v_bfrev_b32_e32 v27, 60
	v_lshlrev_b32_e32 v26, 20, v26
	v_and_b32_e32 v18, 0x80000000, v18
	v_lshl_add_u32 v22, v22, 23, v27
	v_or3_b32 v26, v18, v22, v26
.LBB508_470:
	s_or_b64 exec, exec, s[26:27]
.LBB508_471:
	s_or_b64 exec, exec, s[24:25]
.LBB508_472:
	s_or_b64 exec, exec, s[12:13]
	v_mov_b32_e32 v18, v21
	v_cmp_ne_u16_sdwa s[10:11], v21, v19 src0_sel:BYTE_0 src1_sel:DWORD
	s_and_saveexec_b64 s[12:13], s[10:11]
	s_cbranch_execz .LBB508_478
; %bb.473:
	s_movk_i32 s10, 0x80
	v_cmp_ne_u16_sdwa s[10:11], v21, s10 src0_sel:BYTE_0 src1_sel:DWORD
	v_bfrev_b32_e32 v22, 1
	s_and_saveexec_b64 s[24:25], s[10:11]
	s_cbranch_execz .LBB508_477
; %bb.474:
	s_movk_i32 s10, 0x7f
	v_and_b32_e32 v27, 0x7f, v21
	v_cmp_ne_u32_e64 s[10:11], s10, v27
	v_mov_b32_e32 v22, 0x7f800001
	s_and_saveexec_b64 s[26:27], s[10:11]
	s_cbranch_execz .LBB508_476
; %bb.475:
	v_and_b32_e32 v22, 7, v21
	v_ffbh_u32_e32 v22, v22
	v_min_u32_e32 v22, 32, v22
	v_subrev_u32_e32 v29, 28, v22
	v_cmp_gt_u32_e64 s[10:11], 8, v27
	v_lshrrev_b32_e32 v28, 3, v27
	v_sub_u32_e32 v22, 29, v22
	v_cndmask_b32_e64 v27, 0, v29, s[10:11]
	v_cndmask_b32_e64 v22, v28, v22, s[10:11]
	v_lshlrev_b64 v[28:29], v27, v[18:19]
	v_lshlrev_b32_e32 v19, 20, v28
	v_lshlrev_b32_e32 v27, 24, v18
	v_bfrev_b32_e32 v28, 60
	v_and_b32_e32 v19, 0x700000, v19
	v_and_b32_e32 v27, 0x80000000, v27
	v_lshl_add_u32 v22, v22, 23, v28
	v_or3_b32 v22, v27, v22, v19
.LBB508_476:
	s_or_b64 exec, exec, s[26:27]
.LBB508_477:
	s_or_b64 exec, exec, s[24:25]
	v_mov_b32_e32 v19, v22
.LBB508_478:
	s_or_b64 exec, exec, s[12:13]
	v_lshrrev_b16_e32 v22, 8, v18
	v_cmp_ne_u16_e64 s[10:11], 0, v22
	v_mov_b32_e32 v27, 0
	v_mov_b32_e32 v28, 0
	s_and_saveexec_b64 s[12:13], s[10:11]
	s_cbranch_execz .LBB508_484
; %bb.479:
	s_movk_i32 s10, 0x80
	v_cmp_ne_u16_e64 s[10:11], s10, v22
	v_bfrev_b32_e32 v28, 1
	s_and_saveexec_b64 s[24:25], s[10:11]
	s_cbranch_execz .LBB508_483
; %bb.480:
	s_movk_i32 s10, 0x7f
	v_and_b32_e32 v29, 0x7f, v22
	v_cmp_ne_u32_e64 s[10:11], s10, v29
	v_mov_b32_e32 v28, 0x7f800001
	s_and_saveexec_b64 s[26:27], s[10:11]
	s_cbranch_execz .LBB508_482
; %bb.481:
	v_and_b32_e32 v28, 7, v22
	v_ffbh_u32_e32 v30, v28
	v_min_u32_e32 v33, 32, v30
	v_subrev_u32_e32 v30, 28, v33
	v_lshlrev_b64 v[30:31], v30, v[22:23]
	v_lshrrev_b32_e32 v32, 3, v29
	v_sub_u32_e32 v22, 29, v33
	v_and_b32_e32 v30, 7, v30
	v_cmp_gt_u32_e64 s[10:11], 8, v29
	v_cndmask_b32_e64 v22, v32, v22, s[10:11]
	v_cndmask_b32_e64 v28, v28, v30, s[10:11]
	v_lshlrev_b32_e32 v18, 16, v18
	v_bfrev_b32_e32 v29, 60
	v_lshlrev_b32_e32 v28, 20, v28
	v_and_b32_e32 v18, 0x80000000, v18
	v_lshl_add_u32 v22, v22, 23, v29
	v_or3_b32 v28, v18, v22, v28
.LBB508_482:
	s_or_b64 exec, exec, s[26:27]
.LBB508_483:
	s_or_b64 exec, exec, s[24:25]
.LBB508_484:
	s_or_b64 exec, exec, s[12:13]
	s_movk_i32 s10, 0xff
	v_and_b32_sdwa v22, v21, s10 dst_sel:DWORD dst_unused:UNUSED_PAD src0_sel:WORD_1 src1_sel:DWORD
	v_lshrrev_b32_e32 v18, 16, v21
	v_cmp_ne_u16_e64 s[10:11], 0, v22
	s_and_saveexec_b64 s[12:13], s[10:11]
	s_cbranch_execz .LBB508_490
; %bb.485:
	s_movk_i32 s10, 0x80
	v_cmp_ne_u16_e64 s[10:11], s10, v22
	v_bfrev_b32_e32 v27, 1
	s_and_saveexec_b64 s[24:25], s[10:11]
	s_cbranch_execz .LBB508_489
; %bb.486:
	v_bfe_u32 v22, v21, 16, 7
	s_movk_i32 s10, 0x7f
	v_cmp_ne_u32_e64 s[10:11], s10, v22
	v_mov_b32_e32 v27, 0x7f800001
	s_and_saveexec_b64 s[26:27], s[10:11]
	s_cbranch_execz .LBB508_488
; %bb.487:
	v_and_b32_e32 v27, 7, v18
	v_ffbh_u32_e32 v30, v27
	v_min_u32_e32 v32, 32, v30
	v_subrev_u32_e32 v30, 28, v32
	v_lshlrev_b64 v[30:31], v30, v[18:19]
	v_and_b32_e32 v30, 7, v30
	v_cmp_gt_u32_e64 s[10:11], 8, v22
	v_lshrrev_b32_e32 v29, 3, v22
	v_sub_u32_e32 v18, 29, v32
	v_cndmask_b32_e64 v22, v27, v30, s[10:11]
	v_mov_b32_e32 v27, 24
	v_cndmask_b32_e64 v18, v29, v18, s[10:11]
	v_lshlrev_b32_sdwa v27, v27, v21 dst_sel:DWORD dst_unused:UNUSED_PAD src0_sel:DWORD src1_sel:WORD_1
	v_bfrev_b32_e32 v29, 60
	v_lshlrev_b32_e32 v22, 20, v22
	v_and_b32_e32 v27, 0x80000000, v27
	v_lshl_add_u32 v18, v18, 23, v29
	v_or3_b32 v27, v27, v18, v22
.LBB508_488:
	s_or_b64 exec, exec, s[26:27]
.LBB508_489:
	s_or_b64 exec, exec, s[24:25]
.LBB508_490:
	s_or_b64 exec, exec, s[12:13]
	s_mov_b32 s10, -1
	s_mov_b32 s11, 0xffffff
	v_cmp_lt_u64_e64 s[10:11], s[10:11], v[20:21]
	v_mov_b32_e32 v22, 0
	v_mov_b32_e32 v20, 0
	s_and_saveexec_b64 s[12:13], s[10:11]
	s_cbranch_execz .LBB508_496
; %bb.491:
	v_lshrrev_b32_e32 v18, 24, v21
	s_movk_i32 s10, 0x80
	v_cmp_ne_u32_e64 s[10:11], s10, v18
	v_bfrev_b32_e32 v20, 1
	s_and_saveexec_b64 s[24:25], s[10:11]
	s_cbranch_execz .LBB508_495
; %bb.492:
	v_bfe_u32 v21, v21, 24, 7
	s_movk_i32 s10, 0x7f
	v_cmp_ne_u32_e64 s[10:11], s10, v21
	v_mov_b32_e32 v20, 0x7f800001
	s_and_saveexec_b64 s[26:27], s[10:11]
	s_cbranch_execz .LBB508_494
; %bb.493:
	v_and_b32_e32 v20, 7, v18
	v_ffbh_u32_e32 v30, v20
	v_min_u32_e32 v32, 32, v30
	v_subrev_u32_e32 v30, 28, v32
	v_lshlrev_b64 v[30:31], v30, v[18:19]
	v_lshrrev_b32_e32 v29, 3, v21
	v_sub_u32_e32 v31, 29, v32
	v_and_b32_e32 v30, 7, v30
	v_cmp_gt_u32_e64 s[10:11], 8, v21
	v_cndmask_b32_e64 v21, v29, v31, s[10:11]
	v_cndmask_b32_e64 v20, v20, v30, s[10:11]
	v_lshlrev_b32_e32 v18, 24, v18
	v_bfrev_b32_e32 v29, 60
	v_lshlrev_b32_e32 v20, 20, v20
	v_and_b32_e32 v18, 0x80000000, v18
	v_lshl_add_u32 v21, v21, 23, v29
	v_or3_b32 v20, v18, v21, v20
.LBB508_494:
	s_or_b64 exec, exec, s[26:27]
.LBB508_495:
	s_or_b64 exec, exec, s[24:25]
.LBB508_496:
	s_or_b64 exec, exec, s[12:13]
	v_cvt_pkrtz_f16_f32 v24, v24, v25
	v_cvt_pkrtz_f16_f32 v25, v23, v26
	;; [unrolled: 1-line block ×4, first 2 shown]
	v_mfma_f32_4x4x4f16 a[0:3], v[2:3], v[24:25], a[0:3] cbsz:4 abid:9
	v_cmp_ne_u16_sdwa s[10:11], v14, v22 src0_sel:BYTE_0 src1_sel:DWORD
	v_mfma_f32_4x4x4f16 a[0:3], v[4:5], v[18:19], a[0:3] cbsz:4 abid:9
	s_and_saveexec_b64 s[12:13], s[10:11]
	s_cbranch_execz .LBB508_502
; %bb.497:
	s_movk_i32 s10, 0x80
	v_cmp_ne_u16_sdwa s[10:11], v14, s10 src0_sel:BYTE_0 src1_sel:DWORD
	v_bfrev_b32_e32 v22, 1
	s_and_saveexec_b64 s[24:25], s[10:11]
	s_cbranch_execz .LBB508_501
; %bb.498:
	s_movk_i32 s10, 0x7f
	v_and_b32_e32 v18, 0x7f, v14
	v_cmp_ne_u32_e64 s[10:11], s10, v18
	v_mov_b32_e32 v22, 0x7f800001
	s_and_saveexec_b64 s[26:27], s[10:11]
	s_cbranch_execz .LBB508_500
; %bb.499:
	v_and_b32_e32 v19, 7, v14
	v_ffbh_u32_e32 v19, v19
	v_min_u32_e32 v19, 32, v19
	v_subrev_u32_e32 v21, 28, v19
	v_cmp_gt_u32_e64 s[10:11], 8, v18
	v_lshrrev_b32_e32 v20, 3, v18
	v_sub_u32_e32 v19, 29, v19
	v_cndmask_b32_e64 v18, 0, v21, s[10:11]
	v_cndmask_b32_e64 v20, v20, v19, s[10:11]
	v_lshlrev_b64 v[18:19], v18, v[14:15]
	v_lshlrev_b32_e32 v18, 20, v18
	v_lshlrev_b32_e32 v19, 24, v14
	v_bfrev_b32_e32 v21, 60
	v_and_b32_e32 v18, 0x700000, v18
	v_and_b32_e32 v19, 0x80000000, v19
	v_lshl_add_u32 v20, v20, 23, v21
	v_or3_b32 v22, v19, v20, v18
.LBB508_500:
	s_or_b64 exec, exec, s[26:27]
.LBB508_501:
	s_or_b64 exec, exec, s[24:25]
.LBB508_502:
	s_or_b64 exec, exec, s[12:13]
	v_lshrrev_b16_e32 v18, 8, v14
	v_cmp_ne_u16_e64 s[10:11], 0, v18
	v_mov_b32_e32 v21, 0
	v_mov_b32_e32 v23, 0
	s_and_saveexec_b64 s[12:13], s[10:11]
	s_cbranch_execz .LBB508_508
; %bb.503:
	s_movk_i32 s10, 0x80
	v_cmp_ne_u16_e64 s[10:11], s10, v18
	v_bfrev_b32_e32 v23, 1
	s_and_saveexec_b64 s[24:25], s[10:11]
	s_cbranch_execz .LBB508_507
; %bb.504:
	s_movk_i32 s10, 0x7f
	v_and_b32_e32 v19, 0x7f, v18
	v_cmp_ne_u32_e64 s[10:11], s10, v19
	v_mov_b32_e32 v23, 0x7f800001
	s_and_saveexec_b64 s[26:27], s[10:11]
	s_cbranch_execz .LBB508_506
; %bb.505:
	v_and_b32_e32 v20, 7, v18
	v_ffbh_u32_e32 v24, v20
	v_min_u32_e32 v26, 32, v24
	v_subrev_u32_e32 v24, 28, v26
	v_lshlrev_b64 v[24:25], v24, v[18:19]
	v_lshrrev_b32_e32 v23, 3, v19
	v_sub_u32_e32 v18, 29, v26
	v_and_b32_e32 v24, 7, v24
	v_cmp_gt_u32_e64 s[10:11], 8, v19
	v_cndmask_b32_e64 v18, v23, v18, s[10:11]
	v_cndmask_b32_e64 v19, v20, v24, s[10:11]
	v_lshlrev_b32_e32 v20, 16, v14
	v_bfrev_b32_e32 v23, 60
	v_lshlrev_b32_e32 v19, 20, v19
	v_and_b32_e32 v20, 0x80000000, v20
	v_lshl_add_u32 v18, v18, 23, v23
	v_or3_b32 v23, v20, v18, v19
.LBB508_506:
	s_or_b64 exec, exec, s[26:27]
.LBB508_507:
	s_or_b64 exec, exec, s[24:25]
.LBB508_508:
	s_or_b64 exec, exec, s[12:13]
	s_movk_i32 s10, 0xff
	v_and_b32_sdwa v19, v14, s10 dst_sel:DWORD dst_unused:UNUSED_PAD src0_sel:WORD_1 src1_sel:DWORD
	v_lshrrev_b32_e32 v18, 16, v14
	v_cmp_ne_u16_e64 s[10:11], 0, v19
	s_and_saveexec_b64 s[12:13], s[10:11]
	s_cbranch_execz .LBB508_514
; %bb.509:
	s_movk_i32 s10, 0x80
	v_cmp_ne_u16_e64 s[10:11], s10, v19
	v_bfrev_b32_e32 v21, 1
	s_and_saveexec_b64 s[24:25], s[10:11]
	s_cbranch_execz .LBB508_513
; %bb.510:
	v_bfe_u32 v19, v14, 16, 7
	s_movk_i32 s10, 0x7f
	v_cmp_ne_u32_e64 s[10:11], s10, v19
	v_mov_b32_e32 v21, 0x7f800001
	s_and_saveexec_b64 s[26:27], s[10:11]
	s_cbranch_execz .LBB508_512
; %bb.511:
	v_and_b32_e32 v24, 7, v18
	v_ffbh_u32_e32 v20, v24
	v_min_u32_e32 v26, 32, v20
	v_subrev_u32_e32 v20, 28, v26
	v_lshlrev_b64 v[20:21], v20, v[18:19]
	v_and_b32_e32 v20, 7, v20
	v_cmp_gt_u32_e64 s[10:11], 8, v19
	v_lshrrev_b32_e32 v25, 3, v19
	v_sub_u32_e32 v18, 29, v26
	v_cndmask_b32_e64 v19, v24, v20, s[10:11]
	v_mov_b32_e32 v20, 24
	v_cndmask_b32_e64 v18, v25, v18, s[10:11]
	v_lshlrev_b32_sdwa v20, v20, v14 dst_sel:DWORD dst_unused:UNUSED_PAD src0_sel:DWORD src1_sel:WORD_1
	v_bfrev_b32_e32 v21, 60
	v_lshlrev_b32_e32 v19, 20, v19
	v_and_b32_e32 v20, 0x80000000, v20
	v_lshl_add_u32 v18, v18, 23, v21
	v_or3_b32 v21, v20, v18, v19
.LBB508_512:
	s_or_b64 exec, exec, s[26:27]
.LBB508_513:
	s_or_b64 exec, exec, s[24:25]
.LBB508_514:
	s_or_b64 exec, exec, s[12:13]
	s_mov_b32 s10, 0xffffff
	v_cmp_lt_u32_e64 s[10:11], s10, v14
	v_mov_b32_e32 v19, 0
	v_mov_b32_e32 v24, 0
	s_and_saveexec_b64 s[12:13], s[10:11]
	s_cbranch_execz .LBB508_520
; %bb.515:
	v_lshrrev_b32_e32 v18, 24, v14
	s_movk_i32 s10, 0x80
	v_cmp_ne_u32_e64 s[10:11], s10, v18
	v_bfrev_b32_e32 v24, 1
	s_and_saveexec_b64 s[24:25], s[10:11]
	s_cbranch_execz .LBB508_519
; %bb.516:
	v_bfe_u32 v20, v14, 24, 7
	s_movk_i32 s10, 0x7f
	v_cmp_ne_u32_e64 s[10:11], s10, v20
	v_mov_b32_e32 v24, 0x7f800001
	s_and_saveexec_b64 s[26:27], s[10:11]
	s_cbranch_execz .LBB508_518
; %bb.517:
	v_and_b32_e32 v26, 7, v18
	v_ffbh_u32_e32 v24, v26
	v_min_u32_e32 v28, 32, v24
	v_subrev_u32_e32 v24, 28, v28
	v_lshlrev_b64 v[24:25], v24, v[18:19]
	v_lshrrev_b32_e32 v27, 3, v20
	v_sub_u32_e32 v25, 29, v28
	v_and_b32_e32 v24, 7, v24
	v_cmp_gt_u32_e64 s[10:11], 8, v20
	v_cndmask_b32_e64 v20, v27, v25, s[10:11]
	v_cndmask_b32_e64 v24, v26, v24, s[10:11]
	v_lshlrev_b32_e32 v18, 24, v18
	v_bfrev_b32_e32 v25, 60
	v_lshlrev_b32_e32 v24, 20, v24
	v_and_b32_e32 v18, 0x80000000, v18
	v_lshl_add_u32 v20, v20, 23, v25
	v_or3_b32 v24, v18, v20, v24
.LBB508_518:
	s_or_b64 exec, exec, s[26:27]
.LBB508_519:
	s_or_b64 exec, exec, s[24:25]
.LBB508_520:
	s_or_b64 exec, exec, s[12:13]
	v_mov_b32_e32 v18, v15
	v_cmp_ne_u16_sdwa s[10:11], v15, v19 src0_sel:BYTE_0 src1_sel:DWORD
	s_and_saveexec_b64 s[12:13], s[10:11]
	s_cbranch_execz .LBB508_526
; %bb.521:
	s_movk_i32 s10, 0x80
	v_cmp_ne_u16_sdwa s[10:11], v15, s10 src0_sel:BYTE_0 src1_sel:DWORD
	v_bfrev_b32_e32 v20, 1
	s_and_saveexec_b64 s[24:25], s[10:11]
	s_cbranch_execz .LBB508_525
; %bb.522:
	s_movk_i32 s10, 0x7f
	v_and_b32_e32 v25, 0x7f, v15
	v_cmp_ne_u32_e64 s[10:11], s10, v25
	v_mov_b32_e32 v20, 0x7f800001
	s_and_saveexec_b64 s[26:27], s[10:11]
	s_cbranch_execz .LBB508_524
; %bb.523:
	v_and_b32_e32 v20, 7, v15
	v_ffbh_u32_e32 v20, v20
	v_min_u32_e32 v20, 32, v20
	v_subrev_u32_e32 v27, 28, v20
	v_cmp_gt_u32_e64 s[10:11], 8, v25
	v_lshrrev_b32_e32 v26, 3, v25
	v_sub_u32_e32 v20, 29, v20
	v_cndmask_b32_e64 v25, 0, v27, s[10:11]
	v_cndmask_b32_e64 v20, v26, v20, s[10:11]
	v_lshlrev_b64 v[26:27], v25, v[18:19]
	v_lshlrev_b32_e32 v19, 20, v26
	v_lshlrev_b32_e32 v25, 24, v18
	v_bfrev_b32_e32 v26, 60
	v_and_b32_e32 v19, 0x700000, v19
	v_and_b32_e32 v25, 0x80000000, v25
	v_lshl_add_u32 v20, v20, 23, v26
	v_or3_b32 v20, v25, v20, v19
.LBB508_524:
	s_or_b64 exec, exec, s[26:27]
.LBB508_525:
	s_or_b64 exec, exec, s[24:25]
	v_mov_b32_e32 v19, v20
.LBB508_526:
	s_or_b64 exec, exec, s[12:13]
	v_lshrrev_b16_e32 v20, 8, v18
	v_cmp_ne_u16_e64 s[10:11], 0, v20
	v_mov_b32_e32 v25, 0
	v_mov_b32_e32 v26, 0
	s_and_saveexec_b64 s[12:13], s[10:11]
	s_cbranch_execz .LBB508_532
; %bb.527:
	s_movk_i32 s10, 0x80
	v_cmp_ne_u16_e64 s[10:11], s10, v20
	v_bfrev_b32_e32 v26, 1
	s_and_saveexec_b64 s[24:25], s[10:11]
	s_cbranch_execz .LBB508_531
; %bb.528:
	s_movk_i32 s10, 0x7f
	v_and_b32_e32 v27, 0x7f, v20
	v_cmp_ne_u32_e64 s[10:11], s10, v27
	v_mov_b32_e32 v26, 0x7f800001
	s_and_saveexec_b64 s[26:27], s[10:11]
	s_cbranch_execz .LBB508_530
; %bb.529:
	v_and_b32_e32 v26, 7, v20
	v_ffbh_u32_e32 v28, v26
	v_min_u32_e32 v31, 32, v28
	v_subrev_u32_e32 v28, 28, v31
	v_lshlrev_b64 v[28:29], v28, v[20:21]
	v_lshrrev_b32_e32 v30, 3, v27
	v_sub_u32_e32 v20, 29, v31
	v_and_b32_e32 v28, 7, v28
	v_cmp_gt_u32_e64 s[10:11], 8, v27
	v_cndmask_b32_e64 v20, v30, v20, s[10:11]
	v_cndmask_b32_e64 v26, v26, v28, s[10:11]
	v_lshlrev_b32_e32 v18, 16, v18
	v_bfrev_b32_e32 v27, 60
	v_lshlrev_b32_e32 v26, 20, v26
	v_and_b32_e32 v18, 0x80000000, v18
	v_lshl_add_u32 v20, v20, 23, v27
	v_or3_b32 v26, v18, v20, v26
.LBB508_530:
	s_or_b64 exec, exec, s[26:27]
.LBB508_531:
	s_or_b64 exec, exec, s[24:25]
.LBB508_532:
	s_or_b64 exec, exec, s[12:13]
	s_movk_i32 s10, 0xff
	v_and_b32_sdwa v20, v15, s10 dst_sel:DWORD dst_unused:UNUSED_PAD src0_sel:WORD_1 src1_sel:DWORD
	v_lshrrev_b32_e32 v18, 16, v15
	v_cmp_ne_u16_e64 s[10:11], 0, v20
	s_and_saveexec_b64 s[12:13], s[10:11]
	s_cbranch_execz .LBB508_538
; %bb.533:
	s_movk_i32 s10, 0x80
	v_cmp_ne_u16_e64 s[10:11], s10, v20
	v_bfrev_b32_e32 v25, 1
	s_and_saveexec_b64 s[24:25], s[10:11]
	s_cbranch_execz .LBB508_537
; %bb.534:
	v_bfe_u32 v20, v15, 16, 7
	s_movk_i32 s10, 0x7f
	v_cmp_ne_u32_e64 s[10:11], s10, v20
	v_mov_b32_e32 v25, 0x7f800001
	s_and_saveexec_b64 s[26:27], s[10:11]
	s_cbranch_execz .LBB508_536
; %bb.535:
	v_and_b32_e32 v25, 7, v18
	v_ffbh_u32_e32 v28, v25
	v_min_u32_e32 v30, 32, v28
	v_subrev_u32_e32 v28, 28, v30
	v_lshlrev_b64 v[28:29], v28, v[18:19]
	v_and_b32_e32 v28, 7, v28
	v_cmp_gt_u32_e64 s[10:11], 8, v20
	v_lshrrev_b32_e32 v27, 3, v20
	v_sub_u32_e32 v18, 29, v30
	v_cndmask_b32_e64 v20, v25, v28, s[10:11]
	v_mov_b32_e32 v25, 24
	v_cndmask_b32_e64 v18, v27, v18, s[10:11]
	v_lshlrev_b32_sdwa v25, v25, v15 dst_sel:DWORD dst_unused:UNUSED_PAD src0_sel:DWORD src1_sel:WORD_1
	v_bfrev_b32_e32 v27, 60
	v_lshlrev_b32_e32 v20, 20, v20
	v_and_b32_e32 v25, 0x80000000, v25
	v_lshl_add_u32 v18, v18, 23, v27
	v_or3_b32 v25, v25, v18, v20
.LBB508_536:
	s_or_b64 exec, exec, s[26:27]
.LBB508_537:
	s_or_b64 exec, exec, s[24:25]
.LBB508_538:
	s_or_b64 exec, exec, s[12:13]
	s_mov_b32 s10, -1
	s_mov_b32 s11, 0xffffff
	v_cmp_lt_u64_e64 s[10:11], s[10:11], v[14:15]
	v_mov_b32_e32 v20, 0
	v_mov_b32_e32 v18, 0
	s_and_saveexec_b64 s[12:13], s[10:11]
	s_cbranch_execz .LBB508_544
; %bb.539:
	v_lshrrev_b32_e32 v14, 24, v15
	s_movk_i32 s10, 0x80
	v_cmp_ne_u32_e64 s[10:11], s10, v14
	v_bfrev_b32_e32 v18, 1
	s_and_saveexec_b64 s[24:25], s[10:11]
	s_cbranch_execz .LBB508_543
; %bb.540:
	v_bfe_u32 v15, v15, 24, 7
	s_movk_i32 s10, 0x7f
	v_cmp_ne_u32_e64 s[10:11], s10, v15
	v_mov_b32_e32 v18, 0x7f800001
	s_and_saveexec_b64 s[26:27], s[10:11]
	s_cbranch_execz .LBB508_542
; %bb.541:
	v_and_b32_e32 v18, 7, v14
	v_ffbh_u32_e32 v28, v18
	v_min_u32_e32 v30, 32, v28
	v_subrev_u32_e32 v28, 28, v30
	v_lshlrev_b64 v[28:29], v28, v[14:15]
	v_lshrrev_b32_e32 v27, 3, v15
	v_sub_u32_e32 v29, 29, v30
	v_and_b32_e32 v28, 7, v28
	v_cmp_gt_u32_e64 s[10:11], 8, v15
	v_cndmask_b32_e64 v15, v27, v29, s[10:11]
	v_cndmask_b32_e64 v18, v18, v28, s[10:11]
	v_lshlrev_b32_e32 v14, 24, v14
	v_bfrev_b32_e32 v27, 60
	v_lshlrev_b32_e32 v18, 20, v18
	v_and_b32_e32 v14, 0x80000000, v14
	v_lshl_add_u32 v15, v15, 23, v27
	v_or3_b32 v18, v14, v15, v18
.LBB508_542:
	s_or_b64 exec, exec, s[26:27]
.LBB508_543:
	s_or_b64 exec, exec, s[24:25]
.LBB508_544:
	s_or_b64 exec, exec, s[12:13]
	v_cvt_pkrtz_f16_f32 v14, v22, v23
	v_cvt_pkrtz_f16_f32 v15, v21, v24
	;; [unrolled: 1-line block ×4, first 2 shown]
	v_mfma_f32_4x4x4f16 a[0:3], v[2:3], v[14:15], a[0:3] cbsz:4 abid:10
	v_cmp_ne_u16_sdwa s[10:11], v16, v20 src0_sel:BYTE_0 src1_sel:DWORD
	v_mfma_f32_4x4x4f16 a[0:3], v[4:5], v[22:23], a[0:3] cbsz:4 abid:10
	s_and_saveexec_b64 s[12:13], s[10:11]
	s_cbranch_execz .LBB508_550
; %bb.545:
	s_movk_i32 s10, 0x80
	v_cmp_ne_u16_sdwa s[10:11], v16, s10 src0_sel:BYTE_0 src1_sel:DWORD
	v_bfrev_b32_e32 v20, 1
	s_and_saveexec_b64 s[24:25], s[10:11]
	s_cbranch_execz .LBB508_549
; %bb.546:
	s_movk_i32 s10, 0x7f
	v_and_b32_e32 v14, 0x7f, v16
	v_cmp_ne_u32_e64 s[10:11], s10, v14
	v_mov_b32_e32 v20, 0x7f800001
	s_and_saveexec_b64 s[26:27], s[10:11]
	s_cbranch_execz .LBB508_548
; %bb.547:
	v_and_b32_e32 v15, 7, v16
	v_ffbh_u32_e32 v15, v15
	v_min_u32_e32 v15, 32, v15
	v_subrev_u32_e32 v19, 28, v15
	v_cmp_gt_u32_e64 s[10:11], 8, v14
	v_lshrrev_b32_e32 v18, 3, v14
	v_sub_u32_e32 v15, 29, v15
	v_cndmask_b32_e64 v14, 0, v19, s[10:11]
	v_cndmask_b32_e64 v18, v18, v15, s[10:11]
	v_lshlrev_b64 v[14:15], v14, v[16:17]
	v_lshlrev_b32_e32 v14, 20, v14
	v_lshlrev_b32_e32 v15, 24, v16
	v_bfrev_b32_e32 v19, 60
	v_and_b32_e32 v14, 0x700000, v14
	v_and_b32_e32 v15, 0x80000000, v15
	v_lshl_add_u32 v18, v18, 23, v19
	v_or3_b32 v20, v15, v18, v14
.LBB508_548:
	s_or_b64 exec, exec, s[26:27]
.LBB508_549:
	s_or_b64 exec, exec, s[24:25]
.LBB508_550:
	s_or_b64 exec, exec, s[12:13]
	v_lshrrev_b16_e32 v14, 8, v16
	v_cmp_ne_u16_e64 s[10:11], 0, v14
	v_mov_b32_e32 v19, 0
	v_mov_b32_e32 v21, 0
	s_and_saveexec_b64 s[12:13], s[10:11]
	s_cbranch_execz .LBB508_556
; %bb.551:
	s_movk_i32 s10, 0x80
	v_cmp_ne_u16_e64 s[10:11], s10, v14
	v_bfrev_b32_e32 v21, 1
	s_and_saveexec_b64 s[24:25], s[10:11]
	s_cbranch_execz .LBB508_555
; %bb.552:
	s_movk_i32 s10, 0x7f
	v_and_b32_e32 v15, 0x7f, v14
	v_cmp_ne_u32_e64 s[10:11], s10, v15
	v_mov_b32_e32 v21, 0x7f800001
	s_and_saveexec_b64 s[26:27], s[10:11]
	s_cbranch_execz .LBB508_554
; %bb.553:
	v_and_b32_e32 v18, 7, v14
	v_ffbh_u32_e32 v22, v18
	v_min_u32_e32 v24, 32, v22
	v_subrev_u32_e32 v22, 28, v24
	v_lshlrev_b64 v[22:23], v22, v[14:15]
	v_lshrrev_b32_e32 v21, 3, v15
	v_sub_u32_e32 v14, 29, v24
	v_and_b32_e32 v22, 7, v22
	v_cmp_gt_u32_e64 s[10:11], 8, v15
	v_cndmask_b32_e64 v14, v21, v14, s[10:11]
	v_cndmask_b32_e64 v15, v18, v22, s[10:11]
	v_lshlrev_b32_e32 v18, 16, v16
	v_bfrev_b32_e32 v21, 60
	v_lshlrev_b32_e32 v15, 20, v15
	v_and_b32_e32 v18, 0x80000000, v18
	v_lshl_add_u32 v14, v14, 23, v21
	v_or3_b32 v21, v18, v14, v15
.LBB508_554:
	s_or_b64 exec, exec, s[26:27]
.LBB508_555:
	s_or_b64 exec, exec, s[24:25]
.LBB508_556:
	s_or_b64 exec, exec, s[12:13]
	s_movk_i32 s10, 0xff
	v_and_b32_sdwa v15, v16, s10 dst_sel:DWORD dst_unused:UNUSED_PAD src0_sel:WORD_1 src1_sel:DWORD
	v_lshrrev_b32_e32 v14, 16, v16
	v_cmp_ne_u16_e64 s[10:11], 0, v15
	s_and_saveexec_b64 s[12:13], s[10:11]
	s_cbranch_execz .LBB508_562
; %bb.557:
	s_movk_i32 s10, 0x80
	v_cmp_ne_u16_e64 s[10:11], s10, v15
	v_bfrev_b32_e32 v19, 1
	s_and_saveexec_b64 s[24:25], s[10:11]
	s_cbranch_execz .LBB508_561
; %bb.558:
	v_bfe_u32 v15, v16, 16, 7
	s_movk_i32 s10, 0x7f
	v_cmp_ne_u32_e64 s[10:11], s10, v15
	v_mov_b32_e32 v19, 0x7f800001
	s_and_saveexec_b64 s[26:27], s[10:11]
	s_cbranch_execz .LBB508_560
; %bb.559:
	v_and_b32_e32 v22, 7, v14
	v_ffbh_u32_e32 v18, v22
	v_min_u32_e32 v24, 32, v18
	v_subrev_u32_e32 v18, 28, v24
	v_lshlrev_b64 v[18:19], v18, v[14:15]
	v_and_b32_e32 v18, 7, v18
	v_cmp_gt_u32_e64 s[10:11], 8, v15
	v_lshrrev_b32_e32 v23, 3, v15
	v_sub_u32_e32 v14, 29, v24
	v_cndmask_b32_e64 v15, v22, v18, s[10:11]
	v_mov_b32_e32 v18, 24
	v_cndmask_b32_e64 v14, v23, v14, s[10:11]
	v_lshlrev_b32_sdwa v18, v18, v16 dst_sel:DWORD dst_unused:UNUSED_PAD src0_sel:DWORD src1_sel:WORD_1
	v_bfrev_b32_e32 v19, 60
	v_lshlrev_b32_e32 v15, 20, v15
	v_and_b32_e32 v18, 0x80000000, v18
	v_lshl_add_u32 v14, v14, 23, v19
	v_or3_b32 v19, v18, v14, v15
.LBB508_560:
	s_or_b64 exec, exec, s[26:27]
.LBB508_561:
	s_or_b64 exec, exec, s[24:25]
.LBB508_562:
	s_or_b64 exec, exec, s[12:13]
	s_mov_b32 s10, 0xffffff
	v_cmp_lt_u32_e64 s[10:11], s10, v16
	v_mov_b32_e32 v15, 0
	v_mov_b32_e32 v22, 0
	s_and_saveexec_b64 s[12:13], s[10:11]
	s_cbranch_execz .LBB508_568
; %bb.563:
	v_lshrrev_b32_e32 v14, 24, v16
	s_movk_i32 s10, 0x80
	v_cmp_ne_u32_e64 s[10:11], s10, v14
	v_bfrev_b32_e32 v22, 1
	s_and_saveexec_b64 s[24:25], s[10:11]
	s_cbranch_execz .LBB508_567
; %bb.564:
	v_bfe_u32 v18, v16, 24, 7
	s_movk_i32 s10, 0x7f
	v_cmp_ne_u32_e64 s[10:11], s10, v18
	v_mov_b32_e32 v22, 0x7f800001
	s_and_saveexec_b64 s[26:27], s[10:11]
	s_cbranch_execz .LBB508_566
; %bb.565:
	v_and_b32_e32 v24, 7, v14
	v_ffbh_u32_e32 v22, v24
	v_min_u32_e32 v26, 32, v22
	v_subrev_u32_e32 v22, 28, v26
	v_lshlrev_b64 v[22:23], v22, v[14:15]
	v_lshrrev_b32_e32 v25, 3, v18
	v_sub_u32_e32 v23, 29, v26
	v_and_b32_e32 v22, 7, v22
	v_cmp_gt_u32_e64 s[10:11], 8, v18
	v_cndmask_b32_e64 v18, v25, v23, s[10:11]
	v_cndmask_b32_e64 v22, v24, v22, s[10:11]
	v_lshlrev_b32_e32 v14, 24, v14
	v_bfrev_b32_e32 v23, 60
	v_lshlrev_b32_e32 v22, 20, v22
	v_and_b32_e32 v14, 0x80000000, v14
	v_lshl_add_u32 v18, v18, 23, v23
	v_or3_b32 v22, v14, v18, v22
.LBB508_566:
	s_or_b64 exec, exec, s[26:27]
.LBB508_567:
	s_or_b64 exec, exec, s[24:25]
.LBB508_568:
	s_or_b64 exec, exec, s[12:13]
	v_mov_b32_e32 v14, v17
	v_cmp_ne_u16_sdwa s[10:11], v17, v15 src0_sel:BYTE_0 src1_sel:DWORD
	s_and_saveexec_b64 s[12:13], s[10:11]
	s_cbranch_execz .LBB508_574
; %bb.569:
	s_movk_i32 s10, 0x80
	v_cmp_ne_u16_sdwa s[10:11], v17, s10 src0_sel:BYTE_0 src1_sel:DWORD
	v_bfrev_b32_e32 v18, 1
	s_and_saveexec_b64 s[24:25], s[10:11]
	s_cbranch_execz .LBB508_573
; %bb.570:
	s_movk_i32 s10, 0x7f
	v_and_b32_e32 v23, 0x7f, v17
	v_cmp_ne_u32_e64 s[10:11], s10, v23
	v_mov_b32_e32 v18, 0x7f800001
	s_and_saveexec_b64 s[26:27], s[10:11]
	s_cbranch_execz .LBB508_572
; %bb.571:
	v_and_b32_e32 v18, 7, v17
	v_ffbh_u32_e32 v18, v18
	v_min_u32_e32 v18, 32, v18
	v_subrev_u32_e32 v25, 28, v18
	v_cmp_gt_u32_e64 s[10:11], 8, v23
	v_lshrrev_b32_e32 v24, 3, v23
	v_sub_u32_e32 v18, 29, v18
	v_cndmask_b32_e64 v23, 0, v25, s[10:11]
	v_cndmask_b32_e64 v18, v24, v18, s[10:11]
	v_lshlrev_b64 v[24:25], v23, v[14:15]
	v_lshlrev_b32_e32 v15, 20, v24
	v_lshlrev_b32_e32 v23, 24, v14
	v_bfrev_b32_e32 v24, 60
	v_and_b32_e32 v15, 0x700000, v15
	v_and_b32_e32 v23, 0x80000000, v23
	v_lshl_add_u32 v18, v18, 23, v24
	v_or3_b32 v18, v23, v18, v15
.LBB508_572:
	s_or_b64 exec, exec, s[26:27]
.LBB508_573:
	s_or_b64 exec, exec, s[24:25]
	v_mov_b32_e32 v15, v18
.LBB508_574:
	s_or_b64 exec, exec, s[12:13]
	v_lshrrev_b16_e32 v18, 8, v14
	v_cmp_ne_u16_e64 s[10:11], 0, v18
	v_mov_b32_e32 v23, 0
	v_mov_b32_e32 v24, 0
	s_and_saveexec_b64 s[12:13], s[10:11]
	s_cbranch_execz .LBB508_580
; %bb.575:
	s_movk_i32 s10, 0x80
	v_cmp_ne_u16_e64 s[10:11], s10, v18
	v_bfrev_b32_e32 v24, 1
	s_and_saveexec_b64 s[24:25], s[10:11]
	s_cbranch_execz .LBB508_579
; %bb.576:
	s_movk_i32 s10, 0x7f
	v_and_b32_e32 v25, 0x7f, v18
	v_cmp_ne_u32_e64 s[10:11], s10, v25
	v_mov_b32_e32 v24, 0x7f800001
	s_and_saveexec_b64 s[26:27], s[10:11]
	s_cbranch_execz .LBB508_578
; %bb.577:
	v_and_b32_e32 v24, 7, v18
	v_ffbh_u32_e32 v26, v24
	v_min_u32_e32 v29, 32, v26
	v_subrev_u32_e32 v26, 28, v29
	v_lshlrev_b64 v[26:27], v26, v[18:19]
	v_lshrrev_b32_e32 v28, 3, v25
	v_sub_u32_e32 v18, 29, v29
	v_and_b32_e32 v26, 7, v26
	v_cmp_gt_u32_e64 s[10:11], 8, v25
	v_cndmask_b32_e64 v18, v28, v18, s[10:11]
	v_cndmask_b32_e64 v24, v24, v26, s[10:11]
	v_lshlrev_b32_e32 v14, 16, v14
	v_bfrev_b32_e32 v25, 60
	v_lshlrev_b32_e32 v24, 20, v24
	v_and_b32_e32 v14, 0x80000000, v14
	v_lshl_add_u32 v18, v18, 23, v25
	v_or3_b32 v24, v14, v18, v24
.LBB508_578:
	s_or_b64 exec, exec, s[26:27]
.LBB508_579:
	s_or_b64 exec, exec, s[24:25]
.LBB508_580:
	s_or_b64 exec, exec, s[12:13]
	s_movk_i32 s10, 0xff
	v_and_b32_sdwa v18, v17, s10 dst_sel:DWORD dst_unused:UNUSED_PAD src0_sel:WORD_1 src1_sel:DWORD
	v_lshrrev_b32_e32 v14, 16, v17
	v_cmp_ne_u16_e64 s[10:11], 0, v18
	s_and_saveexec_b64 s[12:13], s[10:11]
	s_cbranch_execz .LBB508_586
; %bb.581:
	s_movk_i32 s10, 0x80
	v_cmp_ne_u16_e64 s[10:11], s10, v18
	v_bfrev_b32_e32 v23, 1
	s_and_saveexec_b64 s[24:25], s[10:11]
	s_cbranch_execz .LBB508_585
; %bb.582:
	v_bfe_u32 v18, v17, 16, 7
	s_movk_i32 s10, 0x7f
	v_cmp_ne_u32_e64 s[10:11], s10, v18
	v_mov_b32_e32 v23, 0x7f800001
	s_and_saveexec_b64 s[26:27], s[10:11]
	s_cbranch_execz .LBB508_584
; %bb.583:
	v_and_b32_e32 v23, 7, v14
	v_ffbh_u32_e32 v26, v23
	v_min_u32_e32 v28, 32, v26
	v_subrev_u32_e32 v26, 28, v28
	v_lshlrev_b64 v[26:27], v26, v[14:15]
	v_and_b32_e32 v26, 7, v26
	v_cmp_gt_u32_e64 s[10:11], 8, v18
	v_lshrrev_b32_e32 v25, 3, v18
	v_sub_u32_e32 v14, 29, v28
	v_cndmask_b32_e64 v18, v23, v26, s[10:11]
	v_mov_b32_e32 v23, 24
	v_cndmask_b32_e64 v14, v25, v14, s[10:11]
	v_lshlrev_b32_sdwa v23, v23, v17 dst_sel:DWORD dst_unused:UNUSED_PAD src0_sel:DWORD src1_sel:WORD_1
	v_bfrev_b32_e32 v25, 60
	v_lshlrev_b32_e32 v18, 20, v18
	v_and_b32_e32 v23, 0x80000000, v23
	v_lshl_add_u32 v14, v14, 23, v25
	v_or3_b32 v23, v23, v14, v18
.LBB508_584:
	s_or_b64 exec, exec, s[26:27]
.LBB508_585:
	s_or_b64 exec, exec, s[24:25]
.LBB508_586:
	s_or_b64 exec, exec, s[12:13]
	s_mov_b32 s10, -1
	s_mov_b32 s11, 0xffffff
	v_cmp_lt_u64_e64 s[10:11], s[10:11], v[16:17]
	v_mov_b32_e32 v18, 0
	v_mov_b32_e32 v16, 0
	s_and_saveexec_b64 s[12:13], s[10:11]
	s_cbranch_execz .LBB508_592
; %bb.587:
	v_lshrrev_b32_e32 v14, 24, v17
	s_movk_i32 s10, 0x80
	v_cmp_ne_u32_e64 s[10:11], s10, v14
	v_bfrev_b32_e32 v16, 1
	s_and_saveexec_b64 s[24:25], s[10:11]
	s_cbranch_execz .LBB508_591
; %bb.588:
	v_bfe_u32 v17, v17, 24, 7
	s_movk_i32 s10, 0x7f
	v_cmp_ne_u32_e64 s[10:11], s10, v17
	v_mov_b32_e32 v16, 0x7f800001
	s_and_saveexec_b64 s[26:27], s[10:11]
	s_cbranch_execz .LBB508_590
; %bb.589:
	v_and_b32_e32 v16, 7, v14
	v_ffbh_u32_e32 v26, v16
	v_min_u32_e32 v28, 32, v26
	v_subrev_u32_e32 v26, 28, v28
	v_lshlrev_b64 v[26:27], v26, v[14:15]
	v_lshrrev_b32_e32 v25, 3, v17
	v_sub_u32_e32 v27, 29, v28
	v_and_b32_e32 v26, 7, v26
	v_cmp_gt_u32_e64 s[10:11], 8, v17
	v_cndmask_b32_e64 v17, v25, v27, s[10:11]
	v_cndmask_b32_e64 v16, v16, v26, s[10:11]
	v_lshlrev_b32_e32 v14, 24, v14
	v_bfrev_b32_e32 v25, 60
	v_lshlrev_b32_e32 v16, 20, v16
	v_and_b32_e32 v14, 0x80000000, v14
	v_lshl_add_u32 v17, v17, 23, v25
	v_or3_b32 v16, v14, v17, v16
.LBB508_590:
	s_or_b64 exec, exec, s[26:27]
.LBB508_591:
	s_or_b64 exec, exec, s[24:25]
.LBB508_592:
	s_or_b64 exec, exec, s[12:13]
	v_cvt_pkrtz_f16_f32 v20, v20, v21
	v_cvt_pkrtz_f16_f32 v21, v19, v22
	v_cvt_pkrtz_f16_f32 v14, v15, v24
	v_cvt_pkrtz_f16_f32 v15, v23, v16
	v_mfma_f32_4x4x4f16 a[0:3], v[2:3], v[20:21], a[0:3] cbsz:4 abid:11
	v_cmp_ne_u16_sdwa s[10:11], v10, v18 src0_sel:BYTE_0 src1_sel:DWORD
	v_mfma_f32_4x4x4f16 a[0:3], v[4:5], v[14:15], a[0:3] cbsz:4 abid:11
	s_and_saveexec_b64 s[12:13], s[10:11]
	s_cbranch_execz .LBB508_598
; %bb.593:
	s_movk_i32 s10, 0x80
	v_cmp_ne_u16_sdwa s[10:11], v10, s10 src0_sel:BYTE_0 src1_sel:DWORD
	v_bfrev_b32_e32 v18, 1
	s_and_saveexec_b64 s[24:25], s[10:11]
	s_cbranch_execz .LBB508_597
; %bb.594:
	s_movk_i32 s10, 0x7f
	v_and_b32_e32 v14, 0x7f, v10
	v_cmp_ne_u32_e64 s[10:11], s10, v14
	v_mov_b32_e32 v18, 0x7f800001
	s_and_saveexec_b64 s[26:27], s[10:11]
	s_cbranch_execz .LBB508_596
; %bb.595:
	v_and_b32_e32 v15, 7, v10
	v_ffbh_u32_e32 v15, v15
	v_min_u32_e32 v15, 32, v15
	v_subrev_u32_e32 v17, 28, v15
	v_cmp_gt_u32_e64 s[10:11], 8, v14
	v_lshrrev_b32_e32 v16, 3, v14
	v_sub_u32_e32 v15, 29, v15
	v_cndmask_b32_e64 v14, 0, v17, s[10:11]
	v_cndmask_b32_e64 v16, v16, v15, s[10:11]
	v_lshlrev_b64 v[14:15], v14, v[10:11]
	v_lshlrev_b32_e32 v14, 20, v14
	v_lshlrev_b32_e32 v15, 24, v10
	v_bfrev_b32_e32 v17, 60
	v_and_b32_e32 v14, 0x700000, v14
	v_and_b32_e32 v15, 0x80000000, v15
	v_lshl_add_u32 v16, v16, 23, v17
	v_or3_b32 v18, v15, v16, v14
.LBB508_596:
	s_or_b64 exec, exec, s[26:27]
.LBB508_597:
	s_or_b64 exec, exec, s[24:25]
.LBB508_598:
	s_or_b64 exec, exec, s[12:13]
	v_lshrrev_b16_e32 v14, 8, v10
	v_cmp_ne_u16_e64 s[10:11], 0, v14
	v_mov_b32_e32 v17, 0
	v_mov_b32_e32 v19, 0
	s_and_saveexec_b64 s[12:13], s[10:11]
	s_cbranch_execz .LBB508_604
; %bb.599:
	s_movk_i32 s10, 0x80
	v_cmp_ne_u16_e64 s[10:11], s10, v14
	v_bfrev_b32_e32 v19, 1
	s_and_saveexec_b64 s[24:25], s[10:11]
	s_cbranch_execz .LBB508_603
; %bb.600:
	s_movk_i32 s10, 0x7f
	v_and_b32_e32 v15, 0x7f, v14
	v_cmp_ne_u32_e64 s[10:11], s10, v15
	v_mov_b32_e32 v19, 0x7f800001
	s_and_saveexec_b64 s[26:27], s[10:11]
	s_cbranch_execz .LBB508_602
; %bb.601:
	v_and_b32_e32 v16, 7, v14
	v_ffbh_u32_e32 v20, v16
	v_min_u32_e32 v22, 32, v20
	v_subrev_u32_e32 v20, 28, v22
	v_lshlrev_b64 v[20:21], v20, v[14:15]
	v_lshrrev_b32_e32 v19, 3, v15
	v_sub_u32_e32 v14, 29, v22
	v_and_b32_e32 v20, 7, v20
	v_cmp_gt_u32_e64 s[10:11], 8, v15
	v_cndmask_b32_e64 v14, v19, v14, s[10:11]
	v_cndmask_b32_e64 v15, v16, v20, s[10:11]
	v_lshlrev_b32_e32 v16, 16, v10
	v_bfrev_b32_e32 v19, 60
	v_lshlrev_b32_e32 v15, 20, v15
	v_and_b32_e32 v16, 0x80000000, v16
	v_lshl_add_u32 v14, v14, 23, v19
	v_or3_b32 v19, v16, v14, v15
.LBB508_602:
	s_or_b64 exec, exec, s[26:27]
.LBB508_603:
	s_or_b64 exec, exec, s[24:25]
.LBB508_604:
	s_or_b64 exec, exec, s[12:13]
	s_movk_i32 s10, 0xff
	v_and_b32_sdwa v15, v10, s10 dst_sel:DWORD dst_unused:UNUSED_PAD src0_sel:WORD_1 src1_sel:DWORD
	v_lshrrev_b32_e32 v14, 16, v10
	v_cmp_ne_u16_e64 s[10:11], 0, v15
	s_and_saveexec_b64 s[12:13], s[10:11]
	s_cbranch_execz .LBB508_610
; %bb.605:
	s_movk_i32 s10, 0x80
	v_cmp_ne_u16_e64 s[10:11], s10, v15
	v_bfrev_b32_e32 v17, 1
	s_and_saveexec_b64 s[24:25], s[10:11]
	s_cbranch_execz .LBB508_609
; %bb.606:
	v_bfe_u32 v15, v10, 16, 7
	s_movk_i32 s10, 0x7f
	v_cmp_ne_u32_e64 s[10:11], s10, v15
	v_mov_b32_e32 v17, 0x7f800001
	s_and_saveexec_b64 s[26:27], s[10:11]
	s_cbranch_execz .LBB508_608
; %bb.607:
	v_and_b32_e32 v20, 7, v14
	v_ffbh_u32_e32 v16, v20
	v_min_u32_e32 v22, 32, v16
	v_subrev_u32_e32 v16, 28, v22
	v_lshlrev_b64 v[16:17], v16, v[14:15]
	v_and_b32_e32 v16, 7, v16
	v_cmp_gt_u32_e64 s[10:11], 8, v15
	v_lshrrev_b32_e32 v21, 3, v15
	v_sub_u32_e32 v14, 29, v22
	v_cndmask_b32_e64 v15, v20, v16, s[10:11]
	v_mov_b32_e32 v16, 24
	v_cndmask_b32_e64 v14, v21, v14, s[10:11]
	v_lshlrev_b32_sdwa v16, v16, v10 dst_sel:DWORD dst_unused:UNUSED_PAD src0_sel:DWORD src1_sel:WORD_1
	v_bfrev_b32_e32 v17, 60
	v_lshlrev_b32_e32 v15, 20, v15
	v_and_b32_e32 v16, 0x80000000, v16
	v_lshl_add_u32 v14, v14, 23, v17
	v_or3_b32 v17, v16, v14, v15
.LBB508_608:
	s_or_b64 exec, exec, s[26:27]
.LBB508_609:
	s_or_b64 exec, exec, s[24:25]
.LBB508_610:
	s_or_b64 exec, exec, s[12:13]
	s_mov_b32 s10, 0xffffff
	v_cmp_lt_u32_e64 s[10:11], s10, v10
	v_mov_b32_e32 v15, 0
	v_mov_b32_e32 v20, 0
	s_and_saveexec_b64 s[12:13], s[10:11]
	s_cbranch_execz .LBB508_616
; %bb.611:
	v_lshrrev_b32_e32 v14, 24, v10
	s_movk_i32 s10, 0x80
	v_cmp_ne_u32_e64 s[10:11], s10, v14
	v_bfrev_b32_e32 v20, 1
	s_and_saveexec_b64 s[24:25], s[10:11]
	s_cbranch_execz .LBB508_615
; %bb.612:
	v_bfe_u32 v16, v10, 24, 7
	s_movk_i32 s10, 0x7f
	v_cmp_ne_u32_e64 s[10:11], s10, v16
	v_mov_b32_e32 v20, 0x7f800001
	s_and_saveexec_b64 s[26:27], s[10:11]
	s_cbranch_execz .LBB508_614
; %bb.613:
	v_and_b32_e32 v22, 7, v14
	v_ffbh_u32_e32 v20, v22
	v_min_u32_e32 v24, 32, v20
	v_subrev_u32_e32 v20, 28, v24
	v_lshlrev_b64 v[20:21], v20, v[14:15]
	v_lshrrev_b32_e32 v23, 3, v16
	v_sub_u32_e32 v21, 29, v24
	v_and_b32_e32 v20, 7, v20
	v_cmp_gt_u32_e64 s[10:11], 8, v16
	v_cndmask_b32_e64 v16, v23, v21, s[10:11]
	v_cndmask_b32_e64 v20, v22, v20, s[10:11]
	v_lshlrev_b32_e32 v14, 24, v14
	v_bfrev_b32_e32 v21, 60
	v_lshlrev_b32_e32 v20, 20, v20
	v_and_b32_e32 v14, 0x80000000, v14
	v_lshl_add_u32 v16, v16, 23, v21
	v_or3_b32 v20, v14, v16, v20
.LBB508_614:
	s_or_b64 exec, exec, s[26:27]
.LBB508_615:
	s_or_b64 exec, exec, s[24:25]
.LBB508_616:
	s_or_b64 exec, exec, s[12:13]
	v_mov_b32_e32 v14, v11
	v_cmp_ne_u16_sdwa s[10:11], v11, v15 src0_sel:BYTE_0 src1_sel:DWORD
	s_and_saveexec_b64 s[12:13], s[10:11]
	s_cbranch_execz .LBB508_622
; %bb.617:
	s_movk_i32 s10, 0x80
	v_cmp_ne_u16_sdwa s[10:11], v11, s10 src0_sel:BYTE_0 src1_sel:DWORD
	v_bfrev_b32_e32 v16, 1
	s_and_saveexec_b64 s[24:25], s[10:11]
	s_cbranch_execz .LBB508_621
; %bb.618:
	s_movk_i32 s10, 0x7f
	v_and_b32_e32 v21, 0x7f, v11
	v_cmp_ne_u32_e64 s[10:11], s10, v21
	v_mov_b32_e32 v16, 0x7f800001
	s_and_saveexec_b64 s[26:27], s[10:11]
	s_cbranch_execz .LBB508_620
; %bb.619:
	v_and_b32_e32 v16, 7, v11
	v_ffbh_u32_e32 v16, v16
	v_min_u32_e32 v16, 32, v16
	v_subrev_u32_e32 v23, 28, v16
	v_cmp_gt_u32_e64 s[10:11], 8, v21
	v_lshrrev_b32_e32 v22, 3, v21
	v_sub_u32_e32 v16, 29, v16
	v_cndmask_b32_e64 v21, 0, v23, s[10:11]
	v_cndmask_b32_e64 v16, v22, v16, s[10:11]
	v_lshlrev_b64 v[22:23], v21, v[14:15]
	v_lshlrev_b32_e32 v15, 20, v22
	v_lshlrev_b32_e32 v21, 24, v14
	v_bfrev_b32_e32 v22, 60
	v_and_b32_e32 v15, 0x700000, v15
	v_and_b32_e32 v21, 0x80000000, v21
	v_lshl_add_u32 v16, v16, 23, v22
	v_or3_b32 v16, v21, v16, v15
.LBB508_620:
	s_or_b64 exec, exec, s[26:27]
.LBB508_621:
	s_or_b64 exec, exec, s[24:25]
	v_mov_b32_e32 v15, v16
.LBB508_622:
	s_or_b64 exec, exec, s[12:13]
	v_lshrrev_b16_e32 v16, 8, v14
	v_cmp_ne_u16_e64 s[10:11], 0, v16
	v_mov_b32_e32 v21, 0
	v_mov_b32_e32 v22, 0
	s_and_saveexec_b64 s[12:13], s[10:11]
	s_cbranch_execz .LBB508_628
; %bb.623:
	s_movk_i32 s10, 0x80
	v_cmp_ne_u16_e64 s[10:11], s10, v16
	v_bfrev_b32_e32 v22, 1
	s_and_saveexec_b64 s[24:25], s[10:11]
	s_cbranch_execz .LBB508_627
; %bb.624:
	s_movk_i32 s10, 0x7f
	v_and_b32_e32 v23, 0x7f, v16
	v_cmp_ne_u32_e64 s[10:11], s10, v23
	v_mov_b32_e32 v22, 0x7f800001
	s_and_saveexec_b64 s[26:27], s[10:11]
	s_cbranch_execz .LBB508_626
; %bb.625:
	v_and_b32_e32 v22, 7, v16
	v_ffbh_u32_e32 v24, v22
	v_min_u32_e32 v27, 32, v24
	v_subrev_u32_e32 v24, 28, v27
	v_lshlrev_b64 v[24:25], v24, v[16:17]
	v_lshrrev_b32_e32 v26, 3, v23
	v_sub_u32_e32 v16, 29, v27
	v_and_b32_e32 v24, 7, v24
	v_cmp_gt_u32_e64 s[10:11], 8, v23
	v_cndmask_b32_e64 v16, v26, v16, s[10:11]
	v_cndmask_b32_e64 v22, v22, v24, s[10:11]
	v_lshlrev_b32_e32 v14, 16, v14
	v_bfrev_b32_e32 v23, 60
	v_lshlrev_b32_e32 v22, 20, v22
	v_and_b32_e32 v14, 0x80000000, v14
	v_lshl_add_u32 v16, v16, 23, v23
	v_or3_b32 v22, v14, v16, v22
.LBB508_626:
	s_or_b64 exec, exec, s[26:27]
.LBB508_627:
	s_or_b64 exec, exec, s[24:25]
.LBB508_628:
	s_or_b64 exec, exec, s[12:13]
	s_movk_i32 s10, 0xff
	v_and_b32_sdwa v16, v11, s10 dst_sel:DWORD dst_unused:UNUSED_PAD src0_sel:WORD_1 src1_sel:DWORD
	v_lshrrev_b32_e32 v14, 16, v11
	v_cmp_ne_u16_e64 s[10:11], 0, v16
	s_and_saveexec_b64 s[12:13], s[10:11]
	s_cbranch_execz .LBB508_634
; %bb.629:
	s_movk_i32 s10, 0x80
	v_cmp_ne_u16_e64 s[10:11], s10, v16
	v_bfrev_b32_e32 v21, 1
	s_and_saveexec_b64 s[24:25], s[10:11]
	s_cbranch_execz .LBB508_633
; %bb.630:
	v_bfe_u32 v16, v11, 16, 7
	s_movk_i32 s10, 0x7f
	v_cmp_ne_u32_e64 s[10:11], s10, v16
	v_mov_b32_e32 v21, 0x7f800001
	s_and_saveexec_b64 s[26:27], s[10:11]
	s_cbranch_execz .LBB508_632
; %bb.631:
	v_and_b32_e32 v21, 7, v14
	v_ffbh_u32_e32 v24, v21
	v_min_u32_e32 v26, 32, v24
	v_subrev_u32_e32 v24, 28, v26
	v_lshlrev_b64 v[24:25], v24, v[14:15]
	v_and_b32_e32 v24, 7, v24
	v_cmp_gt_u32_e64 s[10:11], 8, v16
	v_lshrrev_b32_e32 v23, 3, v16
	v_sub_u32_e32 v14, 29, v26
	v_cndmask_b32_e64 v16, v21, v24, s[10:11]
	v_mov_b32_e32 v21, 24
	v_cndmask_b32_e64 v14, v23, v14, s[10:11]
	v_lshlrev_b32_sdwa v21, v21, v11 dst_sel:DWORD dst_unused:UNUSED_PAD src0_sel:DWORD src1_sel:WORD_1
	v_bfrev_b32_e32 v23, 60
	v_lshlrev_b32_e32 v16, 20, v16
	v_and_b32_e32 v21, 0x80000000, v21
	v_lshl_add_u32 v14, v14, 23, v23
	v_or3_b32 v21, v21, v14, v16
.LBB508_632:
	s_or_b64 exec, exec, s[26:27]
.LBB508_633:
	s_or_b64 exec, exec, s[24:25]
.LBB508_634:
	s_or_b64 exec, exec, s[12:13]
	s_mov_b32 s10, -1
	s_mov_b32 s11, 0xffffff
	v_cmp_lt_u64_e64 s[10:11], s[10:11], v[10:11]
	v_mov_b32_e32 v16, 0
	v_mov_b32_e32 v14, 0
	s_and_saveexec_b64 s[12:13], s[10:11]
	s_cbranch_execz .LBB508_640
; %bb.635:
	v_lshrrev_b32_e32 v10, 24, v11
	s_movk_i32 s10, 0x80
	v_cmp_ne_u32_e64 s[10:11], s10, v10
	v_bfrev_b32_e32 v14, 1
	s_and_saveexec_b64 s[24:25], s[10:11]
	s_cbranch_execz .LBB508_639
; %bb.636:
	v_bfe_u32 v11, v11, 24, 7
	s_movk_i32 s10, 0x7f
	v_cmp_ne_u32_e64 s[10:11], s10, v11
	v_mov_b32_e32 v14, 0x7f800001
	s_and_saveexec_b64 s[26:27], s[10:11]
	s_cbranch_execz .LBB508_638
; %bb.637:
	v_and_b32_e32 v14, 7, v10
	v_ffbh_u32_e32 v24, v14
	v_min_u32_e32 v26, 32, v24
	v_subrev_u32_e32 v24, 28, v26
	v_lshlrev_b64 v[24:25], v24, v[10:11]
	v_lshrrev_b32_e32 v23, 3, v11
	v_sub_u32_e32 v25, 29, v26
	v_and_b32_e32 v24, 7, v24
	v_cmp_gt_u32_e64 s[10:11], 8, v11
	v_cndmask_b32_e64 v11, v23, v25, s[10:11]
	v_cndmask_b32_e64 v14, v14, v24, s[10:11]
	v_lshlrev_b32_e32 v10, 24, v10
	v_bfrev_b32_e32 v23, 60
	v_lshlrev_b32_e32 v14, 20, v14
	v_and_b32_e32 v10, 0x80000000, v10
	v_lshl_add_u32 v11, v11, 23, v23
	v_or3_b32 v14, v10, v11, v14
.LBB508_638:
	s_or_b64 exec, exec, s[26:27]
.LBB508_639:
	s_or_b64 exec, exec, s[24:25]
.LBB508_640:
	s_or_b64 exec, exec, s[12:13]
	v_cvt_pkrtz_f16_f32 v10, v18, v19
	v_cvt_pkrtz_f16_f32 v11, v17, v20
	;; [unrolled: 1-line block ×4, first 2 shown]
	v_mfma_f32_4x4x4f16 a[0:3], v[2:3], v[10:11], a[0:3] cbsz:4 abid:12
	v_cmp_ne_u16_sdwa s[10:11], v12, v16 src0_sel:BYTE_0 src1_sel:DWORD
	v_mfma_f32_4x4x4f16 a[0:3], v[4:5], v[18:19], a[0:3] cbsz:4 abid:12
	s_and_saveexec_b64 s[12:13], s[10:11]
	s_cbranch_execz .LBB508_646
; %bb.641:
	s_movk_i32 s10, 0x80
	v_cmp_ne_u16_sdwa s[10:11], v12, s10 src0_sel:BYTE_0 src1_sel:DWORD
	v_bfrev_b32_e32 v16, 1
	s_and_saveexec_b64 s[24:25], s[10:11]
	s_cbranch_execz .LBB508_645
; %bb.642:
	s_movk_i32 s10, 0x7f
	v_and_b32_e32 v10, 0x7f, v12
	v_cmp_ne_u32_e64 s[10:11], s10, v10
	v_mov_b32_e32 v16, 0x7f800001
	s_and_saveexec_b64 s[26:27], s[10:11]
	s_cbranch_execz .LBB508_644
; %bb.643:
	v_and_b32_e32 v11, 7, v12
	v_ffbh_u32_e32 v11, v11
	v_min_u32_e32 v11, 32, v11
	v_subrev_u32_e32 v15, 28, v11
	v_cmp_gt_u32_e64 s[10:11], 8, v10
	v_lshrrev_b32_e32 v14, 3, v10
	v_sub_u32_e32 v11, 29, v11
	v_cndmask_b32_e64 v10, 0, v15, s[10:11]
	v_cndmask_b32_e64 v14, v14, v11, s[10:11]
	v_lshlrev_b64 v[10:11], v10, v[12:13]
	v_lshlrev_b32_e32 v10, 20, v10
	v_lshlrev_b32_e32 v11, 24, v12
	v_bfrev_b32_e32 v15, 60
	v_and_b32_e32 v10, 0x700000, v10
	v_and_b32_e32 v11, 0x80000000, v11
	v_lshl_add_u32 v14, v14, 23, v15
	v_or3_b32 v16, v11, v14, v10
.LBB508_644:
	s_or_b64 exec, exec, s[26:27]
.LBB508_645:
	s_or_b64 exec, exec, s[24:25]
.LBB508_646:
	s_or_b64 exec, exec, s[12:13]
	v_lshrrev_b16_e32 v10, 8, v12
	v_cmp_ne_u16_e64 s[10:11], 0, v10
	v_mov_b32_e32 v15, 0
	v_mov_b32_e32 v17, 0
	s_and_saveexec_b64 s[12:13], s[10:11]
	s_cbranch_execz .LBB508_652
; %bb.647:
	s_movk_i32 s10, 0x80
	v_cmp_ne_u16_e64 s[10:11], s10, v10
	v_bfrev_b32_e32 v17, 1
	s_and_saveexec_b64 s[24:25], s[10:11]
	s_cbranch_execz .LBB508_651
; %bb.648:
	s_movk_i32 s10, 0x7f
	v_and_b32_e32 v11, 0x7f, v10
	v_cmp_ne_u32_e64 s[10:11], s10, v11
	v_mov_b32_e32 v17, 0x7f800001
	s_and_saveexec_b64 s[26:27], s[10:11]
	s_cbranch_execz .LBB508_650
; %bb.649:
	v_and_b32_e32 v14, 7, v10
	v_ffbh_u32_e32 v18, v14
	v_min_u32_e32 v20, 32, v18
	v_subrev_u32_e32 v18, 28, v20
	v_lshlrev_b64 v[18:19], v18, v[10:11]
	v_lshrrev_b32_e32 v17, 3, v11
	v_sub_u32_e32 v10, 29, v20
	v_and_b32_e32 v18, 7, v18
	v_cmp_gt_u32_e64 s[10:11], 8, v11
	v_cndmask_b32_e64 v10, v17, v10, s[10:11]
	v_cndmask_b32_e64 v11, v14, v18, s[10:11]
	v_lshlrev_b32_e32 v14, 16, v12
	v_bfrev_b32_e32 v17, 60
	v_lshlrev_b32_e32 v11, 20, v11
	v_and_b32_e32 v14, 0x80000000, v14
	v_lshl_add_u32 v10, v10, 23, v17
	v_or3_b32 v17, v14, v10, v11
.LBB508_650:
	s_or_b64 exec, exec, s[26:27]
.LBB508_651:
	s_or_b64 exec, exec, s[24:25]
.LBB508_652:
	s_or_b64 exec, exec, s[12:13]
	s_movk_i32 s10, 0xff
	v_and_b32_sdwa v11, v12, s10 dst_sel:DWORD dst_unused:UNUSED_PAD src0_sel:WORD_1 src1_sel:DWORD
	v_lshrrev_b32_e32 v10, 16, v12
	v_cmp_ne_u16_e64 s[10:11], 0, v11
	s_and_saveexec_b64 s[12:13], s[10:11]
	s_cbranch_execz .LBB508_658
; %bb.653:
	s_movk_i32 s10, 0x80
	v_cmp_ne_u16_e64 s[10:11], s10, v11
	v_bfrev_b32_e32 v15, 1
	s_and_saveexec_b64 s[24:25], s[10:11]
	s_cbranch_execz .LBB508_657
; %bb.654:
	v_bfe_u32 v11, v12, 16, 7
	s_movk_i32 s10, 0x7f
	v_cmp_ne_u32_e64 s[10:11], s10, v11
	v_mov_b32_e32 v15, 0x7f800001
	s_and_saveexec_b64 s[26:27], s[10:11]
	s_cbranch_execz .LBB508_656
; %bb.655:
	v_and_b32_e32 v18, 7, v10
	v_ffbh_u32_e32 v14, v18
	v_min_u32_e32 v20, 32, v14
	v_subrev_u32_e32 v14, 28, v20
	v_lshlrev_b64 v[14:15], v14, v[10:11]
	v_and_b32_e32 v14, 7, v14
	v_cmp_gt_u32_e64 s[10:11], 8, v11
	v_lshrrev_b32_e32 v19, 3, v11
	v_sub_u32_e32 v10, 29, v20
	v_cndmask_b32_e64 v11, v18, v14, s[10:11]
	v_mov_b32_e32 v14, 24
	v_cndmask_b32_e64 v10, v19, v10, s[10:11]
	v_lshlrev_b32_sdwa v14, v14, v12 dst_sel:DWORD dst_unused:UNUSED_PAD src0_sel:DWORD src1_sel:WORD_1
	v_bfrev_b32_e32 v15, 60
	v_lshlrev_b32_e32 v11, 20, v11
	v_and_b32_e32 v14, 0x80000000, v14
	v_lshl_add_u32 v10, v10, 23, v15
	v_or3_b32 v15, v14, v10, v11
.LBB508_656:
	s_or_b64 exec, exec, s[26:27]
.LBB508_657:
	s_or_b64 exec, exec, s[24:25]
.LBB508_658:
	s_or_b64 exec, exec, s[12:13]
	s_mov_b32 s10, 0xffffff
	v_cmp_lt_u32_e64 s[10:11], s10, v12
	v_mov_b32_e32 v11, 0
	v_mov_b32_e32 v18, 0
	s_and_saveexec_b64 s[12:13], s[10:11]
	s_cbranch_execz .LBB508_664
; %bb.659:
	v_lshrrev_b32_e32 v10, 24, v12
	s_movk_i32 s10, 0x80
	v_cmp_ne_u32_e64 s[10:11], s10, v10
	v_bfrev_b32_e32 v18, 1
	s_and_saveexec_b64 s[24:25], s[10:11]
	s_cbranch_execz .LBB508_663
; %bb.660:
	v_bfe_u32 v14, v12, 24, 7
	s_movk_i32 s10, 0x7f
	v_cmp_ne_u32_e64 s[10:11], s10, v14
	v_mov_b32_e32 v18, 0x7f800001
	s_and_saveexec_b64 s[26:27], s[10:11]
	s_cbranch_execz .LBB508_662
; %bb.661:
	v_and_b32_e32 v20, 7, v10
	v_ffbh_u32_e32 v18, v20
	v_min_u32_e32 v22, 32, v18
	v_subrev_u32_e32 v18, 28, v22
	v_lshlrev_b64 v[18:19], v18, v[10:11]
	v_lshrrev_b32_e32 v21, 3, v14
	v_sub_u32_e32 v19, 29, v22
	v_and_b32_e32 v18, 7, v18
	v_cmp_gt_u32_e64 s[10:11], 8, v14
	v_cndmask_b32_e64 v14, v21, v19, s[10:11]
	v_cndmask_b32_e64 v18, v20, v18, s[10:11]
	v_lshlrev_b32_e32 v10, 24, v10
	v_bfrev_b32_e32 v19, 60
	v_lshlrev_b32_e32 v18, 20, v18
	v_and_b32_e32 v10, 0x80000000, v10
	v_lshl_add_u32 v14, v14, 23, v19
	v_or3_b32 v18, v10, v14, v18
.LBB508_662:
	s_or_b64 exec, exec, s[26:27]
.LBB508_663:
	s_or_b64 exec, exec, s[24:25]
.LBB508_664:
	s_or_b64 exec, exec, s[12:13]
	v_mov_b32_e32 v10, v13
	v_cmp_ne_u16_sdwa s[10:11], v13, v11 src0_sel:BYTE_0 src1_sel:DWORD
	s_and_saveexec_b64 s[12:13], s[10:11]
	s_cbranch_execz .LBB508_670
; %bb.665:
	s_movk_i32 s10, 0x80
	v_cmp_ne_u16_sdwa s[10:11], v13, s10 src0_sel:BYTE_0 src1_sel:DWORD
	v_bfrev_b32_e32 v14, 1
	s_and_saveexec_b64 s[24:25], s[10:11]
	s_cbranch_execz .LBB508_669
; %bb.666:
	s_movk_i32 s10, 0x7f
	v_and_b32_e32 v19, 0x7f, v13
	v_cmp_ne_u32_e64 s[10:11], s10, v19
	v_mov_b32_e32 v14, 0x7f800001
	s_and_saveexec_b64 s[26:27], s[10:11]
	s_cbranch_execz .LBB508_668
; %bb.667:
	v_and_b32_e32 v14, 7, v13
	v_ffbh_u32_e32 v14, v14
	v_min_u32_e32 v14, 32, v14
	v_subrev_u32_e32 v21, 28, v14
	v_cmp_gt_u32_e64 s[10:11], 8, v19
	v_lshrrev_b32_e32 v20, 3, v19
	v_sub_u32_e32 v14, 29, v14
	v_cndmask_b32_e64 v19, 0, v21, s[10:11]
	v_cndmask_b32_e64 v14, v20, v14, s[10:11]
	v_lshlrev_b64 v[20:21], v19, v[10:11]
	v_lshlrev_b32_e32 v11, 20, v20
	v_lshlrev_b32_e32 v19, 24, v10
	v_bfrev_b32_e32 v20, 60
	v_and_b32_e32 v11, 0x700000, v11
	v_and_b32_e32 v19, 0x80000000, v19
	v_lshl_add_u32 v14, v14, 23, v20
	v_or3_b32 v14, v19, v14, v11
.LBB508_668:
	s_or_b64 exec, exec, s[26:27]
.LBB508_669:
	s_or_b64 exec, exec, s[24:25]
	v_mov_b32_e32 v11, v14
.LBB508_670:
	s_or_b64 exec, exec, s[12:13]
	v_lshrrev_b16_e32 v14, 8, v10
	v_cmp_ne_u16_e64 s[10:11], 0, v14
	v_mov_b32_e32 v19, 0
	v_mov_b32_e32 v20, 0
	s_and_saveexec_b64 s[12:13], s[10:11]
	s_cbranch_execz .LBB508_676
; %bb.671:
	s_movk_i32 s10, 0x80
	v_cmp_ne_u16_e64 s[10:11], s10, v14
	v_bfrev_b32_e32 v20, 1
	s_and_saveexec_b64 s[24:25], s[10:11]
	s_cbranch_execz .LBB508_675
; %bb.672:
	s_movk_i32 s10, 0x7f
	v_and_b32_e32 v21, 0x7f, v14
	v_cmp_ne_u32_e64 s[10:11], s10, v21
	v_mov_b32_e32 v20, 0x7f800001
	s_and_saveexec_b64 s[26:27], s[10:11]
	s_cbranch_execz .LBB508_674
; %bb.673:
	v_and_b32_e32 v20, 7, v14
	v_ffbh_u32_e32 v22, v20
	v_min_u32_e32 v25, 32, v22
	v_subrev_u32_e32 v22, 28, v25
	v_lshlrev_b64 v[22:23], v22, v[14:15]
	v_lshrrev_b32_e32 v24, 3, v21
	v_sub_u32_e32 v14, 29, v25
	v_and_b32_e32 v22, 7, v22
	v_cmp_gt_u32_e64 s[10:11], 8, v21
	v_cndmask_b32_e64 v14, v24, v14, s[10:11]
	v_cndmask_b32_e64 v20, v20, v22, s[10:11]
	v_lshlrev_b32_e32 v10, 16, v10
	v_bfrev_b32_e32 v21, 60
	v_lshlrev_b32_e32 v20, 20, v20
	v_and_b32_e32 v10, 0x80000000, v10
	v_lshl_add_u32 v14, v14, 23, v21
	v_or3_b32 v20, v10, v14, v20
.LBB508_674:
	s_or_b64 exec, exec, s[26:27]
.LBB508_675:
	s_or_b64 exec, exec, s[24:25]
.LBB508_676:
	s_or_b64 exec, exec, s[12:13]
	s_movk_i32 s10, 0xff
	v_and_b32_sdwa v14, v13, s10 dst_sel:DWORD dst_unused:UNUSED_PAD src0_sel:WORD_1 src1_sel:DWORD
	v_lshrrev_b32_e32 v10, 16, v13
	v_cmp_ne_u16_e64 s[10:11], 0, v14
	s_and_saveexec_b64 s[12:13], s[10:11]
	s_cbranch_execz .LBB508_682
; %bb.677:
	s_movk_i32 s10, 0x80
	v_cmp_ne_u16_e64 s[10:11], s10, v14
	v_bfrev_b32_e32 v19, 1
	s_and_saveexec_b64 s[24:25], s[10:11]
	s_cbranch_execz .LBB508_681
; %bb.678:
	v_bfe_u32 v14, v13, 16, 7
	s_movk_i32 s10, 0x7f
	v_cmp_ne_u32_e64 s[10:11], s10, v14
	v_mov_b32_e32 v19, 0x7f800001
	s_and_saveexec_b64 s[26:27], s[10:11]
	s_cbranch_execz .LBB508_680
; %bb.679:
	v_and_b32_e32 v19, 7, v10
	v_ffbh_u32_e32 v22, v19
	v_min_u32_e32 v24, 32, v22
	v_subrev_u32_e32 v22, 28, v24
	v_lshlrev_b64 v[22:23], v22, v[10:11]
	v_and_b32_e32 v22, 7, v22
	v_cmp_gt_u32_e64 s[10:11], 8, v14
	v_lshrrev_b32_e32 v21, 3, v14
	v_sub_u32_e32 v10, 29, v24
	v_cndmask_b32_e64 v14, v19, v22, s[10:11]
	v_mov_b32_e32 v19, 24
	v_cndmask_b32_e64 v10, v21, v10, s[10:11]
	v_lshlrev_b32_sdwa v19, v19, v13 dst_sel:DWORD dst_unused:UNUSED_PAD src0_sel:DWORD src1_sel:WORD_1
	v_bfrev_b32_e32 v21, 60
	v_lshlrev_b32_e32 v14, 20, v14
	v_and_b32_e32 v19, 0x80000000, v19
	v_lshl_add_u32 v10, v10, 23, v21
	v_or3_b32 v19, v19, v10, v14
.LBB508_680:
	s_or_b64 exec, exec, s[26:27]
.LBB508_681:
	s_or_b64 exec, exec, s[24:25]
.LBB508_682:
	s_or_b64 exec, exec, s[12:13]
	s_mov_b32 s10, -1
	s_mov_b32 s11, 0xffffff
	v_cmp_lt_u64_e64 s[10:11], s[10:11], v[12:13]
	v_mov_b32_e32 v14, 0
	v_mov_b32_e32 v12, 0
	s_and_saveexec_b64 s[12:13], s[10:11]
	s_cbranch_execz .LBB508_688
; %bb.683:
	v_lshrrev_b32_e32 v10, 24, v13
	s_movk_i32 s10, 0x80
	v_cmp_ne_u32_e64 s[10:11], s10, v10
	v_bfrev_b32_e32 v12, 1
	s_and_saveexec_b64 s[24:25], s[10:11]
	s_cbranch_execz .LBB508_687
; %bb.684:
	v_bfe_u32 v13, v13, 24, 7
	s_movk_i32 s10, 0x7f
	v_cmp_ne_u32_e64 s[10:11], s10, v13
	v_mov_b32_e32 v12, 0x7f800001
	s_and_saveexec_b64 s[26:27], s[10:11]
	s_cbranch_execz .LBB508_686
; %bb.685:
	v_and_b32_e32 v12, 7, v10
	v_ffbh_u32_e32 v22, v12
	v_min_u32_e32 v24, 32, v22
	v_subrev_u32_e32 v22, 28, v24
	v_lshlrev_b64 v[22:23], v22, v[10:11]
	v_lshrrev_b32_e32 v21, 3, v13
	v_sub_u32_e32 v23, 29, v24
	v_and_b32_e32 v22, 7, v22
	v_cmp_gt_u32_e64 s[10:11], 8, v13
	v_cndmask_b32_e64 v13, v21, v23, s[10:11]
	v_cndmask_b32_e64 v12, v12, v22, s[10:11]
	v_lshlrev_b32_e32 v10, 24, v10
	v_bfrev_b32_e32 v21, 60
	v_lshlrev_b32_e32 v12, 20, v12
	v_and_b32_e32 v10, 0x80000000, v10
	v_lshl_add_u32 v13, v13, 23, v21
	v_or3_b32 v12, v10, v13, v12
.LBB508_686:
	s_or_b64 exec, exec, s[26:27]
.LBB508_687:
	s_or_b64 exec, exec, s[24:25]
.LBB508_688:
	s_or_b64 exec, exec, s[12:13]
	v_cvt_pkrtz_f16_f32 v16, v16, v17
	v_cvt_pkrtz_f16_f32 v17, v15, v18
	;; [unrolled: 1-line block ×4, first 2 shown]
	v_mfma_f32_4x4x4f16 a[0:3], v[2:3], v[16:17], a[0:3] cbsz:4 abid:13
	v_cmp_ne_u16_sdwa s[10:11], v6, v14 src0_sel:BYTE_0 src1_sel:DWORD
	v_mfma_f32_4x4x4f16 a[0:3], v[4:5], v[10:11], a[0:3] cbsz:4 abid:13
	s_and_saveexec_b64 s[12:13], s[10:11]
	s_cbranch_execz .LBB508_694
; %bb.689:
	s_movk_i32 s10, 0x80
	v_cmp_ne_u16_sdwa s[10:11], v6, s10 src0_sel:BYTE_0 src1_sel:DWORD
	v_bfrev_b32_e32 v14, 1
	s_and_saveexec_b64 s[24:25], s[10:11]
	s_cbranch_execz .LBB508_693
; %bb.690:
	s_movk_i32 s10, 0x7f
	v_and_b32_e32 v10, 0x7f, v6
	v_cmp_ne_u32_e64 s[10:11], s10, v10
	v_mov_b32_e32 v14, 0x7f800001
	s_and_saveexec_b64 s[26:27], s[10:11]
	s_cbranch_execz .LBB508_692
; %bb.691:
	v_and_b32_e32 v11, 7, v6
	v_ffbh_u32_e32 v11, v11
	v_min_u32_e32 v11, 32, v11
	v_subrev_u32_e32 v13, 28, v11
	v_cmp_gt_u32_e64 s[10:11], 8, v10
	v_lshrrev_b32_e32 v12, 3, v10
	v_sub_u32_e32 v11, 29, v11
	v_cndmask_b32_e64 v10, 0, v13, s[10:11]
	v_cndmask_b32_e64 v12, v12, v11, s[10:11]
	v_lshlrev_b64 v[10:11], v10, v[6:7]
	v_lshlrev_b32_e32 v10, 20, v10
	v_lshlrev_b32_e32 v11, 24, v6
	v_bfrev_b32_e32 v13, 60
	v_and_b32_e32 v10, 0x700000, v10
	v_and_b32_e32 v11, 0x80000000, v11
	v_lshl_add_u32 v12, v12, 23, v13
	v_or3_b32 v14, v11, v12, v10
.LBB508_692:
	s_or_b64 exec, exec, s[26:27]
.LBB508_693:
	s_or_b64 exec, exec, s[24:25]
.LBB508_694:
	s_or_b64 exec, exec, s[12:13]
	v_lshrrev_b16_e32 v10, 8, v6
	v_cmp_ne_u16_e64 s[10:11], 0, v10
	v_mov_b32_e32 v13, 0
	v_mov_b32_e32 v15, 0
	s_and_saveexec_b64 s[12:13], s[10:11]
	s_cbranch_execz .LBB508_700
; %bb.695:
	s_movk_i32 s10, 0x80
	v_cmp_ne_u16_e64 s[10:11], s10, v10
	v_bfrev_b32_e32 v15, 1
	s_and_saveexec_b64 s[24:25], s[10:11]
	s_cbranch_execz .LBB508_699
; %bb.696:
	s_movk_i32 s10, 0x7f
	v_and_b32_e32 v11, 0x7f, v10
	v_cmp_ne_u32_e64 s[10:11], s10, v11
	v_mov_b32_e32 v15, 0x7f800001
	s_and_saveexec_b64 s[26:27], s[10:11]
	s_cbranch_execz .LBB508_698
; %bb.697:
	v_and_b32_e32 v12, 7, v10
	v_ffbh_u32_e32 v16, v12
	v_min_u32_e32 v18, 32, v16
	v_subrev_u32_e32 v16, 28, v18
	v_lshlrev_b64 v[16:17], v16, v[10:11]
	v_lshrrev_b32_e32 v15, 3, v11
	v_sub_u32_e32 v10, 29, v18
	v_and_b32_e32 v16, 7, v16
	v_cmp_gt_u32_e64 s[10:11], 8, v11
	v_cndmask_b32_e64 v10, v15, v10, s[10:11]
	v_cndmask_b32_e64 v11, v12, v16, s[10:11]
	v_lshlrev_b32_e32 v12, 16, v6
	v_bfrev_b32_e32 v15, 60
	v_lshlrev_b32_e32 v11, 20, v11
	v_and_b32_e32 v12, 0x80000000, v12
	v_lshl_add_u32 v10, v10, 23, v15
	v_or3_b32 v15, v12, v10, v11
.LBB508_698:
	s_or_b64 exec, exec, s[26:27]
.LBB508_699:
	s_or_b64 exec, exec, s[24:25]
.LBB508_700:
	s_or_b64 exec, exec, s[12:13]
	s_movk_i32 s10, 0xff
	v_and_b32_sdwa v11, v6, s10 dst_sel:DWORD dst_unused:UNUSED_PAD src0_sel:WORD_1 src1_sel:DWORD
	v_lshrrev_b32_e32 v10, 16, v6
	v_cmp_ne_u16_e64 s[10:11], 0, v11
	s_and_saveexec_b64 s[12:13], s[10:11]
	s_cbranch_execz .LBB508_706
; %bb.701:
	s_movk_i32 s10, 0x80
	v_cmp_ne_u16_e64 s[10:11], s10, v11
	v_bfrev_b32_e32 v13, 1
	s_and_saveexec_b64 s[24:25], s[10:11]
	s_cbranch_execz .LBB508_705
; %bb.702:
	v_bfe_u32 v11, v6, 16, 7
	s_movk_i32 s10, 0x7f
	v_cmp_ne_u32_e64 s[10:11], s10, v11
	v_mov_b32_e32 v13, 0x7f800001
	s_and_saveexec_b64 s[26:27], s[10:11]
	s_cbranch_execz .LBB508_704
; %bb.703:
	v_and_b32_e32 v16, 7, v10
	v_ffbh_u32_e32 v12, v16
	v_min_u32_e32 v18, 32, v12
	v_subrev_u32_e32 v12, 28, v18
	v_lshlrev_b64 v[12:13], v12, v[10:11]
	v_and_b32_e32 v12, 7, v12
	v_cmp_gt_u32_e64 s[10:11], 8, v11
	v_lshrrev_b32_e32 v17, 3, v11
	v_sub_u32_e32 v10, 29, v18
	v_cndmask_b32_e64 v11, v16, v12, s[10:11]
	v_mov_b32_e32 v12, 24
	v_cndmask_b32_e64 v10, v17, v10, s[10:11]
	v_lshlrev_b32_sdwa v12, v12, v6 dst_sel:DWORD dst_unused:UNUSED_PAD src0_sel:DWORD src1_sel:WORD_1
	v_bfrev_b32_e32 v13, 60
	v_lshlrev_b32_e32 v11, 20, v11
	v_and_b32_e32 v12, 0x80000000, v12
	v_lshl_add_u32 v10, v10, 23, v13
	v_or3_b32 v13, v12, v10, v11
.LBB508_704:
	s_or_b64 exec, exec, s[26:27]
.LBB508_705:
	s_or_b64 exec, exec, s[24:25]
.LBB508_706:
	s_or_b64 exec, exec, s[12:13]
	s_mov_b32 s10, 0xffffff
	v_cmp_lt_u32_e64 s[10:11], s10, v6
	v_mov_b32_e32 v11, 0
	v_mov_b32_e32 v16, 0
	s_and_saveexec_b64 s[12:13], s[10:11]
	s_cbranch_execz .LBB508_712
; %bb.707:
	v_lshrrev_b32_e32 v10, 24, v6
	s_movk_i32 s10, 0x80
	v_cmp_ne_u32_e64 s[10:11], s10, v10
	v_bfrev_b32_e32 v16, 1
	s_and_saveexec_b64 s[24:25], s[10:11]
	s_cbranch_execz .LBB508_711
; %bb.708:
	v_bfe_u32 v12, v6, 24, 7
	s_movk_i32 s10, 0x7f
	v_cmp_ne_u32_e64 s[10:11], s10, v12
	v_mov_b32_e32 v16, 0x7f800001
	s_and_saveexec_b64 s[26:27], s[10:11]
	s_cbranch_execz .LBB508_710
; %bb.709:
	v_and_b32_e32 v18, 7, v10
	v_ffbh_u32_e32 v16, v18
	v_min_u32_e32 v20, 32, v16
	v_subrev_u32_e32 v16, 28, v20
	v_lshlrev_b64 v[16:17], v16, v[10:11]
	v_lshrrev_b32_e32 v19, 3, v12
	v_sub_u32_e32 v17, 29, v20
	v_and_b32_e32 v16, 7, v16
	v_cmp_gt_u32_e64 s[10:11], 8, v12
	v_cndmask_b32_e64 v12, v19, v17, s[10:11]
	v_cndmask_b32_e64 v16, v18, v16, s[10:11]
	v_lshlrev_b32_e32 v10, 24, v10
	v_bfrev_b32_e32 v17, 60
	v_lshlrev_b32_e32 v16, 20, v16
	v_and_b32_e32 v10, 0x80000000, v10
	v_lshl_add_u32 v12, v12, 23, v17
	v_or3_b32 v16, v10, v12, v16
.LBB508_710:
	s_or_b64 exec, exec, s[26:27]
.LBB508_711:
	s_or_b64 exec, exec, s[24:25]
.LBB508_712:
	s_or_b64 exec, exec, s[12:13]
	v_mov_b32_e32 v10, v7
	v_cmp_ne_u16_sdwa s[10:11], v7, v11 src0_sel:BYTE_0 src1_sel:DWORD
	s_and_saveexec_b64 s[12:13], s[10:11]
	s_cbranch_execz .LBB508_718
; %bb.713:
	s_movk_i32 s10, 0x80
	v_cmp_ne_u16_sdwa s[10:11], v7, s10 src0_sel:BYTE_0 src1_sel:DWORD
	v_bfrev_b32_e32 v12, 1
	s_and_saveexec_b64 s[24:25], s[10:11]
	s_cbranch_execz .LBB508_717
; %bb.714:
	s_movk_i32 s10, 0x7f
	v_and_b32_e32 v17, 0x7f, v7
	v_cmp_ne_u32_e64 s[10:11], s10, v17
	v_mov_b32_e32 v12, 0x7f800001
	s_and_saveexec_b64 s[26:27], s[10:11]
	s_cbranch_execz .LBB508_716
; %bb.715:
	v_and_b32_e32 v12, 7, v7
	v_ffbh_u32_e32 v12, v12
	v_min_u32_e32 v12, 32, v12
	v_subrev_u32_e32 v19, 28, v12
	v_cmp_gt_u32_e64 s[10:11], 8, v17
	v_lshrrev_b32_e32 v18, 3, v17
	v_sub_u32_e32 v12, 29, v12
	v_cndmask_b32_e64 v17, 0, v19, s[10:11]
	v_cndmask_b32_e64 v12, v18, v12, s[10:11]
	v_lshlrev_b64 v[18:19], v17, v[10:11]
	v_lshlrev_b32_e32 v11, 20, v18
	v_lshlrev_b32_e32 v17, 24, v10
	v_bfrev_b32_e32 v18, 60
	v_and_b32_e32 v11, 0x700000, v11
	v_and_b32_e32 v17, 0x80000000, v17
	v_lshl_add_u32 v12, v12, 23, v18
	v_or3_b32 v12, v17, v12, v11
.LBB508_716:
	s_or_b64 exec, exec, s[26:27]
.LBB508_717:
	s_or_b64 exec, exec, s[24:25]
	v_mov_b32_e32 v11, v12
.LBB508_718:
	s_or_b64 exec, exec, s[12:13]
	v_lshrrev_b16_e32 v12, 8, v10
	v_cmp_ne_u16_e64 s[10:11], 0, v12
	v_mov_b32_e32 v17, 0
	v_mov_b32_e32 v18, 0
	s_and_saveexec_b64 s[12:13], s[10:11]
	s_cbranch_execz .LBB508_724
; %bb.719:
	s_movk_i32 s10, 0x80
	v_cmp_ne_u16_e64 s[10:11], s10, v12
	v_bfrev_b32_e32 v18, 1
	s_and_saveexec_b64 s[24:25], s[10:11]
	s_cbranch_execz .LBB508_723
; %bb.720:
	s_movk_i32 s10, 0x7f
	v_and_b32_e32 v19, 0x7f, v12
	v_cmp_ne_u32_e64 s[10:11], s10, v19
	v_mov_b32_e32 v18, 0x7f800001
	s_and_saveexec_b64 s[26:27], s[10:11]
	s_cbranch_execz .LBB508_722
; %bb.721:
	v_and_b32_e32 v18, 7, v12
	v_ffbh_u32_e32 v20, v18
	v_min_u32_e32 v23, 32, v20
	v_subrev_u32_e32 v20, 28, v23
	v_lshlrev_b64 v[20:21], v20, v[12:13]
	v_lshrrev_b32_e32 v22, 3, v19
	v_sub_u32_e32 v12, 29, v23
	v_and_b32_e32 v20, 7, v20
	v_cmp_gt_u32_e64 s[10:11], 8, v19
	v_cndmask_b32_e64 v12, v22, v12, s[10:11]
	v_cndmask_b32_e64 v18, v18, v20, s[10:11]
	v_lshlrev_b32_e32 v10, 16, v10
	v_bfrev_b32_e32 v19, 60
	v_lshlrev_b32_e32 v18, 20, v18
	v_and_b32_e32 v10, 0x80000000, v10
	v_lshl_add_u32 v12, v12, 23, v19
	v_or3_b32 v18, v10, v12, v18
.LBB508_722:
	s_or_b64 exec, exec, s[26:27]
.LBB508_723:
	s_or_b64 exec, exec, s[24:25]
.LBB508_724:
	s_or_b64 exec, exec, s[12:13]
	s_movk_i32 s10, 0xff
	v_and_b32_sdwa v12, v7, s10 dst_sel:DWORD dst_unused:UNUSED_PAD src0_sel:WORD_1 src1_sel:DWORD
	v_lshrrev_b32_e32 v10, 16, v7
	v_cmp_ne_u16_e64 s[10:11], 0, v12
	s_and_saveexec_b64 s[12:13], s[10:11]
	s_cbranch_execz .LBB508_730
; %bb.725:
	s_movk_i32 s10, 0x80
	v_cmp_ne_u16_e64 s[10:11], s10, v12
	v_bfrev_b32_e32 v17, 1
	s_and_saveexec_b64 s[24:25], s[10:11]
	s_cbranch_execz .LBB508_729
; %bb.726:
	v_bfe_u32 v12, v7, 16, 7
	s_movk_i32 s10, 0x7f
	v_cmp_ne_u32_e64 s[10:11], s10, v12
	v_mov_b32_e32 v17, 0x7f800001
	s_and_saveexec_b64 s[26:27], s[10:11]
	s_cbranch_execz .LBB508_728
; %bb.727:
	v_and_b32_e32 v17, 7, v10
	v_ffbh_u32_e32 v20, v17
	v_min_u32_e32 v22, 32, v20
	v_subrev_u32_e32 v20, 28, v22
	v_lshlrev_b64 v[20:21], v20, v[10:11]
	v_and_b32_e32 v20, 7, v20
	v_cmp_gt_u32_e64 s[10:11], 8, v12
	v_lshrrev_b32_e32 v19, 3, v12
	v_sub_u32_e32 v10, 29, v22
	v_cndmask_b32_e64 v12, v17, v20, s[10:11]
	v_mov_b32_e32 v17, 24
	v_cndmask_b32_e64 v10, v19, v10, s[10:11]
	v_lshlrev_b32_sdwa v17, v17, v7 dst_sel:DWORD dst_unused:UNUSED_PAD src0_sel:DWORD src1_sel:WORD_1
	v_bfrev_b32_e32 v19, 60
	v_lshlrev_b32_e32 v12, 20, v12
	v_and_b32_e32 v17, 0x80000000, v17
	v_lshl_add_u32 v10, v10, 23, v19
	v_or3_b32 v17, v17, v10, v12
.LBB508_728:
	s_or_b64 exec, exec, s[26:27]
.LBB508_729:
	s_or_b64 exec, exec, s[24:25]
.LBB508_730:
	s_or_b64 exec, exec, s[12:13]
	s_mov_b32 s10, -1
	s_mov_b32 s11, 0xffffff
	v_cmp_lt_u64_e64 s[10:11], s[10:11], v[6:7]
	v_mov_b32_e32 v12, 0
	v_mov_b32_e32 v10, 0
	s_and_saveexec_b64 s[12:13], s[10:11]
	s_cbranch_execz .LBB508_736
; %bb.731:
	v_lshrrev_b32_e32 v6, 24, v7
	s_movk_i32 s10, 0x80
	v_cmp_ne_u32_e64 s[10:11], s10, v6
	v_bfrev_b32_e32 v10, 1
	s_and_saveexec_b64 s[24:25], s[10:11]
	s_cbranch_execz .LBB508_735
; %bb.732:
	v_bfe_u32 v7, v7, 24, 7
	s_movk_i32 s10, 0x7f
	v_cmp_ne_u32_e64 s[10:11], s10, v7
	v_mov_b32_e32 v10, 0x7f800001
	s_and_saveexec_b64 s[26:27], s[10:11]
	s_cbranch_execz .LBB508_734
; %bb.733:
	v_and_b32_e32 v10, 7, v6
	v_ffbh_u32_e32 v20, v10
	v_min_u32_e32 v22, 32, v20
	v_subrev_u32_e32 v20, 28, v22
	v_lshlrev_b64 v[20:21], v20, v[6:7]
	v_lshrrev_b32_e32 v19, 3, v7
	v_sub_u32_e32 v21, 29, v22
	v_and_b32_e32 v20, 7, v20
	v_cmp_gt_u32_e64 s[10:11], 8, v7
	v_cndmask_b32_e64 v7, v19, v21, s[10:11]
	v_cndmask_b32_e64 v10, v10, v20, s[10:11]
	v_lshlrev_b32_e32 v6, 24, v6
	v_bfrev_b32_e32 v19, 60
	v_lshlrev_b32_e32 v10, 20, v10
	v_and_b32_e32 v6, 0x80000000, v6
	v_lshl_add_u32 v7, v7, 23, v19
	v_or3_b32 v10, v6, v7, v10
.LBB508_734:
	s_or_b64 exec, exec, s[26:27]
.LBB508_735:
	s_or_b64 exec, exec, s[24:25]
.LBB508_736:
	s_or_b64 exec, exec, s[12:13]
	v_cvt_pkrtz_f16_f32 v6, v14, v15
	v_cvt_pkrtz_f16_f32 v7, v13, v16
	;; [unrolled: 1-line block ×4, first 2 shown]
	v_mfma_f32_4x4x4f16 a[0:3], v[2:3], v[6:7], a[0:3] cbsz:4 abid:14
	v_cmp_ne_u16_sdwa s[10:11], v8, v12 src0_sel:BYTE_0 src1_sel:DWORD
	v_mfma_f32_4x4x4f16 a[0:3], v[4:5], v[14:15], a[0:3] cbsz:4 abid:14
	s_and_saveexec_b64 s[12:13], s[10:11]
	s_cbranch_execz .LBB508_742
; %bb.737:
	s_movk_i32 s10, 0x80
	v_cmp_ne_u16_sdwa s[10:11], v8, s10 src0_sel:BYTE_0 src1_sel:DWORD
	v_bfrev_b32_e32 v12, 1
	s_and_saveexec_b64 s[24:25], s[10:11]
	s_cbranch_execz .LBB508_741
; %bb.738:
	s_movk_i32 s10, 0x7f
	v_and_b32_e32 v6, 0x7f, v8
	v_cmp_ne_u32_e64 s[10:11], s10, v6
	v_mov_b32_e32 v12, 0x7f800001
	s_and_saveexec_b64 s[26:27], s[10:11]
	s_cbranch_execz .LBB508_740
; %bb.739:
	v_and_b32_e32 v7, 7, v8
	v_ffbh_u32_e32 v7, v7
	v_min_u32_e32 v7, 32, v7
	v_subrev_u32_e32 v11, 28, v7
	v_cmp_gt_u32_e64 s[10:11], 8, v6
	v_lshrrev_b32_e32 v10, 3, v6
	v_sub_u32_e32 v7, 29, v7
	v_cndmask_b32_e64 v6, 0, v11, s[10:11]
	v_cndmask_b32_e64 v10, v10, v7, s[10:11]
	v_lshlrev_b64 v[6:7], v6, v[8:9]
	v_lshlrev_b32_e32 v6, 20, v6
	v_lshlrev_b32_e32 v7, 24, v8
	v_bfrev_b32_e32 v11, 60
	v_and_b32_e32 v6, 0x700000, v6
	v_and_b32_e32 v7, 0x80000000, v7
	v_lshl_add_u32 v10, v10, 23, v11
	v_or3_b32 v12, v7, v10, v6
.LBB508_740:
	s_or_b64 exec, exec, s[26:27]
.LBB508_741:
	s_or_b64 exec, exec, s[24:25]
.LBB508_742:
	s_or_b64 exec, exec, s[12:13]
	v_lshrrev_b16_e32 v6, 8, v8
	v_cmp_ne_u16_e64 s[10:11], 0, v6
	v_mov_b32_e32 v11, 0
	v_mov_b32_e32 v13, 0
	s_and_saveexec_b64 s[12:13], s[10:11]
	s_cbranch_execz .LBB508_748
; %bb.743:
	s_movk_i32 s10, 0x80
	v_cmp_ne_u16_e64 s[10:11], s10, v6
	v_bfrev_b32_e32 v13, 1
	s_and_saveexec_b64 s[24:25], s[10:11]
	s_cbranch_execz .LBB508_747
; %bb.744:
	s_movk_i32 s10, 0x7f
	v_and_b32_e32 v7, 0x7f, v6
	v_cmp_ne_u32_e64 s[10:11], s10, v7
	v_mov_b32_e32 v13, 0x7f800001
	s_and_saveexec_b64 s[26:27], s[10:11]
	s_cbranch_execz .LBB508_746
; %bb.745:
	v_and_b32_e32 v10, 7, v6
	v_ffbh_u32_e32 v14, v10
	v_min_u32_e32 v16, 32, v14
	v_subrev_u32_e32 v14, 28, v16
	v_lshlrev_b64 v[14:15], v14, v[6:7]
	v_lshrrev_b32_e32 v13, 3, v7
	v_sub_u32_e32 v6, 29, v16
	v_and_b32_e32 v14, 7, v14
	v_cmp_gt_u32_e64 s[10:11], 8, v7
	v_cndmask_b32_e64 v6, v13, v6, s[10:11]
	v_cndmask_b32_e64 v7, v10, v14, s[10:11]
	v_lshlrev_b32_e32 v10, 16, v8
	v_bfrev_b32_e32 v13, 60
	v_lshlrev_b32_e32 v7, 20, v7
	v_and_b32_e32 v10, 0x80000000, v10
	v_lshl_add_u32 v6, v6, 23, v13
	v_or3_b32 v13, v10, v6, v7
.LBB508_746:
	s_or_b64 exec, exec, s[26:27]
.LBB508_747:
	s_or_b64 exec, exec, s[24:25]
.LBB508_748:
	s_or_b64 exec, exec, s[12:13]
	s_movk_i32 s10, 0xff
	v_and_b32_sdwa v7, v8, s10 dst_sel:DWORD dst_unused:UNUSED_PAD src0_sel:WORD_1 src1_sel:DWORD
	v_lshrrev_b32_e32 v6, 16, v8
	v_cmp_ne_u16_e64 s[10:11], 0, v7
	s_and_saveexec_b64 s[12:13], s[10:11]
	s_cbranch_execz .LBB508_754
; %bb.749:
	s_movk_i32 s10, 0x80
	v_cmp_ne_u16_e64 s[10:11], s10, v7
	v_bfrev_b32_e32 v11, 1
	s_and_saveexec_b64 s[24:25], s[10:11]
	s_cbranch_execz .LBB508_753
; %bb.750:
	v_bfe_u32 v7, v8, 16, 7
	s_movk_i32 s10, 0x7f
	v_cmp_ne_u32_e64 s[10:11], s10, v7
	v_mov_b32_e32 v11, 0x7f800001
	s_and_saveexec_b64 s[26:27], s[10:11]
	s_cbranch_execz .LBB508_752
; %bb.751:
	v_and_b32_e32 v14, 7, v6
	v_ffbh_u32_e32 v10, v14
	v_min_u32_e32 v16, 32, v10
	v_subrev_u32_e32 v10, 28, v16
	v_lshlrev_b64 v[10:11], v10, v[6:7]
	v_and_b32_e32 v10, 7, v10
	v_cmp_gt_u32_e64 s[10:11], 8, v7
	v_lshrrev_b32_e32 v15, 3, v7
	v_sub_u32_e32 v6, 29, v16
	v_cndmask_b32_e64 v7, v14, v10, s[10:11]
	v_mov_b32_e32 v10, 24
	v_cndmask_b32_e64 v6, v15, v6, s[10:11]
	v_lshlrev_b32_sdwa v10, v10, v8 dst_sel:DWORD dst_unused:UNUSED_PAD src0_sel:DWORD src1_sel:WORD_1
	v_bfrev_b32_e32 v11, 60
	v_lshlrev_b32_e32 v7, 20, v7
	v_and_b32_e32 v10, 0x80000000, v10
	v_lshl_add_u32 v6, v6, 23, v11
	v_or3_b32 v11, v10, v6, v7
.LBB508_752:
	s_or_b64 exec, exec, s[26:27]
.LBB508_753:
	s_or_b64 exec, exec, s[24:25]
.LBB508_754:
	s_or_b64 exec, exec, s[12:13]
	s_mov_b32 s10, 0xffffff
	v_cmp_lt_u32_e64 s[10:11], s10, v8
	v_mov_b32_e32 v7, 0
	v_mov_b32_e32 v14, 0
	s_and_saveexec_b64 s[12:13], s[10:11]
	s_cbranch_execz .LBB508_760
; %bb.755:
	v_lshrrev_b32_e32 v6, 24, v8
	s_movk_i32 s10, 0x80
	v_cmp_ne_u32_e64 s[10:11], s10, v6
	v_bfrev_b32_e32 v14, 1
	s_and_saveexec_b64 s[24:25], s[10:11]
	s_cbranch_execz .LBB508_759
; %bb.756:
	v_bfe_u32 v10, v8, 24, 7
	s_movk_i32 s10, 0x7f
	v_cmp_ne_u32_e64 s[10:11], s10, v10
	v_mov_b32_e32 v14, 0x7f800001
	s_and_saveexec_b64 s[26:27], s[10:11]
	s_cbranch_execz .LBB508_758
; %bb.757:
	v_and_b32_e32 v16, 7, v6
	v_ffbh_u32_e32 v14, v16
	v_min_u32_e32 v18, 32, v14
	v_subrev_u32_e32 v14, 28, v18
	v_lshlrev_b64 v[14:15], v14, v[6:7]
	v_lshrrev_b32_e32 v17, 3, v10
	v_sub_u32_e32 v15, 29, v18
	v_and_b32_e32 v14, 7, v14
	v_cmp_gt_u32_e64 s[10:11], 8, v10
	v_cndmask_b32_e64 v10, v17, v15, s[10:11]
	v_cndmask_b32_e64 v14, v16, v14, s[10:11]
	v_lshlrev_b32_e32 v6, 24, v6
	v_bfrev_b32_e32 v15, 60
	v_lshlrev_b32_e32 v14, 20, v14
	v_and_b32_e32 v6, 0x80000000, v6
	v_lshl_add_u32 v10, v10, 23, v15
	v_or3_b32 v14, v6, v10, v14
.LBB508_758:
	s_or_b64 exec, exec, s[26:27]
.LBB508_759:
	s_or_b64 exec, exec, s[24:25]
.LBB508_760:
	s_or_b64 exec, exec, s[12:13]
	v_mov_b32_e32 v6, v9
	v_cmp_ne_u16_sdwa s[10:11], v9, v7 src0_sel:BYTE_0 src1_sel:DWORD
	s_and_saveexec_b64 s[12:13], s[10:11]
	s_cbranch_execz .LBB508_766
; %bb.761:
	s_movk_i32 s10, 0x80
	v_cmp_ne_u16_sdwa s[10:11], v9, s10 src0_sel:BYTE_0 src1_sel:DWORD
	v_bfrev_b32_e32 v10, 1
	s_and_saveexec_b64 s[24:25], s[10:11]
	s_cbranch_execz .LBB508_765
; %bb.762:
	s_movk_i32 s10, 0x7f
	v_and_b32_e32 v15, 0x7f, v9
	v_cmp_ne_u32_e64 s[10:11], s10, v15
	v_mov_b32_e32 v10, 0x7f800001
	s_and_saveexec_b64 s[26:27], s[10:11]
	s_cbranch_execz .LBB508_764
; %bb.763:
	v_and_b32_e32 v10, 7, v9
	v_ffbh_u32_e32 v10, v10
	v_min_u32_e32 v10, 32, v10
	v_subrev_u32_e32 v17, 28, v10
	v_cmp_gt_u32_e64 s[10:11], 8, v15
	v_lshrrev_b32_e32 v16, 3, v15
	v_sub_u32_e32 v10, 29, v10
	v_cndmask_b32_e64 v15, 0, v17, s[10:11]
	v_cndmask_b32_e64 v10, v16, v10, s[10:11]
	v_lshlrev_b64 v[16:17], v15, v[6:7]
	v_lshlrev_b32_e32 v7, 20, v16
	v_lshlrev_b32_e32 v15, 24, v6
	v_bfrev_b32_e32 v16, 60
	v_and_b32_e32 v7, 0x700000, v7
	v_and_b32_e32 v15, 0x80000000, v15
	v_lshl_add_u32 v10, v10, 23, v16
	v_or3_b32 v10, v15, v10, v7
.LBB508_764:
	s_or_b64 exec, exec, s[26:27]
.LBB508_765:
	s_or_b64 exec, exec, s[24:25]
	v_mov_b32_e32 v7, v10
.LBB508_766:
	s_or_b64 exec, exec, s[12:13]
	v_lshrrev_b16_e32 v10, 8, v6
	v_cmp_ne_u16_e64 s[10:11], 0, v10
	v_mov_b32_e32 v15, 0
	v_mov_b32_e32 v16, 0
	s_and_saveexec_b64 s[12:13], s[10:11]
	s_cbranch_execz .LBB508_772
; %bb.767:
	s_movk_i32 s10, 0x80
	v_cmp_ne_u16_e64 s[10:11], s10, v10
	v_bfrev_b32_e32 v16, 1
	s_and_saveexec_b64 s[24:25], s[10:11]
	s_cbranch_execz .LBB508_771
; %bb.768:
	s_movk_i32 s10, 0x7f
	v_and_b32_e32 v17, 0x7f, v10
	v_cmp_ne_u32_e64 s[10:11], s10, v17
	v_mov_b32_e32 v16, 0x7f800001
	s_and_saveexec_b64 s[26:27], s[10:11]
	s_cbranch_execz .LBB508_770
; %bb.769:
	v_and_b32_e32 v16, 7, v10
	v_ffbh_u32_e32 v18, v16
	v_min_u32_e32 v21, 32, v18
	v_subrev_u32_e32 v18, 28, v21
	v_lshlrev_b64 v[18:19], v18, v[10:11]
	v_lshrrev_b32_e32 v20, 3, v17
	v_sub_u32_e32 v10, 29, v21
	v_and_b32_e32 v18, 7, v18
	v_cmp_gt_u32_e64 s[10:11], 8, v17
	v_cndmask_b32_e64 v10, v20, v10, s[10:11]
	v_cndmask_b32_e64 v16, v16, v18, s[10:11]
	v_lshlrev_b32_e32 v6, 16, v6
	v_bfrev_b32_e32 v17, 60
	v_lshlrev_b32_e32 v16, 20, v16
	v_and_b32_e32 v6, 0x80000000, v6
	v_lshl_add_u32 v10, v10, 23, v17
	v_or3_b32 v16, v6, v10, v16
.LBB508_770:
	s_or_b64 exec, exec, s[26:27]
.LBB508_771:
	s_or_b64 exec, exec, s[24:25]
.LBB508_772:
	s_or_b64 exec, exec, s[12:13]
	s_movk_i32 s10, 0xff
	v_and_b32_sdwa v10, v9, s10 dst_sel:DWORD dst_unused:UNUSED_PAD src0_sel:WORD_1 src1_sel:DWORD
	v_lshrrev_b32_e32 v6, 16, v9
	v_cmp_ne_u16_e64 s[10:11], 0, v10
	s_and_saveexec_b64 s[12:13], s[10:11]
	s_cbranch_execz .LBB508_778
; %bb.773:
	s_movk_i32 s10, 0x80
	v_cmp_ne_u16_e64 s[10:11], s10, v10
	v_bfrev_b32_e32 v15, 1
	s_and_saveexec_b64 s[24:25], s[10:11]
	s_cbranch_execz .LBB508_777
; %bb.774:
	v_bfe_u32 v10, v9, 16, 7
	s_movk_i32 s10, 0x7f
	v_cmp_ne_u32_e64 s[10:11], s10, v10
	v_mov_b32_e32 v15, 0x7f800001
	s_and_saveexec_b64 s[26:27], s[10:11]
	s_cbranch_execz .LBB508_776
; %bb.775:
	v_and_b32_e32 v15, 7, v6
	v_ffbh_u32_e32 v18, v15
	v_min_u32_e32 v20, 32, v18
	v_subrev_u32_e32 v18, 28, v20
	v_lshlrev_b64 v[18:19], v18, v[6:7]
	v_and_b32_e32 v18, 7, v18
	v_cmp_gt_u32_e64 s[10:11], 8, v10
	v_lshrrev_b32_e32 v17, 3, v10
	v_sub_u32_e32 v6, 29, v20
	v_cndmask_b32_e64 v10, v15, v18, s[10:11]
	v_mov_b32_e32 v15, 24
	v_cndmask_b32_e64 v6, v17, v6, s[10:11]
	v_lshlrev_b32_sdwa v15, v15, v9 dst_sel:DWORD dst_unused:UNUSED_PAD src0_sel:DWORD src1_sel:WORD_1
	v_bfrev_b32_e32 v17, 60
	v_lshlrev_b32_e32 v10, 20, v10
	v_and_b32_e32 v15, 0x80000000, v15
	v_lshl_add_u32 v6, v6, 23, v17
	v_or3_b32 v15, v15, v6, v10
.LBB508_776:
	s_or_b64 exec, exec, s[26:27]
.LBB508_777:
	s_or_b64 exec, exec, s[24:25]
.LBB508_778:
	s_or_b64 exec, exec, s[12:13]
	s_mov_b32 s10, -1
	s_mov_b32 s11, 0xffffff
	v_cmp_lt_u64_e64 s[10:11], s[10:11], v[8:9]
	v_mov_b32_e32 v8, 0
	s_and_saveexec_b64 s[12:13], s[10:11]
	s_cbranch_execz .LBB508_784
; %bb.779:
	v_lshrrev_b32_e32 v6, 24, v9
	s_movk_i32 s10, 0x80
	v_cmp_ne_u32_e64 s[10:11], s10, v6
	v_bfrev_b32_e32 v8, 1
	s_and_saveexec_b64 s[24:25], s[10:11]
	s_cbranch_execz .LBB508_783
; %bb.780:
	v_bfe_u32 v9, v9, 24, 7
	s_movk_i32 s10, 0x7f
	v_cmp_ne_u32_e64 s[10:11], s10, v9
	v_mov_b32_e32 v8, 0x7f800001
	s_and_saveexec_b64 s[26:27], s[10:11]
	s_cbranch_execz .LBB508_782
; %bb.781:
	v_and_b32_e32 v8, 7, v6
	v_ffbh_u32_e32 v17, v8
	v_min_u32_e32 v17, 32, v17
	v_subrev_u32_e32 v18, 28, v17
	v_lshlrev_b64 v[18:19], v18, v[6:7]
	v_lshrrev_b32_e32 v10, 3, v9
	v_sub_u32_e32 v17, 29, v17
	v_and_b32_e32 v18, 7, v18
	v_cmp_gt_u32_e64 s[10:11], 8, v9
	v_cndmask_b32_e64 v9, v10, v17, s[10:11]
	v_cndmask_b32_e64 v8, v8, v18, s[10:11]
	v_lshlrev_b32_e32 v6, 24, v6
	v_bfrev_b32_e32 v10, 60
	v_lshlrev_b32_e32 v8, 20, v8
	v_and_b32_e32 v6, 0x80000000, v6
	v_lshl_add_u32 v9, v9, 23, v10
	v_or3_b32 v8, v6, v9, v8
.LBB508_782:
	s_or_b64 exec, exec, s[26:27]
.LBB508_783:
	s_or_b64 exec, exec, s[24:25]
.LBB508_784:
	s_or_b64 exec, exec, s[12:13]
	s_load_dword s4, s[4:5], 0x1c
	v_cvt_pkrtz_f16_f32 v10, v12, v13
	v_cvt_pkrtz_f16_f32 v11, v11, v14
	s_load_dword s5, s[16:17], 0x0
	v_cvt_pkrtz_f16_f32 v6, v7, v16
	v_mfma_f32_4x4x4f16 a[0:3], v[2:3], v[10:11], a[0:3] cbsz:4 abid:15
	v_cvt_pkrtz_f16_f32 v7, v15, v8
	s_waitcnt lgkmcnt(0)
	v_mov_b32_e32 v2, s4
	v_mov_b32_e32 v9, 0xff7fffff
	v_mfma_f32_4x4x4f16 a[0:3], v[4:5], v[6:7], a[0:3] cbsz:4 abid:15
	v_mul_f32_e32 v4, s5, v2
	v_cmp_eq_u32_e64 s[4:5], 0, v43
	s_nop 2
	v_accvgpr_read_b32 v7, a1
	v_accvgpr_read_b32 v6, a0
	v_pk_mul_f32 v[6:7], v[6:7], v[4:5] op_sel_hi:[1,0]
	v_accvgpr_read_b32 v3, a3
	v_accvgpr_read_b32 v2, a2
	v_pk_mul_f32 v[2:3], v[2:3], v[4:5] op_sel_hi:[1,0]
	v_cndmask_b32_e64 v4, 0, 1.0, s[4:5]
	v_cmp_eq_u32_e64 s[4:5], 1, v43
	s_nop 0
	v_mfma_f32_4x4x1f32 a[0:3], v6, v4, 0
	v_cndmask_b32_e64 v4, 0, 1.0, s[4:5]
	v_cmp_eq_u32_e64 s[4:5], 2, v43
	s_nop 0
	v_mfma_f32_4x4x1f32 a[0:3], v7, v4, a[0:3]
	v_cndmask_b32_e64 v4, 0, 1.0, s[4:5]
	s_nop 1
	v_mfma_f32_4x4x1f32 a[0:3], v2, v4, a[0:3]
	v_cndmask_b32_e64 v2, 0, 1.0, vcc
	s_nop 1
	v_mfma_f32_4x4x1f32 a[0:3], v3, v2, a[0:3]
	v_and_b32_e32 v2, -4, v44
	v_subrev_u32_e32 v3, s9, v2
	v_add_u32_e32 v4, 1, v3
	v_cvt_f32_i32_e32 v4, v4
	v_add_u32_e32 v5, 2, v3
	v_cvt_f32_i32_e32 v5, v5
	v_accvgpr_read_b32 v6, a0
	v_fma_f32 v4, v45, v4, v6
	v_accvgpr_read_b32 v6, a1
	v_fma_f32 v5, v45, v5, v6
	v_add_u32_e32 v6, 3, v3
	v_cvt_f32_i32_e32 v6, v6
	v_accvgpr_read_b32 v7, a2
	v_add_u32_e32 v3, 4, v3
	v_cmp_gt_i32_e32 vcc, s9, v2
	v_fma_f32 v7, v45, v6, v7
	v_max_f32_e32 v6, 0xff7fffff, v4
	v_cvt_f32_i32_e32 v3, v3
	v_cndmask_b32_e32 v6, v9, v6, vcc
	v_or_b32_e32 v9, 1, v2
	v_max_f32_e32 v10, v6, v5
	v_cmp_gt_i32_e64 s[4:5], s9, v9
	v_cndmask_b32_e64 v6, v6, v10, s[4:5]
	v_or_b32_e32 v2, 2, v2
	v_accvgpr_read_b32 v8, a3
	v_max_f32_e32 v9, v6, v7
	v_cmp_gt_i32_e64 s[10:11], s9, v2
	v_fmac_f32_e32 v8, v45, v3
	v_cndmask_b32_e64 v2, v6, v9, s[10:11]
	v_or_b32_e32 v6, 3, v44
	v_max_f32_e32 v9, v2, v8
	v_cmp_gt_i32_e64 s[12:13], s9, v6
	v_lshlrev_b32_e32 v3, 2, v0
	v_cndmask_b32_e64 v2, v2, v9, s[12:13]
	v_and_or_b32 v3, v3, 48, v43
	;;#ASMSTART
	v_nop
 v_nop
 v_max_f32_dpp v2, v2, v2 row_ror:4
	;;#ASMEND
	v_lshlrev_b32_e32 v9, 2, v3
	;;#ASMSTART
	v_nop
 v_nop
 v_max_f32_dpp v2, v2, v2 row_ror:8
	;;#ASMEND
	ds_bpermute_b32 v2, v9, v2
	s_waitcnt lgkmcnt(0)
	;;#ASMSTART
	v_nop
 v_nop
 v_max_f32_dpp v2, v2, v2 row_ror:4
	;;#ASMEND
	;;#ASMSTART
	v_nop
 v_nop
 v_max_f32_dpp v6, v2, v2 row_ror:8
	;;#ASMEND
	v_sub_f32_e32 v2, v4, v6
	v_mul_f32_e32 v2, 0x3fb8aa3b, v2
	v_sub_f32_e32 v3, v5, v6
	v_exp_f32_e32 v2, v2
	v_mul_f32_e32 v3, 0x3fb8aa3b, v3
	v_sub_f32_e32 v5, v7, v6
	v_exp_f32_e32 v3, v3
	;; [unrolled: 3-line block ×3, first 2 shown]
	v_mul_f32_e32 v7, 0x3fb8aa3b, v7
	v_exp_f32_e32 v7, v7
	v_cndmask_b32_e32 v2, 0, v2, vcc
	v_add_f32_e32 v4, 0, v2
	v_cndmask_b32_e64 v3, 0, v3, s[4:5]
	v_add_f32_e32 v8, v4, v3
	v_cndmask_b32_e64 v4, 0, v5, s[10:11]
	;; [unrolled: 2-line block ×3, first 2 shown]
	v_add_f32_e32 v7, v8, v5
	;;#ASMSTART
	v_nop
 v_nop
 v_add_f32_dpp v7, v7, v7 row_ror:4
	;;#ASMEND
	;;#ASMSTART
	v_nop
 v_nop
 v_add_f32_dpp v7, v7, v7 row_ror:8
	;;#ASMEND
	ds_bpermute_b32 v7, v9, v7
	s_waitcnt lgkmcnt(0)
	;;#ASMSTART
	v_nop
 v_nop
 v_add_f32_dpp v7, v7, v7 row_ror:4
	;;#ASMEND
	v_cmp_gt_u32_e32 vcc, 4, v1
	;;#ASMSTART
	v_nop
 v_nop
 v_add_f32_dpp v7, v7, v7 row_ror:8
	;;#ASMEND
	s_and_saveexec_b64 s[4:5], vcc
	s_cbranch_execz .LBB508_786
; %bb.785:
	v_mul_u32_u24_e32 v8, 20, v42
	v_lshl_add_u32 v8, v43, 2, v8
	v_add_u32_e32 v8, 0x1400, v8
	ds_write2_b32 v8, v6, v7 offset1:20
.LBB508_786:
	s_or_b64 exec, exec, s[4:5]
.LBB508_787:
	s_or_b64 exec, exec, s[34:35]
	s_waitcnt lgkmcnt(0)
	s_barrier
	s_load_dword s4, s[30:31], 0x8
	v_lshlrev_b32_e32 v7, 2, v43
	v_add_u32_e32 v7, 0x1400, v7
	ds_read2_b32 v[10:11], v7 offset1:5
	ds_read2_b32 v[12:13], v7 offset0:10 offset1:15
	s_mul_i32 s5, s8, s33
	s_waitcnt lgkmcnt(0)
	s_mul_i32 s4, s5, s4
	s_mov_b32 s5, 0xff7fffff
	v_max3_f32 v8, v10, s5, v11
	v_max3_f32 v8, v8, v12, v13
	v_sub_f32_e32 v9, v10, v8
	v_sub_f32_e32 v10, v11, v8
	ds_read2_b32 v[14:15], v7 offset0:20 offset1:25
	v_mul_f32_e32 v9, 0x3fb8aa3b, v9
	v_mul_f32_e32 v10, 0x3fb8aa3b, v10
	v_exp_f32_e32 v9, v9
	v_exp_f32_e32 v16, v10
	ds_read2_b32 v[10:11], v7 offset0:30 offset1:35
	v_sub_f32_e32 v7, v12, v8
	v_mul_f32_e32 v7, 0x3fb8aa3b, v7
	v_sub_f32_e32 v12, v13, v8
	v_exp_f32_e32 v7, v7
	v_mul_f32_e32 v12, 0x3fb8aa3b, v12
	v_exp_f32_e32 v12, v12
	s_waitcnt lgkmcnt(1)
	v_fma_f32 v9, v9, v14, 0
	v_fmac_f32_e32 v9, v16, v15
	s_waitcnt lgkmcnt(0)
	v_fmac_f32_e32 v9, v7, v10
	s_mul_i32 s4, s4, 3
	v_fmac_f32_e32 v9, v12, v11
	v_cmp_ne_u32_e32 vcc, 3, v43
	s_and_saveexec_b64 s[8:9], vcc
	s_cbranch_execz .LBB508_789
; %bb.788:
	s_mov_b32 s5, 0
	s_lshl_b64 s[10:11], s[4:5], 2
	s_add_u32 s16, s20, s10
	s_mov_b32 s15, s5
	s_addc_u32 s17, s21, s11
	s_lshl_b64 s[12:13], s[14:15], 2
	s_add_u32 s5, s16, s12
	s_addc_u32 s15, s17, s13
	v_add_u32_e32 v7, s44, v43
	s_add_u32 s10, s22, s10
	v_mul_lo_u32 v10, s33, v7
	v_mov_b32_e32 v11, 0
	s_addc_u32 s11, s23, s11
	v_lshlrev_b64 v[10:11], 2, v[10:11]
	s_add_u32 s10, s10, s12
	v_mov_b32_e32 v7, s15
	v_add_co_u32_e32 v12, vcc, s5, v10
	s_addc_u32 s11, s11, s13
	v_addc_co_u32_e32 v13, vcc, v7, v11, vcc
	v_mov_b32_e32 v7, s11
	v_add_co_u32_e32 v10, vcc, s10, v10
	v_addc_co_u32_e32 v11, vcc, v7, v11, vcc
	global_store_dword v[10:11], v8, off
	global_store_dword v[12:13], v9, off
.LBB508_789:
	s_or_b64 exec, exec, s[8:9]
	v_lshlrev_b32_e32 v7, 3, v42
	s_and_saveexec_b64 s[8:9], s[6:7]
	s_xor_b64 s[6:7], exec, s[8:9]
	s_cbranch_execz .LBB508_791
; %bb.790:
	s_mov_b32 s8, 0
	s_mov_b32 s9, s8
	v_mad_u32_u24 v4, v1, 40, v7
	v_pk_mov_b32 v[2:3], s[8:9], s[8:9] op_sel:[0,1]
	ds_write2st64_b64 v4, v[2:3], v[2:3] offset1:5
                                        ; implicit-def: $vgpr7
                                        ; implicit-def: $vgpr6
                                        ; implicit-def: $vgpr8
                                        ; implicit-def: $vgpr9
                                        ; implicit-def: $vgpr4
                                        ; implicit-def: $vgpr2
.LBB508_791:
	s_andn2_saveexec_b64 s[6:7], s[6:7]
	s_cbranch_execz .LBB508_1178
; %bb.792:
	v_add_f32_e32 v9, 0x358637bd, v9
	v_div_scale_f32 v10, s[8:9], v9, v9, 1.0
	v_rcp_f32_e32 v11, v10
	v_sub_f32_e32 v6, v6, v8
	v_mul_f32_e32 v6, 0x3fb8aa3b, v6
	v_exp_f32_e32 v6, v6
	v_fma_f32 v8, -v10, v11, 1.0
	v_fmac_f32_e32 v11, v8, v11
	v_div_scale_f32 v8, vcc, 1.0, v9, 1.0
	v_mul_f32_e32 v12, v8, v11
	v_fma_f32 v13, -v10, v12, v8
	v_fmac_f32_e32 v12, v13, v11
	v_fma_f32 v8, -v10, v12, v8
	v_div_fmas_f32 v8, v8, v11, v12
	v_div_fixup_f32 v8, v8, v9, 1.0
	v_mul_f32_e32 v6, v6, v8
	v_pk_mul_f32 v[4:5], v[4:5], v[6:7] op_sel_hi:[1,0]
	v_pk_mul_f32 v[2:3], v[2:3], v[6:7] op_sel_hi:[1,0]
	s_load_dword s8, s[18:19], 0x0
	v_cvt_f16_f32_e32 v2, v2
	v_cvt_f16_f32_e32 v3, v3
	;; [unrolled: 1-line block ×4, first 2 shown]
	v_mov_b32_e32 v11, 0
	v_add_u32_e32 v5, 64, v11
	v_pack_b32_f16 v2, v2, v3
	v_pack_b32_f16 v3, v4, v6
	s_waitcnt lgkmcnt(0)
	s_mov_b32 s9, s8
	s_mov_b32 s10, s8
	;; [unrolled: 1-line block ×4, first 2 shown]
	s_mov_b64 s[12:13], -1
	s_movk_i32 s5, 0x80
	s_movk_i32 s22, 0x7f
	s_mov_b32 s23, 0xffffff
	v_mov_b32_e32 v9, 0
	v_bfrev_b32_e32 v10, 60
	s_branch .LBB508_796
.LBB508_793:                            ;   in Loop: Header=BB508_796 Depth=1
	s_or_b64 exec, exec, s[20:21]
.LBB508_794:                            ;   in Loop: Header=BB508_796 Depth=1
	s_or_b64 exec, exec, s[18:19]
.LBB508_795:                            ;   in Loop: Header=BB508_796 Depth=1
	s_or_b64 exec, exec, s[16:17]
	v_cvt_pkrtz_f16_f32 v12, v13, v12
	v_cvt_pkrtz_f16_f32 v13, v11, v15
	;; [unrolled: 1-line block ×4, first 2 shown]
	v_mfma_f32_4x4x4f16 a[0:3], v[2:3], v[12:13], a[0:3] cbsz:4 abid:14
	s_mulk_i32 s15, 0xa00
	v_mfma_f32_4x4x4f16 a[0:3], v[2:3], v[14:15], a[0:3] cbsz:4 abid:15
	s_xor_b64 s[16:17], s[12:13], -1
	s_mov_b64 s[12:13], 0
	s_andn2_b64 vcc, exec, s[16:17]
	s_nop 1
	v_accvgpr_read_b32 v15, a1
	v_accvgpr_read_b32 v14, a0
	;; [unrolled: 1-line block ×4, first 2 shown]
	v_pk_mul_f32 v[14:15], v[14:15], s[8:9]
	v_pk_mul_f32 v[12:13], v[12:13], s[10:11]
	v_cvt_f16_f32_e32 v4, v14
	v_cvt_f16_f32_e32 v6, v15
	;; [unrolled: 1-line block ×4, first 2 shown]
	v_pack_b32_f16 v12, v4, v6
	v_mul_u32_u24_e32 v4, 40, v1
	v_pack_b32_f16 v13, v8, v11
	v_add3_u32 v4, s15, v4, v7
	s_mov_b32 s15, 1
	v_mov_b32_e32 v11, v5
	ds_write_b64 v4, v[12:13]
	s_cbranch_vccz .LBB508_1178
.LBB508_796:                            ; =>This Inner Loop Header: Depth=1
	buffer_load_dword v6, v11, s[0:3], 0 offen
	buffer_load_dword v4, v11, s[0:3], 0 offen offset:4
	v_mov_b32_e32 v13, 0
	s_waitcnt vmcnt(1)
	v_cmp_ne_u16_sdwa s[18:19], v6, v9 src0_sel:BYTE_0 src1_sel:DWORD
	s_and_saveexec_b64 s[16:17], s[18:19]
	s_cbranch_execz .LBB508_802
; %bb.797:                              ;   in Loop: Header=BB508_796 Depth=1
	v_cmp_ne_u16_sdwa s[20:21], v6, s5 src0_sel:BYTE_0 src1_sel:DWORD
	v_bfrev_b32_e32 v13, 1
	s_and_saveexec_b64 s[18:19], s[20:21]
	s_cbranch_execz .LBB508_801
; %bb.798:                              ;   in Loop: Header=BB508_796 Depth=1
	v_and_b32_e32 v8, 0x7f, v6
	v_cmp_ne_u32_e32 vcc, s22, v8
	v_mov_b32_e32 v13, 0x7f800001
	s_and_saveexec_b64 s[20:21], vcc
	s_cbranch_execz .LBB508_800
; %bb.799:                              ;   in Loop: Header=BB508_796 Depth=1
	v_and_b32_e32 v14, 7, v6
	v_ffbh_u32_e32 v12, v14
	v_min_u32_e32 v16, 32, v12
	v_subrev_u32_e32 v12, 28, v16
	v_lshlrev_b64 v[12:13], v12, v[6:7]
	v_lshrrev_b32_e32 v15, 3, v8
	v_sub_u32_e32 v13, 29, v16
	v_and_b32_e32 v12, 7, v12
	v_cmp_gt_u32_e32 vcc, 8, v8
	v_cndmask_b32_e32 v8, v15, v13, vcc
	v_cndmask_b32_e32 v12, v14, v12, vcc
	v_lshlrev_b32_e32 v13, 24, v6
	v_lshlrev_b32_e32 v12, 20, v12
	v_and_b32_e32 v13, 0x80000000, v13
	v_lshl_add_u32 v8, v8, 23, v10
	v_or3_b32 v13, v13, v8, v12
.LBB508_800:                            ;   in Loop: Header=BB508_796 Depth=1
	s_or_b64 exec, exec, s[20:21]
.LBB508_801:                            ;   in Loop: Header=BB508_796 Depth=1
	s_or_b64 exec, exec, s[18:19]
.LBB508_802:                            ;   in Loop: Header=BB508_796 Depth=1
	s_or_b64 exec, exec, s[16:17]
	v_lshrrev_b16_e32 v8, 8, v6
	v_cmp_ne_u16_e32 vcc, 0, v8
	v_mov_b32_e32 v14, 0
	v_mov_b32_e32 v15, 0
	s_and_saveexec_b64 s[16:17], vcc
	s_cbranch_execz .LBB508_808
; %bb.803:                              ;   in Loop: Header=BB508_796 Depth=1
	v_cmp_ne_u16_e32 vcc, s5, v8
	v_bfrev_b32_e32 v15, 1
	s_and_saveexec_b64 s[18:19], vcc
	s_cbranch_execz .LBB508_807
; %bb.804:                              ;   in Loop: Header=BB508_796 Depth=1
	v_and_b32_e32 v12, 0x7f, v8
	v_cmp_ne_u32_e32 vcc, s22, v12
	v_mov_b32_e32 v15, 0x7f800001
	s_and_saveexec_b64 s[20:21], vcc
	s_cbranch_execz .LBB508_806
; %bb.805:                              ;   in Loop: Header=BB508_796 Depth=1
	v_and_b32_e32 v15, 7, v8
	v_ffbh_u32_e32 v16, v15
	v_min_u32_e32 v19, 32, v16
	v_subrev_u32_e32 v16, 28, v19
	v_lshlrev_b64 v[16:17], v16, v[8:9]
	v_lshrrev_b32_e32 v18, 3, v12
	v_sub_u32_e32 v8, 29, v19
	v_and_b32_e32 v16, 7, v16
	v_cmp_gt_u32_e32 vcc, 8, v12
	v_cndmask_b32_e32 v8, v18, v8, vcc
	v_cndmask_b32_e32 v12, v15, v16, vcc
	v_lshlrev_b32_e32 v15, 16, v6
	v_lshlrev_b32_e32 v12, 20, v12
	v_and_b32_e32 v15, 0x80000000, v15
	v_lshl_add_u32 v8, v8, 23, v10
	v_or3_b32 v15, v15, v8, v12
.LBB508_806:                            ;   in Loop: Header=BB508_796 Depth=1
	s_or_b64 exec, exec, s[20:21]
.LBB508_807:                            ;   in Loop: Header=BB508_796 Depth=1
	s_or_b64 exec, exec, s[18:19]
.LBB508_808:                            ;   in Loop: Header=BB508_796 Depth=1
	s_or_b64 exec, exec, s[16:17]
	v_lshrrev_b32_e32 v8, 16, v6
	v_cmp_ne_u16_sdwa s[18:19], v8, v9 src0_sel:BYTE_0 src1_sel:DWORD
	s_and_saveexec_b64 s[16:17], s[18:19]
	s_cbranch_execz .LBB508_814
; %bb.809:                              ;   in Loop: Header=BB508_796 Depth=1
	v_cmp_ne_u16_sdwa s[20:21], v8, s5 src0_sel:BYTE_0 src1_sel:DWORD
	v_bfrev_b32_e32 v14, 1
	s_and_saveexec_b64 s[18:19], s[20:21]
	s_cbranch_execz .LBB508_813
; %bb.810:                              ;   in Loop: Header=BB508_796 Depth=1
	v_bfe_u32 v12, v6, 16, 7
	v_cmp_ne_u32_e32 vcc, s22, v12
	v_mov_b32_e32 v14, 0x7f800001
	s_and_saveexec_b64 s[20:21], vcc
	s_cbranch_execz .LBB508_812
; %bb.811:                              ;   in Loop: Header=BB508_796 Depth=1
	v_and_b32_e32 v14, 7, v8
	v_ffbh_u32_e32 v16, v14
	v_min_u32_e32 v19, 32, v16
	v_subrev_u32_e32 v16, 28, v19
	v_lshlrev_b64 v[16:17], v16, v[8:9]
	v_lshrrev_b32_e32 v18, 3, v12
	v_sub_u32_e32 v17, 29, v19
	v_and_b32_e32 v16, 7, v16
	v_cmp_gt_u32_e32 vcc, 8, v12
	v_cndmask_b32_e32 v12, v18, v17, vcc
	v_cndmask_b32_e32 v14, v14, v16, vcc
	v_lshlrev_b32_e32 v8, 24, v8
	v_lshlrev_b32_e32 v14, 20, v14
	v_and_b32_e32 v8, 0x80000000, v8
	v_lshl_add_u32 v12, v12, 23, v10
	v_or3_b32 v14, v8, v12, v14
.LBB508_812:                            ;   in Loop: Header=BB508_796 Depth=1
	s_or_b64 exec, exec, s[20:21]
.LBB508_813:                            ;   in Loop: Header=BB508_796 Depth=1
	s_or_b64 exec, exec, s[18:19]
.LBB508_814:                            ;   in Loop: Header=BB508_796 Depth=1
	s_or_b64 exec, exec, s[16:17]
	v_cmp_lt_u32_e32 vcc, s23, v6
	v_mov_b32_e32 v16, 0
	v_mov_b32_e32 v17, 0
	s_and_saveexec_b64 s[16:17], vcc
	s_cbranch_execz .LBB508_820
; %bb.815:                              ;   in Loop: Header=BB508_796 Depth=1
	v_lshrrev_b32_e32 v8, 24, v6
	v_cmp_ne_u32_e32 vcc, s5, v8
	v_bfrev_b32_e32 v17, 1
	s_and_saveexec_b64 s[18:19], vcc
	s_cbranch_execz .LBB508_819
; %bb.816:                              ;   in Loop: Header=BB508_796 Depth=1
	v_bfe_u32 v6, v6, 24, 7
	v_cmp_ne_u32_e32 vcc, s22, v6
	v_mov_b32_e32 v17, 0x7f800001
	s_and_saveexec_b64 s[20:21], vcc
	s_cbranch_execz .LBB508_818
; %bb.817:                              ;   in Loop: Header=BB508_796 Depth=1
	v_and_b32_e32 v12, 7, v8
	v_ffbh_u32_e32 v18, v12
	v_min_u32_e32 v20, 32, v18
	v_subrev_u32_e32 v18, 28, v20
	v_lshlrev_b64 v[18:19], v18, v[8:9]
	v_lshrrev_b32_e32 v17, 3, v6
	v_sub_u32_e32 v19, 29, v20
	v_and_b32_e32 v18, 7, v18
	v_cmp_gt_u32_e32 vcc, 8, v6
	v_cndmask_b32_e32 v6, v17, v19, vcc
	v_cndmask_b32_e32 v12, v12, v18, vcc
	v_lshlrev_b32_e32 v8, 24, v8
	v_lshlrev_b32_e32 v12, 20, v12
	v_and_b32_e32 v8, 0x80000000, v8
	v_lshl_add_u32 v6, v6, 23, v10
	v_or3_b32 v17, v8, v6, v12
.LBB508_818:                            ;   in Loop: Header=BB508_796 Depth=1
	s_or_b64 exec, exec, s[20:21]
.LBB508_819:                            ;   in Loop: Header=BB508_796 Depth=1
	s_or_b64 exec, exec, s[18:19]
.LBB508_820:                            ;   in Loop: Header=BB508_796 Depth=1
	s_or_b64 exec, exec, s[16:17]
	s_waitcnt vmcnt(0)
	v_cmp_ne_u16_sdwa s[18:19], v4, v9 src0_sel:BYTE_0 src1_sel:DWORD
	s_and_saveexec_b64 s[16:17], s[18:19]
	s_cbranch_execz .LBB508_826
; %bb.821:                              ;   in Loop: Header=BB508_796 Depth=1
	v_cmp_ne_u16_sdwa s[20:21], v4, s5 src0_sel:BYTE_0 src1_sel:DWORD
	v_bfrev_b32_e32 v16, 1
	s_and_saveexec_b64 s[18:19], s[20:21]
	s_cbranch_execz .LBB508_825
; %bb.822:                              ;   in Loop: Header=BB508_796 Depth=1
	v_and_b32_e32 v6, 0x7f, v4
	v_cmp_ne_u32_e32 vcc, s22, v6
	v_mov_b32_e32 v16, 0x7f800001
	s_and_saveexec_b64 s[20:21], vcc
	s_cbranch_execz .LBB508_824
; %bb.823:                              ;   in Loop: Header=BB508_796 Depth=1
	v_and_b32_e32 v8, 7, v4
	v_ffbh_u32_e32 v16, v8
	v_min_u32_e32 v16, 32, v16
	v_subrev_u32_e32 v18, 28, v16
	v_lshlrev_b64 v[18:19], v18, v[4:5]
	v_lshrrev_b32_e32 v12, 3, v6
	v_sub_u32_e32 v16, 29, v16
	v_and_b32_e32 v18, 7, v18
	v_cmp_gt_u32_e32 vcc, 8, v6
	v_cndmask_b32_e32 v6, v12, v16, vcc
	v_cndmask_b32_e32 v8, v8, v18, vcc
	v_lshlrev_b32_e32 v12, 24, v4
	v_lshlrev_b32_e32 v8, 20, v8
	v_and_b32_e32 v12, 0x80000000, v12
	v_lshl_add_u32 v6, v6, 23, v10
	v_or3_b32 v16, v12, v6, v8
.LBB508_824:                            ;   in Loop: Header=BB508_796 Depth=1
	s_or_b64 exec, exec, s[20:21]
.LBB508_825:                            ;   in Loop: Header=BB508_796 Depth=1
	s_or_b64 exec, exec, s[18:19]
.LBB508_826:                            ;   in Loop: Header=BB508_796 Depth=1
	s_or_b64 exec, exec, s[16:17]
	v_lshrrev_b16_e32 v6, 8, v4
	v_cmp_ne_u16_e32 vcc, 0, v6
	v_mov_b32_e32 v8, 0
	v_mov_b32_e32 v18, 0
	s_and_saveexec_b64 s[16:17], vcc
	s_cbranch_execz .LBB508_832
; %bb.827:                              ;   in Loop: Header=BB508_796 Depth=1
	v_cmp_ne_u16_e32 vcc, s5, v6
	v_bfrev_b32_e32 v18, 1
	s_and_saveexec_b64 s[18:19], vcc
	s_cbranch_execz .LBB508_831
; %bb.828:                              ;   in Loop: Header=BB508_796 Depth=1
	v_and_b32_e32 v12, 0x7f, v6
	v_cmp_ne_u32_e32 vcc, s22, v12
	v_mov_b32_e32 v18, 0x7f800001
	s_and_saveexec_b64 s[20:21], vcc
	s_cbranch_execz .LBB508_830
; %bb.829:                              ;   in Loop: Header=BB508_796 Depth=1
	v_and_b32_e32 v20, 7, v6
	v_ffbh_u32_e32 v18, v20
	v_min_u32_e32 v22, 32, v18
	v_subrev_u32_e32 v18, 28, v22
	v_lshlrev_b64 v[18:19], v18, v[6:7]
	v_lshrrev_b32_e32 v21, 3, v12
	v_sub_u32_e32 v6, 29, v22
	v_and_b32_e32 v18, 7, v18
	v_cmp_gt_u32_e32 vcc, 8, v12
	v_cndmask_b32_e32 v6, v21, v6, vcc
	v_cndmask_b32_e32 v12, v20, v18, vcc
	v_lshlrev_b32_e32 v18, 16, v4
	v_lshlrev_b32_e32 v12, 20, v12
	v_and_b32_e32 v18, 0x80000000, v18
	v_lshl_add_u32 v6, v6, 23, v10
	v_or3_b32 v18, v18, v6, v12
.LBB508_830:                            ;   in Loop: Header=BB508_796 Depth=1
	s_or_b64 exec, exec, s[20:21]
.LBB508_831:                            ;   in Loop: Header=BB508_796 Depth=1
	s_or_b64 exec, exec, s[18:19]
.LBB508_832:                            ;   in Loop: Header=BB508_796 Depth=1
	s_or_b64 exec, exec, s[16:17]
	v_lshrrev_b32_e32 v6, 16, v4
	v_cmp_ne_u16_sdwa s[18:19], v6, v9 src0_sel:BYTE_0 src1_sel:DWORD
	s_and_saveexec_b64 s[16:17], s[18:19]
	s_cbranch_execz .LBB508_838
; %bb.833:                              ;   in Loop: Header=BB508_796 Depth=1
	v_cmp_ne_u16_sdwa s[20:21], v6, s5 src0_sel:BYTE_0 src1_sel:DWORD
	v_bfrev_b32_e32 v8, 1
	s_and_saveexec_b64 s[18:19], s[20:21]
	s_cbranch_execz .LBB508_837
; %bb.834:                              ;   in Loop: Header=BB508_796 Depth=1
	v_bfe_u32 v12, v4, 16, 7
	v_cmp_ne_u32_e32 vcc, s22, v12
	v_mov_b32_e32 v8, 0x7f800001
	s_and_saveexec_b64 s[20:21], vcc
	s_cbranch_execz .LBB508_836
; %bb.835:                              ;   in Loop: Header=BB508_796 Depth=1
	v_and_b32_e32 v8, 7, v6
	v_ffbh_u32_e32 v20, v8
	v_min_u32_e32 v22, 32, v20
	v_subrev_u32_e32 v20, 28, v22
	v_lshlrev_b64 v[20:21], v20, v[6:7]
	v_lshrrev_b32_e32 v19, 3, v12
	v_sub_u32_e32 v21, 29, v22
	v_and_b32_e32 v20, 7, v20
	v_cmp_gt_u32_e32 vcc, 8, v12
	v_cndmask_b32_e32 v12, v19, v21, vcc
	v_cndmask_b32_e32 v8, v8, v20, vcc
	v_lshlrev_b32_e32 v6, 24, v6
	v_lshlrev_b32_e32 v8, 20, v8
	v_and_b32_e32 v6, 0x80000000, v6
	v_lshl_add_u32 v12, v12, 23, v10
	v_or3_b32 v8, v6, v12, v8
.LBB508_836:                            ;   in Loop: Header=BB508_796 Depth=1
	s_or_b64 exec, exec, s[20:21]
.LBB508_837:                            ;   in Loop: Header=BB508_796 Depth=1
	s_or_b64 exec, exec, s[18:19]
.LBB508_838:                            ;   in Loop: Header=BB508_796 Depth=1
	s_or_b64 exec, exec, s[16:17]
	v_cmp_lt_u32_e32 vcc, s23, v4
	v_mov_b32_e32 v12, 0
	v_mov_b32_e32 v19, 0
	s_and_saveexec_b64 s[16:17], vcc
	s_cbranch_execz .LBB508_844
; %bb.839:                              ;   in Loop: Header=BB508_796 Depth=1
	v_lshrrev_b32_e32 v6, 24, v4
	v_cmp_ne_u32_e32 vcc, s5, v6
	v_bfrev_b32_e32 v19, 1
	s_and_saveexec_b64 s[18:19], vcc
	s_cbranch_execz .LBB508_843
; %bb.840:                              ;   in Loop: Header=BB508_796 Depth=1
	v_bfe_u32 v4, v4, 24, 7
	v_cmp_ne_u32_e32 vcc, s22, v4
	v_mov_b32_e32 v19, 0x7f800001
	s_and_saveexec_b64 s[20:21], vcc
	s_cbranch_execz .LBB508_842
; %bb.841:                              ;   in Loop: Header=BB508_796 Depth=1
	v_and_b32_e32 v19, 7, v6
	v_ffbh_u32_e32 v20, v19
	v_min_u32_e32 v23, 32, v20
	v_subrev_u32_e32 v20, 28, v23
	v_lshlrev_b64 v[20:21], v20, v[6:7]
	v_lshrrev_b32_e32 v22, 3, v4
	v_sub_u32_e32 v21, 29, v23
	v_and_b32_e32 v20, 7, v20
	v_cmp_gt_u32_e32 vcc, 8, v4
	v_cndmask_b32_e32 v4, v22, v21, vcc
	v_cndmask_b32_e32 v19, v19, v20, vcc
	v_lshlrev_b32_e32 v6, 24, v6
	v_lshlrev_b32_e32 v19, 20, v19
	v_and_b32_e32 v6, 0x80000000, v6
	v_lshl_add_u32 v4, v4, 23, v10
	v_or3_b32 v19, v6, v4, v19
.LBB508_842:                            ;   in Loop: Header=BB508_796 Depth=1
	s_or_b64 exec, exec, s[20:21]
.LBB508_843:                            ;   in Loop: Header=BB508_796 Depth=1
	s_or_b64 exec, exec, s[18:19]
.LBB508_844:                            ;   in Loop: Header=BB508_796 Depth=1
	s_or_b64 exec, exec, s[16:17]
	buffer_load_dword v6, v11, s[0:3], 0 offen offset:8
	buffer_load_dword v4, v11, s[0:3], 0 offen offset:12
	v_cvt_pkrtz_f16_f32 v20, v13, v15
	v_cvt_pkrtz_f16_f32 v21, v14, v17
	;; [unrolled: 1-line block ×4, first 2 shown]
	v_mfma_f32_4x4x4f16 a[0:3], v[2:3], v[20:21], 0 cbsz:4
	s_waitcnt vmcnt(1)
	v_cmp_ne_u16_sdwa s[18:19], v6, v9 src0_sel:BYTE_0 src1_sel:DWORD
	v_mfma_f32_4x4x4f16 a[0:3], v[2:3], v[14:15], a[0:3] cbsz:4 abid:1
	s_and_saveexec_b64 s[16:17], s[18:19]
	s_cbranch_execz .LBB508_850
; %bb.845:                              ;   in Loop: Header=BB508_796 Depth=1
	v_cmp_ne_u16_sdwa s[20:21], v6, s5 src0_sel:BYTE_0 src1_sel:DWORD
	v_bfrev_b32_e32 v12, 1
	s_and_saveexec_b64 s[18:19], s[20:21]
	s_cbranch_execz .LBB508_849
; %bb.846:                              ;   in Loop: Header=BB508_796 Depth=1
	v_and_b32_e32 v8, 0x7f, v6
	v_cmp_ne_u32_e32 vcc, s22, v8
	v_mov_b32_e32 v12, 0x7f800001
	s_and_saveexec_b64 s[20:21], vcc
	s_cbranch_execz .LBB508_848
; %bb.847:                              ;   in Loop: Header=BB508_796 Depth=1
	v_and_b32_e32 v14, 7, v6
	v_ffbh_u32_e32 v12, v14
	v_min_u32_e32 v16, 32, v12
	v_subrev_u32_e32 v12, 28, v16
	v_lshlrev_b64 v[12:13], v12, v[6:7]
	v_lshrrev_b32_e32 v15, 3, v8
	v_sub_u32_e32 v13, 29, v16
	v_and_b32_e32 v12, 7, v12
	v_cmp_gt_u32_e32 vcc, 8, v8
	v_cndmask_b32_e32 v8, v15, v13, vcc
	v_cndmask_b32_e32 v12, v14, v12, vcc
	v_lshlrev_b32_e32 v13, 24, v6
	v_lshlrev_b32_e32 v12, 20, v12
	v_and_b32_e32 v13, 0x80000000, v13
	v_lshl_add_u32 v8, v8, 23, v10
	v_or3_b32 v12, v13, v8, v12
.LBB508_848:                            ;   in Loop: Header=BB508_796 Depth=1
	s_or_b64 exec, exec, s[20:21]
.LBB508_849:                            ;   in Loop: Header=BB508_796 Depth=1
	s_or_b64 exec, exec, s[18:19]
.LBB508_850:                            ;   in Loop: Header=BB508_796 Depth=1
	s_or_b64 exec, exec, s[16:17]
	v_lshrrev_b16_e32 v8, 8, v6
	v_cmp_ne_u16_e32 vcc, 0, v8
	v_mov_b32_e32 v14, 0
	v_mov_b32_e32 v15, 0
	s_and_saveexec_b64 s[16:17], vcc
	s_cbranch_execz .LBB508_856
; %bb.851:                              ;   in Loop: Header=BB508_796 Depth=1
	v_cmp_ne_u16_e32 vcc, s5, v8
	v_bfrev_b32_e32 v15, 1
	s_and_saveexec_b64 s[18:19], vcc
	s_cbranch_execz .LBB508_855
; %bb.852:                              ;   in Loop: Header=BB508_796 Depth=1
	v_and_b32_e32 v13, 0x7f, v8
	v_cmp_ne_u32_e32 vcc, s22, v13
	v_mov_b32_e32 v15, 0x7f800001
	s_and_saveexec_b64 s[20:21], vcc
	s_cbranch_execz .LBB508_854
; %bb.853:                              ;   in Loop: Header=BB508_796 Depth=1
	v_and_b32_e32 v15, 7, v8
	v_ffbh_u32_e32 v16, v15
	v_min_u32_e32 v19, 32, v16
	v_subrev_u32_e32 v16, 28, v19
	v_lshlrev_b64 v[16:17], v16, v[8:9]
	v_lshrrev_b32_e32 v18, 3, v13
	v_sub_u32_e32 v8, 29, v19
	v_and_b32_e32 v16, 7, v16
	v_cmp_gt_u32_e32 vcc, 8, v13
	v_cndmask_b32_e32 v8, v18, v8, vcc
	v_cndmask_b32_e32 v13, v15, v16, vcc
	v_lshlrev_b32_e32 v15, 16, v6
	v_lshlrev_b32_e32 v13, 20, v13
	v_and_b32_e32 v15, 0x80000000, v15
	v_lshl_add_u32 v8, v8, 23, v10
	v_or3_b32 v15, v15, v8, v13
.LBB508_854:                            ;   in Loop: Header=BB508_796 Depth=1
	s_or_b64 exec, exec, s[20:21]
.LBB508_855:                            ;   in Loop: Header=BB508_796 Depth=1
	s_or_b64 exec, exec, s[18:19]
.LBB508_856:                            ;   in Loop: Header=BB508_796 Depth=1
	s_or_b64 exec, exec, s[16:17]
	v_lshrrev_b32_e32 v8, 16, v6
	v_cmp_ne_u16_sdwa s[18:19], v8, v9 src0_sel:BYTE_0 src1_sel:DWORD
	s_and_saveexec_b64 s[16:17], s[18:19]
	s_cbranch_execz .LBB508_862
; %bb.857:                              ;   in Loop: Header=BB508_796 Depth=1
	v_cmp_ne_u16_sdwa s[20:21], v8, s5 src0_sel:BYTE_0 src1_sel:DWORD
	v_bfrev_b32_e32 v14, 1
	s_and_saveexec_b64 s[18:19], s[20:21]
	s_cbranch_execz .LBB508_861
; %bb.858:                              ;   in Loop: Header=BB508_796 Depth=1
	v_bfe_u32 v13, v6, 16, 7
	v_cmp_ne_u32_e32 vcc, s22, v13
	v_mov_b32_e32 v14, 0x7f800001
	s_and_saveexec_b64 s[20:21], vcc
	s_cbranch_execz .LBB508_860
; %bb.859:                              ;   in Loop: Header=BB508_796 Depth=1
	v_and_b32_e32 v14, 7, v8
	v_ffbh_u32_e32 v16, v14
	v_min_u32_e32 v19, 32, v16
	v_subrev_u32_e32 v16, 28, v19
	v_lshlrev_b64 v[16:17], v16, v[8:9]
	v_lshrrev_b32_e32 v18, 3, v13
	v_sub_u32_e32 v17, 29, v19
	v_and_b32_e32 v16, 7, v16
	v_cmp_gt_u32_e32 vcc, 8, v13
	v_cndmask_b32_e32 v13, v18, v17, vcc
	v_cndmask_b32_e32 v14, v14, v16, vcc
	v_lshlrev_b32_e32 v8, 24, v8
	v_lshlrev_b32_e32 v14, 20, v14
	v_and_b32_e32 v8, 0x80000000, v8
	v_lshl_add_u32 v13, v13, 23, v10
	v_or3_b32 v14, v8, v13, v14
.LBB508_860:                            ;   in Loop: Header=BB508_796 Depth=1
	s_or_b64 exec, exec, s[20:21]
.LBB508_861:                            ;   in Loop: Header=BB508_796 Depth=1
	s_or_b64 exec, exec, s[18:19]
.LBB508_862:                            ;   in Loop: Header=BB508_796 Depth=1
	s_or_b64 exec, exec, s[16:17]
	v_cmp_lt_u32_e32 vcc, s23, v6
	v_mov_b32_e32 v16, 0
	v_mov_b32_e32 v17, 0
	s_and_saveexec_b64 s[16:17], vcc
	s_cbranch_execz .LBB508_868
; %bb.863:                              ;   in Loop: Header=BB508_796 Depth=1
	v_lshrrev_b32_e32 v8, 24, v6
	v_cmp_ne_u32_e32 vcc, s5, v8
	v_bfrev_b32_e32 v17, 1
	s_and_saveexec_b64 s[18:19], vcc
	s_cbranch_execz .LBB508_867
; %bb.864:                              ;   in Loop: Header=BB508_796 Depth=1
	v_bfe_u32 v6, v6, 24, 7
	v_cmp_ne_u32_e32 vcc, s22, v6
	v_mov_b32_e32 v17, 0x7f800001
	s_and_saveexec_b64 s[20:21], vcc
	s_cbranch_execz .LBB508_866
; %bb.865:                              ;   in Loop: Header=BB508_796 Depth=1
	v_and_b32_e32 v13, 7, v8
	v_ffbh_u32_e32 v18, v13
	v_min_u32_e32 v20, 32, v18
	v_subrev_u32_e32 v18, 28, v20
	v_lshlrev_b64 v[18:19], v18, v[8:9]
	v_lshrrev_b32_e32 v17, 3, v6
	v_sub_u32_e32 v19, 29, v20
	v_and_b32_e32 v18, 7, v18
	v_cmp_gt_u32_e32 vcc, 8, v6
	v_cndmask_b32_e32 v6, v17, v19, vcc
	v_cndmask_b32_e32 v13, v13, v18, vcc
	v_lshlrev_b32_e32 v8, 24, v8
	v_lshlrev_b32_e32 v13, 20, v13
	v_and_b32_e32 v8, 0x80000000, v8
	v_lshl_add_u32 v6, v6, 23, v10
	v_or3_b32 v17, v8, v6, v13
.LBB508_866:                            ;   in Loop: Header=BB508_796 Depth=1
	s_or_b64 exec, exec, s[20:21]
.LBB508_867:                            ;   in Loop: Header=BB508_796 Depth=1
	s_or_b64 exec, exec, s[18:19]
.LBB508_868:                            ;   in Loop: Header=BB508_796 Depth=1
	s_or_b64 exec, exec, s[16:17]
	s_waitcnt vmcnt(0)
	v_cmp_ne_u16_sdwa s[18:19], v4, v9 src0_sel:BYTE_0 src1_sel:DWORD
	s_and_saveexec_b64 s[16:17], s[18:19]
	s_cbranch_execz .LBB508_874
; %bb.869:                              ;   in Loop: Header=BB508_796 Depth=1
	v_cmp_ne_u16_sdwa s[20:21], v4, s5 src0_sel:BYTE_0 src1_sel:DWORD
	v_bfrev_b32_e32 v16, 1
	s_and_saveexec_b64 s[18:19], s[20:21]
	s_cbranch_execz .LBB508_873
; %bb.870:                              ;   in Loop: Header=BB508_796 Depth=1
	v_and_b32_e32 v6, 0x7f, v4
	v_cmp_ne_u32_e32 vcc, s22, v6
	v_mov_b32_e32 v16, 0x7f800001
	s_and_saveexec_b64 s[20:21], vcc
	s_cbranch_execz .LBB508_872
; %bb.871:                              ;   in Loop: Header=BB508_796 Depth=1
	v_and_b32_e32 v8, 7, v4
	v_ffbh_u32_e32 v16, v8
	v_min_u32_e32 v16, 32, v16
	v_subrev_u32_e32 v18, 28, v16
	v_lshlrev_b64 v[18:19], v18, v[4:5]
	v_lshrrev_b32_e32 v13, 3, v6
	v_sub_u32_e32 v16, 29, v16
	v_and_b32_e32 v18, 7, v18
	v_cmp_gt_u32_e32 vcc, 8, v6
	v_cndmask_b32_e32 v6, v13, v16, vcc
	v_cndmask_b32_e32 v8, v8, v18, vcc
	v_lshlrev_b32_e32 v13, 24, v4
	v_lshlrev_b32_e32 v8, 20, v8
	v_and_b32_e32 v13, 0x80000000, v13
	v_lshl_add_u32 v6, v6, 23, v10
	v_or3_b32 v16, v13, v6, v8
.LBB508_872:                            ;   in Loop: Header=BB508_796 Depth=1
	s_or_b64 exec, exec, s[20:21]
.LBB508_873:                            ;   in Loop: Header=BB508_796 Depth=1
	s_or_b64 exec, exec, s[18:19]
.LBB508_874:                            ;   in Loop: Header=BB508_796 Depth=1
	s_or_b64 exec, exec, s[16:17]
	v_lshrrev_b16_e32 v6, 8, v4
	v_cmp_ne_u16_e32 vcc, 0, v6
	v_mov_b32_e32 v8, 0
	v_mov_b32_e32 v18, 0
	s_and_saveexec_b64 s[16:17], vcc
	s_cbranch_execz .LBB508_880
; %bb.875:                              ;   in Loop: Header=BB508_796 Depth=1
	v_cmp_ne_u16_e32 vcc, s5, v6
	v_bfrev_b32_e32 v18, 1
	s_and_saveexec_b64 s[18:19], vcc
	s_cbranch_execz .LBB508_879
; %bb.876:                              ;   in Loop: Header=BB508_796 Depth=1
	v_and_b32_e32 v13, 0x7f, v6
	v_cmp_ne_u32_e32 vcc, s22, v13
	v_mov_b32_e32 v18, 0x7f800001
	s_and_saveexec_b64 s[20:21], vcc
	s_cbranch_execz .LBB508_878
; %bb.877:                              ;   in Loop: Header=BB508_796 Depth=1
	v_and_b32_e32 v20, 7, v6
	v_ffbh_u32_e32 v18, v20
	v_min_u32_e32 v22, 32, v18
	v_subrev_u32_e32 v18, 28, v22
	v_lshlrev_b64 v[18:19], v18, v[6:7]
	v_lshrrev_b32_e32 v21, 3, v13
	v_sub_u32_e32 v6, 29, v22
	v_and_b32_e32 v18, 7, v18
	v_cmp_gt_u32_e32 vcc, 8, v13
	v_cndmask_b32_e32 v6, v21, v6, vcc
	v_cndmask_b32_e32 v13, v20, v18, vcc
	v_lshlrev_b32_e32 v18, 16, v4
	v_lshlrev_b32_e32 v13, 20, v13
	v_and_b32_e32 v18, 0x80000000, v18
	v_lshl_add_u32 v6, v6, 23, v10
	v_or3_b32 v18, v18, v6, v13
.LBB508_878:                            ;   in Loop: Header=BB508_796 Depth=1
	s_or_b64 exec, exec, s[20:21]
.LBB508_879:                            ;   in Loop: Header=BB508_796 Depth=1
	s_or_b64 exec, exec, s[18:19]
.LBB508_880:                            ;   in Loop: Header=BB508_796 Depth=1
	s_or_b64 exec, exec, s[16:17]
	v_lshrrev_b32_e32 v6, 16, v4
	v_cmp_ne_u16_sdwa s[18:19], v6, v9 src0_sel:BYTE_0 src1_sel:DWORD
	s_and_saveexec_b64 s[16:17], s[18:19]
	s_cbranch_execz .LBB508_886
; %bb.881:                              ;   in Loop: Header=BB508_796 Depth=1
	v_cmp_ne_u16_sdwa s[20:21], v6, s5 src0_sel:BYTE_0 src1_sel:DWORD
	v_bfrev_b32_e32 v8, 1
	s_and_saveexec_b64 s[18:19], s[20:21]
	s_cbranch_execz .LBB508_885
; %bb.882:                              ;   in Loop: Header=BB508_796 Depth=1
	v_bfe_u32 v13, v4, 16, 7
	v_cmp_ne_u32_e32 vcc, s22, v13
	v_mov_b32_e32 v8, 0x7f800001
	s_and_saveexec_b64 s[20:21], vcc
	s_cbranch_execz .LBB508_884
; %bb.883:                              ;   in Loop: Header=BB508_796 Depth=1
	v_and_b32_e32 v8, 7, v6
	v_ffbh_u32_e32 v20, v8
	v_min_u32_e32 v22, 32, v20
	v_subrev_u32_e32 v20, 28, v22
	v_lshlrev_b64 v[20:21], v20, v[6:7]
	v_lshrrev_b32_e32 v19, 3, v13
	v_sub_u32_e32 v21, 29, v22
	v_and_b32_e32 v20, 7, v20
	v_cmp_gt_u32_e32 vcc, 8, v13
	v_cndmask_b32_e32 v13, v19, v21, vcc
	v_cndmask_b32_e32 v8, v8, v20, vcc
	v_lshlrev_b32_e32 v6, 24, v6
	v_lshlrev_b32_e32 v8, 20, v8
	v_and_b32_e32 v6, 0x80000000, v6
	v_lshl_add_u32 v13, v13, 23, v10
	v_or3_b32 v8, v6, v13, v8
.LBB508_884:                            ;   in Loop: Header=BB508_796 Depth=1
	s_or_b64 exec, exec, s[20:21]
.LBB508_885:                            ;   in Loop: Header=BB508_796 Depth=1
	s_or_b64 exec, exec, s[18:19]
.LBB508_886:                            ;   in Loop: Header=BB508_796 Depth=1
	s_or_b64 exec, exec, s[16:17]
	v_cmp_lt_u32_e32 vcc, s23, v4
	v_mov_b32_e32 v13, 0
	v_mov_b32_e32 v19, 0
	s_and_saveexec_b64 s[16:17], vcc
	s_cbranch_execz .LBB508_892
; %bb.887:                              ;   in Loop: Header=BB508_796 Depth=1
	v_lshrrev_b32_e32 v6, 24, v4
	v_cmp_ne_u32_e32 vcc, s5, v6
	v_bfrev_b32_e32 v19, 1
	s_and_saveexec_b64 s[18:19], vcc
	s_cbranch_execz .LBB508_891
; %bb.888:                              ;   in Loop: Header=BB508_796 Depth=1
	v_bfe_u32 v4, v4, 24, 7
	v_cmp_ne_u32_e32 vcc, s22, v4
	v_mov_b32_e32 v19, 0x7f800001
	s_and_saveexec_b64 s[20:21], vcc
	s_cbranch_execz .LBB508_890
; %bb.889:                              ;   in Loop: Header=BB508_796 Depth=1
	v_and_b32_e32 v19, 7, v6
	v_ffbh_u32_e32 v20, v19
	v_min_u32_e32 v23, 32, v20
	v_subrev_u32_e32 v20, 28, v23
	v_lshlrev_b64 v[20:21], v20, v[6:7]
	v_lshrrev_b32_e32 v22, 3, v4
	v_sub_u32_e32 v21, 29, v23
	v_and_b32_e32 v20, 7, v20
	v_cmp_gt_u32_e32 vcc, 8, v4
	v_cndmask_b32_e32 v4, v22, v21, vcc
	v_cndmask_b32_e32 v19, v19, v20, vcc
	v_lshlrev_b32_e32 v6, 24, v6
	v_lshlrev_b32_e32 v19, 20, v19
	v_and_b32_e32 v6, 0x80000000, v6
	v_lshl_add_u32 v4, v4, 23, v10
	v_or3_b32 v19, v6, v4, v19
.LBB508_890:                            ;   in Loop: Header=BB508_796 Depth=1
	s_or_b64 exec, exec, s[20:21]
.LBB508_891:                            ;   in Loop: Header=BB508_796 Depth=1
	s_or_b64 exec, exec, s[18:19]
.LBB508_892:                            ;   in Loop: Header=BB508_796 Depth=1
	s_or_b64 exec, exec, s[16:17]
	buffer_load_dword v6, v11, s[0:3], 0 offen offset:16
	buffer_load_dword v4, v11, s[0:3], 0 offen offset:20
	v_cvt_pkrtz_f16_f32 v20, v12, v15
	v_cvt_pkrtz_f16_f32 v21, v14, v17
	;; [unrolled: 1-line block ×4, first 2 shown]
	v_mfma_f32_4x4x4f16 a[0:3], v[2:3], v[20:21], a[0:3] cbsz:4 abid:2
	s_waitcnt vmcnt(1)
	v_cmp_ne_u16_sdwa s[18:19], v6, v9 src0_sel:BYTE_0 src1_sel:DWORD
	v_mfma_f32_4x4x4f16 a[0:3], v[2:3], v[14:15], a[0:3] cbsz:4 abid:3
	s_and_saveexec_b64 s[16:17], s[18:19]
	s_cbranch_execz .LBB508_898
; %bb.893:                              ;   in Loop: Header=BB508_796 Depth=1
	v_cmp_ne_u16_sdwa s[20:21], v6, s5 src0_sel:BYTE_0 src1_sel:DWORD
	v_bfrev_b32_e32 v13, 1
	s_and_saveexec_b64 s[18:19], s[20:21]
	s_cbranch_execz .LBB508_897
; %bb.894:                              ;   in Loop: Header=BB508_796 Depth=1
	v_and_b32_e32 v8, 0x7f, v6
	v_cmp_ne_u32_e32 vcc, s22, v8
	v_mov_b32_e32 v13, 0x7f800001
	s_and_saveexec_b64 s[20:21], vcc
	s_cbranch_execz .LBB508_896
; %bb.895:                              ;   in Loop: Header=BB508_796 Depth=1
	v_and_b32_e32 v14, 7, v6
	v_ffbh_u32_e32 v12, v14
	v_min_u32_e32 v16, 32, v12
	v_subrev_u32_e32 v12, 28, v16
	v_lshlrev_b64 v[12:13], v12, v[6:7]
	v_lshrrev_b32_e32 v15, 3, v8
	v_sub_u32_e32 v13, 29, v16
	v_and_b32_e32 v12, 7, v12
	v_cmp_gt_u32_e32 vcc, 8, v8
	v_cndmask_b32_e32 v8, v15, v13, vcc
	v_cndmask_b32_e32 v12, v14, v12, vcc
	v_lshlrev_b32_e32 v13, 24, v6
	v_lshlrev_b32_e32 v12, 20, v12
	v_and_b32_e32 v13, 0x80000000, v13
	v_lshl_add_u32 v8, v8, 23, v10
	v_or3_b32 v13, v13, v8, v12
.LBB508_896:                            ;   in Loop: Header=BB508_796 Depth=1
	s_or_b64 exec, exec, s[20:21]
.LBB508_897:                            ;   in Loop: Header=BB508_796 Depth=1
	s_or_b64 exec, exec, s[18:19]
.LBB508_898:                            ;   in Loop: Header=BB508_796 Depth=1
	s_or_b64 exec, exec, s[16:17]
	v_lshrrev_b16_e32 v8, 8, v6
	v_cmp_ne_u16_e32 vcc, 0, v8
	v_mov_b32_e32 v14, 0
	v_mov_b32_e32 v15, 0
	s_and_saveexec_b64 s[16:17], vcc
	s_cbranch_execz .LBB508_904
; %bb.899:                              ;   in Loop: Header=BB508_796 Depth=1
	v_cmp_ne_u16_e32 vcc, s5, v8
	v_bfrev_b32_e32 v15, 1
	s_and_saveexec_b64 s[18:19], vcc
	s_cbranch_execz .LBB508_903
; %bb.900:                              ;   in Loop: Header=BB508_796 Depth=1
	v_and_b32_e32 v12, 0x7f, v8
	v_cmp_ne_u32_e32 vcc, s22, v12
	v_mov_b32_e32 v15, 0x7f800001
	s_and_saveexec_b64 s[20:21], vcc
	s_cbranch_execz .LBB508_902
; %bb.901:                              ;   in Loop: Header=BB508_796 Depth=1
	v_and_b32_e32 v15, 7, v8
	v_ffbh_u32_e32 v16, v15
	v_min_u32_e32 v19, 32, v16
	v_subrev_u32_e32 v16, 28, v19
	v_lshlrev_b64 v[16:17], v16, v[8:9]
	v_lshrrev_b32_e32 v18, 3, v12
	v_sub_u32_e32 v8, 29, v19
	v_and_b32_e32 v16, 7, v16
	v_cmp_gt_u32_e32 vcc, 8, v12
	v_cndmask_b32_e32 v8, v18, v8, vcc
	v_cndmask_b32_e32 v12, v15, v16, vcc
	v_lshlrev_b32_e32 v15, 16, v6
	v_lshlrev_b32_e32 v12, 20, v12
	v_and_b32_e32 v15, 0x80000000, v15
	v_lshl_add_u32 v8, v8, 23, v10
	v_or3_b32 v15, v15, v8, v12
.LBB508_902:                            ;   in Loop: Header=BB508_796 Depth=1
	s_or_b64 exec, exec, s[20:21]
.LBB508_903:                            ;   in Loop: Header=BB508_796 Depth=1
	s_or_b64 exec, exec, s[18:19]
.LBB508_904:                            ;   in Loop: Header=BB508_796 Depth=1
	s_or_b64 exec, exec, s[16:17]
	v_lshrrev_b32_e32 v8, 16, v6
	v_cmp_ne_u16_sdwa s[18:19], v8, v9 src0_sel:BYTE_0 src1_sel:DWORD
	s_and_saveexec_b64 s[16:17], s[18:19]
	s_cbranch_execz .LBB508_910
; %bb.905:                              ;   in Loop: Header=BB508_796 Depth=1
	v_cmp_ne_u16_sdwa s[20:21], v8, s5 src0_sel:BYTE_0 src1_sel:DWORD
	v_bfrev_b32_e32 v14, 1
	s_and_saveexec_b64 s[18:19], s[20:21]
	s_cbranch_execz .LBB508_909
; %bb.906:                              ;   in Loop: Header=BB508_796 Depth=1
	v_bfe_u32 v12, v6, 16, 7
	v_cmp_ne_u32_e32 vcc, s22, v12
	v_mov_b32_e32 v14, 0x7f800001
	s_and_saveexec_b64 s[20:21], vcc
	s_cbranch_execz .LBB508_908
; %bb.907:                              ;   in Loop: Header=BB508_796 Depth=1
	v_and_b32_e32 v14, 7, v8
	v_ffbh_u32_e32 v16, v14
	v_min_u32_e32 v19, 32, v16
	v_subrev_u32_e32 v16, 28, v19
	v_lshlrev_b64 v[16:17], v16, v[8:9]
	v_lshrrev_b32_e32 v18, 3, v12
	v_sub_u32_e32 v17, 29, v19
	v_and_b32_e32 v16, 7, v16
	v_cmp_gt_u32_e32 vcc, 8, v12
	v_cndmask_b32_e32 v12, v18, v17, vcc
	v_cndmask_b32_e32 v14, v14, v16, vcc
	v_lshlrev_b32_e32 v8, 24, v8
	v_lshlrev_b32_e32 v14, 20, v14
	v_and_b32_e32 v8, 0x80000000, v8
	v_lshl_add_u32 v12, v12, 23, v10
	v_or3_b32 v14, v8, v12, v14
.LBB508_908:                            ;   in Loop: Header=BB508_796 Depth=1
	s_or_b64 exec, exec, s[20:21]
.LBB508_909:                            ;   in Loop: Header=BB508_796 Depth=1
	s_or_b64 exec, exec, s[18:19]
.LBB508_910:                            ;   in Loop: Header=BB508_796 Depth=1
	s_or_b64 exec, exec, s[16:17]
	v_cmp_lt_u32_e32 vcc, s23, v6
	v_mov_b32_e32 v16, 0
	v_mov_b32_e32 v17, 0
	s_and_saveexec_b64 s[16:17], vcc
	s_cbranch_execz .LBB508_916
; %bb.911:                              ;   in Loop: Header=BB508_796 Depth=1
	v_lshrrev_b32_e32 v8, 24, v6
	v_cmp_ne_u32_e32 vcc, s5, v8
	v_bfrev_b32_e32 v17, 1
	s_and_saveexec_b64 s[18:19], vcc
	s_cbranch_execz .LBB508_915
; %bb.912:                              ;   in Loop: Header=BB508_796 Depth=1
	v_bfe_u32 v6, v6, 24, 7
	v_cmp_ne_u32_e32 vcc, s22, v6
	v_mov_b32_e32 v17, 0x7f800001
	s_and_saveexec_b64 s[20:21], vcc
	s_cbranch_execz .LBB508_914
; %bb.913:                              ;   in Loop: Header=BB508_796 Depth=1
	v_and_b32_e32 v12, 7, v8
	v_ffbh_u32_e32 v18, v12
	v_min_u32_e32 v20, 32, v18
	v_subrev_u32_e32 v18, 28, v20
	v_lshlrev_b64 v[18:19], v18, v[8:9]
	v_lshrrev_b32_e32 v17, 3, v6
	v_sub_u32_e32 v19, 29, v20
	v_and_b32_e32 v18, 7, v18
	v_cmp_gt_u32_e32 vcc, 8, v6
	v_cndmask_b32_e32 v6, v17, v19, vcc
	v_cndmask_b32_e32 v12, v12, v18, vcc
	v_lshlrev_b32_e32 v8, 24, v8
	v_lshlrev_b32_e32 v12, 20, v12
	v_and_b32_e32 v8, 0x80000000, v8
	v_lshl_add_u32 v6, v6, 23, v10
	v_or3_b32 v17, v8, v6, v12
.LBB508_914:                            ;   in Loop: Header=BB508_796 Depth=1
	s_or_b64 exec, exec, s[20:21]
.LBB508_915:                            ;   in Loop: Header=BB508_796 Depth=1
	s_or_b64 exec, exec, s[18:19]
.LBB508_916:                            ;   in Loop: Header=BB508_796 Depth=1
	s_or_b64 exec, exec, s[16:17]
	s_waitcnt vmcnt(0)
	v_cmp_ne_u16_sdwa s[18:19], v4, v9 src0_sel:BYTE_0 src1_sel:DWORD
	s_and_saveexec_b64 s[16:17], s[18:19]
	s_cbranch_execz .LBB508_922
; %bb.917:                              ;   in Loop: Header=BB508_796 Depth=1
	v_cmp_ne_u16_sdwa s[20:21], v4, s5 src0_sel:BYTE_0 src1_sel:DWORD
	v_bfrev_b32_e32 v16, 1
	s_and_saveexec_b64 s[18:19], s[20:21]
	s_cbranch_execz .LBB508_921
; %bb.918:                              ;   in Loop: Header=BB508_796 Depth=1
	v_and_b32_e32 v6, 0x7f, v4
	v_cmp_ne_u32_e32 vcc, s22, v6
	v_mov_b32_e32 v16, 0x7f800001
	s_and_saveexec_b64 s[20:21], vcc
	s_cbranch_execz .LBB508_920
; %bb.919:                              ;   in Loop: Header=BB508_796 Depth=1
	v_and_b32_e32 v8, 7, v4
	v_ffbh_u32_e32 v16, v8
	v_min_u32_e32 v16, 32, v16
	v_subrev_u32_e32 v18, 28, v16
	v_lshlrev_b64 v[18:19], v18, v[4:5]
	v_lshrrev_b32_e32 v12, 3, v6
	v_sub_u32_e32 v16, 29, v16
	v_and_b32_e32 v18, 7, v18
	v_cmp_gt_u32_e32 vcc, 8, v6
	v_cndmask_b32_e32 v6, v12, v16, vcc
	v_cndmask_b32_e32 v8, v8, v18, vcc
	v_lshlrev_b32_e32 v12, 24, v4
	v_lshlrev_b32_e32 v8, 20, v8
	v_and_b32_e32 v12, 0x80000000, v12
	v_lshl_add_u32 v6, v6, 23, v10
	v_or3_b32 v16, v12, v6, v8
.LBB508_920:                            ;   in Loop: Header=BB508_796 Depth=1
	s_or_b64 exec, exec, s[20:21]
.LBB508_921:                            ;   in Loop: Header=BB508_796 Depth=1
	s_or_b64 exec, exec, s[18:19]
.LBB508_922:                            ;   in Loop: Header=BB508_796 Depth=1
	s_or_b64 exec, exec, s[16:17]
	v_lshrrev_b16_e32 v6, 8, v4
	v_cmp_ne_u16_e32 vcc, 0, v6
	v_mov_b32_e32 v8, 0
	v_mov_b32_e32 v18, 0
	s_and_saveexec_b64 s[16:17], vcc
	s_cbranch_execz .LBB508_928
; %bb.923:                              ;   in Loop: Header=BB508_796 Depth=1
	v_cmp_ne_u16_e32 vcc, s5, v6
	v_bfrev_b32_e32 v18, 1
	s_and_saveexec_b64 s[18:19], vcc
	s_cbranch_execz .LBB508_927
; %bb.924:                              ;   in Loop: Header=BB508_796 Depth=1
	v_and_b32_e32 v12, 0x7f, v6
	v_cmp_ne_u32_e32 vcc, s22, v12
	v_mov_b32_e32 v18, 0x7f800001
	s_and_saveexec_b64 s[20:21], vcc
	s_cbranch_execz .LBB508_926
; %bb.925:                              ;   in Loop: Header=BB508_796 Depth=1
	v_and_b32_e32 v20, 7, v6
	v_ffbh_u32_e32 v18, v20
	v_min_u32_e32 v22, 32, v18
	v_subrev_u32_e32 v18, 28, v22
	v_lshlrev_b64 v[18:19], v18, v[6:7]
	v_lshrrev_b32_e32 v21, 3, v12
	v_sub_u32_e32 v6, 29, v22
	v_and_b32_e32 v18, 7, v18
	v_cmp_gt_u32_e32 vcc, 8, v12
	v_cndmask_b32_e32 v6, v21, v6, vcc
	v_cndmask_b32_e32 v12, v20, v18, vcc
	v_lshlrev_b32_e32 v18, 16, v4
	v_lshlrev_b32_e32 v12, 20, v12
	v_and_b32_e32 v18, 0x80000000, v18
	v_lshl_add_u32 v6, v6, 23, v10
	v_or3_b32 v18, v18, v6, v12
.LBB508_926:                            ;   in Loop: Header=BB508_796 Depth=1
	s_or_b64 exec, exec, s[20:21]
.LBB508_927:                            ;   in Loop: Header=BB508_796 Depth=1
	s_or_b64 exec, exec, s[18:19]
.LBB508_928:                            ;   in Loop: Header=BB508_796 Depth=1
	s_or_b64 exec, exec, s[16:17]
	v_lshrrev_b32_e32 v6, 16, v4
	v_cmp_ne_u16_sdwa s[18:19], v6, v9 src0_sel:BYTE_0 src1_sel:DWORD
	s_and_saveexec_b64 s[16:17], s[18:19]
	s_cbranch_execz .LBB508_934
; %bb.929:                              ;   in Loop: Header=BB508_796 Depth=1
	v_cmp_ne_u16_sdwa s[20:21], v6, s5 src0_sel:BYTE_0 src1_sel:DWORD
	v_bfrev_b32_e32 v8, 1
	s_and_saveexec_b64 s[18:19], s[20:21]
	s_cbranch_execz .LBB508_933
; %bb.930:                              ;   in Loop: Header=BB508_796 Depth=1
	v_bfe_u32 v12, v4, 16, 7
	v_cmp_ne_u32_e32 vcc, s22, v12
	v_mov_b32_e32 v8, 0x7f800001
	s_and_saveexec_b64 s[20:21], vcc
	s_cbranch_execz .LBB508_932
; %bb.931:                              ;   in Loop: Header=BB508_796 Depth=1
	v_and_b32_e32 v8, 7, v6
	v_ffbh_u32_e32 v20, v8
	v_min_u32_e32 v22, 32, v20
	v_subrev_u32_e32 v20, 28, v22
	v_lshlrev_b64 v[20:21], v20, v[6:7]
	v_lshrrev_b32_e32 v19, 3, v12
	v_sub_u32_e32 v21, 29, v22
	v_and_b32_e32 v20, 7, v20
	v_cmp_gt_u32_e32 vcc, 8, v12
	v_cndmask_b32_e32 v12, v19, v21, vcc
	v_cndmask_b32_e32 v8, v8, v20, vcc
	v_lshlrev_b32_e32 v6, 24, v6
	v_lshlrev_b32_e32 v8, 20, v8
	v_and_b32_e32 v6, 0x80000000, v6
	v_lshl_add_u32 v12, v12, 23, v10
	v_or3_b32 v8, v6, v12, v8
.LBB508_932:                            ;   in Loop: Header=BB508_796 Depth=1
	s_or_b64 exec, exec, s[20:21]
.LBB508_933:                            ;   in Loop: Header=BB508_796 Depth=1
	s_or_b64 exec, exec, s[18:19]
.LBB508_934:                            ;   in Loop: Header=BB508_796 Depth=1
	s_or_b64 exec, exec, s[16:17]
	v_cmp_lt_u32_e32 vcc, s23, v4
	v_mov_b32_e32 v12, 0
	v_mov_b32_e32 v19, 0
	s_and_saveexec_b64 s[16:17], vcc
	s_cbranch_execz .LBB508_940
; %bb.935:                              ;   in Loop: Header=BB508_796 Depth=1
	v_lshrrev_b32_e32 v6, 24, v4
	v_cmp_ne_u32_e32 vcc, s5, v6
	v_bfrev_b32_e32 v19, 1
	s_and_saveexec_b64 s[18:19], vcc
	s_cbranch_execz .LBB508_939
; %bb.936:                              ;   in Loop: Header=BB508_796 Depth=1
	v_bfe_u32 v4, v4, 24, 7
	v_cmp_ne_u32_e32 vcc, s22, v4
	v_mov_b32_e32 v19, 0x7f800001
	s_and_saveexec_b64 s[20:21], vcc
	s_cbranch_execz .LBB508_938
; %bb.937:                              ;   in Loop: Header=BB508_796 Depth=1
	v_and_b32_e32 v19, 7, v6
	v_ffbh_u32_e32 v20, v19
	v_min_u32_e32 v23, 32, v20
	v_subrev_u32_e32 v20, 28, v23
	v_lshlrev_b64 v[20:21], v20, v[6:7]
	v_lshrrev_b32_e32 v22, 3, v4
	v_sub_u32_e32 v21, 29, v23
	v_and_b32_e32 v20, 7, v20
	v_cmp_gt_u32_e32 vcc, 8, v4
	v_cndmask_b32_e32 v4, v22, v21, vcc
	v_cndmask_b32_e32 v19, v19, v20, vcc
	v_lshlrev_b32_e32 v6, 24, v6
	v_lshlrev_b32_e32 v19, 20, v19
	v_and_b32_e32 v6, 0x80000000, v6
	v_lshl_add_u32 v4, v4, 23, v10
	v_or3_b32 v19, v6, v4, v19
.LBB508_938:                            ;   in Loop: Header=BB508_796 Depth=1
	s_or_b64 exec, exec, s[20:21]
.LBB508_939:                            ;   in Loop: Header=BB508_796 Depth=1
	s_or_b64 exec, exec, s[18:19]
.LBB508_940:                            ;   in Loop: Header=BB508_796 Depth=1
	s_or_b64 exec, exec, s[16:17]
	buffer_load_dword v6, v11, s[0:3], 0 offen offset:24
	buffer_load_dword v4, v11, s[0:3], 0 offen offset:28
	v_cvt_pkrtz_f16_f32 v20, v13, v15
	v_cvt_pkrtz_f16_f32 v21, v14, v17
	;; [unrolled: 1-line block ×4, first 2 shown]
	v_mfma_f32_4x4x4f16 a[0:3], v[2:3], v[20:21], a[0:3] cbsz:4 abid:4
	s_waitcnt vmcnt(1)
	v_cmp_ne_u16_sdwa s[18:19], v6, v9 src0_sel:BYTE_0 src1_sel:DWORD
	v_mfma_f32_4x4x4f16 a[0:3], v[2:3], v[14:15], a[0:3] cbsz:4 abid:5
	s_and_saveexec_b64 s[16:17], s[18:19]
	s_cbranch_execz .LBB508_946
; %bb.941:                              ;   in Loop: Header=BB508_796 Depth=1
	v_cmp_ne_u16_sdwa s[20:21], v6, s5 src0_sel:BYTE_0 src1_sel:DWORD
	v_bfrev_b32_e32 v12, 1
	s_and_saveexec_b64 s[18:19], s[20:21]
	s_cbranch_execz .LBB508_945
; %bb.942:                              ;   in Loop: Header=BB508_796 Depth=1
	v_and_b32_e32 v8, 0x7f, v6
	v_cmp_ne_u32_e32 vcc, s22, v8
	v_mov_b32_e32 v12, 0x7f800001
	s_and_saveexec_b64 s[20:21], vcc
	s_cbranch_execz .LBB508_944
; %bb.943:                              ;   in Loop: Header=BB508_796 Depth=1
	v_and_b32_e32 v14, 7, v6
	v_ffbh_u32_e32 v12, v14
	v_min_u32_e32 v16, 32, v12
	v_subrev_u32_e32 v12, 28, v16
	v_lshlrev_b64 v[12:13], v12, v[6:7]
	v_lshrrev_b32_e32 v15, 3, v8
	v_sub_u32_e32 v13, 29, v16
	v_and_b32_e32 v12, 7, v12
	v_cmp_gt_u32_e32 vcc, 8, v8
	v_cndmask_b32_e32 v8, v15, v13, vcc
	v_cndmask_b32_e32 v12, v14, v12, vcc
	v_lshlrev_b32_e32 v13, 24, v6
	v_lshlrev_b32_e32 v12, 20, v12
	v_and_b32_e32 v13, 0x80000000, v13
	v_lshl_add_u32 v8, v8, 23, v10
	v_or3_b32 v12, v13, v8, v12
.LBB508_944:                            ;   in Loop: Header=BB508_796 Depth=1
	s_or_b64 exec, exec, s[20:21]
.LBB508_945:                            ;   in Loop: Header=BB508_796 Depth=1
	s_or_b64 exec, exec, s[18:19]
.LBB508_946:                            ;   in Loop: Header=BB508_796 Depth=1
	s_or_b64 exec, exec, s[16:17]
	v_lshrrev_b16_e32 v8, 8, v6
	v_cmp_ne_u16_e32 vcc, 0, v8
	v_mov_b32_e32 v14, 0
	v_mov_b32_e32 v15, 0
	s_and_saveexec_b64 s[16:17], vcc
	s_cbranch_execz .LBB508_952
; %bb.947:                              ;   in Loop: Header=BB508_796 Depth=1
	v_cmp_ne_u16_e32 vcc, s5, v8
	v_bfrev_b32_e32 v15, 1
	s_and_saveexec_b64 s[18:19], vcc
	s_cbranch_execz .LBB508_951
; %bb.948:                              ;   in Loop: Header=BB508_796 Depth=1
	v_and_b32_e32 v13, 0x7f, v8
	v_cmp_ne_u32_e32 vcc, s22, v13
	v_mov_b32_e32 v15, 0x7f800001
	s_and_saveexec_b64 s[20:21], vcc
	s_cbranch_execz .LBB508_950
; %bb.949:                              ;   in Loop: Header=BB508_796 Depth=1
	v_and_b32_e32 v15, 7, v8
	v_ffbh_u32_e32 v16, v15
	v_min_u32_e32 v19, 32, v16
	v_subrev_u32_e32 v16, 28, v19
	v_lshlrev_b64 v[16:17], v16, v[8:9]
	v_lshrrev_b32_e32 v18, 3, v13
	v_sub_u32_e32 v8, 29, v19
	v_and_b32_e32 v16, 7, v16
	v_cmp_gt_u32_e32 vcc, 8, v13
	v_cndmask_b32_e32 v8, v18, v8, vcc
	v_cndmask_b32_e32 v13, v15, v16, vcc
	v_lshlrev_b32_e32 v15, 16, v6
	v_lshlrev_b32_e32 v13, 20, v13
	v_and_b32_e32 v15, 0x80000000, v15
	v_lshl_add_u32 v8, v8, 23, v10
	v_or3_b32 v15, v15, v8, v13
.LBB508_950:                            ;   in Loop: Header=BB508_796 Depth=1
	s_or_b64 exec, exec, s[20:21]
.LBB508_951:                            ;   in Loop: Header=BB508_796 Depth=1
	s_or_b64 exec, exec, s[18:19]
.LBB508_952:                            ;   in Loop: Header=BB508_796 Depth=1
	s_or_b64 exec, exec, s[16:17]
	v_lshrrev_b32_e32 v8, 16, v6
	v_cmp_ne_u16_sdwa s[18:19], v8, v9 src0_sel:BYTE_0 src1_sel:DWORD
	s_and_saveexec_b64 s[16:17], s[18:19]
	s_cbranch_execz .LBB508_958
; %bb.953:                              ;   in Loop: Header=BB508_796 Depth=1
	v_cmp_ne_u16_sdwa s[20:21], v8, s5 src0_sel:BYTE_0 src1_sel:DWORD
	v_bfrev_b32_e32 v14, 1
	s_and_saveexec_b64 s[18:19], s[20:21]
	s_cbranch_execz .LBB508_957
; %bb.954:                              ;   in Loop: Header=BB508_796 Depth=1
	v_bfe_u32 v13, v6, 16, 7
	v_cmp_ne_u32_e32 vcc, s22, v13
	v_mov_b32_e32 v14, 0x7f800001
	s_and_saveexec_b64 s[20:21], vcc
	s_cbranch_execz .LBB508_956
; %bb.955:                              ;   in Loop: Header=BB508_796 Depth=1
	v_and_b32_e32 v14, 7, v8
	v_ffbh_u32_e32 v16, v14
	v_min_u32_e32 v19, 32, v16
	v_subrev_u32_e32 v16, 28, v19
	v_lshlrev_b64 v[16:17], v16, v[8:9]
	v_lshrrev_b32_e32 v18, 3, v13
	v_sub_u32_e32 v17, 29, v19
	v_and_b32_e32 v16, 7, v16
	v_cmp_gt_u32_e32 vcc, 8, v13
	v_cndmask_b32_e32 v13, v18, v17, vcc
	v_cndmask_b32_e32 v14, v14, v16, vcc
	v_lshlrev_b32_e32 v8, 24, v8
	v_lshlrev_b32_e32 v14, 20, v14
	v_and_b32_e32 v8, 0x80000000, v8
	v_lshl_add_u32 v13, v13, 23, v10
	v_or3_b32 v14, v8, v13, v14
.LBB508_956:                            ;   in Loop: Header=BB508_796 Depth=1
	s_or_b64 exec, exec, s[20:21]
.LBB508_957:                            ;   in Loop: Header=BB508_796 Depth=1
	s_or_b64 exec, exec, s[18:19]
.LBB508_958:                            ;   in Loop: Header=BB508_796 Depth=1
	s_or_b64 exec, exec, s[16:17]
	v_cmp_lt_u32_e32 vcc, s23, v6
	v_mov_b32_e32 v16, 0
	v_mov_b32_e32 v17, 0
	s_and_saveexec_b64 s[16:17], vcc
	s_cbranch_execz .LBB508_964
; %bb.959:                              ;   in Loop: Header=BB508_796 Depth=1
	v_lshrrev_b32_e32 v8, 24, v6
	v_cmp_ne_u32_e32 vcc, s5, v8
	v_bfrev_b32_e32 v17, 1
	s_and_saveexec_b64 s[18:19], vcc
	s_cbranch_execz .LBB508_963
; %bb.960:                              ;   in Loop: Header=BB508_796 Depth=1
	v_bfe_u32 v6, v6, 24, 7
	v_cmp_ne_u32_e32 vcc, s22, v6
	v_mov_b32_e32 v17, 0x7f800001
	s_and_saveexec_b64 s[20:21], vcc
	s_cbranch_execz .LBB508_962
; %bb.961:                              ;   in Loop: Header=BB508_796 Depth=1
	v_and_b32_e32 v13, 7, v8
	v_ffbh_u32_e32 v18, v13
	v_min_u32_e32 v20, 32, v18
	v_subrev_u32_e32 v18, 28, v20
	v_lshlrev_b64 v[18:19], v18, v[8:9]
	v_lshrrev_b32_e32 v17, 3, v6
	v_sub_u32_e32 v19, 29, v20
	v_and_b32_e32 v18, 7, v18
	v_cmp_gt_u32_e32 vcc, 8, v6
	v_cndmask_b32_e32 v6, v17, v19, vcc
	v_cndmask_b32_e32 v13, v13, v18, vcc
	v_lshlrev_b32_e32 v8, 24, v8
	v_lshlrev_b32_e32 v13, 20, v13
	v_and_b32_e32 v8, 0x80000000, v8
	v_lshl_add_u32 v6, v6, 23, v10
	v_or3_b32 v17, v8, v6, v13
.LBB508_962:                            ;   in Loop: Header=BB508_796 Depth=1
	s_or_b64 exec, exec, s[20:21]
.LBB508_963:                            ;   in Loop: Header=BB508_796 Depth=1
	s_or_b64 exec, exec, s[18:19]
.LBB508_964:                            ;   in Loop: Header=BB508_796 Depth=1
	s_or_b64 exec, exec, s[16:17]
	s_waitcnt vmcnt(0)
	v_cmp_ne_u16_sdwa s[18:19], v4, v9 src0_sel:BYTE_0 src1_sel:DWORD
	s_and_saveexec_b64 s[16:17], s[18:19]
	s_cbranch_execz .LBB508_970
; %bb.965:                              ;   in Loop: Header=BB508_796 Depth=1
	v_cmp_ne_u16_sdwa s[20:21], v4, s5 src0_sel:BYTE_0 src1_sel:DWORD
	v_bfrev_b32_e32 v16, 1
	s_and_saveexec_b64 s[18:19], s[20:21]
	s_cbranch_execz .LBB508_969
; %bb.966:                              ;   in Loop: Header=BB508_796 Depth=1
	v_and_b32_e32 v6, 0x7f, v4
	v_cmp_ne_u32_e32 vcc, s22, v6
	v_mov_b32_e32 v16, 0x7f800001
	s_and_saveexec_b64 s[20:21], vcc
	s_cbranch_execz .LBB508_968
; %bb.967:                              ;   in Loop: Header=BB508_796 Depth=1
	v_and_b32_e32 v8, 7, v4
	v_ffbh_u32_e32 v16, v8
	v_min_u32_e32 v16, 32, v16
	v_subrev_u32_e32 v18, 28, v16
	v_lshlrev_b64 v[18:19], v18, v[4:5]
	v_lshrrev_b32_e32 v13, 3, v6
	v_sub_u32_e32 v16, 29, v16
	v_and_b32_e32 v18, 7, v18
	v_cmp_gt_u32_e32 vcc, 8, v6
	v_cndmask_b32_e32 v6, v13, v16, vcc
	v_cndmask_b32_e32 v8, v8, v18, vcc
	v_lshlrev_b32_e32 v13, 24, v4
	v_lshlrev_b32_e32 v8, 20, v8
	v_and_b32_e32 v13, 0x80000000, v13
	v_lshl_add_u32 v6, v6, 23, v10
	v_or3_b32 v16, v13, v6, v8
.LBB508_968:                            ;   in Loop: Header=BB508_796 Depth=1
	s_or_b64 exec, exec, s[20:21]
.LBB508_969:                            ;   in Loop: Header=BB508_796 Depth=1
	s_or_b64 exec, exec, s[18:19]
.LBB508_970:                            ;   in Loop: Header=BB508_796 Depth=1
	s_or_b64 exec, exec, s[16:17]
	v_lshrrev_b16_e32 v6, 8, v4
	v_cmp_ne_u16_e32 vcc, 0, v6
	v_mov_b32_e32 v8, 0
	v_mov_b32_e32 v18, 0
	s_and_saveexec_b64 s[16:17], vcc
	s_cbranch_execz .LBB508_976
; %bb.971:                              ;   in Loop: Header=BB508_796 Depth=1
	v_cmp_ne_u16_e32 vcc, s5, v6
	v_bfrev_b32_e32 v18, 1
	s_and_saveexec_b64 s[18:19], vcc
	s_cbranch_execz .LBB508_975
; %bb.972:                              ;   in Loop: Header=BB508_796 Depth=1
	v_and_b32_e32 v13, 0x7f, v6
	v_cmp_ne_u32_e32 vcc, s22, v13
	v_mov_b32_e32 v18, 0x7f800001
	s_and_saveexec_b64 s[20:21], vcc
	s_cbranch_execz .LBB508_974
; %bb.973:                              ;   in Loop: Header=BB508_796 Depth=1
	v_and_b32_e32 v20, 7, v6
	v_ffbh_u32_e32 v18, v20
	v_min_u32_e32 v22, 32, v18
	v_subrev_u32_e32 v18, 28, v22
	v_lshlrev_b64 v[18:19], v18, v[6:7]
	v_lshrrev_b32_e32 v21, 3, v13
	v_sub_u32_e32 v6, 29, v22
	v_and_b32_e32 v18, 7, v18
	v_cmp_gt_u32_e32 vcc, 8, v13
	v_cndmask_b32_e32 v6, v21, v6, vcc
	v_cndmask_b32_e32 v13, v20, v18, vcc
	v_lshlrev_b32_e32 v18, 16, v4
	v_lshlrev_b32_e32 v13, 20, v13
	v_and_b32_e32 v18, 0x80000000, v18
	v_lshl_add_u32 v6, v6, 23, v10
	v_or3_b32 v18, v18, v6, v13
.LBB508_974:                            ;   in Loop: Header=BB508_796 Depth=1
	s_or_b64 exec, exec, s[20:21]
.LBB508_975:                            ;   in Loop: Header=BB508_796 Depth=1
	s_or_b64 exec, exec, s[18:19]
.LBB508_976:                            ;   in Loop: Header=BB508_796 Depth=1
	s_or_b64 exec, exec, s[16:17]
	v_lshrrev_b32_e32 v6, 16, v4
	v_cmp_ne_u16_sdwa s[18:19], v6, v9 src0_sel:BYTE_0 src1_sel:DWORD
	s_and_saveexec_b64 s[16:17], s[18:19]
	s_cbranch_execz .LBB508_982
; %bb.977:                              ;   in Loop: Header=BB508_796 Depth=1
	v_cmp_ne_u16_sdwa s[20:21], v6, s5 src0_sel:BYTE_0 src1_sel:DWORD
	v_bfrev_b32_e32 v8, 1
	s_and_saveexec_b64 s[18:19], s[20:21]
	s_cbranch_execz .LBB508_981
; %bb.978:                              ;   in Loop: Header=BB508_796 Depth=1
	v_bfe_u32 v13, v4, 16, 7
	v_cmp_ne_u32_e32 vcc, s22, v13
	v_mov_b32_e32 v8, 0x7f800001
	s_and_saveexec_b64 s[20:21], vcc
	s_cbranch_execz .LBB508_980
; %bb.979:                              ;   in Loop: Header=BB508_796 Depth=1
	v_and_b32_e32 v8, 7, v6
	v_ffbh_u32_e32 v20, v8
	v_min_u32_e32 v22, 32, v20
	v_subrev_u32_e32 v20, 28, v22
	v_lshlrev_b64 v[20:21], v20, v[6:7]
	v_lshrrev_b32_e32 v19, 3, v13
	v_sub_u32_e32 v21, 29, v22
	v_and_b32_e32 v20, 7, v20
	v_cmp_gt_u32_e32 vcc, 8, v13
	v_cndmask_b32_e32 v13, v19, v21, vcc
	v_cndmask_b32_e32 v8, v8, v20, vcc
	v_lshlrev_b32_e32 v6, 24, v6
	v_lshlrev_b32_e32 v8, 20, v8
	v_and_b32_e32 v6, 0x80000000, v6
	v_lshl_add_u32 v13, v13, 23, v10
	v_or3_b32 v8, v6, v13, v8
.LBB508_980:                            ;   in Loop: Header=BB508_796 Depth=1
	s_or_b64 exec, exec, s[20:21]
.LBB508_981:                            ;   in Loop: Header=BB508_796 Depth=1
	s_or_b64 exec, exec, s[18:19]
.LBB508_982:                            ;   in Loop: Header=BB508_796 Depth=1
	s_or_b64 exec, exec, s[16:17]
	v_cmp_lt_u32_e32 vcc, s23, v4
	v_mov_b32_e32 v13, 0
	v_mov_b32_e32 v19, 0
	s_and_saveexec_b64 s[16:17], vcc
	s_cbranch_execz .LBB508_988
; %bb.983:                              ;   in Loop: Header=BB508_796 Depth=1
	v_lshrrev_b32_e32 v6, 24, v4
	v_cmp_ne_u32_e32 vcc, s5, v6
	v_bfrev_b32_e32 v19, 1
	s_and_saveexec_b64 s[18:19], vcc
	s_cbranch_execz .LBB508_987
; %bb.984:                              ;   in Loop: Header=BB508_796 Depth=1
	v_bfe_u32 v4, v4, 24, 7
	v_cmp_ne_u32_e32 vcc, s22, v4
	v_mov_b32_e32 v19, 0x7f800001
	s_and_saveexec_b64 s[20:21], vcc
	s_cbranch_execz .LBB508_986
; %bb.985:                              ;   in Loop: Header=BB508_796 Depth=1
	v_and_b32_e32 v19, 7, v6
	v_ffbh_u32_e32 v20, v19
	v_min_u32_e32 v23, 32, v20
	v_subrev_u32_e32 v20, 28, v23
	v_lshlrev_b64 v[20:21], v20, v[6:7]
	v_lshrrev_b32_e32 v22, 3, v4
	v_sub_u32_e32 v21, 29, v23
	v_and_b32_e32 v20, 7, v20
	v_cmp_gt_u32_e32 vcc, 8, v4
	v_cndmask_b32_e32 v4, v22, v21, vcc
	v_cndmask_b32_e32 v19, v19, v20, vcc
	v_lshlrev_b32_e32 v6, 24, v6
	v_lshlrev_b32_e32 v19, 20, v19
	v_and_b32_e32 v6, 0x80000000, v6
	v_lshl_add_u32 v4, v4, 23, v10
	v_or3_b32 v19, v6, v4, v19
.LBB508_986:                            ;   in Loop: Header=BB508_796 Depth=1
	s_or_b64 exec, exec, s[20:21]
.LBB508_987:                            ;   in Loop: Header=BB508_796 Depth=1
	s_or_b64 exec, exec, s[18:19]
.LBB508_988:                            ;   in Loop: Header=BB508_796 Depth=1
	s_or_b64 exec, exec, s[16:17]
	buffer_load_dword v6, v11, s[0:3], 0 offen offset:32
	buffer_load_dword v4, v11, s[0:3], 0 offen offset:36
	v_cvt_pkrtz_f16_f32 v20, v12, v15
	v_cvt_pkrtz_f16_f32 v21, v14, v17
	;; [unrolled: 1-line block ×4, first 2 shown]
	v_mfma_f32_4x4x4f16 a[0:3], v[2:3], v[20:21], a[0:3] cbsz:4 abid:6
	s_waitcnt vmcnt(1)
	v_cmp_ne_u16_sdwa s[18:19], v6, v9 src0_sel:BYTE_0 src1_sel:DWORD
	v_mfma_f32_4x4x4f16 a[0:3], v[2:3], v[14:15], a[0:3] cbsz:4 abid:7
	s_and_saveexec_b64 s[16:17], s[18:19]
	s_cbranch_execz .LBB508_994
; %bb.989:                              ;   in Loop: Header=BB508_796 Depth=1
	v_cmp_ne_u16_sdwa s[20:21], v6, s5 src0_sel:BYTE_0 src1_sel:DWORD
	v_bfrev_b32_e32 v13, 1
	s_and_saveexec_b64 s[18:19], s[20:21]
	s_cbranch_execz .LBB508_993
; %bb.990:                              ;   in Loop: Header=BB508_796 Depth=1
	v_and_b32_e32 v8, 0x7f, v6
	v_cmp_ne_u32_e32 vcc, s22, v8
	v_mov_b32_e32 v13, 0x7f800001
	s_and_saveexec_b64 s[20:21], vcc
	s_cbranch_execz .LBB508_992
; %bb.991:                              ;   in Loop: Header=BB508_796 Depth=1
	v_and_b32_e32 v14, 7, v6
	v_ffbh_u32_e32 v12, v14
	v_min_u32_e32 v16, 32, v12
	v_subrev_u32_e32 v12, 28, v16
	v_lshlrev_b64 v[12:13], v12, v[6:7]
	v_lshrrev_b32_e32 v15, 3, v8
	v_sub_u32_e32 v13, 29, v16
	v_and_b32_e32 v12, 7, v12
	v_cmp_gt_u32_e32 vcc, 8, v8
	v_cndmask_b32_e32 v8, v15, v13, vcc
	v_cndmask_b32_e32 v12, v14, v12, vcc
	v_lshlrev_b32_e32 v13, 24, v6
	v_lshlrev_b32_e32 v12, 20, v12
	v_and_b32_e32 v13, 0x80000000, v13
	v_lshl_add_u32 v8, v8, 23, v10
	v_or3_b32 v13, v13, v8, v12
.LBB508_992:                            ;   in Loop: Header=BB508_796 Depth=1
	s_or_b64 exec, exec, s[20:21]
.LBB508_993:                            ;   in Loop: Header=BB508_796 Depth=1
	s_or_b64 exec, exec, s[18:19]
.LBB508_994:                            ;   in Loop: Header=BB508_796 Depth=1
	s_or_b64 exec, exec, s[16:17]
	v_lshrrev_b16_e32 v8, 8, v6
	v_cmp_ne_u16_e32 vcc, 0, v8
	v_mov_b32_e32 v12, 0
	v_mov_b32_e32 v15, 0
	s_and_saveexec_b64 s[16:17], vcc
	s_cbranch_execz .LBB508_1000
; %bb.995:                              ;   in Loop: Header=BB508_796 Depth=1
	v_cmp_ne_u16_e32 vcc, s5, v8
	v_bfrev_b32_e32 v15, 1
	s_and_saveexec_b64 s[18:19], vcc
	s_cbranch_execz .LBB508_999
; %bb.996:                              ;   in Loop: Header=BB508_796 Depth=1
	v_and_b32_e32 v14, 0x7f, v8
	v_cmp_ne_u32_e32 vcc, s22, v14
	v_mov_b32_e32 v15, 0x7f800001
	s_and_saveexec_b64 s[20:21], vcc
	s_cbranch_execz .LBB508_998
; %bb.997:                              ;   in Loop: Header=BB508_796 Depth=1
	v_and_b32_e32 v15, 7, v8
	v_ffbh_u32_e32 v16, v15
	v_min_u32_e32 v19, 32, v16
	v_subrev_u32_e32 v16, 28, v19
	v_lshlrev_b64 v[16:17], v16, v[8:9]
	v_lshrrev_b32_e32 v18, 3, v14
	v_sub_u32_e32 v8, 29, v19
	v_and_b32_e32 v16, 7, v16
	v_cmp_gt_u32_e32 vcc, 8, v14
	v_cndmask_b32_e32 v8, v18, v8, vcc
	v_cndmask_b32_e32 v14, v15, v16, vcc
	v_lshlrev_b32_e32 v15, 16, v6
	v_lshlrev_b32_e32 v14, 20, v14
	v_and_b32_e32 v15, 0x80000000, v15
	v_lshl_add_u32 v8, v8, 23, v10
	v_or3_b32 v15, v15, v8, v14
.LBB508_998:                            ;   in Loop: Header=BB508_796 Depth=1
	s_or_b64 exec, exec, s[20:21]
.LBB508_999:                            ;   in Loop: Header=BB508_796 Depth=1
	s_or_b64 exec, exec, s[18:19]
.LBB508_1000:                           ;   in Loop: Header=BB508_796 Depth=1
	s_or_b64 exec, exec, s[16:17]
	v_lshrrev_b32_e32 v8, 16, v6
	v_cmp_ne_u16_sdwa s[18:19], v8, v9 src0_sel:BYTE_0 src1_sel:DWORD
	s_and_saveexec_b64 s[16:17], s[18:19]
	s_cbranch_execz .LBB508_1006
; %bb.1001:                             ;   in Loop: Header=BB508_796 Depth=1
	v_cmp_ne_u16_sdwa s[20:21], v8, s5 src0_sel:BYTE_0 src1_sel:DWORD
	v_bfrev_b32_e32 v12, 1
	s_and_saveexec_b64 s[18:19], s[20:21]
	s_cbranch_execz .LBB508_1005
; %bb.1002:                             ;   in Loop: Header=BB508_796 Depth=1
	v_bfe_u32 v14, v6, 16, 7
	v_cmp_ne_u32_e32 vcc, s22, v14
	v_mov_b32_e32 v12, 0x7f800001
	s_and_saveexec_b64 s[20:21], vcc
	s_cbranch_execz .LBB508_1004
; %bb.1003:                             ;   in Loop: Header=BB508_796 Depth=1
	v_and_b32_e32 v12, 7, v8
	v_ffbh_u32_e32 v16, v12
	v_min_u32_e32 v19, 32, v16
	v_subrev_u32_e32 v16, 28, v19
	v_lshlrev_b64 v[16:17], v16, v[8:9]
	v_lshrrev_b32_e32 v18, 3, v14
	v_sub_u32_e32 v17, 29, v19
	v_and_b32_e32 v16, 7, v16
	v_cmp_gt_u32_e32 vcc, 8, v14
	v_cndmask_b32_e32 v14, v18, v17, vcc
	v_cndmask_b32_e32 v12, v12, v16, vcc
	v_lshlrev_b32_e32 v8, 24, v8
	v_lshlrev_b32_e32 v12, 20, v12
	v_and_b32_e32 v8, 0x80000000, v8
	v_lshl_add_u32 v14, v14, 23, v10
	v_or3_b32 v12, v8, v14, v12
.LBB508_1004:                           ;   in Loop: Header=BB508_796 Depth=1
	s_or_b64 exec, exec, s[20:21]
.LBB508_1005:                           ;   in Loop: Header=BB508_796 Depth=1
	s_or_b64 exec, exec, s[18:19]
.LBB508_1006:                           ;   in Loop: Header=BB508_796 Depth=1
	s_or_b64 exec, exec, s[16:17]
	v_cmp_lt_u32_e32 vcc, s23, v6
	v_mov_b32_e32 v16, 0
	v_mov_b32_e32 v17, 0
	s_and_saveexec_b64 s[16:17], vcc
	s_cbranch_execz .LBB508_1012
; %bb.1007:                             ;   in Loop: Header=BB508_796 Depth=1
	v_lshrrev_b32_e32 v8, 24, v6
	v_cmp_ne_u32_e32 vcc, s5, v8
	v_bfrev_b32_e32 v17, 1
	s_and_saveexec_b64 s[18:19], vcc
	s_cbranch_execz .LBB508_1011
; %bb.1008:                             ;   in Loop: Header=BB508_796 Depth=1
	v_bfe_u32 v6, v6, 24, 7
	v_cmp_ne_u32_e32 vcc, s22, v6
	v_mov_b32_e32 v17, 0x7f800001
	s_and_saveexec_b64 s[20:21], vcc
	s_cbranch_execz .LBB508_1010
; %bb.1009:                             ;   in Loop: Header=BB508_796 Depth=1
	v_and_b32_e32 v14, 7, v8
	v_ffbh_u32_e32 v18, v14
	v_min_u32_e32 v20, 32, v18
	v_subrev_u32_e32 v18, 28, v20
	v_lshlrev_b64 v[18:19], v18, v[8:9]
	v_lshrrev_b32_e32 v17, 3, v6
	v_sub_u32_e32 v19, 29, v20
	v_and_b32_e32 v18, 7, v18
	v_cmp_gt_u32_e32 vcc, 8, v6
	v_cndmask_b32_e32 v6, v17, v19, vcc
	v_cndmask_b32_e32 v14, v14, v18, vcc
	v_lshlrev_b32_e32 v8, 24, v8
	v_lshlrev_b32_e32 v14, 20, v14
	v_and_b32_e32 v8, 0x80000000, v8
	v_lshl_add_u32 v6, v6, 23, v10
	v_or3_b32 v17, v8, v6, v14
.LBB508_1010:                           ;   in Loop: Header=BB508_796 Depth=1
	s_or_b64 exec, exec, s[20:21]
.LBB508_1011:                           ;   in Loop: Header=BB508_796 Depth=1
	s_or_b64 exec, exec, s[18:19]
.LBB508_1012:                           ;   in Loop: Header=BB508_796 Depth=1
	s_or_b64 exec, exec, s[16:17]
	s_waitcnt vmcnt(0)
	v_cmp_ne_u16_sdwa s[18:19], v4, v9 src0_sel:BYTE_0 src1_sel:DWORD
	s_and_saveexec_b64 s[16:17], s[18:19]
	s_cbranch_execz .LBB508_1018
; %bb.1013:                             ;   in Loop: Header=BB508_796 Depth=1
	v_cmp_ne_u16_sdwa s[20:21], v4, s5 src0_sel:BYTE_0 src1_sel:DWORD
	v_bfrev_b32_e32 v16, 1
	s_and_saveexec_b64 s[18:19], s[20:21]
	s_cbranch_execz .LBB508_1017
; %bb.1014:                             ;   in Loop: Header=BB508_796 Depth=1
	v_and_b32_e32 v6, 0x7f, v4
	v_cmp_ne_u32_e32 vcc, s22, v6
	v_mov_b32_e32 v16, 0x7f800001
	s_and_saveexec_b64 s[20:21], vcc
	s_cbranch_execz .LBB508_1016
; %bb.1015:                             ;   in Loop: Header=BB508_796 Depth=1
	v_and_b32_e32 v8, 7, v4
	v_ffbh_u32_e32 v16, v8
	v_min_u32_e32 v16, 32, v16
	v_subrev_u32_e32 v18, 28, v16
	v_lshlrev_b64 v[18:19], v18, v[4:5]
	v_lshrrev_b32_e32 v14, 3, v6
	v_sub_u32_e32 v16, 29, v16
	v_and_b32_e32 v18, 7, v18
	v_cmp_gt_u32_e32 vcc, 8, v6
	v_cndmask_b32_e32 v6, v14, v16, vcc
	v_cndmask_b32_e32 v8, v8, v18, vcc
	v_lshlrev_b32_e32 v14, 24, v4
	v_lshlrev_b32_e32 v8, 20, v8
	v_and_b32_e32 v14, 0x80000000, v14
	v_lshl_add_u32 v6, v6, 23, v10
	v_or3_b32 v16, v14, v6, v8
.LBB508_1016:                           ;   in Loop: Header=BB508_796 Depth=1
	s_or_b64 exec, exec, s[20:21]
.LBB508_1017:                           ;   in Loop: Header=BB508_796 Depth=1
	s_or_b64 exec, exec, s[18:19]
.LBB508_1018:                           ;   in Loop: Header=BB508_796 Depth=1
	s_or_b64 exec, exec, s[16:17]
	v_lshrrev_b16_e32 v6, 8, v4
	v_cmp_ne_u16_e32 vcc, 0, v6
	v_mov_b32_e32 v8, 0
	v_mov_b32_e32 v18, 0
	s_and_saveexec_b64 s[16:17], vcc
	s_cbranch_execz .LBB508_1024
; %bb.1019:                             ;   in Loop: Header=BB508_796 Depth=1
	v_cmp_ne_u16_e32 vcc, s5, v6
	v_bfrev_b32_e32 v18, 1
	s_and_saveexec_b64 s[18:19], vcc
	s_cbranch_execz .LBB508_1023
; %bb.1020:                             ;   in Loop: Header=BB508_796 Depth=1
	v_and_b32_e32 v14, 0x7f, v6
	v_cmp_ne_u32_e32 vcc, s22, v14
	v_mov_b32_e32 v18, 0x7f800001
	s_and_saveexec_b64 s[20:21], vcc
	s_cbranch_execz .LBB508_1022
; %bb.1021:                             ;   in Loop: Header=BB508_796 Depth=1
	v_and_b32_e32 v20, 7, v6
	v_ffbh_u32_e32 v18, v20
	v_min_u32_e32 v22, 32, v18
	v_subrev_u32_e32 v18, 28, v22
	v_lshlrev_b64 v[18:19], v18, v[6:7]
	v_lshrrev_b32_e32 v21, 3, v14
	v_sub_u32_e32 v6, 29, v22
	v_and_b32_e32 v18, 7, v18
	v_cmp_gt_u32_e32 vcc, 8, v14
	v_cndmask_b32_e32 v6, v21, v6, vcc
	v_cndmask_b32_e32 v14, v20, v18, vcc
	v_lshlrev_b32_e32 v18, 16, v4
	v_lshlrev_b32_e32 v14, 20, v14
	v_and_b32_e32 v18, 0x80000000, v18
	v_lshl_add_u32 v6, v6, 23, v10
	v_or3_b32 v18, v18, v6, v14
.LBB508_1022:                           ;   in Loop: Header=BB508_796 Depth=1
	s_or_b64 exec, exec, s[20:21]
.LBB508_1023:                           ;   in Loop: Header=BB508_796 Depth=1
	s_or_b64 exec, exec, s[18:19]
.LBB508_1024:                           ;   in Loop: Header=BB508_796 Depth=1
	s_or_b64 exec, exec, s[16:17]
	v_lshrrev_b32_e32 v6, 16, v4
	v_cmp_ne_u16_sdwa s[18:19], v6, v9 src0_sel:BYTE_0 src1_sel:DWORD
	s_and_saveexec_b64 s[16:17], s[18:19]
	s_cbranch_execz .LBB508_1030
; %bb.1025:                             ;   in Loop: Header=BB508_796 Depth=1
	v_cmp_ne_u16_sdwa s[20:21], v6, s5 src0_sel:BYTE_0 src1_sel:DWORD
	v_bfrev_b32_e32 v8, 1
	s_and_saveexec_b64 s[18:19], s[20:21]
	s_cbranch_execz .LBB508_1029
; %bb.1026:                             ;   in Loop: Header=BB508_796 Depth=1
	v_bfe_u32 v14, v4, 16, 7
	v_cmp_ne_u32_e32 vcc, s22, v14
	v_mov_b32_e32 v8, 0x7f800001
	s_and_saveexec_b64 s[20:21], vcc
	s_cbranch_execz .LBB508_1028
; %bb.1027:                             ;   in Loop: Header=BB508_796 Depth=1
	v_and_b32_e32 v8, 7, v6
	v_ffbh_u32_e32 v20, v8
	v_min_u32_e32 v22, 32, v20
	v_subrev_u32_e32 v20, 28, v22
	v_lshlrev_b64 v[20:21], v20, v[6:7]
	v_lshrrev_b32_e32 v19, 3, v14
	v_sub_u32_e32 v21, 29, v22
	v_and_b32_e32 v20, 7, v20
	v_cmp_gt_u32_e32 vcc, 8, v14
	v_cndmask_b32_e32 v14, v19, v21, vcc
	v_cndmask_b32_e32 v8, v8, v20, vcc
	v_lshlrev_b32_e32 v6, 24, v6
	v_lshlrev_b32_e32 v8, 20, v8
	v_and_b32_e32 v6, 0x80000000, v6
	v_lshl_add_u32 v14, v14, 23, v10
	v_or3_b32 v8, v6, v14, v8
.LBB508_1028:                           ;   in Loop: Header=BB508_796 Depth=1
	s_or_b64 exec, exec, s[20:21]
.LBB508_1029:                           ;   in Loop: Header=BB508_796 Depth=1
	s_or_b64 exec, exec, s[18:19]
.LBB508_1030:                           ;   in Loop: Header=BB508_796 Depth=1
	s_or_b64 exec, exec, s[16:17]
	v_cmp_lt_u32_e32 vcc, s23, v4
	v_mov_b32_e32 v14, 0
	v_mov_b32_e32 v19, 0
	s_and_saveexec_b64 s[16:17], vcc
	s_cbranch_execz .LBB508_1036
; %bb.1031:                             ;   in Loop: Header=BB508_796 Depth=1
	v_lshrrev_b32_e32 v6, 24, v4
	v_cmp_ne_u32_e32 vcc, s5, v6
	v_bfrev_b32_e32 v19, 1
	s_and_saveexec_b64 s[18:19], vcc
	s_cbranch_execz .LBB508_1035
; %bb.1032:                             ;   in Loop: Header=BB508_796 Depth=1
	v_bfe_u32 v4, v4, 24, 7
	v_cmp_ne_u32_e32 vcc, s22, v4
	v_mov_b32_e32 v19, 0x7f800001
	s_and_saveexec_b64 s[20:21], vcc
	s_cbranch_execz .LBB508_1034
; %bb.1033:                             ;   in Loop: Header=BB508_796 Depth=1
	v_and_b32_e32 v19, 7, v6
	v_ffbh_u32_e32 v20, v19
	v_min_u32_e32 v23, 32, v20
	v_subrev_u32_e32 v20, 28, v23
	v_lshlrev_b64 v[20:21], v20, v[6:7]
	v_lshrrev_b32_e32 v22, 3, v4
	v_sub_u32_e32 v21, 29, v23
	v_and_b32_e32 v20, 7, v20
	v_cmp_gt_u32_e32 vcc, 8, v4
	v_cndmask_b32_e32 v4, v22, v21, vcc
	v_cndmask_b32_e32 v19, v19, v20, vcc
	v_lshlrev_b32_e32 v6, 24, v6
	v_lshlrev_b32_e32 v19, 20, v19
	v_and_b32_e32 v6, 0x80000000, v6
	v_lshl_add_u32 v4, v4, 23, v10
	v_or3_b32 v19, v6, v4, v19
.LBB508_1034:                           ;   in Loop: Header=BB508_796 Depth=1
	s_or_b64 exec, exec, s[20:21]
.LBB508_1035:                           ;   in Loop: Header=BB508_796 Depth=1
	s_or_b64 exec, exec, s[18:19]
.LBB508_1036:                           ;   in Loop: Header=BB508_796 Depth=1
	s_or_b64 exec, exec, s[16:17]
	buffer_load_dword v6, v11, s[0:3], 0 offen offset:40
	buffer_load_dword v4, v11, s[0:3], 0 offen offset:44
	v_cvt_pkrtz_f16_f32 v20, v13, v15
	v_cvt_pkrtz_f16_f32 v21, v12, v17
	;; [unrolled: 1-line block ×4, first 2 shown]
	v_mfma_f32_4x4x4f16 a[0:3], v[2:3], v[20:21], a[0:3] cbsz:4 abid:8
	s_waitcnt vmcnt(1)
	v_cmp_ne_u16_sdwa s[18:19], v6, v9 src0_sel:BYTE_0 src1_sel:DWORD
	v_mfma_f32_4x4x4f16 a[0:3], v[2:3], v[12:13], a[0:3] cbsz:4 abid:9
	s_and_saveexec_b64 s[16:17], s[18:19]
	s_cbranch_execz .LBB508_1042
; %bb.1037:                             ;   in Loop: Header=BB508_796 Depth=1
	v_cmp_ne_u16_sdwa s[20:21], v6, s5 src0_sel:BYTE_0 src1_sel:DWORD
	v_bfrev_b32_e32 v14, 1
	s_and_saveexec_b64 s[18:19], s[20:21]
	s_cbranch_execz .LBB508_1041
; %bb.1038:                             ;   in Loop: Header=BB508_796 Depth=1
	v_and_b32_e32 v8, 0x7f, v6
	v_cmp_ne_u32_e32 vcc, s22, v8
	v_mov_b32_e32 v14, 0x7f800001
	s_and_saveexec_b64 s[20:21], vcc
	s_cbranch_execz .LBB508_1040
; %bb.1039:                             ;   in Loop: Header=BB508_796 Depth=1
	v_and_b32_e32 v14, 7, v6
	v_ffbh_u32_e32 v12, v14
	v_min_u32_e32 v16, 32, v12
	v_subrev_u32_e32 v12, 28, v16
	v_lshlrev_b64 v[12:13], v12, v[6:7]
	v_lshrrev_b32_e32 v15, 3, v8
	v_sub_u32_e32 v13, 29, v16
	v_and_b32_e32 v12, 7, v12
	v_cmp_gt_u32_e32 vcc, 8, v8
	v_cndmask_b32_e32 v8, v15, v13, vcc
	v_cndmask_b32_e32 v12, v14, v12, vcc
	v_lshlrev_b32_e32 v13, 24, v6
	v_lshlrev_b32_e32 v12, 20, v12
	v_and_b32_e32 v13, 0x80000000, v13
	v_lshl_add_u32 v8, v8, 23, v10
	v_or3_b32 v14, v13, v8, v12
.LBB508_1040:                           ;   in Loop: Header=BB508_796 Depth=1
	s_or_b64 exec, exec, s[20:21]
.LBB508_1041:                           ;   in Loop: Header=BB508_796 Depth=1
	s_or_b64 exec, exec, s[18:19]
.LBB508_1042:                           ;   in Loop: Header=BB508_796 Depth=1
	s_or_b64 exec, exec, s[16:17]
	v_lshrrev_b16_e32 v8, 8, v6
	v_cmp_ne_u16_e32 vcc, 0, v8
	v_mov_b32_e32 v13, 0
	v_mov_b32_e32 v15, 0
	s_and_saveexec_b64 s[16:17], vcc
	s_cbranch_execz .LBB508_1048
; %bb.1043:                             ;   in Loop: Header=BB508_796 Depth=1
	v_cmp_ne_u16_e32 vcc, s5, v8
	v_bfrev_b32_e32 v15, 1
	s_and_saveexec_b64 s[18:19], vcc
	s_cbranch_execz .LBB508_1047
; %bb.1044:                             ;   in Loop: Header=BB508_796 Depth=1
	v_and_b32_e32 v12, 0x7f, v8
	v_cmp_ne_u32_e32 vcc, s22, v12
	v_mov_b32_e32 v15, 0x7f800001
	s_and_saveexec_b64 s[20:21], vcc
	s_cbranch_execz .LBB508_1046
; %bb.1045:                             ;   in Loop: Header=BB508_796 Depth=1
	v_and_b32_e32 v15, 7, v8
	v_ffbh_u32_e32 v16, v15
	v_min_u32_e32 v19, 32, v16
	v_subrev_u32_e32 v16, 28, v19
	v_lshlrev_b64 v[16:17], v16, v[8:9]
	v_lshrrev_b32_e32 v18, 3, v12
	v_sub_u32_e32 v8, 29, v19
	v_and_b32_e32 v16, 7, v16
	v_cmp_gt_u32_e32 vcc, 8, v12
	v_cndmask_b32_e32 v8, v18, v8, vcc
	v_cndmask_b32_e32 v12, v15, v16, vcc
	v_lshlrev_b32_e32 v15, 16, v6
	v_lshlrev_b32_e32 v12, 20, v12
	v_and_b32_e32 v15, 0x80000000, v15
	v_lshl_add_u32 v8, v8, 23, v10
	v_or3_b32 v15, v15, v8, v12
.LBB508_1046:                           ;   in Loop: Header=BB508_796 Depth=1
	s_or_b64 exec, exec, s[20:21]
.LBB508_1047:                           ;   in Loop: Header=BB508_796 Depth=1
	s_or_b64 exec, exec, s[18:19]
.LBB508_1048:                           ;   in Loop: Header=BB508_796 Depth=1
	s_or_b64 exec, exec, s[16:17]
	v_lshrrev_b32_e32 v8, 16, v6
	v_cmp_ne_u16_sdwa s[18:19], v8, v9 src0_sel:BYTE_0 src1_sel:DWORD
	s_and_saveexec_b64 s[16:17], s[18:19]
	s_cbranch_execz .LBB508_1054
; %bb.1049:                             ;   in Loop: Header=BB508_796 Depth=1
	v_cmp_ne_u16_sdwa s[20:21], v8, s5 src0_sel:BYTE_0 src1_sel:DWORD
	v_bfrev_b32_e32 v13, 1
	s_and_saveexec_b64 s[18:19], s[20:21]
	s_cbranch_execz .LBB508_1053
; %bb.1050:                             ;   in Loop: Header=BB508_796 Depth=1
	v_bfe_u32 v12, v6, 16, 7
	v_cmp_ne_u32_e32 vcc, s22, v12
	v_mov_b32_e32 v13, 0x7f800001
	s_and_saveexec_b64 s[20:21], vcc
	s_cbranch_execz .LBB508_1052
; %bb.1051:                             ;   in Loop: Header=BB508_796 Depth=1
	v_and_b32_e32 v13, 7, v8
	v_ffbh_u32_e32 v16, v13
	v_min_u32_e32 v19, 32, v16
	v_subrev_u32_e32 v16, 28, v19
	v_lshlrev_b64 v[16:17], v16, v[8:9]
	v_lshrrev_b32_e32 v18, 3, v12
	v_sub_u32_e32 v17, 29, v19
	v_and_b32_e32 v16, 7, v16
	v_cmp_gt_u32_e32 vcc, 8, v12
	v_cndmask_b32_e32 v12, v18, v17, vcc
	v_cndmask_b32_e32 v13, v13, v16, vcc
	v_lshlrev_b32_e32 v8, 24, v8
	v_lshlrev_b32_e32 v13, 20, v13
	v_and_b32_e32 v8, 0x80000000, v8
	v_lshl_add_u32 v12, v12, 23, v10
	v_or3_b32 v13, v8, v12, v13
.LBB508_1052:                           ;   in Loop: Header=BB508_796 Depth=1
	s_or_b64 exec, exec, s[20:21]
.LBB508_1053:                           ;   in Loop: Header=BB508_796 Depth=1
	s_or_b64 exec, exec, s[18:19]
.LBB508_1054:                           ;   in Loop: Header=BB508_796 Depth=1
	s_or_b64 exec, exec, s[16:17]
	v_cmp_lt_u32_e32 vcc, s23, v6
	v_mov_b32_e32 v16, 0
	v_mov_b32_e32 v17, 0
	s_and_saveexec_b64 s[16:17], vcc
	s_cbranch_execz .LBB508_1060
; %bb.1055:                             ;   in Loop: Header=BB508_796 Depth=1
	v_lshrrev_b32_e32 v8, 24, v6
	v_cmp_ne_u32_e32 vcc, s5, v8
	v_bfrev_b32_e32 v17, 1
	s_and_saveexec_b64 s[18:19], vcc
	s_cbranch_execz .LBB508_1059
; %bb.1056:                             ;   in Loop: Header=BB508_796 Depth=1
	v_bfe_u32 v6, v6, 24, 7
	v_cmp_ne_u32_e32 vcc, s22, v6
	v_mov_b32_e32 v17, 0x7f800001
	s_and_saveexec_b64 s[20:21], vcc
	s_cbranch_execz .LBB508_1058
; %bb.1057:                             ;   in Loop: Header=BB508_796 Depth=1
	v_and_b32_e32 v12, 7, v8
	v_ffbh_u32_e32 v18, v12
	v_min_u32_e32 v20, 32, v18
	v_subrev_u32_e32 v18, 28, v20
	v_lshlrev_b64 v[18:19], v18, v[8:9]
	v_lshrrev_b32_e32 v17, 3, v6
	v_sub_u32_e32 v19, 29, v20
	v_and_b32_e32 v18, 7, v18
	v_cmp_gt_u32_e32 vcc, 8, v6
	v_cndmask_b32_e32 v6, v17, v19, vcc
	v_cndmask_b32_e32 v12, v12, v18, vcc
	v_lshlrev_b32_e32 v8, 24, v8
	v_lshlrev_b32_e32 v12, 20, v12
	v_and_b32_e32 v8, 0x80000000, v8
	v_lshl_add_u32 v6, v6, 23, v10
	v_or3_b32 v17, v8, v6, v12
.LBB508_1058:                           ;   in Loop: Header=BB508_796 Depth=1
	s_or_b64 exec, exec, s[20:21]
.LBB508_1059:                           ;   in Loop: Header=BB508_796 Depth=1
	s_or_b64 exec, exec, s[18:19]
.LBB508_1060:                           ;   in Loop: Header=BB508_796 Depth=1
	s_or_b64 exec, exec, s[16:17]
	s_waitcnt vmcnt(0)
	v_cmp_ne_u16_sdwa s[18:19], v4, v9 src0_sel:BYTE_0 src1_sel:DWORD
	s_and_saveexec_b64 s[16:17], s[18:19]
	s_cbranch_execz .LBB508_1066
; %bb.1061:                             ;   in Loop: Header=BB508_796 Depth=1
	v_cmp_ne_u16_sdwa s[20:21], v4, s5 src0_sel:BYTE_0 src1_sel:DWORD
	v_bfrev_b32_e32 v16, 1
	s_and_saveexec_b64 s[18:19], s[20:21]
	s_cbranch_execz .LBB508_1065
; %bb.1062:                             ;   in Loop: Header=BB508_796 Depth=1
	v_and_b32_e32 v6, 0x7f, v4
	v_cmp_ne_u32_e32 vcc, s22, v6
	v_mov_b32_e32 v16, 0x7f800001
	s_and_saveexec_b64 s[20:21], vcc
	s_cbranch_execz .LBB508_1064
; %bb.1063:                             ;   in Loop: Header=BB508_796 Depth=1
	v_and_b32_e32 v8, 7, v4
	v_ffbh_u32_e32 v16, v8
	v_min_u32_e32 v16, 32, v16
	v_subrev_u32_e32 v18, 28, v16
	v_lshlrev_b64 v[18:19], v18, v[4:5]
	v_lshrrev_b32_e32 v12, 3, v6
	v_sub_u32_e32 v16, 29, v16
	v_and_b32_e32 v18, 7, v18
	v_cmp_gt_u32_e32 vcc, 8, v6
	v_cndmask_b32_e32 v6, v12, v16, vcc
	v_cndmask_b32_e32 v8, v8, v18, vcc
	v_lshlrev_b32_e32 v12, 24, v4
	v_lshlrev_b32_e32 v8, 20, v8
	v_and_b32_e32 v12, 0x80000000, v12
	v_lshl_add_u32 v6, v6, 23, v10
	v_or3_b32 v16, v12, v6, v8
.LBB508_1064:                           ;   in Loop: Header=BB508_796 Depth=1
	s_or_b64 exec, exec, s[20:21]
.LBB508_1065:                           ;   in Loop: Header=BB508_796 Depth=1
	s_or_b64 exec, exec, s[18:19]
.LBB508_1066:                           ;   in Loop: Header=BB508_796 Depth=1
	s_or_b64 exec, exec, s[16:17]
	v_lshrrev_b16_e32 v6, 8, v4
	v_cmp_ne_u16_e32 vcc, 0, v6
	v_mov_b32_e32 v8, 0
	v_mov_b32_e32 v18, 0
	s_and_saveexec_b64 s[16:17], vcc
	s_cbranch_execz .LBB508_1072
; %bb.1067:                             ;   in Loop: Header=BB508_796 Depth=1
	v_cmp_ne_u16_e32 vcc, s5, v6
	v_bfrev_b32_e32 v18, 1
	s_and_saveexec_b64 s[18:19], vcc
	s_cbranch_execz .LBB508_1071
; %bb.1068:                             ;   in Loop: Header=BB508_796 Depth=1
	v_and_b32_e32 v12, 0x7f, v6
	v_cmp_ne_u32_e32 vcc, s22, v12
	v_mov_b32_e32 v18, 0x7f800001
	s_and_saveexec_b64 s[20:21], vcc
	s_cbranch_execz .LBB508_1070
; %bb.1069:                             ;   in Loop: Header=BB508_796 Depth=1
	v_and_b32_e32 v20, 7, v6
	v_ffbh_u32_e32 v18, v20
	v_min_u32_e32 v22, 32, v18
	v_subrev_u32_e32 v18, 28, v22
	v_lshlrev_b64 v[18:19], v18, v[6:7]
	v_lshrrev_b32_e32 v21, 3, v12
	v_sub_u32_e32 v6, 29, v22
	v_and_b32_e32 v18, 7, v18
	v_cmp_gt_u32_e32 vcc, 8, v12
	v_cndmask_b32_e32 v6, v21, v6, vcc
	v_cndmask_b32_e32 v12, v20, v18, vcc
	v_lshlrev_b32_e32 v18, 16, v4
	v_lshlrev_b32_e32 v12, 20, v12
	v_and_b32_e32 v18, 0x80000000, v18
	v_lshl_add_u32 v6, v6, 23, v10
	v_or3_b32 v18, v18, v6, v12
.LBB508_1070:                           ;   in Loop: Header=BB508_796 Depth=1
	s_or_b64 exec, exec, s[20:21]
.LBB508_1071:                           ;   in Loop: Header=BB508_796 Depth=1
	s_or_b64 exec, exec, s[18:19]
.LBB508_1072:                           ;   in Loop: Header=BB508_796 Depth=1
	s_or_b64 exec, exec, s[16:17]
	v_lshrrev_b32_e32 v6, 16, v4
	v_cmp_ne_u16_sdwa s[18:19], v6, v9 src0_sel:BYTE_0 src1_sel:DWORD
	s_and_saveexec_b64 s[16:17], s[18:19]
	s_cbranch_execz .LBB508_1078
; %bb.1073:                             ;   in Loop: Header=BB508_796 Depth=1
	v_cmp_ne_u16_sdwa s[20:21], v6, s5 src0_sel:BYTE_0 src1_sel:DWORD
	v_bfrev_b32_e32 v8, 1
	s_and_saveexec_b64 s[18:19], s[20:21]
	s_cbranch_execz .LBB508_1077
; %bb.1074:                             ;   in Loop: Header=BB508_796 Depth=1
	v_bfe_u32 v12, v4, 16, 7
	v_cmp_ne_u32_e32 vcc, s22, v12
	v_mov_b32_e32 v8, 0x7f800001
	s_and_saveexec_b64 s[20:21], vcc
	s_cbranch_execz .LBB508_1076
; %bb.1075:                             ;   in Loop: Header=BB508_796 Depth=1
	v_and_b32_e32 v8, 7, v6
	v_ffbh_u32_e32 v20, v8
	v_min_u32_e32 v22, 32, v20
	v_subrev_u32_e32 v20, 28, v22
	v_lshlrev_b64 v[20:21], v20, v[6:7]
	v_lshrrev_b32_e32 v19, 3, v12
	v_sub_u32_e32 v21, 29, v22
	v_and_b32_e32 v20, 7, v20
	v_cmp_gt_u32_e32 vcc, 8, v12
	v_cndmask_b32_e32 v12, v19, v21, vcc
	v_cndmask_b32_e32 v8, v8, v20, vcc
	v_lshlrev_b32_e32 v6, 24, v6
	v_lshlrev_b32_e32 v8, 20, v8
	v_and_b32_e32 v6, 0x80000000, v6
	v_lshl_add_u32 v12, v12, 23, v10
	v_or3_b32 v8, v6, v12, v8
.LBB508_1076:                           ;   in Loop: Header=BB508_796 Depth=1
	s_or_b64 exec, exec, s[20:21]
.LBB508_1077:                           ;   in Loop: Header=BB508_796 Depth=1
	s_or_b64 exec, exec, s[18:19]
.LBB508_1078:                           ;   in Loop: Header=BB508_796 Depth=1
	s_or_b64 exec, exec, s[16:17]
	v_cmp_lt_u32_e32 vcc, s23, v4
	v_mov_b32_e32 v12, 0
	v_mov_b32_e32 v19, 0
	s_and_saveexec_b64 s[16:17], vcc
	s_cbranch_execz .LBB508_1084
; %bb.1079:                             ;   in Loop: Header=BB508_796 Depth=1
	v_lshrrev_b32_e32 v6, 24, v4
	v_cmp_ne_u32_e32 vcc, s5, v6
	v_bfrev_b32_e32 v19, 1
	s_and_saveexec_b64 s[18:19], vcc
	s_cbranch_execz .LBB508_1083
; %bb.1080:                             ;   in Loop: Header=BB508_796 Depth=1
	v_bfe_u32 v4, v4, 24, 7
	v_cmp_ne_u32_e32 vcc, s22, v4
	v_mov_b32_e32 v19, 0x7f800001
	s_and_saveexec_b64 s[20:21], vcc
	s_cbranch_execz .LBB508_1082
; %bb.1081:                             ;   in Loop: Header=BB508_796 Depth=1
	v_and_b32_e32 v19, 7, v6
	v_ffbh_u32_e32 v20, v19
	v_min_u32_e32 v23, 32, v20
	v_subrev_u32_e32 v20, 28, v23
	v_lshlrev_b64 v[20:21], v20, v[6:7]
	v_lshrrev_b32_e32 v22, 3, v4
	v_sub_u32_e32 v21, 29, v23
	v_and_b32_e32 v20, 7, v20
	v_cmp_gt_u32_e32 vcc, 8, v4
	v_cndmask_b32_e32 v4, v22, v21, vcc
	v_cndmask_b32_e32 v19, v19, v20, vcc
	v_lshlrev_b32_e32 v6, 24, v6
	v_lshlrev_b32_e32 v19, 20, v19
	v_and_b32_e32 v6, 0x80000000, v6
	v_lshl_add_u32 v4, v4, 23, v10
	v_or3_b32 v19, v6, v4, v19
.LBB508_1082:                           ;   in Loop: Header=BB508_796 Depth=1
	s_or_b64 exec, exec, s[20:21]
.LBB508_1083:                           ;   in Loop: Header=BB508_796 Depth=1
	s_or_b64 exec, exec, s[18:19]
.LBB508_1084:                           ;   in Loop: Header=BB508_796 Depth=1
	s_or_b64 exec, exec, s[16:17]
	buffer_load_dword v6, v11, s[0:3], 0 offen offset:48
	buffer_load_dword v4, v11, s[0:3], 0 offen offset:52
	v_cvt_pkrtz_f16_f32 v14, v14, v15
	v_cvt_pkrtz_f16_f32 v15, v13, v17
	;; [unrolled: 1-line block ×4, first 2 shown]
	v_mfma_f32_4x4x4f16 a[0:3], v[2:3], v[14:15], a[0:3] cbsz:4 abid:10
	s_waitcnt vmcnt(1)
	v_cmp_ne_u16_sdwa s[18:19], v6, v9 src0_sel:BYTE_0 src1_sel:DWORD
	v_mfma_f32_4x4x4f16 a[0:3], v[2:3], v[16:17], a[0:3] cbsz:4 abid:11
	s_and_saveexec_b64 s[16:17], s[18:19]
	s_cbranch_execz .LBB508_1090
; %bb.1085:                             ;   in Loop: Header=BB508_796 Depth=1
	v_cmp_ne_u16_sdwa s[20:21], v6, s5 src0_sel:BYTE_0 src1_sel:DWORD
	v_bfrev_b32_e32 v12, 1
	s_and_saveexec_b64 s[18:19], s[20:21]
	s_cbranch_execz .LBB508_1089
; %bb.1086:                             ;   in Loop: Header=BB508_796 Depth=1
	v_and_b32_e32 v8, 0x7f, v6
	v_cmp_ne_u32_e32 vcc, s22, v8
	v_mov_b32_e32 v12, 0x7f800001
	s_and_saveexec_b64 s[20:21], vcc
	s_cbranch_execz .LBB508_1088
; %bb.1087:                             ;   in Loop: Header=BB508_796 Depth=1
	v_and_b32_e32 v14, 7, v6
	v_ffbh_u32_e32 v12, v14
	v_min_u32_e32 v16, 32, v12
	v_subrev_u32_e32 v12, 28, v16
	v_lshlrev_b64 v[12:13], v12, v[6:7]
	v_lshrrev_b32_e32 v15, 3, v8
	v_sub_u32_e32 v13, 29, v16
	v_and_b32_e32 v12, 7, v12
	v_cmp_gt_u32_e32 vcc, 8, v8
	v_cndmask_b32_e32 v8, v15, v13, vcc
	v_cndmask_b32_e32 v12, v14, v12, vcc
	v_lshlrev_b32_e32 v13, 24, v6
	v_lshlrev_b32_e32 v12, 20, v12
	v_and_b32_e32 v13, 0x80000000, v13
	v_lshl_add_u32 v8, v8, 23, v10
	v_or3_b32 v12, v13, v8, v12
.LBB508_1088:                           ;   in Loop: Header=BB508_796 Depth=1
	s_or_b64 exec, exec, s[20:21]
.LBB508_1089:                           ;   in Loop: Header=BB508_796 Depth=1
	s_or_b64 exec, exec, s[18:19]
.LBB508_1090:                           ;   in Loop: Header=BB508_796 Depth=1
	s_or_b64 exec, exec, s[16:17]
	v_lshrrev_b16_e32 v8, 8, v6
	v_cmp_ne_u16_e32 vcc, 0, v8
	v_mov_b32_e32 v14, 0
	v_mov_b32_e32 v15, 0
	s_and_saveexec_b64 s[16:17], vcc
	s_cbranch_execz .LBB508_1096
; %bb.1091:                             ;   in Loop: Header=BB508_796 Depth=1
	v_cmp_ne_u16_e32 vcc, s5, v8
	v_bfrev_b32_e32 v15, 1
	s_and_saveexec_b64 s[18:19], vcc
	s_cbranch_execz .LBB508_1095
; %bb.1092:                             ;   in Loop: Header=BB508_796 Depth=1
	v_and_b32_e32 v13, 0x7f, v8
	v_cmp_ne_u32_e32 vcc, s22, v13
	v_mov_b32_e32 v15, 0x7f800001
	s_and_saveexec_b64 s[20:21], vcc
	s_cbranch_execz .LBB508_1094
; %bb.1093:                             ;   in Loop: Header=BB508_796 Depth=1
	v_and_b32_e32 v15, 7, v8
	v_ffbh_u32_e32 v16, v15
	v_min_u32_e32 v19, 32, v16
	v_subrev_u32_e32 v16, 28, v19
	v_lshlrev_b64 v[16:17], v16, v[8:9]
	v_lshrrev_b32_e32 v18, 3, v13
	v_sub_u32_e32 v8, 29, v19
	v_and_b32_e32 v16, 7, v16
	v_cmp_gt_u32_e32 vcc, 8, v13
	v_cndmask_b32_e32 v8, v18, v8, vcc
	v_cndmask_b32_e32 v13, v15, v16, vcc
	v_lshlrev_b32_e32 v15, 16, v6
	v_lshlrev_b32_e32 v13, 20, v13
	v_and_b32_e32 v15, 0x80000000, v15
	v_lshl_add_u32 v8, v8, 23, v10
	v_or3_b32 v15, v15, v8, v13
.LBB508_1094:                           ;   in Loop: Header=BB508_796 Depth=1
	s_or_b64 exec, exec, s[20:21]
.LBB508_1095:                           ;   in Loop: Header=BB508_796 Depth=1
	s_or_b64 exec, exec, s[18:19]
.LBB508_1096:                           ;   in Loop: Header=BB508_796 Depth=1
	s_or_b64 exec, exec, s[16:17]
	v_lshrrev_b32_e32 v8, 16, v6
	v_cmp_ne_u16_sdwa s[18:19], v8, v9 src0_sel:BYTE_0 src1_sel:DWORD
	s_and_saveexec_b64 s[16:17], s[18:19]
	s_cbranch_execz .LBB508_1102
; %bb.1097:                             ;   in Loop: Header=BB508_796 Depth=1
	v_cmp_ne_u16_sdwa s[20:21], v8, s5 src0_sel:BYTE_0 src1_sel:DWORD
	v_bfrev_b32_e32 v14, 1
	s_and_saveexec_b64 s[18:19], s[20:21]
	s_cbranch_execz .LBB508_1101
; %bb.1098:                             ;   in Loop: Header=BB508_796 Depth=1
	v_bfe_u32 v13, v6, 16, 7
	v_cmp_ne_u32_e32 vcc, s22, v13
	v_mov_b32_e32 v14, 0x7f800001
	s_and_saveexec_b64 s[20:21], vcc
	s_cbranch_execz .LBB508_1100
; %bb.1099:                             ;   in Loop: Header=BB508_796 Depth=1
	v_and_b32_e32 v14, 7, v8
	v_ffbh_u32_e32 v16, v14
	v_min_u32_e32 v19, 32, v16
	v_subrev_u32_e32 v16, 28, v19
	v_lshlrev_b64 v[16:17], v16, v[8:9]
	v_lshrrev_b32_e32 v18, 3, v13
	v_sub_u32_e32 v17, 29, v19
	v_and_b32_e32 v16, 7, v16
	v_cmp_gt_u32_e32 vcc, 8, v13
	v_cndmask_b32_e32 v13, v18, v17, vcc
	v_cndmask_b32_e32 v14, v14, v16, vcc
	v_lshlrev_b32_e32 v8, 24, v8
	v_lshlrev_b32_e32 v14, 20, v14
	v_and_b32_e32 v8, 0x80000000, v8
	v_lshl_add_u32 v13, v13, 23, v10
	v_or3_b32 v14, v8, v13, v14
.LBB508_1100:                           ;   in Loop: Header=BB508_796 Depth=1
	s_or_b64 exec, exec, s[20:21]
.LBB508_1101:                           ;   in Loop: Header=BB508_796 Depth=1
	s_or_b64 exec, exec, s[18:19]
.LBB508_1102:                           ;   in Loop: Header=BB508_796 Depth=1
	s_or_b64 exec, exec, s[16:17]
	v_cmp_lt_u32_e32 vcc, s23, v6
	v_mov_b32_e32 v16, 0
	v_mov_b32_e32 v17, 0
	s_and_saveexec_b64 s[16:17], vcc
	s_cbranch_execz .LBB508_1108
; %bb.1103:                             ;   in Loop: Header=BB508_796 Depth=1
	v_lshrrev_b32_e32 v8, 24, v6
	v_cmp_ne_u32_e32 vcc, s5, v8
	v_bfrev_b32_e32 v17, 1
	s_and_saveexec_b64 s[18:19], vcc
	s_cbranch_execz .LBB508_1107
; %bb.1104:                             ;   in Loop: Header=BB508_796 Depth=1
	v_bfe_u32 v6, v6, 24, 7
	v_cmp_ne_u32_e32 vcc, s22, v6
	v_mov_b32_e32 v17, 0x7f800001
	s_and_saveexec_b64 s[20:21], vcc
	s_cbranch_execz .LBB508_1106
; %bb.1105:                             ;   in Loop: Header=BB508_796 Depth=1
	v_and_b32_e32 v13, 7, v8
	v_ffbh_u32_e32 v18, v13
	v_min_u32_e32 v20, 32, v18
	v_subrev_u32_e32 v18, 28, v20
	v_lshlrev_b64 v[18:19], v18, v[8:9]
	v_lshrrev_b32_e32 v17, 3, v6
	v_sub_u32_e32 v19, 29, v20
	v_and_b32_e32 v18, 7, v18
	v_cmp_gt_u32_e32 vcc, 8, v6
	v_cndmask_b32_e32 v6, v17, v19, vcc
	v_cndmask_b32_e32 v13, v13, v18, vcc
	v_lshlrev_b32_e32 v8, 24, v8
	v_lshlrev_b32_e32 v13, 20, v13
	v_and_b32_e32 v8, 0x80000000, v8
	v_lshl_add_u32 v6, v6, 23, v10
	v_or3_b32 v17, v8, v6, v13
.LBB508_1106:                           ;   in Loop: Header=BB508_796 Depth=1
	s_or_b64 exec, exec, s[20:21]
.LBB508_1107:                           ;   in Loop: Header=BB508_796 Depth=1
	s_or_b64 exec, exec, s[18:19]
.LBB508_1108:                           ;   in Loop: Header=BB508_796 Depth=1
	s_or_b64 exec, exec, s[16:17]
	s_waitcnt vmcnt(0)
	v_cmp_ne_u16_sdwa s[18:19], v4, v9 src0_sel:BYTE_0 src1_sel:DWORD
	s_and_saveexec_b64 s[16:17], s[18:19]
	s_cbranch_execz .LBB508_1114
; %bb.1109:                             ;   in Loop: Header=BB508_796 Depth=1
	v_cmp_ne_u16_sdwa s[20:21], v4, s5 src0_sel:BYTE_0 src1_sel:DWORD
	v_bfrev_b32_e32 v16, 1
	s_and_saveexec_b64 s[18:19], s[20:21]
	s_cbranch_execz .LBB508_1113
; %bb.1110:                             ;   in Loop: Header=BB508_796 Depth=1
	v_and_b32_e32 v6, 0x7f, v4
	v_cmp_ne_u32_e32 vcc, s22, v6
	v_mov_b32_e32 v16, 0x7f800001
	s_and_saveexec_b64 s[20:21], vcc
	s_cbranch_execz .LBB508_1112
; %bb.1111:                             ;   in Loop: Header=BB508_796 Depth=1
	v_and_b32_e32 v8, 7, v4
	v_ffbh_u32_e32 v16, v8
	v_min_u32_e32 v16, 32, v16
	v_subrev_u32_e32 v18, 28, v16
	v_lshlrev_b64 v[18:19], v18, v[4:5]
	v_lshrrev_b32_e32 v13, 3, v6
	v_sub_u32_e32 v16, 29, v16
	v_and_b32_e32 v18, 7, v18
	v_cmp_gt_u32_e32 vcc, 8, v6
	v_cndmask_b32_e32 v6, v13, v16, vcc
	v_cndmask_b32_e32 v8, v8, v18, vcc
	v_lshlrev_b32_e32 v13, 24, v4
	v_lshlrev_b32_e32 v8, 20, v8
	v_and_b32_e32 v13, 0x80000000, v13
	v_lshl_add_u32 v6, v6, 23, v10
	v_or3_b32 v16, v13, v6, v8
.LBB508_1112:                           ;   in Loop: Header=BB508_796 Depth=1
	s_or_b64 exec, exec, s[20:21]
.LBB508_1113:                           ;   in Loop: Header=BB508_796 Depth=1
	s_or_b64 exec, exec, s[18:19]
.LBB508_1114:                           ;   in Loop: Header=BB508_796 Depth=1
	s_or_b64 exec, exec, s[16:17]
	v_lshrrev_b16_e32 v6, 8, v4
	v_cmp_ne_u16_e32 vcc, 0, v6
	v_mov_b32_e32 v8, 0
	v_mov_b32_e32 v18, 0
	s_and_saveexec_b64 s[16:17], vcc
	s_cbranch_execz .LBB508_1120
; %bb.1115:                             ;   in Loop: Header=BB508_796 Depth=1
	v_cmp_ne_u16_e32 vcc, s5, v6
	v_bfrev_b32_e32 v18, 1
	s_and_saveexec_b64 s[18:19], vcc
	s_cbranch_execz .LBB508_1119
; %bb.1116:                             ;   in Loop: Header=BB508_796 Depth=1
	v_and_b32_e32 v13, 0x7f, v6
	v_cmp_ne_u32_e32 vcc, s22, v13
	v_mov_b32_e32 v18, 0x7f800001
	s_and_saveexec_b64 s[20:21], vcc
	s_cbranch_execz .LBB508_1118
; %bb.1117:                             ;   in Loop: Header=BB508_796 Depth=1
	v_and_b32_e32 v20, 7, v6
	v_ffbh_u32_e32 v18, v20
	v_min_u32_e32 v22, 32, v18
	v_subrev_u32_e32 v18, 28, v22
	v_lshlrev_b64 v[18:19], v18, v[6:7]
	v_lshrrev_b32_e32 v21, 3, v13
	v_sub_u32_e32 v6, 29, v22
	v_and_b32_e32 v18, 7, v18
	v_cmp_gt_u32_e32 vcc, 8, v13
	v_cndmask_b32_e32 v6, v21, v6, vcc
	v_cndmask_b32_e32 v13, v20, v18, vcc
	v_lshlrev_b32_e32 v18, 16, v4
	v_lshlrev_b32_e32 v13, 20, v13
	v_and_b32_e32 v18, 0x80000000, v18
	v_lshl_add_u32 v6, v6, 23, v10
	v_or3_b32 v18, v18, v6, v13
.LBB508_1118:                           ;   in Loop: Header=BB508_796 Depth=1
	s_or_b64 exec, exec, s[20:21]
.LBB508_1119:                           ;   in Loop: Header=BB508_796 Depth=1
	s_or_b64 exec, exec, s[18:19]
.LBB508_1120:                           ;   in Loop: Header=BB508_796 Depth=1
	s_or_b64 exec, exec, s[16:17]
	v_lshrrev_b32_e32 v6, 16, v4
	v_cmp_ne_u16_sdwa s[18:19], v6, v9 src0_sel:BYTE_0 src1_sel:DWORD
	s_and_saveexec_b64 s[16:17], s[18:19]
	s_cbranch_execz .LBB508_1126
; %bb.1121:                             ;   in Loop: Header=BB508_796 Depth=1
	v_cmp_ne_u16_sdwa s[20:21], v6, s5 src0_sel:BYTE_0 src1_sel:DWORD
	v_bfrev_b32_e32 v8, 1
	s_and_saveexec_b64 s[18:19], s[20:21]
	s_cbranch_execz .LBB508_1125
; %bb.1122:                             ;   in Loop: Header=BB508_796 Depth=1
	v_bfe_u32 v13, v4, 16, 7
	v_cmp_ne_u32_e32 vcc, s22, v13
	v_mov_b32_e32 v8, 0x7f800001
	s_and_saveexec_b64 s[20:21], vcc
	s_cbranch_execz .LBB508_1124
; %bb.1123:                             ;   in Loop: Header=BB508_796 Depth=1
	v_and_b32_e32 v8, 7, v6
	v_ffbh_u32_e32 v20, v8
	v_min_u32_e32 v22, 32, v20
	v_subrev_u32_e32 v20, 28, v22
	v_lshlrev_b64 v[20:21], v20, v[6:7]
	v_lshrrev_b32_e32 v19, 3, v13
	v_sub_u32_e32 v21, 29, v22
	v_and_b32_e32 v20, 7, v20
	v_cmp_gt_u32_e32 vcc, 8, v13
	v_cndmask_b32_e32 v13, v19, v21, vcc
	v_cndmask_b32_e32 v8, v8, v20, vcc
	v_lshlrev_b32_e32 v6, 24, v6
	v_lshlrev_b32_e32 v8, 20, v8
	v_and_b32_e32 v6, 0x80000000, v6
	v_lshl_add_u32 v13, v13, 23, v10
	v_or3_b32 v8, v6, v13, v8
.LBB508_1124:                           ;   in Loop: Header=BB508_796 Depth=1
	s_or_b64 exec, exec, s[20:21]
.LBB508_1125:                           ;   in Loop: Header=BB508_796 Depth=1
	s_or_b64 exec, exec, s[18:19]
.LBB508_1126:                           ;   in Loop: Header=BB508_796 Depth=1
	s_or_b64 exec, exec, s[16:17]
	v_cmp_lt_u32_e32 vcc, s23, v4
	v_mov_b32_e32 v13, 0
	v_mov_b32_e32 v19, 0
	s_and_saveexec_b64 s[16:17], vcc
	s_cbranch_execz .LBB508_1132
; %bb.1127:                             ;   in Loop: Header=BB508_796 Depth=1
	v_lshrrev_b32_e32 v6, 24, v4
	v_cmp_ne_u32_e32 vcc, s5, v6
	v_bfrev_b32_e32 v19, 1
	s_and_saveexec_b64 s[18:19], vcc
	s_cbranch_execz .LBB508_1131
; %bb.1128:                             ;   in Loop: Header=BB508_796 Depth=1
	v_bfe_u32 v4, v4, 24, 7
	v_cmp_ne_u32_e32 vcc, s22, v4
	v_mov_b32_e32 v19, 0x7f800001
	s_and_saveexec_b64 s[20:21], vcc
	s_cbranch_execz .LBB508_1130
; %bb.1129:                             ;   in Loop: Header=BB508_796 Depth=1
	v_and_b32_e32 v19, 7, v6
	v_ffbh_u32_e32 v20, v19
	v_min_u32_e32 v23, 32, v20
	v_subrev_u32_e32 v20, 28, v23
	v_lshlrev_b64 v[20:21], v20, v[6:7]
	v_lshrrev_b32_e32 v22, 3, v4
	v_sub_u32_e32 v21, 29, v23
	v_and_b32_e32 v20, 7, v20
	v_cmp_gt_u32_e32 vcc, 8, v4
	v_cndmask_b32_e32 v4, v22, v21, vcc
	v_cndmask_b32_e32 v19, v19, v20, vcc
	v_lshlrev_b32_e32 v6, 24, v6
	v_lshlrev_b32_e32 v19, 20, v19
	v_and_b32_e32 v6, 0x80000000, v6
	v_lshl_add_u32 v4, v4, 23, v10
	v_or3_b32 v19, v6, v4, v19
.LBB508_1130:                           ;   in Loop: Header=BB508_796 Depth=1
	s_or_b64 exec, exec, s[20:21]
.LBB508_1131:                           ;   in Loop: Header=BB508_796 Depth=1
	s_or_b64 exec, exec, s[18:19]
.LBB508_1132:                           ;   in Loop: Header=BB508_796 Depth=1
	s_or_b64 exec, exec, s[16:17]
	buffer_load_dword v6, v11, s[0:3], 0 offen offset:56
	buffer_load_dword v4, v11, s[0:3], 0 offen offset:60
	v_cvt_pkrtz_f16_f32 v20, v12, v15
	v_cvt_pkrtz_f16_f32 v21, v14, v17
	;; [unrolled: 1-line block ×4, first 2 shown]
	v_mfma_f32_4x4x4f16 a[0:3], v[2:3], v[20:21], a[0:3] cbsz:4 abid:12
	s_waitcnt vmcnt(1)
	v_cmp_ne_u16_sdwa s[18:19], v6, v9 src0_sel:BYTE_0 src1_sel:DWORD
	v_mfma_f32_4x4x4f16 a[0:3], v[2:3], v[14:15], a[0:3] cbsz:4 abid:13
	s_and_saveexec_b64 s[16:17], s[18:19]
	s_cbranch_execz .LBB508_1138
; %bb.1133:                             ;   in Loop: Header=BB508_796 Depth=1
	v_cmp_ne_u16_sdwa s[20:21], v6, s5 src0_sel:BYTE_0 src1_sel:DWORD
	v_bfrev_b32_e32 v13, 1
	s_and_saveexec_b64 s[18:19], s[20:21]
	s_cbranch_execz .LBB508_1137
; %bb.1134:                             ;   in Loop: Header=BB508_796 Depth=1
	v_and_b32_e32 v8, 0x7f, v6
	v_cmp_ne_u32_e32 vcc, s22, v8
	v_mov_b32_e32 v13, 0x7f800001
	s_and_saveexec_b64 s[20:21], vcc
	s_cbranch_execz .LBB508_1136
; %bb.1135:                             ;   in Loop: Header=BB508_796 Depth=1
	v_and_b32_e32 v11, 7, v6
	v_ffbh_u32_e32 v12, v11
	v_min_u32_e32 v15, 32, v12
	v_subrev_u32_e32 v12, 28, v15
	v_lshlrev_b64 v[12:13], v12, v[6:7]
	v_lshrrev_b32_e32 v14, 3, v8
	v_sub_u32_e32 v13, 29, v15
	v_and_b32_e32 v12, 7, v12
	v_cmp_gt_u32_e32 vcc, 8, v8
	v_cndmask_b32_e32 v8, v14, v13, vcc
	v_cndmask_b32_e32 v11, v11, v12, vcc
	v_lshlrev_b32_e32 v12, 24, v6
	v_lshlrev_b32_e32 v11, 20, v11
	v_and_b32_e32 v12, 0x80000000, v12
	v_lshl_add_u32 v8, v8, 23, v10
	v_or3_b32 v13, v12, v8, v11
.LBB508_1136:                           ;   in Loop: Header=BB508_796 Depth=1
	s_or_b64 exec, exec, s[20:21]
.LBB508_1137:                           ;   in Loop: Header=BB508_796 Depth=1
	s_or_b64 exec, exec, s[18:19]
.LBB508_1138:                           ;   in Loop: Header=BB508_796 Depth=1
	s_or_b64 exec, exec, s[16:17]
	v_lshrrev_b16_e32 v8, 8, v6
	v_cmp_ne_u16_e32 vcc, 0, v8
	v_mov_b32_e32 v11, 0
	v_mov_b32_e32 v12, 0
	s_and_saveexec_b64 s[16:17], vcc
	s_cbranch_execz .LBB508_1144
; %bb.1139:                             ;   in Loop: Header=BB508_796 Depth=1
	v_cmp_ne_u16_e32 vcc, s5, v8
	v_bfrev_b32_e32 v12, 1
	s_and_saveexec_b64 s[18:19], vcc
	s_cbranch_execz .LBB508_1143
; %bb.1140:                             ;   in Loop: Header=BB508_796 Depth=1
	v_and_b32_e32 v14, 0x7f, v8
	v_cmp_ne_u32_e32 vcc, s22, v14
	v_mov_b32_e32 v12, 0x7f800001
	s_and_saveexec_b64 s[20:21], vcc
	s_cbranch_execz .LBB508_1142
; %bb.1141:                             ;   in Loop: Header=BB508_796 Depth=1
	v_and_b32_e32 v12, 7, v8
	v_ffbh_u32_e32 v16, v12
	v_min_u32_e32 v18, 32, v16
	v_subrev_u32_e32 v16, 28, v18
	v_lshlrev_b64 v[16:17], v16, v[8:9]
	v_lshrrev_b32_e32 v15, 3, v14
	v_sub_u32_e32 v8, 29, v18
	v_and_b32_e32 v16, 7, v16
	v_cmp_gt_u32_e32 vcc, 8, v14
	v_cndmask_b32_e32 v8, v15, v8, vcc
	v_cndmask_b32_e32 v12, v12, v16, vcc
	v_lshlrev_b32_e32 v14, 16, v6
	v_lshlrev_b32_e32 v12, 20, v12
	v_and_b32_e32 v14, 0x80000000, v14
	v_lshl_add_u32 v8, v8, 23, v10
	v_or3_b32 v12, v14, v8, v12
.LBB508_1142:                           ;   in Loop: Header=BB508_796 Depth=1
	s_or_b64 exec, exec, s[20:21]
.LBB508_1143:                           ;   in Loop: Header=BB508_796 Depth=1
	s_or_b64 exec, exec, s[18:19]
.LBB508_1144:                           ;   in Loop: Header=BB508_796 Depth=1
	s_or_b64 exec, exec, s[16:17]
	v_lshrrev_b32_e32 v8, 16, v6
	v_cmp_ne_u16_sdwa s[18:19], v8, v9 src0_sel:BYTE_0 src1_sel:DWORD
	s_and_saveexec_b64 s[16:17], s[18:19]
	s_cbranch_execz .LBB508_1150
; %bb.1145:                             ;   in Loop: Header=BB508_796 Depth=1
	v_cmp_ne_u16_sdwa s[20:21], v8, s5 src0_sel:BYTE_0 src1_sel:DWORD
	v_bfrev_b32_e32 v11, 1
	s_and_saveexec_b64 s[18:19], s[20:21]
	s_cbranch_execz .LBB508_1149
; %bb.1146:                             ;   in Loop: Header=BB508_796 Depth=1
	v_bfe_u32 v14, v6, 16, 7
	v_cmp_ne_u32_e32 vcc, s22, v14
	v_mov_b32_e32 v11, 0x7f800001
	s_and_saveexec_b64 s[20:21], vcc
	s_cbranch_execz .LBB508_1148
; %bb.1147:                             ;   in Loop: Header=BB508_796 Depth=1
	v_and_b32_e32 v11, 7, v8
	v_ffbh_u32_e32 v16, v11
	v_min_u32_e32 v18, 32, v16
	v_subrev_u32_e32 v16, 28, v18
	v_lshlrev_b64 v[16:17], v16, v[8:9]
	v_lshrrev_b32_e32 v15, 3, v14
	v_sub_u32_e32 v17, 29, v18
	v_and_b32_e32 v16, 7, v16
	v_cmp_gt_u32_e32 vcc, 8, v14
	v_cndmask_b32_e32 v14, v15, v17, vcc
	v_cndmask_b32_e32 v11, v11, v16, vcc
	v_lshlrev_b32_e32 v8, 24, v8
	v_lshlrev_b32_e32 v11, 20, v11
	v_and_b32_e32 v8, 0x80000000, v8
	v_lshl_add_u32 v14, v14, 23, v10
	v_or3_b32 v11, v8, v14, v11
.LBB508_1148:                           ;   in Loop: Header=BB508_796 Depth=1
	s_or_b64 exec, exec, s[20:21]
.LBB508_1149:                           ;   in Loop: Header=BB508_796 Depth=1
	s_or_b64 exec, exec, s[18:19]
.LBB508_1150:                           ;   in Loop: Header=BB508_796 Depth=1
	s_or_b64 exec, exec, s[16:17]
	v_cmp_lt_u32_e32 vcc, s23, v6
	v_mov_b32_e32 v14, 0
	v_mov_b32_e32 v15, 0
	s_and_saveexec_b64 s[16:17], vcc
	s_cbranch_execz .LBB508_1156
; %bb.1151:                             ;   in Loop: Header=BB508_796 Depth=1
	v_lshrrev_b32_e32 v8, 24, v6
	v_cmp_ne_u32_e32 vcc, s5, v8
	v_bfrev_b32_e32 v15, 1
	s_and_saveexec_b64 s[18:19], vcc
	s_cbranch_execz .LBB508_1155
; %bb.1152:                             ;   in Loop: Header=BB508_796 Depth=1
	v_bfe_u32 v6, v6, 24, 7
	v_cmp_ne_u32_e32 vcc, s22, v6
	v_mov_b32_e32 v15, 0x7f800001
	s_and_saveexec_b64 s[20:21], vcc
	s_cbranch_execz .LBB508_1154
; %bb.1153:                             ;   in Loop: Header=BB508_796 Depth=1
	v_and_b32_e32 v15, 7, v8
	v_ffbh_u32_e32 v16, v15
	v_min_u32_e32 v19, 32, v16
	v_subrev_u32_e32 v16, 28, v19
	v_lshlrev_b64 v[16:17], v16, v[8:9]
	v_lshrrev_b32_e32 v18, 3, v6
	v_sub_u32_e32 v17, 29, v19
	v_and_b32_e32 v16, 7, v16
	v_cmp_gt_u32_e32 vcc, 8, v6
	v_cndmask_b32_e32 v6, v18, v17, vcc
	v_cndmask_b32_e32 v15, v15, v16, vcc
	v_lshlrev_b32_e32 v8, 24, v8
	v_lshlrev_b32_e32 v15, 20, v15
	v_and_b32_e32 v8, 0x80000000, v8
	v_lshl_add_u32 v6, v6, 23, v10
	v_or3_b32 v15, v8, v6, v15
.LBB508_1154:                           ;   in Loop: Header=BB508_796 Depth=1
	s_or_b64 exec, exec, s[20:21]
.LBB508_1155:                           ;   in Loop: Header=BB508_796 Depth=1
	s_or_b64 exec, exec, s[18:19]
.LBB508_1156:                           ;   in Loop: Header=BB508_796 Depth=1
	s_or_b64 exec, exec, s[16:17]
	s_waitcnt vmcnt(0)
	v_cmp_ne_u16_sdwa s[18:19], v4, v9 src0_sel:BYTE_0 src1_sel:DWORD
	s_and_saveexec_b64 s[16:17], s[18:19]
	s_cbranch_execz .LBB508_1162
; %bb.1157:                             ;   in Loop: Header=BB508_796 Depth=1
	v_cmp_ne_u16_sdwa s[20:21], v4, s5 src0_sel:BYTE_0 src1_sel:DWORD
	v_bfrev_b32_e32 v14, 1
	s_and_saveexec_b64 s[18:19], s[20:21]
	s_cbranch_execz .LBB508_1161
; %bb.1158:                             ;   in Loop: Header=BB508_796 Depth=1
	v_and_b32_e32 v6, 0x7f, v4
	v_cmp_ne_u32_e32 vcc, s22, v6
	v_mov_b32_e32 v14, 0x7f800001
	s_and_saveexec_b64 s[20:21], vcc
	s_cbranch_execz .LBB508_1160
; %bb.1159:                             ;   in Loop: Header=BB508_796 Depth=1
	v_and_b32_e32 v8, 7, v4
	v_ffbh_u32_e32 v16, v8
	v_min_u32_e32 v18, 32, v16
	v_subrev_u32_e32 v16, 28, v18
	v_lshlrev_b64 v[16:17], v16, v[4:5]
	v_lshrrev_b32_e32 v14, 3, v6
	v_sub_u32_e32 v17, 29, v18
	v_and_b32_e32 v16, 7, v16
	v_cmp_gt_u32_e32 vcc, 8, v6
	v_cndmask_b32_e32 v6, v14, v17, vcc
	v_cndmask_b32_e32 v8, v8, v16, vcc
	v_lshlrev_b32_e32 v14, 24, v4
	v_lshlrev_b32_e32 v8, 20, v8
	v_and_b32_e32 v14, 0x80000000, v14
	v_lshl_add_u32 v6, v6, 23, v10
	v_or3_b32 v14, v14, v6, v8
.LBB508_1160:                           ;   in Loop: Header=BB508_796 Depth=1
	s_or_b64 exec, exec, s[20:21]
.LBB508_1161:                           ;   in Loop: Header=BB508_796 Depth=1
	s_or_b64 exec, exec, s[18:19]
.LBB508_1162:                           ;   in Loop: Header=BB508_796 Depth=1
	s_or_b64 exec, exec, s[16:17]
	v_lshrrev_b16_e32 v6, 8, v4
	v_cmp_ne_u16_e32 vcc, 0, v6
	v_mov_b32_e32 v8, 0
	v_mov_b32_e32 v16, 0
	s_and_saveexec_b64 s[16:17], vcc
	s_cbranch_execz .LBB508_1168
; %bb.1163:                             ;   in Loop: Header=BB508_796 Depth=1
	v_cmp_ne_u16_e32 vcc, s5, v6
	v_bfrev_b32_e32 v16, 1
	s_and_saveexec_b64 s[18:19], vcc
	s_cbranch_execz .LBB508_1167
; %bb.1164:                             ;   in Loop: Header=BB508_796 Depth=1
	v_and_b32_e32 v17, 0x7f, v6
	v_cmp_ne_u32_e32 vcc, s22, v17
	v_mov_b32_e32 v16, 0x7f800001
	s_and_saveexec_b64 s[20:21], vcc
	s_cbranch_execz .LBB508_1166
; %bb.1165:                             ;   in Loop: Header=BB508_796 Depth=1
	v_and_b32_e32 v16, 7, v6
	v_ffbh_u32_e32 v18, v16
	v_min_u32_e32 v21, 32, v18
	v_subrev_u32_e32 v18, 28, v21
	v_lshlrev_b64 v[18:19], v18, v[6:7]
	v_lshrrev_b32_e32 v20, 3, v17
	v_sub_u32_e32 v6, 29, v21
	v_and_b32_e32 v18, 7, v18
	v_cmp_gt_u32_e32 vcc, 8, v17
	v_cndmask_b32_e32 v6, v20, v6, vcc
	v_cndmask_b32_e32 v16, v16, v18, vcc
	v_lshlrev_b32_e32 v17, 16, v4
	v_lshlrev_b32_e32 v16, 20, v16
	v_and_b32_e32 v17, 0x80000000, v17
	v_lshl_add_u32 v6, v6, 23, v10
	v_or3_b32 v16, v17, v6, v16
.LBB508_1166:                           ;   in Loop: Header=BB508_796 Depth=1
	s_or_b64 exec, exec, s[20:21]
.LBB508_1167:                           ;   in Loop: Header=BB508_796 Depth=1
	s_or_b64 exec, exec, s[18:19]
.LBB508_1168:                           ;   in Loop: Header=BB508_796 Depth=1
	s_or_b64 exec, exec, s[16:17]
	v_lshrrev_b32_e32 v6, 16, v4
	v_cmp_ne_u16_sdwa s[18:19], v6, v9 src0_sel:BYTE_0 src1_sel:DWORD
	s_and_saveexec_b64 s[16:17], s[18:19]
	s_cbranch_execz .LBB508_1174
; %bb.1169:                             ;   in Loop: Header=BB508_796 Depth=1
	v_cmp_ne_u16_sdwa s[20:21], v6, s5 src0_sel:BYTE_0 src1_sel:DWORD
	v_bfrev_b32_e32 v8, 1
	s_and_saveexec_b64 s[18:19], s[20:21]
	s_cbranch_execz .LBB508_1173
; %bb.1170:                             ;   in Loop: Header=BB508_796 Depth=1
	v_bfe_u32 v17, v4, 16, 7
	v_cmp_ne_u32_e32 vcc, s22, v17
	v_mov_b32_e32 v8, 0x7f800001
	s_and_saveexec_b64 s[20:21], vcc
	s_cbranch_execz .LBB508_1172
; %bb.1171:                             ;   in Loop: Header=BB508_796 Depth=1
	v_and_b32_e32 v8, 7, v6
	v_ffbh_u32_e32 v18, v8
	v_min_u32_e32 v21, 32, v18
	v_subrev_u32_e32 v18, 28, v21
	v_lshlrev_b64 v[18:19], v18, v[6:7]
	v_lshrrev_b32_e32 v20, 3, v17
	v_sub_u32_e32 v19, 29, v21
	v_and_b32_e32 v18, 7, v18
	v_cmp_gt_u32_e32 vcc, 8, v17
	v_cndmask_b32_e32 v17, v20, v19, vcc
	v_cndmask_b32_e32 v8, v8, v18, vcc
	v_lshlrev_b32_e32 v6, 24, v6
	v_lshlrev_b32_e32 v8, 20, v8
	v_and_b32_e32 v6, 0x80000000, v6
	v_lshl_add_u32 v17, v17, 23, v10
	v_or3_b32 v8, v6, v17, v8
.LBB508_1172:                           ;   in Loop: Header=BB508_796 Depth=1
	s_or_b64 exec, exec, s[20:21]
.LBB508_1173:                           ;   in Loop: Header=BB508_796 Depth=1
	s_or_b64 exec, exec, s[18:19]
.LBB508_1174:                           ;   in Loop: Header=BB508_796 Depth=1
	s_or_b64 exec, exec, s[16:17]
	v_cmp_lt_u32_e32 vcc, s23, v4
	v_mov_b32_e32 v17, 0
	s_and_saveexec_b64 s[16:17], vcc
	s_cbranch_execz .LBB508_795
; %bb.1175:                             ;   in Loop: Header=BB508_796 Depth=1
	v_lshrrev_b32_e32 v6, 24, v4
	v_cmp_ne_u32_e32 vcc, s5, v6
	v_bfrev_b32_e32 v17, 1
	s_and_saveexec_b64 s[18:19], vcc
	s_cbranch_execz .LBB508_794
; %bb.1176:                             ;   in Loop: Header=BB508_796 Depth=1
	v_bfe_u32 v4, v4, 24, 7
	v_cmp_ne_u32_e32 vcc, s22, v4
	v_mov_b32_e32 v17, 0x7f800001
	s_and_saveexec_b64 s[20:21], vcc
	s_cbranch_execz .LBB508_793
; %bb.1177:                             ;   in Loop: Header=BB508_796 Depth=1
	v_and_b32_e32 v17, 7, v6
	v_ffbh_u32_e32 v18, v17
	v_min_u32_e32 v21, 32, v18
	v_subrev_u32_e32 v18, 28, v21
	v_lshlrev_b64 v[18:19], v18, v[6:7]
	v_lshrrev_b32_e32 v20, 3, v4
	v_sub_u32_e32 v19, 29, v21
	v_and_b32_e32 v18, 7, v18
	v_cmp_gt_u32_e32 vcc, 8, v4
	v_cndmask_b32_e32 v4, v20, v19, vcc
	v_cndmask_b32_e32 v17, v17, v18, vcc
	v_lshlrev_b32_e32 v6, 24, v6
	v_lshlrev_b32_e32 v17, 20, v17
	v_and_b32_e32 v6, 0x80000000, v6
	v_lshl_add_u32 v4, v4, 23, v10
	v_or3_b32 v17, v6, v4, v17
	s_branch .LBB508_793
.LBB508_1178:
	s_or_b64 exec, exec, s[6:7]
	v_cmp_gt_u32_e32 vcc, 64, v0
	s_waitcnt lgkmcnt(0)
	s_barrier
	s_and_saveexec_b64 s[6:7], vcc
	s_cbranch_execz .LBB508_1180
; %bb.1179:
	v_mul_u32_u24_e32 v6, 40, v1
	ds_read2_b64 v[2:5], v6 offset1:1
	ds_read2_b64 v[6:9], v6 offset0:2 offset1:3
	s_mov_b32 s5, 0
	s_lshl_b32 s4, s4, 7
	s_lshl_b64 s[6:7], s[4:5], 1
	s_waitcnt lgkmcnt(1)
	v_pk_add_f16 v2, v2, 0
	v_pk_add_f16 v2, v2, v4
	;; [unrolled: 1-line block ×3, first 2 shown]
	s_waitcnt lgkmcnt(0)
	v_pk_add_f16 v2, v2, v6
	v_pk_add_f16 v3, v3, v5
	;; [unrolled: 1-line block ×3, first 2 shown]
	v_mov_b32_e32 v2, 0xa00
	v_pk_add_f16 v6, v3, v7
	v_mad_u32_u24 v2, v1, 40, v2
	ds_read2_b64 v[2:5], v2 offset1:1
	v_pk_add_f16 v11, v6, v9
	v_mov_b32_e32 v6, 0xa10
	v_mad_u32_u24 v1, v1, 40, v6
	ds_read2_b64 v[6:9], v1 offset1:1
	s_add_u32 s6, s28, s6
	s_addc_u32 s7, s29, s7
	s_lshl_b32 s4, s14, 7
	s_lshl_b64 s[4:5], s[4:5], 1
	s_waitcnt lgkmcnt(1)
	v_pk_add_f16 v1, v2, 0
	v_pk_add_f16 v2, v3, 0
	s_add_u32 s4, s6, s4
	v_pk_add_f16 v2, v2, v5
	s_addc_u32 s5, s7, s5
	s_lshl_b32 s6, s33, 7
	s_waitcnt lgkmcnt(0)
	v_pk_add_f16 v2, v2, v7
	s_mul_i32 s7, s6, s44
	v_pk_add_f16 v1, v1, v4
	v_pk_add_f16 v9, v2, v9
	v_or_b32_e32 v2, s7, v0
	v_mov_b32_e32 v3, 0
	v_pk_add_f16 v1, v1, v6
	v_lshlrev_b64 v[4:5], 1, v[2:3]
	s_add_i32 s7, s7, s6
	v_pk_add_f16 v8, v1, v8
	v_mov_b32_e32 v1, s5
	v_add_co_u32_e32 v4, vcc, s4, v4
	v_or_b32_e32 v2, s7, v0
	v_addc_co_u32_e32 v5, vcc, v1, v5, vcc
	v_lshlrev_b64 v[6:7], 1, v[2:3]
	s_add_i32 s7, s7, s6
	v_add_co_u32_e32 v6, vcc, s4, v6
	v_or_b32_e32 v2, s7, v0
	v_addc_co_u32_e32 v7, vcc, v1, v7, vcc
	v_lshlrev_b64 v[0:1], 1, v[2:3]
	v_mov_b32_e32 v2, s5
	v_add_co_u32_e32 v0, vcc, s4, v0
	v_addc_co_u32_e32 v1, vcc, v2, v1, vcc
	global_store_short v[4:5], v10, off
	global_store_short_d16_hi v[6:7], v10, off
	global_store_short v[0:1], v11, off
	global_store_short v[4:5], v8, off offset:128
	global_store_short_d16_hi v[6:7], v8, off offset:128
	global_store_short v[0:1], v9, off offset:128
.LBB508_1180:
	s_endpgm
	.section	.rodata,"a",@progbits
	.p2align	6, 0x0
	.amdhsa_kernel _Z38paged_attention_ll4mi_QKV_mfma4_kernelIDF16_hLN4vllm18Fp8KVCacheDataTypeE1EDF16_Li32ELi128ELi256ELb1ELi3EEvPKT_PKT0_S7_ifPKiS9_S9_iPKfiiiPfSC_PS2_PT2_iSB_SB_
		.amdhsa_group_segment_fixed_size 5280
		.amdhsa_private_segment_fixed_size 144
		.amdhsa_kernarg_size 400
		.amdhsa_user_sgpr_count 8
		.amdhsa_user_sgpr_private_segment_buffer 1
		.amdhsa_user_sgpr_dispatch_ptr 0
		.amdhsa_user_sgpr_queue_ptr 0
		.amdhsa_user_sgpr_kernarg_segment_ptr 1
		.amdhsa_user_sgpr_dispatch_id 0
		.amdhsa_user_sgpr_flat_scratch_init 1
		.amdhsa_user_sgpr_kernarg_preload_length 0
		.amdhsa_user_sgpr_kernarg_preload_offset 0
		.amdhsa_user_sgpr_private_segment_size 0
		.amdhsa_uses_dynamic_stack 0
		.amdhsa_system_sgpr_private_segment_wavefront_offset 1
		.amdhsa_system_sgpr_workgroup_id_x 1
		.amdhsa_system_sgpr_workgroup_id_y 1
		.amdhsa_system_sgpr_workgroup_id_z 1
		.amdhsa_system_sgpr_workgroup_info 0
		.amdhsa_system_vgpr_workitem_id 0
		.amdhsa_next_free_vgpr 84
		.amdhsa_next_free_sgpr 50
		.amdhsa_accum_offset 80
		.amdhsa_reserve_vcc 1
		.amdhsa_reserve_flat_scratch 0
		.amdhsa_float_round_mode_32 0
		.amdhsa_float_round_mode_16_64 0
		.amdhsa_float_denorm_mode_32 3
		.amdhsa_float_denorm_mode_16_64 3
		.amdhsa_dx10_clamp 1
		.amdhsa_ieee_mode 1
		.amdhsa_fp16_overflow 0
		.amdhsa_tg_split 0
		.amdhsa_exception_fp_ieee_invalid_op 0
		.amdhsa_exception_fp_denorm_src 0
		.amdhsa_exception_fp_ieee_div_zero 0
		.amdhsa_exception_fp_ieee_overflow 0
		.amdhsa_exception_fp_ieee_underflow 0
		.amdhsa_exception_fp_ieee_inexact 0
		.amdhsa_exception_int_div_zero 0
	.end_amdhsa_kernel
	.section	.text._Z38paged_attention_ll4mi_QKV_mfma4_kernelIDF16_hLN4vllm18Fp8KVCacheDataTypeE1EDF16_Li32ELi128ELi256ELb1ELi3EEvPKT_PKT0_S7_ifPKiS9_S9_iPKfiiiPfSC_PS2_PT2_iSB_SB_,"axG",@progbits,_Z38paged_attention_ll4mi_QKV_mfma4_kernelIDF16_hLN4vllm18Fp8KVCacheDataTypeE1EDF16_Li32ELi128ELi256ELb1ELi3EEvPKT_PKT0_S7_ifPKiS9_S9_iPKfiiiPfSC_PS2_PT2_iSB_SB_,comdat
.Lfunc_end508:
	.size	_Z38paged_attention_ll4mi_QKV_mfma4_kernelIDF16_hLN4vllm18Fp8KVCacheDataTypeE1EDF16_Li32ELi128ELi256ELb1ELi3EEvPKT_PKT0_S7_ifPKiS9_S9_iPKfiiiPfSC_PS2_PT2_iSB_SB_, .Lfunc_end508-_Z38paged_attention_ll4mi_QKV_mfma4_kernelIDF16_hLN4vllm18Fp8KVCacheDataTypeE1EDF16_Li32ELi128ELi256ELb1ELi3EEvPKT_PKT0_S7_ifPKiS9_S9_iPKfiiiPfSC_PS2_PT2_iSB_SB_
                                        ; -- End function
	.section	.AMDGPU.csdata,"",@progbits
; Kernel info:
; codeLenInByte = 40652
; NumSgprs: 54
; NumVgprs: 80
; NumAgprs: 4
; TotalNumVgprs: 84
; ScratchSize: 144
; MemoryBound: 0
; FloatMode: 240
; IeeeMode: 1
; LDSByteSize: 5280 bytes/workgroup (compile time only)
; SGPRBlocks: 6
; VGPRBlocks: 10
; NumSGPRsForWavesPerEU: 54
; NumVGPRsForWavesPerEU: 84
; AccumOffset: 80
; Occupancy: 5
; WaveLimiterHint : 1
; COMPUTE_PGM_RSRC2:SCRATCH_EN: 1
; COMPUTE_PGM_RSRC2:USER_SGPR: 8
; COMPUTE_PGM_RSRC2:TRAP_HANDLER: 0
; COMPUTE_PGM_RSRC2:TGID_X_EN: 1
; COMPUTE_PGM_RSRC2:TGID_Y_EN: 1
; COMPUTE_PGM_RSRC2:TGID_Z_EN: 1
; COMPUTE_PGM_RSRC2:TIDIG_COMP_CNT: 0
; COMPUTE_PGM_RSRC3_GFX90A:ACCUM_OFFSET: 19
; COMPUTE_PGM_RSRC3_GFX90A:TG_SPLIT: 0
	.section	.text._Z38paged_attention_ll4mi_QKV_mfma4_kernelIDF16_hLN4vllm18Fp8KVCacheDataTypeE1EDF16_Li32ELi128ELi256ELb1ELi4EEvPKT_PKT0_S7_ifPKiS9_S9_iPKfiiiPfSC_PS2_PT2_iSB_SB_,"axG",@progbits,_Z38paged_attention_ll4mi_QKV_mfma4_kernelIDF16_hLN4vllm18Fp8KVCacheDataTypeE1EDF16_Li32ELi128ELi256ELb1ELi4EEvPKT_PKT0_S7_ifPKiS9_S9_iPKfiiiPfSC_PS2_PT2_iSB_SB_,comdat
	.protected	_Z38paged_attention_ll4mi_QKV_mfma4_kernelIDF16_hLN4vllm18Fp8KVCacheDataTypeE1EDF16_Li32ELi128ELi256ELb1ELi4EEvPKT_PKT0_S7_ifPKiS9_S9_iPKfiiiPfSC_PS2_PT2_iSB_SB_ ; -- Begin function _Z38paged_attention_ll4mi_QKV_mfma4_kernelIDF16_hLN4vllm18Fp8KVCacheDataTypeE1EDF16_Li32ELi128ELi256ELb1ELi4EEvPKT_PKT0_S7_ifPKiS9_S9_iPKfiiiPfSC_PS2_PT2_iSB_SB_
	.globl	_Z38paged_attention_ll4mi_QKV_mfma4_kernelIDF16_hLN4vllm18Fp8KVCacheDataTypeE1EDF16_Li32ELi128ELi256ELb1ELi4EEvPKT_PKT0_S7_ifPKiS9_S9_iPKfiiiPfSC_PS2_PT2_iSB_SB_
	.p2align	8
	.type	_Z38paged_attention_ll4mi_QKV_mfma4_kernelIDF16_hLN4vllm18Fp8KVCacheDataTypeE1EDF16_Li32ELi128ELi256ELb1ELi4EEvPKT_PKT0_S7_ifPKiS9_S9_iPKfiiiPfSC_PS2_PT2_iSB_SB_,@function
_Z38paged_attention_ll4mi_QKV_mfma4_kernelIDF16_hLN4vllm18Fp8KVCacheDataTypeE1EDF16_Li32ELi128ELi256ELb1ELi4EEvPKT_PKT0_S7_ifPKiS9_S9_iPKfiiiPfSC_PS2_PT2_iSB_SB_: ; @_Z38paged_attention_ll4mi_QKV_mfma4_kernelIDF16_hLN4vllm18Fp8KVCacheDataTypeE1EDF16_Li32ELi128ELi256ELb1ELi4EEvPKT_PKT0_S7_ifPKiS9_S9_iPKfiiiPfSC_PS2_PT2_iSB_SB_
; %bb.0:
	s_load_dwordx2 s[20:21], s[4:5], 0x30
	s_add_u32 s0, s0, s11
	s_addc_u32 s1, s1, 0
	s_mov_b32 s28, s9
	s_mov_b64 s[6:7], 0
	s_waitcnt lgkmcnt(0)
	s_cmp_lg_u64 s[20:21], 0
	s_cselect_b64 s[22:23], -1, 0
	s_and_b64 vcc, exec, s[22:23]
	s_cbranch_vccz .LBB509_1170
; %bb.1:
	s_add_i32 s12, s8, 1
	s_mov_b32 s13, 0
	s_lshl_b64 s[14:15], s[12:13], 2
	s_add_u32 s14, s20, s14
	s_mov_b32 s9, s13
	s_addc_u32 s15, s21, s15
	s_lshl_b64 s[12:13], s[8:9], 2
	s_add_u32 s12, s20, s12
	s_addc_u32 s13, s21, s13
	s_load_dword s11, s[14:15], 0x0
	s_load_dword s16, s[12:13], 0x0
	s_mov_b64 s[38:39], s[8:9]
	s_waitcnt lgkmcnt(0)
	s_sub_i32 s11, s11, s16
	s_cmp_eq_u32 s11, 1
	s_cselect_b64 s[12:13], -1, 0
	s_andn2_b64 vcc, exec, s[6:7]
	s_cbranch_vccnz .LBB509_3
.LBB509_2:
	s_mov_b32 s9, 0
	s_mov_b64 s[12:13], -1
	s_mov_b64 s[38:39], s[8:9]
.LBB509_3:
	s_andn2_b64 vcc, exec, s[12:13]
	s_cbranch_vccnz .LBB509_1173
; %bb.4:
	s_load_dword s9, s[4:5], 0x9c
	s_load_dwordx2 s[6:7], s[4:5], 0x28
	s_add_u32 s34, s4, 0x90
	s_addc_u32 s35, s5, 0
	s_lshl_b64 s[42:43], s[38:39], 2
	s_waitcnt lgkmcnt(0)
	s_and_b32 s11, s9, 0xffff
	s_add_u32 s6, s6, s42
	s_addc_u32 s7, s7, s43
	s_load_dword s9, s[6:7], 0x0
	s_mul_i32 s11, s28, s11
	s_waitcnt lgkmcnt(0)
	s_cmp_ge_i32 s11, s9
	s_cbranch_scc1 .LBB509_1173
; %bb.5:
	v_and_b32_e32 v1, 0xc0, v0
	v_and_b32_e32 v44, 3, v0
	s_lshl_b32 s33, s10, 2
	v_add_u32_e32 v7, s11, v1
	v_lshrrev_b32_e32 v43, 6, v0
	v_cmp_le_i32_e64 s[6:7], s9, v7
	v_or_b32_e32 v38, s33, v44
                                        ; implicit-def: $sgpr25
                                        ; implicit-def: $sgpr24
	s_and_saveexec_b64 s[12:13], s[6:7]
	s_xor_b64 s[12:13], exec, s[12:13]
	s_cbranch_execz .LBB509_7
; %bb.6:
	v_mul_u32_u24_e32 v1, 20, v43
	v_or_b32_e32 v1, 0x1400, v1
	v_mov_b32_e32 v2, 0x1450
	v_mov_b32_e32 v3, 0xff7fffff
	v_mad_u32_u24 v2, v43, 20, v2
	ds_write2_b32 v1, v3, v3 offset1:1
	v_mov_b32_e32 v1, 0
	ds_write2_b32 v2, v1, v1 offset1:1
	v_mov_b32_e32 v2, 0x1408
	s_mov_b32 s24, 0xff7fffff
	s_mov_b32 s25, 0
	v_mad_u32_u24 v2, v43, 20, v2
	v_mov_b32_e32 v4, 0x1458
	v_or_b32_e32 v38, s33, v44
	v_mad_u32_u24 v4, v43, 20, v4
	ds_write2_b32 v2, v3, v3 offset1:1
	ds_write2_b32 v4, v1, v1 offset1:1
                                        ; implicit-def: $vgpr7
.LBB509_7:
	s_or_saveexec_b64 s[36:37], s[12:13]
	s_load_dwordx2 s[30:31], s[4:5], 0x68
	s_load_dwordx4 s[16:19], s[4:5], 0x58
	s_load_dword s48, s[34:35], 0x4
	s_load_dwordx4 s[12:15], s[4:5], 0x80
	v_and_b32_e32 v1, 63, v0
	v_mov_b32_e32 v5, s25
	v_mov_b32_e32 v6, s24
	;; [unrolled: 1-line block ×5, first 2 shown]
	s_xor_b64 exec, exec, s[36:37]
	s_cbranch_execz .LBB509_781
; %bb.8:
	s_add_i32 s27, s9, 31
	s_ashr_i32 s29, s27, 31
	s_load_dwordx2 s[24:25], s[4:5], 0x20
	s_load_dword s26, s[4:5], 0x38
	s_lshr_b32 s29, s29, 27
	v_add_u32_e32 v45, s11, v0
	s_add_i32 s27, s27, s29
	v_ashrrev_i32_e32 v2, 31, v45
	s_ashr_i32 s27, s27, 5
	v_lshrrev_b32_e32 v2, 27, v2
	s_add_i32 s29, s27, -1
	v_add_u32_e32 v2, v45, v2
	v_ashrrev_i32_e32 v2, 5, v2
	v_mov_b32_e32 v3, s29
	v_cmp_gt_i32_e32 vcc, s9, v45
	s_waitcnt lgkmcnt(0)
	s_mul_i32 s44, s8, s26
	s_mov_b32 s45, 0
	v_cndmask_b32_e32 v2, v3, v2, vcc
	s_lshl_b64 s[26:27], s[44:45], 2
	v_ashrrev_i32_e32 v3, 31, v2
	s_add_u32 s24, s24, s26
	v_lshlrev_b64 v[2:3], 2, v[2:3]
	v_add_co_u32_e32 v4, vcc, s24, v2
	v_ashrrev_i32_e32 v2, 31, v7
	v_lshrrev_b32_e32 v2, 27, v2
	v_add_u32_e32 v2, v7, v2
	s_addc_u32 s25, s25, s27
	v_ashrrev_i32_e32 v6, 5, v2
	v_mov_b32_e32 v5, s25
	v_min_i32_e32 v2, s29, v6
	v_addc_co_u32_e32 v5, vcc, v5, v3, vcc
	v_ashrrev_i32_e32 v3, 31, v2
	v_lshlrev_b64 v[2:3], 2, v[2:3]
	v_add_co_u32_e32 v8, vcc, s24, v2
	v_add_u32_e32 v2, 1, v6
	v_mov_b32_e32 v7, s25
	v_min_i32_e32 v2, s29, v2
	v_addc_co_u32_e32 v9, vcc, v7, v3, vcc
	v_ashrrev_i32_e32 v3, 31, v2
	v_lshlrev_b64 v[2:3], 2, v[2:3]
	v_mov_b32_e32 v6, s25
	v_add_co_u32_e32 v10, vcc, s24, v2
	v_addc_co_u32_e32 v11, vcc, v6, v3, vcc
	global_load_dword v6, v[4:5], off
	global_load_dword v3, v[8:9], off
	;; [unrolled: 1-line block ×3, first 2 shown]
	s_load_dwordx2 s[40:41], s[4:5], 0x40
	s_load_dwordx4 s[24:27], s[4:5], 0x0
	s_load_dwordx2 s[46:47], s[4:5], 0x10
	s_andn2_b64 vcc, exec, s[22:23]
	s_cbranch_vccnz .LBB509_10
; %bb.9:
	s_add_u32 s20, s20, s42
	s_addc_u32 s21, s21, s43
	s_load_dword s44, s[20:21], 0x0
	s_waitcnt lgkmcnt(0)
	s_mov_b64 s[38:39], s[44:45]
.LBB509_10:
	s_load_dwordx4 s[20:23], s[4:5], 0x48
	v_mov_b32_e32 v39, 0
	v_mov_b32_e32 v5, v39
	v_lshlrev_b32_e32 v7, 5, v1
	v_mov_b32_e32 v47, 0
	s_waitcnt lgkmcnt(0)
	s_ashr_i32 s11, s20, 31
	s_mul_hi_u32 s23, s38, s20
	s_mul_i32 s11, s38, s11
	s_mul_i32 s29, s39, s20
	s_add_i32 s11, s23, s11
	s_mul_i32 s42, s38, s20
	s_add_i32 s43, s11, s29
	s_lshl_b64 s[38:39], s[42:43], 1
	s_add_u32 s11, s24, s38
	s_addc_u32 s20, s25, s39
	s_lshl_b32 s44, s10, 9
	s_lshl_b64 s[24:25], s[44:45], 1
	s_add_u32 s24, s11, s24
	s_addc_u32 s25, s20, s25
	s_mul_i32 s20, s10, s22
	s_waitcnt vmcnt(1)
	v_mul_hi_i32 v4, v3, s21
	s_add_u32 s10, s20, s26
	v_ashrrev_i32_e32 v4, 31, v4
	s_addc_u32 s11, 0, s27
	v_lshrrev_b32_e32 v4, 29, v4
	s_add_u32 s20, s46, s20
	v_mad_i64_i32 v[4:5], s[22:23], v3, s21, v[4:5]
	s_addc_u32 s26, s47, 0
	v_and_b32_e32 v3, -8, v4
	v_mov_b32_e32 v4, s26
	v_add_co_u32_e32 v3, vcc, s20, v3
	v_addc_co_u32_e32 v5, vcc, v4, v5, vcc
	v_add_co_u32_e32 v4, vcc, v3, v7
	s_waitcnt vmcnt(0)
	v_mul_hi_i32 v3, v2, s21
	v_addc_co_u32_e32 v5, vcc, 0, v5, vcc
	v_ashrrev_i32_e32 v3, 31, v3
	global_load_dwordx4 v[8:11], v[4:5], off
	global_load_dwordx4 v[48:51], v[4:5], off offset:16
	global_load_dwordx4 v[52:55], v[4:5], off offset:2048
	;; [unrolled: 1-line block ×3, first 2 shown]
	v_mov_b32_e32 v5, v39
	v_lshrrev_b32_e32 v4, 29, v3
	v_mad_i64_i32 v[2:3], s[22:23], v2, s21, v[4:5]
	v_and_b32_e32 v2, -8, v2
	v_mov_b32_e32 v4, s26
	v_add_co_u32_e32 v2, vcc, s20, v2
	v_addc_co_u32_e32 v3, vcc, v4, v3, vcc
	v_add_co_u32_e32 v12, vcc, v2, v7
	v_addc_co_u32_e32 v13, vcc, 0, v3, vcc
	global_load_dwordx4 v[60:63], v[12:13], off
	v_lshlrev_b32_e32 v2, 2, v1
	v_lshlrev_b32_e32 v3, 4, v0
	v_and_b32_e32 v5, 0xf0, v2
	v_and_b32_e32 v16, 0x1f0, v3
	v_lshlrev_b64 v[2:3], 2, v[38:39]
	v_mov_b32_e32 v4, s41
	v_add_co_u32_e32 v14, vcc, s40, v2
	v_addc_co_u32_e32 v15, vcc, v4, v3, vcc
	v_lshl_or_b32 v7, v44, 8, v5
	global_load_dword v46, v[14:15], off
	global_load_dwordx4 v[2:5], v7, s[24:25]
	v_pk_mov_b32 v[14:15], s[10:11], s[10:11] op_sel:[0,1]
	v_mad_i64_i32 v[6:7], s[10:11], v6, s21, v[14:15]
	v_add_co_u32_e32 v6, vcc, v6, v16
	v_addc_co_u32_e32 v7, vcc, 0, v7, vcc
	global_load_dwordx4 v[34:37], v[6:7], off
	global_load_dwordx4 v[30:33], v[6:7], off offset:512
	global_load_dwordx4 v[26:29], v[6:7], off offset:1024
	;; [unrolled: 1-line block ×4, first 2 shown]
	s_waitcnt vmcnt(11)
	buffer_store_dword v9, off, s[0:3], 0 offset:4
	buffer_store_dword v8, off, s[0:3], 0
	buffer_store_dword v11, off, s[0:3], 0 offset:12
	buffer_store_dword v10, off, s[0:3], 0 offset:8
	global_load_dwordx4 v[14:17], v[6:7], off offset:2560
	s_waitcnt vmcnt(15)
	buffer_store_dword v49, off, s[0:3], 0 offset:20
	buffer_store_dword v48, off, s[0:3], 0 offset:16
	;; [unrolled: 1-line block ×4, first 2 shown]
	global_load_dwordx4 v[48:51], v[12:13], off offset:16
	s_waitcnt vmcnt(19)
	buffer_store_dword v53, off, s[0:3], 0 offset:68
	buffer_store_dword v52, off, s[0:3], 0 offset:64
	buffer_store_dword v55, off, s[0:3], 0 offset:76
	buffer_store_dword v54, off, s[0:3], 0 offset:72
	global_load_dwordx4 v[52:55], v[12:13], off offset:2064
	s_nop 0
	global_load_dwordx4 v[64:67], v[12:13], off offset:2048
	s_waitcnt vmcnt(24)
	buffer_store_dword v57, off, s[0:3], 0 offset:84
	buffer_store_dword v56, off, s[0:3], 0 offset:80
	buffer_store_dword v59, off, s[0:3], 0 offset:92
	buffer_store_dword v58, off, s[0:3], 0 offset:88
	global_load_dwordx4 v[10:13], v[6:7], off offset:3072
	s_waitcnt vmcnt(28)
	buffer_store_dword v61, off, s[0:3], 0 offset:36
	buffer_store_dword v60, off, s[0:3], 0 offset:32
	buffer_store_dword v63, off, s[0:3], 0 offset:44
	buffer_store_dword v62, off, s[0:3], 0 offset:40
	;; [unrolled: 6-line block ×3, first 2 shown]
	s_waitcnt vmcnt(14)
	buffer_store_dword v65, off, s[0:3], 0 offset:100
	buffer_store_dword v64, off, s[0:3], 0 offset:96
	;; [unrolled: 1-line block ×8, first 2 shown]
	v_cmp_ne_u16_sdwa s[20:21], v34, v39 src0_sel:BYTE_0 src1_sel:DWORD
	s_and_saveexec_b64 s[10:11], s[20:21]
	s_cbranch_execz .LBB509_16
; %bb.11:
	s_movk_i32 s20, 0x80
	v_cmp_ne_u16_sdwa s[22:23], v34, s20 src0_sel:BYTE_0 src1_sel:DWORD
	v_bfrev_b32_e32 v47, 1
	s_and_saveexec_b64 s[20:21], s[22:23]
	s_cbranch_execz .LBB509_15
; %bb.12:
	s_movk_i32 s22, 0x7f
	v_and_b32_e32 v40, 0x7f, v34
	v_cmp_ne_u32_e32 vcc, s22, v40
	v_mov_b32_e32 v47, 0x7f800001
	s_and_saveexec_b64 s[22:23], vcc
	s_cbranch_execz .LBB509_14
; %bb.13:
	v_and_b32_e32 v41, 7, v34
	v_ffbh_u32_e32 v41, v41
	v_min_u32_e32 v41, 32, v41
	v_subrev_u32_e32 v47, 28, v41
	v_cmp_gt_u32_e32 vcc, 8, v40
	v_lshrrev_b32_e32 v42, 3, v40
	v_sub_u32_e32 v41, 29, v41
	v_cndmask_b32_e32 v40, 0, v47, vcc
	v_cndmask_b32_e32 v42, v42, v41, vcc
	v_lshlrev_b64 v[40:41], v40, v[34:35]
	v_lshlrev_b32_e32 v40, 20, v40
	v_lshlrev_b32_e32 v41, 24, v34
	v_bfrev_b32_e32 v47, 60
	v_and_b32_e32 v40, 0x700000, v40
	v_and_b32_e32 v41, 0x80000000, v41
	v_lshl_add_u32 v42, v42, 23, v47
	v_or3_b32 v47, v41, v42, v40
.LBB509_14:
	s_or_b64 exec, exec, s[22:23]
.LBB509_15:
	s_or_b64 exec, exec, s[20:21]
.LBB509_16:
	s_or_b64 exec, exec, s[10:11]
	v_lshrrev_b16_e32 v40, 8, v34
	v_cmp_ne_u16_e32 vcc, 0, v40
	s_and_saveexec_b64 s[10:11], vcc
	s_cbranch_execz .LBB509_22
; %bb.17:
	s_movk_i32 s20, 0x80
	v_cmp_ne_u16_sdwa s[22:23], v34, s20 src0_sel:BYTE_1 src1_sel:DWORD
	v_bfrev_b32_e32 v39, 1
	s_and_saveexec_b64 s[20:21], s[22:23]
	s_cbranch_execz .LBB509_21
; %bb.18:
	s_movk_i32 s22, 0x7f
	v_and_b32_e32 v41, 0x7f, v40
	v_cmp_ne_u32_e32 vcc, s22, v41
	v_mov_b32_e32 v39, 0x7f800001
	s_and_saveexec_b64 s[22:23], vcc
	s_cbranch_execz .LBB509_20
; %bb.19:
	v_and_b32_e32 v39, 7, v40
	v_ffbh_u32_e32 v48, v39
	v_min_u32_e32 v50, 32, v48
	v_subrev_u32_e32 v48, 28, v50
	v_lshlrev_b64 v[48:49], v48, v[40:41]
	v_lshrrev_b32_e32 v42, 3, v41
	v_sub_u32_e32 v40, 29, v50
	v_and_b32_e32 v48, 7, v48
	v_cmp_gt_u32_e32 vcc, 8, v41
	v_cndmask_b32_e32 v40, v42, v40, vcc
	v_cndmask_b32_e32 v39, v39, v48, vcc
	v_lshlrev_b32_e32 v41, 16, v34
	v_bfrev_b32_e32 v42, 60
	v_lshlrev_b32_e32 v39, 20, v39
	v_and_b32_e32 v41, 0x80000000, v41
	v_lshl_add_u32 v40, v40, 23, v42
	v_or3_b32 v39, v41, v40, v39
.LBB509_20:
	s_or_b64 exec, exec, s[22:23]
.LBB509_21:
	s_or_b64 exec, exec, s[20:21]
.LBB509_22:
	s_or_b64 exec, exec, s[10:11]
	s_movk_i32 s10, 0xff
	v_and_b32_sdwa v41, v34, s10 dst_sel:DWORD dst_unused:UNUSED_PAD src0_sel:WORD_1 src1_sel:DWORD
	v_lshrrev_b32_e32 v40, 16, v34
	v_cmp_ne_u16_e32 vcc, 0, v41
	v_mov_b32_e32 v48, 0
	v_mov_b32_e32 v49, 0
	s_and_saveexec_b64 s[10:11], vcc
	s_cbranch_execz .LBB509_28
; %bb.23:
	s_movk_i32 s20, 0x80
	v_cmp_ne_u16_e32 vcc, s20, v41
	v_bfrev_b32_e32 v49, 1
	s_and_saveexec_b64 s[20:21], vcc
	s_cbranch_execz .LBB509_27
; %bb.24:
	v_bfe_u32 v41, v34, 16, 7
	s_movk_i32 s22, 0x7f
	v_cmp_ne_u32_e32 vcc, s22, v41
	v_mov_b32_e32 v49, 0x7f800001
	s_and_saveexec_b64 s[22:23], vcc
	s_cbranch_execz .LBB509_26
; %bb.25:
	v_and_b32_e32 v42, 7, v40
	v_ffbh_u32_e32 v50, v42
	v_min_u32_e32 v52, 32, v50
	v_subrev_u32_e32 v50, 28, v52
	v_lshlrev_b64 v[50:51], v50, v[40:41]
	v_and_b32_e32 v50, 7, v50
	v_cmp_gt_u32_e32 vcc, 8, v41
	v_lshrrev_b32_e32 v49, 3, v41
	v_sub_u32_e32 v40, 29, v52
	v_cndmask_b32_e32 v41, v42, v50, vcc
	v_mov_b32_e32 v42, 24
	v_cndmask_b32_e32 v40, v49, v40, vcc
	v_lshlrev_b32_sdwa v42, v42, v34 dst_sel:DWORD dst_unused:UNUSED_PAD src0_sel:DWORD src1_sel:WORD_1
	v_bfrev_b32_e32 v49, 60
	v_lshlrev_b32_e32 v41, 20, v41
	v_and_b32_e32 v42, 0x80000000, v42
	v_lshl_add_u32 v40, v40, 23, v49
	v_or3_b32 v49, v42, v40, v41
.LBB509_26:
	s_or_b64 exec, exec, s[22:23]
.LBB509_27:
	s_or_b64 exec, exec, s[20:21]
.LBB509_28:
	s_or_b64 exec, exec, s[10:11]
	s_mov_b32 s10, 0xffffff
	v_cmp_lt_u32_e32 vcc, s10, v34
	s_and_saveexec_b64 s[10:11], vcc
	s_cbranch_execz .LBB509_34
; %bb.29:
	v_lshrrev_b32_e32 v40, 24, v34
	s_movk_i32 s20, 0x80
	v_cmp_ne_u32_e32 vcc, s20, v40
	v_bfrev_b32_e32 v48, 1
	s_and_saveexec_b64 s[20:21], vcc
	s_cbranch_execz .LBB509_33
; %bb.30:
	v_bfe_u32 v41, v34, 24, 7
	s_movk_i32 s22, 0x7f
	v_cmp_ne_u32_e32 vcc, s22, v41
	v_mov_b32_e32 v48, 0x7f800001
	s_and_saveexec_b64 s[22:23], vcc
	s_cbranch_execz .LBB509_32
; %bb.31:
	v_and_b32_e32 v42, 7, v40
	v_ffbh_u32_e32 v50, v42
	v_min_u32_e32 v52, 32, v50
	v_subrev_u32_e32 v50, 28, v52
	v_lshlrev_b64 v[50:51], v50, v[40:41]
	v_lshrrev_b32_e32 v48, 3, v41
	v_sub_u32_e32 v51, 29, v52
	v_and_b32_e32 v50, 7, v50
	v_cmp_gt_u32_e32 vcc, 8, v41
	v_cndmask_b32_e32 v41, v48, v51, vcc
	v_cndmask_b32_e32 v42, v42, v50, vcc
	v_lshlrev_b32_e32 v40, 24, v40
	v_bfrev_b32_e32 v48, 60
	v_lshlrev_b32_e32 v42, 20, v42
	v_and_b32_e32 v40, 0x80000000, v40
	v_lshl_add_u32 v41, v41, 23, v48
	v_or3_b32 v48, v40, v41, v42
.LBB509_32:
	s_or_b64 exec, exec, s[22:23]
.LBB509_33:
	s_or_b64 exec, exec, s[20:21]
.LBB509_34:
	s_or_b64 exec, exec, s[10:11]
	v_mov_b32_e32 v41, 0
	v_mov_b32_e32 v40, v35
	v_cmp_ne_u16_sdwa s[20:21], v35, v41 src0_sel:BYTE_0 src1_sel:DWORD
	v_mov_b32_e32 v50, v41
	s_and_saveexec_b64 s[10:11], s[20:21]
	s_cbranch_execz .LBB509_40
; %bb.35:
	s_movk_i32 s20, 0x80
	v_cmp_ne_u16_sdwa s[22:23], v35, s20 src0_sel:BYTE_0 src1_sel:DWORD
	v_bfrev_b32_e32 v50, 1
	s_and_saveexec_b64 s[20:21], s[22:23]
	s_cbranch_execz .LBB509_39
; %bb.36:
	s_movk_i32 s22, 0x7f
	v_and_b32_e32 v42, 0x7f, v35
	v_cmp_ne_u32_e32 vcc, s22, v42
	v_mov_b32_e32 v50, 0x7f800001
	s_and_saveexec_b64 s[22:23], vcc
	s_cbranch_execz .LBB509_38
; %bb.37:
	v_and_b32_e32 v50, 7, v35
	v_ffbh_u32_e32 v50, v50
	v_min_u32_e32 v50, 32, v50
	v_lshrrev_b32_e32 v51, 3, v42
	v_subrev_u32_e32 v52, 28, v50
	v_sub_u32_e32 v50, 29, v50
	v_cmp_gt_u32_e32 vcc, 8, v42
	v_cndmask_b32_e32 v42, v51, v50, vcc
	v_cndmask_b32_e32 v50, 0, v52, vcc
	v_lshlrev_b64 v[50:51], v50, v[40:41]
	v_lshlrev_b32_e32 v50, 20, v50
	v_lshlrev_b32_e32 v51, 24, v40
	v_bfrev_b32_e32 v52, 60
	v_and_b32_e32 v50, 0x700000, v50
	v_and_b32_e32 v51, 0x80000000, v51
	v_lshl_add_u32 v42, v42, 23, v52
	v_or3_b32 v50, v51, v42, v50
.LBB509_38:
	s_or_b64 exec, exec, s[22:23]
.LBB509_39:
	s_or_b64 exec, exec, s[20:21]
.LBB509_40:
	s_or_b64 exec, exec, s[10:11]
	v_lshrrev_b16_e32 v42, 8, v40
	v_cmp_ne_u16_e32 vcc, 0, v42
	s_and_saveexec_b64 s[10:11], vcc
	s_cbranch_execz .LBB509_46
; %bb.41:
	s_movk_i32 s20, 0x80
	v_cmp_ne_u16_e32 vcc, s20, v42
	v_bfrev_b32_e32 v41, 1
	s_and_saveexec_b64 s[20:21], vcc
	s_cbranch_execz .LBB509_45
; %bb.42:
	s_movk_i32 s22, 0x7f
	v_and_b32_e32 v51, 0x7f, v42
	v_cmp_ne_u32_e32 vcc, s22, v51
	v_mov_b32_e32 v41, 0x7f800001
	s_and_saveexec_b64 s[22:23], vcc
	s_cbranch_execz .LBB509_44
; %bb.43:
	v_and_b32_e32 v41, 7, v42
	v_ffbh_u32_e32 v52, v41
	v_min_u32_e32 v55, 32, v52
	v_subrev_u32_e32 v52, 28, v55
	v_lshlrev_b64 v[52:53], v52, v[42:43]
	v_lshrrev_b32_e32 v54, 3, v51
	v_sub_u32_e32 v42, 29, v55
	v_and_b32_e32 v52, 7, v52
	v_cmp_gt_u32_e32 vcc, 8, v51
	v_cndmask_b32_e32 v42, v54, v42, vcc
	v_cndmask_b32_e32 v41, v41, v52, vcc
	v_lshlrev_b32_e32 v40, 16, v40
	v_bfrev_b32_e32 v51, 60
	v_lshlrev_b32_e32 v41, 20, v41
	v_and_b32_e32 v40, 0x80000000, v40
	v_lshl_add_u32 v42, v42, 23, v51
	v_or3_b32 v41, v40, v42, v41
.LBB509_44:
	s_or_b64 exec, exec, s[22:23]
.LBB509_45:
	s_or_b64 exec, exec, s[20:21]
.LBB509_46:
	s_or_b64 exec, exec, s[10:11]
	s_movk_i32 s10, 0xff
	v_and_b32_sdwa v52, v35, s10 dst_sel:DWORD dst_unused:UNUSED_PAD src0_sel:WORD_1 src1_sel:DWORD
	v_lshrrev_b32_e32 v40, 16, v35
	v_cmp_ne_u16_e32 vcc, 0, v52
	v_mov_b32_e32 v42, 0
	v_mov_b32_e32 v51, 0
	s_and_saveexec_b64 s[10:11], vcc
	s_cbranch_execz .LBB509_52
; %bb.47:
	s_movk_i32 s20, 0x80
	v_cmp_ne_u16_e32 vcc, s20, v52
	v_bfrev_b32_e32 v51, 1
	s_and_saveexec_b64 s[20:21], vcc
	s_cbranch_execz .LBB509_51
; %bb.48:
	v_bfe_u32 v52, v35, 16, 7
	s_movk_i32 s22, 0x7f
	v_cmp_ne_u32_e32 vcc, s22, v52
	v_mov_b32_e32 v51, 0x7f800001
	s_and_saveexec_b64 s[22:23], vcc
	s_cbranch_execz .LBB509_50
; %bb.49:
	v_and_b32_e32 v51, 7, v40
	v_ffbh_u32_e32 v54, v51
	v_min_u32_e32 v56, 32, v54
	v_subrev_u32_e32 v54, 28, v56
	v_lshlrev_b64 v[54:55], v54, v[40:41]
	v_lshrrev_b32_e32 v53, 3, v52
	v_sub_u32_e32 v40, 29, v56
	v_and_b32_e32 v54, 7, v54
	v_cmp_gt_u32_e32 vcc, 8, v52
	v_mov_b32_e32 v52, 24
	v_cndmask_b32_e32 v40, v53, v40, vcc
	v_cndmask_b32_e32 v51, v51, v54, vcc
	v_lshlrev_b32_sdwa v52, v52, v35 dst_sel:DWORD dst_unused:UNUSED_PAD src0_sel:DWORD src1_sel:WORD_1
	v_bfrev_b32_e32 v53, 60
	v_lshlrev_b32_e32 v51, 20, v51
	v_and_b32_e32 v52, 0x80000000, v52
	v_lshl_add_u32 v40, v40, 23, v53
	v_or3_b32 v51, v52, v40, v51
.LBB509_50:
	s_or_b64 exec, exec, s[22:23]
.LBB509_51:
	s_or_b64 exec, exec, s[20:21]
.LBB509_52:
	s_or_b64 exec, exec, s[10:11]
	s_mov_b32 s10, -1
	s_mov_b32 s11, 0xffffff
	v_cmp_lt_u64_e32 vcc, s[10:11], v[34:35]
	s_and_saveexec_b64 s[10:11], vcc
	s_cbranch_execz .LBB509_58
; %bb.53:
	v_lshrrev_b32_e32 v34, 24, v35
	s_movk_i32 s20, 0x80
	v_cmp_ne_u32_e32 vcc, s20, v34
	v_bfrev_b32_e32 v42, 1
	s_and_saveexec_b64 s[20:21], vcc
	s_cbranch_execz .LBB509_57
; %bb.54:
	v_bfe_u32 v35, v35, 24, 7
	s_movk_i32 s22, 0x7f
	v_cmp_ne_u32_e32 vcc, s22, v35
	v_mov_b32_e32 v42, 0x7f800001
	s_and_saveexec_b64 s[22:23], vcc
	s_cbranch_execz .LBB509_56
; %bb.55:
	v_and_b32_e32 v40, 7, v34
	v_ffbh_u32_e32 v52, v40
	v_min_u32_e32 v54, 32, v52
	v_subrev_u32_e32 v52, 28, v54
	v_lshlrev_b64 v[52:53], v52, v[34:35]
	v_lshrrev_b32_e32 v42, 3, v35
	v_sub_u32_e32 v53, 29, v54
	v_and_b32_e32 v52, 7, v52
	v_cmp_gt_u32_e32 vcc, 8, v35
	v_cndmask_b32_e32 v35, v42, v53, vcc
	v_cndmask_b32_e32 v40, v40, v52, vcc
	v_lshlrev_b32_e32 v34, 24, v34
	v_bfrev_b32_e32 v42, 60
	v_lshlrev_b32_e32 v40, 20, v40
	v_and_b32_e32 v34, 0x80000000, v34
	v_lshl_add_u32 v35, v35, 23, v42
	v_or3_b32 v42, v34, v35, v40
.LBB509_56:
	s_or_b64 exec, exec, s[22:23]
.LBB509_57:
	s_or_b64 exec, exec, s[20:21]
.LBB509_58:
	s_or_b64 exec, exec, s[10:11]
	v_cvt_pkrtz_f16_f32 v34, v47, v39
	v_cvt_pkrtz_f16_f32 v35, v49, v48
	;; [unrolled: 1-line block ×4, first 2 shown]
	v_mfma_f32_4x4x4f16 a[0:3], v[2:3], v[34:35], 0 cbsz:4
	v_mov_b32_e32 v42, 0
	v_mfma_f32_4x4x4f16 a[0:3], v[4:5], v[48:49], a[0:3] cbsz:4
	v_mov_b32_e32 v41, 0
	v_cmp_ne_u16_sdwa s[20:21], v36, v42 src0_sel:BYTE_0 src1_sel:DWORD
	s_and_saveexec_b64 s[10:11], s[20:21]
	s_cbranch_execz .LBB509_64
; %bb.59:
	s_movk_i32 s20, 0x80
	v_cmp_ne_u16_sdwa s[22:23], v36, s20 src0_sel:BYTE_0 src1_sel:DWORD
	v_bfrev_b32_e32 v41, 1
	s_and_saveexec_b64 s[20:21], s[22:23]
	s_cbranch_execz .LBB509_63
; %bb.60:
	s_movk_i32 s22, 0x7f
	v_and_b32_e32 v34, 0x7f, v36
	v_cmp_ne_u32_e32 vcc, s22, v34
	v_mov_b32_e32 v41, 0x7f800001
	s_and_saveexec_b64 s[22:23], vcc
	s_cbranch_execz .LBB509_62
; %bb.61:
	v_and_b32_e32 v35, 7, v36
	v_ffbh_u32_e32 v35, v35
	v_min_u32_e32 v35, 32, v35
	v_subrev_u32_e32 v40, 28, v35
	v_cmp_gt_u32_e32 vcc, 8, v34
	v_lshrrev_b32_e32 v39, 3, v34
	v_sub_u32_e32 v35, 29, v35
	v_cndmask_b32_e32 v34, 0, v40, vcc
	v_cndmask_b32_e32 v39, v39, v35, vcc
	v_lshlrev_b64 v[34:35], v34, v[36:37]
	v_lshlrev_b32_e32 v34, 20, v34
	v_lshlrev_b32_e32 v35, 24, v36
	v_bfrev_b32_e32 v40, 60
	v_and_b32_e32 v34, 0x700000, v34
	v_and_b32_e32 v35, 0x80000000, v35
	v_lshl_add_u32 v39, v39, 23, v40
	v_or3_b32 v41, v35, v39, v34
.LBB509_62:
	s_or_b64 exec, exec, s[22:23]
.LBB509_63:
	s_or_b64 exec, exec, s[20:21]
.LBB509_64:
	s_or_b64 exec, exec, s[10:11]
	v_lshrrev_b16_e32 v34, 8, v36
	v_cmp_ne_u16_e32 vcc, 0, v34
	v_mov_b32_e32 v47, 0
	s_and_saveexec_b64 s[10:11], vcc
	s_cbranch_execz .LBB509_70
; %bb.65:
	s_movk_i32 s20, 0x80
	v_cmp_ne_u16_e32 vcc, s20, v34
	v_bfrev_b32_e32 v47, 1
	s_and_saveexec_b64 s[20:21], vcc
	s_cbranch_execz .LBB509_69
; %bb.66:
	s_movk_i32 s22, 0x7f
	v_and_b32_e32 v35, 0x7f, v34
	v_cmp_ne_u32_e32 vcc, s22, v35
	v_mov_b32_e32 v47, 0x7f800001
	s_and_saveexec_b64 s[22:23], vcc
	s_cbranch_execz .LBB509_68
; %bb.67:
	v_and_b32_e32 v39, 7, v34
	v_ffbh_u32_e32 v47, v39
	v_min_u32_e32 v47, 32, v47
	v_subrev_u32_e32 v48, 28, v47
	v_lshlrev_b64 v[48:49], v48, v[34:35]
	v_lshrrev_b32_e32 v40, 3, v35
	v_sub_u32_e32 v34, 29, v47
	v_and_b32_e32 v47, 7, v48
	v_cmp_gt_u32_e32 vcc, 8, v35
	v_cndmask_b32_e32 v34, v40, v34, vcc
	v_cndmask_b32_e32 v35, v39, v47, vcc
	v_lshlrev_b32_e32 v39, 16, v36
	v_bfrev_b32_e32 v40, 60
	v_lshlrev_b32_e32 v35, 20, v35
	v_and_b32_e32 v39, 0x80000000, v39
	v_lshl_add_u32 v34, v34, 23, v40
	v_or3_b32 v47, v39, v34, v35
.LBB509_68:
	s_or_b64 exec, exec, s[22:23]
.LBB509_69:
	s_or_b64 exec, exec, s[20:21]
.LBB509_70:
	s_or_b64 exec, exec, s[10:11]
	s_movk_i32 s10, 0xff
	v_and_b32_sdwa v35, v36, s10 dst_sel:DWORD dst_unused:UNUSED_PAD src0_sel:WORD_1 src1_sel:DWORD
	v_lshrrev_b32_e32 v34, 16, v36
	v_cmp_ne_u16_e32 vcc, 0, v35
	s_and_saveexec_b64 s[10:11], vcc
	s_cbranch_execz .LBB509_76
; %bb.71:
	s_movk_i32 s20, 0x80
	v_cmp_ne_u16_e32 vcc, s20, v35
	v_bfrev_b32_e32 v42, 1
	s_and_saveexec_b64 s[20:21], vcc
	s_cbranch_execz .LBB509_75
; %bb.72:
	v_bfe_u32 v35, v36, 16, 7
	s_movk_i32 s22, 0x7f
	v_cmp_ne_u32_e32 vcc, s22, v35
	v_mov_b32_e32 v42, 0x7f800001
	s_and_saveexec_b64 s[22:23], vcc
	s_cbranch_execz .LBB509_74
; %bb.73:
	v_and_b32_e32 v39, 7, v34
	v_ffbh_u32_e32 v42, v39
	v_min_u32_e32 v42, 32, v42
	v_subrev_u32_e32 v48, 28, v42
	v_lshlrev_b64 v[48:49], v48, v[34:35]
	v_sub_u32_e32 v34, 29, v42
	v_and_b32_e32 v42, 7, v48
	v_cmp_gt_u32_e32 vcc, 8, v35
	v_lshrrev_b32_e32 v40, 3, v35
	v_cndmask_b32_e32 v35, v39, v42, vcc
	v_mov_b32_e32 v39, 24
	v_cndmask_b32_e32 v34, v40, v34, vcc
	v_lshlrev_b32_sdwa v39, v39, v36 dst_sel:DWORD dst_unused:UNUSED_PAD src0_sel:DWORD src1_sel:WORD_1
	v_bfrev_b32_e32 v40, 60
	v_lshlrev_b32_e32 v35, 20, v35
	v_and_b32_e32 v39, 0x80000000, v39
	v_lshl_add_u32 v34, v34, 23, v40
	v_or3_b32 v42, v39, v34, v35
.LBB509_74:
	s_or_b64 exec, exec, s[22:23]
.LBB509_75:
	s_or_b64 exec, exec, s[20:21]
.LBB509_76:
	s_or_b64 exec, exec, s[10:11]
	s_mov_b32 s10, 0xffffff
	v_cmp_lt_u32_e32 vcc, s10, v36
	v_mov_b32_e32 v35, 0
	v_mov_b32_e32 v48, 0
	s_and_saveexec_b64 s[10:11], vcc
	s_cbranch_execz .LBB509_82
; %bb.77:
	v_lshrrev_b32_e32 v34, 24, v36
	s_movk_i32 s20, 0x80
	v_cmp_ne_u32_e32 vcc, s20, v34
	v_bfrev_b32_e32 v48, 1
	s_and_saveexec_b64 s[20:21], vcc
	s_cbranch_execz .LBB509_81
; %bb.78:
	v_bfe_u32 v39, v36, 24, 7
	s_movk_i32 s22, 0x7f
	v_cmp_ne_u32_e32 vcc, s22, v39
	v_mov_b32_e32 v48, 0x7f800001
	s_and_saveexec_b64 s[22:23], vcc
	s_cbranch_execz .LBB509_80
; %bb.79:
	v_and_b32_e32 v40, 7, v34
	v_ffbh_u32_e32 v48, v40
	v_min_u32_e32 v51, 32, v48
	v_subrev_u32_e32 v48, 28, v51
	v_lshlrev_b64 v[48:49], v48, v[34:35]
	v_lshrrev_b32_e32 v50, 3, v39
	v_sub_u32_e32 v49, 29, v51
	v_and_b32_e32 v48, 7, v48
	v_cmp_gt_u32_e32 vcc, 8, v39
	v_cndmask_b32_e32 v39, v50, v49, vcc
	v_cndmask_b32_e32 v40, v40, v48, vcc
	v_lshlrev_b32_e32 v34, 24, v34
	v_bfrev_b32_e32 v48, 60
	v_lshlrev_b32_e32 v40, 20, v40
	v_and_b32_e32 v34, 0x80000000, v34
	v_lshl_add_u32 v39, v39, 23, v48
	v_or3_b32 v48, v34, v39, v40
.LBB509_80:
	s_or_b64 exec, exec, s[22:23]
.LBB509_81:
	s_or_b64 exec, exec, s[20:21]
.LBB509_82:
	s_or_b64 exec, exec, s[10:11]
	v_mov_b32_e32 v34, v37
	v_cmp_ne_u16_sdwa s[20:21], v37, v35 src0_sel:BYTE_0 src1_sel:DWORD
	s_and_saveexec_b64 s[10:11], s[20:21]
	s_cbranch_execz .LBB509_88
; %bb.83:
	s_movk_i32 s20, 0x80
	v_cmp_ne_u16_sdwa s[22:23], v37, s20 src0_sel:BYTE_0 src1_sel:DWORD
	v_bfrev_b32_e32 v39, 1
	s_and_saveexec_b64 s[20:21], s[22:23]
	s_cbranch_execz .LBB509_87
; %bb.84:
	s_movk_i32 s22, 0x7f
	v_and_b32_e32 v40, 0x7f, v37
	v_cmp_ne_u32_e32 vcc, s22, v40
	v_mov_b32_e32 v39, 0x7f800001
	s_and_saveexec_b64 s[22:23], vcc
	s_cbranch_execz .LBB509_86
; %bb.85:
	v_and_b32_e32 v39, 7, v37
	v_ffbh_u32_e32 v39, v39
	v_min_u32_e32 v39, 32, v39
	v_subrev_u32_e32 v50, 28, v39
	v_cmp_gt_u32_e32 vcc, 8, v40
	v_lshrrev_b32_e32 v49, 3, v40
	v_cndmask_b32_e32 v40, 0, v50, vcc
	v_sub_u32_e32 v39, 29, v39
	v_lshlrev_b64 v[50:51], v40, v[34:35]
	v_cndmask_b32_e32 v39, v49, v39, vcc
	v_lshlrev_b32_e32 v35, 20, v50
	v_lshlrev_b32_e32 v40, 24, v34
	v_bfrev_b32_e32 v49, 60
	v_and_b32_e32 v35, 0x700000, v35
	v_and_b32_e32 v40, 0x80000000, v40
	v_lshl_add_u32 v39, v39, 23, v49
	v_or3_b32 v39, v40, v39, v35
.LBB509_86:
	s_or_b64 exec, exec, s[22:23]
.LBB509_87:
	s_or_b64 exec, exec, s[20:21]
	v_mov_b32_e32 v35, v39
.LBB509_88:
	s_or_b64 exec, exec, s[10:11]
	v_lshrrev_b16_e32 v40, 8, v34
	v_cmp_ne_u16_e32 vcc, 0, v40
	v_mov_b32_e32 v49, 0
	v_mov_b32_e32 v50, 0
	s_and_saveexec_b64 s[10:11], vcc
	s_cbranch_execz .LBB509_94
; %bb.89:
	s_movk_i32 s20, 0x80
	v_cmp_ne_u16_e32 vcc, s20, v40
	v_bfrev_b32_e32 v50, 1
	s_and_saveexec_b64 s[20:21], vcc
	s_cbranch_execz .LBB509_93
; %bb.90:
	s_movk_i32 s22, 0x7f
	v_and_b32_e32 v39, 0x7f, v40
	v_cmp_ne_u32_e32 vcc, s22, v39
	v_mov_b32_e32 v50, 0x7f800001
	s_and_saveexec_b64 s[22:23], vcc
	s_cbranch_execz .LBB509_92
; %bb.91:
	v_and_b32_e32 v52, 7, v40
	v_ffbh_u32_e32 v50, v52
	v_min_u32_e32 v54, 32, v50
	v_subrev_u32_e32 v50, 28, v54
	v_lshlrev_b64 v[50:51], v50, v[40:41]
	v_lshrrev_b32_e32 v53, 3, v39
	v_sub_u32_e32 v40, 29, v54
	v_and_b32_e32 v50, 7, v50
	v_cmp_gt_u32_e32 vcc, 8, v39
	v_cndmask_b32_e32 v39, v53, v40, vcc
	v_cndmask_b32_e32 v40, v52, v50, vcc
	v_lshlrev_b32_e32 v34, 16, v34
	v_bfrev_b32_e32 v50, 60
	v_lshlrev_b32_e32 v40, 20, v40
	v_and_b32_e32 v34, 0x80000000, v34
	v_lshl_add_u32 v39, v39, 23, v50
	v_or3_b32 v50, v34, v39, v40
.LBB509_92:
	s_or_b64 exec, exec, s[22:23]
.LBB509_93:
	s_or_b64 exec, exec, s[20:21]
.LBB509_94:
	s_or_b64 exec, exec, s[10:11]
	s_movk_i32 s10, 0xff
	v_and_b32_sdwa v39, v37, s10 dst_sel:DWORD dst_unused:UNUSED_PAD src0_sel:WORD_1 src1_sel:DWORD
	v_lshrrev_b32_e32 v34, 16, v37
	v_cmp_ne_u16_e32 vcc, 0, v39
	s_and_saveexec_b64 s[10:11], vcc
	s_cbranch_execz .LBB509_100
; %bb.95:
	s_movk_i32 s20, 0x80
	v_cmp_ne_u16_e32 vcc, s20, v39
	v_bfrev_b32_e32 v49, 1
	s_and_saveexec_b64 s[20:21], vcc
	s_cbranch_execz .LBB509_99
; %bb.96:
	v_bfe_u32 v39, v37, 16, 7
	s_movk_i32 s22, 0x7f
	v_cmp_ne_u32_e32 vcc, s22, v39
	v_mov_b32_e32 v49, 0x7f800001
	s_and_saveexec_b64 s[22:23], vcc
	s_cbranch_execz .LBB509_98
; %bb.97:
	v_and_b32_e32 v40, 7, v34
	v_ffbh_u32_e32 v51, v40
	v_min_u32_e32 v51, 32, v51
	v_subrev_u32_e32 v52, 28, v51
	v_lshlrev_b64 v[52:53], v52, v[34:35]
	v_sub_u32_e32 v34, 29, v51
	v_and_b32_e32 v51, 7, v52
	v_cmp_gt_u32_e32 vcc, 8, v39
	v_lshrrev_b32_e32 v49, 3, v39
	v_cndmask_b32_e32 v39, v40, v51, vcc
	v_mov_b32_e32 v40, 24
	v_cndmask_b32_e32 v34, v49, v34, vcc
	v_lshlrev_b32_sdwa v40, v40, v37 dst_sel:DWORD dst_unused:UNUSED_PAD src0_sel:DWORD src1_sel:WORD_1
	v_bfrev_b32_e32 v49, 60
	v_lshlrev_b32_e32 v39, 20, v39
	v_and_b32_e32 v40, 0x80000000, v40
	v_lshl_add_u32 v34, v34, 23, v49
	v_or3_b32 v49, v40, v34, v39
.LBB509_98:
	s_or_b64 exec, exec, s[22:23]
.LBB509_99:
	s_or_b64 exec, exec, s[20:21]
.LBB509_100:
	s_or_b64 exec, exec, s[10:11]
	s_mov_b32 s10, -1
	s_mov_b32 s11, 0xffffff
	v_cmp_lt_u64_e32 vcc, s[10:11], v[36:37]
	v_mov_b32_e32 v39, 0
	v_mov_b32_e32 v36, 0
	s_and_saveexec_b64 s[10:11], vcc
	s_cbranch_execz .LBB509_106
; %bb.101:
	v_lshrrev_b32_e32 v34, 24, v37
	s_movk_i32 s20, 0x80
	v_cmp_ne_u32_e32 vcc, s20, v34
	v_bfrev_b32_e32 v36, 1
	s_and_saveexec_b64 s[20:21], vcc
	s_cbranch_execz .LBB509_105
; %bb.102:
	v_bfe_u32 v37, v37, 24, 7
	s_movk_i32 s22, 0x7f
	v_cmp_ne_u32_e32 vcc, s22, v37
	v_mov_b32_e32 v36, 0x7f800001
	s_and_saveexec_b64 s[22:23], vcc
	s_cbranch_execz .LBB509_104
; %bb.103:
	v_and_b32_e32 v36, 7, v34
	v_ffbh_u32_e32 v51, v36
	v_min_u32_e32 v51, 32, v51
	v_subrev_u32_e32 v52, 28, v51
	v_lshlrev_b64 v[52:53], v52, v[34:35]
	v_lshrrev_b32_e32 v40, 3, v37
	v_sub_u32_e32 v51, 29, v51
	v_and_b32_e32 v52, 7, v52
	v_cmp_gt_u32_e32 vcc, 8, v37
	v_cndmask_b32_e32 v37, v40, v51, vcc
	v_cndmask_b32_e32 v36, v36, v52, vcc
	v_lshlrev_b32_e32 v34, 24, v34
	v_bfrev_b32_e32 v40, 60
	v_lshlrev_b32_e32 v36, 20, v36
	v_and_b32_e32 v34, 0x80000000, v34
	v_lshl_add_u32 v37, v37, 23, v40
	v_or3_b32 v36, v34, v37, v36
.LBB509_104:
	s_or_b64 exec, exec, s[22:23]
.LBB509_105:
	s_or_b64 exec, exec, s[20:21]
.LBB509_106:
	s_or_b64 exec, exec, s[10:11]
	v_cvt_pkrtz_f16_f32 v40, v41, v47
	v_cvt_pkrtz_f16_f32 v41, v42, v48
	;; [unrolled: 1-line block ×4, first 2 shown]
	v_mfma_f32_4x4x4f16 a[0:3], v[2:3], v[40:41], a[0:3] cbsz:4 abid:1
	v_cmp_ne_u16_sdwa s[20:21], v30, v39 src0_sel:BYTE_0 src1_sel:DWORD
	v_mfma_f32_4x4x4f16 a[0:3], v[4:5], v[34:35], a[0:3] cbsz:4 abid:1
	s_and_saveexec_b64 s[10:11], s[20:21]
	s_cbranch_execz .LBB509_112
; %bb.107:
	s_movk_i32 s20, 0x80
	v_cmp_ne_u16_sdwa s[22:23], v30, s20 src0_sel:BYTE_0 src1_sel:DWORD
	v_bfrev_b32_e32 v39, 1
	s_and_saveexec_b64 s[20:21], s[22:23]
	s_cbranch_execz .LBB509_111
; %bb.108:
	s_movk_i32 s22, 0x7f
	v_and_b32_e32 v34, 0x7f, v30
	v_cmp_ne_u32_e32 vcc, s22, v34
	v_mov_b32_e32 v39, 0x7f800001
	s_and_saveexec_b64 s[22:23], vcc
	s_cbranch_execz .LBB509_110
; %bb.109:
	v_and_b32_e32 v35, 7, v30
	v_ffbh_u32_e32 v35, v35
	v_min_u32_e32 v35, 32, v35
	v_subrev_u32_e32 v37, 28, v35
	v_cmp_gt_u32_e32 vcc, 8, v34
	v_lshrrev_b32_e32 v36, 3, v34
	v_sub_u32_e32 v35, 29, v35
	v_cndmask_b32_e32 v34, 0, v37, vcc
	v_cndmask_b32_e32 v36, v36, v35, vcc
	v_lshlrev_b64 v[34:35], v34, v[30:31]
	v_lshlrev_b32_e32 v34, 20, v34
	v_lshlrev_b32_e32 v35, 24, v30
	v_bfrev_b32_e32 v37, 60
	v_and_b32_e32 v34, 0x700000, v34
	v_and_b32_e32 v35, 0x80000000, v35
	v_lshl_add_u32 v36, v36, 23, v37
	v_or3_b32 v39, v35, v36, v34
.LBB509_110:
	s_or_b64 exec, exec, s[22:23]
.LBB509_111:
	s_or_b64 exec, exec, s[20:21]
.LBB509_112:
	s_or_b64 exec, exec, s[10:11]
	v_lshrrev_b16_e32 v34, 8, v30
	v_cmp_ne_u16_e32 vcc, 0, v34
	v_mov_b32_e32 v37, 0
	v_mov_b32_e32 v40, 0
	s_and_saveexec_b64 s[10:11], vcc
	s_cbranch_execz .LBB509_118
; %bb.113:
	s_movk_i32 s20, 0x80
	v_cmp_ne_u16_e32 vcc, s20, v34
	v_bfrev_b32_e32 v40, 1
	s_and_saveexec_b64 s[20:21], vcc
	s_cbranch_execz .LBB509_117
; %bb.114:
	s_movk_i32 s22, 0x7f
	v_and_b32_e32 v35, 0x7f, v34
	v_cmp_ne_u32_e32 vcc, s22, v35
	v_mov_b32_e32 v40, 0x7f800001
	s_and_saveexec_b64 s[22:23], vcc
	s_cbranch_execz .LBB509_116
; %bb.115:
	v_and_b32_e32 v36, 7, v34
	v_ffbh_u32_e32 v40, v36
	v_min_u32_e32 v47, 32, v40
	v_subrev_u32_e32 v40, 28, v47
	v_lshlrev_b64 v[40:41], v40, v[34:35]
	v_lshrrev_b32_e32 v42, 3, v35
	v_sub_u32_e32 v34, 29, v47
	v_and_b32_e32 v40, 7, v40
	v_cmp_gt_u32_e32 vcc, 8, v35
	v_cndmask_b32_e32 v34, v42, v34, vcc
	v_cndmask_b32_e32 v35, v36, v40, vcc
	v_lshlrev_b32_e32 v36, 16, v30
	v_bfrev_b32_e32 v40, 60
	v_lshlrev_b32_e32 v35, 20, v35
	v_and_b32_e32 v36, 0x80000000, v36
	v_lshl_add_u32 v34, v34, 23, v40
	v_or3_b32 v40, v36, v34, v35
.LBB509_116:
	s_or_b64 exec, exec, s[22:23]
.LBB509_117:
	s_or_b64 exec, exec, s[20:21]
.LBB509_118:
	s_or_b64 exec, exec, s[10:11]
	s_movk_i32 s10, 0xff
	v_and_b32_sdwa v35, v30, s10 dst_sel:DWORD dst_unused:UNUSED_PAD src0_sel:WORD_1 src1_sel:DWORD
	v_lshrrev_b32_e32 v34, 16, v30
	v_cmp_ne_u16_e32 vcc, 0, v35
	s_and_saveexec_b64 s[10:11], vcc
	s_cbranch_execz .LBB509_124
; %bb.119:
	s_movk_i32 s20, 0x80
	v_cmp_ne_u16_e32 vcc, s20, v35
	v_bfrev_b32_e32 v37, 1
	s_and_saveexec_b64 s[20:21], vcc
	s_cbranch_execz .LBB509_123
; %bb.120:
	v_bfe_u32 v35, v30, 16, 7
	s_movk_i32 s22, 0x7f
	v_cmp_ne_u32_e32 vcc, s22, v35
	v_mov_b32_e32 v37, 0x7f800001
	s_and_saveexec_b64 s[22:23], vcc
	s_cbranch_execz .LBB509_122
; %bb.121:
	v_and_b32_e32 v41, 7, v34
	v_ffbh_u32_e32 v36, v41
	v_min_u32_e32 v47, 32, v36
	v_subrev_u32_e32 v36, 28, v47
	v_lshlrev_b64 v[36:37], v36, v[34:35]
	v_and_b32_e32 v36, 7, v36
	v_cmp_gt_u32_e32 vcc, 8, v35
	v_lshrrev_b32_e32 v42, 3, v35
	v_sub_u32_e32 v34, 29, v47
	v_cndmask_b32_e32 v35, v41, v36, vcc
	v_mov_b32_e32 v36, 24
	v_cndmask_b32_e32 v34, v42, v34, vcc
	v_lshlrev_b32_sdwa v36, v36, v30 dst_sel:DWORD dst_unused:UNUSED_PAD src0_sel:DWORD src1_sel:WORD_1
	v_bfrev_b32_e32 v37, 60
	v_lshlrev_b32_e32 v35, 20, v35
	v_and_b32_e32 v36, 0x80000000, v36
	v_lshl_add_u32 v34, v34, 23, v37
	v_or3_b32 v37, v36, v34, v35
.LBB509_122:
	s_or_b64 exec, exec, s[22:23]
.LBB509_123:
	s_or_b64 exec, exec, s[20:21]
.LBB509_124:
	s_or_b64 exec, exec, s[10:11]
	s_mov_b32 s10, 0xffffff
	v_cmp_lt_u32_e32 vcc, s10, v30
	v_mov_b32_e32 v35, 0
	v_mov_b32_e32 v41, 0
	s_and_saveexec_b64 s[10:11], vcc
	s_cbranch_execz .LBB509_130
; %bb.125:
	v_lshrrev_b32_e32 v34, 24, v30
	s_movk_i32 s20, 0x80
	v_cmp_ne_u32_e32 vcc, s20, v34
	v_bfrev_b32_e32 v41, 1
	s_and_saveexec_b64 s[20:21], vcc
	s_cbranch_execz .LBB509_129
; %bb.126:
	v_bfe_u32 v36, v30, 24, 7
	s_movk_i32 s22, 0x7f
	v_cmp_ne_u32_e32 vcc, s22, v36
	v_mov_b32_e32 v41, 0x7f800001
	s_and_saveexec_b64 s[22:23], vcc
	s_cbranch_execz .LBB509_128
; %bb.127:
	v_and_b32_e32 v41, 7, v34
	v_ffbh_u32_e32 v47, v41
	v_min_u32_e32 v47, 32, v47
	v_subrev_u32_e32 v48, 28, v47
	v_lshlrev_b64 v[48:49], v48, v[34:35]
	v_lshrrev_b32_e32 v42, 3, v36
	v_sub_u32_e32 v47, 29, v47
	v_and_b32_e32 v48, 7, v48
	v_cmp_gt_u32_e32 vcc, 8, v36
	v_cndmask_b32_e32 v36, v42, v47, vcc
	v_cndmask_b32_e32 v41, v41, v48, vcc
	v_lshlrev_b32_e32 v34, 24, v34
	v_bfrev_b32_e32 v42, 60
	v_lshlrev_b32_e32 v41, 20, v41
	v_and_b32_e32 v34, 0x80000000, v34
	v_lshl_add_u32 v36, v36, 23, v42
	v_or3_b32 v41, v34, v36, v41
.LBB509_128:
	s_or_b64 exec, exec, s[22:23]
.LBB509_129:
	s_or_b64 exec, exec, s[20:21]
.LBB509_130:
	s_or_b64 exec, exec, s[10:11]
	v_mov_b32_e32 v34, v31
	v_cmp_ne_u16_sdwa s[20:21], v31, v35 src0_sel:BYTE_0 src1_sel:DWORD
	s_and_saveexec_b64 s[10:11], s[20:21]
	s_cbranch_execz .LBB509_136
; %bb.131:
	s_movk_i32 s20, 0x80
	v_cmp_ne_u16_sdwa s[22:23], v31, s20 src0_sel:BYTE_0 src1_sel:DWORD
	v_bfrev_b32_e32 v36, 1
	s_and_saveexec_b64 s[20:21], s[22:23]
	s_cbranch_execz .LBB509_135
; %bb.132:
	s_movk_i32 s22, 0x7f
	v_and_b32_e32 v42, 0x7f, v31
	v_cmp_ne_u32_e32 vcc, s22, v42
	v_mov_b32_e32 v36, 0x7f800001
	s_and_saveexec_b64 s[22:23], vcc
	s_cbranch_execz .LBB509_134
; %bb.133:
	v_and_b32_e32 v36, 7, v31
	v_ffbh_u32_e32 v36, v36
	v_min_u32_e32 v36, 32, v36
	v_subrev_u32_e32 v48, 28, v36
	v_cmp_gt_u32_e32 vcc, 8, v42
	v_lshrrev_b32_e32 v47, 3, v42
	v_cndmask_b32_e32 v42, 0, v48, vcc
	v_sub_u32_e32 v36, 29, v36
	v_lshlrev_b64 v[48:49], v42, v[34:35]
	v_cndmask_b32_e32 v36, v47, v36, vcc
	v_lshlrev_b32_e32 v35, 20, v48
	v_lshlrev_b32_e32 v42, 24, v34
	v_bfrev_b32_e32 v47, 60
	v_and_b32_e32 v35, 0x700000, v35
	v_and_b32_e32 v42, 0x80000000, v42
	v_lshl_add_u32 v36, v36, 23, v47
	v_or3_b32 v36, v42, v36, v35
.LBB509_134:
	s_or_b64 exec, exec, s[22:23]
.LBB509_135:
	s_or_b64 exec, exec, s[20:21]
	v_mov_b32_e32 v35, v36
.LBB509_136:
	s_or_b64 exec, exec, s[10:11]
	v_lshrrev_b16_e32 v36, 8, v34
	v_cmp_ne_u16_e32 vcc, 0, v36
	v_mov_b32_e32 v42, 0
	v_mov_b32_e32 v47, 0
	s_and_saveexec_b64 s[10:11], vcc
	s_cbranch_execz .LBB509_142
; %bb.137:
	s_movk_i32 s20, 0x80
	v_cmp_ne_u16_e32 vcc, s20, v36
	v_bfrev_b32_e32 v47, 1
	s_and_saveexec_b64 s[20:21], vcc
	s_cbranch_execz .LBB509_141
; %bb.138:
	s_movk_i32 s22, 0x7f
	v_and_b32_e32 v48, 0x7f, v36
	v_cmp_ne_u32_e32 vcc, s22, v48
	v_mov_b32_e32 v47, 0x7f800001
	s_and_saveexec_b64 s[22:23], vcc
	s_cbranch_execz .LBB509_140
; %bb.139:
	v_and_b32_e32 v47, 7, v36
	v_ffbh_u32_e32 v50, v47
	v_min_u32_e32 v52, 32, v50
	v_subrev_u32_e32 v50, 28, v52
	v_lshlrev_b64 v[50:51], v50, v[36:37]
	v_lshrrev_b32_e32 v49, 3, v48
	v_sub_u32_e32 v36, 29, v52
	v_and_b32_e32 v50, 7, v50
	v_cmp_gt_u32_e32 vcc, 8, v48
	v_cndmask_b32_e32 v36, v49, v36, vcc
	v_cndmask_b32_e32 v47, v47, v50, vcc
	v_lshlrev_b32_e32 v34, 16, v34
	v_bfrev_b32_e32 v48, 60
	v_lshlrev_b32_e32 v47, 20, v47
	v_and_b32_e32 v34, 0x80000000, v34
	v_lshl_add_u32 v36, v36, 23, v48
	v_or3_b32 v47, v34, v36, v47
.LBB509_140:
	s_or_b64 exec, exec, s[22:23]
.LBB509_141:
	s_or_b64 exec, exec, s[20:21]
.LBB509_142:
	s_or_b64 exec, exec, s[10:11]
	s_movk_i32 s10, 0xff
	v_and_b32_sdwa v36, v31, s10 dst_sel:DWORD dst_unused:UNUSED_PAD src0_sel:WORD_1 src1_sel:DWORD
	v_lshrrev_b32_e32 v34, 16, v31
	v_cmp_ne_u16_e32 vcc, 0, v36
	s_and_saveexec_b64 s[10:11], vcc
	s_cbranch_execz .LBB509_148
; %bb.143:
	s_movk_i32 s20, 0x80
	v_cmp_ne_u16_e32 vcc, s20, v36
	v_bfrev_b32_e32 v42, 1
	s_and_saveexec_b64 s[20:21], vcc
	s_cbranch_execz .LBB509_147
; %bb.144:
	v_bfe_u32 v36, v31, 16, 7
	s_movk_i32 s22, 0x7f
	v_cmp_ne_u32_e32 vcc, s22, v36
	v_mov_b32_e32 v42, 0x7f800001
	s_and_saveexec_b64 s[22:23], vcc
	s_cbranch_execz .LBB509_146
; %bb.145:
	v_and_b32_e32 v42, 7, v34
	v_ffbh_u32_e32 v48, v42
	v_min_u32_e32 v51, 32, v48
	v_subrev_u32_e32 v48, 28, v51
	v_lshlrev_b64 v[48:49], v48, v[34:35]
	v_and_b32_e32 v48, 7, v48
	v_cmp_gt_u32_e32 vcc, 8, v36
	v_lshrrev_b32_e32 v50, 3, v36
	v_sub_u32_e32 v34, 29, v51
	v_cndmask_b32_e32 v36, v42, v48, vcc
	v_mov_b32_e32 v42, 24
	v_cndmask_b32_e32 v34, v50, v34, vcc
	v_lshlrev_b32_sdwa v42, v42, v31 dst_sel:DWORD dst_unused:UNUSED_PAD src0_sel:DWORD src1_sel:WORD_1
	v_bfrev_b32_e32 v48, 60
	v_lshlrev_b32_e32 v36, 20, v36
	v_and_b32_e32 v42, 0x80000000, v42
	v_lshl_add_u32 v34, v34, 23, v48
	v_or3_b32 v42, v42, v34, v36
.LBB509_146:
	s_or_b64 exec, exec, s[22:23]
.LBB509_147:
	s_or_b64 exec, exec, s[20:21]
.LBB509_148:
	s_or_b64 exec, exec, s[10:11]
	s_mov_b32 s10, -1
	s_mov_b32 s11, 0xffffff
	v_cmp_lt_u64_e32 vcc, s[10:11], v[30:31]
	v_mov_b32_e32 v36, 0
	v_mov_b32_e32 v34, 0
	s_and_saveexec_b64 s[10:11], vcc
	s_cbranch_execz .LBB509_154
; %bb.149:
	v_lshrrev_b32_e32 v30, 24, v31
	s_movk_i32 s20, 0x80
	v_cmp_ne_u32_e32 vcc, s20, v30
	v_bfrev_b32_e32 v34, 1
	s_and_saveexec_b64 s[20:21], vcc
	s_cbranch_execz .LBB509_153
; %bb.150:
	v_bfe_u32 v31, v31, 24, 7
	s_movk_i32 s22, 0x7f
	v_cmp_ne_u32_e32 vcc, s22, v31
	v_mov_b32_e32 v34, 0x7f800001
	s_and_saveexec_b64 s[22:23], vcc
	s_cbranch_execz .LBB509_152
; %bb.151:
	v_and_b32_e32 v34, 7, v30
	v_ffbh_u32_e32 v48, v34
	v_min_u32_e32 v51, 32, v48
	v_subrev_u32_e32 v48, 28, v51
	v_lshlrev_b64 v[48:49], v48, v[30:31]
	v_lshrrev_b32_e32 v50, 3, v31
	v_sub_u32_e32 v49, 29, v51
	v_and_b32_e32 v48, 7, v48
	v_cmp_gt_u32_e32 vcc, 8, v31
	v_cndmask_b32_e32 v31, v50, v49, vcc
	v_cndmask_b32_e32 v34, v34, v48, vcc
	v_lshlrev_b32_e32 v30, 24, v30
	v_bfrev_b32_e32 v48, 60
	v_lshlrev_b32_e32 v34, 20, v34
	v_and_b32_e32 v30, 0x80000000, v30
	v_lshl_add_u32 v31, v31, 23, v48
	v_or3_b32 v34, v30, v31, v34
.LBB509_152:
	s_or_b64 exec, exec, s[22:23]
.LBB509_153:
	s_or_b64 exec, exec, s[20:21]
.LBB509_154:
	s_or_b64 exec, exec, s[10:11]
	v_cvt_pkrtz_f16_f32 v30, v39, v40
	v_cvt_pkrtz_f16_f32 v31, v37, v41
	;; [unrolled: 1-line block ×4, first 2 shown]
	v_mfma_f32_4x4x4f16 a[0:3], v[2:3], v[30:31], a[0:3] cbsz:4 abid:2
	v_cmp_ne_u16_sdwa s[20:21], v32, v36 src0_sel:BYTE_0 src1_sel:DWORD
	v_mfma_f32_4x4x4f16 a[0:3], v[4:5], v[40:41], a[0:3] cbsz:4 abid:2
	s_and_saveexec_b64 s[10:11], s[20:21]
	s_cbranch_execz .LBB509_160
; %bb.155:
	s_movk_i32 s20, 0x80
	v_cmp_ne_u16_sdwa s[22:23], v32, s20 src0_sel:BYTE_0 src1_sel:DWORD
	v_bfrev_b32_e32 v36, 1
	s_and_saveexec_b64 s[20:21], s[22:23]
	s_cbranch_execz .LBB509_159
; %bb.156:
	s_movk_i32 s22, 0x7f
	v_and_b32_e32 v30, 0x7f, v32
	v_cmp_ne_u32_e32 vcc, s22, v30
	v_mov_b32_e32 v36, 0x7f800001
	s_and_saveexec_b64 s[22:23], vcc
	s_cbranch_execz .LBB509_158
; %bb.157:
	v_and_b32_e32 v31, 7, v32
	v_ffbh_u32_e32 v31, v31
	v_min_u32_e32 v31, 32, v31
	v_subrev_u32_e32 v35, 28, v31
	v_cmp_gt_u32_e32 vcc, 8, v30
	v_lshrrev_b32_e32 v34, 3, v30
	v_sub_u32_e32 v31, 29, v31
	v_cndmask_b32_e32 v30, 0, v35, vcc
	v_cndmask_b32_e32 v34, v34, v31, vcc
	v_lshlrev_b64 v[30:31], v30, v[32:33]
	v_lshlrev_b32_e32 v30, 20, v30
	v_lshlrev_b32_e32 v31, 24, v32
	v_bfrev_b32_e32 v35, 60
	v_and_b32_e32 v30, 0x700000, v30
	v_and_b32_e32 v31, 0x80000000, v31
	v_lshl_add_u32 v34, v34, 23, v35
	v_or3_b32 v36, v31, v34, v30
.LBB509_158:
	s_or_b64 exec, exec, s[22:23]
.LBB509_159:
	s_or_b64 exec, exec, s[20:21]
.LBB509_160:
	s_or_b64 exec, exec, s[10:11]
	v_lshrrev_b16_e32 v30, 8, v32
	v_cmp_ne_u16_e32 vcc, 0, v30
	v_mov_b32_e32 v35, 0
	v_mov_b32_e32 v37, 0
	s_and_saveexec_b64 s[10:11], vcc
	s_cbranch_execz .LBB509_166
; %bb.161:
	s_movk_i32 s20, 0x80
	v_cmp_ne_u16_e32 vcc, s20, v30
	v_bfrev_b32_e32 v37, 1
	s_and_saveexec_b64 s[20:21], vcc
	s_cbranch_execz .LBB509_165
; %bb.162:
	s_movk_i32 s22, 0x7f
	v_and_b32_e32 v31, 0x7f, v30
	v_cmp_ne_u32_e32 vcc, s22, v31
	v_mov_b32_e32 v37, 0x7f800001
	s_and_saveexec_b64 s[22:23], vcc
	s_cbranch_execz .LBB509_164
; %bb.163:
	v_and_b32_e32 v34, 7, v30
	v_ffbh_u32_e32 v39, v34
	v_min_u32_e32 v39, 32, v39
	v_subrev_u32_e32 v40, 28, v39
	v_lshlrev_b64 v[40:41], v40, v[30:31]
	v_lshrrev_b32_e32 v37, 3, v31
	v_sub_u32_e32 v30, 29, v39
	v_and_b32_e32 v39, 7, v40
	v_cmp_gt_u32_e32 vcc, 8, v31
	v_cndmask_b32_e32 v30, v37, v30, vcc
	v_cndmask_b32_e32 v31, v34, v39, vcc
	v_lshlrev_b32_e32 v34, 16, v32
	v_bfrev_b32_e32 v37, 60
	v_lshlrev_b32_e32 v31, 20, v31
	v_and_b32_e32 v34, 0x80000000, v34
	v_lshl_add_u32 v30, v30, 23, v37
	v_or3_b32 v37, v34, v30, v31
.LBB509_164:
	s_or_b64 exec, exec, s[22:23]
.LBB509_165:
	s_or_b64 exec, exec, s[20:21]
.LBB509_166:
	s_or_b64 exec, exec, s[10:11]
	s_movk_i32 s10, 0xff
	v_and_b32_sdwa v31, v32, s10 dst_sel:DWORD dst_unused:UNUSED_PAD src0_sel:WORD_1 src1_sel:DWORD
	v_lshrrev_b32_e32 v30, 16, v32
	v_cmp_ne_u16_e32 vcc, 0, v31
	s_and_saveexec_b64 s[10:11], vcc
	s_cbranch_execz .LBB509_172
; %bb.167:
	s_movk_i32 s20, 0x80
	v_cmp_ne_u16_e32 vcc, s20, v31
	v_bfrev_b32_e32 v35, 1
	s_and_saveexec_b64 s[20:21], vcc
	s_cbranch_execz .LBB509_171
; %bb.168:
	v_bfe_u32 v31, v32, 16, 7
	s_movk_i32 s22, 0x7f
	v_cmp_ne_u32_e32 vcc, s22, v31
	v_mov_b32_e32 v35, 0x7f800001
	s_and_saveexec_b64 s[22:23], vcc
	s_cbranch_execz .LBB509_170
; %bb.169:
	v_and_b32_e32 v39, 7, v30
	v_ffbh_u32_e32 v34, v39
	v_min_u32_e32 v41, 32, v34
	v_subrev_u32_e32 v34, 28, v41
	v_lshlrev_b64 v[34:35], v34, v[30:31]
	v_and_b32_e32 v34, 7, v34
	v_cmp_gt_u32_e32 vcc, 8, v31
	v_lshrrev_b32_e32 v40, 3, v31
	v_sub_u32_e32 v30, 29, v41
	v_cndmask_b32_e32 v31, v39, v34, vcc
	v_mov_b32_e32 v34, 24
	v_cndmask_b32_e32 v30, v40, v30, vcc
	v_lshlrev_b32_sdwa v34, v34, v32 dst_sel:DWORD dst_unused:UNUSED_PAD src0_sel:DWORD src1_sel:WORD_1
	v_bfrev_b32_e32 v35, 60
	v_lshlrev_b32_e32 v31, 20, v31
	v_and_b32_e32 v34, 0x80000000, v34
	v_lshl_add_u32 v30, v30, 23, v35
	v_or3_b32 v35, v34, v30, v31
.LBB509_170:
	s_or_b64 exec, exec, s[22:23]
.LBB509_171:
	s_or_b64 exec, exec, s[20:21]
.LBB509_172:
	s_or_b64 exec, exec, s[10:11]
	s_mov_b32 s10, 0xffffff
	v_cmp_lt_u32_e32 vcc, s10, v32
	v_mov_b32_e32 v31, 0
	v_mov_b32_e32 v39, 0
	s_and_saveexec_b64 s[10:11], vcc
	s_cbranch_execz .LBB509_178
; %bb.173:
	v_lshrrev_b32_e32 v30, 24, v32
	s_movk_i32 s20, 0x80
	v_cmp_ne_u32_e32 vcc, s20, v30
	v_bfrev_b32_e32 v39, 1
	s_and_saveexec_b64 s[20:21], vcc
	s_cbranch_execz .LBB509_177
; %bb.174:
	v_bfe_u32 v34, v32, 24, 7
	s_movk_i32 s22, 0x7f
	v_cmp_ne_u32_e32 vcc, s22, v34
	v_mov_b32_e32 v39, 0x7f800001
	s_and_saveexec_b64 s[22:23], vcc
	s_cbranch_execz .LBB509_176
; %bb.175:
	v_and_b32_e32 v39, 7, v30
	v_ffbh_u32_e32 v40, v39
	v_min_u32_e32 v47, 32, v40
	v_subrev_u32_e32 v40, 28, v47
	v_lshlrev_b64 v[40:41], v40, v[30:31]
	v_lshrrev_b32_e32 v42, 3, v34
	v_sub_u32_e32 v41, 29, v47
	v_and_b32_e32 v40, 7, v40
	v_cmp_gt_u32_e32 vcc, 8, v34
	v_cndmask_b32_e32 v34, v42, v41, vcc
	v_cndmask_b32_e32 v39, v39, v40, vcc
	v_lshlrev_b32_e32 v30, 24, v30
	v_bfrev_b32_e32 v40, 60
	v_lshlrev_b32_e32 v39, 20, v39
	v_and_b32_e32 v30, 0x80000000, v30
	v_lshl_add_u32 v34, v34, 23, v40
	v_or3_b32 v39, v30, v34, v39
.LBB509_176:
	s_or_b64 exec, exec, s[22:23]
.LBB509_177:
	s_or_b64 exec, exec, s[20:21]
.LBB509_178:
	s_or_b64 exec, exec, s[10:11]
	v_mov_b32_e32 v30, v33
	v_cmp_ne_u16_sdwa s[20:21], v33, v31 src0_sel:BYTE_0 src1_sel:DWORD
	s_and_saveexec_b64 s[10:11], s[20:21]
	s_cbranch_execz .LBB509_184
; %bb.179:
	s_movk_i32 s20, 0x80
	v_cmp_ne_u16_sdwa s[22:23], v33, s20 src0_sel:BYTE_0 src1_sel:DWORD
	v_bfrev_b32_e32 v34, 1
	s_and_saveexec_b64 s[20:21], s[22:23]
	s_cbranch_execz .LBB509_183
; %bb.180:
	s_movk_i32 s22, 0x7f
	v_and_b32_e32 v40, 0x7f, v33
	v_cmp_ne_u32_e32 vcc, s22, v40
	v_mov_b32_e32 v34, 0x7f800001
	s_and_saveexec_b64 s[22:23], vcc
	s_cbranch_execz .LBB509_182
; %bb.181:
	v_and_b32_e32 v34, 7, v33
	v_ffbh_u32_e32 v34, v34
	v_min_u32_e32 v34, 32, v34
	v_subrev_u32_e32 v42, 28, v34
	v_cmp_gt_u32_e32 vcc, 8, v40
	v_lshrrev_b32_e32 v41, 3, v40
	v_sub_u32_e32 v34, 29, v34
	v_cndmask_b32_e32 v40, 0, v42, vcc
	v_cndmask_b32_e32 v34, v41, v34, vcc
	v_lshlrev_b64 v[40:41], v40, v[30:31]
	v_lshlrev_b32_e32 v31, 20, v40
	v_lshlrev_b32_e32 v40, 24, v30
	v_bfrev_b32_e32 v41, 60
	v_and_b32_e32 v31, 0x700000, v31
	v_and_b32_e32 v40, 0x80000000, v40
	v_lshl_add_u32 v34, v34, 23, v41
	v_or3_b32 v34, v40, v34, v31
.LBB509_182:
	s_or_b64 exec, exec, s[22:23]
.LBB509_183:
	s_or_b64 exec, exec, s[20:21]
	v_mov_b32_e32 v31, v34
.LBB509_184:
	s_or_b64 exec, exec, s[10:11]
	v_lshrrev_b16_e32 v34, 8, v30
	v_cmp_ne_u16_e32 vcc, 0, v34
	v_mov_b32_e32 v40, 0
	v_mov_b32_e32 v41, 0
	s_and_saveexec_b64 s[10:11], vcc
	s_cbranch_execz .LBB509_190
; %bb.185:
	s_movk_i32 s20, 0x80
	v_cmp_ne_u16_e32 vcc, s20, v34
	v_bfrev_b32_e32 v41, 1
	s_and_saveexec_b64 s[20:21], vcc
	s_cbranch_execz .LBB509_189
; %bb.186:
	s_movk_i32 s22, 0x7f
	v_and_b32_e32 v42, 0x7f, v34
	v_cmp_ne_u32_e32 vcc, s22, v42
	v_mov_b32_e32 v41, 0x7f800001
	s_and_saveexec_b64 s[22:23], vcc
	s_cbranch_execz .LBB509_188
; %bb.187:
	v_and_b32_e32 v41, 7, v34
	v_ffbh_u32_e32 v48, v41
	v_min_u32_e32 v50, 32, v48
	v_subrev_u32_e32 v48, 28, v50
	v_lshlrev_b64 v[48:49], v48, v[34:35]
	v_lshrrev_b32_e32 v47, 3, v42
	v_sub_u32_e32 v34, 29, v50
	v_and_b32_e32 v48, 7, v48
	v_cmp_gt_u32_e32 vcc, 8, v42
	v_cndmask_b32_e32 v34, v47, v34, vcc
	v_cndmask_b32_e32 v41, v41, v48, vcc
	v_lshlrev_b32_e32 v30, 16, v30
	v_bfrev_b32_e32 v42, 60
	v_lshlrev_b32_e32 v41, 20, v41
	v_and_b32_e32 v30, 0x80000000, v30
	v_lshl_add_u32 v34, v34, 23, v42
	v_or3_b32 v41, v30, v34, v41
.LBB509_188:
	s_or_b64 exec, exec, s[22:23]
.LBB509_189:
	s_or_b64 exec, exec, s[20:21]
.LBB509_190:
	s_or_b64 exec, exec, s[10:11]
	s_movk_i32 s10, 0xff
	v_and_b32_sdwa v34, v33, s10 dst_sel:DWORD dst_unused:UNUSED_PAD src0_sel:WORD_1 src1_sel:DWORD
	v_lshrrev_b32_e32 v30, 16, v33
	v_cmp_ne_u16_e32 vcc, 0, v34
	s_and_saveexec_b64 s[10:11], vcc
	s_cbranch_execz .LBB509_196
; %bb.191:
	s_movk_i32 s20, 0x80
	v_cmp_ne_u16_e32 vcc, s20, v34
	v_bfrev_b32_e32 v40, 1
	s_and_saveexec_b64 s[20:21], vcc
	s_cbranch_execz .LBB509_195
; %bb.192:
	v_bfe_u32 v34, v33, 16, 7
	s_movk_i32 s22, 0x7f
	v_cmp_ne_u32_e32 vcc, s22, v34
	v_mov_b32_e32 v40, 0x7f800001
	s_and_saveexec_b64 s[22:23], vcc
	s_cbranch_execz .LBB509_194
; %bb.193:
	v_and_b32_e32 v40, 7, v30
	v_ffbh_u32_e32 v47, v40
	v_min_u32_e32 v47, 32, v47
	v_subrev_u32_e32 v48, 28, v47
	v_lshlrev_b64 v[48:49], v48, v[30:31]
	v_sub_u32_e32 v30, 29, v47
	v_and_b32_e32 v47, 7, v48
	v_cmp_gt_u32_e32 vcc, 8, v34
	v_lshrrev_b32_e32 v42, 3, v34
	v_cndmask_b32_e32 v34, v40, v47, vcc
	v_mov_b32_e32 v40, 24
	v_cndmask_b32_e32 v30, v42, v30, vcc
	v_lshlrev_b32_sdwa v40, v40, v33 dst_sel:DWORD dst_unused:UNUSED_PAD src0_sel:DWORD src1_sel:WORD_1
	v_bfrev_b32_e32 v42, 60
	v_lshlrev_b32_e32 v34, 20, v34
	v_and_b32_e32 v40, 0x80000000, v40
	v_lshl_add_u32 v30, v30, 23, v42
	v_or3_b32 v40, v40, v30, v34
.LBB509_194:
	s_or_b64 exec, exec, s[22:23]
.LBB509_195:
	s_or_b64 exec, exec, s[20:21]
.LBB509_196:
	s_or_b64 exec, exec, s[10:11]
	s_mov_b32 s10, -1
	s_mov_b32 s11, 0xffffff
	v_cmp_lt_u64_e32 vcc, s[10:11], v[32:33]
	v_mov_b32_e32 v34, 0
	v_mov_b32_e32 v32, 0
	s_and_saveexec_b64 s[10:11], vcc
	s_cbranch_execz .LBB509_202
; %bb.197:
	v_lshrrev_b32_e32 v30, 24, v33
	s_movk_i32 s20, 0x80
	v_cmp_ne_u32_e32 vcc, s20, v30
	v_bfrev_b32_e32 v32, 1
	s_and_saveexec_b64 s[20:21], vcc
	s_cbranch_execz .LBB509_201
; %bb.198:
	v_bfe_u32 v33, v33, 24, 7
	s_movk_i32 s22, 0x7f
	v_cmp_ne_u32_e32 vcc, s22, v33
	v_mov_b32_e32 v32, 0x7f800001
	s_and_saveexec_b64 s[22:23], vcc
	s_cbranch_execz .LBB509_200
; %bb.199:
	v_and_b32_e32 v32, 7, v30
	v_ffbh_u32_e32 v47, v32
	v_min_u32_e32 v47, 32, v47
	v_subrev_u32_e32 v48, 28, v47
	v_lshlrev_b64 v[48:49], v48, v[30:31]
	v_lshrrev_b32_e32 v42, 3, v33
	v_sub_u32_e32 v47, 29, v47
	v_and_b32_e32 v48, 7, v48
	v_cmp_gt_u32_e32 vcc, 8, v33
	v_cndmask_b32_e32 v33, v42, v47, vcc
	v_cndmask_b32_e32 v32, v32, v48, vcc
	v_lshlrev_b32_e32 v30, 24, v30
	v_bfrev_b32_e32 v42, 60
	v_lshlrev_b32_e32 v32, 20, v32
	v_and_b32_e32 v30, 0x80000000, v30
	v_lshl_add_u32 v33, v33, 23, v42
	v_or3_b32 v32, v30, v33, v32
.LBB509_200:
	s_or_b64 exec, exec, s[22:23]
.LBB509_201:
	s_or_b64 exec, exec, s[20:21]
.LBB509_202:
	s_or_b64 exec, exec, s[10:11]
	v_cvt_pkrtz_f16_f32 v36, v36, v37
	v_cvt_pkrtz_f16_f32 v37, v35, v39
	;; [unrolled: 1-line block ×4, first 2 shown]
	v_mfma_f32_4x4x4f16 a[0:3], v[2:3], v[36:37], a[0:3] cbsz:4 abid:3
	v_cmp_ne_u16_sdwa s[20:21], v26, v34 src0_sel:BYTE_0 src1_sel:DWORD
	v_mfma_f32_4x4x4f16 a[0:3], v[4:5], v[30:31], a[0:3] cbsz:4 abid:3
	s_and_saveexec_b64 s[10:11], s[20:21]
	s_cbranch_execz .LBB509_208
; %bb.203:
	s_movk_i32 s20, 0x80
	v_cmp_ne_u16_sdwa s[22:23], v26, s20 src0_sel:BYTE_0 src1_sel:DWORD
	v_bfrev_b32_e32 v34, 1
	s_and_saveexec_b64 s[20:21], s[22:23]
	s_cbranch_execz .LBB509_207
; %bb.204:
	s_movk_i32 s22, 0x7f
	v_and_b32_e32 v30, 0x7f, v26
	v_cmp_ne_u32_e32 vcc, s22, v30
	v_mov_b32_e32 v34, 0x7f800001
	s_and_saveexec_b64 s[22:23], vcc
	s_cbranch_execz .LBB509_206
; %bb.205:
	v_and_b32_e32 v31, 7, v26
	v_ffbh_u32_e32 v31, v31
	v_min_u32_e32 v31, 32, v31
	v_subrev_u32_e32 v33, 28, v31
	v_cmp_gt_u32_e32 vcc, 8, v30
	v_lshrrev_b32_e32 v32, 3, v30
	v_sub_u32_e32 v31, 29, v31
	v_cndmask_b32_e32 v30, 0, v33, vcc
	v_cndmask_b32_e32 v32, v32, v31, vcc
	v_lshlrev_b64 v[30:31], v30, v[26:27]
	v_lshlrev_b32_e32 v30, 20, v30
	v_lshlrev_b32_e32 v31, 24, v26
	v_bfrev_b32_e32 v33, 60
	v_and_b32_e32 v30, 0x700000, v30
	v_and_b32_e32 v31, 0x80000000, v31
	v_lshl_add_u32 v32, v32, 23, v33
	v_or3_b32 v34, v31, v32, v30
.LBB509_206:
	s_or_b64 exec, exec, s[22:23]
.LBB509_207:
	s_or_b64 exec, exec, s[20:21]
.LBB509_208:
	s_or_b64 exec, exec, s[10:11]
	v_lshrrev_b16_e32 v30, 8, v26
	v_cmp_ne_u16_e32 vcc, 0, v30
	v_mov_b32_e32 v33, 0
	v_mov_b32_e32 v35, 0
	s_and_saveexec_b64 s[10:11], vcc
	s_cbranch_execz .LBB509_214
; %bb.209:
	s_movk_i32 s20, 0x80
	v_cmp_ne_u16_e32 vcc, s20, v30
	v_bfrev_b32_e32 v35, 1
	s_and_saveexec_b64 s[20:21], vcc
	s_cbranch_execz .LBB509_213
; %bb.210:
	s_movk_i32 s22, 0x7f
	v_and_b32_e32 v31, 0x7f, v30
	v_cmp_ne_u32_e32 vcc, s22, v31
	v_mov_b32_e32 v35, 0x7f800001
	s_and_saveexec_b64 s[22:23], vcc
	s_cbranch_execz .LBB509_212
; %bb.211:
	v_and_b32_e32 v32, 7, v30
	v_ffbh_u32_e32 v36, v32
	v_min_u32_e32 v39, 32, v36
	v_subrev_u32_e32 v36, 28, v39
	v_lshlrev_b64 v[36:37], v36, v[30:31]
	v_lshrrev_b32_e32 v35, 3, v31
	v_sub_u32_e32 v30, 29, v39
	v_and_b32_e32 v36, 7, v36
	v_cmp_gt_u32_e32 vcc, 8, v31
	v_cndmask_b32_e32 v30, v35, v30, vcc
	v_cndmask_b32_e32 v31, v32, v36, vcc
	v_lshlrev_b32_e32 v32, 16, v26
	v_bfrev_b32_e32 v35, 60
	v_lshlrev_b32_e32 v31, 20, v31
	v_and_b32_e32 v32, 0x80000000, v32
	v_lshl_add_u32 v30, v30, 23, v35
	v_or3_b32 v35, v32, v30, v31
.LBB509_212:
	s_or_b64 exec, exec, s[22:23]
.LBB509_213:
	s_or_b64 exec, exec, s[20:21]
.LBB509_214:
	s_or_b64 exec, exec, s[10:11]
	s_movk_i32 s10, 0xff
	v_and_b32_sdwa v31, v26, s10 dst_sel:DWORD dst_unused:UNUSED_PAD src0_sel:WORD_1 src1_sel:DWORD
	v_lshrrev_b32_e32 v30, 16, v26
	v_cmp_ne_u16_e32 vcc, 0, v31
	s_and_saveexec_b64 s[10:11], vcc
	s_cbranch_execz .LBB509_220
; %bb.215:
	s_movk_i32 s20, 0x80
	v_cmp_ne_u16_e32 vcc, s20, v31
	v_bfrev_b32_e32 v33, 1
	s_and_saveexec_b64 s[20:21], vcc
	s_cbranch_execz .LBB509_219
; %bb.216:
	v_bfe_u32 v31, v26, 16, 7
	s_movk_i32 s22, 0x7f
	v_cmp_ne_u32_e32 vcc, s22, v31
	v_mov_b32_e32 v33, 0x7f800001
	s_and_saveexec_b64 s[22:23], vcc
	s_cbranch_execz .LBB509_218
; %bb.217:
	v_and_b32_e32 v36, 7, v30
	v_ffbh_u32_e32 v32, v36
	v_min_u32_e32 v39, 32, v32
	v_subrev_u32_e32 v32, 28, v39
	v_lshlrev_b64 v[32:33], v32, v[30:31]
	v_and_b32_e32 v32, 7, v32
	v_cmp_gt_u32_e32 vcc, 8, v31
	v_lshrrev_b32_e32 v37, 3, v31
	v_sub_u32_e32 v30, 29, v39
	v_cndmask_b32_e32 v31, v36, v32, vcc
	v_mov_b32_e32 v32, 24
	v_cndmask_b32_e32 v30, v37, v30, vcc
	v_lshlrev_b32_sdwa v32, v32, v26 dst_sel:DWORD dst_unused:UNUSED_PAD src0_sel:DWORD src1_sel:WORD_1
	v_bfrev_b32_e32 v33, 60
	v_lshlrev_b32_e32 v31, 20, v31
	v_and_b32_e32 v32, 0x80000000, v32
	v_lshl_add_u32 v30, v30, 23, v33
	v_or3_b32 v33, v32, v30, v31
.LBB509_218:
	s_or_b64 exec, exec, s[22:23]
.LBB509_219:
	s_or_b64 exec, exec, s[20:21]
.LBB509_220:
	s_or_b64 exec, exec, s[10:11]
	s_mov_b32 s10, 0xffffff
	v_cmp_lt_u32_e32 vcc, s10, v26
	v_mov_b32_e32 v31, 0
	v_mov_b32_e32 v36, 0
	s_and_saveexec_b64 s[10:11], vcc
	s_cbranch_execz .LBB509_226
; %bb.221:
	v_lshrrev_b32_e32 v30, 24, v26
	s_movk_i32 s20, 0x80
	v_cmp_ne_u32_e32 vcc, s20, v30
	v_bfrev_b32_e32 v36, 1
	s_and_saveexec_b64 s[20:21], vcc
	s_cbranch_execz .LBB509_225
; %bb.222:
	v_bfe_u32 v32, v26, 24, 7
	s_movk_i32 s22, 0x7f
	v_cmp_ne_u32_e32 vcc, s22, v32
	v_mov_b32_e32 v36, 0x7f800001
	s_and_saveexec_b64 s[22:23], vcc
	s_cbranch_execz .LBB509_224
; %bb.223:
	v_and_b32_e32 v39, 7, v30
	v_ffbh_u32_e32 v36, v39
	v_min_u32_e32 v41, 32, v36
	v_subrev_u32_e32 v36, 28, v41
	v_lshlrev_b64 v[36:37], v36, v[30:31]
	v_lshrrev_b32_e32 v40, 3, v32
	v_sub_u32_e32 v37, 29, v41
	v_and_b32_e32 v36, 7, v36
	v_cmp_gt_u32_e32 vcc, 8, v32
	v_cndmask_b32_e32 v32, v40, v37, vcc
	v_cndmask_b32_e32 v36, v39, v36, vcc
	v_lshlrev_b32_e32 v30, 24, v30
	v_bfrev_b32_e32 v37, 60
	v_lshlrev_b32_e32 v36, 20, v36
	v_and_b32_e32 v30, 0x80000000, v30
	v_lshl_add_u32 v32, v32, 23, v37
	v_or3_b32 v36, v30, v32, v36
.LBB509_224:
	s_or_b64 exec, exec, s[22:23]
.LBB509_225:
	s_or_b64 exec, exec, s[20:21]
.LBB509_226:
	s_or_b64 exec, exec, s[10:11]
	v_mov_b32_e32 v30, v27
	v_cmp_ne_u16_sdwa s[20:21], v27, v31 src0_sel:BYTE_0 src1_sel:DWORD
	s_and_saveexec_b64 s[10:11], s[20:21]
	s_cbranch_execz .LBB509_232
; %bb.227:
	s_movk_i32 s20, 0x80
	v_cmp_ne_u16_sdwa s[22:23], v27, s20 src0_sel:BYTE_0 src1_sel:DWORD
	v_bfrev_b32_e32 v32, 1
	s_and_saveexec_b64 s[20:21], s[22:23]
	s_cbranch_execz .LBB509_231
; %bb.228:
	s_movk_i32 s22, 0x7f
	v_and_b32_e32 v37, 0x7f, v27
	v_cmp_ne_u32_e32 vcc, s22, v37
	v_mov_b32_e32 v32, 0x7f800001
	s_and_saveexec_b64 s[22:23], vcc
	s_cbranch_execz .LBB509_230
; %bb.229:
	v_and_b32_e32 v32, 7, v27
	v_ffbh_u32_e32 v32, v32
	v_min_u32_e32 v32, 32, v32
	v_subrev_u32_e32 v40, 28, v32
	v_cmp_gt_u32_e32 vcc, 8, v37
	v_lshrrev_b32_e32 v39, 3, v37
	v_cndmask_b32_e32 v37, 0, v40, vcc
	v_sub_u32_e32 v32, 29, v32
	v_lshlrev_b64 v[40:41], v37, v[30:31]
	v_cndmask_b32_e32 v32, v39, v32, vcc
	v_lshlrev_b32_e32 v31, 20, v40
	v_lshlrev_b32_e32 v37, 24, v30
	v_bfrev_b32_e32 v39, 60
	v_and_b32_e32 v31, 0x700000, v31
	v_and_b32_e32 v37, 0x80000000, v37
	v_lshl_add_u32 v32, v32, 23, v39
	v_or3_b32 v32, v37, v32, v31
.LBB509_230:
	s_or_b64 exec, exec, s[22:23]
.LBB509_231:
	s_or_b64 exec, exec, s[20:21]
	v_mov_b32_e32 v31, v32
.LBB509_232:
	s_or_b64 exec, exec, s[10:11]
	v_lshrrev_b16_e32 v32, 8, v30
	v_cmp_ne_u16_e32 vcc, 0, v32
	v_mov_b32_e32 v37, 0
	v_mov_b32_e32 v39, 0
	s_and_saveexec_b64 s[10:11], vcc
	s_cbranch_execz .LBB509_238
; %bb.233:
	s_movk_i32 s20, 0x80
	v_cmp_ne_u16_e32 vcc, s20, v32
	v_bfrev_b32_e32 v39, 1
	s_and_saveexec_b64 s[20:21], vcc
	s_cbranch_execz .LBB509_237
; %bb.234:
	s_movk_i32 s22, 0x7f
	v_and_b32_e32 v40, 0x7f, v32
	v_cmp_ne_u32_e32 vcc, s22, v40
	v_mov_b32_e32 v39, 0x7f800001
	s_and_saveexec_b64 s[22:23], vcc
	s_cbranch_execz .LBB509_236
; %bb.235:
	v_and_b32_e32 v39, 7, v32
	v_ffbh_u32_e32 v42, v39
	v_min_u32_e32 v42, 32, v42
	v_subrev_u32_e32 v47, 28, v42
	v_lshlrev_b64 v[48:49], v47, v[32:33]
	v_lshrrev_b32_e32 v41, 3, v40
	v_sub_u32_e32 v32, 29, v42
	v_and_b32_e32 v42, 7, v48
	v_cmp_gt_u32_e32 vcc, 8, v40
	v_cndmask_b32_e32 v32, v41, v32, vcc
	v_cndmask_b32_e32 v39, v39, v42, vcc
	v_lshlrev_b32_e32 v30, 16, v30
	v_bfrev_b32_e32 v40, 60
	v_lshlrev_b32_e32 v39, 20, v39
	v_and_b32_e32 v30, 0x80000000, v30
	v_lshl_add_u32 v32, v32, 23, v40
	v_or3_b32 v39, v30, v32, v39
.LBB509_236:
	s_or_b64 exec, exec, s[22:23]
.LBB509_237:
	s_or_b64 exec, exec, s[20:21]
.LBB509_238:
	s_or_b64 exec, exec, s[10:11]
	s_movk_i32 s10, 0xff
	v_and_b32_sdwa v32, v27, s10 dst_sel:DWORD dst_unused:UNUSED_PAD src0_sel:WORD_1 src1_sel:DWORD
	v_lshrrev_b32_e32 v30, 16, v27
	v_cmp_ne_u16_e32 vcc, 0, v32
	s_and_saveexec_b64 s[10:11], vcc
	s_cbranch_execz .LBB509_244
; %bb.239:
	s_movk_i32 s20, 0x80
	v_cmp_ne_u16_e32 vcc, s20, v32
	v_bfrev_b32_e32 v37, 1
	s_and_saveexec_b64 s[20:21], vcc
	s_cbranch_execz .LBB509_243
; %bb.240:
	v_bfe_u32 v32, v27, 16, 7
	s_movk_i32 s22, 0x7f
	v_cmp_ne_u32_e32 vcc, s22, v32
	v_mov_b32_e32 v37, 0x7f800001
	s_and_saveexec_b64 s[22:23], vcc
	s_cbranch_execz .LBB509_242
; %bb.241:
	v_and_b32_e32 v37, 7, v30
	v_ffbh_u32_e32 v40, v37
	v_min_u32_e32 v47, 32, v40
	v_subrev_u32_e32 v40, 28, v47
	v_lshlrev_b64 v[40:41], v40, v[30:31]
	v_and_b32_e32 v40, 7, v40
	v_cmp_gt_u32_e32 vcc, 8, v32
	v_lshrrev_b32_e32 v42, 3, v32
	v_sub_u32_e32 v30, 29, v47
	v_cndmask_b32_e32 v32, v37, v40, vcc
	v_mov_b32_e32 v37, 24
	v_cndmask_b32_e32 v30, v42, v30, vcc
	v_lshlrev_b32_sdwa v37, v37, v27 dst_sel:DWORD dst_unused:UNUSED_PAD src0_sel:DWORD src1_sel:WORD_1
	v_bfrev_b32_e32 v40, 60
	v_lshlrev_b32_e32 v32, 20, v32
	v_and_b32_e32 v37, 0x80000000, v37
	v_lshl_add_u32 v30, v30, 23, v40
	v_or3_b32 v37, v37, v30, v32
.LBB509_242:
	s_or_b64 exec, exec, s[22:23]
.LBB509_243:
	s_or_b64 exec, exec, s[20:21]
.LBB509_244:
	s_or_b64 exec, exec, s[10:11]
	s_mov_b32 s10, -1
	s_mov_b32 s11, 0xffffff
	v_cmp_lt_u64_e32 vcc, s[10:11], v[26:27]
	v_mov_b32_e32 v32, 0
	v_mov_b32_e32 v30, 0
	s_and_saveexec_b64 s[10:11], vcc
	s_cbranch_execz .LBB509_250
; %bb.245:
	v_lshrrev_b32_e32 v26, 24, v27
	s_movk_i32 s20, 0x80
	v_cmp_ne_u32_e32 vcc, s20, v26
	v_bfrev_b32_e32 v30, 1
	s_and_saveexec_b64 s[20:21], vcc
	s_cbranch_execz .LBB509_249
; %bb.246:
	v_bfe_u32 v27, v27, 24, 7
	s_movk_i32 s22, 0x7f
	v_cmp_ne_u32_e32 vcc, s22, v27
	v_mov_b32_e32 v30, 0x7f800001
	s_and_saveexec_b64 s[22:23], vcc
	s_cbranch_execz .LBB509_248
; %bb.247:
	v_and_b32_e32 v30, 7, v26
	v_ffbh_u32_e32 v40, v30
	v_min_u32_e32 v47, 32, v40
	v_subrev_u32_e32 v40, 28, v47
	v_lshlrev_b64 v[40:41], v40, v[26:27]
	v_lshrrev_b32_e32 v42, 3, v27
	v_sub_u32_e32 v41, 29, v47
	v_and_b32_e32 v40, 7, v40
	v_cmp_gt_u32_e32 vcc, 8, v27
	v_cndmask_b32_e32 v27, v42, v41, vcc
	v_cndmask_b32_e32 v30, v30, v40, vcc
	v_lshlrev_b32_e32 v26, 24, v26
	v_bfrev_b32_e32 v40, 60
	v_lshlrev_b32_e32 v30, 20, v30
	v_and_b32_e32 v26, 0x80000000, v26
	v_lshl_add_u32 v27, v27, 23, v40
	v_or3_b32 v30, v26, v27, v30
.LBB509_248:
	s_or_b64 exec, exec, s[22:23]
.LBB509_249:
	s_or_b64 exec, exec, s[20:21]
.LBB509_250:
	s_or_b64 exec, exec, s[10:11]
	v_cvt_pkrtz_f16_f32 v26, v34, v35
	v_cvt_pkrtz_f16_f32 v27, v33, v36
	;; [unrolled: 1-line block ×4, first 2 shown]
	v_mfma_f32_4x4x4f16 a[0:3], v[2:3], v[26:27], a[0:3] cbsz:4 abid:4
	v_cmp_ne_u16_sdwa s[20:21], v28, v32 src0_sel:BYTE_0 src1_sel:DWORD
	v_mfma_f32_4x4x4f16 a[0:3], v[4:5], v[34:35], a[0:3] cbsz:4 abid:4
	s_and_saveexec_b64 s[10:11], s[20:21]
	s_cbranch_execz .LBB509_256
; %bb.251:
	s_movk_i32 s20, 0x80
	v_cmp_ne_u16_sdwa s[22:23], v28, s20 src0_sel:BYTE_0 src1_sel:DWORD
	v_bfrev_b32_e32 v32, 1
	s_and_saveexec_b64 s[20:21], s[22:23]
	s_cbranch_execz .LBB509_255
; %bb.252:
	s_movk_i32 s22, 0x7f
	v_and_b32_e32 v26, 0x7f, v28
	v_cmp_ne_u32_e32 vcc, s22, v26
	v_mov_b32_e32 v32, 0x7f800001
	s_and_saveexec_b64 s[22:23], vcc
	s_cbranch_execz .LBB509_254
; %bb.253:
	v_and_b32_e32 v27, 7, v28
	v_ffbh_u32_e32 v27, v27
	v_min_u32_e32 v27, 32, v27
	v_subrev_u32_e32 v31, 28, v27
	v_cmp_gt_u32_e32 vcc, 8, v26
	v_lshrrev_b32_e32 v30, 3, v26
	v_sub_u32_e32 v27, 29, v27
	v_cndmask_b32_e32 v26, 0, v31, vcc
	v_cndmask_b32_e32 v30, v30, v27, vcc
	v_lshlrev_b64 v[26:27], v26, v[28:29]
	v_lshlrev_b32_e32 v26, 20, v26
	v_lshlrev_b32_e32 v27, 24, v28
	v_bfrev_b32_e32 v31, 60
	v_and_b32_e32 v26, 0x700000, v26
	v_and_b32_e32 v27, 0x80000000, v27
	v_lshl_add_u32 v30, v30, 23, v31
	v_or3_b32 v32, v27, v30, v26
.LBB509_254:
	s_or_b64 exec, exec, s[22:23]
.LBB509_255:
	s_or_b64 exec, exec, s[20:21]
.LBB509_256:
	s_or_b64 exec, exec, s[10:11]
	v_lshrrev_b16_e32 v26, 8, v28
	v_cmp_ne_u16_e32 vcc, 0, v26
	v_mov_b32_e32 v31, 0
	v_mov_b32_e32 v33, 0
	s_and_saveexec_b64 s[10:11], vcc
	s_cbranch_execz .LBB509_262
; %bb.257:
	s_movk_i32 s20, 0x80
	v_cmp_ne_u16_e32 vcc, s20, v26
	v_bfrev_b32_e32 v33, 1
	s_and_saveexec_b64 s[20:21], vcc
	s_cbranch_execz .LBB509_261
; %bb.258:
	s_movk_i32 s22, 0x7f
	v_and_b32_e32 v27, 0x7f, v26
	v_cmp_ne_u32_e32 vcc, s22, v27
	v_mov_b32_e32 v33, 0x7f800001
	s_and_saveexec_b64 s[22:23], vcc
	s_cbranch_execz .LBB509_260
; %bb.259:
	v_and_b32_e32 v30, 7, v26
	v_ffbh_u32_e32 v34, v30
	v_min_u32_e32 v36, 32, v34
	v_subrev_u32_e32 v34, 28, v36
	v_lshlrev_b64 v[34:35], v34, v[26:27]
	v_lshrrev_b32_e32 v33, 3, v27
	v_sub_u32_e32 v26, 29, v36
	v_and_b32_e32 v34, 7, v34
	v_cmp_gt_u32_e32 vcc, 8, v27
	v_cndmask_b32_e32 v26, v33, v26, vcc
	v_cndmask_b32_e32 v27, v30, v34, vcc
	v_lshlrev_b32_e32 v30, 16, v28
	v_bfrev_b32_e32 v33, 60
	v_lshlrev_b32_e32 v27, 20, v27
	v_and_b32_e32 v30, 0x80000000, v30
	v_lshl_add_u32 v26, v26, 23, v33
	v_or3_b32 v33, v30, v26, v27
.LBB509_260:
	s_or_b64 exec, exec, s[22:23]
.LBB509_261:
	s_or_b64 exec, exec, s[20:21]
.LBB509_262:
	s_or_b64 exec, exec, s[10:11]
	s_movk_i32 s10, 0xff
	v_and_b32_sdwa v27, v28, s10 dst_sel:DWORD dst_unused:UNUSED_PAD src0_sel:WORD_1 src1_sel:DWORD
	v_lshrrev_b32_e32 v26, 16, v28
	v_cmp_ne_u16_e32 vcc, 0, v27
	s_and_saveexec_b64 s[10:11], vcc
	s_cbranch_execz .LBB509_268
; %bb.263:
	s_movk_i32 s20, 0x80
	v_cmp_ne_u16_e32 vcc, s20, v27
	v_bfrev_b32_e32 v31, 1
	s_and_saveexec_b64 s[20:21], vcc
	s_cbranch_execz .LBB509_267
; %bb.264:
	v_bfe_u32 v27, v28, 16, 7
	s_movk_i32 s22, 0x7f
	v_cmp_ne_u32_e32 vcc, s22, v27
	v_mov_b32_e32 v31, 0x7f800001
	s_and_saveexec_b64 s[22:23], vcc
	s_cbranch_execz .LBB509_266
; %bb.265:
	v_and_b32_e32 v34, 7, v26
	v_ffbh_u32_e32 v30, v34
	v_min_u32_e32 v36, 32, v30
	v_subrev_u32_e32 v30, 28, v36
	v_lshlrev_b64 v[30:31], v30, v[26:27]
	v_and_b32_e32 v30, 7, v30
	v_cmp_gt_u32_e32 vcc, 8, v27
	v_lshrrev_b32_e32 v35, 3, v27
	v_sub_u32_e32 v26, 29, v36
	v_cndmask_b32_e32 v27, v34, v30, vcc
	v_mov_b32_e32 v30, 24
	v_cndmask_b32_e32 v26, v35, v26, vcc
	v_lshlrev_b32_sdwa v30, v30, v28 dst_sel:DWORD dst_unused:UNUSED_PAD src0_sel:DWORD src1_sel:WORD_1
	v_bfrev_b32_e32 v31, 60
	v_lshlrev_b32_e32 v27, 20, v27
	v_and_b32_e32 v30, 0x80000000, v30
	v_lshl_add_u32 v26, v26, 23, v31
	v_or3_b32 v31, v30, v26, v27
.LBB509_266:
	s_or_b64 exec, exec, s[22:23]
.LBB509_267:
	s_or_b64 exec, exec, s[20:21]
.LBB509_268:
	s_or_b64 exec, exec, s[10:11]
	s_mov_b32 s10, 0xffffff
	v_cmp_lt_u32_e32 vcc, s10, v28
	v_mov_b32_e32 v27, 0
	v_mov_b32_e32 v34, 0
	s_and_saveexec_b64 s[10:11], vcc
	s_cbranch_execz .LBB509_274
; %bb.269:
	v_lshrrev_b32_e32 v26, 24, v28
	s_movk_i32 s20, 0x80
	v_cmp_ne_u32_e32 vcc, s20, v26
	v_bfrev_b32_e32 v34, 1
	s_and_saveexec_b64 s[20:21], vcc
	s_cbranch_execz .LBB509_273
; %bb.270:
	v_bfe_u32 v30, v28, 24, 7
	s_movk_i32 s22, 0x7f
	v_cmp_ne_u32_e32 vcc, s22, v30
	v_mov_b32_e32 v34, 0x7f800001
	s_and_saveexec_b64 s[22:23], vcc
	s_cbranch_execz .LBB509_272
; %bb.271:
	v_and_b32_e32 v36, 7, v26
	v_ffbh_u32_e32 v34, v36
	v_min_u32_e32 v39, 32, v34
	v_subrev_u32_e32 v34, 28, v39
	v_lshlrev_b64 v[34:35], v34, v[26:27]
	v_lshrrev_b32_e32 v37, 3, v30
	v_sub_u32_e32 v35, 29, v39
	v_and_b32_e32 v34, 7, v34
	v_cmp_gt_u32_e32 vcc, 8, v30
	v_cndmask_b32_e32 v30, v37, v35, vcc
	v_cndmask_b32_e32 v34, v36, v34, vcc
	v_lshlrev_b32_e32 v26, 24, v26
	v_bfrev_b32_e32 v35, 60
	v_lshlrev_b32_e32 v34, 20, v34
	v_and_b32_e32 v26, 0x80000000, v26
	v_lshl_add_u32 v30, v30, 23, v35
	v_or3_b32 v34, v26, v30, v34
.LBB509_272:
	s_or_b64 exec, exec, s[22:23]
.LBB509_273:
	s_or_b64 exec, exec, s[20:21]
.LBB509_274:
	s_or_b64 exec, exec, s[10:11]
	v_mov_b32_e32 v26, v29
	v_cmp_ne_u16_sdwa s[20:21], v29, v27 src0_sel:BYTE_0 src1_sel:DWORD
	s_and_saveexec_b64 s[10:11], s[20:21]
	s_cbranch_execz .LBB509_280
; %bb.275:
	s_movk_i32 s20, 0x80
	v_cmp_ne_u16_sdwa s[22:23], v29, s20 src0_sel:BYTE_0 src1_sel:DWORD
	v_bfrev_b32_e32 v30, 1
	s_and_saveexec_b64 s[20:21], s[22:23]
	s_cbranch_execz .LBB509_279
; %bb.276:
	s_movk_i32 s22, 0x7f
	v_and_b32_e32 v35, 0x7f, v29
	v_cmp_ne_u32_e32 vcc, s22, v35
	v_mov_b32_e32 v30, 0x7f800001
	s_and_saveexec_b64 s[22:23], vcc
	s_cbranch_execz .LBB509_278
; %bb.277:
	v_and_b32_e32 v30, 7, v29
	v_ffbh_u32_e32 v30, v30
	v_min_u32_e32 v30, 32, v30
	v_subrev_u32_e32 v37, 28, v30
	v_cmp_gt_u32_e32 vcc, 8, v35
	v_lshrrev_b32_e32 v36, 3, v35
	v_sub_u32_e32 v30, 29, v30
	v_cndmask_b32_e32 v35, 0, v37, vcc
	v_cndmask_b32_e32 v30, v36, v30, vcc
	v_lshlrev_b64 v[36:37], v35, v[26:27]
	v_lshlrev_b32_e32 v27, 20, v36
	v_lshlrev_b32_e32 v35, 24, v26
	v_bfrev_b32_e32 v36, 60
	v_and_b32_e32 v27, 0x700000, v27
	v_and_b32_e32 v35, 0x80000000, v35
	v_lshl_add_u32 v30, v30, 23, v36
	v_or3_b32 v30, v35, v30, v27
.LBB509_278:
	s_or_b64 exec, exec, s[22:23]
.LBB509_279:
	s_or_b64 exec, exec, s[20:21]
	v_mov_b32_e32 v27, v30
.LBB509_280:
	s_or_b64 exec, exec, s[10:11]
	v_lshrrev_b16_e32 v30, 8, v26
	v_cmp_ne_u16_e32 vcc, 0, v30
	v_mov_b32_e32 v35, 0
	v_mov_b32_e32 v36, 0
	s_and_saveexec_b64 s[10:11], vcc
	s_cbranch_execz .LBB509_286
; %bb.281:
	s_movk_i32 s20, 0x80
	v_cmp_ne_u16_e32 vcc, s20, v30
	v_bfrev_b32_e32 v36, 1
	s_and_saveexec_b64 s[20:21], vcc
	s_cbranch_execz .LBB509_285
; %bb.282:
	s_movk_i32 s22, 0x7f
	v_and_b32_e32 v37, 0x7f, v30
	v_cmp_ne_u32_e32 vcc, s22, v37
	v_mov_b32_e32 v36, 0x7f800001
	s_and_saveexec_b64 s[22:23], vcc
	s_cbranch_execz .LBB509_284
; %bb.283:
	v_and_b32_e32 v36, 7, v30
	v_ffbh_u32_e32 v40, v36
	v_min_u32_e32 v42, 32, v40
	v_subrev_u32_e32 v40, 28, v42
	v_lshlrev_b64 v[40:41], v40, v[30:31]
	v_lshrrev_b32_e32 v39, 3, v37
	v_sub_u32_e32 v30, 29, v42
	v_and_b32_e32 v40, 7, v40
	v_cmp_gt_u32_e32 vcc, 8, v37
	v_cndmask_b32_e32 v30, v39, v30, vcc
	v_cndmask_b32_e32 v36, v36, v40, vcc
	v_lshlrev_b32_e32 v26, 16, v26
	v_bfrev_b32_e32 v37, 60
	v_lshlrev_b32_e32 v36, 20, v36
	v_and_b32_e32 v26, 0x80000000, v26
	v_lshl_add_u32 v30, v30, 23, v37
	v_or3_b32 v36, v26, v30, v36
.LBB509_284:
	s_or_b64 exec, exec, s[22:23]
.LBB509_285:
	s_or_b64 exec, exec, s[20:21]
.LBB509_286:
	s_or_b64 exec, exec, s[10:11]
	s_movk_i32 s10, 0xff
	v_and_b32_sdwa v30, v29, s10 dst_sel:DWORD dst_unused:UNUSED_PAD src0_sel:WORD_1 src1_sel:DWORD
	v_lshrrev_b32_e32 v26, 16, v29
	v_cmp_ne_u16_e32 vcc, 0, v30
	s_and_saveexec_b64 s[10:11], vcc
	s_cbranch_execz .LBB509_292
; %bb.287:
	s_movk_i32 s20, 0x80
	v_cmp_ne_u16_e32 vcc, s20, v30
	v_bfrev_b32_e32 v35, 1
	s_and_saveexec_b64 s[20:21], vcc
	s_cbranch_execz .LBB509_291
; %bb.288:
	v_bfe_u32 v30, v29, 16, 7
	s_movk_i32 s22, 0x7f
	v_cmp_ne_u32_e32 vcc, s22, v30
	v_mov_b32_e32 v35, 0x7f800001
	s_and_saveexec_b64 s[22:23], vcc
	s_cbranch_execz .LBB509_290
; %bb.289:
	v_and_b32_e32 v35, 7, v26
	v_ffbh_u32_e32 v39, v35
	v_min_u32_e32 v39, 32, v39
	v_subrev_u32_e32 v40, 28, v39
	v_lshlrev_b64 v[40:41], v40, v[26:27]
	v_sub_u32_e32 v26, 29, v39
	v_and_b32_e32 v39, 7, v40
	v_cmp_gt_u32_e32 vcc, 8, v30
	v_lshrrev_b32_e32 v37, 3, v30
	v_cndmask_b32_e32 v30, v35, v39, vcc
	v_mov_b32_e32 v35, 24
	v_cndmask_b32_e32 v26, v37, v26, vcc
	v_lshlrev_b32_sdwa v35, v35, v29 dst_sel:DWORD dst_unused:UNUSED_PAD src0_sel:DWORD src1_sel:WORD_1
	v_bfrev_b32_e32 v37, 60
	v_lshlrev_b32_e32 v30, 20, v30
	v_and_b32_e32 v35, 0x80000000, v35
	v_lshl_add_u32 v26, v26, 23, v37
	v_or3_b32 v35, v35, v26, v30
.LBB509_290:
	s_or_b64 exec, exec, s[22:23]
.LBB509_291:
	s_or_b64 exec, exec, s[20:21]
.LBB509_292:
	s_or_b64 exec, exec, s[10:11]
	s_mov_b32 s10, -1
	s_mov_b32 s11, 0xffffff
	v_cmp_lt_u64_e32 vcc, s[10:11], v[28:29]
	v_mov_b32_e32 v30, 0
	v_mov_b32_e32 v28, 0
	s_and_saveexec_b64 s[10:11], vcc
	s_cbranch_execz .LBB509_298
; %bb.293:
	v_lshrrev_b32_e32 v26, 24, v29
	s_movk_i32 s20, 0x80
	v_cmp_ne_u32_e32 vcc, s20, v26
	v_bfrev_b32_e32 v28, 1
	s_and_saveexec_b64 s[20:21], vcc
	s_cbranch_execz .LBB509_297
; %bb.294:
	v_bfe_u32 v29, v29, 24, 7
	s_movk_i32 s22, 0x7f
	v_cmp_ne_u32_e32 vcc, s22, v29
	v_mov_b32_e32 v28, 0x7f800001
	s_and_saveexec_b64 s[22:23], vcc
	s_cbranch_execz .LBB509_296
; %bb.295:
	v_and_b32_e32 v28, 7, v26
	v_ffbh_u32_e32 v39, v28
	v_min_u32_e32 v39, 32, v39
	v_subrev_u32_e32 v40, 28, v39
	v_lshlrev_b64 v[40:41], v40, v[26:27]
	v_lshrrev_b32_e32 v37, 3, v29
	v_sub_u32_e32 v39, 29, v39
	v_and_b32_e32 v40, 7, v40
	v_cmp_gt_u32_e32 vcc, 8, v29
	v_cndmask_b32_e32 v29, v37, v39, vcc
	v_cndmask_b32_e32 v28, v28, v40, vcc
	v_lshlrev_b32_e32 v26, 24, v26
	v_bfrev_b32_e32 v37, 60
	v_lshlrev_b32_e32 v28, 20, v28
	v_and_b32_e32 v26, 0x80000000, v26
	v_lshl_add_u32 v29, v29, 23, v37
	v_or3_b32 v28, v26, v29, v28
.LBB509_296:
	s_or_b64 exec, exec, s[22:23]
.LBB509_297:
	s_or_b64 exec, exec, s[20:21]
.LBB509_298:
	s_or_b64 exec, exec, s[10:11]
	v_cvt_pkrtz_f16_f32 v32, v32, v33
	v_cvt_pkrtz_f16_f32 v33, v31, v34
	;; [unrolled: 1-line block ×4, first 2 shown]
	v_mfma_f32_4x4x4f16 a[0:3], v[2:3], v[32:33], a[0:3] cbsz:4 abid:5
	v_cmp_ne_u16_sdwa s[20:21], v22, v30 src0_sel:BYTE_0 src1_sel:DWORD
	v_mfma_f32_4x4x4f16 a[0:3], v[4:5], v[26:27], a[0:3] cbsz:4 abid:5
	s_and_saveexec_b64 s[10:11], s[20:21]
	s_cbranch_execz .LBB509_304
; %bb.299:
	s_movk_i32 s20, 0x80
	v_cmp_ne_u16_sdwa s[22:23], v22, s20 src0_sel:BYTE_0 src1_sel:DWORD
	v_bfrev_b32_e32 v30, 1
	s_and_saveexec_b64 s[20:21], s[22:23]
	s_cbranch_execz .LBB509_303
; %bb.300:
	s_movk_i32 s22, 0x7f
	v_and_b32_e32 v26, 0x7f, v22
	v_cmp_ne_u32_e32 vcc, s22, v26
	v_mov_b32_e32 v30, 0x7f800001
	s_and_saveexec_b64 s[22:23], vcc
	s_cbranch_execz .LBB509_302
; %bb.301:
	v_and_b32_e32 v27, 7, v22
	v_ffbh_u32_e32 v27, v27
	v_min_u32_e32 v27, 32, v27
	v_subrev_u32_e32 v29, 28, v27
	v_cmp_gt_u32_e32 vcc, 8, v26
	v_lshrrev_b32_e32 v28, 3, v26
	v_sub_u32_e32 v27, 29, v27
	v_cndmask_b32_e32 v26, 0, v29, vcc
	v_cndmask_b32_e32 v28, v28, v27, vcc
	v_lshlrev_b64 v[26:27], v26, v[22:23]
	v_lshlrev_b32_e32 v26, 20, v26
	v_lshlrev_b32_e32 v27, 24, v22
	v_bfrev_b32_e32 v29, 60
	v_and_b32_e32 v26, 0x700000, v26
	v_and_b32_e32 v27, 0x80000000, v27
	v_lshl_add_u32 v28, v28, 23, v29
	v_or3_b32 v30, v27, v28, v26
.LBB509_302:
	s_or_b64 exec, exec, s[22:23]
.LBB509_303:
	s_or_b64 exec, exec, s[20:21]
.LBB509_304:
	s_or_b64 exec, exec, s[10:11]
	v_lshrrev_b16_e32 v26, 8, v22
	v_cmp_ne_u16_e32 vcc, 0, v26
	v_mov_b32_e32 v29, 0
	v_mov_b32_e32 v31, 0
	s_and_saveexec_b64 s[10:11], vcc
	s_cbranch_execz .LBB509_310
; %bb.305:
	s_movk_i32 s20, 0x80
	v_cmp_ne_u16_e32 vcc, s20, v26
	v_bfrev_b32_e32 v31, 1
	s_and_saveexec_b64 s[20:21], vcc
	s_cbranch_execz .LBB509_309
; %bb.306:
	s_movk_i32 s22, 0x7f
	v_and_b32_e32 v27, 0x7f, v26
	v_cmp_ne_u32_e32 vcc, s22, v27
	v_mov_b32_e32 v31, 0x7f800001
	s_and_saveexec_b64 s[22:23], vcc
	s_cbranch_execz .LBB509_308
; %bb.307:
	v_and_b32_e32 v28, 7, v26
	v_ffbh_u32_e32 v32, v28
	v_min_u32_e32 v34, 32, v32
	v_subrev_u32_e32 v32, 28, v34
	v_lshlrev_b64 v[32:33], v32, v[26:27]
	v_lshrrev_b32_e32 v31, 3, v27
	v_sub_u32_e32 v26, 29, v34
	v_and_b32_e32 v32, 7, v32
	v_cmp_gt_u32_e32 vcc, 8, v27
	v_cndmask_b32_e32 v26, v31, v26, vcc
	v_cndmask_b32_e32 v27, v28, v32, vcc
	v_lshlrev_b32_e32 v28, 16, v22
	v_bfrev_b32_e32 v31, 60
	v_lshlrev_b32_e32 v27, 20, v27
	v_and_b32_e32 v28, 0x80000000, v28
	v_lshl_add_u32 v26, v26, 23, v31
	v_or3_b32 v31, v28, v26, v27
.LBB509_308:
	s_or_b64 exec, exec, s[22:23]
.LBB509_309:
	s_or_b64 exec, exec, s[20:21]
.LBB509_310:
	s_or_b64 exec, exec, s[10:11]
	s_movk_i32 s10, 0xff
	v_and_b32_sdwa v27, v22, s10 dst_sel:DWORD dst_unused:UNUSED_PAD src0_sel:WORD_1 src1_sel:DWORD
	v_lshrrev_b32_e32 v26, 16, v22
	v_cmp_ne_u16_e32 vcc, 0, v27
	s_and_saveexec_b64 s[10:11], vcc
	s_cbranch_execz .LBB509_316
; %bb.311:
	s_movk_i32 s20, 0x80
	v_cmp_ne_u16_e32 vcc, s20, v27
	v_bfrev_b32_e32 v29, 1
	s_and_saveexec_b64 s[20:21], vcc
	s_cbranch_execz .LBB509_315
; %bb.312:
	v_bfe_u32 v27, v22, 16, 7
	s_movk_i32 s22, 0x7f
	v_cmp_ne_u32_e32 vcc, s22, v27
	v_mov_b32_e32 v29, 0x7f800001
	s_and_saveexec_b64 s[22:23], vcc
	s_cbranch_execz .LBB509_314
; %bb.313:
	v_and_b32_e32 v32, 7, v26
	v_ffbh_u32_e32 v28, v32
	v_min_u32_e32 v34, 32, v28
	v_subrev_u32_e32 v28, 28, v34
	v_lshlrev_b64 v[28:29], v28, v[26:27]
	v_and_b32_e32 v28, 7, v28
	v_cmp_gt_u32_e32 vcc, 8, v27
	v_lshrrev_b32_e32 v33, 3, v27
	v_sub_u32_e32 v26, 29, v34
	v_cndmask_b32_e32 v27, v32, v28, vcc
	v_mov_b32_e32 v28, 24
	v_cndmask_b32_e32 v26, v33, v26, vcc
	v_lshlrev_b32_sdwa v28, v28, v22 dst_sel:DWORD dst_unused:UNUSED_PAD src0_sel:DWORD src1_sel:WORD_1
	v_bfrev_b32_e32 v29, 60
	v_lshlrev_b32_e32 v27, 20, v27
	v_and_b32_e32 v28, 0x80000000, v28
	v_lshl_add_u32 v26, v26, 23, v29
	v_or3_b32 v29, v28, v26, v27
.LBB509_314:
	s_or_b64 exec, exec, s[22:23]
.LBB509_315:
	s_or_b64 exec, exec, s[20:21]
.LBB509_316:
	s_or_b64 exec, exec, s[10:11]
	s_mov_b32 s10, 0xffffff
	v_cmp_lt_u32_e32 vcc, s10, v22
	v_mov_b32_e32 v27, 0
	v_mov_b32_e32 v32, 0
	s_and_saveexec_b64 s[10:11], vcc
	s_cbranch_execz .LBB509_322
; %bb.317:
	v_lshrrev_b32_e32 v26, 24, v22
	s_movk_i32 s20, 0x80
	v_cmp_ne_u32_e32 vcc, s20, v26
	v_bfrev_b32_e32 v32, 1
	s_and_saveexec_b64 s[20:21], vcc
	s_cbranch_execz .LBB509_321
; %bb.318:
	v_bfe_u32 v28, v22, 24, 7
	s_movk_i32 s22, 0x7f
	v_cmp_ne_u32_e32 vcc, s22, v28
	v_mov_b32_e32 v32, 0x7f800001
	s_and_saveexec_b64 s[22:23], vcc
	s_cbranch_execz .LBB509_320
; %bb.319:
	v_and_b32_e32 v34, 7, v26
	v_ffbh_u32_e32 v32, v34
	v_min_u32_e32 v36, 32, v32
	v_subrev_u32_e32 v32, 28, v36
	v_lshlrev_b64 v[32:33], v32, v[26:27]
	v_lshrrev_b32_e32 v35, 3, v28
	v_sub_u32_e32 v33, 29, v36
	v_and_b32_e32 v32, 7, v32
	v_cmp_gt_u32_e32 vcc, 8, v28
	v_cndmask_b32_e32 v28, v35, v33, vcc
	v_cndmask_b32_e32 v32, v34, v32, vcc
	v_lshlrev_b32_e32 v26, 24, v26
	v_bfrev_b32_e32 v33, 60
	v_lshlrev_b32_e32 v32, 20, v32
	v_and_b32_e32 v26, 0x80000000, v26
	v_lshl_add_u32 v28, v28, 23, v33
	v_or3_b32 v32, v26, v28, v32
.LBB509_320:
	s_or_b64 exec, exec, s[22:23]
.LBB509_321:
	s_or_b64 exec, exec, s[20:21]
.LBB509_322:
	s_or_b64 exec, exec, s[10:11]
	v_mov_b32_e32 v26, v23
	v_cmp_ne_u16_sdwa s[20:21], v23, v27 src0_sel:BYTE_0 src1_sel:DWORD
	s_and_saveexec_b64 s[10:11], s[20:21]
	s_cbranch_execz .LBB509_328
; %bb.323:
	s_movk_i32 s20, 0x80
	v_cmp_ne_u16_sdwa s[22:23], v23, s20 src0_sel:BYTE_0 src1_sel:DWORD
	v_bfrev_b32_e32 v28, 1
	s_and_saveexec_b64 s[20:21], s[22:23]
	s_cbranch_execz .LBB509_327
; %bb.324:
	s_movk_i32 s22, 0x7f
	v_and_b32_e32 v33, 0x7f, v23
	v_cmp_ne_u32_e32 vcc, s22, v33
	v_mov_b32_e32 v28, 0x7f800001
	s_and_saveexec_b64 s[22:23], vcc
	s_cbranch_execz .LBB509_326
; %bb.325:
	v_and_b32_e32 v28, 7, v23
	v_ffbh_u32_e32 v28, v28
	v_min_u32_e32 v28, 32, v28
	v_subrev_u32_e32 v35, 28, v28
	v_cmp_gt_u32_e32 vcc, 8, v33
	v_lshrrev_b32_e32 v34, 3, v33
	v_sub_u32_e32 v28, 29, v28
	v_cndmask_b32_e32 v33, 0, v35, vcc
	v_cndmask_b32_e32 v28, v34, v28, vcc
	v_lshlrev_b64 v[34:35], v33, v[26:27]
	v_lshlrev_b32_e32 v27, 20, v34
	v_lshlrev_b32_e32 v33, 24, v26
	v_bfrev_b32_e32 v34, 60
	v_and_b32_e32 v27, 0x700000, v27
	v_and_b32_e32 v33, 0x80000000, v33
	v_lshl_add_u32 v28, v28, 23, v34
	v_or3_b32 v28, v33, v28, v27
.LBB509_326:
	s_or_b64 exec, exec, s[22:23]
.LBB509_327:
	s_or_b64 exec, exec, s[20:21]
	v_mov_b32_e32 v27, v28
.LBB509_328:
	s_or_b64 exec, exec, s[10:11]
	v_lshrrev_b16_e32 v28, 8, v26
	v_cmp_ne_u16_e32 vcc, 0, v28
	v_mov_b32_e32 v33, 0
	v_mov_b32_e32 v34, 0
	s_and_saveexec_b64 s[10:11], vcc
	s_cbranch_execz .LBB509_334
; %bb.329:
	s_movk_i32 s20, 0x80
	v_cmp_ne_u16_e32 vcc, s20, v28
	v_bfrev_b32_e32 v34, 1
	s_and_saveexec_b64 s[20:21], vcc
	s_cbranch_execz .LBB509_333
; %bb.330:
	s_movk_i32 s22, 0x7f
	v_and_b32_e32 v35, 0x7f, v28
	v_cmp_ne_u32_e32 vcc, s22, v35
	v_mov_b32_e32 v34, 0x7f800001
	s_and_saveexec_b64 s[22:23], vcc
	s_cbranch_execz .LBB509_332
; %bb.331:
	v_and_b32_e32 v34, 7, v28
	v_ffbh_u32_e32 v36, v34
	v_min_u32_e32 v40, 32, v36
	v_subrev_u32_e32 v36, 28, v40
	v_lshlrev_b64 v[36:37], v36, v[28:29]
	v_lshrrev_b32_e32 v39, 3, v35
	v_sub_u32_e32 v28, 29, v40
	v_and_b32_e32 v36, 7, v36
	v_cmp_gt_u32_e32 vcc, 8, v35
	v_cndmask_b32_e32 v28, v39, v28, vcc
	v_cndmask_b32_e32 v34, v34, v36, vcc
	v_lshlrev_b32_e32 v26, 16, v26
	v_bfrev_b32_e32 v35, 60
	v_lshlrev_b32_e32 v34, 20, v34
	v_and_b32_e32 v26, 0x80000000, v26
	v_lshl_add_u32 v28, v28, 23, v35
	v_or3_b32 v34, v26, v28, v34
.LBB509_332:
	s_or_b64 exec, exec, s[22:23]
.LBB509_333:
	s_or_b64 exec, exec, s[20:21]
.LBB509_334:
	s_or_b64 exec, exec, s[10:11]
	s_movk_i32 s10, 0xff
	v_and_b32_sdwa v28, v23, s10 dst_sel:DWORD dst_unused:UNUSED_PAD src0_sel:WORD_1 src1_sel:DWORD
	v_lshrrev_b32_e32 v26, 16, v23
	v_cmp_ne_u16_e32 vcc, 0, v28
	s_and_saveexec_b64 s[10:11], vcc
	s_cbranch_execz .LBB509_340
; %bb.335:
	s_movk_i32 s20, 0x80
	v_cmp_ne_u16_e32 vcc, s20, v28
	v_bfrev_b32_e32 v33, 1
	s_and_saveexec_b64 s[20:21], vcc
	s_cbranch_execz .LBB509_339
; %bb.336:
	v_bfe_u32 v28, v23, 16, 7
	s_movk_i32 s22, 0x7f
	v_cmp_ne_u32_e32 vcc, s22, v28
	v_mov_b32_e32 v33, 0x7f800001
	s_and_saveexec_b64 s[22:23], vcc
	s_cbranch_execz .LBB509_338
; %bb.337:
	v_and_b32_e32 v33, 7, v26
	v_ffbh_u32_e32 v36, v33
	v_min_u32_e32 v39, 32, v36
	v_subrev_u32_e32 v36, 28, v39
	v_lshlrev_b64 v[36:37], v36, v[26:27]
	v_and_b32_e32 v36, 7, v36
	v_cmp_gt_u32_e32 vcc, 8, v28
	v_lshrrev_b32_e32 v35, 3, v28
	v_sub_u32_e32 v26, 29, v39
	v_cndmask_b32_e32 v28, v33, v36, vcc
	v_mov_b32_e32 v33, 24
	v_cndmask_b32_e32 v26, v35, v26, vcc
	v_lshlrev_b32_sdwa v33, v33, v23 dst_sel:DWORD dst_unused:UNUSED_PAD src0_sel:DWORD src1_sel:WORD_1
	v_bfrev_b32_e32 v35, 60
	v_lshlrev_b32_e32 v28, 20, v28
	v_and_b32_e32 v33, 0x80000000, v33
	v_lshl_add_u32 v26, v26, 23, v35
	v_or3_b32 v33, v33, v26, v28
.LBB509_338:
	s_or_b64 exec, exec, s[22:23]
.LBB509_339:
	s_or_b64 exec, exec, s[20:21]
.LBB509_340:
	s_or_b64 exec, exec, s[10:11]
	s_mov_b32 s10, -1
	s_mov_b32 s11, 0xffffff
	v_cmp_lt_u64_e32 vcc, s[10:11], v[22:23]
	v_mov_b32_e32 v28, 0
	v_mov_b32_e32 v26, 0
	s_and_saveexec_b64 s[10:11], vcc
	s_cbranch_execz .LBB509_346
; %bb.341:
	v_lshrrev_b32_e32 v22, 24, v23
	s_movk_i32 s20, 0x80
	v_cmp_ne_u32_e32 vcc, s20, v22
	v_bfrev_b32_e32 v26, 1
	s_and_saveexec_b64 s[20:21], vcc
	s_cbranch_execz .LBB509_345
; %bb.342:
	v_bfe_u32 v23, v23, 24, 7
	s_movk_i32 s22, 0x7f
	v_cmp_ne_u32_e32 vcc, s22, v23
	v_mov_b32_e32 v26, 0x7f800001
	s_and_saveexec_b64 s[22:23], vcc
	s_cbranch_execz .LBB509_344
; %bb.343:
	v_and_b32_e32 v26, 7, v22
	v_ffbh_u32_e32 v36, v26
	v_min_u32_e32 v39, 32, v36
	v_subrev_u32_e32 v36, 28, v39
	v_lshlrev_b64 v[36:37], v36, v[22:23]
	v_lshrrev_b32_e32 v35, 3, v23
	v_sub_u32_e32 v37, 29, v39
	v_and_b32_e32 v36, 7, v36
	v_cmp_gt_u32_e32 vcc, 8, v23
	v_cndmask_b32_e32 v23, v35, v37, vcc
	v_cndmask_b32_e32 v26, v26, v36, vcc
	v_lshlrev_b32_e32 v22, 24, v22
	v_bfrev_b32_e32 v35, 60
	v_lshlrev_b32_e32 v26, 20, v26
	v_and_b32_e32 v22, 0x80000000, v22
	v_lshl_add_u32 v23, v23, 23, v35
	v_or3_b32 v26, v22, v23, v26
.LBB509_344:
	s_or_b64 exec, exec, s[22:23]
.LBB509_345:
	s_or_b64 exec, exec, s[20:21]
.LBB509_346:
	s_or_b64 exec, exec, s[10:11]
	v_cvt_pkrtz_f16_f32 v22, v30, v31
	v_cvt_pkrtz_f16_f32 v23, v29, v32
	;; [unrolled: 1-line block ×4, first 2 shown]
	v_mfma_f32_4x4x4f16 a[0:3], v[2:3], v[22:23], a[0:3] cbsz:4 abid:6
	v_cmp_ne_u16_sdwa s[20:21], v24, v28 src0_sel:BYTE_0 src1_sel:DWORD
	v_mfma_f32_4x4x4f16 a[0:3], v[4:5], v[30:31], a[0:3] cbsz:4 abid:6
	s_and_saveexec_b64 s[10:11], s[20:21]
	s_cbranch_execz .LBB509_352
; %bb.347:
	s_movk_i32 s20, 0x80
	v_cmp_ne_u16_sdwa s[22:23], v24, s20 src0_sel:BYTE_0 src1_sel:DWORD
	v_bfrev_b32_e32 v28, 1
	s_and_saveexec_b64 s[20:21], s[22:23]
	s_cbranch_execz .LBB509_351
; %bb.348:
	s_movk_i32 s22, 0x7f
	v_and_b32_e32 v22, 0x7f, v24
	v_cmp_ne_u32_e32 vcc, s22, v22
	v_mov_b32_e32 v28, 0x7f800001
	s_and_saveexec_b64 s[22:23], vcc
	s_cbranch_execz .LBB509_350
; %bb.349:
	v_and_b32_e32 v23, 7, v24
	v_ffbh_u32_e32 v23, v23
	v_min_u32_e32 v23, 32, v23
	v_subrev_u32_e32 v27, 28, v23
	v_cmp_gt_u32_e32 vcc, 8, v22
	v_lshrrev_b32_e32 v26, 3, v22
	v_sub_u32_e32 v23, 29, v23
	v_cndmask_b32_e32 v22, 0, v27, vcc
	v_cndmask_b32_e32 v26, v26, v23, vcc
	v_lshlrev_b64 v[22:23], v22, v[24:25]
	v_lshlrev_b32_e32 v22, 20, v22
	v_lshlrev_b32_e32 v23, 24, v24
	v_bfrev_b32_e32 v27, 60
	v_and_b32_e32 v22, 0x700000, v22
	v_and_b32_e32 v23, 0x80000000, v23
	v_lshl_add_u32 v26, v26, 23, v27
	v_or3_b32 v28, v23, v26, v22
.LBB509_350:
	s_or_b64 exec, exec, s[22:23]
.LBB509_351:
	s_or_b64 exec, exec, s[20:21]
.LBB509_352:
	s_or_b64 exec, exec, s[10:11]
	v_lshrrev_b16_e32 v22, 8, v24
	v_cmp_ne_u16_e32 vcc, 0, v22
	v_mov_b32_e32 v27, 0
	v_mov_b32_e32 v29, 0
	s_and_saveexec_b64 s[10:11], vcc
	s_cbranch_execz .LBB509_358
; %bb.353:
	s_movk_i32 s20, 0x80
	v_cmp_ne_u16_e32 vcc, s20, v22
	v_bfrev_b32_e32 v29, 1
	s_and_saveexec_b64 s[20:21], vcc
	s_cbranch_execz .LBB509_357
; %bb.354:
	s_movk_i32 s22, 0x7f
	v_and_b32_e32 v23, 0x7f, v22
	v_cmp_ne_u32_e32 vcc, s22, v23
	v_mov_b32_e32 v29, 0x7f800001
	s_and_saveexec_b64 s[22:23], vcc
	s_cbranch_execz .LBB509_356
; %bb.355:
	v_and_b32_e32 v26, 7, v22
	v_ffbh_u32_e32 v30, v26
	v_min_u32_e32 v32, 32, v30
	v_subrev_u32_e32 v30, 28, v32
	v_lshlrev_b64 v[30:31], v30, v[22:23]
	v_lshrrev_b32_e32 v29, 3, v23
	v_sub_u32_e32 v22, 29, v32
	v_and_b32_e32 v30, 7, v30
	v_cmp_gt_u32_e32 vcc, 8, v23
	v_cndmask_b32_e32 v22, v29, v22, vcc
	v_cndmask_b32_e32 v23, v26, v30, vcc
	v_lshlrev_b32_e32 v26, 16, v24
	v_bfrev_b32_e32 v29, 60
	v_lshlrev_b32_e32 v23, 20, v23
	v_and_b32_e32 v26, 0x80000000, v26
	v_lshl_add_u32 v22, v22, 23, v29
	v_or3_b32 v29, v26, v22, v23
.LBB509_356:
	s_or_b64 exec, exec, s[22:23]
.LBB509_357:
	s_or_b64 exec, exec, s[20:21]
.LBB509_358:
	s_or_b64 exec, exec, s[10:11]
	s_movk_i32 s10, 0xff
	v_and_b32_sdwa v23, v24, s10 dst_sel:DWORD dst_unused:UNUSED_PAD src0_sel:WORD_1 src1_sel:DWORD
	v_lshrrev_b32_e32 v22, 16, v24
	v_cmp_ne_u16_e32 vcc, 0, v23
	s_and_saveexec_b64 s[10:11], vcc
	s_cbranch_execz .LBB509_364
; %bb.359:
	s_movk_i32 s20, 0x80
	v_cmp_ne_u16_e32 vcc, s20, v23
	v_bfrev_b32_e32 v27, 1
	s_and_saveexec_b64 s[20:21], vcc
	s_cbranch_execz .LBB509_363
; %bb.360:
	v_bfe_u32 v23, v24, 16, 7
	s_movk_i32 s22, 0x7f
	v_cmp_ne_u32_e32 vcc, s22, v23
	v_mov_b32_e32 v27, 0x7f800001
	s_and_saveexec_b64 s[22:23], vcc
	s_cbranch_execz .LBB509_362
; %bb.361:
	v_and_b32_e32 v30, 7, v22
	v_ffbh_u32_e32 v26, v30
	v_min_u32_e32 v32, 32, v26
	v_subrev_u32_e32 v26, 28, v32
	v_lshlrev_b64 v[26:27], v26, v[22:23]
	v_and_b32_e32 v26, 7, v26
	v_cmp_gt_u32_e32 vcc, 8, v23
	v_lshrrev_b32_e32 v31, 3, v23
	v_sub_u32_e32 v22, 29, v32
	v_cndmask_b32_e32 v23, v30, v26, vcc
	v_mov_b32_e32 v26, 24
	v_cndmask_b32_e32 v22, v31, v22, vcc
	v_lshlrev_b32_sdwa v26, v26, v24 dst_sel:DWORD dst_unused:UNUSED_PAD src0_sel:DWORD src1_sel:WORD_1
	v_bfrev_b32_e32 v27, 60
	v_lshlrev_b32_e32 v23, 20, v23
	v_and_b32_e32 v26, 0x80000000, v26
	v_lshl_add_u32 v22, v22, 23, v27
	v_or3_b32 v27, v26, v22, v23
.LBB509_362:
	s_or_b64 exec, exec, s[22:23]
.LBB509_363:
	s_or_b64 exec, exec, s[20:21]
.LBB509_364:
	s_or_b64 exec, exec, s[10:11]
	s_mov_b32 s10, 0xffffff
	v_cmp_lt_u32_e32 vcc, s10, v24
	v_mov_b32_e32 v23, 0
	v_mov_b32_e32 v30, 0
	s_and_saveexec_b64 s[10:11], vcc
	s_cbranch_execz .LBB509_370
; %bb.365:
	v_lshrrev_b32_e32 v22, 24, v24
	s_movk_i32 s20, 0x80
	v_cmp_ne_u32_e32 vcc, s20, v22
	v_bfrev_b32_e32 v30, 1
	s_and_saveexec_b64 s[20:21], vcc
	s_cbranch_execz .LBB509_369
; %bb.366:
	v_bfe_u32 v26, v24, 24, 7
	s_movk_i32 s22, 0x7f
	v_cmp_ne_u32_e32 vcc, s22, v26
	v_mov_b32_e32 v30, 0x7f800001
	s_and_saveexec_b64 s[22:23], vcc
	s_cbranch_execz .LBB509_368
; %bb.367:
	v_and_b32_e32 v32, 7, v22
	v_ffbh_u32_e32 v30, v32
	v_min_u32_e32 v34, 32, v30
	v_subrev_u32_e32 v30, 28, v34
	v_lshlrev_b64 v[30:31], v30, v[22:23]
	v_lshrrev_b32_e32 v33, 3, v26
	v_sub_u32_e32 v31, 29, v34
	v_and_b32_e32 v30, 7, v30
	v_cmp_gt_u32_e32 vcc, 8, v26
	v_cndmask_b32_e32 v26, v33, v31, vcc
	v_cndmask_b32_e32 v30, v32, v30, vcc
	v_lshlrev_b32_e32 v22, 24, v22
	v_bfrev_b32_e32 v31, 60
	v_lshlrev_b32_e32 v30, 20, v30
	v_and_b32_e32 v22, 0x80000000, v22
	v_lshl_add_u32 v26, v26, 23, v31
	v_or3_b32 v30, v22, v26, v30
.LBB509_368:
	s_or_b64 exec, exec, s[22:23]
.LBB509_369:
	s_or_b64 exec, exec, s[20:21]
.LBB509_370:
	s_or_b64 exec, exec, s[10:11]
	v_mov_b32_e32 v22, v25
	v_cmp_ne_u16_sdwa s[20:21], v25, v23 src0_sel:BYTE_0 src1_sel:DWORD
	s_and_saveexec_b64 s[10:11], s[20:21]
	s_cbranch_execz .LBB509_376
; %bb.371:
	s_movk_i32 s20, 0x80
	v_cmp_ne_u16_sdwa s[22:23], v25, s20 src0_sel:BYTE_0 src1_sel:DWORD
	v_bfrev_b32_e32 v26, 1
	s_and_saveexec_b64 s[20:21], s[22:23]
	s_cbranch_execz .LBB509_375
; %bb.372:
	s_movk_i32 s22, 0x7f
	v_and_b32_e32 v31, 0x7f, v25
	v_cmp_ne_u32_e32 vcc, s22, v31
	v_mov_b32_e32 v26, 0x7f800001
	s_and_saveexec_b64 s[22:23], vcc
	s_cbranch_execz .LBB509_374
; %bb.373:
	v_and_b32_e32 v26, 7, v25
	v_ffbh_u32_e32 v26, v26
	v_min_u32_e32 v26, 32, v26
	v_subrev_u32_e32 v33, 28, v26
	v_cmp_gt_u32_e32 vcc, 8, v31
	v_lshrrev_b32_e32 v32, 3, v31
	v_sub_u32_e32 v26, 29, v26
	v_cndmask_b32_e32 v31, 0, v33, vcc
	v_cndmask_b32_e32 v26, v32, v26, vcc
	v_lshlrev_b64 v[32:33], v31, v[22:23]
	v_lshlrev_b32_e32 v23, 20, v32
	v_lshlrev_b32_e32 v31, 24, v22
	v_bfrev_b32_e32 v32, 60
	v_and_b32_e32 v23, 0x700000, v23
	v_and_b32_e32 v31, 0x80000000, v31
	v_lshl_add_u32 v26, v26, 23, v32
	v_or3_b32 v26, v31, v26, v23
.LBB509_374:
	s_or_b64 exec, exec, s[22:23]
.LBB509_375:
	s_or_b64 exec, exec, s[20:21]
	v_mov_b32_e32 v23, v26
.LBB509_376:
	s_or_b64 exec, exec, s[10:11]
	v_lshrrev_b16_e32 v26, 8, v22
	v_cmp_ne_u16_e32 vcc, 0, v26
	v_mov_b32_e32 v31, 0
	v_mov_b32_e32 v32, 0
	s_and_saveexec_b64 s[10:11], vcc
	s_cbranch_execz .LBB509_382
; %bb.377:
	s_movk_i32 s20, 0x80
	v_cmp_ne_u16_e32 vcc, s20, v26
	v_bfrev_b32_e32 v32, 1
	s_and_saveexec_b64 s[20:21], vcc
	s_cbranch_execz .LBB509_381
; %bb.378:
	s_movk_i32 s22, 0x7f
	v_and_b32_e32 v33, 0x7f, v26
	v_cmp_ne_u32_e32 vcc, s22, v33
	v_mov_b32_e32 v32, 0x7f800001
	s_and_saveexec_b64 s[22:23], vcc
	s_cbranch_execz .LBB509_380
; %bb.379:
	v_and_b32_e32 v32, 7, v26
	v_ffbh_u32_e32 v34, v32
	v_min_u32_e32 v37, 32, v34
	v_subrev_u32_e32 v34, 28, v37
	v_lshlrev_b64 v[34:35], v34, v[26:27]
	v_lshrrev_b32_e32 v36, 3, v33
	v_sub_u32_e32 v26, 29, v37
	v_and_b32_e32 v34, 7, v34
	v_cmp_gt_u32_e32 vcc, 8, v33
	v_cndmask_b32_e32 v26, v36, v26, vcc
	v_cndmask_b32_e32 v32, v32, v34, vcc
	v_lshlrev_b32_e32 v22, 16, v22
	v_bfrev_b32_e32 v33, 60
	v_lshlrev_b32_e32 v32, 20, v32
	v_and_b32_e32 v22, 0x80000000, v22
	v_lshl_add_u32 v26, v26, 23, v33
	v_or3_b32 v32, v22, v26, v32
.LBB509_380:
	s_or_b64 exec, exec, s[22:23]
.LBB509_381:
	s_or_b64 exec, exec, s[20:21]
.LBB509_382:
	s_or_b64 exec, exec, s[10:11]
	s_movk_i32 s10, 0xff
	v_and_b32_sdwa v26, v25, s10 dst_sel:DWORD dst_unused:UNUSED_PAD src0_sel:WORD_1 src1_sel:DWORD
	v_lshrrev_b32_e32 v22, 16, v25
	v_cmp_ne_u16_e32 vcc, 0, v26
	s_and_saveexec_b64 s[10:11], vcc
	s_cbranch_execz .LBB509_388
; %bb.383:
	s_movk_i32 s20, 0x80
	v_cmp_ne_u16_e32 vcc, s20, v26
	v_bfrev_b32_e32 v31, 1
	s_and_saveexec_b64 s[20:21], vcc
	s_cbranch_execz .LBB509_387
; %bb.384:
	v_bfe_u32 v26, v25, 16, 7
	s_movk_i32 s22, 0x7f
	v_cmp_ne_u32_e32 vcc, s22, v26
	v_mov_b32_e32 v31, 0x7f800001
	s_and_saveexec_b64 s[22:23], vcc
	s_cbranch_execz .LBB509_386
; %bb.385:
	v_and_b32_e32 v31, 7, v22
	v_ffbh_u32_e32 v34, v31
	v_min_u32_e32 v36, 32, v34
	v_subrev_u32_e32 v34, 28, v36
	v_lshlrev_b64 v[34:35], v34, v[22:23]
	v_and_b32_e32 v34, 7, v34
	v_cmp_gt_u32_e32 vcc, 8, v26
	v_lshrrev_b32_e32 v33, 3, v26
	v_sub_u32_e32 v22, 29, v36
	v_cndmask_b32_e32 v26, v31, v34, vcc
	v_mov_b32_e32 v31, 24
	v_cndmask_b32_e32 v22, v33, v22, vcc
	v_lshlrev_b32_sdwa v31, v31, v25 dst_sel:DWORD dst_unused:UNUSED_PAD src0_sel:DWORD src1_sel:WORD_1
	v_bfrev_b32_e32 v33, 60
	v_lshlrev_b32_e32 v26, 20, v26
	v_and_b32_e32 v31, 0x80000000, v31
	v_lshl_add_u32 v22, v22, 23, v33
	v_or3_b32 v31, v31, v22, v26
.LBB509_386:
	s_or_b64 exec, exec, s[22:23]
.LBB509_387:
	s_or_b64 exec, exec, s[20:21]
.LBB509_388:
	s_or_b64 exec, exec, s[10:11]
	s_mov_b32 s10, -1
	s_mov_b32 s11, 0xffffff
	v_cmp_lt_u64_e32 vcc, s[10:11], v[24:25]
	v_mov_b32_e32 v26, 0
	v_mov_b32_e32 v24, 0
	s_and_saveexec_b64 s[10:11], vcc
	s_cbranch_execz .LBB509_394
; %bb.389:
	v_lshrrev_b32_e32 v22, 24, v25
	s_movk_i32 s20, 0x80
	v_cmp_ne_u32_e32 vcc, s20, v22
	v_bfrev_b32_e32 v24, 1
	s_and_saveexec_b64 s[20:21], vcc
	s_cbranch_execz .LBB509_393
; %bb.390:
	v_bfe_u32 v25, v25, 24, 7
	s_movk_i32 s22, 0x7f
	v_cmp_ne_u32_e32 vcc, s22, v25
	v_mov_b32_e32 v24, 0x7f800001
	s_and_saveexec_b64 s[22:23], vcc
	s_cbranch_execz .LBB509_392
; %bb.391:
	v_and_b32_e32 v24, 7, v22
	v_ffbh_u32_e32 v34, v24
	v_min_u32_e32 v36, 32, v34
	v_subrev_u32_e32 v34, 28, v36
	v_lshlrev_b64 v[34:35], v34, v[22:23]
	v_lshrrev_b32_e32 v33, 3, v25
	v_sub_u32_e32 v35, 29, v36
	v_and_b32_e32 v34, 7, v34
	v_cmp_gt_u32_e32 vcc, 8, v25
	v_cndmask_b32_e32 v25, v33, v35, vcc
	v_cndmask_b32_e32 v24, v24, v34, vcc
	v_lshlrev_b32_e32 v22, 24, v22
	v_bfrev_b32_e32 v33, 60
	v_lshlrev_b32_e32 v24, 20, v24
	v_and_b32_e32 v22, 0x80000000, v22
	v_lshl_add_u32 v25, v25, 23, v33
	v_or3_b32 v24, v22, v25, v24
.LBB509_392:
	s_or_b64 exec, exec, s[22:23]
.LBB509_393:
	s_or_b64 exec, exec, s[20:21]
.LBB509_394:
	s_or_b64 exec, exec, s[10:11]
	v_cvt_pkrtz_f16_f32 v28, v28, v29
	v_cvt_pkrtz_f16_f32 v29, v27, v30
	v_cvt_pkrtz_f16_f32 v22, v23, v32
	v_cvt_pkrtz_f16_f32 v23, v31, v24
	v_mfma_f32_4x4x4f16 a[0:3], v[2:3], v[28:29], a[0:3] cbsz:4 abid:7
	v_cmp_ne_u16_sdwa s[20:21], v18, v26 src0_sel:BYTE_0 src1_sel:DWORD
	v_mfma_f32_4x4x4f16 a[0:3], v[4:5], v[22:23], a[0:3] cbsz:4 abid:7
	s_and_saveexec_b64 s[10:11], s[20:21]
	s_cbranch_execz .LBB509_400
; %bb.395:
	s_movk_i32 s20, 0x80
	v_cmp_ne_u16_sdwa s[22:23], v18, s20 src0_sel:BYTE_0 src1_sel:DWORD
	v_bfrev_b32_e32 v26, 1
	s_and_saveexec_b64 s[20:21], s[22:23]
	s_cbranch_execz .LBB509_399
; %bb.396:
	s_movk_i32 s22, 0x7f
	v_and_b32_e32 v22, 0x7f, v18
	v_cmp_ne_u32_e32 vcc, s22, v22
	v_mov_b32_e32 v26, 0x7f800001
	s_and_saveexec_b64 s[22:23], vcc
	s_cbranch_execz .LBB509_398
; %bb.397:
	v_and_b32_e32 v23, 7, v18
	v_ffbh_u32_e32 v23, v23
	v_min_u32_e32 v23, 32, v23
	v_subrev_u32_e32 v25, 28, v23
	v_cmp_gt_u32_e32 vcc, 8, v22
	v_lshrrev_b32_e32 v24, 3, v22
	v_sub_u32_e32 v23, 29, v23
	v_cndmask_b32_e32 v22, 0, v25, vcc
	v_cndmask_b32_e32 v24, v24, v23, vcc
	v_lshlrev_b64 v[22:23], v22, v[18:19]
	v_lshlrev_b32_e32 v22, 20, v22
	v_lshlrev_b32_e32 v23, 24, v18
	v_bfrev_b32_e32 v25, 60
	v_and_b32_e32 v22, 0x700000, v22
	v_and_b32_e32 v23, 0x80000000, v23
	v_lshl_add_u32 v24, v24, 23, v25
	v_or3_b32 v26, v23, v24, v22
.LBB509_398:
	s_or_b64 exec, exec, s[22:23]
.LBB509_399:
	s_or_b64 exec, exec, s[20:21]
.LBB509_400:
	s_or_b64 exec, exec, s[10:11]
	v_lshrrev_b16_e32 v22, 8, v18
	v_cmp_ne_u16_e32 vcc, 0, v22
	v_mov_b32_e32 v25, 0
	v_mov_b32_e32 v27, 0
	s_and_saveexec_b64 s[10:11], vcc
	s_cbranch_execz .LBB509_406
; %bb.401:
	s_movk_i32 s20, 0x80
	v_cmp_ne_u16_e32 vcc, s20, v22
	v_bfrev_b32_e32 v27, 1
	s_and_saveexec_b64 s[20:21], vcc
	s_cbranch_execz .LBB509_405
; %bb.402:
	s_movk_i32 s22, 0x7f
	v_and_b32_e32 v23, 0x7f, v22
	v_cmp_ne_u32_e32 vcc, s22, v23
	v_mov_b32_e32 v27, 0x7f800001
	s_and_saveexec_b64 s[22:23], vcc
	s_cbranch_execz .LBB509_404
; %bb.403:
	v_and_b32_e32 v24, 7, v22
	v_ffbh_u32_e32 v28, v24
	v_min_u32_e32 v30, 32, v28
	v_subrev_u32_e32 v28, 28, v30
	v_lshlrev_b64 v[28:29], v28, v[22:23]
	v_lshrrev_b32_e32 v27, 3, v23
	v_sub_u32_e32 v22, 29, v30
	v_and_b32_e32 v28, 7, v28
	v_cmp_gt_u32_e32 vcc, 8, v23
	v_cndmask_b32_e32 v22, v27, v22, vcc
	v_cndmask_b32_e32 v23, v24, v28, vcc
	v_lshlrev_b32_e32 v24, 16, v18
	v_bfrev_b32_e32 v27, 60
	v_lshlrev_b32_e32 v23, 20, v23
	v_and_b32_e32 v24, 0x80000000, v24
	v_lshl_add_u32 v22, v22, 23, v27
	v_or3_b32 v27, v24, v22, v23
.LBB509_404:
	s_or_b64 exec, exec, s[22:23]
.LBB509_405:
	s_or_b64 exec, exec, s[20:21]
.LBB509_406:
	s_or_b64 exec, exec, s[10:11]
	s_movk_i32 s10, 0xff
	v_and_b32_sdwa v23, v18, s10 dst_sel:DWORD dst_unused:UNUSED_PAD src0_sel:WORD_1 src1_sel:DWORD
	v_lshrrev_b32_e32 v22, 16, v18
	v_cmp_ne_u16_e32 vcc, 0, v23
	s_and_saveexec_b64 s[10:11], vcc
	s_cbranch_execz .LBB509_412
; %bb.407:
	s_movk_i32 s20, 0x80
	v_cmp_ne_u16_e32 vcc, s20, v23
	v_bfrev_b32_e32 v25, 1
	s_and_saveexec_b64 s[20:21], vcc
	s_cbranch_execz .LBB509_411
; %bb.408:
	v_bfe_u32 v23, v18, 16, 7
	s_movk_i32 s22, 0x7f
	v_cmp_ne_u32_e32 vcc, s22, v23
	v_mov_b32_e32 v25, 0x7f800001
	s_and_saveexec_b64 s[22:23], vcc
	s_cbranch_execz .LBB509_410
; %bb.409:
	v_and_b32_e32 v28, 7, v22
	v_ffbh_u32_e32 v24, v28
	v_min_u32_e32 v30, 32, v24
	v_subrev_u32_e32 v24, 28, v30
	v_lshlrev_b64 v[24:25], v24, v[22:23]
	v_and_b32_e32 v24, 7, v24
	v_cmp_gt_u32_e32 vcc, 8, v23
	v_lshrrev_b32_e32 v29, 3, v23
	v_sub_u32_e32 v22, 29, v30
	v_cndmask_b32_e32 v23, v28, v24, vcc
	v_mov_b32_e32 v24, 24
	v_cndmask_b32_e32 v22, v29, v22, vcc
	v_lshlrev_b32_sdwa v24, v24, v18 dst_sel:DWORD dst_unused:UNUSED_PAD src0_sel:DWORD src1_sel:WORD_1
	v_bfrev_b32_e32 v25, 60
	v_lshlrev_b32_e32 v23, 20, v23
	v_and_b32_e32 v24, 0x80000000, v24
	v_lshl_add_u32 v22, v22, 23, v25
	v_or3_b32 v25, v24, v22, v23
.LBB509_410:
	s_or_b64 exec, exec, s[22:23]
.LBB509_411:
	s_or_b64 exec, exec, s[20:21]
.LBB509_412:
	s_or_b64 exec, exec, s[10:11]
	s_mov_b32 s10, 0xffffff
	v_cmp_lt_u32_e32 vcc, s10, v18
	v_mov_b32_e32 v23, 0
	v_mov_b32_e32 v28, 0
	s_and_saveexec_b64 s[10:11], vcc
	s_cbranch_execz .LBB509_418
; %bb.413:
	v_lshrrev_b32_e32 v22, 24, v18
	s_movk_i32 s20, 0x80
	v_cmp_ne_u32_e32 vcc, s20, v22
	v_bfrev_b32_e32 v28, 1
	s_and_saveexec_b64 s[20:21], vcc
	s_cbranch_execz .LBB509_417
; %bb.414:
	v_bfe_u32 v24, v18, 24, 7
	s_movk_i32 s22, 0x7f
	v_cmp_ne_u32_e32 vcc, s22, v24
	v_mov_b32_e32 v28, 0x7f800001
	s_and_saveexec_b64 s[22:23], vcc
	s_cbranch_execz .LBB509_416
; %bb.415:
	v_and_b32_e32 v30, 7, v22
	v_ffbh_u32_e32 v28, v30
	v_min_u32_e32 v32, 32, v28
	v_subrev_u32_e32 v28, 28, v32
	v_lshlrev_b64 v[28:29], v28, v[22:23]
	v_lshrrev_b32_e32 v31, 3, v24
	v_sub_u32_e32 v29, 29, v32
	v_and_b32_e32 v28, 7, v28
	v_cmp_gt_u32_e32 vcc, 8, v24
	v_cndmask_b32_e32 v24, v31, v29, vcc
	v_cndmask_b32_e32 v28, v30, v28, vcc
	v_lshlrev_b32_e32 v22, 24, v22
	v_bfrev_b32_e32 v29, 60
	v_lshlrev_b32_e32 v28, 20, v28
	v_and_b32_e32 v22, 0x80000000, v22
	v_lshl_add_u32 v24, v24, 23, v29
	v_or3_b32 v28, v22, v24, v28
.LBB509_416:
	s_or_b64 exec, exec, s[22:23]
.LBB509_417:
	s_or_b64 exec, exec, s[20:21]
.LBB509_418:
	s_or_b64 exec, exec, s[10:11]
	v_mov_b32_e32 v22, v19
	v_cmp_ne_u16_sdwa s[20:21], v19, v23 src0_sel:BYTE_0 src1_sel:DWORD
	s_and_saveexec_b64 s[10:11], s[20:21]
	s_cbranch_execz .LBB509_424
; %bb.419:
	s_movk_i32 s20, 0x80
	v_cmp_ne_u16_sdwa s[22:23], v19, s20 src0_sel:BYTE_0 src1_sel:DWORD
	v_bfrev_b32_e32 v24, 1
	s_and_saveexec_b64 s[20:21], s[22:23]
	s_cbranch_execz .LBB509_423
; %bb.420:
	s_movk_i32 s22, 0x7f
	v_and_b32_e32 v29, 0x7f, v19
	v_cmp_ne_u32_e32 vcc, s22, v29
	v_mov_b32_e32 v24, 0x7f800001
	s_and_saveexec_b64 s[22:23], vcc
	s_cbranch_execz .LBB509_422
; %bb.421:
	v_and_b32_e32 v24, 7, v19
	v_ffbh_u32_e32 v24, v24
	v_min_u32_e32 v24, 32, v24
	v_subrev_u32_e32 v31, 28, v24
	v_cmp_gt_u32_e32 vcc, 8, v29
	v_lshrrev_b32_e32 v30, 3, v29
	v_sub_u32_e32 v24, 29, v24
	v_cndmask_b32_e32 v29, 0, v31, vcc
	v_cndmask_b32_e32 v24, v30, v24, vcc
	v_lshlrev_b64 v[30:31], v29, v[22:23]
	v_lshlrev_b32_e32 v23, 20, v30
	v_lshlrev_b32_e32 v29, 24, v22
	v_bfrev_b32_e32 v30, 60
	v_and_b32_e32 v23, 0x700000, v23
	v_and_b32_e32 v29, 0x80000000, v29
	v_lshl_add_u32 v24, v24, 23, v30
	v_or3_b32 v24, v29, v24, v23
.LBB509_422:
	s_or_b64 exec, exec, s[22:23]
.LBB509_423:
	s_or_b64 exec, exec, s[20:21]
	v_mov_b32_e32 v23, v24
.LBB509_424:
	s_or_b64 exec, exec, s[10:11]
	v_lshrrev_b16_e32 v24, 8, v22
	v_cmp_ne_u16_e32 vcc, 0, v24
	v_mov_b32_e32 v29, 0
	v_mov_b32_e32 v30, 0
	s_and_saveexec_b64 s[10:11], vcc
	s_cbranch_execz .LBB509_430
; %bb.425:
	s_movk_i32 s20, 0x80
	v_cmp_ne_u16_e32 vcc, s20, v24
	v_bfrev_b32_e32 v30, 1
	s_and_saveexec_b64 s[20:21], vcc
	s_cbranch_execz .LBB509_429
; %bb.426:
	s_movk_i32 s22, 0x7f
	v_and_b32_e32 v31, 0x7f, v24
	v_cmp_ne_u32_e32 vcc, s22, v31
	v_mov_b32_e32 v30, 0x7f800001
	s_and_saveexec_b64 s[22:23], vcc
	s_cbranch_execz .LBB509_428
; %bb.427:
	v_and_b32_e32 v30, 7, v24
	v_ffbh_u32_e32 v32, v30
	v_min_u32_e32 v35, 32, v32
	v_subrev_u32_e32 v32, 28, v35
	v_lshlrev_b64 v[32:33], v32, v[24:25]
	v_lshrrev_b32_e32 v34, 3, v31
	v_sub_u32_e32 v24, 29, v35
	v_and_b32_e32 v32, 7, v32
	v_cmp_gt_u32_e32 vcc, 8, v31
	v_cndmask_b32_e32 v24, v34, v24, vcc
	v_cndmask_b32_e32 v30, v30, v32, vcc
	v_lshlrev_b32_e32 v22, 16, v22
	v_bfrev_b32_e32 v31, 60
	v_lshlrev_b32_e32 v30, 20, v30
	v_and_b32_e32 v22, 0x80000000, v22
	v_lshl_add_u32 v24, v24, 23, v31
	v_or3_b32 v30, v22, v24, v30
.LBB509_428:
	s_or_b64 exec, exec, s[22:23]
.LBB509_429:
	s_or_b64 exec, exec, s[20:21]
.LBB509_430:
	s_or_b64 exec, exec, s[10:11]
	s_movk_i32 s10, 0xff
	v_and_b32_sdwa v24, v19, s10 dst_sel:DWORD dst_unused:UNUSED_PAD src0_sel:WORD_1 src1_sel:DWORD
	v_lshrrev_b32_e32 v22, 16, v19
	v_cmp_ne_u16_e32 vcc, 0, v24
	s_and_saveexec_b64 s[10:11], vcc
	s_cbranch_execz .LBB509_436
; %bb.431:
	s_movk_i32 s20, 0x80
	v_cmp_ne_u16_e32 vcc, s20, v24
	v_bfrev_b32_e32 v29, 1
	s_and_saveexec_b64 s[20:21], vcc
	s_cbranch_execz .LBB509_435
; %bb.432:
	v_bfe_u32 v24, v19, 16, 7
	s_movk_i32 s22, 0x7f
	v_cmp_ne_u32_e32 vcc, s22, v24
	v_mov_b32_e32 v29, 0x7f800001
	s_and_saveexec_b64 s[22:23], vcc
	s_cbranch_execz .LBB509_434
; %bb.433:
	v_and_b32_e32 v29, 7, v22
	v_ffbh_u32_e32 v32, v29
	v_min_u32_e32 v34, 32, v32
	v_subrev_u32_e32 v32, 28, v34
	v_lshlrev_b64 v[32:33], v32, v[22:23]
	v_and_b32_e32 v32, 7, v32
	v_cmp_gt_u32_e32 vcc, 8, v24
	v_lshrrev_b32_e32 v31, 3, v24
	v_sub_u32_e32 v22, 29, v34
	v_cndmask_b32_e32 v24, v29, v32, vcc
	v_mov_b32_e32 v29, 24
	v_cndmask_b32_e32 v22, v31, v22, vcc
	v_lshlrev_b32_sdwa v29, v29, v19 dst_sel:DWORD dst_unused:UNUSED_PAD src0_sel:DWORD src1_sel:WORD_1
	v_bfrev_b32_e32 v31, 60
	v_lshlrev_b32_e32 v24, 20, v24
	v_and_b32_e32 v29, 0x80000000, v29
	v_lshl_add_u32 v22, v22, 23, v31
	v_or3_b32 v29, v29, v22, v24
.LBB509_434:
	s_or_b64 exec, exec, s[22:23]
.LBB509_435:
	s_or_b64 exec, exec, s[20:21]
.LBB509_436:
	s_or_b64 exec, exec, s[10:11]
	s_mov_b32 s10, -1
	s_mov_b32 s11, 0xffffff
	v_cmp_lt_u64_e32 vcc, s[10:11], v[18:19]
	v_mov_b32_e32 v24, 0
	v_mov_b32_e32 v22, 0
	s_and_saveexec_b64 s[10:11], vcc
	s_cbranch_execz .LBB509_442
; %bb.437:
	v_lshrrev_b32_e32 v18, 24, v19
	s_movk_i32 s20, 0x80
	v_cmp_ne_u32_e32 vcc, s20, v18
	v_bfrev_b32_e32 v22, 1
	s_and_saveexec_b64 s[20:21], vcc
	s_cbranch_execz .LBB509_441
; %bb.438:
	v_bfe_u32 v19, v19, 24, 7
	s_movk_i32 s22, 0x7f
	v_cmp_ne_u32_e32 vcc, s22, v19
	v_mov_b32_e32 v22, 0x7f800001
	s_and_saveexec_b64 s[22:23], vcc
	s_cbranch_execz .LBB509_440
; %bb.439:
	v_and_b32_e32 v22, 7, v18
	v_ffbh_u32_e32 v32, v22
	v_min_u32_e32 v34, 32, v32
	v_subrev_u32_e32 v32, 28, v34
	v_lshlrev_b64 v[32:33], v32, v[18:19]
	v_lshrrev_b32_e32 v31, 3, v19
	v_sub_u32_e32 v33, 29, v34
	v_and_b32_e32 v32, 7, v32
	v_cmp_gt_u32_e32 vcc, 8, v19
	v_cndmask_b32_e32 v19, v31, v33, vcc
	v_cndmask_b32_e32 v22, v22, v32, vcc
	v_lshlrev_b32_e32 v18, 24, v18
	v_bfrev_b32_e32 v31, 60
	v_lshlrev_b32_e32 v22, 20, v22
	v_and_b32_e32 v18, 0x80000000, v18
	v_lshl_add_u32 v19, v19, 23, v31
	v_or3_b32 v22, v18, v19, v22
.LBB509_440:
	s_or_b64 exec, exec, s[22:23]
.LBB509_441:
	s_or_b64 exec, exec, s[20:21]
.LBB509_442:
	s_or_b64 exec, exec, s[10:11]
	v_cvt_pkrtz_f16_f32 v18, v26, v27
	v_cvt_pkrtz_f16_f32 v19, v25, v28
	;; [unrolled: 1-line block ×4, first 2 shown]
	v_mfma_f32_4x4x4f16 a[0:3], v[2:3], v[18:19], a[0:3] cbsz:4 abid:8
	v_cmp_ne_u16_sdwa s[20:21], v20, v24 src0_sel:BYTE_0 src1_sel:DWORD
	v_mfma_f32_4x4x4f16 a[0:3], v[4:5], v[26:27], a[0:3] cbsz:4 abid:8
	s_and_saveexec_b64 s[10:11], s[20:21]
	s_cbranch_execz .LBB509_448
; %bb.443:
	s_movk_i32 s20, 0x80
	v_cmp_ne_u16_sdwa s[22:23], v20, s20 src0_sel:BYTE_0 src1_sel:DWORD
	v_bfrev_b32_e32 v24, 1
	s_and_saveexec_b64 s[20:21], s[22:23]
	s_cbranch_execz .LBB509_447
; %bb.444:
	s_movk_i32 s22, 0x7f
	v_and_b32_e32 v18, 0x7f, v20
	v_cmp_ne_u32_e32 vcc, s22, v18
	v_mov_b32_e32 v24, 0x7f800001
	s_and_saveexec_b64 s[22:23], vcc
	s_cbranch_execz .LBB509_446
; %bb.445:
	v_and_b32_e32 v19, 7, v20
	v_ffbh_u32_e32 v19, v19
	v_min_u32_e32 v19, 32, v19
	v_subrev_u32_e32 v23, 28, v19
	v_cmp_gt_u32_e32 vcc, 8, v18
	v_lshrrev_b32_e32 v22, 3, v18
	v_sub_u32_e32 v19, 29, v19
	v_cndmask_b32_e32 v18, 0, v23, vcc
	v_cndmask_b32_e32 v22, v22, v19, vcc
	v_lshlrev_b64 v[18:19], v18, v[20:21]
	v_lshlrev_b32_e32 v18, 20, v18
	v_lshlrev_b32_e32 v19, 24, v20
	v_bfrev_b32_e32 v23, 60
	v_and_b32_e32 v18, 0x700000, v18
	v_and_b32_e32 v19, 0x80000000, v19
	v_lshl_add_u32 v22, v22, 23, v23
	v_or3_b32 v24, v19, v22, v18
.LBB509_446:
	s_or_b64 exec, exec, s[22:23]
.LBB509_447:
	s_or_b64 exec, exec, s[20:21]
.LBB509_448:
	s_or_b64 exec, exec, s[10:11]
	v_lshrrev_b16_e32 v18, 8, v20
	v_cmp_ne_u16_e32 vcc, 0, v18
	v_mov_b32_e32 v23, 0
	v_mov_b32_e32 v25, 0
	s_and_saveexec_b64 s[10:11], vcc
	s_cbranch_execz .LBB509_454
; %bb.449:
	s_movk_i32 s20, 0x80
	v_cmp_ne_u16_e32 vcc, s20, v18
	v_bfrev_b32_e32 v25, 1
	s_and_saveexec_b64 s[20:21], vcc
	s_cbranch_execz .LBB509_453
; %bb.450:
	s_movk_i32 s22, 0x7f
	v_and_b32_e32 v19, 0x7f, v18
	v_cmp_ne_u32_e32 vcc, s22, v19
	v_mov_b32_e32 v25, 0x7f800001
	s_and_saveexec_b64 s[22:23], vcc
	s_cbranch_execz .LBB509_452
; %bb.451:
	v_and_b32_e32 v22, 7, v18
	v_ffbh_u32_e32 v26, v22
	v_min_u32_e32 v28, 32, v26
	v_subrev_u32_e32 v26, 28, v28
	v_lshlrev_b64 v[26:27], v26, v[18:19]
	v_lshrrev_b32_e32 v25, 3, v19
	v_sub_u32_e32 v18, 29, v28
	v_and_b32_e32 v26, 7, v26
	v_cmp_gt_u32_e32 vcc, 8, v19
	v_cndmask_b32_e32 v18, v25, v18, vcc
	v_cndmask_b32_e32 v19, v22, v26, vcc
	v_lshlrev_b32_e32 v22, 16, v20
	v_bfrev_b32_e32 v25, 60
	v_lshlrev_b32_e32 v19, 20, v19
	v_and_b32_e32 v22, 0x80000000, v22
	v_lshl_add_u32 v18, v18, 23, v25
	v_or3_b32 v25, v22, v18, v19
.LBB509_452:
	s_or_b64 exec, exec, s[22:23]
.LBB509_453:
	s_or_b64 exec, exec, s[20:21]
.LBB509_454:
	s_or_b64 exec, exec, s[10:11]
	s_movk_i32 s10, 0xff
	v_and_b32_sdwa v19, v20, s10 dst_sel:DWORD dst_unused:UNUSED_PAD src0_sel:WORD_1 src1_sel:DWORD
	v_lshrrev_b32_e32 v18, 16, v20
	v_cmp_ne_u16_e32 vcc, 0, v19
	s_and_saveexec_b64 s[10:11], vcc
	s_cbranch_execz .LBB509_460
; %bb.455:
	s_movk_i32 s20, 0x80
	v_cmp_ne_u16_e32 vcc, s20, v19
	v_bfrev_b32_e32 v23, 1
	s_and_saveexec_b64 s[20:21], vcc
	s_cbranch_execz .LBB509_459
; %bb.456:
	v_bfe_u32 v19, v20, 16, 7
	s_movk_i32 s22, 0x7f
	v_cmp_ne_u32_e32 vcc, s22, v19
	v_mov_b32_e32 v23, 0x7f800001
	s_and_saveexec_b64 s[22:23], vcc
	s_cbranch_execz .LBB509_458
; %bb.457:
	v_and_b32_e32 v26, 7, v18
	v_ffbh_u32_e32 v22, v26
	v_min_u32_e32 v28, 32, v22
	v_subrev_u32_e32 v22, 28, v28
	v_lshlrev_b64 v[22:23], v22, v[18:19]
	v_and_b32_e32 v22, 7, v22
	v_cmp_gt_u32_e32 vcc, 8, v19
	v_lshrrev_b32_e32 v27, 3, v19
	v_sub_u32_e32 v18, 29, v28
	v_cndmask_b32_e32 v19, v26, v22, vcc
	v_mov_b32_e32 v22, 24
	v_cndmask_b32_e32 v18, v27, v18, vcc
	v_lshlrev_b32_sdwa v22, v22, v20 dst_sel:DWORD dst_unused:UNUSED_PAD src0_sel:DWORD src1_sel:WORD_1
	v_bfrev_b32_e32 v23, 60
	v_lshlrev_b32_e32 v19, 20, v19
	v_and_b32_e32 v22, 0x80000000, v22
	v_lshl_add_u32 v18, v18, 23, v23
	v_or3_b32 v23, v22, v18, v19
.LBB509_458:
	s_or_b64 exec, exec, s[22:23]
.LBB509_459:
	s_or_b64 exec, exec, s[20:21]
.LBB509_460:
	s_or_b64 exec, exec, s[10:11]
	s_mov_b32 s10, 0xffffff
	v_cmp_lt_u32_e32 vcc, s10, v20
	v_mov_b32_e32 v19, 0
	v_mov_b32_e32 v26, 0
	s_and_saveexec_b64 s[10:11], vcc
	s_cbranch_execz .LBB509_466
; %bb.461:
	v_lshrrev_b32_e32 v18, 24, v20
	s_movk_i32 s20, 0x80
	v_cmp_ne_u32_e32 vcc, s20, v18
	v_bfrev_b32_e32 v26, 1
	s_and_saveexec_b64 s[20:21], vcc
	s_cbranch_execz .LBB509_465
; %bb.462:
	v_bfe_u32 v22, v20, 24, 7
	s_movk_i32 s22, 0x7f
	v_cmp_ne_u32_e32 vcc, s22, v22
	v_mov_b32_e32 v26, 0x7f800001
	s_and_saveexec_b64 s[22:23], vcc
	s_cbranch_execz .LBB509_464
; %bb.463:
	v_and_b32_e32 v28, 7, v18
	v_ffbh_u32_e32 v26, v28
	v_min_u32_e32 v30, 32, v26
	v_subrev_u32_e32 v26, 28, v30
	v_lshlrev_b64 v[26:27], v26, v[18:19]
	v_lshrrev_b32_e32 v29, 3, v22
	v_sub_u32_e32 v27, 29, v30
	v_and_b32_e32 v26, 7, v26
	v_cmp_gt_u32_e32 vcc, 8, v22
	v_cndmask_b32_e32 v22, v29, v27, vcc
	v_cndmask_b32_e32 v26, v28, v26, vcc
	v_lshlrev_b32_e32 v18, 24, v18
	v_bfrev_b32_e32 v27, 60
	v_lshlrev_b32_e32 v26, 20, v26
	v_and_b32_e32 v18, 0x80000000, v18
	v_lshl_add_u32 v22, v22, 23, v27
	v_or3_b32 v26, v18, v22, v26
.LBB509_464:
	s_or_b64 exec, exec, s[22:23]
.LBB509_465:
	s_or_b64 exec, exec, s[20:21]
.LBB509_466:
	s_or_b64 exec, exec, s[10:11]
	v_mov_b32_e32 v18, v21
	v_cmp_ne_u16_sdwa s[20:21], v21, v19 src0_sel:BYTE_0 src1_sel:DWORD
	s_and_saveexec_b64 s[10:11], s[20:21]
	s_cbranch_execz .LBB509_472
; %bb.467:
	s_movk_i32 s20, 0x80
	v_cmp_ne_u16_sdwa s[22:23], v21, s20 src0_sel:BYTE_0 src1_sel:DWORD
	v_bfrev_b32_e32 v22, 1
	s_and_saveexec_b64 s[20:21], s[22:23]
	s_cbranch_execz .LBB509_471
; %bb.468:
	s_movk_i32 s22, 0x7f
	v_and_b32_e32 v27, 0x7f, v21
	v_cmp_ne_u32_e32 vcc, s22, v27
	v_mov_b32_e32 v22, 0x7f800001
	s_and_saveexec_b64 s[22:23], vcc
	s_cbranch_execz .LBB509_470
; %bb.469:
	v_and_b32_e32 v22, 7, v21
	v_ffbh_u32_e32 v22, v22
	v_min_u32_e32 v22, 32, v22
	v_subrev_u32_e32 v29, 28, v22
	v_cmp_gt_u32_e32 vcc, 8, v27
	v_lshrrev_b32_e32 v28, 3, v27
	v_sub_u32_e32 v22, 29, v22
	v_cndmask_b32_e32 v27, 0, v29, vcc
	v_cndmask_b32_e32 v22, v28, v22, vcc
	v_lshlrev_b64 v[28:29], v27, v[18:19]
	v_lshlrev_b32_e32 v19, 20, v28
	v_lshlrev_b32_e32 v27, 24, v18
	v_bfrev_b32_e32 v28, 60
	v_and_b32_e32 v19, 0x700000, v19
	v_and_b32_e32 v27, 0x80000000, v27
	v_lshl_add_u32 v22, v22, 23, v28
	v_or3_b32 v22, v27, v22, v19
.LBB509_470:
	s_or_b64 exec, exec, s[22:23]
.LBB509_471:
	s_or_b64 exec, exec, s[20:21]
	v_mov_b32_e32 v19, v22
.LBB509_472:
	s_or_b64 exec, exec, s[10:11]
	v_lshrrev_b16_e32 v22, 8, v18
	v_cmp_ne_u16_e32 vcc, 0, v22
	v_mov_b32_e32 v27, 0
	v_mov_b32_e32 v28, 0
	s_and_saveexec_b64 s[10:11], vcc
	s_cbranch_execz .LBB509_478
; %bb.473:
	s_movk_i32 s20, 0x80
	v_cmp_ne_u16_e32 vcc, s20, v22
	v_bfrev_b32_e32 v28, 1
	s_and_saveexec_b64 s[20:21], vcc
	s_cbranch_execz .LBB509_477
; %bb.474:
	s_movk_i32 s22, 0x7f
	v_and_b32_e32 v29, 0x7f, v22
	v_cmp_ne_u32_e32 vcc, s22, v29
	v_mov_b32_e32 v28, 0x7f800001
	s_and_saveexec_b64 s[22:23], vcc
	s_cbranch_execz .LBB509_476
; %bb.475:
	v_and_b32_e32 v28, 7, v22
	v_ffbh_u32_e32 v30, v28
	v_min_u32_e32 v33, 32, v30
	v_subrev_u32_e32 v30, 28, v33
	v_lshlrev_b64 v[30:31], v30, v[22:23]
	v_lshrrev_b32_e32 v32, 3, v29
	v_sub_u32_e32 v22, 29, v33
	v_and_b32_e32 v30, 7, v30
	v_cmp_gt_u32_e32 vcc, 8, v29
	v_cndmask_b32_e32 v22, v32, v22, vcc
	v_cndmask_b32_e32 v28, v28, v30, vcc
	v_lshlrev_b32_e32 v18, 16, v18
	v_bfrev_b32_e32 v29, 60
	v_lshlrev_b32_e32 v28, 20, v28
	v_and_b32_e32 v18, 0x80000000, v18
	v_lshl_add_u32 v22, v22, 23, v29
	v_or3_b32 v28, v18, v22, v28
.LBB509_476:
	s_or_b64 exec, exec, s[22:23]
.LBB509_477:
	s_or_b64 exec, exec, s[20:21]
.LBB509_478:
	s_or_b64 exec, exec, s[10:11]
	s_movk_i32 s10, 0xff
	v_and_b32_sdwa v22, v21, s10 dst_sel:DWORD dst_unused:UNUSED_PAD src0_sel:WORD_1 src1_sel:DWORD
	v_lshrrev_b32_e32 v18, 16, v21
	v_cmp_ne_u16_e32 vcc, 0, v22
	s_and_saveexec_b64 s[10:11], vcc
	s_cbranch_execz .LBB509_484
; %bb.479:
	s_movk_i32 s20, 0x80
	v_cmp_ne_u16_e32 vcc, s20, v22
	v_bfrev_b32_e32 v27, 1
	s_and_saveexec_b64 s[20:21], vcc
	s_cbranch_execz .LBB509_483
; %bb.480:
	v_bfe_u32 v22, v21, 16, 7
	s_movk_i32 s22, 0x7f
	v_cmp_ne_u32_e32 vcc, s22, v22
	v_mov_b32_e32 v27, 0x7f800001
	s_and_saveexec_b64 s[22:23], vcc
	s_cbranch_execz .LBB509_482
; %bb.481:
	v_and_b32_e32 v27, 7, v18
	v_ffbh_u32_e32 v30, v27
	v_min_u32_e32 v32, 32, v30
	v_subrev_u32_e32 v30, 28, v32
	v_lshlrev_b64 v[30:31], v30, v[18:19]
	v_and_b32_e32 v30, 7, v30
	v_cmp_gt_u32_e32 vcc, 8, v22
	v_lshrrev_b32_e32 v29, 3, v22
	v_sub_u32_e32 v18, 29, v32
	v_cndmask_b32_e32 v22, v27, v30, vcc
	v_mov_b32_e32 v27, 24
	v_cndmask_b32_e32 v18, v29, v18, vcc
	v_lshlrev_b32_sdwa v27, v27, v21 dst_sel:DWORD dst_unused:UNUSED_PAD src0_sel:DWORD src1_sel:WORD_1
	v_bfrev_b32_e32 v29, 60
	v_lshlrev_b32_e32 v22, 20, v22
	v_and_b32_e32 v27, 0x80000000, v27
	v_lshl_add_u32 v18, v18, 23, v29
	v_or3_b32 v27, v27, v18, v22
.LBB509_482:
	s_or_b64 exec, exec, s[22:23]
.LBB509_483:
	s_or_b64 exec, exec, s[20:21]
.LBB509_484:
	s_or_b64 exec, exec, s[10:11]
	s_mov_b32 s10, -1
	s_mov_b32 s11, 0xffffff
	v_cmp_lt_u64_e32 vcc, s[10:11], v[20:21]
	v_mov_b32_e32 v22, 0
	v_mov_b32_e32 v20, 0
	s_and_saveexec_b64 s[10:11], vcc
	s_cbranch_execz .LBB509_490
; %bb.485:
	v_lshrrev_b32_e32 v18, 24, v21
	s_movk_i32 s20, 0x80
	v_cmp_ne_u32_e32 vcc, s20, v18
	v_bfrev_b32_e32 v20, 1
	s_and_saveexec_b64 s[20:21], vcc
	s_cbranch_execz .LBB509_489
; %bb.486:
	v_bfe_u32 v21, v21, 24, 7
	s_movk_i32 s22, 0x7f
	v_cmp_ne_u32_e32 vcc, s22, v21
	v_mov_b32_e32 v20, 0x7f800001
	s_and_saveexec_b64 s[22:23], vcc
	s_cbranch_execz .LBB509_488
; %bb.487:
	v_and_b32_e32 v20, 7, v18
	v_ffbh_u32_e32 v30, v20
	v_min_u32_e32 v32, 32, v30
	v_subrev_u32_e32 v30, 28, v32
	v_lshlrev_b64 v[30:31], v30, v[18:19]
	v_lshrrev_b32_e32 v29, 3, v21
	v_sub_u32_e32 v31, 29, v32
	v_and_b32_e32 v30, 7, v30
	v_cmp_gt_u32_e32 vcc, 8, v21
	v_cndmask_b32_e32 v21, v29, v31, vcc
	v_cndmask_b32_e32 v20, v20, v30, vcc
	v_lshlrev_b32_e32 v18, 24, v18
	v_bfrev_b32_e32 v29, 60
	v_lshlrev_b32_e32 v20, 20, v20
	v_and_b32_e32 v18, 0x80000000, v18
	v_lshl_add_u32 v21, v21, 23, v29
	v_or3_b32 v20, v18, v21, v20
.LBB509_488:
	s_or_b64 exec, exec, s[22:23]
.LBB509_489:
	s_or_b64 exec, exec, s[20:21]
.LBB509_490:
	s_or_b64 exec, exec, s[10:11]
	v_cvt_pkrtz_f16_f32 v24, v24, v25
	v_cvt_pkrtz_f16_f32 v25, v23, v26
	;; [unrolled: 1-line block ×4, first 2 shown]
	v_mfma_f32_4x4x4f16 a[0:3], v[2:3], v[24:25], a[0:3] cbsz:4 abid:9
	v_cmp_ne_u16_sdwa s[20:21], v14, v22 src0_sel:BYTE_0 src1_sel:DWORD
	v_mfma_f32_4x4x4f16 a[0:3], v[4:5], v[18:19], a[0:3] cbsz:4 abid:9
	s_and_saveexec_b64 s[10:11], s[20:21]
	s_cbranch_execz .LBB509_496
; %bb.491:
	s_movk_i32 s20, 0x80
	v_cmp_ne_u16_sdwa s[22:23], v14, s20 src0_sel:BYTE_0 src1_sel:DWORD
	v_bfrev_b32_e32 v22, 1
	s_and_saveexec_b64 s[20:21], s[22:23]
	s_cbranch_execz .LBB509_495
; %bb.492:
	s_movk_i32 s22, 0x7f
	v_and_b32_e32 v18, 0x7f, v14
	v_cmp_ne_u32_e32 vcc, s22, v18
	v_mov_b32_e32 v22, 0x7f800001
	s_and_saveexec_b64 s[22:23], vcc
	s_cbranch_execz .LBB509_494
; %bb.493:
	v_and_b32_e32 v19, 7, v14
	v_ffbh_u32_e32 v19, v19
	v_min_u32_e32 v19, 32, v19
	v_subrev_u32_e32 v21, 28, v19
	v_cmp_gt_u32_e32 vcc, 8, v18
	v_lshrrev_b32_e32 v20, 3, v18
	v_sub_u32_e32 v19, 29, v19
	v_cndmask_b32_e32 v18, 0, v21, vcc
	v_cndmask_b32_e32 v20, v20, v19, vcc
	v_lshlrev_b64 v[18:19], v18, v[14:15]
	v_lshlrev_b32_e32 v18, 20, v18
	v_lshlrev_b32_e32 v19, 24, v14
	v_bfrev_b32_e32 v21, 60
	v_and_b32_e32 v18, 0x700000, v18
	v_and_b32_e32 v19, 0x80000000, v19
	v_lshl_add_u32 v20, v20, 23, v21
	v_or3_b32 v22, v19, v20, v18
.LBB509_494:
	s_or_b64 exec, exec, s[22:23]
.LBB509_495:
	s_or_b64 exec, exec, s[20:21]
.LBB509_496:
	s_or_b64 exec, exec, s[10:11]
	v_lshrrev_b16_e32 v18, 8, v14
	v_cmp_ne_u16_e32 vcc, 0, v18
	v_mov_b32_e32 v21, 0
	v_mov_b32_e32 v23, 0
	s_and_saveexec_b64 s[10:11], vcc
	s_cbranch_execz .LBB509_502
; %bb.497:
	s_movk_i32 s20, 0x80
	v_cmp_ne_u16_e32 vcc, s20, v18
	v_bfrev_b32_e32 v23, 1
	s_and_saveexec_b64 s[20:21], vcc
	s_cbranch_execz .LBB509_501
; %bb.498:
	s_movk_i32 s22, 0x7f
	v_and_b32_e32 v19, 0x7f, v18
	v_cmp_ne_u32_e32 vcc, s22, v19
	v_mov_b32_e32 v23, 0x7f800001
	s_and_saveexec_b64 s[22:23], vcc
	s_cbranch_execz .LBB509_500
; %bb.499:
	v_and_b32_e32 v20, 7, v18
	v_ffbh_u32_e32 v24, v20
	v_min_u32_e32 v26, 32, v24
	v_subrev_u32_e32 v24, 28, v26
	v_lshlrev_b64 v[24:25], v24, v[18:19]
	v_lshrrev_b32_e32 v23, 3, v19
	v_sub_u32_e32 v18, 29, v26
	v_and_b32_e32 v24, 7, v24
	v_cmp_gt_u32_e32 vcc, 8, v19
	v_cndmask_b32_e32 v18, v23, v18, vcc
	v_cndmask_b32_e32 v19, v20, v24, vcc
	v_lshlrev_b32_e32 v20, 16, v14
	v_bfrev_b32_e32 v23, 60
	v_lshlrev_b32_e32 v19, 20, v19
	v_and_b32_e32 v20, 0x80000000, v20
	v_lshl_add_u32 v18, v18, 23, v23
	v_or3_b32 v23, v20, v18, v19
.LBB509_500:
	s_or_b64 exec, exec, s[22:23]
.LBB509_501:
	s_or_b64 exec, exec, s[20:21]
.LBB509_502:
	s_or_b64 exec, exec, s[10:11]
	s_movk_i32 s10, 0xff
	v_and_b32_sdwa v19, v14, s10 dst_sel:DWORD dst_unused:UNUSED_PAD src0_sel:WORD_1 src1_sel:DWORD
	v_lshrrev_b32_e32 v18, 16, v14
	v_cmp_ne_u16_e32 vcc, 0, v19
	s_and_saveexec_b64 s[10:11], vcc
	s_cbranch_execz .LBB509_508
; %bb.503:
	s_movk_i32 s20, 0x80
	v_cmp_ne_u16_e32 vcc, s20, v19
	v_bfrev_b32_e32 v21, 1
	s_and_saveexec_b64 s[20:21], vcc
	s_cbranch_execz .LBB509_507
; %bb.504:
	v_bfe_u32 v19, v14, 16, 7
	s_movk_i32 s22, 0x7f
	v_cmp_ne_u32_e32 vcc, s22, v19
	v_mov_b32_e32 v21, 0x7f800001
	s_and_saveexec_b64 s[22:23], vcc
	s_cbranch_execz .LBB509_506
; %bb.505:
	v_and_b32_e32 v24, 7, v18
	v_ffbh_u32_e32 v20, v24
	v_min_u32_e32 v26, 32, v20
	v_subrev_u32_e32 v20, 28, v26
	v_lshlrev_b64 v[20:21], v20, v[18:19]
	v_and_b32_e32 v20, 7, v20
	v_cmp_gt_u32_e32 vcc, 8, v19
	v_lshrrev_b32_e32 v25, 3, v19
	v_sub_u32_e32 v18, 29, v26
	v_cndmask_b32_e32 v19, v24, v20, vcc
	v_mov_b32_e32 v20, 24
	v_cndmask_b32_e32 v18, v25, v18, vcc
	v_lshlrev_b32_sdwa v20, v20, v14 dst_sel:DWORD dst_unused:UNUSED_PAD src0_sel:DWORD src1_sel:WORD_1
	v_bfrev_b32_e32 v21, 60
	v_lshlrev_b32_e32 v19, 20, v19
	v_and_b32_e32 v20, 0x80000000, v20
	v_lshl_add_u32 v18, v18, 23, v21
	v_or3_b32 v21, v20, v18, v19
.LBB509_506:
	s_or_b64 exec, exec, s[22:23]
.LBB509_507:
	s_or_b64 exec, exec, s[20:21]
.LBB509_508:
	s_or_b64 exec, exec, s[10:11]
	s_mov_b32 s10, 0xffffff
	v_cmp_lt_u32_e32 vcc, s10, v14
	v_mov_b32_e32 v19, 0
	v_mov_b32_e32 v24, 0
	s_and_saveexec_b64 s[10:11], vcc
	s_cbranch_execz .LBB509_514
; %bb.509:
	v_lshrrev_b32_e32 v18, 24, v14
	s_movk_i32 s20, 0x80
	v_cmp_ne_u32_e32 vcc, s20, v18
	v_bfrev_b32_e32 v24, 1
	s_and_saveexec_b64 s[20:21], vcc
	s_cbranch_execz .LBB509_513
; %bb.510:
	v_bfe_u32 v20, v14, 24, 7
	s_movk_i32 s22, 0x7f
	v_cmp_ne_u32_e32 vcc, s22, v20
	v_mov_b32_e32 v24, 0x7f800001
	s_and_saveexec_b64 s[22:23], vcc
	s_cbranch_execz .LBB509_512
; %bb.511:
	v_and_b32_e32 v26, 7, v18
	v_ffbh_u32_e32 v24, v26
	v_min_u32_e32 v28, 32, v24
	v_subrev_u32_e32 v24, 28, v28
	v_lshlrev_b64 v[24:25], v24, v[18:19]
	v_lshrrev_b32_e32 v27, 3, v20
	v_sub_u32_e32 v25, 29, v28
	v_and_b32_e32 v24, 7, v24
	v_cmp_gt_u32_e32 vcc, 8, v20
	v_cndmask_b32_e32 v20, v27, v25, vcc
	v_cndmask_b32_e32 v24, v26, v24, vcc
	v_lshlrev_b32_e32 v18, 24, v18
	v_bfrev_b32_e32 v25, 60
	v_lshlrev_b32_e32 v24, 20, v24
	v_and_b32_e32 v18, 0x80000000, v18
	v_lshl_add_u32 v20, v20, 23, v25
	v_or3_b32 v24, v18, v20, v24
.LBB509_512:
	s_or_b64 exec, exec, s[22:23]
.LBB509_513:
	s_or_b64 exec, exec, s[20:21]
.LBB509_514:
	s_or_b64 exec, exec, s[10:11]
	v_mov_b32_e32 v18, v15
	v_cmp_ne_u16_sdwa s[20:21], v15, v19 src0_sel:BYTE_0 src1_sel:DWORD
	s_and_saveexec_b64 s[10:11], s[20:21]
	s_cbranch_execz .LBB509_520
; %bb.515:
	s_movk_i32 s20, 0x80
	v_cmp_ne_u16_sdwa s[22:23], v15, s20 src0_sel:BYTE_0 src1_sel:DWORD
	v_bfrev_b32_e32 v20, 1
	s_and_saveexec_b64 s[20:21], s[22:23]
	s_cbranch_execz .LBB509_519
; %bb.516:
	s_movk_i32 s22, 0x7f
	v_and_b32_e32 v25, 0x7f, v15
	v_cmp_ne_u32_e32 vcc, s22, v25
	v_mov_b32_e32 v20, 0x7f800001
	s_and_saveexec_b64 s[22:23], vcc
	s_cbranch_execz .LBB509_518
; %bb.517:
	v_and_b32_e32 v20, 7, v15
	v_ffbh_u32_e32 v20, v20
	v_min_u32_e32 v20, 32, v20
	v_subrev_u32_e32 v27, 28, v20
	v_cmp_gt_u32_e32 vcc, 8, v25
	v_lshrrev_b32_e32 v26, 3, v25
	v_sub_u32_e32 v20, 29, v20
	v_cndmask_b32_e32 v25, 0, v27, vcc
	v_cndmask_b32_e32 v20, v26, v20, vcc
	v_lshlrev_b64 v[26:27], v25, v[18:19]
	v_lshlrev_b32_e32 v19, 20, v26
	v_lshlrev_b32_e32 v25, 24, v18
	v_bfrev_b32_e32 v26, 60
	v_and_b32_e32 v19, 0x700000, v19
	v_and_b32_e32 v25, 0x80000000, v25
	v_lshl_add_u32 v20, v20, 23, v26
	v_or3_b32 v20, v25, v20, v19
.LBB509_518:
	s_or_b64 exec, exec, s[22:23]
.LBB509_519:
	s_or_b64 exec, exec, s[20:21]
	v_mov_b32_e32 v19, v20
.LBB509_520:
	s_or_b64 exec, exec, s[10:11]
	v_lshrrev_b16_e32 v20, 8, v18
	v_cmp_ne_u16_e32 vcc, 0, v20
	v_mov_b32_e32 v25, 0
	v_mov_b32_e32 v26, 0
	s_and_saveexec_b64 s[10:11], vcc
	s_cbranch_execz .LBB509_526
; %bb.521:
	s_movk_i32 s20, 0x80
	v_cmp_ne_u16_e32 vcc, s20, v20
	v_bfrev_b32_e32 v26, 1
	s_and_saveexec_b64 s[20:21], vcc
	s_cbranch_execz .LBB509_525
; %bb.522:
	s_movk_i32 s22, 0x7f
	v_and_b32_e32 v27, 0x7f, v20
	v_cmp_ne_u32_e32 vcc, s22, v27
	v_mov_b32_e32 v26, 0x7f800001
	s_and_saveexec_b64 s[22:23], vcc
	s_cbranch_execz .LBB509_524
; %bb.523:
	v_and_b32_e32 v26, 7, v20
	v_ffbh_u32_e32 v28, v26
	v_min_u32_e32 v31, 32, v28
	v_subrev_u32_e32 v28, 28, v31
	v_lshlrev_b64 v[28:29], v28, v[20:21]
	v_lshrrev_b32_e32 v30, 3, v27
	v_sub_u32_e32 v20, 29, v31
	v_and_b32_e32 v28, 7, v28
	v_cmp_gt_u32_e32 vcc, 8, v27
	v_cndmask_b32_e32 v20, v30, v20, vcc
	v_cndmask_b32_e32 v26, v26, v28, vcc
	v_lshlrev_b32_e32 v18, 16, v18
	v_bfrev_b32_e32 v27, 60
	v_lshlrev_b32_e32 v26, 20, v26
	v_and_b32_e32 v18, 0x80000000, v18
	v_lshl_add_u32 v20, v20, 23, v27
	v_or3_b32 v26, v18, v20, v26
.LBB509_524:
	s_or_b64 exec, exec, s[22:23]
.LBB509_525:
	s_or_b64 exec, exec, s[20:21]
.LBB509_526:
	s_or_b64 exec, exec, s[10:11]
	s_movk_i32 s10, 0xff
	v_and_b32_sdwa v20, v15, s10 dst_sel:DWORD dst_unused:UNUSED_PAD src0_sel:WORD_1 src1_sel:DWORD
	v_lshrrev_b32_e32 v18, 16, v15
	v_cmp_ne_u16_e32 vcc, 0, v20
	s_and_saveexec_b64 s[10:11], vcc
	s_cbranch_execz .LBB509_532
; %bb.527:
	s_movk_i32 s20, 0x80
	v_cmp_ne_u16_e32 vcc, s20, v20
	v_bfrev_b32_e32 v25, 1
	s_and_saveexec_b64 s[20:21], vcc
	s_cbranch_execz .LBB509_531
; %bb.528:
	v_bfe_u32 v20, v15, 16, 7
	s_movk_i32 s22, 0x7f
	v_cmp_ne_u32_e32 vcc, s22, v20
	v_mov_b32_e32 v25, 0x7f800001
	s_and_saveexec_b64 s[22:23], vcc
	s_cbranch_execz .LBB509_530
; %bb.529:
	v_and_b32_e32 v25, 7, v18
	v_ffbh_u32_e32 v28, v25
	v_min_u32_e32 v30, 32, v28
	v_subrev_u32_e32 v28, 28, v30
	v_lshlrev_b64 v[28:29], v28, v[18:19]
	v_and_b32_e32 v28, 7, v28
	v_cmp_gt_u32_e32 vcc, 8, v20
	v_lshrrev_b32_e32 v27, 3, v20
	v_sub_u32_e32 v18, 29, v30
	v_cndmask_b32_e32 v20, v25, v28, vcc
	v_mov_b32_e32 v25, 24
	v_cndmask_b32_e32 v18, v27, v18, vcc
	v_lshlrev_b32_sdwa v25, v25, v15 dst_sel:DWORD dst_unused:UNUSED_PAD src0_sel:DWORD src1_sel:WORD_1
	v_bfrev_b32_e32 v27, 60
	v_lshlrev_b32_e32 v20, 20, v20
	v_and_b32_e32 v25, 0x80000000, v25
	v_lshl_add_u32 v18, v18, 23, v27
	v_or3_b32 v25, v25, v18, v20
.LBB509_530:
	s_or_b64 exec, exec, s[22:23]
.LBB509_531:
	s_or_b64 exec, exec, s[20:21]
.LBB509_532:
	s_or_b64 exec, exec, s[10:11]
	s_mov_b32 s10, -1
	s_mov_b32 s11, 0xffffff
	v_cmp_lt_u64_e32 vcc, s[10:11], v[14:15]
	v_mov_b32_e32 v20, 0
	v_mov_b32_e32 v18, 0
	s_and_saveexec_b64 s[10:11], vcc
	s_cbranch_execz .LBB509_538
; %bb.533:
	v_lshrrev_b32_e32 v14, 24, v15
	s_movk_i32 s20, 0x80
	v_cmp_ne_u32_e32 vcc, s20, v14
	v_bfrev_b32_e32 v18, 1
	s_and_saveexec_b64 s[20:21], vcc
	s_cbranch_execz .LBB509_537
; %bb.534:
	v_bfe_u32 v15, v15, 24, 7
	s_movk_i32 s22, 0x7f
	v_cmp_ne_u32_e32 vcc, s22, v15
	v_mov_b32_e32 v18, 0x7f800001
	s_and_saveexec_b64 s[22:23], vcc
	s_cbranch_execz .LBB509_536
; %bb.535:
	v_and_b32_e32 v18, 7, v14
	v_ffbh_u32_e32 v28, v18
	v_min_u32_e32 v30, 32, v28
	v_subrev_u32_e32 v28, 28, v30
	v_lshlrev_b64 v[28:29], v28, v[14:15]
	v_lshrrev_b32_e32 v27, 3, v15
	v_sub_u32_e32 v29, 29, v30
	v_and_b32_e32 v28, 7, v28
	v_cmp_gt_u32_e32 vcc, 8, v15
	v_cndmask_b32_e32 v15, v27, v29, vcc
	v_cndmask_b32_e32 v18, v18, v28, vcc
	v_lshlrev_b32_e32 v14, 24, v14
	v_bfrev_b32_e32 v27, 60
	v_lshlrev_b32_e32 v18, 20, v18
	v_and_b32_e32 v14, 0x80000000, v14
	v_lshl_add_u32 v15, v15, 23, v27
	v_or3_b32 v18, v14, v15, v18
.LBB509_536:
	s_or_b64 exec, exec, s[22:23]
.LBB509_537:
	s_or_b64 exec, exec, s[20:21]
.LBB509_538:
	s_or_b64 exec, exec, s[10:11]
	v_cvt_pkrtz_f16_f32 v14, v22, v23
	v_cvt_pkrtz_f16_f32 v15, v21, v24
	;; [unrolled: 1-line block ×4, first 2 shown]
	v_mfma_f32_4x4x4f16 a[0:3], v[2:3], v[14:15], a[0:3] cbsz:4 abid:10
	v_cmp_ne_u16_sdwa s[20:21], v16, v20 src0_sel:BYTE_0 src1_sel:DWORD
	v_mfma_f32_4x4x4f16 a[0:3], v[4:5], v[22:23], a[0:3] cbsz:4 abid:10
	s_and_saveexec_b64 s[10:11], s[20:21]
	s_cbranch_execz .LBB509_544
; %bb.539:
	s_movk_i32 s20, 0x80
	v_cmp_ne_u16_sdwa s[22:23], v16, s20 src0_sel:BYTE_0 src1_sel:DWORD
	v_bfrev_b32_e32 v20, 1
	s_and_saveexec_b64 s[20:21], s[22:23]
	s_cbranch_execz .LBB509_543
; %bb.540:
	s_movk_i32 s22, 0x7f
	v_and_b32_e32 v14, 0x7f, v16
	v_cmp_ne_u32_e32 vcc, s22, v14
	v_mov_b32_e32 v20, 0x7f800001
	s_and_saveexec_b64 s[22:23], vcc
	s_cbranch_execz .LBB509_542
; %bb.541:
	v_and_b32_e32 v15, 7, v16
	v_ffbh_u32_e32 v15, v15
	v_min_u32_e32 v15, 32, v15
	v_subrev_u32_e32 v19, 28, v15
	v_cmp_gt_u32_e32 vcc, 8, v14
	v_lshrrev_b32_e32 v18, 3, v14
	v_sub_u32_e32 v15, 29, v15
	v_cndmask_b32_e32 v14, 0, v19, vcc
	v_cndmask_b32_e32 v18, v18, v15, vcc
	v_lshlrev_b64 v[14:15], v14, v[16:17]
	v_lshlrev_b32_e32 v14, 20, v14
	v_lshlrev_b32_e32 v15, 24, v16
	v_bfrev_b32_e32 v19, 60
	v_and_b32_e32 v14, 0x700000, v14
	v_and_b32_e32 v15, 0x80000000, v15
	v_lshl_add_u32 v18, v18, 23, v19
	v_or3_b32 v20, v15, v18, v14
.LBB509_542:
	s_or_b64 exec, exec, s[22:23]
.LBB509_543:
	s_or_b64 exec, exec, s[20:21]
.LBB509_544:
	s_or_b64 exec, exec, s[10:11]
	v_lshrrev_b16_e32 v14, 8, v16
	v_cmp_ne_u16_e32 vcc, 0, v14
	v_mov_b32_e32 v19, 0
	v_mov_b32_e32 v21, 0
	s_and_saveexec_b64 s[10:11], vcc
	s_cbranch_execz .LBB509_550
; %bb.545:
	s_movk_i32 s20, 0x80
	v_cmp_ne_u16_e32 vcc, s20, v14
	v_bfrev_b32_e32 v21, 1
	s_and_saveexec_b64 s[20:21], vcc
	s_cbranch_execz .LBB509_549
; %bb.546:
	s_movk_i32 s22, 0x7f
	v_and_b32_e32 v15, 0x7f, v14
	v_cmp_ne_u32_e32 vcc, s22, v15
	v_mov_b32_e32 v21, 0x7f800001
	s_and_saveexec_b64 s[22:23], vcc
	s_cbranch_execz .LBB509_548
; %bb.547:
	v_and_b32_e32 v18, 7, v14
	v_ffbh_u32_e32 v22, v18
	v_min_u32_e32 v24, 32, v22
	v_subrev_u32_e32 v22, 28, v24
	v_lshlrev_b64 v[22:23], v22, v[14:15]
	v_lshrrev_b32_e32 v21, 3, v15
	v_sub_u32_e32 v14, 29, v24
	v_and_b32_e32 v22, 7, v22
	v_cmp_gt_u32_e32 vcc, 8, v15
	v_cndmask_b32_e32 v14, v21, v14, vcc
	v_cndmask_b32_e32 v15, v18, v22, vcc
	v_lshlrev_b32_e32 v18, 16, v16
	v_bfrev_b32_e32 v21, 60
	v_lshlrev_b32_e32 v15, 20, v15
	v_and_b32_e32 v18, 0x80000000, v18
	v_lshl_add_u32 v14, v14, 23, v21
	v_or3_b32 v21, v18, v14, v15
.LBB509_548:
	s_or_b64 exec, exec, s[22:23]
.LBB509_549:
	s_or_b64 exec, exec, s[20:21]
.LBB509_550:
	s_or_b64 exec, exec, s[10:11]
	s_movk_i32 s10, 0xff
	v_and_b32_sdwa v15, v16, s10 dst_sel:DWORD dst_unused:UNUSED_PAD src0_sel:WORD_1 src1_sel:DWORD
	v_lshrrev_b32_e32 v14, 16, v16
	v_cmp_ne_u16_e32 vcc, 0, v15
	s_and_saveexec_b64 s[10:11], vcc
	s_cbranch_execz .LBB509_556
; %bb.551:
	s_movk_i32 s20, 0x80
	v_cmp_ne_u16_e32 vcc, s20, v15
	v_bfrev_b32_e32 v19, 1
	s_and_saveexec_b64 s[20:21], vcc
	s_cbranch_execz .LBB509_555
; %bb.552:
	v_bfe_u32 v15, v16, 16, 7
	s_movk_i32 s22, 0x7f
	v_cmp_ne_u32_e32 vcc, s22, v15
	v_mov_b32_e32 v19, 0x7f800001
	s_and_saveexec_b64 s[22:23], vcc
	s_cbranch_execz .LBB509_554
; %bb.553:
	v_and_b32_e32 v22, 7, v14
	v_ffbh_u32_e32 v18, v22
	v_min_u32_e32 v24, 32, v18
	v_subrev_u32_e32 v18, 28, v24
	v_lshlrev_b64 v[18:19], v18, v[14:15]
	v_and_b32_e32 v18, 7, v18
	v_cmp_gt_u32_e32 vcc, 8, v15
	v_lshrrev_b32_e32 v23, 3, v15
	v_sub_u32_e32 v14, 29, v24
	v_cndmask_b32_e32 v15, v22, v18, vcc
	v_mov_b32_e32 v18, 24
	v_cndmask_b32_e32 v14, v23, v14, vcc
	v_lshlrev_b32_sdwa v18, v18, v16 dst_sel:DWORD dst_unused:UNUSED_PAD src0_sel:DWORD src1_sel:WORD_1
	v_bfrev_b32_e32 v19, 60
	v_lshlrev_b32_e32 v15, 20, v15
	v_and_b32_e32 v18, 0x80000000, v18
	v_lshl_add_u32 v14, v14, 23, v19
	v_or3_b32 v19, v18, v14, v15
.LBB509_554:
	s_or_b64 exec, exec, s[22:23]
.LBB509_555:
	s_or_b64 exec, exec, s[20:21]
.LBB509_556:
	s_or_b64 exec, exec, s[10:11]
	s_mov_b32 s10, 0xffffff
	v_cmp_lt_u32_e32 vcc, s10, v16
	v_mov_b32_e32 v15, 0
	v_mov_b32_e32 v22, 0
	s_and_saveexec_b64 s[10:11], vcc
	s_cbranch_execz .LBB509_562
; %bb.557:
	v_lshrrev_b32_e32 v14, 24, v16
	s_movk_i32 s20, 0x80
	v_cmp_ne_u32_e32 vcc, s20, v14
	v_bfrev_b32_e32 v22, 1
	s_and_saveexec_b64 s[20:21], vcc
	s_cbranch_execz .LBB509_561
; %bb.558:
	v_bfe_u32 v18, v16, 24, 7
	s_movk_i32 s22, 0x7f
	v_cmp_ne_u32_e32 vcc, s22, v18
	v_mov_b32_e32 v22, 0x7f800001
	s_and_saveexec_b64 s[22:23], vcc
	s_cbranch_execz .LBB509_560
; %bb.559:
	v_and_b32_e32 v24, 7, v14
	v_ffbh_u32_e32 v22, v24
	v_min_u32_e32 v26, 32, v22
	v_subrev_u32_e32 v22, 28, v26
	v_lshlrev_b64 v[22:23], v22, v[14:15]
	v_lshrrev_b32_e32 v25, 3, v18
	v_sub_u32_e32 v23, 29, v26
	v_and_b32_e32 v22, 7, v22
	v_cmp_gt_u32_e32 vcc, 8, v18
	v_cndmask_b32_e32 v18, v25, v23, vcc
	v_cndmask_b32_e32 v22, v24, v22, vcc
	v_lshlrev_b32_e32 v14, 24, v14
	v_bfrev_b32_e32 v23, 60
	v_lshlrev_b32_e32 v22, 20, v22
	v_and_b32_e32 v14, 0x80000000, v14
	v_lshl_add_u32 v18, v18, 23, v23
	v_or3_b32 v22, v14, v18, v22
.LBB509_560:
	s_or_b64 exec, exec, s[22:23]
.LBB509_561:
	s_or_b64 exec, exec, s[20:21]
.LBB509_562:
	s_or_b64 exec, exec, s[10:11]
	v_mov_b32_e32 v14, v17
	v_cmp_ne_u16_sdwa s[20:21], v17, v15 src0_sel:BYTE_0 src1_sel:DWORD
	s_and_saveexec_b64 s[10:11], s[20:21]
	s_cbranch_execz .LBB509_568
; %bb.563:
	s_movk_i32 s20, 0x80
	v_cmp_ne_u16_sdwa s[22:23], v17, s20 src0_sel:BYTE_0 src1_sel:DWORD
	v_bfrev_b32_e32 v18, 1
	s_and_saveexec_b64 s[20:21], s[22:23]
	s_cbranch_execz .LBB509_567
; %bb.564:
	s_movk_i32 s22, 0x7f
	v_and_b32_e32 v23, 0x7f, v17
	v_cmp_ne_u32_e32 vcc, s22, v23
	v_mov_b32_e32 v18, 0x7f800001
	s_and_saveexec_b64 s[22:23], vcc
	s_cbranch_execz .LBB509_566
; %bb.565:
	v_and_b32_e32 v18, 7, v17
	v_ffbh_u32_e32 v18, v18
	v_min_u32_e32 v18, 32, v18
	v_subrev_u32_e32 v25, 28, v18
	v_cmp_gt_u32_e32 vcc, 8, v23
	v_lshrrev_b32_e32 v24, 3, v23
	v_sub_u32_e32 v18, 29, v18
	v_cndmask_b32_e32 v23, 0, v25, vcc
	v_cndmask_b32_e32 v18, v24, v18, vcc
	v_lshlrev_b64 v[24:25], v23, v[14:15]
	v_lshlrev_b32_e32 v15, 20, v24
	v_lshlrev_b32_e32 v23, 24, v14
	v_bfrev_b32_e32 v24, 60
	v_and_b32_e32 v15, 0x700000, v15
	v_and_b32_e32 v23, 0x80000000, v23
	v_lshl_add_u32 v18, v18, 23, v24
	v_or3_b32 v18, v23, v18, v15
.LBB509_566:
	s_or_b64 exec, exec, s[22:23]
.LBB509_567:
	s_or_b64 exec, exec, s[20:21]
	v_mov_b32_e32 v15, v18
.LBB509_568:
	s_or_b64 exec, exec, s[10:11]
	v_lshrrev_b16_e32 v18, 8, v14
	v_cmp_ne_u16_e32 vcc, 0, v18
	v_mov_b32_e32 v23, 0
	v_mov_b32_e32 v24, 0
	s_and_saveexec_b64 s[10:11], vcc
	s_cbranch_execz .LBB509_574
; %bb.569:
	s_movk_i32 s20, 0x80
	v_cmp_ne_u16_e32 vcc, s20, v18
	v_bfrev_b32_e32 v24, 1
	s_and_saveexec_b64 s[20:21], vcc
	s_cbranch_execz .LBB509_573
; %bb.570:
	s_movk_i32 s22, 0x7f
	v_and_b32_e32 v25, 0x7f, v18
	v_cmp_ne_u32_e32 vcc, s22, v25
	v_mov_b32_e32 v24, 0x7f800001
	s_and_saveexec_b64 s[22:23], vcc
	s_cbranch_execz .LBB509_572
; %bb.571:
	v_and_b32_e32 v24, 7, v18
	v_ffbh_u32_e32 v26, v24
	v_min_u32_e32 v29, 32, v26
	v_subrev_u32_e32 v26, 28, v29
	v_lshlrev_b64 v[26:27], v26, v[18:19]
	v_lshrrev_b32_e32 v28, 3, v25
	v_sub_u32_e32 v18, 29, v29
	v_and_b32_e32 v26, 7, v26
	v_cmp_gt_u32_e32 vcc, 8, v25
	v_cndmask_b32_e32 v18, v28, v18, vcc
	v_cndmask_b32_e32 v24, v24, v26, vcc
	v_lshlrev_b32_e32 v14, 16, v14
	v_bfrev_b32_e32 v25, 60
	v_lshlrev_b32_e32 v24, 20, v24
	v_and_b32_e32 v14, 0x80000000, v14
	v_lshl_add_u32 v18, v18, 23, v25
	v_or3_b32 v24, v14, v18, v24
.LBB509_572:
	s_or_b64 exec, exec, s[22:23]
.LBB509_573:
	s_or_b64 exec, exec, s[20:21]
.LBB509_574:
	s_or_b64 exec, exec, s[10:11]
	s_movk_i32 s10, 0xff
	v_and_b32_sdwa v18, v17, s10 dst_sel:DWORD dst_unused:UNUSED_PAD src0_sel:WORD_1 src1_sel:DWORD
	v_lshrrev_b32_e32 v14, 16, v17
	v_cmp_ne_u16_e32 vcc, 0, v18
	s_and_saveexec_b64 s[10:11], vcc
	s_cbranch_execz .LBB509_580
; %bb.575:
	s_movk_i32 s20, 0x80
	v_cmp_ne_u16_e32 vcc, s20, v18
	v_bfrev_b32_e32 v23, 1
	s_and_saveexec_b64 s[20:21], vcc
	s_cbranch_execz .LBB509_579
; %bb.576:
	v_bfe_u32 v18, v17, 16, 7
	s_movk_i32 s22, 0x7f
	v_cmp_ne_u32_e32 vcc, s22, v18
	v_mov_b32_e32 v23, 0x7f800001
	s_and_saveexec_b64 s[22:23], vcc
	s_cbranch_execz .LBB509_578
; %bb.577:
	v_and_b32_e32 v23, 7, v14
	v_ffbh_u32_e32 v26, v23
	v_min_u32_e32 v28, 32, v26
	v_subrev_u32_e32 v26, 28, v28
	v_lshlrev_b64 v[26:27], v26, v[14:15]
	v_and_b32_e32 v26, 7, v26
	v_cmp_gt_u32_e32 vcc, 8, v18
	v_lshrrev_b32_e32 v25, 3, v18
	v_sub_u32_e32 v14, 29, v28
	v_cndmask_b32_e32 v18, v23, v26, vcc
	v_mov_b32_e32 v23, 24
	v_cndmask_b32_e32 v14, v25, v14, vcc
	v_lshlrev_b32_sdwa v23, v23, v17 dst_sel:DWORD dst_unused:UNUSED_PAD src0_sel:DWORD src1_sel:WORD_1
	v_bfrev_b32_e32 v25, 60
	v_lshlrev_b32_e32 v18, 20, v18
	v_and_b32_e32 v23, 0x80000000, v23
	v_lshl_add_u32 v14, v14, 23, v25
	v_or3_b32 v23, v23, v14, v18
.LBB509_578:
	s_or_b64 exec, exec, s[22:23]
.LBB509_579:
	s_or_b64 exec, exec, s[20:21]
.LBB509_580:
	s_or_b64 exec, exec, s[10:11]
	s_mov_b32 s10, -1
	s_mov_b32 s11, 0xffffff
	v_cmp_lt_u64_e32 vcc, s[10:11], v[16:17]
	v_mov_b32_e32 v18, 0
	v_mov_b32_e32 v16, 0
	s_and_saveexec_b64 s[10:11], vcc
	s_cbranch_execz .LBB509_586
; %bb.581:
	v_lshrrev_b32_e32 v14, 24, v17
	s_movk_i32 s20, 0x80
	v_cmp_ne_u32_e32 vcc, s20, v14
	v_bfrev_b32_e32 v16, 1
	s_and_saveexec_b64 s[20:21], vcc
	s_cbranch_execz .LBB509_585
; %bb.582:
	v_bfe_u32 v17, v17, 24, 7
	s_movk_i32 s22, 0x7f
	v_cmp_ne_u32_e32 vcc, s22, v17
	v_mov_b32_e32 v16, 0x7f800001
	s_and_saveexec_b64 s[22:23], vcc
	s_cbranch_execz .LBB509_584
; %bb.583:
	v_and_b32_e32 v16, 7, v14
	v_ffbh_u32_e32 v26, v16
	v_min_u32_e32 v28, 32, v26
	v_subrev_u32_e32 v26, 28, v28
	v_lshlrev_b64 v[26:27], v26, v[14:15]
	v_lshrrev_b32_e32 v25, 3, v17
	v_sub_u32_e32 v27, 29, v28
	v_and_b32_e32 v26, 7, v26
	v_cmp_gt_u32_e32 vcc, 8, v17
	v_cndmask_b32_e32 v17, v25, v27, vcc
	v_cndmask_b32_e32 v16, v16, v26, vcc
	v_lshlrev_b32_e32 v14, 24, v14
	v_bfrev_b32_e32 v25, 60
	v_lshlrev_b32_e32 v16, 20, v16
	v_and_b32_e32 v14, 0x80000000, v14
	v_lshl_add_u32 v17, v17, 23, v25
	v_or3_b32 v16, v14, v17, v16
.LBB509_584:
	s_or_b64 exec, exec, s[22:23]
.LBB509_585:
	s_or_b64 exec, exec, s[20:21]
.LBB509_586:
	s_or_b64 exec, exec, s[10:11]
	v_cvt_pkrtz_f16_f32 v20, v20, v21
	v_cvt_pkrtz_f16_f32 v21, v19, v22
	;; [unrolled: 1-line block ×4, first 2 shown]
	v_mfma_f32_4x4x4f16 a[0:3], v[2:3], v[20:21], a[0:3] cbsz:4 abid:11
	s_waitcnt vmcnt(17)
	v_cmp_ne_u16_sdwa s[20:21], v10, v18 src0_sel:BYTE_0 src1_sel:DWORD
	v_mfma_f32_4x4x4f16 a[0:3], v[4:5], v[14:15], a[0:3] cbsz:4 abid:11
	s_and_saveexec_b64 s[10:11], s[20:21]
	s_cbranch_execz .LBB509_592
; %bb.587:
	s_movk_i32 s20, 0x80
	v_cmp_ne_u16_sdwa s[22:23], v10, s20 src0_sel:BYTE_0 src1_sel:DWORD
	v_bfrev_b32_e32 v18, 1
	s_and_saveexec_b64 s[20:21], s[22:23]
	s_cbranch_execz .LBB509_591
; %bb.588:
	s_movk_i32 s22, 0x7f
	v_and_b32_e32 v14, 0x7f, v10
	v_cmp_ne_u32_e32 vcc, s22, v14
	v_mov_b32_e32 v18, 0x7f800001
	s_and_saveexec_b64 s[22:23], vcc
	s_cbranch_execz .LBB509_590
; %bb.589:
	v_and_b32_e32 v15, 7, v10
	v_ffbh_u32_e32 v15, v15
	v_min_u32_e32 v15, 32, v15
	v_subrev_u32_e32 v17, 28, v15
	v_cmp_gt_u32_e32 vcc, 8, v14
	v_lshrrev_b32_e32 v16, 3, v14
	v_sub_u32_e32 v15, 29, v15
	v_cndmask_b32_e32 v14, 0, v17, vcc
	v_cndmask_b32_e32 v16, v16, v15, vcc
	v_lshlrev_b64 v[14:15], v14, v[10:11]
	v_lshlrev_b32_e32 v14, 20, v14
	v_lshlrev_b32_e32 v15, 24, v10
	v_bfrev_b32_e32 v17, 60
	v_and_b32_e32 v14, 0x700000, v14
	v_and_b32_e32 v15, 0x80000000, v15
	v_lshl_add_u32 v16, v16, 23, v17
	v_or3_b32 v18, v15, v16, v14
.LBB509_590:
	s_or_b64 exec, exec, s[22:23]
.LBB509_591:
	s_or_b64 exec, exec, s[20:21]
.LBB509_592:
	s_or_b64 exec, exec, s[10:11]
	v_lshrrev_b16_e32 v14, 8, v10
	v_cmp_ne_u16_e32 vcc, 0, v14
	v_mov_b32_e32 v17, 0
	v_mov_b32_e32 v19, 0
	s_and_saveexec_b64 s[10:11], vcc
	s_cbranch_execz .LBB509_598
; %bb.593:
	s_movk_i32 s20, 0x80
	v_cmp_ne_u16_e32 vcc, s20, v14
	v_bfrev_b32_e32 v19, 1
	s_and_saveexec_b64 s[20:21], vcc
	s_cbranch_execz .LBB509_597
; %bb.594:
	s_movk_i32 s22, 0x7f
	v_and_b32_e32 v15, 0x7f, v14
	v_cmp_ne_u32_e32 vcc, s22, v15
	v_mov_b32_e32 v19, 0x7f800001
	s_and_saveexec_b64 s[22:23], vcc
	s_cbranch_execz .LBB509_596
; %bb.595:
	v_and_b32_e32 v16, 7, v14
	v_ffbh_u32_e32 v20, v16
	v_min_u32_e32 v22, 32, v20
	v_subrev_u32_e32 v20, 28, v22
	v_lshlrev_b64 v[20:21], v20, v[14:15]
	v_lshrrev_b32_e32 v19, 3, v15
	v_sub_u32_e32 v14, 29, v22
	v_and_b32_e32 v20, 7, v20
	v_cmp_gt_u32_e32 vcc, 8, v15
	v_cndmask_b32_e32 v14, v19, v14, vcc
	v_cndmask_b32_e32 v15, v16, v20, vcc
	v_lshlrev_b32_e32 v16, 16, v10
	v_bfrev_b32_e32 v19, 60
	v_lshlrev_b32_e32 v15, 20, v15
	v_and_b32_e32 v16, 0x80000000, v16
	v_lshl_add_u32 v14, v14, 23, v19
	v_or3_b32 v19, v16, v14, v15
.LBB509_596:
	s_or_b64 exec, exec, s[22:23]
.LBB509_597:
	s_or_b64 exec, exec, s[20:21]
.LBB509_598:
	s_or_b64 exec, exec, s[10:11]
	s_movk_i32 s10, 0xff
	v_and_b32_sdwa v15, v10, s10 dst_sel:DWORD dst_unused:UNUSED_PAD src0_sel:WORD_1 src1_sel:DWORD
	v_lshrrev_b32_e32 v14, 16, v10
	v_cmp_ne_u16_e32 vcc, 0, v15
	s_and_saveexec_b64 s[10:11], vcc
	s_cbranch_execz .LBB509_604
; %bb.599:
	s_movk_i32 s20, 0x80
	v_cmp_ne_u16_e32 vcc, s20, v15
	v_bfrev_b32_e32 v17, 1
	s_and_saveexec_b64 s[20:21], vcc
	s_cbranch_execz .LBB509_603
; %bb.600:
	v_bfe_u32 v15, v10, 16, 7
	s_movk_i32 s22, 0x7f
	v_cmp_ne_u32_e32 vcc, s22, v15
	v_mov_b32_e32 v17, 0x7f800001
	s_and_saveexec_b64 s[22:23], vcc
	s_cbranch_execz .LBB509_602
; %bb.601:
	v_and_b32_e32 v20, 7, v14
	v_ffbh_u32_e32 v16, v20
	v_min_u32_e32 v22, 32, v16
	v_subrev_u32_e32 v16, 28, v22
	v_lshlrev_b64 v[16:17], v16, v[14:15]
	v_and_b32_e32 v16, 7, v16
	v_cmp_gt_u32_e32 vcc, 8, v15
	v_lshrrev_b32_e32 v21, 3, v15
	v_sub_u32_e32 v14, 29, v22
	v_cndmask_b32_e32 v15, v20, v16, vcc
	v_mov_b32_e32 v16, 24
	v_cndmask_b32_e32 v14, v21, v14, vcc
	v_lshlrev_b32_sdwa v16, v16, v10 dst_sel:DWORD dst_unused:UNUSED_PAD src0_sel:DWORD src1_sel:WORD_1
	v_bfrev_b32_e32 v17, 60
	v_lshlrev_b32_e32 v15, 20, v15
	v_and_b32_e32 v16, 0x80000000, v16
	v_lshl_add_u32 v14, v14, 23, v17
	v_or3_b32 v17, v16, v14, v15
.LBB509_602:
	s_or_b64 exec, exec, s[22:23]
.LBB509_603:
	s_or_b64 exec, exec, s[20:21]
.LBB509_604:
	s_or_b64 exec, exec, s[10:11]
	s_mov_b32 s10, 0xffffff
	v_cmp_lt_u32_e32 vcc, s10, v10
	v_mov_b32_e32 v15, 0
	v_mov_b32_e32 v20, 0
	s_and_saveexec_b64 s[10:11], vcc
	s_cbranch_execz .LBB509_610
; %bb.605:
	v_lshrrev_b32_e32 v14, 24, v10
	s_movk_i32 s20, 0x80
	v_cmp_ne_u32_e32 vcc, s20, v14
	v_bfrev_b32_e32 v20, 1
	s_and_saveexec_b64 s[20:21], vcc
	s_cbranch_execz .LBB509_609
; %bb.606:
	v_bfe_u32 v16, v10, 24, 7
	s_movk_i32 s22, 0x7f
	v_cmp_ne_u32_e32 vcc, s22, v16
	v_mov_b32_e32 v20, 0x7f800001
	s_and_saveexec_b64 s[22:23], vcc
	s_cbranch_execz .LBB509_608
; %bb.607:
	v_and_b32_e32 v22, 7, v14
	v_ffbh_u32_e32 v20, v22
	v_min_u32_e32 v24, 32, v20
	v_subrev_u32_e32 v20, 28, v24
	v_lshlrev_b64 v[20:21], v20, v[14:15]
	v_lshrrev_b32_e32 v23, 3, v16
	v_sub_u32_e32 v21, 29, v24
	v_and_b32_e32 v20, 7, v20
	v_cmp_gt_u32_e32 vcc, 8, v16
	v_cndmask_b32_e32 v16, v23, v21, vcc
	v_cndmask_b32_e32 v20, v22, v20, vcc
	v_lshlrev_b32_e32 v14, 24, v14
	v_bfrev_b32_e32 v21, 60
	v_lshlrev_b32_e32 v20, 20, v20
	v_and_b32_e32 v14, 0x80000000, v14
	v_lshl_add_u32 v16, v16, 23, v21
	v_or3_b32 v20, v14, v16, v20
.LBB509_608:
	s_or_b64 exec, exec, s[22:23]
.LBB509_609:
	s_or_b64 exec, exec, s[20:21]
.LBB509_610:
	s_or_b64 exec, exec, s[10:11]
	v_mov_b32_e32 v14, v11
	v_cmp_ne_u16_sdwa s[20:21], v11, v15 src0_sel:BYTE_0 src1_sel:DWORD
	s_and_saveexec_b64 s[10:11], s[20:21]
	s_cbranch_execz .LBB509_616
; %bb.611:
	s_movk_i32 s20, 0x80
	v_cmp_ne_u16_sdwa s[22:23], v11, s20 src0_sel:BYTE_0 src1_sel:DWORD
	v_bfrev_b32_e32 v16, 1
	s_and_saveexec_b64 s[20:21], s[22:23]
	s_cbranch_execz .LBB509_615
; %bb.612:
	s_movk_i32 s22, 0x7f
	v_and_b32_e32 v21, 0x7f, v11
	v_cmp_ne_u32_e32 vcc, s22, v21
	v_mov_b32_e32 v16, 0x7f800001
	s_and_saveexec_b64 s[22:23], vcc
	s_cbranch_execz .LBB509_614
; %bb.613:
	v_and_b32_e32 v16, 7, v11
	v_ffbh_u32_e32 v16, v16
	v_min_u32_e32 v16, 32, v16
	v_subrev_u32_e32 v23, 28, v16
	v_cmp_gt_u32_e32 vcc, 8, v21
	v_lshrrev_b32_e32 v22, 3, v21
	v_sub_u32_e32 v16, 29, v16
	v_cndmask_b32_e32 v21, 0, v23, vcc
	v_cndmask_b32_e32 v16, v22, v16, vcc
	v_lshlrev_b64 v[22:23], v21, v[14:15]
	v_lshlrev_b32_e32 v15, 20, v22
	v_lshlrev_b32_e32 v21, 24, v14
	v_bfrev_b32_e32 v22, 60
	v_and_b32_e32 v15, 0x700000, v15
	v_and_b32_e32 v21, 0x80000000, v21
	v_lshl_add_u32 v16, v16, 23, v22
	v_or3_b32 v16, v21, v16, v15
.LBB509_614:
	s_or_b64 exec, exec, s[22:23]
.LBB509_615:
	s_or_b64 exec, exec, s[20:21]
	v_mov_b32_e32 v15, v16
.LBB509_616:
	s_or_b64 exec, exec, s[10:11]
	v_lshrrev_b16_e32 v16, 8, v14
	v_cmp_ne_u16_e32 vcc, 0, v16
	v_mov_b32_e32 v21, 0
	v_mov_b32_e32 v22, 0
	s_and_saveexec_b64 s[10:11], vcc
	s_cbranch_execz .LBB509_622
; %bb.617:
	s_movk_i32 s20, 0x80
	v_cmp_ne_u16_e32 vcc, s20, v16
	v_bfrev_b32_e32 v22, 1
	s_and_saveexec_b64 s[20:21], vcc
	s_cbranch_execz .LBB509_621
; %bb.618:
	s_movk_i32 s22, 0x7f
	v_and_b32_e32 v23, 0x7f, v16
	v_cmp_ne_u32_e32 vcc, s22, v23
	v_mov_b32_e32 v22, 0x7f800001
	s_and_saveexec_b64 s[22:23], vcc
	s_cbranch_execz .LBB509_620
; %bb.619:
	v_and_b32_e32 v22, 7, v16
	v_ffbh_u32_e32 v24, v22
	v_min_u32_e32 v27, 32, v24
	v_subrev_u32_e32 v24, 28, v27
	v_lshlrev_b64 v[24:25], v24, v[16:17]
	v_lshrrev_b32_e32 v26, 3, v23
	v_sub_u32_e32 v16, 29, v27
	v_and_b32_e32 v24, 7, v24
	v_cmp_gt_u32_e32 vcc, 8, v23
	v_cndmask_b32_e32 v16, v26, v16, vcc
	v_cndmask_b32_e32 v22, v22, v24, vcc
	v_lshlrev_b32_e32 v14, 16, v14
	v_bfrev_b32_e32 v23, 60
	v_lshlrev_b32_e32 v22, 20, v22
	v_and_b32_e32 v14, 0x80000000, v14
	v_lshl_add_u32 v16, v16, 23, v23
	v_or3_b32 v22, v14, v16, v22
.LBB509_620:
	s_or_b64 exec, exec, s[22:23]
.LBB509_621:
	s_or_b64 exec, exec, s[20:21]
.LBB509_622:
	s_or_b64 exec, exec, s[10:11]
	s_movk_i32 s10, 0xff
	v_and_b32_sdwa v16, v11, s10 dst_sel:DWORD dst_unused:UNUSED_PAD src0_sel:WORD_1 src1_sel:DWORD
	v_lshrrev_b32_e32 v14, 16, v11
	v_cmp_ne_u16_e32 vcc, 0, v16
	s_and_saveexec_b64 s[10:11], vcc
	s_cbranch_execz .LBB509_628
; %bb.623:
	s_movk_i32 s20, 0x80
	v_cmp_ne_u16_e32 vcc, s20, v16
	v_bfrev_b32_e32 v21, 1
	s_and_saveexec_b64 s[20:21], vcc
	s_cbranch_execz .LBB509_627
; %bb.624:
	v_bfe_u32 v16, v11, 16, 7
	s_movk_i32 s22, 0x7f
	v_cmp_ne_u32_e32 vcc, s22, v16
	v_mov_b32_e32 v21, 0x7f800001
	s_and_saveexec_b64 s[22:23], vcc
	s_cbranch_execz .LBB509_626
; %bb.625:
	v_and_b32_e32 v21, 7, v14
	v_ffbh_u32_e32 v24, v21
	v_min_u32_e32 v26, 32, v24
	v_subrev_u32_e32 v24, 28, v26
	v_lshlrev_b64 v[24:25], v24, v[14:15]
	v_and_b32_e32 v24, 7, v24
	v_cmp_gt_u32_e32 vcc, 8, v16
	v_lshrrev_b32_e32 v23, 3, v16
	v_sub_u32_e32 v14, 29, v26
	v_cndmask_b32_e32 v16, v21, v24, vcc
	v_mov_b32_e32 v21, 24
	v_cndmask_b32_e32 v14, v23, v14, vcc
	v_lshlrev_b32_sdwa v21, v21, v11 dst_sel:DWORD dst_unused:UNUSED_PAD src0_sel:DWORD src1_sel:WORD_1
	v_bfrev_b32_e32 v23, 60
	v_lshlrev_b32_e32 v16, 20, v16
	v_and_b32_e32 v21, 0x80000000, v21
	v_lshl_add_u32 v14, v14, 23, v23
	v_or3_b32 v21, v21, v14, v16
.LBB509_626:
	s_or_b64 exec, exec, s[22:23]
.LBB509_627:
	s_or_b64 exec, exec, s[20:21]
.LBB509_628:
	s_or_b64 exec, exec, s[10:11]
	s_mov_b32 s10, -1
	s_mov_b32 s11, 0xffffff
	v_cmp_lt_u64_e32 vcc, s[10:11], v[10:11]
	v_mov_b32_e32 v16, 0
	v_mov_b32_e32 v14, 0
	s_and_saveexec_b64 s[10:11], vcc
	s_cbranch_execz .LBB509_634
; %bb.629:
	v_lshrrev_b32_e32 v10, 24, v11
	s_movk_i32 s20, 0x80
	v_cmp_ne_u32_e32 vcc, s20, v10
	v_bfrev_b32_e32 v14, 1
	s_and_saveexec_b64 s[20:21], vcc
	s_cbranch_execz .LBB509_633
; %bb.630:
	v_bfe_u32 v11, v11, 24, 7
	s_movk_i32 s22, 0x7f
	v_cmp_ne_u32_e32 vcc, s22, v11
	v_mov_b32_e32 v14, 0x7f800001
	s_and_saveexec_b64 s[22:23], vcc
	s_cbranch_execz .LBB509_632
; %bb.631:
	v_and_b32_e32 v14, 7, v10
	v_ffbh_u32_e32 v24, v14
	v_min_u32_e32 v26, 32, v24
	v_subrev_u32_e32 v24, 28, v26
	v_lshlrev_b64 v[24:25], v24, v[10:11]
	v_lshrrev_b32_e32 v23, 3, v11
	v_sub_u32_e32 v25, 29, v26
	v_and_b32_e32 v24, 7, v24
	v_cmp_gt_u32_e32 vcc, 8, v11
	v_cndmask_b32_e32 v11, v23, v25, vcc
	v_cndmask_b32_e32 v14, v14, v24, vcc
	v_lshlrev_b32_e32 v10, 24, v10
	v_bfrev_b32_e32 v23, 60
	v_lshlrev_b32_e32 v14, 20, v14
	v_and_b32_e32 v10, 0x80000000, v10
	v_lshl_add_u32 v11, v11, 23, v23
	v_or3_b32 v14, v10, v11, v14
.LBB509_632:
	s_or_b64 exec, exec, s[22:23]
.LBB509_633:
	s_or_b64 exec, exec, s[20:21]
.LBB509_634:
	s_or_b64 exec, exec, s[10:11]
	v_cvt_pkrtz_f16_f32 v10, v18, v19
	v_cvt_pkrtz_f16_f32 v11, v17, v20
	;; [unrolled: 1-line block ×4, first 2 shown]
	v_mfma_f32_4x4x4f16 a[0:3], v[2:3], v[10:11], a[0:3] cbsz:4 abid:12
	v_cmp_ne_u16_sdwa s[20:21], v12, v16 src0_sel:BYTE_0 src1_sel:DWORD
	v_mfma_f32_4x4x4f16 a[0:3], v[4:5], v[18:19], a[0:3] cbsz:4 abid:12
	s_and_saveexec_b64 s[10:11], s[20:21]
	s_cbranch_execz .LBB509_640
; %bb.635:
	s_movk_i32 s20, 0x80
	v_cmp_ne_u16_sdwa s[22:23], v12, s20 src0_sel:BYTE_0 src1_sel:DWORD
	v_bfrev_b32_e32 v16, 1
	s_and_saveexec_b64 s[20:21], s[22:23]
	s_cbranch_execz .LBB509_639
; %bb.636:
	s_movk_i32 s22, 0x7f
	v_and_b32_e32 v10, 0x7f, v12
	v_cmp_ne_u32_e32 vcc, s22, v10
	v_mov_b32_e32 v16, 0x7f800001
	s_and_saveexec_b64 s[22:23], vcc
	s_cbranch_execz .LBB509_638
; %bb.637:
	v_and_b32_e32 v11, 7, v12
	v_ffbh_u32_e32 v11, v11
	v_min_u32_e32 v11, 32, v11
	v_subrev_u32_e32 v15, 28, v11
	v_cmp_gt_u32_e32 vcc, 8, v10
	v_lshrrev_b32_e32 v14, 3, v10
	v_sub_u32_e32 v11, 29, v11
	v_cndmask_b32_e32 v10, 0, v15, vcc
	v_cndmask_b32_e32 v14, v14, v11, vcc
	v_lshlrev_b64 v[10:11], v10, v[12:13]
	v_lshlrev_b32_e32 v10, 20, v10
	v_lshlrev_b32_e32 v11, 24, v12
	v_bfrev_b32_e32 v15, 60
	v_and_b32_e32 v10, 0x700000, v10
	v_and_b32_e32 v11, 0x80000000, v11
	v_lshl_add_u32 v14, v14, 23, v15
	v_or3_b32 v16, v11, v14, v10
.LBB509_638:
	s_or_b64 exec, exec, s[22:23]
.LBB509_639:
	s_or_b64 exec, exec, s[20:21]
.LBB509_640:
	s_or_b64 exec, exec, s[10:11]
	v_lshrrev_b16_e32 v10, 8, v12
	v_cmp_ne_u16_e32 vcc, 0, v10
	v_mov_b32_e32 v15, 0
	v_mov_b32_e32 v17, 0
	s_and_saveexec_b64 s[10:11], vcc
	s_cbranch_execz .LBB509_646
; %bb.641:
	s_movk_i32 s20, 0x80
	v_cmp_ne_u16_e32 vcc, s20, v10
	v_bfrev_b32_e32 v17, 1
	s_and_saveexec_b64 s[20:21], vcc
	s_cbranch_execz .LBB509_645
; %bb.642:
	s_movk_i32 s22, 0x7f
	v_and_b32_e32 v11, 0x7f, v10
	v_cmp_ne_u32_e32 vcc, s22, v11
	v_mov_b32_e32 v17, 0x7f800001
	s_and_saveexec_b64 s[22:23], vcc
	s_cbranch_execz .LBB509_644
; %bb.643:
	v_and_b32_e32 v14, 7, v10
	v_ffbh_u32_e32 v18, v14
	v_min_u32_e32 v20, 32, v18
	v_subrev_u32_e32 v18, 28, v20
	v_lshlrev_b64 v[18:19], v18, v[10:11]
	v_lshrrev_b32_e32 v17, 3, v11
	v_sub_u32_e32 v10, 29, v20
	v_and_b32_e32 v18, 7, v18
	v_cmp_gt_u32_e32 vcc, 8, v11
	v_cndmask_b32_e32 v10, v17, v10, vcc
	v_cndmask_b32_e32 v11, v14, v18, vcc
	v_lshlrev_b32_e32 v14, 16, v12
	v_bfrev_b32_e32 v17, 60
	v_lshlrev_b32_e32 v11, 20, v11
	v_and_b32_e32 v14, 0x80000000, v14
	v_lshl_add_u32 v10, v10, 23, v17
	v_or3_b32 v17, v14, v10, v11
.LBB509_644:
	s_or_b64 exec, exec, s[22:23]
.LBB509_645:
	s_or_b64 exec, exec, s[20:21]
.LBB509_646:
	s_or_b64 exec, exec, s[10:11]
	s_movk_i32 s10, 0xff
	v_and_b32_sdwa v11, v12, s10 dst_sel:DWORD dst_unused:UNUSED_PAD src0_sel:WORD_1 src1_sel:DWORD
	v_lshrrev_b32_e32 v10, 16, v12
	v_cmp_ne_u16_e32 vcc, 0, v11
	s_and_saveexec_b64 s[10:11], vcc
	s_cbranch_execz .LBB509_652
; %bb.647:
	s_movk_i32 s20, 0x80
	v_cmp_ne_u16_e32 vcc, s20, v11
	v_bfrev_b32_e32 v15, 1
	s_and_saveexec_b64 s[20:21], vcc
	s_cbranch_execz .LBB509_651
; %bb.648:
	v_bfe_u32 v11, v12, 16, 7
	s_movk_i32 s22, 0x7f
	v_cmp_ne_u32_e32 vcc, s22, v11
	v_mov_b32_e32 v15, 0x7f800001
	s_and_saveexec_b64 s[22:23], vcc
	s_cbranch_execz .LBB509_650
; %bb.649:
	v_and_b32_e32 v18, 7, v10
	v_ffbh_u32_e32 v14, v18
	v_min_u32_e32 v20, 32, v14
	v_subrev_u32_e32 v14, 28, v20
	v_lshlrev_b64 v[14:15], v14, v[10:11]
	v_and_b32_e32 v14, 7, v14
	v_cmp_gt_u32_e32 vcc, 8, v11
	v_lshrrev_b32_e32 v19, 3, v11
	v_sub_u32_e32 v10, 29, v20
	v_cndmask_b32_e32 v11, v18, v14, vcc
	v_mov_b32_e32 v14, 24
	v_cndmask_b32_e32 v10, v19, v10, vcc
	v_lshlrev_b32_sdwa v14, v14, v12 dst_sel:DWORD dst_unused:UNUSED_PAD src0_sel:DWORD src1_sel:WORD_1
	v_bfrev_b32_e32 v15, 60
	v_lshlrev_b32_e32 v11, 20, v11
	v_and_b32_e32 v14, 0x80000000, v14
	v_lshl_add_u32 v10, v10, 23, v15
	v_or3_b32 v15, v14, v10, v11
.LBB509_650:
	s_or_b64 exec, exec, s[22:23]
.LBB509_651:
	s_or_b64 exec, exec, s[20:21]
.LBB509_652:
	s_or_b64 exec, exec, s[10:11]
	s_mov_b32 s10, 0xffffff
	v_cmp_lt_u32_e32 vcc, s10, v12
	v_mov_b32_e32 v11, 0
	v_mov_b32_e32 v18, 0
	s_and_saveexec_b64 s[10:11], vcc
	s_cbranch_execz .LBB509_658
; %bb.653:
	v_lshrrev_b32_e32 v10, 24, v12
	s_movk_i32 s20, 0x80
	v_cmp_ne_u32_e32 vcc, s20, v10
	v_bfrev_b32_e32 v18, 1
	s_and_saveexec_b64 s[20:21], vcc
	s_cbranch_execz .LBB509_657
; %bb.654:
	v_bfe_u32 v14, v12, 24, 7
	s_movk_i32 s22, 0x7f
	v_cmp_ne_u32_e32 vcc, s22, v14
	v_mov_b32_e32 v18, 0x7f800001
	s_and_saveexec_b64 s[22:23], vcc
	s_cbranch_execz .LBB509_656
; %bb.655:
	v_and_b32_e32 v20, 7, v10
	v_ffbh_u32_e32 v18, v20
	v_min_u32_e32 v22, 32, v18
	v_subrev_u32_e32 v18, 28, v22
	v_lshlrev_b64 v[18:19], v18, v[10:11]
	v_lshrrev_b32_e32 v21, 3, v14
	v_sub_u32_e32 v19, 29, v22
	v_and_b32_e32 v18, 7, v18
	v_cmp_gt_u32_e32 vcc, 8, v14
	v_cndmask_b32_e32 v14, v21, v19, vcc
	v_cndmask_b32_e32 v18, v20, v18, vcc
	v_lshlrev_b32_e32 v10, 24, v10
	v_bfrev_b32_e32 v19, 60
	v_lshlrev_b32_e32 v18, 20, v18
	v_and_b32_e32 v10, 0x80000000, v10
	v_lshl_add_u32 v14, v14, 23, v19
	v_or3_b32 v18, v10, v14, v18
.LBB509_656:
	s_or_b64 exec, exec, s[22:23]
.LBB509_657:
	s_or_b64 exec, exec, s[20:21]
.LBB509_658:
	s_or_b64 exec, exec, s[10:11]
	v_mov_b32_e32 v10, v13
	v_cmp_ne_u16_sdwa s[20:21], v13, v11 src0_sel:BYTE_0 src1_sel:DWORD
	s_and_saveexec_b64 s[10:11], s[20:21]
	s_cbranch_execz .LBB509_664
; %bb.659:
	s_movk_i32 s20, 0x80
	v_cmp_ne_u16_sdwa s[22:23], v13, s20 src0_sel:BYTE_0 src1_sel:DWORD
	v_bfrev_b32_e32 v14, 1
	s_and_saveexec_b64 s[20:21], s[22:23]
	s_cbranch_execz .LBB509_663
; %bb.660:
	s_movk_i32 s22, 0x7f
	v_and_b32_e32 v19, 0x7f, v13
	v_cmp_ne_u32_e32 vcc, s22, v19
	v_mov_b32_e32 v14, 0x7f800001
	s_and_saveexec_b64 s[22:23], vcc
	s_cbranch_execz .LBB509_662
; %bb.661:
	v_and_b32_e32 v14, 7, v13
	v_ffbh_u32_e32 v14, v14
	v_min_u32_e32 v14, 32, v14
	v_subrev_u32_e32 v21, 28, v14
	v_cmp_gt_u32_e32 vcc, 8, v19
	v_lshrrev_b32_e32 v20, 3, v19
	v_sub_u32_e32 v14, 29, v14
	v_cndmask_b32_e32 v19, 0, v21, vcc
	v_cndmask_b32_e32 v14, v20, v14, vcc
	v_lshlrev_b64 v[20:21], v19, v[10:11]
	v_lshlrev_b32_e32 v11, 20, v20
	v_lshlrev_b32_e32 v19, 24, v10
	v_bfrev_b32_e32 v20, 60
	v_and_b32_e32 v11, 0x700000, v11
	v_and_b32_e32 v19, 0x80000000, v19
	v_lshl_add_u32 v14, v14, 23, v20
	v_or3_b32 v14, v19, v14, v11
.LBB509_662:
	s_or_b64 exec, exec, s[22:23]
.LBB509_663:
	s_or_b64 exec, exec, s[20:21]
	v_mov_b32_e32 v11, v14
.LBB509_664:
	s_or_b64 exec, exec, s[10:11]
	v_lshrrev_b16_e32 v14, 8, v10
	v_cmp_ne_u16_e32 vcc, 0, v14
	v_mov_b32_e32 v19, 0
	v_mov_b32_e32 v20, 0
	s_and_saveexec_b64 s[10:11], vcc
	s_cbranch_execz .LBB509_670
; %bb.665:
	s_movk_i32 s20, 0x80
	v_cmp_ne_u16_e32 vcc, s20, v14
	v_bfrev_b32_e32 v20, 1
	s_and_saveexec_b64 s[20:21], vcc
	s_cbranch_execz .LBB509_669
; %bb.666:
	s_movk_i32 s22, 0x7f
	v_and_b32_e32 v21, 0x7f, v14
	v_cmp_ne_u32_e32 vcc, s22, v21
	v_mov_b32_e32 v20, 0x7f800001
	s_and_saveexec_b64 s[22:23], vcc
	s_cbranch_execz .LBB509_668
; %bb.667:
	v_and_b32_e32 v20, 7, v14
	v_ffbh_u32_e32 v22, v20
	v_min_u32_e32 v25, 32, v22
	v_subrev_u32_e32 v22, 28, v25
	v_lshlrev_b64 v[22:23], v22, v[14:15]
	v_lshrrev_b32_e32 v24, 3, v21
	v_sub_u32_e32 v14, 29, v25
	v_and_b32_e32 v22, 7, v22
	v_cmp_gt_u32_e32 vcc, 8, v21
	v_cndmask_b32_e32 v14, v24, v14, vcc
	v_cndmask_b32_e32 v20, v20, v22, vcc
	v_lshlrev_b32_e32 v10, 16, v10
	v_bfrev_b32_e32 v21, 60
	v_lshlrev_b32_e32 v20, 20, v20
	v_and_b32_e32 v10, 0x80000000, v10
	v_lshl_add_u32 v14, v14, 23, v21
	v_or3_b32 v20, v10, v14, v20
.LBB509_668:
	s_or_b64 exec, exec, s[22:23]
.LBB509_669:
	s_or_b64 exec, exec, s[20:21]
.LBB509_670:
	s_or_b64 exec, exec, s[10:11]
	s_movk_i32 s10, 0xff
	v_and_b32_sdwa v14, v13, s10 dst_sel:DWORD dst_unused:UNUSED_PAD src0_sel:WORD_1 src1_sel:DWORD
	v_lshrrev_b32_e32 v10, 16, v13
	v_cmp_ne_u16_e32 vcc, 0, v14
	s_and_saveexec_b64 s[10:11], vcc
	s_cbranch_execz .LBB509_676
; %bb.671:
	s_movk_i32 s20, 0x80
	v_cmp_ne_u16_e32 vcc, s20, v14
	v_bfrev_b32_e32 v19, 1
	s_and_saveexec_b64 s[20:21], vcc
	s_cbranch_execz .LBB509_675
; %bb.672:
	v_bfe_u32 v14, v13, 16, 7
	s_movk_i32 s22, 0x7f
	v_cmp_ne_u32_e32 vcc, s22, v14
	v_mov_b32_e32 v19, 0x7f800001
	s_and_saveexec_b64 s[22:23], vcc
	s_cbranch_execz .LBB509_674
; %bb.673:
	v_and_b32_e32 v19, 7, v10
	v_ffbh_u32_e32 v22, v19
	v_min_u32_e32 v24, 32, v22
	v_subrev_u32_e32 v22, 28, v24
	v_lshlrev_b64 v[22:23], v22, v[10:11]
	v_and_b32_e32 v22, 7, v22
	v_cmp_gt_u32_e32 vcc, 8, v14
	v_lshrrev_b32_e32 v21, 3, v14
	v_sub_u32_e32 v10, 29, v24
	v_cndmask_b32_e32 v14, v19, v22, vcc
	v_mov_b32_e32 v19, 24
	v_cndmask_b32_e32 v10, v21, v10, vcc
	v_lshlrev_b32_sdwa v19, v19, v13 dst_sel:DWORD dst_unused:UNUSED_PAD src0_sel:DWORD src1_sel:WORD_1
	v_bfrev_b32_e32 v21, 60
	v_lshlrev_b32_e32 v14, 20, v14
	v_and_b32_e32 v19, 0x80000000, v19
	v_lshl_add_u32 v10, v10, 23, v21
	v_or3_b32 v19, v19, v10, v14
.LBB509_674:
	s_or_b64 exec, exec, s[22:23]
.LBB509_675:
	s_or_b64 exec, exec, s[20:21]
.LBB509_676:
	s_or_b64 exec, exec, s[10:11]
	s_mov_b32 s10, -1
	s_mov_b32 s11, 0xffffff
	v_cmp_lt_u64_e32 vcc, s[10:11], v[12:13]
	v_mov_b32_e32 v14, 0
	v_mov_b32_e32 v12, 0
	s_and_saveexec_b64 s[10:11], vcc
	s_cbranch_execz .LBB509_682
; %bb.677:
	v_lshrrev_b32_e32 v10, 24, v13
	s_movk_i32 s20, 0x80
	v_cmp_ne_u32_e32 vcc, s20, v10
	v_bfrev_b32_e32 v12, 1
	s_and_saveexec_b64 s[20:21], vcc
	s_cbranch_execz .LBB509_681
; %bb.678:
	v_bfe_u32 v13, v13, 24, 7
	s_movk_i32 s22, 0x7f
	v_cmp_ne_u32_e32 vcc, s22, v13
	v_mov_b32_e32 v12, 0x7f800001
	s_and_saveexec_b64 s[22:23], vcc
	s_cbranch_execz .LBB509_680
; %bb.679:
	v_and_b32_e32 v12, 7, v10
	v_ffbh_u32_e32 v22, v12
	v_min_u32_e32 v24, 32, v22
	v_subrev_u32_e32 v22, 28, v24
	v_lshlrev_b64 v[22:23], v22, v[10:11]
	v_lshrrev_b32_e32 v21, 3, v13
	v_sub_u32_e32 v23, 29, v24
	v_and_b32_e32 v22, 7, v22
	v_cmp_gt_u32_e32 vcc, 8, v13
	v_cndmask_b32_e32 v13, v21, v23, vcc
	v_cndmask_b32_e32 v12, v12, v22, vcc
	v_lshlrev_b32_e32 v10, 24, v10
	v_bfrev_b32_e32 v21, 60
	v_lshlrev_b32_e32 v12, 20, v12
	v_and_b32_e32 v10, 0x80000000, v10
	v_lshl_add_u32 v13, v13, 23, v21
	v_or3_b32 v12, v10, v13, v12
.LBB509_680:
	s_or_b64 exec, exec, s[22:23]
.LBB509_681:
	s_or_b64 exec, exec, s[20:21]
.LBB509_682:
	s_or_b64 exec, exec, s[10:11]
	v_cvt_pkrtz_f16_f32 v16, v16, v17
	v_cvt_pkrtz_f16_f32 v17, v15, v18
	;; [unrolled: 1-line block ×4, first 2 shown]
	v_mfma_f32_4x4x4f16 a[0:3], v[2:3], v[16:17], a[0:3] cbsz:4 abid:13
	s_waitcnt vmcnt(12)
	v_cmp_ne_u16_sdwa s[20:21], v6, v14 src0_sel:BYTE_0 src1_sel:DWORD
	v_mfma_f32_4x4x4f16 a[0:3], v[4:5], v[10:11], a[0:3] cbsz:4 abid:13
	s_and_saveexec_b64 s[10:11], s[20:21]
	s_cbranch_execz .LBB509_688
; %bb.683:
	s_movk_i32 s20, 0x80
	v_cmp_ne_u16_sdwa s[22:23], v6, s20 src0_sel:BYTE_0 src1_sel:DWORD
	v_bfrev_b32_e32 v14, 1
	s_and_saveexec_b64 s[20:21], s[22:23]
	s_cbranch_execz .LBB509_687
; %bb.684:
	s_movk_i32 s22, 0x7f
	v_and_b32_e32 v10, 0x7f, v6
	v_cmp_ne_u32_e32 vcc, s22, v10
	v_mov_b32_e32 v14, 0x7f800001
	s_and_saveexec_b64 s[22:23], vcc
	s_cbranch_execz .LBB509_686
; %bb.685:
	v_and_b32_e32 v11, 7, v6
	v_ffbh_u32_e32 v11, v11
	v_min_u32_e32 v11, 32, v11
	v_subrev_u32_e32 v13, 28, v11
	v_cmp_gt_u32_e32 vcc, 8, v10
	v_lshrrev_b32_e32 v12, 3, v10
	v_sub_u32_e32 v11, 29, v11
	v_cndmask_b32_e32 v10, 0, v13, vcc
	v_cndmask_b32_e32 v12, v12, v11, vcc
	v_lshlrev_b64 v[10:11], v10, v[6:7]
	v_lshlrev_b32_e32 v10, 20, v10
	v_lshlrev_b32_e32 v11, 24, v6
	v_bfrev_b32_e32 v13, 60
	v_and_b32_e32 v10, 0x700000, v10
	v_and_b32_e32 v11, 0x80000000, v11
	v_lshl_add_u32 v12, v12, 23, v13
	v_or3_b32 v14, v11, v12, v10
.LBB509_686:
	s_or_b64 exec, exec, s[22:23]
.LBB509_687:
	s_or_b64 exec, exec, s[20:21]
.LBB509_688:
	s_or_b64 exec, exec, s[10:11]
	v_lshrrev_b16_e32 v10, 8, v6
	v_cmp_ne_u16_e32 vcc, 0, v10
	v_mov_b32_e32 v13, 0
	v_mov_b32_e32 v15, 0
	s_and_saveexec_b64 s[10:11], vcc
	s_cbranch_execz .LBB509_694
; %bb.689:
	s_movk_i32 s20, 0x80
	v_cmp_ne_u16_e32 vcc, s20, v10
	v_bfrev_b32_e32 v15, 1
	s_and_saveexec_b64 s[20:21], vcc
	s_cbranch_execz .LBB509_693
; %bb.690:
	s_movk_i32 s22, 0x7f
	v_and_b32_e32 v11, 0x7f, v10
	v_cmp_ne_u32_e32 vcc, s22, v11
	v_mov_b32_e32 v15, 0x7f800001
	s_and_saveexec_b64 s[22:23], vcc
	s_cbranch_execz .LBB509_692
; %bb.691:
	v_and_b32_e32 v12, 7, v10
	v_ffbh_u32_e32 v16, v12
	v_min_u32_e32 v18, 32, v16
	v_subrev_u32_e32 v16, 28, v18
	v_lshlrev_b64 v[16:17], v16, v[10:11]
	v_lshrrev_b32_e32 v15, 3, v11
	v_sub_u32_e32 v10, 29, v18
	v_and_b32_e32 v16, 7, v16
	v_cmp_gt_u32_e32 vcc, 8, v11
	v_cndmask_b32_e32 v10, v15, v10, vcc
	v_cndmask_b32_e32 v11, v12, v16, vcc
	v_lshlrev_b32_e32 v12, 16, v6
	v_bfrev_b32_e32 v15, 60
	v_lshlrev_b32_e32 v11, 20, v11
	v_and_b32_e32 v12, 0x80000000, v12
	v_lshl_add_u32 v10, v10, 23, v15
	v_or3_b32 v15, v12, v10, v11
.LBB509_692:
	s_or_b64 exec, exec, s[22:23]
.LBB509_693:
	s_or_b64 exec, exec, s[20:21]
.LBB509_694:
	s_or_b64 exec, exec, s[10:11]
	s_movk_i32 s10, 0xff
	v_and_b32_sdwa v11, v6, s10 dst_sel:DWORD dst_unused:UNUSED_PAD src0_sel:WORD_1 src1_sel:DWORD
	v_lshrrev_b32_e32 v10, 16, v6
	v_cmp_ne_u16_e32 vcc, 0, v11
	s_and_saveexec_b64 s[10:11], vcc
	s_cbranch_execz .LBB509_700
; %bb.695:
	s_movk_i32 s20, 0x80
	v_cmp_ne_u16_e32 vcc, s20, v11
	v_bfrev_b32_e32 v13, 1
	s_and_saveexec_b64 s[20:21], vcc
	s_cbranch_execz .LBB509_699
; %bb.696:
	v_bfe_u32 v11, v6, 16, 7
	s_movk_i32 s22, 0x7f
	v_cmp_ne_u32_e32 vcc, s22, v11
	v_mov_b32_e32 v13, 0x7f800001
	s_and_saveexec_b64 s[22:23], vcc
	s_cbranch_execz .LBB509_698
; %bb.697:
	v_and_b32_e32 v16, 7, v10
	v_ffbh_u32_e32 v12, v16
	v_min_u32_e32 v18, 32, v12
	v_subrev_u32_e32 v12, 28, v18
	v_lshlrev_b64 v[12:13], v12, v[10:11]
	v_and_b32_e32 v12, 7, v12
	v_cmp_gt_u32_e32 vcc, 8, v11
	v_lshrrev_b32_e32 v17, 3, v11
	v_sub_u32_e32 v10, 29, v18
	v_cndmask_b32_e32 v11, v16, v12, vcc
	v_mov_b32_e32 v12, 24
	v_cndmask_b32_e32 v10, v17, v10, vcc
	v_lshlrev_b32_sdwa v12, v12, v6 dst_sel:DWORD dst_unused:UNUSED_PAD src0_sel:DWORD src1_sel:WORD_1
	v_bfrev_b32_e32 v13, 60
	v_lshlrev_b32_e32 v11, 20, v11
	v_and_b32_e32 v12, 0x80000000, v12
	v_lshl_add_u32 v10, v10, 23, v13
	v_or3_b32 v13, v12, v10, v11
.LBB509_698:
	s_or_b64 exec, exec, s[22:23]
.LBB509_699:
	s_or_b64 exec, exec, s[20:21]
.LBB509_700:
	s_or_b64 exec, exec, s[10:11]
	s_mov_b32 s10, 0xffffff
	v_cmp_lt_u32_e32 vcc, s10, v6
	v_mov_b32_e32 v11, 0
	v_mov_b32_e32 v16, 0
	s_and_saveexec_b64 s[10:11], vcc
	s_cbranch_execz .LBB509_706
; %bb.701:
	v_lshrrev_b32_e32 v10, 24, v6
	s_movk_i32 s20, 0x80
	v_cmp_ne_u32_e32 vcc, s20, v10
	v_bfrev_b32_e32 v16, 1
	s_and_saveexec_b64 s[20:21], vcc
	s_cbranch_execz .LBB509_705
; %bb.702:
	v_bfe_u32 v12, v6, 24, 7
	s_movk_i32 s22, 0x7f
	v_cmp_ne_u32_e32 vcc, s22, v12
	v_mov_b32_e32 v16, 0x7f800001
	s_and_saveexec_b64 s[22:23], vcc
	s_cbranch_execz .LBB509_704
; %bb.703:
	v_and_b32_e32 v18, 7, v10
	v_ffbh_u32_e32 v16, v18
	v_min_u32_e32 v20, 32, v16
	v_subrev_u32_e32 v16, 28, v20
	v_lshlrev_b64 v[16:17], v16, v[10:11]
	v_lshrrev_b32_e32 v19, 3, v12
	v_sub_u32_e32 v17, 29, v20
	v_and_b32_e32 v16, 7, v16
	v_cmp_gt_u32_e32 vcc, 8, v12
	v_cndmask_b32_e32 v12, v19, v17, vcc
	v_cndmask_b32_e32 v16, v18, v16, vcc
	v_lshlrev_b32_e32 v10, 24, v10
	v_bfrev_b32_e32 v17, 60
	v_lshlrev_b32_e32 v16, 20, v16
	v_and_b32_e32 v10, 0x80000000, v10
	v_lshl_add_u32 v12, v12, 23, v17
	v_or3_b32 v16, v10, v12, v16
.LBB509_704:
	s_or_b64 exec, exec, s[22:23]
.LBB509_705:
	s_or_b64 exec, exec, s[20:21]
.LBB509_706:
	s_or_b64 exec, exec, s[10:11]
	v_mov_b32_e32 v10, v7
	v_cmp_ne_u16_sdwa s[20:21], v7, v11 src0_sel:BYTE_0 src1_sel:DWORD
	s_and_saveexec_b64 s[10:11], s[20:21]
	s_cbranch_execz .LBB509_712
; %bb.707:
	s_movk_i32 s20, 0x80
	v_cmp_ne_u16_sdwa s[22:23], v7, s20 src0_sel:BYTE_0 src1_sel:DWORD
	v_bfrev_b32_e32 v12, 1
	s_and_saveexec_b64 s[20:21], s[22:23]
	s_cbranch_execz .LBB509_711
; %bb.708:
	s_movk_i32 s22, 0x7f
	v_and_b32_e32 v17, 0x7f, v7
	v_cmp_ne_u32_e32 vcc, s22, v17
	v_mov_b32_e32 v12, 0x7f800001
	s_and_saveexec_b64 s[22:23], vcc
	s_cbranch_execz .LBB509_710
; %bb.709:
	v_and_b32_e32 v12, 7, v7
	v_ffbh_u32_e32 v12, v12
	v_min_u32_e32 v12, 32, v12
	v_subrev_u32_e32 v19, 28, v12
	v_cmp_gt_u32_e32 vcc, 8, v17
	v_lshrrev_b32_e32 v18, 3, v17
	v_sub_u32_e32 v12, 29, v12
	v_cndmask_b32_e32 v17, 0, v19, vcc
	v_cndmask_b32_e32 v12, v18, v12, vcc
	v_lshlrev_b64 v[18:19], v17, v[10:11]
	v_lshlrev_b32_e32 v11, 20, v18
	v_lshlrev_b32_e32 v17, 24, v10
	v_bfrev_b32_e32 v18, 60
	v_and_b32_e32 v11, 0x700000, v11
	v_and_b32_e32 v17, 0x80000000, v17
	v_lshl_add_u32 v12, v12, 23, v18
	v_or3_b32 v12, v17, v12, v11
.LBB509_710:
	s_or_b64 exec, exec, s[22:23]
.LBB509_711:
	s_or_b64 exec, exec, s[20:21]
	v_mov_b32_e32 v11, v12
.LBB509_712:
	s_or_b64 exec, exec, s[10:11]
	v_lshrrev_b16_e32 v12, 8, v10
	v_cmp_ne_u16_e32 vcc, 0, v12
	v_mov_b32_e32 v17, 0
	v_mov_b32_e32 v18, 0
	s_and_saveexec_b64 s[10:11], vcc
	s_cbranch_execz .LBB509_718
; %bb.713:
	s_movk_i32 s20, 0x80
	v_cmp_ne_u16_e32 vcc, s20, v12
	v_bfrev_b32_e32 v18, 1
	s_and_saveexec_b64 s[20:21], vcc
	s_cbranch_execz .LBB509_717
; %bb.714:
	s_movk_i32 s22, 0x7f
	v_and_b32_e32 v19, 0x7f, v12
	v_cmp_ne_u32_e32 vcc, s22, v19
	v_mov_b32_e32 v18, 0x7f800001
	s_and_saveexec_b64 s[22:23], vcc
	s_cbranch_execz .LBB509_716
; %bb.715:
	v_and_b32_e32 v18, 7, v12
	v_ffbh_u32_e32 v20, v18
	v_min_u32_e32 v23, 32, v20
	v_subrev_u32_e32 v20, 28, v23
	v_lshlrev_b64 v[20:21], v20, v[12:13]
	v_lshrrev_b32_e32 v22, 3, v19
	v_sub_u32_e32 v12, 29, v23
	v_and_b32_e32 v20, 7, v20
	v_cmp_gt_u32_e32 vcc, 8, v19
	v_cndmask_b32_e32 v12, v22, v12, vcc
	v_cndmask_b32_e32 v18, v18, v20, vcc
	v_lshlrev_b32_e32 v10, 16, v10
	v_bfrev_b32_e32 v19, 60
	v_lshlrev_b32_e32 v18, 20, v18
	v_and_b32_e32 v10, 0x80000000, v10
	v_lshl_add_u32 v12, v12, 23, v19
	v_or3_b32 v18, v10, v12, v18
.LBB509_716:
	s_or_b64 exec, exec, s[22:23]
.LBB509_717:
	s_or_b64 exec, exec, s[20:21]
.LBB509_718:
	s_or_b64 exec, exec, s[10:11]
	s_movk_i32 s10, 0xff
	v_and_b32_sdwa v12, v7, s10 dst_sel:DWORD dst_unused:UNUSED_PAD src0_sel:WORD_1 src1_sel:DWORD
	v_lshrrev_b32_e32 v10, 16, v7
	v_cmp_ne_u16_e32 vcc, 0, v12
	s_and_saveexec_b64 s[10:11], vcc
	s_cbranch_execz .LBB509_724
; %bb.719:
	s_movk_i32 s20, 0x80
	v_cmp_ne_u16_e32 vcc, s20, v12
	v_bfrev_b32_e32 v17, 1
	s_and_saveexec_b64 s[20:21], vcc
	s_cbranch_execz .LBB509_723
; %bb.720:
	v_bfe_u32 v12, v7, 16, 7
	s_movk_i32 s22, 0x7f
	v_cmp_ne_u32_e32 vcc, s22, v12
	v_mov_b32_e32 v17, 0x7f800001
	s_and_saveexec_b64 s[22:23], vcc
	s_cbranch_execz .LBB509_722
; %bb.721:
	v_and_b32_e32 v17, 7, v10
	v_ffbh_u32_e32 v20, v17
	v_min_u32_e32 v22, 32, v20
	v_subrev_u32_e32 v20, 28, v22
	v_lshlrev_b64 v[20:21], v20, v[10:11]
	v_and_b32_e32 v20, 7, v20
	v_cmp_gt_u32_e32 vcc, 8, v12
	v_lshrrev_b32_e32 v19, 3, v12
	v_sub_u32_e32 v10, 29, v22
	v_cndmask_b32_e32 v12, v17, v20, vcc
	v_mov_b32_e32 v17, 24
	v_cndmask_b32_e32 v10, v19, v10, vcc
	v_lshlrev_b32_sdwa v17, v17, v7 dst_sel:DWORD dst_unused:UNUSED_PAD src0_sel:DWORD src1_sel:WORD_1
	v_bfrev_b32_e32 v19, 60
	v_lshlrev_b32_e32 v12, 20, v12
	v_and_b32_e32 v17, 0x80000000, v17
	v_lshl_add_u32 v10, v10, 23, v19
	v_or3_b32 v17, v17, v10, v12
.LBB509_722:
	s_or_b64 exec, exec, s[22:23]
.LBB509_723:
	s_or_b64 exec, exec, s[20:21]
.LBB509_724:
	s_or_b64 exec, exec, s[10:11]
	s_mov_b32 s10, -1
	s_mov_b32 s11, 0xffffff
	v_cmp_lt_u64_e32 vcc, s[10:11], v[6:7]
	v_mov_b32_e32 v12, 0
	v_mov_b32_e32 v10, 0
	s_and_saveexec_b64 s[10:11], vcc
	s_cbranch_execz .LBB509_730
; %bb.725:
	v_lshrrev_b32_e32 v6, 24, v7
	s_movk_i32 s20, 0x80
	v_cmp_ne_u32_e32 vcc, s20, v6
	v_bfrev_b32_e32 v10, 1
	s_and_saveexec_b64 s[20:21], vcc
	s_cbranch_execz .LBB509_729
; %bb.726:
	v_bfe_u32 v7, v7, 24, 7
	s_movk_i32 s22, 0x7f
	v_cmp_ne_u32_e32 vcc, s22, v7
	v_mov_b32_e32 v10, 0x7f800001
	s_and_saveexec_b64 s[22:23], vcc
	s_cbranch_execz .LBB509_728
; %bb.727:
	v_and_b32_e32 v10, 7, v6
	v_ffbh_u32_e32 v20, v10
	v_min_u32_e32 v22, 32, v20
	v_subrev_u32_e32 v20, 28, v22
	v_lshlrev_b64 v[20:21], v20, v[6:7]
	v_lshrrev_b32_e32 v19, 3, v7
	v_sub_u32_e32 v21, 29, v22
	v_and_b32_e32 v20, 7, v20
	v_cmp_gt_u32_e32 vcc, 8, v7
	v_cndmask_b32_e32 v7, v19, v21, vcc
	v_cndmask_b32_e32 v10, v10, v20, vcc
	v_lshlrev_b32_e32 v6, 24, v6
	v_bfrev_b32_e32 v19, 60
	v_lshlrev_b32_e32 v10, 20, v10
	v_and_b32_e32 v6, 0x80000000, v6
	v_lshl_add_u32 v7, v7, 23, v19
	v_or3_b32 v10, v6, v7, v10
.LBB509_728:
	s_or_b64 exec, exec, s[22:23]
.LBB509_729:
	s_or_b64 exec, exec, s[20:21]
.LBB509_730:
	s_or_b64 exec, exec, s[10:11]
	v_cvt_pkrtz_f16_f32 v6, v14, v15
	v_cvt_pkrtz_f16_f32 v7, v13, v16
	;; [unrolled: 1-line block ×4, first 2 shown]
	v_mfma_f32_4x4x4f16 a[0:3], v[2:3], v[6:7], a[0:3] cbsz:4 abid:14
	v_cmp_ne_u16_sdwa s[20:21], v8, v12 src0_sel:BYTE_0 src1_sel:DWORD
	v_mfma_f32_4x4x4f16 a[0:3], v[4:5], v[14:15], a[0:3] cbsz:4 abid:14
	s_and_saveexec_b64 s[10:11], s[20:21]
	s_cbranch_execz .LBB509_736
; %bb.731:
	s_movk_i32 s20, 0x80
	v_cmp_ne_u16_sdwa s[22:23], v8, s20 src0_sel:BYTE_0 src1_sel:DWORD
	v_bfrev_b32_e32 v12, 1
	s_and_saveexec_b64 s[20:21], s[22:23]
	s_cbranch_execz .LBB509_735
; %bb.732:
	s_movk_i32 s22, 0x7f
	v_and_b32_e32 v6, 0x7f, v8
	v_cmp_ne_u32_e32 vcc, s22, v6
	v_mov_b32_e32 v12, 0x7f800001
	s_and_saveexec_b64 s[22:23], vcc
	s_cbranch_execz .LBB509_734
; %bb.733:
	v_and_b32_e32 v7, 7, v8
	v_ffbh_u32_e32 v7, v7
	v_min_u32_e32 v7, 32, v7
	v_subrev_u32_e32 v11, 28, v7
	v_cmp_gt_u32_e32 vcc, 8, v6
	v_lshrrev_b32_e32 v10, 3, v6
	v_sub_u32_e32 v7, 29, v7
	v_cndmask_b32_e32 v6, 0, v11, vcc
	v_cndmask_b32_e32 v10, v10, v7, vcc
	v_lshlrev_b64 v[6:7], v6, v[8:9]
	v_lshlrev_b32_e32 v6, 20, v6
	v_lshlrev_b32_e32 v7, 24, v8
	v_bfrev_b32_e32 v11, 60
	v_and_b32_e32 v6, 0x700000, v6
	v_and_b32_e32 v7, 0x80000000, v7
	v_lshl_add_u32 v10, v10, 23, v11
	v_or3_b32 v12, v7, v10, v6
.LBB509_734:
	s_or_b64 exec, exec, s[22:23]
.LBB509_735:
	s_or_b64 exec, exec, s[20:21]
.LBB509_736:
	s_or_b64 exec, exec, s[10:11]
	v_lshrrev_b16_e32 v6, 8, v8
	v_cmp_ne_u16_e32 vcc, 0, v6
	v_mov_b32_e32 v11, 0
	v_mov_b32_e32 v13, 0
	s_and_saveexec_b64 s[10:11], vcc
	s_cbranch_execz .LBB509_742
; %bb.737:
	s_movk_i32 s20, 0x80
	v_cmp_ne_u16_e32 vcc, s20, v6
	v_bfrev_b32_e32 v13, 1
	s_and_saveexec_b64 s[20:21], vcc
	s_cbranch_execz .LBB509_741
; %bb.738:
	s_movk_i32 s22, 0x7f
	v_and_b32_e32 v7, 0x7f, v6
	v_cmp_ne_u32_e32 vcc, s22, v7
	v_mov_b32_e32 v13, 0x7f800001
	s_and_saveexec_b64 s[22:23], vcc
	s_cbranch_execz .LBB509_740
; %bb.739:
	v_and_b32_e32 v10, 7, v6
	v_ffbh_u32_e32 v14, v10
	v_min_u32_e32 v16, 32, v14
	v_subrev_u32_e32 v14, 28, v16
	v_lshlrev_b64 v[14:15], v14, v[6:7]
	v_lshrrev_b32_e32 v13, 3, v7
	v_sub_u32_e32 v6, 29, v16
	v_and_b32_e32 v14, 7, v14
	v_cmp_gt_u32_e32 vcc, 8, v7
	v_cndmask_b32_e32 v6, v13, v6, vcc
	v_cndmask_b32_e32 v7, v10, v14, vcc
	v_lshlrev_b32_e32 v10, 16, v8
	v_bfrev_b32_e32 v13, 60
	v_lshlrev_b32_e32 v7, 20, v7
	v_and_b32_e32 v10, 0x80000000, v10
	v_lshl_add_u32 v6, v6, 23, v13
	v_or3_b32 v13, v10, v6, v7
.LBB509_740:
	s_or_b64 exec, exec, s[22:23]
.LBB509_741:
	s_or_b64 exec, exec, s[20:21]
.LBB509_742:
	s_or_b64 exec, exec, s[10:11]
	s_movk_i32 s10, 0xff
	v_and_b32_sdwa v7, v8, s10 dst_sel:DWORD dst_unused:UNUSED_PAD src0_sel:WORD_1 src1_sel:DWORD
	v_lshrrev_b32_e32 v6, 16, v8
	v_cmp_ne_u16_e32 vcc, 0, v7
	s_and_saveexec_b64 s[10:11], vcc
	s_cbranch_execz .LBB509_748
; %bb.743:
	s_movk_i32 s20, 0x80
	v_cmp_ne_u16_e32 vcc, s20, v7
	v_bfrev_b32_e32 v11, 1
	s_and_saveexec_b64 s[20:21], vcc
	s_cbranch_execz .LBB509_747
; %bb.744:
	v_bfe_u32 v7, v8, 16, 7
	s_movk_i32 s22, 0x7f
	v_cmp_ne_u32_e32 vcc, s22, v7
	v_mov_b32_e32 v11, 0x7f800001
	s_and_saveexec_b64 s[22:23], vcc
	s_cbranch_execz .LBB509_746
; %bb.745:
	v_and_b32_e32 v14, 7, v6
	v_ffbh_u32_e32 v10, v14
	v_min_u32_e32 v16, 32, v10
	v_subrev_u32_e32 v10, 28, v16
	v_lshlrev_b64 v[10:11], v10, v[6:7]
	v_and_b32_e32 v10, 7, v10
	v_cmp_gt_u32_e32 vcc, 8, v7
	v_lshrrev_b32_e32 v15, 3, v7
	v_sub_u32_e32 v6, 29, v16
	v_cndmask_b32_e32 v7, v14, v10, vcc
	v_mov_b32_e32 v10, 24
	v_cndmask_b32_e32 v6, v15, v6, vcc
	v_lshlrev_b32_sdwa v10, v10, v8 dst_sel:DWORD dst_unused:UNUSED_PAD src0_sel:DWORD src1_sel:WORD_1
	v_bfrev_b32_e32 v11, 60
	v_lshlrev_b32_e32 v7, 20, v7
	v_and_b32_e32 v10, 0x80000000, v10
	v_lshl_add_u32 v6, v6, 23, v11
	v_or3_b32 v11, v10, v6, v7
.LBB509_746:
	s_or_b64 exec, exec, s[22:23]
.LBB509_747:
	s_or_b64 exec, exec, s[20:21]
.LBB509_748:
	s_or_b64 exec, exec, s[10:11]
	s_mov_b32 s10, 0xffffff
	v_cmp_lt_u32_e32 vcc, s10, v8
	v_mov_b32_e32 v7, 0
	v_mov_b32_e32 v14, 0
	s_and_saveexec_b64 s[10:11], vcc
	s_cbranch_execz .LBB509_754
; %bb.749:
	v_lshrrev_b32_e32 v6, 24, v8
	s_movk_i32 s20, 0x80
	v_cmp_ne_u32_e32 vcc, s20, v6
	v_bfrev_b32_e32 v14, 1
	s_and_saveexec_b64 s[20:21], vcc
	s_cbranch_execz .LBB509_753
; %bb.750:
	v_bfe_u32 v10, v8, 24, 7
	s_movk_i32 s22, 0x7f
	v_cmp_ne_u32_e32 vcc, s22, v10
	v_mov_b32_e32 v14, 0x7f800001
	s_and_saveexec_b64 s[22:23], vcc
	s_cbranch_execz .LBB509_752
; %bb.751:
	v_and_b32_e32 v16, 7, v6
	v_ffbh_u32_e32 v14, v16
	v_min_u32_e32 v18, 32, v14
	v_subrev_u32_e32 v14, 28, v18
	v_lshlrev_b64 v[14:15], v14, v[6:7]
	v_lshrrev_b32_e32 v17, 3, v10
	v_sub_u32_e32 v15, 29, v18
	v_and_b32_e32 v14, 7, v14
	v_cmp_gt_u32_e32 vcc, 8, v10
	v_cndmask_b32_e32 v10, v17, v15, vcc
	v_cndmask_b32_e32 v14, v16, v14, vcc
	v_lshlrev_b32_e32 v6, 24, v6
	v_bfrev_b32_e32 v15, 60
	v_lshlrev_b32_e32 v14, 20, v14
	v_and_b32_e32 v6, 0x80000000, v6
	v_lshl_add_u32 v10, v10, 23, v15
	v_or3_b32 v14, v6, v10, v14
.LBB509_752:
	s_or_b64 exec, exec, s[22:23]
.LBB509_753:
	s_or_b64 exec, exec, s[20:21]
.LBB509_754:
	s_or_b64 exec, exec, s[10:11]
	v_mov_b32_e32 v6, v9
	v_cmp_ne_u16_sdwa s[20:21], v9, v7 src0_sel:BYTE_0 src1_sel:DWORD
	s_and_saveexec_b64 s[10:11], s[20:21]
	s_cbranch_execz .LBB509_760
; %bb.755:
	s_movk_i32 s20, 0x80
	v_cmp_ne_u16_sdwa s[22:23], v9, s20 src0_sel:BYTE_0 src1_sel:DWORD
	v_bfrev_b32_e32 v10, 1
	s_and_saveexec_b64 s[20:21], s[22:23]
	s_cbranch_execz .LBB509_759
; %bb.756:
	s_movk_i32 s22, 0x7f
	v_and_b32_e32 v15, 0x7f, v9
	v_cmp_ne_u32_e32 vcc, s22, v15
	v_mov_b32_e32 v10, 0x7f800001
	s_and_saveexec_b64 s[22:23], vcc
	s_cbranch_execz .LBB509_758
; %bb.757:
	v_and_b32_e32 v10, 7, v9
	v_ffbh_u32_e32 v10, v10
	v_min_u32_e32 v10, 32, v10
	v_subrev_u32_e32 v17, 28, v10
	v_cmp_gt_u32_e32 vcc, 8, v15
	v_lshrrev_b32_e32 v16, 3, v15
	v_sub_u32_e32 v10, 29, v10
	v_cndmask_b32_e32 v15, 0, v17, vcc
	v_cndmask_b32_e32 v10, v16, v10, vcc
	v_lshlrev_b64 v[16:17], v15, v[6:7]
	v_lshlrev_b32_e32 v7, 20, v16
	v_lshlrev_b32_e32 v15, 24, v6
	v_bfrev_b32_e32 v16, 60
	v_and_b32_e32 v7, 0x700000, v7
	v_and_b32_e32 v15, 0x80000000, v15
	v_lshl_add_u32 v10, v10, 23, v16
	v_or3_b32 v10, v15, v10, v7
.LBB509_758:
	s_or_b64 exec, exec, s[22:23]
.LBB509_759:
	s_or_b64 exec, exec, s[20:21]
	v_mov_b32_e32 v7, v10
.LBB509_760:
	s_or_b64 exec, exec, s[10:11]
	v_lshrrev_b16_e32 v10, 8, v6
	v_cmp_ne_u16_e32 vcc, 0, v10
	v_mov_b32_e32 v15, 0
	v_mov_b32_e32 v16, 0
	s_and_saveexec_b64 s[10:11], vcc
	s_cbranch_execz .LBB509_766
; %bb.761:
	s_movk_i32 s20, 0x80
	v_cmp_ne_u16_e32 vcc, s20, v10
	v_bfrev_b32_e32 v16, 1
	s_and_saveexec_b64 s[20:21], vcc
	s_cbranch_execz .LBB509_765
; %bb.762:
	s_movk_i32 s22, 0x7f
	v_and_b32_e32 v17, 0x7f, v10
	v_cmp_ne_u32_e32 vcc, s22, v17
	v_mov_b32_e32 v16, 0x7f800001
	s_and_saveexec_b64 s[22:23], vcc
	s_cbranch_execz .LBB509_764
; %bb.763:
	v_and_b32_e32 v16, 7, v10
	v_ffbh_u32_e32 v18, v16
	v_min_u32_e32 v21, 32, v18
	v_subrev_u32_e32 v18, 28, v21
	v_lshlrev_b64 v[18:19], v18, v[10:11]
	v_lshrrev_b32_e32 v20, 3, v17
	v_sub_u32_e32 v10, 29, v21
	v_and_b32_e32 v18, 7, v18
	v_cmp_gt_u32_e32 vcc, 8, v17
	v_cndmask_b32_e32 v10, v20, v10, vcc
	v_cndmask_b32_e32 v16, v16, v18, vcc
	v_lshlrev_b32_e32 v6, 16, v6
	v_bfrev_b32_e32 v17, 60
	v_lshlrev_b32_e32 v16, 20, v16
	v_and_b32_e32 v6, 0x80000000, v6
	v_lshl_add_u32 v10, v10, 23, v17
	v_or3_b32 v16, v6, v10, v16
.LBB509_764:
	s_or_b64 exec, exec, s[22:23]
.LBB509_765:
	s_or_b64 exec, exec, s[20:21]
.LBB509_766:
	s_or_b64 exec, exec, s[10:11]
	s_movk_i32 s10, 0xff
	v_and_b32_sdwa v10, v9, s10 dst_sel:DWORD dst_unused:UNUSED_PAD src0_sel:WORD_1 src1_sel:DWORD
	v_lshrrev_b32_e32 v6, 16, v9
	v_cmp_ne_u16_e32 vcc, 0, v10
	s_and_saveexec_b64 s[10:11], vcc
	s_cbranch_execz .LBB509_772
; %bb.767:
	s_movk_i32 s20, 0x80
	v_cmp_ne_u16_e32 vcc, s20, v10
	v_bfrev_b32_e32 v15, 1
	s_and_saveexec_b64 s[20:21], vcc
	s_cbranch_execz .LBB509_771
; %bb.768:
	v_bfe_u32 v10, v9, 16, 7
	s_movk_i32 s22, 0x7f
	v_cmp_ne_u32_e32 vcc, s22, v10
	v_mov_b32_e32 v15, 0x7f800001
	s_and_saveexec_b64 s[22:23], vcc
	s_cbranch_execz .LBB509_770
; %bb.769:
	v_and_b32_e32 v15, 7, v6
	v_ffbh_u32_e32 v18, v15
	v_min_u32_e32 v20, 32, v18
	v_subrev_u32_e32 v18, 28, v20
	v_lshlrev_b64 v[18:19], v18, v[6:7]
	v_and_b32_e32 v18, 7, v18
	v_cmp_gt_u32_e32 vcc, 8, v10
	v_lshrrev_b32_e32 v17, 3, v10
	v_sub_u32_e32 v6, 29, v20
	v_cndmask_b32_e32 v10, v15, v18, vcc
	v_mov_b32_e32 v15, 24
	v_cndmask_b32_e32 v6, v17, v6, vcc
	v_lshlrev_b32_sdwa v15, v15, v9 dst_sel:DWORD dst_unused:UNUSED_PAD src0_sel:DWORD src1_sel:WORD_1
	v_bfrev_b32_e32 v17, 60
	v_lshlrev_b32_e32 v10, 20, v10
	v_and_b32_e32 v15, 0x80000000, v15
	v_lshl_add_u32 v6, v6, 23, v17
	v_or3_b32 v15, v15, v6, v10
.LBB509_770:
	s_or_b64 exec, exec, s[22:23]
.LBB509_771:
	s_or_b64 exec, exec, s[20:21]
.LBB509_772:
	s_or_b64 exec, exec, s[10:11]
	s_mov_b32 s10, -1
	s_mov_b32 s11, 0xffffff
	v_cmp_lt_u64_e32 vcc, s[10:11], v[8:9]
	v_mov_b32_e32 v8, 0
	s_and_saveexec_b64 s[10:11], vcc
	s_cbranch_execz .LBB509_778
; %bb.773:
	v_lshrrev_b32_e32 v6, 24, v9
	s_movk_i32 s20, 0x80
	v_cmp_ne_u32_e32 vcc, s20, v6
	v_bfrev_b32_e32 v8, 1
	s_and_saveexec_b64 s[20:21], vcc
	s_cbranch_execz .LBB509_777
; %bb.774:
	v_bfe_u32 v9, v9, 24, 7
	s_movk_i32 s22, 0x7f
	v_cmp_ne_u32_e32 vcc, s22, v9
	v_mov_b32_e32 v8, 0x7f800001
	s_and_saveexec_b64 s[22:23], vcc
	s_cbranch_execz .LBB509_776
; %bb.775:
	v_and_b32_e32 v8, 7, v6
	v_ffbh_u32_e32 v17, v8
	v_min_u32_e32 v17, 32, v17
	v_subrev_u32_e32 v18, 28, v17
	v_lshlrev_b64 v[18:19], v18, v[6:7]
	v_lshrrev_b32_e32 v10, 3, v9
	v_sub_u32_e32 v17, 29, v17
	v_and_b32_e32 v18, 7, v18
	v_cmp_gt_u32_e32 vcc, 8, v9
	v_cndmask_b32_e32 v9, v10, v17, vcc
	v_cndmask_b32_e32 v8, v8, v18, vcc
	v_lshlrev_b32_e32 v6, 24, v6
	v_bfrev_b32_e32 v10, 60
	v_lshlrev_b32_e32 v8, 20, v8
	v_and_b32_e32 v6, 0x80000000, v6
	v_lshl_add_u32 v9, v9, 23, v10
	v_or3_b32 v8, v6, v9, v8
.LBB509_776:
	s_or_b64 exec, exec, s[22:23]
.LBB509_777:
	s_or_b64 exec, exec, s[20:21]
.LBB509_778:
	s_or_b64 exec, exec, s[10:11]
	s_load_dword s4, s[4:5], 0x1c
	v_cvt_pkrtz_f16_f32 v10, v12, v13
	v_cvt_pkrtz_f16_f32 v11, v11, v14
	s_load_dword s5, s[12:13], 0x0
	v_cvt_pkrtz_f16_f32 v6, v7, v16
	v_mfma_f32_4x4x4f16 a[0:3], v[2:3], v[10:11], a[0:3] cbsz:4 abid:15
	v_cvt_pkrtz_f16_f32 v7, v15, v8
	s_waitcnt lgkmcnt(0)
	v_mov_b32_e32 v2, s4
	v_cmp_eq_u32_e32 vcc, 0, v44
	v_mfma_f32_4x4x4f16 a[0:3], v[4:5], v[6:7], a[0:3] cbsz:4 abid:15
	v_mul_f32_e32 v4, s5, v2
	v_mov_b32_e32 v9, 0xff7fffff
	s_nop 2
	v_accvgpr_read_b32 v7, a1
	v_accvgpr_read_b32 v6, a0
	v_pk_mul_f32 v[6:7], v[6:7], v[4:5] op_sel_hi:[1,0]
	v_accvgpr_read_b32 v3, a3
	v_accvgpr_read_b32 v2, a2
	v_pk_mul_f32 v[2:3], v[2:3], v[4:5] op_sel_hi:[1,0]
	v_cndmask_b32_e64 v4, 0, 1.0, vcc
	v_cmp_eq_u32_e32 vcc, 1, v44
	s_nop 0
	v_mfma_f32_4x4x1f32 a[0:3], v6, v4, 0
	v_cndmask_b32_e64 v4, 0, 1.0, vcc
	v_cmp_eq_u32_e32 vcc, 2, v44
	s_nop 0
	v_mfma_f32_4x4x1f32 a[0:3], v7, v4, a[0:3]
	v_cndmask_b32_e64 v4, 0, 1.0, vcc
	v_cmp_eq_u32_e32 vcc, 3, v44
	s_nop 0
	v_mfma_f32_4x4x1f32 a[0:3], v2, v4, a[0:3]
	v_cndmask_b32_e64 v2, 0, 1.0, vcc
	s_nop 1
	v_mfma_f32_4x4x1f32 a[0:3], v3, v2, a[0:3]
	v_and_b32_e32 v2, -4, v45
	v_subrev_u32_e32 v3, s9, v2
	v_add_u32_e32 v4, 1, v3
	v_cvt_f32_i32_e32 v4, v4
	v_add_u32_e32 v5, 2, v3
	v_cvt_f32_i32_e32 v5, v5
	v_accvgpr_read_b32 v6, a0
	v_fma_f32 v4, v46, v4, v6
	v_accvgpr_read_b32 v6, a1
	v_fma_f32 v5, v46, v5, v6
	v_add_u32_e32 v6, 3, v3
	v_cvt_f32_i32_e32 v6, v6
	v_accvgpr_read_b32 v7, a2
	v_add_u32_e32 v3, 4, v3
	v_cmp_gt_i32_e32 vcc, s9, v2
	v_fma_f32 v7, v46, v6, v7
	v_max_f32_e32 v6, 0xff7fffff, v4
	v_cvt_f32_i32_e32 v3, v3
	v_cndmask_b32_e32 v6, v9, v6, vcc
	v_or_b32_e32 v9, 1, v2
	v_max_f32_e32 v10, v6, v5
	v_cmp_gt_i32_e64 s[4:5], s9, v9
	v_cndmask_b32_e64 v6, v6, v10, s[4:5]
	v_or_b32_e32 v2, 2, v2
	v_accvgpr_read_b32 v8, a3
	v_max_f32_e32 v9, v6, v7
	v_cmp_gt_i32_e64 s[10:11], s9, v2
	v_fmac_f32_e32 v8, v46, v3
	v_cndmask_b32_e64 v2, v6, v9, s[10:11]
	v_or_b32_e32 v6, 3, v45
	v_max_f32_e32 v9, v2, v8
	v_cmp_gt_i32_e64 s[12:13], s9, v6
	v_lshlrev_b32_e32 v3, 2, v0
	v_cndmask_b32_e64 v2, v2, v9, s[12:13]
	v_and_or_b32 v3, v3, 48, v44
	;;#ASMSTART
	v_nop
 v_nop
 v_max_f32_dpp v2, v2, v2 row_ror:4
	;;#ASMEND
	v_lshlrev_b32_e32 v9, 2, v3
	;;#ASMSTART
	v_nop
 v_nop
 v_max_f32_dpp v2, v2, v2 row_ror:8
	;;#ASMEND
	ds_bpermute_b32 v2, v9, v2
	s_waitcnt lgkmcnt(0)
	;;#ASMSTART
	v_nop
 v_nop
 v_max_f32_dpp v2, v2, v2 row_ror:4
	;;#ASMEND
	;;#ASMSTART
	v_nop
 v_nop
 v_max_f32_dpp v6, v2, v2 row_ror:8
	;;#ASMEND
	v_sub_f32_e32 v2, v4, v6
	v_mul_f32_e32 v2, 0x3fb8aa3b, v2
	v_sub_f32_e32 v3, v5, v6
	v_exp_f32_e32 v2, v2
	v_mul_f32_e32 v3, 0x3fb8aa3b, v3
	v_sub_f32_e32 v5, v7, v6
	v_exp_f32_e32 v3, v3
	v_mul_f32_e32 v5, 0x3fb8aa3b, v5
	v_sub_f32_e32 v7, v8, v6
	v_exp_f32_e32 v5, v5
	v_mul_f32_e32 v7, 0x3fb8aa3b, v7
	v_exp_f32_e32 v7, v7
	v_cndmask_b32_e32 v2, 0, v2, vcc
	v_add_f32_e32 v4, 0, v2
	v_cndmask_b32_e64 v3, 0, v3, s[4:5]
	v_add_f32_e32 v8, v4, v3
	v_cndmask_b32_e64 v4, 0, v5, s[10:11]
	;; [unrolled: 2-line block ×3, first 2 shown]
	v_add_f32_e32 v7, v8, v5
	;;#ASMSTART
	v_nop
 v_nop
 v_add_f32_dpp v7, v7, v7 row_ror:4
	;;#ASMEND
	;;#ASMSTART
	v_nop
 v_nop
 v_add_f32_dpp v7, v7, v7 row_ror:8
	;;#ASMEND
	ds_bpermute_b32 v7, v9, v7
	s_waitcnt lgkmcnt(0)
	;;#ASMSTART
	v_nop
 v_nop
 v_add_f32_dpp v7, v7, v7 row_ror:4
	;;#ASMEND
	v_cmp_gt_u32_e32 vcc, 4, v1
	;;#ASMSTART
	v_nop
 v_nop
 v_add_f32_dpp v7, v7, v7 row_ror:8
	;;#ASMEND
	s_and_saveexec_b64 s[4:5], vcc
	s_cbranch_execz .LBB509_780
; %bb.779:
	v_mul_u32_u24_e32 v8, 20, v43
	v_lshl_add_u32 v8, v44, 2, v8
	v_add_u32_e32 v8, 0x1400, v8
	ds_write2_b32 v8, v6, v7 offset1:20
.LBB509_780:
	s_or_b64 exec, exec, s[4:5]
.LBB509_781:
	s_or_b64 exec, exec, s[36:37]
	v_lshlrev_b32_e32 v7, 2, v44
	v_add_u32_e32 v7, 0x1400, v7
	s_waitcnt lgkmcnt(0)
	s_barrier
	s_load_dword s4, s[34:35], 0x8
	ds_read2_b32 v[10:11], v7 offset1:5
	ds_read2_b32 v[12:13], v7 offset0:10 offset1:15
	s_mov_b32 s12, 0xff7fffff
	s_mul_i32 s5, s8, s48
	ds_read2_b32 v[14:15], v7 offset0:20 offset1:25
	s_waitcnt lgkmcnt(0)
	v_max3_f32 v8, v10, s12, v11
	v_max3_f32 v8, v8, v12, v13
	v_sub_f32_e32 v9, v10, v8
	v_sub_f32_e32 v10, v11, v8
	v_mul_f32_e32 v9, 0x3fb8aa3b, v9
	v_mul_f32_e32 v10, 0x3fb8aa3b, v10
	s_mul_i32 s5, s5, s4
	v_exp_f32_e32 v9, v9
	v_exp_f32_e32 v16, v10
	ds_read2_b32 v[10:11], v7 offset0:30 offset1:35
	v_sub_f32_e32 v7, v12, v8
	s_lshl_b32 s4, s5, 2
	s_mov_b32 s5, 0
	v_mul_f32_e32 v7, 0x3fb8aa3b, v7
	v_sub_f32_e32 v12, v13, v8
	s_lshl_b64 s[8:9], s[4:5], 2
	v_exp_f32_e32 v7, v7
	v_mul_f32_e32 v12, 0x3fb8aa3b, v12
	s_add_u32 s10, s16, s8
	v_exp_f32_e32 v12, v12
	s_addc_u32 s11, s17, s9
	v_fma_f32 v9, v9, v14, 0
	s_mov_b32 s29, s5
	s_add_u32 s12, s18, s8
	v_fmac_f32_e32 v9, v16, v15
	s_addc_u32 s13, s19, s9
	s_lshl_b64 s[8:9], s[28:29], 2
	s_waitcnt lgkmcnt(0)
	v_fmac_f32_e32 v9, v7, v10
	s_add_u32 s12, s12, s8
	v_fmac_f32_e32 v9, v12, v11
	v_mul_lo_u32 v10, s48, v38
	v_mov_b32_e32 v11, 0
	s_addc_u32 s13, s13, s9
	v_lshlrev_b64 v[10:11], 2, v[10:11]
	s_add_u32 s8, s10, s8
	v_mov_b32_e32 v7, s13
	v_add_co_u32_e32 v12, vcc, s12, v10
	s_addc_u32 s9, s11, s9
	v_addc_co_u32_e32 v13, vcc, v7, v11, vcc
	v_mov_b32_e32 v7, s9
	v_add_co_u32_e32 v10, vcc, s8, v10
	v_addc_co_u32_e32 v11, vcc, v7, v11, vcc
	v_lshlrev_b32_e32 v7, 3, v43
	global_store_dword v[12:13], v8, off
	global_store_dword v[10:11], v9, off
	s_and_saveexec_b64 s[8:9], s[6:7]
	s_xor_b64 s[6:7], exec, s[8:9]
	s_cbranch_execz .LBB509_783
; %bb.782:
	s_mov_b32 s8, s5
	s_mov_b32 s9, s5
	v_mad_u32_u24 v4, v1, 40, v7
	v_pk_mov_b32 v[2:3], s[8:9], s[8:9] op_sel:[0,1]
	ds_write2st64_b64 v4, v[2:3], v[2:3] offset1:5
                                        ; implicit-def: $vgpr7
                                        ; implicit-def: $vgpr6
                                        ; implicit-def: $vgpr8
                                        ; implicit-def: $vgpr9
                                        ; implicit-def: $vgpr4
                                        ; implicit-def: $vgpr2
.LBB509_783:
	s_andn2_saveexec_b64 s[6:7], s[6:7]
	s_cbranch_execz .LBB509_1171
; %bb.784:
	v_add_f32_e32 v9, 0x358637bd, v9
	v_div_scale_f32 v10, s[8:9], v9, v9, 1.0
	v_rcp_f32_e32 v11, v10
	v_sub_f32_e32 v6, v6, v8
	v_mul_f32_e32 v6, 0x3fb8aa3b, v6
	v_exp_f32_e32 v6, v6
	v_fma_f32 v8, -v10, v11, 1.0
	v_fmac_f32_e32 v11, v8, v11
	v_div_scale_f32 v8, vcc, 1.0, v9, 1.0
	v_mul_f32_e32 v12, v8, v11
	v_fma_f32 v13, -v10, v12, v8
	v_fmac_f32_e32 v12, v13, v11
	v_fma_f32 v8, -v10, v12, v8
	v_div_fmas_f32 v8, v8, v11, v12
	v_div_fixup_f32 v8, v8, v9, 1.0
	v_mul_f32_e32 v6, v6, v8
	v_pk_mul_f32 v[4:5], v[4:5], v[6:7] op_sel_hi:[1,0]
	v_pk_mul_f32 v[2:3], v[2:3], v[6:7] op_sel_hi:[1,0]
	s_load_dword s8, s[14:15], 0x0
	v_cvt_f16_f32_e32 v2, v2
	v_cvt_f16_f32_e32 v3, v3
	;; [unrolled: 1-line block ×4, first 2 shown]
	v_mov_b32_e32 v11, 0
	v_add_u32_e32 v5, 64, v11
	v_pack_b32_f16 v2, v2, v3
	v_pack_b32_f16 v3, v4, v6
	s_waitcnt lgkmcnt(0)
	s_mov_b32 s9, s8
	s_mov_b32 s10, s8
	;; [unrolled: 1-line block ×4, first 2 shown]
	s_mov_b64 s[12:13], -1
	s_movk_i32 s5, 0x80
	s_movk_i32 s21, 0x7f
	s_mov_b32 s22, 0xffffff
	v_mov_b32_e32 v9, 0
	v_bfrev_b32_e32 v10, 60
	s_branch .LBB509_788
.LBB509_785:                            ;   in Loop: Header=BB509_788 Depth=1
	s_or_b64 exec, exec, s[18:19]
.LBB509_786:                            ;   in Loop: Header=BB509_788 Depth=1
	s_or_b64 exec, exec, s[16:17]
.LBB509_787:                            ;   in Loop: Header=BB509_788 Depth=1
	s_or_b64 exec, exec, s[14:15]
	v_cvt_pkrtz_f16_f32 v12, v13, v12
	v_cvt_pkrtz_f16_f32 v13, v11, v15
	;; [unrolled: 1-line block ×4, first 2 shown]
	v_mfma_f32_4x4x4f16 a[0:3], v[2:3], v[12:13], a[0:3] cbsz:4 abid:14
	s_mul_i32 s14, s20, 0xa00
	v_mfma_f32_4x4x4f16 a[0:3], v[2:3], v[14:15], a[0:3] cbsz:4 abid:15
	s_mov_b32 s20, 1
	s_nop 3
	v_accvgpr_read_b32 v15, a1
	v_accvgpr_read_b32 v14, a0
	v_pk_mul_f32 v[14:15], v[14:15], s[8:9]
	v_accvgpr_read_b32 v13, a3
	v_accvgpr_read_b32 v12, a2
	v_cvt_f16_f32_e32 v4, v14
	v_cvt_f16_f32_e32 v6, v15
	v_pk_mul_f32 v[12:13], v[12:13], s[10:11]
	v_cvt_f16_f32_e32 v8, v12
	v_cvt_f16_f32_e32 v11, v13
	v_pack_b32_f16 v12, v4, v6
	v_mul_u32_u24_e32 v4, 40, v1
	v_add3_u32 v4, s14, v4, v7
	s_xor_b64 s[14:15], s[12:13], -1
	v_pack_b32_f16 v13, v8, v11
	s_mov_b64 s[12:13], 0
	s_andn2_b64 vcc, exec, s[14:15]
	v_mov_b32_e32 v11, v5
	ds_write_b64 v4, v[12:13]
	s_cbranch_vccz .LBB509_1171
.LBB509_788:                            ; =>This Inner Loop Header: Depth=1
	buffer_load_dword v6, v11, s[0:3], 0 offen
	buffer_load_dword v4, v11, s[0:3], 0 offen offset:4
	v_mov_b32_e32 v13, 0
	s_waitcnt vmcnt(1)
	v_cmp_ne_u16_sdwa s[16:17], v6, v9 src0_sel:BYTE_0 src1_sel:DWORD
	s_and_saveexec_b64 s[14:15], s[16:17]
	s_cbranch_execz .LBB509_794
; %bb.789:                              ;   in Loop: Header=BB509_788 Depth=1
	v_cmp_ne_u16_sdwa s[18:19], v6, s5 src0_sel:BYTE_0 src1_sel:DWORD
	v_bfrev_b32_e32 v13, 1
	s_and_saveexec_b64 s[16:17], s[18:19]
	s_cbranch_execz .LBB509_793
; %bb.790:                              ;   in Loop: Header=BB509_788 Depth=1
	v_and_b32_e32 v8, 0x7f, v6
	v_cmp_ne_u32_e32 vcc, s21, v8
	v_mov_b32_e32 v13, 0x7f800001
	s_and_saveexec_b64 s[18:19], vcc
	s_cbranch_execz .LBB509_792
; %bb.791:                              ;   in Loop: Header=BB509_788 Depth=1
	v_and_b32_e32 v14, 7, v6
	v_ffbh_u32_e32 v12, v14
	v_min_u32_e32 v16, 32, v12
	v_subrev_u32_e32 v12, 28, v16
	v_lshlrev_b64 v[12:13], v12, v[6:7]
	v_lshrrev_b32_e32 v15, 3, v8
	v_sub_u32_e32 v13, 29, v16
	v_and_b32_e32 v12, 7, v12
	v_cmp_gt_u32_e32 vcc, 8, v8
	v_cndmask_b32_e32 v8, v15, v13, vcc
	v_cndmask_b32_e32 v12, v14, v12, vcc
	v_lshlrev_b32_e32 v13, 24, v6
	v_lshlrev_b32_e32 v12, 20, v12
	v_and_b32_e32 v13, 0x80000000, v13
	v_lshl_add_u32 v8, v8, 23, v10
	v_or3_b32 v13, v13, v8, v12
.LBB509_792:                            ;   in Loop: Header=BB509_788 Depth=1
	s_or_b64 exec, exec, s[18:19]
.LBB509_793:                            ;   in Loop: Header=BB509_788 Depth=1
	s_or_b64 exec, exec, s[16:17]
.LBB509_794:                            ;   in Loop: Header=BB509_788 Depth=1
	s_or_b64 exec, exec, s[14:15]
	v_lshrrev_b16_e32 v8, 8, v6
	v_cmp_ne_u16_e32 vcc, 0, v8
	v_mov_b32_e32 v14, 0
	v_mov_b32_e32 v15, 0
	s_and_saveexec_b64 s[14:15], vcc
	s_cbranch_execz .LBB509_800
; %bb.795:                              ;   in Loop: Header=BB509_788 Depth=1
	v_cmp_ne_u16_e32 vcc, s5, v8
	v_bfrev_b32_e32 v15, 1
	s_and_saveexec_b64 s[16:17], vcc
	s_cbranch_execz .LBB509_799
; %bb.796:                              ;   in Loop: Header=BB509_788 Depth=1
	v_and_b32_e32 v12, 0x7f, v8
	v_cmp_ne_u32_e32 vcc, s21, v12
	v_mov_b32_e32 v15, 0x7f800001
	s_and_saveexec_b64 s[18:19], vcc
	s_cbranch_execz .LBB509_798
; %bb.797:                              ;   in Loop: Header=BB509_788 Depth=1
	v_and_b32_e32 v15, 7, v8
	v_ffbh_u32_e32 v16, v15
	v_min_u32_e32 v19, 32, v16
	v_subrev_u32_e32 v16, 28, v19
	v_lshlrev_b64 v[16:17], v16, v[8:9]
	v_lshrrev_b32_e32 v18, 3, v12
	v_sub_u32_e32 v8, 29, v19
	v_and_b32_e32 v16, 7, v16
	v_cmp_gt_u32_e32 vcc, 8, v12
	v_cndmask_b32_e32 v8, v18, v8, vcc
	v_cndmask_b32_e32 v12, v15, v16, vcc
	v_lshlrev_b32_e32 v15, 16, v6
	v_lshlrev_b32_e32 v12, 20, v12
	v_and_b32_e32 v15, 0x80000000, v15
	v_lshl_add_u32 v8, v8, 23, v10
	v_or3_b32 v15, v15, v8, v12
.LBB509_798:                            ;   in Loop: Header=BB509_788 Depth=1
	s_or_b64 exec, exec, s[18:19]
.LBB509_799:                            ;   in Loop: Header=BB509_788 Depth=1
	s_or_b64 exec, exec, s[16:17]
.LBB509_800:                            ;   in Loop: Header=BB509_788 Depth=1
	s_or_b64 exec, exec, s[14:15]
	v_lshrrev_b32_e32 v8, 16, v6
	v_cmp_ne_u16_sdwa s[16:17], v8, v9 src0_sel:BYTE_0 src1_sel:DWORD
	s_and_saveexec_b64 s[14:15], s[16:17]
	s_cbranch_execz .LBB509_806
; %bb.801:                              ;   in Loop: Header=BB509_788 Depth=1
	v_cmp_ne_u16_sdwa s[18:19], v8, s5 src0_sel:BYTE_0 src1_sel:DWORD
	v_bfrev_b32_e32 v14, 1
	s_and_saveexec_b64 s[16:17], s[18:19]
	s_cbranch_execz .LBB509_805
; %bb.802:                              ;   in Loop: Header=BB509_788 Depth=1
	v_bfe_u32 v12, v6, 16, 7
	v_cmp_ne_u32_e32 vcc, s21, v12
	v_mov_b32_e32 v14, 0x7f800001
	s_and_saveexec_b64 s[18:19], vcc
	s_cbranch_execz .LBB509_804
; %bb.803:                              ;   in Loop: Header=BB509_788 Depth=1
	v_and_b32_e32 v14, 7, v8
	v_ffbh_u32_e32 v16, v14
	v_min_u32_e32 v19, 32, v16
	v_subrev_u32_e32 v16, 28, v19
	v_lshlrev_b64 v[16:17], v16, v[8:9]
	v_lshrrev_b32_e32 v18, 3, v12
	v_sub_u32_e32 v17, 29, v19
	v_and_b32_e32 v16, 7, v16
	v_cmp_gt_u32_e32 vcc, 8, v12
	v_cndmask_b32_e32 v12, v18, v17, vcc
	v_cndmask_b32_e32 v14, v14, v16, vcc
	v_lshlrev_b32_e32 v8, 24, v8
	v_lshlrev_b32_e32 v14, 20, v14
	v_and_b32_e32 v8, 0x80000000, v8
	v_lshl_add_u32 v12, v12, 23, v10
	v_or3_b32 v14, v8, v12, v14
.LBB509_804:                            ;   in Loop: Header=BB509_788 Depth=1
	s_or_b64 exec, exec, s[18:19]
.LBB509_805:                            ;   in Loop: Header=BB509_788 Depth=1
	s_or_b64 exec, exec, s[16:17]
.LBB509_806:                            ;   in Loop: Header=BB509_788 Depth=1
	s_or_b64 exec, exec, s[14:15]
	v_cmp_lt_u32_e32 vcc, s22, v6
	v_mov_b32_e32 v16, 0
	v_mov_b32_e32 v17, 0
	s_and_saveexec_b64 s[14:15], vcc
	s_cbranch_execz .LBB509_812
; %bb.807:                              ;   in Loop: Header=BB509_788 Depth=1
	v_lshrrev_b32_e32 v8, 24, v6
	v_cmp_ne_u32_e32 vcc, s5, v8
	v_bfrev_b32_e32 v17, 1
	s_and_saveexec_b64 s[16:17], vcc
	s_cbranch_execz .LBB509_811
; %bb.808:                              ;   in Loop: Header=BB509_788 Depth=1
	v_bfe_u32 v6, v6, 24, 7
	v_cmp_ne_u32_e32 vcc, s21, v6
	v_mov_b32_e32 v17, 0x7f800001
	s_and_saveexec_b64 s[18:19], vcc
	s_cbranch_execz .LBB509_810
; %bb.809:                              ;   in Loop: Header=BB509_788 Depth=1
	v_and_b32_e32 v12, 7, v8
	v_ffbh_u32_e32 v18, v12
	v_min_u32_e32 v20, 32, v18
	v_subrev_u32_e32 v18, 28, v20
	v_lshlrev_b64 v[18:19], v18, v[8:9]
	v_lshrrev_b32_e32 v17, 3, v6
	v_sub_u32_e32 v19, 29, v20
	v_and_b32_e32 v18, 7, v18
	v_cmp_gt_u32_e32 vcc, 8, v6
	v_cndmask_b32_e32 v6, v17, v19, vcc
	v_cndmask_b32_e32 v12, v12, v18, vcc
	v_lshlrev_b32_e32 v8, 24, v8
	v_lshlrev_b32_e32 v12, 20, v12
	v_and_b32_e32 v8, 0x80000000, v8
	v_lshl_add_u32 v6, v6, 23, v10
	v_or3_b32 v17, v8, v6, v12
.LBB509_810:                            ;   in Loop: Header=BB509_788 Depth=1
	s_or_b64 exec, exec, s[18:19]
.LBB509_811:                            ;   in Loop: Header=BB509_788 Depth=1
	s_or_b64 exec, exec, s[16:17]
.LBB509_812:                            ;   in Loop: Header=BB509_788 Depth=1
	s_or_b64 exec, exec, s[14:15]
	s_waitcnt vmcnt(0)
	v_cmp_ne_u16_sdwa s[16:17], v4, v9 src0_sel:BYTE_0 src1_sel:DWORD
	s_and_saveexec_b64 s[14:15], s[16:17]
	s_cbranch_execz .LBB509_818
; %bb.813:                              ;   in Loop: Header=BB509_788 Depth=1
	v_cmp_ne_u16_sdwa s[18:19], v4, s5 src0_sel:BYTE_0 src1_sel:DWORD
	v_bfrev_b32_e32 v16, 1
	s_and_saveexec_b64 s[16:17], s[18:19]
	s_cbranch_execz .LBB509_817
; %bb.814:                              ;   in Loop: Header=BB509_788 Depth=1
	v_and_b32_e32 v6, 0x7f, v4
	v_cmp_ne_u32_e32 vcc, s21, v6
	v_mov_b32_e32 v16, 0x7f800001
	s_and_saveexec_b64 s[18:19], vcc
	s_cbranch_execz .LBB509_816
; %bb.815:                              ;   in Loop: Header=BB509_788 Depth=1
	v_and_b32_e32 v8, 7, v4
	v_ffbh_u32_e32 v16, v8
	v_min_u32_e32 v16, 32, v16
	v_subrev_u32_e32 v18, 28, v16
	v_lshlrev_b64 v[18:19], v18, v[4:5]
	v_lshrrev_b32_e32 v12, 3, v6
	v_sub_u32_e32 v16, 29, v16
	v_and_b32_e32 v18, 7, v18
	v_cmp_gt_u32_e32 vcc, 8, v6
	v_cndmask_b32_e32 v6, v12, v16, vcc
	v_cndmask_b32_e32 v8, v8, v18, vcc
	v_lshlrev_b32_e32 v12, 24, v4
	v_lshlrev_b32_e32 v8, 20, v8
	v_and_b32_e32 v12, 0x80000000, v12
	v_lshl_add_u32 v6, v6, 23, v10
	v_or3_b32 v16, v12, v6, v8
.LBB509_816:                            ;   in Loop: Header=BB509_788 Depth=1
	s_or_b64 exec, exec, s[18:19]
.LBB509_817:                            ;   in Loop: Header=BB509_788 Depth=1
	s_or_b64 exec, exec, s[16:17]
.LBB509_818:                            ;   in Loop: Header=BB509_788 Depth=1
	s_or_b64 exec, exec, s[14:15]
	v_lshrrev_b16_e32 v6, 8, v4
	v_cmp_ne_u16_e32 vcc, 0, v6
	v_mov_b32_e32 v8, 0
	v_mov_b32_e32 v18, 0
	s_and_saveexec_b64 s[14:15], vcc
	s_cbranch_execz .LBB509_824
; %bb.819:                              ;   in Loop: Header=BB509_788 Depth=1
	v_cmp_ne_u16_e32 vcc, s5, v6
	v_bfrev_b32_e32 v18, 1
	s_and_saveexec_b64 s[16:17], vcc
	s_cbranch_execz .LBB509_823
; %bb.820:                              ;   in Loop: Header=BB509_788 Depth=1
	v_and_b32_e32 v12, 0x7f, v6
	v_cmp_ne_u32_e32 vcc, s21, v12
	v_mov_b32_e32 v18, 0x7f800001
	s_and_saveexec_b64 s[18:19], vcc
	s_cbranch_execz .LBB509_822
; %bb.821:                              ;   in Loop: Header=BB509_788 Depth=1
	v_and_b32_e32 v20, 7, v6
	v_ffbh_u32_e32 v18, v20
	v_min_u32_e32 v22, 32, v18
	v_subrev_u32_e32 v18, 28, v22
	v_lshlrev_b64 v[18:19], v18, v[6:7]
	v_lshrrev_b32_e32 v21, 3, v12
	v_sub_u32_e32 v6, 29, v22
	v_and_b32_e32 v18, 7, v18
	v_cmp_gt_u32_e32 vcc, 8, v12
	v_cndmask_b32_e32 v6, v21, v6, vcc
	v_cndmask_b32_e32 v12, v20, v18, vcc
	v_lshlrev_b32_e32 v18, 16, v4
	v_lshlrev_b32_e32 v12, 20, v12
	v_and_b32_e32 v18, 0x80000000, v18
	v_lshl_add_u32 v6, v6, 23, v10
	v_or3_b32 v18, v18, v6, v12
.LBB509_822:                            ;   in Loop: Header=BB509_788 Depth=1
	s_or_b64 exec, exec, s[18:19]
.LBB509_823:                            ;   in Loop: Header=BB509_788 Depth=1
	s_or_b64 exec, exec, s[16:17]
.LBB509_824:                            ;   in Loop: Header=BB509_788 Depth=1
	s_or_b64 exec, exec, s[14:15]
	v_lshrrev_b32_e32 v6, 16, v4
	v_cmp_ne_u16_sdwa s[16:17], v6, v9 src0_sel:BYTE_0 src1_sel:DWORD
	s_and_saveexec_b64 s[14:15], s[16:17]
	s_cbranch_execz .LBB509_830
; %bb.825:                              ;   in Loop: Header=BB509_788 Depth=1
	v_cmp_ne_u16_sdwa s[18:19], v6, s5 src0_sel:BYTE_0 src1_sel:DWORD
	v_bfrev_b32_e32 v8, 1
	s_and_saveexec_b64 s[16:17], s[18:19]
	s_cbranch_execz .LBB509_829
; %bb.826:                              ;   in Loop: Header=BB509_788 Depth=1
	v_bfe_u32 v12, v4, 16, 7
	v_cmp_ne_u32_e32 vcc, s21, v12
	v_mov_b32_e32 v8, 0x7f800001
	s_and_saveexec_b64 s[18:19], vcc
	s_cbranch_execz .LBB509_828
; %bb.827:                              ;   in Loop: Header=BB509_788 Depth=1
	v_and_b32_e32 v8, 7, v6
	v_ffbh_u32_e32 v20, v8
	v_min_u32_e32 v22, 32, v20
	v_subrev_u32_e32 v20, 28, v22
	v_lshlrev_b64 v[20:21], v20, v[6:7]
	v_lshrrev_b32_e32 v19, 3, v12
	v_sub_u32_e32 v21, 29, v22
	v_and_b32_e32 v20, 7, v20
	v_cmp_gt_u32_e32 vcc, 8, v12
	v_cndmask_b32_e32 v12, v19, v21, vcc
	v_cndmask_b32_e32 v8, v8, v20, vcc
	v_lshlrev_b32_e32 v6, 24, v6
	v_lshlrev_b32_e32 v8, 20, v8
	v_and_b32_e32 v6, 0x80000000, v6
	v_lshl_add_u32 v12, v12, 23, v10
	v_or3_b32 v8, v6, v12, v8
.LBB509_828:                            ;   in Loop: Header=BB509_788 Depth=1
	s_or_b64 exec, exec, s[18:19]
.LBB509_829:                            ;   in Loop: Header=BB509_788 Depth=1
	s_or_b64 exec, exec, s[16:17]
.LBB509_830:                            ;   in Loop: Header=BB509_788 Depth=1
	s_or_b64 exec, exec, s[14:15]
	v_cmp_lt_u32_e32 vcc, s22, v4
	v_mov_b32_e32 v12, 0
	v_mov_b32_e32 v19, 0
	s_and_saveexec_b64 s[14:15], vcc
	s_cbranch_execz .LBB509_836
; %bb.831:                              ;   in Loop: Header=BB509_788 Depth=1
	v_lshrrev_b32_e32 v6, 24, v4
	v_cmp_ne_u32_e32 vcc, s5, v6
	v_bfrev_b32_e32 v19, 1
	s_and_saveexec_b64 s[16:17], vcc
	s_cbranch_execz .LBB509_835
; %bb.832:                              ;   in Loop: Header=BB509_788 Depth=1
	v_bfe_u32 v4, v4, 24, 7
	v_cmp_ne_u32_e32 vcc, s21, v4
	v_mov_b32_e32 v19, 0x7f800001
	s_and_saveexec_b64 s[18:19], vcc
	s_cbranch_execz .LBB509_834
; %bb.833:                              ;   in Loop: Header=BB509_788 Depth=1
	v_and_b32_e32 v19, 7, v6
	v_ffbh_u32_e32 v20, v19
	v_min_u32_e32 v23, 32, v20
	v_subrev_u32_e32 v20, 28, v23
	v_lshlrev_b64 v[20:21], v20, v[6:7]
	v_lshrrev_b32_e32 v22, 3, v4
	v_sub_u32_e32 v21, 29, v23
	v_and_b32_e32 v20, 7, v20
	v_cmp_gt_u32_e32 vcc, 8, v4
	v_cndmask_b32_e32 v4, v22, v21, vcc
	v_cndmask_b32_e32 v19, v19, v20, vcc
	v_lshlrev_b32_e32 v6, 24, v6
	v_lshlrev_b32_e32 v19, 20, v19
	v_and_b32_e32 v6, 0x80000000, v6
	v_lshl_add_u32 v4, v4, 23, v10
	v_or3_b32 v19, v6, v4, v19
.LBB509_834:                            ;   in Loop: Header=BB509_788 Depth=1
	s_or_b64 exec, exec, s[18:19]
.LBB509_835:                            ;   in Loop: Header=BB509_788 Depth=1
	s_or_b64 exec, exec, s[16:17]
.LBB509_836:                            ;   in Loop: Header=BB509_788 Depth=1
	s_or_b64 exec, exec, s[14:15]
	buffer_load_dword v6, v11, s[0:3], 0 offen offset:8
	buffer_load_dword v4, v11, s[0:3], 0 offen offset:12
	v_cvt_pkrtz_f16_f32 v20, v13, v15
	v_cvt_pkrtz_f16_f32 v21, v14, v17
	;; [unrolled: 1-line block ×4, first 2 shown]
	v_mfma_f32_4x4x4f16 a[0:3], v[2:3], v[20:21], 0 cbsz:4
	s_waitcnt vmcnt(1)
	v_cmp_ne_u16_sdwa s[16:17], v6, v9 src0_sel:BYTE_0 src1_sel:DWORD
	v_mfma_f32_4x4x4f16 a[0:3], v[2:3], v[14:15], a[0:3] cbsz:4 abid:1
	s_and_saveexec_b64 s[14:15], s[16:17]
	s_cbranch_execz .LBB509_842
; %bb.837:                              ;   in Loop: Header=BB509_788 Depth=1
	v_cmp_ne_u16_sdwa s[18:19], v6, s5 src0_sel:BYTE_0 src1_sel:DWORD
	v_bfrev_b32_e32 v12, 1
	s_and_saveexec_b64 s[16:17], s[18:19]
	s_cbranch_execz .LBB509_841
; %bb.838:                              ;   in Loop: Header=BB509_788 Depth=1
	v_and_b32_e32 v8, 0x7f, v6
	v_cmp_ne_u32_e32 vcc, s21, v8
	v_mov_b32_e32 v12, 0x7f800001
	s_and_saveexec_b64 s[18:19], vcc
	s_cbranch_execz .LBB509_840
; %bb.839:                              ;   in Loop: Header=BB509_788 Depth=1
	v_and_b32_e32 v14, 7, v6
	v_ffbh_u32_e32 v12, v14
	v_min_u32_e32 v16, 32, v12
	v_subrev_u32_e32 v12, 28, v16
	v_lshlrev_b64 v[12:13], v12, v[6:7]
	v_lshrrev_b32_e32 v15, 3, v8
	v_sub_u32_e32 v13, 29, v16
	v_and_b32_e32 v12, 7, v12
	v_cmp_gt_u32_e32 vcc, 8, v8
	v_cndmask_b32_e32 v8, v15, v13, vcc
	v_cndmask_b32_e32 v12, v14, v12, vcc
	v_lshlrev_b32_e32 v13, 24, v6
	v_lshlrev_b32_e32 v12, 20, v12
	v_and_b32_e32 v13, 0x80000000, v13
	v_lshl_add_u32 v8, v8, 23, v10
	v_or3_b32 v12, v13, v8, v12
.LBB509_840:                            ;   in Loop: Header=BB509_788 Depth=1
	s_or_b64 exec, exec, s[18:19]
.LBB509_841:                            ;   in Loop: Header=BB509_788 Depth=1
	s_or_b64 exec, exec, s[16:17]
.LBB509_842:                            ;   in Loop: Header=BB509_788 Depth=1
	s_or_b64 exec, exec, s[14:15]
	v_lshrrev_b16_e32 v8, 8, v6
	v_cmp_ne_u16_e32 vcc, 0, v8
	v_mov_b32_e32 v14, 0
	v_mov_b32_e32 v15, 0
	s_and_saveexec_b64 s[14:15], vcc
	s_cbranch_execz .LBB509_848
; %bb.843:                              ;   in Loop: Header=BB509_788 Depth=1
	v_cmp_ne_u16_e32 vcc, s5, v8
	v_bfrev_b32_e32 v15, 1
	s_and_saveexec_b64 s[16:17], vcc
	s_cbranch_execz .LBB509_847
; %bb.844:                              ;   in Loop: Header=BB509_788 Depth=1
	v_and_b32_e32 v13, 0x7f, v8
	v_cmp_ne_u32_e32 vcc, s21, v13
	v_mov_b32_e32 v15, 0x7f800001
	s_and_saveexec_b64 s[18:19], vcc
	s_cbranch_execz .LBB509_846
; %bb.845:                              ;   in Loop: Header=BB509_788 Depth=1
	v_and_b32_e32 v15, 7, v8
	v_ffbh_u32_e32 v16, v15
	v_min_u32_e32 v19, 32, v16
	v_subrev_u32_e32 v16, 28, v19
	v_lshlrev_b64 v[16:17], v16, v[8:9]
	v_lshrrev_b32_e32 v18, 3, v13
	v_sub_u32_e32 v8, 29, v19
	v_and_b32_e32 v16, 7, v16
	v_cmp_gt_u32_e32 vcc, 8, v13
	v_cndmask_b32_e32 v8, v18, v8, vcc
	v_cndmask_b32_e32 v13, v15, v16, vcc
	v_lshlrev_b32_e32 v15, 16, v6
	v_lshlrev_b32_e32 v13, 20, v13
	v_and_b32_e32 v15, 0x80000000, v15
	v_lshl_add_u32 v8, v8, 23, v10
	v_or3_b32 v15, v15, v8, v13
.LBB509_846:                            ;   in Loop: Header=BB509_788 Depth=1
	s_or_b64 exec, exec, s[18:19]
.LBB509_847:                            ;   in Loop: Header=BB509_788 Depth=1
	s_or_b64 exec, exec, s[16:17]
.LBB509_848:                            ;   in Loop: Header=BB509_788 Depth=1
	s_or_b64 exec, exec, s[14:15]
	v_lshrrev_b32_e32 v8, 16, v6
	v_cmp_ne_u16_sdwa s[16:17], v8, v9 src0_sel:BYTE_0 src1_sel:DWORD
	s_and_saveexec_b64 s[14:15], s[16:17]
	s_cbranch_execz .LBB509_854
; %bb.849:                              ;   in Loop: Header=BB509_788 Depth=1
	v_cmp_ne_u16_sdwa s[18:19], v8, s5 src0_sel:BYTE_0 src1_sel:DWORD
	v_bfrev_b32_e32 v14, 1
	s_and_saveexec_b64 s[16:17], s[18:19]
	s_cbranch_execz .LBB509_853
; %bb.850:                              ;   in Loop: Header=BB509_788 Depth=1
	v_bfe_u32 v13, v6, 16, 7
	v_cmp_ne_u32_e32 vcc, s21, v13
	v_mov_b32_e32 v14, 0x7f800001
	s_and_saveexec_b64 s[18:19], vcc
	s_cbranch_execz .LBB509_852
; %bb.851:                              ;   in Loop: Header=BB509_788 Depth=1
	v_and_b32_e32 v14, 7, v8
	v_ffbh_u32_e32 v16, v14
	v_min_u32_e32 v19, 32, v16
	v_subrev_u32_e32 v16, 28, v19
	v_lshlrev_b64 v[16:17], v16, v[8:9]
	v_lshrrev_b32_e32 v18, 3, v13
	v_sub_u32_e32 v17, 29, v19
	v_and_b32_e32 v16, 7, v16
	v_cmp_gt_u32_e32 vcc, 8, v13
	v_cndmask_b32_e32 v13, v18, v17, vcc
	v_cndmask_b32_e32 v14, v14, v16, vcc
	v_lshlrev_b32_e32 v8, 24, v8
	v_lshlrev_b32_e32 v14, 20, v14
	v_and_b32_e32 v8, 0x80000000, v8
	v_lshl_add_u32 v13, v13, 23, v10
	v_or3_b32 v14, v8, v13, v14
.LBB509_852:                            ;   in Loop: Header=BB509_788 Depth=1
	s_or_b64 exec, exec, s[18:19]
.LBB509_853:                            ;   in Loop: Header=BB509_788 Depth=1
	s_or_b64 exec, exec, s[16:17]
.LBB509_854:                            ;   in Loop: Header=BB509_788 Depth=1
	s_or_b64 exec, exec, s[14:15]
	v_cmp_lt_u32_e32 vcc, s22, v6
	v_mov_b32_e32 v16, 0
	v_mov_b32_e32 v17, 0
	s_and_saveexec_b64 s[14:15], vcc
	s_cbranch_execz .LBB509_860
; %bb.855:                              ;   in Loop: Header=BB509_788 Depth=1
	v_lshrrev_b32_e32 v8, 24, v6
	v_cmp_ne_u32_e32 vcc, s5, v8
	v_bfrev_b32_e32 v17, 1
	s_and_saveexec_b64 s[16:17], vcc
	s_cbranch_execz .LBB509_859
; %bb.856:                              ;   in Loop: Header=BB509_788 Depth=1
	v_bfe_u32 v6, v6, 24, 7
	v_cmp_ne_u32_e32 vcc, s21, v6
	v_mov_b32_e32 v17, 0x7f800001
	s_and_saveexec_b64 s[18:19], vcc
	s_cbranch_execz .LBB509_858
; %bb.857:                              ;   in Loop: Header=BB509_788 Depth=1
	v_and_b32_e32 v13, 7, v8
	v_ffbh_u32_e32 v18, v13
	v_min_u32_e32 v20, 32, v18
	v_subrev_u32_e32 v18, 28, v20
	v_lshlrev_b64 v[18:19], v18, v[8:9]
	v_lshrrev_b32_e32 v17, 3, v6
	v_sub_u32_e32 v19, 29, v20
	v_and_b32_e32 v18, 7, v18
	v_cmp_gt_u32_e32 vcc, 8, v6
	v_cndmask_b32_e32 v6, v17, v19, vcc
	v_cndmask_b32_e32 v13, v13, v18, vcc
	v_lshlrev_b32_e32 v8, 24, v8
	v_lshlrev_b32_e32 v13, 20, v13
	v_and_b32_e32 v8, 0x80000000, v8
	v_lshl_add_u32 v6, v6, 23, v10
	v_or3_b32 v17, v8, v6, v13
.LBB509_858:                            ;   in Loop: Header=BB509_788 Depth=1
	s_or_b64 exec, exec, s[18:19]
.LBB509_859:                            ;   in Loop: Header=BB509_788 Depth=1
	s_or_b64 exec, exec, s[16:17]
.LBB509_860:                            ;   in Loop: Header=BB509_788 Depth=1
	s_or_b64 exec, exec, s[14:15]
	s_waitcnt vmcnt(0)
	v_cmp_ne_u16_sdwa s[16:17], v4, v9 src0_sel:BYTE_0 src1_sel:DWORD
	s_and_saveexec_b64 s[14:15], s[16:17]
	s_cbranch_execz .LBB509_866
; %bb.861:                              ;   in Loop: Header=BB509_788 Depth=1
	v_cmp_ne_u16_sdwa s[18:19], v4, s5 src0_sel:BYTE_0 src1_sel:DWORD
	v_bfrev_b32_e32 v16, 1
	s_and_saveexec_b64 s[16:17], s[18:19]
	s_cbranch_execz .LBB509_865
; %bb.862:                              ;   in Loop: Header=BB509_788 Depth=1
	v_and_b32_e32 v6, 0x7f, v4
	v_cmp_ne_u32_e32 vcc, s21, v6
	v_mov_b32_e32 v16, 0x7f800001
	s_and_saveexec_b64 s[18:19], vcc
	s_cbranch_execz .LBB509_864
; %bb.863:                              ;   in Loop: Header=BB509_788 Depth=1
	v_and_b32_e32 v8, 7, v4
	v_ffbh_u32_e32 v16, v8
	v_min_u32_e32 v16, 32, v16
	v_subrev_u32_e32 v18, 28, v16
	v_lshlrev_b64 v[18:19], v18, v[4:5]
	v_lshrrev_b32_e32 v13, 3, v6
	v_sub_u32_e32 v16, 29, v16
	v_and_b32_e32 v18, 7, v18
	v_cmp_gt_u32_e32 vcc, 8, v6
	v_cndmask_b32_e32 v6, v13, v16, vcc
	v_cndmask_b32_e32 v8, v8, v18, vcc
	v_lshlrev_b32_e32 v13, 24, v4
	v_lshlrev_b32_e32 v8, 20, v8
	v_and_b32_e32 v13, 0x80000000, v13
	v_lshl_add_u32 v6, v6, 23, v10
	v_or3_b32 v16, v13, v6, v8
.LBB509_864:                            ;   in Loop: Header=BB509_788 Depth=1
	s_or_b64 exec, exec, s[18:19]
.LBB509_865:                            ;   in Loop: Header=BB509_788 Depth=1
	s_or_b64 exec, exec, s[16:17]
.LBB509_866:                            ;   in Loop: Header=BB509_788 Depth=1
	s_or_b64 exec, exec, s[14:15]
	v_lshrrev_b16_e32 v6, 8, v4
	v_cmp_ne_u16_e32 vcc, 0, v6
	v_mov_b32_e32 v8, 0
	v_mov_b32_e32 v18, 0
	s_and_saveexec_b64 s[14:15], vcc
	s_cbranch_execz .LBB509_872
; %bb.867:                              ;   in Loop: Header=BB509_788 Depth=1
	v_cmp_ne_u16_e32 vcc, s5, v6
	v_bfrev_b32_e32 v18, 1
	s_and_saveexec_b64 s[16:17], vcc
	s_cbranch_execz .LBB509_871
; %bb.868:                              ;   in Loop: Header=BB509_788 Depth=1
	v_and_b32_e32 v13, 0x7f, v6
	v_cmp_ne_u32_e32 vcc, s21, v13
	v_mov_b32_e32 v18, 0x7f800001
	s_and_saveexec_b64 s[18:19], vcc
	s_cbranch_execz .LBB509_870
; %bb.869:                              ;   in Loop: Header=BB509_788 Depth=1
	v_and_b32_e32 v20, 7, v6
	v_ffbh_u32_e32 v18, v20
	v_min_u32_e32 v22, 32, v18
	v_subrev_u32_e32 v18, 28, v22
	v_lshlrev_b64 v[18:19], v18, v[6:7]
	v_lshrrev_b32_e32 v21, 3, v13
	v_sub_u32_e32 v6, 29, v22
	v_and_b32_e32 v18, 7, v18
	v_cmp_gt_u32_e32 vcc, 8, v13
	v_cndmask_b32_e32 v6, v21, v6, vcc
	v_cndmask_b32_e32 v13, v20, v18, vcc
	v_lshlrev_b32_e32 v18, 16, v4
	v_lshlrev_b32_e32 v13, 20, v13
	v_and_b32_e32 v18, 0x80000000, v18
	v_lshl_add_u32 v6, v6, 23, v10
	v_or3_b32 v18, v18, v6, v13
.LBB509_870:                            ;   in Loop: Header=BB509_788 Depth=1
	s_or_b64 exec, exec, s[18:19]
.LBB509_871:                            ;   in Loop: Header=BB509_788 Depth=1
	s_or_b64 exec, exec, s[16:17]
.LBB509_872:                            ;   in Loop: Header=BB509_788 Depth=1
	s_or_b64 exec, exec, s[14:15]
	v_lshrrev_b32_e32 v6, 16, v4
	v_cmp_ne_u16_sdwa s[16:17], v6, v9 src0_sel:BYTE_0 src1_sel:DWORD
	s_and_saveexec_b64 s[14:15], s[16:17]
	s_cbranch_execz .LBB509_878
; %bb.873:                              ;   in Loop: Header=BB509_788 Depth=1
	v_cmp_ne_u16_sdwa s[18:19], v6, s5 src0_sel:BYTE_0 src1_sel:DWORD
	v_bfrev_b32_e32 v8, 1
	s_and_saveexec_b64 s[16:17], s[18:19]
	s_cbranch_execz .LBB509_877
; %bb.874:                              ;   in Loop: Header=BB509_788 Depth=1
	v_bfe_u32 v13, v4, 16, 7
	v_cmp_ne_u32_e32 vcc, s21, v13
	v_mov_b32_e32 v8, 0x7f800001
	s_and_saveexec_b64 s[18:19], vcc
	s_cbranch_execz .LBB509_876
; %bb.875:                              ;   in Loop: Header=BB509_788 Depth=1
	v_and_b32_e32 v8, 7, v6
	v_ffbh_u32_e32 v20, v8
	v_min_u32_e32 v22, 32, v20
	v_subrev_u32_e32 v20, 28, v22
	v_lshlrev_b64 v[20:21], v20, v[6:7]
	v_lshrrev_b32_e32 v19, 3, v13
	v_sub_u32_e32 v21, 29, v22
	v_and_b32_e32 v20, 7, v20
	v_cmp_gt_u32_e32 vcc, 8, v13
	v_cndmask_b32_e32 v13, v19, v21, vcc
	v_cndmask_b32_e32 v8, v8, v20, vcc
	v_lshlrev_b32_e32 v6, 24, v6
	v_lshlrev_b32_e32 v8, 20, v8
	v_and_b32_e32 v6, 0x80000000, v6
	v_lshl_add_u32 v13, v13, 23, v10
	v_or3_b32 v8, v6, v13, v8
.LBB509_876:                            ;   in Loop: Header=BB509_788 Depth=1
	s_or_b64 exec, exec, s[18:19]
.LBB509_877:                            ;   in Loop: Header=BB509_788 Depth=1
	s_or_b64 exec, exec, s[16:17]
.LBB509_878:                            ;   in Loop: Header=BB509_788 Depth=1
	s_or_b64 exec, exec, s[14:15]
	v_cmp_lt_u32_e32 vcc, s22, v4
	v_mov_b32_e32 v13, 0
	v_mov_b32_e32 v19, 0
	s_and_saveexec_b64 s[14:15], vcc
	s_cbranch_execz .LBB509_884
; %bb.879:                              ;   in Loop: Header=BB509_788 Depth=1
	v_lshrrev_b32_e32 v6, 24, v4
	v_cmp_ne_u32_e32 vcc, s5, v6
	v_bfrev_b32_e32 v19, 1
	s_and_saveexec_b64 s[16:17], vcc
	s_cbranch_execz .LBB509_883
; %bb.880:                              ;   in Loop: Header=BB509_788 Depth=1
	v_bfe_u32 v4, v4, 24, 7
	v_cmp_ne_u32_e32 vcc, s21, v4
	v_mov_b32_e32 v19, 0x7f800001
	s_and_saveexec_b64 s[18:19], vcc
	s_cbranch_execz .LBB509_882
; %bb.881:                              ;   in Loop: Header=BB509_788 Depth=1
	v_and_b32_e32 v19, 7, v6
	v_ffbh_u32_e32 v20, v19
	v_min_u32_e32 v23, 32, v20
	v_subrev_u32_e32 v20, 28, v23
	v_lshlrev_b64 v[20:21], v20, v[6:7]
	v_lshrrev_b32_e32 v22, 3, v4
	v_sub_u32_e32 v21, 29, v23
	v_and_b32_e32 v20, 7, v20
	v_cmp_gt_u32_e32 vcc, 8, v4
	v_cndmask_b32_e32 v4, v22, v21, vcc
	v_cndmask_b32_e32 v19, v19, v20, vcc
	v_lshlrev_b32_e32 v6, 24, v6
	v_lshlrev_b32_e32 v19, 20, v19
	v_and_b32_e32 v6, 0x80000000, v6
	v_lshl_add_u32 v4, v4, 23, v10
	v_or3_b32 v19, v6, v4, v19
.LBB509_882:                            ;   in Loop: Header=BB509_788 Depth=1
	s_or_b64 exec, exec, s[18:19]
.LBB509_883:                            ;   in Loop: Header=BB509_788 Depth=1
	s_or_b64 exec, exec, s[16:17]
.LBB509_884:                            ;   in Loop: Header=BB509_788 Depth=1
	s_or_b64 exec, exec, s[14:15]
	buffer_load_dword v6, v11, s[0:3], 0 offen offset:16
	buffer_load_dword v4, v11, s[0:3], 0 offen offset:20
	v_cvt_pkrtz_f16_f32 v20, v12, v15
	v_cvt_pkrtz_f16_f32 v21, v14, v17
	;; [unrolled: 1-line block ×4, first 2 shown]
	v_mfma_f32_4x4x4f16 a[0:3], v[2:3], v[20:21], a[0:3] cbsz:4 abid:2
	s_waitcnt vmcnt(1)
	v_cmp_ne_u16_sdwa s[16:17], v6, v9 src0_sel:BYTE_0 src1_sel:DWORD
	v_mfma_f32_4x4x4f16 a[0:3], v[2:3], v[14:15], a[0:3] cbsz:4 abid:3
	s_and_saveexec_b64 s[14:15], s[16:17]
	s_cbranch_execz .LBB509_890
; %bb.885:                              ;   in Loop: Header=BB509_788 Depth=1
	v_cmp_ne_u16_sdwa s[18:19], v6, s5 src0_sel:BYTE_0 src1_sel:DWORD
	v_bfrev_b32_e32 v13, 1
	s_and_saveexec_b64 s[16:17], s[18:19]
	s_cbranch_execz .LBB509_889
; %bb.886:                              ;   in Loop: Header=BB509_788 Depth=1
	v_and_b32_e32 v8, 0x7f, v6
	v_cmp_ne_u32_e32 vcc, s21, v8
	v_mov_b32_e32 v13, 0x7f800001
	s_and_saveexec_b64 s[18:19], vcc
	s_cbranch_execz .LBB509_888
; %bb.887:                              ;   in Loop: Header=BB509_788 Depth=1
	v_and_b32_e32 v14, 7, v6
	v_ffbh_u32_e32 v12, v14
	v_min_u32_e32 v16, 32, v12
	v_subrev_u32_e32 v12, 28, v16
	v_lshlrev_b64 v[12:13], v12, v[6:7]
	v_lshrrev_b32_e32 v15, 3, v8
	v_sub_u32_e32 v13, 29, v16
	v_and_b32_e32 v12, 7, v12
	v_cmp_gt_u32_e32 vcc, 8, v8
	v_cndmask_b32_e32 v8, v15, v13, vcc
	v_cndmask_b32_e32 v12, v14, v12, vcc
	v_lshlrev_b32_e32 v13, 24, v6
	v_lshlrev_b32_e32 v12, 20, v12
	v_and_b32_e32 v13, 0x80000000, v13
	v_lshl_add_u32 v8, v8, 23, v10
	v_or3_b32 v13, v13, v8, v12
.LBB509_888:                            ;   in Loop: Header=BB509_788 Depth=1
	s_or_b64 exec, exec, s[18:19]
.LBB509_889:                            ;   in Loop: Header=BB509_788 Depth=1
	s_or_b64 exec, exec, s[16:17]
.LBB509_890:                            ;   in Loop: Header=BB509_788 Depth=1
	s_or_b64 exec, exec, s[14:15]
	v_lshrrev_b16_e32 v8, 8, v6
	v_cmp_ne_u16_e32 vcc, 0, v8
	v_mov_b32_e32 v14, 0
	v_mov_b32_e32 v15, 0
	s_and_saveexec_b64 s[14:15], vcc
	s_cbranch_execz .LBB509_896
; %bb.891:                              ;   in Loop: Header=BB509_788 Depth=1
	v_cmp_ne_u16_e32 vcc, s5, v8
	v_bfrev_b32_e32 v15, 1
	s_and_saveexec_b64 s[16:17], vcc
	s_cbranch_execz .LBB509_895
; %bb.892:                              ;   in Loop: Header=BB509_788 Depth=1
	v_and_b32_e32 v12, 0x7f, v8
	v_cmp_ne_u32_e32 vcc, s21, v12
	v_mov_b32_e32 v15, 0x7f800001
	s_and_saveexec_b64 s[18:19], vcc
	s_cbranch_execz .LBB509_894
; %bb.893:                              ;   in Loop: Header=BB509_788 Depth=1
	v_and_b32_e32 v15, 7, v8
	v_ffbh_u32_e32 v16, v15
	v_min_u32_e32 v19, 32, v16
	v_subrev_u32_e32 v16, 28, v19
	v_lshlrev_b64 v[16:17], v16, v[8:9]
	v_lshrrev_b32_e32 v18, 3, v12
	v_sub_u32_e32 v8, 29, v19
	v_and_b32_e32 v16, 7, v16
	v_cmp_gt_u32_e32 vcc, 8, v12
	v_cndmask_b32_e32 v8, v18, v8, vcc
	v_cndmask_b32_e32 v12, v15, v16, vcc
	v_lshlrev_b32_e32 v15, 16, v6
	v_lshlrev_b32_e32 v12, 20, v12
	v_and_b32_e32 v15, 0x80000000, v15
	v_lshl_add_u32 v8, v8, 23, v10
	v_or3_b32 v15, v15, v8, v12
.LBB509_894:                            ;   in Loop: Header=BB509_788 Depth=1
	s_or_b64 exec, exec, s[18:19]
.LBB509_895:                            ;   in Loop: Header=BB509_788 Depth=1
	s_or_b64 exec, exec, s[16:17]
.LBB509_896:                            ;   in Loop: Header=BB509_788 Depth=1
	s_or_b64 exec, exec, s[14:15]
	v_lshrrev_b32_e32 v8, 16, v6
	v_cmp_ne_u16_sdwa s[16:17], v8, v9 src0_sel:BYTE_0 src1_sel:DWORD
	s_and_saveexec_b64 s[14:15], s[16:17]
	s_cbranch_execz .LBB509_902
; %bb.897:                              ;   in Loop: Header=BB509_788 Depth=1
	v_cmp_ne_u16_sdwa s[18:19], v8, s5 src0_sel:BYTE_0 src1_sel:DWORD
	v_bfrev_b32_e32 v14, 1
	s_and_saveexec_b64 s[16:17], s[18:19]
	s_cbranch_execz .LBB509_901
; %bb.898:                              ;   in Loop: Header=BB509_788 Depth=1
	v_bfe_u32 v12, v6, 16, 7
	v_cmp_ne_u32_e32 vcc, s21, v12
	v_mov_b32_e32 v14, 0x7f800001
	s_and_saveexec_b64 s[18:19], vcc
	s_cbranch_execz .LBB509_900
; %bb.899:                              ;   in Loop: Header=BB509_788 Depth=1
	v_and_b32_e32 v14, 7, v8
	v_ffbh_u32_e32 v16, v14
	v_min_u32_e32 v19, 32, v16
	v_subrev_u32_e32 v16, 28, v19
	v_lshlrev_b64 v[16:17], v16, v[8:9]
	v_lshrrev_b32_e32 v18, 3, v12
	v_sub_u32_e32 v17, 29, v19
	v_and_b32_e32 v16, 7, v16
	v_cmp_gt_u32_e32 vcc, 8, v12
	v_cndmask_b32_e32 v12, v18, v17, vcc
	v_cndmask_b32_e32 v14, v14, v16, vcc
	v_lshlrev_b32_e32 v8, 24, v8
	v_lshlrev_b32_e32 v14, 20, v14
	v_and_b32_e32 v8, 0x80000000, v8
	v_lshl_add_u32 v12, v12, 23, v10
	v_or3_b32 v14, v8, v12, v14
.LBB509_900:                            ;   in Loop: Header=BB509_788 Depth=1
	s_or_b64 exec, exec, s[18:19]
.LBB509_901:                            ;   in Loop: Header=BB509_788 Depth=1
	s_or_b64 exec, exec, s[16:17]
.LBB509_902:                            ;   in Loop: Header=BB509_788 Depth=1
	s_or_b64 exec, exec, s[14:15]
	v_cmp_lt_u32_e32 vcc, s22, v6
	v_mov_b32_e32 v16, 0
	v_mov_b32_e32 v17, 0
	s_and_saveexec_b64 s[14:15], vcc
	s_cbranch_execz .LBB509_908
; %bb.903:                              ;   in Loop: Header=BB509_788 Depth=1
	v_lshrrev_b32_e32 v8, 24, v6
	v_cmp_ne_u32_e32 vcc, s5, v8
	v_bfrev_b32_e32 v17, 1
	s_and_saveexec_b64 s[16:17], vcc
	s_cbranch_execz .LBB509_907
; %bb.904:                              ;   in Loop: Header=BB509_788 Depth=1
	v_bfe_u32 v6, v6, 24, 7
	v_cmp_ne_u32_e32 vcc, s21, v6
	v_mov_b32_e32 v17, 0x7f800001
	s_and_saveexec_b64 s[18:19], vcc
	s_cbranch_execz .LBB509_906
; %bb.905:                              ;   in Loop: Header=BB509_788 Depth=1
	v_and_b32_e32 v12, 7, v8
	v_ffbh_u32_e32 v18, v12
	v_min_u32_e32 v20, 32, v18
	v_subrev_u32_e32 v18, 28, v20
	v_lshlrev_b64 v[18:19], v18, v[8:9]
	v_lshrrev_b32_e32 v17, 3, v6
	v_sub_u32_e32 v19, 29, v20
	v_and_b32_e32 v18, 7, v18
	v_cmp_gt_u32_e32 vcc, 8, v6
	v_cndmask_b32_e32 v6, v17, v19, vcc
	v_cndmask_b32_e32 v12, v12, v18, vcc
	v_lshlrev_b32_e32 v8, 24, v8
	v_lshlrev_b32_e32 v12, 20, v12
	v_and_b32_e32 v8, 0x80000000, v8
	v_lshl_add_u32 v6, v6, 23, v10
	v_or3_b32 v17, v8, v6, v12
.LBB509_906:                            ;   in Loop: Header=BB509_788 Depth=1
	s_or_b64 exec, exec, s[18:19]
.LBB509_907:                            ;   in Loop: Header=BB509_788 Depth=1
	s_or_b64 exec, exec, s[16:17]
.LBB509_908:                            ;   in Loop: Header=BB509_788 Depth=1
	s_or_b64 exec, exec, s[14:15]
	s_waitcnt vmcnt(0)
	v_cmp_ne_u16_sdwa s[16:17], v4, v9 src0_sel:BYTE_0 src1_sel:DWORD
	s_and_saveexec_b64 s[14:15], s[16:17]
	s_cbranch_execz .LBB509_914
; %bb.909:                              ;   in Loop: Header=BB509_788 Depth=1
	v_cmp_ne_u16_sdwa s[18:19], v4, s5 src0_sel:BYTE_0 src1_sel:DWORD
	v_bfrev_b32_e32 v16, 1
	s_and_saveexec_b64 s[16:17], s[18:19]
	s_cbranch_execz .LBB509_913
; %bb.910:                              ;   in Loop: Header=BB509_788 Depth=1
	v_and_b32_e32 v6, 0x7f, v4
	v_cmp_ne_u32_e32 vcc, s21, v6
	v_mov_b32_e32 v16, 0x7f800001
	s_and_saveexec_b64 s[18:19], vcc
	s_cbranch_execz .LBB509_912
; %bb.911:                              ;   in Loop: Header=BB509_788 Depth=1
	v_and_b32_e32 v8, 7, v4
	v_ffbh_u32_e32 v16, v8
	v_min_u32_e32 v16, 32, v16
	v_subrev_u32_e32 v18, 28, v16
	v_lshlrev_b64 v[18:19], v18, v[4:5]
	v_lshrrev_b32_e32 v12, 3, v6
	v_sub_u32_e32 v16, 29, v16
	v_and_b32_e32 v18, 7, v18
	v_cmp_gt_u32_e32 vcc, 8, v6
	v_cndmask_b32_e32 v6, v12, v16, vcc
	v_cndmask_b32_e32 v8, v8, v18, vcc
	v_lshlrev_b32_e32 v12, 24, v4
	v_lshlrev_b32_e32 v8, 20, v8
	v_and_b32_e32 v12, 0x80000000, v12
	v_lshl_add_u32 v6, v6, 23, v10
	v_or3_b32 v16, v12, v6, v8
.LBB509_912:                            ;   in Loop: Header=BB509_788 Depth=1
	s_or_b64 exec, exec, s[18:19]
.LBB509_913:                            ;   in Loop: Header=BB509_788 Depth=1
	s_or_b64 exec, exec, s[16:17]
.LBB509_914:                            ;   in Loop: Header=BB509_788 Depth=1
	s_or_b64 exec, exec, s[14:15]
	v_lshrrev_b16_e32 v6, 8, v4
	v_cmp_ne_u16_e32 vcc, 0, v6
	v_mov_b32_e32 v8, 0
	v_mov_b32_e32 v18, 0
	s_and_saveexec_b64 s[14:15], vcc
	s_cbranch_execz .LBB509_920
; %bb.915:                              ;   in Loop: Header=BB509_788 Depth=1
	v_cmp_ne_u16_e32 vcc, s5, v6
	v_bfrev_b32_e32 v18, 1
	s_and_saveexec_b64 s[16:17], vcc
	s_cbranch_execz .LBB509_919
; %bb.916:                              ;   in Loop: Header=BB509_788 Depth=1
	v_and_b32_e32 v12, 0x7f, v6
	v_cmp_ne_u32_e32 vcc, s21, v12
	v_mov_b32_e32 v18, 0x7f800001
	s_and_saveexec_b64 s[18:19], vcc
	s_cbranch_execz .LBB509_918
; %bb.917:                              ;   in Loop: Header=BB509_788 Depth=1
	v_and_b32_e32 v20, 7, v6
	v_ffbh_u32_e32 v18, v20
	v_min_u32_e32 v22, 32, v18
	v_subrev_u32_e32 v18, 28, v22
	v_lshlrev_b64 v[18:19], v18, v[6:7]
	v_lshrrev_b32_e32 v21, 3, v12
	v_sub_u32_e32 v6, 29, v22
	v_and_b32_e32 v18, 7, v18
	v_cmp_gt_u32_e32 vcc, 8, v12
	v_cndmask_b32_e32 v6, v21, v6, vcc
	v_cndmask_b32_e32 v12, v20, v18, vcc
	v_lshlrev_b32_e32 v18, 16, v4
	v_lshlrev_b32_e32 v12, 20, v12
	v_and_b32_e32 v18, 0x80000000, v18
	v_lshl_add_u32 v6, v6, 23, v10
	v_or3_b32 v18, v18, v6, v12
.LBB509_918:                            ;   in Loop: Header=BB509_788 Depth=1
	s_or_b64 exec, exec, s[18:19]
.LBB509_919:                            ;   in Loop: Header=BB509_788 Depth=1
	s_or_b64 exec, exec, s[16:17]
.LBB509_920:                            ;   in Loop: Header=BB509_788 Depth=1
	s_or_b64 exec, exec, s[14:15]
	v_lshrrev_b32_e32 v6, 16, v4
	v_cmp_ne_u16_sdwa s[16:17], v6, v9 src0_sel:BYTE_0 src1_sel:DWORD
	s_and_saveexec_b64 s[14:15], s[16:17]
	s_cbranch_execz .LBB509_926
; %bb.921:                              ;   in Loop: Header=BB509_788 Depth=1
	v_cmp_ne_u16_sdwa s[18:19], v6, s5 src0_sel:BYTE_0 src1_sel:DWORD
	v_bfrev_b32_e32 v8, 1
	s_and_saveexec_b64 s[16:17], s[18:19]
	s_cbranch_execz .LBB509_925
; %bb.922:                              ;   in Loop: Header=BB509_788 Depth=1
	v_bfe_u32 v12, v4, 16, 7
	v_cmp_ne_u32_e32 vcc, s21, v12
	v_mov_b32_e32 v8, 0x7f800001
	s_and_saveexec_b64 s[18:19], vcc
	s_cbranch_execz .LBB509_924
; %bb.923:                              ;   in Loop: Header=BB509_788 Depth=1
	v_and_b32_e32 v8, 7, v6
	v_ffbh_u32_e32 v20, v8
	v_min_u32_e32 v22, 32, v20
	v_subrev_u32_e32 v20, 28, v22
	v_lshlrev_b64 v[20:21], v20, v[6:7]
	v_lshrrev_b32_e32 v19, 3, v12
	v_sub_u32_e32 v21, 29, v22
	v_and_b32_e32 v20, 7, v20
	v_cmp_gt_u32_e32 vcc, 8, v12
	v_cndmask_b32_e32 v12, v19, v21, vcc
	v_cndmask_b32_e32 v8, v8, v20, vcc
	v_lshlrev_b32_e32 v6, 24, v6
	v_lshlrev_b32_e32 v8, 20, v8
	v_and_b32_e32 v6, 0x80000000, v6
	v_lshl_add_u32 v12, v12, 23, v10
	v_or3_b32 v8, v6, v12, v8
.LBB509_924:                            ;   in Loop: Header=BB509_788 Depth=1
	s_or_b64 exec, exec, s[18:19]
.LBB509_925:                            ;   in Loop: Header=BB509_788 Depth=1
	s_or_b64 exec, exec, s[16:17]
.LBB509_926:                            ;   in Loop: Header=BB509_788 Depth=1
	s_or_b64 exec, exec, s[14:15]
	v_cmp_lt_u32_e32 vcc, s22, v4
	v_mov_b32_e32 v12, 0
	v_mov_b32_e32 v19, 0
	s_and_saveexec_b64 s[14:15], vcc
	s_cbranch_execz .LBB509_932
; %bb.927:                              ;   in Loop: Header=BB509_788 Depth=1
	v_lshrrev_b32_e32 v6, 24, v4
	v_cmp_ne_u32_e32 vcc, s5, v6
	v_bfrev_b32_e32 v19, 1
	s_and_saveexec_b64 s[16:17], vcc
	s_cbranch_execz .LBB509_931
; %bb.928:                              ;   in Loop: Header=BB509_788 Depth=1
	v_bfe_u32 v4, v4, 24, 7
	v_cmp_ne_u32_e32 vcc, s21, v4
	v_mov_b32_e32 v19, 0x7f800001
	s_and_saveexec_b64 s[18:19], vcc
	s_cbranch_execz .LBB509_930
; %bb.929:                              ;   in Loop: Header=BB509_788 Depth=1
	v_and_b32_e32 v19, 7, v6
	v_ffbh_u32_e32 v20, v19
	v_min_u32_e32 v23, 32, v20
	v_subrev_u32_e32 v20, 28, v23
	v_lshlrev_b64 v[20:21], v20, v[6:7]
	v_lshrrev_b32_e32 v22, 3, v4
	v_sub_u32_e32 v21, 29, v23
	v_and_b32_e32 v20, 7, v20
	v_cmp_gt_u32_e32 vcc, 8, v4
	v_cndmask_b32_e32 v4, v22, v21, vcc
	v_cndmask_b32_e32 v19, v19, v20, vcc
	v_lshlrev_b32_e32 v6, 24, v6
	v_lshlrev_b32_e32 v19, 20, v19
	v_and_b32_e32 v6, 0x80000000, v6
	v_lshl_add_u32 v4, v4, 23, v10
	v_or3_b32 v19, v6, v4, v19
.LBB509_930:                            ;   in Loop: Header=BB509_788 Depth=1
	s_or_b64 exec, exec, s[18:19]
.LBB509_931:                            ;   in Loop: Header=BB509_788 Depth=1
	s_or_b64 exec, exec, s[16:17]
.LBB509_932:                            ;   in Loop: Header=BB509_788 Depth=1
	s_or_b64 exec, exec, s[14:15]
	buffer_load_dword v6, v11, s[0:3], 0 offen offset:24
	buffer_load_dword v4, v11, s[0:3], 0 offen offset:28
	v_cvt_pkrtz_f16_f32 v20, v13, v15
	v_cvt_pkrtz_f16_f32 v21, v14, v17
	;; [unrolled: 1-line block ×4, first 2 shown]
	v_mfma_f32_4x4x4f16 a[0:3], v[2:3], v[20:21], a[0:3] cbsz:4 abid:4
	s_waitcnt vmcnt(1)
	v_cmp_ne_u16_sdwa s[16:17], v6, v9 src0_sel:BYTE_0 src1_sel:DWORD
	v_mfma_f32_4x4x4f16 a[0:3], v[2:3], v[14:15], a[0:3] cbsz:4 abid:5
	s_and_saveexec_b64 s[14:15], s[16:17]
	s_cbranch_execz .LBB509_938
; %bb.933:                              ;   in Loop: Header=BB509_788 Depth=1
	v_cmp_ne_u16_sdwa s[18:19], v6, s5 src0_sel:BYTE_0 src1_sel:DWORD
	v_bfrev_b32_e32 v12, 1
	s_and_saveexec_b64 s[16:17], s[18:19]
	s_cbranch_execz .LBB509_937
; %bb.934:                              ;   in Loop: Header=BB509_788 Depth=1
	v_and_b32_e32 v8, 0x7f, v6
	v_cmp_ne_u32_e32 vcc, s21, v8
	v_mov_b32_e32 v12, 0x7f800001
	s_and_saveexec_b64 s[18:19], vcc
	s_cbranch_execz .LBB509_936
; %bb.935:                              ;   in Loop: Header=BB509_788 Depth=1
	v_and_b32_e32 v14, 7, v6
	v_ffbh_u32_e32 v12, v14
	v_min_u32_e32 v16, 32, v12
	v_subrev_u32_e32 v12, 28, v16
	v_lshlrev_b64 v[12:13], v12, v[6:7]
	v_lshrrev_b32_e32 v15, 3, v8
	v_sub_u32_e32 v13, 29, v16
	v_and_b32_e32 v12, 7, v12
	v_cmp_gt_u32_e32 vcc, 8, v8
	v_cndmask_b32_e32 v8, v15, v13, vcc
	v_cndmask_b32_e32 v12, v14, v12, vcc
	v_lshlrev_b32_e32 v13, 24, v6
	v_lshlrev_b32_e32 v12, 20, v12
	v_and_b32_e32 v13, 0x80000000, v13
	v_lshl_add_u32 v8, v8, 23, v10
	v_or3_b32 v12, v13, v8, v12
.LBB509_936:                            ;   in Loop: Header=BB509_788 Depth=1
	s_or_b64 exec, exec, s[18:19]
.LBB509_937:                            ;   in Loop: Header=BB509_788 Depth=1
	s_or_b64 exec, exec, s[16:17]
.LBB509_938:                            ;   in Loop: Header=BB509_788 Depth=1
	s_or_b64 exec, exec, s[14:15]
	v_lshrrev_b16_e32 v8, 8, v6
	v_cmp_ne_u16_e32 vcc, 0, v8
	v_mov_b32_e32 v14, 0
	v_mov_b32_e32 v15, 0
	s_and_saveexec_b64 s[14:15], vcc
	s_cbranch_execz .LBB509_944
; %bb.939:                              ;   in Loop: Header=BB509_788 Depth=1
	v_cmp_ne_u16_e32 vcc, s5, v8
	v_bfrev_b32_e32 v15, 1
	s_and_saveexec_b64 s[16:17], vcc
	s_cbranch_execz .LBB509_943
; %bb.940:                              ;   in Loop: Header=BB509_788 Depth=1
	v_and_b32_e32 v13, 0x7f, v8
	v_cmp_ne_u32_e32 vcc, s21, v13
	v_mov_b32_e32 v15, 0x7f800001
	s_and_saveexec_b64 s[18:19], vcc
	s_cbranch_execz .LBB509_942
; %bb.941:                              ;   in Loop: Header=BB509_788 Depth=1
	v_and_b32_e32 v15, 7, v8
	v_ffbh_u32_e32 v16, v15
	v_min_u32_e32 v19, 32, v16
	v_subrev_u32_e32 v16, 28, v19
	v_lshlrev_b64 v[16:17], v16, v[8:9]
	v_lshrrev_b32_e32 v18, 3, v13
	v_sub_u32_e32 v8, 29, v19
	v_and_b32_e32 v16, 7, v16
	v_cmp_gt_u32_e32 vcc, 8, v13
	v_cndmask_b32_e32 v8, v18, v8, vcc
	v_cndmask_b32_e32 v13, v15, v16, vcc
	v_lshlrev_b32_e32 v15, 16, v6
	v_lshlrev_b32_e32 v13, 20, v13
	v_and_b32_e32 v15, 0x80000000, v15
	v_lshl_add_u32 v8, v8, 23, v10
	v_or3_b32 v15, v15, v8, v13
.LBB509_942:                            ;   in Loop: Header=BB509_788 Depth=1
	s_or_b64 exec, exec, s[18:19]
.LBB509_943:                            ;   in Loop: Header=BB509_788 Depth=1
	s_or_b64 exec, exec, s[16:17]
.LBB509_944:                            ;   in Loop: Header=BB509_788 Depth=1
	s_or_b64 exec, exec, s[14:15]
	v_lshrrev_b32_e32 v8, 16, v6
	v_cmp_ne_u16_sdwa s[16:17], v8, v9 src0_sel:BYTE_0 src1_sel:DWORD
	s_and_saveexec_b64 s[14:15], s[16:17]
	s_cbranch_execz .LBB509_950
; %bb.945:                              ;   in Loop: Header=BB509_788 Depth=1
	v_cmp_ne_u16_sdwa s[18:19], v8, s5 src0_sel:BYTE_0 src1_sel:DWORD
	v_bfrev_b32_e32 v14, 1
	s_and_saveexec_b64 s[16:17], s[18:19]
	s_cbranch_execz .LBB509_949
; %bb.946:                              ;   in Loop: Header=BB509_788 Depth=1
	v_bfe_u32 v13, v6, 16, 7
	v_cmp_ne_u32_e32 vcc, s21, v13
	v_mov_b32_e32 v14, 0x7f800001
	s_and_saveexec_b64 s[18:19], vcc
	s_cbranch_execz .LBB509_948
; %bb.947:                              ;   in Loop: Header=BB509_788 Depth=1
	v_and_b32_e32 v14, 7, v8
	v_ffbh_u32_e32 v16, v14
	v_min_u32_e32 v19, 32, v16
	v_subrev_u32_e32 v16, 28, v19
	v_lshlrev_b64 v[16:17], v16, v[8:9]
	v_lshrrev_b32_e32 v18, 3, v13
	v_sub_u32_e32 v17, 29, v19
	v_and_b32_e32 v16, 7, v16
	v_cmp_gt_u32_e32 vcc, 8, v13
	v_cndmask_b32_e32 v13, v18, v17, vcc
	v_cndmask_b32_e32 v14, v14, v16, vcc
	v_lshlrev_b32_e32 v8, 24, v8
	v_lshlrev_b32_e32 v14, 20, v14
	v_and_b32_e32 v8, 0x80000000, v8
	v_lshl_add_u32 v13, v13, 23, v10
	v_or3_b32 v14, v8, v13, v14
.LBB509_948:                            ;   in Loop: Header=BB509_788 Depth=1
	s_or_b64 exec, exec, s[18:19]
.LBB509_949:                            ;   in Loop: Header=BB509_788 Depth=1
	s_or_b64 exec, exec, s[16:17]
.LBB509_950:                            ;   in Loop: Header=BB509_788 Depth=1
	s_or_b64 exec, exec, s[14:15]
	v_cmp_lt_u32_e32 vcc, s22, v6
	v_mov_b32_e32 v16, 0
	v_mov_b32_e32 v17, 0
	s_and_saveexec_b64 s[14:15], vcc
	s_cbranch_execz .LBB509_956
; %bb.951:                              ;   in Loop: Header=BB509_788 Depth=1
	v_lshrrev_b32_e32 v8, 24, v6
	v_cmp_ne_u32_e32 vcc, s5, v8
	v_bfrev_b32_e32 v17, 1
	s_and_saveexec_b64 s[16:17], vcc
	s_cbranch_execz .LBB509_955
; %bb.952:                              ;   in Loop: Header=BB509_788 Depth=1
	v_bfe_u32 v6, v6, 24, 7
	v_cmp_ne_u32_e32 vcc, s21, v6
	v_mov_b32_e32 v17, 0x7f800001
	s_and_saveexec_b64 s[18:19], vcc
	s_cbranch_execz .LBB509_954
; %bb.953:                              ;   in Loop: Header=BB509_788 Depth=1
	v_and_b32_e32 v13, 7, v8
	v_ffbh_u32_e32 v18, v13
	v_min_u32_e32 v20, 32, v18
	v_subrev_u32_e32 v18, 28, v20
	v_lshlrev_b64 v[18:19], v18, v[8:9]
	v_lshrrev_b32_e32 v17, 3, v6
	v_sub_u32_e32 v19, 29, v20
	v_and_b32_e32 v18, 7, v18
	v_cmp_gt_u32_e32 vcc, 8, v6
	v_cndmask_b32_e32 v6, v17, v19, vcc
	v_cndmask_b32_e32 v13, v13, v18, vcc
	v_lshlrev_b32_e32 v8, 24, v8
	v_lshlrev_b32_e32 v13, 20, v13
	v_and_b32_e32 v8, 0x80000000, v8
	v_lshl_add_u32 v6, v6, 23, v10
	v_or3_b32 v17, v8, v6, v13
.LBB509_954:                            ;   in Loop: Header=BB509_788 Depth=1
	s_or_b64 exec, exec, s[18:19]
.LBB509_955:                            ;   in Loop: Header=BB509_788 Depth=1
	s_or_b64 exec, exec, s[16:17]
.LBB509_956:                            ;   in Loop: Header=BB509_788 Depth=1
	s_or_b64 exec, exec, s[14:15]
	s_waitcnt vmcnt(0)
	v_cmp_ne_u16_sdwa s[16:17], v4, v9 src0_sel:BYTE_0 src1_sel:DWORD
	s_and_saveexec_b64 s[14:15], s[16:17]
	s_cbranch_execz .LBB509_962
; %bb.957:                              ;   in Loop: Header=BB509_788 Depth=1
	v_cmp_ne_u16_sdwa s[18:19], v4, s5 src0_sel:BYTE_0 src1_sel:DWORD
	v_bfrev_b32_e32 v16, 1
	s_and_saveexec_b64 s[16:17], s[18:19]
	s_cbranch_execz .LBB509_961
; %bb.958:                              ;   in Loop: Header=BB509_788 Depth=1
	v_and_b32_e32 v6, 0x7f, v4
	v_cmp_ne_u32_e32 vcc, s21, v6
	v_mov_b32_e32 v16, 0x7f800001
	s_and_saveexec_b64 s[18:19], vcc
	s_cbranch_execz .LBB509_960
; %bb.959:                              ;   in Loop: Header=BB509_788 Depth=1
	v_and_b32_e32 v8, 7, v4
	v_ffbh_u32_e32 v16, v8
	v_min_u32_e32 v16, 32, v16
	v_subrev_u32_e32 v18, 28, v16
	v_lshlrev_b64 v[18:19], v18, v[4:5]
	v_lshrrev_b32_e32 v13, 3, v6
	v_sub_u32_e32 v16, 29, v16
	v_and_b32_e32 v18, 7, v18
	v_cmp_gt_u32_e32 vcc, 8, v6
	v_cndmask_b32_e32 v6, v13, v16, vcc
	v_cndmask_b32_e32 v8, v8, v18, vcc
	v_lshlrev_b32_e32 v13, 24, v4
	v_lshlrev_b32_e32 v8, 20, v8
	v_and_b32_e32 v13, 0x80000000, v13
	v_lshl_add_u32 v6, v6, 23, v10
	v_or3_b32 v16, v13, v6, v8
.LBB509_960:                            ;   in Loop: Header=BB509_788 Depth=1
	s_or_b64 exec, exec, s[18:19]
.LBB509_961:                            ;   in Loop: Header=BB509_788 Depth=1
	s_or_b64 exec, exec, s[16:17]
.LBB509_962:                            ;   in Loop: Header=BB509_788 Depth=1
	s_or_b64 exec, exec, s[14:15]
	v_lshrrev_b16_e32 v6, 8, v4
	v_cmp_ne_u16_e32 vcc, 0, v6
	v_mov_b32_e32 v8, 0
	v_mov_b32_e32 v18, 0
	s_and_saveexec_b64 s[14:15], vcc
	s_cbranch_execz .LBB509_968
; %bb.963:                              ;   in Loop: Header=BB509_788 Depth=1
	v_cmp_ne_u16_e32 vcc, s5, v6
	v_bfrev_b32_e32 v18, 1
	s_and_saveexec_b64 s[16:17], vcc
	s_cbranch_execz .LBB509_967
; %bb.964:                              ;   in Loop: Header=BB509_788 Depth=1
	v_and_b32_e32 v13, 0x7f, v6
	v_cmp_ne_u32_e32 vcc, s21, v13
	v_mov_b32_e32 v18, 0x7f800001
	s_and_saveexec_b64 s[18:19], vcc
	s_cbranch_execz .LBB509_966
; %bb.965:                              ;   in Loop: Header=BB509_788 Depth=1
	v_and_b32_e32 v20, 7, v6
	v_ffbh_u32_e32 v18, v20
	v_min_u32_e32 v22, 32, v18
	v_subrev_u32_e32 v18, 28, v22
	v_lshlrev_b64 v[18:19], v18, v[6:7]
	v_lshrrev_b32_e32 v21, 3, v13
	v_sub_u32_e32 v6, 29, v22
	v_and_b32_e32 v18, 7, v18
	v_cmp_gt_u32_e32 vcc, 8, v13
	v_cndmask_b32_e32 v6, v21, v6, vcc
	v_cndmask_b32_e32 v13, v20, v18, vcc
	v_lshlrev_b32_e32 v18, 16, v4
	v_lshlrev_b32_e32 v13, 20, v13
	v_and_b32_e32 v18, 0x80000000, v18
	v_lshl_add_u32 v6, v6, 23, v10
	v_or3_b32 v18, v18, v6, v13
.LBB509_966:                            ;   in Loop: Header=BB509_788 Depth=1
	s_or_b64 exec, exec, s[18:19]
.LBB509_967:                            ;   in Loop: Header=BB509_788 Depth=1
	s_or_b64 exec, exec, s[16:17]
.LBB509_968:                            ;   in Loop: Header=BB509_788 Depth=1
	s_or_b64 exec, exec, s[14:15]
	v_lshrrev_b32_e32 v6, 16, v4
	v_cmp_ne_u16_sdwa s[16:17], v6, v9 src0_sel:BYTE_0 src1_sel:DWORD
	s_and_saveexec_b64 s[14:15], s[16:17]
	s_cbranch_execz .LBB509_974
; %bb.969:                              ;   in Loop: Header=BB509_788 Depth=1
	v_cmp_ne_u16_sdwa s[18:19], v6, s5 src0_sel:BYTE_0 src1_sel:DWORD
	v_bfrev_b32_e32 v8, 1
	s_and_saveexec_b64 s[16:17], s[18:19]
	s_cbranch_execz .LBB509_973
; %bb.970:                              ;   in Loop: Header=BB509_788 Depth=1
	v_bfe_u32 v13, v4, 16, 7
	v_cmp_ne_u32_e32 vcc, s21, v13
	v_mov_b32_e32 v8, 0x7f800001
	s_and_saveexec_b64 s[18:19], vcc
	s_cbranch_execz .LBB509_972
; %bb.971:                              ;   in Loop: Header=BB509_788 Depth=1
	v_and_b32_e32 v8, 7, v6
	v_ffbh_u32_e32 v20, v8
	v_min_u32_e32 v22, 32, v20
	v_subrev_u32_e32 v20, 28, v22
	v_lshlrev_b64 v[20:21], v20, v[6:7]
	v_lshrrev_b32_e32 v19, 3, v13
	v_sub_u32_e32 v21, 29, v22
	v_and_b32_e32 v20, 7, v20
	v_cmp_gt_u32_e32 vcc, 8, v13
	v_cndmask_b32_e32 v13, v19, v21, vcc
	v_cndmask_b32_e32 v8, v8, v20, vcc
	v_lshlrev_b32_e32 v6, 24, v6
	v_lshlrev_b32_e32 v8, 20, v8
	v_and_b32_e32 v6, 0x80000000, v6
	v_lshl_add_u32 v13, v13, 23, v10
	v_or3_b32 v8, v6, v13, v8
.LBB509_972:                            ;   in Loop: Header=BB509_788 Depth=1
	s_or_b64 exec, exec, s[18:19]
.LBB509_973:                            ;   in Loop: Header=BB509_788 Depth=1
	s_or_b64 exec, exec, s[16:17]
.LBB509_974:                            ;   in Loop: Header=BB509_788 Depth=1
	s_or_b64 exec, exec, s[14:15]
	v_cmp_lt_u32_e32 vcc, s22, v4
	v_mov_b32_e32 v13, 0
	v_mov_b32_e32 v19, 0
	s_and_saveexec_b64 s[14:15], vcc
	s_cbranch_execz .LBB509_980
; %bb.975:                              ;   in Loop: Header=BB509_788 Depth=1
	v_lshrrev_b32_e32 v6, 24, v4
	v_cmp_ne_u32_e32 vcc, s5, v6
	v_bfrev_b32_e32 v19, 1
	s_and_saveexec_b64 s[16:17], vcc
	s_cbranch_execz .LBB509_979
; %bb.976:                              ;   in Loop: Header=BB509_788 Depth=1
	v_bfe_u32 v4, v4, 24, 7
	v_cmp_ne_u32_e32 vcc, s21, v4
	v_mov_b32_e32 v19, 0x7f800001
	s_and_saveexec_b64 s[18:19], vcc
	s_cbranch_execz .LBB509_978
; %bb.977:                              ;   in Loop: Header=BB509_788 Depth=1
	v_and_b32_e32 v19, 7, v6
	v_ffbh_u32_e32 v20, v19
	v_min_u32_e32 v23, 32, v20
	v_subrev_u32_e32 v20, 28, v23
	v_lshlrev_b64 v[20:21], v20, v[6:7]
	v_lshrrev_b32_e32 v22, 3, v4
	v_sub_u32_e32 v21, 29, v23
	v_and_b32_e32 v20, 7, v20
	v_cmp_gt_u32_e32 vcc, 8, v4
	v_cndmask_b32_e32 v4, v22, v21, vcc
	v_cndmask_b32_e32 v19, v19, v20, vcc
	v_lshlrev_b32_e32 v6, 24, v6
	v_lshlrev_b32_e32 v19, 20, v19
	v_and_b32_e32 v6, 0x80000000, v6
	v_lshl_add_u32 v4, v4, 23, v10
	v_or3_b32 v19, v6, v4, v19
.LBB509_978:                            ;   in Loop: Header=BB509_788 Depth=1
	s_or_b64 exec, exec, s[18:19]
.LBB509_979:                            ;   in Loop: Header=BB509_788 Depth=1
	s_or_b64 exec, exec, s[16:17]
.LBB509_980:                            ;   in Loop: Header=BB509_788 Depth=1
	s_or_b64 exec, exec, s[14:15]
	buffer_load_dword v6, v11, s[0:3], 0 offen offset:32
	buffer_load_dword v4, v11, s[0:3], 0 offen offset:36
	v_cvt_pkrtz_f16_f32 v20, v12, v15
	v_cvt_pkrtz_f16_f32 v21, v14, v17
	v_cvt_pkrtz_f16_f32 v14, v16, v18
	v_cvt_pkrtz_f16_f32 v15, v8, v19
	v_mfma_f32_4x4x4f16 a[0:3], v[2:3], v[20:21], a[0:3] cbsz:4 abid:6
	s_waitcnt vmcnt(1)
	v_cmp_ne_u16_sdwa s[16:17], v6, v9 src0_sel:BYTE_0 src1_sel:DWORD
	v_mfma_f32_4x4x4f16 a[0:3], v[2:3], v[14:15], a[0:3] cbsz:4 abid:7
	s_and_saveexec_b64 s[14:15], s[16:17]
	s_cbranch_execz .LBB509_986
; %bb.981:                              ;   in Loop: Header=BB509_788 Depth=1
	v_cmp_ne_u16_sdwa s[18:19], v6, s5 src0_sel:BYTE_0 src1_sel:DWORD
	v_bfrev_b32_e32 v13, 1
	s_and_saveexec_b64 s[16:17], s[18:19]
	s_cbranch_execz .LBB509_985
; %bb.982:                              ;   in Loop: Header=BB509_788 Depth=1
	v_and_b32_e32 v8, 0x7f, v6
	v_cmp_ne_u32_e32 vcc, s21, v8
	v_mov_b32_e32 v13, 0x7f800001
	s_and_saveexec_b64 s[18:19], vcc
	s_cbranch_execz .LBB509_984
; %bb.983:                              ;   in Loop: Header=BB509_788 Depth=1
	v_and_b32_e32 v14, 7, v6
	v_ffbh_u32_e32 v12, v14
	v_min_u32_e32 v16, 32, v12
	v_subrev_u32_e32 v12, 28, v16
	v_lshlrev_b64 v[12:13], v12, v[6:7]
	v_lshrrev_b32_e32 v15, 3, v8
	v_sub_u32_e32 v13, 29, v16
	v_and_b32_e32 v12, 7, v12
	v_cmp_gt_u32_e32 vcc, 8, v8
	v_cndmask_b32_e32 v8, v15, v13, vcc
	v_cndmask_b32_e32 v12, v14, v12, vcc
	v_lshlrev_b32_e32 v13, 24, v6
	v_lshlrev_b32_e32 v12, 20, v12
	v_and_b32_e32 v13, 0x80000000, v13
	v_lshl_add_u32 v8, v8, 23, v10
	v_or3_b32 v13, v13, v8, v12
.LBB509_984:                            ;   in Loop: Header=BB509_788 Depth=1
	s_or_b64 exec, exec, s[18:19]
.LBB509_985:                            ;   in Loop: Header=BB509_788 Depth=1
	s_or_b64 exec, exec, s[16:17]
.LBB509_986:                            ;   in Loop: Header=BB509_788 Depth=1
	s_or_b64 exec, exec, s[14:15]
	v_lshrrev_b16_e32 v8, 8, v6
	v_cmp_ne_u16_e32 vcc, 0, v8
	v_mov_b32_e32 v12, 0
	v_mov_b32_e32 v15, 0
	s_and_saveexec_b64 s[14:15], vcc
	s_cbranch_execz .LBB509_992
; %bb.987:                              ;   in Loop: Header=BB509_788 Depth=1
	v_cmp_ne_u16_e32 vcc, s5, v8
	v_bfrev_b32_e32 v15, 1
	s_and_saveexec_b64 s[16:17], vcc
	s_cbranch_execz .LBB509_991
; %bb.988:                              ;   in Loop: Header=BB509_788 Depth=1
	v_and_b32_e32 v14, 0x7f, v8
	v_cmp_ne_u32_e32 vcc, s21, v14
	v_mov_b32_e32 v15, 0x7f800001
	s_and_saveexec_b64 s[18:19], vcc
	s_cbranch_execz .LBB509_990
; %bb.989:                              ;   in Loop: Header=BB509_788 Depth=1
	v_and_b32_e32 v15, 7, v8
	v_ffbh_u32_e32 v16, v15
	v_min_u32_e32 v19, 32, v16
	v_subrev_u32_e32 v16, 28, v19
	v_lshlrev_b64 v[16:17], v16, v[8:9]
	v_lshrrev_b32_e32 v18, 3, v14
	v_sub_u32_e32 v8, 29, v19
	v_and_b32_e32 v16, 7, v16
	v_cmp_gt_u32_e32 vcc, 8, v14
	v_cndmask_b32_e32 v8, v18, v8, vcc
	v_cndmask_b32_e32 v14, v15, v16, vcc
	v_lshlrev_b32_e32 v15, 16, v6
	v_lshlrev_b32_e32 v14, 20, v14
	v_and_b32_e32 v15, 0x80000000, v15
	v_lshl_add_u32 v8, v8, 23, v10
	v_or3_b32 v15, v15, v8, v14
.LBB509_990:                            ;   in Loop: Header=BB509_788 Depth=1
	s_or_b64 exec, exec, s[18:19]
.LBB509_991:                            ;   in Loop: Header=BB509_788 Depth=1
	s_or_b64 exec, exec, s[16:17]
.LBB509_992:                            ;   in Loop: Header=BB509_788 Depth=1
	s_or_b64 exec, exec, s[14:15]
	v_lshrrev_b32_e32 v8, 16, v6
	v_cmp_ne_u16_sdwa s[16:17], v8, v9 src0_sel:BYTE_0 src1_sel:DWORD
	s_and_saveexec_b64 s[14:15], s[16:17]
	s_cbranch_execz .LBB509_998
; %bb.993:                              ;   in Loop: Header=BB509_788 Depth=1
	v_cmp_ne_u16_sdwa s[18:19], v8, s5 src0_sel:BYTE_0 src1_sel:DWORD
	v_bfrev_b32_e32 v12, 1
	s_and_saveexec_b64 s[16:17], s[18:19]
	s_cbranch_execz .LBB509_997
; %bb.994:                              ;   in Loop: Header=BB509_788 Depth=1
	v_bfe_u32 v14, v6, 16, 7
	v_cmp_ne_u32_e32 vcc, s21, v14
	v_mov_b32_e32 v12, 0x7f800001
	s_and_saveexec_b64 s[18:19], vcc
	s_cbranch_execz .LBB509_996
; %bb.995:                              ;   in Loop: Header=BB509_788 Depth=1
	v_and_b32_e32 v12, 7, v8
	v_ffbh_u32_e32 v16, v12
	v_min_u32_e32 v19, 32, v16
	v_subrev_u32_e32 v16, 28, v19
	v_lshlrev_b64 v[16:17], v16, v[8:9]
	v_lshrrev_b32_e32 v18, 3, v14
	v_sub_u32_e32 v17, 29, v19
	v_and_b32_e32 v16, 7, v16
	v_cmp_gt_u32_e32 vcc, 8, v14
	v_cndmask_b32_e32 v14, v18, v17, vcc
	v_cndmask_b32_e32 v12, v12, v16, vcc
	v_lshlrev_b32_e32 v8, 24, v8
	v_lshlrev_b32_e32 v12, 20, v12
	v_and_b32_e32 v8, 0x80000000, v8
	v_lshl_add_u32 v14, v14, 23, v10
	v_or3_b32 v12, v8, v14, v12
.LBB509_996:                            ;   in Loop: Header=BB509_788 Depth=1
	s_or_b64 exec, exec, s[18:19]
.LBB509_997:                            ;   in Loop: Header=BB509_788 Depth=1
	s_or_b64 exec, exec, s[16:17]
.LBB509_998:                            ;   in Loop: Header=BB509_788 Depth=1
	s_or_b64 exec, exec, s[14:15]
	v_cmp_lt_u32_e32 vcc, s22, v6
	v_mov_b32_e32 v16, 0
	v_mov_b32_e32 v17, 0
	s_and_saveexec_b64 s[14:15], vcc
	s_cbranch_execz .LBB509_1004
; %bb.999:                              ;   in Loop: Header=BB509_788 Depth=1
	v_lshrrev_b32_e32 v8, 24, v6
	v_cmp_ne_u32_e32 vcc, s5, v8
	v_bfrev_b32_e32 v17, 1
	s_and_saveexec_b64 s[16:17], vcc
	s_cbranch_execz .LBB509_1003
; %bb.1000:                             ;   in Loop: Header=BB509_788 Depth=1
	v_bfe_u32 v6, v6, 24, 7
	v_cmp_ne_u32_e32 vcc, s21, v6
	v_mov_b32_e32 v17, 0x7f800001
	s_and_saveexec_b64 s[18:19], vcc
	s_cbranch_execz .LBB509_1002
; %bb.1001:                             ;   in Loop: Header=BB509_788 Depth=1
	v_and_b32_e32 v14, 7, v8
	v_ffbh_u32_e32 v18, v14
	v_min_u32_e32 v20, 32, v18
	v_subrev_u32_e32 v18, 28, v20
	v_lshlrev_b64 v[18:19], v18, v[8:9]
	v_lshrrev_b32_e32 v17, 3, v6
	v_sub_u32_e32 v19, 29, v20
	v_and_b32_e32 v18, 7, v18
	v_cmp_gt_u32_e32 vcc, 8, v6
	v_cndmask_b32_e32 v6, v17, v19, vcc
	v_cndmask_b32_e32 v14, v14, v18, vcc
	v_lshlrev_b32_e32 v8, 24, v8
	v_lshlrev_b32_e32 v14, 20, v14
	v_and_b32_e32 v8, 0x80000000, v8
	v_lshl_add_u32 v6, v6, 23, v10
	v_or3_b32 v17, v8, v6, v14
.LBB509_1002:                           ;   in Loop: Header=BB509_788 Depth=1
	s_or_b64 exec, exec, s[18:19]
.LBB509_1003:                           ;   in Loop: Header=BB509_788 Depth=1
	s_or_b64 exec, exec, s[16:17]
.LBB509_1004:                           ;   in Loop: Header=BB509_788 Depth=1
	s_or_b64 exec, exec, s[14:15]
	s_waitcnt vmcnt(0)
	v_cmp_ne_u16_sdwa s[16:17], v4, v9 src0_sel:BYTE_0 src1_sel:DWORD
	s_and_saveexec_b64 s[14:15], s[16:17]
	s_cbranch_execz .LBB509_1010
; %bb.1005:                             ;   in Loop: Header=BB509_788 Depth=1
	v_cmp_ne_u16_sdwa s[18:19], v4, s5 src0_sel:BYTE_0 src1_sel:DWORD
	v_bfrev_b32_e32 v16, 1
	s_and_saveexec_b64 s[16:17], s[18:19]
	s_cbranch_execz .LBB509_1009
; %bb.1006:                             ;   in Loop: Header=BB509_788 Depth=1
	v_and_b32_e32 v6, 0x7f, v4
	v_cmp_ne_u32_e32 vcc, s21, v6
	v_mov_b32_e32 v16, 0x7f800001
	s_and_saveexec_b64 s[18:19], vcc
	s_cbranch_execz .LBB509_1008
; %bb.1007:                             ;   in Loop: Header=BB509_788 Depth=1
	v_and_b32_e32 v8, 7, v4
	v_ffbh_u32_e32 v16, v8
	v_min_u32_e32 v16, 32, v16
	v_subrev_u32_e32 v18, 28, v16
	v_lshlrev_b64 v[18:19], v18, v[4:5]
	v_lshrrev_b32_e32 v14, 3, v6
	v_sub_u32_e32 v16, 29, v16
	v_and_b32_e32 v18, 7, v18
	v_cmp_gt_u32_e32 vcc, 8, v6
	v_cndmask_b32_e32 v6, v14, v16, vcc
	v_cndmask_b32_e32 v8, v8, v18, vcc
	v_lshlrev_b32_e32 v14, 24, v4
	v_lshlrev_b32_e32 v8, 20, v8
	v_and_b32_e32 v14, 0x80000000, v14
	v_lshl_add_u32 v6, v6, 23, v10
	v_or3_b32 v16, v14, v6, v8
.LBB509_1008:                           ;   in Loop: Header=BB509_788 Depth=1
	s_or_b64 exec, exec, s[18:19]
.LBB509_1009:                           ;   in Loop: Header=BB509_788 Depth=1
	s_or_b64 exec, exec, s[16:17]
.LBB509_1010:                           ;   in Loop: Header=BB509_788 Depth=1
	s_or_b64 exec, exec, s[14:15]
	v_lshrrev_b16_e32 v6, 8, v4
	v_cmp_ne_u16_e32 vcc, 0, v6
	v_mov_b32_e32 v8, 0
	v_mov_b32_e32 v18, 0
	s_and_saveexec_b64 s[14:15], vcc
	s_cbranch_execz .LBB509_1016
; %bb.1011:                             ;   in Loop: Header=BB509_788 Depth=1
	v_cmp_ne_u16_e32 vcc, s5, v6
	v_bfrev_b32_e32 v18, 1
	s_and_saveexec_b64 s[16:17], vcc
	s_cbranch_execz .LBB509_1015
; %bb.1012:                             ;   in Loop: Header=BB509_788 Depth=1
	v_and_b32_e32 v14, 0x7f, v6
	v_cmp_ne_u32_e32 vcc, s21, v14
	v_mov_b32_e32 v18, 0x7f800001
	s_and_saveexec_b64 s[18:19], vcc
	s_cbranch_execz .LBB509_1014
; %bb.1013:                             ;   in Loop: Header=BB509_788 Depth=1
	v_and_b32_e32 v20, 7, v6
	v_ffbh_u32_e32 v18, v20
	v_min_u32_e32 v22, 32, v18
	v_subrev_u32_e32 v18, 28, v22
	v_lshlrev_b64 v[18:19], v18, v[6:7]
	v_lshrrev_b32_e32 v21, 3, v14
	v_sub_u32_e32 v6, 29, v22
	v_and_b32_e32 v18, 7, v18
	v_cmp_gt_u32_e32 vcc, 8, v14
	v_cndmask_b32_e32 v6, v21, v6, vcc
	v_cndmask_b32_e32 v14, v20, v18, vcc
	v_lshlrev_b32_e32 v18, 16, v4
	v_lshlrev_b32_e32 v14, 20, v14
	v_and_b32_e32 v18, 0x80000000, v18
	v_lshl_add_u32 v6, v6, 23, v10
	v_or3_b32 v18, v18, v6, v14
.LBB509_1014:                           ;   in Loop: Header=BB509_788 Depth=1
	s_or_b64 exec, exec, s[18:19]
.LBB509_1015:                           ;   in Loop: Header=BB509_788 Depth=1
	s_or_b64 exec, exec, s[16:17]
.LBB509_1016:                           ;   in Loop: Header=BB509_788 Depth=1
	s_or_b64 exec, exec, s[14:15]
	v_lshrrev_b32_e32 v6, 16, v4
	v_cmp_ne_u16_sdwa s[16:17], v6, v9 src0_sel:BYTE_0 src1_sel:DWORD
	s_and_saveexec_b64 s[14:15], s[16:17]
	s_cbranch_execz .LBB509_1022
; %bb.1017:                             ;   in Loop: Header=BB509_788 Depth=1
	v_cmp_ne_u16_sdwa s[18:19], v6, s5 src0_sel:BYTE_0 src1_sel:DWORD
	v_bfrev_b32_e32 v8, 1
	s_and_saveexec_b64 s[16:17], s[18:19]
	s_cbranch_execz .LBB509_1021
; %bb.1018:                             ;   in Loop: Header=BB509_788 Depth=1
	v_bfe_u32 v14, v4, 16, 7
	v_cmp_ne_u32_e32 vcc, s21, v14
	v_mov_b32_e32 v8, 0x7f800001
	s_and_saveexec_b64 s[18:19], vcc
	s_cbranch_execz .LBB509_1020
; %bb.1019:                             ;   in Loop: Header=BB509_788 Depth=1
	v_and_b32_e32 v8, 7, v6
	v_ffbh_u32_e32 v20, v8
	v_min_u32_e32 v22, 32, v20
	v_subrev_u32_e32 v20, 28, v22
	v_lshlrev_b64 v[20:21], v20, v[6:7]
	v_lshrrev_b32_e32 v19, 3, v14
	v_sub_u32_e32 v21, 29, v22
	v_and_b32_e32 v20, 7, v20
	v_cmp_gt_u32_e32 vcc, 8, v14
	v_cndmask_b32_e32 v14, v19, v21, vcc
	v_cndmask_b32_e32 v8, v8, v20, vcc
	v_lshlrev_b32_e32 v6, 24, v6
	v_lshlrev_b32_e32 v8, 20, v8
	v_and_b32_e32 v6, 0x80000000, v6
	v_lshl_add_u32 v14, v14, 23, v10
	v_or3_b32 v8, v6, v14, v8
.LBB509_1020:                           ;   in Loop: Header=BB509_788 Depth=1
	s_or_b64 exec, exec, s[18:19]
.LBB509_1021:                           ;   in Loop: Header=BB509_788 Depth=1
	s_or_b64 exec, exec, s[16:17]
.LBB509_1022:                           ;   in Loop: Header=BB509_788 Depth=1
	s_or_b64 exec, exec, s[14:15]
	v_cmp_lt_u32_e32 vcc, s22, v4
	v_mov_b32_e32 v14, 0
	v_mov_b32_e32 v19, 0
	s_and_saveexec_b64 s[14:15], vcc
	s_cbranch_execz .LBB509_1028
; %bb.1023:                             ;   in Loop: Header=BB509_788 Depth=1
	v_lshrrev_b32_e32 v6, 24, v4
	v_cmp_ne_u32_e32 vcc, s5, v6
	v_bfrev_b32_e32 v19, 1
	s_and_saveexec_b64 s[16:17], vcc
	s_cbranch_execz .LBB509_1027
; %bb.1024:                             ;   in Loop: Header=BB509_788 Depth=1
	v_bfe_u32 v4, v4, 24, 7
	v_cmp_ne_u32_e32 vcc, s21, v4
	v_mov_b32_e32 v19, 0x7f800001
	s_and_saveexec_b64 s[18:19], vcc
	s_cbranch_execz .LBB509_1026
; %bb.1025:                             ;   in Loop: Header=BB509_788 Depth=1
	v_and_b32_e32 v19, 7, v6
	v_ffbh_u32_e32 v20, v19
	v_min_u32_e32 v23, 32, v20
	v_subrev_u32_e32 v20, 28, v23
	v_lshlrev_b64 v[20:21], v20, v[6:7]
	v_lshrrev_b32_e32 v22, 3, v4
	v_sub_u32_e32 v21, 29, v23
	v_and_b32_e32 v20, 7, v20
	v_cmp_gt_u32_e32 vcc, 8, v4
	v_cndmask_b32_e32 v4, v22, v21, vcc
	v_cndmask_b32_e32 v19, v19, v20, vcc
	v_lshlrev_b32_e32 v6, 24, v6
	v_lshlrev_b32_e32 v19, 20, v19
	v_and_b32_e32 v6, 0x80000000, v6
	v_lshl_add_u32 v4, v4, 23, v10
	v_or3_b32 v19, v6, v4, v19
.LBB509_1026:                           ;   in Loop: Header=BB509_788 Depth=1
	s_or_b64 exec, exec, s[18:19]
.LBB509_1027:                           ;   in Loop: Header=BB509_788 Depth=1
	s_or_b64 exec, exec, s[16:17]
.LBB509_1028:                           ;   in Loop: Header=BB509_788 Depth=1
	s_or_b64 exec, exec, s[14:15]
	buffer_load_dword v6, v11, s[0:3], 0 offen offset:40
	buffer_load_dword v4, v11, s[0:3], 0 offen offset:44
	v_cvt_pkrtz_f16_f32 v20, v13, v15
	v_cvt_pkrtz_f16_f32 v21, v12, v17
	;; [unrolled: 1-line block ×4, first 2 shown]
	v_mfma_f32_4x4x4f16 a[0:3], v[2:3], v[20:21], a[0:3] cbsz:4 abid:8
	s_waitcnt vmcnt(1)
	v_cmp_ne_u16_sdwa s[16:17], v6, v9 src0_sel:BYTE_0 src1_sel:DWORD
	v_mfma_f32_4x4x4f16 a[0:3], v[2:3], v[12:13], a[0:3] cbsz:4 abid:9
	s_and_saveexec_b64 s[14:15], s[16:17]
	s_cbranch_execz .LBB509_1034
; %bb.1029:                             ;   in Loop: Header=BB509_788 Depth=1
	v_cmp_ne_u16_sdwa s[18:19], v6, s5 src0_sel:BYTE_0 src1_sel:DWORD
	v_bfrev_b32_e32 v14, 1
	s_and_saveexec_b64 s[16:17], s[18:19]
	s_cbranch_execz .LBB509_1033
; %bb.1030:                             ;   in Loop: Header=BB509_788 Depth=1
	v_and_b32_e32 v8, 0x7f, v6
	v_cmp_ne_u32_e32 vcc, s21, v8
	v_mov_b32_e32 v14, 0x7f800001
	s_and_saveexec_b64 s[18:19], vcc
	s_cbranch_execz .LBB509_1032
; %bb.1031:                             ;   in Loop: Header=BB509_788 Depth=1
	v_and_b32_e32 v14, 7, v6
	v_ffbh_u32_e32 v12, v14
	v_min_u32_e32 v16, 32, v12
	v_subrev_u32_e32 v12, 28, v16
	v_lshlrev_b64 v[12:13], v12, v[6:7]
	v_lshrrev_b32_e32 v15, 3, v8
	v_sub_u32_e32 v13, 29, v16
	v_and_b32_e32 v12, 7, v12
	v_cmp_gt_u32_e32 vcc, 8, v8
	v_cndmask_b32_e32 v8, v15, v13, vcc
	v_cndmask_b32_e32 v12, v14, v12, vcc
	v_lshlrev_b32_e32 v13, 24, v6
	v_lshlrev_b32_e32 v12, 20, v12
	v_and_b32_e32 v13, 0x80000000, v13
	v_lshl_add_u32 v8, v8, 23, v10
	v_or3_b32 v14, v13, v8, v12
.LBB509_1032:                           ;   in Loop: Header=BB509_788 Depth=1
	s_or_b64 exec, exec, s[18:19]
.LBB509_1033:                           ;   in Loop: Header=BB509_788 Depth=1
	s_or_b64 exec, exec, s[16:17]
.LBB509_1034:                           ;   in Loop: Header=BB509_788 Depth=1
	s_or_b64 exec, exec, s[14:15]
	v_lshrrev_b16_e32 v8, 8, v6
	v_cmp_ne_u16_e32 vcc, 0, v8
	v_mov_b32_e32 v13, 0
	v_mov_b32_e32 v15, 0
	s_and_saveexec_b64 s[14:15], vcc
	s_cbranch_execz .LBB509_1040
; %bb.1035:                             ;   in Loop: Header=BB509_788 Depth=1
	v_cmp_ne_u16_e32 vcc, s5, v8
	v_bfrev_b32_e32 v15, 1
	s_and_saveexec_b64 s[16:17], vcc
	s_cbranch_execz .LBB509_1039
; %bb.1036:                             ;   in Loop: Header=BB509_788 Depth=1
	v_and_b32_e32 v12, 0x7f, v8
	v_cmp_ne_u32_e32 vcc, s21, v12
	v_mov_b32_e32 v15, 0x7f800001
	s_and_saveexec_b64 s[18:19], vcc
	s_cbranch_execz .LBB509_1038
; %bb.1037:                             ;   in Loop: Header=BB509_788 Depth=1
	v_and_b32_e32 v15, 7, v8
	v_ffbh_u32_e32 v16, v15
	v_min_u32_e32 v19, 32, v16
	v_subrev_u32_e32 v16, 28, v19
	v_lshlrev_b64 v[16:17], v16, v[8:9]
	v_lshrrev_b32_e32 v18, 3, v12
	v_sub_u32_e32 v8, 29, v19
	v_and_b32_e32 v16, 7, v16
	v_cmp_gt_u32_e32 vcc, 8, v12
	v_cndmask_b32_e32 v8, v18, v8, vcc
	v_cndmask_b32_e32 v12, v15, v16, vcc
	v_lshlrev_b32_e32 v15, 16, v6
	v_lshlrev_b32_e32 v12, 20, v12
	v_and_b32_e32 v15, 0x80000000, v15
	v_lshl_add_u32 v8, v8, 23, v10
	v_or3_b32 v15, v15, v8, v12
.LBB509_1038:                           ;   in Loop: Header=BB509_788 Depth=1
	s_or_b64 exec, exec, s[18:19]
.LBB509_1039:                           ;   in Loop: Header=BB509_788 Depth=1
	s_or_b64 exec, exec, s[16:17]
.LBB509_1040:                           ;   in Loop: Header=BB509_788 Depth=1
	s_or_b64 exec, exec, s[14:15]
	v_lshrrev_b32_e32 v8, 16, v6
	v_cmp_ne_u16_sdwa s[16:17], v8, v9 src0_sel:BYTE_0 src1_sel:DWORD
	s_and_saveexec_b64 s[14:15], s[16:17]
	s_cbranch_execz .LBB509_1046
; %bb.1041:                             ;   in Loop: Header=BB509_788 Depth=1
	v_cmp_ne_u16_sdwa s[18:19], v8, s5 src0_sel:BYTE_0 src1_sel:DWORD
	v_bfrev_b32_e32 v13, 1
	s_and_saveexec_b64 s[16:17], s[18:19]
	s_cbranch_execz .LBB509_1045
; %bb.1042:                             ;   in Loop: Header=BB509_788 Depth=1
	v_bfe_u32 v12, v6, 16, 7
	v_cmp_ne_u32_e32 vcc, s21, v12
	v_mov_b32_e32 v13, 0x7f800001
	s_and_saveexec_b64 s[18:19], vcc
	s_cbranch_execz .LBB509_1044
; %bb.1043:                             ;   in Loop: Header=BB509_788 Depth=1
	v_and_b32_e32 v13, 7, v8
	v_ffbh_u32_e32 v16, v13
	v_min_u32_e32 v19, 32, v16
	v_subrev_u32_e32 v16, 28, v19
	v_lshlrev_b64 v[16:17], v16, v[8:9]
	v_lshrrev_b32_e32 v18, 3, v12
	v_sub_u32_e32 v17, 29, v19
	v_and_b32_e32 v16, 7, v16
	v_cmp_gt_u32_e32 vcc, 8, v12
	v_cndmask_b32_e32 v12, v18, v17, vcc
	v_cndmask_b32_e32 v13, v13, v16, vcc
	v_lshlrev_b32_e32 v8, 24, v8
	v_lshlrev_b32_e32 v13, 20, v13
	v_and_b32_e32 v8, 0x80000000, v8
	v_lshl_add_u32 v12, v12, 23, v10
	v_or3_b32 v13, v8, v12, v13
.LBB509_1044:                           ;   in Loop: Header=BB509_788 Depth=1
	s_or_b64 exec, exec, s[18:19]
.LBB509_1045:                           ;   in Loop: Header=BB509_788 Depth=1
	s_or_b64 exec, exec, s[16:17]
.LBB509_1046:                           ;   in Loop: Header=BB509_788 Depth=1
	s_or_b64 exec, exec, s[14:15]
	v_cmp_lt_u32_e32 vcc, s22, v6
	v_mov_b32_e32 v16, 0
	v_mov_b32_e32 v17, 0
	s_and_saveexec_b64 s[14:15], vcc
	s_cbranch_execz .LBB509_1052
; %bb.1047:                             ;   in Loop: Header=BB509_788 Depth=1
	v_lshrrev_b32_e32 v8, 24, v6
	v_cmp_ne_u32_e32 vcc, s5, v8
	v_bfrev_b32_e32 v17, 1
	s_and_saveexec_b64 s[16:17], vcc
	s_cbranch_execz .LBB509_1051
; %bb.1048:                             ;   in Loop: Header=BB509_788 Depth=1
	v_bfe_u32 v6, v6, 24, 7
	v_cmp_ne_u32_e32 vcc, s21, v6
	v_mov_b32_e32 v17, 0x7f800001
	s_and_saveexec_b64 s[18:19], vcc
	s_cbranch_execz .LBB509_1050
; %bb.1049:                             ;   in Loop: Header=BB509_788 Depth=1
	v_and_b32_e32 v12, 7, v8
	v_ffbh_u32_e32 v18, v12
	v_min_u32_e32 v20, 32, v18
	v_subrev_u32_e32 v18, 28, v20
	v_lshlrev_b64 v[18:19], v18, v[8:9]
	v_lshrrev_b32_e32 v17, 3, v6
	v_sub_u32_e32 v19, 29, v20
	v_and_b32_e32 v18, 7, v18
	v_cmp_gt_u32_e32 vcc, 8, v6
	v_cndmask_b32_e32 v6, v17, v19, vcc
	v_cndmask_b32_e32 v12, v12, v18, vcc
	v_lshlrev_b32_e32 v8, 24, v8
	v_lshlrev_b32_e32 v12, 20, v12
	v_and_b32_e32 v8, 0x80000000, v8
	v_lshl_add_u32 v6, v6, 23, v10
	v_or3_b32 v17, v8, v6, v12
.LBB509_1050:                           ;   in Loop: Header=BB509_788 Depth=1
	s_or_b64 exec, exec, s[18:19]
.LBB509_1051:                           ;   in Loop: Header=BB509_788 Depth=1
	s_or_b64 exec, exec, s[16:17]
.LBB509_1052:                           ;   in Loop: Header=BB509_788 Depth=1
	s_or_b64 exec, exec, s[14:15]
	s_waitcnt vmcnt(0)
	v_cmp_ne_u16_sdwa s[16:17], v4, v9 src0_sel:BYTE_0 src1_sel:DWORD
	s_and_saveexec_b64 s[14:15], s[16:17]
	s_cbranch_execz .LBB509_1058
; %bb.1053:                             ;   in Loop: Header=BB509_788 Depth=1
	v_cmp_ne_u16_sdwa s[18:19], v4, s5 src0_sel:BYTE_0 src1_sel:DWORD
	v_bfrev_b32_e32 v16, 1
	s_and_saveexec_b64 s[16:17], s[18:19]
	s_cbranch_execz .LBB509_1057
; %bb.1054:                             ;   in Loop: Header=BB509_788 Depth=1
	v_and_b32_e32 v6, 0x7f, v4
	v_cmp_ne_u32_e32 vcc, s21, v6
	v_mov_b32_e32 v16, 0x7f800001
	s_and_saveexec_b64 s[18:19], vcc
	s_cbranch_execz .LBB509_1056
; %bb.1055:                             ;   in Loop: Header=BB509_788 Depth=1
	v_and_b32_e32 v8, 7, v4
	v_ffbh_u32_e32 v16, v8
	v_min_u32_e32 v16, 32, v16
	v_subrev_u32_e32 v18, 28, v16
	v_lshlrev_b64 v[18:19], v18, v[4:5]
	v_lshrrev_b32_e32 v12, 3, v6
	v_sub_u32_e32 v16, 29, v16
	v_and_b32_e32 v18, 7, v18
	v_cmp_gt_u32_e32 vcc, 8, v6
	v_cndmask_b32_e32 v6, v12, v16, vcc
	v_cndmask_b32_e32 v8, v8, v18, vcc
	v_lshlrev_b32_e32 v12, 24, v4
	v_lshlrev_b32_e32 v8, 20, v8
	v_and_b32_e32 v12, 0x80000000, v12
	v_lshl_add_u32 v6, v6, 23, v10
	v_or3_b32 v16, v12, v6, v8
.LBB509_1056:                           ;   in Loop: Header=BB509_788 Depth=1
	s_or_b64 exec, exec, s[18:19]
.LBB509_1057:                           ;   in Loop: Header=BB509_788 Depth=1
	s_or_b64 exec, exec, s[16:17]
.LBB509_1058:                           ;   in Loop: Header=BB509_788 Depth=1
	s_or_b64 exec, exec, s[14:15]
	v_lshrrev_b16_e32 v6, 8, v4
	v_cmp_ne_u16_e32 vcc, 0, v6
	v_mov_b32_e32 v8, 0
	v_mov_b32_e32 v18, 0
	s_and_saveexec_b64 s[14:15], vcc
	s_cbranch_execz .LBB509_1064
; %bb.1059:                             ;   in Loop: Header=BB509_788 Depth=1
	v_cmp_ne_u16_e32 vcc, s5, v6
	v_bfrev_b32_e32 v18, 1
	s_and_saveexec_b64 s[16:17], vcc
	s_cbranch_execz .LBB509_1063
; %bb.1060:                             ;   in Loop: Header=BB509_788 Depth=1
	v_and_b32_e32 v12, 0x7f, v6
	v_cmp_ne_u32_e32 vcc, s21, v12
	v_mov_b32_e32 v18, 0x7f800001
	s_and_saveexec_b64 s[18:19], vcc
	s_cbranch_execz .LBB509_1062
; %bb.1061:                             ;   in Loop: Header=BB509_788 Depth=1
	v_and_b32_e32 v20, 7, v6
	v_ffbh_u32_e32 v18, v20
	v_min_u32_e32 v22, 32, v18
	v_subrev_u32_e32 v18, 28, v22
	v_lshlrev_b64 v[18:19], v18, v[6:7]
	v_lshrrev_b32_e32 v21, 3, v12
	v_sub_u32_e32 v6, 29, v22
	v_and_b32_e32 v18, 7, v18
	v_cmp_gt_u32_e32 vcc, 8, v12
	v_cndmask_b32_e32 v6, v21, v6, vcc
	v_cndmask_b32_e32 v12, v20, v18, vcc
	v_lshlrev_b32_e32 v18, 16, v4
	v_lshlrev_b32_e32 v12, 20, v12
	v_and_b32_e32 v18, 0x80000000, v18
	v_lshl_add_u32 v6, v6, 23, v10
	v_or3_b32 v18, v18, v6, v12
.LBB509_1062:                           ;   in Loop: Header=BB509_788 Depth=1
	s_or_b64 exec, exec, s[18:19]
.LBB509_1063:                           ;   in Loop: Header=BB509_788 Depth=1
	s_or_b64 exec, exec, s[16:17]
.LBB509_1064:                           ;   in Loop: Header=BB509_788 Depth=1
	s_or_b64 exec, exec, s[14:15]
	v_lshrrev_b32_e32 v6, 16, v4
	v_cmp_ne_u16_sdwa s[16:17], v6, v9 src0_sel:BYTE_0 src1_sel:DWORD
	s_and_saveexec_b64 s[14:15], s[16:17]
	s_cbranch_execz .LBB509_1070
; %bb.1065:                             ;   in Loop: Header=BB509_788 Depth=1
	v_cmp_ne_u16_sdwa s[18:19], v6, s5 src0_sel:BYTE_0 src1_sel:DWORD
	v_bfrev_b32_e32 v8, 1
	s_and_saveexec_b64 s[16:17], s[18:19]
	s_cbranch_execz .LBB509_1069
; %bb.1066:                             ;   in Loop: Header=BB509_788 Depth=1
	v_bfe_u32 v12, v4, 16, 7
	v_cmp_ne_u32_e32 vcc, s21, v12
	v_mov_b32_e32 v8, 0x7f800001
	s_and_saveexec_b64 s[18:19], vcc
	s_cbranch_execz .LBB509_1068
; %bb.1067:                             ;   in Loop: Header=BB509_788 Depth=1
	v_and_b32_e32 v8, 7, v6
	v_ffbh_u32_e32 v20, v8
	v_min_u32_e32 v22, 32, v20
	v_subrev_u32_e32 v20, 28, v22
	v_lshlrev_b64 v[20:21], v20, v[6:7]
	v_lshrrev_b32_e32 v19, 3, v12
	v_sub_u32_e32 v21, 29, v22
	v_and_b32_e32 v20, 7, v20
	v_cmp_gt_u32_e32 vcc, 8, v12
	v_cndmask_b32_e32 v12, v19, v21, vcc
	v_cndmask_b32_e32 v8, v8, v20, vcc
	v_lshlrev_b32_e32 v6, 24, v6
	v_lshlrev_b32_e32 v8, 20, v8
	v_and_b32_e32 v6, 0x80000000, v6
	v_lshl_add_u32 v12, v12, 23, v10
	v_or3_b32 v8, v6, v12, v8
.LBB509_1068:                           ;   in Loop: Header=BB509_788 Depth=1
	s_or_b64 exec, exec, s[18:19]
.LBB509_1069:                           ;   in Loop: Header=BB509_788 Depth=1
	s_or_b64 exec, exec, s[16:17]
.LBB509_1070:                           ;   in Loop: Header=BB509_788 Depth=1
	s_or_b64 exec, exec, s[14:15]
	v_cmp_lt_u32_e32 vcc, s22, v4
	v_mov_b32_e32 v12, 0
	v_mov_b32_e32 v19, 0
	s_and_saveexec_b64 s[14:15], vcc
	s_cbranch_execz .LBB509_1076
; %bb.1071:                             ;   in Loop: Header=BB509_788 Depth=1
	v_lshrrev_b32_e32 v6, 24, v4
	v_cmp_ne_u32_e32 vcc, s5, v6
	v_bfrev_b32_e32 v19, 1
	s_and_saveexec_b64 s[16:17], vcc
	s_cbranch_execz .LBB509_1075
; %bb.1072:                             ;   in Loop: Header=BB509_788 Depth=1
	v_bfe_u32 v4, v4, 24, 7
	v_cmp_ne_u32_e32 vcc, s21, v4
	v_mov_b32_e32 v19, 0x7f800001
	s_and_saveexec_b64 s[18:19], vcc
	s_cbranch_execz .LBB509_1074
; %bb.1073:                             ;   in Loop: Header=BB509_788 Depth=1
	v_and_b32_e32 v19, 7, v6
	v_ffbh_u32_e32 v20, v19
	v_min_u32_e32 v23, 32, v20
	v_subrev_u32_e32 v20, 28, v23
	v_lshlrev_b64 v[20:21], v20, v[6:7]
	v_lshrrev_b32_e32 v22, 3, v4
	v_sub_u32_e32 v21, 29, v23
	v_and_b32_e32 v20, 7, v20
	v_cmp_gt_u32_e32 vcc, 8, v4
	v_cndmask_b32_e32 v4, v22, v21, vcc
	v_cndmask_b32_e32 v19, v19, v20, vcc
	v_lshlrev_b32_e32 v6, 24, v6
	v_lshlrev_b32_e32 v19, 20, v19
	v_and_b32_e32 v6, 0x80000000, v6
	v_lshl_add_u32 v4, v4, 23, v10
	v_or3_b32 v19, v6, v4, v19
.LBB509_1074:                           ;   in Loop: Header=BB509_788 Depth=1
	s_or_b64 exec, exec, s[18:19]
.LBB509_1075:                           ;   in Loop: Header=BB509_788 Depth=1
	s_or_b64 exec, exec, s[16:17]
.LBB509_1076:                           ;   in Loop: Header=BB509_788 Depth=1
	s_or_b64 exec, exec, s[14:15]
	buffer_load_dword v6, v11, s[0:3], 0 offen offset:48
	buffer_load_dword v4, v11, s[0:3], 0 offen offset:52
	v_cvt_pkrtz_f16_f32 v14, v14, v15
	v_cvt_pkrtz_f16_f32 v15, v13, v17
	;; [unrolled: 1-line block ×4, first 2 shown]
	v_mfma_f32_4x4x4f16 a[0:3], v[2:3], v[14:15], a[0:3] cbsz:4 abid:10
	s_waitcnt vmcnt(1)
	v_cmp_ne_u16_sdwa s[16:17], v6, v9 src0_sel:BYTE_0 src1_sel:DWORD
	v_mfma_f32_4x4x4f16 a[0:3], v[2:3], v[16:17], a[0:3] cbsz:4 abid:11
	s_and_saveexec_b64 s[14:15], s[16:17]
	s_cbranch_execz .LBB509_1082
; %bb.1077:                             ;   in Loop: Header=BB509_788 Depth=1
	v_cmp_ne_u16_sdwa s[18:19], v6, s5 src0_sel:BYTE_0 src1_sel:DWORD
	v_bfrev_b32_e32 v12, 1
	s_and_saveexec_b64 s[16:17], s[18:19]
	s_cbranch_execz .LBB509_1081
; %bb.1078:                             ;   in Loop: Header=BB509_788 Depth=1
	v_and_b32_e32 v8, 0x7f, v6
	v_cmp_ne_u32_e32 vcc, s21, v8
	v_mov_b32_e32 v12, 0x7f800001
	s_and_saveexec_b64 s[18:19], vcc
	s_cbranch_execz .LBB509_1080
; %bb.1079:                             ;   in Loop: Header=BB509_788 Depth=1
	v_and_b32_e32 v14, 7, v6
	v_ffbh_u32_e32 v12, v14
	v_min_u32_e32 v16, 32, v12
	v_subrev_u32_e32 v12, 28, v16
	v_lshlrev_b64 v[12:13], v12, v[6:7]
	v_lshrrev_b32_e32 v15, 3, v8
	v_sub_u32_e32 v13, 29, v16
	v_and_b32_e32 v12, 7, v12
	v_cmp_gt_u32_e32 vcc, 8, v8
	v_cndmask_b32_e32 v8, v15, v13, vcc
	v_cndmask_b32_e32 v12, v14, v12, vcc
	v_lshlrev_b32_e32 v13, 24, v6
	v_lshlrev_b32_e32 v12, 20, v12
	v_and_b32_e32 v13, 0x80000000, v13
	v_lshl_add_u32 v8, v8, 23, v10
	v_or3_b32 v12, v13, v8, v12
.LBB509_1080:                           ;   in Loop: Header=BB509_788 Depth=1
	s_or_b64 exec, exec, s[18:19]
.LBB509_1081:                           ;   in Loop: Header=BB509_788 Depth=1
	s_or_b64 exec, exec, s[16:17]
.LBB509_1082:                           ;   in Loop: Header=BB509_788 Depth=1
	s_or_b64 exec, exec, s[14:15]
	v_lshrrev_b16_e32 v8, 8, v6
	v_cmp_ne_u16_e32 vcc, 0, v8
	v_mov_b32_e32 v14, 0
	v_mov_b32_e32 v15, 0
	s_and_saveexec_b64 s[14:15], vcc
	s_cbranch_execz .LBB509_1088
; %bb.1083:                             ;   in Loop: Header=BB509_788 Depth=1
	v_cmp_ne_u16_e32 vcc, s5, v8
	v_bfrev_b32_e32 v15, 1
	s_and_saveexec_b64 s[16:17], vcc
	s_cbranch_execz .LBB509_1087
; %bb.1084:                             ;   in Loop: Header=BB509_788 Depth=1
	v_and_b32_e32 v13, 0x7f, v8
	v_cmp_ne_u32_e32 vcc, s21, v13
	v_mov_b32_e32 v15, 0x7f800001
	s_and_saveexec_b64 s[18:19], vcc
	s_cbranch_execz .LBB509_1086
; %bb.1085:                             ;   in Loop: Header=BB509_788 Depth=1
	v_and_b32_e32 v15, 7, v8
	v_ffbh_u32_e32 v16, v15
	v_min_u32_e32 v19, 32, v16
	v_subrev_u32_e32 v16, 28, v19
	v_lshlrev_b64 v[16:17], v16, v[8:9]
	v_lshrrev_b32_e32 v18, 3, v13
	v_sub_u32_e32 v8, 29, v19
	v_and_b32_e32 v16, 7, v16
	v_cmp_gt_u32_e32 vcc, 8, v13
	v_cndmask_b32_e32 v8, v18, v8, vcc
	v_cndmask_b32_e32 v13, v15, v16, vcc
	v_lshlrev_b32_e32 v15, 16, v6
	v_lshlrev_b32_e32 v13, 20, v13
	v_and_b32_e32 v15, 0x80000000, v15
	v_lshl_add_u32 v8, v8, 23, v10
	v_or3_b32 v15, v15, v8, v13
.LBB509_1086:                           ;   in Loop: Header=BB509_788 Depth=1
	s_or_b64 exec, exec, s[18:19]
.LBB509_1087:                           ;   in Loop: Header=BB509_788 Depth=1
	s_or_b64 exec, exec, s[16:17]
.LBB509_1088:                           ;   in Loop: Header=BB509_788 Depth=1
	s_or_b64 exec, exec, s[14:15]
	v_lshrrev_b32_e32 v8, 16, v6
	v_cmp_ne_u16_sdwa s[16:17], v8, v9 src0_sel:BYTE_0 src1_sel:DWORD
	s_and_saveexec_b64 s[14:15], s[16:17]
	s_cbranch_execz .LBB509_1094
; %bb.1089:                             ;   in Loop: Header=BB509_788 Depth=1
	v_cmp_ne_u16_sdwa s[18:19], v8, s5 src0_sel:BYTE_0 src1_sel:DWORD
	v_bfrev_b32_e32 v14, 1
	s_and_saveexec_b64 s[16:17], s[18:19]
	s_cbranch_execz .LBB509_1093
; %bb.1090:                             ;   in Loop: Header=BB509_788 Depth=1
	v_bfe_u32 v13, v6, 16, 7
	v_cmp_ne_u32_e32 vcc, s21, v13
	v_mov_b32_e32 v14, 0x7f800001
	s_and_saveexec_b64 s[18:19], vcc
	s_cbranch_execz .LBB509_1092
; %bb.1091:                             ;   in Loop: Header=BB509_788 Depth=1
	v_and_b32_e32 v14, 7, v8
	v_ffbh_u32_e32 v16, v14
	v_min_u32_e32 v19, 32, v16
	v_subrev_u32_e32 v16, 28, v19
	v_lshlrev_b64 v[16:17], v16, v[8:9]
	v_lshrrev_b32_e32 v18, 3, v13
	v_sub_u32_e32 v17, 29, v19
	v_and_b32_e32 v16, 7, v16
	v_cmp_gt_u32_e32 vcc, 8, v13
	v_cndmask_b32_e32 v13, v18, v17, vcc
	v_cndmask_b32_e32 v14, v14, v16, vcc
	v_lshlrev_b32_e32 v8, 24, v8
	v_lshlrev_b32_e32 v14, 20, v14
	v_and_b32_e32 v8, 0x80000000, v8
	v_lshl_add_u32 v13, v13, 23, v10
	v_or3_b32 v14, v8, v13, v14
.LBB509_1092:                           ;   in Loop: Header=BB509_788 Depth=1
	s_or_b64 exec, exec, s[18:19]
.LBB509_1093:                           ;   in Loop: Header=BB509_788 Depth=1
	s_or_b64 exec, exec, s[16:17]
.LBB509_1094:                           ;   in Loop: Header=BB509_788 Depth=1
	s_or_b64 exec, exec, s[14:15]
	v_cmp_lt_u32_e32 vcc, s22, v6
	v_mov_b32_e32 v16, 0
	v_mov_b32_e32 v17, 0
	s_and_saveexec_b64 s[14:15], vcc
	s_cbranch_execz .LBB509_1100
; %bb.1095:                             ;   in Loop: Header=BB509_788 Depth=1
	v_lshrrev_b32_e32 v8, 24, v6
	v_cmp_ne_u32_e32 vcc, s5, v8
	v_bfrev_b32_e32 v17, 1
	s_and_saveexec_b64 s[16:17], vcc
	s_cbranch_execz .LBB509_1099
; %bb.1096:                             ;   in Loop: Header=BB509_788 Depth=1
	v_bfe_u32 v6, v6, 24, 7
	v_cmp_ne_u32_e32 vcc, s21, v6
	v_mov_b32_e32 v17, 0x7f800001
	s_and_saveexec_b64 s[18:19], vcc
	s_cbranch_execz .LBB509_1098
; %bb.1097:                             ;   in Loop: Header=BB509_788 Depth=1
	v_and_b32_e32 v13, 7, v8
	v_ffbh_u32_e32 v18, v13
	v_min_u32_e32 v20, 32, v18
	v_subrev_u32_e32 v18, 28, v20
	v_lshlrev_b64 v[18:19], v18, v[8:9]
	v_lshrrev_b32_e32 v17, 3, v6
	v_sub_u32_e32 v19, 29, v20
	v_and_b32_e32 v18, 7, v18
	v_cmp_gt_u32_e32 vcc, 8, v6
	v_cndmask_b32_e32 v6, v17, v19, vcc
	v_cndmask_b32_e32 v13, v13, v18, vcc
	v_lshlrev_b32_e32 v8, 24, v8
	v_lshlrev_b32_e32 v13, 20, v13
	v_and_b32_e32 v8, 0x80000000, v8
	v_lshl_add_u32 v6, v6, 23, v10
	v_or3_b32 v17, v8, v6, v13
.LBB509_1098:                           ;   in Loop: Header=BB509_788 Depth=1
	s_or_b64 exec, exec, s[18:19]
.LBB509_1099:                           ;   in Loop: Header=BB509_788 Depth=1
	s_or_b64 exec, exec, s[16:17]
.LBB509_1100:                           ;   in Loop: Header=BB509_788 Depth=1
	s_or_b64 exec, exec, s[14:15]
	s_waitcnt vmcnt(0)
	v_cmp_ne_u16_sdwa s[16:17], v4, v9 src0_sel:BYTE_0 src1_sel:DWORD
	s_and_saveexec_b64 s[14:15], s[16:17]
	s_cbranch_execz .LBB509_1106
; %bb.1101:                             ;   in Loop: Header=BB509_788 Depth=1
	v_cmp_ne_u16_sdwa s[18:19], v4, s5 src0_sel:BYTE_0 src1_sel:DWORD
	v_bfrev_b32_e32 v16, 1
	s_and_saveexec_b64 s[16:17], s[18:19]
	s_cbranch_execz .LBB509_1105
; %bb.1102:                             ;   in Loop: Header=BB509_788 Depth=1
	v_and_b32_e32 v6, 0x7f, v4
	v_cmp_ne_u32_e32 vcc, s21, v6
	v_mov_b32_e32 v16, 0x7f800001
	s_and_saveexec_b64 s[18:19], vcc
	s_cbranch_execz .LBB509_1104
; %bb.1103:                             ;   in Loop: Header=BB509_788 Depth=1
	v_and_b32_e32 v8, 7, v4
	v_ffbh_u32_e32 v16, v8
	v_min_u32_e32 v16, 32, v16
	v_subrev_u32_e32 v18, 28, v16
	v_lshlrev_b64 v[18:19], v18, v[4:5]
	v_lshrrev_b32_e32 v13, 3, v6
	v_sub_u32_e32 v16, 29, v16
	v_and_b32_e32 v18, 7, v18
	v_cmp_gt_u32_e32 vcc, 8, v6
	v_cndmask_b32_e32 v6, v13, v16, vcc
	v_cndmask_b32_e32 v8, v8, v18, vcc
	v_lshlrev_b32_e32 v13, 24, v4
	v_lshlrev_b32_e32 v8, 20, v8
	v_and_b32_e32 v13, 0x80000000, v13
	v_lshl_add_u32 v6, v6, 23, v10
	v_or3_b32 v16, v13, v6, v8
.LBB509_1104:                           ;   in Loop: Header=BB509_788 Depth=1
	s_or_b64 exec, exec, s[18:19]
.LBB509_1105:                           ;   in Loop: Header=BB509_788 Depth=1
	s_or_b64 exec, exec, s[16:17]
.LBB509_1106:                           ;   in Loop: Header=BB509_788 Depth=1
	s_or_b64 exec, exec, s[14:15]
	v_lshrrev_b16_e32 v6, 8, v4
	v_cmp_ne_u16_e32 vcc, 0, v6
	v_mov_b32_e32 v8, 0
	v_mov_b32_e32 v18, 0
	s_and_saveexec_b64 s[14:15], vcc
	s_cbranch_execz .LBB509_1112
; %bb.1107:                             ;   in Loop: Header=BB509_788 Depth=1
	v_cmp_ne_u16_e32 vcc, s5, v6
	v_bfrev_b32_e32 v18, 1
	s_and_saveexec_b64 s[16:17], vcc
	s_cbranch_execz .LBB509_1111
; %bb.1108:                             ;   in Loop: Header=BB509_788 Depth=1
	v_and_b32_e32 v13, 0x7f, v6
	v_cmp_ne_u32_e32 vcc, s21, v13
	v_mov_b32_e32 v18, 0x7f800001
	s_and_saveexec_b64 s[18:19], vcc
	s_cbranch_execz .LBB509_1110
; %bb.1109:                             ;   in Loop: Header=BB509_788 Depth=1
	v_and_b32_e32 v20, 7, v6
	v_ffbh_u32_e32 v18, v20
	v_min_u32_e32 v22, 32, v18
	v_subrev_u32_e32 v18, 28, v22
	v_lshlrev_b64 v[18:19], v18, v[6:7]
	v_lshrrev_b32_e32 v21, 3, v13
	v_sub_u32_e32 v6, 29, v22
	v_and_b32_e32 v18, 7, v18
	v_cmp_gt_u32_e32 vcc, 8, v13
	v_cndmask_b32_e32 v6, v21, v6, vcc
	v_cndmask_b32_e32 v13, v20, v18, vcc
	v_lshlrev_b32_e32 v18, 16, v4
	v_lshlrev_b32_e32 v13, 20, v13
	v_and_b32_e32 v18, 0x80000000, v18
	v_lshl_add_u32 v6, v6, 23, v10
	v_or3_b32 v18, v18, v6, v13
.LBB509_1110:                           ;   in Loop: Header=BB509_788 Depth=1
	s_or_b64 exec, exec, s[18:19]
.LBB509_1111:                           ;   in Loop: Header=BB509_788 Depth=1
	s_or_b64 exec, exec, s[16:17]
.LBB509_1112:                           ;   in Loop: Header=BB509_788 Depth=1
	s_or_b64 exec, exec, s[14:15]
	v_lshrrev_b32_e32 v6, 16, v4
	v_cmp_ne_u16_sdwa s[16:17], v6, v9 src0_sel:BYTE_0 src1_sel:DWORD
	s_and_saveexec_b64 s[14:15], s[16:17]
	s_cbranch_execz .LBB509_1118
; %bb.1113:                             ;   in Loop: Header=BB509_788 Depth=1
	v_cmp_ne_u16_sdwa s[18:19], v6, s5 src0_sel:BYTE_0 src1_sel:DWORD
	v_bfrev_b32_e32 v8, 1
	s_and_saveexec_b64 s[16:17], s[18:19]
	s_cbranch_execz .LBB509_1117
; %bb.1114:                             ;   in Loop: Header=BB509_788 Depth=1
	v_bfe_u32 v13, v4, 16, 7
	v_cmp_ne_u32_e32 vcc, s21, v13
	v_mov_b32_e32 v8, 0x7f800001
	s_and_saveexec_b64 s[18:19], vcc
	s_cbranch_execz .LBB509_1116
; %bb.1115:                             ;   in Loop: Header=BB509_788 Depth=1
	v_and_b32_e32 v8, 7, v6
	v_ffbh_u32_e32 v20, v8
	v_min_u32_e32 v22, 32, v20
	v_subrev_u32_e32 v20, 28, v22
	v_lshlrev_b64 v[20:21], v20, v[6:7]
	v_lshrrev_b32_e32 v19, 3, v13
	v_sub_u32_e32 v21, 29, v22
	v_and_b32_e32 v20, 7, v20
	v_cmp_gt_u32_e32 vcc, 8, v13
	v_cndmask_b32_e32 v13, v19, v21, vcc
	v_cndmask_b32_e32 v8, v8, v20, vcc
	v_lshlrev_b32_e32 v6, 24, v6
	v_lshlrev_b32_e32 v8, 20, v8
	v_and_b32_e32 v6, 0x80000000, v6
	v_lshl_add_u32 v13, v13, 23, v10
	v_or3_b32 v8, v6, v13, v8
.LBB509_1116:                           ;   in Loop: Header=BB509_788 Depth=1
	s_or_b64 exec, exec, s[18:19]
.LBB509_1117:                           ;   in Loop: Header=BB509_788 Depth=1
	s_or_b64 exec, exec, s[16:17]
.LBB509_1118:                           ;   in Loop: Header=BB509_788 Depth=1
	s_or_b64 exec, exec, s[14:15]
	v_cmp_lt_u32_e32 vcc, s22, v4
	v_mov_b32_e32 v13, 0
	v_mov_b32_e32 v19, 0
	s_and_saveexec_b64 s[14:15], vcc
	s_cbranch_execz .LBB509_1124
; %bb.1119:                             ;   in Loop: Header=BB509_788 Depth=1
	v_lshrrev_b32_e32 v6, 24, v4
	v_cmp_ne_u32_e32 vcc, s5, v6
	v_bfrev_b32_e32 v19, 1
	s_and_saveexec_b64 s[16:17], vcc
	s_cbranch_execz .LBB509_1123
; %bb.1120:                             ;   in Loop: Header=BB509_788 Depth=1
	v_bfe_u32 v4, v4, 24, 7
	v_cmp_ne_u32_e32 vcc, s21, v4
	v_mov_b32_e32 v19, 0x7f800001
	s_and_saveexec_b64 s[18:19], vcc
	s_cbranch_execz .LBB509_1122
; %bb.1121:                             ;   in Loop: Header=BB509_788 Depth=1
	v_and_b32_e32 v19, 7, v6
	v_ffbh_u32_e32 v20, v19
	v_min_u32_e32 v23, 32, v20
	v_subrev_u32_e32 v20, 28, v23
	v_lshlrev_b64 v[20:21], v20, v[6:7]
	v_lshrrev_b32_e32 v22, 3, v4
	v_sub_u32_e32 v21, 29, v23
	v_and_b32_e32 v20, 7, v20
	v_cmp_gt_u32_e32 vcc, 8, v4
	v_cndmask_b32_e32 v4, v22, v21, vcc
	v_cndmask_b32_e32 v19, v19, v20, vcc
	v_lshlrev_b32_e32 v6, 24, v6
	v_lshlrev_b32_e32 v19, 20, v19
	v_and_b32_e32 v6, 0x80000000, v6
	v_lshl_add_u32 v4, v4, 23, v10
	v_or3_b32 v19, v6, v4, v19
.LBB509_1122:                           ;   in Loop: Header=BB509_788 Depth=1
	s_or_b64 exec, exec, s[18:19]
.LBB509_1123:                           ;   in Loop: Header=BB509_788 Depth=1
	s_or_b64 exec, exec, s[16:17]
.LBB509_1124:                           ;   in Loop: Header=BB509_788 Depth=1
	s_or_b64 exec, exec, s[14:15]
	buffer_load_dword v6, v11, s[0:3], 0 offen offset:56
	buffer_load_dword v4, v11, s[0:3], 0 offen offset:60
	v_cvt_pkrtz_f16_f32 v20, v12, v15
	v_cvt_pkrtz_f16_f32 v21, v14, v17
	;; [unrolled: 1-line block ×4, first 2 shown]
	v_mfma_f32_4x4x4f16 a[0:3], v[2:3], v[20:21], a[0:3] cbsz:4 abid:12
	s_waitcnt vmcnt(1)
	v_cmp_ne_u16_sdwa s[16:17], v6, v9 src0_sel:BYTE_0 src1_sel:DWORD
	v_mfma_f32_4x4x4f16 a[0:3], v[2:3], v[14:15], a[0:3] cbsz:4 abid:13
	s_and_saveexec_b64 s[14:15], s[16:17]
	s_cbranch_execz .LBB509_1130
; %bb.1125:                             ;   in Loop: Header=BB509_788 Depth=1
	v_cmp_ne_u16_sdwa s[18:19], v6, s5 src0_sel:BYTE_0 src1_sel:DWORD
	v_bfrev_b32_e32 v13, 1
	s_and_saveexec_b64 s[16:17], s[18:19]
	s_cbranch_execz .LBB509_1129
; %bb.1126:                             ;   in Loop: Header=BB509_788 Depth=1
	v_and_b32_e32 v8, 0x7f, v6
	v_cmp_ne_u32_e32 vcc, s21, v8
	v_mov_b32_e32 v13, 0x7f800001
	s_and_saveexec_b64 s[18:19], vcc
	s_cbranch_execz .LBB509_1128
; %bb.1127:                             ;   in Loop: Header=BB509_788 Depth=1
	v_and_b32_e32 v11, 7, v6
	v_ffbh_u32_e32 v12, v11
	v_min_u32_e32 v15, 32, v12
	v_subrev_u32_e32 v12, 28, v15
	v_lshlrev_b64 v[12:13], v12, v[6:7]
	v_lshrrev_b32_e32 v14, 3, v8
	v_sub_u32_e32 v13, 29, v15
	v_and_b32_e32 v12, 7, v12
	v_cmp_gt_u32_e32 vcc, 8, v8
	v_cndmask_b32_e32 v8, v14, v13, vcc
	v_cndmask_b32_e32 v11, v11, v12, vcc
	v_lshlrev_b32_e32 v12, 24, v6
	v_lshlrev_b32_e32 v11, 20, v11
	v_and_b32_e32 v12, 0x80000000, v12
	v_lshl_add_u32 v8, v8, 23, v10
	v_or3_b32 v13, v12, v8, v11
.LBB509_1128:                           ;   in Loop: Header=BB509_788 Depth=1
	s_or_b64 exec, exec, s[18:19]
.LBB509_1129:                           ;   in Loop: Header=BB509_788 Depth=1
	s_or_b64 exec, exec, s[16:17]
.LBB509_1130:                           ;   in Loop: Header=BB509_788 Depth=1
	s_or_b64 exec, exec, s[14:15]
	v_lshrrev_b16_e32 v8, 8, v6
	v_cmp_ne_u16_e32 vcc, 0, v8
	v_mov_b32_e32 v11, 0
	v_mov_b32_e32 v12, 0
	s_and_saveexec_b64 s[14:15], vcc
	s_cbranch_execz .LBB509_1136
; %bb.1131:                             ;   in Loop: Header=BB509_788 Depth=1
	v_cmp_ne_u16_e32 vcc, s5, v8
	v_bfrev_b32_e32 v12, 1
	s_and_saveexec_b64 s[16:17], vcc
	s_cbranch_execz .LBB509_1135
; %bb.1132:                             ;   in Loop: Header=BB509_788 Depth=1
	v_and_b32_e32 v14, 0x7f, v8
	v_cmp_ne_u32_e32 vcc, s21, v14
	v_mov_b32_e32 v12, 0x7f800001
	s_and_saveexec_b64 s[18:19], vcc
	s_cbranch_execz .LBB509_1134
; %bb.1133:                             ;   in Loop: Header=BB509_788 Depth=1
	v_and_b32_e32 v12, 7, v8
	v_ffbh_u32_e32 v16, v12
	v_min_u32_e32 v18, 32, v16
	v_subrev_u32_e32 v16, 28, v18
	v_lshlrev_b64 v[16:17], v16, v[8:9]
	v_lshrrev_b32_e32 v15, 3, v14
	v_sub_u32_e32 v8, 29, v18
	v_and_b32_e32 v16, 7, v16
	v_cmp_gt_u32_e32 vcc, 8, v14
	v_cndmask_b32_e32 v8, v15, v8, vcc
	v_cndmask_b32_e32 v12, v12, v16, vcc
	v_lshlrev_b32_e32 v14, 16, v6
	v_lshlrev_b32_e32 v12, 20, v12
	v_and_b32_e32 v14, 0x80000000, v14
	v_lshl_add_u32 v8, v8, 23, v10
	v_or3_b32 v12, v14, v8, v12
.LBB509_1134:                           ;   in Loop: Header=BB509_788 Depth=1
	s_or_b64 exec, exec, s[18:19]
.LBB509_1135:                           ;   in Loop: Header=BB509_788 Depth=1
	s_or_b64 exec, exec, s[16:17]
.LBB509_1136:                           ;   in Loop: Header=BB509_788 Depth=1
	s_or_b64 exec, exec, s[14:15]
	v_lshrrev_b32_e32 v8, 16, v6
	v_cmp_ne_u16_sdwa s[16:17], v8, v9 src0_sel:BYTE_0 src1_sel:DWORD
	s_and_saveexec_b64 s[14:15], s[16:17]
	s_cbranch_execz .LBB509_1142
; %bb.1137:                             ;   in Loop: Header=BB509_788 Depth=1
	v_cmp_ne_u16_sdwa s[18:19], v8, s5 src0_sel:BYTE_0 src1_sel:DWORD
	v_bfrev_b32_e32 v11, 1
	s_and_saveexec_b64 s[16:17], s[18:19]
	s_cbranch_execz .LBB509_1141
; %bb.1138:                             ;   in Loop: Header=BB509_788 Depth=1
	v_bfe_u32 v14, v6, 16, 7
	v_cmp_ne_u32_e32 vcc, s21, v14
	v_mov_b32_e32 v11, 0x7f800001
	s_and_saveexec_b64 s[18:19], vcc
	s_cbranch_execz .LBB509_1140
; %bb.1139:                             ;   in Loop: Header=BB509_788 Depth=1
	v_and_b32_e32 v11, 7, v8
	v_ffbh_u32_e32 v16, v11
	v_min_u32_e32 v18, 32, v16
	v_subrev_u32_e32 v16, 28, v18
	v_lshlrev_b64 v[16:17], v16, v[8:9]
	v_lshrrev_b32_e32 v15, 3, v14
	v_sub_u32_e32 v17, 29, v18
	v_and_b32_e32 v16, 7, v16
	v_cmp_gt_u32_e32 vcc, 8, v14
	v_cndmask_b32_e32 v14, v15, v17, vcc
	v_cndmask_b32_e32 v11, v11, v16, vcc
	v_lshlrev_b32_e32 v8, 24, v8
	v_lshlrev_b32_e32 v11, 20, v11
	v_and_b32_e32 v8, 0x80000000, v8
	v_lshl_add_u32 v14, v14, 23, v10
	v_or3_b32 v11, v8, v14, v11
.LBB509_1140:                           ;   in Loop: Header=BB509_788 Depth=1
	s_or_b64 exec, exec, s[18:19]
.LBB509_1141:                           ;   in Loop: Header=BB509_788 Depth=1
	s_or_b64 exec, exec, s[16:17]
.LBB509_1142:                           ;   in Loop: Header=BB509_788 Depth=1
	s_or_b64 exec, exec, s[14:15]
	v_cmp_lt_u32_e32 vcc, s22, v6
	v_mov_b32_e32 v14, 0
	v_mov_b32_e32 v15, 0
	s_and_saveexec_b64 s[14:15], vcc
	s_cbranch_execz .LBB509_1148
; %bb.1143:                             ;   in Loop: Header=BB509_788 Depth=1
	v_lshrrev_b32_e32 v8, 24, v6
	v_cmp_ne_u32_e32 vcc, s5, v8
	v_bfrev_b32_e32 v15, 1
	s_and_saveexec_b64 s[16:17], vcc
	s_cbranch_execz .LBB509_1147
; %bb.1144:                             ;   in Loop: Header=BB509_788 Depth=1
	v_bfe_u32 v6, v6, 24, 7
	v_cmp_ne_u32_e32 vcc, s21, v6
	v_mov_b32_e32 v15, 0x7f800001
	s_and_saveexec_b64 s[18:19], vcc
	s_cbranch_execz .LBB509_1146
; %bb.1145:                             ;   in Loop: Header=BB509_788 Depth=1
	v_and_b32_e32 v15, 7, v8
	v_ffbh_u32_e32 v16, v15
	v_min_u32_e32 v19, 32, v16
	v_subrev_u32_e32 v16, 28, v19
	v_lshlrev_b64 v[16:17], v16, v[8:9]
	v_lshrrev_b32_e32 v18, 3, v6
	v_sub_u32_e32 v17, 29, v19
	v_and_b32_e32 v16, 7, v16
	v_cmp_gt_u32_e32 vcc, 8, v6
	v_cndmask_b32_e32 v6, v18, v17, vcc
	v_cndmask_b32_e32 v15, v15, v16, vcc
	v_lshlrev_b32_e32 v8, 24, v8
	v_lshlrev_b32_e32 v15, 20, v15
	v_and_b32_e32 v8, 0x80000000, v8
	v_lshl_add_u32 v6, v6, 23, v10
	v_or3_b32 v15, v8, v6, v15
.LBB509_1146:                           ;   in Loop: Header=BB509_788 Depth=1
	s_or_b64 exec, exec, s[18:19]
.LBB509_1147:                           ;   in Loop: Header=BB509_788 Depth=1
	s_or_b64 exec, exec, s[16:17]
.LBB509_1148:                           ;   in Loop: Header=BB509_788 Depth=1
	s_or_b64 exec, exec, s[14:15]
	s_waitcnt vmcnt(0)
	v_cmp_ne_u16_sdwa s[16:17], v4, v9 src0_sel:BYTE_0 src1_sel:DWORD
	s_and_saveexec_b64 s[14:15], s[16:17]
	s_cbranch_execz .LBB509_1154
; %bb.1149:                             ;   in Loop: Header=BB509_788 Depth=1
	v_cmp_ne_u16_sdwa s[18:19], v4, s5 src0_sel:BYTE_0 src1_sel:DWORD
	v_bfrev_b32_e32 v14, 1
	s_and_saveexec_b64 s[16:17], s[18:19]
	s_cbranch_execz .LBB509_1153
; %bb.1150:                             ;   in Loop: Header=BB509_788 Depth=1
	v_and_b32_e32 v6, 0x7f, v4
	v_cmp_ne_u32_e32 vcc, s21, v6
	v_mov_b32_e32 v14, 0x7f800001
	s_and_saveexec_b64 s[18:19], vcc
	s_cbranch_execz .LBB509_1152
; %bb.1151:                             ;   in Loop: Header=BB509_788 Depth=1
	v_and_b32_e32 v8, 7, v4
	v_ffbh_u32_e32 v16, v8
	v_min_u32_e32 v18, 32, v16
	v_subrev_u32_e32 v16, 28, v18
	v_lshlrev_b64 v[16:17], v16, v[4:5]
	v_lshrrev_b32_e32 v14, 3, v6
	v_sub_u32_e32 v17, 29, v18
	v_and_b32_e32 v16, 7, v16
	v_cmp_gt_u32_e32 vcc, 8, v6
	v_cndmask_b32_e32 v6, v14, v17, vcc
	v_cndmask_b32_e32 v8, v8, v16, vcc
	v_lshlrev_b32_e32 v14, 24, v4
	v_lshlrev_b32_e32 v8, 20, v8
	v_and_b32_e32 v14, 0x80000000, v14
	v_lshl_add_u32 v6, v6, 23, v10
	v_or3_b32 v14, v14, v6, v8
.LBB509_1152:                           ;   in Loop: Header=BB509_788 Depth=1
	s_or_b64 exec, exec, s[18:19]
.LBB509_1153:                           ;   in Loop: Header=BB509_788 Depth=1
	s_or_b64 exec, exec, s[16:17]
.LBB509_1154:                           ;   in Loop: Header=BB509_788 Depth=1
	s_or_b64 exec, exec, s[14:15]
	v_lshrrev_b16_e32 v6, 8, v4
	v_cmp_ne_u16_e32 vcc, 0, v6
	v_mov_b32_e32 v8, 0
	v_mov_b32_e32 v16, 0
	s_and_saveexec_b64 s[14:15], vcc
	s_cbranch_execz .LBB509_1160
; %bb.1155:                             ;   in Loop: Header=BB509_788 Depth=1
	v_cmp_ne_u16_e32 vcc, s5, v6
	v_bfrev_b32_e32 v16, 1
	s_and_saveexec_b64 s[16:17], vcc
	s_cbranch_execz .LBB509_1159
; %bb.1156:                             ;   in Loop: Header=BB509_788 Depth=1
	v_and_b32_e32 v17, 0x7f, v6
	v_cmp_ne_u32_e32 vcc, s21, v17
	v_mov_b32_e32 v16, 0x7f800001
	s_and_saveexec_b64 s[18:19], vcc
	s_cbranch_execz .LBB509_1158
; %bb.1157:                             ;   in Loop: Header=BB509_788 Depth=1
	v_and_b32_e32 v16, 7, v6
	v_ffbh_u32_e32 v18, v16
	v_min_u32_e32 v21, 32, v18
	v_subrev_u32_e32 v18, 28, v21
	v_lshlrev_b64 v[18:19], v18, v[6:7]
	v_lshrrev_b32_e32 v20, 3, v17
	v_sub_u32_e32 v6, 29, v21
	v_and_b32_e32 v18, 7, v18
	v_cmp_gt_u32_e32 vcc, 8, v17
	v_cndmask_b32_e32 v6, v20, v6, vcc
	v_cndmask_b32_e32 v16, v16, v18, vcc
	v_lshlrev_b32_e32 v17, 16, v4
	v_lshlrev_b32_e32 v16, 20, v16
	v_and_b32_e32 v17, 0x80000000, v17
	v_lshl_add_u32 v6, v6, 23, v10
	v_or3_b32 v16, v17, v6, v16
.LBB509_1158:                           ;   in Loop: Header=BB509_788 Depth=1
	s_or_b64 exec, exec, s[18:19]
.LBB509_1159:                           ;   in Loop: Header=BB509_788 Depth=1
	s_or_b64 exec, exec, s[16:17]
.LBB509_1160:                           ;   in Loop: Header=BB509_788 Depth=1
	s_or_b64 exec, exec, s[14:15]
	v_lshrrev_b32_e32 v6, 16, v4
	v_cmp_ne_u16_sdwa s[16:17], v6, v9 src0_sel:BYTE_0 src1_sel:DWORD
	s_and_saveexec_b64 s[14:15], s[16:17]
	s_cbranch_execz .LBB509_1166
; %bb.1161:                             ;   in Loop: Header=BB509_788 Depth=1
	v_cmp_ne_u16_sdwa s[18:19], v6, s5 src0_sel:BYTE_0 src1_sel:DWORD
	v_bfrev_b32_e32 v8, 1
	s_and_saveexec_b64 s[16:17], s[18:19]
	s_cbranch_execz .LBB509_1165
; %bb.1162:                             ;   in Loop: Header=BB509_788 Depth=1
	v_bfe_u32 v17, v4, 16, 7
	v_cmp_ne_u32_e32 vcc, s21, v17
	v_mov_b32_e32 v8, 0x7f800001
	s_and_saveexec_b64 s[18:19], vcc
	s_cbranch_execz .LBB509_1164
; %bb.1163:                             ;   in Loop: Header=BB509_788 Depth=1
	v_and_b32_e32 v8, 7, v6
	v_ffbh_u32_e32 v18, v8
	v_min_u32_e32 v21, 32, v18
	v_subrev_u32_e32 v18, 28, v21
	v_lshlrev_b64 v[18:19], v18, v[6:7]
	v_lshrrev_b32_e32 v20, 3, v17
	v_sub_u32_e32 v19, 29, v21
	v_and_b32_e32 v18, 7, v18
	v_cmp_gt_u32_e32 vcc, 8, v17
	v_cndmask_b32_e32 v17, v20, v19, vcc
	v_cndmask_b32_e32 v8, v8, v18, vcc
	v_lshlrev_b32_e32 v6, 24, v6
	v_lshlrev_b32_e32 v8, 20, v8
	v_and_b32_e32 v6, 0x80000000, v6
	v_lshl_add_u32 v17, v17, 23, v10
	v_or3_b32 v8, v6, v17, v8
.LBB509_1164:                           ;   in Loop: Header=BB509_788 Depth=1
	s_or_b64 exec, exec, s[18:19]
.LBB509_1165:                           ;   in Loop: Header=BB509_788 Depth=1
	s_or_b64 exec, exec, s[16:17]
.LBB509_1166:                           ;   in Loop: Header=BB509_788 Depth=1
	s_or_b64 exec, exec, s[14:15]
	v_cmp_lt_u32_e32 vcc, s22, v4
	v_mov_b32_e32 v17, 0
	s_and_saveexec_b64 s[14:15], vcc
	s_cbranch_execz .LBB509_787
; %bb.1167:                             ;   in Loop: Header=BB509_788 Depth=1
	v_lshrrev_b32_e32 v6, 24, v4
	v_cmp_ne_u32_e32 vcc, s5, v6
	v_bfrev_b32_e32 v17, 1
	s_and_saveexec_b64 s[16:17], vcc
	s_cbranch_execz .LBB509_786
; %bb.1168:                             ;   in Loop: Header=BB509_788 Depth=1
	v_bfe_u32 v4, v4, 24, 7
	v_cmp_ne_u32_e32 vcc, s21, v4
	v_mov_b32_e32 v17, 0x7f800001
	s_and_saveexec_b64 s[18:19], vcc
	s_cbranch_execz .LBB509_785
; %bb.1169:                             ;   in Loop: Header=BB509_788 Depth=1
	v_and_b32_e32 v17, 7, v6
	v_ffbh_u32_e32 v18, v17
	v_min_u32_e32 v21, 32, v18
	v_subrev_u32_e32 v18, 28, v21
	v_lshlrev_b64 v[18:19], v18, v[6:7]
	v_lshrrev_b32_e32 v20, 3, v4
	v_sub_u32_e32 v19, 29, v21
	v_and_b32_e32 v18, 7, v18
	v_cmp_gt_u32_e32 vcc, 8, v4
	v_cndmask_b32_e32 v4, v20, v19, vcc
	v_cndmask_b32_e32 v17, v17, v18, vcc
	v_lshlrev_b32_e32 v6, 24, v6
	v_lshlrev_b32_e32 v17, 20, v17
	v_and_b32_e32 v6, 0x80000000, v6
	v_lshl_add_u32 v4, v4, 23, v10
	v_or3_b32 v17, v6, v4, v17
	s_branch .LBB509_785
.LBB509_1170:
	s_mov_b64 s[12:13], 0
                                        ; implicit-def: $sgpr38_sgpr39
	s_branch .LBB509_2
.LBB509_1171:
	s_or_b64 exec, exec, s[6:7]
	v_cmp_gt_u32_e32 vcc, 64, v0
	s_waitcnt lgkmcnt(0)
	s_barrier
	s_and_saveexec_b64 s[6:7], vcc
	s_cbranch_execz .LBB509_1173
; %bb.1172:
	v_mul_u32_u24_e32 v6, 40, v1
	ds_read2_b64 v[2:5], v6 offset1:1
	ds_read2_b64 v[6:9], v6 offset0:2 offset1:3
	s_mov_b32 s5, 0
	s_lshl_b32 s4, s4, 7
	s_lshl_b64 s[6:7], s[4:5], 1
	s_waitcnt lgkmcnt(1)
	v_pk_add_f16 v2, v2, 0
	v_pk_add_f16 v2, v2, v4
	;; [unrolled: 1-line block ×3, first 2 shown]
	s_waitcnt lgkmcnt(0)
	v_pk_add_f16 v2, v2, v6
	v_pk_add_f16 v3, v3, v5
	;; [unrolled: 1-line block ×3, first 2 shown]
	v_mov_b32_e32 v2, 0xa00
	v_pk_add_f16 v6, v3, v7
	v_mad_u32_u24 v2, v1, 40, v2
	ds_read2_b64 v[2:5], v2 offset1:1
	v_pk_add_f16 v11, v6, v9
	v_mov_b32_e32 v6, 0xa10
	v_mad_u32_u24 v1, v1, 40, v6
	ds_read2_b64 v[6:9], v1 offset1:1
	s_add_u32 s6, s30, s6
	s_addc_u32 s7, s31, s7
	s_lshl_b32 s4, s28, 7
	s_lshl_b64 s[4:5], s[4:5], 1
	s_waitcnt lgkmcnt(1)
	v_pk_add_f16 v1, v2, 0
	v_pk_add_f16 v2, v3, 0
	s_add_u32 s4, s6, s4
	v_pk_add_f16 v2, v2, v5
	s_addc_u32 s5, s7, s5
	s_lshl_b32 s6, s48, 7
	s_waitcnt lgkmcnt(0)
	v_pk_add_f16 v2, v2, v7
	s_mul_i32 s7, s6, s33
	v_pk_add_f16 v1, v1, v4
	v_pk_add_f16 v13, v2, v9
	v_or_b32_e32 v2, s7, v0
	v_mov_b32_e32 v3, 0
	v_pk_add_f16 v1, v1, v6
	v_lshlrev_b64 v[4:5], 1, v[2:3]
	s_add_i32 s7, s7, s6
	v_pk_add_f16 v12, v1, v8
	v_mov_b32_e32 v1, s5
	v_add_co_u32_e32 v4, vcc, s4, v4
	v_or_b32_e32 v2, s7, v0
	v_addc_co_u32_e32 v5, vcc, v1, v5, vcc
	v_lshlrev_b64 v[6:7], 1, v[2:3]
	s_add_i32 s7, s7, s6
	v_add_co_u32_e32 v6, vcc, s4, v6
	v_or_b32_e32 v2, s7, v0
	v_addc_co_u32_e32 v7, vcc, v1, v7, vcc
	v_lshlrev_b64 v[8:9], 1, v[2:3]
	s_add_i32 s7, s7, s6
	v_add_co_u32_e32 v8, vcc, s4, v8
	v_or_b32_e32 v2, s7, v0
	v_addc_co_u32_e32 v9, vcc, v1, v9, vcc
	v_lshlrev_b64 v[0:1], 1, v[2:3]
	v_mov_b32_e32 v2, s5
	v_add_co_u32_e32 v0, vcc, s4, v0
	v_addc_co_u32_e32 v1, vcc, v2, v1, vcc
	global_store_short v[4:5], v10, off
	global_store_short_d16_hi v[6:7], v10, off
	global_store_short v[8:9], v11, off
	global_store_short_d16_hi v[0:1], v11, off
	global_store_short v[4:5], v12, off offset:128
	global_store_short_d16_hi v[6:7], v12, off offset:128
	global_store_short v[8:9], v13, off offset:128
	global_store_short_d16_hi v[0:1], v13, off offset:128
.LBB509_1173:
	s_endpgm
	.section	.rodata,"a",@progbits
	.p2align	6, 0x0
	.amdhsa_kernel _Z38paged_attention_ll4mi_QKV_mfma4_kernelIDF16_hLN4vllm18Fp8KVCacheDataTypeE1EDF16_Li32ELi128ELi256ELb1ELi4EEvPKT_PKT0_S7_ifPKiS9_S9_iPKfiiiPfSC_PS2_PT2_iSB_SB_
		.amdhsa_group_segment_fixed_size 5280
		.amdhsa_private_segment_fixed_size 144
		.amdhsa_kernarg_size 400
		.amdhsa_user_sgpr_count 8
		.amdhsa_user_sgpr_private_segment_buffer 1
		.amdhsa_user_sgpr_dispatch_ptr 0
		.amdhsa_user_sgpr_queue_ptr 0
		.amdhsa_user_sgpr_kernarg_segment_ptr 1
		.amdhsa_user_sgpr_dispatch_id 0
		.amdhsa_user_sgpr_flat_scratch_init 1
		.amdhsa_user_sgpr_kernarg_preload_length 0
		.amdhsa_user_sgpr_kernarg_preload_offset 0
		.amdhsa_user_sgpr_private_segment_size 0
		.amdhsa_uses_dynamic_stack 0
		.amdhsa_system_sgpr_private_segment_wavefront_offset 1
		.amdhsa_system_sgpr_workgroup_id_x 1
		.amdhsa_system_sgpr_workgroup_id_y 1
		.amdhsa_system_sgpr_workgroup_id_z 1
		.amdhsa_system_sgpr_workgroup_info 0
		.amdhsa_system_vgpr_workitem_id 0
		.amdhsa_next_free_vgpr 72
		.amdhsa_next_free_sgpr 49
		.amdhsa_accum_offset 68
		.amdhsa_reserve_vcc 1
		.amdhsa_reserve_flat_scratch 0
		.amdhsa_float_round_mode_32 0
		.amdhsa_float_round_mode_16_64 0
		.amdhsa_float_denorm_mode_32 3
		.amdhsa_float_denorm_mode_16_64 3
		.amdhsa_dx10_clamp 1
		.amdhsa_ieee_mode 1
		.amdhsa_fp16_overflow 0
		.amdhsa_tg_split 0
		.amdhsa_exception_fp_ieee_invalid_op 0
		.amdhsa_exception_fp_denorm_src 0
		.amdhsa_exception_fp_ieee_div_zero 0
		.amdhsa_exception_fp_ieee_overflow 0
		.amdhsa_exception_fp_ieee_underflow 0
		.amdhsa_exception_fp_ieee_inexact 0
		.amdhsa_exception_int_div_zero 0
	.end_amdhsa_kernel
	.section	.text._Z38paged_attention_ll4mi_QKV_mfma4_kernelIDF16_hLN4vllm18Fp8KVCacheDataTypeE1EDF16_Li32ELi128ELi256ELb1ELi4EEvPKT_PKT0_S7_ifPKiS9_S9_iPKfiiiPfSC_PS2_PT2_iSB_SB_,"axG",@progbits,_Z38paged_attention_ll4mi_QKV_mfma4_kernelIDF16_hLN4vllm18Fp8KVCacheDataTypeE1EDF16_Li32ELi128ELi256ELb1ELi4EEvPKT_PKT0_S7_ifPKiS9_S9_iPKfiiiPfSC_PS2_PT2_iSB_SB_,comdat
.Lfunc_end509:
	.size	_Z38paged_attention_ll4mi_QKV_mfma4_kernelIDF16_hLN4vllm18Fp8KVCacheDataTypeE1EDF16_Li32ELi128ELi256ELb1ELi4EEvPKT_PKT0_S7_ifPKiS9_S9_iPKfiiiPfSC_PS2_PT2_iSB_SB_, .Lfunc_end509-_Z38paged_attention_ll4mi_QKV_mfma4_kernelIDF16_hLN4vllm18Fp8KVCacheDataTypeE1EDF16_Li32ELi128ELi256ELb1ELi4EEvPKT_PKT0_S7_ifPKiS9_S9_iPKfiiiPfSC_PS2_PT2_iSB_SB_
                                        ; -- End function
	.section	.AMDGPU.csdata,"",@progbits
; Kernel info:
; codeLenInByte = 37748
; NumSgprs: 53
; NumVgprs: 68
; NumAgprs: 4
; TotalNumVgprs: 72
; ScratchSize: 144
; MemoryBound: 0
; FloatMode: 240
; IeeeMode: 1
; LDSByteSize: 5280 bytes/workgroup (compile time only)
; SGPRBlocks: 6
; VGPRBlocks: 8
; NumSGPRsForWavesPerEU: 53
; NumVGPRsForWavesPerEU: 72
; AccumOffset: 68
; Occupancy: 7
; WaveLimiterHint : 1
; COMPUTE_PGM_RSRC2:SCRATCH_EN: 1
; COMPUTE_PGM_RSRC2:USER_SGPR: 8
; COMPUTE_PGM_RSRC2:TRAP_HANDLER: 0
; COMPUTE_PGM_RSRC2:TGID_X_EN: 1
; COMPUTE_PGM_RSRC2:TGID_Y_EN: 1
; COMPUTE_PGM_RSRC2:TGID_Z_EN: 1
; COMPUTE_PGM_RSRC2:TIDIG_COMP_CNT: 0
; COMPUTE_PGM_RSRC3_GFX90A:ACCUM_OFFSET: 16
; COMPUTE_PGM_RSRC3_GFX90A:TG_SPLIT: 0
	.section	.text._Z39paged_attention_ll4mi_QKV_mfma16_kernelIDF16_hLN4vllm18Fp8KVCacheDataTypeE1EDF16_Li32ELi128ELi256ELb1ELi5EL8MFMAType1EEvPKT_PKT0_S8_ifPKiSA_SA_iPKfiiiPfSD_PS3_PT2_iSC_SC_,"axG",@progbits,_Z39paged_attention_ll4mi_QKV_mfma16_kernelIDF16_hLN4vllm18Fp8KVCacheDataTypeE1EDF16_Li32ELi128ELi256ELb1ELi5EL8MFMAType1EEvPKT_PKT0_S8_ifPKiSA_SA_iPKfiiiPfSD_PS3_PT2_iSC_SC_,comdat
	.protected	_Z39paged_attention_ll4mi_QKV_mfma16_kernelIDF16_hLN4vllm18Fp8KVCacheDataTypeE1EDF16_Li32ELi128ELi256ELb1ELi5EL8MFMAType1EEvPKT_PKT0_S8_ifPKiSA_SA_iPKfiiiPfSD_PS3_PT2_iSC_SC_ ; -- Begin function _Z39paged_attention_ll4mi_QKV_mfma16_kernelIDF16_hLN4vllm18Fp8KVCacheDataTypeE1EDF16_Li32ELi128ELi256ELb1ELi5EL8MFMAType1EEvPKT_PKT0_S8_ifPKiSA_SA_iPKfiiiPfSD_PS3_PT2_iSC_SC_
	.globl	_Z39paged_attention_ll4mi_QKV_mfma16_kernelIDF16_hLN4vllm18Fp8KVCacheDataTypeE1EDF16_Li32ELi128ELi256ELb1ELi5EL8MFMAType1EEvPKT_PKT0_S8_ifPKiSA_SA_iPKfiiiPfSD_PS3_PT2_iSC_SC_
	.p2align	8
	.type	_Z39paged_attention_ll4mi_QKV_mfma16_kernelIDF16_hLN4vllm18Fp8KVCacheDataTypeE1EDF16_Li32ELi128ELi256ELb1ELi5EL8MFMAType1EEvPKT_PKT0_S8_ifPKiSA_SA_iPKfiiiPfSD_PS3_PT2_iSC_SC_,@function
_Z39paged_attention_ll4mi_QKV_mfma16_kernelIDF16_hLN4vllm18Fp8KVCacheDataTypeE1EDF16_Li32ELi128ELi256ELb1ELi5EL8MFMAType1EEvPKT_PKT0_S8_ifPKiSA_SA_iPKfiiiPfSD_PS3_PT2_iSC_SC_: ; @_Z39paged_attention_ll4mi_QKV_mfma16_kernelIDF16_hLN4vllm18Fp8KVCacheDataTypeE1EDF16_Li32ELi128ELi256ELb1ELi5EL8MFMAType1EEvPKT_PKT0_S8_ifPKiSA_SA_iPKfiiiPfSD_PS3_PT2_iSC_SC_
; %bb.0:
	s_load_dwordx2 s[12:13], s[4:5], 0x30
	s_add_u32 flat_scratch_lo, s6, s11
	s_addc_u32 flat_scratch_hi, s7, 0
	s_add_u32 s0, s0, s11
	s_addc_u32 s1, s1, 0
	s_waitcnt lgkmcnt(0)
	s_cmp_lg_u64 s[12:13], 0
	s_cselect_b64 s[14:15], -1, 0
	s_mov_b32 s6, s9
	s_mov_b64 s[16:17], 0
	s_and_b64 vcc, exec, s[14:15]
	s_mov_b32 s32, 0
	s_cbranch_vccz .LBB510_11
; %bb.1:
	s_add_i32 s18, s8, 1
	s_mov_b32 s19, 0
	s_lshl_b64 s[20:21], s[18:19], 2
	s_add_u32 s20, s12, s20
	s_mov_b32 s9, s19
	s_addc_u32 s21, s13, s21
	s_lshl_b64 s[18:19], s[8:9], 2
	s_add_u32 s18, s12, s18
	s_addc_u32 s19, s13, s19
	s_load_dword s7, s[20:21], 0x0
	s_load_dword s11, s[18:19], 0x0
	s_waitcnt lgkmcnt(0)
	s_sub_i32 s7, s7, s11
	s_cmp_eq_u32 s7, 1
	s_cselect_b64 s[18:19], -1, 0
	s_andn2_b64 vcc, exec, s[16:17]
	s_cbranch_vccnz .LBB510_3
.LBB510_2:
	s_mov_b32 s9, 0
	s_mov_b64 s[18:19], -1
.LBB510_3:
	s_andn2_b64 vcc, exec, s[18:19]
	s_cbranch_vccnz .LBB510_10
; %bb.4:
	s_load_dwordx2 s[18:19], s[4:5], 0x28
	s_lshl_b64 s[16:17], s[8:9], 2
	s_waitcnt lgkmcnt(0)
	s_add_u32 s18, s18, s16
	s_addc_u32 s19, s19, s17
	s_load_dword s7, s[18:19], 0x0
	s_lshl_b32 s6, s6, 8
	s_waitcnt lgkmcnt(0)
	s_cmp_ge_i32 s6, s7
	s_cbranch_scc1 .LBB510_10
; %bb.5:
	s_andn2_b64 vcc, exec, s[14:15]
	s_cbranch_vccnz .LBB510_7
; %bb.6:
	s_add_u32 s6, s12, s16
	s_addc_u32 s7, s13, s17
	s_load_dword s8, s[6:7], 0x0
.LBB510_7:
	s_movk_i32 s6, 0x50
	v_cmp_gt_u32_e32 vcc, s6, v0
	s_and_saveexec_b64 s[6:7], vcc
	s_cbranch_execz .LBB510_9
; %bb.8:
	s_load_dword s11, s[4:5], 0x48
	s_load_dwordx2 s[12:13], s[4:5], 0x0
	v_lshrrev_b32_e32 v1, 4, v0
	s_mul_i32 s10, s10, 5
	v_add_lshl_u32 v2, v1, s10, 7
	s_waitcnt lgkmcnt(0)
	s_ashr_i32 s9, s11, 31
	s_mul_hi_u32 s14, s8, s11
	s_mul_i32 s9, s8, s9
	s_add_i32 s9, s14, s9
	s_mul_i32 s8, s8, s11
	s_lshl_b64 s[8:9], s[8:9], 1
	s_add_u32 s8, s12, s8
	v_ashrrev_i32_e32 v3, 31, v2
	s_addc_u32 s9, s13, s9
	v_lshlrev_b64 v[2:3], 1, v[2:3]
	v_and_b32_e32 v4, 15, v0
	v_mov_b32_e32 v5, s9
	v_add_co_u32_e32 v2, vcc, s8, v2
	v_addc_co_u32_e32 v3, vcc, v5, v3, vcc
	v_lshlrev_b32_e32 v4, 4, v4
	v_add_co_u32_e32 v2, vcc, v2, v4
	v_addc_co_u32_e32 v3, vcc, 0, v3, vcc
	global_load_dwordx4 v[2:5], v[2:3], off
	v_lshlrev_b32_e32 v6, 4, v0
	v_lshlrev_b32_e32 v0, 8, v0
	v_and_b32_e32 v6, 16, v6
	v_lshlrev_b32_e32 v1, 5, v1
	v_and_b32_e32 v0, 0xe00, v0
	v_or3_b32 v0, v0, v1, v6
	s_waitcnt vmcnt(0)
	ds_write_b128 v0, v[2:5]
.LBB510_9:
	s_or_b64 exec, exec, s[6:7]
	s_waitcnt lgkmcnt(0)
	s_add_u32 s8, s4, 0x90
	s_addc_u32 s9, s5, 0
	s_getpc_b64 s[4:5]
	s_add_u32 s4, s4, __PRETTY_FUNCTION__._Z39paged_attention_ll4mi_QKV_mfma16_kernelIDF16_hLN4vllm18Fp8KVCacheDataTypeE1EDF16_Li32ELi128ELi256ELb1ELi5EL8MFMAType1EEvPKT_PKT0_S8_ifPKiSA_SA_iPKfiiiPfSD_PS3_PT2_iSC_SC_@rel32@lo+4
	s_addc_u32 s5, s5, __PRETTY_FUNCTION__._Z39paged_attention_ll4mi_QKV_mfma16_kernelIDF16_hLN4vllm18Fp8KVCacheDataTypeE1EDF16_Li32ELi128ELi256ELb1ELi5EL8MFMAType1EEvPKT_PKT0_S8_ifPKiSA_SA_iPKfiiiPfSD_PS3_PT2_iSC_SC_@rel32@hi+12
	v_mov_b32_e32 v0, 0x288
	v_mov_b32_e32 v1, s4
	;; [unrolled: 1-line block ×3, first 2 shown]
	s_barrier
	s_getpc_b64 s[6:7]
	s_add_u32 s6, s6, __assert_fail@rel32@lo+4
	s_addc_u32 s7, s7, __assert_fail@rel32@hi+12
	s_swappc_b64 s[30:31], s[6:7]
	; divergent unreachable
.LBB510_10:
	s_endpgm
.LBB510_11:
	s_mov_b64 s[18:19], 0
	s_branch .LBB510_2
	.section	.rodata,"a",@progbits
	.p2align	6, 0x0
	.amdhsa_kernel _Z39paged_attention_ll4mi_QKV_mfma16_kernelIDF16_hLN4vllm18Fp8KVCacheDataTypeE1EDF16_Li32ELi128ELi256ELb1ELi5EL8MFMAType1EEvPKT_PKT0_S8_ifPKiSA_SA_iPKfiiiPfSD_PS3_PT2_iSC_SC_
		.amdhsa_group_segment_fixed_size 8192
		.amdhsa_private_segment_fixed_size 64
		.amdhsa_kernarg_size 400
		.amdhsa_user_sgpr_count 8
		.amdhsa_user_sgpr_private_segment_buffer 1
		.amdhsa_user_sgpr_dispatch_ptr 0
		.amdhsa_user_sgpr_queue_ptr 0
		.amdhsa_user_sgpr_kernarg_segment_ptr 1
		.amdhsa_user_sgpr_dispatch_id 0
		.amdhsa_user_sgpr_flat_scratch_init 1
		.amdhsa_user_sgpr_kernarg_preload_length 0
		.amdhsa_user_sgpr_kernarg_preload_offset 0
		.amdhsa_user_sgpr_private_segment_size 0
		.amdhsa_uses_dynamic_stack 0
		.amdhsa_system_sgpr_private_segment_wavefront_offset 1
		.amdhsa_system_sgpr_workgroup_id_x 1
		.amdhsa_system_sgpr_workgroup_id_y 1
		.amdhsa_system_sgpr_workgroup_id_z 1
		.amdhsa_system_sgpr_workgroup_info 0
		.amdhsa_system_vgpr_workitem_id 0
		.amdhsa_next_free_vgpr 45
		.amdhsa_next_free_sgpr 34
		.amdhsa_accum_offset 44
		.amdhsa_reserve_vcc 1
		.amdhsa_reserve_flat_scratch 1
		.amdhsa_float_round_mode_32 0
		.amdhsa_float_round_mode_16_64 0
		.amdhsa_float_denorm_mode_32 3
		.amdhsa_float_denorm_mode_16_64 3
		.amdhsa_dx10_clamp 1
		.amdhsa_ieee_mode 1
		.amdhsa_fp16_overflow 0
		.amdhsa_tg_split 0
		.amdhsa_exception_fp_ieee_invalid_op 0
		.amdhsa_exception_fp_denorm_src 0
		.amdhsa_exception_fp_ieee_div_zero 0
		.amdhsa_exception_fp_ieee_overflow 0
		.amdhsa_exception_fp_ieee_underflow 0
		.amdhsa_exception_fp_ieee_inexact 0
		.amdhsa_exception_int_div_zero 0
	.end_amdhsa_kernel
	.section	.text._Z39paged_attention_ll4mi_QKV_mfma16_kernelIDF16_hLN4vllm18Fp8KVCacheDataTypeE1EDF16_Li32ELi128ELi256ELb1ELi5EL8MFMAType1EEvPKT_PKT0_S8_ifPKiSA_SA_iPKfiiiPfSD_PS3_PT2_iSC_SC_,"axG",@progbits,_Z39paged_attention_ll4mi_QKV_mfma16_kernelIDF16_hLN4vllm18Fp8KVCacheDataTypeE1EDF16_Li32ELi128ELi256ELb1ELi5EL8MFMAType1EEvPKT_PKT0_S8_ifPKiSA_SA_iPKfiiiPfSD_PS3_PT2_iSC_SC_,comdat
.Lfunc_end510:
	.size	_Z39paged_attention_ll4mi_QKV_mfma16_kernelIDF16_hLN4vllm18Fp8KVCacheDataTypeE1EDF16_Li32ELi128ELi256ELb1ELi5EL8MFMAType1EEvPKT_PKT0_S8_ifPKiSA_SA_iPKfiiiPfSD_PS3_PT2_iSC_SC_, .Lfunc_end510-_Z39paged_attention_ll4mi_QKV_mfma16_kernelIDF16_hLN4vllm18Fp8KVCacheDataTypeE1EDF16_Li32ELi128ELi256ELb1ELi5EL8MFMAType1EEvPKT_PKT0_S8_ifPKiSA_SA_iPKfiiiPfSD_PS3_PT2_iSC_SC_
                                        ; -- End function
	.section	.AMDGPU.csdata,"",@progbits
; Kernel info:
; codeLenInByte = 492
; NumSgprs: 40
; NumVgprs: 42
; NumAgprs: 1
; TotalNumVgprs: 45
; ScratchSize: 64
; MemoryBound: 0
; FloatMode: 240
; IeeeMode: 1
; LDSByteSize: 8192 bytes/workgroup (compile time only)
; SGPRBlocks: 4
; VGPRBlocks: 5
; NumSGPRsForWavesPerEU: 40
; NumVGPRsForWavesPerEU: 45
; AccumOffset: 44
; Occupancy: 8
; WaveLimiterHint : 1
; COMPUTE_PGM_RSRC2:SCRATCH_EN: 1
; COMPUTE_PGM_RSRC2:USER_SGPR: 8
; COMPUTE_PGM_RSRC2:TRAP_HANDLER: 0
; COMPUTE_PGM_RSRC2:TGID_X_EN: 1
; COMPUTE_PGM_RSRC2:TGID_Y_EN: 1
; COMPUTE_PGM_RSRC2:TGID_Z_EN: 1
; COMPUTE_PGM_RSRC2:TIDIG_COMP_CNT: 0
; COMPUTE_PGM_RSRC3_GFX90A:ACCUM_OFFSET: 10
; COMPUTE_PGM_RSRC3_GFX90A:TG_SPLIT: 0
	.section	.text._Z39paged_attention_ll4mi_QKV_mfma16_kernelIDF16_hLN4vllm18Fp8KVCacheDataTypeE1EDF16_Li32ELi128ELi256ELb1ELi6EL8MFMAType1EEvPKT_PKT0_S8_ifPKiSA_SA_iPKfiiiPfSD_PS3_PT2_iSC_SC_,"axG",@progbits,_Z39paged_attention_ll4mi_QKV_mfma16_kernelIDF16_hLN4vllm18Fp8KVCacheDataTypeE1EDF16_Li32ELi128ELi256ELb1ELi6EL8MFMAType1EEvPKT_PKT0_S8_ifPKiSA_SA_iPKfiiiPfSD_PS3_PT2_iSC_SC_,comdat
	.protected	_Z39paged_attention_ll4mi_QKV_mfma16_kernelIDF16_hLN4vllm18Fp8KVCacheDataTypeE1EDF16_Li32ELi128ELi256ELb1ELi6EL8MFMAType1EEvPKT_PKT0_S8_ifPKiSA_SA_iPKfiiiPfSD_PS3_PT2_iSC_SC_ ; -- Begin function _Z39paged_attention_ll4mi_QKV_mfma16_kernelIDF16_hLN4vllm18Fp8KVCacheDataTypeE1EDF16_Li32ELi128ELi256ELb1ELi6EL8MFMAType1EEvPKT_PKT0_S8_ifPKiSA_SA_iPKfiiiPfSD_PS3_PT2_iSC_SC_
	.globl	_Z39paged_attention_ll4mi_QKV_mfma16_kernelIDF16_hLN4vllm18Fp8KVCacheDataTypeE1EDF16_Li32ELi128ELi256ELb1ELi6EL8MFMAType1EEvPKT_PKT0_S8_ifPKiSA_SA_iPKfiiiPfSD_PS3_PT2_iSC_SC_
	.p2align	8
	.type	_Z39paged_attention_ll4mi_QKV_mfma16_kernelIDF16_hLN4vllm18Fp8KVCacheDataTypeE1EDF16_Li32ELi128ELi256ELb1ELi6EL8MFMAType1EEvPKT_PKT0_S8_ifPKiSA_SA_iPKfiiiPfSD_PS3_PT2_iSC_SC_,@function
_Z39paged_attention_ll4mi_QKV_mfma16_kernelIDF16_hLN4vllm18Fp8KVCacheDataTypeE1EDF16_Li32ELi128ELi256ELb1ELi6EL8MFMAType1EEvPKT_PKT0_S8_ifPKiSA_SA_iPKfiiiPfSD_PS3_PT2_iSC_SC_: ; @_Z39paged_attention_ll4mi_QKV_mfma16_kernelIDF16_hLN4vllm18Fp8KVCacheDataTypeE1EDF16_Li32ELi128ELi256ELb1ELi6EL8MFMAType1EEvPKT_PKT0_S8_ifPKiSA_SA_iPKfiiiPfSD_PS3_PT2_iSC_SC_
; %bb.0:
	s_load_dwordx2 s[12:13], s[4:5], 0x30
	s_add_u32 flat_scratch_lo, s6, s11
	s_addc_u32 flat_scratch_hi, s7, 0
	s_add_u32 s0, s0, s11
	s_addc_u32 s1, s1, 0
	s_waitcnt lgkmcnt(0)
	s_cmp_lg_u64 s[12:13], 0
	s_cselect_b64 s[14:15], -1, 0
	s_mov_b32 s6, s9
	s_mov_b64 s[16:17], 0
	s_and_b64 vcc, exec, s[14:15]
	s_mov_b32 s32, 0
	s_cbranch_vccz .LBB511_11
; %bb.1:
	s_add_i32 s18, s8, 1
	s_mov_b32 s19, 0
	s_lshl_b64 s[20:21], s[18:19], 2
	s_add_u32 s20, s12, s20
	s_mov_b32 s9, s19
	s_addc_u32 s21, s13, s21
	s_lshl_b64 s[18:19], s[8:9], 2
	s_add_u32 s18, s12, s18
	s_addc_u32 s19, s13, s19
	s_load_dword s7, s[20:21], 0x0
	s_load_dword s11, s[18:19], 0x0
	s_waitcnt lgkmcnt(0)
	s_sub_i32 s7, s7, s11
	s_cmp_eq_u32 s7, 1
	s_cselect_b64 s[18:19], -1, 0
	s_andn2_b64 vcc, exec, s[16:17]
	s_cbranch_vccnz .LBB511_3
.LBB511_2:
	s_mov_b32 s9, 0
	s_mov_b64 s[18:19], -1
.LBB511_3:
	s_andn2_b64 vcc, exec, s[18:19]
	s_cbranch_vccnz .LBB511_10
; %bb.4:
	s_load_dwordx2 s[18:19], s[4:5], 0x28
	s_lshl_b64 s[16:17], s[8:9], 2
	s_waitcnt lgkmcnt(0)
	s_add_u32 s18, s18, s16
	s_addc_u32 s19, s19, s17
	s_load_dword s7, s[18:19], 0x0
	s_lshl_b32 s6, s6, 8
	s_waitcnt lgkmcnt(0)
	s_cmp_ge_i32 s6, s7
	s_cbranch_scc1 .LBB511_10
; %bb.5:
	s_andn2_b64 vcc, exec, s[14:15]
	s_cbranch_vccnz .LBB511_7
; %bb.6:
	s_add_u32 s6, s12, s16
	s_addc_u32 s7, s13, s17
	s_load_dword s8, s[6:7], 0x0
.LBB511_7:
	s_movk_i32 s6, 0x60
	v_cmp_gt_u32_e32 vcc, s6, v0
	s_and_saveexec_b64 s[6:7], vcc
	s_cbranch_execz .LBB511_9
; %bb.8:
	s_load_dword s11, s[4:5], 0x48
	s_load_dwordx2 s[12:13], s[4:5], 0x0
	v_lshrrev_b32_e32 v1, 4, v0
	s_mul_i32 s10, s10, 6
	v_add_lshl_u32 v2, v1, s10, 7
	s_waitcnt lgkmcnt(0)
	s_ashr_i32 s9, s11, 31
	s_mul_hi_u32 s14, s8, s11
	s_mul_i32 s9, s8, s9
	s_add_i32 s9, s14, s9
	s_mul_i32 s8, s8, s11
	s_lshl_b64 s[8:9], s[8:9], 1
	s_add_u32 s8, s12, s8
	v_ashrrev_i32_e32 v3, 31, v2
	s_addc_u32 s9, s13, s9
	v_lshlrev_b64 v[2:3], 1, v[2:3]
	v_and_b32_e32 v4, 15, v0
	v_mov_b32_e32 v5, s9
	v_add_co_u32_e32 v2, vcc, s8, v2
	v_addc_co_u32_e32 v3, vcc, v5, v3, vcc
	v_lshlrev_b32_e32 v4, 4, v4
	v_add_co_u32_e32 v2, vcc, v2, v4
	v_addc_co_u32_e32 v3, vcc, 0, v3, vcc
	global_load_dwordx4 v[2:5], v[2:3], off
	v_lshlrev_b32_e32 v6, 4, v0
	v_lshlrev_b32_e32 v0, 8, v0
	v_and_b32_e32 v6, 16, v6
	v_lshlrev_b32_e32 v1, 5, v1
	v_and_b32_e32 v0, 0xe00, v0
	v_or3_b32 v0, v0, v1, v6
	s_waitcnt vmcnt(0)
	ds_write_b128 v0, v[2:5]
.LBB511_9:
	s_or_b64 exec, exec, s[6:7]
	s_waitcnt lgkmcnt(0)
	s_add_u32 s8, s4, 0x90
	s_addc_u32 s9, s5, 0
	s_getpc_b64 s[4:5]
	s_add_u32 s4, s4, __PRETTY_FUNCTION__._Z39paged_attention_ll4mi_QKV_mfma16_kernelIDF16_hLN4vllm18Fp8KVCacheDataTypeE1EDF16_Li32ELi128ELi256ELb1ELi6EL8MFMAType1EEvPKT_PKT0_S8_ifPKiSA_SA_iPKfiiiPfSD_PS3_PT2_iSC_SC_@rel32@lo+4
	s_addc_u32 s5, s5, __PRETTY_FUNCTION__._Z39paged_attention_ll4mi_QKV_mfma16_kernelIDF16_hLN4vllm18Fp8KVCacheDataTypeE1EDF16_Li32ELi128ELi256ELb1ELi6EL8MFMAType1EEvPKT_PKT0_S8_ifPKiSA_SA_iPKfiiiPfSD_PS3_PT2_iSC_SC_@rel32@hi+12
	v_mov_b32_e32 v0, 0x288
	v_mov_b32_e32 v1, s4
	;; [unrolled: 1-line block ×3, first 2 shown]
	s_barrier
	s_getpc_b64 s[6:7]
	s_add_u32 s6, s6, __assert_fail@rel32@lo+4
	s_addc_u32 s7, s7, __assert_fail@rel32@hi+12
	s_swappc_b64 s[30:31], s[6:7]
	; divergent unreachable
.LBB511_10:
	s_endpgm
.LBB511_11:
	s_mov_b64 s[18:19], 0
	s_branch .LBB511_2
	.section	.rodata,"a",@progbits
	.p2align	6, 0x0
	.amdhsa_kernel _Z39paged_attention_ll4mi_QKV_mfma16_kernelIDF16_hLN4vllm18Fp8KVCacheDataTypeE1EDF16_Li32ELi128ELi256ELb1ELi6EL8MFMAType1EEvPKT_PKT0_S8_ifPKiSA_SA_iPKfiiiPfSD_PS3_PT2_iSC_SC_
		.amdhsa_group_segment_fixed_size 8192
		.amdhsa_private_segment_fixed_size 64
		.amdhsa_kernarg_size 400
		.amdhsa_user_sgpr_count 8
		.amdhsa_user_sgpr_private_segment_buffer 1
		.amdhsa_user_sgpr_dispatch_ptr 0
		.amdhsa_user_sgpr_queue_ptr 0
		.amdhsa_user_sgpr_kernarg_segment_ptr 1
		.amdhsa_user_sgpr_dispatch_id 0
		.amdhsa_user_sgpr_flat_scratch_init 1
		.amdhsa_user_sgpr_kernarg_preload_length 0
		.amdhsa_user_sgpr_kernarg_preload_offset 0
		.amdhsa_user_sgpr_private_segment_size 0
		.amdhsa_uses_dynamic_stack 0
		.amdhsa_system_sgpr_private_segment_wavefront_offset 1
		.amdhsa_system_sgpr_workgroup_id_x 1
		.amdhsa_system_sgpr_workgroup_id_y 1
		.amdhsa_system_sgpr_workgroup_id_z 1
		.amdhsa_system_sgpr_workgroup_info 0
		.amdhsa_system_vgpr_workitem_id 0
		.amdhsa_next_free_vgpr 45
		.amdhsa_next_free_sgpr 34
		.amdhsa_accum_offset 44
		.amdhsa_reserve_vcc 1
		.amdhsa_reserve_flat_scratch 1
		.amdhsa_float_round_mode_32 0
		.amdhsa_float_round_mode_16_64 0
		.amdhsa_float_denorm_mode_32 3
		.amdhsa_float_denorm_mode_16_64 3
		.amdhsa_dx10_clamp 1
		.amdhsa_ieee_mode 1
		.amdhsa_fp16_overflow 0
		.amdhsa_tg_split 0
		.amdhsa_exception_fp_ieee_invalid_op 0
		.amdhsa_exception_fp_denorm_src 0
		.amdhsa_exception_fp_ieee_div_zero 0
		.amdhsa_exception_fp_ieee_overflow 0
		.amdhsa_exception_fp_ieee_underflow 0
		.amdhsa_exception_fp_ieee_inexact 0
		.amdhsa_exception_int_div_zero 0
	.end_amdhsa_kernel
	.section	.text._Z39paged_attention_ll4mi_QKV_mfma16_kernelIDF16_hLN4vllm18Fp8KVCacheDataTypeE1EDF16_Li32ELi128ELi256ELb1ELi6EL8MFMAType1EEvPKT_PKT0_S8_ifPKiSA_SA_iPKfiiiPfSD_PS3_PT2_iSC_SC_,"axG",@progbits,_Z39paged_attention_ll4mi_QKV_mfma16_kernelIDF16_hLN4vllm18Fp8KVCacheDataTypeE1EDF16_Li32ELi128ELi256ELb1ELi6EL8MFMAType1EEvPKT_PKT0_S8_ifPKiSA_SA_iPKfiiiPfSD_PS3_PT2_iSC_SC_,comdat
.Lfunc_end511:
	.size	_Z39paged_attention_ll4mi_QKV_mfma16_kernelIDF16_hLN4vllm18Fp8KVCacheDataTypeE1EDF16_Li32ELi128ELi256ELb1ELi6EL8MFMAType1EEvPKT_PKT0_S8_ifPKiSA_SA_iPKfiiiPfSD_PS3_PT2_iSC_SC_, .Lfunc_end511-_Z39paged_attention_ll4mi_QKV_mfma16_kernelIDF16_hLN4vllm18Fp8KVCacheDataTypeE1EDF16_Li32ELi128ELi256ELb1ELi6EL8MFMAType1EEvPKT_PKT0_S8_ifPKiSA_SA_iPKfiiiPfSD_PS3_PT2_iSC_SC_
                                        ; -- End function
	.section	.AMDGPU.csdata,"",@progbits
; Kernel info:
; codeLenInByte = 492
; NumSgprs: 40
; NumVgprs: 42
; NumAgprs: 1
; TotalNumVgprs: 45
; ScratchSize: 64
; MemoryBound: 0
; FloatMode: 240
; IeeeMode: 1
; LDSByteSize: 8192 bytes/workgroup (compile time only)
; SGPRBlocks: 4
; VGPRBlocks: 5
; NumSGPRsForWavesPerEU: 40
; NumVGPRsForWavesPerEU: 45
; AccumOffset: 44
; Occupancy: 8
; WaveLimiterHint : 1
; COMPUTE_PGM_RSRC2:SCRATCH_EN: 1
; COMPUTE_PGM_RSRC2:USER_SGPR: 8
; COMPUTE_PGM_RSRC2:TRAP_HANDLER: 0
; COMPUTE_PGM_RSRC2:TGID_X_EN: 1
; COMPUTE_PGM_RSRC2:TGID_Y_EN: 1
; COMPUTE_PGM_RSRC2:TGID_Z_EN: 1
; COMPUTE_PGM_RSRC2:TIDIG_COMP_CNT: 0
; COMPUTE_PGM_RSRC3_GFX90A:ACCUM_OFFSET: 10
; COMPUTE_PGM_RSRC3_GFX90A:TG_SPLIT: 0
	.section	.text._Z39paged_attention_ll4mi_QKV_mfma16_kernelIDF16_hLN4vllm18Fp8KVCacheDataTypeE1EDF16_Li32ELi128ELi256ELb1ELi7EL8MFMAType1EEvPKT_PKT0_S8_ifPKiSA_SA_iPKfiiiPfSD_PS3_PT2_iSC_SC_,"axG",@progbits,_Z39paged_attention_ll4mi_QKV_mfma16_kernelIDF16_hLN4vllm18Fp8KVCacheDataTypeE1EDF16_Li32ELi128ELi256ELb1ELi7EL8MFMAType1EEvPKT_PKT0_S8_ifPKiSA_SA_iPKfiiiPfSD_PS3_PT2_iSC_SC_,comdat
	.protected	_Z39paged_attention_ll4mi_QKV_mfma16_kernelIDF16_hLN4vllm18Fp8KVCacheDataTypeE1EDF16_Li32ELi128ELi256ELb1ELi7EL8MFMAType1EEvPKT_PKT0_S8_ifPKiSA_SA_iPKfiiiPfSD_PS3_PT2_iSC_SC_ ; -- Begin function _Z39paged_attention_ll4mi_QKV_mfma16_kernelIDF16_hLN4vllm18Fp8KVCacheDataTypeE1EDF16_Li32ELi128ELi256ELb1ELi7EL8MFMAType1EEvPKT_PKT0_S8_ifPKiSA_SA_iPKfiiiPfSD_PS3_PT2_iSC_SC_
	.globl	_Z39paged_attention_ll4mi_QKV_mfma16_kernelIDF16_hLN4vllm18Fp8KVCacheDataTypeE1EDF16_Li32ELi128ELi256ELb1ELi7EL8MFMAType1EEvPKT_PKT0_S8_ifPKiSA_SA_iPKfiiiPfSD_PS3_PT2_iSC_SC_
	.p2align	8
	.type	_Z39paged_attention_ll4mi_QKV_mfma16_kernelIDF16_hLN4vllm18Fp8KVCacheDataTypeE1EDF16_Li32ELi128ELi256ELb1ELi7EL8MFMAType1EEvPKT_PKT0_S8_ifPKiSA_SA_iPKfiiiPfSD_PS3_PT2_iSC_SC_,@function
_Z39paged_attention_ll4mi_QKV_mfma16_kernelIDF16_hLN4vllm18Fp8KVCacheDataTypeE1EDF16_Li32ELi128ELi256ELb1ELi7EL8MFMAType1EEvPKT_PKT0_S8_ifPKiSA_SA_iPKfiiiPfSD_PS3_PT2_iSC_SC_: ; @_Z39paged_attention_ll4mi_QKV_mfma16_kernelIDF16_hLN4vllm18Fp8KVCacheDataTypeE1EDF16_Li32ELi128ELi256ELb1ELi7EL8MFMAType1EEvPKT_PKT0_S8_ifPKiSA_SA_iPKfiiiPfSD_PS3_PT2_iSC_SC_
; %bb.0:
	s_load_dwordx2 s[12:13], s[4:5], 0x30
	s_add_u32 flat_scratch_lo, s6, s11
	s_addc_u32 flat_scratch_hi, s7, 0
	s_add_u32 s0, s0, s11
	s_addc_u32 s1, s1, 0
	s_waitcnt lgkmcnt(0)
	s_cmp_lg_u64 s[12:13], 0
	s_cselect_b64 s[14:15], -1, 0
	s_mov_b32 s6, s9
	s_mov_b64 s[16:17], 0
	s_and_b64 vcc, exec, s[14:15]
	s_mov_b32 s32, 0
	s_cbranch_vccz .LBB512_11
; %bb.1:
	s_add_i32 s18, s8, 1
	s_mov_b32 s19, 0
	s_lshl_b64 s[20:21], s[18:19], 2
	s_add_u32 s20, s12, s20
	s_mov_b32 s9, s19
	s_addc_u32 s21, s13, s21
	s_lshl_b64 s[18:19], s[8:9], 2
	s_add_u32 s18, s12, s18
	s_addc_u32 s19, s13, s19
	s_load_dword s7, s[20:21], 0x0
	s_load_dword s11, s[18:19], 0x0
	s_waitcnt lgkmcnt(0)
	s_sub_i32 s7, s7, s11
	s_cmp_eq_u32 s7, 1
	s_cselect_b64 s[18:19], -1, 0
	s_andn2_b64 vcc, exec, s[16:17]
	s_cbranch_vccnz .LBB512_3
.LBB512_2:
	s_mov_b32 s9, 0
	s_mov_b64 s[18:19], -1
.LBB512_3:
	s_andn2_b64 vcc, exec, s[18:19]
	s_cbranch_vccnz .LBB512_10
; %bb.4:
	s_load_dwordx2 s[18:19], s[4:5], 0x28
	s_lshl_b64 s[16:17], s[8:9], 2
	s_waitcnt lgkmcnt(0)
	s_add_u32 s18, s18, s16
	s_addc_u32 s19, s19, s17
	s_load_dword s7, s[18:19], 0x0
	s_lshl_b32 s6, s6, 8
	s_waitcnt lgkmcnt(0)
	s_cmp_ge_i32 s6, s7
	s_cbranch_scc1 .LBB512_10
; %bb.5:
	s_andn2_b64 vcc, exec, s[14:15]
	s_cbranch_vccnz .LBB512_7
; %bb.6:
	s_add_u32 s6, s12, s16
	s_addc_u32 s7, s13, s17
	s_load_dword s8, s[6:7], 0x0
.LBB512_7:
	s_movk_i32 s6, 0x70
	v_cmp_gt_u32_e32 vcc, s6, v0
	s_and_saveexec_b64 s[6:7], vcc
	s_cbranch_execz .LBB512_9
; %bb.8:
	s_load_dword s11, s[4:5], 0x48
	s_load_dwordx2 s[12:13], s[4:5], 0x0
	v_lshrrev_b32_e32 v1, 4, v0
	s_mul_i32 s10, s10, 7
	v_add_lshl_u32 v2, v1, s10, 7
	s_waitcnt lgkmcnt(0)
	s_ashr_i32 s9, s11, 31
	s_mul_hi_u32 s14, s8, s11
	s_mul_i32 s9, s8, s9
	s_add_i32 s9, s14, s9
	s_mul_i32 s8, s8, s11
	s_lshl_b64 s[8:9], s[8:9], 1
	s_add_u32 s8, s12, s8
	v_ashrrev_i32_e32 v3, 31, v2
	s_addc_u32 s9, s13, s9
	v_lshlrev_b64 v[2:3], 1, v[2:3]
	v_and_b32_e32 v4, 15, v0
	v_mov_b32_e32 v5, s9
	v_add_co_u32_e32 v2, vcc, s8, v2
	v_addc_co_u32_e32 v3, vcc, v5, v3, vcc
	v_lshlrev_b32_e32 v4, 4, v4
	v_add_co_u32_e32 v2, vcc, v2, v4
	v_addc_co_u32_e32 v3, vcc, 0, v3, vcc
	global_load_dwordx4 v[2:5], v[2:3], off
	v_lshlrev_b32_e32 v6, 4, v0
	v_lshlrev_b32_e32 v0, 8, v0
	v_and_b32_e32 v6, 16, v6
	v_lshlrev_b32_e32 v1, 5, v1
	v_and_b32_e32 v0, 0xe00, v0
	v_or3_b32 v0, v0, v1, v6
	s_waitcnt vmcnt(0)
	ds_write_b128 v0, v[2:5]
.LBB512_9:
	s_or_b64 exec, exec, s[6:7]
	s_waitcnt lgkmcnt(0)
	s_add_u32 s8, s4, 0x90
	s_addc_u32 s9, s5, 0
	s_getpc_b64 s[4:5]
	s_add_u32 s4, s4, __PRETTY_FUNCTION__._Z39paged_attention_ll4mi_QKV_mfma16_kernelIDF16_hLN4vllm18Fp8KVCacheDataTypeE1EDF16_Li32ELi128ELi256ELb1ELi7EL8MFMAType1EEvPKT_PKT0_S8_ifPKiSA_SA_iPKfiiiPfSD_PS3_PT2_iSC_SC_@rel32@lo+4
	s_addc_u32 s5, s5, __PRETTY_FUNCTION__._Z39paged_attention_ll4mi_QKV_mfma16_kernelIDF16_hLN4vllm18Fp8KVCacheDataTypeE1EDF16_Li32ELi128ELi256ELb1ELi7EL8MFMAType1EEvPKT_PKT0_S8_ifPKiSA_SA_iPKfiiiPfSD_PS3_PT2_iSC_SC_@rel32@hi+12
	v_mov_b32_e32 v0, 0x288
	v_mov_b32_e32 v1, s4
	;; [unrolled: 1-line block ×3, first 2 shown]
	s_barrier
	s_getpc_b64 s[6:7]
	s_add_u32 s6, s6, __assert_fail@rel32@lo+4
	s_addc_u32 s7, s7, __assert_fail@rel32@hi+12
	s_swappc_b64 s[30:31], s[6:7]
	; divergent unreachable
.LBB512_10:
	s_endpgm
.LBB512_11:
	s_mov_b64 s[18:19], 0
	s_branch .LBB512_2
	.section	.rodata,"a",@progbits
	.p2align	6, 0x0
	.amdhsa_kernel _Z39paged_attention_ll4mi_QKV_mfma16_kernelIDF16_hLN4vllm18Fp8KVCacheDataTypeE1EDF16_Li32ELi128ELi256ELb1ELi7EL8MFMAType1EEvPKT_PKT0_S8_ifPKiSA_SA_iPKfiiiPfSD_PS3_PT2_iSC_SC_
		.amdhsa_group_segment_fixed_size 8192
		.amdhsa_private_segment_fixed_size 64
		.amdhsa_kernarg_size 400
		.amdhsa_user_sgpr_count 8
		.amdhsa_user_sgpr_private_segment_buffer 1
		.amdhsa_user_sgpr_dispatch_ptr 0
		.amdhsa_user_sgpr_queue_ptr 0
		.amdhsa_user_sgpr_kernarg_segment_ptr 1
		.amdhsa_user_sgpr_dispatch_id 0
		.amdhsa_user_sgpr_flat_scratch_init 1
		.amdhsa_user_sgpr_kernarg_preload_length 0
		.amdhsa_user_sgpr_kernarg_preload_offset 0
		.amdhsa_user_sgpr_private_segment_size 0
		.amdhsa_uses_dynamic_stack 0
		.amdhsa_system_sgpr_private_segment_wavefront_offset 1
		.amdhsa_system_sgpr_workgroup_id_x 1
		.amdhsa_system_sgpr_workgroup_id_y 1
		.amdhsa_system_sgpr_workgroup_id_z 1
		.amdhsa_system_sgpr_workgroup_info 0
		.amdhsa_system_vgpr_workitem_id 0
		.amdhsa_next_free_vgpr 45
		.amdhsa_next_free_sgpr 34
		.amdhsa_accum_offset 44
		.amdhsa_reserve_vcc 1
		.amdhsa_reserve_flat_scratch 1
		.amdhsa_float_round_mode_32 0
		.amdhsa_float_round_mode_16_64 0
		.amdhsa_float_denorm_mode_32 3
		.amdhsa_float_denorm_mode_16_64 3
		.amdhsa_dx10_clamp 1
		.amdhsa_ieee_mode 1
		.amdhsa_fp16_overflow 0
		.amdhsa_tg_split 0
		.amdhsa_exception_fp_ieee_invalid_op 0
		.amdhsa_exception_fp_denorm_src 0
		.amdhsa_exception_fp_ieee_div_zero 0
		.amdhsa_exception_fp_ieee_overflow 0
		.amdhsa_exception_fp_ieee_underflow 0
		.amdhsa_exception_fp_ieee_inexact 0
		.amdhsa_exception_int_div_zero 0
	.end_amdhsa_kernel
	.section	.text._Z39paged_attention_ll4mi_QKV_mfma16_kernelIDF16_hLN4vllm18Fp8KVCacheDataTypeE1EDF16_Li32ELi128ELi256ELb1ELi7EL8MFMAType1EEvPKT_PKT0_S8_ifPKiSA_SA_iPKfiiiPfSD_PS3_PT2_iSC_SC_,"axG",@progbits,_Z39paged_attention_ll4mi_QKV_mfma16_kernelIDF16_hLN4vllm18Fp8KVCacheDataTypeE1EDF16_Li32ELi128ELi256ELb1ELi7EL8MFMAType1EEvPKT_PKT0_S8_ifPKiSA_SA_iPKfiiiPfSD_PS3_PT2_iSC_SC_,comdat
.Lfunc_end512:
	.size	_Z39paged_attention_ll4mi_QKV_mfma16_kernelIDF16_hLN4vllm18Fp8KVCacheDataTypeE1EDF16_Li32ELi128ELi256ELb1ELi7EL8MFMAType1EEvPKT_PKT0_S8_ifPKiSA_SA_iPKfiiiPfSD_PS3_PT2_iSC_SC_, .Lfunc_end512-_Z39paged_attention_ll4mi_QKV_mfma16_kernelIDF16_hLN4vllm18Fp8KVCacheDataTypeE1EDF16_Li32ELi128ELi256ELb1ELi7EL8MFMAType1EEvPKT_PKT0_S8_ifPKiSA_SA_iPKfiiiPfSD_PS3_PT2_iSC_SC_
                                        ; -- End function
	.section	.AMDGPU.csdata,"",@progbits
; Kernel info:
; codeLenInByte = 492
; NumSgprs: 40
; NumVgprs: 42
; NumAgprs: 1
; TotalNumVgprs: 45
; ScratchSize: 64
; MemoryBound: 0
; FloatMode: 240
; IeeeMode: 1
; LDSByteSize: 8192 bytes/workgroup (compile time only)
; SGPRBlocks: 4
; VGPRBlocks: 5
; NumSGPRsForWavesPerEU: 40
; NumVGPRsForWavesPerEU: 45
; AccumOffset: 44
; Occupancy: 8
; WaveLimiterHint : 1
; COMPUTE_PGM_RSRC2:SCRATCH_EN: 1
; COMPUTE_PGM_RSRC2:USER_SGPR: 8
; COMPUTE_PGM_RSRC2:TRAP_HANDLER: 0
; COMPUTE_PGM_RSRC2:TGID_X_EN: 1
; COMPUTE_PGM_RSRC2:TGID_Y_EN: 1
; COMPUTE_PGM_RSRC2:TGID_Z_EN: 1
; COMPUTE_PGM_RSRC2:TIDIG_COMP_CNT: 0
; COMPUTE_PGM_RSRC3_GFX90A:ACCUM_OFFSET: 10
; COMPUTE_PGM_RSRC3_GFX90A:TG_SPLIT: 0
	.section	.text._Z39paged_attention_ll4mi_QKV_mfma16_kernelIDF16_hLN4vllm18Fp8KVCacheDataTypeE1EDF16_Li32ELi128ELi256ELb1ELi8EL8MFMAType1EEvPKT_PKT0_S8_ifPKiSA_SA_iPKfiiiPfSD_PS3_PT2_iSC_SC_,"axG",@progbits,_Z39paged_attention_ll4mi_QKV_mfma16_kernelIDF16_hLN4vllm18Fp8KVCacheDataTypeE1EDF16_Li32ELi128ELi256ELb1ELi8EL8MFMAType1EEvPKT_PKT0_S8_ifPKiSA_SA_iPKfiiiPfSD_PS3_PT2_iSC_SC_,comdat
	.protected	_Z39paged_attention_ll4mi_QKV_mfma16_kernelIDF16_hLN4vllm18Fp8KVCacheDataTypeE1EDF16_Li32ELi128ELi256ELb1ELi8EL8MFMAType1EEvPKT_PKT0_S8_ifPKiSA_SA_iPKfiiiPfSD_PS3_PT2_iSC_SC_ ; -- Begin function _Z39paged_attention_ll4mi_QKV_mfma16_kernelIDF16_hLN4vllm18Fp8KVCacheDataTypeE1EDF16_Li32ELi128ELi256ELb1ELi8EL8MFMAType1EEvPKT_PKT0_S8_ifPKiSA_SA_iPKfiiiPfSD_PS3_PT2_iSC_SC_
	.globl	_Z39paged_attention_ll4mi_QKV_mfma16_kernelIDF16_hLN4vllm18Fp8KVCacheDataTypeE1EDF16_Li32ELi128ELi256ELb1ELi8EL8MFMAType1EEvPKT_PKT0_S8_ifPKiSA_SA_iPKfiiiPfSD_PS3_PT2_iSC_SC_
	.p2align	8
	.type	_Z39paged_attention_ll4mi_QKV_mfma16_kernelIDF16_hLN4vllm18Fp8KVCacheDataTypeE1EDF16_Li32ELi128ELi256ELb1ELi8EL8MFMAType1EEvPKT_PKT0_S8_ifPKiSA_SA_iPKfiiiPfSD_PS3_PT2_iSC_SC_,@function
_Z39paged_attention_ll4mi_QKV_mfma16_kernelIDF16_hLN4vllm18Fp8KVCacheDataTypeE1EDF16_Li32ELi128ELi256ELb1ELi8EL8MFMAType1EEvPKT_PKT0_S8_ifPKiSA_SA_iPKfiiiPfSD_PS3_PT2_iSC_SC_: ; @_Z39paged_attention_ll4mi_QKV_mfma16_kernelIDF16_hLN4vllm18Fp8KVCacheDataTypeE1EDF16_Li32ELi128ELi256ELb1ELi8EL8MFMAType1EEvPKT_PKT0_S8_ifPKiSA_SA_iPKfiiiPfSD_PS3_PT2_iSC_SC_
; %bb.0:
	s_load_dwordx2 s[12:13], s[4:5], 0x30
	s_add_u32 flat_scratch_lo, s6, s11
	s_addc_u32 flat_scratch_hi, s7, 0
	s_add_u32 s0, s0, s11
	s_addc_u32 s1, s1, 0
	s_waitcnt lgkmcnt(0)
	s_cmp_lg_u64 s[12:13], 0
	s_cselect_b64 s[14:15], -1, 0
	s_mov_b32 s6, s9
	s_mov_b64 s[16:17], 0
	s_and_b64 vcc, exec, s[14:15]
	s_mov_b32 s32, 0
	s_cbranch_vccz .LBB513_11
; %bb.1:
	s_add_i32 s18, s8, 1
	s_mov_b32 s19, 0
	s_lshl_b64 s[20:21], s[18:19], 2
	s_add_u32 s20, s12, s20
	s_mov_b32 s9, s19
	s_addc_u32 s21, s13, s21
	s_lshl_b64 s[18:19], s[8:9], 2
	s_add_u32 s18, s12, s18
	s_addc_u32 s19, s13, s19
	s_load_dword s7, s[20:21], 0x0
	s_load_dword s11, s[18:19], 0x0
	s_waitcnt lgkmcnt(0)
	s_sub_i32 s7, s7, s11
	s_cmp_eq_u32 s7, 1
	s_cselect_b64 s[18:19], -1, 0
	s_andn2_b64 vcc, exec, s[16:17]
	s_cbranch_vccnz .LBB513_3
.LBB513_2:
	s_mov_b32 s9, 0
	s_mov_b64 s[18:19], -1
.LBB513_3:
	s_andn2_b64 vcc, exec, s[18:19]
	s_cbranch_vccnz .LBB513_10
; %bb.4:
	s_load_dwordx2 s[18:19], s[4:5], 0x28
	s_lshl_b64 s[16:17], s[8:9], 2
	s_waitcnt lgkmcnt(0)
	s_add_u32 s18, s18, s16
	s_addc_u32 s19, s19, s17
	s_load_dword s7, s[18:19], 0x0
	s_lshl_b32 s6, s6, 8
	s_waitcnt lgkmcnt(0)
	s_cmp_ge_i32 s6, s7
	s_cbranch_scc1 .LBB513_10
; %bb.5:
	s_andn2_b64 vcc, exec, s[14:15]
	s_cbranch_vccnz .LBB513_7
; %bb.6:
	s_add_u32 s6, s12, s16
	s_addc_u32 s7, s13, s17
	s_load_dword s8, s[6:7], 0x0
.LBB513_7:
	s_movk_i32 s6, 0x80
	v_cmp_gt_u32_e32 vcc, s6, v0
	s_and_saveexec_b64 s[6:7], vcc
	s_cbranch_execz .LBB513_9
; %bb.8:
	s_load_dword s11, s[4:5], 0x48
	s_load_dwordx2 s[12:13], s[4:5], 0x0
	v_lshrrev_b32_e32 v6, 4, v0
	v_lshlrev_b32_e32 v2, 7, v6
	v_lshl_or_b32 v2, s10, 10, v2
	s_waitcnt lgkmcnt(0)
	s_ashr_i32 s9, s11, 31
	s_mul_hi_u32 s14, s8, s11
	s_mul_i32 s9, s8, s9
	s_add_i32 s9, s14, s9
	s_mul_i32 s8, s8, s11
	s_lshl_b64 s[8:9], s[8:9], 1
	s_add_u32 s8, s12, s8
	v_ashrrev_i32_e32 v3, 31, v2
	s_addc_u32 s9, s13, s9
	v_lshlrev_b64 v[2:3], 1, v[2:3]
	v_and_b32_e32 v1, 15, v0
	v_mov_b32_e32 v4, s9
	v_add_co_u32_e32 v2, vcc, s8, v2
	v_addc_co_u32_e32 v3, vcc, v4, v3, vcc
	v_lshlrev_b32_e32 v1, 4, v1
	v_add_co_u32_e32 v2, vcc, v2, v1
	v_addc_co_u32_e32 v3, vcc, 0, v3, vcc
	global_load_dwordx4 v[2:5], v[2:3], off
	v_lshlrev_b32_e32 v1, 4, v0
	v_lshlrev_b32_e32 v0, 8, v0
	v_and_b32_e32 v1, 16, v1
	v_lshlrev_b32_e32 v6, 5, v6
	v_and_b32_e32 v0, 0xe00, v0
	v_or3_b32 v0, v0, v6, v1
	s_waitcnt vmcnt(0)
	ds_write_b128 v0, v[2:5]
.LBB513_9:
	s_or_b64 exec, exec, s[6:7]
	s_waitcnt lgkmcnt(0)
	s_add_u32 s8, s4, 0x90
	s_addc_u32 s9, s5, 0
	s_getpc_b64 s[4:5]
	s_add_u32 s4, s4, __PRETTY_FUNCTION__._Z39paged_attention_ll4mi_QKV_mfma16_kernelIDF16_hLN4vllm18Fp8KVCacheDataTypeE1EDF16_Li32ELi128ELi256ELb1ELi8EL8MFMAType1EEvPKT_PKT0_S8_ifPKiSA_SA_iPKfiiiPfSD_PS3_PT2_iSC_SC_@rel32@lo+4
	s_addc_u32 s5, s5, __PRETTY_FUNCTION__._Z39paged_attention_ll4mi_QKV_mfma16_kernelIDF16_hLN4vllm18Fp8KVCacheDataTypeE1EDF16_Li32ELi128ELi256ELb1ELi8EL8MFMAType1EEvPKT_PKT0_S8_ifPKiSA_SA_iPKfiiiPfSD_PS3_PT2_iSC_SC_@rel32@hi+12
	v_mov_b32_e32 v0, 0x288
	v_mov_b32_e32 v1, s4
	;; [unrolled: 1-line block ×3, first 2 shown]
	s_barrier
	s_getpc_b64 s[6:7]
	s_add_u32 s6, s6, __assert_fail@rel32@lo+4
	s_addc_u32 s7, s7, __assert_fail@rel32@hi+12
	s_swappc_b64 s[30:31], s[6:7]
	; divergent unreachable
.LBB513_10:
	s_endpgm
.LBB513_11:
	s_mov_b64 s[18:19], 0
	s_branch .LBB513_2
	.section	.rodata,"a",@progbits
	.p2align	6, 0x0
	.amdhsa_kernel _Z39paged_attention_ll4mi_QKV_mfma16_kernelIDF16_hLN4vllm18Fp8KVCacheDataTypeE1EDF16_Li32ELi128ELi256ELb1ELi8EL8MFMAType1EEvPKT_PKT0_S8_ifPKiSA_SA_iPKfiiiPfSD_PS3_PT2_iSC_SC_
		.amdhsa_group_segment_fixed_size 8192
		.amdhsa_private_segment_fixed_size 64
		.amdhsa_kernarg_size 400
		.amdhsa_user_sgpr_count 8
		.amdhsa_user_sgpr_private_segment_buffer 1
		.amdhsa_user_sgpr_dispatch_ptr 0
		.amdhsa_user_sgpr_queue_ptr 0
		.amdhsa_user_sgpr_kernarg_segment_ptr 1
		.amdhsa_user_sgpr_dispatch_id 0
		.amdhsa_user_sgpr_flat_scratch_init 1
		.amdhsa_user_sgpr_kernarg_preload_length 0
		.amdhsa_user_sgpr_kernarg_preload_offset 0
		.amdhsa_user_sgpr_private_segment_size 0
		.amdhsa_uses_dynamic_stack 0
		.amdhsa_system_sgpr_private_segment_wavefront_offset 1
		.amdhsa_system_sgpr_workgroup_id_x 1
		.amdhsa_system_sgpr_workgroup_id_y 1
		.amdhsa_system_sgpr_workgroup_id_z 1
		.amdhsa_system_sgpr_workgroup_info 0
		.amdhsa_system_vgpr_workitem_id 0
		.amdhsa_next_free_vgpr 45
		.amdhsa_next_free_sgpr 34
		.amdhsa_accum_offset 44
		.amdhsa_reserve_vcc 1
		.amdhsa_reserve_flat_scratch 1
		.amdhsa_float_round_mode_32 0
		.amdhsa_float_round_mode_16_64 0
		.amdhsa_float_denorm_mode_32 3
		.amdhsa_float_denorm_mode_16_64 3
		.amdhsa_dx10_clamp 1
		.amdhsa_ieee_mode 1
		.amdhsa_fp16_overflow 0
		.amdhsa_tg_split 0
		.amdhsa_exception_fp_ieee_invalid_op 0
		.amdhsa_exception_fp_denorm_src 0
		.amdhsa_exception_fp_ieee_div_zero 0
		.amdhsa_exception_fp_ieee_overflow 0
		.amdhsa_exception_fp_ieee_underflow 0
		.amdhsa_exception_fp_ieee_inexact 0
		.amdhsa_exception_int_div_zero 0
	.end_amdhsa_kernel
	.section	.text._Z39paged_attention_ll4mi_QKV_mfma16_kernelIDF16_hLN4vllm18Fp8KVCacheDataTypeE1EDF16_Li32ELi128ELi256ELb1ELi8EL8MFMAType1EEvPKT_PKT0_S8_ifPKiSA_SA_iPKfiiiPfSD_PS3_PT2_iSC_SC_,"axG",@progbits,_Z39paged_attention_ll4mi_QKV_mfma16_kernelIDF16_hLN4vllm18Fp8KVCacheDataTypeE1EDF16_Li32ELi128ELi256ELb1ELi8EL8MFMAType1EEvPKT_PKT0_S8_ifPKiSA_SA_iPKfiiiPfSD_PS3_PT2_iSC_SC_,comdat
.Lfunc_end513:
	.size	_Z39paged_attention_ll4mi_QKV_mfma16_kernelIDF16_hLN4vllm18Fp8KVCacheDataTypeE1EDF16_Li32ELi128ELi256ELb1ELi8EL8MFMAType1EEvPKT_PKT0_S8_ifPKiSA_SA_iPKfiiiPfSD_PS3_PT2_iSC_SC_, .Lfunc_end513-_Z39paged_attention_ll4mi_QKV_mfma16_kernelIDF16_hLN4vllm18Fp8KVCacheDataTypeE1EDF16_Li32ELi128ELi256ELb1ELi8EL8MFMAType1EEvPKT_PKT0_S8_ifPKiSA_SA_iPKfiiiPfSD_PS3_PT2_iSC_SC_
                                        ; -- End function
	.section	.AMDGPU.csdata,"",@progbits
; Kernel info:
; codeLenInByte = 492
; NumSgprs: 40
; NumVgprs: 42
; NumAgprs: 1
; TotalNumVgprs: 45
; ScratchSize: 64
; MemoryBound: 0
; FloatMode: 240
; IeeeMode: 1
; LDSByteSize: 8192 bytes/workgroup (compile time only)
; SGPRBlocks: 4
; VGPRBlocks: 5
; NumSGPRsForWavesPerEU: 40
; NumVGPRsForWavesPerEU: 45
; AccumOffset: 44
; Occupancy: 8
; WaveLimiterHint : 1
; COMPUTE_PGM_RSRC2:SCRATCH_EN: 1
; COMPUTE_PGM_RSRC2:USER_SGPR: 8
; COMPUTE_PGM_RSRC2:TRAP_HANDLER: 0
; COMPUTE_PGM_RSRC2:TGID_X_EN: 1
; COMPUTE_PGM_RSRC2:TGID_Y_EN: 1
; COMPUTE_PGM_RSRC2:TGID_Z_EN: 1
; COMPUTE_PGM_RSRC2:TIDIG_COMP_CNT: 0
; COMPUTE_PGM_RSRC3_GFX90A:ACCUM_OFFSET: 10
; COMPUTE_PGM_RSRC3_GFX90A:TG_SPLIT: 0
	.section	.text._Z39paged_attention_ll4mi_QKV_mfma16_kernelIDF16_hLN4vllm18Fp8KVCacheDataTypeE1EDF16_Li32ELi128ELi256ELb1ELi9EL8MFMAType1EEvPKT_PKT0_S8_ifPKiSA_SA_iPKfiiiPfSD_PS3_PT2_iSC_SC_,"axG",@progbits,_Z39paged_attention_ll4mi_QKV_mfma16_kernelIDF16_hLN4vllm18Fp8KVCacheDataTypeE1EDF16_Li32ELi128ELi256ELb1ELi9EL8MFMAType1EEvPKT_PKT0_S8_ifPKiSA_SA_iPKfiiiPfSD_PS3_PT2_iSC_SC_,comdat
	.protected	_Z39paged_attention_ll4mi_QKV_mfma16_kernelIDF16_hLN4vllm18Fp8KVCacheDataTypeE1EDF16_Li32ELi128ELi256ELb1ELi9EL8MFMAType1EEvPKT_PKT0_S8_ifPKiSA_SA_iPKfiiiPfSD_PS3_PT2_iSC_SC_ ; -- Begin function _Z39paged_attention_ll4mi_QKV_mfma16_kernelIDF16_hLN4vllm18Fp8KVCacheDataTypeE1EDF16_Li32ELi128ELi256ELb1ELi9EL8MFMAType1EEvPKT_PKT0_S8_ifPKiSA_SA_iPKfiiiPfSD_PS3_PT2_iSC_SC_
	.globl	_Z39paged_attention_ll4mi_QKV_mfma16_kernelIDF16_hLN4vllm18Fp8KVCacheDataTypeE1EDF16_Li32ELi128ELi256ELb1ELi9EL8MFMAType1EEvPKT_PKT0_S8_ifPKiSA_SA_iPKfiiiPfSD_PS3_PT2_iSC_SC_
	.p2align	8
	.type	_Z39paged_attention_ll4mi_QKV_mfma16_kernelIDF16_hLN4vllm18Fp8KVCacheDataTypeE1EDF16_Li32ELi128ELi256ELb1ELi9EL8MFMAType1EEvPKT_PKT0_S8_ifPKiSA_SA_iPKfiiiPfSD_PS3_PT2_iSC_SC_,@function
_Z39paged_attention_ll4mi_QKV_mfma16_kernelIDF16_hLN4vllm18Fp8KVCacheDataTypeE1EDF16_Li32ELi128ELi256ELb1ELi9EL8MFMAType1EEvPKT_PKT0_S8_ifPKiSA_SA_iPKfiiiPfSD_PS3_PT2_iSC_SC_: ; @_Z39paged_attention_ll4mi_QKV_mfma16_kernelIDF16_hLN4vllm18Fp8KVCacheDataTypeE1EDF16_Li32ELi128ELi256ELb1ELi9EL8MFMAType1EEvPKT_PKT0_S8_ifPKiSA_SA_iPKfiiiPfSD_PS3_PT2_iSC_SC_
; %bb.0:
	s_load_dwordx2 s[12:13], s[4:5], 0x30
	s_add_u32 flat_scratch_lo, s6, s11
	s_addc_u32 flat_scratch_hi, s7, 0
	s_add_u32 s0, s0, s11
	s_addc_u32 s1, s1, 0
	s_waitcnt lgkmcnt(0)
	s_cmp_lg_u64 s[12:13], 0
	s_cselect_b64 s[14:15], -1, 0
	s_mov_b32 s6, s9
	s_mov_b64 s[16:17], 0
	s_and_b64 vcc, exec, s[14:15]
	s_mov_b32 s32, 0
	s_cbranch_vccz .LBB514_11
; %bb.1:
	s_add_i32 s18, s8, 1
	s_mov_b32 s19, 0
	s_lshl_b64 s[20:21], s[18:19], 2
	s_add_u32 s20, s12, s20
	s_mov_b32 s9, s19
	s_addc_u32 s21, s13, s21
	s_lshl_b64 s[18:19], s[8:9], 2
	s_add_u32 s18, s12, s18
	s_addc_u32 s19, s13, s19
	s_load_dword s7, s[20:21], 0x0
	s_load_dword s11, s[18:19], 0x0
	s_waitcnt lgkmcnt(0)
	s_sub_i32 s7, s7, s11
	s_cmp_eq_u32 s7, 1
	s_cselect_b64 s[18:19], -1, 0
	s_andn2_b64 vcc, exec, s[16:17]
	s_cbranch_vccnz .LBB514_3
.LBB514_2:
	s_mov_b32 s9, 0
	s_mov_b64 s[18:19], -1
.LBB514_3:
	s_andn2_b64 vcc, exec, s[18:19]
	s_cbranch_vccnz .LBB514_10
; %bb.4:
	s_load_dwordx2 s[18:19], s[4:5], 0x28
	s_lshl_b64 s[16:17], s[8:9], 2
	s_waitcnt lgkmcnt(0)
	s_add_u32 s18, s18, s16
	s_addc_u32 s19, s19, s17
	s_load_dword s7, s[18:19], 0x0
	s_lshl_b32 s6, s6, 8
	s_waitcnt lgkmcnt(0)
	s_cmp_ge_i32 s6, s7
	s_cbranch_scc1 .LBB514_10
; %bb.5:
	s_andn2_b64 vcc, exec, s[14:15]
	s_cbranch_vccnz .LBB514_7
; %bb.6:
	s_add_u32 s6, s12, s16
	s_addc_u32 s7, s13, s17
	s_load_dword s8, s[6:7], 0x0
.LBB514_7:
	s_movk_i32 s6, 0x90
	v_cmp_gt_u32_e32 vcc, s6, v0
	s_and_saveexec_b64 s[6:7], vcc
	s_cbranch_execz .LBB514_9
; %bb.8:
	s_load_dword s11, s[4:5], 0x48
	s_load_dwordx2 s[12:13], s[4:5], 0x0
	v_lshrrev_b32_e32 v1, 4, v0
	s_mul_i32 s10, s10, 9
	v_add_lshl_u32 v2, v1, s10, 7
	s_waitcnt lgkmcnt(0)
	s_ashr_i32 s9, s11, 31
	s_mul_hi_u32 s14, s8, s11
	s_mul_i32 s9, s8, s9
	s_add_i32 s9, s14, s9
	s_mul_i32 s8, s8, s11
	s_lshl_b64 s[8:9], s[8:9], 1
	s_add_u32 s8, s12, s8
	v_ashrrev_i32_e32 v3, 31, v2
	s_addc_u32 s9, s13, s9
	v_lshlrev_b64 v[2:3], 1, v[2:3]
	v_and_b32_e32 v4, 15, v0
	v_mov_b32_e32 v5, s9
	v_add_co_u32_e32 v2, vcc, s8, v2
	v_addc_co_u32_e32 v3, vcc, v5, v3, vcc
	v_lshlrev_b32_e32 v4, 4, v4
	v_add_co_u32_e32 v2, vcc, v2, v4
	v_addc_co_u32_e32 v3, vcc, 0, v3, vcc
	global_load_dwordx4 v[2:5], v[2:3], off
	v_lshlrev_b32_e32 v6, 4, v0
	v_lshlrev_b32_e32 v0, 8, v0
	v_and_b32_e32 v6, 16, v6
	v_lshlrev_b32_e32 v1, 5, v1
	v_and_b32_e32 v0, 0xe00, v0
	v_or3_b32 v0, v0, v1, v6
	s_waitcnt vmcnt(0)
	ds_write_b128 v0, v[2:5]
.LBB514_9:
	s_or_b64 exec, exec, s[6:7]
	s_waitcnt lgkmcnt(0)
	s_add_u32 s8, s4, 0x90
	s_addc_u32 s9, s5, 0
	s_getpc_b64 s[4:5]
	s_add_u32 s4, s4, __PRETTY_FUNCTION__._Z39paged_attention_ll4mi_QKV_mfma16_kernelIDF16_hLN4vllm18Fp8KVCacheDataTypeE1EDF16_Li32ELi128ELi256ELb1ELi9EL8MFMAType1EEvPKT_PKT0_S8_ifPKiSA_SA_iPKfiiiPfSD_PS3_PT2_iSC_SC_@rel32@lo+4
	s_addc_u32 s5, s5, __PRETTY_FUNCTION__._Z39paged_attention_ll4mi_QKV_mfma16_kernelIDF16_hLN4vllm18Fp8KVCacheDataTypeE1EDF16_Li32ELi128ELi256ELb1ELi9EL8MFMAType1EEvPKT_PKT0_S8_ifPKiSA_SA_iPKfiiiPfSD_PS3_PT2_iSC_SC_@rel32@hi+12
	v_mov_b32_e32 v0, 0x288
	v_mov_b32_e32 v1, s4
	;; [unrolled: 1-line block ×3, first 2 shown]
	s_barrier
	s_getpc_b64 s[6:7]
	s_add_u32 s6, s6, __assert_fail@rel32@lo+4
	s_addc_u32 s7, s7, __assert_fail@rel32@hi+12
	s_swappc_b64 s[30:31], s[6:7]
	; divergent unreachable
.LBB514_10:
	s_endpgm
.LBB514_11:
	s_mov_b64 s[18:19], 0
	s_branch .LBB514_2
	.section	.rodata,"a",@progbits
	.p2align	6, 0x0
	.amdhsa_kernel _Z39paged_attention_ll4mi_QKV_mfma16_kernelIDF16_hLN4vllm18Fp8KVCacheDataTypeE1EDF16_Li32ELi128ELi256ELb1ELi9EL8MFMAType1EEvPKT_PKT0_S8_ifPKiSA_SA_iPKfiiiPfSD_PS3_PT2_iSC_SC_
		.amdhsa_group_segment_fixed_size 8192
		.amdhsa_private_segment_fixed_size 64
		.amdhsa_kernarg_size 400
		.amdhsa_user_sgpr_count 8
		.amdhsa_user_sgpr_private_segment_buffer 1
		.amdhsa_user_sgpr_dispatch_ptr 0
		.amdhsa_user_sgpr_queue_ptr 0
		.amdhsa_user_sgpr_kernarg_segment_ptr 1
		.amdhsa_user_sgpr_dispatch_id 0
		.amdhsa_user_sgpr_flat_scratch_init 1
		.amdhsa_user_sgpr_kernarg_preload_length 0
		.amdhsa_user_sgpr_kernarg_preload_offset 0
		.amdhsa_user_sgpr_private_segment_size 0
		.amdhsa_uses_dynamic_stack 0
		.amdhsa_system_sgpr_private_segment_wavefront_offset 1
		.amdhsa_system_sgpr_workgroup_id_x 1
		.amdhsa_system_sgpr_workgroup_id_y 1
		.amdhsa_system_sgpr_workgroup_id_z 1
		.amdhsa_system_sgpr_workgroup_info 0
		.amdhsa_system_vgpr_workitem_id 0
		.amdhsa_next_free_vgpr 45
		.amdhsa_next_free_sgpr 34
		.amdhsa_accum_offset 44
		.amdhsa_reserve_vcc 1
		.amdhsa_reserve_flat_scratch 1
		.amdhsa_float_round_mode_32 0
		.amdhsa_float_round_mode_16_64 0
		.amdhsa_float_denorm_mode_32 3
		.amdhsa_float_denorm_mode_16_64 3
		.amdhsa_dx10_clamp 1
		.amdhsa_ieee_mode 1
		.amdhsa_fp16_overflow 0
		.amdhsa_tg_split 0
		.amdhsa_exception_fp_ieee_invalid_op 0
		.amdhsa_exception_fp_denorm_src 0
		.amdhsa_exception_fp_ieee_div_zero 0
		.amdhsa_exception_fp_ieee_overflow 0
		.amdhsa_exception_fp_ieee_underflow 0
		.amdhsa_exception_fp_ieee_inexact 0
		.amdhsa_exception_int_div_zero 0
	.end_amdhsa_kernel
	.section	.text._Z39paged_attention_ll4mi_QKV_mfma16_kernelIDF16_hLN4vllm18Fp8KVCacheDataTypeE1EDF16_Li32ELi128ELi256ELb1ELi9EL8MFMAType1EEvPKT_PKT0_S8_ifPKiSA_SA_iPKfiiiPfSD_PS3_PT2_iSC_SC_,"axG",@progbits,_Z39paged_attention_ll4mi_QKV_mfma16_kernelIDF16_hLN4vllm18Fp8KVCacheDataTypeE1EDF16_Li32ELi128ELi256ELb1ELi9EL8MFMAType1EEvPKT_PKT0_S8_ifPKiSA_SA_iPKfiiiPfSD_PS3_PT2_iSC_SC_,comdat
.Lfunc_end514:
	.size	_Z39paged_attention_ll4mi_QKV_mfma16_kernelIDF16_hLN4vllm18Fp8KVCacheDataTypeE1EDF16_Li32ELi128ELi256ELb1ELi9EL8MFMAType1EEvPKT_PKT0_S8_ifPKiSA_SA_iPKfiiiPfSD_PS3_PT2_iSC_SC_, .Lfunc_end514-_Z39paged_attention_ll4mi_QKV_mfma16_kernelIDF16_hLN4vllm18Fp8KVCacheDataTypeE1EDF16_Li32ELi128ELi256ELb1ELi9EL8MFMAType1EEvPKT_PKT0_S8_ifPKiSA_SA_iPKfiiiPfSD_PS3_PT2_iSC_SC_
                                        ; -- End function
	.section	.AMDGPU.csdata,"",@progbits
; Kernel info:
; codeLenInByte = 492
; NumSgprs: 40
; NumVgprs: 42
; NumAgprs: 1
; TotalNumVgprs: 45
; ScratchSize: 64
; MemoryBound: 0
; FloatMode: 240
; IeeeMode: 1
; LDSByteSize: 8192 bytes/workgroup (compile time only)
; SGPRBlocks: 4
; VGPRBlocks: 5
; NumSGPRsForWavesPerEU: 40
; NumVGPRsForWavesPerEU: 45
; AccumOffset: 44
; Occupancy: 8
; WaveLimiterHint : 1
; COMPUTE_PGM_RSRC2:SCRATCH_EN: 1
; COMPUTE_PGM_RSRC2:USER_SGPR: 8
; COMPUTE_PGM_RSRC2:TRAP_HANDLER: 0
; COMPUTE_PGM_RSRC2:TGID_X_EN: 1
; COMPUTE_PGM_RSRC2:TGID_Y_EN: 1
; COMPUTE_PGM_RSRC2:TGID_Z_EN: 1
; COMPUTE_PGM_RSRC2:TIDIG_COMP_CNT: 0
; COMPUTE_PGM_RSRC3_GFX90A:ACCUM_OFFSET: 10
; COMPUTE_PGM_RSRC3_GFX90A:TG_SPLIT: 0
	.section	.text._Z39paged_attention_ll4mi_QKV_mfma16_kernelIDF16_hLN4vllm18Fp8KVCacheDataTypeE1EDF16_Li32ELi128ELi256ELb1ELi10EL8MFMAType1EEvPKT_PKT0_S8_ifPKiSA_SA_iPKfiiiPfSD_PS3_PT2_iSC_SC_,"axG",@progbits,_Z39paged_attention_ll4mi_QKV_mfma16_kernelIDF16_hLN4vllm18Fp8KVCacheDataTypeE1EDF16_Li32ELi128ELi256ELb1ELi10EL8MFMAType1EEvPKT_PKT0_S8_ifPKiSA_SA_iPKfiiiPfSD_PS3_PT2_iSC_SC_,comdat
	.protected	_Z39paged_attention_ll4mi_QKV_mfma16_kernelIDF16_hLN4vllm18Fp8KVCacheDataTypeE1EDF16_Li32ELi128ELi256ELb1ELi10EL8MFMAType1EEvPKT_PKT0_S8_ifPKiSA_SA_iPKfiiiPfSD_PS3_PT2_iSC_SC_ ; -- Begin function _Z39paged_attention_ll4mi_QKV_mfma16_kernelIDF16_hLN4vllm18Fp8KVCacheDataTypeE1EDF16_Li32ELi128ELi256ELb1ELi10EL8MFMAType1EEvPKT_PKT0_S8_ifPKiSA_SA_iPKfiiiPfSD_PS3_PT2_iSC_SC_
	.globl	_Z39paged_attention_ll4mi_QKV_mfma16_kernelIDF16_hLN4vllm18Fp8KVCacheDataTypeE1EDF16_Li32ELi128ELi256ELb1ELi10EL8MFMAType1EEvPKT_PKT0_S8_ifPKiSA_SA_iPKfiiiPfSD_PS3_PT2_iSC_SC_
	.p2align	8
	.type	_Z39paged_attention_ll4mi_QKV_mfma16_kernelIDF16_hLN4vllm18Fp8KVCacheDataTypeE1EDF16_Li32ELi128ELi256ELb1ELi10EL8MFMAType1EEvPKT_PKT0_S8_ifPKiSA_SA_iPKfiiiPfSD_PS3_PT2_iSC_SC_,@function
_Z39paged_attention_ll4mi_QKV_mfma16_kernelIDF16_hLN4vllm18Fp8KVCacheDataTypeE1EDF16_Li32ELi128ELi256ELb1ELi10EL8MFMAType1EEvPKT_PKT0_S8_ifPKiSA_SA_iPKfiiiPfSD_PS3_PT2_iSC_SC_: ; @_Z39paged_attention_ll4mi_QKV_mfma16_kernelIDF16_hLN4vllm18Fp8KVCacheDataTypeE1EDF16_Li32ELi128ELi256ELb1ELi10EL8MFMAType1EEvPKT_PKT0_S8_ifPKiSA_SA_iPKfiiiPfSD_PS3_PT2_iSC_SC_
; %bb.0:
	s_load_dwordx2 s[12:13], s[4:5], 0x30
	s_add_u32 flat_scratch_lo, s6, s11
	s_addc_u32 flat_scratch_hi, s7, 0
	s_add_u32 s0, s0, s11
	s_addc_u32 s1, s1, 0
	s_waitcnt lgkmcnt(0)
	s_cmp_lg_u64 s[12:13], 0
	s_cselect_b64 s[14:15], -1, 0
	s_mov_b32 s6, s9
	s_mov_b64 s[16:17], 0
	s_and_b64 vcc, exec, s[14:15]
	s_mov_b32 s32, 0
	s_cbranch_vccz .LBB515_11
; %bb.1:
	s_add_i32 s18, s8, 1
	s_mov_b32 s19, 0
	s_lshl_b64 s[20:21], s[18:19], 2
	s_add_u32 s20, s12, s20
	s_mov_b32 s9, s19
	s_addc_u32 s21, s13, s21
	s_lshl_b64 s[18:19], s[8:9], 2
	s_add_u32 s18, s12, s18
	s_addc_u32 s19, s13, s19
	s_load_dword s7, s[20:21], 0x0
	s_load_dword s11, s[18:19], 0x0
	s_waitcnt lgkmcnt(0)
	s_sub_i32 s7, s7, s11
	s_cmp_eq_u32 s7, 1
	s_cselect_b64 s[18:19], -1, 0
	s_andn2_b64 vcc, exec, s[16:17]
	s_cbranch_vccnz .LBB515_3
.LBB515_2:
	s_mov_b32 s9, 0
	s_mov_b64 s[18:19], -1
.LBB515_3:
	s_andn2_b64 vcc, exec, s[18:19]
	s_cbranch_vccnz .LBB515_10
; %bb.4:
	s_load_dwordx2 s[18:19], s[4:5], 0x28
	s_lshl_b64 s[16:17], s[8:9], 2
	s_waitcnt lgkmcnt(0)
	s_add_u32 s18, s18, s16
	s_addc_u32 s19, s19, s17
	s_load_dword s7, s[18:19], 0x0
	s_lshl_b32 s6, s6, 8
	s_waitcnt lgkmcnt(0)
	s_cmp_ge_i32 s6, s7
	s_cbranch_scc1 .LBB515_10
; %bb.5:
	s_andn2_b64 vcc, exec, s[14:15]
	s_cbranch_vccnz .LBB515_7
; %bb.6:
	s_add_u32 s6, s12, s16
	s_addc_u32 s7, s13, s17
	s_load_dword s8, s[6:7], 0x0
.LBB515_7:
	s_movk_i32 s6, 0xa0
	v_cmp_gt_u32_e32 vcc, s6, v0
	s_and_saveexec_b64 s[6:7], vcc
	s_cbranch_execz .LBB515_9
; %bb.8:
	s_load_dword s11, s[4:5], 0x48
	s_load_dwordx2 s[12:13], s[4:5], 0x0
	v_lshrrev_b32_e32 v1, 4, v0
	s_mul_i32 s10, s10, 10
	v_add_lshl_u32 v2, v1, s10, 7
	s_waitcnt lgkmcnt(0)
	s_ashr_i32 s9, s11, 31
	s_mul_hi_u32 s14, s8, s11
	s_mul_i32 s9, s8, s9
	s_add_i32 s9, s14, s9
	s_mul_i32 s8, s8, s11
	s_lshl_b64 s[8:9], s[8:9], 1
	s_add_u32 s8, s12, s8
	v_ashrrev_i32_e32 v3, 31, v2
	s_addc_u32 s9, s13, s9
	v_lshlrev_b64 v[2:3], 1, v[2:3]
	v_and_b32_e32 v4, 15, v0
	v_mov_b32_e32 v5, s9
	v_add_co_u32_e32 v2, vcc, s8, v2
	v_addc_co_u32_e32 v3, vcc, v5, v3, vcc
	v_lshlrev_b32_e32 v4, 4, v4
	v_add_co_u32_e32 v2, vcc, v2, v4
	v_addc_co_u32_e32 v3, vcc, 0, v3, vcc
	global_load_dwordx4 v[2:5], v[2:3], off
	v_lshlrev_b32_e32 v6, 4, v0
	v_lshlrev_b32_e32 v0, 8, v0
	v_and_b32_e32 v6, 16, v6
	v_lshlrev_b32_e32 v1, 5, v1
	v_and_b32_e32 v0, 0xe00, v0
	v_or3_b32 v0, v0, v1, v6
	s_waitcnt vmcnt(0)
	ds_write_b128 v0, v[2:5]
.LBB515_9:
	s_or_b64 exec, exec, s[6:7]
	s_waitcnt lgkmcnt(0)
	s_add_u32 s8, s4, 0x90
	s_addc_u32 s9, s5, 0
	s_getpc_b64 s[4:5]
	s_add_u32 s4, s4, __PRETTY_FUNCTION__._Z39paged_attention_ll4mi_QKV_mfma16_kernelIDF16_hLN4vllm18Fp8KVCacheDataTypeE1EDF16_Li32ELi128ELi256ELb1ELi10EL8MFMAType1EEvPKT_PKT0_S8_ifPKiSA_SA_iPKfiiiPfSD_PS3_PT2_iSC_SC_@rel32@lo+4
	s_addc_u32 s5, s5, __PRETTY_FUNCTION__._Z39paged_attention_ll4mi_QKV_mfma16_kernelIDF16_hLN4vllm18Fp8KVCacheDataTypeE1EDF16_Li32ELi128ELi256ELb1ELi10EL8MFMAType1EEvPKT_PKT0_S8_ifPKiSA_SA_iPKfiiiPfSD_PS3_PT2_iSC_SC_@rel32@hi+12
	v_mov_b32_e32 v0, 0x288
	v_mov_b32_e32 v1, s4
	;; [unrolled: 1-line block ×3, first 2 shown]
	s_barrier
	s_getpc_b64 s[6:7]
	s_add_u32 s6, s6, __assert_fail@rel32@lo+4
	s_addc_u32 s7, s7, __assert_fail@rel32@hi+12
	s_swappc_b64 s[30:31], s[6:7]
	; divergent unreachable
.LBB515_10:
	s_endpgm
.LBB515_11:
	s_mov_b64 s[18:19], 0
	s_branch .LBB515_2
	.section	.rodata,"a",@progbits
	.p2align	6, 0x0
	.amdhsa_kernel _Z39paged_attention_ll4mi_QKV_mfma16_kernelIDF16_hLN4vllm18Fp8KVCacheDataTypeE1EDF16_Li32ELi128ELi256ELb1ELi10EL8MFMAType1EEvPKT_PKT0_S8_ifPKiSA_SA_iPKfiiiPfSD_PS3_PT2_iSC_SC_
		.amdhsa_group_segment_fixed_size 8192
		.amdhsa_private_segment_fixed_size 64
		.amdhsa_kernarg_size 400
		.amdhsa_user_sgpr_count 8
		.amdhsa_user_sgpr_private_segment_buffer 1
		.amdhsa_user_sgpr_dispatch_ptr 0
		.amdhsa_user_sgpr_queue_ptr 0
		.amdhsa_user_sgpr_kernarg_segment_ptr 1
		.amdhsa_user_sgpr_dispatch_id 0
		.amdhsa_user_sgpr_flat_scratch_init 1
		.amdhsa_user_sgpr_kernarg_preload_length 0
		.amdhsa_user_sgpr_kernarg_preload_offset 0
		.amdhsa_user_sgpr_private_segment_size 0
		.amdhsa_uses_dynamic_stack 0
		.amdhsa_system_sgpr_private_segment_wavefront_offset 1
		.amdhsa_system_sgpr_workgroup_id_x 1
		.amdhsa_system_sgpr_workgroup_id_y 1
		.amdhsa_system_sgpr_workgroup_id_z 1
		.amdhsa_system_sgpr_workgroup_info 0
		.amdhsa_system_vgpr_workitem_id 0
		.amdhsa_next_free_vgpr 45
		.amdhsa_next_free_sgpr 34
		.amdhsa_accum_offset 44
		.amdhsa_reserve_vcc 1
		.amdhsa_reserve_flat_scratch 1
		.amdhsa_float_round_mode_32 0
		.amdhsa_float_round_mode_16_64 0
		.amdhsa_float_denorm_mode_32 3
		.amdhsa_float_denorm_mode_16_64 3
		.amdhsa_dx10_clamp 1
		.amdhsa_ieee_mode 1
		.amdhsa_fp16_overflow 0
		.amdhsa_tg_split 0
		.amdhsa_exception_fp_ieee_invalid_op 0
		.amdhsa_exception_fp_denorm_src 0
		.amdhsa_exception_fp_ieee_div_zero 0
		.amdhsa_exception_fp_ieee_overflow 0
		.amdhsa_exception_fp_ieee_underflow 0
		.amdhsa_exception_fp_ieee_inexact 0
		.amdhsa_exception_int_div_zero 0
	.end_amdhsa_kernel
	.section	.text._Z39paged_attention_ll4mi_QKV_mfma16_kernelIDF16_hLN4vllm18Fp8KVCacheDataTypeE1EDF16_Li32ELi128ELi256ELb1ELi10EL8MFMAType1EEvPKT_PKT0_S8_ifPKiSA_SA_iPKfiiiPfSD_PS3_PT2_iSC_SC_,"axG",@progbits,_Z39paged_attention_ll4mi_QKV_mfma16_kernelIDF16_hLN4vllm18Fp8KVCacheDataTypeE1EDF16_Li32ELi128ELi256ELb1ELi10EL8MFMAType1EEvPKT_PKT0_S8_ifPKiSA_SA_iPKfiiiPfSD_PS3_PT2_iSC_SC_,comdat
.Lfunc_end515:
	.size	_Z39paged_attention_ll4mi_QKV_mfma16_kernelIDF16_hLN4vllm18Fp8KVCacheDataTypeE1EDF16_Li32ELi128ELi256ELb1ELi10EL8MFMAType1EEvPKT_PKT0_S8_ifPKiSA_SA_iPKfiiiPfSD_PS3_PT2_iSC_SC_, .Lfunc_end515-_Z39paged_attention_ll4mi_QKV_mfma16_kernelIDF16_hLN4vllm18Fp8KVCacheDataTypeE1EDF16_Li32ELi128ELi256ELb1ELi10EL8MFMAType1EEvPKT_PKT0_S8_ifPKiSA_SA_iPKfiiiPfSD_PS3_PT2_iSC_SC_
                                        ; -- End function
	.section	.AMDGPU.csdata,"",@progbits
; Kernel info:
; codeLenInByte = 492
; NumSgprs: 40
; NumVgprs: 42
; NumAgprs: 1
; TotalNumVgprs: 45
; ScratchSize: 64
; MemoryBound: 0
; FloatMode: 240
; IeeeMode: 1
; LDSByteSize: 8192 bytes/workgroup (compile time only)
; SGPRBlocks: 4
; VGPRBlocks: 5
; NumSGPRsForWavesPerEU: 40
; NumVGPRsForWavesPerEU: 45
; AccumOffset: 44
; Occupancy: 8
; WaveLimiterHint : 1
; COMPUTE_PGM_RSRC2:SCRATCH_EN: 1
; COMPUTE_PGM_RSRC2:USER_SGPR: 8
; COMPUTE_PGM_RSRC2:TRAP_HANDLER: 0
; COMPUTE_PGM_RSRC2:TGID_X_EN: 1
; COMPUTE_PGM_RSRC2:TGID_Y_EN: 1
; COMPUTE_PGM_RSRC2:TGID_Z_EN: 1
; COMPUTE_PGM_RSRC2:TIDIG_COMP_CNT: 0
; COMPUTE_PGM_RSRC3_GFX90A:ACCUM_OFFSET: 10
; COMPUTE_PGM_RSRC3_GFX90A:TG_SPLIT: 0
	.section	.text._Z39paged_attention_ll4mi_QKV_mfma16_kernelIDF16_hLN4vllm18Fp8KVCacheDataTypeE1EDF16_Li32ELi128ELi256ELb1ELi11EL8MFMAType1EEvPKT_PKT0_S8_ifPKiSA_SA_iPKfiiiPfSD_PS3_PT2_iSC_SC_,"axG",@progbits,_Z39paged_attention_ll4mi_QKV_mfma16_kernelIDF16_hLN4vllm18Fp8KVCacheDataTypeE1EDF16_Li32ELi128ELi256ELb1ELi11EL8MFMAType1EEvPKT_PKT0_S8_ifPKiSA_SA_iPKfiiiPfSD_PS3_PT2_iSC_SC_,comdat
	.protected	_Z39paged_attention_ll4mi_QKV_mfma16_kernelIDF16_hLN4vllm18Fp8KVCacheDataTypeE1EDF16_Li32ELi128ELi256ELb1ELi11EL8MFMAType1EEvPKT_PKT0_S8_ifPKiSA_SA_iPKfiiiPfSD_PS3_PT2_iSC_SC_ ; -- Begin function _Z39paged_attention_ll4mi_QKV_mfma16_kernelIDF16_hLN4vllm18Fp8KVCacheDataTypeE1EDF16_Li32ELi128ELi256ELb1ELi11EL8MFMAType1EEvPKT_PKT0_S8_ifPKiSA_SA_iPKfiiiPfSD_PS3_PT2_iSC_SC_
	.globl	_Z39paged_attention_ll4mi_QKV_mfma16_kernelIDF16_hLN4vllm18Fp8KVCacheDataTypeE1EDF16_Li32ELi128ELi256ELb1ELi11EL8MFMAType1EEvPKT_PKT0_S8_ifPKiSA_SA_iPKfiiiPfSD_PS3_PT2_iSC_SC_
	.p2align	8
	.type	_Z39paged_attention_ll4mi_QKV_mfma16_kernelIDF16_hLN4vllm18Fp8KVCacheDataTypeE1EDF16_Li32ELi128ELi256ELb1ELi11EL8MFMAType1EEvPKT_PKT0_S8_ifPKiSA_SA_iPKfiiiPfSD_PS3_PT2_iSC_SC_,@function
_Z39paged_attention_ll4mi_QKV_mfma16_kernelIDF16_hLN4vllm18Fp8KVCacheDataTypeE1EDF16_Li32ELi128ELi256ELb1ELi11EL8MFMAType1EEvPKT_PKT0_S8_ifPKiSA_SA_iPKfiiiPfSD_PS3_PT2_iSC_SC_: ; @_Z39paged_attention_ll4mi_QKV_mfma16_kernelIDF16_hLN4vllm18Fp8KVCacheDataTypeE1EDF16_Li32ELi128ELi256ELb1ELi11EL8MFMAType1EEvPKT_PKT0_S8_ifPKiSA_SA_iPKfiiiPfSD_PS3_PT2_iSC_SC_
; %bb.0:
	s_load_dwordx2 s[12:13], s[4:5], 0x30
	s_add_u32 flat_scratch_lo, s6, s11
	s_addc_u32 flat_scratch_hi, s7, 0
	s_add_u32 s0, s0, s11
	s_addc_u32 s1, s1, 0
	s_waitcnt lgkmcnt(0)
	s_cmp_lg_u64 s[12:13], 0
	s_cselect_b64 s[14:15], -1, 0
	s_mov_b32 s6, s9
	s_mov_b64 s[16:17], 0
	s_and_b64 vcc, exec, s[14:15]
	s_mov_b32 s32, 0
	s_cbranch_vccz .LBB516_11
; %bb.1:
	s_add_i32 s18, s8, 1
	s_mov_b32 s19, 0
	s_lshl_b64 s[20:21], s[18:19], 2
	s_add_u32 s20, s12, s20
	s_mov_b32 s9, s19
	s_addc_u32 s21, s13, s21
	s_lshl_b64 s[18:19], s[8:9], 2
	s_add_u32 s18, s12, s18
	s_addc_u32 s19, s13, s19
	s_load_dword s7, s[20:21], 0x0
	s_load_dword s11, s[18:19], 0x0
	s_waitcnt lgkmcnt(0)
	s_sub_i32 s7, s7, s11
	s_cmp_eq_u32 s7, 1
	s_cselect_b64 s[18:19], -1, 0
	s_andn2_b64 vcc, exec, s[16:17]
	s_cbranch_vccnz .LBB516_3
.LBB516_2:
	s_mov_b32 s9, 0
	s_mov_b64 s[18:19], -1
.LBB516_3:
	s_andn2_b64 vcc, exec, s[18:19]
	s_cbranch_vccnz .LBB516_10
; %bb.4:
	s_load_dwordx2 s[18:19], s[4:5], 0x28
	s_lshl_b64 s[16:17], s[8:9], 2
	s_waitcnt lgkmcnt(0)
	s_add_u32 s18, s18, s16
	s_addc_u32 s19, s19, s17
	s_load_dword s7, s[18:19], 0x0
	s_lshl_b32 s6, s6, 8
	s_waitcnt lgkmcnt(0)
	s_cmp_ge_i32 s6, s7
	s_cbranch_scc1 .LBB516_10
; %bb.5:
	s_andn2_b64 vcc, exec, s[14:15]
	s_cbranch_vccnz .LBB516_7
; %bb.6:
	s_add_u32 s6, s12, s16
	s_addc_u32 s7, s13, s17
	s_load_dword s8, s[6:7], 0x0
.LBB516_7:
	s_movk_i32 s6, 0xb0
	v_cmp_gt_u32_e32 vcc, s6, v0
	s_and_saveexec_b64 s[6:7], vcc
	s_cbranch_execz .LBB516_9
; %bb.8:
	s_load_dword s11, s[4:5], 0x48
	s_load_dwordx2 s[12:13], s[4:5], 0x0
	v_lshrrev_b32_e32 v1, 4, v0
	s_mul_i32 s10, s10, 11
	v_add_lshl_u32 v2, v1, s10, 7
	s_waitcnt lgkmcnt(0)
	s_ashr_i32 s9, s11, 31
	s_mul_hi_u32 s14, s8, s11
	s_mul_i32 s9, s8, s9
	s_add_i32 s9, s14, s9
	s_mul_i32 s8, s8, s11
	s_lshl_b64 s[8:9], s[8:9], 1
	s_add_u32 s8, s12, s8
	v_ashrrev_i32_e32 v3, 31, v2
	s_addc_u32 s9, s13, s9
	v_lshlrev_b64 v[2:3], 1, v[2:3]
	v_and_b32_e32 v4, 15, v0
	v_mov_b32_e32 v5, s9
	v_add_co_u32_e32 v2, vcc, s8, v2
	v_addc_co_u32_e32 v3, vcc, v5, v3, vcc
	v_lshlrev_b32_e32 v4, 4, v4
	v_add_co_u32_e32 v2, vcc, v2, v4
	v_addc_co_u32_e32 v3, vcc, 0, v3, vcc
	global_load_dwordx4 v[2:5], v[2:3], off
	v_lshlrev_b32_e32 v6, 4, v0
	v_lshlrev_b32_e32 v0, 8, v0
	v_and_b32_e32 v6, 16, v6
	v_lshlrev_b32_e32 v1, 5, v1
	v_and_b32_e32 v0, 0xe00, v0
	v_or3_b32 v0, v0, v1, v6
	s_waitcnt vmcnt(0)
	ds_write_b128 v0, v[2:5]
.LBB516_9:
	s_or_b64 exec, exec, s[6:7]
	s_waitcnt lgkmcnt(0)
	s_add_u32 s8, s4, 0x90
	s_addc_u32 s9, s5, 0
	s_getpc_b64 s[4:5]
	s_add_u32 s4, s4, __PRETTY_FUNCTION__._Z39paged_attention_ll4mi_QKV_mfma16_kernelIDF16_hLN4vllm18Fp8KVCacheDataTypeE1EDF16_Li32ELi128ELi256ELb1ELi11EL8MFMAType1EEvPKT_PKT0_S8_ifPKiSA_SA_iPKfiiiPfSD_PS3_PT2_iSC_SC_@rel32@lo+4
	s_addc_u32 s5, s5, __PRETTY_FUNCTION__._Z39paged_attention_ll4mi_QKV_mfma16_kernelIDF16_hLN4vllm18Fp8KVCacheDataTypeE1EDF16_Li32ELi128ELi256ELb1ELi11EL8MFMAType1EEvPKT_PKT0_S8_ifPKiSA_SA_iPKfiiiPfSD_PS3_PT2_iSC_SC_@rel32@hi+12
	v_mov_b32_e32 v0, 0x288
	v_mov_b32_e32 v1, s4
	;; [unrolled: 1-line block ×3, first 2 shown]
	s_barrier
	s_getpc_b64 s[6:7]
	s_add_u32 s6, s6, __assert_fail@rel32@lo+4
	s_addc_u32 s7, s7, __assert_fail@rel32@hi+12
	s_swappc_b64 s[30:31], s[6:7]
	; divergent unreachable
.LBB516_10:
	s_endpgm
.LBB516_11:
	s_mov_b64 s[18:19], 0
	s_branch .LBB516_2
	.section	.rodata,"a",@progbits
	.p2align	6, 0x0
	.amdhsa_kernel _Z39paged_attention_ll4mi_QKV_mfma16_kernelIDF16_hLN4vllm18Fp8KVCacheDataTypeE1EDF16_Li32ELi128ELi256ELb1ELi11EL8MFMAType1EEvPKT_PKT0_S8_ifPKiSA_SA_iPKfiiiPfSD_PS3_PT2_iSC_SC_
		.amdhsa_group_segment_fixed_size 8192
		.amdhsa_private_segment_fixed_size 64
		.amdhsa_kernarg_size 400
		.amdhsa_user_sgpr_count 8
		.amdhsa_user_sgpr_private_segment_buffer 1
		.amdhsa_user_sgpr_dispatch_ptr 0
		.amdhsa_user_sgpr_queue_ptr 0
		.amdhsa_user_sgpr_kernarg_segment_ptr 1
		.amdhsa_user_sgpr_dispatch_id 0
		.amdhsa_user_sgpr_flat_scratch_init 1
		.amdhsa_user_sgpr_kernarg_preload_length 0
		.amdhsa_user_sgpr_kernarg_preload_offset 0
		.amdhsa_user_sgpr_private_segment_size 0
		.amdhsa_uses_dynamic_stack 0
		.amdhsa_system_sgpr_private_segment_wavefront_offset 1
		.amdhsa_system_sgpr_workgroup_id_x 1
		.amdhsa_system_sgpr_workgroup_id_y 1
		.amdhsa_system_sgpr_workgroup_id_z 1
		.amdhsa_system_sgpr_workgroup_info 0
		.amdhsa_system_vgpr_workitem_id 0
		.amdhsa_next_free_vgpr 45
		.amdhsa_next_free_sgpr 34
		.amdhsa_accum_offset 44
		.amdhsa_reserve_vcc 1
		.amdhsa_reserve_flat_scratch 1
		.amdhsa_float_round_mode_32 0
		.amdhsa_float_round_mode_16_64 0
		.amdhsa_float_denorm_mode_32 3
		.amdhsa_float_denorm_mode_16_64 3
		.amdhsa_dx10_clamp 1
		.amdhsa_ieee_mode 1
		.amdhsa_fp16_overflow 0
		.amdhsa_tg_split 0
		.amdhsa_exception_fp_ieee_invalid_op 0
		.amdhsa_exception_fp_denorm_src 0
		.amdhsa_exception_fp_ieee_div_zero 0
		.amdhsa_exception_fp_ieee_overflow 0
		.amdhsa_exception_fp_ieee_underflow 0
		.amdhsa_exception_fp_ieee_inexact 0
		.amdhsa_exception_int_div_zero 0
	.end_amdhsa_kernel
	.section	.text._Z39paged_attention_ll4mi_QKV_mfma16_kernelIDF16_hLN4vllm18Fp8KVCacheDataTypeE1EDF16_Li32ELi128ELi256ELb1ELi11EL8MFMAType1EEvPKT_PKT0_S8_ifPKiSA_SA_iPKfiiiPfSD_PS3_PT2_iSC_SC_,"axG",@progbits,_Z39paged_attention_ll4mi_QKV_mfma16_kernelIDF16_hLN4vllm18Fp8KVCacheDataTypeE1EDF16_Li32ELi128ELi256ELb1ELi11EL8MFMAType1EEvPKT_PKT0_S8_ifPKiSA_SA_iPKfiiiPfSD_PS3_PT2_iSC_SC_,comdat
.Lfunc_end516:
	.size	_Z39paged_attention_ll4mi_QKV_mfma16_kernelIDF16_hLN4vllm18Fp8KVCacheDataTypeE1EDF16_Li32ELi128ELi256ELb1ELi11EL8MFMAType1EEvPKT_PKT0_S8_ifPKiSA_SA_iPKfiiiPfSD_PS3_PT2_iSC_SC_, .Lfunc_end516-_Z39paged_attention_ll4mi_QKV_mfma16_kernelIDF16_hLN4vllm18Fp8KVCacheDataTypeE1EDF16_Li32ELi128ELi256ELb1ELi11EL8MFMAType1EEvPKT_PKT0_S8_ifPKiSA_SA_iPKfiiiPfSD_PS3_PT2_iSC_SC_
                                        ; -- End function
	.section	.AMDGPU.csdata,"",@progbits
; Kernel info:
; codeLenInByte = 492
; NumSgprs: 40
; NumVgprs: 42
; NumAgprs: 1
; TotalNumVgprs: 45
; ScratchSize: 64
; MemoryBound: 0
; FloatMode: 240
; IeeeMode: 1
; LDSByteSize: 8192 bytes/workgroup (compile time only)
; SGPRBlocks: 4
; VGPRBlocks: 5
; NumSGPRsForWavesPerEU: 40
; NumVGPRsForWavesPerEU: 45
; AccumOffset: 44
; Occupancy: 8
; WaveLimiterHint : 1
; COMPUTE_PGM_RSRC2:SCRATCH_EN: 1
; COMPUTE_PGM_RSRC2:USER_SGPR: 8
; COMPUTE_PGM_RSRC2:TRAP_HANDLER: 0
; COMPUTE_PGM_RSRC2:TGID_X_EN: 1
; COMPUTE_PGM_RSRC2:TGID_Y_EN: 1
; COMPUTE_PGM_RSRC2:TGID_Z_EN: 1
; COMPUTE_PGM_RSRC2:TIDIG_COMP_CNT: 0
; COMPUTE_PGM_RSRC3_GFX90A:ACCUM_OFFSET: 10
; COMPUTE_PGM_RSRC3_GFX90A:TG_SPLIT: 0
	.section	.text._Z39paged_attention_ll4mi_QKV_mfma16_kernelIDF16_hLN4vllm18Fp8KVCacheDataTypeE1EDF16_Li32ELi128ELi256ELb1ELi12EL8MFMAType1EEvPKT_PKT0_S8_ifPKiSA_SA_iPKfiiiPfSD_PS3_PT2_iSC_SC_,"axG",@progbits,_Z39paged_attention_ll4mi_QKV_mfma16_kernelIDF16_hLN4vllm18Fp8KVCacheDataTypeE1EDF16_Li32ELi128ELi256ELb1ELi12EL8MFMAType1EEvPKT_PKT0_S8_ifPKiSA_SA_iPKfiiiPfSD_PS3_PT2_iSC_SC_,comdat
	.protected	_Z39paged_attention_ll4mi_QKV_mfma16_kernelIDF16_hLN4vllm18Fp8KVCacheDataTypeE1EDF16_Li32ELi128ELi256ELb1ELi12EL8MFMAType1EEvPKT_PKT0_S8_ifPKiSA_SA_iPKfiiiPfSD_PS3_PT2_iSC_SC_ ; -- Begin function _Z39paged_attention_ll4mi_QKV_mfma16_kernelIDF16_hLN4vllm18Fp8KVCacheDataTypeE1EDF16_Li32ELi128ELi256ELb1ELi12EL8MFMAType1EEvPKT_PKT0_S8_ifPKiSA_SA_iPKfiiiPfSD_PS3_PT2_iSC_SC_
	.globl	_Z39paged_attention_ll4mi_QKV_mfma16_kernelIDF16_hLN4vllm18Fp8KVCacheDataTypeE1EDF16_Li32ELi128ELi256ELb1ELi12EL8MFMAType1EEvPKT_PKT0_S8_ifPKiSA_SA_iPKfiiiPfSD_PS3_PT2_iSC_SC_
	.p2align	8
	.type	_Z39paged_attention_ll4mi_QKV_mfma16_kernelIDF16_hLN4vllm18Fp8KVCacheDataTypeE1EDF16_Li32ELi128ELi256ELb1ELi12EL8MFMAType1EEvPKT_PKT0_S8_ifPKiSA_SA_iPKfiiiPfSD_PS3_PT2_iSC_SC_,@function
_Z39paged_attention_ll4mi_QKV_mfma16_kernelIDF16_hLN4vllm18Fp8KVCacheDataTypeE1EDF16_Li32ELi128ELi256ELb1ELi12EL8MFMAType1EEvPKT_PKT0_S8_ifPKiSA_SA_iPKfiiiPfSD_PS3_PT2_iSC_SC_: ; @_Z39paged_attention_ll4mi_QKV_mfma16_kernelIDF16_hLN4vllm18Fp8KVCacheDataTypeE1EDF16_Li32ELi128ELi256ELb1ELi12EL8MFMAType1EEvPKT_PKT0_S8_ifPKiSA_SA_iPKfiiiPfSD_PS3_PT2_iSC_SC_
; %bb.0:
	s_load_dwordx2 s[12:13], s[4:5], 0x30
	s_add_u32 flat_scratch_lo, s6, s11
	s_addc_u32 flat_scratch_hi, s7, 0
	s_add_u32 s0, s0, s11
	s_addc_u32 s1, s1, 0
	s_waitcnt lgkmcnt(0)
	s_cmp_lg_u64 s[12:13], 0
	s_cselect_b64 s[14:15], -1, 0
	s_mov_b32 s6, s9
	s_mov_b64 s[16:17], 0
	s_and_b64 vcc, exec, s[14:15]
	s_mov_b32 s32, 0
	s_cbranch_vccz .LBB517_11
; %bb.1:
	s_add_i32 s18, s8, 1
	s_mov_b32 s19, 0
	s_lshl_b64 s[20:21], s[18:19], 2
	s_add_u32 s20, s12, s20
	s_mov_b32 s9, s19
	s_addc_u32 s21, s13, s21
	s_lshl_b64 s[18:19], s[8:9], 2
	s_add_u32 s18, s12, s18
	s_addc_u32 s19, s13, s19
	s_load_dword s7, s[20:21], 0x0
	s_load_dword s11, s[18:19], 0x0
	s_waitcnt lgkmcnt(0)
	s_sub_i32 s7, s7, s11
	s_cmp_eq_u32 s7, 1
	s_cselect_b64 s[18:19], -1, 0
	s_andn2_b64 vcc, exec, s[16:17]
	s_cbranch_vccnz .LBB517_3
.LBB517_2:
	s_mov_b32 s9, 0
	s_mov_b64 s[18:19], -1
.LBB517_3:
	s_andn2_b64 vcc, exec, s[18:19]
	s_cbranch_vccnz .LBB517_10
; %bb.4:
	s_load_dwordx2 s[18:19], s[4:5], 0x28
	s_lshl_b64 s[16:17], s[8:9], 2
	s_waitcnt lgkmcnt(0)
	s_add_u32 s18, s18, s16
	s_addc_u32 s19, s19, s17
	s_load_dword s7, s[18:19], 0x0
	s_lshl_b32 s6, s6, 8
	s_waitcnt lgkmcnt(0)
	s_cmp_ge_i32 s6, s7
	s_cbranch_scc1 .LBB517_10
; %bb.5:
	s_andn2_b64 vcc, exec, s[14:15]
	s_cbranch_vccnz .LBB517_7
; %bb.6:
	s_add_u32 s6, s12, s16
	s_addc_u32 s7, s13, s17
	s_load_dword s8, s[6:7], 0x0
.LBB517_7:
	s_movk_i32 s6, 0xc0
	v_cmp_gt_u32_e32 vcc, s6, v0
	s_and_saveexec_b64 s[6:7], vcc
	s_cbranch_execz .LBB517_9
; %bb.8:
	s_load_dword s11, s[4:5], 0x48
	s_load_dwordx2 s[12:13], s[4:5], 0x0
	v_lshrrev_b32_e32 v1, 4, v0
	s_mul_i32 s10, s10, 12
	v_add_lshl_u32 v2, v1, s10, 7
	s_waitcnt lgkmcnt(0)
	s_ashr_i32 s9, s11, 31
	s_mul_hi_u32 s14, s8, s11
	s_mul_i32 s9, s8, s9
	s_add_i32 s9, s14, s9
	s_mul_i32 s8, s8, s11
	s_lshl_b64 s[8:9], s[8:9], 1
	s_add_u32 s8, s12, s8
	v_ashrrev_i32_e32 v3, 31, v2
	s_addc_u32 s9, s13, s9
	v_lshlrev_b64 v[2:3], 1, v[2:3]
	v_and_b32_e32 v4, 15, v0
	v_mov_b32_e32 v5, s9
	v_add_co_u32_e32 v2, vcc, s8, v2
	v_addc_co_u32_e32 v3, vcc, v5, v3, vcc
	v_lshlrev_b32_e32 v4, 4, v4
	v_add_co_u32_e32 v2, vcc, v2, v4
	v_addc_co_u32_e32 v3, vcc, 0, v3, vcc
	global_load_dwordx4 v[2:5], v[2:3], off
	v_lshlrev_b32_e32 v6, 4, v0
	v_lshlrev_b32_e32 v0, 8, v0
	v_and_b32_e32 v6, 16, v6
	v_lshlrev_b32_e32 v1, 5, v1
	v_and_b32_e32 v0, 0xe00, v0
	v_or3_b32 v0, v0, v1, v6
	s_waitcnt vmcnt(0)
	ds_write_b128 v0, v[2:5]
.LBB517_9:
	s_or_b64 exec, exec, s[6:7]
	s_waitcnt lgkmcnt(0)
	s_add_u32 s8, s4, 0x90
	s_addc_u32 s9, s5, 0
	s_getpc_b64 s[4:5]
	s_add_u32 s4, s4, __PRETTY_FUNCTION__._Z39paged_attention_ll4mi_QKV_mfma16_kernelIDF16_hLN4vllm18Fp8KVCacheDataTypeE1EDF16_Li32ELi128ELi256ELb1ELi12EL8MFMAType1EEvPKT_PKT0_S8_ifPKiSA_SA_iPKfiiiPfSD_PS3_PT2_iSC_SC_@rel32@lo+4
	s_addc_u32 s5, s5, __PRETTY_FUNCTION__._Z39paged_attention_ll4mi_QKV_mfma16_kernelIDF16_hLN4vllm18Fp8KVCacheDataTypeE1EDF16_Li32ELi128ELi256ELb1ELi12EL8MFMAType1EEvPKT_PKT0_S8_ifPKiSA_SA_iPKfiiiPfSD_PS3_PT2_iSC_SC_@rel32@hi+12
	v_mov_b32_e32 v0, 0x288
	v_mov_b32_e32 v1, s4
	;; [unrolled: 1-line block ×3, first 2 shown]
	s_barrier
	s_getpc_b64 s[6:7]
	s_add_u32 s6, s6, __assert_fail@rel32@lo+4
	s_addc_u32 s7, s7, __assert_fail@rel32@hi+12
	s_swappc_b64 s[30:31], s[6:7]
	; divergent unreachable
.LBB517_10:
	s_endpgm
.LBB517_11:
	s_mov_b64 s[18:19], 0
	s_branch .LBB517_2
	.section	.rodata,"a",@progbits
	.p2align	6, 0x0
	.amdhsa_kernel _Z39paged_attention_ll4mi_QKV_mfma16_kernelIDF16_hLN4vllm18Fp8KVCacheDataTypeE1EDF16_Li32ELi128ELi256ELb1ELi12EL8MFMAType1EEvPKT_PKT0_S8_ifPKiSA_SA_iPKfiiiPfSD_PS3_PT2_iSC_SC_
		.amdhsa_group_segment_fixed_size 8192
		.amdhsa_private_segment_fixed_size 64
		.amdhsa_kernarg_size 400
		.amdhsa_user_sgpr_count 8
		.amdhsa_user_sgpr_private_segment_buffer 1
		.amdhsa_user_sgpr_dispatch_ptr 0
		.amdhsa_user_sgpr_queue_ptr 0
		.amdhsa_user_sgpr_kernarg_segment_ptr 1
		.amdhsa_user_sgpr_dispatch_id 0
		.amdhsa_user_sgpr_flat_scratch_init 1
		.amdhsa_user_sgpr_kernarg_preload_length 0
		.amdhsa_user_sgpr_kernarg_preload_offset 0
		.amdhsa_user_sgpr_private_segment_size 0
		.amdhsa_uses_dynamic_stack 0
		.amdhsa_system_sgpr_private_segment_wavefront_offset 1
		.amdhsa_system_sgpr_workgroup_id_x 1
		.amdhsa_system_sgpr_workgroup_id_y 1
		.amdhsa_system_sgpr_workgroup_id_z 1
		.amdhsa_system_sgpr_workgroup_info 0
		.amdhsa_system_vgpr_workitem_id 0
		.amdhsa_next_free_vgpr 45
		.amdhsa_next_free_sgpr 34
		.amdhsa_accum_offset 44
		.amdhsa_reserve_vcc 1
		.amdhsa_reserve_flat_scratch 1
		.amdhsa_float_round_mode_32 0
		.amdhsa_float_round_mode_16_64 0
		.amdhsa_float_denorm_mode_32 3
		.amdhsa_float_denorm_mode_16_64 3
		.amdhsa_dx10_clamp 1
		.amdhsa_ieee_mode 1
		.amdhsa_fp16_overflow 0
		.amdhsa_tg_split 0
		.amdhsa_exception_fp_ieee_invalid_op 0
		.amdhsa_exception_fp_denorm_src 0
		.amdhsa_exception_fp_ieee_div_zero 0
		.amdhsa_exception_fp_ieee_overflow 0
		.amdhsa_exception_fp_ieee_underflow 0
		.amdhsa_exception_fp_ieee_inexact 0
		.amdhsa_exception_int_div_zero 0
	.end_amdhsa_kernel
	.section	.text._Z39paged_attention_ll4mi_QKV_mfma16_kernelIDF16_hLN4vllm18Fp8KVCacheDataTypeE1EDF16_Li32ELi128ELi256ELb1ELi12EL8MFMAType1EEvPKT_PKT0_S8_ifPKiSA_SA_iPKfiiiPfSD_PS3_PT2_iSC_SC_,"axG",@progbits,_Z39paged_attention_ll4mi_QKV_mfma16_kernelIDF16_hLN4vllm18Fp8KVCacheDataTypeE1EDF16_Li32ELi128ELi256ELb1ELi12EL8MFMAType1EEvPKT_PKT0_S8_ifPKiSA_SA_iPKfiiiPfSD_PS3_PT2_iSC_SC_,comdat
.Lfunc_end517:
	.size	_Z39paged_attention_ll4mi_QKV_mfma16_kernelIDF16_hLN4vllm18Fp8KVCacheDataTypeE1EDF16_Li32ELi128ELi256ELb1ELi12EL8MFMAType1EEvPKT_PKT0_S8_ifPKiSA_SA_iPKfiiiPfSD_PS3_PT2_iSC_SC_, .Lfunc_end517-_Z39paged_attention_ll4mi_QKV_mfma16_kernelIDF16_hLN4vllm18Fp8KVCacheDataTypeE1EDF16_Li32ELi128ELi256ELb1ELi12EL8MFMAType1EEvPKT_PKT0_S8_ifPKiSA_SA_iPKfiiiPfSD_PS3_PT2_iSC_SC_
                                        ; -- End function
	.section	.AMDGPU.csdata,"",@progbits
; Kernel info:
; codeLenInByte = 492
; NumSgprs: 40
; NumVgprs: 42
; NumAgprs: 1
; TotalNumVgprs: 45
; ScratchSize: 64
; MemoryBound: 0
; FloatMode: 240
; IeeeMode: 1
; LDSByteSize: 8192 bytes/workgroup (compile time only)
; SGPRBlocks: 4
; VGPRBlocks: 5
; NumSGPRsForWavesPerEU: 40
; NumVGPRsForWavesPerEU: 45
; AccumOffset: 44
; Occupancy: 8
; WaveLimiterHint : 1
; COMPUTE_PGM_RSRC2:SCRATCH_EN: 1
; COMPUTE_PGM_RSRC2:USER_SGPR: 8
; COMPUTE_PGM_RSRC2:TRAP_HANDLER: 0
; COMPUTE_PGM_RSRC2:TGID_X_EN: 1
; COMPUTE_PGM_RSRC2:TGID_Y_EN: 1
; COMPUTE_PGM_RSRC2:TGID_Z_EN: 1
; COMPUTE_PGM_RSRC2:TIDIG_COMP_CNT: 0
; COMPUTE_PGM_RSRC3_GFX90A:ACCUM_OFFSET: 10
; COMPUTE_PGM_RSRC3_GFX90A:TG_SPLIT: 0
	.section	.text._Z39paged_attention_ll4mi_QKV_mfma16_kernelIDF16_hLN4vllm18Fp8KVCacheDataTypeE1EDF16_Li32ELi128ELi256ELb1ELi13EL8MFMAType1EEvPKT_PKT0_S8_ifPKiSA_SA_iPKfiiiPfSD_PS3_PT2_iSC_SC_,"axG",@progbits,_Z39paged_attention_ll4mi_QKV_mfma16_kernelIDF16_hLN4vllm18Fp8KVCacheDataTypeE1EDF16_Li32ELi128ELi256ELb1ELi13EL8MFMAType1EEvPKT_PKT0_S8_ifPKiSA_SA_iPKfiiiPfSD_PS3_PT2_iSC_SC_,comdat
	.protected	_Z39paged_attention_ll4mi_QKV_mfma16_kernelIDF16_hLN4vllm18Fp8KVCacheDataTypeE1EDF16_Li32ELi128ELi256ELb1ELi13EL8MFMAType1EEvPKT_PKT0_S8_ifPKiSA_SA_iPKfiiiPfSD_PS3_PT2_iSC_SC_ ; -- Begin function _Z39paged_attention_ll4mi_QKV_mfma16_kernelIDF16_hLN4vllm18Fp8KVCacheDataTypeE1EDF16_Li32ELi128ELi256ELb1ELi13EL8MFMAType1EEvPKT_PKT0_S8_ifPKiSA_SA_iPKfiiiPfSD_PS3_PT2_iSC_SC_
	.globl	_Z39paged_attention_ll4mi_QKV_mfma16_kernelIDF16_hLN4vllm18Fp8KVCacheDataTypeE1EDF16_Li32ELi128ELi256ELb1ELi13EL8MFMAType1EEvPKT_PKT0_S8_ifPKiSA_SA_iPKfiiiPfSD_PS3_PT2_iSC_SC_
	.p2align	8
	.type	_Z39paged_attention_ll4mi_QKV_mfma16_kernelIDF16_hLN4vllm18Fp8KVCacheDataTypeE1EDF16_Li32ELi128ELi256ELb1ELi13EL8MFMAType1EEvPKT_PKT0_S8_ifPKiSA_SA_iPKfiiiPfSD_PS3_PT2_iSC_SC_,@function
_Z39paged_attention_ll4mi_QKV_mfma16_kernelIDF16_hLN4vllm18Fp8KVCacheDataTypeE1EDF16_Li32ELi128ELi256ELb1ELi13EL8MFMAType1EEvPKT_PKT0_S8_ifPKiSA_SA_iPKfiiiPfSD_PS3_PT2_iSC_SC_: ; @_Z39paged_attention_ll4mi_QKV_mfma16_kernelIDF16_hLN4vllm18Fp8KVCacheDataTypeE1EDF16_Li32ELi128ELi256ELb1ELi13EL8MFMAType1EEvPKT_PKT0_S8_ifPKiSA_SA_iPKfiiiPfSD_PS3_PT2_iSC_SC_
; %bb.0:
	s_load_dwordx2 s[12:13], s[4:5], 0x30
	s_add_u32 flat_scratch_lo, s6, s11
	s_addc_u32 flat_scratch_hi, s7, 0
	s_add_u32 s0, s0, s11
	s_addc_u32 s1, s1, 0
	s_waitcnt lgkmcnt(0)
	s_cmp_lg_u64 s[12:13], 0
	s_cselect_b64 s[14:15], -1, 0
	s_mov_b32 s6, s9
	s_mov_b64 s[16:17], 0
	s_and_b64 vcc, exec, s[14:15]
	s_mov_b32 s32, 0
	s_cbranch_vccz .LBB518_11
; %bb.1:
	s_add_i32 s18, s8, 1
	s_mov_b32 s19, 0
	s_lshl_b64 s[20:21], s[18:19], 2
	s_add_u32 s20, s12, s20
	s_mov_b32 s9, s19
	s_addc_u32 s21, s13, s21
	s_lshl_b64 s[18:19], s[8:9], 2
	s_add_u32 s18, s12, s18
	s_addc_u32 s19, s13, s19
	s_load_dword s7, s[20:21], 0x0
	s_load_dword s11, s[18:19], 0x0
	s_waitcnt lgkmcnt(0)
	s_sub_i32 s7, s7, s11
	s_cmp_eq_u32 s7, 1
	s_cselect_b64 s[18:19], -1, 0
	s_andn2_b64 vcc, exec, s[16:17]
	s_cbranch_vccnz .LBB518_3
.LBB518_2:
	s_mov_b32 s9, 0
	s_mov_b64 s[18:19], -1
.LBB518_3:
	s_andn2_b64 vcc, exec, s[18:19]
	s_cbranch_vccnz .LBB518_10
; %bb.4:
	s_load_dwordx2 s[18:19], s[4:5], 0x28
	s_lshl_b64 s[16:17], s[8:9], 2
	s_waitcnt lgkmcnt(0)
	s_add_u32 s18, s18, s16
	s_addc_u32 s19, s19, s17
	s_load_dword s7, s[18:19], 0x0
	s_lshl_b32 s6, s6, 8
	s_waitcnt lgkmcnt(0)
	s_cmp_ge_i32 s6, s7
	s_cbranch_scc1 .LBB518_10
; %bb.5:
	s_andn2_b64 vcc, exec, s[14:15]
	s_cbranch_vccnz .LBB518_7
; %bb.6:
	s_add_u32 s6, s12, s16
	s_addc_u32 s7, s13, s17
	s_load_dword s8, s[6:7], 0x0
.LBB518_7:
	s_movk_i32 s6, 0xd0
	v_cmp_gt_u32_e32 vcc, s6, v0
	s_and_saveexec_b64 s[6:7], vcc
	s_cbranch_execz .LBB518_9
; %bb.8:
	s_load_dword s11, s[4:5], 0x48
	s_load_dwordx2 s[12:13], s[4:5], 0x0
	v_lshrrev_b32_e32 v1, 4, v0
	s_mul_i32 s10, s10, 13
	v_add_lshl_u32 v2, v1, s10, 7
	s_waitcnt lgkmcnt(0)
	s_ashr_i32 s9, s11, 31
	s_mul_hi_u32 s14, s8, s11
	s_mul_i32 s9, s8, s9
	s_add_i32 s9, s14, s9
	s_mul_i32 s8, s8, s11
	s_lshl_b64 s[8:9], s[8:9], 1
	s_add_u32 s8, s12, s8
	v_ashrrev_i32_e32 v3, 31, v2
	s_addc_u32 s9, s13, s9
	v_lshlrev_b64 v[2:3], 1, v[2:3]
	v_and_b32_e32 v4, 15, v0
	v_mov_b32_e32 v5, s9
	v_add_co_u32_e32 v2, vcc, s8, v2
	v_addc_co_u32_e32 v3, vcc, v5, v3, vcc
	v_lshlrev_b32_e32 v4, 4, v4
	v_add_co_u32_e32 v2, vcc, v2, v4
	v_addc_co_u32_e32 v3, vcc, 0, v3, vcc
	global_load_dwordx4 v[2:5], v[2:3], off
	v_lshlrev_b32_e32 v6, 4, v0
	v_lshlrev_b32_e32 v0, 8, v0
	v_and_b32_e32 v6, 16, v6
	v_lshlrev_b32_e32 v1, 5, v1
	v_and_b32_e32 v0, 0xe00, v0
	v_or3_b32 v0, v0, v1, v6
	s_waitcnt vmcnt(0)
	ds_write_b128 v0, v[2:5]
.LBB518_9:
	s_or_b64 exec, exec, s[6:7]
	s_waitcnt lgkmcnt(0)
	s_add_u32 s8, s4, 0x90
	s_addc_u32 s9, s5, 0
	s_getpc_b64 s[4:5]
	s_add_u32 s4, s4, __PRETTY_FUNCTION__._Z39paged_attention_ll4mi_QKV_mfma16_kernelIDF16_hLN4vllm18Fp8KVCacheDataTypeE1EDF16_Li32ELi128ELi256ELb1ELi13EL8MFMAType1EEvPKT_PKT0_S8_ifPKiSA_SA_iPKfiiiPfSD_PS3_PT2_iSC_SC_@rel32@lo+4
	s_addc_u32 s5, s5, __PRETTY_FUNCTION__._Z39paged_attention_ll4mi_QKV_mfma16_kernelIDF16_hLN4vllm18Fp8KVCacheDataTypeE1EDF16_Li32ELi128ELi256ELb1ELi13EL8MFMAType1EEvPKT_PKT0_S8_ifPKiSA_SA_iPKfiiiPfSD_PS3_PT2_iSC_SC_@rel32@hi+12
	v_mov_b32_e32 v0, 0x288
	v_mov_b32_e32 v1, s4
	;; [unrolled: 1-line block ×3, first 2 shown]
	s_barrier
	s_getpc_b64 s[6:7]
	s_add_u32 s6, s6, __assert_fail@rel32@lo+4
	s_addc_u32 s7, s7, __assert_fail@rel32@hi+12
	s_swappc_b64 s[30:31], s[6:7]
	; divergent unreachable
.LBB518_10:
	s_endpgm
.LBB518_11:
	s_mov_b64 s[18:19], 0
	s_branch .LBB518_2
	.section	.rodata,"a",@progbits
	.p2align	6, 0x0
	.amdhsa_kernel _Z39paged_attention_ll4mi_QKV_mfma16_kernelIDF16_hLN4vllm18Fp8KVCacheDataTypeE1EDF16_Li32ELi128ELi256ELb1ELi13EL8MFMAType1EEvPKT_PKT0_S8_ifPKiSA_SA_iPKfiiiPfSD_PS3_PT2_iSC_SC_
		.amdhsa_group_segment_fixed_size 8192
		.amdhsa_private_segment_fixed_size 64
		.amdhsa_kernarg_size 400
		.amdhsa_user_sgpr_count 8
		.amdhsa_user_sgpr_private_segment_buffer 1
		.amdhsa_user_sgpr_dispatch_ptr 0
		.amdhsa_user_sgpr_queue_ptr 0
		.amdhsa_user_sgpr_kernarg_segment_ptr 1
		.amdhsa_user_sgpr_dispatch_id 0
		.amdhsa_user_sgpr_flat_scratch_init 1
		.amdhsa_user_sgpr_kernarg_preload_length 0
		.amdhsa_user_sgpr_kernarg_preload_offset 0
		.amdhsa_user_sgpr_private_segment_size 0
		.amdhsa_uses_dynamic_stack 0
		.amdhsa_system_sgpr_private_segment_wavefront_offset 1
		.amdhsa_system_sgpr_workgroup_id_x 1
		.amdhsa_system_sgpr_workgroup_id_y 1
		.amdhsa_system_sgpr_workgroup_id_z 1
		.amdhsa_system_sgpr_workgroup_info 0
		.amdhsa_system_vgpr_workitem_id 0
		.amdhsa_next_free_vgpr 45
		.amdhsa_next_free_sgpr 34
		.amdhsa_accum_offset 44
		.amdhsa_reserve_vcc 1
		.amdhsa_reserve_flat_scratch 1
		.amdhsa_float_round_mode_32 0
		.amdhsa_float_round_mode_16_64 0
		.amdhsa_float_denorm_mode_32 3
		.amdhsa_float_denorm_mode_16_64 3
		.amdhsa_dx10_clamp 1
		.amdhsa_ieee_mode 1
		.amdhsa_fp16_overflow 0
		.amdhsa_tg_split 0
		.amdhsa_exception_fp_ieee_invalid_op 0
		.amdhsa_exception_fp_denorm_src 0
		.amdhsa_exception_fp_ieee_div_zero 0
		.amdhsa_exception_fp_ieee_overflow 0
		.amdhsa_exception_fp_ieee_underflow 0
		.amdhsa_exception_fp_ieee_inexact 0
		.amdhsa_exception_int_div_zero 0
	.end_amdhsa_kernel
	.section	.text._Z39paged_attention_ll4mi_QKV_mfma16_kernelIDF16_hLN4vllm18Fp8KVCacheDataTypeE1EDF16_Li32ELi128ELi256ELb1ELi13EL8MFMAType1EEvPKT_PKT0_S8_ifPKiSA_SA_iPKfiiiPfSD_PS3_PT2_iSC_SC_,"axG",@progbits,_Z39paged_attention_ll4mi_QKV_mfma16_kernelIDF16_hLN4vllm18Fp8KVCacheDataTypeE1EDF16_Li32ELi128ELi256ELb1ELi13EL8MFMAType1EEvPKT_PKT0_S8_ifPKiSA_SA_iPKfiiiPfSD_PS3_PT2_iSC_SC_,comdat
.Lfunc_end518:
	.size	_Z39paged_attention_ll4mi_QKV_mfma16_kernelIDF16_hLN4vllm18Fp8KVCacheDataTypeE1EDF16_Li32ELi128ELi256ELb1ELi13EL8MFMAType1EEvPKT_PKT0_S8_ifPKiSA_SA_iPKfiiiPfSD_PS3_PT2_iSC_SC_, .Lfunc_end518-_Z39paged_attention_ll4mi_QKV_mfma16_kernelIDF16_hLN4vllm18Fp8KVCacheDataTypeE1EDF16_Li32ELi128ELi256ELb1ELi13EL8MFMAType1EEvPKT_PKT0_S8_ifPKiSA_SA_iPKfiiiPfSD_PS3_PT2_iSC_SC_
                                        ; -- End function
	.section	.AMDGPU.csdata,"",@progbits
; Kernel info:
; codeLenInByte = 492
; NumSgprs: 40
; NumVgprs: 42
; NumAgprs: 1
; TotalNumVgprs: 45
; ScratchSize: 64
; MemoryBound: 0
; FloatMode: 240
; IeeeMode: 1
; LDSByteSize: 8192 bytes/workgroup (compile time only)
; SGPRBlocks: 4
; VGPRBlocks: 5
; NumSGPRsForWavesPerEU: 40
; NumVGPRsForWavesPerEU: 45
; AccumOffset: 44
; Occupancy: 8
; WaveLimiterHint : 1
; COMPUTE_PGM_RSRC2:SCRATCH_EN: 1
; COMPUTE_PGM_RSRC2:USER_SGPR: 8
; COMPUTE_PGM_RSRC2:TRAP_HANDLER: 0
; COMPUTE_PGM_RSRC2:TGID_X_EN: 1
; COMPUTE_PGM_RSRC2:TGID_Y_EN: 1
; COMPUTE_PGM_RSRC2:TGID_Z_EN: 1
; COMPUTE_PGM_RSRC2:TIDIG_COMP_CNT: 0
; COMPUTE_PGM_RSRC3_GFX90A:ACCUM_OFFSET: 10
; COMPUTE_PGM_RSRC3_GFX90A:TG_SPLIT: 0
	.section	.text._Z39paged_attention_ll4mi_QKV_mfma16_kernelIDF16_hLN4vllm18Fp8KVCacheDataTypeE1EDF16_Li32ELi128ELi256ELb1ELi14EL8MFMAType1EEvPKT_PKT0_S8_ifPKiSA_SA_iPKfiiiPfSD_PS3_PT2_iSC_SC_,"axG",@progbits,_Z39paged_attention_ll4mi_QKV_mfma16_kernelIDF16_hLN4vllm18Fp8KVCacheDataTypeE1EDF16_Li32ELi128ELi256ELb1ELi14EL8MFMAType1EEvPKT_PKT0_S8_ifPKiSA_SA_iPKfiiiPfSD_PS3_PT2_iSC_SC_,comdat
	.protected	_Z39paged_attention_ll4mi_QKV_mfma16_kernelIDF16_hLN4vllm18Fp8KVCacheDataTypeE1EDF16_Li32ELi128ELi256ELb1ELi14EL8MFMAType1EEvPKT_PKT0_S8_ifPKiSA_SA_iPKfiiiPfSD_PS3_PT2_iSC_SC_ ; -- Begin function _Z39paged_attention_ll4mi_QKV_mfma16_kernelIDF16_hLN4vllm18Fp8KVCacheDataTypeE1EDF16_Li32ELi128ELi256ELb1ELi14EL8MFMAType1EEvPKT_PKT0_S8_ifPKiSA_SA_iPKfiiiPfSD_PS3_PT2_iSC_SC_
	.globl	_Z39paged_attention_ll4mi_QKV_mfma16_kernelIDF16_hLN4vllm18Fp8KVCacheDataTypeE1EDF16_Li32ELi128ELi256ELb1ELi14EL8MFMAType1EEvPKT_PKT0_S8_ifPKiSA_SA_iPKfiiiPfSD_PS3_PT2_iSC_SC_
	.p2align	8
	.type	_Z39paged_attention_ll4mi_QKV_mfma16_kernelIDF16_hLN4vllm18Fp8KVCacheDataTypeE1EDF16_Li32ELi128ELi256ELb1ELi14EL8MFMAType1EEvPKT_PKT0_S8_ifPKiSA_SA_iPKfiiiPfSD_PS3_PT2_iSC_SC_,@function
_Z39paged_attention_ll4mi_QKV_mfma16_kernelIDF16_hLN4vllm18Fp8KVCacheDataTypeE1EDF16_Li32ELi128ELi256ELb1ELi14EL8MFMAType1EEvPKT_PKT0_S8_ifPKiSA_SA_iPKfiiiPfSD_PS3_PT2_iSC_SC_: ; @_Z39paged_attention_ll4mi_QKV_mfma16_kernelIDF16_hLN4vllm18Fp8KVCacheDataTypeE1EDF16_Li32ELi128ELi256ELb1ELi14EL8MFMAType1EEvPKT_PKT0_S8_ifPKiSA_SA_iPKfiiiPfSD_PS3_PT2_iSC_SC_
; %bb.0:
	s_load_dwordx2 s[12:13], s[4:5], 0x30
	s_add_u32 flat_scratch_lo, s6, s11
	s_addc_u32 flat_scratch_hi, s7, 0
	s_add_u32 s0, s0, s11
	s_addc_u32 s1, s1, 0
	s_waitcnt lgkmcnt(0)
	s_cmp_lg_u64 s[12:13], 0
	s_cselect_b64 s[14:15], -1, 0
	s_mov_b32 s6, s9
	s_mov_b64 s[16:17], 0
	s_and_b64 vcc, exec, s[14:15]
	s_mov_b32 s32, 0
	s_cbranch_vccz .LBB519_11
; %bb.1:
	s_add_i32 s18, s8, 1
	s_mov_b32 s19, 0
	s_lshl_b64 s[20:21], s[18:19], 2
	s_add_u32 s20, s12, s20
	s_mov_b32 s9, s19
	s_addc_u32 s21, s13, s21
	s_lshl_b64 s[18:19], s[8:9], 2
	s_add_u32 s18, s12, s18
	s_addc_u32 s19, s13, s19
	s_load_dword s7, s[20:21], 0x0
	s_load_dword s11, s[18:19], 0x0
	s_waitcnt lgkmcnt(0)
	s_sub_i32 s7, s7, s11
	s_cmp_eq_u32 s7, 1
	s_cselect_b64 s[18:19], -1, 0
	s_andn2_b64 vcc, exec, s[16:17]
	s_cbranch_vccnz .LBB519_3
.LBB519_2:
	s_mov_b32 s9, 0
	s_mov_b64 s[18:19], -1
.LBB519_3:
	s_andn2_b64 vcc, exec, s[18:19]
	s_cbranch_vccnz .LBB519_10
; %bb.4:
	s_load_dwordx2 s[18:19], s[4:5], 0x28
	s_lshl_b64 s[16:17], s[8:9], 2
	s_waitcnt lgkmcnt(0)
	s_add_u32 s18, s18, s16
	s_addc_u32 s19, s19, s17
	s_load_dword s7, s[18:19], 0x0
	s_lshl_b32 s6, s6, 8
	s_waitcnt lgkmcnt(0)
	s_cmp_ge_i32 s6, s7
	s_cbranch_scc1 .LBB519_10
; %bb.5:
	s_andn2_b64 vcc, exec, s[14:15]
	s_cbranch_vccnz .LBB519_7
; %bb.6:
	s_add_u32 s6, s12, s16
	s_addc_u32 s7, s13, s17
	s_load_dword s8, s[6:7], 0x0
.LBB519_7:
	s_movk_i32 s6, 0xe0
	v_cmp_gt_u32_e32 vcc, s6, v0
	s_and_saveexec_b64 s[6:7], vcc
	s_cbranch_execz .LBB519_9
; %bb.8:
	s_load_dword s11, s[4:5], 0x48
	s_load_dwordx2 s[12:13], s[4:5], 0x0
	v_lshrrev_b32_e32 v1, 4, v0
	s_mul_i32 s10, s10, 14
	v_add_lshl_u32 v2, v1, s10, 7
	s_waitcnt lgkmcnt(0)
	s_ashr_i32 s9, s11, 31
	s_mul_hi_u32 s14, s8, s11
	s_mul_i32 s9, s8, s9
	s_add_i32 s9, s14, s9
	s_mul_i32 s8, s8, s11
	s_lshl_b64 s[8:9], s[8:9], 1
	s_add_u32 s8, s12, s8
	v_ashrrev_i32_e32 v3, 31, v2
	s_addc_u32 s9, s13, s9
	v_lshlrev_b64 v[2:3], 1, v[2:3]
	v_and_b32_e32 v4, 15, v0
	v_mov_b32_e32 v5, s9
	v_add_co_u32_e32 v2, vcc, s8, v2
	v_addc_co_u32_e32 v3, vcc, v5, v3, vcc
	v_lshlrev_b32_e32 v4, 4, v4
	v_add_co_u32_e32 v2, vcc, v2, v4
	v_addc_co_u32_e32 v3, vcc, 0, v3, vcc
	global_load_dwordx4 v[2:5], v[2:3], off
	v_lshlrev_b32_e32 v6, 4, v0
	v_lshlrev_b32_e32 v0, 8, v0
	v_and_b32_e32 v6, 16, v6
	v_lshlrev_b32_e32 v1, 5, v1
	v_and_b32_e32 v0, 0xe00, v0
	v_or3_b32 v0, v0, v1, v6
	s_waitcnt vmcnt(0)
	ds_write_b128 v0, v[2:5]
.LBB519_9:
	s_or_b64 exec, exec, s[6:7]
	s_waitcnt lgkmcnt(0)
	s_add_u32 s8, s4, 0x90
	s_addc_u32 s9, s5, 0
	s_getpc_b64 s[4:5]
	s_add_u32 s4, s4, __PRETTY_FUNCTION__._Z39paged_attention_ll4mi_QKV_mfma16_kernelIDF16_hLN4vllm18Fp8KVCacheDataTypeE1EDF16_Li32ELi128ELi256ELb1ELi14EL8MFMAType1EEvPKT_PKT0_S8_ifPKiSA_SA_iPKfiiiPfSD_PS3_PT2_iSC_SC_@rel32@lo+4
	s_addc_u32 s5, s5, __PRETTY_FUNCTION__._Z39paged_attention_ll4mi_QKV_mfma16_kernelIDF16_hLN4vllm18Fp8KVCacheDataTypeE1EDF16_Li32ELi128ELi256ELb1ELi14EL8MFMAType1EEvPKT_PKT0_S8_ifPKiSA_SA_iPKfiiiPfSD_PS3_PT2_iSC_SC_@rel32@hi+12
	v_mov_b32_e32 v0, 0x288
	v_mov_b32_e32 v1, s4
	;; [unrolled: 1-line block ×3, first 2 shown]
	s_barrier
	s_getpc_b64 s[6:7]
	s_add_u32 s6, s6, __assert_fail@rel32@lo+4
	s_addc_u32 s7, s7, __assert_fail@rel32@hi+12
	s_swappc_b64 s[30:31], s[6:7]
	; divergent unreachable
.LBB519_10:
	s_endpgm
.LBB519_11:
	s_mov_b64 s[18:19], 0
	s_branch .LBB519_2
	.section	.rodata,"a",@progbits
	.p2align	6, 0x0
	.amdhsa_kernel _Z39paged_attention_ll4mi_QKV_mfma16_kernelIDF16_hLN4vllm18Fp8KVCacheDataTypeE1EDF16_Li32ELi128ELi256ELb1ELi14EL8MFMAType1EEvPKT_PKT0_S8_ifPKiSA_SA_iPKfiiiPfSD_PS3_PT2_iSC_SC_
		.amdhsa_group_segment_fixed_size 8192
		.amdhsa_private_segment_fixed_size 64
		.amdhsa_kernarg_size 400
		.amdhsa_user_sgpr_count 8
		.amdhsa_user_sgpr_private_segment_buffer 1
		.amdhsa_user_sgpr_dispatch_ptr 0
		.amdhsa_user_sgpr_queue_ptr 0
		.amdhsa_user_sgpr_kernarg_segment_ptr 1
		.amdhsa_user_sgpr_dispatch_id 0
		.amdhsa_user_sgpr_flat_scratch_init 1
		.amdhsa_user_sgpr_kernarg_preload_length 0
		.amdhsa_user_sgpr_kernarg_preload_offset 0
		.amdhsa_user_sgpr_private_segment_size 0
		.amdhsa_uses_dynamic_stack 0
		.amdhsa_system_sgpr_private_segment_wavefront_offset 1
		.amdhsa_system_sgpr_workgroup_id_x 1
		.amdhsa_system_sgpr_workgroup_id_y 1
		.amdhsa_system_sgpr_workgroup_id_z 1
		.amdhsa_system_sgpr_workgroup_info 0
		.amdhsa_system_vgpr_workitem_id 0
		.amdhsa_next_free_vgpr 45
		.amdhsa_next_free_sgpr 34
		.amdhsa_accum_offset 44
		.amdhsa_reserve_vcc 1
		.amdhsa_reserve_flat_scratch 1
		.amdhsa_float_round_mode_32 0
		.amdhsa_float_round_mode_16_64 0
		.amdhsa_float_denorm_mode_32 3
		.amdhsa_float_denorm_mode_16_64 3
		.amdhsa_dx10_clamp 1
		.amdhsa_ieee_mode 1
		.amdhsa_fp16_overflow 0
		.amdhsa_tg_split 0
		.amdhsa_exception_fp_ieee_invalid_op 0
		.amdhsa_exception_fp_denorm_src 0
		.amdhsa_exception_fp_ieee_div_zero 0
		.amdhsa_exception_fp_ieee_overflow 0
		.amdhsa_exception_fp_ieee_underflow 0
		.amdhsa_exception_fp_ieee_inexact 0
		.amdhsa_exception_int_div_zero 0
	.end_amdhsa_kernel
	.section	.text._Z39paged_attention_ll4mi_QKV_mfma16_kernelIDF16_hLN4vllm18Fp8KVCacheDataTypeE1EDF16_Li32ELi128ELi256ELb1ELi14EL8MFMAType1EEvPKT_PKT0_S8_ifPKiSA_SA_iPKfiiiPfSD_PS3_PT2_iSC_SC_,"axG",@progbits,_Z39paged_attention_ll4mi_QKV_mfma16_kernelIDF16_hLN4vllm18Fp8KVCacheDataTypeE1EDF16_Li32ELi128ELi256ELb1ELi14EL8MFMAType1EEvPKT_PKT0_S8_ifPKiSA_SA_iPKfiiiPfSD_PS3_PT2_iSC_SC_,comdat
.Lfunc_end519:
	.size	_Z39paged_attention_ll4mi_QKV_mfma16_kernelIDF16_hLN4vllm18Fp8KVCacheDataTypeE1EDF16_Li32ELi128ELi256ELb1ELi14EL8MFMAType1EEvPKT_PKT0_S8_ifPKiSA_SA_iPKfiiiPfSD_PS3_PT2_iSC_SC_, .Lfunc_end519-_Z39paged_attention_ll4mi_QKV_mfma16_kernelIDF16_hLN4vllm18Fp8KVCacheDataTypeE1EDF16_Li32ELi128ELi256ELb1ELi14EL8MFMAType1EEvPKT_PKT0_S8_ifPKiSA_SA_iPKfiiiPfSD_PS3_PT2_iSC_SC_
                                        ; -- End function
	.section	.AMDGPU.csdata,"",@progbits
; Kernel info:
; codeLenInByte = 492
; NumSgprs: 40
; NumVgprs: 42
; NumAgprs: 1
; TotalNumVgprs: 45
; ScratchSize: 64
; MemoryBound: 0
; FloatMode: 240
; IeeeMode: 1
; LDSByteSize: 8192 bytes/workgroup (compile time only)
; SGPRBlocks: 4
; VGPRBlocks: 5
; NumSGPRsForWavesPerEU: 40
; NumVGPRsForWavesPerEU: 45
; AccumOffset: 44
; Occupancy: 8
; WaveLimiterHint : 1
; COMPUTE_PGM_RSRC2:SCRATCH_EN: 1
; COMPUTE_PGM_RSRC2:USER_SGPR: 8
; COMPUTE_PGM_RSRC2:TRAP_HANDLER: 0
; COMPUTE_PGM_RSRC2:TGID_X_EN: 1
; COMPUTE_PGM_RSRC2:TGID_Y_EN: 1
; COMPUTE_PGM_RSRC2:TGID_Z_EN: 1
; COMPUTE_PGM_RSRC2:TIDIG_COMP_CNT: 0
; COMPUTE_PGM_RSRC3_GFX90A:ACCUM_OFFSET: 10
; COMPUTE_PGM_RSRC3_GFX90A:TG_SPLIT: 0
	.section	.text._Z39paged_attention_ll4mi_QKV_mfma16_kernelIDF16_hLN4vllm18Fp8KVCacheDataTypeE1EDF16_Li32ELi128ELi256ELb1ELi15EL8MFMAType1EEvPKT_PKT0_S8_ifPKiSA_SA_iPKfiiiPfSD_PS3_PT2_iSC_SC_,"axG",@progbits,_Z39paged_attention_ll4mi_QKV_mfma16_kernelIDF16_hLN4vllm18Fp8KVCacheDataTypeE1EDF16_Li32ELi128ELi256ELb1ELi15EL8MFMAType1EEvPKT_PKT0_S8_ifPKiSA_SA_iPKfiiiPfSD_PS3_PT2_iSC_SC_,comdat
	.protected	_Z39paged_attention_ll4mi_QKV_mfma16_kernelIDF16_hLN4vllm18Fp8KVCacheDataTypeE1EDF16_Li32ELi128ELi256ELb1ELi15EL8MFMAType1EEvPKT_PKT0_S8_ifPKiSA_SA_iPKfiiiPfSD_PS3_PT2_iSC_SC_ ; -- Begin function _Z39paged_attention_ll4mi_QKV_mfma16_kernelIDF16_hLN4vllm18Fp8KVCacheDataTypeE1EDF16_Li32ELi128ELi256ELb1ELi15EL8MFMAType1EEvPKT_PKT0_S8_ifPKiSA_SA_iPKfiiiPfSD_PS3_PT2_iSC_SC_
	.globl	_Z39paged_attention_ll4mi_QKV_mfma16_kernelIDF16_hLN4vllm18Fp8KVCacheDataTypeE1EDF16_Li32ELi128ELi256ELb1ELi15EL8MFMAType1EEvPKT_PKT0_S8_ifPKiSA_SA_iPKfiiiPfSD_PS3_PT2_iSC_SC_
	.p2align	8
	.type	_Z39paged_attention_ll4mi_QKV_mfma16_kernelIDF16_hLN4vllm18Fp8KVCacheDataTypeE1EDF16_Li32ELi128ELi256ELb1ELi15EL8MFMAType1EEvPKT_PKT0_S8_ifPKiSA_SA_iPKfiiiPfSD_PS3_PT2_iSC_SC_,@function
_Z39paged_attention_ll4mi_QKV_mfma16_kernelIDF16_hLN4vllm18Fp8KVCacheDataTypeE1EDF16_Li32ELi128ELi256ELb1ELi15EL8MFMAType1EEvPKT_PKT0_S8_ifPKiSA_SA_iPKfiiiPfSD_PS3_PT2_iSC_SC_: ; @_Z39paged_attention_ll4mi_QKV_mfma16_kernelIDF16_hLN4vllm18Fp8KVCacheDataTypeE1EDF16_Li32ELi128ELi256ELb1ELi15EL8MFMAType1EEvPKT_PKT0_S8_ifPKiSA_SA_iPKfiiiPfSD_PS3_PT2_iSC_SC_
; %bb.0:
	s_load_dwordx2 s[12:13], s[4:5], 0x30
	s_add_u32 flat_scratch_lo, s6, s11
	s_addc_u32 flat_scratch_hi, s7, 0
	s_add_u32 s0, s0, s11
	s_addc_u32 s1, s1, 0
	s_waitcnt lgkmcnt(0)
	s_cmp_lg_u64 s[12:13], 0
	s_cselect_b64 s[14:15], -1, 0
	s_mov_b32 s6, s9
	s_mov_b64 s[16:17], 0
	s_and_b64 vcc, exec, s[14:15]
	s_mov_b32 s32, 0
	s_cbranch_vccz .LBB520_11
; %bb.1:
	s_add_i32 s18, s8, 1
	s_mov_b32 s19, 0
	s_lshl_b64 s[20:21], s[18:19], 2
	s_add_u32 s20, s12, s20
	s_mov_b32 s9, s19
	s_addc_u32 s21, s13, s21
	s_lshl_b64 s[18:19], s[8:9], 2
	s_add_u32 s18, s12, s18
	s_addc_u32 s19, s13, s19
	s_load_dword s7, s[20:21], 0x0
	s_load_dword s11, s[18:19], 0x0
	s_waitcnt lgkmcnt(0)
	s_sub_i32 s7, s7, s11
	s_cmp_eq_u32 s7, 1
	s_cselect_b64 s[18:19], -1, 0
	s_andn2_b64 vcc, exec, s[16:17]
	s_cbranch_vccnz .LBB520_3
.LBB520_2:
	s_mov_b32 s9, 0
	s_mov_b64 s[18:19], -1
.LBB520_3:
	s_andn2_b64 vcc, exec, s[18:19]
	s_cbranch_vccnz .LBB520_10
; %bb.4:
	s_load_dwordx2 s[18:19], s[4:5], 0x28
	s_lshl_b64 s[16:17], s[8:9], 2
	s_waitcnt lgkmcnt(0)
	s_add_u32 s18, s18, s16
	s_addc_u32 s19, s19, s17
	s_load_dword s7, s[18:19], 0x0
	s_lshl_b32 s6, s6, 8
	s_waitcnt lgkmcnt(0)
	s_cmp_ge_i32 s6, s7
	s_cbranch_scc1 .LBB520_10
; %bb.5:
	s_andn2_b64 vcc, exec, s[14:15]
	s_cbranch_vccnz .LBB520_7
; %bb.6:
	s_add_u32 s6, s12, s16
	s_addc_u32 s7, s13, s17
	s_load_dword s8, s[6:7], 0x0
.LBB520_7:
	s_movk_i32 s6, 0xf0
	v_cmp_gt_u32_e32 vcc, s6, v0
	s_and_saveexec_b64 s[6:7], vcc
	s_cbranch_execz .LBB520_9
; %bb.8:
	s_load_dword s11, s[4:5], 0x48
	s_load_dwordx2 s[12:13], s[4:5], 0x0
	v_lshrrev_b32_e32 v1, 4, v0
	s_mul_i32 s10, s10, 15
	v_add_lshl_u32 v2, v1, s10, 7
	s_waitcnt lgkmcnt(0)
	s_ashr_i32 s9, s11, 31
	s_mul_hi_u32 s14, s8, s11
	s_mul_i32 s9, s8, s9
	s_add_i32 s9, s14, s9
	s_mul_i32 s8, s8, s11
	s_lshl_b64 s[8:9], s[8:9], 1
	s_add_u32 s8, s12, s8
	v_ashrrev_i32_e32 v3, 31, v2
	s_addc_u32 s9, s13, s9
	v_lshlrev_b64 v[2:3], 1, v[2:3]
	v_and_b32_e32 v4, 15, v0
	v_mov_b32_e32 v5, s9
	v_add_co_u32_e32 v2, vcc, s8, v2
	v_addc_co_u32_e32 v3, vcc, v5, v3, vcc
	v_lshlrev_b32_e32 v4, 4, v4
	v_add_co_u32_e32 v2, vcc, v2, v4
	v_addc_co_u32_e32 v3, vcc, 0, v3, vcc
	global_load_dwordx4 v[2:5], v[2:3], off
	v_lshlrev_b32_e32 v6, 4, v0
	v_lshlrev_b32_e32 v0, 8, v0
	v_and_b32_e32 v6, 16, v6
	v_lshlrev_b32_e32 v1, 5, v1
	v_and_b32_e32 v0, 0xe00, v0
	v_or3_b32 v0, v0, v1, v6
	s_waitcnt vmcnt(0)
	ds_write_b128 v0, v[2:5]
.LBB520_9:
	s_or_b64 exec, exec, s[6:7]
	s_waitcnt lgkmcnt(0)
	s_add_u32 s8, s4, 0x90
	s_addc_u32 s9, s5, 0
	s_getpc_b64 s[4:5]
	s_add_u32 s4, s4, __PRETTY_FUNCTION__._Z39paged_attention_ll4mi_QKV_mfma16_kernelIDF16_hLN4vllm18Fp8KVCacheDataTypeE1EDF16_Li32ELi128ELi256ELb1ELi15EL8MFMAType1EEvPKT_PKT0_S8_ifPKiSA_SA_iPKfiiiPfSD_PS3_PT2_iSC_SC_@rel32@lo+4
	s_addc_u32 s5, s5, __PRETTY_FUNCTION__._Z39paged_attention_ll4mi_QKV_mfma16_kernelIDF16_hLN4vllm18Fp8KVCacheDataTypeE1EDF16_Li32ELi128ELi256ELb1ELi15EL8MFMAType1EEvPKT_PKT0_S8_ifPKiSA_SA_iPKfiiiPfSD_PS3_PT2_iSC_SC_@rel32@hi+12
	v_mov_b32_e32 v0, 0x288
	v_mov_b32_e32 v1, s4
	;; [unrolled: 1-line block ×3, first 2 shown]
	s_barrier
	s_getpc_b64 s[6:7]
	s_add_u32 s6, s6, __assert_fail@rel32@lo+4
	s_addc_u32 s7, s7, __assert_fail@rel32@hi+12
	s_swappc_b64 s[30:31], s[6:7]
	; divergent unreachable
.LBB520_10:
	s_endpgm
.LBB520_11:
	s_mov_b64 s[18:19], 0
	s_branch .LBB520_2
	.section	.rodata,"a",@progbits
	.p2align	6, 0x0
	.amdhsa_kernel _Z39paged_attention_ll4mi_QKV_mfma16_kernelIDF16_hLN4vllm18Fp8KVCacheDataTypeE1EDF16_Li32ELi128ELi256ELb1ELi15EL8MFMAType1EEvPKT_PKT0_S8_ifPKiSA_SA_iPKfiiiPfSD_PS3_PT2_iSC_SC_
		.amdhsa_group_segment_fixed_size 8192
		.amdhsa_private_segment_fixed_size 64
		.amdhsa_kernarg_size 400
		.amdhsa_user_sgpr_count 8
		.amdhsa_user_sgpr_private_segment_buffer 1
		.amdhsa_user_sgpr_dispatch_ptr 0
		.amdhsa_user_sgpr_queue_ptr 0
		.amdhsa_user_sgpr_kernarg_segment_ptr 1
		.amdhsa_user_sgpr_dispatch_id 0
		.amdhsa_user_sgpr_flat_scratch_init 1
		.amdhsa_user_sgpr_kernarg_preload_length 0
		.amdhsa_user_sgpr_kernarg_preload_offset 0
		.amdhsa_user_sgpr_private_segment_size 0
		.amdhsa_uses_dynamic_stack 0
		.amdhsa_system_sgpr_private_segment_wavefront_offset 1
		.amdhsa_system_sgpr_workgroup_id_x 1
		.amdhsa_system_sgpr_workgroup_id_y 1
		.amdhsa_system_sgpr_workgroup_id_z 1
		.amdhsa_system_sgpr_workgroup_info 0
		.amdhsa_system_vgpr_workitem_id 0
		.amdhsa_next_free_vgpr 45
		.amdhsa_next_free_sgpr 34
		.amdhsa_accum_offset 44
		.amdhsa_reserve_vcc 1
		.amdhsa_reserve_flat_scratch 1
		.amdhsa_float_round_mode_32 0
		.amdhsa_float_round_mode_16_64 0
		.amdhsa_float_denorm_mode_32 3
		.amdhsa_float_denorm_mode_16_64 3
		.amdhsa_dx10_clamp 1
		.amdhsa_ieee_mode 1
		.amdhsa_fp16_overflow 0
		.amdhsa_tg_split 0
		.amdhsa_exception_fp_ieee_invalid_op 0
		.amdhsa_exception_fp_denorm_src 0
		.amdhsa_exception_fp_ieee_div_zero 0
		.amdhsa_exception_fp_ieee_overflow 0
		.amdhsa_exception_fp_ieee_underflow 0
		.amdhsa_exception_fp_ieee_inexact 0
		.amdhsa_exception_int_div_zero 0
	.end_amdhsa_kernel
	.section	.text._Z39paged_attention_ll4mi_QKV_mfma16_kernelIDF16_hLN4vllm18Fp8KVCacheDataTypeE1EDF16_Li32ELi128ELi256ELb1ELi15EL8MFMAType1EEvPKT_PKT0_S8_ifPKiSA_SA_iPKfiiiPfSD_PS3_PT2_iSC_SC_,"axG",@progbits,_Z39paged_attention_ll4mi_QKV_mfma16_kernelIDF16_hLN4vllm18Fp8KVCacheDataTypeE1EDF16_Li32ELi128ELi256ELb1ELi15EL8MFMAType1EEvPKT_PKT0_S8_ifPKiSA_SA_iPKfiiiPfSD_PS3_PT2_iSC_SC_,comdat
.Lfunc_end520:
	.size	_Z39paged_attention_ll4mi_QKV_mfma16_kernelIDF16_hLN4vllm18Fp8KVCacheDataTypeE1EDF16_Li32ELi128ELi256ELb1ELi15EL8MFMAType1EEvPKT_PKT0_S8_ifPKiSA_SA_iPKfiiiPfSD_PS3_PT2_iSC_SC_, .Lfunc_end520-_Z39paged_attention_ll4mi_QKV_mfma16_kernelIDF16_hLN4vllm18Fp8KVCacheDataTypeE1EDF16_Li32ELi128ELi256ELb1ELi15EL8MFMAType1EEvPKT_PKT0_S8_ifPKiSA_SA_iPKfiiiPfSD_PS3_PT2_iSC_SC_
                                        ; -- End function
	.section	.AMDGPU.csdata,"",@progbits
; Kernel info:
; codeLenInByte = 492
; NumSgprs: 40
; NumVgprs: 42
; NumAgprs: 1
; TotalNumVgprs: 45
; ScratchSize: 64
; MemoryBound: 0
; FloatMode: 240
; IeeeMode: 1
; LDSByteSize: 8192 bytes/workgroup (compile time only)
; SGPRBlocks: 4
; VGPRBlocks: 5
; NumSGPRsForWavesPerEU: 40
; NumVGPRsForWavesPerEU: 45
; AccumOffset: 44
; Occupancy: 8
; WaveLimiterHint : 1
; COMPUTE_PGM_RSRC2:SCRATCH_EN: 1
; COMPUTE_PGM_RSRC2:USER_SGPR: 8
; COMPUTE_PGM_RSRC2:TRAP_HANDLER: 0
; COMPUTE_PGM_RSRC2:TGID_X_EN: 1
; COMPUTE_PGM_RSRC2:TGID_Y_EN: 1
; COMPUTE_PGM_RSRC2:TGID_Z_EN: 1
; COMPUTE_PGM_RSRC2:TIDIG_COMP_CNT: 0
; COMPUTE_PGM_RSRC3_GFX90A:ACCUM_OFFSET: 10
; COMPUTE_PGM_RSRC3_GFX90A:TG_SPLIT: 0
	.section	.text._Z39paged_attention_ll4mi_QKV_mfma16_kernelIDF16_hLN4vllm18Fp8KVCacheDataTypeE1EDF16_Li32ELi128ELi256ELb1ELi16EL8MFMAType1EEvPKT_PKT0_S8_ifPKiSA_SA_iPKfiiiPfSD_PS3_PT2_iSC_SC_,"axG",@progbits,_Z39paged_attention_ll4mi_QKV_mfma16_kernelIDF16_hLN4vllm18Fp8KVCacheDataTypeE1EDF16_Li32ELi128ELi256ELb1ELi16EL8MFMAType1EEvPKT_PKT0_S8_ifPKiSA_SA_iPKfiiiPfSD_PS3_PT2_iSC_SC_,comdat
	.protected	_Z39paged_attention_ll4mi_QKV_mfma16_kernelIDF16_hLN4vllm18Fp8KVCacheDataTypeE1EDF16_Li32ELi128ELi256ELb1ELi16EL8MFMAType1EEvPKT_PKT0_S8_ifPKiSA_SA_iPKfiiiPfSD_PS3_PT2_iSC_SC_ ; -- Begin function _Z39paged_attention_ll4mi_QKV_mfma16_kernelIDF16_hLN4vllm18Fp8KVCacheDataTypeE1EDF16_Li32ELi128ELi256ELb1ELi16EL8MFMAType1EEvPKT_PKT0_S8_ifPKiSA_SA_iPKfiiiPfSD_PS3_PT2_iSC_SC_
	.globl	_Z39paged_attention_ll4mi_QKV_mfma16_kernelIDF16_hLN4vllm18Fp8KVCacheDataTypeE1EDF16_Li32ELi128ELi256ELb1ELi16EL8MFMAType1EEvPKT_PKT0_S8_ifPKiSA_SA_iPKfiiiPfSD_PS3_PT2_iSC_SC_
	.p2align	8
	.type	_Z39paged_attention_ll4mi_QKV_mfma16_kernelIDF16_hLN4vllm18Fp8KVCacheDataTypeE1EDF16_Li32ELi128ELi256ELb1ELi16EL8MFMAType1EEvPKT_PKT0_S8_ifPKiSA_SA_iPKfiiiPfSD_PS3_PT2_iSC_SC_,@function
_Z39paged_attention_ll4mi_QKV_mfma16_kernelIDF16_hLN4vllm18Fp8KVCacheDataTypeE1EDF16_Li32ELi128ELi256ELb1ELi16EL8MFMAType1EEvPKT_PKT0_S8_ifPKiSA_SA_iPKfiiiPfSD_PS3_PT2_iSC_SC_: ; @_Z39paged_attention_ll4mi_QKV_mfma16_kernelIDF16_hLN4vllm18Fp8KVCacheDataTypeE1EDF16_Li32ELi128ELi256ELb1ELi16EL8MFMAType1EEvPKT_PKT0_S8_ifPKiSA_SA_iPKfiiiPfSD_PS3_PT2_iSC_SC_
; %bb.0:
	s_load_dwordx2 s[12:13], s[4:5], 0x30
	s_add_u32 flat_scratch_lo, s6, s11
	s_addc_u32 flat_scratch_hi, s7, 0
	s_add_u32 s0, s0, s11
	s_addc_u32 s1, s1, 0
	s_waitcnt lgkmcnt(0)
	s_cmp_lg_u64 s[12:13], 0
	s_cselect_b64 s[14:15], -1, 0
	s_mov_b32 s6, s9
	s_mov_b64 s[16:17], 0
	s_and_b64 vcc, exec, s[14:15]
	s_mov_b32 s32, 0
	s_cbranch_vccz .LBB521_11
; %bb.1:
	s_add_i32 s18, s8, 1
	s_mov_b32 s19, 0
	s_lshl_b64 s[20:21], s[18:19], 2
	s_add_u32 s20, s12, s20
	s_mov_b32 s9, s19
	s_addc_u32 s21, s13, s21
	s_lshl_b64 s[18:19], s[8:9], 2
	s_add_u32 s18, s12, s18
	s_addc_u32 s19, s13, s19
	s_load_dword s7, s[20:21], 0x0
	s_load_dword s11, s[18:19], 0x0
	s_waitcnt lgkmcnt(0)
	s_sub_i32 s7, s7, s11
	s_cmp_eq_u32 s7, 1
	s_cselect_b64 s[18:19], -1, 0
	s_andn2_b64 vcc, exec, s[16:17]
	s_cbranch_vccnz .LBB521_3
.LBB521_2:
	s_mov_b32 s9, 0
	s_mov_b64 s[18:19], -1
.LBB521_3:
	s_andn2_b64 vcc, exec, s[18:19]
	s_cbranch_vccnz .LBB521_10
; %bb.4:
	s_load_dwordx2 s[18:19], s[4:5], 0x28
	s_lshl_b64 s[16:17], s[8:9], 2
	s_waitcnt lgkmcnt(0)
	s_add_u32 s18, s18, s16
	s_addc_u32 s19, s19, s17
	s_load_dword s7, s[18:19], 0x0
	s_lshl_b32 s6, s6, 8
	s_waitcnt lgkmcnt(0)
	s_cmp_ge_i32 s6, s7
	s_cbranch_scc1 .LBB521_10
; %bb.5:
	s_andn2_b64 vcc, exec, s[14:15]
	s_cbranch_vccnz .LBB521_7
; %bb.6:
	s_add_u32 s6, s12, s16
	s_addc_u32 s7, s13, s17
	s_load_dword s8, s[6:7], 0x0
.LBB521_7:
	s_movk_i32 s6, 0x100
	v_cmp_gt_u32_e32 vcc, s6, v0
	s_and_saveexec_b64 s[6:7], vcc
	s_cbranch_execz .LBB521_9
; %bb.8:
	s_load_dword s11, s[4:5], 0x48
	s_load_dwordx2 s[12:13], s[4:5], 0x0
	v_lshrrev_b32_e32 v6, 4, v0
	v_lshlrev_b32_e32 v2, 7, v6
	v_lshl_or_b32 v2, s10, 11, v2
	s_waitcnt lgkmcnt(0)
	s_ashr_i32 s9, s11, 31
	s_mul_hi_u32 s14, s8, s11
	s_mul_i32 s9, s8, s9
	s_add_i32 s9, s14, s9
	s_mul_i32 s8, s8, s11
	s_lshl_b64 s[8:9], s[8:9], 1
	s_add_u32 s8, s12, s8
	v_ashrrev_i32_e32 v3, 31, v2
	s_addc_u32 s9, s13, s9
	v_lshlrev_b64 v[2:3], 1, v[2:3]
	v_and_b32_e32 v1, 15, v0
	v_mov_b32_e32 v4, s9
	v_add_co_u32_e32 v2, vcc, s8, v2
	v_addc_co_u32_e32 v3, vcc, v4, v3, vcc
	v_lshlrev_b32_e32 v1, 4, v1
	v_add_co_u32_e32 v2, vcc, v2, v1
	v_addc_co_u32_e32 v3, vcc, 0, v3, vcc
	global_load_dwordx4 v[2:5], v[2:3], off
	v_lshlrev_b32_e32 v1, 4, v0
	v_lshlrev_b32_e32 v0, 8, v0
	v_and_b32_e32 v1, 16, v1
	v_lshlrev_b32_e32 v6, 5, v6
	v_and_b32_e32 v0, 0xe00, v0
	v_or3_b32 v0, v0, v6, v1
	s_waitcnt vmcnt(0)
	ds_write_b128 v0, v[2:5]
.LBB521_9:
	s_or_b64 exec, exec, s[6:7]
	s_waitcnt lgkmcnt(0)
	s_add_u32 s8, s4, 0x90
	s_addc_u32 s9, s5, 0
	s_getpc_b64 s[4:5]
	s_add_u32 s4, s4, __PRETTY_FUNCTION__._Z39paged_attention_ll4mi_QKV_mfma16_kernelIDF16_hLN4vllm18Fp8KVCacheDataTypeE1EDF16_Li32ELi128ELi256ELb1ELi16EL8MFMAType1EEvPKT_PKT0_S8_ifPKiSA_SA_iPKfiiiPfSD_PS3_PT2_iSC_SC_@rel32@lo+4
	s_addc_u32 s5, s5, __PRETTY_FUNCTION__._Z39paged_attention_ll4mi_QKV_mfma16_kernelIDF16_hLN4vllm18Fp8KVCacheDataTypeE1EDF16_Li32ELi128ELi256ELb1ELi16EL8MFMAType1EEvPKT_PKT0_S8_ifPKiSA_SA_iPKfiiiPfSD_PS3_PT2_iSC_SC_@rel32@hi+12
	v_mov_b32_e32 v0, 0x288
	v_mov_b32_e32 v1, s4
	;; [unrolled: 1-line block ×3, first 2 shown]
	s_barrier
	s_getpc_b64 s[6:7]
	s_add_u32 s6, s6, __assert_fail@rel32@lo+4
	s_addc_u32 s7, s7, __assert_fail@rel32@hi+12
	s_swappc_b64 s[30:31], s[6:7]
	; divergent unreachable
.LBB521_10:
	s_endpgm
.LBB521_11:
	s_mov_b64 s[18:19], 0
	s_branch .LBB521_2
	.section	.rodata,"a",@progbits
	.p2align	6, 0x0
	.amdhsa_kernel _Z39paged_attention_ll4mi_QKV_mfma16_kernelIDF16_hLN4vllm18Fp8KVCacheDataTypeE1EDF16_Li32ELi128ELi256ELb1ELi16EL8MFMAType1EEvPKT_PKT0_S8_ifPKiSA_SA_iPKfiiiPfSD_PS3_PT2_iSC_SC_
		.amdhsa_group_segment_fixed_size 8192
		.amdhsa_private_segment_fixed_size 64
		.amdhsa_kernarg_size 400
		.amdhsa_user_sgpr_count 8
		.amdhsa_user_sgpr_private_segment_buffer 1
		.amdhsa_user_sgpr_dispatch_ptr 0
		.amdhsa_user_sgpr_queue_ptr 0
		.amdhsa_user_sgpr_kernarg_segment_ptr 1
		.amdhsa_user_sgpr_dispatch_id 0
		.amdhsa_user_sgpr_flat_scratch_init 1
		.amdhsa_user_sgpr_kernarg_preload_length 0
		.amdhsa_user_sgpr_kernarg_preload_offset 0
		.amdhsa_user_sgpr_private_segment_size 0
		.amdhsa_uses_dynamic_stack 0
		.amdhsa_system_sgpr_private_segment_wavefront_offset 1
		.amdhsa_system_sgpr_workgroup_id_x 1
		.amdhsa_system_sgpr_workgroup_id_y 1
		.amdhsa_system_sgpr_workgroup_id_z 1
		.amdhsa_system_sgpr_workgroup_info 0
		.amdhsa_system_vgpr_workitem_id 0
		.amdhsa_next_free_vgpr 45
		.amdhsa_next_free_sgpr 34
		.amdhsa_accum_offset 44
		.amdhsa_reserve_vcc 1
		.amdhsa_reserve_flat_scratch 1
		.amdhsa_float_round_mode_32 0
		.amdhsa_float_round_mode_16_64 0
		.amdhsa_float_denorm_mode_32 3
		.amdhsa_float_denorm_mode_16_64 3
		.amdhsa_dx10_clamp 1
		.amdhsa_ieee_mode 1
		.amdhsa_fp16_overflow 0
		.amdhsa_tg_split 0
		.amdhsa_exception_fp_ieee_invalid_op 0
		.amdhsa_exception_fp_denorm_src 0
		.amdhsa_exception_fp_ieee_div_zero 0
		.amdhsa_exception_fp_ieee_overflow 0
		.amdhsa_exception_fp_ieee_underflow 0
		.amdhsa_exception_fp_ieee_inexact 0
		.amdhsa_exception_int_div_zero 0
	.end_amdhsa_kernel
	.section	.text._Z39paged_attention_ll4mi_QKV_mfma16_kernelIDF16_hLN4vllm18Fp8KVCacheDataTypeE1EDF16_Li32ELi128ELi256ELb1ELi16EL8MFMAType1EEvPKT_PKT0_S8_ifPKiSA_SA_iPKfiiiPfSD_PS3_PT2_iSC_SC_,"axG",@progbits,_Z39paged_attention_ll4mi_QKV_mfma16_kernelIDF16_hLN4vllm18Fp8KVCacheDataTypeE1EDF16_Li32ELi128ELi256ELb1ELi16EL8MFMAType1EEvPKT_PKT0_S8_ifPKiSA_SA_iPKfiiiPfSD_PS3_PT2_iSC_SC_,comdat
.Lfunc_end521:
	.size	_Z39paged_attention_ll4mi_QKV_mfma16_kernelIDF16_hLN4vllm18Fp8KVCacheDataTypeE1EDF16_Li32ELi128ELi256ELb1ELi16EL8MFMAType1EEvPKT_PKT0_S8_ifPKiSA_SA_iPKfiiiPfSD_PS3_PT2_iSC_SC_, .Lfunc_end521-_Z39paged_attention_ll4mi_QKV_mfma16_kernelIDF16_hLN4vllm18Fp8KVCacheDataTypeE1EDF16_Li32ELi128ELi256ELb1ELi16EL8MFMAType1EEvPKT_PKT0_S8_ifPKiSA_SA_iPKfiiiPfSD_PS3_PT2_iSC_SC_
                                        ; -- End function
	.section	.AMDGPU.csdata,"",@progbits
; Kernel info:
; codeLenInByte = 492
; NumSgprs: 40
; NumVgprs: 42
; NumAgprs: 1
; TotalNumVgprs: 45
; ScratchSize: 64
; MemoryBound: 0
; FloatMode: 240
; IeeeMode: 1
; LDSByteSize: 8192 bytes/workgroup (compile time only)
; SGPRBlocks: 4
; VGPRBlocks: 5
; NumSGPRsForWavesPerEU: 40
; NumVGPRsForWavesPerEU: 45
; AccumOffset: 44
; Occupancy: 8
; WaveLimiterHint : 1
; COMPUTE_PGM_RSRC2:SCRATCH_EN: 1
; COMPUTE_PGM_RSRC2:USER_SGPR: 8
; COMPUTE_PGM_RSRC2:TRAP_HANDLER: 0
; COMPUTE_PGM_RSRC2:TGID_X_EN: 1
; COMPUTE_PGM_RSRC2:TGID_Y_EN: 1
; COMPUTE_PGM_RSRC2:TGID_Z_EN: 1
; COMPUTE_PGM_RSRC2:TIDIG_COMP_CNT: 0
; COMPUTE_PGM_RSRC3_GFX90A:ACCUM_OFFSET: 10
; COMPUTE_PGM_RSRC3_GFX90A:TG_SPLIT: 0
	.section	.text._Z39paged_attention_ll4mi_QKV_mfma16_kernelIDF16_hLN4vllm18Fp8KVCacheDataTypeE1EDF16_Li32ELi128ELi256ELb1ELi1EL8MFMAType1EEvPKT_PKT0_S8_ifPKiSA_SA_iPKfiiiPfSD_PS3_PT2_iSC_SC_,"axG",@progbits,_Z39paged_attention_ll4mi_QKV_mfma16_kernelIDF16_hLN4vllm18Fp8KVCacheDataTypeE1EDF16_Li32ELi128ELi256ELb1ELi1EL8MFMAType1EEvPKT_PKT0_S8_ifPKiSA_SA_iPKfiiiPfSD_PS3_PT2_iSC_SC_,comdat
	.protected	_Z39paged_attention_ll4mi_QKV_mfma16_kernelIDF16_hLN4vllm18Fp8KVCacheDataTypeE1EDF16_Li32ELi128ELi256ELb1ELi1EL8MFMAType1EEvPKT_PKT0_S8_ifPKiSA_SA_iPKfiiiPfSD_PS3_PT2_iSC_SC_ ; -- Begin function _Z39paged_attention_ll4mi_QKV_mfma16_kernelIDF16_hLN4vllm18Fp8KVCacheDataTypeE1EDF16_Li32ELi128ELi256ELb1ELi1EL8MFMAType1EEvPKT_PKT0_S8_ifPKiSA_SA_iPKfiiiPfSD_PS3_PT2_iSC_SC_
	.globl	_Z39paged_attention_ll4mi_QKV_mfma16_kernelIDF16_hLN4vllm18Fp8KVCacheDataTypeE1EDF16_Li32ELi128ELi256ELb1ELi1EL8MFMAType1EEvPKT_PKT0_S8_ifPKiSA_SA_iPKfiiiPfSD_PS3_PT2_iSC_SC_
	.p2align	8
	.type	_Z39paged_attention_ll4mi_QKV_mfma16_kernelIDF16_hLN4vllm18Fp8KVCacheDataTypeE1EDF16_Li32ELi128ELi256ELb1ELi1EL8MFMAType1EEvPKT_PKT0_S8_ifPKiSA_SA_iPKfiiiPfSD_PS3_PT2_iSC_SC_,@function
_Z39paged_attention_ll4mi_QKV_mfma16_kernelIDF16_hLN4vllm18Fp8KVCacheDataTypeE1EDF16_Li32ELi128ELi256ELb1ELi1EL8MFMAType1EEvPKT_PKT0_S8_ifPKiSA_SA_iPKfiiiPfSD_PS3_PT2_iSC_SC_: ; @_Z39paged_attention_ll4mi_QKV_mfma16_kernelIDF16_hLN4vllm18Fp8KVCacheDataTypeE1EDF16_Li32ELi128ELi256ELb1ELi1EL8MFMAType1EEvPKT_PKT0_S8_ifPKiSA_SA_iPKfiiiPfSD_PS3_PT2_iSC_SC_
; %bb.0:
	s_load_dwordx2 s[12:13], s[4:5], 0x30
	s_add_u32 flat_scratch_lo, s6, s11
	s_addc_u32 flat_scratch_hi, s7, 0
	s_add_u32 s0, s0, s11
	s_addc_u32 s1, s1, 0
	s_waitcnt lgkmcnt(0)
	s_cmp_lg_u64 s[12:13], 0
	s_cselect_b64 s[14:15], -1, 0
	s_mov_b32 s6, s9
	s_mov_b64 s[16:17], 0
	s_and_b64 vcc, exec, s[14:15]
	s_mov_b32 s32, 0
	s_cbranch_vccz .LBB522_11
; %bb.1:
	s_add_i32 s18, s8, 1
	s_mov_b32 s19, 0
	s_lshl_b64 s[20:21], s[18:19], 2
	s_add_u32 s20, s12, s20
	s_mov_b32 s9, s19
	s_addc_u32 s21, s13, s21
	s_lshl_b64 s[18:19], s[8:9], 2
	s_add_u32 s18, s12, s18
	s_addc_u32 s19, s13, s19
	s_load_dword s7, s[20:21], 0x0
	s_load_dword s11, s[18:19], 0x0
	s_waitcnt lgkmcnt(0)
	s_sub_i32 s7, s7, s11
	s_cmp_eq_u32 s7, 1
	s_cselect_b64 s[18:19], -1, 0
	s_andn2_b64 vcc, exec, s[16:17]
	s_cbranch_vccnz .LBB522_3
.LBB522_2:
	s_mov_b32 s9, 0
	s_mov_b64 s[18:19], -1
.LBB522_3:
	s_andn2_b64 vcc, exec, s[18:19]
	s_cbranch_vccnz .LBB522_10
; %bb.4:
	s_load_dwordx2 s[18:19], s[4:5], 0x28
	s_lshl_b64 s[16:17], s[8:9], 2
	s_waitcnt lgkmcnt(0)
	s_add_u32 s18, s18, s16
	s_addc_u32 s19, s19, s17
	s_load_dword s7, s[18:19], 0x0
	s_lshl_b32 s6, s6, 8
	s_waitcnt lgkmcnt(0)
	s_cmp_ge_i32 s6, s7
	s_cbranch_scc1 .LBB522_10
; %bb.5:
	s_andn2_b64 vcc, exec, s[14:15]
	s_cbranch_vccnz .LBB522_7
; %bb.6:
	s_add_u32 s6, s12, s16
	s_addc_u32 s7, s13, s17
	s_load_dword s8, s[6:7], 0x0
.LBB522_7:
	v_cmp_gt_u32_e32 vcc, 16, v0
	s_and_saveexec_b64 s[6:7], vcc
	s_cbranch_execz .LBB522_9
; %bb.8:
	s_load_dword s9, s[4:5], 0x48
	s_load_dwordx2 s[12:13], s[4:5], 0x0
	v_lshlrev_b32_e32 v1, 4, v0
	v_lshlrev_b32_e32 v0, 8, v0
	s_waitcnt lgkmcnt(0)
	s_ashr_i32 s11, s9, 31
	s_mul_hi_u32 s15, s8, s9
	s_mul_i32 s14, s8, s9
	s_mul_i32 s8, s8, s11
	s_add_i32 s15, s15, s8
	s_lshl_b64 s[8:9], s[14:15], 1
	s_add_u32 s11, s12, s8
	s_addc_u32 s12, s13, s9
	s_lshl_b32 s8, s10, 7
	s_ashr_i32 s9, s8, 31
	s_lshl_b64 s[8:9], s[8:9], 1
	s_add_u32 s8, s11, s8
	s_addc_u32 s9, s12, s9
	global_load_dwordx4 v[2:5], v1, s[8:9]
	v_and_b32_e32 v1, 16, v1
	s_mov_b32 s8, 0xfe00
	v_and_or_b32 v0, v0, s8, v1
	s_waitcnt vmcnt(0)
	ds_write_b128 v0, v[2:5]
.LBB522_9:
	s_or_b64 exec, exec, s[6:7]
	s_waitcnt lgkmcnt(0)
	s_add_u32 s8, s4, 0x90
	s_addc_u32 s9, s5, 0
	s_getpc_b64 s[4:5]
	s_add_u32 s4, s4, __PRETTY_FUNCTION__._Z39paged_attention_ll4mi_QKV_mfma16_kernelIDF16_hLN4vllm18Fp8KVCacheDataTypeE1EDF16_Li32ELi128ELi256ELb1ELi1EL8MFMAType1EEvPKT_PKT0_S8_ifPKiSA_SA_iPKfiiiPfSD_PS3_PT2_iSC_SC_@rel32@lo+4
	s_addc_u32 s5, s5, __PRETTY_FUNCTION__._Z39paged_attention_ll4mi_QKV_mfma16_kernelIDF16_hLN4vllm18Fp8KVCacheDataTypeE1EDF16_Li32ELi128ELi256ELb1ELi1EL8MFMAType1EEvPKT_PKT0_S8_ifPKiSA_SA_iPKfiiiPfSD_PS3_PT2_iSC_SC_@rel32@hi+12
	v_mov_b32_e32 v0, 0x288
	v_mov_b32_e32 v1, s4
	v_mov_b32_e32 v2, s5
	s_barrier
	s_getpc_b64 s[6:7]
	s_add_u32 s6, s6, __assert_fail@rel32@lo+4
	s_addc_u32 s7, s7, __assert_fail@rel32@hi+12
	s_swappc_b64 s[30:31], s[6:7]
	; divergent unreachable
.LBB522_10:
	s_endpgm
.LBB522_11:
	s_mov_b64 s[18:19], 0
	s_branch .LBB522_2
	.section	.rodata,"a",@progbits
	.p2align	6, 0x0
	.amdhsa_kernel _Z39paged_attention_ll4mi_QKV_mfma16_kernelIDF16_hLN4vllm18Fp8KVCacheDataTypeE1EDF16_Li32ELi128ELi256ELb1ELi1EL8MFMAType1EEvPKT_PKT0_S8_ifPKiSA_SA_iPKfiiiPfSD_PS3_PT2_iSC_SC_
		.amdhsa_group_segment_fixed_size 8192
		.amdhsa_private_segment_fixed_size 64
		.amdhsa_kernarg_size 400
		.amdhsa_user_sgpr_count 8
		.amdhsa_user_sgpr_private_segment_buffer 1
		.amdhsa_user_sgpr_dispatch_ptr 0
		.amdhsa_user_sgpr_queue_ptr 0
		.amdhsa_user_sgpr_kernarg_segment_ptr 1
		.amdhsa_user_sgpr_dispatch_id 0
		.amdhsa_user_sgpr_flat_scratch_init 1
		.amdhsa_user_sgpr_kernarg_preload_length 0
		.amdhsa_user_sgpr_kernarg_preload_offset 0
		.amdhsa_user_sgpr_private_segment_size 0
		.amdhsa_uses_dynamic_stack 0
		.amdhsa_system_sgpr_private_segment_wavefront_offset 1
		.amdhsa_system_sgpr_workgroup_id_x 1
		.amdhsa_system_sgpr_workgroup_id_y 1
		.amdhsa_system_sgpr_workgroup_id_z 1
		.amdhsa_system_sgpr_workgroup_info 0
		.amdhsa_system_vgpr_workitem_id 0
		.amdhsa_next_free_vgpr 45
		.amdhsa_next_free_sgpr 34
		.amdhsa_accum_offset 44
		.amdhsa_reserve_vcc 1
		.amdhsa_reserve_flat_scratch 1
		.amdhsa_float_round_mode_32 0
		.amdhsa_float_round_mode_16_64 0
		.amdhsa_float_denorm_mode_32 3
		.amdhsa_float_denorm_mode_16_64 3
		.amdhsa_dx10_clamp 1
		.amdhsa_ieee_mode 1
		.amdhsa_fp16_overflow 0
		.amdhsa_tg_split 0
		.amdhsa_exception_fp_ieee_invalid_op 0
		.amdhsa_exception_fp_denorm_src 0
		.amdhsa_exception_fp_ieee_div_zero 0
		.amdhsa_exception_fp_ieee_overflow 0
		.amdhsa_exception_fp_ieee_underflow 0
		.amdhsa_exception_fp_ieee_inexact 0
		.amdhsa_exception_int_div_zero 0
	.end_amdhsa_kernel
	.section	.text._Z39paged_attention_ll4mi_QKV_mfma16_kernelIDF16_hLN4vllm18Fp8KVCacheDataTypeE1EDF16_Li32ELi128ELi256ELb1ELi1EL8MFMAType1EEvPKT_PKT0_S8_ifPKiSA_SA_iPKfiiiPfSD_PS3_PT2_iSC_SC_,"axG",@progbits,_Z39paged_attention_ll4mi_QKV_mfma16_kernelIDF16_hLN4vllm18Fp8KVCacheDataTypeE1EDF16_Li32ELi128ELi256ELb1ELi1EL8MFMAType1EEvPKT_PKT0_S8_ifPKiSA_SA_iPKfiiiPfSD_PS3_PT2_iSC_SC_,comdat
.Lfunc_end522:
	.size	_Z39paged_attention_ll4mi_QKV_mfma16_kernelIDF16_hLN4vllm18Fp8KVCacheDataTypeE1EDF16_Li32ELi128ELi256ELb1ELi1EL8MFMAType1EEvPKT_PKT0_S8_ifPKiSA_SA_iPKfiiiPfSD_PS3_PT2_iSC_SC_, .Lfunc_end522-_Z39paged_attention_ll4mi_QKV_mfma16_kernelIDF16_hLN4vllm18Fp8KVCacheDataTypeE1EDF16_Li32ELi128ELi256ELb1ELi1EL8MFMAType1EEvPKT_PKT0_S8_ifPKiSA_SA_iPKfiiiPfSD_PS3_PT2_iSC_SC_
                                        ; -- End function
	.section	.AMDGPU.csdata,"",@progbits
; Kernel info:
; codeLenInByte = 448
; NumSgprs: 40
; NumVgprs: 42
; NumAgprs: 1
; TotalNumVgprs: 45
; ScratchSize: 64
; MemoryBound: 0
; FloatMode: 240
; IeeeMode: 1
; LDSByteSize: 8192 bytes/workgroup (compile time only)
; SGPRBlocks: 4
; VGPRBlocks: 5
; NumSGPRsForWavesPerEU: 40
; NumVGPRsForWavesPerEU: 45
; AccumOffset: 44
; Occupancy: 8
; WaveLimiterHint : 1
; COMPUTE_PGM_RSRC2:SCRATCH_EN: 1
; COMPUTE_PGM_RSRC2:USER_SGPR: 8
; COMPUTE_PGM_RSRC2:TRAP_HANDLER: 0
; COMPUTE_PGM_RSRC2:TGID_X_EN: 1
; COMPUTE_PGM_RSRC2:TGID_Y_EN: 1
; COMPUTE_PGM_RSRC2:TGID_Z_EN: 1
; COMPUTE_PGM_RSRC2:TIDIG_COMP_CNT: 0
; COMPUTE_PGM_RSRC3_GFX90A:ACCUM_OFFSET: 10
; COMPUTE_PGM_RSRC3_GFX90A:TG_SPLIT: 0
	.section	.text._Z39paged_attention_ll4mi_QKV_mfma16_kernelIDF16_hLN4vllm18Fp8KVCacheDataTypeE1EDF16_Li32ELi128ELi256ELb1ELi2EL8MFMAType1EEvPKT_PKT0_S8_ifPKiSA_SA_iPKfiiiPfSD_PS3_PT2_iSC_SC_,"axG",@progbits,_Z39paged_attention_ll4mi_QKV_mfma16_kernelIDF16_hLN4vllm18Fp8KVCacheDataTypeE1EDF16_Li32ELi128ELi256ELb1ELi2EL8MFMAType1EEvPKT_PKT0_S8_ifPKiSA_SA_iPKfiiiPfSD_PS3_PT2_iSC_SC_,comdat
	.protected	_Z39paged_attention_ll4mi_QKV_mfma16_kernelIDF16_hLN4vllm18Fp8KVCacheDataTypeE1EDF16_Li32ELi128ELi256ELb1ELi2EL8MFMAType1EEvPKT_PKT0_S8_ifPKiSA_SA_iPKfiiiPfSD_PS3_PT2_iSC_SC_ ; -- Begin function _Z39paged_attention_ll4mi_QKV_mfma16_kernelIDF16_hLN4vllm18Fp8KVCacheDataTypeE1EDF16_Li32ELi128ELi256ELb1ELi2EL8MFMAType1EEvPKT_PKT0_S8_ifPKiSA_SA_iPKfiiiPfSD_PS3_PT2_iSC_SC_
	.globl	_Z39paged_attention_ll4mi_QKV_mfma16_kernelIDF16_hLN4vllm18Fp8KVCacheDataTypeE1EDF16_Li32ELi128ELi256ELb1ELi2EL8MFMAType1EEvPKT_PKT0_S8_ifPKiSA_SA_iPKfiiiPfSD_PS3_PT2_iSC_SC_
	.p2align	8
	.type	_Z39paged_attention_ll4mi_QKV_mfma16_kernelIDF16_hLN4vllm18Fp8KVCacheDataTypeE1EDF16_Li32ELi128ELi256ELb1ELi2EL8MFMAType1EEvPKT_PKT0_S8_ifPKiSA_SA_iPKfiiiPfSD_PS3_PT2_iSC_SC_,@function
_Z39paged_attention_ll4mi_QKV_mfma16_kernelIDF16_hLN4vllm18Fp8KVCacheDataTypeE1EDF16_Li32ELi128ELi256ELb1ELi2EL8MFMAType1EEvPKT_PKT0_S8_ifPKiSA_SA_iPKfiiiPfSD_PS3_PT2_iSC_SC_: ; @_Z39paged_attention_ll4mi_QKV_mfma16_kernelIDF16_hLN4vllm18Fp8KVCacheDataTypeE1EDF16_Li32ELi128ELi256ELb1ELi2EL8MFMAType1EEvPKT_PKT0_S8_ifPKiSA_SA_iPKfiiiPfSD_PS3_PT2_iSC_SC_
; %bb.0:
	s_load_dwordx2 s[12:13], s[4:5], 0x30
	s_add_u32 flat_scratch_lo, s6, s11
	s_addc_u32 flat_scratch_hi, s7, 0
	s_add_u32 s0, s0, s11
	s_addc_u32 s1, s1, 0
	s_waitcnt lgkmcnt(0)
	s_cmp_lg_u64 s[12:13], 0
	s_cselect_b64 s[14:15], -1, 0
	s_mov_b32 s6, s9
	s_mov_b64 s[16:17], 0
	s_and_b64 vcc, exec, s[14:15]
	s_mov_b32 s32, 0
	s_cbranch_vccz .LBB523_11
; %bb.1:
	s_add_i32 s18, s8, 1
	s_mov_b32 s19, 0
	s_lshl_b64 s[20:21], s[18:19], 2
	s_add_u32 s20, s12, s20
	s_mov_b32 s9, s19
	s_addc_u32 s21, s13, s21
	s_lshl_b64 s[18:19], s[8:9], 2
	s_add_u32 s18, s12, s18
	s_addc_u32 s19, s13, s19
	s_load_dword s7, s[20:21], 0x0
	s_load_dword s11, s[18:19], 0x0
	s_waitcnt lgkmcnt(0)
	s_sub_i32 s7, s7, s11
	s_cmp_eq_u32 s7, 1
	s_cselect_b64 s[18:19], -1, 0
	s_andn2_b64 vcc, exec, s[16:17]
	s_cbranch_vccnz .LBB523_3
.LBB523_2:
	s_mov_b32 s9, 0
	s_mov_b64 s[18:19], -1
.LBB523_3:
	s_andn2_b64 vcc, exec, s[18:19]
	s_cbranch_vccnz .LBB523_10
; %bb.4:
	s_load_dwordx2 s[18:19], s[4:5], 0x28
	s_lshl_b64 s[16:17], s[8:9], 2
	s_waitcnt lgkmcnt(0)
	s_add_u32 s18, s18, s16
	s_addc_u32 s19, s19, s17
	s_load_dword s7, s[18:19], 0x0
	s_lshl_b32 s6, s6, 8
	s_waitcnt lgkmcnt(0)
	s_cmp_ge_i32 s6, s7
	s_cbranch_scc1 .LBB523_10
; %bb.5:
	s_andn2_b64 vcc, exec, s[14:15]
	s_cbranch_vccnz .LBB523_7
; %bb.6:
	s_add_u32 s6, s12, s16
	s_addc_u32 s7, s13, s17
	s_load_dword s8, s[6:7], 0x0
.LBB523_7:
	v_cmp_gt_u32_e32 vcc, 32, v0
	s_and_saveexec_b64 s[6:7], vcc
	s_cbranch_execz .LBB523_9
; %bb.8:
	s_load_dword s11, s[4:5], 0x48
	s_load_dwordx2 s[12:13], s[4:5], 0x0
	v_lshrrev_b32_e32 v6, 4, v0
	v_lshlrev_b32_e32 v2, 7, v6
	v_lshl_or_b32 v2, s10, 8, v2
	s_waitcnt lgkmcnt(0)
	s_ashr_i32 s9, s11, 31
	s_mul_hi_u32 s14, s8, s11
	s_mul_i32 s9, s8, s9
	s_add_i32 s9, s14, s9
	s_mul_i32 s8, s8, s11
	s_lshl_b64 s[8:9], s[8:9], 1
	s_add_u32 s8, s12, s8
	v_ashrrev_i32_e32 v3, 31, v2
	s_addc_u32 s9, s13, s9
	v_lshlrev_b64 v[2:3], 1, v[2:3]
	v_and_b32_e32 v1, 15, v0
	v_mov_b32_e32 v4, s9
	v_add_co_u32_e32 v2, vcc, s8, v2
	v_addc_co_u32_e32 v3, vcc, v4, v3, vcc
	v_lshlrev_b32_e32 v1, 4, v1
	v_add_co_u32_e32 v2, vcc, v2, v1
	v_addc_co_u32_e32 v3, vcc, 0, v3, vcc
	global_load_dwordx4 v[2:5], v[2:3], off
	v_lshlrev_b32_e32 v1, 4, v0
	v_lshlrev_b32_e32 v0, 8, v0
	v_and_b32_e32 v1, 16, v1
	v_lshlrev_b32_e32 v6, 5, v6
	v_and_b32_e32 v0, 0xe00, v0
	v_or3_b32 v0, v0, v6, v1
	s_waitcnt vmcnt(0)
	ds_write_b128 v0, v[2:5]
.LBB523_9:
	s_or_b64 exec, exec, s[6:7]
	s_waitcnt lgkmcnt(0)
	s_add_u32 s8, s4, 0x90
	s_addc_u32 s9, s5, 0
	s_getpc_b64 s[4:5]
	s_add_u32 s4, s4, __PRETTY_FUNCTION__._Z39paged_attention_ll4mi_QKV_mfma16_kernelIDF16_hLN4vllm18Fp8KVCacheDataTypeE1EDF16_Li32ELi128ELi256ELb1ELi2EL8MFMAType1EEvPKT_PKT0_S8_ifPKiSA_SA_iPKfiiiPfSD_PS3_PT2_iSC_SC_@rel32@lo+4
	s_addc_u32 s5, s5, __PRETTY_FUNCTION__._Z39paged_attention_ll4mi_QKV_mfma16_kernelIDF16_hLN4vllm18Fp8KVCacheDataTypeE1EDF16_Li32ELi128ELi256ELb1ELi2EL8MFMAType1EEvPKT_PKT0_S8_ifPKiSA_SA_iPKfiiiPfSD_PS3_PT2_iSC_SC_@rel32@hi+12
	v_mov_b32_e32 v0, 0x288
	v_mov_b32_e32 v1, s4
	;; [unrolled: 1-line block ×3, first 2 shown]
	s_barrier
	s_getpc_b64 s[6:7]
	s_add_u32 s6, s6, __assert_fail@rel32@lo+4
	s_addc_u32 s7, s7, __assert_fail@rel32@hi+12
	s_swappc_b64 s[30:31], s[6:7]
	; divergent unreachable
.LBB523_10:
	s_endpgm
.LBB523_11:
	s_mov_b64 s[18:19], 0
	s_branch .LBB523_2
	.section	.rodata,"a",@progbits
	.p2align	6, 0x0
	.amdhsa_kernel _Z39paged_attention_ll4mi_QKV_mfma16_kernelIDF16_hLN4vllm18Fp8KVCacheDataTypeE1EDF16_Li32ELi128ELi256ELb1ELi2EL8MFMAType1EEvPKT_PKT0_S8_ifPKiSA_SA_iPKfiiiPfSD_PS3_PT2_iSC_SC_
		.amdhsa_group_segment_fixed_size 8192
		.amdhsa_private_segment_fixed_size 64
		.amdhsa_kernarg_size 400
		.amdhsa_user_sgpr_count 8
		.amdhsa_user_sgpr_private_segment_buffer 1
		.amdhsa_user_sgpr_dispatch_ptr 0
		.amdhsa_user_sgpr_queue_ptr 0
		.amdhsa_user_sgpr_kernarg_segment_ptr 1
		.amdhsa_user_sgpr_dispatch_id 0
		.amdhsa_user_sgpr_flat_scratch_init 1
		.amdhsa_user_sgpr_kernarg_preload_length 0
		.amdhsa_user_sgpr_kernarg_preload_offset 0
		.amdhsa_user_sgpr_private_segment_size 0
		.amdhsa_uses_dynamic_stack 0
		.amdhsa_system_sgpr_private_segment_wavefront_offset 1
		.amdhsa_system_sgpr_workgroup_id_x 1
		.amdhsa_system_sgpr_workgroup_id_y 1
		.amdhsa_system_sgpr_workgroup_id_z 1
		.amdhsa_system_sgpr_workgroup_info 0
		.amdhsa_system_vgpr_workitem_id 0
		.amdhsa_next_free_vgpr 45
		.amdhsa_next_free_sgpr 34
		.amdhsa_accum_offset 44
		.amdhsa_reserve_vcc 1
		.amdhsa_reserve_flat_scratch 1
		.amdhsa_float_round_mode_32 0
		.amdhsa_float_round_mode_16_64 0
		.amdhsa_float_denorm_mode_32 3
		.amdhsa_float_denorm_mode_16_64 3
		.amdhsa_dx10_clamp 1
		.amdhsa_ieee_mode 1
		.amdhsa_fp16_overflow 0
		.amdhsa_tg_split 0
		.amdhsa_exception_fp_ieee_invalid_op 0
		.amdhsa_exception_fp_denorm_src 0
		.amdhsa_exception_fp_ieee_div_zero 0
		.amdhsa_exception_fp_ieee_overflow 0
		.amdhsa_exception_fp_ieee_underflow 0
		.amdhsa_exception_fp_ieee_inexact 0
		.amdhsa_exception_int_div_zero 0
	.end_amdhsa_kernel
	.section	.text._Z39paged_attention_ll4mi_QKV_mfma16_kernelIDF16_hLN4vllm18Fp8KVCacheDataTypeE1EDF16_Li32ELi128ELi256ELb1ELi2EL8MFMAType1EEvPKT_PKT0_S8_ifPKiSA_SA_iPKfiiiPfSD_PS3_PT2_iSC_SC_,"axG",@progbits,_Z39paged_attention_ll4mi_QKV_mfma16_kernelIDF16_hLN4vllm18Fp8KVCacheDataTypeE1EDF16_Li32ELi128ELi256ELb1ELi2EL8MFMAType1EEvPKT_PKT0_S8_ifPKiSA_SA_iPKfiiiPfSD_PS3_PT2_iSC_SC_,comdat
.Lfunc_end523:
	.size	_Z39paged_attention_ll4mi_QKV_mfma16_kernelIDF16_hLN4vllm18Fp8KVCacheDataTypeE1EDF16_Li32ELi128ELi256ELb1ELi2EL8MFMAType1EEvPKT_PKT0_S8_ifPKiSA_SA_iPKfiiiPfSD_PS3_PT2_iSC_SC_, .Lfunc_end523-_Z39paged_attention_ll4mi_QKV_mfma16_kernelIDF16_hLN4vllm18Fp8KVCacheDataTypeE1EDF16_Li32ELi128ELi256ELb1ELi2EL8MFMAType1EEvPKT_PKT0_S8_ifPKiSA_SA_iPKfiiiPfSD_PS3_PT2_iSC_SC_
                                        ; -- End function
	.section	.AMDGPU.csdata,"",@progbits
; Kernel info:
; codeLenInByte = 488
; NumSgprs: 40
; NumVgprs: 42
; NumAgprs: 1
; TotalNumVgprs: 45
; ScratchSize: 64
; MemoryBound: 0
; FloatMode: 240
; IeeeMode: 1
; LDSByteSize: 8192 bytes/workgroup (compile time only)
; SGPRBlocks: 4
; VGPRBlocks: 5
; NumSGPRsForWavesPerEU: 40
; NumVGPRsForWavesPerEU: 45
; AccumOffset: 44
; Occupancy: 8
; WaveLimiterHint : 1
; COMPUTE_PGM_RSRC2:SCRATCH_EN: 1
; COMPUTE_PGM_RSRC2:USER_SGPR: 8
; COMPUTE_PGM_RSRC2:TRAP_HANDLER: 0
; COMPUTE_PGM_RSRC2:TGID_X_EN: 1
; COMPUTE_PGM_RSRC2:TGID_Y_EN: 1
; COMPUTE_PGM_RSRC2:TGID_Z_EN: 1
; COMPUTE_PGM_RSRC2:TIDIG_COMP_CNT: 0
; COMPUTE_PGM_RSRC3_GFX90A:ACCUM_OFFSET: 10
; COMPUTE_PGM_RSRC3_GFX90A:TG_SPLIT: 0
	.section	.text._Z39paged_attention_ll4mi_QKV_mfma16_kernelIDF16_hLN4vllm18Fp8KVCacheDataTypeE1EDF16_Li32ELi128ELi256ELb1ELi3EL8MFMAType1EEvPKT_PKT0_S8_ifPKiSA_SA_iPKfiiiPfSD_PS3_PT2_iSC_SC_,"axG",@progbits,_Z39paged_attention_ll4mi_QKV_mfma16_kernelIDF16_hLN4vllm18Fp8KVCacheDataTypeE1EDF16_Li32ELi128ELi256ELb1ELi3EL8MFMAType1EEvPKT_PKT0_S8_ifPKiSA_SA_iPKfiiiPfSD_PS3_PT2_iSC_SC_,comdat
	.protected	_Z39paged_attention_ll4mi_QKV_mfma16_kernelIDF16_hLN4vllm18Fp8KVCacheDataTypeE1EDF16_Li32ELi128ELi256ELb1ELi3EL8MFMAType1EEvPKT_PKT0_S8_ifPKiSA_SA_iPKfiiiPfSD_PS3_PT2_iSC_SC_ ; -- Begin function _Z39paged_attention_ll4mi_QKV_mfma16_kernelIDF16_hLN4vllm18Fp8KVCacheDataTypeE1EDF16_Li32ELi128ELi256ELb1ELi3EL8MFMAType1EEvPKT_PKT0_S8_ifPKiSA_SA_iPKfiiiPfSD_PS3_PT2_iSC_SC_
	.globl	_Z39paged_attention_ll4mi_QKV_mfma16_kernelIDF16_hLN4vllm18Fp8KVCacheDataTypeE1EDF16_Li32ELi128ELi256ELb1ELi3EL8MFMAType1EEvPKT_PKT0_S8_ifPKiSA_SA_iPKfiiiPfSD_PS3_PT2_iSC_SC_
	.p2align	8
	.type	_Z39paged_attention_ll4mi_QKV_mfma16_kernelIDF16_hLN4vllm18Fp8KVCacheDataTypeE1EDF16_Li32ELi128ELi256ELb1ELi3EL8MFMAType1EEvPKT_PKT0_S8_ifPKiSA_SA_iPKfiiiPfSD_PS3_PT2_iSC_SC_,@function
_Z39paged_attention_ll4mi_QKV_mfma16_kernelIDF16_hLN4vllm18Fp8KVCacheDataTypeE1EDF16_Li32ELi128ELi256ELb1ELi3EL8MFMAType1EEvPKT_PKT0_S8_ifPKiSA_SA_iPKfiiiPfSD_PS3_PT2_iSC_SC_: ; @_Z39paged_attention_ll4mi_QKV_mfma16_kernelIDF16_hLN4vllm18Fp8KVCacheDataTypeE1EDF16_Li32ELi128ELi256ELb1ELi3EL8MFMAType1EEvPKT_PKT0_S8_ifPKiSA_SA_iPKfiiiPfSD_PS3_PT2_iSC_SC_
; %bb.0:
	s_load_dwordx2 s[12:13], s[4:5], 0x30
	s_add_u32 flat_scratch_lo, s6, s11
	s_addc_u32 flat_scratch_hi, s7, 0
	s_add_u32 s0, s0, s11
	s_addc_u32 s1, s1, 0
	s_waitcnt lgkmcnt(0)
	s_cmp_lg_u64 s[12:13], 0
	s_cselect_b64 s[14:15], -1, 0
	s_mov_b32 s6, s9
	s_mov_b64 s[16:17], 0
	s_and_b64 vcc, exec, s[14:15]
	s_mov_b32 s32, 0
	s_cbranch_vccz .LBB524_11
; %bb.1:
	s_add_i32 s18, s8, 1
	s_mov_b32 s19, 0
	s_lshl_b64 s[20:21], s[18:19], 2
	s_add_u32 s20, s12, s20
	s_mov_b32 s9, s19
	s_addc_u32 s21, s13, s21
	s_lshl_b64 s[18:19], s[8:9], 2
	s_add_u32 s18, s12, s18
	s_addc_u32 s19, s13, s19
	s_load_dword s7, s[20:21], 0x0
	s_load_dword s11, s[18:19], 0x0
	s_waitcnt lgkmcnt(0)
	s_sub_i32 s7, s7, s11
	s_cmp_eq_u32 s7, 1
	s_cselect_b64 s[18:19], -1, 0
	s_andn2_b64 vcc, exec, s[16:17]
	s_cbranch_vccnz .LBB524_3
.LBB524_2:
	s_mov_b32 s9, 0
	s_mov_b64 s[18:19], -1
.LBB524_3:
	s_andn2_b64 vcc, exec, s[18:19]
	s_cbranch_vccnz .LBB524_10
; %bb.4:
	s_load_dwordx2 s[18:19], s[4:5], 0x28
	s_lshl_b64 s[16:17], s[8:9], 2
	s_waitcnt lgkmcnt(0)
	s_add_u32 s18, s18, s16
	s_addc_u32 s19, s19, s17
	s_load_dword s7, s[18:19], 0x0
	s_lshl_b32 s6, s6, 8
	s_waitcnt lgkmcnt(0)
	s_cmp_ge_i32 s6, s7
	s_cbranch_scc1 .LBB524_10
; %bb.5:
	s_andn2_b64 vcc, exec, s[14:15]
	s_cbranch_vccnz .LBB524_7
; %bb.6:
	s_add_u32 s6, s12, s16
	s_addc_u32 s7, s13, s17
	s_load_dword s8, s[6:7], 0x0
.LBB524_7:
	v_cmp_gt_u32_e32 vcc, 48, v0
	s_and_saveexec_b64 s[6:7], vcc
	s_cbranch_execz .LBB524_9
; %bb.8:
	s_load_dword s11, s[4:5], 0x48
	s_load_dwordx2 s[12:13], s[4:5], 0x0
	v_lshrrev_b32_e32 v1, 4, v0
	s_mul_i32 s10, s10, 3
	v_add_lshl_u32 v2, v1, s10, 7
	s_waitcnt lgkmcnt(0)
	s_ashr_i32 s9, s11, 31
	s_mul_hi_u32 s14, s8, s11
	s_mul_i32 s9, s8, s9
	s_add_i32 s9, s14, s9
	s_mul_i32 s8, s8, s11
	s_lshl_b64 s[8:9], s[8:9], 1
	s_add_u32 s8, s12, s8
	v_ashrrev_i32_e32 v3, 31, v2
	s_addc_u32 s9, s13, s9
	v_lshlrev_b64 v[2:3], 1, v[2:3]
	v_and_b32_e32 v4, 15, v0
	v_mov_b32_e32 v5, s9
	v_add_co_u32_e32 v2, vcc, s8, v2
	v_addc_co_u32_e32 v3, vcc, v5, v3, vcc
	v_lshlrev_b32_e32 v4, 4, v4
	v_add_co_u32_e32 v2, vcc, v2, v4
	v_addc_co_u32_e32 v3, vcc, 0, v3, vcc
	global_load_dwordx4 v[2:5], v[2:3], off
	v_lshlrev_b32_e32 v6, 4, v0
	v_lshlrev_b32_e32 v0, 8, v0
	v_and_b32_e32 v6, 16, v6
	v_lshlrev_b32_e32 v1, 5, v1
	v_and_b32_e32 v0, 0xe00, v0
	v_or3_b32 v0, v0, v1, v6
	s_waitcnt vmcnt(0)
	ds_write_b128 v0, v[2:5]
.LBB524_9:
	s_or_b64 exec, exec, s[6:7]
	s_waitcnt lgkmcnt(0)
	s_add_u32 s8, s4, 0x90
	s_addc_u32 s9, s5, 0
	s_getpc_b64 s[4:5]
	s_add_u32 s4, s4, __PRETTY_FUNCTION__._Z39paged_attention_ll4mi_QKV_mfma16_kernelIDF16_hLN4vllm18Fp8KVCacheDataTypeE1EDF16_Li32ELi128ELi256ELb1ELi3EL8MFMAType1EEvPKT_PKT0_S8_ifPKiSA_SA_iPKfiiiPfSD_PS3_PT2_iSC_SC_@rel32@lo+4
	s_addc_u32 s5, s5, __PRETTY_FUNCTION__._Z39paged_attention_ll4mi_QKV_mfma16_kernelIDF16_hLN4vllm18Fp8KVCacheDataTypeE1EDF16_Li32ELi128ELi256ELb1ELi3EL8MFMAType1EEvPKT_PKT0_S8_ifPKiSA_SA_iPKfiiiPfSD_PS3_PT2_iSC_SC_@rel32@hi+12
	v_mov_b32_e32 v0, 0x288
	v_mov_b32_e32 v1, s4
	;; [unrolled: 1-line block ×3, first 2 shown]
	s_barrier
	s_getpc_b64 s[6:7]
	s_add_u32 s6, s6, __assert_fail@rel32@lo+4
	s_addc_u32 s7, s7, __assert_fail@rel32@hi+12
	s_swappc_b64 s[30:31], s[6:7]
	; divergent unreachable
.LBB524_10:
	s_endpgm
.LBB524_11:
	s_mov_b64 s[18:19], 0
	s_branch .LBB524_2
	.section	.rodata,"a",@progbits
	.p2align	6, 0x0
	.amdhsa_kernel _Z39paged_attention_ll4mi_QKV_mfma16_kernelIDF16_hLN4vllm18Fp8KVCacheDataTypeE1EDF16_Li32ELi128ELi256ELb1ELi3EL8MFMAType1EEvPKT_PKT0_S8_ifPKiSA_SA_iPKfiiiPfSD_PS3_PT2_iSC_SC_
		.amdhsa_group_segment_fixed_size 8192
		.amdhsa_private_segment_fixed_size 64
		.amdhsa_kernarg_size 400
		.amdhsa_user_sgpr_count 8
		.amdhsa_user_sgpr_private_segment_buffer 1
		.amdhsa_user_sgpr_dispatch_ptr 0
		.amdhsa_user_sgpr_queue_ptr 0
		.amdhsa_user_sgpr_kernarg_segment_ptr 1
		.amdhsa_user_sgpr_dispatch_id 0
		.amdhsa_user_sgpr_flat_scratch_init 1
		.amdhsa_user_sgpr_kernarg_preload_length 0
		.amdhsa_user_sgpr_kernarg_preload_offset 0
		.amdhsa_user_sgpr_private_segment_size 0
		.amdhsa_uses_dynamic_stack 0
		.amdhsa_system_sgpr_private_segment_wavefront_offset 1
		.amdhsa_system_sgpr_workgroup_id_x 1
		.amdhsa_system_sgpr_workgroup_id_y 1
		.amdhsa_system_sgpr_workgroup_id_z 1
		.amdhsa_system_sgpr_workgroup_info 0
		.amdhsa_system_vgpr_workitem_id 0
		.amdhsa_next_free_vgpr 45
		.amdhsa_next_free_sgpr 34
		.amdhsa_accum_offset 44
		.amdhsa_reserve_vcc 1
		.amdhsa_reserve_flat_scratch 1
		.amdhsa_float_round_mode_32 0
		.amdhsa_float_round_mode_16_64 0
		.amdhsa_float_denorm_mode_32 3
		.amdhsa_float_denorm_mode_16_64 3
		.amdhsa_dx10_clamp 1
		.amdhsa_ieee_mode 1
		.amdhsa_fp16_overflow 0
		.amdhsa_tg_split 0
		.amdhsa_exception_fp_ieee_invalid_op 0
		.amdhsa_exception_fp_denorm_src 0
		.amdhsa_exception_fp_ieee_div_zero 0
		.amdhsa_exception_fp_ieee_overflow 0
		.amdhsa_exception_fp_ieee_underflow 0
		.amdhsa_exception_fp_ieee_inexact 0
		.amdhsa_exception_int_div_zero 0
	.end_amdhsa_kernel
	.section	.text._Z39paged_attention_ll4mi_QKV_mfma16_kernelIDF16_hLN4vllm18Fp8KVCacheDataTypeE1EDF16_Li32ELi128ELi256ELb1ELi3EL8MFMAType1EEvPKT_PKT0_S8_ifPKiSA_SA_iPKfiiiPfSD_PS3_PT2_iSC_SC_,"axG",@progbits,_Z39paged_attention_ll4mi_QKV_mfma16_kernelIDF16_hLN4vllm18Fp8KVCacheDataTypeE1EDF16_Li32ELi128ELi256ELb1ELi3EL8MFMAType1EEvPKT_PKT0_S8_ifPKiSA_SA_iPKfiiiPfSD_PS3_PT2_iSC_SC_,comdat
.Lfunc_end524:
	.size	_Z39paged_attention_ll4mi_QKV_mfma16_kernelIDF16_hLN4vllm18Fp8KVCacheDataTypeE1EDF16_Li32ELi128ELi256ELb1ELi3EL8MFMAType1EEvPKT_PKT0_S8_ifPKiSA_SA_iPKfiiiPfSD_PS3_PT2_iSC_SC_, .Lfunc_end524-_Z39paged_attention_ll4mi_QKV_mfma16_kernelIDF16_hLN4vllm18Fp8KVCacheDataTypeE1EDF16_Li32ELi128ELi256ELb1ELi3EL8MFMAType1EEvPKT_PKT0_S8_ifPKiSA_SA_iPKfiiiPfSD_PS3_PT2_iSC_SC_
                                        ; -- End function
	.section	.AMDGPU.csdata,"",@progbits
; Kernel info:
; codeLenInByte = 488
; NumSgprs: 40
; NumVgprs: 42
; NumAgprs: 1
; TotalNumVgprs: 45
; ScratchSize: 64
; MemoryBound: 0
; FloatMode: 240
; IeeeMode: 1
; LDSByteSize: 8192 bytes/workgroup (compile time only)
; SGPRBlocks: 4
; VGPRBlocks: 5
; NumSGPRsForWavesPerEU: 40
; NumVGPRsForWavesPerEU: 45
; AccumOffset: 44
; Occupancy: 8
; WaveLimiterHint : 1
; COMPUTE_PGM_RSRC2:SCRATCH_EN: 1
; COMPUTE_PGM_RSRC2:USER_SGPR: 8
; COMPUTE_PGM_RSRC2:TRAP_HANDLER: 0
; COMPUTE_PGM_RSRC2:TGID_X_EN: 1
; COMPUTE_PGM_RSRC2:TGID_Y_EN: 1
; COMPUTE_PGM_RSRC2:TGID_Z_EN: 1
; COMPUTE_PGM_RSRC2:TIDIG_COMP_CNT: 0
; COMPUTE_PGM_RSRC3_GFX90A:ACCUM_OFFSET: 10
; COMPUTE_PGM_RSRC3_GFX90A:TG_SPLIT: 0
	.section	.text._Z39paged_attention_ll4mi_QKV_mfma16_kernelIDF16_hLN4vllm18Fp8KVCacheDataTypeE1EDF16_Li32ELi128ELi256ELb1ELi4EL8MFMAType1EEvPKT_PKT0_S8_ifPKiSA_SA_iPKfiiiPfSD_PS3_PT2_iSC_SC_,"axG",@progbits,_Z39paged_attention_ll4mi_QKV_mfma16_kernelIDF16_hLN4vllm18Fp8KVCacheDataTypeE1EDF16_Li32ELi128ELi256ELb1ELi4EL8MFMAType1EEvPKT_PKT0_S8_ifPKiSA_SA_iPKfiiiPfSD_PS3_PT2_iSC_SC_,comdat
	.protected	_Z39paged_attention_ll4mi_QKV_mfma16_kernelIDF16_hLN4vllm18Fp8KVCacheDataTypeE1EDF16_Li32ELi128ELi256ELb1ELi4EL8MFMAType1EEvPKT_PKT0_S8_ifPKiSA_SA_iPKfiiiPfSD_PS3_PT2_iSC_SC_ ; -- Begin function _Z39paged_attention_ll4mi_QKV_mfma16_kernelIDF16_hLN4vllm18Fp8KVCacheDataTypeE1EDF16_Li32ELi128ELi256ELb1ELi4EL8MFMAType1EEvPKT_PKT0_S8_ifPKiSA_SA_iPKfiiiPfSD_PS3_PT2_iSC_SC_
	.globl	_Z39paged_attention_ll4mi_QKV_mfma16_kernelIDF16_hLN4vllm18Fp8KVCacheDataTypeE1EDF16_Li32ELi128ELi256ELb1ELi4EL8MFMAType1EEvPKT_PKT0_S8_ifPKiSA_SA_iPKfiiiPfSD_PS3_PT2_iSC_SC_
	.p2align	8
	.type	_Z39paged_attention_ll4mi_QKV_mfma16_kernelIDF16_hLN4vllm18Fp8KVCacheDataTypeE1EDF16_Li32ELi128ELi256ELb1ELi4EL8MFMAType1EEvPKT_PKT0_S8_ifPKiSA_SA_iPKfiiiPfSD_PS3_PT2_iSC_SC_,@function
_Z39paged_attention_ll4mi_QKV_mfma16_kernelIDF16_hLN4vllm18Fp8KVCacheDataTypeE1EDF16_Li32ELi128ELi256ELb1ELi4EL8MFMAType1EEvPKT_PKT0_S8_ifPKiSA_SA_iPKfiiiPfSD_PS3_PT2_iSC_SC_: ; @_Z39paged_attention_ll4mi_QKV_mfma16_kernelIDF16_hLN4vllm18Fp8KVCacheDataTypeE1EDF16_Li32ELi128ELi256ELb1ELi4EL8MFMAType1EEvPKT_PKT0_S8_ifPKiSA_SA_iPKfiiiPfSD_PS3_PT2_iSC_SC_
; %bb.0:
	s_load_dwordx2 s[12:13], s[4:5], 0x30
	s_add_u32 flat_scratch_lo, s6, s11
	s_addc_u32 flat_scratch_hi, s7, 0
	s_add_u32 s0, s0, s11
	s_addc_u32 s1, s1, 0
	s_waitcnt lgkmcnt(0)
	s_cmp_lg_u64 s[12:13], 0
	s_cselect_b64 s[14:15], -1, 0
	s_mov_b32 s6, s9
	s_mov_b64 s[16:17], 0
	s_and_b64 vcc, exec, s[14:15]
	s_mov_b32 s32, 0
	s_cbranch_vccz .LBB525_11
; %bb.1:
	s_add_i32 s18, s8, 1
	s_mov_b32 s19, 0
	s_lshl_b64 s[20:21], s[18:19], 2
	s_add_u32 s20, s12, s20
	s_mov_b32 s9, s19
	s_addc_u32 s21, s13, s21
	s_lshl_b64 s[18:19], s[8:9], 2
	s_add_u32 s18, s12, s18
	s_addc_u32 s19, s13, s19
	s_load_dword s7, s[20:21], 0x0
	s_load_dword s11, s[18:19], 0x0
	s_waitcnt lgkmcnt(0)
	s_sub_i32 s7, s7, s11
	s_cmp_eq_u32 s7, 1
	s_cselect_b64 s[18:19], -1, 0
	s_andn2_b64 vcc, exec, s[16:17]
	s_cbranch_vccnz .LBB525_3
.LBB525_2:
	s_mov_b32 s9, 0
	s_mov_b64 s[18:19], -1
.LBB525_3:
	s_andn2_b64 vcc, exec, s[18:19]
	s_cbranch_vccnz .LBB525_10
; %bb.4:
	s_load_dwordx2 s[18:19], s[4:5], 0x28
	s_lshl_b64 s[16:17], s[8:9], 2
	s_waitcnt lgkmcnt(0)
	s_add_u32 s18, s18, s16
	s_addc_u32 s19, s19, s17
	s_load_dword s7, s[18:19], 0x0
	s_lshl_b32 s6, s6, 8
	s_waitcnt lgkmcnt(0)
	s_cmp_ge_i32 s6, s7
	s_cbranch_scc1 .LBB525_10
; %bb.5:
	s_andn2_b64 vcc, exec, s[14:15]
	s_cbranch_vccnz .LBB525_7
; %bb.6:
	s_add_u32 s6, s12, s16
	s_addc_u32 s7, s13, s17
	s_load_dword s8, s[6:7], 0x0
.LBB525_7:
	v_cmp_gt_u32_e32 vcc, 64, v0
	s_and_saveexec_b64 s[6:7], vcc
	s_cbranch_execz .LBB525_9
; %bb.8:
	s_load_dword s11, s[4:5], 0x48
	s_load_dwordx2 s[12:13], s[4:5], 0x0
	v_lshrrev_b32_e32 v6, 4, v0
	v_lshlrev_b32_e32 v2, 7, v6
	v_lshl_or_b32 v2, s10, 9, v2
	s_waitcnt lgkmcnt(0)
	s_ashr_i32 s9, s11, 31
	s_mul_hi_u32 s14, s8, s11
	s_mul_i32 s9, s8, s9
	s_add_i32 s9, s14, s9
	s_mul_i32 s8, s8, s11
	s_lshl_b64 s[8:9], s[8:9], 1
	s_add_u32 s8, s12, s8
	v_ashrrev_i32_e32 v3, 31, v2
	s_addc_u32 s9, s13, s9
	v_lshlrev_b64 v[2:3], 1, v[2:3]
	v_and_b32_e32 v1, 15, v0
	v_mov_b32_e32 v4, s9
	v_add_co_u32_e32 v2, vcc, s8, v2
	v_addc_co_u32_e32 v3, vcc, v4, v3, vcc
	v_lshlrev_b32_e32 v1, 4, v1
	v_add_co_u32_e32 v2, vcc, v2, v1
	v_addc_co_u32_e32 v3, vcc, 0, v3, vcc
	global_load_dwordx4 v[2:5], v[2:3], off
	v_lshlrev_b32_e32 v1, 4, v0
	v_lshlrev_b32_e32 v0, 8, v0
	v_and_b32_e32 v1, 16, v1
	v_lshlrev_b32_e32 v6, 5, v6
	v_and_b32_e32 v0, 0xe00, v0
	v_or3_b32 v0, v0, v6, v1
	s_waitcnt vmcnt(0)
	ds_write_b128 v0, v[2:5]
.LBB525_9:
	s_or_b64 exec, exec, s[6:7]
	s_waitcnt lgkmcnt(0)
	s_add_u32 s8, s4, 0x90
	s_addc_u32 s9, s5, 0
	s_getpc_b64 s[4:5]
	s_add_u32 s4, s4, __PRETTY_FUNCTION__._Z39paged_attention_ll4mi_QKV_mfma16_kernelIDF16_hLN4vllm18Fp8KVCacheDataTypeE1EDF16_Li32ELi128ELi256ELb1ELi4EL8MFMAType1EEvPKT_PKT0_S8_ifPKiSA_SA_iPKfiiiPfSD_PS3_PT2_iSC_SC_@rel32@lo+4
	s_addc_u32 s5, s5, __PRETTY_FUNCTION__._Z39paged_attention_ll4mi_QKV_mfma16_kernelIDF16_hLN4vllm18Fp8KVCacheDataTypeE1EDF16_Li32ELi128ELi256ELb1ELi4EL8MFMAType1EEvPKT_PKT0_S8_ifPKiSA_SA_iPKfiiiPfSD_PS3_PT2_iSC_SC_@rel32@hi+12
	v_mov_b32_e32 v0, 0x288
	v_mov_b32_e32 v1, s4
	;; [unrolled: 1-line block ×3, first 2 shown]
	s_barrier
	s_getpc_b64 s[6:7]
	s_add_u32 s6, s6, __assert_fail@rel32@lo+4
	s_addc_u32 s7, s7, __assert_fail@rel32@hi+12
	s_swappc_b64 s[30:31], s[6:7]
	; divergent unreachable
.LBB525_10:
	s_endpgm
.LBB525_11:
	s_mov_b64 s[18:19], 0
	s_branch .LBB525_2
	.section	.rodata,"a",@progbits
	.p2align	6, 0x0
	.amdhsa_kernel _Z39paged_attention_ll4mi_QKV_mfma16_kernelIDF16_hLN4vllm18Fp8KVCacheDataTypeE1EDF16_Li32ELi128ELi256ELb1ELi4EL8MFMAType1EEvPKT_PKT0_S8_ifPKiSA_SA_iPKfiiiPfSD_PS3_PT2_iSC_SC_
		.amdhsa_group_segment_fixed_size 8192
		.amdhsa_private_segment_fixed_size 64
		.amdhsa_kernarg_size 400
		.amdhsa_user_sgpr_count 8
		.amdhsa_user_sgpr_private_segment_buffer 1
		.amdhsa_user_sgpr_dispatch_ptr 0
		.amdhsa_user_sgpr_queue_ptr 0
		.amdhsa_user_sgpr_kernarg_segment_ptr 1
		.amdhsa_user_sgpr_dispatch_id 0
		.amdhsa_user_sgpr_flat_scratch_init 1
		.amdhsa_user_sgpr_kernarg_preload_length 0
		.amdhsa_user_sgpr_kernarg_preload_offset 0
		.amdhsa_user_sgpr_private_segment_size 0
		.amdhsa_uses_dynamic_stack 0
		.amdhsa_system_sgpr_private_segment_wavefront_offset 1
		.amdhsa_system_sgpr_workgroup_id_x 1
		.amdhsa_system_sgpr_workgroup_id_y 1
		.amdhsa_system_sgpr_workgroup_id_z 1
		.amdhsa_system_sgpr_workgroup_info 0
		.amdhsa_system_vgpr_workitem_id 0
		.amdhsa_next_free_vgpr 45
		.amdhsa_next_free_sgpr 34
		.amdhsa_accum_offset 44
		.amdhsa_reserve_vcc 1
		.amdhsa_reserve_flat_scratch 1
		.amdhsa_float_round_mode_32 0
		.amdhsa_float_round_mode_16_64 0
		.amdhsa_float_denorm_mode_32 3
		.amdhsa_float_denorm_mode_16_64 3
		.amdhsa_dx10_clamp 1
		.amdhsa_ieee_mode 1
		.amdhsa_fp16_overflow 0
		.amdhsa_tg_split 0
		.amdhsa_exception_fp_ieee_invalid_op 0
		.amdhsa_exception_fp_denorm_src 0
		.amdhsa_exception_fp_ieee_div_zero 0
		.amdhsa_exception_fp_ieee_overflow 0
		.amdhsa_exception_fp_ieee_underflow 0
		.amdhsa_exception_fp_ieee_inexact 0
		.amdhsa_exception_int_div_zero 0
	.end_amdhsa_kernel
	.section	.text._Z39paged_attention_ll4mi_QKV_mfma16_kernelIDF16_hLN4vllm18Fp8KVCacheDataTypeE1EDF16_Li32ELi128ELi256ELb1ELi4EL8MFMAType1EEvPKT_PKT0_S8_ifPKiSA_SA_iPKfiiiPfSD_PS3_PT2_iSC_SC_,"axG",@progbits,_Z39paged_attention_ll4mi_QKV_mfma16_kernelIDF16_hLN4vllm18Fp8KVCacheDataTypeE1EDF16_Li32ELi128ELi256ELb1ELi4EL8MFMAType1EEvPKT_PKT0_S8_ifPKiSA_SA_iPKfiiiPfSD_PS3_PT2_iSC_SC_,comdat
.Lfunc_end525:
	.size	_Z39paged_attention_ll4mi_QKV_mfma16_kernelIDF16_hLN4vllm18Fp8KVCacheDataTypeE1EDF16_Li32ELi128ELi256ELb1ELi4EL8MFMAType1EEvPKT_PKT0_S8_ifPKiSA_SA_iPKfiiiPfSD_PS3_PT2_iSC_SC_, .Lfunc_end525-_Z39paged_attention_ll4mi_QKV_mfma16_kernelIDF16_hLN4vllm18Fp8KVCacheDataTypeE1EDF16_Li32ELi128ELi256ELb1ELi4EL8MFMAType1EEvPKT_PKT0_S8_ifPKiSA_SA_iPKfiiiPfSD_PS3_PT2_iSC_SC_
                                        ; -- End function
	.section	.AMDGPU.csdata,"",@progbits
; Kernel info:
; codeLenInByte = 488
; NumSgprs: 40
; NumVgprs: 42
; NumAgprs: 1
; TotalNumVgprs: 45
; ScratchSize: 64
; MemoryBound: 0
; FloatMode: 240
; IeeeMode: 1
; LDSByteSize: 8192 bytes/workgroup (compile time only)
; SGPRBlocks: 4
; VGPRBlocks: 5
; NumSGPRsForWavesPerEU: 40
; NumVGPRsForWavesPerEU: 45
; AccumOffset: 44
; Occupancy: 8
; WaveLimiterHint : 1
; COMPUTE_PGM_RSRC2:SCRATCH_EN: 1
; COMPUTE_PGM_RSRC2:USER_SGPR: 8
; COMPUTE_PGM_RSRC2:TRAP_HANDLER: 0
; COMPUTE_PGM_RSRC2:TGID_X_EN: 1
; COMPUTE_PGM_RSRC2:TGID_Y_EN: 1
; COMPUTE_PGM_RSRC2:TGID_Z_EN: 1
; COMPUTE_PGM_RSRC2:TIDIG_COMP_CNT: 0
; COMPUTE_PGM_RSRC3_GFX90A:ACCUM_OFFSET: 10
; COMPUTE_PGM_RSRC3_GFX90A:TG_SPLIT: 0
	.section	.text._Z38paged_attention_ll4mi_QKV_mfma4_kernelIDF16_hLN4vllm18Fp8KVCacheDataTypeE1EDF16_Li32ELi128ELi256ELb0ELi1EEvPKT_PKT0_S7_ifPKiS9_S9_iPKfiiiPfSC_PS2_PT2_iSB_SB_,"axG",@progbits,_Z38paged_attention_ll4mi_QKV_mfma4_kernelIDF16_hLN4vllm18Fp8KVCacheDataTypeE1EDF16_Li32ELi128ELi256ELb0ELi1EEvPKT_PKT0_S7_ifPKiS9_S9_iPKfiiiPfSC_PS2_PT2_iSB_SB_,comdat
	.protected	_Z38paged_attention_ll4mi_QKV_mfma4_kernelIDF16_hLN4vllm18Fp8KVCacheDataTypeE1EDF16_Li32ELi128ELi256ELb0ELi1EEvPKT_PKT0_S7_ifPKiS9_S9_iPKfiiiPfSC_PS2_PT2_iSB_SB_ ; -- Begin function _Z38paged_attention_ll4mi_QKV_mfma4_kernelIDF16_hLN4vllm18Fp8KVCacheDataTypeE1EDF16_Li32ELi128ELi256ELb0ELi1EEvPKT_PKT0_S7_ifPKiS9_S9_iPKfiiiPfSC_PS2_PT2_iSB_SB_
	.globl	_Z38paged_attention_ll4mi_QKV_mfma4_kernelIDF16_hLN4vllm18Fp8KVCacheDataTypeE1EDF16_Li32ELi128ELi256ELb0ELi1EEvPKT_PKT0_S7_ifPKiS9_S9_iPKfiiiPfSC_PS2_PT2_iSB_SB_
	.p2align	8
	.type	_Z38paged_attention_ll4mi_QKV_mfma4_kernelIDF16_hLN4vllm18Fp8KVCacheDataTypeE1EDF16_Li32ELi128ELi256ELb0ELi1EEvPKT_PKT0_S7_ifPKiS9_S9_iPKfiiiPfSC_PS2_PT2_iSB_SB_,@function
_Z38paged_attention_ll4mi_QKV_mfma4_kernelIDF16_hLN4vllm18Fp8KVCacheDataTypeE1EDF16_Li32ELi128ELi256ELb0ELi1EEvPKT_PKT0_S7_ifPKiS9_S9_iPKfiiiPfSC_PS2_PT2_iSB_SB_: ; @_Z38paged_attention_ll4mi_QKV_mfma4_kernelIDF16_hLN4vllm18Fp8KVCacheDataTypeE1EDF16_Li32ELi128ELi256ELb0ELi1EEvPKT_PKT0_S7_ifPKiS9_S9_iPKfiiiPfSC_PS2_PT2_iSB_SB_
; %bb.0:
	s_load_dwordx2 s[24:25], s[4:5], 0x30
	s_add_u32 s0, s0, s11
	s_addc_u32 s1, s1, 0
	s_mov_b32 s28, s9
	s_mov_b64 s[6:7], 0
	s_waitcnt lgkmcnt(0)
	s_cmp_lg_u64 s[24:25], 0
	s_cselect_b64 s[26:27], -1, 0
	s_and_b64 vcc, exec, s[26:27]
	s_cbranch_vccz .LBB526_10
; %bb.1:
	s_add_i32 s12, s8, 1
	s_mov_b32 s13, 0
	s_lshl_b64 s[14:15], s[12:13], 2
	s_add_u32 s14, s24, s14
	s_mov_b32 s9, s13
	s_addc_u32 s15, s25, s15
	s_lshl_b64 s[12:13], s[8:9], 2
	s_add_u32 s12, s24, s12
	s_addc_u32 s13, s25, s13
	s_load_dword s11, s[14:15], 0x0
	s_load_dword s16, s[12:13], 0x0
	s_waitcnt lgkmcnt(0)
	s_sub_i32 s11, s11, s16
	s_cmp_eq_u32 s11, 1
	s_cselect_b64 s[12:13], -1, 0
	s_andn2_b64 vcc, exec, s[6:7]
	s_cbranch_vccnz .LBB526_3
.LBB526_2:
	s_mov_b32 s9, 0
	s_mov_b64 s[12:13], -1
.LBB526_3:
	s_andn2_b64 vcc, exec, s[12:13]
	s_cbranch_vccnz .LBB526_1178
; %bb.4:
	s_load_dword s11, s[4:5], 0x9c
	s_load_dwordx2 s[6:7], s[4:5], 0x28
	s_add_u32 s34, s4, 0x90
	s_addc_u32 s35, s5, 0
	s_lshl_b64 s[38:39], s[8:9], 2
	s_waitcnt lgkmcnt(0)
	s_and_b32 s11, s11, 0xffff
	s_add_u32 s6, s6, s38
	s_addc_u32 s7, s7, s39
	s_load_dword s9, s[6:7], 0x0
	s_mul_i32 s14, s28, s11
	s_waitcnt lgkmcnt(0)
	s_cmp_ge_i32 s14, s9
	s_cbranch_scc1 .LBB526_1178
; %bb.5:
	v_and_b32_e32 v1, 0xc0, v0
	v_add_u32_e32 v7, s14, v1
	v_lshrrev_b32_e32 v42, 6, v0
	v_cmp_le_i32_e64 s[6:7], s9, v7
                                        ; implicit-def: $sgpr29
                                        ; implicit-def: $sgpr15
	s_and_saveexec_b64 s[12:13], s[6:7]
	s_xor_b64 s[12:13], exec, s[12:13]
	s_cbranch_execz .LBB526_7
; %bb.6:
	v_mul_u32_u24_e32 v1, 20, v42
	v_or_b32_e32 v1, 0x1400, v1
	v_mov_b32_e32 v2, 0x1450
	v_mov_b32_e32 v3, 0xff7fffff
	v_mad_u32_u24 v2, v42, 20, v2
	ds_write2_b32 v1, v3, v3 offset1:1
	v_mov_b32_e32 v1, 0
	ds_write2_b32 v2, v1, v1 offset1:1
	v_mov_b32_e32 v2, 0x1408
	s_mov_b32 s15, 0xff7fffff
	s_mov_b32 s29, 0
	v_mad_u32_u24 v2, v42, 20, v2
	v_mov_b32_e32 v4, 0x1458
	v_mad_u32_u24 v4, v42, 20, v4
	ds_write2_b32 v2, v3, v3 offset1:1
	ds_write2_b32 v4, v1, v1 offset1:1
                                        ; implicit-def: $vgpr7
.LBB526_7:
	s_or_saveexec_b64 s[36:37], s[12:13]
	s_load_dwordx2 s[30:31], s[4:5], 0x68
	s_load_dwordx4 s[20:23], s[4:5], 0x58
	s_load_dword s11, s[34:35], 0x4
	s_load_dwordx4 s[16:19], s[4:5], 0x80
	v_and_b32_e32 v1, 63, v0
	v_and_b32_e32 v43, 3, v0
	v_mov_b32_e32 v5, s29
	v_mov_b32_e32 v6, s15
	;; [unrolled: 1-line block ×5, first 2 shown]
	s_xor_b64 exec, exec, s[36:37]
	s_cbranch_execz .LBB526_785
; %bb.8:
	s_add_i32 s29, s9, 31
	s_load_dwordx2 s[12:13], s[4:5], 0x20
	s_load_dword s15, s[4:5], 0x38
	s_ashr_i32 s33, s29, 31
	s_lshr_b32 s33, s33, 27
	v_add_u32_e32 v44, s14, v0
	s_add_i32 s29, s29, s33
	v_ashrrev_i32_e32 v2, 31, v44
	s_ashr_i32 s29, s29, 5
	v_lshrrev_b32_e32 v2, 27, v2
	s_add_i32 s29, s29, -1
	v_add_u32_e32 v2, v44, v2
	s_waitcnt lgkmcnt(0)
	s_mul_i32 s40, s8, s15
	s_mov_b32 s41, 0
	v_ashrrev_i32_e32 v2, 5, v2
	v_mov_b32_e32 v3, s29
	v_cmp_gt_i32_e32 vcc, s9, v44
	s_lshl_b64 s[40:41], s[40:41], 2
	v_cndmask_b32_e32 v2, v3, v2, vcc
	s_add_u32 s12, s12, s40
	v_ashrrev_i32_e32 v3, 31, v2
	s_addc_u32 s13, s13, s41
	v_lshlrev_b64 v[2:3], 2, v[2:3]
	v_mov_b32_e32 v4, s13
	v_add_co_u32_e32 v2, vcc, s12, v2
	v_addc_co_u32_e32 v3, vcc, v4, v3, vcc
	v_ashrrev_i32_e32 v4, 31, v7
	v_lshrrev_b32_e32 v4, 27, v4
	v_add_u32_e32 v4, v7, v4
	v_ashrrev_i32_e32 v6, 5, v4
	v_min_i32_e32 v4, s29, v6
	v_ashrrev_i32_e32 v5, 31, v4
	v_lshlrev_b64 v[4:5], 2, v[4:5]
	v_add_u32_e32 v6, 1, v6
	v_mov_b32_e32 v7, s13
	v_add_co_u32_e32 v4, vcc, s12, v4
	v_min_i32_e32 v6, s29, v6
	v_addc_co_u32_e32 v5, vcc, v7, v5, vcc
	v_ashrrev_i32_e32 v7, 31, v6
	v_lshlrev_b64 v[6:7], 2, v[6:7]
	v_mov_b32_e32 v8, s13
	v_add_co_u32_e32 v10, vcc, s12, v6
	v_addc_co_u32_e32 v11, vcc, v8, v7, vcc
	global_load_dword v6, v[2:3], off
	global_load_dword v8, v[4:5], off
	;; [unrolled: 1-line block ×3, first 2 shown]
	s_load_dwordx4 s[12:15], s[4:5], 0x8
	s_andn2_b64 vcc, exec, s[26:27]
	s_cbranch_vccnz .LBB526_11
; %bb.9:
	s_add_u32 s24, s24, s38
	s_addc_u32 s25, s25, s39
	s_load_dword s29, s[24:25], 0x0
	s_branch .LBB526_12
.LBB526_10:
	s_mov_b64 s[12:13], 0
	s_branch .LBB526_2
.LBB526_11:
	s_mov_b32 s29, s8
.LBB526_12:
	s_load_dwordx4 s[24:27], s[4:5], 0x48
	v_cmp_eq_u32_e32 vcc, 0, v43
	s_mov_b32 s41, 0
	v_mov_b32_e32 v39, 0
	v_mov_b32_e32 v2, 0
	;; [unrolled: 1-line block ×5, first 2 shown]
	s_and_saveexec_b64 s[38:39], vcc
	s_cbranch_execz .LBB526_14
; %bb.13:
	s_load_dwordx2 s[42:43], s[4:5], 0x0
	s_waitcnt lgkmcnt(0)
	s_ashr_i32 s27, s24, 31
	s_mul_hi_u32 s33, s29, s24
	s_mul_i32 s27, s29, s27
	s_add_i32 s45, s33, s27
	s_mul_i32 s44, s29, s24
	s_lshl_b64 s[44:45], s[44:45], 1
	s_add_u32 s24, s42, s44
	s_addc_u32 s27, s43, s45
	s_lshl_b32 s40, s10, 7
	s_lshl_b64 s[40:41], s[40:41], 1
	s_add_u32 s40, s24, s40
	s_addc_u32 s41, s27, s41
	v_lshlrev_b32_e32 v2, 2, v1
	global_load_dwordx4 v[2:5], v2, s[40:41]
.LBB526_14:
	s_or_b64 exec, exec, s[38:39]
	s_waitcnt lgkmcnt(0)
	s_mul_i32 s24, s10, s26
	s_waitcnt vmcnt(1)
	v_mul_hi_i32 v9, v8, s25
	s_add_u32 s26, s24, s12
	v_ashrrev_i32_e32 v9, 31, v9
	s_addc_u32 s27, 0, s13
	v_lshrrev_b32_e32 v38, 29, v9
	s_add_u32 s14, s14, s24
	v_mad_i64_i32 v[8:9], s[12:13], v8, s25, v[38:39]
	s_addc_u32 s15, s15, 0
	v_and_b32_e32 v8, -8, v8
	v_mov_b32_e32 v10, s15
	v_add_co_u32_e64 v8, s[12:13], s14, v8
	v_addc_co_u32_e64 v9, s[12:13], v10, v9, s[12:13]
	v_lshlrev_b32_e32 v16, 5, v1
	v_add_co_u32_e64 v12, s[12:13], v8, v16
	v_addc_co_u32_e64 v13, s[12:13], 0, v9, s[12:13]
	global_load_dwordx4 v[8:11], v[12:13], off
	global_load_dwordx4 v[46:49], v[12:13], off offset:16
	s_waitcnt vmcnt(2)
	v_mul_hi_i32 v15, v7, s25
	v_lshlrev_b32_e32 v14, 4, v0
	v_ashrrev_i32_e32 v18, 31, v15
	v_and_b32_e32 v17, 0x1f0, v14
	v_pk_mov_b32 v[14:15], s[26:27], s[26:27] op_sel:[0,1]
	v_lshrrev_b32_e32 v38, 29, v18
	v_mad_i64_i32 v[14:15], s[12:13], v6, s25, v[14:15]
	v_mad_i64_i32 v[6:7], s[12:13], v7, s25, v[38:39]
	v_add_co_u32_e64 v40, s[12:13], v14, v17
	v_addc_co_u32_e64 v41, s[12:13], 0, v15, s[12:13]
	v_and_b32_e32 v6, -8, v6
	v_mov_b32_e32 v14, s15
	v_add_co_u32_e64 v6, s[12:13], s14, v6
	v_addc_co_u32_e64 v7, s[12:13], v14, v7, s[12:13]
	v_add_co_u32_e64 v6, s[12:13], v6, v16
	v_addc_co_u32_e64 v7, s[12:13], 0, v7, s[12:13]
	global_load_dwordx4 v[50:53], v[12:13], off offset:2064
	global_load_dwordx4 v[54:57], v[12:13], off offset:2048
	;; [unrolled: 1-line block ×3, first 2 shown]
	global_load_dwordx4 v[62:65], v[6:7], off
	global_load_dwordx4 v[34:37], v[40:41], off
	global_load_dwordx4 v[30:33], v[40:41], off offset:512
	global_load_dwordx4 v[26:29], v[40:41], off offset:1024
	;; [unrolled: 1-line block ×5, first 2 shown]
	v_mov_b32_e32 v45, 0
	s_waitcnt vmcnt(11)
	buffer_store_dword v9, off, s[0:3], 0 offset:4
	buffer_store_dword v8, off, s[0:3], 0
	buffer_store_dword v11, off, s[0:3], 0 offset:12
	buffer_store_dword v10, off, s[0:3], 0 offset:8
	global_load_dwordx4 v[18:21], v[40:41], off offset:2048
	global_load_dwordx4 v[14:17], v[40:41], off offset:2560
	s_waitcnt vmcnt(16)
	buffer_store_dword v47, off, s[0:3], 0 offset:20
	buffer_store_dword v46, off, s[0:3], 0 offset:16
	;; [unrolled: 1-line block ×4, first 2 shown]
	global_load_dwordx4 v[10:13], v[40:41], off offset:3072
	global_load_dwordx4 v[6:9], v[40:41], off offset:3584
	s_waitcnt vmcnt(20)
	buffer_store_dword v55, off, s[0:3], 0 offset:68
	buffer_store_dword v54, off, s[0:3], 0 offset:64
	buffer_store_dword v57, off, s[0:3], 0 offset:76
	buffer_store_dword v56, off, s[0:3], 0 offset:72
	buffer_store_dword v51, off, s[0:3], 0 offset:84
	buffer_store_dword v50, off, s[0:3], 0 offset:80
	buffer_store_dword v53, off, s[0:3], 0 offset:92
	buffer_store_dword v52, off, s[0:3], 0 offset:88
	s_waitcnt vmcnt(26)
	buffer_store_dword v63, off, s[0:3], 0 offset:36
	buffer_store_dword v62, off, s[0:3], 0 offset:32
	buffer_store_dword v65, off, s[0:3], 0 offset:44
	buffer_store_dword v64, off, s[0:3], 0 offset:40
	buffer_store_dword v59, off, s[0:3], 0 offset:52
	buffer_store_dword v58, off, s[0:3], 0 offset:48
	buffer_store_dword v61, off, s[0:3], 0 offset:60
	buffer_store_dword v60, off, s[0:3], 0 offset:56
	;; [unrolled: 9-line block ×3, first 2 shown]
	v_cmp_ne_u16_sdwa s[12:13], v34, v39 src0_sel:BYTE_0 src1_sel:DWORD
	s_and_saveexec_b64 s[14:15], s[12:13]
	s_cbranch_execz .LBB526_20
; %bb.15:
	s_movk_i32 s12, 0x80
	v_cmp_ne_u16_sdwa s[12:13], v34, s12 src0_sel:BYTE_0 src1_sel:DWORD
	v_bfrev_b32_e32 v45, 1
	s_and_saveexec_b64 s[24:25], s[12:13]
	s_cbranch_execz .LBB526_19
; %bb.16:
	s_movk_i32 s12, 0x7f
	v_and_b32_e32 v38, 0x7f, v34
	v_cmp_ne_u32_e64 s[12:13], s12, v38
	v_mov_b32_e32 v45, 0x7f800001
	s_and_saveexec_b64 s[26:27], s[12:13]
	s_cbranch_execz .LBB526_18
; %bb.17:
	v_and_b32_e32 v40, 7, v34
	v_ffbh_u32_e32 v40, v40
	v_min_u32_e32 v40, 32, v40
	v_lshrrev_b32_e32 v41, 3, v38
	v_subrev_u32_e32 v45, 28, v40
	v_sub_u32_e32 v40, 29, v40
	v_cmp_gt_u32_e64 s[12:13], 8, v38
	v_cndmask_b32_e64 v38, v41, v40, s[12:13]
	v_cndmask_b32_e64 v40, 0, v45, s[12:13]
	v_lshlrev_b64 v[40:41], v40, v[34:35]
	v_lshlrev_b32_e32 v40, 20, v40
	v_lshlrev_b32_e32 v41, 24, v34
	v_bfrev_b32_e32 v45, 60
	v_and_b32_e32 v40, 0x700000, v40
	v_and_b32_e32 v41, 0x80000000, v41
	v_lshl_add_u32 v38, v38, 23, v45
	v_or3_b32 v45, v41, v38, v40
.LBB526_18:
	s_or_b64 exec, exec, s[26:27]
.LBB526_19:
	s_or_b64 exec, exec, s[24:25]
.LBB526_20:
	s_or_b64 exec, exec, s[14:15]
	v_lshrrev_b16_e32 v38, 8, v34
	v_cmp_ne_u16_e64 s[12:13], 0, v38
	s_and_saveexec_b64 s[14:15], s[12:13]
	s_cbranch_execz .LBB526_26
; %bb.21:
	s_movk_i32 s12, 0x80
	v_cmp_ne_u16_e64 s[12:13], s12, v38
	v_bfrev_b32_e32 v39, 1
	s_and_saveexec_b64 s[24:25], s[12:13]
	s_cbranch_execz .LBB526_25
; %bb.22:
	s_movk_i32 s12, 0x7f
	v_and_b32_e32 v40, 0x7f, v38
	v_cmp_ne_u32_e64 s[12:13], s12, v40
	v_mov_b32_e32 v39, 0x7f800001
	s_and_saveexec_b64 s[26:27], s[12:13]
	s_cbranch_execz .LBB526_24
; %bb.23:
	v_and_b32_e32 v41, 7, v38
	v_ffbh_u32_e32 v39, v41
	v_min_u32_e32 v47, 32, v39
	v_subrev_u32_e32 v39, 28, v47
	v_lshlrev_b64 v[38:39], v39, v[38:39]
	v_lshrrev_b32_e32 v46, 3, v40
	v_sub_u32_e32 v39, 29, v47
	v_and_b32_e32 v38, 7, v38
	v_cmp_gt_u32_e64 s[12:13], 8, v40
	v_cndmask_b32_e64 v39, v46, v39, s[12:13]
	v_cndmask_b32_e64 v38, v41, v38, s[12:13]
	v_lshlrev_b32_e32 v40, 16, v34
	v_bfrev_b32_e32 v41, 60
	v_lshlrev_b32_e32 v38, 20, v38
	v_and_b32_e32 v40, 0x80000000, v40
	v_lshl_add_u32 v39, v39, 23, v41
	v_or3_b32 v39, v40, v39, v38
.LBB526_24:
	s_or_b64 exec, exec, s[26:27]
.LBB526_25:
	s_or_b64 exec, exec, s[24:25]
.LBB526_26:
	s_or_b64 exec, exec, s[14:15]
	s_movk_i32 s12, 0xff
	v_and_b32_sdwa v40, v34, s12 dst_sel:DWORD dst_unused:UNUSED_PAD src0_sel:WORD_1 src1_sel:DWORD
	v_lshrrev_b32_e32 v38, 16, v34
	v_cmp_ne_u16_e64 s[12:13], 0, v40
	v_mov_b32_e32 v46, 0
	v_mov_b32_e32 v47, 0
	s_and_saveexec_b64 s[14:15], s[12:13]
	s_cbranch_execz .LBB526_32
; %bb.27:
	s_movk_i32 s12, 0x80
	v_cmp_ne_u16_e64 s[12:13], s12, v40
	v_bfrev_b32_e32 v47, 1
	s_and_saveexec_b64 s[24:25], s[12:13]
	s_cbranch_execz .LBB526_31
; %bb.28:
	v_bfe_u32 v40, v34, 16, 7
	s_movk_i32 s12, 0x7f
	v_cmp_ne_u32_e64 s[12:13], s12, v40
	v_mov_b32_e32 v47, 0x7f800001
	s_and_saveexec_b64 s[26:27], s[12:13]
	s_cbranch_execz .LBB526_30
; %bb.29:
	v_and_b32_e32 v41, 7, v38
	v_ffbh_u32_e32 v48, v41
	v_min_u32_e32 v50, 32, v48
	v_subrev_u32_e32 v48, 28, v50
	v_lshlrev_b64 v[48:49], v48, v[38:39]
	v_and_b32_e32 v48, 7, v48
	v_cmp_gt_u32_e64 s[12:13], 8, v40
	v_lshrrev_b32_e32 v47, 3, v40
	v_sub_u32_e32 v38, 29, v50
	v_cndmask_b32_e64 v40, v41, v48, s[12:13]
	v_mov_b32_e32 v41, 24
	v_cndmask_b32_e64 v38, v47, v38, s[12:13]
	v_lshlrev_b32_sdwa v41, v41, v34 dst_sel:DWORD dst_unused:UNUSED_PAD src0_sel:DWORD src1_sel:WORD_1
	v_bfrev_b32_e32 v47, 60
	v_lshlrev_b32_e32 v40, 20, v40
	v_and_b32_e32 v41, 0x80000000, v41
	v_lshl_add_u32 v38, v38, 23, v47
	v_or3_b32 v47, v41, v38, v40
.LBB526_30:
	s_or_b64 exec, exec, s[26:27]
.LBB526_31:
	s_or_b64 exec, exec, s[24:25]
.LBB526_32:
	s_or_b64 exec, exec, s[14:15]
	s_mov_b32 s12, 0xffffff
	v_cmp_lt_u32_e64 s[12:13], s12, v34
	s_and_saveexec_b64 s[14:15], s[12:13]
	s_cbranch_execz .LBB526_38
; %bb.33:
	v_lshrrev_b32_e32 v38, 24, v34
	s_movk_i32 s12, 0x80
	v_cmp_ne_u32_e64 s[12:13], s12, v38
	v_bfrev_b32_e32 v46, 1
	s_and_saveexec_b64 s[24:25], s[12:13]
	s_cbranch_execz .LBB526_37
; %bb.34:
	v_bfe_u32 v40, v34, 24, 7
	s_movk_i32 s12, 0x7f
	v_cmp_ne_u32_e64 s[12:13], s12, v40
	v_mov_b32_e32 v46, 0x7f800001
	s_and_saveexec_b64 s[26:27], s[12:13]
	s_cbranch_execz .LBB526_36
; %bb.35:
	v_and_b32_e32 v41, 7, v38
	v_ffbh_u32_e32 v48, v41
	v_min_u32_e32 v50, 32, v48
	v_subrev_u32_e32 v48, 28, v50
	v_lshlrev_b64 v[48:49], v48, v[38:39]
	v_lshrrev_b32_e32 v46, 3, v40
	v_sub_u32_e32 v49, 29, v50
	v_and_b32_e32 v48, 7, v48
	v_cmp_gt_u32_e64 s[12:13], 8, v40
	v_cndmask_b32_e64 v40, v46, v49, s[12:13]
	v_cndmask_b32_e64 v41, v41, v48, s[12:13]
	v_lshlrev_b32_e32 v38, 24, v38
	v_bfrev_b32_e32 v46, 60
	v_lshlrev_b32_e32 v41, 20, v41
	v_and_b32_e32 v38, 0x80000000, v38
	v_lshl_add_u32 v40, v40, 23, v46
	v_or3_b32 v46, v38, v40, v41
.LBB526_36:
	s_or_b64 exec, exec, s[26:27]
.LBB526_37:
	s_or_b64 exec, exec, s[24:25]
.LBB526_38:
	s_or_b64 exec, exec, s[14:15]
	v_mov_b32_e32 v41, 0
	v_mov_b32_e32 v40, v35
	v_cmp_ne_u16_sdwa s[12:13], v35, v41 src0_sel:BYTE_0 src1_sel:DWORD
	v_mov_b32_e32 v48, v41
	s_and_saveexec_b64 s[14:15], s[12:13]
	s_cbranch_execz .LBB526_44
; %bb.39:
	s_movk_i32 s12, 0x80
	v_cmp_ne_u16_sdwa s[12:13], v35, s12 src0_sel:BYTE_0 src1_sel:DWORD
	v_bfrev_b32_e32 v48, 1
	s_and_saveexec_b64 s[24:25], s[12:13]
	s_cbranch_execz .LBB526_43
; %bb.40:
	s_movk_i32 s12, 0x7f
	v_and_b32_e32 v38, 0x7f, v35
	v_cmp_ne_u32_e64 s[12:13], s12, v38
	v_mov_b32_e32 v48, 0x7f800001
	s_and_saveexec_b64 s[26:27], s[12:13]
	s_cbranch_execz .LBB526_42
; %bb.41:
	v_and_b32_e32 v48, 7, v35
	v_ffbh_u32_e32 v48, v48
	v_min_u32_e32 v48, 32, v48
	v_lshrrev_b32_e32 v49, 3, v38
	v_subrev_u32_e32 v50, 28, v48
	v_sub_u32_e32 v48, 29, v48
	v_cmp_gt_u32_e64 s[12:13], 8, v38
	v_cndmask_b32_e64 v38, v49, v48, s[12:13]
	v_cndmask_b32_e64 v48, 0, v50, s[12:13]
	v_lshlrev_b64 v[48:49], v48, v[40:41]
	v_lshlrev_b32_e32 v48, 20, v48
	v_lshlrev_b32_e32 v49, 24, v40
	v_bfrev_b32_e32 v50, 60
	v_and_b32_e32 v48, 0x700000, v48
	v_and_b32_e32 v49, 0x80000000, v49
	v_lshl_add_u32 v38, v38, 23, v50
	v_or3_b32 v48, v49, v38, v48
.LBB526_42:
	s_or_b64 exec, exec, s[26:27]
.LBB526_43:
	s_or_b64 exec, exec, s[24:25]
.LBB526_44:
	s_or_b64 exec, exec, s[14:15]
	v_lshrrev_b16_e32 v38, 8, v40
	v_cmp_ne_u16_e64 s[12:13], 0, v38
	s_and_saveexec_b64 s[14:15], s[12:13]
	s_cbranch_execz .LBB526_50
; %bb.45:
	s_movk_i32 s12, 0x80
	v_cmp_ne_u16_e64 s[12:13], s12, v38
	v_bfrev_b32_e32 v41, 1
	s_and_saveexec_b64 s[24:25], s[12:13]
	s_cbranch_execz .LBB526_49
; %bb.46:
	s_movk_i32 s12, 0x7f
	v_and_b32_e32 v49, 0x7f, v38
	v_cmp_ne_u32_e64 s[12:13], s12, v49
	v_mov_b32_e32 v41, 0x7f800001
	s_and_saveexec_b64 s[26:27], s[12:13]
	s_cbranch_execz .LBB526_48
; %bb.47:
	v_and_b32_e32 v41, 7, v38
	v_ffbh_u32_e32 v50, v41
	v_min_u32_e32 v53, 32, v50
	v_subrev_u32_e32 v50, 28, v53
	v_lshlrev_b64 v[50:51], v50, v[38:39]
	v_lshrrev_b32_e32 v52, 3, v49
	v_sub_u32_e32 v38, 29, v53
	v_and_b32_e32 v50, 7, v50
	v_cmp_gt_u32_e64 s[12:13], 8, v49
	v_cndmask_b32_e64 v38, v52, v38, s[12:13]
	v_cndmask_b32_e64 v41, v41, v50, s[12:13]
	v_lshlrev_b32_e32 v40, 16, v40
	v_bfrev_b32_e32 v49, 60
	v_lshlrev_b32_e32 v41, 20, v41
	v_and_b32_e32 v40, 0x80000000, v40
	v_lshl_add_u32 v38, v38, 23, v49
	v_or3_b32 v41, v40, v38, v41
.LBB526_48:
	s_or_b64 exec, exec, s[26:27]
.LBB526_49:
	s_or_b64 exec, exec, s[24:25]
.LBB526_50:
	s_or_b64 exec, exec, s[14:15]
	s_movk_i32 s12, 0xff
	v_and_b32_sdwa v50, v35, s12 dst_sel:DWORD dst_unused:UNUSED_PAD src0_sel:WORD_1 src1_sel:DWORD
	v_lshrrev_b32_e32 v38, 16, v35
	v_cmp_ne_u16_e64 s[12:13], 0, v50
	v_mov_b32_e32 v40, 0
	v_mov_b32_e32 v49, 0
	s_and_saveexec_b64 s[14:15], s[12:13]
	s_cbranch_execz .LBB526_56
; %bb.51:
	s_movk_i32 s12, 0x80
	v_cmp_ne_u16_e64 s[12:13], s12, v50
	v_bfrev_b32_e32 v49, 1
	s_and_saveexec_b64 s[24:25], s[12:13]
	s_cbranch_execz .LBB526_55
; %bb.52:
	v_bfe_u32 v50, v35, 16, 7
	s_movk_i32 s12, 0x7f
	v_cmp_ne_u32_e64 s[12:13], s12, v50
	v_mov_b32_e32 v49, 0x7f800001
	s_and_saveexec_b64 s[26:27], s[12:13]
	s_cbranch_execz .LBB526_54
; %bb.53:
	v_and_b32_e32 v49, 7, v38
	v_ffbh_u32_e32 v52, v49
	v_min_u32_e32 v54, 32, v52
	v_subrev_u32_e32 v52, 28, v54
	v_lshlrev_b64 v[52:53], v52, v[38:39]
	v_lshrrev_b32_e32 v51, 3, v50
	v_sub_u32_e32 v38, 29, v54
	v_and_b32_e32 v52, 7, v52
	v_cmp_gt_u32_e64 s[12:13], 8, v50
	v_mov_b32_e32 v50, 24
	v_cndmask_b32_e64 v38, v51, v38, s[12:13]
	v_cndmask_b32_e64 v49, v49, v52, s[12:13]
	v_lshlrev_b32_sdwa v50, v50, v35 dst_sel:DWORD dst_unused:UNUSED_PAD src0_sel:DWORD src1_sel:WORD_1
	v_bfrev_b32_e32 v51, 60
	v_lshlrev_b32_e32 v49, 20, v49
	v_and_b32_e32 v50, 0x80000000, v50
	v_lshl_add_u32 v38, v38, 23, v51
	v_or3_b32 v49, v50, v38, v49
.LBB526_54:
	s_or_b64 exec, exec, s[26:27]
.LBB526_55:
	s_or_b64 exec, exec, s[24:25]
.LBB526_56:
	s_or_b64 exec, exec, s[14:15]
	s_mov_b32 s12, -1
	s_mov_b32 s13, 0xffffff
	v_cmp_lt_u64_e64 s[12:13], s[12:13], v[34:35]
	s_and_saveexec_b64 s[14:15], s[12:13]
	s_cbranch_execz .LBB526_62
; %bb.57:
	v_lshrrev_b32_e32 v34, 24, v35
	s_movk_i32 s12, 0x80
	v_cmp_ne_u32_e64 s[12:13], s12, v34
	v_bfrev_b32_e32 v40, 1
	s_and_saveexec_b64 s[24:25], s[12:13]
	s_cbranch_execz .LBB526_61
; %bb.58:
	v_bfe_u32 v35, v35, 24, 7
	s_movk_i32 s12, 0x7f
	v_cmp_ne_u32_e64 s[12:13], s12, v35
	v_mov_b32_e32 v40, 0x7f800001
	s_and_saveexec_b64 s[26:27], s[12:13]
	s_cbranch_execz .LBB526_60
; %bb.59:
	v_and_b32_e32 v38, 7, v34
	v_ffbh_u32_e32 v50, v38
	v_min_u32_e32 v52, 32, v50
	v_subrev_u32_e32 v50, 28, v52
	v_lshlrev_b64 v[50:51], v50, v[34:35]
	v_lshrrev_b32_e32 v40, 3, v35
	v_sub_u32_e32 v51, 29, v52
	v_and_b32_e32 v50, 7, v50
	v_cmp_gt_u32_e64 s[12:13], 8, v35
	v_cndmask_b32_e64 v35, v40, v51, s[12:13]
	v_cndmask_b32_e64 v38, v38, v50, s[12:13]
	v_lshlrev_b32_e32 v34, 24, v34
	v_bfrev_b32_e32 v40, 60
	v_lshlrev_b32_e32 v38, 20, v38
	v_and_b32_e32 v34, 0x80000000, v34
	v_lshl_add_u32 v35, v35, 23, v40
	v_or3_b32 v40, v34, v35, v38
.LBB526_60:
	s_or_b64 exec, exec, s[26:27]
.LBB526_61:
	s_or_b64 exec, exec, s[24:25]
.LBB526_62:
	s_or_b64 exec, exec, s[14:15]
	v_cvt_pkrtz_f16_f32 v34, v45, v39
	v_cvt_pkrtz_f16_f32 v35, v47, v46
	v_cvt_pkrtz_f16_f32 v46, v48, v41
	v_cvt_pkrtz_f16_f32 v47, v49, v40
	v_mfma_f32_4x4x4f16 a[0:3], v[2:3], v[34:35], 0 cbsz:4
	v_mov_b32_e32 v40, 0
	v_mfma_f32_4x4x4f16 a[0:3], v[4:5], v[46:47], a[0:3] cbsz:4
	v_mov_b32_e32 v39, 0
	v_cmp_ne_u16_sdwa s[12:13], v36, v40 src0_sel:BYTE_0 src1_sel:DWORD
	s_and_saveexec_b64 s[14:15], s[12:13]
	s_cbranch_execz .LBB526_68
; %bb.63:
	s_movk_i32 s12, 0x80
	v_cmp_ne_u16_sdwa s[12:13], v36, s12 src0_sel:BYTE_0 src1_sel:DWORD
	v_bfrev_b32_e32 v39, 1
	s_and_saveexec_b64 s[24:25], s[12:13]
	s_cbranch_execz .LBB526_67
; %bb.64:
	s_movk_i32 s12, 0x7f
	v_and_b32_e32 v34, 0x7f, v36
	v_cmp_ne_u32_e64 s[12:13], s12, v34
	v_mov_b32_e32 v39, 0x7f800001
	s_and_saveexec_b64 s[26:27], s[12:13]
	s_cbranch_execz .LBB526_66
; %bb.65:
	v_and_b32_e32 v35, 7, v36
	v_ffbh_u32_e32 v35, v35
	v_min_u32_e32 v35, 32, v35
	v_subrev_u32_e32 v39, 28, v35
	v_cmp_gt_u32_e64 s[12:13], 8, v34
	v_lshrrev_b32_e32 v38, 3, v34
	v_sub_u32_e32 v35, 29, v35
	v_cndmask_b32_e64 v34, 0, v39, s[12:13]
	v_cndmask_b32_e64 v38, v38, v35, s[12:13]
	v_lshlrev_b64 v[34:35], v34, v[36:37]
	v_lshlrev_b32_e32 v34, 20, v34
	v_lshlrev_b32_e32 v35, 24, v36
	v_bfrev_b32_e32 v39, 60
	v_and_b32_e32 v34, 0x700000, v34
	v_and_b32_e32 v35, 0x80000000, v35
	v_lshl_add_u32 v38, v38, 23, v39
	v_or3_b32 v39, v35, v38, v34
.LBB526_66:
	s_or_b64 exec, exec, s[26:27]
.LBB526_67:
	s_or_b64 exec, exec, s[24:25]
.LBB526_68:
	s_or_b64 exec, exec, s[14:15]
	v_lshrrev_b16_e32 v34, 8, v36
	v_cmp_ne_u16_e64 s[12:13], 0, v34
	v_mov_b32_e32 v41, 0
	s_and_saveexec_b64 s[14:15], s[12:13]
	s_cbranch_execz .LBB526_74
; %bb.69:
	s_movk_i32 s12, 0x80
	v_cmp_ne_u16_e64 s[12:13], s12, v34
	v_bfrev_b32_e32 v41, 1
	s_and_saveexec_b64 s[24:25], s[12:13]
	s_cbranch_execz .LBB526_73
; %bb.70:
	s_movk_i32 s12, 0x7f
	v_and_b32_e32 v35, 0x7f, v34
	v_cmp_ne_u32_e64 s[12:13], s12, v35
	v_mov_b32_e32 v41, 0x7f800001
	s_and_saveexec_b64 s[26:27], s[12:13]
	s_cbranch_execz .LBB526_72
; %bb.71:
	v_and_b32_e32 v38, 7, v34
	v_ffbh_u32_e32 v45, v38
	v_min_u32_e32 v45, 32, v45
	v_subrev_u32_e32 v46, 28, v45
	v_lshlrev_b64 v[46:47], v46, v[34:35]
	v_lshrrev_b32_e32 v41, 3, v35
	v_sub_u32_e32 v34, 29, v45
	v_and_b32_e32 v45, 7, v46
	v_cmp_gt_u32_e64 s[12:13], 8, v35
	v_cndmask_b32_e64 v34, v41, v34, s[12:13]
	v_cndmask_b32_e64 v35, v38, v45, s[12:13]
	v_lshlrev_b32_e32 v38, 16, v36
	v_bfrev_b32_e32 v41, 60
	v_lshlrev_b32_e32 v35, 20, v35
	v_and_b32_e32 v38, 0x80000000, v38
	v_lshl_add_u32 v34, v34, 23, v41
	v_or3_b32 v41, v38, v34, v35
.LBB526_72:
	s_or_b64 exec, exec, s[26:27]
.LBB526_73:
	s_or_b64 exec, exec, s[24:25]
.LBB526_74:
	s_or_b64 exec, exec, s[14:15]
	s_movk_i32 s12, 0xff
	v_and_b32_sdwa v35, v36, s12 dst_sel:DWORD dst_unused:UNUSED_PAD src0_sel:WORD_1 src1_sel:DWORD
	v_lshrrev_b32_e32 v34, 16, v36
	v_cmp_ne_u16_e64 s[12:13], 0, v35
	s_and_saveexec_b64 s[14:15], s[12:13]
	s_cbranch_execz .LBB526_80
; %bb.75:
	s_movk_i32 s12, 0x80
	v_cmp_ne_u16_e64 s[12:13], s12, v35
	v_bfrev_b32_e32 v40, 1
	s_and_saveexec_b64 s[24:25], s[12:13]
	s_cbranch_execz .LBB526_79
; %bb.76:
	v_bfe_u32 v35, v36, 16, 7
	s_movk_i32 s12, 0x7f
	v_cmp_ne_u32_e64 s[12:13], s12, v35
	v_mov_b32_e32 v40, 0x7f800001
	s_and_saveexec_b64 s[26:27], s[12:13]
	s_cbranch_execz .LBB526_78
; %bb.77:
	v_and_b32_e32 v38, 7, v34
	v_ffbh_u32_e32 v45, v38
	v_min_u32_e32 v45, 32, v45
	v_subrev_u32_e32 v46, 28, v45
	v_lshlrev_b64 v[46:47], v46, v[34:35]
	v_sub_u32_e32 v34, 29, v45
	v_and_b32_e32 v45, 7, v46
	v_cmp_gt_u32_e64 s[12:13], 8, v35
	v_lshrrev_b32_e32 v40, 3, v35
	v_cndmask_b32_e64 v35, v38, v45, s[12:13]
	v_mov_b32_e32 v38, 24
	v_cndmask_b32_e64 v34, v40, v34, s[12:13]
	v_lshlrev_b32_sdwa v38, v38, v36 dst_sel:DWORD dst_unused:UNUSED_PAD src0_sel:DWORD src1_sel:WORD_1
	v_bfrev_b32_e32 v40, 60
	v_lshlrev_b32_e32 v35, 20, v35
	v_and_b32_e32 v38, 0x80000000, v38
	v_lshl_add_u32 v34, v34, 23, v40
	v_or3_b32 v40, v38, v34, v35
.LBB526_78:
	s_or_b64 exec, exec, s[26:27]
.LBB526_79:
	s_or_b64 exec, exec, s[24:25]
.LBB526_80:
	s_or_b64 exec, exec, s[14:15]
	s_mov_b32 s12, 0xffffff
	v_cmp_lt_u32_e64 s[12:13], s12, v36
	v_mov_b32_e32 v35, 0
	v_mov_b32_e32 v45, 0
	s_and_saveexec_b64 s[14:15], s[12:13]
	s_cbranch_execz .LBB526_86
; %bb.81:
	v_lshrrev_b32_e32 v34, 24, v36
	s_movk_i32 s12, 0x80
	v_cmp_ne_u32_e64 s[12:13], s12, v34
	v_bfrev_b32_e32 v45, 1
	s_and_saveexec_b64 s[24:25], s[12:13]
	s_cbranch_execz .LBB526_85
; %bb.82:
	v_bfe_u32 v38, v36, 24, 7
	s_movk_i32 s12, 0x7f
	v_cmp_ne_u32_e64 s[12:13], s12, v38
	v_mov_b32_e32 v45, 0x7f800001
	s_and_saveexec_b64 s[26:27], s[12:13]
	s_cbranch_execz .LBB526_84
; %bb.83:
	v_and_b32_e32 v45, 7, v34
	v_ffbh_u32_e32 v46, v45
	v_min_u32_e32 v49, 32, v46
	v_subrev_u32_e32 v46, 28, v49
	v_lshlrev_b64 v[46:47], v46, v[34:35]
	v_lshrrev_b32_e32 v48, 3, v38
	v_sub_u32_e32 v47, 29, v49
	v_and_b32_e32 v46, 7, v46
	v_cmp_gt_u32_e64 s[12:13], 8, v38
	v_cndmask_b32_e64 v38, v48, v47, s[12:13]
	v_cndmask_b32_e64 v45, v45, v46, s[12:13]
	v_lshlrev_b32_e32 v34, 24, v34
	v_bfrev_b32_e32 v46, 60
	v_lshlrev_b32_e32 v45, 20, v45
	v_and_b32_e32 v34, 0x80000000, v34
	v_lshl_add_u32 v38, v38, 23, v46
	v_or3_b32 v45, v34, v38, v45
.LBB526_84:
	s_or_b64 exec, exec, s[26:27]
.LBB526_85:
	s_or_b64 exec, exec, s[24:25]
.LBB526_86:
	s_or_b64 exec, exec, s[14:15]
	v_mov_b32_e32 v34, v37
	v_cmp_ne_u16_sdwa s[12:13], v37, v35 src0_sel:BYTE_0 src1_sel:DWORD
	s_and_saveexec_b64 s[14:15], s[12:13]
	s_cbranch_execz .LBB526_92
; %bb.87:
	s_movk_i32 s12, 0x80
	v_cmp_ne_u16_sdwa s[12:13], v37, s12 src0_sel:BYTE_0 src1_sel:DWORD
	v_bfrev_b32_e32 v38, 1
	s_and_saveexec_b64 s[24:25], s[12:13]
	s_cbranch_execz .LBB526_91
; %bb.88:
	s_movk_i32 s12, 0x7f
	v_and_b32_e32 v46, 0x7f, v37
	v_cmp_ne_u32_e64 s[12:13], s12, v46
	v_mov_b32_e32 v38, 0x7f800001
	s_and_saveexec_b64 s[26:27], s[12:13]
	s_cbranch_execz .LBB526_90
; %bb.89:
	v_and_b32_e32 v38, 7, v37
	v_ffbh_u32_e32 v38, v38
	v_min_u32_e32 v38, 32, v38
	v_subrev_u32_e32 v48, 28, v38
	v_cmp_gt_u32_e64 s[12:13], 8, v46
	v_lshrrev_b32_e32 v47, 3, v46
	v_sub_u32_e32 v38, 29, v38
	v_cndmask_b32_e64 v46, 0, v48, s[12:13]
	v_cndmask_b32_e64 v38, v47, v38, s[12:13]
	v_lshlrev_b64 v[46:47], v46, v[34:35]
	v_lshlrev_b32_e32 v35, 20, v46
	v_lshlrev_b32_e32 v46, 24, v34
	v_bfrev_b32_e32 v47, 60
	v_and_b32_e32 v35, 0x700000, v35
	v_and_b32_e32 v46, 0x80000000, v46
	v_lshl_add_u32 v38, v38, 23, v47
	v_or3_b32 v38, v46, v38, v35
.LBB526_90:
	s_or_b64 exec, exec, s[26:27]
.LBB526_91:
	s_or_b64 exec, exec, s[24:25]
	v_mov_b32_e32 v35, v38
.LBB526_92:
	s_or_b64 exec, exec, s[14:15]
	v_lshrrev_b16_e32 v38, 8, v34
	v_cmp_ne_u16_e64 s[12:13], 0, v38
	v_mov_b32_e32 v46, 0
	v_mov_b32_e32 v47, 0
	s_and_saveexec_b64 s[14:15], s[12:13]
	s_cbranch_execz .LBB526_98
; %bb.93:
	s_movk_i32 s12, 0x80
	v_cmp_ne_u16_e64 s[12:13], s12, v38
	v_bfrev_b32_e32 v47, 1
	s_and_saveexec_b64 s[24:25], s[12:13]
	s_cbranch_execz .LBB526_97
; %bb.94:
	s_movk_i32 s12, 0x7f
	v_and_b32_e32 v48, 0x7f, v38
	v_cmp_ne_u32_e64 s[12:13], s12, v48
	v_mov_b32_e32 v47, 0x7f800001
	s_and_saveexec_b64 s[26:27], s[12:13]
	s_cbranch_execz .LBB526_96
; %bb.95:
	v_and_b32_e32 v47, 7, v38
	v_ffbh_u32_e32 v50, v47
	v_min_u32_e32 v52, 32, v50
	v_subrev_u32_e32 v50, 28, v52
	v_lshlrev_b64 v[50:51], v50, v[38:39]
	v_lshrrev_b32_e32 v49, 3, v48
	v_sub_u32_e32 v38, 29, v52
	v_and_b32_e32 v50, 7, v50
	v_cmp_gt_u32_e64 s[12:13], 8, v48
	v_cndmask_b32_e64 v38, v49, v38, s[12:13]
	v_cndmask_b32_e64 v47, v47, v50, s[12:13]
	v_lshlrev_b32_e32 v34, 16, v34
	v_bfrev_b32_e32 v48, 60
	v_lshlrev_b32_e32 v47, 20, v47
	v_and_b32_e32 v34, 0x80000000, v34
	v_lshl_add_u32 v38, v38, 23, v48
	v_or3_b32 v47, v34, v38, v47
.LBB526_96:
	s_or_b64 exec, exec, s[26:27]
.LBB526_97:
	s_or_b64 exec, exec, s[24:25]
.LBB526_98:
	s_or_b64 exec, exec, s[14:15]
	s_movk_i32 s12, 0xff
	v_and_b32_sdwa v38, v37, s12 dst_sel:DWORD dst_unused:UNUSED_PAD src0_sel:WORD_1 src1_sel:DWORD
	v_lshrrev_b32_e32 v34, 16, v37
	v_cmp_ne_u16_e64 s[12:13], 0, v38
	s_and_saveexec_b64 s[14:15], s[12:13]
	s_cbranch_execz .LBB526_104
; %bb.99:
	s_movk_i32 s12, 0x80
	v_cmp_ne_u16_e64 s[12:13], s12, v38
	v_bfrev_b32_e32 v46, 1
	s_and_saveexec_b64 s[24:25], s[12:13]
	s_cbranch_execz .LBB526_103
; %bb.100:
	v_bfe_u32 v38, v37, 16, 7
	s_movk_i32 s12, 0x7f
	v_cmp_ne_u32_e64 s[12:13], s12, v38
	v_mov_b32_e32 v46, 0x7f800001
	s_and_saveexec_b64 s[26:27], s[12:13]
	s_cbranch_execz .LBB526_102
; %bb.101:
	v_and_b32_e32 v46, 7, v34
	v_ffbh_u32_e32 v48, v46
	v_min_u32_e32 v51, 32, v48
	v_subrev_u32_e32 v48, 28, v51
	v_lshlrev_b64 v[48:49], v48, v[34:35]
	v_and_b32_e32 v48, 7, v48
	v_cmp_gt_u32_e64 s[12:13], 8, v38
	v_lshrrev_b32_e32 v50, 3, v38
	v_sub_u32_e32 v34, 29, v51
	v_cndmask_b32_e64 v38, v46, v48, s[12:13]
	v_mov_b32_e32 v46, 24
	v_cndmask_b32_e64 v34, v50, v34, s[12:13]
	v_lshlrev_b32_sdwa v46, v46, v37 dst_sel:DWORD dst_unused:UNUSED_PAD src0_sel:DWORD src1_sel:WORD_1
	v_bfrev_b32_e32 v48, 60
	v_lshlrev_b32_e32 v38, 20, v38
	v_and_b32_e32 v46, 0x80000000, v46
	v_lshl_add_u32 v34, v34, 23, v48
	v_or3_b32 v46, v46, v34, v38
.LBB526_102:
	s_or_b64 exec, exec, s[26:27]
.LBB526_103:
	s_or_b64 exec, exec, s[24:25]
.LBB526_104:
	s_or_b64 exec, exec, s[14:15]
	s_mov_b32 s12, -1
	s_mov_b32 s13, 0xffffff
	v_cmp_lt_u64_e64 s[12:13], s[12:13], v[36:37]
	v_mov_b32_e32 v38, 0
	v_mov_b32_e32 v36, 0
	s_and_saveexec_b64 s[14:15], s[12:13]
	s_cbranch_execz .LBB526_110
; %bb.105:
	v_lshrrev_b32_e32 v34, 24, v37
	s_movk_i32 s12, 0x80
	v_cmp_ne_u32_e64 s[12:13], s12, v34
	v_bfrev_b32_e32 v36, 1
	s_and_saveexec_b64 s[24:25], s[12:13]
	s_cbranch_execz .LBB526_109
; %bb.106:
	v_bfe_u32 v37, v37, 24, 7
	s_movk_i32 s12, 0x7f
	v_cmp_ne_u32_e64 s[12:13], s12, v37
	v_mov_b32_e32 v36, 0x7f800001
	s_and_saveexec_b64 s[26:27], s[12:13]
	s_cbranch_execz .LBB526_108
; %bb.107:
	v_and_b32_e32 v36, 7, v34
	v_ffbh_u32_e32 v48, v36
	v_min_u32_e32 v51, 32, v48
	v_subrev_u32_e32 v48, 28, v51
	v_lshlrev_b64 v[48:49], v48, v[34:35]
	v_lshrrev_b32_e32 v50, 3, v37
	v_sub_u32_e32 v49, 29, v51
	v_and_b32_e32 v48, 7, v48
	v_cmp_gt_u32_e64 s[12:13], 8, v37
	v_cndmask_b32_e64 v37, v50, v49, s[12:13]
	v_cndmask_b32_e64 v36, v36, v48, s[12:13]
	v_lshlrev_b32_e32 v34, 24, v34
	v_bfrev_b32_e32 v48, 60
	v_lshlrev_b32_e32 v36, 20, v36
	v_and_b32_e32 v34, 0x80000000, v34
	v_lshl_add_u32 v37, v37, 23, v48
	v_or3_b32 v36, v34, v37, v36
.LBB526_108:
	s_or_b64 exec, exec, s[26:27]
.LBB526_109:
	s_or_b64 exec, exec, s[24:25]
.LBB526_110:
	s_or_b64 exec, exec, s[14:15]
	v_cvt_pkrtz_f16_f32 v48, v39, v41
	v_cvt_pkrtz_f16_f32 v49, v40, v45
	v_cvt_pkrtz_f16_f32 v34, v35, v47
	v_cvt_pkrtz_f16_f32 v35, v46, v36
	v_mfma_f32_4x4x4f16 a[0:3], v[2:3], v[48:49], a[0:3] cbsz:4 abid:1
	v_cmp_ne_u16_sdwa s[12:13], v30, v38 src0_sel:BYTE_0 src1_sel:DWORD
	v_mfma_f32_4x4x4f16 a[0:3], v[4:5], v[34:35], a[0:3] cbsz:4 abid:1
	s_and_saveexec_b64 s[14:15], s[12:13]
	s_cbranch_execz .LBB526_116
; %bb.111:
	s_movk_i32 s12, 0x80
	v_cmp_ne_u16_sdwa s[12:13], v30, s12 src0_sel:BYTE_0 src1_sel:DWORD
	v_bfrev_b32_e32 v38, 1
	s_and_saveexec_b64 s[24:25], s[12:13]
	s_cbranch_execz .LBB526_115
; %bb.112:
	s_movk_i32 s12, 0x7f
	v_and_b32_e32 v34, 0x7f, v30
	v_cmp_ne_u32_e64 s[12:13], s12, v34
	v_mov_b32_e32 v38, 0x7f800001
	s_and_saveexec_b64 s[26:27], s[12:13]
	s_cbranch_execz .LBB526_114
; %bb.113:
	v_and_b32_e32 v35, 7, v30
	v_ffbh_u32_e32 v35, v35
	v_min_u32_e32 v35, 32, v35
	v_subrev_u32_e32 v37, 28, v35
	v_cmp_gt_u32_e64 s[12:13], 8, v34
	v_lshrrev_b32_e32 v36, 3, v34
	v_sub_u32_e32 v35, 29, v35
	v_cndmask_b32_e64 v34, 0, v37, s[12:13]
	v_cndmask_b32_e64 v36, v36, v35, s[12:13]
	v_lshlrev_b64 v[34:35], v34, v[30:31]
	v_lshlrev_b32_e32 v34, 20, v34
	v_lshlrev_b32_e32 v35, 24, v30
	v_bfrev_b32_e32 v37, 60
	v_and_b32_e32 v34, 0x700000, v34
	v_and_b32_e32 v35, 0x80000000, v35
	v_lshl_add_u32 v36, v36, 23, v37
	v_or3_b32 v38, v35, v36, v34
.LBB526_114:
	s_or_b64 exec, exec, s[26:27]
.LBB526_115:
	s_or_b64 exec, exec, s[24:25]
.LBB526_116:
	s_or_b64 exec, exec, s[14:15]
	v_lshrrev_b16_e32 v34, 8, v30
	v_cmp_ne_u16_e64 s[12:13], 0, v34
	v_mov_b32_e32 v37, 0
	v_mov_b32_e32 v39, 0
	s_and_saveexec_b64 s[14:15], s[12:13]
	s_cbranch_execz .LBB526_122
; %bb.117:
	s_movk_i32 s12, 0x80
	v_cmp_ne_u16_e64 s[12:13], s12, v34
	v_bfrev_b32_e32 v39, 1
	s_and_saveexec_b64 s[24:25], s[12:13]
	s_cbranch_execz .LBB526_121
; %bb.118:
	s_movk_i32 s12, 0x7f
	v_and_b32_e32 v35, 0x7f, v34
	v_cmp_ne_u32_e64 s[12:13], s12, v35
	v_mov_b32_e32 v39, 0x7f800001
	s_and_saveexec_b64 s[26:27], s[12:13]
	s_cbranch_execz .LBB526_120
; %bb.119:
	v_and_b32_e32 v36, 7, v34
	v_ffbh_u32_e32 v40, v36
	v_min_u32_e32 v45, 32, v40
	v_subrev_u32_e32 v40, 28, v45
	v_lshlrev_b64 v[40:41], v40, v[34:35]
	v_lshrrev_b32_e32 v39, 3, v35
	v_sub_u32_e32 v34, 29, v45
	v_and_b32_e32 v40, 7, v40
	v_cmp_gt_u32_e64 s[12:13], 8, v35
	v_cndmask_b32_e64 v34, v39, v34, s[12:13]
	v_cndmask_b32_e64 v35, v36, v40, s[12:13]
	v_lshlrev_b32_e32 v36, 16, v30
	v_bfrev_b32_e32 v39, 60
	v_lshlrev_b32_e32 v35, 20, v35
	v_and_b32_e32 v36, 0x80000000, v36
	v_lshl_add_u32 v34, v34, 23, v39
	v_or3_b32 v39, v36, v34, v35
.LBB526_120:
	s_or_b64 exec, exec, s[26:27]
.LBB526_121:
	s_or_b64 exec, exec, s[24:25]
.LBB526_122:
	s_or_b64 exec, exec, s[14:15]
	s_movk_i32 s12, 0xff
	v_and_b32_sdwa v35, v30, s12 dst_sel:DWORD dst_unused:UNUSED_PAD src0_sel:WORD_1 src1_sel:DWORD
	v_lshrrev_b32_e32 v34, 16, v30
	v_cmp_ne_u16_e64 s[12:13], 0, v35
	s_and_saveexec_b64 s[14:15], s[12:13]
	s_cbranch_execz .LBB526_128
; %bb.123:
	s_movk_i32 s12, 0x80
	v_cmp_ne_u16_e64 s[12:13], s12, v35
	v_bfrev_b32_e32 v37, 1
	s_and_saveexec_b64 s[24:25], s[12:13]
	s_cbranch_execz .LBB526_127
; %bb.124:
	v_bfe_u32 v35, v30, 16, 7
	s_movk_i32 s12, 0x7f
	v_cmp_ne_u32_e64 s[12:13], s12, v35
	v_mov_b32_e32 v37, 0x7f800001
	s_and_saveexec_b64 s[26:27], s[12:13]
	s_cbranch_execz .LBB526_126
; %bb.125:
	v_and_b32_e32 v40, 7, v34
	v_ffbh_u32_e32 v36, v40
	v_min_u32_e32 v45, 32, v36
	v_subrev_u32_e32 v36, 28, v45
	v_lshlrev_b64 v[36:37], v36, v[34:35]
	v_and_b32_e32 v36, 7, v36
	v_cmp_gt_u32_e64 s[12:13], 8, v35
	v_lshrrev_b32_e32 v41, 3, v35
	v_sub_u32_e32 v34, 29, v45
	v_cndmask_b32_e64 v35, v40, v36, s[12:13]
	v_mov_b32_e32 v36, 24
	v_cndmask_b32_e64 v34, v41, v34, s[12:13]
	v_lshlrev_b32_sdwa v36, v36, v30 dst_sel:DWORD dst_unused:UNUSED_PAD src0_sel:DWORD src1_sel:WORD_1
	v_bfrev_b32_e32 v37, 60
	v_lshlrev_b32_e32 v35, 20, v35
	v_and_b32_e32 v36, 0x80000000, v36
	v_lshl_add_u32 v34, v34, 23, v37
	v_or3_b32 v37, v36, v34, v35
.LBB526_126:
	s_or_b64 exec, exec, s[26:27]
.LBB526_127:
	s_or_b64 exec, exec, s[24:25]
.LBB526_128:
	s_or_b64 exec, exec, s[14:15]
	s_mov_b32 s12, 0xffffff
	v_cmp_lt_u32_e64 s[12:13], s12, v30
	v_mov_b32_e32 v35, 0
	v_mov_b32_e32 v40, 0
	s_and_saveexec_b64 s[14:15], s[12:13]
	s_cbranch_execz .LBB526_134
; %bb.129:
	v_lshrrev_b32_e32 v34, 24, v30
	s_movk_i32 s12, 0x80
	v_cmp_ne_u32_e64 s[12:13], s12, v34
	v_bfrev_b32_e32 v40, 1
	s_and_saveexec_b64 s[24:25], s[12:13]
	s_cbranch_execz .LBB526_133
; %bb.130:
	v_bfe_u32 v36, v30, 24, 7
	s_movk_i32 s12, 0x7f
	v_cmp_ne_u32_e64 s[12:13], s12, v36
	v_mov_b32_e32 v40, 0x7f800001
	s_and_saveexec_b64 s[26:27], s[12:13]
	s_cbranch_execz .LBB526_132
; %bb.131:
	v_and_b32_e32 v45, 7, v34
	v_ffbh_u32_e32 v40, v45
	v_min_u32_e32 v47, 32, v40
	v_subrev_u32_e32 v40, 28, v47
	v_lshlrev_b64 v[40:41], v40, v[34:35]
	v_lshrrev_b32_e32 v46, 3, v36
	v_sub_u32_e32 v41, 29, v47
	v_and_b32_e32 v40, 7, v40
	v_cmp_gt_u32_e64 s[12:13], 8, v36
	v_cndmask_b32_e64 v36, v46, v41, s[12:13]
	v_cndmask_b32_e64 v40, v45, v40, s[12:13]
	v_lshlrev_b32_e32 v34, 24, v34
	v_bfrev_b32_e32 v41, 60
	v_lshlrev_b32_e32 v40, 20, v40
	v_and_b32_e32 v34, 0x80000000, v34
	v_lshl_add_u32 v36, v36, 23, v41
	v_or3_b32 v40, v34, v36, v40
.LBB526_132:
	s_or_b64 exec, exec, s[26:27]
.LBB526_133:
	s_or_b64 exec, exec, s[24:25]
.LBB526_134:
	s_or_b64 exec, exec, s[14:15]
	v_mov_b32_e32 v34, v31
	v_cmp_ne_u16_sdwa s[12:13], v31, v35 src0_sel:BYTE_0 src1_sel:DWORD
	s_and_saveexec_b64 s[14:15], s[12:13]
	s_cbranch_execz .LBB526_140
; %bb.135:
	s_movk_i32 s12, 0x80
	v_cmp_ne_u16_sdwa s[12:13], v31, s12 src0_sel:BYTE_0 src1_sel:DWORD
	v_bfrev_b32_e32 v36, 1
	s_and_saveexec_b64 s[24:25], s[12:13]
	s_cbranch_execz .LBB526_139
; %bb.136:
	s_movk_i32 s12, 0x7f
	v_and_b32_e32 v41, 0x7f, v31
	v_cmp_ne_u32_e64 s[12:13], s12, v41
	v_mov_b32_e32 v36, 0x7f800001
	s_and_saveexec_b64 s[26:27], s[12:13]
	s_cbranch_execz .LBB526_138
; %bb.137:
	v_and_b32_e32 v36, 7, v31
	v_ffbh_u32_e32 v36, v36
	v_min_u32_e32 v36, 32, v36
	v_subrev_u32_e32 v46, 28, v36
	v_cmp_gt_u32_e64 s[12:13], 8, v41
	v_lshrrev_b32_e32 v45, 3, v41
	v_cndmask_b32_e64 v41, 0, v46, s[12:13]
	v_sub_u32_e32 v36, 29, v36
	v_lshlrev_b64 v[46:47], v41, v[34:35]
	v_cndmask_b32_e64 v36, v45, v36, s[12:13]
	v_lshlrev_b32_e32 v35, 20, v46
	v_lshlrev_b32_e32 v41, 24, v34
	v_bfrev_b32_e32 v45, 60
	v_and_b32_e32 v35, 0x700000, v35
	v_and_b32_e32 v41, 0x80000000, v41
	v_lshl_add_u32 v36, v36, 23, v45
	v_or3_b32 v36, v41, v36, v35
.LBB526_138:
	s_or_b64 exec, exec, s[26:27]
.LBB526_139:
	s_or_b64 exec, exec, s[24:25]
	v_mov_b32_e32 v35, v36
.LBB526_140:
	s_or_b64 exec, exec, s[14:15]
	v_lshrrev_b16_e32 v36, 8, v34
	v_cmp_ne_u16_e64 s[12:13], 0, v36
	v_mov_b32_e32 v41, 0
	v_mov_b32_e32 v45, 0
	s_and_saveexec_b64 s[14:15], s[12:13]
	s_cbranch_execz .LBB526_146
; %bb.141:
	s_movk_i32 s12, 0x80
	v_cmp_ne_u16_e64 s[12:13], s12, v36
	v_bfrev_b32_e32 v45, 1
	s_and_saveexec_b64 s[24:25], s[12:13]
	s_cbranch_execz .LBB526_145
; %bb.142:
	s_movk_i32 s12, 0x7f
	v_and_b32_e32 v46, 0x7f, v36
	v_cmp_ne_u32_e64 s[12:13], s12, v46
	v_mov_b32_e32 v45, 0x7f800001
	s_and_saveexec_b64 s[26:27], s[12:13]
	s_cbranch_execz .LBB526_144
; %bb.143:
	v_and_b32_e32 v45, 7, v36
	v_ffbh_u32_e32 v48, v45
	v_min_u32_e32 v50, 32, v48
	v_subrev_u32_e32 v48, 28, v50
	v_lshlrev_b64 v[48:49], v48, v[36:37]
	v_lshrrev_b32_e32 v47, 3, v46
	v_sub_u32_e32 v36, 29, v50
	v_and_b32_e32 v48, 7, v48
	v_cmp_gt_u32_e64 s[12:13], 8, v46
	v_cndmask_b32_e64 v36, v47, v36, s[12:13]
	v_cndmask_b32_e64 v45, v45, v48, s[12:13]
	v_lshlrev_b32_e32 v34, 16, v34
	v_bfrev_b32_e32 v46, 60
	v_lshlrev_b32_e32 v45, 20, v45
	v_and_b32_e32 v34, 0x80000000, v34
	v_lshl_add_u32 v36, v36, 23, v46
	v_or3_b32 v45, v34, v36, v45
.LBB526_144:
	s_or_b64 exec, exec, s[26:27]
.LBB526_145:
	s_or_b64 exec, exec, s[24:25]
.LBB526_146:
	s_or_b64 exec, exec, s[14:15]
	s_movk_i32 s12, 0xff
	v_and_b32_sdwa v36, v31, s12 dst_sel:DWORD dst_unused:UNUSED_PAD src0_sel:WORD_1 src1_sel:DWORD
	v_lshrrev_b32_e32 v34, 16, v31
	v_cmp_ne_u16_e64 s[12:13], 0, v36
	s_and_saveexec_b64 s[14:15], s[12:13]
	s_cbranch_execz .LBB526_152
; %bb.147:
	s_movk_i32 s12, 0x80
	v_cmp_ne_u16_e64 s[12:13], s12, v36
	v_bfrev_b32_e32 v41, 1
	s_and_saveexec_b64 s[24:25], s[12:13]
	s_cbranch_execz .LBB526_151
; %bb.148:
	v_bfe_u32 v36, v31, 16, 7
	s_movk_i32 s12, 0x7f
	v_cmp_ne_u32_e64 s[12:13], s12, v36
	v_mov_b32_e32 v41, 0x7f800001
	s_and_saveexec_b64 s[26:27], s[12:13]
	s_cbranch_execz .LBB526_150
; %bb.149:
	v_and_b32_e32 v41, 7, v34
	v_ffbh_u32_e32 v46, v41
	v_min_u32_e32 v49, 32, v46
	v_subrev_u32_e32 v46, 28, v49
	v_lshlrev_b64 v[46:47], v46, v[34:35]
	v_and_b32_e32 v46, 7, v46
	v_cmp_gt_u32_e64 s[12:13], 8, v36
	v_lshrrev_b32_e32 v48, 3, v36
	v_sub_u32_e32 v34, 29, v49
	v_cndmask_b32_e64 v36, v41, v46, s[12:13]
	v_mov_b32_e32 v41, 24
	v_cndmask_b32_e64 v34, v48, v34, s[12:13]
	v_lshlrev_b32_sdwa v41, v41, v31 dst_sel:DWORD dst_unused:UNUSED_PAD src0_sel:DWORD src1_sel:WORD_1
	v_bfrev_b32_e32 v46, 60
	v_lshlrev_b32_e32 v36, 20, v36
	v_and_b32_e32 v41, 0x80000000, v41
	v_lshl_add_u32 v34, v34, 23, v46
	v_or3_b32 v41, v41, v34, v36
.LBB526_150:
	s_or_b64 exec, exec, s[26:27]
.LBB526_151:
	s_or_b64 exec, exec, s[24:25]
.LBB526_152:
	s_or_b64 exec, exec, s[14:15]
	s_mov_b32 s12, -1
	s_mov_b32 s13, 0xffffff
	v_cmp_lt_u64_e64 s[12:13], s[12:13], v[30:31]
	v_mov_b32_e32 v36, 0
	v_mov_b32_e32 v34, 0
	s_and_saveexec_b64 s[14:15], s[12:13]
	s_cbranch_execz .LBB526_158
; %bb.153:
	v_lshrrev_b32_e32 v30, 24, v31
	s_movk_i32 s12, 0x80
	v_cmp_ne_u32_e64 s[12:13], s12, v30
	v_bfrev_b32_e32 v34, 1
	s_and_saveexec_b64 s[24:25], s[12:13]
	s_cbranch_execz .LBB526_157
; %bb.154:
	v_bfe_u32 v31, v31, 24, 7
	s_movk_i32 s12, 0x7f
	v_cmp_ne_u32_e64 s[12:13], s12, v31
	v_mov_b32_e32 v34, 0x7f800001
	s_and_saveexec_b64 s[26:27], s[12:13]
	s_cbranch_execz .LBB526_156
; %bb.155:
	v_and_b32_e32 v34, 7, v30
	v_ffbh_u32_e32 v46, v34
	v_min_u32_e32 v49, 32, v46
	v_subrev_u32_e32 v46, 28, v49
	v_lshlrev_b64 v[46:47], v46, v[30:31]
	v_lshrrev_b32_e32 v48, 3, v31
	v_sub_u32_e32 v47, 29, v49
	v_and_b32_e32 v46, 7, v46
	v_cmp_gt_u32_e64 s[12:13], 8, v31
	v_cndmask_b32_e64 v31, v48, v47, s[12:13]
	v_cndmask_b32_e64 v34, v34, v46, s[12:13]
	v_lshlrev_b32_e32 v30, 24, v30
	v_bfrev_b32_e32 v46, 60
	v_lshlrev_b32_e32 v34, 20, v34
	v_and_b32_e32 v30, 0x80000000, v30
	v_lshl_add_u32 v31, v31, 23, v46
	v_or3_b32 v34, v30, v31, v34
.LBB526_156:
	s_or_b64 exec, exec, s[26:27]
.LBB526_157:
	s_or_b64 exec, exec, s[24:25]
.LBB526_158:
	s_or_b64 exec, exec, s[14:15]
	v_cvt_pkrtz_f16_f32 v30, v38, v39
	v_cvt_pkrtz_f16_f32 v31, v37, v40
	;; [unrolled: 1-line block ×4, first 2 shown]
	v_mfma_f32_4x4x4f16 a[0:3], v[2:3], v[30:31], a[0:3] cbsz:4 abid:2
	v_cmp_ne_u16_sdwa s[12:13], v32, v36 src0_sel:BYTE_0 src1_sel:DWORD
	v_mfma_f32_4x4x4f16 a[0:3], v[4:5], v[38:39], a[0:3] cbsz:4 abid:2
	s_and_saveexec_b64 s[14:15], s[12:13]
	s_cbranch_execz .LBB526_164
; %bb.159:
	s_movk_i32 s12, 0x80
	v_cmp_ne_u16_sdwa s[12:13], v32, s12 src0_sel:BYTE_0 src1_sel:DWORD
	v_bfrev_b32_e32 v36, 1
	s_and_saveexec_b64 s[24:25], s[12:13]
	s_cbranch_execz .LBB526_163
; %bb.160:
	s_movk_i32 s12, 0x7f
	v_and_b32_e32 v30, 0x7f, v32
	v_cmp_ne_u32_e64 s[12:13], s12, v30
	v_mov_b32_e32 v36, 0x7f800001
	s_and_saveexec_b64 s[26:27], s[12:13]
	s_cbranch_execz .LBB526_162
; %bb.161:
	v_and_b32_e32 v31, 7, v32
	v_ffbh_u32_e32 v31, v31
	v_min_u32_e32 v31, 32, v31
	v_subrev_u32_e32 v35, 28, v31
	v_cmp_gt_u32_e64 s[12:13], 8, v30
	v_lshrrev_b32_e32 v34, 3, v30
	v_sub_u32_e32 v31, 29, v31
	v_cndmask_b32_e64 v30, 0, v35, s[12:13]
	v_cndmask_b32_e64 v34, v34, v31, s[12:13]
	v_lshlrev_b64 v[30:31], v30, v[32:33]
	v_lshlrev_b32_e32 v30, 20, v30
	v_lshlrev_b32_e32 v31, 24, v32
	v_bfrev_b32_e32 v35, 60
	v_and_b32_e32 v30, 0x700000, v30
	v_and_b32_e32 v31, 0x80000000, v31
	v_lshl_add_u32 v34, v34, 23, v35
	v_or3_b32 v36, v31, v34, v30
.LBB526_162:
	s_or_b64 exec, exec, s[26:27]
.LBB526_163:
	s_or_b64 exec, exec, s[24:25]
.LBB526_164:
	s_or_b64 exec, exec, s[14:15]
	v_lshrrev_b16_e32 v30, 8, v32
	v_cmp_ne_u16_e64 s[12:13], 0, v30
	v_mov_b32_e32 v35, 0
	v_mov_b32_e32 v37, 0
	s_and_saveexec_b64 s[14:15], s[12:13]
	s_cbranch_execz .LBB526_170
; %bb.165:
	s_movk_i32 s12, 0x80
	v_cmp_ne_u16_e64 s[12:13], s12, v30
	v_bfrev_b32_e32 v37, 1
	s_and_saveexec_b64 s[24:25], s[12:13]
	s_cbranch_execz .LBB526_169
; %bb.166:
	s_movk_i32 s12, 0x7f
	v_and_b32_e32 v31, 0x7f, v30
	v_cmp_ne_u32_e64 s[12:13], s12, v31
	v_mov_b32_e32 v37, 0x7f800001
	s_and_saveexec_b64 s[26:27], s[12:13]
	s_cbranch_execz .LBB526_168
; %bb.167:
	v_and_b32_e32 v34, 7, v30
	v_ffbh_u32_e32 v38, v34
	v_min_u32_e32 v40, 32, v38
	v_subrev_u32_e32 v38, 28, v40
	v_lshlrev_b64 v[38:39], v38, v[30:31]
	v_lshrrev_b32_e32 v37, 3, v31
	v_sub_u32_e32 v30, 29, v40
	v_and_b32_e32 v38, 7, v38
	v_cmp_gt_u32_e64 s[12:13], 8, v31
	v_cndmask_b32_e64 v30, v37, v30, s[12:13]
	v_cndmask_b32_e64 v31, v34, v38, s[12:13]
	v_lshlrev_b32_e32 v34, 16, v32
	v_bfrev_b32_e32 v37, 60
	v_lshlrev_b32_e32 v31, 20, v31
	v_and_b32_e32 v34, 0x80000000, v34
	v_lshl_add_u32 v30, v30, 23, v37
	v_or3_b32 v37, v34, v30, v31
.LBB526_168:
	s_or_b64 exec, exec, s[26:27]
.LBB526_169:
	s_or_b64 exec, exec, s[24:25]
.LBB526_170:
	s_or_b64 exec, exec, s[14:15]
	s_movk_i32 s12, 0xff
	v_and_b32_sdwa v31, v32, s12 dst_sel:DWORD dst_unused:UNUSED_PAD src0_sel:WORD_1 src1_sel:DWORD
	v_lshrrev_b32_e32 v30, 16, v32
	v_cmp_ne_u16_e64 s[12:13], 0, v31
	s_and_saveexec_b64 s[14:15], s[12:13]
	s_cbranch_execz .LBB526_176
; %bb.171:
	s_movk_i32 s12, 0x80
	v_cmp_ne_u16_e64 s[12:13], s12, v31
	v_bfrev_b32_e32 v35, 1
	s_and_saveexec_b64 s[24:25], s[12:13]
	s_cbranch_execz .LBB526_175
; %bb.172:
	v_bfe_u32 v31, v32, 16, 7
	s_movk_i32 s12, 0x7f
	v_cmp_ne_u32_e64 s[12:13], s12, v31
	v_mov_b32_e32 v35, 0x7f800001
	s_and_saveexec_b64 s[26:27], s[12:13]
	s_cbranch_execz .LBB526_174
; %bb.173:
	v_and_b32_e32 v38, 7, v30
	v_ffbh_u32_e32 v34, v38
	v_min_u32_e32 v40, 32, v34
	v_subrev_u32_e32 v34, 28, v40
	v_lshlrev_b64 v[34:35], v34, v[30:31]
	v_and_b32_e32 v34, 7, v34
	v_cmp_gt_u32_e64 s[12:13], 8, v31
	v_lshrrev_b32_e32 v39, 3, v31
	v_sub_u32_e32 v30, 29, v40
	v_cndmask_b32_e64 v31, v38, v34, s[12:13]
	v_mov_b32_e32 v34, 24
	v_cndmask_b32_e64 v30, v39, v30, s[12:13]
	v_lshlrev_b32_sdwa v34, v34, v32 dst_sel:DWORD dst_unused:UNUSED_PAD src0_sel:DWORD src1_sel:WORD_1
	v_bfrev_b32_e32 v35, 60
	v_lshlrev_b32_e32 v31, 20, v31
	v_and_b32_e32 v34, 0x80000000, v34
	v_lshl_add_u32 v30, v30, 23, v35
	v_or3_b32 v35, v34, v30, v31
.LBB526_174:
	s_or_b64 exec, exec, s[26:27]
.LBB526_175:
	s_or_b64 exec, exec, s[24:25]
.LBB526_176:
	s_or_b64 exec, exec, s[14:15]
	s_mov_b32 s12, 0xffffff
	v_cmp_lt_u32_e64 s[12:13], s12, v32
	v_mov_b32_e32 v31, 0
	v_mov_b32_e32 v38, 0
	s_and_saveexec_b64 s[14:15], s[12:13]
	s_cbranch_execz .LBB526_182
; %bb.177:
	v_lshrrev_b32_e32 v30, 24, v32
	s_movk_i32 s12, 0x80
	v_cmp_ne_u32_e64 s[12:13], s12, v30
	v_bfrev_b32_e32 v38, 1
	s_and_saveexec_b64 s[24:25], s[12:13]
	s_cbranch_execz .LBB526_181
; %bb.178:
	v_bfe_u32 v34, v32, 24, 7
	s_movk_i32 s12, 0x7f
	v_cmp_ne_u32_e64 s[12:13], s12, v34
	v_mov_b32_e32 v38, 0x7f800001
	s_and_saveexec_b64 s[26:27], s[12:13]
	s_cbranch_execz .LBB526_180
; %bb.179:
	v_and_b32_e32 v40, 7, v30
	v_ffbh_u32_e32 v38, v40
	v_min_u32_e32 v45, 32, v38
	v_subrev_u32_e32 v38, 28, v45
	v_lshlrev_b64 v[38:39], v38, v[30:31]
	v_lshrrev_b32_e32 v41, 3, v34
	v_sub_u32_e32 v39, 29, v45
	v_and_b32_e32 v38, 7, v38
	v_cmp_gt_u32_e64 s[12:13], 8, v34
	v_cndmask_b32_e64 v34, v41, v39, s[12:13]
	v_cndmask_b32_e64 v38, v40, v38, s[12:13]
	v_lshlrev_b32_e32 v30, 24, v30
	v_bfrev_b32_e32 v39, 60
	v_lshlrev_b32_e32 v38, 20, v38
	v_and_b32_e32 v30, 0x80000000, v30
	v_lshl_add_u32 v34, v34, 23, v39
	v_or3_b32 v38, v30, v34, v38
.LBB526_180:
	s_or_b64 exec, exec, s[26:27]
.LBB526_181:
	s_or_b64 exec, exec, s[24:25]
.LBB526_182:
	s_or_b64 exec, exec, s[14:15]
	v_mov_b32_e32 v30, v33
	v_cmp_ne_u16_sdwa s[12:13], v33, v31 src0_sel:BYTE_0 src1_sel:DWORD
	s_and_saveexec_b64 s[14:15], s[12:13]
	s_cbranch_execz .LBB526_188
; %bb.183:
	s_movk_i32 s12, 0x80
	v_cmp_ne_u16_sdwa s[12:13], v33, s12 src0_sel:BYTE_0 src1_sel:DWORD
	v_bfrev_b32_e32 v34, 1
	s_and_saveexec_b64 s[24:25], s[12:13]
	s_cbranch_execz .LBB526_187
; %bb.184:
	s_movk_i32 s12, 0x7f
	v_and_b32_e32 v39, 0x7f, v33
	v_cmp_ne_u32_e64 s[12:13], s12, v39
	v_mov_b32_e32 v34, 0x7f800001
	s_and_saveexec_b64 s[26:27], s[12:13]
	s_cbranch_execz .LBB526_186
; %bb.185:
	v_and_b32_e32 v34, 7, v33
	v_ffbh_u32_e32 v34, v34
	v_min_u32_e32 v34, 32, v34
	v_subrev_u32_e32 v41, 28, v34
	v_cmp_gt_u32_e64 s[12:13], 8, v39
	v_lshrrev_b32_e32 v40, 3, v39
	v_sub_u32_e32 v34, 29, v34
	v_cndmask_b32_e64 v39, 0, v41, s[12:13]
	v_cndmask_b32_e64 v34, v40, v34, s[12:13]
	v_lshlrev_b64 v[40:41], v39, v[30:31]
	v_lshlrev_b32_e32 v31, 20, v40
	v_lshlrev_b32_e32 v39, 24, v30
	v_bfrev_b32_e32 v40, 60
	v_and_b32_e32 v31, 0x700000, v31
	v_and_b32_e32 v39, 0x80000000, v39
	v_lshl_add_u32 v34, v34, 23, v40
	v_or3_b32 v34, v39, v34, v31
.LBB526_186:
	s_or_b64 exec, exec, s[26:27]
.LBB526_187:
	s_or_b64 exec, exec, s[24:25]
	v_mov_b32_e32 v31, v34
.LBB526_188:
	s_or_b64 exec, exec, s[14:15]
	v_lshrrev_b16_e32 v34, 8, v30
	v_cmp_ne_u16_e64 s[12:13], 0, v34
	v_mov_b32_e32 v39, 0
	v_mov_b32_e32 v40, 0
	s_and_saveexec_b64 s[14:15], s[12:13]
	s_cbranch_execz .LBB526_194
; %bb.189:
	s_movk_i32 s12, 0x80
	v_cmp_ne_u16_e64 s[12:13], s12, v34
	v_bfrev_b32_e32 v40, 1
	s_and_saveexec_b64 s[24:25], s[12:13]
	s_cbranch_execz .LBB526_193
; %bb.190:
	s_movk_i32 s12, 0x7f
	v_and_b32_e32 v41, 0x7f, v34
	v_cmp_ne_u32_e64 s[12:13], s12, v41
	v_mov_b32_e32 v40, 0x7f800001
	s_and_saveexec_b64 s[26:27], s[12:13]
	s_cbranch_execz .LBB526_192
; %bb.191:
	v_and_b32_e32 v40, 7, v34
	v_ffbh_u32_e32 v46, v40
	v_min_u32_e32 v48, 32, v46
	v_subrev_u32_e32 v46, 28, v48
	v_lshlrev_b64 v[46:47], v46, v[34:35]
	v_lshrrev_b32_e32 v45, 3, v41
	v_sub_u32_e32 v34, 29, v48
	v_and_b32_e32 v46, 7, v46
	v_cmp_gt_u32_e64 s[12:13], 8, v41
	v_cndmask_b32_e64 v34, v45, v34, s[12:13]
	v_cndmask_b32_e64 v40, v40, v46, s[12:13]
	v_lshlrev_b32_e32 v30, 16, v30
	v_bfrev_b32_e32 v41, 60
	v_lshlrev_b32_e32 v40, 20, v40
	v_and_b32_e32 v30, 0x80000000, v30
	v_lshl_add_u32 v34, v34, 23, v41
	v_or3_b32 v40, v30, v34, v40
.LBB526_192:
	s_or_b64 exec, exec, s[26:27]
.LBB526_193:
	s_or_b64 exec, exec, s[24:25]
.LBB526_194:
	s_or_b64 exec, exec, s[14:15]
	s_movk_i32 s12, 0xff
	v_and_b32_sdwa v34, v33, s12 dst_sel:DWORD dst_unused:UNUSED_PAD src0_sel:WORD_1 src1_sel:DWORD
	v_lshrrev_b32_e32 v30, 16, v33
	v_cmp_ne_u16_e64 s[12:13], 0, v34
	s_and_saveexec_b64 s[14:15], s[12:13]
	s_cbranch_execz .LBB526_200
; %bb.195:
	s_movk_i32 s12, 0x80
	v_cmp_ne_u16_e64 s[12:13], s12, v34
	v_bfrev_b32_e32 v39, 1
	s_and_saveexec_b64 s[24:25], s[12:13]
	s_cbranch_execz .LBB526_199
; %bb.196:
	v_bfe_u32 v34, v33, 16, 7
	s_movk_i32 s12, 0x7f
	v_cmp_ne_u32_e64 s[12:13], s12, v34
	v_mov_b32_e32 v39, 0x7f800001
	s_and_saveexec_b64 s[26:27], s[12:13]
	s_cbranch_execz .LBB526_198
; %bb.197:
	v_and_b32_e32 v39, 7, v30
	v_ffbh_u32_e32 v45, v39
	v_min_u32_e32 v45, 32, v45
	v_subrev_u32_e32 v46, 28, v45
	v_lshlrev_b64 v[46:47], v46, v[30:31]
	v_sub_u32_e32 v30, 29, v45
	v_and_b32_e32 v45, 7, v46
	v_cmp_gt_u32_e64 s[12:13], 8, v34
	v_lshrrev_b32_e32 v41, 3, v34
	v_cndmask_b32_e64 v34, v39, v45, s[12:13]
	v_mov_b32_e32 v39, 24
	v_cndmask_b32_e64 v30, v41, v30, s[12:13]
	v_lshlrev_b32_sdwa v39, v39, v33 dst_sel:DWORD dst_unused:UNUSED_PAD src0_sel:DWORD src1_sel:WORD_1
	v_bfrev_b32_e32 v41, 60
	v_lshlrev_b32_e32 v34, 20, v34
	v_and_b32_e32 v39, 0x80000000, v39
	v_lshl_add_u32 v30, v30, 23, v41
	v_or3_b32 v39, v39, v30, v34
.LBB526_198:
	s_or_b64 exec, exec, s[26:27]
.LBB526_199:
	s_or_b64 exec, exec, s[24:25]
.LBB526_200:
	s_or_b64 exec, exec, s[14:15]
	s_mov_b32 s12, -1
	s_mov_b32 s13, 0xffffff
	v_cmp_lt_u64_e64 s[12:13], s[12:13], v[32:33]
	v_mov_b32_e32 v34, 0
	v_mov_b32_e32 v32, 0
	s_and_saveexec_b64 s[14:15], s[12:13]
	s_cbranch_execz .LBB526_206
; %bb.201:
	v_lshrrev_b32_e32 v30, 24, v33
	s_movk_i32 s12, 0x80
	v_cmp_ne_u32_e64 s[12:13], s12, v30
	v_bfrev_b32_e32 v32, 1
	s_and_saveexec_b64 s[24:25], s[12:13]
	s_cbranch_execz .LBB526_205
; %bb.202:
	v_bfe_u32 v33, v33, 24, 7
	s_movk_i32 s12, 0x7f
	v_cmp_ne_u32_e64 s[12:13], s12, v33
	v_mov_b32_e32 v32, 0x7f800001
	s_and_saveexec_b64 s[26:27], s[12:13]
	s_cbranch_execz .LBB526_204
; %bb.203:
	v_and_b32_e32 v32, 7, v30
	v_ffbh_u32_e32 v45, v32
	v_min_u32_e32 v45, 32, v45
	v_subrev_u32_e32 v46, 28, v45
	v_lshlrev_b64 v[46:47], v46, v[30:31]
	v_lshrrev_b32_e32 v41, 3, v33
	v_sub_u32_e32 v45, 29, v45
	v_and_b32_e32 v46, 7, v46
	v_cmp_gt_u32_e64 s[12:13], 8, v33
	v_cndmask_b32_e64 v33, v41, v45, s[12:13]
	v_cndmask_b32_e64 v32, v32, v46, s[12:13]
	v_lshlrev_b32_e32 v30, 24, v30
	v_bfrev_b32_e32 v41, 60
	v_lshlrev_b32_e32 v32, 20, v32
	v_and_b32_e32 v30, 0x80000000, v30
	v_lshl_add_u32 v33, v33, 23, v41
	v_or3_b32 v32, v30, v33, v32
.LBB526_204:
	s_or_b64 exec, exec, s[26:27]
.LBB526_205:
	s_or_b64 exec, exec, s[24:25]
.LBB526_206:
	s_or_b64 exec, exec, s[14:15]
	v_cvt_pkrtz_f16_f32 v36, v36, v37
	v_cvt_pkrtz_f16_f32 v37, v35, v38
	;; [unrolled: 1-line block ×4, first 2 shown]
	v_mfma_f32_4x4x4f16 a[0:3], v[2:3], v[36:37], a[0:3] cbsz:4 abid:3
	v_cmp_ne_u16_sdwa s[12:13], v26, v34 src0_sel:BYTE_0 src1_sel:DWORD
	v_mfma_f32_4x4x4f16 a[0:3], v[4:5], v[30:31], a[0:3] cbsz:4 abid:3
	s_and_saveexec_b64 s[14:15], s[12:13]
	s_cbranch_execz .LBB526_212
; %bb.207:
	s_movk_i32 s12, 0x80
	v_cmp_ne_u16_sdwa s[12:13], v26, s12 src0_sel:BYTE_0 src1_sel:DWORD
	v_bfrev_b32_e32 v34, 1
	s_and_saveexec_b64 s[24:25], s[12:13]
	s_cbranch_execz .LBB526_211
; %bb.208:
	s_movk_i32 s12, 0x7f
	v_and_b32_e32 v30, 0x7f, v26
	v_cmp_ne_u32_e64 s[12:13], s12, v30
	v_mov_b32_e32 v34, 0x7f800001
	s_and_saveexec_b64 s[26:27], s[12:13]
	s_cbranch_execz .LBB526_210
; %bb.209:
	v_and_b32_e32 v31, 7, v26
	v_ffbh_u32_e32 v31, v31
	v_min_u32_e32 v31, 32, v31
	v_subrev_u32_e32 v33, 28, v31
	v_cmp_gt_u32_e64 s[12:13], 8, v30
	v_lshrrev_b32_e32 v32, 3, v30
	v_sub_u32_e32 v31, 29, v31
	v_cndmask_b32_e64 v30, 0, v33, s[12:13]
	v_cndmask_b32_e64 v32, v32, v31, s[12:13]
	v_lshlrev_b64 v[30:31], v30, v[26:27]
	v_lshlrev_b32_e32 v30, 20, v30
	v_lshlrev_b32_e32 v31, 24, v26
	v_bfrev_b32_e32 v33, 60
	v_and_b32_e32 v30, 0x700000, v30
	v_and_b32_e32 v31, 0x80000000, v31
	v_lshl_add_u32 v32, v32, 23, v33
	v_or3_b32 v34, v31, v32, v30
.LBB526_210:
	s_or_b64 exec, exec, s[26:27]
.LBB526_211:
	s_or_b64 exec, exec, s[24:25]
.LBB526_212:
	s_or_b64 exec, exec, s[14:15]
	v_lshrrev_b16_e32 v30, 8, v26
	v_cmp_ne_u16_e64 s[12:13], 0, v30
	v_mov_b32_e32 v33, 0
	v_mov_b32_e32 v35, 0
	s_and_saveexec_b64 s[14:15], s[12:13]
	s_cbranch_execz .LBB526_218
; %bb.213:
	s_movk_i32 s12, 0x80
	v_cmp_ne_u16_e64 s[12:13], s12, v30
	v_bfrev_b32_e32 v35, 1
	s_and_saveexec_b64 s[24:25], s[12:13]
	s_cbranch_execz .LBB526_217
; %bb.214:
	s_movk_i32 s12, 0x7f
	v_and_b32_e32 v31, 0x7f, v30
	v_cmp_ne_u32_e64 s[12:13], s12, v31
	v_mov_b32_e32 v35, 0x7f800001
	s_and_saveexec_b64 s[26:27], s[12:13]
	s_cbranch_execz .LBB526_216
; %bb.215:
	v_and_b32_e32 v32, 7, v30
	v_ffbh_u32_e32 v36, v32
	v_min_u32_e32 v38, 32, v36
	v_subrev_u32_e32 v36, 28, v38
	v_lshlrev_b64 v[36:37], v36, v[30:31]
	v_lshrrev_b32_e32 v35, 3, v31
	v_sub_u32_e32 v30, 29, v38
	v_and_b32_e32 v36, 7, v36
	v_cmp_gt_u32_e64 s[12:13], 8, v31
	v_cndmask_b32_e64 v30, v35, v30, s[12:13]
	v_cndmask_b32_e64 v31, v32, v36, s[12:13]
	v_lshlrev_b32_e32 v32, 16, v26
	v_bfrev_b32_e32 v35, 60
	v_lshlrev_b32_e32 v31, 20, v31
	v_and_b32_e32 v32, 0x80000000, v32
	v_lshl_add_u32 v30, v30, 23, v35
	v_or3_b32 v35, v32, v30, v31
.LBB526_216:
	s_or_b64 exec, exec, s[26:27]
.LBB526_217:
	s_or_b64 exec, exec, s[24:25]
.LBB526_218:
	s_or_b64 exec, exec, s[14:15]
	s_movk_i32 s12, 0xff
	v_and_b32_sdwa v31, v26, s12 dst_sel:DWORD dst_unused:UNUSED_PAD src0_sel:WORD_1 src1_sel:DWORD
	v_lshrrev_b32_e32 v30, 16, v26
	v_cmp_ne_u16_e64 s[12:13], 0, v31
	s_and_saveexec_b64 s[14:15], s[12:13]
	s_cbranch_execz .LBB526_224
; %bb.219:
	s_movk_i32 s12, 0x80
	v_cmp_ne_u16_e64 s[12:13], s12, v31
	v_bfrev_b32_e32 v33, 1
	s_and_saveexec_b64 s[24:25], s[12:13]
	s_cbranch_execz .LBB526_223
; %bb.220:
	v_bfe_u32 v31, v26, 16, 7
	s_movk_i32 s12, 0x7f
	v_cmp_ne_u32_e64 s[12:13], s12, v31
	v_mov_b32_e32 v33, 0x7f800001
	s_and_saveexec_b64 s[26:27], s[12:13]
	s_cbranch_execz .LBB526_222
; %bb.221:
	v_and_b32_e32 v36, 7, v30
	v_ffbh_u32_e32 v32, v36
	v_min_u32_e32 v38, 32, v32
	v_subrev_u32_e32 v32, 28, v38
	v_lshlrev_b64 v[32:33], v32, v[30:31]
	v_and_b32_e32 v32, 7, v32
	v_cmp_gt_u32_e64 s[12:13], 8, v31
	v_lshrrev_b32_e32 v37, 3, v31
	v_sub_u32_e32 v30, 29, v38
	v_cndmask_b32_e64 v31, v36, v32, s[12:13]
	v_mov_b32_e32 v32, 24
	v_cndmask_b32_e64 v30, v37, v30, s[12:13]
	v_lshlrev_b32_sdwa v32, v32, v26 dst_sel:DWORD dst_unused:UNUSED_PAD src0_sel:DWORD src1_sel:WORD_1
	v_bfrev_b32_e32 v33, 60
	v_lshlrev_b32_e32 v31, 20, v31
	v_and_b32_e32 v32, 0x80000000, v32
	v_lshl_add_u32 v30, v30, 23, v33
	v_or3_b32 v33, v32, v30, v31
.LBB526_222:
	s_or_b64 exec, exec, s[26:27]
.LBB526_223:
	s_or_b64 exec, exec, s[24:25]
.LBB526_224:
	s_or_b64 exec, exec, s[14:15]
	s_mov_b32 s12, 0xffffff
	v_cmp_lt_u32_e64 s[12:13], s12, v26
	v_mov_b32_e32 v31, 0
	v_mov_b32_e32 v36, 0
	s_and_saveexec_b64 s[14:15], s[12:13]
	s_cbranch_execz .LBB526_230
; %bb.225:
	v_lshrrev_b32_e32 v30, 24, v26
	s_movk_i32 s12, 0x80
	v_cmp_ne_u32_e64 s[12:13], s12, v30
	v_bfrev_b32_e32 v36, 1
	s_and_saveexec_b64 s[24:25], s[12:13]
	s_cbranch_execz .LBB526_229
; %bb.226:
	v_bfe_u32 v32, v26, 24, 7
	s_movk_i32 s12, 0x7f
	v_cmp_ne_u32_e64 s[12:13], s12, v32
	v_mov_b32_e32 v36, 0x7f800001
	s_and_saveexec_b64 s[26:27], s[12:13]
	s_cbranch_execz .LBB526_228
; %bb.227:
	v_and_b32_e32 v38, 7, v30
	v_ffbh_u32_e32 v36, v38
	v_min_u32_e32 v40, 32, v36
	v_subrev_u32_e32 v36, 28, v40
	v_lshlrev_b64 v[36:37], v36, v[30:31]
	v_lshrrev_b32_e32 v39, 3, v32
	v_sub_u32_e32 v37, 29, v40
	v_and_b32_e32 v36, 7, v36
	v_cmp_gt_u32_e64 s[12:13], 8, v32
	v_cndmask_b32_e64 v32, v39, v37, s[12:13]
	v_cndmask_b32_e64 v36, v38, v36, s[12:13]
	v_lshlrev_b32_e32 v30, 24, v30
	v_bfrev_b32_e32 v37, 60
	v_lshlrev_b32_e32 v36, 20, v36
	v_and_b32_e32 v30, 0x80000000, v30
	v_lshl_add_u32 v32, v32, 23, v37
	v_or3_b32 v36, v30, v32, v36
.LBB526_228:
	s_or_b64 exec, exec, s[26:27]
.LBB526_229:
	s_or_b64 exec, exec, s[24:25]
.LBB526_230:
	s_or_b64 exec, exec, s[14:15]
	v_mov_b32_e32 v30, v27
	v_cmp_ne_u16_sdwa s[12:13], v27, v31 src0_sel:BYTE_0 src1_sel:DWORD
	s_and_saveexec_b64 s[14:15], s[12:13]
	s_cbranch_execz .LBB526_236
; %bb.231:
	s_movk_i32 s12, 0x80
	v_cmp_ne_u16_sdwa s[12:13], v27, s12 src0_sel:BYTE_0 src1_sel:DWORD
	v_bfrev_b32_e32 v32, 1
	s_and_saveexec_b64 s[24:25], s[12:13]
	s_cbranch_execz .LBB526_235
; %bb.232:
	s_movk_i32 s12, 0x7f
	v_and_b32_e32 v37, 0x7f, v27
	v_cmp_ne_u32_e64 s[12:13], s12, v37
	v_mov_b32_e32 v32, 0x7f800001
	s_and_saveexec_b64 s[26:27], s[12:13]
	s_cbranch_execz .LBB526_234
; %bb.233:
	v_and_b32_e32 v32, 7, v27
	v_ffbh_u32_e32 v32, v32
	v_min_u32_e32 v32, 32, v32
	v_subrev_u32_e32 v39, 28, v32
	v_cmp_gt_u32_e64 s[12:13], 8, v37
	v_lshrrev_b32_e32 v38, 3, v37
	v_sub_u32_e32 v32, 29, v32
	v_cndmask_b32_e64 v37, 0, v39, s[12:13]
	v_cndmask_b32_e64 v32, v38, v32, s[12:13]
	v_lshlrev_b64 v[38:39], v37, v[30:31]
	v_lshlrev_b32_e32 v31, 20, v38
	v_lshlrev_b32_e32 v37, 24, v30
	v_bfrev_b32_e32 v38, 60
	v_and_b32_e32 v31, 0x700000, v31
	v_and_b32_e32 v37, 0x80000000, v37
	v_lshl_add_u32 v32, v32, 23, v38
	v_or3_b32 v32, v37, v32, v31
.LBB526_234:
	s_or_b64 exec, exec, s[26:27]
.LBB526_235:
	s_or_b64 exec, exec, s[24:25]
	v_mov_b32_e32 v31, v32
.LBB526_236:
	s_or_b64 exec, exec, s[14:15]
	v_lshrrev_b16_e32 v32, 8, v30
	v_cmp_ne_u16_e64 s[12:13], 0, v32
	v_mov_b32_e32 v37, 0
	v_mov_b32_e32 v38, 0
	s_and_saveexec_b64 s[14:15], s[12:13]
	s_cbranch_execz .LBB526_242
; %bb.237:
	s_movk_i32 s12, 0x80
	v_cmp_ne_u16_e64 s[12:13], s12, v32
	v_bfrev_b32_e32 v38, 1
	s_and_saveexec_b64 s[24:25], s[12:13]
	s_cbranch_execz .LBB526_241
; %bb.238:
	s_movk_i32 s12, 0x7f
	v_and_b32_e32 v39, 0x7f, v32
	v_cmp_ne_u32_e64 s[12:13], s12, v39
	v_mov_b32_e32 v38, 0x7f800001
	s_and_saveexec_b64 s[26:27], s[12:13]
	s_cbranch_execz .LBB526_240
; %bb.239:
	v_and_b32_e32 v38, 7, v32
	v_ffbh_u32_e32 v40, v38
	v_min_u32_e32 v46, 32, v40
	v_subrev_u32_e32 v40, 28, v46
	v_lshlrev_b64 v[40:41], v40, v[32:33]
	v_lshrrev_b32_e32 v45, 3, v39
	v_sub_u32_e32 v32, 29, v46
	v_and_b32_e32 v40, 7, v40
	v_cmp_gt_u32_e64 s[12:13], 8, v39
	v_cndmask_b32_e64 v32, v45, v32, s[12:13]
	v_cndmask_b32_e64 v38, v38, v40, s[12:13]
	v_lshlrev_b32_e32 v30, 16, v30
	v_bfrev_b32_e32 v39, 60
	v_lshlrev_b32_e32 v38, 20, v38
	v_and_b32_e32 v30, 0x80000000, v30
	v_lshl_add_u32 v32, v32, 23, v39
	v_or3_b32 v38, v30, v32, v38
.LBB526_240:
	s_or_b64 exec, exec, s[26:27]
.LBB526_241:
	s_or_b64 exec, exec, s[24:25]
.LBB526_242:
	s_or_b64 exec, exec, s[14:15]
	s_movk_i32 s12, 0xff
	v_and_b32_sdwa v32, v27, s12 dst_sel:DWORD dst_unused:UNUSED_PAD src0_sel:WORD_1 src1_sel:DWORD
	v_lshrrev_b32_e32 v30, 16, v27
	v_cmp_ne_u16_e64 s[12:13], 0, v32
	s_and_saveexec_b64 s[14:15], s[12:13]
	s_cbranch_execz .LBB526_248
; %bb.243:
	s_movk_i32 s12, 0x80
	v_cmp_ne_u16_e64 s[12:13], s12, v32
	v_bfrev_b32_e32 v37, 1
	s_and_saveexec_b64 s[24:25], s[12:13]
	s_cbranch_execz .LBB526_247
; %bb.244:
	v_bfe_u32 v32, v27, 16, 7
	s_movk_i32 s12, 0x7f
	v_cmp_ne_u32_e64 s[12:13], s12, v32
	v_mov_b32_e32 v37, 0x7f800001
	s_and_saveexec_b64 s[26:27], s[12:13]
	s_cbranch_execz .LBB526_246
; %bb.245:
	v_and_b32_e32 v37, 7, v30
	v_ffbh_u32_e32 v40, v37
	v_min_u32_e32 v45, 32, v40
	v_subrev_u32_e32 v40, 28, v45
	v_lshlrev_b64 v[40:41], v40, v[30:31]
	v_and_b32_e32 v40, 7, v40
	v_cmp_gt_u32_e64 s[12:13], 8, v32
	v_lshrrev_b32_e32 v39, 3, v32
	v_sub_u32_e32 v30, 29, v45
	v_cndmask_b32_e64 v32, v37, v40, s[12:13]
	v_mov_b32_e32 v37, 24
	v_cndmask_b32_e64 v30, v39, v30, s[12:13]
	v_lshlrev_b32_sdwa v37, v37, v27 dst_sel:DWORD dst_unused:UNUSED_PAD src0_sel:DWORD src1_sel:WORD_1
	v_bfrev_b32_e32 v39, 60
	v_lshlrev_b32_e32 v32, 20, v32
	v_and_b32_e32 v37, 0x80000000, v37
	v_lshl_add_u32 v30, v30, 23, v39
	v_or3_b32 v37, v37, v30, v32
.LBB526_246:
	s_or_b64 exec, exec, s[26:27]
.LBB526_247:
	s_or_b64 exec, exec, s[24:25]
.LBB526_248:
	s_or_b64 exec, exec, s[14:15]
	s_mov_b32 s12, -1
	s_mov_b32 s13, 0xffffff
	v_cmp_lt_u64_e64 s[12:13], s[12:13], v[26:27]
	v_mov_b32_e32 v32, 0
	v_mov_b32_e32 v30, 0
	s_and_saveexec_b64 s[14:15], s[12:13]
	s_cbranch_execz .LBB526_254
; %bb.249:
	v_lshrrev_b32_e32 v26, 24, v27
	s_movk_i32 s12, 0x80
	v_cmp_ne_u32_e64 s[12:13], s12, v26
	v_bfrev_b32_e32 v30, 1
	s_and_saveexec_b64 s[24:25], s[12:13]
	s_cbranch_execz .LBB526_253
; %bb.250:
	v_bfe_u32 v27, v27, 24, 7
	s_movk_i32 s12, 0x7f
	v_cmp_ne_u32_e64 s[12:13], s12, v27
	v_mov_b32_e32 v30, 0x7f800001
	s_and_saveexec_b64 s[26:27], s[12:13]
	s_cbranch_execz .LBB526_252
; %bb.251:
	v_and_b32_e32 v30, 7, v26
	v_ffbh_u32_e32 v40, v30
	v_min_u32_e32 v45, 32, v40
	v_subrev_u32_e32 v40, 28, v45
	v_lshlrev_b64 v[40:41], v40, v[26:27]
	v_lshrrev_b32_e32 v39, 3, v27
	v_sub_u32_e32 v41, 29, v45
	v_and_b32_e32 v40, 7, v40
	v_cmp_gt_u32_e64 s[12:13], 8, v27
	v_cndmask_b32_e64 v27, v39, v41, s[12:13]
	v_cndmask_b32_e64 v30, v30, v40, s[12:13]
	v_lshlrev_b32_e32 v26, 24, v26
	v_bfrev_b32_e32 v39, 60
	v_lshlrev_b32_e32 v30, 20, v30
	v_and_b32_e32 v26, 0x80000000, v26
	v_lshl_add_u32 v27, v27, 23, v39
	v_or3_b32 v30, v26, v27, v30
.LBB526_252:
	s_or_b64 exec, exec, s[26:27]
.LBB526_253:
	s_or_b64 exec, exec, s[24:25]
.LBB526_254:
	s_or_b64 exec, exec, s[14:15]
	v_cvt_pkrtz_f16_f32 v26, v34, v35
	v_cvt_pkrtz_f16_f32 v27, v33, v36
	;; [unrolled: 1-line block ×4, first 2 shown]
	v_mfma_f32_4x4x4f16 a[0:3], v[2:3], v[26:27], a[0:3] cbsz:4 abid:4
	v_cmp_ne_u16_sdwa s[12:13], v28, v32 src0_sel:BYTE_0 src1_sel:DWORD
	v_mfma_f32_4x4x4f16 a[0:3], v[4:5], v[34:35], a[0:3] cbsz:4 abid:4
	s_and_saveexec_b64 s[14:15], s[12:13]
	s_cbranch_execz .LBB526_260
; %bb.255:
	s_movk_i32 s12, 0x80
	v_cmp_ne_u16_sdwa s[12:13], v28, s12 src0_sel:BYTE_0 src1_sel:DWORD
	v_bfrev_b32_e32 v32, 1
	s_and_saveexec_b64 s[24:25], s[12:13]
	s_cbranch_execz .LBB526_259
; %bb.256:
	s_movk_i32 s12, 0x7f
	v_and_b32_e32 v26, 0x7f, v28
	v_cmp_ne_u32_e64 s[12:13], s12, v26
	v_mov_b32_e32 v32, 0x7f800001
	s_and_saveexec_b64 s[26:27], s[12:13]
	s_cbranch_execz .LBB526_258
; %bb.257:
	v_and_b32_e32 v27, 7, v28
	v_ffbh_u32_e32 v27, v27
	v_min_u32_e32 v27, 32, v27
	v_subrev_u32_e32 v31, 28, v27
	v_cmp_gt_u32_e64 s[12:13], 8, v26
	v_lshrrev_b32_e32 v30, 3, v26
	v_sub_u32_e32 v27, 29, v27
	v_cndmask_b32_e64 v26, 0, v31, s[12:13]
	v_cndmask_b32_e64 v30, v30, v27, s[12:13]
	v_lshlrev_b64 v[26:27], v26, v[28:29]
	v_lshlrev_b32_e32 v26, 20, v26
	v_lshlrev_b32_e32 v27, 24, v28
	v_bfrev_b32_e32 v31, 60
	v_and_b32_e32 v26, 0x700000, v26
	v_and_b32_e32 v27, 0x80000000, v27
	v_lshl_add_u32 v30, v30, 23, v31
	v_or3_b32 v32, v27, v30, v26
.LBB526_258:
	s_or_b64 exec, exec, s[26:27]
.LBB526_259:
	s_or_b64 exec, exec, s[24:25]
.LBB526_260:
	s_or_b64 exec, exec, s[14:15]
	v_lshrrev_b16_e32 v26, 8, v28
	v_cmp_ne_u16_e64 s[12:13], 0, v26
	v_mov_b32_e32 v31, 0
	v_mov_b32_e32 v33, 0
	s_and_saveexec_b64 s[14:15], s[12:13]
	s_cbranch_execz .LBB526_266
; %bb.261:
	s_movk_i32 s12, 0x80
	v_cmp_ne_u16_e64 s[12:13], s12, v26
	v_bfrev_b32_e32 v33, 1
	s_and_saveexec_b64 s[24:25], s[12:13]
	s_cbranch_execz .LBB526_265
; %bb.262:
	s_movk_i32 s12, 0x7f
	v_and_b32_e32 v27, 0x7f, v26
	v_cmp_ne_u32_e64 s[12:13], s12, v27
	v_mov_b32_e32 v33, 0x7f800001
	s_and_saveexec_b64 s[26:27], s[12:13]
	s_cbranch_execz .LBB526_264
; %bb.263:
	v_and_b32_e32 v30, 7, v26
	v_ffbh_u32_e32 v34, v30
	v_min_u32_e32 v36, 32, v34
	v_subrev_u32_e32 v34, 28, v36
	v_lshlrev_b64 v[34:35], v34, v[26:27]
	v_lshrrev_b32_e32 v33, 3, v27
	v_sub_u32_e32 v26, 29, v36
	v_and_b32_e32 v34, 7, v34
	v_cmp_gt_u32_e64 s[12:13], 8, v27
	v_cndmask_b32_e64 v26, v33, v26, s[12:13]
	v_cndmask_b32_e64 v27, v30, v34, s[12:13]
	v_lshlrev_b32_e32 v30, 16, v28
	v_bfrev_b32_e32 v33, 60
	v_lshlrev_b32_e32 v27, 20, v27
	v_and_b32_e32 v30, 0x80000000, v30
	v_lshl_add_u32 v26, v26, 23, v33
	v_or3_b32 v33, v30, v26, v27
.LBB526_264:
	s_or_b64 exec, exec, s[26:27]
.LBB526_265:
	s_or_b64 exec, exec, s[24:25]
.LBB526_266:
	s_or_b64 exec, exec, s[14:15]
	s_movk_i32 s12, 0xff
	v_and_b32_sdwa v27, v28, s12 dst_sel:DWORD dst_unused:UNUSED_PAD src0_sel:WORD_1 src1_sel:DWORD
	v_lshrrev_b32_e32 v26, 16, v28
	v_cmp_ne_u16_e64 s[12:13], 0, v27
	s_and_saveexec_b64 s[14:15], s[12:13]
	s_cbranch_execz .LBB526_272
; %bb.267:
	s_movk_i32 s12, 0x80
	v_cmp_ne_u16_e64 s[12:13], s12, v27
	v_bfrev_b32_e32 v31, 1
	s_and_saveexec_b64 s[24:25], s[12:13]
	s_cbranch_execz .LBB526_271
; %bb.268:
	v_bfe_u32 v27, v28, 16, 7
	s_movk_i32 s12, 0x7f
	v_cmp_ne_u32_e64 s[12:13], s12, v27
	v_mov_b32_e32 v31, 0x7f800001
	s_and_saveexec_b64 s[26:27], s[12:13]
	s_cbranch_execz .LBB526_270
; %bb.269:
	v_and_b32_e32 v34, 7, v26
	v_ffbh_u32_e32 v30, v34
	v_min_u32_e32 v36, 32, v30
	v_subrev_u32_e32 v30, 28, v36
	v_lshlrev_b64 v[30:31], v30, v[26:27]
	v_and_b32_e32 v30, 7, v30
	v_cmp_gt_u32_e64 s[12:13], 8, v27
	v_lshrrev_b32_e32 v35, 3, v27
	v_sub_u32_e32 v26, 29, v36
	v_cndmask_b32_e64 v27, v34, v30, s[12:13]
	v_mov_b32_e32 v30, 24
	v_cndmask_b32_e64 v26, v35, v26, s[12:13]
	v_lshlrev_b32_sdwa v30, v30, v28 dst_sel:DWORD dst_unused:UNUSED_PAD src0_sel:DWORD src1_sel:WORD_1
	v_bfrev_b32_e32 v31, 60
	v_lshlrev_b32_e32 v27, 20, v27
	v_and_b32_e32 v30, 0x80000000, v30
	v_lshl_add_u32 v26, v26, 23, v31
	v_or3_b32 v31, v30, v26, v27
.LBB526_270:
	s_or_b64 exec, exec, s[26:27]
.LBB526_271:
	s_or_b64 exec, exec, s[24:25]
.LBB526_272:
	s_or_b64 exec, exec, s[14:15]
	s_mov_b32 s12, 0xffffff
	v_cmp_lt_u32_e64 s[12:13], s12, v28
	v_mov_b32_e32 v27, 0
	v_mov_b32_e32 v34, 0
	s_and_saveexec_b64 s[14:15], s[12:13]
	s_cbranch_execz .LBB526_278
; %bb.273:
	v_lshrrev_b32_e32 v26, 24, v28
	s_movk_i32 s12, 0x80
	v_cmp_ne_u32_e64 s[12:13], s12, v26
	v_bfrev_b32_e32 v34, 1
	s_and_saveexec_b64 s[24:25], s[12:13]
	s_cbranch_execz .LBB526_277
; %bb.274:
	v_bfe_u32 v30, v28, 24, 7
	s_movk_i32 s12, 0x7f
	v_cmp_ne_u32_e64 s[12:13], s12, v30
	v_mov_b32_e32 v34, 0x7f800001
	s_and_saveexec_b64 s[26:27], s[12:13]
	s_cbranch_execz .LBB526_276
; %bb.275:
	v_and_b32_e32 v36, 7, v26
	v_ffbh_u32_e32 v34, v36
	v_min_u32_e32 v38, 32, v34
	v_subrev_u32_e32 v34, 28, v38
	v_lshlrev_b64 v[34:35], v34, v[26:27]
	v_lshrrev_b32_e32 v37, 3, v30
	v_sub_u32_e32 v35, 29, v38
	v_and_b32_e32 v34, 7, v34
	v_cmp_gt_u32_e64 s[12:13], 8, v30
	v_cndmask_b32_e64 v30, v37, v35, s[12:13]
	v_cndmask_b32_e64 v34, v36, v34, s[12:13]
	v_lshlrev_b32_e32 v26, 24, v26
	v_bfrev_b32_e32 v35, 60
	v_lshlrev_b32_e32 v34, 20, v34
	v_and_b32_e32 v26, 0x80000000, v26
	v_lshl_add_u32 v30, v30, 23, v35
	v_or3_b32 v34, v26, v30, v34
.LBB526_276:
	s_or_b64 exec, exec, s[26:27]
.LBB526_277:
	s_or_b64 exec, exec, s[24:25]
.LBB526_278:
	s_or_b64 exec, exec, s[14:15]
	v_mov_b32_e32 v26, v29
	v_cmp_ne_u16_sdwa s[12:13], v29, v27 src0_sel:BYTE_0 src1_sel:DWORD
	s_and_saveexec_b64 s[14:15], s[12:13]
	s_cbranch_execz .LBB526_284
; %bb.279:
	s_movk_i32 s12, 0x80
	v_cmp_ne_u16_sdwa s[12:13], v29, s12 src0_sel:BYTE_0 src1_sel:DWORD
	v_bfrev_b32_e32 v30, 1
	s_and_saveexec_b64 s[24:25], s[12:13]
	s_cbranch_execz .LBB526_283
; %bb.280:
	s_movk_i32 s12, 0x7f
	v_and_b32_e32 v35, 0x7f, v29
	v_cmp_ne_u32_e64 s[12:13], s12, v35
	v_mov_b32_e32 v30, 0x7f800001
	s_and_saveexec_b64 s[26:27], s[12:13]
	s_cbranch_execz .LBB526_282
; %bb.281:
	v_and_b32_e32 v30, 7, v29
	v_ffbh_u32_e32 v30, v30
	v_min_u32_e32 v30, 32, v30
	v_subrev_u32_e32 v37, 28, v30
	v_cmp_gt_u32_e64 s[12:13], 8, v35
	v_lshrrev_b32_e32 v36, 3, v35
	v_sub_u32_e32 v30, 29, v30
	v_cndmask_b32_e64 v35, 0, v37, s[12:13]
	v_cndmask_b32_e64 v30, v36, v30, s[12:13]
	v_lshlrev_b64 v[36:37], v35, v[26:27]
	v_lshlrev_b32_e32 v27, 20, v36
	v_lshlrev_b32_e32 v35, 24, v26
	v_bfrev_b32_e32 v36, 60
	v_and_b32_e32 v27, 0x700000, v27
	v_and_b32_e32 v35, 0x80000000, v35
	v_lshl_add_u32 v30, v30, 23, v36
	v_or3_b32 v30, v35, v30, v27
.LBB526_282:
	s_or_b64 exec, exec, s[26:27]
.LBB526_283:
	s_or_b64 exec, exec, s[24:25]
	v_mov_b32_e32 v27, v30
.LBB526_284:
	s_or_b64 exec, exec, s[14:15]
	v_lshrrev_b16_e32 v30, 8, v26
	v_cmp_ne_u16_e64 s[12:13], 0, v30
	v_mov_b32_e32 v35, 0
	v_mov_b32_e32 v36, 0
	s_and_saveexec_b64 s[14:15], s[12:13]
	s_cbranch_execz .LBB526_290
; %bb.285:
	s_movk_i32 s12, 0x80
	v_cmp_ne_u16_e64 s[12:13], s12, v30
	v_bfrev_b32_e32 v36, 1
	s_and_saveexec_b64 s[24:25], s[12:13]
	s_cbranch_execz .LBB526_289
; %bb.286:
	s_movk_i32 s12, 0x7f
	v_and_b32_e32 v37, 0x7f, v30
	v_cmp_ne_u32_e64 s[12:13], s12, v37
	v_mov_b32_e32 v36, 0x7f800001
	s_and_saveexec_b64 s[26:27], s[12:13]
	s_cbranch_execz .LBB526_288
; %bb.287:
	v_and_b32_e32 v36, 7, v30
	v_ffbh_u32_e32 v38, v36
	v_min_u32_e32 v41, 32, v38
	v_subrev_u32_e32 v38, 28, v41
	v_lshlrev_b64 v[38:39], v38, v[30:31]
	v_lshrrev_b32_e32 v40, 3, v37
	v_sub_u32_e32 v30, 29, v41
	v_and_b32_e32 v38, 7, v38
	v_cmp_gt_u32_e64 s[12:13], 8, v37
	v_cndmask_b32_e64 v30, v40, v30, s[12:13]
	v_cndmask_b32_e64 v36, v36, v38, s[12:13]
	v_lshlrev_b32_e32 v26, 16, v26
	v_bfrev_b32_e32 v37, 60
	v_lshlrev_b32_e32 v36, 20, v36
	v_and_b32_e32 v26, 0x80000000, v26
	v_lshl_add_u32 v30, v30, 23, v37
	v_or3_b32 v36, v26, v30, v36
.LBB526_288:
	s_or_b64 exec, exec, s[26:27]
.LBB526_289:
	s_or_b64 exec, exec, s[24:25]
.LBB526_290:
	s_or_b64 exec, exec, s[14:15]
	s_movk_i32 s12, 0xff
	v_and_b32_sdwa v30, v29, s12 dst_sel:DWORD dst_unused:UNUSED_PAD src0_sel:WORD_1 src1_sel:DWORD
	v_lshrrev_b32_e32 v26, 16, v29
	v_cmp_ne_u16_e64 s[12:13], 0, v30
	s_and_saveexec_b64 s[14:15], s[12:13]
	s_cbranch_execz .LBB526_296
; %bb.291:
	s_movk_i32 s12, 0x80
	v_cmp_ne_u16_e64 s[12:13], s12, v30
	v_bfrev_b32_e32 v35, 1
	s_and_saveexec_b64 s[24:25], s[12:13]
	s_cbranch_execz .LBB526_295
; %bb.292:
	v_bfe_u32 v30, v29, 16, 7
	s_movk_i32 s12, 0x7f
	v_cmp_ne_u32_e64 s[12:13], s12, v30
	v_mov_b32_e32 v35, 0x7f800001
	s_and_saveexec_b64 s[26:27], s[12:13]
	s_cbranch_execz .LBB526_294
; %bb.293:
	v_and_b32_e32 v35, 7, v26
	v_ffbh_u32_e32 v38, v35
	v_min_u32_e32 v40, 32, v38
	v_subrev_u32_e32 v38, 28, v40
	v_lshlrev_b64 v[38:39], v38, v[26:27]
	v_and_b32_e32 v38, 7, v38
	v_cmp_gt_u32_e64 s[12:13], 8, v30
	v_lshrrev_b32_e32 v37, 3, v30
	v_sub_u32_e32 v26, 29, v40
	v_cndmask_b32_e64 v30, v35, v38, s[12:13]
	v_mov_b32_e32 v35, 24
	v_cndmask_b32_e64 v26, v37, v26, s[12:13]
	v_lshlrev_b32_sdwa v35, v35, v29 dst_sel:DWORD dst_unused:UNUSED_PAD src0_sel:DWORD src1_sel:WORD_1
	v_bfrev_b32_e32 v37, 60
	v_lshlrev_b32_e32 v30, 20, v30
	v_and_b32_e32 v35, 0x80000000, v35
	v_lshl_add_u32 v26, v26, 23, v37
	v_or3_b32 v35, v35, v26, v30
.LBB526_294:
	s_or_b64 exec, exec, s[26:27]
.LBB526_295:
	s_or_b64 exec, exec, s[24:25]
.LBB526_296:
	s_or_b64 exec, exec, s[14:15]
	s_mov_b32 s12, -1
	s_mov_b32 s13, 0xffffff
	v_cmp_lt_u64_e64 s[12:13], s[12:13], v[28:29]
	v_mov_b32_e32 v30, 0
	v_mov_b32_e32 v28, 0
	s_and_saveexec_b64 s[14:15], s[12:13]
	s_cbranch_execz .LBB526_302
; %bb.297:
	v_lshrrev_b32_e32 v26, 24, v29
	s_movk_i32 s12, 0x80
	v_cmp_ne_u32_e64 s[12:13], s12, v26
	v_bfrev_b32_e32 v28, 1
	s_and_saveexec_b64 s[24:25], s[12:13]
	s_cbranch_execz .LBB526_301
; %bb.298:
	v_bfe_u32 v29, v29, 24, 7
	s_movk_i32 s12, 0x7f
	v_cmp_ne_u32_e64 s[12:13], s12, v29
	v_mov_b32_e32 v28, 0x7f800001
	s_and_saveexec_b64 s[26:27], s[12:13]
	s_cbranch_execz .LBB526_300
; %bb.299:
	v_and_b32_e32 v28, 7, v26
	v_ffbh_u32_e32 v38, v28
	v_min_u32_e32 v40, 32, v38
	v_subrev_u32_e32 v38, 28, v40
	v_lshlrev_b64 v[38:39], v38, v[26:27]
	v_lshrrev_b32_e32 v37, 3, v29
	v_sub_u32_e32 v39, 29, v40
	v_and_b32_e32 v38, 7, v38
	v_cmp_gt_u32_e64 s[12:13], 8, v29
	v_cndmask_b32_e64 v29, v37, v39, s[12:13]
	v_cndmask_b32_e64 v28, v28, v38, s[12:13]
	v_lshlrev_b32_e32 v26, 24, v26
	v_bfrev_b32_e32 v37, 60
	v_lshlrev_b32_e32 v28, 20, v28
	v_and_b32_e32 v26, 0x80000000, v26
	v_lshl_add_u32 v29, v29, 23, v37
	v_or3_b32 v28, v26, v29, v28
.LBB526_300:
	s_or_b64 exec, exec, s[26:27]
.LBB526_301:
	s_or_b64 exec, exec, s[24:25]
.LBB526_302:
	s_or_b64 exec, exec, s[14:15]
	v_cvt_pkrtz_f16_f32 v32, v32, v33
	v_cvt_pkrtz_f16_f32 v33, v31, v34
	;; [unrolled: 1-line block ×4, first 2 shown]
	v_mfma_f32_4x4x4f16 a[0:3], v[2:3], v[32:33], a[0:3] cbsz:4 abid:5
	v_cmp_ne_u16_sdwa s[12:13], v22, v30 src0_sel:BYTE_0 src1_sel:DWORD
	v_mfma_f32_4x4x4f16 a[0:3], v[4:5], v[26:27], a[0:3] cbsz:4 abid:5
	s_and_saveexec_b64 s[14:15], s[12:13]
	s_cbranch_execz .LBB526_308
; %bb.303:
	s_movk_i32 s12, 0x80
	v_cmp_ne_u16_sdwa s[12:13], v22, s12 src0_sel:BYTE_0 src1_sel:DWORD
	v_bfrev_b32_e32 v30, 1
	s_and_saveexec_b64 s[24:25], s[12:13]
	s_cbranch_execz .LBB526_307
; %bb.304:
	s_movk_i32 s12, 0x7f
	v_and_b32_e32 v26, 0x7f, v22
	v_cmp_ne_u32_e64 s[12:13], s12, v26
	v_mov_b32_e32 v30, 0x7f800001
	s_and_saveexec_b64 s[26:27], s[12:13]
	s_cbranch_execz .LBB526_306
; %bb.305:
	v_and_b32_e32 v27, 7, v22
	v_ffbh_u32_e32 v27, v27
	v_min_u32_e32 v27, 32, v27
	v_subrev_u32_e32 v29, 28, v27
	v_cmp_gt_u32_e64 s[12:13], 8, v26
	v_lshrrev_b32_e32 v28, 3, v26
	v_sub_u32_e32 v27, 29, v27
	v_cndmask_b32_e64 v26, 0, v29, s[12:13]
	v_cndmask_b32_e64 v28, v28, v27, s[12:13]
	v_lshlrev_b64 v[26:27], v26, v[22:23]
	v_lshlrev_b32_e32 v26, 20, v26
	v_lshlrev_b32_e32 v27, 24, v22
	v_bfrev_b32_e32 v29, 60
	v_and_b32_e32 v26, 0x700000, v26
	v_and_b32_e32 v27, 0x80000000, v27
	v_lshl_add_u32 v28, v28, 23, v29
	v_or3_b32 v30, v27, v28, v26
.LBB526_306:
	s_or_b64 exec, exec, s[26:27]
.LBB526_307:
	s_or_b64 exec, exec, s[24:25]
.LBB526_308:
	s_or_b64 exec, exec, s[14:15]
	v_lshrrev_b16_e32 v26, 8, v22
	v_cmp_ne_u16_e64 s[12:13], 0, v26
	v_mov_b32_e32 v29, 0
	v_mov_b32_e32 v31, 0
	s_and_saveexec_b64 s[14:15], s[12:13]
	s_cbranch_execz .LBB526_314
; %bb.309:
	s_movk_i32 s12, 0x80
	v_cmp_ne_u16_e64 s[12:13], s12, v26
	v_bfrev_b32_e32 v31, 1
	s_and_saveexec_b64 s[24:25], s[12:13]
	s_cbranch_execz .LBB526_313
; %bb.310:
	s_movk_i32 s12, 0x7f
	v_and_b32_e32 v27, 0x7f, v26
	v_cmp_ne_u32_e64 s[12:13], s12, v27
	v_mov_b32_e32 v31, 0x7f800001
	s_and_saveexec_b64 s[26:27], s[12:13]
	s_cbranch_execz .LBB526_312
; %bb.311:
	v_and_b32_e32 v28, 7, v26
	v_ffbh_u32_e32 v32, v28
	v_min_u32_e32 v34, 32, v32
	v_subrev_u32_e32 v32, 28, v34
	v_lshlrev_b64 v[32:33], v32, v[26:27]
	v_lshrrev_b32_e32 v31, 3, v27
	v_sub_u32_e32 v26, 29, v34
	v_and_b32_e32 v32, 7, v32
	v_cmp_gt_u32_e64 s[12:13], 8, v27
	v_cndmask_b32_e64 v26, v31, v26, s[12:13]
	v_cndmask_b32_e64 v27, v28, v32, s[12:13]
	v_lshlrev_b32_e32 v28, 16, v22
	v_bfrev_b32_e32 v31, 60
	v_lshlrev_b32_e32 v27, 20, v27
	v_and_b32_e32 v28, 0x80000000, v28
	v_lshl_add_u32 v26, v26, 23, v31
	v_or3_b32 v31, v28, v26, v27
.LBB526_312:
	s_or_b64 exec, exec, s[26:27]
.LBB526_313:
	s_or_b64 exec, exec, s[24:25]
.LBB526_314:
	s_or_b64 exec, exec, s[14:15]
	s_movk_i32 s12, 0xff
	v_and_b32_sdwa v27, v22, s12 dst_sel:DWORD dst_unused:UNUSED_PAD src0_sel:WORD_1 src1_sel:DWORD
	v_lshrrev_b32_e32 v26, 16, v22
	v_cmp_ne_u16_e64 s[12:13], 0, v27
	s_and_saveexec_b64 s[14:15], s[12:13]
	s_cbranch_execz .LBB526_320
; %bb.315:
	s_movk_i32 s12, 0x80
	v_cmp_ne_u16_e64 s[12:13], s12, v27
	v_bfrev_b32_e32 v29, 1
	s_and_saveexec_b64 s[24:25], s[12:13]
	s_cbranch_execz .LBB526_319
; %bb.316:
	v_bfe_u32 v27, v22, 16, 7
	s_movk_i32 s12, 0x7f
	v_cmp_ne_u32_e64 s[12:13], s12, v27
	v_mov_b32_e32 v29, 0x7f800001
	s_and_saveexec_b64 s[26:27], s[12:13]
	s_cbranch_execz .LBB526_318
; %bb.317:
	v_and_b32_e32 v32, 7, v26
	v_ffbh_u32_e32 v28, v32
	v_min_u32_e32 v34, 32, v28
	v_subrev_u32_e32 v28, 28, v34
	v_lshlrev_b64 v[28:29], v28, v[26:27]
	v_and_b32_e32 v28, 7, v28
	v_cmp_gt_u32_e64 s[12:13], 8, v27
	v_lshrrev_b32_e32 v33, 3, v27
	v_sub_u32_e32 v26, 29, v34
	v_cndmask_b32_e64 v27, v32, v28, s[12:13]
	v_mov_b32_e32 v28, 24
	v_cndmask_b32_e64 v26, v33, v26, s[12:13]
	v_lshlrev_b32_sdwa v28, v28, v22 dst_sel:DWORD dst_unused:UNUSED_PAD src0_sel:DWORD src1_sel:WORD_1
	v_bfrev_b32_e32 v29, 60
	v_lshlrev_b32_e32 v27, 20, v27
	v_and_b32_e32 v28, 0x80000000, v28
	v_lshl_add_u32 v26, v26, 23, v29
	v_or3_b32 v29, v28, v26, v27
.LBB526_318:
	s_or_b64 exec, exec, s[26:27]
.LBB526_319:
	s_or_b64 exec, exec, s[24:25]
.LBB526_320:
	s_or_b64 exec, exec, s[14:15]
	s_mov_b32 s12, 0xffffff
	v_cmp_lt_u32_e64 s[12:13], s12, v22
	v_mov_b32_e32 v27, 0
	v_mov_b32_e32 v32, 0
	s_and_saveexec_b64 s[14:15], s[12:13]
	s_cbranch_execz .LBB526_326
; %bb.321:
	v_lshrrev_b32_e32 v26, 24, v22
	s_movk_i32 s12, 0x80
	v_cmp_ne_u32_e64 s[12:13], s12, v26
	v_bfrev_b32_e32 v32, 1
	s_and_saveexec_b64 s[24:25], s[12:13]
	s_cbranch_execz .LBB526_325
; %bb.322:
	v_bfe_u32 v28, v22, 24, 7
	s_movk_i32 s12, 0x7f
	v_cmp_ne_u32_e64 s[12:13], s12, v28
	v_mov_b32_e32 v32, 0x7f800001
	s_and_saveexec_b64 s[26:27], s[12:13]
	s_cbranch_execz .LBB526_324
; %bb.323:
	v_and_b32_e32 v34, 7, v26
	v_ffbh_u32_e32 v32, v34
	v_min_u32_e32 v36, 32, v32
	v_subrev_u32_e32 v32, 28, v36
	v_lshlrev_b64 v[32:33], v32, v[26:27]
	v_lshrrev_b32_e32 v35, 3, v28
	v_sub_u32_e32 v33, 29, v36
	v_and_b32_e32 v32, 7, v32
	v_cmp_gt_u32_e64 s[12:13], 8, v28
	v_cndmask_b32_e64 v28, v35, v33, s[12:13]
	v_cndmask_b32_e64 v32, v34, v32, s[12:13]
	v_lshlrev_b32_e32 v26, 24, v26
	v_bfrev_b32_e32 v33, 60
	v_lshlrev_b32_e32 v32, 20, v32
	v_and_b32_e32 v26, 0x80000000, v26
	v_lshl_add_u32 v28, v28, 23, v33
	v_or3_b32 v32, v26, v28, v32
.LBB526_324:
	s_or_b64 exec, exec, s[26:27]
.LBB526_325:
	s_or_b64 exec, exec, s[24:25]
.LBB526_326:
	s_or_b64 exec, exec, s[14:15]
	v_mov_b32_e32 v26, v23
	v_cmp_ne_u16_sdwa s[12:13], v23, v27 src0_sel:BYTE_0 src1_sel:DWORD
	s_and_saveexec_b64 s[14:15], s[12:13]
	s_cbranch_execz .LBB526_332
; %bb.327:
	s_movk_i32 s12, 0x80
	v_cmp_ne_u16_sdwa s[12:13], v23, s12 src0_sel:BYTE_0 src1_sel:DWORD
	v_bfrev_b32_e32 v28, 1
	s_and_saveexec_b64 s[24:25], s[12:13]
	s_cbranch_execz .LBB526_331
; %bb.328:
	s_movk_i32 s12, 0x7f
	v_and_b32_e32 v33, 0x7f, v23
	v_cmp_ne_u32_e64 s[12:13], s12, v33
	v_mov_b32_e32 v28, 0x7f800001
	s_and_saveexec_b64 s[26:27], s[12:13]
	s_cbranch_execz .LBB526_330
; %bb.329:
	v_and_b32_e32 v28, 7, v23
	v_ffbh_u32_e32 v28, v28
	v_min_u32_e32 v28, 32, v28
	v_subrev_u32_e32 v35, 28, v28
	v_cmp_gt_u32_e64 s[12:13], 8, v33
	v_lshrrev_b32_e32 v34, 3, v33
	v_sub_u32_e32 v28, 29, v28
	v_cndmask_b32_e64 v33, 0, v35, s[12:13]
	v_cndmask_b32_e64 v28, v34, v28, s[12:13]
	v_lshlrev_b64 v[34:35], v33, v[26:27]
	v_lshlrev_b32_e32 v27, 20, v34
	v_lshlrev_b32_e32 v33, 24, v26
	v_bfrev_b32_e32 v34, 60
	v_and_b32_e32 v27, 0x700000, v27
	v_and_b32_e32 v33, 0x80000000, v33
	v_lshl_add_u32 v28, v28, 23, v34
	v_or3_b32 v28, v33, v28, v27
.LBB526_330:
	s_or_b64 exec, exec, s[26:27]
.LBB526_331:
	s_or_b64 exec, exec, s[24:25]
	v_mov_b32_e32 v27, v28
.LBB526_332:
	s_or_b64 exec, exec, s[14:15]
	v_lshrrev_b16_e32 v28, 8, v26
	v_cmp_ne_u16_e64 s[12:13], 0, v28
	v_mov_b32_e32 v33, 0
	v_mov_b32_e32 v34, 0
	s_and_saveexec_b64 s[14:15], s[12:13]
	s_cbranch_execz .LBB526_338
; %bb.333:
	s_movk_i32 s12, 0x80
	v_cmp_ne_u16_e64 s[12:13], s12, v28
	v_bfrev_b32_e32 v34, 1
	s_and_saveexec_b64 s[24:25], s[12:13]
	s_cbranch_execz .LBB526_337
; %bb.334:
	s_movk_i32 s12, 0x7f
	v_and_b32_e32 v35, 0x7f, v28
	v_cmp_ne_u32_e64 s[12:13], s12, v35
	v_mov_b32_e32 v34, 0x7f800001
	s_and_saveexec_b64 s[26:27], s[12:13]
	s_cbranch_execz .LBB526_336
; %bb.335:
	v_and_b32_e32 v34, 7, v28
	v_ffbh_u32_e32 v36, v34
	v_min_u32_e32 v39, 32, v36
	v_subrev_u32_e32 v36, 28, v39
	v_lshlrev_b64 v[36:37], v36, v[28:29]
	v_lshrrev_b32_e32 v38, 3, v35
	v_sub_u32_e32 v28, 29, v39
	v_and_b32_e32 v36, 7, v36
	v_cmp_gt_u32_e64 s[12:13], 8, v35
	v_cndmask_b32_e64 v28, v38, v28, s[12:13]
	v_cndmask_b32_e64 v34, v34, v36, s[12:13]
	v_lshlrev_b32_e32 v26, 16, v26
	v_bfrev_b32_e32 v35, 60
	v_lshlrev_b32_e32 v34, 20, v34
	v_and_b32_e32 v26, 0x80000000, v26
	v_lshl_add_u32 v28, v28, 23, v35
	v_or3_b32 v34, v26, v28, v34
.LBB526_336:
	s_or_b64 exec, exec, s[26:27]
.LBB526_337:
	s_or_b64 exec, exec, s[24:25]
.LBB526_338:
	s_or_b64 exec, exec, s[14:15]
	s_movk_i32 s12, 0xff
	v_and_b32_sdwa v28, v23, s12 dst_sel:DWORD dst_unused:UNUSED_PAD src0_sel:WORD_1 src1_sel:DWORD
	v_lshrrev_b32_e32 v26, 16, v23
	v_cmp_ne_u16_e64 s[12:13], 0, v28
	s_and_saveexec_b64 s[14:15], s[12:13]
	s_cbranch_execz .LBB526_344
; %bb.339:
	s_movk_i32 s12, 0x80
	v_cmp_ne_u16_e64 s[12:13], s12, v28
	v_bfrev_b32_e32 v33, 1
	s_and_saveexec_b64 s[24:25], s[12:13]
	s_cbranch_execz .LBB526_343
; %bb.340:
	v_bfe_u32 v28, v23, 16, 7
	s_movk_i32 s12, 0x7f
	v_cmp_ne_u32_e64 s[12:13], s12, v28
	v_mov_b32_e32 v33, 0x7f800001
	s_and_saveexec_b64 s[26:27], s[12:13]
	s_cbranch_execz .LBB526_342
; %bb.341:
	v_and_b32_e32 v33, 7, v26
	v_ffbh_u32_e32 v36, v33
	v_min_u32_e32 v38, 32, v36
	v_subrev_u32_e32 v36, 28, v38
	v_lshlrev_b64 v[36:37], v36, v[26:27]
	v_and_b32_e32 v36, 7, v36
	v_cmp_gt_u32_e64 s[12:13], 8, v28
	v_lshrrev_b32_e32 v35, 3, v28
	v_sub_u32_e32 v26, 29, v38
	v_cndmask_b32_e64 v28, v33, v36, s[12:13]
	v_mov_b32_e32 v33, 24
	v_cndmask_b32_e64 v26, v35, v26, s[12:13]
	v_lshlrev_b32_sdwa v33, v33, v23 dst_sel:DWORD dst_unused:UNUSED_PAD src0_sel:DWORD src1_sel:WORD_1
	v_bfrev_b32_e32 v35, 60
	v_lshlrev_b32_e32 v28, 20, v28
	v_and_b32_e32 v33, 0x80000000, v33
	v_lshl_add_u32 v26, v26, 23, v35
	v_or3_b32 v33, v33, v26, v28
.LBB526_342:
	s_or_b64 exec, exec, s[26:27]
.LBB526_343:
	s_or_b64 exec, exec, s[24:25]
.LBB526_344:
	s_or_b64 exec, exec, s[14:15]
	s_mov_b32 s12, -1
	s_mov_b32 s13, 0xffffff
	v_cmp_lt_u64_e64 s[12:13], s[12:13], v[22:23]
	v_mov_b32_e32 v28, 0
	v_mov_b32_e32 v26, 0
	s_and_saveexec_b64 s[14:15], s[12:13]
	s_cbranch_execz .LBB526_350
; %bb.345:
	v_lshrrev_b32_e32 v22, 24, v23
	s_movk_i32 s12, 0x80
	v_cmp_ne_u32_e64 s[12:13], s12, v22
	v_bfrev_b32_e32 v26, 1
	s_and_saveexec_b64 s[24:25], s[12:13]
	s_cbranch_execz .LBB526_349
; %bb.346:
	v_bfe_u32 v23, v23, 24, 7
	s_movk_i32 s12, 0x7f
	v_cmp_ne_u32_e64 s[12:13], s12, v23
	v_mov_b32_e32 v26, 0x7f800001
	s_and_saveexec_b64 s[26:27], s[12:13]
	s_cbranch_execz .LBB526_348
; %bb.347:
	v_and_b32_e32 v26, 7, v22
	v_ffbh_u32_e32 v36, v26
	v_min_u32_e32 v38, 32, v36
	v_subrev_u32_e32 v36, 28, v38
	v_lshlrev_b64 v[36:37], v36, v[22:23]
	v_lshrrev_b32_e32 v35, 3, v23
	v_sub_u32_e32 v37, 29, v38
	v_and_b32_e32 v36, 7, v36
	v_cmp_gt_u32_e64 s[12:13], 8, v23
	v_cndmask_b32_e64 v23, v35, v37, s[12:13]
	v_cndmask_b32_e64 v26, v26, v36, s[12:13]
	v_lshlrev_b32_e32 v22, 24, v22
	v_bfrev_b32_e32 v35, 60
	v_lshlrev_b32_e32 v26, 20, v26
	v_and_b32_e32 v22, 0x80000000, v22
	v_lshl_add_u32 v23, v23, 23, v35
	v_or3_b32 v26, v22, v23, v26
.LBB526_348:
	s_or_b64 exec, exec, s[26:27]
.LBB526_349:
	s_or_b64 exec, exec, s[24:25]
.LBB526_350:
	s_or_b64 exec, exec, s[14:15]
	v_cvt_pkrtz_f16_f32 v22, v30, v31
	v_cvt_pkrtz_f16_f32 v23, v29, v32
	;; [unrolled: 1-line block ×4, first 2 shown]
	v_mfma_f32_4x4x4f16 a[0:3], v[2:3], v[22:23], a[0:3] cbsz:4 abid:6
	v_cmp_ne_u16_sdwa s[12:13], v24, v28 src0_sel:BYTE_0 src1_sel:DWORD
	v_mfma_f32_4x4x4f16 a[0:3], v[4:5], v[30:31], a[0:3] cbsz:4 abid:6
	s_and_saveexec_b64 s[14:15], s[12:13]
	s_cbranch_execz .LBB526_356
; %bb.351:
	s_movk_i32 s12, 0x80
	v_cmp_ne_u16_sdwa s[12:13], v24, s12 src0_sel:BYTE_0 src1_sel:DWORD
	v_bfrev_b32_e32 v28, 1
	s_and_saveexec_b64 s[24:25], s[12:13]
	s_cbranch_execz .LBB526_355
; %bb.352:
	s_movk_i32 s12, 0x7f
	v_and_b32_e32 v22, 0x7f, v24
	v_cmp_ne_u32_e64 s[12:13], s12, v22
	v_mov_b32_e32 v28, 0x7f800001
	s_and_saveexec_b64 s[26:27], s[12:13]
	s_cbranch_execz .LBB526_354
; %bb.353:
	v_and_b32_e32 v23, 7, v24
	v_ffbh_u32_e32 v23, v23
	v_min_u32_e32 v23, 32, v23
	v_subrev_u32_e32 v27, 28, v23
	v_cmp_gt_u32_e64 s[12:13], 8, v22
	v_lshrrev_b32_e32 v26, 3, v22
	v_sub_u32_e32 v23, 29, v23
	v_cndmask_b32_e64 v22, 0, v27, s[12:13]
	v_cndmask_b32_e64 v26, v26, v23, s[12:13]
	v_lshlrev_b64 v[22:23], v22, v[24:25]
	v_lshlrev_b32_e32 v22, 20, v22
	v_lshlrev_b32_e32 v23, 24, v24
	v_bfrev_b32_e32 v27, 60
	v_and_b32_e32 v22, 0x700000, v22
	v_and_b32_e32 v23, 0x80000000, v23
	v_lshl_add_u32 v26, v26, 23, v27
	v_or3_b32 v28, v23, v26, v22
.LBB526_354:
	s_or_b64 exec, exec, s[26:27]
.LBB526_355:
	s_or_b64 exec, exec, s[24:25]
.LBB526_356:
	s_or_b64 exec, exec, s[14:15]
	v_lshrrev_b16_e32 v22, 8, v24
	v_cmp_ne_u16_e64 s[12:13], 0, v22
	v_mov_b32_e32 v27, 0
	v_mov_b32_e32 v29, 0
	s_and_saveexec_b64 s[14:15], s[12:13]
	s_cbranch_execz .LBB526_362
; %bb.357:
	s_movk_i32 s12, 0x80
	v_cmp_ne_u16_e64 s[12:13], s12, v22
	v_bfrev_b32_e32 v29, 1
	s_and_saveexec_b64 s[24:25], s[12:13]
	s_cbranch_execz .LBB526_361
; %bb.358:
	s_movk_i32 s12, 0x7f
	v_and_b32_e32 v23, 0x7f, v22
	v_cmp_ne_u32_e64 s[12:13], s12, v23
	v_mov_b32_e32 v29, 0x7f800001
	s_and_saveexec_b64 s[26:27], s[12:13]
	s_cbranch_execz .LBB526_360
; %bb.359:
	v_and_b32_e32 v26, 7, v22
	v_ffbh_u32_e32 v30, v26
	v_min_u32_e32 v32, 32, v30
	v_subrev_u32_e32 v30, 28, v32
	v_lshlrev_b64 v[30:31], v30, v[22:23]
	v_lshrrev_b32_e32 v29, 3, v23
	v_sub_u32_e32 v22, 29, v32
	v_and_b32_e32 v30, 7, v30
	v_cmp_gt_u32_e64 s[12:13], 8, v23
	v_cndmask_b32_e64 v22, v29, v22, s[12:13]
	v_cndmask_b32_e64 v23, v26, v30, s[12:13]
	v_lshlrev_b32_e32 v26, 16, v24
	v_bfrev_b32_e32 v29, 60
	v_lshlrev_b32_e32 v23, 20, v23
	v_and_b32_e32 v26, 0x80000000, v26
	v_lshl_add_u32 v22, v22, 23, v29
	v_or3_b32 v29, v26, v22, v23
.LBB526_360:
	s_or_b64 exec, exec, s[26:27]
.LBB526_361:
	s_or_b64 exec, exec, s[24:25]
.LBB526_362:
	s_or_b64 exec, exec, s[14:15]
	s_movk_i32 s12, 0xff
	v_and_b32_sdwa v23, v24, s12 dst_sel:DWORD dst_unused:UNUSED_PAD src0_sel:WORD_1 src1_sel:DWORD
	v_lshrrev_b32_e32 v22, 16, v24
	v_cmp_ne_u16_e64 s[12:13], 0, v23
	s_and_saveexec_b64 s[14:15], s[12:13]
	s_cbranch_execz .LBB526_368
; %bb.363:
	s_movk_i32 s12, 0x80
	v_cmp_ne_u16_e64 s[12:13], s12, v23
	v_bfrev_b32_e32 v27, 1
	s_and_saveexec_b64 s[24:25], s[12:13]
	s_cbranch_execz .LBB526_367
; %bb.364:
	v_bfe_u32 v23, v24, 16, 7
	s_movk_i32 s12, 0x7f
	v_cmp_ne_u32_e64 s[12:13], s12, v23
	v_mov_b32_e32 v27, 0x7f800001
	s_and_saveexec_b64 s[26:27], s[12:13]
	s_cbranch_execz .LBB526_366
; %bb.365:
	v_and_b32_e32 v30, 7, v22
	v_ffbh_u32_e32 v26, v30
	v_min_u32_e32 v32, 32, v26
	v_subrev_u32_e32 v26, 28, v32
	v_lshlrev_b64 v[26:27], v26, v[22:23]
	v_and_b32_e32 v26, 7, v26
	v_cmp_gt_u32_e64 s[12:13], 8, v23
	v_lshrrev_b32_e32 v31, 3, v23
	v_sub_u32_e32 v22, 29, v32
	v_cndmask_b32_e64 v23, v30, v26, s[12:13]
	v_mov_b32_e32 v26, 24
	v_cndmask_b32_e64 v22, v31, v22, s[12:13]
	v_lshlrev_b32_sdwa v26, v26, v24 dst_sel:DWORD dst_unused:UNUSED_PAD src0_sel:DWORD src1_sel:WORD_1
	v_bfrev_b32_e32 v27, 60
	v_lshlrev_b32_e32 v23, 20, v23
	v_and_b32_e32 v26, 0x80000000, v26
	v_lshl_add_u32 v22, v22, 23, v27
	v_or3_b32 v27, v26, v22, v23
.LBB526_366:
	s_or_b64 exec, exec, s[26:27]
.LBB526_367:
	s_or_b64 exec, exec, s[24:25]
.LBB526_368:
	s_or_b64 exec, exec, s[14:15]
	s_mov_b32 s12, 0xffffff
	v_cmp_lt_u32_e64 s[12:13], s12, v24
	v_mov_b32_e32 v23, 0
	v_mov_b32_e32 v30, 0
	s_and_saveexec_b64 s[14:15], s[12:13]
	s_cbranch_execz .LBB526_374
; %bb.369:
	v_lshrrev_b32_e32 v22, 24, v24
	s_movk_i32 s12, 0x80
	v_cmp_ne_u32_e64 s[12:13], s12, v22
	v_bfrev_b32_e32 v30, 1
	s_and_saveexec_b64 s[24:25], s[12:13]
	s_cbranch_execz .LBB526_373
; %bb.370:
	v_bfe_u32 v26, v24, 24, 7
	s_movk_i32 s12, 0x7f
	v_cmp_ne_u32_e64 s[12:13], s12, v26
	v_mov_b32_e32 v30, 0x7f800001
	s_and_saveexec_b64 s[26:27], s[12:13]
	s_cbranch_execz .LBB526_372
; %bb.371:
	v_and_b32_e32 v32, 7, v22
	v_ffbh_u32_e32 v30, v32
	v_min_u32_e32 v34, 32, v30
	v_subrev_u32_e32 v30, 28, v34
	v_lshlrev_b64 v[30:31], v30, v[22:23]
	v_lshrrev_b32_e32 v33, 3, v26
	v_sub_u32_e32 v31, 29, v34
	v_and_b32_e32 v30, 7, v30
	v_cmp_gt_u32_e64 s[12:13], 8, v26
	v_cndmask_b32_e64 v26, v33, v31, s[12:13]
	v_cndmask_b32_e64 v30, v32, v30, s[12:13]
	v_lshlrev_b32_e32 v22, 24, v22
	v_bfrev_b32_e32 v31, 60
	v_lshlrev_b32_e32 v30, 20, v30
	v_and_b32_e32 v22, 0x80000000, v22
	v_lshl_add_u32 v26, v26, 23, v31
	v_or3_b32 v30, v22, v26, v30
.LBB526_372:
	s_or_b64 exec, exec, s[26:27]
.LBB526_373:
	s_or_b64 exec, exec, s[24:25]
.LBB526_374:
	s_or_b64 exec, exec, s[14:15]
	v_mov_b32_e32 v22, v25
	v_cmp_ne_u16_sdwa s[12:13], v25, v23 src0_sel:BYTE_0 src1_sel:DWORD
	s_and_saveexec_b64 s[14:15], s[12:13]
	s_cbranch_execz .LBB526_380
; %bb.375:
	s_movk_i32 s12, 0x80
	v_cmp_ne_u16_sdwa s[12:13], v25, s12 src0_sel:BYTE_0 src1_sel:DWORD
	v_bfrev_b32_e32 v26, 1
	s_and_saveexec_b64 s[24:25], s[12:13]
	s_cbranch_execz .LBB526_379
; %bb.376:
	s_movk_i32 s12, 0x7f
	v_and_b32_e32 v31, 0x7f, v25
	v_cmp_ne_u32_e64 s[12:13], s12, v31
	v_mov_b32_e32 v26, 0x7f800001
	s_and_saveexec_b64 s[26:27], s[12:13]
	s_cbranch_execz .LBB526_378
; %bb.377:
	v_and_b32_e32 v26, 7, v25
	v_ffbh_u32_e32 v26, v26
	v_min_u32_e32 v26, 32, v26
	v_subrev_u32_e32 v33, 28, v26
	v_cmp_gt_u32_e64 s[12:13], 8, v31
	v_lshrrev_b32_e32 v32, 3, v31
	v_sub_u32_e32 v26, 29, v26
	v_cndmask_b32_e64 v31, 0, v33, s[12:13]
	v_cndmask_b32_e64 v26, v32, v26, s[12:13]
	v_lshlrev_b64 v[32:33], v31, v[22:23]
	v_lshlrev_b32_e32 v23, 20, v32
	v_lshlrev_b32_e32 v31, 24, v22
	v_bfrev_b32_e32 v32, 60
	v_and_b32_e32 v23, 0x700000, v23
	v_and_b32_e32 v31, 0x80000000, v31
	v_lshl_add_u32 v26, v26, 23, v32
	v_or3_b32 v26, v31, v26, v23
.LBB526_378:
	s_or_b64 exec, exec, s[26:27]
.LBB526_379:
	s_or_b64 exec, exec, s[24:25]
	v_mov_b32_e32 v23, v26
.LBB526_380:
	s_or_b64 exec, exec, s[14:15]
	v_lshrrev_b16_e32 v26, 8, v22
	v_cmp_ne_u16_e64 s[12:13], 0, v26
	v_mov_b32_e32 v31, 0
	v_mov_b32_e32 v32, 0
	s_and_saveexec_b64 s[14:15], s[12:13]
	s_cbranch_execz .LBB526_386
; %bb.381:
	s_movk_i32 s12, 0x80
	v_cmp_ne_u16_e64 s[12:13], s12, v26
	v_bfrev_b32_e32 v32, 1
	s_and_saveexec_b64 s[24:25], s[12:13]
	s_cbranch_execz .LBB526_385
; %bb.382:
	s_movk_i32 s12, 0x7f
	v_and_b32_e32 v33, 0x7f, v26
	v_cmp_ne_u32_e64 s[12:13], s12, v33
	v_mov_b32_e32 v32, 0x7f800001
	s_and_saveexec_b64 s[26:27], s[12:13]
	s_cbranch_execz .LBB526_384
; %bb.383:
	v_and_b32_e32 v32, 7, v26
	v_ffbh_u32_e32 v34, v32
	v_min_u32_e32 v37, 32, v34
	v_subrev_u32_e32 v34, 28, v37
	v_lshlrev_b64 v[34:35], v34, v[26:27]
	v_lshrrev_b32_e32 v36, 3, v33
	v_sub_u32_e32 v26, 29, v37
	v_and_b32_e32 v34, 7, v34
	v_cmp_gt_u32_e64 s[12:13], 8, v33
	v_cndmask_b32_e64 v26, v36, v26, s[12:13]
	v_cndmask_b32_e64 v32, v32, v34, s[12:13]
	v_lshlrev_b32_e32 v22, 16, v22
	v_bfrev_b32_e32 v33, 60
	v_lshlrev_b32_e32 v32, 20, v32
	v_and_b32_e32 v22, 0x80000000, v22
	v_lshl_add_u32 v26, v26, 23, v33
	v_or3_b32 v32, v22, v26, v32
.LBB526_384:
	s_or_b64 exec, exec, s[26:27]
.LBB526_385:
	s_or_b64 exec, exec, s[24:25]
.LBB526_386:
	s_or_b64 exec, exec, s[14:15]
	s_movk_i32 s12, 0xff
	v_and_b32_sdwa v26, v25, s12 dst_sel:DWORD dst_unused:UNUSED_PAD src0_sel:WORD_1 src1_sel:DWORD
	v_lshrrev_b32_e32 v22, 16, v25
	v_cmp_ne_u16_e64 s[12:13], 0, v26
	s_and_saveexec_b64 s[14:15], s[12:13]
	s_cbranch_execz .LBB526_392
; %bb.387:
	s_movk_i32 s12, 0x80
	v_cmp_ne_u16_e64 s[12:13], s12, v26
	v_bfrev_b32_e32 v31, 1
	s_and_saveexec_b64 s[24:25], s[12:13]
	s_cbranch_execz .LBB526_391
; %bb.388:
	v_bfe_u32 v26, v25, 16, 7
	s_movk_i32 s12, 0x7f
	v_cmp_ne_u32_e64 s[12:13], s12, v26
	v_mov_b32_e32 v31, 0x7f800001
	s_and_saveexec_b64 s[26:27], s[12:13]
	s_cbranch_execz .LBB526_390
; %bb.389:
	v_and_b32_e32 v31, 7, v22
	v_ffbh_u32_e32 v34, v31
	v_min_u32_e32 v36, 32, v34
	v_subrev_u32_e32 v34, 28, v36
	v_lshlrev_b64 v[34:35], v34, v[22:23]
	v_and_b32_e32 v34, 7, v34
	v_cmp_gt_u32_e64 s[12:13], 8, v26
	v_lshrrev_b32_e32 v33, 3, v26
	v_sub_u32_e32 v22, 29, v36
	v_cndmask_b32_e64 v26, v31, v34, s[12:13]
	v_mov_b32_e32 v31, 24
	v_cndmask_b32_e64 v22, v33, v22, s[12:13]
	v_lshlrev_b32_sdwa v31, v31, v25 dst_sel:DWORD dst_unused:UNUSED_PAD src0_sel:DWORD src1_sel:WORD_1
	v_bfrev_b32_e32 v33, 60
	v_lshlrev_b32_e32 v26, 20, v26
	v_and_b32_e32 v31, 0x80000000, v31
	v_lshl_add_u32 v22, v22, 23, v33
	v_or3_b32 v31, v31, v22, v26
.LBB526_390:
	s_or_b64 exec, exec, s[26:27]
.LBB526_391:
	s_or_b64 exec, exec, s[24:25]
.LBB526_392:
	s_or_b64 exec, exec, s[14:15]
	s_mov_b32 s12, -1
	s_mov_b32 s13, 0xffffff
	v_cmp_lt_u64_e64 s[12:13], s[12:13], v[24:25]
	v_mov_b32_e32 v26, 0
	v_mov_b32_e32 v24, 0
	s_and_saveexec_b64 s[14:15], s[12:13]
	s_cbranch_execz .LBB526_398
; %bb.393:
	v_lshrrev_b32_e32 v22, 24, v25
	s_movk_i32 s12, 0x80
	v_cmp_ne_u32_e64 s[12:13], s12, v22
	v_bfrev_b32_e32 v24, 1
	s_and_saveexec_b64 s[24:25], s[12:13]
	s_cbranch_execz .LBB526_397
; %bb.394:
	v_bfe_u32 v25, v25, 24, 7
	s_movk_i32 s12, 0x7f
	v_cmp_ne_u32_e64 s[12:13], s12, v25
	v_mov_b32_e32 v24, 0x7f800001
	s_and_saveexec_b64 s[26:27], s[12:13]
	s_cbranch_execz .LBB526_396
; %bb.395:
	v_and_b32_e32 v24, 7, v22
	v_ffbh_u32_e32 v34, v24
	v_min_u32_e32 v36, 32, v34
	v_subrev_u32_e32 v34, 28, v36
	v_lshlrev_b64 v[34:35], v34, v[22:23]
	v_lshrrev_b32_e32 v33, 3, v25
	v_sub_u32_e32 v35, 29, v36
	v_and_b32_e32 v34, 7, v34
	v_cmp_gt_u32_e64 s[12:13], 8, v25
	v_cndmask_b32_e64 v25, v33, v35, s[12:13]
	v_cndmask_b32_e64 v24, v24, v34, s[12:13]
	v_lshlrev_b32_e32 v22, 24, v22
	v_bfrev_b32_e32 v33, 60
	v_lshlrev_b32_e32 v24, 20, v24
	v_and_b32_e32 v22, 0x80000000, v22
	v_lshl_add_u32 v25, v25, 23, v33
	v_or3_b32 v24, v22, v25, v24
.LBB526_396:
	s_or_b64 exec, exec, s[26:27]
.LBB526_397:
	s_or_b64 exec, exec, s[24:25]
.LBB526_398:
	s_or_b64 exec, exec, s[14:15]
	v_cvt_pkrtz_f16_f32 v28, v28, v29
	v_cvt_pkrtz_f16_f32 v29, v27, v30
	;; [unrolled: 1-line block ×4, first 2 shown]
	v_mfma_f32_4x4x4f16 a[0:3], v[2:3], v[28:29], a[0:3] cbsz:4 abid:7
	s_waitcnt vmcnt(31)
	v_cmp_ne_u16_sdwa s[12:13], v18, v26 src0_sel:BYTE_0 src1_sel:DWORD
	v_mfma_f32_4x4x4f16 a[0:3], v[4:5], v[22:23], a[0:3] cbsz:4 abid:7
	s_and_saveexec_b64 s[14:15], s[12:13]
	s_cbranch_execz .LBB526_404
; %bb.399:
	s_movk_i32 s12, 0x80
	v_cmp_ne_u16_sdwa s[12:13], v18, s12 src0_sel:BYTE_0 src1_sel:DWORD
	v_bfrev_b32_e32 v26, 1
	s_and_saveexec_b64 s[24:25], s[12:13]
	s_cbranch_execz .LBB526_403
; %bb.400:
	s_movk_i32 s12, 0x7f
	v_and_b32_e32 v22, 0x7f, v18
	v_cmp_ne_u32_e64 s[12:13], s12, v22
	v_mov_b32_e32 v26, 0x7f800001
	s_and_saveexec_b64 s[26:27], s[12:13]
	s_cbranch_execz .LBB526_402
; %bb.401:
	v_and_b32_e32 v23, 7, v18
	v_ffbh_u32_e32 v23, v23
	v_min_u32_e32 v23, 32, v23
	v_subrev_u32_e32 v25, 28, v23
	v_cmp_gt_u32_e64 s[12:13], 8, v22
	v_lshrrev_b32_e32 v24, 3, v22
	v_sub_u32_e32 v23, 29, v23
	v_cndmask_b32_e64 v22, 0, v25, s[12:13]
	v_cndmask_b32_e64 v24, v24, v23, s[12:13]
	v_lshlrev_b64 v[22:23], v22, v[18:19]
	v_lshlrev_b32_e32 v22, 20, v22
	v_lshlrev_b32_e32 v23, 24, v18
	v_bfrev_b32_e32 v25, 60
	v_and_b32_e32 v22, 0x700000, v22
	v_and_b32_e32 v23, 0x80000000, v23
	v_lshl_add_u32 v24, v24, 23, v25
	v_or3_b32 v26, v23, v24, v22
.LBB526_402:
	s_or_b64 exec, exec, s[26:27]
.LBB526_403:
	s_or_b64 exec, exec, s[24:25]
.LBB526_404:
	s_or_b64 exec, exec, s[14:15]
	v_lshrrev_b16_e32 v22, 8, v18
	v_cmp_ne_u16_e64 s[12:13], 0, v22
	v_mov_b32_e32 v25, 0
	v_mov_b32_e32 v27, 0
	s_and_saveexec_b64 s[14:15], s[12:13]
	s_cbranch_execz .LBB526_410
; %bb.405:
	s_movk_i32 s12, 0x80
	v_cmp_ne_u16_e64 s[12:13], s12, v22
	v_bfrev_b32_e32 v27, 1
	s_and_saveexec_b64 s[24:25], s[12:13]
	s_cbranch_execz .LBB526_409
; %bb.406:
	s_movk_i32 s12, 0x7f
	v_and_b32_e32 v23, 0x7f, v22
	v_cmp_ne_u32_e64 s[12:13], s12, v23
	v_mov_b32_e32 v27, 0x7f800001
	s_and_saveexec_b64 s[26:27], s[12:13]
	s_cbranch_execz .LBB526_408
; %bb.407:
	v_and_b32_e32 v24, 7, v22
	v_ffbh_u32_e32 v28, v24
	v_min_u32_e32 v30, 32, v28
	v_subrev_u32_e32 v28, 28, v30
	v_lshlrev_b64 v[28:29], v28, v[22:23]
	v_lshrrev_b32_e32 v27, 3, v23
	v_sub_u32_e32 v22, 29, v30
	v_and_b32_e32 v28, 7, v28
	v_cmp_gt_u32_e64 s[12:13], 8, v23
	v_cndmask_b32_e64 v22, v27, v22, s[12:13]
	v_cndmask_b32_e64 v23, v24, v28, s[12:13]
	v_lshlrev_b32_e32 v24, 16, v18
	v_bfrev_b32_e32 v27, 60
	v_lshlrev_b32_e32 v23, 20, v23
	v_and_b32_e32 v24, 0x80000000, v24
	v_lshl_add_u32 v22, v22, 23, v27
	v_or3_b32 v27, v24, v22, v23
.LBB526_408:
	s_or_b64 exec, exec, s[26:27]
.LBB526_409:
	s_or_b64 exec, exec, s[24:25]
.LBB526_410:
	s_or_b64 exec, exec, s[14:15]
	s_movk_i32 s12, 0xff
	v_and_b32_sdwa v23, v18, s12 dst_sel:DWORD dst_unused:UNUSED_PAD src0_sel:WORD_1 src1_sel:DWORD
	v_lshrrev_b32_e32 v22, 16, v18
	v_cmp_ne_u16_e64 s[12:13], 0, v23
	s_and_saveexec_b64 s[14:15], s[12:13]
	s_cbranch_execz .LBB526_416
; %bb.411:
	s_movk_i32 s12, 0x80
	v_cmp_ne_u16_e64 s[12:13], s12, v23
	v_bfrev_b32_e32 v25, 1
	s_and_saveexec_b64 s[24:25], s[12:13]
	s_cbranch_execz .LBB526_415
; %bb.412:
	v_bfe_u32 v23, v18, 16, 7
	s_movk_i32 s12, 0x7f
	v_cmp_ne_u32_e64 s[12:13], s12, v23
	v_mov_b32_e32 v25, 0x7f800001
	s_and_saveexec_b64 s[26:27], s[12:13]
	s_cbranch_execz .LBB526_414
; %bb.413:
	v_and_b32_e32 v28, 7, v22
	v_ffbh_u32_e32 v24, v28
	v_min_u32_e32 v30, 32, v24
	v_subrev_u32_e32 v24, 28, v30
	v_lshlrev_b64 v[24:25], v24, v[22:23]
	v_and_b32_e32 v24, 7, v24
	v_cmp_gt_u32_e64 s[12:13], 8, v23
	v_lshrrev_b32_e32 v29, 3, v23
	v_sub_u32_e32 v22, 29, v30
	v_cndmask_b32_e64 v23, v28, v24, s[12:13]
	v_mov_b32_e32 v24, 24
	v_cndmask_b32_e64 v22, v29, v22, s[12:13]
	v_lshlrev_b32_sdwa v24, v24, v18 dst_sel:DWORD dst_unused:UNUSED_PAD src0_sel:DWORD src1_sel:WORD_1
	v_bfrev_b32_e32 v25, 60
	v_lshlrev_b32_e32 v23, 20, v23
	v_and_b32_e32 v24, 0x80000000, v24
	v_lshl_add_u32 v22, v22, 23, v25
	v_or3_b32 v25, v24, v22, v23
.LBB526_414:
	s_or_b64 exec, exec, s[26:27]
.LBB526_415:
	s_or_b64 exec, exec, s[24:25]
.LBB526_416:
	s_or_b64 exec, exec, s[14:15]
	s_mov_b32 s12, 0xffffff
	v_cmp_lt_u32_e64 s[12:13], s12, v18
	v_mov_b32_e32 v23, 0
	v_mov_b32_e32 v28, 0
	s_and_saveexec_b64 s[14:15], s[12:13]
	s_cbranch_execz .LBB526_422
; %bb.417:
	v_lshrrev_b32_e32 v22, 24, v18
	s_movk_i32 s12, 0x80
	v_cmp_ne_u32_e64 s[12:13], s12, v22
	v_bfrev_b32_e32 v28, 1
	s_and_saveexec_b64 s[24:25], s[12:13]
	s_cbranch_execz .LBB526_421
; %bb.418:
	v_bfe_u32 v24, v18, 24, 7
	s_movk_i32 s12, 0x7f
	v_cmp_ne_u32_e64 s[12:13], s12, v24
	v_mov_b32_e32 v28, 0x7f800001
	s_and_saveexec_b64 s[26:27], s[12:13]
	s_cbranch_execz .LBB526_420
; %bb.419:
	v_and_b32_e32 v30, 7, v22
	v_ffbh_u32_e32 v28, v30
	v_min_u32_e32 v32, 32, v28
	v_subrev_u32_e32 v28, 28, v32
	v_lshlrev_b64 v[28:29], v28, v[22:23]
	v_lshrrev_b32_e32 v31, 3, v24
	v_sub_u32_e32 v29, 29, v32
	v_and_b32_e32 v28, 7, v28
	v_cmp_gt_u32_e64 s[12:13], 8, v24
	v_cndmask_b32_e64 v24, v31, v29, s[12:13]
	v_cndmask_b32_e64 v28, v30, v28, s[12:13]
	v_lshlrev_b32_e32 v22, 24, v22
	v_bfrev_b32_e32 v29, 60
	v_lshlrev_b32_e32 v28, 20, v28
	v_and_b32_e32 v22, 0x80000000, v22
	v_lshl_add_u32 v24, v24, 23, v29
	v_or3_b32 v28, v22, v24, v28
.LBB526_420:
	s_or_b64 exec, exec, s[26:27]
.LBB526_421:
	s_or_b64 exec, exec, s[24:25]
.LBB526_422:
	s_or_b64 exec, exec, s[14:15]
	v_mov_b32_e32 v22, v19
	v_cmp_ne_u16_sdwa s[12:13], v19, v23 src0_sel:BYTE_0 src1_sel:DWORD
	s_and_saveexec_b64 s[14:15], s[12:13]
	s_cbranch_execz .LBB526_428
; %bb.423:
	s_movk_i32 s12, 0x80
	v_cmp_ne_u16_sdwa s[12:13], v19, s12 src0_sel:BYTE_0 src1_sel:DWORD
	v_bfrev_b32_e32 v24, 1
	s_and_saveexec_b64 s[24:25], s[12:13]
	s_cbranch_execz .LBB526_427
; %bb.424:
	s_movk_i32 s12, 0x7f
	v_and_b32_e32 v29, 0x7f, v19
	v_cmp_ne_u32_e64 s[12:13], s12, v29
	v_mov_b32_e32 v24, 0x7f800001
	s_and_saveexec_b64 s[26:27], s[12:13]
	s_cbranch_execz .LBB526_426
; %bb.425:
	v_and_b32_e32 v24, 7, v19
	v_ffbh_u32_e32 v24, v24
	v_min_u32_e32 v24, 32, v24
	v_subrev_u32_e32 v31, 28, v24
	v_cmp_gt_u32_e64 s[12:13], 8, v29
	v_lshrrev_b32_e32 v30, 3, v29
	v_sub_u32_e32 v24, 29, v24
	v_cndmask_b32_e64 v29, 0, v31, s[12:13]
	v_cndmask_b32_e64 v24, v30, v24, s[12:13]
	v_lshlrev_b64 v[30:31], v29, v[22:23]
	v_lshlrev_b32_e32 v23, 20, v30
	v_lshlrev_b32_e32 v29, 24, v22
	v_bfrev_b32_e32 v30, 60
	v_and_b32_e32 v23, 0x700000, v23
	v_and_b32_e32 v29, 0x80000000, v29
	v_lshl_add_u32 v24, v24, 23, v30
	v_or3_b32 v24, v29, v24, v23
.LBB526_426:
	s_or_b64 exec, exec, s[26:27]
.LBB526_427:
	s_or_b64 exec, exec, s[24:25]
	v_mov_b32_e32 v23, v24
.LBB526_428:
	s_or_b64 exec, exec, s[14:15]
	v_lshrrev_b16_e32 v24, 8, v22
	v_cmp_ne_u16_e64 s[12:13], 0, v24
	v_mov_b32_e32 v29, 0
	v_mov_b32_e32 v30, 0
	s_and_saveexec_b64 s[14:15], s[12:13]
	s_cbranch_execz .LBB526_434
; %bb.429:
	s_movk_i32 s12, 0x80
	v_cmp_ne_u16_e64 s[12:13], s12, v24
	v_bfrev_b32_e32 v30, 1
	s_and_saveexec_b64 s[24:25], s[12:13]
	s_cbranch_execz .LBB526_433
; %bb.430:
	s_movk_i32 s12, 0x7f
	v_and_b32_e32 v31, 0x7f, v24
	v_cmp_ne_u32_e64 s[12:13], s12, v31
	v_mov_b32_e32 v30, 0x7f800001
	s_and_saveexec_b64 s[26:27], s[12:13]
	s_cbranch_execz .LBB526_432
; %bb.431:
	v_and_b32_e32 v30, 7, v24
	v_ffbh_u32_e32 v32, v30
	v_min_u32_e32 v35, 32, v32
	v_subrev_u32_e32 v32, 28, v35
	v_lshlrev_b64 v[32:33], v32, v[24:25]
	v_lshrrev_b32_e32 v34, 3, v31
	v_sub_u32_e32 v24, 29, v35
	v_and_b32_e32 v32, 7, v32
	v_cmp_gt_u32_e64 s[12:13], 8, v31
	v_cndmask_b32_e64 v24, v34, v24, s[12:13]
	v_cndmask_b32_e64 v30, v30, v32, s[12:13]
	v_lshlrev_b32_e32 v22, 16, v22
	v_bfrev_b32_e32 v31, 60
	v_lshlrev_b32_e32 v30, 20, v30
	v_and_b32_e32 v22, 0x80000000, v22
	v_lshl_add_u32 v24, v24, 23, v31
	v_or3_b32 v30, v22, v24, v30
.LBB526_432:
	s_or_b64 exec, exec, s[26:27]
.LBB526_433:
	s_or_b64 exec, exec, s[24:25]
.LBB526_434:
	s_or_b64 exec, exec, s[14:15]
	s_movk_i32 s12, 0xff
	v_and_b32_sdwa v24, v19, s12 dst_sel:DWORD dst_unused:UNUSED_PAD src0_sel:WORD_1 src1_sel:DWORD
	v_lshrrev_b32_e32 v22, 16, v19
	v_cmp_ne_u16_e64 s[12:13], 0, v24
	s_and_saveexec_b64 s[14:15], s[12:13]
	s_cbranch_execz .LBB526_440
; %bb.435:
	s_movk_i32 s12, 0x80
	v_cmp_ne_u16_e64 s[12:13], s12, v24
	v_bfrev_b32_e32 v29, 1
	s_and_saveexec_b64 s[24:25], s[12:13]
	s_cbranch_execz .LBB526_439
; %bb.436:
	v_bfe_u32 v24, v19, 16, 7
	s_movk_i32 s12, 0x7f
	v_cmp_ne_u32_e64 s[12:13], s12, v24
	v_mov_b32_e32 v29, 0x7f800001
	s_and_saveexec_b64 s[26:27], s[12:13]
	s_cbranch_execz .LBB526_438
; %bb.437:
	v_and_b32_e32 v29, 7, v22
	v_ffbh_u32_e32 v32, v29
	v_min_u32_e32 v34, 32, v32
	v_subrev_u32_e32 v32, 28, v34
	v_lshlrev_b64 v[32:33], v32, v[22:23]
	v_and_b32_e32 v32, 7, v32
	v_cmp_gt_u32_e64 s[12:13], 8, v24
	v_lshrrev_b32_e32 v31, 3, v24
	v_sub_u32_e32 v22, 29, v34
	v_cndmask_b32_e64 v24, v29, v32, s[12:13]
	v_mov_b32_e32 v29, 24
	v_cndmask_b32_e64 v22, v31, v22, s[12:13]
	v_lshlrev_b32_sdwa v29, v29, v19 dst_sel:DWORD dst_unused:UNUSED_PAD src0_sel:DWORD src1_sel:WORD_1
	v_bfrev_b32_e32 v31, 60
	v_lshlrev_b32_e32 v24, 20, v24
	v_and_b32_e32 v29, 0x80000000, v29
	v_lshl_add_u32 v22, v22, 23, v31
	v_or3_b32 v29, v29, v22, v24
.LBB526_438:
	s_or_b64 exec, exec, s[26:27]
.LBB526_439:
	s_or_b64 exec, exec, s[24:25]
.LBB526_440:
	s_or_b64 exec, exec, s[14:15]
	s_mov_b32 s12, -1
	s_mov_b32 s13, 0xffffff
	v_cmp_lt_u64_e64 s[12:13], s[12:13], v[18:19]
	v_mov_b32_e32 v24, 0
	v_mov_b32_e32 v22, 0
	s_and_saveexec_b64 s[14:15], s[12:13]
	s_cbranch_execz .LBB526_446
; %bb.441:
	v_lshrrev_b32_e32 v18, 24, v19
	s_movk_i32 s12, 0x80
	v_cmp_ne_u32_e64 s[12:13], s12, v18
	v_bfrev_b32_e32 v22, 1
	s_and_saveexec_b64 s[24:25], s[12:13]
	s_cbranch_execz .LBB526_445
; %bb.442:
	v_bfe_u32 v19, v19, 24, 7
	s_movk_i32 s12, 0x7f
	v_cmp_ne_u32_e64 s[12:13], s12, v19
	v_mov_b32_e32 v22, 0x7f800001
	s_and_saveexec_b64 s[26:27], s[12:13]
	s_cbranch_execz .LBB526_444
; %bb.443:
	v_and_b32_e32 v22, 7, v18
	v_ffbh_u32_e32 v32, v22
	v_min_u32_e32 v34, 32, v32
	v_subrev_u32_e32 v32, 28, v34
	v_lshlrev_b64 v[32:33], v32, v[18:19]
	v_lshrrev_b32_e32 v31, 3, v19
	v_sub_u32_e32 v33, 29, v34
	v_and_b32_e32 v32, 7, v32
	v_cmp_gt_u32_e64 s[12:13], 8, v19
	v_cndmask_b32_e64 v19, v31, v33, s[12:13]
	v_cndmask_b32_e64 v22, v22, v32, s[12:13]
	v_lshlrev_b32_e32 v18, 24, v18
	v_bfrev_b32_e32 v31, 60
	v_lshlrev_b32_e32 v22, 20, v22
	v_and_b32_e32 v18, 0x80000000, v18
	v_lshl_add_u32 v19, v19, 23, v31
	v_or3_b32 v22, v18, v19, v22
.LBB526_444:
	s_or_b64 exec, exec, s[26:27]
.LBB526_445:
	s_or_b64 exec, exec, s[24:25]
.LBB526_446:
	s_or_b64 exec, exec, s[14:15]
	v_cvt_pkrtz_f16_f32 v18, v26, v27
	v_cvt_pkrtz_f16_f32 v19, v25, v28
	;; [unrolled: 1-line block ×4, first 2 shown]
	v_mfma_f32_4x4x4f16 a[0:3], v[2:3], v[18:19], a[0:3] cbsz:4 abid:8
	v_cmp_ne_u16_sdwa s[12:13], v20, v24 src0_sel:BYTE_0 src1_sel:DWORD
	v_mfma_f32_4x4x4f16 a[0:3], v[4:5], v[26:27], a[0:3] cbsz:4 abid:8
	s_and_saveexec_b64 s[14:15], s[12:13]
	s_cbranch_execz .LBB526_452
; %bb.447:
	s_movk_i32 s12, 0x80
	v_cmp_ne_u16_sdwa s[12:13], v20, s12 src0_sel:BYTE_0 src1_sel:DWORD
	v_bfrev_b32_e32 v24, 1
	s_and_saveexec_b64 s[24:25], s[12:13]
	s_cbranch_execz .LBB526_451
; %bb.448:
	s_movk_i32 s12, 0x7f
	v_and_b32_e32 v18, 0x7f, v20
	v_cmp_ne_u32_e64 s[12:13], s12, v18
	v_mov_b32_e32 v24, 0x7f800001
	s_and_saveexec_b64 s[26:27], s[12:13]
	s_cbranch_execz .LBB526_450
; %bb.449:
	v_and_b32_e32 v19, 7, v20
	v_ffbh_u32_e32 v19, v19
	v_min_u32_e32 v19, 32, v19
	v_subrev_u32_e32 v23, 28, v19
	v_cmp_gt_u32_e64 s[12:13], 8, v18
	v_lshrrev_b32_e32 v22, 3, v18
	v_sub_u32_e32 v19, 29, v19
	v_cndmask_b32_e64 v18, 0, v23, s[12:13]
	v_cndmask_b32_e64 v22, v22, v19, s[12:13]
	v_lshlrev_b64 v[18:19], v18, v[20:21]
	v_lshlrev_b32_e32 v18, 20, v18
	v_lshlrev_b32_e32 v19, 24, v20
	v_bfrev_b32_e32 v23, 60
	v_and_b32_e32 v18, 0x700000, v18
	v_and_b32_e32 v19, 0x80000000, v19
	v_lshl_add_u32 v22, v22, 23, v23
	v_or3_b32 v24, v19, v22, v18
.LBB526_450:
	s_or_b64 exec, exec, s[26:27]
.LBB526_451:
	s_or_b64 exec, exec, s[24:25]
.LBB526_452:
	s_or_b64 exec, exec, s[14:15]
	v_lshrrev_b16_e32 v18, 8, v20
	v_cmp_ne_u16_e64 s[12:13], 0, v18
	v_mov_b32_e32 v23, 0
	v_mov_b32_e32 v25, 0
	s_and_saveexec_b64 s[14:15], s[12:13]
	s_cbranch_execz .LBB526_458
; %bb.453:
	s_movk_i32 s12, 0x80
	v_cmp_ne_u16_e64 s[12:13], s12, v18
	v_bfrev_b32_e32 v25, 1
	s_and_saveexec_b64 s[24:25], s[12:13]
	s_cbranch_execz .LBB526_457
; %bb.454:
	s_movk_i32 s12, 0x7f
	v_and_b32_e32 v19, 0x7f, v18
	v_cmp_ne_u32_e64 s[12:13], s12, v19
	v_mov_b32_e32 v25, 0x7f800001
	s_and_saveexec_b64 s[26:27], s[12:13]
	s_cbranch_execz .LBB526_456
; %bb.455:
	v_and_b32_e32 v22, 7, v18
	v_ffbh_u32_e32 v26, v22
	v_min_u32_e32 v28, 32, v26
	v_subrev_u32_e32 v26, 28, v28
	v_lshlrev_b64 v[26:27], v26, v[18:19]
	v_lshrrev_b32_e32 v25, 3, v19
	v_sub_u32_e32 v18, 29, v28
	v_and_b32_e32 v26, 7, v26
	v_cmp_gt_u32_e64 s[12:13], 8, v19
	v_cndmask_b32_e64 v18, v25, v18, s[12:13]
	v_cndmask_b32_e64 v19, v22, v26, s[12:13]
	v_lshlrev_b32_e32 v22, 16, v20
	v_bfrev_b32_e32 v25, 60
	v_lshlrev_b32_e32 v19, 20, v19
	v_and_b32_e32 v22, 0x80000000, v22
	v_lshl_add_u32 v18, v18, 23, v25
	v_or3_b32 v25, v22, v18, v19
.LBB526_456:
	s_or_b64 exec, exec, s[26:27]
.LBB526_457:
	s_or_b64 exec, exec, s[24:25]
.LBB526_458:
	s_or_b64 exec, exec, s[14:15]
	s_movk_i32 s12, 0xff
	v_and_b32_sdwa v19, v20, s12 dst_sel:DWORD dst_unused:UNUSED_PAD src0_sel:WORD_1 src1_sel:DWORD
	v_lshrrev_b32_e32 v18, 16, v20
	v_cmp_ne_u16_e64 s[12:13], 0, v19
	s_and_saveexec_b64 s[14:15], s[12:13]
	s_cbranch_execz .LBB526_464
; %bb.459:
	s_movk_i32 s12, 0x80
	v_cmp_ne_u16_e64 s[12:13], s12, v19
	v_bfrev_b32_e32 v23, 1
	s_and_saveexec_b64 s[24:25], s[12:13]
	s_cbranch_execz .LBB526_463
; %bb.460:
	v_bfe_u32 v19, v20, 16, 7
	s_movk_i32 s12, 0x7f
	v_cmp_ne_u32_e64 s[12:13], s12, v19
	v_mov_b32_e32 v23, 0x7f800001
	s_and_saveexec_b64 s[26:27], s[12:13]
	s_cbranch_execz .LBB526_462
; %bb.461:
	v_and_b32_e32 v26, 7, v18
	v_ffbh_u32_e32 v22, v26
	v_min_u32_e32 v28, 32, v22
	v_subrev_u32_e32 v22, 28, v28
	v_lshlrev_b64 v[22:23], v22, v[18:19]
	v_and_b32_e32 v22, 7, v22
	v_cmp_gt_u32_e64 s[12:13], 8, v19
	v_lshrrev_b32_e32 v27, 3, v19
	v_sub_u32_e32 v18, 29, v28
	v_cndmask_b32_e64 v19, v26, v22, s[12:13]
	v_mov_b32_e32 v22, 24
	v_cndmask_b32_e64 v18, v27, v18, s[12:13]
	v_lshlrev_b32_sdwa v22, v22, v20 dst_sel:DWORD dst_unused:UNUSED_PAD src0_sel:DWORD src1_sel:WORD_1
	v_bfrev_b32_e32 v23, 60
	v_lshlrev_b32_e32 v19, 20, v19
	v_and_b32_e32 v22, 0x80000000, v22
	v_lshl_add_u32 v18, v18, 23, v23
	v_or3_b32 v23, v22, v18, v19
.LBB526_462:
	s_or_b64 exec, exec, s[26:27]
.LBB526_463:
	s_or_b64 exec, exec, s[24:25]
.LBB526_464:
	s_or_b64 exec, exec, s[14:15]
	s_mov_b32 s12, 0xffffff
	v_cmp_lt_u32_e64 s[12:13], s12, v20
	v_mov_b32_e32 v19, 0
	v_mov_b32_e32 v26, 0
	s_and_saveexec_b64 s[14:15], s[12:13]
	s_cbranch_execz .LBB526_470
; %bb.465:
	v_lshrrev_b32_e32 v18, 24, v20
	s_movk_i32 s12, 0x80
	v_cmp_ne_u32_e64 s[12:13], s12, v18
	v_bfrev_b32_e32 v26, 1
	s_and_saveexec_b64 s[24:25], s[12:13]
	s_cbranch_execz .LBB526_469
; %bb.466:
	v_bfe_u32 v22, v20, 24, 7
	s_movk_i32 s12, 0x7f
	v_cmp_ne_u32_e64 s[12:13], s12, v22
	v_mov_b32_e32 v26, 0x7f800001
	s_and_saveexec_b64 s[26:27], s[12:13]
	s_cbranch_execz .LBB526_468
; %bb.467:
	v_and_b32_e32 v28, 7, v18
	v_ffbh_u32_e32 v26, v28
	v_min_u32_e32 v30, 32, v26
	v_subrev_u32_e32 v26, 28, v30
	v_lshlrev_b64 v[26:27], v26, v[18:19]
	v_lshrrev_b32_e32 v29, 3, v22
	v_sub_u32_e32 v27, 29, v30
	v_and_b32_e32 v26, 7, v26
	v_cmp_gt_u32_e64 s[12:13], 8, v22
	v_cndmask_b32_e64 v22, v29, v27, s[12:13]
	v_cndmask_b32_e64 v26, v28, v26, s[12:13]
	v_lshlrev_b32_e32 v18, 24, v18
	v_bfrev_b32_e32 v27, 60
	v_lshlrev_b32_e32 v26, 20, v26
	v_and_b32_e32 v18, 0x80000000, v18
	v_lshl_add_u32 v22, v22, 23, v27
	v_or3_b32 v26, v18, v22, v26
.LBB526_468:
	s_or_b64 exec, exec, s[26:27]
.LBB526_469:
	s_or_b64 exec, exec, s[24:25]
.LBB526_470:
	s_or_b64 exec, exec, s[14:15]
	v_mov_b32_e32 v18, v21
	v_cmp_ne_u16_sdwa s[12:13], v21, v19 src0_sel:BYTE_0 src1_sel:DWORD
	s_and_saveexec_b64 s[14:15], s[12:13]
	s_cbranch_execz .LBB526_476
; %bb.471:
	s_movk_i32 s12, 0x80
	v_cmp_ne_u16_sdwa s[12:13], v21, s12 src0_sel:BYTE_0 src1_sel:DWORD
	v_bfrev_b32_e32 v22, 1
	s_and_saveexec_b64 s[24:25], s[12:13]
	s_cbranch_execz .LBB526_475
; %bb.472:
	s_movk_i32 s12, 0x7f
	v_and_b32_e32 v27, 0x7f, v21
	v_cmp_ne_u32_e64 s[12:13], s12, v27
	v_mov_b32_e32 v22, 0x7f800001
	s_and_saveexec_b64 s[26:27], s[12:13]
	s_cbranch_execz .LBB526_474
; %bb.473:
	v_and_b32_e32 v22, 7, v21
	v_ffbh_u32_e32 v22, v22
	v_min_u32_e32 v22, 32, v22
	v_subrev_u32_e32 v29, 28, v22
	v_cmp_gt_u32_e64 s[12:13], 8, v27
	v_lshrrev_b32_e32 v28, 3, v27
	v_sub_u32_e32 v22, 29, v22
	v_cndmask_b32_e64 v27, 0, v29, s[12:13]
	v_cndmask_b32_e64 v22, v28, v22, s[12:13]
	v_lshlrev_b64 v[28:29], v27, v[18:19]
	v_lshlrev_b32_e32 v19, 20, v28
	v_lshlrev_b32_e32 v27, 24, v18
	v_bfrev_b32_e32 v28, 60
	v_and_b32_e32 v19, 0x700000, v19
	v_and_b32_e32 v27, 0x80000000, v27
	v_lshl_add_u32 v22, v22, 23, v28
	v_or3_b32 v22, v27, v22, v19
.LBB526_474:
	s_or_b64 exec, exec, s[26:27]
.LBB526_475:
	s_or_b64 exec, exec, s[24:25]
	v_mov_b32_e32 v19, v22
.LBB526_476:
	s_or_b64 exec, exec, s[14:15]
	v_lshrrev_b16_e32 v22, 8, v18
	v_cmp_ne_u16_e64 s[12:13], 0, v22
	v_mov_b32_e32 v27, 0
	v_mov_b32_e32 v28, 0
	s_and_saveexec_b64 s[14:15], s[12:13]
	s_cbranch_execz .LBB526_482
; %bb.477:
	s_movk_i32 s12, 0x80
	v_cmp_ne_u16_e64 s[12:13], s12, v22
	v_bfrev_b32_e32 v28, 1
	s_and_saveexec_b64 s[24:25], s[12:13]
	s_cbranch_execz .LBB526_481
; %bb.478:
	s_movk_i32 s12, 0x7f
	v_and_b32_e32 v29, 0x7f, v22
	v_cmp_ne_u32_e64 s[12:13], s12, v29
	v_mov_b32_e32 v28, 0x7f800001
	s_and_saveexec_b64 s[26:27], s[12:13]
	s_cbranch_execz .LBB526_480
; %bb.479:
	v_and_b32_e32 v28, 7, v22
	v_ffbh_u32_e32 v30, v28
	v_min_u32_e32 v33, 32, v30
	v_subrev_u32_e32 v30, 28, v33
	v_lshlrev_b64 v[30:31], v30, v[22:23]
	v_lshrrev_b32_e32 v32, 3, v29
	v_sub_u32_e32 v22, 29, v33
	v_and_b32_e32 v30, 7, v30
	v_cmp_gt_u32_e64 s[12:13], 8, v29
	v_cndmask_b32_e64 v22, v32, v22, s[12:13]
	v_cndmask_b32_e64 v28, v28, v30, s[12:13]
	v_lshlrev_b32_e32 v18, 16, v18
	v_bfrev_b32_e32 v29, 60
	v_lshlrev_b32_e32 v28, 20, v28
	v_and_b32_e32 v18, 0x80000000, v18
	v_lshl_add_u32 v22, v22, 23, v29
	v_or3_b32 v28, v18, v22, v28
.LBB526_480:
	s_or_b64 exec, exec, s[26:27]
.LBB526_481:
	s_or_b64 exec, exec, s[24:25]
.LBB526_482:
	s_or_b64 exec, exec, s[14:15]
	s_movk_i32 s12, 0xff
	v_and_b32_sdwa v22, v21, s12 dst_sel:DWORD dst_unused:UNUSED_PAD src0_sel:WORD_1 src1_sel:DWORD
	v_lshrrev_b32_e32 v18, 16, v21
	v_cmp_ne_u16_e64 s[12:13], 0, v22
	s_and_saveexec_b64 s[14:15], s[12:13]
	s_cbranch_execz .LBB526_488
; %bb.483:
	s_movk_i32 s12, 0x80
	v_cmp_ne_u16_e64 s[12:13], s12, v22
	v_bfrev_b32_e32 v27, 1
	s_and_saveexec_b64 s[24:25], s[12:13]
	s_cbranch_execz .LBB526_487
; %bb.484:
	v_bfe_u32 v22, v21, 16, 7
	s_movk_i32 s12, 0x7f
	v_cmp_ne_u32_e64 s[12:13], s12, v22
	v_mov_b32_e32 v27, 0x7f800001
	s_and_saveexec_b64 s[26:27], s[12:13]
	s_cbranch_execz .LBB526_486
; %bb.485:
	v_and_b32_e32 v27, 7, v18
	v_ffbh_u32_e32 v30, v27
	v_min_u32_e32 v32, 32, v30
	v_subrev_u32_e32 v30, 28, v32
	v_lshlrev_b64 v[30:31], v30, v[18:19]
	v_and_b32_e32 v30, 7, v30
	v_cmp_gt_u32_e64 s[12:13], 8, v22
	v_lshrrev_b32_e32 v29, 3, v22
	v_sub_u32_e32 v18, 29, v32
	v_cndmask_b32_e64 v22, v27, v30, s[12:13]
	v_mov_b32_e32 v27, 24
	v_cndmask_b32_e64 v18, v29, v18, s[12:13]
	v_lshlrev_b32_sdwa v27, v27, v21 dst_sel:DWORD dst_unused:UNUSED_PAD src0_sel:DWORD src1_sel:WORD_1
	v_bfrev_b32_e32 v29, 60
	v_lshlrev_b32_e32 v22, 20, v22
	v_and_b32_e32 v27, 0x80000000, v27
	v_lshl_add_u32 v18, v18, 23, v29
	v_or3_b32 v27, v27, v18, v22
.LBB526_486:
	s_or_b64 exec, exec, s[26:27]
.LBB526_487:
	s_or_b64 exec, exec, s[24:25]
.LBB526_488:
	s_or_b64 exec, exec, s[14:15]
	s_mov_b32 s12, -1
	s_mov_b32 s13, 0xffffff
	v_cmp_lt_u64_e64 s[12:13], s[12:13], v[20:21]
	v_mov_b32_e32 v22, 0
	v_mov_b32_e32 v20, 0
	s_and_saveexec_b64 s[14:15], s[12:13]
	s_cbranch_execz .LBB526_494
; %bb.489:
	v_lshrrev_b32_e32 v18, 24, v21
	s_movk_i32 s12, 0x80
	v_cmp_ne_u32_e64 s[12:13], s12, v18
	v_bfrev_b32_e32 v20, 1
	s_and_saveexec_b64 s[24:25], s[12:13]
	s_cbranch_execz .LBB526_493
; %bb.490:
	v_bfe_u32 v21, v21, 24, 7
	s_movk_i32 s12, 0x7f
	v_cmp_ne_u32_e64 s[12:13], s12, v21
	v_mov_b32_e32 v20, 0x7f800001
	s_and_saveexec_b64 s[26:27], s[12:13]
	s_cbranch_execz .LBB526_492
; %bb.491:
	v_and_b32_e32 v20, 7, v18
	v_ffbh_u32_e32 v30, v20
	v_min_u32_e32 v32, 32, v30
	v_subrev_u32_e32 v30, 28, v32
	v_lshlrev_b64 v[30:31], v30, v[18:19]
	v_lshrrev_b32_e32 v29, 3, v21
	v_sub_u32_e32 v31, 29, v32
	v_and_b32_e32 v30, 7, v30
	v_cmp_gt_u32_e64 s[12:13], 8, v21
	v_cndmask_b32_e64 v21, v29, v31, s[12:13]
	v_cndmask_b32_e64 v20, v20, v30, s[12:13]
	v_lshlrev_b32_e32 v18, 24, v18
	v_bfrev_b32_e32 v29, 60
	v_lshlrev_b32_e32 v20, 20, v20
	v_and_b32_e32 v18, 0x80000000, v18
	v_lshl_add_u32 v21, v21, 23, v29
	v_or3_b32 v20, v18, v21, v20
.LBB526_492:
	s_or_b64 exec, exec, s[26:27]
.LBB526_493:
	s_or_b64 exec, exec, s[24:25]
.LBB526_494:
	s_or_b64 exec, exec, s[14:15]
	v_cvt_pkrtz_f16_f32 v24, v24, v25
	v_cvt_pkrtz_f16_f32 v25, v23, v26
	;; [unrolled: 1-line block ×4, first 2 shown]
	v_mfma_f32_4x4x4f16 a[0:3], v[2:3], v[24:25], a[0:3] cbsz:4 abid:9
	s_waitcnt vmcnt(30)
	v_cmp_ne_u16_sdwa s[12:13], v14, v22 src0_sel:BYTE_0 src1_sel:DWORD
	v_mfma_f32_4x4x4f16 a[0:3], v[4:5], v[18:19], a[0:3] cbsz:4 abid:9
	s_and_saveexec_b64 s[14:15], s[12:13]
	s_cbranch_execz .LBB526_500
; %bb.495:
	s_movk_i32 s12, 0x80
	v_cmp_ne_u16_sdwa s[12:13], v14, s12 src0_sel:BYTE_0 src1_sel:DWORD
	v_bfrev_b32_e32 v22, 1
	s_and_saveexec_b64 s[24:25], s[12:13]
	s_cbranch_execz .LBB526_499
; %bb.496:
	s_movk_i32 s12, 0x7f
	v_and_b32_e32 v18, 0x7f, v14
	v_cmp_ne_u32_e64 s[12:13], s12, v18
	v_mov_b32_e32 v22, 0x7f800001
	s_and_saveexec_b64 s[26:27], s[12:13]
	s_cbranch_execz .LBB526_498
; %bb.497:
	v_and_b32_e32 v19, 7, v14
	v_ffbh_u32_e32 v19, v19
	v_min_u32_e32 v19, 32, v19
	v_subrev_u32_e32 v21, 28, v19
	v_cmp_gt_u32_e64 s[12:13], 8, v18
	v_lshrrev_b32_e32 v20, 3, v18
	v_sub_u32_e32 v19, 29, v19
	v_cndmask_b32_e64 v18, 0, v21, s[12:13]
	v_cndmask_b32_e64 v20, v20, v19, s[12:13]
	v_lshlrev_b64 v[18:19], v18, v[14:15]
	v_lshlrev_b32_e32 v18, 20, v18
	v_lshlrev_b32_e32 v19, 24, v14
	v_bfrev_b32_e32 v21, 60
	v_and_b32_e32 v18, 0x700000, v18
	v_and_b32_e32 v19, 0x80000000, v19
	v_lshl_add_u32 v20, v20, 23, v21
	v_or3_b32 v22, v19, v20, v18
.LBB526_498:
	s_or_b64 exec, exec, s[26:27]
.LBB526_499:
	s_or_b64 exec, exec, s[24:25]
.LBB526_500:
	s_or_b64 exec, exec, s[14:15]
	v_lshrrev_b16_e32 v18, 8, v14
	v_cmp_ne_u16_e64 s[12:13], 0, v18
	v_mov_b32_e32 v21, 0
	v_mov_b32_e32 v23, 0
	s_and_saveexec_b64 s[14:15], s[12:13]
	s_cbranch_execz .LBB526_506
; %bb.501:
	s_movk_i32 s12, 0x80
	v_cmp_ne_u16_e64 s[12:13], s12, v18
	v_bfrev_b32_e32 v23, 1
	s_and_saveexec_b64 s[24:25], s[12:13]
	s_cbranch_execz .LBB526_505
; %bb.502:
	s_movk_i32 s12, 0x7f
	v_and_b32_e32 v19, 0x7f, v18
	v_cmp_ne_u32_e64 s[12:13], s12, v19
	v_mov_b32_e32 v23, 0x7f800001
	s_and_saveexec_b64 s[26:27], s[12:13]
	s_cbranch_execz .LBB526_504
; %bb.503:
	v_and_b32_e32 v20, 7, v18
	v_ffbh_u32_e32 v24, v20
	v_min_u32_e32 v26, 32, v24
	v_subrev_u32_e32 v24, 28, v26
	v_lshlrev_b64 v[24:25], v24, v[18:19]
	v_lshrrev_b32_e32 v23, 3, v19
	v_sub_u32_e32 v18, 29, v26
	v_and_b32_e32 v24, 7, v24
	v_cmp_gt_u32_e64 s[12:13], 8, v19
	v_cndmask_b32_e64 v18, v23, v18, s[12:13]
	v_cndmask_b32_e64 v19, v20, v24, s[12:13]
	v_lshlrev_b32_e32 v20, 16, v14
	v_bfrev_b32_e32 v23, 60
	v_lshlrev_b32_e32 v19, 20, v19
	v_and_b32_e32 v20, 0x80000000, v20
	v_lshl_add_u32 v18, v18, 23, v23
	v_or3_b32 v23, v20, v18, v19
.LBB526_504:
	s_or_b64 exec, exec, s[26:27]
.LBB526_505:
	s_or_b64 exec, exec, s[24:25]
.LBB526_506:
	s_or_b64 exec, exec, s[14:15]
	s_movk_i32 s12, 0xff
	v_and_b32_sdwa v19, v14, s12 dst_sel:DWORD dst_unused:UNUSED_PAD src0_sel:WORD_1 src1_sel:DWORD
	v_lshrrev_b32_e32 v18, 16, v14
	v_cmp_ne_u16_e64 s[12:13], 0, v19
	s_and_saveexec_b64 s[14:15], s[12:13]
	s_cbranch_execz .LBB526_512
; %bb.507:
	s_movk_i32 s12, 0x80
	v_cmp_ne_u16_e64 s[12:13], s12, v19
	v_bfrev_b32_e32 v21, 1
	s_and_saveexec_b64 s[24:25], s[12:13]
	s_cbranch_execz .LBB526_511
; %bb.508:
	v_bfe_u32 v19, v14, 16, 7
	s_movk_i32 s12, 0x7f
	v_cmp_ne_u32_e64 s[12:13], s12, v19
	v_mov_b32_e32 v21, 0x7f800001
	s_and_saveexec_b64 s[26:27], s[12:13]
	s_cbranch_execz .LBB526_510
; %bb.509:
	v_and_b32_e32 v24, 7, v18
	v_ffbh_u32_e32 v20, v24
	v_min_u32_e32 v26, 32, v20
	v_subrev_u32_e32 v20, 28, v26
	v_lshlrev_b64 v[20:21], v20, v[18:19]
	v_and_b32_e32 v20, 7, v20
	v_cmp_gt_u32_e64 s[12:13], 8, v19
	v_lshrrev_b32_e32 v25, 3, v19
	v_sub_u32_e32 v18, 29, v26
	v_cndmask_b32_e64 v19, v24, v20, s[12:13]
	v_mov_b32_e32 v20, 24
	v_cndmask_b32_e64 v18, v25, v18, s[12:13]
	v_lshlrev_b32_sdwa v20, v20, v14 dst_sel:DWORD dst_unused:UNUSED_PAD src0_sel:DWORD src1_sel:WORD_1
	v_bfrev_b32_e32 v21, 60
	v_lshlrev_b32_e32 v19, 20, v19
	v_and_b32_e32 v20, 0x80000000, v20
	v_lshl_add_u32 v18, v18, 23, v21
	v_or3_b32 v21, v20, v18, v19
.LBB526_510:
	s_or_b64 exec, exec, s[26:27]
.LBB526_511:
	s_or_b64 exec, exec, s[24:25]
.LBB526_512:
	s_or_b64 exec, exec, s[14:15]
	s_mov_b32 s12, 0xffffff
	v_cmp_lt_u32_e64 s[12:13], s12, v14
	v_mov_b32_e32 v19, 0
	v_mov_b32_e32 v24, 0
	s_and_saveexec_b64 s[14:15], s[12:13]
	s_cbranch_execz .LBB526_518
; %bb.513:
	v_lshrrev_b32_e32 v18, 24, v14
	s_movk_i32 s12, 0x80
	v_cmp_ne_u32_e64 s[12:13], s12, v18
	v_bfrev_b32_e32 v24, 1
	s_and_saveexec_b64 s[24:25], s[12:13]
	s_cbranch_execz .LBB526_517
; %bb.514:
	v_bfe_u32 v20, v14, 24, 7
	s_movk_i32 s12, 0x7f
	v_cmp_ne_u32_e64 s[12:13], s12, v20
	v_mov_b32_e32 v24, 0x7f800001
	s_and_saveexec_b64 s[26:27], s[12:13]
	s_cbranch_execz .LBB526_516
; %bb.515:
	v_and_b32_e32 v26, 7, v18
	v_ffbh_u32_e32 v24, v26
	v_min_u32_e32 v28, 32, v24
	v_subrev_u32_e32 v24, 28, v28
	v_lshlrev_b64 v[24:25], v24, v[18:19]
	v_lshrrev_b32_e32 v27, 3, v20
	v_sub_u32_e32 v25, 29, v28
	v_and_b32_e32 v24, 7, v24
	v_cmp_gt_u32_e64 s[12:13], 8, v20
	v_cndmask_b32_e64 v20, v27, v25, s[12:13]
	v_cndmask_b32_e64 v24, v26, v24, s[12:13]
	v_lshlrev_b32_e32 v18, 24, v18
	v_bfrev_b32_e32 v25, 60
	v_lshlrev_b32_e32 v24, 20, v24
	v_and_b32_e32 v18, 0x80000000, v18
	v_lshl_add_u32 v20, v20, 23, v25
	v_or3_b32 v24, v18, v20, v24
.LBB526_516:
	s_or_b64 exec, exec, s[26:27]
.LBB526_517:
	s_or_b64 exec, exec, s[24:25]
.LBB526_518:
	s_or_b64 exec, exec, s[14:15]
	v_mov_b32_e32 v18, v15
	v_cmp_ne_u16_sdwa s[12:13], v15, v19 src0_sel:BYTE_0 src1_sel:DWORD
	s_and_saveexec_b64 s[14:15], s[12:13]
	s_cbranch_execz .LBB526_524
; %bb.519:
	s_movk_i32 s12, 0x80
	v_cmp_ne_u16_sdwa s[12:13], v15, s12 src0_sel:BYTE_0 src1_sel:DWORD
	v_bfrev_b32_e32 v20, 1
	s_and_saveexec_b64 s[24:25], s[12:13]
	s_cbranch_execz .LBB526_523
; %bb.520:
	s_movk_i32 s12, 0x7f
	v_and_b32_e32 v25, 0x7f, v15
	v_cmp_ne_u32_e64 s[12:13], s12, v25
	v_mov_b32_e32 v20, 0x7f800001
	s_and_saveexec_b64 s[26:27], s[12:13]
	s_cbranch_execz .LBB526_522
; %bb.521:
	v_and_b32_e32 v20, 7, v15
	v_ffbh_u32_e32 v20, v20
	v_min_u32_e32 v20, 32, v20
	v_subrev_u32_e32 v27, 28, v20
	v_cmp_gt_u32_e64 s[12:13], 8, v25
	v_lshrrev_b32_e32 v26, 3, v25
	v_sub_u32_e32 v20, 29, v20
	v_cndmask_b32_e64 v25, 0, v27, s[12:13]
	v_cndmask_b32_e64 v20, v26, v20, s[12:13]
	v_lshlrev_b64 v[26:27], v25, v[18:19]
	v_lshlrev_b32_e32 v19, 20, v26
	v_lshlrev_b32_e32 v25, 24, v18
	v_bfrev_b32_e32 v26, 60
	v_and_b32_e32 v19, 0x700000, v19
	v_and_b32_e32 v25, 0x80000000, v25
	v_lshl_add_u32 v20, v20, 23, v26
	v_or3_b32 v20, v25, v20, v19
.LBB526_522:
	s_or_b64 exec, exec, s[26:27]
.LBB526_523:
	s_or_b64 exec, exec, s[24:25]
	v_mov_b32_e32 v19, v20
.LBB526_524:
	s_or_b64 exec, exec, s[14:15]
	v_lshrrev_b16_e32 v20, 8, v18
	v_cmp_ne_u16_e64 s[12:13], 0, v20
	v_mov_b32_e32 v25, 0
	v_mov_b32_e32 v26, 0
	s_and_saveexec_b64 s[14:15], s[12:13]
	s_cbranch_execz .LBB526_530
; %bb.525:
	s_movk_i32 s12, 0x80
	v_cmp_ne_u16_e64 s[12:13], s12, v20
	v_bfrev_b32_e32 v26, 1
	s_and_saveexec_b64 s[24:25], s[12:13]
	s_cbranch_execz .LBB526_529
; %bb.526:
	s_movk_i32 s12, 0x7f
	v_and_b32_e32 v27, 0x7f, v20
	v_cmp_ne_u32_e64 s[12:13], s12, v27
	v_mov_b32_e32 v26, 0x7f800001
	s_and_saveexec_b64 s[26:27], s[12:13]
	s_cbranch_execz .LBB526_528
; %bb.527:
	v_and_b32_e32 v26, 7, v20
	v_ffbh_u32_e32 v28, v26
	v_min_u32_e32 v31, 32, v28
	v_subrev_u32_e32 v28, 28, v31
	v_lshlrev_b64 v[28:29], v28, v[20:21]
	v_lshrrev_b32_e32 v30, 3, v27
	v_sub_u32_e32 v20, 29, v31
	v_and_b32_e32 v28, 7, v28
	v_cmp_gt_u32_e64 s[12:13], 8, v27
	v_cndmask_b32_e64 v20, v30, v20, s[12:13]
	v_cndmask_b32_e64 v26, v26, v28, s[12:13]
	v_lshlrev_b32_e32 v18, 16, v18
	v_bfrev_b32_e32 v27, 60
	v_lshlrev_b32_e32 v26, 20, v26
	v_and_b32_e32 v18, 0x80000000, v18
	v_lshl_add_u32 v20, v20, 23, v27
	v_or3_b32 v26, v18, v20, v26
.LBB526_528:
	s_or_b64 exec, exec, s[26:27]
.LBB526_529:
	s_or_b64 exec, exec, s[24:25]
.LBB526_530:
	s_or_b64 exec, exec, s[14:15]
	s_movk_i32 s12, 0xff
	v_and_b32_sdwa v20, v15, s12 dst_sel:DWORD dst_unused:UNUSED_PAD src0_sel:WORD_1 src1_sel:DWORD
	v_lshrrev_b32_e32 v18, 16, v15
	v_cmp_ne_u16_e64 s[12:13], 0, v20
	s_and_saveexec_b64 s[14:15], s[12:13]
	s_cbranch_execz .LBB526_536
; %bb.531:
	s_movk_i32 s12, 0x80
	v_cmp_ne_u16_e64 s[12:13], s12, v20
	v_bfrev_b32_e32 v25, 1
	s_and_saveexec_b64 s[24:25], s[12:13]
	s_cbranch_execz .LBB526_535
; %bb.532:
	v_bfe_u32 v20, v15, 16, 7
	s_movk_i32 s12, 0x7f
	v_cmp_ne_u32_e64 s[12:13], s12, v20
	v_mov_b32_e32 v25, 0x7f800001
	s_and_saveexec_b64 s[26:27], s[12:13]
	s_cbranch_execz .LBB526_534
; %bb.533:
	v_and_b32_e32 v25, 7, v18
	v_ffbh_u32_e32 v28, v25
	v_min_u32_e32 v30, 32, v28
	v_subrev_u32_e32 v28, 28, v30
	v_lshlrev_b64 v[28:29], v28, v[18:19]
	v_and_b32_e32 v28, 7, v28
	v_cmp_gt_u32_e64 s[12:13], 8, v20
	v_lshrrev_b32_e32 v27, 3, v20
	v_sub_u32_e32 v18, 29, v30
	v_cndmask_b32_e64 v20, v25, v28, s[12:13]
	v_mov_b32_e32 v25, 24
	v_cndmask_b32_e64 v18, v27, v18, s[12:13]
	v_lshlrev_b32_sdwa v25, v25, v15 dst_sel:DWORD dst_unused:UNUSED_PAD src0_sel:DWORD src1_sel:WORD_1
	v_bfrev_b32_e32 v27, 60
	v_lshlrev_b32_e32 v20, 20, v20
	v_and_b32_e32 v25, 0x80000000, v25
	v_lshl_add_u32 v18, v18, 23, v27
	v_or3_b32 v25, v25, v18, v20
.LBB526_534:
	s_or_b64 exec, exec, s[26:27]
.LBB526_535:
	s_or_b64 exec, exec, s[24:25]
.LBB526_536:
	s_or_b64 exec, exec, s[14:15]
	s_mov_b32 s12, -1
	s_mov_b32 s13, 0xffffff
	v_cmp_lt_u64_e64 s[12:13], s[12:13], v[14:15]
	v_mov_b32_e32 v20, 0
	v_mov_b32_e32 v18, 0
	s_and_saveexec_b64 s[14:15], s[12:13]
	s_cbranch_execz .LBB526_542
; %bb.537:
	v_lshrrev_b32_e32 v14, 24, v15
	s_movk_i32 s12, 0x80
	v_cmp_ne_u32_e64 s[12:13], s12, v14
	v_bfrev_b32_e32 v18, 1
	s_and_saveexec_b64 s[24:25], s[12:13]
	s_cbranch_execz .LBB526_541
; %bb.538:
	v_bfe_u32 v15, v15, 24, 7
	s_movk_i32 s12, 0x7f
	v_cmp_ne_u32_e64 s[12:13], s12, v15
	v_mov_b32_e32 v18, 0x7f800001
	s_and_saveexec_b64 s[26:27], s[12:13]
	s_cbranch_execz .LBB526_540
; %bb.539:
	v_and_b32_e32 v18, 7, v14
	v_ffbh_u32_e32 v28, v18
	v_min_u32_e32 v30, 32, v28
	v_subrev_u32_e32 v28, 28, v30
	v_lshlrev_b64 v[28:29], v28, v[14:15]
	v_lshrrev_b32_e32 v27, 3, v15
	v_sub_u32_e32 v29, 29, v30
	v_and_b32_e32 v28, 7, v28
	v_cmp_gt_u32_e64 s[12:13], 8, v15
	v_cndmask_b32_e64 v15, v27, v29, s[12:13]
	v_cndmask_b32_e64 v18, v18, v28, s[12:13]
	v_lshlrev_b32_e32 v14, 24, v14
	v_bfrev_b32_e32 v27, 60
	v_lshlrev_b32_e32 v18, 20, v18
	v_and_b32_e32 v14, 0x80000000, v14
	v_lshl_add_u32 v15, v15, 23, v27
	v_or3_b32 v18, v14, v15, v18
.LBB526_540:
	s_or_b64 exec, exec, s[26:27]
.LBB526_541:
	s_or_b64 exec, exec, s[24:25]
.LBB526_542:
	s_or_b64 exec, exec, s[14:15]
	v_cvt_pkrtz_f16_f32 v14, v22, v23
	v_cvt_pkrtz_f16_f32 v15, v21, v24
	;; [unrolled: 1-line block ×4, first 2 shown]
	v_mfma_f32_4x4x4f16 a[0:3], v[2:3], v[14:15], a[0:3] cbsz:4 abid:10
	v_cmp_ne_u16_sdwa s[12:13], v16, v20 src0_sel:BYTE_0 src1_sel:DWORD
	v_mfma_f32_4x4x4f16 a[0:3], v[4:5], v[22:23], a[0:3] cbsz:4 abid:10
	s_and_saveexec_b64 s[14:15], s[12:13]
	s_cbranch_execz .LBB526_548
; %bb.543:
	s_movk_i32 s12, 0x80
	v_cmp_ne_u16_sdwa s[12:13], v16, s12 src0_sel:BYTE_0 src1_sel:DWORD
	v_bfrev_b32_e32 v20, 1
	s_and_saveexec_b64 s[24:25], s[12:13]
	s_cbranch_execz .LBB526_547
; %bb.544:
	s_movk_i32 s12, 0x7f
	v_and_b32_e32 v14, 0x7f, v16
	v_cmp_ne_u32_e64 s[12:13], s12, v14
	v_mov_b32_e32 v20, 0x7f800001
	s_and_saveexec_b64 s[26:27], s[12:13]
	s_cbranch_execz .LBB526_546
; %bb.545:
	v_and_b32_e32 v15, 7, v16
	v_ffbh_u32_e32 v15, v15
	v_min_u32_e32 v15, 32, v15
	v_subrev_u32_e32 v19, 28, v15
	v_cmp_gt_u32_e64 s[12:13], 8, v14
	v_lshrrev_b32_e32 v18, 3, v14
	v_sub_u32_e32 v15, 29, v15
	v_cndmask_b32_e64 v14, 0, v19, s[12:13]
	v_cndmask_b32_e64 v18, v18, v15, s[12:13]
	v_lshlrev_b64 v[14:15], v14, v[16:17]
	v_lshlrev_b32_e32 v14, 20, v14
	v_lshlrev_b32_e32 v15, 24, v16
	v_bfrev_b32_e32 v19, 60
	v_and_b32_e32 v14, 0x700000, v14
	v_and_b32_e32 v15, 0x80000000, v15
	v_lshl_add_u32 v18, v18, 23, v19
	v_or3_b32 v20, v15, v18, v14
.LBB526_546:
	s_or_b64 exec, exec, s[26:27]
.LBB526_547:
	s_or_b64 exec, exec, s[24:25]
.LBB526_548:
	s_or_b64 exec, exec, s[14:15]
	v_lshrrev_b16_e32 v14, 8, v16
	v_cmp_ne_u16_e64 s[12:13], 0, v14
	v_mov_b32_e32 v19, 0
	v_mov_b32_e32 v21, 0
	s_and_saveexec_b64 s[14:15], s[12:13]
	s_cbranch_execz .LBB526_554
; %bb.549:
	s_movk_i32 s12, 0x80
	v_cmp_ne_u16_e64 s[12:13], s12, v14
	v_bfrev_b32_e32 v21, 1
	s_and_saveexec_b64 s[24:25], s[12:13]
	s_cbranch_execz .LBB526_553
; %bb.550:
	s_movk_i32 s12, 0x7f
	v_and_b32_e32 v15, 0x7f, v14
	v_cmp_ne_u32_e64 s[12:13], s12, v15
	v_mov_b32_e32 v21, 0x7f800001
	s_and_saveexec_b64 s[26:27], s[12:13]
	s_cbranch_execz .LBB526_552
; %bb.551:
	v_and_b32_e32 v18, 7, v14
	v_ffbh_u32_e32 v22, v18
	v_min_u32_e32 v24, 32, v22
	v_subrev_u32_e32 v22, 28, v24
	v_lshlrev_b64 v[22:23], v22, v[14:15]
	v_lshrrev_b32_e32 v21, 3, v15
	v_sub_u32_e32 v14, 29, v24
	v_and_b32_e32 v22, 7, v22
	v_cmp_gt_u32_e64 s[12:13], 8, v15
	v_cndmask_b32_e64 v14, v21, v14, s[12:13]
	v_cndmask_b32_e64 v15, v18, v22, s[12:13]
	v_lshlrev_b32_e32 v18, 16, v16
	v_bfrev_b32_e32 v21, 60
	v_lshlrev_b32_e32 v15, 20, v15
	v_and_b32_e32 v18, 0x80000000, v18
	v_lshl_add_u32 v14, v14, 23, v21
	v_or3_b32 v21, v18, v14, v15
.LBB526_552:
	s_or_b64 exec, exec, s[26:27]
.LBB526_553:
	s_or_b64 exec, exec, s[24:25]
.LBB526_554:
	s_or_b64 exec, exec, s[14:15]
	s_movk_i32 s12, 0xff
	v_and_b32_sdwa v15, v16, s12 dst_sel:DWORD dst_unused:UNUSED_PAD src0_sel:WORD_1 src1_sel:DWORD
	v_lshrrev_b32_e32 v14, 16, v16
	v_cmp_ne_u16_e64 s[12:13], 0, v15
	s_and_saveexec_b64 s[14:15], s[12:13]
	s_cbranch_execz .LBB526_560
; %bb.555:
	s_movk_i32 s12, 0x80
	v_cmp_ne_u16_e64 s[12:13], s12, v15
	v_bfrev_b32_e32 v19, 1
	s_and_saveexec_b64 s[24:25], s[12:13]
	s_cbranch_execz .LBB526_559
; %bb.556:
	v_bfe_u32 v15, v16, 16, 7
	s_movk_i32 s12, 0x7f
	v_cmp_ne_u32_e64 s[12:13], s12, v15
	v_mov_b32_e32 v19, 0x7f800001
	s_and_saveexec_b64 s[26:27], s[12:13]
	s_cbranch_execz .LBB526_558
; %bb.557:
	v_and_b32_e32 v22, 7, v14
	v_ffbh_u32_e32 v18, v22
	v_min_u32_e32 v24, 32, v18
	v_subrev_u32_e32 v18, 28, v24
	v_lshlrev_b64 v[18:19], v18, v[14:15]
	v_and_b32_e32 v18, 7, v18
	v_cmp_gt_u32_e64 s[12:13], 8, v15
	v_lshrrev_b32_e32 v23, 3, v15
	v_sub_u32_e32 v14, 29, v24
	v_cndmask_b32_e64 v15, v22, v18, s[12:13]
	v_mov_b32_e32 v18, 24
	v_cndmask_b32_e64 v14, v23, v14, s[12:13]
	v_lshlrev_b32_sdwa v18, v18, v16 dst_sel:DWORD dst_unused:UNUSED_PAD src0_sel:DWORD src1_sel:WORD_1
	v_bfrev_b32_e32 v19, 60
	v_lshlrev_b32_e32 v15, 20, v15
	v_and_b32_e32 v18, 0x80000000, v18
	v_lshl_add_u32 v14, v14, 23, v19
	v_or3_b32 v19, v18, v14, v15
.LBB526_558:
	s_or_b64 exec, exec, s[26:27]
.LBB526_559:
	s_or_b64 exec, exec, s[24:25]
.LBB526_560:
	s_or_b64 exec, exec, s[14:15]
	s_mov_b32 s12, 0xffffff
	v_cmp_lt_u32_e64 s[12:13], s12, v16
	v_mov_b32_e32 v15, 0
	v_mov_b32_e32 v22, 0
	s_and_saveexec_b64 s[14:15], s[12:13]
	s_cbranch_execz .LBB526_566
; %bb.561:
	v_lshrrev_b32_e32 v14, 24, v16
	s_movk_i32 s12, 0x80
	v_cmp_ne_u32_e64 s[12:13], s12, v14
	v_bfrev_b32_e32 v22, 1
	s_and_saveexec_b64 s[24:25], s[12:13]
	s_cbranch_execz .LBB526_565
; %bb.562:
	v_bfe_u32 v18, v16, 24, 7
	s_movk_i32 s12, 0x7f
	v_cmp_ne_u32_e64 s[12:13], s12, v18
	v_mov_b32_e32 v22, 0x7f800001
	s_and_saveexec_b64 s[26:27], s[12:13]
	s_cbranch_execz .LBB526_564
; %bb.563:
	v_and_b32_e32 v24, 7, v14
	v_ffbh_u32_e32 v22, v24
	v_min_u32_e32 v26, 32, v22
	v_subrev_u32_e32 v22, 28, v26
	v_lshlrev_b64 v[22:23], v22, v[14:15]
	v_lshrrev_b32_e32 v25, 3, v18
	v_sub_u32_e32 v23, 29, v26
	v_and_b32_e32 v22, 7, v22
	v_cmp_gt_u32_e64 s[12:13], 8, v18
	v_cndmask_b32_e64 v18, v25, v23, s[12:13]
	v_cndmask_b32_e64 v22, v24, v22, s[12:13]
	v_lshlrev_b32_e32 v14, 24, v14
	v_bfrev_b32_e32 v23, 60
	v_lshlrev_b32_e32 v22, 20, v22
	v_and_b32_e32 v14, 0x80000000, v14
	v_lshl_add_u32 v18, v18, 23, v23
	v_or3_b32 v22, v14, v18, v22
.LBB526_564:
	s_or_b64 exec, exec, s[26:27]
.LBB526_565:
	s_or_b64 exec, exec, s[24:25]
.LBB526_566:
	s_or_b64 exec, exec, s[14:15]
	v_mov_b32_e32 v14, v17
	v_cmp_ne_u16_sdwa s[12:13], v17, v15 src0_sel:BYTE_0 src1_sel:DWORD
	s_and_saveexec_b64 s[14:15], s[12:13]
	s_cbranch_execz .LBB526_572
; %bb.567:
	s_movk_i32 s12, 0x80
	v_cmp_ne_u16_sdwa s[12:13], v17, s12 src0_sel:BYTE_0 src1_sel:DWORD
	v_bfrev_b32_e32 v18, 1
	s_and_saveexec_b64 s[24:25], s[12:13]
	s_cbranch_execz .LBB526_571
; %bb.568:
	s_movk_i32 s12, 0x7f
	v_and_b32_e32 v23, 0x7f, v17
	v_cmp_ne_u32_e64 s[12:13], s12, v23
	v_mov_b32_e32 v18, 0x7f800001
	s_and_saveexec_b64 s[26:27], s[12:13]
	s_cbranch_execz .LBB526_570
; %bb.569:
	v_and_b32_e32 v18, 7, v17
	v_ffbh_u32_e32 v18, v18
	v_min_u32_e32 v18, 32, v18
	v_subrev_u32_e32 v25, 28, v18
	v_cmp_gt_u32_e64 s[12:13], 8, v23
	v_lshrrev_b32_e32 v24, 3, v23
	v_sub_u32_e32 v18, 29, v18
	v_cndmask_b32_e64 v23, 0, v25, s[12:13]
	v_cndmask_b32_e64 v18, v24, v18, s[12:13]
	v_lshlrev_b64 v[24:25], v23, v[14:15]
	v_lshlrev_b32_e32 v15, 20, v24
	v_lshlrev_b32_e32 v23, 24, v14
	v_bfrev_b32_e32 v24, 60
	v_and_b32_e32 v15, 0x700000, v15
	v_and_b32_e32 v23, 0x80000000, v23
	v_lshl_add_u32 v18, v18, 23, v24
	v_or3_b32 v18, v23, v18, v15
.LBB526_570:
	s_or_b64 exec, exec, s[26:27]
.LBB526_571:
	s_or_b64 exec, exec, s[24:25]
	v_mov_b32_e32 v15, v18
.LBB526_572:
	s_or_b64 exec, exec, s[14:15]
	v_lshrrev_b16_e32 v18, 8, v14
	v_cmp_ne_u16_e64 s[12:13], 0, v18
	v_mov_b32_e32 v23, 0
	v_mov_b32_e32 v24, 0
	s_and_saveexec_b64 s[14:15], s[12:13]
	s_cbranch_execz .LBB526_578
; %bb.573:
	s_movk_i32 s12, 0x80
	v_cmp_ne_u16_e64 s[12:13], s12, v18
	v_bfrev_b32_e32 v24, 1
	s_and_saveexec_b64 s[24:25], s[12:13]
	s_cbranch_execz .LBB526_577
; %bb.574:
	s_movk_i32 s12, 0x7f
	v_and_b32_e32 v25, 0x7f, v18
	v_cmp_ne_u32_e64 s[12:13], s12, v25
	v_mov_b32_e32 v24, 0x7f800001
	s_and_saveexec_b64 s[26:27], s[12:13]
	s_cbranch_execz .LBB526_576
; %bb.575:
	v_and_b32_e32 v24, 7, v18
	v_ffbh_u32_e32 v26, v24
	v_min_u32_e32 v29, 32, v26
	v_subrev_u32_e32 v26, 28, v29
	v_lshlrev_b64 v[26:27], v26, v[18:19]
	v_lshrrev_b32_e32 v28, 3, v25
	v_sub_u32_e32 v18, 29, v29
	v_and_b32_e32 v26, 7, v26
	v_cmp_gt_u32_e64 s[12:13], 8, v25
	v_cndmask_b32_e64 v18, v28, v18, s[12:13]
	v_cndmask_b32_e64 v24, v24, v26, s[12:13]
	v_lshlrev_b32_e32 v14, 16, v14
	v_bfrev_b32_e32 v25, 60
	v_lshlrev_b32_e32 v24, 20, v24
	v_and_b32_e32 v14, 0x80000000, v14
	v_lshl_add_u32 v18, v18, 23, v25
	v_or3_b32 v24, v14, v18, v24
.LBB526_576:
	s_or_b64 exec, exec, s[26:27]
.LBB526_577:
	s_or_b64 exec, exec, s[24:25]
.LBB526_578:
	s_or_b64 exec, exec, s[14:15]
	s_movk_i32 s12, 0xff
	v_and_b32_sdwa v18, v17, s12 dst_sel:DWORD dst_unused:UNUSED_PAD src0_sel:WORD_1 src1_sel:DWORD
	v_lshrrev_b32_e32 v14, 16, v17
	v_cmp_ne_u16_e64 s[12:13], 0, v18
	s_and_saveexec_b64 s[14:15], s[12:13]
	s_cbranch_execz .LBB526_584
; %bb.579:
	s_movk_i32 s12, 0x80
	v_cmp_ne_u16_e64 s[12:13], s12, v18
	v_bfrev_b32_e32 v23, 1
	s_and_saveexec_b64 s[24:25], s[12:13]
	s_cbranch_execz .LBB526_583
; %bb.580:
	v_bfe_u32 v18, v17, 16, 7
	s_movk_i32 s12, 0x7f
	v_cmp_ne_u32_e64 s[12:13], s12, v18
	v_mov_b32_e32 v23, 0x7f800001
	s_and_saveexec_b64 s[26:27], s[12:13]
	s_cbranch_execz .LBB526_582
; %bb.581:
	v_and_b32_e32 v23, 7, v14
	v_ffbh_u32_e32 v26, v23
	v_min_u32_e32 v28, 32, v26
	v_subrev_u32_e32 v26, 28, v28
	v_lshlrev_b64 v[26:27], v26, v[14:15]
	v_and_b32_e32 v26, 7, v26
	v_cmp_gt_u32_e64 s[12:13], 8, v18
	v_lshrrev_b32_e32 v25, 3, v18
	v_sub_u32_e32 v14, 29, v28
	v_cndmask_b32_e64 v18, v23, v26, s[12:13]
	v_mov_b32_e32 v23, 24
	v_cndmask_b32_e64 v14, v25, v14, s[12:13]
	v_lshlrev_b32_sdwa v23, v23, v17 dst_sel:DWORD dst_unused:UNUSED_PAD src0_sel:DWORD src1_sel:WORD_1
	v_bfrev_b32_e32 v25, 60
	v_lshlrev_b32_e32 v18, 20, v18
	v_and_b32_e32 v23, 0x80000000, v23
	v_lshl_add_u32 v14, v14, 23, v25
	v_or3_b32 v23, v23, v14, v18
.LBB526_582:
	s_or_b64 exec, exec, s[26:27]
.LBB526_583:
	s_or_b64 exec, exec, s[24:25]
.LBB526_584:
	s_or_b64 exec, exec, s[14:15]
	s_mov_b32 s12, -1
	s_mov_b32 s13, 0xffffff
	v_cmp_lt_u64_e64 s[12:13], s[12:13], v[16:17]
	v_mov_b32_e32 v18, 0
	v_mov_b32_e32 v16, 0
	s_and_saveexec_b64 s[14:15], s[12:13]
	s_cbranch_execz .LBB526_590
; %bb.585:
	v_lshrrev_b32_e32 v14, 24, v17
	s_movk_i32 s12, 0x80
	v_cmp_ne_u32_e64 s[12:13], s12, v14
	v_bfrev_b32_e32 v16, 1
	s_and_saveexec_b64 s[24:25], s[12:13]
	s_cbranch_execz .LBB526_589
; %bb.586:
	v_bfe_u32 v17, v17, 24, 7
	s_movk_i32 s12, 0x7f
	v_cmp_ne_u32_e64 s[12:13], s12, v17
	v_mov_b32_e32 v16, 0x7f800001
	s_and_saveexec_b64 s[26:27], s[12:13]
	s_cbranch_execz .LBB526_588
; %bb.587:
	v_and_b32_e32 v16, 7, v14
	v_ffbh_u32_e32 v26, v16
	v_min_u32_e32 v28, 32, v26
	v_subrev_u32_e32 v26, 28, v28
	v_lshlrev_b64 v[26:27], v26, v[14:15]
	v_lshrrev_b32_e32 v25, 3, v17
	v_sub_u32_e32 v27, 29, v28
	v_and_b32_e32 v26, 7, v26
	v_cmp_gt_u32_e64 s[12:13], 8, v17
	v_cndmask_b32_e64 v17, v25, v27, s[12:13]
	v_cndmask_b32_e64 v16, v16, v26, s[12:13]
	v_lshlrev_b32_e32 v14, 24, v14
	v_bfrev_b32_e32 v25, 60
	v_lshlrev_b32_e32 v16, 20, v16
	v_and_b32_e32 v14, 0x80000000, v14
	v_lshl_add_u32 v17, v17, 23, v25
	v_or3_b32 v16, v14, v17, v16
.LBB526_588:
	s_or_b64 exec, exec, s[26:27]
.LBB526_589:
	s_or_b64 exec, exec, s[24:25]
.LBB526_590:
	s_or_b64 exec, exec, s[14:15]
	v_cvt_pkrtz_f16_f32 v20, v20, v21
	v_cvt_pkrtz_f16_f32 v21, v19, v22
	;; [unrolled: 1-line block ×4, first 2 shown]
	v_mfma_f32_4x4x4f16 a[0:3], v[2:3], v[20:21], a[0:3] cbsz:4 abid:11
	s_waitcnt vmcnt(25)
	v_cmp_ne_u16_sdwa s[12:13], v10, v18 src0_sel:BYTE_0 src1_sel:DWORD
	v_mfma_f32_4x4x4f16 a[0:3], v[4:5], v[14:15], a[0:3] cbsz:4 abid:11
	s_and_saveexec_b64 s[14:15], s[12:13]
	s_cbranch_execz .LBB526_596
; %bb.591:
	s_movk_i32 s12, 0x80
	v_cmp_ne_u16_sdwa s[12:13], v10, s12 src0_sel:BYTE_0 src1_sel:DWORD
	v_bfrev_b32_e32 v18, 1
	s_and_saveexec_b64 s[24:25], s[12:13]
	s_cbranch_execz .LBB526_595
; %bb.592:
	s_movk_i32 s12, 0x7f
	v_and_b32_e32 v14, 0x7f, v10
	v_cmp_ne_u32_e64 s[12:13], s12, v14
	v_mov_b32_e32 v18, 0x7f800001
	s_and_saveexec_b64 s[26:27], s[12:13]
	s_cbranch_execz .LBB526_594
; %bb.593:
	v_and_b32_e32 v15, 7, v10
	v_ffbh_u32_e32 v15, v15
	v_min_u32_e32 v15, 32, v15
	v_subrev_u32_e32 v17, 28, v15
	v_cmp_gt_u32_e64 s[12:13], 8, v14
	v_lshrrev_b32_e32 v16, 3, v14
	v_sub_u32_e32 v15, 29, v15
	v_cndmask_b32_e64 v14, 0, v17, s[12:13]
	v_cndmask_b32_e64 v16, v16, v15, s[12:13]
	v_lshlrev_b64 v[14:15], v14, v[10:11]
	v_lshlrev_b32_e32 v14, 20, v14
	v_lshlrev_b32_e32 v15, 24, v10
	v_bfrev_b32_e32 v17, 60
	v_and_b32_e32 v14, 0x700000, v14
	v_and_b32_e32 v15, 0x80000000, v15
	v_lshl_add_u32 v16, v16, 23, v17
	v_or3_b32 v18, v15, v16, v14
.LBB526_594:
	s_or_b64 exec, exec, s[26:27]
.LBB526_595:
	s_or_b64 exec, exec, s[24:25]
.LBB526_596:
	s_or_b64 exec, exec, s[14:15]
	v_lshrrev_b16_e32 v14, 8, v10
	v_cmp_ne_u16_e64 s[12:13], 0, v14
	v_mov_b32_e32 v17, 0
	v_mov_b32_e32 v19, 0
	s_and_saveexec_b64 s[14:15], s[12:13]
	s_cbranch_execz .LBB526_602
; %bb.597:
	s_movk_i32 s12, 0x80
	v_cmp_ne_u16_e64 s[12:13], s12, v14
	v_bfrev_b32_e32 v19, 1
	s_and_saveexec_b64 s[24:25], s[12:13]
	s_cbranch_execz .LBB526_601
; %bb.598:
	s_movk_i32 s12, 0x7f
	v_and_b32_e32 v15, 0x7f, v14
	v_cmp_ne_u32_e64 s[12:13], s12, v15
	v_mov_b32_e32 v19, 0x7f800001
	s_and_saveexec_b64 s[26:27], s[12:13]
	s_cbranch_execz .LBB526_600
; %bb.599:
	v_and_b32_e32 v16, 7, v14
	v_ffbh_u32_e32 v20, v16
	v_min_u32_e32 v22, 32, v20
	v_subrev_u32_e32 v20, 28, v22
	v_lshlrev_b64 v[20:21], v20, v[14:15]
	v_lshrrev_b32_e32 v19, 3, v15
	v_sub_u32_e32 v14, 29, v22
	v_and_b32_e32 v20, 7, v20
	v_cmp_gt_u32_e64 s[12:13], 8, v15
	v_cndmask_b32_e64 v14, v19, v14, s[12:13]
	v_cndmask_b32_e64 v15, v16, v20, s[12:13]
	v_lshlrev_b32_e32 v16, 16, v10
	v_bfrev_b32_e32 v19, 60
	v_lshlrev_b32_e32 v15, 20, v15
	v_and_b32_e32 v16, 0x80000000, v16
	v_lshl_add_u32 v14, v14, 23, v19
	v_or3_b32 v19, v16, v14, v15
.LBB526_600:
	s_or_b64 exec, exec, s[26:27]
.LBB526_601:
	s_or_b64 exec, exec, s[24:25]
.LBB526_602:
	s_or_b64 exec, exec, s[14:15]
	s_movk_i32 s12, 0xff
	v_and_b32_sdwa v15, v10, s12 dst_sel:DWORD dst_unused:UNUSED_PAD src0_sel:WORD_1 src1_sel:DWORD
	v_lshrrev_b32_e32 v14, 16, v10
	v_cmp_ne_u16_e64 s[12:13], 0, v15
	s_and_saveexec_b64 s[14:15], s[12:13]
	s_cbranch_execz .LBB526_608
; %bb.603:
	s_movk_i32 s12, 0x80
	v_cmp_ne_u16_e64 s[12:13], s12, v15
	v_bfrev_b32_e32 v17, 1
	s_and_saveexec_b64 s[24:25], s[12:13]
	s_cbranch_execz .LBB526_607
; %bb.604:
	v_bfe_u32 v15, v10, 16, 7
	s_movk_i32 s12, 0x7f
	v_cmp_ne_u32_e64 s[12:13], s12, v15
	v_mov_b32_e32 v17, 0x7f800001
	s_and_saveexec_b64 s[26:27], s[12:13]
	s_cbranch_execz .LBB526_606
; %bb.605:
	v_and_b32_e32 v20, 7, v14
	v_ffbh_u32_e32 v16, v20
	v_min_u32_e32 v22, 32, v16
	v_subrev_u32_e32 v16, 28, v22
	v_lshlrev_b64 v[16:17], v16, v[14:15]
	v_and_b32_e32 v16, 7, v16
	v_cmp_gt_u32_e64 s[12:13], 8, v15
	v_lshrrev_b32_e32 v21, 3, v15
	v_sub_u32_e32 v14, 29, v22
	v_cndmask_b32_e64 v15, v20, v16, s[12:13]
	v_mov_b32_e32 v16, 24
	v_cndmask_b32_e64 v14, v21, v14, s[12:13]
	v_lshlrev_b32_sdwa v16, v16, v10 dst_sel:DWORD dst_unused:UNUSED_PAD src0_sel:DWORD src1_sel:WORD_1
	v_bfrev_b32_e32 v17, 60
	v_lshlrev_b32_e32 v15, 20, v15
	v_and_b32_e32 v16, 0x80000000, v16
	v_lshl_add_u32 v14, v14, 23, v17
	v_or3_b32 v17, v16, v14, v15
.LBB526_606:
	s_or_b64 exec, exec, s[26:27]
.LBB526_607:
	s_or_b64 exec, exec, s[24:25]
.LBB526_608:
	s_or_b64 exec, exec, s[14:15]
	s_mov_b32 s12, 0xffffff
	v_cmp_lt_u32_e64 s[12:13], s12, v10
	v_mov_b32_e32 v15, 0
	v_mov_b32_e32 v20, 0
	s_and_saveexec_b64 s[14:15], s[12:13]
	s_cbranch_execz .LBB526_614
; %bb.609:
	v_lshrrev_b32_e32 v14, 24, v10
	s_movk_i32 s12, 0x80
	v_cmp_ne_u32_e64 s[12:13], s12, v14
	v_bfrev_b32_e32 v20, 1
	s_and_saveexec_b64 s[24:25], s[12:13]
	s_cbranch_execz .LBB526_613
; %bb.610:
	v_bfe_u32 v16, v10, 24, 7
	s_movk_i32 s12, 0x7f
	v_cmp_ne_u32_e64 s[12:13], s12, v16
	v_mov_b32_e32 v20, 0x7f800001
	s_and_saveexec_b64 s[26:27], s[12:13]
	s_cbranch_execz .LBB526_612
; %bb.611:
	v_and_b32_e32 v22, 7, v14
	v_ffbh_u32_e32 v20, v22
	v_min_u32_e32 v24, 32, v20
	v_subrev_u32_e32 v20, 28, v24
	v_lshlrev_b64 v[20:21], v20, v[14:15]
	v_lshrrev_b32_e32 v23, 3, v16
	v_sub_u32_e32 v21, 29, v24
	v_and_b32_e32 v20, 7, v20
	v_cmp_gt_u32_e64 s[12:13], 8, v16
	v_cndmask_b32_e64 v16, v23, v21, s[12:13]
	v_cndmask_b32_e64 v20, v22, v20, s[12:13]
	v_lshlrev_b32_e32 v14, 24, v14
	v_bfrev_b32_e32 v21, 60
	v_lshlrev_b32_e32 v20, 20, v20
	v_and_b32_e32 v14, 0x80000000, v14
	v_lshl_add_u32 v16, v16, 23, v21
	v_or3_b32 v20, v14, v16, v20
.LBB526_612:
	s_or_b64 exec, exec, s[26:27]
.LBB526_613:
	s_or_b64 exec, exec, s[24:25]
.LBB526_614:
	s_or_b64 exec, exec, s[14:15]
	v_mov_b32_e32 v14, v11
	v_cmp_ne_u16_sdwa s[12:13], v11, v15 src0_sel:BYTE_0 src1_sel:DWORD
	s_and_saveexec_b64 s[14:15], s[12:13]
	s_cbranch_execz .LBB526_620
; %bb.615:
	s_movk_i32 s12, 0x80
	v_cmp_ne_u16_sdwa s[12:13], v11, s12 src0_sel:BYTE_0 src1_sel:DWORD
	v_bfrev_b32_e32 v16, 1
	s_and_saveexec_b64 s[24:25], s[12:13]
	s_cbranch_execz .LBB526_619
; %bb.616:
	s_movk_i32 s12, 0x7f
	v_and_b32_e32 v21, 0x7f, v11
	v_cmp_ne_u32_e64 s[12:13], s12, v21
	v_mov_b32_e32 v16, 0x7f800001
	s_and_saveexec_b64 s[26:27], s[12:13]
	s_cbranch_execz .LBB526_618
; %bb.617:
	v_and_b32_e32 v16, 7, v11
	v_ffbh_u32_e32 v16, v16
	v_min_u32_e32 v16, 32, v16
	v_subrev_u32_e32 v23, 28, v16
	v_cmp_gt_u32_e64 s[12:13], 8, v21
	v_lshrrev_b32_e32 v22, 3, v21
	v_sub_u32_e32 v16, 29, v16
	v_cndmask_b32_e64 v21, 0, v23, s[12:13]
	v_cndmask_b32_e64 v16, v22, v16, s[12:13]
	v_lshlrev_b64 v[22:23], v21, v[14:15]
	v_lshlrev_b32_e32 v15, 20, v22
	v_lshlrev_b32_e32 v21, 24, v14
	v_bfrev_b32_e32 v22, 60
	v_and_b32_e32 v15, 0x700000, v15
	v_and_b32_e32 v21, 0x80000000, v21
	v_lshl_add_u32 v16, v16, 23, v22
	v_or3_b32 v16, v21, v16, v15
.LBB526_618:
	s_or_b64 exec, exec, s[26:27]
.LBB526_619:
	s_or_b64 exec, exec, s[24:25]
	v_mov_b32_e32 v15, v16
.LBB526_620:
	s_or_b64 exec, exec, s[14:15]
	v_lshrrev_b16_e32 v16, 8, v14
	v_cmp_ne_u16_e64 s[12:13], 0, v16
	v_mov_b32_e32 v21, 0
	v_mov_b32_e32 v22, 0
	s_and_saveexec_b64 s[14:15], s[12:13]
	s_cbranch_execz .LBB526_626
; %bb.621:
	s_movk_i32 s12, 0x80
	v_cmp_ne_u16_e64 s[12:13], s12, v16
	v_bfrev_b32_e32 v22, 1
	s_and_saveexec_b64 s[24:25], s[12:13]
	s_cbranch_execz .LBB526_625
; %bb.622:
	s_movk_i32 s12, 0x7f
	v_and_b32_e32 v23, 0x7f, v16
	v_cmp_ne_u32_e64 s[12:13], s12, v23
	v_mov_b32_e32 v22, 0x7f800001
	s_and_saveexec_b64 s[26:27], s[12:13]
	s_cbranch_execz .LBB526_624
; %bb.623:
	v_and_b32_e32 v22, 7, v16
	v_ffbh_u32_e32 v24, v22
	v_min_u32_e32 v27, 32, v24
	v_subrev_u32_e32 v24, 28, v27
	v_lshlrev_b64 v[24:25], v24, v[16:17]
	v_lshrrev_b32_e32 v26, 3, v23
	v_sub_u32_e32 v16, 29, v27
	v_and_b32_e32 v24, 7, v24
	v_cmp_gt_u32_e64 s[12:13], 8, v23
	v_cndmask_b32_e64 v16, v26, v16, s[12:13]
	v_cndmask_b32_e64 v22, v22, v24, s[12:13]
	v_lshlrev_b32_e32 v14, 16, v14
	v_bfrev_b32_e32 v23, 60
	v_lshlrev_b32_e32 v22, 20, v22
	v_and_b32_e32 v14, 0x80000000, v14
	v_lshl_add_u32 v16, v16, 23, v23
	v_or3_b32 v22, v14, v16, v22
.LBB526_624:
	s_or_b64 exec, exec, s[26:27]
.LBB526_625:
	s_or_b64 exec, exec, s[24:25]
.LBB526_626:
	s_or_b64 exec, exec, s[14:15]
	s_movk_i32 s12, 0xff
	v_and_b32_sdwa v16, v11, s12 dst_sel:DWORD dst_unused:UNUSED_PAD src0_sel:WORD_1 src1_sel:DWORD
	v_lshrrev_b32_e32 v14, 16, v11
	v_cmp_ne_u16_e64 s[12:13], 0, v16
	s_and_saveexec_b64 s[14:15], s[12:13]
	s_cbranch_execz .LBB526_632
; %bb.627:
	s_movk_i32 s12, 0x80
	v_cmp_ne_u16_e64 s[12:13], s12, v16
	v_bfrev_b32_e32 v21, 1
	s_and_saveexec_b64 s[24:25], s[12:13]
	s_cbranch_execz .LBB526_631
; %bb.628:
	v_bfe_u32 v16, v11, 16, 7
	s_movk_i32 s12, 0x7f
	v_cmp_ne_u32_e64 s[12:13], s12, v16
	v_mov_b32_e32 v21, 0x7f800001
	s_and_saveexec_b64 s[26:27], s[12:13]
	s_cbranch_execz .LBB526_630
; %bb.629:
	v_and_b32_e32 v21, 7, v14
	v_ffbh_u32_e32 v24, v21
	v_min_u32_e32 v26, 32, v24
	v_subrev_u32_e32 v24, 28, v26
	v_lshlrev_b64 v[24:25], v24, v[14:15]
	v_and_b32_e32 v24, 7, v24
	v_cmp_gt_u32_e64 s[12:13], 8, v16
	v_lshrrev_b32_e32 v23, 3, v16
	v_sub_u32_e32 v14, 29, v26
	v_cndmask_b32_e64 v16, v21, v24, s[12:13]
	v_mov_b32_e32 v21, 24
	v_cndmask_b32_e64 v14, v23, v14, s[12:13]
	v_lshlrev_b32_sdwa v21, v21, v11 dst_sel:DWORD dst_unused:UNUSED_PAD src0_sel:DWORD src1_sel:WORD_1
	v_bfrev_b32_e32 v23, 60
	v_lshlrev_b32_e32 v16, 20, v16
	v_and_b32_e32 v21, 0x80000000, v21
	v_lshl_add_u32 v14, v14, 23, v23
	v_or3_b32 v21, v21, v14, v16
.LBB526_630:
	s_or_b64 exec, exec, s[26:27]
.LBB526_631:
	s_or_b64 exec, exec, s[24:25]
.LBB526_632:
	s_or_b64 exec, exec, s[14:15]
	s_mov_b32 s12, -1
	s_mov_b32 s13, 0xffffff
	v_cmp_lt_u64_e64 s[12:13], s[12:13], v[10:11]
	v_mov_b32_e32 v16, 0
	v_mov_b32_e32 v14, 0
	s_and_saveexec_b64 s[14:15], s[12:13]
	s_cbranch_execz .LBB526_638
; %bb.633:
	v_lshrrev_b32_e32 v10, 24, v11
	s_movk_i32 s12, 0x80
	v_cmp_ne_u32_e64 s[12:13], s12, v10
	v_bfrev_b32_e32 v14, 1
	s_and_saveexec_b64 s[24:25], s[12:13]
	s_cbranch_execz .LBB526_637
; %bb.634:
	v_bfe_u32 v11, v11, 24, 7
	s_movk_i32 s12, 0x7f
	v_cmp_ne_u32_e64 s[12:13], s12, v11
	v_mov_b32_e32 v14, 0x7f800001
	s_and_saveexec_b64 s[26:27], s[12:13]
	s_cbranch_execz .LBB526_636
; %bb.635:
	v_and_b32_e32 v14, 7, v10
	v_ffbh_u32_e32 v24, v14
	v_min_u32_e32 v26, 32, v24
	v_subrev_u32_e32 v24, 28, v26
	v_lshlrev_b64 v[24:25], v24, v[10:11]
	v_lshrrev_b32_e32 v23, 3, v11
	v_sub_u32_e32 v25, 29, v26
	v_and_b32_e32 v24, 7, v24
	v_cmp_gt_u32_e64 s[12:13], 8, v11
	v_cndmask_b32_e64 v11, v23, v25, s[12:13]
	v_cndmask_b32_e64 v14, v14, v24, s[12:13]
	v_lshlrev_b32_e32 v10, 24, v10
	v_bfrev_b32_e32 v23, 60
	v_lshlrev_b32_e32 v14, 20, v14
	v_and_b32_e32 v10, 0x80000000, v10
	v_lshl_add_u32 v11, v11, 23, v23
	v_or3_b32 v14, v10, v11, v14
.LBB526_636:
	s_or_b64 exec, exec, s[26:27]
.LBB526_637:
	s_or_b64 exec, exec, s[24:25]
.LBB526_638:
	s_or_b64 exec, exec, s[14:15]
	v_cvt_pkrtz_f16_f32 v10, v18, v19
	v_cvt_pkrtz_f16_f32 v11, v17, v20
	;; [unrolled: 1-line block ×4, first 2 shown]
	v_mfma_f32_4x4x4f16 a[0:3], v[2:3], v[10:11], a[0:3] cbsz:4 abid:12
	v_cmp_ne_u16_sdwa s[12:13], v12, v16 src0_sel:BYTE_0 src1_sel:DWORD
	v_mfma_f32_4x4x4f16 a[0:3], v[4:5], v[18:19], a[0:3] cbsz:4 abid:12
	s_and_saveexec_b64 s[14:15], s[12:13]
	s_cbranch_execz .LBB526_644
; %bb.639:
	s_movk_i32 s12, 0x80
	v_cmp_ne_u16_sdwa s[12:13], v12, s12 src0_sel:BYTE_0 src1_sel:DWORD
	v_bfrev_b32_e32 v16, 1
	s_and_saveexec_b64 s[24:25], s[12:13]
	s_cbranch_execz .LBB526_643
; %bb.640:
	s_movk_i32 s12, 0x7f
	v_and_b32_e32 v10, 0x7f, v12
	v_cmp_ne_u32_e64 s[12:13], s12, v10
	v_mov_b32_e32 v16, 0x7f800001
	s_and_saveexec_b64 s[26:27], s[12:13]
	s_cbranch_execz .LBB526_642
; %bb.641:
	v_and_b32_e32 v11, 7, v12
	v_ffbh_u32_e32 v11, v11
	v_min_u32_e32 v11, 32, v11
	v_subrev_u32_e32 v15, 28, v11
	v_cmp_gt_u32_e64 s[12:13], 8, v10
	v_lshrrev_b32_e32 v14, 3, v10
	v_sub_u32_e32 v11, 29, v11
	v_cndmask_b32_e64 v10, 0, v15, s[12:13]
	v_cndmask_b32_e64 v14, v14, v11, s[12:13]
	v_lshlrev_b64 v[10:11], v10, v[12:13]
	v_lshlrev_b32_e32 v10, 20, v10
	v_lshlrev_b32_e32 v11, 24, v12
	v_bfrev_b32_e32 v15, 60
	v_and_b32_e32 v10, 0x700000, v10
	v_and_b32_e32 v11, 0x80000000, v11
	v_lshl_add_u32 v14, v14, 23, v15
	v_or3_b32 v16, v11, v14, v10
.LBB526_642:
	s_or_b64 exec, exec, s[26:27]
.LBB526_643:
	s_or_b64 exec, exec, s[24:25]
.LBB526_644:
	s_or_b64 exec, exec, s[14:15]
	v_lshrrev_b16_e32 v10, 8, v12
	v_cmp_ne_u16_e64 s[12:13], 0, v10
	v_mov_b32_e32 v15, 0
	v_mov_b32_e32 v17, 0
	s_and_saveexec_b64 s[14:15], s[12:13]
	s_cbranch_execz .LBB526_650
; %bb.645:
	s_movk_i32 s12, 0x80
	v_cmp_ne_u16_e64 s[12:13], s12, v10
	v_bfrev_b32_e32 v17, 1
	s_and_saveexec_b64 s[24:25], s[12:13]
	s_cbranch_execz .LBB526_649
; %bb.646:
	s_movk_i32 s12, 0x7f
	v_and_b32_e32 v11, 0x7f, v10
	v_cmp_ne_u32_e64 s[12:13], s12, v11
	v_mov_b32_e32 v17, 0x7f800001
	s_and_saveexec_b64 s[26:27], s[12:13]
	s_cbranch_execz .LBB526_648
; %bb.647:
	v_and_b32_e32 v14, 7, v10
	v_ffbh_u32_e32 v18, v14
	v_min_u32_e32 v20, 32, v18
	v_subrev_u32_e32 v18, 28, v20
	v_lshlrev_b64 v[18:19], v18, v[10:11]
	v_lshrrev_b32_e32 v17, 3, v11
	v_sub_u32_e32 v10, 29, v20
	v_and_b32_e32 v18, 7, v18
	v_cmp_gt_u32_e64 s[12:13], 8, v11
	v_cndmask_b32_e64 v10, v17, v10, s[12:13]
	v_cndmask_b32_e64 v11, v14, v18, s[12:13]
	v_lshlrev_b32_e32 v14, 16, v12
	v_bfrev_b32_e32 v17, 60
	v_lshlrev_b32_e32 v11, 20, v11
	v_and_b32_e32 v14, 0x80000000, v14
	v_lshl_add_u32 v10, v10, 23, v17
	v_or3_b32 v17, v14, v10, v11
.LBB526_648:
	s_or_b64 exec, exec, s[26:27]
.LBB526_649:
	s_or_b64 exec, exec, s[24:25]
.LBB526_650:
	s_or_b64 exec, exec, s[14:15]
	s_movk_i32 s12, 0xff
	v_and_b32_sdwa v11, v12, s12 dst_sel:DWORD dst_unused:UNUSED_PAD src0_sel:WORD_1 src1_sel:DWORD
	v_lshrrev_b32_e32 v10, 16, v12
	v_cmp_ne_u16_e64 s[12:13], 0, v11
	s_and_saveexec_b64 s[14:15], s[12:13]
	s_cbranch_execz .LBB526_656
; %bb.651:
	s_movk_i32 s12, 0x80
	v_cmp_ne_u16_e64 s[12:13], s12, v11
	v_bfrev_b32_e32 v15, 1
	s_and_saveexec_b64 s[24:25], s[12:13]
	s_cbranch_execz .LBB526_655
; %bb.652:
	v_bfe_u32 v11, v12, 16, 7
	s_movk_i32 s12, 0x7f
	v_cmp_ne_u32_e64 s[12:13], s12, v11
	v_mov_b32_e32 v15, 0x7f800001
	s_and_saveexec_b64 s[26:27], s[12:13]
	s_cbranch_execz .LBB526_654
; %bb.653:
	v_and_b32_e32 v18, 7, v10
	v_ffbh_u32_e32 v14, v18
	v_min_u32_e32 v20, 32, v14
	v_subrev_u32_e32 v14, 28, v20
	v_lshlrev_b64 v[14:15], v14, v[10:11]
	v_and_b32_e32 v14, 7, v14
	v_cmp_gt_u32_e64 s[12:13], 8, v11
	v_lshrrev_b32_e32 v19, 3, v11
	v_sub_u32_e32 v10, 29, v20
	v_cndmask_b32_e64 v11, v18, v14, s[12:13]
	v_mov_b32_e32 v14, 24
	v_cndmask_b32_e64 v10, v19, v10, s[12:13]
	v_lshlrev_b32_sdwa v14, v14, v12 dst_sel:DWORD dst_unused:UNUSED_PAD src0_sel:DWORD src1_sel:WORD_1
	v_bfrev_b32_e32 v15, 60
	v_lshlrev_b32_e32 v11, 20, v11
	v_and_b32_e32 v14, 0x80000000, v14
	v_lshl_add_u32 v10, v10, 23, v15
	v_or3_b32 v15, v14, v10, v11
.LBB526_654:
	s_or_b64 exec, exec, s[26:27]
.LBB526_655:
	s_or_b64 exec, exec, s[24:25]
.LBB526_656:
	s_or_b64 exec, exec, s[14:15]
	s_mov_b32 s12, 0xffffff
	v_cmp_lt_u32_e64 s[12:13], s12, v12
	v_mov_b32_e32 v11, 0
	v_mov_b32_e32 v18, 0
	s_and_saveexec_b64 s[14:15], s[12:13]
	s_cbranch_execz .LBB526_662
; %bb.657:
	v_lshrrev_b32_e32 v10, 24, v12
	s_movk_i32 s12, 0x80
	v_cmp_ne_u32_e64 s[12:13], s12, v10
	v_bfrev_b32_e32 v18, 1
	s_and_saveexec_b64 s[24:25], s[12:13]
	s_cbranch_execz .LBB526_661
; %bb.658:
	v_bfe_u32 v14, v12, 24, 7
	s_movk_i32 s12, 0x7f
	v_cmp_ne_u32_e64 s[12:13], s12, v14
	v_mov_b32_e32 v18, 0x7f800001
	s_and_saveexec_b64 s[26:27], s[12:13]
	s_cbranch_execz .LBB526_660
; %bb.659:
	v_and_b32_e32 v20, 7, v10
	v_ffbh_u32_e32 v18, v20
	v_min_u32_e32 v22, 32, v18
	v_subrev_u32_e32 v18, 28, v22
	v_lshlrev_b64 v[18:19], v18, v[10:11]
	v_lshrrev_b32_e32 v21, 3, v14
	v_sub_u32_e32 v19, 29, v22
	v_and_b32_e32 v18, 7, v18
	v_cmp_gt_u32_e64 s[12:13], 8, v14
	v_cndmask_b32_e64 v14, v21, v19, s[12:13]
	v_cndmask_b32_e64 v18, v20, v18, s[12:13]
	v_lshlrev_b32_e32 v10, 24, v10
	v_bfrev_b32_e32 v19, 60
	v_lshlrev_b32_e32 v18, 20, v18
	v_and_b32_e32 v10, 0x80000000, v10
	v_lshl_add_u32 v14, v14, 23, v19
	v_or3_b32 v18, v10, v14, v18
.LBB526_660:
	s_or_b64 exec, exec, s[26:27]
.LBB526_661:
	s_or_b64 exec, exec, s[24:25]
.LBB526_662:
	s_or_b64 exec, exec, s[14:15]
	v_mov_b32_e32 v10, v13
	v_cmp_ne_u16_sdwa s[12:13], v13, v11 src0_sel:BYTE_0 src1_sel:DWORD
	s_and_saveexec_b64 s[14:15], s[12:13]
	s_cbranch_execz .LBB526_668
; %bb.663:
	s_movk_i32 s12, 0x80
	v_cmp_ne_u16_sdwa s[12:13], v13, s12 src0_sel:BYTE_0 src1_sel:DWORD
	v_bfrev_b32_e32 v14, 1
	s_and_saveexec_b64 s[24:25], s[12:13]
	s_cbranch_execz .LBB526_667
; %bb.664:
	s_movk_i32 s12, 0x7f
	v_and_b32_e32 v19, 0x7f, v13
	v_cmp_ne_u32_e64 s[12:13], s12, v19
	v_mov_b32_e32 v14, 0x7f800001
	s_and_saveexec_b64 s[26:27], s[12:13]
	s_cbranch_execz .LBB526_666
; %bb.665:
	v_and_b32_e32 v14, 7, v13
	v_ffbh_u32_e32 v14, v14
	v_min_u32_e32 v14, 32, v14
	v_subrev_u32_e32 v21, 28, v14
	v_cmp_gt_u32_e64 s[12:13], 8, v19
	v_lshrrev_b32_e32 v20, 3, v19
	v_sub_u32_e32 v14, 29, v14
	v_cndmask_b32_e64 v19, 0, v21, s[12:13]
	v_cndmask_b32_e64 v14, v20, v14, s[12:13]
	v_lshlrev_b64 v[20:21], v19, v[10:11]
	v_lshlrev_b32_e32 v11, 20, v20
	v_lshlrev_b32_e32 v19, 24, v10
	v_bfrev_b32_e32 v20, 60
	v_and_b32_e32 v11, 0x700000, v11
	v_and_b32_e32 v19, 0x80000000, v19
	v_lshl_add_u32 v14, v14, 23, v20
	v_or3_b32 v14, v19, v14, v11
.LBB526_666:
	s_or_b64 exec, exec, s[26:27]
.LBB526_667:
	s_or_b64 exec, exec, s[24:25]
	v_mov_b32_e32 v11, v14
.LBB526_668:
	s_or_b64 exec, exec, s[14:15]
	v_lshrrev_b16_e32 v14, 8, v10
	v_cmp_ne_u16_e64 s[12:13], 0, v14
	v_mov_b32_e32 v19, 0
	v_mov_b32_e32 v20, 0
	s_and_saveexec_b64 s[14:15], s[12:13]
	s_cbranch_execz .LBB526_674
; %bb.669:
	s_movk_i32 s12, 0x80
	v_cmp_ne_u16_e64 s[12:13], s12, v14
	v_bfrev_b32_e32 v20, 1
	s_and_saveexec_b64 s[24:25], s[12:13]
	s_cbranch_execz .LBB526_673
; %bb.670:
	s_movk_i32 s12, 0x7f
	v_and_b32_e32 v21, 0x7f, v14
	v_cmp_ne_u32_e64 s[12:13], s12, v21
	v_mov_b32_e32 v20, 0x7f800001
	s_and_saveexec_b64 s[26:27], s[12:13]
	s_cbranch_execz .LBB526_672
; %bb.671:
	v_and_b32_e32 v20, 7, v14
	v_ffbh_u32_e32 v22, v20
	v_min_u32_e32 v25, 32, v22
	v_subrev_u32_e32 v22, 28, v25
	v_lshlrev_b64 v[22:23], v22, v[14:15]
	v_lshrrev_b32_e32 v24, 3, v21
	v_sub_u32_e32 v14, 29, v25
	v_and_b32_e32 v22, 7, v22
	v_cmp_gt_u32_e64 s[12:13], 8, v21
	v_cndmask_b32_e64 v14, v24, v14, s[12:13]
	v_cndmask_b32_e64 v20, v20, v22, s[12:13]
	v_lshlrev_b32_e32 v10, 16, v10
	v_bfrev_b32_e32 v21, 60
	v_lshlrev_b32_e32 v20, 20, v20
	v_and_b32_e32 v10, 0x80000000, v10
	v_lshl_add_u32 v14, v14, 23, v21
	v_or3_b32 v20, v10, v14, v20
.LBB526_672:
	s_or_b64 exec, exec, s[26:27]
.LBB526_673:
	s_or_b64 exec, exec, s[24:25]
.LBB526_674:
	s_or_b64 exec, exec, s[14:15]
	s_movk_i32 s12, 0xff
	v_and_b32_sdwa v14, v13, s12 dst_sel:DWORD dst_unused:UNUSED_PAD src0_sel:WORD_1 src1_sel:DWORD
	v_lshrrev_b32_e32 v10, 16, v13
	v_cmp_ne_u16_e64 s[12:13], 0, v14
	s_and_saveexec_b64 s[14:15], s[12:13]
	s_cbranch_execz .LBB526_680
; %bb.675:
	s_movk_i32 s12, 0x80
	v_cmp_ne_u16_e64 s[12:13], s12, v14
	v_bfrev_b32_e32 v19, 1
	s_and_saveexec_b64 s[24:25], s[12:13]
	s_cbranch_execz .LBB526_679
; %bb.676:
	v_bfe_u32 v14, v13, 16, 7
	s_movk_i32 s12, 0x7f
	v_cmp_ne_u32_e64 s[12:13], s12, v14
	v_mov_b32_e32 v19, 0x7f800001
	s_and_saveexec_b64 s[26:27], s[12:13]
	s_cbranch_execz .LBB526_678
; %bb.677:
	v_and_b32_e32 v19, 7, v10
	v_ffbh_u32_e32 v22, v19
	v_min_u32_e32 v24, 32, v22
	v_subrev_u32_e32 v22, 28, v24
	v_lshlrev_b64 v[22:23], v22, v[10:11]
	v_and_b32_e32 v22, 7, v22
	v_cmp_gt_u32_e64 s[12:13], 8, v14
	v_lshrrev_b32_e32 v21, 3, v14
	v_sub_u32_e32 v10, 29, v24
	v_cndmask_b32_e64 v14, v19, v22, s[12:13]
	v_mov_b32_e32 v19, 24
	v_cndmask_b32_e64 v10, v21, v10, s[12:13]
	v_lshlrev_b32_sdwa v19, v19, v13 dst_sel:DWORD dst_unused:UNUSED_PAD src0_sel:DWORD src1_sel:WORD_1
	v_bfrev_b32_e32 v21, 60
	v_lshlrev_b32_e32 v14, 20, v14
	v_and_b32_e32 v19, 0x80000000, v19
	v_lshl_add_u32 v10, v10, 23, v21
	v_or3_b32 v19, v19, v10, v14
.LBB526_678:
	s_or_b64 exec, exec, s[26:27]
.LBB526_679:
	s_or_b64 exec, exec, s[24:25]
.LBB526_680:
	s_or_b64 exec, exec, s[14:15]
	s_mov_b32 s12, -1
	s_mov_b32 s13, 0xffffff
	v_cmp_lt_u64_e64 s[12:13], s[12:13], v[12:13]
	v_mov_b32_e32 v14, 0
	v_mov_b32_e32 v12, 0
	s_and_saveexec_b64 s[14:15], s[12:13]
	s_cbranch_execz .LBB526_686
; %bb.681:
	v_lshrrev_b32_e32 v10, 24, v13
	s_movk_i32 s12, 0x80
	v_cmp_ne_u32_e64 s[12:13], s12, v10
	v_bfrev_b32_e32 v12, 1
	s_and_saveexec_b64 s[24:25], s[12:13]
	s_cbranch_execz .LBB526_685
; %bb.682:
	v_bfe_u32 v13, v13, 24, 7
	s_movk_i32 s12, 0x7f
	v_cmp_ne_u32_e64 s[12:13], s12, v13
	v_mov_b32_e32 v12, 0x7f800001
	s_and_saveexec_b64 s[26:27], s[12:13]
	s_cbranch_execz .LBB526_684
; %bb.683:
	v_and_b32_e32 v12, 7, v10
	v_ffbh_u32_e32 v22, v12
	v_min_u32_e32 v24, 32, v22
	v_subrev_u32_e32 v22, 28, v24
	v_lshlrev_b64 v[22:23], v22, v[10:11]
	v_lshrrev_b32_e32 v21, 3, v13
	v_sub_u32_e32 v23, 29, v24
	v_and_b32_e32 v22, 7, v22
	v_cmp_gt_u32_e64 s[12:13], 8, v13
	v_cndmask_b32_e64 v13, v21, v23, s[12:13]
	v_cndmask_b32_e64 v12, v12, v22, s[12:13]
	v_lshlrev_b32_e32 v10, 24, v10
	v_bfrev_b32_e32 v21, 60
	v_lshlrev_b32_e32 v12, 20, v12
	v_and_b32_e32 v10, 0x80000000, v10
	v_lshl_add_u32 v13, v13, 23, v21
	v_or3_b32 v12, v10, v13, v12
.LBB526_684:
	s_or_b64 exec, exec, s[26:27]
.LBB526_685:
	s_or_b64 exec, exec, s[24:25]
.LBB526_686:
	s_or_b64 exec, exec, s[14:15]
	v_cvt_pkrtz_f16_f32 v16, v16, v17
	v_cvt_pkrtz_f16_f32 v17, v15, v18
	;; [unrolled: 1-line block ×4, first 2 shown]
	v_mfma_f32_4x4x4f16 a[0:3], v[2:3], v[16:17], a[0:3] cbsz:4 abid:13
	s_waitcnt vmcnt(24)
	v_cmp_ne_u16_sdwa s[12:13], v6, v14 src0_sel:BYTE_0 src1_sel:DWORD
	v_mfma_f32_4x4x4f16 a[0:3], v[4:5], v[10:11], a[0:3] cbsz:4 abid:13
	s_and_saveexec_b64 s[14:15], s[12:13]
	s_cbranch_execz .LBB526_692
; %bb.687:
	s_movk_i32 s12, 0x80
	v_cmp_ne_u16_sdwa s[12:13], v6, s12 src0_sel:BYTE_0 src1_sel:DWORD
	v_bfrev_b32_e32 v14, 1
	s_and_saveexec_b64 s[24:25], s[12:13]
	s_cbranch_execz .LBB526_691
; %bb.688:
	s_movk_i32 s12, 0x7f
	v_and_b32_e32 v10, 0x7f, v6
	v_cmp_ne_u32_e64 s[12:13], s12, v10
	v_mov_b32_e32 v14, 0x7f800001
	s_and_saveexec_b64 s[26:27], s[12:13]
	s_cbranch_execz .LBB526_690
; %bb.689:
	v_and_b32_e32 v11, 7, v6
	v_ffbh_u32_e32 v11, v11
	v_min_u32_e32 v11, 32, v11
	v_subrev_u32_e32 v13, 28, v11
	v_cmp_gt_u32_e64 s[12:13], 8, v10
	v_lshrrev_b32_e32 v12, 3, v10
	v_sub_u32_e32 v11, 29, v11
	v_cndmask_b32_e64 v10, 0, v13, s[12:13]
	v_cndmask_b32_e64 v12, v12, v11, s[12:13]
	v_lshlrev_b64 v[10:11], v10, v[6:7]
	v_lshlrev_b32_e32 v10, 20, v10
	v_lshlrev_b32_e32 v11, 24, v6
	v_bfrev_b32_e32 v13, 60
	v_and_b32_e32 v10, 0x700000, v10
	v_and_b32_e32 v11, 0x80000000, v11
	v_lshl_add_u32 v12, v12, 23, v13
	v_or3_b32 v14, v11, v12, v10
.LBB526_690:
	s_or_b64 exec, exec, s[26:27]
.LBB526_691:
	s_or_b64 exec, exec, s[24:25]
.LBB526_692:
	s_or_b64 exec, exec, s[14:15]
	v_lshrrev_b16_e32 v10, 8, v6
	v_cmp_ne_u16_e64 s[12:13], 0, v10
	v_mov_b32_e32 v13, 0
	v_mov_b32_e32 v15, 0
	s_and_saveexec_b64 s[14:15], s[12:13]
	s_cbranch_execz .LBB526_698
; %bb.693:
	s_movk_i32 s12, 0x80
	v_cmp_ne_u16_e64 s[12:13], s12, v10
	v_bfrev_b32_e32 v15, 1
	s_and_saveexec_b64 s[24:25], s[12:13]
	s_cbranch_execz .LBB526_697
; %bb.694:
	s_movk_i32 s12, 0x7f
	v_and_b32_e32 v11, 0x7f, v10
	v_cmp_ne_u32_e64 s[12:13], s12, v11
	v_mov_b32_e32 v15, 0x7f800001
	s_and_saveexec_b64 s[26:27], s[12:13]
	s_cbranch_execz .LBB526_696
; %bb.695:
	v_and_b32_e32 v12, 7, v10
	v_ffbh_u32_e32 v16, v12
	v_min_u32_e32 v18, 32, v16
	v_subrev_u32_e32 v16, 28, v18
	v_lshlrev_b64 v[16:17], v16, v[10:11]
	v_lshrrev_b32_e32 v15, 3, v11
	v_sub_u32_e32 v10, 29, v18
	v_and_b32_e32 v16, 7, v16
	v_cmp_gt_u32_e64 s[12:13], 8, v11
	v_cndmask_b32_e64 v10, v15, v10, s[12:13]
	v_cndmask_b32_e64 v11, v12, v16, s[12:13]
	v_lshlrev_b32_e32 v12, 16, v6
	v_bfrev_b32_e32 v15, 60
	v_lshlrev_b32_e32 v11, 20, v11
	v_and_b32_e32 v12, 0x80000000, v12
	v_lshl_add_u32 v10, v10, 23, v15
	v_or3_b32 v15, v12, v10, v11
.LBB526_696:
	s_or_b64 exec, exec, s[26:27]
.LBB526_697:
	s_or_b64 exec, exec, s[24:25]
.LBB526_698:
	s_or_b64 exec, exec, s[14:15]
	s_movk_i32 s12, 0xff
	v_and_b32_sdwa v11, v6, s12 dst_sel:DWORD dst_unused:UNUSED_PAD src0_sel:WORD_1 src1_sel:DWORD
	v_lshrrev_b32_e32 v10, 16, v6
	v_cmp_ne_u16_e64 s[12:13], 0, v11
	s_and_saveexec_b64 s[14:15], s[12:13]
	s_cbranch_execz .LBB526_704
; %bb.699:
	s_movk_i32 s12, 0x80
	v_cmp_ne_u16_e64 s[12:13], s12, v11
	v_bfrev_b32_e32 v13, 1
	s_and_saveexec_b64 s[24:25], s[12:13]
	s_cbranch_execz .LBB526_703
; %bb.700:
	v_bfe_u32 v11, v6, 16, 7
	s_movk_i32 s12, 0x7f
	v_cmp_ne_u32_e64 s[12:13], s12, v11
	v_mov_b32_e32 v13, 0x7f800001
	s_and_saveexec_b64 s[26:27], s[12:13]
	s_cbranch_execz .LBB526_702
; %bb.701:
	v_and_b32_e32 v16, 7, v10
	v_ffbh_u32_e32 v12, v16
	v_min_u32_e32 v18, 32, v12
	v_subrev_u32_e32 v12, 28, v18
	v_lshlrev_b64 v[12:13], v12, v[10:11]
	v_and_b32_e32 v12, 7, v12
	v_cmp_gt_u32_e64 s[12:13], 8, v11
	v_lshrrev_b32_e32 v17, 3, v11
	v_sub_u32_e32 v10, 29, v18
	v_cndmask_b32_e64 v11, v16, v12, s[12:13]
	v_mov_b32_e32 v12, 24
	v_cndmask_b32_e64 v10, v17, v10, s[12:13]
	v_lshlrev_b32_sdwa v12, v12, v6 dst_sel:DWORD dst_unused:UNUSED_PAD src0_sel:DWORD src1_sel:WORD_1
	v_bfrev_b32_e32 v13, 60
	v_lshlrev_b32_e32 v11, 20, v11
	v_and_b32_e32 v12, 0x80000000, v12
	v_lshl_add_u32 v10, v10, 23, v13
	v_or3_b32 v13, v12, v10, v11
.LBB526_702:
	s_or_b64 exec, exec, s[26:27]
.LBB526_703:
	s_or_b64 exec, exec, s[24:25]
.LBB526_704:
	s_or_b64 exec, exec, s[14:15]
	s_mov_b32 s12, 0xffffff
	v_cmp_lt_u32_e64 s[12:13], s12, v6
	v_mov_b32_e32 v11, 0
	v_mov_b32_e32 v16, 0
	s_and_saveexec_b64 s[14:15], s[12:13]
	s_cbranch_execz .LBB526_710
; %bb.705:
	v_lshrrev_b32_e32 v10, 24, v6
	s_movk_i32 s12, 0x80
	v_cmp_ne_u32_e64 s[12:13], s12, v10
	v_bfrev_b32_e32 v16, 1
	s_and_saveexec_b64 s[24:25], s[12:13]
	s_cbranch_execz .LBB526_709
; %bb.706:
	v_bfe_u32 v12, v6, 24, 7
	s_movk_i32 s12, 0x7f
	v_cmp_ne_u32_e64 s[12:13], s12, v12
	v_mov_b32_e32 v16, 0x7f800001
	s_and_saveexec_b64 s[26:27], s[12:13]
	s_cbranch_execz .LBB526_708
; %bb.707:
	v_and_b32_e32 v18, 7, v10
	v_ffbh_u32_e32 v16, v18
	v_min_u32_e32 v20, 32, v16
	v_subrev_u32_e32 v16, 28, v20
	v_lshlrev_b64 v[16:17], v16, v[10:11]
	v_lshrrev_b32_e32 v19, 3, v12
	v_sub_u32_e32 v17, 29, v20
	v_and_b32_e32 v16, 7, v16
	v_cmp_gt_u32_e64 s[12:13], 8, v12
	v_cndmask_b32_e64 v12, v19, v17, s[12:13]
	v_cndmask_b32_e64 v16, v18, v16, s[12:13]
	v_lshlrev_b32_e32 v10, 24, v10
	v_bfrev_b32_e32 v17, 60
	v_lshlrev_b32_e32 v16, 20, v16
	v_and_b32_e32 v10, 0x80000000, v10
	v_lshl_add_u32 v12, v12, 23, v17
	v_or3_b32 v16, v10, v12, v16
.LBB526_708:
	s_or_b64 exec, exec, s[26:27]
.LBB526_709:
	s_or_b64 exec, exec, s[24:25]
.LBB526_710:
	s_or_b64 exec, exec, s[14:15]
	v_mov_b32_e32 v10, v7
	v_cmp_ne_u16_sdwa s[12:13], v7, v11 src0_sel:BYTE_0 src1_sel:DWORD
	s_and_saveexec_b64 s[14:15], s[12:13]
	s_cbranch_execz .LBB526_716
; %bb.711:
	s_movk_i32 s12, 0x80
	v_cmp_ne_u16_sdwa s[12:13], v7, s12 src0_sel:BYTE_0 src1_sel:DWORD
	v_bfrev_b32_e32 v12, 1
	s_and_saveexec_b64 s[24:25], s[12:13]
	s_cbranch_execz .LBB526_715
; %bb.712:
	s_movk_i32 s12, 0x7f
	v_and_b32_e32 v17, 0x7f, v7
	v_cmp_ne_u32_e64 s[12:13], s12, v17
	v_mov_b32_e32 v12, 0x7f800001
	s_and_saveexec_b64 s[26:27], s[12:13]
	s_cbranch_execz .LBB526_714
; %bb.713:
	v_and_b32_e32 v12, 7, v7
	v_ffbh_u32_e32 v12, v12
	v_min_u32_e32 v12, 32, v12
	v_subrev_u32_e32 v19, 28, v12
	v_cmp_gt_u32_e64 s[12:13], 8, v17
	v_lshrrev_b32_e32 v18, 3, v17
	v_sub_u32_e32 v12, 29, v12
	v_cndmask_b32_e64 v17, 0, v19, s[12:13]
	v_cndmask_b32_e64 v12, v18, v12, s[12:13]
	v_lshlrev_b64 v[18:19], v17, v[10:11]
	v_lshlrev_b32_e32 v11, 20, v18
	v_lshlrev_b32_e32 v17, 24, v10
	v_bfrev_b32_e32 v18, 60
	v_and_b32_e32 v11, 0x700000, v11
	v_and_b32_e32 v17, 0x80000000, v17
	v_lshl_add_u32 v12, v12, 23, v18
	v_or3_b32 v12, v17, v12, v11
.LBB526_714:
	s_or_b64 exec, exec, s[26:27]
.LBB526_715:
	s_or_b64 exec, exec, s[24:25]
	v_mov_b32_e32 v11, v12
.LBB526_716:
	s_or_b64 exec, exec, s[14:15]
	v_lshrrev_b16_e32 v12, 8, v10
	v_cmp_ne_u16_e64 s[12:13], 0, v12
	v_mov_b32_e32 v17, 0
	v_mov_b32_e32 v18, 0
	s_and_saveexec_b64 s[14:15], s[12:13]
	s_cbranch_execz .LBB526_722
; %bb.717:
	s_movk_i32 s12, 0x80
	v_cmp_ne_u16_e64 s[12:13], s12, v12
	v_bfrev_b32_e32 v18, 1
	s_and_saveexec_b64 s[24:25], s[12:13]
	s_cbranch_execz .LBB526_721
; %bb.718:
	s_movk_i32 s12, 0x7f
	v_and_b32_e32 v19, 0x7f, v12
	v_cmp_ne_u32_e64 s[12:13], s12, v19
	v_mov_b32_e32 v18, 0x7f800001
	s_and_saveexec_b64 s[26:27], s[12:13]
	s_cbranch_execz .LBB526_720
; %bb.719:
	v_and_b32_e32 v18, 7, v12
	v_ffbh_u32_e32 v20, v18
	v_min_u32_e32 v23, 32, v20
	v_subrev_u32_e32 v20, 28, v23
	v_lshlrev_b64 v[20:21], v20, v[12:13]
	v_lshrrev_b32_e32 v22, 3, v19
	v_sub_u32_e32 v12, 29, v23
	v_and_b32_e32 v20, 7, v20
	v_cmp_gt_u32_e64 s[12:13], 8, v19
	v_cndmask_b32_e64 v12, v22, v12, s[12:13]
	v_cndmask_b32_e64 v18, v18, v20, s[12:13]
	v_lshlrev_b32_e32 v10, 16, v10
	v_bfrev_b32_e32 v19, 60
	v_lshlrev_b32_e32 v18, 20, v18
	v_and_b32_e32 v10, 0x80000000, v10
	v_lshl_add_u32 v12, v12, 23, v19
	v_or3_b32 v18, v10, v12, v18
.LBB526_720:
	s_or_b64 exec, exec, s[26:27]
.LBB526_721:
	s_or_b64 exec, exec, s[24:25]
.LBB526_722:
	s_or_b64 exec, exec, s[14:15]
	s_movk_i32 s12, 0xff
	v_and_b32_sdwa v12, v7, s12 dst_sel:DWORD dst_unused:UNUSED_PAD src0_sel:WORD_1 src1_sel:DWORD
	v_lshrrev_b32_e32 v10, 16, v7
	v_cmp_ne_u16_e64 s[12:13], 0, v12
	s_and_saveexec_b64 s[14:15], s[12:13]
	s_cbranch_execz .LBB526_728
; %bb.723:
	s_movk_i32 s12, 0x80
	v_cmp_ne_u16_e64 s[12:13], s12, v12
	v_bfrev_b32_e32 v17, 1
	s_and_saveexec_b64 s[24:25], s[12:13]
	s_cbranch_execz .LBB526_727
; %bb.724:
	v_bfe_u32 v12, v7, 16, 7
	s_movk_i32 s12, 0x7f
	v_cmp_ne_u32_e64 s[12:13], s12, v12
	v_mov_b32_e32 v17, 0x7f800001
	s_and_saveexec_b64 s[26:27], s[12:13]
	s_cbranch_execz .LBB526_726
; %bb.725:
	v_and_b32_e32 v17, 7, v10
	v_ffbh_u32_e32 v20, v17
	v_min_u32_e32 v22, 32, v20
	v_subrev_u32_e32 v20, 28, v22
	v_lshlrev_b64 v[20:21], v20, v[10:11]
	v_and_b32_e32 v20, 7, v20
	v_cmp_gt_u32_e64 s[12:13], 8, v12
	v_lshrrev_b32_e32 v19, 3, v12
	v_sub_u32_e32 v10, 29, v22
	v_cndmask_b32_e64 v12, v17, v20, s[12:13]
	v_mov_b32_e32 v17, 24
	v_cndmask_b32_e64 v10, v19, v10, s[12:13]
	v_lshlrev_b32_sdwa v17, v17, v7 dst_sel:DWORD dst_unused:UNUSED_PAD src0_sel:DWORD src1_sel:WORD_1
	v_bfrev_b32_e32 v19, 60
	v_lshlrev_b32_e32 v12, 20, v12
	v_and_b32_e32 v17, 0x80000000, v17
	v_lshl_add_u32 v10, v10, 23, v19
	v_or3_b32 v17, v17, v10, v12
.LBB526_726:
	s_or_b64 exec, exec, s[26:27]
.LBB526_727:
	s_or_b64 exec, exec, s[24:25]
.LBB526_728:
	s_or_b64 exec, exec, s[14:15]
	s_mov_b32 s12, -1
	s_mov_b32 s13, 0xffffff
	v_cmp_lt_u64_e64 s[12:13], s[12:13], v[6:7]
	v_mov_b32_e32 v12, 0
	v_mov_b32_e32 v10, 0
	s_and_saveexec_b64 s[14:15], s[12:13]
	s_cbranch_execz .LBB526_734
; %bb.729:
	v_lshrrev_b32_e32 v6, 24, v7
	s_movk_i32 s12, 0x80
	v_cmp_ne_u32_e64 s[12:13], s12, v6
	v_bfrev_b32_e32 v10, 1
	s_and_saveexec_b64 s[24:25], s[12:13]
	s_cbranch_execz .LBB526_733
; %bb.730:
	v_bfe_u32 v7, v7, 24, 7
	s_movk_i32 s12, 0x7f
	v_cmp_ne_u32_e64 s[12:13], s12, v7
	v_mov_b32_e32 v10, 0x7f800001
	s_and_saveexec_b64 s[26:27], s[12:13]
	s_cbranch_execz .LBB526_732
; %bb.731:
	v_and_b32_e32 v10, 7, v6
	v_ffbh_u32_e32 v20, v10
	v_min_u32_e32 v22, 32, v20
	v_subrev_u32_e32 v20, 28, v22
	v_lshlrev_b64 v[20:21], v20, v[6:7]
	v_lshrrev_b32_e32 v19, 3, v7
	v_sub_u32_e32 v21, 29, v22
	v_and_b32_e32 v20, 7, v20
	v_cmp_gt_u32_e64 s[12:13], 8, v7
	v_cndmask_b32_e64 v7, v19, v21, s[12:13]
	v_cndmask_b32_e64 v10, v10, v20, s[12:13]
	v_lshlrev_b32_e32 v6, 24, v6
	v_bfrev_b32_e32 v19, 60
	v_lshlrev_b32_e32 v10, 20, v10
	v_and_b32_e32 v6, 0x80000000, v6
	v_lshl_add_u32 v7, v7, 23, v19
	v_or3_b32 v10, v6, v7, v10
.LBB526_732:
	s_or_b64 exec, exec, s[26:27]
.LBB526_733:
	s_or_b64 exec, exec, s[24:25]
.LBB526_734:
	s_or_b64 exec, exec, s[14:15]
	v_cvt_pkrtz_f16_f32 v6, v14, v15
	v_cvt_pkrtz_f16_f32 v7, v13, v16
	;; [unrolled: 1-line block ×4, first 2 shown]
	v_mfma_f32_4x4x4f16 a[0:3], v[2:3], v[6:7], a[0:3] cbsz:4 abid:14
	v_cmp_ne_u16_sdwa s[12:13], v8, v12 src0_sel:BYTE_0 src1_sel:DWORD
	v_mfma_f32_4x4x4f16 a[0:3], v[4:5], v[14:15], a[0:3] cbsz:4 abid:14
	s_and_saveexec_b64 s[14:15], s[12:13]
	s_cbranch_execz .LBB526_740
; %bb.735:
	s_movk_i32 s12, 0x80
	v_cmp_ne_u16_sdwa s[12:13], v8, s12 src0_sel:BYTE_0 src1_sel:DWORD
	v_bfrev_b32_e32 v12, 1
	s_and_saveexec_b64 s[24:25], s[12:13]
	s_cbranch_execz .LBB526_739
; %bb.736:
	s_movk_i32 s12, 0x7f
	v_and_b32_e32 v6, 0x7f, v8
	v_cmp_ne_u32_e64 s[12:13], s12, v6
	v_mov_b32_e32 v12, 0x7f800001
	s_and_saveexec_b64 s[26:27], s[12:13]
	s_cbranch_execz .LBB526_738
; %bb.737:
	v_and_b32_e32 v7, 7, v8
	v_ffbh_u32_e32 v7, v7
	v_min_u32_e32 v7, 32, v7
	v_subrev_u32_e32 v11, 28, v7
	v_cmp_gt_u32_e64 s[12:13], 8, v6
	v_lshrrev_b32_e32 v10, 3, v6
	v_sub_u32_e32 v7, 29, v7
	v_cndmask_b32_e64 v6, 0, v11, s[12:13]
	v_cndmask_b32_e64 v10, v10, v7, s[12:13]
	v_lshlrev_b64 v[6:7], v6, v[8:9]
	v_lshlrev_b32_e32 v6, 20, v6
	v_lshlrev_b32_e32 v7, 24, v8
	v_bfrev_b32_e32 v11, 60
	v_and_b32_e32 v6, 0x700000, v6
	v_and_b32_e32 v7, 0x80000000, v7
	v_lshl_add_u32 v10, v10, 23, v11
	v_or3_b32 v12, v7, v10, v6
.LBB526_738:
	s_or_b64 exec, exec, s[26:27]
.LBB526_739:
	s_or_b64 exec, exec, s[24:25]
.LBB526_740:
	s_or_b64 exec, exec, s[14:15]
	v_lshrrev_b16_e32 v6, 8, v8
	v_cmp_ne_u16_e64 s[12:13], 0, v6
	v_mov_b32_e32 v11, 0
	v_mov_b32_e32 v13, 0
	s_and_saveexec_b64 s[14:15], s[12:13]
	s_cbranch_execz .LBB526_746
; %bb.741:
	s_movk_i32 s12, 0x80
	v_cmp_ne_u16_e64 s[12:13], s12, v6
	v_bfrev_b32_e32 v13, 1
	s_and_saveexec_b64 s[24:25], s[12:13]
	s_cbranch_execz .LBB526_745
; %bb.742:
	s_movk_i32 s12, 0x7f
	v_and_b32_e32 v7, 0x7f, v6
	v_cmp_ne_u32_e64 s[12:13], s12, v7
	v_mov_b32_e32 v13, 0x7f800001
	s_and_saveexec_b64 s[26:27], s[12:13]
	s_cbranch_execz .LBB526_744
; %bb.743:
	v_and_b32_e32 v10, 7, v6
	v_ffbh_u32_e32 v14, v10
	v_min_u32_e32 v16, 32, v14
	v_subrev_u32_e32 v14, 28, v16
	v_lshlrev_b64 v[14:15], v14, v[6:7]
	v_lshrrev_b32_e32 v13, 3, v7
	v_sub_u32_e32 v6, 29, v16
	v_and_b32_e32 v14, 7, v14
	v_cmp_gt_u32_e64 s[12:13], 8, v7
	v_cndmask_b32_e64 v6, v13, v6, s[12:13]
	v_cndmask_b32_e64 v7, v10, v14, s[12:13]
	v_lshlrev_b32_e32 v10, 16, v8
	v_bfrev_b32_e32 v13, 60
	v_lshlrev_b32_e32 v7, 20, v7
	v_and_b32_e32 v10, 0x80000000, v10
	v_lshl_add_u32 v6, v6, 23, v13
	v_or3_b32 v13, v10, v6, v7
.LBB526_744:
	s_or_b64 exec, exec, s[26:27]
.LBB526_745:
	s_or_b64 exec, exec, s[24:25]
.LBB526_746:
	s_or_b64 exec, exec, s[14:15]
	s_movk_i32 s12, 0xff
	v_and_b32_sdwa v7, v8, s12 dst_sel:DWORD dst_unused:UNUSED_PAD src0_sel:WORD_1 src1_sel:DWORD
	v_lshrrev_b32_e32 v6, 16, v8
	v_cmp_ne_u16_e64 s[12:13], 0, v7
	s_and_saveexec_b64 s[14:15], s[12:13]
	s_cbranch_execz .LBB526_752
; %bb.747:
	s_movk_i32 s12, 0x80
	v_cmp_ne_u16_e64 s[12:13], s12, v7
	v_bfrev_b32_e32 v11, 1
	s_and_saveexec_b64 s[24:25], s[12:13]
	s_cbranch_execz .LBB526_751
; %bb.748:
	v_bfe_u32 v7, v8, 16, 7
	s_movk_i32 s12, 0x7f
	v_cmp_ne_u32_e64 s[12:13], s12, v7
	v_mov_b32_e32 v11, 0x7f800001
	s_and_saveexec_b64 s[26:27], s[12:13]
	s_cbranch_execz .LBB526_750
; %bb.749:
	v_and_b32_e32 v14, 7, v6
	v_ffbh_u32_e32 v10, v14
	v_min_u32_e32 v16, 32, v10
	v_subrev_u32_e32 v10, 28, v16
	v_lshlrev_b64 v[10:11], v10, v[6:7]
	v_and_b32_e32 v10, 7, v10
	v_cmp_gt_u32_e64 s[12:13], 8, v7
	v_lshrrev_b32_e32 v15, 3, v7
	v_sub_u32_e32 v6, 29, v16
	v_cndmask_b32_e64 v7, v14, v10, s[12:13]
	v_mov_b32_e32 v10, 24
	v_cndmask_b32_e64 v6, v15, v6, s[12:13]
	v_lshlrev_b32_sdwa v10, v10, v8 dst_sel:DWORD dst_unused:UNUSED_PAD src0_sel:DWORD src1_sel:WORD_1
	v_bfrev_b32_e32 v11, 60
	v_lshlrev_b32_e32 v7, 20, v7
	v_and_b32_e32 v10, 0x80000000, v10
	v_lshl_add_u32 v6, v6, 23, v11
	v_or3_b32 v11, v10, v6, v7
.LBB526_750:
	s_or_b64 exec, exec, s[26:27]
.LBB526_751:
	s_or_b64 exec, exec, s[24:25]
.LBB526_752:
	s_or_b64 exec, exec, s[14:15]
	s_mov_b32 s12, 0xffffff
	v_cmp_lt_u32_e64 s[12:13], s12, v8
	v_mov_b32_e32 v7, 0
	v_mov_b32_e32 v14, 0
	s_and_saveexec_b64 s[14:15], s[12:13]
	s_cbranch_execz .LBB526_758
; %bb.753:
	v_lshrrev_b32_e32 v6, 24, v8
	s_movk_i32 s12, 0x80
	v_cmp_ne_u32_e64 s[12:13], s12, v6
	v_bfrev_b32_e32 v14, 1
	s_and_saveexec_b64 s[24:25], s[12:13]
	s_cbranch_execz .LBB526_757
; %bb.754:
	v_bfe_u32 v10, v8, 24, 7
	s_movk_i32 s12, 0x7f
	v_cmp_ne_u32_e64 s[12:13], s12, v10
	v_mov_b32_e32 v14, 0x7f800001
	s_and_saveexec_b64 s[26:27], s[12:13]
	s_cbranch_execz .LBB526_756
; %bb.755:
	v_and_b32_e32 v16, 7, v6
	v_ffbh_u32_e32 v14, v16
	v_min_u32_e32 v18, 32, v14
	v_subrev_u32_e32 v14, 28, v18
	v_lshlrev_b64 v[14:15], v14, v[6:7]
	v_lshrrev_b32_e32 v17, 3, v10
	v_sub_u32_e32 v15, 29, v18
	v_and_b32_e32 v14, 7, v14
	v_cmp_gt_u32_e64 s[12:13], 8, v10
	v_cndmask_b32_e64 v10, v17, v15, s[12:13]
	v_cndmask_b32_e64 v14, v16, v14, s[12:13]
	v_lshlrev_b32_e32 v6, 24, v6
	v_bfrev_b32_e32 v15, 60
	v_lshlrev_b32_e32 v14, 20, v14
	v_and_b32_e32 v6, 0x80000000, v6
	v_lshl_add_u32 v10, v10, 23, v15
	v_or3_b32 v14, v6, v10, v14
.LBB526_756:
	s_or_b64 exec, exec, s[26:27]
.LBB526_757:
	s_or_b64 exec, exec, s[24:25]
.LBB526_758:
	s_or_b64 exec, exec, s[14:15]
	v_mov_b32_e32 v6, v9
	v_cmp_ne_u16_sdwa s[12:13], v9, v7 src0_sel:BYTE_0 src1_sel:DWORD
	s_and_saveexec_b64 s[14:15], s[12:13]
	s_cbranch_execz .LBB526_764
; %bb.759:
	s_movk_i32 s12, 0x80
	v_cmp_ne_u16_sdwa s[12:13], v9, s12 src0_sel:BYTE_0 src1_sel:DWORD
	v_bfrev_b32_e32 v10, 1
	s_and_saveexec_b64 s[24:25], s[12:13]
	s_cbranch_execz .LBB526_763
; %bb.760:
	s_movk_i32 s12, 0x7f
	v_and_b32_e32 v15, 0x7f, v9
	v_cmp_ne_u32_e64 s[12:13], s12, v15
	v_mov_b32_e32 v10, 0x7f800001
	s_and_saveexec_b64 s[26:27], s[12:13]
	s_cbranch_execz .LBB526_762
; %bb.761:
	v_and_b32_e32 v10, 7, v9
	v_ffbh_u32_e32 v10, v10
	v_min_u32_e32 v10, 32, v10
	v_subrev_u32_e32 v17, 28, v10
	v_cmp_gt_u32_e64 s[12:13], 8, v15
	v_lshrrev_b32_e32 v16, 3, v15
	v_sub_u32_e32 v10, 29, v10
	v_cndmask_b32_e64 v15, 0, v17, s[12:13]
	v_cndmask_b32_e64 v10, v16, v10, s[12:13]
	v_lshlrev_b64 v[16:17], v15, v[6:7]
	v_lshlrev_b32_e32 v7, 20, v16
	v_lshlrev_b32_e32 v15, 24, v6
	v_bfrev_b32_e32 v16, 60
	v_and_b32_e32 v7, 0x700000, v7
	v_and_b32_e32 v15, 0x80000000, v15
	v_lshl_add_u32 v10, v10, 23, v16
	v_or3_b32 v10, v15, v10, v7
.LBB526_762:
	s_or_b64 exec, exec, s[26:27]
.LBB526_763:
	s_or_b64 exec, exec, s[24:25]
	v_mov_b32_e32 v7, v10
.LBB526_764:
	s_or_b64 exec, exec, s[14:15]
	v_lshrrev_b16_e32 v10, 8, v6
	v_cmp_ne_u16_e64 s[12:13], 0, v10
	v_mov_b32_e32 v15, 0
	v_mov_b32_e32 v16, 0
	s_and_saveexec_b64 s[14:15], s[12:13]
	s_cbranch_execz .LBB526_770
; %bb.765:
	s_movk_i32 s12, 0x80
	v_cmp_ne_u16_e64 s[12:13], s12, v10
	v_bfrev_b32_e32 v16, 1
	s_and_saveexec_b64 s[24:25], s[12:13]
	s_cbranch_execz .LBB526_769
; %bb.766:
	s_movk_i32 s12, 0x7f
	v_and_b32_e32 v17, 0x7f, v10
	v_cmp_ne_u32_e64 s[12:13], s12, v17
	v_mov_b32_e32 v16, 0x7f800001
	s_and_saveexec_b64 s[26:27], s[12:13]
	s_cbranch_execz .LBB526_768
; %bb.767:
	v_and_b32_e32 v16, 7, v10
	v_ffbh_u32_e32 v18, v16
	v_min_u32_e32 v21, 32, v18
	v_subrev_u32_e32 v18, 28, v21
	v_lshlrev_b64 v[18:19], v18, v[10:11]
	v_lshrrev_b32_e32 v20, 3, v17
	v_sub_u32_e32 v10, 29, v21
	v_and_b32_e32 v18, 7, v18
	v_cmp_gt_u32_e64 s[12:13], 8, v17
	v_cndmask_b32_e64 v10, v20, v10, s[12:13]
	v_cndmask_b32_e64 v16, v16, v18, s[12:13]
	v_lshlrev_b32_e32 v6, 16, v6
	v_bfrev_b32_e32 v17, 60
	v_lshlrev_b32_e32 v16, 20, v16
	v_and_b32_e32 v6, 0x80000000, v6
	v_lshl_add_u32 v10, v10, 23, v17
	v_or3_b32 v16, v6, v10, v16
.LBB526_768:
	s_or_b64 exec, exec, s[26:27]
.LBB526_769:
	s_or_b64 exec, exec, s[24:25]
.LBB526_770:
	s_or_b64 exec, exec, s[14:15]
	s_movk_i32 s12, 0xff
	v_and_b32_sdwa v10, v9, s12 dst_sel:DWORD dst_unused:UNUSED_PAD src0_sel:WORD_1 src1_sel:DWORD
	v_lshrrev_b32_e32 v6, 16, v9
	v_cmp_ne_u16_e64 s[12:13], 0, v10
	s_and_saveexec_b64 s[14:15], s[12:13]
	s_cbranch_execz .LBB526_776
; %bb.771:
	s_movk_i32 s12, 0x80
	v_cmp_ne_u16_e64 s[12:13], s12, v10
	v_bfrev_b32_e32 v15, 1
	s_and_saveexec_b64 s[24:25], s[12:13]
	s_cbranch_execz .LBB526_775
; %bb.772:
	v_bfe_u32 v10, v9, 16, 7
	s_movk_i32 s12, 0x7f
	v_cmp_ne_u32_e64 s[12:13], s12, v10
	v_mov_b32_e32 v15, 0x7f800001
	s_and_saveexec_b64 s[26:27], s[12:13]
	s_cbranch_execz .LBB526_774
; %bb.773:
	v_and_b32_e32 v15, 7, v6
	v_ffbh_u32_e32 v18, v15
	v_min_u32_e32 v20, 32, v18
	v_subrev_u32_e32 v18, 28, v20
	v_lshlrev_b64 v[18:19], v18, v[6:7]
	v_and_b32_e32 v18, 7, v18
	v_cmp_gt_u32_e64 s[12:13], 8, v10
	v_lshrrev_b32_e32 v17, 3, v10
	v_sub_u32_e32 v6, 29, v20
	v_cndmask_b32_e64 v10, v15, v18, s[12:13]
	v_mov_b32_e32 v15, 24
	v_cndmask_b32_e64 v6, v17, v6, s[12:13]
	v_lshlrev_b32_sdwa v15, v15, v9 dst_sel:DWORD dst_unused:UNUSED_PAD src0_sel:DWORD src1_sel:WORD_1
	v_bfrev_b32_e32 v17, 60
	v_lshlrev_b32_e32 v10, 20, v10
	v_and_b32_e32 v15, 0x80000000, v15
	v_lshl_add_u32 v6, v6, 23, v17
	v_or3_b32 v15, v15, v6, v10
.LBB526_774:
	s_or_b64 exec, exec, s[26:27]
.LBB526_775:
	s_or_b64 exec, exec, s[24:25]
.LBB526_776:
	s_or_b64 exec, exec, s[14:15]
	s_mov_b32 s12, -1
	s_mov_b32 s13, 0xffffff
	v_cmp_lt_u64_e64 s[12:13], s[12:13], v[8:9]
	v_mov_b32_e32 v8, 0
	s_and_saveexec_b64 s[14:15], s[12:13]
	s_cbranch_execz .LBB526_782
; %bb.777:
	v_lshrrev_b32_e32 v6, 24, v9
	s_movk_i32 s12, 0x80
	v_cmp_ne_u32_e64 s[12:13], s12, v6
	v_bfrev_b32_e32 v8, 1
	s_and_saveexec_b64 s[24:25], s[12:13]
	s_cbranch_execz .LBB526_781
; %bb.778:
	v_bfe_u32 v9, v9, 24, 7
	s_movk_i32 s12, 0x7f
	v_cmp_ne_u32_e64 s[12:13], s12, v9
	v_mov_b32_e32 v8, 0x7f800001
	s_and_saveexec_b64 s[26:27], s[12:13]
	s_cbranch_execz .LBB526_780
; %bb.779:
	v_and_b32_e32 v8, 7, v6
	v_ffbh_u32_e32 v17, v8
	v_min_u32_e32 v17, 32, v17
	v_subrev_u32_e32 v18, 28, v17
	v_lshlrev_b64 v[18:19], v18, v[6:7]
	v_lshrrev_b32_e32 v10, 3, v9
	v_sub_u32_e32 v17, 29, v17
	v_and_b32_e32 v18, 7, v18
	v_cmp_gt_u32_e64 s[12:13], 8, v9
	v_cndmask_b32_e64 v9, v10, v17, s[12:13]
	v_cndmask_b32_e64 v8, v8, v18, s[12:13]
	v_lshlrev_b32_e32 v6, 24, v6
	v_bfrev_b32_e32 v10, 60
	v_lshlrev_b32_e32 v8, 20, v8
	v_and_b32_e32 v6, 0x80000000, v6
	v_lshl_add_u32 v9, v9, 23, v10
	v_or3_b32 v8, v6, v9, v8
.LBB526_780:
	s_or_b64 exec, exec, s[26:27]
.LBB526_781:
	s_or_b64 exec, exec, s[24:25]
.LBB526_782:
	s_or_b64 exec, exec, s[14:15]
	s_load_dword s4, s[4:5], 0x1c
	v_cvt_pkrtz_f16_f32 v10, v12, v13
	v_cvt_pkrtz_f16_f32 v11, v11, v14
	s_load_dword s5, s[16:17], 0x0
	v_cvt_pkrtz_f16_f32 v6, v7, v16
	v_mfma_f32_4x4x4f16 a[0:3], v[2:3], v[10:11], a[0:3] cbsz:4 abid:15
	v_cvt_pkrtz_f16_f32 v7, v15, v8
	s_waitcnt lgkmcnt(0)
	v_mov_b32_e32 v2, s4
	v_mul_f32_e32 v2, s5, v2
	v_mfma_f32_4x4x4f16 a[0:3], v[4:5], v[6:7], a[0:3] cbsz:4 abid:15
	s_nop 4
	v_accvgpr_read_b32 v5, a1
	v_accvgpr_read_b32 v4, a0
	v_pk_mul_f32 v[4:5], v[4:5], v[2:3] op_sel_hi:[1,0]
	v_accvgpr_read_b32 v7, a3
	v_accvgpr_read_b32 v6, a2
	v_pk_mul_f32 v[2:3], v[6:7], v[2:3] op_sel_hi:[1,0]
	v_cndmask_b32_e64 v6, 0, 1.0, vcc
	v_cmp_eq_u32_e32 vcc, 1, v43
	s_nop 0
	v_mfma_f32_4x4x1f32 a[0:3], v4, v6, 0
	v_cndmask_b32_e64 v4, 0, 1.0, vcc
	v_cmp_eq_u32_e32 vcc, 2, v43
	v_mov_b32_e32 v6, 0xff7fffff
	v_mfma_f32_4x4x1f32 a[0:3], v5, v4, a[0:3]
	v_cndmask_b32_e64 v4, 0, 1.0, vcc
	v_cmp_eq_u32_e32 vcc, 3, v43
	s_nop 0
	v_mfma_f32_4x4x1f32 a[0:3], v2, v4, a[0:3]
	v_cndmask_b32_e64 v2, 0, 1.0, vcc
	s_nop 1
	v_mfma_f32_4x4x1f32 a[0:3], v3, v2, a[0:3]
	v_and_b32_e32 v2, -4, v44
	v_cmp_gt_i32_e32 vcc, s9, v2
	v_lshlrev_b32_e32 v3, 2, v0
	v_and_or_b32 v3, v3, 48, v43
	v_lshlrev_b32_e32 v10, 2, v3
	v_accvgpr_read_b32 v4, a0
	v_max_f32_e32 v5, v4, v4
	v_max_f32_e32 v5, 0xff7fffff, v5
	v_accvgpr_read_b32 v7, a1
	v_cndmask_b32_e32 v5, v6, v5, vcc
	v_or_b32_e32 v6, 1, v2
	v_max_f32_e32 v8, v7, v7
	v_max_f32_e32 v8, v5, v8
	v_cmp_gt_i32_e64 s[4:5], s9, v6
	v_cndmask_b32_e64 v5, v5, v8, s[4:5]
	v_accvgpr_read_b32 v8, a2
	v_or_b32_e32 v2, 2, v2
	v_max_f32_e32 v6, v8, v8
	v_max_f32_e32 v6, v5, v6
	v_cmp_gt_i32_e64 s[12:13], s9, v2
	v_accvgpr_read_b32 v9, a3
	v_cndmask_b32_e64 v2, v5, v6, s[12:13]
	v_or_b32_e32 v5, 3, v44
	v_max_f32_e32 v6, v9, v9
	v_max_f32_e32 v6, v2, v6
	v_cmp_gt_i32_e64 s[14:15], s9, v5
	v_cndmask_b32_e64 v2, v2, v6, s[14:15]
	;;#ASMSTART
	v_nop
 v_nop
 v_max_f32_dpp v2, v2, v2 row_ror:4
	;;#ASMEND
	;;#ASMSTART
	v_nop
 v_nop
 v_max_f32_dpp v2, v2, v2 row_ror:8
	;;#ASMEND
	ds_bpermute_b32 v2, v10, v2
	s_waitcnt lgkmcnt(0)
	;;#ASMSTART
	v_nop
 v_nop
 v_max_f32_dpp v2, v2, v2 row_ror:4
	;;#ASMEND
	;;#ASMSTART
	v_nop
 v_nop
 v_max_f32_dpp v6, v2, v2 row_ror:8
	;;#ASMEND
	v_sub_f32_e32 v2, v4, v6
	v_mul_f32_e32 v2, 0x3fb8aa3b, v2
	v_sub_f32_e32 v3, v7, v6
	v_exp_f32_e32 v2, v2
	v_mul_f32_e32 v3, 0x3fb8aa3b, v3
	v_sub_f32_e32 v5, v8, v6
	v_exp_f32_e32 v3, v3
	;; [unrolled: 3-line block ×3, first 2 shown]
	v_mul_f32_e32 v7, 0x3fb8aa3b, v7
	v_exp_f32_e32 v7, v7
	v_cndmask_b32_e32 v2, 0, v2, vcc
	v_add_f32_e32 v4, 0, v2
	v_cndmask_b32_e64 v3, 0, v3, s[4:5]
	v_add_f32_e32 v8, v4, v3
	v_cndmask_b32_e64 v4, 0, v5, s[12:13]
	;; [unrolled: 2-line block ×3, first 2 shown]
	v_add_f32_e32 v7, v8, v5
	;;#ASMSTART
	v_nop
 v_nop
 v_add_f32_dpp v7, v7, v7 row_ror:4
	;;#ASMEND
	;;#ASMSTART
	v_nop
 v_nop
 v_add_f32_dpp v7, v7, v7 row_ror:8
	;;#ASMEND
	ds_bpermute_b32 v7, v10, v7
	s_waitcnt lgkmcnt(0)
	;;#ASMSTART
	v_nop
 v_nop
 v_add_f32_dpp v7, v7, v7 row_ror:4
	;;#ASMEND
	v_cmp_gt_u32_e32 vcc, 4, v1
	;;#ASMSTART
	v_nop
 v_nop
 v_add_f32_dpp v7, v7, v7 row_ror:8
	;;#ASMEND
	s_and_saveexec_b64 s[4:5], vcc
	s_cbranch_execz .LBB526_784
; %bb.783:
	v_mul_u32_u24_e32 v8, 20, v42
	v_lshl_add_u32 v8, v43, 2, v8
	v_add_u32_e32 v8, 0x1400, v8
	ds_write2_b32 v8, v6, v7 offset1:20
.LBB526_784:
	s_or_b64 exec, exec, s[4:5]
.LBB526_785:
	s_or_b64 exec, exec, s[36:37]
	s_waitcnt lgkmcnt(0)
	s_barrier
	s_load_dword s4, s[34:35], 0x8
	v_lshlrev_b32_e32 v7, 2, v43
	v_add_u32_e32 v9, 0x1400, v7
	ds_read2_b32 v[10:11], v9 offset1:5
	ds_read2_b32 v[12:13], v9 offset0:10 offset1:15
	s_mul_i32 s5, s11, s8
	s_waitcnt lgkmcnt(0)
	s_mul_i32 s4, s5, s4
	s_mov_b32 s5, 0xff7fffff
	v_max3_f32 v7, v10, s5, v11
	v_max3_f32 v8, v7, v12, v13
	v_sub_f32_e32 v7, v10, v8
	v_sub_f32_e32 v10, v11, v8
	v_mul_f32_e32 v10, 0x3fb8aa3b, v10
	ds_read2_b32 v[14:15], v9 offset0:20 offset1:25
	v_mul_f32_e32 v7, 0x3fb8aa3b, v7
	v_exp_f32_e32 v17, v10
	ds_read2_b32 v[10:11], v9 offset0:30 offset1:35
	v_sub_f32_e32 v9, v12, v8
	v_exp_f32_e32 v16, v7
	v_mul_f32_e32 v9, 0x3fb8aa3b, v9
	v_exp_f32_e32 v12, v9
	v_sub_f32_e32 v9, v13, v8
	v_mul_f32_e32 v9, 0x3fb8aa3b, v9
	v_exp_f32_e32 v13, v9
	s_waitcnt lgkmcnt(1)
	v_fma_f32 v9, v16, v14, 0
	v_fmac_f32_e32 v9, v17, v15
	s_waitcnt lgkmcnt(0)
	v_fmac_f32_e32 v9, v12, v10
	v_mov_b32_e32 v7, 0
	v_fmac_f32_e32 v9, v13, v11
	s_mov_b32 s5, 0
	v_cmp_eq_u32_e32 vcc, 0, v43
	s_and_saveexec_b64 s[8:9], vcc
	s_cbranch_execz .LBB526_787
; %bb.786:
	s_lshl_b64 s[12:13], s[4:5], 2
	s_add_u32 s16, s20, s12
	s_mov_b32 s29, s5
	s_addc_u32 s17, s21, s13
	s_lshl_b64 s[14:15], s[28:29], 2
	s_add_u32 s16, s16, s14
	s_addc_u32 s17, s17, s15
	s_add_u32 s12, s22, s12
	s_addc_u32 s13, s23, s13
	;; [unrolled: 2-line block ×3, first 2 shown]
	s_mul_i32 s12, s11, s10
	s_mov_b32 s13, s5
	s_lshl_b64 s[12:13], s[12:13], 2
	s_add_u32 s14, s16, s12
	s_addc_u32 s15, s17, s13
	s_add_u32 s12, s20, s12
	s_addc_u32 s13, s21, s13
	global_store_dword v7, v8, s[12:13]
	global_store_dword v7, v9, s[14:15]
.LBB526_787:
	s_or_b64 exec, exec, s[8:9]
	v_lshlrev_b32_e32 v7, 3, v42
	s_and_saveexec_b64 s[8:9], s[6:7]
	s_xor_b64 s[6:7], exec, s[8:9]
	s_cbranch_execz .LBB526_789
; %bb.788:
	s_mov_b32 s8, 0
	s_mov_b32 s9, s8
	v_mad_u32_u24 v4, v1, 40, v7
	v_pk_mov_b32 v[2:3], s[8:9], s[8:9] op_sel:[0,1]
	ds_write2st64_b64 v4, v[2:3], v[2:3] offset1:5
                                        ; implicit-def: $vgpr7
                                        ; implicit-def: $vgpr6
                                        ; implicit-def: $vgpr8
                                        ; implicit-def: $vgpr9
                                        ; implicit-def: $vgpr4
                                        ; implicit-def: $vgpr2
.LBB526_789:
	s_andn2_saveexec_b64 s[6:7], s[6:7]
	s_cbranch_execz .LBB526_1176
; %bb.790:
	v_add_f32_e32 v9, 0x358637bd, v9
	v_div_scale_f32 v10, s[8:9], v9, v9, 1.0
	v_rcp_f32_e32 v11, v10
	v_sub_f32_e32 v6, v6, v8
	v_mul_f32_e32 v6, 0x3fb8aa3b, v6
	v_exp_f32_e32 v6, v6
	v_fma_f32 v8, -v10, v11, 1.0
	v_fmac_f32_e32 v11, v8, v11
	v_div_scale_f32 v8, vcc, 1.0, v9, 1.0
	v_mul_f32_e32 v12, v8, v11
	v_fma_f32 v13, -v10, v12, v8
	v_fmac_f32_e32 v12, v13, v11
	v_fma_f32 v8, -v10, v12, v8
	v_div_fmas_f32 v8, v8, v11, v12
	v_div_fixup_f32 v8, v8, v9, 1.0
	v_mul_f32_e32 v6, v6, v8
	v_pk_mul_f32 v[4:5], v[4:5], v[6:7] op_sel_hi:[1,0]
	v_pk_mul_f32 v[2:3], v[2:3], v[6:7] op_sel_hi:[1,0]
	s_load_dword s8, s[18:19], 0x0
	v_cvt_f16_f32_e32 v2, v2
	v_cvt_f16_f32_e32 v3, v3
	;; [unrolled: 1-line block ×4, first 2 shown]
	v_mov_b32_e32 v11, 0
	v_add_u32_e32 v5, 64, v11
	v_pack_b32_f16 v2, v2, v3
	v_pack_b32_f16 v3, v4, v6
	s_waitcnt lgkmcnt(0)
	s_mov_b32 s9, s8
	s_mov_b32 s12, s8
	;; [unrolled: 1-line block ×4, first 2 shown]
	s_mov_b64 s[14:15], -1
	s_movk_i32 s5, 0x80
	s_movk_i32 s23, 0x7f
	s_mov_b32 s24, 0xffffff
	v_mov_b32_e32 v9, 0
	v_bfrev_b32_e32 v10, 60
	s_branch .LBB526_794
.LBB526_791:                            ;   in Loop: Header=BB526_794 Depth=1
	s_or_b64 exec, exec, s[20:21]
.LBB526_792:                            ;   in Loop: Header=BB526_794 Depth=1
	s_or_b64 exec, exec, s[18:19]
.LBB526_793:                            ;   in Loop: Header=BB526_794 Depth=1
	s_or_b64 exec, exec, s[16:17]
	v_cvt_pkrtz_f16_f32 v12, v13, v12
	v_cvt_pkrtz_f16_f32 v13, v11, v15
	;; [unrolled: 1-line block ×4, first 2 shown]
	v_mfma_f32_4x4x4f16 a[0:3], v[2:3], v[12:13], a[0:3] cbsz:4 abid:14
	s_mul_i32 s16, s22, 0xa00
	v_mfma_f32_4x4x4f16 a[0:3], v[2:3], v[14:15], a[0:3] cbsz:4 abid:15
	s_mov_b32 s22, 1
	s_nop 3
	v_accvgpr_read_b32 v15, a1
	v_accvgpr_read_b32 v14, a0
	v_pk_mul_f32 v[14:15], v[14:15], s[8:9]
	v_accvgpr_read_b32 v13, a3
	v_accvgpr_read_b32 v12, a2
	v_cvt_f16_f32_e32 v4, v14
	v_cvt_f16_f32_e32 v6, v15
	v_pk_mul_f32 v[12:13], v[12:13], s[12:13]
	v_cvt_f16_f32_e32 v8, v12
	v_cvt_f16_f32_e32 v11, v13
	v_pack_b32_f16 v12, v4, v6
	v_mul_u32_u24_e32 v4, 40, v1
	v_add3_u32 v4, s16, v4, v7
	s_xor_b64 s[16:17], s[14:15], -1
	v_pack_b32_f16 v13, v8, v11
	s_mov_b64 s[14:15], 0
	s_andn2_b64 vcc, exec, s[16:17]
	v_mov_b32_e32 v11, v5
	ds_write_b64 v4, v[12:13]
	s_cbranch_vccz .LBB526_1176
.LBB526_794:                            ; =>This Inner Loop Header: Depth=1
	buffer_load_dword v6, v11, s[0:3], 0 offen
	buffer_load_dword v4, v11, s[0:3], 0 offen offset:4
	v_mov_b32_e32 v13, 0
	s_waitcnt vmcnt(1)
	v_cmp_ne_u16_sdwa s[18:19], v6, v9 src0_sel:BYTE_0 src1_sel:DWORD
	s_and_saveexec_b64 s[16:17], s[18:19]
	s_cbranch_execz .LBB526_800
; %bb.795:                              ;   in Loop: Header=BB526_794 Depth=1
	v_cmp_ne_u16_sdwa s[20:21], v6, s5 src0_sel:BYTE_0 src1_sel:DWORD
	v_bfrev_b32_e32 v13, 1
	s_and_saveexec_b64 s[18:19], s[20:21]
	s_cbranch_execz .LBB526_799
; %bb.796:                              ;   in Loop: Header=BB526_794 Depth=1
	v_and_b32_e32 v8, 0x7f, v6
	v_cmp_ne_u32_e32 vcc, s23, v8
	v_mov_b32_e32 v13, 0x7f800001
	s_and_saveexec_b64 s[20:21], vcc
	s_cbranch_execz .LBB526_798
; %bb.797:                              ;   in Loop: Header=BB526_794 Depth=1
	v_and_b32_e32 v14, 7, v6
	v_ffbh_u32_e32 v12, v14
	v_min_u32_e32 v16, 32, v12
	v_subrev_u32_e32 v12, 28, v16
	v_lshlrev_b64 v[12:13], v12, v[6:7]
	v_lshrrev_b32_e32 v15, 3, v8
	v_sub_u32_e32 v13, 29, v16
	v_and_b32_e32 v12, 7, v12
	v_cmp_gt_u32_e32 vcc, 8, v8
	v_cndmask_b32_e32 v8, v15, v13, vcc
	v_cndmask_b32_e32 v12, v14, v12, vcc
	v_lshlrev_b32_e32 v13, 24, v6
	v_lshlrev_b32_e32 v12, 20, v12
	v_and_b32_e32 v13, 0x80000000, v13
	v_lshl_add_u32 v8, v8, 23, v10
	v_or3_b32 v13, v13, v8, v12
.LBB526_798:                            ;   in Loop: Header=BB526_794 Depth=1
	s_or_b64 exec, exec, s[20:21]
.LBB526_799:                            ;   in Loop: Header=BB526_794 Depth=1
	s_or_b64 exec, exec, s[18:19]
.LBB526_800:                            ;   in Loop: Header=BB526_794 Depth=1
	s_or_b64 exec, exec, s[16:17]
	v_lshrrev_b16_e32 v8, 8, v6
	v_cmp_ne_u16_e32 vcc, 0, v8
	v_mov_b32_e32 v14, 0
	v_mov_b32_e32 v15, 0
	s_and_saveexec_b64 s[16:17], vcc
	s_cbranch_execz .LBB526_806
; %bb.801:                              ;   in Loop: Header=BB526_794 Depth=1
	v_cmp_ne_u16_e32 vcc, s5, v8
	v_bfrev_b32_e32 v15, 1
	s_and_saveexec_b64 s[18:19], vcc
	s_cbranch_execz .LBB526_805
; %bb.802:                              ;   in Loop: Header=BB526_794 Depth=1
	v_and_b32_e32 v12, 0x7f, v8
	v_cmp_ne_u32_e32 vcc, s23, v12
	v_mov_b32_e32 v15, 0x7f800001
	s_and_saveexec_b64 s[20:21], vcc
	s_cbranch_execz .LBB526_804
; %bb.803:                              ;   in Loop: Header=BB526_794 Depth=1
	v_and_b32_e32 v15, 7, v8
	v_ffbh_u32_e32 v16, v15
	v_min_u32_e32 v19, 32, v16
	v_subrev_u32_e32 v16, 28, v19
	v_lshlrev_b64 v[16:17], v16, v[8:9]
	v_lshrrev_b32_e32 v18, 3, v12
	v_sub_u32_e32 v8, 29, v19
	v_and_b32_e32 v16, 7, v16
	v_cmp_gt_u32_e32 vcc, 8, v12
	v_cndmask_b32_e32 v8, v18, v8, vcc
	v_cndmask_b32_e32 v12, v15, v16, vcc
	v_lshlrev_b32_e32 v15, 16, v6
	v_lshlrev_b32_e32 v12, 20, v12
	v_and_b32_e32 v15, 0x80000000, v15
	v_lshl_add_u32 v8, v8, 23, v10
	v_or3_b32 v15, v15, v8, v12
.LBB526_804:                            ;   in Loop: Header=BB526_794 Depth=1
	s_or_b64 exec, exec, s[20:21]
.LBB526_805:                            ;   in Loop: Header=BB526_794 Depth=1
	s_or_b64 exec, exec, s[18:19]
.LBB526_806:                            ;   in Loop: Header=BB526_794 Depth=1
	s_or_b64 exec, exec, s[16:17]
	v_lshrrev_b32_e32 v8, 16, v6
	v_cmp_ne_u16_sdwa s[18:19], v8, v9 src0_sel:BYTE_0 src1_sel:DWORD
	s_and_saveexec_b64 s[16:17], s[18:19]
	s_cbranch_execz .LBB526_812
; %bb.807:                              ;   in Loop: Header=BB526_794 Depth=1
	v_cmp_ne_u16_sdwa s[20:21], v8, s5 src0_sel:BYTE_0 src1_sel:DWORD
	v_bfrev_b32_e32 v14, 1
	s_and_saveexec_b64 s[18:19], s[20:21]
	s_cbranch_execz .LBB526_811
; %bb.808:                              ;   in Loop: Header=BB526_794 Depth=1
	v_bfe_u32 v12, v6, 16, 7
	v_cmp_ne_u32_e32 vcc, s23, v12
	v_mov_b32_e32 v14, 0x7f800001
	s_and_saveexec_b64 s[20:21], vcc
	s_cbranch_execz .LBB526_810
; %bb.809:                              ;   in Loop: Header=BB526_794 Depth=1
	v_and_b32_e32 v14, 7, v8
	v_ffbh_u32_e32 v16, v14
	v_min_u32_e32 v19, 32, v16
	v_subrev_u32_e32 v16, 28, v19
	v_lshlrev_b64 v[16:17], v16, v[8:9]
	v_lshrrev_b32_e32 v18, 3, v12
	v_sub_u32_e32 v17, 29, v19
	v_and_b32_e32 v16, 7, v16
	v_cmp_gt_u32_e32 vcc, 8, v12
	v_cndmask_b32_e32 v12, v18, v17, vcc
	v_cndmask_b32_e32 v14, v14, v16, vcc
	v_lshlrev_b32_e32 v8, 24, v8
	v_lshlrev_b32_e32 v14, 20, v14
	v_and_b32_e32 v8, 0x80000000, v8
	v_lshl_add_u32 v12, v12, 23, v10
	v_or3_b32 v14, v8, v12, v14
.LBB526_810:                            ;   in Loop: Header=BB526_794 Depth=1
	s_or_b64 exec, exec, s[20:21]
.LBB526_811:                            ;   in Loop: Header=BB526_794 Depth=1
	s_or_b64 exec, exec, s[18:19]
.LBB526_812:                            ;   in Loop: Header=BB526_794 Depth=1
	s_or_b64 exec, exec, s[16:17]
	v_cmp_lt_u32_e32 vcc, s24, v6
	v_mov_b32_e32 v16, 0
	v_mov_b32_e32 v17, 0
	s_and_saveexec_b64 s[16:17], vcc
	s_cbranch_execz .LBB526_818
; %bb.813:                              ;   in Loop: Header=BB526_794 Depth=1
	v_lshrrev_b32_e32 v8, 24, v6
	v_cmp_ne_u32_e32 vcc, s5, v8
	v_bfrev_b32_e32 v17, 1
	s_and_saveexec_b64 s[18:19], vcc
	s_cbranch_execz .LBB526_817
; %bb.814:                              ;   in Loop: Header=BB526_794 Depth=1
	v_bfe_u32 v6, v6, 24, 7
	v_cmp_ne_u32_e32 vcc, s23, v6
	v_mov_b32_e32 v17, 0x7f800001
	s_and_saveexec_b64 s[20:21], vcc
	s_cbranch_execz .LBB526_816
; %bb.815:                              ;   in Loop: Header=BB526_794 Depth=1
	v_and_b32_e32 v12, 7, v8
	v_ffbh_u32_e32 v18, v12
	v_min_u32_e32 v20, 32, v18
	v_subrev_u32_e32 v18, 28, v20
	v_lshlrev_b64 v[18:19], v18, v[8:9]
	v_lshrrev_b32_e32 v17, 3, v6
	v_sub_u32_e32 v19, 29, v20
	v_and_b32_e32 v18, 7, v18
	v_cmp_gt_u32_e32 vcc, 8, v6
	v_cndmask_b32_e32 v6, v17, v19, vcc
	v_cndmask_b32_e32 v12, v12, v18, vcc
	v_lshlrev_b32_e32 v8, 24, v8
	v_lshlrev_b32_e32 v12, 20, v12
	v_and_b32_e32 v8, 0x80000000, v8
	v_lshl_add_u32 v6, v6, 23, v10
	v_or3_b32 v17, v8, v6, v12
.LBB526_816:                            ;   in Loop: Header=BB526_794 Depth=1
	s_or_b64 exec, exec, s[20:21]
.LBB526_817:                            ;   in Loop: Header=BB526_794 Depth=1
	s_or_b64 exec, exec, s[18:19]
.LBB526_818:                            ;   in Loop: Header=BB526_794 Depth=1
	s_or_b64 exec, exec, s[16:17]
	s_waitcnt vmcnt(0)
	v_cmp_ne_u16_sdwa s[18:19], v4, v9 src0_sel:BYTE_0 src1_sel:DWORD
	s_and_saveexec_b64 s[16:17], s[18:19]
	s_cbranch_execz .LBB526_824
; %bb.819:                              ;   in Loop: Header=BB526_794 Depth=1
	v_cmp_ne_u16_sdwa s[20:21], v4, s5 src0_sel:BYTE_0 src1_sel:DWORD
	v_bfrev_b32_e32 v16, 1
	s_and_saveexec_b64 s[18:19], s[20:21]
	s_cbranch_execz .LBB526_823
; %bb.820:                              ;   in Loop: Header=BB526_794 Depth=1
	v_and_b32_e32 v6, 0x7f, v4
	v_cmp_ne_u32_e32 vcc, s23, v6
	v_mov_b32_e32 v16, 0x7f800001
	s_and_saveexec_b64 s[20:21], vcc
	s_cbranch_execz .LBB526_822
; %bb.821:                              ;   in Loop: Header=BB526_794 Depth=1
	v_and_b32_e32 v8, 7, v4
	v_ffbh_u32_e32 v16, v8
	v_min_u32_e32 v16, 32, v16
	v_subrev_u32_e32 v18, 28, v16
	v_lshlrev_b64 v[18:19], v18, v[4:5]
	v_lshrrev_b32_e32 v12, 3, v6
	v_sub_u32_e32 v16, 29, v16
	v_and_b32_e32 v18, 7, v18
	v_cmp_gt_u32_e32 vcc, 8, v6
	v_cndmask_b32_e32 v6, v12, v16, vcc
	v_cndmask_b32_e32 v8, v8, v18, vcc
	v_lshlrev_b32_e32 v12, 24, v4
	v_lshlrev_b32_e32 v8, 20, v8
	v_and_b32_e32 v12, 0x80000000, v12
	v_lshl_add_u32 v6, v6, 23, v10
	v_or3_b32 v16, v12, v6, v8
.LBB526_822:                            ;   in Loop: Header=BB526_794 Depth=1
	s_or_b64 exec, exec, s[20:21]
.LBB526_823:                            ;   in Loop: Header=BB526_794 Depth=1
	s_or_b64 exec, exec, s[18:19]
.LBB526_824:                            ;   in Loop: Header=BB526_794 Depth=1
	s_or_b64 exec, exec, s[16:17]
	v_lshrrev_b16_e32 v6, 8, v4
	v_cmp_ne_u16_e32 vcc, 0, v6
	v_mov_b32_e32 v8, 0
	v_mov_b32_e32 v18, 0
	s_and_saveexec_b64 s[16:17], vcc
	s_cbranch_execz .LBB526_830
; %bb.825:                              ;   in Loop: Header=BB526_794 Depth=1
	v_cmp_ne_u16_e32 vcc, s5, v6
	v_bfrev_b32_e32 v18, 1
	s_and_saveexec_b64 s[18:19], vcc
	s_cbranch_execz .LBB526_829
; %bb.826:                              ;   in Loop: Header=BB526_794 Depth=1
	v_and_b32_e32 v12, 0x7f, v6
	v_cmp_ne_u32_e32 vcc, s23, v12
	v_mov_b32_e32 v18, 0x7f800001
	s_and_saveexec_b64 s[20:21], vcc
	s_cbranch_execz .LBB526_828
; %bb.827:                              ;   in Loop: Header=BB526_794 Depth=1
	v_and_b32_e32 v20, 7, v6
	v_ffbh_u32_e32 v18, v20
	v_min_u32_e32 v22, 32, v18
	v_subrev_u32_e32 v18, 28, v22
	v_lshlrev_b64 v[18:19], v18, v[6:7]
	v_lshrrev_b32_e32 v21, 3, v12
	v_sub_u32_e32 v6, 29, v22
	v_and_b32_e32 v18, 7, v18
	v_cmp_gt_u32_e32 vcc, 8, v12
	v_cndmask_b32_e32 v6, v21, v6, vcc
	v_cndmask_b32_e32 v12, v20, v18, vcc
	v_lshlrev_b32_e32 v18, 16, v4
	v_lshlrev_b32_e32 v12, 20, v12
	v_and_b32_e32 v18, 0x80000000, v18
	v_lshl_add_u32 v6, v6, 23, v10
	v_or3_b32 v18, v18, v6, v12
.LBB526_828:                            ;   in Loop: Header=BB526_794 Depth=1
	s_or_b64 exec, exec, s[20:21]
.LBB526_829:                            ;   in Loop: Header=BB526_794 Depth=1
	s_or_b64 exec, exec, s[18:19]
.LBB526_830:                            ;   in Loop: Header=BB526_794 Depth=1
	s_or_b64 exec, exec, s[16:17]
	v_lshrrev_b32_e32 v6, 16, v4
	v_cmp_ne_u16_sdwa s[18:19], v6, v9 src0_sel:BYTE_0 src1_sel:DWORD
	s_and_saveexec_b64 s[16:17], s[18:19]
	s_cbranch_execz .LBB526_836
; %bb.831:                              ;   in Loop: Header=BB526_794 Depth=1
	v_cmp_ne_u16_sdwa s[20:21], v6, s5 src0_sel:BYTE_0 src1_sel:DWORD
	v_bfrev_b32_e32 v8, 1
	s_and_saveexec_b64 s[18:19], s[20:21]
	s_cbranch_execz .LBB526_835
; %bb.832:                              ;   in Loop: Header=BB526_794 Depth=1
	v_bfe_u32 v12, v4, 16, 7
	v_cmp_ne_u32_e32 vcc, s23, v12
	v_mov_b32_e32 v8, 0x7f800001
	s_and_saveexec_b64 s[20:21], vcc
	s_cbranch_execz .LBB526_834
; %bb.833:                              ;   in Loop: Header=BB526_794 Depth=1
	v_and_b32_e32 v8, 7, v6
	v_ffbh_u32_e32 v20, v8
	v_min_u32_e32 v22, 32, v20
	v_subrev_u32_e32 v20, 28, v22
	v_lshlrev_b64 v[20:21], v20, v[6:7]
	v_lshrrev_b32_e32 v19, 3, v12
	v_sub_u32_e32 v21, 29, v22
	v_and_b32_e32 v20, 7, v20
	v_cmp_gt_u32_e32 vcc, 8, v12
	v_cndmask_b32_e32 v12, v19, v21, vcc
	v_cndmask_b32_e32 v8, v8, v20, vcc
	v_lshlrev_b32_e32 v6, 24, v6
	v_lshlrev_b32_e32 v8, 20, v8
	v_and_b32_e32 v6, 0x80000000, v6
	v_lshl_add_u32 v12, v12, 23, v10
	v_or3_b32 v8, v6, v12, v8
.LBB526_834:                            ;   in Loop: Header=BB526_794 Depth=1
	s_or_b64 exec, exec, s[20:21]
.LBB526_835:                            ;   in Loop: Header=BB526_794 Depth=1
	s_or_b64 exec, exec, s[18:19]
.LBB526_836:                            ;   in Loop: Header=BB526_794 Depth=1
	s_or_b64 exec, exec, s[16:17]
	v_cmp_lt_u32_e32 vcc, s24, v4
	v_mov_b32_e32 v12, 0
	v_mov_b32_e32 v19, 0
	s_and_saveexec_b64 s[16:17], vcc
	s_cbranch_execz .LBB526_842
; %bb.837:                              ;   in Loop: Header=BB526_794 Depth=1
	v_lshrrev_b32_e32 v6, 24, v4
	v_cmp_ne_u32_e32 vcc, s5, v6
	v_bfrev_b32_e32 v19, 1
	s_and_saveexec_b64 s[18:19], vcc
	s_cbranch_execz .LBB526_841
; %bb.838:                              ;   in Loop: Header=BB526_794 Depth=1
	v_bfe_u32 v4, v4, 24, 7
	v_cmp_ne_u32_e32 vcc, s23, v4
	v_mov_b32_e32 v19, 0x7f800001
	s_and_saveexec_b64 s[20:21], vcc
	s_cbranch_execz .LBB526_840
; %bb.839:                              ;   in Loop: Header=BB526_794 Depth=1
	v_and_b32_e32 v19, 7, v6
	v_ffbh_u32_e32 v20, v19
	v_min_u32_e32 v23, 32, v20
	v_subrev_u32_e32 v20, 28, v23
	v_lshlrev_b64 v[20:21], v20, v[6:7]
	v_lshrrev_b32_e32 v22, 3, v4
	v_sub_u32_e32 v21, 29, v23
	v_and_b32_e32 v20, 7, v20
	v_cmp_gt_u32_e32 vcc, 8, v4
	v_cndmask_b32_e32 v4, v22, v21, vcc
	v_cndmask_b32_e32 v19, v19, v20, vcc
	v_lshlrev_b32_e32 v6, 24, v6
	v_lshlrev_b32_e32 v19, 20, v19
	v_and_b32_e32 v6, 0x80000000, v6
	v_lshl_add_u32 v4, v4, 23, v10
	v_or3_b32 v19, v6, v4, v19
.LBB526_840:                            ;   in Loop: Header=BB526_794 Depth=1
	s_or_b64 exec, exec, s[20:21]
.LBB526_841:                            ;   in Loop: Header=BB526_794 Depth=1
	s_or_b64 exec, exec, s[18:19]
.LBB526_842:                            ;   in Loop: Header=BB526_794 Depth=1
	s_or_b64 exec, exec, s[16:17]
	buffer_load_dword v6, v11, s[0:3], 0 offen offset:8
	buffer_load_dword v4, v11, s[0:3], 0 offen offset:12
	v_cvt_pkrtz_f16_f32 v20, v13, v15
	v_cvt_pkrtz_f16_f32 v21, v14, v17
	;; [unrolled: 1-line block ×4, first 2 shown]
	v_mfma_f32_4x4x4f16 a[0:3], v[2:3], v[20:21], 0 cbsz:4
	s_waitcnt vmcnt(1)
	v_cmp_ne_u16_sdwa s[18:19], v6, v9 src0_sel:BYTE_0 src1_sel:DWORD
	v_mfma_f32_4x4x4f16 a[0:3], v[2:3], v[14:15], a[0:3] cbsz:4 abid:1
	s_and_saveexec_b64 s[16:17], s[18:19]
	s_cbranch_execz .LBB526_848
; %bb.843:                              ;   in Loop: Header=BB526_794 Depth=1
	v_cmp_ne_u16_sdwa s[20:21], v6, s5 src0_sel:BYTE_0 src1_sel:DWORD
	v_bfrev_b32_e32 v12, 1
	s_and_saveexec_b64 s[18:19], s[20:21]
	s_cbranch_execz .LBB526_847
; %bb.844:                              ;   in Loop: Header=BB526_794 Depth=1
	v_and_b32_e32 v8, 0x7f, v6
	v_cmp_ne_u32_e32 vcc, s23, v8
	v_mov_b32_e32 v12, 0x7f800001
	s_and_saveexec_b64 s[20:21], vcc
	s_cbranch_execz .LBB526_846
; %bb.845:                              ;   in Loop: Header=BB526_794 Depth=1
	v_and_b32_e32 v14, 7, v6
	v_ffbh_u32_e32 v12, v14
	v_min_u32_e32 v16, 32, v12
	v_subrev_u32_e32 v12, 28, v16
	v_lshlrev_b64 v[12:13], v12, v[6:7]
	v_lshrrev_b32_e32 v15, 3, v8
	v_sub_u32_e32 v13, 29, v16
	v_and_b32_e32 v12, 7, v12
	v_cmp_gt_u32_e32 vcc, 8, v8
	v_cndmask_b32_e32 v8, v15, v13, vcc
	v_cndmask_b32_e32 v12, v14, v12, vcc
	v_lshlrev_b32_e32 v13, 24, v6
	v_lshlrev_b32_e32 v12, 20, v12
	v_and_b32_e32 v13, 0x80000000, v13
	v_lshl_add_u32 v8, v8, 23, v10
	v_or3_b32 v12, v13, v8, v12
.LBB526_846:                            ;   in Loop: Header=BB526_794 Depth=1
	s_or_b64 exec, exec, s[20:21]
.LBB526_847:                            ;   in Loop: Header=BB526_794 Depth=1
	s_or_b64 exec, exec, s[18:19]
.LBB526_848:                            ;   in Loop: Header=BB526_794 Depth=1
	s_or_b64 exec, exec, s[16:17]
	v_lshrrev_b16_e32 v8, 8, v6
	v_cmp_ne_u16_e32 vcc, 0, v8
	v_mov_b32_e32 v14, 0
	v_mov_b32_e32 v15, 0
	s_and_saveexec_b64 s[16:17], vcc
	s_cbranch_execz .LBB526_854
; %bb.849:                              ;   in Loop: Header=BB526_794 Depth=1
	v_cmp_ne_u16_e32 vcc, s5, v8
	v_bfrev_b32_e32 v15, 1
	s_and_saveexec_b64 s[18:19], vcc
	s_cbranch_execz .LBB526_853
; %bb.850:                              ;   in Loop: Header=BB526_794 Depth=1
	v_and_b32_e32 v13, 0x7f, v8
	v_cmp_ne_u32_e32 vcc, s23, v13
	v_mov_b32_e32 v15, 0x7f800001
	s_and_saveexec_b64 s[20:21], vcc
	s_cbranch_execz .LBB526_852
; %bb.851:                              ;   in Loop: Header=BB526_794 Depth=1
	v_and_b32_e32 v15, 7, v8
	v_ffbh_u32_e32 v16, v15
	v_min_u32_e32 v19, 32, v16
	v_subrev_u32_e32 v16, 28, v19
	v_lshlrev_b64 v[16:17], v16, v[8:9]
	v_lshrrev_b32_e32 v18, 3, v13
	v_sub_u32_e32 v8, 29, v19
	v_and_b32_e32 v16, 7, v16
	v_cmp_gt_u32_e32 vcc, 8, v13
	v_cndmask_b32_e32 v8, v18, v8, vcc
	v_cndmask_b32_e32 v13, v15, v16, vcc
	v_lshlrev_b32_e32 v15, 16, v6
	v_lshlrev_b32_e32 v13, 20, v13
	v_and_b32_e32 v15, 0x80000000, v15
	v_lshl_add_u32 v8, v8, 23, v10
	v_or3_b32 v15, v15, v8, v13
.LBB526_852:                            ;   in Loop: Header=BB526_794 Depth=1
	s_or_b64 exec, exec, s[20:21]
.LBB526_853:                            ;   in Loop: Header=BB526_794 Depth=1
	s_or_b64 exec, exec, s[18:19]
.LBB526_854:                            ;   in Loop: Header=BB526_794 Depth=1
	s_or_b64 exec, exec, s[16:17]
	v_lshrrev_b32_e32 v8, 16, v6
	v_cmp_ne_u16_sdwa s[18:19], v8, v9 src0_sel:BYTE_0 src1_sel:DWORD
	s_and_saveexec_b64 s[16:17], s[18:19]
	s_cbranch_execz .LBB526_860
; %bb.855:                              ;   in Loop: Header=BB526_794 Depth=1
	v_cmp_ne_u16_sdwa s[20:21], v8, s5 src0_sel:BYTE_0 src1_sel:DWORD
	v_bfrev_b32_e32 v14, 1
	s_and_saveexec_b64 s[18:19], s[20:21]
	s_cbranch_execz .LBB526_859
; %bb.856:                              ;   in Loop: Header=BB526_794 Depth=1
	v_bfe_u32 v13, v6, 16, 7
	v_cmp_ne_u32_e32 vcc, s23, v13
	v_mov_b32_e32 v14, 0x7f800001
	s_and_saveexec_b64 s[20:21], vcc
	s_cbranch_execz .LBB526_858
; %bb.857:                              ;   in Loop: Header=BB526_794 Depth=1
	v_and_b32_e32 v14, 7, v8
	v_ffbh_u32_e32 v16, v14
	v_min_u32_e32 v19, 32, v16
	v_subrev_u32_e32 v16, 28, v19
	v_lshlrev_b64 v[16:17], v16, v[8:9]
	v_lshrrev_b32_e32 v18, 3, v13
	v_sub_u32_e32 v17, 29, v19
	v_and_b32_e32 v16, 7, v16
	v_cmp_gt_u32_e32 vcc, 8, v13
	v_cndmask_b32_e32 v13, v18, v17, vcc
	v_cndmask_b32_e32 v14, v14, v16, vcc
	v_lshlrev_b32_e32 v8, 24, v8
	v_lshlrev_b32_e32 v14, 20, v14
	v_and_b32_e32 v8, 0x80000000, v8
	v_lshl_add_u32 v13, v13, 23, v10
	v_or3_b32 v14, v8, v13, v14
.LBB526_858:                            ;   in Loop: Header=BB526_794 Depth=1
	s_or_b64 exec, exec, s[20:21]
.LBB526_859:                            ;   in Loop: Header=BB526_794 Depth=1
	s_or_b64 exec, exec, s[18:19]
.LBB526_860:                            ;   in Loop: Header=BB526_794 Depth=1
	s_or_b64 exec, exec, s[16:17]
	v_cmp_lt_u32_e32 vcc, s24, v6
	v_mov_b32_e32 v16, 0
	v_mov_b32_e32 v17, 0
	s_and_saveexec_b64 s[16:17], vcc
	s_cbranch_execz .LBB526_866
; %bb.861:                              ;   in Loop: Header=BB526_794 Depth=1
	v_lshrrev_b32_e32 v8, 24, v6
	v_cmp_ne_u32_e32 vcc, s5, v8
	v_bfrev_b32_e32 v17, 1
	s_and_saveexec_b64 s[18:19], vcc
	s_cbranch_execz .LBB526_865
; %bb.862:                              ;   in Loop: Header=BB526_794 Depth=1
	v_bfe_u32 v6, v6, 24, 7
	v_cmp_ne_u32_e32 vcc, s23, v6
	v_mov_b32_e32 v17, 0x7f800001
	s_and_saveexec_b64 s[20:21], vcc
	s_cbranch_execz .LBB526_864
; %bb.863:                              ;   in Loop: Header=BB526_794 Depth=1
	v_and_b32_e32 v13, 7, v8
	v_ffbh_u32_e32 v18, v13
	v_min_u32_e32 v20, 32, v18
	v_subrev_u32_e32 v18, 28, v20
	v_lshlrev_b64 v[18:19], v18, v[8:9]
	v_lshrrev_b32_e32 v17, 3, v6
	v_sub_u32_e32 v19, 29, v20
	v_and_b32_e32 v18, 7, v18
	v_cmp_gt_u32_e32 vcc, 8, v6
	v_cndmask_b32_e32 v6, v17, v19, vcc
	v_cndmask_b32_e32 v13, v13, v18, vcc
	v_lshlrev_b32_e32 v8, 24, v8
	v_lshlrev_b32_e32 v13, 20, v13
	v_and_b32_e32 v8, 0x80000000, v8
	v_lshl_add_u32 v6, v6, 23, v10
	v_or3_b32 v17, v8, v6, v13
.LBB526_864:                            ;   in Loop: Header=BB526_794 Depth=1
	s_or_b64 exec, exec, s[20:21]
.LBB526_865:                            ;   in Loop: Header=BB526_794 Depth=1
	s_or_b64 exec, exec, s[18:19]
.LBB526_866:                            ;   in Loop: Header=BB526_794 Depth=1
	s_or_b64 exec, exec, s[16:17]
	s_waitcnt vmcnt(0)
	v_cmp_ne_u16_sdwa s[18:19], v4, v9 src0_sel:BYTE_0 src1_sel:DWORD
	s_and_saveexec_b64 s[16:17], s[18:19]
	s_cbranch_execz .LBB526_872
; %bb.867:                              ;   in Loop: Header=BB526_794 Depth=1
	v_cmp_ne_u16_sdwa s[20:21], v4, s5 src0_sel:BYTE_0 src1_sel:DWORD
	v_bfrev_b32_e32 v16, 1
	s_and_saveexec_b64 s[18:19], s[20:21]
	s_cbranch_execz .LBB526_871
; %bb.868:                              ;   in Loop: Header=BB526_794 Depth=1
	v_and_b32_e32 v6, 0x7f, v4
	v_cmp_ne_u32_e32 vcc, s23, v6
	v_mov_b32_e32 v16, 0x7f800001
	s_and_saveexec_b64 s[20:21], vcc
	s_cbranch_execz .LBB526_870
; %bb.869:                              ;   in Loop: Header=BB526_794 Depth=1
	v_and_b32_e32 v8, 7, v4
	v_ffbh_u32_e32 v16, v8
	v_min_u32_e32 v16, 32, v16
	v_subrev_u32_e32 v18, 28, v16
	v_lshlrev_b64 v[18:19], v18, v[4:5]
	v_lshrrev_b32_e32 v13, 3, v6
	v_sub_u32_e32 v16, 29, v16
	v_and_b32_e32 v18, 7, v18
	v_cmp_gt_u32_e32 vcc, 8, v6
	v_cndmask_b32_e32 v6, v13, v16, vcc
	v_cndmask_b32_e32 v8, v8, v18, vcc
	v_lshlrev_b32_e32 v13, 24, v4
	v_lshlrev_b32_e32 v8, 20, v8
	v_and_b32_e32 v13, 0x80000000, v13
	v_lshl_add_u32 v6, v6, 23, v10
	v_or3_b32 v16, v13, v6, v8
.LBB526_870:                            ;   in Loop: Header=BB526_794 Depth=1
	s_or_b64 exec, exec, s[20:21]
.LBB526_871:                            ;   in Loop: Header=BB526_794 Depth=1
	s_or_b64 exec, exec, s[18:19]
.LBB526_872:                            ;   in Loop: Header=BB526_794 Depth=1
	s_or_b64 exec, exec, s[16:17]
	v_lshrrev_b16_e32 v6, 8, v4
	v_cmp_ne_u16_e32 vcc, 0, v6
	v_mov_b32_e32 v8, 0
	v_mov_b32_e32 v18, 0
	s_and_saveexec_b64 s[16:17], vcc
	s_cbranch_execz .LBB526_878
; %bb.873:                              ;   in Loop: Header=BB526_794 Depth=1
	v_cmp_ne_u16_e32 vcc, s5, v6
	v_bfrev_b32_e32 v18, 1
	s_and_saveexec_b64 s[18:19], vcc
	s_cbranch_execz .LBB526_877
; %bb.874:                              ;   in Loop: Header=BB526_794 Depth=1
	v_and_b32_e32 v13, 0x7f, v6
	v_cmp_ne_u32_e32 vcc, s23, v13
	v_mov_b32_e32 v18, 0x7f800001
	s_and_saveexec_b64 s[20:21], vcc
	s_cbranch_execz .LBB526_876
; %bb.875:                              ;   in Loop: Header=BB526_794 Depth=1
	v_and_b32_e32 v20, 7, v6
	v_ffbh_u32_e32 v18, v20
	v_min_u32_e32 v22, 32, v18
	v_subrev_u32_e32 v18, 28, v22
	v_lshlrev_b64 v[18:19], v18, v[6:7]
	v_lshrrev_b32_e32 v21, 3, v13
	v_sub_u32_e32 v6, 29, v22
	v_and_b32_e32 v18, 7, v18
	v_cmp_gt_u32_e32 vcc, 8, v13
	v_cndmask_b32_e32 v6, v21, v6, vcc
	v_cndmask_b32_e32 v13, v20, v18, vcc
	v_lshlrev_b32_e32 v18, 16, v4
	v_lshlrev_b32_e32 v13, 20, v13
	v_and_b32_e32 v18, 0x80000000, v18
	v_lshl_add_u32 v6, v6, 23, v10
	v_or3_b32 v18, v18, v6, v13
.LBB526_876:                            ;   in Loop: Header=BB526_794 Depth=1
	s_or_b64 exec, exec, s[20:21]
.LBB526_877:                            ;   in Loop: Header=BB526_794 Depth=1
	s_or_b64 exec, exec, s[18:19]
.LBB526_878:                            ;   in Loop: Header=BB526_794 Depth=1
	s_or_b64 exec, exec, s[16:17]
	v_lshrrev_b32_e32 v6, 16, v4
	v_cmp_ne_u16_sdwa s[18:19], v6, v9 src0_sel:BYTE_0 src1_sel:DWORD
	s_and_saveexec_b64 s[16:17], s[18:19]
	s_cbranch_execz .LBB526_884
; %bb.879:                              ;   in Loop: Header=BB526_794 Depth=1
	v_cmp_ne_u16_sdwa s[20:21], v6, s5 src0_sel:BYTE_0 src1_sel:DWORD
	v_bfrev_b32_e32 v8, 1
	s_and_saveexec_b64 s[18:19], s[20:21]
	s_cbranch_execz .LBB526_883
; %bb.880:                              ;   in Loop: Header=BB526_794 Depth=1
	v_bfe_u32 v13, v4, 16, 7
	v_cmp_ne_u32_e32 vcc, s23, v13
	v_mov_b32_e32 v8, 0x7f800001
	s_and_saveexec_b64 s[20:21], vcc
	s_cbranch_execz .LBB526_882
; %bb.881:                              ;   in Loop: Header=BB526_794 Depth=1
	v_and_b32_e32 v8, 7, v6
	v_ffbh_u32_e32 v20, v8
	v_min_u32_e32 v22, 32, v20
	v_subrev_u32_e32 v20, 28, v22
	v_lshlrev_b64 v[20:21], v20, v[6:7]
	v_lshrrev_b32_e32 v19, 3, v13
	v_sub_u32_e32 v21, 29, v22
	v_and_b32_e32 v20, 7, v20
	v_cmp_gt_u32_e32 vcc, 8, v13
	v_cndmask_b32_e32 v13, v19, v21, vcc
	v_cndmask_b32_e32 v8, v8, v20, vcc
	v_lshlrev_b32_e32 v6, 24, v6
	v_lshlrev_b32_e32 v8, 20, v8
	v_and_b32_e32 v6, 0x80000000, v6
	v_lshl_add_u32 v13, v13, 23, v10
	v_or3_b32 v8, v6, v13, v8
.LBB526_882:                            ;   in Loop: Header=BB526_794 Depth=1
	s_or_b64 exec, exec, s[20:21]
.LBB526_883:                            ;   in Loop: Header=BB526_794 Depth=1
	s_or_b64 exec, exec, s[18:19]
.LBB526_884:                            ;   in Loop: Header=BB526_794 Depth=1
	s_or_b64 exec, exec, s[16:17]
	v_cmp_lt_u32_e32 vcc, s24, v4
	v_mov_b32_e32 v13, 0
	v_mov_b32_e32 v19, 0
	s_and_saveexec_b64 s[16:17], vcc
	s_cbranch_execz .LBB526_890
; %bb.885:                              ;   in Loop: Header=BB526_794 Depth=1
	v_lshrrev_b32_e32 v6, 24, v4
	v_cmp_ne_u32_e32 vcc, s5, v6
	v_bfrev_b32_e32 v19, 1
	s_and_saveexec_b64 s[18:19], vcc
	s_cbranch_execz .LBB526_889
; %bb.886:                              ;   in Loop: Header=BB526_794 Depth=1
	v_bfe_u32 v4, v4, 24, 7
	v_cmp_ne_u32_e32 vcc, s23, v4
	v_mov_b32_e32 v19, 0x7f800001
	s_and_saveexec_b64 s[20:21], vcc
	s_cbranch_execz .LBB526_888
; %bb.887:                              ;   in Loop: Header=BB526_794 Depth=1
	v_and_b32_e32 v19, 7, v6
	v_ffbh_u32_e32 v20, v19
	v_min_u32_e32 v23, 32, v20
	v_subrev_u32_e32 v20, 28, v23
	v_lshlrev_b64 v[20:21], v20, v[6:7]
	v_lshrrev_b32_e32 v22, 3, v4
	v_sub_u32_e32 v21, 29, v23
	v_and_b32_e32 v20, 7, v20
	v_cmp_gt_u32_e32 vcc, 8, v4
	v_cndmask_b32_e32 v4, v22, v21, vcc
	v_cndmask_b32_e32 v19, v19, v20, vcc
	v_lshlrev_b32_e32 v6, 24, v6
	v_lshlrev_b32_e32 v19, 20, v19
	v_and_b32_e32 v6, 0x80000000, v6
	v_lshl_add_u32 v4, v4, 23, v10
	v_or3_b32 v19, v6, v4, v19
.LBB526_888:                            ;   in Loop: Header=BB526_794 Depth=1
	s_or_b64 exec, exec, s[20:21]
.LBB526_889:                            ;   in Loop: Header=BB526_794 Depth=1
	s_or_b64 exec, exec, s[18:19]
.LBB526_890:                            ;   in Loop: Header=BB526_794 Depth=1
	s_or_b64 exec, exec, s[16:17]
	buffer_load_dword v6, v11, s[0:3], 0 offen offset:16
	buffer_load_dword v4, v11, s[0:3], 0 offen offset:20
	v_cvt_pkrtz_f16_f32 v20, v12, v15
	v_cvt_pkrtz_f16_f32 v21, v14, v17
	;; [unrolled: 1-line block ×4, first 2 shown]
	v_mfma_f32_4x4x4f16 a[0:3], v[2:3], v[20:21], a[0:3] cbsz:4 abid:2
	s_waitcnt vmcnt(1)
	v_cmp_ne_u16_sdwa s[18:19], v6, v9 src0_sel:BYTE_0 src1_sel:DWORD
	v_mfma_f32_4x4x4f16 a[0:3], v[2:3], v[14:15], a[0:3] cbsz:4 abid:3
	s_and_saveexec_b64 s[16:17], s[18:19]
	s_cbranch_execz .LBB526_896
; %bb.891:                              ;   in Loop: Header=BB526_794 Depth=1
	v_cmp_ne_u16_sdwa s[20:21], v6, s5 src0_sel:BYTE_0 src1_sel:DWORD
	v_bfrev_b32_e32 v13, 1
	s_and_saveexec_b64 s[18:19], s[20:21]
	s_cbranch_execz .LBB526_895
; %bb.892:                              ;   in Loop: Header=BB526_794 Depth=1
	v_and_b32_e32 v8, 0x7f, v6
	v_cmp_ne_u32_e32 vcc, s23, v8
	v_mov_b32_e32 v13, 0x7f800001
	s_and_saveexec_b64 s[20:21], vcc
	s_cbranch_execz .LBB526_894
; %bb.893:                              ;   in Loop: Header=BB526_794 Depth=1
	v_and_b32_e32 v14, 7, v6
	v_ffbh_u32_e32 v12, v14
	v_min_u32_e32 v16, 32, v12
	v_subrev_u32_e32 v12, 28, v16
	v_lshlrev_b64 v[12:13], v12, v[6:7]
	v_lshrrev_b32_e32 v15, 3, v8
	v_sub_u32_e32 v13, 29, v16
	v_and_b32_e32 v12, 7, v12
	v_cmp_gt_u32_e32 vcc, 8, v8
	v_cndmask_b32_e32 v8, v15, v13, vcc
	v_cndmask_b32_e32 v12, v14, v12, vcc
	v_lshlrev_b32_e32 v13, 24, v6
	v_lshlrev_b32_e32 v12, 20, v12
	v_and_b32_e32 v13, 0x80000000, v13
	v_lshl_add_u32 v8, v8, 23, v10
	v_or3_b32 v13, v13, v8, v12
.LBB526_894:                            ;   in Loop: Header=BB526_794 Depth=1
	s_or_b64 exec, exec, s[20:21]
.LBB526_895:                            ;   in Loop: Header=BB526_794 Depth=1
	s_or_b64 exec, exec, s[18:19]
.LBB526_896:                            ;   in Loop: Header=BB526_794 Depth=1
	s_or_b64 exec, exec, s[16:17]
	v_lshrrev_b16_e32 v8, 8, v6
	v_cmp_ne_u16_e32 vcc, 0, v8
	v_mov_b32_e32 v14, 0
	v_mov_b32_e32 v15, 0
	s_and_saveexec_b64 s[16:17], vcc
	s_cbranch_execz .LBB526_902
; %bb.897:                              ;   in Loop: Header=BB526_794 Depth=1
	v_cmp_ne_u16_e32 vcc, s5, v8
	v_bfrev_b32_e32 v15, 1
	s_and_saveexec_b64 s[18:19], vcc
	s_cbranch_execz .LBB526_901
; %bb.898:                              ;   in Loop: Header=BB526_794 Depth=1
	v_and_b32_e32 v12, 0x7f, v8
	v_cmp_ne_u32_e32 vcc, s23, v12
	v_mov_b32_e32 v15, 0x7f800001
	s_and_saveexec_b64 s[20:21], vcc
	s_cbranch_execz .LBB526_900
; %bb.899:                              ;   in Loop: Header=BB526_794 Depth=1
	v_and_b32_e32 v15, 7, v8
	v_ffbh_u32_e32 v16, v15
	v_min_u32_e32 v19, 32, v16
	v_subrev_u32_e32 v16, 28, v19
	v_lshlrev_b64 v[16:17], v16, v[8:9]
	v_lshrrev_b32_e32 v18, 3, v12
	v_sub_u32_e32 v8, 29, v19
	v_and_b32_e32 v16, 7, v16
	v_cmp_gt_u32_e32 vcc, 8, v12
	v_cndmask_b32_e32 v8, v18, v8, vcc
	v_cndmask_b32_e32 v12, v15, v16, vcc
	v_lshlrev_b32_e32 v15, 16, v6
	v_lshlrev_b32_e32 v12, 20, v12
	v_and_b32_e32 v15, 0x80000000, v15
	v_lshl_add_u32 v8, v8, 23, v10
	v_or3_b32 v15, v15, v8, v12
.LBB526_900:                            ;   in Loop: Header=BB526_794 Depth=1
	s_or_b64 exec, exec, s[20:21]
.LBB526_901:                            ;   in Loop: Header=BB526_794 Depth=1
	s_or_b64 exec, exec, s[18:19]
.LBB526_902:                            ;   in Loop: Header=BB526_794 Depth=1
	s_or_b64 exec, exec, s[16:17]
	v_lshrrev_b32_e32 v8, 16, v6
	v_cmp_ne_u16_sdwa s[18:19], v8, v9 src0_sel:BYTE_0 src1_sel:DWORD
	s_and_saveexec_b64 s[16:17], s[18:19]
	s_cbranch_execz .LBB526_908
; %bb.903:                              ;   in Loop: Header=BB526_794 Depth=1
	v_cmp_ne_u16_sdwa s[20:21], v8, s5 src0_sel:BYTE_0 src1_sel:DWORD
	v_bfrev_b32_e32 v14, 1
	s_and_saveexec_b64 s[18:19], s[20:21]
	s_cbranch_execz .LBB526_907
; %bb.904:                              ;   in Loop: Header=BB526_794 Depth=1
	v_bfe_u32 v12, v6, 16, 7
	v_cmp_ne_u32_e32 vcc, s23, v12
	v_mov_b32_e32 v14, 0x7f800001
	s_and_saveexec_b64 s[20:21], vcc
	s_cbranch_execz .LBB526_906
; %bb.905:                              ;   in Loop: Header=BB526_794 Depth=1
	v_and_b32_e32 v14, 7, v8
	v_ffbh_u32_e32 v16, v14
	v_min_u32_e32 v19, 32, v16
	v_subrev_u32_e32 v16, 28, v19
	v_lshlrev_b64 v[16:17], v16, v[8:9]
	v_lshrrev_b32_e32 v18, 3, v12
	v_sub_u32_e32 v17, 29, v19
	v_and_b32_e32 v16, 7, v16
	v_cmp_gt_u32_e32 vcc, 8, v12
	v_cndmask_b32_e32 v12, v18, v17, vcc
	v_cndmask_b32_e32 v14, v14, v16, vcc
	v_lshlrev_b32_e32 v8, 24, v8
	v_lshlrev_b32_e32 v14, 20, v14
	v_and_b32_e32 v8, 0x80000000, v8
	v_lshl_add_u32 v12, v12, 23, v10
	v_or3_b32 v14, v8, v12, v14
.LBB526_906:                            ;   in Loop: Header=BB526_794 Depth=1
	s_or_b64 exec, exec, s[20:21]
.LBB526_907:                            ;   in Loop: Header=BB526_794 Depth=1
	s_or_b64 exec, exec, s[18:19]
.LBB526_908:                            ;   in Loop: Header=BB526_794 Depth=1
	s_or_b64 exec, exec, s[16:17]
	v_cmp_lt_u32_e32 vcc, s24, v6
	v_mov_b32_e32 v16, 0
	v_mov_b32_e32 v17, 0
	s_and_saveexec_b64 s[16:17], vcc
	s_cbranch_execz .LBB526_914
; %bb.909:                              ;   in Loop: Header=BB526_794 Depth=1
	v_lshrrev_b32_e32 v8, 24, v6
	v_cmp_ne_u32_e32 vcc, s5, v8
	v_bfrev_b32_e32 v17, 1
	s_and_saveexec_b64 s[18:19], vcc
	s_cbranch_execz .LBB526_913
; %bb.910:                              ;   in Loop: Header=BB526_794 Depth=1
	v_bfe_u32 v6, v6, 24, 7
	v_cmp_ne_u32_e32 vcc, s23, v6
	v_mov_b32_e32 v17, 0x7f800001
	s_and_saveexec_b64 s[20:21], vcc
	s_cbranch_execz .LBB526_912
; %bb.911:                              ;   in Loop: Header=BB526_794 Depth=1
	v_and_b32_e32 v12, 7, v8
	v_ffbh_u32_e32 v18, v12
	v_min_u32_e32 v20, 32, v18
	v_subrev_u32_e32 v18, 28, v20
	v_lshlrev_b64 v[18:19], v18, v[8:9]
	v_lshrrev_b32_e32 v17, 3, v6
	v_sub_u32_e32 v19, 29, v20
	v_and_b32_e32 v18, 7, v18
	v_cmp_gt_u32_e32 vcc, 8, v6
	v_cndmask_b32_e32 v6, v17, v19, vcc
	v_cndmask_b32_e32 v12, v12, v18, vcc
	v_lshlrev_b32_e32 v8, 24, v8
	v_lshlrev_b32_e32 v12, 20, v12
	v_and_b32_e32 v8, 0x80000000, v8
	v_lshl_add_u32 v6, v6, 23, v10
	v_or3_b32 v17, v8, v6, v12
.LBB526_912:                            ;   in Loop: Header=BB526_794 Depth=1
	s_or_b64 exec, exec, s[20:21]
.LBB526_913:                            ;   in Loop: Header=BB526_794 Depth=1
	s_or_b64 exec, exec, s[18:19]
.LBB526_914:                            ;   in Loop: Header=BB526_794 Depth=1
	s_or_b64 exec, exec, s[16:17]
	s_waitcnt vmcnt(0)
	v_cmp_ne_u16_sdwa s[18:19], v4, v9 src0_sel:BYTE_0 src1_sel:DWORD
	s_and_saveexec_b64 s[16:17], s[18:19]
	s_cbranch_execz .LBB526_920
; %bb.915:                              ;   in Loop: Header=BB526_794 Depth=1
	v_cmp_ne_u16_sdwa s[20:21], v4, s5 src0_sel:BYTE_0 src1_sel:DWORD
	v_bfrev_b32_e32 v16, 1
	s_and_saveexec_b64 s[18:19], s[20:21]
	s_cbranch_execz .LBB526_919
; %bb.916:                              ;   in Loop: Header=BB526_794 Depth=1
	v_and_b32_e32 v6, 0x7f, v4
	v_cmp_ne_u32_e32 vcc, s23, v6
	v_mov_b32_e32 v16, 0x7f800001
	s_and_saveexec_b64 s[20:21], vcc
	s_cbranch_execz .LBB526_918
; %bb.917:                              ;   in Loop: Header=BB526_794 Depth=1
	v_and_b32_e32 v8, 7, v4
	v_ffbh_u32_e32 v16, v8
	v_min_u32_e32 v16, 32, v16
	v_subrev_u32_e32 v18, 28, v16
	v_lshlrev_b64 v[18:19], v18, v[4:5]
	v_lshrrev_b32_e32 v12, 3, v6
	v_sub_u32_e32 v16, 29, v16
	v_and_b32_e32 v18, 7, v18
	v_cmp_gt_u32_e32 vcc, 8, v6
	v_cndmask_b32_e32 v6, v12, v16, vcc
	v_cndmask_b32_e32 v8, v8, v18, vcc
	v_lshlrev_b32_e32 v12, 24, v4
	v_lshlrev_b32_e32 v8, 20, v8
	v_and_b32_e32 v12, 0x80000000, v12
	v_lshl_add_u32 v6, v6, 23, v10
	v_or3_b32 v16, v12, v6, v8
.LBB526_918:                            ;   in Loop: Header=BB526_794 Depth=1
	s_or_b64 exec, exec, s[20:21]
.LBB526_919:                            ;   in Loop: Header=BB526_794 Depth=1
	s_or_b64 exec, exec, s[18:19]
.LBB526_920:                            ;   in Loop: Header=BB526_794 Depth=1
	s_or_b64 exec, exec, s[16:17]
	v_lshrrev_b16_e32 v6, 8, v4
	v_cmp_ne_u16_e32 vcc, 0, v6
	v_mov_b32_e32 v8, 0
	v_mov_b32_e32 v18, 0
	s_and_saveexec_b64 s[16:17], vcc
	s_cbranch_execz .LBB526_926
; %bb.921:                              ;   in Loop: Header=BB526_794 Depth=1
	v_cmp_ne_u16_e32 vcc, s5, v6
	v_bfrev_b32_e32 v18, 1
	s_and_saveexec_b64 s[18:19], vcc
	s_cbranch_execz .LBB526_925
; %bb.922:                              ;   in Loop: Header=BB526_794 Depth=1
	v_and_b32_e32 v12, 0x7f, v6
	v_cmp_ne_u32_e32 vcc, s23, v12
	v_mov_b32_e32 v18, 0x7f800001
	s_and_saveexec_b64 s[20:21], vcc
	s_cbranch_execz .LBB526_924
; %bb.923:                              ;   in Loop: Header=BB526_794 Depth=1
	v_and_b32_e32 v20, 7, v6
	v_ffbh_u32_e32 v18, v20
	v_min_u32_e32 v22, 32, v18
	v_subrev_u32_e32 v18, 28, v22
	v_lshlrev_b64 v[18:19], v18, v[6:7]
	v_lshrrev_b32_e32 v21, 3, v12
	v_sub_u32_e32 v6, 29, v22
	v_and_b32_e32 v18, 7, v18
	v_cmp_gt_u32_e32 vcc, 8, v12
	v_cndmask_b32_e32 v6, v21, v6, vcc
	v_cndmask_b32_e32 v12, v20, v18, vcc
	v_lshlrev_b32_e32 v18, 16, v4
	v_lshlrev_b32_e32 v12, 20, v12
	v_and_b32_e32 v18, 0x80000000, v18
	v_lshl_add_u32 v6, v6, 23, v10
	v_or3_b32 v18, v18, v6, v12
.LBB526_924:                            ;   in Loop: Header=BB526_794 Depth=1
	s_or_b64 exec, exec, s[20:21]
.LBB526_925:                            ;   in Loop: Header=BB526_794 Depth=1
	s_or_b64 exec, exec, s[18:19]
.LBB526_926:                            ;   in Loop: Header=BB526_794 Depth=1
	s_or_b64 exec, exec, s[16:17]
	v_lshrrev_b32_e32 v6, 16, v4
	v_cmp_ne_u16_sdwa s[18:19], v6, v9 src0_sel:BYTE_0 src1_sel:DWORD
	s_and_saveexec_b64 s[16:17], s[18:19]
	s_cbranch_execz .LBB526_932
; %bb.927:                              ;   in Loop: Header=BB526_794 Depth=1
	v_cmp_ne_u16_sdwa s[20:21], v6, s5 src0_sel:BYTE_0 src1_sel:DWORD
	v_bfrev_b32_e32 v8, 1
	s_and_saveexec_b64 s[18:19], s[20:21]
	s_cbranch_execz .LBB526_931
; %bb.928:                              ;   in Loop: Header=BB526_794 Depth=1
	v_bfe_u32 v12, v4, 16, 7
	v_cmp_ne_u32_e32 vcc, s23, v12
	v_mov_b32_e32 v8, 0x7f800001
	s_and_saveexec_b64 s[20:21], vcc
	s_cbranch_execz .LBB526_930
; %bb.929:                              ;   in Loop: Header=BB526_794 Depth=1
	v_and_b32_e32 v8, 7, v6
	v_ffbh_u32_e32 v20, v8
	v_min_u32_e32 v22, 32, v20
	v_subrev_u32_e32 v20, 28, v22
	v_lshlrev_b64 v[20:21], v20, v[6:7]
	v_lshrrev_b32_e32 v19, 3, v12
	v_sub_u32_e32 v21, 29, v22
	v_and_b32_e32 v20, 7, v20
	v_cmp_gt_u32_e32 vcc, 8, v12
	v_cndmask_b32_e32 v12, v19, v21, vcc
	v_cndmask_b32_e32 v8, v8, v20, vcc
	v_lshlrev_b32_e32 v6, 24, v6
	v_lshlrev_b32_e32 v8, 20, v8
	v_and_b32_e32 v6, 0x80000000, v6
	v_lshl_add_u32 v12, v12, 23, v10
	v_or3_b32 v8, v6, v12, v8
.LBB526_930:                            ;   in Loop: Header=BB526_794 Depth=1
	s_or_b64 exec, exec, s[20:21]
.LBB526_931:                            ;   in Loop: Header=BB526_794 Depth=1
	s_or_b64 exec, exec, s[18:19]
.LBB526_932:                            ;   in Loop: Header=BB526_794 Depth=1
	s_or_b64 exec, exec, s[16:17]
	v_cmp_lt_u32_e32 vcc, s24, v4
	v_mov_b32_e32 v12, 0
	v_mov_b32_e32 v19, 0
	s_and_saveexec_b64 s[16:17], vcc
	s_cbranch_execz .LBB526_938
; %bb.933:                              ;   in Loop: Header=BB526_794 Depth=1
	v_lshrrev_b32_e32 v6, 24, v4
	v_cmp_ne_u32_e32 vcc, s5, v6
	v_bfrev_b32_e32 v19, 1
	s_and_saveexec_b64 s[18:19], vcc
	s_cbranch_execz .LBB526_937
; %bb.934:                              ;   in Loop: Header=BB526_794 Depth=1
	v_bfe_u32 v4, v4, 24, 7
	v_cmp_ne_u32_e32 vcc, s23, v4
	v_mov_b32_e32 v19, 0x7f800001
	s_and_saveexec_b64 s[20:21], vcc
	s_cbranch_execz .LBB526_936
; %bb.935:                              ;   in Loop: Header=BB526_794 Depth=1
	v_and_b32_e32 v19, 7, v6
	v_ffbh_u32_e32 v20, v19
	v_min_u32_e32 v23, 32, v20
	v_subrev_u32_e32 v20, 28, v23
	v_lshlrev_b64 v[20:21], v20, v[6:7]
	v_lshrrev_b32_e32 v22, 3, v4
	v_sub_u32_e32 v21, 29, v23
	v_and_b32_e32 v20, 7, v20
	v_cmp_gt_u32_e32 vcc, 8, v4
	v_cndmask_b32_e32 v4, v22, v21, vcc
	v_cndmask_b32_e32 v19, v19, v20, vcc
	v_lshlrev_b32_e32 v6, 24, v6
	v_lshlrev_b32_e32 v19, 20, v19
	v_and_b32_e32 v6, 0x80000000, v6
	v_lshl_add_u32 v4, v4, 23, v10
	v_or3_b32 v19, v6, v4, v19
.LBB526_936:                            ;   in Loop: Header=BB526_794 Depth=1
	s_or_b64 exec, exec, s[20:21]
.LBB526_937:                            ;   in Loop: Header=BB526_794 Depth=1
	s_or_b64 exec, exec, s[18:19]
.LBB526_938:                            ;   in Loop: Header=BB526_794 Depth=1
	s_or_b64 exec, exec, s[16:17]
	buffer_load_dword v6, v11, s[0:3], 0 offen offset:24
	buffer_load_dword v4, v11, s[0:3], 0 offen offset:28
	v_cvt_pkrtz_f16_f32 v20, v13, v15
	v_cvt_pkrtz_f16_f32 v21, v14, v17
	;; [unrolled: 1-line block ×4, first 2 shown]
	v_mfma_f32_4x4x4f16 a[0:3], v[2:3], v[20:21], a[0:3] cbsz:4 abid:4
	s_waitcnt vmcnt(1)
	v_cmp_ne_u16_sdwa s[18:19], v6, v9 src0_sel:BYTE_0 src1_sel:DWORD
	v_mfma_f32_4x4x4f16 a[0:3], v[2:3], v[14:15], a[0:3] cbsz:4 abid:5
	s_and_saveexec_b64 s[16:17], s[18:19]
	s_cbranch_execz .LBB526_944
; %bb.939:                              ;   in Loop: Header=BB526_794 Depth=1
	v_cmp_ne_u16_sdwa s[20:21], v6, s5 src0_sel:BYTE_0 src1_sel:DWORD
	v_bfrev_b32_e32 v12, 1
	s_and_saveexec_b64 s[18:19], s[20:21]
	s_cbranch_execz .LBB526_943
; %bb.940:                              ;   in Loop: Header=BB526_794 Depth=1
	v_and_b32_e32 v8, 0x7f, v6
	v_cmp_ne_u32_e32 vcc, s23, v8
	v_mov_b32_e32 v12, 0x7f800001
	s_and_saveexec_b64 s[20:21], vcc
	s_cbranch_execz .LBB526_942
; %bb.941:                              ;   in Loop: Header=BB526_794 Depth=1
	v_and_b32_e32 v14, 7, v6
	v_ffbh_u32_e32 v12, v14
	v_min_u32_e32 v16, 32, v12
	v_subrev_u32_e32 v12, 28, v16
	v_lshlrev_b64 v[12:13], v12, v[6:7]
	v_lshrrev_b32_e32 v15, 3, v8
	v_sub_u32_e32 v13, 29, v16
	v_and_b32_e32 v12, 7, v12
	v_cmp_gt_u32_e32 vcc, 8, v8
	v_cndmask_b32_e32 v8, v15, v13, vcc
	v_cndmask_b32_e32 v12, v14, v12, vcc
	v_lshlrev_b32_e32 v13, 24, v6
	v_lshlrev_b32_e32 v12, 20, v12
	v_and_b32_e32 v13, 0x80000000, v13
	v_lshl_add_u32 v8, v8, 23, v10
	v_or3_b32 v12, v13, v8, v12
.LBB526_942:                            ;   in Loop: Header=BB526_794 Depth=1
	s_or_b64 exec, exec, s[20:21]
.LBB526_943:                            ;   in Loop: Header=BB526_794 Depth=1
	s_or_b64 exec, exec, s[18:19]
.LBB526_944:                            ;   in Loop: Header=BB526_794 Depth=1
	s_or_b64 exec, exec, s[16:17]
	v_lshrrev_b16_e32 v8, 8, v6
	v_cmp_ne_u16_e32 vcc, 0, v8
	v_mov_b32_e32 v14, 0
	v_mov_b32_e32 v15, 0
	s_and_saveexec_b64 s[16:17], vcc
	s_cbranch_execz .LBB526_950
; %bb.945:                              ;   in Loop: Header=BB526_794 Depth=1
	v_cmp_ne_u16_e32 vcc, s5, v8
	v_bfrev_b32_e32 v15, 1
	s_and_saveexec_b64 s[18:19], vcc
	s_cbranch_execz .LBB526_949
; %bb.946:                              ;   in Loop: Header=BB526_794 Depth=1
	v_and_b32_e32 v13, 0x7f, v8
	v_cmp_ne_u32_e32 vcc, s23, v13
	v_mov_b32_e32 v15, 0x7f800001
	s_and_saveexec_b64 s[20:21], vcc
	s_cbranch_execz .LBB526_948
; %bb.947:                              ;   in Loop: Header=BB526_794 Depth=1
	v_and_b32_e32 v15, 7, v8
	v_ffbh_u32_e32 v16, v15
	v_min_u32_e32 v19, 32, v16
	v_subrev_u32_e32 v16, 28, v19
	v_lshlrev_b64 v[16:17], v16, v[8:9]
	v_lshrrev_b32_e32 v18, 3, v13
	v_sub_u32_e32 v8, 29, v19
	v_and_b32_e32 v16, 7, v16
	v_cmp_gt_u32_e32 vcc, 8, v13
	v_cndmask_b32_e32 v8, v18, v8, vcc
	v_cndmask_b32_e32 v13, v15, v16, vcc
	v_lshlrev_b32_e32 v15, 16, v6
	v_lshlrev_b32_e32 v13, 20, v13
	v_and_b32_e32 v15, 0x80000000, v15
	v_lshl_add_u32 v8, v8, 23, v10
	v_or3_b32 v15, v15, v8, v13
.LBB526_948:                            ;   in Loop: Header=BB526_794 Depth=1
	s_or_b64 exec, exec, s[20:21]
.LBB526_949:                            ;   in Loop: Header=BB526_794 Depth=1
	s_or_b64 exec, exec, s[18:19]
.LBB526_950:                            ;   in Loop: Header=BB526_794 Depth=1
	s_or_b64 exec, exec, s[16:17]
	v_lshrrev_b32_e32 v8, 16, v6
	v_cmp_ne_u16_sdwa s[18:19], v8, v9 src0_sel:BYTE_0 src1_sel:DWORD
	s_and_saveexec_b64 s[16:17], s[18:19]
	s_cbranch_execz .LBB526_956
; %bb.951:                              ;   in Loop: Header=BB526_794 Depth=1
	v_cmp_ne_u16_sdwa s[20:21], v8, s5 src0_sel:BYTE_0 src1_sel:DWORD
	v_bfrev_b32_e32 v14, 1
	s_and_saveexec_b64 s[18:19], s[20:21]
	s_cbranch_execz .LBB526_955
; %bb.952:                              ;   in Loop: Header=BB526_794 Depth=1
	v_bfe_u32 v13, v6, 16, 7
	v_cmp_ne_u32_e32 vcc, s23, v13
	v_mov_b32_e32 v14, 0x7f800001
	s_and_saveexec_b64 s[20:21], vcc
	s_cbranch_execz .LBB526_954
; %bb.953:                              ;   in Loop: Header=BB526_794 Depth=1
	v_and_b32_e32 v14, 7, v8
	v_ffbh_u32_e32 v16, v14
	v_min_u32_e32 v19, 32, v16
	v_subrev_u32_e32 v16, 28, v19
	v_lshlrev_b64 v[16:17], v16, v[8:9]
	v_lshrrev_b32_e32 v18, 3, v13
	v_sub_u32_e32 v17, 29, v19
	v_and_b32_e32 v16, 7, v16
	v_cmp_gt_u32_e32 vcc, 8, v13
	v_cndmask_b32_e32 v13, v18, v17, vcc
	v_cndmask_b32_e32 v14, v14, v16, vcc
	v_lshlrev_b32_e32 v8, 24, v8
	v_lshlrev_b32_e32 v14, 20, v14
	v_and_b32_e32 v8, 0x80000000, v8
	v_lshl_add_u32 v13, v13, 23, v10
	v_or3_b32 v14, v8, v13, v14
.LBB526_954:                            ;   in Loop: Header=BB526_794 Depth=1
	s_or_b64 exec, exec, s[20:21]
.LBB526_955:                            ;   in Loop: Header=BB526_794 Depth=1
	s_or_b64 exec, exec, s[18:19]
.LBB526_956:                            ;   in Loop: Header=BB526_794 Depth=1
	s_or_b64 exec, exec, s[16:17]
	v_cmp_lt_u32_e32 vcc, s24, v6
	v_mov_b32_e32 v16, 0
	v_mov_b32_e32 v17, 0
	s_and_saveexec_b64 s[16:17], vcc
	s_cbranch_execz .LBB526_962
; %bb.957:                              ;   in Loop: Header=BB526_794 Depth=1
	v_lshrrev_b32_e32 v8, 24, v6
	v_cmp_ne_u32_e32 vcc, s5, v8
	v_bfrev_b32_e32 v17, 1
	s_and_saveexec_b64 s[18:19], vcc
	s_cbranch_execz .LBB526_961
; %bb.958:                              ;   in Loop: Header=BB526_794 Depth=1
	v_bfe_u32 v6, v6, 24, 7
	v_cmp_ne_u32_e32 vcc, s23, v6
	v_mov_b32_e32 v17, 0x7f800001
	s_and_saveexec_b64 s[20:21], vcc
	s_cbranch_execz .LBB526_960
; %bb.959:                              ;   in Loop: Header=BB526_794 Depth=1
	v_and_b32_e32 v13, 7, v8
	v_ffbh_u32_e32 v18, v13
	v_min_u32_e32 v20, 32, v18
	v_subrev_u32_e32 v18, 28, v20
	v_lshlrev_b64 v[18:19], v18, v[8:9]
	v_lshrrev_b32_e32 v17, 3, v6
	v_sub_u32_e32 v19, 29, v20
	v_and_b32_e32 v18, 7, v18
	v_cmp_gt_u32_e32 vcc, 8, v6
	v_cndmask_b32_e32 v6, v17, v19, vcc
	v_cndmask_b32_e32 v13, v13, v18, vcc
	v_lshlrev_b32_e32 v8, 24, v8
	v_lshlrev_b32_e32 v13, 20, v13
	v_and_b32_e32 v8, 0x80000000, v8
	v_lshl_add_u32 v6, v6, 23, v10
	v_or3_b32 v17, v8, v6, v13
.LBB526_960:                            ;   in Loop: Header=BB526_794 Depth=1
	s_or_b64 exec, exec, s[20:21]
.LBB526_961:                            ;   in Loop: Header=BB526_794 Depth=1
	s_or_b64 exec, exec, s[18:19]
.LBB526_962:                            ;   in Loop: Header=BB526_794 Depth=1
	s_or_b64 exec, exec, s[16:17]
	s_waitcnt vmcnt(0)
	v_cmp_ne_u16_sdwa s[18:19], v4, v9 src0_sel:BYTE_0 src1_sel:DWORD
	s_and_saveexec_b64 s[16:17], s[18:19]
	s_cbranch_execz .LBB526_968
; %bb.963:                              ;   in Loop: Header=BB526_794 Depth=1
	v_cmp_ne_u16_sdwa s[20:21], v4, s5 src0_sel:BYTE_0 src1_sel:DWORD
	v_bfrev_b32_e32 v16, 1
	s_and_saveexec_b64 s[18:19], s[20:21]
	s_cbranch_execz .LBB526_967
; %bb.964:                              ;   in Loop: Header=BB526_794 Depth=1
	v_and_b32_e32 v6, 0x7f, v4
	v_cmp_ne_u32_e32 vcc, s23, v6
	v_mov_b32_e32 v16, 0x7f800001
	s_and_saveexec_b64 s[20:21], vcc
	s_cbranch_execz .LBB526_966
; %bb.965:                              ;   in Loop: Header=BB526_794 Depth=1
	v_and_b32_e32 v8, 7, v4
	v_ffbh_u32_e32 v16, v8
	v_min_u32_e32 v16, 32, v16
	v_subrev_u32_e32 v18, 28, v16
	v_lshlrev_b64 v[18:19], v18, v[4:5]
	v_lshrrev_b32_e32 v13, 3, v6
	v_sub_u32_e32 v16, 29, v16
	v_and_b32_e32 v18, 7, v18
	v_cmp_gt_u32_e32 vcc, 8, v6
	v_cndmask_b32_e32 v6, v13, v16, vcc
	v_cndmask_b32_e32 v8, v8, v18, vcc
	v_lshlrev_b32_e32 v13, 24, v4
	v_lshlrev_b32_e32 v8, 20, v8
	v_and_b32_e32 v13, 0x80000000, v13
	v_lshl_add_u32 v6, v6, 23, v10
	v_or3_b32 v16, v13, v6, v8
.LBB526_966:                            ;   in Loop: Header=BB526_794 Depth=1
	s_or_b64 exec, exec, s[20:21]
.LBB526_967:                            ;   in Loop: Header=BB526_794 Depth=1
	s_or_b64 exec, exec, s[18:19]
.LBB526_968:                            ;   in Loop: Header=BB526_794 Depth=1
	s_or_b64 exec, exec, s[16:17]
	v_lshrrev_b16_e32 v6, 8, v4
	v_cmp_ne_u16_e32 vcc, 0, v6
	v_mov_b32_e32 v8, 0
	v_mov_b32_e32 v18, 0
	s_and_saveexec_b64 s[16:17], vcc
	s_cbranch_execz .LBB526_974
; %bb.969:                              ;   in Loop: Header=BB526_794 Depth=1
	v_cmp_ne_u16_e32 vcc, s5, v6
	v_bfrev_b32_e32 v18, 1
	s_and_saveexec_b64 s[18:19], vcc
	s_cbranch_execz .LBB526_973
; %bb.970:                              ;   in Loop: Header=BB526_794 Depth=1
	v_and_b32_e32 v13, 0x7f, v6
	v_cmp_ne_u32_e32 vcc, s23, v13
	v_mov_b32_e32 v18, 0x7f800001
	s_and_saveexec_b64 s[20:21], vcc
	s_cbranch_execz .LBB526_972
; %bb.971:                              ;   in Loop: Header=BB526_794 Depth=1
	v_and_b32_e32 v20, 7, v6
	v_ffbh_u32_e32 v18, v20
	v_min_u32_e32 v22, 32, v18
	v_subrev_u32_e32 v18, 28, v22
	v_lshlrev_b64 v[18:19], v18, v[6:7]
	v_lshrrev_b32_e32 v21, 3, v13
	v_sub_u32_e32 v6, 29, v22
	v_and_b32_e32 v18, 7, v18
	v_cmp_gt_u32_e32 vcc, 8, v13
	v_cndmask_b32_e32 v6, v21, v6, vcc
	v_cndmask_b32_e32 v13, v20, v18, vcc
	v_lshlrev_b32_e32 v18, 16, v4
	v_lshlrev_b32_e32 v13, 20, v13
	v_and_b32_e32 v18, 0x80000000, v18
	v_lshl_add_u32 v6, v6, 23, v10
	v_or3_b32 v18, v18, v6, v13
.LBB526_972:                            ;   in Loop: Header=BB526_794 Depth=1
	s_or_b64 exec, exec, s[20:21]
.LBB526_973:                            ;   in Loop: Header=BB526_794 Depth=1
	s_or_b64 exec, exec, s[18:19]
.LBB526_974:                            ;   in Loop: Header=BB526_794 Depth=1
	s_or_b64 exec, exec, s[16:17]
	v_lshrrev_b32_e32 v6, 16, v4
	v_cmp_ne_u16_sdwa s[18:19], v6, v9 src0_sel:BYTE_0 src1_sel:DWORD
	s_and_saveexec_b64 s[16:17], s[18:19]
	s_cbranch_execz .LBB526_980
; %bb.975:                              ;   in Loop: Header=BB526_794 Depth=1
	v_cmp_ne_u16_sdwa s[20:21], v6, s5 src0_sel:BYTE_0 src1_sel:DWORD
	v_bfrev_b32_e32 v8, 1
	s_and_saveexec_b64 s[18:19], s[20:21]
	s_cbranch_execz .LBB526_979
; %bb.976:                              ;   in Loop: Header=BB526_794 Depth=1
	v_bfe_u32 v13, v4, 16, 7
	v_cmp_ne_u32_e32 vcc, s23, v13
	v_mov_b32_e32 v8, 0x7f800001
	s_and_saveexec_b64 s[20:21], vcc
	s_cbranch_execz .LBB526_978
; %bb.977:                              ;   in Loop: Header=BB526_794 Depth=1
	v_and_b32_e32 v8, 7, v6
	v_ffbh_u32_e32 v20, v8
	v_min_u32_e32 v22, 32, v20
	v_subrev_u32_e32 v20, 28, v22
	v_lshlrev_b64 v[20:21], v20, v[6:7]
	v_lshrrev_b32_e32 v19, 3, v13
	v_sub_u32_e32 v21, 29, v22
	v_and_b32_e32 v20, 7, v20
	v_cmp_gt_u32_e32 vcc, 8, v13
	v_cndmask_b32_e32 v13, v19, v21, vcc
	v_cndmask_b32_e32 v8, v8, v20, vcc
	v_lshlrev_b32_e32 v6, 24, v6
	v_lshlrev_b32_e32 v8, 20, v8
	v_and_b32_e32 v6, 0x80000000, v6
	v_lshl_add_u32 v13, v13, 23, v10
	v_or3_b32 v8, v6, v13, v8
.LBB526_978:                            ;   in Loop: Header=BB526_794 Depth=1
	s_or_b64 exec, exec, s[20:21]
.LBB526_979:                            ;   in Loop: Header=BB526_794 Depth=1
	s_or_b64 exec, exec, s[18:19]
.LBB526_980:                            ;   in Loop: Header=BB526_794 Depth=1
	s_or_b64 exec, exec, s[16:17]
	v_cmp_lt_u32_e32 vcc, s24, v4
	v_mov_b32_e32 v13, 0
	v_mov_b32_e32 v19, 0
	s_and_saveexec_b64 s[16:17], vcc
	s_cbranch_execz .LBB526_986
; %bb.981:                              ;   in Loop: Header=BB526_794 Depth=1
	v_lshrrev_b32_e32 v6, 24, v4
	v_cmp_ne_u32_e32 vcc, s5, v6
	v_bfrev_b32_e32 v19, 1
	s_and_saveexec_b64 s[18:19], vcc
	s_cbranch_execz .LBB526_985
; %bb.982:                              ;   in Loop: Header=BB526_794 Depth=1
	v_bfe_u32 v4, v4, 24, 7
	v_cmp_ne_u32_e32 vcc, s23, v4
	v_mov_b32_e32 v19, 0x7f800001
	s_and_saveexec_b64 s[20:21], vcc
	s_cbranch_execz .LBB526_984
; %bb.983:                              ;   in Loop: Header=BB526_794 Depth=1
	v_and_b32_e32 v19, 7, v6
	v_ffbh_u32_e32 v20, v19
	v_min_u32_e32 v23, 32, v20
	v_subrev_u32_e32 v20, 28, v23
	v_lshlrev_b64 v[20:21], v20, v[6:7]
	v_lshrrev_b32_e32 v22, 3, v4
	v_sub_u32_e32 v21, 29, v23
	v_and_b32_e32 v20, 7, v20
	v_cmp_gt_u32_e32 vcc, 8, v4
	v_cndmask_b32_e32 v4, v22, v21, vcc
	v_cndmask_b32_e32 v19, v19, v20, vcc
	v_lshlrev_b32_e32 v6, 24, v6
	v_lshlrev_b32_e32 v19, 20, v19
	v_and_b32_e32 v6, 0x80000000, v6
	v_lshl_add_u32 v4, v4, 23, v10
	v_or3_b32 v19, v6, v4, v19
.LBB526_984:                            ;   in Loop: Header=BB526_794 Depth=1
	s_or_b64 exec, exec, s[20:21]
.LBB526_985:                            ;   in Loop: Header=BB526_794 Depth=1
	s_or_b64 exec, exec, s[18:19]
.LBB526_986:                            ;   in Loop: Header=BB526_794 Depth=1
	s_or_b64 exec, exec, s[16:17]
	buffer_load_dword v6, v11, s[0:3], 0 offen offset:32
	buffer_load_dword v4, v11, s[0:3], 0 offen offset:36
	v_cvt_pkrtz_f16_f32 v20, v12, v15
	v_cvt_pkrtz_f16_f32 v21, v14, v17
	v_cvt_pkrtz_f16_f32 v14, v16, v18
	v_cvt_pkrtz_f16_f32 v15, v8, v19
	v_mfma_f32_4x4x4f16 a[0:3], v[2:3], v[20:21], a[0:3] cbsz:4 abid:6
	s_waitcnt vmcnt(1)
	v_cmp_ne_u16_sdwa s[18:19], v6, v9 src0_sel:BYTE_0 src1_sel:DWORD
	v_mfma_f32_4x4x4f16 a[0:3], v[2:3], v[14:15], a[0:3] cbsz:4 abid:7
	s_and_saveexec_b64 s[16:17], s[18:19]
	s_cbranch_execz .LBB526_992
; %bb.987:                              ;   in Loop: Header=BB526_794 Depth=1
	v_cmp_ne_u16_sdwa s[20:21], v6, s5 src0_sel:BYTE_0 src1_sel:DWORD
	v_bfrev_b32_e32 v13, 1
	s_and_saveexec_b64 s[18:19], s[20:21]
	s_cbranch_execz .LBB526_991
; %bb.988:                              ;   in Loop: Header=BB526_794 Depth=1
	v_and_b32_e32 v8, 0x7f, v6
	v_cmp_ne_u32_e32 vcc, s23, v8
	v_mov_b32_e32 v13, 0x7f800001
	s_and_saveexec_b64 s[20:21], vcc
	s_cbranch_execz .LBB526_990
; %bb.989:                              ;   in Loop: Header=BB526_794 Depth=1
	v_and_b32_e32 v14, 7, v6
	v_ffbh_u32_e32 v12, v14
	v_min_u32_e32 v16, 32, v12
	v_subrev_u32_e32 v12, 28, v16
	v_lshlrev_b64 v[12:13], v12, v[6:7]
	v_lshrrev_b32_e32 v15, 3, v8
	v_sub_u32_e32 v13, 29, v16
	v_and_b32_e32 v12, 7, v12
	v_cmp_gt_u32_e32 vcc, 8, v8
	v_cndmask_b32_e32 v8, v15, v13, vcc
	v_cndmask_b32_e32 v12, v14, v12, vcc
	v_lshlrev_b32_e32 v13, 24, v6
	v_lshlrev_b32_e32 v12, 20, v12
	v_and_b32_e32 v13, 0x80000000, v13
	v_lshl_add_u32 v8, v8, 23, v10
	v_or3_b32 v13, v13, v8, v12
.LBB526_990:                            ;   in Loop: Header=BB526_794 Depth=1
	s_or_b64 exec, exec, s[20:21]
.LBB526_991:                            ;   in Loop: Header=BB526_794 Depth=1
	s_or_b64 exec, exec, s[18:19]
.LBB526_992:                            ;   in Loop: Header=BB526_794 Depth=1
	s_or_b64 exec, exec, s[16:17]
	v_lshrrev_b16_e32 v8, 8, v6
	v_cmp_ne_u16_e32 vcc, 0, v8
	v_mov_b32_e32 v12, 0
	v_mov_b32_e32 v15, 0
	s_and_saveexec_b64 s[16:17], vcc
	s_cbranch_execz .LBB526_998
; %bb.993:                              ;   in Loop: Header=BB526_794 Depth=1
	v_cmp_ne_u16_e32 vcc, s5, v8
	v_bfrev_b32_e32 v15, 1
	s_and_saveexec_b64 s[18:19], vcc
	s_cbranch_execz .LBB526_997
; %bb.994:                              ;   in Loop: Header=BB526_794 Depth=1
	v_and_b32_e32 v14, 0x7f, v8
	v_cmp_ne_u32_e32 vcc, s23, v14
	v_mov_b32_e32 v15, 0x7f800001
	s_and_saveexec_b64 s[20:21], vcc
	s_cbranch_execz .LBB526_996
; %bb.995:                              ;   in Loop: Header=BB526_794 Depth=1
	v_and_b32_e32 v15, 7, v8
	v_ffbh_u32_e32 v16, v15
	v_min_u32_e32 v19, 32, v16
	v_subrev_u32_e32 v16, 28, v19
	v_lshlrev_b64 v[16:17], v16, v[8:9]
	v_lshrrev_b32_e32 v18, 3, v14
	v_sub_u32_e32 v8, 29, v19
	v_and_b32_e32 v16, 7, v16
	v_cmp_gt_u32_e32 vcc, 8, v14
	v_cndmask_b32_e32 v8, v18, v8, vcc
	v_cndmask_b32_e32 v14, v15, v16, vcc
	v_lshlrev_b32_e32 v15, 16, v6
	v_lshlrev_b32_e32 v14, 20, v14
	v_and_b32_e32 v15, 0x80000000, v15
	v_lshl_add_u32 v8, v8, 23, v10
	v_or3_b32 v15, v15, v8, v14
.LBB526_996:                            ;   in Loop: Header=BB526_794 Depth=1
	s_or_b64 exec, exec, s[20:21]
.LBB526_997:                            ;   in Loop: Header=BB526_794 Depth=1
	s_or_b64 exec, exec, s[18:19]
.LBB526_998:                            ;   in Loop: Header=BB526_794 Depth=1
	s_or_b64 exec, exec, s[16:17]
	v_lshrrev_b32_e32 v8, 16, v6
	v_cmp_ne_u16_sdwa s[18:19], v8, v9 src0_sel:BYTE_0 src1_sel:DWORD
	s_and_saveexec_b64 s[16:17], s[18:19]
	s_cbranch_execz .LBB526_1004
; %bb.999:                              ;   in Loop: Header=BB526_794 Depth=1
	v_cmp_ne_u16_sdwa s[20:21], v8, s5 src0_sel:BYTE_0 src1_sel:DWORD
	v_bfrev_b32_e32 v12, 1
	s_and_saveexec_b64 s[18:19], s[20:21]
	s_cbranch_execz .LBB526_1003
; %bb.1000:                             ;   in Loop: Header=BB526_794 Depth=1
	v_bfe_u32 v14, v6, 16, 7
	v_cmp_ne_u32_e32 vcc, s23, v14
	v_mov_b32_e32 v12, 0x7f800001
	s_and_saveexec_b64 s[20:21], vcc
	s_cbranch_execz .LBB526_1002
; %bb.1001:                             ;   in Loop: Header=BB526_794 Depth=1
	v_and_b32_e32 v12, 7, v8
	v_ffbh_u32_e32 v16, v12
	v_min_u32_e32 v19, 32, v16
	v_subrev_u32_e32 v16, 28, v19
	v_lshlrev_b64 v[16:17], v16, v[8:9]
	v_lshrrev_b32_e32 v18, 3, v14
	v_sub_u32_e32 v17, 29, v19
	v_and_b32_e32 v16, 7, v16
	v_cmp_gt_u32_e32 vcc, 8, v14
	v_cndmask_b32_e32 v14, v18, v17, vcc
	v_cndmask_b32_e32 v12, v12, v16, vcc
	v_lshlrev_b32_e32 v8, 24, v8
	v_lshlrev_b32_e32 v12, 20, v12
	v_and_b32_e32 v8, 0x80000000, v8
	v_lshl_add_u32 v14, v14, 23, v10
	v_or3_b32 v12, v8, v14, v12
.LBB526_1002:                           ;   in Loop: Header=BB526_794 Depth=1
	s_or_b64 exec, exec, s[20:21]
.LBB526_1003:                           ;   in Loop: Header=BB526_794 Depth=1
	s_or_b64 exec, exec, s[18:19]
.LBB526_1004:                           ;   in Loop: Header=BB526_794 Depth=1
	s_or_b64 exec, exec, s[16:17]
	v_cmp_lt_u32_e32 vcc, s24, v6
	v_mov_b32_e32 v16, 0
	v_mov_b32_e32 v17, 0
	s_and_saveexec_b64 s[16:17], vcc
	s_cbranch_execz .LBB526_1010
; %bb.1005:                             ;   in Loop: Header=BB526_794 Depth=1
	v_lshrrev_b32_e32 v8, 24, v6
	v_cmp_ne_u32_e32 vcc, s5, v8
	v_bfrev_b32_e32 v17, 1
	s_and_saveexec_b64 s[18:19], vcc
	s_cbranch_execz .LBB526_1009
; %bb.1006:                             ;   in Loop: Header=BB526_794 Depth=1
	v_bfe_u32 v6, v6, 24, 7
	v_cmp_ne_u32_e32 vcc, s23, v6
	v_mov_b32_e32 v17, 0x7f800001
	s_and_saveexec_b64 s[20:21], vcc
	s_cbranch_execz .LBB526_1008
; %bb.1007:                             ;   in Loop: Header=BB526_794 Depth=1
	v_and_b32_e32 v14, 7, v8
	v_ffbh_u32_e32 v18, v14
	v_min_u32_e32 v20, 32, v18
	v_subrev_u32_e32 v18, 28, v20
	v_lshlrev_b64 v[18:19], v18, v[8:9]
	v_lshrrev_b32_e32 v17, 3, v6
	v_sub_u32_e32 v19, 29, v20
	v_and_b32_e32 v18, 7, v18
	v_cmp_gt_u32_e32 vcc, 8, v6
	v_cndmask_b32_e32 v6, v17, v19, vcc
	v_cndmask_b32_e32 v14, v14, v18, vcc
	v_lshlrev_b32_e32 v8, 24, v8
	v_lshlrev_b32_e32 v14, 20, v14
	v_and_b32_e32 v8, 0x80000000, v8
	v_lshl_add_u32 v6, v6, 23, v10
	v_or3_b32 v17, v8, v6, v14
.LBB526_1008:                           ;   in Loop: Header=BB526_794 Depth=1
	s_or_b64 exec, exec, s[20:21]
.LBB526_1009:                           ;   in Loop: Header=BB526_794 Depth=1
	s_or_b64 exec, exec, s[18:19]
.LBB526_1010:                           ;   in Loop: Header=BB526_794 Depth=1
	s_or_b64 exec, exec, s[16:17]
	s_waitcnt vmcnt(0)
	v_cmp_ne_u16_sdwa s[18:19], v4, v9 src0_sel:BYTE_0 src1_sel:DWORD
	s_and_saveexec_b64 s[16:17], s[18:19]
	s_cbranch_execz .LBB526_1016
; %bb.1011:                             ;   in Loop: Header=BB526_794 Depth=1
	v_cmp_ne_u16_sdwa s[20:21], v4, s5 src0_sel:BYTE_0 src1_sel:DWORD
	v_bfrev_b32_e32 v16, 1
	s_and_saveexec_b64 s[18:19], s[20:21]
	s_cbranch_execz .LBB526_1015
; %bb.1012:                             ;   in Loop: Header=BB526_794 Depth=1
	v_and_b32_e32 v6, 0x7f, v4
	v_cmp_ne_u32_e32 vcc, s23, v6
	v_mov_b32_e32 v16, 0x7f800001
	s_and_saveexec_b64 s[20:21], vcc
	s_cbranch_execz .LBB526_1014
; %bb.1013:                             ;   in Loop: Header=BB526_794 Depth=1
	v_and_b32_e32 v8, 7, v4
	v_ffbh_u32_e32 v16, v8
	v_min_u32_e32 v16, 32, v16
	v_subrev_u32_e32 v18, 28, v16
	v_lshlrev_b64 v[18:19], v18, v[4:5]
	v_lshrrev_b32_e32 v14, 3, v6
	v_sub_u32_e32 v16, 29, v16
	v_and_b32_e32 v18, 7, v18
	v_cmp_gt_u32_e32 vcc, 8, v6
	v_cndmask_b32_e32 v6, v14, v16, vcc
	v_cndmask_b32_e32 v8, v8, v18, vcc
	v_lshlrev_b32_e32 v14, 24, v4
	v_lshlrev_b32_e32 v8, 20, v8
	v_and_b32_e32 v14, 0x80000000, v14
	v_lshl_add_u32 v6, v6, 23, v10
	v_or3_b32 v16, v14, v6, v8
.LBB526_1014:                           ;   in Loop: Header=BB526_794 Depth=1
	s_or_b64 exec, exec, s[20:21]
.LBB526_1015:                           ;   in Loop: Header=BB526_794 Depth=1
	s_or_b64 exec, exec, s[18:19]
.LBB526_1016:                           ;   in Loop: Header=BB526_794 Depth=1
	s_or_b64 exec, exec, s[16:17]
	v_lshrrev_b16_e32 v6, 8, v4
	v_cmp_ne_u16_e32 vcc, 0, v6
	v_mov_b32_e32 v8, 0
	v_mov_b32_e32 v18, 0
	s_and_saveexec_b64 s[16:17], vcc
	s_cbranch_execz .LBB526_1022
; %bb.1017:                             ;   in Loop: Header=BB526_794 Depth=1
	v_cmp_ne_u16_e32 vcc, s5, v6
	v_bfrev_b32_e32 v18, 1
	s_and_saveexec_b64 s[18:19], vcc
	s_cbranch_execz .LBB526_1021
; %bb.1018:                             ;   in Loop: Header=BB526_794 Depth=1
	v_and_b32_e32 v14, 0x7f, v6
	v_cmp_ne_u32_e32 vcc, s23, v14
	v_mov_b32_e32 v18, 0x7f800001
	s_and_saveexec_b64 s[20:21], vcc
	s_cbranch_execz .LBB526_1020
; %bb.1019:                             ;   in Loop: Header=BB526_794 Depth=1
	v_and_b32_e32 v20, 7, v6
	v_ffbh_u32_e32 v18, v20
	v_min_u32_e32 v22, 32, v18
	v_subrev_u32_e32 v18, 28, v22
	v_lshlrev_b64 v[18:19], v18, v[6:7]
	v_lshrrev_b32_e32 v21, 3, v14
	v_sub_u32_e32 v6, 29, v22
	v_and_b32_e32 v18, 7, v18
	v_cmp_gt_u32_e32 vcc, 8, v14
	v_cndmask_b32_e32 v6, v21, v6, vcc
	v_cndmask_b32_e32 v14, v20, v18, vcc
	v_lshlrev_b32_e32 v18, 16, v4
	v_lshlrev_b32_e32 v14, 20, v14
	v_and_b32_e32 v18, 0x80000000, v18
	v_lshl_add_u32 v6, v6, 23, v10
	v_or3_b32 v18, v18, v6, v14
.LBB526_1020:                           ;   in Loop: Header=BB526_794 Depth=1
	s_or_b64 exec, exec, s[20:21]
.LBB526_1021:                           ;   in Loop: Header=BB526_794 Depth=1
	s_or_b64 exec, exec, s[18:19]
.LBB526_1022:                           ;   in Loop: Header=BB526_794 Depth=1
	s_or_b64 exec, exec, s[16:17]
	v_lshrrev_b32_e32 v6, 16, v4
	v_cmp_ne_u16_sdwa s[18:19], v6, v9 src0_sel:BYTE_0 src1_sel:DWORD
	s_and_saveexec_b64 s[16:17], s[18:19]
	s_cbranch_execz .LBB526_1028
; %bb.1023:                             ;   in Loop: Header=BB526_794 Depth=1
	v_cmp_ne_u16_sdwa s[20:21], v6, s5 src0_sel:BYTE_0 src1_sel:DWORD
	v_bfrev_b32_e32 v8, 1
	s_and_saveexec_b64 s[18:19], s[20:21]
	s_cbranch_execz .LBB526_1027
; %bb.1024:                             ;   in Loop: Header=BB526_794 Depth=1
	v_bfe_u32 v14, v4, 16, 7
	v_cmp_ne_u32_e32 vcc, s23, v14
	v_mov_b32_e32 v8, 0x7f800001
	s_and_saveexec_b64 s[20:21], vcc
	s_cbranch_execz .LBB526_1026
; %bb.1025:                             ;   in Loop: Header=BB526_794 Depth=1
	v_and_b32_e32 v8, 7, v6
	v_ffbh_u32_e32 v20, v8
	v_min_u32_e32 v22, 32, v20
	v_subrev_u32_e32 v20, 28, v22
	v_lshlrev_b64 v[20:21], v20, v[6:7]
	v_lshrrev_b32_e32 v19, 3, v14
	v_sub_u32_e32 v21, 29, v22
	v_and_b32_e32 v20, 7, v20
	v_cmp_gt_u32_e32 vcc, 8, v14
	v_cndmask_b32_e32 v14, v19, v21, vcc
	v_cndmask_b32_e32 v8, v8, v20, vcc
	v_lshlrev_b32_e32 v6, 24, v6
	v_lshlrev_b32_e32 v8, 20, v8
	v_and_b32_e32 v6, 0x80000000, v6
	v_lshl_add_u32 v14, v14, 23, v10
	v_or3_b32 v8, v6, v14, v8
.LBB526_1026:                           ;   in Loop: Header=BB526_794 Depth=1
	s_or_b64 exec, exec, s[20:21]
.LBB526_1027:                           ;   in Loop: Header=BB526_794 Depth=1
	s_or_b64 exec, exec, s[18:19]
.LBB526_1028:                           ;   in Loop: Header=BB526_794 Depth=1
	s_or_b64 exec, exec, s[16:17]
	v_cmp_lt_u32_e32 vcc, s24, v4
	v_mov_b32_e32 v14, 0
	v_mov_b32_e32 v19, 0
	s_and_saveexec_b64 s[16:17], vcc
	s_cbranch_execz .LBB526_1034
; %bb.1029:                             ;   in Loop: Header=BB526_794 Depth=1
	v_lshrrev_b32_e32 v6, 24, v4
	v_cmp_ne_u32_e32 vcc, s5, v6
	v_bfrev_b32_e32 v19, 1
	s_and_saveexec_b64 s[18:19], vcc
	s_cbranch_execz .LBB526_1033
; %bb.1030:                             ;   in Loop: Header=BB526_794 Depth=1
	v_bfe_u32 v4, v4, 24, 7
	v_cmp_ne_u32_e32 vcc, s23, v4
	v_mov_b32_e32 v19, 0x7f800001
	s_and_saveexec_b64 s[20:21], vcc
	s_cbranch_execz .LBB526_1032
; %bb.1031:                             ;   in Loop: Header=BB526_794 Depth=1
	v_and_b32_e32 v19, 7, v6
	v_ffbh_u32_e32 v20, v19
	v_min_u32_e32 v23, 32, v20
	v_subrev_u32_e32 v20, 28, v23
	v_lshlrev_b64 v[20:21], v20, v[6:7]
	v_lshrrev_b32_e32 v22, 3, v4
	v_sub_u32_e32 v21, 29, v23
	v_and_b32_e32 v20, 7, v20
	v_cmp_gt_u32_e32 vcc, 8, v4
	v_cndmask_b32_e32 v4, v22, v21, vcc
	v_cndmask_b32_e32 v19, v19, v20, vcc
	v_lshlrev_b32_e32 v6, 24, v6
	v_lshlrev_b32_e32 v19, 20, v19
	v_and_b32_e32 v6, 0x80000000, v6
	v_lshl_add_u32 v4, v4, 23, v10
	v_or3_b32 v19, v6, v4, v19
.LBB526_1032:                           ;   in Loop: Header=BB526_794 Depth=1
	s_or_b64 exec, exec, s[20:21]
.LBB526_1033:                           ;   in Loop: Header=BB526_794 Depth=1
	s_or_b64 exec, exec, s[18:19]
.LBB526_1034:                           ;   in Loop: Header=BB526_794 Depth=1
	s_or_b64 exec, exec, s[16:17]
	buffer_load_dword v6, v11, s[0:3], 0 offen offset:40
	buffer_load_dword v4, v11, s[0:3], 0 offen offset:44
	v_cvt_pkrtz_f16_f32 v20, v13, v15
	v_cvt_pkrtz_f16_f32 v21, v12, v17
	;; [unrolled: 1-line block ×4, first 2 shown]
	v_mfma_f32_4x4x4f16 a[0:3], v[2:3], v[20:21], a[0:3] cbsz:4 abid:8
	s_waitcnt vmcnt(1)
	v_cmp_ne_u16_sdwa s[18:19], v6, v9 src0_sel:BYTE_0 src1_sel:DWORD
	v_mfma_f32_4x4x4f16 a[0:3], v[2:3], v[12:13], a[0:3] cbsz:4 abid:9
	s_and_saveexec_b64 s[16:17], s[18:19]
	s_cbranch_execz .LBB526_1040
; %bb.1035:                             ;   in Loop: Header=BB526_794 Depth=1
	v_cmp_ne_u16_sdwa s[20:21], v6, s5 src0_sel:BYTE_0 src1_sel:DWORD
	v_bfrev_b32_e32 v14, 1
	s_and_saveexec_b64 s[18:19], s[20:21]
	s_cbranch_execz .LBB526_1039
; %bb.1036:                             ;   in Loop: Header=BB526_794 Depth=1
	v_and_b32_e32 v8, 0x7f, v6
	v_cmp_ne_u32_e32 vcc, s23, v8
	v_mov_b32_e32 v14, 0x7f800001
	s_and_saveexec_b64 s[20:21], vcc
	s_cbranch_execz .LBB526_1038
; %bb.1037:                             ;   in Loop: Header=BB526_794 Depth=1
	v_and_b32_e32 v14, 7, v6
	v_ffbh_u32_e32 v12, v14
	v_min_u32_e32 v16, 32, v12
	v_subrev_u32_e32 v12, 28, v16
	v_lshlrev_b64 v[12:13], v12, v[6:7]
	v_lshrrev_b32_e32 v15, 3, v8
	v_sub_u32_e32 v13, 29, v16
	v_and_b32_e32 v12, 7, v12
	v_cmp_gt_u32_e32 vcc, 8, v8
	v_cndmask_b32_e32 v8, v15, v13, vcc
	v_cndmask_b32_e32 v12, v14, v12, vcc
	v_lshlrev_b32_e32 v13, 24, v6
	v_lshlrev_b32_e32 v12, 20, v12
	v_and_b32_e32 v13, 0x80000000, v13
	v_lshl_add_u32 v8, v8, 23, v10
	v_or3_b32 v14, v13, v8, v12
.LBB526_1038:                           ;   in Loop: Header=BB526_794 Depth=1
	s_or_b64 exec, exec, s[20:21]
.LBB526_1039:                           ;   in Loop: Header=BB526_794 Depth=1
	s_or_b64 exec, exec, s[18:19]
.LBB526_1040:                           ;   in Loop: Header=BB526_794 Depth=1
	s_or_b64 exec, exec, s[16:17]
	v_lshrrev_b16_e32 v8, 8, v6
	v_cmp_ne_u16_e32 vcc, 0, v8
	v_mov_b32_e32 v13, 0
	v_mov_b32_e32 v15, 0
	s_and_saveexec_b64 s[16:17], vcc
	s_cbranch_execz .LBB526_1046
; %bb.1041:                             ;   in Loop: Header=BB526_794 Depth=1
	v_cmp_ne_u16_e32 vcc, s5, v8
	v_bfrev_b32_e32 v15, 1
	s_and_saveexec_b64 s[18:19], vcc
	s_cbranch_execz .LBB526_1045
; %bb.1042:                             ;   in Loop: Header=BB526_794 Depth=1
	v_and_b32_e32 v12, 0x7f, v8
	v_cmp_ne_u32_e32 vcc, s23, v12
	v_mov_b32_e32 v15, 0x7f800001
	s_and_saveexec_b64 s[20:21], vcc
	s_cbranch_execz .LBB526_1044
; %bb.1043:                             ;   in Loop: Header=BB526_794 Depth=1
	v_and_b32_e32 v15, 7, v8
	v_ffbh_u32_e32 v16, v15
	v_min_u32_e32 v19, 32, v16
	v_subrev_u32_e32 v16, 28, v19
	v_lshlrev_b64 v[16:17], v16, v[8:9]
	v_lshrrev_b32_e32 v18, 3, v12
	v_sub_u32_e32 v8, 29, v19
	v_and_b32_e32 v16, 7, v16
	v_cmp_gt_u32_e32 vcc, 8, v12
	v_cndmask_b32_e32 v8, v18, v8, vcc
	v_cndmask_b32_e32 v12, v15, v16, vcc
	v_lshlrev_b32_e32 v15, 16, v6
	v_lshlrev_b32_e32 v12, 20, v12
	v_and_b32_e32 v15, 0x80000000, v15
	v_lshl_add_u32 v8, v8, 23, v10
	v_or3_b32 v15, v15, v8, v12
.LBB526_1044:                           ;   in Loop: Header=BB526_794 Depth=1
	s_or_b64 exec, exec, s[20:21]
.LBB526_1045:                           ;   in Loop: Header=BB526_794 Depth=1
	s_or_b64 exec, exec, s[18:19]
.LBB526_1046:                           ;   in Loop: Header=BB526_794 Depth=1
	s_or_b64 exec, exec, s[16:17]
	v_lshrrev_b32_e32 v8, 16, v6
	v_cmp_ne_u16_sdwa s[18:19], v8, v9 src0_sel:BYTE_0 src1_sel:DWORD
	s_and_saveexec_b64 s[16:17], s[18:19]
	s_cbranch_execz .LBB526_1052
; %bb.1047:                             ;   in Loop: Header=BB526_794 Depth=1
	v_cmp_ne_u16_sdwa s[20:21], v8, s5 src0_sel:BYTE_0 src1_sel:DWORD
	v_bfrev_b32_e32 v13, 1
	s_and_saveexec_b64 s[18:19], s[20:21]
	s_cbranch_execz .LBB526_1051
; %bb.1048:                             ;   in Loop: Header=BB526_794 Depth=1
	v_bfe_u32 v12, v6, 16, 7
	v_cmp_ne_u32_e32 vcc, s23, v12
	v_mov_b32_e32 v13, 0x7f800001
	s_and_saveexec_b64 s[20:21], vcc
	s_cbranch_execz .LBB526_1050
; %bb.1049:                             ;   in Loop: Header=BB526_794 Depth=1
	v_and_b32_e32 v13, 7, v8
	v_ffbh_u32_e32 v16, v13
	v_min_u32_e32 v19, 32, v16
	v_subrev_u32_e32 v16, 28, v19
	v_lshlrev_b64 v[16:17], v16, v[8:9]
	v_lshrrev_b32_e32 v18, 3, v12
	v_sub_u32_e32 v17, 29, v19
	v_and_b32_e32 v16, 7, v16
	v_cmp_gt_u32_e32 vcc, 8, v12
	v_cndmask_b32_e32 v12, v18, v17, vcc
	v_cndmask_b32_e32 v13, v13, v16, vcc
	v_lshlrev_b32_e32 v8, 24, v8
	v_lshlrev_b32_e32 v13, 20, v13
	v_and_b32_e32 v8, 0x80000000, v8
	v_lshl_add_u32 v12, v12, 23, v10
	v_or3_b32 v13, v8, v12, v13
.LBB526_1050:                           ;   in Loop: Header=BB526_794 Depth=1
	s_or_b64 exec, exec, s[20:21]
.LBB526_1051:                           ;   in Loop: Header=BB526_794 Depth=1
	s_or_b64 exec, exec, s[18:19]
.LBB526_1052:                           ;   in Loop: Header=BB526_794 Depth=1
	s_or_b64 exec, exec, s[16:17]
	v_cmp_lt_u32_e32 vcc, s24, v6
	v_mov_b32_e32 v16, 0
	v_mov_b32_e32 v17, 0
	s_and_saveexec_b64 s[16:17], vcc
	s_cbranch_execz .LBB526_1058
; %bb.1053:                             ;   in Loop: Header=BB526_794 Depth=1
	v_lshrrev_b32_e32 v8, 24, v6
	v_cmp_ne_u32_e32 vcc, s5, v8
	v_bfrev_b32_e32 v17, 1
	s_and_saveexec_b64 s[18:19], vcc
	s_cbranch_execz .LBB526_1057
; %bb.1054:                             ;   in Loop: Header=BB526_794 Depth=1
	v_bfe_u32 v6, v6, 24, 7
	v_cmp_ne_u32_e32 vcc, s23, v6
	v_mov_b32_e32 v17, 0x7f800001
	s_and_saveexec_b64 s[20:21], vcc
	s_cbranch_execz .LBB526_1056
; %bb.1055:                             ;   in Loop: Header=BB526_794 Depth=1
	v_and_b32_e32 v12, 7, v8
	v_ffbh_u32_e32 v18, v12
	v_min_u32_e32 v20, 32, v18
	v_subrev_u32_e32 v18, 28, v20
	v_lshlrev_b64 v[18:19], v18, v[8:9]
	v_lshrrev_b32_e32 v17, 3, v6
	v_sub_u32_e32 v19, 29, v20
	v_and_b32_e32 v18, 7, v18
	v_cmp_gt_u32_e32 vcc, 8, v6
	v_cndmask_b32_e32 v6, v17, v19, vcc
	v_cndmask_b32_e32 v12, v12, v18, vcc
	v_lshlrev_b32_e32 v8, 24, v8
	v_lshlrev_b32_e32 v12, 20, v12
	v_and_b32_e32 v8, 0x80000000, v8
	v_lshl_add_u32 v6, v6, 23, v10
	v_or3_b32 v17, v8, v6, v12
.LBB526_1056:                           ;   in Loop: Header=BB526_794 Depth=1
	s_or_b64 exec, exec, s[20:21]
.LBB526_1057:                           ;   in Loop: Header=BB526_794 Depth=1
	s_or_b64 exec, exec, s[18:19]
.LBB526_1058:                           ;   in Loop: Header=BB526_794 Depth=1
	s_or_b64 exec, exec, s[16:17]
	s_waitcnt vmcnt(0)
	v_cmp_ne_u16_sdwa s[18:19], v4, v9 src0_sel:BYTE_0 src1_sel:DWORD
	s_and_saveexec_b64 s[16:17], s[18:19]
	s_cbranch_execz .LBB526_1064
; %bb.1059:                             ;   in Loop: Header=BB526_794 Depth=1
	v_cmp_ne_u16_sdwa s[20:21], v4, s5 src0_sel:BYTE_0 src1_sel:DWORD
	v_bfrev_b32_e32 v16, 1
	s_and_saveexec_b64 s[18:19], s[20:21]
	s_cbranch_execz .LBB526_1063
; %bb.1060:                             ;   in Loop: Header=BB526_794 Depth=1
	v_and_b32_e32 v6, 0x7f, v4
	v_cmp_ne_u32_e32 vcc, s23, v6
	v_mov_b32_e32 v16, 0x7f800001
	s_and_saveexec_b64 s[20:21], vcc
	s_cbranch_execz .LBB526_1062
; %bb.1061:                             ;   in Loop: Header=BB526_794 Depth=1
	v_and_b32_e32 v8, 7, v4
	v_ffbh_u32_e32 v16, v8
	v_min_u32_e32 v16, 32, v16
	v_subrev_u32_e32 v18, 28, v16
	v_lshlrev_b64 v[18:19], v18, v[4:5]
	v_lshrrev_b32_e32 v12, 3, v6
	v_sub_u32_e32 v16, 29, v16
	v_and_b32_e32 v18, 7, v18
	v_cmp_gt_u32_e32 vcc, 8, v6
	v_cndmask_b32_e32 v6, v12, v16, vcc
	v_cndmask_b32_e32 v8, v8, v18, vcc
	v_lshlrev_b32_e32 v12, 24, v4
	v_lshlrev_b32_e32 v8, 20, v8
	v_and_b32_e32 v12, 0x80000000, v12
	v_lshl_add_u32 v6, v6, 23, v10
	v_or3_b32 v16, v12, v6, v8
.LBB526_1062:                           ;   in Loop: Header=BB526_794 Depth=1
	s_or_b64 exec, exec, s[20:21]
.LBB526_1063:                           ;   in Loop: Header=BB526_794 Depth=1
	s_or_b64 exec, exec, s[18:19]
.LBB526_1064:                           ;   in Loop: Header=BB526_794 Depth=1
	s_or_b64 exec, exec, s[16:17]
	v_lshrrev_b16_e32 v6, 8, v4
	v_cmp_ne_u16_e32 vcc, 0, v6
	v_mov_b32_e32 v8, 0
	v_mov_b32_e32 v18, 0
	s_and_saveexec_b64 s[16:17], vcc
	s_cbranch_execz .LBB526_1070
; %bb.1065:                             ;   in Loop: Header=BB526_794 Depth=1
	v_cmp_ne_u16_e32 vcc, s5, v6
	v_bfrev_b32_e32 v18, 1
	s_and_saveexec_b64 s[18:19], vcc
	s_cbranch_execz .LBB526_1069
; %bb.1066:                             ;   in Loop: Header=BB526_794 Depth=1
	v_and_b32_e32 v12, 0x7f, v6
	v_cmp_ne_u32_e32 vcc, s23, v12
	v_mov_b32_e32 v18, 0x7f800001
	s_and_saveexec_b64 s[20:21], vcc
	s_cbranch_execz .LBB526_1068
; %bb.1067:                             ;   in Loop: Header=BB526_794 Depth=1
	v_and_b32_e32 v20, 7, v6
	v_ffbh_u32_e32 v18, v20
	v_min_u32_e32 v22, 32, v18
	v_subrev_u32_e32 v18, 28, v22
	v_lshlrev_b64 v[18:19], v18, v[6:7]
	v_lshrrev_b32_e32 v21, 3, v12
	v_sub_u32_e32 v6, 29, v22
	v_and_b32_e32 v18, 7, v18
	v_cmp_gt_u32_e32 vcc, 8, v12
	v_cndmask_b32_e32 v6, v21, v6, vcc
	v_cndmask_b32_e32 v12, v20, v18, vcc
	v_lshlrev_b32_e32 v18, 16, v4
	v_lshlrev_b32_e32 v12, 20, v12
	v_and_b32_e32 v18, 0x80000000, v18
	v_lshl_add_u32 v6, v6, 23, v10
	v_or3_b32 v18, v18, v6, v12
.LBB526_1068:                           ;   in Loop: Header=BB526_794 Depth=1
	s_or_b64 exec, exec, s[20:21]
.LBB526_1069:                           ;   in Loop: Header=BB526_794 Depth=1
	s_or_b64 exec, exec, s[18:19]
.LBB526_1070:                           ;   in Loop: Header=BB526_794 Depth=1
	s_or_b64 exec, exec, s[16:17]
	v_lshrrev_b32_e32 v6, 16, v4
	v_cmp_ne_u16_sdwa s[18:19], v6, v9 src0_sel:BYTE_0 src1_sel:DWORD
	s_and_saveexec_b64 s[16:17], s[18:19]
	s_cbranch_execz .LBB526_1076
; %bb.1071:                             ;   in Loop: Header=BB526_794 Depth=1
	v_cmp_ne_u16_sdwa s[20:21], v6, s5 src0_sel:BYTE_0 src1_sel:DWORD
	v_bfrev_b32_e32 v8, 1
	s_and_saveexec_b64 s[18:19], s[20:21]
	s_cbranch_execz .LBB526_1075
; %bb.1072:                             ;   in Loop: Header=BB526_794 Depth=1
	v_bfe_u32 v12, v4, 16, 7
	v_cmp_ne_u32_e32 vcc, s23, v12
	v_mov_b32_e32 v8, 0x7f800001
	s_and_saveexec_b64 s[20:21], vcc
	s_cbranch_execz .LBB526_1074
; %bb.1073:                             ;   in Loop: Header=BB526_794 Depth=1
	v_and_b32_e32 v8, 7, v6
	v_ffbh_u32_e32 v20, v8
	v_min_u32_e32 v22, 32, v20
	v_subrev_u32_e32 v20, 28, v22
	v_lshlrev_b64 v[20:21], v20, v[6:7]
	v_lshrrev_b32_e32 v19, 3, v12
	v_sub_u32_e32 v21, 29, v22
	v_and_b32_e32 v20, 7, v20
	v_cmp_gt_u32_e32 vcc, 8, v12
	v_cndmask_b32_e32 v12, v19, v21, vcc
	v_cndmask_b32_e32 v8, v8, v20, vcc
	v_lshlrev_b32_e32 v6, 24, v6
	v_lshlrev_b32_e32 v8, 20, v8
	v_and_b32_e32 v6, 0x80000000, v6
	v_lshl_add_u32 v12, v12, 23, v10
	v_or3_b32 v8, v6, v12, v8
.LBB526_1074:                           ;   in Loop: Header=BB526_794 Depth=1
	s_or_b64 exec, exec, s[20:21]
.LBB526_1075:                           ;   in Loop: Header=BB526_794 Depth=1
	s_or_b64 exec, exec, s[18:19]
.LBB526_1076:                           ;   in Loop: Header=BB526_794 Depth=1
	s_or_b64 exec, exec, s[16:17]
	v_cmp_lt_u32_e32 vcc, s24, v4
	v_mov_b32_e32 v12, 0
	v_mov_b32_e32 v19, 0
	s_and_saveexec_b64 s[16:17], vcc
	s_cbranch_execz .LBB526_1082
; %bb.1077:                             ;   in Loop: Header=BB526_794 Depth=1
	v_lshrrev_b32_e32 v6, 24, v4
	v_cmp_ne_u32_e32 vcc, s5, v6
	v_bfrev_b32_e32 v19, 1
	s_and_saveexec_b64 s[18:19], vcc
	s_cbranch_execz .LBB526_1081
; %bb.1078:                             ;   in Loop: Header=BB526_794 Depth=1
	v_bfe_u32 v4, v4, 24, 7
	v_cmp_ne_u32_e32 vcc, s23, v4
	v_mov_b32_e32 v19, 0x7f800001
	s_and_saveexec_b64 s[20:21], vcc
	s_cbranch_execz .LBB526_1080
; %bb.1079:                             ;   in Loop: Header=BB526_794 Depth=1
	v_and_b32_e32 v19, 7, v6
	v_ffbh_u32_e32 v20, v19
	v_min_u32_e32 v23, 32, v20
	v_subrev_u32_e32 v20, 28, v23
	v_lshlrev_b64 v[20:21], v20, v[6:7]
	v_lshrrev_b32_e32 v22, 3, v4
	v_sub_u32_e32 v21, 29, v23
	v_and_b32_e32 v20, 7, v20
	v_cmp_gt_u32_e32 vcc, 8, v4
	v_cndmask_b32_e32 v4, v22, v21, vcc
	v_cndmask_b32_e32 v19, v19, v20, vcc
	v_lshlrev_b32_e32 v6, 24, v6
	v_lshlrev_b32_e32 v19, 20, v19
	v_and_b32_e32 v6, 0x80000000, v6
	v_lshl_add_u32 v4, v4, 23, v10
	v_or3_b32 v19, v6, v4, v19
.LBB526_1080:                           ;   in Loop: Header=BB526_794 Depth=1
	s_or_b64 exec, exec, s[20:21]
.LBB526_1081:                           ;   in Loop: Header=BB526_794 Depth=1
	s_or_b64 exec, exec, s[18:19]
.LBB526_1082:                           ;   in Loop: Header=BB526_794 Depth=1
	s_or_b64 exec, exec, s[16:17]
	buffer_load_dword v6, v11, s[0:3], 0 offen offset:48
	buffer_load_dword v4, v11, s[0:3], 0 offen offset:52
	v_cvt_pkrtz_f16_f32 v14, v14, v15
	v_cvt_pkrtz_f16_f32 v15, v13, v17
	;; [unrolled: 1-line block ×4, first 2 shown]
	v_mfma_f32_4x4x4f16 a[0:3], v[2:3], v[14:15], a[0:3] cbsz:4 abid:10
	s_waitcnt vmcnt(1)
	v_cmp_ne_u16_sdwa s[18:19], v6, v9 src0_sel:BYTE_0 src1_sel:DWORD
	v_mfma_f32_4x4x4f16 a[0:3], v[2:3], v[16:17], a[0:3] cbsz:4 abid:11
	s_and_saveexec_b64 s[16:17], s[18:19]
	s_cbranch_execz .LBB526_1088
; %bb.1083:                             ;   in Loop: Header=BB526_794 Depth=1
	v_cmp_ne_u16_sdwa s[20:21], v6, s5 src0_sel:BYTE_0 src1_sel:DWORD
	v_bfrev_b32_e32 v12, 1
	s_and_saveexec_b64 s[18:19], s[20:21]
	s_cbranch_execz .LBB526_1087
; %bb.1084:                             ;   in Loop: Header=BB526_794 Depth=1
	v_and_b32_e32 v8, 0x7f, v6
	v_cmp_ne_u32_e32 vcc, s23, v8
	v_mov_b32_e32 v12, 0x7f800001
	s_and_saveexec_b64 s[20:21], vcc
	s_cbranch_execz .LBB526_1086
; %bb.1085:                             ;   in Loop: Header=BB526_794 Depth=1
	v_and_b32_e32 v14, 7, v6
	v_ffbh_u32_e32 v12, v14
	v_min_u32_e32 v16, 32, v12
	v_subrev_u32_e32 v12, 28, v16
	v_lshlrev_b64 v[12:13], v12, v[6:7]
	v_lshrrev_b32_e32 v15, 3, v8
	v_sub_u32_e32 v13, 29, v16
	v_and_b32_e32 v12, 7, v12
	v_cmp_gt_u32_e32 vcc, 8, v8
	v_cndmask_b32_e32 v8, v15, v13, vcc
	v_cndmask_b32_e32 v12, v14, v12, vcc
	v_lshlrev_b32_e32 v13, 24, v6
	v_lshlrev_b32_e32 v12, 20, v12
	v_and_b32_e32 v13, 0x80000000, v13
	v_lshl_add_u32 v8, v8, 23, v10
	v_or3_b32 v12, v13, v8, v12
.LBB526_1086:                           ;   in Loop: Header=BB526_794 Depth=1
	s_or_b64 exec, exec, s[20:21]
.LBB526_1087:                           ;   in Loop: Header=BB526_794 Depth=1
	s_or_b64 exec, exec, s[18:19]
.LBB526_1088:                           ;   in Loop: Header=BB526_794 Depth=1
	s_or_b64 exec, exec, s[16:17]
	v_lshrrev_b16_e32 v8, 8, v6
	v_cmp_ne_u16_e32 vcc, 0, v8
	v_mov_b32_e32 v14, 0
	v_mov_b32_e32 v15, 0
	s_and_saveexec_b64 s[16:17], vcc
	s_cbranch_execz .LBB526_1094
; %bb.1089:                             ;   in Loop: Header=BB526_794 Depth=1
	v_cmp_ne_u16_e32 vcc, s5, v8
	v_bfrev_b32_e32 v15, 1
	s_and_saveexec_b64 s[18:19], vcc
	s_cbranch_execz .LBB526_1093
; %bb.1090:                             ;   in Loop: Header=BB526_794 Depth=1
	v_and_b32_e32 v13, 0x7f, v8
	v_cmp_ne_u32_e32 vcc, s23, v13
	v_mov_b32_e32 v15, 0x7f800001
	s_and_saveexec_b64 s[20:21], vcc
	s_cbranch_execz .LBB526_1092
; %bb.1091:                             ;   in Loop: Header=BB526_794 Depth=1
	v_and_b32_e32 v15, 7, v8
	v_ffbh_u32_e32 v16, v15
	v_min_u32_e32 v19, 32, v16
	v_subrev_u32_e32 v16, 28, v19
	v_lshlrev_b64 v[16:17], v16, v[8:9]
	v_lshrrev_b32_e32 v18, 3, v13
	v_sub_u32_e32 v8, 29, v19
	v_and_b32_e32 v16, 7, v16
	v_cmp_gt_u32_e32 vcc, 8, v13
	v_cndmask_b32_e32 v8, v18, v8, vcc
	v_cndmask_b32_e32 v13, v15, v16, vcc
	v_lshlrev_b32_e32 v15, 16, v6
	v_lshlrev_b32_e32 v13, 20, v13
	v_and_b32_e32 v15, 0x80000000, v15
	v_lshl_add_u32 v8, v8, 23, v10
	v_or3_b32 v15, v15, v8, v13
.LBB526_1092:                           ;   in Loop: Header=BB526_794 Depth=1
	s_or_b64 exec, exec, s[20:21]
.LBB526_1093:                           ;   in Loop: Header=BB526_794 Depth=1
	s_or_b64 exec, exec, s[18:19]
.LBB526_1094:                           ;   in Loop: Header=BB526_794 Depth=1
	s_or_b64 exec, exec, s[16:17]
	v_lshrrev_b32_e32 v8, 16, v6
	v_cmp_ne_u16_sdwa s[18:19], v8, v9 src0_sel:BYTE_0 src1_sel:DWORD
	s_and_saveexec_b64 s[16:17], s[18:19]
	s_cbranch_execz .LBB526_1100
; %bb.1095:                             ;   in Loop: Header=BB526_794 Depth=1
	v_cmp_ne_u16_sdwa s[20:21], v8, s5 src0_sel:BYTE_0 src1_sel:DWORD
	v_bfrev_b32_e32 v14, 1
	s_and_saveexec_b64 s[18:19], s[20:21]
	s_cbranch_execz .LBB526_1099
; %bb.1096:                             ;   in Loop: Header=BB526_794 Depth=1
	v_bfe_u32 v13, v6, 16, 7
	v_cmp_ne_u32_e32 vcc, s23, v13
	v_mov_b32_e32 v14, 0x7f800001
	s_and_saveexec_b64 s[20:21], vcc
	s_cbranch_execz .LBB526_1098
; %bb.1097:                             ;   in Loop: Header=BB526_794 Depth=1
	v_and_b32_e32 v14, 7, v8
	v_ffbh_u32_e32 v16, v14
	v_min_u32_e32 v19, 32, v16
	v_subrev_u32_e32 v16, 28, v19
	v_lshlrev_b64 v[16:17], v16, v[8:9]
	v_lshrrev_b32_e32 v18, 3, v13
	v_sub_u32_e32 v17, 29, v19
	v_and_b32_e32 v16, 7, v16
	v_cmp_gt_u32_e32 vcc, 8, v13
	v_cndmask_b32_e32 v13, v18, v17, vcc
	v_cndmask_b32_e32 v14, v14, v16, vcc
	v_lshlrev_b32_e32 v8, 24, v8
	v_lshlrev_b32_e32 v14, 20, v14
	v_and_b32_e32 v8, 0x80000000, v8
	v_lshl_add_u32 v13, v13, 23, v10
	v_or3_b32 v14, v8, v13, v14
.LBB526_1098:                           ;   in Loop: Header=BB526_794 Depth=1
	s_or_b64 exec, exec, s[20:21]
.LBB526_1099:                           ;   in Loop: Header=BB526_794 Depth=1
	s_or_b64 exec, exec, s[18:19]
.LBB526_1100:                           ;   in Loop: Header=BB526_794 Depth=1
	s_or_b64 exec, exec, s[16:17]
	v_cmp_lt_u32_e32 vcc, s24, v6
	v_mov_b32_e32 v16, 0
	v_mov_b32_e32 v17, 0
	s_and_saveexec_b64 s[16:17], vcc
	s_cbranch_execz .LBB526_1106
; %bb.1101:                             ;   in Loop: Header=BB526_794 Depth=1
	v_lshrrev_b32_e32 v8, 24, v6
	v_cmp_ne_u32_e32 vcc, s5, v8
	v_bfrev_b32_e32 v17, 1
	s_and_saveexec_b64 s[18:19], vcc
	s_cbranch_execz .LBB526_1105
; %bb.1102:                             ;   in Loop: Header=BB526_794 Depth=1
	v_bfe_u32 v6, v6, 24, 7
	v_cmp_ne_u32_e32 vcc, s23, v6
	v_mov_b32_e32 v17, 0x7f800001
	s_and_saveexec_b64 s[20:21], vcc
	s_cbranch_execz .LBB526_1104
; %bb.1103:                             ;   in Loop: Header=BB526_794 Depth=1
	v_and_b32_e32 v13, 7, v8
	v_ffbh_u32_e32 v18, v13
	v_min_u32_e32 v20, 32, v18
	v_subrev_u32_e32 v18, 28, v20
	v_lshlrev_b64 v[18:19], v18, v[8:9]
	v_lshrrev_b32_e32 v17, 3, v6
	v_sub_u32_e32 v19, 29, v20
	v_and_b32_e32 v18, 7, v18
	v_cmp_gt_u32_e32 vcc, 8, v6
	v_cndmask_b32_e32 v6, v17, v19, vcc
	v_cndmask_b32_e32 v13, v13, v18, vcc
	v_lshlrev_b32_e32 v8, 24, v8
	v_lshlrev_b32_e32 v13, 20, v13
	v_and_b32_e32 v8, 0x80000000, v8
	v_lshl_add_u32 v6, v6, 23, v10
	v_or3_b32 v17, v8, v6, v13
.LBB526_1104:                           ;   in Loop: Header=BB526_794 Depth=1
	s_or_b64 exec, exec, s[20:21]
.LBB526_1105:                           ;   in Loop: Header=BB526_794 Depth=1
	s_or_b64 exec, exec, s[18:19]
.LBB526_1106:                           ;   in Loop: Header=BB526_794 Depth=1
	s_or_b64 exec, exec, s[16:17]
	s_waitcnt vmcnt(0)
	v_cmp_ne_u16_sdwa s[18:19], v4, v9 src0_sel:BYTE_0 src1_sel:DWORD
	s_and_saveexec_b64 s[16:17], s[18:19]
	s_cbranch_execz .LBB526_1112
; %bb.1107:                             ;   in Loop: Header=BB526_794 Depth=1
	v_cmp_ne_u16_sdwa s[20:21], v4, s5 src0_sel:BYTE_0 src1_sel:DWORD
	v_bfrev_b32_e32 v16, 1
	s_and_saveexec_b64 s[18:19], s[20:21]
	s_cbranch_execz .LBB526_1111
; %bb.1108:                             ;   in Loop: Header=BB526_794 Depth=1
	v_and_b32_e32 v6, 0x7f, v4
	v_cmp_ne_u32_e32 vcc, s23, v6
	v_mov_b32_e32 v16, 0x7f800001
	s_and_saveexec_b64 s[20:21], vcc
	s_cbranch_execz .LBB526_1110
; %bb.1109:                             ;   in Loop: Header=BB526_794 Depth=1
	v_and_b32_e32 v8, 7, v4
	v_ffbh_u32_e32 v16, v8
	v_min_u32_e32 v16, 32, v16
	v_subrev_u32_e32 v18, 28, v16
	v_lshlrev_b64 v[18:19], v18, v[4:5]
	v_lshrrev_b32_e32 v13, 3, v6
	v_sub_u32_e32 v16, 29, v16
	v_and_b32_e32 v18, 7, v18
	v_cmp_gt_u32_e32 vcc, 8, v6
	v_cndmask_b32_e32 v6, v13, v16, vcc
	v_cndmask_b32_e32 v8, v8, v18, vcc
	v_lshlrev_b32_e32 v13, 24, v4
	v_lshlrev_b32_e32 v8, 20, v8
	v_and_b32_e32 v13, 0x80000000, v13
	v_lshl_add_u32 v6, v6, 23, v10
	v_or3_b32 v16, v13, v6, v8
.LBB526_1110:                           ;   in Loop: Header=BB526_794 Depth=1
	s_or_b64 exec, exec, s[20:21]
.LBB526_1111:                           ;   in Loop: Header=BB526_794 Depth=1
	s_or_b64 exec, exec, s[18:19]
.LBB526_1112:                           ;   in Loop: Header=BB526_794 Depth=1
	s_or_b64 exec, exec, s[16:17]
	v_lshrrev_b16_e32 v6, 8, v4
	v_cmp_ne_u16_e32 vcc, 0, v6
	v_mov_b32_e32 v8, 0
	v_mov_b32_e32 v18, 0
	s_and_saveexec_b64 s[16:17], vcc
	s_cbranch_execz .LBB526_1118
; %bb.1113:                             ;   in Loop: Header=BB526_794 Depth=1
	v_cmp_ne_u16_e32 vcc, s5, v6
	v_bfrev_b32_e32 v18, 1
	s_and_saveexec_b64 s[18:19], vcc
	s_cbranch_execz .LBB526_1117
; %bb.1114:                             ;   in Loop: Header=BB526_794 Depth=1
	v_and_b32_e32 v13, 0x7f, v6
	v_cmp_ne_u32_e32 vcc, s23, v13
	v_mov_b32_e32 v18, 0x7f800001
	s_and_saveexec_b64 s[20:21], vcc
	s_cbranch_execz .LBB526_1116
; %bb.1115:                             ;   in Loop: Header=BB526_794 Depth=1
	v_and_b32_e32 v20, 7, v6
	v_ffbh_u32_e32 v18, v20
	v_min_u32_e32 v22, 32, v18
	v_subrev_u32_e32 v18, 28, v22
	v_lshlrev_b64 v[18:19], v18, v[6:7]
	v_lshrrev_b32_e32 v21, 3, v13
	v_sub_u32_e32 v6, 29, v22
	v_and_b32_e32 v18, 7, v18
	v_cmp_gt_u32_e32 vcc, 8, v13
	v_cndmask_b32_e32 v6, v21, v6, vcc
	v_cndmask_b32_e32 v13, v20, v18, vcc
	v_lshlrev_b32_e32 v18, 16, v4
	v_lshlrev_b32_e32 v13, 20, v13
	v_and_b32_e32 v18, 0x80000000, v18
	v_lshl_add_u32 v6, v6, 23, v10
	v_or3_b32 v18, v18, v6, v13
.LBB526_1116:                           ;   in Loop: Header=BB526_794 Depth=1
	s_or_b64 exec, exec, s[20:21]
.LBB526_1117:                           ;   in Loop: Header=BB526_794 Depth=1
	s_or_b64 exec, exec, s[18:19]
.LBB526_1118:                           ;   in Loop: Header=BB526_794 Depth=1
	s_or_b64 exec, exec, s[16:17]
	v_lshrrev_b32_e32 v6, 16, v4
	v_cmp_ne_u16_sdwa s[18:19], v6, v9 src0_sel:BYTE_0 src1_sel:DWORD
	s_and_saveexec_b64 s[16:17], s[18:19]
	s_cbranch_execz .LBB526_1124
; %bb.1119:                             ;   in Loop: Header=BB526_794 Depth=1
	v_cmp_ne_u16_sdwa s[20:21], v6, s5 src0_sel:BYTE_0 src1_sel:DWORD
	v_bfrev_b32_e32 v8, 1
	s_and_saveexec_b64 s[18:19], s[20:21]
	s_cbranch_execz .LBB526_1123
; %bb.1120:                             ;   in Loop: Header=BB526_794 Depth=1
	v_bfe_u32 v13, v4, 16, 7
	v_cmp_ne_u32_e32 vcc, s23, v13
	v_mov_b32_e32 v8, 0x7f800001
	s_and_saveexec_b64 s[20:21], vcc
	s_cbranch_execz .LBB526_1122
; %bb.1121:                             ;   in Loop: Header=BB526_794 Depth=1
	v_and_b32_e32 v8, 7, v6
	v_ffbh_u32_e32 v20, v8
	v_min_u32_e32 v22, 32, v20
	v_subrev_u32_e32 v20, 28, v22
	v_lshlrev_b64 v[20:21], v20, v[6:7]
	v_lshrrev_b32_e32 v19, 3, v13
	v_sub_u32_e32 v21, 29, v22
	v_and_b32_e32 v20, 7, v20
	v_cmp_gt_u32_e32 vcc, 8, v13
	v_cndmask_b32_e32 v13, v19, v21, vcc
	v_cndmask_b32_e32 v8, v8, v20, vcc
	v_lshlrev_b32_e32 v6, 24, v6
	v_lshlrev_b32_e32 v8, 20, v8
	v_and_b32_e32 v6, 0x80000000, v6
	v_lshl_add_u32 v13, v13, 23, v10
	v_or3_b32 v8, v6, v13, v8
.LBB526_1122:                           ;   in Loop: Header=BB526_794 Depth=1
	s_or_b64 exec, exec, s[20:21]
.LBB526_1123:                           ;   in Loop: Header=BB526_794 Depth=1
	s_or_b64 exec, exec, s[18:19]
.LBB526_1124:                           ;   in Loop: Header=BB526_794 Depth=1
	s_or_b64 exec, exec, s[16:17]
	v_cmp_lt_u32_e32 vcc, s24, v4
	v_mov_b32_e32 v13, 0
	v_mov_b32_e32 v19, 0
	s_and_saveexec_b64 s[16:17], vcc
	s_cbranch_execz .LBB526_1130
; %bb.1125:                             ;   in Loop: Header=BB526_794 Depth=1
	v_lshrrev_b32_e32 v6, 24, v4
	v_cmp_ne_u32_e32 vcc, s5, v6
	v_bfrev_b32_e32 v19, 1
	s_and_saveexec_b64 s[18:19], vcc
	s_cbranch_execz .LBB526_1129
; %bb.1126:                             ;   in Loop: Header=BB526_794 Depth=1
	v_bfe_u32 v4, v4, 24, 7
	v_cmp_ne_u32_e32 vcc, s23, v4
	v_mov_b32_e32 v19, 0x7f800001
	s_and_saveexec_b64 s[20:21], vcc
	s_cbranch_execz .LBB526_1128
; %bb.1127:                             ;   in Loop: Header=BB526_794 Depth=1
	v_and_b32_e32 v19, 7, v6
	v_ffbh_u32_e32 v20, v19
	v_min_u32_e32 v23, 32, v20
	v_subrev_u32_e32 v20, 28, v23
	v_lshlrev_b64 v[20:21], v20, v[6:7]
	v_lshrrev_b32_e32 v22, 3, v4
	v_sub_u32_e32 v21, 29, v23
	v_and_b32_e32 v20, 7, v20
	v_cmp_gt_u32_e32 vcc, 8, v4
	v_cndmask_b32_e32 v4, v22, v21, vcc
	v_cndmask_b32_e32 v19, v19, v20, vcc
	v_lshlrev_b32_e32 v6, 24, v6
	v_lshlrev_b32_e32 v19, 20, v19
	v_and_b32_e32 v6, 0x80000000, v6
	v_lshl_add_u32 v4, v4, 23, v10
	v_or3_b32 v19, v6, v4, v19
.LBB526_1128:                           ;   in Loop: Header=BB526_794 Depth=1
	s_or_b64 exec, exec, s[20:21]
.LBB526_1129:                           ;   in Loop: Header=BB526_794 Depth=1
	s_or_b64 exec, exec, s[18:19]
.LBB526_1130:                           ;   in Loop: Header=BB526_794 Depth=1
	s_or_b64 exec, exec, s[16:17]
	buffer_load_dword v6, v11, s[0:3], 0 offen offset:56
	buffer_load_dword v4, v11, s[0:3], 0 offen offset:60
	v_cvt_pkrtz_f16_f32 v20, v12, v15
	v_cvt_pkrtz_f16_f32 v21, v14, v17
	v_cvt_pkrtz_f16_f32 v14, v16, v18
	v_cvt_pkrtz_f16_f32 v15, v8, v19
	v_mfma_f32_4x4x4f16 a[0:3], v[2:3], v[20:21], a[0:3] cbsz:4 abid:12
	s_waitcnt vmcnt(1)
	v_cmp_ne_u16_sdwa s[18:19], v6, v9 src0_sel:BYTE_0 src1_sel:DWORD
	v_mfma_f32_4x4x4f16 a[0:3], v[2:3], v[14:15], a[0:3] cbsz:4 abid:13
	s_and_saveexec_b64 s[16:17], s[18:19]
	s_cbranch_execz .LBB526_1136
; %bb.1131:                             ;   in Loop: Header=BB526_794 Depth=1
	v_cmp_ne_u16_sdwa s[20:21], v6, s5 src0_sel:BYTE_0 src1_sel:DWORD
	v_bfrev_b32_e32 v13, 1
	s_and_saveexec_b64 s[18:19], s[20:21]
	s_cbranch_execz .LBB526_1135
; %bb.1132:                             ;   in Loop: Header=BB526_794 Depth=1
	v_and_b32_e32 v8, 0x7f, v6
	v_cmp_ne_u32_e32 vcc, s23, v8
	v_mov_b32_e32 v13, 0x7f800001
	s_and_saveexec_b64 s[20:21], vcc
	s_cbranch_execz .LBB526_1134
; %bb.1133:                             ;   in Loop: Header=BB526_794 Depth=1
	v_and_b32_e32 v11, 7, v6
	v_ffbh_u32_e32 v12, v11
	v_min_u32_e32 v15, 32, v12
	v_subrev_u32_e32 v12, 28, v15
	v_lshlrev_b64 v[12:13], v12, v[6:7]
	v_lshrrev_b32_e32 v14, 3, v8
	v_sub_u32_e32 v13, 29, v15
	v_and_b32_e32 v12, 7, v12
	v_cmp_gt_u32_e32 vcc, 8, v8
	v_cndmask_b32_e32 v8, v14, v13, vcc
	v_cndmask_b32_e32 v11, v11, v12, vcc
	v_lshlrev_b32_e32 v12, 24, v6
	v_lshlrev_b32_e32 v11, 20, v11
	v_and_b32_e32 v12, 0x80000000, v12
	v_lshl_add_u32 v8, v8, 23, v10
	v_or3_b32 v13, v12, v8, v11
.LBB526_1134:                           ;   in Loop: Header=BB526_794 Depth=1
	s_or_b64 exec, exec, s[20:21]
.LBB526_1135:                           ;   in Loop: Header=BB526_794 Depth=1
	s_or_b64 exec, exec, s[18:19]
.LBB526_1136:                           ;   in Loop: Header=BB526_794 Depth=1
	s_or_b64 exec, exec, s[16:17]
	v_lshrrev_b16_e32 v8, 8, v6
	v_cmp_ne_u16_e32 vcc, 0, v8
	v_mov_b32_e32 v11, 0
	v_mov_b32_e32 v12, 0
	s_and_saveexec_b64 s[16:17], vcc
	s_cbranch_execz .LBB526_1142
; %bb.1137:                             ;   in Loop: Header=BB526_794 Depth=1
	v_cmp_ne_u16_e32 vcc, s5, v8
	v_bfrev_b32_e32 v12, 1
	s_and_saveexec_b64 s[18:19], vcc
	s_cbranch_execz .LBB526_1141
; %bb.1138:                             ;   in Loop: Header=BB526_794 Depth=1
	v_and_b32_e32 v14, 0x7f, v8
	v_cmp_ne_u32_e32 vcc, s23, v14
	v_mov_b32_e32 v12, 0x7f800001
	s_and_saveexec_b64 s[20:21], vcc
	s_cbranch_execz .LBB526_1140
; %bb.1139:                             ;   in Loop: Header=BB526_794 Depth=1
	v_and_b32_e32 v12, 7, v8
	v_ffbh_u32_e32 v16, v12
	v_min_u32_e32 v18, 32, v16
	v_subrev_u32_e32 v16, 28, v18
	v_lshlrev_b64 v[16:17], v16, v[8:9]
	v_lshrrev_b32_e32 v15, 3, v14
	v_sub_u32_e32 v8, 29, v18
	v_and_b32_e32 v16, 7, v16
	v_cmp_gt_u32_e32 vcc, 8, v14
	v_cndmask_b32_e32 v8, v15, v8, vcc
	v_cndmask_b32_e32 v12, v12, v16, vcc
	v_lshlrev_b32_e32 v14, 16, v6
	v_lshlrev_b32_e32 v12, 20, v12
	v_and_b32_e32 v14, 0x80000000, v14
	v_lshl_add_u32 v8, v8, 23, v10
	v_or3_b32 v12, v14, v8, v12
.LBB526_1140:                           ;   in Loop: Header=BB526_794 Depth=1
	s_or_b64 exec, exec, s[20:21]
.LBB526_1141:                           ;   in Loop: Header=BB526_794 Depth=1
	s_or_b64 exec, exec, s[18:19]
.LBB526_1142:                           ;   in Loop: Header=BB526_794 Depth=1
	s_or_b64 exec, exec, s[16:17]
	v_lshrrev_b32_e32 v8, 16, v6
	v_cmp_ne_u16_sdwa s[18:19], v8, v9 src0_sel:BYTE_0 src1_sel:DWORD
	s_and_saveexec_b64 s[16:17], s[18:19]
	s_cbranch_execz .LBB526_1148
; %bb.1143:                             ;   in Loop: Header=BB526_794 Depth=1
	v_cmp_ne_u16_sdwa s[20:21], v8, s5 src0_sel:BYTE_0 src1_sel:DWORD
	v_bfrev_b32_e32 v11, 1
	s_and_saveexec_b64 s[18:19], s[20:21]
	s_cbranch_execz .LBB526_1147
; %bb.1144:                             ;   in Loop: Header=BB526_794 Depth=1
	v_bfe_u32 v14, v6, 16, 7
	v_cmp_ne_u32_e32 vcc, s23, v14
	v_mov_b32_e32 v11, 0x7f800001
	s_and_saveexec_b64 s[20:21], vcc
	s_cbranch_execz .LBB526_1146
; %bb.1145:                             ;   in Loop: Header=BB526_794 Depth=1
	v_and_b32_e32 v11, 7, v8
	v_ffbh_u32_e32 v16, v11
	v_min_u32_e32 v18, 32, v16
	v_subrev_u32_e32 v16, 28, v18
	v_lshlrev_b64 v[16:17], v16, v[8:9]
	v_lshrrev_b32_e32 v15, 3, v14
	v_sub_u32_e32 v17, 29, v18
	v_and_b32_e32 v16, 7, v16
	v_cmp_gt_u32_e32 vcc, 8, v14
	v_cndmask_b32_e32 v14, v15, v17, vcc
	v_cndmask_b32_e32 v11, v11, v16, vcc
	v_lshlrev_b32_e32 v8, 24, v8
	v_lshlrev_b32_e32 v11, 20, v11
	v_and_b32_e32 v8, 0x80000000, v8
	v_lshl_add_u32 v14, v14, 23, v10
	v_or3_b32 v11, v8, v14, v11
.LBB526_1146:                           ;   in Loop: Header=BB526_794 Depth=1
	s_or_b64 exec, exec, s[20:21]
.LBB526_1147:                           ;   in Loop: Header=BB526_794 Depth=1
	s_or_b64 exec, exec, s[18:19]
.LBB526_1148:                           ;   in Loop: Header=BB526_794 Depth=1
	s_or_b64 exec, exec, s[16:17]
	v_cmp_lt_u32_e32 vcc, s24, v6
	v_mov_b32_e32 v14, 0
	v_mov_b32_e32 v15, 0
	s_and_saveexec_b64 s[16:17], vcc
	s_cbranch_execz .LBB526_1154
; %bb.1149:                             ;   in Loop: Header=BB526_794 Depth=1
	v_lshrrev_b32_e32 v8, 24, v6
	v_cmp_ne_u32_e32 vcc, s5, v8
	v_bfrev_b32_e32 v15, 1
	s_and_saveexec_b64 s[18:19], vcc
	s_cbranch_execz .LBB526_1153
; %bb.1150:                             ;   in Loop: Header=BB526_794 Depth=1
	v_bfe_u32 v6, v6, 24, 7
	v_cmp_ne_u32_e32 vcc, s23, v6
	v_mov_b32_e32 v15, 0x7f800001
	s_and_saveexec_b64 s[20:21], vcc
	s_cbranch_execz .LBB526_1152
; %bb.1151:                             ;   in Loop: Header=BB526_794 Depth=1
	v_and_b32_e32 v15, 7, v8
	v_ffbh_u32_e32 v16, v15
	v_min_u32_e32 v19, 32, v16
	v_subrev_u32_e32 v16, 28, v19
	v_lshlrev_b64 v[16:17], v16, v[8:9]
	v_lshrrev_b32_e32 v18, 3, v6
	v_sub_u32_e32 v17, 29, v19
	v_and_b32_e32 v16, 7, v16
	v_cmp_gt_u32_e32 vcc, 8, v6
	v_cndmask_b32_e32 v6, v18, v17, vcc
	v_cndmask_b32_e32 v15, v15, v16, vcc
	v_lshlrev_b32_e32 v8, 24, v8
	v_lshlrev_b32_e32 v15, 20, v15
	v_and_b32_e32 v8, 0x80000000, v8
	v_lshl_add_u32 v6, v6, 23, v10
	v_or3_b32 v15, v8, v6, v15
.LBB526_1152:                           ;   in Loop: Header=BB526_794 Depth=1
	s_or_b64 exec, exec, s[20:21]
.LBB526_1153:                           ;   in Loop: Header=BB526_794 Depth=1
	s_or_b64 exec, exec, s[18:19]
.LBB526_1154:                           ;   in Loop: Header=BB526_794 Depth=1
	s_or_b64 exec, exec, s[16:17]
	s_waitcnt vmcnt(0)
	v_cmp_ne_u16_sdwa s[18:19], v4, v9 src0_sel:BYTE_0 src1_sel:DWORD
	s_and_saveexec_b64 s[16:17], s[18:19]
	s_cbranch_execz .LBB526_1160
; %bb.1155:                             ;   in Loop: Header=BB526_794 Depth=1
	v_cmp_ne_u16_sdwa s[20:21], v4, s5 src0_sel:BYTE_0 src1_sel:DWORD
	v_bfrev_b32_e32 v14, 1
	s_and_saveexec_b64 s[18:19], s[20:21]
	s_cbranch_execz .LBB526_1159
; %bb.1156:                             ;   in Loop: Header=BB526_794 Depth=1
	v_and_b32_e32 v6, 0x7f, v4
	v_cmp_ne_u32_e32 vcc, s23, v6
	v_mov_b32_e32 v14, 0x7f800001
	s_and_saveexec_b64 s[20:21], vcc
	s_cbranch_execz .LBB526_1158
; %bb.1157:                             ;   in Loop: Header=BB526_794 Depth=1
	v_and_b32_e32 v8, 7, v4
	v_ffbh_u32_e32 v16, v8
	v_min_u32_e32 v18, 32, v16
	v_subrev_u32_e32 v16, 28, v18
	v_lshlrev_b64 v[16:17], v16, v[4:5]
	v_lshrrev_b32_e32 v14, 3, v6
	v_sub_u32_e32 v17, 29, v18
	v_and_b32_e32 v16, 7, v16
	v_cmp_gt_u32_e32 vcc, 8, v6
	v_cndmask_b32_e32 v6, v14, v17, vcc
	v_cndmask_b32_e32 v8, v8, v16, vcc
	v_lshlrev_b32_e32 v14, 24, v4
	v_lshlrev_b32_e32 v8, 20, v8
	v_and_b32_e32 v14, 0x80000000, v14
	v_lshl_add_u32 v6, v6, 23, v10
	v_or3_b32 v14, v14, v6, v8
.LBB526_1158:                           ;   in Loop: Header=BB526_794 Depth=1
	s_or_b64 exec, exec, s[20:21]
.LBB526_1159:                           ;   in Loop: Header=BB526_794 Depth=1
	s_or_b64 exec, exec, s[18:19]
.LBB526_1160:                           ;   in Loop: Header=BB526_794 Depth=1
	s_or_b64 exec, exec, s[16:17]
	v_lshrrev_b16_e32 v6, 8, v4
	v_cmp_ne_u16_e32 vcc, 0, v6
	v_mov_b32_e32 v8, 0
	v_mov_b32_e32 v16, 0
	s_and_saveexec_b64 s[16:17], vcc
	s_cbranch_execz .LBB526_1166
; %bb.1161:                             ;   in Loop: Header=BB526_794 Depth=1
	v_cmp_ne_u16_e32 vcc, s5, v6
	v_bfrev_b32_e32 v16, 1
	s_and_saveexec_b64 s[18:19], vcc
	s_cbranch_execz .LBB526_1165
; %bb.1162:                             ;   in Loop: Header=BB526_794 Depth=1
	v_and_b32_e32 v17, 0x7f, v6
	v_cmp_ne_u32_e32 vcc, s23, v17
	v_mov_b32_e32 v16, 0x7f800001
	s_and_saveexec_b64 s[20:21], vcc
	s_cbranch_execz .LBB526_1164
; %bb.1163:                             ;   in Loop: Header=BB526_794 Depth=1
	v_and_b32_e32 v16, 7, v6
	v_ffbh_u32_e32 v18, v16
	v_min_u32_e32 v21, 32, v18
	v_subrev_u32_e32 v18, 28, v21
	v_lshlrev_b64 v[18:19], v18, v[6:7]
	v_lshrrev_b32_e32 v20, 3, v17
	v_sub_u32_e32 v6, 29, v21
	v_and_b32_e32 v18, 7, v18
	v_cmp_gt_u32_e32 vcc, 8, v17
	v_cndmask_b32_e32 v6, v20, v6, vcc
	v_cndmask_b32_e32 v16, v16, v18, vcc
	v_lshlrev_b32_e32 v17, 16, v4
	v_lshlrev_b32_e32 v16, 20, v16
	v_and_b32_e32 v17, 0x80000000, v17
	v_lshl_add_u32 v6, v6, 23, v10
	v_or3_b32 v16, v17, v6, v16
.LBB526_1164:                           ;   in Loop: Header=BB526_794 Depth=1
	s_or_b64 exec, exec, s[20:21]
.LBB526_1165:                           ;   in Loop: Header=BB526_794 Depth=1
	s_or_b64 exec, exec, s[18:19]
.LBB526_1166:                           ;   in Loop: Header=BB526_794 Depth=1
	s_or_b64 exec, exec, s[16:17]
	v_lshrrev_b32_e32 v6, 16, v4
	v_cmp_ne_u16_sdwa s[18:19], v6, v9 src0_sel:BYTE_0 src1_sel:DWORD
	s_and_saveexec_b64 s[16:17], s[18:19]
	s_cbranch_execz .LBB526_1172
; %bb.1167:                             ;   in Loop: Header=BB526_794 Depth=1
	v_cmp_ne_u16_sdwa s[20:21], v6, s5 src0_sel:BYTE_0 src1_sel:DWORD
	v_bfrev_b32_e32 v8, 1
	s_and_saveexec_b64 s[18:19], s[20:21]
	s_cbranch_execz .LBB526_1171
; %bb.1168:                             ;   in Loop: Header=BB526_794 Depth=1
	v_bfe_u32 v17, v4, 16, 7
	v_cmp_ne_u32_e32 vcc, s23, v17
	v_mov_b32_e32 v8, 0x7f800001
	s_and_saveexec_b64 s[20:21], vcc
	s_cbranch_execz .LBB526_1170
; %bb.1169:                             ;   in Loop: Header=BB526_794 Depth=1
	v_and_b32_e32 v8, 7, v6
	v_ffbh_u32_e32 v18, v8
	v_min_u32_e32 v21, 32, v18
	v_subrev_u32_e32 v18, 28, v21
	v_lshlrev_b64 v[18:19], v18, v[6:7]
	v_lshrrev_b32_e32 v20, 3, v17
	v_sub_u32_e32 v19, 29, v21
	v_and_b32_e32 v18, 7, v18
	v_cmp_gt_u32_e32 vcc, 8, v17
	v_cndmask_b32_e32 v17, v20, v19, vcc
	v_cndmask_b32_e32 v8, v8, v18, vcc
	v_lshlrev_b32_e32 v6, 24, v6
	v_lshlrev_b32_e32 v8, 20, v8
	v_and_b32_e32 v6, 0x80000000, v6
	v_lshl_add_u32 v17, v17, 23, v10
	v_or3_b32 v8, v6, v17, v8
.LBB526_1170:                           ;   in Loop: Header=BB526_794 Depth=1
	s_or_b64 exec, exec, s[20:21]
.LBB526_1171:                           ;   in Loop: Header=BB526_794 Depth=1
	s_or_b64 exec, exec, s[18:19]
.LBB526_1172:                           ;   in Loop: Header=BB526_794 Depth=1
	s_or_b64 exec, exec, s[16:17]
	v_cmp_lt_u32_e32 vcc, s24, v4
	v_mov_b32_e32 v17, 0
	s_and_saveexec_b64 s[16:17], vcc
	s_cbranch_execz .LBB526_793
; %bb.1173:                             ;   in Loop: Header=BB526_794 Depth=1
	v_lshrrev_b32_e32 v6, 24, v4
	v_cmp_ne_u32_e32 vcc, s5, v6
	v_bfrev_b32_e32 v17, 1
	s_and_saveexec_b64 s[18:19], vcc
	s_cbranch_execz .LBB526_792
; %bb.1174:                             ;   in Loop: Header=BB526_794 Depth=1
	v_bfe_u32 v4, v4, 24, 7
	v_cmp_ne_u32_e32 vcc, s23, v4
	v_mov_b32_e32 v17, 0x7f800001
	s_and_saveexec_b64 s[20:21], vcc
	s_cbranch_execz .LBB526_791
; %bb.1175:                             ;   in Loop: Header=BB526_794 Depth=1
	v_and_b32_e32 v17, 7, v6
	v_ffbh_u32_e32 v18, v17
	v_min_u32_e32 v21, 32, v18
	v_subrev_u32_e32 v18, 28, v21
	v_lshlrev_b64 v[18:19], v18, v[6:7]
	v_lshrrev_b32_e32 v20, 3, v4
	v_sub_u32_e32 v19, 29, v21
	v_and_b32_e32 v18, 7, v18
	v_cmp_gt_u32_e32 vcc, 8, v4
	v_cndmask_b32_e32 v4, v20, v19, vcc
	v_cndmask_b32_e32 v17, v17, v18, vcc
	v_lshlrev_b32_e32 v6, 24, v6
	v_lshlrev_b32_e32 v17, 20, v17
	v_and_b32_e32 v6, 0x80000000, v6
	v_lshl_add_u32 v4, v4, 23, v10
	v_or3_b32 v17, v6, v4, v17
	s_branch .LBB526_791
.LBB526_1176:
	s_or_b64 exec, exec, s[6:7]
	v_cmp_gt_u32_e32 vcc, 64, v0
	s_waitcnt lgkmcnt(0)
	s_barrier
	s_and_saveexec_b64 s[6:7], vcc
	s_cbranch_execz .LBB526_1178
; %bb.1177:
	v_mov_b32_e32 v2, 0xa00
	v_mad_u32_u24 v2, v1, 40, v2
	v_mov_b32_e32 v6, 0xa10
	ds_read2_b64 v[2:5], v2 offset1:1
	s_waitcnt lgkmcnt(0)
	v_mad_u32_u24 v3, v1, 40, v6
	ds_read2_b64 v[6:9], v3 offset1:1
	v_mul_u32_u24_e32 v5, 40, v1
	s_mul_i32 s10, s10, s11
	v_pk_add_f16 v1, v2, 0
	v_pk_add_f16 v1, v1, v4
	s_waitcnt lgkmcnt(0)
	v_pk_add_f16 v1, v1, v6
	s_mov_b32 s5, 0
	v_pk_add_f16 v10, v1, v8
	s_lshl_b32 s4, s4, 7
	v_lshl_or_b32 v0, s10, 7, v0
	v_mov_b32_e32 v1, 0
	s_lshl_b64 s[6:7], s[4:5], 1
	v_lshlrev_b64 v[8:9], 1, v[0:1]
	ds_read2_b64 v[0:3], v5 offset1:1
	ds_read2_b64 v[4:7], v5 offset0:2 offset1:3
	s_add_u32 s6, s30, s6
	s_addc_u32 s7, s31, s7
	s_lshl_b32 s4, s28, 7
	s_lshl_b64 s[4:5], s[4:5], 1
	s_add_u32 s4, s6, s4
	s_waitcnt lgkmcnt(1)
	v_pk_add_f16 v0, v0, 0
	s_addc_u32 s5, s7, s5
	v_pk_add_f16 v0, v0, v2
	v_mov_b32_e32 v11, s5
	v_add_co_u32_e32 v8, vcc, s4, v8
	s_waitcnt lgkmcnt(0)
	v_pk_add_f16 v0, v0, v4
	v_addc_co_u32_e32 v9, vcc, v11, v9, vcc
	v_pk_add_f16 v0, v0, v6
	global_store_short v[8:9], v0, off
	global_store_short v[8:9], v10, off offset:128
.LBB526_1178:
	s_endpgm
	.section	.rodata,"a",@progbits
	.p2align	6, 0x0
	.amdhsa_kernel _Z38paged_attention_ll4mi_QKV_mfma4_kernelIDF16_hLN4vllm18Fp8KVCacheDataTypeE1EDF16_Li32ELi128ELi256ELb0ELi1EEvPKT_PKT0_S7_ifPKiS9_S9_iPKfiiiPfSC_PS2_PT2_iSB_SB_
		.amdhsa_group_segment_fixed_size 5280
		.amdhsa_private_segment_fixed_size 144
		.amdhsa_kernarg_size 400
		.amdhsa_user_sgpr_count 8
		.amdhsa_user_sgpr_private_segment_buffer 1
		.amdhsa_user_sgpr_dispatch_ptr 0
		.amdhsa_user_sgpr_queue_ptr 0
		.amdhsa_user_sgpr_kernarg_segment_ptr 1
		.amdhsa_user_sgpr_dispatch_id 0
		.amdhsa_user_sgpr_flat_scratch_init 1
		.amdhsa_user_sgpr_kernarg_preload_length 0
		.amdhsa_user_sgpr_kernarg_preload_offset 0
		.amdhsa_user_sgpr_private_segment_size 0
		.amdhsa_uses_dynamic_stack 0
		.amdhsa_system_sgpr_private_segment_wavefront_offset 1
		.amdhsa_system_sgpr_workgroup_id_x 1
		.amdhsa_system_sgpr_workgroup_id_y 1
		.amdhsa_system_sgpr_workgroup_id_z 1
		.amdhsa_system_sgpr_workgroup_info 0
		.amdhsa_system_vgpr_workitem_id 0
		.amdhsa_next_free_vgpr 80
		.amdhsa_next_free_sgpr 46
		.amdhsa_accum_offset 76
		.amdhsa_reserve_vcc 1
		.amdhsa_reserve_flat_scratch 0
		.amdhsa_float_round_mode_32 0
		.amdhsa_float_round_mode_16_64 0
		.amdhsa_float_denorm_mode_32 3
		.amdhsa_float_denorm_mode_16_64 3
		.amdhsa_dx10_clamp 1
		.amdhsa_ieee_mode 1
		.amdhsa_fp16_overflow 0
		.amdhsa_tg_split 0
		.amdhsa_exception_fp_ieee_invalid_op 0
		.amdhsa_exception_fp_denorm_src 0
		.amdhsa_exception_fp_ieee_div_zero 0
		.amdhsa_exception_fp_ieee_overflow 0
		.amdhsa_exception_fp_ieee_underflow 0
		.amdhsa_exception_fp_ieee_inexact 0
		.amdhsa_exception_int_div_zero 0
	.end_amdhsa_kernel
	.section	.text._Z38paged_attention_ll4mi_QKV_mfma4_kernelIDF16_hLN4vllm18Fp8KVCacheDataTypeE1EDF16_Li32ELi128ELi256ELb0ELi1EEvPKT_PKT0_S7_ifPKiS9_S9_iPKfiiiPfSC_PS2_PT2_iSB_SB_,"axG",@progbits,_Z38paged_attention_ll4mi_QKV_mfma4_kernelIDF16_hLN4vllm18Fp8KVCacheDataTypeE1EDF16_Li32ELi128ELi256ELb0ELi1EEvPKT_PKT0_S7_ifPKiS9_S9_iPKfiiiPfSC_PS2_PT2_iSB_SB_,comdat
.Lfunc_end526:
	.size	_Z38paged_attention_ll4mi_QKV_mfma4_kernelIDF16_hLN4vllm18Fp8KVCacheDataTypeE1EDF16_Li32ELi128ELi256ELb0ELi1EEvPKT_PKT0_S7_ifPKiS9_S9_iPKfiiiPfSC_PS2_PT2_iSB_SB_, .Lfunc_end526-_Z38paged_attention_ll4mi_QKV_mfma4_kernelIDF16_hLN4vllm18Fp8KVCacheDataTypeE1EDF16_Li32ELi128ELi256ELb0ELi1EEvPKT_PKT0_S7_ifPKiS9_S9_iPKfiiiPfSC_PS2_PT2_iSB_SB_
                                        ; -- End function
	.section	.AMDGPU.csdata,"",@progbits
; Kernel info:
; codeLenInByte = 40308
; NumSgprs: 50
; NumVgprs: 74
; NumAgprs: 4
; TotalNumVgprs: 80
; ScratchSize: 144
; MemoryBound: 0
; FloatMode: 240
; IeeeMode: 1
; LDSByteSize: 5280 bytes/workgroup (compile time only)
; SGPRBlocks: 6
; VGPRBlocks: 9
; NumSGPRsForWavesPerEU: 50
; NumVGPRsForWavesPerEU: 80
; AccumOffset: 76
; Occupancy: 6
; WaveLimiterHint : 1
; COMPUTE_PGM_RSRC2:SCRATCH_EN: 1
; COMPUTE_PGM_RSRC2:USER_SGPR: 8
; COMPUTE_PGM_RSRC2:TRAP_HANDLER: 0
; COMPUTE_PGM_RSRC2:TGID_X_EN: 1
; COMPUTE_PGM_RSRC2:TGID_Y_EN: 1
; COMPUTE_PGM_RSRC2:TGID_Z_EN: 1
; COMPUTE_PGM_RSRC2:TIDIG_COMP_CNT: 0
; COMPUTE_PGM_RSRC3_GFX90A:ACCUM_OFFSET: 18
; COMPUTE_PGM_RSRC3_GFX90A:TG_SPLIT: 0
	.section	.text._Z38paged_attention_ll4mi_QKV_mfma4_kernelIDF16_hLN4vllm18Fp8KVCacheDataTypeE1EDF16_Li32ELi128ELi256ELb0ELi2EEvPKT_PKT0_S7_ifPKiS9_S9_iPKfiiiPfSC_PS2_PT2_iSB_SB_,"axG",@progbits,_Z38paged_attention_ll4mi_QKV_mfma4_kernelIDF16_hLN4vllm18Fp8KVCacheDataTypeE1EDF16_Li32ELi128ELi256ELb0ELi2EEvPKT_PKT0_S7_ifPKiS9_S9_iPKfiiiPfSC_PS2_PT2_iSB_SB_,comdat
	.protected	_Z38paged_attention_ll4mi_QKV_mfma4_kernelIDF16_hLN4vllm18Fp8KVCacheDataTypeE1EDF16_Li32ELi128ELi256ELb0ELi2EEvPKT_PKT0_S7_ifPKiS9_S9_iPKfiiiPfSC_PS2_PT2_iSB_SB_ ; -- Begin function _Z38paged_attention_ll4mi_QKV_mfma4_kernelIDF16_hLN4vllm18Fp8KVCacheDataTypeE1EDF16_Li32ELi128ELi256ELb0ELi2EEvPKT_PKT0_S7_ifPKiS9_S9_iPKfiiiPfSC_PS2_PT2_iSB_SB_
	.globl	_Z38paged_attention_ll4mi_QKV_mfma4_kernelIDF16_hLN4vllm18Fp8KVCacheDataTypeE1EDF16_Li32ELi128ELi256ELb0ELi2EEvPKT_PKT0_S7_ifPKiS9_S9_iPKfiiiPfSC_PS2_PT2_iSB_SB_
	.p2align	8
	.type	_Z38paged_attention_ll4mi_QKV_mfma4_kernelIDF16_hLN4vllm18Fp8KVCacheDataTypeE1EDF16_Li32ELi128ELi256ELb0ELi2EEvPKT_PKT0_S7_ifPKiS9_S9_iPKfiiiPfSC_PS2_PT2_iSB_SB_,@function
_Z38paged_attention_ll4mi_QKV_mfma4_kernelIDF16_hLN4vllm18Fp8KVCacheDataTypeE1EDF16_Li32ELi128ELi256ELb0ELi2EEvPKT_PKT0_S7_ifPKiS9_S9_iPKfiiiPfSC_PS2_PT2_iSB_SB_: ; @_Z38paged_attention_ll4mi_QKV_mfma4_kernelIDF16_hLN4vllm18Fp8KVCacheDataTypeE1EDF16_Li32ELi128ELi256ELb0ELi2EEvPKT_PKT0_S7_ifPKiS9_S9_iPKfiiiPfSC_PS2_PT2_iSB_SB_
; %bb.0:
	s_load_dwordx2 s[12:13], s[4:5], 0x30
	s_add_u32 s0, s0, s11
	s_addc_u32 s1, s1, 0
	s_mov_b32 s28, s9
	s_mov_b64 s[6:7], 0
	s_waitcnt lgkmcnt(0)
	s_cmp_lg_u64 s[12:13], 0
	s_cselect_b64 s[14:15], -1, 0
	s_and_b64 vcc, exec, s[14:15]
	s_cbranch_vccz .LBB527_10
; %bb.1:
	s_add_i32 s16, s8, 1
	s_mov_b32 s17, 0
	s_lshl_b64 s[18:19], s[16:17], 2
	s_add_u32 s18, s12, s18
	s_mov_b32 s9, s17
	s_addc_u32 s19, s13, s19
	s_lshl_b64 s[16:17], s[8:9], 2
	s_add_u32 s16, s12, s16
	s_addc_u32 s17, s13, s17
	s_load_dword s11, s[18:19], 0x0
	s_load_dword s20, s[16:17], 0x0
	s_waitcnt lgkmcnt(0)
	s_sub_i32 s11, s11, s20
	s_cmp_eq_u32 s11, 1
	s_cselect_b64 s[16:17], -1, 0
	s_andn2_b64 vcc, exec, s[6:7]
	s_cbranch_vccnz .LBB527_3
.LBB527_2:
	s_mov_b32 s9, 0
	s_mov_b64 s[16:17], -1
.LBB527_3:
	s_andn2_b64 vcc, exec, s[16:17]
	s_cbranch_vccnz .LBB527_1178
; %bb.4:
	s_load_dword s11, s[4:5], 0x9c
	s_load_dwordx2 s[6:7], s[4:5], 0x28
	s_add_u32 s34, s4, 0x90
	s_addc_u32 s35, s5, 0
	s_lshl_b64 s[38:39], s[8:9], 2
	s_waitcnt lgkmcnt(0)
	s_and_b32 s11, s11, 0xffff
	s_add_u32 s6, s6, s38
	s_addc_u32 s7, s7, s39
	s_load_dword s9, s[6:7], 0x0
	s_mul_i32 s11, s28, s11
	s_waitcnt lgkmcnt(0)
	s_cmp_ge_i32 s11, s9
	s_cbranch_scc1 .LBB527_1178
; %bb.5:
	v_and_b32_e32 v1, 0xc0, v0
	v_add_u32_e32 v7, s11, v1
	v_lshrrev_b32_e32 v42, 6, v0
	v_cmp_le_i32_e64 s[6:7], s9, v7
                                        ; implicit-def: $sgpr25
                                        ; implicit-def: $sgpr24
	s_and_saveexec_b64 s[16:17], s[6:7]
	s_xor_b64 s[16:17], exec, s[16:17]
	s_cbranch_execz .LBB527_7
; %bb.6:
	v_mul_u32_u24_e32 v1, 20, v42
	v_or_b32_e32 v1, 0x1400, v1
	v_mov_b32_e32 v2, 0x1450
	v_mov_b32_e32 v3, 0xff7fffff
	v_mad_u32_u24 v2, v42, 20, v2
	ds_write2_b32 v1, v3, v3 offset1:1
	v_mov_b32_e32 v1, 0
	ds_write2_b32 v2, v1, v1 offset1:1
	v_mov_b32_e32 v2, 0x1408
	s_mov_b32 s24, 0xff7fffff
	s_mov_b32 s25, 0
	v_mad_u32_u24 v2, v42, 20, v2
	v_mov_b32_e32 v4, 0x1458
	v_mad_u32_u24 v4, v42, 20, v4
	ds_write2_b32 v2, v3, v3 offset1:1
	ds_write2_b32 v4, v1, v1 offset1:1
                                        ; implicit-def: $vgpr7
.LBB527_7:
	s_or_saveexec_b64 s[36:37], s[16:17]
	s_load_dwordx2 s[30:31], s[4:5], 0x68
	s_load_dwordx4 s[20:23], s[4:5], 0x58
	s_load_dword s33, s[34:35], 0x4
	s_load_dwordx4 s[16:19], s[4:5], 0x80
	v_and_b32_e32 v1, 63, v0
	v_and_b32_e32 v43, 3, v0
	v_mov_b32_e32 v5, s25
	v_mov_b32_e32 v6, s24
	;; [unrolled: 1-line block ×5, first 2 shown]
	s_xor_b64 exec, exec, s[36:37]
	s_cbranch_execz .LBB527_785
; %bb.8:
	s_add_i32 s27, s9, 31
	s_load_dwordx2 s[24:25], s[4:5], 0x20
	s_load_dword s26, s[4:5], 0x38
	s_ashr_i32 s29, s27, 31
	s_lshr_b32 s29, s29, 27
	v_add_u32_e32 v44, s11, v0
	s_add_i32 s27, s27, s29
	v_ashrrev_i32_e32 v2, 31, v44
	s_ashr_i32 s27, s27, 5
	v_lshrrev_b32_e32 v2, 27, v2
	s_add_i32 s29, s27, -1
	v_add_u32_e32 v2, v44, v2
	s_waitcnt lgkmcnt(0)
	s_mul_i32 s26, s8, s26
	s_mov_b32 s27, 0
	v_ashrrev_i32_e32 v2, 5, v2
	v_mov_b32_e32 v3, s29
	v_cmp_gt_i32_e32 vcc, s9, v44
	s_lshl_b64 s[26:27], s[26:27], 2
	v_cndmask_b32_e32 v2, v3, v2, vcc
	s_add_u32 s24, s24, s26
	v_ashrrev_i32_e32 v3, 31, v2
	s_addc_u32 s25, s25, s27
	v_lshlrev_b64 v[2:3], 2, v[2:3]
	v_mov_b32_e32 v4, s25
	v_add_co_u32_e32 v2, vcc, s24, v2
	v_addc_co_u32_e32 v3, vcc, v4, v3, vcc
	v_ashrrev_i32_e32 v4, 31, v7
	v_lshrrev_b32_e32 v4, 27, v4
	v_add_u32_e32 v4, v7, v4
	v_ashrrev_i32_e32 v6, 5, v4
	v_min_i32_e32 v4, s29, v6
	v_ashrrev_i32_e32 v5, 31, v4
	v_lshlrev_b64 v[4:5], 2, v[4:5]
	v_add_u32_e32 v6, 1, v6
	v_mov_b32_e32 v7, s25
	v_add_co_u32_e32 v4, vcc, s24, v4
	v_min_i32_e32 v6, s29, v6
	v_addc_co_u32_e32 v5, vcc, v7, v5, vcc
	v_ashrrev_i32_e32 v7, 31, v6
	v_lshlrev_b64 v[6:7], 2, v[6:7]
	v_mov_b32_e32 v8, s25
	v_add_co_u32_e32 v10, vcc, s24, v6
	v_addc_co_u32_e32 v11, vcc, v8, v7, vcc
	global_load_dword v6, v[2:3], off
	global_load_dword v8, v[4:5], off
	;; [unrolled: 1-line block ×3, first 2 shown]
	s_load_dwordx4 s[24:27], s[4:5], 0x8
	s_andn2_b64 vcc, exec, s[14:15]
	s_cbranch_vccnz .LBB527_11
; %bb.9:
	s_add_u32 s12, s12, s38
	s_addc_u32 s13, s13, s39
	s_load_dword s11, s[12:13], 0x0
	s_branch .LBB527_12
.LBB527_10:
	s_mov_b64 s[16:17], 0
	s_branch .LBB527_2
.LBB527_11:
	s_mov_b32 s11, s8
.LBB527_12:
	s_load_dwordx4 s[12:15], s[4:5], 0x48
	v_cmp_gt_u32_e32 vcc, 2, v43
	s_mov_b32 s41, 0
	v_mov_b32_e32 v39, 0
	v_mov_b32_e32 v2, 0
	;; [unrolled: 1-line block ×5, first 2 shown]
	s_and_saveexec_b64 s[38:39], vcc
	s_cbranch_execz .LBB527_14
; %bb.13:
	s_load_dwordx2 s[42:43], s[4:5], 0x0
	s_waitcnt lgkmcnt(0)
	s_ashr_i32 s15, s12, 31
	s_mul_hi_u32 s29, s11, s12
	s_mul_i32 s15, s11, s15
	s_add_i32 s45, s29, s15
	s_mul_i32 s44, s11, s12
	s_lshl_b64 s[44:45], s[44:45], 1
	s_add_u32 s11, s42, s44
	s_addc_u32 s12, s43, s45
	s_lshl_b32 s40, s10, 8
	s_lshl_b64 s[40:41], s[40:41], 1
	v_lshlrev_b32_e32 v2, 2, v1
	s_add_u32 s40, s11, s40
	v_and_b32_e32 v2, 0xf0, v2
	s_addc_u32 s41, s12, s41
	v_lshl_or_b32 v2, v43, 8, v2
	global_load_dwordx4 v[2:5], v2, s[40:41]
.LBB527_14:
	s_or_b64 exec, exec, s[38:39]
	s_waitcnt lgkmcnt(0)
	s_mul_i32 s11, s10, s14
	s_waitcnt vmcnt(1)
	v_mul_hi_i32 v9, v8, s13
	s_add_u32 s14, s11, s24
	v_ashrrev_i32_e32 v9, 31, v9
	s_addc_u32 s15, 0, s25
	v_lshrrev_b32_e32 v38, 29, v9
	s_add_u32 s11, s26, s11
	v_mad_i64_i32 v[8:9], s[24:25], v8, s13, v[38:39]
	s_addc_u32 s26, s27, 0
	v_and_b32_e32 v8, -8, v8
	v_mov_b32_e32 v10, s26
	v_add_co_u32_e32 v8, vcc, s11, v8
	v_addc_co_u32_e32 v9, vcc, v10, v9, vcc
	v_lshlrev_b32_e32 v16, 5, v1
	v_add_co_u32_e32 v12, vcc, v8, v16
	v_addc_co_u32_e32 v13, vcc, 0, v9, vcc
	global_load_dwordx4 v[8:11], v[12:13], off
	global_load_dwordx4 v[46:49], v[12:13], off offset:16
	v_lshlrev_b32_e32 v14, 4, v0
	s_waitcnt vmcnt(2)
	v_mul_hi_i32 v15, v7, s13
	v_and_b32_e32 v17, 0x1f0, v14
	v_ashrrev_i32_e32 v18, 31, v15
	v_pk_mov_b32 v[14:15], s[14:15], s[14:15] op_sel:[0,1]
	v_lshrrev_b32_e32 v38, 29, v18
	v_mad_i64_i32 v[14:15], s[14:15], v6, s13, v[14:15]
	v_mad_i64_i32 v[6:7], s[12:13], v7, s13, v[38:39]
	v_add_co_u32_e32 v40, vcc, v14, v17
	v_addc_co_u32_e32 v41, vcc, 0, v15, vcc
	v_and_b32_e32 v6, -8, v6
	v_mov_b32_e32 v14, s26
	v_add_co_u32_e32 v6, vcc, s11, v6
	v_addc_co_u32_e32 v7, vcc, v14, v7, vcc
	v_add_co_u32_e32 v6, vcc, v6, v16
	v_addc_co_u32_e32 v7, vcc, 0, v7, vcc
	global_load_dwordx4 v[50:53], v[12:13], off offset:2064
	global_load_dwordx4 v[54:57], v[12:13], off offset:2048
	;; [unrolled: 1-line block ×3, first 2 shown]
	global_load_dwordx4 v[62:65], v[6:7], off
	global_load_dwordx4 v[34:37], v[40:41], off
	global_load_dwordx4 v[30:33], v[40:41], off offset:512
	global_load_dwordx4 v[26:29], v[40:41], off offset:1024
	;; [unrolled: 1-line block ×5, first 2 shown]
	v_mov_b32_e32 v45, 0
	s_waitcnt vmcnt(11)
	buffer_store_dword v9, off, s[0:3], 0 offset:4
	buffer_store_dword v8, off, s[0:3], 0
	buffer_store_dword v11, off, s[0:3], 0 offset:12
	buffer_store_dword v10, off, s[0:3], 0 offset:8
	global_load_dwordx4 v[18:21], v[40:41], off offset:2048
	global_load_dwordx4 v[14:17], v[40:41], off offset:2560
	s_waitcnt vmcnt(16)
	buffer_store_dword v47, off, s[0:3], 0 offset:20
	buffer_store_dword v46, off, s[0:3], 0 offset:16
	;; [unrolled: 1-line block ×4, first 2 shown]
	global_load_dwordx4 v[10:13], v[40:41], off offset:3072
	global_load_dwordx4 v[6:9], v[40:41], off offset:3584
	s_waitcnt vmcnt(20)
	buffer_store_dword v55, off, s[0:3], 0 offset:68
	buffer_store_dword v54, off, s[0:3], 0 offset:64
	buffer_store_dword v57, off, s[0:3], 0 offset:76
	buffer_store_dword v56, off, s[0:3], 0 offset:72
	buffer_store_dword v51, off, s[0:3], 0 offset:84
	buffer_store_dword v50, off, s[0:3], 0 offset:80
	buffer_store_dword v53, off, s[0:3], 0 offset:92
	buffer_store_dword v52, off, s[0:3], 0 offset:88
	s_waitcnt vmcnt(26)
	buffer_store_dword v63, off, s[0:3], 0 offset:36
	buffer_store_dword v62, off, s[0:3], 0 offset:32
	buffer_store_dword v65, off, s[0:3], 0 offset:44
	buffer_store_dword v64, off, s[0:3], 0 offset:40
	buffer_store_dword v59, off, s[0:3], 0 offset:52
	buffer_store_dword v58, off, s[0:3], 0 offset:48
	buffer_store_dword v61, off, s[0:3], 0 offset:60
	buffer_store_dword v60, off, s[0:3], 0 offset:56
	;; [unrolled: 9-line block ×3, first 2 shown]
	v_cmp_ne_u16_sdwa s[14:15], v34, v39 src0_sel:BYTE_0 src1_sel:DWORD
	s_and_saveexec_b64 s[12:13], s[14:15]
	s_cbranch_execz .LBB527_20
; %bb.15:
	s_movk_i32 s11, 0x80
	v_cmp_ne_u16_sdwa s[24:25], v34, s11 src0_sel:BYTE_0 src1_sel:DWORD
	v_bfrev_b32_e32 v45, 1
	s_and_saveexec_b64 s[14:15], s[24:25]
	s_cbranch_execz .LBB527_19
; %bb.16:
	s_movk_i32 s11, 0x7f
	v_and_b32_e32 v38, 0x7f, v34
	v_cmp_ne_u32_e32 vcc, s11, v38
	v_mov_b32_e32 v45, 0x7f800001
	s_and_saveexec_b64 s[24:25], vcc
	s_cbranch_execz .LBB527_18
; %bb.17:
	v_and_b32_e32 v40, 7, v34
	v_ffbh_u32_e32 v40, v40
	v_min_u32_e32 v40, 32, v40
	v_lshrrev_b32_e32 v41, 3, v38
	v_subrev_u32_e32 v45, 28, v40
	v_sub_u32_e32 v40, 29, v40
	v_cmp_gt_u32_e32 vcc, 8, v38
	v_cndmask_b32_e32 v38, v41, v40, vcc
	v_cndmask_b32_e32 v40, 0, v45, vcc
	v_lshlrev_b64 v[40:41], v40, v[34:35]
	v_lshlrev_b32_e32 v40, 20, v40
	v_lshlrev_b32_e32 v41, 24, v34
	v_bfrev_b32_e32 v45, 60
	v_and_b32_e32 v40, 0x700000, v40
	v_and_b32_e32 v41, 0x80000000, v41
	v_lshl_add_u32 v38, v38, 23, v45
	v_or3_b32 v45, v41, v38, v40
.LBB527_18:
	s_or_b64 exec, exec, s[24:25]
.LBB527_19:
	s_or_b64 exec, exec, s[14:15]
.LBB527_20:
	s_or_b64 exec, exec, s[12:13]
	v_lshrrev_b16_e32 v38, 8, v34
	v_cmp_ne_u16_e32 vcc, 0, v38
	s_and_saveexec_b64 s[12:13], vcc
	s_cbranch_execz .LBB527_26
; %bb.21:
	s_movk_i32 s11, 0x80
	v_cmp_ne_u16_e32 vcc, s11, v38
	v_bfrev_b32_e32 v39, 1
	s_and_saveexec_b64 s[14:15], vcc
	s_cbranch_execz .LBB527_25
; %bb.22:
	s_movk_i32 s11, 0x7f
	v_and_b32_e32 v40, 0x7f, v38
	v_cmp_ne_u32_e32 vcc, s11, v40
	v_mov_b32_e32 v39, 0x7f800001
	s_and_saveexec_b64 s[24:25], vcc
	s_cbranch_execz .LBB527_24
; %bb.23:
	v_and_b32_e32 v41, 7, v38
	v_ffbh_u32_e32 v39, v41
	v_min_u32_e32 v47, 32, v39
	v_subrev_u32_e32 v39, 28, v47
	v_lshlrev_b64 v[38:39], v39, v[38:39]
	v_lshrrev_b32_e32 v46, 3, v40
	v_sub_u32_e32 v39, 29, v47
	v_and_b32_e32 v38, 7, v38
	v_cmp_gt_u32_e32 vcc, 8, v40
	v_cndmask_b32_e32 v39, v46, v39, vcc
	v_cndmask_b32_e32 v38, v41, v38, vcc
	v_lshlrev_b32_e32 v40, 16, v34
	v_bfrev_b32_e32 v41, 60
	v_lshlrev_b32_e32 v38, 20, v38
	v_and_b32_e32 v40, 0x80000000, v40
	v_lshl_add_u32 v39, v39, 23, v41
	v_or3_b32 v39, v40, v39, v38
.LBB527_24:
	s_or_b64 exec, exec, s[24:25]
.LBB527_25:
	s_or_b64 exec, exec, s[14:15]
.LBB527_26:
	s_or_b64 exec, exec, s[12:13]
	s_movk_i32 s11, 0xff
	v_and_b32_sdwa v40, v34, s11 dst_sel:DWORD dst_unused:UNUSED_PAD src0_sel:WORD_1 src1_sel:DWORD
	v_lshrrev_b32_e32 v38, 16, v34
	v_cmp_ne_u16_e32 vcc, 0, v40
	v_mov_b32_e32 v46, 0
	v_mov_b32_e32 v47, 0
	s_and_saveexec_b64 s[12:13], vcc
	s_cbranch_execz .LBB527_32
; %bb.27:
	s_movk_i32 s11, 0x80
	v_cmp_ne_u16_e32 vcc, s11, v40
	v_bfrev_b32_e32 v47, 1
	s_and_saveexec_b64 s[14:15], vcc
	s_cbranch_execz .LBB527_31
; %bb.28:
	v_bfe_u32 v40, v34, 16, 7
	s_movk_i32 s11, 0x7f
	v_cmp_ne_u32_e32 vcc, s11, v40
	v_mov_b32_e32 v47, 0x7f800001
	s_and_saveexec_b64 s[24:25], vcc
	s_cbranch_execz .LBB527_30
; %bb.29:
	v_and_b32_e32 v41, 7, v38
	v_ffbh_u32_e32 v48, v41
	v_min_u32_e32 v50, 32, v48
	v_subrev_u32_e32 v48, 28, v50
	v_lshlrev_b64 v[48:49], v48, v[38:39]
	v_and_b32_e32 v48, 7, v48
	v_cmp_gt_u32_e32 vcc, 8, v40
	v_lshrrev_b32_e32 v47, 3, v40
	v_sub_u32_e32 v38, 29, v50
	v_cndmask_b32_e32 v40, v41, v48, vcc
	v_mov_b32_e32 v41, 24
	v_cndmask_b32_e32 v38, v47, v38, vcc
	v_lshlrev_b32_sdwa v41, v41, v34 dst_sel:DWORD dst_unused:UNUSED_PAD src0_sel:DWORD src1_sel:WORD_1
	v_bfrev_b32_e32 v47, 60
	v_lshlrev_b32_e32 v40, 20, v40
	v_and_b32_e32 v41, 0x80000000, v41
	v_lshl_add_u32 v38, v38, 23, v47
	v_or3_b32 v47, v41, v38, v40
.LBB527_30:
	s_or_b64 exec, exec, s[24:25]
.LBB527_31:
	s_or_b64 exec, exec, s[14:15]
.LBB527_32:
	s_or_b64 exec, exec, s[12:13]
	s_mov_b32 s11, 0xffffff
	v_cmp_lt_u32_e32 vcc, s11, v34
	s_and_saveexec_b64 s[12:13], vcc
	s_cbranch_execz .LBB527_38
; %bb.33:
	v_lshrrev_b32_e32 v38, 24, v34
	s_movk_i32 s11, 0x80
	v_cmp_ne_u32_e32 vcc, s11, v38
	v_bfrev_b32_e32 v46, 1
	s_and_saveexec_b64 s[14:15], vcc
	s_cbranch_execz .LBB527_37
; %bb.34:
	v_bfe_u32 v40, v34, 24, 7
	s_movk_i32 s11, 0x7f
	v_cmp_ne_u32_e32 vcc, s11, v40
	v_mov_b32_e32 v46, 0x7f800001
	s_and_saveexec_b64 s[24:25], vcc
	s_cbranch_execz .LBB527_36
; %bb.35:
	v_and_b32_e32 v41, 7, v38
	v_ffbh_u32_e32 v48, v41
	v_min_u32_e32 v50, 32, v48
	v_subrev_u32_e32 v48, 28, v50
	v_lshlrev_b64 v[48:49], v48, v[38:39]
	v_lshrrev_b32_e32 v46, 3, v40
	v_sub_u32_e32 v49, 29, v50
	v_and_b32_e32 v48, 7, v48
	v_cmp_gt_u32_e32 vcc, 8, v40
	v_cndmask_b32_e32 v40, v46, v49, vcc
	v_cndmask_b32_e32 v41, v41, v48, vcc
	v_lshlrev_b32_e32 v38, 24, v38
	v_bfrev_b32_e32 v46, 60
	v_lshlrev_b32_e32 v41, 20, v41
	v_and_b32_e32 v38, 0x80000000, v38
	v_lshl_add_u32 v40, v40, 23, v46
	v_or3_b32 v46, v38, v40, v41
.LBB527_36:
	s_or_b64 exec, exec, s[24:25]
.LBB527_37:
	s_or_b64 exec, exec, s[14:15]
.LBB527_38:
	s_or_b64 exec, exec, s[12:13]
	v_mov_b32_e32 v41, 0
	v_mov_b32_e32 v40, v35
	v_cmp_ne_u16_sdwa s[14:15], v35, v41 src0_sel:BYTE_0 src1_sel:DWORD
	v_mov_b32_e32 v48, v41
	s_and_saveexec_b64 s[12:13], s[14:15]
	s_cbranch_execz .LBB527_44
; %bb.39:
	s_movk_i32 s11, 0x80
	v_cmp_ne_u16_sdwa s[24:25], v35, s11 src0_sel:BYTE_0 src1_sel:DWORD
	v_bfrev_b32_e32 v48, 1
	s_and_saveexec_b64 s[14:15], s[24:25]
	s_cbranch_execz .LBB527_43
; %bb.40:
	s_movk_i32 s11, 0x7f
	v_and_b32_e32 v38, 0x7f, v35
	v_cmp_ne_u32_e32 vcc, s11, v38
	v_mov_b32_e32 v48, 0x7f800001
	s_and_saveexec_b64 s[24:25], vcc
	s_cbranch_execz .LBB527_42
; %bb.41:
	v_and_b32_e32 v48, 7, v35
	v_ffbh_u32_e32 v48, v48
	v_min_u32_e32 v48, 32, v48
	v_lshrrev_b32_e32 v49, 3, v38
	v_subrev_u32_e32 v50, 28, v48
	v_sub_u32_e32 v48, 29, v48
	v_cmp_gt_u32_e32 vcc, 8, v38
	v_cndmask_b32_e32 v38, v49, v48, vcc
	v_cndmask_b32_e32 v48, 0, v50, vcc
	v_lshlrev_b64 v[48:49], v48, v[40:41]
	v_lshlrev_b32_e32 v48, 20, v48
	v_lshlrev_b32_e32 v49, 24, v40
	v_bfrev_b32_e32 v50, 60
	v_and_b32_e32 v48, 0x700000, v48
	v_and_b32_e32 v49, 0x80000000, v49
	v_lshl_add_u32 v38, v38, 23, v50
	v_or3_b32 v48, v49, v38, v48
.LBB527_42:
	s_or_b64 exec, exec, s[24:25]
.LBB527_43:
	s_or_b64 exec, exec, s[14:15]
.LBB527_44:
	s_or_b64 exec, exec, s[12:13]
	v_lshrrev_b16_e32 v38, 8, v40
	v_cmp_ne_u16_e32 vcc, 0, v38
	s_and_saveexec_b64 s[12:13], vcc
	s_cbranch_execz .LBB527_50
; %bb.45:
	s_movk_i32 s11, 0x80
	v_cmp_ne_u16_e32 vcc, s11, v38
	v_bfrev_b32_e32 v41, 1
	s_and_saveexec_b64 s[14:15], vcc
	s_cbranch_execz .LBB527_49
; %bb.46:
	s_movk_i32 s11, 0x7f
	v_and_b32_e32 v49, 0x7f, v38
	v_cmp_ne_u32_e32 vcc, s11, v49
	v_mov_b32_e32 v41, 0x7f800001
	s_and_saveexec_b64 s[24:25], vcc
	s_cbranch_execz .LBB527_48
; %bb.47:
	v_and_b32_e32 v41, 7, v38
	v_ffbh_u32_e32 v50, v41
	v_min_u32_e32 v53, 32, v50
	v_subrev_u32_e32 v50, 28, v53
	v_lshlrev_b64 v[50:51], v50, v[38:39]
	v_lshrrev_b32_e32 v52, 3, v49
	v_sub_u32_e32 v38, 29, v53
	v_and_b32_e32 v50, 7, v50
	v_cmp_gt_u32_e32 vcc, 8, v49
	v_cndmask_b32_e32 v38, v52, v38, vcc
	v_cndmask_b32_e32 v41, v41, v50, vcc
	v_lshlrev_b32_e32 v40, 16, v40
	v_bfrev_b32_e32 v49, 60
	v_lshlrev_b32_e32 v41, 20, v41
	v_and_b32_e32 v40, 0x80000000, v40
	v_lshl_add_u32 v38, v38, 23, v49
	v_or3_b32 v41, v40, v38, v41
.LBB527_48:
	s_or_b64 exec, exec, s[24:25]
.LBB527_49:
	s_or_b64 exec, exec, s[14:15]
.LBB527_50:
	s_or_b64 exec, exec, s[12:13]
	s_movk_i32 s11, 0xff
	v_and_b32_sdwa v50, v35, s11 dst_sel:DWORD dst_unused:UNUSED_PAD src0_sel:WORD_1 src1_sel:DWORD
	v_lshrrev_b32_e32 v38, 16, v35
	v_cmp_ne_u16_e32 vcc, 0, v50
	v_mov_b32_e32 v40, 0
	v_mov_b32_e32 v49, 0
	s_and_saveexec_b64 s[12:13], vcc
	s_cbranch_execz .LBB527_56
; %bb.51:
	s_movk_i32 s11, 0x80
	v_cmp_ne_u16_e32 vcc, s11, v50
	v_bfrev_b32_e32 v49, 1
	s_and_saveexec_b64 s[14:15], vcc
	s_cbranch_execz .LBB527_55
; %bb.52:
	v_bfe_u32 v50, v35, 16, 7
	s_movk_i32 s11, 0x7f
	v_cmp_ne_u32_e32 vcc, s11, v50
	v_mov_b32_e32 v49, 0x7f800001
	s_and_saveexec_b64 s[24:25], vcc
	s_cbranch_execz .LBB527_54
; %bb.53:
	v_and_b32_e32 v49, 7, v38
	v_ffbh_u32_e32 v52, v49
	v_min_u32_e32 v54, 32, v52
	v_subrev_u32_e32 v52, 28, v54
	v_lshlrev_b64 v[52:53], v52, v[38:39]
	v_lshrrev_b32_e32 v51, 3, v50
	v_sub_u32_e32 v38, 29, v54
	v_and_b32_e32 v52, 7, v52
	v_cmp_gt_u32_e32 vcc, 8, v50
	v_mov_b32_e32 v50, 24
	v_cndmask_b32_e32 v38, v51, v38, vcc
	v_cndmask_b32_e32 v49, v49, v52, vcc
	v_lshlrev_b32_sdwa v50, v50, v35 dst_sel:DWORD dst_unused:UNUSED_PAD src0_sel:DWORD src1_sel:WORD_1
	v_bfrev_b32_e32 v51, 60
	v_lshlrev_b32_e32 v49, 20, v49
	v_and_b32_e32 v50, 0x80000000, v50
	v_lshl_add_u32 v38, v38, 23, v51
	v_or3_b32 v49, v50, v38, v49
.LBB527_54:
	s_or_b64 exec, exec, s[24:25]
.LBB527_55:
	s_or_b64 exec, exec, s[14:15]
.LBB527_56:
	s_or_b64 exec, exec, s[12:13]
	s_mov_b32 s12, -1
	s_mov_b32 s13, 0xffffff
	v_cmp_lt_u64_e32 vcc, s[12:13], v[34:35]
	s_and_saveexec_b64 s[12:13], vcc
	s_cbranch_execz .LBB527_62
; %bb.57:
	v_lshrrev_b32_e32 v34, 24, v35
	s_movk_i32 s11, 0x80
	v_cmp_ne_u32_e32 vcc, s11, v34
	v_bfrev_b32_e32 v40, 1
	s_and_saveexec_b64 s[14:15], vcc
	s_cbranch_execz .LBB527_61
; %bb.58:
	v_bfe_u32 v35, v35, 24, 7
	s_movk_i32 s11, 0x7f
	v_cmp_ne_u32_e32 vcc, s11, v35
	v_mov_b32_e32 v40, 0x7f800001
	s_and_saveexec_b64 s[24:25], vcc
	s_cbranch_execz .LBB527_60
; %bb.59:
	v_and_b32_e32 v38, 7, v34
	v_ffbh_u32_e32 v50, v38
	v_min_u32_e32 v52, 32, v50
	v_subrev_u32_e32 v50, 28, v52
	v_lshlrev_b64 v[50:51], v50, v[34:35]
	v_lshrrev_b32_e32 v40, 3, v35
	v_sub_u32_e32 v51, 29, v52
	v_and_b32_e32 v50, 7, v50
	v_cmp_gt_u32_e32 vcc, 8, v35
	v_cndmask_b32_e32 v35, v40, v51, vcc
	v_cndmask_b32_e32 v38, v38, v50, vcc
	v_lshlrev_b32_e32 v34, 24, v34
	v_bfrev_b32_e32 v40, 60
	v_lshlrev_b32_e32 v38, 20, v38
	v_and_b32_e32 v34, 0x80000000, v34
	v_lshl_add_u32 v35, v35, 23, v40
	v_or3_b32 v40, v34, v35, v38
.LBB527_60:
	s_or_b64 exec, exec, s[24:25]
.LBB527_61:
	s_or_b64 exec, exec, s[14:15]
.LBB527_62:
	s_or_b64 exec, exec, s[12:13]
	v_cvt_pkrtz_f16_f32 v34, v45, v39
	v_cvt_pkrtz_f16_f32 v35, v47, v46
	v_cvt_pkrtz_f16_f32 v46, v48, v41
	v_cvt_pkrtz_f16_f32 v47, v49, v40
	v_mfma_f32_4x4x4f16 a[0:3], v[2:3], v[34:35], 0 cbsz:4
	v_mov_b32_e32 v40, 0
	v_mfma_f32_4x4x4f16 a[0:3], v[4:5], v[46:47], a[0:3] cbsz:4
	v_mov_b32_e32 v39, 0
	v_cmp_ne_u16_sdwa s[14:15], v36, v40 src0_sel:BYTE_0 src1_sel:DWORD
	s_and_saveexec_b64 s[12:13], s[14:15]
	s_cbranch_execz .LBB527_68
; %bb.63:
	s_movk_i32 s11, 0x80
	v_cmp_ne_u16_sdwa s[24:25], v36, s11 src0_sel:BYTE_0 src1_sel:DWORD
	v_bfrev_b32_e32 v39, 1
	s_and_saveexec_b64 s[14:15], s[24:25]
	s_cbranch_execz .LBB527_67
; %bb.64:
	s_movk_i32 s11, 0x7f
	v_and_b32_e32 v34, 0x7f, v36
	v_cmp_ne_u32_e32 vcc, s11, v34
	v_mov_b32_e32 v39, 0x7f800001
	s_and_saveexec_b64 s[24:25], vcc
	s_cbranch_execz .LBB527_66
; %bb.65:
	v_and_b32_e32 v35, 7, v36
	v_ffbh_u32_e32 v35, v35
	v_min_u32_e32 v35, 32, v35
	v_subrev_u32_e32 v39, 28, v35
	v_cmp_gt_u32_e32 vcc, 8, v34
	v_lshrrev_b32_e32 v38, 3, v34
	v_sub_u32_e32 v35, 29, v35
	v_cndmask_b32_e32 v34, 0, v39, vcc
	v_cndmask_b32_e32 v38, v38, v35, vcc
	v_lshlrev_b64 v[34:35], v34, v[36:37]
	v_lshlrev_b32_e32 v34, 20, v34
	v_lshlrev_b32_e32 v35, 24, v36
	v_bfrev_b32_e32 v39, 60
	v_and_b32_e32 v34, 0x700000, v34
	v_and_b32_e32 v35, 0x80000000, v35
	v_lshl_add_u32 v38, v38, 23, v39
	v_or3_b32 v39, v35, v38, v34
.LBB527_66:
	s_or_b64 exec, exec, s[24:25]
.LBB527_67:
	s_or_b64 exec, exec, s[14:15]
.LBB527_68:
	s_or_b64 exec, exec, s[12:13]
	v_lshrrev_b16_e32 v34, 8, v36
	v_cmp_ne_u16_e32 vcc, 0, v34
	v_mov_b32_e32 v41, 0
	s_and_saveexec_b64 s[12:13], vcc
	s_cbranch_execz .LBB527_74
; %bb.69:
	s_movk_i32 s11, 0x80
	v_cmp_ne_u16_e32 vcc, s11, v34
	v_bfrev_b32_e32 v41, 1
	s_and_saveexec_b64 s[14:15], vcc
	s_cbranch_execz .LBB527_73
; %bb.70:
	s_movk_i32 s11, 0x7f
	v_and_b32_e32 v35, 0x7f, v34
	v_cmp_ne_u32_e32 vcc, s11, v35
	v_mov_b32_e32 v41, 0x7f800001
	s_and_saveexec_b64 s[24:25], vcc
	s_cbranch_execz .LBB527_72
; %bb.71:
	v_and_b32_e32 v38, 7, v34
	v_ffbh_u32_e32 v45, v38
	v_min_u32_e32 v45, 32, v45
	v_subrev_u32_e32 v46, 28, v45
	v_lshlrev_b64 v[46:47], v46, v[34:35]
	v_lshrrev_b32_e32 v41, 3, v35
	v_sub_u32_e32 v34, 29, v45
	v_and_b32_e32 v45, 7, v46
	v_cmp_gt_u32_e32 vcc, 8, v35
	v_cndmask_b32_e32 v34, v41, v34, vcc
	v_cndmask_b32_e32 v35, v38, v45, vcc
	v_lshlrev_b32_e32 v38, 16, v36
	v_bfrev_b32_e32 v41, 60
	v_lshlrev_b32_e32 v35, 20, v35
	v_and_b32_e32 v38, 0x80000000, v38
	v_lshl_add_u32 v34, v34, 23, v41
	v_or3_b32 v41, v38, v34, v35
.LBB527_72:
	s_or_b64 exec, exec, s[24:25]
.LBB527_73:
	s_or_b64 exec, exec, s[14:15]
.LBB527_74:
	s_or_b64 exec, exec, s[12:13]
	s_movk_i32 s11, 0xff
	v_and_b32_sdwa v35, v36, s11 dst_sel:DWORD dst_unused:UNUSED_PAD src0_sel:WORD_1 src1_sel:DWORD
	v_lshrrev_b32_e32 v34, 16, v36
	v_cmp_ne_u16_e32 vcc, 0, v35
	s_and_saveexec_b64 s[12:13], vcc
	s_cbranch_execz .LBB527_80
; %bb.75:
	s_movk_i32 s11, 0x80
	v_cmp_ne_u16_e32 vcc, s11, v35
	v_bfrev_b32_e32 v40, 1
	s_and_saveexec_b64 s[14:15], vcc
	s_cbranch_execz .LBB527_79
; %bb.76:
	v_bfe_u32 v35, v36, 16, 7
	s_movk_i32 s11, 0x7f
	v_cmp_ne_u32_e32 vcc, s11, v35
	v_mov_b32_e32 v40, 0x7f800001
	s_and_saveexec_b64 s[24:25], vcc
	s_cbranch_execz .LBB527_78
; %bb.77:
	v_and_b32_e32 v38, 7, v34
	v_ffbh_u32_e32 v45, v38
	v_min_u32_e32 v45, 32, v45
	v_subrev_u32_e32 v46, 28, v45
	v_lshlrev_b64 v[46:47], v46, v[34:35]
	v_sub_u32_e32 v34, 29, v45
	v_and_b32_e32 v45, 7, v46
	v_cmp_gt_u32_e32 vcc, 8, v35
	v_lshrrev_b32_e32 v40, 3, v35
	v_cndmask_b32_e32 v35, v38, v45, vcc
	v_mov_b32_e32 v38, 24
	v_cndmask_b32_e32 v34, v40, v34, vcc
	v_lshlrev_b32_sdwa v38, v38, v36 dst_sel:DWORD dst_unused:UNUSED_PAD src0_sel:DWORD src1_sel:WORD_1
	v_bfrev_b32_e32 v40, 60
	v_lshlrev_b32_e32 v35, 20, v35
	v_and_b32_e32 v38, 0x80000000, v38
	v_lshl_add_u32 v34, v34, 23, v40
	v_or3_b32 v40, v38, v34, v35
.LBB527_78:
	s_or_b64 exec, exec, s[24:25]
.LBB527_79:
	s_or_b64 exec, exec, s[14:15]
.LBB527_80:
	s_or_b64 exec, exec, s[12:13]
	s_mov_b32 s11, 0xffffff
	v_cmp_lt_u32_e32 vcc, s11, v36
	v_mov_b32_e32 v35, 0
	v_mov_b32_e32 v45, 0
	s_and_saveexec_b64 s[12:13], vcc
	s_cbranch_execz .LBB527_86
; %bb.81:
	v_lshrrev_b32_e32 v34, 24, v36
	s_movk_i32 s11, 0x80
	v_cmp_ne_u32_e32 vcc, s11, v34
	v_bfrev_b32_e32 v45, 1
	s_and_saveexec_b64 s[14:15], vcc
	s_cbranch_execz .LBB527_85
; %bb.82:
	v_bfe_u32 v38, v36, 24, 7
	s_movk_i32 s11, 0x7f
	v_cmp_ne_u32_e32 vcc, s11, v38
	v_mov_b32_e32 v45, 0x7f800001
	s_and_saveexec_b64 s[24:25], vcc
	s_cbranch_execz .LBB527_84
; %bb.83:
	v_and_b32_e32 v45, 7, v34
	v_ffbh_u32_e32 v46, v45
	v_min_u32_e32 v49, 32, v46
	v_subrev_u32_e32 v46, 28, v49
	v_lshlrev_b64 v[46:47], v46, v[34:35]
	v_lshrrev_b32_e32 v48, 3, v38
	v_sub_u32_e32 v47, 29, v49
	v_and_b32_e32 v46, 7, v46
	v_cmp_gt_u32_e32 vcc, 8, v38
	v_cndmask_b32_e32 v38, v48, v47, vcc
	v_cndmask_b32_e32 v45, v45, v46, vcc
	v_lshlrev_b32_e32 v34, 24, v34
	v_bfrev_b32_e32 v46, 60
	v_lshlrev_b32_e32 v45, 20, v45
	v_and_b32_e32 v34, 0x80000000, v34
	v_lshl_add_u32 v38, v38, 23, v46
	v_or3_b32 v45, v34, v38, v45
.LBB527_84:
	s_or_b64 exec, exec, s[24:25]
.LBB527_85:
	s_or_b64 exec, exec, s[14:15]
.LBB527_86:
	s_or_b64 exec, exec, s[12:13]
	v_mov_b32_e32 v34, v37
	v_cmp_ne_u16_sdwa s[14:15], v37, v35 src0_sel:BYTE_0 src1_sel:DWORD
	s_and_saveexec_b64 s[12:13], s[14:15]
	s_cbranch_execz .LBB527_92
; %bb.87:
	s_movk_i32 s11, 0x80
	v_cmp_ne_u16_sdwa s[24:25], v37, s11 src0_sel:BYTE_0 src1_sel:DWORD
	v_bfrev_b32_e32 v38, 1
	s_and_saveexec_b64 s[14:15], s[24:25]
	s_cbranch_execz .LBB527_91
; %bb.88:
	s_movk_i32 s11, 0x7f
	v_and_b32_e32 v46, 0x7f, v37
	v_cmp_ne_u32_e32 vcc, s11, v46
	v_mov_b32_e32 v38, 0x7f800001
	s_and_saveexec_b64 s[24:25], vcc
	s_cbranch_execz .LBB527_90
; %bb.89:
	v_and_b32_e32 v38, 7, v37
	v_ffbh_u32_e32 v38, v38
	v_min_u32_e32 v38, 32, v38
	v_subrev_u32_e32 v48, 28, v38
	v_cmp_gt_u32_e32 vcc, 8, v46
	v_lshrrev_b32_e32 v47, 3, v46
	v_sub_u32_e32 v38, 29, v38
	v_cndmask_b32_e32 v46, 0, v48, vcc
	v_cndmask_b32_e32 v38, v47, v38, vcc
	v_lshlrev_b64 v[46:47], v46, v[34:35]
	v_lshlrev_b32_e32 v35, 20, v46
	v_lshlrev_b32_e32 v46, 24, v34
	v_bfrev_b32_e32 v47, 60
	v_and_b32_e32 v35, 0x700000, v35
	v_and_b32_e32 v46, 0x80000000, v46
	v_lshl_add_u32 v38, v38, 23, v47
	v_or3_b32 v38, v46, v38, v35
.LBB527_90:
	s_or_b64 exec, exec, s[24:25]
.LBB527_91:
	s_or_b64 exec, exec, s[14:15]
	v_mov_b32_e32 v35, v38
.LBB527_92:
	s_or_b64 exec, exec, s[12:13]
	v_lshrrev_b16_e32 v38, 8, v34
	v_cmp_ne_u16_e32 vcc, 0, v38
	v_mov_b32_e32 v46, 0
	v_mov_b32_e32 v47, 0
	s_and_saveexec_b64 s[12:13], vcc
	s_cbranch_execz .LBB527_98
; %bb.93:
	s_movk_i32 s11, 0x80
	v_cmp_ne_u16_e32 vcc, s11, v38
	v_bfrev_b32_e32 v47, 1
	s_and_saveexec_b64 s[14:15], vcc
	s_cbranch_execz .LBB527_97
; %bb.94:
	s_movk_i32 s11, 0x7f
	v_and_b32_e32 v48, 0x7f, v38
	v_cmp_ne_u32_e32 vcc, s11, v48
	v_mov_b32_e32 v47, 0x7f800001
	s_and_saveexec_b64 s[24:25], vcc
	s_cbranch_execz .LBB527_96
; %bb.95:
	v_and_b32_e32 v47, 7, v38
	v_ffbh_u32_e32 v50, v47
	v_min_u32_e32 v52, 32, v50
	v_subrev_u32_e32 v50, 28, v52
	v_lshlrev_b64 v[50:51], v50, v[38:39]
	v_lshrrev_b32_e32 v49, 3, v48
	v_sub_u32_e32 v38, 29, v52
	v_and_b32_e32 v50, 7, v50
	v_cmp_gt_u32_e32 vcc, 8, v48
	v_cndmask_b32_e32 v38, v49, v38, vcc
	v_cndmask_b32_e32 v47, v47, v50, vcc
	v_lshlrev_b32_e32 v34, 16, v34
	v_bfrev_b32_e32 v48, 60
	v_lshlrev_b32_e32 v47, 20, v47
	v_and_b32_e32 v34, 0x80000000, v34
	v_lshl_add_u32 v38, v38, 23, v48
	v_or3_b32 v47, v34, v38, v47
.LBB527_96:
	s_or_b64 exec, exec, s[24:25]
.LBB527_97:
	s_or_b64 exec, exec, s[14:15]
.LBB527_98:
	s_or_b64 exec, exec, s[12:13]
	s_movk_i32 s11, 0xff
	v_and_b32_sdwa v38, v37, s11 dst_sel:DWORD dst_unused:UNUSED_PAD src0_sel:WORD_1 src1_sel:DWORD
	v_lshrrev_b32_e32 v34, 16, v37
	v_cmp_ne_u16_e32 vcc, 0, v38
	s_and_saveexec_b64 s[12:13], vcc
	s_cbranch_execz .LBB527_104
; %bb.99:
	s_movk_i32 s11, 0x80
	v_cmp_ne_u16_e32 vcc, s11, v38
	v_bfrev_b32_e32 v46, 1
	s_and_saveexec_b64 s[14:15], vcc
	s_cbranch_execz .LBB527_103
; %bb.100:
	v_bfe_u32 v38, v37, 16, 7
	s_movk_i32 s11, 0x7f
	v_cmp_ne_u32_e32 vcc, s11, v38
	v_mov_b32_e32 v46, 0x7f800001
	s_and_saveexec_b64 s[24:25], vcc
	s_cbranch_execz .LBB527_102
; %bb.101:
	v_and_b32_e32 v46, 7, v34
	v_ffbh_u32_e32 v48, v46
	v_min_u32_e32 v51, 32, v48
	v_subrev_u32_e32 v48, 28, v51
	v_lshlrev_b64 v[48:49], v48, v[34:35]
	v_and_b32_e32 v48, 7, v48
	v_cmp_gt_u32_e32 vcc, 8, v38
	v_lshrrev_b32_e32 v50, 3, v38
	v_sub_u32_e32 v34, 29, v51
	v_cndmask_b32_e32 v38, v46, v48, vcc
	v_mov_b32_e32 v46, 24
	v_cndmask_b32_e32 v34, v50, v34, vcc
	v_lshlrev_b32_sdwa v46, v46, v37 dst_sel:DWORD dst_unused:UNUSED_PAD src0_sel:DWORD src1_sel:WORD_1
	v_bfrev_b32_e32 v48, 60
	v_lshlrev_b32_e32 v38, 20, v38
	v_and_b32_e32 v46, 0x80000000, v46
	v_lshl_add_u32 v34, v34, 23, v48
	v_or3_b32 v46, v46, v34, v38
.LBB527_102:
	s_or_b64 exec, exec, s[24:25]
.LBB527_103:
	s_or_b64 exec, exec, s[14:15]
.LBB527_104:
	s_or_b64 exec, exec, s[12:13]
	s_mov_b32 s12, -1
	s_mov_b32 s13, 0xffffff
	v_cmp_lt_u64_e32 vcc, s[12:13], v[36:37]
	v_mov_b32_e32 v38, 0
	v_mov_b32_e32 v36, 0
	s_and_saveexec_b64 s[12:13], vcc
	s_cbranch_execz .LBB527_110
; %bb.105:
	v_lshrrev_b32_e32 v34, 24, v37
	s_movk_i32 s11, 0x80
	v_cmp_ne_u32_e32 vcc, s11, v34
	v_bfrev_b32_e32 v36, 1
	s_and_saveexec_b64 s[14:15], vcc
	s_cbranch_execz .LBB527_109
; %bb.106:
	v_bfe_u32 v37, v37, 24, 7
	s_movk_i32 s11, 0x7f
	v_cmp_ne_u32_e32 vcc, s11, v37
	v_mov_b32_e32 v36, 0x7f800001
	s_and_saveexec_b64 s[24:25], vcc
	s_cbranch_execz .LBB527_108
; %bb.107:
	v_and_b32_e32 v36, 7, v34
	v_ffbh_u32_e32 v48, v36
	v_min_u32_e32 v51, 32, v48
	v_subrev_u32_e32 v48, 28, v51
	v_lshlrev_b64 v[48:49], v48, v[34:35]
	v_lshrrev_b32_e32 v50, 3, v37
	v_sub_u32_e32 v49, 29, v51
	v_and_b32_e32 v48, 7, v48
	v_cmp_gt_u32_e32 vcc, 8, v37
	v_cndmask_b32_e32 v37, v50, v49, vcc
	v_cndmask_b32_e32 v36, v36, v48, vcc
	v_lshlrev_b32_e32 v34, 24, v34
	v_bfrev_b32_e32 v48, 60
	v_lshlrev_b32_e32 v36, 20, v36
	v_and_b32_e32 v34, 0x80000000, v34
	v_lshl_add_u32 v37, v37, 23, v48
	v_or3_b32 v36, v34, v37, v36
.LBB527_108:
	s_or_b64 exec, exec, s[24:25]
.LBB527_109:
	s_or_b64 exec, exec, s[14:15]
.LBB527_110:
	s_or_b64 exec, exec, s[12:13]
	v_cvt_pkrtz_f16_f32 v48, v39, v41
	v_cvt_pkrtz_f16_f32 v49, v40, v45
	;; [unrolled: 1-line block ×4, first 2 shown]
	v_mfma_f32_4x4x4f16 a[0:3], v[2:3], v[48:49], a[0:3] cbsz:4 abid:1
	v_cmp_ne_u16_sdwa s[14:15], v30, v38 src0_sel:BYTE_0 src1_sel:DWORD
	v_mfma_f32_4x4x4f16 a[0:3], v[4:5], v[34:35], a[0:3] cbsz:4 abid:1
	s_and_saveexec_b64 s[12:13], s[14:15]
	s_cbranch_execz .LBB527_116
; %bb.111:
	s_movk_i32 s11, 0x80
	v_cmp_ne_u16_sdwa s[24:25], v30, s11 src0_sel:BYTE_0 src1_sel:DWORD
	v_bfrev_b32_e32 v38, 1
	s_and_saveexec_b64 s[14:15], s[24:25]
	s_cbranch_execz .LBB527_115
; %bb.112:
	s_movk_i32 s11, 0x7f
	v_and_b32_e32 v34, 0x7f, v30
	v_cmp_ne_u32_e32 vcc, s11, v34
	v_mov_b32_e32 v38, 0x7f800001
	s_and_saveexec_b64 s[24:25], vcc
	s_cbranch_execz .LBB527_114
; %bb.113:
	v_and_b32_e32 v35, 7, v30
	v_ffbh_u32_e32 v35, v35
	v_min_u32_e32 v35, 32, v35
	v_subrev_u32_e32 v37, 28, v35
	v_cmp_gt_u32_e32 vcc, 8, v34
	v_lshrrev_b32_e32 v36, 3, v34
	v_sub_u32_e32 v35, 29, v35
	v_cndmask_b32_e32 v34, 0, v37, vcc
	v_cndmask_b32_e32 v36, v36, v35, vcc
	v_lshlrev_b64 v[34:35], v34, v[30:31]
	v_lshlrev_b32_e32 v34, 20, v34
	v_lshlrev_b32_e32 v35, 24, v30
	v_bfrev_b32_e32 v37, 60
	v_and_b32_e32 v34, 0x700000, v34
	v_and_b32_e32 v35, 0x80000000, v35
	v_lshl_add_u32 v36, v36, 23, v37
	v_or3_b32 v38, v35, v36, v34
.LBB527_114:
	s_or_b64 exec, exec, s[24:25]
.LBB527_115:
	s_or_b64 exec, exec, s[14:15]
.LBB527_116:
	s_or_b64 exec, exec, s[12:13]
	v_lshrrev_b16_e32 v34, 8, v30
	v_cmp_ne_u16_e32 vcc, 0, v34
	v_mov_b32_e32 v37, 0
	v_mov_b32_e32 v39, 0
	s_and_saveexec_b64 s[12:13], vcc
	s_cbranch_execz .LBB527_122
; %bb.117:
	s_movk_i32 s11, 0x80
	v_cmp_ne_u16_e32 vcc, s11, v34
	v_bfrev_b32_e32 v39, 1
	s_and_saveexec_b64 s[14:15], vcc
	s_cbranch_execz .LBB527_121
; %bb.118:
	s_movk_i32 s11, 0x7f
	v_and_b32_e32 v35, 0x7f, v34
	v_cmp_ne_u32_e32 vcc, s11, v35
	v_mov_b32_e32 v39, 0x7f800001
	s_and_saveexec_b64 s[24:25], vcc
	s_cbranch_execz .LBB527_120
; %bb.119:
	v_and_b32_e32 v36, 7, v34
	v_ffbh_u32_e32 v40, v36
	v_min_u32_e32 v45, 32, v40
	v_subrev_u32_e32 v40, 28, v45
	v_lshlrev_b64 v[40:41], v40, v[34:35]
	v_lshrrev_b32_e32 v39, 3, v35
	v_sub_u32_e32 v34, 29, v45
	v_and_b32_e32 v40, 7, v40
	v_cmp_gt_u32_e32 vcc, 8, v35
	v_cndmask_b32_e32 v34, v39, v34, vcc
	v_cndmask_b32_e32 v35, v36, v40, vcc
	v_lshlrev_b32_e32 v36, 16, v30
	v_bfrev_b32_e32 v39, 60
	v_lshlrev_b32_e32 v35, 20, v35
	v_and_b32_e32 v36, 0x80000000, v36
	v_lshl_add_u32 v34, v34, 23, v39
	v_or3_b32 v39, v36, v34, v35
.LBB527_120:
	s_or_b64 exec, exec, s[24:25]
.LBB527_121:
	s_or_b64 exec, exec, s[14:15]
.LBB527_122:
	s_or_b64 exec, exec, s[12:13]
	s_movk_i32 s11, 0xff
	v_and_b32_sdwa v35, v30, s11 dst_sel:DWORD dst_unused:UNUSED_PAD src0_sel:WORD_1 src1_sel:DWORD
	v_lshrrev_b32_e32 v34, 16, v30
	v_cmp_ne_u16_e32 vcc, 0, v35
	s_and_saveexec_b64 s[12:13], vcc
	s_cbranch_execz .LBB527_128
; %bb.123:
	s_movk_i32 s11, 0x80
	v_cmp_ne_u16_e32 vcc, s11, v35
	v_bfrev_b32_e32 v37, 1
	s_and_saveexec_b64 s[14:15], vcc
	s_cbranch_execz .LBB527_127
; %bb.124:
	v_bfe_u32 v35, v30, 16, 7
	s_movk_i32 s11, 0x7f
	v_cmp_ne_u32_e32 vcc, s11, v35
	v_mov_b32_e32 v37, 0x7f800001
	s_and_saveexec_b64 s[24:25], vcc
	s_cbranch_execz .LBB527_126
; %bb.125:
	v_and_b32_e32 v40, 7, v34
	v_ffbh_u32_e32 v36, v40
	v_min_u32_e32 v45, 32, v36
	v_subrev_u32_e32 v36, 28, v45
	v_lshlrev_b64 v[36:37], v36, v[34:35]
	v_and_b32_e32 v36, 7, v36
	v_cmp_gt_u32_e32 vcc, 8, v35
	v_lshrrev_b32_e32 v41, 3, v35
	v_sub_u32_e32 v34, 29, v45
	v_cndmask_b32_e32 v35, v40, v36, vcc
	v_mov_b32_e32 v36, 24
	v_cndmask_b32_e32 v34, v41, v34, vcc
	v_lshlrev_b32_sdwa v36, v36, v30 dst_sel:DWORD dst_unused:UNUSED_PAD src0_sel:DWORD src1_sel:WORD_1
	v_bfrev_b32_e32 v37, 60
	v_lshlrev_b32_e32 v35, 20, v35
	v_and_b32_e32 v36, 0x80000000, v36
	v_lshl_add_u32 v34, v34, 23, v37
	v_or3_b32 v37, v36, v34, v35
.LBB527_126:
	s_or_b64 exec, exec, s[24:25]
.LBB527_127:
	s_or_b64 exec, exec, s[14:15]
.LBB527_128:
	s_or_b64 exec, exec, s[12:13]
	s_mov_b32 s11, 0xffffff
	v_cmp_lt_u32_e32 vcc, s11, v30
	v_mov_b32_e32 v35, 0
	v_mov_b32_e32 v40, 0
	s_and_saveexec_b64 s[12:13], vcc
	s_cbranch_execz .LBB527_134
; %bb.129:
	v_lshrrev_b32_e32 v34, 24, v30
	s_movk_i32 s11, 0x80
	v_cmp_ne_u32_e32 vcc, s11, v34
	v_bfrev_b32_e32 v40, 1
	s_and_saveexec_b64 s[14:15], vcc
	s_cbranch_execz .LBB527_133
; %bb.130:
	v_bfe_u32 v36, v30, 24, 7
	s_movk_i32 s11, 0x7f
	v_cmp_ne_u32_e32 vcc, s11, v36
	v_mov_b32_e32 v40, 0x7f800001
	s_and_saveexec_b64 s[24:25], vcc
	s_cbranch_execz .LBB527_132
; %bb.131:
	v_and_b32_e32 v45, 7, v34
	v_ffbh_u32_e32 v40, v45
	v_min_u32_e32 v47, 32, v40
	v_subrev_u32_e32 v40, 28, v47
	v_lshlrev_b64 v[40:41], v40, v[34:35]
	v_lshrrev_b32_e32 v46, 3, v36
	v_sub_u32_e32 v41, 29, v47
	v_and_b32_e32 v40, 7, v40
	v_cmp_gt_u32_e32 vcc, 8, v36
	v_cndmask_b32_e32 v36, v46, v41, vcc
	v_cndmask_b32_e32 v40, v45, v40, vcc
	v_lshlrev_b32_e32 v34, 24, v34
	v_bfrev_b32_e32 v41, 60
	v_lshlrev_b32_e32 v40, 20, v40
	v_and_b32_e32 v34, 0x80000000, v34
	v_lshl_add_u32 v36, v36, 23, v41
	v_or3_b32 v40, v34, v36, v40
.LBB527_132:
	s_or_b64 exec, exec, s[24:25]
.LBB527_133:
	s_or_b64 exec, exec, s[14:15]
.LBB527_134:
	s_or_b64 exec, exec, s[12:13]
	v_mov_b32_e32 v34, v31
	v_cmp_ne_u16_sdwa s[14:15], v31, v35 src0_sel:BYTE_0 src1_sel:DWORD
	s_and_saveexec_b64 s[12:13], s[14:15]
	s_cbranch_execz .LBB527_140
; %bb.135:
	s_movk_i32 s11, 0x80
	v_cmp_ne_u16_sdwa s[24:25], v31, s11 src0_sel:BYTE_0 src1_sel:DWORD
	v_bfrev_b32_e32 v36, 1
	s_and_saveexec_b64 s[14:15], s[24:25]
	s_cbranch_execz .LBB527_139
; %bb.136:
	s_movk_i32 s11, 0x7f
	v_and_b32_e32 v41, 0x7f, v31
	v_cmp_ne_u32_e32 vcc, s11, v41
	v_mov_b32_e32 v36, 0x7f800001
	s_and_saveexec_b64 s[24:25], vcc
	s_cbranch_execz .LBB527_138
; %bb.137:
	v_and_b32_e32 v36, 7, v31
	v_ffbh_u32_e32 v36, v36
	v_min_u32_e32 v36, 32, v36
	v_subrev_u32_e32 v46, 28, v36
	v_cmp_gt_u32_e32 vcc, 8, v41
	v_lshrrev_b32_e32 v45, 3, v41
	v_cndmask_b32_e32 v41, 0, v46, vcc
	v_sub_u32_e32 v36, 29, v36
	v_lshlrev_b64 v[46:47], v41, v[34:35]
	v_cndmask_b32_e32 v36, v45, v36, vcc
	v_lshlrev_b32_e32 v35, 20, v46
	v_lshlrev_b32_e32 v41, 24, v34
	v_bfrev_b32_e32 v45, 60
	v_and_b32_e32 v35, 0x700000, v35
	v_and_b32_e32 v41, 0x80000000, v41
	v_lshl_add_u32 v36, v36, 23, v45
	v_or3_b32 v36, v41, v36, v35
.LBB527_138:
	s_or_b64 exec, exec, s[24:25]
.LBB527_139:
	s_or_b64 exec, exec, s[14:15]
	v_mov_b32_e32 v35, v36
.LBB527_140:
	s_or_b64 exec, exec, s[12:13]
	v_lshrrev_b16_e32 v36, 8, v34
	v_cmp_ne_u16_e32 vcc, 0, v36
	v_mov_b32_e32 v41, 0
	v_mov_b32_e32 v45, 0
	s_and_saveexec_b64 s[12:13], vcc
	s_cbranch_execz .LBB527_146
; %bb.141:
	s_movk_i32 s11, 0x80
	v_cmp_ne_u16_e32 vcc, s11, v36
	v_bfrev_b32_e32 v45, 1
	s_and_saveexec_b64 s[14:15], vcc
	s_cbranch_execz .LBB527_145
; %bb.142:
	s_movk_i32 s11, 0x7f
	v_and_b32_e32 v46, 0x7f, v36
	v_cmp_ne_u32_e32 vcc, s11, v46
	v_mov_b32_e32 v45, 0x7f800001
	s_and_saveexec_b64 s[24:25], vcc
	s_cbranch_execz .LBB527_144
; %bb.143:
	v_and_b32_e32 v45, 7, v36
	v_ffbh_u32_e32 v48, v45
	v_min_u32_e32 v50, 32, v48
	v_subrev_u32_e32 v48, 28, v50
	v_lshlrev_b64 v[48:49], v48, v[36:37]
	v_lshrrev_b32_e32 v47, 3, v46
	v_sub_u32_e32 v36, 29, v50
	v_and_b32_e32 v48, 7, v48
	v_cmp_gt_u32_e32 vcc, 8, v46
	v_cndmask_b32_e32 v36, v47, v36, vcc
	v_cndmask_b32_e32 v45, v45, v48, vcc
	v_lshlrev_b32_e32 v34, 16, v34
	v_bfrev_b32_e32 v46, 60
	v_lshlrev_b32_e32 v45, 20, v45
	v_and_b32_e32 v34, 0x80000000, v34
	v_lshl_add_u32 v36, v36, 23, v46
	v_or3_b32 v45, v34, v36, v45
.LBB527_144:
	s_or_b64 exec, exec, s[24:25]
.LBB527_145:
	s_or_b64 exec, exec, s[14:15]
.LBB527_146:
	s_or_b64 exec, exec, s[12:13]
	s_movk_i32 s11, 0xff
	v_and_b32_sdwa v36, v31, s11 dst_sel:DWORD dst_unused:UNUSED_PAD src0_sel:WORD_1 src1_sel:DWORD
	v_lshrrev_b32_e32 v34, 16, v31
	v_cmp_ne_u16_e32 vcc, 0, v36
	s_and_saveexec_b64 s[12:13], vcc
	s_cbranch_execz .LBB527_152
; %bb.147:
	s_movk_i32 s11, 0x80
	v_cmp_ne_u16_e32 vcc, s11, v36
	v_bfrev_b32_e32 v41, 1
	s_and_saveexec_b64 s[14:15], vcc
	s_cbranch_execz .LBB527_151
; %bb.148:
	v_bfe_u32 v36, v31, 16, 7
	s_movk_i32 s11, 0x7f
	v_cmp_ne_u32_e32 vcc, s11, v36
	v_mov_b32_e32 v41, 0x7f800001
	s_and_saveexec_b64 s[24:25], vcc
	s_cbranch_execz .LBB527_150
; %bb.149:
	v_and_b32_e32 v41, 7, v34
	v_ffbh_u32_e32 v46, v41
	v_min_u32_e32 v49, 32, v46
	v_subrev_u32_e32 v46, 28, v49
	v_lshlrev_b64 v[46:47], v46, v[34:35]
	v_and_b32_e32 v46, 7, v46
	v_cmp_gt_u32_e32 vcc, 8, v36
	v_lshrrev_b32_e32 v48, 3, v36
	v_sub_u32_e32 v34, 29, v49
	v_cndmask_b32_e32 v36, v41, v46, vcc
	v_mov_b32_e32 v41, 24
	v_cndmask_b32_e32 v34, v48, v34, vcc
	v_lshlrev_b32_sdwa v41, v41, v31 dst_sel:DWORD dst_unused:UNUSED_PAD src0_sel:DWORD src1_sel:WORD_1
	v_bfrev_b32_e32 v46, 60
	v_lshlrev_b32_e32 v36, 20, v36
	v_and_b32_e32 v41, 0x80000000, v41
	v_lshl_add_u32 v34, v34, 23, v46
	v_or3_b32 v41, v41, v34, v36
.LBB527_150:
	s_or_b64 exec, exec, s[24:25]
.LBB527_151:
	s_or_b64 exec, exec, s[14:15]
.LBB527_152:
	s_or_b64 exec, exec, s[12:13]
	s_mov_b32 s12, -1
	s_mov_b32 s13, 0xffffff
	v_cmp_lt_u64_e32 vcc, s[12:13], v[30:31]
	v_mov_b32_e32 v36, 0
	v_mov_b32_e32 v34, 0
	s_and_saveexec_b64 s[12:13], vcc
	s_cbranch_execz .LBB527_158
; %bb.153:
	v_lshrrev_b32_e32 v30, 24, v31
	s_movk_i32 s11, 0x80
	v_cmp_ne_u32_e32 vcc, s11, v30
	v_bfrev_b32_e32 v34, 1
	s_and_saveexec_b64 s[14:15], vcc
	s_cbranch_execz .LBB527_157
; %bb.154:
	v_bfe_u32 v31, v31, 24, 7
	s_movk_i32 s11, 0x7f
	v_cmp_ne_u32_e32 vcc, s11, v31
	v_mov_b32_e32 v34, 0x7f800001
	s_and_saveexec_b64 s[24:25], vcc
	s_cbranch_execz .LBB527_156
; %bb.155:
	v_and_b32_e32 v34, 7, v30
	v_ffbh_u32_e32 v46, v34
	v_min_u32_e32 v49, 32, v46
	v_subrev_u32_e32 v46, 28, v49
	v_lshlrev_b64 v[46:47], v46, v[30:31]
	v_lshrrev_b32_e32 v48, 3, v31
	v_sub_u32_e32 v47, 29, v49
	v_and_b32_e32 v46, 7, v46
	v_cmp_gt_u32_e32 vcc, 8, v31
	v_cndmask_b32_e32 v31, v48, v47, vcc
	v_cndmask_b32_e32 v34, v34, v46, vcc
	v_lshlrev_b32_e32 v30, 24, v30
	v_bfrev_b32_e32 v46, 60
	v_lshlrev_b32_e32 v34, 20, v34
	v_and_b32_e32 v30, 0x80000000, v30
	v_lshl_add_u32 v31, v31, 23, v46
	v_or3_b32 v34, v30, v31, v34
.LBB527_156:
	s_or_b64 exec, exec, s[24:25]
.LBB527_157:
	s_or_b64 exec, exec, s[14:15]
.LBB527_158:
	s_or_b64 exec, exec, s[12:13]
	v_cvt_pkrtz_f16_f32 v30, v38, v39
	v_cvt_pkrtz_f16_f32 v31, v37, v40
	;; [unrolled: 1-line block ×4, first 2 shown]
	v_mfma_f32_4x4x4f16 a[0:3], v[2:3], v[30:31], a[0:3] cbsz:4 abid:2
	v_cmp_ne_u16_sdwa s[14:15], v32, v36 src0_sel:BYTE_0 src1_sel:DWORD
	v_mfma_f32_4x4x4f16 a[0:3], v[4:5], v[38:39], a[0:3] cbsz:4 abid:2
	s_and_saveexec_b64 s[12:13], s[14:15]
	s_cbranch_execz .LBB527_164
; %bb.159:
	s_movk_i32 s11, 0x80
	v_cmp_ne_u16_sdwa s[24:25], v32, s11 src0_sel:BYTE_0 src1_sel:DWORD
	v_bfrev_b32_e32 v36, 1
	s_and_saveexec_b64 s[14:15], s[24:25]
	s_cbranch_execz .LBB527_163
; %bb.160:
	s_movk_i32 s11, 0x7f
	v_and_b32_e32 v30, 0x7f, v32
	v_cmp_ne_u32_e32 vcc, s11, v30
	v_mov_b32_e32 v36, 0x7f800001
	s_and_saveexec_b64 s[24:25], vcc
	s_cbranch_execz .LBB527_162
; %bb.161:
	v_and_b32_e32 v31, 7, v32
	v_ffbh_u32_e32 v31, v31
	v_min_u32_e32 v31, 32, v31
	v_subrev_u32_e32 v35, 28, v31
	v_cmp_gt_u32_e32 vcc, 8, v30
	v_lshrrev_b32_e32 v34, 3, v30
	v_sub_u32_e32 v31, 29, v31
	v_cndmask_b32_e32 v30, 0, v35, vcc
	v_cndmask_b32_e32 v34, v34, v31, vcc
	v_lshlrev_b64 v[30:31], v30, v[32:33]
	v_lshlrev_b32_e32 v30, 20, v30
	v_lshlrev_b32_e32 v31, 24, v32
	v_bfrev_b32_e32 v35, 60
	v_and_b32_e32 v30, 0x700000, v30
	v_and_b32_e32 v31, 0x80000000, v31
	v_lshl_add_u32 v34, v34, 23, v35
	v_or3_b32 v36, v31, v34, v30
.LBB527_162:
	s_or_b64 exec, exec, s[24:25]
.LBB527_163:
	s_or_b64 exec, exec, s[14:15]
.LBB527_164:
	s_or_b64 exec, exec, s[12:13]
	v_lshrrev_b16_e32 v30, 8, v32
	v_cmp_ne_u16_e32 vcc, 0, v30
	v_mov_b32_e32 v35, 0
	v_mov_b32_e32 v37, 0
	s_and_saveexec_b64 s[12:13], vcc
	s_cbranch_execz .LBB527_170
; %bb.165:
	s_movk_i32 s11, 0x80
	v_cmp_ne_u16_e32 vcc, s11, v30
	v_bfrev_b32_e32 v37, 1
	s_and_saveexec_b64 s[14:15], vcc
	s_cbranch_execz .LBB527_169
; %bb.166:
	s_movk_i32 s11, 0x7f
	v_and_b32_e32 v31, 0x7f, v30
	v_cmp_ne_u32_e32 vcc, s11, v31
	v_mov_b32_e32 v37, 0x7f800001
	s_and_saveexec_b64 s[24:25], vcc
	s_cbranch_execz .LBB527_168
; %bb.167:
	v_and_b32_e32 v34, 7, v30
	v_ffbh_u32_e32 v38, v34
	v_min_u32_e32 v40, 32, v38
	v_subrev_u32_e32 v38, 28, v40
	v_lshlrev_b64 v[38:39], v38, v[30:31]
	v_lshrrev_b32_e32 v37, 3, v31
	v_sub_u32_e32 v30, 29, v40
	v_and_b32_e32 v38, 7, v38
	v_cmp_gt_u32_e32 vcc, 8, v31
	v_cndmask_b32_e32 v30, v37, v30, vcc
	v_cndmask_b32_e32 v31, v34, v38, vcc
	v_lshlrev_b32_e32 v34, 16, v32
	v_bfrev_b32_e32 v37, 60
	v_lshlrev_b32_e32 v31, 20, v31
	v_and_b32_e32 v34, 0x80000000, v34
	v_lshl_add_u32 v30, v30, 23, v37
	v_or3_b32 v37, v34, v30, v31
.LBB527_168:
	s_or_b64 exec, exec, s[24:25]
.LBB527_169:
	s_or_b64 exec, exec, s[14:15]
.LBB527_170:
	s_or_b64 exec, exec, s[12:13]
	s_movk_i32 s11, 0xff
	v_and_b32_sdwa v31, v32, s11 dst_sel:DWORD dst_unused:UNUSED_PAD src0_sel:WORD_1 src1_sel:DWORD
	v_lshrrev_b32_e32 v30, 16, v32
	v_cmp_ne_u16_e32 vcc, 0, v31
	s_and_saveexec_b64 s[12:13], vcc
	s_cbranch_execz .LBB527_176
; %bb.171:
	s_movk_i32 s11, 0x80
	v_cmp_ne_u16_e32 vcc, s11, v31
	v_bfrev_b32_e32 v35, 1
	s_and_saveexec_b64 s[14:15], vcc
	s_cbranch_execz .LBB527_175
; %bb.172:
	v_bfe_u32 v31, v32, 16, 7
	s_movk_i32 s11, 0x7f
	v_cmp_ne_u32_e32 vcc, s11, v31
	v_mov_b32_e32 v35, 0x7f800001
	s_and_saveexec_b64 s[24:25], vcc
	s_cbranch_execz .LBB527_174
; %bb.173:
	v_and_b32_e32 v38, 7, v30
	v_ffbh_u32_e32 v34, v38
	v_min_u32_e32 v40, 32, v34
	v_subrev_u32_e32 v34, 28, v40
	v_lshlrev_b64 v[34:35], v34, v[30:31]
	v_and_b32_e32 v34, 7, v34
	v_cmp_gt_u32_e32 vcc, 8, v31
	v_lshrrev_b32_e32 v39, 3, v31
	v_sub_u32_e32 v30, 29, v40
	v_cndmask_b32_e32 v31, v38, v34, vcc
	v_mov_b32_e32 v34, 24
	v_cndmask_b32_e32 v30, v39, v30, vcc
	v_lshlrev_b32_sdwa v34, v34, v32 dst_sel:DWORD dst_unused:UNUSED_PAD src0_sel:DWORD src1_sel:WORD_1
	v_bfrev_b32_e32 v35, 60
	v_lshlrev_b32_e32 v31, 20, v31
	v_and_b32_e32 v34, 0x80000000, v34
	v_lshl_add_u32 v30, v30, 23, v35
	v_or3_b32 v35, v34, v30, v31
.LBB527_174:
	s_or_b64 exec, exec, s[24:25]
.LBB527_175:
	s_or_b64 exec, exec, s[14:15]
.LBB527_176:
	s_or_b64 exec, exec, s[12:13]
	s_mov_b32 s11, 0xffffff
	v_cmp_lt_u32_e32 vcc, s11, v32
	v_mov_b32_e32 v31, 0
	v_mov_b32_e32 v38, 0
	s_and_saveexec_b64 s[12:13], vcc
	s_cbranch_execz .LBB527_182
; %bb.177:
	v_lshrrev_b32_e32 v30, 24, v32
	s_movk_i32 s11, 0x80
	v_cmp_ne_u32_e32 vcc, s11, v30
	v_bfrev_b32_e32 v38, 1
	s_and_saveexec_b64 s[14:15], vcc
	s_cbranch_execz .LBB527_181
; %bb.178:
	v_bfe_u32 v34, v32, 24, 7
	s_movk_i32 s11, 0x7f
	v_cmp_ne_u32_e32 vcc, s11, v34
	v_mov_b32_e32 v38, 0x7f800001
	s_and_saveexec_b64 s[24:25], vcc
	s_cbranch_execz .LBB527_180
; %bb.179:
	v_and_b32_e32 v40, 7, v30
	v_ffbh_u32_e32 v38, v40
	v_min_u32_e32 v45, 32, v38
	v_subrev_u32_e32 v38, 28, v45
	v_lshlrev_b64 v[38:39], v38, v[30:31]
	v_lshrrev_b32_e32 v41, 3, v34
	v_sub_u32_e32 v39, 29, v45
	v_and_b32_e32 v38, 7, v38
	v_cmp_gt_u32_e32 vcc, 8, v34
	v_cndmask_b32_e32 v34, v41, v39, vcc
	v_cndmask_b32_e32 v38, v40, v38, vcc
	v_lshlrev_b32_e32 v30, 24, v30
	v_bfrev_b32_e32 v39, 60
	v_lshlrev_b32_e32 v38, 20, v38
	v_and_b32_e32 v30, 0x80000000, v30
	v_lshl_add_u32 v34, v34, 23, v39
	v_or3_b32 v38, v30, v34, v38
.LBB527_180:
	s_or_b64 exec, exec, s[24:25]
.LBB527_181:
	s_or_b64 exec, exec, s[14:15]
.LBB527_182:
	s_or_b64 exec, exec, s[12:13]
	v_mov_b32_e32 v30, v33
	v_cmp_ne_u16_sdwa s[14:15], v33, v31 src0_sel:BYTE_0 src1_sel:DWORD
	s_and_saveexec_b64 s[12:13], s[14:15]
	s_cbranch_execz .LBB527_188
; %bb.183:
	s_movk_i32 s11, 0x80
	v_cmp_ne_u16_sdwa s[24:25], v33, s11 src0_sel:BYTE_0 src1_sel:DWORD
	v_bfrev_b32_e32 v34, 1
	s_and_saveexec_b64 s[14:15], s[24:25]
	s_cbranch_execz .LBB527_187
; %bb.184:
	s_movk_i32 s11, 0x7f
	v_and_b32_e32 v39, 0x7f, v33
	v_cmp_ne_u32_e32 vcc, s11, v39
	v_mov_b32_e32 v34, 0x7f800001
	s_and_saveexec_b64 s[24:25], vcc
	s_cbranch_execz .LBB527_186
; %bb.185:
	v_and_b32_e32 v34, 7, v33
	v_ffbh_u32_e32 v34, v34
	v_min_u32_e32 v34, 32, v34
	v_subrev_u32_e32 v41, 28, v34
	v_cmp_gt_u32_e32 vcc, 8, v39
	v_lshrrev_b32_e32 v40, 3, v39
	v_sub_u32_e32 v34, 29, v34
	v_cndmask_b32_e32 v39, 0, v41, vcc
	v_cndmask_b32_e32 v34, v40, v34, vcc
	v_lshlrev_b64 v[40:41], v39, v[30:31]
	v_lshlrev_b32_e32 v31, 20, v40
	v_lshlrev_b32_e32 v39, 24, v30
	v_bfrev_b32_e32 v40, 60
	v_and_b32_e32 v31, 0x700000, v31
	v_and_b32_e32 v39, 0x80000000, v39
	v_lshl_add_u32 v34, v34, 23, v40
	v_or3_b32 v34, v39, v34, v31
.LBB527_186:
	s_or_b64 exec, exec, s[24:25]
.LBB527_187:
	s_or_b64 exec, exec, s[14:15]
	v_mov_b32_e32 v31, v34
.LBB527_188:
	s_or_b64 exec, exec, s[12:13]
	v_lshrrev_b16_e32 v34, 8, v30
	v_cmp_ne_u16_e32 vcc, 0, v34
	v_mov_b32_e32 v39, 0
	v_mov_b32_e32 v40, 0
	s_and_saveexec_b64 s[12:13], vcc
	s_cbranch_execz .LBB527_194
; %bb.189:
	s_movk_i32 s11, 0x80
	v_cmp_ne_u16_e32 vcc, s11, v34
	v_bfrev_b32_e32 v40, 1
	s_and_saveexec_b64 s[14:15], vcc
	s_cbranch_execz .LBB527_193
; %bb.190:
	s_movk_i32 s11, 0x7f
	v_and_b32_e32 v41, 0x7f, v34
	v_cmp_ne_u32_e32 vcc, s11, v41
	v_mov_b32_e32 v40, 0x7f800001
	s_and_saveexec_b64 s[24:25], vcc
	s_cbranch_execz .LBB527_192
; %bb.191:
	v_and_b32_e32 v40, 7, v34
	v_ffbh_u32_e32 v46, v40
	v_min_u32_e32 v48, 32, v46
	v_subrev_u32_e32 v46, 28, v48
	v_lshlrev_b64 v[46:47], v46, v[34:35]
	v_lshrrev_b32_e32 v45, 3, v41
	v_sub_u32_e32 v34, 29, v48
	v_and_b32_e32 v46, 7, v46
	v_cmp_gt_u32_e32 vcc, 8, v41
	v_cndmask_b32_e32 v34, v45, v34, vcc
	v_cndmask_b32_e32 v40, v40, v46, vcc
	v_lshlrev_b32_e32 v30, 16, v30
	v_bfrev_b32_e32 v41, 60
	v_lshlrev_b32_e32 v40, 20, v40
	v_and_b32_e32 v30, 0x80000000, v30
	v_lshl_add_u32 v34, v34, 23, v41
	v_or3_b32 v40, v30, v34, v40
.LBB527_192:
	s_or_b64 exec, exec, s[24:25]
.LBB527_193:
	s_or_b64 exec, exec, s[14:15]
.LBB527_194:
	s_or_b64 exec, exec, s[12:13]
	s_movk_i32 s11, 0xff
	v_and_b32_sdwa v34, v33, s11 dst_sel:DWORD dst_unused:UNUSED_PAD src0_sel:WORD_1 src1_sel:DWORD
	v_lshrrev_b32_e32 v30, 16, v33
	v_cmp_ne_u16_e32 vcc, 0, v34
	s_and_saveexec_b64 s[12:13], vcc
	s_cbranch_execz .LBB527_200
; %bb.195:
	s_movk_i32 s11, 0x80
	v_cmp_ne_u16_e32 vcc, s11, v34
	v_bfrev_b32_e32 v39, 1
	s_and_saveexec_b64 s[14:15], vcc
	s_cbranch_execz .LBB527_199
; %bb.196:
	v_bfe_u32 v34, v33, 16, 7
	s_movk_i32 s11, 0x7f
	v_cmp_ne_u32_e32 vcc, s11, v34
	v_mov_b32_e32 v39, 0x7f800001
	s_and_saveexec_b64 s[24:25], vcc
	s_cbranch_execz .LBB527_198
; %bb.197:
	v_and_b32_e32 v39, 7, v30
	v_ffbh_u32_e32 v45, v39
	v_min_u32_e32 v45, 32, v45
	v_subrev_u32_e32 v46, 28, v45
	v_lshlrev_b64 v[46:47], v46, v[30:31]
	v_sub_u32_e32 v30, 29, v45
	v_and_b32_e32 v45, 7, v46
	v_cmp_gt_u32_e32 vcc, 8, v34
	v_lshrrev_b32_e32 v41, 3, v34
	v_cndmask_b32_e32 v34, v39, v45, vcc
	v_mov_b32_e32 v39, 24
	v_cndmask_b32_e32 v30, v41, v30, vcc
	v_lshlrev_b32_sdwa v39, v39, v33 dst_sel:DWORD dst_unused:UNUSED_PAD src0_sel:DWORD src1_sel:WORD_1
	v_bfrev_b32_e32 v41, 60
	v_lshlrev_b32_e32 v34, 20, v34
	v_and_b32_e32 v39, 0x80000000, v39
	v_lshl_add_u32 v30, v30, 23, v41
	v_or3_b32 v39, v39, v30, v34
.LBB527_198:
	s_or_b64 exec, exec, s[24:25]
.LBB527_199:
	s_or_b64 exec, exec, s[14:15]
.LBB527_200:
	s_or_b64 exec, exec, s[12:13]
	s_mov_b32 s12, -1
	s_mov_b32 s13, 0xffffff
	v_cmp_lt_u64_e32 vcc, s[12:13], v[32:33]
	v_mov_b32_e32 v34, 0
	v_mov_b32_e32 v32, 0
	s_and_saveexec_b64 s[12:13], vcc
	s_cbranch_execz .LBB527_206
; %bb.201:
	v_lshrrev_b32_e32 v30, 24, v33
	s_movk_i32 s11, 0x80
	v_cmp_ne_u32_e32 vcc, s11, v30
	v_bfrev_b32_e32 v32, 1
	s_and_saveexec_b64 s[14:15], vcc
	s_cbranch_execz .LBB527_205
; %bb.202:
	v_bfe_u32 v33, v33, 24, 7
	s_movk_i32 s11, 0x7f
	v_cmp_ne_u32_e32 vcc, s11, v33
	v_mov_b32_e32 v32, 0x7f800001
	s_and_saveexec_b64 s[24:25], vcc
	s_cbranch_execz .LBB527_204
; %bb.203:
	v_and_b32_e32 v32, 7, v30
	v_ffbh_u32_e32 v45, v32
	v_min_u32_e32 v45, 32, v45
	v_subrev_u32_e32 v46, 28, v45
	v_lshlrev_b64 v[46:47], v46, v[30:31]
	v_lshrrev_b32_e32 v41, 3, v33
	v_sub_u32_e32 v45, 29, v45
	v_and_b32_e32 v46, 7, v46
	v_cmp_gt_u32_e32 vcc, 8, v33
	v_cndmask_b32_e32 v33, v41, v45, vcc
	v_cndmask_b32_e32 v32, v32, v46, vcc
	v_lshlrev_b32_e32 v30, 24, v30
	v_bfrev_b32_e32 v41, 60
	v_lshlrev_b32_e32 v32, 20, v32
	v_and_b32_e32 v30, 0x80000000, v30
	v_lshl_add_u32 v33, v33, 23, v41
	v_or3_b32 v32, v30, v33, v32
.LBB527_204:
	s_or_b64 exec, exec, s[24:25]
.LBB527_205:
	s_or_b64 exec, exec, s[14:15]
.LBB527_206:
	s_or_b64 exec, exec, s[12:13]
	v_cvt_pkrtz_f16_f32 v36, v36, v37
	v_cvt_pkrtz_f16_f32 v37, v35, v38
	;; [unrolled: 1-line block ×4, first 2 shown]
	v_mfma_f32_4x4x4f16 a[0:3], v[2:3], v[36:37], a[0:3] cbsz:4 abid:3
	v_cmp_ne_u16_sdwa s[14:15], v26, v34 src0_sel:BYTE_0 src1_sel:DWORD
	v_mfma_f32_4x4x4f16 a[0:3], v[4:5], v[30:31], a[0:3] cbsz:4 abid:3
	s_and_saveexec_b64 s[12:13], s[14:15]
	s_cbranch_execz .LBB527_212
; %bb.207:
	s_movk_i32 s11, 0x80
	v_cmp_ne_u16_sdwa s[24:25], v26, s11 src0_sel:BYTE_0 src1_sel:DWORD
	v_bfrev_b32_e32 v34, 1
	s_and_saveexec_b64 s[14:15], s[24:25]
	s_cbranch_execz .LBB527_211
; %bb.208:
	s_movk_i32 s11, 0x7f
	v_and_b32_e32 v30, 0x7f, v26
	v_cmp_ne_u32_e32 vcc, s11, v30
	v_mov_b32_e32 v34, 0x7f800001
	s_and_saveexec_b64 s[24:25], vcc
	s_cbranch_execz .LBB527_210
; %bb.209:
	v_and_b32_e32 v31, 7, v26
	v_ffbh_u32_e32 v31, v31
	v_min_u32_e32 v31, 32, v31
	v_subrev_u32_e32 v33, 28, v31
	v_cmp_gt_u32_e32 vcc, 8, v30
	v_lshrrev_b32_e32 v32, 3, v30
	v_sub_u32_e32 v31, 29, v31
	v_cndmask_b32_e32 v30, 0, v33, vcc
	v_cndmask_b32_e32 v32, v32, v31, vcc
	v_lshlrev_b64 v[30:31], v30, v[26:27]
	v_lshlrev_b32_e32 v30, 20, v30
	v_lshlrev_b32_e32 v31, 24, v26
	v_bfrev_b32_e32 v33, 60
	v_and_b32_e32 v30, 0x700000, v30
	v_and_b32_e32 v31, 0x80000000, v31
	v_lshl_add_u32 v32, v32, 23, v33
	v_or3_b32 v34, v31, v32, v30
.LBB527_210:
	s_or_b64 exec, exec, s[24:25]
.LBB527_211:
	s_or_b64 exec, exec, s[14:15]
.LBB527_212:
	s_or_b64 exec, exec, s[12:13]
	v_lshrrev_b16_e32 v30, 8, v26
	v_cmp_ne_u16_e32 vcc, 0, v30
	v_mov_b32_e32 v33, 0
	v_mov_b32_e32 v35, 0
	s_and_saveexec_b64 s[12:13], vcc
	s_cbranch_execz .LBB527_218
; %bb.213:
	s_movk_i32 s11, 0x80
	v_cmp_ne_u16_e32 vcc, s11, v30
	v_bfrev_b32_e32 v35, 1
	s_and_saveexec_b64 s[14:15], vcc
	s_cbranch_execz .LBB527_217
; %bb.214:
	s_movk_i32 s11, 0x7f
	v_and_b32_e32 v31, 0x7f, v30
	v_cmp_ne_u32_e32 vcc, s11, v31
	v_mov_b32_e32 v35, 0x7f800001
	s_and_saveexec_b64 s[24:25], vcc
	s_cbranch_execz .LBB527_216
; %bb.215:
	v_and_b32_e32 v32, 7, v30
	v_ffbh_u32_e32 v36, v32
	v_min_u32_e32 v38, 32, v36
	v_subrev_u32_e32 v36, 28, v38
	v_lshlrev_b64 v[36:37], v36, v[30:31]
	v_lshrrev_b32_e32 v35, 3, v31
	v_sub_u32_e32 v30, 29, v38
	v_and_b32_e32 v36, 7, v36
	v_cmp_gt_u32_e32 vcc, 8, v31
	v_cndmask_b32_e32 v30, v35, v30, vcc
	v_cndmask_b32_e32 v31, v32, v36, vcc
	v_lshlrev_b32_e32 v32, 16, v26
	v_bfrev_b32_e32 v35, 60
	v_lshlrev_b32_e32 v31, 20, v31
	v_and_b32_e32 v32, 0x80000000, v32
	v_lshl_add_u32 v30, v30, 23, v35
	v_or3_b32 v35, v32, v30, v31
.LBB527_216:
	s_or_b64 exec, exec, s[24:25]
.LBB527_217:
	s_or_b64 exec, exec, s[14:15]
.LBB527_218:
	s_or_b64 exec, exec, s[12:13]
	s_movk_i32 s11, 0xff
	v_and_b32_sdwa v31, v26, s11 dst_sel:DWORD dst_unused:UNUSED_PAD src0_sel:WORD_1 src1_sel:DWORD
	v_lshrrev_b32_e32 v30, 16, v26
	v_cmp_ne_u16_e32 vcc, 0, v31
	s_and_saveexec_b64 s[12:13], vcc
	s_cbranch_execz .LBB527_224
; %bb.219:
	s_movk_i32 s11, 0x80
	v_cmp_ne_u16_e32 vcc, s11, v31
	v_bfrev_b32_e32 v33, 1
	s_and_saveexec_b64 s[14:15], vcc
	s_cbranch_execz .LBB527_223
; %bb.220:
	v_bfe_u32 v31, v26, 16, 7
	s_movk_i32 s11, 0x7f
	v_cmp_ne_u32_e32 vcc, s11, v31
	v_mov_b32_e32 v33, 0x7f800001
	s_and_saveexec_b64 s[24:25], vcc
	s_cbranch_execz .LBB527_222
; %bb.221:
	v_and_b32_e32 v36, 7, v30
	v_ffbh_u32_e32 v32, v36
	v_min_u32_e32 v38, 32, v32
	v_subrev_u32_e32 v32, 28, v38
	v_lshlrev_b64 v[32:33], v32, v[30:31]
	v_and_b32_e32 v32, 7, v32
	v_cmp_gt_u32_e32 vcc, 8, v31
	v_lshrrev_b32_e32 v37, 3, v31
	v_sub_u32_e32 v30, 29, v38
	v_cndmask_b32_e32 v31, v36, v32, vcc
	v_mov_b32_e32 v32, 24
	v_cndmask_b32_e32 v30, v37, v30, vcc
	v_lshlrev_b32_sdwa v32, v32, v26 dst_sel:DWORD dst_unused:UNUSED_PAD src0_sel:DWORD src1_sel:WORD_1
	v_bfrev_b32_e32 v33, 60
	v_lshlrev_b32_e32 v31, 20, v31
	v_and_b32_e32 v32, 0x80000000, v32
	v_lshl_add_u32 v30, v30, 23, v33
	v_or3_b32 v33, v32, v30, v31
.LBB527_222:
	s_or_b64 exec, exec, s[24:25]
.LBB527_223:
	s_or_b64 exec, exec, s[14:15]
.LBB527_224:
	s_or_b64 exec, exec, s[12:13]
	s_mov_b32 s11, 0xffffff
	v_cmp_lt_u32_e32 vcc, s11, v26
	v_mov_b32_e32 v31, 0
	v_mov_b32_e32 v36, 0
	s_and_saveexec_b64 s[12:13], vcc
	s_cbranch_execz .LBB527_230
; %bb.225:
	v_lshrrev_b32_e32 v30, 24, v26
	s_movk_i32 s11, 0x80
	v_cmp_ne_u32_e32 vcc, s11, v30
	v_bfrev_b32_e32 v36, 1
	s_and_saveexec_b64 s[14:15], vcc
	s_cbranch_execz .LBB527_229
; %bb.226:
	v_bfe_u32 v32, v26, 24, 7
	s_movk_i32 s11, 0x7f
	v_cmp_ne_u32_e32 vcc, s11, v32
	v_mov_b32_e32 v36, 0x7f800001
	s_and_saveexec_b64 s[24:25], vcc
	s_cbranch_execz .LBB527_228
; %bb.227:
	v_and_b32_e32 v38, 7, v30
	v_ffbh_u32_e32 v36, v38
	v_min_u32_e32 v40, 32, v36
	v_subrev_u32_e32 v36, 28, v40
	v_lshlrev_b64 v[36:37], v36, v[30:31]
	v_lshrrev_b32_e32 v39, 3, v32
	v_sub_u32_e32 v37, 29, v40
	v_and_b32_e32 v36, 7, v36
	v_cmp_gt_u32_e32 vcc, 8, v32
	v_cndmask_b32_e32 v32, v39, v37, vcc
	v_cndmask_b32_e32 v36, v38, v36, vcc
	v_lshlrev_b32_e32 v30, 24, v30
	v_bfrev_b32_e32 v37, 60
	v_lshlrev_b32_e32 v36, 20, v36
	v_and_b32_e32 v30, 0x80000000, v30
	v_lshl_add_u32 v32, v32, 23, v37
	v_or3_b32 v36, v30, v32, v36
.LBB527_228:
	s_or_b64 exec, exec, s[24:25]
.LBB527_229:
	s_or_b64 exec, exec, s[14:15]
.LBB527_230:
	s_or_b64 exec, exec, s[12:13]
	v_mov_b32_e32 v30, v27
	v_cmp_ne_u16_sdwa s[14:15], v27, v31 src0_sel:BYTE_0 src1_sel:DWORD
	s_and_saveexec_b64 s[12:13], s[14:15]
	s_cbranch_execz .LBB527_236
; %bb.231:
	s_movk_i32 s11, 0x80
	v_cmp_ne_u16_sdwa s[24:25], v27, s11 src0_sel:BYTE_0 src1_sel:DWORD
	v_bfrev_b32_e32 v32, 1
	s_and_saveexec_b64 s[14:15], s[24:25]
	s_cbranch_execz .LBB527_235
; %bb.232:
	s_movk_i32 s11, 0x7f
	v_and_b32_e32 v37, 0x7f, v27
	v_cmp_ne_u32_e32 vcc, s11, v37
	v_mov_b32_e32 v32, 0x7f800001
	s_and_saveexec_b64 s[24:25], vcc
	s_cbranch_execz .LBB527_234
; %bb.233:
	v_and_b32_e32 v32, 7, v27
	v_ffbh_u32_e32 v32, v32
	v_min_u32_e32 v32, 32, v32
	v_subrev_u32_e32 v39, 28, v32
	v_cmp_gt_u32_e32 vcc, 8, v37
	v_lshrrev_b32_e32 v38, 3, v37
	v_sub_u32_e32 v32, 29, v32
	v_cndmask_b32_e32 v37, 0, v39, vcc
	v_cndmask_b32_e32 v32, v38, v32, vcc
	v_lshlrev_b64 v[38:39], v37, v[30:31]
	v_lshlrev_b32_e32 v31, 20, v38
	v_lshlrev_b32_e32 v37, 24, v30
	v_bfrev_b32_e32 v38, 60
	v_and_b32_e32 v31, 0x700000, v31
	v_and_b32_e32 v37, 0x80000000, v37
	v_lshl_add_u32 v32, v32, 23, v38
	v_or3_b32 v32, v37, v32, v31
.LBB527_234:
	s_or_b64 exec, exec, s[24:25]
.LBB527_235:
	s_or_b64 exec, exec, s[14:15]
	v_mov_b32_e32 v31, v32
.LBB527_236:
	s_or_b64 exec, exec, s[12:13]
	v_lshrrev_b16_e32 v32, 8, v30
	v_cmp_ne_u16_e32 vcc, 0, v32
	v_mov_b32_e32 v37, 0
	v_mov_b32_e32 v38, 0
	s_and_saveexec_b64 s[12:13], vcc
	s_cbranch_execz .LBB527_242
; %bb.237:
	s_movk_i32 s11, 0x80
	v_cmp_ne_u16_e32 vcc, s11, v32
	v_bfrev_b32_e32 v38, 1
	s_and_saveexec_b64 s[14:15], vcc
	s_cbranch_execz .LBB527_241
; %bb.238:
	s_movk_i32 s11, 0x7f
	v_and_b32_e32 v39, 0x7f, v32
	v_cmp_ne_u32_e32 vcc, s11, v39
	v_mov_b32_e32 v38, 0x7f800001
	s_and_saveexec_b64 s[24:25], vcc
	s_cbranch_execz .LBB527_240
; %bb.239:
	v_and_b32_e32 v38, 7, v32
	v_ffbh_u32_e32 v40, v38
	v_min_u32_e32 v46, 32, v40
	v_subrev_u32_e32 v40, 28, v46
	v_lshlrev_b64 v[40:41], v40, v[32:33]
	v_lshrrev_b32_e32 v45, 3, v39
	v_sub_u32_e32 v32, 29, v46
	v_and_b32_e32 v40, 7, v40
	v_cmp_gt_u32_e32 vcc, 8, v39
	v_cndmask_b32_e32 v32, v45, v32, vcc
	v_cndmask_b32_e32 v38, v38, v40, vcc
	v_lshlrev_b32_e32 v30, 16, v30
	v_bfrev_b32_e32 v39, 60
	v_lshlrev_b32_e32 v38, 20, v38
	v_and_b32_e32 v30, 0x80000000, v30
	v_lshl_add_u32 v32, v32, 23, v39
	v_or3_b32 v38, v30, v32, v38
.LBB527_240:
	s_or_b64 exec, exec, s[24:25]
.LBB527_241:
	s_or_b64 exec, exec, s[14:15]
.LBB527_242:
	s_or_b64 exec, exec, s[12:13]
	s_movk_i32 s11, 0xff
	v_and_b32_sdwa v32, v27, s11 dst_sel:DWORD dst_unused:UNUSED_PAD src0_sel:WORD_1 src1_sel:DWORD
	v_lshrrev_b32_e32 v30, 16, v27
	v_cmp_ne_u16_e32 vcc, 0, v32
	s_and_saveexec_b64 s[12:13], vcc
	s_cbranch_execz .LBB527_248
; %bb.243:
	s_movk_i32 s11, 0x80
	v_cmp_ne_u16_e32 vcc, s11, v32
	v_bfrev_b32_e32 v37, 1
	s_and_saveexec_b64 s[14:15], vcc
	s_cbranch_execz .LBB527_247
; %bb.244:
	v_bfe_u32 v32, v27, 16, 7
	s_movk_i32 s11, 0x7f
	v_cmp_ne_u32_e32 vcc, s11, v32
	v_mov_b32_e32 v37, 0x7f800001
	s_and_saveexec_b64 s[24:25], vcc
	s_cbranch_execz .LBB527_246
; %bb.245:
	v_and_b32_e32 v37, 7, v30
	v_ffbh_u32_e32 v40, v37
	v_min_u32_e32 v45, 32, v40
	v_subrev_u32_e32 v40, 28, v45
	v_lshlrev_b64 v[40:41], v40, v[30:31]
	v_and_b32_e32 v40, 7, v40
	v_cmp_gt_u32_e32 vcc, 8, v32
	v_lshrrev_b32_e32 v39, 3, v32
	v_sub_u32_e32 v30, 29, v45
	v_cndmask_b32_e32 v32, v37, v40, vcc
	v_mov_b32_e32 v37, 24
	v_cndmask_b32_e32 v30, v39, v30, vcc
	v_lshlrev_b32_sdwa v37, v37, v27 dst_sel:DWORD dst_unused:UNUSED_PAD src0_sel:DWORD src1_sel:WORD_1
	v_bfrev_b32_e32 v39, 60
	v_lshlrev_b32_e32 v32, 20, v32
	v_and_b32_e32 v37, 0x80000000, v37
	v_lshl_add_u32 v30, v30, 23, v39
	v_or3_b32 v37, v37, v30, v32
.LBB527_246:
	s_or_b64 exec, exec, s[24:25]
.LBB527_247:
	s_or_b64 exec, exec, s[14:15]
.LBB527_248:
	s_or_b64 exec, exec, s[12:13]
	s_mov_b32 s12, -1
	s_mov_b32 s13, 0xffffff
	v_cmp_lt_u64_e32 vcc, s[12:13], v[26:27]
	v_mov_b32_e32 v32, 0
	v_mov_b32_e32 v30, 0
	s_and_saveexec_b64 s[12:13], vcc
	s_cbranch_execz .LBB527_254
; %bb.249:
	v_lshrrev_b32_e32 v26, 24, v27
	s_movk_i32 s11, 0x80
	v_cmp_ne_u32_e32 vcc, s11, v26
	v_bfrev_b32_e32 v30, 1
	s_and_saveexec_b64 s[14:15], vcc
	s_cbranch_execz .LBB527_253
; %bb.250:
	v_bfe_u32 v27, v27, 24, 7
	s_movk_i32 s11, 0x7f
	v_cmp_ne_u32_e32 vcc, s11, v27
	v_mov_b32_e32 v30, 0x7f800001
	s_and_saveexec_b64 s[24:25], vcc
	s_cbranch_execz .LBB527_252
; %bb.251:
	v_and_b32_e32 v30, 7, v26
	v_ffbh_u32_e32 v40, v30
	v_min_u32_e32 v45, 32, v40
	v_subrev_u32_e32 v40, 28, v45
	v_lshlrev_b64 v[40:41], v40, v[26:27]
	v_lshrrev_b32_e32 v39, 3, v27
	v_sub_u32_e32 v41, 29, v45
	v_and_b32_e32 v40, 7, v40
	v_cmp_gt_u32_e32 vcc, 8, v27
	v_cndmask_b32_e32 v27, v39, v41, vcc
	v_cndmask_b32_e32 v30, v30, v40, vcc
	v_lshlrev_b32_e32 v26, 24, v26
	v_bfrev_b32_e32 v39, 60
	v_lshlrev_b32_e32 v30, 20, v30
	v_and_b32_e32 v26, 0x80000000, v26
	v_lshl_add_u32 v27, v27, 23, v39
	v_or3_b32 v30, v26, v27, v30
.LBB527_252:
	s_or_b64 exec, exec, s[24:25]
.LBB527_253:
	s_or_b64 exec, exec, s[14:15]
.LBB527_254:
	s_or_b64 exec, exec, s[12:13]
	v_cvt_pkrtz_f16_f32 v26, v34, v35
	v_cvt_pkrtz_f16_f32 v27, v33, v36
	;; [unrolled: 1-line block ×4, first 2 shown]
	v_mfma_f32_4x4x4f16 a[0:3], v[2:3], v[26:27], a[0:3] cbsz:4 abid:4
	v_cmp_ne_u16_sdwa s[14:15], v28, v32 src0_sel:BYTE_0 src1_sel:DWORD
	v_mfma_f32_4x4x4f16 a[0:3], v[4:5], v[34:35], a[0:3] cbsz:4 abid:4
	s_and_saveexec_b64 s[12:13], s[14:15]
	s_cbranch_execz .LBB527_260
; %bb.255:
	s_movk_i32 s11, 0x80
	v_cmp_ne_u16_sdwa s[24:25], v28, s11 src0_sel:BYTE_0 src1_sel:DWORD
	v_bfrev_b32_e32 v32, 1
	s_and_saveexec_b64 s[14:15], s[24:25]
	s_cbranch_execz .LBB527_259
; %bb.256:
	s_movk_i32 s11, 0x7f
	v_and_b32_e32 v26, 0x7f, v28
	v_cmp_ne_u32_e32 vcc, s11, v26
	v_mov_b32_e32 v32, 0x7f800001
	s_and_saveexec_b64 s[24:25], vcc
	s_cbranch_execz .LBB527_258
; %bb.257:
	v_and_b32_e32 v27, 7, v28
	v_ffbh_u32_e32 v27, v27
	v_min_u32_e32 v27, 32, v27
	v_subrev_u32_e32 v31, 28, v27
	v_cmp_gt_u32_e32 vcc, 8, v26
	v_lshrrev_b32_e32 v30, 3, v26
	v_sub_u32_e32 v27, 29, v27
	v_cndmask_b32_e32 v26, 0, v31, vcc
	v_cndmask_b32_e32 v30, v30, v27, vcc
	v_lshlrev_b64 v[26:27], v26, v[28:29]
	v_lshlrev_b32_e32 v26, 20, v26
	v_lshlrev_b32_e32 v27, 24, v28
	v_bfrev_b32_e32 v31, 60
	v_and_b32_e32 v26, 0x700000, v26
	v_and_b32_e32 v27, 0x80000000, v27
	v_lshl_add_u32 v30, v30, 23, v31
	v_or3_b32 v32, v27, v30, v26
.LBB527_258:
	s_or_b64 exec, exec, s[24:25]
.LBB527_259:
	s_or_b64 exec, exec, s[14:15]
.LBB527_260:
	s_or_b64 exec, exec, s[12:13]
	v_lshrrev_b16_e32 v26, 8, v28
	v_cmp_ne_u16_e32 vcc, 0, v26
	v_mov_b32_e32 v31, 0
	v_mov_b32_e32 v33, 0
	s_and_saveexec_b64 s[12:13], vcc
	s_cbranch_execz .LBB527_266
; %bb.261:
	s_movk_i32 s11, 0x80
	v_cmp_ne_u16_e32 vcc, s11, v26
	v_bfrev_b32_e32 v33, 1
	s_and_saveexec_b64 s[14:15], vcc
	s_cbranch_execz .LBB527_265
; %bb.262:
	s_movk_i32 s11, 0x7f
	v_and_b32_e32 v27, 0x7f, v26
	v_cmp_ne_u32_e32 vcc, s11, v27
	v_mov_b32_e32 v33, 0x7f800001
	s_and_saveexec_b64 s[24:25], vcc
	s_cbranch_execz .LBB527_264
; %bb.263:
	v_and_b32_e32 v30, 7, v26
	v_ffbh_u32_e32 v34, v30
	v_min_u32_e32 v36, 32, v34
	v_subrev_u32_e32 v34, 28, v36
	v_lshlrev_b64 v[34:35], v34, v[26:27]
	v_lshrrev_b32_e32 v33, 3, v27
	v_sub_u32_e32 v26, 29, v36
	v_and_b32_e32 v34, 7, v34
	v_cmp_gt_u32_e32 vcc, 8, v27
	v_cndmask_b32_e32 v26, v33, v26, vcc
	v_cndmask_b32_e32 v27, v30, v34, vcc
	v_lshlrev_b32_e32 v30, 16, v28
	v_bfrev_b32_e32 v33, 60
	v_lshlrev_b32_e32 v27, 20, v27
	v_and_b32_e32 v30, 0x80000000, v30
	v_lshl_add_u32 v26, v26, 23, v33
	v_or3_b32 v33, v30, v26, v27
.LBB527_264:
	s_or_b64 exec, exec, s[24:25]
.LBB527_265:
	s_or_b64 exec, exec, s[14:15]
.LBB527_266:
	s_or_b64 exec, exec, s[12:13]
	s_movk_i32 s11, 0xff
	v_and_b32_sdwa v27, v28, s11 dst_sel:DWORD dst_unused:UNUSED_PAD src0_sel:WORD_1 src1_sel:DWORD
	v_lshrrev_b32_e32 v26, 16, v28
	v_cmp_ne_u16_e32 vcc, 0, v27
	s_and_saveexec_b64 s[12:13], vcc
	s_cbranch_execz .LBB527_272
; %bb.267:
	s_movk_i32 s11, 0x80
	v_cmp_ne_u16_e32 vcc, s11, v27
	v_bfrev_b32_e32 v31, 1
	s_and_saveexec_b64 s[14:15], vcc
	s_cbranch_execz .LBB527_271
; %bb.268:
	v_bfe_u32 v27, v28, 16, 7
	s_movk_i32 s11, 0x7f
	v_cmp_ne_u32_e32 vcc, s11, v27
	v_mov_b32_e32 v31, 0x7f800001
	s_and_saveexec_b64 s[24:25], vcc
	s_cbranch_execz .LBB527_270
; %bb.269:
	v_and_b32_e32 v34, 7, v26
	v_ffbh_u32_e32 v30, v34
	v_min_u32_e32 v36, 32, v30
	v_subrev_u32_e32 v30, 28, v36
	v_lshlrev_b64 v[30:31], v30, v[26:27]
	v_and_b32_e32 v30, 7, v30
	v_cmp_gt_u32_e32 vcc, 8, v27
	v_lshrrev_b32_e32 v35, 3, v27
	v_sub_u32_e32 v26, 29, v36
	v_cndmask_b32_e32 v27, v34, v30, vcc
	v_mov_b32_e32 v30, 24
	v_cndmask_b32_e32 v26, v35, v26, vcc
	v_lshlrev_b32_sdwa v30, v30, v28 dst_sel:DWORD dst_unused:UNUSED_PAD src0_sel:DWORD src1_sel:WORD_1
	v_bfrev_b32_e32 v31, 60
	v_lshlrev_b32_e32 v27, 20, v27
	v_and_b32_e32 v30, 0x80000000, v30
	v_lshl_add_u32 v26, v26, 23, v31
	v_or3_b32 v31, v30, v26, v27
.LBB527_270:
	s_or_b64 exec, exec, s[24:25]
.LBB527_271:
	s_or_b64 exec, exec, s[14:15]
.LBB527_272:
	s_or_b64 exec, exec, s[12:13]
	s_mov_b32 s11, 0xffffff
	v_cmp_lt_u32_e32 vcc, s11, v28
	v_mov_b32_e32 v27, 0
	v_mov_b32_e32 v34, 0
	s_and_saveexec_b64 s[12:13], vcc
	s_cbranch_execz .LBB527_278
; %bb.273:
	v_lshrrev_b32_e32 v26, 24, v28
	s_movk_i32 s11, 0x80
	v_cmp_ne_u32_e32 vcc, s11, v26
	v_bfrev_b32_e32 v34, 1
	s_and_saveexec_b64 s[14:15], vcc
	s_cbranch_execz .LBB527_277
; %bb.274:
	v_bfe_u32 v30, v28, 24, 7
	s_movk_i32 s11, 0x7f
	v_cmp_ne_u32_e32 vcc, s11, v30
	v_mov_b32_e32 v34, 0x7f800001
	s_and_saveexec_b64 s[24:25], vcc
	s_cbranch_execz .LBB527_276
; %bb.275:
	v_and_b32_e32 v36, 7, v26
	v_ffbh_u32_e32 v34, v36
	v_min_u32_e32 v38, 32, v34
	v_subrev_u32_e32 v34, 28, v38
	v_lshlrev_b64 v[34:35], v34, v[26:27]
	v_lshrrev_b32_e32 v37, 3, v30
	v_sub_u32_e32 v35, 29, v38
	v_and_b32_e32 v34, 7, v34
	v_cmp_gt_u32_e32 vcc, 8, v30
	v_cndmask_b32_e32 v30, v37, v35, vcc
	v_cndmask_b32_e32 v34, v36, v34, vcc
	v_lshlrev_b32_e32 v26, 24, v26
	v_bfrev_b32_e32 v35, 60
	v_lshlrev_b32_e32 v34, 20, v34
	v_and_b32_e32 v26, 0x80000000, v26
	v_lshl_add_u32 v30, v30, 23, v35
	v_or3_b32 v34, v26, v30, v34
.LBB527_276:
	s_or_b64 exec, exec, s[24:25]
.LBB527_277:
	s_or_b64 exec, exec, s[14:15]
.LBB527_278:
	s_or_b64 exec, exec, s[12:13]
	v_mov_b32_e32 v26, v29
	v_cmp_ne_u16_sdwa s[14:15], v29, v27 src0_sel:BYTE_0 src1_sel:DWORD
	s_and_saveexec_b64 s[12:13], s[14:15]
	s_cbranch_execz .LBB527_284
; %bb.279:
	s_movk_i32 s11, 0x80
	v_cmp_ne_u16_sdwa s[24:25], v29, s11 src0_sel:BYTE_0 src1_sel:DWORD
	v_bfrev_b32_e32 v30, 1
	s_and_saveexec_b64 s[14:15], s[24:25]
	s_cbranch_execz .LBB527_283
; %bb.280:
	s_movk_i32 s11, 0x7f
	v_and_b32_e32 v35, 0x7f, v29
	v_cmp_ne_u32_e32 vcc, s11, v35
	v_mov_b32_e32 v30, 0x7f800001
	s_and_saveexec_b64 s[24:25], vcc
	s_cbranch_execz .LBB527_282
; %bb.281:
	v_and_b32_e32 v30, 7, v29
	v_ffbh_u32_e32 v30, v30
	v_min_u32_e32 v30, 32, v30
	v_subrev_u32_e32 v37, 28, v30
	v_cmp_gt_u32_e32 vcc, 8, v35
	v_lshrrev_b32_e32 v36, 3, v35
	v_sub_u32_e32 v30, 29, v30
	v_cndmask_b32_e32 v35, 0, v37, vcc
	v_cndmask_b32_e32 v30, v36, v30, vcc
	v_lshlrev_b64 v[36:37], v35, v[26:27]
	v_lshlrev_b32_e32 v27, 20, v36
	v_lshlrev_b32_e32 v35, 24, v26
	v_bfrev_b32_e32 v36, 60
	v_and_b32_e32 v27, 0x700000, v27
	v_and_b32_e32 v35, 0x80000000, v35
	v_lshl_add_u32 v30, v30, 23, v36
	v_or3_b32 v30, v35, v30, v27
.LBB527_282:
	s_or_b64 exec, exec, s[24:25]
.LBB527_283:
	s_or_b64 exec, exec, s[14:15]
	v_mov_b32_e32 v27, v30
.LBB527_284:
	s_or_b64 exec, exec, s[12:13]
	v_lshrrev_b16_e32 v30, 8, v26
	v_cmp_ne_u16_e32 vcc, 0, v30
	v_mov_b32_e32 v35, 0
	v_mov_b32_e32 v36, 0
	s_and_saveexec_b64 s[12:13], vcc
	s_cbranch_execz .LBB527_290
; %bb.285:
	s_movk_i32 s11, 0x80
	v_cmp_ne_u16_e32 vcc, s11, v30
	v_bfrev_b32_e32 v36, 1
	s_and_saveexec_b64 s[14:15], vcc
	s_cbranch_execz .LBB527_289
; %bb.286:
	s_movk_i32 s11, 0x7f
	v_and_b32_e32 v37, 0x7f, v30
	v_cmp_ne_u32_e32 vcc, s11, v37
	v_mov_b32_e32 v36, 0x7f800001
	s_and_saveexec_b64 s[24:25], vcc
	s_cbranch_execz .LBB527_288
; %bb.287:
	v_and_b32_e32 v36, 7, v30
	v_ffbh_u32_e32 v38, v36
	v_min_u32_e32 v41, 32, v38
	v_subrev_u32_e32 v38, 28, v41
	v_lshlrev_b64 v[38:39], v38, v[30:31]
	v_lshrrev_b32_e32 v40, 3, v37
	v_sub_u32_e32 v30, 29, v41
	v_and_b32_e32 v38, 7, v38
	v_cmp_gt_u32_e32 vcc, 8, v37
	v_cndmask_b32_e32 v30, v40, v30, vcc
	v_cndmask_b32_e32 v36, v36, v38, vcc
	v_lshlrev_b32_e32 v26, 16, v26
	v_bfrev_b32_e32 v37, 60
	v_lshlrev_b32_e32 v36, 20, v36
	v_and_b32_e32 v26, 0x80000000, v26
	v_lshl_add_u32 v30, v30, 23, v37
	v_or3_b32 v36, v26, v30, v36
.LBB527_288:
	s_or_b64 exec, exec, s[24:25]
.LBB527_289:
	s_or_b64 exec, exec, s[14:15]
.LBB527_290:
	s_or_b64 exec, exec, s[12:13]
	s_movk_i32 s11, 0xff
	v_and_b32_sdwa v30, v29, s11 dst_sel:DWORD dst_unused:UNUSED_PAD src0_sel:WORD_1 src1_sel:DWORD
	v_lshrrev_b32_e32 v26, 16, v29
	v_cmp_ne_u16_e32 vcc, 0, v30
	s_and_saveexec_b64 s[12:13], vcc
	s_cbranch_execz .LBB527_296
; %bb.291:
	s_movk_i32 s11, 0x80
	v_cmp_ne_u16_e32 vcc, s11, v30
	v_bfrev_b32_e32 v35, 1
	s_and_saveexec_b64 s[14:15], vcc
	s_cbranch_execz .LBB527_295
; %bb.292:
	v_bfe_u32 v30, v29, 16, 7
	s_movk_i32 s11, 0x7f
	v_cmp_ne_u32_e32 vcc, s11, v30
	v_mov_b32_e32 v35, 0x7f800001
	s_and_saveexec_b64 s[24:25], vcc
	s_cbranch_execz .LBB527_294
; %bb.293:
	v_and_b32_e32 v35, 7, v26
	v_ffbh_u32_e32 v38, v35
	v_min_u32_e32 v40, 32, v38
	v_subrev_u32_e32 v38, 28, v40
	v_lshlrev_b64 v[38:39], v38, v[26:27]
	v_and_b32_e32 v38, 7, v38
	v_cmp_gt_u32_e32 vcc, 8, v30
	v_lshrrev_b32_e32 v37, 3, v30
	v_sub_u32_e32 v26, 29, v40
	v_cndmask_b32_e32 v30, v35, v38, vcc
	v_mov_b32_e32 v35, 24
	v_cndmask_b32_e32 v26, v37, v26, vcc
	v_lshlrev_b32_sdwa v35, v35, v29 dst_sel:DWORD dst_unused:UNUSED_PAD src0_sel:DWORD src1_sel:WORD_1
	v_bfrev_b32_e32 v37, 60
	v_lshlrev_b32_e32 v30, 20, v30
	v_and_b32_e32 v35, 0x80000000, v35
	v_lshl_add_u32 v26, v26, 23, v37
	v_or3_b32 v35, v35, v26, v30
.LBB527_294:
	s_or_b64 exec, exec, s[24:25]
.LBB527_295:
	s_or_b64 exec, exec, s[14:15]
.LBB527_296:
	s_or_b64 exec, exec, s[12:13]
	s_mov_b32 s12, -1
	s_mov_b32 s13, 0xffffff
	v_cmp_lt_u64_e32 vcc, s[12:13], v[28:29]
	v_mov_b32_e32 v30, 0
	v_mov_b32_e32 v28, 0
	s_and_saveexec_b64 s[12:13], vcc
	s_cbranch_execz .LBB527_302
; %bb.297:
	v_lshrrev_b32_e32 v26, 24, v29
	s_movk_i32 s11, 0x80
	v_cmp_ne_u32_e32 vcc, s11, v26
	v_bfrev_b32_e32 v28, 1
	s_and_saveexec_b64 s[14:15], vcc
	s_cbranch_execz .LBB527_301
; %bb.298:
	v_bfe_u32 v29, v29, 24, 7
	s_movk_i32 s11, 0x7f
	v_cmp_ne_u32_e32 vcc, s11, v29
	v_mov_b32_e32 v28, 0x7f800001
	s_and_saveexec_b64 s[24:25], vcc
	s_cbranch_execz .LBB527_300
; %bb.299:
	v_and_b32_e32 v28, 7, v26
	v_ffbh_u32_e32 v38, v28
	v_min_u32_e32 v40, 32, v38
	v_subrev_u32_e32 v38, 28, v40
	v_lshlrev_b64 v[38:39], v38, v[26:27]
	v_lshrrev_b32_e32 v37, 3, v29
	v_sub_u32_e32 v39, 29, v40
	v_and_b32_e32 v38, 7, v38
	v_cmp_gt_u32_e32 vcc, 8, v29
	v_cndmask_b32_e32 v29, v37, v39, vcc
	v_cndmask_b32_e32 v28, v28, v38, vcc
	v_lshlrev_b32_e32 v26, 24, v26
	v_bfrev_b32_e32 v37, 60
	v_lshlrev_b32_e32 v28, 20, v28
	v_and_b32_e32 v26, 0x80000000, v26
	v_lshl_add_u32 v29, v29, 23, v37
	v_or3_b32 v28, v26, v29, v28
.LBB527_300:
	s_or_b64 exec, exec, s[24:25]
.LBB527_301:
	s_or_b64 exec, exec, s[14:15]
.LBB527_302:
	s_or_b64 exec, exec, s[12:13]
	v_cvt_pkrtz_f16_f32 v32, v32, v33
	v_cvt_pkrtz_f16_f32 v33, v31, v34
	;; [unrolled: 1-line block ×4, first 2 shown]
	v_mfma_f32_4x4x4f16 a[0:3], v[2:3], v[32:33], a[0:3] cbsz:4 abid:5
	v_cmp_ne_u16_sdwa s[14:15], v22, v30 src0_sel:BYTE_0 src1_sel:DWORD
	v_mfma_f32_4x4x4f16 a[0:3], v[4:5], v[26:27], a[0:3] cbsz:4 abid:5
	s_and_saveexec_b64 s[12:13], s[14:15]
	s_cbranch_execz .LBB527_308
; %bb.303:
	s_movk_i32 s11, 0x80
	v_cmp_ne_u16_sdwa s[24:25], v22, s11 src0_sel:BYTE_0 src1_sel:DWORD
	v_bfrev_b32_e32 v30, 1
	s_and_saveexec_b64 s[14:15], s[24:25]
	s_cbranch_execz .LBB527_307
; %bb.304:
	s_movk_i32 s11, 0x7f
	v_and_b32_e32 v26, 0x7f, v22
	v_cmp_ne_u32_e32 vcc, s11, v26
	v_mov_b32_e32 v30, 0x7f800001
	s_and_saveexec_b64 s[24:25], vcc
	s_cbranch_execz .LBB527_306
; %bb.305:
	v_and_b32_e32 v27, 7, v22
	v_ffbh_u32_e32 v27, v27
	v_min_u32_e32 v27, 32, v27
	v_subrev_u32_e32 v29, 28, v27
	v_cmp_gt_u32_e32 vcc, 8, v26
	v_lshrrev_b32_e32 v28, 3, v26
	v_sub_u32_e32 v27, 29, v27
	v_cndmask_b32_e32 v26, 0, v29, vcc
	v_cndmask_b32_e32 v28, v28, v27, vcc
	v_lshlrev_b64 v[26:27], v26, v[22:23]
	v_lshlrev_b32_e32 v26, 20, v26
	v_lshlrev_b32_e32 v27, 24, v22
	v_bfrev_b32_e32 v29, 60
	v_and_b32_e32 v26, 0x700000, v26
	v_and_b32_e32 v27, 0x80000000, v27
	v_lshl_add_u32 v28, v28, 23, v29
	v_or3_b32 v30, v27, v28, v26
.LBB527_306:
	s_or_b64 exec, exec, s[24:25]
.LBB527_307:
	s_or_b64 exec, exec, s[14:15]
.LBB527_308:
	s_or_b64 exec, exec, s[12:13]
	v_lshrrev_b16_e32 v26, 8, v22
	v_cmp_ne_u16_e32 vcc, 0, v26
	v_mov_b32_e32 v29, 0
	v_mov_b32_e32 v31, 0
	s_and_saveexec_b64 s[12:13], vcc
	s_cbranch_execz .LBB527_314
; %bb.309:
	s_movk_i32 s11, 0x80
	v_cmp_ne_u16_e32 vcc, s11, v26
	v_bfrev_b32_e32 v31, 1
	s_and_saveexec_b64 s[14:15], vcc
	s_cbranch_execz .LBB527_313
; %bb.310:
	s_movk_i32 s11, 0x7f
	v_and_b32_e32 v27, 0x7f, v26
	v_cmp_ne_u32_e32 vcc, s11, v27
	v_mov_b32_e32 v31, 0x7f800001
	s_and_saveexec_b64 s[24:25], vcc
	s_cbranch_execz .LBB527_312
; %bb.311:
	v_and_b32_e32 v28, 7, v26
	v_ffbh_u32_e32 v32, v28
	v_min_u32_e32 v34, 32, v32
	v_subrev_u32_e32 v32, 28, v34
	v_lshlrev_b64 v[32:33], v32, v[26:27]
	v_lshrrev_b32_e32 v31, 3, v27
	v_sub_u32_e32 v26, 29, v34
	v_and_b32_e32 v32, 7, v32
	v_cmp_gt_u32_e32 vcc, 8, v27
	v_cndmask_b32_e32 v26, v31, v26, vcc
	v_cndmask_b32_e32 v27, v28, v32, vcc
	v_lshlrev_b32_e32 v28, 16, v22
	v_bfrev_b32_e32 v31, 60
	v_lshlrev_b32_e32 v27, 20, v27
	v_and_b32_e32 v28, 0x80000000, v28
	v_lshl_add_u32 v26, v26, 23, v31
	v_or3_b32 v31, v28, v26, v27
.LBB527_312:
	s_or_b64 exec, exec, s[24:25]
.LBB527_313:
	s_or_b64 exec, exec, s[14:15]
.LBB527_314:
	s_or_b64 exec, exec, s[12:13]
	s_movk_i32 s11, 0xff
	v_and_b32_sdwa v27, v22, s11 dst_sel:DWORD dst_unused:UNUSED_PAD src0_sel:WORD_1 src1_sel:DWORD
	v_lshrrev_b32_e32 v26, 16, v22
	v_cmp_ne_u16_e32 vcc, 0, v27
	s_and_saveexec_b64 s[12:13], vcc
	s_cbranch_execz .LBB527_320
; %bb.315:
	s_movk_i32 s11, 0x80
	v_cmp_ne_u16_e32 vcc, s11, v27
	v_bfrev_b32_e32 v29, 1
	s_and_saveexec_b64 s[14:15], vcc
	s_cbranch_execz .LBB527_319
; %bb.316:
	v_bfe_u32 v27, v22, 16, 7
	s_movk_i32 s11, 0x7f
	v_cmp_ne_u32_e32 vcc, s11, v27
	v_mov_b32_e32 v29, 0x7f800001
	s_and_saveexec_b64 s[24:25], vcc
	s_cbranch_execz .LBB527_318
; %bb.317:
	v_and_b32_e32 v32, 7, v26
	v_ffbh_u32_e32 v28, v32
	v_min_u32_e32 v34, 32, v28
	v_subrev_u32_e32 v28, 28, v34
	v_lshlrev_b64 v[28:29], v28, v[26:27]
	v_and_b32_e32 v28, 7, v28
	v_cmp_gt_u32_e32 vcc, 8, v27
	v_lshrrev_b32_e32 v33, 3, v27
	v_sub_u32_e32 v26, 29, v34
	v_cndmask_b32_e32 v27, v32, v28, vcc
	v_mov_b32_e32 v28, 24
	v_cndmask_b32_e32 v26, v33, v26, vcc
	v_lshlrev_b32_sdwa v28, v28, v22 dst_sel:DWORD dst_unused:UNUSED_PAD src0_sel:DWORD src1_sel:WORD_1
	v_bfrev_b32_e32 v29, 60
	v_lshlrev_b32_e32 v27, 20, v27
	v_and_b32_e32 v28, 0x80000000, v28
	v_lshl_add_u32 v26, v26, 23, v29
	v_or3_b32 v29, v28, v26, v27
.LBB527_318:
	s_or_b64 exec, exec, s[24:25]
.LBB527_319:
	s_or_b64 exec, exec, s[14:15]
.LBB527_320:
	s_or_b64 exec, exec, s[12:13]
	s_mov_b32 s11, 0xffffff
	v_cmp_lt_u32_e32 vcc, s11, v22
	v_mov_b32_e32 v27, 0
	v_mov_b32_e32 v32, 0
	s_and_saveexec_b64 s[12:13], vcc
	s_cbranch_execz .LBB527_326
; %bb.321:
	v_lshrrev_b32_e32 v26, 24, v22
	s_movk_i32 s11, 0x80
	v_cmp_ne_u32_e32 vcc, s11, v26
	v_bfrev_b32_e32 v32, 1
	s_and_saveexec_b64 s[14:15], vcc
	s_cbranch_execz .LBB527_325
; %bb.322:
	v_bfe_u32 v28, v22, 24, 7
	s_movk_i32 s11, 0x7f
	v_cmp_ne_u32_e32 vcc, s11, v28
	v_mov_b32_e32 v32, 0x7f800001
	s_and_saveexec_b64 s[24:25], vcc
	s_cbranch_execz .LBB527_324
; %bb.323:
	v_and_b32_e32 v34, 7, v26
	v_ffbh_u32_e32 v32, v34
	v_min_u32_e32 v36, 32, v32
	v_subrev_u32_e32 v32, 28, v36
	v_lshlrev_b64 v[32:33], v32, v[26:27]
	v_lshrrev_b32_e32 v35, 3, v28
	v_sub_u32_e32 v33, 29, v36
	v_and_b32_e32 v32, 7, v32
	v_cmp_gt_u32_e32 vcc, 8, v28
	v_cndmask_b32_e32 v28, v35, v33, vcc
	v_cndmask_b32_e32 v32, v34, v32, vcc
	v_lshlrev_b32_e32 v26, 24, v26
	v_bfrev_b32_e32 v33, 60
	v_lshlrev_b32_e32 v32, 20, v32
	v_and_b32_e32 v26, 0x80000000, v26
	v_lshl_add_u32 v28, v28, 23, v33
	v_or3_b32 v32, v26, v28, v32
.LBB527_324:
	s_or_b64 exec, exec, s[24:25]
.LBB527_325:
	s_or_b64 exec, exec, s[14:15]
.LBB527_326:
	s_or_b64 exec, exec, s[12:13]
	v_mov_b32_e32 v26, v23
	v_cmp_ne_u16_sdwa s[14:15], v23, v27 src0_sel:BYTE_0 src1_sel:DWORD
	s_and_saveexec_b64 s[12:13], s[14:15]
	s_cbranch_execz .LBB527_332
; %bb.327:
	s_movk_i32 s11, 0x80
	v_cmp_ne_u16_sdwa s[24:25], v23, s11 src0_sel:BYTE_0 src1_sel:DWORD
	v_bfrev_b32_e32 v28, 1
	s_and_saveexec_b64 s[14:15], s[24:25]
	s_cbranch_execz .LBB527_331
; %bb.328:
	s_movk_i32 s11, 0x7f
	v_and_b32_e32 v33, 0x7f, v23
	v_cmp_ne_u32_e32 vcc, s11, v33
	v_mov_b32_e32 v28, 0x7f800001
	s_and_saveexec_b64 s[24:25], vcc
	s_cbranch_execz .LBB527_330
; %bb.329:
	v_and_b32_e32 v28, 7, v23
	v_ffbh_u32_e32 v28, v28
	v_min_u32_e32 v28, 32, v28
	v_subrev_u32_e32 v35, 28, v28
	v_cmp_gt_u32_e32 vcc, 8, v33
	v_lshrrev_b32_e32 v34, 3, v33
	v_sub_u32_e32 v28, 29, v28
	v_cndmask_b32_e32 v33, 0, v35, vcc
	v_cndmask_b32_e32 v28, v34, v28, vcc
	v_lshlrev_b64 v[34:35], v33, v[26:27]
	v_lshlrev_b32_e32 v27, 20, v34
	v_lshlrev_b32_e32 v33, 24, v26
	v_bfrev_b32_e32 v34, 60
	v_and_b32_e32 v27, 0x700000, v27
	v_and_b32_e32 v33, 0x80000000, v33
	v_lshl_add_u32 v28, v28, 23, v34
	v_or3_b32 v28, v33, v28, v27
.LBB527_330:
	s_or_b64 exec, exec, s[24:25]
.LBB527_331:
	s_or_b64 exec, exec, s[14:15]
	v_mov_b32_e32 v27, v28
.LBB527_332:
	s_or_b64 exec, exec, s[12:13]
	v_lshrrev_b16_e32 v28, 8, v26
	v_cmp_ne_u16_e32 vcc, 0, v28
	v_mov_b32_e32 v33, 0
	v_mov_b32_e32 v34, 0
	s_and_saveexec_b64 s[12:13], vcc
	s_cbranch_execz .LBB527_338
; %bb.333:
	s_movk_i32 s11, 0x80
	v_cmp_ne_u16_e32 vcc, s11, v28
	v_bfrev_b32_e32 v34, 1
	s_and_saveexec_b64 s[14:15], vcc
	s_cbranch_execz .LBB527_337
; %bb.334:
	s_movk_i32 s11, 0x7f
	v_and_b32_e32 v35, 0x7f, v28
	v_cmp_ne_u32_e32 vcc, s11, v35
	v_mov_b32_e32 v34, 0x7f800001
	s_and_saveexec_b64 s[24:25], vcc
	s_cbranch_execz .LBB527_336
; %bb.335:
	v_and_b32_e32 v34, 7, v28
	v_ffbh_u32_e32 v36, v34
	v_min_u32_e32 v39, 32, v36
	v_subrev_u32_e32 v36, 28, v39
	v_lshlrev_b64 v[36:37], v36, v[28:29]
	v_lshrrev_b32_e32 v38, 3, v35
	v_sub_u32_e32 v28, 29, v39
	v_and_b32_e32 v36, 7, v36
	v_cmp_gt_u32_e32 vcc, 8, v35
	v_cndmask_b32_e32 v28, v38, v28, vcc
	v_cndmask_b32_e32 v34, v34, v36, vcc
	v_lshlrev_b32_e32 v26, 16, v26
	v_bfrev_b32_e32 v35, 60
	v_lshlrev_b32_e32 v34, 20, v34
	v_and_b32_e32 v26, 0x80000000, v26
	v_lshl_add_u32 v28, v28, 23, v35
	v_or3_b32 v34, v26, v28, v34
.LBB527_336:
	s_or_b64 exec, exec, s[24:25]
.LBB527_337:
	s_or_b64 exec, exec, s[14:15]
.LBB527_338:
	s_or_b64 exec, exec, s[12:13]
	s_movk_i32 s11, 0xff
	v_and_b32_sdwa v28, v23, s11 dst_sel:DWORD dst_unused:UNUSED_PAD src0_sel:WORD_1 src1_sel:DWORD
	v_lshrrev_b32_e32 v26, 16, v23
	v_cmp_ne_u16_e32 vcc, 0, v28
	s_and_saveexec_b64 s[12:13], vcc
	s_cbranch_execz .LBB527_344
; %bb.339:
	s_movk_i32 s11, 0x80
	v_cmp_ne_u16_e32 vcc, s11, v28
	v_bfrev_b32_e32 v33, 1
	s_and_saveexec_b64 s[14:15], vcc
	s_cbranch_execz .LBB527_343
; %bb.340:
	v_bfe_u32 v28, v23, 16, 7
	s_movk_i32 s11, 0x7f
	v_cmp_ne_u32_e32 vcc, s11, v28
	v_mov_b32_e32 v33, 0x7f800001
	s_and_saveexec_b64 s[24:25], vcc
	s_cbranch_execz .LBB527_342
; %bb.341:
	v_and_b32_e32 v33, 7, v26
	v_ffbh_u32_e32 v36, v33
	v_min_u32_e32 v38, 32, v36
	v_subrev_u32_e32 v36, 28, v38
	v_lshlrev_b64 v[36:37], v36, v[26:27]
	v_and_b32_e32 v36, 7, v36
	v_cmp_gt_u32_e32 vcc, 8, v28
	v_lshrrev_b32_e32 v35, 3, v28
	v_sub_u32_e32 v26, 29, v38
	v_cndmask_b32_e32 v28, v33, v36, vcc
	v_mov_b32_e32 v33, 24
	v_cndmask_b32_e32 v26, v35, v26, vcc
	v_lshlrev_b32_sdwa v33, v33, v23 dst_sel:DWORD dst_unused:UNUSED_PAD src0_sel:DWORD src1_sel:WORD_1
	v_bfrev_b32_e32 v35, 60
	v_lshlrev_b32_e32 v28, 20, v28
	v_and_b32_e32 v33, 0x80000000, v33
	v_lshl_add_u32 v26, v26, 23, v35
	v_or3_b32 v33, v33, v26, v28
.LBB527_342:
	s_or_b64 exec, exec, s[24:25]
.LBB527_343:
	s_or_b64 exec, exec, s[14:15]
.LBB527_344:
	s_or_b64 exec, exec, s[12:13]
	s_mov_b32 s12, -1
	s_mov_b32 s13, 0xffffff
	v_cmp_lt_u64_e32 vcc, s[12:13], v[22:23]
	v_mov_b32_e32 v28, 0
	v_mov_b32_e32 v26, 0
	s_and_saveexec_b64 s[12:13], vcc
	s_cbranch_execz .LBB527_350
; %bb.345:
	v_lshrrev_b32_e32 v22, 24, v23
	s_movk_i32 s11, 0x80
	v_cmp_ne_u32_e32 vcc, s11, v22
	v_bfrev_b32_e32 v26, 1
	s_and_saveexec_b64 s[14:15], vcc
	s_cbranch_execz .LBB527_349
; %bb.346:
	v_bfe_u32 v23, v23, 24, 7
	s_movk_i32 s11, 0x7f
	v_cmp_ne_u32_e32 vcc, s11, v23
	v_mov_b32_e32 v26, 0x7f800001
	s_and_saveexec_b64 s[24:25], vcc
	s_cbranch_execz .LBB527_348
; %bb.347:
	v_and_b32_e32 v26, 7, v22
	v_ffbh_u32_e32 v36, v26
	v_min_u32_e32 v38, 32, v36
	v_subrev_u32_e32 v36, 28, v38
	v_lshlrev_b64 v[36:37], v36, v[22:23]
	v_lshrrev_b32_e32 v35, 3, v23
	v_sub_u32_e32 v37, 29, v38
	v_and_b32_e32 v36, 7, v36
	v_cmp_gt_u32_e32 vcc, 8, v23
	v_cndmask_b32_e32 v23, v35, v37, vcc
	v_cndmask_b32_e32 v26, v26, v36, vcc
	v_lshlrev_b32_e32 v22, 24, v22
	v_bfrev_b32_e32 v35, 60
	v_lshlrev_b32_e32 v26, 20, v26
	v_and_b32_e32 v22, 0x80000000, v22
	v_lshl_add_u32 v23, v23, 23, v35
	v_or3_b32 v26, v22, v23, v26
.LBB527_348:
	s_or_b64 exec, exec, s[24:25]
.LBB527_349:
	s_or_b64 exec, exec, s[14:15]
.LBB527_350:
	s_or_b64 exec, exec, s[12:13]
	v_cvt_pkrtz_f16_f32 v22, v30, v31
	v_cvt_pkrtz_f16_f32 v23, v29, v32
	;; [unrolled: 1-line block ×4, first 2 shown]
	v_mfma_f32_4x4x4f16 a[0:3], v[2:3], v[22:23], a[0:3] cbsz:4 abid:6
	v_cmp_ne_u16_sdwa s[14:15], v24, v28 src0_sel:BYTE_0 src1_sel:DWORD
	v_mfma_f32_4x4x4f16 a[0:3], v[4:5], v[30:31], a[0:3] cbsz:4 abid:6
	s_and_saveexec_b64 s[12:13], s[14:15]
	s_cbranch_execz .LBB527_356
; %bb.351:
	s_movk_i32 s11, 0x80
	v_cmp_ne_u16_sdwa s[24:25], v24, s11 src0_sel:BYTE_0 src1_sel:DWORD
	v_bfrev_b32_e32 v28, 1
	s_and_saveexec_b64 s[14:15], s[24:25]
	s_cbranch_execz .LBB527_355
; %bb.352:
	s_movk_i32 s11, 0x7f
	v_and_b32_e32 v22, 0x7f, v24
	v_cmp_ne_u32_e32 vcc, s11, v22
	v_mov_b32_e32 v28, 0x7f800001
	s_and_saveexec_b64 s[24:25], vcc
	s_cbranch_execz .LBB527_354
; %bb.353:
	v_and_b32_e32 v23, 7, v24
	v_ffbh_u32_e32 v23, v23
	v_min_u32_e32 v23, 32, v23
	v_subrev_u32_e32 v27, 28, v23
	v_cmp_gt_u32_e32 vcc, 8, v22
	v_lshrrev_b32_e32 v26, 3, v22
	v_sub_u32_e32 v23, 29, v23
	v_cndmask_b32_e32 v22, 0, v27, vcc
	v_cndmask_b32_e32 v26, v26, v23, vcc
	v_lshlrev_b64 v[22:23], v22, v[24:25]
	v_lshlrev_b32_e32 v22, 20, v22
	v_lshlrev_b32_e32 v23, 24, v24
	v_bfrev_b32_e32 v27, 60
	v_and_b32_e32 v22, 0x700000, v22
	v_and_b32_e32 v23, 0x80000000, v23
	v_lshl_add_u32 v26, v26, 23, v27
	v_or3_b32 v28, v23, v26, v22
.LBB527_354:
	s_or_b64 exec, exec, s[24:25]
.LBB527_355:
	s_or_b64 exec, exec, s[14:15]
.LBB527_356:
	s_or_b64 exec, exec, s[12:13]
	v_lshrrev_b16_e32 v22, 8, v24
	v_cmp_ne_u16_e32 vcc, 0, v22
	v_mov_b32_e32 v27, 0
	v_mov_b32_e32 v29, 0
	s_and_saveexec_b64 s[12:13], vcc
	s_cbranch_execz .LBB527_362
; %bb.357:
	s_movk_i32 s11, 0x80
	v_cmp_ne_u16_e32 vcc, s11, v22
	v_bfrev_b32_e32 v29, 1
	s_and_saveexec_b64 s[14:15], vcc
	s_cbranch_execz .LBB527_361
; %bb.358:
	s_movk_i32 s11, 0x7f
	v_and_b32_e32 v23, 0x7f, v22
	v_cmp_ne_u32_e32 vcc, s11, v23
	v_mov_b32_e32 v29, 0x7f800001
	s_and_saveexec_b64 s[24:25], vcc
	s_cbranch_execz .LBB527_360
; %bb.359:
	v_and_b32_e32 v26, 7, v22
	v_ffbh_u32_e32 v30, v26
	v_min_u32_e32 v32, 32, v30
	v_subrev_u32_e32 v30, 28, v32
	v_lshlrev_b64 v[30:31], v30, v[22:23]
	v_lshrrev_b32_e32 v29, 3, v23
	v_sub_u32_e32 v22, 29, v32
	v_and_b32_e32 v30, 7, v30
	v_cmp_gt_u32_e32 vcc, 8, v23
	v_cndmask_b32_e32 v22, v29, v22, vcc
	v_cndmask_b32_e32 v23, v26, v30, vcc
	v_lshlrev_b32_e32 v26, 16, v24
	v_bfrev_b32_e32 v29, 60
	v_lshlrev_b32_e32 v23, 20, v23
	v_and_b32_e32 v26, 0x80000000, v26
	v_lshl_add_u32 v22, v22, 23, v29
	v_or3_b32 v29, v26, v22, v23
.LBB527_360:
	s_or_b64 exec, exec, s[24:25]
.LBB527_361:
	s_or_b64 exec, exec, s[14:15]
.LBB527_362:
	s_or_b64 exec, exec, s[12:13]
	s_movk_i32 s11, 0xff
	v_and_b32_sdwa v23, v24, s11 dst_sel:DWORD dst_unused:UNUSED_PAD src0_sel:WORD_1 src1_sel:DWORD
	v_lshrrev_b32_e32 v22, 16, v24
	v_cmp_ne_u16_e32 vcc, 0, v23
	s_and_saveexec_b64 s[12:13], vcc
	s_cbranch_execz .LBB527_368
; %bb.363:
	s_movk_i32 s11, 0x80
	v_cmp_ne_u16_e32 vcc, s11, v23
	v_bfrev_b32_e32 v27, 1
	s_and_saveexec_b64 s[14:15], vcc
	s_cbranch_execz .LBB527_367
; %bb.364:
	v_bfe_u32 v23, v24, 16, 7
	s_movk_i32 s11, 0x7f
	v_cmp_ne_u32_e32 vcc, s11, v23
	v_mov_b32_e32 v27, 0x7f800001
	s_and_saveexec_b64 s[24:25], vcc
	s_cbranch_execz .LBB527_366
; %bb.365:
	v_and_b32_e32 v30, 7, v22
	v_ffbh_u32_e32 v26, v30
	v_min_u32_e32 v32, 32, v26
	v_subrev_u32_e32 v26, 28, v32
	v_lshlrev_b64 v[26:27], v26, v[22:23]
	v_and_b32_e32 v26, 7, v26
	v_cmp_gt_u32_e32 vcc, 8, v23
	v_lshrrev_b32_e32 v31, 3, v23
	v_sub_u32_e32 v22, 29, v32
	v_cndmask_b32_e32 v23, v30, v26, vcc
	v_mov_b32_e32 v26, 24
	v_cndmask_b32_e32 v22, v31, v22, vcc
	v_lshlrev_b32_sdwa v26, v26, v24 dst_sel:DWORD dst_unused:UNUSED_PAD src0_sel:DWORD src1_sel:WORD_1
	v_bfrev_b32_e32 v27, 60
	v_lshlrev_b32_e32 v23, 20, v23
	v_and_b32_e32 v26, 0x80000000, v26
	v_lshl_add_u32 v22, v22, 23, v27
	v_or3_b32 v27, v26, v22, v23
.LBB527_366:
	s_or_b64 exec, exec, s[24:25]
.LBB527_367:
	s_or_b64 exec, exec, s[14:15]
.LBB527_368:
	s_or_b64 exec, exec, s[12:13]
	s_mov_b32 s11, 0xffffff
	v_cmp_lt_u32_e32 vcc, s11, v24
	v_mov_b32_e32 v23, 0
	v_mov_b32_e32 v30, 0
	s_and_saveexec_b64 s[12:13], vcc
	s_cbranch_execz .LBB527_374
; %bb.369:
	v_lshrrev_b32_e32 v22, 24, v24
	s_movk_i32 s11, 0x80
	v_cmp_ne_u32_e32 vcc, s11, v22
	v_bfrev_b32_e32 v30, 1
	s_and_saveexec_b64 s[14:15], vcc
	s_cbranch_execz .LBB527_373
; %bb.370:
	v_bfe_u32 v26, v24, 24, 7
	s_movk_i32 s11, 0x7f
	v_cmp_ne_u32_e32 vcc, s11, v26
	v_mov_b32_e32 v30, 0x7f800001
	s_and_saveexec_b64 s[24:25], vcc
	s_cbranch_execz .LBB527_372
; %bb.371:
	v_and_b32_e32 v32, 7, v22
	v_ffbh_u32_e32 v30, v32
	v_min_u32_e32 v34, 32, v30
	v_subrev_u32_e32 v30, 28, v34
	v_lshlrev_b64 v[30:31], v30, v[22:23]
	v_lshrrev_b32_e32 v33, 3, v26
	v_sub_u32_e32 v31, 29, v34
	v_and_b32_e32 v30, 7, v30
	v_cmp_gt_u32_e32 vcc, 8, v26
	v_cndmask_b32_e32 v26, v33, v31, vcc
	v_cndmask_b32_e32 v30, v32, v30, vcc
	v_lshlrev_b32_e32 v22, 24, v22
	v_bfrev_b32_e32 v31, 60
	v_lshlrev_b32_e32 v30, 20, v30
	v_and_b32_e32 v22, 0x80000000, v22
	v_lshl_add_u32 v26, v26, 23, v31
	v_or3_b32 v30, v22, v26, v30
.LBB527_372:
	s_or_b64 exec, exec, s[24:25]
.LBB527_373:
	s_or_b64 exec, exec, s[14:15]
.LBB527_374:
	s_or_b64 exec, exec, s[12:13]
	v_mov_b32_e32 v22, v25
	v_cmp_ne_u16_sdwa s[14:15], v25, v23 src0_sel:BYTE_0 src1_sel:DWORD
	s_and_saveexec_b64 s[12:13], s[14:15]
	s_cbranch_execz .LBB527_380
; %bb.375:
	s_movk_i32 s11, 0x80
	v_cmp_ne_u16_sdwa s[24:25], v25, s11 src0_sel:BYTE_0 src1_sel:DWORD
	v_bfrev_b32_e32 v26, 1
	s_and_saveexec_b64 s[14:15], s[24:25]
	s_cbranch_execz .LBB527_379
; %bb.376:
	s_movk_i32 s11, 0x7f
	v_and_b32_e32 v31, 0x7f, v25
	v_cmp_ne_u32_e32 vcc, s11, v31
	v_mov_b32_e32 v26, 0x7f800001
	s_and_saveexec_b64 s[24:25], vcc
	s_cbranch_execz .LBB527_378
; %bb.377:
	v_and_b32_e32 v26, 7, v25
	v_ffbh_u32_e32 v26, v26
	v_min_u32_e32 v26, 32, v26
	v_subrev_u32_e32 v33, 28, v26
	v_cmp_gt_u32_e32 vcc, 8, v31
	v_lshrrev_b32_e32 v32, 3, v31
	v_sub_u32_e32 v26, 29, v26
	v_cndmask_b32_e32 v31, 0, v33, vcc
	v_cndmask_b32_e32 v26, v32, v26, vcc
	v_lshlrev_b64 v[32:33], v31, v[22:23]
	v_lshlrev_b32_e32 v23, 20, v32
	v_lshlrev_b32_e32 v31, 24, v22
	v_bfrev_b32_e32 v32, 60
	v_and_b32_e32 v23, 0x700000, v23
	v_and_b32_e32 v31, 0x80000000, v31
	v_lshl_add_u32 v26, v26, 23, v32
	v_or3_b32 v26, v31, v26, v23
.LBB527_378:
	s_or_b64 exec, exec, s[24:25]
.LBB527_379:
	s_or_b64 exec, exec, s[14:15]
	v_mov_b32_e32 v23, v26
.LBB527_380:
	s_or_b64 exec, exec, s[12:13]
	v_lshrrev_b16_e32 v26, 8, v22
	v_cmp_ne_u16_e32 vcc, 0, v26
	v_mov_b32_e32 v31, 0
	v_mov_b32_e32 v32, 0
	s_and_saveexec_b64 s[12:13], vcc
	s_cbranch_execz .LBB527_386
; %bb.381:
	s_movk_i32 s11, 0x80
	v_cmp_ne_u16_e32 vcc, s11, v26
	v_bfrev_b32_e32 v32, 1
	s_and_saveexec_b64 s[14:15], vcc
	s_cbranch_execz .LBB527_385
; %bb.382:
	s_movk_i32 s11, 0x7f
	v_and_b32_e32 v33, 0x7f, v26
	v_cmp_ne_u32_e32 vcc, s11, v33
	v_mov_b32_e32 v32, 0x7f800001
	s_and_saveexec_b64 s[24:25], vcc
	s_cbranch_execz .LBB527_384
; %bb.383:
	v_and_b32_e32 v32, 7, v26
	v_ffbh_u32_e32 v34, v32
	v_min_u32_e32 v37, 32, v34
	v_subrev_u32_e32 v34, 28, v37
	v_lshlrev_b64 v[34:35], v34, v[26:27]
	v_lshrrev_b32_e32 v36, 3, v33
	v_sub_u32_e32 v26, 29, v37
	v_and_b32_e32 v34, 7, v34
	v_cmp_gt_u32_e32 vcc, 8, v33
	v_cndmask_b32_e32 v26, v36, v26, vcc
	v_cndmask_b32_e32 v32, v32, v34, vcc
	v_lshlrev_b32_e32 v22, 16, v22
	v_bfrev_b32_e32 v33, 60
	v_lshlrev_b32_e32 v32, 20, v32
	v_and_b32_e32 v22, 0x80000000, v22
	v_lshl_add_u32 v26, v26, 23, v33
	v_or3_b32 v32, v22, v26, v32
.LBB527_384:
	s_or_b64 exec, exec, s[24:25]
.LBB527_385:
	s_or_b64 exec, exec, s[14:15]
.LBB527_386:
	s_or_b64 exec, exec, s[12:13]
	s_movk_i32 s11, 0xff
	v_and_b32_sdwa v26, v25, s11 dst_sel:DWORD dst_unused:UNUSED_PAD src0_sel:WORD_1 src1_sel:DWORD
	v_lshrrev_b32_e32 v22, 16, v25
	v_cmp_ne_u16_e32 vcc, 0, v26
	s_and_saveexec_b64 s[12:13], vcc
	s_cbranch_execz .LBB527_392
; %bb.387:
	s_movk_i32 s11, 0x80
	v_cmp_ne_u16_e32 vcc, s11, v26
	v_bfrev_b32_e32 v31, 1
	s_and_saveexec_b64 s[14:15], vcc
	s_cbranch_execz .LBB527_391
; %bb.388:
	v_bfe_u32 v26, v25, 16, 7
	s_movk_i32 s11, 0x7f
	v_cmp_ne_u32_e32 vcc, s11, v26
	v_mov_b32_e32 v31, 0x7f800001
	s_and_saveexec_b64 s[24:25], vcc
	s_cbranch_execz .LBB527_390
; %bb.389:
	v_and_b32_e32 v31, 7, v22
	v_ffbh_u32_e32 v34, v31
	v_min_u32_e32 v36, 32, v34
	v_subrev_u32_e32 v34, 28, v36
	v_lshlrev_b64 v[34:35], v34, v[22:23]
	v_and_b32_e32 v34, 7, v34
	v_cmp_gt_u32_e32 vcc, 8, v26
	v_lshrrev_b32_e32 v33, 3, v26
	v_sub_u32_e32 v22, 29, v36
	v_cndmask_b32_e32 v26, v31, v34, vcc
	v_mov_b32_e32 v31, 24
	v_cndmask_b32_e32 v22, v33, v22, vcc
	v_lshlrev_b32_sdwa v31, v31, v25 dst_sel:DWORD dst_unused:UNUSED_PAD src0_sel:DWORD src1_sel:WORD_1
	v_bfrev_b32_e32 v33, 60
	v_lshlrev_b32_e32 v26, 20, v26
	v_and_b32_e32 v31, 0x80000000, v31
	v_lshl_add_u32 v22, v22, 23, v33
	v_or3_b32 v31, v31, v22, v26
.LBB527_390:
	s_or_b64 exec, exec, s[24:25]
.LBB527_391:
	s_or_b64 exec, exec, s[14:15]
.LBB527_392:
	s_or_b64 exec, exec, s[12:13]
	s_mov_b32 s12, -1
	s_mov_b32 s13, 0xffffff
	v_cmp_lt_u64_e32 vcc, s[12:13], v[24:25]
	v_mov_b32_e32 v26, 0
	v_mov_b32_e32 v24, 0
	s_and_saveexec_b64 s[12:13], vcc
	s_cbranch_execz .LBB527_398
; %bb.393:
	v_lshrrev_b32_e32 v22, 24, v25
	s_movk_i32 s11, 0x80
	v_cmp_ne_u32_e32 vcc, s11, v22
	v_bfrev_b32_e32 v24, 1
	s_and_saveexec_b64 s[14:15], vcc
	s_cbranch_execz .LBB527_397
; %bb.394:
	v_bfe_u32 v25, v25, 24, 7
	s_movk_i32 s11, 0x7f
	v_cmp_ne_u32_e32 vcc, s11, v25
	v_mov_b32_e32 v24, 0x7f800001
	s_and_saveexec_b64 s[24:25], vcc
	s_cbranch_execz .LBB527_396
; %bb.395:
	v_and_b32_e32 v24, 7, v22
	v_ffbh_u32_e32 v34, v24
	v_min_u32_e32 v36, 32, v34
	v_subrev_u32_e32 v34, 28, v36
	v_lshlrev_b64 v[34:35], v34, v[22:23]
	v_lshrrev_b32_e32 v33, 3, v25
	v_sub_u32_e32 v35, 29, v36
	v_and_b32_e32 v34, 7, v34
	v_cmp_gt_u32_e32 vcc, 8, v25
	v_cndmask_b32_e32 v25, v33, v35, vcc
	v_cndmask_b32_e32 v24, v24, v34, vcc
	v_lshlrev_b32_e32 v22, 24, v22
	v_bfrev_b32_e32 v33, 60
	v_lshlrev_b32_e32 v24, 20, v24
	v_and_b32_e32 v22, 0x80000000, v22
	v_lshl_add_u32 v25, v25, 23, v33
	v_or3_b32 v24, v22, v25, v24
.LBB527_396:
	s_or_b64 exec, exec, s[24:25]
.LBB527_397:
	s_or_b64 exec, exec, s[14:15]
.LBB527_398:
	s_or_b64 exec, exec, s[12:13]
	v_cvt_pkrtz_f16_f32 v28, v28, v29
	v_cvt_pkrtz_f16_f32 v29, v27, v30
	;; [unrolled: 1-line block ×4, first 2 shown]
	v_mfma_f32_4x4x4f16 a[0:3], v[2:3], v[28:29], a[0:3] cbsz:4 abid:7
	s_waitcnt vmcnt(31)
	v_cmp_ne_u16_sdwa s[14:15], v18, v26 src0_sel:BYTE_0 src1_sel:DWORD
	v_mfma_f32_4x4x4f16 a[0:3], v[4:5], v[22:23], a[0:3] cbsz:4 abid:7
	s_and_saveexec_b64 s[12:13], s[14:15]
	s_cbranch_execz .LBB527_404
; %bb.399:
	s_movk_i32 s11, 0x80
	v_cmp_ne_u16_sdwa s[24:25], v18, s11 src0_sel:BYTE_0 src1_sel:DWORD
	v_bfrev_b32_e32 v26, 1
	s_and_saveexec_b64 s[14:15], s[24:25]
	s_cbranch_execz .LBB527_403
; %bb.400:
	s_movk_i32 s11, 0x7f
	v_and_b32_e32 v22, 0x7f, v18
	v_cmp_ne_u32_e32 vcc, s11, v22
	v_mov_b32_e32 v26, 0x7f800001
	s_and_saveexec_b64 s[24:25], vcc
	s_cbranch_execz .LBB527_402
; %bb.401:
	v_and_b32_e32 v23, 7, v18
	v_ffbh_u32_e32 v23, v23
	v_min_u32_e32 v23, 32, v23
	v_subrev_u32_e32 v25, 28, v23
	v_cmp_gt_u32_e32 vcc, 8, v22
	v_lshrrev_b32_e32 v24, 3, v22
	v_sub_u32_e32 v23, 29, v23
	v_cndmask_b32_e32 v22, 0, v25, vcc
	v_cndmask_b32_e32 v24, v24, v23, vcc
	v_lshlrev_b64 v[22:23], v22, v[18:19]
	v_lshlrev_b32_e32 v22, 20, v22
	v_lshlrev_b32_e32 v23, 24, v18
	v_bfrev_b32_e32 v25, 60
	v_and_b32_e32 v22, 0x700000, v22
	v_and_b32_e32 v23, 0x80000000, v23
	v_lshl_add_u32 v24, v24, 23, v25
	v_or3_b32 v26, v23, v24, v22
.LBB527_402:
	s_or_b64 exec, exec, s[24:25]
.LBB527_403:
	s_or_b64 exec, exec, s[14:15]
.LBB527_404:
	s_or_b64 exec, exec, s[12:13]
	v_lshrrev_b16_e32 v22, 8, v18
	v_cmp_ne_u16_e32 vcc, 0, v22
	v_mov_b32_e32 v25, 0
	v_mov_b32_e32 v27, 0
	s_and_saveexec_b64 s[12:13], vcc
	s_cbranch_execz .LBB527_410
; %bb.405:
	s_movk_i32 s11, 0x80
	v_cmp_ne_u16_e32 vcc, s11, v22
	v_bfrev_b32_e32 v27, 1
	s_and_saveexec_b64 s[14:15], vcc
	s_cbranch_execz .LBB527_409
; %bb.406:
	s_movk_i32 s11, 0x7f
	v_and_b32_e32 v23, 0x7f, v22
	v_cmp_ne_u32_e32 vcc, s11, v23
	v_mov_b32_e32 v27, 0x7f800001
	s_and_saveexec_b64 s[24:25], vcc
	s_cbranch_execz .LBB527_408
; %bb.407:
	v_and_b32_e32 v24, 7, v22
	v_ffbh_u32_e32 v28, v24
	v_min_u32_e32 v30, 32, v28
	v_subrev_u32_e32 v28, 28, v30
	v_lshlrev_b64 v[28:29], v28, v[22:23]
	v_lshrrev_b32_e32 v27, 3, v23
	v_sub_u32_e32 v22, 29, v30
	v_and_b32_e32 v28, 7, v28
	v_cmp_gt_u32_e32 vcc, 8, v23
	v_cndmask_b32_e32 v22, v27, v22, vcc
	v_cndmask_b32_e32 v23, v24, v28, vcc
	v_lshlrev_b32_e32 v24, 16, v18
	v_bfrev_b32_e32 v27, 60
	v_lshlrev_b32_e32 v23, 20, v23
	v_and_b32_e32 v24, 0x80000000, v24
	v_lshl_add_u32 v22, v22, 23, v27
	v_or3_b32 v27, v24, v22, v23
.LBB527_408:
	s_or_b64 exec, exec, s[24:25]
.LBB527_409:
	s_or_b64 exec, exec, s[14:15]
.LBB527_410:
	s_or_b64 exec, exec, s[12:13]
	s_movk_i32 s11, 0xff
	v_and_b32_sdwa v23, v18, s11 dst_sel:DWORD dst_unused:UNUSED_PAD src0_sel:WORD_1 src1_sel:DWORD
	v_lshrrev_b32_e32 v22, 16, v18
	v_cmp_ne_u16_e32 vcc, 0, v23
	s_and_saveexec_b64 s[12:13], vcc
	s_cbranch_execz .LBB527_416
; %bb.411:
	s_movk_i32 s11, 0x80
	v_cmp_ne_u16_e32 vcc, s11, v23
	v_bfrev_b32_e32 v25, 1
	s_and_saveexec_b64 s[14:15], vcc
	s_cbranch_execz .LBB527_415
; %bb.412:
	v_bfe_u32 v23, v18, 16, 7
	s_movk_i32 s11, 0x7f
	v_cmp_ne_u32_e32 vcc, s11, v23
	v_mov_b32_e32 v25, 0x7f800001
	s_and_saveexec_b64 s[24:25], vcc
	s_cbranch_execz .LBB527_414
; %bb.413:
	v_and_b32_e32 v28, 7, v22
	v_ffbh_u32_e32 v24, v28
	v_min_u32_e32 v30, 32, v24
	v_subrev_u32_e32 v24, 28, v30
	v_lshlrev_b64 v[24:25], v24, v[22:23]
	v_and_b32_e32 v24, 7, v24
	v_cmp_gt_u32_e32 vcc, 8, v23
	v_lshrrev_b32_e32 v29, 3, v23
	v_sub_u32_e32 v22, 29, v30
	v_cndmask_b32_e32 v23, v28, v24, vcc
	v_mov_b32_e32 v24, 24
	v_cndmask_b32_e32 v22, v29, v22, vcc
	v_lshlrev_b32_sdwa v24, v24, v18 dst_sel:DWORD dst_unused:UNUSED_PAD src0_sel:DWORD src1_sel:WORD_1
	v_bfrev_b32_e32 v25, 60
	v_lshlrev_b32_e32 v23, 20, v23
	v_and_b32_e32 v24, 0x80000000, v24
	v_lshl_add_u32 v22, v22, 23, v25
	v_or3_b32 v25, v24, v22, v23
.LBB527_414:
	s_or_b64 exec, exec, s[24:25]
.LBB527_415:
	s_or_b64 exec, exec, s[14:15]
.LBB527_416:
	s_or_b64 exec, exec, s[12:13]
	s_mov_b32 s11, 0xffffff
	v_cmp_lt_u32_e32 vcc, s11, v18
	v_mov_b32_e32 v23, 0
	v_mov_b32_e32 v28, 0
	s_and_saveexec_b64 s[12:13], vcc
	s_cbranch_execz .LBB527_422
; %bb.417:
	v_lshrrev_b32_e32 v22, 24, v18
	s_movk_i32 s11, 0x80
	v_cmp_ne_u32_e32 vcc, s11, v22
	v_bfrev_b32_e32 v28, 1
	s_and_saveexec_b64 s[14:15], vcc
	s_cbranch_execz .LBB527_421
; %bb.418:
	v_bfe_u32 v24, v18, 24, 7
	s_movk_i32 s11, 0x7f
	v_cmp_ne_u32_e32 vcc, s11, v24
	v_mov_b32_e32 v28, 0x7f800001
	s_and_saveexec_b64 s[24:25], vcc
	s_cbranch_execz .LBB527_420
; %bb.419:
	v_and_b32_e32 v30, 7, v22
	v_ffbh_u32_e32 v28, v30
	v_min_u32_e32 v32, 32, v28
	v_subrev_u32_e32 v28, 28, v32
	v_lshlrev_b64 v[28:29], v28, v[22:23]
	v_lshrrev_b32_e32 v31, 3, v24
	v_sub_u32_e32 v29, 29, v32
	v_and_b32_e32 v28, 7, v28
	v_cmp_gt_u32_e32 vcc, 8, v24
	v_cndmask_b32_e32 v24, v31, v29, vcc
	v_cndmask_b32_e32 v28, v30, v28, vcc
	v_lshlrev_b32_e32 v22, 24, v22
	v_bfrev_b32_e32 v29, 60
	v_lshlrev_b32_e32 v28, 20, v28
	v_and_b32_e32 v22, 0x80000000, v22
	v_lshl_add_u32 v24, v24, 23, v29
	v_or3_b32 v28, v22, v24, v28
.LBB527_420:
	s_or_b64 exec, exec, s[24:25]
.LBB527_421:
	s_or_b64 exec, exec, s[14:15]
.LBB527_422:
	s_or_b64 exec, exec, s[12:13]
	v_mov_b32_e32 v22, v19
	v_cmp_ne_u16_sdwa s[14:15], v19, v23 src0_sel:BYTE_0 src1_sel:DWORD
	s_and_saveexec_b64 s[12:13], s[14:15]
	s_cbranch_execz .LBB527_428
; %bb.423:
	s_movk_i32 s11, 0x80
	v_cmp_ne_u16_sdwa s[24:25], v19, s11 src0_sel:BYTE_0 src1_sel:DWORD
	v_bfrev_b32_e32 v24, 1
	s_and_saveexec_b64 s[14:15], s[24:25]
	s_cbranch_execz .LBB527_427
; %bb.424:
	s_movk_i32 s11, 0x7f
	v_and_b32_e32 v29, 0x7f, v19
	v_cmp_ne_u32_e32 vcc, s11, v29
	v_mov_b32_e32 v24, 0x7f800001
	s_and_saveexec_b64 s[24:25], vcc
	s_cbranch_execz .LBB527_426
; %bb.425:
	v_and_b32_e32 v24, 7, v19
	v_ffbh_u32_e32 v24, v24
	v_min_u32_e32 v24, 32, v24
	v_subrev_u32_e32 v31, 28, v24
	v_cmp_gt_u32_e32 vcc, 8, v29
	v_lshrrev_b32_e32 v30, 3, v29
	v_sub_u32_e32 v24, 29, v24
	v_cndmask_b32_e32 v29, 0, v31, vcc
	v_cndmask_b32_e32 v24, v30, v24, vcc
	v_lshlrev_b64 v[30:31], v29, v[22:23]
	v_lshlrev_b32_e32 v23, 20, v30
	v_lshlrev_b32_e32 v29, 24, v22
	v_bfrev_b32_e32 v30, 60
	v_and_b32_e32 v23, 0x700000, v23
	v_and_b32_e32 v29, 0x80000000, v29
	v_lshl_add_u32 v24, v24, 23, v30
	v_or3_b32 v24, v29, v24, v23
.LBB527_426:
	s_or_b64 exec, exec, s[24:25]
.LBB527_427:
	s_or_b64 exec, exec, s[14:15]
	v_mov_b32_e32 v23, v24
.LBB527_428:
	s_or_b64 exec, exec, s[12:13]
	v_lshrrev_b16_e32 v24, 8, v22
	v_cmp_ne_u16_e32 vcc, 0, v24
	v_mov_b32_e32 v29, 0
	v_mov_b32_e32 v30, 0
	s_and_saveexec_b64 s[12:13], vcc
	s_cbranch_execz .LBB527_434
; %bb.429:
	s_movk_i32 s11, 0x80
	v_cmp_ne_u16_e32 vcc, s11, v24
	v_bfrev_b32_e32 v30, 1
	s_and_saveexec_b64 s[14:15], vcc
	s_cbranch_execz .LBB527_433
; %bb.430:
	s_movk_i32 s11, 0x7f
	v_and_b32_e32 v31, 0x7f, v24
	v_cmp_ne_u32_e32 vcc, s11, v31
	v_mov_b32_e32 v30, 0x7f800001
	s_and_saveexec_b64 s[24:25], vcc
	s_cbranch_execz .LBB527_432
; %bb.431:
	v_and_b32_e32 v30, 7, v24
	v_ffbh_u32_e32 v32, v30
	v_min_u32_e32 v35, 32, v32
	v_subrev_u32_e32 v32, 28, v35
	v_lshlrev_b64 v[32:33], v32, v[24:25]
	v_lshrrev_b32_e32 v34, 3, v31
	v_sub_u32_e32 v24, 29, v35
	v_and_b32_e32 v32, 7, v32
	v_cmp_gt_u32_e32 vcc, 8, v31
	v_cndmask_b32_e32 v24, v34, v24, vcc
	v_cndmask_b32_e32 v30, v30, v32, vcc
	v_lshlrev_b32_e32 v22, 16, v22
	v_bfrev_b32_e32 v31, 60
	v_lshlrev_b32_e32 v30, 20, v30
	v_and_b32_e32 v22, 0x80000000, v22
	v_lshl_add_u32 v24, v24, 23, v31
	v_or3_b32 v30, v22, v24, v30
.LBB527_432:
	s_or_b64 exec, exec, s[24:25]
.LBB527_433:
	s_or_b64 exec, exec, s[14:15]
.LBB527_434:
	s_or_b64 exec, exec, s[12:13]
	s_movk_i32 s11, 0xff
	v_and_b32_sdwa v24, v19, s11 dst_sel:DWORD dst_unused:UNUSED_PAD src0_sel:WORD_1 src1_sel:DWORD
	v_lshrrev_b32_e32 v22, 16, v19
	v_cmp_ne_u16_e32 vcc, 0, v24
	s_and_saveexec_b64 s[12:13], vcc
	s_cbranch_execz .LBB527_440
; %bb.435:
	s_movk_i32 s11, 0x80
	v_cmp_ne_u16_e32 vcc, s11, v24
	v_bfrev_b32_e32 v29, 1
	s_and_saveexec_b64 s[14:15], vcc
	s_cbranch_execz .LBB527_439
; %bb.436:
	v_bfe_u32 v24, v19, 16, 7
	s_movk_i32 s11, 0x7f
	v_cmp_ne_u32_e32 vcc, s11, v24
	v_mov_b32_e32 v29, 0x7f800001
	s_and_saveexec_b64 s[24:25], vcc
	s_cbranch_execz .LBB527_438
; %bb.437:
	v_and_b32_e32 v29, 7, v22
	v_ffbh_u32_e32 v32, v29
	v_min_u32_e32 v34, 32, v32
	v_subrev_u32_e32 v32, 28, v34
	v_lshlrev_b64 v[32:33], v32, v[22:23]
	v_and_b32_e32 v32, 7, v32
	v_cmp_gt_u32_e32 vcc, 8, v24
	v_lshrrev_b32_e32 v31, 3, v24
	v_sub_u32_e32 v22, 29, v34
	v_cndmask_b32_e32 v24, v29, v32, vcc
	v_mov_b32_e32 v29, 24
	v_cndmask_b32_e32 v22, v31, v22, vcc
	v_lshlrev_b32_sdwa v29, v29, v19 dst_sel:DWORD dst_unused:UNUSED_PAD src0_sel:DWORD src1_sel:WORD_1
	v_bfrev_b32_e32 v31, 60
	v_lshlrev_b32_e32 v24, 20, v24
	v_and_b32_e32 v29, 0x80000000, v29
	v_lshl_add_u32 v22, v22, 23, v31
	v_or3_b32 v29, v29, v22, v24
.LBB527_438:
	s_or_b64 exec, exec, s[24:25]
.LBB527_439:
	s_or_b64 exec, exec, s[14:15]
.LBB527_440:
	s_or_b64 exec, exec, s[12:13]
	s_mov_b32 s12, -1
	s_mov_b32 s13, 0xffffff
	v_cmp_lt_u64_e32 vcc, s[12:13], v[18:19]
	v_mov_b32_e32 v24, 0
	v_mov_b32_e32 v22, 0
	s_and_saveexec_b64 s[12:13], vcc
	s_cbranch_execz .LBB527_446
; %bb.441:
	v_lshrrev_b32_e32 v18, 24, v19
	s_movk_i32 s11, 0x80
	v_cmp_ne_u32_e32 vcc, s11, v18
	v_bfrev_b32_e32 v22, 1
	s_and_saveexec_b64 s[14:15], vcc
	s_cbranch_execz .LBB527_445
; %bb.442:
	v_bfe_u32 v19, v19, 24, 7
	s_movk_i32 s11, 0x7f
	v_cmp_ne_u32_e32 vcc, s11, v19
	v_mov_b32_e32 v22, 0x7f800001
	s_and_saveexec_b64 s[24:25], vcc
	s_cbranch_execz .LBB527_444
; %bb.443:
	v_and_b32_e32 v22, 7, v18
	v_ffbh_u32_e32 v32, v22
	v_min_u32_e32 v34, 32, v32
	v_subrev_u32_e32 v32, 28, v34
	v_lshlrev_b64 v[32:33], v32, v[18:19]
	v_lshrrev_b32_e32 v31, 3, v19
	v_sub_u32_e32 v33, 29, v34
	v_and_b32_e32 v32, 7, v32
	v_cmp_gt_u32_e32 vcc, 8, v19
	v_cndmask_b32_e32 v19, v31, v33, vcc
	v_cndmask_b32_e32 v22, v22, v32, vcc
	v_lshlrev_b32_e32 v18, 24, v18
	v_bfrev_b32_e32 v31, 60
	v_lshlrev_b32_e32 v22, 20, v22
	v_and_b32_e32 v18, 0x80000000, v18
	v_lshl_add_u32 v19, v19, 23, v31
	v_or3_b32 v22, v18, v19, v22
.LBB527_444:
	s_or_b64 exec, exec, s[24:25]
.LBB527_445:
	s_or_b64 exec, exec, s[14:15]
.LBB527_446:
	s_or_b64 exec, exec, s[12:13]
	v_cvt_pkrtz_f16_f32 v18, v26, v27
	v_cvt_pkrtz_f16_f32 v19, v25, v28
	;; [unrolled: 1-line block ×4, first 2 shown]
	v_mfma_f32_4x4x4f16 a[0:3], v[2:3], v[18:19], a[0:3] cbsz:4 abid:8
	v_cmp_ne_u16_sdwa s[14:15], v20, v24 src0_sel:BYTE_0 src1_sel:DWORD
	v_mfma_f32_4x4x4f16 a[0:3], v[4:5], v[26:27], a[0:3] cbsz:4 abid:8
	s_and_saveexec_b64 s[12:13], s[14:15]
	s_cbranch_execz .LBB527_452
; %bb.447:
	s_movk_i32 s11, 0x80
	v_cmp_ne_u16_sdwa s[24:25], v20, s11 src0_sel:BYTE_0 src1_sel:DWORD
	v_bfrev_b32_e32 v24, 1
	s_and_saveexec_b64 s[14:15], s[24:25]
	s_cbranch_execz .LBB527_451
; %bb.448:
	s_movk_i32 s11, 0x7f
	v_and_b32_e32 v18, 0x7f, v20
	v_cmp_ne_u32_e32 vcc, s11, v18
	v_mov_b32_e32 v24, 0x7f800001
	s_and_saveexec_b64 s[24:25], vcc
	s_cbranch_execz .LBB527_450
; %bb.449:
	v_and_b32_e32 v19, 7, v20
	v_ffbh_u32_e32 v19, v19
	v_min_u32_e32 v19, 32, v19
	v_subrev_u32_e32 v23, 28, v19
	v_cmp_gt_u32_e32 vcc, 8, v18
	v_lshrrev_b32_e32 v22, 3, v18
	v_sub_u32_e32 v19, 29, v19
	v_cndmask_b32_e32 v18, 0, v23, vcc
	v_cndmask_b32_e32 v22, v22, v19, vcc
	v_lshlrev_b64 v[18:19], v18, v[20:21]
	v_lshlrev_b32_e32 v18, 20, v18
	v_lshlrev_b32_e32 v19, 24, v20
	v_bfrev_b32_e32 v23, 60
	v_and_b32_e32 v18, 0x700000, v18
	v_and_b32_e32 v19, 0x80000000, v19
	v_lshl_add_u32 v22, v22, 23, v23
	v_or3_b32 v24, v19, v22, v18
.LBB527_450:
	s_or_b64 exec, exec, s[24:25]
.LBB527_451:
	s_or_b64 exec, exec, s[14:15]
.LBB527_452:
	s_or_b64 exec, exec, s[12:13]
	v_lshrrev_b16_e32 v18, 8, v20
	v_cmp_ne_u16_e32 vcc, 0, v18
	v_mov_b32_e32 v23, 0
	v_mov_b32_e32 v25, 0
	s_and_saveexec_b64 s[12:13], vcc
	s_cbranch_execz .LBB527_458
; %bb.453:
	s_movk_i32 s11, 0x80
	v_cmp_ne_u16_e32 vcc, s11, v18
	v_bfrev_b32_e32 v25, 1
	s_and_saveexec_b64 s[14:15], vcc
	s_cbranch_execz .LBB527_457
; %bb.454:
	s_movk_i32 s11, 0x7f
	v_and_b32_e32 v19, 0x7f, v18
	v_cmp_ne_u32_e32 vcc, s11, v19
	v_mov_b32_e32 v25, 0x7f800001
	s_and_saveexec_b64 s[24:25], vcc
	s_cbranch_execz .LBB527_456
; %bb.455:
	v_and_b32_e32 v22, 7, v18
	v_ffbh_u32_e32 v26, v22
	v_min_u32_e32 v28, 32, v26
	v_subrev_u32_e32 v26, 28, v28
	v_lshlrev_b64 v[26:27], v26, v[18:19]
	v_lshrrev_b32_e32 v25, 3, v19
	v_sub_u32_e32 v18, 29, v28
	v_and_b32_e32 v26, 7, v26
	v_cmp_gt_u32_e32 vcc, 8, v19
	v_cndmask_b32_e32 v18, v25, v18, vcc
	v_cndmask_b32_e32 v19, v22, v26, vcc
	v_lshlrev_b32_e32 v22, 16, v20
	v_bfrev_b32_e32 v25, 60
	v_lshlrev_b32_e32 v19, 20, v19
	v_and_b32_e32 v22, 0x80000000, v22
	v_lshl_add_u32 v18, v18, 23, v25
	v_or3_b32 v25, v22, v18, v19
.LBB527_456:
	s_or_b64 exec, exec, s[24:25]
.LBB527_457:
	s_or_b64 exec, exec, s[14:15]
.LBB527_458:
	s_or_b64 exec, exec, s[12:13]
	s_movk_i32 s11, 0xff
	v_and_b32_sdwa v19, v20, s11 dst_sel:DWORD dst_unused:UNUSED_PAD src0_sel:WORD_1 src1_sel:DWORD
	v_lshrrev_b32_e32 v18, 16, v20
	v_cmp_ne_u16_e32 vcc, 0, v19
	s_and_saveexec_b64 s[12:13], vcc
	s_cbranch_execz .LBB527_464
; %bb.459:
	s_movk_i32 s11, 0x80
	v_cmp_ne_u16_e32 vcc, s11, v19
	v_bfrev_b32_e32 v23, 1
	s_and_saveexec_b64 s[14:15], vcc
	s_cbranch_execz .LBB527_463
; %bb.460:
	v_bfe_u32 v19, v20, 16, 7
	s_movk_i32 s11, 0x7f
	v_cmp_ne_u32_e32 vcc, s11, v19
	v_mov_b32_e32 v23, 0x7f800001
	s_and_saveexec_b64 s[24:25], vcc
	s_cbranch_execz .LBB527_462
; %bb.461:
	v_and_b32_e32 v26, 7, v18
	v_ffbh_u32_e32 v22, v26
	v_min_u32_e32 v28, 32, v22
	v_subrev_u32_e32 v22, 28, v28
	v_lshlrev_b64 v[22:23], v22, v[18:19]
	v_and_b32_e32 v22, 7, v22
	v_cmp_gt_u32_e32 vcc, 8, v19
	v_lshrrev_b32_e32 v27, 3, v19
	v_sub_u32_e32 v18, 29, v28
	v_cndmask_b32_e32 v19, v26, v22, vcc
	v_mov_b32_e32 v22, 24
	v_cndmask_b32_e32 v18, v27, v18, vcc
	v_lshlrev_b32_sdwa v22, v22, v20 dst_sel:DWORD dst_unused:UNUSED_PAD src0_sel:DWORD src1_sel:WORD_1
	v_bfrev_b32_e32 v23, 60
	v_lshlrev_b32_e32 v19, 20, v19
	v_and_b32_e32 v22, 0x80000000, v22
	v_lshl_add_u32 v18, v18, 23, v23
	v_or3_b32 v23, v22, v18, v19
.LBB527_462:
	s_or_b64 exec, exec, s[24:25]
.LBB527_463:
	s_or_b64 exec, exec, s[14:15]
.LBB527_464:
	s_or_b64 exec, exec, s[12:13]
	s_mov_b32 s11, 0xffffff
	v_cmp_lt_u32_e32 vcc, s11, v20
	v_mov_b32_e32 v19, 0
	v_mov_b32_e32 v26, 0
	s_and_saveexec_b64 s[12:13], vcc
	s_cbranch_execz .LBB527_470
; %bb.465:
	v_lshrrev_b32_e32 v18, 24, v20
	s_movk_i32 s11, 0x80
	v_cmp_ne_u32_e32 vcc, s11, v18
	v_bfrev_b32_e32 v26, 1
	s_and_saveexec_b64 s[14:15], vcc
	s_cbranch_execz .LBB527_469
; %bb.466:
	v_bfe_u32 v22, v20, 24, 7
	s_movk_i32 s11, 0x7f
	v_cmp_ne_u32_e32 vcc, s11, v22
	v_mov_b32_e32 v26, 0x7f800001
	s_and_saveexec_b64 s[24:25], vcc
	s_cbranch_execz .LBB527_468
; %bb.467:
	v_and_b32_e32 v28, 7, v18
	v_ffbh_u32_e32 v26, v28
	v_min_u32_e32 v30, 32, v26
	v_subrev_u32_e32 v26, 28, v30
	v_lshlrev_b64 v[26:27], v26, v[18:19]
	v_lshrrev_b32_e32 v29, 3, v22
	v_sub_u32_e32 v27, 29, v30
	v_and_b32_e32 v26, 7, v26
	v_cmp_gt_u32_e32 vcc, 8, v22
	v_cndmask_b32_e32 v22, v29, v27, vcc
	v_cndmask_b32_e32 v26, v28, v26, vcc
	v_lshlrev_b32_e32 v18, 24, v18
	v_bfrev_b32_e32 v27, 60
	v_lshlrev_b32_e32 v26, 20, v26
	v_and_b32_e32 v18, 0x80000000, v18
	v_lshl_add_u32 v22, v22, 23, v27
	v_or3_b32 v26, v18, v22, v26
.LBB527_468:
	s_or_b64 exec, exec, s[24:25]
.LBB527_469:
	s_or_b64 exec, exec, s[14:15]
.LBB527_470:
	s_or_b64 exec, exec, s[12:13]
	v_mov_b32_e32 v18, v21
	v_cmp_ne_u16_sdwa s[14:15], v21, v19 src0_sel:BYTE_0 src1_sel:DWORD
	s_and_saveexec_b64 s[12:13], s[14:15]
	s_cbranch_execz .LBB527_476
; %bb.471:
	s_movk_i32 s11, 0x80
	v_cmp_ne_u16_sdwa s[24:25], v21, s11 src0_sel:BYTE_0 src1_sel:DWORD
	v_bfrev_b32_e32 v22, 1
	s_and_saveexec_b64 s[14:15], s[24:25]
	s_cbranch_execz .LBB527_475
; %bb.472:
	s_movk_i32 s11, 0x7f
	v_and_b32_e32 v27, 0x7f, v21
	v_cmp_ne_u32_e32 vcc, s11, v27
	v_mov_b32_e32 v22, 0x7f800001
	s_and_saveexec_b64 s[24:25], vcc
	s_cbranch_execz .LBB527_474
; %bb.473:
	v_and_b32_e32 v22, 7, v21
	v_ffbh_u32_e32 v22, v22
	v_min_u32_e32 v22, 32, v22
	v_subrev_u32_e32 v29, 28, v22
	v_cmp_gt_u32_e32 vcc, 8, v27
	v_lshrrev_b32_e32 v28, 3, v27
	v_sub_u32_e32 v22, 29, v22
	v_cndmask_b32_e32 v27, 0, v29, vcc
	v_cndmask_b32_e32 v22, v28, v22, vcc
	v_lshlrev_b64 v[28:29], v27, v[18:19]
	v_lshlrev_b32_e32 v19, 20, v28
	v_lshlrev_b32_e32 v27, 24, v18
	v_bfrev_b32_e32 v28, 60
	v_and_b32_e32 v19, 0x700000, v19
	v_and_b32_e32 v27, 0x80000000, v27
	v_lshl_add_u32 v22, v22, 23, v28
	v_or3_b32 v22, v27, v22, v19
.LBB527_474:
	s_or_b64 exec, exec, s[24:25]
.LBB527_475:
	s_or_b64 exec, exec, s[14:15]
	v_mov_b32_e32 v19, v22
.LBB527_476:
	s_or_b64 exec, exec, s[12:13]
	v_lshrrev_b16_e32 v22, 8, v18
	v_cmp_ne_u16_e32 vcc, 0, v22
	v_mov_b32_e32 v27, 0
	v_mov_b32_e32 v28, 0
	s_and_saveexec_b64 s[12:13], vcc
	s_cbranch_execz .LBB527_482
; %bb.477:
	s_movk_i32 s11, 0x80
	v_cmp_ne_u16_e32 vcc, s11, v22
	v_bfrev_b32_e32 v28, 1
	s_and_saveexec_b64 s[14:15], vcc
	s_cbranch_execz .LBB527_481
; %bb.478:
	s_movk_i32 s11, 0x7f
	v_and_b32_e32 v29, 0x7f, v22
	v_cmp_ne_u32_e32 vcc, s11, v29
	v_mov_b32_e32 v28, 0x7f800001
	s_and_saveexec_b64 s[24:25], vcc
	s_cbranch_execz .LBB527_480
; %bb.479:
	v_and_b32_e32 v28, 7, v22
	v_ffbh_u32_e32 v30, v28
	v_min_u32_e32 v33, 32, v30
	v_subrev_u32_e32 v30, 28, v33
	v_lshlrev_b64 v[30:31], v30, v[22:23]
	v_lshrrev_b32_e32 v32, 3, v29
	v_sub_u32_e32 v22, 29, v33
	v_and_b32_e32 v30, 7, v30
	v_cmp_gt_u32_e32 vcc, 8, v29
	v_cndmask_b32_e32 v22, v32, v22, vcc
	v_cndmask_b32_e32 v28, v28, v30, vcc
	v_lshlrev_b32_e32 v18, 16, v18
	v_bfrev_b32_e32 v29, 60
	v_lshlrev_b32_e32 v28, 20, v28
	v_and_b32_e32 v18, 0x80000000, v18
	v_lshl_add_u32 v22, v22, 23, v29
	v_or3_b32 v28, v18, v22, v28
.LBB527_480:
	s_or_b64 exec, exec, s[24:25]
.LBB527_481:
	s_or_b64 exec, exec, s[14:15]
.LBB527_482:
	s_or_b64 exec, exec, s[12:13]
	s_movk_i32 s11, 0xff
	v_and_b32_sdwa v22, v21, s11 dst_sel:DWORD dst_unused:UNUSED_PAD src0_sel:WORD_1 src1_sel:DWORD
	v_lshrrev_b32_e32 v18, 16, v21
	v_cmp_ne_u16_e32 vcc, 0, v22
	s_and_saveexec_b64 s[12:13], vcc
	s_cbranch_execz .LBB527_488
; %bb.483:
	s_movk_i32 s11, 0x80
	v_cmp_ne_u16_e32 vcc, s11, v22
	v_bfrev_b32_e32 v27, 1
	s_and_saveexec_b64 s[14:15], vcc
	s_cbranch_execz .LBB527_487
; %bb.484:
	v_bfe_u32 v22, v21, 16, 7
	s_movk_i32 s11, 0x7f
	v_cmp_ne_u32_e32 vcc, s11, v22
	v_mov_b32_e32 v27, 0x7f800001
	s_and_saveexec_b64 s[24:25], vcc
	s_cbranch_execz .LBB527_486
; %bb.485:
	v_and_b32_e32 v27, 7, v18
	v_ffbh_u32_e32 v30, v27
	v_min_u32_e32 v32, 32, v30
	v_subrev_u32_e32 v30, 28, v32
	v_lshlrev_b64 v[30:31], v30, v[18:19]
	v_and_b32_e32 v30, 7, v30
	v_cmp_gt_u32_e32 vcc, 8, v22
	v_lshrrev_b32_e32 v29, 3, v22
	v_sub_u32_e32 v18, 29, v32
	v_cndmask_b32_e32 v22, v27, v30, vcc
	v_mov_b32_e32 v27, 24
	v_cndmask_b32_e32 v18, v29, v18, vcc
	v_lshlrev_b32_sdwa v27, v27, v21 dst_sel:DWORD dst_unused:UNUSED_PAD src0_sel:DWORD src1_sel:WORD_1
	v_bfrev_b32_e32 v29, 60
	v_lshlrev_b32_e32 v22, 20, v22
	v_and_b32_e32 v27, 0x80000000, v27
	v_lshl_add_u32 v18, v18, 23, v29
	v_or3_b32 v27, v27, v18, v22
.LBB527_486:
	s_or_b64 exec, exec, s[24:25]
.LBB527_487:
	s_or_b64 exec, exec, s[14:15]
.LBB527_488:
	s_or_b64 exec, exec, s[12:13]
	s_mov_b32 s12, -1
	s_mov_b32 s13, 0xffffff
	v_cmp_lt_u64_e32 vcc, s[12:13], v[20:21]
	v_mov_b32_e32 v22, 0
	v_mov_b32_e32 v20, 0
	s_and_saveexec_b64 s[12:13], vcc
	s_cbranch_execz .LBB527_494
; %bb.489:
	v_lshrrev_b32_e32 v18, 24, v21
	s_movk_i32 s11, 0x80
	v_cmp_ne_u32_e32 vcc, s11, v18
	v_bfrev_b32_e32 v20, 1
	s_and_saveexec_b64 s[14:15], vcc
	s_cbranch_execz .LBB527_493
; %bb.490:
	v_bfe_u32 v21, v21, 24, 7
	s_movk_i32 s11, 0x7f
	v_cmp_ne_u32_e32 vcc, s11, v21
	v_mov_b32_e32 v20, 0x7f800001
	s_and_saveexec_b64 s[24:25], vcc
	s_cbranch_execz .LBB527_492
; %bb.491:
	v_and_b32_e32 v20, 7, v18
	v_ffbh_u32_e32 v30, v20
	v_min_u32_e32 v32, 32, v30
	v_subrev_u32_e32 v30, 28, v32
	v_lshlrev_b64 v[30:31], v30, v[18:19]
	v_lshrrev_b32_e32 v29, 3, v21
	v_sub_u32_e32 v31, 29, v32
	v_and_b32_e32 v30, 7, v30
	v_cmp_gt_u32_e32 vcc, 8, v21
	v_cndmask_b32_e32 v21, v29, v31, vcc
	v_cndmask_b32_e32 v20, v20, v30, vcc
	v_lshlrev_b32_e32 v18, 24, v18
	v_bfrev_b32_e32 v29, 60
	v_lshlrev_b32_e32 v20, 20, v20
	v_and_b32_e32 v18, 0x80000000, v18
	v_lshl_add_u32 v21, v21, 23, v29
	v_or3_b32 v20, v18, v21, v20
.LBB527_492:
	s_or_b64 exec, exec, s[24:25]
.LBB527_493:
	s_or_b64 exec, exec, s[14:15]
.LBB527_494:
	s_or_b64 exec, exec, s[12:13]
	v_cvt_pkrtz_f16_f32 v24, v24, v25
	v_cvt_pkrtz_f16_f32 v25, v23, v26
	;; [unrolled: 1-line block ×4, first 2 shown]
	v_mfma_f32_4x4x4f16 a[0:3], v[2:3], v[24:25], a[0:3] cbsz:4 abid:9
	s_waitcnt vmcnt(30)
	v_cmp_ne_u16_sdwa s[14:15], v14, v22 src0_sel:BYTE_0 src1_sel:DWORD
	v_mfma_f32_4x4x4f16 a[0:3], v[4:5], v[18:19], a[0:3] cbsz:4 abid:9
	s_and_saveexec_b64 s[12:13], s[14:15]
	s_cbranch_execz .LBB527_500
; %bb.495:
	s_movk_i32 s11, 0x80
	v_cmp_ne_u16_sdwa s[24:25], v14, s11 src0_sel:BYTE_0 src1_sel:DWORD
	v_bfrev_b32_e32 v22, 1
	s_and_saveexec_b64 s[14:15], s[24:25]
	s_cbranch_execz .LBB527_499
; %bb.496:
	s_movk_i32 s11, 0x7f
	v_and_b32_e32 v18, 0x7f, v14
	v_cmp_ne_u32_e32 vcc, s11, v18
	v_mov_b32_e32 v22, 0x7f800001
	s_and_saveexec_b64 s[24:25], vcc
	s_cbranch_execz .LBB527_498
; %bb.497:
	v_and_b32_e32 v19, 7, v14
	v_ffbh_u32_e32 v19, v19
	v_min_u32_e32 v19, 32, v19
	v_subrev_u32_e32 v21, 28, v19
	v_cmp_gt_u32_e32 vcc, 8, v18
	v_lshrrev_b32_e32 v20, 3, v18
	v_sub_u32_e32 v19, 29, v19
	v_cndmask_b32_e32 v18, 0, v21, vcc
	v_cndmask_b32_e32 v20, v20, v19, vcc
	v_lshlrev_b64 v[18:19], v18, v[14:15]
	v_lshlrev_b32_e32 v18, 20, v18
	v_lshlrev_b32_e32 v19, 24, v14
	v_bfrev_b32_e32 v21, 60
	v_and_b32_e32 v18, 0x700000, v18
	v_and_b32_e32 v19, 0x80000000, v19
	v_lshl_add_u32 v20, v20, 23, v21
	v_or3_b32 v22, v19, v20, v18
.LBB527_498:
	s_or_b64 exec, exec, s[24:25]
.LBB527_499:
	s_or_b64 exec, exec, s[14:15]
.LBB527_500:
	s_or_b64 exec, exec, s[12:13]
	v_lshrrev_b16_e32 v18, 8, v14
	v_cmp_ne_u16_e32 vcc, 0, v18
	v_mov_b32_e32 v21, 0
	v_mov_b32_e32 v23, 0
	s_and_saveexec_b64 s[12:13], vcc
	s_cbranch_execz .LBB527_506
; %bb.501:
	s_movk_i32 s11, 0x80
	v_cmp_ne_u16_e32 vcc, s11, v18
	v_bfrev_b32_e32 v23, 1
	s_and_saveexec_b64 s[14:15], vcc
	s_cbranch_execz .LBB527_505
; %bb.502:
	s_movk_i32 s11, 0x7f
	v_and_b32_e32 v19, 0x7f, v18
	v_cmp_ne_u32_e32 vcc, s11, v19
	v_mov_b32_e32 v23, 0x7f800001
	s_and_saveexec_b64 s[24:25], vcc
	s_cbranch_execz .LBB527_504
; %bb.503:
	v_and_b32_e32 v20, 7, v18
	v_ffbh_u32_e32 v24, v20
	v_min_u32_e32 v26, 32, v24
	v_subrev_u32_e32 v24, 28, v26
	v_lshlrev_b64 v[24:25], v24, v[18:19]
	v_lshrrev_b32_e32 v23, 3, v19
	v_sub_u32_e32 v18, 29, v26
	v_and_b32_e32 v24, 7, v24
	v_cmp_gt_u32_e32 vcc, 8, v19
	v_cndmask_b32_e32 v18, v23, v18, vcc
	v_cndmask_b32_e32 v19, v20, v24, vcc
	v_lshlrev_b32_e32 v20, 16, v14
	v_bfrev_b32_e32 v23, 60
	v_lshlrev_b32_e32 v19, 20, v19
	v_and_b32_e32 v20, 0x80000000, v20
	v_lshl_add_u32 v18, v18, 23, v23
	v_or3_b32 v23, v20, v18, v19
.LBB527_504:
	s_or_b64 exec, exec, s[24:25]
.LBB527_505:
	s_or_b64 exec, exec, s[14:15]
.LBB527_506:
	s_or_b64 exec, exec, s[12:13]
	s_movk_i32 s11, 0xff
	v_and_b32_sdwa v19, v14, s11 dst_sel:DWORD dst_unused:UNUSED_PAD src0_sel:WORD_1 src1_sel:DWORD
	v_lshrrev_b32_e32 v18, 16, v14
	v_cmp_ne_u16_e32 vcc, 0, v19
	s_and_saveexec_b64 s[12:13], vcc
	s_cbranch_execz .LBB527_512
; %bb.507:
	s_movk_i32 s11, 0x80
	v_cmp_ne_u16_e32 vcc, s11, v19
	v_bfrev_b32_e32 v21, 1
	s_and_saveexec_b64 s[14:15], vcc
	s_cbranch_execz .LBB527_511
; %bb.508:
	v_bfe_u32 v19, v14, 16, 7
	s_movk_i32 s11, 0x7f
	v_cmp_ne_u32_e32 vcc, s11, v19
	v_mov_b32_e32 v21, 0x7f800001
	s_and_saveexec_b64 s[24:25], vcc
	s_cbranch_execz .LBB527_510
; %bb.509:
	v_and_b32_e32 v24, 7, v18
	v_ffbh_u32_e32 v20, v24
	v_min_u32_e32 v26, 32, v20
	v_subrev_u32_e32 v20, 28, v26
	v_lshlrev_b64 v[20:21], v20, v[18:19]
	v_and_b32_e32 v20, 7, v20
	v_cmp_gt_u32_e32 vcc, 8, v19
	v_lshrrev_b32_e32 v25, 3, v19
	v_sub_u32_e32 v18, 29, v26
	v_cndmask_b32_e32 v19, v24, v20, vcc
	v_mov_b32_e32 v20, 24
	v_cndmask_b32_e32 v18, v25, v18, vcc
	v_lshlrev_b32_sdwa v20, v20, v14 dst_sel:DWORD dst_unused:UNUSED_PAD src0_sel:DWORD src1_sel:WORD_1
	v_bfrev_b32_e32 v21, 60
	v_lshlrev_b32_e32 v19, 20, v19
	v_and_b32_e32 v20, 0x80000000, v20
	v_lshl_add_u32 v18, v18, 23, v21
	v_or3_b32 v21, v20, v18, v19
.LBB527_510:
	s_or_b64 exec, exec, s[24:25]
.LBB527_511:
	s_or_b64 exec, exec, s[14:15]
.LBB527_512:
	s_or_b64 exec, exec, s[12:13]
	s_mov_b32 s11, 0xffffff
	v_cmp_lt_u32_e32 vcc, s11, v14
	v_mov_b32_e32 v19, 0
	v_mov_b32_e32 v24, 0
	s_and_saveexec_b64 s[12:13], vcc
	s_cbranch_execz .LBB527_518
; %bb.513:
	v_lshrrev_b32_e32 v18, 24, v14
	s_movk_i32 s11, 0x80
	v_cmp_ne_u32_e32 vcc, s11, v18
	v_bfrev_b32_e32 v24, 1
	s_and_saveexec_b64 s[14:15], vcc
	s_cbranch_execz .LBB527_517
; %bb.514:
	v_bfe_u32 v20, v14, 24, 7
	s_movk_i32 s11, 0x7f
	v_cmp_ne_u32_e32 vcc, s11, v20
	v_mov_b32_e32 v24, 0x7f800001
	s_and_saveexec_b64 s[24:25], vcc
	s_cbranch_execz .LBB527_516
; %bb.515:
	v_and_b32_e32 v26, 7, v18
	v_ffbh_u32_e32 v24, v26
	v_min_u32_e32 v28, 32, v24
	v_subrev_u32_e32 v24, 28, v28
	v_lshlrev_b64 v[24:25], v24, v[18:19]
	v_lshrrev_b32_e32 v27, 3, v20
	v_sub_u32_e32 v25, 29, v28
	v_and_b32_e32 v24, 7, v24
	v_cmp_gt_u32_e32 vcc, 8, v20
	v_cndmask_b32_e32 v20, v27, v25, vcc
	v_cndmask_b32_e32 v24, v26, v24, vcc
	v_lshlrev_b32_e32 v18, 24, v18
	v_bfrev_b32_e32 v25, 60
	v_lshlrev_b32_e32 v24, 20, v24
	v_and_b32_e32 v18, 0x80000000, v18
	v_lshl_add_u32 v20, v20, 23, v25
	v_or3_b32 v24, v18, v20, v24
.LBB527_516:
	s_or_b64 exec, exec, s[24:25]
.LBB527_517:
	s_or_b64 exec, exec, s[14:15]
.LBB527_518:
	s_or_b64 exec, exec, s[12:13]
	v_mov_b32_e32 v18, v15
	v_cmp_ne_u16_sdwa s[14:15], v15, v19 src0_sel:BYTE_0 src1_sel:DWORD
	s_and_saveexec_b64 s[12:13], s[14:15]
	s_cbranch_execz .LBB527_524
; %bb.519:
	s_movk_i32 s11, 0x80
	v_cmp_ne_u16_sdwa s[24:25], v15, s11 src0_sel:BYTE_0 src1_sel:DWORD
	v_bfrev_b32_e32 v20, 1
	s_and_saveexec_b64 s[14:15], s[24:25]
	s_cbranch_execz .LBB527_523
; %bb.520:
	s_movk_i32 s11, 0x7f
	v_and_b32_e32 v25, 0x7f, v15
	v_cmp_ne_u32_e32 vcc, s11, v25
	v_mov_b32_e32 v20, 0x7f800001
	s_and_saveexec_b64 s[24:25], vcc
	s_cbranch_execz .LBB527_522
; %bb.521:
	v_and_b32_e32 v20, 7, v15
	v_ffbh_u32_e32 v20, v20
	v_min_u32_e32 v20, 32, v20
	v_subrev_u32_e32 v27, 28, v20
	v_cmp_gt_u32_e32 vcc, 8, v25
	v_lshrrev_b32_e32 v26, 3, v25
	v_sub_u32_e32 v20, 29, v20
	v_cndmask_b32_e32 v25, 0, v27, vcc
	v_cndmask_b32_e32 v20, v26, v20, vcc
	v_lshlrev_b64 v[26:27], v25, v[18:19]
	v_lshlrev_b32_e32 v19, 20, v26
	v_lshlrev_b32_e32 v25, 24, v18
	v_bfrev_b32_e32 v26, 60
	v_and_b32_e32 v19, 0x700000, v19
	v_and_b32_e32 v25, 0x80000000, v25
	v_lshl_add_u32 v20, v20, 23, v26
	v_or3_b32 v20, v25, v20, v19
.LBB527_522:
	s_or_b64 exec, exec, s[24:25]
.LBB527_523:
	s_or_b64 exec, exec, s[14:15]
	v_mov_b32_e32 v19, v20
.LBB527_524:
	s_or_b64 exec, exec, s[12:13]
	v_lshrrev_b16_e32 v20, 8, v18
	v_cmp_ne_u16_e32 vcc, 0, v20
	v_mov_b32_e32 v25, 0
	v_mov_b32_e32 v26, 0
	s_and_saveexec_b64 s[12:13], vcc
	s_cbranch_execz .LBB527_530
; %bb.525:
	s_movk_i32 s11, 0x80
	v_cmp_ne_u16_e32 vcc, s11, v20
	v_bfrev_b32_e32 v26, 1
	s_and_saveexec_b64 s[14:15], vcc
	s_cbranch_execz .LBB527_529
; %bb.526:
	s_movk_i32 s11, 0x7f
	v_and_b32_e32 v27, 0x7f, v20
	v_cmp_ne_u32_e32 vcc, s11, v27
	v_mov_b32_e32 v26, 0x7f800001
	s_and_saveexec_b64 s[24:25], vcc
	s_cbranch_execz .LBB527_528
; %bb.527:
	v_and_b32_e32 v26, 7, v20
	v_ffbh_u32_e32 v28, v26
	v_min_u32_e32 v31, 32, v28
	v_subrev_u32_e32 v28, 28, v31
	v_lshlrev_b64 v[28:29], v28, v[20:21]
	v_lshrrev_b32_e32 v30, 3, v27
	v_sub_u32_e32 v20, 29, v31
	v_and_b32_e32 v28, 7, v28
	v_cmp_gt_u32_e32 vcc, 8, v27
	v_cndmask_b32_e32 v20, v30, v20, vcc
	v_cndmask_b32_e32 v26, v26, v28, vcc
	v_lshlrev_b32_e32 v18, 16, v18
	v_bfrev_b32_e32 v27, 60
	v_lshlrev_b32_e32 v26, 20, v26
	v_and_b32_e32 v18, 0x80000000, v18
	v_lshl_add_u32 v20, v20, 23, v27
	v_or3_b32 v26, v18, v20, v26
.LBB527_528:
	s_or_b64 exec, exec, s[24:25]
.LBB527_529:
	s_or_b64 exec, exec, s[14:15]
.LBB527_530:
	s_or_b64 exec, exec, s[12:13]
	s_movk_i32 s11, 0xff
	v_and_b32_sdwa v20, v15, s11 dst_sel:DWORD dst_unused:UNUSED_PAD src0_sel:WORD_1 src1_sel:DWORD
	v_lshrrev_b32_e32 v18, 16, v15
	v_cmp_ne_u16_e32 vcc, 0, v20
	s_and_saveexec_b64 s[12:13], vcc
	s_cbranch_execz .LBB527_536
; %bb.531:
	s_movk_i32 s11, 0x80
	v_cmp_ne_u16_e32 vcc, s11, v20
	v_bfrev_b32_e32 v25, 1
	s_and_saveexec_b64 s[14:15], vcc
	s_cbranch_execz .LBB527_535
; %bb.532:
	v_bfe_u32 v20, v15, 16, 7
	s_movk_i32 s11, 0x7f
	v_cmp_ne_u32_e32 vcc, s11, v20
	v_mov_b32_e32 v25, 0x7f800001
	s_and_saveexec_b64 s[24:25], vcc
	s_cbranch_execz .LBB527_534
; %bb.533:
	v_and_b32_e32 v25, 7, v18
	v_ffbh_u32_e32 v28, v25
	v_min_u32_e32 v30, 32, v28
	v_subrev_u32_e32 v28, 28, v30
	v_lshlrev_b64 v[28:29], v28, v[18:19]
	v_and_b32_e32 v28, 7, v28
	v_cmp_gt_u32_e32 vcc, 8, v20
	v_lshrrev_b32_e32 v27, 3, v20
	v_sub_u32_e32 v18, 29, v30
	v_cndmask_b32_e32 v20, v25, v28, vcc
	v_mov_b32_e32 v25, 24
	v_cndmask_b32_e32 v18, v27, v18, vcc
	v_lshlrev_b32_sdwa v25, v25, v15 dst_sel:DWORD dst_unused:UNUSED_PAD src0_sel:DWORD src1_sel:WORD_1
	v_bfrev_b32_e32 v27, 60
	v_lshlrev_b32_e32 v20, 20, v20
	v_and_b32_e32 v25, 0x80000000, v25
	v_lshl_add_u32 v18, v18, 23, v27
	v_or3_b32 v25, v25, v18, v20
.LBB527_534:
	s_or_b64 exec, exec, s[24:25]
.LBB527_535:
	s_or_b64 exec, exec, s[14:15]
.LBB527_536:
	s_or_b64 exec, exec, s[12:13]
	s_mov_b32 s12, -1
	s_mov_b32 s13, 0xffffff
	v_cmp_lt_u64_e32 vcc, s[12:13], v[14:15]
	v_mov_b32_e32 v20, 0
	v_mov_b32_e32 v18, 0
	s_and_saveexec_b64 s[12:13], vcc
	s_cbranch_execz .LBB527_542
; %bb.537:
	v_lshrrev_b32_e32 v14, 24, v15
	s_movk_i32 s11, 0x80
	v_cmp_ne_u32_e32 vcc, s11, v14
	v_bfrev_b32_e32 v18, 1
	s_and_saveexec_b64 s[14:15], vcc
	s_cbranch_execz .LBB527_541
; %bb.538:
	v_bfe_u32 v15, v15, 24, 7
	s_movk_i32 s11, 0x7f
	v_cmp_ne_u32_e32 vcc, s11, v15
	v_mov_b32_e32 v18, 0x7f800001
	s_and_saveexec_b64 s[24:25], vcc
	s_cbranch_execz .LBB527_540
; %bb.539:
	v_and_b32_e32 v18, 7, v14
	v_ffbh_u32_e32 v28, v18
	v_min_u32_e32 v30, 32, v28
	v_subrev_u32_e32 v28, 28, v30
	v_lshlrev_b64 v[28:29], v28, v[14:15]
	v_lshrrev_b32_e32 v27, 3, v15
	v_sub_u32_e32 v29, 29, v30
	v_and_b32_e32 v28, 7, v28
	v_cmp_gt_u32_e32 vcc, 8, v15
	v_cndmask_b32_e32 v15, v27, v29, vcc
	v_cndmask_b32_e32 v18, v18, v28, vcc
	v_lshlrev_b32_e32 v14, 24, v14
	v_bfrev_b32_e32 v27, 60
	v_lshlrev_b32_e32 v18, 20, v18
	v_and_b32_e32 v14, 0x80000000, v14
	v_lshl_add_u32 v15, v15, 23, v27
	v_or3_b32 v18, v14, v15, v18
.LBB527_540:
	s_or_b64 exec, exec, s[24:25]
.LBB527_541:
	s_or_b64 exec, exec, s[14:15]
.LBB527_542:
	s_or_b64 exec, exec, s[12:13]
	v_cvt_pkrtz_f16_f32 v14, v22, v23
	v_cvt_pkrtz_f16_f32 v15, v21, v24
	;; [unrolled: 1-line block ×4, first 2 shown]
	v_mfma_f32_4x4x4f16 a[0:3], v[2:3], v[14:15], a[0:3] cbsz:4 abid:10
	v_cmp_ne_u16_sdwa s[14:15], v16, v20 src0_sel:BYTE_0 src1_sel:DWORD
	v_mfma_f32_4x4x4f16 a[0:3], v[4:5], v[22:23], a[0:3] cbsz:4 abid:10
	s_and_saveexec_b64 s[12:13], s[14:15]
	s_cbranch_execz .LBB527_548
; %bb.543:
	s_movk_i32 s11, 0x80
	v_cmp_ne_u16_sdwa s[24:25], v16, s11 src0_sel:BYTE_0 src1_sel:DWORD
	v_bfrev_b32_e32 v20, 1
	s_and_saveexec_b64 s[14:15], s[24:25]
	s_cbranch_execz .LBB527_547
; %bb.544:
	s_movk_i32 s11, 0x7f
	v_and_b32_e32 v14, 0x7f, v16
	v_cmp_ne_u32_e32 vcc, s11, v14
	v_mov_b32_e32 v20, 0x7f800001
	s_and_saveexec_b64 s[24:25], vcc
	s_cbranch_execz .LBB527_546
; %bb.545:
	v_and_b32_e32 v15, 7, v16
	v_ffbh_u32_e32 v15, v15
	v_min_u32_e32 v15, 32, v15
	v_subrev_u32_e32 v19, 28, v15
	v_cmp_gt_u32_e32 vcc, 8, v14
	v_lshrrev_b32_e32 v18, 3, v14
	v_sub_u32_e32 v15, 29, v15
	v_cndmask_b32_e32 v14, 0, v19, vcc
	v_cndmask_b32_e32 v18, v18, v15, vcc
	v_lshlrev_b64 v[14:15], v14, v[16:17]
	v_lshlrev_b32_e32 v14, 20, v14
	v_lshlrev_b32_e32 v15, 24, v16
	v_bfrev_b32_e32 v19, 60
	v_and_b32_e32 v14, 0x700000, v14
	v_and_b32_e32 v15, 0x80000000, v15
	v_lshl_add_u32 v18, v18, 23, v19
	v_or3_b32 v20, v15, v18, v14
.LBB527_546:
	s_or_b64 exec, exec, s[24:25]
.LBB527_547:
	s_or_b64 exec, exec, s[14:15]
.LBB527_548:
	s_or_b64 exec, exec, s[12:13]
	v_lshrrev_b16_e32 v14, 8, v16
	v_cmp_ne_u16_e32 vcc, 0, v14
	v_mov_b32_e32 v19, 0
	v_mov_b32_e32 v21, 0
	s_and_saveexec_b64 s[12:13], vcc
	s_cbranch_execz .LBB527_554
; %bb.549:
	s_movk_i32 s11, 0x80
	v_cmp_ne_u16_e32 vcc, s11, v14
	v_bfrev_b32_e32 v21, 1
	s_and_saveexec_b64 s[14:15], vcc
	s_cbranch_execz .LBB527_553
; %bb.550:
	s_movk_i32 s11, 0x7f
	v_and_b32_e32 v15, 0x7f, v14
	v_cmp_ne_u32_e32 vcc, s11, v15
	v_mov_b32_e32 v21, 0x7f800001
	s_and_saveexec_b64 s[24:25], vcc
	s_cbranch_execz .LBB527_552
; %bb.551:
	v_and_b32_e32 v18, 7, v14
	v_ffbh_u32_e32 v22, v18
	v_min_u32_e32 v24, 32, v22
	v_subrev_u32_e32 v22, 28, v24
	v_lshlrev_b64 v[22:23], v22, v[14:15]
	v_lshrrev_b32_e32 v21, 3, v15
	v_sub_u32_e32 v14, 29, v24
	v_and_b32_e32 v22, 7, v22
	v_cmp_gt_u32_e32 vcc, 8, v15
	v_cndmask_b32_e32 v14, v21, v14, vcc
	v_cndmask_b32_e32 v15, v18, v22, vcc
	v_lshlrev_b32_e32 v18, 16, v16
	v_bfrev_b32_e32 v21, 60
	v_lshlrev_b32_e32 v15, 20, v15
	v_and_b32_e32 v18, 0x80000000, v18
	v_lshl_add_u32 v14, v14, 23, v21
	v_or3_b32 v21, v18, v14, v15
.LBB527_552:
	s_or_b64 exec, exec, s[24:25]
.LBB527_553:
	s_or_b64 exec, exec, s[14:15]
.LBB527_554:
	s_or_b64 exec, exec, s[12:13]
	s_movk_i32 s11, 0xff
	v_and_b32_sdwa v15, v16, s11 dst_sel:DWORD dst_unused:UNUSED_PAD src0_sel:WORD_1 src1_sel:DWORD
	v_lshrrev_b32_e32 v14, 16, v16
	v_cmp_ne_u16_e32 vcc, 0, v15
	s_and_saveexec_b64 s[12:13], vcc
	s_cbranch_execz .LBB527_560
; %bb.555:
	s_movk_i32 s11, 0x80
	v_cmp_ne_u16_e32 vcc, s11, v15
	v_bfrev_b32_e32 v19, 1
	s_and_saveexec_b64 s[14:15], vcc
	s_cbranch_execz .LBB527_559
; %bb.556:
	v_bfe_u32 v15, v16, 16, 7
	s_movk_i32 s11, 0x7f
	v_cmp_ne_u32_e32 vcc, s11, v15
	v_mov_b32_e32 v19, 0x7f800001
	s_and_saveexec_b64 s[24:25], vcc
	s_cbranch_execz .LBB527_558
; %bb.557:
	v_and_b32_e32 v22, 7, v14
	v_ffbh_u32_e32 v18, v22
	v_min_u32_e32 v24, 32, v18
	v_subrev_u32_e32 v18, 28, v24
	v_lshlrev_b64 v[18:19], v18, v[14:15]
	v_and_b32_e32 v18, 7, v18
	v_cmp_gt_u32_e32 vcc, 8, v15
	v_lshrrev_b32_e32 v23, 3, v15
	v_sub_u32_e32 v14, 29, v24
	v_cndmask_b32_e32 v15, v22, v18, vcc
	v_mov_b32_e32 v18, 24
	v_cndmask_b32_e32 v14, v23, v14, vcc
	v_lshlrev_b32_sdwa v18, v18, v16 dst_sel:DWORD dst_unused:UNUSED_PAD src0_sel:DWORD src1_sel:WORD_1
	v_bfrev_b32_e32 v19, 60
	v_lshlrev_b32_e32 v15, 20, v15
	v_and_b32_e32 v18, 0x80000000, v18
	v_lshl_add_u32 v14, v14, 23, v19
	v_or3_b32 v19, v18, v14, v15
.LBB527_558:
	s_or_b64 exec, exec, s[24:25]
.LBB527_559:
	s_or_b64 exec, exec, s[14:15]
.LBB527_560:
	s_or_b64 exec, exec, s[12:13]
	s_mov_b32 s11, 0xffffff
	v_cmp_lt_u32_e32 vcc, s11, v16
	v_mov_b32_e32 v15, 0
	v_mov_b32_e32 v22, 0
	s_and_saveexec_b64 s[12:13], vcc
	s_cbranch_execz .LBB527_566
; %bb.561:
	v_lshrrev_b32_e32 v14, 24, v16
	s_movk_i32 s11, 0x80
	v_cmp_ne_u32_e32 vcc, s11, v14
	v_bfrev_b32_e32 v22, 1
	s_and_saveexec_b64 s[14:15], vcc
	s_cbranch_execz .LBB527_565
; %bb.562:
	v_bfe_u32 v18, v16, 24, 7
	s_movk_i32 s11, 0x7f
	v_cmp_ne_u32_e32 vcc, s11, v18
	v_mov_b32_e32 v22, 0x7f800001
	s_and_saveexec_b64 s[24:25], vcc
	s_cbranch_execz .LBB527_564
; %bb.563:
	v_and_b32_e32 v24, 7, v14
	v_ffbh_u32_e32 v22, v24
	v_min_u32_e32 v26, 32, v22
	v_subrev_u32_e32 v22, 28, v26
	v_lshlrev_b64 v[22:23], v22, v[14:15]
	v_lshrrev_b32_e32 v25, 3, v18
	v_sub_u32_e32 v23, 29, v26
	v_and_b32_e32 v22, 7, v22
	v_cmp_gt_u32_e32 vcc, 8, v18
	v_cndmask_b32_e32 v18, v25, v23, vcc
	v_cndmask_b32_e32 v22, v24, v22, vcc
	v_lshlrev_b32_e32 v14, 24, v14
	v_bfrev_b32_e32 v23, 60
	v_lshlrev_b32_e32 v22, 20, v22
	v_and_b32_e32 v14, 0x80000000, v14
	v_lshl_add_u32 v18, v18, 23, v23
	v_or3_b32 v22, v14, v18, v22
.LBB527_564:
	s_or_b64 exec, exec, s[24:25]
.LBB527_565:
	s_or_b64 exec, exec, s[14:15]
.LBB527_566:
	s_or_b64 exec, exec, s[12:13]
	v_mov_b32_e32 v14, v17
	v_cmp_ne_u16_sdwa s[14:15], v17, v15 src0_sel:BYTE_0 src1_sel:DWORD
	s_and_saveexec_b64 s[12:13], s[14:15]
	s_cbranch_execz .LBB527_572
; %bb.567:
	s_movk_i32 s11, 0x80
	v_cmp_ne_u16_sdwa s[24:25], v17, s11 src0_sel:BYTE_0 src1_sel:DWORD
	v_bfrev_b32_e32 v18, 1
	s_and_saveexec_b64 s[14:15], s[24:25]
	s_cbranch_execz .LBB527_571
; %bb.568:
	s_movk_i32 s11, 0x7f
	v_and_b32_e32 v23, 0x7f, v17
	v_cmp_ne_u32_e32 vcc, s11, v23
	v_mov_b32_e32 v18, 0x7f800001
	s_and_saveexec_b64 s[24:25], vcc
	s_cbranch_execz .LBB527_570
; %bb.569:
	v_and_b32_e32 v18, 7, v17
	v_ffbh_u32_e32 v18, v18
	v_min_u32_e32 v18, 32, v18
	v_subrev_u32_e32 v25, 28, v18
	v_cmp_gt_u32_e32 vcc, 8, v23
	v_lshrrev_b32_e32 v24, 3, v23
	v_sub_u32_e32 v18, 29, v18
	v_cndmask_b32_e32 v23, 0, v25, vcc
	v_cndmask_b32_e32 v18, v24, v18, vcc
	v_lshlrev_b64 v[24:25], v23, v[14:15]
	v_lshlrev_b32_e32 v15, 20, v24
	v_lshlrev_b32_e32 v23, 24, v14
	v_bfrev_b32_e32 v24, 60
	v_and_b32_e32 v15, 0x700000, v15
	v_and_b32_e32 v23, 0x80000000, v23
	v_lshl_add_u32 v18, v18, 23, v24
	v_or3_b32 v18, v23, v18, v15
.LBB527_570:
	s_or_b64 exec, exec, s[24:25]
.LBB527_571:
	s_or_b64 exec, exec, s[14:15]
	v_mov_b32_e32 v15, v18
.LBB527_572:
	s_or_b64 exec, exec, s[12:13]
	v_lshrrev_b16_e32 v18, 8, v14
	v_cmp_ne_u16_e32 vcc, 0, v18
	v_mov_b32_e32 v23, 0
	v_mov_b32_e32 v24, 0
	s_and_saveexec_b64 s[12:13], vcc
	s_cbranch_execz .LBB527_578
; %bb.573:
	s_movk_i32 s11, 0x80
	v_cmp_ne_u16_e32 vcc, s11, v18
	v_bfrev_b32_e32 v24, 1
	s_and_saveexec_b64 s[14:15], vcc
	s_cbranch_execz .LBB527_577
; %bb.574:
	s_movk_i32 s11, 0x7f
	v_and_b32_e32 v25, 0x7f, v18
	v_cmp_ne_u32_e32 vcc, s11, v25
	v_mov_b32_e32 v24, 0x7f800001
	s_and_saveexec_b64 s[24:25], vcc
	s_cbranch_execz .LBB527_576
; %bb.575:
	v_and_b32_e32 v24, 7, v18
	v_ffbh_u32_e32 v26, v24
	v_min_u32_e32 v29, 32, v26
	v_subrev_u32_e32 v26, 28, v29
	v_lshlrev_b64 v[26:27], v26, v[18:19]
	v_lshrrev_b32_e32 v28, 3, v25
	v_sub_u32_e32 v18, 29, v29
	v_and_b32_e32 v26, 7, v26
	v_cmp_gt_u32_e32 vcc, 8, v25
	v_cndmask_b32_e32 v18, v28, v18, vcc
	v_cndmask_b32_e32 v24, v24, v26, vcc
	v_lshlrev_b32_e32 v14, 16, v14
	v_bfrev_b32_e32 v25, 60
	v_lshlrev_b32_e32 v24, 20, v24
	v_and_b32_e32 v14, 0x80000000, v14
	v_lshl_add_u32 v18, v18, 23, v25
	v_or3_b32 v24, v14, v18, v24
.LBB527_576:
	s_or_b64 exec, exec, s[24:25]
.LBB527_577:
	s_or_b64 exec, exec, s[14:15]
.LBB527_578:
	s_or_b64 exec, exec, s[12:13]
	s_movk_i32 s11, 0xff
	v_and_b32_sdwa v18, v17, s11 dst_sel:DWORD dst_unused:UNUSED_PAD src0_sel:WORD_1 src1_sel:DWORD
	v_lshrrev_b32_e32 v14, 16, v17
	v_cmp_ne_u16_e32 vcc, 0, v18
	s_and_saveexec_b64 s[12:13], vcc
	s_cbranch_execz .LBB527_584
; %bb.579:
	s_movk_i32 s11, 0x80
	v_cmp_ne_u16_e32 vcc, s11, v18
	v_bfrev_b32_e32 v23, 1
	s_and_saveexec_b64 s[14:15], vcc
	s_cbranch_execz .LBB527_583
; %bb.580:
	v_bfe_u32 v18, v17, 16, 7
	s_movk_i32 s11, 0x7f
	v_cmp_ne_u32_e32 vcc, s11, v18
	v_mov_b32_e32 v23, 0x7f800001
	s_and_saveexec_b64 s[24:25], vcc
	s_cbranch_execz .LBB527_582
; %bb.581:
	v_and_b32_e32 v23, 7, v14
	v_ffbh_u32_e32 v26, v23
	v_min_u32_e32 v28, 32, v26
	v_subrev_u32_e32 v26, 28, v28
	v_lshlrev_b64 v[26:27], v26, v[14:15]
	v_and_b32_e32 v26, 7, v26
	v_cmp_gt_u32_e32 vcc, 8, v18
	v_lshrrev_b32_e32 v25, 3, v18
	v_sub_u32_e32 v14, 29, v28
	v_cndmask_b32_e32 v18, v23, v26, vcc
	v_mov_b32_e32 v23, 24
	v_cndmask_b32_e32 v14, v25, v14, vcc
	v_lshlrev_b32_sdwa v23, v23, v17 dst_sel:DWORD dst_unused:UNUSED_PAD src0_sel:DWORD src1_sel:WORD_1
	v_bfrev_b32_e32 v25, 60
	v_lshlrev_b32_e32 v18, 20, v18
	v_and_b32_e32 v23, 0x80000000, v23
	v_lshl_add_u32 v14, v14, 23, v25
	v_or3_b32 v23, v23, v14, v18
.LBB527_582:
	s_or_b64 exec, exec, s[24:25]
.LBB527_583:
	s_or_b64 exec, exec, s[14:15]
.LBB527_584:
	s_or_b64 exec, exec, s[12:13]
	s_mov_b32 s12, -1
	s_mov_b32 s13, 0xffffff
	v_cmp_lt_u64_e32 vcc, s[12:13], v[16:17]
	v_mov_b32_e32 v18, 0
	v_mov_b32_e32 v16, 0
	s_and_saveexec_b64 s[12:13], vcc
	s_cbranch_execz .LBB527_590
; %bb.585:
	v_lshrrev_b32_e32 v14, 24, v17
	s_movk_i32 s11, 0x80
	v_cmp_ne_u32_e32 vcc, s11, v14
	v_bfrev_b32_e32 v16, 1
	s_and_saveexec_b64 s[14:15], vcc
	s_cbranch_execz .LBB527_589
; %bb.586:
	v_bfe_u32 v17, v17, 24, 7
	s_movk_i32 s11, 0x7f
	v_cmp_ne_u32_e32 vcc, s11, v17
	v_mov_b32_e32 v16, 0x7f800001
	s_and_saveexec_b64 s[24:25], vcc
	s_cbranch_execz .LBB527_588
; %bb.587:
	v_and_b32_e32 v16, 7, v14
	v_ffbh_u32_e32 v26, v16
	v_min_u32_e32 v28, 32, v26
	v_subrev_u32_e32 v26, 28, v28
	v_lshlrev_b64 v[26:27], v26, v[14:15]
	v_lshrrev_b32_e32 v25, 3, v17
	v_sub_u32_e32 v27, 29, v28
	v_and_b32_e32 v26, 7, v26
	v_cmp_gt_u32_e32 vcc, 8, v17
	v_cndmask_b32_e32 v17, v25, v27, vcc
	v_cndmask_b32_e32 v16, v16, v26, vcc
	v_lshlrev_b32_e32 v14, 24, v14
	v_bfrev_b32_e32 v25, 60
	v_lshlrev_b32_e32 v16, 20, v16
	v_and_b32_e32 v14, 0x80000000, v14
	v_lshl_add_u32 v17, v17, 23, v25
	v_or3_b32 v16, v14, v17, v16
.LBB527_588:
	s_or_b64 exec, exec, s[24:25]
.LBB527_589:
	s_or_b64 exec, exec, s[14:15]
.LBB527_590:
	s_or_b64 exec, exec, s[12:13]
	v_cvt_pkrtz_f16_f32 v20, v20, v21
	v_cvt_pkrtz_f16_f32 v21, v19, v22
	;; [unrolled: 1-line block ×4, first 2 shown]
	v_mfma_f32_4x4x4f16 a[0:3], v[2:3], v[20:21], a[0:3] cbsz:4 abid:11
	s_waitcnt vmcnt(25)
	v_cmp_ne_u16_sdwa s[14:15], v10, v18 src0_sel:BYTE_0 src1_sel:DWORD
	v_mfma_f32_4x4x4f16 a[0:3], v[4:5], v[14:15], a[0:3] cbsz:4 abid:11
	s_and_saveexec_b64 s[12:13], s[14:15]
	s_cbranch_execz .LBB527_596
; %bb.591:
	s_movk_i32 s11, 0x80
	v_cmp_ne_u16_sdwa s[24:25], v10, s11 src0_sel:BYTE_0 src1_sel:DWORD
	v_bfrev_b32_e32 v18, 1
	s_and_saveexec_b64 s[14:15], s[24:25]
	s_cbranch_execz .LBB527_595
; %bb.592:
	s_movk_i32 s11, 0x7f
	v_and_b32_e32 v14, 0x7f, v10
	v_cmp_ne_u32_e32 vcc, s11, v14
	v_mov_b32_e32 v18, 0x7f800001
	s_and_saveexec_b64 s[24:25], vcc
	s_cbranch_execz .LBB527_594
; %bb.593:
	v_and_b32_e32 v15, 7, v10
	v_ffbh_u32_e32 v15, v15
	v_min_u32_e32 v15, 32, v15
	v_subrev_u32_e32 v17, 28, v15
	v_cmp_gt_u32_e32 vcc, 8, v14
	v_lshrrev_b32_e32 v16, 3, v14
	v_sub_u32_e32 v15, 29, v15
	v_cndmask_b32_e32 v14, 0, v17, vcc
	v_cndmask_b32_e32 v16, v16, v15, vcc
	v_lshlrev_b64 v[14:15], v14, v[10:11]
	v_lshlrev_b32_e32 v14, 20, v14
	v_lshlrev_b32_e32 v15, 24, v10
	v_bfrev_b32_e32 v17, 60
	v_and_b32_e32 v14, 0x700000, v14
	v_and_b32_e32 v15, 0x80000000, v15
	v_lshl_add_u32 v16, v16, 23, v17
	v_or3_b32 v18, v15, v16, v14
.LBB527_594:
	s_or_b64 exec, exec, s[24:25]
.LBB527_595:
	s_or_b64 exec, exec, s[14:15]
.LBB527_596:
	s_or_b64 exec, exec, s[12:13]
	v_lshrrev_b16_e32 v14, 8, v10
	v_cmp_ne_u16_e32 vcc, 0, v14
	v_mov_b32_e32 v17, 0
	v_mov_b32_e32 v19, 0
	s_and_saveexec_b64 s[12:13], vcc
	s_cbranch_execz .LBB527_602
; %bb.597:
	s_movk_i32 s11, 0x80
	v_cmp_ne_u16_e32 vcc, s11, v14
	v_bfrev_b32_e32 v19, 1
	s_and_saveexec_b64 s[14:15], vcc
	s_cbranch_execz .LBB527_601
; %bb.598:
	s_movk_i32 s11, 0x7f
	v_and_b32_e32 v15, 0x7f, v14
	v_cmp_ne_u32_e32 vcc, s11, v15
	v_mov_b32_e32 v19, 0x7f800001
	s_and_saveexec_b64 s[24:25], vcc
	s_cbranch_execz .LBB527_600
; %bb.599:
	v_and_b32_e32 v16, 7, v14
	v_ffbh_u32_e32 v20, v16
	v_min_u32_e32 v22, 32, v20
	v_subrev_u32_e32 v20, 28, v22
	v_lshlrev_b64 v[20:21], v20, v[14:15]
	v_lshrrev_b32_e32 v19, 3, v15
	v_sub_u32_e32 v14, 29, v22
	v_and_b32_e32 v20, 7, v20
	v_cmp_gt_u32_e32 vcc, 8, v15
	v_cndmask_b32_e32 v14, v19, v14, vcc
	v_cndmask_b32_e32 v15, v16, v20, vcc
	v_lshlrev_b32_e32 v16, 16, v10
	v_bfrev_b32_e32 v19, 60
	v_lshlrev_b32_e32 v15, 20, v15
	v_and_b32_e32 v16, 0x80000000, v16
	v_lshl_add_u32 v14, v14, 23, v19
	v_or3_b32 v19, v16, v14, v15
.LBB527_600:
	s_or_b64 exec, exec, s[24:25]
.LBB527_601:
	s_or_b64 exec, exec, s[14:15]
.LBB527_602:
	s_or_b64 exec, exec, s[12:13]
	s_movk_i32 s11, 0xff
	v_and_b32_sdwa v15, v10, s11 dst_sel:DWORD dst_unused:UNUSED_PAD src0_sel:WORD_1 src1_sel:DWORD
	v_lshrrev_b32_e32 v14, 16, v10
	v_cmp_ne_u16_e32 vcc, 0, v15
	s_and_saveexec_b64 s[12:13], vcc
	s_cbranch_execz .LBB527_608
; %bb.603:
	s_movk_i32 s11, 0x80
	v_cmp_ne_u16_e32 vcc, s11, v15
	v_bfrev_b32_e32 v17, 1
	s_and_saveexec_b64 s[14:15], vcc
	s_cbranch_execz .LBB527_607
; %bb.604:
	v_bfe_u32 v15, v10, 16, 7
	s_movk_i32 s11, 0x7f
	v_cmp_ne_u32_e32 vcc, s11, v15
	v_mov_b32_e32 v17, 0x7f800001
	s_and_saveexec_b64 s[24:25], vcc
	s_cbranch_execz .LBB527_606
; %bb.605:
	v_and_b32_e32 v20, 7, v14
	v_ffbh_u32_e32 v16, v20
	v_min_u32_e32 v22, 32, v16
	v_subrev_u32_e32 v16, 28, v22
	v_lshlrev_b64 v[16:17], v16, v[14:15]
	v_and_b32_e32 v16, 7, v16
	v_cmp_gt_u32_e32 vcc, 8, v15
	v_lshrrev_b32_e32 v21, 3, v15
	v_sub_u32_e32 v14, 29, v22
	v_cndmask_b32_e32 v15, v20, v16, vcc
	v_mov_b32_e32 v16, 24
	v_cndmask_b32_e32 v14, v21, v14, vcc
	v_lshlrev_b32_sdwa v16, v16, v10 dst_sel:DWORD dst_unused:UNUSED_PAD src0_sel:DWORD src1_sel:WORD_1
	v_bfrev_b32_e32 v17, 60
	v_lshlrev_b32_e32 v15, 20, v15
	v_and_b32_e32 v16, 0x80000000, v16
	v_lshl_add_u32 v14, v14, 23, v17
	v_or3_b32 v17, v16, v14, v15
.LBB527_606:
	s_or_b64 exec, exec, s[24:25]
.LBB527_607:
	s_or_b64 exec, exec, s[14:15]
.LBB527_608:
	s_or_b64 exec, exec, s[12:13]
	s_mov_b32 s11, 0xffffff
	v_cmp_lt_u32_e32 vcc, s11, v10
	v_mov_b32_e32 v15, 0
	v_mov_b32_e32 v20, 0
	s_and_saveexec_b64 s[12:13], vcc
	s_cbranch_execz .LBB527_614
; %bb.609:
	v_lshrrev_b32_e32 v14, 24, v10
	s_movk_i32 s11, 0x80
	v_cmp_ne_u32_e32 vcc, s11, v14
	v_bfrev_b32_e32 v20, 1
	s_and_saveexec_b64 s[14:15], vcc
	s_cbranch_execz .LBB527_613
; %bb.610:
	v_bfe_u32 v16, v10, 24, 7
	s_movk_i32 s11, 0x7f
	v_cmp_ne_u32_e32 vcc, s11, v16
	v_mov_b32_e32 v20, 0x7f800001
	s_and_saveexec_b64 s[24:25], vcc
	s_cbranch_execz .LBB527_612
; %bb.611:
	v_and_b32_e32 v22, 7, v14
	v_ffbh_u32_e32 v20, v22
	v_min_u32_e32 v24, 32, v20
	v_subrev_u32_e32 v20, 28, v24
	v_lshlrev_b64 v[20:21], v20, v[14:15]
	v_lshrrev_b32_e32 v23, 3, v16
	v_sub_u32_e32 v21, 29, v24
	v_and_b32_e32 v20, 7, v20
	v_cmp_gt_u32_e32 vcc, 8, v16
	v_cndmask_b32_e32 v16, v23, v21, vcc
	v_cndmask_b32_e32 v20, v22, v20, vcc
	v_lshlrev_b32_e32 v14, 24, v14
	v_bfrev_b32_e32 v21, 60
	v_lshlrev_b32_e32 v20, 20, v20
	v_and_b32_e32 v14, 0x80000000, v14
	v_lshl_add_u32 v16, v16, 23, v21
	v_or3_b32 v20, v14, v16, v20
.LBB527_612:
	s_or_b64 exec, exec, s[24:25]
.LBB527_613:
	s_or_b64 exec, exec, s[14:15]
.LBB527_614:
	s_or_b64 exec, exec, s[12:13]
	v_mov_b32_e32 v14, v11
	v_cmp_ne_u16_sdwa s[14:15], v11, v15 src0_sel:BYTE_0 src1_sel:DWORD
	s_and_saveexec_b64 s[12:13], s[14:15]
	s_cbranch_execz .LBB527_620
; %bb.615:
	s_movk_i32 s11, 0x80
	v_cmp_ne_u16_sdwa s[24:25], v11, s11 src0_sel:BYTE_0 src1_sel:DWORD
	v_bfrev_b32_e32 v16, 1
	s_and_saveexec_b64 s[14:15], s[24:25]
	s_cbranch_execz .LBB527_619
; %bb.616:
	s_movk_i32 s11, 0x7f
	v_and_b32_e32 v21, 0x7f, v11
	v_cmp_ne_u32_e32 vcc, s11, v21
	v_mov_b32_e32 v16, 0x7f800001
	s_and_saveexec_b64 s[24:25], vcc
	s_cbranch_execz .LBB527_618
; %bb.617:
	v_and_b32_e32 v16, 7, v11
	v_ffbh_u32_e32 v16, v16
	v_min_u32_e32 v16, 32, v16
	v_subrev_u32_e32 v23, 28, v16
	v_cmp_gt_u32_e32 vcc, 8, v21
	v_lshrrev_b32_e32 v22, 3, v21
	v_sub_u32_e32 v16, 29, v16
	v_cndmask_b32_e32 v21, 0, v23, vcc
	v_cndmask_b32_e32 v16, v22, v16, vcc
	v_lshlrev_b64 v[22:23], v21, v[14:15]
	v_lshlrev_b32_e32 v15, 20, v22
	v_lshlrev_b32_e32 v21, 24, v14
	v_bfrev_b32_e32 v22, 60
	v_and_b32_e32 v15, 0x700000, v15
	v_and_b32_e32 v21, 0x80000000, v21
	v_lshl_add_u32 v16, v16, 23, v22
	v_or3_b32 v16, v21, v16, v15
.LBB527_618:
	s_or_b64 exec, exec, s[24:25]
.LBB527_619:
	s_or_b64 exec, exec, s[14:15]
	v_mov_b32_e32 v15, v16
.LBB527_620:
	s_or_b64 exec, exec, s[12:13]
	v_lshrrev_b16_e32 v16, 8, v14
	v_cmp_ne_u16_e32 vcc, 0, v16
	v_mov_b32_e32 v21, 0
	v_mov_b32_e32 v22, 0
	s_and_saveexec_b64 s[12:13], vcc
	s_cbranch_execz .LBB527_626
; %bb.621:
	s_movk_i32 s11, 0x80
	v_cmp_ne_u16_e32 vcc, s11, v16
	v_bfrev_b32_e32 v22, 1
	s_and_saveexec_b64 s[14:15], vcc
	s_cbranch_execz .LBB527_625
; %bb.622:
	s_movk_i32 s11, 0x7f
	v_and_b32_e32 v23, 0x7f, v16
	v_cmp_ne_u32_e32 vcc, s11, v23
	v_mov_b32_e32 v22, 0x7f800001
	s_and_saveexec_b64 s[24:25], vcc
	s_cbranch_execz .LBB527_624
; %bb.623:
	v_and_b32_e32 v22, 7, v16
	v_ffbh_u32_e32 v24, v22
	v_min_u32_e32 v27, 32, v24
	v_subrev_u32_e32 v24, 28, v27
	v_lshlrev_b64 v[24:25], v24, v[16:17]
	v_lshrrev_b32_e32 v26, 3, v23
	v_sub_u32_e32 v16, 29, v27
	v_and_b32_e32 v24, 7, v24
	v_cmp_gt_u32_e32 vcc, 8, v23
	v_cndmask_b32_e32 v16, v26, v16, vcc
	v_cndmask_b32_e32 v22, v22, v24, vcc
	v_lshlrev_b32_e32 v14, 16, v14
	v_bfrev_b32_e32 v23, 60
	v_lshlrev_b32_e32 v22, 20, v22
	v_and_b32_e32 v14, 0x80000000, v14
	v_lshl_add_u32 v16, v16, 23, v23
	v_or3_b32 v22, v14, v16, v22
.LBB527_624:
	s_or_b64 exec, exec, s[24:25]
.LBB527_625:
	s_or_b64 exec, exec, s[14:15]
.LBB527_626:
	s_or_b64 exec, exec, s[12:13]
	s_movk_i32 s11, 0xff
	v_and_b32_sdwa v16, v11, s11 dst_sel:DWORD dst_unused:UNUSED_PAD src0_sel:WORD_1 src1_sel:DWORD
	v_lshrrev_b32_e32 v14, 16, v11
	v_cmp_ne_u16_e32 vcc, 0, v16
	s_and_saveexec_b64 s[12:13], vcc
	s_cbranch_execz .LBB527_632
; %bb.627:
	s_movk_i32 s11, 0x80
	v_cmp_ne_u16_e32 vcc, s11, v16
	v_bfrev_b32_e32 v21, 1
	s_and_saveexec_b64 s[14:15], vcc
	s_cbranch_execz .LBB527_631
; %bb.628:
	v_bfe_u32 v16, v11, 16, 7
	s_movk_i32 s11, 0x7f
	v_cmp_ne_u32_e32 vcc, s11, v16
	v_mov_b32_e32 v21, 0x7f800001
	s_and_saveexec_b64 s[24:25], vcc
	s_cbranch_execz .LBB527_630
; %bb.629:
	v_and_b32_e32 v21, 7, v14
	v_ffbh_u32_e32 v24, v21
	v_min_u32_e32 v26, 32, v24
	v_subrev_u32_e32 v24, 28, v26
	v_lshlrev_b64 v[24:25], v24, v[14:15]
	v_and_b32_e32 v24, 7, v24
	v_cmp_gt_u32_e32 vcc, 8, v16
	v_lshrrev_b32_e32 v23, 3, v16
	v_sub_u32_e32 v14, 29, v26
	v_cndmask_b32_e32 v16, v21, v24, vcc
	v_mov_b32_e32 v21, 24
	v_cndmask_b32_e32 v14, v23, v14, vcc
	v_lshlrev_b32_sdwa v21, v21, v11 dst_sel:DWORD dst_unused:UNUSED_PAD src0_sel:DWORD src1_sel:WORD_1
	v_bfrev_b32_e32 v23, 60
	v_lshlrev_b32_e32 v16, 20, v16
	v_and_b32_e32 v21, 0x80000000, v21
	v_lshl_add_u32 v14, v14, 23, v23
	v_or3_b32 v21, v21, v14, v16
.LBB527_630:
	s_or_b64 exec, exec, s[24:25]
.LBB527_631:
	s_or_b64 exec, exec, s[14:15]
.LBB527_632:
	s_or_b64 exec, exec, s[12:13]
	s_mov_b32 s12, -1
	s_mov_b32 s13, 0xffffff
	v_cmp_lt_u64_e32 vcc, s[12:13], v[10:11]
	v_mov_b32_e32 v16, 0
	v_mov_b32_e32 v14, 0
	s_and_saveexec_b64 s[12:13], vcc
	s_cbranch_execz .LBB527_638
; %bb.633:
	v_lshrrev_b32_e32 v10, 24, v11
	s_movk_i32 s11, 0x80
	v_cmp_ne_u32_e32 vcc, s11, v10
	v_bfrev_b32_e32 v14, 1
	s_and_saveexec_b64 s[14:15], vcc
	s_cbranch_execz .LBB527_637
; %bb.634:
	v_bfe_u32 v11, v11, 24, 7
	s_movk_i32 s11, 0x7f
	v_cmp_ne_u32_e32 vcc, s11, v11
	v_mov_b32_e32 v14, 0x7f800001
	s_and_saveexec_b64 s[24:25], vcc
	s_cbranch_execz .LBB527_636
; %bb.635:
	v_and_b32_e32 v14, 7, v10
	v_ffbh_u32_e32 v24, v14
	v_min_u32_e32 v26, 32, v24
	v_subrev_u32_e32 v24, 28, v26
	v_lshlrev_b64 v[24:25], v24, v[10:11]
	v_lshrrev_b32_e32 v23, 3, v11
	v_sub_u32_e32 v25, 29, v26
	v_and_b32_e32 v24, 7, v24
	v_cmp_gt_u32_e32 vcc, 8, v11
	v_cndmask_b32_e32 v11, v23, v25, vcc
	v_cndmask_b32_e32 v14, v14, v24, vcc
	v_lshlrev_b32_e32 v10, 24, v10
	v_bfrev_b32_e32 v23, 60
	v_lshlrev_b32_e32 v14, 20, v14
	v_and_b32_e32 v10, 0x80000000, v10
	v_lshl_add_u32 v11, v11, 23, v23
	v_or3_b32 v14, v10, v11, v14
.LBB527_636:
	s_or_b64 exec, exec, s[24:25]
.LBB527_637:
	s_or_b64 exec, exec, s[14:15]
.LBB527_638:
	s_or_b64 exec, exec, s[12:13]
	v_cvt_pkrtz_f16_f32 v10, v18, v19
	v_cvt_pkrtz_f16_f32 v11, v17, v20
	;; [unrolled: 1-line block ×4, first 2 shown]
	v_mfma_f32_4x4x4f16 a[0:3], v[2:3], v[10:11], a[0:3] cbsz:4 abid:12
	v_cmp_ne_u16_sdwa s[14:15], v12, v16 src0_sel:BYTE_0 src1_sel:DWORD
	v_mfma_f32_4x4x4f16 a[0:3], v[4:5], v[18:19], a[0:3] cbsz:4 abid:12
	s_and_saveexec_b64 s[12:13], s[14:15]
	s_cbranch_execz .LBB527_644
; %bb.639:
	s_movk_i32 s11, 0x80
	v_cmp_ne_u16_sdwa s[24:25], v12, s11 src0_sel:BYTE_0 src1_sel:DWORD
	v_bfrev_b32_e32 v16, 1
	s_and_saveexec_b64 s[14:15], s[24:25]
	s_cbranch_execz .LBB527_643
; %bb.640:
	s_movk_i32 s11, 0x7f
	v_and_b32_e32 v10, 0x7f, v12
	v_cmp_ne_u32_e32 vcc, s11, v10
	v_mov_b32_e32 v16, 0x7f800001
	s_and_saveexec_b64 s[24:25], vcc
	s_cbranch_execz .LBB527_642
; %bb.641:
	v_and_b32_e32 v11, 7, v12
	v_ffbh_u32_e32 v11, v11
	v_min_u32_e32 v11, 32, v11
	v_subrev_u32_e32 v15, 28, v11
	v_cmp_gt_u32_e32 vcc, 8, v10
	v_lshrrev_b32_e32 v14, 3, v10
	v_sub_u32_e32 v11, 29, v11
	v_cndmask_b32_e32 v10, 0, v15, vcc
	v_cndmask_b32_e32 v14, v14, v11, vcc
	v_lshlrev_b64 v[10:11], v10, v[12:13]
	v_lshlrev_b32_e32 v10, 20, v10
	v_lshlrev_b32_e32 v11, 24, v12
	v_bfrev_b32_e32 v15, 60
	v_and_b32_e32 v10, 0x700000, v10
	v_and_b32_e32 v11, 0x80000000, v11
	v_lshl_add_u32 v14, v14, 23, v15
	v_or3_b32 v16, v11, v14, v10
.LBB527_642:
	s_or_b64 exec, exec, s[24:25]
.LBB527_643:
	s_or_b64 exec, exec, s[14:15]
.LBB527_644:
	s_or_b64 exec, exec, s[12:13]
	v_lshrrev_b16_e32 v10, 8, v12
	v_cmp_ne_u16_e32 vcc, 0, v10
	v_mov_b32_e32 v15, 0
	v_mov_b32_e32 v17, 0
	s_and_saveexec_b64 s[12:13], vcc
	s_cbranch_execz .LBB527_650
; %bb.645:
	s_movk_i32 s11, 0x80
	v_cmp_ne_u16_e32 vcc, s11, v10
	v_bfrev_b32_e32 v17, 1
	s_and_saveexec_b64 s[14:15], vcc
	s_cbranch_execz .LBB527_649
; %bb.646:
	s_movk_i32 s11, 0x7f
	v_and_b32_e32 v11, 0x7f, v10
	v_cmp_ne_u32_e32 vcc, s11, v11
	v_mov_b32_e32 v17, 0x7f800001
	s_and_saveexec_b64 s[24:25], vcc
	s_cbranch_execz .LBB527_648
; %bb.647:
	v_and_b32_e32 v14, 7, v10
	v_ffbh_u32_e32 v18, v14
	v_min_u32_e32 v20, 32, v18
	v_subrev_u32_e32 v18, 28, v20
	v_lshlrev_b64 v[18:19], v18, v[10:11]
	v_lshrrev_b32_e32 v17, 3, v11
	v_sub_u32_e32 v10, 29, v20
	v_and_b32_e32 v18, 7, v18
	v_cmp_gt_u32_e32 vcc, 8, v11
	v_cndmask_b32_e32 v10, v17, v10, vcc
	v_cndmask_b32_e32 v11, v14, v18, vcc
	v_lshlrev_b32_e32 v14, 16, v12
	v_bfrev_b32_e32 v17, 60
	v_lshlrev_b32_e32 v11, 20, v11
	v_and_b32_e32 v14, 0x80000000, v14
	v_lshl_add_u32 v10, v10, 23, v17
	v_or3_b32 v17, v14, v10, v11
.LBB527_648:
	s_or_b64 exec, exec, s[24:25]
.LBB527_649:
	s_or_b64 exec, exec, s[14:15]
.LBB527_650:
	s_or_b64 exec, exec, s[12:13]
	s_movk_i32 s11, 0xff
	v_and_b32_sdwa v11, v12, s11 dst_sel:DWORD dst_unused:UNUSED_PAD src0_sel:WORD_1 src1_sel:DWORD
	v_lshrrev_b32_e32 v10, 16, v12
	v_cmp_ne_u16_e32 vcc, 0, v11
	s_and_saveexec_b64 s[12:13], vcc
	s_cbranch_execz .LBB527_656
; %bb.651:
	s_movk_i32 s11, 0x80
	v_cmp_ne_u16_e32 vcc, s11, v11
	v_bfrev_b32_e32 v15, 1
	s_and_saveexec_b64 s[14:15], vcc
	s_cbranch_execz .LBB527_655
; %bb.652:
	v_bfe_u32 v11, v12, 16, 7
	s_movk_i32 s11, 0x7f
	v_cmp_ne_u32_e32 vcc, s11, v11
	v_mov_b32_e32 v15, 0x7f800001
	s_and_saveexec_b64 s[24:25], vcc
	s_cbranch_execz .LBB527_654
; %bb.653:
	v_and_b32_e32 v18, 7, v10
	v_ffbh_u32_e32 v14, v18
	v_min_u32_e32 v20, 32, v14
	v_subrev_u32_e32 v14, 28, v20
	v_lshlrev_b64 v[14:15], v14, v[10:11]
	v_and_b32_e32 v14, 7, v14
	v_cmp_gt_u32_e32 vcc, 8, v11
	v_lshrrev_b32_e32 v19, 3, v11
	v_sub_u32_e32 v10, 29, v20
	v_cndmask_b32_e32 v11, v18, v14, vcc
	v_mov_b32_e32 v14, 24
	v_cndmask_b32_e32 v10, v19, v10, vcc
	v_lshlrev_b32_sdwa v14, v14, v12 dst_sel:DWORD dst_unused:UNUSED_PAD src0_sel:DWORD src1_sel:WORD_1
	v_bfrev_b32_e32 v15, 60
	v_lshlrev_b32_e32 v11, 20, v11
	v_and_b32_e32 v14, 0x80000000, v14
	v_lshl_add_u32 v10, v10, 23, v15
	v_or3_b32 v15, v14, v10, v11
.LBB527_654:
	s_or_b64 exec, exec, s[24:25]
.LBB527_655:
	s_or_b64 exec, exec, s[14:15]
.LBB527_656:
	s_or_b64 exec, exec, s[12:13]
	s_mov_b32 s11, 0xffffff
	v_cmp_lt_u32_e32 vcc, s11, v12
	v_mov_b32_e32 v11, 0
	v_mov_b32_e32 v18, 0
	s_and_saveexec_b64 s[12:13], vcc
	s_cbranch_execz .LBB527_662
; %bb.657:
	v_lshrrev_b32_e32 v10, 24, v12
	s_movk_i32 s11, 0x80
	v_cmp_ne_u32_e32 vcc, s11, v10
	v_bfrev_b32_e32 v18, 1
	s_and_saveexec_b64 s[14:15], vcc
	s_cbranch_execz .LBB527_661
; %bb.658:
	v_bfe_u32 v14, v12, 24, 7
	s_movk_i32 s11, 0x7f
	v_cmp_ne_u32_e32 vcc, s11, v14
	v_mov_b32_e32 v18, 0x7f800001
	s_and_saveexec_b64 s[24:25], vcc
	s_cbranch_execz .LBB527_660
; %bb.659:
	v_and_b32_e32 v20, 7, v10
	v_ffbh_u32_e32 v18, v20
	v_min_u32_e32 v22, 32, v18
	v_subrev_u32_e32 v18, 28, v22
	v_lshlrev_b64 v[18:19], v18, v[10:11]
	v_lshrrev_b32_e32 v21, 3, v14
	v_sub_u32_e32 v19, 29, v22
	v_and_b32_e32 v18, 7, v18
	v_cmp_gt_u32_e32 vcc, 8, v14
	v_cndmask_b32_e32 v14, v21, v19, vcc
	v_cndmask_b32_e32 v18, v20, v18, vcc
	v_lshlrev_b32_e32 v10, 24, v10
	v_bfrev_b32_e32 v19, 60
	v_lshlrev_b32_e32 v18, 20, v18
	v_and_b32_e32 v10, 0x80000000, v10
	v_lshl_add_u32 v14, v14, 23, v19
	v_or3_b32 v18, v10, v14, v18
.LBB527_660:
	s_or_b64 exec, exec, s[24:25]
.LBB527_661:
	s_or_b64 exec, exec, s[14:15]
.LBB527_662:
	s_or_b64 exec, exec, s[12:13]
	v_mov_b32_e32 v10, v13
	v_cmp_ne_u16_sdwa s[14:15], v13, v11 src0_sel:BYTE_0 src1_sel:DWORD
	s_and_saveexec_b64 s[12:13], s[14:15]
	s_cbranch_execz .LBB527_668
; %bb.663:
	s_movk_i32 s11, 0x80
	v_cmp_ne_u16_sdwa s[24:25], v13, s11 src0_sel:BYTE_0 src1_sel:DWORD
	v_bfrev_b32_e32 v14, 1
	s_and_saveexec_b64 s[14:15], s[24:25]
	s_cbranch_execz .LBB527_667
; %bb.664:
	s_movk_i32 s11, 0x7f
	v_and_b32_e32 v19, 0x7f, v13
	v_cmp_ne_u32_e32 vcc, s11, v19
	v_mov_b32_e32 v14, 0x7f800001
	s_and_saveexec_b64 s[24:25], vcc
	s_cbranch_execz .LBB527_666
; %bb.665:
	v_and_b32_e32 v14, 7, v13
	v_ffbh_u32_e32 v14, v14
	v_min_u32_e32 v14, 32, v14
	v_subrev_u32_e32 v21, 28, v14
	v_cmp_gt_u32_e32 vcc, 8, v19
	v_lshrrev_b32_e32 v20, 3, v19
	v_sub_u32_e32 v14, 29, v14
	v_cndmask_b32_e32 v19, 0, v21, vcc
	v_cndmask_b32_e32 v14, v20, v14, vcc
	v_lshlrev_b64 v[20:21], v19, v[10:11]
	v_lshlrev_b32_e32 v11, 20, v20
	v_lshlrev_b32_e32 v19, 24, v10
	v_bfrev_b32_e32 v20, 60
	v_and_b32_e32 v11, 0x700000, v11
	v_and_b32_e32 v19, 0x80000000, v19
	v_lshl_add_u32 v14, v14, 23, v20
	v_or3_b32 v14, v19, v14, v11
.LBB527_666:
	s_or_b64 exec, exec, s[24:25]
.LBB527_667:
	s_or_b64 exec, exec, s[14:15]
	v_mov_b32_e32 v11, v14
.LBB527_668:
	s_or_b64 exec, exec, s[12:13]
	v_lshrrev_b16_e32 v14, 8, v10
	v_cmp_ne_u16_e32 vcc, 0, v14
	v_mov_b32_e32 v19, 0
	v_mov_b32_e32 v20, 0
	s_and_saveexec_b64 s[12:13], vcc
	s_cbranch_execz .LBB527_674
; %bb.669:
	s_movk_i32 s11, 0x80
	v_cmp_ne_u16_e32 vcc, s11, v14
	v_bfrev_b32_e32 v20, 1
	s_and_saveexec_b64 s[14:15], vcc
	s_cbranch_execz .LBB527_673
; %bb.670:
	s_movk_i32 s11, 0x7f
	v_and_b32_e32 v21, 0x7f, v14
	v_cmp_ne_u32_e32 vcc, s11, v21
	v_mov_b32_e32 v20, 0x7f800001
	s_and_saveexec_b64 s[24:25], vcc
	s_cbranch_execz .LBB527_672
; %bb.671:
	v_and_b32_e32 v20, 7, v14
	v_ffbh_u32_e32 v22, v20
	v_min_u32_e32 v25, 32, v22
	v_subrev_u32_e32 v22, 28, v25
	v_lshlrev_b64 v[22:23], v22, v[14:15]
	v_lshrrev_b32_e32 v24, 3, v21
	v_sub_u32_e32 v14, 29, v25
	v_and_b32_e32 v22, 7, v22
	v_cmp_gt_u32_e32 vcc, 8, v21
	v_cndmask_b32_e32 v14, v24, v14, vcc
	v_cndmask_b32_e32 v20, v20, v22, vcc
	v_lshlrev_b32_e32 v10, 16, v10
	v_bfrev_b32_e32 v21, 60
	v_lshlrev_b32_e32 v20, 20, v20
	v_and_b32_e32 v10, 0x80000000, v10
	v_lshl_add_u32 v14, v14, 23, v21
	v_or3_b32 v20, v10, v14, v20
.LBB527_672:
	s_or_b64 exec, exec, s[24:25]
.LBB527_673:
	s_or_b64 exec, exec, s[14:15]
.LBB527_674:
	s_or_b64 exec, exec, s[12:13]
	s_movk_i32 s11, 0xff
	v_and_b32_sdwa v14, v13, s11 dst_sel:DWORD dst_unused:UNUSED_PAD src0_sel:WORD_1 src1_sel:DWORD
	v_lshrrev_b32_e32 v10, 16, v13
	v_cmp_ne_u16_e32 vcc, 0, v14
	s_and_saveexec_b64 s[12:13], vcc
	s_cbranch_execz .LBB527_680
; %bb.675:
	s_movk_i32 s11, 0x80
	v_cmp_ne_u16_e32 vcc, s11, v14
	v_bfrev_b32_e32 v19, 1
	s_and_saveexec_b64 s[14:15], vcc
	s_cbranch_execz .LBB527_679
; %bb.676:
	v_bfe_u32 v14, v13, 16, 7
	s_movk_i32 s11, 0x7f
	v_cmp_ne_u32_e32 vcc, s11, v14
	v_mov_b32_e32 v19, 0x7f800001
	s_and_saveexec_b64 s[24:25], vcc
	s_cbranch_execz .LBB527_678
; %bb.677:
	v_and_b32_e32 v19, 7, v10
	v_ffbh_u32_e32 v22, v19
	v_min_u32_e32 v24, 32, v22
	v_subrev_u32_e32 v22, 28, v24
	v_lshlrev_b64 v[22:23], v22, v[10:11]
	v_and_b32_e32 v22, 7, v22
	v_cmp_gt_u32_e32 vcc, 8, v14
	v_lshrrev_b32_e32 v21, 3, v14
	v_sub_u32_e32 v10, 29, v24
	v_cndmask_b32_e32 v14, v19, v22, vcc
	v_mov_b32_e32 v19, 24
	v_cndmask_b32_e32 v10, v21, v10, vcc
	v_lshlrev_b32_sdwa v19, v19, v13 dst_sel:DWORD dst_unused:UNUSED_PAD src0_sel:DWORD src1_sel:WORD_1
	v_bfrev_b32_e32 v21, 60
	v_lshlrev_b32_e32 v14, 20, v14
	v_and_b32_e32 v19, 0x80000000, v19
	v_lshl_add_u32 v10, v10, 23, v21
	v_or3_b32 v19, v19, v10, v14
.LBB527_678:
	s_or_b64 exec, exec, s[24:25]
.LBB527_679:
	s_or_b64 exec, exec, s[14:15]
.LBB527_680:
	s_or_b64 exec, exec, s[12:13]
	s_mov_b32 s12, -1
	s_mov_b32 s13, 0xffffff
	v_cmp_lt_u64_e32 vcc, s[12:13], v[12:13]
	v_mov_b32_e32 v14, 0
	v_mov_b32_e32 v12, 0
	s_and_saveexec_b64 s[12:13], vcc
	s_cbranch_execz .LBB527_686
; %bb.681:
	v_lshrrev_b32_e32 v10, 24, v13
	s_movk_i32 s11, 0x80
	v_cmp_ne_u32_e32 vcc, s11, v10
	v_bfrev_b32_e32 v12, 1
	s_and_saveexec_b64 s[14:15], vcc
	s_cbranch_execz .LBB527_685
; %bb.682:
	v_bfe_u32 v13, v13, 24, 7
	s_movk_i32 s11, 0x7f
	v_cmp_ne_u32_e32 vcc, s11, v13
	v_mov_b32_e32 v12, 0x7f800001
	s_and_saveexec_b64 s[24:25], vcc
	s_cbranch_execz .LBB527_684
; %bb.683:
	v_and_b32_e32 v12, 7, v10
	v_ffbh_u32_e32 v22, v12
	v_min_u32_e32 v24, 32, v22
	v_subrev_u32_e32 v22, 28, v24
	v_lshlrev_b64 v[22:23], v22, v[10:11]
	v_lshrrev_b32_e32 v21, 3, v13
	v_sub_u32_e32 v23, 29, v24
	v_and_b32_e32 v22, 7, v22
	v_cmp_gt_u32_e32 vcc, 8, v13
	v_cndmask_b32_e32 v13, v21, v23, vcc
	v_cndmask_b32_e32 v12, v12, v22, vcc
	v_lshlrev_b32_e32 v10, 24, v10
	v_bfrev_b32_e32 v21, 60
	v_lshlrev_b32_e32 v12, 20, v12
	v_and_b32_e32 v10, 0x80000000, v10
	v_lshl_add_u32 v13, v13, 23, v21
	v_or3_b32 v12, v10, v13, v12
.LBB527_684:
	s_or_b64 exec, exec, s[24:25]
.LBB527_685:
	s_or_b64 exec, exec, s[14:15]
.LBB527_686:
	s_or_b64 exec, exec, s[12:13]
	v_cvt_pkrtz_f16_f32 v16, v16, v17
	v_cvt_pkrtz_f16_f32 v17, v15, v18
	;; [unrolled: 1-line block ×4, first 2 shown]
	v_mfma_f32_4x4x4f16 a[0:3], v[2:3], v[16:17], a[0:3] cbsz:4 abid:13
	s_waitcnt vmcnt(24)
	v_cmp_ne_u16_sdwa s[14:15], v6, v14 src0_sel:BYTE_0 src1_sel:DWORD
	v_mfma_f32_4x4x4f16 a[0:3], v[4:5], v[10:11], a[0:3] cbsz:4 abid:13
	s_and_saveexec_b64 s[12:13], s[14:15]
	s_cbranch_execz .LBB527_692
; %bb.687:
	s_movk_i32 s11, 0x80
	v_cmp_ne_u16_sdwa s[24:25], v6, s11 src0_sel:BYTE_0 src1_sel:DWORD
	v_bfrev_b32_e32 v14, 1
	s_and_saveexec_b64 s[14:15], s[24:25]
	s_cbranch_execz .LBB527_691
; %bb.688:
	s_movk_i32 s11, 0x7f
	v_and_b32_e32 v10, 0x7f, v6
	v_cmp_ne_u32_e32 vcc, s11, v10
	v_mov_b32_e32 v14, 0x7f800001
	s_and_saveexec_b64 s[24:25], vcc
	s_cbranch_execz .LBB527_690
; %bb.689:
	v_and_b32_e32 v11, 7, v6
	v_ffbh_u32_e32 v11, v11
	v_min_u32_e32 v11, 32, v11
	v_subrev_u32_e32 v13, 28, v11
	v_cmp_gt_u32_e32 vcc, 8, v10
	v_lshrrev_b32_e32 v12, 3, v10
	v_sub_u32_e32 v11, 29, v11
	v_cndmask_b32_e32 v10, 0, v13, vcc
	v_cndmask_b32_e32 v12, v12, v11, vcc
	v_lshlrev_b64 v[10:11], v10, v[6:7]
	v_lshlrev_b32_e32 v10, 20, v10
	v_lshlrev_b32_e32 v11, 24, v6
	v_bfrev_b32_e32 v13, 60
	v_and_b32_e32 v10, 0x700000, v10
	v_and_b32_e32 v11, 0x80000000, v11
	v_lshl_add_u32 v12, v12, 23, v13
	v_or3_b32 v14, v11, v12, v10
.LBB527_690:
	s_or_b64 exec, exec, s[24:25]
.LBB527_691:
	s_or_b64 exec, exec, s[14:15]
.LBB527_692:
	s_or_b64 exec, exec, s[12:13]
	v_lshrrev_b16_e32 v10, 8, v6
	v_cmp_ne_u16_e32 vcc, 0, v10
	v_mov_b32_e32 v13, 0
	v_mov_b32_e32 v15, 0
	s_and_saveexec_b64 s[12:13], vcc
	s_cbranch_execz .LBB527_698
; %bb.693:
	s_movk_i32 s11, 0x80
	v_cmp_ne_u16_e32 vcc, s11, v10
	v_bfrev_b32_e32 v15, 1
	s_and_saveexec_b64 s[14:15], vcc
	s_cbranch_execz .LBB527_697
; %bb.694:
	s_movk_i32 s11, 0x7f
	v_and_b32_e32 v11, 0x7f, v10
	v_cmp_ne_u32_e32 vcc, s11, v11
	v_mov_b32_e32 v15, 0x7f800001
	s_and_saveexec_b64 s[24:25], vcc
	s_cbranch_execz .LBB527_696
; %bb.695:
	v_and_b32_e32 v12, 7, v10
	v_ffbh_u32_e32 v16, v12
	v_min_u32_e32 v18, 32, v16
	v_subrev_u32_e32 v16, 28, v18
	v_lshlrev_b64 v[16:17], v16, v[10:11]
	v_lshrrev_b32_e32 v15, 3, v11
	v_sub_u32_e32 v10, 29, v18
	v_and_b32_e32 v16, 7, v16
	v_cmp_gt_u32_e32 vcc, 8, v11
	v_cndmask_b32_e32 v10, v15, v10, vcc
	v_cndmask_b32_e32 v11, v12, v16, vcc
	v_lshlrev_b32_e32 v12, 16, v6
	v_bfrev_b32_e32 v15, 60
	v_lshlrev_b32_e32 v11, 20, v11
	v_and_b32_e32 v12, 0x80000000, v12
	v_lshl_add_u32 v10, v10, 23, v15
	v_or3_b32 v15, v12, v10, v11
.LBB527_696:
	s_or_b64 exec, exec, s[24:25]
.LBB527_697:
	s_or_b64 exec, exec, s[14:15]
.LBB527_698:
	s_or_b64 exec, exec, s[12:13]
	s_movk_i32 s11, 0xff
	v_and_b32_sdwa v11, v6, s11 dst_sel:DWORD dst_unused:UNUSED_PAD src0_sel:WORD_1 src1_sel:DWORD
	v_lshrrev_b32_e32 v10, 16, v6
	v_cmp_ne_u16_e32 vcc, 0, v11
	s_and_saveexec_b64 s[12:13], vcc
	s_cbranch_execz .LBB527_704
; %bb.699:
	s_movk_i32 s11, 0x80
	v_cmp_ne_u16_e32 vcc, s11, v11
	v_bfrev_b32_e32 v13, 1
	s_and_saveexec_b64 s[14:15], vcc
	s_cbranch_execz .LBB527_703
; %bb.700:
	v_bfe_u32 v11, v6, 16, 7
	s_movk_i32 s11, 0x7f
	v_cmp_ne_u32_e32 vcc, s11, v11
	v_mov_b32_e32 v13, 0x7f800001
	s_and_saveexec_b64 s[24:25], vcc
	s_cbranch_execz .LBB527_702
; %bb.701:
	v_and_b32_e32 v16, 7, v10
	v_ffbh_u32_e32 v12, v16
	v_min_u32_e32 v18, 32, v12
	v_subrev_u32_e32 v12, 28, v18
	v_lshlrev_b64 v[12:13], v12, v[10:11]
	v_and_b32_e32 v12, 7, v12
	v_cmp_gt_u32_e32 vcc, 8, v11
	v_lshrrev_b32_e32 v17, 3, v11
	v_sub_u32_e32 v10, 29, v18
	v_cndmask_b32_e32 v11, v16, v12, vcc
	v_mov_b32_e32 v12, 24
	v_cndmask_b32_e32 v10, v17, v10, vcc
	v_lshlrev_b32_sdwa v12, v12, v6 dst_sel:DWORD dst_unused:UNUSED_PAD src0_sel:DWORD src1_sel:WORD_1
	v_bfrev_b32_e32 v13, 60
	v_lshlrev_b32_e32 v11, 20, v11
	v_and_b32_e32 v12, 0x80000000, v12
	v_lshl_add_u32 v10, v10, 23, v13
	v_or3_b32 v13, v12, v10, v11
.LBB527_702:
	s_or_b64 exec, exec, s[24:25]
.LBB527_703:
	s_or_b64 exec, exec, s[14:15]
.LBB527_704:
	s_or_b64 exec, exec, s[12:13]
	s_mov_b32 s11, 0xffffff
	v_cmp_lt_u32_e32 vcc, s11, v6
	v_mov_b32_e32 v11, 0
	v_mov_b32_e32 v16, 0
	s_and_saveexec_b64 s[12:13], vcc
	s_cbranch_execz .LBB527_710
; %bb.705:
	v_lshrrev_b32_e32 v10, 24, v6
	s_movk_i32 s11, 0x80
	v_cmp_ne_u32_e32 vcc, s11, v10
	v_bfrev_b32_e32 v16, 1
	s_and_saveexec_b64 s[14:15], vcc
	s_cbranch_execz .LBB527_709
; %bb.706:
	v_bfe_u32 v12, v6, 24, 7
	s_movk_i32 s11, 0x7f
	v_cmp_ne_u32_e32 vcc, s11, v12
	v_mov_b32_e32 v16, 0x7f800001
	s_and_saveexec_b64 s[24:25], vcc
	s_cbranch_execz .LBB527_708
; %bb.707:
	v_and_b32_e32 v18, 7, v10
	v_ffbh_u32_e32 v16, v18
	v_min_u32_e32 v20, 32, v16
	v_subrev_u32_e32 v16, 28, v20
	v_lshlrev_b64 v[16:17], v16, v[10:11]
	v_lshrrev_b32_e32 v19, 3, v12
	v_sub_u32_e32 v17, 29, v20
	v_and_b32_e32 v16, 7, v16
	v_cmp_gt_u32_e32 vcc, 8, v12
	v_cndmask_b32_e32 v12, v19, v17, vcc
	v_cndmask_b32_e32 v16, v18, v16, vcc
	v_lshlrev_b32_e32 v10, 24, v10
	v_bfrev_b32_e32 v17, 60
	v_lshlrev_b32_e32 v16, 20, v16
	v_and_b32_e32 v10, 0x80000000, v10
	v_lshl_add_u32 v12, v12, 23, v17
	v_or3_b32 v16, v10, v12, v16
.LBB527_708:
	s_or_b64 exec, exec, s[24:25]
.LBB527_709:
	s_or_b64 exec, exec, s[14:15]
.LBB527_710:
	s_or_b64 exec, exec, s[12:13]
	v_mov_b32_e32 v10, v7
	v_cmp_ne_u16_sdwa s[14:15], v7, v11 src0_sel:BYTE_0 src1_sel:DWORD
	s_and_saveexec_b64 s[12:13], s[14:15]
	s_cbranch_execz .LBB527_716
; %bb.711:
	s_movk_i32 s11, 0x80
	v_cmp_ne_u16_sdwa s[24:25], v7, s11 src0_sel:BYTE_0 src1_sel:DWORD
	v_bfrev_b32_e32 v12, 1
	s_and_saveexec_b64 s[14:15], s[24:25]
	s_cbranch_execz .LBB527_715
; %bb.712:
	s_movk_i32 s11, 0x7f
	v_and_b32_e32 v17, 0x7f, v7
	v_cmp_ne_u32_e32 vcc, s11, v17
	v_mov_b32_e32 v12, 0x7f800001
	s_and_saveexec_b64 s[24:25], vcc
	s_cbranch_execz .LBB527_714
; %bb.713:
	v_and_b32_e32 v12, 7, v7
	v_ffbh_u32_e32 v12, v12
	v_min_u32_e32 v12, 32, v12
	v_subrev_u32_e32 v19, 28, v12
	v_cmp_gt_u32_e32 vcc, 8, v17
	v_lshrrev_b32_e32 v18, 3, v17
	v_sub_u32_e32 v12, 29, v12
	v_cndmask_b32_e32 v17, 0, v19, vcc
	v_cndmask_b32_e32 v12, v18, v12, vcc
	v_lshlrev_b64 v[18:19], v17, v[10:11]
	v_lshlrev_b32_e32 v11, 20, v18
	v_lshlrev_b32_e32 v17, 24, v10
	v_bfrev_b32_e32 v18, 60
	v_and_b32_e32 v11, 0x700000, v11
	v_and_b32_e32 v17, 0x80000000, v17
	v_lshl_add_u32 v12, v12, 23, v18
	v_or3_b32 v12, v17, v12, v11
.LBB527_714:
	s_or_b64 exec, exec, s[24:25]
.LBB527_715:
	s_or_b64 exec, exec, s[14:15]
	v_mov_b32_e32 v11, v12
.LBB527_716:
	s_or_b64 exec, exec, s[12:13]
	v_lshrrev_b16_e32 v12, 8, v10
	v_cmp_ne_u16_e32 vcc, 0, v12
	v_mov_b32_e32 v17, 0
	v_mov_b32_e32 v18, 0
	s_and_saveexec_b64 s[12:13], vcc
	s_cbranch_execz .LBB527_722
; %bb.717:
	s_movk_i32 s11, 0x80
	v_cmp_ne_u16_e32 vcc, s11, v12
	v_bfrev_b32_e32 v18, 1
	s_and_saveexec_b64 s[14:15], vcc
	s_cbranch_execz .LBB527_721
; %bb.718:
	s_movk_i32 s11, 0x7f
	v_and_b32_e32 v19, 0x7f, v12
	v_cmp_ne_u32_e32 vcc, s11, v19
	v_mov_b32_e32 v18, 0x7f800001
	s_and_saveexec_b64 s[24:25], vcc
	s_cbranch_execz .LBB527_720
; %bb.719:
	v_and_b32_e32 v18, 7, v12
	v_ffbh_u32_e32 v20, v18
	v_min_u32_e32 v23, 32, v20
	v_subrev_u32_e32 v20, 28, v23
	v_lshlrev_b64 v[20:21], v20, v[12:13]
	v_lshrrev_b32_e32 v22, 3, v19
	v_sub_u32_e32 v12, 29, v23
	v_and_b32_e32 v20, 7, v20
	v_cmp_gt_u32_e32 vcc, 8, v19
	v_cndmask_b32_e32 v12, v22, v12, vcc
	v_cndmask_b32_e32 v18, v18, v20, vcc
	v_lshlrev_b32_e32 v10, 16, v10
	v_bfrev_b32_e32 v19, 60
	v_lshlrev_b32_e32 v18, 20, v18
	v_and_b32_e32 v10, 0x80000000, v10
	v_lshl_add_u32 v12, v12, 23, v19
	v_or3_b32 v18, v10, v12, v18
.LBB527_720:
	s_or_b64 exec, exec, s[24:25]
.LBB527_721:
	s_or_b64 exec, exec, s[14:15]
.LBB527_722:
	s_or_b64 exec, exec, s[12:13]
	s_movk_i32 s11, 0xff
	v_and_b32_sdwa v12, v7, s11 dst_sel:DWORD dst_unused:UNUSED_PAD src0_sel:WORD_1 src1_sel:DWORD
	v_lshrrev_b32_e32 v10, 16, v7
	v_cmp_ne_u16_e32 vcc, 0, v12
	s_and_saveexec_b64 s[12:13], vcc
	s_cbranch_execz .LBB527_728
; %bb.723:
	s_movk_i32 s11, 0x80
	v_cmp_ne_u16_e32 vcc, s11, v12
	v_bfrev_b32_e32 v17, 1
	s_and_saveexec_b64 s[14:15], vcc
	s_cbranch_execz .LBB527_727
; %bb.724:
	v_bfe_u32 v12, v7, 16, 7
	s_movk_i32 s11, 0x7f
	v_cmp_ne_u32_e32 vcc, s11, v12
	v_mov_b32_e32 v17, 0x7f800001
	s_and_saveexec_b64 s[24:25], vcc
	s_cbranch_execz .LBB527_726
; %bb.725:
	v_and_b32_e32 v17, 7, v10
	v_ffbh_u32_e32 v20, v17
	v_min_u32_e32 v22, 32, v20
	v_subrev_u32_e32 v20, 28, v22
	v_lshlrev_b64 v[20:21], v20, v[10:11]
	v_and_b32_e32 v20, 7, v20
	v_cmp_gt_u32_e32 vcc, 8, v12
	v_lshrrev_b32_e32 v19, 3, v12
	v_sub_u32_e32 v10, 29, v22
	v_cndmask_b32_e32 v12, v17, v20, vcc
	v_mov_b32_e32 v17, 24
	v_cndmask_b32_e32 v10, v19, v10, vcc
	v_lshlrev_b32_sdwa v17, v17, v7 dst_sel:DWORD dst_unused:UNUSED_PAD src0_sel:DWORD src1_sel:WORD_1
	v_bfrev_b32_e32 v19, 60
	v_lshlrev_b32_e32 v12, 20, v12
	v_and_b32_e32 v17, 0x80000000, v17
	v_lshl_add_u32 v10, v10, 23, v19
	v_or3_b32 v17, v17, v10, v12
.LBB527_726:
	s_or_b64 exec, exec, s[24:25]
.LBB527_727:
	s_or_b64 exec, exec, s[14:15]
.LBB527_728:
	s_or_b64 exec, exec, s[12:13]
	s_mov_b32 s12, -1
	s_mov_b32 s13, 0xffffff
	v_cmp_lt_u64_e32 vcc, s[12:13], v[6:7]
	v_mov_b32_e32 v12, 0
	v_mov_b32_e32 v10, 0
	s_and_saveexec_b64 s[12:13], vcc
	s_cbranch_execz .LBB527_734
; %bb.729:
	v_lshrrev_b32_e32 v6, 24, v7
	s_movk_i32 s11, 0x80
	v_cmp_ne_u32_e32 vcc, s11, v6
	v_bfrev_b32_e32 v10, 1
	s_and_saveexec_b64 s[14:15], vcc
	s_cbranch_execz .LBB527_733
; %bb.730:
	v_bfe_u32 v7, v7, 24, 7
	s_movk_i32 s11, 0x7f
	v_cmp_ne_u32_e32 vcc, s11, v7
	v_mov_b32_e32 v10, 0x7f800001
	s_and_saveexec_b64 s[24:25], vcc
	s_cbranch_execz .LBB527_732
; %bb.731:
	v_and_b32_e32 v10, 7, v6
	v_ffbh_u32_e32 v20, v10
	v_min_u32_e32 v22, 32, v20
	v_subrev_u32_e32 v20, 28, v22
	v_lshlrev_b64 v[20:21], v20, v[6:7]
	v_lshrrev_b32_e32 v19, 3, v7
	v_sub_u32_e32 v21, 29, v22
	v_and_b32_e32 v20, 7, v20
	v_cmp_gt_u32_e32 vcc, 8, v7
	v_cndmask_b32_e32 v7, v19, v21, vcc
	v_cndmask_b32_e32 v10, v10, v20, vcc
	v_lshlrev_b32_e32 v6, 24, v6
	v_bfrev_b32_e32 v19, 60
	v_lshlrev_b32_e32 v10, 20, v10
	v_and_b32_e32 v6, 0x80000000, v6
	v_lshl_add_u32 v7, v7, 23, v19
	v_or3_b32 v10, v6, v7, v10
.LBB527_732:
	s_or_b64 exec, exec, s[24:25]
.LBB527_733:
	s_or_b64 exec, exec, s[14:15]
.LBB527_734:
	s_or_b64 exec, exec, s[12:13]
	v_cvt_pkrtz_f16_f32 v6, v14, v15
	v_cvt_pkrtz_f16_f32 v7, v13, v16
	;; [unrolled: 1-line block ×4, first 2 shown]
	v_mfma_f32_4x4x4f16 a[0:3], v[2:3], v[6:7], a[0:3] cbsz:4 abid:14
	v_cmp_ne_u16_sdwa s[14:15], v8, v12 src0_sel:BYTE_0 src1_sel:DWORD
	v_mfma_f32_4x4x4f16 a[0:3], v[4:5], v[14:15], a[0:3] cbsz:4 abid:14
	s_and_saveexec_b64 s[12:13], s[14:15]
	s_cbranch_execz .LBB527_740
; %bb.735:
	s_movk_i32 s11, 0x80
	v_cmp_ne_u16_sdwa s[24:25], v8, s11 src0_sel:BYTE_0 src1_sel:DWORD
	v_bfrev_b32_e32 v12, 1
	s_and_saveexec_b64 s[14:15], s[24:25]
	s_cbranch_execz .LBB527_739
; %bb.736:
	s_movk_i32 s11, 0x7f
	v_and_b32_e32 v6, 0x7f, v8
	v_cmp_ne_u32_e32 vcc, s11, v6
	v_mov_b32_e32 v12, 0x7f800001
	s_and_saveexec_b64 s[24:25], vcc
	s_cbranch_execz .LBB527_738
; %bb.737:
	v_and_b32_e32 v7, 7, v8
	v_ffbh_u32_e32 v7, v7
	v_min_u32_e32 v7, 32, v7
	v_subrev_u32_e32 v11, 28, v7
	v_cmp_gt_u32_e32 vcc, 8, v6
	v_lshrrev_b32_e32 v10, 3, v6
	v_sub_u32_e32 v7, 29, v7
	v_cndmask_b32_e32 v6, 0, v11, vcc
	v_cndmask_b32_e32 v10, v10, v7, vcc
	v_lshlrev_b64 v[6:7], v6, v[8:9]
	v_lshlrev_b32_e32 v6, 20, v6
	v_lshlrev_b32_e32 v7, 24, v8
	v_bfrev_b32_e32 v11, 60
	v_and_b32_e32 v6, 0x700000, v6
	v_and_b32_e32 v7, 0x80000000, v7
	v_lshl_add_u32 v10, v10, 23, v11
	v_or3_b32 v12, v7, v10, v6
.LBB527_738:
	s_or_b64 exec, exec, s[24:25]
.LBB527_739:
	s_or_b64 exec, exec, s[14:15]
.LBB527_740:
	s_or_b64 exec, exec, s[12:13]
	v_lshrrev_b16_e32 v6, 8, v8
	v_cmp_ne_u16_e32 vcc, 0, v6
	v_mov_b32_e32 v11, 0
	v_mov_b32_e32 v13, 0
	s_and_saveexec_b64 s[12:13], vcc
	s_cbranch_execz .LBB527_746
; %bb.741:
	s_movk_i32 s11, 0x80
	v_cmp_ne_u16_e32 vcc, s11, v6
	v_bfrev_b32_e32 v13, 1
	s_and_saveexec_b64 s[14:15], vcc
	s_cbranch_execz .LBB527_745
; %bb.742:
	s_movk_i32 s11, 0x7f
	v_and_b32_e32 v7, 0x7f, v6
	v_cmp_ne_u32_e32 vcc, s11, v7
	v_mov_b32_e32 v13, 0x7f800001
	s_and_saveexec_b64 s[24:25], vcc
	s_cbranch_execz .LBB527_744
; %bb.743:
	v_and_b32_e32 v10, 7, v6
	v_ffbh_u32_e32 v14, v10
	v_min_u32_e32 v16, 32, v14
	v_subrev_u32_e32 v14, 28, v16
	v_lshlrev_b64 v[14:15], v14, v[6:7]
	v_lshrrev_b32_e32 v13, 3, v7
	v_sub_u32_e32 v6, 29, v16
	v_and_b32_e32 v14, 7, v14
	v_cmp_gt_u32_e32 vcc, 8, v7
	v_cndmask_b32_e32 v6, v13, v6, vcc
	v_cndmask_b32_e32 v7, v10, v14, vcc
	v_lshlrev_b32_e32 v10, 16, v8
	v_bfrev_b32_e32 v13, 60
	v_lshlrev_b32_e32 v7, 20, v7
	v_and_b32_e32 v10, 0x80000000, v10
	v_lshl_add_u32 v6, v6, 23, v13
	v_or3_b32 v13, v10, v6, v7
.LBB527_744:
	s_or_b64 exec, exec, s[24:25]
.LBB527_745:
	s_or_b64 exec, exec, s[14:15]
.LBB527_746:
	s_or_b64 exec, exec, s[12:13]
	s_movk_i32 s11, 0xff
	v_and_b32_sdwa v7, v8, s11 dst_sel:DWORD dst_unused:UNUSED_PAD src0_sel:WORD_1 src1_sel:DWORD
	v_lshrrev_b32_e32 v6, 16, v8
	v_cmp_ne_u16_e32 vcc, 0, v7
	s_and_saveexec_b64 s[12:13], vcc
	s_cbranch_execz .LBB527_752
; %bb.747:
	s_movk_i32 s11, 0x80
	v_cmp_ne_u16_e32 vcc, s11, v7
	v_bfrev_b32_e32 v11, 1
	s_and_saveexec_b64 s[14:15], vcc
	s_cbranch_execz .LBB527_751
; %bb.748:
	v_bfe_u32 v7, v8, 16, 7
	s_movk_i32 s11, 0x7f
	v_cmp_ne_u32_e32 vcc, s11, v7
	v_mov_b32_e32 v11, 0x7f800001
	s_and_saveexec_b64 s[24:25], vcc
	s_cbranch_execz .LBB527_750
; %bb.749:
	v_and_b32_e32 v14, 7, v6
	v_ffbh_u32_e32 v10, v14
	v_min_u32_e32 v16, 32, v10
	v_subrev_u32_e32 v10, 28, v16
	v_lshlrev_b64 v[10:11], v10, v[6:7]
	v_and_b32_e32 v10, 7, v10
	v_cmp_gt_u32_e32 vcc, 8, v7
	v_lshrrev_b32_e32 v15, 3, v7
	v_sub_u32_e32 v6, 29, v16
	v_cndmask_b32_e32 v7, v14, v10, vcc
	v_mov_b32_e32 v10, 24
	v_cndmask_b32_e32 v6, v15, v6, vcc
	v_lshlrev_b32_sdwa v10, v10, v8 dst_sel:DWORD dst_unused:UNUSED_PAD src0_sel:DWORD src1_sel:WORD_1
	v_bfrev_b32_e32 v11, 60
	v_lshlrev_b32_e32 v7, 20, v7
	v_and_b32_e32 v10, 0x80000000, v10
	v_lshl_add_u32 v6, v6, 23, v11
	v_or3_b32 v11, v10, v6, v7
.LBB527_750:
	s_or_b64 exec, exec, s[24:25]
.LBB527_751:
	s_or_b64 exec, exec, s[14:15]
.LBB527_752:
	s_or_b64 exec, exec, s[12:13]
	s_mov_b32 s11, 0xffffff
	v_cmp_lt_u32_e32 vcc, s11, v8
	v_mov_b32_e32 v7, 0
	v_mov_b32_e32 v14, 0
	s_and_saveexec_b64 s[12:13], vcc
	s_cbranch_execz .LBB527_758
; %bb.753:
	v_lshrrev_b32_e32 v6, 24, v8
	s_movk_i32 s11, 0x80
	v_cmp_ne_u32_e32 vcc, s11, v6
	v_bfrev_b32_e32 v14, 1
	s_and_saveexec_b64 s[14:15], vcc
	s_cbranch_execz .LBB527_757
; %bb.754:
	v_bfe_u32 v10, v8, 24, 7
	s_movk_i32 s11, 0x7f
	v_cmp_ne_u32_e32 vcc, s11, v10
	v_mov_b32_e32 v14, 0x7f800001
	s_and_saveexec_b64 s[24:25], vcc
	s_cbranch_execz .LBB527_756
; %bb.755:
	v_and_b32_e32 v16, 7, v6
	v_ffbh_u32_e32 v14, v16
	v_min_u32_e32 v18, 32, v14
	v_subrev_u32_e32 v14, 28, v18
	v_lshlrev_b64 v[14:15], v14, v[6:7]
	v_lshrrev_b32_e32 v17, 3, v10
	v_sub_u32_e32 v15, 29, v18
	v_and_b32_e32 v14, 7, v14
	v_cmp_gt_u32_e32 vcc, 8, v10
	v_cndmask_b32_e32 v10, v17, v15, vcc
	v_cndmask_b32_e32 v14, v16, v14, vcc
	v_lshlrev_b32_e32 v6, 24, v6
	v_bfrev_b32_e32 v15, 60
	v_lshlrev_b32_e32 v14, 20, v14
	v_and_b32_e32 v6, 0x80000000, v6
	v_lshl_add_u32 v10, v10, 23, v15
	v_or3_b32 v14, v6, v10, v14
.LBB527_756:
	s_or_b64 exec, exec, s[24:25]
.LBB527_757:
	s_or_b64 exec, exec, s[14:15]
.LBB527_758:
	s_or_b64 exec, exec, s[12:13]
	v_mov_b32_e32 v6, v9
	v_cmp_ne_u16_sdwa s[14:15], v9, v7 src0_sel:BYTE_0 src1_sel:DWORD
	s_and_saveexec_b64 s[12:13], s[14:15]
	s_cbranch_execz .LBB527_764
; %bb.759:
	s_movk_i32 s11, 0x80
	v_cmp_ne_u16_sdwa s[24:25], v9, s11 src0_sel:BYTE_0 src1_sel:DWORD
	v_bfrev_b32_e32 v10, 1
	s_and_saveexec_b64 s[14:15], s[24:25]
	s_cbranch_execz .LBB527_763
; %bb.760:
	s_movk_i32 s11, 0x7f
	v_and_b32_e32 v15, 0x7f, v9
	v_cmp_ne_u32_e32 vcc, s11, v15
	v_mov_b32_e32 v10, 0x7f800001
	s_and_saveexec_b64 s[24:25], vcc
	s_cbranch_execz .LBB527_762
; %bb.761:
	v_and_b32_e32 v10, 7, v9
	v_ffbh_u32_e32 v10, v10
	v_min_u32_e32 v10, 32, v10
	v_subrev_u32_e32 v17, 28, v10
	v_cmp_gt_u32_e32 vcc, 8, v15
	v_lshrrev_b32_e32 v16, 3, v15
	v_sub_u32_e32 v10, 29, v10
	v_cndmask_b32_e32 v15, 0, v17, vcc
	v_cndmask_b32_e32 v10, v16, v10, vcc
	v_lshlrev_b64 v[16:17], v15, v[6:7]
	v_lshlrev_b32_e32 v7, 20, v16
	v_lshlrev_b32_e32 v15, 24, v6
	v_bfrev_b32_e32 v16, 60
	v_and_b32_e32 v7, 0x700000, v7
	v_and_b32_e32 v15, 0x80000000, v15
	v_lshl_add_u32 v10, v10, 23, v16
	v_or3_b32 v10, v15, v10, v7
.LBB527_762:
	s_or_b64 exec, exec, s[24:25]
.LBB527_763:
	s_or_b64 exec, exec, s[14:15]
	v_mov_b32_e32 v7, v10
.LBB527_764:
	s_or_b64 exec, exec, s[12:13]
	v_lshrrev_b16_e32 v10, 8, v6
	v_cmp_ne_u16_e32 vcc, 0, v10
	v_mov_b32_e32 v15, 0
	v_mov_b32_e32 v16, 0
	s_and_saveexec_b64 s[12:13], vcc
	s_cbranch_execz .LBB527_770
; %bb.765:
	s_movk_i32 s11, 0x80
	v_cmp_ne_u16_e32 vcc, s11, v10
	v_bfrev_b32_e32 v16, 1
	s_and_saveexec_b64 s[14:15], vcc
	s_cbranch_execz .LBB527_769
; %bb.766:
	s_movk_i32 s11, 0x7f
	v_and_b32_e32 v17, 0x7f, v10
	v_cmp_ne_u32_e32 vcc, s11, v17
	v_mov_b32_e32 v16, 0x7f800001
	s_and_saveexec_b64 s[24:25], vcc
	s_cbranch_execz .LBB527_768
; %bb.767:
	v_and_b32_e32 v16, 7, v10
	v_ffbh_u32_e32 v18, v16
	v_min_u32_e32 v21, 32, v18
	v_subrev_u32_e32 v18, 28, v21
	v_lshlrev_b64 v[18:19], v18, v[10:11]
	v_lshrrev_b32_e32 v20, 3, v17
	v_sub_u32_e32 v10, 29, v21
	v_and_b32_e32 v18, 7, v18
	v_cmp_gt_u32_e32 vcc, 8, v17
	v_cndmask_b32_e32 v10, v20, v10, vcc
	v_cndmask_b32_e32 v16, v16, v18, vcc
	v_lshlrev_b32_e32 v6, 16, v6
	v_bfrev_b32_e32 v17, 60
	v_lshlrev_b32_e32 v16, 20, v16
	v_and_b32_e32 v6, 0x80000000, v6
	v_lshl_add_u32 v10, v10, 23, v17
	v_or3_b32 v16, v6, v10, v16
.LBB527_768:
	s_or_b64 exec, exec, s[24:25]
.LBB527_769:
	s_or_b64 exec, exec, s[14:15]
.LBB527_770:
	s_or_b64 exec, exec, s[12:13]
	s_movk_i32 s11, 0xff
	v_and_b32_sdwa v10, v9, s11 dst_sel:DWORD dst_unused:UNUSED_PAD src0_sel:WORD_1 src1_sel:DWORD
	v_lshrrev_b32_e32 v6, 16, v9
	v_cmp_ne_u16_e32 vcc, 0, v10
	s_and_saveexec_b64 s[12:13], vcc
	s_cbranch_execz .LBB527_776
; %bb.771:
	s_movk_i32 s11, 0x80
	v_cmp_ne_u16_e32 vcc, s11, v10
	v_bfrev_b32_e32 v15, 1
	s_and_saveexec_b64 s[14:15], vcc
	s_cbranch_execz .LBB527_775
; %bb.772:
	v_bfe_u32 v10, v9, 16, 7
	s_movk_i32 s11, 0x7f
	v_cmp_ne_u32_e32 vcc, s11, v10
	v_mov_b32_e32 v15, 0x7f800001
	s_and_saveexec_b64 s[24:25], vcc
	s_cbranch_execz .LBB527_774
; %bb.773:
	v_and_b32_e32 v15, 7, v6
	v_ffbh_u32_e32 v18, v15
	v_min_u32_e32 v20, 32, v18
	v_subrev_u32_e32 v18, 28, v20
	v_lshlrev_b64 v[18:19], v18, v[6:7]
	v_and_b32_e32 v18, 7, v18
	v_cmp_gt_u32_e32 vcc, 8, v10
	v_lshrrev_b32_e32 v17, 3, v10
	v_sub_u32_e32 v6, 29, v20
	v_cndmask_b32_e32 v10, v15, v18, vcc
	v_mov_b32_e32 v15, 24
	v_cndmask_b32_e32 v6, v17, v6, vcc
	v_lshlrev_b32_sdwa v15, v15, v9 dst_sel:DWORD dst_unused:UNUSED_PAD src0_sel:DWORD src1_sel:WORD_1
	v_bfrev_b32_e32 v17, 60
	v_lshlrev_b32_e32 v10, 20, v10
	v_and_b32_e32 v15, 0x80000000, v15
	v_lshl_add_u32 v6, v6, 23, v17
	v_or3_b32 v15, v15, v6, v10
.LBB527_774:
	s_or_b64 exec, exec, s[24:25]
.LBB527_775:
	s_or_b64 exec, exec, s[14:15]
.LBB527_776:
	s_or_b64 exec, exec, s[12:13]
	s_mov_b32 s12, -1
	s_mov_b32 s13, 0xffffff
	v_cmp_lt_u64_e32 vcc, s[12:13], v[8:9]
	v_mov_b32_e32 v8, 0
	s_and_saveexec_b64 s[12:13], vcc
	s_cbranch_execz .LBB527_782
; %bb.777:
	v_lshrrev_b32_e32 v6, 24, v9
	s_movk_i32 s11, 0x80
	v_cmp_ne_u32_e32 vcc, s11, v6
	v_bfrev_b32_e32 v8, 1
	s_and_saveexec_b64 s[14:15], vcc
	s_cbranch_execz .LBB527_781
; %bb.778:
	v_bfe_u32 v9, v9, 24, 7
	s_movk_i32 s11, 0x7f
	v_cmp_ne_u32_e32 vcc, s11, v9
	v_mov_b32_e32 v8, 0x7f800001
	s_and_saveexec_b64 s[24:25], vcc
	s_cbranch_execz .LBB527_780
; %bb.779:
	v_and_b32_e32 v8, 7, v6
	v_ffbh_u32_e32 v17, v8
	v_min_u32_e32 v17, 32, v17
	v_subrev_u32_e32 v18, 28, v17
	v_lshlrev_b64 v[18:19], v18, v[6:7]
	v_lshrrev_b32_e32 v10, 3, v9
	v_sub_u32_e32 v17, 29, v17
	v_and_b32_e32 v18, 7, v18
	v_cmp_gt_u32_e32 vcc, 8, v9
	v_cndmask_b32_e32 v9, v10, v17, vcc
	v_cndmask_b32_e32 v8, v8, v18, vcc
	v_lshlrev_b32_e32 v6, 24, v6
	v_bfrev_b32_e32 v10, 60
	v_lshlrev_b32_e32 v8, 20, v8
	v_and_b32_e32 v6, 0x80000000, v6
	v_lshl_add_u32 v9, v9, 23, v10
	v_or3_b32 v8, v6, v9, v8
.LBB527_780:
	s_or_b64 exec, exec, s[24:25]
.LBB527_781:
	s_or_b64 exec, exec, s[14:15]
.LBB527_782:
	s_or_b64 exec, exec, s[12:13]
	s_load_dword s4, s[4:5], 0x1c
	v_cvt_pkrtz_f16_f32 v10, v12, v13
	v_cvt_pkrtz_f16_f32 v11, v11, v14
	s_load_dword s5, s[16:17], 0x0
	v_cvt_pkrtz_f16_f32 v6, v7, v16
	v_mfma_f32_4x4x4f16 a[0:3], v[2:3], v[10:11], a[0:3] cbsz:4 abid:15
	v_cvt_pkrtz_f16_f32 v7, v15, v8
	s_waitcnt lgkmcnt(0)
	v_mov_b32_e32 v2, s4
	v_cmp_eq_u32_e32 vcc, 0, v43
	v_mfma_f32_4x4x4f16 a[0:3], v[4:5], v[6:7], a[0:3] cbsz:4 abid:15
	v_mul_f32_e32 v4, s5, v2
	s_nop 3
	v_accvgpr_read_b32 v7, a1
	v_accvgpr_read_b32 v6, a0
	v_pk_mul_f32 v[6:7], v[6:7], v[4:5] op_sel_hi:[1,0]
	v_accvgpr_read_b32 v3, a3
	v_accvgpr_read_b32 v2, a2
	v_pk_mul_f32 v[2:3], v[2:3], v[4:5] op_sel_hi:[1,0]
	v_cndmask_b32_e64 v4, 0, 1.0, vcc
	v_cmp_eq_u32_e32 vcc, 1, v43
	s_nop 0
	v_mfma_f32_4x4x1f32 a[0:3], v6, v4, 0
	v_cndmask_b32_e64 v4, 0, 1.0, vcc
	v_cmp_eq_u32_e32 vcc, 2, v43
	v_mov_b32_e32 v6, 0xff7fffff
	v_mfma_f32_4x4x1f32 a[0:3], v7, v4, a[0:3]
	v_cndmask_b32_e64 v4, 0, 1.0, vcc
	v_cmp_eq_u32_e32 vcc, 3, v43
	s_nop 0
	v_mfma_f32_4x4x1f32 a[0:3], v2, v4, a[0:3]
	v_cndmask_b32_e64 v2, 0, 1.0, vcc
	s_nop 1
	v_mfma_f32_4x4x1f32 a[0:3], v3, v2, a[0:3]
	v_and_b32_e32 v2, -4, v44
	v_cmp_gt_i32_e32 vcc, s9, v2
	v_lshlrev_b32_e32 v3, 2, v0
	v_and_or_b32 v3, v3, 48, v43
	v_lshlrev_b32_e32 v10, 2, v3
	v_accvgpr_read_b32 v4, a0
	v_max_f32_e32 v5, v4, v4
	v_max_f32_e32 v5, 0xff7fffff, v5
	v_accvgpr_read_b32 v7, a1
	v_cndmask_b32_e32 v5, v6, v5, vcc
	v_or_b32_e32 v6, 1, v2
	v_max_f32_e32 v8, v7, v7
	v_max_f32_e32 v8, v5, v8
	v_cmp_gt_i32_e64 s[4:5], s9, v6
	v_cndmask_b32_e64 v5, v5, v8, s[4:5]
	v_accvgpr_read_b32 v8, a2
	v_or_b32_e32 v2, 2, v2
	v_max_f32_e32 v6, v8, v8
	v_max_f32_e32 v6, v5, v6
	v_cmp_gt_i32_e64 s[12:13], s9, v2
	v_accvgpr_read_b32 v9, a3
	v_cndmask_b32_e64 v2, v5, v6, s[12:13]
	v_or_b32_e32 v5, 3, v44
	v_max_f32_e32 v6, v9, v9
	v_max_f32_e32 v6, v2, v6
	v_cmp_gt_i32_e64 s[14:15], s9, v5
	v_cndmask_b32_e64 v2, v2, v6, s[14:15]
	;;#ASMSTART
	v_nop
 v_nop
 v_max_f32_dpp v2, v2, v2 row_ror:4
	;;#ASMEND
	;;#ASMSTART
	v_nop
 v_nop
 v_max_f32_dpp v2, v2, v2 row_ror:8
	;;#ASMEND
	ds_bpermute_b32 v2, v10, v2
	s_waitcnt lgkmcnt(0)
	;;#ASMSTART
	v_nop
 v_nop
 v_max_f32_dpp v2, v2, v2 row_ror:4
	;;#ASMEND
	;;#ASMSTART
	v_nop
 v_nop
 v_max_f32_dpp v6, v2, v2 row_ror:8
	;;#ASMEND
	v_sub_f32_e32 v2, v4, v6
	v_mul_f32_e32 v2, 0x3fb8aa3b, v2
	v_sub_f32_e32 v3, v7, v6
	v_exp_f32_e32 v2, v2
	v_mul_f32_e32 v3, 0x3fb8aa3b, v3
	v_sub_f32_e32 v5, v8, v6
	v_exp_f32_e32 v3, v3
	v_mul_f32_e32 v5, 0x3fb8aa3b, v5
	v_sub_f32_e32 v7, v9, v6
	v_exp_f32_e32 v5, v5
	v_mul_f32_e32 v7, 0x3fb8aa3b, v7
	v_exp_f32_e32 v7, v7
	v_cndmask_b32_e32 v2, 0, v2, vcc
	v_add_f32_e32 v4, 0, v2
	v_cndmask_b32_e64 v3, 0, v3, s[4:5]
	v_add_f32_e32 v8, v4, v3
	v_cndmask_b32_e64 v4, 0, v5, s[12:13]
	;; [unrolled: 2-line block ×3, first 2 shown]
	v_add_f32_e32 v7, v8, v5
	;;#ASMSTART
	v_nop
 v_nop
 v_add_f32_dpp v7, v7, v7 row_ror:4
	;;#ASMEND
	;;#ASMSTART
	v_nop
 v_nop
 v_add_f32_dpp v7, v7, v7 row_ror:8
	;;#ASMEND
	ds_bpermute_b32 v7, v10, v7
	s_waitcnt lgkmcnt(0)
	;;#ASMSTART
	v_nop
 v_nop
 v_add_f32_dpp v7, v7, v7 row_ror:4
	;;#ASMEND
	v_cmp_gt_u32_e32 vcc, 4, v1
	;;#ASMSTART
	v_nop
 v_nop
 v_add_f32_dpp v7, v7, v7 row_ror:8
	;;#ASMEND
	s_and_saveexec_b64 s[4:5], vcc
	s_cbranch_execz .LBB527_784
; %bb.783:
	v_mul_u32_u24_e32 v8, 20, v42
	v_lshl_add_u32 v8, v43, 2, v8
	v_add_u32_e32 v8, 0x1400, v8
	ds_write2_b32 v8, v6, v7 offset1:20
.LBB527_784:
	s_or_b64 exec, exec, s[4:5]
.LBB527_785:
	s_or_b64 exec, exec, s[36:37]
	s_waitcnt lgkmcnt(0)
	s_barrier
	s_load_dword s4, s[34:35], 0x8
	v_lshlrev_b32_e32 v7, 2, v43
	v_add_u32_e32 v7, 0x1400, v7
	ds_read2_b32 v[10:11], v7 offset1:5
	ds_read2_b32 v[12:13], v7 offset0:10 offset1:15
	s_mul_i32 s5, s8, s33
	s_waitcnt lgkmcnt(0)
	s_mul_i32 s5, s5, s4
	s_lshl_b32 s4, s5, 1
	s_mov_b32 s5, 0xff7fffff
	v_max3_f32 v8, v10, s5, v11
	v_max3_f32 v8, v8, v12, v13
	v_sub_f32_e32 v9, v10, v8
	v_sub_f32_e32 v10, v11, v8
	ds_read2_b32 v[14:15], v7 offset0:20 offset1:25
	v_mul_f32_e32 v9, 0x3fb8aa3b, v9
	v_mul_f32_e32 v10, 0x3fb8aa3b, v10
	v_exp_f32_e32 v9, v9
	v_exp_f32_e32 v16, v10
	ds_read2_b32 v[10:11], v7 offset0:30 offset1:35
	v_sub_f32_e32 v7, v12, v8
	v_mul_f32_e32 v7, 0x3fb8aa3b, v7
	v_sub_f32_e32 v12, v13, v8
	v_exp_f32_e32 v7, v7
	v_mul_f32_e32 v12, 0x3fb8aa3b, v12
	v_exp_f32_e32 v12, v12
	s_waitcnt lgkmcnt(1)
	v_fma_f32 v9, v9, v14, 0
	v_fmac_f32_e32 v9, v16, v15
	s_waitcnt lgkmcnt(0)
	v_fmac_f32_e32 v9, v7, v10
	s_lshl_b32 s24, s10, 1
	v_fmac_f32_e32 v9, v12, v11
	v_cmp_gt_u32_e32 vcc, 2, v43
	s_and_saveexec_b64 s[8:9], vcc
	s_cbranch_execz .LBB527_787
; %bb.786:
	s_mov_b32 s5, 0
	s_lshl_b64 s[10:11], s[4:5], 2
	s_add_u32 s14, s20, s10
	s_mov_b32 s29, s5
	s_addc_u32 s15, s21, s11
	s_lshl_b64 s[12:13], s[28:29], 2
	s_add_u32 s5, s14, s12
	s_addc_u32 s14, s15, s13
	v_or_b32_e32 v7, s24, v43
	s_add_u32 s10, s22, s10
	v_mul_lo_u32 v10, s33, v7
	v_mov_b32_e32 v11, 0
	s_addc_u32 s11, s23, s11
	v_lshlrev_b64 v[10:11], 2, v[10:11]
	s_add_u32 s10, s10, s12
	v_mov_b32_e32 v7, s14
	v_add_co_u32_e32 v12, vcc, s5, v10
	s_addc_u32 s11, s11, s13
	v_addc_co_u32_e32 v13, vcc, v7, v11, vcc
	v_mov_b32_e32 v7, s11
	v_add_co_u32_e32 v10, vcc, s10, v10
	v_addc_co_u32_e32 v11, vcc, v7, v11, vcc
	global_store_dword v[10:11], v8, off
	global_store_dword v[12:13], v9, off
.LBB527_787:
	s_or_b64 exec, exec, s[8:9]
	v_lshlrev_b32_e32 v7, 3, v42
	s_and_saveexec_b64 s[8:9], s[6:7]
	s_xor_b64 s[6:7], exec, s[8:9]
	s_cbranch_execz .LBB527_789
; %bb.788:
	s_mov_b32 s8, 0
	s_mov_b32 s9, s8
	v_mad_u32_u24 v4, v1, 40, v7
	v_pk_mov_b32 v[2:3], s[8:9], s[8:9] op_sel:[0,1]
	ds_write2st64_b64 v4, v[2:3], v[2:3] offset1:5
                                        ; implicit-def: $vgpr7
                                        ; implicit-def: $vgpr6
                                        ; implicit-def: $vgpr8
                                        ; implicit-def: $vgpr9
                                        ; implicit-def: $vgpr4
                                        ; implicit-def: $vgpr2
.LBB527_789:
	s_andn2_saveexec_b64 s[6:7], s[6:7]
	s_cbranch_execz .LBB527_1176
; %bb.790:
	v_add_f32_e32 v9, 0x358637bd, v9
	v_div_scale_f32 v10, s[8:9], v9, v9, 1.0
	v_rcp_f32_e32 v11, v10
	v_sub_f32_e32 v6, v6, v8
	v_mul_f32_e32 v6, 0x3fb8aa3b, v6
	v_exp_f32_e32 v6, v6
	v_fma_f32 v8, -v10, v11, 1.0
	v_fmac_f32_e32 v11, v8, v11
	v_div_scale_f32 v8, vcc, 1.0, v9, 1.0
	v_mul_f32_e32 v12, v8, v11
	v_fma_f32 v13, -v10, v12, v8
	v_fmac_f32_e32 v12, v13, v11
	v_fma_f32 v8, -v10, v12, v8
	v_div_fmas_f32 v8, v8, v11, v12
	v_div_fixup_f32 v8, v8, v9, 1.0
	v_mul_f32_e32 v6, v6, v8
	v_pk_mul_f32 v[4:5], v[4:5], v[6:7] op_sel_hi:[1,0]
	v_pk_mul_f32 v[2:3], v[2:3], v[6:7] op_sel_hi:[1,0]
	s_load_dword s8, s[18:19], 0x0
	v_cvt_f16_f32_e32 v2, v2
	v_cvt_f16_f32_e32 v3, v3
	v_cvt_f16_f32_e32 v4, v4
	v_cvt_f16_f32_e32 v6, v5
	v_mov_b32_e32 v11, 0
	v_add_u32_e32 v5, 64, v11
	v_pack_b32_f16 v2, v2, v3
	v_pack_b32_f16 v3, v4, v6
	s_waitcnt lgkmcnt(0)
	s_mov_b32 s9, s8
	s_mov_b32 s10, s8
	;; [unrolled: 1-line block ×4, first 2 shown]
	s_mov_b64 s[12:13], -1
	s_movk_i32 s5, 0x80
	s_movk_i32 s21, 0x7f
	s_mov_b32 s22, 0xffffff
	v_mov_b32_e32 v9, 0
	v_bfrev_b32_e32 v10, 60
	s_branch .LBB527_794
.LBB527_791:                            ;   in Loop: Header=BB527_794 Depth=1
	s_or_b64 exec, exec, s[18:19]
.LBB527_792:                            ;   in Loop: Header=BB527_794 Depth=1
	s_or_b64 exec, exec, s[16:17]
.LBB527_793:                            ;   in Loop: Header=BB527_794 Depth=1
	s_or_b64 exec, exec, s[14:15]
	v_cvt_pkrtz_f16_f32 v12, v13, v12
	v_cvt_pkrtz_f16_f32 v13, v11, v15
	;; [unrolled: 1-line block ×4, first 2 shown]
	v_mfma_f32_4x4x4f16 a[0:3], v[2:3], v[12:13], a[0:3] cbsz:4 abid:14
	s_mul_i32 s14, s20, 0xa00
	v_mfma_f32_4x4x4f16 a[0:3], v[2:3], v[14:15], a[0:3] cbsz:4 abid:15
	s_mov_b32 s20, 1
	s_nop 3
	v_accvgpr_read_b32 v15, a1
	v_accvgpr_read_b32 v14, a0
	v_pk_mul_f32 v[14:15], v[14:15], s[8:9]
	v_accvgpr_read_b32 v13, a3
	v_accvgpr_read_b32 v12, a2
	v_cvt_f16_f32_e32 v4, v14
	v_cvt_f16_f32_e32 v6, v15
	v_pk_mul_f32 v[12:13], v[12:13], s[10:11]
	v_cvt_f16_f32_e32 v8, v12
	v_cvt_f16_f32_e32 v11, v13
	v_pack_b32_f16 v12, v4, v6
	v_mul_u32_u24_e32 v4, 40, v1
	v_add3_u32 v4, s14, v4, v7
	s_xor_b64 s[14:15], s[12:13], -1
	v_pack_b32_f16 v13, v8, v11
	s_mov_b64 s[12:13], 0
	s_andn2_b64 vcc, exec, s[14:15]
	v_mov_b32_e32 v11, v5
	ds_write_b64 v4, v[12:13]
	s_cbranch_vccz .LBB527_1176
.LBB527_794:                            ; =>This Inner Loop Header: Depth=1
	buffer_load_dword v6, v11, s[0:3], 0 offen
	buffer_load_dword v4, v11, s[0:3], 0 offen offset:4
	v_mov_b32_e32 v13, 0
	s_waitcnt vmcnt(1)
	v_cmp_ne_u16_sdwa s[16:17], v6, v9 src0_sel:BYTE_0 src1_sel:DWORD
	s_and_saveexec_b64 s[14:15], s[16:17]
	s_cbranch_execz .LBB527_800
; %bb.795:                              ;   in Loop: Header=BB527_794 Depth=1
	v_cmp_ne_u16_sdwa s[18:19], v6, s5 src0_sel:BYTE_0 src1_sel:DWORD
	v_bfrev_b32_e32 v13, 1
	s_and_saveexec_b64 s[16:17], s[18:19]
	s_cbranch_execz .LBB527_799
; %bb.796:                              ;   in Loop: Header=BB527_794 Depth=1
	v_and_b32_e32 v8, 0x7f, v6
	v_cmp_ne_u32_e32 vcc, s21, v8
	v_mov_b32_e32 v13, 0x7f800001
	s_and_saveexec_b64 s[18:19], vcc
	s_cbranch_execz .LBB527_798
; %bb.797:                              ;   in Loop: Header=BB527_794 Depth=1
	v_and_b32_e32 v14, 7, v6
	v_ffbh_u32_e32 v12, v14
	v_min_u32_e32 v16, 32, v12
	v_subrev_u32_e32 v12, 28, v16
	v_lshlrev_b64 v[12:13], v12, v[6:7]
	v_lshrrev_b32_e32 v15, 3, v8
	v_sub_u32_e32 v13, 29, v16
	v_and_b32_e32 v12, 7, v12
	v_cmp_gt_u32_e32 vcc, 8, v8
	v_cndmask_b32_e32 v8, v15, v13, vcc
	v_cndmask_b32_e32 v12, v14, v12, vcc
	v_lshlrev_b32_e32 v13, 24, v6
	v_lshlrev_b32_e32 v12, 20, v12
	v_and_b32_e32 v13, 0x80000000, v13
	v_lshl_add_u32 v8, v8, 23, v10
	v_or3_b32 v13, v13, v8, v12
.LBB527_798:                            ;   in Loop: Header=BB527_794 Depth=1
	s_or_b64 exec, exec, s[18:19]
.LBB527_799:                            ;   in Loop: Header=BB527_794 Depth=1
	s_or_b64 exec, exec, s[16:17]
.LBB527_800:                            ;   in Loop: Header=BB527_794 Depth=1
	s_or_b64 exec, exec, s[14:15]
	v_lshrrev_b16_e32 v8, 8, v6
	v_cmp_ne_u16_e32 vcc, 0, v8
	v_mov_b32_e32 v14, 0
	v_mov_b32_e32 v15, 0
	s_and_saveexec_b64 s[14:15], vcc
	s_cbranch_execz .LBB527_806
; %bb.801:                              ;   in Loop: Header=BB527_794 Depth=1
	v_cmp_ne_u16_e32 vcc, s5, v8
	v_bfrev_b32_e32 v15, 1
	s_and_saveexec_b64 s[16:17], vcc
	s_cbranch_execz .LBB527_805
; %bb.802:                              ;   in Loop: Header=BB527_794 Depth=1
	v_and_b32_e32 v12, 0x7f, v8
	v_cmp_ne_u32_e32 vcc, s21, v12
	v_mov_b32_e32 v15, 0x7f800001
	s_and_saveexec_b64 s[18:19], vcc
	s_cbranch_execz .LBB527_804
; %bb.803:                              ;   in Loop: Header=BB527_794 Depth=1
	v_and_b32_e32 v15, 7, v8
	v_ffbh_u32_e32 v16, v15
	v_min_u32_e32 v19, 32, v16
	v_subrev_u32_e32 v16, 28, v19
	v_lshlrev_b64 v[16:17], v16, v[8:9]
	v_lshrrev_b32_e32 v18, 3, v12
	v_sub_u32_e32 v8, 29, v19
	v_and_b32_e32 v16, 7, v16
	v_cmp_gt_u32_e32 vcc, 8, v12
	v_cndmask_b32_e32 v8, v18, v8, vcc
	v_cndmask_b32_e32 v12, v15, v16, vcc
	v_lshlrev_b32_e32 v15, 16, v6
	v_lshlrev_b32_e32 v12, 20, v12
	v_and_b32_e32 v15, 0x80000000, v15
	v_lshl_add_u32 v8, v8, 23, v10
	v_or3_b32 v15, v15, v8, v12
.LBB527_804:                            ;   in Loop: Header=BB527_794 Depth=1
	s_or_b64 exec, exec, s[18:19]
.LBB527_805:                            ;   in Loop: Header=BB527_794 Depth=1
	s_or_b64 exec, exec, s[16:17]
.LBB527_806:                            ;   in Loop: Header=BB527_794 Depth=1
	s_or_b64 exec, exec, s[14:15]
	v_lshrrev_b32_e32 v8, 16, v6
	v_cmp_ne_u16_sdwa s[16:17], v8, v9 src0_sel:BYTE_0 src1_sel:DWORD
	s_and_saveexec_b64 s[14:15], s[16:17]
	s_cbranch_execz .LBB527_812
; %bb.807:                              ;   in Loop: Header=BB527_794 Depth=1
	v_cmp_ne_u16_sdwa s[18:19], v8, s5 src0_sel:BYTE_0 src1_sel:DWORD
	v_bfrev_b32_e32 v14, 1
	s_and_saveexec_b64 s[16:17], s[18:19]
	s_cbranch_execz .LBB527_811
; %bb.808:                              ;   in Loop: Header=BB527_794 Depth=1
	v_bfe_u32 v12, v6, 16, 7
	v_cmp_ne_u32_e32 vcc, s21, v12
	v_mov_b32_e32 v14, 0x7f800001
	s_and_saveexec_b64 s[18:19], vcc
	s_cbranch_execz .LBB527_810
; %bb.809:                              ;   in Loop: Header=BB527_794 Depth=1
	v_and_b32_e32 v14, 7, v8
	v_ffbh_u32_e32 v16, v14
	v_min_u32_e32 v19, 32, v16
	v_subrev_u32_e32 v16, 28, v19
	v_lshlrev_b64 v[16:17], v16, v[8:9]
	v_lshrrev_b32_e32 v18, 3, v12
	v_sub_u32_e32 v17, 29, v19
	v_and_b32_e32 v16, 7, v16
	v_cmp_gt_u32_e32 vcc, 8, v12
	v_cndmask_b32_e32 v12, v18, v17, vcc
	v_cndmask_b32_e32 v14, v14, v16, vcc
	v_lshlrev_b32_e32 v8, 24, v8
	v_lshlrev_b32_e32 v14, 20, v14
	v_and_b32_e32 v8, 0x80000000, v8
	v_lshl_add_u32 v12, v12, 23, v10
	v_or3_b32 v14, v8, v12, v14
.LBB527_810:                            ;   in Loop: Header=BB527_794 Depth=1
	s_or_b64 exec, exec, s[18:19]
.LBB527_811:                            ;   in Loop: Header=BB527_794 Depth=1
	s_or_b64 exec, exec, s[16:17]
.LBB527_812:                            ;   in Loop: Header=BB527_794 Depth=1
	s_or_b64 exec, exec, s[14:15]
	v_cmp_lt_u32_e32 vcc, s22, v6
	v_mov_b32_e32 v16, 0
	v_mov_b32_e32 v17, 0
	s_and_saveexec_b64 s[14:15], vcc
	s_cbranch_execz .LBB527_818
; %bb.813:                              ;   in Loop: Header=BB527_794 Depth=1
	v_lshrrev_b32_e32 v8, 24, v6
	v_cmp_ne_u32_e32 vcc, s5, v8
	v_bfrev_b32_e32 v17, 1
	s_and_saveexec_b64 s[16:17], vcc
	s_cbranch_execz .LBB527_817
; %bb.814:                              ;   in Loop: Header=BB527_794 Depth=1
	v_bfe_u32 v6, v6, 24, 7
	v_cmp_ne_u32_e32 vcc, s21, v6
	v_mov_b32_e32 v17, 0x7f800001
	s_and_saveexec_b64 s[18:19], vcc
	s_cbranch_execz .LBB527_816
; %bb.815:                              ;   in Loop: Header=BB527_794 Depth=1
	v_and_b32_e32 v12, 7, v8
	v_ffbh_u32_e32 v18, v12
	v_min_u32_e32 v20, 32, v18
	v_subrev_u32_e32 v18, 28, v20
	v_lshlrev_b64 v[18:19], v18, v[8:9]
	v_lshrrev_b32_e32 v17, 3, v6
	v_sub_u32_e32 v19, 29, v20
	v_and_b32_e32 v18, 7, v18
	v_cmp_gt_u32_e32 vcc, 8, v6
	v_cndmask_b32_e32 v6, v17, v19, vcc
	v_cndmask_b32_e32 v12, v12, v18, vcc
	v_lshlrev_b32_e32 v8, 24, v8
	v_lshlrev_b32_e32 v12, 20, v12
	v_and_b32_e32 v8, 0x80000000, v8
	v_lshl_add_u32 v6, v6, 23, v10
	v_or3_b32 v17, v8, v6, v12
.LBB527_816:                            ;   in Loop: Header=BB527_794 Depth=1
	s_or_b64 exec, exec, s[18:19]
.LBB527_817:                            ;   in Loop: Header=BB527_794 Depth=1
	s_or_b64 exec, exec, s[16:17]
.LBB527_818:                            ;   in Loop: Header=BB527_794 Depth=1
	s_or_b64 exec, exec, s[14:15]
	s_waitcnt vmcnt(0)
	v_cmp_ne_u16_sdwa s[16:17], v4, v9 src0_sel:BYTE_0 src1_sel:DWORD
	s_and_saveexec_b64 s[14:15], s[16:17]
	s_cbranch_execz .LBB527_824
; %bb.819:                              ;   in Loop: Header=BB527_794 Depth=1
	v_cmp_ne_u16_sdwa s[18:19], v4, s5 src0_sel:BYTE_0 src1_sel:DWORD
	v_bfrev_b32_e32 v16, 1
	s_and_saveexec_b64 s[16:17], s[18:19]
	s_cbranch_execz .LBB527_823
; %bb.820:                              ;   in Loop: Header=BB527_794 Depth=1
	v_and_b32_e32 v6, 0x7f, v4
	v_cmp_ne_u32_e32 vcc, s21, v6
	v_mov_b32_e32 v16, 0x7f800001
	s_and_saveexec_b64 s[18:19], vcc
	s_cbranch_execz .LBB527_822
; %bb.821:                              ;   in Loop: Header=BB527_794 Depth=1
	v_and_b32_e32 v8, 7, v4
	v_ffbh_u32_e32 v16, v8
	v_min_u32_e32 v16, 32, v16
	v_subrev_u32_e32 v18, 28, v16
	v_lshlrev_b64 v[18:19], v18, v[4:5]
	v_lshrrev_b32_e32 v12, 3, v6
	v_sub_u32_e32 v16, 29, v16
	v_and_b32_e32 v18, 7, v18
	v_cmp_gt_u32_e32 vcc, 8, v6
	v_cndmask_b32_e32 v6, v12, v16, vcc
	v_cndmask_b32_e32 v8, v8, v18, vcc
	v_lshlrev_b32_e32 v12, 24, v4
	v_lshlrev_b32_e32 v8, 20, v8
	v_and_b32_e32 v12, 0x80000000, v12
	v_lshl_add_u32 v6, v6, 23, v10
	v_or3_b32 v16, v12, v6, v8
.LBB527_822:                            ;   in Loop: Header=BB527_794 Depth=1
	s_or_b64 exec, exec, s[18:19]
.LBB527_823:                            ;   in Loop: Header=BB527_794 Depth=1
	s_or_b64 exec, exec, s[16:17]
.LBB527_824:                            ;   in Loop: Header=BB527_794 Depth=1
	s_or_b64 exec, exec, s[14:15]
	v_lshrrev_b16_e32 v6, 8, v4
	v_cmp_ne_u16_e32 vcc, 0, v6
	v_mov_b32_e32 v8, 0
	v_mov_b32_e32 v18, 0
	s_and_saveexec_b64 s[14:15], vcc
	s_cbranch_execz .LBB527_830
; %bb.825:                              ;   in Loop: Header=BB527_794 Depth=1
	v_cmp_ne_u16_e32 vcc, s5, v6
	v_bfrev_b32_e32 v18, 1
	s_and_saveexec_b64 s[16:17], vcc
	s_cbranch_execz .LBB527_829
; %bb.826:                              ;   in Loop: Header=BB527_794 Depth=1
	v_and_b32_e32 v12, 0x7f, v6
	v_cmp_ne_u32_e32 vcc, s21, v12
	v_mov_b32_e32 v18, 0x7f800001
	s_and_saveexec_b64 s[18:19], vcc
	s_cbranch_execz .LBB527_828
; %bb.827:                              ;   in Loop: Header=BB527_794 Depth=1
	v_and_b32_e32 v20, 7, v6
	v_ffbh_u32_e32 v18, v20
	v_min_u32_e32 v22, 32, v18
	v_subrev_u32_e32 v18, 28, v22
	v_lshlrev_b64 v[18:19], v18, v[6:7]
	v_lshrrev_b32_e32 v21, 3, v12
	v_sub_u32_e32 v6, 29, v22
	v_and_b32_e32 v18, 7, v18
	v_cmp_gt_u32_e32 vcc, 8, v12
	v_cndmask_b32_e32 v6, v21, v6, vcc
	v_cndmask_b32_e32 v12, v20, v18, vcc
	v_lshlrev_b32_e32 v18, 16, v4
	v_lshlrev_b32_e32 v12, 20, v12
	v_and_b32_e32 v18, 0x80000000, v18
	v_lshl_add_u32 v6, v6, 23, v10
	v_or3_b32 v18, v18, v6, v12
.LBB527_828:                            ;   in Loop: Header=BB527_794 Depth=1
	s_or_b64 exec, exec, s[18:19]
.LBB527_829:                            ;   in Loop: Header=BB527_794 Depth=1
	s_or_b64 exec, exec, s[16:17]
.LBB527_830:                            ;   in Loop: Header=BB527_794 Depth=1
	s_or_b64 exec, exec, s[14:15]
	v_lshrrev_b32_e32 v6, 16, v4
	v_cmp_ne_u16_sdwa s[16:17], v6, v9 src0_sel:BYTE_0 src1_sel:DWORD
	s_and_saveexec_b64 s[14:15], s[16:17]
	s_cbranch_execz .LBB527_836
; %bb.831:                              ;   in Loop: Header=BB527_794 Depth=1
	v_cmp_ne_u16_sdwa s[18:19], v6, s5 src0_sel:BYTE_0 src1_sel:DWORD
	v_bfrev_b32_e32 v8, 1
	s_and_saveexec_b64 s[16:17], s[18:19]
	s_cbranch_execz .LBB527_835
; %bb.832:                              ;   in Loop: Header=BB527_794 Depth=1
	v_bfe_u32 v12, v4, 16, 7
	v_cmp_ne_u32_e32 vcc, s21, v12
	v_mov_b32_e32 v8, 0x7f800001
	s_and_saveexec_b64 s[18:19], vcc
	s_cbranch_execz .LBB527_834
; %bb.833:                              ;   in Loop: Header=BB527_794 Depth=1
	v_and_b32_e32 v8, 7, v6
	v_ffbh_u32_e32 v20, v8
	v_min_u32_e32 v22, 32, v20
	v_subrev_u32_e32 v20, 28, v22
	v_lshlrev_b64 v[20:21], v20, v[6:7]
	v_lshrrev_b32_e32 v19, 3, v12
	v_sub_u32_e32 v21, 29, v22
	v_and_b32_e32 v20, 7, v20
	v_cmp_gt_u32_e32 vcc, 8, v12
	v_cndmask_b32_e32 v12, v19, v21, vcc
	v_cndmask_b32_e32 v8, v8, v20, vcc
	v_lshlrev_b32_e32 v6, 24, v6
	v_lshlrev_b32_e32 v8, 20, v8
	v_and_b32_e32 v6, 0x80000000, v6
	v_lshl_add_u32 v12, v12, 23, v10
	v_or3_b32 v8, v6, v12, v8
.LBB527_834:                            ;   in Loop: Header=BB527_794 Depth=1
	s_or_b64 exec, exec, s[18:19]
.LBB527_835:                            ;   in Loop: Header=BB527_794 Depth=1
	s_or_b64 exec, exec, s[16:17]
.LBB527_836:                            ;   in Loop: Header=BB527_794 Depth=1
	s_or_b64 exec, exec, s[14:15]
	v_cmp_lt_u32_e32 vcc, s22, v4
	v_mov_b32_e32 v12, 0
	v_mov_b32_e32 v19, 0
	s_and_saveexec_b64 s[14:15], vcc
	s_cbranch_execz .LBB527_842
; %bb.837:                              ;   in Loop: Header=BB527_794 Depth=1
	v_lshrrev_b32_e32 v6, 24, v4
	v_cmp_ne_u32_e32 vcc, s5, v6
	v_bfrev_b32_e32 v19, 1
	s_and_saveexec_b64 s[16:17], vcc
	s_cbranch_execz .LBB527_841
; %bb.838:                              ;   in Loop: Header=BB527_794 Depth=1
	v_bfe_u32 v4, v4, 24, 7
	v_cmp_ne_u32_e32 vcc, s21, v4
	v_mov_b32_e32 v19, 0x7f800001
	s_and_saveexec_b64 s[18:19], vcc
	s_cbranch_execz .LBB527_840
; %bb.839:                              ;   in Loop: Header=BB527_794 Depth=1
	v_and_b32_e32 v19, 7, v6
	v_ffbh_u32_e32 v20, v19
	v_min_u32_e32 v23, 32, v20
	v_subrev_u32_e32 v20, 28, v23
	v_lshlrev_b64 v[20:21], v20, v[6:7]
	v_lshrrev_b32_e32 v22, 3, v4
	v_sub_u32_e32 v21, 29, v23
	v_and_b32_e32 v20, 7, v20
	v_cmp_gt_u32_e32 vcc, 8, v4
	v_cndmask_b32_e32 v4, v22, v21, vcc
	v_cndmask_b32_e32 v19, v19, v20, vcc
	v_lshlrev_b32_e32 v6, 24, v6
	v_lshlrev_b32_e32 v19, 20, v19
	v_and_b32_e32 v6, 0x80000000, v6
	v_lshl_add_u32 v4, v4, 23, v10
	v_or3_b32 v19, v6, v4, v19
.LBB527_840:                            ;   in Loop: Header=BB527_794 Depth=1
	s_or_b64 exec, exec, s[18:19]
.LBB527_841:                            ;   in Loop: Header=BB527_794 Depth=1
	s_or_b64 exec, exec, s[16:17]
.LBB527_842:                            ;   in Loop: Header=BB527_794 Depth=1
	s_or_b64 exec, exec, s[14:15]
	buffer_load_dword v6, v11, s[0:3], 0 offen offset:8
	buffer_load_dword v4, v11, s[0:3], 0 offen offset:12
	v_cvt_pkrtz_f16_f32 v20, v13, v15
	v_cvt_pkrtz_f16_f32 v21, v14, v17
	;; [unrolled: 1-line block ×4, first 2 shown]
	v_mfma_f32_4x4x4f16 a[0:3], v[2:3], v[20:21], 0 cbsz:4
	s_waitcnt vmcnt(1)
	v_cmp_ne_u16_sdwa s[16:17], v6, v9 src0_sel:BYTE_0 src1_sel:DWORD
	v_mfma_f32_4x4x4f16 a[0:3], v[2:3], v[14:15], a[0:3] cbsz:4 abid:1
	s_and_saveexec_b64 s[14:15], s[16:17]
	s_cbranch_execz .LBB527_848
; %bb.843:                              ;   in Loop: Header=BB527_794 Depth=1
	v_cmp_ne_u16_sdwa s[18:19], v6, s5 src0_sel:BYTE_0 src1_sel:DWORD
	v_bfrev_b32_e32 v12, 1
	s_and_saveexec_b64 s[16:17], s[18:19]
	s_cbranch_execz .LBB527_847
; %bb.844:                              ;   in Loop: Header=BB527_794 Depth=1
	v_and_b32_e32 v8, 0x7f, v6
	v_cmp_ne_u32_e32 vcc, s21, v8
	v_mov_b32_e32 v12, 0x7f800001
	s_and_saveexec_b64 s[18:19], vcc
	s_cbranch_execz .LBB527_846
; %bb.845:                              ;   in Loop: Header=BB527_794 Depth=1
	v_and_b32_e32 v14, 7, v6
	v_ffbh_u32_e32 v12, v14
	v_min_u32_e32 v16, 32, v12
	v_subrev_u32_e32 v12, 28, v16
	v_lshlrev_b64 v[12:13], v12, v[6:7]
	v_lshrrev_b32_e32 v15, 3, v8
	v_sub_u32_e32 v13, 29, v16
	v_and_b32_e32 v12, 7, v12
	v_cmp_gt_u32_e32 vcc, 8, v8
	v_cndmask_b32_e32 v8, v15, v13, vcc
	v_cndmask_b32_e32 v12, v14, v12, vcc
	v_lshlrev_b32_e32 v13, 24, v6
	v_lshlrev_b32_e32 v12, 20, v12
	v_and_b32_e32 v13, 0x80000000, v13
	v_lshl_add_u32 v8, v8, 23, v10
	v_or3_b32 v12, v13, v8, v12
.LBB527_846:                            ;   in Loop: Header=BB527_794 Depth=1
	s_or_b64 exec, exec, s[18:19]
.LBB527_847:                            ;   in Loop: Header=BB527_794 Depth=1
	s_or_b64 exec, exec, s[16:17]
.LBB527_848:                            ;   in Loop: Header=BB527_794 Depth=1
	s_or_b64 exec, exec, s[14:15]
	v_lshrrev_b16_e32 v8, 8, v6
	v_cmp_ne_u16_e32 vcc, 0, v8
	v_mov_b32_e32 v14, 0
	v_mov_b32_e32 v15, 0
	s_and_saveexec_b64 s[14:15], vcc
	s_cbranch_execz .LBB527_854
; %bb.849:                              ;   in Loop: Header=BB527_794 Depth=1
	v_cmp_ne_u16_e32 vcc, s5, v8
	v_bfrev_b32_e32 v15, 1
	s_and_saveexec_b64 s[16:17], vcc
	s_cbranch_execz .LBB527_853
; %bb.850:                              ;   in Loop: Header=BB527_794 Depth=1
	v_and_b32_e32 v13, 0x7f, v8
	v_cmp_ne_u32_e32 vcc, s21, v13
	v_mov_b32_e32 v15, 0x7f800001
	s_and_saveexec_b64 s[18:19], vcc
	s_cbranch_execz .LBB527_852
; %bb.851:                              ;   in Loop: Header=BB527_794 Depth=1
	v_and_b32_e32 v15, 7, v8
	v_ffbh_u32_e32 v16, v15
	v_min_u32_e32 v19, 32, v16
	v_subrev_u32_e32 v16, 28, v19
	v_lshlrev_b64 v[16:17], v16, v[8:9]
	v_lshrrev_b32_e32 v18, 3, v13
	v_sub_u32_e32 v8, 29, v19
	v_and_b32_e32 v16, 7, v16
	v_cmp_gt_u32_e32 vcc, 8, v13
	v_cndmask_b32_e32 v8, v18, v8, vcc
	v_cndmask_b32_e32 v13, v15, v16, vcc
	v_lshlrev_b32_e32 v15, 16, v6
	v_lshlrev_b32_e32 v13, 20, v13
	v_and_b32_e32 v15, 0x80000000, v15
	v_lshl_add_u32 v8, v8, 23, v10
	v_or3_b32 v15, v15, v8, v13
.LBB527_852:                            ;   in Loop: Header=BB527_794 Depth=1
	s_or_b64 exec, exec, s[18:19]
.LBB527_853:                            ;   in Loop: Header=BB527_794 Depth=1
	s_or_b64 exec, exec, s[16:17]
.LBB527_854:                            ;   in Loop: Header=BB527_794 Depth=1
	s_or_b64 exec, exec, s[14:15]
	v_lshrrev_b32_e32 v8, 16, v6
	v_cmp_ne_u16_sdwa s[16:17], v8, v9 src0_sel:BYTE_0 src1_sel:DWORD
	s_and_saveexec_b64 s[14:15], s[16:17]
	s_cbranch_execz .LBB527_860
; %bb.855:                              ;   in Loop: Header=BB527_794 Depth=1
	v_cmp_ne_u16_sdwa s[18:19], v8, s5 src0_sel:BYTE_0 src1_sel:DWORD
	v_bfrev_b32_e32 v14, 1
	s_and_saveexec_b64 s[16:17], s[18:19]
	s_cbranch_execz .LBB527_859
; %bb.856:                              ;   in Loop: Header=BB527_794 Depth=1
	v_bfe_u32 v13, v6, 16, 7
	v_cmp_ne_u32_e32 vcc, s21, v13
	v_mov_b32_e32 v14, 0x7f800001
	s_and_saveexec_b64 s[18:19], vcc
	s_cbranch_execz .LBB527_858
; %bb.857:                              ;   in Loop: Header=BB527_794 Depth=1
	v_and_b32_e32 v14, 7, v8
	v_ffbh_u32_e32 v16, v14
	v_min_u32_e32 v19, 32, v16
	v_subrev_u32_e32 v16, 28, v19
	v_lshlrev_b64 v[16:17], v16, v[8:9]
	v_lshrrev_b32_e32 v18, 3, v13
	v_sub_u32_e32 v17, 29, v19
	v_and_b32_e32 v16, 7, v16
	v_cmp_gt_u32_e32 vcc, 8, v13
	v_cndmask_b32_e32 v13, v18, v17, vcc
	v_cndmask_b32_e32 v14, v14, v16, vcc
	v_lshlrev_b32_e32 v8, 24, v8
	v_lshlrev_b32_e32 v14, 20, v14
	v_and_b32_e32 v8, 0x80000000, v8
	v_lshl_add_u32 v13, v13, 23, v10
	v_or3_b32 v14, v8, v13, v14
.LBB527_858:                            ;   in Loop: Header=BB527_794 Depth=1
	s_or_b64 exec, exec, s[18:19]
.LBB527_859:                            ;   in Loop: Header=BB527_794 Depth=1
	s_or_b64 exec, exec, s[16:17]
.LBB527_860:                            ;   in Loop: Header=BB527_794 Depth=1
	s_or_b64 exec, exec, s[14:15]
	v_cmp_lt_u32_e32 vcc, s22, v6
	v_mov_b32_e32 v16, 0
	v_mov_b32_e32 v17, 0
	s_and_saveexec_b64 s[14:15], vcc
	s_cbranch_execz .LBB527_866
; %bb.861:                              ;   in Loop: Header=BB527_794 Depth=1
	v_lshrrev_b32_e32 v8, 24, v6
	v_cmp_ne_u32_e32 vcc, s5, v8
	v_bfrev_b32_e32 v17, 1
	s_and_saveexec_b64 s[16:17], vcc
	s_cbranch_execz .LBB527_865
; %bb.862:                              ;   in Loop: Header=BB527_794 Depth=1
	v_bfe_u32 v6, v6, 24, 7
	v_cmp_ne_u32_e32 vcc, s21, v6
	v_mov_b32_e32 v17, 0x7f800001
	s_and_saveexec_b64 s[18:19], vcc
	s_cbranch_execz .LBB527_864
; %bb.863:                              ;   in Loop: Header=BB527_794 Depth=1
	v_and_b32_e32 v13, 7, v8
	v_ffbh_u32_e32 v18, v13
	v_min_u32_e32 v20, 32, v18
	v_subrev_u32_e32 v18, 28, v20
	v_lshlrev_b64 v[18:19], v18, v[8:9]
	v_lshrrev_b32_e32 v17, 3, v6
	v_sub_u32_e32 v19, 29, v20
	v_and_b32_e32 v18, 7, v18
	v_cmp_gt_u32_e32 vcc, 8, v6
	v_cndmask_b32_e32 v6, v17, v19, vcc
	v_cndmask_b32_e32 v13, v13, v18, vcc
	v_lshlrev_b32_e32 v8, 24, v8
	v_lshlrev_b32_e32 v13, 20, v13
	v_and_b32_e32 v8, 0x80000000, v8
	v_lshl_add_u32 v6, v6, 23, v10
	v_or3_b32 v17, v8, v6, v13
.LBB527_864:                            ;   in Loop: Header=BB527_794 Depth=1
	s_or_b64 exec, exec, s[18:19]
.LBB527_865:                            ;   in Loop: Header=BB527_794 Depth=1
	s_or_b64 exec, exec, s[16:17]
.LBB527_866:                            ;   in Loop: Header=BB527_794 Depth=1
	s_or_b64 exec, exec, s[14:15]
	s_waitcnt vmcnt(0)
	v_cmp_ne_u16_sdwa s[16:17], v4, v9 src0_sel:BYTE_0 src1_sel:DWORD
	s_and_saveexec_b64 s[14:15], s[16:17]
	s_cbranch_execz .LBB527_872
; %bb.867:                              ;   in Loop: Header=BB527_794 Depth=1
	v_cmp_ne_u16_sdwa s[18:19], v4, s5 src0_sel:BYTE_0 src1_sel:DWORD
	v_bfrev_b32_e32 v16, 1
	s_and_saveexec_b64 s[16:17], s[18:19]
	s_cbranch_execz .LBB527_871
; %bb.868:                              ;   in Loop: Header=BB527_794 Depth=1
	v_and_b32_e32 v6, 0x7f, v4
	v_cmp_ne_u32_e32 vcc, s21, v6
	v_mov_b32_e32 v16, 0x7f800001
	s_and_saveexec_b64 s[18:19], vcc
	s_cbranch_execz .LBB527_870
; %bb.869:                              ;   in Loop: Header=BB527_794 Depth=1
	v_and_b32_e32 v8, 7, v4
	v_ffbh_u32_e32 v16, v8
	v_min_u32_e32 v16, 32, v16
	v_subrev_u32_e32 v18, 28, v16
	v_lshlrev_b64 v[18:19], v18, v[4:5]
	v_lshrrev_b32_e32 v13, 3, v6
	v_sub_u32_e32 v16, 29, v16
	v_and_b32_e32 v18, 7, v18
	v_cmp_gt_u32_e32 vcc, 8, v6
	v_cndmask_b32_e32 v6, v13, v16, vcc
	v_cndmask_b32_e32 v8, v8, v18, vcc
	v_lshlrev_b32_e32 v13, 24, v4
	v_lshlrev_b32_e32 v8, 20, v8
	v_and_b32_e32 v13, 0x80000000, v13
	v_lshl_add_u32 v6, v6, 23, v10
	v_or3_b32 v16, v13, v6, v8
.LBB527_870:                            ;   in Loop: Header=BB527_794 Depth=1
	s_or_b64 exec, exec, s[18:19]
.LBB527_871:                            ;   in Loop: Header=BB527_794 Depth=1
	s_or_b64 exec, exec, s[16:17]
.LBB527_872:                            ;   in Loop: Header=BB527_794 Depth=1
	s_or_b64 exec, exec, s[14:15]
	v_lshrrev_b16_e32 v6, 8, v4
	v_cmp_ne_u16_e32 vcc, 0, v6
	v_mov_b32_e32 v8, 0
	v_mov_b32_e32 v18, 0
	s_and_saveexec_b64 s[14:15], vcc
	s_cbranch_execz .LBB527_878
; %bb.873:                              ;   in Loop: Header=BB527_794 Depth=1
	v_cmp_ne_u16_e32 vcc, s5, v6
	v_bfrev_b32_e32 v18, 1
	s_and_saveexec_b64 s[16:17], vcc
	s_cbranch_execz .LBB527_877
; %bb.874:                              ;   in Loop: Header=BB527_794 Depth=1
	v_and_b32_e32 v13, 0x7f, v6
	v_cmp_ne_u32_e32 vcc, s21, v13
	v_mov_b32_e32 v18, 0x7f800001
	s_and_saveexec_b64 s[18:19], vcc
	s_cbranch_execz .LBB527_876
; %bb.875:                              ;   in Loop: Header=BB527_794 Depth=1
	v_and_b32_e32 v20, 7, v6
	v_ffbh_u32_e32 v18, v20
	v_min_u32_e32 v22, 32, v18
	v_subrev_u32_e32 v18, 28, v22
	v_lshlrev_b64 v[18:19], v18, v[6:7]
	v_lshrrev_b32_e32 v21, 3, v13
	v_sub_u32_e32 v6, 29, v22
	v_and_b32_e32 v18, 7, v18
	v_cmp_gt_u32_e32 vcc, 8, v13
	v_cndmask_b32_e32 v6, v21, v6, vcc
	v_cndmask_b32_e32 v13, v20, v18, vcc
	v_lshlrev_b32_e32 v18, 16, v4
	v_lshlrev_b32_e32 v13, 20, v13
	v_and_b32_e32 v18, 0x80000000, v18
	v_lshl_add_u32 v6, v6, 23, v10
	v_or3_b32 v18, v18, v6, v13
.LBB527_876:                            ;   in Loop: Header=BB527_794 Depth=1
	s_or_b64 exec, exec, s[18:19]
.LBB527_877:                            ;   in Loop: Header=BB527_794 Depth=1
	s_or_b64 exec, exec, s[16:17]
.LBB527_878:                            ;   in Loop: Header=BB527_794 Depth=1
	s_or_b64 exec, exec, s[14:15]
	v_lshrrev_b32_e32 v6, 16, v4
	v_cmp_ne_u16_sdwa s[16:17], v6, v9 src0_sel:BYTE_0 src1_sel:DWORD
	s_and_saveexec_b64 s[14:15], s[16:17]
	s_cbranch_execz .LBB527_884
; %bb.879:                              ;   in Loop: Header=BB527_794 Depth=1
	v_cmp_ne_u16_sdwa s[18:19], v6, s5 src0_sel:BYTE_0 src1_sel:DWORD
	v_bfrev_b32_e32 v8, 1
	s_and_saveexec_b64 s[16:17], s[18:19]
	s_cbranch_execz .LBB527_883
; %bb.880:                              ;   in Loop: Header=BB527_794 Depth=1
	v_bfe_u32 v13, v4, 16, 7
	v_cmp_ne_u32_e32 vcc, s21, v13
	v_mov_b32_e32 v8, 0x7f800001
	s_and_saveexec_b64 s[18:19], vcc
	s_cbranch_execz .LBB527_882
; %bb.881:                              ;   in Loop: Header=BB527_794 Depth=1
	v_and_b32_e32 v8, 7, v6
	v_ffbh_u32_e32 v20, v8
	v_min_u32_e32 v22, 32, v20
	v_subrev_u32_e32 v20, 28, v22
	v_lshlrev_b64 v[20:21], v20, v[6:7]
	v_lshrrev_b32_e32 v19, 3, v13
	v_sub_u32_e32 v21, 29, v22
	v_and_b32_e32 v20, 7, v20
	v_cmp_gt_u32_e32 vcc, 8, v13
	v_cndmask_b32_e32 v13, v19, v21, vcc
	v_cndmask_b32_e32 v8, v8, v20, vcc
	v_lshlrev_b32_e32 v6, 24, v6
	v_lshlrev_b32_e32 v8, 20, v8
	v_and_b32_e32 v6, 0x80000000, v6
	v_lshl_add_u32 v13, v13, 23, v10
	v_or3_b32 v8, v6, v13, v8
.LBB527_882:                            ;   in Loop: Header=BB527_794 Depth=1
	s_or_b64 exec, exec, s[18:19]
.LBB527_883:                            ;   in Loop: Header=BB527_794 Depth=1
	s_or_b64 exec, exec, s[16:17]
.LBB527_884:                            ;   in Loop: Header=BB527_794 Depth=1
	s_or_b64 exec, exec, s[14:15]
	v_cmp_lt_u32_e32 vcc, s22, v4
	v_mov_b32_e32 v13, 0
	v_mov_b32_e32 v19, 0
	s_and_saveexec_b64 s[14:15], vcc
	s_cbranch_execz .LBB527_890
; %bb.885:                              ;   in Loop: Header=BB527_794 Depth=1
	v_lshrrev_b32_e32 v6, 24, v4
	v_cmp_ne_u32_e32 vcc, s5, v6
	v_bfrev_b32_e32 v19, 1
	s_and_saveexec_b64 s[16:17], vcc
	s_cbranch_execz .LBB527_889
; %bb.886:                              ;   in Loop: Header=BB527_794 Depth=1
	v_bfe_u32 v4, v4, 24, 7
	v_cmp_ne_u32_e32 vcc, s21, v4
	v_mov_b32_e32 v19, 0x7f800001
	s_and_saveexec_b64 s[18:19], vcc
	s_cbranch_execz .LBB527_888
; %bb.887:                              ;   in Loop: Header=BB527_794 Depth=1
	v_and_b32_e32 v19, 7, v6
	v_ffbh_u32_e32 v20, v19
	v_min_u32_e32 v23, 32, v20
	v_subrev_u32_e32 v20, 28, v23
	v_lshlrev_b64 v[20:21], v20, v[6:7]
	v_lshrrev_b32_e32 v22, 3, v4
	v_sub_u32_e32 v21, 29, v23
	v_and_b32_e32 v20, 7, v20
	v_cmp_gt_u32_e32 vcc, 8, v4
	v_cndmask_b32_e32 v4, v22, v21, vcc
	v_cndmask_b32_e32 v19, v19, v20, vcc
	v_lshlrev_b32_e32 v6, 24, v6
	v_lshlrev_b32_e32 v19, 20, v19
	v_and_b32_e32 v6, 0x80000000, v6
	v_lshl_add_u32 v4, v4, 23, v10
	v_or3_b32 v19, v6, v4, v19
.LBB527_888:                            ;   in Loop: Header=BB527_794 Depth=1
	s_or_b64 exec, exec, s[18:19]
.LBB527_889:                            ;   in Loop: Header=BB527_794 Depth=1
	s_or_b64 exec, exec, s[16:17]
.LBB527_890:                            ;   in Loop: Header=BB527_794 Depth=1
	s_or_b64 exec, exec, s[14:15]
	buffer_load_dword v6, v11, s[0:3], 0 offen offset:16
	buffer_load_dword v4, v11, s[0:3], 0 offen offset:20
	v_cvt_pkrtz_f16_f32 v20, v12, v15
	v_cvt_pkrtz_f16_f32 v21, v14, v17
	;; [unrolled: 1-line block ×4, first 2 shown]
	v_mfma_f32_4x4x4f16 a[0:3], v[2:3], v[20:21], a[0:3] cbsz:4 abid:2
	s_waitcnt vmcnt(1)
	v_cmp_ne_u16_sdwa s[16:17], v6, v9 src0_sel:BYTE_0 src1_sel:DWORD
	v_mfma_f32_4x4x4f16 a[0:3], v[2:3], v[14:15], a[0:3] cbsz:4 abid:3
	s_and_saveexec_b64 s[14:15], s[16:17]
	s_cbranch_execz .LBB527_896
; %bb.891:                              ;   in Loop: Header=BB527_794 Depth=1
	v_cmp_ne_u16_sdwa s[18:19], v6, s5 src0_sel:BYTE_0 src1_sel:DWORD
	v_bfrev_b32_e32 v13, 1
	s_and_saveexec_b64 s[16:17], s[18:19]
	s_cbranch_execz .LBB527_895
; %bb.892:                              ;   in Loop: Header=BB527_794 Depth=1
	v_and_b32_e32 v8, 0x7f, v6
	v_cmp_ne_u32_e32 vcc, s21, v8
	v_mov_b32_e32 v13, 0x7f800001
	s_and_saveexec_b64 s[18:19], vcc
	s_cbranch_execz .LBB527_894
; %bb.893:                              ;   in Loop: Header=BB527_794 Depth=1
	v_and_b32_e32 v14, 7, v6
	v_ffbh_u32_e32 v12, v14
	v_min_u32_e32 v16, 32, v12
	v_subrev_u32_e32 v12, 28, v16
	v_lshlrev_b64 v[12:13], v12, v[6:7]
	v_lshrrev_b32_e32 v15, 3, v8
	v_sub_u32_e32 v13, 29, v16
	v_and_b32_e32 v12, 7, v12
	v_cmp_gt_u32_e32 vcc, 8, v8
	v_cndmask_b32_e32 v8, v15, v13, vcc
	v_cndmask_b32_e32 v12, v14, v12, vcc
	v_lshlrev_b32_e32 v13, 24, v6
	v_lshlrev_b32_e32 v12, 20, v12
	v_and_b32_e32 v13, 0x80000000, v13
	v_lshl_add_u32 v8, v8, 23, v10
	v_or3_b32 v13, v13, v8, v12
.LBB527_894:                            ;   in Loop: Header=BB527_794 Depth=1
	s_or_b64 exec, exec, s[18:19]
.LBB527_895:                            ;   in Loop: Header=BB527_794 Depth=1
	s_or_b64 exec, exec, s[16:17]
.LBB527_896:                            ;   in Loop: Header=BB527_794 Depth=1
	s_or_b64 exec, exec, s[14:15]
	v_lshrrev_b16_e32 v8, 8, v6
	v_cmp_ne_u16_e32 vcc, 0, v8
	v_mov_b32_e32 v14, 0
	v_mov_b32_e32 v15, 0
	s_and_saveexec_b64 s[14:15], vcc
	s_cbranch_execz .LBB527_902
; %bb.897:                              ;   in Loop: Header=BB527_794 Depth=1
	v_cmp_ne_u16_e32 vcc, s5, v8
	v_bfrev_b32_e32 v15, 1
	s_and_saveexec_b64 s[16:17], vcc
	s_cbranch_execz .LBB527_901
; %bb.898:                              ;   in Loop: Header=BB527_794 Depth=1
	v_and_b32_e32 v12, 0x7f, v8
	v_cmp_ne_u32_e32 vcc, s21, v12
	v_mov_b32_e32 v15, 0x7f800001
	s_and_saveexec_b64 s[18:19], vcc
	s_cbranch_execz .LBB527_900
; %bb.899:                              ;   in Loop: Header=BB527_794 Depth=1
	v_and_b32_e32 v15, 7, v8
	v_ffbh_u32_e32 v16, v15
	v_min_u32_e32 v19, 32, v16
	v_subrev_u32_e32 v16, 28, v19
	v_lshlrev_b64 v[16:17], v16, v[8:9]
	v_lshrrev_b32_e32 v18, 3, v12
	v_sub_u32_e32 v8, 29, v19
	v_and_b32_e32 v16, 7, v16
	v_cmp_gt_u32_e32 vcc, 8, v12
	v_cndmask_b32_e32 v8, v18, v8, vcc
	v_cndmask_b32_e32 v12, v15, v16, vcc
	v_lshlrev_b32_e32 v15, 16, v6
	v_lshlrev_b32_e32 v12, 20, v12
	v_and_b32_e32 v15, 0x80000000, v15
	v_lshl_add_u32 v8, v8, 23, v10
	v_or3_b32 v15, v15, v8, v12
.LBB527_900:                            ;   in Loop: Header=BB527_794 Depth=1
	s_or_b64 exec, exec, s[18:19]
.LBB527_901:                            ;   in Loop: Header=BB527_794 Depth=1
	s_or_b64 exec, exec, s[16:17]
.LBB527_902:                            ;   in Loop: Header=BB527_794 Depth=1
	s_or_b64 exec, exec, s[14:15]
	v_lshrrev_b32_e32 v8, 16, v6
	v_cmp_ne_u16_sdwa s[16:17], v8, v9 src0_sel:BYTE_0 src1_sel:DWORD
	s_and_saveexec_b64 s[14:15], s[16:17]
	s_cbranch_execz .LBB527_908
; %bb.903:                              ;   in Loop: Header=BB527_794 Depth=1
	v_cmp_ne_u16_sdwa s[18:19], v8, s5 src0_sel:BYTE_0 src1_sel:DWORD
	v_bfrev_b32_e32 v14, 1
	s_and_saveexec_b64 s[16:17], s[18:19]
	s_cbranch_execz .LBB527_907
; %bb.904:                              ;   in Loop: Header=BB527_794 Depth=1
	v_bfe_u32 v12, v6, 16, 7
	v_cmp_ne_u32_e32 vcc, s21, v12
	v_mov_b32_e32 v14, 0x7f800001
	s_and_saveexec_b64 s[18:19], vcc
	s_cbranch_execz .LBB527_906
; %bb.905:                              ;   in Loop: Header=BB527_794 Depth=1
	v_and_b32_e32 v14, 7, v8
	v_ffbh_u32_e32 v16, v14
	v_min_u32_e32 v19, 32, v16
	v_subrev_u32_e32 v16, 28, v19
	v_lshlrev_b64 v[16:17], v16, v[8:9]
	v_lshrrev_b32_e32 v18, 3, v12
	v_sub_u32_e32 v17, 29, v19
	v_and_b32_e32 v16, 7, v16
	v_cmp_gt_u32_e32 vcc, 8, v12
	v_cndmask_b32_e32 v12, v18, v17, vcc
	v_cndmask_b32_e32 v14, v14, v16, vcc
	v_lshlrev_b32_e32 v8, 24, v8
	v_lshlrev_b32_e32 v14, 20, v14
	v_and_b32_e32 v8, 0x80000000, v8
	v_lshl_add_u32 v12, v12, 23, v10
	v_or3_b32 v14, v8, v12, v14
.LBB527_906:                            ;   in Loop: Header=BB527_794 Depth=1
	s_or_b64 exec, exec, s[18:19]
.LBB527_907:                            ;   in Loop: Header=BB527_794 Depth=1
	s_or_b64 exec, exec, s[16:17]
.LBB527_908:                            ;   in Loop: Header=BB527_794 Depth=1
	s_or_b64 exec, exec, s[14:15]
	v_cmp_lt_u32_e32 vcc, s22, v6
	v_mov_b32_e32 v16, 0
	v_mov_b32_e32 v17, 0
	s_and_saveexec_b64 s[14:15], vcc
	s_cbranch_execz .LBB527_914
; %bb.909:                              ;   in Loop: Header=BB527_794 Depth=1
	v_lshrrev_b32_e32 v8, 24, v6
	v_cmp_ne_u32_e32 vcc, s5, v8
	v_bfrev_b32_e32 v17, 1
	s_and_saveexec_b64 s[16:17], vcc
	s_cbranch_execz .LBB527_913
; %bb.910:                              ;   in Loop: Header=BB527_794 Depth=1
	v_bfe_u32 v6, v6, 24, 7
	v_cmp_ne_u32_e32 vcc, s21, v6
	v_mov_b32_e32 v17, 0x7f800001
	s_and_saveexec_b64 s[18:19], vcc
	s_cbranch_execz .LBB527_912
; %bb.911:                              ;   in Loop: Header=BB527_794 Depth=1
	v_and_b32_e32 v12, 7, v8
	v_ffbh_u32_e32 v18, v12
	v_min_u32_e32 v20, 32, v18
	v_subrev_u32_e32 v18, 28, v20
	v_lshlrev_b64 v[18:19], v18, v[8:9]
	v_lshrrev_b32_e32 v17, 3, v6
	v_sub_u32_e32 v19, 29, v20
	v_and_b32_e32 v18, 7, v18
	v_cmp_gt_u32_e32 vcc, 8, v6
	v_cndmask_b32_e32 v6, v17, v19, vcc
	v_cndmask_b32_e32 v12, v12, v18, vcc
	v_lshlrev_b32_e32 v8, 24, v8
	v_lshlrev_b32_e32 v12, 20, v12
	v_and_b32_e32 v8, 0x80000000, v8
	v_lshl_add_u32 v6, v6, 23, v10
	v_or3_b32 v17, v8, v6, v12
.LBB527_912:                            ;   in Loop: Header=BB527_794 Depth=1
	s_or_b64 exec, exec, s[18:19]
.LBB527_913:                            ;   in Loop: Header=BB527_794 Depth=1
	s_or_b64 exec, exec, s[16:17]
.LBB527_914:                            ;   in Loop: Header=BB527_794 Depth=1
	s_or_b64 exec, exec, s[14:15]
	s_waitcnt vmcnt(0)
	v_cmp_ne_u16_sdwa s[16:17], v4, v9 src0_sel:BYTE_0 src1_sel:DWORD
	s_and_saveexec_b64 s[14:15], s[16:17]
	s_cbranch_execz .LBB527_920
; %bb.915:                              ;   in Loop: Header=BB527_794 Depth=1
	v_cmp_ne_u16_sdwa s[18:19], v4, s5 src0_sel:BYTE_0 src1_sel:DWORD
	v_bfrev_b32_e32 v16, 1
	s_and_saveexec_b64 s[16:17], s[18:19]
	s_cbranch_execz .LBB527_919
; %bb.916:                              ;   in Loop: Header=BB527_794 Depth=1
	v_and_b32_e32 v6, 0x7f, v4
	v_cmp_ne_u32_e32 vcc, s21, v6
	v_mov_b32_e32 v16, 0x7f800001
	s_and_saveexec_b64 s[18:19], vcc
	s_cbranch_execz .LBB527_918
; %bb.917:                              ;   in Loop: Header=BB527_794 Depth=1
	v_and_b32_e32 v8, 7, v4
	v_ffbh_u32_e32 v16, v8
	v_min_u32_e32 v16, 32, v16
	v_subrev_u32_e32 v18, 28, v16
	v_lshlrev_b64 v[18:19], v18, v[4:5]
	v_lshrrev_b32_e32 v12, 3, v6
	v_sub_u32_e32 v16, 29, v16
	v_and_b32_e32 v18, 7, v18
	v_cmp_gt_u32_e32 vcc, 8, v6
	v_cndmask_b32_e32 v6, v12, v16, vcc
	v_cndmask_b32_e32 v8, v8, v18, vcc
	v_lshlrev_b32_e32 v12, 24, v4
	v_lshlrev_b32_e32 v8, 20, v8
	v_and_b32_e32 v12, 0x80000000, v12
	v_lshl_add_u32 v6, v6, 23, v10
	v_or3_b32 v16, v12, v6, v8
.LBB527_918:                            ;   in Loop: Header=BB527_794 Depth=1
	s_or_b64 exec, exec, s[18:19]
.LBB527_919:                            ;   in Loop: Header=BB527_794 Depth=1
	s_or_b64 exec, exec, s[16:17]
.LBB527_920:                            ;   in Loop: Header=BB527_794 Depth=1
	s_or_b64 exec, exec, s[14:15]
	v_lshrrev_b16_e32 v6, 8, v4
	v_cmp_ne_u16_e32 vcc, 0, v6
	v_mov_b32_e32 v8, 0
	v_mov_b32_e32 v18, 0
	s_and_saveexec_b64 s[14:15], vcc
	s_cbranch_execz .LBB527_926
; %bb.921:                              ;   in Loop: Header=BB527_794 Depth=1
	v_cmp_ne_u16_e32 vcc, s5, v6
	v_bfrev_b32_e32 v18, 1
	s_and_saveexec_b64 s[16:17], vcc
	s_cbranch_execz .LBB527_925
; %bb.922:                              ;   in Loop: Header=BB527_794 Depth=1
	v_and_b32_e32 v12, 0x7f, v6
	v_cmp_ne_u32_e32 vcc, s21, v12
	v_mov_b32_e32 v18, 0x7f800001
	s_and_saveexec_b64 s[18:19], vcc
	s_cbranch_execz .LBB527_924
; %bb.923:                              ;   in Loop: Header=BB527_794 Depth=1
	v_and_b32_e32 v20, 7, v6
	v_ffbh_u32_e32 v18, v20
	v_min_u32_e32 v22, 32, v18
	v_subrev_u32_e32 v18, 28, v22
	v_lshlrev_b64 v[18:19], v18, v[6:7]
	v_lshrrev_b32_e32 v21, 3, v12
	v_sub_u32_e32 v6, 29, v22
	v_and_b32_e32 v18, 7, v18
	v_cmp_gt_u32_e32 vcc, 8, v12
	v_cndmask_b32_e32 v6, v21, v6, vcc
	v_cndmask_b32_e32 v12, v20, v18, vcc
	v_lshlrev_b32_e32 v18, 16, v4
	v_lshlrev_b32_e32 v12, 20, v12
	v_and_b32_e32 v18, 0x80000000, v18
	v_lshl_add_u32 v6, v6, 23, v10
	v_or3_b32 v18, v18, v6, v12
.LBB527_924:                            ;   in Loop: Header=BB527_794 Depth=1
	s_or_b64 exec, exec, s[18:19]
.LBB527_925:                            ;   in Loop: Header=BB527_794 Depth=1
	s_or_b64 exec, exec, s[16:17]
.LBB527_926:                            ;   in Loop: Header=BB527_794 Depth=1
	s_or_b64 exec, exec, s[14:15]
	v_lshrrev_b32_e32 v6, 16, v4
	v_cmp_ne_u16_sdwa s[16:17], v6, v9 src0_sel:BYTE_0 src1_sel:DWORD
	s_and_saveexec_b64 s[14:15], s[16:17]
	s_cbranch_execz .LBB527_932
; %bb.927:                              ;   in Loop: Header=BB527_794 Depth=1
	v_cmp_ne_u16_sdwa s[18:19], v6, s5 src0_sel:BYTE_0 src1_sel:DWORD
	v_bfrev_b32_e32 v8, 1
	s_and_saveexec_b64 s[16:17], s[18:19]
	s_cbranch_execz .LBB527_931
; %bb.928:                              ;   in Loop: Header=BB527_794 Depth=1
	v_bfe_u32 v12, v4, 16, 7
	v_cmp_ne_u32_e32 vcc, s21, v12
	v_mov_b32_e32 v8, 0x7f800001
	s_and_saveexec_b64 s[18:19], vcc
	s_cbranch_execz .LBB527_930
; %bb.929:                              ;   in Loop: Header=BB527_794 Depth=1
	v_and_b32_e32 v8, 7, v6
	v_ffbh_u32_e32 v20, v8
	v_min_u32_e32 v22, 32, v20
	v_subrev_u32_e32 v20, 28, v22
	v_lshlrev_b64 v[20:21], v20, v[6:7]
	v_lshrrev_b32_e32 v19, 3, v12
	v_sub_u32_e32 v21, 29, v22
	v_and_b32_e32 v20, 7, v20
	v_cmp_gt_u32_e32 vcc, 8, v12
	v_cndmask_b32_e32 v12, v19, v21, vcc
	v_cndmask_b32_e32 v8, v8, v20, vcc
	v_lshlrev_b32_e32 v6, 24, v6
	v_lshlrev_b32_e32 v8, 20, v8
	v_and_b32_e32 v6, 0x80000000, v6
	v_lshl_add_u32 v12, v12, 23, v10
	v_or3_b32 v8, v6, v12, v8
.LBB527_930:                            ;   in Loop: Header=BB527_794 Depth=1
	s_or_b64 exec, exec, s[18:19]
.LBB527_931:                            ;   in Loop: Header=BB527_794 Depth=1
	s_or_b64 exec, exec, s[16:17]
.LBB527_932:                            ;   in Loop: Header=BB527_794 Depth=1
	s_or_b64 exec, exec, s[14:15]
	v_cmp_lt_u32_e32 vcc, s22, v4
	v_mov_b32_e32 v12, 0
	v_mov_b32_e32 v19, 0
	s_and_saveexec_b64 s[14:15], vcc
	s_cbranch_execz .LBB527_938
; %bb.933:                              ;   in Loop: Header=BB527_794 Depth=1
	v_lshrrev_b32_e32 v6, 24, v4
	v_cmp_ne_u32_e32 vcc, s5, v6
	v_bfrev_b32_e32 v19, 1
	s_and_saveexec_b64 s[16:17], vcc
	s_cbranch_execz .LBB527_937
; %bb.934:                              ;   in Loop: Header=BB527_794 Depth=1
	v_bfe_u32 v4, v4, 24, 7
	v_cmp_ne_u32_e32 vcc, s21, v4
	v_mov_b32_e32 v19, 0x7f800001
	s_and_saveexec_b64 s[18:19], vcc
	s_cbranch_execz .LBB527_936
; %bb.935:                              ;   in Loop: Header=BB527_794 Depth=1
	v_and_b32_e32 v19, 7, v6
	v_ffbh_u32_e32 v20, v19
	v_min_u32_e32 v23, 32, v20
	v_subrev_u32_e32 v20, 28, v23
	v_lshlrev_b64 v[20:21], v20, v[6:7]
	v_lshrrev_b32_e32 v22, 3, v4
	v_sub_u32_e32 v21, 29, v23
	v_and_b32_e32 v20, 7, v20
	v_cmp_gt_u32_e32 vcc, 8, v4
	v_cndmask_b32_e32 v4, v22, v21, vcc
	v_cndmask_b32_e32 v19, v19, v20, vcc
	v_lshlrev_b32_e32 v6, 24, v6
	v_lshlrev_b32_e32 v19, 20, v19
	v_and_b32_e32 v6, 0x80000000, v6
	v_lshl_add_u32 v4, v4, 23, v10
	v_or3_b32 v19, v6, v4, v19
.LBB527_936:                            ;   in Loop: Header=BB527_794 Depth=1
	s_or_b64 exec, exec, s[18:19]
.LBB527_937:                            ;   in Loop: Header=BB527_794 Depth=1
	s_or_b64 exec, exec, s[16:17]
.LBB527_938:                            ;   in Loop: Header=BB527_794 Depth=1
	s_or_b64 exec, exec, s[14:15]
	buffer_load_dword v6, v11, s[0:3], 0 offen offset:24
	buffer_load_dword v4, v11, s[0:3], 0 offen offset:28
	v_cvt_pkrtz_f16_f32 v20, v13, v15
	v_cvt_pkrtz_f16_f32 v21, v14, v17
	;; [unrolled: 1-line block ×4, first 2 shown]
	v_mfma_f32_4x4x4f16 a[0:3], v[2:3], v[20:21], a[0:3] cbsz:4 abid:4
	s_waitcnt vmcnt(1)
	v_cmp_ne_u16_sdwa s[16:17], v6, v9 src0_sel:BYTE_0 src1_sel:DWORD
	v_mfma_f32_4x4x4f16 a[0:3], v[2:3], v[14:15], a[0:3] cbsz:4 abid:5
	s_and_saveexec_b64 s[14:15], s[16:17]
	s_cbranch_execz .LBB527_944
; %bb.939:                              ;   in Loop: Header=BB527_794 Depth=1
	v_cmp_ne_u16_sdwa s[18:19], v6, s5 src0_sel:BYTE_0 src1_sel:DWORD
	v_bfrev_b32_e32 v12, 1
	s_and_saveexec_b64 s[16:17], s[18:19]
	s_cbranch_execz .LBB527_943
; %bb.940:                              ;   in Loop: Header=BB527_794 Depth=1
	v_and_b32_e32 v8, 0x7f, v6
	v_cmp_ne_u32_e32 vcc, s21, v8
	v_mov_b32_e32 v12, 0x7f800001
	s_and_saveexec_b64 s[18:19], vcc
	s_cbranch_execz .LBB527_942
; %bb.941:                              ;   in Loop: Header=BB527_794 Depth=1
	v_and_b32_e32 v14, 7, v6
	v_ffbh_u32_e32 v12, v14
	v_min_u32_e32 v16, 32, v12
	v_subrev_u32_e32 v12, 28, v16
	v_lshlrev_b64 v[12:13], v12, v[6:7]
	v_lshrrev_b32_e32 v15, 3, v8
	v_sub_u32_e32 v13, 29, v16
	v_and_b32_e32 v12, 7, v12
	v_cmp_gt_u32_e32 vcc, 8, v8
	v_cndmask_b32_e32 v8, v15, v13, vcc
	v_cndmask_b32_e32 v12, v14, v12, vcc
	v_lshlrev_b32_e32 v13, 24, v6
	v_lshlrev_b32_e32 v12, 20, v12
	v_and_b32_e32 v13, 0x80000000, v13
	v_lshl_add_u32 v8, v8, 23, v10
	v_or3_b32 v12, v13, v8, v12
.LBB527_942:                            ;   in Loop: Header=BB527_794 Depth=1
	s_or_b64 exec, exec, s[18:19]
.LBB527_943:                            ;   in Loop: Header=BB527_794 Depth=1
	s_or_b64 exec, exec, s[16:17]
.LBB527_944:                            ;   in Loop: Header=BB527_794 Depth=1
	s_or_b64 exec, exec, s[14:15]
	v_lshrrev_b16_e32 v8, 8, v6
	v_cmp_ne_u16_e32 vcc, 0, v8
	v_mov_b32_e32 v14, 0
	v_mov_b32_e32 v15, 0
	s_and_saveexec_b64 s[14:15], vcc
	s_cbranch_execz .LBB527_950
; %bb.945:                              ;   in Loop: Header=BB527_794 Depth=1
	v_cmp_ne_u16_e32 vcc, s5, v8
	v_bfrev_b32_e32 v15, 1
	s_and_saveexec_b64 s[16:17], vcc
	s_cbranch_execz .LBB527_949
; %bb.946:                              ;   in Loop: Header=BB527_794 Depth=1
	v_and_b32_e32 v13, 0x7f, v8
	v_cmp_ne_u32_e32 vcc, s21, v13
	v_mov_b32_e32 v15, 0x7f800001
	s_and_saveexec_b64 s[18:19], vcc
	s_cbranch_execz .LBB527_948
; %bb.947:                              ;   in Loop: Header=BB527_794 Depth=1
	v_and_b32_e32 v15, 7, v8
	v_ffbh_u32_e32 v16, v15
	v_min_u32_e32 v19, 32, v16
	v_subrev_u32_e32 v16, 28, v19
	v_lshlrev_b64 v[16:17], v16, v[8:9]
	v_lshrrev_b32_e32 v18, 3, v13
	v_sub_u32_e32 v8, 29, v19
	v_and_b32_e32 v16, 7, v16
	v_cmp_gt_u32_e32 vcc, 8, v13
	v_cndmask_b32_e32 v8, v18, v8, vcc
	v_cndmask_b32_e32 v13, v15, v16, vcc
	v_lshlrev_b32_e32 v15, 16, v6
	v_lshlrev_b32_e32 v13, 20, v13
	v_and_b32_e32 v15, 0x80000000, v15
	v_lshl_add_u32 v8, v8, 23, v10
	v_or3_b32 v15, v15, v8, v13
.LBB527_948:                            ;   in Loop: Header=BB527_794 Depth=1
	s_or_b64 exec, exec, s[18:19]
.LBB527_949:                            ;   in Loop: Header=BB527_794 Depth=1
	s_or_b64 exec, exec, s[16:17]
.LBB527_950:                            ;   in Loop: Header=BB527_794 Depth=1
	s_or_b64 exec, exec, s[14:15]
	v_lshrrev_b32_e32 v8, 16, v6
	v_cmp_ne_u16_sdwa s[16:17], v8, v9 src0_sel:BYTE_0 src1_sel:DWORD
	s_and_saveexec_b64 s[14:15], s[16:17]
	s_cbranch_execz .LBB527_956
; %bb.951:                              ;   in Loop: Header=BB527_794 Depth=1
	v_cmp_ne_u16_sdwa s[18:19], v8, s5 src0_sel:BYTE_0 src1_sel:DWORD
	v_bfrev_b32_e32 v14, 1
	s_and_saveexec_b64 s[16:17], s[18:19]
	s_cbranch_execz .LBB527_955
; %bb.952:                              ;   in Loop: Header=BB527_794 Depth=1
	v_bfe_u32 v13, v6, 16, 7
	v_cmp_ne_u32_e32 vcc, s21, v13
	v_mov_b32_e32 v14, 0x7f800001
	s_and_saveexec_b64 s[18:19], vcc
	s_cbranch_execz .LBB527_954
; %bb.953:                              ;   in Loop: Header=BB527_794 Depth=1
	v_and_b32_e32 v14, 7, v8
	v_ffbh_u32_e32 v16, v14
	v_min_u32_e32 v19, 32, v16
	v_subrev_u32_e32 v16, 28, v19
	v_lshlrev_b64 v[16:17], v16, v[8:9]
	v_lshrrev_b32_e32 v18, 3, v13
	v_sub_u32_e32 v17, 29, v19
	v_and_b32_e32 v16, 7, v16
	v_cmp_gt_u32_e32 vcc, 8, v13
	v_cndmask_b32_e32 v13, v18, v17, vcc
	v_cndmask_b32_e32 v14, v14, v16, vcc
	v_lshlrev_b32_e32 v8, 24, v8
	v_lshlrev_b32_e32 v14, 20, v14
	v_and_b32_e32 v8, 0x80000000, v8
	v_lshl_add_u32 v13, v13, 23, v10
	v_or3_b32 v14, v8, v13, v14
.LBB527_954:                            ;   in Loop: Header=BB527_794 Depth=1
	s_or_b64 exec, exec, s[18:19]
.LBB527_955:                            ;   in Loop: Header=BB527_794 Depth=1
	s_or_b64 exec, exec, s[16:17]
.LBB527_956:                            ;   in Loop: Header=BB527_794 Depth=1
	s_or_b64 exec, exec, s[14:15]
	v_cmp_lt_u32_e32 vcc, s22, v6
	v_mov_b32_e32 v16, 0
	v_mov_b32_e32 v17, 0
	s_and_saveexec_b64 s[14:15], vcc
	s_cbranch_execz .LBB527_962
; %bb.957:                              ;   in Loop: Header=BB527_794 Depth=1
	v_lshrrev_b32_e32 v8, 24, v6
	v_cmp_ne_u32_e32 vcc, s5, v8
	v_bfrev_b32_e32 v17, 1
	s_and_saveexec_b64 s[16:17], vcc
	s_cbranch_execz .LBB527_961
; %bb.958:                              ;   in Loop: Header=BB527_794 Depth=1
	v_bfe_u32 v6, v6, 24, 7
	v_cmp_ne_u32_e32 vcc, s21, v6
	v_mov_b32_e32 v17, 0x7f800001
	s_and_saveexec_b64 s[18:19], vcc
	s_cbranch_execz .LBB527_960
; %bb.959:                              ;   in Loop: Header=BB527_794 Depth=1
	v_and_b32_e32 v13, 7, v8
	v_ffbh_u32_e32 v18, v13
	v_min_u32_e32 v20, 32, v18
	v_subrev_u32_e32 v18, 28, v20
	v_lshlrev_b64 v[18:19], v18, v[8:9]
	v_lshrrev_b32_e32 v17, 3, v6
	v_sub_u32_e32 v19, 29, v20
	v_and_b32_e32 v18, 7, v18
	v_cmp_gt_u32_e32 vcc, 8, v6
	v_cndmask_b32_e32 v6, v17, v19, vcc
	v_cndmask_b32_e32 v13, v13, v18, vcc
	v_lshlrev_b32_e32 v8, 24, v8
	v_lshlrev_b32_e32 v13, 20, v13
	v_and_b32_e32 v8, 0x80000000, v8
	v_lshl_add_u32 v6, v6, 23, v10
	v_or3_b32 v17, v8, v6, v13
.LBB527_960:                            ;   in Loop: Header=BB527_794 Depth=1
	s_or_b64 exec, exec, s[18:19]
.LBB527_961:                            ;   in Loop: Header=BB527_794 Depth=1
	s_or_b64 exec, exec, s[16:17]
.LBB527_962:                            ;   in Loop: Header=BB527_794 Depth=1
	s_or_b64 exec, exec, s[14:15]
	s_waitcnt vmcnt(0)
	v_cmp_ne_u16_sdwa s[16:17], v4, v9 src0_sel:BYTE_0 src1_sel:DWORD
	s_and_saveexec_b64 s[14:15], s[16:17]
	s_cbranch_execz .LBB527_968
; %bb.963:                              ;   in Loop: Header=BB527_794 Depth=1
	v_cmp_ne_u16_sdwa s[18:19], v4, s5 src0_sel:BYTE_0 src1_sel:DWORD
	v_bfrev_b32_e32 v16, 1
	s_and_saveexec_b64 s[16:17], s[18:19]
	s_cbranch_execz .LBB527_967
; %bb.964:                              ;   in Loop: Header=BB527_794 Depth=1
	v_and_b32_e32 v6, 0x7f, v4
	v_cmp_ne_u32_e32 vcc, s21, v6
	v_mov_b32_e32 v16, 0x7f800001
	s_and_saveexec_b64 s[18:19], vcc
	s_cbranch_execz .LBB527_966
; %bb.965:                              ;   in Loop: Header=BB527_794 Depth=1
	v_and_b32_e32 v8, 7, v4
	v_ffbh_u32_e32 v16, v8
	v_min_u32_e32 v16, 32, v16
	v_subrev_u32_e32 v18, 28, v16
	v_lshlrev_b64 v[18:19], v18, v[4:5]
	v_lshrrev_b32_e32 v13, 3, v6
	v_sub_u32_e32 v16, 29, v16
	v_and_b32_e32 v18, 7, v18
	v_cmp_gt_u32_e32 vcc, 8, v6
	v_cndmask_b32_e32 v6, v13, v16, vcc
	v_cndmask_b32_e32 v8, v8, v18, vcc
	v_lshlrev_b32_e32 v13, 24, v4
	v_lshlrev_b32_e32 v8, 20, v8
	v_and_b32_e32 v13, 0x80000000, v13
	v_lshl_add_u32 v6, v6, 23, v10
	v_or3_b32 v16, v13, v6, v8
.LBB527_966:                            ;   in Loop: Header=BB527_794 Depth=1
	s_or_b64 exec, exec, s[18:19]
.LBB527_967:                            ;   in Loop: Header=BB527_794 Depth=1
	s_or_b64 exec, exec, s[16:17]
.LBB527_968:                            ;   in Loop: Header=BB527_794 Depth=1
	s_or_b64 exec, exec, s[14:15]
	v_lshrrev_b16_e32 v6, 8, v4
	v_cmp_ne_u16_e32 vcc, 0, v6
	v_mov_b32_e32 v8, 0
	v_mov_b32_e32 v18, 0
	s_and_saveexec_b64 s[14:15], vcc
	s_cbranch_execz .LBB527_974
; %bb.969:                              ;   in Loop: Header=BB527_794 Depth=1
	v_cmp_ne_u16_e32 vcc, s5, v6
	v_bfrev_b32_e32 v18, 1
	s_and_saveexec_b64 s[16:17], vcc
	s_cbranch_execz .LBB527_973
; %bb.970:                              ;   in Loop: Header=BB527_794 Depth=1
	v_and_b32_e32 v13, 0x7f, v6
	v_cmp_ne_u32_e32 vcc, s21, v13
	v_mov_b32_e32 v18, 0x7f800001
	s_and_saveexec_b64 s[18:19], vcc
	s_cbranch_execz .LBB527_972
; %bb.971:                              ;   in Loop: Header=BB527_794 Depth=1
	v_and_b32_e32 v20, 7, v6
	v_ffbh_u32_e32 v18, v20
	v_min_u32_e32 v22, 32, v18
	v_subrev_u32_e32 v18, 28, v22
	v_lshlrev_b64 v[18:19], v18, v[6:7]
	v_lshrrev_b32_e32 v21, 3, v13
	v_sub_u32_e32 v6, 29, v22
	v_and_b32_e32 v18, 7, v18
	v_cmp_gt_u32_e32 vcc, 8, v13
	v_cndmask_b32_e32 v6, v21, v6, vcc
	v_cndmask_b32_e32 v13, v20, v18, vcc
	v_lshlrev_b32_e32 v18, 16, v4
	v_lshlrev_b32_e32 v13, 20, v13
	v_and_b32_e32 v18, 0x80000000, v18
	v_lshl_add_u32 v6, v6, 23, v10
	v_or3_b32 v18, v18, v6, v13
.LBB527_972:                            ;   in Loop: Header=BB527_794 Depth=1
	s_or_b64 exec, exec, s[18:19]
.LBB527_973:                            ;   in Loop: Header=BB527_794 Depth=1
	s_or_b64 exec, exec, s[16:17]
.LBB527_974:                            ;   in Loop: Header=BB527_794 Depth=1
	s_or_b64 exec, exec, s[14:15]
	v_lshrrev_b32_e32 v6, 16, v4
	v_cmp_ne_u16_sdwa s[16:17], v6, v9 src0_sel:BYTE_0 src1_sel:DWORD
	s_and_saveexec_b64 s[14:15], s[16:17]
	s_cbranch_execz .LBB527_980
; %bb.975:                              ;   in Loop: Header=BB527_794 Depth=1
	v_cmp_ne_u16_sdwa s[18:19], v6, s5 src0_sel:BYTE_0 src1_sel:DWORD
	v_bfrev_b32_e32 v8, 1
	s_and_saveexec_b64 s[16:17], s[18:19]
	s_cbranch_execz .LBB527_979
; %bb.976:                              ;   in Loop: Header=BB527_794 Depth=1
	v_bfe_u32 v13, v4, 16, 7
	v_cmp_ne_u32_e32 vcc, s21, v13
	v_mov_b32_e32 v8, 0x7f800001
	s_and_saveexec_b64 s[18:19], vcc
	s_cbranch_execz .LBB527_978
; %bb.977:                              ;   in Loop: Header=BB527_794 Depth=1
	v_and_b32_e32 v8, 7, v6
	v_ffbh_u32_e32 v20, v8
	v_min_u32_e32 v22, 32, v20
	v_subrev_u32_e32 v20, 28, v22
	v_lshlrev_b64 v[20:21], v20, v[6:7]
	v_lshrrev_b32_e32 v19, 3, v13
	v_sub_u32_e32 v21, 29, v22
	v_and_b32_e32 v20, 7, v20
	v_cmp_gt_u32_e32 vcc, 8, v13
	v_cndmask_b32_e32 v13, v19, v21, vcc
	v_cndmask_b32_e32 v8, v8, v20, vcc
	v_lshlrev_b32_e32 v6, 24, v6
	v_lshlrev_b32_e32 v8, 20, v8
	v_and_b32_e32 v6, 0x80000000, v6
	v_lshl_add_u32 v13, v13, 23, v10
	v_or3_b32 v8, v6, v13, v8
.LBB527_978:                            ;   in Loop: Header=BB527_794 Depth=1
	s_or_b64 exec, exec, s[18:19]
.LBB527_979:                            ;   in Loop: Header=BB527_794 Depth=1
	s_or_b64 exec, exec, s[16:17]
.LBB527_980:                            ;   in Loop: Header=BB527_794 Depth=1
	s_or_b64 exec, exec, s[14:15]
	v_cmp_lt_u32_e32 vcc, s22, v4
	v_mov_b32_e32 v13, 0
	v_mov_b32_e32 v19, 0
	s_and_saveexec_b64 s[14:15], vcc
	s_cbranch_execz .LBB527_986
; %bb.981:                              ;   in Loop: Header=BB527_794 Depth=1
	v_lshrrev_b32_e32 v6, 24, v4
	v_cmp_ne_u32_e32 vcc, s5, v6
	v_bfrev_b32_e32 v19, 1
	s_and_saveexec_b64 s[16:17], vcc
	s_cbranch_execz .LBB527_985
; %bb.982:                              ;   in Loop: Header=BB527_794 Depth=1
	v_bfe_u32 v4, v4, 24, 7
	v_cmp_ne_u32_e32 vcc, s21, v4
	v_mov_b32_e32 v19, 0x7f800001
	s_and_saveexec_b64 s[18:19], vcc
	s_cbranch_execz .LBB527_984
; %bb.983:                              ;   in Loop: Header=BB527_794 Depth=1
	v_and_b32_e32 v19, 7, v6
	v_ffbh_u32_e32 v20, v19
	v_min_u32_e32 v23, 32, v20
	v_subrev_u32_e32 v20, 28, v23
	v_lshlrev_b64 v[20:21], v20, v[6:7]
	v_lshrrev_b32_e32 v22, 3, v4
	v_sub_u32_e32 v21, 29, v23
	v_and_b32_e32 v20, 7, v20
	v_cmp_gt_u32_e32 vcc, 8, v4
	v_cndmask_b32_e32 v4, v22, v21, vcc
	v_cndmask_b32_e32 v19, v19, v20, vcc
	v_lshlrev_b32_e32 v6, 24, v6
	v_lshlrev_b32_e32 v19, 20, v19
	v_and_b32_e32 v6, 0x80000000, v6
	v_lshl_add_u32 v4, v4, 23, v10
	v_or3_b32 v19, v6, v4, v19
.LBB527_984:                            ;   in Loop: Header=BB527_794 Depth=1
	s_or_b64 exec, exec, s[18:19]
.LBB527_985:                            ;   in Loop: Header=BB527_794 Depth=1
	s_or_b64 exec, exec, s[16:17]
.LBB527_986:                            ;   in Loop: Header=BB527_794 Depth=1
	s_or_b64 exec, exec, s[14:15]
	buffer_load_dword v6, v11, s[0:3], 0 offen offset:32
	buffer_load_dword v4, v11, s[0:3], 0 offen offset:36
	v_cvt_pkrtz_f16_f32 v20, v12, v15
	v_cvt_pkrtz_f16_f32 v21, v14, v17
	;; [unrolled: 1-line block ×4, first 2 shown]
	v_mfma_f32_4x4x4f16 a[0:3], v[2:3], v[20:21], a[0:3] cbsz:4 abid:6
	s_waitcnt vmcnt(1)
	v_cmp_ne_u16_sdwa s[16:17], v6, v9 src0_sel:BYTE_0 src1_sel:DWORD
	v_mfma_f32_4x4x4f16 a[0:3], v[2:3], v[14:15], a[0:3] cbsz:4 abid:7
	s_and_saveexec_b64 s[14:15], s[16:17]
	s_cbranch_execz .LBB527_992
; %bb.987:                              ;   in Loop: Header=BB527_794 Depth=1
	v_cmp_ne_u16_sdwa s[18:19], v6, s5 src0_sel:BYTE_0 src1_sel:DWORD
	v_bfrev_b32_e32 v13, 1
	s_and_saveexec_b64 s[16:17], s[18:19]
	s_cbranch_execz .LBB527_991
; %bb.988:                              ;   in Loop: Header=BB527_794 Depth=1
	v_and_b32_e32 v8, 0x7f, v6
	v_cmp_ne_u32_e32 vcc, s21, v8
	v_mov_b32_e32 v13, 0x7f800001
	s_and_saveexec_b64 s[18:19], vcc
	s_cbranch_execz .LBB527_990
; %bb.989:                              ;   in Loop: Header=BB527_794 Depth=1
	v_and_b32_e32 v14, 7, v6
	v_ffbh_u32_e32 v12, v14
	v_min_u32_e32 v16, 32, v12
	v_subrev_u32_e32 v12, 28, v16
	v_lshlrev_b64 v[12:13], v12, v[6:7]
	v_lshrrev_b32_e32 v15, 3, v8
	v_sub_u32_e32 v13, 29, v16
	v_and_b32_e32 v12, 7, v12
	v_cmp_gt_u32_e32 vcc, 8, v8
	v_cndmask_b32_e32 v8, v15, v13, vcc
	v_cndmask_b32_e32 v12, v14, v12, vcc
	v_lshlrev_b32_e32 v13, 24, v6
	v_lshlrev_b32_e32 v12, 20, v12
	v_and_b32_e32 v13, 0x80000000, v13
	v_lshl_add_u32 v8, v8, 23, v10
	v_or3_b32 v13, v13, v8, v12
.LBB527_990:                            ;   in Loop: Header=BB527_794 Depth=1
	s_or_b64 exec, exec, s[18:19]
.LBB527_991:                            ;   in Loop: Header=BB527_794 Depth=1
	s_or_b64 exec, exec, s[16:17]
.LBB527_992:                            ;   in Loop: Header=BB527_794 Depth=1
	s_or_b64 exec, exec, s[14:15]
	v_lshrrev_b16_e32 v8, 8, v6
	v_cmp_ne_u16_e32 vcc, 0, v8
	v_mov_b32_e32 v12, 0
	v_mov_b32_e32 v15, 0
	s_and_saveexec_b64 s[14:15], vcc
	s_cbranch_execz .LBB527_998
; %bb.993:                              ;   in Loop: Header=BB527_794 Depth=1
	v_cmp_ne_u16_e32 vcc, s5, v8
	v_bfrev_b32_e32 v15, 1
	s_and_saveexec_b64 s[16:17], vcc
	s_cbranch_execz .LBB527_997
; %bb.994:                              ;   in Loop: Header=BB527_794 Depth=1
	v_and_b32_e32 v14, 0x7f, v8
	v_cmp_ne_u32_e32 vcc, s21, v14
	v_mov_b32_e32 v15, 0x7f800001
	s_and_saveexec_b64 s[18:19], vcc
	s_cbranch_execz .LBB527_996
; %bb.995:                              ;   in Loop: Header=BB527_794 Depth=1
	v_and_b32_e32 v15, 7, v8
	v_ffbh_u32_e32 v16, v15
	v_min_u32_e32 v19, 32, v16
	v_subrev_u32_e32 v16, 28, v19
	v_lshlrev_b64 v[16:17], v16, v[8:9]
	v_lshrrev_b32_e32 v18, 3, v14
	v_sub_u32_e32 v8, 29, v19
	v_and_b32_e32 v16, 7, v16
	v_cmp_gt_u32_e32 vcc, 8, v14
	v_cndmask_b32_e32 v8, v18, v8, vcc
	v_cndmask_b32_e32 v14, v15, v16, vcc
	v_lshlrev_b32_e32 v15, 16, v6
	v_lshlrev_b32_e32 v14, 20, v14
	v_and_b32_e32 v15, 0x80000000, v15
	v_lshl_add_u32 v8, v8, 23, v10
	v_or3_b32 v15, v15, v8, v14
.LBB527_996:                            ;   in Loop: Header=BB527_794 Depth=1
	s_or_b64 exec, exec, s[18:19]
.LBB527_997:                            ;   in Loop: Header=BB527_794 Depth=1
	s_or_b64 exec, exec, s[16:17]
.LBB527_998:                            ;   in Loop: Header=BB527_794 Depth=1
	s_or_b64 exec, exec, s[14:15]
	v_lshrrev_b32_e32 v8, 16, v6
	v_cmp_ne_u16_sdwa s[16:17], v8, v9 src0_sel:BYTE_0 src1_sel:DWORD
	s_and_saveexec_b64 s[14:15], s[16:17]
	s_cbranch_execz .LBB527_1004
; %bb.999:                              ;   in Loop: Header=BB527_794 Depth=1
	v_cmp_ne_u16_sdwa s[18:19], v8, s5 src0_sel:BYTE_0 src1_sel:DWORD
	v_bfrev_b32_e32 v12, 1
	s_and_saveexec_b64 s[16:17], s[18:19]
	s_cbranch_execz .LBB527_1003
; %bb.1000:                             ;   in Loop: Header=BB527_794 Depth=1
	v_bfe_u32 v14, v6, 16, 7
	v_cmp_ne_u32_e32 vcc, s21, v14
	v_mov_b32_e32 v12, 0x7f800001
	s_and_saveexec_b64 s[18:19], vcc
	s_cbranch_execz .LBB527_1002
; %bb.1001:                             ;   in Loop: Header=BB527_794 Depth=1
	v_and_b32_e32 v12, 7, v8
	v_ffbh_u32_e32 v16, v12
	v_min_u32_e32 v19, 32, v16
	v_subrev_u32_e32 v16, 28, v19
	v_lshlrev_b64 v[16:17], v16, v[8:9]
	v_lshrrev_b32_e32 v18, 3, v14
	v_sub_u32_e32 v17, 29, v19
	v_and_b32_e32 v16, 7, v16
	v_cmp_gt_u32_e32 vcc, 8, v14
	v_cndmask_b32_e32 v14, v18, v17, vcc
	v_cndmask_b32_e32 v12, v12, v16, vcc
	v_lshlrev_b32_e32 v8, 24, v8
	v_lshlrev_b32_e32 v12, 20, v12
	v_and_b32_e32 v8, 0x80000000, v8
	v_lshl_add_u32 v14, v14, 23, v10
	v_or3_b32 v12, v8, v14, v12
.LBB527_1002:                           ;   in Loop: Header=BB527_794 Depth=1
	s_or_b64 exec, exec, s[18:19]
.LBB527_1003:                           ;   in Loop: Header=BB527_794 Depth=1
	s_or_b64 exec, exec, s[16:17]
.LBB527_1004:                           ;   in Loop: Header=BB527_794 Depth=1
	s_or_b64 exec, exec, s[14:15]
	v_cmp_lt_u32_e32 vcc, s22, v6
	v_mov_b32_e32 v16, 0
	v_mov_b32_e32 v17, 0
	s_and_saveexec_b64 s[14:15], vcc
	s_cbranch_execz .LBB527_1010
; %bb.1005:                             ;   in Loop: Header=BB527_794 Depth=1
	v_lshrrev_b32_e32 v8, 24, v6
	v_cmp_ne_u32_e32 vcc, s5, v8
	v_bfrev_b32_e32 v17, 1
	s_and_saveexec_b64 s[16:17], vcc
	s_cbranch_execz .LBB527_1009
; %bb.1006:                             ;   in Loop: Header=BB527_794 Depth=1
	v_bfe_u32 v6, v6, 24, 7
	v_cmp_ne_u32_e32 vcc, s21, v6
	v_mov_b32_e32 v17, 0x7f800001
	s_and_saveexec_b64 s[18:19], vcc
	s_cbranch_execz .LBB527_1008
; %bb.1007:                             ;   in Loop: Header=BB527_794 Depth=1
	v_and_b32_e32 v14, 7, v8
	v_ffbh_u32_e32 v18, v14
	v_min_u32_e32 v20, 32, v18
	v_subrev_u32_e32 v18, 28, v20
	v_lshlrev_b64 v[18:19], v18, v[8:9]
	v_lshrrev_b32_e32 v17, 3, v6
	v_sub_u32_e32 v19, 29, v20
	v_and_b32_e32 v18, 7, v18
	v_cmp_gt_u32_e32 vcc, 8, v6
	v_cndmask_b32_e32 v6, v17, v19, vcc
	v_cndmask_b32_e32 v14, v14, v18, vcc
	v_lshlrev_b32_e32 v8, 24, v8
	v_lshlrev_b32_e32 v14, 20, v14
	v_and_b32_e32 v8, 0x80000000, v8
	v_lshl_add_u32 v6, v6, 23, v10
	v_or3_b32 v17, v8, v6, v14
.LBB527_1008:                           ;   in Loop: Header=BB527_794 Depth=1
	s_or_b64 exec, exec, s[18:19]
.LBB527_1009:                           ;   in Loop: Header=BB527_794 Depth=1
	s_or_b64 exec, exec, s[16:17]
.LBB527_1010:                           ;   in Loop: Header=BB527_794 Depth=1
	s_or_b64 exec, exec, s[14:15]
	s_waitcnt vmcnt(0)
	v_cmp_ne_u16_sdwa s[16:17], v4, v9 src0_sel:BYTE_0 src1_sel:DWORD
	s_and_saveexec_b64 s[14:15], s[16:17]
	s_cbranch_execz .LBB527_1016
; %bb.1011:                             ;   in Loop: Header=BB527_794 Depth=1
	v_cmp_ne_u16_sdwa s[18:19], v4, s5 src0_sel:BYTE_0 src1_sel:DWORD
	v_bfrev_b32_e32 v16, 1
	s_and_saveexec_b64 s[16:17], s[18:19]
	s_cbranch_execz .LBB527_1015
; %bb.1012:                             ;   in Loop: Header=BB527_794 Depth=1
	v_and_b32_e32 v6, 0x7f, v4
	v_cmp_ne_u32_e32 vcc, s21, v6
	v_mov_b32_e32 v16, 0x7f800001
	s_and_saveexec_b64 s[18:19], vcc
	s_cbranch_execz .LBB527_1014
; %bb.1013:                             ;   in Loop: Header=BB527_794 Depth=1
	v_and_b32_e32 v8, 7, v4
	v_ffbh_u32_e32 v16, v8
	v_min_u32_e32 v16, 32, v16
	v_subrev_u32_e32 v18, 28, v16
	v_lshlrev_b64 v[18:19], v18, v[4:5]
	v_lshrrev_b32_e32 v14, 3, v6
	v_sub_u32_e32 v16, 29, v16
	v_and_b32_e32 v18, 7, v18
	v_cmp_gt_u32_e32 vcc, 8, v6
	v_cndmask_b32_e32 v6, v14, v16, vcc
	v_cndmask_b32_e32 v8, v8, v18, vcc
	v_lshlrev_b32_e32 v14, 24, v4
	v_lshlrev_b32_e32 v8, 20, v8
	v_and_b32_e32 v14, 0x80000000, v14
	v_lshl_add_u32 v6, v6, 23, v10
	v_or3_b32 v16, v14, v6, v8
.LBB527_1014:                           ;   in Loop: Header=BB527_794 Depth=1
	s_or_b64 exec, exec, s[18:19]
.LBB527_1015:                           ;   in Loop: Header=BB527_794 Depth=1
	s_or_b64 exec, exec, s[16:17]
.LBB527_1016:                           ;   in Loop: Header=BB527_794 Depth=1
	s_or_b64 exec, exec, s[14:15]
	v_lshrrev_b16_e32 v6, 8, v4
	v_cmp_ne_u16_e32 vcc, 0, v6
	v_mov_b32_e32 v8, 0
	v_mov_b32_e32 v18, 0
	s_and_saveexec_b64 s[14:15], vcc
	s_cbranch_execz .LBB527_1022
; %bb.1017:                             ;   in Loop: Header=BB527_794 Depth=1
	v_cmp_ne_u16_e32 vcc, s5, v6
	v_bfrev_b32_e32 v18, 1
	s_and_saveexec_b64 s[16:17], vcc
	s_cbranch_execz .LBB527_1021
; %bb.1018:                             ;   in Loop: Header=BB527_794 Depth=1
	v_and_b32_e32 v14, 0x7f, v6
	v_cmp_ne_u32_e32 vcc, s21, v14
	v_mov_b32_e32 v18, 0x7f800001
	s_and_saveexec_b64 s[18:19], vcc
	s_cbranch_execz .LBB527_1020
; %bb.1019:                             ;   in Loop: Header=BB527_794 Depth=1
	v_and_b32_e32 v20, 7, v6
	v_ffbh_u32_e32 v18, v20
	v_min_u32_e32 v22, 32, v18
	v_subrev_u32_e32 v18, 28, v22
	v_lshlrev_b64 v[18:19], v18, v[6:7]
	v_lshrrev_b32_e32 v21, 3, v14
	v_sub_u32_e32 v6, 29, v22
	v_and_b32_e32 v18, 7, v18
	v_cmp_gt_u32_e32 vcc, 8, v14
	v_cndmask_b32_e32 v6, v21, v6, vcc
	v_cndmask_b32_e32 v14, v20, v18, vcc
	v_lshlrev_b32_e32 v18, 16, v4
	v_lshlrev_b32_e32 v14, 20, v14
	v_and_b32_e32 v18, 0x80000000, v18
	v_lshl_add_u32 v6, v6, 23, v10
	v_or3_b32 v18, v18, v6, v14
.LBB527_1020:                           ;   in Loop: Header=BB527_794 Depth=1
	s_or_b64 exec, exec, s[18:19]
.LBB527_1021:                           ;   in Loop: Header=BB527_794 Depth=1
	s_or_b64 exec, exec, s[16:17]
.LBB527_1022:                           ;   in Loop: Header=BB527_794 Depth=1
	s_or_b64 exec, exec, s[14:15]
	v_lshrrev_b32_e32 v6, 16, v4
	v_cmp_ne_u16_sdwa s[16:17], v6, v9 src0_sel:BYTE_0 src1_sel:DWORD
	s_and_saveexec_b64 s[14:15], s[16:17]
	s_cbranch_execz .LBB527_1028
; %bb.1023:                             ;   in Loop: Header=BB527_794 Depth=1
	v_cmp_ne_u16_sdwa s[18:19], v6, s5 src0_sel:BYTE_0 src1_sel:DWORD
	v_bfrev_b32_e32 v8, 1
	s_and_saveexec_b64 s[16:17], s[18:19]
	s_cbranch_execz .LBB527_1027
; %bb.1024:                             ;   in Loop: Header=BB527_794 Depth=1
	v_bfe_u32 v14, v4, 16, 7
	v_cmp_ne_u32_e32 vcc, s21, v14
	v_mov_b32_e32 v8, 0x7f800001
	s_and_saveexec_b64 s[18:19], vcc
	s_cbranch_execz .LBB527_1026
; %bb.1025:                             ;   in Loop: Header=BB527_794 Depth=1
	v_and_b32_e32 v8, 7, v6
	v_ffbh_u32_e32 v20, v8
	v_min_u32_e32 v22, 32, v20
	v_subrev_u32_e32 v20, 28, v22
	v_lshlrev_b64 v[20:21], v20, v[6:7]
	v_lshrrev_b32_e32 v19, 3, v14
	v_sub_u32_e32 v21, 29, v22
	v_and_b32_e32 v20, 7, v20
	v_cmp_gt_u32_e32 vcc, 8, v14
	v_cndmask_b32_e32 v14, v19, v21, vcc
	v_cndmask_b32_e32 v8, v8, v20, vcc
	v_lshlrev_b32_e32 v6, 24, v6
	v_lshlrev_b32_e32 v8, 20, v8
	v_and_b32_e32 v6, 0x80000000, v6
	v_lshl_add_u32 v14, v14, 23, v10
	v_or3_b32 v8, v6, v14, v8
.LBB527_1026:                           ;   in Loop: Header=BB527_794 Depth=1
	s_or_b64 exec, exec, s[18:19]
.LBB527_1027:                           ;   in Loop: Header=BB527_794 Depth=1
	s_or_b64 exec, exec, s[16:17]
.LBB527_1028:                           ;   in Loop: Header=BB527_794 Depth=1
	s_or_b64 exec, exec, s[14:15]
	v_cmp_lt_u32_e32 vcc, s22, v4
	v_mov_b32_e32 v14, 0
	v_mov_b32_e32 v19, 0
	s_and_saveexec_b64 s[14:15], vcc
	s_cbranch_execz .LBB527_1034
; %bb.1029:                             ;   in Loop: Header=BB527_794 Depth=1
	v_lshrrev_b32_e32 v6, 24, v4
	v_cmp_ne_u32_e32 vcc, s5, v6
	v_bfrev_b32_e32 v19, 1
	s_and_saveexec_b64 s[16:17], vcc
	s_cbranch_execz .LBB527_1033
; %bb.1030:                             ;   in Loop: Header=BB527_794 Depth=1
	v_bfe_u32 v4, v4, 24, 7
	v_cmp_ne_u32_e32 vcc, s21, v4
	v_mov_b32_e32 v19, 0x7f800001
	s_and_saveexec_b64 s[18:19], vcc
	s_cbranch_execz .LBB527_1032
; %bb.1031:                             ;   in Loop: Header=BB527_794 Depth=1
	v_and_b32_e32 v19, 7, v6
	v_ffbh_u32_e32 v20, v19
	v_min_u32_e32 v23, 32, v20
	v_subrev_u32_e32 v20, 28, v23
	v_lshlrev_b64 v[20:21], v20, v[6:7]
	v_lshrrev_b32_e32 v22, 3, v4
	v_sub_u32_e32 v21, 29, v23
	v_and_b32_e32 v20, 7, v20
	v_cmp_gt_u32_e32 vcc, 8, v4
	v_cndmask_b32_e32 v4, v22, v21, vcc
	v_cndmask_b32_e32 v19, v19, v20, vcc
	v_lshlrev_b32_e32 v6, 24, v6
	v_lshlrev_b32_e32 v19, 20, v19
	v_and_b32_e32 v6, 0x80000000, v6
	v_lshl_add_u32 v4, v4, 23, v10
	v_or3_b32 v19, v6, v4, v19
.LBB527_1032:                           ;   in Loop: Header=BB527_794 Depth=1
	s_or_b64 exec, exec, s[18:19]
.LBB527_1033:                           ;   in Loop: Header=BB527_794 Depth=1
	s_or_b64 exec, exec, s[16:17]
.LBB527_1034:                           ;   in Loop: Header=BB527_794 Depth=1
	s_or_b64 exec, exec, s[14:15]
	buffer_load_dword v6, v11, s[0:3], 0 offen offset:40
	buffer_load_dword v4, v11, s[0:3], 0 offen offset:44
	v_cvt_pkrtz_f16_f32 v20, v13, v15
	v_cvt_pkrtz_f16_f32 v21, v12, v17
	;; [unrolled: 1-line block ×4, first 2 shown]
	v_mfma_f32_4x4x4f16 a[0:3], v[2:3], v[20:21], a[0:3] cbsz:4 abid:8
	s_waitcnt vmcnt(1)
	v_cmp_ne_u16_sdwa s[16:17], v6, v9 src0_sel:BYTE_0 src1_sel:DWORD
	v_mfma_f32_4x4x4f16 a[0:3], v[2:3], v[12:13], a[0:3] cbsz:4 abid:9
	s_and_saveexec_b64 s[14:15], s[16:17]
	s_cbranch_execz .LBB527_1040
; %bb.1035:                             ;   in Loop: Header=BB527_794 Depth=1
	v_cmp_ne_u16_sdwa s[18:19], v6, s5 src0_sel:BYTE_0 src1_sel:DWORD
	v_bfrev_b32_e32 v14, 1
	s_and_saveexec_b64 s[16:17], s[18:19]
	s_cbranch_execz .LBB527_1039
; %bb.1036:                             ;   in Loop: Header=BB527_794 Depth=1
	v_and_b32_e32 v8, 0x7f, v6
	v_cmp_ne_u32_e32 vcc, s21, v8
	v_mov_b32_e32 v14, 0x7f800001
	s_and_saveexec_b64 s[18:19], vcc
	s_cbranch_execz .LBB527_1038
; %bb.1037:                             ;   in Loop: Header=BB527_794 Depth=1
	v_and_b32_e32 v14, 7, v6
	v_ffbh_u32_e32 v12, v14
	v_min_u32_e32 v16, 32, v12
	v_subrev_u32_e32 v12, 28, v16
	v_lshlrev_b64 v[12:13], v12, v[6:7]
	v_lshrrev_b32_e32 v15, 3, v8
	v_sub_u32_e32 v13, 29, v16
	v_and_b32_e32 v12, 7, v12
	v_cmp_gt_u32_e32 vcc, 8, v8
	v_cndmask_b32_e32 v8, v15, v13, vcc
	v_cndmask_b32_e32 v12, v14, v12, vcc
	v_lshlrev_b32_e32 v13, 24, v6
	v_lshlrev_b32_e32 v12, 20, v12
	v_and_b32_e32 v13, 0x80000000, v13
	v_lshl_add_u32 v8, v8, 23, v10
	v_or3_b32 v14, v13, v8, v12
.LBB527_1038:                           ;   in Loop: Header=BB527_794 Depth=1
	s_or_b64 exec, exec, s[18:19]
.LBB527_1039:                           ;   in Loop: Header=BB527_794 Depth=1
	s_or_b64 exec, exec, s[16:17]
.LBB527_1040:                           ;   in Loop: Header=BB527_794 Depth=1
	s_or_b64 exec, exec, s[14:15]
	v_lshrrev_b16_e32 v8, 8, v6
	v_cmp_ne_u16_e32 vcc, 0, v8
	v_mov_b32_e32 v13, 0
	v_mov_b32_e32 v15, 0
	s_and_saveexec_b64 s[14:15], vcc
	s_cbranch_execz .LBB527_1046
; %bb.1041:                             ;   in Loop: Header=BB527_794 Depth=1
	v_cmp_ne_u16_e32 vcc, s5, v8
	v_bfrev_b32_e32 v15, 1
	s_and_saveexec_b64 s[16:17], vcc
	s_cbranch_execz .LBB527_1045
; %bb.1042:                             ;   in Loop: Header=BB527_794 Depth=1
	v_and_b32_e32 v12, 0x7f, v8
	v_cmp_ne_u32_e32 vcc, s21, v12
	v_mov_b32_e32 v15, 0x7f800001
	s_and_saveexec_b64 s[18:19], vcc
	s_cbranch_execz .LBB527_1044
; %bb.1043:                             ;   in Loop: Header=BB527_794 Depth=1
	v_and_b32_e32 v15, 7, v8
	v_ffbh_u32_e32 v16, v15
	v_min_u32_e32 v19, 32, v16
	v_subrev_u32_e32 v16, 28, v19
	v_lshlrev_b64 v[16:17], v16, v[8:9]
	v_lshrrev_b32_e32 v18, 3, v12
	v_sub_u32_e32 v8, 29, v19
	v_and_b32_e32 v16, 7, v16
	v_cmp_gt_u32_e32 vcc, 8, v12
	v_cndmask_b32_e32 v8, v18, v8, vcc
	v_cndmask_b32_e32 v12, v15, v16, vcc
	v_lshlrev_b32_e32 v15, 16, v6
	v_lshlrev_b32_e32 v12, 20, v12
	v_and_b32_e32 v15, 0x80000000, v15
	v_lshl_add_u32 v8, v8, 23, v10
	v_or3_b32 v15, v15, v8, v12
.LBB527_1044:                           ;   in Loop: Header=BB527_794 Depth=1
	s_or_b64 exec, exec, s[18:19]
.LBB527_1045:                           ;   in Loop: Header=BB527_794 Depth=1
	s_or_b64 exec, exec, s[16:17]
.LBB527_1046:                           ;   in Loop: Header=BB527_794 Depth=1
	s_or_b64 exec, exec, s[14:15]
	v_lshrrev_b32_e32 v8, 16, v6
	v_cmp_ne_u16_sdwa s[16:17], v8, v9 src0_sel:BYTE_0 src1_sel:DWORD
	s_and_saveexec_b64 s[14:15], s[16:17]
	s_cbranch_execz .LBB527_1052
; %bb.1047:                             ;   in Loop: Header=BB527_794 Depth=1
	v_cmp_ne_u16_sdwa s[18:19], v8, s5 src0_sel:BYTE_0 src1_sel:DWORD
	v_bfrev_b32_e32 v13, 1
	s_and_saveexec_b64 s[16:17], s[18:19]
	s_cbranch_execz .LBB527_1051
; %bb.1048:                             ;   in Loop: Header=BB527_794 Depth=1
	v_bfe_u32 v12, v6, 16, 7
	v_cmp_ne_u32_e32 vcc, s21, v12
	v_mov_b32_e32 v13, 0x7f800001
	s_and_saveexec_b64 s[18:19], vcc
	s_cbranch_execz .LBB527_1050
; %bb.1049:                             ;   in Loop: Header=BB527_794 Depth=1
	v_and_b32_e32 v13, 7, v8
	v_ffbh_u32_e32 v16, v13
	v_min_u32_e32 v19, 32, v16
	v_subrev_u32_e32 v16, 28, v19
	v_lshlrev_b64 v[16:17], v16, v[8:9]
	v_lshrrev_b32_e32 v18, 3, v12
	v_sub_u32_e32 v17, 29, v19
	v_and_b32_e32 v16, 7, v16
	v_cmp_gt_u32_e32 vcc, 8, v12
	v_cndmask_b32_e32 v12, v18, v17, vcc
	v_cndmask_b32_e32 v13, v13, v16, vcc
	v_lshlrev_b32_e32 v8, 24, v8
	v_lshlrev_b32_e32 v13, 20, v13
	v_and_b32_e32 v8, 0x80000000, v8
	v_lshl_add_u32 v12, v12, 23, v10
	v_or3_b32 v13, v8, v12, v13
.LBB527_1050:                           ;   in Loop: Header=BB527_794 Depth=1
	s_or_b64 exec, exec, s[18:19]
.LBB527_1051:                           ;   in Loop: Header=BB527_794 Depth=1
	s_or_b64 exec, exec, s[16:17]
.LBB527_1052:                           ;   in Loop: Header=BB527_794 Depth=1
	s_or_b64 exec, exec, s[14:15]
	v_cmp_lt_u32_e32 vcc, s22, v6
	v_mov_b32_e32 v16, 0
	v_mov_b32_e32 v17, 0
	s_and_saveexec_b64 s[14:15], vcc
	s_cbranch_execz .LBB527_1058
; %bb.1053:                             ;   in Loop: Header=BB527_794 Depth=1
	v_lshrrev_b32_e32 v8, 24, v6
	v_cmp_ne_u32_e32 vcc, s5, v8
	v_bfrev_b32_e32 v17, 1
	s_and_saveexec_b64 s[16:17], vcc
	s_cbranch_execz .LBB527_1057
; %bb.1054:                             ;   in Loop: Header=BB527_794 Depth=1
	v_bfe_u32 v6, v6, 24, 7
	v_cmp_ne_u32_e32 vcc, s21, v6
	v_mov_b32_e32 v17, 0x7f800001
	s_and_saveexec_b64 s[18:19], vcc
	s_cbranch_execz .LBB527_1056
; %bb.1055:                             ;   in Loop: Header=BB527_794 Depth=1
	v_and_b32_e32 v12, 7, v8
	v_ffbh_u32_e32 v18, v12
	v_min_u32_e32 v20, 32, v18
	v_subrev_u32_e32 v18, 28, v20
	v_lshlrev_b64 v[18:19], v18, v[8:9]
	v_lshrrev_b32_e32 v17, 3, v6
	v_sub_u32_e32 v19, 29, v20
	v_and_b32_e32 v18, 7, v18
	v_cmp_gt_u32_e32 vcc, 8, v6
	v_cndmask_b32_e32 v6, v17, v19, vcc
	v_cndmask_b32_e32 v12, v12, v18, vcc
	v_lshlrev_b32_e32 v8, 24, v8
	v_lshlrev_b32_e32 v12, 20, v12
	v_and_b32_e32 v8, 0x80000000, v8
	v_lshl_add_u32 v6, v6, 23, v10
	v_or3_b32 v17, v8, v6, v12
.LBB527_1056:                           ;   in Loop: Header=BB527_794 Depth=1
	s_or_b64 exec, exec, s[18:19]
.LBB527_1057:                           ;   in Loop: Header=BB527_794 Depth=1
	s_or_b64 exec, exec, s[16:17]
.LBB527_1058:                           ;   in Loop: Header=BB527_794 Depth=1
	s_or_b64 exec, exec, s[14:15]
	s_waitcnt vmcnt(0)
	v_cmp_ne_u16_sdwa s[16:17], v4, v9 src0_sel:BYTE_0 src1_sel:DWORD
	s_and_saveexec_b64 s[14:15], s[16:17]
	s_cbranch_execz .LBB527_1064
; %bb.1059:                             ;   in Loop: Header=BB527_794 Depth=1
	v_cmp_ne_u16_sdwa s[18:19], v4, s5 src0_sel:BYTE_0 src1_sel:DWORD
	v_bfrev_b32_e32 v16, 1
	s_and_saveexec_b64 s[16:17], s[18:19]
	s_cbranch_execz .LBB527_1063
; %bb.1060:                             ;   in Loop: Header=BB527_794 Depth=1
	v_and_b32_e32 v6, 0x7f, v4
	v_cmp_ne_u32_e32 vcc, s21, v6
	v_mov_b32_e32 v16, 0x7f800001
	s_and_saveexec_b64 s[18:19], vcc
	s_cbranch_execz .LBB527_1062
; %bb.1061:                             ;   in Loop: Header=BB527_794 Depth=1
	v_and_b32_e32 v8, 7, v4
	v_ffbh_u32_e32 v16, v8
	v_min_u32_e32 v16, 32, v16
	v_subrev_u32_e32 v18, 28, v16
	v_lshlrev_b64 v[18:19], v18, v[4:5]
	v_lshrrev_b32_e32 v12, 3, v6
	v_sub_u32_e32 v16, 29, v16
	v_and_b32_e32 v18, 7, v18
	v_cmp_gt_u32_e32 vcc, 8, v6
	v_cndmask_b32_e32 v6, v12, v16, vcc
	v_cndmask_b32_e32 v8, v8, v18, vcc
	v_lshlrev_b32_e32 v12, 24, v4
	v_lshlrev_b32_e32 v8, 20, v8
	v_and_b32_e32 v12, 0x80000000, v12
	v_lshl_add_u32 v6, v6, 23, v10
	v_or3_b32 v16, v12, v6, v8
.LBB527_1062:                           ;   in Loop: Header=BB527_794 Depth=1
	s_or_b64 exec, exec, s[18:19]
.LBB527_1063:                           ;   in Loop: Header=BB527_794 Depth=1
	s_or_b64 exec, exec, s[16:17]
.LBB527_1064:                           ;   in Loop: Header=BB527_794 Depth=1
	s_or_b64 exec, exec, s[14:15]
	v_lshrrev_b16_e32 v6, 8, v4
	v_cmp_ne_u16_e32 vcc, 0, v6
	v_mov_b32_e32 v8, 0
	v_mov_b32_e32 v18, 0
	s_and_saveexec_b64 s[14:15], vcc
	s_cbranch_execz .LBB527_1070
; %bb.1065:                             ;   in Loop: Header=BB527_794 Depth=1
	v_cmp_ne_u16_e32 vcc, s5, v6
	v_bfrev_b32_e32 v18, 1
	s_and_saveexec_b64 s[16:17], vcc
	s_cbranch_execz .LBB527_1069
; %bb.1066:                             ;   in Loop: Header=BB527_794 Depth=1
	v_and_b32_e32 v12, 0x7f, v6
	v_cmp_ne_u32_e32 vcc, s21, v12
	v_mov_b32_e32 v18, 0x7f800001
	s_and_saveexec_b64 s[18:19], vcc
	s_cbranch_execz .LBB527_1068
; %bb.1067:                             ;   in Loop: Header=BB527_794 Depth=1
	v_and_b32_e32 v20, 7, v6
	v_ffbh_u32_e32 v18, v20
	v_min_u32_e32 v22, 32, v18
	v_subrev_u32_e32 v18, 28, v22
	v_lshlrev_b64 v[18:19], v18, v[6:7]
	v_lshrrev_b32_e32 v21, 3, v12
	v_sub_u32_e32 v6, 29, v22
	v_and_b32_e32 v18, 7, v18
	v_cmp_gt_u32_e32 vcc, 8, v12
	v_cndmask_b32_e32 v6, v21, v6, vcc
	v_cndmask_b32_e32 v12, v20, v18, vcc
	v_lshlrev_b32_e32 v18, 16, v4
	v_lshlrev_b32_e32 v12, 20, v12
	v_and_b32_e32 v18, 0x80000000, v18
	v_lshl_add_u32 v6, v6, 23, v10
	v_or3_b32 v18, v18, v6, v12
.LBB527_1068:                           ;   in Loop: Header=BB527_794 Depth=1
	s_or_b64 exec, exec, s[18:19]
.LBB527_1069:                           ;   in Loop: Header=BB527_794 Depth=1
	s_or_b64 exec, exec, s[16:17]
.LBB527_1070:                           ;   in Loop: Header=BB527_794 Depth=1
	s_or_b64 exec, exec, s[14:15]
	v_lshrrev_b32_e32 v6, 16, v4
	v_cmp_ne_u16_sdwa s[16:17], v6, v9 src0_sel:BYTE_0 src1_sel:DWORD
	s_and_saveexec_b64 s[14:15], s[16:17]
	s_cbranch_execz .LBB527_1076
; %bb.1071:                             ;   in Loop: Header=BB527_794 Depth=1
	v_cmp_ne_u16_sdwa s[18:19], v6, s5 src0_sel:BYTE_0 src1_sel:DWORD
	v_bfrev_b32_e32 v8, 1
	s_and_saveexec_b64 s[16:17], s[18:19]
	s_cbranch_execz .LBB527_1075
; %bb.1072:                             ;   in Loop: Header=BB527_794 Depth=1
	v_bfe_u32 v12, v4, 16, 7
	v_cmp_ne_u32_e32 vcc, s21, v12
	v_mov_b32_e32 v8, 0x7f800001
	s_and_saveexec_b64 s[18:19], vcc
	s_cbranch_execz .LBB527_1074
; %bb.1073:                             ;   in Loop: Header=BB527_794 Depth=1
	v_and_b32_e32 v8, 7, v6
	v_ffbh_u32_e32 v20, v8
	v_min_u32_e32 v22, 32, v20
	v_subrev_u32_e32 v20, 28, v22
	v_lshlrev_b64 v[20:21], v20, v[6:7]
	v_lshrrev_b32_e32 v19, 3, v12
	v_sub_u32_e32 v21, 29, v22
	v_and_b32_e32 v20, 7, v20
	v_cmp_gt_u32_e32 vcc, 8, v12
	v_cndmask_b32_e32 v12, v19, v21, vcc
	v_cndmask_b32_e32 v8, v8, v20, vcc
	v_lshlrev_b32_e32 v6, 24, v6
	v_lshlrev_b32_e32 v8, 20, v8
	v_and_b32_e32 v6, 0x80000000, v6
	v_lshl_add_u32 v12, v12, 23, v10
	v_or3_b32 v8, v6, v12, v8
.LBB527_1074:                           ;   in Loop: Header=BB527_794 Depth=1
	s_or_b64 exec, exec, s[18:19]
.LBB527_1075:                           ;   in Loop: Header=BB527_794 Depth=1
	s_or_b64 exec, exec, s[16:17]
.LBB527_1076:                           ;   in Loop: Header=BB527_794 Depth=1
	s_or_b64 exec, exec, s[14:15]
	v_cmp_lt_u32_e32 vcc, s22, v4
	v_mov_b32_e32 v12, 0
	v_mov_b32_e32 v19, 0
	s_and_saveexec_b64 s[14:15], vcc
	s_cbranch_execz .LBB527_1082
; %bb.1077:                             ;   in Loop: Header=BB527_794 Depth=1
	v_lshrrev_b32_e32 v6, 24, v4
	v_cmp_ne_u32_e32 vcc, s5, v6
	v_bfrev_b32_e32 v19, 1
	s_and_saveexec_b64 s[16:17], vcc
	s_cbranch_execz .LBB527_1081
; %bb.1078:                             ;   in Loop: Header=BB527_794 Depth=1
	v_bfe_u32 v4, v4, 24, 7
	v_cmp_ne_u32_e32 vcc, s21, v4
	v_mov_b32_e32 v19, 0x7f800001
	s_and_saveexec_b64 s[18:19], vcc
	s_cbranch_execz .LBB527_1080
; %bb.1079:                             ;   in Loop: Header=BB527_794 Depth=1
	v_and_b32_e32 v19, 7, v6
	v_ffbh_u32_e32 v20, v19
	v_min_u32_e32 v23, 32, v20
	v_subrev_u32_e32 v20, 28, v23
	v_lshlrev_b64 v[20:21], v20, v[6:7]
	v_lshrrev_b32_e32 v22, 3, v4
	v_sub_u32_e32 v21, 29, v23
	v_and_b32_e32 v20, 7, v20
	v_cmp_gt_u32_e32 vcc, 8, v4
	v_cndmask_b32_e32 v4, v22, v21, vcc
	v_cndmask_b32_e32 v19, v19, v20, vcc
	v_lshlrev_b32_e32 v6, 24, v6
	v_lshlrev_b32_e32 v19, 20, v19
	v_and_b32_e32 v6, 0x80000000, v6
	v_lshl_add_u32 v4, v4, 23, v10
	v_or3_b32 v19, v6, v4, v19
.LBB527_1080:                           ;   in Loop: Header=BB527_794 Depth=1
	s_or_b64 exec, exec, s[18:19]
.LBB527_1081:                           ;   in Loop: Header=BB527_794 Depth=1
	s_or_b64 exec, exec, s[16:17]
.LBB527_1082:                           ;   in Loop: Header=BB527_794 Depth=1
	s_or_b64 exec, exec, s[14:15]
	buffer_load_dword v6, v11, s[0:3], 0 offen offset:48
	buffer_load_dword v4, v11, s[0:3], 0 offen offset:52
	v_cvt_pkrtz_f16_f32 v14, v14, v15
	v_cvt_pkrtz_f16_f32 v15, v13, v17
	;; [unrolled: 1-line block ×4, first 2 shown]
	v_mfma_f32_4x4x4f16 a[0:3], v[2:3], v[14:15], a[0:3] cbsz:4 abid:10
	s_waitcnt vmcnt(1)
	v_cmp_ne_u16_sdwa s[16:17], v6, v9 src0_sel:BYTE_0 src1_sel:DWORD
	v_mfma_f32_4x4x4f16 a[0:3], v[2:3], v[16:17], a[0:3] cbsz:4 abid:11
	s_and_saveexec_b64 s[14:15], s[16:17]
	s_cbranch_execz .LBB527_1088
; %bb.1083:                             ;   in Loop: Header=BB527_794 Depth=1
	v_cmp_ne_u16_sdwa s[18:19], v6, s5 src0_sel:BYTE_0 src1_sel:DWORD
	v_bfrev_b32_e32 v12, 1
	s_and_saveexec_b64 s[16:17], s[18:19]
	s_cbranch_execz .LBB527_1087
; %bb.1084:                             ;   in Loop: Header=BB527_794 Depth=1
	v_and_b32_e32 v8, 0x7f, v6
	v_cmp_ne_u32_e32 vcc, s21, v8
	v_mov_b32_e32 v12, 0x7f800001
	s_and_saveexec_b64 s[18:19], vcc
	s_cbranch_execz .LBB527_1086
; %bb.1085:                             ;   in Loop: Header=BB527_794 Depth=1
	v_and_b32_e32 v14, 7, v6
	v_ffbh_u32_e32 v12, v14
	v_min_u32_e32 v16, 32, v12
	v_subrev_u32_e32 v12, 28, v16
	v_lshlrev_b64 v[12:13], v12, v[6:7]
	v_lshrrev_b32_e32 v15, 3, v8
	v_sub_u32_e32 v13, 29, v16
	v_and_b32_e32 v12, 7, v12
	v_cmp_gt_u32_e32 vcc, 8, v8
	v_cndmask_b32_e32 v8, v15, v13, vcc
	v_cndmask_b32_e32 v12, v14, v12, vcc
	v_lshlrev_b32_e32 v13, 24, v6
	v_lshlrev_b32_e32 v12, 20, v12
	v_and_b32_e32 v13, 0x80000000, v13
	v_lshl_add_u32 v8, v8, 23, v10
	v_or3_b32 v12, v13, v8, v12
.LBB527_1086:                           ;   in Loop: Header=BB527_794 Depth=1
	s_or_b64 exec, exec, s[18:19]
.LBB527_1087:                           ;   in Loop: Header=BB527_794 Depth=1
	s_or_b64 exec, exec, s[16:17]
.LBB527_1088:                           ;   in Loop: Header=BB527_794 Depth=1
	s_or_b64 exec, exec, s[14:15]
	v_lshrrev_b16_e32 v8, 8, v6
	v_cmp_ne_u16_e32 vcc, 0, v8
	v_mov_b32_e32 v14, 0
	v_mov_b32_e32 v15, 0
	s_and_saveexec_b64 s[14:15], vcc
	s_cbranch_execz .LBB527_1094
; %bb.1089:                             ;   in Loop: Header=BB527_794 Depth=1
	v_cmp_ne_u16_e32 vcc, s5, v8
	v_bfrev_b32_e32 v15, 1
	s_and_saveexec_b64 s[16:17], vcc
	s_cbranch_execz .LBB527_1093
; %bb.1090:                             ;   in Loop: Header=BB527_794 Depth=1
	v_and_b32_e32 v13, 0x7f, v8
	v_cmp_ne_u32_e32 vcc, s21, v13
	v_mov_b32_e32 v15, 0x7f800001
	s_and_saveexec_b64 s[18:19], vcc
	s_cbranch_execz .LBB527_1092
; %bb.1091:                             ;   in Loop: Header=BB527_794 Depth=1
	v_and_b32_e32 v15, 7, v8
	v_ffbh_u32_e32 v16, v15
	v_min_u32_e32 v19, 32, v16
	v_subrev_u32_e32 v16, 28, v19
	v_lshlrev_b64 v[16:17], v16, v[8:9]
	v_lshrrev_b32_e32 v18, 3, v13
	v_sub_u32_e32 v8, 29, v19
	v_and_b32_e32 v16, 7, v16
	v_cmp_gt_u32_e32 vcc, 8, v13
	v_cndmask_b32_e32 v8, v18, v8, vcc
	v_cndmask_b32_e32 v13, v15, v16, vcc
	v_lshlrev_b32_e32 v15, 16, v6
	v_lshlrev_b32_e32 v13, 20, v13
	v_and_b32_e32 v15, 0x80000000, v15
	v_lshl_add_u32 v8, v8, 23, v10
	v_or3_b32 v15, v15, v8, v13
.LBB527_1092:                           ;   in Loop: Header=BB527_794 Depth=1
	s_or_b64 exec, exec, s[18:19]
.LBB527_1093:                           ;   in Loop: Header=BB527_794 Depth=1
	s_or_b64 exec, exec, s[16:17]
.LBB527_1094:                           ;   in Loop: Header=BB527_794 Depth=1
	s_or_b64 exec, exec, s[14:15]
	v_lshrrev_b32_e32 v8, 16, v6
	v_cmp_ne_u16_sdwa s[16:17], v8, v9 src0_sel:BYTE_0 src1_sel:DWORD
	s_and_saveexec_b64 s[14:15], s[16:17]
	s_cbranch_execz .LBB527_1100
; %bb.1095:                             ;   in Loop: Header=BB527_794 Depth=1
	v_cmp_ne_u16_sdwa s[18:19], v8, s5 src0_sel:BYTE_0 src1_sel:DWORD
	v_bfrev_b32_e32 v14, 1
	s_and_saveexec_b64 s[16:17], s[18:19]
	s_cbranch_execz .LBB527_1099
; %bb.1096:                             ;   in Loop: Header=BB527_794 Depth=1
	v_bfe_u32 v13, v6, 16, 7
	v_cmp_ne_u32_e32 vcc, s21, v13
	v_mov_b32_e32 v14, 0x7f800001
	s_and_saveexec_b64 s[18:19], vcc
	s_cbranch_execz .LBB527_1098
; %bb.1097:                             ;   in Loop: Header=BB527_794 Depth=1
	v_and_b32_e32 v14, 7, v8
	v_ffbh_u32_e32 v16, v14
	v_min_u32_e32 v19, 32, v16
	v_subrev_u32_e32 v16, 28, v19
	v_lshlrev_b64 v[16:17], v16, v[8:9]
	v_lshrrev_b32_e32 v18, 3, v13
	v_sub_u32_e32 v17, 29, v19
	v_and_b32_e32 v16, 7, v16
	v_cmp_gt_u32_e32 vcc, 8, v13
	v_cndmask_b32_e32 v13, v18, v17, vcc
	v_cndmask_b32_e32 v14, v14, v16, vcc
	v_lshlrev_b32_e32 v8, 24, v8
	v_lshlrev_b32_e32 v14, 20, v14
	v_and_b32_e32 v8, 0x80000000, v8
	v_lshl_add_u32 v13, v13, 23, v10
	v_or3_b32 v14, v8, v13, v14
.LBB527_1098:                           ;   in Loop: Header=BB527_794 Depth=1
	s_or_b64 exec, exec, s[18:19]
.LBB527_1099:                           ;   in Loop: Header=BB527_794 Depth=1
	s_or_b64 exec, exec, s[16:17]
.LBB527_1100:                           ;   in Loop: Header=BB527_794 Depth=1
	s_or_b64 exec, exec, s[14:15]
	v_cmp_lt_u32_e32 vcc, s22, v6
	v_mov_b32_e32 v16, 0
	v_mov_b32_e32 v17, 0
	s_and_saveexec_b64 s[14:15], vcc
	s_cbranch_execz .LBB527_1106
; %bb.1101:                             ;   in Loop: Header=BB527_794 Depth=1
	v_lshrrev_b32_e32 v8, 24, v6
	v_cmp_ne_u32_e32 vcc, s5, v8
	v_bfrev_b32_e32 v17, 1
	s_and_saveexec_b64 s[16:17], vcc
	s_cbranch_execz .LBB527_1105
; %bb.1102:                             ;   in Loop: Header=BB527_794 Depth=1
	v_bfe_u32 v6, v6, 24, 7
	v_cmp_ne_u32_e32 vcc, s21, v6
	v_mov_b32_e32 v17, 0x7f800001
	s_and_saveexec_b64 s[18:19], vcc
	s_cbranch_execz .LBB527_1104
; %bb.1103:                             ;   in Loop: Header=BB527_794 Depth=1
	v_and_b32_e32 v13, 7, v8
	v_ffbh_u32_e32 v18, v13
	v_min_u32_e32 v20, 32, v18
	v_subrev_u32_e32 v18, 28, v20
	v_lshlrev_b64 v[18:19], v18, v[8:9]
	v_lshrrev_b32_e32 v17, 3, v6
	v_sub_u32_e32 v19, 29, v20
	v_and_b32_e32 v18, 7, v18
	v_cmp_gt_u32_e32 vcc, 8, v6
	v_cndmask_b32_e32 v6, v17, v19, vcc
	v_cndmask_b32_e32 v13, v13, v18, vcc
	v_lshlrev_b32_e32 v8, 24, v8
	v_lshlrev_b32_e32 v13, 20, v13
	v_and_b32_e32 v8, 0x80000000, v8
	v_lshl_add_u32 v6, v6, 23, v10
	v_or3_b32 v17, v8, v6, v13
.LBB527_1104:                           ;   in Loop: Header=BB527_794 Depth=1
	s_or_b64 exec, exec, s[18:19]
.LBB527_1105:                           ;   in Loop: Header=BB527_794 Depth=1
	s_or_b64 exec, exec, s[16:17]
.LBB527_1106:                           ;   in Loop: Header=BB527_794 Depth=1
	s_or_b64 exec, exec, s[14:15]
	s_waitcnt vmcnt(0)
	v_cmp_ne_u16_sdwa s[16:17], v4, v9 src0_sel:BYTE_0 src1_sel:DWORD
	s_and_saveexec_b64 s[14:15], s[16:17]
	s_cbranch_execz .LBB527_1112
; %bb.1107:                             ;   in Loop: Header=BB527_794 Depth=1
	v_cmp_ne_u16_sdwa s[18:19], v4, s5 src0_sel:BYTE_0 src1_sel:DWORD
	v_bfrev_b32_e32 v16, 1
	s_and_saveexec_b64 s[16:17], s[18:19]
	s_cbranch_execz .LBB527_1111
; %bb.1108:                             ;   in Loop: Header=BB527_794 Depth=1
	v_and_b32_e32 v6, 0x7f, v4
	v_cmp_ne_u32_e32 vcc, s21, v6
	v_mov_b32_e32 v16, 0x7f800001
	s_and_saveexec_b64 s[18:19], vcc
	s_cbranch_execz .LBB527_1110
; %bb.1109:                             ;   in Loop: Header=BB527_794 Depth=1
	v_and_b32_e32 v8, 7, v4
	v_ffbh_u32_e32 v16, v8
	v_min_u32_e32 v16, 32, v16
	v_subrev_u32_e32 v18, 28, v16
	v_lshlrev_b64 v[18:19], v18, v[4:5]
	v_lshrrev_b32_e32 v13, 3, v6
	v_sub_u32_e32 v16, 29, v16
	v_and_b32_e32 v18, 7, v18
	v_cmp_gt_u32_e32 vcc, 8, v6
	v_cndmask_b32_e32 v6, v13, v16, vcc
	v_cndmask_b32_e32 v8, v8, v18, vcc
	v_lshlrev_b32_e32 v13, 24, v4
	v_lshlrev_b32_e32 v8, 20, v8
	v_and_b32_e32 v13, 0x80000000, v13
	v_lshl_add_u32 v6, v6, 23, v10
	v_or3_b32 v16, v13, v6, v8
.LBB527_1110:                           ;   in Loop: Header=BB527_794 Depth=1
	s_or_b64 exec, exec, s[18:19]
.LBB527_1111:                           ;   in Loop: Header=BB527_794 Depth=1
	s_or_b64 exec, exec, s[16:17]
.LBB527_1112:                           ;   in Loop: Header=BB527_794 Depth=1
	s_or_b64 exec, exec, s[14:15]
	v_lshrrev_b16_e32 v6, 8, v4
	v_cmp_ne_u16_e32 vcc, 0, v6
	v_mov_b32_e32 v8, 0
	v_mov_b32_e32 v18, 0
	s_and_saveexec_b64 s[14:15], vcc
	s_cbranch_execz .LBB527_1118
; %bb.1113:                             ;   in Loop: Header=BB527_794 Depth=1
	v_cmp_ne_u16_e32 vcc, s5, v6
	v_bfrev_b32_e32 v18, 1
	s_and_saveexec_b64 s[16:17], vcc
	s_cbranch_execz .LBB527_1117
; %bb.1114:                             ;   in Loop: Header=BB527_794 Depth=1
	v_and_b32_e32 v13, 0x7f, v6
	v_cmp_ne_u32_e32 vcc, s21, v13
	v_mov_b32_e32 v18, 0x7f800001
	s_and_saveexec_b64 s[18:19], vcc
	s_cbranch_execz .LBB527_1116
; %bb.1115:                             ;   in Loop: Header=BB527_794 Depth=1
	v_and_b32_e32 v20, 7, v6
	v_ffbh_u32_e32 v18, v20
	v_min_u32_e32 v22, 32, v18
	v_subrev_u32_e32 v18, 28, v22
	v_lshlrev_b64 v[18:19], v18, v[6:7]
	v_lshrrev_b32_e32 v21, 3, v13
	v_sub_u32_e32 v6, 29, v22
	v_and_b32_e32 v18, 7, v18
	v_cmp_gt_u32_e32 vcc, 8, v13
	v_cndmask_b32_e32 v6, v21, v6, vcc
	v_cndmask_b32_e32 v13, v20, v18, vcc
	v_lshlrev_b32_e32 v18, 16, v4
	v_lshlrev_b32_e32 v13, 20, v13
	v_and_b32_e32 v18, 0x80000000, v18
	v_lshl_add_u32 v6, v6, 23, v10
	v_or3_b32 v18, v18, v6, v13
.LBB527_1116:                           ;   in Loop: Header=BB527_794 Depth=1
	s_or_b64 exec, exec, s[18:19]
.LBB527_1117:                           ;   in Loop: Header=BB527_794 Depth=1
	s_or_b64 exec, exec, s[16:17]
.LBB527_1118:                           ;   in Loop: Header=BB527_794 Depth=1
	s_or_b64 exec, exec, s[14:15]
	v_lshrrev_b32_e32 v6, 16, v4
	v_cmp_ne_u16_sdwa s[16:17], v6, v9 src0_sel:BYTE_0 src1_sel:DWORD
	s_and_saveexec_b64 s[14:15], s[16:17]
	s_cbranch_execz .LBB527_1124
; %bb.1119:                             ;   in Loop: Header=BB527_794 Depth=1
	v_cmp_ne_u16_sdwa s[18:19], v6, s5 src0_sel:BYTE_0 src1_sel:DWORD
	v_bfrev_b32_e32 v8, 1
	s_and_saveexec_b64 s[16:17], s[18:19]
	s_cbranch_execz .LBB527_1123
; %bb.1120:                             ;   in Loop: Header=BB527_794 Depth=1
	v_bfe_u32 v13, v4, 16, 7
	v_cmp_ne_u32_e32 vcc, s21, v13
	v_mov_b32_e32 v8, 0x7f800001
	s_and_saveexec_b64 s[18:19], vcc
	s_cbranch_execz .LBB527_1122
; %bb.1121:                             ;   in Loop: Header=BB527_794 Depth=1
	v_and_b32_e32 v8, 7, v6
	v_ffbh_u32_e32 v20, v8
	v_min_u32_e32 v22, 32, v20
	v_subrev_u32_e32 v20, 28, v22
	v_lshlrev_b64 v[20:21], v20, v[6:7]
	v_lshrrev_b32_e32 v19, 3, v13
	v_sub_u32_e32 v21, 29, v22
	v_and_b32_e32 v20, 7, v20
	v_cmp_gt_u32_e32 vcc, 8, v13
	v_cndmask_b32_e32 v13, v19, v21, vcc
	v_cndmask_b32_e32 v8, v8, v20, vcc
	v_lshlrev_b32_e32 v6, 24, v6
	v_lshlrev_b32_e32 v8, 20, v8
	v_and_b32_e32 v6, 0x80000000, v6
	v_lshl_add_u32 v13, v13, 23, v10
	v_or3_b32 v8, v6, v13, v8
.LBB527_1122:                           ;   in Loop: Header=BB527_794 Depth=1
	s_or_b64 exec, exec, s[18:19]
.LBB527_1123:                           ;   in Loop: Header=BB527_794 Depth=1
	s_or_b64 exec, exec, s[16:17]
.LBB527_1124:                           ;   in Loop: Header=BB527_794 Depth=1
	s_or_b64 exec, exec, s[14:15]
	v_cmp_lt_u32_e32 vcc, s22, v4
	v_mov_b32_e32 v13, 0
	v_mov_b32_e32 v19, 0
	s_and_saveexec_b64 s[14:15], vcc
	s_cbranch_execz .LBB527_1130
; %bb.1125:                             ;   in Loop: Header=BB527_794 Depth=1
	v_lshrrev_b32_e32 v6, 24, v4
	v_cmp_ne_u32_e32 vcc, s5, v6
	v_bfrev_b32_e32 v19, 1
	s_and_saveexec_b64 s[16:17], vcc
	s_cbranch_execz .LBB527_1129
; %bb.1126:                             ;   in Loop: Header=BB527_794 Depth=1
	v_bfe_u32 v4, v4, 24, 7
	v_cmp_ne_u32_e32 vcc, s21, v4
	v_mov_b32_e32 v19, 0x7f800001
	s_and_saveexec_b64 s[18:19], vcc
	s_cbranch_execz .LBB527_1128
; %bb.1127:                             ;   in Loop: Header=BB527_794 Depth=1
	v_and_b32_e32 v19, 7, v6
	v_ffbh_u32_e32 v20, v19
	v_min_u32_e32 v23, 32, v20
	v_subrev_u32_e32 v20, 28, v23
	v_lshlrev_b64 v[20:21], v20, v[6:7]
	v_lshrrev_b32_e32 v22, 3, v4
	v_sub_u32_e32 v21, 29, v23
	v_and_b32_e32 v20, 7, v20
	v_cmp_gt_u32_e32 vcc, 8, v4
	v_cndmask_b32_e32 v4, v22, v21, vcc
	v_cndmask_b32_e32 v19, v19, v20, vcc
	v_lshlrev_b32_e32 v6, 24, v6
	v_lshlrev_b32_e32 v19, 20, v19
	v_and_b32_e32 v6, 0x80000000, v6
	v_lshl_add_u32 v4, v4, 23, v10
	v_or3_b32 v19, v6, v4, v19
.LBB527_1128:                           ;   in Loop: Header=BB527_794 Depth=1
	s_or_b64 exec, exec, s[18:19]
.LBB527_1129:                           ;   in Loop: Header=BB527_794 Depth=1
	s_or_b64 exec, exec, s[16:17]
.LBB527_1130:                           ;   in Loop: Header=BB527_794 Depth=1
	s_or_b64 exec, exec, s[14:15]
	buffer_load_dword v6, v11, s[0:3], 0 offen offset:56
	buffer_load_dword v4, v11, s[0:3], 0 offen offset:60
	v_cvt_pkrtz_f16_f32 v20, v12, v15
	v_cvt_pkrtz_f16_f32 v21, v14, v17
	;; [unrolled: 1-line block ×4, first 2 shown]
	v_mfma_f32_4x4x4f16 a[0:3], v[2:3], v[20:21], a[0:3] cbsz:4 abid:12
	s_waitcnt vmcnt(1)
	v_cmp_ne_u16_sdwa s[16:17], v6, v9 src0_sel:BYTE_0 src1_sel:DWORD
	v_mfma_f32_4x4x4f16 a[0:3], v[2:3], v[14:15], a[0:3] cbsz:4 abid:13
	s_and_saveexec_b64 s[14:15], s[16:17]
	s_cbranch_execz .LBB527_1136
; %bb.1131:                             ;   in Loop: Header=BB527_794 Depth=1
	v_cmp_ne_u16_sdwa s[18:19], v6, s5 src0_sel:BYTE_0 src1_sel:DWORD
	v_bfrev_b32_e32 v13, 1
	s_and_saveexec_b64 s[16:17], s[18:19]
	s_cbranch_execz .LBB527_1135
; %bb.1132:                             ;   in Loop: Header=BB527_794 Depth=1
	v_and_b32_e32 v8, 0x7f, v6
	v_cmp_ne_u32_e32 vcc, s21, v8
	v_mov_b32_e32 v13, 0x7f800001
	s_and_saveexec_b64 s[18:19], vcc
	s_cbranch_execz .LBB527_1134
; %bb.1133:                             ;   in Loop: Header=BB527_794 Depth=1
	v_and_b32_e32 v11, 7, v6
	v_ffbh_u32_e32 v12, v11
	v_min_u32_e32 v15, 32, v12
	v_subrev_u32_e32 v12, 28, v15
	v_lshlrev_b64 v[12:13], v12, v[6:7]
	v_lshrrev_b32_e32 v14, 3, v8
	v_sub_u32_e32 v13, 29, v15
	v_and_b32_e32 v12, 7, v12
	v_cmp_gt_u32_e32 vcc, 8, v8
	v_cndmask_b32_e32 v8, v14, v13, vcc
	v_cndmask_b32_e32 v11, v11, v12, vcc
	v_lshlrev_b32_e32 v12, 24, v6
	v_lshlrev_b32_e32 v11, 20, v11
	v_and_b32_e32 v12, 0x80000000, v12
	v_lshl_add_u32 v8, v8, 23, v10
	v_or3_b32 v13, v12, v8, v11
.LBB527_1134:                           ;   in Loop: Header=BB527_794 Depth=1
	s_or_b64 exec, exec, s[18:19]
.LBB527_1135:                           ;   in Loop: Header=BB527_794 Depth=1
	s_or_b64 exec, exec, s[16:17]
.LBB527_1136:                           ;   in Loop: Header=BB527_794 Depth=1
	s_or_b64 exec, exec, s[14:15]
	v_lshrrev_b16_e32 v8, 8, v6
	v_cmp_ne_u16_e32 vcc, 0, v8
	v_mov_b32_e32 v11, 0
	v_mov_b32_e32 v12, 0
	s_and_saveexec_b64 s[14:15], vcc
	s_cbranch_execz .LBB527_1142
; %bb.1137:                             ;   in Loop: Header=BB527_794 Depth=1
	v_cmp_ne_u16_e32 vcc, s5, v8
	v_bfrev_b32_e32 v12, 1
	s_and_saveexec_b64 s[16:17], vcc
	s_cbranch_execz .LBB527_1141
; %bb.1138:                             ;   in Loop: Header=BB527_794 Depth=1
	v_and_b32_e32 v14, 0x7f, v8
	v_cmp_ne_u32_e32 vcc, s21, v14
	v_mov_b32_e32 v12, 0x7f800001
	s_and_saveexec_b64 s[18:19], vcc
	s_cbranch_execz .LBB527_1140
; %bb.1139:                             ;   in Loop: Header=BB527_794 Depth=1
	v_and_b32_e32 v12, 7, v8
	v_ffbh_u32_e32 v16, v12
	v_min_u32_e32 v18, 32, v16
	v_subrev_u32_e32 v16, 28, v18
	v_lshlrev_b64 v[16:17], v16, v[8:9]
	v_lshrrev_b32_e32 v15, 3, v14
	v_sub_u32_e32 v8, 29, v18
	v_and_b32_e32 v16, 7, v16
	v_cmp_gt_u32_e32 vcc, 8, v14
	v_cndmask_b32_e32 v8, v15, v8, vcc
	v_cndmask_b32_e32 v12, v12, v16, vcc
	v_lshlrev_b32_e32 v14, 16, v6
	v_lshlrev_b32_e32 v12, 20, v12
	v_and_b32_e32 v14, 0x80000000, v14
	v_lshl_add_u32 v8, v8, 23, v10
	v_or3_b32 v12, v14, v8, v12
.LBB527_1140:                           ;   in Loop: Header=BB527_794 Depth=1
	s_or_b64 exec, exec, s[18:19]
.LBB527_1141:                           ;   in Loop: Header=BB527_794 Depth=1
	s_or_b64 exec, exec, s[16:17]
.LBB527_1142:                           ;   in Loop: Header=BB527_794 Depth=1
	s_or_b64 exec, exec, s[14:15]
	v_lshrrev_b32_e32 v8, 16, v6
	v_cmp_ne_u16_sdwa s[16:17], v8, v9 src0_sel:BYTE_0 src1_sel:DWORD
	s_and_saveexec_b64 s[14:15], s[16:17]
	s_cbranch_execz .LBB527_1148
; %bb.1143:                             ;   in Loop: Header=BB527_794 Depth=1
	v_cmp_ne_u16_sdwa s[18:19], v8, s5 src0_sel:BYTE_0 src1_sel:DWORD
	v_bfrev_b32_e32 v11, 1
	s_and_saveexec_b64 s[16:17], s[18:19]
	s_cbranch_execz .LBB527_1147
; %bb.1144:                             ;   in Loop: Header=BB527_794 Depth=1
	v_bfe_u32 v14, v6, 16, 7
	v_cmp_ne_u32_e32 vcc, s21, v14
	v_mov_b32_e32 v11, 0x7f800001
	s_and_saveexec_b64 s[18:19], vcc
	s_cbranch_execz .LBB527_1146
; %bb.1145:                             ;   in Loop: Header=BB527_794 Depth=1
	v_and_b32_e32 v11, 7, v8
	v_ffbh_u32_e32 v16, v11
	v_min_u32_e32 v18, 32, v16
	v_subrev_u32_e32 v16, 28, v18
	v_lshlrev_b64 v[16:17], v16, v[8:9]
	v_lshrrev_b32_e32 v15, 3, v14
	v_sub_u32_e32 v17, 29, v18
	v_and_b32_e32 v16, 7, v16
	v_cmp_gt_u32_e32 vcc, 8, v14
	v_cndmask_b32_e32 v14, v15, v17, vcc
	v_cndmask_b32_e32 v11, v11, v16, vcc
	v_lshlrev_b32_e32 v8, 24, v8
	v_lshlrev_b32_e32 v11, 20, v11
	v_and_b32_e32 v8, 0x80000000, v8
	v_lshl_add_u32 v14, v14, 23, v10
	v_or3_b32 v11, v8, v14, v11
.LBB527_1146:                           ;   in Loop: Header=BB527_794 Depth=1
	s_or_b64 exec, exec, s[18:19]
.LBB527_1147:                           ;   in Loop: Header=BB527_794 Depth=1
	s_or_b64 exec, exec, s[16:17]
.LBB527_1148:                           ;   in Loop: Header=BB527_794 Depth=1
	s_or_b64 exec, exec, s[14:15]
	v_cmp_lt_u32_e32 vcc, s22, v6
	v_mov_b32_e32 v14, 0
	v_mov_b32_e32 v15, 0
	s_and_saveexec_b64 s[14:15], vcc
	s_cbranch_execz .LBB527_1154
; %bb.1149:                             ;   in Loop: Header=BB527_794 Depth=1
	v_lshrrev_b32_e32 v8, 24, v6
	v_cmp_ne_u32_e32 vcc, s5, v8
	v_bfrev_b32_e32 v15, 1
	s_and_saveexec_b64 s[16:17], vcc
	s_cbranch_execz .LBB527_1153
; %bb.1150:                             ;   in Loop: Header=BB527_794 Depth=1
	v_bfe_u32 v6, v6, 24, 7
	v_cmp_ne_u32_e32 vcc, s21, v6
	v_mov_b32_e32 v15, 0x7f800001
	s_and_saveexec_b64 s[18:19], vcc
	s_cbranch_execz .LBB527_1152
; %bb.1151:                             ;   in Loop: Header=BB527_794 Depth=1
	v_and_b32_e32 v15, 7, v8
	v_ffbh_u32_e32 v16, v15
	v_min_u32_e32 v19, 32, v16
	v_subrev_u32_e32 v16, 28, v19
	v_lshlrev_b64 v[16:17], v16, v[8:9]
	v_lshrrev_b32_e32 v18, 3, v6
	v_sub_u32_e32 v17, 29, v19
	v_and_b32_e32 v16, 7, v16
	v_cmp_gt_u32_e32 vcc, 8, v6
	v_cndmask_b32_e32 v6, v18, v17, vcc
	v_cndmask_b32_e32 v15, v15, v16, vcc
	v_lshlrev_b32_e32 v8, 24, v8
	v_lshlrev_b32_e32 v15, 20, v15
	v_and_b32_e32 v8, 0x80000000, v8
	v_lshl_add_u32 v6, v6, 23, v10
	v_or3_b32 v15, v8, v6, v15
.LBB527_1152:                           ;   in Loop: Header=BB527_794 Depth=1
	s_or_b64 exec, exec, s[18:19]
.LBB527_1153:                           ;   in Loop: Header=BB527_794 Depth=1
	s_or_b64 exec, exec, s[16:17]
.LBB527_1154:                           ;   in Loop: Header=BB527_794 Depth=1
	s_or_b64 exec, exec, s[14:15]
	s_waitcnt vmcnt(0)
	v_cmp_ne_u16_sdwa s[16:17], v4, v9 src0_sel:BYTE_0 src1_sel:DWORD
	s_and_saveexec_b64 s[14:15], s[16:17]
	s_cbranch_execz .LBB527_1160
; %bb.1155:                             ;   in Loop: Header=BB527_794 Depth=1
	v_cmp_ne_u16_sdwa s[18:19], v4, s5 src0_sel:BYTE_0 src1_sel:DWORD
	v_bfrev_b32_e32 v14, 1
	s_and_saveexec_b64 s[16:17], s[18:19]
	s_cbranch_execz .LBB527_1159
; %bb.1156:                             ;   in Loop: Header=BB527_794 Depth=1
	v_and_b32_e32 v6, 0x7f, v4
	v_cmp_ne_u32_e32 vcc, s21, v6
	v_mov_b32_e32 v14, 0x7f800001
	s_and_saveexec_b64 s[18:19], vcc
	s_cbranch_execz .LBB527_1158
; %bb.1157:                             ;   in Loop: Header=BB527_794 Depth=1
	v_and_b32_e32 v8, 7, v4
	v_ffbh_u32_e32 v16, v8
	v_min_u32_e32 v18, 32, v16
	v_subrev_u32_e32 v16, 28, v18
	v_lshlrev_b64 v[16:17], v16, v[4:5]
	v_lshrrev_b32_e32 v14, 3, v6
	v_sub_u32_e32 v17, 29, v18
	v_and_b32_e32 v16, 7, v16
	v_cmp_gt_u32_e32 vcc, 8, v6
	v_cndmask_b32_e32 v6, v14, v17, vcc
	v_cndmask_b32_e32 v8, v8, v16, vcc
	v_lshlrev_b32_e32 v14, 24, v4
	v_lshlrev_b32_e32 v8, 20, v8
	v_and_b32_e32 v14, 0x80000000, v14
	v_lshl_add_u32 v6, v6, 23, v10
	v_or3_b32 v14, v14, v6, v8
.LBB527_1158:                           ;   in Loop: Header=BB527_794 Depth=1
	s_or_b64 exec, exec, s[18:19]
.LBB527_1159:                           ;   in Loop: Header=BB527_794 Depth=1
	s_or_b64 exec, exec, s[16:17]
.LBB527_1160:                           ;   in Loop: Header=BB527_794 Depth=1
	s_or_b64 exec, exec, s[14:15]
	v_lshrrev_b16_e32 v6, 8, v4
	v_cmp_ne_u16_e32 vcc, 0, v6
	v_mov_b32_e32 v8, 0
	v_mov_b32_e32 v16, 0
	s_and_saveexec_b64 s[14:15], vcc
	s_cbranch_execz .LBB527_1166
; %bb.1161:                             ;   in Loop: Header=BB527_794 Depth=1
	v_cmp_ne_u16_e32 vcc, s5, v6
	v_bfrev_b32_e32 v16, 1
	s_and_saveexec_b64 s[16:17], vcc
	s_cbranch_execz .LBB527_1165
; %bb.1162:                             ;   in Loop: Header=BB527_794 Depth=1
	v_and_b32_e32 v17, 0x7f, v6
	v_cmp_ne_u32_e32 vcc, s21, v17
	v_mov_b32_e32 v16, 0x7f800001
	s_and_saveexec_b64 s[18:19], vcc
	s_cbranch_execz .LBB527_1164
; %bb.1163:                             ;   in Loop: Header=BB527_794 Depth=1
	v_and_b32_e32 v16, 7, v6
	v_ffbh_u32_e32 v18, v16
	v_min_u32_e32 v21, 32, v18
	v_subrev_u32_e32 v18, 28, v21
	v_lshlrev_b64 v[18:19], v18, v[6:7]
	v_lshrrev_b32_e32 v20, 3, v17
	v_sub_u32_e32 v6, 29, v21
	v_and_b32_e32 v18, 7, v18
	v_cmp_gt_u32_e32 vcc, 8, v17
	v_cndmask_b32_e32 v6, v20, v6, vcc
	v_cndmask_b32_e32 v16, v16, v18, vcc
	v_lshlrev_b32_e32 v17, 16, v4
	v_lshlrev_b32_e32 v16, 20, v16
	v_and_b32_e32 v17, 0x80000000, v17
	v_lshl_add_u32 v6, v6, 23, v10
	v_or3_b32 v16, v17, v6, v16
.LBB527_1164:                           ;   in Loop: Header=BB527_794 Depth=1
	s_or_b64 exec, exec, s[18:19]
.LBB527_1165:                           ;   in Loop: Header=BB527_794 Depth=1
	s_or_b64 exec, exec, s[16:17]
.LBB527_1166:                           ;   in Loop: Header=BB527_794 Depth=1
	s_or_b64 exec, exec, s[14:15]
	v_lshrrev_b32_e32 v6, 16, v4
	v_cmp_ne_u16_sdwa s[16:17], v6, v9 src0_sel:BYTE_0 src1_sel:DWORD
	s_and_saveexec_b64 s[14:15], s[16:17]
	s_cbranch_execz .LBB527_1172
; %bb.1167:                             ;   in Loop: Header=BB527_794 Depth=1
	v_cmp_ne_u16_sdwa s[18:19], v6, s5 src0_sel:BYTE_0 src1_sel:DWORD
	v_bfrev_b32_e32 v8, 1
	s_and_saveexec_b64 s[16:17], s[18:19]
	s_cbranch_execz .LBB527_1171
; %bb.1168:                             ;   in Loop: Header=BB527_794 Depth=1
	v_bfe_u32 v17, v4, 16, 7
	v_cmp_ne_u32_e32 vcc, s21, v17
	v_mov_b32_e32 v8, 0x7f800001
	s_and_saveexec_b64 s[18:19], vcc
	s_cbranch_execz .LBB527_1170
; %bb.1169:                             ;   in Loop: Header=BB527_794 Depth=1
	v_and_b32_e32 v8, 7, v6
	v_ffbh_u32_e32 v18, v8
	v_min_u32_e32 v21, 32, v18
	v_subrev_u32_e32 v18, 28, v21
	v_lshlrev_b64 v[18:19], v18, v[6:7]
	v_lshrrev_b32_e32 v20, 3, v17
	v_sub_u32_e32 v19, 29, v21
	v_and_b32_e32 v18, 7, v18
	v_cmp_gt_u32_e32 vcc, 8, v17
	v_cndmask_b32_e32 v17, v20, v19, vcc
	v_cndmask_b32_e32 v8, v8, v18, vcc
	v_lshlrev_b32_e32 v6, 24, v6
	v_lshlrev_b32_e32 v8, 20, v8
	v_and_b32_e32 v6, 0x80000000, v6
	v_lshl_add_u32 v17, v17, 23, v10
	v_or3_b32 v8, v6, v17, v8
.LBB527_1170:                           ;   in Loop: Header=BB527_794 Depth=1
	s_or_b64 exec, exec, s[18:19]
.LBB527_1171:                           ;   in Loop: Header=BB527_794 Depth=1
	s_or_b64 exec, exec, s[16:17]
.LBB527_1172:                           ;   in Loop: Header=BB527_794 Depth=1
	s_or_b64 exec, exec, s[14:15]
	v_cmp_lt_u32_e32 vcc, s22, v4
	v_mov_b32_e32 v17, 0
	s_and_saveexec_b64 s[14:15], vcc
	s_cbranch_execz .LBB527_793
; %bb.1173:                             ;   in Loop: Header=BB527_794 Depth=1
	v_lshrrev_b32_e32 v6, 24, v4
	v_cmp_ne_u32_e32 vcc, s5, v6
	v_bfrev_b32_e32 v17, 1
	s_and_saveexec_b64 s[16:17], vcc
	s_cbranch_execz .LBB527_792
; %bb.1174:                             ;   in Loop: Header=BB527_794 Depth=1
	v_bfe_u32 v4, v4, 24, 7
	v_cmp_ne_u32_e32 vcc, s21, v4
	v_mov_b32_e32 v17, 0x7f800001
	s_and_saveexec_b64 s[18:19], vcc
	s_cbranch_execz .LBB527_791
; %bb.1175:                             ;   in Loop: Header=BB527_794 Depth=1
	v_and_b32_e32 v17, 7, v6
	v_ffbh_u32_e32 v18, v17
	v_min_u32_e32 v21, 32, v18
	v_subrev_u32_e32 v18, 28, v21
	v_lshlrev_b64 v[18:19], v18, v[6:7]
	v_lshrrev_b32_e32 v20, 3, v4
	v_sub_u32_e32 v19, 29, v21
	v_and_b32_e32 v18, 7, v18
	v_cmp_gt_u32_e32 vcc, 8, v4
	v_cndmask_b32_e32 v4, v20, v19, vcc
	v_cndmask_b32_e32 v17, v17, v18, vcc
	v_lshlrev_b32_e32 v6, 24, v6
	v_lshlrev_b32_e32 v17, 20, v17
	v_and_b32_e32 v6, 0x80000000, v6
	v_lshl_add_u32 v4, v4, 23, v10
	v_or3_b32 v17, v6, v4, v17
	s_branch .LBB527_791
.LBB527_1176:
	s_or_b64 exec, exec, s[6:7]
	v_cmp_gt_u32_e32 vcc, 64, v0
	s_waitcnt lgkmcnt(0)
	s_barrier
	s_and_saveexec_b64 s[6:7], vcc
	s_cbranch_execz .LBB527_1178
; %bb.1177:
	v_mul_u32_u24_e32 v6, 40, v1
	ds_read2_b64 v[2:5], v6 offset1:1
	s_mov_b32 s5, 0
	s_waitcnt lgkmcnt(0)
	v_mov_b32_e32 v3, 0xa00
	s_lshl_b32 s4, s4, 7
	ds_read2_b64 v[6:9], v6 offset0:2 offset1:3
	v_mad_u32_u24 v3, v1, 40, v3
	v_pk_add_f16 v2, v2, 0
	s_lshl_b64 s[6:7], s[4:5], 1
	s_waitcnt lgkmcnt(0)
	v_pk_add_f16 v7, v2, v4
	v_mov_b32_e32 v9, 0xa10
	ds_read2_b64 v[2:5], v3 offset1:1
	s_add_u32 s6, s30, s6
	v_mad_u32_u24 v1, v1, 40, v9
	ds_read2_b64 v[10:13], v1 offset1:1
	s_addc_u32 s7, s31, s7
	s_lshl_b32 s4, s28, 7
	s_lshl_b64 s[4:5], s[4:5], 1
	s_add_u32 s4, s6, s4
	v_pk_add_f16 v1, v7, v6
	s_addc_u32 s5, s7, s5
	s_lshl_b32 s6, s33, 7
	v_pk_add_f16 v6, v1, v8
	s_waitcnt lgkmcnt(1)
	v_pk_add_f16 v1, v2, 0
	s_mul_i32 s7, s6, s24
	v_pk_add_f16 v1, v1, v4
	v_or_b32_e32 v2, s7, v0
	v_mov_b32_e32 v3, 0
	s_waitcnt lgkmcnt(0)
	v_pk_add_f16 v1, v1, v10
	v_lshlrev_b64 v[4:5], 1, v[2:3]
	s_add_i32 s7, s7, s6
	v_pk_add_f16 v7, v1, v12
	v_mov_b32_e32 v1, s5
	v_add_co_u32_e32 v4, vcc, s4, v4
	v_or_b32_e32 v2, s7, v0
	v_addc_co_u32_e32 v5, vcc, v1, v5, vcc
	v_lshlrev_b64 v[0:1], 1, v[2:3]
	v_mov_b32_e32 v2, s5
	v_add_co_u32_e32 v0, vcc, s4, v0
	v_addc_co_u32_e32 v1, vcc, v2, v1, vcc
	global_store_short v[4:5], v6, off
	global_store_short_d16_hi v[0:1], v6, off
	global_store_short v[4:5], v7, off offset:128
	global_store_short_d16_hi v[0:1], v7, off offset:128
.LBB527_1178:
	s_endpgm
	.section	.rodata,"a",@progbits
	.p2align	6, 0x0
	.amdhsa_kernel _Z38paged_attention_ll4mi_QKV_mfma4_kernelIDF16_hLN4vllm18Fp8KVCacheDataTypeE1EDF16_Li32ELi128ELi256ELb0ELi2EEvPKT_PKT0_S7_ifPKiS9_S9_iPKfiiiPfSC_PS2_PT2_iSB_SB_
		.amdhsa_group_segment_fixed_size 5280
		.amdhsa_private_segment_fixed_size 144
		.amdhsa_kernarg_size 400
		.amdhsa_user_sgpr_count 8
		.amdhsa_user_sgpr_private_segment_buffer 1
		.amdhsa_user_sgpr_dispatch_ptr 0
		.amdhsa_user_sgpr_queue_ptr 0
		.amdhsa_user_sgpr_kernarg_segment_ptr 1
		.amdhsa_user_sgpr_dispatch_id 0
		.amdhsa_user_sgpr_flat_scratch_init 1
		.amdhsa_user_sgpr_kernarg_preload_length 0
		.amdhsa_user_sgpr_kernarg_preload_offset 0
		.amdhsa_user_sgpr_private_segment_size 0
		.amdhsa_uses_dynamic_stack 0
		.amdhsa_system_sgpr_private_segment_wavefront_offset 1
		.amdhsa_system_sgpr_workgroup_id_x 1
		.amdhsa_system_sgpr_workgroup_id_y 1
		.amdhsa_system_sgpr_workgroup_id_z 1
		.amdhsa_system_sgpr_workgroup_info 0
		.amdhsa_system_vgpr_workitem_id 0
		.amdhsa_next_free_vgpr 80
		.amdhsa_next_free_sgpr 46
		.amdhsa_accum_offset 76
		.amdhsa_reserve_vcc 1
		.amdhsa_reserve_flat_scratch 0
		.amdhsa_float_round_mode_32 0
		.amdhsa_float_round_mode_16_64 0
		.amdhsa_float_denorm_mode_32 3
		.amdhsa_float_denorm_mode_16_64 3
		.amdhsa_dx10_clamp 1
		.amdhsa_ieee_mode 1
		.amdhsa_fp16_overflow 0
		.amdhsa_tg_split 0
		.amdhsa_exception_fp_ieee_invalid_op 0
		.amdhsa_exception_fp_denorm_src 0
		.amdhsa_exception_fp_ieee_div_zero 0
		.amdhsa_exception_fp_ieee_overflow 0
		.amdhsa_exception_fp_ieee_underflow 0
		.amdhsa_exception_fp_ieee_inexact 0
		.amdhsa_exception_int_div_zero 0
	.end_amdhsa_kernel
	.section	.text._Z38paged_attention_ll4mi_QKV_mfma4_kernelIDF16_hLN4vllm18Fp8KVCacheDataTypeE1EDF16_Li32ELi128ELi256ELb0ELi2EEvPKT_PKT0_S7_ifPKiS9_S9_iPKfiiiPfSC_PS2_PT2_iSB_SB_,"axG",@progbits,_Z38paged_attention_ll4mi_QKV_mfma4_kernelIDF16_hLN4vllm18Fp8KVCacheDataTypeE1EDF16_Li32ELi128ELi256ELb0ELi2EEvPKT_PKT0_S7_ifPKiS9_S9_iPKfiiiPfSC_PS2_PT2_iSB_SB_,comdat
.Lfunc_end527:
	.size	_Z38paged_attention_ll4mi_QKV_mfma4_kernelIDF16_hLN4vllm18Fp8KVCacheDataTypeE1EDF16_Li32ELi128ELi256ELb0ELi2EEvPKT_PKT0_S7_ifPKiS9_S9_iPKfiiiPfSC_PS2_PT2_iSB_SB_, .Lfunc_end527-_Z38paged_attention_ll4mi_QKV_mfma4_kernelIDF16_hLN4vllm18Fp8KVCacheDataTypeE1EDF16_Li32ELi128ELi256ELb0ELi2EEvPKT_PKT0_S7_ifPKiS9_S9_iPKfiiiPfSC_PS2_PT2_iSB_SB_
                                        ; -- End function
	.section	.AMDGPU.csdata,"",@progbits
; Kernel info:
; codeLenInByte = 37540
; NumSgprs: 50
; NumVgprs: 74
; NumAgprs: 4
; TotalNumVgprs: 80
; ScratchSize: 144
; MemoryBound: 0
; FloatMode: 240
; IeeeMode: 1
; LDSByteSize: 5280 bytes/workgroup (compile time only)
; SGPRBlocks: 6
; VGPRBlocks: 9
; NumSGPRsForWavesPerEU: 50
; NumVGPRsForWavesPerEU: 80
; AccumOffset: 76
; Occupancy: 6
; WaveLimiterHint : 1
; COMPUTE_PGM_RSRC2:SCRATCH_EN: 1
; COMPUTE_PGM_RSRC2:USER_SGPR: 8
; COMPUTE_PGM_RSRC2:TRAP_HANDLER: 0
; COMPUTE_PGM_RSRC2:TGID_X_EN: 1
; COMPUTE_PGM_RSRC2:TGID_Y_EN: 1
; COMPUTE_PGM_RSRC2:TGID_Z_EN: 1
; COMPUTE_PGM_RSRC2:TIDIG_COMP_CNT: 0
; COMPUTE_PGM_RSRC3_GFX90A:ACCUM_OFFSET: 18
; COMPUTE_PGM_RSRC3_GFX90A:TG_SPLIT: 0
	.section	.text._Z38paged_attention_ll4mi_QKV_mfma4_kernelIDF16_hLN4vllm18Fp8KVCacheDataTypeE1EDF16_Li32ELi128ELi256ELb0ELi3EEvPKT_PKT0_S7_ifPKiS9_S9_iPKfiiiPfSC_PS2_PT2_iSB_SB_,"axG",@progbits,_Z38paged_attention_ll4mi_QKV_mfma4_kernelIDF16_hLN4vllm18Fp8KVCacheDataTypeE1EDF16_Li32ELi128ELi256ELb0ELi3EEvPKT_PKT0_S7_ifPKiS9_S9_iPKfiiiPfSC_PS2_PT2_iSB_SB_,comdat
	.protected	_Z38paged_attention_ll4mi_QKV_mfma4_kernelIDF16_hLN4vllm18Fp8KVCacheDataTypeE1EDF16_Li32ELi128ELi256ELb0ELi3EEvPKT_PKT0_S7_ifPKiS9_S9_iPKfiiiPfSC_PS2_PT2_iSB_SB_ ; -- Begin function _Z38paged_attention_ll4mi_QKV_mfma4_kernelIDF16_hLN4vllm18Fp8KVCacheDataTypeE1EDF16_Li32ELi128ELi256ELb0ELi3EEvPKT_PKT0_S7_ifPKiS9_S9_iPKfiiiPfSC_PS2_PT2_iSB_SB_
	.globl	_Z38paged_attention_ll4mi_QKV_mfma4_kernelIDF16_hLN4vllm18Fp8KVCacheDataTypeE1EDF16_Li32ELi128ELi256ELb0ELi3EEvPKT_PKT0_S7_ifPKiS9_S9_iPKfiiiPfSC_PS2_PT2_iSB_SB_
	.p2align	8
	.type	_Z38paged_attention_ll4mi_QKV_mfma4_kernelIDF16_hLN4vllm18Fp8KVCacheDataTypeE1EDF16_Li32ELi128ELi256ELb0ELi3EEvPKT_PKT0_S7_ifPKiS9_S9_iPKfiiiPfSC_PS2_PT2_iSB_SB_,@function
_Z38paged_attention_ll4mi_QKV_mfma4_kernelIDF16_hLN4vllm18Fp8KVCacheDataTypeE1EDF16_Li32ELi128ELi256ELb0ELi3EEvPKT_PKT0_S7_ifPKiS9_S9_iPKfiiiPfSC_PS2_PT2_iSB_SB_: ; @_Z38paged_attention_ll4mi_QKV_mfma4_kernelIDF16_hLN4vllm18Fp8KVCacheDataTypeE1EDF16_Li32ELi128ELi256ELb0ELi3EEvPKT_PKT0_S7_ifPKiS9_S9_iPKfiiiPfSC_PS2_PT2_iSB_SB_
; %bb.0:
	s_load_dwordx2 s[12:13], s[4:5], 0x30
	s_add_u32 s0, s0, s11
	s_addc_u32 s1, s1, 0
	s_mov_b32 s34, s9
	s_mov_b64 s[6:7], 0
	s_waitcnt lgkmcnt(0)
	s_cmp_lg_u64 s[12:13], 0
	s_cselect_b64 s[14:15], -1, 0
	s_and_b64 vcc, exec, s[14:15]
	s_cbranch_vccz .LBB528_10
; %bb.1:
	s_add_i32 s16, s8, 1
	s_mov_b32 s17, 0
	s_lshl_b64 s[18:19], s[16:17], 2
	s_add_u32 s18, s12, s18
	s_mov_b32 s9, s17
	s_addc_u32 s19, s13, s19
	s_lshl_b64 s[16:17], s[8:9], 2
	s_add_u32 s16, s12, s16
	s_addc_u32 s17, s13, s17
	s_load_dword s11, s[18:19], 0x0
	s_load_dword s20, s[16:17], 0x0
	s_waitcnt lgkmcnt(0)
	s_sub_i32 s11, s11, s20
	s_cmp_eq_u32 s11, 1
	s_cselect_b64 s[16:17], -1, 0
	s_andn2_b64 vcc, exec, s[6:7]
	s_cbranch_vccnz .LBB528_3
.LBB528_2:
	s_mov_b32 s9, 0
	s_mov_b64 s[16:17], -1
.LBB528_3:
	s_andn2_b64 vcc, exec, s[16:17]
	s_cbranch_vccnz .LBB528_1178
; %bb.4:
	s_load_dword s11, s[4:5], 0x9c
	s_load_dwordx2 s[6:7], s[4:5], 0x28
	s_add_u32 s38, s4, 0x90
	s_addc_u32 s39, s5, 0
	s_lshl_b64 s[24:25], s[8:9], 2
	s_waitcnt lgkmcnt(0)
	s_and_b32 s11, s11, 0xffff
	s_add_u32 s6, s6, s24
	s_addc_u32 s7, s7, s25
	s_load_dword s9, s[6:7], 0x0
	s_mul_i32 s11, s34, s11
	s_waitcnt lgkmcnt(0)
	s_cmp_ge_i32 s11, s9
	s_cbranch_scc1 .LBB528_1178
; %bb.5:
	v_and_b32_e32 v1, 0xc0, v0
	v_add_u32_e32 v7, s11, v1
	v_lshrrev_b32_e32 v42, 6, v0
	v_cmp_le_i32_e64 s[6:7], s9, v7
                                        ; implicit-def: $sgpr27
                                        ; implicit-def: $sgpr26
	s_and_saveexec_b64 s[16:17], s[6:7]
	s_xor_b64 s[16:17], exec, s[16:17]
	s_cbranch_execz .LBB528_7
; %bb.6:
	v_mul_u32_u24_e32 v1, 20, v42
	v_or_b32_e32 v1, 0x1400, v1
	v_mov_b32_e32 v2, 0x1450
	v_mov_b32_e32 v3, 0xff7fffff
	v_mad_u32_u24 v2, v42, 20, v2
	ds_write2_b32 v1, v3, v3 offset1:1
	v_mov_b32_e32 v1, 0
	ds_write2_b32 v2, v1, v1 offset1:1
	v_mov_b32_e32 v2, 0x1408
	s_mov_b32 s26, 0xff7fffff
	s_mov_b32 s27, 0
	v_mad_u32_u24 v2, v42, 20, v2
	v_mov_b32_e32 v4, 0x1458
	v_mad_u32_u24 v4, v42, 20, v4
	ds_write2_b32 v2, v3, v3 offset1:1
	ds_write2_b32 v4, v1, v1 offset1:1
                                        ; implicit-def: $vgpr7
.LBB528_7:
	s_or_saveexec_b64 s[40:41], s[16:17]
	s_load_dwordx2 s[36:37], s[4:5], 0x68
	s_load_dwordx4 s[20:23], s[4:5], 0x58
	s_load_dword s33, s[38:39], 0x4
	s_load_dwordx4 s[16:19], s[4:5], 0x80
	v_and_b32_e32 v1, 63, v0
	v_and_b32_e32 v43, 3, v0
	v_mov_b32_e32 v5, s27
	v_mov_b32_e32 v6, s26
	v_mov_b32_e32 v4, s27
	v_mov_b32_e32 v3, s27
	v_mov_b32_e32 v2, s27
	s_xor_b64 exec, exec, s[40:41]
	s_cbranch_execz .LBB528_785
; %bb.8:
	s_add_i32 s29, s9, 31
	s_load_dwordx2 s[26:27], s[4:5], 0x20
	s_load_dword s28, s[4:5], 0x38
	s_ashr_i32 s30, s29, 31
	s_lshr_b32 s30, s30, 27
	v_add_u32_e32 v44, s11, v0
	s_add_i32 s29, s29, s30
	v_ashrrev_i32_e32 v2, 31, v44
	s_ashr_i32 s29, s29, 5
	v_lshrrev_b32_e32 v2, 27, v2
	s_add_i32 s30, s29, -1
	v_add_u32_e32 v2, v44, v2
	s_waitcnt lgkmcnt(0)
	s_mul_i32 s28, s8, s28
	s_mov_b32 s29, 0
	v_ashrrev_i32_e32 v2, 5, v2
	v_mov_b32_e32 v3, s30
	v_cmp_gt_i32_e32 vcc, s9, v44
	s_lshl_b64 s[28:29], s[28:29], 2
	v_cndmask_b32_e32 v2, v3, v2, vcc
	s_add_u32 s26, s26, s28
	v_ashrrev_i32_e32 v3, 31, v2
	s_addc_u32 s27, s27, s29
	v_lshlrev_b64 v[2:3], 2, v[2:3]
	v_mov_b32_e32 v4, s27
	v_add_co_u32_e32 v2, vcc, s26, v2
	v_addc_co_u32_e32 v3, vcc, v4, v3, vcc
	v_ashrrev_i32_e32 v4, 31, v7
	v_lshrrev_b32_e32 v4, 27, v4
	v_add_u32_e32 v4, v7, v4
	v_ashrrev_i32_e32 v6, 5, v4
	v_min_i32_e32 v4, s30, v6
	v_ashrrev_i32_e32 v5, 31, v4
	v_lshlrev_b64 v[4:5], 2, v[4:5]
	v_add_u32_e32 v6, 1, v6
	v_mov_b32_e32 v7, s27
	v_add_co_u32_e32 v4, vcc, s26, v4
	v_min_i32_e32 v6, s30, v6
	v_addc_co_u32_e32 v5, vcc, v7, v5, vcc
	v_ashrrev_i32_e32 v7, 31, v6
	v_lshlrev_b64 v[6:7], 2, v[6:7]
	v_mov_b32_e32 v8, s27
	v_add_co_u32_e32 v10, vcc, s26, v6
	v_addc_co_u32_e32 v11, vcc, v8, v7, vcc
	global_load_dword v6, v[2:3], off
	global_load_dword v8, v[4:5], off
	;; [unrolled: 1-line block ×3, first 2 shown]
	s_load_dwordx4 s[28:31], s[4:5], 0x8
	s_andn2_b64 vcc, exec, s[14:15]
	s_cbranch_vccnz .LBB528_11
; %bb.9:
	s_add_u32 s12, s12, s24
	s_addc_u32 s13, s13, s25
	s_load_dword s11, s[12:13], 0x0
	s_branch .LBB528_12
.LBB528_10:
	s_mov_b64 s[16:17], 0
	s_branch .LBB528_2
.LBB528_11:
	s_mov_b32 s11, s8
.LBB528_12:
	s_load_dwordx4 s[24:27], s[4:5], 0x48
	v_cmp_eq_u32_e32 vcc, 3, v43
	v_cmp_ne_u32_e64 s[12:13], 3, v43
	s_mov_b32 s43, 0
	v_mov_b32_e32 v39, 0
	v_mov_b32_e32 v2, 0
	;; [unrolled: 1-line block ×5, first 2 shown]
	s_and_saveexec_b64 s[14:15], s[12:13]
	s_cbranch_execz .LBB528_14
; %bb.13:
	s_load_dwordx2 s[12:13], s[4:5], 0x0
	s_waitcnt lgkmcnt(0)
	s_ashr_i32 s27, s24, 31
	s_mul_hi_u32 s35, s11, s24
	s_mul_i32 s27, s11, s27
	s_add_i32 s45, s35, s27
	s_mul_i32 s44, s11, s24
	s_lshl_b64 s[44:45], s[44:45], 1
	s_add_u32 s11, s12, s44
	s_mul_i32 s42, s10, 0x180
	s_addc_u32 s24, s13, s45
	s_lshl_b64 s[12:13], s[42:43], 1
	v_lshlrev_b32_e32 v2, 2, v1
	s_add_u32 s12, s11, s12
	v_and_b32_e32 v2, 0xf0, v2
	s_addc_u32 s13, s24, s13
	v_lshl_or_b32 v2, v43, 8, v2
	global_load_dwordx4 v[2:5], v2, s[12:13]
.LBB528_14:
	s_or_b64 exec, exec, s[14:15]
	s_waitcnt lgkmcnt(0)
	s_mul_i32 s11, s10, s26
	s_waitcnt vmcnt(1)
	v_mul_hi_i32 v9, v8, s25
	s_add_u32 s14, s11, s28
	v_ashrrev_i32_e32 v9, 31, v9
	s_addc_u32 s15, 0, s29
	v_lshrrev_b32_e32 v38, 29, v9
	s_add_u32 s11, s30, s11
	v_mad_i64_i32 v[8:9], s[12:13], v8, s25, v[38:39]
	s_addc_u32 s24, s31, 0
	v_and_b32_e32 v8, -8, v8
	v_mov_b32_e32 v10, s24
	v_add_co_u32_e64 v8, s[12:13], s11, v8
	v_addc_co_u32_e64 v9, s[12:13], v10, v9, s[12:13]
	v_lshlrev_b32_e32 v16, 5, v1
	v_add_co_u32_e64 v12, s[12:13], v8, v16
	v_addc_co_u32_e64 v13, s[12:13], 0, v9, s[12:13]
	global_load_dwordx4 v[8:11], v[12:13], off
	global_load_dwordx4 v[46:49], v[12:13], off offset:16
	s_waitcnt vmcnt(2)
	v_mul_hi_i32 v15, v7, s25
	v_lshlrev_b32_e32 v14, 4, v0
	v_ashrrev_i32_e32 v18, 31, v15
	v_and_b32_e32 v17, 0x1f0, v14
	v_pk_mov_b32 v[14:15], s[14:15], s[14:15] op_sel:[0,1]
	v_lshrrev_b32_e32 v38, 29, v18
	v_mad_i64_i32 v[14:15], s[12:13], v6, s25, v[14:15]
	v_mad_i64_i32 v[6:7], s[12:13], v7, s25, v[38:39]
	v_add_co_u32_e64 v40, s[12:13], v14, v17
	v_addc_co_u32_e64 v41, s[12:13], 0, v15, s[12:13]
	v_and_b32_e32 v6, -8, v6
	v_mov_b32_e32 v14, s24
	v_add_co_u32_e64 v6, s[12:13], s11, v6
	v_addc_co_u32_e64 v7, s[12:13], v14, v7, s[12:13]
	v_add_co_u32_e64 v6, s[12:13], v6, v16
	v_addc_co_u32_e64 v7, s[12:13], 0, v7, s[12:13]
	global_load_dwordx4 v[50:53], v[12:13], off offset:2064
	global_load_dwordx4 v[54:57], v[12:13], off offset:2048
	global_load_dwordx4 v[58:61], v[6:7], off offset:16
	global_load_dwordx4 v[62:65], v[6:7], off
	global_load_dwordx4 v[34:37], v[40:41], off
	global_load_dwordx4 v[30:33], v[40:41], off offset:512
	global_load_dwordx4 v[26:29], v[40:41], off offset:1024
	;; [unrolled: 1-line block ×5, first 2 shown]
	v_mov_b32_e32 v45, 0
	s_waitcnt vmcnt(11)
	buffer_store_dword v9, off, s[0:3], 0 offset:4
	buffer_store_dword v8, off, s[0:3], 0
	buffer_store_dword v11, off, s[0:3], 0 offset:12
	buffer_store_dword v10, off, s[0:3], 0 offset:8
	global_load_dwordx4 v[18:21], v[40:41], off offset:2048
	global_load_dwordx4 v[14:17], v[40:41], off offset:2560
	s_waitcnt vmcnt(16)
	buffer_store_dword v47, off, s[0:3], 0 offset:20
	buffer_store_dword v46, off, s[0:3], 0 offset:16
	;; [unrolled: 1-line block ×4, first 2 shown]
	global_load_dwordx4 v[10:13], v[40:41], off offset:3072
	global_load_dwordx4 v[6:9], v[40:41], off offset:3584
	s_waitcnt vmcnt(20)
	buffer_store_dword v55, off, s[0:3], 0 offset:68
	buffer_store_dword v54, off, s[0:3], 0 offset:64
	buffer_store_dword v57, off, s[0:3], 0 offset:76
	buffer_store_dword v56, off, s[0:3], 0 offset:72
	buffer_store_dword v51, off, s[0:3], 0 offset:84
	buffer_store_dword v50, off, s[0:3], 0 offset:80
	buffer_store_dword v53, off, s[0:3], 0 offset:92
	buffer_store_dword v52, off, s[0:3], 0 offset:88
	s_waitcnt vmcnt(26)
	buffer_store_dword v63, off, s[0:3], 0 offset:36
	buffer_store_dword v62, off, s[0:3], 0 offset:32
	buffer_store_dword v65, off, s[0:3], 0 offset:44
	buffer_store_dword v64, off, s[0:3], 0 offset:40
	buffer_store_dword v59, off, s[0:3], 0 offset:52
	buffer_store_dword v58, off, s[0:3], 0 offset:48
	buffer_store_dword v61, off, s[0:3], 0 offset:60
	buffer_store_dword v60, off, s[0:3], 0 offset:56
	;; [unrolled: 9-line block ×3, first 2 shown]
	v_cmp_ne_u16_sdwa s[12:13], v34, v39 src0_sel:BYTE_0 src1_sel:DWORD
	s_and_saveexec_b64 s[14:15], s[12:13]
	s_cbranch_execz .LBB528_20
; %bb.15:
	s_movk_i32 s11, 0x80
	v_cmp_ne_u16_sdwa s[12:13], v34, s11 src0_sel:BYTE_0 src1_sel:DWORD
	v_bfrev_b32_e32 v45, 1
	s_and_saveexec_b64 s[24:25], s[12:13]
	s_cbranch_execz .LBB528_19
; %bb.16:
	s_movk_i32 s11, 0x7f
	v_and_b32_e32 v38, 0x7f, v34
	v_cmp_ne_u32_e64 s[12:13], s11, v38
	v_mov_b32_e32 v45, 0x7f800001
	s_and_saveexec_b64 s[26:27], s[12:13]
	s_cbranch_execz .LBB528_18
; %bb.17:
	v_and_b32_e32 v40, 7, v34
	v_ffbh_u32_e32 v40, v40
	v_min_u32_e32 v40, 32, v40
	v_lshrrev_b32_e32 v41, 3, v38
	v_subrev_u32_e32 v45, 28, v40
	v_sub_u32_e32 v40, 29, v40
	v_cmp_gt_u32_e64 s[12:13], 8, v38
	v_cndmask_b32_e64 v38, v41, v40, s[12:13]
	v_cndmask_b32_e64 v40, 0, v45, s[12:13]
	v_lshlrev_b64 v[40:41], v40, v[34:35]
	v_lshlrev_b32_e32 v40, 20, v40
	v_lshlrev_b32_e32 v41, 24, v34
	v_bfrev_b32_e32 v45, 60
	v_and_b32_e32 v40, 0x700000, v40
	v_and_b32_e32 v41, 0x80000000, v41
	v_lshl_add_u32 v38, v38, 23, v45
	v_or3_b32 v45, v41, v38, v40
.LBB528_18:
	s_or_b64 exec, exec, s[26:27]
.LBB528_19:
	s_or_b64 exec, exec, s[24:25]
.LBB528_20:
	s_or_b64 exec, exec, s[14:15]
	v_lshrrev_b16_e32 v38, 8, v34
	v_cmp_ne_u16_e64 s[12:13], 0, v38
	s_and_saveexec_b64 s[14:15], s[12:13]
	s_cbranch_execz .LBB528_26
; %bb.21:
	s_movk_i32 s11, 0x80
	v_cmp_ne_u16_e64 s[12:13], s11, v38
	v_bfrev_b32_e32 v39, 1
	s_and_saveexec_b64 s[24:25], s[12:13]
	s_cbranch_execz .LBB528_25
; %bb.22:
	s_movk_i32 s11, 0x7f
	v_and_b32_e32 v40, 0x7f, v38
	v_cmp_ne_u32_e64 s[12:13], s11, v40
	v_mov_b32_e32 v39, 0x7f800001
	s_and_saveexec_b64 s[26:27], s[12:13]
	s_cbranch_execz .LBB528_24
; %bb.23:
	v_and_b32_e32 v41, 7, v38
	v_ffbh_u32_e32 v39, v41
	v_min_u32_e32 v47, 32, v39
	v_subrev_u32_e32 v39, 28, v47
	v_lshlrev_b64 v[38:39], v39, v[38:39]
	v_lshrrev_b32_e32 v46, 3, v40
	v_sub_u32_e32 v39, 29, v47
	v_and_b32_e32 v38, 7, v38
	v_cmp_gt_u32_e64 s[12:13], 8, v40
	v_cndmask_b32_e64 v39, v46, v39, s[12:13]
	v_cndmask_b32_e64 v38, v41, v38, s[12:13]
	v_lshlrev_b32_e32 v40, 16, v34
	v_bfrev_b32_e32 v41, 60
	v_lshlrev_b32_e32 v38, 20, v38
	v_and_b32_e32 v40, 0x80000000, v40
	v_lshl_add_u32 v39, v39, 23, v41
	v_or3_b32 v39, v40, v39, v38
.LBB528_24:
	s_or_b64 exec, exec, s[26:27]
.LBB528_25:
	s_or_b64 exec, exec, s[24:25]
.LBB528_26:
	s_or_b64 exec, exec, s[14:15]
	s_movk_i32 s11, 0xff
	v_and_b32_sdwa v40, v34, s11 dst_sel:DWORD dst_unused:UNUSED_PAD src0_sel:WORD_1 src1_sel:DWORD
	v_lshrrev_b32_e32 v38, 16, v34
	v_cmp_ne_u16_e64 s[12:13], 0, v40
	v_mov_b32_e32 v46, 0
	v_mov_b32_e32 v47, 0
	s_and_saveexec_b64 s[14:15], s[12:13]
	s_cbranch_execz .LBB528_32
; %bb.27:
	s_movk_i32 s11, 0x80
	v_cmp_ne_u16_e64 s[12:13], s11, v40
	v_bfrev_b32_e32 v47, 1
	s_and_saveexec_b64 s[24:25], s[12:13]
	s_cbranch_execz .LBB528_31
; %bb.28:
	v_bfe_u32 v40, v34, 16, 7
	s_movk_i32 s11, 0x7f
	v_cmp_ne_u32_e64 s[12:13], s11, v40
	v_mov_b32_e32 v47, 0x7f800001
	s_and_saveexec_b64 s[26:27], s[12:13]
	s_cbranch_execz .LBB528_30
; %bb.29:
	v_and_b32_e32 v41, 7, v38
	v_ffbh_u32_e32 v48, v41
	v_min_u32_e32 v50, 32, v48
	v_subrev_u32_e32 v48, 28, v50
	v_lshlrev_b64 v[48:49], v48, v[38:39]
	v_and_b32_e32 v48, 7, v48
	v_cmp_gt_u32_e64 s[12:13], 8, v40
	v_lshrrev_b32_e32 v47, 3, v40
	v_sub_u32_e32 v38, 29, v50
	v_cndmask_b32_e64 v40, v41, v48, s[12:13]
	v_mov_b32_e32 v41, 24
	v_cndmask_b32_e64 v38, v47, v38, s[12:13]
	v_lshlrev_b32_sdwa v41, v41, v34 dst_sel:DWORD dst_unused:UNUSED_PAD src0_sel:DWORD src1_sel:WORD_1
	v_bfrev_b32_e32 v47, 60
	v_lshlrev_b32_e32 v40, 20, v40
	v_and_b32_e32 v41, 0x80000000, v41
	v_lshl_add_u32 v38, v38, 23, v47
	v_or3_b32 v47, v41, v38, v40
.LBB528_30:
	s_or_b64 exec, exec, s[26:27]
.LBB528_31:
	s_or_b64 exec, exec, s[24:25]
.LBB528_32:
	s_or_b64 exec, exec, s[14:15]
	s_mov_b32 s11, 0xffffff
	v_cmp_lt_u32_e64 s[12:13], s11, v34
	s_and_saveexec_b64 s[14:15], s[12:13]
	s_cbranch_execz .LBB528_38
; %bb.33:
	v_lshrrev_b32_e32 v38, 24, v34
	s_movk_i32 s11, 0x80
	v_cmp_ne_u32_e64 s[12:13], s11, v38
	v_bfrev_b32_e32 v46, 1
	s_and_saveexec_b64 s[24:25], s[12:13]
	s_cbranch_execz .LBB528_37
; %bb.34:
	v_bfe_u32 v40, v34, 24, 7
	s_movk_i32 s11, 0x7f
	v_cmp_ne_u32_e64 s[12:13], s11, v40
	v_mov_b32_e32 v46, 0x7f800001
	s_and_saveexec_b64 s[26:27], s[12:13]
	s_cbranch_execz .LBB528_36
; %bb.35:
	v_and_b32_e32 v41, 7, v38
	v_ffbh_u32_e32 v48, v41
	v_min_u32_e32 v50, 32, v48
	v_subrev_u32_e32 v48, 28, v50
	v_lshlrev_b64 v[48:49], v48, v[38:39]
	v_lshrrev_b32_e32 v46, 3, v40
	v_sub_u32_e32 v49, 29, v50
	v_and_b32_e32 v48, 7, v48
	v_cmp_gt_u32_e64 s[12:13], 8, v40
	v_cndmask_b32_e64 v40, v46, v49, s[12:13]
	v_cndmask_b32_e64 v41, v41, v48, s[12:13]
	v_lshlrev_b32_e32 v38, 24, v38
	v_bfrev_b32_e32 v46, 60
	v_lshlrev_b32_e32 v41, 20, v41
	v_and_b32_e32 v38, 0x80000000, v38
	v_lshl_add_u32 v40, v40, 23, v46
	v_or3_b32 v46, v38, v40, v41
.LBB528_36:
	s_or_b64 exec, exec, s[26:27]
.LBB528_37:
	s_or_b64 exec, exec, s[24:25]
.LBB528_38:
	s_or_b64 exec, exec, s[14:15]
	v_mov_b32_e32 v41, 0
	v_mov_b32_e32 v40, v35
	v_cmp_ne_u16_sdwa s[12:13], v35, v41 src0_sel:BYTE_0 src1_sel:DWORD
	v_mov_b32_e32 v48, v41
	s_and_saveexec_b64 s[14:15], s[12:13]
	s_cbranch_execz .LBB528_44
; %bb.39:
	s_movk_i32 s11, 0x80
	v_cmp_ne_u16_sdwa s[12:13], v35, s11 src0_sel:BYTE_0 src1_sel:DWORD
	v_bfrev_b32_e32 v48, 1
	s_and_saveexec_b64 s[24:25], s[12:13]
	s_cbranch_execz .LBB528_43
; %bb.40:
	s_movk_i32 s11, 0x7f
	v_and_b32_e32 v38, 0x7f, v35
	v_cmp_ne_u32_e64 s[12:13], s11, v38
	v_mov_b32_e32 v48, 0x7f800001
	s_and_saveexec_b64 s[26:27], s[12:13]
	s_cbranch_execz .LBB528_42
; %bb.41:
	v_and_b32_e32 v48, 7, v35
	v_ffbh_u32_e32 v48, v48
	v_min_u32_e32 v48, 32, v48
	v_lshrrev_b32_e32 v49, 3, v38
	v_subrev_u32_e32 v50, 28, v48
	v_sub_u32_e32 v48, 29, v48
	v_cmp_gt_u32_e64 s[12:13], 8, v38
	v_cndmask_b32_e64 v38, v49, v48, s[12:13]
	v_cndmask_b32_e64 v48, 0, v50, s[12:13]
	v_lshlrev_b64 v[48:49], v48, v[40:41]
	v_lshlrev_b32_e32 v48, 20, v48
	v_lshlrev_b32_e32 v49, 24, v40
	v_bfrev_b32_e32 v50, 60
	v_and_b32_e32 v48, 0x700000, v48
	v_and_b32_e32 v49, 0x80000000, v49
	v_lshl_add_u32 v38, v38, 23, v50
	v_or3_b32 v48, v49, v38, v48
.LBB528_42:
	s_or_b64 exec, exec, s[26:27]
.LBB528_43:
	s_or_b64 exec, exec, s[24:25]
.LBB528_44:
	s_or_b64 exec, exec, s[14:15]
	v_lshrrev_b16_e32 v38, 8, v40
	v_cmp_ne_u16_e64 s[12:13], 0, v38
	s_and_saveexec_b64 s[14:15], s[12:13]
	s_cbranch_execz .LBB528_50
; %bb.45:
	s_movk_i32 s11, 0x80
	v_cmp_ne_u16_e64 s[12:13], s11, v38
	v_bfrev_b32_e32 v41, 1
	s_and_saveexec_b64 s[24:25], s[12:13]
	s_cbranch_execz .LBB528_49
; %bb.46:
	s_movk_i32 s11, 0x7f
	v_and_b32_e32 v49, 0x7f, v38
	v_cmp_ne_u32_e64 s[12:13], s11, v49
	v_mov_b32_e32 v41, 0x7f800001
	s_and_saveexec_b64 s[26:27], s[12:13]
	s_cbranch_execz .LBB528_48
; %bb.47:
	v_and_b32_e32 v41, 7, v38
	v_ffbh_u32_e32 v50, v41
	v_min_u32_e32 v53, 32, v50
	v_subrev_u32_e32 v50, 28, v53
	v_lshlrev_b64 v[50:51], v50, v[38:39]
	v_lshrrev_b32_e32 v52, 3, v49
	v_sub_u32_e32 v38, 29, v53
	v_and_b32_e32 v50, 7, v50
	v_cmp_gt_u32_e64 s[12:13], 8, v49
	v_cndmask_b32_e64 v38, v52, v38, s[12:13]
	v_cndmask_b32_e64 v41, v41, v50, s[12:13]
	v_lshlrev_b32_e32 v40, 16, v40
	v_bfrev_b32_e32 v49, 60
	v_lshlrev_b32_e32 v41, 20, v41
	v_and_b32_e32 v40, 0x80000000, v40
	v_lshl_add_u32 v38, v38, 23, v49
	v_or3_b32 v41, v40, v38, v41
.LBB528_48:
	s_or_b64 exec, exec, s[26:27]
.LBB528_49:
	s_or_b64 exec, exec, s[24:25]
.LBB528_50:
	s_or_b64 exec, exec, s[14:15]
	s_movk_i32 s11, 0xff
	v_and_b32_sdwa v50, v35, s11 dst_sel:DWORD dst_unused:UNUSED_PAD src0_sel:WORD_1 src1_sel:DWORD
	v_lshrrev_b32_e32 v38, 16, v35
	v_cmp_ne_u16_e64 s[12:13], 0, v50
	v_mov_b32_e32 v40, 0
	v_mov_b32_e32 v49, 0
	s_and_saveexec_b64 s[14:15], s[12:13]
	s_cbranch_execz .LBB528_56
; %bb.51:
	s_movk_i32 s11, 0x80
	v_cmp_ne_u16_e64 s[12:13], s11, v50
	v_bfrev_b32_e32 v49, 1
	s_and_saveexec_b64 s[24:25], s[12:13]
	s_cbranch_execz .LBB528_55
; %bb.52:
	v_bfe_u32 v50, v35, 16, 7
	s_movk_i32 s11, 0x7f
	v_cmp_ne_u32_e64 s[12:13], s11, v50
	v_mov_b32_e32 v49, 0x7f800001
	s_and_saveexec_b64 s[26:27], s[12:13]
	s_cbranch_execz .LBB528_54
; %bb.53:
	v_and_b32_e32 v49, 7, v38
	v_ffbh_u32_e32 v52, v49
	v_min_u32_e32 v54, 32, v52
	v_subrev_u32_e32 v52, 28, v54
	v_lshlrev_b64 v[52:53], v52, v[38:39]
	v_lshrrev_b32_e32 v51, 3, v50
	v_sub_u32_e32 v38, 29, v54
	v_and_b32_e32 v52, 7, v52
	v_cmp_gt_u32_e64 s[12:13], 8, v50
	v_mov_b32_e32 v50, 24
	v_cndmask_b32_e64 v38, v51, v38, s[12:13]
	v_cndmask_b32_e64 v49, v49, v52, s[12:13]
	v_lshlrev_b32_sdwa v50, v50, v35 dst_sel:DWORD dst_unused:UNUSED_PAD src0_sel:DWORD src1_sel:WORD_1
	v_bfrev_b32_e32 v51, 60
	v_lshlrev_b32_e32 v49, 20, v49
	v_and_b32_e32 v50, 0x80000000, v50
	v_lshl_add_u32 v38, v38, 23, v51
	v_or3_b32 v49, v50, v38, v49
.LBB528_54:
	s_or_b64 exec, exec, s[26:27]
.LBB528_55:
	s_or_b64 exec, exec, s[24:25]
.LBB528_56:
	s_or_b64 exec, exec, s[14:15]
	s_mov_b32 s12, -1
	s_mov_b32 s13, 0xffffff
	v_cmp_lt_u64_e64 s[12:13], s[12:13], v[34:35]
	s_and_saveexec_b64 s[14:15], s[12:13]
	s_cbranch_execz .LBB528_62
; %bb.57:
	v_lshrrev_b32_e32 v34, 24, v35
	s_movk_i32 s11, 0x80
	v_cmp_ne_u32_e64 s[12:13], s11, v34
	v_bfrev_b32_e32 v40, 1
	s_and_saveexec_b64 s[24:25], s[12:13]
	s_cbranch_execz .LBB528_61
; %bb.58:
	v_bfe_u32 v35, v35, 24, 7
	s_movk_i32 s11, 0x7f
	v_cmp_ne_u32_e64 s[12:13], s11, v35
	v_mov_b32_e32 v40, 0x7f800001
	s_and_saveexec_b64 s[26:27], s[12:13]
	s_cbranch_execz .LBB528_60
; %bb.59:
	v_and_b32_e32 v38, 7, v34
	v_ffbh_u32_e32 v50, v38
	v_min_u32_e32 v52, 32, v50
	v_subrev_u32_e32 v50, 28, v52
	v_lshlrev_b64 v[50:51], v50, v[34:35]
	v_lshrrev_b32_e32 v40, 3, v35
	v_sub_u32_e32 v51, 29, v52
	v_and_b32_e32 v50, 7, v50
	v_cmp_gt_u32_e64 s[12:13], 8, v35
	v_cndmask_b32_e64 v35, v40, v51, s[12:13]
	v_cndmask_b32_e64 v38, v38, v50, s[12:13]
	v_lshlrev_b32_e32 v34, 24, v34
	v_bfrev_b32_e32 v40, 60
	v_lshlrev_b32_e32 v38, 20, v38
	v_and_b32_e32 v34, 0x80000000, v34
	v_lshl_add_u32 v35, v35, 23, v40
	v_or3_b32 v40, v34, v35, v38
.LBB528_60:
	s_or_b64 exec, exec, s[26:27]
.LBB528_61:
	s_or_b64 exec, exec, s[24:25]
.LBB528_62:
	s_or_b64 exec, exec, s[14:15]
	v_cvt_pkrtz_f16_f32 v34, v45, v39
	v_cvt_pkrtz_f16_f32 v35, v47, v46
	;; [unrolled: 1-line block ×4, first 2 shown]
	v_mfma_f32_4x4x4f16 a[0:3], v[2:3], v[34:35], 0 cbsz:4
	v_mov_b32_e32 v40, 0
	v_mfma_f32_4x4x4f16 a[0:3], v[4:5], v[46:47], a[0:3] cbsz:4
	v_mov_b32_e32 v39, 0
	v_cmp_ne_u16_sdwa s[12:13], v36, v40 src0_sel:BYTE_0 src1_sel:DWORD
	s_and_saveexec_b64 s[14:15], s[12:13]
	s_cbranch_execz .LBB528_68
; %bb.63:
	s_movk_i32 s11, 0x80
	v_cmp_ne_u16_sdwa s[12:13], v36, s11 src0_sel:BYTE_0 src1_sel:DWORD
	v_bfrev_b32_e32 v39, 1
	s_and_saveexec_b64 s[24:25], s[12:13]
	s_cbranch_execz .LBB528_67
; %bb.64:
	s_movk_i32 s11, 0x7f
	v_and_b32_e32 v34, 0x7f, v36
	v_cmp_ne_u32_e64 s[12:13], s11, v34
	v_mov_b32_e32 v39, 0x7f800001
	s_and_saveexec_b64 s[26:27], s[12:13]
	s_cbranch_execz .LBB528_66
; %bb.65:
	v_and_b32_e32 v35, 7, v36
	v_ffbh_u32_e32 v35, v35
	v_min_u32_e32 v35, 32, v35
	v_subrev_u32_e32 v39, 28, v35
	v_cmp_gt_u32_e64 s[12:13], 8, v34
	v_lshrrev_b32_e32 v38, 3, v34
	v_sub_u32_e32 v35, 29, v35
	v_cndmask_b32_e64 v34, 0, v39, s[12:13]
	v_cndmask_b32_e64 v38, v38, v35, s[12:13]
	v_lshlrev_b64 v[34:35], v34, v[36:37]
	v_lshlrev_b32_e32 v34, 20, v34
	v_lshlrev_b32_e32 v35, 24, v36
	v_bfrev_b32_e32 v39, 60
	v_and_b32_e32 v34, 0x700000, v34
	v_and_b32_e32 v35, 0x80000000, v35
	v_lshl_add_u32 v38, v38, 23, v39
	v_or3_b32 v39, v35, v38, v34
.LBB528_66:
	s_or_b64 exec, exec, s[26:27]
.LBB528_67:
	s_or_b64 exec, exec, s[24:25]
.LBB528_68:
	s_or_b64 exec, exec, s[14:15]
	v_lshrrev_b16_e32 v34, 8, v36
	v_cmp_ne_u16_e64 s[12:13], 0, v34
	v_mov_b32_e32 v41, 0
	s_and_saveexec_b64 s[14:15], s[12:13]
	s_cbranch_execz .LBB528_74
; %bb.69:
	s_movk_i32 s11, 0x80
	v_cmp_ne_u16_e64 s[12:13], s11, v34
	v_bfrev_b32_e32 v41, 1
	s_and_saveexec_b64 s[24:25], s[12:13]
	s_cbranch_execz .LBB528_73
; %bb.70:
	s_movk_i32 s11, 0x7f
	v_and_b32_e32 v35, 0x7f, v34
	v_cmp_ne_u32_e64 s[12:13], s11, v35
	v_mov_b32_e32 v41, 0x7f800001
	s_and_saveexec_b64 s[26:27], s[12:13]
	s_cbranch_execz .LBB528_72
; %bb.71:
	v_and_b32_e32 v38, 7, v34
	v_ffbh_u32_e32 v45, v38
	v_min_u32_e32 v45, 32, v45
	v_subrev_u32_e32 v46, 28, v45
	v_lshlrev_b64 v[46:47], v46, v[34:35]
	v_lshrrev_b32_e32 v41, 3, v35
	v_sub_u32_e32 v34, 29, v45
	v_and_b32_e32 v45, 7, v46
	v_cmp_gt_u32_e64 s[12:13], 8, v35
	v_cndmask_b32_e64 v34, v41, v34, s[12:13]
	v_cndmask_b32_e64 v35, v38, v45, s[12:13]
	v_lshlrev_b32_e32 v38, 16, v36
	v_bfrev_b32_e32 v41, 60
	v_lshlrev_b32_e32 v35, 20, v35
	v_and_b32_e32 v38, 0x80000000, v38
	v_lshl_add_u32 v34, v34, 23, v41
	v_or3_b32 v41, v38, v34, v35
.LBB528_72:
	s_or_b64 exec, exec, s[26:27]
.LBB528_73:
	s_or_b64 exec, exec, s[24:25]
.LBB528_74:
	s_or_b64 exec, exec, s[14:15]
	s_movk_i32 s11, 0xff
	v_and_b32_sdwa v35, v36, s11 dst_sel:DWORD dst_unused:UNUSED_PAD src0_sel:WORD_1 src1_sel:DWORD
	v_lshrrev_b32_e32 v34, 16, v36
	v_cmp_ne_u16_e64 s[12:13], 0, v35
	s_and_saveexec_b64 s[14:15], s[12:13]
	s_cbranch_execz .LBB528_80
; %bb.75:
	s_movk_i32 s11, 0x80
	v_cmp_ne_u16_e64 s[12:13], s11, v35
	v_bfrev_b32_e32 v40, 1
	s_and_saveexec_b64 s[24:25], s[12:13]
	s_cbranch_execz .LBB528_79
; %bb.76:
	v_bfe_u32 v35, v36, 16, 7
	s_movk_i32 s11, 0x7f
	v_cmp_ne_u32_e64 s[12:13], s11, v35
	v_mov_b32_e32 v40, 0x7f800001
	s_and_saveexec_b64 s[26:27], s[12:13]
	s_cbranch_execz .LBB528_78
; %bb.77:
	v_and_b32_e32 v38, 7, v34
	v_ffbh_u32_e32 v45, v38
	v_min_u32_e32 v45, 32, v45
	v_subrev_u32_e32 v46, 28, v45
	v_lshlrev_b64 v[46:47], v46, v[34:35]
	v_sub_u32_e32 v34, 29, v45
	v_and_b32_e32 v45, 7, v46
	v_cmp_gt_u32_e64 s[12:13], 8, v35
	v_lshrrev_b32_e32 v40, 3, v35
	v_cndmask_b32_e64 v35, v38, v45, s[12:13]
	v_mov_b32_e32 v38, 24
	v_cndmask_b32_e64 v34, v40, v34, s[12:13]
	v_lshlrev_b32_sdwa v38, v38, v36 dst_sel:DWORD dst_unused:UNUSED_PAD src0_sel:DWORD src1_sel:WORD_1
	v_bfrev_b32_e32 v40, 60
	v_lshlrev_b32_e32 v35, 20, v35
	v_and_b32_e32 v38, 0x80000000, v38
	v_lshl_add_u32 v34, v34, 23, v40
	v_or3_b32 v40, v38, v34, v35
.LBB528_78:
	s_or_b64 exec, exec, s[26:27]
.LBB528_79:
	s_or_b64 exec, exec, s[24:25]
.LBB528_80:
	s_or_b64 exec, exec, s[14:15]
	s_mov_b32 s11, 0xffffff
	v_cmp_lt_u32_e64 s[12:13], s11, v36
	v_mov_b32_e32 v35, 0
	v_mov_b32_e32 v45, 0
	s_and_saveexec_b64 s[14:15], s[12:13]
	s_cbranch_execz .LBB528_86
; %bb.81:
	v_lshrrev_b32_e32 v34, 24, v36
	s_movk_i32 s11, 0x80
	v_cmp_ne_u32_e64 s[12:13], s11, v34
	v_bfrev_b32_e32 v45, 1
	s_and_saveexec_b64 s[24:25], s[12:13]
	s_cbranch_execz .LBB528_85
; %bb.82:
	v_bfe_u32 v38, v36, 24, 7
	s_movk_i32 s11, 0x7f
	v_cmp_ne_u32_e64 s[12:13], s11, v38
	v_mov_b32_e32 v45, 0x7f800001
	s_and_saveexec_b64 s[26:27], s[12:13]
	s_cbranch_execz .LBB528_84
; %bb.83:
	v_and_b32_e32 v45, 7, v34
	v_ffbh_u32_e32 v46, v45
	v_min_u32_e32 v49, 32, v46
	v_subrev_u32_e32 v46, 28, v49
	v_lshlrev_b64 v[46:47], v46, v[34:35]
	v_lshrrev_b32_e32 v48, 3, v38
	v_sub_u32_e32 v47, 29, v49
	v_and_b32_e32 v46, 7, v46
	v_cmp_gt_u32_e64 s[12:13], 8, v38
	v_cndmask_b32_e64 v38, v48, v47, s[12:13]
	v_cndmask_b32_e64 v45, v45, v46, s[12:13]
	v_lshlrev_b32_e32 v34, 24, v34
	v_bfrev_b32_e32 v46, 60
	v_lshlrev_b32_e32 v45, 20, v45
	v_and_b32_e32 v34, 0x80000000, v34
	v_lshl_add_u32 v38, v38, 23, v46
	v_or3_b32 v45, v34, v38, v45
.LBB528_84:
	s_or_b64 exec, exec, s[26:27]
.LBB528_85:
	s_or_b64 exec, exec, s[24:25]
.LBB528_86:
	s_or_b64 exec, exec, s[14:15]
	v_mov_b32_e32 v34, v37
	v_cmp_ne_u16_sdwa s[12:13], v37, v35 src0_sel:BYTE_0 src1_sel:DWORD
	s_and_saveexec_b64 s[14:15], s[12:13]
	s_cbranch_execz .LBB528_92
; %bb.87:
	s_movk_i32 s11, 0x80
	v_cmp_ne_u16_sdwa s[12:13], v37, s11 src0_sel:BYTE_0 src1_sel:DWORD
	v_bfrev_b32_e32 v38, 1
	s_and_saveexec_b64 s[24:25], s[12:13]
	s_cbranch_execz .LBB528_91
; %bb.88:
	s_movk_i32 s11, 0x7f
	v_and_b32_e32 v46, 0x7f, v37
	v_cmp_ne_u32_e64 s[12:13], s11, v46
	v_mov_b32_e32 v38, 0x7f800001
	s_and_saveexec_b64 s[26:27], s[12:13]
	s_cbranch_execz .LBB528_90
; %bb.89:
	v_and_b32_e32 v38, 7, v37
	v_ffbh_u32_e32 v38, v38
	v_min_u32_e32 v38, 32, v38
	v_subrev_u32_e32 v48, 28, v38
	v_cmp_gt_u32_e64 s[12:13], 8, v46
	v_lshrrev_b32_e32 v47, 3, v46
	v_sub_u32_e32 v38, 29, v38
	v_cndmask_b32_e64 v46, 0, v48, s[12:13]
	v_cndmask_b32_e64 v38, v47, v38, s[12:13]
	v_lshlrev_b64 v[46:47], v46, v[34:35]
	v_lshlrev_b32_e32 v35, 20, v46
	v_lshlrev_b32_e32 v46, 24, v34
	v_bfrev_b32_e32 v47, 60
	v_and_b32_e32 v35, 0x700000, v35
	v_and_b32_e32 v46, 0x80000000, v46
	v_lshl_add_u32 v38, v38, 23, v47
	v_or3_b32 v38, v46, v38, v35
.LBB528_90:
	s_or_b64 exec, exec, s[26:27]
.LBB528_91:
	s_or_b64 exec, exec, s[24:25]
	v_mov_b32_e32 v35, v38
.LBB528_92:
	s_or_b64 exec, exec, s[14:15]
	v_lshrrev_b16_e32 v38, 8, v34
	v_cmp_ne_u16_e64 s[12:13], 0, v38
	v_mov_b32_e32 v46, 0
	v_mov_b32_e32 v47, 0
	s_and_saveexec_b64 s[14:15], s[12:13]
	s_cbranch_execz .LBB528_98
; %bb.93:
	s_movk_i32 s11, 0x80
	v_cmp_ne_u16_e64 s[12:13], s11, v38
	v_bfrev_b32_e32 v47, 1
	s_and_saveexec_b64 s[24:25], s[12:13]
	s_cbranch_execz .LBB528_97
; %bb.94:
	s_movk_i32 s11, 0x7f
	v_and_b32_e32 v48, 0x7f, v38
	v_cmp_ne_u32_e64 s[12:13], s11, v48
	v_mov_b32_e32 v47, 0x7f800001
	s_and_saveexec_b64 s[26:27], s[12:13]
	s_cbranch_execz .LBB528_96
; %bb.95:
	v_and_b32_e32 v47, 7, v38
	v_ffbh_u32_e32 v50, v47
	v_min_u32_e32 v52, 32, v50
	v_subrev_u32_e32 v50, 28, v52
	v_lshlrev_b64 v[50:51], v50, v[38:39]
	v_lshrrev_b32_e32 v49, 3, v48
	v_sub_u32_e32 v38, 29, v52
	v_and_b32_e32 v50, 7, v50
	v_cmp_gt_u32_e64 s[12:13], 8, v48
	v_cndmask_b32_e64 v38, v49, v38, s[12:13]
	v_cndmask_b32_e64 v47, v47, v50, s[12:13]
	v_lshlrev_b32_e32 v34, 16, v34
	v_bfrev_b32_e32 v48, 60
	v_lshlrev_b32_e32 v47, 20, v47
	v_and_b32_e32 v34, 0x80000000, v34
	v_lshl_add_u32 v38, v38, 23, v48
	v_or3_b32 v47, v34, v38, v47
.LBB528_96:
	s_or_b64 exec, exec, s[26:27]
.LBB528_97:
	s_or_b64 exec, exec, s[24:25]
.LBB528_98:
	s_or_b64 exec, exec, s[14:15]
	s_movk_i32 s11, 0xff
	v_and_b32_sdwa v38, v37, s11 dst_sel:DWORD dst_unused:UNUSED_PAD src0_sel:WORD_1 src1_sel:DWORD
	v_lshrrev_b32_e32 v34, 16, v37
	v_cmp_ne_u16_e64 s[12:13], 0, v38
	s_and_saveexec_b64 s[14:15], s[12:13]
	s_cbranch_execz .LBB528_104
; %bb.99:
	s_movk_i32 s11, 0x80
	v_cmp_ne_u16_e64 s[12:13], s11, v38
	v_bfrev_b32_e32 v46, 1
	s_and_saveexec_b64 s[24:25], s[12:13]
	s_cbranch_execz .LBB528_103
; %bb.100:
	v_bfe_u32 v38, v37, 16, 7
	s_movk_i32 s11, 0x7f
	v_cmp_ne_u32_e64 s[12:13], s11, v38
	v_mov_b32_e32 v46, 0x7f800001
	s_and_saveexec_b64 s[26:27], s[12:13]
	s_cbranch_execz .LBB528_102
; %bb.101:
	v_and_b32_e32 v46, 7, v34
	v_ffbh_u32_e32 v48, v46
	v_min_u32_e32 v51, 32, v48
	v_subrev_u32_e32 v48, 28, v51
	v_lshlrev_b64 v[48:49], v48, v[34:35]
	v_and_b32_e32 v48, 7, v48
	v_cmp_gt_u32_e64 s[12:13], 8, v38
	v_lshrrev_b32_e32 v50, 3, v38
	v_sub_u32_e32 v34, 29, v51
	v_cndmask_b32_e64 v38, v46, v48, s[12:13]
	v_mov_b32_e32 v46, 24
	v_cndmask_b32_e64 v34, v50, v34, s[12:13]
	v_lshlrev_b32_sdwa v46, v46, v37 dst_sel:DWORD dst_unused:UNUSED_PAD src0_sel:DWORD src1_sel:WORD_1
	v_bfrev_b32_e32 v48, 60
	v_lshlrev_b32_e32 v38, 20, v38
	v_and_b32_e32 v46, 0x80000000, v46
	v_lshl_add_u32 v34, v34, 23, v48
	v_or3_b32 v46, v46, v34, v38
.LBB528_102:
	s_or_b64 exec, exec, s[26:27]
.LBB528_103:
	s_or_b64 exec, exec, s[24:25]
.LBB528_104:
	s_or_b64 exec, exec, s[14:15]
	s_mov_b32 s12, -1
	s_mov_b32 s13, 0xffffff
	v_cmp_lt_u64_e64 s[12:13], s[12:13], v[36:37]
	v_mov_b32_e32 v38, 0
	v_mov_b32_e32 v36, 0
	s_and_saveexec_b64 s[14:15], s[12:13]
	s_cbranch_execz .LBB528_110
; %bb.105:
	v_lshrrev_b32_e32 v34, 24, v37
	s_movk_i32 s11, 0x80
	v_cmp_ne_u32_e64 s[12:13], s11, v34
	v_bfrev_b32_e32 v36, 1
	s_and_saveexec_b64 s[24:25], s[12:13]
	s_cbranch_execz .LBB528_109
; %bb.106:
	v_bfe_u32 v37, v37, 24, 7
	s_movk_i32 s11, 0x7f
	v_cmp_ne_u32_e64 s[12:13], s11, v37
	v_mov_b32_e32 v36, 0x7f800001
	s_and_saveexec_b64 s[26:27], s[12:13]
	s_cbranch_execz .LBB528_108
; %bb.107:
	v_and_b32_e32 v36, 7, v34
	v_ffbh_u32_e32 v48, v36
	v_min_u32_e32 v51, 32, v48
	v_subrev_u32_e32 v48, 28, v51
	v_lshlrev_b64 v[48:49], v48, v[34:35]
	v_lshrrev_b32_e32 v50, 3, v37
	v_sub_u32_e32 v49, 29, v51
	v_and_b32_e32 v48, 7, v48
	v_cmp_gt_u32_e64 s[12:13], 8, v37
	v_cndmask_b32_e64 v37, v50, v49, s[12:13]
	v_cndmask_b32_e64 v36, v36, v48, s[12:13]
	v_lshlrev_b32_e32 v34, 24, v34
	v_bfrev_b32_e32 v48, 60
	v_lshlrev_b32_e32 v36, 20, v36
	v_and_b32_e32 v34, 0x80000000, v34
	v_lshl_add_u32 v37, v37, 23, v48
	v_or3_b32 v36, v34, v37, v36
.LBB528_108:
	s_or_b64 exec, exec, s[26:27]
.LBB528_109:
	s_or_b64 exec, exec, s[24:25]
.LBB528_110:
	s_or_b64 exec, exec, s[14:15]
	v_cvt_pkrtz_f16_f32 v48, v39, v41
	v_cvt_pkrtz_f16_f32 v49, v40, v45
	;; [unrolled: 1-line block ×4, first 2 shown]
	v_mfma_f32_4x4x4f16 a[0:3], v[2:3], v[48:49], a[0:3] cbsz:4 abid:1
	v_cmp_ne_u16_sdwa s[12:13], v30, v38 src0_sel:BYTE_0 src1_sel:DWORD
	v_mfma_f32_4x4x4f16 a[0:3], v[4:5], v[34:35], a[0:3] cbsz:4 abid:1
	s_and_saveexec_b64 s[14:15], s[12:13]
	s_cbranch_execz .LBB528_116
; %bb.111:
	s_movk_i32 s11, 0x80
	v_cmp_ne_u16_sdwa s[12:13], v30, s11 src0_sel:BYTE_0 src1_sel:DWORD
	v_bfrev_b32_e32 v38, 1
	s_and_saveexec_b64 s[24:25], s[12:13]
	s_cbranch_execz .LBB528_115
; %bb.112:
	s_movk_i32 s11, 0x7f
	v_and_b32_e32 v34, 0x7f, v30
	v_cmp_ne_u32_e64 s[12:13], s11, v34
	v_mov_b32_e32 v38, 0x7f800001
	s_and_saveexec_b64 s[26:27], s[12:13]
	s_cbranch_execz .LBB528_114
; %bb.113:
	v_and_b32_e32 v35, 7, v30
	v_ffbh_u32_e32 v35, v35
	v_min_u32_e32 v35, 32, v35
	v_subrev_u32_e32 v37, 28, v35
	v_cmp_gt_u32_e64 s[12:13], 8, v34
	v_lshrrev_b32_e32 v36, 3, v34
	v_sub_u32_e32 v35, 29, v35
	v_cndmask_b32_e64 v34, 0, v37, s[12:13]
	v_cndmask_b32_e64 v36, v36, v35, s[12:13]
	v_lshlrev_b64 v[34:35], v34, v[30:31]
	v_lshlrev_b32_e32 v34, 20, v34
	v_lshlrev_b32_e32 v35, 24, v30
	v_bfrev_b32_e32 v37, 60
	v_and_b32_e32 v34, 0x700000, v34
	v_and_b32_e32 v35, 0x80000000, v35
	v_lshl_add_u32 v36, v36, 23, v37
	v_or3_b32 v38, v35, v36, v34
.LBB528_114:
	s_or_b64 exec, exec, s[26:27]
.LBB528_115:
	s_or_b64 exec, exec, s[24:25]
.LBB528_116:
	s_or_b64 exec, exec, s[14:15]
	v_lshrrev_b16_e32 v34, 8, v30
	v_cmp_ne_u16_e64 s[12:13], 0, v34
	v_mov_b32_e32 v37, 0
	v_mov_b32_e32 v39, 0
	s_and_saveexec_b64 s[14:15], s[12:13]
	s_cbranch_execz .LBB528_122
; %bb.117:
	s_movk_i32 s11, 0x80
	v_cmp_ne_u16_e64 s[12:13], s11, v34
	v_bfrev_b32_e32 v39, 1
	s_and_saveexec_b64 s[24:25], s[12:13]
	s_cbranch_execz .LBB528_121
; %bb.118:
	s_movk_i32 s11, 0x7f
	v_and_b32_e32 v35, 0x7f, v34
	v_cmp_ne_u32_e64 s[12:13], s11, v35
	v_mov_b32_e32 v39, 0x7f800001
	s_and_saveexec_b64 s[26:27], s[12:13]
	s_cbranch_execz .LBB528_120
; %bb.119:
	v_and_b32_e32 v36, 7, v34
	v_ffbh_u32_e32 v40, v36
	v_min_u32_e32 v45, 32, v40
	v_subrev_u32_e32 v40, 28, v45
	v_lshlrev_b64 v[40:41], v40, v[34:35]
	v_lshrrev_b32_e32 v39, 3, v35
	v_sub_u32_e32 v34, 29, v45
	v_and_b32_e32 v40, 7, v40
	v_cmp_gt_u32_e64 s[12:13], 8, v35
	v_cndmask_b32_e64 v34, v39, v34, s[12:13]
	v_cndmask_b32_e64 v35, v36, v40, s[12:13]
	v_lshlrev_b32_e32 v36, 16, v30
	v_bfrev_b32_e32 v39, 60
	v_lshlrev_b32_e32 v35, 20, v35
	v_and_b32_e32 v36, 0x80000000, v36
	v_lshl_add_u32 v34, v34, 23, v39
	v_or3_b32 v39, v36, v34, v35
.LBB528_120:
	s_or_b64 exec, exec, s[26:27]
.LBB528_121:
	s_or_b64 exec, exec, s[24:25]
.LBB528_122:
	s_or_b64 exec, exec, s[14:15]
	s_movk_i32 s11, 0xff
	v_and_b32_sdwa v35, v30, s11 dst_sel:DWORD dst_unused:UNUSED_PAD src0_sel:WORD_1 src1_sel:DWORD
	v_lshrrev_b32_e32 v34, 16, v30
	v_cmp_ne_u16_e64 s[12:13], 0, v35
	s_and_saveexec_b64 s[14:15], s[12:13]
	s_cbranch_execz .LBB528_128
; %bb.123:
	s_movk_i32 s11, 0x80
	v_cmp_ne_u16_e64 s[12:13], s11, v35
	v_bfrev_b32_e32 v37, 1
	s_and_saveexec_b64 s[24:25], s[12:13]
	s_cbranch_execz .LBB528_127
; %bb.124:
	v_bfe_u32 v35, v30, 16, 7
	s_movk_i32 s11, 0x7f
	v_cmp_ne_u32_e64 s[12:13], s11, v35
	v_mov_b32_e32 v37, 0x7f800001
	s_and_saveexec_b64 s[26:27], s[12:13]
	s_cbranch_execz .LBB528_126
; %bb.125:
	v_and_b32_e32 v40, 7, v34
	v_ffbh_u32_e32 v36, v40
	v_min_u32_e32 v45, 32, v36
	v_subrev_u32_e32 v36, 28, v45
	v_lshlrev_b64 v[36:37], v36, v[34:35]
	v_and_b32_e32 v36, 7, v36
	v_cmp_gt_u32_e64 s[12:13], 8, v35
	v_lshrrev_b32_e32 v41, 3, v35
	v_sub_u32_e32 v34, 29, v45
	v_cndmask_b32_e64 v35, v40, v36, s[12:13]
	v_mov_b32_e32 v36, 24
	v_cndmask_b32_e64 v34, v41, v34, s[12:13]
	v_lshlrev_b32_sdwa v36, v36, v30 dst_sel:DWORD dst_unused:UNUSED_PAD src0_sel:DWORD src1_sel:WORD_1
	v_bfrev_b32_e32 v37, 60
	v_lshlrev_b32_e32 v35, 20, v35
	v_and_b32_e32 v36, 0x80000000, v36
	v_lshl_add_u32 v34, v34, 23, v37
	v_or3_b32 v37, v36, v34, v35
.LBB528_126:
	s_or_b64 exec, exec, s[26:27]
.LBB528_127:
	s_or_b64 exec, exec, s[24:25]
.LBB528_128:
	s_or_b64 exec, exec, s[14:15]
	s_mov_b32 s11, 0xffffff
	v_cmp_lt_u32_e64 s[12:13], s11, v30
	v_mov_b32_e32 v35, 0
	v_mov_b32_e32 v40, 0
	s_and_saveexec_b64 s[14:15], s[12:13]
	s_cbranch_execz .LBB528_134
; %bb.129:
	v_lshrrev_b32_e32 v34, 24, v30
	s_movk_i32 s11, 0x80
	v_cmp_ne_u32_e64 s[12:13], s11, v34
	v_bfrev_b32_e32 v40, 1
	s_and_saveexec_b64 s[24:25], s[12:13]
	s_cbranch_execz .LBB528_133
; %bb.130:
	v_bfe_u32 v36, v30, 24, 7
	s_movk_i32 s11, 0x7f
	v_cmp_ne_u32_e64 s[12:13], s11, v36
	v_mov_b32_e32 v40, 0x7f800001
	s_and_saveexec_b64 s[26:27], s[12:13]
	s_cbranch_execz .LBB528_132
; %bb.131:
	v_and_b32_e32 v45, 7, v34
	v_ffbh_u32_e32 v40, v45
	v_min_u32_e32 v47, 32, v40
	v_subrev_u32_e32 v40, 28, v47
	v_lshlrev_b64 v[40:41], v40, v[34:35]
	v_lshrrev_b32_e32 v46, 3, v36
	v_sub_u32_e32 v41, 29, v47
	v_and_b32_e32 v40, 7, v40
	v_cmp_gt_u32_e64 s[12:13], 8, v36
	v_cndmask_b32_e64 v36, v46, v41, s[12:13]
	v_cndmask_b32_e64 v40, v45, v40, s[12:13]
	v_lshlrev_b32_e32 v34, 24, v34
	v_bfrev_b32_e32 v41, 60
	v_lshlrev_b32_e32 v40, 20, v40
	v_and_b32_e32 v34, 0x80000000, v34
	v_lshl_add_u32 v36, v36, 23, v41
	v_or3_b32 v40, v34, v36, v40
.LBB528_132:
	s_or_b64 exec, exec, s[26:27]
.LBB528_133:
	s_or_b64 exec, exec, s[24:25]
.LBB528_134:
	s_or_b64 exec, exec, s[14:15]
	v_mov_b32_e32 v34, v31
	v_cmp_ne_u16_sdwa s[12:13], v31, v35 src0_sel:BYTE_0 src1_sel:DWORD
	s_and_saveexec_b64 s[14:15], s[12:13]
	s_cbranch_execz .LBB528_140
; %bb.135:
	s_movk_i32 s11, 0x80
	v_cmp_ne_u16_sdwa s[12:13], v31, s11 src0_sel:BYTE_0 src1_sel:DWORD
	v_bfrev_b32_e32 v36, 1
	s_and_saveexec_b64 s[24:25], s[12:13]
	s_cbranch_execz .LBB528_139
; %bb.136:
	s_movk_i32 s11, 0x7f
	v_and_b32_e32 v41, 0x7f, v31
	v_cmp_ne_u32_e64 s[12:13], s11, v41
	v_mov_b32_e32 v36, 0x7f800001
	s_and_saveexec_b64 s[26:27], s[12:13]
	s_cbranch_execz .LBB528_138
; %bb.137:
	v_and_b32_e32 v36, 7, v31
	v_ffbh_u32_e32 v36, v36
	v_min_u32_e32 v36, 32, v36
	v_subrev_u32_e32 v46, 28, v36
	v_cmp_gt_u32_e64 s[12:13], 8, v41
	v_lshrrev_b32_e32 v45, 3, v41
	v_cndmask_b32_e64 v41, 0, v46, s[12:13]
	v_sub_u32_e32 v36, 29, v36
	v_lshlrev_b64 v[46:47], v41, v[34:35]
	v_cndmask_b32_e64 v36, v45, v36, s[12:13]
	v_lshlrev_b32_e32 v35, 20, v46
	v_lshlrev_b32_e32 v41, 24, v34
	v_bfrev_b32_e32 v45, 60
	v_and_b32_e32 v35, 0x700000, v35
	v_and_b32_e32 v41, 0x80000000, v41
	v_lshl_add_u32 v36, v36, 23, v45
	v_or3_b32 v36, v41, v36, v35
.LBB528_138:
	s_or_b64 exec, exec, s[26:27]
.LBB528_139:
	s_or_b64 exec, exec, s[24:25]
	v_mov_b32_e32 v35, v36
.LBB528_140:
	s_or_b64 exec, exec, s[14:15]
	v_lshrrev_b16_e32 v36, 8, v34
	v_cmp_ne_u16_e64 s[12:13], 0, v36
	v_mov_b32_e32 v41, 0
	v_mov_b32_e32 v45, 0
	s_and_saveexec_b64 s[14:15], s[12:13]
	s_cbranch_execz .LBB528_146
; %bb.141:
	s_movk_i32 s11, 0x80
	v_cmp_ne_u16_e64 s[12:13], s11, v36
	v_bfrev_b32_e32 v45, 1
	s_and_saveexec_b64 s[24:25], s[12:13]
	s_cbranch_execz .LBB528_145
; %bb.142:
	s_movk_i32 s11, 0x7f
	v_and_b32_e32 v46, 0x7f, v36
	v_cmp_ne_u32_e64 s[12:13], s11, v46
	v_mov_b32_e32 v45, 0x7f800001
	s_and_saveexec_b64 s[26:27], s[12:13]
	s_cbranch_execz .LBB528_144
; %bb.143:
	v_and_b32_e32 v45, 7, v36
	v_ffbh_u32_e32 v48, v45
	v_min_u32_e32 v50, 32, v48
	v_subrev_u32_e32 v48, 28, v50
	v_lshlrev_b64 v[48:49], v48, v[36:37]
	v_lshrrev_b32_e32 v47, 3, v46
	v_sub_u32_e32 v36, 29, v50
	v_and_b32_e32 v48, 7, v48
	v_cmp_gt_u32_e64 s[12:13], 8, v46
	v_cndmask_b32_e64 v36, v47, v36, s[12:13]
	v_cndmask_b32_e64 v45, v45, v48, s[12:13]
	v_lshlrev_b32_e32 v34, 16, v34
	v_bfrev_b32_e32 v46, 60
	v_lshlrev_b32_e32 v45, 20, v45
	v_and_b32_e32 v34, 0x80000000, v34
	v_lshl_add_u32 v36, v36, 23, v46
	v_or3_b32 v45, v34, v36, v45
.LBB528_144:
	s_or_b64 exec, exec, s[26:27]
.LBB528_145:
	s_or_b64 exec, exec, s[24:25]
.LBB528_146:
	s_or_b64 exec, exec, s[14:15]
	s_movk_i32 s11, 0xff
	v_and_b32_sdwa v36, v31, s11 dst_sel:DWORD dst_unused:UNUSED_PAD src0_sel:WORD_1 src1_sel:DWORD
	v_lshrrev_b32_e32 v34, 16, v31
	v_cmp_ne_u16_e64 s[12:13], 0, v36
	s_and_saveexec_b64 s[14:15], s[12:13]
	s_cbranch_execz .LBB528_152
; %bb.147:
	s_movk_i32 s11, 0x80
	v_cmp_ne_u16_e64 s[12:13], s11, v36
	v_bfrev_b32_e32 v41, 1
	s_and_saveexec_b64 s[24:25], s[12:13]
	s_cbranch_execz .LBB528_151
; %bb.148:
	v_bfe_u32 v36, v31, 16, 7
	s_movk_i32 s11, 0x7f
	v_cmp_ne_u32_e64 s[12:13], s11, v36
	v_mov_b32_e32 v41, 0x7f800001
	s_and_saveexec_b64 s[26:27], s[12:13]
	s_cbranch_execz .LBB528_150
; %bb.149:
	v_and_b32_e32 v41, 7, v34
	v_ffbh_u32_e32 v46, v41
	v_min_u32_e32 v49, 32, v46
	v_subrev_u32_e32 v46, 28, v49
	v_lshlrev_b64 v[46:47], v46, v[34:35]
	v_and_b32_e32 v46, 7, v46
	v_cmp_gt_u32_e64 s[12:13], 8, v36
	v_lshrrev_b32_e32 v48, 3, v36
	v_sub_u32_e32 v34, 29, v49
	v_cndmask_b32_e64 v36, v41, v46, s[12:13]
	v_mov_b32_e32 v41, 24
	v_cndmask_b32_e64 v34, v48, v34, s[12:13]
	v_lshlrev_b32_sdwa v41, v41, v31 dst_sel:DWORD dst_unused:UNUSED_PAD src0_sel:DWORD src1_sel:WORD_1
	v_bfrev_b32_e32 v46, 60
	v_lshlrev_b32_e32 v36, 20, v36
	v_and_b32_e32 v41, 0x80000000, v41
	v_lshl_add_u32 v34, v34, 23, v46
	v_or3_b32 v41, v41, v34, v36
.LBB528_150:
	s_or_b64 exec, exec, s[26:27]
.LBB528_151:
	s_or_b64 exec, exec, s[24:25]
.LBB528_152:
	s_or_b64 exec, exec, s[14:15]
	s_mov_b32 s12, -1
	s_mov_b32 s13, 0xffffff
	v_cmp_lt_u64_e64 s[12:13], s[12:13], v[30:31]
	v_mov_b32_e32 v36, 0
	v_mov_b32_e32 v34, 0
	s_and_saveexec_b64 s[14:15], s[12:13]
	s_cbranch_execz .LBB528_158
; %bb.153:
	v_lshrrev_b32_e32 v30, 24, v31
	s_movk_i32 s11, 0x80
	v_cmp_ne_u32_e64 s[12:13], s11, v30
	v_bfrev_b32_e32 v34, 1
	s_and_saveexec_b64 s[24:25], s[12:13]
	s_cbranch_execz .LBB528_157
; %bb.154:
	v_bfe_u32 v31, v31, 24, 7
	s_movk_i32 s11, 0x7f
	v_cmp_ne_u32_e64 s[12:13], s11, v31
	v_mov_b32_e32 v34, 0x7f800001
	s_and_saveexec_b64 s[26:27], s[12:13]
	s_cbranch_execz .LBB528_156
; %bb.155:
	v_and_b32_e32 v34, 7, v30
	v_ffbh_u32_e32 v46, v34
	v_min_u32_e32 v49, 32, v46
	v_subrev_u32_e32 v46, 28, v49
	v_lshlrev_b64 v[46:47], v46, v[30:31]
	v_lshrrev_b32_e32 v48, 3, v31
	v_sub_u32_e32 v47, 29, v49
	v_and_b32_e32 v46, 7, v46
	v_cmp_gt_u32_e64 s[12:13], 8, v31
	v_cndmask_b32_e64 v31, v48, v47, s[12:13]
	v_cndmask_b32_e64 v34, v34, v46, s[12:13]
	v_lshlrev_b32_e32 v30, 24, v30
	v_bfrev_b32_e32 v46, 60
	v_lshlrev_b32_e32 v34, 20, v34
	v_and_b32_e32 v30, 0x80000000, v30
	v_lshl_add_u32 v31, v31, 23, v46
	v_or3_b32 v34, v30, v31, v34
.LBB528_156:
	s_or_b64 exec, exec, s[26:27]
.LBB528_157:
	s_or_b64 exec, exec, s[24:25]
.LBB528_158:
	s_or_b64 exec, exec, s[14:15]
	v_cvt_pkrtz_f16_f32 v30, v38, v39
	v_cvt_pkrtz_f16_f32 v31, v37, v40
	;; [unrolled: 1-line block ×4, first 2 shown]
	v_mfma_f32_4x4x4f16 a[0:3], v[2:3], v[30:31], a[0:3] cbsz:4 abid:2
	v_cmp_ne_u16_sdwa s[12:13], v32, v36 src0_sel:BYTE_0 src1_sel:DWORD
	v_mfma_f32_4x4x4f16 a[0:3], v[4:5], v[38:39], a[0:3] cbsz:4 abid:2
	s_and_saveexec_b64 s[14:15], s[12:13]
	s_cbranch_execz .LBB528_164
; %bb.159:
	s_movk_i32 s11, 0x80
	v_cmp_ne_u16_sdwa s[12:13], v32, s11 src0_sel:BYTE_0 src1_sel:DWORD
	v_bfrev_b32_e32 v36, 1
	s_and_saveexec_b64 s[24:25], s[12:13]
	s_cbranch_execz .LBB528_163
; %bb.160:
	s_movk_i32 s11, 0x7f
	v_and_b32_e32 v30, 0x7f, v32
	v_cmp_ne_u32_e64 s[12:13], s11, v30
	v_mov_b32_e32 v36, 0x7f800001
	s_and_saveexec_b64 s[26:27], s[12:13]
	s_cbranch_execz .LBB528_162
; %bb.161:
	v_and_b32_e32 v31, 7, v32
	v_ffbh_u32_e32 v31, v31
	v_min_u32_e32 v31, 32, v31
	v_subrev_u32_e32 v35, 28, v31
	v_cmp_gt_u32_e64 s[12:13], 8, v30
	v_lshrrev_b32_e32 v34, 3, v30
	v_sub_u32_e32 v31, 29, v31
	v_cndmask_b32_e64 v30, 0, v35, s[12:13]
	v_cndmask_b32_e64 v34, v34, v31, s[12:13]
	v_lshlrev_b64 v[30:31], v30, v[32:33]
	v_lshlrev_b32_e32 v30, 20, v30
	v_lshlrev_b32_e32 v31, 24, v32
	v_bfrev_b32_e32 v35, 60
	v_and_b32_e32 v30, 0x700000, v30
	v_and_b32_e32 v31, 0x80000000, v31
	v_lshl_add_u32 v34, v34, 23, v35
	v_or3_b32 v36, v31, v34, v30
.LBB528_162:
	s_or_b64 exec, exec, s[26:27]
.LBB528_163:
	s_or_b64 exec, exec, s[24:25]
.LBB528_164:
	s_or_b64 exec, exec, s[14:15]
	v_lshrrev_b16_e32 v30, 8, v32
	v_cmp_ne_u16_e64 s[12:13], 0, v30
	v_mov_b32_e32 v35, 0
	v_mov_b32_e32 v37, 0
	s_and_saveexec_b64 s[14:15], s[12:13]
	s_cbranch_execz .LBB528_170
; %bb.165:
	s_movk_i32 s11, 0x80
	v_cmp_ne_u16_e64 s[12:13], s11, v30
	v_bfrev_b32_e32 v37, 1
	s_and_saveexec_b64 s[24:25], s[12:13]
	s_cbranch_execz .LBB528_169
; %bb.166:
	s_movk_i32 s11, 0x7f
	v_and_b32_e32 v31, 0x7f, v30
	v_cmp_ne_u32_e64 s[12:13], s11, v31
	v_mov_b32_e32 v37, 0x7f800001
	s_and_saveexec_b64 s[26:27], s[12:13]
	s_cbranch_execz .LBB528_168
; %bb.167:
	v_and_b32_e32 v34, 7, v30
	v_ffbh_u32_e32 v38, v34
	v_min_u32_e32 v40, 32, v38
	v_subrev_u32_e32 v38, 28, v40
	v_lshlrev_b64 v[38:39], v38, v[30:31]
	v_lshrrev_b32_e32 v37, 3, v31
	v_sub_u32_e32 v30, 29, v40
	v_and_b32_e32 v38, 7, v38
	v_cmp_gt_u32_e64 s[12:13], 8, v31
	v_cndmask_b32_e64 v30, v37, v30, s[12:13]
	v_cndmask_b32_e64 v31, v34, v38, s[12:13]
	v_lshlrev_b32_e32 v34, 16, v32
	v_bfrev_b32_e32 v37, 60
	v_lshlrev_b32_e32 v31, 20, v31
	v_and_b32_e32 v34, 0x80000000, v34
	v_lshl_add_u32 v30, v30, 23, v37
	v_or3_b32 v37, v34, v30, v31
.LBB528_168:
	s_or_b64 exec, exec, s[26:27]
.LBB528_169:
	s_or_b64 exec, exec, s[24:25]
.LBB528_170:
	s_or_b64 exec, exec, s[14:15]
	s_movk_i32 s11, 0xff
	v_and_b32_sdwa v31, v32, s11 dst_sel:DWORD dst_unused:UNUSED_PAD src0_sel:WORD_1 src1_sel:DWORD
	v_lshrrev_b32_e32 v30, 16, v32
	v_cmp_ne_u16_e64 s[12:13], 0, v31
	s_and_saveexec_b64 s[14:15], s[12:13]
	s_cbranch_execz .LBB528_176
; %bb.171:
	s_movk_i32 s11, 0x80
	v_cmp_ne_u16_e64 s[12:13], s11, v31
	v_bfrev_b32_e32 v35, 1
	s_and_saveexec_b64 s[24:25], s[12:13]
	s_cbranch_execz .LBB528_175
; %bb.172:
	v_bfe_u32 v31, v32, 16, 7
	s_movk_i32 s11, 0x7f
	v_cmp_ne_u32_e64 s[12:13], s11, v31
	v_mov_b32_e32 v35, 0x7f800001
	s_and_saveexec_b64 s[26:27], s[12:13]
	s_cbranch_execz .LBB528_174
; %bb.173:
	v_and_b32_e32 v38, 7, v30
	v_ffbh_u32_e32 v34, v38
	v_min_u32_e32 v40, 32, v34
	v_subrev_u32_e32 v34, 28, v40
	v_lshlrev_b64 v[34:35], v34, v[30:31]
	v_and_b32_e32 v34, 7, v34
	v_cmp_gt_u32_e64 s[12:13], 8, v31
	v_lshrrev_b32_e32 v39, 3, v31
	v_sub_u32_e32 v30, 29, v40
	v_cndmask_b32_e64 v31, v38, v34, s[12:13]
	v_mov_b32_e32 v34, 24
	v_cndmask_b32_e64 v30, v39, v30, s[12:13]
	v_lshlrev_b32_sdwa v34, v34, v32 dst_sel:DWORD dst_unused:UNUSED_PAD src0_sel:DWORD src1_sel:WORD_1
	v_bfrev_b32_e32 v35, 60
	v_lshlrev_b32_e32 v31, 20, v31
	v_and_b32_e32 v34, 0x80000000, v34
	v_lshl_add_u32 v30, v30, 23, v35
	v_or3_b32 v35, v34, v30, v31
.LBB528_174:
	s_or_b64 exec, exec, s[26:27]
.LBB528_175:
	s_or_b64 exec, exec, s[24:25]
.LBB528_176:
	s_or_b64 exec, exec, s[14:15]
	s_mov_b32 s11, 0xffffff
	v_cmp_lt_u32_e64 s[12:13], s11, v32
	v_mov_b32_e32 v31, 0
	v_mov_b32_e32 v38, 0
	s_and_saveexec_b64 s[14:15], s[12:13]
	s_cbranch_execz .LBB528_182
; %bb.177:
	v_lshrrev_b32_e32 v30, 24, v32
	s_movk_i32 s11, 0x80
	v_cmp_ne_u32_e64 s[12:13], s11, v30
	v_bfrev_b32_e32 v38, 1
	s_and_saveexec_b64 s[24:25], s[12:13]
	s_cbranch_execz .LBB528_181
; %bb.178:
	v_bfe_u32 v34, v32, 24, 7
	s_movk_i32 s11, 0x7f
	v_cmp_ne_u32_e64 s[12:13], s11, v34
	v_mov_b32_e32 v38, 0x7f800001
	s_and_saveexec_b64 s[26:27], s[12:13]
	s_cbranch_execz .LBB528_180
; %bb.179:
	v_and_b32_e32 v40, 7, v30
	v_ffbh_u32_e32 v38, v40
	v_min_u32_e32 v45, 32, v38
	v_subrev_u32_e32 v38, 28, v45
	v_lshlrev_b64 v[38:39], v38, v[30:31]
	v_lshrrev_b32_e32 v41, 3, v34
	v_sub_u32_e32 v39, 29, v45
	v_and_b32_e32 v38, 7, v38
	v_cmp_gt_u32_e64 s[12:13], 8, v34
	v_cndmask_b32_e64 v34, v41, v39, s[12:13]
	v_cndmask_b32_e64 v38, v40, v38, s[12:13]
	v_lshlrev_b32_e32 v30, 24, v30
	v_bfrev_b32_e32 v39, 60
	v_lshlrev_b32_e32 v38, 20, v38
	v_and_b32_e32 v30, 0x80000000, v30
	v_lshl_add_u32 v34, v34, 23, v39
	v_or3_b32 v38, v30, v34, v38
.LBB528_180:
	s_or_b64 exec, exec, s[26:27]
.LBB528_181:
	s_or_b64 exec, exec, s[24:25]
.LBB528_182:
	s_or_b64 exec, exec, s[14:15]
	v_mov_b32_e32 v30, v33
	v_cmp_ne_u16_sdwa s[12:13], v33, v31 src0_sel:BYTE_0 src1_sel:DWORD
	s_and_saveexec_b64 s[14:15], s[12:13]
	s_cbranch_execz .LBB528_188
; %bb.183:
	s_movk_i32 s11, 0x80
	v_cmp_ne_u16_sdwa s[12:13], v33, s11 src0_sel:BYTE_0 src1_sel:DWORD
	v_bfrev_b32_e32 v34, 1
	s_and_saveexec_b64 s[24:25], s[12:13]
	s_cbranch_execz .LBB528_187
; %bb.184:
	s_movk_i32 s11, 0x7f
	v_and_b32_e32 v39, 0x7f, v33
	v_cmp_ne_u32_e64 s[12:13], s11, v39
	v_mov_b32_e32 v34, 0x7f800001
	s_and_saveexec_b64 s[26:27], s[12:13]
	s_cbranch_execz .LBB528_186
; %bb.185:
	v_and_b32_e32 v34, 7, v33
	v_ffbh_u32_e32 v34, v34
	v_min_u32_e32 v34, 32, v34
	v_subrev_u32_e32 v41, 28, v34
	v_cmp_gt_u32_e64 s[12:13], 8, v39
	v_lshrrev_b32_e32 v40, 3, v39
	v_sub_u32_e32 v34, 29, v34
	v_cndmask_b32_e64 v39, 0, v41, s[12:13]
	v_cndmask_b32_e64 v34, v40, v34, s[12:13]
	v_lshlrev_b64 v[40:41], v39, v[30:31]
	v_lshlrev_b32_e32 v31, 20, v40
	v_lshlrev_b32_e32 v39, 24, v30
	v_bfrev_b32_e32 v40, 60
	v_and_b32_e32 v31, 0x700000, v31
	v_and_b32_e32 v39, 0x80000000, v39
	v_lshl_add_u32 v34, v34, 23, v40
	v_or3_b32 v34, v39, v34, v31
.LBB528_186:
	s_or_b64 exec, exec, s[26:27]
.LBB528_187:
	s_or_b64 exec, exec, s[24:25]
	v_mov_b32_e32 v31, v34
.LBB528_188:
	s_or_b64 exec, exec, s[14:15]
	v_lshrrev_b16_e32 v34, 8, v30
	v_cmp_ne_u16_e64 s[12:13], 0, v34
	v_mov_b32_e32 v39, 0
	v_mov_b32_e32 v40, 0
	s_and_saveexec_b64 s[14:15], s[12:13]
	s_cbranch_execz .LBB528_194
; %bb.189:
	s_movk_i32 s11, 0x80
	v_cmp_ne_u16_e64 s[12:13], s11, v34
	v_bfrev_b32_e32 v40, 1
	s_and_saveexec_b64 s[24:25], s[12:13]
	s_cbranch_execz .LBB528_193
; %bb.190:
	s_movk_i32 s11, 0x7f
	v_and_b32_e32 v41, 0x7f, v34
	v_cmp_ne_u32_e64 s[12:13], s11, v41
	v_mov_b32_e32 v40, 0x7f800001
	s_and_saveexec_b64 s[26:27], s[12:13]
	s_cbranch_execz .LBB528_192
; %bb.191:
	v_and_b32_e32 v40, 7, v34
	v_ffbh_u32_e32 v46, v40
	v_min_u32_e32 v48, 32, v46
	v_subrev_u32_e32 v46, 28, v48
	v_lshlrev_b64 v[46:47], v46, v[34:35]
	v_lshrrev_b32_e32 v45, 3, v41
	v_sub_u32_e32 v34, 29, v48
	v_and_b32_e32 v46, 7, v46
	v_cmp_gt_u32_e64 s[12:13], 8, v41
	v_cndmask_b32_e64 v34, v45, v34, s[12:13]
	v_cndmask_b32_e64 v40, v40, v46, s[12:13]
	v_lshlrev_b32_e32 v30, 16, v30
	v_bfrev_b32_e32 v41, 60
	v_lshlrev_b32_e32 v40, 20, v40
	v_and_b32_e32 v30, 0x80000000, v30
	v_lshl_add_u32 v34, v34, 23, v41
	v_or3_b32 v40, v30, v34, v40
.LBB528_192:
	s_or_b64 exec, exec, s[26:27]
.LBB528_193:
	s_or_b64 exec, exec, s[24:25]
.LBB528_194:
	s_or_b64 exec, exec, s[14:15]
	s_movk_i32 s11, 0xff
	v_and_b32_sdwa v34, v33, s11 dst_sel:DWORD dst_unused:UNUSED_PAD src0_sel:WORD_1 src1_sel:DWORD
	v_lshrrev_b32_e32 v30, 16, v33
	v_cmp_ne_u16_e64 s[12:13], 0, v34
	s_and_saveexec_b64 s[14:15], s[12:13]
	s_cbranch_execz .LBB528_200
; %bb.195:
	s_movk_i32 s11, 0x80
	v_cmp_ne_u16_e64 s[12:13], s11, v34
	v_bfrev_b32_e32 v39, 1
	s_and_saveexec_b64 s[24:25], s[12:13]
	s_cbranch_execz .LBB528_199
; %bb.196:
	v_bfe_u32 v34, v33, 16, 7
	s_movk_i32 s11, 0x7f
	v_cmp_ne_u32_e64 s[12:13], s11, v34
	v_mov_b32_e32 v39, 0x7f800001
	s_and_saveexec_b64 s[26:27], s[12:13]
	s_cbranch_execz .LBB528_198
; %bb.197:
	v_and_b32_e32 v39, 7, v30
	v_ffbh_u32_e32 v45, v39
	v_min_u32_e32 v45, 32, v45
	v_subrev_u32_e32 v46, 28, v45
	v_lshlrev_b64 v[46:47], v46, v[30:31]
	v_sub_u32_e32 v30, 29, v45
	v_and_b32_e32 v45, 7, v46
	v_cmp_gt_u32_e64 s[12:13], 8, v34
	v_lshrrev_b32_e32 v41, 3, v34
	v_cndmask_b32_e64 v34, v39, v45, s[12:13]
	v_mov_b32_e32 v39, 24
	v_cndmask_b32_e64 v30, v41, v30, s[12:13]
	v_lshlrev_b32_sdwa v39, v39, v33 dst_sel:DWORD dst_unused:UNUSED_PAD src0_sel:DWORD src1_sel:WORD_1
	v_bfrev_b32_e32 v41, 60
	v_lshlrev_b32_e32 v34, 20, v34
	v_and_b32_e32 v39, 0x80000000, v39
	v_lshl_add_u32 v30, v30, 23, v41
	v_or3_b32 v39, v39, v30, v34
.LBB528_198:
	s_or_b64 exec, exec, s[26:27]
.LBB528_199:
	s_or_b64 exec, exec, s[24:25]
.LBB528_200:
	s_or_b64 exec, exec, s[14:15]
	s_mov_b32 s12, -1
	s_mov_b32 s13, 0xffffff
	v_cmp_lt_u64_e64 s[12:13], s[12:13], v[32:33]
	v_mov_b32_e32 v34, 0
	v_mov_b32_e32 v32, 0
	s_and_saveexec_b64 s[14:15], s[12:13]
	s_cbranch_execz .LBB528_206
; %bb.201:
	v_lshrrev_b32_e32 v30, 24, v33
	s_movk_i32 s11, 0x80
	v_cmp_ne_u32_e64 s[12:13], s11, v30
	v_bfrev_b32_e32 v32, 1
	s_and_saveexec_b64 s[24:25], s[12:13]
	s_cbranch_execz .LBB528_205
; %bb.202:
	v_bfe_u32 v33, v33, 24, 7
	s_movk_i32 s11, 0x7f
	v_cmp_ne_u32_e64 s[12:13], s11, v33
	v_mov_b32_e32 v32, 0x7f800001
	s_and_saveexec_b64 s[26:27], s[12:13]
	s_cbranch_execz .LBB528_204
; %bb.203:
	v_and_b32_e32 v32, 7, v30
	v_ffbh_u32_e32 v45, v32
	v_min_u32_e32 v45, 32, v45
	v_subrev_u32_e32 v46, 28, v45
	v_lshlrev_b64 v[46:47], v46, v[30:31]
	v_lshrrev_b32_e32 v41, 3, v33
	v_sub_u32_e32 v45, 29, v45
	v_and_b32_e32 v46, 7, v46
	v_cmp_gt_u32_e64 s[12:13], 8, v33
	v_cndmask_b32_e64 v33, v41, v45, s[12:13]
	v_cndmask_b32_e64 v32, v32, v46, s[12:13]
	v_lshlrev_b32_e32 v30, 24, v30
	v_bfrev_b32_e32 v41, 60
	v_lshlrev_b32_e32 v32, 20, v32
	v_and_b32_e32 v30, 0x80000000, v30
	v_lshl_add_u32 v33, v33, 23, v41
	v_or3_b32 v32, v30, v33, v32
.LBB528_204:
	s_or_b64 exec, exec, s[26:27]
.LBB528_205:
	s_or_b64 exec, exec, s[24:25]
.LBB528_206:
	s_or_b64 exec, exec, s[14:15]
	v_cvt_pkrtz_f16_f32 v36, v36, v37
	v_cvt_pkrtz_f16_f32 v37, v35, v38
	;; [unrolled: 1-line block ×4, first 2 shown]
	v_mfma_f32_4x4x4f16 a[0:3], v[2:3], v[36:37], a[0:3] cbsz:4 abid:3
	v_cmp_ne_u16_sdwa s[12:13], v26, v34 src0_sel:BYTE_0 src1_sel:DWORD
	v_mfma_f32_4x4x4f16 a[0:3], v[4:5], v[30:31], a[0:3] cbsz:4 abid:3
	s_and_saveexec_b64 s[14:15], s[12:13]
	s_cbranch_execz .LBB528_212
; %bb.207:
	s_movk_i32 s11, 0x80
	v_cmp_ne_u16_sdwa s[12:13], v26, s11 src0_sel:BYTE_0 src1_sel:DWORD
	v_bfrev_b32_e32 v34, 1
	s_and_saveexec_b64 s[24:25], s[12:13]
	s_cbranch_execz .LBB528_211
; %bb.208:
	s_movk_i32 s11, 0x7f
	v_and_b32_e32 v30, 0x7f, v26
	v_cmp_ne_u32_e64 s[12:13], s11, v30
	v_mov_b32_e32 v34, 0x7f800001
	s_and_saveexec_b64 s[26:27], s[12:13]
	s_cbranch_execz .LBB528_210
; %bb.209:
	v_and_b32_e32 v31, 7, v26
	v_ffbh_u32_e32 v31, v31
	v_min_u32_e32 v31, 32, v31
	v_subrev_u32_e32 v33, 28, v31
	v_cmp_gt_u32_e64 s[12:13], 8, v30
	v_lshrrev_b32_e32 v32, 3, v30
	v_sub_u32_e32 v31, 29, v31
	v_cndmask_b32_e64 v30, 0, v33, s[12:13]
	v_cndmask_b32_e64 v32, v32, v31, s[12:13]
	v_lshlrev_b64 v[30:31], v30, v[26:27]
	v_lshlrev_b32_e32 v30, 20, v30
	v_lshlrev_b32_e32 v31, 24, v26
	v_bfrev_b32_e32 v33, 60
	v_and_b32_e32 v30, 0x700000, v30
	v_and_b32_e32 v31, 0x80000000, v31
	v_lshl_add_u32 v32, v32, 23, v33
	v_or3_b32 v34, v31, v32, v30
.LBB528_210:
	s_or_b64 exec, exec, s[26:27]
.LBB528_211:
	s_or_b64 exec, exec, s[24:25]
.LBB528_212:
	s_or_b64 exec, exec, s[14:15]
	v_lshrrev_b16_e32 v30, 8, v26
	v_cmp_ne_u16_e64 s[12:13], 0, v30
	v_mov_b32_e32 v33, 0
	v_mov_b32_e32 v35, 0
	s_and_saveexec_b64 s[14:15], s[12:13]
	s_cbranch_execz .LBB528_218
; %bb.213:
	s_movk_i32 s11, 0x80
	v_cmp_ne_u16_e64 s[12:13], s11, v30
	v_bfrev_b32_e32 v35, 1
	s_and_saveexec_b64 s[24:25], s[12:13]
	s_cbranch_execz .LBB528_217
; %bb.214:
	s_movk_i32 s11, 0x7f
	v_and_b32_e32 v31, 0x7f, v30
	v_cmp_ne_u32_e64 s[12:13], s11, v31
	v_mov_b32_e32 v35, 0x7f800001
	s_and_saveexec_b64 s[26:27], s[12:13]
	s_cbranch_execz .LBB528_216
; %bb.215:
	v_and_b32_e32 v32, 7, v30
	v_ffbh_u32_e32 v36, v32
	v_min_u32_e32 v38, 32, v36
	v_subrev_u32_e32 v36, 28, v38
	v_lshlrev_b64 v[36:37], v36, v[30:31]
	v_lshrrev_b32_e32 v35, 3, v31
	v_sub_u32_e32 v30, 29, v38
	v_and_b32_e32 v36, 7, v36
	v_cmp_gt_u32_e64 s[12:13], 8, v31
	v_cndmask_b32_e64 v30, v35, v30, s[12:13]
	v_cndmask_b32_e64 v31, v32, v36, s[12:13]
	v_lshlrev_b32_e32 v32, 16, v26
	v_bfrev_b32_e32 v35, 60
	v_lshlrev_b32_e32 v31, 20, v31
	v_and_b32_e32 v32, 0x80000000, v32
	v_lshl_add_u32 v30, v30, 23, v35
	v_or3_b32 v35, v32, v30, v31
.LBB528_216:
	s_or_b64 exec, exec, s[26:27]
.LBB528_217:
	s_or_b64 exec, exec, s[24:25]
.LBB528_218:
	s_or_b64 exec, exec, s[14:15]
	s_movk_i32 s11, 0xff
	v_and_b32_sdwa v31, v26, s11 dst_sel:DWORD dst_unused:UNUSED_PAD src0_sel:WORD_1 src1_sel:DWORD
	v_lshrrev_b32_e32 v30, 16, v26
	v_cmp_ne_u16_e64 s[12:13], 0, v31
	s_and_saveexec_b64 s[14:15], s[12:13]
	s_cbranch_execz .LBB528_224
; %bb.219:
	s_movk_i32 s11, 0x80
	v_cmp_ne_u16_e64 s[12:13], s11, v31
	v_bfrev_b32_e32 v33, 1
	s_and_saveexec_b64 s[24:25], s[12:13]
	s_cbranch_execz .LBB528_223
; %bb.220:
	v_bfe_u32 v31, v26, 16, 7
	s_movk_i32 s11, 0x7f
	v_cmp_ne_u32_e64 s[12:13], s11, v31
	v_mov_b32_e32 v33, 0x7f800001
	s_and_saveexec_b64 s[26:27], s[12:13]
	s_cbranch_execz .LBB528_222
; %bb.221:
	v_and_b32_e32 v36, 7, v30
	v_ffbh_u32_e32 v32, v36
	v_min_u32_e32 v38, 32, v32
	v_subrev_u32_e32 v32, 28, v38
	v_lshlrev_b64 v[32:33], v32, v[30:31]
	v_and_b32_e32 v32, 7, v32
	v_cmp_gt_u32_e64 s[12:13], 8, v31
	v_lshrrev_b32_e32 v37, 3, v31
	v_sub_u32_e32 v30, 29, v38
	v_cndmask_b32_e64 v31, v36, v32, s[12:13]
	v_mov_b32_e32 v32, 24
	v_cndmask_b32_e64 v30, v37, v30, s[12:13]
	v_lshlrev_b32_sdwa v32, v32, v26 dst_sel:DWORD dst_unused:UNUSED_PAD src0_sel:DWORD src1_sel:WORD_1
	v_bfrev_b32_e32 v33, 60
	v_lshlrev_b32_e32 v31, 20, v31
	v_and_b32_e32 v32, 0x80000000, v32
	v_lshl_add_u32 v30, v30, 23, v33
	v_or3_b32 v33, v32, v30, v31
.LBB528_222:
	s_or_b64 exec, exec, s[26:27]
.LBB528_223:
	s_or_b64 exec, exec, s[24:25]
.LBB528_224:
	s_or_b64 exec, exec, s[14:15]
	s_mov_b32 s11, 0xffffff
	v_cmp_lt_u32_e64 s[12:13], s11, v26
	v_mov_b32_e32 v31, 0
	v_mov_b32_e32 v36, 0
	s_and_saveexec_b64 s[14:15], s[12:13]
	s_cbranch_execz .LBB528_230
; %bb.225:
	v_lshrrev_b32_e32 v30, 24, v26
	s_movk_i32 s11, 0x80
	v_cmp_ne_u32_e64 s[12:13], s11, v30
	v_bfrev_b32_e32 v36, 1
	s_and_saveexec_b64 s[24:25], s[12:13]
	s_cbranch_execz .LBB528_229
; %bb.226:
	v_bfe_u32 v32, v26, 24, 7
	s_movk_i32 s11, 0x7f
	v_cmp_ne_u32_e64 s[12:13], s11, v32
	v_mov_b32_e32 v36, 0x7f800001
	s_and_saveexec_b64 s[26:27], s[12:13]
	s_cbranch_execz .LBB528_228
; %bb.227:
	v_and_b32_e32 v38, 7, v30
	v_ffbh_u32_e32 v36, v38
	v_min_u32_e32 v40, 32, v36
	v_subrev_u32_e32 v36, 28, v40
	v_lshlrev_b64 v[36:37], v36, v[30:31]
	v_lshrrev_b32_e32 v39, 3, v32
	v_sub_u32_e32 v37, 29, v40
	v_and_b32_e32 v36, 7, v36
	v_cmp_gt_u32_e64 s[12:13], 8, v32
	v_cndmask_b32_e64 v32, v39, v37, s[12:13]
	v_cndmask_b32_e64 v36, v38, v36, s[12:13]
	v_lshlrev_b32_e32 v30, 24, v30
	v_bfrev_b32_e32 v37, 60
	v_lshlrev_b32_e32 v36, 20, v36
	v_and_b32_e32 v30, 0x80000000, v30
	v_lshl_add_u32 v32, v32, 23, v37
	v_or3_b32 v36, v30, v32, v36
.LBB528_228:
	s_or_b64 exec, exec, s[26:27]
.LBB528_229:
	s_or_b64 exec, exec, s[24:25]
.LBB528_230:
	s_or_b64 exec, exec, s[14:15]
	v_mov_b32_e32 v30, v27
	v_cmp_ne_u16_sdwa s[12:13], v27, v31 src0_sel:BYTE_0 src1_sel:DWORD
	s_and_saveexec_b64 s[14:15], s[12:13]
	s_cbranch_execz .LBB528_236
; %bb.231:
	s_movk_i32 s11, 0x80
	v_cmp_ne_u16_sdwa s[12:13], v27, s11 src0_sel:BYTE_0 src1_sel:DWORD
	v_bfrev_b32_e32 v32, 1
	s_and_saveexec_b64 s[24:25], s[12:13]
	s_cbranch_execz .LBB528_235
; %bb.232:
	s_movk_i32 s11, 0x7f
	v_and_b32_e32 v37, 0x7f, v27
	v_cmp_ne_u32_e64 s[12:13], s11, v37
	v_mov_b32_e32 v32, 0x7f800001
	s_and_saveexec_b64 s[26:27], s[12:13]
	s_cbranch_execz .LBB528_234
; %bb.233:
	v_and_b32_e32 v32, 7, v27
	v_ffbh_u32_e32 v32, v32
	v_min_u32_e32 v32, 32, v32
	v_subrev_u32_e32 v39, 28, v32
	v_cmp_gt_u32_e64 s[12:13], 8, v37
	v_lshrrev_b32_e32 v38, 3, v37
	v_sub_u32_e32 v32, 29, v32
	v_cndmask_b32_e64 v37, 0, v39, s[12:13]
	v_cndmask_b32_e64 v32, v38, v32, s[12:13]
	v_lshlrev_b64 v[38:39], v37, v[30:31]
	v_lshlrev_b32_e32 v31, 20, v38
	v_lshlrev_b32_e32 v37, 24, v30
	v_bfrev_b32_e32 v38, 60
	v_and_b32_e32 v31, 0x700000, v31
	v_and_b32_e32 v37, 0x80000000, v37
	v_lshl_add_u32 v32, v32, 23, v38
	v_or3_b32 v32, v37, v32, v31
.LBB528_234:
	s_or_b64 exec, exec, s[26:27]
.LBB528_235:
	s_or_b64 exec, exec, s[24:25]
	v_mov_b32_e32 v31, v32
.LBB528_236:
	s_or_b64 exec, exec, s[14:15]
	v_lshrrev_b16_e32 v32, 8, v30
	v_cmp_ne_u16_e64 s[12:13], 0, v32
	v_mov_b32_e32 v37, 0
	v_mov_b32_e32 v38, 0
	s_and_saveexec_b64 s[14:15], s[12:13]
	s_cbranch_execz .LBB528_242
; %bb.237:
	s_movk_i32 s11, 0x80
	v_cmp_ne_u16_e64 s[12:13], s11, v32
	v_bfrev_b32_e32 v38, 1
	s_and_saveexec_b64 s[24:25], s[12:13]
	s_cbranch_execz .LBB528_241
; %bb.238:
	s_movk_i32 s11, 0x7f
	v_and_b32_e32 v39, 0x7f, v32
	v_cmp_ne_u32_e64 s[12:13], s11, v39
	v_mov_b32_e32 v38, 0x7f800001
	s_and_saveexec_b64 s[26:27], s[12:13]
	s_cbranch_execz .LBB528_240
; %bb.239:
	v_and_b32_e32 v38, 7, v32
	v_ffbh_u32_e32 v40, v38
	v_min_u32_e32 v46, 32, v40
	v_subrev_u32_e32 v40, 28, v46
	v_lshlrev_b64 v[40:41], v40, v[32:33]
	v_lshrrev_b32_e32 v45, 3, v39
	v_sub_u32_e32 v32, 29, v46
	v_and_b32_e32 v40, 7, v40
	v_cmp_gt_u32_e64 s[12:13], 8, v39
	v_cndmask_b32_e64 v32, v45, v32, s[12:13]
	v_cndmask_b32_e64 v38, v38, v40, s[12:13]
	v_lshlrev_b32_e32 v30, 16, v30
	v_bfrev_b32_e32 v39, 60
	v_lshlrev_b32_e32 v38, 20, v38
	v_and_b32_e32 v30, 0x80000000, v30
	v_lshl_add_u32 v32, v32, 23, v39
	v_or3_b32 v38, v30, v32, v38
.LBB528_240:
	s_or_b64 exec, exec, s[26:27]
.LBB528_241:
	s_or_b64 exec, exec, s[24:25]
.LBB528_242:
	s_or_b64 exec, exec, s[14:15]
	s_movk_i32 s11, 0xff
	v_and_b32_sdwa v32, v27, s11 dst_sel:DWORD dst_unused:UNUSED_PAD src0_sel:WORD_1 src1_sel:DWORD
	v_lshrrev_b32_e32 v30, 16, v27
	v_cmp_ne_u16_e64 s[12:13], 0, v32
	s_and_saveexec_b64 s[14:15], s[12:13]
	s_cbranch_execz .LBB528_248
; %bb.243:
	s_movk_i32 s11, 0x80
	v_cmp_ne_u16_e64 s[12:13], s11, v32
	v_bfrev_b32_e32 v37, 1
	s_and_saveexec_b64 s[24:25], s[12:13]
	s_cbranch_execz .LBB528_247
; %bb.244:
	v_bfe_u32 v32, v27, 16, 7
	s_movk_i32 s11, 0x7f
	v_cmp_ne_u32_e64 s[12:13], s11, v32
	v_mov_b32_e32 v37, 0x7f800001
	s_and_saveexec_b64 s[26:27], s[12:13]
	s_cbranch_execz .LBB528_246
; %bb.245:
	v_and_b32_e32 v37, 7, v30
	v_ffbh_u32_e32 v40, v37
	v_min_u32_e32 v45, 32, v40
	v_subrev_u32_e32 v40, 28, v45
	v_lshlrev_b64 v[40:41], v40, v[30:31]
	v_and_b32_e32 v40, 7, v40
	v_cmp_gt_u32_e64 s[12:13], 8, v32
	v_lshrrev_b32_e32 v39, 3, v32
	v_sub_u32_e32 v30, 29, v45
	v_cndmask_b32_e64 v32, v37, v40, s[12:13]
	v_mov_b32_e32 v37, 24
	v_cndmask_b32_e64 v30, v39, v30, s[12:13]
	v_lshlrev_b32_sdwa v37, v37, v27 dst_sel:DWORD dst_unused:UNUSED_PAD src0_sel:DWORD src1_sel:WORD_1
	v_bfrev_b32_e32 v39, 60
	v_lshlrev_b32_e32 v32, 20, v32
	v_and_b32_e32 v37, 0x80000000, v37
	v_lshl_add_u32 v30, v30, 23, v39
	v_or3_b32 v37, v37, v30, v32
.LBB528_246:
	s_or_b64 exec, exec, s[26:27]
.LBB528_247:
	s_or_b64 exec, exec, s[24:25]
.LBB528_248:
	s_or_b64 exec, exec, s[14:15]
	s_mov_b32 s12, -1
	s_mov_b32 s13, 0xffffff
	v_cmp_lt_u64_e64 s[12:13], s[12:13], v[26:27]
	v_mov_b32_e32 v32, 0
	v_mov_b32_e32 v30, 0
	s_and_saveexec_b64 s[14:15], s[12:13]
	s_cbranch_execz .LBB528_254
; %bb.249:
	v_lshrrev_b32_e32 v26, 24, v27
	s_movk_i32 s11, 0x80
	v_cmp_ne_u32_e64 s[12:13], s11, v26
	v_bfrev_b32_e32 v30, 1
	s_and_saveexec_b64 s[24:25], s[12:13]
	s_cbranch_execz .LBB528_253
; %bb.250:
	v_bfe_u32 v27, v27, 24, 7
	s_movk_i32 s11, 0x7f
	v_cmp_ne_u32_e64 s[12:13], s11, v27
	v_mov_b32_e32 v30, 0x7f800001
	s_and_saveexec_b64 s[26:27], s[12:13]
	s_cbranch_execz .LBB528_252
; %bb.251:
	v_and_b32_e32 v30, 7, v26
	v_ffbh_u32_e32 v40, v30
	v_min_u32_e32 v45, 32, v40
	v_subrev_u32_e32 v40, 28, v45
	v_lshlrev_b64 v[40:41], v40, v[26:27]
	v_lshrrev_b32_e32 v39, 3, v27
	v_sub_u32_e32 v41, 29, v45
	v_and_b32_e32 v40, 7, v40
	v_cmp_gt_u32_e64 s[12:13], 8, v27
	v_cndmask_b32_e64 v27, v39, v41, s[12:13]
	v_cndmask_b32_e64 v30, v30, v40, s[12:13]
	v_lshlrev_b32_e32 v26, 24, v26
	v_bfrev_b32_e32 v39, 60
	v_lshlrev_b32_e32 v30, 20, v30
	v_and_b32_e32 v26, 0x80000000, v26
	v_lshl_add_u32 v27, v27, 23, v39
	v_or3_b32 v30, v26, v27, v30
.LBB528_252:
	s_or_b64 exec, exec, s[26:27]
.LBB528_253:
	s_or_b64 exec, exec, s[24:25]
.LBB528_254:
	s_or_b64 exec, exec, s[14:15]
	v_cvt_pkrtz_f16_f32 v26, v34, v35
	v_cvt_pkrtz_f16_f32 v27, v33, v36
	;; [unrolled: 1-line block ×4, first 2 shown]
	v_mfma_f32_4x4x4f16 a[0:3], v[2:3], v[26:27], a[0:3] cbsz:4 abid:4
	v_cmp_ne_u16_sdwa s[12:13], v28, v32 src0_sel:BYTE_0 src1_sel:DWORD
	v_mfma_f32_4x4x4f16 a[0:3], v[4:5], v[34:35], a[0:3] cbsz:4 abid:4
	s_and_saveexec_b64 s[14:15], s[12:13]
	s_cbranch_execz .LBB528_260
; %bb.255:
	s_movk_i32 s11, 0x80
	v_cmp_ne_u16_sdwa s[12:13], v28, s11 src0_sel:BYTE_0 src1_sel:DWORD
	v_bfrev_b32_e32 v32, 1
	s_and_saveexec_b64 s[24:25], s[12:13]
	s_cbranch_execz .LBB528_259
; %bb.256:
	s_movk_i32 s11, 0x7f
	v_and_b32_e32 v26, 0x7f, v28
	v_cmp_ne_u32_e64 s[12:13], s11, v26
	v_mov_b32_e32 v32, 0x7f800001
	s_and_saveexec_b64 s[26:27], s[12:13]
	s_cbranch_execz .LBB528_258
; %bb.257:
	v_and_b32_e32 v27, 7, v28
	v_ffbh_u32_e32 v27, v27
	v_min_u32_e32 v27, 32, v27
	v_subrev_u32_e32 v31, 28, v27
	v_cmp_gt_u32_e64 s[12:13], 8, v26
	v_lshrrev_b32_e32 v30, 3, v26
	v_sub_u32_e32 v27, 29, v27
	v_cndmask_b32_e64 v26, 0, v31, s[12:13]
	v_cndmask_b32_e64 v30, v30, v27, s[12:13]
	v_lshlrev_b64 v[26:27], v26, v[28:29]
	v_lshlrev_b32_e32 v26, 20, v26
	v_lshlrev_b32_e32 v27, 24, v28
	v_bfrev_b32_e32 v31, 60
	v_and_b32_e32 v26, 0x700000, v26
	v_and_b32_e32 v27, 0x80000000, v27
	v_lshl_add_u32 v30, v30, 23, v31
	v_or3_b32 v32, v27, v30, v26
.LBB528_258:
	s_or_b64 exec, exec, s[26:27]
.LBB528_259:
	s_or_b64 exec, exec, s[24:25]
.LBB528_260:
	s_or_b64 exec, exec, s[14:15]
	v_lshrrev_b16_e32 v26, 8, v28
	v_cmp_ne_u16_e64 s[12:13], 0, v26
	v_mov_b32_e32 v31, 0
	v_mov_b32_e32 v33, 0
	s_and_saveexec_b64 s[14:15], s[12:13]
	s_cbranch_execz .LBB528_266
; %bb.261:
	s_movk_i32 s11, 0x80
	v_cmp_ne_u16_e64 s[12:13], s11, v26
	v_bfrev_b32_e32 v33, 1
	s_and_saveexec_b64 s[24:25], s[12:13]
	s_cbranch_execz .LBB528_265
; %bb.262:
	s_movk_i32 s11, 0x7f
	v_and_b32_e32 v27, 0x7f, v26
	v_cmp_ne_u32_e64 s[12:13], s11, v27
	v_mov_b32_e32 v33, 0x7f800001
	s_and_saveexec_b64 s[26:27], s[12:13]
	s_cbranch_execz .LBB528_264
; %bb.263:
	v_and_b32_e32 v30, 7, v26
	v_ffbh_u32_e32 v34, v30
	v_min_u32_e32 v36, 32, v34
	v_subrev_u32_e32 v34, 28, v36
	v_lshlrev_b64 v[34:35], v34, v[26:27]
	v_lshrrev_b32_e32 v33, 3, v27
	v_sub_u32_e32 v26, 29, v36
	v_and_b32_e32 v34, 7, v34
	v_cmp_gt_u32_e64 s[12:13], 8, v27
	v_cndmask_b32_e64 v26, v33, v26, s[12:13]
	v_cndmask_b32_e64 v27, v30, v34, s[12:13]
	v_lshlrev_b32_e32 v30, 16, v28
	v_bfrev_b32_e32 v33, 60
	v_lshlrev_b32_e32 v27, 20, v27
	v_and_b32_e32 v30, 0x80000000, v30
	v_lshl_add_u32 v26, v26, 23, v33
	v_or3_b32 v33, v30, v26, v27
.LBB528_264:
	s_or_b64 exec, exec, s[26:27]
.LBB528_265:
	s_or_b64 exec, exec, s[24:25]
.LBB528_266:
	s_or_b64 exec, exec, s[14:15]
	s_movk_i32 s11, 0xff
	v_and_b32_sdwa v27, v28, s11 dst_sel:DWORD dst_unused:UNUSED_PAD src0_sel:WORD_1 src1_sel:DWORD
	v_lshrrev_b32_e32 v26, 16, v28
	v_cmp_ne_u16_e64 s[12:13], 0, v27
	s_and_saveexec_b64 s[14:15], s[12:13]
	s_cbranch_execz .LBB528_272
; %bb.267:
	s_movk_i32 s11, 0x80
	v_cmp_ne_u16_e64 s[12:13], s11, v27
	v_bfrev_b32_e32 v31, 1
	s_and_saveexec_b64 s[24:25], s[12:13]
	s_cbranch_execz .LBB528_271
; %bb.268:
	v_bfe_u32 v27, v28, 16, 7
	s_movk_i32 s11, 0x7f
	v_cmp_ne_u32_e64 s[12:13], s11, v27
	v_mov_b32_e32 v31, 0x7f800001
	s_and_saveexec_b64 s[26:27], s[12:13]
	s_cbranch_execz .LBB528_270
; %bb.269:
	v_and_b32_e32 v34, 7, v26
	v_ffbh_u32_e32 v30, v34
	v_min_u32_e32 v36, 32, v30
	v_subrev_u32_e32 v30, 28, v36
	v_lshlrev_b64 v[30:31], v30, v[26:27]
	v_and_b32_e32 v30, 7, v30
	v_cmp_gt_u32_e64 s[12:13], 8, v27
	v_lshrrev_b32_e32 v35, 3, v27
	v_sub_u32_e32 v26, 29, v36
	v_cndmask_b32_e64 v27, v34, v30, s[12:13]
	v_mov_b32_e32 v30, 24
	v_cndmask_b32_e64 v26, v35, v26, s[12:13]
	v_lshlrev_b32_sdwa v30, v30, v28 dst_sel:DWORD dst_unused:UNUSED_PAD src0_sel:DWORD src1_sel:WORD_1
	v_bfrev_b32_e32 v31, 60
	v_lshlrev_b32_e32 v27, 20, v27
	v_and_b32_e32 v30, 0x80000000, v30
	v_lshl_add_u32 v26, v26, 23, v31
	v_or3_b32 v31, v30, v26, v27
.LBB528_270:
	s_or_b64 exec, exec, s[26:27]
.LBB528_271:
	s_or_b64 exec, exec, s[24:25]
.LBB528_272:
	s_or_b64 exec, exec, s[14:15]
	s_mov_b32 s11, 0xffffff
	v_cmp_lt_u32_e64 s[12:13], s11, v28
	v_mov_b32_e32 v27, 0
	v_mov_b32_e32 v34, 0
	s_and_saveexec_b64 s[14:15], s[12:13]
	s_cbranch_execz .LBB528_278
; %bb.273:
	v_lshrrev_b32_e32 v26, 24, v28
	s_movk_i32 s11, 0x80
	v_cmp_ne_u32_e64 s[12:13], s11, v26
	v_bfrev_b32_e32 v34, 1
	s_and_saveexec_b64 s[24:25], s[12:13]
	s_cbranch_execz .LBB528_277
; %bb.274:
	v_bfe_u32 v30, v28, 24, 7
	s_movk_i32 s11, 0x7f
	v_cmp_ne_u32_e64 s[12:13], s11, v30
	v_mov_b32_e32 v34, 0x7f800001
	s_and_saveexec_b64 s[26:27], s[12:13]
	s_cbranch_execz .LBB528_276
; %bb.275:
	v_and_b32_e32 v36, 7, v26
	v_ffbh_u32_e32 v34, v36
	v_min_u32_e32 v38, 32, v34
	v_subrev_u32_e32 v34, 28, v38
	v_lshlrev_b64 v[34:35], v34, v[26:27]
	v_lshrrev_b32_e32 v37, 3, v30
	v_sub_u32_e32 v35, 29, v38
	v_and_b32_e32 v34, 7, v34
	v_cmp_gt_u32_e64 s[12:13], 8, v30
	v_cndmask_b32_e64 v30, v37, v35, s[12:13]
	v_cndmask_b32_e64 v34, v36, v34, s[12:13]
	v_lshlrev_b32_e32 v26, 24, v26
	v_bfrev_b32_e32 v35, 60
	v_lshlrev_b32_e32 v34, 20, v34
	v_and_b32_e32 v26, 0x80000000, v26
	v_lshl_add_u32 v30, v30, 23, v35
	v_or3_b32 v34, v26, v30, v34
.LBB528_276:
	s_or_b64 exec, exec, s[26:27]
.LBB528_277:
	s_or_b64 exec, exec, s[24:25]
.LBB528_278:
	s_or_b64 exec, exec, s[14:15]
	v_mov_b32_e32 v26, v29
	v_cmp_ne_u16_sdwa s[12:13], v29, v27 src0_sel:BYTE_0 src1_sel:DWORD
	s_and_saveexec_b64 s[14:15], s[12:13]
	s_cbranch_execz .LBB528_284
; %bb.279:
	s_movk_i32 s11, 0x80
	v_cmp_ne_u16_sdwa s[12:13], v29, s11 src0_sel:BYTE_0 src1_sel:DWORD
	v_bfrev_b32_e32 v30, 1
	s_and_saveexec_b64 s[24:25], s[12:13]
	s_cbranch_execz .LBB528_283
; %bb.280:
	s_movk_i32 s11, 0x7f
	v_and_b32_e32 v35, 0x7f, v29
	v_cmp_ne_u32_e64 s[12:13], s11, v35
	v_mov_b32_e32 v30, 0x7f800001
	s_and_saveexec_b64 s[26:27], s[12:13]
	s_cbranch_execz .LBB528_282
; %bb.281:
	v_and_b32_e32 v30, 7, v29
	v_ffbh_u32_e32 v30, v30
	v_min_u32_e32 v30, 32, v30
	v_subrev_u32_e32 v37, 28, v30
	v_cmp_gt_u32_e64 s[12:13], 8, v35
	v_lshrrev_b32_e32 v36, 3, v35
	v_sub_u32_e32 v30, 29, v30
	v_cndmask_b32_e64 v35, 0, v37, s[12:13]
	v_cndmask_b32_e64 v30, v36, v30, s[12:13]
	v_lshlrev_b64 v[36:37], v35, v[26:27]
	v_lshlrev_b32_e32 v27, 20, v36
	v_lshlrev_b32_e32 v35, 24, v26
	v_bfrev_b32_e32 v36, 60
	v_and_b32_e32 v27, 0x700000, v27
	v_and_b32_e32 v35, 0x80000000, v35
	v_lshl_add_u32 v30, v30, 23, v36
	v_or3_b32 v30, v35, v30, v27
.LBB528_282:
	s_or_b64 exec, exec, s[26:27]
.LBB528_283:
	s_or_b64 exec, exec, s[24:25]
	v_mov_b32_e32 v27, v30
.LBB528_284:
	s_or_b64 exec, exec, s[14:15]
	v_lshrrev_b16_e32 v30, 8, v26
	v_cmp_ne_u16_e64 s[12:13], 0, v30
	v_mov_b32_e32 v35, 0
	v_mov_b32_e32 v36, 0
	s_and_saveexec_b64 s[14:15], s[12:13]
	s_cbranch_execz .LBB528_290
; %bb.285:
	s_movk_i32 s11, 0x80
	v_cmp_ne_u16_e64 s[12:13], s11, v30
	v_bfrev_b32_e32 v36, 1
	s_and_saveexec_b64 s[24:25], s[12:13]
	s_cbranch_execz .LBB528_289
; %bb.286:
	s_movk_i32 s11, 0x7f
	v_and_b32_e32 v37, 0x7f, v30
	v_cmp_ne_u32_e64 s[12:13], s11, v37
	v_mov_b32_e32 v36, 0x7f800001
	s_and_saveexec_b64 s[26:27], s[12:13]
	s_cbranch_execz .LBB528_288
; %bb.287:
	v_and_b32_e32 v36, 7, v30
	v_ffbh_u32_e32 v38, v36
	v_min_u32_e32 v41, 32, v38
	v_subrev_u32_e32 v38, 28, v41
	v_lshlrev_b64 v[38:39], v38, v[30:31]
	v_lshrrev_b32_e32 v40, 3, v37
	v_sub_u32_e32 v30, 29, v41
	v_and_b32_e32 v38, 7, v38
	v_cmp_gt_u32_e64 s[12:13], 8, v37
	v_cndmask_b32_e64 v30, v40, v30, s[12:13]
	v_cndmask_b32_e64 v36, v36, v38, s[12:13]
	v_lshlrev_b32_e32 v26, 16, v26
	v_bfrev_b32_e32 v37, 60
	v_lshlrev_b32_e32 v36, 20, v36
	v_and_b32_e32 v26, 0x80000000, v26
	v_lshl_add_u32 v30, v30, 23, v37
	v_or3_b32 v36, v26, v30, v36
.LBB528_288:
	s_or_b64 exec, exec, s[26:27]
.LBB528_289:
	s_or_b64 exec, exec, s[24:25]
.LBB528_290:
	s_or_b64 exec, exec, s[14:15]
	s_movk_i32 s11, 0xff
	v_and_b32_sdwa v30, v29, s11 dst_sel:DWORD dst_unused:UNUSED_PAD src0_sel:WORD_1 src1_sel:DWORD
	v_lshrrev_b32_e32 v26, 16, v29
	v_cmp_ne_u16_e64 s[12:13], 0, v30
	s_and_saveexec_b64 s[14:15], s[12:13]
	s_cbranch_execz .LBB528_296
; %bb.291:
	s_movk_i32 s11, 0x80
	v_cmp_ne_u16_e64 s[12:13], s11, v30
	v_bfrev_b32_e32 v35, 1
	s_and_saveexec_b64 s[24:25], s[12:13]
	s_cbranch_execz .LBB528_295
; %bb.292:
	v_bfe_u32 v30, v29, 16, 7
	s_movk_i32 s11, 0x7f
	v_cmp_ne_u32_e64 s[12:13], s11, v30
	v_mov_b32_e32 v35, 0x7f800001
	s_and_saveexec_b64 s[26:27], s[12:13]
	s_cbranch_execz .LBB528_294
; %bb.293:
	v_and_b32_e32 v35, 7, v26
	v_ffbh_u32_e32 v38, v35
	v_min_u32_e32 v40, 32, v38
	v_subrev_u32_e32 v38, 28, v40
	v_lshlrev_b64 v[38:39], v38, v[26:27]
	v_and_b32_e32 v38, 7, v38
	v_cmp_gt_u32_e64 s[12:13], 8, v30
	v_lshrrev_b32_e32 v37, 3, v30
	v_sub_u32_e32 v26, 29, v40
	v_cndmask_b32_e64 v30, v35, v38, s[12:13]
	v_mov_b32_e32 v35, 24
	v_cndmask_b32_e64 v26, v37, v26, s[12:13]
	v_lshlrev_b32_sdwa v35, v35, v29 dst_sel:DWORD dst_unused:UNUSED_PAD src0_sel:DWORD src1_sel:WORD_1
	v_bfrev_b32_e32 v37, 60
	v_lshlrev_b32_e32 v30, 20, v30
	v_and_b32_e32 v35, 0x80000000, v35
	v_lshl_add_u32 v26, v26, 23, v37
	v_or3_b32 v35, v35, v26, v30
.LBB528_294:
	s_or_b64 exec, exec, s[26:27]
.LBB528_295:
	s_or_b64 exec, exec, s[24:25]
.LBB528_296:
	s_or_b64 exec, exec, s[14:15]
	s_mov_b32 s12, -1
	s_mov_b32 s13, 0xffffff
	v_cmp_lt_u64_e64 s[12:13], s[12:13], v[28:29]
	v_mov_b32_e32 v30, 0
	v_mov_b32_e32 v28, 0
	s_and_saveexec_b64 s[14:15], s[12:13]
	s_cbranch_execz .LBB528_302
; %bb.297:
	v_lshrrev_b32_e32 v26, 24, v29
	s_movk_i32 s11, 0x80
	v_cmp_ne_u32_e64 s[12:13], s11, v26
	v_bfrev_b32_e32 v28, 1
	s_and_saveexec_b64 s[24:25], s[12:13]
	s_cbranch_execz .LBB528_301
; %bb.298:
	v_bfe_u32 v29, v29, 24, 7
	s_movk_i32 s11, 0x7f
	v_cmp_ne_u32_e64 s[12:13], s11, v29
	v_mov_b32_e32 v28, 0x7f800001
	s_and_saveexec_b64 s[26:27], s[12:13]
	s_cbranch_execz .LBB528_300
; %bb.299:
	v_and_b32_e32 v28, 7, v26
	v_ffbh_u32_e32 v38, v28
	v_min_u32_e32 v40, 32, v38
	v_subrev_u32_e32 v38, 28, v40
	v_lshlrev_b64 v[38:39], v38, v[26:27]
	v_lshrrev_b32_e32 v37, 3, v29
	v_sub_u32_e32 v39, 29, v40
	v_and_b32_e32 v38, 7, v38
	v_cmp_gt_u32_e64 s[12:13], 8, v29
	v_cndmask_b32_e64 v29, v37, v39, s[12:13]
	v_cndmask_b32_e64 v28, v28, v38, s[12:13]
	v_lshlrev_b32_e32 v26, 24, v26
	v_bfrev_b32_e32 v37, 60
	v_lshlrev_b32_e32 v28, 20, v28
	v_and_b32_e32 v26, 0x80000000, v26
	v_lshl_add_u32 v29, v29, 23, v37
	v_or3_b32 v28, v26, v29, v28
.LBB528_300:
	s_or_b64 exec, exec, s[26:27]
.LBB528_301:
	s_or_b64 exec, exec, s[24:25]
.LBB528_302:
	s_or_b64 exec, exec, s[14:15]
	v_cvt_pkrtz_f16_f32 v32, v32, v33
	v_cvt_pkrtz_f16_f32 v33, v31, v34
	;; [unrolled: 1-line block ×4, first 2 shown]
	v_mfma_f32_4x4x4f16 a[0:3], v[2:3], v[32:33], a[0:3] cbsz:4 abid:5
	v_cmp_ne_u16_sdwa s[12:13], v22, v30 src0_sel:BYTE_0 src1_sel:DWORD
	v_mfma_f32_4x4x4f16 a[0:3], v[4:5], v[26:27], a[0:3] cbsz:4 abid:5
	s_and_saveexec_b64 s[14:15], s[12:13]
	s_cbranch_execz .LBB528_308
; %bb.303:
	s_movk_i32 s11, 0x80
	v_cmp_ne_u16_sdwa s[12:13], v22, s11 src0_sel:BYTE_0 src1_sel:DWORD
	v_bfrev_b32_e32 v30, 1
	s_and_saveexec_b64 s[24:25], s[12:13]
	s_cbranch_execz .LBB528_307
; %bb.304:
	s_movk_i32 s11, 0x7f
	v_and_b32_e32 v26, 0x7f, v22
	v_cmp_ne_u32_e64 s[12:13], s11, v26
	v_mov_b32_e32 v30, 0x7f800001
	s_and_saveexec_b64 s[26:27], s[12:13]
	s_cbranch_execz .LBB528_306
; %bb.305:
	v_and_b32_e32 v27, 7, v22
	v_ffbh_u32_e32 v27, v27
	v_min_u32_e32 v27, 32, v27
	v_subrev_u32_e32 v29, 28, v27
	v_cmp_gt_u32_e64 s[12:13], 8, v26
	v_lshrrev_b32_e32 v28, 3, v26
	v_sub_u32_e32 v27, 29, v27
	v_cndmask_b32_e64 v26, 0, v29, s[12:13]
	v_cndmask_b32_e64 v28, v28, v27, s[12:13]
	v_lshlrev_b64 v[26:27], v26, v[22:23]
	v_lshlrev_b32_e32 v26, 20, v26
	v_lshlrev_b32_e32 v27, 24, v22
	v_bfrev_b32_e32 v29, 60
	v_and_b32_e32 v26, 0x700000, v26
	v_and_b32_e32 v27, 0x80000000, v27
	v_lshl_add_u32 v28, v28, 23, v29
	v_or3_b32 v30, v27, v28, v26
.LBB528_306:
	s_or_b64 exec, exec, s[26:27]
.LBB528_307:
	s_or_b64 exec, exec, s[24:25]
.LBB528_308:
	s_or_b64 exec, exec, s[14:15]
	v_lshrrev_b16_e32 v26, 8, v22
	v_cmp_ne_u16_e64 s[12:13], 0, v26
	v_mov_b32_e32 v29, 0
	v_mov_b32_e32 v31, 0
	s_and_saveexec_b64 s[14:15], s[12:13]
	s_cbranch_execz .LBB528_314
; %bb.309:
	s_movk_i32 s11, 0x80
	v_cmp_ne_u16_e64 s[12:13], s11, v26
	v_bfrev_b32_e32 v31, 1
	s_and_saveexec_b64 s[24:25], s[12:13]
	s_cbranch_execz .LBB528_313
; %bb.310:
	s_movk_i32 s11, 0x7f
	v_and_b32_e32 v27, 0x7f, v26
	v_cmp_ne_u32_e64 s[12:13], s11, v27
	v_mov_b32_e32 v31, 0x7f800001
	s_and_saveexec_b64 s[26:27], s[12:13]
	s_cbranch_execz .LBB528_312
; %bb.311:
	v_and_b32_e32 v28, 7, v26
	v_ffbh_u32_e32 v32, v28
	v_min_u32_e32 v34, 32, v32
	v_subrev_u32_e32 v32, 28, v34
	v_lshlrev_b64 v[32:33], v32, v[26:27]
	v_lshrrev_b32_e32 v31, 3, v27
	v_sub_u32_e32 v26, 29, v34
	v_and_b32_e32 v32, 7, v32
	v_cmp_gt_u32_e64 s[12:13], 8, v27
	v_cndmask_b32_e64 v26, v31, v26, s[12:13]
	v_cndmask_b32_e64 v27, v28, v32, s[12:13]
	v_lshlrev_b32_e32 v28, 16, v22
	v_bfrev_b32_e32 v31, 60
	v_lshlrev_b32_e32 v27, 20, v27
	v_and_b32_e32 v28, 0x80000000, v28
	v_lshl_add_u32 v26, v26, 23, v31
	v_or3_b32 v31, v28, v26, v27
.LBB528_312:
	s_or_b64 exec, exec, s[26:27]
.LBB528_313:
	s_or_b64 exec, exec, s[24:25]
.LBB528_314:
	s_or_b64 exec, exec, s[14:15]
	s_movk_i32 s11, 0xff
	v_and_b32_sdwa v27, v22, s11 dst_sel:DWORD dst_unused:UNUSED_PAD src0_sel:WORD_1 src1_sel:DWORD
	v_lshrrev_b32_e32 v26, 16, v22
	v_cmp_ne_u16_e64 s[12:13], 0, v27
	s_and_saveexec_b64 s[14:15], s[12:13]
	s_cbranch_execz .LBB528_320
; %bb.315:
	s_movk_i32 s11, 0x80
	v_cmp_ne_u16_e64 s[12:13], s11, v27
	v_bfrev_b32_e32 v29, 1
	s_and_saveexec_b64 s[24:25], s[12:13]
	s_cbranch_execz .LBB528_319
; %bb.316:
	v_bfe_u32 v27, v22, 16, 7
	s_movk_i32 s11, 0x7f
	v_cmp_ne_u32_e64 s[12:13], s11, v27
	v_mov_b32_e32 v29, 0x7f800001
	s_and_saveexec_b64 s[26:27], s[12:13]
	s_cbranch_execz .LBB528_318
; %bb.317:
	v_and_b32_e32 v32, 7, v26
	v_ffbh_u32_e32 v28, v32
	v_min_u32_e32 v34, 32, v28
	v_subrev_u32_e32 v28, 28, v34
	v_lshlrev_b64 v[28:29], v28, v[26:27]
	v_and_b32_e32 v28, 7, v28
	v_cmp_gt_u32_e64 s[12:13], 8, v27
	v_lshrrev_b32_e32 v33, 3, v27
	v_sub_u32_e32 v26, 29, v34
	v_cndmask_b32_e64 v27, v32, v28, s[12:13]
	v_mov_b32_e32 v28, 24
	v_cndmask_b32_e64 v26, v33, v26, s[12:13]
	v_lshlrev_b32_sdwa v28, v28, v22 dst_sel:DWORD dst_unused:UNUSED_PAD src0_sel:DWORD src1_sel:WORD_1
	v_bfrev_b32_e32 v29, 60
	v_lshlrev_b32_e32 v27, 20, v27
	v_and_b32_e32 v28, 0x80000000, v28
	v_lshl_add_u32 v26, v26, 23, v29
	v_or3_b32 v29, v28, v26, v27
.LBB528_318:
	s_or_b64 exec, exec, s[26:27]
.LBB528_319:
	s_or_b64 exec, exec, s[24:25]
.LBB528_320:
	s_or_b64 exec, exec, s[14:15]
	s_mov_b32 s11, 0xffffff
	v_cmp_lt_u32_e64 s[12:13], s11, v22
	v_mov_b32_e32 v27, 0
	v_mov_b32_e32 v32, 0
	s_and_saveexec_b64 s[14:15], s[12:13]
	s_cbranch_execz .LBB528_326
; %bb.321:
	v_lshrrev_b32_e32 v26, 24, v22
	s_movk_i32 s11, 0x80
	v_cmp_ne_u32_e64 s[12:13], s11, v26
	v_bfrev_b32_e32 v32, 1
	s_and_saveexec_b64 s[24:25], s[12:13]
	s_cbranch_execz .LBB528_325
; %bb.322:
	v_bfe_u32 v28, v22, 24, 7
	s_movk_i32 s11, 0x7f
	v_cmp_ne_u32_e64 s[12:13], s11, v28
	v_mov_b32_e32 v32, 0x7f800001
	s_and_saveexec_b64 s[26:27], s[12:13]
	s_cbranch_execz .LBB528_324
; %bb.323:
	v_and_b32_e32 v34, 7, v26
	v_ffbh_u32_e32 v32, v34
	v_min_u32_e32 v36, 32, v32
	v_subrev_u32_e32 v32, 28, v36
	v_lshlrev_b64 v[32:33], v32, v[26:27]
	v_lshrrev_b32_e32 v35, 3, v28
	v_sub_u32_e32 v33, 29, v36
	v_and_b32_e32 v32, 7, v32
	v_cmp_gt_u32_e64 s[12:13], 8, v28
	v_cndmask_b32_e64 v28, v35, v33, s[12:13]
	v_cndmask_b32_e64 v32, v34, v32, s[12:13]
	v_lshlrev_b32_e32 v26, 24, v26
	v_bfrev_b32_e32 v33, 60
	v_lshlrev_b32_e32 v32, 20, v32
	v_and_b32_e32 v26, 0x80000000, v26
	v_lshl_add_u32 v28, v28, 23, v33
	v_or3_b32 v32, v26, v28, v32
.LBB528_324:
	s_or_b64 exec, exec, s[26:27]
.LBB528_325:
	s_or_b64 exec, exec, s[24:25]
.LBB528_326:
	s_or_b64 exec, exec, s[14:15]
	v_mov_b32_e32 v26, v23
	v_cmp_ne_u16_sdwa s[12:13], v23, v27 src0_sel:BYTE_0 src1_sel:DWORD
	s_and_saveexec_b64 s[14:15], s[12:13]
	s_cbranch_execz .LBB528_332
; %bb.327:
	s_movk_i32 s11, 0x80
	v_cmp_ne_u16_sdwa s[12:13], v23, s11 src0_sel:BYTE_0 src1_sel:DWORD
	v_bfrev_b32_e32 v28, 1
	s_and_saveexec_b64 s[24:25], s[12:13]
	s_cbranch_execz .LBB528_331
; %bb.328:
	s_movk_i32 s11, 0x7f
	v_and_b32_e32 v33, 0x7f, v23
	v_cmp_ne_u32_e64 s[12:13], s11, v33
	v_mov_b32_e32 v28, 0x7f800001
	s_and_saveexec_b64 s[26:27], s[12:13]
	s_cbranch_execz .LBB528_330
; %bb.329:
	v_and_b32_e32 v28, 7, v23
	v_ffbh_u32_e32 v28, v28
	v_min_u32_e32 v28, 32, v28
	v_subrev_u32_e32 v35, 28, v28
	v_cmp_gt_u32_e64 s[12:13], 8, v33
	v_lshrrev_b32_e32 v34, 3, v33
	v_sub_u32_e32 v28, 29, v28
	v_cndmask_b32_e64 v33, 0, v35, s[12:13]
	v_cndmask_b32_e64 v28, v34, v28, s[12:13]
	v_lshlrev_b64 v[34:35], v33, v[26:27]
	v_lshlrev_b32_e32 v27, 20, v34
	v_lshlrev_b32_e32 v33, 24, v26
	v_bfrev_b32_e32 v34, 60
	v_and_b32_e32 v27, 0x700000, v27
	v_and_b32_e32 v33, 0x80000000, v33
	v_lshl_add_u32 v28, v28, 23, v34
	v_or3_b32 v28, v33, v28, v27
.LBB528_330:
	s_or_b64 exec, exec, s[26:27]
.LBB528_331:
	s_or_b64 exec, exec, s[24:25]
	v_mov_b32_e32 v27, v28
.LBB528_332:
	s_or_b64 exec, exec, s[14:15]
	v_lshrrev_b16_e32 v28, 8, v26
	v_cmp_ne_u16_e64 s[12:13], 0, v28
	v_mov_b32_e32 v33, 0
	v_mov_b32_e32 v34, 0
	s_and_saveexec_b64 s[14:15], s[12:13]
	s_cbranch_execz .LBB528_338
; %bb.333:
	s_movk_i32 s11, 0x80
	v_cmp_ne_u16_e64 s[12:13], s11, v28
	v_bfrev_b32_e32 v34, 1
	s_and_saveexec_b64 s[24:25], s[12:13]
	s_cbranch_execz .LBB528_337
; %bb.334:
	s_movk_i32 s11, 0x7f
	v_and_b32_e32 v35, 0x7f, v28
	v_cmp_ne_u32_e64 s[12:13], s11, v35
	v_mov_b32_e32 v34, 0x7f800001
	s_and_saveexec_b64 s[26:27], s[12:13]
	s_cbranch_execz .LBB528_336
; %bb.335:
	v_and_b32_e32 v34, 7, v28
	v_ffbh_u32_e32 v36, v34
	v_min_u32_e32 v39, 32, v36
	v_subrev_u32_e32 v36, 28, v39
	v_lshlrev_b64 v[36:37], v36, v[28:29]
	v_lshrrev_b32_e32 v38, 3, v35
	v_sub_u32_e32 v28, 29, v39
	v_and_b32_e32 v36, 7, v36
	v_cmp_gt_u32_e64 s[12:13], 8, v35
	v_cndmask_b32_e64 v28, v38, v28, s[12:13]
	v_cndmask_b32_e64 v34, v34, v36, s[12:13]
	v_lshlrev_b32_e32 v26, 16, v26
	v_bfrev_b32_e32 v35, 60
	v_lshlrev_b32_e32 v34, 20, v34
	v_and_b32_e32 v26, 0x80000000, v26
	v_lshl_add_u32 v28, v28, 23, v35
	v_or3_b32 v34, v26, v28, v34
.LBB528_336:
	s_or_b64 exec, exec, s[26:27]
.LBB528_337:
	s_or_b64 exec, exec, s[24:25]
.LBB528_338:
	s_or_b64 exec, exec, s[14:15]
	s_movk_i32 s11, 0xff
	v_and_b32_sdwa v28, v23, s11 dst_sel:DWORD dst_unused:UNUSED_PAD src0_sel:WORD_1 src1_sel:DWORD
	v_lshrrev_b32_e32 v26, 16, v23
	v_cmp_ne_u16_e64 s[12:13], 0, v28
	s_and_saveexec_b64 s[14:15], s[12:13]
	s_cbranch_execz .LBB528_344
; %bb.339:
	s_movk_i32 s11, 0x80
	v_cmp_ne_u16_e64 s[12:13], s11, v28
	v_bfrev_b32_e32 v33, 1
	s_and_saveexec_b64 s[24:25], s[12:13]
	s_cbranch_execz .LBB528_343
; %bb.340:
	v_bfe_u32 v28, v23, 16, 7
	s_movk_i32 s11, 0x7f
	v_cmp_ne_u32_e64 s[12:13], s11, v28
	v_mov_b32_e32 v33, 0x7f800001
	s_and_saveexec_b64 s[26:27], s[12:13]
	s_cbranch_execz .LBB528_342
; %bb.341:
	v_and_b32_e32 v33, 7, v26
	v_ffbh_u32_e32 v36, v33
	v_min_u32_e32 v38, 32, v36
	v_subrev_u32_e32 v36, 28, v38
	v_lshlrev_b64 v[36:37], v36, v[26:27]
	v_and_b32_e32 v36, 7, v36
	v_cmp_gt_u32_e64 s[12:13], 8, v28
	v_lshrrev_b32_e32 v35, 3, v28
	v_sub_u32_e32 v26, 29, v38
	v_cndmask_b32_e64 v28, v33, v36, s[12:13]
	v_mov_b32_e32 v33, 24
	v_cndmask_b32_e64 v26, v35, v26, s[12:13]
	v_lshlrev_b32_sdwa v33, v33, v23 dst_sel:DWORD dst_unused:UNUSED_PAD src0_sel:DWORD src1_sel:WORD_1
	v_bfrev_b32_e32 v35, 60
	v_lshlrev_b32_e32 v28, 20, v28
	v_and_b32_e32 v33, 0x80000000, v33
	v_lshl_add_u32 v26, v26, 23, v35
	v_or3_b32 v33, v33, v26, v28
.LBB528_342:
	s_or_b64 exec, exec, s[26:27]
.LBB528_343:
	s_or_b64 exec, exec, s[24:25]
.LBB528_344:
	s_or_b64 exec, exec, s[14:15]
	s_mov_b32 s12, -1
	s_mov_b32 s13, 0xffffff
	v_cmp_lt_u64_e64 s[12:13], s[12:13], v[22:23]
	v_mov_b32_e32 v28, 0
	v_mov_b32_e32 v26, 0
	s_and_saveexec_b64 s[14:15], s[12:13]
	s_cbranch_execz .LBB528_350
; %bb.345:
	v_lshrrev_b32_e32 v22, 24, v23
	s_movk_i32 s11, 0x80
	v_cmp_ne_u32_e64 s[12:13], s11, v22
	v_bfrev_b32_e32 v26, 1
	s_and_saveexec_b64 s[24:25], s[12:13]
	s_cbranch_execz .LBB528_349
; %bb.346:
	v_bfe_u32 v23, v23, 24, 7
	s_movk_i32 s11, 0x7f
	v_cmp_ne_u32_e64 s[12:13], s11, v23
	v_mov_b32_e32 v26, 0x7f800001
	s_and_saveexec_b64 s[26:27], s[12:13]
	s_cbranch_execz .LBB528_348
; %bb.347:
	v_and_b32_e32 v26, 7, v22
	v_ffbh_u32_e32 v36, v26
	v_min_u32_e32 v38, 32, v36
	v_subrev_u32_e32 v36, 28, v38
	v_lshlrev_b64 v[36:37], v36, v[22:23]
	v_lshrrev_b32_e32 v35, 3, v23
	v_sub_u32_e32 v37, 29, v38
	v_and_b32_e32 v36, 7, v36
	v_cmp_gt_u32_e64 s[12:13], 8, v23
	v_cndmask_b32_e64 v23, v35, v37, s[12:13]
	v_cndmask_b32_e64 v26, v26, v36, s[12:13]
	v_lshlrev_b32_e32 v22, 24, v22
	v_bfrev_b32_e32 v35, 60
	v_lshlrev_b32_e32 v26, 20, v26
	v_and_b32_e32 v22, 0x80000000, v22
	v_lshl_add_u32 v23, v23, 23, v35
	v_or3_b32 v26, v22, v23, v26
.LBB528_348:
	s_or_b64 exec, exec, s[26:27]
.LBB528_349:
	s_or_b64 exec, exec, s[24:25]
.LBB528_350:
	s_or_b64 exec, exec, s[14:15]
	v_cvt_pkrtz_f16_f32 v22, v30, v31
	v_cvt_pkrtz_f16_f32 v23, v29, v32
	;; [unrolled: 1-line block ×4, first 2 shown]
	v_mfma_f32_4x4x4f16 a[0:3], v[2:3], v[22:23], a[0:3] cbsz:4 abid:6
	v_cmp_ne_u16_sdwa s[12:13], v24, v28 src0_sel:BYTE_0 src1_sel:DWORD
	v_mfma_f32_4x4x4f16 a[0:3], v[4:5], v[30:31], a[0:3] cbsz:4 abid:6
	s_and_saveexec_b64 s[14:15], s[12:13]
	s_cbranch_execz .LBB528_356
; %bb.351:
	s_movk_i32 s11, 0x80
	v_cmp_ne_u16_sdwa s[12:13], v24, s11 src0_sel:BYTE_0 src1_sel:DWORD
	v_bfrev_b32_e32 v28, 1
	s_and_saveexec_b64 s[24:25], s[12:13]
	s_cbranch_execz .LBB528_355
; %bb.352:
	s_movk_i32 s11, 0x7f
	v_and_b32_e32 v22, 0x7f, v24
	v_cmp_ne_u32_e64 s[12:13], s11, v22
	v_mov_b32_e32 v28, 0x7f800001
	s_and_saveexec_b64 s[26:27], s[12:13]
	s_cbranch_execz .LBB528_354
; %bb.353:
	v_and_b32_e32 v23, 7, v24
	v_ffbh_u32_e32 v23, v23
	v_min_u32_e32 v23, 32, v23
	v_subrev_u32_e32 v27, 28, v23
	v_cmp_gt_u32_e64 s[12:13], 8, v22
	v_lshrrev_b32_e32 v26, 3, v22
	v_sub_u32_e32 v23, 29, v23
	v_cndmask_b32_e64 v22, 0, v27, s[12:13]
	v_cndmask_b32_e64 v26, v26, v23, s[12:13]
	v_lshlrev_b64 v[22:23], v22, v[24:25]
	v_lshlrev_b32_e32 v22, 20, v22
	v_lshlrev_b32_e32 v23, 24, v24
	v_bfrev_b32_e32 v27, 60
	v_and_b32_e32 v22, 0x700000, v22
	v_and_b32_e32 v23, 0x80000000, v23
	v_lshl_add_u32 v26, v26, 23, v27
	v_or3_b32 v28, v23, v26, v22
.LBB528_354:
	s_or_b64 exec, exec, s[26:27]
.LBB528_355:
	s_or_b64 exec, exec, s[24:25]
.LBB528_356:
	s_or_b64 exec, exec, s[14:15]
	v_lshrrev_b16_e32 v22, 8, v24
	v_cmp_ne_u16_e64 s[12:13], 0, v22
	v_mov_b32_e32 v27, 0
	v_mov_b32_e32 v29, 0
	s_and_saveexec_b64 s[14:15], s[12:13]
	s_cbranch_execz .LBB528_362
; %bb.357:
	s_movk_i32 s11, 0x80
	v_cmp_ne_u16_e64 s[12:13], s11, v22
	v_bfrev_b32_e32 v29, 1
	s_and_saveexec_b64 s[24:25], s[12:13]
	s_cbranch_execz .LBB528_361
; %bb.358:
	s_movk_i32 s11, 0x7f
	v_and_b32_e32 v23, 0x7f, v22
	v_cmp_ne_u32_e64 s[12:13], s11, v23
	v_mov_b32_e32 v29, 0x7f800001
	s_and_saveexec_b64 s[26:27], s[12:13]
	s_cbranch_execz .LBB528_360
; %bb.359:
	v_and_b32_e32 v26, 7, v22
	v_ffbh_u32_e32 v30, v26
	v_min_u32_e32 v32, 32, v30
	v_subrev_u32_e32 v30, 28, v32
	v_lshlrev_b64 v[30:31], v30, v[22:23]
	v_lshrrev_b32_e32 v29, 3, v23
	v_sub_u32_e32 v22, 29, v32
	v_and_b32_e32 v30, 7, v30
	v_cmp_gt_u32_e64 s[12:13], 8, v23
	v_cndmask_b32_e64 v22, v29, v22, s[12:13]
	v_cndmask_b32_e64 v23, v26, v30, s[12:13]
	v_lshlrev_b32_e32 v26, 16, v24
	v_bfrev_b32_e32 v29, 60
	v_lshlrev_b32_e32 v23, 20, v23
	v_and_b32_e32 v26, 0x80000000, v26
	v_lshl_add_u32 v22, v22, 23, v29
	v_or3_b32 v29, v26, v22, v23
.LBB528_360:
	s_or_b64 exec, exec, s[26:27]
.LBB528_361:
	s_or_b64 exec, exec, s[24:25]
.LBB528_362:
	s_or_b64 exec, exec, s[14:15]
	s_movk_i32 s11, 0xff
	v_and_b32_sdwa v23, v24, s11 dst_sel:DWORD dst_unused:UNUSED_PAD src0_sel:WORD_1 src1_sel:DWORD
	v_lshrrev_b32_e32 v22, 16, v24
	v_cmp_ne_u16_e64 s[12:13], 0, v23
	s_and_saveexec_b64 s[14:15], s[12:13]
	s_cbranch_execz .LBB528_368
; %bb.363:
	s_movk_i32 s11, 0x80
	v_cmp_ne_u16_e64 s[12:13], s11, v23
	v_bfrev_b32_e32 v27, 1
	s_and_saveexec_b64 s[24:25], s[12:13]
	s_cbranch_execz .LBB528_367
; %bb.364:
	v_bfe_u32 v23, v24, 16, 7
	s_movk_i32 s11, 0x7f
	v_cmp_ne_u32_e64 s[12:13], s11, v23
	v_mov_b32_e32 v27, 0x7f800001
	s_and_saveexec_b64 s[26:27], s[12:13]
	s_cbranch_execz .LBB528_366
; %bb.365:
	v_and_b32_e32 v30, 7, v22
	v_ffbh_u32_e32 v26, v30
	v_min_u32_e32 v32, 32, v26
	v_subrev_u32_e32 v26, 28, v32
	v_lshlrev_b64 v[26:27], v26, v[22:23]
	v_and_b32_e32 v26, 7, v26
	v_cmp_gt_u32_e64 s[12:13], 8, v23
	v_lshrrev_b32_e32 v31, 3, v23
	v_sub_u32_e32 v22, 29, v32
	v_cndmask_b32_e64 v23, v30, v26, s[12:13]
	v_mov_b32_e32 v26, 24
	v_cndmask_b32_e64 v22, v31, v22, s[12:13]
	v_lshlrev_b32_sdwa v26, v26, v24 dst_sel:DWORD dst_unused:UNUSED_PAD src0_sel:DWORD src1_sel:WORD_1
	v_bfrev_b32_e32 v27, 60
	v_lshlrev_b32_e32 v23, 20, v23
	v_and_b32_e32 v26, 0x80000000, v26
	v_lshl_add_u32 v22, v22, 23, v27
	v_or3_b32 v27, v26, v22, v23
.LBB528_366:
	s_or_b64 exec, exec, s[26:27]
.LBB528_367:
	s_or_b64 exec, exec, s[24:25]
.LBB528_368:
	s_or_b64 exec, exec, s[14:15]
	s_mov_b32 s11, 0xffffff
	v_cmp_lt_u32_e64 s[12:13], s11, v24
	v_mov_b32_e32 v23, 0
	v_mov_b32_e32 v30, 0
	s_and_saveexec_b64 s[14:15], s[12:13]
	s_cbranch_execz .LBB528_374
; %bb.369:
	v_lshrrev_b32_e32 v22, 24, v24
	s_movk_i32 s11, 0x80
	v_cmp_ne_u32_e64 s[12:13], s11, v22
	v_bfrev_b32_e32 v30, 1
	s_and_saveexec_b64 s[24:25], s[12:13]
	s_cbranch_execz .LBB528_373
; %bb.370:
	v_bfe_u32 v26, v24, 24, 7
	s_movk_i32 s11, 0x7f
	v_cmp_ne_u32_e64 s[12:13], s11, v26
	v_mov_b32_e32 v30, 0x7f800001
	s_and_saveexec_b64 s[26:27], s[12:13]
	s_cbranch_execz .LBB528_372
; %bb.371:
	v_and_b32_e32 v32, 7, v22
	v_ffbh_u32_e32 v30, v32
	v_min_u32_e32 v34, 32, v30
	v_subrev_u32_e32 v30, 28, v34
	v_lshlrev_b64 v[30:31], v30, v[22:23]
	v_lshrrev_b32_e32 v33, 3, v26
	v_sub_u32_e32 v31, 29, v34
	v_and_b32_e32 v30, 7, v30
	v_cmp_gt_u32_e64 s[12:13], 8, v26
	v_cndmask_b32_e64 v26, v33, v31, s[12:13]
	v_cndmask_b32_e64 v30, v32, v30, s[12:13]
	v_lshlrev_b32_e32 v22, 24, v22
	v_bfrev_b32_e32 v31, 60
	v_lshlrev_b32_e32 v30, 20, v30
	v_and_b32_e32 v22, 0x80000000, v22
	v_lshl_add_u32 v26, v26, 23, v31
	v_or3_b32 v30, v22, v26, v30
.LBB528_372:
	s_or_b64 exec, exec, s[26:27]
.LBB528_373:
	s_or_b64 exec, exec, s[24:25]
.LBB528_374:
	s_or_b64 exec, exec, s[14:15]
	v_mov_b32_e32 v22, v25
	v_cmp_ne_u16_sdwa s[12:13], v25, v23 src0_sel:BYTE_0 src1_sel:DWORD
	s_and_saveexec_b64 s[14:15], s[12:13]
	s_cbranch_execz .LBB528_380
; %bb.375:
	s_movk_i32 s11, 0x80
	v_cmp_ne_u16_sdwa s[12:13], v25, s11 src0_sel:BYTE_0 src1_sel:DWORD
	v_bfrev_b32_e32 v26, 1
	s_and_saveexec_b64 s[24:25], s[12:13]
	s_cbranch_execz .LBB528_379
; %bb.376:
	s_movk_i32 s11, 0x7f
	v_and_b32_e32 v31, 0x7f, v25
	v_cmp_ne_u32_e64 s[12:13], s11, v31
	v_mov_b32_e32 v26, 0x7f800001
	s_and_saveexec_b64 s[26:27], s[12:13]
	s_cbranch_execz .LBB528_378
; %bb.377:
	v_and_b32_e32 v26, 7, v25
	v_ffbh_u32_e32 v26, v26
	v_min_u32_e32 v26, 32, v26
	v_subrev_u32_e32 v33, 28, v26
	v_cmp_gt_u32_e64 s[12:13], 8, v31
	v_lshrrev_b32_e32 v32, 3, v31
	v_sub_u32_e32 v26, 29, v26
	v_cndmask_b32_e64 v31, 0, v33, s[12:13]
	v_cndmask_b32_e64 v26, v32, v26, s[12:13]
	v_lshlrev_b64 v[32:33], v31, v[22:23]
	v_lshlrev_b32_e32 v23, 20, v32
	v_lshlrev_b32_e32 v31, 24, v22
	v_bfrev_b32_e32 v32, 60
	v_and_b32_e32 v23, 0x700000, v23
	v_and_b32_e32 v31, 0x80000000, v31
	v_lshl_add_u32 v26, v26, 23, v32
	v_or3_b32 v26, v31, v26, v23
.LBB528_378:
	s_or_b64 exec, exec, s[26:27]
.LBB528_379:
	s_or_b64 exec, exec, s[24:25]
	v_mov_b32_e32 v23, v26
.LBB528_380:
	s_or_b64 exec, exec, s[14:15]
	v_lshrrev_b16_e32 v26, 8, v22
	v_cmp_ne_u16_e64 s[12:13], 0, v26
	v_mov_b32_e32 v31, 0
	v_mov_b32_e32 v32, 0
	s_and_saveexec_b64 s[14:15], s[12:13]
	s_cbranch_execz .LBB528_386
; %bb.381:
	s_movk_i32 s11, 0x80
	v_cmp_ne_u16_e64 s[12:13], s11, v26
	v_bfrev_b32_e32 v32, 1
	s_and_saveexec_b64 s[24:25], s[12:13]
	s_cbranch_execz .LBB528_385
; %bb.382:
	s_movk_i32 s11, 0x7f
	v_and_b32_e32 v33, 0x7f, v26
	v_cmp_ne_u32_e64 s[12:13], s11, v33
	v_mov_b32_e32 v32, 0x7f800001
	s_and_saveexec_b64 s[26:27], s[12:13]
	s_cbranch_execz .LBB528_384
; %bb.383:
	v_and_b32_e32 v32, 7, v26
	v_ffbh_u32_e32 v34, v32
	v_min_u32_e32 v37, 32, v34
	v_subrev_u32_e32 v34, 28, v37
	v_lshlrev_b64 v[34:35], v34, v[26:27]
	v_lshrrev_b32_e32 v36, 3, v33
	v_sub_u32_e32 v26, 29, v37
	v_and_b32_e32 v34, 7, v34
	v_cmp_gt_u32_e64 s[12:13], 8, v33
	v_cndmask_b32_e64 v26, v36, v26, s[12:13]
	v_cndmask_b32_e64 v32, v32, v34, s[12:13]
	v_lshlrev_b32_e32 v22, 16, v22
	v_bfrev_b32_e32 v33, 60
	v_lshlrev_b32_e32 v32, 20, v32
	v_and_b32_e32 v22, 0x80000000, v22
	v_lshl_add_u32 v26, v26, 23, v33
	v_or3_b32 v32, v22, v26, v32
.LBB528_384:
	s_or_b64 exec, exec, s[26:27]
.LBB528_385:
	s_or_b64 exec, exec, s[24:25]
.LBB528_386:
	s_or_b64 exec, exec, s[14:15]
	s_movk_i32 s11, 0xff
	v_and_b32_sdwa v26, v25, s11 dst_sel:DWORD dst_unused:UNUSED_PAD src0_sel:WORD_1 src1_sel:DWORD
	v_lshrrev_b32_e32 v22, 16, v25
	v_cmp_ne_u16_e64 s[12:13], 0, v26
	s_and_saveexec_b64 s[14:15], s[12:13]
	s_cbranch_execz .LBB528_392
; %bb.387:
	s_movk_i32 s11, 0x80
	v_cmp_ne_u16_e64 s[12:13], s11, v26
	v_bfrev_b32_e32 v31, 1
	s_and_saveexec_b64 s[24:25], s[12:13]
	s_cbranch_execz .LBB528_391
; %bb.388:
	v_bfe_u32 v26, v25, 16, 7
	s_movk_i32 s11, 0x7f
	v_cmp_ne_u32_e64 s[12:13], s11, v26
	v_mov_b32_e32 v31, 0x7f800001
	s_and_saveexec_b64 s[26:27], s[12:13]
	s_cbranch_execz .LBB528_390
; %bb.389:
	v_and_b32_e32 v31, 7, v22
	v_ffbh_u32_e32 v34, v31
	v_min_u32_e32 v36, 32, v34
	v_subrev_u32_e32 v34, 28, v36
	v_lshlrev_b64 v[34:35], v34, v[22:23]
	v_and_b32_e32 v34, 7, v34
	v_cmp_gt_u32_e64 s[12:13], 8, v26
	v_lshrrev_b32_e32 v33, 3, v26
	v_sub_u32_e32 v22, 29, v36
	v_cndmask_b32_e64 v26, v31, v34, s[12:13]
	v_mov_b32_e32 v31, 24
	v_cndmask_b32_e64 v22, v33, v22, s[12:13]
	v_lshlrev_b32_sdwa v31, v31, v25 dst_sel:DWORD dst_unused:UNUSED_PAD src0_sel:DWORD src1_sel:WORD_1
	v_bfrev_b32_e32 v33, 60
	v_lshlrev_b32_e32 v26, 20, v26
	v_and_b32_e32 v31, 0x80000000, v31
	v_lshl_add_u32 v22, v22, 23, v33
	v_or3_b32 v31, v31, v22, v26
.LBB528_390:
	s_or_b64 exec, exec, s[26:27]
.LBB528_391:
	s_or_b64 exec, exec, s[24:25]
.LBB528_392:
	s_or_b64 exec, exec, s[14:15]
	s_mov_b32 s12, -1
	s_mov_b32 s13, 0xffffff
	v_cmp_lt_u64_e64 s[12:13], s[12:13], v[24:25]
	v_mov_b32_e32 v26, 0
	v_mov_b32_e32 v24, 0
	s_and_saveexec_b64 s[14:15], s[12:13]
	s_cbranch_execz .LBB528_398
; %bb.393:
	v_lshrrev_b32_e32 v22, 24, v25
	s_movk_i32 s11, 0x80
	v_cmp_ne_u32_e64 s[12:13], s11, v22
	v_bfrev_b32_e32 v24, 1
	s_and_saveexec_b64 s[24:25], s[12:13]
	s_cbranch_execz .LBB528_397
; %bb.394:
	v_bfe_u32 v25, v25, 24, 7
	s_movk_i32 s11, 0x7f
	v_cmp_ne_u32_e64 s[12:13], s11, v25
	v_mov_b32_e32 v24, 0x7f800001
	s_and_saveexec_b64 s[26:27], s[12:13]
	s_cbranch_execz .LBB528_396
; %bb.395:
	v_and_b32_e32 v24, 7, v22
	v_ffbh_u32_e32 v34, v24
	v_min_u32_e32 v36, 32, v34
	v_subrev_u32_e32 v34, 28, v36
	v_lshlrev_b64 v[34:35], v34, v[22:23]
	v_lshrrev_b32_e32 v33, 3, v25
	v_sub_u32_e32 v35, 29, v36
	v_and_b32_e32 v34, 7, v34
	v_cmp_gt_u32_e64 s[12:13], 8, v25
	v_cndmask_b32_e64 v25, v33, v35, s[12:13]
	v_cndmask_b32_e64 v24, v24, v34, s[12:13]
	v_lshlrev_b32_e32 v22, 24, v22
	v_bfrev_b32_e32 v33, 60
	v_lshlrev_b32_e32 v24, 20, v24
	v_and_b32_e32 v22, 0x80000000, v22
	v_lshl_add_u32 v25, v25, 23, v33
	v_or3_b32 v24, v22, v25, v24
.LBB528_396:
	s_or_b64 exec, exec, s[26:27]
.LBB528_397:
	s_or_b64 exec, exec, s[24:25]
.LBB528_398:
	s_or_b64 exec, exec, s[14:15]
	v_cvt_pkrtz_f16_f32 v28, v28, v29
	v_cvt_pkrtz_f16_f32 v29, v27, v30
	;; [unrolled: 1-line block ×4, first 2 shown]
	v_mfma_f32_4x4x4f16 a[0:3], v[2:3], v[28:29], a[0:3] cbsz:4 abid:7
	s_waitcnt vmcnt(31)
	v_cmp_ne_u16_sdwa s[12:13], v18, v26 src0_sel:BYTE_0 src1_sel:DWORD
	v_mfma_f32_4x4x4f16 a[0:3], v[4:5], v[22:23], a[0:3] cbsz:4 abid:7
	s_and_saveexec_b64 s[14:15], s[12:13]
	s_cbranch_execz .LBB528_404
; %bb.399:
	s_movk_i32 s11, 0x80
	v_cmp_ne_u16_sdwa s[12:13], v18, s11 src0_sel:BYTE_0 src1_sel:DWORD
	v_bfrev_b32_e32 v26, 1
	s_and_saveexec_b64 s[24:25], s[12:13]
	s_cbranch_execz .LBB528_403
; %bb.400:
	s_movk_i32 s11, 0x7f
	v_and_b32_e32 v22, 0x7f, v18
	v_cmp_ne_u32_e64 s[12:13], s11, v22
	v_mov_b32_e32 v26, 0x7f800001
	s_and_saveexec_b64 s[26:27], s[12:13]
	s_cbranch_execz .LBB528_402
; %bb.401:
	v_and_b32_e32 v23, 7, v18
	v_ffbh_u32_e32 v23, v23
	v_min_u32_e32 v23, 32, v23
	v_subrev_u32_e32 v25, 28, v23
	v_cmp_gt_u32_e64 s[12:13], 8, v22
	v_lshrrev_b32_e32 v24, 3, v22
	v_sub_u32_e32 v23, 29, v23
	v_cndmask_b32_e64 v22, 0, v25, s[12:13]
	v_cndmask_b32_e64 v24, v24, v23, s[12:13]
	v_lshlrev_b64 v[22:23], v22, v[18:19]
	v_lshlrev_b32_e32 v22, 20, v22
	v_lshlrev_b32_e32 v23, 24, v18
	v_bfrev_b32_e32 v25, 60
	v_and_b32_e32 v22, 0x700000, v22
	v_and_b32_e32 v23, 0x80000000, v23
	v_lshl_add_u32 v24, v24, 23, v25
	v_or3_b32 v26, v23, v24, v22
.LBB528_402:
	s_or_b64 exec, exec, s[26:27]
.LBB528_403:
	s_or_b64 exec, exec, s[24:25]
.LBB528_404:
	s_or_b64 exec, exec, s[14:15]
	v_lshrrev_b16_e32 v22, 8, v18
	v_cmp_ne_u16_e64 s[12:13], 0, v22
	v_mov_b32_e32 v25, 0
	v_mov_b32_e32 v27, 0
	s_and_saveexec_b64 s[14:15], s[12:13]
	s_cbranch_execz .LBB528_410
; %bb.405:
	s_movk_i32 s11, 0x80
	v_cmp_ne_u16_e64 s[12:13], s11, v22
	v_bfrev_b32_e32 v27, 1
	s_and_saveexec_b64 s[24:25], s[12:13]
	s_cbranch_execz .LBB528_409
; %bb.406:
	s_movk_i32 s11, 0x7f
	v_and_b32_e32 v23, 0x7f, v22
	v_cmp_ne_u32_e64 s[12:13], s11, v23
	v_mov_b32_e32 v27, 0x7f800001
	s_and_saveexec_b64 s[26:27], s[12:13]
	s_cbranch_execz .LBB528_408
; %bb.407:
	v_and_b32_e32 v24, 7, v22
	v_ffbh_u32_e32 v28, v24
	v_min_u32_e32 v30, 32, v28
	v_subrev_u32_e32 v28, 28, v30
	v_lshlrev_b64 v[28:29], v28, v[22:23]
	v_lshrrev_b32_e32 v27, 3, v23
	v_sub_u32_e32 v22, 29, v30
	v_and_b32_e32 v28, 7, v28
	v_cmp_gt_u32_e64 s[12:13], 8, v23
	v_cndmask_b32_e64 v22, v27, v22, s[12:13]
	v_cndmask_b32_e64 v23, v24, v28, s[12:13]
	v_lshlrev_b32_e32 v24, 16, v18
	v_bfrev_b32_e32 v27, 60
	v_lshlrev_b32_e32 v23, 20, v23
	v_and_b32_e32 v24, 0x80000000, v24
	v_lshl_add_u32 v22, v22, 23, v27
	v_or3_b32 v27, v24, v22, v23
.LBB528_408:
	s_or_b64 exec, exec, s[26:27]
.LBB528_409:
	s_or_b64 exec, exec, s[24:25]
.LBB528_410:
	s_or_b64 exec, exec, s[14:15]
	s_movk_i32 s11, 0xff
	v_and_b32_sdwa v23, v18, s11 dst_sel:DWORD dst_unused:UNUSED_PAD src0_sel:WORD_1 src1_sel:DWORD
	v_lshrrev_b32_e32 v22, 16, v18
	v_cmp_ne_u16_e64 s[12:13], 0, v23
	s_and_saveexec_b64 s[14:15], s[12:13]
	s_cbranch_execz .LBB528_416
; %bb.411:
	s_movk_i32 s11, 0x80
	v_cmp_ne_u16_e64 s[12:13], s11, v23
	v_bfrev_b32_e32 v25, 1
	s_and_saveexec_b64 s[24:25], s[12:13]
	s_cbranch_execz .LBB528_415
; %bb.412:
	v_bfe_u32 v23, v18, 16, 7
	s_movk_i32 s11, 0x7f
	v_cmp_ne_u32_e64 s[12:13], s11, v23
	v_mov_b32_e32 v25, 0x7f800001
	s_and_saveexec_b64 s[26:27], s[12:13]
	s_cbranch_execz .LBB528_414
; %bb.413:
	v_and_b32_e32 v28, 7, v22
	v_ffbh_u32_e32 v24, v28
	v_min_u32_e32 v30, 32, v24
	v_subrev_u32_e32 v24, 28, v30
	v_lshlrev_b64 v[24:25], v24, v[22:23]
	v_and_b32_e32 v24, 7, v24
	v_cmp_gt_u32_e64 s[12:13], 8, v23
	v_lshrrev_b32_e32 v29, 3, v23
	v_sub_u32_e32 v22, 29, v30
	v_cndmask_b32_e64 v23, v28, v24, s[12:13]
	v_mov_b32_e32 v24, 24
	v_cndmask_b32_e64 v22, v29, v22, s[12:13]
	v_lshlrev_b32_sdwa v24, v24, v18 dst_sel:DWORD dst_unused:UNUSED_PAD src0_sel:DWORD src1_sel:WORD_1
	v_bfrev_b32_e32 v25, 60
	v_lshlrev_b32_e32 v23, 20, v23
	v_and_b32_e32 v24, 0x80000000, v24
	v_lshl_add_u32 v22, v22, 23, v25
	v_or3_b32 v25, v24, v22, v23
.LBB528_414:
	s_or_b64 exec, exec, s[26:27]
.LBB528_415:
	s_or_b64 exec, exec, s[24:25]
.LBB528_416:
	s_or_b64 exec, exec, s[14:15]
	s_mov_b32 s11, 0xffffff
	v_cmp_lt_u32_e64 s[12:13], s11, v18
	v_mov_b32_e32 v23, 0
	v_mov_b32_e32 v28, 0
	s_and_saveexec_b64 s[14:15], s[12:13]
	s_cbranch_execz .LBB528_422
; %bb.417:
	v_lshrrev_b32_e32 v22, 24, v18
	s_movk_i32 s11, 0x80
	v_cmp_ne_u32_e64 s[12:13], s11, v22
	v_bfrev_b32_e32 v28, 1
	s_and_saveexec_b64 s[24:25], s[12:13]
	s_cbranch_execz .LBB528_421
; %bb.418:
	v_bfe_u32 v24, v18, 24, 7
	s_movk_i32 s11, 0x7f
	v_cmp_ne_u32_e64 s[12:13], s11, v24
	v_mov_b32_e32 v28, 0x7f800001
	s_and_saveexec_b64 s[26:27], s[12:13]
	s_cbranch_execz .LBB528_420
; %bb.419:
	v_and_b32_e32 v30, 7, v22
	v_ffbh_u32_e32 v28, v30
	v_min_u32_e32 v32, 32, v28
	v_subrev_u32_e32 v28, 28, v32
	v_lshlrev_b64 v[28:29], v28, v[22:23]
	v_lshrrev_b32_e32 v31, 3, v24
	v_sub_u32_e32 v29, 29, v32
	v_and_b32_e32 v28, 7, v28
	v_cmp_gt_u32_e64 s[12:13], 8, v24
	v_cndmask_b32_e64 v24, v31, v29, s[12:13]
	v_cndmask_b32_e64 v28, v30, v28, s[12:13]
	v_lshlrev_b32_e32 v22, 24, v22
	v_bfrev_b32_e32 v29, 60
	v_lshlrev_b32_e32 v28, 20, v28
	v_and_b32_e32 v22, 0x80000000, v22
	v_lshl_add_u32 v24, v24, 23, v29
	v_or3_b32 v28, v22, v24, v28
.LBB528_420:
	s_or_b64 exec, exec, s[26:27]
.LBB528_421:
	s_or_b64 exec, exec, s[24:25]
.LBB528_422:
	s_or_b64 exec, exec, s[14:15]
	v_mov_b32_e32 v22, v19
	v_cmp_ne_u16_sdwa s[12:13], v19, v23 src0_sel:BYTE_0 src1_sel:DWORD
	s_and_saveexec_b64 s[14:15], s[12:13]
	s_cbranch_execz .LBB528_428
; %bb.423:
	s_movk_i32 s11, 0x80
	v_cmp_ne_u16_sdwa s[12:13], v19, s11 src0_sel:BYTE_0 src1_sel:DWORD
	v_bfrev_b32_e32 v24, 1
	s_and_saveexec_b64 s[24:25], s[12:13]
	s_cbranch_execz .LBB528_427
; %bb.424:
	s_movk_i32 s11, 0x7f
	v_and_b32_e32 v29, 0x7f, v19
	v_cmp_ne_u32_e64 s[12:13], s11, v29
	v_mov_b32_e32 v24, 0x7f800001
	s_and_saveexec_b64 s[26:27], s[12:13]
	s_cbranch_execz .LBB528_426
; %bb.425:
	v_and_b32_e32 v24, 7, v19
	v_ffbh_u32_e32 v24, v24
	v_min_u32_e32 v24, 32, v24
	v_subrev_u32_e32 v31, 28, v24
	v_cmp_gt_u32_e64 s[12:13], 8, v29
	v_lshrrev_b32_e32 v30, 3, v29
	v_sub_u32_e32 v24, 29, v24
	v_cndmask_b32_e64 v29, 0, v31, s[12:13]
	v_cndmask_b32_e64 v24, v30, v24, s[12:13]
	v_lshlrev_b64 v[30:31], v29, v[22:23]
	v_lshlrev_b32_e32 v23, 20, v30
	v_lshlrev_b32_e32 v29, 24, v22
	v_bfrev_b32_e32 v30, 60
	v_and_b32_e32 v23, 0x700000, v23
	v_and_b32_e32 v29, 0x80000000, v29
	v_lshl_add_u32 v24, v24, 23, v30
	v_or3_b32 v24, v29, v24, v23
.LBB528_426:
	s_or_b64 exec, exec, s[26:27]
.LBB528_427:
	s_or_b64 exec, exec, s[24:25]
	v_mov_b32_e32 v23, v24
.LBB528_428:
	s_or_b64 exec, exec, s[14:15]
	v_lshrrev_b16_e32 v24, 8, v22
	v_cmp_ne_u16_e64 s[12:13], 0, v24
	v_mov_b32_e32 v29, 0
	v_mov_b32_e32 v30, 0
	s_and_saveexec_b64 s[14:15], s[12:13]
	s_cbranch_execz .LBB528_434
; %bb.429:
	s_movk_i32 s11, 0x80
	v_cmp_ne_u16_e64 s[12:13], s11, v24
	v_bfrev_b32_e32 v30, 1
	s_and_saveexec_b64 s[24:25], s[12:13]
	s_cbranch_execz .LBB528_433
; %bb.430:
	s_movk_i32 s11, 0x7f
	v_and_b32_e32 v31, 0x7f, v24
	v_cmp_ne_u32_e64 s[12:13], s11, v31
	v_mov_b32_e32 v30, 0x7f800001
	s_and_saveexec_b64 s[26:27], s[12:13]
	s_cbranch_execz .LBB528_432
; %bb.431:
	v_and_b32_e32 v30, 7, v24
	v_ffbh_u32_e32 v32, v30
	v_min_u32_e32 v35, 32, v32
	v_subrev_u32_e32 v32, 28, v35
	v_lshlrev_b64 v[32:33], v32, v[24:25]
	v_lshrrev_b32_e32 v34, 3, v31
	v_sub_u32_e32 v24, 29, v35
	v_and_b32_e32 v32, 7, v32
	v_cmp_gt_u32_e64 s[12:13], 8, v31
	v_cndmask_b32_e64 v24, v34, v24, s[12:13]
	v_cndmask_b32_e64 v30, v30, v32, s[12:13]
	v_lshlrev_b32_e32 v22, 16, v22
	v_bfrev_b32_e32 v31, 60
	v_lshlrev_b32_e32 v30, 20, v30
	v_and_b32_e32 v22, 0x80000000, v22
	v_lshl_add_u32 v24, v24, 23, v31
	v_or3_b32 v30, v22, v24, v30
.LBB528_432:
	s_or_b64 exec, exec, s[26:27]
.LBB528_433:
	s_or_b64 exec, exec, s[24:25]
.LBB528_434:
	s_or_b64 exec, exec, s[14:15]
	s_movk_i32 s11, 0xff
	v_and_b32_sdwa v24, v19, s11 dst_sel:DWORD dst_unused:UNUSED_PAD src0_sel:WORD_1 src1_sel:DWORD
	v_lshrrev_b32_e32 v22, 16, v19
	v_cmp_ne_u16_e64 s[12:13], 0, v24
	s_and_saveexec_b64 s[14:15], s[12:13]
	s_cbranch_execz .LBB528_440
; %bb.435:
	s_movk_i32 s11, 0x80
	v_cmp_ne_u16_e64 s[12:13], s11, v24
	v_bfrev_b32_e32 v29, 1
	s_and_saveexec_b64 s[24:25], s[12:13]
	s_cbranch_execz .LBB528_439
; %bb.436:
	v_bfe_u32 v24, v19, 16, 7
	s_movk_i32 s11, 0x7f
	v_cmp_ne_u32_e64 s[12:13], s11, v24
	v_mov_b32_e32 v29, 0x7f800001
	s_and_saveexec_b64 s[26:27], s[12:13]
	s_cbranch_execz .LBB528_438
; %bb.437:
	v_and_b32_e32 v29, 7, v22
	v_ffbh_u32_e32 v32, v29
	v_min_u32_e32 v34, 32, v32
	v_subrev_u32_e32 v32, 28, v34
	v_lshlrev_b64 v[32:33], v32, v[22:23]
	v_and_b32_e32 v32, 7, v32
	v_cmp_gt_u32_e64 s[12:13], 8, v24
	v_lshrrev_b32_e32 v31, 3, v24
	v_sub_u32_e32 v22, 29, v34
	v_cndmask_b32_e64 v24, v29, v32, s[12:13]
	v_mov_b32_e32 v29, 24
	v_cndmask_b32_e64 v22, v31, v22, s[12:13]
	v_lshlrev_b32_sdwa v29, v29, v19 dst_sel:DWORD dst_unused:UNUSED_PAD src0_sel:DWORD src1_sel:WORD_1
	v_bfrev_b32_e32 v31, 60
	v_lshlrev_b32_e32 v24, 20, v24
	v_and_b32_e32 v29, 0x80000000, v29
	v_lshl_add_u32 v22, v22, 23, v31
	v_or3_b32 v29, v29, v22, v24
.LBB528_438:
	s_or_b64 exec, exec, s[26:27]
.LBB528_439:
	s_or_b64 exec, exec, s[24:25]
.LBB528_440:
	s_or_b64 exec, exec, s[14:15]
	s_mov_b32 s12, -1
	s_mov_b32 s13, 0xffffff
	v_cmp_lt_u64_e64 s[12:13], s[12:13], v[18:19]
	v_mov_b32_e32 v24, 0
	v_mov_b32_e32 v22, 0
	s_and_saveexec_b64 s[14:15], s[12:13]
	s_cbranch_execz .LBB528_446
; %bb.441:
	v_lshrrev_b32_e32 v18, 24, v19
	s_movk_i32 s11, 0x80
	v_cmp_ne_u32_e64 s[12:13], s11, v18
	v_bfrev_b32_e32 v22, 1
	s_and_saveexec_b64 s[24:25], s[12:13]
	s_cbranch_execz .LBB528_445
; %bb.442:
	v_bfe_u32 v19, v19, 24, 7
	s_movk_i32 s11, 0x7f
	v_cmp_ne_u32_e64 s[12:13], s11, v19
	v_mov_b32_e32 v22, 0x7f800001
	s_and_saveexec_b64 s[26:27], s[12:13]
	s_cbranch_execz .LBB528_444
; %bb.443:
	v_and_b32_e32 v22, 7, v18
	v_ffbh_u32_e32 v32, v22
	v_min_u32_e32 v34, 32, v32
	v_subrev_u32_e32 v32, 28, v34
	v_lshlrev_b64 v[32:33], v32, v[18:19]
	v_lshrrev_b32_e32 v31, 3, v19
	v_sub_u32_e32 v33, 29, v34
	v_and_b32_e32 v32, 7, v32
	v_cmp_gt_u32_e64 s[12:13], 8, v19
	v_cndmask_b32_e64 v19, v31, v33, s[12:13]
	v_cndmask_b32_e64 v22, v22, v32, s[12:13]
	v_lshlrev_b32_e32 v18, 24, v18
	v_bfrev_b32_e32 v31, 60
	v_lshlrev_b32_e32 v22, 20, v22
	v_and_b32_e32 v18, 0x80000000, v18
	v_lshl_add_u32 v19, v19, 23, v31
	v_or3_b32 v22, v18, v19, v22
.LBB528_444:
	s_or_b64 exec, exec, s[26:27]
.LBB528_445:
	s_or_b64 exec, exec, s[24:25]
.LBB528_446:
	s_or_b64 exec, exec, s[14:15]
	v_cvt_pkrtz_f16_f32 v18, v26, v27
	v_cvt_pkrtz_f16_f32 v19, v25, v28
	;; [unrolled: 1-line block ×4, first 2 shown]
	v_mfma_f32_4x4x4f16 a[0:3], v[2:3], v[18:19], a[0:3] cbsz:4 abid:8
	v_cmp_ne_u16_sdwa s[12:13], v20, v24 src0_sel:BYTE_0 src1_sel:DWORD
	v_mfma_f32_4x4x4f16 a[0:3], v[4:5], v[26:27], a[0:3] cbsz:4 abid:8
	s_and_saveexec_b64 s[14:15], s[12:13]
	s_cbranch_execz .LBB528_452
; %bb.447:
	s_movk_i32 s11, 0x80
	v_cmp_ne_u16_sdwa s[12:13], v20, s11 src0_sel:BYTE_0 src1_sel:DWORD
	v_bfrev_b32_e32 v24, 1
	s_and_saveexec_b64 s[24:25], s[12:13]
	s_cbranch_execz .LBB528_451
; %bb.448:
	s_movk_i32 s11, 0x7f
	v_and_b32_e32 v18, 0x7f, v20
	v_cmp_ne_u32_e64 s[12:13], s11, v18
	v_mov_b32_e32 v24, 0x7f800001
	s_and_saveexec_b64 s[26:27], s[12:13]
	s_cbranch_execz .LBB528_450
; %bb.449:
	v_and_b32_e32 v19, 7, v20
	v_ffbh_u32_e32 v19, v19
	v_min_u32_e32 v19, 32, v19
	v_subrev_u32_e32 v23, 28, v19
	v_cmp_gt_u32_e64 s[12:13], 8, v18
	v_lshrrev_b32_e32 v22, 3, v18
	v_sub_u32_e32 v19, 29, v19
	v_cndmask_b32_e64 v18, 0, v23, s[12:13]
	v_cndmask_b32_e64 v22, v22, v19, s[12:13]
	v_lshlrev_b64 v[18:19], v18, v[20:21]
	v_lshlrev_b32_e32 v18, 20, v18
	v_lshlrev_b32_e32 v19, 24, v20
	v_bfrev_b32_e32 v23, 60
	v_and_b32_e32 v18, 0x700000, v18
	v_and_b32_e32 v19, 0x80000000, v19
	v_lshl_add_u32 v22, v22, 23, v23
	v_or3_b32 v24, v19, v22, v18
.LBB528_450:
	s_or_b64 exec, exec, s[26:27]
.LBB528_451:
	s_or_b64 exec, exec, s[24:25]
.LBB528_452:
	s_or_b64 exec, exec, s[14:15]
	v_lshrrev_b16_e32 v18, 8, v20
	v_cmp_ne_u16_e64 s[12:13], 0, v18
	v_mov_b32_e32 v23, 0
	v_mov_b32_e32 v25, 0
	s_and_saveexec_b64 s[14:15], s[12:13]
	s_cbranch_execz .LBB528_458
; %bb.453:
	s_movk_i32 s11, 0x80
	v_cmp_ne_u16_e64 s[12:13], s11, v18
	v_bfrev_b32_e32 v25, 1
	s_and_saveexec_b64 s[24:25], s[12:13]
	s_cbranch_execz .LBB528_457
; %bb.454:
	s_movk_i32 s11, 0x7f
	v_and_b32_e32 v19, 0x7f, v18
	v_cmp_ne_u32_e64 s[12:13], s11, v19
	v_mov_b32_e32 v25, 0x7f800001
	s_and_saveexec_b64 s[26:27], s[12:13]
	s_cbranch_execz .LBB528_456
; %bb.455:
	v_and_b32_e32 v22, 7, v18
	v_ffbh_u32_e32 v26, v22
	v_min_u32_e32 v28, 32, v26
	v_subrev_u32_e32 v26, 28, v28
	v_lshlrev_b64 v[26:27], v26, v[18:19]
	v_lshrrev_b32_e32 v25, 3, v19
	v_sub_u32_e32 v18, 29, v28
	v_and_b32_e32 v26, 7, v26
	v_cmp_gt_u32_e64 s[12:13], 8, v19
	v_cndmask_b32_e64 v18, v25, v18, s[12:13]
	v_cndmask_b32_e64 v19, v22, v26, s[12:13]
	v_lshlrev_b32_e32 v22, 16, v20
	v_bfrev_b32_e32 v25, 60
	v_lshlrev_b32_e32 v19, 20, v19
	v_and_b32_e32 v22, 0x80000000, v22
	v_lshl_add_u32 v18, v18, 23, v25
	v_or3_b32 v25, v22, v18, v19
.LBB528_456:
	s_or_b64 exec, exec, s[26:27]
.LBB528_457:
	s_or_b64 exec, exec, s[24:25]
.LBB528_458:
	s_or_b64 exec, exec, s[14:15]
	s_movk_i32 s11, 0xff
	v_and_b32_sdwa v19, v20, s11 dst_sel:DWORD dst_unused:UNUSED_PAD src0_sel:WORD_1 src1_sel:DWORD
	v_lshrrev_b32_e32 v18, 16, v20
	v_cmp_ne_u16_e64 s[12:13], 0, v19
	s_and_saveexec_b64 s[14:15], s[12:13]
	s_cbranch_execz .LBB528_464
; %bb.459:
	s_movk_i32 s11, 0x80
	v_cmp_ne_u16_e64 s[12:13], s11, v19
	v_bfrev_b32_e32 v23, 1
	s_and_saveexec_b64 s[24:25], s[12:13]
	s_cbranch_execz .LBB528_463
; %bb.460:
	v_bfe_u32 v19, v20, 16, 7
	s_movk_i32 s11, 0x7f
	v_cmp_ne_u32_e64 s[12:13], s11, v19
	v_mov_b32_e32 v23, 0x7f800001
	s_and_saveexec_b64 s[26:27], s[12:13]
	s_cbranch_execz .LBB528_462
; %bb.461:
	v_and_b32_e32 v26, 7, v18
	v_ffbh_u32_e32 v22, v26
	v_min_u32_e32 v28, 32, v22
	v_subrev_u32_e32 v22, 28, v28
	v_lshlrev_b64 v[22:23], v22, v[18:19]
	v_and_b32_e32 v22, 7, v22
	v_cmp_gt_u32_e64 s[12:13], 8, v19
	v_lshrrev_b32_e32 v27, 3, v19
	v_sub_u32_e32 v18, 29, v28
	v_cndmask_b32_e64 v19, v26, v22, s[12:13]
	v_mov_b32_e32 v22, 24
	v_cndmask_b32_e64 v18, v27, v18, s[12:13]
	v_lshlrev_b32_sdwa v22, v22, v20 dst_sel:DWORD dst_unused:UNUSED_PAD src0_sel:DWORD src1_sel:WORD_1
	v_bfrev_b32_e32 v23, 60
	v_lshlrev_b32_e32 v19, 20, v19
	v_and_b32_e32 v22, 0x80000000, v22
	v_lshl_add_u32 v18, v18, 23, v23
	v_or3_b32 v23, v22, v18, v19
.LBB528_462:
	s_or_b64 exec, exec, s[26:27]
.LBB528_463:
	s_or_b64 exec, exec, s[24:25]
.LBB528_464:
	s_or_b64 exec, exec, s[14:15]
	s_mov_b32 s11, 0xffffff
	v_cmp_lt_u32_e64 s[12:13], s11, v20
	v_mov_b32_e32 v19, 0
	v_mov_b32_e32 v26, 0
	s_and_saveexec_b64 s[14:15], s[12:13]
	s_cbranch_execz .LBB528_470
; %bb.465:
	v_lshrrev_b32_e32 v18, 24, v20
	s_movk_i32 s11, 0x80
	v_cmp_ne_u32_e64 s[12:13], s11, v18
	v_bfrev_b32_e32 v26, 1
	s_and_saveexec_b64 s[24:25], s[12:13]
	s_cbranch_execz .LBB528_469
; %bb.466:
	v_bfe_u32 v22, v20, 24, 7
	s_movk_i32 s11, 0x7f
	v_cmp_ne_u32_e64 s[12:13], s11, v22
	v_mov_b32_e32 v26, 0x7f800001
	s_and_saveexec_b64 s[26:27], s[12:13]
	s_cbranch_execz .LBB528_468
; %bb.467:
	v_and_b32_e32 v28, 7, v18
	v_ffbh_u32_e32 v26, v28
	v_min_u32_e32 v30, 32, v26
	v_subrev_u32_e32 v26, 28, v30
	v_lshlrev_b64 v[26:27], v26, v[18:19]
	v_lshrrev_b32_e32 v29, 3, v22
	v_sub_u32_e32 v27, 29, v30
	v_and_b32_e32 v26, 7, v26
	v_cmp_gt_u32_e64 s[12:13], 8, v22
	v_cndmask_b32_e64 v22, v29, v27, s[12:13]
	v_cndmask_b32_e64 v26, v28, v26, s[12:13]
	v_lshlrev_b32_e32 v18, 24, v18
	v_bfrev_b32_e32 v27, 60
	v_lshlrev_b32_e32 v26, 20, v26
	v_and_b32_e32 v18, 0x80000000, v18
	v_lshl_add_u32 v22, v22, 23, v27
	v_or3_b32 v26, v18, v22, v26
.LBB528_468:
	s_or_b64 exec, exec, s[26:27]
.LBB528_469:
	s_or_b64 exec, exec, s[24:25]
.LBB528_470:
	s_or_b64 exec, exec, s[14:15]
	v_mov_b32_e32 v18, v21
	v_cmp_ne_u16_sdwa s[12:13], v21, v19 src0_sel:BYTE_0 src1_sel:DWORD
	s_and_saveexec_b64 s[14:15], s[12:13]
	s_cbranch_execz .LBB528_476
; %bb.471:
	s_movk_i32 s11, 0x80
	v_cmp_ne_u16_sdwa s[12:13], v21, s11 src0_sel:BYTE_0 src1_sel:DWORD
	v_bfrev_b32_e32 v22, 1
	s_and_saveexec_b64 s[24:25], s[12:13]
	s_cbranch_execz .LBB528_475
; %bb.472:
	s_movk_i32 s11, 0x7f
	v_and_b32_e32 v27, 0x7f, v21
	v_cmp_ne_u32_e64 s[12:13], s11, v27
	v_mov_b32_e32 v22, 0x7f800001
	s_and_saveexec_b64 s[26:27], s[12:13]
	s_cbranch_execz .LBB528_474
; %bb.473:
	v_and_b32_e32 v22, 7, v21
	v_ffbh_u32_e32 v22, v22
	v_min_u32_e32 v22, 32, v22
	v_subrev_u32_e32 v29, 28, v22
	v_cmp_gt_u32_e64 s[12:13], 8, v27
	v_lshrrev_b32_e32 v28, 3, v27
	v_sub_u32_e32 v22, 29, v22
	v_cndmask_b32_e64 v27, 0, v29, s[12:13]
	v_cndmask_b32_e64 v22, v28, v22, s[12:13]
	v_lshlrev_b64 v[28:29], v27, v[18:19]
	v_lshlrev_b32_e32 v19, 20, v28
	v_lshlrev_b32_e32 v27, 24, v18
	v_bfrev_b32_e32 v28, 60
	v_and_b32_e32 v19, 0x700000, v19
	v_and_b32_e32 v27, 0x80000000, v27
	v_lshl_add_u32 v22, v22, 23, v28
	v_or3_b32 v22, v27, v22, v19
.LBB528_474:
	s_or_b64 exec, exec, s[26:27]
.LBB528_475:
	s_or_b64 exec, exec, s[24:25]
	v_mov_b32_e32 v19, v22
.LBB528_476:
	s_or_b64 exec, exec, s[14:15]
	v_lshrrev_b16_e32 v22, 8, v18
	v_cmp_ne_u16_e64 s[12:13], 0, v22
	v_mov_b32_e32 v27, 0
	v_mov_b32_e32 v28, 0
	s_and_saveexec_b64 s[14:15], s[12:13]
	s_cbranch_execz .LBB528_482
; %bb.477:
	s_movk_i32 s11, 0x80
	v_cmp_ne_u16_e64 s[12:13], s11, v22
	v_bfrev_b32_e32 v28, 1
	s_and_saveexec_b64 s[24:25], s[12:13]
	s_cbranch_execz .LBB528_481
; %bb.478:
	s_movk_i32 s11, 0x7f
	v_and_b32_e32 v29, 0x7f, v22
	v_cmp_ne_u32_e64 s[12:13], s11, v29
	v_mov_b32_e32 v28, 0x7f800001
	s_and_saveexec_b64 s[26:27], s[12:13]
	s_cbranch_execz .LBB528_480
; %bb.479:
	v_and_b32_e32 v28, 7, v22
	v_ffbh_u32_e32 v30, v28
	v_min_u32_e32 v33, 32, v30
	v_subrev_u32_e32 v30, 28, v33
	v_lshlrev_b64 v[30:31], v30, v[22:23]
	v_lshrrev_b32_e32 v32, 3, v29
	v_sub_u32_e32 v22, 29, v33
	v_and_b32_e32 v30, 7, v30
	v_cmp_gt_u32_e64 s[12:13], 8, v29
	v_cndmask_b32_e64 v22, v32, v22, s[12:13]
	v_cndmask_b32_e64 v28, v28, v30, s[12:13]
	v_lshlrev_b32_e32 v18, 16, v18
	v_bfrev_b32_e32 v29, 60
	v_lshlrev_b32_e32 v28, 20, v28
	v_and_b32_e32 v18, 0x80000000, v18
	v_lshl_add_u32 v22, v22, 23, v29
	v_or3_b32 v28, v18, v22, v28
.LBB528_480:
	s_or_b64 exec, exec, s[26:27]
.LBB528_481:
	s_or_b64 exec, exec, s[24:25]
.LBB528_482:
	s_or_b64 exec, exec, s[14:15]
	s_movk_i32 s11, 0xff
	v_and_b32_sdwa v22, v21, s11 dst_sel:DWORD dst_unused:UNUSED_PAD src0_sel:WORD_1 src1_sel:DWORD
	v_lshrrev_b32_e32 v18, 16, v21
	v_cmp_ne_u16_e64 s[12:13], 0, v22
	s_and_saveexec_b64 s[14:15], s[12:13]
	s_cbranch_execz .LBB528_488
; %bb.483:
	s_movk_i32 s11, 0x80
	v_cmp_ne_u16_e64 s[12:13], s11, v22
	v_bfrev_b32_e32 v27, 1
	s_and_saveexec_b64 s[24:25], s[12:13]
	s_cbranch_execz .LBB528_487
; %bb.484:
	v_bfe_u32 v22, v21, 16, 7
	s_movk_i32 s11, 0x7f
	v_cmp_ne_u32_e64 s[12:13], s11, v22
	v_mov_b32_e32 v27, 0x7f800001
	s_and_saveexec_b64 s[26:27], s[12:13]
	s_cbranch_execz .LBB528_486
; %bb.485:
	v_and_b32_e32 v27, 7, v18
	v_ffbh_u32_e32 v30, v27
	v_min_u32_e32 v32, 32, v30
	v_subrev_u32_e32 v30, 28, v32
	v_lshlrev_b64 v[30:31], v30, v[18:19]
	v_and_b32_e32 v30, 7, v30
	v_cmp_gt_u32_e64 s[12:13], 8, v22
	v_lshrrev_b32_e32 v29, 3, v22
	v_sub_u32_e32 v18, 29, v32
	v_cndmask_b32_e64 v22, v27, v30, s[12:13]
	v_mov_b32_e32 v27, 24
	v_cndmask_b32_e64 v18, v29, v18, s[12:13]
	v_lshlrev_b32_sdwa v27, v27, v21 dst_sel:DWORD dst_unused:UNUSED_PAD src0_sel:DWORD src1_sel:WORD_1
	v_bfrev_b32_e32 v29, 60
	v_lshlrev_b32_e32 v22, 20, v22
	v_and_b32_e32 v27, 0x80000000, v27
	v_lshl_add_u32 v18, v18, 23, v29
	v_or3_b32 v27, v27, v18, v22
.LBB528_486:
	s_or_b64 exec, exec, s[26:27]
.LBB528_487:
	s_or_b64 exec, exec, s[24:25]
.LBB528_488:
	s_or_b64 exec, exec, s[14:15]
	s_mov_b32 s12, -1
	s_mov_b32 s13, 0xffffff
	v_cmp_lt_u64_e64 s[12:13], s[12:13], v[20:21]
	v_mov_b32_e32 v22, 0
	v_mov_b32_e32 v20, 0
	s_and_saveexec_b64 s[14:15], s[12:13]
	s_cbranch_execz .LBB528_494
; %bb.489:
	v_lshrrev_b32_e32 v18, 24, v21
	s_movk_i32 s11, 0x80
	v_cmp_ne_u32_e64 s[12:13], s11, v18
	v_bfrev_b32_e32 v20, 1
	s_and_saveexec_b64 s[24:25], s[12:13]
	s_cbranch_execz .LBB528_493
; %bb.490:
	v_bfe_u32 v21, v21, 24, 7
	s_movk_i32 s11, 0x7f
	v_cmp_ne_u32_e64 s[12:13], s11, v21
	v_mov_b32_e32 v20, 0x7f800001
	s_and_saveexec_b64 s[26:27], s[12:13]
	s_cbranch_execz .LBB528_492
; %bb.491:
	v_and_b32_e32 v20, 7, v18
	v_ffbh_u32_e32 v30, v20
	v_min_u32_e32 v32, 32, v30
	v_subrev_u32_e32 v30, 28, v32
	v_lshlrev_b64 v[30:31], v30, v[18:19]
	v_lshrrev_b32_e32 v29, 3, v21
	v_sub_u32_e32 v31, 29, v32
	v_and_b32_e32 v30, 7, v30
	v_cmp_gt_u32_e64 s[12:13], 8, v21
	v_cndmask_b32_e64 v21, v29, v31, s[12:13]
	v_cndmask_b32_e64 v20, v20, v30, s[12:13]
	v_lshlrev_b32_e32 v18, 24, v18
	v_bfrev_b32_e32 v29, 60
	v_lshlrev_b32_e32 v20, 20, v20
	v_and_b32_e32 v18, 0x80000000, v18
	v_lshl_add_u32 v21, v21, 23, v29
	v_or3_b32 v20, v18, v21, v20
.LBB528_492:
	s_or_b64 exec, exec, s[26:27]
.LBB528_493:
	s_or_b64 exec, exec, s[24:25]
.LBB528_494:
	s_or_b64 exec, exec, s[14:15]
	v_cvt_pkrtz_f16_f32 v24, v24, v25
	v_cvt_pkrtz_f16_f32 v25, v23, v26
	v_cvt_pkrtz_f16_f32 v18, v19, v28
	v_cvt_pkrtz_f16_f32 v19, v27, v20
	v_mfma_f32_4x4x4f16 a[0:3], v[2:3], v[24:25], a[0:3] cbsz:4 abid:9
	s_waitcnt vmcnt(30)
	v_cmp_ne_u16_sdwa s[12:13], v14, v22 src0_sel:BYTE_0 src1_sel:DWORD
	v_mfma_f32_4x4x4f16 a[0:3], v[4:5], v[18:19], a[0:3] cbsz:4 abid:9
	s_and_saveexec_b64 s[14:15], s[12:13]
	s_cbranch_execz .LBB528_500
; %bb.495:
	s_movk_i32 s11, 0x80
	v_cmp_ne_u16_sdwa s[12:13], v14, s11 src0_sel:BYTE_0 src1_sel:DWORD
	v_bfrev_b32_e32 v22, 1
	s_and_saveexec_b64 s[24:25], s[12:13]
	s_cbranch_execz .LBB528_499
; %bb.496:
	s_movk_i32 s11, 0x7f
	v_and_b32_e32 v18, 0x7f, v14
	v_cmp_ne_u32_e64 s[12:13], s11, v18
	v_mov_b32_e32 v22, 0x7f800001
	s_and_saveexec_b64 s[26:27], s[12:13]
	s_cbranch_execz .LBB528_498
; %bb.497:
	v_and_b32_e32 v19, 7, v14
	v_ffbh_u32_e32 v19, v19
	v_min_u32_e32 v19, 32, v19
	v_subrev_u32_e32 v21, 28, v19
	v_cmp_gt_u32_e64 s[12:13], 8, v18
	v_lshrrev_b32_e32 v20, 3, v18
	v_sub_u32_e32 v19, 29, v19
	v_cndmask_b32_e64 v18, 0, v21, s[12:13]
	v_cndmask_b32_e64 v20, v20, v19, s[12:13]
	v_lshlrev_b64 v[18:19], v18, v[14:15]
	v_lshlrev_b32_e32 v18, 20, v18
	v_lshlrev_b32_e32 v19, 24, v14
	v_bfrev_b32_e32 v21, 60
	v_and_b32_e32 v18, 0x700000, v18
	v_and_b32_e32 v19, 0x80000000, v19
	v_lshl_add_u32 v20, v20, 23, v21
	v_or3_b32 v22, v19, v20, v18
.LBB528_498:
	s_or_b64 exec, exec, s[26:27]
.LBB528_499:
	s_or_b64 exec, exec, s[24:25]
.LBB528_500:
	s_or_b64 exec, exec, s[14:15]
	v_lshrrev_b16_e32 v18, 8, v14
	v_cmp_ne_u16_e64 s[12:13], 0, v18
	v_mov_b32_e32 v21, 0
	v_mov_b32_e32 v23, 0
	s_and_saveexec_b64 s[14:15], s[12:13]
	s_cbranch_execz .LBB528_506
; %bb.501:
	s_movk_i32 s11, 0x80
	v_cmp_ne_u16_e64 s[12:13], s11, v18
	v_bfrev_b32_e32 v23, 1
	s_and_saveexec_b64 s[24:25], s[12:13]
	s_cbranch_execz .LBB528_505
; %bb.502:
	s_movk_i32 s11, 0x7f
	v_and_b32_e32 v19, 0x7f, v18
	v_cmp_ne_u32_e64 s[12:13], s11, v19
	v_mov_b32_e32 v23, 0x7f800001
	s_and_saveexec_b64 s[26:27], s[12:13]
	s_cbranch_execz .LBB528_504
; %bb.503:
	v_and_b32_e32 v20, 7, v18
	v_ffbh_u32_e32 v24, v20
	v_min_u32_e32 v26, 32, v24
	v_subrev_u32_e32 v24, 28, v26
	v_lshlrev_b64 v[24:25], v24, v[18:19]
	v_lshrrev_b32_e32 v23, 3, v19
	v_sub_u32_e32 v18, 29, v26
	v_and_b32_e32 v24, 7, v24
	v_cmp_gt_u32_e64 s[12:13], 8, v19
	v_cndmask_b32_e64 v18, v23, v18, s[12:13]
	v_cndmask_b32_e64 v19, v20, v24, s[12:13]
	v_lshlrev_b32_e32 v20, 16, v14
	v_bfrev_b32_e32 v23, 60
	v_lshlrev_b32_e32 v19, 20, v19
	v_and_b32_e32 v20, 0x80000000, v20
	v_lshl_add_u32 v18, v18, 23, v23
	v_or3_b32 v23, v20, v18, v19
.LBB528_504:
	s_or_b64 exec, exec, s[26:27]
.LBB528_505:
	s_or_b64 exec, exec, s[24:25]
.LBB528_506:
	s_or_b64 exec, exec, s[14:15]
	s_movk_i32 s11, 0xff
	v_and_b32_sdwa v19, v14, s11 dst_sel:DWORD dst_unused:UNUSED_PAD src0_sel:WORD_1 src1_sel:DWORD
	v_lshrrev_b32_e32 v18, 16, v14
	v_cmp_ne_u16_e64 s[12:13], 0, v19
	s_and_saveexec_b64 s[14:15], s[12:13]
	s_cbranch_execz .LBB528_512
; %bb.507:
	s_movk_i32 s11, 0x80
	v_cmp_ne_u16_e64 s[12:13], s11, v19
	v_bfrev_b32_e32 v21, 1
	s_and_saveexec_b64 s[24:25], s[12:13]
	s_cbranch_execz .LBB528_511
; %bb.508:
	v_bfe_u32 v19, v14, 16, 7
	s_movk_i32 s11, 0x7f
	v_cmp_ne_u32_e64 s[12:13], s11, v19
	v_mov_b32_e32 v21, 0x7f800001
	s_and_saveexec_b64 s[26:27], s[12:13]
	s_cbranch_execz .LBB528_510
; %bb.509:
	v_and_b32_e32 v24, 7, v18
	v_ffbh_u32_e32 v20, v24
	v_min_u32_e32 v26, 32, v20
	v_subrev_u32_e32 v20, 28, v26
	v_lshlrev_b64 v[20:21], v20, v[18:19]
	v_and_b32_e32 v20, 7, v20
	v_cmp_gt_u32_e64 s[12:13], 8, v19
	v_lshrrev_b32_e32 v25, 3, v19
	v_sub_u32_e32 v18, 29, v26
	v_cndmask_b32_e64 v19, v24, v20, s[12:13]
	v_mov_b32_e32 v20, 24
	v_cndmask_b32_e64 v18, v25, v18, s[12:13]
	v_lshlrev_b32_sdwa v20, v20, v14 dst_sel:DWORD dst_unused:UNUSED_PAD src0_sel:DWORD src1_sel:WORD_1
	v_bfrev_b32_e32 v21, 60
	v_lshlrev_b32_e32 v19, 20, v19
	v_and_b32_e32 v20, 0x80000000, v20
	v_lshl_add_u32 v18, v18, 23, v21
	v_or3_b32 v21, v20, v18, v19
.LBB528_510:
	s_or_b64 exec, exec, s[26:27]
.LBB528_511:
	s_or_b64 exec, exec, s[24:25]
.LBB528_512:
	s_or_b64 exec, exec, s[14:15]
	s_mov_b32 s11, 0xffffff
	v_cmp_lt_u32_e64 s[12:13], s11, v14
	v_mov_b32_e32 v19, 0
	v_mov_b32_e32 v24, 0
	s_and_saveexec_b64 s[14:15], s[12:13]
	s_cbranch_execz .LBB528_518
; %bb.513:
	v_lshrrev_b32_e32 v18, 24, v14
	s_movk_i32 s11, 0x80
	v_cmp_ne_u32_e64 s[12:13], s11, v18
	v_bfrev_b32_e32 v24, 1
	s_and_saveexec_b64 s[24:25], s[12:13]
	s_cbranch_execz .LBB528_517
; %bb.514:
	v_bfe_u32 v20, v14, 24, 7
	s_movk_i32 s11, 0x7f
	v_cmp_ne_u32_e64 s[12:13], s11, v20
	v_mov_b32_e32 v24, 0x7f800001
	s_and_saveexec_b64 s[26:27], s[12:13]
	s_cbranch_execz .LBB528_516
; %bb.515:
	v_and_b32_e32 v26, 7, v18
	v_ffbh_u32_e32 v24, v26
	v_min_u32_e32 v28, 32, v24
	v_subrev_u32_e32 v24, 28, v28
	v_lshlrev_b64 v[24:25], v24, v[18:19]
	v_lshrrev_b32_e32 v27, 3, v20
	v_sub_u32_e32 v25, 29, v28
	v_and_b32_e32 v24, 7, v24
	v_cmp_gt_u32_e64 s[12:13], 8, v20
	v_cndmask_b32_e64 v20, v27, v25, s[12:13]
	v_cndmask_b32_e64 v24, v26, v24, s[12:13]
	v_lshlrev_b32_e32 v18, 24, v18
	v_bfrev_b32_e32 v25, 60
	v_lshlrev_b32_e32 v24, 20, v24
	v_and_b32_e32 v18, 0x80000000, v18
	v_lshl_add_u32 v20, v20, 23, v25
	v_or3_b32 v24, v18, v20, v24
.LBB528_516:
	s_or_b64 exec, exec, s[26:27]
.LBB528_517:
	s_or_b64 exec, exec, s[24:25]
.LBB528_518:
	s_or_b64 exec, exec, s[14:15]
	v_mov_b32_e32 v18, v15
	v_cmp_ne_u16_sdwa s[12:13], v15, v19 src0_sel:BYTE_0 src1_sel:DWORD
	s_and_saveexec_b64 s[14:15], s[12:13]
	s_cbranch_execz .LBB528_524
; %bb.519:
	s_movk_i32 s11, 0x80
	v_cmp_ne_u16_sdwa s[12:13], v15, s11 src0_sel:BYTE_0 src1_sel:DWORD
	v_bfrev_b32_e32 v20, 1
	s_and_saveexec_b64 s[24:25], s[12:13]
	s_cbranch_execz .LBB528_523
; %bb.520:
	s_movk_i32 s11, 0x7f
	v_and_b32_e32 v25, 0x7f, v15
	v_cmp_ne_u32_e64 s[12:13], s11, v25
	v_mov_b32_e32 v20, 0x7f800001
	s_and_saveexec_b64 s[26:27], s[12:13]
	s_cbranch_execz .LBB528_522
; %bb.521:
	v_and_b32_e32 v20, 7, v15
	v_ffbh_u32_e32 v20, v20
	v_min_u32_e32 v20, 32, v20
	v_subrev_u32_e32 v27, 28, v20
	v_cmp_gt_u32_e64 s[12:13], 8, v25
	v_lshrrev_b32_e32 v26, 3, v25
	v_sub_u32_e32 v20, 29, v20
	v_cndmask_b32_e64 v25, 0, v27, s[12:13]
	v_cndmask_b32_e64 v20, v26, v20, s[12:13]
	v_lshlrev_b64 v[26:27], v25, v[18:19]
	v_lshlrev_b32_e32 v19, 20, v26
	v_lshlrev_b32_e32 v25, 24, v18
	v_bfrev_b32_e32 v26, 60
	v_and_b32_e32 v19, 0x700000, v19
	v_and_b32_e32 v25, 0x80000000, v25
	v_lshl_add_u32 v20, v20, 23, v26
	v_or3_b32 v20, v25, v20, v19
.LBB528_522:
	s_or_b64 exec, exec, s[26:27]
.LBB528_523:
	s_or_b64 exec, exec, s[24:25]
	v_mov_b32_e32 v19, v20
.LBB528_524:
	s_or_b64 exec, exec, s[14:15]
	v_lshrrev_b16_e32 v20, 8, v18
	v_cmp_ne_u16_e64 s[12:13], 0, v20
	v_mov_b32_e32 v25, 0
	v_mov_b32_e32 v26, 0
	s_and_saveexec_b64 s[14:15], s[12:13]
	s_cbranch_execz .LBB528_530
; %bb.525:
	s_movk_i32 s11, 0x80
	v_cmp_ne_u16_e64 s[12:13], s11, v20
	v_bfrev_b32_e32 v26, 1
	s_and_saveexec_b64 s[24:25], s[12:13]
	s_cbranch_execz .LBB528_529
; %bb.526:
	s_movk_i32 s11, 0x7f
	v_and_b32_e32 v27, 0x7f, v20
	v_cmp_ne_u32_e64 s[12:13], s11, v27
	v_mov_b32_e32 v26, 0x7f800001
	s_and_saveexec_b64 s[26:27], s[12:13]
	s_cbranch_execz .LBB528_528
; %bb.527:
	v_and_b32_e32 v26, 7, v20
	v_ffbh_u32_e32 v28, v26
	v_min_u32_e32 v31, 32, v28
	v_subrev_u32_e32 v28, 28, v31
	v_lshlrev_b64 v[28:29], v28, v[20:21]
	v_lshrrev_b32_e32 v30, 3, v27
	v_sub_u32_e32 v20, 29, v31
	v_and_b32_e32 v28, 7, v28
	v_cmp_gt_u32_e64 s[12:13], 8, v27
	v_cndmask_b32_e64 v20, v30, v20, s[12:13]
	v_cndmask_b32_e64 v26, v26, v28, s[12:13]
	v_lshlrev_b32_e32 v18, 16, v18
	v_bfrev_b32_e32 v27, 60
	v_lshlrev_b32_e32 v26, 20, v26
	v_and_b32_e32 v18, 0x80000000, v18
	v_lshl_add_u32 v20, v20, 23, v27
	v_or3_b32 v26, v18, v20, v26
.LBB528_528:
	s_or_b64 exec, exec, s[26:27]
.LBB528_529:
	s_or_b64 exec, exec, s[24:25]
.LBB528_530:
	s_or_b64 exec, exec, s[14:15]
	s_movk_i32 s11, 0xff
	v_and_b32_sdwa v20, v15, s11 dst_sel:DWORD dst_unused:UNUSED_PAD src0_sel:WORD_1 src1_sel:DWORD
	v_lshrrev_b32_e32 v18, 16, v15
	v_cmp_ne_u16_e64 s[12:13], 0, v20
	s_and_saveexec_b64 s[14:15], s[12:13]
	s_cbranch_execz .LBB528_536
; %bb.531:
	s_movk_i32 s11, 0x80
	v_cmp_ne_u16_e64 s[12:13], s11, v20
	v_bfrev_b32_e32 v25, 1
	s_and_saveexec_b64 s[24:25], s[12:13]
	s_cbranch_execz .LBB528_535
; %bb.532:
	v_bfe_u32 v20, v15, 16, 7
	s_movk_i32 s11, 0x7f
	v_cmp_ne_u32_e64 s[12:13], s11, v20
	v_mov_b32_e32 v25, 0x7f800001
	s_and_saveexec_b64 s[26:27], s[12:13]
	s_cbranch_execz .LBB528_534
; %bb.533:
	v_and_b32_e32 v25, 7, v18
	v_ffbh_u32_e32 v28, v25
	v_min_u32_e32 v30, 32, v28
	v_subrev_u32_e32 v28, 28, v30
	v_lshlrev_b64 v[28:29], v28, v[18:19]
	v_and_b32_e32 v28, 7, v28
	v_cmp_gt_u32_e64 s[12:13], 8, v20
	v_lshrrev_b32_e32 v27, 3, v20
	v_sub_u32_e32 v18, 29, v30
	v_cndmask_b32_e64 v20, v25, v28, s[12:13]
	v_mov_b32_e32 v25, 24
	v_cndmask_b32_e64 v18, v27, v18, s[12:13]
	v_lshlrev_b32_sdwa v25, v25, v15 dst_sel:DWORD dst_unused:UNUSED_PAD src0_sel:DWORD src1_sel:WORD_1
	v_bfrev_b32_e32 v27, 60
	v_lshlrev_b32_e32 v20, 20, v20
	v_and_b32_e32 v25, 0x80000000, v25
	v_lshl_add_u32 v18, v18, 23, v27
	v_or3_b32 v25, v25, v18, v20
.LBB528_534:
	s_or_b64 exec, exec, s[26:27]
.LBB528_535:
	s_or_b64 exec, exec, s[24:25]
.LBB528_536:
	s_or_b64 exec, exec, s[14:15]
	s_mov_b32 s12, -1
	s_mov_b32 s13, 0xffffff
	v_cmp_lt_u64_e64 s[12:13], s[12:13], v[14:15]
	v_mov_b32_e32 v20, 0
	v_mov_b32_e32 v18, 0
	s_and_saveexec_b64 s[14:15], s[12:13]
	s_cbranch_execz .LBB528_542
; %bb.537:
	v_lshrrev_b32_e32 v14, 24, v15
	s_movk_i32 s11, 0x80
	v_cmp_ne_u32_e64 s[12:13], s11, v14
	v_bfrev_b32_e32 v18, 1
	s_and_saveexec_b64 s[24:25], s[12:13]
	s_cbranch_execz .LBB528_541
; %bb.538:
	v_bfe_u32 v15, v15, 24, 7
	s_movk_i32 s11, 0x7f
	v_cmp_ne_u32_e64 s[12:13], s11, v15
	v_mov_b32_e32 v18, 0x7f800001
	s_and_saveexec_b64 s[26:27], s[12:13]
	s_cbranch_execz .LBB528_540
; %bb.539:
	v_and_b32_e32 v18, 7, v14
	v_ffbh_u32_e32 v28, v18
	v_min_u32_e32 v30, 32, v28
	v_subrev_u32_e32 v28, 28, v30
	v_lshlrev_b64 v[28:29], v28, v[14:15]
	v_lshrrev_b32_e32 v27, 3, v15
	v_sub_u32_e32 v29, 29, v30
	v_and_b32_e32 v28, 7, v28
	v_cmp_gt_u32_e64 s[12:13], 8, v15
	v_cndmask_b32_e64 v15, v27, v29, s[12:13]
	v_cndmask_b32_e64 v18, v18, v28, s[12:13]
	v_lshlrev_b32_e32 v14, 24, v14
	v_bfrev_b32_e32 v27, 60
	v_lshlrev_b32_e32 v18, 20, v18
	v_and_b32_e32 v14, 0x80000000, v14
	v_lshl_add_u32 v15, v15, 23, v27
	v_or3_b32 v18, v14, v15, v18
.LBB528_540:
	s_or_b64 exec, exec, s[26:27]
.LBB528_541:
	s_or_b64 exec, exec, s[24:25]
.LBB528_542:
	s_or_b64 exec, exec, s[14:15]
	v_cvt_pkrtz_f16_f32 v14, v22, v23
	v_cvt_pkrtz_f16_f32 v15, v21, v24
	v_cvt_pkrtz_f16_f32 v22, v19, v26
	v_cvt_pkrtz_f16_f32 v23, v25, v18
	v_mfma_f32_4x4x4f16 a[0:3], v[2:3], v[14:15], a[0:3] cbsz:4 abid:10
	v_cmp_ne_u16_sdwa s[12:13], v16, v20 src0_sel:BYTE_0 src1_sel:DWORD
	v_mfma_f32_4x4x4f16 a[0:3], v[4:5], v[22:23], a[0:3] cbsz:4 abid:10
	s_and_saveexec_b64 s[14:15], s[12:13]
	s_cbranch_execz .LBB528_548
; %bb.543:
	s_movk_i32 s11, 0x80
	v_cmp_ne_u16_sdwa s[12:13], v16, s11 src0_sel:BYTE_0 src1_sel:DWORD
	v_bfrev_b32_e32 v20, 1
	s_and_saveexec_b64 s[24:25], s[12:13]
	s_cbranch_execz .LBB528_547
; %bb.544:
	s_movk_i32 s11, 0x7f
	v_and_b32_e32 v14, 0x7f, v16
	v_cmp_ne_u32_e64 s[12:13], s11, v14
	v_mov_b32_e32 v20, 0x7f800001
	s_and_saveexec_b64 s[26:27], s[12:13]
	s_cbranch_execz .LBB528_546
; %bb.545:
	v_and_b32_e32 v15, 7, v16
	v_ffbh_u32_e32 v15, v15
	v_min_u32_e32 v15, 32, v15
	v_subrev_u32_e32 v19, 28, v15
	v_cmp_gt_u32_e64 s[12:13], 8, v14
	v_lshrrev_b32_e32 v18, 3, v14
	v_sub_u32_e32 v15, 29, v15
	v_cndmask_b32_e64 v14, 0, v19, s[12:13]
	v_cndmask_b32_e64 v18, v18, v15, s[12:13]
	v_lshlrev_b64 v[14:15], v14, v[16:17]
	v_lshlrev_b32_e32 v14, 20, v14
	v_lshlrev_b32_e32 v15, 24, v16
	v_bfrev_b32_e32 v19, 60
	v_and_b32_e32 v14, 0x700000, v14
	v_and_b32_e32 v15, 0x80000000, v15
	v_lshl_add_u32 v18, v18, 23, v19
	v_or3_b32 v20, v15, v18, v14
.LBB528_546:
	s_or_b64 exec, exec, s[26:27]
.LBB528_547:
	s_or_b64 exec, exec, s[24:25]
.LBB528_548:
	s_or_b64 exec, exec, s[14:15]
	v_lshrrev_b16_e32 v14, 8, v16
	v_cmp_ne_u16_e64 s[12:13], 0, v14
	v_mov_b32_e32 v19, 0
	v_mov_b32_e32 v21, 0
	s_and_saveexec_b64 s[14:15], s[12:13]
	s_cbranch_execz .LBB528_554
; %bb.549:
	s_movk_i32 s11, 0x80
	v_cmp_ne_u16_e64 s[12:13], s11, v14
	v_bfrev_b32_e32 v21, 1
	s_and_saveexec_b64 s[24:25], s[12:13]
	s_cbranch_execz .LBB528_553
; %bb.550:
	s_movk_i32 s11, 0x7f
	v_and_b32_e32 v15, 0x7f, v14
	v_cmp_ne_u32_e64 s[12:13], s11, v15
	v_mov_b32_e32 v21, 0x7f800001
	s_and_saveexec_b64 s[26:27], s[12:13]
	s_cbranch_execz .LBB528_552
; %bb.551:
	v_and_b32_e32 v18, 7, v14
	v_ffbh_u32_e32 v22, v18
	v_min_u32_e32 v24, 32, v22
	v_subrev_u32_e32 v22, 28, v24
	v_lshlrev_b64 v[22:23], v22, v[14:15]
	v_lshrrev_b32_e32 v21, 3, v15
	v_sub_u32_e32 v14, 29, v24
	v_and_b32_e32 v22, 7, v22
	v_cmp_gt_u32_e64 s[12:13], 8, v15
	v_cndmask_b32_e64 v14, v21, v14, s[12:13]
	v_cndmask_b32_e64 v15, v18, v22, s[12:13]
	v_lshlrev_b32_e32 v18, 16, v16
	v_bfrev_b32_e32 v21, 60
	v_lshlrev_b32_e32 v15, 20, v15
	v_and_b32_e32 v18, 0x80000000, v18
	v_lshl_add_u32 v14, v14, 23, v21
	v_or3_b32 v21, v18, v14, v15
.LBB528_552:
	s_or_b64 exec, exec, s[26:27]
.LBB528_553:
	s_or_b64 exec, exec, s[24:25]
.LBB528_554:
	s_or_b64 exec, exec, s[14:15]
	s_movk_i32 s11, 0xff
	v_and_b32_sdwa v15, v16, s11 dst_sel:DWORD dst_unused:UNUSED_PAD src0_sel:WORD_1 src1_sel:DWORD
	v_lshrrev_b32_e32 v14, 16, v16
	v_cmp_ne_u16_e64 s[12:13], 0, v15
	s_and_saveexec_b64 s[14:15], s[12:13]
	s_cbranch_execz .LBB528_560
; %bb.555:
	s_movk_i32 s11, 0x80
	v_cmp_ne_u16_e64 s[12:13], s11, v15
	v_bfrev_b32_e32 v19, 1
	s_and_saveexec_b64 s[24:25], s[12:13]
	s_cbranch_execz .LBB528_559
; %bb.556:
	v_bfe_u32 v15, v16, 16, 7
	s_movk_i32 s11, 0x7f
	v_cmp_ne_u32_e64 s[12:13], s11, v15
	v_mov_b32_e32 v19, 0x7f800001
	s_and_saveexec_b64 s[26:27], s[12:13]
	s_cbranch_execz .LBB528_558
; %bb.557:
	v_and_b32_e32 v22, 7, v14
	v_ffbh_u32_e32 v18, v22
	v_min_u32_e32 v24, 32, v18
	v_subrev_u32_e32 v18, 28, v24
	v_lshlrev_b64 v[18:19], v18, v[14:15]
	v_and_b32_e32 v18, 7, v18
	v_cmp_gt_u32_e64 s[12:13], 8, v15
	v_lshrrev_b32_e32 v23, 3, v15
	v_sub_u32_e32 v14, 29, v24
	v_cndmask_b32_e64 v15, v22, v18, s[12:13]
	v_mov_b32_e32 v18, 24
	v_cndmask_b32_e64 v14, v23, v14, s[12:13]
	v_lshlrev_b32_sdwa v18, v18, v16 dst_sel:DWORD dst_unused:UNUSED_PAD src0_sel:DWORD src1_sel:WORD_1
	v_bfrev_b32_e32 v19, 60
	v_lshlrev_b32_e32 v15, 20, v15
	v_and_b32_e32 v18, 0x80000000, v18
	v_lshl_add_u32 v14, v14, 23, v19
	v_or3_b32 v19, v18, v14, v15
.LBB528_558:
	s_or_b64 exec, exec, s[26:27]
.LBB528_559:
	s_or_b64 exec, exec, s[24:25]
.LBB528_560:
	s_or_b64 exec, exec, s[14:15]
	s_mov_b32 s11, 0xffffff
	v_cmp_lt_u32_e64 s[12:13], s11, v16
	v_mov_b32_e32 v15, 0
	v_mov_b32_e32 v22, 0
	s_and_saveexec_b64 s[14:15], s[12:13]
	s_cbranch_execz .LBB528_566
; %bb.561:
	v_lshrrev_b32_e32 v14, 24, v16
	s_movk_i32 s11, 0x80
	v_cmp_ne_u32_e64 s[12:13], s11, v14
	v_bfrev_b32_e32 v22, 1
	s_and_saveexec_b64 s[24:25], s[12:13]
	s_cbranch_execz .LBB528_565
; %bb.562:
	v_bfe_u32 v18, v16, 24, 7
	s_movk_i32 s11, 0x7f
	v_cmp_ne_u32_e64 s[12:13], s11, v18
	v_mov_b32_e32 v22, 0x7f800001
	s_and_saveexec_b64 s[26:27], s[12:13]
	s_cbranch_execz .LBB528_564
; %bb.563:
	v_and_b32_e32 v24, 7, v14
	v_ffbh_u32_e32 v22, v24
	v_min_u32_e32 v26, 32, v22
	v_subrev_u32_e32 v22, 28, v26
	v_lshlrev_b64 v[22:23], v22, v[14:15]
	v_lshrrev_b32_e32 v25, 3, v18
	v_sub_u32_e32 v23, 29, v26
	v_and_b32_e32 v22, 7, v22
	v_cmp_gt_u32_e64 s[12:13], 8, v18
	v_cndmask_b32_e64 v18, v25, v23, s[12:13]
	v_cndmask_b32_e64 v22, v24, v22, s[12:13]
	v_lshlrev_b32_e32 v14, 24, v14
	v_bfrev_b32_e32 v23, 60
	v_lshlrev_b32_e32 v22, 20, v22
	v_and_b32_e32 v14, 0x80000000, v14
	v_lshl_add_u32 v18, v18, 23, v23
	v_or3_b32 v22, v14, v18, v22
.LBB528_564:
	s_or_b64 exec, exec, s[26:27]
.LBB528_565:
	s_or_b64 exec, exec, s[24:25]
.LBB528_566:
	s_or_b64 exec, exec, s[14:15]
	v_mov_b32_e32 v14, v17
	v_cmp_ne_u16_sdwa s[12:13], v17, v15 src0_sel:BYTE_0 src1_sel:DWORD
	s_and_saveexec_b64 s[14:15], s[12:13]
	s_cbranch_execz .LBB528_572
; %bb.567:
	s_movk_i32 s11, 0x80
	v_cmp_ne_u16_sdwa s[12:13], v17, s11 src0_sel:BYTE_0 src1_sel:DWORD
	v_bfrev_b32_e32 v18, 1
	s_and_saveexec_b64 s[24:25], s[12:13]
	s_cbranch_execz .LBB528_571
; %bb.568:
	s_movk_i32 s11, 0x7f
	v_and_b32_e32 v23, 0x7f, v17
	v_cmp_ne_u32_e64 s[12:13], s11, v23
	v_mov_b32_e32 v18, 0x7f800001
	s_and_saveexec_b64 s[26:27], s[12:13]
	s_cbranch_execz .LBB528_570
; %bb.569:
	v_and_b32_e32 v18, 7, v17
	v_ffbh_u32_e32 v18, v18
	v_min_u32_e32 v18, 32, v18
	v_subrev_u32_e32 v25, 28, v18
	v_cmp_gt_u32_e64 s[12:13], 8, v23
	v_lshrrev_b32_e32 v24, 3, v23
	v_sub_u32_e32 v18, 29, v18
	v_cndmask_b32_e64 v23, 0, v25, s[12:13]
	v_cndmask_b32_e64 v18, v24, v18, s[12:13]
	v_lshlrev_b64 v[24:25], v23, v[14:15]
	v_lshlrev_b32_e32 v15, 20, v24
	v_lshlrev_b32_e32 v23, 24, v14
	v_bfrev_b32_e32 v24, 60
	v_and_b32_e32 v15, 0x700000, v15
	v_and_b32_e32 v23, 0x80000000, v23
	v_lshl_add_u32 v18, v18, 23, v24
	v_or3_b32 v18, v23, v18, v15
.LBB528_570:
	s_or_b64 exec, exec, s[26:27]
.LBB528_571:
	s_or_b64 exec, exec, s[24:25]
	v_mov_b32_e32 v15, v18
.LBB528_572:
	s_or_b64 exec, exec, s[14:15]
	v_lshrrev_b16_e32 v18, 8, v14
	v_cmp_ne_u16_e64 s[12:13], 0, v18
	v_mov_b32_e32 v23, 0
	v_mov_b32_e32 v24, 0
	s_and_saveexec_b64 s[14:15], s[12:13]
	s_cbranch_execz .LBB528_578
; %bb.573:
	s_movk_i32 s11, 0x80
	v_cmp_ne_u16_e64 s[12:13], s11, v18
	v_bfrev_b32_e32 v24, 1
	s_and_saveexec_b64 s[24:25], s[12:13]
	s_cbranch_execz .LBB528_577
; %bb.574:
	s_movk_i32 s11, 0x7f
	v_and_b32_e32 v25, 0x7f, v18
	v_cmp_ne_u32_e64 s[12:13], s11, v25
	v_mov_b32_e32 v24, 0x7f800001
	s_and_saveexec_b64 s[26:27], s[12:13]
	s_cbranch_execz .LBB528_576
; %bb.575:
	v_and_b32_e32 v24, 7, v18
	v_ffbh_u32_e32 v26, v24
	v_min_u32_e32 v29, 32, v26
	v_subrev_u32_e32 v26, 28, v29
	v_lshlrev_b64 v[26:27], v26, v[18:19]
	v_lshrrev_b32_e32 v28, 3, v25
	v_sub_u32_e32 v18, 29, v29
	v_and_b32_e32 v26, 7, v26
	v_cmp_gt_u32_e64 s[12:13], 8, v25
	v_cndmask_b32_e64 v18, v28, v18, s[12:13]
	v_cndmask_b32_e64 v24, v24, v26, s[12:13]
	v_lshlrev_b32_e32 v14, 16, v14
	v_bfrev_b32_e32 v25, 60
	v_lshlrev_b32_e32 v24, 20, v24
	v_and_b32_e32 v14, 0x80000000, v14
	v_lshl_add_u32 v18, v18, 23, v25
	v_or3_b32 v24, v14, v18, v24
.LBB528_576:
	s_or_b64 exec, exec, s[26:27]
.LBB528_577:
	s_or_b64 exec, exec, s[24:25]
.LBB528_578:
	s_or_b64 exec, exec, s[14:15]
	s_movk_i32 s11, 0xff
	v_and_b32_sdwa v18, v17, s11 dst_sel:DWORD dst_unused:UNUSED_PAD src0_sel:WORD_1 src1_sel:DWORD
	v_lshrrev_b32_e32 v14, 16, v17
	v_cmp_ne_u16_e64 s[12:13], 0, v18
	s_and_saveexec_b64 s[14:15], s[12:13]
	s_cbranch_execz .LBB528_584
; %bb.579:
	s_movk_i32 s11, 0x80
	v_cmp_ne_u16_e64 s[12:13], s11, v18
	v_bfrev_b32_e32 v23, 1
	s_and_saveexec_b64 s[24:25], s[12:13]
	s_cbranch_execz .LBB528_583
; %bb.580:
	v_bfe_u32 v18, v17, 16, 7
	s_movk_i32 s11, 0x7f
	v_cmp_ne_u32_e64 s[12:13], s11, v18
	v_mov_b32_e32 v23, 0x7f800001
	s_and_saveexec_b64 s[26:27], s[12:13]
	s_cbranch_execz .LBB528_582
; %bb.581:
	v_and_b32_e32 v23, 7, v14
	v_ffbh_u32_e32 v26, v23
	v_min_u32_e32 v28, 32, v26
	v_subrev_u32_e32 v26, 28, v28
	v_lshlrev_b64 v[26:27], v26, v[14:15]
	v_and_b32_e32 v26, 7, v26
	v_cmp_gt_u32_e64 s[12:13], 8, v18
	v_lshrrev_b32_e32 v25, 3, v18
	v_sub_u32_e32 v14, 29, v28
	v_cndmask_b32_e64 v18, v23, v26, s[12:13]
	v_mov_b32_e32 v23, 24
	v_cndmask_b32_e64 v14, v25, v14, s[12:13]
	v_lshlrev_b32_sdwa v23, v23, v17 dst_sel:DWORD dst_unused:UNUSED_PAD src0_sel:DWORD src1_sel:WORD_1
	v_bfrev_b32_e32 v25, 60
	v_lshlrev_b32_e32 v18, 20, v18
	v_and_b32_e32 v23, 0x80000000, v23
	v_lshl_add_u32 v14, v14, 23, v25
	v_or3_b32 v23, v23, v14, v18
.LBB528_582:
	s_or_b64 exec, exec, s[26:27]
.LBB528_583:
	s_or_b64 exec, exec, s[24:25]
.LBB528_584:
	s_or_b64 exec, exec, s[14:15]
	s_mov_b32 s12, -1
	s_mov_b32 s13, 0xffffff
	v_cmp_lt_u64_e64 s[12:13], s[12:13], v[16:17]
	v_mov_b32_e32 v18, 0
	v_mov_b32_e32 v16, 0
	s_and_saveexec_b64 s[14:15], s[12:13]
	s_cbranch_execz .LBB528_590
; %bb.585:
	v_lshrrev_b32_e32 v14, 24, v17
	s_movk_i32 s11, 0x80
	v_cmp_ne_u32_e64 s[12:13], s11, v14
	v_bfrev_b32_e32 v16, 1
	s_and_saveexec_b64 s[24:25], s[12:13]
	s_cbranch_execz .LBB528_589
; %bb.586:
	v_bfe_u32 v17, v17, 24, 7
	s_movk_i32 s11, 0x7f
	v_cmp_ne_u32_e64 s[12:13], s11, v17
	v_mov_b32_e32 v16, 0x7f800001
	s_and_saveexec_b64 s[26:27], s[12:13]
	s_cbranch_execz .LBB528_588
; %bb.587:
	v_and_b32_e32 v16, 7, v14
	v_ffbh_u32_e32 v26, v16
	v_min_u32_e32 v28, 32, v26
	v_subrev_u32_e32 v26, 28, v28
	v_lshlrev_b64 v[26:27], v26, v[14:15]
	v_lshrrev_b32_e32 v25, 3, v17
	v_sub_u32_e32 v27, 29, v28
	v_and_b32_e32 v26, 7, v26
	v_cmp_gt_u32_e64 s[12:13], 8, v17
	v_cndmask_b32_e64 v17, v25, v27, s[12:13]
	v_cndmask_b32_e64 v16, v16, v26, s[12:13]
	v_lshlrev_b32_e32 v14, 24, v14
	v_bfrev_b32_e32 v25, 60
	v_lshlrev_b32_e32 v16, 20, v16
	v_and_b32_e32 v14, 0x80000000, v14
	v_lshl_add_u32 v17, v17, 23, v25
	v_or3_b32 v16, v14, v17, v16
.LBB528_588:
	s_or_b64 exec, exec, s[26:27]
.LBB528_589:
	s_or_b64 exec, exec, s[24:25]
.LBB528_590:
	s_or_b64 exec, exec, s[14:15]
	v_cvt_pkrtz_f16_f32 v20, v20, v21
	v_cvt_pkrtz_f16_f32 v21, v19, v22
	;; [unrolled: 1-line block ×4, first 2 shown]
	v_mfma_f32_4x4x4f16 a[0:3], v[2:3], v[20:21], a[0:3] cbsz:4 abid:11
	s_waitcnt vmcnt(25)
	v_cmp_ne_u16_sdwa s[12:13], v10, v18 src0_sel:BYTE_0 src1_sel:DWORD
	v_mfma_f32_4x4x4f16 a[0:3], v[4:5], v[14:15], a[0:3] cbsz:4 abid:11
	s_and_saveexec_b64 s[14:15], s[12:13]
	s_cbranch_execz .LBB528_596
; %bb.591:
	s_movk_i32 s11, 0x80
	v_cmp_ne_u16_sdwa s[12:13], v10, s11 src0_sel:BYTE_0 src1_sel:DWORD
	v_bfrev_b32_e32 v18, 1
	s_and_saveexec_b64 s[24:25], s[12:13]
	s_cbranch_execz .LBB528_595
; %bb.592:
	s_movk_i32 s11, 0x7f
	v_and_b32_e32 v14, 0x7f, v10
	v_cmp_ne_u32_e64 s[12:13], s11, v14
	v_mov_b32_e32 v18, 0x7f800001
	s_and_saveexec_b64 s[26:27], s[12:13]
	s_cbranch_execz .LBB528_594
; %bb.593:
	v_and_b32_e32 v15, 7, v10
	v_ffbh_u32_e32 v15, v15
	v_min_u32_e32 v15, 32, v15
	v_subrev_u32_e32 v17, 28, v15
	v_cmp_gt_u32_e64 s[12:13], 8, v14
	v_lshrrev_b32_e32 v16, 3, v14
	v_sub_u32_e32 v15, 29, v15
	v_cndmask_b32_e64 v14, 0, v17, s[12:13]
	v_cndmask_b32_e64 v16, v16, v15, s[12:13]
	v_lshlrev_b64 v[14:15], v14, v[10:11]
	v_lshlrev_b32_e32 v14, 20, v14
	v_lshlrev_b32_e32 v15, 24, v10
	v_bfrev_b32_e32 v17, 60
	v_and_b32_e32 v14, 0x700000, v14
	v_and_b32_e32 v15, 0x80000000, v15
	v_lshl_add_u32 v16, v16, 23, v17
	v_or3_b32 v18, v15, v16, v14
.LBB528_594:
	s_or_b64 exec, exec, s[26:27]
.LBB528_595:
	s_or_b64 exec, exec, s[24:25]
.LBB528_596:
	s_or_b64 exec, exec, s[14:15]
	v_lshrrev_b16_e32 v14, 8, v10
	v_cmp_ne_u16_e64 s[12:13], 0, v14
	v_mov_b32_e32 v17, 0
	v_mov_b32_e32 v19, 0
	s_and_saveexec_b64 s[14:15], s[12:13]
	s_cbranch_execz .LBB528_602
; %bb.597:
	s_movk_i32 s11, 0x80
	v_cmp_ne_u16_e64 s[12:13], s11, v14
	v_bfrev_b32_e32 v19, 1
	s_and_saveexec_b64 s[24:25], s[12:13]
	s_cbranch_execz .LBB528_601
; %bb.598:
	s_movk_i32 s11, 0x7f
	v_and_b32_e32 v15, 0x7f, v14
	v_cmp_ne_u32_e64 s[12:13], s11, v15
	v_mov_b32_e32 v19, 0x7f800001
	s_and_saveexec_b64 s[26:27], s[12:13]
	s_cbranch_execz .LBB528_600
; %bb.599:
	v_and_b32_e32 v16, 7, v14
	v_ffbh_u32_e32 v20, v16
	v_min_u32_e32 v22, 32, v20
	v_subrev_u32_e32 v20, 28, v22
	v_lshlrev_b64 v[20:21], v20, v[14:15]
	v_lshrrev_b32_e32 v19, 3, v15
	v_sub_u32_e32 v14, 29, v22
	v_and_b32_e32 v20, 7, v20
	v_cmp_gt_u32_e64 s[12:13], 8, v15
	v_cndmask_b32_e64 v14, v19, v14, s[12:13]
	v_cndmask_b32_e64 v15, v16, v20, s[12:13]
	v_lshlrev_b32_e32 v16, 16, v10
	v_bfrev_b32_e32 v19, 60
	v_lshlrev_b32_e32 v15, 20, v15
	v_and_b32_e32 v16, 0x80000000, v16
	v_lshl_add_u32 v14, v14, 23, v19
	v_or3_b32 v19, v16, v14, v15
.LBB528_600:
	s_or_b64 exec, exec, s[26:27]
.LBB528_601:
	s_or_b64 exec, exec, s[24:25]
.LBB528_602:
	s_or_b64 exec, exec, s[14:15]
	s_movk_i32 s11, 0xff
	v_and_b32_sdwa v15, v10, s11 dst_sel:DWORD dst_unused:UNUSED_PAD src0_sel:WORD_1 src1_sel:DWORD
	v_lshrrev_b32_e32 v14, 16, v10
	v_cmp_ne_u16_e64 s[12:13], 0, v15
	s_and_saveexec_b64 s[14:15], s[12:13]
	s_cbranch_execz .LBB528_608
; %bb.603:
	s_movk_i32 s11, 0x80
	v_cmp_ne_u16_e64 s[12:13], s11, v15
	v_bfrev_b32_e32 v17, 1
	s_and_saveexec_b64 s[24:25], s[12:13]
	s_cbranch_execz .LBB528_607
; %bb.604:
	v_bfe_u32 v15, v10, 16, 7
	s_movk_i32 s11, 0x7f
	v_cmp_ne_u32_e64 s[12:13], s11, v15
	v_mov_b32_e32 v17, 0x7f800001
	s_and_saveexec_b64 s[26:27], s[12:13]
	s_cbranch_execz .LBB528_606
; %bb.605:
	v_and_b32_e32 v20, 7, v14
	v_ffbh_u32_e32 v16, v20
	v_min_u32_e32 v22, 32, v16
	v_subrev_u32_e32 v16, 28, v22
	v_lshlrev_b64 v[16:17], v16, v[14:15]
	v_and_b32_e32 v16, 7, v16
	v_cmp_gt_u32_e64 s[12:13], 8, v15
	v_lshrrev_b32_e32 v21, 3, v15
	v_sub_u32_e32 v14, 29, v22
	v_cndmask_b32_e64 v15, v20, v16, s[12:13]
	v_mov_b32_e32 v16, 24
	v_cndmask_b32_e64 v14, v21, v14, s[12:13]
	v_lshlrev_b32_sdwa v16, v16, v10 dst_sel:DWORD dst_unused:UNUSED_PAD src0_sel:DWORD src1_sel:WORD_1
	v_bfrev_b32_e32 v17, 60
	v_lshlrev_b32_e32 v15, 20, v15
	v_and_b32_e32 v16, 0x80000000, v16
	v_lshl_add_u32 v14, v14, 23, v17
	v_or3_b32 v17, v16, v14, v15
.LBB528_606:
	s_or_b64 exec, exec, s[26:27]
.LBB528_607:
	s_or_b64 exec, exec, s[24:25]
.LBB528_608:
	s_or_b64 exec, exec, s[14:15]
	s_mov_b32 s11, 0xffffff
	v_cmp_lt_u32_e64 s[12:13], s11, v10
	v_mov_b32_e32 v15, 0
	v_mov_b32_e32 v20, 0
	s_and_saveexec_b64 s[14:15], s[12:13]
	s_cbranch_execz .LBB528_614
; %bb.609:
	v_lshrrev_b32_e32 v14, 24, v10
	s_movk_i32 s11, 0x80
	v_cmp_ne_u32_e64 s[12:13], s11, v14
	v_bfrev_b32_e32 v20, 1
	s_and_saveexec_b64 s[24:25], s[12:13]
	s_cbranch_execz .LBB528_613
; %bb.610:
	v_bfe_u32 v16, v10, 24, 7
	s_movk_i32 s11, 0x7f
	v_cmp_ne_u32_e64 s[12:13], s11, v16
	v_mov_b32_e32 v20, 0x7f800001
	s_and_saveexec_b64 s[26:27], s[12:13]
	s_cbranch_execz .LBB528_612
; %bb.611:
	v_and_b32_e32 v22, 7, v14
	v_ffbh_u32_e32 v20, v22
	v_min_u32_e32 v24, 32, v20
	v_subrev_u32_e32 v20, 28, v24
	v_lshlrev_b64 v[20:21], v20, v[14:15]
	v_lshrrev_b32_e32 v23, 3, v16
	v_sub_u32_e32 v21, 29, v24
	v_and_b32_e32 v20, 7, v20
	v_cmp_gt_u32_e64 s[12:13], 8, v16
	v_cndmask_b32_e64 v16, v23, v21, s[12:13]
	v_cndmask_b32_e64 v20, v22, v20, s[12:13]
	v_lshlrev_b32_e32 v14, 24, v14
	v_bfrev_b32_e32 v21, 60
	v_lshlrev_b32_e32 v20, 20, v20
	v_and_b32_e32 v14, 0x80000000, v14
	v_lshl_add_u32 v16, v16, 23, v21
	v_or3_b32 v20, v14, v16, v20
.LBB528_612:
	s_or_b64 exec, exec, s[26:27]
.LBB528_613:
	s_or_b64 exec, exec, s[24:25]
.LBB528_614:
	s_or_b64 exec, exec, s[14:15]
	v_mov_b32_e32 v14, v11
	v_cmp_ne_u16_sdwa s[12:13], v11, v15 src0_sel:BYTE_0 src1_sel:DWORD
	s_and_saveexec_b64 s[14:15], s[12:13]
	s_cbranch_execz .LBB528_620
; %bb.615:
	s_movk_i32 s11, 0x80
	v_cmp_ne_u16_sdwa s[12:13], v11, s11 src0_sel:BYTE_0 src1_sel:DWORD
	v_bfrev_b32_e32 v16, 1
	s_and_saveexec_b64 s[24:25], s[12:13]
	s_cbranch_execz .LBB528_619
; %bb.616:
	s_movk_i32 s11, 0x7f
	v_and_b32_e32 v21, 0x7f, v11
	v_cmp_ne_u32_e64 s[12:13], s11, v21
	v_mov_b32_e32 v16, 0x7f800001
	s_and_saveexec_b64 s[26:27], s[12:13]
	s_cbranch_execz .LBB528_618
; %bb.617:
	v_and_b32_e32 v16, 7, v11
	v_ffbh_u32_e32 v16, v16
	v_min_u32_e32 v16, 32, v16
	v_subrev_u32_e32 v23, 28, v16
	v_cmp_gt_u32_e64 s[12:13], 8, v21
	v_lshrrev_b32_e32 v22, 3, v21
	v_sub_u32_e32 v16, 29, v16
	v_cndmask_b32_e64 v21, 0, v23, s[12:13]
	v_cndmask_b32_e64 v16, v22, v16, s[12:13]
	v_lshlrev_b64 v[22:23], v21, v[14:15]
	v_lshlrev_b32_e32 v15, 20, v22
	v_lshlrev_b32_e32 v21, 24, v14
	v_bfrev_b32_e32 v22, 60
	v_and_b32_e32 v15, 0x700000, v15
	v_and_b32_e32 v21, 0x80000000, v21
	v_lshl_add_u32 v16, v16, 23, v22
	v_or3_b32 v16, v21, v16, v15
.LBB528_618:
	s_or_b64 exec, exec, s[26:27]
.LBB528_619:
	s_or_b64 exec, exec, s[24:25]
	v_mov_b32_e32 v15, v16
.LBB528_620:
	s_or_b64 exec, exec, s[14:15]
	v_lshrrev_b16_e32 v16, 8, v14
	v_cmp_ne_u16_e64 s[12:13], 0, v16
	v_mov_b32_e32 v21, 0
	v_mov_b32_e32 v22, 0
	s_and_saveexec_b64 s[14:15], s[12:13]
	s_cbranch_execz .LBB528_626
; %bb.621:
	s_movk_i32 s11, 0x80
	v_cmp_ne_u16_e64 s[12:13], s11, v16
	v_bfrev_b32_e32 v22, 1
	s_and_saveexec_b64 s[24:25], s[12:13]
	s_cbranch_execz .LBB528_625
; %bb.622:
	s_movk_i32 s11, 0x7f
	v_and_b32_e32 v23, 0x7f, v16
	v_cmp_ne_u32_e64 s[12:13], s11, v23
	v_mov_b32_e32 v22, 0x7f800001
	s_and_saveexec_b64 s[26:27], s[12:13]
	s_cbranch_execz .LBB528_624
; %bb.623:
	v_and_b32_e32 v22, 7, v16
	v_ffbh_u32_e32 v24, v22
	v_min_u32_e32 v27, 32, v24
	v_subrev_u32_e32 v24, 28, v27
	v_lshlrev_b64 v[24:25], v24, v[16:17]
	v_lshrrev_b32_e32 v26, 3, v23
	v_sub_u32_e32 v16, 29, v27
	v_and_b32_e32 v24, 7, v24
	v_cmp_gt_u32_e64 s[12:13], 8, v23
	v_cndmask_b32_e64 v16, v26, v16, s[12:13]
	v_cndmask_b32_e64 v22, v22, v24, s[12:13]
	v_lshlrev_b32_e32 v14, 16, v14
	v_bfrev_b32_e32 v23, 60
	v_lshlrev_b32_e32 v22, 20, v22
	v_and_b32_e32 v14, 0x80000000, v14
	v_lshl_add_u32 v16, v16, 23, v23
	v_or3_b32 v22, v14, v16, v22
.LBB528_624:
	s_or_b64 exec, exec, s[26:27]
.LBB528_625:
	s_or_b64 exec, exec, s[24:25]
.LBB528_626:
	s_or_b64 exec, exec, s[14:15]
	s_movk_i32 s11, 0xff
	v_and_b32_sdwa v16, v11, s11 dst_sel:DWORD dst_unused:UNUSED_PAD src0_sel:WORD_1 src1_sel:DWORD
	v_lshrrev_b32_e32 v14, 16, v11
	v_cmp_ne_u16_e64 s[12:13], 0, v16
	s_and_saveexec_b64 s[14:15], s[12:13]
	s_cbranch_execz .LBB528_632
; %bb.627:
	s_movk_i32 s11, 0x80
	v_cmp_ne_u16_e64 s[12:13], s11, v16
	v_bfrev_b32_e32 v21, 1
	s_and_saveexec_b64 s[24:25], s[12:13]
	s_cbranch_execz .LBB528_631
; %bb.628:
	v_bfe_u32 v16, v11, 16, 7
	s_movk_i32 s11, 0x7f
	v_cmp_ne_u32_e64 s[12:13], s11, v16
	v_mov_b32_e32 v21, 0x7f800001
	s_and_saveexec_b64 s[26:27], s[12:13]
	s_cbranch_execz .LBB528_630
; %bb.629:
	v_and_b32_e32 v21, 7, v14
	v_ffbh_u32_e32 v24, v21
	v_min_u32_e32 v26, 32, v24
	v_subrev_u32_e32 v24, 28, v26
	v_lshlrev_b64 v[24:25], v24, v[14:15]
	v_and_b32_e32 v24, 7, v24
	v_cmp_gt_u32_e64 s[12:13], 8, v16
	v_lshrrev_b32_e32 v23, 3, v16
	v_sub_u32_e32 v14, 29, v26
	v_cndmask_b32_e64 v16, v21, v24, s[12:13]
	v_mov_b32_e32 v21, 24
	v_cndmask_b32_e64 v14, v23, v14, s[12:13]
	v_lshlrev_b32_sdwa v21, v21, v11 dst_sel:DWORD dst_unused:UNUSED_PAD src0_sel:DWORD src1_sel:WORD_1
	v_bfrev_b32_e32 v23, 60
	v_lshlrev_b32_e32 v16, 20, v16
	v_and_b32_e32 v21, 0x80000000, v21
	v_lshl_add_u32 v14, v14, 23, v23
	v_or3_b32 v21, v21, v14, v16
.LBB528_630:
	s_or_b64 exec, exec, s[26:27]
.LBB528_631:
	s_or_b64 exec, exec, s[24:25]
.LBB528_632:
	s_or_b64 exec, exec, s[14:15]
	s_mov_b32 s12, -1
	s_mov_b32 s13, 0xffffff
	v_cmp_lt_u64_e64 s[12:13], s[12:13], v[10:11]
	v_mov_b32_e32 v16, 0
	v_mov_b32_e32 v14, 0
	s_and_saveexec_b64 s[14:15], s[12:13]
	s_cbranch_execz .LBB528_638
; %bb.633:
	v_lshrrev_b32_e32 v10, 24, v11
	s_movk_i32 s11, 0x80
	v_cmp_ne_u32_e64 s[12:13], s11, v10
	v_bfrev_b32_e32 v14, 1
	s_and_saveexec_b64 s[24:25], s[12:13]
	s_cbranch_execz .LBB528_637
; %bb.634:
	v_bfe_u32 v11, v11, 24, 7
	s_movk_i32 s11, 0x7f
	v_cmp_ne_u32_e64 s[12:13], s11, v11
	v_mov_b32_e32 v14, 0x7f800001
	s_and_saveexec_b64 s[26:27], s[12:13]
	s_cbranch_execz .LBB528_636
; %bb.635:
	v_and_b32_e32 v14, 7, v10
	v_ffbh_u32_e32 v24, v14
	v_min_u32_e32 v26, 32, v24
	v_subrev_u32_e32 v24, 28, v26
	v_lshlrev_b64 v[24:25], v24, v[10:11]
	v_lshrrev_b32_e32 v23, 3, v11
	v_sub_u32_e32 v25, 29, v26
	v_and_b32_e32 v24, 7, v24
	v_cmp_gt_u32_e64 s[12:13], 8, v11
	v_cndmask_b32_e64 v11, v23, v25, s[12:13]
	v_cndmask_b32_e64 v14, v14, v24, s[12:13]
	v_lshlrev_b32_e32 v10, 24, v10
	v_bfrev_b32_e32 v23, 60
	v_lshlrev_b32_e32 v14, 20, v14
	v_and_b32_e32 v10, 0x80000000, v10
	v_lshl_add_u32 v11, v11, 23, v23
	v_or3_b32 v14, v10, v11, v14
.LBB528_636:
	s_or_b64 exec, exec, s[26:27]
.LBB528_637:
	s_or_b64 exec, exec, s[24:25]
.LBB528_638:
	s_or_b64 exec, exec, s[14:15]
	v_cvt_pkrtz_f16_f32 v10, v18, v19
	v_cvt_pkrtz_f16_f32 v11, v17, v20
	v_cvt_pkrtz_f16_f32 v18, v15, v22
	v_cvt_pkrtz_f16_f32 v19, v21, v14
	v_mfma_f32_4x4x4f16 a[0:3], v[2:3], v[10:11], a[0:3] cbsz:4 abid:12
	v_cmp_ne_u16_sdwa s[12:13], v12, v16 src0_sel:BYTE_0 src1_sel:DWORD
	v_mfma_f32_4x4x4f16 a[0:3], v[4:5], v[18:19], a[0:3] cbsz:4 abid:12
	s_and_saveexec_b64 s[14:15], s[12:13]
	s_cbranch_execz .LBB528_644
; %bb.639:
	s_movk_i32 s11, 0x80
	v_cmp_ne_u16_sdwa s[12:13], v12, s11 src0_sel:BYTE_0 src1_sel:DWORD
	v_bfrev_b32_e32 v16, 1
	s_and_saveexec_b64 s[24:25], s[12:13]
	s_cbranch_execz .LBB528_643
; %bb.640:
	s_movk_i32 s11, 0x7f
	v_and_b32_e32 v10, 0x7f, v12
	v_cmp_ne_u32_e64 s[12:13], s11, v10
	v_mov_b32_e32 v16, 0x7f800001
	s_and_saveexec_b64 s[26:27], s[12:13]
	s_cbranch_execz .LBB528_642
; %bb.641:
	v_and_b32_e32 v11, 7, v12
	v_ffbh_u32_e32 v11, v11
	v_min_u32_e32 v11, 32, v11
	v_subrev_u32_e32 v15, 28, v11
	v_cmp_gt_u32_e64 s[12:13], 8, v10
	v_lshrrev_b32_e32 v14, 3, v10
	v_sub_u32_e32 v11, 29, v11
	v_cndmask_b32_e64 v10, 0, v15, s[12:13]
	v_cndmask_b32_e64 v14, v14, v11, s[12:13]
	v_lshlrev_b64 v[10:11], v10, v[12:13]
	v_lshlrev_b32_e32 v10, 20, v10
	v_lshlrev_b32_e32 v11, 24, v12
	v_bfrev_b32_e32 v15, 60
	v_and_b32_e32 v10, 0x700000, v10
	v_and_b32_e32 v11, 0x80000000, v11
	v_lshl_add_u32 v14, v14, 23, v15
	v_or3_b32 v16, v11, v14, v10
.LBB528_642:
	s_or_b64 exec, exec, s[26:27]
.LBB528_643:
	s_or_b64 exec, exec, s[24:25]
.LBB528_644:
	s_or_b64 exec, exec, s[14:15]
	v_lshrrev_b16_e32 v10, 8, v12
	v_cmp_ne_u16_e64 s[12:13], 0, v10
	v_mov_b32_e32 v15, 0
	v_mov_b32_e32 v17, 0
	s_and_saveexec_b64 s[14:15], s[12:13]
	s_cbranch_execz .LBB528_650
; %bb.645:
	s_movk_i32 s11, 0x80
	v_cmp_ne_u16_e64 s[12:13], s11, v10
	v_bfrev_b32_e32 v17, 1
	s_and_saveexec_b64 s[24:25], s[12:13]
	s_cbranch_execz .LBB528_649
; %bb.646:
	s_movk_i32 s11, 0x7f
	v_and_b32_e32 v11, 0x7f, v10
	v_cmp_ne_u32_e64 s[12:13], s11, v11
	v_mov_b32_e32 v17, 0x7f800001
	s_and_saveexec_b64 s[26:27], s[12:13]
	s_cbranch_execz .LBB528_648
; %bb.647:
	v_and_b32_e32 v14, 7, v10
	v_ffbh_u32_e32 v18, v14
	v_min_u32_e32 v20, 32, v18
	v_subrev_u32_e32 v18, 28, v20
	v_lshlrev_b64 v[18:19], v18, v[10:11]
	v_lshrrev_b32_e32 v17, 3, v11
	v_sub_u32_e32 v10, 29, v20
	v_and_b32_e32 v18, 7, v18
	v_cmp_gt_u32_e64 s[12:13], 8, v11
	v_cndmask_b32_e64 v10, v17, v10, s[12:13]
	v_cndmask_b32_e64 v11, v14, v18, s[12:13]
	v_lshlrev_b32_e32 v14, 16, v12
	v_bfrev_b32_e32 v17, 60
	v_lshlrev_b32_e32 v11, 20, v11
	v_and_b32_e32 v14, 0x80000000, v14
	v_lshl_add_u32 v10, v10, 23, v17
	v_or3_b32 v17, v14, v10, v11
.LBB528_648:
	s_or_b64 exec, exec, s[26:27]
.LBB528_649:
	s_or_b64 exec, exec, s[24:25]
.LBB528_650:
	s_or_b64 exec, exec, s[14:15]
	s_movk_i32 s11, 0xff
	v_and_b32_sdwa v11, v12, s11 dst_sel:DWORD dst_unused:UNUSED_PAD src0_sel:WORD_1 src1_sel:DWORD
	v_lshrrev_b32_e32 v10, 16, v12
	v_cmp_ne_u16_e64 s[12:13], 0, v11
	s_and_saveexec_b64 s[14:15], s[12:13]
	s_cbranch_execz .LBB528_656
; %bb.651:
	s_movk_i32 s11, 0x80
	v_cmp_ne_u16_e64 s[12:13], s11, v11
	v_bfrev_b32_e32 v15, 1
	s_and_saveexec_b64 s[24:25], s[12:13]
	s_cbranch_execz .LBB528_655
; %bb.652:
	v_bfe_u32 v11, v12, 16, 7
	s_movk_i32 s11, 0x7f
	v_cmp_ne_u32_e64 s[12:13], s11, v11
	v_mov_b32_e32 v15, 0x7f800001
	s_and_saveexec_b64 s[26:27], s[12:13]
	s_cbranch_execz .LBB528_654
; %bb.653:
	v_and_b32_e32 v18, 7, v10
	v_ffbh_u32_e32 v14, v18
	v_min_u32_e32 v20, 32, v14
	v_subrev_u32_e32 v14, 28, v20
	v_lshlrev_b64 v[14:15], v14, v[10:11]
	v_and_b32_e32 v14, 7, v14
	v_cmp_gt_u32_e64 s[12:13], 8, v11
	v_lshrrev_b32_e32 v19, 3, v11
	v_sub_u32_e32 v10, 29, v20
	v_cndmask_b32_e64 v11, v18, v14, s[12:13]
	v_mov_b32_e32 v14, 24
	v_cndmask_b32_e64 v10, v19, v10, s[12:13]
	v_lshlrev_b32_sdwa v14, v14, v12 dst_sel:DWORD dst_unused:UNUSED_PAD src0_sel:DWORD src1_sel:WORD_1
	v_bfrev_b32_e32 v15, 60
	v_lshlrev_b32_e32 v11, 20, v11
	v_and_b32_e32 v14, 0x80000000, v14
	v_lshl_add_u32 v10, v10, 23, v15
	v_or3_b32 v15, v14, v10, v11
.LBB528_654:
	s_or_b64 exec, exec, s[26:27]
.LBB528_655:
	s_or_b64 exec, exec, s[24:25]
.LBB528_656:
	s_or_b64 exec, exec, s[14:15]
	s_mov_b32 s11, 0xffffff
	v_cmp_lt_u32_e64 s[12:13], s11, v12
	v_mov_b32_e32 v11, 0
	v_mov_b32_e32 v18, 0
	s_and_saveexec_b64 s[14:15], s[12:13]
	s_cbranch_execz .LBB528_662
; %bb.657:
	v_lshrrev_b32_e32 v10, 24, v12
	s_movk_i32 s11, 0x80
	v_cmp_ne_u32_e64 s[12:13], s11, v10
	v_bfrev_b32_e32 v18, 1
	s_and_saveexec_b64 s[24:25], s[12:13]
	s_cbranch_execz .LBB528_661
; %bb.658:
	v_bfe_u32 v14, v12, 24, 7
	s_movk_i32 s11, 0x7f
	v_cmp_ne_u32_e64 s[12:13], s11, v14
	v_mov_b32_e32 v18, 0x7f800001
	s_and_saveexec_b64 s[26:27], s[12:13]
	s_cbranch_execz .LBB528_660
; %bb.659:
	v_and_b32_e32 v20, 7, v10
	v_ffbh_u32_e32 v18, v20
	v_min_u32_e32 v22, 32, v18
	v_subrev_u32_e32 v18, 28, v22
	v_lshlrev_b64 v[18:19], v18, v[10:11]
	v_lshrrev_b32_e32 v21, 3, v14
	v_sub_u32_e32 v19, 29, v22
	v_and_b32_e32 v18, 7, v18
	v_cmp_gt_u32_e64 s[12:13], 8, v14
	v_cndmask_b32_e64 v14, v21, v19, s[12:13]
	v_cndmask_b32_e64 v18, v20, v18, s[12:13]
	v_lshlrev_b32_e32 v10, 24, v10
	v_bfrev_b32_e32 v19, 60
	v_lshlrev_b32_e32 v18, 20, v18
	v_and_b32_e32 v10, 0x80000000, v10
	v_lshl_add_u32 v14, v14, 23, v19
	v_or3_b32 v18, v10, v14, v18
.LBB528_660:
	s_or_b64 exec, exec, s[26:27]
.LBB528_661:
	s_or_b64 exec, exec, s[24:25]
.LBB528_662:
	s_or_b64 exec, exec, s[14:15]
	v_mov_b32_e32 v10, v13
	v_cmp_ne_u16_sdwa s[12:13], v13, v11 src0_sel:BYTE_0 src1_sel:DWORD
	s_and_saveexec_b64 s[14:15], s[12:13]
	s_cbranch_execz .LBB528_668
; %bb.663:
	s_movk_i32 s11, 0x80
	v_cmp_ne_u16_sdwa s[12:13], v13, s11 src0_sel:BYTE_0 src1_sel:DWORD
	v_bfrev_b32_e32 v14, 1
	s_and_saveexec_b64 s[24:25], s[12:13]
	s_cbranch_execz .LBB528_667
; %bb.664:
	s_movk_i32 s11, 0x7f
	v_and_b32_e32 v19, 0x7f, v13
	v_cmp_ne_u32_e64 s[12:13], s11, v19
	v_mov_b32_e32 v14, 0x7f800001
	s_and_saveexec_b64 s[26:27], s[12:13]
	s_cbranch_execz .LBB528_666
; %bb.665:
	v_and_b32_e32 v14, 7, v13
	v_ffbh_u32_e32 v14, v14
	v_min_u32_e32 v14, 32, v14
	v_subrev_u32_e32 v21, 28, v14
	v_cmp_gt_u32_e64 s[12:13], 8, v19
	v_lshrrev_b32_e32 v20, 3, v19
	v_sub_u32_e32 v14, 29, v14
	v_cndmask_b32_e64 v19, 0, v21, s[12:13]
	v_cndmask_b32_e64 v14, v20, v14, s[12:13]
	v_lshlrev_b64 v[20:21], v19, v[10:11]
	v_lshlrev_b32_e32 v11, 20, v20
	v_lshlrev_b32_e32 v19, 24, v10
	v_bfrev_b32_e32 v20, 60
	v_and_b32_e32 v11, 0x700000, v11
	v_and_b32_e32 v19, 0x80000000, v19
	v_lshl_add_u32 v14, v14, 23, v20
	v_or3_b32 v14, v19, v14, v11
.LBB528_666:
	s_or_b64 exec, exec, s[26:27]
.LBB528_667:
	s_or_b64 exec, exec, s[24:25]
	v_mov_b32_e32 v11, v14
.LBB528_668:
	s_or_b64 exec, exec, s[14:15]
	v_lshrrev_b16_e32 v14, 8, v10
	v_cmp_ne_u16_e64 s[12:13], 0, v14
	v_mov_b32_e32 v19, 0
	v_mov_b32_e32 v20, 0
	s_and_saveexec_b64 s[14:15], s[12:13]
	s_cbranch_execz .LBB528_674
; %bb.669:
	s_movk_i32 s11, 0x80
	v_cmp_ne_u16_e64 s[12:13], s11, v14
	v_bfrev_b32_e32 v20, 1
	s_and_saveexec_b64 s[24:25], s[12:13]
	s_cbranch_execz .LBB528_673
; %bb.670:
	s_movk_i32 s11, 0x7f
	v_and_b32_e32 v21, 0x7f, v14
	v_cmp_ne_u32_e64 s[12:13], s11, v21
	v_mov_b32_e32 v20, 0x7f800001
	s_and_saveexec_b64 s[26:27], s[12:13]
	s_cbranch_execz .LBB528_672
; %bb.671:
	v_and_b32_e32 v20, 7, v14
	v_ffbh_u32_e32 v22, v20
	v_min_u32_e32 v25, 32, v22
	v_subrev_u32_e32 v22, 28, v25
	v_lshlrev_b64 v[22:23], v22, v[14:15]
	v_lshrrev_b32_e32 v24, 3, v21
	v_sub_u32_e32 v14, 29, v25
	v_and_b32_e32 v22, 7, v22
	v_cmp_gt_u32_e64 s[12:13], 8, v21
	v_cndmask_b32_e64 v14, v24, v14, s[12:13]
	v_cndmask_b32_e64 v20, v20, v22, s[12:13]
	v_lshlrev_b32_e32 v10, 16, v10
	v_bfrev_b32_e32 v21, 60
	v_lshlrev_b32_e32 v20, 20, v20
	v_and_b32_e32 v10, 0x80000000, v10
	v_lshl_add_u32 v14, v14, 23, v21
	v_or3_b32 v20, v10, v14, v20
.LBB528_672:
	s_or_b64 exec, exec, s[26:27]
.LBB528_673:
	s_or_b64 exec, exec, s[24:25]
.LBB528_674:
	s_or_b64 exec, exec, s[14:15]
	s_movk_i32 s11, 0xff
	v_and_b32_sdwa v14, v13, s11 dst_sel:DWORD dst_unused:UNUSED_PAD src0_sel:WORD_1 src1_sel:DWORD
	v_lshrrev_b32_e32 v10, 16, v13
	v_cmp_ne_u16_e64 s[12:13], 0, v14
	s_and_saveexec_b64 s[14:15], s[12:13]
	s_cbranch_execz .LBB528_680
; %bb.675:
	s_movk_i32 s11, 0x80
	v_cmp_ne_u16_e64 s[12:13], s11, v14
	v_bfrev_b32_e32 v19, 1
	s_and_saveexec_b64 s[24:25], s[12:13]
	s_cbranch_execz .LBB528_679
; %bb.676:
	v_bfe_u32 v14, v13, 16, 7
	s_movk_i32 s11, 0x7f
	v_cmp_ne_u32_e64 s[12:13], s11, v14
	v_mov_b32_e32 v19, 0x7f800001
	s_and_saveexec_b64 s[26:27], s[12:13]
	s_cbranch_execz .LBB528_678
; %bb.677:
	v_and_b32_e32 v19, 7, v10
	v_ffbh_u32_e32 v22, v19
	v_min_u32_e32 v24, 32, v22
	v_subrev_u32_e32 v22, 28, v24
	v_lshlrev_b64 v[22:23], v22, v[10:11]
	v_and_b32_e32 v22, 7, v22
	v_cmp_gt_u32_e64 s[12:13], 8, v14
	v_lshrrev_b32_e32 v21, 3, v14
	v_sub_u32_e32 v10, 29, v24
	v_cndmask_b32_e64 v14, v19, v22, s[12:13]
	v_mov_b32_e32 v19, 24
	v_cndmask_b32_e64 v10, v21, v10, s[12:13]
	v_lshlrev_b32_sdwa v19, v19, v13 dst_sel:DWORD dst_unused:UNUSED_PAD src0_sel:DWORD src1_sel:WORD_1
	v_bfrev_b32_e32 v21, 60
	v_lshlrev_b32_e32 v14, 20, v14
	v_and_b32_e32 v19, 0x80000000, v19
	v_lshl_add_u32 v10, v10, 23, v21
	v_or3_b32 v19, v19, v10, v14
.LBB528_678:
	s_or_b64 exec, exec, s[26:27]
.LBB528_679:
	s_or_b64 exec, exec, s[24:25]
.LBB528_680:
	s_or_b64 exec, exec, s[14:15]
	s_mov_b32 s12, -1
	s_mov_b32 s13, 0xffffff
	v_cmp_lt_u64_e64 s[12:13], s[12:13], v[12:13]
	v_mov_b32_e32 v14, 0
	v_mov_b32_e32 v12, 0
	s_and_saveexec_b64 s[14:15], s[12:13]
	s_cbranch_execz .LBB528_686
; %bb.681:
	v_lshrrev_b32_e32 v10, 24, v13
	s_movk_i32 s11, 0x80
	v_cmp_ne_u32_e64 s[12:13], s11, v10
	v_bfrev_b32_e32 v12, 1
	s_and_saveexec_b64 s[24:25], s[12:13]
	s_cbranch_execz .LBB528_685
; %bb.682:
	v_bfe_u32 v13, v13, 24, 7
	s_movk_i32 s11, 0x7f
	v_cmp_ne_u32_e64 s[12:13], s11, v13
	v_mov_b32_e32 v12, 0x7f800001
	s_and_saveexec_b64 s[26:27], s[12:13]
	s_cbranch_execz .LBB528_684
; %bb.683:
	v_and_b32_e32 v12, 7, v10
	v_ffbh_u32_e32 v22, v12
	v_min_u32_e32 v24, 32, v22
	v_subrev_u32_e32 v22, 28, v24
	v_lshlrev_b64 v[22:23], v22, v[10:11]
	v_lshrrev_b32_e32 v21, 3, v13
	v_sub_u32_e32 v23, 29, v24
	v_and_b32_e32 v22, 7, v22
	v_cmp_gt_u32_e64 s[12:13], 8, v13
	v_cndmask_b32_e64 v13, v21, v23, s[12:13]
	v_cndmask_b32_e64 v12, v12, v22, s[12:13]
	v_lshlrev_b32_e32 v10, 24, v10
	v_bfrev_b32_e32 v21, 60
	v_lshlrev_b32_e32 v12, 20, v12
	v_and_b32_e32 v10, 0x80000000, v10
	v_lshl_add_u32 v13, v13, 23, v21
	v_or3_b32 v12, v10, v13, v12
.LBB528_684:
	s_or_b64 exec, exec, s[26:27]
.LBB528_685:
	s_or_b64 exec, exec, s[24:25]
.LBB528_686:
	s_or_b64 exec, exec, s[14:15]
	v_cvt_pkrtz_f16_f32 v16, v16, v17
	v_cvt_pkrtz_f16_f32 v17, v15, v18
	;; [unrolled: 1-line block ×4, first 2 shown]
	v_mfma_f32_4x4x4f16 a[0:3], v[2:3], v[16:17], a[0:3] cbsz:4 abid:13
	s_waitcnt vmcnt(24)
	v_cmp_ne_u16_sdwa s[12:13], v6, v14 src0_sel:BYTE_0 src1_sel:DWORD
	v_mfma_f32_4x4x4f16 a[0:3], v[4:5], v[10:11], a[0:3] cbsz:4 abid:13
	s_and_saveexec_b64 s[14:15], s[12:13]
	s_cbranch_execz .LBB528_692
; %bb.687:
	s_movk_i32 s11, 0x80
	v_cmp_ne_u16_sdwa s[12:13], v6, s11 src0_sel:BYTE_0 src1_sel:DWORD
	v_bfrev_b32_e32 v14, 1
	s_and_saveexec_b64 s[24:25], s[12:13]
	s_cbranch_execz .LBB528_691
; %bb.688:
	s_movk_i32 s11, 0x7f
	v_and_b32_e32 v10, 0x7f, v6
	v_cmp_ne_u32_e64 s[12:13], s11, v10
	v_mov_b32_e32 v14, 0x7f800001
	s_and_saveexec_b64 s[26:27], s[12:13]
	s_cbranch_execz .LBB528_690
; %bb.689:
	v_and_b32_e32 v11, 7, v6
	v_ffbh_u32_e32 v11, v11
	v_min_u32_e32 v11, 32, v11
	v_subrev_u32_e32 v13, 28, v11
	v_cmp_gt_u32_e64 s[12:13], 8, v10
	v_lshrrev_b32_e32 v12, 3, v10
	v_sub_u32_e32 v11, 29, v11
	v_cndmask_b32_e64 v10, 0, v13, s[12:13]
	v_cndmask_b32_e64 v12, v12, v11, s[12:13]
	v_lshlrev_b64 v[10:11], v10, v[6:7]
	v_lshlrev_b32_e32 v10, 20, v10
	v_lshlrev_b32_e32 v11, 24, v6
	v_bfrev_b32_e32 v13, 60
	v_and_b32_e32 v10, 0x700000, v10
	v_and_b32_e32 v11, 0x80000000, v11
	v_lshl_add_u32 v12, v12, 23, v13
	v_or3_b32 v14, v11, v12, v10
.LBB528_690:
	s_or_b64 exec, exec, s[26:27]
.LBB528_691:
	s_or_b64 exec, exec, s[24:25]
.LBB528_692:
	s_or_b64 exec, exec, s[14:15]
	v_lshrrev_b16_e32 v10, 8, v6
	v_cmp_ne_u16_e64 s[12:13], 0, v10
	v_mov_b32_e32 v13, 0
	v_mov_b32_e32 v15, 0
	s_and_saveexec_b64 s[14:15], s[12:13]
	s_cbranch_execz .LBB528_698
; %bb.693:
	s_movk_i32 s11, 0x80
	v_cmp_ne_u16_e64 s[12:13], s11, v10
	v_bfrev_b32_e32 v15, 1
	s_and_saveexec_b64 s[24:25], s[12:13]
	s_cbranch_execz .LBB528_697
; %bb.694:
	s_movk_i32 s11, 0x7f
	v_and_b32_e32 v11, 0x7f, v10
	v_cmp_ne_u32_e64 s[12:13], s11, v11
	v_mov_b32_e32 v15, 0x7f800001
	s_and_saveexec_b64 s[26:27], s[12:13]
	s_cbranch_execz .LBB528_696
; %bb.695:
	v_and_b32_e32 v12, 7, v10
	v_ffbh_u32_e32 v16, v12
	v_min_u32_e32 v18, 32, v16
	v_subrev_u32_e32 v16, 28, v18
	v_lshlrev_b64 v[16:17], v16, v[10:11]
	v_lshrrev_b32_e32 v15, 3, v11
	v_sub_u32_e32 v10, 29, v18
	v_and_b32_e32 v16, 7, v16
	v_cmp_gt_u32_e64 s[12:13], 8, v11
	v_cndmask_b32_e64 v10, v15, v10, s[12:13]
	v_cndmask_b32_e64 v11, v12, v16, s[12:13]
	v_lshlrev_b32_e32 v12, 16, v6
	v_bfrev_b32_e32 v15, 60
	v_lshlrev_b32_e32 v11, 20, v11
	v_and_b32_e32 v12, 0x80000000, v12
	v_lshl_add_u32 v10, v10, 23, v15
	v_or3_b32 v15, v12, v10, v11
.LBB528_696:
	s_or_b64 exec, exec, s[26:27]
.LBB528_697:
	s_or_b64 exec, exec, s[24:25]
.LBB528_698:
	s_or_b64 exec, exec, s[14:15]
	s_movk_i32 s11, 0xff
	v_and_b32_sdwa v11, v6, s11 dst_sel:DWORD dst_unused:UNUSED_PAD src0_sel:WORD_1 src1_sel:DWORD
	v_lshrrev_b32_e32 v10, 16, v6
	v_cmp_ne_u16_e64 s[12:13], 0, v11
	s_and_saveexec_b64 s[14:15], s[12:13]
	s_cbranch_execz .LBB528_704
; %bb.699:
	s_movk_i32 s11, 0x80
	v_cmp_ne_u16_e64 s[12:13], s11, v11
	v_bfrev_b32_e32 v13, 1
	s_and_saveexec_b64 s[24:25], s[12:13]
	s_cbranch_execz .LBB528_703
; %bb.700:
	v_bfe_u32 v11, v6, 16, 7
	s_movk_i32 s11, 0x7f
	v_cmp_ne_u32_e64 s[12:13], s11, v11
	v_mov_b32_e32 v13, 0x7f800001
	s_and_saveexec_b64 s[26:27], s[12:13]
	s_cbranch_execz .LBB528_702
; %bb.701:
	v_and_b32_e32 v16, 7, v10
	v_ffbh_u32_e32 v12, v16
	v_min_u32_e32 v18, 32, v12
	v_subrev_u32_e32 v12, 28, v18
	v_lshlrev_b64 v[12:13], v12, v[10:11]
	v_and_b32_e32 v12, 7, v12
	v_cmp_gt_u32_e64 s[12:13], 8, v11
	v_lshrrev_b32_e32 v17, 3, v11
	v_sub_u32_e32 v10, 29, v18
	v_cndmask_b32_e64 v11, v16, v12, s[12:13]
	v_mov_b32_e32 v12, 24
	v_cndmask_b32_e64 v10, v17, v10, s[12:13]
	v_lshlrev_b32_sdwa v12, v12, v6 dst_sel:DWORD dst_unused:UNUSED_PAD src0_sel:DWORD src1_sel:WORD_1
	v_bfrev_b32_e32 v13, 60
	v_lshlrev_b32_e32 v11, 20, v11
	v_and_b32_e32 v12, 0x80000000, v12
	v_lshl_add_u32 v10, v10, 23, v13
	v_or3_b32 v13, v12, v10, v11
.LBB528_702:
	s_or_b64 exec, exec, s[26:27]
.LBB528_703:
	s_or_b64 exec, exec, s[24:25]
.LBB528_704:
	s_or_b64 exec, exec, s[14:15]
	s_mov_b32 s11, 0xffffff
	v_cmp_lt_u32_e64 s[12:13], s11, v6
	v_mov_b32_e32 v11, 0
	v_mov_b32_e32 v16, 0
	s_and_saveexec_b64 s[14:15], s[12:13]
	s_cbranch_execz .LBB528_710
; %bb.705:
	v_lshrrev_b32_e32 v10, 24, v6
	s_movk_i32 s11, 0x80
	v_cmp_ne_u32_e64 s[12:13], s11, v10
	v_bfrev_b32_e32 v16, 1
	s_and_saveexec_b64 s[24:25], s[12:13]
	s_cbranch_execz .LBB528_709
; %bb.706:
	v_bfe_u32 v12, v6, 24, 7
	s_movk_i32 s11, 0x7f
	v_cmp_ne_u32_e64 s[12:13], s11, v12
	v_mov_b32_e32 v16, 0x7f800001
	s_and_saveexec_b64 s[26:27], s[12:13]
	s_cbranch_execz .LBB528_708
; %bb.707:
	v_and_b32_e32 v18, 7, v10
	v_ffbh_u32_e32 v16, v18
	v_min_u32_e32 v20, 32, v16
	v_subrev_u32_e32 v16, 28, v20
	v_lshlrev_b64 v[16:17], v16, v[10:11]
	v_lshrrev_b32_e32 v19, 3, v12
	v_sub_u32_e32 v17, 29, v20
	v_and_b32_e32 v16, 7, v16
	v_cmp_gt_u32_e64 s[12:13], 8, v12
	v_cndmask_b32_e64 v12, v19, v17, s[12:13]
	v_cndmask_b32_e64 v16, v18, v16, s[12:13]
	v_lshlrev_b32_e32 v10, 24, v10
	v_bfrev_b32_e32 v17, 60
	v_lshlrev_b32_e32 v16, 20, v16
	v_and_b32_e32 v10, 0x80000000, v10
	v_lshl_add_u32 v12, v12, 23, v17
	v_or3_b32 v16, v10, v12, v16
.LBB528_708:
	s_or_b64 exec, exec, s[26:27]
.LBB528_709:
	s_or_b64 exec, exec, s[24:25]
.LBB528_710:
	s_or_b64 exec, exec, s[14:15]
	v_mov_b32_e32 v10, v7
	v_cmp_ne_u16_sdwa s[12:13], v7, v11 src0_sel:BYTE_0 src1_sel:DWORD
	s_and_saveexec_b64 s[14:15], s[12:13]
	s_cbranch_execz .LBB528_716
; %bb.711:
	s_movk_i32 s11, 0x80
	v_cmp_ne_u16_sdwa s[12:13], v7, s11 src0_sel:BYTE_0 src1_sel:DWORD
	v_bfrev_b32_e32 v12, 1
	s_and_saveexec_b64 s[24:25], s[12:13]
	s_cbranch_execz .LBB528_715
; %bb.712:
	s_movk_i32 s11, 0x7f
	v_and_b32_e32 v17, 0x7f, v7
	v_cmp_ne_u32_e64 s[12:13], s11, v17
	v_mov_b32_e32 v12, 0x7f800001
	s_and_saveexec_b64 s[26:27], s[12:13]
	s_cbranch_execz .LBB528_714
; %bb.713:
	v_and_b32_e32 v12, 7, v7
	v_ffbh_u32_e32 v12, v12
	v_min_u32_e32 v12, 32, v12
	v_subrev_u32_e32 v19, 28, v12
	v_cmp_gt_u32_e64 s[12:13], 8, v17
	v_lshrrev_b32_e32 v18, 3, v17
	v_sub_u32_e32 v12, 29, v12
	v_cndmask_b32_e64 v17, 0, v19, s[12:13]
	v_cndmask_b32_e64 v12, v18, v12, s[12:13]
	v_lshlrev_b64 v[18:19], v17, v[10:11]
	v_lshlrev_b32_e32 v11, 20, v18
	v_lshlrev_b32_e32 v17, 24, v10
	v_bfrev_b32_e32 v18, 60
	v_and_b32_e32 v11, 0x700000, v11
	v_and_b32_e32 v17, 0x80000000, v17
	v_lshl_add_u32 v12, v12, 23, v18
	v_or3_b32 v12, v17, v12, v11
.LBB528_714:
	s_or_b64 exec, exec, s[26:27]
.LBB528_715:
	s_or_b64 exec, exec, s[24:25]
	v_mov_b32_e32 v11, v12
.LBB528_716:
	s_or_b64 exec, exec, s[14:15]
	v_lshrrev_b16_e32 v12, 8, v10
	v_cmp_ne_u16_e64 s[12:13], 0, v12
	v_mov_b32_e32 v17, 0
	v_mov_b32_e32 v18, 0
	s_and_saveexec_b64 s[14:15], s[12:13]
	s_cbranch_execz .LBB528_722
; %bb.717:
	s_movk_i32 s11, 0x80
	v_cmp_ne_u16_e64 s[12:13], s11, v12
	v_bfrev_b32_e32 v18, 1
	s_and_saveexec_b64 s[24:25], s[12:13]
	s_cbranch_execz .LBB528_721
; %bb.718:
	s_movk_i32 s11, 0x7f
	v_and_b32_e32 v19, 0x7f, v12
	v_cmp_ne_u32_e64 s[12:13], s11, v19
	v_mov_b32_e32 v18, 0x7f800001
	s_and_saveexec_b64 s[26:27], s[12:13]
	s_cbranch_execz .LBB528_720
; %bb.719:
	v_and_b32_e32 v18, 7, v12
	v_ffbh_u32_e32 v20, v18
	v_min_u32_e32 v23, 32, v20
	v_subrev_u32_e32 v20, 28, v23
	v_lshlrev_b64 v[20:21], v20, v[12:13]
	v_lshrrev_b32_e32 v22, 3, v19
	v_sub_u32_e32 v12, 29, v23
	v_and_b32_e32 v20, 7, v20
	v_cmp_gt_u32_e64 s[12:13], 8, v19
	v_cndmask_b32_e64 v12, v22, v12, s[12:13]
	v_cndmask_b32_e64 v18, v18, v20, s[12:13]
	v_lshlrev_b32_e32 v10, 16, v10
	v_bfrev_b32_e32 v19, 60
	v_lshlrev_b32_e32 v18, 20, v18
	v_and_b32_e32 v10, 0x80000000, v10
	v_lshl_add_u32 v12, v12, 23, v19
	v_or3_b32 v18, v10, v12, v18
.LBB528_720:
	s_or_b64 exec, exec, s[26:27]
.LBB528_721:
	s_or_b64 exec, exec, s[24:25]
.LBB528_722:
	s_or_b64 exec, exec, s[14:15]
	s_movk_i32 s11, 0xff
	v_and_b32_sdwa v12, v7, s11 dst_sel:DWORD dst_unused:UNUSED_PAD src0_sel:WORD_1 src1_sel:DWORD
	v_lshrrev_b32_e32 v10, 16, v7
	v_cmp_ne_u16_e64 s[12:13], 0, v12
	s_and_saveexec_b64 s[14:15], s[12:13]
	s_cbranch_execz .LBB528_728
; %bb.723:
	s_movk_i32 s11, 0x80
	v_cmp_ne_u16_e64 s[12:13], s11, v12
	v_bfrev_b32_e32 v17, 1
	s_and_saveexec_b64 s[24:25], s[12:13]
	s_cbranch_execz .LBB528_727
; %bb.724:
	v_bfe_u32 v12, v7, 16, 7
	s_movk_i32 s11, 0x7f
	v_cmp_ne_u32_e64 s[12:13], s11, v12
	v_mov_b32_e32 v17, 0x7f800001
	s_and_saveexec_b64 s[26:27], s[12:13]
	s_cbranch_execz .LBB528_726
; %bb.725:
	v_and_b32_e32 v17, 7, v10
	v_ffbh_u32_e32 v20, v17
	v_min_u32_e32 v22, 32, v20
	v_subrev_u32_e32 v20, 28, v22
	v_lshlrev_b64 v[20:21], v20, v[10:11]
	v_and_b32_e32 v20, 7, v20
	v_cmp_gt_u32_e64 s[12:13], 8, v12
	v_lshrrev_b32_e32 v19, 3, v12
	v_sub_u32_e32 v10, 29, v22
	v_cndmask_b32_e64 v12, v17, v20, s[12:13]
	v_mov_b32_e32 v17, 24
	v_cndmask_b32_e64 v10, v19, v10, s[12:13]
	v_lshlrev_b32_sdwa v17, v17, v7 dst_sel:DWORD dst_unused:UNUSED_PAD src0_sel:DWORD src1_sel:WORD_1
	v_bfrev_b32_e32 v19, 60
	v_lshlrev_b32_e32 v12, 20, v12
	v_and_b32_e32 v17, 0x80000000, v17
	v_lshl_add_u32 v10, v10, 23, v19
	v_or3_b32 v17, v17, v10, v12
.LBB528_726:
	s_or_b64 exec, exec, s[26:27]
.LBB528_727:
	s_or_b64 exec, exec, s[24:25]
.LBB528_728:
	s_or_b64 exec, exec, s[14:15]
	s_mov_b32 s12, -1
	s_mov_b32 s13, 0xffffff
	v_cmp_lt_u64_e64 s[12:13], s[12:13], v[6:7]
	v_mov_b32_e32 v12, 0
	v_mov_b32_e32 v10, 0
	s_and_saveexec_b64 s[14:15], s[12:13]
	s_cbranch_execz .LBB528_734
; %bb.729:
	v_lshrrev_b32_e32 v6, 24, v7
	s_movk_i32 s11, 0x80
	v_cmp_ne_u32_e64 s[12:13], s11, v6
	v_bfrev_b32_e32 v10, 1
	s_and_saveexec_b64 s[24:25], s[12:13]
	s_cbranch_execz .LBB528_733
; %bb.730:
	v_bfe_u32 v7, v7, 24, 7
	s_movk_i32 s11, 0x7f
	v_cmp_ne_u32_e64 s[12:13], s11, v7
	v_mov_b32_e32 v10, 0x7f800001
	s_and_saveexec_b64 s[26:27], s[12:13]
	s_cbranch_execz .LBB528_732
; %bb.731:
	v_and_b32_e32 v10, 7, v6
	v_ffbh_u32_e32 v20, v10
	v_min_u32_e32 v22, 32, v20
	v_subrev_u32_e32 v20, 28, v22
	v_lshlrev_b64 v[20:21], v20, v[6:7]
	v_lshrrev_b32_e32 v19, 3, v7
	v_sub_u32_e32 v21, 29, v22
	v_and_b32_e32 v20, 7, v20
	v_cmp_gt_u32_e64 s[12:13], 8, v7
	v_cndmask_b32_e64 v7, v19, v21, s[12:13]
	v_cndmask_b32_e64 v10, v10, v20, s[12:13]
	v_lshlrev_b32_e32 v6, 24, v6
	v_bfrev_b32_e32 v19, 60
	v_lshlrev_b32_e32 v10, 20, v10
	v_and_b32_e32 v6, 0x80000000, v6
	v_lshl_add_u32 v7, v7, 23, v19
	v_or3_b32 v10, v6, v7, v10
.LBB528_732:
	s_or_b64 exec, exec, s[26:27]
.LBB528_733:
	s_or_b64 exec, exec, s[24:25]
.LBB528_734:
	s_or_b64 exec, exec, s[14:15]
	v_cvt_pkrtz_f16_f32 v6, v14, v15
	v_cvt_pkrtz_f16_f32 v7, v13, v16
	;; [unrolled: 1-line block ×4, first 2 shown]
	v_mfma_f32_4x4x4f16 a[0:3], v[2:3], v[6:7], a[0:3] cbsz:4 abid:14
	v_cmp_ne_u16_sdwa s[12:13], v8, v12 src0_sel:BYTE_0 src1_sel:DWORD
	v_mfma_f32_4x4x4f16 a[0:3], v[4:5], v[14:15], a[0:3] cbsz:4 abid:14
	s_and_saveexec_b64 s[14:15], s[12:13]
	s_cbranch_execz .LBB528_740
; %bb.735:
	s_movk_i32 s11, 0x80
	v_cmp_ne_u16_sdwa s[12:13], v8, s11 src0_sel:BYTE_0 src1_sel:DWORD
	v_bfrev_b32_e32 v12, 1
	s_and_saveexec_b64 s[24:25], s[12:13]
	s_cbranch_execz .LBB528_739
; %bb.736:
	s_movk_i32 s11, 0x7f
	v_and_b32_e32 v6, 0x7f, v8
	v_cmp_ne_u32_e64 s[12:13], s11, v6
	v_mov_b32_e32 v12, 0x7f800001
	s_and_saveexec_b64 s[26:27], s[12:13]
	s_cbranch_execz .LBB528_738
; %bb.737:
	v_and_b32_e32 v7, 7, v8
	v_ffbh_u32_e32 v7, v7
	v_min_u32_e32 v7, 32, v7
	v_subrev_u32_e32 v11, 28, v7
	v_cmp_gt_u32_e64 s[12:13], 8, v6
	v_lshrrev_b32_e32 v10, 3, v6
	v_sub_u32_e32 v7, 29, v7
	v_cndmask_b32_e64 v6, 0, v11, s[12:13]
	v_cndmask_b32_e64 v10, v10, v7, s[12:13]
	v_lshlrev_b64 v[6:7], v6, v[8:9]
	v_lshlrev_b32_e32 v6, 20, v6
	v_lshlrev_b32_e32 v7, 24, v8
	v_bfrev_b32_e32 v11, 60
	v_and_b32_e32 v6, 0x700000, v6
	v_and_b32_e32 v7, 0x80000000, v7
	v_lshl_add_u32 v10, v10, 23, v11
	v_or3_b32 v12, v7, v10, v6
.LBB528_738:
	s_or_b64 exec, exec, s[26:27]
.LBB528_739:
	s_or_b64 exec, exec, s[24:25]
.LBB528_740:
	s_or_b64 exec, exec, s[14:15]
	v_lshrrev_b16_e32 v6, 8, v8
	v_cmp_ne_u16_e64 s[12:13], 0, v6
	v_mov_b32_e32 v11, 0
	v_mov_b32_e32 v13, 0
	s_and_saveexec_b64 s[14:15], s[12:13]
	s_cbranch_execz .LBB528_746
; %bb.741:
	s_movk_i32 s11, 0x80
	v_cmp_ne_u16_e64 s[12:13], s11, v6
	v_bfrev_b32_e32 v13, 1
	s_and_saveexec_b64 s[24:25], s[12:13]
	s_cbranch_execz .LBB528_745
; %bb.742:
	s_movk_i32 s11, 0x7f
	v_and_b32_e32 v7, 0x7f, v6
	v_cmp_ne_u32_e64 s[12:13], s11, v7
	v_mov_b32_e32 v13, 0x7f800001
	s_and_saveexec_b64 s[26:27], s[12:13]
	s_cbranch_execz .LBB528_744
; %bb.743:
	v_and_b32_e32 v10, 7, v6
	v_ffbh_u32_e32 v14, v10
	v_min_u32_e32 v16, 32, v14
	v_subrev_u32_e32 v14, 28, v16
	v_lshlrev_b64 v[14:15], v14, v[6:7]
	v_lshrrev_b32_e32 v13, 3, v7
	v_sub_u32_e32 v6, 29, v16
	v_and_b32_e32 v14, 7, v14
	v_cmp_gt_u32_e64 s[12:13], 8, v7
	v_cndmask_b32_e64 v6, v13, v6, s[12:13]
	v_cndmask_b32_e64 v7, v10, v14, s[12:13]
	v_lshlrev_b32_e32 v10, 16, v8
	v_bfrev_b32_e32 v13, 60
	v_lshlrev_b32_e32 v7, 20, v7
	v_and_b32_e32 v10, 0x80000000, v10
	v_lshl_add_u32 v6, v6, 23, v13
	v_or3_b32 v13, v10, v6, v7
.LBB528_744:
	s_or_b64 exec, exec, s[26:27]
.LBB528_745:
	s_or_b64 exec, exec, s[24:25]
.LBB528_746:
	s_or_b64 exec, exec, s[14:15]
	s_movk_i32 s11, 0xff
	v_and_b32_sdwa v7, v8, s11 dst_sel:DWORD dst_unused:UNUSED_PAD src0_sel:WORD_1 src1_sel:DWORD
	v_lshrrev_b32_e32 v6, 16, v8
	v_cmp_ne_u16_e64 s[12:13], 0, v7
	s_and_saveexec_b64 s[14:15], s[12:13]
	s_cbranch_execz .LBB528_752
; %bb.747:
	s_movk_i32 s11, 0x80
	v_cmp_ne_u16_e64 s[12:13], s11, v7
	v_bfrev_b32_e32 v11, 1
	s_and_saveexec_b64 s[24:25], s[12:13]
	s_cbranch_execz .LBB528_751
; %bb.748:
	v_bfe_u32 v7, v8, 16, 7
	s_movk_i32 s11, 0x7f
	v_cmp_ne_u32_e64 s[12:13], s11, v7
	v_mov_b32_e32 v11, 0x7f800001
	s_and_saveexec_b64 s[26:27], s[12:13]
	s_cbranch_execz .LBB528_750
; %bb.749:
	v_and_b32_e32 v14, 7, v6
	v_ffbh_u32_e32 v10, v14
	v_min_u32_e32 v16, 32, v10
	v_subrev_u32_e32 v10, 28, v16
	v_lshlrev_b64 v[10:11], v10, v[6:7]
	v_and_b32_e32 v10, 7, v10
	v_cmp_gt_u32_e64 s[12:13], 8, v7
	v_lshrrev_b32_e32 v15, 3, v7
	v_sub_u32_e32 v6, 29, v16
	v_cndmask_b32_e64 v7, v14, v10, s[12:13]
	v_mov_b32_e32 v10, 24
	v_cndmask_b32_e64 v6, v15, v6, s[12:13]
	v_lshlrev_b32_sdwa v10, v10, v8 dst_sel:DWORD dst_unused:UNUSED_PAD src0_sel:DWORD src1_sel:WORD_1
	v_bfrev_b32_e32 v11, 60
	v_lshlrev_b32_e32 v7, 20, v7
	v_and_b32_e32 v10, 0x80000000, v10
	v_lshl_add_u32 v6, v6, 23, v11
	v_or3_b32 v11, v10, v6, v7
.LBB528_750:
	s_or_b64 exec, exec, s[26:27]
.LBB528_751:
	s_or_b64 exec, exec, s[24:25]
.LBB528_752:
	s_or_b64 exec, exec, s[14:15]
	s_mov_b32 s11, 0xffffff
	v_cmp_lt_u32_e64 s[12:13], s11, v8
	v_mov_b32_e32 v7, 0
	v_mov_b32_e32 v14, 0
	s_and_saveexec_b64 s[14:15], s[12:13]
	s_cbranch_execz .LBB528_758
; %bb.753:
	v_lshrrev_b32_e32 v6, 24, v8
	s_movk_i32 s11, 0x80
	v_cmp_ne_u32_e64 s[12:13], s11, v6
	v_bfrev_b32_e32 v14, 1
	s_and_saveexec_b64 s[24:25], s[12:13]
	s_cbranch_execz .LBB528_757
; %bb.754:
	v_bfe_u32 v10, v8, 24, 7
	s_movk_i32 s11, 0x7f
	v_cmp_ne_u32_e64 s[12:13], s11, v10
	v_mov_b32_e32 v14, 0x7f800001
	s_and_saveexec_b64 s[26:27], s[12:13]
	s_cbranch_execz .LBB528_756
; %bb.755:
	v_and_b32_e32 v16, 7, v6
	v_ffbh_u32_e32 v14, v16
	v_min_u32_e32 v18, 32, v14
	v_subrev_u32_e32 v14, 28, v18
	v_lshlrev_b64 v[14:15], v14, v[6:7]
	v_lshrrev_b32_e32 v17, 3, v10
	v_sub_u32_e32 v15, 29, v18
	v_and_b32_e32 v14, 7, v14
	v_cmp_gt_u32_e64 s[12:13], 8, v10
	v_cndmask_b32_e64 v10, v17, v15, s[12:13]
	v_cndmask_b32_e64 v14, v16, v14, s[12:13]
	v_lshlrev_b32_e32 v6, 24, v6
	v_bfrev_b32_e32 v15, 60
	v_lshlrev_b32_e32 v14, 20, v14
	v_and_b32_e32 v6, 0x80000000, v6
	v_lshl_add_u32 v10, v10, 23, v15
	v_or3_b32 v14, v6, v10, v14
.LBB528_756:
	s_or_b64 exec, exec, s[26:27]
.LBB528_757:
	s_or_b64 exec, exec, s[24:25]
.LBB528_758:
	s_or_b64 exec, exec, s[14:15]
	v_mov_b32_e32 v6, v9
	v_cmp_ne_u16_sdwa s[12:13], v9, v7 src0_sel:BYTE_0 src1_sel:DWORD
	s_and_saveexec_b64 s[14:15], s[12:13]
	s_cbranch_execz .LBB528_764
; %bb.759:
	s_movk_i32 s11, 0x80
	v_cmp_ne_u16_sdwa s[12:13], v9, s11 src0_sel:BYTE_0 src1_sel:DWORD
	v_bfrev_b32_e32 v10, 1
	s_and_saveexec_b64 s[24:25], s[12:13]
	s_cbranch_execz .LBB528_763
; %bb.760:
	s_movk_i32 s11, 0x7f
	v_and_b32_e32 v15, 0x7f, v9
	v_cmp_ne_u32_e64 s[12:13], s11, v15
	v_mov_b32_e32 v10, 0x7f800001
	s_and_saveexec_b64 s[26:27], s[12:13]
	s_cbranch_execz .LBB528_762
; %bb.761:
	v_and_b32_e32 v10, 7, v9
	v_ffbh_u32_e32 v10, v10
	v_min_u32_e32 v10, 32, v10
	v_subrev_u32_e32 v17, 28, v10
	v_cmp_gt_u32_e64 s[12:13], 8, v15
	v_lshrrev_b32_e32 v16, 3, v15
	v_sub_u32_e32 v10, 29, v10
	v_cndmask_b32_e64 v15, 0, v17, s[12:13]
	v_cndmask_b32_e64 v10, v16, v10, s[12:13]
	v_lshlrev_b64 v[16:17], v15, v[6:7]
	v_lshlrev_b32_e32 v7, 20, v16
	v_lshlrev_b32_e32 v15, 24, v6
	v_bfrev_b32_e32 v16, 60
	v_and_b32_e32 v7, 0x700000, v7
	v_and_b32_e32 v15, 0x80000000, v15
	v_lshl_add_u32 v10, v10, 23, v16
	v_or3_b32 v10, v15, v10, v7
.LBB528_762:
	s_or_b64 exec, exec, s[26:27]
.LBB528_763:
	s_or_b64 exec, exec, s[24:25]
	v_mov_b32_e32 v7, v10
.LBB528_764:
	s_or_b64 exec, exec, s[14:15]
	v_lshrrev_b16_e32 v10, 8, v6
	v_cmp_ne_u16_e64 s[12:13], 0, v10
	v_mov_b32_e32 v15, 0
	v_mov_b32_e32 v16, 0
	s_and_saveexec_b64 s[14:15], s[12:13]
	s_cbranch_execz .LBB528_770
; %bb.765:
	s_movk_i32 s11, 0x80
	v_cmp_ne_u16_e64 s[12:13], s11, v10
	v_bfrev_b32_e32 v16, 1
	s_and_saveexec_b64 s[24:25], s[12:13]
	s_cbranch_execz .LBB528_769
; %bb.766:
	s_movk_i32 s11, 0x7f
	v_and_b32_e32 v17, 0x7f, v10
	v_cmp_ne_u32_e64 s[12:13], s11, v17
	v_mov_b32_e32 v16, 0x7f800001
	s_and_saveexec_b64 s[26:27], s[12:13]
	s_cbranch_execz .LBB528_768
; %bb.767:
	v_and_b32_e32 v16, 7, v10
	v_ffbh_u32_e32 v18, v16
	v_min_u32_e32 v21, 32, v18
	v_subrev_u32_e32 v18, 28, v21
	v_lshlrev_b64 v[18:19], v18, v[10:11]
	v_lshrrev_b32_e32 v20, 3, v17
	v_sub_u32_e32 v10, 29, v21
	v_and_b32_e32 v18, 7, v18
	v_cmp_gt_u32_e64 s[12:13], 8, v17
	v_cndmask_b32_e64 v10, v20, v10, s[12:13]
	v_cndmask_b32_e64 v16, v16, v18, s[12:13]
	v_lshlrev_b32_e32 v6, 16, v6
	v_bfrev_b32_e32 v17, 60
	v_lshlrev_b32_e32 v16, 20, v16
	v_and_b32_e32 v6, 0x80000000, v6
	v_lshl_add_u32 v10, v10, 23, v17
	v_or3_b32 v16, v6, v10, v16
.LBB528_768:
	s_or_b64 exec, exec, s[26:27]
.LBB528_769:
	s_or_b64 exec, exec, s[24:25]
.LBB528_770:
	s_or_b64 exec, exec, s[14:15]
	s_movk_i32 s11, 0xff
	v_and_b32_sdwa v10, v9, s11 dst_sel:DWORD dst_unused:UNUSED_PAD src0_sel:WORD_1 src1_sel:DWORD
	v_lshrrev_b32_e32 v6, 16, v9
	v_cmp_ne_u16_e64 s[12:13], 0, v10
	s_and_saveexec_b64 s[14:15], s[12:13]
	s_cbranch_execz .LBB528_776
; %bb.771:
	s_movk_i32 s11, 0x80
	v_cmp_ne_u16_e64 s[12:13], s11, v10
	v_bfrev_b32_e32 v15, 1
	s_and_saveexec_b64 s[24:25], s[12:13]
	s_cbranch_execz .LBB528_775
; %bb.772:
	v_bfe_u32 v10, v9, 16, 7
	s_movk_i32 s11, 0x7f
	v_cmp_ne_u32_e64 s[12:13], s11, v10
	v_mov_b32_e32 v15, 0x7f800001
	s_and_saveexec_b64 s[26:27], s[12:13]
	s_cbranch_execz .LBB528_774
; %bb.773:
	v_and_b32_e32 v15, 7, v6
	v_ffbh_u32_e32 v18, v15
	v_min_u32_e32 v20, 32, v18
	v_subrev_u32_e32 v18, 28, v20
	v_lshlrev_b64 v[18:19], v18, v[6:7]
	v_and_b32_e32 v18, 7, v18
	v_cmp_gt_u32_e64 s[12:13], 8, v10
	v_lshrrev_b32_e32 v17, 3, v10
	v_sub_u32_e32 v6, 29, v20
	v_cndmask_b32_e64 v10, v15, v18, s[12:13]
	v_mov_b32_e32 v15, 24
	v_cndmask_b32_e64 v6, v17, v6, s[12:13]
	v_lshlrev_b32_sdwa v15, v15, v9 dst_sel:DWORD dst_unused:UNUSED_PAD src0_sel:DWORD src1_sel:WORD_1
	v_bfrev_b32_e32 v17, 60
	v_lshlrev_b32_e32 v10, 20, v10
	v_and_b32_e32 v15, 0x80000000, v15
	v_lshl_add_u32 v6, v6, 23, v17
	v_or3_b32 v15, v15, v6, v10
.LBB528_774:
	s_or_b64 exec, exec, s[26:27]
.LBB528_775:
	s_or_b64 exec, exec, s[24:25]
.LBB528_776:
	s_or_b64 exec, exec, s[14:15]
	s_mov_b32 s12, -1
	s_mov_b32 s13, 0xffffff
	v_cmp_lt_u64_e64 s[12:13], s[12:13], v[8:9]
	v_mov_b32_e32 v8, 0
	s_and_saveexec_b64 s[14:15], s[12:13]
	s_cbranch_execz .LBB528_782
; %bb.777:
	v_lshrrev_b32_e32 v6, 24, v9
	s_movk_i32 s11, 0x80
	v_cmp_ne_u32_e64 s[12:13], s11, v6
	v_bfrev_b32_e32 v8, 1
	s_and_saveexec_b64 s[24:25], s[12:13]
	s_cbranch_execz .LBB528_781
; %bb.778:
	v_bfe_u32 v9, v9, 24, 7
	s_movk_i32 s11, 0x7f
	v_cmp_ne_u32_e64 s[12:13], s11, v9
	v_mov_b32_e32 v8, 0x7f800001
	s_and_saveexec_b64 s[26:27], s[12:13]
	s_cbranch_execz .LBB528_780
; %bb.779:
	v_and_b32_e32 v8, 7, v6
	v_ffbh_u32_e32 v17, v8
	v_min_u32_e32 v17, 32, v17
	v_subrev_u32_e32 v18, 28, v17
	v_lshlrev_b64 v[18:19], v18, v[6:7]
	v_lshrrev_b32_e32 v10, 3, v9
	v_sub_u32_e32 v17, 29, v17
	v_and_b32_e32 v18, 7, v18
	v_cmp_gt_u32_e64 s[12:13], 8, v9
	v_cndmask_b32_e64 v9, v10, v17, s[12:13]
	v_cndmask_b32_e64 v8, v8, v18, s[12:13]
	v_lshlrev_b32_e32 v6, 24, v6
	v_bfrev_b32_e32 v10, 60
	v_lshlrev_b32_e32 v8, 20, v8
	v_and_b32_e32 v6, 0x80000000, v6
	v_lshl_add_u32 v9, v9, 23, v10
	v_or3_b32 v8, v6, v9, v8
.LBB528_780:
	s_or_b64 exec, exec, s[26:27]
.LBB528_781:
	s_or_b64 exec, exec, s[24:25]
.LBB528_782:
	s_or_b64 exec, exec, s[14:15]
	s_load_dword s4, s[4:5], 0x1c
	v_cvt_pkrtz_f16_f32 v10, v12, v13
	v_cvt_pkrtz_f16_f32 v11, v11, v14
	s_load_dword s5, s[16:17], 0x0
	v_cvt_pkrtz_f16_f32 v6, v7, v16
	v_mfma_f32_4x4x4f16 a[0:3], v[2:3], v[10:11], a[0:3] cbsz:4 abid:15
	v_cvt_pkrtz_f16_f32 v7, v15, v8
	s_waitcnt lgkmcnt(0)
	v_mov_b32_e32 v2, s4
	v_mfma_f32_4x4x4f16 a[0:3], v[4:5], v[6:7], a[0:3] cbsz:4 abid:15
	v_mul_f32_e32 v4, s5, v2
	v_cmp_eq_u32_e64 s[4:5], 0, v43
	s_nop 2
	v_accvgpr_read_b32 v7, a1
	v_accvgpr_read_b32 v6, a0
	v_pk_mul_f32 v[6:7], v[6:7], v[4:5] op_sel_hi:[1,0]
	v_accvgpr_read_b32 v3, a3
	v_accvgpr_read_b32 v2, a2
	v_pk_mul_f32 v[2:3], v[2:3], v[4:5] op_sel_hi:[1,0]
	v_cndmask_b32_e64 v4, 0, 1.0, s[4:5]
	v_cmp_eq_u32_e64 s[4:5], 1, v43
	s_nop 0
	v_mfma_f32_4x4x1f32 a[0:3], v6, v4, 0
	v_cndmask_b32_e64 v4, 0, 1.0, s[4:5]
	v_cmp_eq_u32_e64 s[4:5], 2, v43
	v_mov_b32_e32 v6, 0xff7fffff
	v_mfma_f32_4x4x1f32 a[0:3], v7, v4, a[0:3]
	v_cndmask_b32_e64 v4, 0, 1.0, s[4:5]
	s_nop 1
	v_mfma_f32_4x4x1f32 a[0:3], v2, v4, a[0:3]
	v_cndmask_b32_e64 v2, 0, 1.0, vcc
	s_nop 1
	v_mfma_f32_4x4x1f32 a[0:3], v3, v2, a[0:3]
	v_and_b32_e32 v2, -4, v44
	v_cmp_gt_i32_e32 vcc, s9, v2
	v_lshlrev_b32_e32 v3, 2, v0
	v_and_or_b32 v3, v3, 48, v43
	v_lshlrev_b32_e32 v10, 2, v3
	v_accvgpr_read_b32 v4, a0
	v_max_f32_e32 v5, v4, v4
	v_max_f32_e32 v5, 0xff7fffff, v5
	v_accvgpr_read_b32 v7, a1
	v_cndmask_b32_e32 v5, v6, v5, vcc
	v_or_b32_e32 v6, 1, v2
	v_max_f32_e32 v8, v7, v7
	v_max_f32_e32 v8, v5, v8
	v_cmp_gt_i32_e64 s[4:5], s9, v6
	v_cndmask_b32_e64 v5, v5, v8, s[4:5]
	v_accvgpr_read_b32 v8, a2
	v_or_b32_e32 v2, 2, v2
	v_max_f32_e32 v6, v8, v8
	v_max_f32_e32 v6, v5, v6
	v_cmp_gt_i32_e64 s[12:13], s9, v2
	v_accvgpr_read_b32 v9, a3
	v_cndmask_b32_e64 v2, v5, v6, s[12:13]
	v_or_b32_e32 v5, 3, v44
	v_max_f32_e32 v6, v9, v9
	v_max_f32_e32 v6, v2, v6
	v_cmp_gt_i32_e64 s[14:15], s9, v5
	v_cndmask_b32_e64 v2, v2, v6, s[14:15]
	;;#ASMSTART
	v_nop
 v_nop
 v_max_f32_dpp v2, v2, v2 row_ror:4
	;;#ASMEND
	;;#ASMSTART
	v_nop
 v_nop
 v_max_f32_dpp v2, v2, v2 row_ror:8
	;;#ASMEND
	ds_bpermute_b32 v2, v10, v2
	s_waitcnt lgkmcnt(0)
	;;#ASMSTART
	v_nop
 v_nop
 v_max_f32_dpp v2, v2, v2 row_ror:4
	;;#ASMEND
	;;#ASMSTART
	v_nop
 v_nop
 v_max_f32_dpp v6, v2, v2 row_ror:8
	;;#ASMEND
	v_sub_f32_e32 v2, v4, v6
	v_mul_f32_e32 v2, 0x3fb8aa3b, v2
	v_sub_f32_e32 v3, v7, v6
	v_exp_f32_e32 v2, v2
	v_mul_f32_e32 v3, 0x3fb8aa3b, v3
	v_sub_f32_e32 v5, v8, v6
	v_exp_f32_e32 v3, v3
	v_mul_f32_e32 v5, 0x3fb8aa3b, v5
	v_sub_f32_e32 v7, v9, v6
	v_exp_f32_e32 v5, v5
	v_mul_f32_e32 v7, 0x3fb8aa3b, v7
	v_exp_f32_e32 v7, v7
	v_cndmask_b32_e32 v2, 0, v2, vcc
	v_add_f32_e32 v4, 0, v2
	v_cndmask_b32_e64 v3, 0, v3, s[4:5]
	v_add_f32_e32 v8, v4, v3
	v_cndmask_b32_e64 v4, 0, v5, s[12:13]
	;; [unrolled: 2-line block ×3, first 2 shown]
	v_add_f32_e32 v7, v8, v5
	;;#ASMSTART
	v_nop
 v_nop
 v_add_f32_dpp v7, v7, v7 row_ror:4
	;;#ASMEND
	;;#ASMSTART
	v_nop
 v_nop
 v_add_f32_dpp v7, v7, v7 row_ror:8
	;;#ASMEND
	ds_bpermute_b32 v7, v10, v7
	s_waitcnt lgkmcnt(0)
	;;#ASMSTART
	v_nop
 v_nop
 v_add_f32_dpp v7, v7, v7 row_ror:4
	;;#ASMEND
	v_cmp_gt_u32_e32 vcc, 4, v1
	;;#ASMSTART
	v_nop
 v_nop
 v_add_f32_dpp v7, v7, v7 row_ror:8
	;;#ASMEND
	s_and_saveexec_b64 s[4:5], vcc
	s_cbranch_execz .LBB528_784
; %bb.783:
	v_mul_u32_u24_e32 v8, 20, v42
	v_lshl_add_u32 v8, v43, 2, v8
	v_add_u32_e32 v8, 0x1400, v8
	ds_write2_b32 v8, v6, v7 offset1:20
.LBB528_784:
	s_or_b64 exec, exec, s[4:5]
.LBB528_785:
	s_or_b64 exec, exec, s[40:41]
	s_waitcnt lgkmcnt(0)
	s_barrier
	s_load_dword s4, s[38:39], 0x8
	v_lshlrev_b32_e32 v7, 2, v43
	v_add_u32_e32 v7, 0x1400, v7
	ds_read2_b32 v[10:11], v7 offset1:5
	ds_read2_b32 v[12:13], v7 offset0:10 offset1:15
	s_mul_i32 s5, s8, s33
	s_waitcnt lgkmcnt(0)
	s_mul_i32 s4, s5, s4
	s_mov_b32 s5, 0xff7fffff
	v_max3_f32 v8, v10, s5, v11
	v_max3_f32 v8, v8, v12, v13
	v_sub_f32_e32 v9, v10, v8
	v_sub_f32_e32 v10, v11, v8
	ds_read2_b32 v[14:15], v7 offset0:20 offset1:25
	v_mul_f32_e32 v9, 0x3fb8aa3b, v9
	v_mul_f32_e32 v10, 0x3fb8aa3b, v10
	v_exp_f32_e32 v9, v9
	v_exp_f32_e32 v16, v10
	ds_read2_b32 v[10:11], v7 offset0:30 offset1:35
	v_sub_f32_e32 v7, v12, v8
	v_mul_f32_e32 v7, 0x3fb8aa3b, v7
	v_sub_f32_e32 v12, v13, v8
	v_exp_f32_e32 v7, v7
	v_mul_f32_e32 v12, 0x3fb8aa3b, v12
	v_exp_f32_e32 v12, v12
	s_waitcnt lgkmcnt(1)
	v_fma_f32 v9, v9, v14, 0
	v_fmac_f32_e32 v9, v16, v15
	s_waitcnt lgkmcnt(0)
	v_fmac_f32_e32 v9, v7, v10
	s_mul_i32 s24, s10, 3
	s_mul_i32 s4, s4, 3
	v_fmac_f32_e32 v9, v12, v11
	v_cmp_ne_u32_e32 vcc, 3, v43
	s_and_saveexec_b64 s[8:9], vcc
	s_cbranch_execz .LBB528_787
; %bb.786:
	s_mov_b32 s5, 0
	s_lshl_b64 s[10:11], s[4:5], 2
	s_add_u32 s14, s20, s10
	s_mov_b32 s35, s5
	s_addc_u32 s15, s21, s11
	s_lshl_b64 s[12:13], s[34:35], 2
	s_add_u32 s5, s14, s12
	s_addc_u32 s14, s15, s13
	v_add_u32_e32 v7, s24, v43
	s_add_u32 s10, s22, s10
	v_mul_lo_u32 v10, s33, v7
	v_mov_b32_e32 v11, 0
	s_addc_u32 s11, s23, s11
	v_lshlrev_b64 v[10:11], 2, v[10:11]
	s_add_u32 s10, s10, s12
	v_mov_b32_e32 v7, s14
	v_add_co_u32_e32 v12, vcc, s5, v10
	s_addc_u32 s11, s11, s13
	v_addc_co_u32_e32 v13, vcc, v7, v11, vcc
	v_mov_b32_e32 v7, s11
	v_add_co_u32_e32 v10, vcc, s10, v10
	v_addc_co_u32_e32 v11, vcc, v7, v11, vcc
	global_store_dword v[10:11], v8, off
	global_store_dword v[12:13], v9, off
.LBB528_787:
	s_or_b64 exec, exec, s[8:9]
	v_lshlrev_b32_e32 v7, 3, v42
	s_and_saveexec_b64 s[8:9], s[6:7]
	s_xor_b64 s[6:7], exec, s[8:9]
	s_cbranch_execz .LBB528_789
; %bb.788:
	s_mov_b32 s8, 0
	s_mov_b32 s9, s8
	v_mad_u32_u24 v4, v1, 40, v7
	v_pk_mov_b32 v[2:3], s[8:9], s[8:9] op_sel:[0,1]
	ds_write2st64_b64 v4, v[2:3], v[2:3] offset1:5
                                        ; implicit-def: $vgpr7
                                        ; implicit-def: $vgpr6
                                        ; implicit-def: $vgpr8
                                        ; implicit-def: $vgpr9
                                        ; implicit-def: $vgpr4
                                        ; implicit-def: $vgpr2
.LBB528_789:
	s_andn2_saveexec_b64 s[6:7], s[6:7]
	s_cbranch_execz .LBB528_1176
; %bb.790:
	v_add_f32_e32 v9, 0x358637bd, v9
	v_div_scale_f32 v10, s[8:9], v9, v9, 1.0
	v_rcp_f32_e32 v11, v10
	v_sub_f32_e32 v6, v6, v8
	v_mul_f32_e32 v6, 0x3fb8aa3b, v6
	v_exp_f32_e32 v6, v6
	v_fma_f32 v8, -v10, v11, 1.0
	v_fmac_f32_e32 v11, v8, v11
	v_div_scale_f32 v8, vcc, 1.0, v9, 1.0
	v_mul_f32_e32 v12, v8, v11
	v_fma_f32 v13, -v10, v12, v8
	v_fmac_f32_e32 v12, v13, v11
	v_fma_f32 v8, -v10, v12, v8
	v_div_fmas_f32 v8, v8, v11, v12
	v_div_fixup_f32 v8, v8, v9, 1.0
	v_mul_f32_e32 v6, v6, v8
	v_pk_mul_f32 v[4:5], v[4:5], v[6:7] op_sel_hi:[1,0]
	v_pk_mul_f32 v[2:3], v[2:3], v[6:7] op_sel_hi:[1,0]
	s_load_dword s8, s[18:19], 0x0
	v_cvt_f16_f32_e32 v2, v2
	v_cvt_f16_f32_e32 v3, v3
	;; [unrolled: 1-line block ×4, first 2 shown]
	v_mov_b32_e32 v11, 0
	v_add_u32_e32 v5, 64, v11
	v_pack_b32_f16 v2, v2, v3
	v_pack_b32_f16 v3, v4, v6
	s_waitcnt lgkmcnt(0)
	s_mov_b32 s9, s8
	s_mov_b32 s10, s8
	;; [unrolled: 1-line block ×4, first 2 shown]
	s_mov_b64 s[12:13], -1
	s_movk_i32 s5, 0x80
	s_movk_i32 s21, 0x7f
	s_mov_b32 s22, 0xffffff
	v_mov_b32_e32 v9, 0
	v_bfrev_b32_e32 v10, 60
	s_branch .LBB528_794
.LBB528_791:                            ;   in Loop: Header=BB528_794 Depth=1
	s_or_b64 exec, exec, s[18:19]
.LBB528_792:                            ;   in Loop: Header=BB528_794 Depth=1
	s_or_b64 exec, exec, s[16:17]
.LBB528_793:                            ;   in Loop: Header=BB528_794 Depth=1
	s_or_b64 exec, exec, s[14:15]
	v_cvt_pkrtz_f16_f32 v12, v13, v12
	v_cvt_pkrtz_f16_f32 v13, v11, v15
	;; [unrolled: 1-line block ×4, first 2 shown]
	v_mfma_f32_4x4x4f16 a[0:3], v[2:3], v[12:13], a[0:3] cbsz:4 abid:14
	s_mul_i32 s14, s20, 0xa00
	v_mfma_f32_4x4x4f16 a[0:3], v[2:3], v[14:15], a[0:3] cbsz:4 abid:15
	s_mov_b32 s20, 1
	s_nop 3
	v_accvgpr_read_b32 v15, a1
	v_accvgpr_read_b32 v14, a0
	v_pk_mul_f32 v[14:15], v[14:15], s[8:9]
	v_accvgpr_read_b32 v13, a3
	v_accvgpr_read_b32 v12, a2
	v_cvt_f16_f32_e32 v4, v14
	v_cvt_f16_f32_e32 v6, v15
	v_pk_mul_f32 v[12:13], v[12:13], s[10:11]
	v_cvt_f16_f32_e32 v8, v12
	v_cvt_f16_f32_e32 v11, v13
	v_pack_b32_f16 v12, v4, v6
	v_mul_u32_u24_e32 v4, 40, v1
	v_add3_u32 v4, s14, v4, v7
	s_xor_b64 s[14:15], s[12:13], -1
	v_pack_b32_f16 v13, v8, v11
	s_mov_b64 s[12:13], 0
	s_andn2_b64 vcc, exec, s[14:15]
	v_mov_b32_e32 v11, v5
	ds_write_b64 v4, v[12:13]
	s_cbranch_vccz .LBB528_1176
.LBB528_794:                            ; =>This Inner Loop Header: Depth=1
	buffer_load_dword v6, v11, s[0:3], 0 offen
	buffer_load_dword v4, v11, s[0:3], 0 offen offset:4
	v_mov_b32_e32 v13, 0
	s_waitcnt vmcnt(1)
	v_cmp_ne_u16_sdwa s[16:17], v6, v9 src0_sel:BYTE_0 src1_sel:DWORD
	s_and_saveexec_b64 s[14:15], s[16:17]
	s_cbranch_execz .LBB528_800
; %bb.795:                              ;   in Loop: Header=BB528_794 Depth=1
	v_cmp_ne_u16_sdwa s[18:19], v6, s5 src0_sel:BYTE_0 src1_sel:DWORD
	v_bfrev_b32_e32 v13, 1
	s_and_saveexec_b64 s[16:17], s[18:19]
	s_cbranch_execz .LBB528_799
; %bb.796:                              ;   in Loop: Header=BB528_794 Depth=1
	v_and_b32_e32 v8, 0x7f, v6
	v_cmp_ne_u32_e32 vcc, s21, v8
	v_mov_b32_e32 v13, 0x7f800001
	s_and_saveexec_b64 s[18:19], vcc
	s_cbranch_execz .LBB528_798
; %bb.797:                              ;   in Loop: Header=BB528_794 Depth=1
	v_and_b32_e32 v14, 7, v6
	v_ffbh_u32_e32 v12, v14
	v_min_u32_e32 v16, 32, v12
	v_subrev_u32_e32 v12, 28, v16
	v_lshlrev_b64 v[12:13], v12, v[6:7]
	v_lshrrev_b32_e32 v15, 3, v8
	v_sub_u32_e32 v13, 29, v16
	v_and_b32_e32 v12, 7, v12
	v_cmp_gt_u32_e32 vcc, 8, v8
	v_cndmask_b32_e32 v8, v15, v13, vcc
	v_cndmask_b32_e32 v12, v14, v12, vcc
	v_lshlrev_b32_e32 v13, 24, v6
	v_lshlrev_b32_e32 v12, 20, v12
	v_and_b32_e32 v13, 0x80000000, v13
	v_lshl_add_u32 v8, v8, 23, v10
	v_or3_b32 v13, v13, v8, v12
.LBB528_798:                            ;   in Loop: Header=BB528_794 Depth=1
	s_or_b64 exec, exec, s[18:19]
.LBB528_799:                            ;   in Loop: Header=BB528_794 Depth=1
	s_or_b64 exec, exec, s[16:17]
.LBB528_800:                            ;   in Loop: Header=BB528_794 Depth=1
	s_or_b64 exec, exec, s[14:15]
	v_lshrrev_b16_e32 v8, 8, v6
	v_cmp_ne_u16_e32 vcc, 0, v8
	v_mov_b32_e32 v14, 0
	v_mov_b32_e32 v15, 0
	s_and_saveexec_b64 s[14:15], vcc
	s_cbranch_execz .LBB528_806
; %bb.801:                              ;   in Loop: Header=BB528_794 Depth=1
	v_cmp_ne_u16_e32 vcc, s5, v8
	v_bfrev_b32_e32 v15, 1
	s_and_saveexec_b64 s[16:17], vcc
	s_cbranch_execz .LBB528_805
; %bb.802:                              ;   in Loop: Header=BB528_794 Depth=1
	v_and_b32_e32 v12, 0x7f, v8
	v_cmp_ne_u32_e32 vcc, s21, v12
	v_mov_b32_e32 v15, 0x7f800001
	s_and_saveexec_b64 s[18:19], vcc
	s_cbranch_execz .LBB528_804
; %bb.803:                              ;   in Loop: Header=BB528_794 Depth=1
	v_and_b32_e32 v15, 7, v8
	v_ffbh_u32_e32 v16, v15
	v_min_u32_e32 v19, 32, v16
	v_subrev_u32_e32 v16, 28, v19
	v_lshlrev_b64 v[16:17], v16, v[8:9]
	v_lshrrev_b32_e32 v18, 3, v12
	v_sub_u32_e32 v8, 29, v19
	v_and_b32_e32 v16, 7, v16
	v_cmp_gt_u32_e32 vcc, 8, v12
	v_cndmask_b32_e32 v8, v18, v8, vcc
	v_cndmask_b32_e32 v12, v15, v16, vcc
	v_lshlrev_b32_e32 v15, 16, v6
	v_lshlrev_b32_e32 v12, 20, v12
	v_and_b32_e32 v15, 0x80000000, v15
	v_lshl_add_u32 v8, v8, 23, v10
	v_or3_b32 v15, v15, v8, v12
.LBB528_804:                            ;   in Loop: Header=BB528_794 Depth=1
	s_or_b64 exec, exec, s[18:19]
.LBB528_805:                            ;   in Loop: Header=BB528_794 Depth=1
	s_or_b64 exec, exec, s[16:17]
.LBB528_806:                            ;   in Loop: Header=BB528_794 Depth=1
	s_or_b64 exec, exec, s[14:15]
	v_lshrrev_b32_e32 v8, 16, v6
	v_cmp_ne_u16_sdwa s[16:17], v8, v9 src0_sel:BYTE_0 src1_sel:DWORD
	s_and_saveexec_b64 s[14:15], s[16:17]
	s_cbranch_execz .LBB528_812
; %bb.807:                              ;   in Loop: Header=BB528_794 Depth=1
	v_cmp_ne_u16_sdwa s[18:19], v8, s5 src0_sel:BYTE_0 src1_sel:DWORD
	v_bfrev_b32_e32 v14, 1
	s_and_saveexec_b64 s[16:17], s[18:19]
	s_cbranch_execz .LBB528_811
; %bb.808:                              ;   in Loop: Header=BB528_794 Depth=1
	v_bfe_u32 v12, v6, 16, 7
	v_cmp_ne_u32_e32 vcc, s21, v12
	v_mov_b32_e32 v14, 0x7f800001
	s_and_saveexec_b64 s[18:19], vcc
	s_cbranch_execz .LBB528_810
; %bb.809:                              ;   in Loop: Header=BB528_794 Depth=1
	v_and_b32_e32 v14, 7, v8
	v_ffbh_u32_e32 v16, v14
	v_min_u32_e32 v19, 32, v16
	v_subrev_u32_e32 v16, 28, v19
	v_lshlrev_b64 v[16:17], v16, v[8:9]
	v_lshrrev_b32_e32 v18, 3, v12
	v_sub_u32_e32 v17, 29, v19
	v_and_b32_e32 v16, 7, v16
	v_cmp_gt_u32_e32 vcc, 8, v12
	v_cndmask_b32_e32 v12, v18, v17, vcc
	v_cndmask_b32_e32 v14, v14, v16, vcc
	v_lshlrev_b32_e32 v8, 24, v8
	v_lshlrev_b32_e32 v14, 20, v14
	v_and_b32_e32 v8, 0x80000000, v8
	v_lshl_add_u32 v12, v12, 23, v10
	v_or3_b32 v14, v8, v12, v14
.LBB528_810:                            ;   in Loop: Header=BB528_794 Depth=1
	s_or_b64 exec, exec, s[18:19]
.LBB528_811:                            ;   in Loop: Header=BB528_794 Depth=1
	s_or_b64 exec, exec, s[16:17]
.LBB528_812:                            ;   in Loop: Header=BB528_794 Depth=1
	s_or_b64 exec, exec, s[14:15]
	v_cmp_lt_u32_e32 vcc, s22, v6
	v_mov_b32_e32 v16, 0
	v_mov_b32_e32 v17, 0
	s_and_saveexec_b64 s[14:15], vcc
	s_cbranch_execz .LBB528_818
; %bb.813:                              ;   in Loop: Header=BB528_794 Depth=1
	v_lshrrev_b32_e32 v8, 24, v6
	v_cmp_ne_u32_e32 vcc, s5, v8
	v_bfrev_b32_e32 v17, 1
	s_and_saveexec_b64 s[16:17], vcc
	s_cbranch_execz .LBB528_817
; %bb.814:                              ;   in Loop: Header=BB528_794 Depth=1
	v_bfe_u32 v6, v6, 24, 7
	v_cmp_ne_u32_e32 vcc, s21, v6
	v_mov_b32_e32 v17, 0x7f800001
	s_and_saveexec_b64 s[18:19], vcc
	s_cbranch_execz .LBB528_816
; %bb.815:                              ;   in Loop: Header=BB528_794 Depth=1
	v_and_b32_e32 v12, 7, v8
	v_ffbh_u32_e32 v18, v12
	v_min_u32_e32 v20, 32, v18
	v_subrev_u32_e32 v18, 28, v20
	v_lshlrev_b64 v[18:19], v18, v[8:9]
	v_lshrrev_b32_e32 v17, 3, v6
	v_sub_u32_e32 v19, 29, v20
	v_and_b32_e32 v18, 7, v18
	v_cmp_gt_u32_e32 vcc, 8, v6
	v_cndmask_b32_e32 v6, v17, v19, vcc
	v_cndmask_b32_e32 v12, v12, v18, vcc
	v_lshlrev_b32_e32 v8, 24, v8
	v_lshlrev_b32_e32 v12, 20, v12
	v_and_b32_e32 v8, 0x80000000, v8
	v_lshl_add_u32 v6, v6, 23, v10
	v_or3_b32 v17, v8, v6, v12
.LBB528_816:                            ;   in Loop: Header=BB528_794 Depth=1
	s_or_b64 exec, exec, s[18:19]
.LBB528_817:                            ;   in Loop: Header=BB528_794 Depth=1
	s_or_b64 exec, exec, s[16:17]
.LBB528_818:                            ;   in Loop: Header=BB528_794 Depth=1
	s_or_b64 exec, exec, s[14:15]
	s_waitcnt vmcnt(0)
	v_cmp_ne_u16_sdwa s[16:17], v4, v9 src0_sel:BYTE_0 src1_sel:DWORD
	s_and_saveexec_b64 s[14:15], s[16:17]
	s_cbranch_execz .LBB528_824
; %bb.819:                              ;   in Loop: Header=BB528_794 Depth=1
	v_cmp_ne_u16_sdwa s[18:19], v4, s5 src0_sel:BYTE_0 src1_sel:DWORD
	v_bfrev_b32_e32 v16, 1
	s_and_saveexec_b64 s[16:17], s[18:19]
	s_cbranch_execz .LBB528_823
; %bb.820:                              ;   in Loop: Header=BB528_794 Depth=1
	v_and_b32_e32 v6, 0x7f, v4
	v_cmp_ne_u32_e32 vcc, s21, v6
	v_mov_b32_e32 v16, 0x7f800001
	s_and_saveexec_b64 s[18:19], vcc
	s_cbranch_execz .LBB528_822
; %bb.821:                              ;   in Loop: Header=BB528_794 Depth=1
	v_and_b32_e32 v8, 7, v4
	v_ffbh_u32_e32 v16, v8
	v_min_u32_e32 v16, 32, v16
	v_subrev_u32_e32 v18, 28, v16
	v_lshlrev_b64 v[18:19], v18, v[4:5]
	v_lshrrev_b32_e32 v12, 3, v6
	v_sub_u32_e32 v16, 29, v16
	v_and_b32_e32 v18, 7, v18
	v_cmp_gt_u32_e32 vcc, 8, v6
	v_cndmask_b32_e32 v6, v12, v16, vcc
	v_cndmask_b32_e32 v8, v8, v18, vcc
	v_lshlrev_b32_e32 v12, 24, v4
	v_lshlrev_b32_e32 v8, 20, v8
	v_and_b32_e32 v12, 0x80000000, v12
	v_lshl_add_u32 v6, v6, 23, v10
	v_or3_b32 v16, v12, v6, v8
.LBB528_822:                            ;   in Loop: Header=BB528_794 Depth=1
	s_or_b64 exec, exec, s[18:19]
.LBB528_823:                            ;   in Loop: Header=BB528_794 Depth=1
	s_or_b64 exec, exec, s[16:17]
.LBB528_824:                            ;   in Loop: Header=BB528_794 Depth=1
	s_or_b64 exec, exec, s[14:15]
	v_lshrrev_b16_e32 v6, 8, v4
	v_cmp_ne_u16_e32 vcc, 0, v6
	v_mov_b32_e32 v8, 0
	v_mov_b32_e32 v18, 0
	s_and_saveexec_b64 s[14:15], vcc
	s_cbranch_execz .LBB528_830
; %bb.825:                              ;   in Loop: Header=BB528_794 Depth=1
	v_cmp_ne_u16_e32 vcc, s5, v6
	v_bfrev_b32_e32 v18, 1
	s_and_saveexec_b64 s[16:17], vcc
	s_cbranch_execz .LBB528_829
; %bb.826:                              ;   in Loop: Header=BB528_794 Depth=1
	v_and_b32_e32 v12, 0x7f, v6
	v_cmp_ne_u32_e32 vcc, s21, v12
	v_mov_b32_e32 v18, 0x7f800001
	s_and_saveexec_b64 s[18:19], vcc
	s_cbranch_execz .LBB528_828
; %bb.827:                              ;   in Loop: Header=BB528_794 Depth=1
	v_and_b32_e32 v20, 7, v6
	v_ffbh_u32_e32 v18, v20
	v_min_u32_e32 v22, 32, v18
	v_subrev_u32_e32 v18, 28, v22
	v_lshlrev_b64 v[18:19], v18, v[6:7]
	v_lshrrev_b32_e32 v21, 3, v12
	v_sub_u32_e32 v6, 29, v22
	v_and_b32_e32 v18, 7, v18
	v_cmp_gt_u32_e32 vcc, 8, v12
	v_cndmask_b32_e32 v6, v21, v6, vcc
	v_cndmask_b32_e32 v12, v20, v18, vcc
	v_lshlrev_b32_e32 v18, 16, v4
	v_lshlrev_b32_e32 v12, 20, v12
	v_and_b32_e32 v18, 0x80000000, v18
	v_lshl_add_u32 v6, v6, 23, v10
	v_or3_b32 v18, v18, v6, v12
.LBB528_828:                            ;   in Loop: Header=BB528_794 Depth=1
	s_or_b64 exec, exec, s[18:19]
.LBB528_829:                            ;   in Loop: Header=BB528_794 Depth=1
	s_or_b64 exec, exec, s[16:17]
.LBB528_830:                            ;   in Loop: Header=BB528_794 Depth=1
	s_or_b64 exec, exec, s[14:15]
	v_lshrrev_b32_e32 v6, 16, v4
	v_cmp_ne_u16_sdwa s[16:17], v6, v9 src0_sel:BYTE_0 src1_sel:DWORD
	s_and_saveexec_b64 s[14:15], s[16:17]
	s_cbranch_execz .LBB528_836
; %bb.831:                              ;   in Loop: Header=BB528_794 Depth=1
	v_cmp_ne_u16_sdwa s[18:19], v6, s5 src0_sel:BYTE_0 src1_sel:DWORD
	v_bfrev_b32_e32 v8, 1
	s_and_saveexec_b64 s[16:17], s[18:19]
	s_cbranch_execz .LBB528_835
; %bb.832:                              ;   in Loop: Header=BB528_794 Depth=1
	v_bfe_u32 v12, v4, 16, 7
	v_cmp_ne_u32_e32 vcc, s21, v12
	v_mov_b32_e32 v8, 0x7f800001
	s_and_saveexec_b64 s[18:19], vcc
	s_cbranch_execz .LBB528_834
; %bb.833:                              ;   in Loop: Header=BB528_794 Depth=1
	v_and_b32_e32 v8, 7, v6
	v_ffbh_u32_e32 v20, v8
	v_min_u32_e32 v22, 32, v20
	v_subrev_u32_e32 v20, 28, v22
	v_lshlrev_b64 v[20:21], v20, v[6:7]
	v_lshrrev_b32_e32 v19, 3, v12
	v_sub_u32_e32 v21, 29, v22
	v_and_b32_e32 v20, 7, v20
	v_cmp_gt_u32_e32 vcc, 8, v12
	v_cndmask_b32_e32 v12, v19, v21, vcc
	v_cndmask_b32_e32 v8, v8, v20, vcc
	v_lshlrev_b32_e32 v6, 24, v6
	v_lshlrev_b32_e32 v8, 20, v8
	v_and_b32_e32 v6, 0x80000000, v6
	v_lshl_add_u32 v12, v12, 23, v10
	v_or3_b32 v8, v6, v12, v8
.LBB528_834:                            ;   in Loop: Header=BB528_794 Depth=1
	s_or_b64 exec, exec, s[18:19]
.LBB528_835:                            ;   in Loop: Header=BB528_794 Depth=1
	s_or_b64 exec, exec, s[16:17]
.LBB528_836:                            ;   in Loop: Header=BB528_794 Depth=1
	s_or_b64 exec, exec, s[14:15]
	v_cmp_lt_u32_e32 vcc, s22, v4
	v_mov_b32_e32 v12, 0
	v_mov_b32_e32 v19, 0
	s_and_saveexec_b64 s[14:15], vcc
	s_cbranch_execz .LBB528_842
; %bb.837:                              ;   in Loop: Header=BB528_794 Depth=1
	v_lshrrev_b32_e32 v6, 24, v4
	v_cmp_ne_u32_e32 vcc, s5, v6
	v_bfrev_b32_e32 v19, 1
	s_and_saveexec_b64 s[16:17], vcc
	s_cbranch_execz .LBB528_841
; %bb.838:                              ;   in Loop: Header=BB528_794 Depth=1
	v_bfe_u32 v4, v4, 24, 7
	v_cmp_ne_u32_e32 vcc, s21, v4
	v_mov_b32_e32 v19, 0x7f800001
	s_and_saveexec_b64 s[18:19], vcc
	s_cbranch_execz .LBB528_840
; %bb.839:                              ;   in Loop: Header=BB528_794 Depth=1
	v_and_b32_e32 v19, 7, v6
	v_ffbh_u32_e32 v20, v19
	v_min_u32_e32 v23, 32, v20
	v_subrev_u32_e32 v20, 28, v23
	v_lshlrev_b64 v[20:21], v20, v[6:7]
	v_lshrrev_b32_e32 v22, 3, v4
	v_sub_u32_e32 v21, 29, v23
	v_and_b32_e32 v20, 7, v20
	v_cmp_gt_u32_e32 vcc, 8, v4
	v_cndmask_b32_e32 v4, v22, v21, vcc
	v_cndmask_b32_e32 v19, v19, v20, vcc
	v_lshlrev_b32_e32 v6, 24, v6
	v_lshlrev_b32_e32 v19, 20, v19
	v_and_b32_e32 v6, 0x80000000, v6
	v_lshl_add_u32 v4, v4, 23, v10
	v_or3_b32 v19, v6, v4, v19
.LBB528_840:                            ;   in Loop: Header=BB528_794 Depth=1
	s_or_b64 exec, exec, s[18:19]
.LBB528_841:                            ;   in Loop: Header=BB528_794 Depth=1
	s_or_b64 exec, exec, s[16:17]
.LBB528_842:                            ;   in Loop: Header=BB528_794 Depth=1
	s_or_b64 exec, exec, s[14:15]
	buffer_load_dword v6, v11, s[0:3], 0 offen offset:8
	buffer_load_dword v4, v11, s[0:3], 0 offen offset:12
	v_cvt_pkrtz_f16_f32 v20, v13, v15
	v_cvt_pkrtz_f16_f32 v21, v14, v17
	;; [unrolled: 1-line block ×4, first 2 shown]
	v_mfma_f32_4x4x4f16 a[0:3], v[2:3], v[20:21], 0 cbsz:4
	s_waitcnt vmcnt(1)
	v_cmp_ne_u16_sdwa s[16:17], v6, v9 src0_sel:BYTE_0 src1_sel:DWORD
	v_mfma_f32_4x4x4f16 a[0:3], v[2:3], v[14:15], a[0:3] cbsz:4 abid:1
	s_and_saveexec_b64 s[14:15], s[16:17]
	s_cbranch_execz .LBB528_848
; %bb.843:                              ;   in Loop: Header=BB528_794 Depth=1
	v_cmp_ne_u16_sdwa s[18:19], v6, s5 src0_sel:BYTE_0 src1_sel:DWORD
	v_bfrev_b32_e32 v12, 1
	s_and_saveexec_b64 s[16:17], s[18:19]
	s_cbranch_execz .LBB528_847
; %bb.844:                              ;   in Loop: Header=BB528_794 Depth=1
	v_and_b32_e32 v8, 0x7f, v6
	v_cmp_ne_u32_e32 vcc, s21, v8
	v_mov_b32_e32 v12, 0x7f800001
	s_and_saveexec_b64 s[18:19], vcc
	s_cbranch_execz .LBB528_846
; %bb.845:                              ;   in Loop: Header=BB528_794 Depth=1
	v_and_b32_e32 v14, 7, v6
	v_ffbh_u32_e32 v12, v14
	v_min_u32_e32 v16, 32, v12
	v_subrev_u32_e32 v12, 28, v16
	v_lshlrev_b64 v[12:13], v12, v[6:7]
	v_lshrrev_b32_e32 v15, 3, v8
	v_sub_u32_e32 v13, 29, v16
	v_and_b32_e32 v12, 7, v12
	v_cmp_gt_u32_e32 vcc, 8, v8
	v_cndmask_b32_e32 v8, v15, v13, vcc
	v_cndmask_b32_e32 v12, v14, v12, vcc
	v_lshlrev_b32_e32 v13, 24, v6
	v_lshlrev_b32_e32 v12, 20, v12
	v_and_b32_e32 v13, 0x80000000, v13
	v_lshl_add_u32 v8, v8, 23, v10
	v_or3_b32 v12, v13, v8, v12
.LBB528_846:                            ;   in Loop: Header=BB528_794 Depth=1
	s_or_b64 exec, exec, s[18:19]
.LBB528_847:                            ;   in Loop: Header=BB528_794 Depth=1
	s_or_b64 exec, exec, s[16:17]
.LBB528_848:                            ;   in Loop: Header=BB528_794 Depth=1
	s_or_b64 exec, exec, s[14:15]
	v_lshrrev_b16_e32 v8, 8, v6
	v_cmp_ne_u16_e32 vcc, 0, v8
	v_mov_b32_e32 v14, 0
	v_mov_b32_e32 v15, 0
	s_and_saveexec_b64 s[14:15], vcc
	s_cbranch_execz .LBB528_854
; %bb.849:                              ;   in Loop: Header=BB528_794 Depth=1
	v_cmp_ne_u16_e32 vcc, s5, v8
	v_bfrev_b32_e32 v15, 1
	s_and_saveexec_b64 s[16:17], vcc
	s_cbranch_execz .LBB528_853
; %bb.850:                              ;   in Loop: Header=BB528_794 Depth=1
	v_and_b32_e32 v13, 0x7f, v8
	v_cmp_ne_u32_e32 vcc, s21, v13
	v_mov_b32_e32 v15, 0x7f800001
	s_and_saveexec_b64 s[18:19], vcc
	s_cbranch_execz .LBB528_852
; %bb.851:                              ;   in Loop: Header=BB528_794 Depth=1
	v_and_b32_e32 v15, 7, v8
	v_ffbh_u32_e32 v16, v15
	v_min_u32_e32 v19, 32, v16
	v_subrev_u32_e32 v16, 28, v19
	v_lshlrev_b64 v[16:17], v16, v[8:9]
	v_lshrrev_b32_e32 v18, 3, v13
	v_sub_u32_e32 v8, 29, v19
	v_and_b32_e32 v16, 7, v16
	v_cmp_gt_u32_e32 vcc, 8, v13
	v_cndmask_b32_e32 v8, v18, v8, vcc
	v_cndmask_b32_e32 v13, v15, v16, vcc
	v_lshlrev_b32_e32 v15, 16, v6
	v_lshlrev_b32_e32 v13, 20, v13
	v_and_b32_e32 v15, 0x80000000, v15
	v_lshl_add_u32 v8, v8, 23, v10
	v_or3_b32 v15, v15, v8, v13
.LBB528_852:                            ;   in Loop: Header=BB528_794 Depth=1
	s_or_b64 exec, exec, s[18:19]
.LBB528_853:                            ;   in Loop: Header=BB528_794 Depth=1
	s_or_b64 exec, exec, s[16:17]
.LBB528_854:                            ;   in Loop: Header=BB528_794 Depth=1
	s_or_b64 exec, exec, s[14:15]
	v_lshrrev_b32_e32 v8, 16, v6
	v_cmp_ne_u16_sdwa s[16:17], v8, v9 src0_sel:BYTE_0 src1_sel:DWORD
	s_and_saveexec_b64 s[14:15], s[16:17]
	s_cbranch_execz .LBB528_860
; %bb.855:                              ;   in Loop: Header=BB528_794 Depth=1
	v_cmp_ne_u16_sdwa s[18:19], v8, s5 src0_sel:BYTE_0 src1_sel:DWORD
	v_bfrev_b32_e32 v14, 1
	s_and_saveexec_b64 s[16:17], s[18:19]
	s_cbranch_execz .LBB528_859
; %bb.856:                              ;   in Loop: Header=BB528_794 Depth=1
	v_bfe_u32 v13, v6, 16, 7
	v_cmp_ne_u32_e32 vcc, s21, v13
	v_mov_b32_e32 v14, 0x7f800001
	s_and_saveexec_b64 s[18:19], vcc
	s_cbranch_execz .LBB528_858
; %bb.857:                              ;   in Loop: Header=BB528_794 Depth=1
	v_and_b32_e32 v14, 7, v8
	v_ffbh_u32_e32 v16, v14
	v_min_u32_e32 v19, 32, v16
	v_subrev_u32_e32 v16, 28, v19
	v_lshlrev_b64 v[16:17], v16, v[8:9]
	v_lshrrev_b32_e32 v18, 3, v13
	v_sub_u32_e32 v17, 29, v19
	v_and_b32_e32 v16, 7, v16
	v_cmp_gt_u32_e32 vcc, 8, v13
	v_cndmask_b32_e32 v13, v18, v17, vcc
	v_cndmask_b32_e32 v14, v14, v16, vcc
	v_lshlrev_b32_e32 v8, 24, v8
	v_lshlrev_b32_e32 v14, 20, v14
	v_and_b32_e32 v8, 0x80000000, v8
	v_lshl_add_u32 v13, v13, 23, v10
	v_or3_b32 v14, v8, v13, v14
.LBB528_858:                            ;   in Loop: Header=BB528_794 Depth=1
	s_or_b64 exec, exec, s[18:19]
.LBB528_859:                            ;   in Loop: Header=BB528_794 Depth=1
	s_or_b64 exec, exec, s[16:17]
.LBB528_860:                            ;   in Loop: Header=BB528_794 Depth=1
	s_or_b64 exec, exec, s[14:15]
	v_cmp_lt_u32_e32 vcc, s22, v6
	v_mov_b32_e32 v16, 0
	v_mov_b32_e32 v17, 0
	s_and_saveexec_b64 s[14:15], vcc
	s_cbranch_execz .LBB528_866
; %bb.861:                              ;   in Loop: Header=BB528_794 Depth=1
	v_lshrrev_b32_e32 v8, 24, v6
	v_cmp_ne_u32_e32 vcc, s5, v8
	v_bfrev_b32_e32 v17, 1
	s_and_saveexec_b64 s[16:17], vcc
	s_cbranch_execz .LBB528_865
; %bb.862:                              ;   in Loop: Header=BB528_794 Depth=1
	v_bfe_u32 v6, v6, 24, 7
	v_cmp_ne_u32_e32 vcc, s21, v6
	v_mov_b32_e32 v17, 0x7f800001
	s_and_saveexec_b64 s[18:19], vcc
	s_cbranch_execz .LBB528_864
; %bb.863:                              ;   in Loop: Header=BB528_794 Depth=1
	v_and_b32_e32 v13, 7, v8
	v_ffbh_u32_e32 v18, v13
	v_min_u32_e32 v20, 32, v18
	v_subrev_u32_e32 v18, 28, v20
	v_lshlrev_b64 v[18:19], v18, v[8:9]
	v_lshrrev_b32_e32 v17, 3, v6
	v_sub_u32_e32 v19, 29, v20
	v_and_b32_e32 v18, 7, v18
	v_cmp_gt_u32_e32 vcc, 8, v6
	v_cndmask_b32_e32 v6, v17, v19, vcc
	v_cndmask_b32_e32 v13, v13, v18, vcc
	v_lshlrev_b32_e32 v8, 24, v8
	v_lshlrev_b32_e32 v13, 20, v13
	v_and_b32_e32 v8, 0x80000000, v8
	v_lshl_add_u32 v6, v6, 23, v10
	v_or3_b32 v17, v8, v6, v13
.LBB528_864:                            ;   in Loop: Header=BB528_794 Depth=1
	s_or_b64 exec, exec, s[18:19]
.LBB528_865:                            ;   in Loop: Header=BB528_794 Depth=1
	s_or_b64 exec, exec, s[16:17]
.LBB528_866:                            ;   in Loop: Header=BB528_794 Depth=1
	s_or_b64 exec, exec, s[14:15]
	s_waitcnt vmcnt(0)
	v_cmp_ne_u16_sdwa s[16:17], v4, v9 src0_sel:BYTE_0 src1_sel:DWORD
	s_and_saveexec_b64 s[14:15], s[16:17]
	s_cbranch_execz .LBB528_872
; %bb.867:                              ;   in Loop: Header=BB528_794 Depth=1
	v_cmp_ne_u16_sdwa s[18:19], v4, s5 src0_sel:BYTE_0 src1_sel:DWORD
	v_bfrev_b32_e32 v16, 1
	s_and_saveexec_b64 s[16:17], s[18:19]
	s_cbranch_execz .LBB528_871
; %bb.868:                              ;   in Loop: Header=BB528_794 Depth=1
	v_and_b32_e32 v6, 0x7f, v4
	v_cmp_ne_u32_e32 vcc, s21, v6
	v_mov_b32_e32 v16, 0x7f800001
	s_and_saveexec_b64 s[18:19], vcc
	s_cbranch_execz .LBB528_870
; %bb.869:                              ;   in Loop: Header=BB528_794 Depth=1
	v_and_b32_e32 v8, 7, v4
	v_ffbh_u32_e32 v16, v8
	v_min_u32_e32 v16, 32, v16
	v_subrev_u32_e32 v18, 28, v16
	v_lshlrev_b64 v[18:19], v18, v[4:5]
	v_lshrrev_b32_e32 v13, 3, v6
	v_sub_u32_e32 v16, 29, v16
	v_and_b32_e32 v18, 7, v18
	v_cmp_gt_u32_e32 vcc, 8, v6
	v_cndmask_b32_e32 v6, v13, v16, vcc
	v_cndmask_b32_e32 v8, v8, v18, vcc
	v_lshlrev_b32_e32 v13, 24, v4
	v_lshlrev_b32_e32 v8, 20, v8
	v_and_b32_e32 v13, 0x80000000, v13
	v_lshl_add_u32 v6, v6, 23, v10
	v_or3_b32 v16, v13, v6, v8
.LBB528_870:                            ;   in Loop: Header=BB528_794 Depth=1
	s_or_b64 exec, exec, s[18:19]
.LBB528_871:                            ;   in Loop: Header=BB528_794 Depth=1
	s_or_b64 exec, exec, s[16:17]
.LBB528_872:                            ;   in Loop: Header=BB528_794 Depth=1
	s_or_b64 exec, exec, s[14:15]
	v_lshrrev_b16_e32 v6, 8, v4
	v_cmp_ne_u16_e32 vcc, 0, v6
	v_mov_b32_e32 v8, 0
	v_mov_b32_e32 v18, 0
	s_and_saveexec_b64 s[14:15], vcc
	s_cbranch_execz .LBB528_878
; %bb.873:                              ;   in Loop: Header=BB528_794 Depth=1
	v_cmp_ne_u16_e32 vcc, s5, v6
	v_bfrev_b32_e32 v18, 1
	s_and_saveexec_b64 s[16:17], vcc
	s_cbranch_execz .LBB528_877
; %bb.874:                              ;   in Loop: Header=BB528_794 Depth=1
	v_and_b32_e32 v13, 0x7f, v6
	v_cmp_ne_u32_e32 vcc, s21, v13
	v_mov_b32_e32 v18, 0x7f800001
	s_and_saveexec_b64 s[18:19], vcc
	s_cbranch_execz .LBB528_876
; %bb.875:                              ;   in Loop: Header=BB528_794 Depth=1
	v_and_b32_e32 v20, 7, v6
	v_ffbh_u32_e32 v18, v20
	v_min_u32_e32 v22, 32, v18
	v_subrev_u32_e32 v18, 28, v22
	v_lshlrev_b64 v[18:19], v18, v[6:7]
	v_lshrrev_b32_e32 v21, 3, v13
	v_sub_u32_e32 v6, 29, v22
	v_and_b32_e32 v18, 7, v18
	v_cmp_gt_u32_e32 vcc, 8, v13
	v_cndmask_b32_e32 v6, v21, v6, vcc
	v_cndmask_b32_e32 v13, v20, v18, vcc
	v_lshlrev_b32_e32 v18, 16, v4
	v_lshlrev_b32_e32 v13, 20, v13
	v_and_b32_e32 v18, 0x80000000, v18
	v_lshl_add_u32 v6, v6, 23, v10
	v_or3_b32 v18, v18, v6, v13
.LBB528_876:                            ;   in Loop: Header=BB528_794 Depth=1
	s_or_b64 exec, exec, s[18:19]
.LBB528_877:                            ;   in Loop: Header=BB528_794 Depth=1
	s_or_b64 exec, exec, s[16:17]
.LBB528_878:                            ;   in Loop: Header=BB528_794 Depth=1
	s_or_b64 exec, exec, s[14:15]
	v_lshrrev_b32_e32 v6, 16, v4
	v_cmp_ne_u16_sdwa s[16:17], v6, v9 src0_sel:BYTE_0 src1_sel:DWORD
	s_and_saveexec_b64 s[14:15], s[16:17]
	s_cbranch_execz .LBB528_884
; %bb.879:                              ;   in Loop: Header=BB528_794 Depth=1
	v_cmp_ne_u16_sdwa s[18:19], v6, s5 src0_sel:BYTE_0 src1_sel:DWORD
	v_bfrev_b32_e32 v8, 1
	s_and_saveexec_b64 s[16:17], s[18:19]
	s_cbranch_execz .LBB528_883
; %bb.880:                              ;   in Loop: Header=BB528_794 Depth=1
	v_bfe_u32 v13, v4, 16, 7
	v_cmp_ne_u32_e32 vcc, s21, v13
	v_mov_b32_e32 v8, 0x7f800001
	s_and_saveexec_b64 s[18:19], vcc
	s_cbranch_execz .LBB528_882
; %bb.881:                              ;   in Loop: Header=BB528_794 Depth=1
	v_and_b32_e32 v8, 7, v6
	v_ffbh_u32_e32 v20, v8
	v_min_u32_e32 v22, 32, v20
	v_subrev_u32_e32 v20, 28, v22
	v_lshlrev_b64 v[20:21], v20, v[6:7]
	v_lshrrev_b32_e32 v19, 3, v13
	v_sub_u32_e32 v21, 29, v22
	v_and_b32_e32 v20, 7, v20
	v_cmp_gt_u32_e32 vcc, 8, v13
	v_cndmask_b32_e32 v13, v19, v21, vcc
	v_cndmask_b32_e32 v8, v8, v20, vcc
	v_lshlrev_b32_e32 v6, 24, v6
	v_lshlrev_b32_e32 v8, 20, v8
	v_and_b32_e32 v6, 0x80000000, v6
	v_lshl_add_u32 v13, v13, 23, v10
	v_or3_b32 v8, v6, v13, v8
.LBB528_882:                            ;   in Loop: Header=BB528_794 Depth=1
	s_or_b64 exec, exec, s[18:19]
.LBB528_883:                            ;   in Loop: Header=BB528_794 Depth=1
	s_or_b64 exec, exec, s[16:17]
.LBB528_884:                            ;   in Loop: Header=BB528_794 Depth=1
	s_or_b64 exec, exec, s[14:15]
	v_cmp_lt_u32_e32 vcc, s22, v4
	v_mov_b32_e32 v13, 0
	v_mov_b32_e32 v19, 0
	s_and_saveexec_b64 s[14:15], vcc
	s_cbranch_execz .LBB528_890
; %bb.885:                              ;   in Loop: Header=BB528_794 Depth=1
	v_lshrrev_b32_e32 v6, 24, v4
	v_cmp_ne_u32_e32 vcc, s5, v6
	v_bfrev_b32_e32 v19, 1
	s_and_saveexec_b64 s[16:17], vcc
	s_cbranch_execz .LBB528_889
; %bb.886:                              ;   in Loop: Header=BB528_794 Depth=1
	v_bfe_u32 v4, v4, 24, 7
	v_cmp_ne_u32_e32 vcc, s21, v4
	v_mov_b32_e32 v19, 0x7f800001
	s_and_saveexec_b64 s[18:19], vcc
	s_cbranch_execz .LBB528_888
; %bb.887:                              ;   in Loop: Header=BB528_794 Depth=1
	v_and_b32_e32 v19, 7, v6
	v_ffbh_u32_e32 v20, v19
	v_min_u32_e32 v23, 32, v20
	v_subrev_u32_e32 v20, 28, v23
	v_lshlrev_b64 v[20:21], v20, v[6:7]
	v_lshrrev_b32_e32 v22, 3, v4
	v_sub_u32_e32 v21, 29, v23
	v_and_b32_e32 v20, 7, v20
	v_cmp_gt_u32_e32 vcc, 8, v4
	v_cndmask_b32_e32 v4, v22, v21, vcc
	v_cndmask_b32_e32 v19, v19, v20, vcc
	v_lshlrev_b32_e32 v6, 24, v6
	v_lshlrev_b32_e32 v19, 20, v19
	v_and_b32_e32 v6, 0x80000000, v6
	v_lshl_add_u32 v4, v4, 23, v10
	v_or3_b32 v19, v6, v4, v19
.LBB528_888:                            ;   in Loop: Header=BB528_794 Depth=1
	s_or_b64 exec, exec, s[18:19]
.LBB528_889:                            ;   in Loop: Header=BB528_794 Depth=1
	s_or_b64 exec, exec, s[16:17]
.LBB528_890:                            ;   in Loop: Header=BB528_794 Depth=1
	s_or_b64 exec, exec, s[14:15]
	buffer_load_dword v6, v11, s[0:3], 0 offen offset:16
	buffer_load_dword v4, v11, s[0:3], 0 offen offset:20
	v_cvt_pkrtz_f16_f32 v20, v12, v15
	v_cvt_pkrtz_f16_f32 v21, v14, v17
	;; [unrolled: 1-line block ×4, first 2 shown]
	v_mfma_f32_4x4x4f16 a[0:3], v[2:3], v[20:21], a[0:3] cbsz:4 abid:2
	s_waitcnt vmcnt(1)
	v_cmp_ne_u16_sdwa s[16:17], v6, v9 src0_sel:BYTE_0 src1_sel:DWORD
	v_mfma_f32_4x4x4f16 a[0:3], v[2:3], v[14:15], a[0:3] cbsz:4 abid:3
	s_and_saveexec_b64 s[14:15], s[16:17]
	s_cbranch_execz .LBB528_896
; %bb.891:                              ;   in Loop: Header=BB528_794 Depth=1
	v_cmp_ne_u16_sdwa s[18:19], v6, s5 src0_sel:BYTE_0 src1_sel:DWORD
	v_bfrev_b32_e32 v13, 1
	s_and_saveexec_b64 s[16:17], s[18:19]
	s_cbranch_execz .LBB528_895
; %bb.892:                              ;   in Loop: Header=BB528_794 Depth=1
	v_and_b32_e32 v8, 0x7f, v6
	v_cmp_ne_u32_e32 vcc, s21, v8
	v_mov_b32_e32 v13, 0x7f800001
	s_and_saveexec_b64 s[18:19], vcc
	s_cbranch_execz .LBB528_894
; %bb.893:                              ;   in Loop: Header=BB528_794 Depth=1
	v_and_b32_e32 v14, 7, v6
	v_ffbh_u32_e32 v12, v14
	v_min_u32_e32 v16, 32, v12
	v_subrev_u32_e32 v12, 28, v16
	v_lshlrev_b64 v[12:13], v12, v[6:7]
	v_lshrrev_b32_e32 v15, 3, v8
	v_sub_u32_e32 v13, 29, v16
	v_and_b32_e32 v12, 7, v12
	v_cmp_gt_u32_e32 vcc, 8, v8
	v_cndmask_b32_e32 v8, v15, v13, vcc
	v_cndmask_b32_e32 v12, v14, v12, vcc
	v_lshlrev_b32_e32 v13, 24, v6
	v_lshlrev_b32_e32 v12, 20, v12
	v_and_b32_e32 v13, 0x80000000, v13
	v_lshl_add_u32 v8, v8, 23, v10
	v_or3_b32 v13, v13, v8, v12
.LBB528_894:                            ;   in Loop: Header=BB528_794 Depth=1
	s_or_b64 exec, exec, s[18:19]
.LBB528_895:                            ;   in Loop: Header=BB528_794 Depth=1
	s_or_b64 exec, exec, s[16:17]
.LBB528_896:                            ;   in Loop: Header=BB528_794 Depth=1
	s_or_b64 exec, exec, s[14:15]
	v_lshrrev_b16_e32 v8, 8, v6
	v_cmp_ne_u16_e32 vcc, 0, v8
	v_mov_b32_e32 v14, 0
	v_mov_b32_e32 v15, 0
	s_and_saveexec_b64 s[14:15], vcc
	s_cbranch_execz .LBB528_902
; %bb.897:                              ;   in Loop: Header=BB528_794 Depth=1
	v_cmp_ne_u16_e32 vcc, s5, v8
	v_bfrev_b32_e32 v15, 1
	s_and_saveexec_b64 s[16:17], vcc
	s_cbranch_execz .LBB528_901
; %bb.898:                              ;   in Loop: Header=BB528_794 Depth=1
	v_and_b32_e32 v12, 0x7f, v8
	v_cmp_ne_u32_e32 vcc, s21, v12
	v_mov_b32_e32 v15, 0x7f800001
	s_and_saveexec_b64 s[18:19], vcc
	s_cbranch_execz .LBB528_900
; %bb.899:                              ;   in Loop: Header=BB528_794 Depth=1
	v_and_b32_e32 v15, 7, v8
	v_ffbh_u32_e32 v16, v15
	v_min_u32_e32 v19, 32, v16
	v_subrev_u32_e32 v16, 28, v19
	v_lshlrev_b64 v[16:17], v16, v[8:9]
	v_lshrrev_b32_e32 v18, 3, v12
	v_sub_u32_e32 v8, 29, v19
	v_and_b32_e32 v16, 7, v16
	v_cmp_gt_u32_e32 vcc, 8, v12
	v_cndmask_b32_e32 v8, v18, v8, vcc
	v_cndmask_b32_e32 v12, v15, v16, vcc
	v_lshlrev_b32_e32 v15, 16, v6
	v_lshlrev_b32_e32 v12, 20, v12
	v_and_b32_e32 v15, 0x80000000, v15
	v_lshl_add_u32 v8, v8, 23, v10
	v_or3_b32 v15, v15, v8, v12
.LBB528_900:                            ;   in Loop: Header=BB528_794 Depth=1
	s_or_b64 exec, exec, s[18:19]
.LBB528_901:                            ;   in Loop: Header=BB528_794 Depth=1
	s_or_b64 exec, exec, s[16:17]
.LBB528_902:                            ;   in Loop: Header=BB528_794 Depth=1
	s_or_b64 exec, exec, s[14:15]
	v_lshrrev_b32_e32 v8, 16, v6
	v_cmp_ne_u16_sdwa s[16:17], v8, v9 src0_sel:BYTE_0 src1_sel:DWORD
	s_and_saveexec_b64 s[14:15], s[16:17]
	s_cbranch_execz .LBB528_908
; %bb.903:                              ;   in Loop: Header=BB528_794 Depth=1
	v_cmp_ne_u16_sdwa s[18:19], v8, s5 src0_sel:BYTE_0 src1_sel:DWORD
	v_bfrev_b32_e32 v14, 1
	s_and_saveexec_b64 s[16:17], s[18:19]
	s_cbranch_execz .LBB528_907
; %bb.904:                              ;   in Loop: Header=BB528_794 Depth=1
	v_bfe_u32 v12, v6, 16, 7
	v_cmp_ne_u32_e32 vcc, s21, v12
	v_mov_b32_e32 v14, 0x7f800001
	s_and_saveexec_b64 s[18:19], vcc
	s_cbranch_execz .LBB528_906
; %bb.905:                              ;   in Loop: Header=BB528_794 Depth=1
	v_and_b32_e32 v14, 7, v8
	v_ffbh_u32_e32 v16, v14
	v_min_u32_e32 v19, 32, v16
	v_subrev_u32_e32 v16, 28, v19
	v_lshlrev_b64 v[16:17], v16, v[8:9]
	v_lshrrev_b32_e32 v18, 3, v12
	v_sub_u32_e32 v17, 29, v19
	v_and_b32_e32 v16, 7, v16
	v_cmp_gt_u32_e32 vcc, 8, v12
	v_cndmask_b32_e32 v12, v18, v17, vcc
	v_cndmask_b32_e32 v14, v14, v16, vcc
	v_lshlrev_b32_e32 v8, 24, v8
	v_lshlrev_b32_e32 v14, 20, v14
	v_and_b32_e32 v8, 0x80000000, v8
	v_lshl_add_u32 v12, v12, 23, v10
	v_or3_b32 v14, v8, v12, v14
.LBB528_906:                            ;   in Loop: Header=BB528_794 Depth=1
	s_or_b64 exec, exec, s[18:19]
.LBB528_907:                            ;   in Loop: Header=BB528_794 Depth=1
	s_or_b64 exec, exec, s[16:17]
.LBB528_908:                            ;   in Loop: Header=BB528_794 Depth=1
	s_or_b64 exec, exec, s[14:15]
	v_cmp_lt_u32_e32 vcc, s22, v6
	v_mov_b32_e32 v16, 0
	v_mov_b32_e32 v17, 0
	s_and_saveexec_b64 s[14:15], vcc
	s_cbranch_execz .LBB528_914
; %bb.909:                              ;   in Loop: Header=BB528_794 Depth=1
	v_lshrrev_b32_e32 v8, 24, v6
	v_cmp_ne_u32_e32 vcc, s5, v8
	v_bfrev_b32_e32 v17, 1
	s_and_saveexec_b64 s[16:17], vcc
	s_cbranch_execz .LBB528_913
; %bb.910:                              ;   in Loop: Header=BB528_794 Depth=1
	v_bfe_u32 v6, v6, 24, 7
	v_cmp_ne_u32_e32 vcc, s21, v6
	v_mov_b32_e32 v17, 0x7f800001
	s_and_saveexec_b64 s[18:19], vcc
	s_cbranch_execz .LBB528_912
; %bb.911:                              ;   in Loop: Header=BB528_794 Depth=1
	v_and_b32_e32 v12, 7, v8
	v_ffbh_u32_e32 v18, v12
	v_min_u32_e32 v20, 32, v18
	v_subrev_u32_e32 v18, 28, v20
	v_lshlrev_b64 v[18:19], v18, v[8:9]
	v_lshrrev_b32_e32 v17, 3, v6
	v_sub_u32_e32 v19, 29, v20
	v_and_b32_e32 v18, 7, v18
	v_cmp_gt_u32_e32 vcc, 8, v6
	v_cndmask_b32_e32 v6, v17, v19, vcc
	v_cndmask_b32_e32 v12, v12, v18, vcc
	v_lshlrev_b32_e32 v8, 24, v8
	v_lshlrev_b32_e32 v12, 20, v12
	v_and_b32_e32 v8, 0x80000000, v8
	v_lshl_add_u32 v6, v6, 23, v10
	v_or3_b32 v17, v8, v6, v12
.LBB528_912:                            ;   in Loop: Header=BB528_794 Depth=1
	s_or_b64 exec, exec, s[18:19]
.LBB528_913:                            ;   in Loop: Header=BB528_794 Depth=1
	s_or_b64 exec, exec, s[16:17]
.LBB528_914:                            ;   in Loop: Header=BB528_794 Depth=1
	s_or_b64 exec, exec, s[14:15]
	s_waitcnt vmcnt(0)
	v_cmp_ne_u16_sdwa s[16:17], v4, v9 src0_sel:BYTE_0 src1_sel:DWORD
	s_and_saveexec_b64 s[14:15], s[16:17]
	s_cbranch_execz .LBB528_920
; %bb.915:                              ;   in Loop: Header=BB528_794 Depth=1
	v_cmp_ne_u16_sdwa s[18:19], v4, s5 src0_sel:BYTE_0 src1_sel:DWORD
	v_bfrev_b32_e32 v16, 1
	s_and_saveexec_b64 s[16:17], s[18:19]
	s_cbranch_execz .LBB528_919
; %bb.916:                              ;   in Loop: Header=BB528_794 Depth=1
	v_and_b32_e32 v6, 0x7f, v4
	v_cmp_ne_u32_e32 vcc, s21, v6
	v_mov_b32_e32 v16, 0x7f800001
	s_and_saveexec_b64 s[18:19], vcc
	s_cbranch_execz .LBB528_918
; %bb.917:                              ;   in Loop: Header=BB528_794 Depth=1
	v_and_b32_e32 v8, 7, v4
	v_ffbh_u32_e32 v16, v8
	v_min_u32_e32 v16, 32, v16
	v_subrev_u32_e32 v18, 28, v16
	v_lshlrev_b64 v[18:19], v18, v[4:5]
	v_lshrrev_b32_e32 v12, 3, v6
	v_sub_u32_e32 v16, 29, v16
	v_and_b32_e32 v18, 7, v18
	v_cmp_gt_u32_e32 vcc, 8, v6
	v_cndmask_b32_e32 v6, v12, v16, vcc
	v_cndmask_b32_e32 v8, v8, v18, vcc
	v_lshlrev_b32_e32 v12, 24, v4
	v_lshlrev_b32_e32 v8, 20, v8
	v_and_b32_e32 v12, 0x80000000, v12
	v_lshl_add_u32 v6, v6, 23, v10
	v_or3_b32 v16, v12, v6, v8
.LBB528_918:                            ;   in Loop: Header=BB528_794 Depth=1
	s_or_b64 exec, exec, s[18:19]
.LBB528_919:                            ;   in Loop: Header=BB528_794 Depth=1
	s_or_b64 exec, exec, s[16:17]
.LBB528_920:                            ;   in Loop: Header=BB528_794 Depth=1
	s_or_b64 exec, exec, s[14:15]
	v_lshrrev_b16_e32 v6, 8, v4
	v_cmp_ne_u16_e32 vcc, 0, v6
	v_mov_b32_e32 v8, 0
	v_mov_b32_e32 v18, 0
	s_and_saveexec_b64 s[14:15], vcc
	s_cbranch_execz .LBB528_926
; %bb.921:                              ;   in Loop: Header=BB528_794 Depth=1
	v_cmp_ne_u16_e32 vcc, s5, v6
	v_bfrev_b32_e32 v18, 1
	s_and_saveexec_b64 s[16:17], vcc
	s_cbranch_execz .LBB528_925
; %bb.922:                              ;   in Loop: Header=BB528_794 Depth=1
	v_and_b32_e32 v12, 0x7f, v6
	v_cmp_ne_u32_e32 vcc, s21, v12
	v_mov_b32_e32 v18, 0x7f800001
	s_and_saveexec_b64 s[18:19], vcc
	s_cbranch_execz .LBB528_924
; %bb.923:                              ;   in Loop: Header=BB528_794 Depth=1
	v_and_b32_e32 v20, 7, v6
	v_ffbh_u32_e32 v18, v20
	v_min_u32_e32 v22, 32, v18
	v_subrev_u32_e32 v18, 28, v22
	v_lshlrev_b64 v[18:19], v18, v[6:7]
	v_lshrrev_b32_e32 v21, 3, v12
	v_sub_u32_e32 v6, 29, v22
	v_and_b32_e32 v18, 7, v18
	v_cmp_gt_u32_e32 vcc, 8, v12
	v_cndmask_b32_e32 v6, v21, v6, vcc
	v_cndmask_b32_e32 v12, v20, v18, vcc
	v_lshlrev_b32_e32 v18, 16, v4
	v_lshlrev_b32_e32 v12, 20, v12
	v_and_b32_e32 v18, 0x80000000, v18
	v_lshl_add_u32 v6, v6, 23, v10
	v_or3_b32 v18, v18, v6, v12
.LBB528_924:                            ;   in Loop: Header=BB528_794 Depth=1
	s_or_b64 exec, exec, s[18:19]
.LBB528_925:                            ;   in Loop: Header=BB528_794 Depth=1
	s_or_b64 exec, exec, s[16:17]
.LBB528_926:                            ;   in Loop: Header=BB528_794 Depth=1
	s_or_b64 exec, exec, s[14:15]
	v_lshrrev_b32_e32 v6, 16, v4
	v_cmp_ne_u16_sdwa s[16:17], v6, v9 src0_sel:BYTE_0 src1_sel:DWORD
	s_and_saveexec_b64 s[14:15], s[16:17]
	s_cbranch_execz .LBB528_932
; %bb.927:                              ;   in Loop: Header=BB528_794 Depth=1
	v_cmp_ne_u16_sdwa s[18:19], v6, s5 src0_sel:BYTE_0 src1_sel:DWORD
	v_bfrev_b32_e32 v8, 1
	s_and_saveexec_b64 s[16:17], s[18:19]
	s_cbranch_execz .LBB528_931
; %bb.928:                              ;   in Loop: Header=BB528_794 Depth=1
	v_bfe_u32 v12, v4, 16, 7
	v_cmp_ne_u32_e32 vcc, s21, v12
	v_mov_b32_e32 v8, 0x7f800001
	s_and_saveexec_b64 s[18:19], vcc
	s_cbranch_execz .LBB528_930
; %bb.929:                              ;   in Loop: Header=BB528_794 Depth=1
	v_and_b32_e32 v8, 7, v6
	v_ffbh_u32_e32 v20, v8
	v_min_u32_e32 v22, 32, v20
	v_subrev_u32_e32 v20, 28, v22
	v_lshlrev_b64 v[20:21], v20, v[6:7]
	v_lshrrev_b32_e32 v19, 3, v12
	v_sub_u32_e32 v21, 29, v22
	v_and_b32_e32 v20, 7, v20
	v_cmp_gt_u32_e32 vcc, 8, v12
	v_cndmask_b32_e32 v12, v19, v21, vcc
	v_cndmask_b32_e32 v8, v8, v20, vcc
	v_lshlrev_b32_e32 v6, 24, v6
	v_lshlrev_b32_e32 v8, 20, v8
	v_and_b32_e32 v6, 0x80000000, v6
	v_lshl_add_u32 v12, v12, 23, v10
	v_or3_b32 v8, v6, v12, v8
.LBB528_930:                            ;   in Loop: Header=BB528_794 Depth=1
	s_or_b64 exec, exec, s[18:19]
.LBB528_931:                            ;   in Loop: Header=BB528_794 Depth=1
	s_or_b64 exec, exec, s[16:17]
.LBB528_932:                            ;   in Loop: Header=BB528_794 Depth=1
	s_or_b64 exec, exec, s[14:15]
	v_cmp_lt_u32_e32 vcc, s22, v4
	v_mov_b32_e32 v12, 0
	v_mov_b32_e32 v19, 0
	s_and_saveexec_b64 s[14:15], vcc
	s_cbranch_execz .LBB528_938
; %bb.933:                              ;   in Loop: Header=BB528_794 Depth=1
	v_lshrrev_b32_e32 v6, 24, v4
	v_cmp_ne_u32_e32 vcc, s5, v6
	v_bfrev_b32_e32 v19, 1
	s_and_saveexec_b64 s[16:17], vcc
	s_cbranch_execz .LBB528_937
; %bb.934:                              ;   in Loop: Header=BB528_794 Depth=1
	v_bfe_u32 v4, v4, 24, 7
	v_cmp_ne_u32_e32 vcc, s21, v4
	v_mov_b32_e32 v19, 0x7f800001
	s_and_saveexec_b64 s[18:19], vcc
	s_cbranch_execz .LBB528_936
; %bb.935:                              ;   in Loop: Header=BB528_794 Depth=1
	v_and_b32_e32 v19, 7, v6
	v_ffbh_u32_e32 v20, v19
	v_min_u32_e32 v23, 32, v20
	v_subrev_u32_e32 v20, 28, v23
	v_lshlrev_b64 v[20:21], v20, v[6:7]
	v_lshrrev_b32_e32 v22, 3, v4
	v_sub_u32_e32 v21, 29, v23
	v_and_b32_e32 v20, 7, v20
	v_cmp_gt_u32_e32 vcc, 8, v4
	v_cndmask_b32_e32 v4, v22, v21, vcc
	v_cndmask_b32_e32 v19, v19, v20, vcc
	v_lshlrev_b32_e32 v6, 24, v6
	v_lshlrev_b32_e32 v19, 20, v19
	v_and_b32_e32 v6, 0x80000000, v6
	v_lshl_add_u32 v4, v4, 23, v10
	v_or3_b32 v19, v6, v4, v19
.LBB528_936:                            ;   in Loop: Header=BB528_794 Depth=1
	s_or_b64 exec, exec, s[18:19]
.LBB528_937:                            ;   in Loop: Header=BB528_794 Depth=1
	s_or_b64 exec, exec, s[16:17]
.LBB528_938:                            ;   in Loop: Header=BB528_794 Depth=1
	s_or_b64 exec, exec, s[14:15]
	buffer_load_dword v6, v11, s[0:3], 0 offen offset:24
	buffer_load_dword v4, v11, s[0:3], 0 offen offset:28
	v_cvt_pkrtz_f16_f32 v20, v13, v15
	v_cvt_pkrtz_f16_f32 v21, v14, v17
	;; [unrolled: 1-line block ×4, first 2 shown]
	v_mfma_f32_4x4x4f16 a[0:3], v[2:3], v[20:21], a[0:3] cbsz:4 abid:4
	s_waitcnt vmcnt(1)
	v_cmp_ne_u16_sdwa s[16:17], v6, v9 src0_sel:BYTE_0 src1_sel:DWORD
	v_mfma_f32_4x4x4f16 a[0:3], v[2:3], v[14:15], a[0:3] cbsz:4 abid:5
	s_and_saveexec_b64 s[14:15], s[16:17]
	s_cbranch_execz .LBB528_944
; %bb.939:                              ;   in Loop: Header=BB528_794 Depth=1
	v_cmp_ne_u16_sdwa s[18:19], v6, s5 src0_sel:BYTE_0 src1_sel:DWORD
	v_bfrev_b32_e32 v12, 1
	s_and_saveexec_b64 s[16:17], s[18:19]
	s_cbranch_execz .LBB528_943
; %bb.940:                              ;   in Loop: Header=BB528_794 Depth=1
	v_and_b32_e32 v8, 0x7f, v6
	v_cmp_ne_u32_e32 vcc, s21, v8
	v_mov_b32_e32 v12, 0x7f800001
	s_and_saveexec_b64 s[18:19], vcc
	s_cbranch_execz .LBB528_942
; %bb.941:                              ;   in Loop: Header=BB528_794 Depth=1
	v_and_b32_e32 v14, 7, v6
	v_ffbh_u32_e32 v12, v14
	v_min_u32_e32 v16, 32, v12
	v_subrev_u32_e32 v12, 28, v16
	v_lshlrev_b64 v[12:13], v12, v[6:7]
	v_lshrrev_b32_e32 v15, 3, v8
	v_sub_u32_e32 v13, 29, v16
	v_and_b32_e32 v12, 7, v12
	v_cmp_gt_u32_e32 vcc, 8, v8
	v_cndmask_b32_e32 v8, v15, v13, vcc
	v_cndmask_b32_e32 v12, v14, v12, vcc
	v_lshlrev_b32_e32 v13, 24, v6
	v_lshlrev_b32_e32 v12, 20, v12
	v_and_b32_e32 v13, 0x80000000, v13
	v_lshl_add_u32 v8, v8, 23, v10
	v_or3_b32 v12, v13, v8, v12
.LBB528_942:                            ;   in Loop: Header=BB528_794 Depth=1
	s_or_b64 exec, exec, s[18:19]
.LBB528_943:                            ;   in Loop: Header=BB528_794 Depth=1
	s_or_b64 exec, exec, s[16:17]
.LBB528_944:                            ;   in Loop: Header=BB528_794 Depth=1
	s_or_b64 exec, exec, s[14:15]
	v_lshrrev_b16_e32 v8, 8, v6
	v_cmp_ne_u16_e32 vcc, 0, v8
	v_mov_b32_e32 v14, 0
	v_mov_b32_e32 v15, 0
	s_and_saveexec_b64 s[14:15], vcc
	s_cbranch_execz .LBB528_950
; %bb.945:                              ;   in Loop: Header=BB528_794 Depth=1
	v_cmp_ne_u16_e32 vcc, s5, v8
	v_bfrev_b32_e32 v15, 1
	s_and_saveexec_b64 s[16:17], vcc
	s_cbranch_execz .LBB528_949
; %bb.946:                              ;   in Loop: Header=BB528_794 Depth=1
	v_and_b32_e32 v13, 0x7f, v8
	v_cmp_ne_u32_e32 vcc, s21, v13
	v_mov_b32_e32 v15, 0x7f800001
	s_and_saveexec_b64 s[18:19], vcc
	s_cbranch_execz .LBB528_948
; %bb.947:                              ;   in Loop: Header=BB528_794 Depth=1
	v_and_b32_e32 v15, 7, v8
	v_ffbh_u32_e32 v16, v15
	v_min_u32_e32 v19, 32, v16
	v_subrev_u32_e32 v16, 28, v19
	v_lshlrev_b64 v[16:17], v16, v[8:9]
	v_lshrrev_b32_e32 v18, 3, v13
	v_sub_u32_e32 v8, 29, v19
	v_and_b32_e32 v16, 7, v16
	v_cmp_gt_u32_e32 vcc, 8, v13
	v_cndmask_b32_e32 v8, v18, v8, vcc
	v_cndmask_b32_e32 v13, v15, v16, vcc
	v_lshlrev_b32_e32 v15, 16, v6
	v_lshlrev_b32_e32 v13, 20, v13
	v_and_b32_e32 v15, 0x80000000, v15
	v_lshl_add_u32 v8, v8, 23, v10
	v_or3_b32 v15, v15, v8, v13
.LBB528_948:                            ;   in Loop: Header=BB528_794 Depth=1
	s_or_b64 exec, exec, s[18:19]
.LBB528_949:                            ;   in Loop: Header=BB528_794 Depth=1
	s_or_b64 exec, exec, s[16:17]
.LBB528_950:                            ;   in Loop: Header=BB528_794 Depth=1
	s_or_b64 exec, exec, s[14:15]
	v_lshrrev_b32_e32 v8, 16, v6
	v_cmp_ne_u16_sdwa s[16:17], v8, v9 src0_sel:BYTE_0 src1_sel:DWORD
	s_and_saveexec_b64 s[14:15], s[16:17]
	s_cbranch_execz .LBB528_956
; %bb.951:                              ;   in Loop: Header=BB528_794 Depth=1
	v_cmp_ne_u16_sdwa s[18:19], v8, s5 src0_sel:BYTE_0 src1_sel:DWORD
	v_bfrev_b32_e32 v14, 1
	s_and_saveexec_b64 s[16:17], s[18:19]
	s_cbranch_execz .LBB528_955
; %bb.952:                              ;   in Loop: Header=BB528_794 Depth=1
	v_bfe_u32 v13, v6, 16, 7
	v_cmp_ne_u32_e32 vcc, s21, v13
	v_mov_b32_e32 v14, 0x7f800001
	s_and_saveexec_b64 s[18:19], vcc
	s_cbranch_execz .LBB528_954
; %bb.953:                              ;   in Loop: Header=BB528_794 Depth=1
	v_and_b32_e32 v14, 7, v8
	v_ffbh_u32_e32 v16, v14
	v_min_u32_e32 v19, 32, v16
	v_subrev_u32_e32 v16, 28, v19
	v_lshlrev_b64 v[16:17], v16, v[8:9]
	v_lshrrev_b32_e32 v18, 3, v13
	v_sub_u32_e32 v17, 29, v19
	v_and_b32_e32 v16, 7, v16
	v_cmp_gt_u32_e32 vcc, 8, v13
	v_cndmask_b32_e32 v13, v18, v17, vcc
	v_cndmask_b32_e32 v14, v14, v16, vcc
	v_lshlrev_b32_e32 v8, 24, v8
	v_lshlrev_b32_e32 v14, 20, v14
	v_and_b32_e32 v8, 0x80000000, v8
	v_lshl_add_u32 v13, v13, 23, v10
	v_or3_b32 v14, v8, v13, v14
.LBB528_954:                            ;   in Loop: Header=BB528_794 Depth=1
	s_or_b64 exec, exec, s[18:19]
.LBB528_955:                            ;   in Loop: Header=BB528_794 Depth=1
	s_or_b64 exec, exec, s[16:17]
.LBB528_956:                            ;   in Loop: Header=BB528_794 Depth=1
	s_or_b64 exec, exec, s[14:15]
	v_cmp_lt_u32_e32 vcc, s22, v6
	v_mov_b32_e32 v16, 0
	v_mov_b32_e32 v17, 0
	s_and_saveexec_b64 s[14:15], vcc
	s_cbranch_execz .LBB528_962
; %bb.957:                              ;   in Loop: Header=BB528_794 Depth=1
	v_lshrrev_b32_e32 v8, 24, v6
	v_cmp_ne_u32_e32 vcc, s5, v8
	v_bfrev_b32_e32 v17, 1
	s_and_saveexec_b64 s[16:17], vcc
	s_cbranch_execz .LBB528_961
; %bb.958:                              ;   in Loop: Header=BB528_794 Depth=1
	v_bfe_u32 v6, v6, 24, 7
	v_cmp_ne_u32_e32 vcc, s21, v6
	v_mov_b32_e32 v17, 0x7f800001
	s_and_saveexec_b64 s[18:19], vcc
	s_cbranch_execz .LBB528_960
; %bb.959:                              ;   in Loop: Header=BB528_794 Depth=1
	v_and_b32_e32 v13, 7, v8
	v_ffbh_u32_e32 v18, v13
	v_min_u32_e32 v20, 32, v18
	v_subrev_u32_e32 v18, 28, v20
	v_lshlrev_b64 v[18:19], v18, v[8:9]
	v_lshrrev_b32_e32 v17, 3, v6
	v_sub_u32_e32 v19, 29, v20
	v_and_b32_e32 v18, 7, v18
	v_cmp_gt_u32_e32 vcc, 8, v6
	v_cndmask_b32_e32 v6, v17, v19, vcc
	v_cndmask_b32_e32 v13, v13, v18, vcc
	v_lshlrev_b32_e32 v8, 24, v8
	v_lshlrev_b32_e32 v13, 20, v13
	v_and_b32_e32 v8, 0x80000000, v8
	v_lshl_add_u32 v6, v6, 23, v10
	v_or3_b32 v17, v8, v6, v13
.LBB528_960:                            ;   in Loop: Header=BB528_794 Depth=1
	s_or_b64 exec, exec, s[18:19]
.LBB528_961:                            ;   in Loop: Header=BB528_794 Depth=1
	s_or_b64 exec, exec, s[16:17]
.LBB528_962:                            ;   in Loop: Header=BB528_794 Depth=1
	s_or_b64 exec, exec, s[14:15]
	s_waitcnt vmcnt(0)
	v_cmp_ne_u16_sdwa s[16:17], v4, v9 src0_sel:BYTE_0 src1_sel:DWORD
	s_and_saveexec_b64 s[14:15], s[16:17]
	s_cbranch_execz .LBB528_968
; %bb.963:                              ;   in Loop: Header=BB528_794 Depth=1
	v_cmp_ne_u16_sdwa s[18:19], v4, s5 src0_sel:BYTE_0 src1_sel:DWORD
	v_bfrev_b32_e32 v16, 1
	s_and_saveexec_b64 s[16:17], s[18:19]
	s_cbranch_execz .LBB528_967
; %bb.964:                              ;   in Loop: Header=BB528_794 Depth=1
	v_and_b32_e32 v6, 0x7f, v4
	v_cmp_ne_u32_e32 vcc, s21, v6
	v_mov_b32_e32 v16, 0x7f800001
	s_and_saveexec_b64 s[18:19], vcc
	s_cbranch_execz .LBB528_966
; %bb.965:                              ;   in Loop: Header=BB528_794 Depth=1
	v_and_b32_e32 v8, 7, v4
	v_ffbh_u32_e32 v16, v8
	v_min_u32_e32 v16, 32, v16
	v_subrev_u32_e32 v18, 28, v16
	v_lshlrev_b64 v[18:19], v18, v[4:5]
	v_lshrrev_b32_e32 v13, 3, v6
	v_sub_u32_e32 v16, 29, v16
	v_and_b32_e32 v18, 7, v18
	v_cmp_gt_u32_e32 vcc, 8, v6
	v_cndmask_b32_e32 v6, v13, v16, vcc
	v_cndmask_b32_e32 v8, v8, v18, vcc
	v_lshlrev_b32_e32 v13, 24, v4
	v_lshlrev_b32_e32 v8, 20, v8
	v_and_b32_e32 v13, 0x80000000, v13
	v_lshl_add_u32 v6, v6, 23, v10
	v_or3_b32 v16, v13, v6, v8
.LBB528_966:                            ;   in Loop: Header=BB528_794 Depth=1
	s_or_b64 exec, exec, s[18:19]
.LBB528_967:                            ;   in Loop: Header=BB528_794 Depth=1
	s_or_b64 exec, exec, s[16:17]
.LBB528_968:                            ;   in Loop: Header=BB528_794 Depth=1
	s_or_b64 exec, exec, s[14:15]
	v_lshrrev_b16_e32 v6, 8, v4
	v_cmp_ne_u16_e32 vcc, 0, v6
	v_mov_b32_e32 v8, 0
	v_mov_b32_e32 v18, 0
	s_and_saveexec_b64 s[14:15], vcc
	s_cbranch_execz .LBB528_974
; %bb.969:                              ;   in Loop: Header=BB528_794 Depth=1
	v_cmp_ne_u16_e32 vcc, s5, v6
	v_bfrev_b32_e32 v18, 1
	s_and_saveexec_b64 s[16:17], vcc
	s_cbranch_execz .LBB528_973
; %bb.970:                              ;   in Loop: Header=BB528_794 Depth=1
	v_and_b32_e32 v13, 0x7f, v6
	v_cmp_ne_u32_e32 vcc, s21, v13
	v_mov_b32_e32 v18, 0x7f800001
	s_and_saveexec_b64 s[18:19], vcc
	s_cbranch_execz .LBB528_972
; %bb.971:                              ;   in Loop: Header=BB528_794 Depth=1
	v_and_b32_e32 v20, 7, v6
	v_ffbh_u32_e32 v18, v20
	v_min_u32_e32 v22, 32, v18
	v_subrev_u32_e32 v18, 28, v22
	v_lshlrev_b64 v[18:19], v18, v[6:7]
	v_lshrrev_b32_e32 v21, 3, v13
	v_sub_u32_e32 v6, 29, v22
	v_and_b32_e32 v18, 7, v18
	v_cmp_gt_u32_e32 vcc, 8, v13
	v_cndmask_b32_e32 v6, v21, v6, vcc
	v_cndmask_b32_e32 v13, v20, v18, vcc
	v_lshlrev_b32_e32 v18, 16, v4
	v_lshlrev_b32_e32 v13, 20, v13
	v_and_b32_e32 v18, 0x80000000, v18
	v_lshl_add_u32 v6, v6, 23, v10
	v_or3_b32 v18, v18, v6, v13
.LBB528_972:                            ;   in Loop: Header=BB528_794 Depth=1
	s_or_b64 exec, exec, s[18:19]
.LBB528_973:                            ;   in Loop: Header=BB528_794 Depth=1
	s_or_b64 exec, exec, s[16:17]
.LBB528_974:                            ;   in Loop: Header=BB528_794 Depth=1
	s_or_b64 exec, exec, s[14:15]
	v_lshrrev_b32_e32 v6, 16, v4
	v_cmp_ne_u16_sdwa s[16:17], v6, v9 src0_sel:BYTE_0 src1_sel:DWORD
	s_and_saveexec_b64 s[14:15], s[16:17]
	s_cbranch_execz .LBB528_980
; %bb.975:                              ;   in Loop: Header=BB528_794 Depth=1
	v_cmp_ne_u16_sdwa s[18:19], v6, s5 src0_sel:BYTE_0 src1_sel:DWORD
	v_bfrev_b32_e32 v8, 1
	s_and_saveexec_b64 s[16:17], s[18:19]
	s_cbranch_execz .LBB528_979
; %bb.976:                              ;   in Loop: Header=BB528_794 Depth=1
	v_bfe_u32 v13, v4, 16, 7
	v_cmp_ne_u32_e32 vcc, s21, v13
	v_mov_b32_e32 v8, 0x7f800001
	s_and_saveexec_b64 s[18:19], vcc
	s_cbranch_execz .LBB528_978
; %bb.977:                              ;   in Loop: Header=BB528_794 Depth=1
	v_and_b32_e32 v8, 7, v6
	v_ffbh_u32_e32 v20, v8
	v_min_u32_e32 v22, 32, v20
	v_subrev_u32_e32 v20, 28, v22
	v_lshlrev_b64 v[20:21], v20, v[6:7]
	v_lshrrev_b32_e32 v19, 3, v13
	v_sub_u32_e32 v21, 29, v22
	v_and_b32_e32 v20, 7, v20
	v_cmp_gt_u32_e32 vcc, 8, v13
	v_cndmask_b32_e32 v13, v19, v21, vcc
	v_cndmask_b32_e32 v8, v8, v20, vcc
	v_lshlrev_b32_e32 v6, 24, v6
	v_lshlrev_b32_e32 v8, 20, v8
	v_and_b32_e32 v6, 0x80000000, v6
	v_lshl_add_u32 v13, v13, 23, v10
	v_or3_b32 v8, v6, v13, v8
.LBB528_978:                            ;   in Loop: Header=BB528_794 Depth=1
	s_or_b64 exec, exec, s[18:19]
.LBB528_979:                            ;   in Loop: Header=BB528_794 Depth=1
	s_or_b64 exec, exec, s[16:17]
.LBB528_980:                            ;   in Loop: Header=BB528_794 Depth=1
	s_or_b64 exec, exec, s[14:15]
	v_cmp_lt_u32_e32 vcc, s22, v4
	v_mov_b32_e32 v13, 0
	v_mov_b32_e32 v19, 0
	s_and_saveexec_b64 s[14:15], vcc
	s_cbranch_execz .LBB528_986
; %bb.981:                              ;   in Loop: Header=BB528_794 Depth=1
	v_lshrrev_b32_e32 v6, 24, v4
	v_cmp_ne_u32_e32 vcc, s5, v6
	v_bfrev_b32_e32 v19, 1
	s_and_saveexec_b64 s[16:17], vcc
	s_cbranch_execz .LBB528_985
; %bb.982:                              ;   in Loop: Header=BB528_794 Depth=1
	v_bfe_u32 v4, v4, 24, 7
	v_cmp_ne_u32_e32 vcc, s21, v4
	v_mov_b32_e32 v19, 0x7f800001
	s_and_saveexec_b64 s[18:19], vcc
	s_cbranch_execz .LBB528_984
; %bb.983:                              ;   in Loop: Header=BB528_794 Depth=1
	v_and_b32_e32 v19, 7, v6
	v_ffbh_u32_e32 v20, v19
	v_min_u32_e32 v23, 32, v20
	v_subrev_u32_e32 v20, 28, v23
	v_lshlrev_b64 v[20:21], v20, v[6:7]
	v_lshrrev_b32_e32 v22, 3, v4
	v_sub_u32_e32 v21, 29, v23
	v_and_b32_e32 v20, 7, v20
	v_cmp_gt_u32_e32 vcc, 8, v4
	v_cndmask_b32_e32 v4, v22, v21, vcc
	v_cndmask_b32_e32 v19, v19, v20, vcc
	v_lshlrev_b32_e32 v6, 24, v6
	v_lshlrev_b32_e32 v19, 20, v19
	v_and_b32_e32 v6, 0x80000000, v6
	v_lshl_add_u32 v4, v4, 23, v10
	v_or3_b32 v19, v6, v4, v19
.LBB528_984:                            ;   in Loop: Header=BB528_794 Depth=1
	s_or_b64 exec, exec, s[18:19]
.LBB528_985:                            ;   in Loop: Header=BB528_794 Depth=1
	s_or_b64 exec, exec, s[16:17]
.LBB528_986:                            ;   in Loop: Header=BB528_794 Depth=1
	s_or_b64 exec, exec, s[14:15]
	buffer_load_dword v6, v11, s[0:3], 0 offen offset:32
	buffer_load_dword v4, v11, s[0:3], 0 offen offset:36
	v_cvt_pkrtz_f16_f32 v20, v12, v15
	v_cvt_pkrtz_f16_f32 v21, v14, v17
	;; [unrolled: 1-line block ×4, first 2 shown]
	v_mfma_f32_4x4x4f16 a[0:3], v[2:3], v[20:21], a[0:3] cbsz:4 abid:6
	s_waitcnt vmcnt(1)
	v_cmp_ne_u16_sdwa s[16:17], v6, v9 src0_sel:BYTE_0 src1_sel:DWORD
	v_mfma_f32_4x4x4f16 a[0:3], v[2:3], v[14:15], a[0:3] cbsz:4 abid:7
	s_and_saveexec_b64 s[14:15], s[16:17]
	s_cbranch_execz .LBB528_992
; %bb.987:                              ;   in Loop: Header=BB528_794 Depth=1
	v_cmp_ne_u16_sdwa s[18:19], v6, s5 src0_sel:BYTE_0 src1_sel:DWORD
	v_bfrev_b32_e32 v13, 1
	s_and_saveexec_b64 s[16:17], s[18:19]
	s_cbranch_execz .LBB528_991
; %bb.988:                              ;   in Loop: Header=BB528_794 Depth=1
	v_and_b32_e32 v8, 0x7f, v6
	v_cmp_ne_u32_e32 vcc, s21, v8
	v_mov_b32_e32 v13, 0x7f800001
	s_and_saveexec_b64 s[18:19], vcc
	s_cbranch_execz .LBB528_990
; %bb.989:                              ;   in Loop: Header=BB528_794 Depth=1
	v_and_b32_e32 v14, 7, v6
	v_ffbh_u32_e32 v12, v14
	v_min_u32_e32 v16, 32, v12
	v_subrev_u32_e32 v12, 28, v16
	v_lshlrev_b64 v[12:13], v12, v[6:7]
	v_lshrrev_b32_e32 v15, 3, v8
	v_sub_u32_e32 v13, 29, v16
	v_and_b32_e32 v12, 7, v12
	v_cmp_gt_u32_e32 vcc, 8, v8
	v_cndmask_b32_e32 v8, v15, v13, vcc
	v_cndmask_b32_e32 v12, v14, v12, vcc
	v_lshlrev_b32_e32 v13, 24, v6
	v_lshlrev_b32_e32 v12, 20, v12
	v_and_b32_e32 v13, 0x80000000, v13
	v_lshl_add_u32 v8, v8, 23, v10
	v_or3_b32 v13, v13, v8, v12
.LBB528_990:                            ;   in Loop: Header=BB528_794 Depth=1
	s_or_b64 exec, exec, s[18:19]
.LBB528_991:                            ;   in Loop: Header=BB528_794 Depth=1
	s_or_b64 exec, exec, s[16:17]
.LBB528_992:                            ;   in Loop: Header=BB528_794 Depth=1
	s_or_b64 exec, exec, s[14:15]
	v_lshrrev_b16_e32 v8, 8, v6
	v_cmp_ne_u16_e32 vcc, 0, v8
	v_mov_b32_e32 v12, 0
	v_mov_b32_e32 v15, 0
	s_and_saveexec_b64 s[14:15], vcc
	s_cbranch_execz .LBB528_998
; %bb.993:                              ;   in Loop: Header=BB528_794 Depth=1
	v_cmp_ne_u16_e32 vcc, s5, v8
	v_bfrev_b32_e32 v15, 1
	s_and_saveexec_b64 s[16:17], vcc
	s_cbranch_execz .LBB528_997
; %bb.994:                              ;   in Loop: Header=BB528_794 Depth=1
	v_and_b32_e32 v14, 0x7f, v8
	v_cmp_ne_u32_e32 vcc, s21, v14
	v_mov_b32_e32 v15, 0x7f800001
	s_and_saveexec_b64 s[18:19], vcc
	s_cbranch_execz .LBB528_996
; %bb.995:                              ;   in Loop: Header=BB528_794 Depth=1
	v_and_b32_e32 v15, 7, v8
	v_ffbh_u32_e32 v16, v15
	v_min_u32_e32 v19, 32, v16
	v_subrev_u32_e32 v16, 28, v19
	v_lshlrev_b64 v[16:17], v16, v[8:9]
	v_lshrrev_b32_e32 v18, 3, v14
	v_sub_u32_e32 v8, 29, v19
	v_and_b32_e32 v16, 7, v16
	v_cmp_gt_u32_e32 vcc, 8, v14
	v_cndmask_b32_e32 v8, v18, v8, vcc
	v_cndmask_b32_e32 v14, v15, v16, vcc
	v_lshlrev_b32_e32 v15, 16, v6
	v_lshlrev_b32_e32 v14, 20, v14
	v_and_b32_e32 v15, 0x80000000, v15
	v_lshl_add_u32 v8, v8, 23, v10
	v_or3_b32 v15, v15, v8, v14
.LBB528_996:                            ;   in Loop: Header=BB528_794 Depth=1
	s_or_b64 exec, exec, s[18:19]
.LBB528_997:                            ;   in Loop: Header=BB528_794 Depth=1
	s_or_b64 exec, exec, s[16:17]
.LBB528_998:                            ;   in Loop: Header=BB528_794 Depth=1
	s_or_b64 exec, exec, s[14:15]
	v_lshrrev_b32_e32 v8, 16, v6
	v_cmp_ne_u16_sdwa s[16:17], v8, v9 src0_sel:BYTE_0 src1_sel:DWORD
	s_and_saveexec_b64 s[14:15], s[16:17]
	s_cbranch_execz .LBB528_1004
; %bb.999:                              ;   in Loop: Header=BB528_794 Depth=1
	v_cmp_ne_u16_sdwa s[18:19], v8, s5 src0_sel:BYTE_0 src1_sel:DWORD
	v_bfrev_b32_e32 v12, 1
	s_and_saveexec_b64 s[16:17], s[18:19]
	s_cbranch_execz .LBB528_1003
; %bb.1000:                             ;   in Loop: Header=BB528_794 Depth=1
	v_bfe_u32 v14, v6, 16, 7
	v_cmp_ne_u32_e32 vcc, s21, v14
	v_mov_b32_e32 v12, 0x7f800001
	s_and_saveexec_b64 s[18:19], vcc
	s_cbranch_execz .LBB528_1002
; %bb.1001:                             ;   in Loop: Header=BB528_794 Depth=1
	v_and_b32_e32 v12, 7, v8
	v_ffbh_u32_e32 v16, v12
	v_min_u32_e32 v19, 32, v16
	v_subrev_u32_e32 v16, 28, v19
	v_lshlrev_b64 v[16:17], v16, v[8:9]
	v_lshrrev_b32_e32 v18, 3, v14
	v_sub_u32_e32 v17, 29, v19
	v_and_b32_e32 v16, 7, v16
	v_cmp_gt_u32_e32 vcc, 8, v14
	v_cndmask_b32_e32 v14, v18, v17, vcc
	v_cndmask_b32_e32 v12, v12, v16, vcc
	v_lshlrev_b32_e32 v8, 24, v8
	v_lshlrev_b32_e32 v12, 20, v12
	v_and_b32_e32 v8, 0x80000000, v8
	v_lshl_add_u32 v14, v14, 23, v10
	v_or3_b32 v12, v8, v14, v12
.LBB528_1002:                           ;   in Loop: Header=BB528_794 Depth=1
	s_or_b64 exec, exec, s[18:19]
.LBB528_1003:                           ;   in Loop: Header=BB528_794 Depth=1
	s_or_b64 exec, exec, s[16:17]
.LBB528_1004:                           ;   in Loop: Header=BB528_794 Depth=1
	s_or_b64 exec, exec, s[14:15]
	v_cmp_lt_u32_e32 vcc, s22, v6
	v_mov_b32_e32 v16, 0
	v_mov_b32_e32 v17, 0
	s_and_saveexec_b64 s[14:15], vcc
	s_cbranch_execz .LBB528_1010
; %bb.1005:                             ;   in Loop: Header=BB528_794 Depth=1
	v_lshrrev_b32_e32 v8, 24, v6
	v_cmp_ne_u32_e32 vcc, s5, v8
	v_bfrev_b32_e32 v17, 1
	s_and_saveexec_b64 s[16:17], vcc
	s_cbranch_execz .LBB528_1009
; %bb.1006:                             ;   in Loop: Header=BB528_794 Depth=1
	v_bfe_u32 v6, v6, 24, 7
	v_cmp_ne_u32_e32 vcc, s21, v6
	v_mov_b32_e32 v17, 0x7f800001
	s_and_saveexec_b64 s[18:19], vcc
	s_cbranch_execz .LBB528_1008
; %bb.1007:                             ;   in Loop: Header=BB528_794 Depth=1
	v_and_b32_e32 v14, 7, v8
	v_ffbh_u32_e32 v18, v14
	v_min_u32_e32 v20, 32, v18
	v_subrev_u32_e32 v18, 28, v20
	v_lshlrev_b64 v[18:19], v18, v[8:9]
	v_lshrrev_b32_e32 v17, 3, v6
	v_sub_u32_e32 v19, 29, v20
	v_and_b32_e32 v18, 7, v18
	v_cmp_gt_u32_e32 vcc, 8, v6
	v_cndmask_b32_e32 v6, v17, v19, vcc
	v_cndmask_b32_e32 v14, v14, v18, vcc
	v_lshlrev_b32_e32 v8, 24, v8
	v_lshlrev_b32_e32 v14, 20, v14
	v_and_b32_e32 v8, 0x80000000, v8
	v_lshl_add_u32 v6, v6, 23, v10
	v_or3_b32 v17, v8, v6, v14
.LBB528_1008:                           ;   in Loop: Header=BB528_794 Depth=1
	s_or_b64 exec, exec, s[18:19]
.LBB528_1009:                           ;   in Loop: Header=BB528_794 Depth=1
	s_or_b64 exec, exec, s[16:17]
.LBB528_1010:                           ;   in Loop: Header=BB528_794 Depth=1
	s_or_b64 exec, exec, s[14:15]
	s_waitcnt vmcnt(0)
	v_cmp_ne_u16_sdwa s[16:17], v4, v9 src0_sel:BYTE_0 src1_sel:DWORD
	s_and_saveexec_b64 s[14:15], s[16:17]
	s_cbranch_execz .LBB528_1016
; %bb.1011:                             ;   in Loop: Header=BB528_794 Depth=1
	v_cmp_ne_u16_sdwa s[18:19], v4, s5 src0_sel:BYTE_0 src1_sel:DWORD
	v_bfrev_b32_e32 v16, 1
	s_and_saveexec_b64 s[16:17], s[18:19]
	s_cbranch_execz .LBB528_1015
; %bb.1012:                             ;   in Loop: Header=BB528_794 Depth=1
	v_and_b32_e32 v6, 0x7f, v4
	v_cmp_ne_u32_e32 vcc, s21, v6
	v_mov_b32_e32 v16, 0x7f800001
	s_and_saveexec_b64 s[18:19], vcc
	s_cbranch_execz .LBB528_1014
; %bb.1013:                             ;   in Loop: Header=BB528_794 Depth=1
	v_and_b32_e32 v8, 7, v4
	v_ffbh_u32_e32 v16, v8
	v_min_u32_e32 v16, 32, v16
	v_subrev_u32_e32 v18, 28, v16
	v_lshlrev_b64 v[18:19], v18, v[4:5]
	v_lshrrev_b32_e32 v14, 3, v6
	v_sub_u32_e32 v16, 29, v16
	v_and_b32_e32 v18, 7, v18
	v_cmp_gt_u32_e32 vcc, 8, v6
	v_cndmask_b32_e32 v6, v14, v16, vcc
	v_cndmask_b32_e32 v8, v8, v18, vcc
	v_lshlrev_b32_e32 v14, 24, v4
	v_lshlrev_b32_e32 v8, 20, v8
	v_and_b32_e32 v14, 0x80000000, v14
	v_lshl_add_u32 v6, v6, 23, v10
	v_or3_b32 v16, v14, v6, v8
.LBB528_1014:                           ;   in Loop: Header=BB528_794 Depth=1
	s_or_b64 exec, exec, s[18:19]
.LBB528_1015:                           ;   in Loop: Header=BB528_794 Depth=1
	s_or_b64 exec, exec, s[16:17]
.LBB528_1016:                           ;   in Loop: Header=BB528_794 Depth=1
	s_or_b64 exec, exec, s[14:15]
	v_lshrrev_b16_e32 v6, 8, v4
	v_cmp_ne_u16_e32 vcc, 0, v6
	v_mov_b32_e32 v8, 0
	v_mov_b32_e32 v18, 0
	s_and_saveexec_b64 s[14:15], vcc
	s_cbranch_execz .LBB528_1022
; %bb.1017:                             ;   in Loop: Header=BB528_794 Depth=1
	v_cmp_ne_u16_e32 vcc, s5, v6
	v_bfrev_b32_e32 v18, 1
	s_and_saveexec_b64 s[16:17], vcc
	s_cbranch_execz .LBB528_1021
; %bb.1018:                             ;   in Loop: Header=BB528_794 Depth=1
	v_and_b32_e32 v14, 0x7f, v6
	v_cmp_ne_u32_e32 vcc, s21, v14
	v_mov_b32_e32 v18, 0x7f800001
	s_and_saveexec_b64 s[18:19], vcc
	s_cbranch_execz .LBB528_1020
; %bb.1019:                             ;   in Loop: Header=BB528_794 Depth=1
	v_and_b32_e32 v20, 7, v6
	v_ffbh_u32_e32 v18, v20
	v_min_u32_e32 v22, 32, v18
	v_subrev_u32_e32 v18, 28, v22
	v_lshlrev_b64 v[18:19], v18, v[6:7]
	v_lshrrev_b32_e32 v21, 3, v14
	v_sub_u32_e32 v6, 29, v22
	v_and_b32_e32 v18, 7, v18
	v_cmp_gt_u32_e32 vcc, 8, v14
	v_cndmask_b32_e32 v6, v21, v6, vcc
	v_cndmask_b32_e32 v14, v20, v18, vcc
	v_lshlrev_b32_e32 v18, 16, v4
	v_lshlrev_b32_e32 v14, 20, v14
	v_and_b32_e32 v18, 0x80000000, v18
	v_lshl_add_u32 v6, v6, 23, v10
	v_or3_b32 v18, v18, v6, v14
.LBB528_1020:                           ;   in Loop: Header=BB528_794 Depth=1
	s_or_b64 exec, exec, s[18:19]
.LBB528_1021:                           ;   in Loop: Header=BB528_794 Depth=1
	s_or_b64 exec, exec, s[16:17]
.LBB528_1022:                           ;   in Loop: Header=BB528_794 Depth=1
	s_or_b64 exec, exec, s[14:15]
	v_lshrrev_b32_e32 v6, 16, v4
	v_cmp_ne_u16_sdwa s[16:17], v6, v9 src0_sel:BYTE_0 src1_sel:DWORD
	s_and_saveexec_b64 s[14:15], s[16:17]
	s_cbranch_execz .LBB528_1028
; %bb.1023:                             ;   in Loop: Header=BB528_794 Depth=1
	v_cmp_ne_u16_sdwa s[18:19], v6, s5 src0_sel:BYTE_0 src1_sel:DWORD
	v_bfrev_b32_e32 v8, 1
	s_and_saveexec_b64 s[16:17], s[18:19]
	s_cbranch_execz .LBB528_1027
; %bb.1024:                             ;   in Loop: Header=BB528_794 Depth=1
	v_bfe_u32 v14, v4, 16, 7
	v_cmp_ne_u32_e32 vcc, s21, v14
	v_mov_b32_e32 v8, 0x7f800001
	s_and_saveexec_b64 s[18:19], vcc
	s_cbranch_execz .LBB528_1026
; %bb.1025:                             ;   in Loop: Header=BB528_794 Depth=1
	v_and_b32_e32 v8, 7, v6
	v_ffbh_u32_e32 v20, v8
	v_min_u32_e32 v22, 32, v20
	v_subrev_u32_e32 v20, 28, v22
	v_lshlrev_b64 v[20:21], v20, v[6:7]
	v_lshrrev_b32_e32 v19, 3, v14
	v_sub_u32_e32 v21, 29, v22
	v_and_b32_e32 v20, 7, v20
	v_cmp_gt_u32_e32 vcc, 8, v14
	v_cndmask_b32_e32 v14, v19, v21, vcc
	v_cndmask_b32_e32 v8, v8, v20, vcc
	v_lshlrev_b32_e32 v6, 24, v6
	v_lshlrev_b32_e32 v8, 20, v8
	v_and_b32_e32 v6, 0x80000000, v6
	v_lshl_add_u32 v14, v14, 23, v10
	v_or3_b32 v8, v6, v14, v8
.LBB528_1026:                           ;   in Loop: Header=BB528_794 Depth=1
	s_or_b64 exec, exec, s[18:19]
.LBB528_1027:                           ;   in Loop: Header=BB528_794 Depth=1
	s_or_b64 exec, exec, s[16:17]
.LBB528_1028:                           ;   in Loop: Header=BB528_794 Depth=1
	s_or_b64 exec, exec, s[14:15]
	v_cmp_lt_u32_e32 vcc, s22, v4
	v_mov_b32_e32 v14, 0
	v_mov_b32_e32 v19, 0
	s_and_saveexec_b64 s[14:15], vcc
	s_cbranch_execz .LBB528_1034
; %bb.1029:                             ;   in Loop: Header=BB528_794 Depth=1
	v_lshrrev_b32_e32 v6, 24, v4
	v_cmp_ne_u32_e32 vcc, s5, v6
	v_bfrev_b32_e32 v19, 1
	s_and_saveexec_b64 s[16:17], vcc
	s_cbranch_execz .LBB528_1033
; %bb.1030:                             ;   in Loop: Header=BB528_794 Depth=1
	v_bfe_u32 v4, v4, 24, 7
	v_cmp_ne_u32_e32 vcc, s21, v4
	v_mov_b32_e32 v19, 0x7f800001
	s_and_saveexec_b64 s[18:19], vcc
	s_cbranch_execz .LBB528_1032
; %bb.1031:                             ;   in Loop: Header=BB528_794 Depth=1
	v_and_b32_e32 v19, 7, v6
	v_ffbh_u32_e32 v20, v19
	v_min_u32_e32 v23, 32, v20
	v_subrev_u32_e32 v20, 28, v23
	v_lshlrev_b64 v[20:21], v20, v[6:7]
	v_lshrrev_b32_e32 v22, 3, v4
	v_sub_u32_e32 v21, 29, v23
	v_and_b32_e32 v20, 7, v20
	v_cmp_gt_u32_e32 vcc, 8, v4
	v_cndmask_b32_e32 v4, v22, v21, vcc
	v_cndmask_b32_e32 v19, v19, v20, vcc
	v_lshlrev_b32_e32 v6, 24, v6
	v_lshlrev_b32_e32 v19, 20, v19
	v_and_b32_e32 v6, 0x80000000, v6
	v_lshl_add_u32 v4, v4, 23, v10
	v_or3_b32 v19, v6, v4, v19
.LBB528_1032:                           ;   in Loop: Header=BB528_794 Depth=1
	s_or_b64 exec, exec, s[18:19]
.LBB528_1033:                           ;   in Loop: Header=BB528_794 Depth=1
	s_or_b64 exec, exec, s[16:17]
.LBB528_1034:                           ;   in Loop: Header=BB528_794 Depth=1
	s_or_b64 exec, exec, s[14:15]
	buffer_load_dword v6, v11, s[0:3], 0 offen offset:40
	buffer_load_dword v4, v11, s[0:3], 0 offen offset:44
	v_cvt_pkrtz_f16_f32 v20, v13, v15
	v_cvt_pkrtz_f16_f32 v21, v12, v17
	v_cvt_pkrtz_f16_f32 v12, v16, v18
	v_cvt_pkrtz_f16_f32 v13, v8, v19
	v_mfma_f32_4x4x4f16 a[0:3], v[2:3], v[20:21], a[0:3] cbsz:4 abid:8
	s_waitcnt vmcnt(1)
	v_cmp_ne_u16_sdwa s[16:17], v6, v9 src0_sel:BYTE_0 src1_sel:DWORD
	v_mfma_f32_4x4x4f16 a[0:3], v[2:3], v[12:13], a[0:3] cbsz:4 abid:9
	s_and_saveexec_b64 s[14:15], s[16:17]
	s_cbranch_execz .LBB528_1040
; %bb.1035:                             ;   in Loop: Header=BB528_794 Depth=1
	v_cmp_ne_u16_sdwa s[18:19], v6, s5 src0_sel:BYTE_0 src1_sel:DWORD
	v_bfrev_b32_e32 v14, 1
	s_and_saveexec_b64 s[16:17], s[18:19]
	s_cbranch_execz .LBB528_1039
; %bb.1036:                             ;   in Loop: Header=BB528_794 Depth=1
	v_and_b32_e32 v8, 0x7f, v6
	v_cmp_ne_u32_e32 vcc, s21, v8
	v_mov_b32_e32 v14, 0x7f800001
	s_and_saveexec_b64 s[18:19], vcc
	s_cbranch_execz .LBB528_1038
; %bb.1037:                             ;   in Loop: Header=BB528_794 Depth=1
	v_and_b32_e32 v14, 7, v6
	v_ffbh_u32_e32 v12, v14
	v_min_u32_e32 v16, 32, v12
	v_subrev_u32_e32 v12, 28, v16
	v_lshlrev_b64 v[12:13], v12, v[6:7]
	v_lshrrev_b32_e32 v15, 3, v8
	v_sub_u32_e32 v13, 29, v16
	v_and_b32_e32 v12, 7, v12
	v_cmp_gt_u32_e32 vcc, 8, v8
	v_cndmask_b32_e32 v8, v15, v13, vcc
	v_cndmask_b32_e32 v12, v14, v12, vcc
	v_lshlrev_b32_e32 v13, 24, v6
	v_lshlrev_b32_e32 v12, 20, v12
	v_and_b32_e32 v13, 0x80000000, v13
	v_lshl_add_u32 v8, v8, 23, v10
	v_or3_b32 v14, v13, v8, v12
.LBB528_1038:                           ;   in Loop: Header=BB528_794 Depth=1
	s_or_b64 exec, exec, s[18:19]
.LBB528_1039:                           ;   in Loop: Header=BB528_794 Depth=1
	s_or_b64 exec, exec, s[16:17]
.LBB528_1040:                           ;   in Loop: Header=BB528_794 Depth=1
	s_or_b64 exec, exec, s[14:15]
	v_lshrrev_b16_e32 v8, 8, v6
	v_cmp_ne_u16_e32 vcc, 0, v8
	v_mov_b32_e32 v13, 0
	v_mov_b32_e32 v15, 0
	s_and_saveexec_b64 s[14:15], vcc
	s_cbranch_execz .LBB528_1046
; %bb.1041:                             ;   in Loop: Header=BB528_794 Depth=1
	v_cmp_ne_u16_e32 vcc, s5, v8
	v_bfrev_b32_e32 v15, 1
	s_and_saveexec_b64 s[16:17], vcc
	s_cbranch_execz .LBB528_1045
; %bb.1042:                             ;   in Loop: Header=BB528_794 Depth=1
	v_and_b32_e32 v12, 0x7f, v8
	v_cmp_ne_u32_e32 vcc, s21, v12
	v_mov_b32_e32 v15, 0x7f800001
	s_and_saveexec_b64 s[18:19], vcc
	s_cbranch_execz .LBB528_1044
; %bb.1043:                             ;   in Loop: Header=BB528_794 Depth=1
	v_and_b32_e32 v15, 7, v8
	v_ffbh_u32_e32 v16, v15
	v_min_u32_e32 v19, 32, v16
	v_subrev_u32_e32 v16, 28, v19
	v_lshlrev_b64 v[16:17], v16, v[8:9]
	v_lshrrev_b32_e32 v18, 3, v12
	v_sub_u32_e32 v8, 29, v19
	v_and_b32_e32 v16, 7, v16
	v_cmp_gt_u32_e32 vcc, 8, v12
	v_cndmask_b32_e32 v8, v18, v8, vcc
	v_cndmask_b32_e32 v12, v15, v16, vcc
	v_lshlrev_b32_e32 v15, 16, v6
	v_lshlrev_b32_e32 v12, 20, v12
	v_and_b32_e32 v15, 0x80000000, v15
	v_lshl_add_u32 v8, v8, 23, v10
	v_or3_b32 v15, v15, v8, v12
.LBB528_1044:                           ;   in Loop: Header=BB528_794 Depth=1
	s_or_b64 exec, exec, s[18:19]
.LBB528_1045:                           ;   in Loop: Header=BB528_794 Depth=1
	s_or_b64 exec, exec, s[16:17]
.LBB528_1046:                           ;   in Loop: Header=BB528_794 Depth=1
	s_or_b64 exec, exec, s[14:15]
	v_lshrrev_b32_e32 v8, 16, v6
	v_cmp_ne_u16_sdwa s[16:17], v8, v9 src0_sel:BYTE_0 src1_sel:DWORD
	s_and_saveexec_b64 s[14:15], s[16:17]
	s_cbranch_execz .LBB528_1052
; %bb.1047:                             ;   in Loop: Header=BB528_794 Depth=1
	v_cmp_ne_u16_sdwa s[18:19], v8, s5 src0_sel:BYTE_0 src1_sel:DWORD
	v_bfrev_b32_e32 v13, 1
	s_and_saveexec_b64 s[16:17], s[18:19]
	s_cbranch_execz .LBB528_1051
; %bb.1048:                             ;   in Loop: Header=BB528_794 Depth=1
	v_bfe_u32 v12, v6, 16, 7
	v_cmp_ne_u32_e32 vcc, s21, v12
	v_mov_b32_e32 v13, 0x7f800001
	s_and_saveexec_b64 s[18:19], vcc
	s_cbranch_execz .LBB528_1050
; %bb.1049:                             ;   in Loop: Header=BB528_794 Depth=1
	v_and_b32_e32 v13, 7, v8
	v_ffbh_u32_e32 v16, v13
	v_min_u32_e32 v19, 32, v16
	v_subrev_u32_e32 v16, 28, v19
	v_lshlrev_b64 v[16:17], v16, v[8:9]
	v_lshrrev_b32_e32 v18, 3, v12
	v_sub_u32_e32 v17, 29, v19
	v_and_b32_e32 v16, 7, v16
	v_cmp_gt_u32_e32 vcc, 8, v12
	v_cndmask_b32_e32 v12, v18, v17, vcc
	v_cndmask_b32_e32 v13, v13, v16, vcc
	v_lshlrev_b32_e32 v8, 24, v8
	v_lshlrev_b32_e32 v13, 20, v13
	v_and_b32_e32 v8, 0x80000000, v8
	v_lshl_add_u32 v12, v12, 23, v10
	v_or3_b32 v13, v8, v12, v13
.LBB528_1050:                           ;   in Loop: Header=BB528_794 Depth=1
	s_or_b64 exec, exec, s[18:19]
.LBB528_1051:                           ;   in Loop: Header=BB528_794 Depth=1
	s_or_b64 exec, exec, s[16:17]
.LBB528_1052:                           ;   in Loop: Header=BB528_794 Depth=1
	s_or_b64 exec, exec, s[14:15]
	v_cmp_lt_u32_e32 vcc, s22, v6
	v_mov_b32_e32 v16, 0
	v_mov_b32_e32 v17, 0
	s_and_saveexec_b64 s[14:15], vcc
	s_cbranch_execz .LBB528_1058
; %bb.1053:                             ;   in Loop: Header=BB528_794 Depth=1
	v_lshrrev_b32_e32 v8, 24, v6
	v_cmp_ne_u32_e32 vcc, s5, v8
	v_bfrev_b32_e32 v17, 1
	s_and_saveexec_b64 s[16:17], vcc
	s_cbranch_execz .LBB528_1057
; %bb.1054:                             ;   in Loop: Header=BB528_794 Depth=1
	v_bfe_u32 v6, v6, 24, 7
	v_cmp_ne_u32_e32 vcc, s21, v6
	v_mov_b32_e32 v17, 0x7f800001
	s_and_saveexec_b64 s[18:19], vcc
	s_cbranch_execz .LBB528_1056
; %bb.1055:                             ;   in Loop: Header=BB528_794 Depth=1
	v_and_b32_e32 v12, 7, v8
	v_ffbh_u32_e32 v18, v12
	v_min_u32_e32 v20, 32, v18
	v_subrev_u32_e32 v18, 28, v20
	v_lshlrev_b64 v[18:19], v18, v[8:9]
	v_lshrrev_b32_e32 v17, 3, v6
	v_sub_u32_e32 v19, 29, v20
	v_and_b32_e32 v18, 7, v18
	v_cmp_gt_u32_e32 vcc, 8, v6
	v_cndmask_b32_e32 v6, v17, v19, vcc
	v_cndmask_b32_e32 v12, v12, v18, vcc
	v_lshlrev_b32_e32 v8, 24, v8
	v_lshlrev_b32_e32 v12, 20, v12
	v_and_b32_e32 v8, 0x80000000, v8
	v_lshl_add_u32 v6, v6, 23, v10
	v_or3_b32 v17, v8, v6, v12
.LBB528_1056:                           ;   in Loop: Header=BB528_794 Depth=1
	s_or_b64 exec, exec, s[18:19]
.LBB528_1057:                           ;   in Loop: Header=BB528_794 Depth=1
	s_or_b64 exec, exec, s[16:17]
.LBB528_1058:                           ;   in Loop: Header=BB528_794 Depth=1
	s_or_b64 exec, exec, s[14:15]
	s_waitcnt vmcnt(0)
	v_cmp_ne_u16_sdwa s[16:17], v4, v9 src0_sel:BYTE_0 src1_sel:DWORD
	s_and_saveexec_b64 s[14:15], s[16:17]
	s_cbranch_execz .LBB528_1064
; %bb.1059:                             ;   in Loop: Header=BB528_794 Depth=1
	v_cmp_ne_u16_sdwa s[18:19], v4, s5 src0_sel:BYTE_0 src1_sel:DWORD
	v_bfrev_b32_e32 v16, 1
	s_and_saveexec_b64 s[16:17], s[18:19]
	s_cbranch_execz .LBB528_1063
; %bb.1060:                             ;   in Loop: Header=BB528_794 Depth=1
	v_and_b32_e32 v6, 0x7f, v4
	v_cmp_ne_u32_e32 vcc, s21, v6
	v_mov_b32_e32 v16, 0x7f800001
	s_and_saveexec_b64 s[18:19], vcc
	s_cbranch_execz .LBB528_1062
; %bb.1061:                             ;   in Loop: Header=BB528_794 Depth=1
	v_and_b32_e32 v8, 7, v4
	v_ffbh_u32_e32 v16, v8
	v_min_u32_e32 v16, 32, v16
	v_subrev_u32_e32 v18, 28, v16
	v_lshlrev_b64 v[18:19], v18, v[4:5]
	v_lshrrev_b32_e32 v12, 3, v6
	v_sub_u32_e32 v16, 29, v16
	v_and_b32_e32 v18, 7, v18
	v_cmp_gt_u32_e32 vcc, 8, v6
	v_cndmask_b32_e32 v6, v12, v16, vcc
	v_cndmask_b32_e32 v8, v8, v18, vcc
	v_lshlrev_b32_e32 v12, 24, v4
	v_lshlrev_b32_e32 v8, 20, v8
	v_and_b32_e32 v12, 0x80000000, v12
	v_lshl_add_u32 v6, v6, 23, v10
	v_or3_b32 v16, v12, v6, v8
.LBB528_1062:                           ;   in Loop: Header=BB528_794 Depth=1
	s_or_b64 exec, exec, s[18:19]
.LBB528_1063:                           ;   in Loop: Header=BB528_794 Depth=1
	s_or_b64 exec, exec, s[16:17]
.LBB528_1064:                           ;   in Loop: Header=BB528_794 Depth=1
	s_or_b64 exec, exec, s[14:15]
	v_lshrrev_b16_e32 v6, 8, v4
	v_cmp_ne_u16_e32 vcc, 0, v6
	v_mov_b32_e32 v8, 0
	v_mov_b32_e32 v18, 0
	s_and_saveexec_b64 s[14:15], vcc
	s_cbranch_execz .LBB528_1070
; %bb.1065:                             ;   in Loop: Header=BB528_794 Depth=1
	v_cmp_ne_u16_e32 vcc, s5, v6
	v_bfrev_b32_e32 v18, 1
	s_and_saveexec_b64 s[16:17], vcc
	s_cbranch_execz .LBB528_1069
; %bb.1066:                             ;   in Loop: Header=BB528_794 Depth=1
	v_and_b32_e32 v12, 0x7f, v6
	v_cmp_ne_u32_e32 vcc, s21, v12
	v_mov_b32_e32 v18, 0x7f800001
	s_and_saveexec_b64 s[18:19], vcc
	s_cbranch_execz .LBB528_1068
; %bb.1067:                             ;   in Loop: Header=BB528_794 Depth=1
	v_and_b32_e32 v20, 7, v6
	v_ffbh_u32_e32 v18, v20
	v_min_u32_e32 v22, 32, v18
	v_subrev_u32_e32 v18, 28, v22
	v_lshlrev_b64 v[18:19], v18, v[6:7]
	v_lshrrev_b32_e32 v21, 3, v12
	v_sub_u32_e32 v6, 29, v22
	v_and_b32_e32 v18, 7, v18
	v_cmp_gt_u32_e32 vcc, 8, v12
	v_cndmask_b32_e32 v6, v21, v6, vcc
	v_cndmask_b32_e32 v12, v20, v18, vcc
	v_lshlrev_b32_e32 v18, 16, v4
	v_lshlrev_b32_e32 v12, 20, v12
	v_and_b32_e32 v18, 0x80000000, v18
	v_lshl_add_u32 v6, v6, 23, v10
	v_or3_b32 v18, v18, v6, v12
.LBB528_1068:                           ;   in Loop: Header=BB528_794 Depth=1
	s_or_b64 exec, exec, s[18:19]
.LBB528_1069:                           ;   in Loop: Header=BB528_794 Depth=1
	s_or_b64 exec, exec, s[16:17]
.LBB528_1070:                           ;   in Loop: Header=BB528_794 Depth=1
	s_or_b64 exec, exec, s[14:15]
	v_lshrrev_b32_e32 v6, 16, v4
	v_cmp_ne_u16_sdwa s[16:17], v6, v9 src0_sel:BYTE_0 src1_sel:DWORD
	s_and_saveexec_b64 s[14:15], s[16:17]
	s_cbranch_execz .LBB528_1076
; %bb.1071:                             ;   in Loop: Header=BB528_794 Depth=1
	v_cmp_ne_u16_sdwa s[18:19], v6, s5 src0_sel:BYTE_0 src1_sel:DWORD
	v_bfrev_b32_e32 v8, 1
	s_and_saveexec_b64 s[16:17], s[18:19]
	s_cbranch_execz .LBB528_1075
; %bb.1072:                             ;   in Loop: Header=BB528_794 Depth=1
	v_bfe_u32 v12, v4, 16, 7
	v_cmp_ne_u32_e32 vcc, s21, v12
	v_mov_b32_e32 v8, 0x7f800001
	s_and_saveexec_b64 s[18:19], vcc
	s_cbranch_execz .LBB528_1074
; %bb.1073:                             ;   in Loop: Header=BB528_794 Depth=1
	v_and_b32_e32 v8, 7, v6
	v_ffbh_u32_e32 v20, v8
	v_min_u32_e32 v22, 32, v20
	v_subrev_u32_e32 v20, 28, v22
	v_lshlrev_b64 v[20:21], v20, v[6:7]
	v_lshrrev_b32_e32 v19, 3, v12
	v_sub_u32_e32 v21, 29, v22
	v_and_b32_e32 v20, 7, v20
	v_cmp_gt_u32_e32 vcc, 8, v12
	v_cndmask_b32_e32 v12, v19, v21, vcc
	v_cndmask_b32_e32 v8, v8, v20, vcc
	v_lshlrev_b32_e32 v6, 24, v6
	v_lshlrev_b32_e32 v8, 20, v8
	v_and_b32_e32 v6, 0x80000000, v6
	v_lshl_add_u32 v12, v12, 23, v10
	v_or3_b32 v8, v6, v12, v8
.LBB528_1074:                           ;   in Loop: Header=BB528_794 Depth=1
	s_or_b64 exec, exec, s[18:19]
.LBB528_1075:                           ;   in Loop: Header=BB528_794 Depth=1
	s_or_b64 exec, exec, s[16:17]
.LBB528_1076:                           ;   in Loop: Header=BB528_794 Depth=1
	s_or_b64 exec, exec, s[14:15]
	v_cmp_lt_u32_e32 vcc, s22, v4
	v_mov_b32_e32 v12, 0
	v_mov_b32_e32 v19, 0
	s_and_saveexec_b64 s[14:15], vcc
	s_cbranch_execz .LBB528_1082
; %bb.1077:                             ;   in Loop: Header=BB528_794 Depth=1
	v_lshrrev_b32_e32 v6, 24, v4
	v_cmp_ne_u32_e32 vcc, s5, v6
	v_bfrev_b32_e32 v19, 1
	s_and_saveexec_b64 s[16:17], vcc
	s_cbranch_execz .LBB528_1081
; %bb.1078:                             ;   in Loop: Header=BB528_794 Depth=1
	v_bfe_u32 v4, v4, 24, 7
	v_cmp_ne_u32_e32 vcc, s21, v4
	v_mov_b32_e32 v19, 0x7f800001
	s_and_saveexec_b64 s[18:19], vcc
	s_cbranch_execz .LBB528_1080
; %bb.1079:                             ;   in Loop: Header=BB528_794 Depth=1
	v_and_b32_e32 v19, 7, v6
	v_ffbh_u32_e32 v20, v19
	v_min_u32_e32 v23, 32, v20
	v_subrev_u32_e32 v20, 28, v23
	v_lshlrev_b64 v[20:21], v20, v[6:7]
	v_lshrrev_b32_e32 v22, 3, v4
	v_sub_u32_e32 v21, 29, v23
	v_and_b32_e32 v20, 7, v20
	v_cmp_gt_u32_e32 vcc, 8, v4
	v_cndmask_b32_e32 v4, v22, v21, vcc
	v_cndmask_b32_e32 v19, v19, v20, vcc
	v_lshlrev_b32_e32 v6, 24, v6
	v_lshlrev_b32_e32 v19, 20, v19
	v_and_b32_e32 v6, 0x80000000, v6
	v_lshl_add_u32 v4, v4, 23, v10
	v_or3_b32 v19, v6, v4, v19
.LBB528_1080:                           ;   in Loop: Header=BB528_794 Depth=1
	s_or_b64 exec, exec, s[18:19]
.LBB528_1081:                           ;   in Loop: Header=BB528_794 Depth=1
	s_or_b64 exec, exec, s[16:17]
.LBB528_1082:                           ;   in Loop: Header=BB528_794 Depth=1
	s_or_b64 exec, exec, s[14:15]
	buffer_load_dword v6, v11, s[0:3], 0 offen offset:48
	buffer_load_dword v4, v11, s[0:3], 0 offen offset:52
	v_cvt_pkrtz_f16_f32 v14, v14, v15
	v_cvt_pkrtz_f16_f32 v15, v13, v17
	;; [unrolled: 1-line block ×4, first 2 shown]
	v_mfma_f32_4x4x4f16 a[0:3], v[2:3], v[14:15], a[0:3] cbsz:4 abid:10
	s_waitcnt vmcnt(1)
	v_cmp_ne_u16_sdwa s[16:17], v6, v9 src0_sel:BYTE_0 src1_sel:DWORD
	v_mfma_f32_4x4x4f16 a[0:3], v[2:3], v[16:17], a[0:3] cbsz:4 abid:11
	s_and_saveexec_b64 s[14:15], s[16:17]
	s_cbranch_execz .LBB528_1088
; %bb.1083:                             ;   in Loop: Header=BB528_794 Depth=1
	v_cmp_ne_u16_sdwa s[18:19], v6, s5 src0_sel:BYTE_0 src1_sel:DWORD
	v_bfrev_b32_e32 v12, 1
	s_and_saveexec_b64 s[16:17], s[18:19]
	s_cbranch_execz .LBB528_1087
; %bb.1084:                             ;   in Loop: Header=BB528_794 Depth=1
	v_and_b32_e32 v8, 0x7f, v6
	v_cmp_ne_u32_e32 vcc, s21, v8
	v_mov_b32_e32 v12, 0x7f800001
	s_and_saveexec_b64 s[18:19], vcc
	s_cbranch_execz .LBB528_1086
; %bb.1085:                             ;   in Loop: Header=BB528_794 Depth=1
	v_and_b32_e32 v14, 7, v6
	v_ffbh_u32_e32 v12, v14
	v_min_u32_e32 v16, 32, v12
	v_subrev_u32_e32 v12, 28, v16
	v_lshlrev_b64 v[12:13], v12, v[6:7]
	v_lshrrev_b32_e32 v15, 3, v8
	v_sub_u32_e32 v13, 29, v16
	v_and_b32_e32 v12, 7, v12
	v_cmp_gt_u32_e32 vcc, 8, v8
	v_cndmask_b32_e32 v8, v15, v13, vcc
	v_cndmask_b32_e32 v12, v14, v12, vcc
	v_lshlrev_b32_e32 v13, 24, v6
	v_lshlrev_b32_e32 v12, 20, v12
	v_and_b32_e32 v13, 0x80000000, v13
	v_lshl_add_u32 v8, v8, 23, v10
	v_or3_b32 v12, v13, v8, v12
.LBB528_1086:                           ;   in Loop: Header=BB528_794 Depth=1
	s_or_b64 exec, exec, s[18:19]
.LBB528_1087:                           ;   in Loop: Header=BB528_794 Depth=1
	s_or_b64 exec, exec, s[16:17]
.LBB528_1088:                           ;   in Loop: Header=BB528_794 Depth=1
	s_or_b64 exec, exec, s[14:15]
	v_lshrrev_b16_e32 v8, 8, v6
	v_cmp_ne_u16_e32 vcc, 0, v8
	v_mov_b32_e32 v14, 0
	v_mov_b32_e32 v15, 0
	s_and_saveexec_b64 s[14:15], vcc
	s_cbranch_execz .LBB528_1094
; %bb.1089:                             ;   in Loop: Header=BB528_794 Depth=1
	v_cmp_ne_u16_e32 vcc, s5, v8
	v_bfrev_b32_e32 v15, 1
	s_and_saveexec_b64 s[16:17], vcc
	s_cbranch_execz .LBB528_1093
; %bb.1090:                             ;   in Loop: Header=BB528_794 Depth=1
	v_and_b32_e32 v13, 0x7f, v8
	v_cmp_ne_u32_e32 vcc, s21, v13
	v_mov_b32_e32 v15, 0x7f800001
	s_and_saveexec_b64 s[18:19], vcc
	s_cbranch_execz .LBB528_1092
; %bb.1091:                             ;   in Loop: Header=BB528_794 Depth=1
	v_and_b32_e32 v15, 7, v8
	v_ffbh_u32_e32 v16, v15
	v_min_u32_e32 v19, 32, v16
	v_subrev_u32_e32 v16, 28, v19
	v_lshlrev_b64 v[16:17], v16, v[8:9]
	v_lshrrev_b32_e32 v18, 3, v13
	v_sub_u32_e32 v8, 29, v19
	v_and_b32_e32 v16, 7, v16
	v_cmp_gt_u32_e32 vcc, 8, v13
	v_cndmask_b32_e32 v8, v18, v8, vcc
	v_cndmask_b32_e32 v13, v15, v16, vcc
	v_lshlrev_b32_e32 v15, 16, v6
	v_lshlrev_b32_e32 v13, 20, v13
	v_and_b32_e32 v15, 0x80000000, v15
	v_lshl_add_u32 v8, v8, 23, v10
	v_or3_b32 v15, v15, v8, v13
.LBB528_1092:                           ;   in Loop: Header=BB528_794 Depth=1
	s_or_b64 exec, exec, s[18:19]
.LBB528_1093:                           ;   in Loop: Header=BB528_794 Depth=1
	s_or_b64 exec, exec, s[16:17]
.LBB528_1094:                           ;   in Loop: Header=BB528_794 Depth=1
	s_or_b64 exec, exec, s[14:15]
	v_lshrrev_b32_e32 v8, 16, v6
	v_cmp_ne_u16_sdwa s[16:17], v8, v9 src0_sel:BYTE_0 src1_sel:DWORD
	s_and_saveexec_b64 s[14:15], s[16:17]
	s_cbranch_execz .LBB528_1100
; %bb.1095:                             ;   in Loop: Header=BB528_794 Depth=1
	v_cmp_ne_u16_sdwa s[18:19], v8, s5 src0_sel:BYTE_0 src1_sel:DWORD
	v_bfrev_b32_e32 v14, 1
	s_and_saveexec_b64 s[16:17], s[18:19]
	s_cbranch_execz .LBB528_1099
; %bb.1096:                             ;   in Loop: Header=BB528_794 Depth=1
	v_bfe_u32 v13, v6, 16, 7
	v_cmp_ne_u32_e32 vcc, s21, v13
	v_mov_b32_e32 v14, 0x7f800001
	s_and_saveexec_b64 s[18:19], vcc
	s_cbranch_execz .LBB528_1098
; %bb.1097:                             ;   in Loop: Header=BB528_794 Depth=1
	v_and_b32_e32 v14, 7, v8
	v_ffbh_u32_e32 v16, v14
	v_min_u32_e32 v19, 32, v16
	v_subrev_u32_e32 v16, 28, v19
	v_lshlrev_b64 v[16:17], v16, v[8:9]
	v_lshrrev_b32_e32 v18, 3, v13
	v_sub_u32_e32 v17, 29, v19
	v_and_b32_e32 v16, 7, v16
	v_cmp_gt_u32_e32 vcc, 8, v13
	v_cndmask_b32_e32 v13, v18, v17, vcc
	v_cndmask_b32_e32 v14, v14, v16, vcc
	v_lshlrev_b32_e32 v8, 24, v8
	v_lshlrev_b32_e32 v14, 20, v14
	v_and_b32_e32 v8, 0x80000000, v8
	v_lshl_add_u32 v13, v13, 23, v10
	v_or3_b32 v14, v8, v13, v14
.LBB528_1098:                           ;   in Loop: Header=BB528_794 Depth=1
	s_or_b64 exec, exec, s[18:19]
.LBB528_1099:                           ;   in Loop: Header=BB528_794 Depth=1
	s_or_b64 exec, exec, s[16:17]
.LBB528_1100:                           ;   in Loop: Header=BB528_794 Depth=1
	s_or_b64 exec, exec, s[14:15]
	v_cmp_lt_u32_e32 vcc, s22, v6
	v_mov_b32_e32 v16, 0
	v_mov_b32_e32 v17, 0
	s_and_saveexec_b64 s[14:15], vcc
	s_cbranch_execz .LBB528_1106
; %bb.1101:                             ;   in Loop: Header=BB528_794 Depth=1
	v_lshrrev_b32_e32 v8, 24, v6
	v_cmp_ne_u32_e32 vcc, s5, v8
	v_bfrev_b32_e32 v17, 1
	s_and_saveexec_b64 s[16:17], vcc
	s_cbranch_execz .LBB528_1105
; %bb.1102:                             ;   in Loop: Header=BB528_794 Depth=1
	v_bfe_u32 v6, v6, 24, 7
	v_cmp_ne_u32_e32 vcc, s21, v6
	v_mov_b32_e32 v17, 0x7f800001
	s_and_saveexec_b64 s[18:19], vcc
	s_cbranch_execz .LBB528_1104
; %bb.1103:                             ;   in Loop: Header=BB528_794 Depth=1
	v_and_b32_e32 v13, 7, v8
	v_ffbh_u32_e32 v18, v13
	v_min_u32_e32 v20, 32, v18
	v_subrev_u32_e32 v18, 28, v20
	v_lshlrev_b64 v[18:19], v18, v[8:9]
	v_lshrrev_b32_e32 v17, 3, v6
	v_sub_u32_e32 v19, 29, v20
	v_and_b32_e32 v18, 7, v18
	v_cmp_gt_u32_e32 vcc, 8, v6
	v_cndmask_b32_e32 v6, v17, v19, vcc
	v_cndmask_b32_e32 v13, v13, v18, vcc
	v_lshlrev_b32_e32 v8, 24, v8
	v_lshlrev_b32_e32 v13, 20, v13
	v_and_b32_e32 v8, 0x80000000, v8
	v_lshl_add_u32 v6, v6, 23, v10
	v_or3_b32 v17, v8, v6, v13
.LBB528_1104:                           ;   in Loop: Header=BB528_794 Depth=1
	s_or_b64 exec, exec, s[18:19]
.LBB528_1105:                           ;   in Loop: Header=BB528_794 Depth=1
	s_or_b64 exec, exec, s[16:17]
.LBB528_1106:                           ;   in Loop: Header=BB528_794 Depth=1
	s_or_b64 exec, exec, s[14:15]
	s_waitcnt vmcnt(0)
	v_cmp_ne_u16_sdwa s[16:17], v4, v9 src0_sel:BYTE_0 src1_sel:DWORD
	s_and_saveexec_b64 s[14:15], s[16:17]
	s_cbranch_execz .LBB528_1112
; %bb.1107:                             ;   in Loop: Header=BB528_794 Depth=1
	v_cmp_ne_u16_sdwa s[18:19], v4, s5 src0_sel:BYTE_0 src1_sel:DWORD
	v_bfrev_b32_e32 v16, 1
	s_and_saveexec_b64 s[16:17], s[18:19]
	s_cbranch_execz .LBB528_1111
; %bb.1108:                             ;   in Loop: Header=BB528_794 Depth=1
	v_and_b32_e32 v6, 0x7f, v4
	v_cmp_ne_u32_e32 vcc, s21, v6
	v_mov_b32_e32 v16, 0x7f800001
	s_and_saveexec_b64 s[18:19], vcc
	s_cbranch_execz .LBB528_1110
; %bb.1109:                             ;   in Loop: Header=BB528_794 Depth=1
	v_and_b32_e32 v8, 7, v4
	v_ffbh_u32_e32 v16, v8
	v_min_u32_e32 v16, 32, v16
	v_subrev_u32_e32 v18, 28, v16
	v_lshlrev_b64 v[18:19], v18, v[4:5]
	v_lshrrev_b32_e32 v13, 3, v6
	v_sub_u32_e32 v16, 29, v16
	v_and_b32_e32 v18, 7, v18
	v_cmp_gt_u32_e32 vcc, 8, v6
	v_cndmask_b32_e32 v6, v13, v16, vcc
	v_cndmask_b32_e32 v8, v8, v18, vcc
	v_lshlrev_b32_e32 v13, 24, v4
	v_lshlrev_b32_e32 v8, 20, v8
	v_and_b32_e32 v13, 0x80000000, v13
	v_lshl_add_u32 v6, v6, 23, v10
	v_or3_b32 v16, v13, v6, v8
.LBB528_1110:                           ;   in Loop: Header=BB528_794 Depth=1
	s_or_b64 exec, exec, s[18:19]
.LBB528_1111:                           ;   in Loop: Header=BB528_794 Depth=1
	s_or_b64 exec, exec, s[16:17]
.LBB528_1112:                           ;   in Loop: Header=BB528_794 Depth=1
	s_or_b64 exec, exec, s[14:15]
	v_lshrrev_b16_e32 v6, 8, v4
	v_cmp_ne_u16_e32 vcc, 0, v6
	v_mov_b32_e32 v8, 0
	v_mov_b32_e32 v18, 0
	s_and_saveexec_b64 s[14:15], vcc
	s_cbranch_execz .LBB528_1118
; %bb.1113:                             ;   in Loop: Header=BB528_794 Depth=1
	v_cmp_ne_u16_e32 vcc, s5, v6
	v_bfrev_b32_e32 v18, 1
	s_and_saveexec_b64 s[16:17], vcc
	s_cbranch_execz .LBB528_1117
; %bb.1114:                             ;   in Loop: Header=BB528_794 Depth=1
	v_and_b32_e32 v13, 0x7f, v6
	v_cmp_ne_u32_e32 vcc, s21, v13
	v_mov_b32_e32 v18, 0x7f800001
	s_and_saveexec_b64 s[18:19], vcc
	s_cbranch_execz .LBB528_1116
; %bb.1115:                             ;   in Loop: Header=BB528_794 Depth=1
	v_and_b32_e32 v20, 7, v6
	v_ffbh_u32_e32 v18, v20
	v_min_u32_e32 v22, 32, v18
	v_subrev_u32_e32 v18, 28, v22
	v_lshlrev_b64 v[18:19], v18, v[6:7]
	v_lshrrev_b32_e32 v21, 3, v13
	v_sub_u32_e32 v6, 29, v22
	v_and_b32_e32 v18, 7, v18
	v_cmp_gt_u32_e32 vcc, 8, v13
	v_cndmask_b32_e32 v6, v21, v6, vcc
	v_cndmask_b32_e32 v13, v20, v18, vcc
	v_lshlrev_b32_e32 v18, 16, v4
	v_lshlrev_b32_e32 v13, 20, v13
	v_and_b32_e32 v18, 0x80000000, v18
	v_lshl_add_u32 v6, v6, 23, v10
	v_or3_b32 v18, v18, v6, v13
.LBB528_1116:                           ;   in Loop: Header=BB528_794 Depth=1
	s_or_b64 exec, exec, s[18:19]
.LBB528_1117:                           ;   in Loop: Header=BB528_794 Depth=1
	s_or_b64 exec, exec, s[16:17]
.LBB528_1118:                           ;   in Loop: Header=BB528_794 Depth=1
	s_or_b64 exec, exec, s[14:15]
	v_lshrrev_b32_e32 v6, 16, v4
	v_cmp_ne_u16_sdwa s[16:17], v6, v9 src0_sel:BYTE_0 src1_sel:DWORD
	s_and_saveexec_b64 s[14:15], s[16:17]
	s_cbranch_execz .LBB528_1124
; %bb.1119:                             ;   in Loop: Header=BB528_794 Depth=1
	v_cmp_ne_u16_sdwa s[18:19], v6, s5 src0_sel:BYTE_0 src1_sel:DWORD
	v_bfrev_b32_e32 v8, 1
	s_and_saveexec_b64 s[16:17], s[18:19]
	s_cbranch_execz .LBB528_1123
; %bb.1120:                             ;   in Loop: Header=BB528_794 Depth=1
	v_bfe_u32 v13, v4, 16, 7
	v_cmp_ne_u32_e32 vcc, s21, v13
	v_mov_b32_e32 v8, 0x7f800001
	s_and_saveexec_b64 s[18:19], vcc
	s_cbranch_execz .LBB528_1122
; %bb.1121:                             ;   in Loop: Header=BB528_794 Depth=1
	v_and_b32_e32 v8, 7, v6
	v_ffbh_u32_e32 v20, v8
	v_min_u32_e32 v22, 32, v20
	v_subrev_u32_e32 v20, 28, v22
	v_lshlrev_b64 v[20:21], v20, v[6:7]
	v_lshrrev_b32_e32 v19, 3, v13
	v_sub_u32_e32 v21, 29, v22
	v_and_b32_e32 v20, 7, v20
	v_cmp_gt_u32_e32 vcc, 8, v13
	v_cndmask_b32_e32 v13, v19, v21, vcc
	v_cndmask_b32_e32 v8, v8, v20, vcc
	v_lshlrev_b32_e32 v6, 24, v6
	v_lshlrev_b32_e32 v8, 20, v8
	v_and_b32_e32 v6, 0x80000000, v6
	v_lshl_add_u32 v13, v13, 23, v10
	v_or3_b32 v8, v6, v13, v8
.LBB528_1122:                           ;   in Loop: Header=BB528_794 Depth=1
	s_or_b64 exec, exec, s[18:19]
.LBB528_1123:                           ;   in Loop: Header=BB528_794 Depth=1
	s_or_b64 exec, exec, s[16:17]
.LBB528_1124:                           ;   in Loop: Header=BB528_794 Depth=1
	s_or_b64 exec, exec, s[14:15]
	v_cmp_lt_u32_e32 vcc, s22, v4
	v_mov_b32_e32 v13, 0
	v_mov_b32_e32 v19, 0
	s_and_saveexec_b64 s[14:15], vcc
	s_cbranch_execz .LBB528_1130
; %bb.1125:                             ;   in Loop: Header=BB528_794 Depth=1
	v_lshrrev_b32_e32 v6, 24, v4
	v_cmp_ne_u32_e32 vcc, s5, v6
	v_bfrev_b32_e32 v19, 1
	s_and_saveexec_b64 s[16:17], vcc
	s_cbranch_execz .LBB528_1129
; %bb.1126:                             ;   in Loop: Header=BB528_794 Depth=1
	v_bfe_u32 v4, v4, 24, 7
	v_cmp_ne_u32_e32 vcc, s21, v4
	v_mov_b32_e32 v19, 0x7f800001
	s_and_saveexec_b64 s[18:19], vcc
	s_cbranch_execz .LBB528_1128
; %bb.1127:                             ;   in Loop: Header=BB528_794 Depth=1
	v_and_b32_e32 v19, 7, v6
	v_ffbh_u32_e32 v20, v19
	v_min_u32_e32 v23, 32, v20
	v_subrev_u32_e32 v20, 28, v23
	v_lshlrev_b64 v[20:21], v20, v[6:7]
	v_lshrrev_b32_e32 v22, 3, v4
	v_sub_u32_e32 v21, 29, v23
	v_and_b32_e32 v20, 7, v20
	v_cmp_gt_u32_e32 vcc, 8, v4
	v_cndmask_b32_e32 v4, v22, v21, vcc
	v_cndmask_b32_e32 v19, v19, v20, vcc
	v_lshlrev_b32_e32 v6, 24, v6
	v_lshlrev_b32_e32 v19, 20, v19
	v_and_b32_e32 v6, 0x80000000, v6
	v_lshl_add_u32 v4, v4, 23, v10
	v_or3_b32 v19, v6, v4, v19
.LBB528_1128:                           ;   in Loop: Header=BB528_794 Depth=1
	s_or_b64 exec, exec, s[18:19]
.LBB528_1129:                           ;   in Loop: Header=BB528_794 Depth=1
	s_or_b64 exec, exec, s[16:17]
.LBB528_1130:                           ;   in Loop: Header=BB528_794 Depth=1
	s_or_b64 exec, exec, s[14:15]
	buffer_load_dword v6, v11, s[0:3], 0 offen offset:56
	buffer_load_dword v4, v11, s[0:3], 0 offen offset:60
	v_cvt_pkrtz_f16_f32 v20, v12, v15
	v_cvt_pkrtz_f16_f32 v21, v14, v17
	;; [unrolled: 1-line block ×4, first 2 shown]
	v_mfma_f32_4x4x4f16 a[0:3], v[2:3], v[20:21], a[0:3] cbsz:4 abid:12
	s_waitcnt vmcnt(1)
	v_cmp_ne_u16_sdwa s[16:17], v6, v9 src0_sel:BYTE_0 src1_sel:DWORD
	v_mfma_f32_4x4x4f16 a[0:3], v[2:3], v[14:15], a[0:3] cbsz:4 abid:13
	s_and_saveexec_b64 s[14:15], s[16:17]
	s_cbranch_execz .LBB528_1136
; %bb.1131:                             ;   in Loop: Header=BB528_794 Depth=1
	v_cmp_ne_u16_sdwa s[18:19], v6, s5 src0_sel:BYTE_0 src1_sel:DWORD
	v_bfrev_b32_e32 v13, 1
	s_and_saveexec_b64 s[16:17], s[18:19]
	s_cbranch_execz .LBB528_1135
; %bb.1132:                             ;   in Loop: Header=BB528_794 Depth=1
	v_and_b32_e32 v8, 0x7f, v6
	v_cmp_ne_u32_e32 vcc, s21, v8
	v_mov_b32_e32 v13, 0x7f800001
	s_and_saveexec_b64 s[18:19], vcc
	s_cbranch_execz .LBB528_1134
; %bb.1133:                             ;   in Loop: Header=BB528_794 Depth=1
	v_and_b32_e32 v11, 7, v6
	v_ffbh_u32_e32 v12, v11
	v_min_u32_e32 v15, 32, v12
	v_subrev_u32_e32 v12, 28, v15
	v_lshlrev_b64 v[12:13], v12, v[6:7]
	v_lshrrev_b32_e32 v14, 3, v8
	v_sub_u32_e32 v13, 29, v15
	v_and_b32_e32 v12, 7, v12
	v_cmp_gt_u32_e32 vcc, 8, v8
	v_cndmask_b32_e32 v8, v14, v13, vcc
	v_cndmask_b32_e32 v11, v11, v12, vcc
	v_lshlrev_b32_e32 v12, 24, v6
	v_lshlrev_b32_e32 v11, 20, v11
	v_and_b32_e32 v12, 0x80000000, v12
	v_lshl_add_u32 v8, v8, 23, v10
	v_or3_b32 v13, v12, v8, v11
.LBB528_1134:                           ;   in Loop: Header=BB528_794 Depth=1
	s_or_b64 exec, exec, s[18:19]
.LBB528_1135:                           ;   in Loop: Header=BB528_794 Depth=1
	s_or_b64 exec, exec, s[16:17]
.LBB528_1136:                           ;   in Loop: Header=BB528_794 Depth=1
	s_or_b64 exec, exec, s[14:15]
	v_lshrrev_b16_e32 v8, 8, v6
	v_cmp_ne_u16_e32 vcc, 0, v8
	v_mov_b32_e32 v11, 0
	v_mov_b32_e32 v12, 0
	s_and_saveexec_b64 s[14:15], vcc
	s_cbranch_execz .LBB528_1142
; %bb.1137:                             ;   in Loop: Header=BB528_794 Depth=1
	v_cmp_ne_u16_e32 vcc, s5, v8
	v_bfrev_b32_e32 v12, 1
	s_and_saveexec_b64 s[16:17], vcc
	s_cbranch_execz .LBB528_1141
; %bb.1138:                             ;   in Loop: Header=BB528_794 Depth=1
	v_and_b32_e32 v14, 0x7f, v8
	v_cmp_ne_u32_e32 vcc, s21, v14
	v_mov_b32_e32 v12, 0x7f800001
	s_and_saveexec_b64 s[18:19], vcc
	s_cbranch_execz .LBB528_1140
; %bb.1139:                             ;   in Loop: Header=BB528_794 Depth=1
	v_and_b32_e32 v12, 7, v8
	v_ffbh_u32_e32 v16, v12
	v_min_u32_e32 v18, 32, v16
	v_subrev_u32_e32 v16, 28, v18
	v_lshlrev_b64 v[16:17], v16, v[8:9]
	v_lshrrev_b32_e32 v15, 3, v14
	v_sub_u32_e32 v8, 29, v18
	v_and_b32_e32 v16, 7, v16
	v_cmp_gt_u32_e32 vcc, 8, v14
	v_cndmask_b32_e32 v8, v15, v8, vcc
	v_cndmask_b32_e32 v12, v12, v16, vcc
	v_lshlrev_b32_e32 v14, 16, v6
	v_lshlrev_b32_e32 v12, 20, v12
	v_and_b32_e32 v14, 0x80000000, v14
	v_lshl_add_u32 v8, v8, 23, v10
	v_or3_b32 v12, v14, v8, v12
.LBB528_1140:                           ;   in Loop: Header=BB528_794 Depth=1
	s_or_b64 exec, exec, s[18:19]
.LBB528_1141:                           ;   in Loop: Header=BB528_794 Depth=1
	s_or_b64 exec, exec, s[16:17]
.LBB528_1142:                           ;   in Loop: Header=BB528_794 Depth=1
	s_or_b64 exec, exec, s[14:15]
	v_lshrrev_b32_e32 v8, 16, v6
	v_cmp_ne_u16_sdwa s[16:17], v8, v9 src0_sel:BYTE_0 src1_sel:DWORD
	s_and_saveexec_b64 s[14:15], s[16:17]
	s_cbranch_execz .LBB528_1148
; %bb.1143:                             ;   in Loop: Header=BB528_794 Depth=1
	v_cmp_ne_u16_sdwa s[18:19], v8, s5 src0_sel:BYTE_0 src1_sel:DWORD
	v_bfrev_b32_e32 v11, 1
	s_and_saveexec_b64 s[16:17], s[18:19]
	s_cbranch_execz .LBB528_1147
; %bb.1144:                             ;   in Loop: Header=BB528_794 Depth=1
	v_bfe_u32 v14, v6, 16, 7
	v_cmp_ne_u32_e32 vcc, s21, v14
	v_mov_b32_e32 v11, 0x7f800001
	s_and_saveexec_b64 s[18:19], vcc
	s_cbranch_execz .LBB528_1146
; %bb.1145:                             ;   in Loop: Header=BB528_794 Depth=1
	v_and_b32_e32 v11, 7, v8
	v_ffbh_u32_e32 v16, v11
	v_min_u32_e32 v18, 32, v16
	v_subrev_u32_e32 v16, 28, v18
	v_lshlrev_b64 v[16:17], v16, v[8:9]
	v_lshrrev_b32_e32 v15, 3, v14
	v_sub_u32_e32 v17, 29, v18
	v_and_b32_e32 v16, 7, v16
	v_cmp_gt_u32_e32 vcc, 8, v14
	v_cndmask_b32_e32 v14, v15, v17, vcc
	v_cndmask_b32_e32 v11, v11, v16, vcc
	v_lshlrev_b32_e32 v8, 24, v8
	v_lshlrev_b32_e32 v11, 20, v11
	v_and_b32_e32 v8, 0x80000000, v8
	v_lshl_add_u32 v14, v14, 23, v10
	v_or3_b32 v11, v8, v14, v11
.LBB528_1146:                           ;   in Loop: Header=BB528_794 Depth=1
	s_or_b64 exec, exec, s[18:19]
.LBB528_1147:                           ;   in Loop: Header=BB528_794 Depth=1
	s_or_b64 exec, exec, s[16:17]
.LBB528_1148:                           ;   in Loop: Header=BB528_794 Depth=1
	s_or_b64 exec, exec, s[14:15]
	v_cmp_lt_u32_e32 vcc, s22, v6
	v_mov_b32_e32 v14, 0
	v_mov_b32_e32 v15, 0
	s_and_saveexec_b64 s[14:15], vcc
	s_cbranch_execz .LBB528_1154
; %bb.1149:                             ;   in Loop: Header=BB528_794 Depth=1
	v_lshrrev_b32_e32 v8, 24, v6
	v_cmp_ne_u32_e32 vcc, s5, v8
	v_bfrev_b32_e32 v15, 1
	s_and_saveexec_b64 s[16:17], vcc
	s_cbranch_execz .LBB528_1153
; %bb.1150:                             ;   in Loop: Header=BB528_794 Depth=1
	v_bfe_u32 v6, v6, 24, 7
	v_cmp_ne_u32_e32 vcc, s21, v6
	v_mov_b32_e32 v15, 0x7f800001
	s_and_saveexec_b64 s[18:19], vcc
	s_cbranch_execz .LBB528_1152
; %bb.1151:                             ;   in Loop: Header=BB528_794 Depth=1
	v_and_b32_e32 v15, 7, v8
	v_ffbh_u32_e32 v16, v15
	v_min_u32_e32 v19, 32, v16
	v_subrev_u32_e32 v16, 28, v19
	v_lshlrev_b64 v[16:17], v16, v[8:9]
	v_lshrrev_b32_e32 v18, 3, v6
	v_sub_u32_e32 v17, 29, v19
	v_and_b32_e32 v16, 7, v16
	v_cmp_gt_u32_e32 vcc, 8, v6
	v_cndmask_b32_e32 v6, v18, v17, vcc
	v_cndmask_b32_e32 v15, v15, v16, vcc
	v_lshlrev_b32_e32 v8, 24, v8
	v_lshlrev_b32_e32 v15, 20, v15
	v_and_b32_e32 v8, 0x80000000, v8
	v_lshl_add_u32 v6, v6, 23, v10
	v_or3_b32 v15, v8, v6, v15
.LBB528_1152:                           ;   in Loop: Header=BB528_794 Depth=1
	s_or_b64 exec, exec, s[18:19]
.LBB528_1153:                           ;   in Loop: Header=BB528_794 Depth=1
	s_or_b64 exec, exec, s[16:17]
.LBB528_1154:                           ;   in Loop: Header=BB528_794 Depth=1
	s_or_b64 exec, exec, s[14:15]
	s_waitcnt vmcnt(0)
	v_cmp_ne_u16_sdwa s[16:17], v4, v9 src0_sel:BYTE_0 src1_sel:DWORD
	s_and_saveexec_b64 s[14:15], s[16:17]
	s_cbranch_execz .LBB528_1160
; %bb.1155:                             ;   in Loop: Header=BB528_794 Depth=1
	v_cmp_ne_u16_sdwa s[18:19], v4, s5 src0_sel:BYTE_0 src1_sel:DWORD
	v_bfrev_b32_e32 v14, 1
	s_and_saveexec_b64 s[16:17], s[18:19]
	s_cbranch_execz .LBB528_1159
; %bb.1156:                             ;   in Loop: Header=BB528_794 Depth=1
	v_and_b32_e32 v6, 0x7f, v4
	v_cmp_ne_u32_e32 vcc, s21, v6
	v_mov_b32_e32 v14, 0x7f800001
	s_and_saveexec_b64 s[18:19], vcc
	s_cbranch_execz .LBB528_1158
; %bb.1157:                             ;   in Loop: Header=BB528_794 Depth=1
	v_and_b32_e32 v8, 7, v4
	v_ffbh_u32_e32 v16, v8
	v_min_u32_e32 v18, 32, v16
	v_subrev_u32_e32 v16, 28, v18
	v_lshlrev_b64 v[16:17], v16, v[4:5]
	v_lshrrev_b32_e32 v14, 3, v6
	v_sub_u32_e32 v17, 29, v18
	v_and_b32_e32 v16, 7, v16
	v_cmp_gt_u32_e32 vcc, 8, v6
	v_cndmask_b32_e32 v6, v14, v17, vcc
	v_cndmask_b32_e32 v8, v8, v16, vcc
	v_lshlrev_b32_e32 v14, 24, v4
	v_lshlrev_b32_e32 v8, 20, v8
	v_and_b32_e32 v14, 0x80000000, v14
	v_lshl_add_u32 v6, v6, 23, v10
	v_or3_b32 v14, v14, v6, v8
.LBB528_1158:                           ;   in Loop: Header=BB528_794 Depth=1
	s_or_b64 exec, exec, s[18:19]
.LBB528_1159:                           ;   in Loop: Header=BB528_794 Depth=1
	s_or_b64 exec, exec, s[16:17]
.LBB528_1160:                           ;   in Loop: Header=BB528_794 Depth=1
	s_or_b64 exec, exec, s[14:15]
	v_lshrrev_b16_e32 v6, 8, v4
	v_cmp_ne_u16_e32 vcc, 0, v6
	v_mov_b32_e32 v8, 0
	v_mov_b32_e32 v16, 0
	s_and_saveexec_b64 s[14:15], vcc
	s_cbranch_execz .LBB528_1166
; %bb.1161:                             ;   in Loop: Header=BB528_794 Depth=1
	v_cmp_ne_u16_e32 vcc, s5, v6
	v_bfrev_b32_e32 v16, 1
	s_and_saveexec_b64 s[16:17], vcc
	s_cbranch_execz .LBB528_1165
; %bb.1162:                             ;   in Loop: Header=BB528_794 Depth=1
	v_and_b32_e32 v17, 0x7f, v6
	v_cmp_ne_u32_e32 vcc, s21, v17
	v_mov_b32_e32 v16, 0x7f800001
	s_and_saveexec_b64 s[18:19], vcc
	s_cbranch_execz .LBB528_1164
; %bb.1163:                             ;   in Loop: Header=BB528_794 Depth=1
	v_and_b32_e32 v16, 7, v6
	v_ffbh_u32_e32 v18, v16
	v_min_u32_e32 v21, 32, v18
	v_subrev_u32_e32 v18, 28, v21
	v_lshlrev_b64 v[18:19], v18, v[6:7]
	v_lshrrev_b32_e32 v20, 3, v17
	v_sub_u32_e32 v6, 29, v21
	v_and_b32_e32 v18, 7, v18
	v_cmp_gt_u32_e32 vcc, 8, v17
	v_cndmask_b32_e32 v6, v20, v6, vcc
	v_cndmask_b32_e32 v16, v16, v18, vcc
	v_lshlrev_b32_e32 v17, 16, v4
	v_lshlrev_b32_e32 v16, 20, v16
	v_and_b32_e32 v17, 0x80000000, v17
	v_lshl_add_u32 v6, v6, 23, v10
	v_or3_b32 v16, v17, v6, v16
.LBB528_1164:                           ;   in Loop: Header=BB528_794 Depth=1
	s_or_b64 exec, exec, s[18:19]
.LBB528_1165:                           ;   in Loop: Header=BB528_794 Depth=1
	s_or_b64 exec, exec, s[16:17]
.LBB528_1166:                           ;   in Loop: Header=BB528_794 Depth=1
	s_or_b64 exec, exec, s[14:15]
	v_lshrrev_b32_e32 v6, 16, v4
	v_cmp_ne_u16_sdwa s[16:17], v6, v9 src0_sel:BYTE_0 src1_sel:DWORD
	s_and_saveexec_b64 s[14:15], s[16:17]
	s_cbranch_execz .LBB528_1172
; %bb.1167:                             ;   in Loop: Header=BB528_794 Depth=1
	v_cmp_ne_u16_sdwa s[18:19], v6, s5 src0_sel:BYTE_0 src1_sel:DWORD
	v_bfrev_b32_e32 v8, 1
	s_and_saveexec_b64 s[16:17], s[18:19]
	s_cbranch_execz .LBB528_1171
; %bb.1168:                             ;   in Loop: Header=BB528_794 Depth=1
	v_bfe_u32 v17, v4, 16, 7
	v_cmp_ne_u32_e32 vcc, s21, v17
	v_mov_b32_e32 v8, 0x7f800001
	s_and_saveexec_b64 s[18:19], vcc
	s_cbranch_execz .LBB528_1170
; %bb.1169:                             ;   in Loop: Header=BB528_794 Depth=1
	v_and_b32_e32 v8, 7, v6
	v_ffbh_u32_e32 v18, v8
	v_min_u32_e32 v21, 32, v18
	v_subrev_u32_e32 v18, 28, v21
	v_lshlrev_b64 v[18:19], v18, v[6:7]
	v_lshrrev_b32_e32 v20, 3, v17
	v_sub_u32_e32 v19, 29, v21
	v_and_b32_e32 v18, 7, v18
	v_cmp_gt_u32_e32 vcc, 8, v17
	v_cndmask_b32_e32 v17, v20, v19, vcc
	v_cndmask_b32_e32 v8, v8, v18, vcc
	v_lshlrev_b32_e32 v6, 24, v6
	v_lshlrev_b32_e32 v8, 20, v8
	v_and_b32_e32 v6, 0x80000000, v6
	v_lshl_add_u32 v17, v17, 23, v10
	v_or3_b32 v8, v6, v17, v8
.LBB528_1170:                           ;   in Loop: Header=BB528_794 Depth=1
	s_or_b64 exec, exec, s[18:19]
.LBB528_1171:                           ;   in Loop: Header=BB528_794 Depth=1
	s_or_b64 exec, exec, s[16:17]
.LBB528_1172:                           ;   in Loop: Header=BB528_794 Depth=1
	s_or_b64 exec, exec, s[14:15]
	v_cmp_lt_u32_e32 vcc, s22, v4
	v_mov_b32_e32 v17, 0
	s_and_saveexec_b64 s[14:15], vcc
	s_cbranch_execz .LBB528_793
; %bb.1173:                             ;   in Loop: Header=BB528_794 Depth=1
	v_lshrrev_b32_e32 v6, 24, v4
	v_cmp_ne_u32_e32 vcc, s5, v6
	v_bfrev_b32_e32 v17, 1
	s_and_saveexec_b64 s[16:17], vcc
	s_cbranch_execz .LBB528_792
; %bb.1174:                             ;   in Loop: Header=BB528_794 Depth=1
	v_bfe_u32 v4, v4, 24, 7
	v_cmp_ne_u32_e32 vcc, s21, v4
	v_mov_b32_e32 v17, 0x7f800001
	s_and_saveexec_b64 s[18:19], vcc
	s_cbranch_execz .LBB528_791
; %bb.1175:                             ;   in Loop: Header=BB528_794 Depth=1
	v_and_b32_e32 v17, 7, v6
	v_ffbh_u32_e32 v18, v17
	v_min_u32_e32 v21, 32, v18
	v_subrev_u32_e32 v18, 28, v21
	v_lshlrev_b64 v[18:19], v18, v[6:7]
	v_lshrrev_b32_e32 v20, 3, v4
	v_sub_u32_e32 v19, 29, v21
	v_and_b32_e32 v18, 7, v18
	v_cmp_gt_u32_e32 vcc, 8, v4
	v_cndmask_b32_e32 v4, v20, v19, vcc
	v_cndmask_b32_e32 v17, v17, v18, vcc
	v_lshlrev_b32_e32 v6, 24, v6
	v_lshlrev_b32_e32 v17, 20, v17
	v_and_b32_e32 v6, 0x80000000, v6
	v_lshl_add_u32 v4, v4, 23, v10
	v_or3_b32 v17, v6, v4, v17
	s_branch .LBB528_791
.LBB528_1176:
	s_or_b64 exec, exec, s[6:7]
	v_cmp_gt_u32_e32 vcc, 64, v0
	s_waitcnt lgkmcnt(0)
	s_barrier
	s_and_saveexec_b64 s[6:7], vcc
	s_cbranch_execz .LBB528_1178
; %bb.1177:
	v_mul_u32_u24_e32 v6, 40, v1
	ds_read2_b64 v[2:5], v6 offset1:1
	ds_read2_b64 v[6:9], v6 offset0:2 offset1:3
	s_mov_b32 s5, 0
	s_lshl_b32 s4, s4, 7
	s_lshl_b64 s[6:7], s[4:5], 1
	s_waitcnt lgkmcnt(1)
	v_pk_add_f16 v2, v2, 0
	v_pk_add_f16 v2, v2, v4
	;; [unrolled: 1-line block ×3, first 2 shown]
	s_waitcnt lgkmcnt(0)
	v_pk_add_f16 v2, v2, v6
	v_pk_add_f16 v3, v3, v5
	;; [unrolled: 1-line block ×3, first 2 shown]
	v_mov_b32_e32 v2, 0xa00
	v_pk_add_f16 v6, v3, v7
	v_mad_u32_u24 v2, v1, 40, v2
	ds_read2_b64 v[2:5], v2 offset1:1
	v_pk_add_f16 v11, v6, v9
	v_mov_b32_e32 v6, 0xa10
	v_mad_u32_u24 v1, v1, 40, v6
	ds_read2_b64 v[6:9], v1 offset1:1
	s_add_u32 s6, s36, s6
	s_addc_u32 s7, s37, s7
	s_lshl_b32 s4, s34, 7
	s_lshl_b64 s[4:5], s[4:5], 1
	s_waitcnt lgkmcnt(1)
	v_pk_add_f16 v1, v2, 0
	v_pk_add_f16 v2, v3, 0
	s_add_u32 s4, s6, s4
	v_pk_add_f16 v2, v2, v5
	s_addc_u32 s5, s7, s5
	s_lshl_b32 s6, s33, 7
	s_waitcnt lgkmcnt(0)
	v_pk_add_f16 v2, v2, v7
	s_mul_i32 s7, s6, s24
	v_pk_add_f16 v1, v1, v4
	v_pk_add_f16 v9, v2, v9
	v_or_b32_e32 v2, s7, v0
	v_mov_b32_e32 v3, 0
	v_pk_add_f16 v1, v1, v6
	v_lshlrev_b64 v[4:5], 1, v[2:3]
	s_add_i32 s7, s7, s6
	v_pk_add_f16 v8, v1, v8
	v_mov_b32_e32 v1, s5
	v_add_co_u32_e32 v4, vcc, s4, v4
	v_or_b32_e32 v2, s7, v0
	v_addc_co_u32_e32 v5, vcc, v1, v5, vcc
	v_lshlrev_b64 v[6:7], 1, v[2:3]
	s_add_i32 s7, s7, s6
	v_add_co_u32_e32 v6, vcc, s4, v6
	v_or_b32_e32 v2, s7, v0
	v_addc_co_u32_e32 v7, vcc, v1, v7, vcc
	v_lshlrev_b64 v[0:1], 1, v[2:3]
	v_mov_b32_e32 v2, s5
	v_add_co_u32_e32 v0, vcc, s4, v0
	v_addc_co_u32_e32 v1, vcc, v2, v1, vcc
	global_store_short v[4:5], v10, off
	global_store_short_d16_hi v[6:7], v10, off
	global_store_short v[0:1], v11, off
	global_store_short v[4:5], v8, off offset:128
	global_store_short_d16_hi v[6:7], v8, off offset:128
	global_store_short v[0:1], v9, off offset:128
.LBB528_1178:
	s_endpgm
	.section	.rodata,"a",@progbits
	.p2align	6, 0x0
	.amdhsa_kernel _Z38paged_attention_ll4mi_QKV_mfma4_kernelIDF16_hLN4vllm18Fp8KVCacheDataTypeE1EDF16_Li32ELi128ELi256ELb0ELi3EEvPKT_PKT0_S7_ifPKiS9_S9_iPKfiiiPfSC_PS2_PT2_iSB_SB_
		.amdhsa_group_segment_fixed_size 5280
		.amdhsa_private_segment_fixed_size 144
		.amdhsa_kernarg_size 400
		.amdhsa_user_sgpr_count 8
		.amdhsa_user_sgpr_private_segment_buffer 1
		.amdhsa_user_sgpr_dispatch_ptr 0
		.amdhsa_user_sgpr_queue_ptr 0
		.amdhsa_user_sgpr_kernarg_segment_ptr 1
		.amdhsa_user_sgpr_dispatch_id 0
		.amdhsa_user_sgpr_flat_scratch_init 1
		.amdhsa_user_sgpr_kernarg_preload_length 0
		.amdhsa_user_sgpr_kernarg_preload_offset 0
		.amdhsa_user_sgpr_private_segment_size 0
		.amdhsa_uses_dynamic_stack 0
		.amdhsa_system_sgpr_private_segment_wavefront_offset 1
		.amdhsa_system_sgpr_workgroup_id_x 1
		.amdhsa_system_sgpr_workgroup_id_y 1
		.amdhsa_system_sgpr_workgroup_id_z 1
		.amdhsa_system_sgpr_workgroup_info 0
		.amdhsa_system_vgpr_workitem_id 0
		.amdhsa_next_free_vgpr 80
		.amdhsa_next_free_sgpr 46
		.amdhsa_accum_offset 76
		.amdhsa_reserve_vcc 1
		.amdhsa_reserve_flat_scratch 0
		.amdhsa_float_round_mode_32 0
		.amdhsa_float_round_mode_16_64 0
		.amdhsa_float_denorm_mode_32 3
		.amdhsa_float_denorm_mode_16_64 3
		.amdhsa_dx10_clamp 1
		.amdhsa_ieee_mode 1
		.amdhsa_fp16_overflow 0
		.amdhsa_tg_split 0
		.amdhsa_exception_fp_ieee_invalid_op 0
		.amdhsa_exception_fp_denorm_src 0
		.amdhsa_exception_fp_ieee_div_zero 0
		.amdhsa_exception_fp_ieee_overflow 0
		.amdhsa_exception_fp_ieee_underflow 0
		.amdhsa_exception_fp_ieee_inexact 0
		.amdhsa_exception_int_div_zero 0
	.end_amdhsa_kernel
	.section	.text._Z38paged_attention_ll4mi_QKV_mfma4_kernelIDF16_hLN4vllm18Fp8KVCacheDataTypeE1EDF16_Li32ELi128ELi256ELb0ELi3EEvPKT_PKT0_S7_ifPKiS9_S9_iPKfiiiPfSC_PS2_PT2_iSB_SB_,"axG",@progbits,_Z38paged_attention_ll4mi_QKV_mfma4_kernelIDF16_hLN4vllm18Fp8KVCacheDataTypeE1EDF16_Li32ELi128ELi256ELb0ELi3EEvPKT_PKT0_S7_ifPKiS9_S9_iPKfiiiPfSC_PS2_PT2_iSB_SB_,comdat
.Lfunc_end528:
	.size	_Z38paged_attention_ll4mi_QKV_mfma4_kernelIDF16_hLN4vllm18Fp8KVCacheDataTypeE1EDF16_Li32ELi128ELi256ELb0ELi3EEvPKT_PKT0_S7_ifPKiS9_S9_iPKfiiiPfSC_PS2_PT2_iSB_SB_, .Lfunc_end528-_Z38paged_attention_ll4mi_QKV_mfma4_kernelIDF16_hLN4vllm18Fp8KVCacheDataTypeE1EDF16_Li32ELi128ELi256ELb0ELi3EEvPKT_PKT0_S7_ifPKiS9_S9_iPKfiiiPfSC_PS2_PT2_iSB_SB_
                                        ; -- End function
	.section	.AMDGPU.csdata,"",@progbits
; Kernel info:
; codeLenInByte = 40520
; NumSgprs: 50
; NumVgprs: 74
; NumAgprs: 4
; TotalNumVgprs: 80
; ScratchSize: 144
; MemoryBound: 0
; FloatMode: 240
; IeeeMode: 1
; LDSByteSize: 5280 bytes/workgroup (compile time only)
; SGPRBlocks: 6
; VGPRBlocks: 9
; NumSGPRsForWavesPerEU: 50
; NumVGPRsForWavesPerEU: 80
; AccumOffset: 76
; Occupancy: 6
; WaveLimiterHint : 1
; COMPUTE_PGM_RSRC2:SCRATCH_EN: 1
; COMPUTE_PGM_RSRC2:USER_SGPR: 8
; COMPUTE_PGM_RSRC2:TRAP_HANDLER: 0
; COMPUTE_PGM_RSRC2:TGID_X_EN: 1
; COMPUTE_PGM_RSRC2:TGID_Y_EN: 1
; COMPUTE_PGM_RSRC2:TGID_Z_EN: 1
; COMPUTE_PGM_RSRC2:TIDIG_COMP_CNT: 0
; COMPUTE_PGM_RSRC3_GFX90A:ACCUM_OFFSET: 18
; COMPUTE_PGM_RSRC3_GFX90A:TG_SPLIT: 0
	.section	.text._Z38paged_attention_ll4mi_QKV_mfma4_kernelIDF16_hLN4vllm18Fp8KVCacheDataTypeE1EDF16_Li32ELi128ELi256ELb0ELi4EEvPKT_PKT0_S7_ifPKiS9_S9_iPKfiiiPfSC_PS2_PT2_iSB_SB_,"axG",@progbits,_Z38paged_attention_ll4mi_QKV_mfma4_kernelIDF16_hLN4vllm18Fp8KVCacheDataTypeE1EDF16_Li32ELi128ELi256ELb0ELi4EEvPKT_PKT0_S7_ifPKiS9_S9_iPKfiiiPfSC_PS2_PT2_iSB_SB_,comdat
	.protected	_Z38paged_attention_ll4mi_QKV_mfma4_kernelIDF16_hLN4vllm18Fp8KVCacheDataTypeE1EDF16_Li32ELi128ELi256ELb0ELi4EEvPKT_PKT0_S7_ifPKiS9_S9_iPKfiiiPfSC_PS2_PT2_iSB_SB_ ; -- Begin function _Z38paged_attention_ll4mi_QKV_mfma4_kernelIDF16_hLN4vllm18Fp8KVCacheDataTypeE1EDF16_Li32ELi128ELi256ELb0ELi4EEvPKT_PKT0_S7_ifPKiS9_S9_iPKfiiiPfSC_PS2_PT2_iSB_SB_
	.globl	_Z38paged_attention_ll4mi_QKV_mfma4_kernelIDF16_hLN4vllm18Fp8KVCacheDataTypeE1EDF16_Li32ELi128ELi256ELb0ELi4EEvPKT_PKT0_S7_ifPKiS9_S9_iPKfiiiPfSC_PS2_PT2_iSB_SB_
	.p2align	8
	.type	_Z38paged_attention_ll4mi_QKV_mfma4_kernelIDF16_hLN4vllm18Fp8KVCacheDataTypeE1EDF16_Li32ELi128ELi256ELb0ELi4EEvPKT_PKT0_S7_ifPKiS9_S9_iPKfiiiPfSC_PS2_PT2_iSB_SB_,@function
_Z38paged_attention_ll4mi_QKV_mfma4_kernelIDF16_hLN4vllm18Fp8KVCacheDataTypeE1EDF16_Li32ELi128ELi256ELb0ELi4EEvPKT_PKT0_S7_ifPKiS9_S9_iPKfiiiPfSC_PS2_PT2_iSB_SB_: ; @_Z38paged_attention_ll4mi_QKV_mfma4_kernelIDF16_hLN4vllm18Fp8KVCacheDataTypeE1EDF16_Li32ELi128ELi256ELb0ELi4EEvPKT_PKT0_S7_ifPKiS9_S9_iPKfiiiPfSC_PS2_PT2_iSB_SB_
; %bb.0:
	s_load_dwordx2 s[12:13], s[4:5], 0x30
	s_add_u32 s0, s0, s11
	s_addc_u32 s1, s1, 0
	s_mov_b32 s28, s9
	s_mov_b64 s[6:7], 0
	s_waitcnt lgkmcnt(0)
	s_cmp_lg_u64 s[12:13], 0
	s_cselect_b64 s[14:15], -1, 0
	s_and_b64 vcc, exec, s[14:15]
	s_cbranch_vccz .LBB529_1170
; %bb.1:
	s_add_i32 s16, s8, 1
	s_mov_b32 s17, 0
	s_lshl_b64 s[18:19], s[16:17], 2
	s_add_u32 s18, s12, s18
	s_mov_b32 s9, s17
	s_addc_u32 s19, s13, s19
	s_lshl_b64 s[16:17], s[8:9], 2
	s_add_u32 s16, s12, s16
	s_addc_u32 s17, s13, s17
	s_load_dword s11, s[18:19], 0x0
	s_load_dword s20, s[16:17], 0x0
	s_mov_b64 s[38:39], s[8:9]
	s_waitcnt lgkmcnt(0)
	s_sub_i32 s11, s11, s20
	s_cmp_eq_u32 s11, 1
	s_cselect_b64 s[16:17], -1, 0
	s_andn2_b64 vcc, exec, s[6:7]
	s_cbranch_vccnz .LBB529_3
.LBB529_2:
	s_mov_b32 s9, 0
	s_mov_b64 s[16:17], -1
	s_mov_b64 s[38:39], s[8:9]
.LBB529_3:
	s_andn2_b64 vcc, exec, s[16:17]
	s_cbranch_vccnz .LBB529_1173
; %bb.4:
	s_load_dword s9, s[4:5], 0x9c
	s_load_dwordx2 s[6:7], s[4:5], 0x28
	s_add_u32 s34, s4, 0x90
	s_addc_u32 s35, s5, 0
	s_lshl_b64 s[40:41], s[38:39], 2
	s_waitcnt lgkmcnt(0)
	s_and_b32 s11, s9, 0xffff
	s_add_u32 s6, s6, s40
	s_addc_u32 s7, s7, s41
	s_load_dword s9, s[6:7], 0x0
	s_mul_i32 s11, s28, s11
	s_waitcnt lgkmcnt(0)
	s_cmp_ge_i32 s11, s9
	s_cbranch_scc1 .LBB529_1173
; %bb.5:
	v_and_b32_e32 v1, 0xc0, v0
	v_add_u32_e32 v7, s11, v1
	v_lshrrev_b32_e32 v42, 6, v0
	v_cmp_le_i32_e64 s[6:7], s9, v7
                                        ; implicit-def: $sgpr25
                                        ; implicit-def: $sgpr24
	s_and_saveexec_b64 s[16:17], s[6:7]
	s_xor_b64 s[16:17], exec, s[16:17]
	s_cbranch_execz .LBB529_7
; %bb.6:
	v_mul_u32_u24_e32 v1, 20, v42
	v_or_b32_e32 v1, 0x1400, v1
	v_mov_b32_e32 v2, 0x1450
	v_mov_b32_e32 v3, 0xff7fffff
	v_mad_u32_u24 v2, v42, 20, v2
	ds_write2_b32 v1, v3, v3 offset1:1
	v_mov_b32_e32 v1, 0
	ds_write2_b32 v2, v1, v1 offset1:1
	v_mov_b32_e32 v2, 0x1408
	s_mov_b32 s24, 0xff7fffff
	s_mov_b32 s25, 0
	v_mad_u32_u24 v2, v42, 20, v2
	v_mov_b32_e32 v4, 0x1458
	v_mad_u32_u24 v4, v42, 20, v4
	ds_write2_b32 v2, v3, v3 offset1:1
	ds_write2_b32 v4, v1, v1 offset1:1
                                        ; implicit-def: $vgpr7
.LBB529_7:
	s_or_saveexec_b64 s[36:37], s[16:17]
	s_load_dwordx2 s[30:31], s[4:5], 0x68
	s_load_dwordx4 s[20:23], s[4:5], 0x58
	s_load_dword s33, s[34:35], 0x4
	s_load_dwordx4 s[16:19], s[4:5], 0x80
	v_and_b32_e32 v1, 63, v0
	v_and_b32_e32 v43, 3, v0
	v_mov_b32_e32 v5, s25
	v_mov_b32_e32 v6, s24
	;; [unrolled: 1-line block ×5, first 2 shown]
	s_xor_b64 exec, exec, s[36:37]
	s_cbranch_execz .LBB529_781
; %bb.8:
	s_add_i32 s27, s9, 31
	s_ashr_i32 s29, s27, 31
	s_load_dwordx2 s[24:25], s[4:5], 0x20
	s_load_dword s26, s[4:5], 0x38
	s_lshr_b32 s29, s29, 27
	v_add_u32_e32 v44, s11, v0
	s_add_i32 s27, s27, s29
	v_ashrrev_i32_e32 v2, 31, v44
	s_ashr_i32 s27, s27, 5
	v_lshrrev_b32_e32 v2, 27, v2
	s_add_i32 s29, s27, -1
	v_add_u32_e32 v2, v44, v2
	v_ashrrev_i32_e32 v2, 5, v2
	v_mov_b32_e32 v3, s29
	v_cmp_gt_i32_e32 vcc, s9, v44
	s_waitcnt lgkmcnt(0)
	s_mul_i32 s42, s8, s26
	s_mov_b32 s43, 0
	v_cndmask_b32_e32 v2, v3, v2, vcc
	s_lshl_b64 s[26:27], s[42:43], 2
	v_ashrrev_i32_e32 v3, 31, v2
	s_add_u32 s24, s24, s26
	v_lshlrev_b64 v[2:3], 2, v[2:3]
	v_add_co_u32_e32 v4, vcc, s24, v2
	v_ashrrev_i32_e32 v2, 31, v7
	v_lshrrev_b32_e32 v2, 27, v2
	v_add_u32_e32 v2, v7, v2
	s_addc_u32 s25, s25, s27
	v_ashrrev_i32_e32 v6, 5, v2
	v_mov_b32_e32 v5, s25
	v_min_i32_e32 v2, s29, v6
	v_addc_co_u32_e32 v5, vcc, v5, v3, vcc
	v_ashrrev_i32_e32 v3, 31, v2
	v_lshlrev_b64 v[2:3], 2, v[2:3]
	v_add_co_u32_e32 v8, vcc, s24, v2
	v_add_u32_e32 v2, 1, v6
	v_mov_b32_e32 v7, s25
	v_min_i32_e32 v2, s29, v2
	v_addc_co_u32_e32 v9, vcc, v7, v3, vcc
	v_ashrrev_i32_e32 v3, 31, v2
	v_lshlrev_b64 v[2:3], 2, v[2:3]
	v_mov_b32_e32 v6, s25
	v_add_co_u32_e32 v10, vcc, s24, v2
	v_addc_co_u32_e32 v11, vcc, v6, v3, vcc
	global_load_dword v6, v[4:5], off
	global_load_dword v3, v[8:9], off
	;; [unrolled: 1-line block ×3, first 2 shown]
	s_load_dwordx4 s[24:27], s[4:5], 0x0
	s_load_dwordx2 s[44:45], s[4:5], 0x10
	s_andn2_b64 vcc, exec, s[14:15]
	s_cbranch_vccnz .LBB529_10
; %bb.9:
	s_add_u32 s12, s12, s40
	s_addc_u32 s13, s13, s41
	s_load_dword s42, s[12:13], 0x0
	s_waitcnt lgkmcnt(0)
	s_mov_b64 s[38:39], s[42:43]
.LBB529_10:
	s_load_dwordx4 s[12:15], s[4:5], 0x48
	v_mov_b32_e32 v39, 0
	v_lshlrev_b32_e32 v16, 5, v1
	v_mov_b32_e32 v45, 0
	s_waitcnt lgkmcnt(0)
	s_ashr_i32 s11, s12, 31
	s_mul_hi_u32 s15, s38, s12
	s_mul_i32 s11, s38, s11
	s_mul_i32 s29, s39, s12
	s_add_i32 s11, s15, s11
	s_mul_i32 s40, s38, s12
	s_add_i32 s41, s11, s29
	s_lshl_b64 s[38:39], s[40:41], 1
	s_add_u32 s11, s24, s38
	s_addc_u32 s12, s25, s39
	s_lshl_b32 s42, s10, 9
	s_lshl_b64 s[24:25], s[42:43], 1
	s_add_u32 s24, s11, s24
	s_addc_u32 s25, s12, s25
	s_mul_i32 s11, s10, s14
	s_waitcnt vmcnt(1)
	v_mul_hi_i32 v4, v3, s13
	s_add_u32 s14, s11, s26
	v_ashrrev_i32_e32 v4, 31, v4
	s_addc_u32 s15, 0, s27
	v_lshrrev_b32_e32 v38, 29, v4
	s_add_u32 s11, s44, s11
	v_mad_i64_i32 v[4:5], s[26:27], v3, s13, v[38:39]
	s_addc_u32 s29, s45, 0
	v_and_b32_e32 v3, -8, v4
	v_mov_b32_e32 v4, s29
	v_add_co_u32_e32 v3, vcc, s11, v3
	v_addc_co_u32_e32 v5, vcc, v4, v5, vcc
	v_add_co_u32_e32 v4, vcc, v3, v16
	v_addc_co_u32_e32 v5, vcc, 0, v5, vcc
	global_load_dwordx4 v[8:11], v[4:5], off
	global_load_dwordx4 v[46:49], v[4:5], off offset:16
	global_load_dwordx4 v[50:53], v[4:5], off offset:2048
	;; [unrolled: 1-line block ×3, first 2 shown]
	v_lshlrev_b32_e32 v4, 4, v0
	v_and_b32_e32 v17, 0x1f0, v4
	s_waitcnt vmcnt(4)
	v_mul_hi_i32 v4, v2, s13
	v_ashrrev_i32_e32 v4, 31, v4
	v_lshrrev_b32_e32 v38, 29, v4
	v_mad_i64_i32 v[12:13], s[26:27], v2, s13, v[38:39]
	v_pk_mov_b32 v[14:15], s[14:15], s[14:15] op_sel:[0,1]
	v_lshlrev_b32_e32 v3, 2, v1
	v_and_b32_e32 v12, -8, v12
	v_mad_i64_i32 v[6:7], s[12:13], v6, s13, v[14:15]
	v_and_b32_e32 v3, 0xf0, v3
	v_add_co_u32_e32 v12, vcc, s11, v12
	v_add_co_u32_e64 v40, s[12:13], v6, v17
	v_mov_b32_e32 v14, s29
	v_lshl_or_b32 v3, v43, 8, v3
	v_add_co_u32_e64 v6, s[14:15], v12, v16
	v_addc_co_u32_e64 v41, s[12:13], 0, v7, s[12:13]
	v_addc_co_u32_e32 v7, vcc, v14, v13, vcc
	global_load_dwordx4 v[2:5], v3, s[24:25]
	s_nop 0
	global_load_dwordx4 v[34:37], v[40:41], off
	global_load_dwordx4 v[30:33], v[40:41], off offset:512
	global_load_dwordx4 v[26:29], v[40:41], off offset:1024
	;; [unrolled: 1-line block ×3, first 2 shown]
	v_addc_co_u32_e64 v7, vcc, 0, v7, s[14:15]
	global_load_dwordx4 v[18:21], v[40:41], off offset:2048
	global_load_dwordx4 v[14:17], v[40:41], off offset:2560
	global_load_dwordx4 v[58:61], v[6:7], off
	s_waitcnt vmcnt(11)
	buffer_store_dword v9, off, s[0:3], 0 offset:4
	buffer_store_dword v8, off, s[0:3], 0
	buffer_store_dword v11, off, s[0:3], 0 offset:12
	buffer_store_dword v10, off, s[0:3], 0 offset:8
	global_load_dwordx4 v[62:65], v[6:7], off offset:16
	s_waitcnt vmcnt(15)
	buffer_store_dword v47, off, s[0:3], 0 offset:20
	buffer_store_dword v46, off, s[0:3], 0 offset:16
	buffer_store_dword v49, off, s[0:3], 0 offset:28
	buffer_store_dword v48, off, s[0:3], 0 offset:24
	global_load_dwordx4 v[46:49], v[6:7], off offset:2048
	s_waitcnt vmcnt(19)
	buffer_store_dword v51, off, s[0:3], 0 offset:68
	buffer_store_dword v50, off, s[0:3], 0 offset:64
	;; [unrolled: 6-line block ×3, first 2 shown]
	buffer_store_dword v57, off, s[0:3], 0 offset:92
	buffer_store_dword v56, off, s[0:3], 0 offset:88
	global_load_dwordx4 v[10:13], v[40:41], off offset:3072
	global_load_dwordx4 v[6:9], v[40:41], off offset:3584
	s_waitcnt vmcnt(21)
	buffer_store_dword v59, off, s[0:3], 0 offset:36
	buffer_store_dword v58, off, s[0:3], 0 offset:32
	buffer_store_dword v61, off, s[0:3], 0 offset:44
	buffer_store_dword v60, off, s[0:3], 0 offset:40
	s_waitcnt vmcnt(20)
	buffer_store_dword v63, off, s[0:3], 0 offset:52
	buffer_store_dword v62, off, s[0:3], 0 offset:48
	buffer_store_dword v65, off, s[0:3], 0 offset:60
	buffer_store_dword v64, off, s[0:3], 0 offset:56
	;; [unrolled: 5-line block ×4, first 2 shown]
	v_cmp_ne_u16_sdwa s[14:15], v34, v39 src0_sel:BYTE_0 src1_sel:DWORD
	s_and_saveexec_b64 s[12:13], s[14:15]
	s_cbranch_execz .LBB529_16
; %bb.11:
	s_movk_i32 s11, 0x80
	v_cmp_ne_u16_sdwa s[24:25], v34, s11 src0_sel:BYTE_0 src1_sel:DWORD
	v_bfrev_b32_e32 v45, 1
	s_and_saveexec_b64 s[14:15], s[24:25]
	s_cbranch_execz .LBB529_15
; %bb.12:
	s_movk_i32 s11, 0x7f
	v_and_b32_e32 v38, 0x7f, v34
	v_cmp_ne_u32_e32 vcc, s11, v38
	v_mov_b32_e32 v45, 0x7f800001
	s_and_saveexec_b64 s[24:25], vcc
	s_cbranch_execz .LBB529_14
; %bb.13:
	v_and_b32_e32 v40, 7, v34
	v_ffbh_u32_e32 v40, v40
	v_min_u32_e32 v40, 32, v40
	v_lshrrev_b32_e32 v41, 3, v38
	v_subrev_u32_e32 v45, 28, v40
	v_sub_u32_e32 v40, 29, v40
	v_cmp_gt_u32_e32 vcc, 8, v38
	v_cndmask_b32_e32 v38, v41, v40, vcc
	v_cndmask_b32_e32 v40, 0, v45, vcc
	v_lshlrev_b64 v[40:41], v40, v[34:35]
	v_lshlrev_b32_e32 v40, 20, v40
	v_lshlrev_b32_e32 v41, 24, v34
	v_bfrev_b32_e32 v45, 60
	v_and_b32_e32 v40, 0x700000, v40
	v_and_b32_e32 v41, 0x80000000, v41
	v_lshl_add_u32 v38, v38, 23, v45
	v_or3_b32 v45, v41, v38, v40
.LBB529_14:
	s_or_b64 exec, exec, s[24:25]
.LBB529_15:
	s_or_b64 exec, exec, s[14:15]
.LBB529_16:
	s_or_b64 exec, exec, s[12:13]
	v_lshrrev_b16_e32 v38, 8, v34
	v_cmp_ne_u16_e32 vcc, 0, v38
	s_and_saveexec_b64 s[12:13], vcc
	s_cbranch_execz .LBB529_22
; %bb.17:
	s_movk_i32 s11, 0x80
	v_cmp_ne_u16_sdwa s[24:25], v34, s11 src0_sel:BYTE_1 src1_sel:DWORD
	v_bfrev_b32_e32 v39, 1
	s_and_saveexec_b64 s[14:15], s[24:25]
	s_cbranch_execz .LBB529_21
; %bb.18:
	s_movk_i32 s11, 0x7f
	v_and_b32_e32 v40, 0x7f, v38
	v_cmp_ne_u32_e32 vcc, s11, v40
	v_mov_b32_e32 v39, 0x7f800001
	s_and_saveexec_b64 s[24:25], vcc
	s_cbranch_execz .LBB529_20
; %bb.19:
	v_and_b32_e32 v41, 7, v38
	v_ffbh_u32_e32 v39, v41
	v_min_u32_e32 v47, 32, v39
	v_subrev_u32_e32 v39, 28, v47
	v_lshlrev_b64 v[38:39], v39, v[38:39]
	v_lshrrev_b32_e32 v46, 3, v40
	v_sub_u32_e32 v39, 29, v47
	v_and_b32_e32 v38, 7, v38
	v_cmp_gt_u32_e32 vcc, 8, v40
	v_cndmask_b32_e32 v39, v46, v39, vcc
	v_cndmask_b32_e32 v38, v41, v38, vcc
	v_lshlrev_b32_e32 v40, 16, v34
	v_bfrev_b32_e32 v41, 60
	v_lshlrev_b32_e32 v38, 20, v38
	v_and_b32_e32 v40, 0x80000000, v40
	v_lshl_add_u32 v39, v39, 23, v41
	v_or3_b32 v39, v40, v39, v38
.LBB529_20:
	s_or_b64 exec, exec, s[24:25]
.LBB529_21:
	s_or_b64 exec, exec, s[14:15]
.LBB529_22:
	s_or_b64 exec, exec, s[12:13]
	s_movk_i32 s11, 0xff
	v_and_b32_sdwa v40, v34, s11 dst_sel:DWORD dst_unused:UNUSED_PAD src0_sel:WORD_1 src1_sel:DWORD
	v_lshrrev_b32_e32 v38, 16, v34
	v_cmp_ne_u16_e32 vcc, 0, v40
	v_mov_b32_e32 v46, 0
	v_mov_b32_e32 v47, 0
	s_and_saveexec_b64 s[12:13], vcc
	s_cbranch_execz .LBB529_28
; %bb.23:
	s_movk_i32 s11, 0x80
	v_cmp_ne_u16_e32 vcc, s11, v40
	v_bfrev_b32_e32 v47, 1
	s_and_saveexec_b64 s[14:15], vcc
	s_cbranch_execz .LBB529_27
; %bb.24:
	v_bfe_u32 v40, v34, 16, 7
	s_movk_i32 s11, 0x7f
	v_cmp_ne_u32_e32 vcc, s11, v40
	v_mov_b32_e32 v47, 0x7f800001
	s_and_saveexec_b64 s[24:25], vcc
	s_cbranch_execz .LBB529_26
; %bb.25:
	v_and_b32_e32 v41, 7, v38
	v_ffbh_u32_e32 v48, v41
	v_min_u32_e32 v50, 32, v48
	v_subrev_u32_e32 v48, 28, v50
	v_lshlrev_b64 v[48:49], v48, v[38:39]
	v_and_b32_e32 v48, 7, v48
	v_cmp_gt_u32_e32 vcc, 8, v40
	v_lshrrev_b32_e32 v47, 3, v40
	v_sub_u32_e32 v38, 29, v50
	v_cndmask_b32_e32 v40, v41, v48, vcc
	v_mov_b32_e32 v41, 24
	v_cndmask_b32_e32 v38, v47, v38, vcc
	v_lshlrev_b32_sdwa v41, v41, v34 dst_sel:DWORD dst_unused:UNUSED_PAD src0_sel:DWORD src1_sel:WORD_1
	v_bfrev_b32_e32 v47, 60
	v_lshlrev_b32_e32 v40, 20, v40
	v_and_b32_e32 v41, 0x80000000, v41
	v_lshl_add_u32 v38, v38, 23, v47
	v_or3_b32 v47, v41, v38, v40
.LBB529_26:
	s_or_b64 exec, exec, s[24:25]
.LBB529_27:
	s_or_b64 exec, exec, s[14:15]
.LBB529_28:
	s_or_b64 exec, exec, s[12:13]
	s_mov_b32 s11, 0xffffff
	v_cmp_lt_u32_e32 vcc, s11, v34
	s_and_saveexec_b64 s[12:13], vcc
	s_cbranch_execz .LBB529_34
; %bb.29:
	v_lshrrev_b32_e32 v38, 24, v34
	s_movk_i32 s11, 0x80
	v_cmp_ne_u32_e32 vcc, s11, v38
	v_bfrev_b32_e32 v46, 1
	s_and_saveexec_b64 s[14:15], vcc
	s_cbranch_execz .LBB529_33
; %bb.30:
	v_bfe_u32 v40, v34, 24, 7
	s_movk_i32 s11, 0x7f
	v_cmp_ne_u32_e32 vcc, s11, v40
	v_mov_b32_e32 v46, 0x7f800001
	s_and_saveexec_b64 s[24:25], vcc
	s_cbranch_execz .LBB529_32
; %bb.31:
	v_and_b32_e32 v41, 7, v38
	v_ffbh_u32_e32 v48, v41
	v_min_u32_e32 v50, 32, v48
	v_subrev_u32_e32 v48, 28, v50
	v_lshlrev_b64 v[48:49], v48, v[38:39]
	v_lshrrev_b32_e32 v46, 3, v40
	v_sub_u32_e32 v49, 29, v50
	v_and_b32_e32 v48, 7, v48
	v_cmp_gt_u32_e32 vcc, 8, v40
	v_cndmask_b32_e32 v40, v46, v49, vcc
	v_cndmask_b32_e32 v41, v41, v48, vcc
	v_lshlrev_b32_e32 v38, 24, v38
	v_bfrev_b32_e32 v46, 60
	v_lshlrev_b32_e32 v41, 20, v41
	v_and_b32_e32 v38, 0x80000000, v38
	v_lshl_add_u32 v40, v40, 23, v46
	v_or3_b32 v46, v38, v40, v41
.LBB529_32:
	s_or_b64 exec, exec, s[24:25]
.LBB529_33:
	s_or_b64 exec, exec, s[14:15]
.LBB529_34:
	s_or_b64 exec, exec, s[12:13]
	v_mov_b32_e32 v41, 0
	v_mov_b32_e32 v40, v35
	v_cmp_ne_u16_sdwa s[14:15], v35, v41 src0_sel:BYTE_0 src1_sel:DWORD
	v_mov_b32_e32 v48, v41
	s_and_saveexec_b64 s[12:13], s[14:15]
	s_cbranch_execz .LBB529_40
; %bb.35:
	s_movk_i32 s11, 0x80
	v_cmp_ne_u16_sdwa s[24:25], v35, s11 src0_sel:BYTE_0 src1_sel:DWORD
	v_bfrev_b32_e32 v48, 1
	s_and_saveexec_b64 s[14:15], s[24:25]
	s_cbranch_execz .LBB529_39
; %bb.36:
	s_movk_i32 s11, 0x7f
	v_and_b32_e32 v38, 0x7f, v35
	v_cmp_ne_u32_e32 vcc, s11, v38
	v_mov_b32_e32 v48, 0x7f800001
	s_and_saveexec_b64 s[24:25], vcc
	s_cbranch_execz .LBB529_38
; %bb.37:
	v_and_b32_e32 v48, 7, v35
	v_ffbh_u32_e32 v48, v48
	v_min_u32_e32 v48, 32, v48
	v_lshrrev_b32_e32 v49, 3, v38
	v_subrev_u32_e32 v50, 28, v48
	v_sub_u32_e32 v48, 29, v48
	v_cmp_gt_u32_e32 vcc, 8, v38
	v_cndmask_b32_e32 v38, v49, v48, vcc
	v_cndmask_b32_e32 v48, 0, v50, vcc
	v_lshlrev_b64 v[48:49], v48, v[40:41]
	v_lshlrev_b32_e32 v48, 20, v48
	v_lshlrev_b32_e32 v49, 24, v40
	v_bfrev_b32_e32 v50, 60
	v_and_b32_e32 v48, 0x700000, v48
	v_and_b32_e32 v49, 0x80000000, v49
	v_lshl_add_u32 v38, v38, 23, v50
	v_or3_b32 v48, v49, v38, v48
.LBB529_38:
	s_or_b64 exec, exec, s[24:25]
.LBB529_39:
	s_or_b64 exec, exec, s[14:15]
.LBB529_40:
	s_or_b64 exec, exec, s[12:13]
	v_lshrrev_b16_e32 v38, 8, v40
	v_cmp_ne_u16_e32 vcc, 0, v38
	s_and_saveexec_b64 s[12:13], vcc
	s_cbranch_execz .LBB529_46
; %bb.41:
	s_movk_i32 s11, 0x80
	v_cmp_ne_u16_e32 vcc, s11, v38
	v_bfrev_b32_e32 v41, 1
	s_and_saveexec_b64 s[14:15], vcc
	s_cbranch_execz .LBB529_45
; %bb.42:
	s_movk_i32 s11, 0x7f
	v_and_b32_e32 v49, 0x7f, v38
	v_cmp_ne_u32_e32 vcc, s11, v49
	v_mov_b32_e32 v41, 0x7f800001
	s_and_saveexec_b64 s[24:25], vcc
	s_cbranch_execz .LBB529_44
; %bb.43:
	v_and_b32_e32 v41, 7, v38
	v_ffbh_u32_e32 v50, v41
	v_min_u32_e32 v53, 32, v50
	v_subrev_u32_e32 v50, 28, v53
	v_lshlrev_b64 v[50:51], v50, v[38:39]
	v_lshrrev_b32_e32 v52, 3, v49
	v_sub_u32_e32 v38, 29, v53
	v_and_b32_e32 v50, 7, v50
	v_cmp_gt_u32_e32 vcc, 8, v49
	v_cndmask_b32_e32 v38, v52, v38, vcc
	v_cndmask_b32_e32 v41, v41, v50, vcc
	v_lshlrev_b32_e32 v40, 16, v40
	v_bfrev_b32_e32 v49, 60
	v_lshlrev_b32_e32 v41, 20, v41
	v_and_b32_e32 v40, 0x80000000, v40
	v_lshl_add_u32 v38, v38, 23, v49
	v_or3_b32 v41, v40, v38, v41
.LBB529_44:
	s_or_b64 exec, exec, s[24:25]
.LBB529_45:
	s_or_b64 exec, exec, s[14:15]
.LBB529_46:
	s_or_b64 exec, exec, s[12:13]
	s_movk_i32 s11, 0xff
	v_and_b32_sdwa v50, v35, s11 dst_sel:DWORD dst_unused:UNUSED_PAD src0_sel:WORD_1 src1_sel:DWORD
	v_lshrrev_b32_e32 v38, 16, v35
	v_cmp_ne_u16_e32 vcc, 0, v50
	v_mov_b32_e32 v40, 0
	v_mov_b32_e32 v49, 0
	s_and_saveexec_b64 s[12:13], vcc
	s_cbranch_execz .LBB529_52
; %bb.47:
	s_movk_i32 s11, 0x80
	v_cmp_ne_u16_e32 vcc, s11, v50
	v_bfrev_b32_e32 v49, 1
	s_and_saveexec_b64 s[14:15], vcc
	s_cbranch_execz .LBB529_51
; %bb.48:
	v_bfe_u32 v50, v35, 16, 7
	s_movk_i32 s11, 0x7f
	v_cmp_ne_u32_e32 vcc, s11, v50
	v_mov_b32_e32 v49, 0x7f800001
	s_and_saveexec_b64 s[24:25], vcc
	s_cbranch_execz .LBB529_50
; %bb.49:
	v_and_b32_e32 v49, 7, v38
	v_ffbh_u32_e32 v52, v49
	v_min_u32_e32 v54, 32, v52
	v_subrev_u32_e32 v52, 28, v54
	v_lshlrev_b64 v[52:53], v52, v[38:39]
	v_lshrrev_b32_e32 v51, 3, v50
	v_sub_u32_e32 v38, 29, v54
	v_and_b32_e32 v52, 7, v52
	v_cmp_gt_u32_e32 vcc, 8, v50
	v_mov_b32_e32 v50, 24
	v_cndmask_b32_e32 v38, v51, v38, vcc
	v_cndmask_b32_e32 v49, v49, v52, vcc
	v_lshlrev_b32_sdwa v50, v50, v35 dst_sel:DWORD dst_unused:UNUSED_PAD src0_sel:DWORD src1_sel:WORD_1
	v_bfrev_b32_e32 v51, 60
	v_lshlrev_b32_e32 v49, 20, v49
	v_and_b32_e32 v50, 0x80000000, v50
	v_lshl_add_u32 v38, v38, 23, v51
	v_or3_b32 v49, v50, v38, v49
.LBB529_50:
	s_or_b64 exec, exec, s[24:25]
.LBB529_51:
	s_or_b64 exec, exec, s[14:15]
.LBB529_52:
	s_or_b64 exec, exec, s[12:13]
	s_mov_b32 s12, -1
	s_mov_b32 s13, 0xffffff
	v_cmp_lt_u64_e32 vcc, s[12:13], v[34:35]
	s_and_saveexec_b64 s[12:13], vcc
	s_cbranch_execz .LBB529_58
; %bb.53:
	v_lshrrev_b32_e32 v34, 24, v35
	s_movk_i32 s11, 0x80
	v_cmp_ne_u32_e32 vcc, s11, v34
	v_bfrev_b32_e32 v40, 1
	s_and_saveexec_b64 s[14:15], vcc
	s_cbranch_execz .LBB529_57
; %bb.54:
	v_bfe_u32 v35, v35, 24, 7
	s_movk_i32 s11, 0x7f
	v_cmp_ne_u32_e32 vcc, s11, v35
	v_mov_b32_e32 v40, 0x7f800001
	s_and_saveexec_b64 s[24:25], vcc
	s_cbranch_execz .LBB529_56
; %bb.55:
	v_and_b32_e32 v38, 7, v34
	v_ffbh_u32_e32 v50, v38
	v_min_u32_e32 v52, 32, v50
	v_subrev_u32_e32 v50, 28, v52
	v_lshlrev_b64 v[50:51], v50, v[34:35]
	v_lshrrev_b32_e32 v40, 3, v35
	v_sub_u32_e32 v51, 29, v52
	v_and_b32_e32 v50, 7, v50
	v_cmp_gt_u32_e32 vcc, 8, v35
	v_cndmask_b32_e32 v35, v40, v51, vcc
	v_cndmask_b32_e32 v38, v38, v50, vcc
	v_lshlrev_b32_e32 v34, 24, v34
	v_bfrev_b32_e32 v40, 60
	v_lshlrev_b32_e32 v38, 20, v38
	v_and_b32_e32 v34, 0x80000000, v34
	v_lshl_add_u32 v35, v35, 23, v40
	v_or3_b32 v40, v34, v35, v38
.LBB529_56:
	s_or_b64 exec, exec, s[24:25]
.LBB529_57:
	s_or_b64 exec, exec, s[14:15]
.LBB529_58:
	s_or_b64 exec, exec, s[12:13]
	v_cvt_pkrtz_f16_f32 v34, v45, v39
	v_cvt_pkrtz_f16_f32 v35, v47, v46
	;; [unrolled: 1-line block ×4, first 2 shown]
	v_mfma_f32_4x4x4f16 a[0:3], v[2:3], v[34:35], 0 cbsz:4
	v_mov_b32_e32 v40, 0
	v_mfma_f32_4x4x4f16 a[0:3], v[4:5], v[46:47], a[0:3] cbsz:4
	v_mov_b32_e32 v39, 0
	v_cmp_ne_u16_sdwa s[14:15], v36, v40 src0_sel:BYTE_0 src1_sel:DWORD
	s_and_saveexec_b64 s[12:13], s[14:15]
	s_cbranch_execz .LBB529_64
; %bb.59:
	s_movk_i32 s11, 0x80
	v_cmp_ne_u16_sdwa s[24:25], v36, s11 src0_sel:BYTE_0 src1_sel:DWORD
	v_bfrev_b32_e32 v39, 1
	s_and_saveexec_b64 s[14:15], s[24:25]
	s_cbranch_execz .LBB529_63
; %bb.60:
	s_movk_i32 s11, 0x7f
	v_and_b32_e32 v34, 0x7f, v36
	v_cmp_ne_u32_e32 vcc, s11, v34
	v_mov_b32_e32 v39, 0x7f800001
	s_and_saveexec_b64 s[24:25], vcc
	s_cbranch_execz .LBB529_62
; %bb.61:
	v_and_b32_e32 v35, 7, v36
	v_ffbh_u32_e32 v35, v35
	v_min_u32_e32 v35, 32, v35
	v_subrev_u32_e32 v39, 28, v35
	v_cmp_gt_u32_e32 vcc, 8, v34
	v_lshrrev_b32_e32 v38, 3, v34
	v_sub_u32_e32 v35, 29, v35
	v_cndmask_b32_e32 v34, 0, v39, vcc
	v_cndmask_b32_e32 v38, v38, v35, vcc
	v_lshlrev_b64 v[34:35], v34, v[36:37]
	v_lshlrev_b32_e32 v34, 20, v34
	v_lshlrev_b32_e32 v35, 24, v36
	v_bfrev_b32_e32 v39, 60
	v_and_b32_e32 v34, 0x700000, v34
	v_and_b32_e32 v35, 0x80000000, v35
	v_lshl_add_u32 v38, v38, 23, v39
	v_or3_b32 v39, v35, v38, v34
.LBB529_62:
	s_or_b64 exec, exec, s[24:25]
.LBB529_63:
	s_or_b64 exec, exec, s[14:15]
.LBB529_64:
	s_or_b64 exec, exec, s[12:13]
	v_lshrrev_b16_e32 v34, 8, v36
	v_cmp_ne_u16_e32 vcc, 0, v34
	v_mov_b32_e32 v41, 0
	s_and_saveexec_b64 s[12:13], vcc
	s_cbranch_execz .LBB529_70
; %bb.65:
	s_movk_i32 s11, 0x80
	v_cmp_ne_u16_e32 vcc, s11, v34
	v_bfrev_b32_e32 v41, 1
	s_and_saveexec_b64 s[14:15], vcc
	s_cbranch_execz .LBB529_69
; %bb.66:
	s_movk_i32 s11, 0x7f
	v_and_b32_e32 v35, 0x7f, v34
	v_cmp_ne_u32_e32 vcc, s11, v35
	v_mov_b32_e32 v41, 0x7f800001
	s_and_saveexec_b64 s[24:25], vcc
	s_cbranch_execz .LBB529_68
; %bb.67:
	v_and_b32_e32 v38, 7, v34
	v_ffbh_u32_e32 v45, v38
	v_min_u32_e32 v45, 32, v45
	v_subrev_u32_e32 v46, 28, v45
	v_lshlrev_b64 v[46:47], v46, v[34:35]
	v_lshrrev_b32_e32 v41, 3, v35
	v_sub_u32_e32 v34, 29, v45
	v_and_b32_e32 v45, 7, v46
	v_cmp_gt_u32_e32 vcc, 8, v35
	v_cndmask_b32_e32 v34, v41, v34, vcc
	v_cndmask_b32_e32 v35, v38, v45, vcc
	v_lshlrev_b32_e32 v38, 16, v36
	v_bfrev_b32_e32 v41, 60
	v_lshlrev_b32_e32 v35, 20, v35
	v_and_b32_e32 v38, 0x80000000, v38
	v_lshl_add_u32 v34, v34, 23, v41
	v_or3_b32 v41, v38, v34, v35
.LBB529_68:
	s_or_b64 exec, exec, s[24:25]
.LBB529_69:
	s_or_b64 exec, exec, s[14:15]
.LBB529_70:
	s_or_b64 exec, exec, s[12:13]
	s_movk_i32 s11, 0xff
	v_and_b32_sdwa v35, v36, s11 dst_sel:DWORD dst_unused:UNUSED_PAD src0_sel:WORD_1 src1_sel:DWORD
	v_lshrrev_b32_e32 v34, 16, v36
	v_cmp_ne_u16_e32 vcc, 0, v35
	s_and_saveexec_b64 s[12:13], vcc
	s_cbranch_execz .LBB529_76
; %bb.71:
	s_movk_i32 s11, 0x80
	v_cmp_ne_u16_e32 vcc, s11, v35
	v_bfrev_b32_e32 v40, 1
	s_and_saveexec_b64 s[14:15], vcc
	s_cbranch_execz .LBB529_75
; %bb.72:
	v_bfe_u32 v35, v36, 16, 7
	s_movk_i32 s11, 0x7f
	v_cmp_ne_u32_e32 vcc, s11, v35
	v_mov_b32_e32 v40, 0x7f800001
	s_and_saveexec_b64 s[24:25], vcc
	s_cbranch_execz .LBB529_74
; %bb.73:
	v_and_b32_e32 v38, 7, v34
	v_ffbh_u32_e32 v45, v38
	v_min_u32_e32 v45, 32, v45
	v_subrev_u32_e32 v46, 28, v45
	v_lshlrev_b64 v[46:47], v46, v[34:35]
	v_sub_u32_e32 v34, 29, v45
	v_and_b32_e32 v45, 7, v46
	v_cmp_gt_u32_e32 vcc, 8, v35
	v_lshrrev_b32_e32 v40, 3, v35
	v_cndmask_b32_e32 v35, v38, v45, vcc
	v_mov_b32_e32 v38, 24
	v_cndmask_b32_e32 v34, v40, v34, vcc
	v_lshlrev_b32_sdwa v38, v38, v36 dst_sel:DWORD dst_unused:UNUSED_PAD src0_sel:DWORD src1_sel:WORD_1
	v_bfrev_b32_e32 v40, 60
	v_lshlrev_b32_e32 v35, 20, v35
	v_and_b32_e32 v38, 0x80000000, v38
	v_lshl_add_u32 v34, v34, 23, v40
	v_or3_b32 v40, v38, v34, v35
.LBB529_74:
	s_or_b64 exec, exec, s[24:25]
.LBB529_75:
	s_or_b64 exec, exec, s[14:15]
.LBB529_76:
	s_or_b64 exec, exec, s[12:13]
	s_mov_b32 s11, 0xffffff
	v_cmp_lt_u32_e32 vcc, s11, v36
	v_mov_b32_e32 v35, 0
	v_mov_b32_e32 v45, 0
	s_and_saveexec_b64 s[12:13], vcc
	s_cbranch_execz .LBB529_82
; %bb.77:
	v_lshrrev_b32_e32 v34, 24, v36
	s_movk_i32 s11, 0x80
	v_cmp_ne_u32_e32 vcc, s11, v34
	v_bfrev_b32_e32 v45, 1
	s_and_saveexec_b64 s[14:15], vcc
	s_cbranch_execz .LBB529_81
; %bb.78:
	v_bfe_u32 v38, v36, 24, 7
	s_movk_i32 s11, 0x7f
	v_cmp_ne_u32_e32 vcc, s11, v38
	v_mov_b32_e32 v45, 0x7f800001
	s_and_saveexec_b64 s[24:25], vcc
	s_cbranch_execz .LBB529_80
; %bb.79:
	v_and_b32_e32 v45, 7, v34
	v_ffbh_u32_e32 v46, v45
	v_min_u32_e32 v49, 32, v46
	v_subrev_u32_e32 v46, 28, v49
	v_lshlrev_b64 v[46:47], v46, v[34:35]
	v_lshrrev_b32_e32 v48, 3, v38
	v_sub_u32_e32 v47, 29, v49
	v_and_b32_e32 v46, 7, v46
	v_cmp_gt_u32_e32 vcc, 8, v38
	v_cndmask_b32_e32 v38, v48, v47, vcc
	v_cndmask_b32_e32 v45, v45, v46, vcc
	v_lshlrev_b32_e32 v34, 24, v34
	v_bfrev_b32_e32 v46, 60
	v_lshlrev_b32_e32 v45, 20, v45
	v_and_b32_e32 v34, 0x80000000, v34
	v_lshl_add_u32 v38, v38, 23, v46
	v_or3_b32 v45, v34, v38, v45
.LBB529_80:
	s_or_b64 exec, exec, s[24:25]
.LBB529_81:
	s_or_b64 exec, exec, s[14:15]
.LBB529_82:
	s_or_b64 exec, exec, s[12:13]
	v_mov_b32_e32 v34, v37
	v_cmp_ne_u16_sdwa s[14:15], v37, v35 src0_sel:BYTE_0 src1_sel:DWORD
	s_and_saveexec_b64 s[12:13], s[14:15]
	s_cbranch_execz .LBB529_88
; %bb.83:
	s_movk_i32 s11, 0x80
	v_cmp_ne_u16_sdwa s[24:25], v37, s11 src0_sel:BYTE_0 src1_sel:DWORD
	v_bfrev_b32_e32 v38, 1
	s_and_saveexec_b64 s[14:15], s[24:25]
	s_cbranch_execz .LBB529_87
; %bb.84:
	s_movk_i32 s11, 0x7f
	v_and_b32_e32 v46, 0x7f, v37
	v_cmp_ne_u32_e32 vcc, s11, v46
	v_mov_b32_e32 v38, 0x7f800001
	s_and_saveexec_b64 s[24:25], vcc
	s_cbranch_execz .LBB529_86
; %bb.85:
	v_and_b32_e32 v38, 7, v37
	v_ffbh_u32_e32 v38, v38
	v_min_u32_e32 v38, 32, v38
	v_subrev_u32_e32 v48, 28, v38
	v_cmp_gt_u32_e32 vcc, 8, v46
	v_lshrrev_b32_e32 v47, 3, v46
	v_sub_u32_e32 v38, 29, v38
	v_cndmask_b32_e32 v46, 0, v48, vcc
	v_cndmask_b32_e32 v38, v47, v38, vcc
	v_lshlrev_b64 v[46:47], v46, v[34:35]
	v_lshlrev_b32_e32 v35, 20, v46
	v_lshlrev_b32_e32 v46, 24, v34
	v_bfrev_b32_e32 v47, 60
	v_and_b32_e32 v35, 0x700000, v35
	v_and_b32_e32 v46, 0x80000000, v46
	v_lshl_add_u32 v38, v38, 23, v47
	v_or3_b32 v38, v46, v38, v35
.LBB529_86:
	s_or_b64 exec, exec, s[24:25]
.LBB529_87:
	s_or_b64 exec, exec, s[14:15]
	v_mov_b32_e32 v35, v38
.LBB529_88:
	s_or_b64 exec, exec, s[12:13]
	v_lshrrev_b16_e32 v38, 8, v34
	v_cmp_ne_u16_e32 vcc, 0, v38
	v_mov_b32_e32 v46, 0
	v_mov_b32_e32 v47, 0
	s_and_saveexec_b64 s[12:13], vcc
	s_cbranch_execz .LBB529_94
; %bb.89:
	s_movk_i32 s11, 0x80
	v_cmp_ne_u16_e32 vcc, s11, v38
	v_bfrev_b32_e32 v47, 1
	s_and_saveexec_b64 s[14:15], vcc
	s_cbranch_execz .LBB529_93
; %bb.90:
	s_movk_i32 s11, 0x7f
	v_and_b32_e32 v48, 0x7f, v38
	v_cmp_ne_u32_e32 vcc, s11, v48
	v_mov_b32_e32 v47, 0x7f800001
	s_and_saveexec_b64 s[24:25], vcc
	s_cbranch_execz .LBB529_92
; %bb.91:
	v_and_b32_e32 v47, 7, v38
	v_ffbh_u32_e32 v50, v47
	v_min_u32_e32 v52, 32, v50
	v_subrev_u32_e32 v50, 28, v52
	v_lshlrev_b64 v[50:51], v50, v[38:39]
	v_lshrrev_b32_e32 v49, 3, v48
	v_sub_u32_e32 v38, 29, v52
	v_and_b32_e32 v50, 7, v50
	v_cmp_gt_u32_e32 vcc, 8, v48
	v_cndmask_b32_e32 v38, v49, v38, vcc
	v_cndmask_b32_e32 v47, v47, v50, vcc
	v_lshlrev_b32_e32 v34, 16, v34
	v_bfrev_b32_e32 v48, 60
	v_lshlrev_b32_e32 v47, 20, v47
	v_and_b32_e32 v34, 0x80000000, v34
	v_lshl_add_u32 v38, v38, 23, v48
	v_or3_b32 v47, v34, v38, v47
.LBB529_92:
	s_or_b64 exec, exec, s[24:25]
.LBB529_93:
	s_or_b64 exec, exec, s[14:15]
.LBB529_94:
	s_or_b64 exec, exec, s[12:13]
	s_movk_i32 s11, 0xff
	v_and_b32_sdwa v38, v37, s11 dst_sel:DWORD dst_unused:UNUSED_PAD src0_sel:WORD_1 src1_sel:DWORD
	v_lshrrev_b32_e32 v34, 16, v37
	v_cmp_ne_u16_e32 vcc, 0, v38
	s_and_saveexec_b64 s[12:13], vcc
	s_cbranch_execz .LBB529_100
; %bb.95:
	s_movk_i32 s11, 0x80
	v_cmp_ne_u16_e32 vcc, s11, v38
	v_bfrev_b32_e32 v46, 1
	s_and_saveexec_b64 s[14:15], vcc
	s_cbranch_execz .LBB529_99
; %bb.96:
	v_bfe_u32 v38, v37, 16, 7
	s_movk_i32 s11, 0x7f
	v_cmp_ne_u32_e32 vcc, s11, v38
	v_mov_b32_e32 v46, 0x7f800001
	s_and_saveexec_b64 s[24:25], vcc
	s_cbranch_execz .LBB529_98
; %bb.97:
	v_and_b32_e32 v46, 7, v34
	v_ffbh_u32_e32 v48, v46
	v_min_u32_e32 v51, 32, v48
	v_subrev_u32_e32 v48, 28, v51
	v_lshlrev_b64 v[48:49], v48, v[34:35]
	v_and_b32_e32 v48, 7, v48
	v_cmp_gt_u32_e32 vcc, 8, v38
	v_lshrrev_b32_e32 v50, 3, v38
	v_sub_u32_e32 v34, 29, v51
	v_cndmask_b32_e32 v38, v46, v48, vcc
	v_mov_b32_e32 v46, 24
	v_cndmask_b32_e32 v34, v50, v34, vcc
	v_lshlrev_b32_sdwa v46, v46, v37 dst_sel:DWORD dst_unused:UNUSED_PAD src0_sel:DWORD src1_sel:WORD_1
	v_bfrev_b32_e32 v48, 60
	v_lshlrev_b32_e32 v38, 20, v38
	v_and_b32_e32 v46, 0x80000000, v46
	v_lshl_add_u32 v34, v34, 23, v48
	v_or3_b32 v46, v46, v34, v38
.LBB529_98:
	s_or_b64 exec, exec, s[24:25]
.LBB529_99:
	s_or_b64 exec, exec, s[14:15]
.LBB529_100:
	s_or_b64 exec, exec, s[12:13]
	s_mov_b32 s12, -1
	s_mov_b32 s13, 0xffffff
	v_cmp_lt_u64_e32 vcc, s[12:13], v[36:37]
	v_mov_b32_e32 v38, 0
	v_mov_b32_e32 v36, 0
	s_and_saveexec_b64 s[12:13], vcc
	s_cbranch_execz .LBB529_106
; %bb.101:
	v_lshrrev_b32_e32 v34, 24, v37
	s_movk_i32 s11, 0x80
	v_cmp_ne_u32_e32 vcc, s11, v34
	v_bfrev_b32_e32 v36, 1
	s_and_saveexec_b64 s[14:15], vcc
	s_cbranch_execz .LBB529_105
; %bb.102:
	v_bfe_u32 v37, v37, 24, 7
	s_movk_i32 s11, 0x7f
	v_cmp_ne_u32_e32 vcc, s11, v37
	v_mov_b32_e32 v36, 0x7f800001
	s_and_saveexec_b64 s[24:25], vcc
	s_cbranch_execz .LBB529_104
; %bb.103:
	v_and_b32_e32 v36, 7, v34
	v_ffbh_u32_e32 v48, v36
	v_min_u32_e32 v51, 32, v48
	v_subrev_u32_e32 v48, 28, v51
	v_lshlrev_b64 v[48:49], v48, v[34:35]
	v_lshrrev_b32_e32 v50, 3, v37
	v_sub_u32_e32 v49, 29, v51
	v_and_b32_e32 v48, 7, v48
	v_cmp_gt_u32_e32 vcc, 8, v37
	v_cndmask_b32_e32 v37, v50, v49, vcc
	v_cndmask_b32_e32 v36, v36, v48, vcc
	v_lshlrev_b32_e32 v34, 24, v34
	v_bfrev_b32_e32 v48, 60
	v_lshlrev_b32_e32 v36, 20, v36
	v_and_b32_e32 v34, 0x80000000, v34
	v_lshl_add_u32 v37, v37, 23, v48
	v_or3_b32 v36, v34, v37, v36
.LBB529_104:
	s_or_b64 exec, exec, s[24:25]
.LBB529_105:
	s_or_b64 exec, exec, s[14:15]
.LBB529_106:
	s_or_b64 exec, exec, s[12:13]
	v_cvt_pkrtz_f16_f32 v48, v39, v41
	v_cvt_pkrtz_f16_f32 v49, v40, v45
	;; [unrolled: 1-line block ×4, first 2 shown]
	v_mfma_f32_4x4x4f16 a[0:3], v[2:3], v[48:49], a[0:3] cbsz:4 abid:1
	v_cmp_ne_u16_sdwa s[14:15], v30, v38 src0_sel:BYTE_0 src1_sel:DWORD
	v_mfma_f32_4x4x4f16 a[0:3], v[4:5], v[34:35], a[0:3] cbsz:4 abid:1
	s_and_saveexec_b64 s[12:13], s[14:15]
	s_cbranch_execz .LBB529_112
; %bb.107:
	s_movk_i32 s11, 0x80
	v_cmp_ne_u16_sdwa s[24:25], v30, s11 src0_sel:BYTE_0 src1_sel:DWORD
	v_bfrev_b32_e32 v38, 1
	s_and_saveexec_b64 s[14:15], s[24:25]
	s_cbranch_execz .LBB529_111
; %bb.108:
	s_movk_i32 s11, 0x7f
	v_and_b32_e32 v34, 0x7f, v30
	v_cmp_ne_u32_e32 vcc, s11, v34
	v_mov_b32_e32 v38, 0x7f800001
	s_and_saveexec_b64 s[24:25], vcc
	s_cbranch_execz .LBB529_110
; %bb.109:
	v_and_b32_e32 v35, 7, v30
	v_ffbh_u32_e32 v35, v35
	v_min_u32_e32 v35, 32, v35
	v_subrev_u32_e32 v37, 28, v35
	v_cmp_gt_u32_e32 vcc, 8, v34
	v_lshrrev_b32_e32 v36, 3, v34
	v_sub_u32_e32 v35, 29, v35
	v_cndmask_b32_e32 v34, 0, v37, vcc
	v_cndmask_b32_e32 v36, v36, v35, vcc
	v_lshlrev_b64 v[34:35], v34, v[30:31]
	v_lshlrev_b32_e32 v34, 20, v34
	v_lshlrev_b32_e32 v35, 24, v30
	v_bfrev_b32_e32 v37, 60
	v_and_b32_e32 v34, 0x700000, v34
	v_and_b32_e32 v35, 0x80000000, v35
	v_lshl_add_u32 v36, v36, 23, v37
	v_or3_b32 v38, v35, v36, v34
.LBB529_110:
	s_or_b64 exec, exec, s[24:25]
.LBB529_111:
	s_or_b64 exec, exec, s[14:15]
.LBB529_112:
	s_or_b64 exec, exec, s[12:13]
	v_lshrrev_b16_e32 v34, 8, v30
	v_cmp_ne_u16_e32 vcc, 0, v34
	v_mov_b32_e32 v37, 0
	v_mov_b32_e32 v39, 0
	s_and_saveexec_b64 s[12:13], vcc
	s_cbranch_execz .LBB529_118
; %bb.113:
	s_movk_i32 s11, 0x80
	v_cmp_ne_u16_e32 vcc, s11, v34
	v_bfrev_b32_e32 v39, 1
	s_and_saveexec_b64 s[14:15], vcc
	s_cbranch_execz .LBB529_117
; %bb.114:
	s_movk_i32 s11, 0x7f
	v_and_b32_e32 v35, 0x7f, v34
	v_cmp_ne_u32_e32 vcc, s11, v35
	v_mov_b32_e32 v39, 0x7f800001
	s_and_saveexec_b64 s[24:25], vcc
	s_cbranch_execz .LBB529_116
; %bb.115:
	v_and_b32_e32 v36, 7, v34
	v_ffbh_u32_e32 v40, v36
	v_min_u32_e32 v45, 32, v40
	v_subrev_u32_e32 v40, 28, v45
	v_lshlrev_b64 v[40:41], v40, v[34:35]
	v_lshrrev_b32_e32 v39, 3, v35
	v_sub_u32_e32 v34, 29, v45
	v_and_b32_e32 v40, 7, v40
	v_cmp_gt_u32_e32 vcc, 8, v35
	v_cndmask_b32_e32 v34, v39, v34, vcc
	v_cndmask_b32_e32 v35, v36, v40, vcc
	v_lshlrev_b32_e32 v36, 16, v30
	v_bfrev_b32_e32 v39, 60
	v_lshlrev_b32_e32 v35, 20, v35
	v_and_b32_e32 v36, 0x80000000, v36
	v_lshl_add_u32 v34, v34, 23, v39
	v_or3_b32 v39, v36, v34, v35
.LBB529_116:
	s_or_b64 exec, exec, s[24:25]
.LBB529_117:
	s_or_b64 exec, exec, s[14:15]
.LBB529_118:
	s_or_b64 exec, exec, s[12:13]
	s_movk_i32 s11, 0xff
	v_and_b32_sdwa v35, v30, s11 dst_sel:DWORD dst_unused:UNUSED_PAD src0_sel:WORD_1 src1_sel:DWORD
	v_lshrrev_b32_e32 v34, 16, v30
	v_cmp_ne_u16_e32 vcc, 0, v35
	s_and_saveexec_b64 s[12:13], vcc
	s_cbranch_execz .LBB529_124
; %bb.119:
	s_movk_i32 s11, 0x80
	v_cmp_ne_u16_e32 vcc, s11, v35
	v_bfrev_b32_e32 v37, 1
	s_and_saveexec_b64 s[14:15], vcc
	s_cbranch_execz .LBB529_123
; %bb.120:
	v_bfe_u32 v35, v30, 16, 7
	s_movk_i32 s11, 0x7f
	v_cmp_ne_u32_e32 vcc, s11, v35
	v_mov_b32_e32 v37, 0x7f800001
	s_and_saveexec_b64 s[24:25], vcc
	s_cbranch_execz .LBB529_122
; %bb.121:
	v_and_b32_e32 v40, 7, v34
	v_ffbh_u32_e32 v36, v40
	v_min_u32_e32 v45, 32, v36
	v_subrev_u32_e32 v36, 28, v45
	v_lshlrev_b64 v[36:37], v36, v[34:35]
	v_and_b32_e32 v36, 7, v36
	v_cmp_gt_u32_e32 vcc, 8, v35
	v_lshrrev_b32_e32 v41, 3, v35
	v_sub_u32_e32 v34, 29, v45
	v_cndmask_b32_e32 v35, v40, v36, vcc
	v_mov_b32_e32 v36, 24
	v_cndmask_b32_e32 v34, v41, v34, vcc
	v_lshlrev_b32_sdwa v36, v36, v30 dst_sel:DWORD dst_unused:UNUSED_PAD src0_sel:DWORD src1_sel:WORD_1
	v_bfrev_b32_e32 v37, 60
	v_lshlrev_b32_e32 v35, 20, v35
	v_and_b32_e32 v36, 0x80000000, v36
	v_lshl_add_u32 v34, v34, 23, v37
	v_or3_b32 v37, v36, v34, v35
.LBB529_122:
	s_or_b64 exec, exec, s[24:25]
.LBB529_123:
	s_or_b64 exec, exec, s[14:15]
.LBB529_124:
	s_or_b64 exec, exec, s[12:13]
	s_mov_b32 s11, 0xffffff
	v_cmp_lt_u32_e32 vcc, s11, v30
	v_mov_b32_e32 v35, 0
	v_mov_b32_e32 v40, 0
	s_and_saveexec_b64 s[12:13], vcc
	s_cbranch_execz .LBB529_130
; %bb.125:
	v_lshrrev_b32_e32 v34, 24, v30
	s_movk_i32 s11, 0x80
	v_cmp_ne_u32_e32 vcc, s11, v34
	v_bfrev_b32_e32 v40, 1
	s_and_saveexec_b64 s[14:15], vcc
	s_cbranch_execz .LBB529_129
; %bb.126:
	v_bfe_u32 v36, v30, 24, 7
	s_movk_i32 s11, 0x7f
	v_cmp_ne_u32_e32 vcc, s11, v36
	v_mov_b32_e32 v40, 0x7f800001
	s_and_saveexec_b64 s[24:25], vcc
	s_cbranch_execz .LBB529_128
; %bb.127:
	v_and_b32_e32 v45, 7, v34
	v_ffbh_u32_e32 v40, v45
	v_min_u32_e32 v47, 32, v40
	v_subrev_u32_e32 v40, 28, v47
	v_lshlrev_b64 v[40:41], v40, v[34:35]
	v_lshrrev_b32_e32 v46, 3, v36
	v_sub_u32_e32 v41, 29, v47
	v_and_b32_e32 v40, 7, v40
	v_cmp_gt_u32_e32 vcc, 8, v36
	v_cndmask_b32_e32 v36, v46, v41, vcc
	v_cndmask_b32_e32 v40, v45, v40, vcc
	v_lshlrev_b32_e32 v34, 24, v34
	v_bfrev_b32_e32 v41, 60
	v_lshlrev_b32_e32 v40, 20, v40
	v_and_b32_e32 v34, 0x80000000, v34
	v_lshl_add_u32 v36, v36, 23, v41
	v_or3_b32 v40, v34, v36, v40
.LBB529_128:
	s_or_b64 exec, exec, s[24:25]
.LBB529_129:
	s_or_b64 exec, exec, s[14:15]
.LBB529_130:
	s_or_b64 exec, exec, s[12:13]
	v_mov_b32_e32 v34, v31
	v_cmp_ne_u16_sdwa s[14:15], v31, v35 src0_sel:BYTE_0 src1_sel:DWORD
	s_and_saveexec_b64 s[12:13], s[14:15]
	s_cbranch_execz .LBB529_136
; %bb.131:
	s_movk_i32 s11, 0x80
	v_cmp_ne_u16_sdwa s[24:25], v31, s11 src0_sel:BYTE_0 src1_sel:DWORD
	v_bfrev_b32_e32 v36, 1
	s_and_saveexec_b64 s[14:15], s[24:25]
	s_cbranch_execz .LBB529_135
; %bb.132:
	s_movk_i32 s11, 0x7f
	v_and_b32_e32 v41, 0x7f, v31
	v_cmp_ne_u32_e32 vcc, s11, v41
	v_mov_b32_e32 v36, 0x7f800001
	s_and_saveexec_b64 s[24:25], vcc
	s_cbranch_execz .LBB529_134
; %bb.133:
	v_and_b32_e32 v36, 7, v31
	v_ffbh_u32_e32 v36, v36
	v_min_u32_e32 v36, 32, v36
	v_subrev_u32_e32 v46, 28, v36
	v_cmp_gt_u32_e32 vcc, 8, v41
	v_lshrrev_b32_e32 v45, 3, v41
	v_cndmask_b32_e32 v41, 0, v46, vcc
	v_sub_u32_e32 v36, 29, v36
	v_lshlrev_b64 v[46:47], v41, v[34:35]
	v_cndmask_b32_e32 v36, v45, v36, vcc
	v_lshlrev_b32_e32 v35, 20, v46
	v_lshlrev_b32_e32 v41, 24, v34
	v_bfrev_b32_e32 v45, 60
	v_and_b32_e32 v35, 0x700000, v35
	v_and_b32_e32 v41, 0x80000000, v41
	v_lshl_add_u32 v36, v36, 23, v45
	v_or3_b32 v36, v41, v36, v35
.LBB529_134:
	s_or_b64 exec, exec, s[24:25]
.LBB529_135:
	s_or_b64 exec, exec, s[14:15]
	v_mov_b32_e32 v35, v36
.LBB529_136:
	s_or_b64 exec, exec, s[12:13]
	v_lshrrev_b16_e32 v36, 8, v34
	v_cmp_ne_u16_e32 vcc, 0, v36
	v_mov_b32_e32 v41, 0
	v_mov_b32_e32 v45, 0
	s_and_saveexec_b64 s[12:13], vcc
	s_cbranch_execz .LBB529_142
; %bb.137:
	s_movk_i32 s11, 0x80
	v_cmp_ne_u16_e32 vcc, s11, v36
	v_bfrev_b32_e32 v45, 1
	s_and_saveexec_b64 s[14:15], vcc
	s_cbranch_execz .LBB529_141
; %bb.138:
	s_movk_i32 s11, 0x7f
	v_and_b32_e32 v46, 0x7f, v36
	v_cmp_ne_u32_e32 vcc, s11, v46
	v_mov_b32_e32 v45, 0x7f800001
	s_and_saveexec_b64 s[24:25], vcc
	s_cbranch_execz .LBB529_140
; %bb.139:
	v_and_b32_e32 v45, 7, v36
	v_ffbh_u32_e32 v48, v45
	v_min_u32_e32 v50, 32, v48
	v_subrev_u32_e32 v48, 28, v50
	v_lshlrev_b64 v[48:49], v48, v[36:37]
	v_lshrrev_b32_e32 v47, 3, v46
	v_sub_u32_e32 v36, 29, v50
	v_and_b32_e32 v48, 7, v48
	v_cmp_gt_u32_e32 vcc, 8, v46
	v_cndmask_b32_e32 v36, v47, v36, vcc
	v_cndmask_b32_e32 v45, v45, v48, vcc
	v_lshlrev_b32_e32 v34, 16, v34
	v_bfrev_b32_e32 v46, 60
	v_lshlrev_b32_e32 v45, 20, v45
	v_and_b32_e32 v34, 0x80000000, v34
	v_lshl_add_u32 v36, v36, 23, v46
	v_or3_b32 v45, v34, v36, v45
.LBB529_140:
	s_or_b64 exec, exec, s[24:25]
.LBB529_141:
	s_or_b64 exec, exec, s[14:15]
.LBB529_142:
	s_or_b64 exec, exec, s[12:13]
	s_movk_i32 s11, 0xff
	v_and_b32_sdwa v36, v31, s11 dst_sel:DWORD dst_unused:UNUSED_PAD src0_sel:WORD_1 src1_sel:DWORD
	v_lshrrev_b32_e32 v34, 16, v31
	v_cmp_ne_u16_e32 vcc, 0, v36
	s_and_saveexec_b64 s[12:13], vcc
	s_cbranch_execz .LBB529_148
; %bb.143:
	s_movk_i32 s11, 0x80
	v_cmp_ne_u16_e32 vcc, s11, v36
	v_bfrev_b32_e32 v41, 1
	s_and_saveexec_b64 s[14:15], vcc
	s_cbranch_execz .LBB529_147
; %bb.144:
	v_bfe_u32 v36, v31, 16, 7
	s_movk_i32 s11, 0x7f
	v_cmp_ne_u32_e32 vcc, s11, v36
	v_mov_b32_e32 v41, 0x7f800001
	s_and_saveexec_b64 s[24:25], vcc
	s_cbranch_execz .LBB529_146
; %bb.145:
	v_and_b32_e32 v41, 7, v34
	v_ffbh_u32_e32 v46, v41
	v_min_u32_e32 v49, 32, v46
	v_subrev_u32_e32 v46, 28, v49
	v_lshlrev_b64 v[46:47], v46, v[34:35]
	v_and_b32_e32 v46, 7, v46
	v_cmp_gt_u32_e32 vcc, 8, v36
	v_lshrrev_b32_e32 v48, 3, v36
	v_sub_u32_e32 v34, 29, v49
	v_cndmask_b32_e32 v36, v41, v46, vcc
	v_mov_b32_e32 v41, 24
	v_cndmask_b32_e32 v34, v48, v34, vcc
	v_lshlrev_b32_sdwa v41, v41, v31 dst_sel:DWORD dst_unused:UNUSED_PAD src0_sel:DWORD src1_sel:WORD_1
	v_bfrev_b32_e32 v46, 60
	v_lshlrev_b32_e32 v36, 20, v36
	v_and_b32_e32 v41, 0x80000000, v41
	v_lshl_add_u32 v34, v34, 23, v46
	v_or3_b32 v41, v41, v34, v36
.LBB529_146:
	s_or_b64 exec, exec, s[24:25]
.LBB529_147:
	s_or_b64 exec, exec, s[14:15]
.LBB529_148:
	s_or_b64 exec, exec, s[12:13]
	s_mov_b32 s12, -1
	s_mov_b32 s13, 0xffffff
	v_cmp_lt_u64_e32 vcc, s[12:13], v[30:31]
	v_mov_b32_e32 v36, 0
	v_mov_b32_e32 v34, 0
	s_and_saveexec_b64 s[12:13], vcc
	s_cbranch_execz .LBB529_154
; %bb.149:
	v_lshrrev_b32_e32 v30, 24, v31
	s_movk_i32 s11, 0x80
	v_cmp_ne_u32_e32 vcc, s11, v30
	v_bfrev_b32_e32 v34, 1
	s_and_saveexec_b64 s[14:15], vcc
	s_cbranch_execz .LBB529_153
; %bb.150:
	v_bfe_u32 v31, v31, 24, 7
	s_movk_i32 s11, 0x7f
	v_cmp_ne_u32_e32 vcc, s11, v31
	v_mov_b32_e32 v34, 0x7f800001
	s_and_saveexec_b64 s[24:25], vcc
	s_cbranch_execz .LBB529_152
; %bb.151:
	v_and_b32_e32 v34, 7, v30
	v_ffbh_u32_e32 v46, v34
	v_min_u32_e32 v49, 32, v46
	v_subrev_u32_e32 v46, 28, v49
	v_lshlrev_b64 v[46:47], v46, v[30:31]
	v_lshrrev_b32_e32 v48, 3, v31
	v_sub_u32_e32 v47, 29, v49
	v_and_b32_e32 v46, 7, v46
	v_cmp_gt_u32_e32 vcc, 8, v31
	v_cndmask_b32_e32 v31, v48, v47, vcc
	v_cndmask_b32_e32 v34, v34, v46, vcc
	v_lshlrev_b32_e32 v30, 24, v30
	v_bfrev_b32_e32 v46, 60
	v_lshlrev_b32_e32 v34, 20, v34
	v_and_b32_e32 v30, 0x80000000, v30
	v_lshl_add_u32 v31, v31, 23, v46
	v_or3_b32 v34, v30, v31, v34
.LBB529_152:
	s_or_b64 exec, exec, s[24:25]
.LBB529_153:
	s_or_b64 exec, exec, s[14:15]
.LBB529_154:
	s_or_b64 exec, exec, s[12:13]
	v_cvt_pkrtz_f16_f32 v30, v38, v39
	v_cvt_pkrtz_f16_f32 v31, v37, v40
	;; [unrolled: 1-line block ×4, first 2 shown]
	v_mfma_f32_4x4x4f16 a[0:3], v[2:3], v[30:31], a[0:3] cbsz:4 abid:2
	v_cmp_ne_u16_sdwa s[14:15], v32, v36 src0_sel:BYTE_0 src1_sel:DWORD
	v_mfma_f32_4x4x4f16 a[0:3], v[4:5], v[38:39], a[0:3] cbsz:4 abid:2
	s_and_saveexec_b64 s[12:13], s[14:15]
	s_cbranch_execz .LBB529_160
; %bb.155:
	s_movk_i32 s11, 0x80
	v_cmp_ne_u16_sdwa s[24:25], v32, s11 src0_sel:BYTE_0 src1_sel:DWORD
	v_bfrev_b32_e32 v36, 1
	s_and_saveexec_b64 s[14:15], s[24:25]
	s_cbranch_execz .LBB529_159
; %bb.156:
	s_movk_i32 s11, 0x7f
	v_and_b32_e32 v30, 0x7f, v32
	v_cmp_ne_u32_e32 vcc, s11, v30
	v_mov_b32_e32 v36, 0x7f800001
	s_and_saveexec_b64 s[24:25], vcc
	s_cbranch_execz .LBB529_158
; %bb.157:
	v_and_b32_e32 v31, 7, v32
	v_ffbh_u32_e32 v31, v31
	v_min_u32_e32 v31, 32, v31
	v_subrev_u32_e32 v35, 28, v31
	v_cmp_gt_u32_e32 vcc, 8, v30
	v_lshrrev_b32_e32 v34, 3, v30
	v_sub_u32_e32 v31, 29, v31
	v_cndmask_b32_e32 v30, 0, v35, vcc
	v_cndmask_b32_e32 v34, v34, v31, vcc
	v_lshlrev_b64 v[30:31], v30, v[32:33]
	v_lshlrev_b32_e32 v30, 20, v30
	v_lshlrev_b32_e32 v31, 24, v32
	v_bfrev_b32_e32 v35, 60
	v_and_b32_e32 v30, 0x700000, v30
	v_and_b32_e32 v31, 0x80000000, v31
	v_lshl_add_u32 v34, v34, 23, v35
	v_or3_b32 v36, v31, v34, v30
.LBB529_158:
	s_or_b64 exec, exec, s[24:25]
.LBB529_159:
	s_or_b64 exec, exec, s[14:15]
.LBB529_160:
	s_or_b64 exec, exec, s[12:13]
	v_lshrrev_b16_e32 v30, 8, v32
	v_cmp_ne_u16_e32 vcc, 0, v30
	v_mov_b32_e32 v35, 0
	v_mov_b32_e32 v37, 0
	s_and_saveexec_b64 s[12:13], vcc
	s_cbranch_execz .LBB529_166
; %bb.161:
	s_movk_i32 s11, 0x80
	v_cmp_ne_u16_e32 vcc, s11, v30
	v_bfrev_b32_e32 v37, 1
	s_and_saveexec_b64 s[14:15], vcc
	s_cbranch_execz .LBB529_165
; %bb.162:
	s_movk_i32 s11, 0x7f
	v_and_b32_e32 v31, 0x7f, v30
	v_cmp_ne_u32_e32 vcc, s11, v31
	v_mov_b32_e32 v37, 0x7f800001
	s_and_saveexec_b64 s[24:25], vcc
	s_cbranch_execz .LBB529_164
; %bb.163:
	v_and_b32_e32 v34, 7, v30
	v_ffbh_u32_e32 v38, v34
	v_min_u32_e32 v40, 32, v38
	v_subrev_u32_e32 v38, 28, v40
	v_lshlrev_b64 v[38:39], v38, v[30:31]
	v_lshrrev_b32_e32 v37, 3, v31
	v_sub_u32_e32 v30, 29, v40
	v_and_b32_e32 v38, 7, v38
	v_cmp_gt_u32_e32 vcc, 8, v31
	v_cndmask_b32_e32 v30, v37, v30, vcc
	v_cndmask_b32_e32 v31, v34, v38, vcc
	v_lshlrev_b32_e32 v34, 16, v32
	v_bfrev_b32_e32 v37, 60
	v_lshlrev_b32_e32 v31, 20, v31
	v_and_b32_e32 v34, 0x80000000, v34
	v_lshl_add_u32 v30, v30, 23, v37
	v_or3_b32 v37, v34, v30, v31
.LBB529_164:
	s_or_b64 exec, exec, s[24:25]
.LBB529_165:
	s_or_b64 exec, exec, s[14:15]
.LBB529_166:
	s_or_b64 exec, exec, s[12:13]
	s_movk_i32 s11, 0xff
	v_and_b32_sdwa v31, v32, s11 dst_sel:DWORD dst_unused:UNUSED_PAD src0_sel:WORD_1 src1_sel:DWORD
	v_lshrrev_b32_e32 v30, 16, v32
	v_cmp_ne_u16_e32 vcc, 0, v31
	s_and_saveexec_b64 s[12:13], vcc
	s_cbranch_execz .LBB529_172
; %bb.167:
	s_movk_i32 s11, 0x80
	v_cmp_ne_u16_e32 vcc, s11, v31
	v_bfrev_b32_e32 v35, 1
	s_and_saveexec_b64 s[14:15], vcc
	s_cbranch_execz .LBB529_171
; %bb.168:
	v_bfe_u32 v31, v32, 16, 7
	s_movk_i32 s11, 0x7f
	v_cmp_ne_u32_e32 vcc, s11, v31
	v_mov_b32_e32 v35, 0x7f800001
	s_and_saveexec_b64 s[24:25], vcc
	s_cbranch_execz .LBB529_170
; %bb.169:
	v_and_b32_e32 v38, 7, v30
	v_ffbh_u32_e32 v34, v38
	v_min_u32_e32 v40, 32, v34
	v_subrev_u32_e32 v34, 28, v40
	v_lshlrev_b64 v[34:35], v34, v[30:31]
	v_and_b32_e32 v34, 7, v34
	v_cmp_gt_u32_e32 vcc, 8, v31
	v_lshrrev_b32_e32 v39, 3, v31
	v_sub_u32_e32 v30, 29, v40
	v_cndmask_b32_e32 v31, v38, v34, vcc
	v_mov_b32_e32 v34, 24
	v_cndmask_b32_e32 v30, v39, v30, vcc
	v_lshlrev_b32_sdwa v34, v34, v32 dst_sel:DWORD dst_unused:UNUSED_PAD src0_sel:DWORD src1_sel:WORD_1
	v_bfrev_b32_e32 v35, 60
	v_lshlrev_b32_e32 v31, 20, v31
	v_and_b32_e32 v34, 0x80000000, v34
	v_lshl_add_u32 v30, v30, 23, v35
	v_or3_b32 v35, v34, v30, v31
.LBB529_170:
	s_or_b64 exec, exec, s[24:25]
.LBB529_171:
	s_or_b64 exec, exec, s[14:15]
.LBB529_172:
	s_or_b64 exec, exec, s[12:13]
	s_mov_b32 s11, 0xffffff
	v_cmp_lt_u32_e32 vcc, s11, v32
	v_mov_b32_e32 v31, 0
	v_mov_b32_e32 v38, 0
	s_and_saveexec_b64 s[12:13], vcc
	s_cbranch_execz .LBB529_178
; %bb.173:
	v_lshrrev_b32_e32 v30, 24, v32
	s_movk_i32 s11, 0x80
	v_cmp_ne_u32_e32 vcc, s11, v30
	v_bfrev_b32_e32 v38, 1
	s_and_saveexec_b64 s[14:15], vcc
	s_cbranch_execz .LBB529_177
; %bb.174:
	v_bfe_u32 v34, v32, 24, 7
	s_movk_i32 s11, 0x7f
	v_cmp_ne_u32_e32 vcc, s11, v34
	v_mov_b32_e32 v38, 0x7f800001
	s_and_saveexec_b64 s[24:25], vcc
	s_cbranch_execz .LBB529_176
; %bb.175:
	v_and_b32_e32 v40, 7, v30
	v_ffbh_u32_e32 v38, v40
	v_min_u32_e32 v45, 32, v38
	v_subrev_u32_e32 v38, 28, v45
	v_lshlrev_b64 v[38:39], v38, v[30:31]
	v_lshrrev_b32_e32 v41, 3, v34
	v_sub_u32_e32 v39, 29, v45
	v_and_b32_e32 v38, 7, v38
	v_cmp_gt_u32_e32 vcc, 8, v34
	v_cndmask_b32_e32 v34, v41, v39, vcc
	v_cndmask_b32_e32 v38, v40, v38, vcc
	v_lshlrev_b32_e32 v30, 24, v30
	v_bfrev_b32_e32 v39, 60
	v_lshlrev_b32_e32 v38, 20, v38
	v_and_b32_e32 v30, 0x80000000, v30
	v_lshl_add_u32 v34, v34, 23, v39
	v_or3_b32 v38, v30, v34, v38
.LBB529_176:
	s_or_b64 exec, exec, s[24:25]
.LBB529_177:
	s_or_b64 exec, exec, s[14:15]
.LBB529_178:
	s_or_b64 exec, exec, s[12:13]
	v_mov_b32_e32 v30, v33
	v_cmp_ne_u16_sdwa s[14:15], v33, v31 src0_sel:BYTE_0 src1_sel:DWORD
	s_and_saveexec_b64 s[12:13], s[14:15]
	s_cbranch_execz .LBB529_184
; %bb.179:
	s_movk_i32 s11, 0x80
	v_cmp_ne_u16_sdwa s[24:25], v33, s11 src0_sel:BYTE_0 src1_sel:DWORD
	v_bfrev_b32_e32 v34, 1
	s_and_saveexec_b64 s[14:15], s[24:25]
	s_cbranch_execz .LBB529_183
; %bb.180:
	s_movk_i32 s11, 0x7f
	v_and_b32_e32 v39, 0x7f, v33
	v_cmp_ne_u32_e32 vcc, s11, v39
	v_mov_b32_e32 v34, 0x7f800001
	s_and_saveexec_b64 s[24:25], vcc
	s_cbranch_execz .LBB529_182
; %bb.181:
	v_and_b32_e32 v34, 7, v33
	v_ffbh_u32_e32 v34, v34
	v_min_u32_e32 v34, 32, v34
	v_subrev_u32_e32 v41, 28, v34
	v_cmp_gt_u32_e32 vcc, 8, v39
	v_lshrrev_b32_e32 v40, 3, v39
	v_sub_u32_e32 v34, 29, v34
	v_cndmask_b32_e32 v39, 0, v41, vcc
	v_cndmask_b32_e32 v34, v40, v34, vcc
	v_lshlrev_b64 v[40:41], v39, v[30:31]
	v_lshlrev_b32_e32 v31, 20, v40
	v_lshlrev_b32_e32 v39, 24, v30
	v_bfrev_b32_e32 v40, 60
	v_and_b32_e32 v31, 0x700000, v31
	v_and_b32_e32 v39, 0x80000000, v39
	v_lshl_add_u32 v34, v34, 23, v40
	v_or3_b32 v34, v39, v34, v31
.LBB529_182:
	s_or_b64 exec, exec, s[24:25]
.LBB529_183:
	s_or_b64 exec, exec, s[14:15]
	v_mov_b32_e32 v31, v34
.LBB529_184:
	s_or_b64 exec, exec, s[12:13]
	v_lshrrev_b16_e32 v34, 8, v30
	v_cmp_ne_u16_e32 vcc, 0, v34
	v_mov_b32_e32 v39, 0
	v_mov_b32_e32 v40, 0
	s_and_saveexec_b64 s[12:13], vcc
	s_cbranch_execz .LBB529_190
; %bb.185:
	s_movk_i32 s11, 0x80
	v_cmp_ne_u16_e32 vcc, s11, v34
	v_bfrev_b32_e32 v40, 1
	s_and_saveexec_b64 s[14:15], vcc
	s_cbranch_execz .LBB529_189
; %bb.186:
	s_movk_i32 s11, 0x7f
	v_and_b32_e32 v41, 0x7f, v34
	v_cmp_ne_u32_e32 vcc, s11, v41
	v_mov_b32_e32 v40, 0x7f800001
	s_and_saveexec_b64 s[24:25], vcc
	s_cbranch_execz .LBB529_188
; %bb.187:
	v_and_b32_e32 v40, 7, v34
	v_ffbh_u32_e32 v46, v40
	v_min_u32_e32 v48, 32, v46
	v_subrev_u32_e32 v46, 28, v48
	v_lshlrev_b64 v[46:47], v46, v[34:35]
	v_lshrrev_b32_e32 v45, 3, v41
	v_sub_u32_e32 v34, 29, v48
	v_and_b32_e32 v46, 7, v46
	v_cmp_gt_u32_e32 vcc, 8, v41
	v_cndmask_b32_e32 v34, v45, v34, vcc
	v_cndmask_b32_e32 v40, v40, v46, vcc
	v_lshlrev_b32_e32 v30, 16, v30
	v_bfrev_b32_e32 v41, 60
	v_lshlrev_b32_e32 v40, 20, v40
	v_and_b32_e32 v30, 0x80000000, v30
	v_lshl_add_u32 v34, v34, 23, v41
	v_or3_b32 v40, v30, v34, v40
.LBB529_188:
	s_or_b64 exec, exec, s[24:25]
.LBB529_189:
	s_or_b64 exec, exec, s[14:15]
.LBB529_190:
	s_or_b64 exec, exec, s[12:13]
	s_movk_i32 s11, 0xff
	v_and_b32_sdwa v34, v33, s11 dst_sel:DWORD dst_unused:UNUSED_PAD src0_sel:WORD_1 src1_sel:DWORD
	v_lshrrev_b32_e32 v30, 16, v33
	v_cmp_ne_u16_e32 vcc, 0, v34
	s_and_saveexec_b64 s[12:13], vcc
	s_cbranch_execz .LBB529_196
; %bb.191:
	s_movk_i32 s11, 0x80
	v_cmp_ne_u16_e32 vcc, s11, v34
	v_bfrev_b32_e32 v39, 1
	s_and_saveexec_b64 s[14:15], vcc
	s_cbranch_execz .LBB529_195
; %bb.192:
	v_bfe_u32 v34, v33, 16, 7
	s_movk_i32 s11, 0x7f
	v_cmp_ne_u32_e32 vcc, s11, v34
	v_mov_b32_e32 v39, 0x7f800001
	s_and_saveexec_b64 s[24:25], vcc
	s_cbranch_execz .LBB529_194
; %bb.193:
	v_and_b32_e32 v39, 7, v30
	v_ffbh_u32_e32 v45, v39
	v_min_u32_e32 v45, 32, v45
	v_subrev_u32_e32 v46, 28, v45
	v_lshlrev_b64 v[46:47], v46, v[30:31]
	v_sub_u32_e32 v30, 29, v45
	v_and_b32_e32 v45, 7, v46
	v_cmp_gt_u32_e32 vcc, 8, v34
	v_lshrrev_b32_e32 v41, 3, v34
	v_cndmask_b32_e32 v34, v39, v45, vcc
	v_mov_b32_e32 v39, 24
	v_cndmask_b32_e32 v30, v41, v30, vcc
	v_lshlrev_b32_sdwa v39, v39, v33 dst_sel:DWORD dst_unused:UNUSED_PAD src0_sel:DWORD src1_sel:WORD_1
	v_bfrev_b32_e32 v41, 60
	v_lshlrev_b32_e32 v34, 20, v34
	v_and_b32_e32 v39, 0x80000000, v39
	v_lshl_add_u32 v30, v30, 23, v41
	v_or3_b32 v39, v39, v30, v34
.LBB529_194:
	s_or_b64 exec, exec, s[24:25]
.LBB529_195:
	s_or_b64 exec, exec, s[14:15]
.LBB529_196:
	s_or_b64 exec, exec, s[12:13]
	s_mov_b32 s12, -1
	s_mov_b32 s13, 0xffffff
	v_cmp_lt_u64_e32 vcc, s[12:13], v[32:33]
	v_mov_b32_e32 v34, 0
	v_mov_b32_e32 v32, 0
	s_and_saveexec_b64 s[12:13], vcc
	s_cbranch_execz .LBB529_202
; %bb.197:
	v_lshrrev_b32_e32 v30, 24, v33
	s_movk_i32 s11, 0x80
	v_cmp_ne_u32_e32 vcc, s11, v30
	v_bfrev_b32_e32 v32, 1
	s_and_saveexec_b64 s[14:15], vcc
	s_cbranch_execz .LBB529_201
; %bb.198:
	v_bfe_u32 v33, v33, 24, 7
	s_movk_i32 s11, 0x7f
	v_cmp_ne_u32_e32 vcc, s11, v33
	v_mov_b32_e32 v32, 0x7f800001
	s_and_saveexec_b64 s[24:25], vcc
	s_cbranch_execz .LBB529_200
; %bb.199:
	v_and_b32_e32 v32, 7, v30
	v_ffbh_u32_e32 v45, v32
	v_min_u32_e32 v45, 32, v45
	v_subrev_u32_e32 v46, 28, v45
	v_lshlrev_b64 v[46:47], v46, v[30:31]
	v_lshrrev_b32_e32 v41, 3, v33
	v_sub_u32_e32 v45, 29, v45
	v_and_b32_e32 v46, 7, v46
	v_cmp_gt_u32_e32 vcc, 8, v33
	v_cndmask_b32_e32 v33, v41, v45, vcc
	v_cndmask_b32_e32 v32, v32, v46, vcc
	v_lshlrev_b32_e32 v30, 24, v30
	v_bfrev_b32_e32 v41, 60
	v_lshlrev_b32_e32 v32, 20, v32
	v_and_b32_e32 v30, 0x80000000, v30
	v_lshl_add_u32 v33, v33, 23, v41
	v_or3_b32 v32, v30, v33, v32
.LBB529_200:
	s_or_b64 exec, exec, s[24:25]
.LBB529_201:
	s_or_b64 exec, exec, s[14:15]
.LBB529_202:
	s_or_b64 exec, exec, s[12:13]
	v_cvt_pkrtz_f16_f32 v36, v36, v37
	v_cvt_pkrtz_f16_f32 v37, v35, v38
	;; [unrolled: 1-line block ×4, first 2 shown]
	v_mfma_f32_4x4x4f16 a[0:3], v[2:3], v[36:37], a[0:3] cbsz:4 abid:3
	v_cmp_ne_u16_sdwa s[14:15], v26, v34 src0_sel:BYTE_0 src1_sel:DWORD
	v_mfma_f32_4x4x4f16 a[0:3], v[4:5], v[30:31], a[0:3] cbsz:4 abid:3
	s_and_saveexec_b64 s[12:13], s[14:15]
	s_cbranch_execz .LBB529_208
; %bb.203:
	s_movk_i32 s11, 0x80
	v_cmp_ne_u16_sdwa s[24:25], v26, s11 src0_sel:BYTE_0 src1_sel:DWORD
	v_bfrev_b32_e32 v34, 1
	s_and_saveexec_b64 s[14:15], s[24:25]
	s_cbranch_execz .LBB529_207
; %bb.204:
	s_movk_i32 s11, 0x7f
	v_and_b32_e32 v30, 0x7f, v26
	v_cmp_ne_u32_e32 vcc, s11, v30
	v_mov_b32_e32 v34, 0x7f800001
	s_and_saveexec_b64 s[24:25], vcc
	s_cbranch_execz .LBB529_206
; %bb.205:
	v_and_b32_e32 v31, 7, v26
	v_ffbh_u32_e32 v31, v31
	v_min_u32_e32 v31, 32, v31
	v_subrev_u32_e32 v33, 28, v31
	v_cmp_gt_u32_e32 vcc, 8, v30
	v_lshrrev_b32_e32 v32, 3, v30
	v_sub_u32_e32 v31, 29, v31
	v_cndmask_b32_e32 v30, 0, v33, vcc
	v_cndmask_b32_e32 v32, v32, v31, vcc
	v_lshlrev_b64 v[30:31], v30, v[26:27]
	v_lshlrev_b32_e32 v30, 20, v30
	v_lshlrev_b32_e32 v31, 24, v26
	v_bfrev_b32_e32 v33, 60
	v_and_b32_e32 v30, 0x700000, v30
	v_and_b32_e32 v31, 0x80000000, v31
	v_lshl_add_u32 v32, v32, 23, v33
	v_or3_b32 v34, v31, v32, v30
.LBB529_206:
	s_or_b64 exec, exec, s[24:25]
.LBB529_207:
	s_or_b64 exec, exec, s[14:15]
.LBB529_208:
	s_or_b64 exec, exec, s[12:13]
	v_lshrrev_b16_e32 v30, 8, v26
	v_cmp_ne_u16_e32 vcc, 0, v30
	v_mov_b32_e32 v33, 0
	v_mov_b32_e32 v35, 0
	s_and_saveexec_b64 s[12:13], vcc
	s_cbranch_execz .LBB529_214
; %bb.209:
	s_movk_i32 s11, 0x80
	v_cmp_ne_u16_e32 vcc, s11, v30
	v_bfrev_b32_e32 v35, 1
	s_and_saveexec_b64 s[14:15], vcc
	s_cbranch_execz .LBB529_213
; %bb.210:
	s_movk_i32 s11, 0x7f
	v_and_b32_e32 v31, 0x7f, v30
	v_cmp_ne_u32_e32 vcc, s11, v31
	v_mov_b32_e32 v35, 0x7f800001
	s_and_saveexec_b64 s[24:25], vcc
	s_cbranch_execz .LBB529_212
; %bb.211:
	v_and_b32_e32 v32, 7, v30
	v_ffbh_u32_e32 v36, v32
	v_min_u32_e32 v38, 32, v36
	v_subrev_u32_e32 v36, 28, v38
	v_lshlrev_b64 v[36:37], v36, v[30:31]
	v_lshrrev_b32_e32 v35, 3, v31
	v_sub_u32_e32 v30, 29, v38
	v_and_b32_e32 v36, 7, v36
	v_cmp_gt_u32_e32 vcc, 8, v31
	v_cndmask_b32_e32 v30, v35, v30, vcc
	v_cndmask_b32_e32 v31, v32, v36, vcc
	v_lshlrev_b32_e32 v32, 16, v26
	v_bfrev_b32_e32 v35, 60
	v_lshlrev_b32_e32 v31, 20, v31
	v_and_b32_e32 v32, 0x80000000, v32
	v_lshl_add_u32 v30, v30, 23, v35
	v_or3_b32 v35, v32, v30, v31
.LBB529_212:
	s_or_b64 exec, exec, s[24:25]
.LBB529_213:
	s_or_b64 exec, exec, s[14:15]
.LBB529_214:
	s_or_b64 exec, exec, s[12:13]
	s_movk_i32 s11, 0xff
	v_and_b32_sdwa v31, v26, s11 dst_sel:DWORD dst_unused:UNUSED_PAD src0_sel:WORD_1 src1_sel:DWORD
	v_lshrrev_b32_e32 v30, 16, v26
	v_cmp_ne_u16_e32 vcc, 0, v31
	s_and_saveexec_b64 s[12:13], vcc
	s_cbranch_execz .LBB529_220
; %bb.215:
	s_movk_i32 s11, 0x80
	v_cmp_ne_u16_e32 vcc, s11, v31
	v_bfrev_b32_e32 v33, 1
	s_and_saveexec_b64 s[14:15], vcc
	s_cbranch_execz .LBB529_219
; %bb.216:
	v_bfe_u32 v31, v26, 16, 7
	s_movk_i32 s11, 0x7f
	v_cmp_ne_u32_e32 vcc, s11, v31
	v_mov_b32_e32 v33, 0x7f800001
	s_and_saveexec_b64 s[24:25], vcc
	s_cbranch_execz .LBB529_218
; %bb.217:
	v_and_b32_e32 v36, 7, v30
	v_ffbh_u32_e32 v32, v36
	v_min_u32_e32 v38, 32, v32
	v_subrev_u32_e32 v32, 28, v38
	v_lshlrev_b64 v[32:33], v32, v[30:31]
	v_and_b32_e32 v32, 7, v32
	v_cmp_gt_u32_e32 vcc, 8, v31
	v_lshrrev_b32_e32 v37, 3, v31
	v_sub_u32_e32 v30, 29, v38
	v_cndmask_b32_e32 v31, v36, v32, vcc
	v_mov_b32_e32 v32, 24
	v_cndmask_b32_e32 v30, v37, v30, vcc
	v_lshlrev_b32_sdwa v32, v32, v26 dst_sel:DWORD dst_unused:UNUSED_PAD src0_sel:DWORD src1_sel:WORD_1
	v_bfrev_b32_e32 v33, 60
	v_lshlrev_b32_e32 v31, 20, v31
	v_and_b32_e32 v32, 0x80000000, v32
	v_lshl_add_u32 v30, v30, 23, v33
	v_or3_b32 v33, v32, v30, v31
.LBB529_218:
	s_or_b64 exec, exec, s[24:25]
.LBB529_219:
	s_or_b64 exec, exec, s[14:15]
.LBB529_220:
	s_or_b64 exec, exec, s[12:13]
	s_mov_b32 s11, 0xffffff
	v_cmp_lt_u32_e32 vcc, s11, v26
	v_mov_b32_e32 v31, 0
	v_mov_b32_e32 v36, 0
	s_and_saveexec_b64 s[12:13], vcc
	s_cbranch_execz .LBB529_226
; %bb.221:
	v_lshrrev_b32_e32 v30, 24, v26
	s_movk_i32 s11, 0x80
	v_cmp_ne_u32_e32 vcc, s11, v30
	v_bfrev_b32_e32 v36, 1
	s_and_saveexec_b64 s[14:15], vcc
	s_cbranch_execz .LBB529_225
; %bb.222:
	v_bfe_u32 v32, v26, 24, 7
	s_movk_i32 s11, 0x7f
	v_cmp_ne_u32_e32 vcc, s11, v32
	v_mov_b32_e32 v36, 0x7f800001
	s_and_saveexec_b64 s[24:25], vcc
	s_cbranch_execz .LBB529_224
; %bb.223:
	v_and_b32_e32 v38, 7, v30
	v_ffbh_u32_e32 v36, v38
	v_min_u32_e32 v40, 32, v36
	v_subrev_u32_e32 v36, 28, v40
	v_lshlrev_b64 v[36:37], v36, v[30:31]
	v_lshrrev_b32_e32 v39, 3, v32
	v_sub_u32_e32 v37, 29, v40
	v_and_b32_e32 v36, 7, v36
	v_cmp_gt_u32_e32 vcc, 8, v32
	v_cndmask_b32_e32 v32, v39, v37, vcc
	v_cndmask_b32_e32 v36, v38, v36, vcc
	v_lshlrev_b32_e32 v30, 24, v30
	v_bfrev_b32_e32 v37, 60
	v_lshlrev_b32_e32 v36, 20, v36
	v_and_b32_e32 v30, 0x80000000, v30
	v_lshl_add_u32 v32, v32, 23, v37
	v_or3_b32 v36, v30, v32, v36
.LBB529_224:
	s_or_b64 exec, exec, s[24:25]
.LBB529_225:
	s_or_b64 exec, exec, s[14:15]
.LBB529_226:
	s_or_b64 exec, exec, s[12:13]
	v_mov_b32_e32 v30, v27
	v_cmp_ne_u16_sdwa s[14:15], v27, v31 src0_sel:BYTE_0 src1_sel:DWORD
	s_and_saveexec_b64 s[12:13], s[14:15]
	s_cbranch_execz .LBB529_232
; %bb.227:
	s_movk_i32 s11, 0x80
	v_cmp_ne_u16_sdwa s[24:25], v27, s11 src0_sel:BYTE_0 src1_sel:DWORD
	v_bfrev_b32_e32 v32, 1
	s_and_saveexec_b64 s[14:15], s[24:25]
	s_cbranch_execz .LBB529_231
; %bb.228:
	s_movk_i32 s11, 0x7f
	v_and_b32_e32 v37, 0x7f, v27
	v_cmp_ne_u32_e32 vcc, s11, v37
	v_mov_b32_e32 v32, 0x7f800001
	s_and_saveexec_b64 s[24:25], vcc
	s_cbranch_execz .LBB529_230
; %bb.229:
	v_and_b32_e32 v32, 7, v27
	v_ffbh_u32_e32 v32, v32
	v_min_u32_e32 v32, 32, v32
	v_subrev_u32_e32 v39, 28, v32
	v_cmp_gt_u32_e32 vcc, 8, v37
	v_lshrrev_b32_e32 v38, 3, v37
	v_sub_u32_e32 v32, 29, v32
	v_cndmask_b32_e32 v37, 0, v39, vcc
	v_cndmask_b32_e32 v32, v38, v32, vcc
	v_lshlrev_b64 v[38:39], v37, v[30:31]
	v_lshlrev_b32_e32 v31, 20, v38
	v_lshlrev_b32_e32 v37, 24, v30
	v_bfrev_b32_e32 v38, 60
	v_and_b32_e32 v31, 0x700000, v31
	v_and_b32_e32 v37, 0x80000000, v37
	v_lshl_add_u32 v32, v32, 23, v38
	v_or3_b32 v32, v37, v32, v31
.LBB529_230:
	s_or_b64 exec, exec, s[24:25]
.LBB529_231:
	s_or_b64 exec, exec, s[14:15]
	v_mov_b32_e32 v31, v32
.LBB529_232:
	s_or_b64 exec, exec, s[12:13]
	v_lshrrev_b16_e32 v32, 8, v30
	v_cmp_ne_u16_e32 vcc, 0, v32
	v_mov_b32_e32 v37, 0
	v_mov_b32_e32 v38, 0
	s_and_saveexec_b64 s[12:13], vcc
	s_cbranch_execz .LBB529_238
; %bb.233:
	s_movk_i32 s11, 0x80
	v_cmp_ne_u16_e32 vcc, s11, v32
	v_bfrev_b32_e32 v38, 1
	s_and_saveexec_b64 s[14:15], vcc
	s_cbranch_execz .LBB529_237
; %bb.234:
	s_movk_i32 s11, 0x7f
	v_and_b32_e32 v39, 0x7f, v32
	v_cmp_ne_u32_e32 vcc, s11, v39
	v_mov_b32_e32 v38, 0x7f800001
	s_and_saveexec_b64 s[24:25], vcc
	s_cbranch_execz .LBB529_236
; %bb.235:
	v_and_b32_e32 v38, 7, v32
	v_ffbh_u32_e32 v40, v38
	v_min_u32_e32 v46, 32, v40
	v_subrev_u32_e32 v40, 28, v46
	v_lshlrev_b64 v[40:41], v40, v[32:33]
	v_lshrrev_b32_e32 v45, 3, v39
	v_sub_u32_e32 v32, 29, v46
	v_and_b32_e32 v40, 7, v40
	v_cmp_gt_u32_e32 vcc, 8, v39
	v_cndmask_b32_e32 v32, v45, v32, vcc
	v_cndmask_b32_e32 v38, v38, v40, vcc
	v_lshlrev_b32_e32 v30, 16, v30
	v_bfrev_b32_e32 v39, 60
	v_lshlrev_b32_e32 v38, 20, v38
	v_and_b32_e32 v30, 0x80000000, v30
	v_lshl_add_u32 v32, v32, 23, v39
	v_or3_b32 v38, v30, v32, v38
.LBB529_236:
	s_or_b64 exec, exec, s[24:25]
.LBB529_237:
	s_or_b64 exec, exec, s[14:15]
.LBB529_238:
	s_or_b64 exec, exec, s[12:13]
	s_movk_i32 s11, 0xff
	v_and_b32_sdwa v32, v27, s11 dst_sel:DWORD dst_unused:UNUSED_PAD src0_sel:WORD_1 src1_sel:DWORD
	v_lshrrev_b32_e32 v30, 16, v27
	v_cmp_ne_u16_e32 vcc, 0, v32
	s_and_saveexec_b64 s[12:13], vcc
	s_cbranch_execz .LBB529_244
; %bb.239:
	s_movk_i32 s11, 0x80
	v_cmp_ne_u16_e32 vcc, s11, v32
	v_bfrev_b32_e32 v37, 1
	s_and_saveexec_b64 s[14:15], vcc
	s_cbranch_execz .LBB529_243
; %bb.240:
	v_bfe_u32 v32, v27, 16, 7
	s_movk_i32 s11, 0x7f
	v_cmp_ne_u32_e32 vcc, s11, v32
	v_mov_b32_e32 v37, 0x7f800001
	s_and_saveexec_b64 s[24:25], vcc
	s_cbranch_execz .LBB529_242
; %bb.241:
	v_and_b32_e32 v37, 7, v30
	v_ffbh_u32_e32 v40, v37
	v_min_u32_e32 v45, 32, v40
	v_subrev_u32_e32 v40, 28, v45
	v_lshlrev_b64 v[40:41], v40, v[30:31]
	v_and_b32_e32 v40, 7, v40
	v_cmp_gt_u32_e32 vcc, 8, v32
	v_lshrrev_b32_e32 v39, 3, v32
	v_sub_u32_e32 v30, 29, v45
	v_cndmask_b32_e32 v32, v37, v40, vcc
	v_mov_b32_e32 v37, 24
	v_cndmask_b32_e32 v30, v39, v30, vcc
	v_lshlrev_b32_sdwa v37, v37, v27 dst_sel:DWORD dst_unused:UNUSED_PAD src0_sel:DWORD src1_sel:WORD_1
	v_bfrev_b32_e32 v39, 60
	v_lshlrev_b32_e32 v32, 20, v32
	v_and_b32_e32 v37, 0x80000000, v37
	v_lshl_add_u32 v30, v30, 23, v39
	v_or3_b32 v37, v37, v30, v32
.LBB529_242:
	s_or_b64 exec, exec, s[24:25]
.LBB529_243:
	s_or_b64 exec, exec, s[14:15]
.LBB529_244:
	s_or_b64 exec, exec, s[12:13]
	s_mov_b32 s12, -1
	s_mov_b32 s13, 0xffffff
	v_cmp_lt_u64_e32 vcc, s[12:13], v[26:27]
	v_mov_b32_e32 v32, 0
	v_mov_b32_e32 v30, 0
	s_and_saveexec_b64 s[12:13], vcc
	s_cbranch_execz .LBB529_250
; %bb.245:
	v_lshrrev_b32_e32 v26, 24, v27
	s_movk_i32 s11, 0x80
	v_cmp_ne_u32_e32 vcc, s11, v26
	v_bfrev_b32_e32 v30, 1
	s_and_saveexec_b64 s[14:15], vcc
	s_cbranch_execz .LBB529_249
; %bb.246:
	v_bfe_u32 v27, v27, 24, 7
	s_movk_i32 s11, 0x7f
	v_cmp_ne_u32_e32 vcc, s11, v27
	v_mov_b32_e32 v30, 0x7f800001
	s_and_saveexec_b64 s[24:25], vcc
	s_cbranch_execz .LBB529_248
; %bb.247:
	v_and_b32_e32 v30, 7, v26
	v_ffbh_u32_e32 v40, v30
	v_min_u32_e32 v45, 32, v40
	v_subrev_u32_e32 v40, 28, v45
	v_lshlrev_b64 v[40:41], v40, v[26:27]
	v_lshrrev_b32_e32 v39, 3, v27
	v_sub_u32_e32 v41, 29, v45
	v_and_b32_e32 v40, 7, v40
	v_cmp_gt_u32_e32 vcc, 8, v27
	v_cndmask_b32_e32 v27, v39, v41, vcc
	v_cndmask_b32_e32 v30, v30, v40, vcc
	v_lshlrev_b32_e32 v26, 24, v26
	v_bfrev_b32_e32 v39, 60
	v_lshlrev_b32_e32 v30, 20, v30
	v_and_b32_e32 v26, 0x80000000, v26
	v_lshl_add_u32 v27, v27, 23, v39
	v_or3_b32 v30, v26, v27, v30
.LBB529_248:
	s_or_b64 exec, exec, s[24:25]
.LBB529_249:
	s_or_b64 exec, exec, s[14:15]
.LBB529_250:
	s_or_b64 exec, exec, s[12:13]
	v_cvt_pkrtz_f16_f32 v26, v34, v35
	v_cvt_pkrtz_f16_f32 v27, v33, v36
	;; [unrolled: 1-line block ×4, first 2 shown]
	v_mfma_f32_4x4x4f16 a[0:3], v[2:3], v[26:27], a[0:3] cbsz:4 abid:4
	v_cmp_ne_u16_sdwa s[14:15], v28, v32 src0_sel:BYTE_0 src1_sel:DWORD
	v_mfma_f32_4x4x4f16 a[0:3], v[4:5], v[34:35], a[0:3] cbsz:4 abid:4
	s_and_saveexec_b64 s[12:13], s[14:15]
	s_cbranch_execz .LBB529_256
; %bb.251:
	s_movk_i32 s11, 0x80
	v_cmp_ne_u16_sdwa s[24:25], v28, s11 src0_sel:BYTE_0 src1_sel:DWORD
	v_bfrev_b32_e32 v32, 1
	s_and_saveexec_b64 s[14:15], s[24:25]
	s_cbranch_execz .LBB529_255
; %bb.252:
	s_movk_i32 s11, 0x7f
	v_and_b32_e32 v26, 0x7f, v28
	v_cmp_ne_u32_e32 vcc, s11, v26
	v_mov_b32_e32 v32, 0x7f800001
	s_and_saveexec_b64 s[24:25], vcc
	s_cbranch_execz .LBB529_254
; %bb.253:
	v_and_b32_e32 v27, 7, v28
	v_ffbh_u32_e32 v27, v27
	v_min_u32_e32 v27, 32, v27
	v_subrev_u32_e32 v31, 28, v27
	v_cmp_gt_u32_e32 vcc, 8, v26
	v_lshrrev_b32_e32 v30, 3, v26
	v_sub_u32_e32 v27, 29, v27
	v_cndmask_b32_e32 v26, 0, v31, vcc
	v_cndmask_b32_e32 v30, v30, v27, vcc
	v_lshlrev_b64 v[26:27], v26, v[28:29]
	v_lshlrev_b32_e32 v26, 20, v26
	v_lshlrev_b32_e32 v27, 24, v28
	v_bfrev_b32_e32 v31, 60
	v_and_b32_e32 v26, 0x700000, v26
	v_and_b32_e32 v27, 0x80000000, v27
	v_lshl_add_u32 v30, v30, 23, v31
	v_or3_b32 v32, v27, v30, v26
.LBB529_254:
	s_or_b64 exec, exec, s[24:25]
.LBB529_255:
	s_or_b64 exec, exec, s[14:15]
.LBB529_256:
	s_or_b64 exec, exec, s[12:13]
	v_lshrrev_b16_e32 v26, 8, v28
	v_cmp_ne_u16_e32 vcc, 0, v26
	v_mov_b32_e32 v31, 0
	v_mov_b32_e32 v33, 0
	s_and_saveexec_b64 s[12:13], vcc
	s_cbranch_execz .LBB529_262
; %bb.257:
	s_movk_i32 s11, 0x80
	v_cmp_ne_u16_e32 vcc, s11, v26
	v_bfrev_b32_e32 v33, 1
	s_and_saveexec_b64 s[14:15], vcc
	s_cbranch_execz .LBB529_261
; %bb.258:
	s_movk_i32 s11, 0x7f
	v_and_b32_e32 v27, 0x7f, v26
	v_cmp_ne_u32_e32 vcc, s11, v27
	v_mov_b32_e32 v33, 0x7f800001
	s_and_saveexec_b64 s[24:25], vcc
	s_cbranch_execz .LBB529_260
; %bb.259:
	v_and_b32_e32 v30, 7, v26
	v_ffbh_u32_e32 v34, v30
	v_min_u32_e32 v36, 32, v34
	v_subrev_u32_e32 v34, 28, v36
	v_lshlrev_b64 v[34:35], v34, v[26:27]
	v_lshrrev_b32_e32 v33, 3, v27
	v_sub_u32_e32 v26, 29, v36
	v_and_b32_e32 v34, 7, v34
	v_cmp_gt_u32_e32 vcc, 8, v27
	v_cndmask_b32_e32 v26, v33, v26, vcc
	v_cndmask_b32_e32 v27, v30, v34, vcc
	v_lshlrev_b32_e32 v30, 16, v28
	v_bfrev_b32_e32 v33, 60
	v_lshlrev_b32_e32 v27, 20, v27
	v_and_b32_e32 v30, 0x80000000, v30
	v_lshl_add_u32 v26, v26, 23, v33
	v_or3_b32 v33, v30, v26, v27
.LBB529_260:
	s_or_b64 exec, exec, s[24:25]
.LBB529_261:
	s_or_b64 exec, exec, s[14:15]
.LBB529_262:
	s_or_b64 exec, exec, s[12:13]
	s_movk_i32 s11, 0xff
	v_and_b32_sdwa v27, v28, s11 dst_sel:DWORD dst_unused:UNUSED_PAD src0_sel:WORD_1 src1_sel:DWORD
	v_lshrrev_b32_e32 v26, 16, v28
	v_cmp_ne_u16_e32 vcc, 0, v27
	s_and_saveexec_b64 s[12:13], vcc
	s_cbranch_execz .LBB529_268
; %bb.263:
	s_movk_i32 s11, 0x80
	v_cmp_ne_u16_e32 vcc, s11, v27
	v_bfrev_b32_e32 v31, 1
	s_and_saveexec_b64 s[14:15], vcc
	s_cbranch_execz .LBB529_267
; %bb.264:
	v_bfe_u32 v27, v28, 16, 7
	s_movk_i32 s11, 0x7f
	v_cmp_ne_u32_e32 vcc, s11, v27
	v_mov_b32_e32 v31, 0x7f800001
	s_and_saveexec_b64 s[24:25], vcc
	s_cbranch_execz .LBB529_266
; %bb.265:
	v_and_b32_e32 v34, 7, v26
	v_ffbh_u32_e32 v30, v34
	v_min_u32_e32 v36, 32, v30
	v_subrev_u32_e32 v30, 28, v36
	v_lshlrev_b64 v[30:31], v30, v[26:27]
	v_and_b32_e32 v30, 7, v30
	v_cmp_gt_u32_e32 vcc, 8, v27
	v_lshrrev_b32_e32 v35, 3, v27
	v_sub_u32_e32 v26, 29, v36
	v_cndmask_b32_e32 v27, v34, v30, vcc
	v_mov_b32_e32 v30, 24
	v_cndmask_b32_e32 v26, v35, v26, vcc
	v_lshlrev_b32_sdwa v30, v30, v28 dst_sel:DWORD dst_unused:UNUSED_PAD src0_sel:DWORD src1_sel:WORD_1
	v_bfrev_b32_e32 v31, 60
	v_lshlrev_b32_e32 v27, 20, v27
	v_and_b32_e32 v30, 0x80000000, v30
	v_lshl_add_u32 v26, v26, 23, v31
	v_or3_b32 v31, v30, v26, v27
.LBB529_266:
	s_or_b64 exec, exec, s[24:25]
.LBB529_267:
	s_or_b64 exec, exec, s[14:15]
.LBB529_268:
	s_or_b64 exec, exec, s[12:13]
	s_mov_b32 s11, 0xffffff
	v_cmp_lt_u32_e32 vcc, s11, v28
	v_mov_b32_e32 v27, 0
	v_mov_b32_e32 v34, 0
	s_and_saveexec_b64 s[12:13], vcc
	s_cbranch_execz .LBB529_274
; %bb.269:
	v_lshrrev_b32_e32 v26, 24, v28
	s_movk_i32 s11, 0x80
	v_cmp_ne_u32_e32 vcc, s11, v26
	v_bfrev_b32_e32 v34, 1
	s_and_saveexec_b64 s[14:15], vcc
	s_cbranch_execz .LBB529_273
; %bb.270:
	v_bfe_u32 v30, v28, 24, 7
	s_movk_i32 s11, 0x7f
	v_cmp_ne_u32_e32 vcc, s11, v30
	v_mov_b32_e32 v34, 0x7f800001
	s_and_saveexec_b64 s[24:25], vcc
	s_cbranch_execz .LBB529_272
; %bb.271:
	v_and_b32_e32 v36, 7, v26
	v_ffbh_u32_e32 v34, v36
	v_min_u32_e32 v38, 32, v34
	v_subrev_u32_e32 v34, 28, v38
	v_lshlrev_b64 v[34:35], v34, v[26:27]
	v_lshrrev_b32_e32 v37, 3, v30
	v_sub_u32_e32 v35, 29, v38
	v_and_b32_e32 v34, 7, v34
	v_cmp_gt_u32_e32 vcc, 8, v30
	v_cndmask_b32_e32 v30, v37, v35, vcc
	v_cndmask_b32_e32 v34, v36, v34, vcc
	v_lshlrev_b32_e32 v26, 24, v26
	v_bfrev_b32_e32 v35, 60
	v_lshlrev_b32_e32 v34, 20, v34
	v_and_b32_e32 v26, 0x80000000, v26
	v_lshl_add_u32 v30, v30, 23, v35
	v_or3_b32 v34, v26, v30, v34
.LBB529_272:
	s_or_b64 exec, exec, s[24:25]
.LBB529_273:
	s_or_b64 exec, exec, s[14:15]
.LBB529_274:
	s_or_b64 exec, exec, s[12:13]
	v_mov_b32_e32 v26, v29
	v_cmp_ne_u16_sdwa s[14:15], v29, v27 src0_sel:BYTE_0 src1_sel:DWORD
	s_and_saveexec_b64 s[12:13], s[14:15]
	s_cbranch_execz .LBB529_280
; %bb.275:
	s_movk_i32 s11, 0x80
	v_cmp_ne_u16_sdwa s[24:25], v29, s11 src0_sel:BYTE_0 src1_sel:DWORD
	v_bfrev_b32_e32 v30, 1
	s_and_saveexec_b64 s[14:15], s[24:25]
	s_cbranch_execz .LBB529_279
; %bb.276:
	s_movk_i32 s11, 0x7f
	v_and_b32_e32 v35, 0x7f, v29
	v_cmp_ne_u32_e32 vcc, s11, v35
	v_mov_b32_e32 v30, 0x7f800001
	s_and_saveexec_b64 s[24:25], vcc
	s_cbranch_execz .LBB529_278
; %bb.277:
	v_and_b32_e32 v30, 7, v29
	v_ffbh_u32_e32 v30, v30
	v_min_u32_e32 v30, 32, v30
	v_subrev_u32_e32 v37, 28, v30
	v_cmp_gt_u32_e32 vcc, 8, v35
	v_lshrrev_b32_e32 v36, 3, v35
	v_sub_u32_e32 v30, 29, v30
	v_cndmask_b32_e32 v35, 0, v37, vcc
	v_cndmask_b32_e32 v30, v36, v30, vcc
	v_lshlrev_b64 v[36:37], v35, v[26:27]
	v_lshlrev_b32_e32 v27, 20, v36
	v_lshlrev_b32_e32 v35, 24, v26
	v_bfrev_b32_e32 v36, 60
	v_and_b32_e32 v27, 0x700000, v27
	v_and_b32_e32 v35, 0x80000000, v35
	v_lshl_add_u32 v30, v30, 23, v36
	v_or3_b32 v30, v35, v30, v27
.LBB529_278:
	s_or_b64 exec, exec, s[24:25]
.LBB529_279:
	s_or_b64 exec, exec, s[14:15]
	v_mov_b32_e32 v27, v30
.LBB529_280:
	s_or_b64 exec, exec, s[12:13]
	v_lshrrev_b16_e32 v30, 8, v26
	v_cmp_ne_u16_e32 vcc, 0, v30
	v_mov_b32_e32 v35, 0
	v_mov_b32_e32 v36, 0
	s_and_saveexec_b64 s[12:13], vcc
	s_cbranch_execz .LBB529_286
; %bb.281:
	s_movk_i32 s11, 0x80
	v_cmp_ne_u16_e32 vcc, s11, v30
	v_bfrev_b32_e32 v36, 1
	s_and_saveexec_b64 s[14:15], vcc
	s_cbranch_execz .LBB529_285
; %bb.282:
	s_movk_i32 s11, 0x7f
	v_and_b32_e32 v37, 0x7f, v30
	v_cmp_ne_u32_e32 vcc, s11, v37
	v_mov_b32_e32 v36, 0x7f800001
	s_and_saveexec_b64 s[24:25], vcc
	s_cbranch_execz .LBB529_284
; %bb.283:
	v_and_b32_e32 v36, 7, v30
	v_ffbh_u32_e32 v38, v36
	v_min_u32_e32 v41, 32, v38
	v_subrev_u32_e32 v38, 28, v41
	v_lshlrev_b64 v[38:39], v38, v[30:31]
	v_lshrrev_b32_e32 v40, 3, v37
	v_sub_u32_e32 v30, 29, v41
	v_and_b32_e32 v38, 7, v38
	v_cmp_gt_u32_e32 vcc, 8, v37
	v_cndmask_b32_e32 v30, v40, v30, vcc
	v_cndmask_b32_e32 v36, v36, v38, vcc
	v_lshlrev_b32_e32 v26, 16, v26
	v_bfrev_b32_e32 v37, 60
	v_lshlrev_b32_e32 v36, 20, v36
	v_and_b32_e32 v26, 0x80000000, v26
	v_lshl_add_u32 v30, v30, 23, v37
	v_or3_b32 v36, v26, v30, v36
.LBB529_284:
	s_or_b64 exec, exec, s[24:25]
.LBB529_285:
	s_or_b64 exec, exec, s[14:15]
.LBB529_286:
	s_or_b64 exec, exec, s[12:13]
	s_movk_i32 s11, 0xff
	v_and_b32_sdwa v30, v29, s11 dst_sel:DWORD dst_unused:UNUSED_PAD src0_sel:WORD_1 src1_sel:DWORD
	v_lshrrev_b32_e32 v26, 16, v29
	v_cmp_ne_u16_e32 vcc, 0, v30
	s_and_saveexec_b64 s[12:13], vcc
	s_cbranch_execz .LBB529_292
; %bb.287:
	s_movk_i32 s11, 0x80
	v_cmp_ne_u16_e32 vcc, s11, v30
	v_bfrev_b32_e32 v35, 1
	s_and_saveexec_b64 s[14:15], vcc
	s_cbranch_execz .LBB529_291
; %bb.288:
	v_bfe_u32 v30, v29, 16, 7
	s_movk_i32 s11, 0x7f
	v_cmp_ne_u32_e32 vcc, s11, v30
	v_mov_b32_e32 v35, 0x7f800001
	s_and_saveexec_b64 s[24:25], vcc
	s_cbranch_execz .LBB529_290
; %bb.289:
	v_and_b32_e32 v35, 7, v26
	v_ffbh_u32_e32 v38, v35
	v_min_u32_e32 v40, 32, v38
	v_subrev_u32_e32 v38, 28, v40
	v_lshlrev_b64 v[38:39], v38, v[26:27]
	v_and_b32_e32 v38, 7, v38
	v_cmp_gt_u32_e32 vcc, 8, v30
	v_lshrrev_b32_e32 v37, 3, v30
	v_sub_u32_e32 v26, 29, v40
	v_cndmask_b32_e32 v30, v35, v38, vcc
	v_mov_b32_e32 v35, 24
	v_cndmask_b32_e32 v26, v37, v26, vcc
	v_lshlrev_b32_sdwa v35, v35, v29 dst_sel:DWORD dst_unused:UNUSED_PAD src0_sel:DWORD src1_sel:WORD_1
	v_bfrev_b32_e32 v37, 60
	v_lshlrev_b32_e32 v30, 20, v30
	v_and_b32_e32 v35, 0x80000000, v35
	v_lshl_add_u32 v26, v26, 23, v37
	v_or3_b32 v35, v35, v26, v30
.LBB529_290:
	s_or_b64 exec, exec, s[24:25]
.LBB529_291:
	s_or_b64 exec, exec, s[14:15]
.LBB529_292:
	s_or_b64 exec, exec, s[12:13]
	s_mov_b32 s12, -1
	s_mov_b32 s13, 0xffffff
	v_cmp_lt_u64_e32 vcc, s[12:13], v[28:29]
	v_mov_b32_e32 v30, 0
	v_mov_b32_e32 v28, 0
	s_and_saveexec_b64 s[12:13], vcc
	s_cbranch_execz .LBB529_298
; %bb.293:
	v_lshrrev_b32_e32 v26, 24, v29
	s_movk_i32 s11, 0x80
	v_cmp_ne_u32_e32 vcc, s11, v26
	v_bfrev_b32_e32 v28, 1
	s_and_saveexec_b64 s[14:15], vcc
	s_cbranch_execz .LBB529_297
; %bb.294:
	v_bfe_u32 v29, v29, 24, 7
	s_movk_i32 s11, 0x7f
	v_cmp_ne_u32_e32 vcc, s11, v29
	v_mov_b32_e32 v28, 0x7f800001
	s_and_saveexec_b64 s[24:25], vcc
	s_cbranch_execz .LBB529_296
; %bb.295:
	v_and_b32_e32 v28, 7, v26
	v_ffbh_u32_e32 v38, v28
	v_min_u32_e32 v40, 32, v38
	v_subrev_u32_e32 v38, 28, v40
	v_lshlrev_b64 v[38:39], v38, v[26:27]
	v_lshrrev_b32_e32 v37, 3, v29
	v_sub_u32_e32 v39, 29, v40
	v_and_b32_e32 v38, 7, v38
	v_cmp_gt_u32_e32 vcc, 8, v29
	v_cndmask_b32_e32 v29, v37, v39, vcc
	v_cndmask_b32_e32 v28, v28, v38, vcc
	v_lshlrev_b32_e32 v26, 24, v26
	v_bfrev_b32_e32 v37, 60
	v_lshlrev_b32_e32 v28, 20, v28
	v_and_b32_e32 v26, 0x80000000, v26
	v_lshl_add_u32 v29, v29, 23, v37
	v_or3_b32 v28, v26, v29, v28
.LBB529_296:
	s_or_b64 exec, exec, s[24:25]
.LBB529_297:
	s_or_b64 exec, exec, s[14:15]
.LBB529_298:
	s_or_b64 exec, exec, s[12:13]
	v_cvt_pkrtz_f16_f32 v32, v32, v33
	v_cvt_pkrtz_f16_f32 v33, v31, v34
	;; [unrolled: 1-line block ×4, first 2 shown]
	v_mfma_f32_4x4x4f16 a[0:3], v[2:3], v[32:33], a[0:3] cbsz:4 abid:5
	v_cmp_ne_u16_sdwa s[14:15], v22, v30 src0_sel:BYTE_0 src1_sel:DWORD
	v_mfma_f32_4x4x4f16 a[0:3], v[4:5], v[26:27], a[0:3] cbsz:4 abid:5
	s_and_saveexec_b64 s[12:13], s[14:15]
	s_cbranch_execz .LBB529_304
; %bb.299:
	s_movk_i32 s11, 0x80
	v_cmp_ne_u16_sdwa s[24:25], v22, s11 src0_sel:BYTE_0 src1_sel:DWORD
	v_bfrev_b32_e32 v30, 1
	s_and_saveexec_b64 s[14:15], s[24:25]
	s_cbranch_execz .LBB529_303
; %bb.300:
	s_movk_i32 s11, 0x7f
	v_and_b32_e32 v26, 0x7f, v22
	v_cmp_ne_u32_e32 vcc, s11, v26
	v_mov_b32_e32 v30, 0x7f800001
	s_and_saveexec_b64 s[24:25], vcc
	s_cbranch_execz .LBB529_302
; %bb.301:
	v_and_b32_e32 v27, 7, v22
	v_ffbh_u32_e32 v27, v27
	v_min_u32_e32 v27, 32, v27
	v_subrev_u32_e32 v29, 28, v27
	v_cmp_gt_u32_e32 vcc, 8, v26
	v_lshrrev_b32_e32 v28, 3, v26
	v_sub_u32_e32 v27, 29, v27
	v_cndmask_b32_e32 v26, 0, v29, vcc
	v_cndmask_b32_e32 v28, v28, v27, vcc
	v_lshlrev_b64 v[26:27], v26, v[22:23]
	v_lshlrev_b32_e32 v26, 20, v26
	v_lshlrev_b32_e32 v27, 24, v22
	v_bfrev_b32_e32 v29, 60
	v_and_b32_e32 v26, 0x700000, v26
	v_and_b32_e32 v27, 0x80000000, v27
	v_lshl_add_u32 v28, v28, 23, v29
	v_or3_b32 v30, v27, v28, v26
.LBB529_302:
	s_or_b64 exec, exec, s[24:25]
.LBB529_303:
	s_or_b64 exec, exec, s[14:15]
.LBB529_304:
	s_or_b64 exec, exec, s[12:13]
	v_lshrrev_b16_e32 v26, 8, v22
	v_cmp_ne_u16_e32 vcc, 0, v26
	v_mov_b32_e32 v29, 0
	v_mov_b32_e32 v31, 0
	s_and_saveexec_b64 s[12:13], vcc
	s_cbranch_execz .LBB529_310
; %bb.305:
	s_movk_i32 s11, 0x80
	v_cmp_ne_u16_e32 vcc, s11, v26
	v_bfrev_b32_e32 v31, 1
	s_and_saveexec_b64 s[14:15], vcc
	s_cbranch_execz .LBB529_309
; %bb.306:
	s_movk_i32 s11, 0x7f
	v_and_b32_e32 v27, 0x7f, v26
	v_cmp_ne_u32_e32 vcc, s11, v27
	v_mov_b32_e32 v31, 0x7f800001
	s_and_saveexec_b64 s[24:25], vcc
	s_cbranch_execz .LBB529_308
; %bb.307:
	v_and_b32_e32 v28, 7, v26
	v_ffbh_u32_e32 v32, v28
	v_min_u32_e32 v34, 32, v32
	v_subrev_u32_e32 v32, 28, v34
	v_lshlrev_b64 v[32:33], v32, v[26:27]
	v_lshrrev_b32_e32 v31, 3, v27
	v_sub_u32_e32 v26, 29, v34
	v_and_b32_e32 v32, 7, v32
	v_cmp_gt_u32_e32 vcc, 8, v27
	v_cndmask_b32_e32 v26, v31, v26, vcc
	v_cndmask_b32_e32 v27, v28, v32, vcc
	v_lshlrev_b32_e32 v28, 16, v22
	v_bfrev_b32_e32 v31, 60
	v_lshlrev_b32_e32 v27, 20, v27
	v_and_b32_e32 v28, 0x80000000, v28
	v_lshl_add_u32 v26, v26, 23, v31
	v_or3_b32 v31, v28, v26, v27
.LBB529_308:
	s_or_b64 exec, exec, s[24:25]
.LBB529_309:
	s_or_b64 exec, exec, s[14:15]
.LBB529_310:
	s_or_b64 exec, exec, s[12:13]
	s_movk_i32 s11, 0xff
	v_and_b32_sdwa v27, v22, s11 dst_sel:DWORD dst_unused:UNUSED_PAD src0_sel:WORD_1 src1_sel:DWORD
	v_lshrrev_b32_e32 v26, 16, v22
	v_cmp_ne_u16_e32 vcc, 0, v27
	s_and_saveexec_b64 s[12:13], vcc
	s_cbranch_execz .LBB529_316
; %bb.311:
	s_movk_i32 s11, 0x80
	v_cmp_ne_u16_e32 vcc, s11, v27
	v_bfrev_b32_e32 v29, 1
	s_and_saveexec_b64 s[14:15], vcc
	s_cbranch_execz .LBB529_315
; %bb.312:
	v_bfe_u32 v27, v22, 16, 7
	s_movk_i32 s11, 0x7f
	v_cmp_ne_u32_e32 vcc, s11, v27
	v_mov_b32_e32 v29, 0x7f800001
	s_and_saveexec_b64 s[24:25], vcc
	s_cbranch_execz .LBB529_314
; %bb.313:
	v_and_b32_e32 v32, 7, v26
	v_ffbh_u32_e32 v28, v32
	v_min_u32_e32 v34, 32, v28
	v_subrev_u32_e32 v28, 28, v34
	v_lshlrev_b64 v[28:29], v28, v[26:27]
	v_and_b32_e32 v28, 7, v28
	v_cmp_gt_u32_e32 vcc, 8, v27
	v_lshrrev_b32_e32 v33, 3, v27
	v_sub_u32_e32 v26, 29, v34
	v_cndmask_b32_e32 v27, v32, v28, vcc
	v_mov_b32_e32 v28, 24
	v_cndmask_b32_e32 v26, v33, v26, vcc
	v_lshlrev_b32_sdwa v28, v28, v22 dst_sel:DWORD dst_unused:UNUSED_PAD src0_sel:DWORD src1_sel:WORD_1
	v_bfrev_b32_e32 v29, 60
	v_lshlrev_b32_e32 v27, 20, v27
	v_and_b32_e32 v28, 0x80000000, v28
	v_lshl_add_u32 v26, v26, 23, v29
	v_or3_b32 v29, v28, v26, v27
.LBB529_314:
	s_or_b64 exec, exec, s[24:25]
.LBB529_315:
	s_or_b64 exec, exec, s[14:15]
.LBB529_316:
	s_or_b64 exec, exec, s[12:13]
	s_mov_b32 s11, 0xffffff
	v_cmp_lt_u32_e32 vcc, s11, v22
	v_mov_b32_e32 v27, 0
	v_mov_b32_e32 v32, 0
	s_and_saveexec_b64 s[12:13], vcc
	s_cbranch_execz .LBB529_322
; %bb.317:
	v_lshrrev_b32_e32 v26, 24, v22
	s_movk_i32 s11, 0x80
	v_cmp_ne_u32_e32 vcc, s11, v26
	v_bfrev_b32_e32 v32, 1
	s_and_saveexec_b64 s[14:15], vcc
	s_cbranch_execz .LBB529_321
; %bb.318:
	v_bfe_u32 v28, v22, 24, 7
	s_movk_i32 s11, 0x7f
	v_cmp_ne_u32_e32 vcc, s11, v28
	v_mov_b32_e32 v32, 0x7f800001
	s_and_saveexec_b64 s[24:25], vcc
	s_cbranch_execz .LBB529_320
; %bb.319:
	v_and_b32_e32 v34, 7, v26
	v_ffbh_u32_e32 v32, v34
	v_min_u32_e32 v36, 32, v32
	v_subrev_u32_e32 v32, 28, v36
	v_lshlrev_b64 v[32:33], v32, v[26:27]
	v_lshrrev_b32_e32 v35, 3, v28
	v_sub_u32_e32 v33, 29, v36
	v_and_b32_e32 v32, 7, v32
	v_cmp_gt_u32_e32 vcc, 8, v28
	v_cndmask_b32_e32 v28, v35, v33, vcc
	v_cndmask_b32_e32 v32, v34, v32, vcc
	v_lshlrev_b32_e32 v26, 24, v26
	v_bfrev_b32_e32 v33, 60
	v_lshlrev_b32_e32 v32, 20, v32
	v_and_b32_e32 v26, 0x80000000, v26
	v_lshl_add_u32 v28, v28, 23, v33
	v_or3_b32 v32, v26, v28, v32
.LBB529_320:
	s_or_b64 exec, exec, s[24:25]
.LBB529_321:
	s_or_b64 exec, exec, s[14:15]
.LBB529_322:
	s_or_b64 exec, exec, s[12:13]
	v_mov_b32_e32 v26, v23
	v_cmp_ne_u16_sdwa s[14:15], v23, v27 src0_sel:BYTE_0 src1_sel:DWORD
	s_and_saveexec_b64 s[12:13], s[14:15]
	s_cbranch_execz .LBB529_328
; %bb.323:
	s_movk_i32 s11, 0x80
	v_cmp_ne_u16_sdwa s[24:25], v23, s11 src0_sel:BYTE_0 src1_sel:DWORD
	v_bfrev_b32_e32 v28, 1
	s_and_saveexec_b64 s[14:15], s[24:25]
	s_cbranch_execz .LBB529_327
; %bb.324:
	s_movk_i32 s11, 0x7f
	v_and_b32_e32 v33, 0x7f, v23
	v_cmp_ne_u32_e32 vcc, s11, v33
	v_mov_b32_e32 v28, 0x7f800001
	s_and_saveexec_b64 s[24:25], vcc
	s_cbranch_execz .LBB529_326
; %bb.325:
	v_and_b32_e32 v28, 7, v23
	v_ffbh_u32_e32 v28, v28
	v_min_u32_e32 v28, 32, v28
	v_subrev_u32_e32 v35, 28, v28
	v_cmp_gt_u32_e32 vcc, 8, v33
	v_lshrrev_b32_e32 v34, 3, v33
	v_sub_u32_e32 v28, 29, v28
	v_cndmask_b32_e32 v33, 0, v35, vcc
	v_cndmask_b32_e32 v28, v34, v28, vcc
	v_lshlrev_b64 v[34:35], v33, v[26:27]
	v_lshlrev_b32_e32 v27, 20, v34
	v_lshlrev_b32_e32 v33, 24, v26
	v_bfrev_b32_e32 v34, 60
	v_and_b32_e32 v27, 0x700000, v27
	v_and_b32_e32 v33, 0x80000000, v33
	v_lshl_add_u32 v28, v28, 23, v34
	v_or3_b32 v28, v33, v28, v27
.LBB529_326:
	s_or_b64 exec, exec, s[24:25]
.LBB529_327:
	s_or_b64 exec, exec, s[14:15]
	v_mov_b32_e32 v27, v28
.LBB529_328:
	s_or_b64 exec, exec, s[12:13]
	v_lshrrev_b16_e32 v28, 8, v26
	v_cmp_ne_u16_e32 vcc, 0, v28
	v_mov_b32_e32 v33, 0
	v_mov_b32_e32 v34, 0
	s_and_saveexec_b64 s[12:13], vcc
	s_cbranch_execz .LBB529_334
; %bb.329:
	s_movk_i32 s11, 0x80
	v_cmp_ne_u16_e32 vcc, s11, v28
	v_bfrev_b32_e32 v34, 1
	s_and_saveexec_b64 s[14:15], vcc
	s_cbranch_execz .LBB529_333
; %bb.330:
	s_movk_i32 s11, 0x7f
	v_and_b32_e32 v35, 0x7f, v28
	v_cmp_ne_u32_e32 vcc, s11, v35
	v_mov_b32_e32 v34, 0x7f800001
	s_and_saveexec_b64 s[24:25], vcc
	s_cbranch_execz .LBB529_332
; %bb.331:
	v_and_b32_e32 v34, 7, v28
	v_ffbh_u32_e32 v36, v34
	v_min_u32_e32 v39, 32, v36
	v_subrev_u32_e32 v36, 28, v39
	v_lshlrev_b64 v[36:37], v36, v[28:29]
	v_lshrrev_b32_e32 v38, 3, v35
	v_sub_u32_e32 v28, 29, v39
	v_and_b32_e32 v36, 7, v36
	v_cmp_gt_u32_e32 vcc, 8, v35
	v_cndmask_b32_e32 v28, v38, v28, vcc
	v_cndmask_b32_e32 v34, v34, v36, vcc
	v_lshlrev_b32_e32 v26, 16, v26
	v_bfrev_b32_e32 v35, 60
	v_lshlrev_b32_e32 v34, 20, v34
	v_and_b32_e32 v26, 0x80000000, v26
	v_lshl_add_u32 v28, v28, 23, v35
	v_or3_b32 v34, v26, v28, v34
.LBB529_332:
	s_or_b64 exec, exec, s[24:25]
.LBB529_333:
	s_or_b64 exec, exec, s[14:15]
.LBB529_334:
	s_or_b64 exec, exec, s[12:13]
	s_movk_i32 s11, 0xff
	v_and_b32_sdwa v28, v23, s11 dst_sel:DWORD dst_unused:UNUSED_PAD src0_sel:WORD_1 src1_sel:DWORD
	v_lshrrev_b32_e32 v26, 16, v23
	v_cmp_ne_u16_e32 vcc, 0, v28
	s_and_saveexec_b64 s[12:13], vcc
	s_cbranch_execz .LBB529_340
; %bb.335:
	s_movk_i32 s11, 0x80
	v_cmp_ne_u16_e32 vcc, s11, v28
	v_bfrev_b32_e32 v33, 1
	s_and_saveexec_b64 s[14:15], vcc
	s_cbranch_execz .LBB529_339
; %bb.336:
	v_bfe_u32 v28, v23, 16, 7
	s_movk_i32 s11, 0x7f
	v_cmp_ne_u32_e32 vcc, s11, v28
	v_mov_b32_e32 v33, 0x7f800001
	s_and_saveexec_b64 s[24:25], vcc
	s_cbranch_execz .LBB529_338
; %bb.337:
	v_and_b32_e32 v33, 7, v26
	v_ffbh_u32_e32 v36, v33
	v_min_u32_e32 v38, 32, v36
	v_subrev_u32_e32 v36, 28, v38
	v_lshlrev_b64 v[36:37], v36, v[26:27]
	v_and_b32_e32 v36, 7, v36
	v_cmp_gt_u32_e32 vcc, 8, v28
	v_lshrrev_b32_e32 v35, 3, v28
	v_sub_u32_e32 v26, 29, v38
	v_cndmask_b32_e32 v28, v33, v36, vcc
	v_mov_b32_e32 v33, 24
	v_cndmask_b32_e32 v26, v35, v26, vcc
	v_lshlrev_b32_sdwa v33, v33, v23 dst_sel:DWORD dst_unused:UNUSED_PAD src0_sel:DWORD src1_sel:WORD_1
	v_bfrev_b32_e32 v35, 60
	v_lshlrev_b32_e32 v28, 20, v28
	v_and_b32_e32 v33, 0x80000000, v33
	v_lshl_add_u32 v26, v26, 23, v35
	v_or3_b32 v33, v33, v26, v28
.LBB529_338:
	s_or_b64 exec, exec, s[24:25]
.LBB529_339:
	s_or_b64 exec, exec, s[14:15]
.LBB529_340:
	s_or_b64 exec, exec, s[12:13]
	s_mov_b32 s12, -1
	s_mov_b32 s13, 0xffffff
	v_cmp_lt_u64_e32 vcc, s[12:13], v[22:23]
	v_mov_b32_e32 v28, 0
	v_mov_b32_e32 v26, 0
	s_and_saveexec_b64 s[12:13], vcc
	s_cbranch_execz .LBB529_346
; %bb.341:
	v_lshrrev_b32_e32 v22, 24, v23
	s_movk_i32 s11, 0x80
	v_cmp_ne_u32_e32 vcc, s11, v22
	v_bfrev_b32_e32 v26, 1
	s_and_saveexec_b64 s[14:15], vcc
	s_cbranch_execz .LBB529_345
; %bb.342:
	v_bfe_u32 v23, v23, 24, 7
	s_movk_i32 s11, 0x7f
	v_cmp_ne_u32_e32 vcc, s11, v23
	v_mov_b32_e32 v26, 0x7f800001
	s_and_saveexec_b64 s[24:25], vcc
	s_cbranch_execz .LBB529_344
; %bb.343:
	v_and_b32_e32 v26, 7, v22
	v_ffbh_u32_e32 v36, v26
	v_min_u32_e32 v38, 32, v36
	v_subrev_u32_e32 v36, 28, v38
	v_lshlrev_b64 v[36:37], v36, v[22:23]
	v_lshrrev_b32_e32 v35, 3, v23
	v_sub_u32_e32 v37, 29, v38
	v_and_b32_e32 v36, 7, v36
	v_cmp_gt_u32_e32 vcc, 8, v23
	v_cndmask_b32_e32 v23, v35, v37, vcc
	v_cndmask_b32_e32 v26, v26, v36, vcc
	v_lshlrev_b32_e32 v22, 24, v22
	v_bfrev_b32_e32 v35, 60
	v_lshlrev_b32_e32 v26, 20, v26
	v_and_b32_e32 v22, 0x80000000, v22
	v_lshl_add_u32 v23, v23, 23, v35
	v_or3_b32 v26, v22, v23, v26
.LBB529_344:
	s_or_b64 exec, exec, s[24:25]
.LBB529_345:
	s_or_b64 exec, exec, s[14:15]
.LBB529_346:
	s_or_b64 exec, exec, s[12:13]
	v_cvt_pkrtz_f16_f32 v22, v30, v31
	v_cvt_pkrtz_f16_f32 v23, v29, v32
	;; [unrolled: 1-line block ×4, first 2 shown]
	v_mfma_f32_4x4x4f16 a[0:3], v[2:3], v[22:23], a[0:3] cbsz:4 abid:6
	v_cmp_ne_u16_sdwa s[14:15], v24, v28 src0_sel:BYTE_0 src1_sel:DWORD
	v_mfma_f32_4x4x4f16 a[0:3], v[4:5], v[30:31], a[0:3] cbsz:4 abid:6
	s_and_saveexec_b64 s[12:13], s[14:15]
	s_cbranch_execz .LBB529_352
; %bb.347:
	s_movk_i32 s11, 0x80
	v_cmp_ne_u16_sdwa s[24:25], v24, s11 src0_sel:BYTE_0 src1_sel:DWORD
	v_bfrev_b32_e32 v28, 1
	s_and_saveexec_b64 s[14:15], s[24:25]
	s_cbranch_execz .LBB529_351
; %bb.348:
	s_movk_i32 s11, 0x7f
	v_and_b32_e32 v22, 0x7f, v24
	v_cmp_ne_u32_e32 vcc, s11, v22
	v_mov_b32_e32 v28, 0x7f800001
	s_and_saveexec_b64 s[24:25], vcc
	s_cbranch_execz .LBB529_350
; %bb.349:
	v_and_b32_e32 v23, 7, v24
	v_ffbh_u32_e32 v23, v23
	v_min_u32_e32 v23, 32, v23
	v_subrev_u32_e32 v27, 28, v23
	v_cmp_gt_u32_e32 vcc, 8, v22
	v_lshrrev_b32_e32 v26, 3, v22
	v_sub_u32_e32 v23, 29, v23
	v_cndmask_b32_e32 v22, 0, v27, vcc
	v_cndmask_b32_e32 v26, v26, v23, vcc
	v_lshlrev_b64 v[22:23], v22, v[24:25]
	v_lshlrev_b32_e32 v22, 20, v22
	v_lshlrev_b32_e32 v23, 24, v24
	v_bfrev_b32_e32 v27, 60
	v_and_b32_e32 v22, 0x700000, v22
	v_and_b32_e32 v23, 0x80000000, v23
	v_lshl_add_u32 v26, v26, 23, v27
	v_or3_b32 v28, v23, v26, v22
.LBB529_350:
	s_or_b64 exec, exec, s[24:25]
.LBB529_351:
	s_or_b64 exec, exec, s[14:15]
.LBB529_352:
	s_or_b64 exec, exec, s[12:13]
	v_lshrrev_b16_e32 v22, 8, v24
	v_cmp_ne_u16_e32 vcc, 0, v22
	v_mov_b32_e32 v27, 0
	v_mov_b32_e32 v29, 0
	s_and_saveexec_b64 s[12:13], vcc
	s_cbranch_execz .LBB529_358
; %bb.353:
	s_movk_i32 s11, 0x80
	v_cmp_ne_u16_e32 vcc, s11, v22
	v_bfrev_b32_e32 v29, 1
	s_and_saveexec_b64 s[14:15], vcc
	s_cbranch_execz .LBB529_357
; %bb.354:
	s_movk_i32 s11, 0x7f
	v_and_b32_e32 v23, 0x7f, v22
	v_cmp_ne_u32_e32 vcc, s11, v23
	v_mov_b32_e32 v29, 0x7f800001
	s_and_saveexec_b64 s[24:25], vcc
	s_cbranch_execz .LBB529_356
; %bb.355:
	v_and_b32_e32 v26, 7, v22
	v_ffbh_u32_e32 v30, v26
	v_min_u32_e32 v32, 32, v30
	v_subrev_u32_e32 v30, 28, v32
	v_lshlrev_b64 v[30:31], v30, v[22:23]
	v_lshrrev_b32_e32 v29, 3, v23
	v_sub_u32_e32 v22, 29, v32
	v_and_b32_e32 v30, 7, v30
	v_cmp_gt_u32_e32 vcc, 8, v23
	v_cndmask_b32_e32 v22, v29, v22, vcc
	v_cndmask_b32_e32 v23, v26, v30, vcc
	v_lshlrev_b32_e32 v26, 16, v24
	v_bfrev_b32_e32 v29, 60
	v_lshlrev_b32_e32 v23, 20, v23
	v_and_b32_e32 v26, 0x80000000, v26
	v_lshl_add_u32 v22, v22, 23, v29
	v_or3_b32 v29, v26, v22, v23
.LBB529_356:
	s_or_b64 exec, exec, s[24:25]
.LBB529_357:
	s_or_b64 exec, exec, s[14:15]
.LBB529_358:
	s_or_b64 exec, exec, s[12:13]
	s_movk_i32 s11, 0xff
	v_and_b32_sdwa v23, v24, s11 dst_sel:DWORD dst_unused:UNUSED_PAD src0_sel:WORD_1 src1_sel:DWORD
	v_lshrrev_b32_e32 v22, 16, v24
	v_cmp_ne_u16_e32 vcc, 0, v23
	s_and_saveexec_b64 s[12:13], vcc
	s_cbranch_execz .LBB529_364
; %bb.359:
	s_movk_i32 s11, 0x80
	v_cmp_ne_u16_e32 vcc, s11, v23
	v_bfrev_b32_e32 v27, 1
	s_and_saveexec_b64 s[14:15], vcc
	s_cbranch_execz .LBB529_363
; %bb.360:
	v_bfe_u32 v23, v24, 16, 7
	s_movk_i32 s11, 0x7f
	v_cmp_ne_u32_e32 vcc, s11, v23
	v_mov_b32_e32 v27, 0x7f800001
	s_and_saveexec_b64 s[24:25], vcc
	s_cbranch_execz .LBB529_362
; %bb.361:
	v_and_b32_e32 v30, 7, v22
	v_ffbh_u32_e32 v26, v30
	v_min_u32_e32 v32, 32, v26
	v_subrev_u32_e32 v26, 28, v32
	v_lshlrev_b64 v[26:27], v26, v[22:23]
	v_and_b32_e32 v26, 7, v26
	v_cmp_gt_u32_e32 vcc, 8, v23
	v_lshrrev_b32_e32 v31, 3, v23
	v_sub_u32_e32 v22, 29, v32
	v_cndmask_b32_e32 v23, v30, v26, vcc
	v_mov_b32_e32 v26, 24
	v_cndmask_b32_e32 v22, v31, v22, vcc
	v_lshlrev_b32_sdwa v26, v26, v24 dst_sel:DWORD dst_unused:UNUSED_PAD src0_sel:DWORD src1_sel:WORD_1
	v_bfrev_b32_e32 v27, 60
	v_lshlrev_b32_e32 v23, 20, v23
	v_and_b32_e32 v26, 0x80000000, v26
	v_lshl_add_u32 v22, v22, 23, v27
	v_or3_b32 v27, v26, v22, v23
.LBB529_362:
	s_or_b64 exec, exec, s[24:25]
.LBB529_363:
	s_or_b64 exec, exec, s[14:15]
.LBB529_364:
	s_or_b64 exec, exec, s[12:13]
	s_mov_b32 s11, 0xffffff
	v_cmp_lt_u32_e32 vcc, s11, v24
	v_mov_b32_e32 v23, 0
	v_mov_b32_e32 v30, 0
	s_and_saveexec_b64 s[12:13], vcc
	s_cbranch_execz .LBB529_370
; %bb.365:
	v_lshrrev_b32_e32 v22, 24, v24
	s_movk_i32 s11, 0x80
	v_cmp_ne_u32_e32 vcc, s11, v22
	v_bfrev_b32_e32 v30, 1
	s_and_saveexec_b64 s[14:15], vcc
	s_cbranch_execz .LBB529_369
; %bb.366:
	v_bfe_u32 v26, v24, 24, 7
	s_movk_i32 s11, 0x7f
	v_cmp_ne_u32_e32 vcc, s11, v26
	v_mov_b32_e32 v30, 0x7f800001
	s_and_saveexec_b64 s[24:25], vcc
	s_cbranch_execz .LBB529_368
; %bb.367:
	v_and_b32_e32 v32, 7, v22
	v_ffbh_u32_e32 v30, v32
	v_min_u32_e32 v34, 32, v30
	v_subrev_u32_e32 v30, 28, v34
	v_lshlrev_b64 v[30:31], v30, v[22:23]
	v_lshrrev_b32_e32 v33, 3, v26
	v_sub_u32_e32 v31, 29, v34
	v_and_b32_e32 v30, 7, v30
	v_cmp_gt_u32_e32 vcc, 8, v26
	v_cndmask_b32_e32 v26, v33, v31, vcc
	v_cndmask_b32_e32 v30, v32, v30, vcc
	v_lshlrev_b32_e32 v22, 24, v22
	v_bfrev_b32_e32 v31, 60
	v_lshlrev_b32_e32 v30, 20, v30
	v_and_b32_e32 v22, 0x80000000, v22
	v_lshl_add_u32 v26, v26, 23, v31
	v_or3_b32 v30, v22, v26, v30
.LBB529_368:
	s_or_b64 exec, exec, s[24:25]
.LBB529_369:
	s_or_b64 exec, exec, s[14:15]
.LBB529_370:
	s_or_b64 exec, exec, s[12:13]
	v_mov_b32_e32 v22, v25
	v_cmp_ne_u16_sdwa s[14:15], v25, v23 src0_sel:BYTE_0 src1_sel:DWORD
	s_and_saveexec_b64 s[12:13], s[14:15]
	s_cbranch_execz .LBB529_376
; %bb.371:
	s_movk_i32 s11, 0x80
	v_cmp_ne_u16_sdwa s[24:25], v25, s11 src0_sel:BYTE_0 src1_sel:DWORD
	v_bfrev_b32_e32 v26, 1
	s_and_saveexec_b64 s[14:15], s[24:25]
	s_cbranch_execz .LBB529_375
; %bb.372:
	s_movk_i32 s11, 0x7f
	v_and_b32_e32 v31, 0x7f, v25
	v_cmp_ne_u32_e32 vcc, s11, v31
	v_mov_b32_e32 v26, 0x7f800001
	s_and_saveexec_b64 s[24:25], vcc
	s_cbranch_execz .LBB529_374
; %bb.373:
	v_and_b32_e32 v26, 7, v25
	v_ffbh_u32_e32 v26, v26
	v_min_u32_e32 v26, 32, v26
	v_subrev_u32_e32 v33, 28, v26
	v_cmp_gt_u32_e32 vcc, 8, v31
	v_lshrrev_b32_e32 v32, 3, v31
	v_sub_u32_e32 v26, 29, v26
	v_cndmask_b32_e32 v31, 0, v33, vcc
	v_cndmask_b32_e32 v26, v32, v26, vcc
	v_lshlrev_b64 v[32:33], v31, v[22:23]
	v_lshlrev_b32_e32 v23, 20, v32
	v_lshlrev_b32_e32 v31, 24, v22
	v_bfrev_b32_e32 v32, 60
	v_and_b32_e32 v23, 0x700000, v23
	v_and_b32_e32 v31, 0x80000000, v31
	v_lshl_add_u32 v26, v26, 23, v32
	v_or3_b32 v26, v31, v26, v23
.LBB529_374:
	s_or_b64 exec, exec, s[24:25]
.LBB529_375:
	s_or_b64 exec, exec, s[14:15]
	v_mov_b32_e32 v23, v26
.LBB529_376:
	s_or_b64 exec, exec, s[12:13]
	v_lshrrev_b16_e32 v26, 8, v22
	v_cmp_ne_u16_e32 vcc, 0, v26
	v_mov_b32_e32 v31, 0
	v_mov_b32_e32 v32, 0
	s_and_saveexec_b64 s[12:13], vcc
	s_cbranch_execz .LBB529_382
; %bb.377:
	s_movk_i32 s11, 0x80
	v_cmp_ne_u16_e32 vcc, s11, v26
	v_bfrev_b32_e32 v32, 1
	s_and_saveexec_b64 s[14:15], vcc
	s_cbranch_execz .LBB529_381
; %bb.378:
	s_movk_i32 s11, 0x7f
	v_and_b32_e32 v33, 0x7f, v26
	v_cmp_ne_u32_e32 vcc, s11, v33
	v_mov_b32_e32 v32, 0x7f800001
	s_and_saveexec_b64 s[24:25], vcc
	s_cbranch_execz .LBB529_380
; %bb.379:
	v_and_b32_e32 v32, 7, v26
	v_ffbh_u32_e32 v34, v32
	v_min_u32_e32 v37, 32, v34
	v_subrev_u32_e32 v34, 28, v37
	v_lshlrev_b64 v[34:35], v34, v[26:27]
	v_lshrrev_b32_e32 v36, 3, v33
	v_sub_u32_e32 v26, 29, v37
	v_and_b32_e32 v34, 7, v34
	v_cmp_gt_u32_e32 vcc, 8, v33
	v_cndmask_b32_e32 v26, v36, v26, vcc
	v_cndmask_b32_e32 v32, v32, v34, vcc
	v_lshlrev_b32_e32 v22, 16, v22
	v_bfrev_b32_e32 v33, 60
	v_lshlrev_b32_e32 v32, 20, v32
	v_and_b32_e32 v22, 0x80000000, v22
	v_lshl_add_u32 v26, v26, 23, v33
	v_or3_b32 v32, v22, v26, v32
.LBB529_380:
	s_or_b64 exec, exec, s[24:25]
.LBB529_381:
	s_or_b64 exec, exec, s[14:15]
.LBB529_382:
	s_or_b64 exec, exec, s[12:13]
	s_movk_i32 s11, 0xff
	v_and_b32_sdwa v26, v25, s11 dst_sel:DWORD dst_unused:UNUSED_PAD src0_sel:WORD_1 src1_sel:DWORD
	v_lshrrev_b32_e32 v22, 16, v25
	v_cmp_ne_u16_e32 vcc, 0, v26
	s_and_saveexec_b64 s[12:13], vcc
	s_cbranch_execz .LBB529_388
; %bb.383:
	s_movk_i32 s11, 0x80
	v_cmp_ne_u16_e32 vcc, s11, v26
	v_bfrev_b32_e32 v31, 1
	s_and_saveexec_b64 s[14:15], vcc
	s_cbranch_execz .LBB529_387
; %bb.384:
	v_bfe_u32 v26, v25, 16, 7
	s_movk_i32 s11, 0x7f
	v_cmp_ne_u32_e32 vcc, s11, v26
	v_mov_b32_e32 v31, 0x7f800001
	s_and_saveexec_b64 s[24:25], vcc
	s_cbranch_execz .LBB529_386
; %bb.385:
	v_and_b32_e32 v31, 7, v22
	v_ffbh_u32_e32 v34, v31
	v_min_u32_e32 v36, 32, v34
	v_subrev_u32_e32 v34, 28, v36
	v_lshlrev_b64 v[34:35], v34, v[22:23]
	v_and_b32_e32 v34, 7, v34
	v_cmp_gt_u32_e32 vcc, 8, v26
	v_lshrrev_b32_e32 v33, 3, v26
	v_sub_u32_e32 v22, 29, v36
	v_cndmask_b32_e32 v26, v31, v34, vcc
	v_mov_b32_e32 v31, 24
	v_cndmask_b32_e32 v22, v33, v22, vcc
	v_lshlrev_b32_sdwa v31, v31, v25 dst_sel:DWORD dst_unused:UNUSED_PAD src0_sel:DWORD src1_sel:WORD_1
	v_bfrev_b32_e32 v33, 60
	v_lshlrev_b32_e32 v26, 20, v26
	v_and_b32_e32 v31, 0x80000000, v31
	v_lshl_add_u32 v22, v22, 23, v33
	v_or3_b32 v31, v31, v22, v26
.LBB529_386:
	s_or_b64 exec, exec, s[24:25]
.LBB529_387:
	s_or_b64 exec, exec, s[14:15]
.LBB529_388:
	s_or_b64 exec, exec, s[12:13]
	s_mov_b32 s12, -1
	s_mov_b32 s13, 0xffffff
	v_cmp_lt_u64_e32 vcc, s[12:13], v[24:25]
	v_mov_b32_e32 v26, 0
	v_mov_b32_e32 v24, 0
	s_and_saveexec_b64 s[12:13], vcc
	s_cbranch_execz .LBB529_394
; %bb.389:
	v_lshrrev_b32_e32 v22, 24, v25
	s_movk_i32 s11, 0x80
	v_cmp_ne_u32_e32 vcc, s11, v22
	v_bfrev_b32_e32 v24, 1
	s_and_saveexec_b64 s[14:15], vcc
	s_cbranch_execz .LBB529_393
; %bb.390:
	v_bfe_u32 v25, v25, 24, 7
	s_movk_i32 s11, 0x7f
	v_cmp_ne_u32_e32 vcc, s11, v25
	v_mov_b32_e32 v24, 0x7f800001
	s_and_saveexec_b64 s[24:25], vcc
	s_cbranch_execz .LBB529_392
; %bb.391:
	v_and_b32_e32 v24, 7, v22
	v_ffbh_u32_e32 v34, v24
	v_min_u32_e32 v36, 32, v34
	v_subrev_u32_e32 v34, 28, v36
	v_lshlrev_b64 v[34:35], v34, v[22:23]
	v_lshrrev_b32_e32 v33, 3, v25
	v_sub_u32_e32 v35, 29, v36
	v_and_b32_e32 v34, 7, v34
	v_cmp_gt_u32_e32 vcc, 8, v25
	v_cndmask_b32_e32 v25, v33, v35, vcc
	v_cndmask_b32_e32 v24, v24, v34, vcc
	v_lshlrev_b32_e32 v22, 24, v22
	v_bfrev_b32_e32 v33, 60
	v_lshlrev_b32_e32 v24, 20, v24
	v_and_b32_e32 v22, 0x80000000, v22
	v_lshl_add_u32 v25, v25, 23, v33
	v_or3_b32 v24, v22, v25, v24
.LBB529_392:
	s_or_b64 exec, exec, s[24:25]
.LBB529_393:
	s_or_b64 exec, exec, s[14:15]
.LBB529_394:
	s_or_b64 exec, exec, s[12:13]
	v_cvt_pkrtz_f16_f32 v28, v28, v29
	v_cvt_pkrtz_f16_f32 v29, v27, v30
	;; [unrolled: 1-line block ×4, first 2 shown]
	v_mfma_f32_4x4x4f16 a[0:3], v[2:3], v[28:29], a[0:3] cbsz:4 abid:7
	v_cmp_ne_u16_sdwa s[14:15], v18, v26 src0_sel:BYTE_0 src1_sel:DWORD
	v_mfma_f32_4x4x4f16 a[0:3], v[4:5], v[22:23], a[0:3] cbsz:4 abid:7
	s_and_saveexec_b64 s[12:13], s[14:15]
	s_cbranch_execz .LBB529_400
; %bb.395:
	s_movk_i32 s11, 0x80
	v_cmp_ne_u16_sdwa s[24:25], v18, s11 src0_sel:BYTE_0 src1_sel:DWORD
	v_bfrev_b32_e32 v26, 1
	s_and_saveexec_b64 s[14:15], s[24:25]
	s_cbranch_execz .LBB529_399
; %bb.396:
	s_movk_i32 s11, 0x7f
	v_and_b32_e32 v22, 0x7f, v18
	v_cmp_ne_u32_e32 vcc, s11, v22
	v_mov_b32_e32 v26, 0x7f800001
	s_and_saveexec_b64 s[24:25], vcc
	s_cbranch_execz .LBB529_398
; %bb.397:
	v_and_b32_e32 v23, 7, v18
	v_ffbh_u32_e32 v23, v23
	v_min_u32_e32 v23, 32, v23
	v_subrev_u32_e32 v25, 28, v23
	v_cmp_gt_u32_e32 vcc, 8, v22
	v_lshrrev_b32_e32 v24, 3, v22
	v_sub_u32_e32 v23, 29, v23
	v_cndmask_b32_e32 v22, 0, v25, vcc
	v_cndmask_b32_e32 v24, v24, v23, vcc
	v_lshlrev_b64 v[22:23], v22, v[18:19]
	v_lshlrev_b32_e32 v22, 20, v22
	v_lshlrev_b32_e32 v23, 24, v18
	v_bfrev_b32_e32 v25, 60
	v_and_b32_e32 v22, 0x700000, v22
	v_and_b32_e32 v23, 0x80000000, v23
	v_lshl_add_u32 v24, v24, 23, v25
	v_or3_b32 v26, v23, v24, v22
.LBB529_398:
	s_or_b64 exec, exec, s[24:25]
.LBB529_399:
	s_or_b64 exec, exec, s[14:15]
.LBB529_400:
	s_or_b64 exec, exec, s[12:13]
	v_lshrrev_b16_e32 v22, 8, v18
	v_cmp_ne_u16_e32 vcc, 0, v22
	v_mov_b32_e32 v25, 0
	v_mov_b32_e32 v27, 0
	s_and_saveexec_b64 s[12:13], vcc
	s_cbranch_execz .LBB529_406
; %bb.401:
	s_movk_i32 s11, 0x80
	v_cmp_ne_u16_e32 vcc, s11, v22
	v_bfrev_b32_e32 v27, 1
	s_and_saveexec_b64 s[14:15], vcc
	s_cbranch_execz .LBB529_405
; %bb.402:
	s_movk_i32 s11, 0x7f
	v_and_b32_e32 v23, 0x7f, v22
	v_cmp_ne_u32_e32 vcc, s11, v23
	v_mov_b32_e32 v27, 0x7f800001
	s_and_saveexec_b64 s[24:25], vcc
	s_cbranch_execz .LBB529_404
; %bb.403:
	v_and_b32_e32 v24, 7, v22
	v_ffbh_u32_e32 v28, v24
	v_min_u32_e32 v30, 32, v28
	v_subrev_u32_e32 v28, 28, v30
	v_lshlrev_b64 v[28:29], v28, v[22:23]
	v_lshrrev_b32_e32 v27, 3, v23
	v_sub_u32_e32 v22, 29, v30
	v_and_b32_e32 v28, 7, v28
	v_cmp_gt_u32_e32 vcc, 8, v23
	v_cndmask_b32_e32 v22, v27, v22, vcc
	v_cndmask_b32_e32 v23, v24, v28, vcc
	v_lshlrev_b32_e32 v24, 16, v18
	v_bfrev_b32_e32 v27, 60
	v_lshlrev_b32_e32 v23, 20, v23
	v_and_b32_e32 v24, 0x80000000, v24
	v_lshl_add_u32 v22, v22, 23, v27
	v_or3_b32 v27, v24, v22, v23
.LBB529_404:
	s_or_b64 exec, exec, s[24:25]
.LBB529_405:
	s_or_b64 exec, exec, s[14:15]
.LBB529_406:
	s_or_b64 exec, exec, s[12:13]
	s_movk_i32 s11, 0xff
	v_and_b32_sdwa v23, v18, s11 dst_sel:DWORD dst_unused:UNUSED_PAD src0_sel:WORD_1 src1_sel:DWORD
	v_lshrrev_b32_e32 v22, 16, v18
	v_cmp_ne_u16_e32 vcc, 0, v23
	s_and_saveexec_b64 s[12:13], vcc
	s_cbranch_execz .LBB529_412
; %bb.407:
	s_movk_i32 s11, 0x80
	v_cmp_ne_u16_e32 vcc, s11, v23
	v_bfrev_b32_e32 v25, 1
	s_and_saveexec_b64 s[14:15], vcc
	s_cbranch_execz .LBB529_411
; %bb.408:
	v_bfe_u32 v23, v18, 16, 7
	s_movk_i32 s11, 0x7f
	v_cmp_ne_u32_e32 vcc, s11, v23
	v_mov_b32_e32 v25, 0x7f800001
	s_and_saveexec_b64 s[24:25], vcc
	s_cbranch_execz .LBB529_410
; %bb.409:
	v_and_b32_e32 v28, 7, v22
	v_ffbh_u32_e32 v24, v28
	v_min_u32_e32 v30, 32, v24
	v_subrev_u32_e32 v24, 28, v30
	v_lshlrev_b64 v[24:25], v24, v[22:23]
	v_and_b32_e32 v24, 7, v24
	v_cmp_gt_u32_e32 vcc, 8, v23
	v_lshrrev_b32_e32 v29, 3, v23
	v_sub_u32_e32 v22, 29, v30
	v_cndmask_b32_e32 v23, v28, v24, vcc
	v_mov_b32_e32 v24, 24
	v_cndmask_b32_e32 v22, v29, v22, vcc
	v_lshlrev_b32_sdwa v24, v24, v18 dst_sel:DWORD dst_unused:UNUSED_PAD src0_sel:DWORD src1_sel:WORD_1
	v_bfrev_b32_e32 v25, 60
	v_lshlrev_b32_e32 v23, 20, v23
	v_and_b32_e32 v24, 0x80000000, v24
	v_lshl_add_u32 v22, v22, 23, v25
	v_or3_b32 v25, v24, v22, v23
.LBB529_410:
	s_or_b64 exec, exec, s[24:25]
.LBB529_411:
	s_or_b64 exec, exec, s[14:15]
.LBB529_412:
	s_or_b64 exec, exec, s[12:13]
	s_mov_b32 s11, 0xffffff
	v_cmp_lt_u32_e32 vcc, s11, v18
	v_mov_b32_e32 v23, 0
	v_mov_b32_e32 v28, 0
	s_and_saveexec_b64 s[12:13], vcc
	s_cbranch_execz .LBB529_418
; %bb.413:
	v_lshrrev_b32_e32 v22, 24, v18
	s_movk_i32 s11, 0x80
	v_cmp_ne_u32_e32 vcc, s11, v22
	v_bfrev_b32_e32 v28, 1
	s_and_saveexec_b64 s[14:15], vcc
	s_cbranch_execz .LBB529_417
; %bb.414:
	v_bfe_u32 v24, v18, 24, 7
	s_movk_i32 s11, 0x7f
	v_cmp_ne_u32_e32 vcc, s11, v24
	v_mov_b32_e32 v28, 0x7f800001
	s_and_saveexec_b64 s[24:25], vcc
	s_cbranch_execz .LBB529_416
; %bb.415:
	v_and_b32_e32 v30, 7, v22
	v_ffbh_u32_e32 v28, v30
	v_min_u32_e32 v32, 32, v28
	v_subrev_u32_e32 v28, 28, v32
	v_lshlrev_b64 v[28:29], v28, v[22:23]
	v_lshrrev_b32_e32 v31, 3, v24
	v_sub_u32_e32 v29, 29, v32
	v_and_b32_e32 v28, 7, v28
	v_cmp_gt_u32_e32 vcc, 8, v24
	v_cndmask_b32_e32 v24, v31, v29, vcc
	v_cndmask_b32_e32 v28, v30, v28, vcc
	v_lshlrev_b32_e32 v22, 24, v22
	v_bfrev_b32_e32 v29, 60
	v_lshlrev_b32_e32 v28, 20, v28
	v_and_b32_e32 v22, 0x80000000, v22
	v_lshl_add_u32 v24, v24, 23, v29
	v_or3_b32 v28, v22, v24, v28
.LBB529_416:
	s_or_b64 exec, exec, s[24:25]
.LBB529_417:
	s_or_b64 exec, exec, s[14:15]
.LBB529_418:
	s_or_b64 exec, exec, s[12:13]
	v_mov_b32_e32 v22, v19
	v_cmp_ne_u16_sdwa s[14:15], v19, v23 src0_sel:BYTE_0 src1_sel:DWORD
	s_and_saveexec_b64 s[12:13], s[14:15]
	s_cbranch_execz .LBB529_424
; %bb.419:
	s_movk_i32 s11, 0x80
	v_cmp_ne_u16_sdwa s[24:25], v19, s11 src0_sel:BYTE_0 src1_sel:DWORD
	v_bfrev_b32_e32 v24, 1
	s_and_saveexec_b64 s[14:15], s[24:25]
	s_cbranch_execz .LBB529_423
; %bb.420:
	s_movk_i32 s11, 0x7f
	v_and_b32_e32 v29, 0x7f, v19
	v_cmp_ne_u32_e32 vcc, s11, v29
	v_mov_b32_e32 v24, 0x7f800001
	s_and_saveexec_b64 s[24:25], vcc
	s_cbranch_execz .LBB529_422
; %bb.421:
	v_and_b32_e32 v24, 7, v19
	v_ffbh_u32_e32 v24, v24
	v_min_u32_e32 v24, 32, v24
	v_subrev_u32_e32 v31, 28, v24
	v_cmp_gt_u32_e32 vcc, 8, v29
	v_lshrrev_b32_e32 v30, 3, v29
	v_sub_u32_e32 v24, 29, v24
	v_cndmask_b32_e32 v29, 0, v31, vcc
	v_cndmask_b32_e32 v24, v30, v24, vcc
	v_lshlrev_b64 v[30:31], v29, v[22:23]
	v_lshlrev_b32_e32 v23, 20, v30
	v_lshlrev_b32_e32 v29, 24, v22
	v_bfrev_b32_e32 v30, 60
	v_and_b32_e32 v23, 0x700000, v23
	v_and_b32_e32 v29, 0x80000000, v29
	v_lshl_add_u32 v24, v24, 23, v30
	v_or3_b32 v24, v29, v24, v23
.LBB529_422:
	s_or_b64 exec, exec, s[24:25]
.LBB529_423:
	s_or_b64 exec, exec, s[14:15]
	v_mov_b32_e32 v23, v24
.LBB529_424:
	s_or_b64 exec, exec, s[12:13]
	v_lshrrev_b16_e32 v24, 8, v22
	v_cmp_ne_u16_e32 vcc, 0, v24
	v_mov_b32_e32 v29, 0
	v_mov_b32_e32 v30, 0
	s_and_saveexec_b64 s[12:13], vcc
	s_cbranch_execz .LBB529_430
; %bb.425:
	s_movk_i32 s11, 0x80
	v_cmp_ne_u16_e32 vcc, s11, v24
	v_bfrev_b32_e32 v30, 1
	s_and_saveexec_b64 s[14:15], vcc
	s_cbranch_execz .LBB529_429
; %bb.426:
	s_movk_i32 s11, 0x7f
	v_and_b32_e32 v31, 0x7f, v24
	v_cmp_ne_u32_e32 vcc, s11, v31
	v_mov_b32_e32 v30, 0x7f800001
	s_and_saveexec_b64 s[24:25], vcc
	s_cbranch_execz .LBB529_428
; %bb.427:
	v_and_b32_e32 v30, 7, v24
	v_ffbh_u32_e32 v32, v30
	v_min_u32_e32 v35, 32, v32
	v_subrev_u32_e32 v32, 28, v35
	v_lshlrev_b64 v[32:33], v32, v[24:25]
	v_lshrrev_b32_e32 v34, 3, v31
	v_sub_u32_e32 v24, 29, v35
	v_and_b32_e32 v32, 7, v32
	v_cmp_gt_u32_e32 vcc, 8, v31
	v_cndmask_b32_e32 v24, v34, v24, vcc
	v_cndmask_b32_e32 v30, v30, v32, vcc
	v_lshlrev_b32_e32 v22, 16, v22
	v_bfrev_b32_e32 v31, 60
	v_lshlrev_b32_e32 v30, 20, v30
	v_and_b32_e32 v22, 0x80000000, v22
	v_lshl_add_u32 v24, v24, 23, v31
	v_or3_b32 v30, v22, v24, v30
.LBB529_428:
	s_or_b64 exec, exec, s[24:25]
.LBB529_429:
	s_or_b64 exec, exec, s[14:15]
.LBB529_430:
	s_or_b64 exec, exec, s[12:13]
	s_movk_i32 s11, 0xff
	v_and_b32_sdwa v24, v19, s11 dst_sel:DWORD dst_unused:UNUSED_PAD src0_sel:WORD_1 src1_sel:DWORD
	v_lshrrev_b32_e32 v22, 16, v19
	v_cmp_ne_u16_e32 vcc, 0, v24
	s_and_saveexec_b64 s[12:13], vcc
	s_cbranch_execz .LBB529_436
; %bb.431:
	s_movk_i32 s11, 0x80
	v_cmp_ne_u16_e32 vcc, s11, v24
	v_bfrev_b32_e32 v29, 1
	s_and_saveexec_b64 s[14:15], vcc
	s_cbranch_execz .LBB529_435
; %bb.432:
	v_bfe_u32 v24, v19, 16, 7
	s_movk_i32 s11, 0x7f
	v_cmp_ne_u32_e32 vcc, s11, v24
	v_mov_b32_e32 v29, 0x7f800001
	s_and_saveexec_b64 s[24:25], vcc
	s_cbranch_execz .LBB529_434
; %bb.433:
	v_and_b32_e32 v29, 7, v22
	v_ffbh_u32_e32 v32, v29
	v_min_u32_e32 v34, 32, v32
	v_subrev_u32_e32 v32, 28, v34
	v_lshlrev_b64 v[32:33], v32, v[22:23]
	v_and_b32_e32 v32, 7, v32
	v_cmp_gt_u32_e32 vcc, 8, v24
	v_lshrrev_b32_e32 v31, 3, v24
	v_sub_u32_e32 v22, 29, v34
	v_cndmask_b32_e32 v24, v29, v32, vcc
	v_mov_b32_e32 v29, 24
	v_cndmask_b32_e32 v22, v31, v22, vcc
	v_lshlrev_b32_sdwa v29, v29, v19 dst_sel:DWORD dst_unused:UNUSED_PAD src0_sel:DWORD src1_sel:WORD_1
	v_bfrev_b32_e32 v31, 60
	v_lshlrev_b32_e32 v24, 20, v24
	v_and_b32_e32 v29, 0x80000000, v29
	v_lshl_add_u32 v22, v22, 23, v31
	v_or3_b32 v29, v29, v22, v24
.LBB529_434:
	s_or_b64 exec, exec, s[24:25]
.LBB529_435:
	s_or_b64 exec, exec, s[14:15]
.LBB529_436:
	s_or_b64 exec, exec, s[12:13]
	s_mov_b32 s12, -1
	s_mov_b32 s13, 0xffffff
	v_cmp_lt_u64_e32 vcc, s[12:13], v[18:19]
	v_mov_b32_e32 v24, 0
	v_mov_b32_e32 v22, 0
	s_and_saveexec_b64 s[12:13], vcc
	s_cbranch_execz .LBB529_442
; %bb.437:
	v_lshrrev_b32_e32 v18, 24, v19
	s_movk_i32 s11, 0x80
	v_cmp_ne_u32_e32 vcc, s11, v18
	v_bfrev_b32_e32 v22, 1
	s_and_saveexec_b64 s[14:15], vcc
	s_cbranch_execz .LBB529_441
; %bb.438:
	v_bfe_u32 v19, v19, 24, 7
	s_movk_i32 s11, 0x7f
	v_cmp_ne_u32_e32 vcc, s11, v19
	v_mov_b32_e32 v22, 0x7f800001
	s_and_saveexec_b64 s[24:25], vcc
	s_cbranch_execz .LBB529_440
; %bb.439:
	v_and_b32_e32 v22, 7, v18
	v_ffbh_u32_e32 v32, v22
	v_min_u32_e32 v34, 32, v32
	v_subrev_u32_e32 v32, 28, v34
	v_lshlrev_b64 v[32:33], v32, v[18:19]
	v_lshrrev_b32_e32 v31, 3, v19
	v_sub_u32_e32 v33, 29, v34
	v_and_b32_e32 v32, 7, v32
	v_cmp_gt_u32_e32 vcc, 8, v19
	v_cndmask_b32_e32 v19, v31, v33, vcc
	v_cndmask_b32_e32 v22, v22, v32, vcc
	v_lshlrev_b32_e32 v18, 24, v18
	v_bfrev_b32_e32 v31, 60
	v_lshlrev_b32_e32 v22, 20, v22
	v_and_b32_e32 v18, 0x80000000, v18
	v_lshl_add_u32 v19, v19, 23, v31
	v_or3_b32 v22, v18, v19, v22
.LBB529_440:
	s_or_b64 exec, exec, s[24:25]
.LBB529_441:
	s_or_b64 exec, exec, s[14:15]
.LBB529_442:
	s_or_b64 exec, exec, s[12:13]
	v_cvt_pkrtz_f16_f32 v18, v26, v27
	v_cvt_pkrtz_f16_f32 v19, v25, v28
	;; [unrolled: 1-line block ×4, first 2 shown]
	v_mfma_f32_4x4x4f16 a[0:3], v[2:3], v[18:19], a[0:3] cbsz:4 abid:8
	v_cmp_ne_u16_sdwa s[14:15], v20, v24 src0_sel:BYTE_0 src1_sel:DWORD
	v_mfma_f32_4x4x4f16 a[0:3], v[4:5], v[26:27], a[0:3] cbsz:4 abid:8
	s_and_saveexec_b64 s[12:13], s[14:15]
	s_cbranch_execz .LBB529_448
; %bb.443:
	s_movk_i32 s11, 0x80
	v_cmp_ne_u16_sdwa s[24:25], v20, s11 src0_sel:BYTE_0 src1_sel:DWORD
	v_bfrev_b32_e32 v24, 1
	s_and_saveexec_b64 s[14:15], s[24:25]
	s_cbranch_execz .LBB529_447
; %bb.444:
	s_movk_i32 s11, 0x7f
	v_and_b32_e32 v18, 0x7f, v20
	v_cmp_ne_u32_e32 vcc, s11, v18
	v_mov_b32_e32 v24, 0x7f800001
	s_and_saveexec_b64 s[24:25], vcc
	s_cbranch_execz .LBB529_446
; %bb.445:
	v_and_b32_e32 v19, 7, v20
	v_ffbh_u32_e32 v19, v19
	v_min_u32_e32 v19, 32, v19
	v_subrev_u32_e32 v23, 28, v19
	v_cmp_gt_u32_e32 vcc, 8, v18
	v_lshrrev_b32_e32 v22, 3, v18
	v_sub_u32_e32 v19, 29, v19
	v_cndmask_b32_e32 v18, 0, v23, vcc
	v_cndmask_b32_e32 v22, v22, v19, vcc
	v_lshlrev_b64 v[18:19], v18, v[20:21]
	v_lshlrev_b32_e32 v18, 20, v18
	v_lshlrev_b32_e32 v19, 24, v20
	v_bfrev_b32_e32 v23, 60
	v_and_b32_e32 v18, 0x700000, v18
	v_and_b32_e32 v19, 0x80000000, v19
	v_lshl_add_u32 v22, v22, 23, v23
	v_or3_b32 v24, v19, v22, v18
.LBB529_446:
	s_or_b64 exec, exec, s[24:25]
.LBB529_447:
	s_or_b64 exec, exec, s[14:15]
.LBB529_448:
	s_or_b64 exec, exec, s[12:13]
	v_lshrrev_b16_e32 v18, 8, v20
	v_cmp_ne_u16_e32 vcc, 0, v18
	v_mov_b32_e32 v23, 0
	v_mov_b32_e32 v25, 0
	s_and_saveexec_b64 s[12:13], vcc
	s_cbranch_execz .LBB529_454
; %bb.449:
	s_movk_i32 s11, 0x80
	v_cmp_ne_u16_e32 vcc, s11, v18
	v_bfrev_b32_e32 v25, 1
	s_and_saveexec_b64 s[14:15], vcc
	s_cbranch_execz .LBB529_453
; %bb.450:
	s_movk_i32 s11, 0x7f
	v_and_b32_e32 v19, 0x7f, v18
	v_cmp_ne_u32_e32 vcc, s11, v19
	v_mov_b32_e32 v25, 0x7f800001
	s_and_saveexec_b64 s[24:25], vcc
	s_cbranch_execz .LBB529_452
; %bb.451:
	v_and_b32_e32 v22, 7, v18
	v_ffbh_u32_e32 v26, v22
	v_min_u32_e32 v28, 32, v26
	v_subrev_u32_e32 v26, 28, v28
	v_lshlrev_b64 v[26:27], v26, v[18:19]
	v_lshrrev_b32_e32 v25, 3, v19
	v_sub_u32_e32 v18, 29, v28
	v_and_b32_e32 v26, 7, v26
	v_cmp_gt_u32_e32 vcc, 8, v19
	v_cndmask_b32_e32 v18, v25, v18, vcc
	v_cndmask_b32_e32 v19, v22, v26, vcc
	v_lshlrev_b32_e32 v22, 16, v20
	v_bfrev_b32_e32 v25, 60
	v_lshlrev_b32_e32 v19, 20, v19
	v_and_b32_e32 v22, 0x80000000, v22
	v_lshl_add_u32 v18, v18, 23, v25
	v_or3_b32 v25, v22, v18, v19
.LBB529_452:
	s_or_b64 exec, exec, s[24:25]
.LBB529_453:
	s_or_b64 exec, exec, s[14:15]
.LBB529_454:
	s_or_b64 exec, exec, s[12:13]
	s_movk_i32 s11, 0xff
	v_and_b32_sdwa v19, v20, s11 dst_sel:DWORD dst_unused:UNUSED_PAD src0_sel:WORD_1 src1_sel:DWORD
	v_lshrrev_b32_e32 v18, 16, v20
	v_cmp_ne_u16_e32 vcc, 0, v19
	s_and_saveexec_b64 s[12:13], vcc
	s_cbranch_execz .LBB529_460
; %bb.455:
	s_movk_i32 s11, 0x80
	v_cmp_ne_u16_e32 vcc, s11, v19
	v_bfrev_b32_e32 v23, 1
	s_and_saveexec_b64 s[14:15], vcc
	s_cbranch_execz .LBB529_459
; %bb.456:
	v_bfe_u32 v19, v20, 16, 7
	s_movk_i32 s11, 0x7f
	v_cmp_ne_u32_e32 vcc, s11, v19
	v_mov_b32_e32 v23, 0x7f800001
	s_and_saveexec_b64 s[24:25], vcc
	s_cbranch_execz .LBB529_458
; %bb.457:
	v_and_b32_e32 v26, 7, v18
	v_ffbh_u32_e32 v22, v26
	v_min_u32_e32 v28, 32, v22
	v_subrev_u32_e32 v22, 28, v28
	v_lshlrev_b64 v[22:23], v22, v[18:19]
	v_and_b32_e32 v22, 7, v22
	v_cmp_gt_u32_e32 vcc, 8, v19
	v_lshrrev_b32_e32 v27, 3, v19
	v_sub_u32_e32 v18, 29, v28
	v_cndmask_b32_e32 v19, v26, v22, vcc
	v_mov_b32_e32 v22, 24
	v_cndmask_b32_e32 v18, v27, v18, vcc
	v_lshlrev_b32_sdwa v22, v22, v20 dst_sel:DWORD dst_unused:UNUSED_PAD src0_sel:DWORD src1_sel:WORD_1
	v_bfrev_b32_e32 v23, 60
	v_lshlrev_b32_e32 v19, 20, v19
	v_and_b32_e32 v22, 0x80000000, v22
	v_lshl_add_u32 v18, v18, 23, v23
	v_or3_b32 v23, v22, v18, v19
.LBB529_458:
	s_or_b64 exec, exec, s[24:25]
.LBB529_459:
	s_or_b64 exec, exec, s[14:15]
.LBB529_460:
	s_or_b64 exec, exec, s[12:13]
	s_mov_b32 s11, 0xffffff
	v_cmp_lt_u32_e32 vcc, s11, v20
	v_mov_b32_e32 v19, 0
	v_mov_b32_e32 v26, 0
	s_and_saveexec_b64 s[12:13], vcc
	s_cbranch_execz .LBB529_466
; %bb.461:
	v_lshrrev_b32_e32 v18, 24, v20
	s_movk_i32 s11, 0x80
	v_cmp_ne_u32_e32 vcc, s11, v18
	v_bfrev_b32_e32 v26, 1
	s_and_saveexec_b64 s[14:15], vcc
	s_cbranch_execz .LBB529_465
; %bb.462:
	v_bfe_u32 v22, v20, 24, 7
	s_movk_i32 s11, 0x7f
	v_cmp_ne_u32_e32 vcc, s11, v22
	v_mov_b32_e32 v26, 0x7f800001
	s_and_saveexec_b64 s[24:25], vcc
	s_cbranch_execz .LBB529_464
; %bb.463:
	v_and_b32_e32 v28, 7, v18
	v_ffbh_u32_e32 v26, v28
	v_min_u32_e32 v30, 32, v26
	v_subrev_u32_e32 v26, 28, v30
	v_lshlrev_b64 v[26:27], v26, v[18:19]
	v_lshrrev_b32_e32 v29, 3, v22
	v_sub_u32_e32 v27, 29, v30
	v_and_b32_e32 v26, 7, v26
	v_cmp_gt_u32_e32 vcc, 8, v22
	v_cndmask_b32_e32 v22, v29, v27, vcc
	v_cndmask_b32_e32 v26, v28, v26, vcc
	v_lshlrev_b32_e32 v18, 24, v18
	v_bfrev_b32_e32 v27, 60
	v_lshlrev_b32_e32 v26, 20, v26
	v_and_b32_e32 v18, 0x80000000, v18
	v_lshl_add_u32 v22, v22, 23, v27
	v_or3_b32 v26, v18, v22, v26
.LBB529_464:
	s_or_b64 exec, exec, s[24:25]
.LBB529_465:
	s_or_b64 exec, exec, s[14:15]
.LBB529_466:
	s_or_b64 exec, exec, s[12:13]
	v_mov_b32_e32 v18, v21
	v_cmp_ne_u16_sdwa s[14:15], v21, v19 src0_sel:BYTE_0 src1_sel:DWORD
	s_and_saveexec_b64 s[12:13], s[14:15]
	s_cbranch_execz .LBB529_472
; %bb.467:
	s_movk_i32 s11, 0x80
	v_cmp_ne_u16_sdwa s[24:25], v21, s11 src0_sel:BYTE_0 src1_sel:DWORD
	v_bfrev_b32_e32 v22, 1
	s_and_saveexec_b64 s[14:15], s[24:25]
	s_cbranch_execz .LBB529_471
; %bb.468:
	s_movk_i32 s11, 0x7f
	v_and_b32_e32 v27, 0x7f, v21
	v_cmp_ne_u32_e32 vcc, s11, v27
	v_mov_b32_e32 v22, 0x7f800001
	s_and_saveexec_b64 s[24:25], vcc
	s_cbranch_execz .LBB529_470
; %bb.469:
	v_and_b32_e32 v22, 7, v21
	v_ffbh_u32_e32 v22, v22
	v_min_u32_e32 v22, 32, v22
	v_subrev_u32_e32 v29, 28, v22
	v_cmp_gt_u32_e32 vcc, 8, v27
	v_lshrrev_b32_e32 v28, 3, v27
	v_sub_u32_e32 v22, 29, v22
	v_cndmask_b32_e32 v27, 0, v29, vcc
	v_cndmask_b32_e32 v22, v28, v22, vcc
	v_lshlrev_b64 v[28:29], v27, v[18:19]
	v_lshlrev_b32_e32 v19, 20, v28
	v_lshlrev_b32_e32 v27, 24, v18
	v_bfrev_b32_e32 v28, 60
	v_and_b32_e32 v19, 0x700000, v19
	v_and_b32_e32 v27, 0x80000000, v27
	v_lshl_add_u32 v22, v22, 23, v28
	v_or3_b32 v22, v27, v22, v19
.LBB529_470:
	s_or_b64 exec, exec, s[24:25]
.LBB529_471:
	s_or_b64 exec, exec, s[14:15]
	v_mov_b32_e32 v19, v22
.LBB529_472:
	s_or_b64 exec, exec, s[12:13]
	v_lshrrev_b16_e32 v22, 8, v18
	v_cmp_ne_u16_e32 vcc, 0, v22
	v_mov_b32_e32 v27, 0
	v_mov_b32_e32 v28, 0
	s_and_saveexec_b64 s[12:13], vcc
	s_cbranch_execz .LBB529_478
; %bb.473:
	s_movk_i32 s11, 0x80
	v_cmp_ne_u16_e32 vcc, s11, v22
	v_bfrev_b32_e32 v28, 1
	s_and_saveexec_b64 s[14:15], vcc
	s_cbranch_execz .LBB529_477
; %bb.474:
	s_movk_i32 s11, 0x7f
	v_and_b32_e32 v29, 0x7f, v22
	v_cmp_ne_u32_e32 vcc, s11, v29
	v_mov_b32_e32 v28, 0x7f800001
	s_and_saveexec_b64 s[24:25], vcc
	s_cbranch_execz .LBB529_476
; %bb.475:
	v_and_b32_e32 v28, 7, v22
	v_ffbh_u32_e32 v30, v28
	v_min_u32_e32 v33, 32, v30
	v_subrev_u32_e32 v30, 28, v33
	v_lshlrev_b64 v[30:31], v30, v[22:23]
	v_lshrrev_b32_e32 v32, 3, v29
	v_sub_u32_e32 v22, 29, v33
	v_and_b32_e32 v30, 7, v30
	v_cmp_gt_u32_e32 vcc, 8, v29
	v_cndmask_b32_e32 v22, v32, v22, vcc
	v_cndmask_b32_e32 v28, v28, v30, vcc
	v_lshlrev_b32_e32 v18, 16, v18
	v_bfrev_b32_e32 v29, 60
	v_lshlrev_b32_e32 v28, 20, v28
	v_and_b32_e32 v18, 0x80000000, v18
	v_lshl_add_u32 v22, v22, 23, v29
	v_or3_b32 v28, v18, v22, v28
.LBB529_476:
	s_or_b64 exec, exec, s[24:25]
.LBB529_477:
	s_or_b64 exec, exec, s[14:15]
.LBB529_478:
	s_or_b64 exec, exec, s[12:13]
	s_movk_i32 s11, 0xff
	v_and_b32_sdwa v22, v21, s11 dst_sel:DWORD dst_unused:UNUSED_PAD src0_sel:WORD_1 src1_sel:DWORD
	v_lshrrev_b32_e32 v18, 16, v21
	v_cmp_ne_u16_e32 vcc, 0, v22
	s_and_saveexec_b64 s[12:13], vcc
	s_cbranch_execz .LBB529_484
; %bb.479:
	s_movk_i32 s11, 0x80
	v_cmp_ne_u16_e32 vcc, s11, v22
	v_bfrev_b32_e32 v27, 1
	s_and_saveexec_b64 s[14:15], vcc
	s_cbranch_execz .LBB529_483
; %bb.480:
	v_bfe_u32 v22, v21, 16, 7
	s_movk_i32 s11, 0x7f
	v_cmp_ne_u32_e32 vcc, s11, v22
	v_mov_b32_e32 v27, 0x7f800001
	s_and_saveexec_b64 s[24:25], vcc
	s_cbranch_execz .LBB529_482
; %bb.481:
	v_and_b32_e32 v27, 7, v18
	v_ffbh_u32_e32 v30, v27
	v_min_u32_e32 v32, 32, v30
	v_subrev_u32_e32 v30, 28, v32
	v_lshlrev_b64 v[30:31], v30, v[18:19]
	v_and_b32_e32 v30, 7, v30
	v_cmp_gt_u32_e32 vcc, 8, v22
	v_lshrrev_b32_e32 v29, 3, v22
	v_sub_u32_e32 v18, 29, v32
	v_cndmask_b32_e32 v22, v27, v30, vcc
	v_mov_b32_e32 v27, 24
	v_cndmask_b32_e32 v18, v29, v18, vcc
	v_lshlrev_b32_sdwa v27, v27, v21 dst_sel:DWORD dst_unused:UNUSED_PAD src0_sel:DWORD src1_sel:WORD_1
	v_bfrev_b32_e32 v29, 60
	v_lshlrev_b32_e32 v22, 20, v22
	v_and_b32_e32 v27, 0x80000000, v27
	v_lshl_add_u32 v18, v18, 23, v29
	v_or3_b32 v27, v27, v18, v22
.LBB529_482:
	s_or_b64 exec, exec, s[24:25]
.LBB529_483:
	s_or_b64 exec, exec, s[14:15]
.LBB529_484:
	s_or_b64 exec, exec, s[12:13]
	s_mov_b32 s12, -1
	s_mov_b32 s13, 0xffffff
	v_cmp_lt_u64_e32 vcc, s[12:13], v[20:21]
	v_mov_b32_e32 v22, 0
	v_mov_b32_e32 v20, 0
	s_and_saveexec_b64 s[12:13], vcc
	s_cbranch_execz .LBB529_490
; %bb.485:
	v_lshrrev_b32_e32 v18, 24, v21
	s_movk_i32 s11, 0x80
	v_cmp_ne_u32_e32 vcc, s11, v18
	v_bfrev_b32_e32 v20, 1
	s_and_saveexec_b64 s[14:15], vcc
	s_cbranch_execz .LBB529_489
; %bb.486:
	v_bfe_u32 v21, v21, 24, 7
	s_movk_i32 s11, 0x7f
	v_cmp_ne_u32_e32 vcc, s11, v21
	v_mov_b32_e32 v20, 0x7f800001
	s_and_saveexec_b64 s[24:25], vcc
	s_cbranch_execz .LBB529_488
; %bb.487:
	v_and_b32_e32 v20, 7, v18
	v_ffbh_u32_e32 v30, v20
	v_min_u32_e32 v32, 32, v30
	v_subrev_u32_e32 v30, 28, v32
	v_lshlrev_b64 v[30:31], v30, v[18:19]
	v_lshrrev_b32_e32 v29, 3, v21
	v_sub_u32_e32 v31, 29, v32
	v_and_b32_e32 v30, 7, v30
	v_cmp_gt_u32_e32 vcc, 8, v21
	v_cndmask_b32_e32 v21, v29, v31, vcc
	v_cndmask_b32_e32 v20, v20, v30, vcc
	v_lshlrev_b32_e32 v18, 24, v18
	v_bfrev_b32_e32 v29, 60
	v_lshlrev_b32_e32 v20, 20, v20
	v_and_b32_e32 v18, 0x80000000, v18
	v_lshl_add_u32 v21, v21, 23, v29
	v_or3_b32 v20, v18, v21, v20
.LBB529_488:
	s_or_b64 exec, exec, s[24:25]
.LBB529_489:
	s_or_b64 exec, exec, s[14:15]
.LBB529_490:
	s_or_b64 exec, exec, s[12:13]
	v_cvt_pkrtz_f16_f32 v24, v24, v25
	v_cvt_pkrtz_f16_f32 v25, v23, v26
	;; [unrolled: 1-line block ×4, first 2 shown]
	v_mfma_f32_4x4x4f16 a[0:3], v[2:3], v[24:25], a[0:3] cbsz:4 abid:9
	v_cmp_ne_u16_sdwa s[14:15], v14, v22 src0_sel:BYTE_0 src1_sel:DWORD
	v_mfma_f32_4x4x4f16 a[0:3], v[4:5], v[18:19], a[0:3] cbsz:4 abid:9
	s_and_saveexec_b64 s[12:13], s[14:15]
	s_cbranch_execz .LBB529_496
; %bb.491:
	s_movk_i32 s11, 0x80
	v_cmp_ne_u16_sdwa s[24:25], v14, s11 src0_sel:BYTE_0 src1_sel:DWORD
	v_bfrev_b32_e32 v22, 1
	s_and_saveexec_b64 s[14:15], s[24:25]
	s_cbranch_execz .LBB529_495
; %bb.492:
	s_movk_i32 s11, 0x7f
	v_and_b32_e32 v18, 0x7f, v14
	v_cmp_ne_u32_e32 vcc, s11, v18
	v_mov_b32_e32 v22, 0x7f800001
	s_and_saveexec_b64 s[24:25], vcc
	s_cbranch_execz .LBB529_494
; %bb.493:
	v_and_b32_e32 v19, 7, v14
	v_ffbh_u32_e32 v19, v19
	v_min_u32_e32 v19, 32, v19
	v_subrev_u32_e32 v21, 28, v19
	v_cmp_gt_u32_e32 vcc, 8, v18
	v_lshrrev_b32_e32 v20, 3, v18
	v_sub_u32_e32 v19, 29, v19
	v_cndmask_b32_e32 v18, 0, v21, vcc
	v_cndmask_b32_e32 v20, v20, v19, vcc
	v_lshlrev_b64 v[18:19], v18, v[14:15]
	v_lshlrev_b32_e32 v18, 20, v18
	v_lshlrev_b32_e32 v19, 24, v14
	v_bfrev_b32_e32 v21, 60
	v_and_b32_e32 v18, 0x700000, v18
	v_and_b32_e32 v19, 0x80000000, v19
	v_lshl_add_u32 v20, v20, 23, v21
	v_or3_b32 v22, v19, v20, v18
.LBB529_494:
	s_or_b64 exec, exec, s[24:25]
.LBB529_495:
	s_or_b64 exec, exec, s[14:15]
.LBB529_496:
	s_or_b64 exec, exec, s[12:13]
	v_lshrrev_b16_e32 v18, 8, v14
	v_cmp_ne_u16_e32 vcc, 0, v18
	v_mov_b32_e32 v21, 0
	v_mov_b32_e32 v23, 0
	s_and_saveexec_b64 s[12:13], vcc
	s_cbranch_execz .LBB529_502
; %bb.497:
	s_movk_i32 s11, 0x80
	v_cmp_ne_u16_e32 vcc, s11, v18
	v_bfrev_b32_e32 v23, 1
	s_and_saveexec_b64 s[14:15], vcc
	s_cbranch_execz .LBB529_501
; %bb.498:
	s_movk_i32 s11, 0x7f
	v_and_b32_e32 v19, 0x7f, v18
	v_cmp_ne_u32_e32 vcc, s11, v19
	v_mov_b32_e32 v23, 0x7f800001
	s_and_saveexec_b64 s[24:25], vcc
	s_cbranch_execz .LBB529_500
; %bb.499:
	v_and_b32_e32 v20, 7, v18
	v_ffbh_u32_e32 v24, v20
	v_min_u32_e32 v26, 32, v24
	v_subrev_u32_e32 v24, 28, v26
	v_lshlrev_b64 v[24:25], v24, v[18:19]
	v_lshrrev_b32_e32 v23, 3, v19
	v_sub_u32_e32 v18, 29, v26
	v_and_b32_e32 v24, 7, v24
	v_cmp_gt_u32_e32 vcc, 8, v19
	v_cndmask_b32_e32 v18, v23, v18, vcc
	v_cndmask_b32_e32 v19, v20, v24, vcc
	v_lshlrev_b32_e32 v20, 16, v14
	v_bfrev_b32_e32 v23, 60
	v_lshlrev_b32_e32 v19, 20, v19
	v_and_b32_e32 v20, 0x80000000, v20
	v_lshl_add_u32 v18, v18, 23, v23
	v_or3_b32 v23, v20, v18, v19
.LBB529_500:
	s_or_b64 exec, exec, s[24:25]
.LBB529_501:
	s_or_b64 exec, exec, s[14:15]
.LBB529_502:
	s_or_b64 exec, exec, s[12:13]
	s_movk_i32 s11, 0xff
	v_and_b32_sdwa v19, v14, s11 dst_sel:DWORD dst_unused:UNUSED_PAD src0_sel:WORD_1 src1_sel:DWORD
	v_lshrrev_b32_e32 v18, 16, v14
	v_cmp_ne_u16_e32 vcc, 0, v19
	s_and_saveexec_b64 s[12:13], vcc
	s_cbranch_execz .LBB529_508
; %bb.503:
	s_movk_i32 s11, 0x80
	v_cmp_ne_u16_e32 vcc, s11, v19
	v_bfrev_b32_e32 v21, 1
	s_and_saveexec_b64 s[14:15], vcc
	s_cbranch_execz .LBB529_507
; %bb.504:
	v_bfe_u32 v19, v14, 16, 7
	s_movk_i32 s11, 0x7f
	v_cmp_ne_u32_e32 vcc, s11, v19
	v_mov_b32_e32 v21, 0x7f800001
	s_and_saveexec_b64 s[24:25], vcc
	s_cbranch_execz .LBB529_506
; %bb.505:
	v_and_b32_e32 v24, 7, v18
	v_ffbh_u32_e32 v20, v24
	v_min_u32_e32 v26, 32, v20
	v_subrev_u32_e32 v20, 28, v26
	v_lshlrev_b64 v[20:21], v20, v[18:19]
	v_and_b32_e32 v20, 7, v20
	v_cmp_gt_u32_e32 vcc, 8, v19
	v_lshrrev_b32_e32 v25, 3, v19
	v_sub_u32_e32 v18, 29, v26
	v_cndmask_b32_e32 v19, v24, v20, vcc
	v_mov_b32_e32 v20, 24
	v_cndmask_b32_e32 v18, v25, v18, vcc
	v_lshlrev_b32_sdwa v20, v20, v14 dst_sel:DWORD dst_unused:UNUSED_PAD src0_sel:DWORD src1_sel:WORD_1
	v_bfrev_b32_e32 v21, 60
	v_lshlrev_b32_e32 v19, 20, v19
	v_and_b32_e32 v20, 0x80000000, v20
	v_lshl_add_u32 v18, v18, 23, v21
	v_or3_b32 v21, v20, v18, v19
.LBB529_506:
	s_or_b64 exec, exec, s[24:25]
.LBB529_507:
	s_or_b64 exec, exec, s[14:15]
.LBB529_508:
	s_or_b64 exec, exec, s[12:13]
	s_mov_b32 s11, 0xffffff
	v_cmp_lt_u32_e32 vcc, s11, v14
	v_mov_b32_e32 v19, 0
	v_mov_b32_e32 v24, 0
	s_and_saveexec_b64 s[12:13], vcc
	s_cbranch_execz .LBB529_514
; %bb.509:
	v_lshrrev_b32_e32 v18, 24, v14
	s_movk_i32 s11, 0x80
	v_cmp_ne_u32_e32 vcc, s11, v18
	v_bfrev_b32_e32 v24, 1
	s_and_saveexec_b64 s[14:15], vcc
	s_cbranch_execz .LBB529_513
; %bb.510:
	v_bfe_u32 v20, v14, 24, 7
	s_movk_i32 s11, 0x7f
	v_cmp_ne_u32_e32 vcc, s11, v20
	v_mov_b32_e32 v24, 0x7f800001
	s_and_saveexec_b64 s[24:25], vcc
	s_cbranch_execz .LBB529_512
; %bb.511:
	v_and_b32_e32 v26, 7, v18
	v_ffbh_u32_e32 v24, v26
	v_min_u32_e32 v28, 32, v24
	v_subrev_u32_e32 v24, 28, v28
	v_lshlrev_b64 v[24:25], v24, v[18:19]
	v_lshrrev_b32_e32 v27, 3, v20
	v_sub_u32_e32 v25, 29, v28
	v_and_b32_e32 v24, 7, v24
	v_cmp_gt_u32_e32 vcc, 8, v20
	v_cndmask_b32_e32 v20, v27, v25, vcc
	v_cndmask_b32_e32 v24, v26, v24, vcc
	v_lshlrev_b32_e32 v18, 24, v18
	v_bfrev_b32_e32 v25, 60
	v_lshlrev_b32_e32 v24, 20, v24
	v_and_b32_e32 v18, 0x80000000, v18
	v_lshl_add_u32 v20, v20, 23, v25
	v_or3_b32 v24, v18, v20, v24
.LBB529_512:
	s_or_b64 exec, exec, s[24:25]
.LBB529_513:
	s_or_b64 exec, exec, s[14:15]
.LBB529_514:
	s_or_b64 exec, exec, s[12:13]
	v_mov_b32_e32 v18, v15
	v_cmp_ne_u16_sdwa s[14:15], v15, v19 src0_sel:BYTE_0 src1_sel:DWORD
	s_and_saveexec_b64 s[12:13], s[14:15]
	s_cbranch_execz .LBB529_520
; %bb.515:
	s_movk_i32 s11, 0x80
	v_cmp_ne_u16_sdwa s[24:25], v15, s11 src0_sel:BYTE_0 src1_sel:DWORD
	v_bfrev_b32_e32 v20, 1
	s_and_saveexec_b64 s[14:15], s[24:25]
	s_cbranch_execz .LBB529_519
; %bb.516:
	s_movk_i32 s11, 0x7f
	v_and_b32_e32 v25, 0x7f, v15
	v_cmp_ne_u32_e32 vcc, s11, v25
	v_mov_b32_e32 v20, 0x7f800001
	s_and_saveexec_b64 s[24:25], vcc
	s_cbranch_execz .LBB529_518
; %bb.517:
	v_and_b32_e32 v20, 7, v15
	v_ffbh_u32_e32 v20, v20
	v_min_u32_e32 v20, 32, v20
	v_subrev_u32_e32 v27, 28, v20
	v_cmp_gt_u32_e32 vcc, 8, v25
	v_lshrrev_b32_e32 v26, 3, v25
	v_sub_u32_e32 v20, 29, v20
	v_cndmask_b32_e32 v25, 0, v27, vcc
	v_cndmask_b32_e32 v20, v26, v20, vcc
	v_lshlrev_b64 v[26:27], v25, v[18:19]
	v_lshlrev_b32_e32 v19, 20, v26
	v_lshlrev_b32_e32 v25, 24, v18
	v_bfrev_b32_e32 v26, 60
	v_and_b32_e32 v19, 0x700000, v19
	v_and_b32_e32 v25, 0x80000000, v25
	v_lshl_add_u32 v20, v20, 23, v26
	v_or3_b32 v20, v25, v20, v19
.LBB529_518:
	s_or_b64 exec, exec, s[24:25]
.LBB529_519:
	s_or_b64 exec, exec, s[14:15]
	v_mov_b32_e32 v19, v20
.LBB529_520:
	s_or_b64 exec, exec, s[12:13]
	v_lshrrev_b16_e32 v20, 8, v18
	v_cmp_ne_u16_e32 vcc, 0, v20
	v_mov_b32_e32 v25, 0
	v_mov_b32_e32 v26, 0
	s_and_saveexec_b64 s[12:13], vcc
	s_cbranch_execz .LBB529_526
; %bb.521:
	s_movk_i32 s11, 0x80
	v_cmp_ne_u16_e32 vcc, s11, v20
	v_bfrev_b32_e32 v26, 1
	s_and_saveexec_b64 s[14:15], vcc
	s_cbranch_execz .LBB529_525
; %bb.522:
	s_movk_i32 s11, 0x7f
	v_and_b32_e32 v27, 0x7f, v20
	v_cmp_ne_u32_e32 vcc, s11, v27
	v_mov_b32_e32 v26, 0x7f800001
	s_and_saveexec_b64 s[24:25], vcc
	s_cbranch_execz .LBB529_524
; %bb.523:
	v_and_b32_e32 v26, 7, v20
	v_ffbh_u32_e32 v28, v26
	v_min_u32_e32 v31, 32, v28
	v_subrev_u32_e32 v28, 28, v31
	v_lshlrev_b64 v[28:29], v28, v[20:21]
	v_lshrrev_b32_e32 v30, 3, v27
	v_sub_u32_e32 v20, 29, v31
	v_and_b32_e32 v28, 7, v28
	v_cmp_gt_u32_e32 vcc, 8, v27
	v_cndmask_b32_e32 v20, v30, v20, vcc
	v_cndmask_b32_e32 v26, v26, v28, vcc
	v_lshlrev_b32_e32 v18, 16, v18
	v_bfrev_b32_e32 v27, 60
	v_lshlrev_b32_e32 v26, 20, v26
	v_and_b32_e32 v18, 0x80000000, v18
	v_lshl_add_u32 v20, v20, 23, v27
	v_or3_b32 v26, v18, v20, v26
.LBB529_524:
	s_or_b64 exec, exec, s[24:25]
.LBB529_525:
	s_or_b64 exec, exec, s[14:15]
.LBB529_526:
	s_or_b64 exec, exec, s[12:13]
	s_movk_i32 s11, 0xff
	v_and_b32_sdwa v20, v15, s11 dst_sel:DWORD dst_unused:UNUSED_PAD src0_sel:WORD_1 src1_sel:DWORD
	v_lshrrev_b32_e32 v18, 16, v15
	v_cmp_ne_u16_e32 vcc, 0, v20
	s_and_saveexec_b64 s[12:13], vcc
	s_cbranch_execz .LBB529_532
; %bb.527:
	s_movk_i32 s11, 0x80
	v_cmp_ne_u16_e32 vcc, s11, v20
	v_bfrev_b32_e32 v25, 1
	s_and_saveexec_b64 s[14:15], vcc
	s_cbranch_execz .LBB529_531
; %bb.528:
	v_bfe_u32 v20, v15, 16, 7
	s_movk_i32 s11, 0x7f
	v_cmp_ne_u32_e32 vcc, s11, v20
	v_mov_b32_e32 v25, 0x7f800001
	s_and_saveexec_b64 s[24:25], vcc
	s_cbranch_execz .LBB529_530
; %bb.529:
	v_and_b32_e32 v25, 7, v18
	v_ffbh_u32_e32 v28, v25
	v_min_u32_e32 v30, 32, v28
	v_subrev_u32_e32 v28, 28, v30
	v_lshlrev_b64 v[28:29], v28, v[18:19]
	v_and_b32_e32 v28, 7, v28
	v_cmp_gt_u32_e32 vcc, 8, v20
	v_lshrrev_b32_e32 v27, 3, v20
	v_sub_u32_e32 v18, 29, v30
	v_cndmask_b32_e32 v20, v25, v28, vcc
	v_mov_b32_e32 v25, 24
	v_cndmask_b32_e32 v18, v27, v18, vcc
	v_lshlrev_b32_sdwa v25, v25, v15 dst_sel:DWORD dst_unused:UNUSED_PAD src0_sel:DWORD src1_sel:WORD_1
	v_bfrev_b32_e32 v27, 60
	v_lshlrev_b32_e32 v20, 20, v20
	v_and_b32_e32 v25, 0x80000000, v25
	v_lshl_add_u32 v18, v18, 23, v27
	v_or3_b32 v25, v25, v18, v20
.LBB529_530:
	s_or_b64 exec, exec, s[24:25]
.LBB529_531:
	s_or_b64 exec, exec, s[14:15]
.LBB529_532:
	s_or_b64 exec, exec, s[12:13]
	s_mov_b32 s12, -1
	s_mov_b32 s13, 0xffffff
	v_cmp_lt_u64_e32 vcc, s[12:13], v[14:15]
	v_mov_b32_e32 v20, 0
	v_mov_b32_e32 v18, 0
	s_and_saveexec_b64 s[12:13], vcc
	s_cbranch_execz .LBB529_538
; %bb.533:
	v_lshrrev_b32_e32 v14, 24, v15
	s_movk_i32 s11, 0x80
	v_cmp_ne_u32_e32 vcc, s11, v14
	v_bfrev_b32_e32 v18, 1
	s_and_saveexec_b64 s[14:15], vcc
	s_cbranch_execz .LBB529_537
; %bb.534:
	v_bfe_u32 v15, v15, 24, 7
	s_movk_i32 s11, 0x7f
	v_cmp_ne_u32_e32 vcc, s11, v15
	v_mov_b32_e32 v18, 0x7f800001
	s_and_saveexec_b64 s[24:25], vcc
	s_cbranch_execz .LBB529_536
; %bb.535:
	v_and_b32_e32 v18, 7, v14
	v_ffbh_u32_e32 v28, v18
	v_min_u32_e32 v30, 32, v28
	v_subrev_u32_e32 v28, 28, v30
	v_lshlrev_b64 v[28:29], v28, v[14:15]
	v_lshrrev_b32_e32 v27, 3, v15
	v_sub_u32_e32 v29, 29, v30
	v_and_b32_e32 v28, 7, v28
	v_cmp_gt_u32_e32 vcc, 8, v15
	v_cndmask_b32_e32 v15, v27, v29, vcc
	v_cndmask_b32_e32 v18, v18, v28, vcc
	v_lshlrev_b32_e32 v14, 24, v14
	v_bfrev_b32_e32 v27, 60
	v_lshlrev_b32_e32 v18, 20, v18
	v_and_b32_e32 v14, 0x80000000, v14
	v_lshl_add_u32 v15, v15, 23, v27
	v_or3_b32 v18, v14, v15, v18
.LBB529_536:
	s_or_b64 exec, exec, s[24:25]
.LBB529_537:
	s_or_b64 exec, exec, s[14:15]
.LBB529_538:
	s_or_b64 exec, exec, s[12:13]
	v_cvt_pkrtz_f16_f32 v14, v22, v23
	v_cvt_pkrtz_f16_f32 v15, v21, v24
	;; [unrolled: 1-line block ×4, first 2 shown]
	v_mfma_f32_4x4x4f16 a[0:3], v[2:3], v[14:15], a[0:3] cbsz:4 abid:10
	v_cmp_ne_u16_sdwa s[14:15], v16, v20 src0_sel:BYTE_0 src1_sel:DWORD
	v_mfma_f32_4x4x4f16 a[0:3], v[4:5], v[22:23], a[0:3] cbsz:4 abid:10
	s_and_saveexec_b64 s[12:13], s[14:15]
	s_cbranch_execz .LBB529_544
; %bb.539:
	s_movk_i32 s11, 0x80
	v_cmp_ne_u16_sdwa s[24:25], v16, s11 src0_sel:BYTE_0 src1_sel:DWORD
	v_bfrev_b32_e32 v20, 1
	s_and_saveexec_b64 s[14:15], s[24:25]
	s_cbranch_execz .LBB529_543
; %bb.540:
	s_movk_i32 s11, 0x7f
	v_and_b32_e32 v14, 0x7f, v16
	v_cmp_ne_u32_e32 vcc, s11, v14
	v_mov_b32_e32 v20, 0x7f800001
	s_and_saveexec_b64 s[24:25], vcc
	s_cbranch_execz .LBB529_542
; %bb.541:
	v_and_b32_e32 v15, 7, v16
	v_ffbh_u32_e32 v15, v15
	v_min_u32_e32 v15, 32, v15
	v_subrev_u32_e32 v19, 28, v15
	v_cmp_gt_u32_e32 vcc, 8, v14
	v_lshrrev_b32_e32 v18, 3, v14
	v_sub_u32_e32 v15, 29, v15
	v_cndmask_b32_e32 v14, 0, v19, vcc
	v_cndmask_b32_e32 v18, v18, v15, vcc
	v_lshlrev_b64 v[14:15], v14, v[16:17]
	v_lshlrev_b32_e32 v14, 20, v14
	v_lshlrev_b32_e32 v15, 24, v16
	v_bfrev_b32_e32 v19, 60
	v_and_b32_e32 v14, 0x700000, v14
	v_and_b32_e32 v15, 0x80000000, v15
	v_lshl_add_u32 v18, v18, 23, v19
	v_or3_b32 v20, v15, v18, v14
.LBB529_542:
	s_or_b64 exec, exec, s[24:25]
.LBB529_543:
	s_or_b64 exec, exec, s[14:15]
.LBB529_544:
	s_or_b64 exec, exec, s[12:13]
	v_lshrrev_b16_e32 v14, 8, v16
	v_cmp_ne_u16_e32 vcc, 0, v14
	v_mov_b32_e32 v19, 0
	v_mov_b32_e32 v21, 0
	s_and_saveexec_b64 s[12:13], vcc
	s_cbranch_execz .LBB529_550
; %bb.545:
	s_movk_i32 s11, 0x80
	v_cmp_ne_u16_e32 vcc, s11, v14
	v_bfrev_b32_e32 v21, 1
	s_and_saveexec_b64 s[14:15], vcc
	s_cbranch_execz .LBB529_549
; %bb.546:
	s_movk_i32 s11, 0x7f
	v_and_b32_e32 v15, 0x7f, v14
	v_cmp_ne_u32_e32 vcc, s11, v15
	v_mov_b32_e32 v21, 0x7f800001
	s_and_saveexec_b64 s[24:25], vcc
	s_cbranch_execz .LBB529_548
; %bb.547:
	v_and_b32_e32 v18, 7, v14
	v_ffbh_u32_e32 v22, v18
	v_min_u32_e32 v24, 32, v22
	v_subrev_u32_e32 v22, 28, v24
	v_lshlrev_b64 v[22:23], v22, v[14:15]
	v_lshrrev_b32_e32 v21, 3, v15
	v_sub_u32_e32 v14, 29, v24
	v_and_b32_e32 v22, 7, v22
	v_cmp_gt_u32_e32 vcc, 8, v15
	v_cndmask_b32_e32 v14, v21, v14, vcc
	v_cndmask_b32_e32 v15, v18, v22, vcc
	v_lshlrev_b32_e32 v18, 16, v16
	v_bfrev_b32_e32 v21, 60
	v_lshlrev_b32_e32 v15, 20, v15
	v_and_b32_e32 v18, 0x80000000, v18
	v_lshl_add_u32 v14, v14, 23, v21
	v_or3_b32 v21, v18, v14, v15
.LBB529_548:
	s_or_b64 exec, exec, s[24:25]
.LBB529_549:
	s_or_b64 exec, exec, s[14:15]
.LBB529_550:
	s_or_b64 exec, exec, s[12:13]
	s_movk_i32 s11, 0xff
	v_and_b32_sdwa v15, v16, s11 dst_sel:DWORD dst_unused:UNUSED_PAD src0_sel:WORD_1 src1_sel:DWORD
	v_lshrrev_b32_e32 v14, 16, v16
	v_cmp_ne_u16_e32 vcc, 0, v15
	s_and_saveexec_b64 s[12:13], vcc
	s_cbranch_execz .LBB529_556
; %bb.551:
	s_movk_i32 s11, 0x80
	v_cmp_ne_u16_e32 vcc, s11, v15
	v_bfrev_b32_e32 v19, 1
	s_and_saveexec_b64 s[14:15], vcc
	s_cbranch_execz .LBB529_555
; %bb.552:
	v_bfe_u32 v15, v16, 16, 7
	s_movk_i32 s11, 0x7f
	v_cmp_ne_u32_e32 vcc, s11, v15
	v_mov_b32_e32 v19, 0x7f800001
	s_and_saveexec_b64 s[24:25], vcc
	s_cbranch_execz .LBB529_554
; %bb.553:
	v_and_b32_e32 v22, 7, v14
	v_ffbh_u32_e32 v18, v22
	v_min_u32_e32 v24, 32, v18
	v_subrev_u32_e32 v18, 28, v24
	v_lshlrev_b64 v[18:19], v18, v[14:15]
	v_and_b32_e32 v18, 7, v18
	v_cmp_gt_u32_e32 vcc, 8, v15
	v_lshrrev_b32_e32 v23, 3, v15
	v_sub_u32_e32 v14, 29, v24
	v_cndmask_b32_e32 v15, v22, v18, vcc
	v_mov_b32_e32 v18, 24
	v_cndmask_b32_e32 v14, v23, v14, vcc
	v_lshlrev_b32_sdwa v18, v18, v16 dst_sel:DWORD dst_unused:UNUSED_PAD src0_sel:DWORD src1_sel:WORD_1
	v_bfrev_b32_e32 v19, 60
	v_lshlrev_b32_e32 v15, 20, v15
	v_and_b32_e32 v18, 0x80000000, v18
	v_lshl_add_u32 v14, v14, 23, v19
	v_or3_b32 v19, v18, v14, v15
.LBB529_554:
	s_or_b64 exec, exec, s[24:25]
.LBB529_555:
	s_or_b64 exec, exec, s[14:15]
.LBB529_556:
	s_or_b64 exec, exec, s[12:13]
	s_mov_b32 s11, 0xffffff
	v_cmp_lt_u32_e32 vcc, s11, v16
	v_mov_b32_e32 v15, 0
	v_mov_b32_e32 v22, 0
	s_and_saveexec_b64 s[12:13], vcc
	s_cbranch_execz .LBB529_562
; %bb.557:
	v_lshrrev_b32_e32 v14, 24, v16
	s_movk_i32 s11, 0x80
	v_cmp_ne_u32_e32 vcc, s11, v14
	v_bfrev_b32_e32 v22, 1
	s_and_saveexec_b64 s[14:15], vcc
	s_cbranch_execz .LBB529_561
; %bb.558:
	v_bfe_u32 v18, v16, 24, 7
	s_movk_i32 s11, 0x7f
	v_cmp_ne_u32_e32 vcc, s11, v18
	v_mov_b32_e32 v22, 0x7f800001
	s_and_saveexec_b64 s[24:25], vcc
	s_cbranch_execz .LBB529_560
; %bb.559:
	v_and_b32_e32 v24, 7, v14
	v_ffbh_u32_e32 v22, v24
	v_min_u32_e32 v26, 32, v22
	v_subrev_u32_e32 v22, 28, v26
	v_lshlrev_b64 v[22:23], v22, v[14:15]
	v_lshrrev_b32_e32 v25, 3, v18
	v_sub_u32_e32 v23, 29, v26
	v_and_b32_e32 v22, 7, v22
	v_cmp_gt_u32_e32 vcc, 8, v18
	v_cndmask_b32_e32 v18, v25, v23, vcc
	v_cndmask_b32_e32 v22, v24, v22, vcc
	v_lshlrev_b32_e32 v14, 24, v14
	v_bfrev_b32_e32 v23, 60
	v_lshlrev_b32_e32 v22, 20, v22
	v_and_b32_e32 v14, 0x80000000, v14
	v_lshl_add_u32 v18, v18, 23, v23
	v_or3_b32 v22, v14, v18, v22
.LBB529_560:
	s_or_b64 exec, exec, s[24:25]
.LBB529_561:
	s_or_b64 exec, exec, s[14:15]
.LBB529_562:
	s_or_b64 exec, exec, s[12:13]
	v_mov_b32_e32 v14, v17
	v_cmp_ne_u16_sdwa s[14:15], v17, v15 src0_sel:BYTE_0 src1_sel:DWORD
	s_and_saveexec_b64 s[12:13], s[14:15]
	s_cbranch_execz .LBB529_568
; %bb.563:
	s_movk_i32 s11, 0x80
	v_cmp_ne_u16_sdwa s[24:25], v17, s11 src0_sel:BYTE_0 src1_sel:DWORD
	v_bfrev_b32_e32 v18, 1
	s_and_saveexec_b64 s[14:15], s[24:25]
	s_cbranch_execz .LBB529_567
; %bb.564:
	s_movk_i32 s11, 0x7f
	v_and_b32_e32 v23, 0x7f, v17
	v_cmp_ne_u32_e32 vcc, s11, v23
	v_mov_b32_e32 v18, 0x7f800001
	s_and_saveexec_b64 s[24:25], vcc
	s_cbranch_execz .LBB529_566
; %bb.565:
	v_and_b32_e32 v18, 7, v17
	v_ffbh_u32_e32 v18, v18
	v_min_u32_e32 v18, 32, v18
	v_subrev_u32_e32 v25, 28, v18
	v_cmp_gt_u32_e32 vcc, 8, v23
	v_lshrrev_b32_e32 v24, 3, v23
	v_sub_u32_e32 v18, 29, v18
	v_cndmask_b32_e32 v23, 0, v25, vcc
	v_cndmask_b32_e32 v18, v24, v18, vcc
	v_lshlrev_b64 v[24:25], v23, v[14:15]
	v_lshlrev_b32_e32 v15, 20, v24
	v_lshlrev_b32_e32 v23, 24, v14
	v_bfrev_b32_e32 v24, 60
	v_and_b32_e32 v15, 0x700000, v15
	v_and_b32_e32 v23, 0x80000000, v23
	v_lshl_add_u32 v18, v18, 23, v24
	v_or3_b32 v18, v23, v18, v15
.LBB529_566:
	s_or_b64 exec, exec, s[24:25]
.LBB529_567:
	s_or_b64 exec, exec, s[14:15]
	v_mov_b32_e32 v15, v18
.LBB529_568:
	s_or_b64 exec, exec, s[12:13]
	v_lshrrev_b16_e32 v18, 8, v14
	v_cmp_ne_u16_e32 vcc, 0, v18
	v_mov_b32_e32 v23, 0
	v_mov_b32_e32 v24, 0
	s_and_saveexec_b64 s[12:13], vcc
	s_cbranch_execz .LBB529_574
; %bb.569:
	s_movk_i32 s11, 0x80
	v_cmp_ne_u16_e32 vcc, s11, v18
	v_bfrev_b32_e32 v24, 1
	s_and_saveexec_b64 s[14:15], vcc
	s_cbranch_execz .LBB529_573
; %bb.570:
	s_movk_i32 s11, 0x7f
	v_and_b32_e32 v25, 0x7f, v18
	v_cmp_ne_u32_e32 vcc, s11, v25
	v_mov_b32_e32 v24, 0x7f800001
	s_and_saveexec_b64 s[24:25], vcc
	s_cbranch_execz .LBB529_572
; %bb.571:
	v_and_b32_e32 v24, 7, v18
	v_ffbh_u32_e32 v26, v24
	v_min_u32_e32 v29, 32, v26
	v_subrev_u32_e32 v26, 28, v29
	v_lshlrev_b64 v[26:27], v26, v[18:19]
	v_lshrrev_b32_e32 v28, 3, v25
	v_sub_u32_e32 v18, 29, v29
	v_and_b32_e32 v26, 7, v26
	v_cmp_gt_u32_e32 vcc, 8, v25
	v_cndmask_b32_e32 v18, v28, v18, vcc
	v_cndmask_b32_e32 v24, v24, v26, vcc
	v_lshlrev_b32_e32 v14, 16, v14
	v_bfrev_b32_e32 v25, 60
	v_lshlrev_b32_e32 v24, 20, v24
	v_and_b32_e32 v14, 0x80000000, v14
	v_lshl_add_u32 v18, v18, 23, v25
	v_or3_b32 v24, v14, v18, v24
.LBB529_572:
	s_or_b64 exec, exec, s[24:25]
.LBB529_573:
	s_or_b64 exec, exec, s[14:15]
.LBB529_574:
	s_or_b64 exec, exec, s[12:13]
	s_movk_i32 s11, 0xff
	v_and_b32_sdwa v18, v17, s11 dst_sel:DWORD dst_unused:UNUSED_PAD src0_sel:WORD_1 src1_sel:DWORD
	v_lshrrev_b32_e32 v14, 16, v17
	v_cmp_ne_u16_e32 vcc, 0, v18
	s_and_saveexec_b64 s[12:13], vcc
	s_cbranch_execz .LBB529_580
; %bb.575:
	s_movk_i32 s11, 0x80
	v_cmp_ne_u16_e32 vcc, s11, v18
	v_bfrev_b32_e32 v23, 1
	s_and_saveexec_b64 s[14:15], vcc
	s_cbranch_execz .LBB529_579
; %bb.576:
	v_bfe_u32 v18, v17, 16, 7
	s_movk_i32 s11, 0x7f
	v_cmp_ne_u32_e32 vcc, s11, v18
	v_mov_b32_e32 v23, 0x7f800001
	s_and_saveexec_b64 s[24:25], vcc
	s_cbranch_execz .LBB529_578
; %bb.577:
	v_and_b32_e32 v23, 7, v14
	v_ffbh_u32_e32 v26, v23
	v_min_u32_e32 v28, 32, v26
	v_subrev_u32_e32 v26, 28, v28
	v_lshlrev_b64 v[26:27], v26, v[14:15]
	v_and_b32_e32 v26, 7, v26
	v_cmp_gt_u32_e32 vcc, 8, v18
	v_lshrrev_b32_e32 v25, 3, v18
	v_sub_u32_e32 v14, 29, v28
	v_cndmask_b32_e32 v18, v23, v26, vcc
	v_mov_b32_e32 v23, 24
	v_cndmask_b32_e32 v14, v25, v14, vcc
	v_lshlrev_b32_sdwa v23, v23, v17 dst_sel:DWORD dst_unused:UNUSED_PAD src0_sel:DWORD src1_sel:WORD_1
	v_bfrev_b32_e32 v25, 60
	v_lshlrev_b32_e32 v18, 20, v18
	v_and_b32_e32 v23, 0x80000000, v23
	v_lshl_add_u32 v14, v14, 23, v25
	v_or3_b32 v23, v23, v14, v18
.LBB529_578:
	s_or_b64 exec, exec, s[24:25]
.LBB529_579:
	s_or_b64 exec, exec, s[14:15]
.LBB529_580:
	s_or_b64 exec, exec, s[12:13]
	s_mov_b32 s12, -1
	s_mov_b32 s13, 0xffffff
	v_cmp_lt_u64_e32 vcc, s[12:13], v[16:17]
	v_mov_b32_e32 v18, 0
	v_mov_b32_e32 v16, 0
	s_and_saveexec_b64 s[12:13], vcc
	s_cbranch_execz .LBB529_586
; %bb.581:
	v_lshrrev_b32_e32 v14, 24, v17
	s_movk_i32 s11, 0x80
	v_cmp_ne_u32_e32 vcc, s11, v14
	v_bfrev_b32_e32 v16, 1
	s_and_saveexec_b64 s[14:15], vcc
	s_cbranch_execz .LBB529_585
; %bb.582:
	v_bfe_u32 v17, v17, 24, 7
	s_movk_i32 s11, 0x7f
	v_cmp_ne_u32_e32 vcc, s11, v17
	v_mov_b32_e32 v16, 0x7f800001
	s_and_saveexec_b64 s[24:25], vcc
	s_cbranch_execz .LBB529_584
; %bb.583:
	v_and_b32_e32 v16, 7, v14
	v_ffbh_u32_e32 v26, v16
	v_min_u32_e32 v28, 32, v26
	v_subrev_u32_e32 v26, 28, v28
	v_lshlrev_b64 v[26:27], v26, v[14:15]
	v_lshrrev_b32_e32 v25, 3, v17
	v_sub_u32_e32 v27, 29, v28
	v_and_b32_e32 v26, 7, v26
	v_cmp_gt_u32_e32 vcc, 8, v17
	v_cndmask_b32_e32 v17, v25, v27, vcc
	v_cndmask_b32_e32 v16, v16, v26, vcc
	v_lshlrev_b32_e32 v14, 24, v14
	v_bfrev_b32_e32 v25, 60
	v_lshlrev_b32_e32 v16, 20, v16
	v_and_b32_e32 v14, 0x80000000, v14
	v_lshl_add_u32 v17, v17, 23, v25
	v_or3_b32 v16, v14, v17, v16
.LBB529_584:
	s_or_b64 exec, exec, s[24:25]
.LBB529_585:
	s_or_b64 exec, exec, s[14:15]
.LBB529_586:
	s_or_b64 exec, exec, s[12:13]
	v_cvt_pkrtz_f16_f32 v20, v20, v21
	v_cvt_pkrtz_f16_f32 v21, v19, v22
	;; [unrolled: 1-line block ×4, first 2 shown]
	v_mfma_f32_4x4x4f16 a[0:3], v[2:3], v[20:21], a[0:3] cbsz:4 abid:11
	s_waitcnt vmcnt(17)
	v_cmp_ne_u16_sdwa s[14:15], v10, v18 src0_sel:BYTE_0 src1_sel:DWORD
	v_mfma_f32_4x4x4f16 a[0:3], v[4:5], v[14:15], a[0:3] cbsz:4 abid:11
	s_and_saveexec_b64 s[12:13], s[14:15]
	s_cbranch_execz .LBB529_592
; %bb.587:
	s_movk_i32 s11, 0x80
	v_cmp_ne_u16_sdwa s[24:25], v10, s11 src0_sel:BYTE_0 src1_sel:DWORD
	v_bfrev_b32_e32 v18, 1
	s_and_saveexec_b64 s[14:15], s[24:25]
	s_cbranch_execz .LBB529_591
; %bb.588:
	s_movk_i32 s11, 0x7f
	v_and_b32_e32 v14, 0x7f, v10
	v_cmp_ne_u32_e32 vcc, s11, v14
	v_mov_b32_e32 v18, 0x7f800001
	s_and_saveexec_b64 s[24:25], vcc
	s_cbranch_execz .LBB529_590
; %bb.589:
	v_and_b32_e32 v15, 7, v10
	v_ffbh_u32_e32 v15, v15
	v_min_u32_e32 v15, 32, v15
	v_subrev_u32_e32 v17, 28, v15
	v_cmp_gt_u32_e32 vcc, 8, v14
	v_lshrrev_b32_e32 v16, 3, v14
	v_sub_u32_e32 v15, 29, v15
	v_cndmask_b32_e32 v14, 0, v17, vcc
	v_cndmask_b32_e32 v16, v16, v15, vcc
	v_lshlrev_b64 v[14:15], v14, v[10:11]
	v_lshlrev_b32_e32 v14, 20, v14
	v_lshlrev_b32_e32 v15, 24, v10
	v_bfrev_b32_e32 v17, 60
	v_and_b32_e32 v14, 0x700000, v14
	v_and_b32_e32 v15, 0x80000000, v15
	v_lshl_add_u32 v16, v16, 23, v17
	v_or3_b32 v18, v15, v16, v14
.LBB529_590:
	s_or_b64 exec, exec, s[24:25]
.LBB529_591:
	s_or_b64 exec, exec, s[14:15]
.LBB529_592:
	s_or_b64 exec, exec, s[12:13]
	v_lshrrev_b16_e32 v14, 8, v10
	v_cmp_ne_u16_e32 vcc, 0, v14
	v_mov_b32_e32 v17, 0
	v_mov_b32_e32 v19, 0
	s_and_saveexec_b64 s[12:13], vcc
	s_cbranch_execz .LBB529_598
; %bb.593:
	s_movk_i32 s11, 0x80
	v_cmp_ne_u16_e32 vcc, s11, v14
	v_bfrev_b32_e32 v19, 1
	s_and_saveexec_b64 s[14:15], vcc
	s_cbranch_execz .LBB529_597
; %bb.594:
	s_movk_i32 s11, 0x7f
	v_and_b32_e32 v15, 0x7f, v14
	v_cmp_ne_u32_e32 vcc, s11, v15
	v_mov_b32_e32 v19, 0x7f800001
	s_and_saveexec_b64 s[24:25], vcc
	s_cbranch_execz .LBB529_596
; %bb.595:
	v_and_b32_e32 v16, 7, v14
	v_ffbh_u32_e32 v20, v16
	v_min_u32_e32 v22, 32, v20
	v_subrev_u32_e32 v20, 28, v22
	v_lshlrev_b64 v[20:21], v20, v[14:15]
	v_lshrrev_b32_e32 v19, 3, v15
	v_sub_u32_e32 v14, 29, v22
	v_and_b32_e32 v20, 7, v20
	v_cmp_gt_u32_e32 vcc, 8, v15
	v_cndmask_b32_e32 v14, v19, v14, vcc
	v_cndmask_b32_e32 v15, v16, v20, vcc
	v_lshlrev_b32_e32 v16, 16, v10
	v_bfrev_b32_e32 v19, 60
	v_lshlrev_b32_e32 v15, 20, v15
	v_and_b32_e32 v16, 0x80000000, v16
	v_lshl_add_u32 v14, v14, 23, v19
	v_or3_b32 v19, v16, v14, v15
.LBB529_596:
	s_or_b64 exec, exec, s[24:25]
.LBB529_597:
	s_or_b64 exec, exec, s[14:15]
.LBB529_598:
	s_or_b64 exec, exec, s[12:13]
	s_movk_i32 s11, 0xff
	v_and_b32_sdwa v15, v10, s11 dst_sel:DWORD dst_unused:UNUSED_PAD src0_sel:WORD_1 src1_sel:DWORD
	v_lshrrev_b32_e32 v14, 16, v10
	v_cmp_ne_u16_e32 vcc, 0, v15
	s_and_saveexec_b64 s[12:13], vcc
	s_cbranch_execz .LBB529_604
; %bb.599:
	s_movk_i32 s11, 0x80
	v_cmp_ne_u16_e32 vcc, s11, v15
	v_bfrev_b32_e32 v17, 1
	s_and_saveexec_b64 s[14:15], vcc
	s_cbranch_execz .LBB529_603
; %bb.600:
	v_bfe_u32 v15, v10, 16, 7
	s_movk_i32 s11, 0x7f
	v_cmp_ne_u32_e32 vcc, s11, v15
	v_mov_b32_e32 v17, 0x7f800001
	s_and_saveexec_b64 s[24:25], vcc
	s_cbranch_execz .LBB529_602
; %bb.601:
	v_and_b32_e32 v20, 7, v14
	v_ffbh_u32_e32 v16, v20
	v_min_u32_e32 v22, 32, v16
	v_subrev_u32_e32 v16, 28, v22
	v_lshlrev_b64 v[16:17], v16, v[14:15]
	v_and_b32_e32 v16, 7, v16
	v_cmp_gt_u32_e32 vcc, 8, v15
	v_lshrrev_b32_e32 v21, 3, v15
	v_sub_u32_e32 v14, 29, v22
	v_cndmask_b32_e32 v15, v20, v16, vcc
	v_mov_b32_e32 v16, 24
	v_cndmask_b32_e32 v14, v21, v14, vcc
	v_lshlrev_b32_sdwa v16, v16, v10 dst_sel:DWORD dst_unused:UNUSED_PAD src0_sel:DWORD src1_sel:WORD_1
	v_bfrev_b32_e32 v17, 60
	v_lshlrev_b32_e32 v15, 20, v15
	v_and_b32_e32 v16, 0x80000000, v16
	v_lshl_add_u32 v14, v14, 23, v17
	v_or3_b32 v17, v16, v14, v15
.LBB529_602:
	s_or_b64 exec, exec, s[24:25]
.LBB529_603:
	s_or_b64 exec, exec, s[14:15]
.LBB529_604:
	s_or_b64 exec, exec, s[12:13]
	s_mov_b32 s11, 0xffffff
	v_cmp_lt_u32_e32 vcc, s11, v10
	v_mov_b32_e32 v15, 0
	v_mov_b32_e32 v20, 0
	s_and_saveexec_b64 s[12:13], vcc
	s_cbranch_execz .LBB529_610
; %bb.605:
	v_lshrrev_b32_e32 v14, 24, v10
	s_movk_i32 s11, 0x80
	v_cmp_ne_u32_e32 vcc, s11, v14
	v_bfrev_b32_e32 v20, 1
	s_and_saveexec_b64 s[14:15], vcc
	s_cbranch_execz .LBB529_609
; %bb.606:
	v_bfe_u32 v16, v10, 24, 7
	s_movk_i32 s11, 0x7f
	v_cmp_ne_u32_e32 vcc, s11, v16
	v_mov_b32_e32 v20, 0x7f800001
	s_and_saveexec_b64 s[24:25], vcc
	s_cbranch_execz .LBB529_608
; %bb.607:
	v_and_b32_e32 v22, 7, v14
	v_ffbh_u32_e32 v20, v22
	v_min_u32_e32 v24, 32, v20
	v_subrev_u32_e32 v20, 28, v24
	v_lshlrev_b64 v[20:21], v20, v[14:15]
	v_lshrrev_b32_e32 v23, 3, v16
	v_sub_u32_e32 v21, 29, v24
	v_and_b32_e32 v20, 7, v20
	v_cmp_gt_u32_e32 vcc, 8, v16
	v_cndmask_b32_e32 v16, v23, v21, vcc
	v_cndmask_b32_e32 v20, v22, v20, vcc
	v_lshlrev_b32_e32 v14, 24, v14
	v_bfrev_b32_e32 v21, 60
	v_lshlrev_b32_e32 v20, 20, v20
	v_and_b32_e32 v14, 0x80000000, v14
	v_lshl_add_u32 v16, v16, 23, v21
	v_or3_b32 v20, v14, v16, v20
.LBB529_608:
	s_or_b64 exec, exec, s[24:25]
.LBB529_609:
	s_or_b64 exec, exec, s[14:15]
.LBB529_610:
	s_or_b64 exec, exec, s[12:13]
	v_mov_b32_e32 v14, v11
	v_cmp_ne_u16_sdwa s[14:15], v11, v15 src0_sel:BYTE_0 src1_sel:DWORD
	s_and_saveexec_b64 s[12:13], s[14:15]
	s_cbranch_execz .LBB529_616
; %bb.611:
	s_movk_i32 s11, 0x80
	v_cmp_ne_u16_sdwa s[24:25], v11, s11 src0_sel:BYTE_0 src1_sel:DWORD
	v_bfrev_b32_e32 v16, 1
	s_and_saveexec_b64 s[14:15], s[24:25]
	s_cbranch_execz .LBB529_615
; %bb.612:
	s_movk_i32 s11, 0x7f
	v_and_b32_e32 v21, 0x7f, v11
	v_cmp_ne_u32_e32 vcc, s11, v21
	v_mov_b32_e32 v16, 0x7f800001
	s_and_saveexec_b64 s[24:25], vcc
	s_cbranch_execz .LBB529_614
; %bb.613:
	v_and_b32_e32 v16, 7, v11
	v_ffbh_u32_e32 v16, v16
	v_min_u32_e32 v16, 32, v16
	v_subrev_u32_e32 v23, 28, v16
	v_cmp_gt_u32_e32 vcc, 8, v21
	v_lshrrev_b32_e32 v22, 3, v21
	v_sub_u32_e32 v16, 29, v16
	v_cndmask_b32_e32 v21, 0, v23, vcc
	v_cndmask_b32_e32 v16, v22, v16, vcc
	v_lshlrev_b64 v[22:23], v21, v[14:15]
	v_lshlrev_b32_e32 v15, 20, v22
	v_lshlrev_b32_e32 v21, 24, v14
	v_bfrev_b32_e32 v22, 60
	v_and_b32_e32 v15, 0x700000, v15
	v_and_b32_e32 v21, 0x80000000, v21
	v_lshl_add_u32 v16, v16, 23, v22
	v_or3_b32 v16, v21, v16, v15
.LBB529_614:
	s_or_b64 exec, exec, s[24:25]
.LBB529_615:
	s_or_b64 exec, exec, s[14:15]
	v_mov_b32_e32 v15, v16
.LBB529_616:
	s_or_b64 exec, exec, s[12:13]
	v_lshrrev_b16_e32 v16, 8, v14
	v_cmp_ne_u16_e32 vcc, 0, v16
	v_mov_b32_e32 v21, 0
	v_mov_b32_e32 v22, 0
	s_and_saveexec_b64 s[12:13], vcc
	s_cbranch_execz .LBB529_622
; %bb.617:
	s_movk_i32 s11, 0x80
	v_cmp_ne_u16_e32 vcc, s11, v16
	v_bfrev_b32_e32 v22, 1
	s_and_saveexec_b64 s[14:15], vcc
	s_cbranch_execz .LBB529_621
; %bb.618:
	s_movk_i32 s11, 0x7f
	v_and_b32_e32 v23, 0x7f, v16
	v_cmp_ne_u32_e32 vcc, s11, v23
	v_mov_b32_e32 v22, 0x7f800001
	s_and_saveexec_b64 s[24:25], vcc
	s_cbranch_execz .LBB529_620
; %bb.619:
	v_and_b32_e32 v22, 7, v16
	v_ffbh_u32_e32 v24, v22
	v_min_u32_e32 v27, 32, v24
	v_subrev_u32_e32 v24, 28, v27
	v_lshlrev_b64 v[24:25], v24, v[16:17]
	v_lshrrev_b32_e32 v26, 3, v23
	v_sub_u32_e32 v16, 29, v27
	v_and_b32_e32 v24, 7, v24
	v_cmp_gt_u32_e32 vcc, 8, v23
	v_cndmask_b32_e32 v16, v26, v16, vcc
	v_cndmask_b32_e32 v22, v22, v24, vcc
	v_lshlrev_b32_e32 v14, 16, v14
	v_bfrev_b32_e32 v23, 60
	v_lshlrev_b32_e32 v22, 20, v22
	v_and_b32_e32 v14, 0x80000000, v14
	v_lshl_add_u32 v16, v16, 23, v23
	v_or3_b32 v22, v14, v16, v22
.LBB529_620:
	s_or_b64 exec, exec, s[24:25]
.LBB529_621:
	s_or_b64 exec, exec, s[14:15]
.LBB529_622:
	s_or_b64 exec, exec, s[12:13]
	s_movk_i32 s11, 0xff
	v_and_b32_sdwa v16, v11, s11 dst_sel:DWORD dst_unused:UNUSED_PAD src0_sel:WORD_1 src1_sel:DWORD
	v_lshrrev_b32_e32 v14, 16, v11
	v_cmp_ne_u16_e32 vcc, 0, v16
	s_and_saveexec_b64 s[12:13], vcc
	s_cbranch_execz .LBB529_628
; %bb.623:
	s_movk_i32 s11, 0x80
	v_cmp_ne_u16_e32 vcc, s11, v16
	v_bfrev_b32_e32 v21, 1
	s_and_saveexec_b64 s[14:15], vcc
	s_cbranch_execz .LBB529_627
; %bb.624:
	v_bfe_u32 v16, v11, 16, 7
	s_movk_i32 s11, 0x7f
	v_cmp_ne_u32_e32 vcc, s11, v16
	v_mov_b32_e32 v21, 0x7f800001
	s_and_saveexec_b64 s[24:25], vcc
	s_cbranch_execz .LBB529_626
; %bb.625:
	v_and_b32_e32 v21, 7, v14
	v_ffbh_u32_e32 v24, v21
	v_min_u32_e32 v26, 32, v24
	v_subrev_u32_e32 v24, 28, v26
	v_lshlrev_b64 v[24:25], v24, v[14:15]
	v_and_b32_e32 v24, 7, v24
	v_cmp_gt_u32_e32 vcc, 8, v16
	v_lshrrev_b32_e32 v23, 3, v16
	v_sub_u32_e32 v14, 29, v26
	v_cndmask_b32_e32 v16, v21, v24, vcc
	v_mov_b32_e32 v21, 24
	v_cndmask_b32_e32 v14, v23, v14, vcc
	v_lshlrev_b32_sdwa v21, v21, v11 dst_sel:DWORD dst_unused:UNUSED_PAD src0_sel:DWORD src1_sel:WORD_1
	v_bfrev_b32_e32 v23, 60
	v_lshlrev_b32_e32 v16, 20, v16
	v_and_b32_e32 v21, 0x80000000, v21
	v_lshl_add_u32 v14, v14, 23, v23
	v_or3_b32 v21, v21, v14, v16
.LBB529_626:
	s_or_b64 exec, exec, s[24:25]
.LBB529_627:
	s_or_b64 exec, exec, s[14:15]
.LBB529_628:
	s_or_b64 exec, exec, s[12:13]
	s_mov_b32 s12, -1
	s_mov_b32 s13, 0xffffff
	v_cmp_lt_u64_e32 vcc, s[12:13], v[10:11]
	v_mov_b32_e32 v16, 0
	v_mov_b32_e32 v14, 0
	s_and_saveexec_b64 s[12:13], vcc
	s_cbranch_execz .LBB529_634
; %bb.629:
	v_lshrrev_b32_e32 v10, 24, v11
	s_movk_i32 s11, 0x80
	v_cmp_ne_u32_e32 vcc, s11, v10
	v_bfrev_b32_e32 v14, 1
	s_and_saveexec_b64 s[14:15], vcc
	s_cbranch_execz .LBB529_633
; %bb.630:
	v_bfe_u32 v11, v11, 24, 7
	s_movk_i32 s11, 0x7f
	v_cmp_ne_u32_e32 vcc, s11, v11
	v_mov_b32_e32 v14, 0x7f800001
	s_and_saveexec_b64 s[24:25], vcc
	s_cbranch_execz .LBB529_632
; %bb.631:
	v_and_b32_e32 v14, 7, v10
	v_ffbh_u32_e32 v24, v14
	v_min_u32_e32 v26, 32, v24
	v_subrev_u32_e32 v24, 28, v26
	v_lshlrev_b64 v[24:25], v24, v[10:11]
	v_lshrrev_b32_e32 v23, 3, v11
	v_sub_u32_e32 v25, 29, v26
	v_and_b32_e32 v24, 7, v24
	v_cmp_gt_u32_e32 vcc, 8, v11
	v_cndmask_b32_e32 v11, v23, v25, vcc
	v_cndmask_b32_e32 v14, v14, v24, vcc
	v_lshlrev_b32_e32 v10, 24, v10
	v_bfrev_b32_e32 v23, 60
	v_lshlrev_b32_e32 v14, 20, v14
	v_and_b32_e32 v10, 0x80000000, v10
	v_lshl_add_u32 v11, v11, 23, v23
	v_or3_b32 v14, v10, v11, v14
.LBB529_632:
	s_or_b64 exec, exec, s[24:25]
.LBB529_633:
	s_or_b64 exec, exec, s[14:15]
.LBB529_634:
	s_or_b64 exec, exec, s[12:13]
	v_cvt_pkrtz_f16_f32 v10, v18, v19
	v_cvt_pkrtz_f16_f32 v11, v17, v20
	;; [unrolled: 1-line block ×4, first 2 shown]
	v_mfma_f32_4x4x4f16 a[0:3], v[2:3], v[10:11], a[0:3] cbsz:4 abid:12
	v_cmp_ne_u16_sdwa s[14:15], v12, v16 src0_sel:BYTE_0 src1_sel:DWORD
	v_mfma_f32_4x4x4f16 a[0:3], v[4:5], v[18:19], a[0:3] cbsz:4 abid:12
	s_and_saveexec_b64 s[12:13], s[14:15]
	s_cbranch_execz .LBB529_640
; %bb.635:
	s_movk_i32 s11, 0x80
	v_cmp_ne_u16_sdwa s[24:25], v12, s11 src0_sel:BYTE_0 src1_sel:DWORD
	v_bfrev_b32_e32 v16, 1
	s_and_saveexec_b64 s[14:15], s[24:25]
	s_cbranch_execz .LBB529_639
; %bb.636:
	s_movk_i32 s11, 0x7f
	v_and_b32_e32 v10, 0x7f, v12
	v_cmp_ne_u32_e32 vcc, s11, v10
	v_mov_b32_e32 v16, 0x7f800001
	s_and_saveexec_b64 s[24:25], vcc
	s_cbranch_execz .LBB529_638
; %bb.637:
	v_and_b32_e32 v11, 7, v12
	v_ffbh_u32_e32 v11, v11
	v_min_u32_e32 v11, 32, v11
	v_subrev_u32_e32 v15, 28, v11
	v_cmp_gt_u32_e32 vcc, 8, v10
	v_lshrrev_b32_e32 v14, 3, v10
	v_sub_u32_e32 v11, 29, v11
	v_cndmask_b32_e32 v10, 0, v15, vcc
	v_cndmask_b32_e32 v14, v14, v11, vcc
	v_lshlrev_b64 v[10:11], v10, v[12:13]
	v_lshlrev_b32_e32 v10, 20, v10
	v_lshlrev_b32_e32 v11, 24, v12
	v_bfrev_b32_e32 v15, 60
	v_and_b32_e32 v10, 0x700000, v10
	v_and_b32_e32 v11, 0x80000000, v11
	v_lshl_add_u32 v14, v14, 23, v15
	v_or3_b32 v16, v11, v14, v10
.LBB529_638:
	s_or_b64 exec, exec, s[24:25]
.LBB529_639:
	s_or_b64 exec, exec, s[14:15]
.LBB529_640:
	s_or_b64 exec, exec, s[12:13]
	v_lshrrev_b16_e32 v10, 8, v12
	v_cmp_ne_u16_e32 vcc, 0, v10
	v_mov_b32_e32 v15, 0
	v_mov_b32_e32 v17, 0
	s_and_saveexec_b64 s[12:13], vcc
	s_cbranch_execz .LBB529_646
; %bb.641:
	s_movk_i32 s11, 0x80
	v_cmp_ne_u16_e32 vcc, s11, v10
	v_bfrev_b32_e32 v17, 1
	s_and_saveexec_b64 s[14:15], vcc
	s_cbranch_execz .LBB529_645
; %bb.642:
	s_movk_i32 s11, 0x7f
	v_and_b32_e32 v11, 0x7f, v10
	v_cmp_ne_u32_e32 vcc, s11, v11
	v_mov_b32_e32 v17, 0x7f800001
	s_and_saveexec_b64 s[24:25], vcc
	s_cbranch_execz .LBB529_644
; %bb.643:
	v_and_b32_e32 v14, 7, v10
	v_ffbh_u32_e32 v18, v14
	v_min_u32_e32 v20, 32, v18
	v_subrev_u32_e32 v18, 28, v20
	v_lshlrev_b64 v[18:19], v18, v[10:11]
	v_lshrrev_b32_e32 v17, 3, v11
	v_sub_u32_e32 v10, 29, v20
	v_and_b32_e32 v18, 7, v18
	v_cmp_gt_u32_e32 vcc, 8, v11
	v_cndmask_b32_e32 v10, v17, v10, vcc
	v_cndmask_b32_e32 v11, v14, v18, vcc
	v_lshlrev_b32_e32 v14, 16, v12
	v_bfrev_b32_e32 v17, 60
	v_lshlrev_b32_e32 v11, 20, v11
	v_and_b32_e32 v14, 0x80000000, v14
	v_lshl_add_u32 v10, v10, 23, v17
	v_or3_b32 v17, v14, v10, v11
.LBB529_644:
	s_or_b64 exec, exec, s[24:25]
.LBB529_645:
	s_or_b64 exec, exec, s[14:15]
.LBB529_646:
	s_or_b64 exec, exec, s[12:13]
	s_movk_i32 s11, 0xff
	v_and_b32_sdwa v11, v12, s11 dst_sel:DWORD dst_unused:UNUSED_PAD src0_sel:WORD_1 src1_sel:DWORD
	v_lshrrev_b32_e32 v10, 16, v12
	v_cmp_ne_u16_e32 vcc, 0, v11
	s_and_saveexec_b64 s[12:13], vcc
	s_cbranch_execz .LBB529_652
; %bb.647:
	s_movk_i32 s11, 0x80
	v_cmp_ne_u16_e32 vcc, s11, v11
	v_bfrev_b32_e32 v15, 1
	s_and_saveexec_b64 s[14:15], vcc
	s_cbranch_execz .LBB529_651
; %bb.648:
	v_bfe_u32 v11, v12, 16, 7
	s_movk_i32 s11, 0x7f
	v_cmp_ne_u32_e32 vcc, s11, v11
	v_mov_b32_e32 v15, 0x7f800001
	s_and_saveexec_b64 s[24:25], vcc
	s_cbranch_execz .LBB529_650
; %bb.649:
	v_and_b32_e32 v18, 7, v10
	v_ffbh_u32_e32 v14, v18
	v_min_u32_e32 v20, 32, v14
	v_subrev_u32_e32 v14, 28, v20
	v_lshlrev_b64 v[14:15], v14, v[10:11]
	v_and_b32_e32 v14, 7, v14
	v_cmp_gt_u32_e32 vcc, 8, v11
	v_lshrrev_b32_e32 v19, 3, v11
	v_sub_u32_e32 v10, 29, v20
	v_cndmask_b32_e32 v11, v18, v14, vcc
	v_mov_b32_e32 v14, 24
	v_cndmask_b32_e32 v10, v19, v10, vcc
	v_lshlrev_b32_sdwa v14, v14, v12 dst_sel:DWORD dst_unused:UNUSED_PAD src0_sel:DWORD src1_sel:WORD_1
	v_bfrev_b32_e32 v15, 60
	v_lshlrev_b32_e32 v11, 20, v11
	v_and_b32_e32 v14, 0x80000000, v14
	v_lshl_add_u32 v10, v10, 23, v15
	v_or3_b32 v15, v14, v10, v11
.LBB529_650:
	s_or_b64 exec, exec, s[24:25]
.LBB529_651:
	s_or_b64 exec, exec, s[14:15]
.LBB529_652:
	s_or_b64 exec, exec, s[12:13]
	s_mov_b32 s11, 0xffffff
	v_cmp_lt_u32_e32 vcc, s11, v12
	v_mov_b32_e32 v11, 0
	v_mov_b32_e32 v18, 0
	s_and_saveexec_b64 s[12:13], vcc
	s_cbranch_execz .LBB529_658
; %bb.653:
	v_lshrrev_b32_e32 v10, 24, v12
	s_movk_i32 s11, 0x80
	v_cmp_ne_u32_e32 vcc, s11, v10
	v_bfrev_b32_e32 v18, 1
	s_and_saveexec_b64 s[14:15], vcc
	s_cbranch_execz .LBB529_657
; %bb.654:
	v_bfe_u32 v14, v12, 24, 7
	s_movk_i32 s11, 0x7f
	v_cmp_ne_u32_e32 vcc, s11, v14
	v_mov_b32_e32 v18, 0x7f800001
	s_and_saveexec_b64 s[24:25], vcc
	s_cbranch_execz .LBB529_656
; %bb.655:
	v_and_b32_e32 v20, 7, v10
	v_ffbh_u32_e32 v18, v20
	v_min_u32_e32 v22, 32, v18
	v_subrev_u32_e32 v18, 28, v22
	v_lshlrev_b64 v[18:19], v18, v[10:11]
	v_lshrrev_b32_e32 v21, 3, v14
	v_sub_u32_e32 v19, 29, v22
	v_and_b32_e32 v18, 7, v18
	v_cmp_gt_u32_e32 vcc, 8, v14
	v_cndmask_b32_e32 v14, v21, v19, vcc
	v_cndmask_b32_e32 v18, v20, v18, vcc
	v_lshlrev_b32_e32 v10, 24, v10
	v_bfrev_b32_e32 v19, 60
	v_lshlrev_b32_e32 v18, 20, v18
	v_and_b32_e32 v10, 0x80000000, v10
	v_lshl_add_u32 v14, v14, 23, v19
	v_or3_b32 v18, v10, v14, v18
.LBB529_656:
	s_or_b64 exec, exec, s[24:25]
.LBB529_657:
	s_or_b64 exec, exec, s[14:15]
.LBB529_658:
	s_or_b64 exec, exec, s[12:13]
	v_mov_b32_e32 v10, v13
	v_cmp_ne_u16_sdwa s[14:15], v13, v11 src0_sel:BYTE_0 src1_sel:DWORD
	s_and_saveexec_b64 s[12:13], s[14:15]
	s_cbranch_execz .LBB529_664
; %bb.659:
	s_movk_i32 s11, 0x80
	v_cmp_ne_u16_sdwa s[24:25], v13, s11 src0_sel:BYTE_0 src1_sel:DWORD
	v_bfrev_b32_e32 v14, 1
	s_and_saveexec_b64 s[14:15], s[24:25]
	s_cbranch_execz .LBB529_663
; %bb.660:
	s_movk_i32 s11, 0x7f
	v_and_b32_e32 v19, 0x7f, v13
	v_cmp_ne_u32_e32 vcc, s11, v19
	v_mov_b32_e32 v14, 0x7f800001
	s_and_saveexec_b64 s[24:25], vcc
	s_cbranch_execz .LBB529_662
; %bb.661:
	v_and_b32_e32 v14, 7, v13
	v_ffbh_u32_e32 v14, v14
	v_min_u32_e32 v14, 32, v14
	v_subrev_u32_e32 v21, 28, v14
	v_cmp_gt_u32_e32 vcc, 8, v19
	v_lshrrev_b32_e32 v20, 3, v19
	v_sub_u32_e32 v14, 29, v14
	v_cndmask_b32_e32 v19, 0, v21, vcc
	v_cndmask_b32_e32 v14, v20, v14, vcc
	v_lshlrev_b64 v[20:21], v19, v[10:11]
	v_lshlrev_b32_e32 v11, 20, v20
	v_lshlrev_b32_e32 v19, 24, v10
	v_bfrev_b32_e32 v20, 60
	v_and_b32_e32 v11, 0x700000, v11
	v_and_b32_e32 v19, 0x80000000, v19
	v_lshl_add_u32 v14, v14, 23, v20
	v_or3_b32 v14, v19, v14, v11
.LBB529_662:
	s_or_b64 exec, exec, s[24:25]
.LBB529_663:
	s_or_b64 exec, exec, s[14:15]
	v_mov_b32_e32 v11, v14
.LBB529_664:
	s_or_b64 exec, exec, s[12:13]
	v_lshrrev_b16_e32 v14, 8, v10
	v_cmp_ne_u16_e32 vcc, 0, v14
	v_mov_b32_e32 v19, 0
	v_mov_b32_e32 v20, 0
	s_and_saveexec_b64 s[12:13], vcc
	s_cbranch_execz .LBB529_670
; %bb.665:
	s_movk_i32 s11, 0x80
	v_cmp_ne_u16_e32 vcc, s11, v14
	v_bfrev_b32_e32 v20, 1
	s_and_saveexec_b64 s[14:15], vcc
	s_cbranch_execz .LBB529_669
; %bb.666:
	s_movk_i32 s11, 0x7f
	v_and_b32_e32 v21, 0x7f, v14
	v_cmp_ne_u32_e32 vcc, s11, v21
	v_mov_b32_e32 v20, 0x7f800001
	s_and_saveexec_b64 s[24:25], vcc
	s_cbranch_execz .LBB529_668
; %bb.667:
	v_and_b32_e32 v20, 7, v14
	v_ffbh_u32_e32 v22, v20
	v_min_u32_e32 v25, 32, v22
	v_subrev_u32_e32 v22, 28, v25
	v_lshlrev_b64 v[22:23], v22, v[14:15]
	v_lshrrev_b32_e32 v24, 3, v21
	v_sub_u32_e32 v14, 29, v25
	v_and_b32_e32 v22, 7, v22
	v_cmp_gt_u32_e32 vcc, 8, v21
	v_cndmask_b32_e32 v14, v24, v14, vcc
	v_cndmask_b32_e32 v20, v20, v22, vcc
	v_lshlrev_b32_e32 v10, 16, v10
	v_bfrev_b32_e32 v21, 60
	v_lshlrev_b32_e32 v20, 20, v20
	v_and_b32_e32 v10, 0x80000000, v10
	v_lshl_add_u32 v14, v14, 23, v21
	v_or3_b32 v20, v10, v14, v20
.LBB529_668:
	s_or_b64 exec, exec, s[24:25]
.LBB529_669:
	s_or_b64 exec, exec, s[14:15]
.LBB529_670:
	s_or_b64 exec, exec, s[12:13]
	s_movk_i32 s11, 0xff
	v_and_b32_sdwa v14, v13, s11 dst_sel:DWORD dst_unused:UNUSED_PAD src0_sel:WORD_1 src1_sel:DWORD
	v_lshrrev_b32_e32 v10, 16, v13
	v_cmp_ne_u16_e32 vcc, 0, v14
	s_and_saveexec_b64 s[12:13], vcc
	s_cbranch_execz .LBB529_676
; %bb.671:
	s_movk_i32 s11, 0x80
	v_cmp_ne_u16_e32 vcc, s11, v14
	v_bfrev_b32_e32 v19, 1
	s_and_saveexec_b64 s[14:15], vcc
	s_cbranch_execz .LBB529_675
; %bb.672:
	v_bfe_u32 v14, v13, 16, 7
	s_movk_i32 s11, 0x7f
	v_cmp_ne_u32_e32 vcc, s11, v14
	v_mov_b32_e32 v19, 0x7f800001
	s_and_saveexec_b64 s[24:25], vcc
	s_cbranch_execz .LBB529_674
; %bb.673:
	v_and_b32_e32 v19, 7, v10
	v_ffbh_u32_e32 v22, v19
	v_min_u32_e32 v24, 32, v22
	v_subrev_u32_e32 v22, 28, v24
	v_lshlrev_b64 v[22:23], v22, v[10:11]
	v_and_b32_e32 v22, 7, v22
	v_cmp_gt_u32_e32 vcc, 8, v14
	v_lshrrev_b32_e32 v21, 3, v14
	v_sub_u32_e32 v10, 29, v24
	v_cndmask_b32_e32 v14, v19, v22, vcc
	v_mov_b32_e32 v19, 24
	v_cndmask_b32_e32 v10, v21, v10, vcc
	v_lshlrev_b32_sdwa v19, v19, v13 dst_sel:DWORD dst_unused:UNUSED_PAD src0_sel:DWORD src1_sel:WORD_1
	v_bfrev_b32_e32 v21, 60
	v_lshlrev_b32_e32 v14, 20, v14
	v_and_b32_e32 v19, 0x80000000, v19
	v_lshl_add_u32 v10, v10, 23, v21
	v_or3_b32 v19, v19, v10, v14
.LBB529_674:
	s_or_b64 exec, exec, s[24:25]
.LBB529_675:
	s_or_b64 exec, exec, s[14:15]
.LBB529_676:
	s_or_b64 exec, exec, s[12:13]
	s_mov_b32 s12, -1
	s_mov_b32 s13, 0xffffff
	v_cmp_lt_u64_e32 vcc, s[12:13], v[12:13]
	v_mov_b32_e32 v14, 0
	v_mov_b32_e32 v12, 0
	s_and_saveexec_b64 s[12:13], vcc
	s_cbranch_execz .LBB529_682
; %bb.677:
	v_lshrrev_b32_e32 v10, 24, v13
	s_movk_i32 s11, 0x80
	v_cmp_ne_u32_e32 vcc, s11, v10
	v_bfrev_b32_e32 v12, 1
	s_and_saveexec_b64 s[14:15], vcc
	s_cbranch_execz .LBB529_681
; %bb.678:
	v_bfe_u32 v13, v13, 24, 7
	s_movk_i32 s11, 0x7f
	v_cmp_ne_u32_e32 vcc, s11, v13
	v_mov_b32_e32 v12, 0x7f800001
	s_and_saveexec_b64 s[24:25], vcc
	s_cbranch_execz .LBB529_680
; %bb.679:
	v_and_b32_e32 v12, 7, v10
	v_ffbh_u32_e32 v22, v12
	v_min_u32_e32 v24, 32, v22
	v_subrev_u32_e32 v22, 28, v24
	v_lshlrev_b64 v[22:23], v22, v[10:11]
	v_lshrrev_b32_e32 v21, 3, v13
	v_sub_u32_e32 v23, 29, v24
	v_and_b32_e32 v22, 7, v22
	v_cmp_gt_u32_e32 vcc, 8, v13
	v_cndmask_b32_e32 v13, v21, v23, vcc
	v_cndmask_b32_e32 v12, v12, v22, vcc
	v_lshlrev_b32_e32 v10, 24, v10
	v_bfrev_b32_e32 v21, 60
	v_lshlrev_b32_e32 v12, 20, v12
	v_and_b32_e32 v10, 0x80000000, v10
	v_lshl_add_u32 v13, v13, 23, v21
	v_or3_b32 v12, v10, v13, v12
.LBB529_680:
	s_or_b64 exec, exec, s[24:25]
.LBB529_681:
	s_or_b64 exec, exec, s[14:15]
.LBB529_682:
	s_or_b64 exec, exec, s[12:13]
	v_cvt_pkrtz_f16_f32 v16, v16, v17
	v_cvt_pkrtz_f16_f32 v17, v15, v18
	;; [unrolled: 1-line block ×4, first 2 shown]
	v_mfma_f32_4x4x4f16 a[0:3], v[2:3], v[16:17], a[0:3] cbsz:4 abid:13
	s_waitcnt vmcnt(16)
	v_cmp_ne_u16_sdwa s[14:15], v6, v14 src0_sel:BYTE_0 src1_sel:DWORD
	v_mfma_f32_4x4x4f16 a[0:3], v[4:5], v[10:11], a[0:3] cbsz:4 abid:13
	s_and_saveexec_b64 s[12:13], s[14:15]
	s_cbranch_execz .LBB529_688
; %bb.683:
	s_movk_i32 s11, 0x80
	v_cmp_ne_u16_sdwa s[24:25], v6, s11 src0_sel:BYTE_0 src1_sel:DWORD
	v_bfrev_b32_e32 v14, 1
	s_and_saveexec_b64 s[14:15], s[24:25]
	s_cbranch_execz .LBB529_687
; %bb.684:
	s_movk_i32 s11, 0x7f
	v_and_b32_e32 v10, 0x7f, v6
	v_cmp_ne_u32_e32 vcc, s11, v10
	v_mov_b32_e32 v14, 0x7f800001
	s_and_saveexec_b64 s[24:25], vcc
	s_cbranch_execz .LBB529_686
; %bb.685:
	v_and_b32_e32 v11, 7, v6
	v_ffbh_u32_e32 v11, v11
	v_min_u32_e32 v11, 32, v11
	v_subrev_u32_e32 v13, 28, v11
	v_cmp_gt_u32_e32 vcc, 8, v10
	v_lshrrev_b32_e32 v12, 3, v10
	v_sub_u32_e32 v11, 29, v11
	v_cndmask_b32_e32 v10, 0, v13, vcc
	v_cndmask_b32_e32 v12, v12, v11, vcc
	v_lshlrev_b64 v[10:11], v10, v[6:7]
	v_lshlrev_b32_e32 v10, 20, v10
	v_lshlrev_b32_e32 v11, 24, v6
	v_bfrev_b32_e32 v13, 60
	v_and_b32_e32 v10, 0x700000, v10
	v_and_b32_e32 v11, 0x80000000, v11
	v_lshl_add_u32 v12, v12, 23, v13
	v_or3_b32 v14, v11, v12, v10
.LBB529_686:
	s_or_b64 exec, exec, s[24:25]
.LBB529_687:
	s_or_b64 exec, exec, s[14:15]
.LBB529_688:
	s_or_b64 exec, exec, s[12:13]
	v_lshrrev_b16_e32 v10, 8, v6
	v_cmp_ne_u16_e32 vcc, 0, v10
	v_mov_b32_e32 v13, 0
	v_mov_b32_e32 v15, 0
	s_and_saveexec_b64 s[12:13], vcc
	s_cbranch_execz .LBB529_694
; %bb.689:
	s_movk_i32 s11, 0x80
	v_cmp_ne_u16_e32 vcc, s11, v10
	v_bfrev_b32_e32 v15, 1
	s_and_saveexec_b64 s[14:15], vcc
	s_cbranch_execz .LBB529_693
; %bb.690:
	s_movk_i32 s11, 0x7f
	v_and_b32_e32 v11, 0x7f, v10
	v_cmp_ne_u32_e32 vcc, s11, v11
	v_mov_b32_e32 v15, 0x7f800001
	s_and_saveexec_b64 s[24:25], vcc
	s_cbranch_execz .LBB529_692
; %bb.691:
	v_and_b32_e32 v12, 7, v10
	v_ffbh_u32_e32 v16, v12
	v_min_u32_e32 v18, 32, v16
	v_subrev_u32_e32 v16, 28, v18
	v_lshlrev_b64 v[16:17], v16, v[10:11]
	v_lshrrev_b32_e32 v15, 3, v11
	v_sub_u32_e32 v10, 29, v18
	v_and_b32_e32 v16, 7, v16
	v_cmp_gt_u32_e32 vcc, 8, v11
	v_cndmask_b32_e32 v10, v15, v10, vcc
	v_cndmask_b32_e32 v11, v12, v16, vcc
	v_lshlrev_b32_e32 v12, 16, v6
	v_bfrev_b32_e32 v15, 60
	v_lshlrev_b32_e32 v11, 20, v11
	v_and_b32_e32 v12, 0x80000000, v12
	v_lshl_add_u32 v10, v10, 23, v15
	v_or3_b32 v15, v12, v10, v11
.LBB529_692:
	s_or_b64 exec, exec, s[24:25]
.LBB529_693:
	s_or_b64 exec, exec, s[14:15]
.LBB529_694:
	s_or_b64 exec, exec, s[12:13]
	s_movk_i32 s11, 0xff
	v_and_b32_sdwa v11, v6, s11 dst_sel:DWORD dst_unused:UNUSED_PAD src0_sel:WORD_1 src1_sel:DWORD
	v_lshrrev_b32_e32 v10, 16, v6
	v_cmp_ne_u16_e32 vcc, 0, v11
	s_and_saveexec_b64 s[12:13], vcc
	s_cbranch_execz .LBB529_700
; %bb.695:
	s_movk_i32 s11, 0x80
	v_cmp_ne_u16_e32 vcc, s11, v11
	v_bfrev_b32_e32 v13, 1
	s_and_saveexec_b64 s[14:15], vcc
	s_cbranch_execz .LBB529_699
; %bb.696:
	v_bfe_u32 v11, v6, 16, 7
	s_movk_i32 s11, 0x7f
	v_cmp_ne_u32_e32 vcc, s11, v11
	v_mov_b32_e32 v13, 0x7f800001
	s_and_saveexec_b64 s[24:25], vcc
	s_cbranch_execz .LBB529_698
; %bb.697:
	v_and_b32_e32 v16, 7, v10
	v_ffbh_u32_e32 v12, v16
	v_min_u32_e32 v18, 32, v12
	v_subrev_u32_e32 v12, 28, v18
	v_lshlrev_b64 v[12:13], v12, v[10:11]
	v_and_b32_e32 v12, 7, v12
	v_cmp_gt_u32_e32 vcc, 8, v11
	v_lshrrev_b32_e32 v17, 3, v11
	v_sub_u32_e32 v10, 29, v18
	v_cndmask_b32_e32 v11, v16, v12, vcc
	v_mov_b32_e32 v12, 24
	v_cndmask_b32_e32 v10, v17, v10, vcc
	v_lshlrev_b32_sdwa v12, v12, v6 dst_sel:DWORD dst_unused:UNUSED_PAD src0_sel:DWORD src1_sel:WORD_1
	v_bfrev_b32_e32 v13, 60
	v_lshlrev_b32_e32 v11, 20, v11
	v_and_b32_e32 v12, 0x80000000, v12
	v_lshl_add_u32 v10, v10, 23, v13
	v_or3_b32 v13, v12, v10, v11
.LBB529_698:
	s_or_b64 exec, exec, s[24:25]
.LBB529_699:
	s_or_b64 exec, exec, s[14:15]
.LBB529_700:
	s_or_b64 exec, exec, s[12:13]
	s_mov_b32 s11, 0xffffff
	v_cmp_lt_u32_e32 vcc, s11, v6
	v_mov_b32_e32 v11, 0
	v_mov_b32_e32 v16, 0
	s_and_saveexec_b64 s[12:13], vcc
	s_cbranch_execz .LBB529_706
; %bb.701:
	v_lshrrev_b32_e32 v10, 24, v6
	s_movk_i32 s11, 0x80
	v_cmp_ne_u32_e32 vcc, s11, v10
	v_bfrev_b32_e32 v16, 1
	s_and_saveexec_b64 s[14:15], vcc
	s_cbranch_execz .LBB529_705
; %bb.702:
	v_bfe_u32 v12, v6, 24, 7
	s_movk_i32 s11, 0x7f
	v_cmp_ne_u32_e32 vcc, s11, v12
	v_mov_b32_e32 v16, 0x7f800001
	s_and_saveexec_b64 s[24:25], vcc
	s_cbranch_execz .LBB529_704
; %bb.703:
	v_and_b32_e32 v18, 7, v10
	v_ffbh_u32_e32 v16, v18
	v_min_u32_e32 v20, 32, v16
	v_subrev_u32_e32 v16, 28, v20
	v_lshlrev_b64 v[16:17], v16, v[10:11]
	v_lshrrev_b32_e32 v19, 3, v12
	v_sub_u32_e32 v17, 29, v20
	v_and_b32_e32 v16, 7, v16
	v_cmp_gt_u32_e32 vcc, 8, v12
	v_cndmask_b32_e32 v12, v19, v17, vcc
	v_cndmask_b32_e32 v16, v18, v16, vcc
	v_lshlrev_b32_e32 v10, 24, v10
	v_bfrev_b32_e32 v17, 60
	v_lshlrev_b32_e32 v16, 20, v16
	v_and_b32_e32 v10, 0x80000000, v10
	v_lshl_add_u32 v12, v12, 23, v17
	v_or3_b32 v16, v10, v12, v16
.LBB529_704:
	s_or_b64 exec, exec, s[24:25]
.LBB529_705:
	s_or_b64 exec, exec, s[14:15]
.LBB529_706:
	s_or_b64 exec, exec, s[12:13]
	v_mov_b32_e32 v10, v7
	v_cmp_ne_u16_sdwa s[14:15], v7, v11 src0_sel:BYTE_0 src1_sel:DWORD
	s_and_saveexec_b64 s[12:13], s[14:15]
	s_cbranch_execz .LBB529_712
; %bb.707:
	s_movk_i32 s11, 0x80
	v_cmp_ne_u16_sdwa s[24:25], v7, s11 src0_sel:BYTE_0 src1_sel:DWORD
	v_bfrev_b32_e32 v12, 1
	s_and_saveexec_b64 s[14:15], s[24:25]
	s_cbranch_execz .LBB529_711
; %bb.708:
	s_movk_i32 s11, 0x7f
	v_and_b32_e32 v17, 0x7f, v7
	v_cmp_ne_u32_e32 vcc, s11, v17
	v_mov_b32_e32 v12, 0x7f800001
	s_and_saveexec_b64 s[24:25], vcc
	s_cbranch_execz .LBB529_710
; %bb.709:
	v_and_b32_e32 v12, 7, v7
	v_ffbh_u32_e32 v12, v12
	v_min_u32_e32 v12, 32, v12
	v_subrev_u32_e32 v19, 28, v12
	v_cmp_gt_u32_e32 vcc, 8, v17
	v_lshrrev_b32_e32 v18, 3, v17
	v_sub_u32_e32 v12, 29, v12
	v_cndmask_b32_e32 v17, 0, v19, vcc
	v_cndmask_b32_e32 v12, v18, v12, vcc
	v_lshlrev_b64 v[18:19], v17, v[10:11]
	v_lshlrev_b32_e32 v11, 20, v18
	v_lshlrev_b32_e32 v17, 24, v10
	v_bfrev_b32_e32 v18, 60
	v_and_b32_e32 v11, 0x700000, v11
	v_and_b32_e32 v17, 0x80000000, v17
	v_lshl_add_u32 v12, v12, 23, v18
	v_or3_b32 v12, v17, v12, v11
.LBB529_710:
	s_or_b64 exec, exec, s[24:25]
.LBB529_711:
	s_or_b64 exec, exec, s[14:15]
	v_mov_b32_e32 v11, v12
.LBB529_712:
	s_or_b64 exec, exec, s[12:13]
	v_lshrrev_b16_e32 v12, 8, v10
	v_cmp_ne_u16_e32 vcc, 0, v12
	v_mov_b32_e32 v17, 0
	v_mov_b32_e32 v18, 0
	s_and_saveexec_b64 s[12:13], vcc
	s_cbranch_execz .LBB529_718
; %bb.713:
	s_movk_i32 s11, 0x80
	v_cmp_ne_u16_e32 vcc, s11, v12
	v_bfrev_b32_e32 v18, 1
	s_and_saveexec_b64 s[14:15], vcc
	s_cbranch_execz .LBB529_717
; %bb.714:
	s_movk_i32 s11, 0x7f
	v_and_b32_e32 v19, 0x7f, v12
	v_cmp_ne_u32_e32 vcc, s11, v19
	v_mov_b32_e32 v18, 0x7f800001
	s_and_saveexec_b64 s[24:25], vcc
	s_cbranch_execz .LBB529_716
; %bb.715:
	v_and_b32_e32 v18, 7, v12
	v_ffbh_u32_e32 v20, v18
	v_min_u32_e32 v23, 32, v20
	v_subrev_u32_e32 v20, 28, v23
	v_lshlrev_b64 v[20:21], v20, v[12:13]
	v_lshrrev_b32_e32 v22, 3, v19
	v_sub_u32_e32 v12, 29, v23
	v_and_b32_e32 v20, 7, v20
	v_cmp_gt_u32_e32 vcc, 8, v19
	v_cndmask_b32_e32 v12, v22, v12, vcc
	v_cndmask_b32_e32 v18, v18, v20, vcc
	v_lshlrev_b32_e32 v10, 16, v10
	v_bfrev_b32_e32 v19, 60
	v_lshlrev_b32_e32 v18, 20, v18
	v_and_b32_e32 v10, 0x80000000, v10
	v_lshl_add_u32 v12, v12, 23, v19
	v_or3_b32 v18, v10, v12, v18
.LBB529_716:
	s_or_b64 exec, exec, s[24:25]
.LBB529_717:
	s_or_b64 exec, exec, s[14:15]
.LBB529_718:
	s_or_b64 exec, exec, s[12:13]
	s_movk_i32 s11, 0xff
	v_and_b32_sdwa v12, v7, s11 dst_sel:DWORD dst_unused:UNUSED_PAD src0_sel:WORD_1 src1_sel:DWORD
	v_lshrrev_b32_e32 v10, 16, v7
	v_cmp_ne_u16_e32 vcc, 0, v12
	s_and_saveexec_b64 s[12:13], vcc
	s_cbranch_execz .LBB529_724
; %bb.719:
	s_movk_i32 s11, 0x80
	v_cmp_ne_u16_e32 vcc, s11, v12
	v_bfrev_b32_e32 v17, 1
	s_and_saveexec_b64 s[14:15], vcc
	s_cbranch_execz .LBB529_723
; %bb.720:
	v_bfe_u32 v12, v7, 16, 7
	s_movk_i32 s11, 0x7f
	v_cmp_ne_u32_e32 vcc, s11, v12
	v_mov_b32_e32 v17, 0x7f800001
	s_and_saveexec_b64 s[24:25], vcc
	s_cbranch_execz .LBB529_722
; %bb.721:
	v_and_b32_e32 v17, 7, v10
	v_ffbh_u32_e32 v20, v17
	v_min_u32_e32 v22, 32, v20
	v_subrev_u32_e32 v20, 28, v22
	v_lshlrev_b64 v[20:21], v20, v[10:11]
	v_and_b32_e32 v20, 7, v20
	v_cmp_gt_u32_e32 vcc, 8, v12
	v_lshrrev_b32_e32 v19, 3, v12
	v_sub_u32_e32 v10, 29, v22
	v_cndmask_b32_e32 v12, v17, v20, vcc
	v_mov_b32_e32 v17, 24
	v_cndmask_b32_e32 v10, v19, v10, vcc
	v_lshlrev_b32_sdwa v17, v17, v7 dst_sel:DWORD dst_unused:UNUSED_PAD src0_sel:DWORD src1_sel:WORD_1
	v_bfrev_b32_e32 v19, 60
	v_lshlrev_b32_e32 v12, 20, v12
	v_and_b32_e32 v17, 0x80000000, v17
	v_lshl_add_u32 v10, v10, 23, v19
	v_or3_b32 v17, v17, v10, v12
.LBB529_722:
	s_or_b64 exec, exec, s[24:25]
.LBB529_723:
	s_or_b64 exec, exec, s[14:15]
.LBB529_724:
	s_or_b64 exec, exec, s[12:13]
	s_mov_b32 s12, -1
	s_mov_b32 s13, 0xffffff
	v_cmp_lt_u64_e32 vcc, s[12:13], v[6:7]
	v_mov_b32_e32 v12, 0
	v_mov_b32_e32 v10, 0
	s_and_saveexec_b64 s[12:13], vcc
	s_cbranch_execz .LBB529_730
; %bb.725:
	v_lshrrev_b32_e32 v6, 24, v7
	s_movk_i32 s11, 0x80
	v_cmp_ne_u32_e32 vcc, s11, v6
	v_bfrev_b32_e32 v10, 1
	s_and_saveexec_b64 s[14:15], vcc
	s_cbranch_execz .LBB529_729
; %bb.726:
	v_bfe_u32 v7, v7, 24, 7
	s_movk_i32 s11, 0x7f
	v_cmp_ne_u32_e32 vcc, s11, v7
	v_mov_b32_e32 v10, 0x7f800001
	s_and_saveexec_b64 s[24:25], vcc
	s_cbranch_execz .LBB529_728
; %bb.727:
	v_and_b32_e32 v10, 7, v6
	v_ffbh_u32_e32 v20, v10
	v_min_u32_e32 v22, 32, v20
	v_subrev_u32_e32 v20, 28, v22
	v_lshlrev_b64 v[20:21], v20, v[6:7]
	v_lshrrev_b32_e32 v19, 3, v7
	v_sub_u32_e32 v21, 29, v22
	v_and_b32_e32 v20, 7, v20
	v_cmp_gt_u32_e32 vcc, 8, v7
	v_cndmask_b32_e32 v7, v19, v21, vcc
	v_cndmask_b32_e32 v10, v10, v20, vcc
	v_lshlrev_b32_e32 v6, 24, v6
	v_bfrev_b32_e32 v19, 60
	v_lshlrev_b32_e32 v10, 20, v10
	v_and_b32_e32 v6, 0x80000000, v6
	v_lshl_add_u32 v7, v7, 23, v19
	v_or3_b32 v10, v6, v7, v10
.LBB529_728:
	s_or_b64 exec, exec, s[24:25]
.LBB529_729:
	s_or_b64 exec, exec, s[14:15]
.LBB529_730:
	s_or_b64 exec, exec, s[12:13]
	v_cvt_pkrtz_f16_f32 v6, v14, v15
	v_cvt_pkrtz_f16_f32 v7, v13, v16
	;; [unrolled: 1-line block ×4, first 2 shown]
	v_mfma_f32_4x4x4f16 a[0:3], v[2:3], v[6:7], a[0:3] cbsz:4 abid:14
	v_cmp_ne_u16_sdwa s[14:15], v8, v12 src0_sel:BYTE_0 src1_sel:DWORD
	v_mfma_f32_4x4x4f16 a[0:3], v[4:5], v[14:15], a[0:3] cbsz:4 abid:14
	s_and_saveexec_b64 s[12:13], s[14:15]
	s_cbranch_execz .LBB529_736
; %bb.731:
	s_movk_i32 s11, 0x80
	v_cmp_ne_u16_sdwa s[24:25], v8, s11 src0_sel:BYTE_0 src1_sel:DWORD
	v_bfrev_b32_e32 v12, 1
	s_and_saveexec_b64 s[14:15], s[24:25]
	s_cbranch_execz .LBB529_735
; %bb.732:
	s_movk_i32 s11, 0x7f
	v_and_b32_e32 v6, 0x7f, v8
	v_cmp_ne_u32_e32 vcc, s11, v6
	v_mov_b32_e32 v12, 0x7f800001
	s_and_saveexec_b64 s[24:25], vcc
	s_cbranch_execz .LBB529_734
; %bb.733:
	v_and_b32_e32 v7, 7, v8
	v_ffbh_u32_e32 v7, v7
	v_min_u32_e32 v7, 32, v7
	v_subrev_u32_e32 v11, 28, v7
	v_cmp_gt_u32_e32 vcc, 8, v6
	v_lshrrev_b32_e32 v10, 3, v6
	v_sub_u32_e32 v7, 29, v7
	v_cndmask_b32_e32 v6, 0, v11, vcc
	v_cndmask_b32_e32 v10, v10, v7, vcc
	v_lshlrev_b64 v[6:7], v6, v[8:9]
	v_lshlrev_b32_e32 v6, 20, v6
	v_lshlrev_b32_e32 v7, 24, v8
	v_bfrev_b32_e32 v11, 60
	v_and_b32_e32 v6, 0x700000, v6
	v_and_b32_e32 v7, 0x80000000, v7
	v_lshl_add_u32 v10, v10, 23, v11
	v_or3_b32 v12, v7, v10, v6
.LBB529_734:
	s_or_b64 exec, exec, s[24:25]
.LBB529_735:
	s_or_b64 exec, exec, s[14:15]
.LBB529_736:
	s_or_b64 exec, exec, s[12:13]
	v_lshrrev_b16_e32 v6, 8, v8
	v_cmp_ne_u16_e32 vcc, 0, v6
	v_mov_b32_e32 v11, 0
	v_mov_b32_e32 v13, 0
	s_and_saveexec_b64 s[12:13], vcc
	s_cbranch_execz .LBB529_742
; %bb.737:
	s_movk_i32 s11, 0x80
	v_cmp_ne_u16_e32 vcc, s11, v6
	v_bfrev_b32_e32 v13, 1
	s_and_saveexec_b64 s[14:15], vcc
	s_cbranch_execz .LBB529_741
; %bb.738:
	s_movk_i32 s11, 0x7f
	v_and_b32_e32 v7, 0x7f, v6
	v_cmp_ne_u32_e32 vcc, s11, v7
	v_mov_b32_e32 v13, 0x7f800001
	s_and_saveexec_b64 s[24:25], vcc
	s_cbranch_execz .LBB529_740
; %bb.739:
	v_and_b32_e32 v10, 7, v6
	v_ffbh_u32_e32 v14, v10
	v_min_u32_e32 v16, 32, v14
	v_subrev_u32_e32 v14, 28, v16
	v_lshlrev_b64 v[14:15], v14, v[6:7]
	v_lshrrev_b32_e32 v13, 3, v7
	v_sub_u32_e32 v6, 29, v16
	v_and_b32_e32 v14, 7, v14
	v_cmp_gt_u32_e32 vcc, 8, v7
	v_cndmask_b32_e32 v6, v13, v6, vcc
	v_cndmask_b32_e32 v7, v10, v14, vcc
	v_lshlrev_b32_e32 v10, 16, v8
	v_bfrev_b32_e32 v13, 60
	v_lshlrev_b32_e32 v7, 20, v7
	v_and_b32_e32 v10, 0x80000000, v10
	v_lshl_add_u32 v6, v6, 23, v13
	v_or3_b32 v13, v10, v6, v7
.LBB529_740:
	s_or_b64 exec, exec, s[24:25]
.LBB529_741:
	s_or_b64 exec, exec, s[14:15]
.LBB529_742:
	s_or_b64 exec, exec, s[12:13]
	s_movk_i32 s11, 0xff
	v_and_b32_sdwa v7, v8, s11 dst_sel:DWORD dst_unused:UNUSED_PAD src0_sel:WORD_1 src1_sel:DWORD
	v_lshrrev_b32_e32 v6, 16, v8
	v_cmp_ne_u16_e32 vcc, 0, v7
	s_and_saveexec_b64 s[12:13], vcc
	s_cbranch_execz .LBB529_748
; %bb.743:
	s_movk_i32 s11, 0x80
	v_cmp_ne_u16_e32 vcc, s11, v7
	v_bfrev_b32_e32 v11, 1
	s_and_saveexec_b64 s[14:15], vcc
	s_cbranch_execz .LBB529_747
; %bb.744:
	v_bfe_u32 v7, v8, 16, 7
	s_movk_i32 s11, 0x7f
	v_cmp_ne_u32_e32 vcc, s11, v7
	v_mov_b32_e32 v11, 0x7f800001
	s_and_saveexec_b64 s[24:25], vcc
	s_cbranch_execz .LBB529_746
; %bb.745:
	v_and_b32_e32 v14, 7, v6
	v_ffbh_u32_e32 v10, v14
	v_min_u32_e32 v16, 32, v10
	v_subrev_u32_e32 v10, 28, v16
	v_lshlrev_b64 v[10:11], v10, v[6:7]
	v_and_b32_e32 v10, 7, v10
	v_cmp_gt_u32_e32 vcc, 8, v7
	v_lshrrev_b32_e32 v15, 3, v7
	v_sub_u32_e32 v6, 29, v16
	v_cndmask_b32_e32 v7, v14, v10, vcc
	v_mov_b32_e32 v10, 24
	v_cndmask_b32_e32 v6, v15, v6, vcc
	v_lshlrev_b32_sdwa v10, v10, v8 dst_sel:DWORD dst_unused:UNUSED_PAD src0_sel:DWORD src1_sel:WORD_1
	v_bfrev_b32_e32 v11, 60
	v_lshlrev_b32_e32 v7, 20, v7
	v_and_b32_e32 v10, 0x80000000, v10
	v_lshl_add_u32 v6, v6, 23, v11
	v_or3_b32 v11, v10, v6, v7
.LBB529_746:
	s_or_b64 exec, exec, s[24:25]
.LBB529_747:
	s_or_b64 exec, exec, s[14:15]
.LBB529_748:
	s_or_b64 exec, exec, s[12:13]
	s_mov_b32 s11, 0xffffff
	v_cmp_lt_u32_e32 vcc, s11, v8
	v_mov_b32_e32 v7, 0
	v_mov_b32_e32 v14, 0
	s_and_saveexec_b64 s[12:13], vcc
	s_cbranch_execz .LBB529_754
; %bb.749:
	v_lshrrev_b32_e32 v6, 24, v8
	s_movk_i32 s11, 0x80
	v_cmp_ne_u32_e32 vcc, s11, v6
	v_bfrev_b32_e32 v14, 1
	s_and_saveexec_b64 s[14:15], vcc
	s_cbranch_execz .LBB529_753
; %bb.750:
	v_bfe_u32 v10, v8, 24, 7
	s_movk_i32 s11, 0x7f
	v_cmp_ne_u32_e32 vcc, s11, v10
	v_mov_b32_e32 v14, 0x7f800001
	s_and_saveexec_b64 s[24:25], vcc
	s_cbranch_execz .LBB529_752
; %bb.751:
	v_and_b32_e32 v16, 7, v6
	v_ffbh_u32_e32 v14, v16
	v_min_u32_e32 v18, 32, v14
	v_subrev_u32_e32 v14, 28, v18
	v_lshlrev_b64 v[14:15], v14, v[6:7]
	v_lshrrev_b32_e32 v17, 3, v10
	v_sub_u32_e32 v15, 29, v18
	v_and_b32_e32 v14, 7, v14
	v_cmp_gt_u32_e32 vcc, 8, v10
	v_cndmask_b32_e32 v10, v17, v15, vcc
	v_cndmask_b32_e32 v14, v16, v14, vcc
	v_lshlrev_b32_e32 v6, 24, v6
	v_bfrev_b32_e32 v15, 60
	v_lshlrev_b32_e32 v14, 20, v14
	v_and_b32_e32 v6, 0x80000000, v6
	v_lshl_add_u32 v10, v10, 23, v15
	v_or3_b32 v14, v6, v10, v14
.LBB529_752:
	s_or_b64 exec, exec, s[24:25]
.LBB529_753:
	s_or_b64 exec, exec, s[14:15]
.LBB529_754:
	s_or_b64 exec, exec, s[12:13]
	v_mov_b32_e32 v6, v9
	v_cmp_ne_u16_sdwa s[14:15], v9, v7 src0_sel:BYTE_0 src1_sel:DWORD
	s_and_saveexec_b64 s[12:13], s[14:15]
	s_cbranch_execz .LBB529_760
; %bb.755:
	s_movk_i32 s11, 0x80
	v_cmp_ne_u16_sdwa s[24:25], v9, s11 src0_sel:BYTE_0 src1_sel:DWORD
	v_bfrev_b32_e32 v10, 1
	s_and_saveexec_b64 s[14:15], s[24:25]
	s_cbranch_execz .LBB529_759
; %bb.756:
	s_movk_i32 s11, 0x7f
	v_and_b32_e32 v15, 0x7f, v9
	v_cmp_ne_u32_e32 vcc, s11, v15
	v_mov_b32_e32 v10, 0x7f800001
	s_and_saveexec_b64 s[24:25], vcc
	s_cbranch_execz .LBB529_758
; %bb.757:
	v_and_b32_e32 v10, 7, v9
	v_ffbh_u32_e32 v10, v10
	v_min_u32_e32 v10, 32, v10
	v_subrev_u32_e32 v17, 28, v10
	v_cmp_gt_u32_e32 vcc, 8, v15
	v_lshrrev_b32_e32 v16, 3, v15
	v_sub_u32_e32 v10, 29, v10
	v_cndmask_b32_e32 v15, 0, v17, vcc
	v_cndmask_b32_e32 v10, v16, v10, vcc
	v_lshlrev_b64 v[16:17], v15, v[6:7]
	v_lshlrev_b32_e32 v7, 20, v16
	v_lshlrev_b32_e32 v15, 24, v6
	v_bfrev_b32_e32 v16, 60
	v_and_b32_e32 v7, 0x700000, v7
	v_and_b32_e32 v15, 0x80000000, v15
	v_lshl_add_u32 v10, v10, 23, v16
	v_or3_b32 v10, v15, v10, v7
.LBB529_758:
	s_or_b64 exec, exec, s[24:25]
.LBB529_759:
	s_or_b64 exec, exec, s[14:15]
	v_mov_b32_e32 v7, v10
.LBB529_760:
	s_or_b64 exec, exec, s[12:13]
	v_lshrrev_b16_e32 v10, 8, v6
	v_cmp_ne_u16_e32 vcc, 0, v10
	v_mov_b32_e32 v15, 0
	v_mov_b32_e32 v16, 0
	s_and_saveexec_b64 s[12:13], vcc
	s_cbranch_execz .LBB529_766
; %bb.761:
	s_movk_i32 s11, 0x80
	v_cmp_ne_u16_e32 vcc, s11, v10
	v_bfrev_b32_e32 v16, 1
	s_and_saveexec_b64 s[14:15], vcc
	s_cbranch_execz .LBB529_765
; %bb.762:
	s_movk_i32 s11, 0x7f
	v_and_b32_e32 v17, 0x7f, v10
	v_cmp_ne_u32_e32 vcc, s11, v17
	v_mov_b32_e32 v16, 0x7f800001
	s_and_saveexec_b64 s[24:25], vcc
	s_cbranch_execz .LBB529_764
; %bb.763:
	v_and_b32_e32 v16, 7, v10
	v_ffbh_u32_e32 v18, v16
	v_min_u32_e32 v21, 32, v18
	v_subrev_u32_e32 v18, 28, v21
	v_lshlrev_b64 v[18:19], v18, v[10:11]
	v_lshrrev_b32_e32 v20, 3, v17
	v_sub_u32_e32 v10, 29, v21
	v_and_b32_e32 v18, 7, v18
	v_cmp_gt_u32_e32 vcc, 8, v17
	v_cndmask_b32_e32 v10, v20, v10, vcc
	v_cndmask_b32_e32 v16, v16, v18, vcc
	v_lshlrev_b32_e32 v6, 16, v6
	v_bfrev_b32_e32 v17, 60
	v_lshlrev_b32_e32 v16, 20, v16
	v_and_b32_e32 v6, 0x80000000, v6
	v_lshl_add_u32 v10, v10, 23, v17
	v_or3_b32 v16, v6, v10, v16
.LBB529_764:
	s_or_b64 exec, exec, s[24:25]
.LBB529_765:
	s_or_b64 exec, exec, s[14:15]
.LBB529_766:
	s_or_b64 exec, exec, s[12:13]
	s_movk_i32 s11, 0xff
	v_and_b32_sdwa v10, v9, s11 dst_sel:DWORD dst_unused:UNUSED_PAD src0_sel:WORD_1 src1_sel:DWORD
	v_lshrrev_b32_e32 v6, 16, v9
	v_cmp_ne_u16_e32 vcc, 0, v10
	s_and_saveexec_b64 s[12:13], vcc
	s_cbranch_execz .LBB529_772
; %bb.767:
	s_movk_i32 s11, 0x80
	v_cmp_ne_u16_e32 vcc, s11, v10
	v_bfrev_b32_e32 v15, 1
	s_and_saveexec_b64 s[14:15], vcc
	s_cbranch_execz .LBB529_771
; %bb.768:
	v_bfe_u32 v10, v9, 16, 7
	s_movk_i32 s11, 0x7f
	v_cmp_ne_u32_e32 vcc, s11, v10
	v_mov_b32_e32 v15, 0x7f800001
	s_and_saveexec_b64 s[24:25], vcc
	s_cbranch_execz .LBB529_770
; %bb.769:
	v_and_b32_e32 v15, 7, v6
	v_ffbh_u32_e32 v18, v15
	v_min_u32_e32 v20, 32, v18
	v_subrev_u32_e32 v18, 28, v20
	v_lshlrev_b64 v[18:19], v18, v[6:7]
	v_and_b32_e32 v18, 7, v18
	v_cmp_gt_u32_e32 vcc, 8, v10
	v_lshrrev_b32_e32 v17, 3, v10
	v_sub_u32_e32 v6, 29, v20
	v_cndmask_b32_e32 v10, v15, v18, vcc
	v_mov_b32_e32 v15, 24
	v_cndmask_b32_e32 v6, v17, v6, vcc
	v_lshlrev_b32_sdwa v15, v15, v9 dst_sel:DWORD dst_unused:UNUSED_PAD src0_sel:DWORD src1_sel:WORD_1
	v_bfrev_b32_e32 v17, 60
	v_lshlrev_b32_e32 v10, 20, v10
	v_and_b32_e32 v15, 0x80000000, v15
	v_lshl_add_u32 v6, v6, 23, v17
	v_or3_b32 v15, v15, v6, v10
.LBB529_770:
	s_or_b64 exec, exec, s[24:25]
.LBB529_771:
	s_or_b64 exec, exec, s[14:15]
.LBB529_772:
	s_or_b64 exec, exec, s[12:13]
	s_mov_b32 s12, -1
	s_mov_b32 s13, 0xffffff
	v_cmp_lt_u64_e32 vcc, s[12:13], v[8:9]
	v_mov_b32_e32 v8, 0
	s_and_saveexec_b64 s[12:13], vcc
	s_cbranch_execz .LBB529_778
; %bb.773:
	v_lshrrev_b32_e32 v6, 24, v9
	s_movk_i32 s11, 0x80
	v_cmp_ne_u32_e32 vcc, s11, v6
	v_bfrev_b32_e32 v8, 1
	s_and_saveexec_b64 s[14:15], vcc
	s_cbranch_execz .LBB529_777
; %bb.774:
	v_bfe_u32 v9, v9, 24, 7
	s_movk_i32 s11, 0x7f
	v_cmp_ne_u32_e32 vcc, s11, v9
	v_mov_b32_e32 v8, 0x7f800001
	s_and_saveexec_b64 s[24:25], vcc
	s_cbranch_execz .LBB529_776
; %bb.775:
	v_and_b32_e32 v8, 7, v6
	v_ffbh_u32_e32 v17, v8
	v_min_u32_e32 v17, 32, v17
	v_subrev_u32_e32 v18, 28, v17
	v_lshlrev_b64 v[18:19], v18, v[6:7]
	v_lshrrev_b32_e32 v10, 3, v9
	v_sub_u32_e32 v17, 29, v17
	v_and_b32_e32 v18, 7, v18
	v_cmp_gt_u32_e32 vcc, 8, v9
	v_cndmask_b32_e32 v9, v10, v17, vcc
	v_cndmask_b32_e32 v8, v8, v18, vcc
	v_lshlrev_b32_e32 v6, 24, v6
	v_bfrev_b32_e32 v10, 60
	v_lshlrev_b32_e32 v8, 20, v8
	v_and_b32_e32 v6, 0x80000000, v6
	v_lshl_add_u32 v9, v9, 23, v10
	v_or3_b32 v8, v6, v9, v8
.LBB529_776:
	s_or_b64 exec, exec, s[24:25]
.LBB529_777:
	s_or_b64 exec, exec, s[14:15]
.LBB529_778:
	s_or_b64 exec, exec, s[12:13]
	s_load_dword s4, s[4:5], 0x1c
	v_cvt_pkrtz_f16_f32 v10, v12, v13
	v_cvt_pkrtz_f16_f32 v11, v11, v14
	s_load_dword s5, s[16:17], 0x0
	v_cvt_pkrtz_f16_f32 v6, v7, v16
	v_mfma_f32_4x4x4f16 a[0:3], v[2:3], v[10:11], a[0:3] cbsz:4 abid:15
	v_cvt_pkrtz_f16_f32 v7, v15, v8
	s_waitcnt lgkmcnt(0)
	v_mov_b32_e32 v2, s4
	v_cmp_eq_u32_e32 vcc, 0, v43
	v_mfma_f32_4x4x4f16 a[0:3], v[4:5], v[6:7], a[0:3] cbsz:4 abid:15
	v_mul_f32_e32 v4, s5, v2
	s_nop 3
	v_accvgpr_read_b32 v7, a1
	v_accvgpr_read_b32 v6, a0
	v_pk_mul_f32 v[6:7], v[6:7], v[4:5] op_sel_hi:[1,0]
	v_accvgpr_read_b32 v3, a3
	v_accvgpr_read_b32 v2, a2
	v_pk_mul_f32 v[2:3], v[2:3], v[4:5] op_sel_hi:[1,0]
	v_cndmask_b32_e64 v4, 0, 1.0, vcc
	v_cmp_eq_u32_e32 vcc, 1, v43
	s_nop 0
	v_mfma_f32_4x4x1f32 a[0:3], v6, v4, 0
	v_cndmask_b32_e64 v4, 0, 1.0, vcc
	v_cmp_eq_u32_e32 vcc, 2, v43
	v_mov_b32_e32 v6, 0xff7fffff
	v_mfma_f32_4x4x1f32 a[0:3], v7, v4, a[0:3]
	v_cndmask_b32_e64 v4, 0, 1.0, vcc
	v_cmp_eq_u32_e32 vcc, 3, v43
	s_nop 0
	v_mfma_f32_4x4x1f32 a[0:3], v2, v4, a[0:3]
	v_cndmask_b32_e64 v2, 0, 1.0, vcc
	s_nop 1
	v_mfma_f32_4x4x1f32 a[0:3], v3, v2, a[0:3]
	v_and_b32_e32 v2, -4, v44
	v_cmp_gt_i32_e32 vcc, s9, v2
	v_lshlrev_b32_e32 v3, 2, v0
	v_and_or_b32 v3, v3, 48, v43
	v_lshlrev_b32_e32 v10, 2, v3
	v_accvgpr_read_b32 v4, a0
	v_max_f32_e32 v5, v4, v4
	v_max_f32_e32 v5, 0xff7fffff, v5
	v_accvgpr_read_b32 v7, a1
	v_cndmask_b32_e32 v5, v6, v5, vcc
	v_or_b32_e32 v6, 1, v2
	v_max_f32_e32 v8, v7, v7
	v_max_f32_e32 v8, v5, v8
	v_cmp_gt_i32_e64 s[4:5], s9, v6
	v_cndmask_b32_e64 v5, v5, v8, s[4:5]
	v_accvgpr_read_b32 v8, a2
	v_or_b32_e32 v2, 2, v2
	v_max_f32_e32 v6, v8, v8
	v_max_f32_e32 v6, v5, v6
	v_cmp_gt_i32_e64 s[12:13], s9, v2
	v_accvgpr_read_b32 v9, a3
	v_cndmask_b32_e64 v2, v5, v6, s[12:13]
	v_or_b32_e32 v5, 3, v44
	v_max_f32_e32 v6, v9, v9
	v_max_f32_e32 v6, v2, v6
	v_cmp_gt_i32_e64 s[14:15], s9, v5
	v_cndmask_b32_e64 v2, v2, v6, s[14:15]
	;;#ASMSTART
	v_nop
 v_nop
 v_max_f32_dpp v2, v2, v2 row_ror:4
	;;#ASMEND
	;;#ASMSTART
	v_nop
 v_nop
 v_max_f32_dpp v2, v2, v2 row_ror:8
	;;#ASMEND
	ds_bpermute_b32 v2, v10, v2
	s_waitcnt lgkmcnt(0)
	;;#ASMSTART
	v_nop
 v_nop
 v_max_f32_dpp v2, v2, v2 row_ror:4
	;;#ASMEND
	;;#ASMSTART
	v_nop
 v_nop
 v_max_f32_dpp v6, v2, v2 row_ror:8
	;;#ASMEND
	v_sub_f32_e32 v2, v4, v6
	v_mul_f32_e32 v2, 0x3fb8aa3b, v2
	v_sub_f32_e32 v3, v7, v6
	v_exp_f32_e32 v2, v2
	v_mul_f32_e32 v3, 0x3fb8aa3b, v3
	v_sub_f32_e32 v5, v8, v6
	v_exp_f32_e32 v3, v3
	;; [unrolled: 3-line block ×3, first 2 shown]
	v_mul_f32_e32 v7, 0x3fb8aa3b, v7
	v_exp_f32_e32 v7, v7
	v_cndmask_b32_e32 v2, 0, v2, vcc
	v_add_f32_e32 v4, 0, v2
	v_cndmask_b32_e64 v3, 0, v3, s[4:5]
	v_add_f32_e32 v8, v4, v3
	v_cndmask_b32_e64 v4, 0, v5, s[12:13]
	;; [unrolled: 2-line block ×3, first 2 shown]
	v_add_f32_e32 v7, v8, v5
	;;#ASMSTART
	v_nop
 v_nop
 v_add_f32_dpp v7, v7, v7 row_ror:4
	;;#ASMEND
	;;#ASMSTART
	v_nop
 v_nop
 v_add_f32_dpp v7, v7, v7 row_ror:8
	;;#ASMEND
	ds_bpermute_b32 v7, v10, v7
	s_waitcnt lgkmcnt(0)
	;;#ASMSTART
	v_nop
 v_nop
 v_add_f32_dpp v7, v7, v7 row_ror:4
	;;#ASMEND
	v_cmp_gt_u32_e32 vcc, 4, v1
	;;#ASMSTART
	v_nop
 v_nop
 v_add_f32_dpp v7, v7, v7 row_ror:8
	;;#ASMEND
	s_and_saveexec_b64 s[4:5], vcc
	s_cbranch_execz .LBB529_780
; %bb.779:
	v_mul_u32_u24_e32 v8, 20, v42
	v_lshl_add_u32 v8, v43, 2, v8
	v_add_u32_e32 v8, 0x1400, v8
	ds_write2_b32 v8, v6, v7 offset1:20
.LBB529_780:
	s_or_b64 exec, exec, s[4:5]
.LBB529_781:
	s_or_b64 exec, exec, s[36:37]
	v_lshlrev_b32_e32 v7, 2, v43
	v_add_u32_e32 v7, 0x1400, v7
	s_waitcnt lgkmcnt(0)
	s_barrier
	s_load_dword s4, s[34:35], 0x8
	ds_read2_b32 v[10:11], v7 offset1:5
	ds_read2_b32 v[12:13], v7 offset0:10 offset1:15
	s_mov_b32 s12, 0xff7fffff
	s_mul_i32 s5, s8, s33
	ds_read2_b32 v[14:15], v7 offset0:20 offset1:25
	s_waitcnt lgkmcnt(0)
	v_max3_f32 v8, v10, s12, v11
	v_max3_f32 v8, v8, v12, v13
	v_sub_f32_e32 v9, v10, v8
	v_sub_f32_e32 v10, v11, v8
	v_mul_f32_e32 v9, 0x3fb8aa3b, v9
	v_mul_f32_e32 v10, 0x3fb8aa3b, v10
	s_mul_i32 s5, s5, s4
	v_exp_f32_e32 v9, v9
	v_exp_f32_e32 v16, v10
	ds_read2_b32 v[10:11], v7 offset0:30 offset1:35
	v_sub_f32_e32 v7, v12, v8
	s_lshl_b32 s4, s5, 2
	s_mov_b32 s5, 0
	v_mul_f32_e32 v7, 0x3fb8aa3b, v7
	v_sub_f32_e32 v12, v13, v8
	s_lshl_b32 s24, s10, 2
	s_lshl_b64 s[8:9], s[4:5], 2
	v_exp_f32_e32 v7, v7
	v_mul_f32_e32 v12, 0x3fb8aa3b, v12
	s_add_u32 s10, s20, s8
	v_exp_f32_e32 v12, v12
	s_addc_u32 s11, s21, s9
	v_fma_f32 v9, v9, v14, 0
	s_mov_b32 s29, s5
	s_add_u32 s12, s22, s8
	v_fmac_f32_e32 v9, v16, v15
	s_addc_u32 s13, s23, s9
	s_lshl_b64 s[8:9], s[28:29], 2
	s_waitcnt lgkmcnt(0)
	v_fmac_f32_e32 v9, v7, v10
	v_or_b32_e32 v7, s24, v43
	s_add_u32 s12, s12, s8
	v_fmac_f32_e32 v9, v12, v11
	v_mul_lo_u32 v10, s33, v7
	v_mov_b32_e32 v11, 0
	s_addc_u32 s13, s13, s9
	v_lshlrev_b64 v[10:11], 2, v[10:11]
	s_add_u32 s8, s10, s8
	v_mov_b32_e32 v7, s13
	v_add_co_u32_e32 v12, vcc, s12, v10
	s_addc_u32 s9, s11, s9
	v_addc_co_u32_e32 v13, vcc, v7, v11, vcc
	v_mov_b32_e32 v7, s9
	v_add_co_u32_e32 v10, vcc, s8, v10
	v_addc_co_u32_e32 v11, vcc, v7, v11, vcc
	v_lshlrev_b32_e32 v7, 3, v42
	global_store_dword v[12:13], v8, off
	global_store_dword v[10:11], v9, off
	s_and_saveexec_b64 s[8:9], s[6:7]
	s_xor_b64 s[6:7], exec, s[8:9]
	s_cbranch_execz .LBB529_783
; %bb.782:
	s_mov_b32 s8, s5
	s_mov_b32 s9, s5
	v_mad_u32_u24 v4, v1, 40, v7
	v_pk_mov_b32 v[2:3], s[8:9], s[8:9] op_sel:[0,1]
	ds_write2st64_b64 v4, v[2:3], v[2:3] offset1:5
                                        ; implicit-def: $vgpr7
                                        ; implicit-def: $vgpr6
                                        ; implicit-def: $vgpr8
                                        ; implicit-def: $vgpr9
                                        ; implicit-def: $vgpr4
                                        ; implicit-def: $vgpr2
.LBB529_783:
	s_andn2_saveexec_b64 s[6:7], s[6:7]
	s_cbranch_execz .LBB529_1171
; %bb.784:
	v_add_f32_e32 v9, 0x358637bd, v9
	v_div_scale_f32 v10, s[8:9], v9, v9, 1.0
	v_rcp_f32_e32 v11, v10
	v_sub_f32_e32 v6, v6, v8
	v_mul_f32_e32 v6, 0x3fb8aa3b, v6
	v_exp_f32_e32 v6, v6
	v_fma_f32 v8, -v10, v11, 1.0
	v_fmac_f32_e32 v11, v8, v11
	v_div_scale_f32 v8, vcc, 1.0, v9, 1.0
	v_mul_f32_e32 v12, v8, v11
	v_fma_f32 v13, -v10, v12, v8
	v_fmac_f32_e32 v12, v13, v11
	v_fma_f32 v8, -v10, v12, v8
	v_div_fmas_f32 v8, v8, v11, v12
	v_div_fixup_f32 v8, v8, v9, 1.0
	v_mul_f32_e32 v6, v6, v8
	v_pk_mul_f32 v[4:5], v[4:5], v[6:7] op_sel_hi:[1,0]
	v_pk_mul_f32 v[2:3], v[2:3], v[6:7] op_sel_hi:[1,0]
	s_load_dword s8, s[18:19], 0x0
	v_cvt_f16_f32_e32 v2, v2
	v_cvt_f16_f32_e32 v3, v3
	;; [unrolled: 1-line block ×4, first 2 shown]
	v_mov_b32_e32 v11, 0
	v_add_u32_e32 v5, 64, v11
	v_pack_b32_f16 v2, v2, v3
	v_pack_b32_f16 v3, v4, v6
	s_waitcnt lgkmcnt(0)
	s_mov_b32 s9, s8
	s_mov_b32 s10, s8
	;; [unrolled: 1-line block ×4, first 2 shown]
	s_mov_b64 s[12:13], -1
	s_movk_i32 s5, 0x80
	s_movk_i32 s21, 0x7f
	s_mov_b32 s22, 0xffffff
	v_mov_b32_e32 v9, 0
	v_bfrev_b32_e32 v10, 60
	s_branch .LBB529_788
.LBB529_785:                            ;   in Loop: Header=BB529_788 Depth=1
	s_or_b64 exec, exec, s[18:19]
.LBB529_786:                            ;   in Loop: Header=BB529_788 Depth=1
	s_or_b64 exec, exec, s[16:17]
.LBB529_787:                            ;   in Loop: Header=BB529_788 Depth=1
	s_or_b64 exec, exec, s[14:15]
	v_cvt_pkrtz_f16_f32 v12, v13, v12
	v_cvt_pkrtz_f16_f32 v13, v11, v15
	;; [unrolled: 1-line block ×4, first 2 shown]
	v_mfma_f32_4x4x4f16 a[0:3], v[2:3], v[12:13], a[0:3] cbsz:4 abid:14
	s_mul_i32 s14, s20, 0xa00
	v_mfma_f32_4x4x4f16 a[0:3], v[2:3], v[14:15], a[0:3] cbsz:4 abid:15
	s_mov_b32 s20, 1
	s_nop 3
	v_accvgpr_read_b32 v15, a1
	v_accvgpr_read_b32 v14, a0
	v_pk_mul_f32 v[14:15], v[14:15], s[8:9]
	v_accvgpr_read_b32 v13, a3
	v_accvgpr_read_b32 v12, a2
	v_cvt_f16_f32_e32 v4, v14
	v_cvt_f16_f32_e32 v6, v15
	v_pk_mul_f32 v[12:13], v[12:13], s[10:11]
	v_cvt_f16_f32_e32 v8, v12
	v_cvt_f16_f32_e32 v11, v13
	v_pack_b32_f16 v12, v4, v6
	v_mul_u32_u24_e32 v4, 40, v1
	v_add3_u32 v4, s14, v4, v7
	s_xor_b64 s[14:15], s[12:13], -1
	v_pack_b32_f16 v13, v8, v11
	s_mov_b64 s[12:13], 0
	s_andn2_b64 vcc, exec, s[14:15]
	v_mov_b32_e32 v11, v5
	ds_write_b64 v4, v[12:13]
	s_cbranch_vccz .LBB529_1171
.LBB529_788:                            ; =>This Inner Loop Header: Depth=1
	buffer_load_dword v6, v11, s[0:3], 0 offen
	buffer_load_dword v4, v11, s[0:3], 0 offen offset:4
	v_mov_b32_e32 v13, 0
	s_waitcnt vmcnt(1)
	v_cmp_ne_u16_sdwa s[16:17], v6, v9 src0_sel:BYTE_0 src1_sel:DWORD
	s_and_saveexec_b64 s[14:15], s[16:17]
	s_cbranch_execz .LBB529_794
; %bb.789:                              ;   in Loop: Header=BB529_788 Depth=1
	v_cmp_ne_u16_sdwa s[18:19], v6, s5 src0_sel:BYTE_0 src1_sel:DWORD
	v_bfrev_b32_e32 v13, 1
	s_and_saveexec_b64 s[16:17], s[18:19]
	s_cbranch_execz .LBB529_793
; %bb.790:                              ;   in Loop: Header=BB529_788 Depth=1
	v_and_b32_e32 v8, 0x7f, v6
	v_cmp_ne_u32_e32 vcc, s21, v8
	v_mov_b32_e32 v13, 0x7f800001
	s_and_saveexec_b64 s[18:19], vcc
	s_cbranch_execz .LBB529_792
; %bb.791:                              ;   in Loop: Header=BB529_788 Depth=1
	v_and_b32_e32 v14, 7, v6
	v_ffbh_u32_e32 v12, v14
	v_min_u32_e32 v16, 32, v12
	v_subrev_u32_e32 v12, 28, v16
	v_lshlrev_b64 v[12:13], v12, v[6:7]
	v_lshrrev_b32_e32 v15, 3, v8
	v_sub_u32_e32 v13, 29, v16
	v_and_b32_e32 v12, 7, v12
	v_cmp_gt_u32_e32 vcc, 8, v8
	v_cndmask_b32_e32 v8, v15, v13, vcc
	v_cndmask_b32_e32 v12, v14, v12, vcc
	v_lshlrev_b32_e32 v13, 24, v6
	v_lshlrev_b32_e32 v12, 20, v12
	v_and_b32_e32 v13, 0x80000000, v13
	v_lshl_add_u32 v8, v8, 23, v10
	v_or3_b32 v13, v13, v8, v12
.LBB529_792:                            ;   in Loop: Header=BB529_788 Depth=1
	s_or_b64 exec, exec, s[18:19]
.LBB529_793:                            ;   in Loop: Header=BB529_788 Depth=1
	s_or_b64 exec, exec, s[16:17]
.LBB529_794:                            ;   in Loop: Header=BB529_788 Depth=1
	s_or_b64 exec, exec, s[14:15]
	v_lshrrev_b16_e32 v8, 8, v6
	v_cmp_ne_u16_e32 vcc, 0, v8
	v_mov_b32_e32 v14, 0
	v_mov_b32_e32 v15, 0
	s_and_saveexec_b64 s[14:15], vcc
	s_cbranch_execz .LBB529_800
; %bb.795:                              ;   in Loop: Header=BB529_788 Depth=1
	v_cmp_ne_u16_e32 vcc, s5, v8
	v_bfrev_b32_e32 v15, 1
	s_and_saveexec_b64 s[16:17], vcc
	s_cbranch_execz .LBB529_799
; %bb.796:                              ;   in Loop: Header=BB529_788 Depth=1
	v_and_b32_e32 v12, 0x7f, v8
	v_cmp_ne_u32_e32 vcc, s21, v12
	v_mov_b32_e32 v15, 0x7f800001
	s_and_saveexec_b64 s[18:19], vcc
	s_cbranch_execz .LBB529_798
; %bb.797:                              ;   in Loop: Header=BB529_788 Depth=1
	v_and_b32_e32 v15, 7, v8
	v_ffbh_u32_e32 v16, v15
	v_min_u32_e32 v19, 32, v16
	v_subrev_u32_e32 v16, 28, v19
	v_lshlrev_b64 v[16:17], v16, v[8:9]
	v_lshrrev_b32_e32 v18, 3, v12
	v_sub_u32_e32 v8, 29, v19
	v_and_b32_e32 v16, 7, v16
	v_cmp_gt_u32_e32 vcc, 8, v12
	v_cndmask_b32_e32 v8, v18, v8, vcc
	v_cndmask_b32_e32 v12, v15, v16, vcc
	v_lshlrev_b32_e32 v15, 16, v6
	v_lshlrev_b32_e32 v12, 20, v12
	v_and_b32_e32 v15, 0x80000000, v15
	v_lshl_add_u32 v8, v8, 23, v10
	v_or3_b32 v15, v15, v8, v12
.LBB529_798:                            ;   in Loop: Header=BB529_788 Depth=1
	s_or_b64 exec, exec, s[18:19]
.LBB529_799:                            ;   in Loop: Header=BB529_788 Depth=1
	s_or_b64 exec, exec, s[16:17]
.LBB529_800:                            ;   in Loop: Header=BB529_788 Depth=1
	s_or_b64 exec, exec, s[14:15]
	v_lshrrev_b32_e32 v8, 16, v6
	v_cmp_ne_u16_sdwa s[16:17], v8, v9 src0_sel:BYTE_0 src1_sel:DWORD
	s_and_saveexec_b64 s[14:15], s[16:17]
	s_cbranch_execz .LBB529_806
; %bb.801:                              ;   in Loop: Header=BB529_788 Depth=1
	v_cmp_ne_u16_sdwa s[18:19], v8, s5 src0_sel:BYTE_0 src1_sel:DWORD
	v_bfrev_b32_e32 v14, 1
	s_and_saveexec_b64 s[16:17], s[18:19]
	s_cbranch_execz .LBB529_805
; %bb.802:                              ;   in Loop: Header=BB529_788 Depth=1
	v_bfe_u32 v12, v6, 16, 7
	v_cmp_ne_u32_e32 vcc, s21, v12
	v_mov_b32_e32 v14, 0x7f800001
	s_and_saveexec_b64 s[18:19], vcc
	s_cbranch_execz .LBB529_804
; %bb.803:                              ;   in Loop: Header=BB529_788 Depth=1
	v_and_b32_e32 v14, 7, v8
	v_ffbh_u32_e32 v16, v14
	v_min_u32_e32 v19, 32, v16
	v_subrev_u32_e32 v16, 28, v19
	v_lshlrev_b64 v[16:17], v16, v[8:9]
	v_lshrrev_b32_e32 v18, 3, v12
	v_sub_u32_e32 v17, 29, v19
	v_and_b32_e32 v16, 7, v16
	v_cmp_gt_u32_e32 vcc, 8, v12
	v_cndmask_b32_e32 v12, v18, v17, vcc
	v_cndmask_b32_e32 v14, v14, v16, vcc
	v_lshlrev_b32_e32 v8, 24, v8
	v_lshlrev_b32_e32 v14, 20, v14
	v_and_b32_e32 v8, 0x80000000, v8
	v_lshl_add_u32 v12, v12, 23, v10
	v_or3_b32 v14, v8, v12, v14
.LBB529_804:                            ;   in Loop: Header=BB529_788 Depth=1
	s_or_b64 exec, exec, s[18:19]
.LBB529_805:                            ;   in Loop: Header=BB529_788 Depth=1
	s_or_b64 exec, exec, s[16:17]
.LBB529_806:                            ;   in Loop: Header=BB529_788 Depth=1
	s_or_b64 exec, exec, s[14:15]
	v_cmp_lt_u32_e32 vcc, s22, v6
	v_mov_b32_e32 v16, 0
	v_mov_b32_e32 v17, 0
	s_and_saveexec_b64 s[14:15], vcc
	s_cbranch_execz .LBB529_812
; %bb.807:                              ;   in Loop: Header=BB529_788 Depth=1
	v_lshrrev_b32_e32 v8, 24, v6
	v_cmp_ne_u32_e32 vcc, s5, v8
	v_bfrev_b32_e32 v17, 1
	s_and_saveexec_b64 s[16:17], vcc
	s_cbranch_execz .LBB529_811
; %bb.808:                              ;   in Loop: Header=BB529_788 Depth=1
	v_bfe_u32 v6, v6, 24, 7
	v_cmp_ne_u32_e32 vcc, s21, v6
	v_mov_b32_e32 v17, 0x7f800001
	s_and_saveexec_b64 s[18:19], vcc
	s_cbranch_execz .LBB529_810
; %bb.809:                              ;   in Loop: Header=BB529_788 Depth=1
	v_and_b32_e32 v12, 7, v8
	v_ffbh_u32_e32 v18, v12
	v_min_u32_e32 v20, 32, v18
	v_subrev_u32_e32 v18, 28, v20
	v_lshlrev_b64 v[18:19], v18, v[8:9]
	v_lshrrev_b32_e32 v17, 3, v6
	v_sub_u32_e32 v19, 29, v20
	v_and_b32_e32 v18, 7, v18
	v_cmp_gt_u32_e32 vcc, 8, v6
	v_cndmask_b32_e32 v6, v17, v19, vcc
	v_cndmask_b32_e32 v12, v12, v18, vcc
	v_lshlrev_b32_e32 v8, 24, v8
	v_lshlrev_b32_e32 v12, 20, v12
	v_and_b32_e32 v8, 0x80000000, v8
	v_lshl_add_u32 v6, v6, 23, v10
	v_or3_b32 v17, v8, v6, v12
.LBB529_810:                            ;   in Loop: Header=BB529_788 Depth=1
	s_or_b64 exec, exec, s[18:19]
.LBB529_811:                            ;   in Loop: Header=BB529_788 Depth=1
	s_or_b64 exec, exec, s[16:17]
.LBB529_812:                            ;   in Loop: Header=BB529_788 Depth=1
	s_or_b64 exec, exec, s[14:15]
	s_waitcnt vmcnt(0)
	v_cmp_ne_u16_sdwa s[16:17], v4, v9 src0_sel:BYTE_0 src1_sel:DWORD
	s_and_saveexec_b64 s[14:15], s[16:17]
	s_cbranch_execz .LBB529_818
; %bb.813:                              ;   in Loop: Header=BB529_788 Depth=1
	v_cmp_ne_u16_sdwa s[18:19], v4, s5 src0_sel:BYTE_0 src1_sel:DWORD
	v_bfrev_b32_e32 v16, 1
	s_and_saveexec_b64 s[16:17], s[18:19]
	s_cbranch_execz .LBB529_817
; %bb.814:                              ;   in Loop: Header=BB529_788 Depth=1
	v_and_b32_e32 v6, 0x7f, v4
	v_cmp_ne_u32_e32 vcc, s21, v6
	v_mov_b32_e32 v16, 0x7f800001
	s_and_saveexec_b64 s[18:19], vcc
	s_cbranch_execz .LBB529_816
; %bb.815:                              ;   in Loop: Header=BB529_788 Depth=1
	v_and_b32_e32 v8, 7, v4
	v_ffbh_u32_e32 v16, v8
	v_min_u32_e32 v16, 32, v16
	v_subrev_u32_e32 v18, 28, v16
	v_lshlrev_b64 v[18:19], v18, v[4:5]
	v_lshrrev_b32_e32 v12, 3, v6
	v_sub_u32_e32 v16, 29, v16
	v_and_b32_e32 v18, 7, v18
	v_cmp_gt_u32_e32 vcc, 8, v6
	v_cndmask_b32_e32 v6, v12, v16, vcc
	v_cndmask_b32_e32 v8, v8, v18, vcc
	v_lshlrev_b32_e32 v12, 24, v4
	v_lshlrev_b32_e32 v8, 20, v8
	v_and_b32_e32 v12, 0x80000000, v12
	v_lshl_add_u32 v6, v6, 23, v10
	v_or3_b32 v16, v12, v6, v8
.LBB529_816:                            ;   in Loop: Header=BB529_788 Depth=1
	s_or_b64 exec, exec, s[18:19]
.LBB529_817:                            ;   in Loop: Header=BB529_788 Depth=1
	s_or_b64 exec, exec, s[16:17]
.LBB529_818:                            ;   in Loop: Header=BB529_788 Depth=1
	s_or_b64 exec, exec, s[14:15]
	v_lshrrev_b16_e32 v6, 8, v4
	v_cmp_ne_u16_e32 vcc, 0, v6
	v_mov_b32_e32 v8, 0
	v_mov_b32_e32 v18, 0
	s_and_saveexec_b64 s[14:15], vcc
	s_cbranch_execz .LBB529_824
; %bb.819:                              ;   in Loop: Header=BB529_788 Depth=1
	v_cmp_ne_u16_e32 vcc, s5, v6
	v_bfrev_b32_e32 v18, 1
	s_and_saveexec_b64 s[16:17], vcc
	s_cbranch_execz .LBB529_823
; %bb.820:                              ;   in Loop: Header=BB529_788 Depth=1
	v_and_b32_e32 v12, 0x7f, v6
	v_cmp_ne_u32_e32 vcc, s21, v12
	v_mov_b32_e32 v18, 0x7f800001
	s_and_saveexec_b64 s[18:19], vcc
	s_cbranch_execz .LBB529_822
; %bb.821:                              ;   in Loop: Header=BB529_788 Depth=1
	v_and_b32_e32 v20, 7, v6
	v_ffbh_u32_e32 v18, v20
	v_min_u32_e32 v22, 32, v18
	v_subrev_u32_e32 v18, 28, v22
	v_lshlrev_b64 v[18:19], v18, v[6:7]
	v_lshrrev_b32_e32 v21, 3, v12
	v_sub_u32_e32 v6, 29, v22
	v_and_b32_e32 v18, 7, v18
	v_cmp_gt_u32_e32 vcc, 8, v12
	v_cndmask_b32_e32 v6, v21, v6, vcc
	v_cndmask_b32_e32 v12, v20, v18, vcc
	v_lshlrev_b32_e32 v18, 16, v4
	v_lshlrev_b32_e32 v12, 20, v12
	v_and_b32_e32 v18, 0x80000000, v18
	v_lshl_add_u32 v6, v6, 23, v10
	v_or3_b32 v18, v18, v6, v12
.LBB529_822:                            ;   in Loop: Header=BB529_788 Depth=1
	s_or_b64 exec, exec, s[18:19]
.LBB529_823:                            ;   in Loop: Header=BB529_788 Depth=1
	s_or_b64 exec, exec, s[16:17]
.LBB529_824:                            ;   in Loop: Header=BB529_788 Depth=1
	s_or_b64 exec, exec, s[14:15]
	v_lshrrev_b32_e32 v6, 16, v4
	v_cmp_ne_u16_sdwa s[16:17], v6, v9 src0_sel:BYTE_0 src1_sel:DWORD
	s_and_saveexec_b64 s[14:15], s[16:17]
	s_cbranch_execz .LBB529_830
; %bb.825:                              ;   in Loop: Header=BB529_788 Depth=1
	v_cmp_ne_u16_sdwa s[18:19], v6, s5 src0_sel:BYTE_0 src1_sel:DWORD
	v_bfrev_b32_e32 v8, 1
	s_and_saveexec_b64 s[16:17], s[18:19]
	s_cbranch_execz .LBB529_829
; %bb.826:                              ;   in Loop: Header=BB529_788 Depth=1
	v_bfe_u32 v12, v4, 16, 7
	v_cmp_ne_u32_e32 vcc, s21, v12
	v_mov_b32_e32 v8, 0x7f800001
	s_and_saveexec_b64 s[18:19], vcc
	s_cbranch_execz .LBB529_828
; %bb.827:                              ;   in Loop: Header=BB529_788 Depth=1
	v_and_b32_e32 v8, 7, v6
	v_ffbh_u32_e32 v20, v8
	v_min_u32_e32 v22, 32, v20
	v_subrev_u32_e32 v20, 28, v22
	v_lshlrev_b64 v[20:21], v20, v[6:7]
	v_lshrrev_b32_e32 v19, 3, v12
	v_sub_u32_e32 v21, 29, v22
	v_and_b32_e32 v20, 7, v20
	v_cmp_gt_u32_e32 vcc, 8, v12
	v_cndmask_b32_e32 v12, v19, v21, vcc
	v_cndmask_b32_e32 v8, v8, v20, vcc
	v_lshlrev_b32_e32 v6, 24, v6
	v_lshlrev_b32_e32 v8, 20, v8
	v_and_b32_e32 v6, 0x80000000, v6
	v_lshl_add_u32 v12, v12, 23, v10
	v_or3_b32 v8, v6, v12, v8
.LBB529_828:                            ;   in Loop: Header=BB529_788 Depth=1
	s_or_b64 exec, exec, s[18:19]
.LBB529_829:                            ;   in Loop: Header=BB529_788 Depth=1
	s_or_b64 exec, exec, s[16:17]
.LBB529_830:                            ;   in Loop: Header=BB529_788 Depth=1
	s_or_b64 exec, exec, s[14:15]
	v_cmp_lt_u32_e32 vcc, s22, v4
	v_mov_b32_e32 v12, 0
	v_mov_b32_e32 v19, 0
	s_and_saveexec_b64 s[14:15], vcc
	s_cbranch_execz .LBB529_836
; %bb.831:                              ;   in Loop: Header=BB529_788 Depth=1
	v_lshrrev_b32_e32 v6, 24, v4
	v_cmp_ne_u32_e32 vcc, s5, v6
	v_bfrev_b32_e32 v19, 1
	s_and_saveexec_b64 s[16:17], vcc
	s_cbranch_execz .LBB529_835
; %bb.832:                              ;   in Loop: Header=BB529_788 Depth=1
	v_bfe_u32 v4, v4, 24, 7
	v_cmp_ne_u32_e32 vcc, s21, v4
	v_mov_b32_e32 v19, 0x7f800001
	s_and_saveexec_b64 s[18:19], vcc
	s_cbranch_execz .LBB529_834
; %bb.833:                              ;   in Loop: Header=BB529_788 Depth=1
	v_and_b32_e32 v19, 7, v6
	v_ffbh_u32_e32 v20, v19
	v_min_u32_e32 v23, 32, v20
	v_subrev_u32_e32 v20, 28, v23
	v_lshlrev_b64 v[20:21], v20, v[6:7]
	v_lshrrev_b32_e32 v22, 3, v4
	v_sub_u32_e32 v21, 29, v23
	v_and_b32_e32 v20, 7, v20
	v_cmp_gt_u32_e32 vcc, 8, v4
	v_cndmask_b32_e32 v4, v22, v21, vcc
	v_cndmask_b32_e32 v19, v19, v20, vcc
	v_lshlrev_b32_e32 v6, 24, v6
	v_lshlrev_b32_e32 v19, 20, v19
	v_and_b32_e32 v6, 0x80000000, v6
	v_lshl_add_u32 v4, v4, 23, v10
	v_or3_b32 v19, v6, v4, v19
.LBB529_834:                            ;   in Loop: Header=BB529_788 Depth=1
	s_or_b64 exec, exec, s[18:19]
.LBB529_835:                            ;   in Loop: Header=BB529_788 Depth=1
	s_or_b64 exec, exec, s[16:17]
.LBB529_836:                            ;   in Loop: Header=BB529_788 Depth=1
	s_or_b64 exec, exec, s[14:15]
	buffer_load_dword v6, v11, s[0:3], 0 offen offset:8
	buffer_load_dword v4, v11, s[0:3], 0 offen offset:12
	v_cvt_pkrtz_f16_f32 v20, v13, v15
	v_cvt_pkrtz_f16_f32 v21, v14, v17
	;; [unrolled: 1-line block ×4, first 2 shown]
	v_mfma_f32_4x4x4f16 a[0:3], v[2:3], v[20:21], 0 cbsz:4
	s_waitcnt vmcnt(1)
	v_cmp_ne_u16_sdwa s[16:17], v6, v9 src0_sel:BYTE_0 src1_sel:DWORD
	v_mfma_f32_4x4x4f16 a[0:3], v[2:3], v[14:15], a[0:3] cbsz:4 abid:1
	s_and_saveexec_b64 s[14:15], s[16:17]
	s_cbranch_execz .LBB529_842
; %bb.837:                              ;   in Loop: Header=BB529_788 Depth=1
	v_cmp_ne_u16_sdwa s[18:19], v6, s5 src0_sel:BYTE_0 src1_sel:DWORD
	v_bfrev_b32_e32 v12, 1
	s_and_saveexec_b64 s[16:17], s[18:19]
	s_cbranch_execz .LBB529_841
; %bb.838:                              ;   in Loop: Header=BB529_788 Depth=1
	v_and_b32_e32 v8, 0x7f, v6
	v_cmp_ne_u32_e32 vcc, s21, v8
	v_mov_b32_e32 v12, 0x7f800001
	s_and_saveexec_b64 s[18:19], vcc
	s_cbranch_execz .LBB529_840
; %bb.839:                              ;   in Loop: Header=BB529_788 Depth=1
	v_and_b32_e32 v14, 7, v6
	v_ffbh_u32_e32 v12, v14
	v_min_u32_e32 v16, 32, v12
	v_subrev_u32_e32 v12, 28, v16
	v_lshlrev_b64 v[12:13], v12, v[6:7]
	v_lshrrev_b32_e32 v15, 3, v8
	v_sub_u32_e32 v13, 29, v16
	v_and_b32_e32 v12, 7, v12
	v_cmp_gt_u32_e32 vcc, 8, v8
	v_cndmask_b32_e32 v8, v15, v13, vcc
	v_cndmask_b32_e32 v12, v14, v12, vcc
	v_lshlrev_b32_e32 v13, 24, v6
	v_lshlrev_b32_e32 v12, 20, v12
	v_and_b32_e32 v13, 0x80000000, v13
	v_lshl_add_u32 v8, v8, 23, v10
	v_or3_b32 v12, v13, v8, v12
.LBB529_840:                            ;   in Loop: Header=BB529_788 Depth=1
	s_or_b64 exec, exec, s[18:19]
.LBB529_841:                            ;   in Loop: Header=BB529_788 Depth=1
	s_or_b64 exec, exec, s[16:17]
.LBB529_842:                            ;   in Loop: Header=BB529_788 Depth=1
	s_or_b64 exec, exec, s[14:15]
	v_lshrrev_b16_e32 v8, 8, v6
	v_cmp_ne_u16_e32 vcc, 0, v8
	v_mov_b32_e32 v14, 0
	v_mov_b32_e32 v15, 0
	s_and_saveexec_b64 s[14:15], vcc
	s_cbranch_execz .LBB529_848
; %bb.843:                              ;   in Loop: Header=BB529_788 Depth=1
	v_cmp_ne_u16_e32 vcc, s5, v8
	v_bfrev_b32_e32 v15, 1
	s_and_saveexec_b64 s[16:17], vcc
	s_cbranch_execz .LBB529_847
; %bb.844:                              ;   in Loop: Header=BB529_788 Depth=1
	v_and_b32_e32 v13, 0x7f, v8
	v_cmp_ne_u32_e32 vcc, s21, v13
	v_mov_b32_e32 v15, 0x7f800001
	s_and_saveexec_b64 s[18:19], vcc
	s_cbranch_execz .LBB529_846
; %bb.845:                              ;   in Loop: Header=BB529_788 Depth=1
	v_and_b32_e32 v15, 7, v8
	v_ffbh_u32_e32 v16, v15
	v_min_u32_e32 v19, 32, v16
	v_subrev_u32_e32 v16, 28, v19
	v_lshlrev_b64 v[16:17], v16, v[8:9]
	v_lshrrev_b32_e32 v18, 3, v13
	v_sub_u32_e32 v8, 29, v19
	v_and_b32_e32 v16, 7, v16
	v_cmp_gt_u32_e32 vcc, 8, v13
	v_cndmask_b32_e32 v8, v18, v8, vcc
	v_cndmask_b32_e32 v13, v15, v16, vcc
	v_lshlrev_b32_e32 v15, 16, v6
	v_lshlrev_b32_e32 v13, 20, v13
	v_and_b32_e32 v15, 0x80000000, v15
	v_lshl_add_u32 v8, v8, 23, v10
	v_or3_b32 v15, v15, v8, v13
.LBB529_846:                            ;   in Loop: Header=BB529_788 Depth=1
	s_or_b64 exec, exec, s[18:19]
.LBB529_847:                            ;   in Loop: Header=BB529_788 Depth=1
	s_or_b64 exec, exec, s[16:17]
.LBB529_848:                            ;   in Loop: Header=BB529_788 Depth=1
	s_or_b64 exec, exec, s[14:15]
	v_lshrrev_b32_e32 v8, 16, v6
	v_cmp_ne_u16_sdwa s[16:17], v8, v9 src0_sel:BYTE_0 src1_sel:DWORD
	s_and_saveexec_b64 s[14:15], s[16:17]
	s_cbranch_execz .LBB529_854
; %bb.849:                              ;   in Loop: Header=BB529_788 Depth=1
	v_cmp_ne_u16_sdwa s[18:19], v8, s5 src0_sel:BYTE_0 src1_sel:DWORD
	v_bfrev_b32_e32 v14, 1
	s_and_saveexec_b64 s[16:17], s[18:19]
	s_cbranch_execz .LBB529_853
; %bb.850:                              ;   in Loop: Header=BB529_788 Depth=1
	v_bfe_u32 v13, v6, 16, 7
	v_cmp_ne_u32_e32 vcc, s21, v13
	v_mov_b32_e32 v14, 0x7f800001
	s_and_saveexec_b64 s[18:19], vcc
	s_cbranch_execz .LBB529_852
; %bb.851:                              ;   in Loop: Header=BB529_788 Depth=1
	v_and_b32_e32 v14, 7, v8
	v_ffbh_u32_e32 v16, v14
	v_min_u32_e32 v19, 32, v16
	v_subrev_u32_e32 v16, 28, v19
	v_lshlrev_b64 v[16:17], v16, v[8:9]
	v_lshrrev_b32_e32 v18, 3, v13
	v_sub_u32_e32 v17, 29, v19
	v_and_b32_e32 v16, 7, v16
	v_cmp_gt_u32_e32 vcc, 8, v13
	v_cndmask_b32_e32 v13, v18, v17, vcc
	v_cndmask_b32_e32 v14, v14, v16, vcc
	v_lshlrev_b32_e32 v8, 24, v8
	v_lshlrev_b32_e32 v14, 20, v14
	v_and_b32_e32 v8, 0x80000000, v8
	v_lshl_add_u32 v13, v13, 23, v10
	v_or3_b32 v14, v8, v13, v14
.LBB529_852:                            ;   in Loop: Header=BB529_788 Depth=1
	s_or_b64 exec, exec, s[18:19]
.LBB529_853:                            ;   in Loop: Header=BB529_788 Depth=1
	s_or_b64 exec, exec, s[16:17]
.LBB529_854:                            ;   in Loop: Header=BB529_788 Depth=1
	s_or_b64 exec, exec, s[14:15]
	v_cmp_lt_u32_e32 vcc, s22, v6
	v_mov_b32_e32 v16, 0
	v_mov_b32_e32 v17, 0
	s_and_saveexec_b64 s[14:15], vcc
	s_cbranch_execz .LBB529_860
; %bb.855:                              ;   in Loop: Header=BB529_788 Depth=1
	v_lshrrev_b32_e32 v8, 24, v6
	v_cmp_ne_u32_e32 vcc, s5, v8
	v_bfrev_b32_e32 v17, 1
	s_and_saveexec_b64 s[16:17], vcc
	s_cbranch_execz .LBB529_859
; %bb.856:                              ;   in Loop: Header=BB529_788 Depth=1
	v_bfe_u32 v6, v6, 24, 7
	v_cmp_ne_u32_e32 vcc, s21, v6
	v_mov_b32_e32 v17, 0x7f800001
	s_and_saveexec_b64 s[18:19], vcc
	s_cbranch_execz .LBB529_858
; %bb.857:                              ;   in Loop: Header=BB529_788 Depth=1
	v_and_b32_e32 v13, 7, v8
	v_ffbh_u32_e32 v18, v13
	v_min_u32_e32 v20, 32, v18
	v_subrev_u32_e32 v18, 28, v20
	v_lshlrev_b64 v[18:19], v18, v[8:9]
	v_lshrrev_b32_e32 v17, 3, v6
	v_sub_u32_e32 v19, 29, v20
	v_and_b32_e32 v18, 7, v18
	v_cmp_gt_u32_e32 vcc, 8, v6
	v_cndmask_b32_e32 v6, v17, v19, vcc
	v_cndmask_b32_e32 v13, v13, v18, vcc
	v_lshlrev_b32_e32 v8, 24, v8
	v_lshlrev_b32_e32 v13, 20, v13
	v_and_b32_e32 v8, 0x80000000, v8
	v_lshl_add_u32 v6, v6, 23, v10
	v_or3_b32 v17, v8, v6, v13
.LBB529_858:                            ;   in Loop: Header=BB529_788 Depth=1
	s_or_b64 exec, exec, s[18:19]
.LBB529_859:                            ;   in Loop: Header=BB529_788 Depth=1
	s_or_b64 exec, exec, s[16:17]
.LBB529_860:                            ;   in Loop: Header=BB529_788 Depth=1
	s_or_b64 exec, exec, s[14:15]
	s_waitcnt vmcnt(0)
	v_cmp_ne_u16_sdwa s[16:17], v4, v9 src0_sel:BYTE_0 src1_sel:DWORD
	s_and_saveexec_b64 s[14:15], s[16:17]
	s_cbranch_execz .LBB529_866
; %bb.861:                              ;   in Loop: Header=BB529_788 Depth=1
	v_cmp_ne_u16_sdwa s[18:19], v4, s5 src0_sel:BYTE_0 src1_sel:DWORD
	v_bfrev_b32_e32 v16, 1
	s_and_saveexec_b64 s[16:17], s[18:19]
	s_cbranch_execz .LBB529_865
; %bb.862:                              ;   in Loop: Header=BB529_788 Depth=1
	v_and_b32_e32 v6, 0x7f, v4
	v_cmp_ne_u32_e32 vcc, s21, v6
	v_mov_b32_e32 v16, 0x7f800001
	s_and_saveexec_b64 s[18:19], vcc
	s_cbranch_execz .LBB529_864
; %bb.863:                              ;   in Loop: Header=BB529_788 Depth=1
	v_and_b32_e32 v8, 7, v4
	v_ffbh_u32_e32 v16, v8
	v_min_u32_e32 v16, 32, v16
	v_subrev_u32_e32 v18, 28, v16
	v_lshlrev_b64 v[18:19], v18, v[4:5]
	v_lshrrev_b32_e32 v13, 3, v6
	v_sub_u32_e32 v16, 29, v16
	v_and_b32_e32 v18, 7, v18
	v_cmp_gt_u32_e32 vcc, 8, v6
	v_cndmask_b32_e32 v6, v13, v16, vcc
	v_cndmask_b32_e32 v8, v8, v18, vcc
	v_lshlrev_b32_e32 v13, 24, v4
	v_lshlrev_b32_e32 v8, 20, v8
	v_and_b32_e32 v13, 0x80000000, v13
	v_lshl_add_u32 v6, v6, 23, v10
	v_or3_b32 v16, v13, v6, v8
.LBB529_864:                            ;   in Loop: Header=BB529_788 Depth=1
	s_or_b64 exec, exec, s[18:19]
.LBB529_865:                            ;   in Loop: Header=BB529_788 Depth=1
	s_or_b64 exec, exec, s[16:17]
.LBB529_866:                            ;   in Loop: Header=BB529_788 Depth=1
	s_or_b64 exec, exec, s[14:15]
	v_lshrrev_b16_e32 v6, 8, v4
	v_cmp_ne_u16_e32 vcc, 0, v6
	v_mov_b32_e32 v8, 0
	v_mov_b32_e32 v18, 0
	s_and_saveexec_b64 s[14:15], vcc
	s_cbranch_execz .LBB529_872
; %bb.867:                              ;   in Loop: Header=BB529_788 Depth=1
	v_cmp_ne_u16_e32 vcc, s5, v6
	v_bfrev_b32_e32 v18, 1
	s_and_saveexec_b64 s[16:17], vcc
	s_cbranch_execz .LBB529_871
; %bb.868:                              ;   in Loop: Header=BB529_788 Depth=1
	v_and_b32_e32 v13, 0x7f, v6
	v_cmp_ne_u32_e32 vcc, s21, v13
	v_mov_b32_e32 v18, 0x7f800001
	s_and_saveexec_b64 s[18:19], vcc
	s_cbranch_execz .LBB529_870
; %bb.869:                              ;   in Loop: Header=BB529_788 Depth=1
	v_and_b32_e32 v20, 7, v6
	v_ffbh_u32_e32 v18, v20
	v_min_u32_e32 v22, 32, v18
	v_subrev_u32_e32 v18, 28, v22
	v_lshlrev_b64 v[18:19], v18, v[6:7]
	v_lshrrev_b32_e32 v21, 3, v13
	v_sub_u32_e32 v6, 29, v22
	v_and_b32_e32 v18, 7, v18
	v_cmp_gt_u32_e32 vcc, 8, v13
	v_cndmask_b32_e32 v6, v21, v6, vcc
	v_cndmask_b32_e32 v13, v20, v18, vcc
	v_lshlrev_b32_e32 v18, 16, v4
	v_lshlrev_b32_e32 v13, 20, v13
	v_and_b32_e32 v18, 0x80000000, v18
	v_lshl_add_u32 v6, v6, 23, v10
	v_or3_b32 v18, v18, v6, v13
.LBB529_870:                            ;   in Loop: Header=BB529_788 Depth=1
	s_or_b64 exec, exec, s[18:19]
.LBB529_871:                            ;   in Loop: Header=BB529_788 Depth=1
	s_or_b64 exec, exec, s[16:17]
.LBB529_872:                            ;   in Loop: Header=BB529_788 Depth=1
	s_or_b64 exec, exec, s[14:15]
	v_lshrrev_b32_e32 v6, 16, v4
	v_cmp_ne_u16_sdwa s[16:17], v6, v9 src0_sel:BYTE_0 src1_sel:DWORD
	s_and_saveexec_b64 s[14:15], s[16:17]
	s_cbranch_execz .LBB529_878
; %bb.873:                              ;   in Loop: Header=BB529_788 Depth=1
	v_cmp_ne_u16_sdwa s[18:19], v6, s5 src0_sel:BYTE_0 src1_sel:DWORD
	v_bfrev_b32_e32 v8, 1
	s_and_saveexec_b64 s[16:17], s[18:19]
	s_cbranch_execz .LBB529_877
; %bb.874:                              ;   in Loop: Header=BB529_788 Depth=1
	v_bfe_u32 v13, v4, 16, 7
	v_cmp_ne_u32_e32 vcc, s21, v13
	v_mov_b32_e32 v8, 0x7f800001
	s_and_saveexec_b64 s[18:19], vcc
	s_cbranch_execz .LBB529_876
; %bb.875:                              ;   in Loop: Header=BB529_788 Depth=1
	v_and_b32_e32 v8, 7, v6
	v_ffbh_u32_e32 v20, v8
	v_min_u32_e32 v22, 32, v20
	v_subrev_u32_e32 v20, 28, v22
	v_lshlrev_b64 v[20:21], v20, v[6:7]
	v_lshrrev_b32_e32 v19, 3, v13
	v_sub_u32_e32 v21, 29, v22
	v_and_b32_e32 v20, 7, v20
	v_cmp_gt_u32_e32 vcc, 8, v13
	v_cndmask_b32_e32 v13, v19, v21, vcc
	v_cndmask_b32_e32 v8, v8, v20, vcc
	v_lshlrev_b32_e32 v6, 24, v6
	v_lshlrev_b32_e32 v8, 20, v8
	v_and_b32_e32 v6, 0x80000000, v6
	v_lshl_add_u32 v13, v13, 23, v10
	v_or3_b32 v8, v6, v13, v8
.LBB529_876:                            ;   in Loop: Header=BB529_788 Depth=1
	s_or_b64 exec, exec, s[18:19]
.LBB529_877:                            ;   in Loop: Header=BB529_788 Depth=1
	s_or_b64 exec, exec, s[16:17]
.LBB529_878:                            ;   in Loop: Header=BB529_788 Depth=1
	s_or_b64 exec, exec, s[14:15]
	v_cmp_lt_u32_e32 vcc, s22, v4
	v_mov_b32_e32 v13, 0
	v_mov_b32_e32 v19, 0
	s_and_saveexec_b64 s[14:15], vcc
	s_cbranch_execz .LBB529_884
; %bb.879:                              ;   in Loop: Header=BB529_788 Depth=1
	v_lshrrev_b32_e32 v6, 24, v4
	v_cmp_ne_u32_e32 vcc, s5, v6
	v_bfrev_b32_e32 v19, 1
	s_and_saveexec_b64 s[16:17], vcc
	s_cbranch_execz .LBB529_883
; %bb.880:                              ;   in Loop: Header=BB529_788 Depth=1
	v_bfe_u32 v4, v4, 24, 7
	v_cmp_ne_u32_e32 vcc, s21, v4
	v_mov_b32_e32 v19, 0x7f800001
	s_and_saveexec_b64 s[18:19], vcc
	s_cbranch_execz .LBB529_882
; %bb.881:                              ;   in Loop: Header=BB529_788 Depth=1
	v_and_b32_e32 v19, 7, v6
	v_ffbh_u32_e32 v20, v19
	v_min_u32_e32 v23, 32, v20
	v_subrev_u32_e32 v20, 28, v23
	v_lshlrev_b64 v[20:21], v20, v[6:7]
	v_lshrrev_b32_e32 v22, 3, v4
	v_sub_u32_e32 v21, 29, v23
	v_and_b32_e32 v20, 7, v20
	v_cmp_gt_u32_e32 vcc, 8, v4
	v_cndmask_b32_e32 v4, v22, v21, vcc
	v_cndmask_b32_e32 v19, v19, v20, vcc
	v_lshlrev_b32_e32 v6, 24, v6
	v_lshlrev_b32_e32 v19, 20, v19
	v_and_b32_e32 v6, 0x80000000, v6
	v_lshl_add_u32 v4, v4, 23, v10
	v_or3_b32 v19, v6, v4, v19
.LBB529_882:                            ;   in Loop: Header=BB529_788 Depth=1
	s_or_b64 exec, exec, s[18:19]
.LBB529_883:                            ;   in Loop: Header=BB529_788 Depth=1
	s_or_b64 exec, exec, s[16:17]
.LBB529_884:                            ;   in Loop: Header=BB529_788 Depth=1
	s_or_b64 exec, exec, s[14:15]
	buffer_load_dword v6, v11, s[0:3], 0 offen offset:16
	buffer_load_dword v4, v11, s[0:3], 0 offen offset:20
	v_cvt_pkrtz_f16_f32 v20, v12, v15
	v_cvt_pkrtz_f16_f32 v21, v14, v17
	v_cvt_pkrtz_f16_f32 v14, v16, v18
	v_cvt_pkrtz_f16_f32 v15, v8, v19
	v_mfma_f32_4x4x4f16 a[0:3], v[2:3], v[20:21], a[0:3] cbsz:4 abid:2
	s_waitcnt vmcnt(1)
	v_cmp_ne_u16_sdwa s[16:17], v6, v9 src0_sel:BYTE_0 src1_sel:DWORD
	v_mfma_f32_4x4x4f16 a[0:3], v[2:3], v[14:15], a[0:3] cbsz:4 abid:3
	s_and_saveexec_b64 s[14:15], s[16:17]
	s_cbranch_execz .LBB529_890
; %bb.885:                              ;   in Loop: Header=BB529_788 Depth=1
	v_cmp_ne_u16_sdwa s[18:19], v6, s5 src0_sel:BYTE_0 src1_sel:DWORD
	v_bfrev_b32_e32 v13, 1
	s_and_saveexec_b64 s[16:17], s[18:19]
	s_cbranch_execz .LBB529_889
; %bb.886:                              ;   in Loop: Header=BB529_788 Depth=1
	v_and_b32_e32 v8, 0x7f, v6
	v_cmp_ne_u32_e32 vcc, s21, v8
	v_mov_b32_e32 v13, 0x7f800001
	s_and_saveexec_b64 s[18:19], vcc
	s_cbranch_execz .LBB529_888
; %bb.887:                              ;   in Loop: Header=BB529_788 Depth=1
	v_and_b32_e32 v14, 7, v6
	v_ffbh_u32_e32 v12, v14
	v_min_u32_e32 v16, 32, v12
	v_subrev_u32_e32 v12, 28, v16
	v_lshlrev_b64 v[12:13], v12, v[6:7]
	v_lshrrev_b32_e32 v15, 3, v8
	v_sub_u32_e32 v13, 29, v16
	v_and_b32_e32 v12, 7, v12
	v_cmp_gt_u32_e32 vcc, 8, v8
	v_cndmask_b32_e32 v8, v15, v13, vcc
	v_cndmask_b32_e32 v12, v14, v12, vcc
	v_lshlrev_b32_e32 v13, 24, v6
	v_lshlrev_b32_e32 v12, 20, v12
	v_and_b32_e32 v13, 0x80000000, v13
	v_lshl_add_u32 v8, v8, 23, v10
	v_or3_b32 v13, v13, v8, v12
.LBB529_888:                            ;   in Loop: Header=BB529_788 Depth=1
	s_or_b64 exec, exec, s[18:19]
.LBB529_889:                            ;   in Loop: Header=BB529_788 Depth=1
	s_or_b64 exec, exec, s[16:17]
.LBB529_890:                            ;   in Loop: Header=BB529_788 Depth=1
	s_or_b64 exec, exec, s[14:15]
	v_lshrrev_b16_e32 v8, 8, v6
	v_cmp_ne_u16_e32 vcc, 0, v8
	v_mov_b32_e32 v14, 0
	v_mov_b32_e32 v15, 0
	s_and_saveexec_b64 s[14:15], vcc
	s_cbranch_execz .LBB529_896
; %bb.891:                              ;   in Loop: Header=BB529_788 Depth=1
	v_cmp_ne_u16_e32 vcc, s5, v8
	v_bfrev_b32_e32 v15, 1
	s_and_saveexec_b64 s[16:17], vcc
	s_cbranch_execz .LBB529_895
; %bb.892:                              ;   in Loop: Header=BB529_788 Depth=1
	v_and_b32_e32 v12, 0x7f, v8
	v_cmp_ne_u32_e32 vcc, s21, v12
	v_mov_b32_e32 v15, 0x7f800001
	s_and_saveexec_b64 s[18:19], vcc
	s_cbranch_execz .LBB529_894
; %bb.893:                              ;   in Loop: Header=BB529_788 Depth=1
	v_and_b32_e32 v15, 7, v8
	v_ffbh_u32_e32 v16, v15
	v_min_u32_e32 v19, 32, v16
	v_subrev_u32_e32 v16, 28, v19
	v_lshlrev_b64 v[16:17], v16, v[8:9]
	v_lshrrev_b32_e32 v18, 3, v12
	v_sub_u32_e32 v8, 29, v19
	v_and_b32_e32 v16, 7, v16
	v_cmp_gt_u32_e32 vcc, 8, v12
	v_cndmask_b32_e32 v8, v18, v8, vcc
	v_cndmask_b32_e32 v12, v15, v16, vcc
	v_lshlrev_b32_e32 v15, 16, v6
	v_lshlrev_b32_e32 v12, 20, v12
	v_and_b32_e32 v15, 0x80000000, v15
	v_lshl_add_u32 v8, v8, 23, v10
	v_or3_b32 v15, v15, v8, v12
.LBB529_894:                            ;   in Loop: Header=BB529_788 Depth=1
	s_or_b64 exec, exec, s[18:19]
.LBB529_895:                            ;   in Loop: Header=BB529_788 Depth=1
	s_or_b64 exec, exec, s[16:17]
.LBB529_896:                            ;   in Loop: Header=BB529_788 Depth=1
	s_or_b64 exec, exec, s[14:15]
	v_lshrrev_b32_e32 v8, 16, v6
	v_cmp_ne_u16_sdwa s[16:17], v8, v9 src0_sel:BYTE_0 src1_sel:DWORD
	s_and_saveexec_b64 s[14:15], s[16:17]
	s_cbranch_execz .LBB529_902
; %bb.897:                              ;   in Loop: Header=BB529_788 Depth=1
	v_cmp_ne_u16_sdwa s[18:19], v8, s5 src0_sel:BYTE_0 src1_sel:DWORD
	v_bfrev_b32_e32 v14, 1
	s_and_saveexec_b64 s[16:17], s[18:19]
	s_cbranch_execz .LBB529_901
; %bb.898:                              ;   in Loop: Header=BB529_788 Depth=1
	v_bfe_u32 v12, v6, 16, 7
	v_cmp_ne_u32_e32 vcc, s21, v12
	v_mov_b32_e32 v14, 0x7f800001
	s_and_saveexec_b64 s[18:19], vcc
	s_cbranch_execz .LBB529_900
; %bb.899:                              ;   in Loop: Header=BB529_788 Depth=1
	v_and_b32_e32 v14, 7, v8
	v_ffbh_u32_e32 v16, v14
	v_min_u32_e32 v19, 32, v16
	v_subrev_u32_e32 v16, 28, v19
	v_lshlrev_b64 v[16:17], v16, v[8:9]
	v_lshrrev_b32_e32 v18, 3, v12
	v_sub_u32_e32 v17, 29, v19
	v_and_b32_e32 v16, 7, v16
	v_cmp_gt_u32_e32 vcc, 8, v12
	v_cndmask_b32_e32 v12, v18, v17, vcc
	v_cndmask_b32_e32 v14, v14, v16, vcc
	v_lshlrev_b32_e32 v8, 24, v8
	v_lshlrev_b32_e32 v14, 20, v14
	v_and_b32_e32 v8, 0x80000000, v8
	v_lshl_add_u32 v12, v12, 23, v10
	v_or3_b32 v14, v8, v12, v14
.LBB529_900:                            ;   in Loop: Header=BB529_788 Depth=1
	s_or_b64 exec, exec, s[18:19]
.LBB529_901:                            ;   in Loop: Header=BB529_788 Depth=1
	s_or_b64 exec, exec, s[16:17]
.LBB529_902:                            ;   in Loop: Header=BB529_788 Depth=1
	s_or_b64 exec, exec, s[14:15]
	v_cmp_lt_u32_e32 vcc, s22, v6
	v_mov_b32_e32 v16, 0
	v_mov_b32_e32 v17, 0
	s_and_saveexec_b64 s[14:15], vcc
	s_cbranch_execz .LBB529_908
; %bb.903:                              ;   in Loop: Header=BB529_788 Depth=1
	v_lshrrev_b32_e32 v8, 24, v6
	v_cmp_ne_u32_e32 vcc, s5, v8
	v_bfrev_b32_e32 v17, 1
	s_and_saveexec_b64 s[16:17], vcc
	s_cbranch_execz .LBB529_907
; %bb.904:                              ;   in Loop: Header=BB529_788 Depth=1
	v_bfe_u32 v6, v6, 24, 7
	v_cmp_ne_u32_e32 vcc, s21, v6
	v_mov_b32_e32 v17, 0x7f800001
	s_and_saveexec_b64 s[18:19], vcc
	s_cbranch_execz .LBB529_906
; %bb.905:                              ;   in Loop: Header=BB529_788 Depth=1
	v_and_b32_e32 v12, 7, v8
	v_ffbh_u32_e32 v18, v12
	v_min_u32_e32 v20, 32, v18
	v_subrev_u32_e32 v18, 28, v20
	v_lshlrev_b64 v[18:19], v18, v[8:9]
	v_lshrrev_b32_e32 v17, 3, v6
	v_sub_u32_e32 v19, 29, v20
	v_and_b32_e32 v18, 7, v18
	v_cmp_gt_u32_e32 vcc, 8, v6
	v_cndmask_b32_e32 v6, v17, v19, vcc
	v_cndmask_b32_e32 v12, v12, v18, vcc
	v_lshlrev_b32_e32 v8, 24, v8
	v_lshlrev_b32_e32 v12, 20, v12
	v_and_b32_e32 v8, 0x80000000, v8
	v_lshl_add_u32 v6, v6, 23, v10
	v_or3_b32 v17, v8, v6, v12
.LBB529_906:                            ;   in Loop: Header=BB529_788 Depth=1
	s_or_b64 exec, exec, s[18:19]
.LBB529_907:                            ;   in Loop: Header=BB529_788 Depth=1
	s_or_b64 exec, exec, s[16:17]
.LBB529_908:                            ;   in Loop: Header=BB529_788 Depth=1
	s_or_b64 exec, exec, s[14:15]
	s_waitcnt vmcnt(0)
	v_cmp_ne_u16_sdwa s[16:17], v4, v9 src0_sel:BYTE_0 src1_sel:DWORD
	s_and_saveexec_b64 s[14:15], s[16:17]
	s_cbranch_execz .LBB529_914
; %bb.909:                              ;   in Loop: Header=BB529_788 Depth=1
	v_cmp_ne_u16_sdwa s[18:19], v4, s5 src0_sel:BYTE_0 src1_sel:DWORD
	v_bfrev_b32_e32 v16, 1
	s_and_saveexec_b64 s[16:17], s[18:19]
	s_cbranch_execz .LBB529_913
; %bb.910:                              ;   in Loop: Header=BB529_788 Depth=1
	v_and_b32_e32 v6, 0x7f, v4
	v_cmp_ne_u32_e32 vcc, s21, v6
	v_mov_b32_e32 v16, 0x7f800001
	s_and_saveexec_b64 s[18:19], vcc
	s_cbranch_execz .LBB529_912
; %bb.911:                              ;   in Loop: Header=BB529_788 Depth=1
	v_and_b32_e32 v8, 7, v4
	v_ffbh_u32_e32 v16, v8
	v_min_u32_e32 v16, 32, v16
	v_subrev_u32_e32 v18, 28, v16
	v_lshlrev_b64 v[18:19], v18, v[4:5]
	v_lshrrev_b32_e32 v12, 3, v6
	v_sub_u32_e32 v16, 29, v16
	v_and_b32_e32 v18, 7, v18
	v_cmp_gt_u32_e32 vcc, 8, v6
	v_cndmask_b32_e32 v6, v12, v16, vcc
	v_cndmask_b32_e32 v8, v8, v18, vcc
	v_lshlrev_b32_e32 v12, 24, v4
	v_lshlrev_b32_e32 v8, 20, v8
	v_and_b32_e32 v12, 0x80000000, v12
	v_lshl_add_u32 v6, v6, 23, v10
	v_or3_b32 v16, v12, v6, v8
.LBB529_912:                            ;   in Loop: Header=BB529_788 Depth=1
	s_or_b64 exec, exec, s[18:19]
.LBB529_913:                            ;   in Loop: Header=BB529_788 Depth=1
	s_or_b64 exec, exec, s[16:17]
.LBB529_914:                            ;   in Loop: Header=BB529_788 Depth=1
	s_or_b64 exec, exec, s[14:15]
	v_lshrrev_b16_e32 v6, 8, v4
	v_cmp_ne_u16_e32 vcc, 0, v6
	v_mov_b32_e32 v8, 0
	v_mov_b32_e32 v18, 0
	s_and_saveexec_b64 s[14:15], vcc
	s_cbranch_execz .LBB529_920
; %bb.915:                              ;   in Loop: Header=BB529_788 Depth=1
	v_cmp_ne_u16_e32 vcc, s5, v6
	v_bfrev_b32_e32 v18, 1
	s_and_saveexec_b64 s[16:17], vcc
	s_cbranch_execz .LBB529_919
; %bb.916:                              ;   in Loop: Header=BB529_788 Depth=1
	v_and_b32_e32 v12, 0x7f, v6
	v_cmp_ne_u32_e32 vcc, s21, v12
	v_mov_b32_e32 v18, 0x7f800001
	s_and_saveexec_b64 s[18:19], vcc
	s_cbranch_execz .LBB529_918
; %bb.917:                              ;   in Loop: Header=BB529_788 Depth=1
	v_and_b32_e32 v20, 7, v6
	v_ffbh_u32_e32 v18, v20
	v_min_u32_e32 v22, 32, v18
	v_subrev_u32_e32 v18, 28, v22
	v_lshlrev_b64 v[18:19], v18, v[6:7]
	v_lshrrev_b32_e32 v21, 3, v12
	v_sub_u32_e32 v6, 29, v22
	v_and_b32_e32 v18, 7, v18
	v_cmp_gt_u32_e32 vcc, 8, v12
	v_cndmask_b32_e32 v6, v21, v6, vcc
	v_cndmask_b32_e32 v12, v20, v18, vcc
	v_lshlrev_b32_e32 v18, 16, v4
	v_lshlrev_b32_e32 v12, 20, v12
	v_and_b32_e32 v18, 0x80000000, v18
	v_lshl_add_u32 v6, v6, 23, v10
	v_or3_b32 v18, v18, v6, v12
.LBB529_918:                            ;   in Loop: Header=BB529_788 Depth=1
	s_or_b64 exec, exec, s[18:19]
.LBB529_919:                            ;   in Loop: Header=BB529_788 Depth=1
	s_or_b64 exec, exec, s[16:17]
.LBB529_920:                            ;   in Loop: Header=BB529_788 Depth=1
	s_or_b64 exec, exec, s[14:15]
	v_lshrrev_b32_e32 v6, 16, v4
	v_cmp_ne_u16_sdwa s[16:17], v6, v9 src0_sel:BYTE_0 src1_sel:DWORD
	s_and_saveexec_b64 s[14:15], s[16:17]
	s_cbranch_execz .LBB529_926
; %bb.921:                              ;   in Loop: Header=BB529_788 Depth=1
	v_cmp_ne_u16_sdwa s[18:19], v6, s5 src0_sel:BYTE_0 src1_sel:DWORD
	v_bfrev_b32_e32 v8, 1
	s_and_saveexec_b64 s[16:17], s[18:19]
	s_cbranch_execz .LBB529_925
; %bb.922:                              ;   in Loop: Header=BB529_788 Depth=1
	v_bfe_u32 v12, v4, 16, 7
	v_cmp_ne_u32_e32 vcc, s21, v12
	v_mov_b32_e32 v8, 0x7f800001
	s_and_saveexec_b64 s[18:19], vcc
	s_cbranch_execz .LBB529_924
; %bb.923:                              ;   in Loop: Header=BB529_788 Depth=1
	v_and_b32_e32 v8, 7, v6
	v_ffbh_u32_e32 v20, v8
	v_min_u32_e32 v22, 32, v20
	v_subrev_u32_e32 v20, 28, v22
	v_lshlrev_b64 v[20:21], v20, v[6:7]
	v_lshrrev_b32_e32 v19, 3, v12
	v_sub_u32_e32 v21, 29, v22
	v_and_b32_e32 v20, 7, v20
	v_cmp_gt_u32_e32 vcc, 8, v12
	v_cndmask_b32_e32 v12, v19, v21, vcc
	v_cndmask_b32_e32 v8, v8, v20, vcc
	v_lshlrev_b32_e32 v6, 24, v6
	v_lshlrev_b32_e32 v8, 20, v8
	v_and_b32_e32 v6, 0x80000000, v6
	v_lshl_add_u32 v12, v12, 23, v10
	v_or3_b32 v8, v6, v12, v8
.LBB529_924:                            ;   in Loop: Header=BB529_788 Depth=1
	s_or_b64 exec, exec, s[18:19]
.LBB529_925:                            ;   in Loop: Header=BB529_788 Depth=1
	s_or_b64 exec, exec, s[16:17]
.LBB529_926:                            ;   in Loop: Header=BB529_788 Depth=1
	s_or_b64 exec, exec, s[14:15]
	v_cmp_lt_u32_e32 vcc, s22, v4
	v_mov_b32_e32 v12, 0
	v_mov_b32_e32 v19, 0
	s_and_saveexec_b64 s[14:15], vcc
	s_cbranch_execz .LBB529_932
; %bb.927:                              ;   in Loop: Header=BB529_788 Depth=1
	v_lshrrev_b32_e32 v6, 24, v4
	v_cmp_ne_u32_e32 vcc, s5, v6
	v_bfrev_b32_e32 v19, 1
	s_and_saveexec_b64 s[16:17], vcc
	s_cbranch_execz .LBB529_931
; %bb.928:                              ;   in Loop: Header=BB529_788 Depth=1
	v_bfe_u32 v4, v4, 24, 7
	v_cmp_ne_u32_e32 vcc, s21, v4
	v_mov_b32_e32 v19, 0x7f800001
	s_and_saveexec_b64 s[18:19], vcc
	s_cbranch_execz .LBB529_930
; %bb.929:                              ;   in Loop: Header=BB529_788 Depth=1
	v_and_b32_e32 v19, 7, v6
	v_ffbh_u32_e32 v20, v19
	v_min_u32_e32 v23, 32, v20
	v_subrev_u32_e32 v20, 28, v23
	v_lshlrev_b64 v[20:21], v20, v[6:7]
	v_lshrrev_b32_e32 v22, 3, v4
	v_sub_u32_e32 v21, 29, v23
	v_and_b32_e32 v20, 7, v20
	v_cmp_gt_u32_e32 vcc, 8, v4
	v_cndmask_b32_e32 v4, v22, v21, vcc
	v_cndmask_b32_e32 v19, v19, v20, vcc
	v_lshlrev_b32_e32 v6, 24, v6
	v_lshlrev_b32_e32 v19, 20, v19
	v_and_b32_e32 v6, 0x80000000, v6
	v_lshl_add_u32 v4, v4, 23, v10
	v_or3_b32 v19, v6, v4, v19
.LBB529_930:                            ;   in Loop: Header=BB529_788 Depth=1
	s_or_b64 exec, exec, s[18:19]
.LBB529_931:                            ;   in Loop: Header=BB529_788 Depth=1
	s_or_b64 exec, exec, s[16:17]
.LBB529_932:                            ;   in Loop: Header=BB529_788 Depth=1
	s_or_b64 exec, exec, s[14:15]
	buffer_load_dword v6, v11, s[0:3], 0 offen offset:24
	buffer_load_dword v4, v11, s[0:3], 0 offen offset:28
	v_cvt_pkrtz_f16_f32 v20, v13, v15
	v_cvt_pkrtz_f16_f32 v21, v14, v17
	;; [unrolled: 1-line block ×4, first 2 shown]
	v_mfma_f32_4x4x4f16 a[0:3], v[2:3], v[20:21], a[0:3] cbsz:4 abid:4
	s_waitcnt vmcnt(1)
	v_cmp_ne_u16_sdwa s[16:17], v6, v9 src0_sel:BYTE_0 src1_sel:DWORD
	v_mfma_f32_4x4x4f16 a[0:3], v[2:3], v[14:15], a[0:3] cbsz:4 abid:5
	s_and_saveexec_b64 s[14:15], s[16:17]
	s_cbranch_execz .LBB529_938
; %bb.933:                              ;   in Loop: Header=BB529_788 Depth=1
	v_cmp_ne_u16_sdwa s[18:19], v6, s5 src0_sel:BYTE_0 src1_sel:DWORD
	v_bfrev_b32_e32 v12, 1
	s_and_saveexec_b64 s[16:17], s[18:19]
	s_cbranch_execz .LBB529_937
; %bb.934:                              ;   in Loop: Header=BB529_788 Depth=1
	v_and_b32_e32 v8, 0x7f, v6
	v_cmp_ne_u32_e32 vcc, s21, v8
	v_mov_b32_e32 v12, 0x7f800001
	s_and_saveexec_b64 s[18:19], vcc
	s_cbranch_execz .LBB529_936
; %bb.935:                              ;   in Loop: Header=BB529_788 Depth=1
	v_and_b32_e32 v14, 7, v6
	v_ffbh_u32_e32 v12, v14
	v_min_u32_e32 v16, 32, v12
	v_subrev_u32_e32 v12, 28, v16
	v_lshlrev_b64 v[12:13], v12, v[6:7]
	v_lshrrev_b32_e32 v15, 3, v8
	v_sub_u32_e32 v13, 29, v16
	v_and_b32_e32 v12, 7, v12
	v_cmp_gt_u32_e32 vcc, 8, v8
	v_cndmask_b32_e32 v8, v15, v13, vcc
	v_cndmask_b32_e32 v12, v14, v12, vcc
	v_lshlrev_b32_e32 v13, 24, v6
	v_lshlrev_b32_e32 v12, 20, v12
	v_and_b32_e32 v13, 0x80000000, v13
	v_lshl_add_u32 v8, v8, 23, v10
	v_or3_b32 v12, v13, v8, v12
.LBB529_936:                            ;   in Loop: Header=BB529_788 Depth=1
	s_or_b64 exec, exec, s[18:19]
.LBB529_937:                            ;   in Loop: Header=BB529_788 Depth=1
	s_or_b64 exec, exec, s[16:17]
.LBB529_938:                            ;   in Loop: Header=BB529_788 Depth=1
	s_or_b64 exec, exec, s[14:15]
	v_lshrrev_b16_e32 v8, 8, v6
	v_cmp_ne_u16_e32 vcc, 0, v8
	v_mov_b32_e32 v14, 0
	v_mov_b32_e32 v15, 0
	s_and_saveexec_b64 s[14:15], vcc
	s_cbranch_execz .LBB529_944
; %bb.939:                              ;   in Loop: Header=BB529_788 Depth=1
	v_cmp_ne_u16_e32 vcc, s5, v8
	v_bfrev_b32_e32 v15, 1
	s_and_saveexec_b64 s[16:17], vcc
	s_cbranch_execz .LBB529_943
; %bb.940:                              ;   in Loop: Header=BB529_788 Depth=1
	v_and_b32_e32 v13, 0x7f, v8
	v_cmp_ne_u32_e32 vcc, s21, v13
	v_mov_b32_e32 v15, 0x7f800001
	s_and_saveexec_b64 s[18:19], vcc
	s_cbranch_execz .LBB529_942
; %bb.941:                              ;   in Loop: Header=BB529_788 Depth=1
	v_and_b32_e32 v15, 7, v8
	v_ffbh_u32_e32 v16, v15
	v_min_u32_e32 v19, 32, v16
	v_subrev_u32_e32 v16, 28, v19
	v_lshlrev_b64 v[16:17], v16, v[8:9]
	v_lshrrev_b32_e32 v18, 3, v13
	v_sub_u32_e32 v8, 29, v19
	v_and_b32_e32 v16, 7, v16
	v_cmp_gt_u32_e32 vcc, 8, v13
	v_cndmask_b32_e32 v8, v18, v8, vcc
	v_cndmask_b32_e32 v13, v15, v16, vcc
	v_lshlrev_b32_e32 v15, 16, v6
	v_lshlrev_b32_e32 v13, 20, v13
	v_and_b32_e32 v15, 0x80000000, v15
	v_lshl_add_u32 v8, v8, 23, v10
	v_or3_b32 v15, v15, v8, v13
.LBB529_942:                            ;   in Loop: Header=BB529_788 Depth=1
	s_or_b64 exec, exec, s[18:19]
.LBB529_943:                            ;   in Loop: Header=BB529_788 Depth=1
	s_or_b64 exec, exec, s[16:17]
.LBB529_944:                            ;   in Loop: Header=BB529_788 Depth=1
	s_or_b64 exec, exec, s[14:15]
	v_lshrrev_b32_e32 v8, 16, v6
	v_cmp_ne_u16_sdwa s[16:17], v8, v9 src0_sel:BYTE_0 src1_sel:DWORD
	s_and_saveexec_b64 s[14:15], s[16:17]
	s_cbranch_execz .LBB529_950
; %bb.945:                              ;   in Loop: Header=BB529_788 Depth=1
	v_cmp_ne_u16_sdwa s[18:19], v8, s5 src0_sel:BYTE_0 src1_sel:DWORD
	v_bfrev_b32_e32 v14, 1
	s_and_saveexec_b64 s[16:17], s[18:19]
	s_cbranch_execz .LBB529_949
; %bb.946:                              ;   in Loop: Header=BB529_788 Depth=1
	v_bfe_u32 v13, v6, 16, 7
	v_cmp_ne_u32_e32 vcc, s21, v13
	v_mov_b32_e32 v14, 0x7f800001
	s_and_saveexec_b64 s[18:19], vcc
	s_cbranch_execz .LBB529_948
; %bb.947:                              ;   in Loop: Header=BB529_788 Depth=1
	v_and_b32_e32 v14, 7, v8
	v_ffbh_u32_e32 v16, v14
	v_min_u32_e32 v19, 32, v16
	v_subrev_u32_e32 v16, 28, v19
	v_lshlrev_b64 v[16:17], v16, v[8:9]
	v_lshrrev_b32_e32 v18, 3, v13
	v_sub_u32_e32 v17, 29, v19
	v_and_b32_e32 v16, 7, v16
	v_cmp_gt_u32_e32 vcc, 8, v13
	v_cndmask_b32_e32 v13, v18, v17, vcc
	v_cndmask_b32_e32 v14, v14, v16, vcc
	v_lshlrev_b32_e32 v8, 24, v8
	v_lshlrev_b32_e32 v14, 20, v14
	v_and_b32_e32 v8, 0x80000000, v8
	v_lshl_add_u32 v13, v13, 23, v10
	v_or3_b32 v14, v8, v13, v14
.LBB529_948:                            ;   in Loop: Header=BB529_788 Depth=1
	s_or_b64 exec, exec, s[18:19]
.LBB529_949:                            ;   in Loop: Header=BB529_788 Depth=1
	s_or_b64 exec, exec, s[16:17]
.LBB529_950:                            ;   in Loop: Header=BB529_788 Depth=1
	s_or_b64 exec, exec, s[14:15]
	v_cmp_lt_u32_e32 vcc, s22, v6
	v_mov_b32_e32 v16, 0
	v_mov_b32_e32 v17, 0
	s_and_saveexec_b64 s[14:15], vcc
	s_cbranch_execz .LBB529_956
; %bb.951:                              ;   in Loop: Header=BB529_788 Depth=1
	v_lshrrev_b32_e32 v8, 24, v6
	v_cmp_ne_u32_e32 vcc, s5, v8
	v_bfrev_b32_e32 v17, 1
	s_and_saveexec_b64 s[16:17], vcc
	s_cbranch_execz .LBB529_955
; %bb.952:                              ;   in Loop: Header=BB529_788 Depth=1
	v_bfe_u32 v6, v6, 24, 7
	v_cmp_ne_u32_e32 vcc, s21, v6
	v_mov_b32_e32 v17, 0x7f800001
	s_and_saveexec_b64 s[18:19], vcc
	s_cbranch_execz .LBB529_954
; %bb.953:                              ;   in Loop: Header=BB529_788 Depth=1
	v_and_b32_e32 v13, 7, v8
	v_ffbh_u32_e32 v18, v13
	v_min_u32_e32 v20, 32, v18
	v_subrev_u32_e32 v18, 28, v20
	v_lshlrev_b64 v[18:19], v18, v[8:9]
	v_lshrrev_b32_e32 v17, 3, v6
	v_sub_u32_e32 v19, 29, v20
	v_and_b32_e32 v18, 7, v18
	v_cmp_gt_u32_e32 vcc, 8, v6
	v_cndmask_b32_e32 v6, v17, v19, vcc
	v_cndmask_b32_e32 v13, v13, v18, vcc
	v_lshlrev_b32_e32 v8, 24, v8
	v_lshlrev_b32_e32 v13, 20, v13
	v_and_b32_e32 v8, 0x80000000, v8
	v_lshl_add_u32 v6, v6, 23, v10
	v_or3_b32 v17, v8, v6, v13
.LBB529_954:                            ;   in Loop: Header=BB529_788 Depth=1
	s_or_b64 exec, exec, s[18:19]
.LBB529_955:                            ;   in Loop: Header=BB529_788 Depth=1
	s_or_b64 exec, exec, s[16:17]
.LBB529_956:                            ;   in Loop: Header=BB529_788 Depth=1
	s_or_b64 exec, exec, s[14:15]
	s_waitcnt vmcnt(0)
	v_cmp_ne_u16_sdwa s[16:17], v4, v9 src0_sel:BYTE_0 src1_sel:DWORD
	s_and_saveexec_b64 s[14:15], s[16:17]
	s_cbranch_execz .LBB529_962
; %bb.957:                              ;   in Loop: Header=BB529_788 Depth=1
	v_cmp_ne_u16_sdwa s[18:19], v4, s5 src0_sel:BYTE_0 src1_sel:DWORD
	v_bfrev_b32_e32 v16, 1
	s_and_saveexec_b64 s[16:17], s[18:19]
	s_cbranch_execz .LBB529_961
; %bb.958:                              ;   in Loop: Header=BB529_788 Depth=1
	v_and_b32_e32 v6, 0x7f, v4
	v_cmp_ne_u32_e32 vcc, s21, v6
	v_mov_b32_e32 v16, 0x7f800001
	s_and_saveexec_b64 s[18:19], vcc
	s_cbranch_execz .LBB529_960
; %bb.959:                              ;   in Loop: Header=BB529_788 Depth=1
	v_and_b32_e32 v8, 7, v4
	v_ffbh_u32_e32 v16, v8
	v_min_u32_e32 v16, 32, v16
	v_subrev_u32_e32 v18, 28, v16
	v_lshlrev_b64 v[18:19], v18, v[4:5]
	v_lshrrev_b32_e32 v13, 3, v6
	v_sub_u32_e32 v16, 29, v16
	v_and_b32_e32 v18, 7, v18
	v_cmp_gt_u32_e32 vcc, 8, v6
	v_cndmask_b32_e32 v6, v13, v16, vcc
	v_cndmask_b32_e32 v8, v8, v18, vcc
	v_lshlrev_b32_e32 v13, 24, v4
	v_lshlrev_b32_e32 v8, 20, v8
	v_and_b32_e32 v13, 0x80000000, v13
	v_lshl_add_u32 v6, v6, 23, v10
	v_or3_b32 v16, v13, v6, v8
.LBB529_960:                            ;   in Loop: Header=BB529_788 Depth=1
	s_or_b64 exec, exec, s[18:19]
.LBB529_961:                            ;   in Loop: Header=BB529_788 Depth=1
	s_or_b64 exec, exec, s[16:17]
.LBB529_962:                            ;   in Loop: Header=BB529_788 Depth=1
	s_or_b64 exec, exec, s[14:15]
	v_lshrrev_b16_e32 v6, 8, v4
	v_cmp_ne_u16_e32 vcc, 0, v6
	v_mov_b32_e32 v8, 0
	v_mov_b32_e32 v18, 0
	s_and_saveexec_b64 s[14:15], vcc
	s_cbranch_execz .LBB529_968
; %bb.963:                              ;   in Loop: Header=BB529_788 Depth=1
	v_cmp_ne_u16_e32 vcc, s5, v6
	v_bfrev_b32_e32 v18, 1
	s_and_saveexec_b64 s[16:17], vcc
	s_cbranch_execz .LBB529_967
; %bb.964:                              ;   in Loop: Header=BB529_788 Depth=1
	v_and_b32_e32 v13, 0x7f, v6
	v_cmp_ne_u32_e32 vcc, s21, v13
	v_mov_b32_e32 v18, 0x7f800001
	s_and_saveexec_b64 s[18:19], vcc
	s_cbranch_execz .LBB529_966
; %bb.965:                              ;   in Loop: Header=BB529_788 Depth=1
	v_and_b32_e32 v20, 7, v6
	v_ffbh_u32_e32 v18, v20
	v_min_u32_e32 v22, 32, v18
	v_subrev_u32_e32 v18, 28, v22
	v_lshlrev_b64 v[18:19], v18, v[6:7]
	v_lshrrev_b32_e32 v21, 3, v13
	v_sub_u32_e32 v6, 29, v22
	v_and_b32_e32 v18, 7, v18
	v_cmp_gt_u32_e32 vcc, 8, v13
	v_cndmask_b32_e32 v6, v21, v6, vcc
	v_cndmask_b32_e32 v13, v20, v18, vcc
	v_lshlrev_b32_e32 v18, 16, v4
	v_lshlrev_b32_e32 v13, 20, v13
	v_and_b32_e32 v18, 0x80000000, v18
	v_lshl_add_u32 v6, v6, 23, v10
	v_or3_b32 v18, v18, v6, v13
.LBB529_966:                            ;   in Loop: Header=BB529_788 Depth=1
	s_or_b64 exec, exec, s[18:19]
.LBB529_967:                            ;   in Loop: Header=BB529_788 Depth=1
	s_or_b64 exec, exec, s[16:17]
.LBB529_968:                            ;   in Loop: Header=BB529_788 Depth=1
	s_or_b64 exec, exec, s[14:15]
	v_lshrrev_b32_e32 v6, 16, v4
	v_cmp_ne_u16_sdwa s[16:17], v6, v9 src0_sel:BYTE_0 src1_sel:DWORD
	s_and_saveexec_b64 s[14:15], s[16:17]
	s_cbranch_execz .LBB529_974
; %bb.969:                              ;   in Loop: Header=BB529_788 Depth=1
	v_cmp_ne_u16_sdwa s[18:19], v6, s5 src0_sel:BYTE_0 src1_sel:DWORD
	v_bfrev_b32_e32 v8, 1
	s_and_saveexec_b64 s[16:17], s[18:19]
	s_cbranch_execz .LBB529_973
; %bb.970:                              ;   in Loop: Header=BB529_788 Depth=1
	v_bfe_u32 v13, v4, 16, 7
	v_cmp_ne_u32_e32 vcc, s21, v13
	v_mov_b32_e32 v8, 0x7f800001
	s_and_saveexec_b64 s[18:19], vcc
	s_cbranch_execz .LBB529_972
; %bb.971:                              ;   in Loop: Header=BB529_788 Depth=1
	v_and_b32_e32 v8, 7, v6
	v_ffbh_u32_e32 v20, v8
	v_min_u32_e32 v22, 32, v20
	v_subrev_u32_e32 v20, 28, v22
	v_lshlrev_b64 v[20:21], v20, v[6:7]
	v_lshrrev_b32_e32 v19, 3, v13
	v_sub_u32_e32 v21, 29, v22
	v_and_b32_e32 v20, 7, v20
	v_cmp_gt_u32_e32 vcc, 8, v13
	v_cndmask_b32_e32 v13, v19, v21, vcc
	v_cndmask_b32_e32 v8, v8, v20, vcc
	v_lshlrev_b32_e32 v6, 24, v6
	v_lshlrev_b32_e32 v8, 20, v8
	v_and_b32_e32 v6, 0x80000000, v6
	v_lshl_add_u32 v13, v13, 23, v10
	v_or3_b32 v8, v6, v13, v8
.LBB529_972:                            ;   in Loop: Header=BB529_788 Depth=1
	s_or_b64 exec, exec, s[18:19]
.LBB529_973:                            ;   in Loop: Header=BB529_788 Depth=1
	s_or_b64 exec, exec, s[16:17]
.LBB529_974:                            ;   in Loop: Header=BB529_788 Depth=1
	s_or_b64 exec, exec, s[14:15]
	v_cmp_lt_u32_e32 vcc, s22, v4
	v_mov_b32_e32 v13, 0
	v_mov_b32_e32 v19, 0
	s_and_saveexec_b64 s[14:15], vcc
	s_cbranch_execz .LBB529_980
; %bb.975:                              ;   in Loop: Header=BB529_788 Depth=1
	v_lshrrev_b32_e32 v6, 24, v4
	v_cmp_ne_u32_e32 vcc, s5, v6
	v_bfrev_b32_e32 v19, 1
	s_and_saveexec_b64 s[16:17], vcc
	s_cbranch_execz .LBB529_979
; %bb.976:                              ;   in Loop: Header=BB529_788 Depth=1
	v_bfe_u32 v4, v4, 24, 7
	v_cmp_ne_u32_e32 vcc, s21, v4
	v_mov_b32_e32 v19, 0x7f800001
	s_and_saveexec_b64 s[18:19], vcc
	s_cbranch_execz .LBB529_978
; %bb.977:                              ;   in Loop: Header=BB529_788 Depth=1
	v_and_b32_e32 v19, 7, v6
	v_ffbh_u32_e32 v20, v19
	v_min_u32_e32 v23, 32, v20
	v_subrev_u32_e32 v20, 28, v23
	v_lshlrev_b64 v[20:21], v20, v[6:7]
	v_lshrrev_b32_e32 v22, 3, v4
	v_sub_u32_e32 v21, 29, v23
	v_and_b32_e32 v20, 7, v20
	v_cmp_gt_u32_e32 vcc, 8, v4
	v_cndmask_b32_e32 v4, v22, v21, vcc
	v_cndmask_b32_e32 v19, v19, v20, vcc
	v_lshlrev_b32_e32 v6, 24, v6
	v_lshlrev_b32_e32 v19, 20, v19
	v_and_b32_e32 v6, 0x80000000, v6
	v_lshl_add_u32 v4, v4, 23, v10
	v_or3_b32 v19, v6, v4, v19
.LBB529_978:                            ;   in Loop: Header=BB529_788 Depth=1
	s_or_b64 exec, exec, s[18:19]
.LBB529_979:                            ;   in Loop: Header=BB529_788 Depth=1
	s_or_b64 exec, exec, s[16:17]
.LBB529_980:                            ;   in Loop: Header=BB529_788 Depth=1
	s_or_b64 exec, exec, s[14:15]
	buffer_load_dword v6, v11, s[0:3], 0 offen offset:32
	buffer_load_dword v4, v11, s[0:3], 0 offen offset:36
	v_cvt_pkrtz_f16_f32 v20, v12, v15
	v_cvt_pkrtz_f16_f32 v21, v14, v17
	;; [unrolled: 1-line block ×4, first 2 shown]
	v_mfma_f32_4x4x4f16 a[0:3], v[2:3], v[20:21], a[0:3] cbsz:4 abid:6
	s_waitcnt vmcnt(1)
	v_cmp_ne_u16_sdwa s[16:17], v6, v9 src0_sel:BYTE_0 src1_sel:DWORD
	v_mfma_f32_4x4x4f16 a[0:3], v[2:3], v[14:15], a[0:3] cbsz:4 abid:7
	s_and_saveexec_b64 s[14:15], s[16:17]
	s_cbranch_execz .LBB529_986
; %bb.981:                              ;   in Loop: Header=BB529_788 Depth=1
	v_cmp_ne_u16_sdwa s[18:19], v6, s5 src0_sel:BYTE_0 src1_sel:DWORD
	v_bfrev_b32_e32 v13, 1
	s_and_saveexec_b64 s[16:17], s[18:19]
	s_cbranch_execz .LBB529_985
; %bb.982:                              ;   in Loop: Header=BB529_788 Depth=1
	v_and_b32_e32 v8, 0x7f, v6
	v_cmp_ne_u32_e32 vcc, s21, v8
	v_mov_b32_e32 v13, 0x7f800001
	s_and_saveexec_b64 s[18:19], vcc
	s_cbranch_execz .LBB529_984
; %bb.983:                              ;   in Loop: Header=BB529_788 Depth=1
	v_and_b32_e32 v14, 7, v6
	v_ffbh_u32_e32 v12, v14
	v_min_u32_e32 v16, 32, v12
	v_subrev_u32_e32 v12, 28, v16
	v_lshlrev_b64 v[12:13], v12, v[6:7]
	v_lshrrev_b32_e32 v15, 3, v8
	v_sub_u32_e32 v13, 29, v16
	v_and_b32_e32 v12, 7, v12
	v_cmp_gt_u32_e32 vcc, 8, v8
	v_cndmask_b32_e32 v8, v15, v13, vcc
	v_cndmask_b32_e32 v12, v14, v12, vcc
	v_lshlrev_b32_e32 v13, 24, v6
	v_lshlrev_b32_e32 v12, 20, v12
	v_and_b32_e32 v13, 0x80000000, v13
	v_lshl_add_u32 v8, v8, 23, v10
	v_or3_b32 v13, v13, v8, v12
.LBB529_984:                            ;   in Loop: Header=BB529_788 Depth=1
	s_or_b64 exec, exec, s[18:19]
.LBB529_985:                            ;   in Loop: Header=BB529_788 Depth=1
	s_or_b64 exec, exec, s[16:17]
.LBB529_986:                            ;   in Loop: Header=BB529_788 Depth=1
	s_or_b64 exec, exec, s[14:15]
	v_lshrrev_b16_e32 v8, 8, v6
	v_cmp_ne_u16_e32 vcc, 0, v8
	v_mov_b32_e32 v12, 0
	v_mov_b32_e32 v15, 0
	s_and_saveexec_b64 s[14:15], vcc
	s_cbranch_execz .LBB529_992
; %bb.987:                              ;   in Loop: Header=BB529_788 Depth=1
	v_cmp_ne_u16_e32 vcc, s5, v8
	v_bfrev_b32_e32 v15, 1
	s_and_saveexec_b64 s[16:17], vcc
	s_cbranch_execz .LBB529_991
; %bb.988:                              ;   in Loop: Header=BB529_788 Depth=1
	v_and_b32_e32 v14, 0x7f, v8
	v_cmp_ne_u32_e32 vcc, s21, v14
	v_mov_b32_e32 v15, 0x7f800001
	s_and_saveexec_b64 s[18:19], vcc
	s_cbranch_execz .LBB529_990
; %bb.989:                              ;   in Loop: Header=BB529_788 Depth=1
	v_and_b32_e32 v15, 7, v8
	v_ffbh_u32_e32 v16, v15
	v_min_u32_e32 v19, 32, v16
	v_subrev_u32_e32 v16, 28, v19
	v_lshlrev_b64 v[16:17], v16, v[8:9]
	v_lshrrev_b32_e32 v18, 3, v14
	v_sub_u32_e32 v8, 29, v19
	v_and_b32_e32 v16, 7, v16
	v_cmp_gt_u32_e32 vcc, 8, v14
	v_cndmask_b32_e32 v8, v18, v8, vcc
	v_cndmask_b32_e32 v14, v15, v16, vcc
	v_lshlrev_b32_e32 v15, 16, v6
	v_lshlrev_b32_e32 v14, 20, v14
	v_and_b32_e32 v15, 0x80000000, v15
	v_lshl_add_u32 v8, v8, 23, v10
	v_or3_b32 v15, v15, v8, v14
.LBB529_990:                            ;   in Loop: Header=BB529_788 Depth=1
	s_or_b64 exec, exec, s[18:19]
.LBB529_991:                            ;   in Loop: Header=BB529_788 Depth=1
	s_or_b64 exec, exec, s[16:17]
.LBB529_992:                            ;   in Loop: Header=BB529_788 Depth=1
	s_or_b64 exec, exec, s[14:15]
	v_lshrrev_b32_e32 v8, 16, v6
	v_cmp_ne_u16_sdwa s[16:17], v8, v9 src0_sel:BYTE_0 src1_sel:DWORD
	s_and_saveexec_b64 s[14:15], s[16:17]
	s_cbranch_execz .LBB529_998
; %bb.993:                              ;   in Loop: Header=BB529_788 Depth=1
	v_cmp_ne_u16_sdwa s[18:19], v8, s5 src0_sel:BYTE_0 src1_sel:DWORD
	v_bfrev_b32_e32 v12, 1
	s_and_saveexec_b64 s[16:17], s[18:19]
	s_cbranch_execz .LBB529_997
; %bb.994:                              ;   in Loop: Header=BB529_788 Depth=1
	v_bfe_u32 v14, v6, 16, 7
	v_cmp_ne_u32_e32 vcc, s21, v14
	v_mov_b32_e32 v12, 0x7f800001
	s_and_saveexec_b64 s[18:19], vcc
	s_cbranch_execz .LBB529_996
; %bb.995:                              ;   in Loop: Header=BB529_788 Depth=1
	v_and_b32_e32 v12, 7, v8
	v_ffbh_u32_e32 v16, v12
	v_min_u32_e32 v19, 32, v16
	v_subrev_u32_e32 v16, 28, v19
	v_lshlrev_b64 v[16:17], v16, v[8:9]
	v_lshrrev_b32_e32 v18, 3, v14
	v_sub_u32_e32 v17, 29, v19
	v_and_b32_e32 v16, 7, v16
	v_cmp_gt_u32_e32 vcc, 8, v14
	v_cndmask_b32_e32 v14, v18, v17, vcc
	v_cndmask_b32_e32 v12, v12, v16, vcc
	v_lshlrev_b32_e32 v8, 24, v8
	v_lshlrev_b32_e32 v12, 20, v12
	v_and_b32_e32 v8, 0x80000000, v8
	v_lshl_add_u32 v14, v14, 23, v10
	v_or3_b32 v12, v8, v14, v12
.LBB529_996:                            ;   in Loop: Header=BB529_788 Depth=1
	s_or_b64 exec, exec, s[18:19]
.LBB529_997:                            ;   in Loop: Header=BB529_788 Depth=1
	s_or_b64 exec, exec, s[16:17]
.LBB529_998:                            ;   in Loop: Header=BB529_788 Depth=1
	s_or_b64 exec, exec, s[14:15]
	v_cmp_lt_u32_e32 vcc, s22, v6
	v_mov_b32_e32 v16, 0
	v_mov_b32_e32 v17, 0
	s_and_saveexec_b64 s[14:15], vcc
	s_cbranch_execz .LBB529_1004
; %bb.999:                              ;   in Loop: Header=BB529_788 Depth=1
	v_lshrrev_b32_e32 v8, 24, v6
	v_cmp_ne_u32_e32 vcc, s5, v8
	v_bfrev_b32_e32 v17, 1
	s_and_saveexec_b64 s[16:17], vcc
	s_cbranch_execz .LBB529_1003
; %bb.1000:                             ;   in Loop: Header=BB529_788 Depth=1
	v_bfe_u32 v6, v6, 24, 7
	v_cmp_ne_u32_e32 vcc, s21, v6
	v_mov_b32_e32 v17, 0x7f800001
	s_and_saveexec_b64 s[18:19], vcc
	s_cbranch_execz .LBB529_1002
; %bb.1001:                             ;   in Loop: Header=BB529_788 Depth=1
	v_and_b32_e32 v14, 7, v8
	v_ffbh_u32_e32 v18, v14
	v_min_u32_e32 v20, 32, v18
	v_subrev_u32_e32 v18, 28, v20
	v_lshlrev_b64 v[18:19], v18, v[8:9]
	v_lshrrev_b32_e32 v17, 3, v6
	v_sub_u32_e32 v19, 29, v20
	v_and_b32_e32 v18, 7, v18
	v_cmp_gt_u32_e32 vcc, 8, v6
	v_cndmask_b32_e32 v6, v17, v19, vcc
	v_cndmask_b32_e32 v14, v14, v18, vcc
	v_lshlrev_b32_e32 v8, 24, v8
	v_lshlrev_b32_e32 v14, 20, v14
	v_and_b32_e32 v8, 0x80000000, v8
	v_lshl_add_u32 v6, v6, 23, v10
	v_or3_b32 v17, v8, v6, v14
.LBB529_1002:                           ;   in Loop: Header=BB529_788 Depth=1
	s_or_b64 exec, exec, s[18:19]
.LBB529_1003:                           ;   in Loop: Header=BB529_788 Depth=1
	s_or_b64 exec, exec, s[16:17]
.LBB529_1004:                           ;   in Loop: Header=BB529_788 Depth=1
	s_or_b64 exec, exec, s[14:15]
	s_waitcnt vmcnt(0)
	v_cmp_ne_u16_sdwa s[16:17], v4, v9 src0_sel:BYTE_0 src1_sel:DWORD
	s_and_saveexec_b64 s[14:15], s[16:17]
	s_cbranch_execz .LBB529_1010
; %bb.1005:                             ;   in Loop: Header=BB529_788 Depth=1
	v_cmp_ne_u16_sdwa s[18:19], v4, s5 src0_sel:BYTE_0 src1_sel:DWORD
	v_bfrev_b32_e32 v16, 1
	s_and_saveexec_b64 s[16:17], s[18:19]
	s_cbranch_execz .LBB529_1009
; %bb.1006:                             ;   in Loop: Header=BB529_788 Depth=1
	v_and_b32_e32 v6, 0x7f, v4
	v_cmp_ne_u32_e32 vcc, s21, v6
	v_mov_b32_e32 v16, 0x7f800001
	s_and_saveexec_b64 s[18:19], vcc
	s_cbranch_execz .LBB529_1008
; %bb.1007:                             ;   in Loop: Header=BB529_788 Depth=1
	v_and_b32_e32 v8, 7, v4
	v_ffbh_u32_e32 v16, v8
	v_min_u32_e32 v16, 32, v16
	v_subrev_u32_e32 v18, 28, v16
	v_lshlrev_b64 v[18:19], v18, v[4:5]
	v_lshrrev_b32_e32 v14, 3, v6
	v_sub_u32_e32 v16, 29, v16
	v_and_b32_e32 v18, 7, v18
	v_cmp_gt_u32_e32 vcc, 8, v6
	v_cndmask_b32_e32 v6, v14, v16, vcc
	v_cndmask_b32_e32 v8, v8, v18, vcc
	v_lshlrev_b32_e32 v14, 24, v4
	v_lshlrev_b32_e32 v8, 20, v8
	v_and_b32_e32 v14, 0x80000000, v14
	v_lshl_add_u32 v6, v6, 23, v10
	v_or3_b32 v16, v14, v6, v8
.LBB529_1008:                           ;   in Loop: Header=BB529_788 Depth=1
	s_or_b64 exec, exec, s[18:19]
.LBB529_1009:                           ;   in Loop: Header=BB529_788 Depth=1
	s_or_b64 exec, exec, s[16:17]
.LBB529_1010:                           ;   in Loop: Header=BB529_788 Depth=1
	s_or_b64 exec, exec, s[14:15]
	v_lshrrev_b16_e32 v6, 8, v4
	v_cmp_ne_u16_e32 vcc, 0, v6
	v_mov_b32_e32 v8, 0
	v_mov_b32_e32 v18, 0
	s_and_saveexec_b64 s[14:15], vcc
	s_cbranch_execz .LBB529_1016
; %bb.1011:                             ;   in Loop: Header=BB529_788 Depth=1
	v_cmp_ne_u16_e32 vcc, s5, v6
	v_bfrev_b32_e32 v18, 1
	s_and_saveexec_b64 s[16:17], vcc
	s_cbranch_execz .LBB529_1015
; %bb.1012:                             ;   in Loop: Header=BB529_788 Depth=1
	v_and_b32_e32 v14, 0x7f, v6
	v_cmp_ne_u32_e32 vcc, s21, v14
	v_mov_b32_e32 v18, 0x7f800001
	s_and_saveexec_b64 s[18:19], vcc
	s_cbranch_execz .LBB529_1014
; %bb.1013:                             ;   in Loop: Header=BB529_788 Depth=1
	v_and_b32_e32 v20, 7, v6
	v_ffbh_u32_e32 v18, v20
	v_min_u32_e32 v22, 32, v18
	v_subrev_u32_e32 v18, 28, v22
	v_lshlrev_b64 v[18:19], v18, v[6:7]
	v_lshrrev_b32_e32 v21, 3, v14
	v_sub_u32_e32 v6, 29, v22
	v_and_b32_e32 v18, 7, v18
	v_cmp_gt_u32_e32 vcc, 8, v14
	v_cndmask_b32_e32 v6, v21, v6, vcc
	v_cndmask_b32_e32 v14, v20, v18, vcc
	v_lshlrev_b32_e32 v18, 16, v4
	v_lshlrev_b32_e32 v14, 20, v14
	v_and_b32_e32 v18, 0x80000000, v18
	v_lshl_add_u32 v6, v6, 23, v10
	v_or3_b32 v18, v18, v6, v14
.LBB529_1014:                           ;   in Loop: Header=BB529_788 Depth=1
	s_or_b64 exec, exec, s[18:19]
.LBB529_1015:                           ;   in Loop: Header=BB529_788 Depth=1
	s_or_b64 exec, exec, s[16:17]
.LBB529_1016:                           ;   in Loop: Header=BB529_788 Depth=1
	s_or_b64 exec, exec, s[14:15]
	v_lshrrev_b32_e32 v6, 16, v4
	v_cmp_ne_u16_sdwa s[16:17], v6, v9 src0_sel:BYTE_0 src1_sel:DWORD
	s_and_saveexec_b64 s[14:15], s[16:17]
	s_cbranch_execz .LBB529_1022
; %bb.1017:                             ;   in Loop: Header=BB529_788 Depth=1
	v_cmp_ne_u16_sdwa s[18:19], v6, s5 src0_sel:BYTE_0 src1_sel:DWORD
	v_bfrev_b32_e32 v8, 1
	s_and_saveexec_b64 s[16:17], s[18:19]
	s_cbranch_execz .LBB529_1021
; %bb.1018:                             ;   in Loop: Header=BB529_788 Depth=1
	v_bfe_u32 v14, v4, 16, 7
	v_cmp_ne_u32_e32 vcc, s21, v14
	v_mov_b32_e32 v8, 0x7f800001
	s_and_saveexec_b64 s[18:19], vcc
	s_cbranch_execz .LBB529_1020
; %bb.1019:                             ;   in Loop: Header=BB529_788 Depth=1
	v_and_b32_e32 v8, 7, v6
	v_ffbh_u32_e32 v20, v8
	v_min_u32_e32 v22, 32, v20
	v_subrev_u32_e32 v20, 28, v22
	v_lshlrev_b64 v[20:21], v20, v[6:7]
	v_lshrrev_b32_e32 v19, 3, v14
	v_sub_u32_e32 v21, 29, v22
	v_and_b32_e32 v20, 7, v20
	v_cmp_gt_u32_e32 vcc, 8, v14
	v_cndmask_b32_e32 v14, v19, v21, vcc
	v_cndmask_b32_e32 v8, v8, v20, vcc
	v_lshlrev_b32_e32 v6, 24, v6
	v_lshlrev_b32_e32 v8, 20, v8
	v_and_b32_e32 v6, 0x80000000, v6
	v_lshl_add_u32 v14, v14, 23, v10
	v_or3_b32 v8, v6, v14, v8
.LBB529_1020:                           ;   in Loop: Header=BB529_788 Depth=1
	s_or_b64 exec, exec, s[18:19]
.LBB529_1021:                           ;   in Loop: Header=BB529_788 Depth=1
	s_or_b64 exec, exec, s[16:17]
.LBB529_1022:                           ;   in Loop: Header=BB529_788 Depth=1
	s_or_b64 exec, exec, s[14:15]
	v_cmp_lt_u32_e32 vcc, s22, v4
	v_mov_b32_e32 v14, 0
	v_mov_b32_e32 v19, 0
	s_and_saveexec_b64 s[14:15], vcc
	s_cbranch_execz .LBB529_1028
; %bb.1023:                             ;   in Loop: Header=BB529_788 Depth=1
	v_lshrrev_b32_e32 v6, 24, v4
	v_cmp_ne_u32_e32 vcc, s5, v6
	v_bfrev_b32_e32 v19, 1
	s_and_saveexec_b64 s[16:17], vcc
	s_cbranch_execz .LBB529_1027
; %bb.1024:                             ;   in Loop: Header=BB529_788 Depth=1
	v_bfe_u32 v4, v4, 24, 7
	v_cmp_ne_u32_e32 vcc, s21, v4
	v_mov_b32_e32 v19, 0x7f800001
	s_and_saveexec_b64 s[18:19], vcc
	s_cbranch_execz .LBB529_1026
; %bb.1025:                             ;   in Loop: Header=BB529_788 Depth=1
	v_and_b32_e32 v19, 7, v6
	v_ffbh_u32_e32 v20, v19
	v_min_u32_e32 v23, 32, v20
	v_subrev_u32_e32 v20, 28, v23
	v_lshlrev_b64 v[20:21], v20, v[6:7]
	v_lshrrev_b32_e32 v22, 3, v4
	v_sub_u32_e32 v21, 29, v23
	v_and_b32_e32 v20, 7, v20
	v_cmp_gt_u32_e32 vcc, 8, v4
	v_cndmask_b32_e32 v4, v22, v21, vcc
	v_cndmask_b32_e32 v19, v19, v20, vcc
	v_lshlrev_b32_e32 v6, 24, v6
	v_lshlrev_b32_e32 v19, 20, v19
	v_and_b32_e32 v6, 0x80000000, v6
	v_lshl_add_u32 v4, v4, 23, v10
	v_or3_b32 v19, v6, v4, v19
.LBB529_1026:                           ;   in Loop: Header=BB529_788 Depth=1
	s_or_b64 exec, exec, s[18:19]
.LBB529_1027:                           ;   in Loop: Header=BB529_788 Depth=1
	s_or_b64 exec, exec, s[16:17]
.LBB529_1028:                           ;   in Loop: Header=BB529_788 Depth=1
	s_or_b64 exec, exec, s[14:15]
	buffer_load_dword v6, v11, s[0:3], 0 offen offset:40
	buffer_load_dword v4, v11, s[0:3], 0 offen offset:44
	v_cvt_pkrtz_f16_f32 v20, v13, v15
	v_cvt_pkrtz_f16_f32 v21, v12, v17
	;; [unrolled: 1-line block ×4, first 2 shown]
	v_mfma_f32_4x4x4f16 a[0:3], v[2:3], v[20:21], a[0:3] cbsz:4 abid:8
	s_waitcnt vmcnt(1)
	v_cmp_ne_u16_sdwa s[16:17], v6, v9 src0_sel:BYTE_0 src1_sel:DWORD
	v_mfma_f32_4x4x4f16 a[0:3], v[2:3], v[12:13], a[0:3] cbsz:4 abid:9
	s_and_saveexec_b64 s[14:15], s[16:17]
	s_cbranch_execz .LBB529_1034
; %bb.1029:                             ;   in Loop: Header=BB529_788 Depth=1
	v_cmp_ne_u16_sdwa s[18:19], v6, s5 src0_sel:BYTE_0 src1_sel:DWORD
	v_bfrev_b32_e32 v14, 1
	s_and_saveexec_b64 s[16:17], s[18:19]
	s_cbranch_execz .LBB529_1033
; %bb.1030:                             ;   in Loop: Header=BB529_788 Depth=1
	v_and_b32_e32 v8, 0x7f, v6
	v_cmp_ne_u32_e32 vcc, s21, v8
	v_mov_b32_e32 v14, 0x7f800001
	s_and_saveexec_b64 s[18:19], vcc
	s_cbranch_execz .LBB529_1032
; %bb.1031:                             ;   in Loop: Header=BB529_788 Depth=1
	v_and_b32_e32 v14, 7, v6
	v_ffbh_u32_e32 v12, v14
	v_min_u32_e32 v16, 32, v12
	v_subrev_u32_e32 v12, 28, v16
	v_lshlrev_b64 v[12:13], v12, v[6:7]
	v_lshrrev_b32_e32 v15, 3, v8
	v_sub_u32_e32 v13, 29, v16
	v_and_b32_e32 v12, 7, v12
	v_cmp_gt_u32_e32 vcc, 8, v8
	v_cndmask_b32_e32 v8, v15, v13, vcc
	v_cndmask_b32_e32 v12, v14, v12, vcc
	v_lshlrev_b32_e32 v13, 24, v6
	v_lshlrev_b32_e32 v12, 20, v12
	v_and_b32_e32 v13, 0x80000000, v13
	v_lshl_add_u32 v8, v8, 23, v10
	v_or3_b32 v14, v13, v8, v12
.LBB529_1032:                           ;   in Loop: Header=BB529_788 Depth=1
	s_or_b64 exec, exec, s[18:19]
.LBB529_1033:                           ;   in Loop: Header=BB529_788 Depth=1
	s_or_b64 exec, exec, s[16:17]
.LBB529_1034:                           ;   in Loop: Header=BB529_788 Depth=1
	s_or_b64 exec, exec, s[14:15]
	v_lshrrev_b16_e32 v8, 8, v6
	v_cmp_ne_u16_e32 vcc, 0, v8
	v_mov_b32_e32 v13, 0
	v_mov_b32_e32 v15, 0
	s_and_saveexec_b64 s[14:15], vcc
	s_cbranch_execz .LBB529_1040
; %bb.1035:                             ;   in Loop: Header=BB529_788 Depth=1
	v_cmp_ne_u16_e32 vcc, s5, v8
	v_bfrev_b32_e32 v15, 1
	s_and_saveexec_b64 s[16:17], vcc
	s_cbranch_execz .LBB529_1039
; %bb.1036:                             ;   in Loop: Header=BB529_788 Depth=1
	v_and_b32_e32 v12, 0x7f, v8
	v_cmp_ne_u32_e32 vcc, s21, v12
	v_mov_b32_e32 v15, 0x7f800001
	s_and_saveexec_b64 s[18:19], vcc
	s_cbranch_execz .LBB529_1038
; %bb.1037:                             ;   in Loop: Header=BB529_788 Depth=1
	v_and_b32_e32 v15, 7, v8
	v_ffbh_u32_e32 v16, v15
	v_min_u32_e32 v19, 32, v16
	v_subrev_u32_e32 v16, 28, v19
	v_lshlrev_b64 v[16:17], v16, v[8:9]
	v_lshrrev_b32_e32 v18, 3, v12
	v_sub_u32_e32 v8, 29, v19
	v_and_b32_e32 v16, 7, v16
	v_cmp_gt_u32_e32 vcc, 8, v12
	v_cndmask_b32_e32 v8, v18, v8, vcc
	v_cndmask_b32_e32 v12, v15, v16, vcc
	v_lshlrev_b32_e32 v15, 16, v6
	v_lshlrev_b32_e32 v12, 20, v12
	v_and_b32_e32 v15, 0x80000000, v15
	v_lshl_add_u32 v8, v8, 23, v10
	v_or3_b32 v15, v15, v8, v12
.LBB529_1038:                           ;   in Loop: Header=BB529_788 Depth=1
	s_or_b64 exec, exec, s[18:19]
.LBB529_1039:                           ;   in Loop: Header=BB529_788 Depth=1
	s_or_b64 exec, exec, s[16:17]
.LBB529_1040:                           ;   in Loop: Header=BB529_788 Depth=1
	s_or_b64 exec, exec, s[14:15]
	v_lshrrev_b32_e32 v8, 16, v6
	v_cmp_ne_u16_sdwa s[16:17], v8, v9 src0_sel:BYTE_0 src1_sel:DWORD
	s_and_saveexec_b64 s[14:15], s[16:17]
	s_cbranch_execz .LBB529_1046
; %bb.1041:                             ;   in Loop: Header=BB529_788 Depth=1
	v_cmp_ne_u16_sdwa s[18:19], v8, s5 src0_sel:BYTE_0 src1_sel:DWORD
	v_bfrev_b32_e32 v13, 1
	s_and_saveexec_b64 s[16:17], s[18:19]
	s_cbranch_execz .LBB529_1045
; %bb.1042:                             ;   in Loop: Header=BB529_788 Depth=1
	v_bfe_u32 v12, v6, 16, 7
	v_cmp_ne_u32_e32 vcc, s21, v12
	v_mov_b32_e32 v13, 0x7f800001
	s_and_saveexec_b64 s[18:19], vcc
	s_cbranch_execz .LBB529_1044
; %bb.1043:                             ;   in Loop: Header=BB529_788 Depth=1
	v_and_b32_e32 v13, 7, v8
	v_ffbh_u32_e32 v16, v13
	v_min_u32_e32 v19, 32, v16
	v_subrev_u32_e32 v16, 28, v19
	v_lshlrev_b64 v[16:17], v16, v[8:9]
	v_lshrrev_b32_e32 v18, 3, v12
	v_sub_u32_e32 v17, 29, v19
	v_and_b32_e32 v16, 7, v16
	v_cmp_gt_u32_e32 vcc, 8, v12
	v_cndmask_b32_e32 v12, v18, v17, vcc
	v_cndmask_b32_e32 v13, v13, v16, vcc
	v_lshlrev_b32_e32 v8, 24, v8
	v_lshlrev_b32_e32 v13, 20, v13
	v_and_b32_e32 v8, 0x80000000, v8
	v_lshl_add_u32 v12, v12, 23, v10
	v_or3_b32 v13, v8, v12, v13
.LBB529_1044:                           ;   in Loop: Header=BB529_788 Depth=1
	s_or_b64 exec, exec, s[18:19]
.LBB529_1045:                           ;   in Loop: Header=BB529_788 Depth=1
	s_or_b64 exec, exec, s[16:17]
.LBB529_1046:                           ;   in Loop: Header=BB529_788 Depth=1
	s_or_b64 exec, exec, s[14:15]
	v_cmp_lt_u32_e32 vcc, s22, v6
	v_mov_b32_e32 v16, 0
	v_mov_b32_e32 v17, 0
	s_and_saveexec_b64 s[14:15], vcc
	s_cbranch_execz .LBB529_1052
; %bb.1047:                             ;   in Loop: Header=BB529_788 Depth=1
	v_lshrrev_b32_e32 v8, 24, v6
	v_cmp_ne_u32_e32 vcc, s5, v8
	v_bfrev_b32_e32 v17, 1
	s_and_saveexec_b64 s[16:17], vcc
	s_cbranch_execz .LBB529_1051
; %bb.1048:                             ;   in Loop: Header=BB529_788 Depth=1
	v_bfe_u32 v6, v6, 24, 7
	v_cmp_ne_u32_e32 vcc, s21, v6
	v_mov_b32_e32 v17, 0x7f800001
	s_and_saveexec_b64 s[18:19], vcc
	s_cbranch_execz .LBB529_1050
; %bb.1049:                             ;   in Loop: Header=BB529_788 Depth=1
	v_and_b32_e32 v12, 7, v8
	v_ffbh_u32_e32 v18, v12
	v_min_u32_e32 v20, 32, v18
	v_subrev_u32_e32 v18, 28, v20
	v_lshlrev_b64 v[18:19], v18, v[8:9]
	v_lshrrev_b32_e32 v17, 3, v6
	v_sub_u32_e32 v19, 29, v20
	v_and_b32_e32 v18, 7, v18
	v_cmp_gt_u32_e32 vcc, 8, v6
	v_cndmask_b32_e32 v6, v17, v19, vcc
	v_cndmask_b32_e32 v12, v12, v18, vcc
	v_lshlrev_b32_e32 v8, 24, v8
	v_lshlrev_b32_e32 v12, 20, v12
	v_and_b32_e32 v8, 0x80000000, v8
	v_lshl_add_u32 v6, v6, 23, v10
	v_or3_b32 v17, v8, v6, v12
.LBB529_1050:                           ;   in Loop: Header=BB529_788 Depth=1
	s_or_b64 exec, exec, s[18:19]
.LBB529_1051:                           ;   in Loop: Header=BB529_788 Depth=1
	s_or_b64 exec, exec, s[16:17]
.LBB529_1052:                           ;   in Loop: Header=BB529_788 Depth=1
	s_or_b64 exec, exec, s[14:15]
	s_waitcnt vmcnt(0)
	v_cmp_ne_u16_sdwa s[16:17], v4, v9 src0_sel:BYTE_0 src1_sel:DWORD
	s_and_saveexec_b64 s[14:15], s[16:17]
	s_cbranch_execz .LBB529_1058
; %bb.1053:                             ;   in Loop: Header=BB529_788 Depth=1
	v_cmp_ne_u16_sdwa s[18:19], v4, s5 src0_sel:BYTE_0 src1_sel:DWORD
	v_bfrev_b32_e32 v16, 1
	s_and_saveexec_b64 s[16:17], s[18:19]
	s_cbranch_execz .LBB529_1057
; %bb.1054:                             ;   in Loop: Header=BB529_788 Depth=1
	v_and_b32_e32 v6, 0x7f, v4
	v_cmp_ne_u32_e32 vcc, s21, v6
	v_mov_b32_e32 v16, 0x7f800001
	s_and_saveexec_b64 s[18:19], vcc
	s_cbranch_execz .LBB529_1056
; %bb.1055:                             ;   in Loop: Header=BB529_788 Depth=1
	v_and_b32_e32 v8, 7, v4
	v_ffbh_u32_e32 v16, v8
	v_min_u32_e32 v16, 32, v16
	v_subrev_u32_e32 v18, 28, v16
	v_lshlrev_b64 v[18:19], v18, v[4:5]
	v_lshrrev_b32_e32 v12, 3, v6
	v_sub_u32_e32 v16, 29, v16
	v_and_b32_e32 v18, 7, v18
	v_cmp_gt_u32_e32 vcc, 8, v6
	v_cndmask_b32_e32 v6, v12, v16, vcc
	v_cndmask_b32_e32 v8, v8, v18, vcc
	v_lshlrev_b32_e32 v12, 24, v4
	v_lshlrev_b32_e32 v8, 20, v8
	v_and_b32_e32 v12, 0x80000000, v12
	v_lshl_add_u32 v6, v6, 23, v10
	v_or3_b32 v16, v12, v6, v8
.LBB529_1056:                           ;   in Loop: Header=BB529_788 Depth=1
	s_or_b64 exec, exec, s[18:19]
.LBB529_1057:                           ;   in Loop: Header=BB529_788 Depth=1
	s_or_b64 exec, exec, s[16:17]
.LBB529_1058:                           ;   in Loop: Header=BB529_788 Depth=1
	s_or_b64 exec, exec, s[14:15]
	v_lshrrev_b16_e32 v6, 8, v4
	v_cmp_ne_u16_e32 vcc, 0, v6
	v_mov_b32_e32 v8, 0
	v_mov_b32_e32 v18, 0
	s_and_saveexec_b64 s[14:15], vcc
	s_cbranch_execz .LBB529_1064
; %bb.1059:                             ;   in Loop: Header=BB529_788 Depth=1
	v_cmp_ne_u16_e32 vcc, s5, v6
	v_bfrev_b32_e32 v18, 1
	s_and_saveexec_b64 s[16:17], vcc
	s_cbranch_execz .LBB529_1063
; %bb.1060:                             ;   in Loop: Header=BB529_788 Depth=1
	v_and_b32_e32 v12, 0x7f, v6
	v_cmp_ne_u32_e32 vcc, s21, v12
	v_mov_b32_e32 v18, 0x7f800001
	s_and_saveexec_b64 s[18:19], vcc
	s_cbranch_execz .LBB529_1062
; %bb.1061:                             ;   in Loop: Header=BB529_788 Depth=1
	v_and_b32_e32 v20, 7, v6
	v_ffbh_u32_e32 v18, v20
	v_min_u32_e32 v22, 32, v18
	v_subrev_u32_e32 v18, 28, v22
	v_lshlrev_b64 v[18:19], v18, v[6:7]
	v_lshrrev_b32_e32 v21, 3, v12
	v_sub_u32_e32 v6, 29, v22
	v_and_b32_e32 v18, 7, v18
	v_cmp_gt_u32_e32 vcc, 8, v12
	v_cndmask_b32_e32 v6, v21, v6, vcc
	v_cndmask_b32_e32 v12, v20, v18, vcc
	v_lshlrev_b32_e32 v18, 16, v4
	v_lshlrev_b32_e32 v12, 20, v12
	v_and_b32_e32 v18, 0x80000000, v18
	v_lshl_add_u32 v6, v6, 23, v10
	v_or3_b32 v18, v18, v6, v12
.LBB529_1062:                           ;   in Loop: Header=BB529_788 Depth=1
	s_or_b64 exec, exec, s[18:19]
.LBB529_1063:                           ;   in Loop: Header=BB529_788 Depth=1
	s_or_b64 exec, exec, s[16:17]
.LBB529_1064:                           ;   in Loop: Header=BB529_788 Depth=1
	s_or_b64 exec, exec, s[14:15]
	v_lshrrev_b32_e32 v6, 16, v4
	v_cmp_ne_u16_sdwa s[16:17], v6, v9 src0_sel:BYTE_0 src1_sel:DWORD
	s_and_saveexec_b64 s[14:15], s[16:17]
	s_cbranch_execz .LBB529_1070
; %bb.1065:                             ;   in Loop: Header=BB529_788 Depth=1
	v_cmp_ne_u16_sdwa s[18:19], v6, s5 src0_sel:BYTE_0 src1_sel:DWORD
	v_bfrev_b32_e32 v8, 1
	s_and_saveexec_b64 s[16:17], s[18:19]
	s_cbranch_execz .LBB529_1069
; %bb.1066:                             ;   in Loop: Header=BB529_788 Depth=1
	v_bfe_u32 v12, v4, 16, 7
	v_cmp_ne_u32_e32 vcc, s21, v12
	v_mov_b32_e32 v8, 0x7f800001
	s_and_saveexec_b64 s[18:19], vcc
	s_cbranch_execz .LBB529_1068
; %bb.1067:                             ;   in Loop: Header=BB529_788 Depth=1
	v_and_b32_e32 v8, 7, v6
	v_ffbh_u32_e32 v20, v8
	v_min_u32_e32 v22, 32, v20
	v_subrev_u32_e32 v20, 28, v22
	v_lshlrev_b64 v[20:21], v20, v[6:7]
	v_lshrrev_b32_e32 v19, 3, v12
	v_sub_u32_e32 v21, 29, v22
	v_and_b32_e32 v20, 7, v20
	v_cmp_gt_u32_e32 vcc, 8, v12
	v_cndmask_b32_e32 v12, v19, v21, vcc
	v_cndmask_b32_e32 v8, v8, v20, vcc
	v_lshlrev_b32_e32 v6, 24, v6
	v_lshlrev_b32_e32 v8, 20, v8
	v_and_b32_e32 v6, 0x80000000, v6
	v_lshl_add_u32 v12, v12, 23, v10
	v_or3_b32 v8, v6, v12, v8
.LBB529_1068:                           ;   in Loop: Header=BB529_788 Depth=1
	s_or_b64 exec, exec, s[18:19]
.LBB529_1069:                           ;   in Loop: Header=BB529_788 Depth=1
	s_or_b64 exec, exec, s[16:17]
.LBB529_1070:                           ;   in Loop: Header=BB529_788 Depth=1
	s_or_b64 exec, exec, s[14:15]
	v_cmp_lt_u32_e32 vcc, s22, v4
	v_mov_b32_e32 v12, 0
	v_mov_b32_e32 v19, 0
	s_and_saveexec_b64 s[14:15], vcc
	s_cbranch_execz .LBB529_1076
; %bb.1071:                             ;   in Loop: Header=BB529_788 Depth=1
	v_lshrrev_b32_e32 v6, 24, v4
	v_cmp_ne_u32_e32 vcc, s5, v6
	v_bfrev_b32_e32 v19, 1
	s_and_saveexec_b64 s[16:17], vcc
	s_cbranch_execz .LBB529_1075
; %bb.1072:                             ;   in Loop: Header=BB529_788 Depth=1
	v_bfe_u32 v4, v4, 24, 7
	v_cmp_ne_u32_e32 vcc, s21, v4
	v_mov_b32_e32 v19, 0x7f800001
	s_and_saveexec_b64 s[18:19], vcc
	s_cbranch_execz .LBB529_1074
; %bb.1073:                             ;   in Loop: Header=BB529_788 Depth=1
	v_and_b32_e32 v19, 7, v6
	v_ffbh_u32_e32 v20, v19
	v_min_u32_e32 v23, 32, v20
	v_subrev_u32_e32 v20, 28, v23
	v_lshlrev_b64 v[20:21], v20, v[6:7]
	v_lshrrev_b32_e32 v22, 3, v4
	v_sub_u32_e32 v21, 29, v23
	v_and_b32_e32 v20, 7, v20
	v_cmp_gt_u32_e32 vcc, 8, v4
	v_cndmask_b32_e32 v4, v22, v21, vcc
	v_cndmask_b32_e32 v19, v19, v20, vcc
	v_lshlrev_b32_e32 v6, 24, v6
	v_lshlrev_b32_e32 v19, 20, v19
	v_and_b32_e32 v6, 0x80000000, v6
	v_lshl_add_u32 v4, v4, 23, v10
	v_or3_b32 v19, v6, v4, v19
.LBB529_1074:                           ;   in Loop: Header=BB529_788 Depth=1
	s_or_b64 exec, exec, s[18:19]
.LBB529_1075:                           ;   in Loop: Header=BB529_788 Depth=1
	s_or_b64 exec, exec, s[16:17]
.LBB529_1076:                           ;   in Loop: Header=BB529_788 Depth=1
	s_or_b64 exec, exec, s[14:15]
	buffer_load_dword v6, v11, s[0:3], 0 offen offset:48
	buffer_load_dword v4, v11, s[0:3], 0 offen offset:52
	v_cvt_pkrtz_f16_f32 v14, v14, v15
	v_cvt_pkrtz_f16_f32 v15, v13, v17
	;; [unrolled: 1-line block ×4, first 2 shown]
	v_mfma_f32_4x4x4f16 a[0:3], v[2:3], v[14:15], a[0:3] cbsz:4 abid:10
	s_waitcnt vmcnt(1)
	v_cmp_ne_u16_sdwa s[16:17], v6, v9 src0_sel:BYTE_0 src1_sel:DWORD
	v_mfma_f32_4x4x4f16 a[0:3], v[2:3], v[16:17], a[0:3] cbsz:4 abid:11
	s_and_saveexec_b64 s[14:15], s[16:17]
	s_cbranch_execz .LBB529_1082
; %bb.1077:                             ;   in Loop: Header=BB529_788 Depth=1
	v_cmp_ne_u16_sdwa s[18:19], v6, s5 src0_sel:BYTE_0 src1_sel:DWORD
	v_bfrev_b32_e32 v12, 1
	s_and_saveexec_b64 s[16:17], s[18:19]
	s_cbranch_execz .LBB529_1081
; %bb.1078:                             ;   in Loop: Header=BB529_788 Depth=1
	v_and_b32_e32 v8, 0x7f, v6
	v_cmp_ne_u32_e32 vcc, s21, v8
	v_mov_b32_e32 v12, 0x7f800001
	s_and_saveexec_b64 s[18:19], vcc
	s_cbranch_execz .LBB529_1080
; %bb.1079:                             ;   in Loop: Header=BB529_788 Depth=1
	v_and_b32_e32 v14, 7, v6
	v_ffbh_u32_e32 v12, v14
	v_min_u32_e32 v16, 32, v12
	v_subrev_u32_e32 v12, 28, v16
	v_lshlrev_b64 v[12:13], v12, v[6:7]
	v_lshrrev_b32_e32 v15, 3, v8
	v_sub_u32_e32 v13, 29, v16
	v_and_b32_e32 v12, 7, v12
	v_cmp_gt_u32_e32 vcc, 8, v8
	v_cndmask_b32_e32 v8, v15, v13, vcc
	v_cndmask_b32_e32 v12, v14, v12, vcc
	v_lshlrev_b32_e32 v13, 24, v6
	v_lshlrev_b32_e32 v12, 20, v12
	v_and_b32_e32 v13, 0x80000000, v13
	v_lshl_add_u32 v8, v8, 23, v10
	v_or3_b32 v12, v13, v8, v12
.LBB529_1080:                           ;   in Loop: Header=BB529_788 Depth=1
	s_or_b64 exec, exec, s[18:19]
.LBB529_1081:                           ;   in Loop: Header=BB529_788 Depth=1
	s_or_b64 exec, exec, s[16:17]
.LBB529_1082:                           ;   in Loop: Header=BB529_788 Depth=1
	s_or_b64 exec, exec, s[14:15]
	v_lshrrev_b16_e32 v8, 8, v6
	v_cmp_ne_u16_e32 vcc, 0, v8
	v_mov_b32_e32 v14, 0
	v_mov_b32_e32 v15, 0
	s_and_saveexec_b64 s[14:15], vcc
	s_cbranch_execz .LBB529_1088
; %bb.1083:                             ;   in Loop: Header=BB529_788 Depth=1
	v_cmp_ne_u16_e32 vcc, s5, v8
	v_bfrev_b32_e32 v15, 1
	s_and_saveexec_b64 s[16:17], vcc
	s_cbranch_execz .LBB529_1087
; %bb.1084:                             ;   in Loop: Header=BB529_788 Depth=1
	v_and_b32_e32 v13, 0x7f, v8
	v_cmp_ne_u32_e32 vcc, s21, v13
	v_mov_b32_e32 v15, 0x7f800001
	s_and_saveexec_b64 s[18:19], vcc
	s_cbranch_execz .LBB529_1086
; %bb.1085:                             ;   in Loop: Header=BB529_788 Depth=1
	v_and_b32_e32 v15, 7, v8
	v_ffbh_u32_e32 v16, v15
	v_min_u32_e32 v19, 32, v16
	v_subrev_u32_e32 v16, 28, v19
	v_lshlrev_b64 v[16:17], v16, v[8:9]
	v_lshrrev_b32_e32 v18, 3, v13
	v_sub_u32_e32 v8, 29, v19
	v_and_b32_e32 v16, 7, v16
	v_cmp_gt_u32_e32 vcc, 8, v13
	v_cndmask_b32_e32 v8, v18, v8, vcc
	v_cndmask_b32_e32 v13, v15, v16, vcc
	v_lshlrev_b32_e32 v15, 16, v6
	v_lshlrev_b32_e32 v13, 20, v13
	v_and_b32_e32 v15, 0x80000000, v15
	v_lshl_add_u32 v8, v8, 23, v10
	v_or3_b32 v15, v15, v8, v13
.LBB529_1086:                           ;   in Loop: Header=BB529_788 Depth=1
	s_or_b64 exec, exec, s[18:19]
.LBB529_1087:                           ;   in Loop: Header=BB529_788 Depth=1
	s_or_b64 exec, exec, s[16:17]
.LBB529_1088:                           ;   in Loop: Header=BB529_788 Depth=1
	s_or_b64 exec, exec, s[14:15]
	v_lshrrev_b32_e32 v8, 16, v6
	v_cmp_ne_u16_sdwa s[16:17], v8, v9 src0_sel:BYTE_0 src1_sel:DWORD
	s_and_saveexec_b64 s[14:15], s[16:17]
	s_cbranch_execz .LBB529_1094
; %bb.1089:                             ;   in Loop: Header=BB529_788 Depth=1
	v_cmp_ne_u16_sdwa s[18:19], v8, s5 src0_sel:BYTE_0 src1_sel:DWORD
	v_bfrev_b32_e32 v14, 1
	s_and_saveexec_b64 s[16:17], s[18:19]
	s_cbranch_execz .LBB529_1093
; %bb.1090:                             ;   in Loop: Header=BB529_788 Depth=1
	v_bfe_u32 v13, v6, 16, 7
	v_cmp_ne_u32_e32 vcc, s21, v13
	v_mov_b32_e32 v14, 0x7f800001
	s_and_saveexec_b64 s[18:19], vcc
	s_cbranch_execz .LBB529_1092
; %bb.1091:                             ;   in Loop: Header=BB529_788 Depth=1
	v_and_b32_e32 v14, 7, v8
	v_ffbh_u32_e32 v16, v14
	v_min_u32_e32 v19, 32, v16
	v_subrev_u32_e32 v16, 28, v19
	v_lshlrev_b64 v[16:17], v16, v[8:9]
	v_lshrrev_b32_e32 v18, 3, v13
	v_sub_u32_e32 v17, 29, v19
	v_and_b32_e32 v16, 7, v16
	v_cmp_gt_u32_e32 vcc, 8, v13
	v_cndmask_b32_e32 v13, v18, v17, vcc
	v_cndmask_b32_e32 v14, v14, v16, vcc
	v_lshlrev_b32_e32 v8, 24, v8
	v_lshlrev_b32_e32 v14, 20, v14
	v_and_b32_e32 v8, 0x80000000, v8
	v_lshl_add_u32 v13, v13, 23, v10
	v_or3_b32 v14, v8, v13, v14
.LBB529_1092:                           ;   in Loop: Header=BB529_788 Depth=1
	s_or_b64 exec, exec, s[18:19]
.LBB529_1093:                           ;   in Loop: Header=BB529_788 Depth=1
	s_or_b64 exec, exec, s[16:17]
.LBB529_1094:                           ;   in Loop: Header=BB529_788 Depth=1
	s_or_b64 exec, exec, s[14:15]
	v_cmp_lt_u32_e32 vcc, s22, v6
	v_mov_b32_e32 v16, 0
	v_mov_b32_e32 v17, 0
	s_and_saveexec_b64 s[14:15], vcc
	s_cbranch_execz .LBB529_1100
; %bb.1095:                             ;   in Loop: Header=BB529_788 Depth=1
	v_lshrrev_b32_e32 v8, 24, v6
	v_cmp_ne_u32_e32 vcc, s5, v8
	v_bfrev_b32_e32 v17, 1
	s_and_saveexec_b64 s[16:17], vcc
	s_cbranch_execz .LBB529_1099
; %bb.1096:                             ;   in Loop: Header=BB529_788 Depth=1
	v_bfe_u32 v6, v6, 24, 7
	v_cmp_ne_u32_e32 vcc, s21, v6
	v_mov_b32_e32 v17, 0x7f800001
	s_and_saveexec_b64 s[18:19], vcc
	s_cbranch_execz .LBB529_1098
; %bb.1097:                             ;   in Loop: Header=BB529_788 Depth=1
	v_and_b32_e32 v13, 7, v8
	v_ffbh_u32_e32 v18, v13
	v_min_u32_e32 v20, 32, v18
	v_subrev_u32_e32 v18, 28, v20
	v_lshlrev_b64 v[18:19], v18, v[8:9]
	v_lshrrev_b32_e32 v17, 3, v6
	v_sub_u32_e32 v19, 29, v20
	v_and_b32_e32 v18, 7, v18
	v_cmp_gt_u32_e32 vcc, 8, v6
	v_cndmask_b32_e32 v6, v17, v19, vcc
	v_cndmask_b32_e32 v13, v13, v18, vcc
	v_lshlrev_b32_e32 v8, 24, v8
	v_lshlrev_b32_e32 v13, 20, v13
	v_and_b32_e32 v8, 0x80000000, v8
	v_lshl_add_u32 v6, v6, 23, v10
	v_or3_b32 v17, v8, v6, v13
.LBB529_1098:                           ;   in Loop: Header=BB529_788 Depth=1
	s_or_b64 exec, exec, s[18:19]
.LBB529_1099:                           ;   in Loop: Header=BB529_788 Depth=1
	s_or_b64 exec, exec, s[16:17]
.LBB529_1100:                           ;   in Loop: Header=BB529_788 Depth=1
	s_or_b64 exec, exec, s[14:15]
	s_waitcnt vmcnt(0)
	v_cmp_ne_u16_sdwa s[16:17], v4, v9 src0_sel:BYTE_0 src1_sel:DWORD
	s_and_saveexec_b64 s[14:15], s[16:17]
	s_cbranch_execz .LBB529_1106
; %bb.1101:                             ;   in Loop: Header=BB529_788 Depth=1
	v_cmp_ne_u16_sdwa s[18:19], v4, s5 src0_sel:BYTE_0 src1_sel:DWORD
	v_bfrev_b32_e32 v16, 1
	s_and_saveexec_b64 s[16:17], s[18:19]
	s_cbranch_execz .LBB529_1105
; %bb.1102:                             ;   in Loop: Header=BB529_788 Depth=1
	v_and_b32_e32 v6, 0x7f, v4
	v_cmp_ne_u32_e32 vcc, s21, v6
	v_mov_b32_e32 v16, 0x7f800001
	s_and_saveexec_b64 s[18:19], vcc
	s_cbranch_execz .LBB529_1104
; %bb.1103:                             ;   in Loop: Header=BB529_788 Depth=1
	v_and_b32_e32 v8, 7, v4
	v_ffbh_u32_e32 v16, v8
	v_min_u32_e32 v16, 32, v16
	v_subrev_u32_e32 v18, 28, v16
	v_lshlrev_b64 v[18:19], v18, v[4:5]
	v_lshrrev_b32_e32 v13, 3, v6
	v_sub_u32_e32 v16, 29, v16
	v_and_b32_e32 v18, 7, v18
	v_cmp_gt_u32_e32 vcc, 8, v6
	v_cndmask_b32_e32 v6, v13, v16, vcc
	v_cndmask_b32_e32 v8, v8, v18, vcc
	v_lshlrev_b32_e32 v13, 24, v4
	v_lshlrev_b32_e32 v8, 20, v8
	v_and_b32_e32 v13, 0x80000000, v13
	v_lshl_add_u32 v6, v6, 23, v10
	v_or3_b32 v16, v13, v6, v8
.LBB529_1104:                           ;   in Loop: Header=BB529_788 Depth=1
	s_or_b64 exec, exec, s[18:19]
.LBB529_1105:                           ;   in Loop: Header=BB529_788 Depth=1
	s_or_b64 exec, exec, s[16:17]
.LBB529_1106:                           ;   in Loop: Header=BB529_788 Depth=1
	s_or_b64 exec, exec, s[14:15]
	v_lshrrev_b16_e32 v6, 8, v4
	v_cmp_ne_u16_e32 vcc, 0, v6
	v_mov_b32_e32 v8, 0
	v_mov_b32_e32 v18, 0
	s_and_saveexec_b64 s[14:15], vcc
	s_cbranch_execz .LBB529_1112
; %bb.1107:                             ;   in Loop: Header=BB529_788 Depth=1
	v_cmp_ne_u16_e32 vcc, s5, v6
	v_bfrev_b32_e32 v18, 1
	s_and_saveexec_b64 s[16:17], vcc
	s_cbranch_execz .LBB529_1111
; %bb.1108:                             ;   in Loop: Header=BB529_788 Depth=1
	v_and_b32_e32 v13, 0x7f, v6
	v_cmp_ne_u32_e32 vcc, s21, v13
	v_mov_b32_e32 v18, 0x7f800001
	s_and_saveexec_b64 s[18:19], vcc
	s_cbranch_execz .LBB529_1110
; %bb.1109:                             ;   in Loop: Header=BB529_788 Depth=1
	v_and_b32_e32 v20, 7, v6
	v_ffbh_u32_e32 v18, v20
	v_min_u32_e32 v22, 32, v18
	v_subrev_u32_e32 v18, 28, v22
	v_lshlrev_b64 v[18:19], v18, v[6:7]
	v_lshrrev_b32_e32 v21, 3, v13
	v_sub_u32_e32 v6, 29, v22
	v_and_b32_e32 v18, 7, v18
	v_cmp_gt_u32_e32 vcc, 8, v13
	v_cndmask_b32_e32 v6, v21, v6, vcc
	v_cndmask_b32_e32 v13, v20, v18, vcc
	v_lshlrev_b32_e32 v18, 16, v4
	v_lshlrev_b32_e32 v13, 20, v13
	v_and_b32_e32 v18, 0x80000000, v18
	v_lshl_add_u32 v6, v6, 23, v10
	v_or3_b32 v18, v18, v6, v13
.LBB529_1110:                           ;   in Loop: Header=BB529_788 Depth=1
	s_or_b64 exec, exec, s[18:19]
.LBB529_1111:                           ;   in Loop: Header=BB529_788 Depth=1
	s_or_b64 exec, exec, s[16:17]
.LBB529_1112:                           ;   in Loop: Header=BB529_788 Depth=1
	s_or_b64 exec, exec, s[14:15]
	v_lshrrev_b32_e32 v6, 16, v4
	v_cmp_ne_u16_sdwa s[16:17], v6, v9 src0_sel:BYTE_0 src1_sel:DWORD
	s_and_saveexec_b64 s[14:15], s[16:17]
	s_cbranch_execz .LBB529_1118
; %bb.1113:                             ;   in Loop: Header=BB529_788 Depth=1
	v_cmp_ne_u16_sdwa s[18:19], v6, s5 src0_sel:BYTE_0 src1_sel:DWORD
	v_bfrev_b32_e32 v8, 1
	s_and_saveexec_b64 s[16:17], s[18:19]
	s_cbranch_execz .LBB529_1117
; %bb.1114:                             ;   in Loop: Header=BB529_788 Depth=1
	v_bfe_u32 v13, v4, 16, 7
	v_cmp_ne_u32_e32 vcc, s21, v13
	v_mov_b32_e32 v8, 0x7f800001
	s_and_saveexec_b64 s[18:19], vcc
	s_cbranch_execz .LBB529_1116
; %bb.1115:                             ;   in Loop: Header=BB529_788 Depth=1
	v_and_b32_e32 v8, 7, v6
	v_ffbh_u32_e32 v20, v8
	v_min_u32_e32 v22, 32, v20
	v_subrev_u32_e32 v20, 28, v22
	v_lshlrev_b64 v[20:21], v20, v[6:7]
	v_lshrrev_b32_e32 v19, 3, v13
	v_sub_u32_e32 v21, 29, v22
	v_and_b32_e32 v20, 7, v20
	v_cmp_gt_u32_e32 vcc, 8, v13
	v_cndmask_b32_e32 v13, v19, v21, vcc
	v_cndmask_b32_e32 v8, v8, v20, vcc
	v_lshlrev_b32_e32 v6, 24, v6
	v_lshlrev_b32_e32 v8, 20, v8
	v_and_b32_e32 v6, 0x80000000, v6
	v_lshl_add_u32 v13, v13, 23, v10
	v_or3_b32 v8, v6, v13, v8
.LBB529_1116:                           ;   in Loop: Header=BB529_788 Depth=1
	s_or_b64 exec, exec, s[18:19]
.LBB529_1117:                           ;   in Loop: Header=BB529_788 Depth=1
	s_or_b64 exec, exec, s[16:17]
.LBB529_1118:                           ;   in Loop: Header=BB529_788 Depth=1
	s_or_b64 exec, exec, s[14:15]
	v_cmp_lt_u32_e32 vcc, s22, v4
	v_mov_b32_e32 v13, 0
	v_mov_b32_e32 v19, 0
	s_and_saveexec_b64 s[14:15], vcc
	s_cbranch_execz .LBB529_1124
; %bb.1119:                             ;   in Loop: Header=BB529_788 Depth=1
	v_lshrrev_b32_e32 v6, 24, v4
	v_cmp_ne_u32_e32 vcc, s5, v6
	v_bfrev_b32_e32 v19, 1
	s_and_saveexec_b64 s[16:17], vcc
	s_cbranch_execz .LBB529_1123
; %bb.1120:                             ;   in Loop: Header=BB529_788 Depth=1
	v_bfe_u32 v4, v4, 24, 7
	v_cmp_ne_u32_e32 vcc, s21, v4
	v_mov_b32_e32 v19, 0x7f800001
	s_and_saveexec_b64 s[18:19], vcc
	s_cbranch_execz .LBB529_1122
; %bb.1121:                             ;   in Loop: Header=BB529_788 Depth=1
	v_and_b32_e32 v19, 7, v6
	v_ffbh_u32_e32 v20, v19
	v_min_u32_e32 v23, 32, v20
	v_subrev_u32_e32 v20, 28, v23
	v_lshlrev_b64 v[20:21], v20, v[6:7]
	v_lshrrev_b32_e32 v22, 3, v4
	v_sub_u32_e32 v21, 29, v23
	v_and_b32_e32 v20, 7, v20
	v_cmp_gt_u32_e32 vcc, 8, v4
	v_cndmask_b32_e32 v4, v22, v21, vcc
	v_cndmask_b32_e32 v19, v19, v20, vcc
	v_lshlrev_b32_e32 v6, 24, v6
	v_lshlrev_b32_e32 v19, 20, v19
	v_and_b32_e32 v6, 0x80000000, v6
	v_lshl_add_u32 v4, v4, 23, v10
	v_or3_b32 v19, v6, v4, v19
.LBB529_1122:                           ;   in Loop: Header=BB529_788 Depth=1
	s_or_b64 exec, exec, s[18:19]
.LBB529_1123:                           ;   in Loop: Header=BB529_788 Depth=1
	s_or_b64 exec, exec, s[16:17]
.LBB529_1124:                           ;   in Loop: Header=BB529_788 Depth=1
	s_or_b64 exec, exec, s[14:15]
	buffer_load_dword v6, v11, s[0:3], 0 offen offset:56
	buffer_load_dword v4, v11, s[0:3], 0 offen offset:60
	v_cvt_pkrtz_f16_f32 v20, v12, v15
	v_cvt_pkrtz_f16_f32 v21, v14, v17
	;; [unrolled: 1-line block ×4, first 2 shown]
	v_mfma_f32_4x4x4f16 a[0:3], v[2:3], v[20:21], a[0:3] cbsz:4 abid:12
	s_waitcnt vmcnt(1)
	v_cmp_ne_u16_sdwa s[16:17], v6, v9 src0_sel:BYTE_0 src1_sel:DWORD
	v_mfma_f32_4x4x4f16 a[0:3], v[2:3], v[14:15], a[0:3] cbsz:4 abid:13
	s_and_saveexec_b64 s[14:15], s[16:17]
	s_cbranch_execz .LBB529_1130
; %bb.1125:                             ;   in Loop: Header=BB529_788 Depth=1
	v_cmp_ne_u16_sdwa s[18:19], v6, s5 src0_sel:BYTE_0 src1_sel:DWORD
	v_bfrev_b32_e32 v13, 1
	s_and_saveexec_b64 s[16:17], s[18:19]
	s_cbranch_execz .LBB529_1129
; %bb.1126:                             ;   in Loop: Header=BB529_788 Depth=1
	v_and_b32_e32 v8, 0x7f, v6
	v_cmp_ne_u32_e32 vcc, s21, v8
	v_mov_b32_e32 v13, 0x7f800001
	s_and_saveexec_b64 s[18:19], vcc
	s_cbranch_execz .LBB529_1128
; %bb.1127:                             ;   in Loop: Header=BB529_788 Depth=1
	v_and_b32_e32 v11, 7, v6
	v_ffbh_u32_e32 v12, v11
	v_min_u32_e32 v15, 32, v12
	v_subrev_u32_e32 v12, 28, v15
	v_lshlrev_b64 v[12:13], v12, v[6:7]
	v_lshrrev_b32_e32 v14, 3, v8
	v_sub_u32_e32 v13, 29, v15
	v_and_b32_e32 v12, 7, v12
	v_cmp_gt_u32_e32 vcc, 8, v8
	v_cndmask_b32_e32 v8, v14, v13, vcc
	v_cndmask_b32_e32 v11, v11, v12, vcc
	v_lshlrev_b32_e32 v12, 24, v6
	v_lshlrev_b32_e32 v11, 20, v11
	v_and_b32_e32 v12, 0x80000000, v12
	v_lshl_add_u32 v8, v8, 23, v10
	v_or3_b32 v13, v12, v8, v11
.LBB529_1128:                           ;   in Loop: Header=BB529_788 Depth=1
	s_or_b64 exec, exec, s[18:19]
.LBB529_1129:                           ;   in Loop: Header=BB529_788 Depth=1
	s_or_b64 exec, exec, s[16:17]
.LBB529_1130:                           ;   in Loop: Header=BB529_788 Depth=1
	s_or_b64 exec, exec, s[14:15]
	v_lshrrev_b16_e32 v8, 8, v6
	v_cmp_ne_u16_e32 vcc, 0, v8
	v_mov_b32_e32 v11, 0
	v_mov_b32_e32 v12, 0
	s_and_saveexec_b64 s[14:15], vcc
	s_cbranch_execz .LBB529_1136
; %bb.1131:                             ;   in Loop: Header=BB529_788 Depth=1
	v_cmp_ne_u16_e32 vcc, s5, v8
	v_bfrev_b32_e32 v12, 1
	s_and_saveexec_b64 s[16:17], vcc
	s_cbranch_execz .LBB529_1135
; %bb.1132:                             ;   in Loop: Header=BB529_788 Depth=1
	v_and_b32_e32 v14, 0x7f, v8
	v_cmp_ne_u32_e32 vcc, s21, v14
	v_mov_b32_e32 v12, 0x7f800001
	s_and_saveexec_b64 s[18:19], vcc
	s_cbranch_execz .LBB529_1134
; %bb.1133:                             ;   in Loop: Header=BB529_788 Depth=1
	v_and_b32_e32 v12, 7, v8
	v_ffbh_u32_e32 v16, v12
	v_min_u32_e32 v18, 32, v16
	v_subrev_u32_e32 v16, 28, v18
	v_lshlrev_b64 v[16:17], v16, v[8:9]
	v_lshrrev_b32_e32 v15, 3, v14
	v_sub_u32_e32 v8, 29, v18
	v_and_b32_e32 v16, 7, v16
	v_cmp_gt_u32_e32 vcc, 8, v14
	v_cndmask_b32_e32 v8, v15, v8, vcc
	v_cndmask_b32_e32 v12, v12, v16, vcc
	v_lshlrev_b32_e32 v14, 16, v6
	v_lshlrev_b32_e32 v12, 20, v12
	v_and_b32_e32 v14, 0x80000000, v14
	v_lshl_add_u32 v8, v8, 23, v10
	v_or3_b32 v12, v14, v8, v12
.LBB529_1134:                           ;   in Loop: Header=BB529_788 Depth=1
	s_or_b64 exec, exec, s[18:19]
.LBB529_1135:                           ;   in Loop: Header=BB529_788 Depth=1
	s_or_b64 exec, exec, s[16:17]
.LBB529_1136:                           ;   in Loop: Header=BB529_788 Depth=1
	s_or_b64 exec, exec, s[14:15]
	v_lshrrev_b32_e32 v8, 16, v6
	v_cmp_ne_u16_sdwa s[16:17], v8, v9 src0_sel:BYTE_0 src1_sel:DWORD
	s_and_saveexec_b64 s[14:15], s[16:17]
	s_cbranch_execz .LBB529_1142
; %bb.1137:                             ;   in Loop: Header=BB529_788 Depth=1
	v_cmp_ne_u16_sdwa s[18:19], v8, s5 src0_sel:BYTE_0 src1_sel:DWORD
	v_bfrev_b32_e32 v11, 1
	s_and_saveexec_b64 s[16:17], s[18:19]
	s_cbranch_execz .LBB529_1141
; %bb.1138:                             ;   in Loop: Header=BB529_788 Depth=1
	v_bfe_u32 v14, v6, 16, 7
	v_cmp_ne_u32_e32 vcc, s21, v14
	v_mov_b32_e32 v11, 0x7f800001
	s_and_saveexec_b64 s[18:19], vcc
	s_cbranch_execz .LBB529_1140
; %bb.1139:                             ;   in Loop: Header=BB529_788 Depth=1
	v_and_b32_e32 v11, 7, v8
	v_ffbh_u32_e32 v16, v11
	v_min_u32_e32 v18, 32, v16
	v_subrev_u32_e32 v16, 28, v18
	v_lshlrev_b64 v[16:17], v16, v[8:9]
	v_lshrrev_b32_e32 v15, 3, v14
	v_sub_u32_e32 v17, 29, v18
	v_and_b32_e32 v16, 7, v16
	v_cmp_gt_u32_e32 vcc, 8, v14
	v_cndmask_b32_e32 v14, v15, v17, vcc
	v_cndmask_b32_e32 v11, v11, v16, vcc
	v_lshlrev_b32_e32 v8, 24, v8
	v_lshlrev_b32_e32 v11, 20, v11
	v_and_b32_e32 v8, 0x80000000, v8
	v_lshl_add_u32 v14, v14, 23, v10
	v_or3_b32 v11, v8, v14, v11
.LBB529_1140:                           ;   in Loop: Header=BB529_788 Depth=1
	s_or_b64 exec, exec, s[18:19]
.LBB529_1141:                           ;   in Loop: Header=BB529_788 Depth=1
	s_or_b64 exec, exec, s[16:17]
.LBB529_1142:                           ;   in Loop: Header=BB529_788 Depth=1
	s_or_b64 exec, exec, s[14:15]
	v_cmp_lt_u32_e32 vcc, s22, v6
	v_mov_b32_e32 v14, 0
	v_mov_b32_e32 v15, 0
	s_and_saveexec_b64 s[14:15], vcc
	s_cbranch_execz .LBB529_1148
; %bb.1143:                             ;   in Loop: Header=BB529_788 Depth=1
	v_lshrrev_b32_e32 v8, 24, v6
	v_cmp_ne_u32_e32 vcc, s5, v8
	v_bfrev_b32_e32 v15, 1
	s_and_saveexec_b64 s[16:17], vcc
	s_cbranch_execz .LBB529_1147
; %bb.1144:                             ;   in Loop: Header=BB529_788 Depth=1
	v_bfe_u32 v6, v6, 24, 7
	v_cmp_ne_u32_e32 vcc, s21, v6
	v_mov_b32_e32 v15, 0x7f800001
	s_and_saveexec_b64 s[18:19], vcc
	s_cbranch_execz .LBB529_1146
; %bb.1145:                             ;   in Loop: Header=BB529_788 Depth=1
	v_and_b32_e32 v15, 7, v8
	v_ffbh_u32_e32 v16, v15
	v_min_u32_e32 v19, 32, v16
	v_subrev_u32_e32 v16, 28, v19
	v_lshlrev_b64 v[16:17], v16, v[8:9]
	v_lshrrev_b32_e32 v18, 3, v6
	v_sub_u32_e32 v17, 29, v19
	v_and_b32_e32 v16, 7, v16
	v_cmp_gt_u32_e32 vcc, 8, v6
	v_cndmask_b32_e32 v6, v18, v17, vcc
	v_cndmask_b32_e32 v15, v15, v16, vcc
	v_lshlrev_b32_e32 v8, 24, v8
	v_lshlrev_b32_e32 v15, 20, v15
	v_and_b32_e32 v8, 0x80000000, v8
	v_lshl_add_u32 v6, v6, 23, v10
	v_or3_b32 v15, v8, v6, v15
.LBB529_1146:                           ;   in Loop: Header=BB529_788 Depth=1
	s_or_b64 exec, exec, s[18:19]
.LBB529_1147:                           ;   in Loop: Header=BB529_788 Depth=1
	s_or_b64 exec, exec, s[16:17]
.LBB529_1148:                           ;   in Loop: Header=BB529_788 Depth=1
	s_or_b64 exec, exec, s[14:15]
	s_waitcnt vmcnt(0)
	v_cmp_ne_u16_sdwa s[16:17], v4, v9 src0_sel:BYTE_0 src1_sel:DWORD
	s_and_saveexec_b64 s[14:15], s[16:17]
	s_cbranch_execz .LBB529_1154
; %bb.1149:                             ;   in Loop: Header=BB529_788 Depth=1
	v_cmp_ne_u16_sdwa s[18:19], v4, s5 src0_sel:BYTE_0 src1_sel:DWORD
	v_bfrev_b32_e32 v14, 1
	s_and_saveexec_b64 s[16:17], s[18:19]
	s_cbranch_execz .LBB529_1153
; %bb.1150:                             ;   in Loop: Header=BB529_788 Depth=1
	v_and_b32_e32 v6, 0x7f, v4
	v_cmp_ne_u32_e32 vcc, s21, v6
	v_mov_b32_e32 v14, 0x7f800001
	s_and_saveexec_b64 s[18:19], vcc
	s_cbranch_execz .LBB529_1152
; %bb.1151:                             ;   in Loop: Header=BB529_788 Depth=1
	v_and_b32_e32 v8, 7, v4
	v_ffbh_u32_e32 v16, v8
	v_min_u32_e32 v18, 32, v16
	v_subrev_u32_e32 v16, 28, v18
	v_lshlrev_b64 v[16:17], v16, v[4:5]
	v_lshrrev_b32_e32 v14, 3, v6
	v_sub_u32_e32 v17, 29, v18
	v_and_b32_e32 v16, 7, v16
	v_cmp_gt_u32_e32 vcc, 8, v6
	v_cndmask_b32_e32 v6, v14, v17, vcc
	v_cndmask_b32_e32 v8, v8, v16, vcc
	v_lshlrev_b32_e32 v14, 24, v4
	v_lshlrev_b32_e32 v8, 20, v8
	v_and_b32_e32 v14, 0x80000000, v14
	v_lshl_add_u32 v6, v6, 23, v10
	v_or3_b32 v14, v14, v6, v8
.LBB529_1152:                           ;   in Loop: Header=BB529_788 Depth=1
	s_or_b64 exec, exec, s[18:19]
.LBB529_1153:                           ;   in Loop: Header=BB529_788 Depth=1
	s_or_b64 exec, exec, s[16:17]
.LBB529_1154:                           ;   in Loop: Header=BB529_788 Depth=1
	s_or_b64 exec, exec, s[14:15]
	v_lshrrev_b16_e32 v6, 8, v4
	v_cmp_ne_u16_e32 vcc, 0, v6
	v_mov_b32_e32 v8, 0
	v_mov_b32_e32 v16, 0
	s_and_saveexec_b64 s[14:15], vcc
	s_cbranch_execz .LBB529_1160
; %bb.1155:                             ;   in Loop: Header=BB529_788 Depth=1
	v_cmp_ne_u16_e32 vcc, s5, v6
	v_bfrev_b32_e32 v16, 1
	s_and_saveexec_b64 s[16:17], vcc
	s_cbranch_execz .LBB529_1159
; %bb.1156:                             ;   in Loop: Header=BB529_788 Depth=1
	v_and_b32_e32 v17, 0x7f, v6
	v_cmp_ne_u32_e32 vcc, s21, v17
	v_mov_b32_e32 v16, 0x7f800001
	s_and_saveexec_b64 s[18:19], vcc
	s_cbranch_execz .LBB529_1158
; %bb.1157:                             ;   in Loop: Header=BB529_788 Depth=1
	v_and_b32_e32 v16, 7, v6
	v_ffbh_u32_e32 v18, v16
	v_min_u32_e32 v21, 32, v18
	v_subrev_u32_e32 v18, 28, v21
	v_lshlrev_b64 v[18:19], v18, v[6:7]
	v_lshrrev_b32_e32 v20, 3, v17
	v_sub_u32_e32 v6, 29, v21
	v_and_b32_e32 v18, 7, v18
	v_cmp_gt_u32_e32 vcc, 8, v17
	v_cndmask_b32_e32 v6, v20, v6, vcc
	v_cndmask_b32_e32 v16, v16, v18, vcc
	v_lshlrev_b32_e32 v17, 16, v4
	v_lshlrev_b32_e32 v16, 20, v16
	v_and_b32_e32 v17, 0x80000000, v17
	v_lshl_add_u32 v6, v6, 23, v10
	v_or3_b32 v16, v17, v6, v16
.LBB529_1158:                           ;   in Loop: Header=BB529_788 Depth=1
	s_or_b64 exec, exec, s[18:19]
.LBB529_1159:                           ;   in Loop: Header=BB529_788 Depth=1
	s_or_b64 exec, exec, s[16:17]
.LBB529_1160:                           ;   in Loop: Header=BB529_788 Depth=1
	s_or_b64 exec, exec, s[14:15]
	v_lshrrev_b32_e32 v6, 16, v4
	v_cmp_ne_u16_sdwa s[16:17], v6, v9 src0_sel:BYTE_0 src1_sel:DWORD
	s_and_saveexec_b64 s[14:15], s[16:17]
	s_cbranch_execz .LBB529_1166
; %bb.1161:                             ;   in Loop: Header=BB529_788 Depth=1
	v_cmp_ne_u16_sdwa s[18:19], v6, s5 src0_sel:BYTE_0 src1_sel:DWORD
	v_bfrev_b32_e32 v8, 1
	s_and_saveexec_b64 s[16:17], s[18:19]
	s_cbranch_execz .LBB529_1165
; %bb.1162:                             ;   in Loop: Header=BB529_788 Depth=1
	v_bfe_u32 v17, v4, 16, 7
	v_cmp_ne_u32_e32 vcc, s21, v17
	v_mov_b32_e32 v8, 0x7f800001
	s_and_saveexec_b64 s[18:19], vcc
	s_cbranch_execz .LBB529_1164
; %bb.1163:                             ;   in Loop: Header=BB529_788 Depth=1
	v_and_b32_e32 v8, 7, v6
	v_ffbh_u32_e32 v18, v8
	v_min_u32_e32 v21, 32, v18
	v_subrev_u32_e32 v18, 28, v21
	v_lshlrev_b64 v[18:19], v18, v[6:7]
	v_lshrrev_b32_e32 v20, 3, v17
	v_sub_u32_e32 v19, 29, v21
	v_and_b32_e32 v18, 7, v18
	v_cmp_gt_u32_e32 vcc, 8, v17
	v_cndmask_b32_e32 v17, v20, v19, vcc
	v_cndmask_b32_e32 v8, v8, v18, vcc
	v_lshlrev_b32_e32 v6, 24, v6
	v_lshlrev_b32_e32 v8, 20, v8
	v_and_b32_e32 v6, 0x80000000, v6
	v_lshl_add_u32 v17, v17, 23, v10
	v_or3_b32 v8, v6, v17, v8
.LBB529_1164:                           ;   in Loop: Header=BB529_788 Depth=1
	s_or_b64 exec, exec, s[18:19]
.LBB529_1165:                           ;   in Loop: Header=BB529_788 Depth=1
	s_or_b64 exec, exec, s[16:17]
.LBB529_1166:                           ;   in Loop: Header=BB529_788 Depth=1
	s_or_b64 exec, exec, s[14:15]
	v_cmp_lt_u32_e32 vcc, s22, v4
	v_mov_b32_e32 v17, 0
	s_and_saveexec_b64 s[14:15], vcc
	s_cbranch_execz .LBB529_787
; %bb.1167:                             ;   in Loop: Header=BB529_788 Depth=1
	v_lshrrev_b32_e32 v6, 24, v4
	v_cmp_ne_u32_e32 vcc, s5, v6
	v_bfrev_b32_e32 v17, 1
	s_and_saveexec_b64 s[16:17], vcc
	s_cbranch_execz .LBB529_786
; %bb.1168:                             ;   in Loop: Header=BB529_788 Depth=1
	v_bfe_u32 v4, v4, 24, 7
	v_cmp_ne_u32_e32 vcc, s21, v4
	v_mov_b32_e32 v17, 0x7f800001
	s_and_saveexec_b64 s[18:19], vcc
	s_cbranch_execz .LBB529_785
; %bb.1169:                             ;   in Loop: Header=BB529_788 Depth=1
	v_and_b32_e32 v17, 7, v6
	v_ffbh_u32_e32 v18, v17
	v_min_u32_e32 v21, 32, v18
	v_subrev_u32_e32 v18, 28, v21
	v_lshlrev_b64 v[18:19], v18, v[6:7]
	v_lshrrev_b32_e32 v20, 3, v4
	v_sub_u32_e32 v19, 29, v21
	v_and_b32_e32 v18, 7, v18
	v_cmp_gt_u32_e32 vcc, 8, v4
	v_cndmask_b32_e32 v4, v20, v19, vcc
	v_cndmask_b32_e32 v17, v17, v18, vcc
	v_lshlrev_b32_e32 v6, 24, v6
	v_lshlrev_b32_e32 v17, 20, v17
	v_and_b32_e32 v6, 0x80000000, v6
	v_lshl_add_u32 v4, v4, 23, v10
	v_or3_b32 v17, v6, v4, v17
	s_branch .LBB529_785
.LBB529_1170:
	s_mov_b64 s[16:17], 0
                                        ; implicit-def: $sgpr38_sgpr39
	s_branch .LBB529_2
.LBB529_1171:
	s_or_b64 exec, exec, s[6:7]
	v_cmp_gt_u32_e32 vcc, 64, v0
	s_waitcnt lgkmcnt(0)
	s_barrier
	s_and_saveexec_b64 s[6:7], vcc
	s_cbranch_execz .LBB529_1173
; %bb.1172:
	v_mul_u32_u24_e32 v6, 40, v1
	ds_read2_b64 v[2:5], v6 offset1:1
	ds_read2_b64 v[6:9], v6 offset0:2 offset1:3
	s_mov_b32 s5, 0
	s_lshl_b32 s4, s4, 7
	s_lshl_b64 s[6:7], s[4:5], 1
	s_waitcnt lgkmcnt(1)
	v_pk_add_f16 v2, v2, 0
	v_pk_add_f16 v2, v2, v4
	;; [unrolled: 1-line block ×3, first 2 shown]
	s_waitcnt lgkmcnt(0)
	v_pk_add_f16 v2, v2, v6
	v_pk_add_f16 v3, v3, v5
	;; [unrolled: 1-line block ×3, first 2 shown]
	v_mov_b32_e32 v2, 0xa00
	v_pk_add_f16 v6, v3, v7
	v_mad_u32_u24 v2, v1, 40, v2
	ds_read2_b64 v[2:5], v2 offset1:1
	v_pk_add_f16 v11, v6, v9
	v_mov_b32_e32 v6, 0xa10
	v_mad_u32_u24 v1, v1, 40, v6
	ds_read2_b64 v[6:9], v1 offset1:1
	s_add_u32 s6, s30, s6
	s_addc_u32 s7, s31, s7
	s_lshl_b32 s4, s28, 7
	s_lshl_b64 s[4:5], s[4:5], 1
	s_waitcnt lgkmcnt(1)
	v_pk_add_f16 v1, v2, 0
	v_pk_add_f16 v2, v3, 0
	s_add_u32 s4, s6, s4
	v_pk_add_f16 v2, v2, v5
	s_addc_u32 s5, s7, s5
	s_lshl_b32 s6, s33, 7
	s_waitcnt lgkmcnt(0)
	v_pk_add_f16 v2, v2, v7
	s_mul_i32 s7, s6, s24
	v_pk_add_f16 v1, v1, v4
	v_pk_add_f16 v13, v2, v9
	v_or_b32_e32 v2, s7, v0
	v_mov_b32_e32 v3, 0
	v_pk_add_f16 v1, v1, v6
	v_lshlrev_b64 v[4:5], 1, v[2:3]
	s_add_i32 s7, s7, s6
	v_pk_add_f16 v12, v1, v8
	v_mov_b32_e32 v1, s5
	v_add_co_u32_e32 v4, vcc, s4, v4
	v_or_b32_e32 v2, s7, v0
	v_addc_co_u32_e32 v5, vcc, v1, v5, vcc
	v_lshlrev_b64 v[6:7], 1, v[2:3]
	s_add_i32 s7, s7, s6
	v_add_co_u32_e32 v6, vcc, s4, v6
	v_or_b32_e32 v2, s7, v0
	v_addc_co_u32_e32 v7, vcc, v1, v7, vcc
	v_lshlrev_b64 v[8:9], 1, v[2:3]
	s_add_i32 s7, s7, s6
	v_add_co_u32_e32 v8, vcc, s4, v8
	v_or_b32_e32 v2, s7, v0
	v_addc_co_u32_e32 v9, vcc, v1, v9, vcc
	v_lshlrev_b64 v[0:1], 1, v[2:3]
	v_mov_b32_e32 v2, s5
	v_add_co_u32_e32 v0, vcc, s4, v0
	v_addc_co_u32_e32 v1, vcc, v2, v1, vcc
	global_store_short v[4:5], v10, off
	global_store_short_d16_hi v[6:7], v10, off
	global_store_short v[8:9], v11, off
	global_store_short_d16_hi v[0:1], v11, off
	global_store_short v[4:5], v12, off offset:128
	global_store_short_d16_hi v[6:7], v12, off offset:128
	global_store_short v[8:9], v13, off offset:128
	global_store_short_d16_hi v[0:1], v13, off offset:128
.LBB529_1173:
	s_endpgm
	.section	.rodata,"a",@progbits
	.p2align	6, 0x0
	.amdhsa_kernel _Z38paged_attention_ll4mi_QKV_mfma4_kernelIDF16_hLN4vllm18Fp8KVCacheDataTypeE1EDF16_Li32ELi128ELi256ELb0ELi4EEvPKT_PKT0_S7_ifPKiS9_S9_iPKfiiiPfSC_PS2_PT2_iSB_SB_
		.amdhsa_group_segment_fixed_size 5280
		.amdhsa_private_segment_fixed_size 144
		.amdhsa_kernarg_size 400
		.amdhsa_user_sgpr_count 8
		.amdhsa_user_sgpr_private_segment_buffer 1
		.amdhsa_user_sgpr_dispatch_ptr 0
		.amdhsa_user_sgpr_queue_ptr 0
		.amdhsa_user_sgpr_kernarg_segment_ptr 1
		.amdhsa_user_sgpr_dispatch_id 0
		.amdhsa_user_sgpr_flat_scratch_init 1
		.amdhsa_user_sgpr_kernarg_preload_length 0
		.amdhsa_user_sgpr_kernarg_preload_offset 0
		.amdhsa_user_sgpr_private_segment_size 0
		.amdhsa_uses_dynamic_stack 0
		.amdhsa_system_sgpr_private_segment_wavefront_offset 1
		.amdhsa_system_sgpr_workgroup_id_x 1
		.amdhsa_system_sgpr_workgroup_id_y 1
		.amdhsa_system_sgpr_workgroup_id_z 1
		.amdhsa_system_sgpr_workgroup_info 0
		.amdhsa_system_vgpr_workitem_id 0
		.amdhsa_next_free_vgpr 72
		.amdhsa_next_free_sgpr 46
		.amdhsa_accum_offset 68
		.amdhsa_reserve_vcc 1
		.amdhsa_reserve_flat_scratch 0
		.amdhsa_float_round_mode_32 0
		.amdhsa_float_round_mode_16_64 0
		.amdhsa_float_denorm_mode_32 3
		.amdhsa_float_denorm_mode_16_64 3
		.amdhsa_dx10_clamp 1
		.amdhsa_ieee_mode 1
		.amdhsa_fp16_overflow 0
		.amdhsa_tg_split 0
		.amdhsa_exception_fp_ieee_invalid_op 0
		.amdhsa_exception_fp_denorm_src 0
		.amdhsa_exception_fp_ieee_div_zero 0
		.amdhsa_exception_fp_ieee_overflow 0
		.amdhsa_exception_fp_ieee_underflow 0
		.amdhsa_exception_fp_ieee_inexact 0
		.amdhsa_exception_int_div_zero 0
	.end_amdhsa_kernel
	.section	.text._Z38paged_attention_ll4mi_QKV_mfma4_kernelIDF16_hLN4vllm18Fp8KVCacheDataTypeE1EDF16_Li32ELi128ELi256ELb0ELi4EEvPKT_PKT0_S7_ifPKiS9_S9_iPKfiiiPfSC_PS2_PT2_iSB_SB_,"axG",@progbits,_Z38paged_attention_ll4mi_QKV_mfma4_kernelIDF16_hLN4vllm18Fp8KVCacheDataTypeE1EDF16_Li32ELi128ELi256ELb0ELi4EEvPKT_PKT0_S7_ifPKiS9_S9_iPKfiiiPfSC_PS2_PT2_iSB_SB_,comdat
.Lfunc_end529:
	.size	_Z38paged_attention_ll4mi_QKV_mfma4_kernelIDF16_hLN4vllm18Fp8KVCacheDataTypeE1EDF16_Li32ELi128ELi256ELb0ELi4EEvPKT_PKT0_S7_ifPKiS9_S9_iPKfiiiPfSC_PS2_PT2_iSB_SB_, .Lfunc_end529-_Z38paged_attention_ll4mi_QKV_mfma4_kernelIDF16_hLN4vllm18Fp8KVCacheDataTypeE1EDF16_Li32ELi128ELi256ELb0ELi4EEvPKT_PKT0_S7_ifPKiS9_S9_iPKfiiiPfSC_PS2_PT2_iSB_SB_
                                        ; -- End function
	.section	.AMDGPU.csdata,"",@progbits
; Kernel info:
; codeLenInByte = 37668
; NumSgprs: 50
; NumVgprs: 66
; NumAgprs: 4
; TotalNumVgprs: 72
; ScratchSize: 144
; MemoryBound: 0
; FloatMode: 240
; IeeeMode: 1
; LDSByteSize: 5280 bytes/workgroup (compile time only)
; SGPRBlocks: 6
; VGPRBlocks: 8
; NumSGPRsForWavesPerEU: 50
; NumVGPRsForWavesPerEU: 72
; AccumOffset: 68
; Occupancy: 7
; WaveLimiterHint : 1
; COMPUTE_PGM_RSRC2:SCRATCH_EN: 1
; COMPUTE_PGM_RSRC2:USER_SGPR: 8
; COMPUTE_PGM_RSRC2:TRAP_HANDLER: 0
; COMPUTE_PGM_RSRC2:TGID_X_EN: 1
; COMPUTE_PGM_RSRC2:TGID_Y_EN: 1
; COMPUTE_PGM_RSRC2:TGID_Z_EN: 1
; COMPUTE_PGM_RSRC2:TIDIG_COMP_CNT: 0
; COMPUTE_PGM_RSRC3_GFX90A:ACCUM_OFFSET: 16
; COMPUTE_PGM_RSRC3_GFX90A:TG_SPLIT: 0
	.section	.text._Z39paged_attention_ll4mi_QKV_mfma16_kernelIDF16_hLN4vllm18Fp8KVCacheDataTypeE1EDF16_Li32ELi128ELi256ELb0ELi5EL8MFMAType1EEvPKT_PKT0_S8_ifPKiSA_SA_iPKfiiiPfSD_PS3_PT2_iSC_SC_,"axG",@progbits,_Z39paged_attention_ll4mi_QKV_mfma16_kernelIDF16_hLN4vllm18Fp8KVCacheDataTypeE1EDF16_Li32ELi128ELi256ELb0ELi5EL8MFMAType1EEvPKT_PKT0_S8_ifPKiSA_SA_iPKfiiiPfSD_PS3_PT2_iSC_SC_,comdat
	.protected	_Z39paged_attention_ll4mi_QKV_mfma16_kernelIDF16_hLN4vllm18Fp8KVCacheDataTypeE1EDF16_Li32ELi128ELi256ELb0ELi5EL8MFMAType1EEvPKT_PKT0_S8_ifPKiSA_SA_iPKfiiiPfSD_PS3_PT2_iSC_SC_ ; -- Begin function _Z39paged_attention_ll4mi_QKV_mfma16_kernelIDF16_hLN4vllm18Fp8KVCacheDataTypeE1EDF16_Li32ELi128ELi256ELb0ELi5EL8MFMAType1EEvPKT_PKT0_S8_ifPKiSA_SA_iPKfiiiPfSD_PS3_PT2_iSC_SC_
	.globl	_Z39paged_attention_ll4mi_QKV_mfma16_kernelIDF16_hLN4vllm18Fp8KVCacheDataTypeE1EDF16_Li32ELi128ELi256ELb0ELi5EL8MFMAType1EEvPKT_PKT0_S8_ifPKiSA_SA_iPKfiiiPfSD_PS3_PT2_iSC_SC_
	.p2align	8
	.type	_Z39paged_attention_ll4mi_QKV_mfma16_kernelIDF16_hLN4vllm18Fp8KVCacheDataTypeE1EDF16_Li32ELi128ELi256ELb0ELi5EL8MFMAType1EEvPKT_PKT0_S8_ifPKiSA_SA_iPKfiiiPfSD_PS3_PT2_iSC_SC_,@function
_Z39paged_attention_ll4mi_QKV_mfma16_kernelIDF16_hLN4vllm18Fp8KVCacheDataTypeE1EDF16_Li32ELi128ELi256ELb0ELi5EL8MFMAType1EEvPKT_PKT0_S8_ifPKiSA_SA_iPKfiiiPfSD_PS3_PT2_iSC_SC_: ; @_Z39paged_attention_ll4mi_QKV_mfma16_kernelIDF16_hLN4vllm18Fp8KVCacheDataTypeE1EDF16_Li32ELi128ELi256ELb0ELi5EL8MFMAType1EEvPKT_PKT0_S8_ifPKiSA_SA_iPKfiiiPfSD_PS3_PT2_iSC_SC_
; %bb.0:
	s_load_dwordx2 s[12:13], s[4:5], 0x30
	s_add_u32 flat_scratch_lo, s6, s11
	s_addc_u32 flat_scratch_hi, s7, 0
	s_add_u32 s0, s0, s11
	s_addc_u32 s1, s1, 0
	s_waitcnt lgkmcnt(0)
	s_cmp_lg_u64 s[12:13], 0
	s_cselect_b64 s[14:15], -1, 0
	s_mov_b32 s6, s9
	s_mov_b64 s[16:17], 0
	s_and_b64 vcc, exec, s[14:15]
	s_mov_b32 s32, 0
	s_cbranch_vccz .LBB530_11
; %bb.1:
	s_add_i32 s18, s8, 1
	s_mov_b32 s19, 0
	s_lshl_b64 s[20:21], s[18:19], 2
	s_add_u32 s20, s12, s20
	s_mov_b32 s9, s19
	s_addc_u32 s21, s13, s21
	s_lshl_b64 s[18:19], s[8:9], 2
	s_add_u32 s18, s12, s18
	s_addc_u32 s19, s13, s19
	s_load_dword s7, s[20:21], 0x0
	s_load_dword s11, s[18:19], 0x0
	s_waitcnt lgkmcnt(0)
	s_sub_i32 s7, s7, s11
	s_cmp_eq_u32 s7, 1
	s_cselect_b64 s[18:19], -1, 0
	s_andn2_b64 vcc, exec, s[16:17]
	s_cbranch_vccnz .LBB530_3
.LBB530_2:
	s_mov_b32 s9, 0
	s_mov_b64 s[18:19], -1
.LBB530_3:
	s_andn2_b64 vcc, exec, s[18:19]
	s_cbranch_vccnz .LBB530_10
; %bb.4:
	s_load_dwordx2 s[18:19], s[4:5], 0x28
	s_lshl_b64 s[16:17], s[8:9], 2
	s_waitcnt lgkmcnt(0)
	s_add_u32 s18, s18, s16
	s_addc_u32 s19, s19, s17
	s_load_dword s7, s[18:19], 0x0
	s_lshl_b32 s6, s6, 8
	s_waitcnt lgkmcnt(0)
	s_cmp_ge_i32 s6, s7
	s_cbranch_scc1 .LBB530_10
; %bb.5:
	s_andn2_b64 vcc, exec, s[14:15]
	s_cbranch_vccnz .LBB530_7
; %bb.6:
	s_add_u32 s6, s12, s16
	s_addc_u32 s7, s13, s17
	s_load_dword s8, s[6:7], 0x0
.LBB530_7:
	s_movk_i32 s6, 0x50
	v_cmp_gt_u32_e32 vcc, s6, v0
	s_and_saveexec_b64 s[6:7], vcc
	s_cbranch_execz .LBB530_9
; %bb.8:
	s_load_dword s11, s[4:5], 0x48
	s_load_dwordx2 s[12:13], s[4:5], 0x0
	v_lshrrev_b32_e32 v1, 4, v0
	s_mul_i32 s10, s10, 5
	v_add_lshl_u32 v2, v1, s10, 7
	s_waitcnt lgkmcnt(0)
	s_ashr_i32 s9, s11, 31
	s_mul_hi_u32 s14, s8, s11
	s_mul_i32 s9, s8, s9
	s_add_i32 s9, s14, s9
	s_mul_i32 s8, s8, s11
	s_lshl_b64 s[8:9], s[8:9], 1
	s_add_u32 s8, s12, s8
	v_ashrrev_i32_e32 v3, 31, v2
	s_addc_u32 s9, s13, s9
	v_lshlrev_b64 v[2:3], 1, v[2:3]
	v_and_b32_e32 v4, 15, v0
	v_mov_b32_e32 v5, s9
	v_add_co_u32_e32 v2, vcc, s8, v2
	v_addc_co_u32_e32 v3, vcc, v5, v3, vcc
	v_lshlrev_b32_e32 v4, 4, v4
	v_add_co_u32_e32 v2, vcc, v2, v4
	v_addc_co_u32_e32 v3, vcc, 0, v3, vcc
	global_load_dwordx4 v[2:5], v[2:3], off
	v_lshlrev_b32_e32 v6, 4, v0
	v_lshlrev_b32_e32 v0, 8, v0
	v_and_b32_e32 v6, 16, v6
	v_lshlrev_b32_e32 v1, 5, v1
	v_and_b32_e32 v0, 0xe00, v0
	v_or3_b32 v0, v0, v1, v6
	s_waitcnt vmcnt(0)
	ds_write_b128 v0, v[2:5]
.LBB530_9:
	s_or_b64 exec, exec, s[6:7]
	s_waitcnt lgkmcnt(0)
	s_add_u32 s8, s4, 0x90
	s_addc_u32 s9, s5, 0
	s_getpc_b64 s[4:5]
	s_add_u32 s4, s4, __PRETTY_FUNCTION__._Z39paged_attention_ll4mi_QKV_mfma16_kernelIDF16_hLN4vllm18Fp8KVCacheDataTypeE1EDF16_Li32ELi128ELi256ELb0ELi5EL8MFMAType1EEvPKT_PKT0_S8_ifPKiSA_SA_iPKfiiiPfSD_PS3_PT2_iSC_SC_@rel32@lo+4
	s_addc_u32 s5, s5, __PRETTY_FUNCTION__._Z39paged_attention_ll4mi_QKV_mfma16_kernelIDF16_hLN4vllm18Fp8KVCacheDataTypeE1EDF16_Li32ELi128ELi256ELb0ELi5EL8MFMAType1EEvPKT_PKT0_S8_ifPKiSA_SA_iPKfiiiPfSD_PS3_PT2_iSC_SC_@rel32@hi+12
	v_mov_b32_e32 v0, 0x288
	v_mov_b32_e32 v1, s4
	;; [unrolled: 1-line block ×3, first 2 shown]
	s_barrier
	s_getpc_b64 s[6:7]
	s_add_u32 s6, s6, __assert_fail@rel32@lo+4
	s_addc_u32 s7, s7, __assert_fail@rel32@hi+12
	s_swappc_b64 s[30:31], s[6:7]
	; divergent unreachable
.LBB530_10:
	s_endpgm
.LBB530_11:
	s_mov_b64 s[18:19], 0
	s_branch .LBB530_2
	.section	.rodata,"a",@progbits
	.p2align	6, 0x0
	.amdhsa_kernel _Z39paged_attention_ll4mi_QKV_mfma16_kernelIDF16_hLN4vllm18Fp8KVCacheDataTypeE1EDF16_Li32ELi128ELi256ELb0ELi5EL8MFMAType1EEvPKT_PKT0_S8_ifPKiSA_SA_iPKfiiiPfSD_PS3_PT2_iSC_SC_
		.amdhsa_group_segment_fixed_size 8192
		.amdhsa_private_segment_fixed_size 64
		.amdhsa_kernarg_size 400
		.amdhsa_user_sgpr_count 8
		.amdhsa_user_sgpr_private_segment_buffer 1
		.amdhsa_user_sgpr_dispatch_ptr 0
		.amdhsa_user_sgpr_queue_ptr 0
		.amdhsa_user_sgpr_kernarg_segment_ptr 1
		.amdhsa_user_sgpr_dispatch_id 0
		.amdhsa_user_sgpr_flat_scratch_init 1
		.amdhsa_user_sgpr_kernarg_preload_length 0
		.amdhsa_user_sgpr_kernarg_preload_offset 0
		.amdhsa_user_sgpr_private_segment_size 0
		.amdhsa_uses_dynamic_stack 0
		.amdhsa_system_sgpr_private_segment_wavefront_offset 1
		.amdhsa_system_sgpr_workgroup_id_x 1
		.amdhsa_system_sgpr_workgroup_id_y 1
		.amdhsa_system_sgpr_workgroup_id_z 1
		.amdhsa_system_sgpr_workgroup_info 0
		.amdhsa_system_vgpr_workitem_id 0
		.amdhsa_next_free_vgpr 45
		.amdhsa_next_free_sgpr 34
		.amdhsa_accum_offset 44
		.amdhsa_reserve_vcc 1
		.amdhsa_reserve_flat_scratch 1
		.amdhsa_float_round_mode_32 0
		.amdhsa_float_round_mode_16_64 0
		.amdhsa_float_denorm_mode_32 3
		.amdhsa_float_denorm_mode_16_64 3
		.amdhsa_dx10_clamp 1
		.amdhsa_ieee_mode 1
		.amdhsa_fp16_overflow 0
		.amdhsa_tg_split 0
		.amdhsa_exception_fp_ieee_invalid_op 0
		.amdhsa_exception_fp_denorm_src 0
		.amdhsa_exception_fp_ieee_div_zero 0
		.amdhsa_exception_fp_ieee_overflow 0
		.amdhsa_exception_fp_ieee_underflow 0
		.amdhsa_exception_fp_ieee_inexact 0
		.amdhsa_exception_int_div_zero 0
	.end_amdhsa_kernel
	.section	.text._Z39paged_attention_ll4mi_QKV_mfma16_kernelIDF16_hLN4vllm18Fp8KVCacheDataTypeE1EDF16_Li32ELi128ELi256ELb0ELi5EL8MFMAType1EEvPKT_PKT0_S8_ifPKiSA_SA_iPKfiiiPfSD_PS3_PT2_iSC_SC_,"axG",@progbits,_Z39paged_attention_ll4mi_QKV_mfma16_kernelIDF16_hLN4vllm18Fp8KVCacheDataTypeE1EDF16_Li32ELi128ELi256ELb0ELi5EL8MFMAType1EEvPKT_PKT0_S8_ifPKiSA_SA_iPKfiiiPfSD_PS3_PT2_iSC_SC_,comdat
.Lfunc_end530:
	.size	_Z39paged_attention_ll4mi_QKV_mfma16_kernelIDF16_hLN4vllm18Fp8KVCacheDataTypeE1EDF16_Li32ELi128ELi256ELb0ELi5EL8MFMAType1EEvPKT_PKT0_S8_ifPKiSA_SA_iPKfiiiPfSD_PS3_PT2_iSC_SC_, .Lfunc_end530-_Z39paged_attention_ll4mi_QKV_mfma16_kernelIDF16_hLN4vllm18Fp8KVCacheDataTypeE1EDF16_Li32ELi128ELi256ELb0ELi5EL8MFMAType1EEvPKT_PKT0_S8_ifPKiSA_SA_iPKfiiiPfSD_PS3_PT2_iSC_SC_
                                        ; -- End function
	.section	.AMDGPU.csdata,"",@progbits
; Kernel info:
; codeLenInByte = 492
; NumSgprs: 40
; NumVgprs: 42
; NumAgprs: 1
; TotalNumVgprs: 45
; ScratchSize: 64
; MemoryBound: 0
; FloatMode: 240
; IeeeMode: 1
; LDSByteSize: 8192 bytes/workgroup (compile time only)
; SGPRBlocks: 4
; VGPRBlocks: 5
; NumSGPRsForWavesPerEU: 40
; NumVGPRsForWavesPerEU: 45
; AccumOffset: 44
; Occupancy: 8
; WaveLimiterHint : 1
; COMPUTE_PGM_RSRC2:SCRATCH_EN: 1
; COMPUTE_PGM_RSRC2:USER_SGPR: 8
; COMPUTE_PGM_RSRC2:TRAP_HANDLER: 0
; COMPUTE_PGM_RSRC2:TGID_X_EN: 1
; COMPUTE_PGM_RSRC2:TGID_Y_EN: 1
; COMPUTE_PGM_RSRC2:TGID_Z_EN: 1
; COMPUTE_PGM_RSRC2:TIDIG_COMP_CNT: 0
; COMPUTE_PGM_RSRC3_GFX90A:ACCUM_OFFSET: 10
; COMPUTE_PGM_RSRC3_GFX90A:TG_SPLIT: 0
	.section	.text._Z39paged_attention_ll4mi_QKV_mfma16_kernelIDF16_hLN4vllm18Fp8KVCacheDataTypeE1EDF16_Li32ELi128ELi256ELb0ELi6EL8MFMAType1EEvPKT_PKT0_S8_ifPKiSA_SA_iPKfiiiPfSD_PS3_PT2_iSC_SC_,"axG",@progbits,_Z39paged_attention_ll4mi_QKV_mfma16_kernelIDF16_hLN4vllm18Fp8KVCacheDataTypeE1EDF16_Li32ELi128ELi256ELb0ELi6EL8MFMAType1EEvPKT_PKT0_S8_ifPKiSA_SA_iPKfiiiPfSD_PS3_PT2_iSC_SC_,comdat
	.protected	_Z39paged_attention_ll4mi_QKV_mfma16_kernelIDF16_hLN4vllm18Fp8KVCacheDataTypeE1EDF16_Li32ELi128ELi256ELb0ELi6EL8MFMAType1EEvPKT_PKT0_S8_ifPKiSA_SA_iPKfiiiPfSD_PS3_PT2_iSC_SC_ ; -- Begin function _Z39paged_attention_ll4mi_QKV_mfma16_kernelIDF16_hLN4vllm18Fp8KVCacheDataTypeE1EDF16_Li32ELi128ELi256ELb0ELi6EL8MFMAType1EEvPKT_PKT0_S8_ifPKiSA_SA_iPKfiiiPfSD_PS3_PT2_iSC_SC_
	.globl	_Z39paged_attention_ll4mi_QKV_mfma16_kernelIDF16_hLN4vllm18Fp8KVCacheDataTypeE1EDF16_Li32ELi128ELi256ELb0ELi6EL8MFMAType1EEvPKT_PKT0_S8_ifPKiSA_SA_iPKfiiiPfSD_PS3_PT2_iSC_SC_
	.p2align	8
	.type	_Z39paged_attention_ll4mi_QKV_mfma16_kernelIDF16_hLN4vllm18Fp8KVCacheDataTypeE1EDF16_Li32ELi128ELi256ELb0ELi6EL8MFMAType1EEvPKT_PKT0_S8_ifPKiSA_SA_iPKfiiiPfSD_PS3_PT2_iSC_SC_,@function
_Z39paged_attention_ll4mi_QKV_mfma16_kernelIDF16_hLN4vllm18Fp8KVCacheDataTypeE1EDF16_Li32ELi128ELi256ELb0ELi6EL8MFMAType1EEvPKT_PKT0_S8_ifPKiSA_SA_iPKfiiiPfSD_PS3_PT2_iSC_SC_: ; @_Z39paged_attention_ll4mi_QKV_mfma16_kernelIDF16_hLN4vllm18Fp8KVCacheDataTypeE1EDF16_Li32ELi128ELi256ELb0ELi6EL8MFMAType1EEvPKT_PKT0_S8_ifPKiSA_SA_iPKfiiiPfSD_PS3_PT2_iSC_SC_
; %bb.0:
	s_load_dwordx2 s[12:13], s[4:5], 0x30
	s_add_u32 flat_scratch_lo, s6, s11
	s_addc_u32 flat_scratch_hi, s7, 0
	s_add_u32 s0, s0, s11
	s_addc_u32 s1, s1, 0
	s_waitcnt lgkmcnt(0)
	s_cmp_lg_u64 s[12:13], 0
	s_cselect_b64 s[14:15], -1, 0
	s_mov_b32 s6, s9
	s_mov_b64 s[16:17], 0
	s_and_b64 vcc, exec, s[14:15]
	s_mov_b32 s32, 0
	s_cbranch_vccz .LBB531_11
; %bb.1:
	s_add_i32 s18, s8, 1
	s_mov_b32 s19, 0
	s_lshl_b64 s[20:21], s[18:19], 2
	s_add_u32 s20, s12, s20
	s_mov_b32 s9, s19
	s_addc_u32 s21, s13, s21
	s_lshl_b64 s[18:19], s[8:9], 2
	s_add_u32 s18, s12, s18
	s_addc_u32 s19, s13, s19
	s_load_dword s7, s[20:21], 0x0
	s_load_dword s11, s[18:19], 0x0
	s_waitcnt lgkmcnt(0)
	s_sub_i32 s7, s7, s11
	s_cmp_eq_u32 s7, 1
	s_cselect_b64 s[18:19], -1, 0
	s_andn2_b64 vcc, exec, s[16:17]
	s_cbranch_vccnz .LBB531_3
.LBB531_2:
	s_mov_b32 s9, 0
	s_mov_b64 s[18:19], -1
.LBB531_3:
	s_andn2_b64 vcc, exec, s[18:19]
	s_cbranch_vccnz .LBB531_10
; %bb.4:
	s_load_dwordx2 s[18:19], s[4:5], 0x28
	s_lshl_b64 s[16:17], s[8:9], 2
	s_waitcnt lgkmcnt(0)
	s_add_u32 s18, s18, s16
	s_addc_u32 s19, s19, s17
	s_load_dword s7, s[18:19], 0x0
	s_lshl_b32 s6, s6, 8
	s_waitcnt lgkmcnt(0)
	s_cmp_ge_i32 s6, s7
	s_cbranch_scc1 .LBB531_10
; %bb.5:
	s_andn2_b64 vcc, exec, s[14:15]
	s_cbranch_vccnz .LBB531_7
; %bb.6:
	s_add_u32 s6, s12, s16
	s_addc_u32 s7, s13, s17
	s_load_dword s8, s[6:7], 0x0
.LBB531_7:
	s_movk_i32 s6, 0x60
	v_cmp_gt_u32_e32 vcc, s6, v0
	s_and_saveexec_b64 s[6:7], vcc
	s_cbranch_execz .LBB531_9
; %bb.8:
	s_load_dword s11, s[4:5], 0x48
	s_load_dwordx2 s[12:13], s[4:5], 0x0
	v_lshrrev_b32_e32 v1, 4, v0
	s_mul_i32 s10, s10, 6
	v_add_lshl_u32 v2, v1, s10, 7
	s_waitcnt lgkmcnt(0)
	s_ashr_i32 s9, s11, 31
	s_mul_hi_u32 s14, s8, s11
	s_mul_i32 s9, s8, s9
	s_add_i32 s9, s14, s9
	s_mul_i32 s8, s8, s11
	s_lshl_b64 s[8:9], s[8:9], 1
	s_add_u32 s8, s12, s8
	v_ashrrev_i32_e32 v3, 31, v2
	s_addc_u32 s9, s13, s9
	v_lshlrev_b64 v[2:3], 1, v[2:3]
	v_and_b32_e32 v4, 15, v0
	v_mov_b32_e32 v5, s9
	v_add_co_u32_e32 v2, vcc, s8, v2
	v_addc_co_u32_e32 v3, vcc, v5, v3, vcc
	v_lshlrev_b32_e32 v4, 4, v4
	v_add_co_u32_e32 v2, vcc, v2, v4
	v_addc_co_u32_e32 v3, vcc, 0, v3, vcc
	global_load_dwordx4 v[2:5], v[2:3], off
	v_lshlrev_b32_e32 v6, 4, v0
	v_lshlrev_b32_e32 v0, 8, v0
	v_and_b32_e32 v6, 16, v6
	v_lshlrev_b32_e32 v1, 5, v1
	v_and_b32_e32 v0, 0xe00, v0
	v_or3_b32 v0, v0, v1, v6
	s_waitcnt vmcnt(0)
	ds_write_b128 v0, v[2:5]
.LBB531_9:
	s_or_b64 exec, exec, s[6:7]
	s_waitcnt lgkmcnt(0)
	s_add_u32 s8, s4, 0x90
	s_addc_u32 s9, s5, 0
	s_getpc_b64 s[4:5]
	s_add_u32 s4, s4, __PRETTY_FUNCTION__._Z39paged_attention_ll4mi_QKV_mfma16_kernelIDF16_hLN4vllm18Fp8KVCacheDataTypeE1EDF16_Li32ELi128ELi256ELb0ELi6EL8MFMAType1EEvPKT_PKT0_S8_ifPKiSA_SA_iPKfiiiPfSD_PS3_PT2_iSC_SC_@rel32@lo+4
	s_addc_u32 s5, s5, __PRETTY_FUNCTION__._Z39paged_attention_ll4mi_QKV_mfma16_kernelIDF16_hLN4vllm18Fp8KVCacheDataTypeE1EDF16_Li32ELi128ELi256ELb0ELi6EL8MFMAType1EEvPKT_PKT0_S8_ifPKiSA_SA_iPKfiiiPfSD_PS3_PT2_iSC_SC_@rel32@hi+12
	v_mov_b32_e32 v0, 0x288
	v_mov_b32_e32 v1, s4
	;; [unrolled: 1-line block ×3, first 2 shown]
	s_barrier
	s_getpc_b64 s[6:7]
	s_add_u32 s6, s6, __assert_fail@rel32@lo+4
	s_addc_u32 s7, s7, __assert_fail@rel32@hi+12
	s_swappc_b64 s[30:31], s[6:7]
	; divergent unreachable
.LBB531_10:
	s_endpgm
.LBB531_11:
	s_mov_b64 s[18:19], 0
	s_branch .LBB531_2
	.section	.rodata,"a",@progbits
	.p2align	6, 0x0
	.amdhsa_kernel _Z39paged_attention_ll4mi_QKV_mfma16_kernelIDF16_hLN4vllm18Fp8KVCacheDataTypeE1EDF16_Li32ELi128ELi256ELb0ELi6EL8MFMAType1EEvPKT_PKT0_S8_ifPKiSA_SA_iPKfiiiPfSD_PS3_PT2_iSC_SC_
		.amdhsa_group_segment_fixed_size 8192
		.amdhsa_private_segment_fixed_size 64
		.amdhsa_kernarg_size 400
		.amdhsa_user_sgpr_count 8
		.amdhsa_user_sgpr_private_segment_buffer 1
		.amdhsa_user_sgpr_dispatch_ptr 0
		.amdhsa_user_sgpr_queue_ptr 0
		.amdhsa_user_sgpr_kernarg_segment_ptr 1
		.amdhsa_user_sgpr_dispatch_id 0
		.amdhsa_user_sgpr_flat_scratch_init 1
		.amdhsa_user_sgpr_kernarg_preload_length 0
		.amdhsa_user_sgpr_kernarg_preload_offset 0
		.amdhsa_user_sgpr_private_segment_size 0
		.amdhsa_uses_dynamic_stack 0
		.amdhsa_system_sgpr_private_segment_wavefront_offset 1
		.amdhsa_system_sgpr_workgroup_id_x 1
		.amdhsa_system_sgpr_workgroup_id_y 1
		.amdhsa_system_sgpr_workgroup_id_z 1
		.amdhsa_system_sgpr_workgroup_info 0
		.amdhsa_system_vgpr_workitem_id 0
		.amdhsa_next_free_vgpr 45
		.amdhsa_next_free_sgpr 34
		.amdhsa_accum_offset 44
		.amdhsa_reserve_vcc 1
		.amdhsa_reserve_flat_scratch 1
		.amdhsa_float_round_mode_32 0
		.amdhsa_float_round_mode_16_64 0
		.amdhsa_float_denorm_mode_32 3
		.amdhsa_float_denorm_mode_16_64 3
		.amdhsa_dx10_clamp 1
		.amdhsa_ieee_mode 1
		.amdhsa_fp16_overflow 0
		.amdhsa_tg_split 0
		.amdhsa_exception_fp_ieee_invalid_op 0
		.amdhsa_exception_fp_denorm_src 0
		.amdhsa_exception_fp_ieee_div_zero 0
		.amdhsa_exception_fp_ieee_overflow 0
		.amdhsa_exception_fp_ieee_underflow 0
		.amdhsa_exception_fp_ieee_inexact 0
		.amdhsa_exception_int_div_zero 0
	.end_amdhsa_kernel
	.section	.text._Z39paged_attention_ll4mi_QKV_mfma16_kernelIDF16_hLN4vllm18Fp8KVCacheDataTypeE1EDF16_Li32ELi128ELi256ELb0ELi6EL8MFMAType1EEvPKT_PKT0_S8_ifPKiSA_SA_iPKfiiiPfSD_PS3_PT2_iSC_SC_,"axG",@progbits,_Z39paged_attention_ll4mi_QKV_mfma16_kernelIDF16_hLN4vllm18Fp8KVCacheDataTypeE1EDF16_Li32ELi128ELi256ELb0ELi6EL8MFMAType1EEvPKT_PKT0_S8_ifPKiSA_SA_iPKfiiiPfSD_PS3_PT2_iSC_SC_,comdat
.Lfunc_end531:
	.size	_Z39paged_attention_ll4mi_QKV_mfma16_kernelIDF16_hLN4vllm18Fp8KVCacheDataTypeE1EDF16_Li32ELi128ELi256ELb0ELi6EL8MFMAType1EEvPKT_PKT0_S8_ifPKiSA_SA_iPKfiiiPfSD_PS3_PT2_iSC_SC_, .Lfunc_end531-_Z39paged_attention_ll4mi_QKV_mfma16_kernelIDF16_hLN4vllm18Fp8KVCacheDataTypeE1EDF16_Li32ELi128ELi256ELb0ELi6EL8MFMAType1EEvPKT_PKT0_S8_ifPKiSA_SA_iPKfiiiPfSD_PS3_PT2_iSC_SC_
                                        ; -- End function
	.section	.AMDGPU.csdata,"",@progbits
; Kernel info:
; codeLenInByte = 492
; NumSgprs: 40
; NumVgprs: 42
; NumAgprs: 1
; TotalNumVgprs: 45
; ScratchSize: 64
; MemoryBound: 0
; FloatMode: 240
; IeeeMode: 1
; LDSByteSize: 8192 bytes/workgroup (compile time only)
; SGPRBlocks: 4
; VGPRBlocks: 5
; NumSGPRsForWavesPerEU: 40
; NumVGPRsForWavesPerEU: 45
; AccumOffset: 44
; Occupancy: 8
; WaveLimiterHint : 1
; COMPUTE_PGM_RSRC2:SCRATCH_EN: 1
; COMPUTE_PGM_RSRC2:USER_SGPR: 8
; COMPUTE_PGM_RSRC2:TRAP_HANDLER: 0
; COMPUTE_PGM_RSRC2:TGID_X_EN: 1
; COMPUTE_PGM_RSRC2:TGID_Y_EN: 1
; COMPUTE_PGM_RSRC2:TGID_Z_EN: 1
; COMPUTE_PGM_RSRC2:TIDIG_COMP_CNT: 0
; COMPUTE_PGM_RSRC3_GFX90A:ACCUM_OFFSET: 10
; COMPUTE_PGM_RSRC3_GFX90A:TG_SPLIT: 0
	.section	.text._Z39paged_attention_ll4mi_QKV_mfma16_kernelIDF16_hLN4vllm18Fp8KVCacheDataTypeE1EDF16_Li32ELi128ELi256ELb0ELi7EL8MFMAType1EEvPKT_PKT0_S8_ifPKiSA_SA_iPKfiiiPfSD_PS3_PT2_iSC_SC_,"axG",@progbits,_Z39paged_attention_ll4mi_QKV_mfma16_kernelIDF16_hLN4vllm18Fp8KVCacheDataTypeE1EDF16_Li32ELi128ELi256ELb0ELi7EL8MFMAType1EEvPKT_PKT0_S8_ifPKiSA_SA_iPKfiiiPfSD_PS3_PT2_iSC_SC_,comdat
	.protected	_Z39paged_attention_ll4mi_QKV_mfma16_kernelIDF16_hLN4vllm18Fp8KVCacheDataTypeE1EDF16_Li32ELi128ELi256ELb0ELi7EL8MFMAType1EEvPKT_PKT0_S8_ifPKiSA_SA_iPKfiiiPfSD_PS3_PT2_iSC_SC_ ; -- Begin function _Z39paged_attention_ll4mi_QKV_mfma16_kernelIDF16_hLN4vllm18Fp8KVCacheDataTypeE1EDF16_Li32ELi128ELi256ELb0ELi7EL8MFMAType1EEvPKT_PKT0_S8_ifPKiSA_SA_iPKfiiiPfSD_PS3_PT2_iSC_SC_
	.globl	_Z39paged_attention_ll4mi_QKV_mfma16_kernelIDF16_hLN4vllm18Fp8KVCacheDataTypeE1EDF16_Li32ELi128ELi256ELb0ELi7EL8MFMAType1EEvPKT_PKT0_S8_ifPKiSA_SA_iPKfiiiPfSD_PS3_PT2_iSC_SC_
	.p2align	8
	.type	_Z39paged_attention_ll4mi_QKV_mfma16_kernelIDF16_hLN4vllm18Fp8KVCacheDataTypeE1EDF16_Li32ELi128ELi256ELb0ELi7EL8MFMAType1EEvPKT_PKT0_S8_ifPKiSA_SA_iPKfiiiPfSD_PS3_PT2_iSC_SC_,@function
_Z39paged_attention_ll4mi_QKV_mfma16_kernelIDF16_hLN4vllm18Fp8KVCacheDataTypeE1EDF16_Li32ELi128ELi256ELb0ELi7EL8MFMAType1EEvPKT_PKT0_S8_ifPKiSA_SA_iPKfiiiPfSD_PS3_PT2_iSC_SC_: ; @_Z39paged_attention_ll4mi_QKV_mfma16_kernelIDF16_hLN4vllm18Fp8KVCacheDataTypeE1EDF16_Li32ELi128ELi256ELb0ELi7EL8MFMAType1EEvPKT_PKT0_S8_ifPKiSA_SA_iPKfiiiPfSD_PS3_PT2_iSC_SC_
; %bb.0:
	s_load_dwordx2 s[12:13], s[4:5], 0x30
	s_add_u32 flat_scratch_lo, s6, s11
	s_addc_u32 flat_scratch_hi, s7, 0
	s_add_u32 s0, s0, s11
	s_addc_u32 s1, s1, 0
	s_waitcnt lgkmcnt(0)
	s_cmp_lg_u64 s[12:13], 0
	s_cselect_b64 s[14:15], -1, 0
	s_mov_b32 s6, s9
	s_mov_b64 s[16:17], 0
	s_and_b64 vcc, exec, s[14:15]
	s_mov_b32 s32, 0
	s_cbranch_vccz .LBB532_11
; %bb.1:
	s_add_i32 s18, s8, 1
	s_mov_b32 s19, 0
	s_lshl_b64 s[20:21], s[18:19], 2
	s_add_u32 s20, s12, s20
	s_mov_b32 s9, s19
	s_addc_u32 s21, s13, s21
	s_lshl_b64 s[18:19], s[8:9], 2
	s_add_u32 s18, s12, s18
	s_addc_u32 s19, s13, s19
	s_load_dword s7, s[20:21], 0x0
	s_load_dword s11, s[18:19], 0x0
	s_waitcnt lgkmcnt(0)
	s_sub_i32 s7, s7, s11
	s_cmp_eq_u32 s7, 1
	s_cselect_b64 s[18:19], -1, 0
	s_andn2_b64 vcc, exec, s[16:17]
	s_cbranch_vccnz .LBB532_3
.LBB532_2:
	s_mov_b32 s9, 0
	s_mov_b64 s[18:19], -1
.LBB532_3:
	s_andn2_b64 vcc, exec, s[18:19]
	s_cbranch_vccnz .LBB532_10
; %bb.4:
	s_load_dwordx2 s[18:19], s[4:5], 0x28
	s_lshl_b64 s[16:17], s[8:9], 2
	s_waitcnt lgkmcnt(0)
	s_add_u32 s18, s18, s16
	s_addc_u32 s19, s19, s17
	s_load_dword s7, s[18:19], 0x0
	s_lshl_b32 s6, s6, 8
	s_waitcnt lgkmcnt(0)
	s_cmp_ge_i32 s6, s7
	s_cbranch_scc1 .LBB532_10
; %bb.5:
	s_andn2_b64 vcc, exec, s[14:15]
	s_cbranch_vccnz .LBB532_7
; %bb.6:
	s_add_u32 s6, s12, s16
	s_addc_u32 s7, s13, s17
	s_load_dword s8, s[6:7], 0x0
.LBB532_7:
	s_movk_i32 s6, 0x70
	v_cmp_gt_u32_e32 vcc, s6, v0
	s_and_saveexec_b64 s[6:7], vcc
	s_cbranch_execz .LBB532_9
; %bb.8:
	s_load_dword s11, s[4:5], 0x48
	s_load_dwordx2 s[12:13], s[4:5], 0x0
	v_lshrrev_b32_e32 v1, 4, v0
	s_mul_i32 s10, s10, 7
	v_add_lshl_u32 v2, v1, s10, 7
	s_waitcnt lgkmcnt(0)
	s_ashr_i32 s9, s11, 31
	s_mul_hi_u32 s14, s8, s11
	s_mul_i32 s9, s8, s9
	s_add_i32 s9, s14, s9
	s_mul_i32 s8, s8, s11
	s_lshl_b64 s[8:9], s[8:9], 1
	s_add_u32 s8, s12, s8
	v_ashrrev_i32_e32 v3, 31, v2
	s_addc_u32 s9, s13, s9
	v_lshlrev_b64 v[2:3], 1, v[2:3]
	v_and_b32_e32 v4, 15, v0
	v_mov_b32_e32 v5, s9
	v_add_co_u32_e32 v2, vcc, s8, v2
	v_addc_co_u32_e32 v3, vcc, v5, v3, vcc
	v_lshlrev_b32_e32 v4, 4, v4
	v_add_co_u32_e32 v2, vcc, v2, v4
	v_addc_co_u32_e32 v3, vcc, 0, v3, vcc
	global_load_dwordx4 v[2:5], v[2:3], off
	v_lshlrev_b32_e32 v6, 4, v0
	v_lshlrev_b32_e32 v0, 8, v0
	v_and_b32_e32 v6, 16, v6
	v_lshlrev_b32_e32 v1, 5, v1
	v_and_b32_e32 v0, 0xe00, v0
	v_or3_b32 v0, v0, v1, v6
	s_waitcnt vmcnt(0)
	ds_write_b128 v0, v[2:5]
.LBB532_9:
	s_or_b64 exec, exec, s[6:7]
	s_waitcnt lgkmcnt(0)
	s_add_u32 s8, s4, 0x90
	s_addc_u32 s9, s5, 0
	s_getpc_b64 s[4:5]
	s_add_u32 s4, s4, __PRETTY_FUNCTION__._Z39paged_attention_ll4mi_QKV_mfma16_kernelIDF16_hLN4vllm18Fp8KVCacheDataTypeE1EDF16_Li32ELi128ELi256ELb0ELi7EL8MFMAType1EEvPKT_PKT0_S8_ifPKiSA_SA_iPKfiiiPfSD_PS3_PT2_iSC_SC_@rel32@lo+4
	s_addc_u32 s5, s5, __PRETTY_FUNCTION__._Z39paged_attention_ll4mi_QKV_mfma16_kernelIDF16_hLN4vllm18Fp8KVCacheDataTypeE1EDF16_Li32ELi128ELi256ELb0ELi7EL8MFMAType1EEvPKT_PKT0_S8_ifPKiSA_SA_iPKfiiiPfSD_PS3_PT2_iSC_SC_@rel32@hi+12
	v_mov_b32_e32 v0, 0x288
	v_mov_b32_e32 v1, s4
	v_mov_b32_e32 v2, s5
	s_barrier
	s_getpc_b64 s[6:7]
	s_add_u32 s6, s6, __assert_fail@rel32@lo+4
	s_addc_u32 s7, s7, __assert_fail@rel32@hi+12
	s_swappc_b64 s[30:31], s[6:7]
	; divergent unreachable
.LBB532_10:
	s_endpgm
.LBB532_11:
	s_mov_b64 s[18:19], 0
	s_branch .LBB532_2
	.section	.rodata,"a",@progbits
	.p2align	6, 0x0
	.amdhsa_kernel _Z39paged_attention_ll4mi_QKV_mfma16_kernelIDF16_hLN4vllm18Fp8KVCacheDataTypeE1EDF16_Li32ELi128ELi256ELb0ELi7EL8MFMAType1EEvPKT_PKT0_S8_ifPKiSA_SA_iPKfiiiPfSD_PS3_PT2_iSC_SC_
		.amdhsa_group_segment_fixed_size 8192
		.amdhsa_private_segment_fixed_size 64
		.amdhsa_kernarg_size 400
		.amdhsa_user_sgpr_count 8
		.amdhsa_user_sgpr_private_segment_buffer 1
		.amdhsa_user_sgpr_dispatch_ptr 0
		.amdhsa_user_sgpr_queue_ptr 0
		.amdhsa_user_sgpr_kernarg_segment_ptr 1
		.amdhsa_user_sgpr_dispatch_id 0
		.amdhsa_user_sgpr_flat_scratch_init 1
		.amdhsa_user_sgpr_kernarg_preload_length 0
		.amdhsa_user_sgpr_kernarg_preload_offset 0
		.amdhsa_user_sgpr_private_segment_size 0
		.amdhsa_uses_dynamic_stack 0
		.amdhsa_system_sgpr_private_segment_wavefront_offset 1
		.amdhsa_system_sgpr_workgroup_id_x 1
		.amdhsa_system_sgpr_workgroup_id_y 1
		.amdhsa_system_sgpr_workgroup_id_z 1
		.amdhsa_system_sgpr_workgroup_info 0
		.amdhsa_system_vgpr_workitem_id 0
		.amdhsa_next_free_vgpr 45
		.amdhsa_next_free_sgpr 34
		.amdhsa_accum_offset 44
		.amdhsa_reserve_vcc 1
		.amdhsa_reserve_flat_scratch 1
		.amdhsa_float_round_mode_32 0
		.amdhsa_float_round_mode_16_64 0
		.amdhsa_float_denorm_mode_32 3
		.amdhsa_float_denorm_mode_16_64 3
		.amdhsa_dx10_clamp 1
		.amdhsa_ieee_mode 1
		.amdhsa_fp16_overflow 0
		.amdhsa_tg_split 0
		.amdhsa_exception_fp_ieee_invalid_op 0
		.amdhsa_exception_fp_denorm_src 0
		.amdhsa_exception_fp_ieee_div_zero 0
		.amdhsa_exception_fp_ieee_overflow 0
		.amdhsa_exception_fp_ieee_underflow 0
		.amdhsa_exception_fp_ieee_inexact 0
		.amdhsa_exception_int_div_zero 0
	.end_amdhsa_kernel
	.section	.text._Z39paged_attention_ll4mi_QKV_mfma16_kernelIDF16_hLN4vllm18Fp8KVCacheDataTypeE1EDF16_Li32ELi128ELi256ELb0ELi7EL8MFMAType1EEvPKT_PKT0_S8_ifPKiSA_SA_iPKfiiiPfSD_PS3_PT2_iSC_SC_,"axG",@progbits,_Z39paged_attention_ll4mi_QKV_mfma16_kernelIDF16_hLN4vllm18Fp8KVCacheDataTypeE1EDF16_Li32ELi128ELi256ELb0ELi7EL8MFMAType1EEvPKT_PKT0_S8_ifPKiSA_SA_iPKfiiiPfSD_PS3_PT2_iSC_SC_,comdat
.Lfunc_end532:
	.size	_Z39paged_attention_ll4mi_QKV_mfma16_kernelIDF16_hLN4vllm18Fp8KVCacheDataTypeE1EDF16_Li32ELi128ELi256ELb0ELi7EL8MFMAType1EEvPKT_PKT0_S8_ifPKiSA_SA_iPKfiiiPfSD_PS3_PT2_iSC_SC_, .Lfunc_end532-_Z39paged_attention_ll4mi_QKV_mfma16_kernelIDF16_hLN4vllm18Fp8KVCacheDataTypeE1EDF16_Li32ELi128ELi256ELb0ELi7EL8MFMAType1EEvPKT_PKT0_S8_ifPKiSA_SA_iPKfiiiPfSD_PS3_PT2_iSC_SC_
                                        ; -- End function
	.section	.AMDGPU.csdata,"",@progbits
; Kernel info:
; codeLenInByte = 492
; NumSgprs: 40
; NumVgprs: 42
; NumAgprs: 1
; TotalNumVgprs: 45
; ScratchSize: 64
; MemoryBound: 0
; FloatMode: 240
; IeeeMode: 1
; LDSByteSize: 8192 bytes/workgroup (compile time only)
; SGPRBlocks: 4
; VGPRBlocks: 5
; NumSGPRsForWavesPerEU: 40
; NumVGPRsForWavesPerEU: 45
; AccumOffset: 44
; Occupancy: 8
; WaveLimiterHint : 1
; COMPUTE_PGM_RSRC2:SCRATCH_EN: 1
; COMPUTE_PGM_RSRC2:USER_SGPR: 8
; COMPUTE_PGM_RSRC2:TRAP_HANDLER: 0
; COMPUTE_PGM_RSRC2:TGID_X_EN: 1
; COMPUTE_PGM_RSRC2:TGID_Y_EN: 1
; COMPUTE_PGM_RSRC2:TGID_Z_EN: 1
; COMPUTE_PGM_RSRC2:TIDIG_COMP_CNT: 0
; COMPUTE_PGM_RSRC3_GFX90A:ACCUM_OFFSET: 10
; COMPUTE_PGM_RSRC3_GFX90A:TG_SPLIT: 0
	.section	.text._Z39paged_attention_ll4mi_QKV_mfma16_kernelIDF16_hLN4vllm18Fp8KVCacheDataTypeE1EDF16_Li32ELi128ELi256ELb0ELi8EL8MFMAType1EEvPKT_PKT0_S8_ifPKiSA_SA_iPKfiiiPfSD_PS3_PT2_iSC_SC_,"axG",@progbits,_Z39paged_attention_ll4mi_QKV_mfma16_kernelIDF16_hLN4vllm18Fp8KVCacheDataTypeE1EDF16_Li32ELi128ELi256ELb0ELi8EL8MFMAType1EEvPKT_PKT0_S8_ifPKiSA_SA_iPKfiiiPfSD_PS3_PT2_iSC_SC_,comdat
	.protected	_Z39paged_attention_ll4mi_QKV_mfma16_kernelIDF16_hLN4vllm18Fp8KVCacheDataTypeE1EDF16_Li32ELi128ELi256ELb0ELi8EL8MFMAType1EEvPKT_PKT0_S8_ifPKiSA_SA_iPKfiiiPfSD_PS3_PT2_iSC_SC_ ; -- Begin function _Z39paged_attention_ll4mi_QKV_mfma16_kernelIDF16_hLN4vllm18Fp8KVCacheDataTypeE1EDF16_Li32ELi128ELi256ELb0ELi8EL8MFMAType1EEvPKT_PKT0_S8_ifPKiSA_SA_iPKfiiiPfSD_PS3_PT2_iSC_SC_
	.globl	_Z39paged_attention_ll4mi_QKV_mfma16_kernelIDF16_hLN4vllm18Fp8KVCacheDataTypeE1EDF16_Li32ELi128ELi256ELb0ELi8EL8MFMAType1EEvPKT_PKT0_S8_ifPKiSA_SA_iPKfiiiPfSD_PS3_PT2_iSC_SC_
	.p2align	8
	.type	_Z39paged_attention_ll4mi_QKV_mfma16_kernelIDF16_hLN4vllm18Fp8KVCacheDataTypeE1EDF16_Li32ELi128ELi256ELb0ELi8EL8MFMAType1EEvPKT_PKT0_S8_ifPKiSA_SA_iPKfiiiPfSD_PS3_PT2_iSC_SC_,@function
_Z39paged_attention_ll4mi_QKV_mfma16_kernelIDF16_hLN4vllm18Fp8KVCacheDataTypeE1EDF16_Li32ELi128ELi256ELb0ELi8EL8MFMAType1EEvPKT_PKT0_S8_ifPKiSA_SA_iPKfiiiPfSD_PS3_PT2_iSC_SC_: ; @_Z39paged_attention_ll4mi_QKV_mfma16_kernelIDF16_hLN4vllm18Fp8KVCacheDataTypeE1EDF16_Li32ELi128ELi256ELb0ELi8EL8MFMAType1EEvPKT_PKT0_S8_ifPKiSA_SA_iPKfiiiPfSD_PS3_PT2_iSC_SC_
; %bb.0:
	s_load_dwordx2 s[12:13], s[4:5], 0x30
	s_add_u32 flat_scratch_lo, s6, s11
	s_addc_u32 flat_scratch_hi, s7, 0
	s_add_u32 s0, s0, s11
	s_addc_u32 s1, s1, 0
	s_waitcnt lgkmcnt(0)
	s_cmp_lg_u64 s[12:13], 0
	s_cselect_b64 s[14:15], -1, 0
	s_mov_b32 s6, s9
	s_mov_b64 s[16:17], 0
	s_and_b64 vcc, exec, s[14:15]
	s_mov_b32 s32, 0
	s_cbranch_vccz .LBB533_11
; %bb.1:
	s_add_i32 s18, s8, 1
	s_mov_b32 s19, 0
	s_lshl_b64 s[20:21], s[18:19], 2
	s_add_u32 s20, s12, s20
	s_mov_b32 s9, s19
	s_addc_u32 s21, s13, s21
	s_lshl_b64 s[18:19], s[8:9], 2
	s_add_u32 s18, s12, s18
	s_addc_u32 s19, s13, s19
	s_load_dword s7, s[20:21], 0x0
	s_load_dword s11, s[18:19], 0x0
	s_waitcnt lgkmcnt(0)
	s_sub_i32 s7, s7, s11
	s_cmp_eq_u32 s7, 1
	s_cselect_b64 s[18:19], -1, 0
	s_andn2_b64 vcc, exec, s[16:17]
	s_cbranch_vccnz .LBB533_3
.LBB533_2:
	s_mov_b32 s9, 0
	s_mov_b64 s[18:19], -1
.LBB533_3:
	s_andn2_b64 vcc, exec, s[18:19]
	s_cbranch_vccnz .LBB533_10
; %bb.4:
	s_load_dwordx2 s[18:19], s[4:5], 0x28
	s_lshl_b64 s[16:17], s[8:9], 2
	s_waitcnt lgkmcnt(0)
	s_add_u32 s18, s18, s16
	s_addc_u32 s19, s19, s17
	s_load_dword s7, s[18:19], 0x0
	s_lshl_b32 s6, s6, 8
	s_waitcnt lgkmcnt(0)
	s_cmp_ge_i32 s6, s7
	s_cbranch_scc1 .LBB533_10
; %bb.5:
	s_andn2_b64 vcc, exec, s[14:15]
	s_cbranch_vccnz .LBB533_7
; %bb.6:
	s_add_u32 s6, s12, s16
	s_addc_u32 s7, s13, s17
	s_load_dword s8, s[6:7], 0x0
.LBB533_7:
	s_movk_i32 s6, 0x80
	v_cmp_gt_u32_e32 vcc, s6, v0
	s_and_saveexec_b64 s[6:7], vcc
	s_cbranch_execz .LBB533_9
; %bb.8:
	s_load_dword s11, s[4:5], 0x48
	s_load_dwordx2 s[12:13], s[4:5], 0x0
	v_lshrrev_b32_e32 v6, 4, v0
	v_and_b32_e32 v1, 15, v0
	v_lshlrev_b32_e32 v1, 4, v1
	s_waitcnt lgkmcnt(0)
	s_ashr_i32 s9, s11, 31
	s_mul_hi_u32 s14, s8, s11
	s_mul_i32 s9, s8, s9
	s_add_i32 s9, s14, s9
	s_mul_i32 s8, s8, s11
	s_lshl_b64 s[8:9], s[8:9], 1
	s_add_u32 s8, s12, s8
	s_addc_u32 s9, s13, s9
	s_lshl_b32 s10, s10, 10
	v_lshl_or_b32 v2, v6, 7, s10
	v_ashrrev_i32_e32 v3, 31, v2
	v_lshlrev_b64 v[2:3], 1, v[2:3]
	v_mov_b32_e32 v4, s9
	v_add_co_u32_e32 v2, vcc, s8, v2
	v_addc_co_u32_e32 v3, vcc, v4, v3, vcc
	v_add_co_u32_e32 v2, vcc, v2, v1
	v_addc_co_u32_e32 v3, vcc, 0, v3, vcc
	global_load_dwordx4 v[2:5], v[2:3], off
	v_lshlrev_b32_e32 v1, 4, v0
	v_lshlrev_b32_e32 v0, 8, v0
	v_and_b32_e32 v1, 16, v1
	v_lshlrev_b32_e32 v6, 5, v6
	v_and_b32_e32 v0, 0xe00, v0
	v_or3_b32 v0, v0, v6, v1
	s_waitcnt vmcnt(0)
	ds_write_b128 v0, v[2:5]
.LBB533_9:
	s_or_b64 exec, exec, s[6:7]
	s_waitcnt lgkmcnt(0)
	s_add_u32 s8, s4, 0x90
	s_addc_u32 s9, s5, 0
	s_getpc_b64 s[4:5]
	s_add_u32 s4, s4, __PRETTY_FUNCTION__._Z39paged_attention_ll4mi_QKV_mfma16_kernelIDF16_hLN4vllm18Fp8KVCacheDataTypeE1EDF16_Li32ELi128ELi256ELb0ELi8EL8MFMAType1EEvPKT_PKT0_S8_ifPKiSA_SA_iPKfiiiPfSD_PS3_PT2_iSC_SC_@rel32@lo+4
	s_addc_u32 s5, s5, __PRETTY_FUNCTION__._Z39paged_attention_ll4mi_QKV_mfma16_kernelIDF16_hLN4vllm18Fp8KVCacheDataTypeE1EDF16_Li32ELi128ELi256ELb0ELi8EL8MFMAType1EEvPKT_PKT0_S8_ifPKiSA_SA_iPKfiiiPfSD_PS3_PT2_iSC_SC_@rel32@hi+12
	v_mov_b32_e32 v0, 0x288
	v_mov_b32_e32 v1, s4
	;; [unrolled: 1-line block ×3, first 2 shown]
	s_barrier
	s_getpc_b64 s[6:7]
	s_add_u32 s6, s6, __assert_fail@rel32@lo+4
	s_addc_u32 s7, s7, __assert_fail@rel32@hi+12
	s_swappc_b64 s[30:31], s[6:7]
	; divergent unreachable
.LBB533_10:
	s_endpgm
.LBB533_11:
	s_mov_b64 s[18:19], 0
	s_branch .LBB533_2
	.section	.rodata,"a",@progbits
	.p2align	6, 0x0
	.amdhsa_kernel _Z39paged_attention_ll4mi_QKV_mfma16_kernelIDF16_hLN4vllm18Fp8KVCacheDataTypeE1EDF16_Li32ELi128ELi256ELb0ELi8EL8MFMAType1EEvPKT_PKT0_S8_ifPKiSA_SA_iPKfiiiPfSD_PS3_PT2_iSC_SC_
		.amdhsa_group_segment_fixed_size 8192
		.amdhsa_private_segment_fixed_size 64
		.amdhsa_kernarg_size 400
		.amdhsa_user_sgpr_count 8
		.amdhsa_user_sgpr_private_segment_buffer 1
		.amdhsa_user_sgpr_dispatch_ptr 0
		.amdhsa_user_sgpr_queue_ptr 0
		.amdhsa_user_sgpr_kernarg_segment_ptr 1
		.amdhsa_user_sgpr_dispatch_id 0
		.amdhsa_user_sgpr_flat_scratch_init 1
		.amdhsa_user_sgpr_kernarg_preload_length 0
		.amdhsa_user_sgpr_kernarg_preload_offset 0
		.amdhsa_user_sgpr_private_segment_size 0
		.amdhsa_uses_dynamic_stack 0
		.amdhsa_system_sgpr_private_segment_wavefront_offset 1
		.amdhsa_system_sgpr_workgroup_id_x 1
		.amdhsa_system_sgpr_workgroup_id_y 1
		.amdhsa_system_sgpr_workgroup_id_z 1
		.amdhsa_system_sgpr_workgroup_info 0
		.amdhsa_system_vgpr_workitem_id 0
		.amdhsa_next_free_vgpr 45
		.amdhsa_next_free_sgpr 34
		.amdhsa_accum_offset 44
		.amdhsa_reserve_vcc 1
		.amdhsa_reserve_flat_scratch 1
		.amdhsa_float_round_mode_32 0
		.amdhsa_float_round_mode_16_64 0
		.amdhsa_float_denorm_mode_32 3
		.amdhsa_float_denorm_mode_16_64 3
		.amdhsa_dx10_clamp 1
		.amdhsa_ieee_mode 1
		.amdhsa_fp16_overflow 0
		.amdhsa_tg_split 0
		.amdhsa_exception_fp_ieee_invalid_op 0
		.amdhsa_exception_fp_denorm_src 0
		.amdhsa_exception_fp_ieee_div_zero 0
		.amdhsa_exception_fp_ieee_overflow 0
		.amdhsa_exception_fp_ieee_underflow 0
		.amdhsa_exception_fp_ieee_inexact 0
		.amdhsa_exception_int_div_zero 0
	.end_amdhsa_kernel
	.section	.text._Z39paged_attention_ll4mi_QKV_mfma16_kernelIDF16_hLN4vllm18Fp8KVCacheDataTypeE1EDF16_Li32ELi128ELi256ELb0ELi8EL8MFMAType1EEvPKT_PKT0_S8_ifPKiSA_SA_iPKfiiiPfSD_PS3_PT2_iSC_SC_,"axG",@progbits,_Z39paged_attention_ll4mi_QKV_mfma16_kernelIDF16_hLN4vllm18Fp8KVCacheDataTypeE1EDF16_Li32ELi128ELi256ELb0ELi8EL8MFMAType1EEvPKT_PKT0_S8_ifPKiSA_SA_iPKfiiiPfSD_PS3_PT2_iSC_SC_,comdat
.Lfunc_end533:
	.size	_Z39paged_attention_ll4mi_QKV_mfma16_kernelIDF16_hLN4vllm18Fp8KVCacheDataTypeE1EDF16_Li32ELi128ELi256ELb0ELi8EL8MFMAType1EEvPKT_PKT0_S8_ifPKiSA_SA_iPKfiiiPfSD_PS3_PT2_iSC_SC_, .Lfunc_end533-_Z39paged_attention_ll4mi_QKV_mfma16_kernelIDF16_hLN4vllm18Fp8KVCacheDataTypeE1EDF16_Li32ELi128ELi256ELb0ELi8EL8MFMAType1EEvPKT_PKT0_S8_ifPKiSA_SA_iPKfiiiPfSD_PS3_PT2_iSC_SC_
                                        ; -- End function
	.section	.AMDGPU.csdata,"",@progbits
; Kernel info:
; codeLenInByte = 492
; NumSgprs: 40
; NumVgprs: 42
; NumAgprs: 1
; TotalNumVgprs: 45
; ScratchSize: 64
; MemoryBound: 0
; FloatMode: 240
; IeeeMode: 1
; LDSByteSize: 8192 bytes/workgroup (compile time only)
; SGPRBlocks: 4
; VGPRBlocks: 5
; NumSGPRsForWavesPerEU: 40
; NumVGPRsForWavesPerEU: 45
; AccumOffset: 44
; Occupancy: 8
; WaveLimiterHint : 1
; COMPUTE_PGM_RSRC2:SCRATCH_EN: 1
; COMPUTE_PGM_RSRC2:USER_SGPR: 8
; COMPUTE_PGM_RSRC2:TRAP_HANDLER: 0
; COMPUTE_PGM_RSRC2:TGID_X_EN: 1
; COMPUTE_PGM_RSRC2:TGID_Y_EN: 1
; COMPUTE_PGM_RSRC2:TGID_Z_EN: 1
; COMPUTE_PGM_RSRC2:TIDIG_COMP_CNT: 0
; COMPUTE_PGM_RSRC3_GFX90A:ACCUM_OFFSET: 10
; COMPUTE_PGM_RSRC3_GFX90A:TG_SPLIT: 0
	.section	.text._Z39paged_attention_ll4mi_QKV_mfma16_kernelIDF16_hLN4vllm18Fp8KVCacheDataTypeE1EDF16_Li32ELi128ELi256ELb0ELi9EL8MFMAType1EEvPKT_PKT0_S8_ifPKiSA_SA_iPKfiiiPfSD_PS3_PT2_iSC_SC_,"axG",@progbits,_Z39paged_attention_ll4mi_QKV_mfma16_kernelIDF16_hLN4vllm18Fp8KVCacheDataTypeE1EDF16_Li32ELi128ELi256ELb0ELi9EL8MFMAType1EEvPKT_PKT0_S8_ifPKiSA_SA_iPKfiiiPfSD_PS3_PT2_iSC_SC_,comdat
	.protected	_Z39paged_attention_ll4mi_QKV_mfma16_kernelIDF16_hLN4vllm18Fp8KVCacheDataTypeE1EDF16_Li32ELi128ELi256ELb0ELi9EL8MFMAType1EEvPKT_PKT0_S8_ifPKiSA_SA_iPKfiiiPfSD_PS3_PT2_iSC_SC_ ; -- Begin function _Z39paged_attention_ll4mi_QKV_mfma16_kernelIDF16_hLN4vllm18Fp8KVCacheDataTypeE1EDF16_Li32ELi128ELi256ELb0ELi9EL8MFMAType1EEvPKT_PKT0_S8_ifPKiSA_SA_iPKfiiiPfSD_PS3_PT2_iSC_SC_
	.globl	_Z39paged_attention_ll4mi_QKV_mfma16_kernelIDF16_hLN4vllm18Fp8KVCacheDataTypeE1EDF16_Li32ELi128ELi256ELb0ELi9EL8MFMAType1EEvPKT_PKT0_S8_ifPKiSA_SA_iPKfiiiPfSD_PS3_PT2_iSC_SC_
	.p2align	8
	.type	_Z39paged_attention_ll4mi_QKV_mfma16_kernelIDF16_hLN4vllm18Fp8KVCacheDataTypeE1EDF16_Li32ELi128ELi256ELb0ELi9EL8MFMAType1EEvPKT_PKT0_S8_ifPKiSA_SA_iPKfiiiPfSD_PS3_PT2_iSC_SC_,@function
_Z39paged_attention_ll4mi_QKV_mfma16_kernelIDF16_hLN4vllm18Fp8KVCacheDataTypeE1EDF16_Li32ELi128ELi256ELb0ELi9EL8MFMAType1EEvPKT_PKT0_S8_ifPKiSA_SA_iPKfiiiPfSD_PS3_PT2_iSC_SC_: ; @_Z39paged_attention_ll4mi_QKV_mfma16_kernelIDF16_hLN4vllm18Fp8KVCacheDataTypeE1EDF16_Li32ELi128ELi256ELb0ELi9EL8MFMAType1EEvPKT_PKT0_S8_ifPKiSA_SA_iPKfiiiPfSD_PS3_PT2_iSC_SC_
; %bb.0:
	s_load_dwordx2 s[12:13], s[4:5], 0x30
	s_add_u32 flat_scratch_lo, s6, s11
	s_addc_u32 flat_scratch_hi, s7, 0
	s_add_u32 s0, s0, s11
	s_addc_u32 s1, s1, 0
	s_waitcnt lgkmcnt(0)
	s_cmp_lg_u64 s[12:13], 0
	s_cselect_b64 s[14:15], -1, 0
	s_mov_b32 s6, s9
	s_mov_b64 s[16:17], 0
	s_and_b64 vcc, exec, s[14:15]
	s_mov_b32 s32, 0
	s_cbranch_vccz .LBB534_11
; %bb.1:
	s_add_i32 s18, s8, 1
	s_mov_b32 s19, 0
	s_lshl_b64 s[20:21], s[18:19], 2
	s_add_u32 s20, s12, s20
	s_mov_b32 s9, s19
	s_addc_u32 s21, s13, s21
	s_lshl_b64 s[18:19], s[8:9], 2
	s_add_u32 s18, s12, s18
	s_addc_u32 s19, s13, s19
	s_load_dword s7, s[20:21], 0x0
	s_load_dword s11, s[18:19], 0x0
	s_waitcnt lgkmcnt(0)
	s_sub_i32 s7, s7, s11
	s_cmp_eq_u32 s7, 1
	s_cselect_b64 s[18:19], -1, 0
	s_andn2_b64 vcc, exec, s[16:17]
	s_cbranch_vccnz .LBB534_3
.LBB534_2:
	s_mov_b32 s9, 0
	s_mov_b64 s[18:19], -1
.LBB534_3:
	s_andn2_b64 vcc, exec, s[18:19]
	s_cbranch_vccnz .LBB534_10
; %bb.4:
	s_load_dwordx2 s[18:19], s[4:5], 0x28
	s_lshl_b64 s[16:17], s[8:9], 2
	s_waitcnt lgkmcnt(0)
	s_add_u32 s18, s18, s16
	s_addc_u32 s19, s19, s17
	s_load_dword s7, s[18:19], 0x0
	s_lshl_b32 s6, s6, 8
	s_waitcnt lgkmcnt(0)
	s_cmp_ge_i32 s6, s7
	s_cbranch_scc1 .LBB534_10
; %bb.5:
	s_andn2_b64 vcc, exec, s[14:15]
	s_cbranch_vccnz .LBB534_7
; %bb.6:
	s_add_u32 s6, s12, s16
	s_addc_u32 s7, s13, s17
	s_load_dword s8, s[6:7], 0x0
.LBB534_7:
	s_movk_i32 s6, 0x90
	v_cmp_gt_u32_e32 vcc, s6, v0
	s_and_saveexec_b64 s[6:7], vcc
	s_cbranch_execz .LBB534_9
; %bb.8:
	s_load_dword s11, s[4:5], 0x48
	s_load_dwordx2 s[12:13], s[4:5], 0x0
	v_lshrrev_b32_e32 v1, 4, v0
	s_mul_i32 s10, s10, 9
	v_add_lshl_u32 v2, v1, s10, 7
	s_waitcnt lgkmcnt(0)
	s_ashr_i32 s9, s11, 31
	s_mul_hi_u32 s14, s8, s11
	s_mul_i32 s9, s8, s9
	s_add_i32 s9, s14, s9
	s_mul_i32 s8, s8, s11
	s_lshl_b64 s[8:9], s[8:9], 1
	s_add_u32 s8, s12, s8
	v_ashrrev_i32_e32 v3, 31, v2
	s_addc_u32 s9, s13, s9
	v_lshlrev_b64 v[2:3], 1, v[2:3]
	v_and_b32_e32 v4, 15, v0
	v_mov_b32_e32 v5, s9
	v_add_co_u32_e32 v2, vcc, s8, v2
	v_addc_co_u32_e32 v3, vcc, v5, v3, vcc
	v_lshlrev_b32_e32 v4, 4, v4
	v_add_co_u32_e32 v2, vcc, v2, v4
	v_addc_co_u32_e32 v3, vcc, 0, v3, vcc
	global_load_dwordx4 v[2:5], v[2:3], off
	v_lshlrev_b32_e32 v6, 4, v0
	v_lshlrev_b32_e32 v0, 8, v0
	v_and_b32_e32 v6, 16, v6
	v_lshlrev_b32_e32 v1, 5, v1
	v_and_b32_e32 v0, 0xe00, v0
	v_or3_b32 v0, v0, v1, v6
	s_waitcnt vmcnt(0)
	ds_write_b128 v0, v[2:5]
.LBB534_9:
	s_or_b64 exec, exec, s[6:7]
	s_waitcnt lgkmcnt(0)
	s_add_u32 s8, s4, 0x90
	s_addc_u32 s9, s5, 0
	s_getpc_b64 s[4:5]
	s_add_u32 s4, s4, __PRETTY_FUNCTION__._Z39paged_attention_ll4mi_QKV_mfma16_kernelIDF16_hLN4vllm18Fp8KVCacheDataTypeE1EDF16_Li32ELi128ELi256ELb0ELi9EL8MFMAType1EEvPKT_PKT0_S8_ifPKiSA_SA_iPKfiiiPfSD_PS3_PT2_iSC_SC_@rel32@lo+4
	s_addc_u32 s5, s5, __PRETTY_FUNCTION__._Z39paged_attention_ll4mi_QKV_mfma16_kernelIDF16_hLN4vllm18Fp8KVCacheDataTypeE1EDF16_Li32ELi128ELi256ELb0ELi9EL8MFMAType1EEvPKT_PKT0_S8_ifPKiSA_SA_iPKfiiiPfSD_PS3_PT2_iSC_SC_@rel32@hi+12
	v_mov_b32_e32 v0, 0x288
	v_mov_b32_e32 v1, s4
	;; [unrolled: 1-line block ×3, first 2 shown]
	s_barrier
	s_getpc_b64 s[6:7]
	s_add_u32 s6, s6, __assert_fail@rel32@lo+4
	s_addc_u32 s7, s7, __assert_fail@rel32@hi+12
	s_swappc_b64 s[30:31], s[6:7]
	; divergent unreachable
.LBB534_10:
	s_endpgm
.LBB534_11:
	s_mov_b64 s[18:19], 0
	s_branch .LBB534_2
	.section	.rodata,"a",@progbits
	.p2align	6, 0x0
	.amdhsa_kernel _Z39paged_attention_ll4mi_QKV_mfma16_kernelIDF16_hLN4vllm18Fp8KVCacheDataTypeE1EDF16_Li32ELi128ELi256ELb0ELi9EL8MFMAType1EEvPKT_PKT0_S8_ifPKiSA_SA_iPKfiiiPfSD_PS3_PT2_iSC_SC_
		.amdhsa_group_segment_fixed_size 8192
		.amdhsa_private_segment_fixed_size 64
		.amdhsa_kernarg_size 400
		.amdhsa_user_sgpr_count 8
		.amdhsa_user_sgpr_private_segment_buffer 1
		.amdhsa_user_sgpr_dispatch_ptr 0
		.amdhsa_user_sgpr_queue_ptr 0
		.amdhsa_user_sgpr_kernarg_segment_ptr 1
		.amdhsa_user_sgpr_dispatch_id 0
		.amdhsa_user_sgpr_flat_scratch_init 1
		.amdhsa_user_sgpr_kernarg_preload_length 0
		.amdhsa_user_sgpr_kernarg_preload_offset 0
		.amdhsa_user_sgpr_private_segment_size 0
		.amdhsa_uses_dynamic_stack 0
		.amdhsa_system_sgpr_private_segment_wavefront_offset 1
		.amdhsa_system_sgpr_workgroup_id_x 1
		.amdhsa_system_sgpr_workgroup_id_y 1
		.amdhsa_system_sgpr_workgroup_id_z 1
		.amdhsa_system_sgpr_workgroup_info 0
		.amdhsa_system_vgpr_workitem_id 0
		.amdhsa_next_free_vgpr 45
		.amdhsa_next_free_sgpr 34
		.amdhsa_accum_offset 44
		.amdhsa_reserve_vcc 1
		.amdhsa_reserve_flat_scratch 1
		.amdhsa_float_round_mode_32 0
		.amdhsa_float_round_mode_16_64 0
		.amdhsa_float_denorm_mode_32 3
		.amdhsa_float_denorm_mode_16_64 3
		.amdhsa_dx10_clamp 1
		.amdhsa_ieee_mode 1
		.amdhsa_fp16_overflow 0
		.amdhsa_tg_split 0
		.amdhsa_exception_fp_ieee_invalid_op 0
		.amdhsa_exception_fp_denorm_src 0
		.amdhsa_exception_fp_ieee_div_zero 0
		.amdhsa_exception_fp_ieee_overflow 0
		.amdhsa_exception_fp_ieee_underflow 0
		.amdhsa_exception_fp_ieee_inexact 0
		.amdhsa_exception_int_div_zero 0
	.end_amdhsa_kernel
	.section	.text._Z39paged_attention_ll4mi_QKV_mfma16_kernelIDF16_hLN4vllm18Fp8KVCacheDataTypeE1EDF16_Li32ELi128ELi256ELb0ELi9EL8MFMAType1EEvPKT_PKT0_S8_ifPKiSA_SA_iPKfiiiPfSD_PS3_PT2_iSC_SC_,"axG",@progbits,_Z39paged_attention_ll4mi_QKV_mfma16_kernelIDF16_hLN4vllm18Fp8KVCacheDataTypeE1EDF16_Li32ELi128ELi256ELb0ELi9EL8MFMAType1EEvPKT_PKT0_S8_ifPKiSA_SA_iPKfiiiPfSD_PS3_PT2_iSC_SC_,comdat
.Lfunc_end534:
	.size	_Z39paged_attention_ll4mi_QKV_mfma16_kernelIDF16_hLN4vllm18Fp8KVCacheDataTypeE1EDF16_Li32ELi128ELi256ELb0ELi9EL8MFMAType1EEvPKT_PKT0_S8_ifPKiSA_SA_iPKfiiiPfSD_PS3_PT2_iSC_SC_, .Lfunc_end534-_Z39paged_attention_ll4mi_QKV_mfma16_kernelIDF16_hLN4vllm18Fp8KVCacheDataTypeE1EDF16_Li32ELi128ELi256ELb0ELi9EL8MFMAType1EEvPKT_PKT0_S8_ifPKiSA_SA_iPKfiiiPfSD_PS3_PT2_iSC_SC_
                                        ; -- End function
	.section	.AMDGPU.csdata,"",@progbits
; Kernel info:
; codeLenInByte = 492
; NumSgprs: 40
; NumVgprs: 42
; NumAgprs: 1
; TotalNumVgprs: 45
; ScratchSize: 64
; MemoryBound: 0
; FloatMode: 240
; IeeeMode: 1
; LDSByteSize: 8192 bytes/workgroup (compile time only)
; SGPRBlocks: 4
; VGPRBlocks: 5
; NumSGPRsForWavesPerEU: 40
; NumVGPRsForWavesPerEU: 45
; AccumOffset: 44
; Occupancy: 8
; WaveLimiterHint : 1
; COMPUTE_PGM_RSRC2:SCRATCH_EN: 1
; COMPUTE_PGM_RSRC2:USER_SGPR: 8
; COMPUTE_PGM_RSRC2:TRAP_HANDLER: 0
; COMPUTE_PGM_RSRC2:TGID_X_EN: 1
; COMPUTE_PGM_RSRC2:TGID_Y_EN: 1
; COMPUTE_PGM_RSRC2:TGID_Z_EN: 1
; COMPUTE_PGM_RSRC2:TIDIG_COMP_CNT: 0
; COMPUTE_PGM_RSRC3_GFX90A:ACCUM_OFFSET: 10
; COMPUTE_PGM_RSRC3_GFX90A:TG_SPLIT: 0
	.section	.text._Z39paged_attention_ll4mi_QKV_mfma16_kernelIDF16_hLN4vllm18Fp8KVCacheDataTypeE1EDF16_Li32ELi128ELi256ELb0ELi10EL8MFMAType1EEvPKT_PKT0_S8_ifPKiSA_SA_iPKfiiiPfSD_PS3_PT2_iSC_SC_,"axG",@progbits,_Z39paged_attention_ll4mi_QKV_mfma16_kernelIDF16_hLN4vllm18Fp8KVCacheDataTypeE1EDF16_Li32ELi128ELi256ELb0ELi10EL8MFMAType1EEvPKT_PKT0_S8_ifPKiSA_SA_iPKfiiiPfSD_PS3_PT2_iSC_SC_,comdat
	.protected	_Z39paged_attention_ll4mi_QKV_mfma16_kernelIDF16_hLN4vllm18Fp8KVCacheDataTypeE1EDF16_Li32ELi128ELi256ELb0ELi10EL8MFMAType1EEvPKT_PKT0_S8_ifPKiSA_SA_iPKfiiiPfSD_PS3_PT2_iSC_SC_ ; -- Begin function _Z39paged_attention_ll4mi_QKV_mfma16_kernelIDF16_hLN4vllm18Fp8KVCacheDataTypeE1EDF16_Li32ELi128ELi256ELb0ELi10EL8MFMAType1EEvPKT_PKT0_S8_ifPKiSA_SA_iPKfiiiPfSD_PS3_PT2_iSC_SC_
	.globl	_Z39paged_attention_ll4mi_QKV_mfma16_kernelIDF16_hLN4vllm18Fp8KVCacheDataTypeE1EDF16_Li32ELi128ELi256ELb0ELi10EL8MFMAType1EEvPKT_PKT0_S8_ifPKiSA_SA_iPKfiiiPfSD_PS3_PT2_iSC_SC_
	.p2align	8
	.type	_Z39paged_attention_ll4mi_QKV_mfma16_kernelIDF16_hLN4vllm18Fp8KVCacheDataTypeE1EDF16_Li32ELi128ELi256ELb0ELi10EL8MFMAType1EEvPKT_PKT0_S8_ifPKiSA_SA_iPKfiiiPfSD_PS3_PT2_iSC_SC_,@function
_Z39paged_attention_ll4mi_QKV_mfma16_kernelIDF16_hLN4vllm18Fp8KVCacheDataTypeE1EDF16_Li32ELi128ELi256ELb0ELi10EL8MFMAType1EEvPKT_PKT0_S8_ifPKiSA_SA_iPKfiiiPfSD_PS3_PT2_iSC_SC_: ; @_Z39paged_attention_ll4mi_QKV_mfma16_kernelIDF16_hLN4vllm18Fp8KVCacheDataTypeE1EDF16_Li32ELi128ELi256ELb0ELi10EL8MFMAType1EEvPKT_PKT0_S8_ifPKiSA_SA_iPKfiiiPfSD_PS3_PT2_iSC_SC_
; %bb.0:
	s_load_dwordx2 s[12:13], s[4:5], 0x30
	s_add_u32 flat_scratch_lo, s6, s11
	s_addc_u32 flat_scratch_hi, s7, 0
	s_add_u32 s0, s0, s11
	s_addc_u32 s1, s1, 0
	s_waitcnt lgkmcnt(0)
	s_cmp_lg_u64 s[12:13], 0
	s_cselect_b64 s[14:15], -1, 0
	s_mov_b32 s6, s9
	s_mov_b64 s[16:17], 0
	s_and_b64 vcc, exec, s[14:15]
	s_mov_b32 s32, 0
	s_cbranch_vccz .LBB535_11
; %bb.1:
	s_add_i32 s18, s8, 1
	s_mov_b32 s19, 0
	s_lshl_b64 s[20:21], s[18:19], 2
	s_add_u32 s20, s12, s20
	s_mov_b32 s9, s19
	s_addc_u32 s21, s13, s21
	s_lshl_b64 s[18:19], s[8:9], 2
	s_add_u32 s18, s12, s18
	s_addc_u32 s19, s13, s19
	s_load_dword s7, s[20:21], 0x0
	s_load_dword s11, s[18:19], 0x0
	s_waitcnt lgkmcnt(0)
	s_sub_i32 s7, s7, s11
	s_cmp_eq_u32 s7, 1
	s_cselect_b64 s[18:19], -1, 0
	s_andn2_b64 vcc, exec, s[16:17]
	s_cbranch_vccnz .LBB535_3
.LBB535_2:
	s_mov_b32 s9, 0
	s_mov_b64 s[18:19], -1
.LBB535_3:
	s_andn2_b64 vcc, exec, s[18:19]
	s_cbranch_vccnz .LBB535_10
; %bb.4:
	s_load_dwordx2 s[18:19], s[4:5], 0x28
	s_lshl_b64 s[16:17], s[8:9], 2
	s_waitcnt lgkmcnt(0)
	s_add_u32 s18, s18, s16
	s_addc_u32 s19, s19, s17
	s_load_dword s7, s[18:19], 0x0
	s_lshl_b32 s6, s6, 8
	s_waitcnt lgkmcnt(0)
	s_cmp_ge_i32 s6, s7
	s_cbranch_scc1 .LBB535_10
; %bb.5:
	s_andn2_b64 vcc, exec, s[14:15]
	s_cbranch_vccnz .LBB535_7
; %bb.6:
	s_add_u32 s6, s12, s16
	s_addc_u32 s7, s13, s17
	s_load_dword s8, s[6:7], 0x0
.LBB535_7:
	s_movk_i32 s6, 0xa0
	v_cmp_gt_u32_e32 vcc, s6, v0
	s_and_saveexec_b64 s[6:7], vcc
	s_cbranch_execz .LBB535_9
; %bb.8:
	s_load_dword s11, s[4:5], 0x48
	s_load_dwordx2 s[12:13], s[4:5], 0x0
	v_lshrrev_b32_e32 v1, 4, v0
	s_mul_i32 s10, s10, 10
	v_add_lshl_u32 v2, v1, s10, 7
	s_waitcnt lgkmcnt(0)
	s_ashr_i32 s9, s11, 31
	s_mul_hi_u32 s14, s8, s11
	s_mul_i32 s9, s8, s9
	s_add_i32 s9, s14, s9
	s_mul_i32 s8, s8, s11
	s_lshl_b64 s[8:9], s[8:9], 1
	s_add_u32 s8, s12, s8
	v_ashrrev_i32_e32 v3, 31, v2
	s_addc_u32 s9, s13, s9
	v_lshlrev_b64 v[2:3], 1, v[2:3]
	v_and_b32_e32 v4, 15, v0
	v_mov_b32_e32 v5, s9
	v_add_co_u32_e32 v2, vcc, s8, v2
	v_addc_co_u32_e32 v3, vcc, v5, v3, vcc
	v_lshlrev_b32_e32 v4, 4, v4
	v_add_co_u32_e32 v2, vcc, v2, v4
	v_addc_co_u32_e32 v3, vcc, 0, v3, vcc
	global_load_dwordx4 v[2:5], v[2:3], off
	v_lshlrev_b32_e32 v6, 4, v0
	v_lshlrev_b32_e32 v0, 8, v0
	v_and_b32_e32 v6, 16, v6
	v_lshlrev_b32_e32 v1, 5, v1
	v_and_b32_e32 v0, 0xe00, v0
	v_or3_b32 v0, v0, v1, v6
	s_waitcnt vmcnt(0)
	ds_write_b128 v0, v[2:5]
.LBB535_9:
	s_or_b64 exec, exec, s[6:7]
	s_waitcnt lgkmcnt(0)
	s_add_u32 s8, s4, 0x90
	s_addc_u32 s9, s5, 0
	s_getpc_b64 s[4:5]
	s_add_u32 s4, s4, __PRETTY_FUNCTION__._Z39paged_attention_ll4mi_QKV_mfma16_kernelIDF16_hLN4vllm18Fp8KVCacheDataTypeE1EDF16_Li32ELi128ELi256ELb0ELi10EL8MFMAType1EEvPKT_PKT0_S8_ifPKiSA_SA_iPKfiiiPfSD_PS3_PT2_iSC_SC_@rel32@lo+4
	s_addc_u32 s5, s5, __PRETTY_FUNCTION__._Z39paged_attention_ll4mi_QKV_mfma16_kernelIDF16_hLN4vllm18Fp8KVCacheDataTypeE1EDF16_Li32ELi128ELi256ELb0ELi10EL8MFMAType1EEvPKT_PKT0_S8_ifPKiSA_SA_iPKfiiiPfSD_PS3_PT2_iSC_SC_@rel32@hi+12
	v_mov_b32_e32 v0, 0x288
	v_mov_b32_e32 v1, s4
	;; [unrolled: 1-line block ×3, first 2 shown]
	s_barrier
	s_getpc_b64 s[6:7]
	s_add_u32 s6, s6, __assert_fail@rel32@lo+4
	s_addc_u32 s7, s7, __assert_fail@rel32@hi+12
	s_swappc_b64 s[30:31], s[6:7]
	; divergent unreachable
.LBB535_10:
	s_endpgm
.LBB535_11:
	s_mov_b64 s[18:19], 0
	s_branch .LBB535_2
	.section	.rodata,"a",@progbits
	.p2align	6, 0x0
	.amdhsa_kernel _Z39paged_attention_ll4mi_QKV_mfma16_kernelIDF16_hLN4vllm18Fp8KVCacheDataTypeE1EDF16_Li32ELi128ELi256ELb0ELi10EL8MFMAType1EEvPKT_PKT0_S8_ifPKiSA_SA_iPKfiiiPfSD_PS3_PT2_iSC_SC_
		.amdhsa_group_segment_fixed_size 8192
		.amdhsa_private_segment_fixed_size 64
		.amdhsa_kernarg_size 400
		.amdhsa_user_sgpr_count 8
		.amdhsa_user_sgpr_private_segment_buffer 1
		.amdhsa_user_sgpr_dispatch_ptr 0
		.amdhsa_user_sgpr_queue_ptr 0
		.amdhsa_user_sgpr_kernarg_segment_ptr 1
		.amdhsa_user_sgpr_dispatch_id 0
		.amdhsa_user_sgpr_flat_scratch_init 1
		.amdhsa_user_sgpr_kernarg_preload_length 0
		.amdhsa_user_sgpr_kernarg_preload_offset 0
		.amdhsa_user_sgpr_private_segment_size 0
		.amdhsa_uses_dynamic_stack 0
		.amdhsa_system_sgpr_private_segment_wavefront_offset 1
		.amdhsa_system_sgpr_workgroup_id_x 1
		.amdhsa_system_sgpr_workgroup_id_y 1
		.amdhsa_system_sgpr_workgroup_id_z 1
		.amdhsa_system_sgpr_workgroup_info 0
		.amdhsa_system_vgpr_workitem_id 0
		.amdhsa_next_free_vgpr 45
		.amdhsa_next_free_sgpr 34
		.amdhsa_accum_offset 44
		.amdhsa_reserve_vcc 1
		.amdhsa_reserve_flat_scratch 1
		.amdhsa_float_round_mode_32 0
		.amdhsa_float_round_mode_16_64 0
		.amdhsa_float_denorm_mode_32 3
		.amdhsa_float_denorm_mode_16_64 3
		.amdhsa_dx10_clamp 1
		.amdhsa_ieee_mode 1
		.amdhsa_fp16_overflow 0
		.amdhsa_tg_split 0
		.amdhsa_exception_fp_ieee_invalid_op 0
		.amdhsa_exception_fp_denorm_src 0
		.amdhsa_exception_fp_ieee_div_zero 0
		.amdhsa_exception_fp_ieee_overflow 0
		.amdhsa_exception_fp_ieee_underflow 0
		.amdhsa_exception_fp_ieee_inexact 0
		.amdhsa_exception_int_div_zero 0
	.end_amdhsa_kernel
	.section	.text._Z39paged_attention_ll4mi_QKV_mfma16_kernelIDF16_hLN4vllm18Fp8KVCacheDataTypeE1EDF16_Li32ELi128ELi256ELb0ELi10EL8MFMAType1EEvPKT_PKT0_S8_ifPKiSA_SA_iPKfiiiPfSD_PS3_PT2_iSC_SC_,"axG",@progbits,_Z39paged_attention_ll4mi_QKV_mfma16_kernelIDF16_hLN4vllm18Fp8KVCacheDataTypeE1EDF16_Li32ELi128ELi256ELb0ELi10EL8MFMAType1EEvPKT_PKT0_S8_ifPKiSA_SA_iPKfiiiPfSD_PS3_PT2_iSC_SC_,comdat
.Lfunc_end535:
	.size	_Z39paged_attention_ll4mi_QKV_mfma16_kernelIDF16_hLN4vllm18Fp8KVCacheDataTypeE1EDF16_Li32ELi128ELi256ELb0ELi10EL8MFMAType1EEvPKT_PKT0_S8_ifPKiSA_SA_iPKfiiiPfSD_PS3_PT2_iSC_SC_, .Lfunc_end535-_Z39paged_attention_ll4mi_QKV_mfma16_kernelIDF16_hLN4vllm18Fp8KVCacheDataTypeE1EDF16_Li32ELi128ELi256ELb0ELi10EL8MFMAType1EEvPKT_PKT0_S8_ifPKiSA_SA_iPKfiiiPfSD_PS3_PT2_iSC_SC_
                                        ; -- End function
	.section	.AMDGPU.csdata,"",@progbits
; Kernel info:
; codeLenInByte = 492
; NumSgprs: 40
; NumVgprs: 42
; NumAgprs: 1
; TotalNumVgprs: 45
; ScratchSize: 64
; MemoryBound: 0
; FloatMode: 240
; IeeeMode: 1
; LDSByteSize: 8192 bytes/workgroup (compile time only)
; SGPRBlocks: 4
; VGPRBlocks: 5
; NumSGPRsForWavesPerEU: 40
; NumVGPRsForWavesPerEU: 45
; AccumOffset: 44
; Occupancy: 8
; WaveLimiterHint : 1
; COMPUTE_PGM_RSRC2:SCRATCH_EN: 1
; COMPUTE_PGM_RSRC2:USER_SGPR: 8
; COMPUTE_PGM_RSRC2:TRAP_HANDLER: 0
; COMPUTE_PGM_RSRC2:TGID_X_EN: 1
; COMPUTE_PGM_RSRC2:TGID_Y_EN: 1
; COMPUTE_PGM_RSRC2:TGID_Z_EN: 1
; COMPUTE_PGM_RSRC2:TIDIG_COMP_CNT: 0
; COMPUTE_PGM_RSRC3_GFX90A:ACCUM_OFFSET: 10
; COMPUTE_PGM_RSRC3_GFX90A:TG_SPLIT: 0
	.section	.text._Z39paged_attention_ll4mi_QKV_mfma16_kernelIDF16_hLN4vllm18Fp8KVCacheDataTypeE1EDF16_Li32ELi128ELi256ELb0ELi11EL8MFMAType1EEvPKT_PKT0_S8_ifPKiSA_SA_iPKfiiiPfSD_PS3_PT2_iSC_SC_,"axG",@progbits,_Z39paged_attention_ll4mi_QKV_mfma16_kernelIDF16_hLN4vllm18Fp8KVCacheDataTypeE1EDF16_Li32ELi128ELi256ELb0ELi11EL8MFMAType1EEvPKT_PKT0_S8_ifPKiSA_SA_iPKfiiiPfSD_PS3_PT2_iSC_SC_,comdat
	.protected	_Z39paged_attention_ll4mi_QKV_mfma16_kernelIDF16_hLN4vllm18Fp8KVCacheDataTypeE1EDF16_Li32ELi128ELi256ELb0ELi11EL8MFMAType1EEvPKT_PKT0_S8_ifPKiSA_SA_iPKfiiiPfSD_PS3_PT2_iSC_SC_ ; -- Begin function _Z39paged_attention_ll4mi_QKV_mfma16_kernelIDF16_hLN4vllm18Fp8KVCacheDataTypeE1EDF16_Li32ELi128ELi256ELb0ELi11EL8MFMAType1EEvPKT_PKT0_S8_ifPKiSA_SA_iPKfiiiPfSD_PS3_PT2_iSC_SC_
	.globl	_Z39paged_attention_ll4mi_QKV_mfma16_kernelIDF16_hLN4vllm18Fp8KVCacheDataTypeE1EDF16_Li32ELi128ELi256ELb0ELi11EL8MFMAType1EEvPKT_PKT0_S8_ifPKiSA_SA_iPKfiiiPfSD_PS3_PT2_iSC_SC_
	.p2align	8
	.type	_Z39paged_attention_ll4mi_QKV_mfma16_kernelIDF16_hLN4vllm18Fp8KVCacheDataTypeE1EDF16_Li32ELi128ELi256ELb0ELi11EL8MFMAType1EEvPKT_PKT0_S8_ifPKiSA_SA_iPKfiiiPfSD_PS3_PT2_iSC_SC_,@function
_Z39paged_attention_ll4mi_QKV_mfma16_kernelIDF16_hLN4vllm18Fp8KVCacheDataTypeE1EDF16_Li32ELi128ELi256ELb0ELi11EL8MFMAType1EEvPKT_PKT0_S8_ifPKiSA_SA_iPKfiiiPfSD_PS3_PT2_iSC_SC_: ; @_Z39paged_attention_ll4mi_QKV_mfma16_kernelIDF16_hLN4vllm18Fp8KVCacheDataTypeE1EDF16_Li32ELi128ELi256ELb0ELi11EL8MFMAType1EEvPKT_PKT0_S8_ifPKiSA_SA_iPKfiiiPfSD_PS3_PT2_iSC_SC_
; %bb.0:
	s_load_dwordx2 s[12:13], s[4:5], 0x30
	s_add_u32 flat_scratch_lo, s6, s11
	s_addc_u32 flat_scratch_hi, s7, 0
	s_add_u32 s0, s0, s11
	s_addc_u32 s1, s1, 0
	s_waitcnt lgkmcnt(0)
	s_cmp_lg_u64 s[12:13], 0
	s_cselect_b64 s[14:15], -1, 0
	s_mov_b32 s6, s9
	s_mov_b64 s[16:17], 0
	s_and_b64 vcc, exec, s[14:15]
	s_mov_b32 s32, 0
	s_cbranch_vccz .LBB536_11
; %bb.1:
	s_add_i32 s18, s8, 1
	s_mov_b32 s19, 0
	s_lshl_b64 s[20:21], s[18:19], 2
	s_add_u32 s20, s12, s20
	s_mov_b32 s9, s19
	s_addc_u32 s21, s13, s21
	s_lshl_b64 s[18:19], s[8:9], 2
	s_add_u32 s18, s12, s18
	s_addc_u32 s19, s13, s19
	s_load_dword s7, s[20:21], 0x0
	s_load_dword s11, s[18:19], 0x0
	s_waitcnt lgkmcnt(0)
	s_sub_i32 s7, s7, s11
	s_cmp_eq_u32 s7, 1
	s_cselect_b64 s[18:19], -1, 0
	s_andn2_b64 vcc, exec, s[16:17]
	s_cbranch_vccnz .LBB536_3
.LBB536_2:
	s_mov_b32 s9, 0
	s_mov_b64 s[18:19], -1
.LBB536_3:
	s_andn2_b64 vcc, exec, s[18:19]
	s_cbranch_vccnz .LBB536_10
; %bb.4:
	s_load_dwordx2 s[18:19], s[4:5], 0x28
	s_lshl_b64 s[16:17], s[8:9], 2
	s_waitcnt lgkmcnt(0)
	s_add_u32 s18, s18, s16
	s_addc_u32 s19, s19, s17
	s_load_dword s7, s[18:19], 0x0
	s_lshl_b32 s6, s6, 8
	s_waitcnt lgkmcnt(0)
	s_cmp_ge_i32 s6, s7
	s_cbranch_scc1 .LBB536_10
; %bb.5:
	s_andn2_b64 vcc, exec, s[14:15]
	s_cbranch_vccnz .LBB536_7
; %bb.6:
	s_add_u32 s6, s12, s16
	s_addc_u32 s7, s13, s17
	s_load_dword s8, s[6:7], 0x0
.LBB536_7:
	s_movk_i32 s6, 0xb0
	v_cmp_gt_u32_e32 vcc, s6, v0
	s_and_saveexec_b64 s[6:7], vcc
	s_cbranch_execz .LBB536_9
; %bb.8:
	s_load_dword s11, s[4:5], 0x48
	s_load_dwordx2 s[12:13], s[4:5], 0x0
	v_lshrrev_b32_e32 v1, 4, v0
	s_mul_i32 s10, s10, 11
	v_add_lshl_u32 v2, v1, s10, 7
	s_waitcnt lgkmcnt(0)
	s_ashr_i32 s9, s11, 31
	s_mul_hi_u32 s14, s8, s11
	s_mul_i32 s9, s8, s9
	s_add_i32 s9, s14, s9
	s_mul_i32 s8, s8, s11
	s_lshl_b64 s[8:9], s[8:9], 1
	s_add_u32 s8, s12, s8
	v_ashrrev_i32_e32 v3, 31, v2
	s_addc_u32 s9, s13, s9
	v_lshlrev_b64 v[2:3], 1, v[2:3]
	v_and_b32_e32 v4, 15, v0
	v_mov_b32_e32 v5, s9
	v_add_co_u32_e32 v2, vcc, s8, v2
	v_addc_co_u32_e32 v3, vcc, v5, v3, vcc
	v_lshlrev_b32_e32 v4, 4, v4
	v_add_co_u32_e32 v2, vcc, v2, v4
	v_addc_co_u32_e32 v3, vcc, 0, v3, vcc
	global_load_dwordx4 v[2:5], v[2:3], off
	v_lshlrev_b32_e32 v6, 4, v0
	v_lshlrev_b32_e32 v0, 8, v0
	v_and_b32_e32 v6, 16, v6
	v_lshlrev_b32_e32 v1, 5, v1
	v_and_b32_e32 v0, 0xe00, v0
	v_or3_b32 v0, v0, v1, v6
	s_waitcnt vmcnt(0)
	ds_write_b128 v0, v[2:5]
.LBB536_9:
	s_or_b64 exec, exec, s[6:7]
	s_waitcnt lgkmcnt(0)
	s_add_u32 s8, s4, 0x90
	s_addc_u32 s9, s5, 0
	s_getpc_b64 s[4:5]
	s_add_u32 s4, s4, __PRETTY_FUNCTION__._Z39paged_attention_ll4mi_QKV_mfma16_kernelIDF16_hLN4vllm18Fp8KVCacheDataTypeE1EDF16_Li32ELi128ELi256ELb0ELi11EL8MFMAType1EEvPKT_PKT0_S8_ifPKiSA_SA_iPKfiiiPfSD_PS3_PT2_iSC_SC_@rel32@lo+4
	s_addc_u32 s5, s5, __PRETTY_FUNCTION__._Z39paged_attention_ll4mi_QKV_mfma16_kernelIDF16_hLN4vllm18Fp8KVCacheDataTypeE1EDF16_Li32ELi128ELi256ELb0ELi11EL8MFMAType1EEvPKT_PKT0_S8_ifPKiSA_SA_iPKfiiiPfSD_PS3_PT2_iSC_SC_@rel32@hi+12
	v_mov_b32_e32 v0, 0x288
	v_mov_b32_e32 v1, s4
	;; [unrolled: 1-line block ×3, first 2 shown]
	s_barrier
	s_getpc_b64 s[6:7]
	s_add_u32 s6, s6, __assert_fail@rel32@lo+4
	s_addc_u32 s7, s7, __assert_fail@rel32@hi+12
	s_swappc_b64 s[30:31], s[6:7]
	; divergent unreachable
.LBB536_10:
	s_endpgm
.LBB536_11:
	s_mov_b64 s[18:19], 0
	s_branch .LBB536_2
	.section	.rodata,"a",@progbits
	.p2align	6, 0x0
	.amdhsa_kernel _Z39paged_attention_ll4mi_QKV_mfma16_kernelIDF16_hLN4vllm18Fp8KVCacheDataTypeE1EDF16_Li32ELi128ELi256ELb0ELi11EL8MFMAType1EEvPKT_PKT0_S8_ifPKiSA_SA_iPKfiiiPfSD_PS3_PT2_iSC_SC_
		.amdhsa_group_segment_fixed_size 8192
		.amdhsa_private_segment_fixed_size 64
		.amdhsa_kernarg_size 400
		.amdhsa_user_sgpr_count 8
		.amdhsa_user_sgpr_private_segment_buffer 1
		.amdhsa_user_sgpr_dispatch_ptr 0
		.amdhsa_user_sgpr_queue_ptr 0
		.amdhsa_user_sgpr_kernarg_segment_ptr 1
		.amdhsa_user_sgpr_dispatch_id 0
		.amdhsa_user_sgpr_flat_scratch_init 1
		.amdhsa_user_sgpr_kernarg_preload_length 0
		.amdhsa_user_sgpr_kernarg_preload_offset 0
		.amdhsa_user_sgpr_private_segment_size 0
		.amdhsa_uses_dynamic_stack 0
		.amdhsa_system_sgpr_private_segment_wavefront_offset 1
		.amdhsa_system_sgpr_workgroup_id_x 1
		.amdhsa_system_sgpr_workgroup_id_y 1
		.amdhsa_system_sgpr_workgroup_id_z 1
		.amdhsa_system_sgpr_workgroup_info 0
		.amdhsa_system_vgpr_workitem_id 0
		.amdhsa_next_free_vgpr 45
		.amdhsa_next_free_sgpr 34
		.amdhsa_accum_offset 44
		.amdhsa_reserve_vcc 1
		.amdhsa_reserve_flat_scratch 1
		.amdhsa_float_round_mode_32 0
		.amdhsa_float_round_mode_16_64 0
		.amdhsa_float_denorm_mode_32 3
		.amdhsa_float_denorm_mode_16_64 3
		.amdhsa_dx10_clamp 1
		.amdhsa_ieee_mode 1
		.amdhsa_fp16_overflow 0
		.amdhsa_tg_split 0
		.amdhsa_exception_fp_ieee_invalid_op 0
		.amdhsa_exception_fp_denorm_src 0
		.amdhsa_exception_fp_ieee_div_zero 0
		.amdhsa_exception_fp_ieee_overflow 0
		.amdhsa_exception_fp_ieee_underflow 0
		.amdhsa_exception_fp_ieee_inexact 0
		.amdhsa_exception_int_div_zero 0
	.end_amdhsa_kernel
	.section	.text._Z39paged_attention_ll4mi_QKV_mfma16_kernelIDF16_hLN4vllm18Fp8KVCacheDataTypeE1EDF16_Li32ELi128ELi256ELb0ELi11EL8MFMAType1EEvPKT_PKT0_S8_ifPKiSA_SA_iPKfiiiPfSD_PS3_PT2_iSC_SC_,"axG",@progbits,_Z39paged_attention_ll4mi_QKV_mfma16_kernelIDF16_hLN4vllm18Fp8KVCacheDataTypeE1EDF16_Li32ELi128ELi256ELb0ELi11EL8MFMAType1EEvPKT_PKT0_S8_ifPKiSA_SA_iPKfiiiPfSD_PS3_PT2_iSC_SC_,comdat
.Lfunc_end536:
	.size	_Z39paged_attention_ll4mi_QKV_mfma16_kernelIDF16_hLN4vllm18Fp8KVCacheDataTypeE1EDF16_Li32ELi128ELi256ELb0ELi11EL8MFMAType1EEvPKT_PKT0_S8_ifPKiSA_SA_iPKfiiiPfSD_PS3_PT2_iSC_SC_, .Lfunc_end536-_Z39paged_attention_ll4mi_QKV_mfma16_kernelIDF16_hLN4vllm18Fp8KVCacheDataTypeE1EDF16_Li32ELi128ELi256ELb0ELi11EL8MFMAType1EEvPKT_PKT0_S8_ifPKiSA_SA_iPKfiiiPfSD_PS3_PT2_iSC_SC_
                                        ; -- End function
	.section	.AMDGPU.csdata,"",@progbits
; Kernel info:
; codeLenInByte = 492
; NumSgprs: 40
; NumVgprs: 42
; NumAgprs: 1
; TotalNumVgprs: 45
; ScratchSize: 64
; MemoryBound: 0
; FloatMode: 240
; IeeeMode: 1
; LDSByteSize: 8192 bytes/workgroup (compile time only)
; SGPRBlocks: 4
; VGPRBlocks: 5
; NumSGPRsForWavesPerEU: 40
; NumVGPRsForWavesPerEU: 45
; AccumOffset: 44
; Occupancy: 8
; WaveLimiterHint : 1
; COMPUTE_PGM_RSRC2:SCRATCH_EN: 1
; COMPUTE_PGM_RSRC2:USER_SGPR: 8
; COMPUTE_PGM_RSRC2:TRAP_HANDLER: 0
; COMPUTE_PGM_RSRC2:TGID_X_EN: 1
; COMPUTE_PGM_RSRC2:TGID_Y_EN: 1
; COMPUTE_PGM_RSRC2:TGID_Z_EN: 1
; COMPUTE_PGM_RSRC2:TIDIG_COMP_CNT: 0
; COMPUTE_PGM_RSRC3_GFX90A:ACCUM_OFFSET: 10
; COMPUTE_PGM_RSRC3_GFX90A:TG_SPLIT: 0
	.section	.text._Z39paged_attention_ll4mi_QKV_mfma16_kernelIDF16_hLN4vllm18Fp8KVCacheDataTypeE1EDF16_Li32ELi128ELi256ELb0ELi12EL8MFMAType1EEvPKT_PKT0_S8_ifPKiSA_SA_iPKfiiiPfSD_PS3_PT2_iSC_SC_,"axG",@progbits,_Z39paged_attention_ll4mi_QKV_mfma16_kernelIDF16_hLN4vllm18Fp8KVCacheDataTypeE1EDF16_Li32ELi128ELi256ELb0ELi12EL8MFMAType1EEvPKT_PKT0_S8_ifPKiSA_SA_iPKfiiiPfSD_PS3_PT2_iSC_SC_,comdat
	.protected	_Z39paged_attention_ll4mi_QKV_mfma16_kernelIDF16_hLN4vllm18Fp8KVCacheDataTypeE1EDF16_Li32ELi128ELi256ELb0ELi12EL8MFMAType1EEvPKT_PKT0_S8_ifPKiSA_SA_iPKfiiiPfSD_PS3_PT2_iSC_SC_ ; -- Begin function _Z39paged_attention_ll4mi_QKV_mfma16_kernelIDF16_hLN4vllm18Fp8KVCacheDataTypeE1EDF16_Li32ELi128ELi256ELb0ELi12EL8MFMAType1EEvPKT_PKT0_S8_ifPKiSA_SA_iPKfiiiPfSD_PS3_PT2_iSC_SC_
	.globl	_Z39paged_attention_ll4mi_QKV_mfma16_kernelIDF16_hLN4vllm18Fp8KVCacheDataTypeE1EDF16_Li32ELi128ELi256ELb0ELi12EL8MFMAType1EEvPKT_PKT0_S8_ifPKiSA_SA_iPKfiiiPfSD_PS3_PT2_iSC_SC_
	.p2align	8
	.type	_Z39paged_attention_ll4mi_QKV_mfma16_kernelIDF16_hLN4vllm18Fp8KVCacheDataTypeE1EDF16_Li32ELi128ELi256ELb0ELi12EL8MFMAType1EEvPKT_PKT0_S8_ifPKiSA_SA_iPKfiiiPfSD_PS3_PT2_iSC_SC_,@function
_Z39paged_attention_ll4mi_QKV_mfma16_kernelIDF16_hLN4vllm18Fp8KVCacheDataTypeE1EDF16_Li32ELi128ELi256ELb0ELi12EL8MFMAType1EEvPKT_PKT0_S8_ifPKiSA_SA_iPKfiiiPfSD_PS3_PT2_iSC_SC_: ; @_Z39paged_attention_ll4mi_QKV_mfma16_kernelIDF16_hLN4vllm18Fp8KVCacheDataTypeE1EDF16_Li32ELi128ELi256ELb0ELi12EL8MFMAType1EEvPKT_PKT0_S8_ifPKiSA_SA_iPKfiiiPfSD_PS3_PT2_iSC_SC_
; %bb.0:
	s_load_dwordx2 s[12:13], s[4:5], 0x30
	s_add_u32 flat_scratch_lo, s6, s11
	s_addc_u32 flat_scratch_hi, s7, 0
	s_add_u32 s0, s0, s11
	s_addc_u32 s1, s1, 0
	s_waitcnt lgkmcnt(0)
	s_cmp_lg_u64 s[12:13], 0
	s_cselect_b64 s[14:15], -1, 0
	s_mov_b32 s6, s9
	s_mov_b64 s[16:17], 0
	s_and_b64 vcc, exec, s[14:15]
	s_mov_b32 s32, 0
	s_cbranch_vccz .LBB537_11
; %bb.1:
	s_add_i32 s18, s8, 1
	s_mov_b32 s19, 0
	s_lshl_b64 s[20:21], s[18:19], 2
	s_add_u32 s20, s12, s20
	s_mov_b32 s9, s19
	s_addc_u32 s21, s13, s21
	s_lshl_b64 s[18:19], s[8:9], 2
	s_add_u32 s18, s12, s18
	s_addc_u32 s19, s13, s19
	s_load_dword s7, s[20:21], 0x0
	s_load_dword s11, s[18:19], 0x0
	s_waitcnt lgkmcnt(0)
	s_sub_i32 s7, s7, s11
	s_cmp_eq_u32 s7, 1
	s_cselect_b64 s[18:19], -1, 0
	s_andn2_b64 vcc, exec, s[16:17]
	s_cbranch_vccnz .LBB537_3
.LBB537_2:
	s_mov_b32 s9, 0
	s_mov_b64 s[18:19], -1
.LBB537_3:
	s_andn2_b64 vcc, exec, s[18:19]
	s_cbranch_vccnz .LBB537_10
; %bb.4:
	s_load_dwordx2 s[18:19], s[4:5], 0x28
	s_lshl_b64 s[16:17], s[8:9], 2
	s_waitcnt lgkmcnt(0)
	s_add_u32 s18, s18, s16
	s_addc_u32 s19, s19, s17
	s_load_dword s7, s[18:19], 0x0
	s_lshl_b32 s6, s6, 8
	s_waitcnt lgkmcnt(0)
	s_cmp_ge_i32 s6, s7
	s_cbranch_scc1 .LBB537_10
; %bb.5:
	s_andn2_b64 vcc, exec, s[14:15]
	s_cbranch_vccnz .LBB537_7
; %bb.6:
	s_add_u32 s6, s12, s16
	s_addc_u32 s7, s13, s17
	s_load_dword s8, s[6:7], 0x0
.LBB537_7:
	s_movk_i32 s6, 0xc0
	v_cmp_gt_u32_e32 vcc, s6, v0
	s_and_saveexec_b64 s[6:7], vcc
	s_cbranch_execz .LBB537_9
; %bb.8:
	s_load_dword s11, s[4:5], 0x48
	s_load_dwordx2 s[12:13], s[4:5], 0x0
	v_lshrrev_b32_e32 v1, 4, v0
	s_mul_i32 s10, s10, 12
	v_add_lshl_u32 v2, v1, s10, 7
	s_waitcnt lgkmcnt(0)
	s_ashr_i32 s9, s11, 31
	s_mul_hi_u32 s14, s8, s11
	s_mul_i32 s9, s8, s9
	s_add_i32 s9, s14, s9
	s_mul_i32 s8, s8, s11
	s_lshl_b64 s[8:9], s[8:9], 1
	s_add_u32 s8, s12, s8
	v_ashrrev_i32_e32 v3, 31, v2
	s_addc_u32 s9, s13, s9
	v_lshlrev_b64 v[2:3], 1, v[2:3]
	v_and_b32_e32 v4, 15, v0
	v_mov_b32_e32 v5, s9
	v_add_co_u32_e32 v2, vcc, s8, v2
	v_addc_co_u32_e32 v3, vcc, v5, v3, vcc
	v_lshlrev_b32_e32 v4, 4, v4
	v_add_co_u32_e32 v2, vcc, v2, v4
	v_addc_co_u32_e32 v3, vcc, 0, v3, vcc
	global_load_dwordx4 v[2:5], v[2:3], off
	v_lshlrev_b32_e32 v6, 4, v0
	v_lshlrev_b32_e32 v0, 8, v0
	v_and_b32_e32 v6, 16, v6
	v_lshlrev_b32_e32 v1, 5, v1
	v_and_b32_e32 v0, 0xe00, v0
	v_or3_b32 v0, v0, v1, v6
	s_waitcnt vmcnt(0)
	ds_write_b128 v0, v[2:5]
.LBB537_9:
	s_or_b64 exec, exec, s[6:7]
	s_waitcnt lgkmcnt(0)
	s_add_u32 s8, s4, 0x90
	s_addc_u32 s9, s5, 0
	s_getpc_b64 s[4:5]
	s_add_u32 s4, s4, __PRETTY_FUNCTION__._Z39paged_attention_ll4mi_QKV_mfma16_kernelIDF16_hLN4vllm18Fp8KVCacheDataTypeE1EDF16_Li32ELi128ELi256ELb0ELi12EL8MFMAType1EEvPKT_PKT0_S8_ifPKiSA_SA_iPKfiiiPfSD_PS3_PT2_iSC_SC_@rel32@lo+4
	s_addc_u32 s5, s5, __PRETTY_FUNCTION__._Z39paged_attention_ll4mi_QKV_mfma16_kernelIDF16_hLN4vllm18Fp8KVCacheDataTypeE1EDF16_Li32ELi128ELi256ELb0ELi12EL8MFMAType1EEvPKT_PKT0_S8_ifPKiSA_SA_iPKfiiiPfSD_PS3_PT2_iSC_SC_@rel32@hi+12
	v_mov_b32_e32 v0, 0x288
	v_mov_b32_e32 v1, s4
	;; [unrolled: 1-line block ×3, first 2 shown]
	s_barrier
	s_getpc_b64 s[6:7]
	s_add_u32 s6, s6, __assert_fail@rel32@lo+4
	s_addc_u32 s7, s7, __assert_fail@rel32@hi+12
	s_swappc_b64 s[30:31], s[6:7]
	; divergent unreachable
.LBB537_10:
	s_endpgm
.LBB537_11:
	s_mov_b64 s[18:19], 0
	s_branch .LBB537_2
	.section	.rodata,"a",@progbits
	.p2align	6, 0x0
	.amdhsa_kernel _Z39paged_attention_ll4mi_QKV_mfma16_kernelIDF16_hLN4vllm18Fp8KVCacheDataTypeE1EDF16_Li32ELi128ELi256ELb0ELi12EL8MFMAType1EEvPKT_PKT0_S8_ifPKiSA_SA_iPKfiiiPfSD_PS3_PT2_iSC_SC_
		.amdhsa_group_segment_fixed_size 8192
		.amdhsa_private_segment_fixed_size 64
		.amdhsa_kernarg_size 400
		.amdhsa_user_sgpr_count 8
		.amdhsa_user_sgpr_private_segment_buffer 1
		.amdhsa_user_sgpr_dispatch_ptr 0
		.amdhsa_user_sgpr_queue_ptr 0
		.amdhsa_user_sgpr_kernarg_segment_ptr 1
		.amdhsa_user_sgpr_dispatch_id 0
		.amdhsa_user_sgpr_flat_scratch_init 1
		.amdhsa_user_sgpr_kernarg_preload_length 0
		.amdhsa_user_sgpr_kernarg_preload_offset 0
		.amdhsa_user_sgpr_private_segment_size 0
		.amdhsa_uses_dynamic_stack 0
		.amdhsa_system_sgpr_private_segment_wavefront_offset 1
		.amdhsa_system_sgpr_workgroup_id_x 1
		.amdhsa_system_sgpr_workgroup_id_y 1
		.amdhsa_system_sgpr_workgroup_id_z 1
		.amdhsa_system_sgpr_workgroup_info 0
		.amdhsa_system_vgpr_workitem_id 0
		.amdhsa_next_free_vgpr 45
		.amdhsa_next_free_sgpr 34
		.amdhsa_accum_offset 44
		.amdhsa_reserve_vcc 1
		.amdhsa_reserve_flat_scratch 1
		.amdhsa_float_round_mode_32 0
		.amdhsa_float_round_mode_16_64 0
		.amdhsa_float_denorm_mode_32 3
		.amdhsa_float_denorm_mode_16_64 3
		.amdhsa_dx10_clamp 1
		.amdhsa_ieee_mode 1
		.amdhsa_fp16_overflow 0
		.amdhsa_tg_split 0
		.amdhsa_exception_fp_ieee_invalid_op 0
		.amdhsa_exception_fp_denorm_src 0
		.amdhsa_exception_fp_ieee_div_zero 0
		.amdhsa_exception_fp_ieee_overflow 0
		.amdhsa_exception_fp_ieee_underflow 0
		.amdhsa_exception_fp_ieee_inexact 0
		.amdhsa_exception_int_div_zero 0
	.end_amdhsa_kernel
	.section	.text._Z39paged_attention_ll4mi_QKV_mfma16_kernelIDF16_hLN4vllm18Fp8KVCacheDataTypeE1EDF16_Li32ELi128ELi256ELb0ELi12EL8MFMAType1EEvPKT_PKT0_S8_ifPKiSA_SA_iPKfiiiPfSD_PS3_PT2_iSC_SC_,"axG",@progbits,_Z39paged_attention_ll4mi_QKV_mfma16_kernelIDF16_hLN4vllm18Fp8KVCacheDataTypeE1EDF16_Li32ELi128ELi256ELb0ELi12EL8MFMAType1EEvPKT_PKT0_S8_ifPKiSA_SA_iPKfiiiPfSD_PS3_PT2_iSC_SC_,comdat
.Lfunc_end537:
	.size	_Z39paged_attention_ll4mi_QKV_mfma16_kernelIDF16_hLN4vllm18Fp8KVCacheDataTypeE1EDF16_Li32ELi128ELi256ELb0ELi12EL8MFMAType1EEvPKT_PKT0_S8_ifPKiSA_SA_iPKfiiiPfSD_PS3_PT2_iSC_SC_, .Lfunc_end537-_Z39paged_attention_ll4mi_QKV_mfma16_kernelIDF16_hLN4vllm18Fp8KVCacheDataTypeE1EDF16_Li32ELi128ELi256ELb0ELi12EL8MFMAType1EEvPKT_PKT0_S8_ifPKiSA_SA_iPKfiiiPfSD_PS3_PT2_iSC_SC_
                                        ; -- End function
	.section	.AMDGPU.csdata,"",@progbits
; Kernel info:
; codeLenInByte = 492
; NumSgprs: 40
; NumVgprs: 42
; NumAgprs: 1
; TotalNumVgprs: 45
; ScratchSize: 64
; MemoryBound: 0
; FloatMode: 240
; IeeeMode: 1
; LDSByteSize: 8192 bytes/workgroup (compile time only)
; SGPRBlocks: 4
; VGPRBlocks: 5
; NumSGPRsForWavesPerEU: 40
; NumVGPRsForWavesPerEU: 45
; AccumOffset: 44
; Occupancy: 8
; WaveLimiterHint : 1
; COMPUTE_PGM_RSRC2:SCRATCH_EN: 1
; COMPUTE_PGM_RSRC2:USER_SGPR: 8
; COMPUTE_PGM_RSRC2:TRAP_HANDLER: 0
; COMPUTE_PGM_RSRC2:TGID_X_EN: 1
; COMPUTE_PGM_RSRC2:TGID_Y_EN: 1
; COMPUTE_PGM_RSRC2:TGID_Z_EN: 1
; COMPUTE_PGM_RSRC2:TIDIG_COMP_CNT: 0
; COMPUTE_PGM_RSRC3_GFX90A:ACCUM_OFFSET: 10
; COMPUTE_PGM_RSRC3_GFX90A:TG_SPLIT: 0
	.section	.text._Z39paged_attention_ll4mi_QKV_mfma16_kernelIDF16_hLN4vllm18Fp8KVCacheDataTypeE1EDF16_Li32ELi128ELi256ELb0ELi13EL8MFMAType1EEvPKT_PKT0_S8_ifPKiSA_SA_iPKfiiiPfSD_PS3_PT2_iSC_SC_,"axG",@progbits,_Z39paged_attention_ll4mi_QKV_mfma16_kernelIDF16_hLN4vllm18Fp8KVCacheDataTypeE1EDF16_Li32ELi128ELi256ELb0ELi13EL8MFMAType1EEvPKT_PKT0_S8_ifPKiSA_SA_iPKfiiiPfSD_PS3_PT2_iSC_SC_,comdat
	.protected	_Z39paged_attention_ll4mi_QKV_mfma16_kernelIDF16_hLN4vllm18Fp8KVCacheDataTypeE1EDF16_Li32ELi128ELi256ELb0ELi13EL8MFMAType1EEvPKT_PKT0_S8_ifPKiSA_SA_iPKfiiiPfSD_PS3_PT2_iSC_SC_ ; -- Begin function _Z39paged_attention_ll4mi_QKV_mfma16_kernelIDF16_hLN4vllm18Fp8KVCacheDataTypeE1EDF16_Li32ELi128ELi256ELb0ELi13EL8MFMAType1EEvPKT_PKT0_S8_ifPKiSA_SA_iPKfiiiPfSD_PS3_PT2_iSC_SC_
	.globl	_Z39paged_attention_ll4mi_QKV_mfma16_kernelIDF16_hLN4vllm18Fp8KVCacheDataTypeE1EDF16_Li32ELi128ELi256ELb0ELi13EL8MFMAType1EEvPKT_PKT0_S8_ifPKiSA_SA_iPKfiiiPfSD_PS3_PT2_iSC_SC_
	.p2align	8
	.type	_Z39paged_attention_ll4mi_QKV_mfma16_kernelIDF16_hLN4vllm18Fp8KVCacheDataTypeE1EDF16_Li32ELi128ELi256ELb0ELi13EL8MFMAType1EEvPKT_PKT0_S8_ifPKiSA_SA_iPKfiiiPfSD_PS3_PT2_iSC_SC_,@function
_Z39paged_attention_ll4mi_QKV_mfma16_kernelIDF16_hLN4vllm18Fp8KVCacheDataTypeE1EDF16_Li32ELi128ELi256ELb0ELi13EL8MFMAType1EEvPKT_PKT0_S8_ifPKiSA_SA_iPKfiiiPfSD_PS3_PT2_iSC_SC_: ; @_Z39paged_attention_ll4mi_QKV_mfma16_kernelIDF16_hLN4vllm18Fp8KVCacheDataTypeE1EDF16_Li32ELi128ELi256ELb0ELi13EL8MFMAType1EEvPKT_PKT0_S8_ifPKiSA_SA_iPKfiiiPfSD_PS3_PT2_iSC_SC_
; %bb.0:
	s_load_dwordx2 s[12:13], s[4:5], 0x30
	s_add_u32 flat_scratch_lo, s6, s11
	s_addc_u32 flat_scratch_hi, s7, 0
	s_add_u32 s0, s0, s11
	s_addc_u32 s1, s1, 0
	s_waitcnt lgkmcnt(0)
	s_cmp_lg_u64 s[12:13], 0
	s_cselect_b64 s[14:15], -1, 0
	s_mov_b32 s6, s9
	s_mov_b64 s[16:17], 0
	s_and_b64 vcc, exec, s[14:15]
	s_mov_b32 s32, 0
	s_cbranch_vccz .LBB538_11
; %bb.1:
	s_add_i32 s18, s8, 1
	s_mov_b32 s19, 0
	s_lshl_b64 s[20:21], s[18:19], 2
	s_add_u32 s20, s12, s20
	s_mov_b32 s9, s19
	s_addc_u32 s21, s13, s21
	s_lshl_b64 s[18:19], s[8:9], 2
	s_add_u32 s18, s12, s18
	s_addc_u32 s19, s13, s19
	s_load_dword s7, s[20:21], 0x0
	s_load_dword s11, s[18:19], 0x0
	s_waitcnt lgkmcnt(0)
	s_sub_i32 s7, s7, s11
	s_cmp_eq_u32 s7, 1
	s_cselect_b64 s[18:19], -1, 0
	s_andn2_b64 vcc, exec, s[16:17]
	s_cbranch_vccnz .LBB538_3
.LBB538_2:
	s_mov_b32 s9, 0
	s_mov_b64 s[18:19], -1
.LBB538_3:
	s_andn2_b64 vcc, exec, s[18:19]
	s_cbranch_vccnz .LBB538_10
; %bb.4:
	s_load_dwordx2 s[18:19], s[4:5], 0x28
	s_lshl_b64 s[16:17], s[8:9], 2
	s_waitcnt lgkmcnt(0)
	s_add_u32 s18, s18, s16
	s_addc_u32 s19, s19, s17
	s_load_dword s7, s[18:19], 0x0
	s_lshl_b32 s6, s6, 8
	s_waitcnt lgkmcnt(0)
	s_cmp_ge_i32 s6, s7
	s_cbranch_scc1 .LBB538_10
; %bb.5:
	s_andn2_b64 vcc, exec, s[14:15]
	s_cbranch_vccnz .LBB538_7
; %bb.6:
	s_add_u32 s6, s12, s16
	s_addc_u32 s7, s13, s17
	s_load_dword s8, s[6:7], 0x0
.LBB538_7:
	s_movk_i32 s6, 0xd0
	v_cmp_gt_u32_e32 vcc, s6, v0
	s_and_saveexec_b64 s[6:7], vcc
	s_cbranch_execz .LBB538_9
; %bb.8:
	s_load_dword s11, s[4:5], 0x48
	s_load_dwordx2 s[12:13], s[4:5], 0x0
	v_lshrrev_b32_e32 v1, 4, v0
	s_mul_i32 s10, s10, 13
	v_add_lshl_u32 v2, v1, s10, 7
	s_waitcnt lgkmcnt(0)
	s_ashr_i32 s9, s11, 31
	s_mul_hi_u32 s14, s8, s11
	s_mul_i32 s9, s8, s9
	s_add_i32 s9, s14, s9
	s_mul_i32 s8, s8, s11
	s_lshl_b64 s[8:9], s[8:9], 1
	s_add_u32 s8, s12, s8
	v_ashrrev_i32_e32 v3, 31, v2
	s_addc_u32 s9, s13, s9
	v_lshlrev_b64 v[2:3], 1, v[2:3]
	v_and_b32_e32 v4, 15, v0
	v_mov_b32_e32 v5, s9
	v_add_co_u32_e32 v2, vcc, s8, v2
	v_addc_co_u32_e32 v3, vcc, v5, v3, vcc
	v_lshlrev_b32_e32 v4, 4, v4
	v_add_co_u32_e32 v2, vcc, v2, v4
	v_addc_co_u32_e32 v3, vcc, 0, v3, vcc
	global_load_dwordx4 v[2:5], v[2:3], off
	v_lshlrev_b32_e32 v6, 4, v0
	v_lshlrev_b32_e32 v0, 8, v0
	v_and_b32_e32 v6, 16, v6
	v_lshlrev_b32_e32 v1, 5, v1
	v_and_b32_e32 v0, 0xe00, v0
	v_or3_b32 v0, v0, v1, v6
	s_waitcnt vmcnt(0)
	ds_write_b128 v0, v[2:5]
.LBB538_9:
	s_or_b64 exec, exec, s[6:7]
	s_waitcnt lgkmcnt(0)
	s_add_u32 s8, s4, 0x90
	s_addc_u32 s9, s5, 0
	s_getpc_b64 s[4:5]
	s_add_u32 s4, s4, __PRETTY_FUNCTION__._Z39paged_attention_ll4mi_QKV_mfma16_kernelIDF16_hLN4vllm18Fp8KVCacheDataTypeE1EDF16_Li32ELi128ELi256ELb0ELi13EL8MFMAType1EEvPKT_PKT0_S8_ifPKiSA_SA_iPKfiiiPfSD_PS3_PT2_iSC_SC_@rel32@lo+4
	s_addc_u32 s5, s5, __PRETTY_FUNCTION__._Z39paged_attention_ll4mi_QKV_mfma16_kernelIDF16_hLN4vllm18Fp8KVCacheDataTypeE1EDF16_Li32ELi128ELi256ELb0ELi13EL8MFMAType1EEvPKT_PKT0_S8_ifPKiSA_SA_iPKfiiiPfSD_PS3_PT2_iSC_SC_@rel32@hi+12
	v_mov_b32_e32 v0, 0x288
	v_mov_b32_e32 v1, s4
	v_mov_b32_e32 v2, s5
	s_barrier
	s_getpc_b64 s[6:7]
	s_add_u32 s6, s6, __assert_fail@rel32@lo+4
	s_addc_u32 s7, s7, __assert_fail@rel32@hi+12
	s_swappc_b64 s[30:31], s[6:7]
	; divergent unreachable
.LBB538_10:
	s_endpgm
.LBB538_11:
	s_mov_b64 s[18:19], 0
	s_branch .LBB538_2
	.section	.rodata,"a",@progbits
	.p2align	6, 0x0
	.amdhsa_kernel _Z39paged_attention_ll4mi_QKV_mfma16_kernelIDF16_hLN4vllm18Fp8KVCacheDataTypeE1EDF16_Li32ELi128ELi256ELb0ELi13EL8MFMAType1EEvPKT_PKT0_S8_ifPKiSA_SA_iPKfiiiPfSD_PS3_PT2_iSC_SC_
		.amdhsa_group_segment_fixed_size 8192
		.amdhsa_private_segment_fixed_size 64
		.amdhsa_kernarg_size 400
		.amdhsa_user_sgpr_count 8
		.amdhsa_user_sgpr_private_segment_buffer 1
		.amdhsa_user_sgpr_dispatch_ptr 0
		.amdhsa_user_sgpr_queue_ptr 0
		.amdhsa_user_sgpr_kernarg_segment_ptr 1
		.amdhsa_user_sgpr_dispatch_id 0
		.amdhsa_user_sgpr_flat_scratch_init 1
		.amdhsa_user_sgpr_kernarg_preload_length 0
		.amdhsa_user_sgpr_kernarg_preload_offset 0
		.amdhsa_user_sgpr_private_segment_size 0
		.amdhsa_uses_dynamic_stack 0
		.amdhsa_system_sgpr_private_segment_wavefront_offset 1
		.amdhsa_system_sgpr_workgroup_id_x 1
		.amdhsa_system_sgpr_workgroup_id_y 1
		.amdhsa_system_sgpr_workgroup_id_z 1
		.amdhsa_system_sgpr_workgroup_info 0
		.amdhsa_system_vgpr_workitem_id 0
		.amdhsa_next_free_vgpr 45
		.amdhsa_next_free_sgpr 34
		.amdhsa_accum_offset 44
		.amdhsa_reserve_vcc 1
		.amdhsa_reserve_flat_scratch 1
		.amdhsa_float_round_mode_32 0
		.amdhsa_float_round_mode_16_64 0
		.amdhsa_float_denorm_mode_32 3
		.amdhsa_float_denorm_mode_16_64 3
		.amdhsa_dx10_clamp 1
		.amdhsa_ieee_mode 1
		.amdhsa_fp16_overflow 0
		.amdhsa_tg_split 0
		.amdhsa_exception_fp_ieee_invalid_op 0
		.amdhsa_exception_fp_denorm_src 0
		.amdhsa_exception_fp_ieee_div_zero 0
		.amdhsa_exception_fp_ieee_overflow 0
		.amdhsa_exception_fp_ieee_underflow 0
		.amdhsa_exception_fp_ieee_inexact 0
		.amdhsa_exception_int_div_zero 0
	.end_amdhsa_kernel
	.section	.text._Z39paged_attention_ll4mi_QKV_mfma16_kernelIDF16_hLN4vllm18Fp8KVCacheDataTypeE1EDF16_Li32ELi128ELi256ELb0ELi13EL8MFMAType1EEvPKT_PKT0_S8_ifPKiSA_SA_iPKfiiiPfSD_PS3_PT2_iSC_SC_,"axG",@progbits,_Z39paged_attention_ll4mi_QKV_mfma16_kernelIDF16_hLN4vllm18Fp8KVCacheDataTypeE1EDF16_Li32ELi128ELi256ELb0ELi13EL8MFMAType1EEvPKT_PKT0_S8_ifPKiSA_SA_iPKfiiiPfSD_PS3_PT2_iSC_SC_,comdat
.Lfunc_end538:
	.size	_Z39paged_attention_ll4mi_QKV_mfma16_kernelIDF16_hLN4vllm18Fp8KVCacheDataTypeE1EDF16_Li32ELi128ELi256ELb0ELi13EL8MFMAType1EEvPKT_PKT0_S8_ifPKiSA_SA_iPKfiiiPfSD_PS3_PT2_iSC_SC_, .Lfunc_end538-_Z39paged_attention_ll4mi_QKV_mfma16_kernelIDF16_hLN4vllm18Fp8KVCacheDataTypeE1EDF16_Li32ELi128ELi256ELb0ELi13EL8MFMAType1EEvPKT_PKT0_S8_ifPKiSA_SA_iPKfiiiPfSD_PS3_PT2_iSC_SC_
                                        ; -- End function
	.section	.AMDGPU.csdata,"",@progbits
; Kernel info:
; codeLenInByte = 492
; NumSgprs: 40
; NumVgprs: 42
; NumAgprs: 1
; TotalNumVgprs: 45
; ScratchSize: 64
; MemoryBound: 0
; FloatMode: 240
; IeeeMode: 1
; LDSByteSize: 8192 bytes/workgroup (compile time only)
; SGPRBlocks: 4
; VGPRBlocks: 5
; NumSGPRsForWavesPerEU: 40
; NumVGPRsForWavesPerEU: 45
; AccumOffset: 44
; Occupancy: 8
; WaveLimiterHint : 1
; COMPUTE_PGM_RSRC2:SCRATCH_EN: 1
; COMPUTE_PGM_RSRC2:USER_SGPR: 8
; COMPUTE_PGM_RSRC2:TRAP_HANDLER: 0
; COMPUTE_PGM_RSRC2:TGID_X_EN: 1
; COMPUTE_PGM_RSRC2:TGID_Y_EN: 1
; COMPUTE_PGM_RSRC2:TGID_Z_EN: 1
; COMPUTE_PGM_RSRC2:TIDIG_COMP_CNT: 0
; COMPUTE_PGM_RSRC3_GFX90A:ACCUM_OFFSET: 10
; COMPUTE_PGM_RSRC3_GFX90A:TG_SPLIT: 0
	.section	.text._Z39paged_attention_ll4mi_QKV_mfma16_kernelIDF16_hLN4vllm18Fp8KVCacheDataTypeE1EDF16_Li32ELi128ELi256ELb0ELi14EL8MFMAType1EEvPKT_PKT0_S8_ifPKiSA_SA_iPKfiiiPfSD_PS3_PT2_iSC_SC_,"axG",@progbits,_Z39paged_attention_ll4mi_QKV_mfma16_kernelIDF16_hLN4vllm18Fp8KVCacheDataTypeE1EDF16_Li32ELi128ELi256ELb0ELi14EL8MFMAType1EEvPKT_PKT0_S8_ifPKiSA_SA_iPKfiiiPfSD_PS3_PT2_iSC_SC_,comdat
	.protected	_Z39paged_attention_ll4mi_QKV_mfma16_kernelIDF16_hLN4vllm18Fp8KVCacheDataTypeE1EDF16_Li32ELi128ELi256ELb0ELi14EL8MFMAType1EEvPKT_PKT0_S8_ifPKiSA_SA_iPKfiiiPfSD_PS3_PT2_iSC_SC_ ; -- Begin function _Z39paged_attention_ll4mi_QKV_mfma16_kernelIDF16_hLN4vllm18Fp8KVCacheDataTypeE1EDF16_Li32ELi128ELi256ELb0ELi14EL8MFMAType1EEvPKT_PKT0_S8_ifPKiSA_SA_iPKfiiiPfSD_PS3_PT2_iSC_SC_
	.globl	_Z39paged_attention_ll4mi_QKV_mfma16_kernelIDF16_hLN4vllm18Fp8KVCacheDataTypeE1EDF16_Li32ELi128ELi256ELb0ELi14EL8MFMAType1EEvPKT_PKT0_S8_ifPKiSA_SA_iPKfiiiPfSD_PS3_PT2_iSC_SC_
	.p2align	8
	.type	_Z39paged_attention_ll4mi_QKV_mfma16_kernelIDF16_hLN4vllm18Fp8KVCacheDataTypeE1EDF16_Li32ELi128ELi256ELb0ELi14EL8MFMAType1EEvPKT_PKT0_S8_ifPKiSA_SA_iPKfiiiPfSD_PS3_PT2_iSC_SC_,@function
_Z39paged_attention_ll4mi_QKV_mfma16_kernelIDF16_hLN4vllm18Fp8KVCacheDataTypeE1EDF16_Li32ELi128ELi256ELb0ELi14EL8MFMAType1EEvPKT_PKT0_S8_ifPKiSA_SA_iPKfiiiPfSD_PS3_PT2_iSC_SC_: ; @_Z39paged_attention_ll4mi_QKV_mfma16_kernelIDF16_hLN4vllm18Fp8KVCacheDataTypeE1EDF16_Li32ELi128ELi256ELb0ELi14EL8MFMAType1EEvPKT_PKT0_S8_ifPKiSA_SA_iPKfiiiPfSD_PS3_PT2_iSC_SC_
; %bb.0:
	s_load_dwordx2 s[12:13], s[4:5], 0x30
	s_add_u32 flat_scratch_lo, s6, s11
	s_addc_u32 flat_scratch_hi, s7, 0
	s_add_u32 s0, s0, s11
	s_addc_u32 s1, s1, 0
	s_waitcnt lgkmcnt(0)
	s_cmp_lg_u64 s[12:13], 0
	s_cselect_b64 s[14:15], -1, 0
	s_mov_b32 s6, s9
	s_mov_b64 s[16:17], 0
	s_and_b64 vcc, exec, s[14:15]
	s_mov_b32 s32, 0
	s_cbranch_vccz .LBB539_11
; %bb.1:
	s_add_i32 s18, s8, 1
	s_mov_b32 s19, 0
	s_lshl_b64 s[20:21], s[18:19], 2
	s_add_u32 s20, s12, s20
	s_mov_b32 s9, s19
	s_addc_u32 s21, s13, s21
	s_lshl_b64 s[18:19], s[8:9], 2
	s_add_u32 s18, s12, s18
	s_addc_u32 s19, s13, s19
	s_load_dword s7, s[20:21], 0x0
	s_load_dword s11, s[18:19], 0x0
	s_waitcnt lgkmcnt(0)
	s_sub_i32 s7, s7, s11
	s_cmp_eq_u32 s7, 1
	s_cselect_b64 s[18:19], -1, 0
	s_andn2_b64 vcc, exec, s[16:17]
	s_cbranch_vccnz .LBB539_3
.LBB539_2:
	s_mov_b32 s9, 0
	s_mov_b64 s[18:19], -1
.LBB539_3:
	s_andn2_b64 vcc, exec, s[18:19]
	s_cbranch_vccnz .LBB539_10
; %bb.4:
	s_load_dwordx2 s[18:19], s[4:5], 0x28
	s_lshl_b64 s[16:17], s[8:9], 2
	s_waitcnt lgkmcnt(0)
	s_add_u32 s18, s18, s16
	s_addc_u32 s19, s19, s17
	s_load_dword s7, s[18:19], 0x0
	s_lshl_b32 s6, s6, 8
	s_waitcnt lgkmcnt(0)
	s_cmp_ge_i32 s6, s7
	s_cbranch_scc1 .LBB539_10
; %bb.5:
	s_andn2_b64 vcc, exec, s[14:15]
	s_cbranch_vccnz .LBB539_7
; %bb.6:
	s_add_u32 s6, s12, s16
	s_addc_u32 s7, s13, s17
	s_load_dword s8, s[6:7], 0x0
.LBB539_7:
	s_movk_i32 s6, 0xe0
	v_cmp_gt_u32_e32 vcc, s6, v0
	s_and_saveexec_b64 s[6:7], vcc
	s_cbranch_execz .LBB539_9
; %bb.8:
	s_load_dword s11, s[4:5], 0x48
	s_load_dwordx2 s[12:13], s[4:5], 0x0
	v_lshrrev_b32_e32 v1, 4, v0
	s_mul_i32 s10, s10, 14
	v_add_lshl_u32 v2, v1, s10, 7
	s_waitcnt lgkmcnt(0)
	s_ashr_i32 s9, s11, 31
	s_mul_hi_u32 s14, s8, s11
	s_mul_i32 s9, s8, s9
	s_add_i32 s9, s14, s9
	s_mul_i32 s8, s8, s11
	s_lshl_b64 s[8:9], s[8:9], 1
	s_add_u32 s8, s12, s8
	v_ashrrev_i32_e32 v3, 31, v2
	s_addc_u32 s9, s13, s9
	v_lshlrev_b64 v[2:3], 1, v[2:3]
	v_and_b32_e32 v4, 15, v0
	v_mov_b32_e32 v5, s9
	v_add_co_u32_e32 v2, vcc, s8, v2
	v_addc_co_u32_e32 v3, vcc, v5, v3, vcc
	v_lshlrev_b32_e32 v4, 4, v4
	v_add_co_u32_e32 v2, vcc, v2, v4
	v_addc_co_u32_e32 v3, vcc, 0, v3, vcc
	global_load_dwordx4 v[2:5], v[2:3], off
	v_lshlrev_b32_e32 v6, 4, v0
	v_lshlrev_b32_e32 v0, 8, v0
	v_and_b32_e32 v6, 16, v6
	v_lshlrev_b32_e32 v1, 5, v1
	v_and_b32_e32 v0, 0xe00, v0
	v_or3_b32 v0, v0, v1, v6
	s_waitcnt vmcnt(0)
	ds_write_b128 v0, v[2:5]
.LBB539_9:
	s_or_b64 exec, exec, s[6:7]
	s_waitcnt lgkmcnt(0)
	s_add_u32 s8, s4, 0x90
	s_addc_u32 s9, s5, 0
	s_getpc_b64 s[4:5]
	s_add_u32 s4, s4, __PRETTY_FUNCTION__._Z39paged_attention_ll4mi_QKV_mfma16_kernelIDF16_hLN4vllm18Fp8KVCacheDataTypeE1EDF16_Li32ELi128ELi256ELb0ELi14EL8MFMAType1EEvPKT_PKT0_S8_ifPKiSA_SA_iPKfiiiPfSD_PS3_PT2_iSC_SC_@rel32@lo+4
	s_addc_u32 s5, s5, __PRETTY_FUNCTION__._Z39paged_attention_ll4mi_QKV_mfma16_kernelIDF16_hLN4vllm18Fp8KVCacheDataTypeE1EDF16_Li32ELi128ELi256ELb0ELi14EL8MFMAType1EEvPKT_PKT0_S8_ifPKiSA_SA_iPKfiiiPfSD_PS3_PT2_iSC_SC_@rel32@hi+12
	v_mov_b32_e32 v0, 0x288
	v_mov_b32_e32 v1, s4
	;; [unrolled: 1-line block ×3, first 2 shown]
	s_barrier
	s_getpc_b64 s[6:7]
	s_add_u32 s6, s6, __assert_fail@rel32@lo+4
	s_addc_u32 s7, s7, __assert_fail@rel32@hi+12
	s_swappc_b64 s[30:31], s[6:7]
	; divergent unreachable
.LBB539_10:
	s_endpgm
.LBB539_11:
	s_mov_b64 s[18:19], 0
	s_branch .LBB539_2
	.section	.rodata,"a",@progbits
	.p2align	6, 0x0
	.amdhsa_kernel _Z39paged_attention_ll4mi_QKV_mfma16_kernelIDF16_hLN4vllm18Fp8KVCacheDataTypeE1EDF16_Li32ELi128ELi256ELb0ELi14EL8MFMAType1EEvPKT_PKT0_S8_ifPKiSA_SA_iPKfiiiPfSD_PS3_PT2_iSC_SC_
		.amdhsa_group_segment_fixed_size 8192
		.amdhsa_private_segment_fixed_size 64
		.amdhsa_kernarg_size 400
		.amdhsa_user_sgpr_count 8
		.amdhsa_user_sgpr_private_segment_buffer 1
		.amdhsa_user_sgpr_dispatch_ptr 0
		.amdhsa_user_sgpr_queue_ptr 0
		.amdhsa_user_sgpr_kernarg_segment_ptr 1
		.amdhsa_user_sgpr_dispatch_id 0
		.amdhsa_user_sgpr_flat_scratch_init 1
		.amdhsa_user_sgpr_kernarg_preload_length 0
		.amdhsa_user_sgpr_kernarg_preload_offset 0
		.amdhsa_user_sgpr_private_segment_size 0
		.amdhsa_uses_dynamic_stack 0
		.amdhsa_system_sgpr_private_segment_wavefront_offset 1
		.amdhsa_system_sgpr_workgroup_id_x 1
		.amdhsa_system_sgpr_workgroup_id_y 1
		.amdhsa_system_sgpr_workgroup_id_z 1
		.amdhsa_system_sgpr_workgroup_info 0
		.amdhsa_system_vgpr_workitem_id 0
		.amdhsa_next_free_vgpr 45
		.amdhsa_next_free_sgpr 34
		.amdhsa_accum_offset 44
		.amdhsa_reserve_vcc 1
		.amdhsa_reserve_flat_scratch 1
		.amdhsa_float_round_mode_32 0
		.amdhsa_float_round_mode_16_64 0
		.amdhsa_float_denorm_mode_32 3
		.amdhsa_float_denorm_mode_16_64 3
		.amdhsa_dx10_clamp 1
		.amdhsa_ieee_mode 1
		.amdhsa_fp16_overflow 0
		.amdhsa_tg_split 0
		.amdhsa_exception_fp_ieee_invalid_op 0
		.amdhsa_exception_fp_denorm_src 0
		.amdhsa_exception_fp_ieee_div_zero 0
		.amdhsa_exception_fp_ieee_overflow 0
		.amdhsa_exception_fp_ieee_underflow 0
		.amdhsa_exception_fp_ieee_inexact 0
		.amdhsa_exception_int_div_zero 0
	.end_amdhsa_kernel
	.section	.text._Z39paged_attention_ll4mi_QKV_mfma16_kernelIDF16_hLN4vllm18Fp8KVCacheDataTypeE1EDF16_Li32ELi128ELi256ELb0ELi14EL8MFMAType1EEvPKT_PKT0_S8_ifPKiSA_SA_iPKfiiiPfSD_PS3_PT2_iSC_SC_,"axG",@progbits,_Z39paged_attention_ll4mi_QKV_mfma16_kernelIDF16_hLN4vllm18Fp8KVCacheDataTypeE1EDF16_Li32ELi128ELi256ELb0ELi14EL8MFMAType1EEvPKT_PKT0_S8_ifPKiSA_SA_iPKfiiiPfSD_PS3_PT2_iSC_SC_,comdat
.Lfunc_end539:
	.size	_Z39paged_attention_ll4mi_QKV_mfma16_kernelIDF16_hLN4vllm18Fp8KVCacheDataTypeE1EDF16_Li32ELi128ELi256ELb0ELi14EL8MFMAType1EEvPKT_PKT0_S8_ifPKiSA_SA_iPKfiiiPfSD_PS3_PT2_iSC_SC_, .Lfunc_end539-_Z39paged_attention_ll4mi_QKV_mfma16_kernelIDF16_hLN4vllm18Fp8KVCacheDataTypeE1EDF16_Li32ELi128ELi256ELb0ELi14EL8MFMAType1EEvPKT_PKT0_S8_ifPKiSA_SA_iPKfiiiPfSD_PS3_PT2_iSC_SC_
                                        ; -- End function
	.section	.AMDGPU.csdata,"",@progbits
; Kernel info:
; codeLenInByte = 492
; NumSgprs: 40
; NumVgprs: 42
; NumAgprs: 1
; TotalNumVgprs: 45
; ScratchSize: 64
; MemoryBound: 0
; FloatMode: 240
; IeeeMode: 1
; LDSByteSize: 8192 bytes/workgroup (compile time only)
; SGPRBlocks: 4
; VGPRBlocks: 5
; NumSGPRsForWavesPerEU: 40
; NumVGPRsForWavesPerEU: 45
; AccumOffset: 44
; Occupancy: 8
; WaveLimiterHint : 1
; COMPUTE_PGM_RSRC2:SCRATCH_EN: 1
; COMPUTE_PGM_RSRC2:USER_SGPR: 8
; COMPUTE_PGM_RSRC2:TRAP_HANDLER: 0
; COMPUTE_PGM_RSRC2:TGID_X_EN: 1
; COMPUTE_PGM_RSRC2:TGID_Y_EN: 1
; COMPUTE_PGM_RSRC2:TGID_Z_EN: 1
; COMPUTE_PGM_RSRC2:TIDIG_COMP_CNT: 0
; COMPUTE_PGM_RSRC3_GFX90A:ACCUM_OFFSET: 10
; COMPUTE_PGM_RSRC3_GFX90A:TG_SPLIT: 0
	.section	.text._Z39paged_attention_ll4mi_QKV_mfma16_kernelIDF16_hLN4vllm18Fp8KVCacheDataTypeE1EDF16_Li32ELi128ELi256ELb0ELi15EL8MFMAType1EEvPKT_PKT0_S8_ifPKiSA_SA_iPKfiiiPfSD_PS3_PT2_iSC_SC_,"axG",@progbits,_Z39paged_attention_ll4mi_QKV_mfma16_kernelIDF16_hLN4vllm18Fp8KVCacheDataTypeE1EDF16_Li32ELi128ELi256ELb0ELi15EL8MFMAType1EEvPKT_PKT0_S8_ifPKiSA_SA_iPKfiiiPfSD_PS3_PT2_iSC_SC_,comdat
	.protected	_Z39paged_attention_ll4mi_QKV_mfma16_kernelIDF16_hLN4vllm18Fp8KVCacheDataTypeE1EDF16_Li32ELi128ELi256ELb0ELi15EL8MFMAType1EEvPKT_PKT0_S8_ifPKiSA_SA_iPKfiiiPfSD_PS3_PT2_iSC_SC_ ; -- Begin function _Z39paged_attention_ll4mi_QKV_mfma16_kernelIDF16_hLN4vllm18Fp8KVCacheDataTypeE1EDF16_Li32ELi128ELi256ELb0ELi15EL8MFMAType1EEvPKT_PKT0_S8_ifPKiSA_SA_iPKfiiiPfSD_PS3_PT2_iSC_SC_
	.globl	_Z39paged_attention_ll4mi_QKV_mfma16_kernelIDF16_hLN4vllm18Fp8KVCacheDataTypeE1EDF16_Li32ELi128ELi256ELb0ELi15EL8MFMAType1EEvPKT_PKT0_S8_ifPKiSA_SA_iPKfiiiPfSD_PS3_PT2_iSC_SC_
	.p2align	8
	.type	_Z39paged_attention_ll4mi_QKV_mfma16_kernelIDF16_hLN4vllm18Fp8KVCacheDataTypeE1EDF16_Li32ELi128ELi256ELb0ELi15EL8MFMAType1EEvPKT_PKT0_S8_ifPKiSA_SA_iPKfiiiPfSD_PS3_PT2_iSC_SC_,@function
_Z39paged_attention_ll4mi_QKV_mfma16_kernelIDF16_hLN4vllm18Fp8KVCacheDataTypeE1EDF16_Li32ELi128ELi256ELb0ELi15EL8MFMAType1EEvPKT_PKT0_S8_ifPKiSA_SA_iPKfiiiPfSD_PS3_PT2_iSC_SC_: ; @_Z39paged_attention_ll4mi_QKV_mfma16_kernelIDF16_hLN4vllm18Fp8KVCacheDataTypeE1EDF16_Li32ELi128ELi256ELb0ELi15EL8MFMAType1EEvPKT_PKT0_S8_ifPKiSA_SA_iPKfiiiPfSD_PS3_PT2_iSC_SC_
; %bb.0:
	s_load_dwordx2 s[12:13], s[4:5], 0x30
	s_add_u32 flat_scratch_lo, s6, s11
	s_addc_u32 flat_scratch_hi, s7, 0
	s_add_u32 s0, s0, s11
	s_addc_u32 s1, s1, 0
	s_waitcnt lgkmcnt(0)
	s_cmp_lg_u64 s[12:13], 0
	s_cselect_b64 s[14:15], -1, 0
	s_mov_b32 s6, s9
	s_mov_b64 s[16:17], 0
	s_and_b64 vcc, exec, s[14:15]
	s_mov_b32 s32, 0
	s_cbranch_vccz .LBB540_11
; %bb.1:
	s_add_i32 s18, s8, 1
	s_mov_b32 s19, 0
	s_lshl_b64 s[20:21], s[18:19], 2
	s_add_u32 s20, s12, s20
	s_mov_b32 s9, s19
	s_addc_u32 s21, s13, s21
	s_lshl_b64 s[18:19], s[8:9], 2
	s_add_u32 s18, s12, s18
	s_addc_u32 s19, s13, s19
	s_load_dword s7, s[20:21], 0x0
	s_load_dword s11, s[18:19], 0x0
	s_waitcnt lgkmcnt(0)
	s_sub_i32 s7, s7, s11
	s_cmp_eq_u32 s7, 1
	s_cselect_b64 s[18:19], -1, 0
	s_andn2_b64 vcc, exec, s[16:17]
	s_cbranch_vccnz .LBB540_3
.LBB540_2:
	s_mov_b32 s9, 0
	s_mov_b64 s[18:19], -1
.LBB540_3:
	s_andn2_b64 vcc, exec, s[18:19]
	s_cbranch_vccnz .LBB540_10
; %bb.4:
	s_load_dwordx2 s[18:19], s[4:5], 0x28
	s_lshl_b64 s[16:17], s[8:9], 2
	s_waitcnt lgkmcnt(0)
	s_add_u32 s18, s18, s16
	s_addc_u32 s19, s19, s17
	s_load_dword s7, s[18:19], 0x0
	s_lshl_b32 s6, s6, 8
	s_waitcnt lgkmcnt(0)
	s_cmp_ge_i32 s6, s7
	s_cbranch_scc1 .LBB540_10
; %bb.5:
	s_andn2_b64 vcc, exec, s[14:15]
	s_cbranch_vccnz .LBB540_7
; %bb.6:
	s_add_u32 s6, s12, s16
	s_addc_u32 s7, s13, s17
	s_load_dword s8, s[6:7], 0x0
.LBB540_7:
	s_movk_i32 s6, 0xf0
	v_cmp_gt_u32_e32 vcc, s6, v0
	s_and_saveexec_b64 s[6:7], vcc
	s_cbranch_execz .LBB540_9
; %bb.8:
	s_load_dword s11, s[4:5], 0x48
	s_load_dwordx2 s[12:13], s[4:5], 0x0
	v_lshrrev_b32_e32 v1, 4, v0
	s_mul_i32 s10, s10, 15
	v_add_lshl_u32 v2, v1, s10, 7
	s_waitcnt lgkmcnt(0)
	s_ashr_i32 s9, s11, 31
	s_mul_hi_u32 s14, s8, s11
	s_mul_i32 s9, s8, s9
	s_add_i32 s9, s14, s9
	s_mul_i32 s8, s8, s11
	s_lshl_b64 s[8:9], s[8:9], 1
	s_add_u32 s8, s12, s8
	v_ashrrev_i32_e32 v3, 31, v2
	s_addc_u32 s9, s13, s9
	v_lshlrev_b64 v[2:3], 1, v[2:3]
	v_and_b32_e32 v4, 15, v0
	v_mov_b32_e32 v5, s9
	v_add_co_u32_e32 v2, vcc, s8, v2
	v_addc_co_u32_e32 v3, vcc, v5, v3, vcc
	v_lshlrev_b32_e32 v4, 4, v4
	v_add_co_u32_e32 v2, vcc, v2, v4
	v_addc_co_u32_e32 v3, vcc, 0, v3, vcc
	global_load_dwordx4 v[2:5], v[2:3], off
	v_lshlrev_b32_e32 v6, 4, v0
	v_lshlrev_b32_e32 v0, 8, v0
	v_and_b32_e32 v6, 16, v6
	v_lshlrev_b32_e32 v1, 5, v1
	v_and_b32_e32 v0, 0xe00, v0
	v_or3_b32 v0, v0, v1, v6
	s_waitcnt vmcnt(0)
	ds_write_b128 v0, v[2:5]
.LBB540_9:
	s_or_b64 exec, exec, s[6:7]
	s_waitcnt lgkmcnt(0)
	s_add_u32 s8, s4, 0x90
	s_addc_u32 s9, s5, 0
	s_getpc_b64 s[4:5]
	s_add_u32 s4, s4, __PRETTY_FUNCTION__._Z39paged_attention_ll4mi_QKV_mfma16_kernelIDF16_hLN4vllm18Fp8KVCacheDataTypeE1EDF16_Li32ELi128ELi256ELb0ELi15EL8MFMAType1EEvPKT_PKT0_S8_ifPKiSA_SA_iPKfiiiPfSD_PS3_PT2_iSC_SC_@rel32@lo+4
	s_addc_u32 s5, s5, __PRETTY_FUNCTION__._Z39paged_attention_ll4mi_QKV_mfma16_kernelIDF16_hLN4vllm18Fp8KVCacheDataTypeE1EDF16_Li32ELi128ELi256ELb0ELi15EL8MFMAType1EEvPKT_PKT0_S8_ifPKiSA_SA_iPKfiiiPfSD_PS3_PT2_iSC_SC_@rel32@hi+12
	v_mov_b32_e32 v0, 0x288
	v_mov_b32_e32 v1, s4
	;; [unrolled: 1-line block ×3, first 2 shown]
	s_barrier
	s_getpc_b64 s[6:7]
	s_add_u32 s6, s6, __assert_fail@rel32@lo+4
	s_addc_u32 s7, s7, __assert_fail@rel32@hi+12
	s_swappc_b64 s[30:31], s[6:7]
	; divergent unreachable
.LBB540_10:
	s_endpgm
.LBB540_11:
	s_mov_b64 s[18:19], 0
	s_branch .LBB540_2
	.section	.rodata,"a",@progbits
	.p2align	6, 0x0
	.amdhsa_kernel _Z39paged_attention_ll4mi_QKV_mfma16_kernelIDF16_hLN4vllm18Fp8KVCacheDataTypeE1EDF16_Li32ELi128ELi256ELb0ELi15EL8MFMAType1EEvPKT_PKT0_S8_ifPKiSA_SA_iPKfiiiPfSD_PS3_PT2_iSC_SC_
		.amdhsa_group_segment_fixed_size 8192
		.amdhsa_private_segment_fixed_size 64
		.amdhsa_kernarg_size 400
		.amdhsa_user_sgpr_count 8
		.amdhsa_user_sgpr_private_segment_buffer 1
		.amdhsa_user_sgpr_dispatch_ptr 0
		.amdhsa_user_sgpr_queue_ptr 0
		.amdhsa_user_sgpr_kernarg_segment_ptr 1
		.amdhsa_user_sgpr_dispatch_id 0
		.amdhsa_user_sgpr_flat_scratch_init 1
		.amdhsa_user_sgpr_kernarg_preload_length 0
		.amdhsa_user_sgpr_kernarg_preload_offset 0
		.amdhsa_user_sgpr_private_segment_size 0
		.amdhsa_uses_dynamic_stack 0
		.amdhsa_system_sgpr_private_segment_wavefront_offset 1
		.amdhsa_system_sgpr_workgroup_id_x 1
		.amdhsa_system_sgpr_workgroup_id_y 1
		.amdhsa_system_sgpr_workgroup_id_z 1
		.amdhsa_system_sgpr_workgroup_info 0
		.amdhsa_system_vgpr_workitem_id 0
		.amdhsa_next_free_vgpr 45
		.amdhsa_next_free_sgpr 34
		.amdhsa_accum_offset 44
		.amdhsa_reserve_vcc 1
		.amdhsa_reserve_flat_scratch 1
		.amdhsa_float_round_mode_32 0
		.amdhsa_float_round_mode_16_64 0
		.amdhsa_float_denorm_mode_32 3
		.amdhsa_float_denorm_mode_16_64 3
		.amdhsa_dx10_clamp 1
		.amdhsa_ieee_mode 1
		.amdhsa_fp16_overflow 0
		.amdhsa_tg_split 0
		.amdhsa_exception_fp_ieee_invalid_op 0
		.amdhsa_exception_fp_denorm_src 0
		.amdhsa_exception_fp_ieee_div_zero 0
		.amdhsa_exception_fp_ieee_overflow 0
		.amdhsa_exception_fp_ieee_underflow 0
		.amdhsa_exception_fp_ieee_inexact 0
		.amdhsa_exception_int_div_zero 0
	.end_amdhsa_kernel
	.section	.text._Z39paged_attention_ll4mi_QKV_mfma16_kernelIDF16_hLN4vllm18Fp8KVCacheDataTypeE1EDF16_Li32ELi128ELi256ELb0ELi15EL8MFMAType1EEvPKT_PKT0_S8_ifPKiSA_SA_iPKfiiiPfSD_PS3_PT2_iSC_SC_,"axG",@progbits,_Z39paged_attention_ll4mi_QKV_mfma16_kernelIDF16_hLN4vllm18Fp8KVCacheDataTypeE1EDF16_Li32ELi128ELi256ELb0ELi15EL8MFMAType1EEvPKT_PKT0_S8_ifPKiSA_SA_iPKfiiiPfSD_PS3_PT2_iSC_SC_,comdat
.Lfunc_end540:
	.size	_Z39paged_attention_ll4mi_QKV_mfma16_kernelIDF16_hLN4vllm18Fp8KVCacheDataTypeE1EDF16_Li32ELi128ELi256ELb0ELi15EL8MFMAType1EEvPKT_PKT0_S8_ifPKiSA_SA_iPKfiiiPfSD_PS3_PT2_iSC_SC_, .Lfunc_end540-_Z39paged_attention_ll4mi_QKV_mfma16_kernelIDF16_hLN4vllm18Fp8KVCacheDataTypeE1EDF16_Li32ELi128ELi256ELb0ELi15EL8MFMAType1EEvPKT_PKT0_S8_ifPKiSA_SA_iPKfiiiPfSD_PS3_PT2_iSC_SC_
                                        ; -- End function
	.section	.AMDGPU.csdata,"",@progbits
; Kernel info:
; codeLenInByte = 492
; NumSgprs: 40
; NumVgprs: 42
; NumAgprs: 1
; TotalNumVgprs: 45
; ScratchSize: 64
; MemoryBound: 0
; FloatMode: 240
; IeeeMode: 1
; LDSByteSize: 8192 bytes/workgroup (compile time only)
; SGPRBlocks: 4
; VGPRBlocks: 5
; NumSGPRsForWavesPerEU: 40
; NumVGPRsForWavesPerEU: 45
; AccumOffset: 44
; Occupancy: 8
; WaveLimiterHint : 1
; COMPUTE_PGM_RSRC2:SCRATCH_EN: 1
; COMPUTE_PGM_RSRC2:USER_SGPR: 8
; COMPUTE_PGM_RSRC2:TRAP_HANDLER: 0
; COMPUTE_PGM_RSRC2:TGID_X_EN: 1
; COMPUTE_PGM_RSRC2:TGID_Y_EN: 1
; COMPUTE_PGM_RSRC2:TGID_Z_EN: 1
; COMPUTE_PGM_RSRC2:TIDIG_COMP_CNT: 0
; COMPUTE_PGM_RSRC3_GFX90A:ACCUM_OFFSET: 10
; COMPUTE_PGM_RSRC3_GFX90A:TG_SPLIT: 0
	.section	.text._Z39paged_attention_ll4mi_QKV_mfma16_kernelIDF16_hLN4vllm18Fp8KVCacheDataTypeE1EDF16_Li32ELi128ELi256ELb0ELi16EL8MFMAType1EEvPKT_PKT0_S8_ifPKiSA_SA_iPKfiiiPfSD_PS3_PT2_iSC_SC_,"axG",@progbits,_Z39paged_attention_ll4mi_QKV_mfma16_kernelIDF16_hLN4vllm18Fp8KVCacheDataTypeE1EDF16_Li32ELi128ELi256ELb0ELi16EL8MFMAType1EEvPKT_PKT0_S8_ifPKiSA_SA_iPKfiiiPfSD_PS3_PT2_iSC_SC_,comdat
	.protected	_Z39paged_attention_ll4mi_QKV_mfma16_kernelIDF16_hLN4vllm18Fp8KVCacheDataTypeE1EDF16_Li32ELi128ELi256ELb0ELi16EL8MFMAType1EEvPKT_PKT0_S8_ifPKiSA_SA_iPKfiiiPfSD_PS3_PT2_iSC_SC_ ; -- Begin function _Z39paged_attention_ll4mi_QKV_mfma16_kernelIDF16_hLN4vllm18Fp8KVCacheDataTypeE1EDF16_Li32ELi128ELi256ELb0ELi16EL8MFMAType1EEvPKT_PKT0_S8_ifPKiSA_SA_iPKfiiiPfSD_PS3_PT2_iSC_SC_
	.globl	_Z39paged_attention_ll4mi_QKV_mfma16_kernelIDF16_hLN4vllm18Fp8KVCacheDataTypeE1EDF16_Li32ELi128ELi256ELb0ELi16EL8MFMAType1EEvPKT_PKT0_S8_ifPKiSA_SA_iPKfiiiPfSD_PS3_PT2_iSC_SC_
	.p2align	8
	.type	_Z39paged_attention_ll4mi_QKV_mfma16_kernelIDF16_hLN4vllm18Fp8KVCacheDataTypeE1EDF16_Li32ELi128ELi256ELb0ELi16EL8MFMAType1EEvPKT_PKT0_S8_ifPKiSA_SA_iPKfiiiPfSD_PS3_PT2_iSC_SC_,@function
_Z39paged_attention_ll4mi_QKV_mfma16_kernelIDF16_hLN4vllm18Fp8KVCacheDataTypeE1EDF16_Li32ELi128ELi256ELb0ELi16EL8MFMAType1EEvPKT_PKT0_S8_ifPKiSA_SA_iPKfiiiPfSD_PS3_PT2_iSC_SC_: ; @_Z39paged_attention_ll4mi_QKV_mfma16_kernelIDF16_hLN4vllm18Fp8KVCacheDataTypeE1EDF16_Li32ELi128ELi256ELb0ELi16EL8MFMAType1EEvPKT_PKT0_S8_ifPKiSA_SA_iPKfiiiPfSD_PS3_PT2_iSC_SC_
; %bb.0:
	s_load_dwordx2 s[12:13], s[4:5], 0x30
	s_add_u32 flat_scratch_lo, s6, s11
	s_addc_u32 flat_scratch_hi, s7, 0
	s_add_u32 s0, s0, s11
	s_addc_u32 s1, s1, 0
	s_waitcnt lgkmcnt(0)
	s_cmp_lg_u64 s[12:13], 0
	s_cselect_b64 s[14:15], -1, 0
	s_mov_b32 s6, s9
	s_mov_b64 s[16:17], 0
	s_and_b64 vcc, exec, s[14:15]
	s_mov_b32 s32, 0
	s_cbranch_vccz .LBB541_11
; %bb.1:
	s_add_i32 s18, s8, 1
	s_mov_b32 s19, 0
	s_lshl_b64 s[20:21], s[18:19], 2
	s_add_u32 s20, s12, s20
	s_mov_b32 s9, s19
	s_addc_u32 s21, s13, s21
	s_lshl_b64 s[18:19], s[8:9], 2
	s_add_u32 s18, s12, s18
	s_addc_u32 s19, s13, s19
	s_load_dword s7, s[20:21], 0x0
	s_load_dword s11, s[18:19], 0x0
	s_waitcnt lgkmcnt(0)
	s_sub_i32 s7, s7, s11
	s_cmp_eq_u32 s7, 1
	s_cselect_b64 s[18:19], -1, 0
	s_andn2_b64 vcc, exec, s[16:17]
	s_cbranch_vccnz .LBB541_3
.LBB541_2:
	s_mov_b32 s9, 0
	s_mov_b64 s[18:19], -1
.LBB541_3:
	s_andn2_b64 vcc, exec, s[18:19]
	s_cbranch_vccnz .LBB541_10
; %bb.4:
	s_load_dwordx2 s[18:19], s[4:5], 0x28
	s_lshl_b64 s[16:17], s[8:9], 2
	s_waitcnt lgkmcnt(0)
	s_add_u32 s18, s18, s16
	s_addc_u32 s19, s19, s17
	s_load_dword s7, s[18:19], 0x0
	s_lshl_b32 s6, s6, 8
	s_waitcnt lgkmcnt(0)
	s_cmp_ge_i32 s6, s7
	s_cbranch_scc1 .LBB541_10
; %bb.5:
	s_andn2_b64 vcc, exec, s[14:15]
	s_cbranch_vccnz .LBB541_7
; %bb.6:
	s_add_u32 s6, s12, s16
	s_addc_u32 s7, s13, s17
	s_load_dword s8, s[6:7], 0x0
.LBB541_7:
	s_movk_i32 s6, 0x100
	v_cmp_gt_u32_e32 vcc, s6, v0
	s_and_saveexec_b64 s[6:7], vcc
	s_cbranch_execz .LBB541_9
; %bb.8:
	s_load_dword s11, s[4:5], 0x48
	s_load_dwordx2 s[12:13], s[4:5], 0x0
	v_lshrrev_b32_e32 v6, 4, v0
	v_and_b32_e32 v1, 15, v0
	v_lshlrev_b32_e32 v1, 4, v1
	s_waitcnt lgkmcnt(0)
	s_ashr_i32 s9, s11, 31
	s_mul_hi_u32 s14, s8, s11
	s_mul_i32 s9, s8, s9
	s_add_i32 s9, s14, s9
	s_mul_i32 s8, s8, s11
	s_lshl_b64 s[8:9], s[8:9], 1
	s_add_u32 s8, s12, s8
	s_addc_u32 s9, s13, s9
	s_lshl_b32 s10, s10, 11
	v_lshl_or_b32 v2, v6, 7, s10
	v_ashrrev_i32_e32 v3, 31, v2
	v_lshlrev_b64 v[2:3], 1, v[2:3]
	v_mov_b32_e32 v4, s9
	v_add_co_u32_e32 v2, vcc, s8, v2
	v_addc_co_u32_e32 v3, vcc, v4, v3, vcc
	v_add_co_u32_e32 v2, vcc, v2, v1
	v_addc_co_u32_e32 v3, vcc, 0, v3, vcc
	global_load_dwordx4 v[2:5], v[2:3], off
	v_lshlrev_b32_e32 v1, 4, v0
	v_lshlrev_b32_e32 v0, 8, v0
	v_and_b32_e32 v1, 16, v1
	v_lshlrev_b32_e32 v6, 5, v6
	v_and_b32_e32 v0, 0xe00, v0
	v_or3_b32 v0, v0, v6, v1
	s_waitcnt vmcnt(0)
	ds_write_b128 v0, v[2:5]
.LBB541_9:
	s_or_b64 exec, exec, s[6:7]
	s_waitcnt lgkmcnt(0)
	s_add_u32 s8, s4, 0x90
	s_addc_u32 s9, s5, 0
	s_getpc_b64 s[4:5]
	s_add_u32 s4, s4, __PRETTY_FUNCTION__._Z39paged_attention_ll4mi_QKV_mfma16_kernelIDF16_hLN4vllm18Fp8KVCacheDataTypeE1EDF16_Li32ELi128ELi256ELb0ELi16EL8MFMAType1EEvPKT_PKT0_S8_ifPKiSA_SA_iPKfiiiPfSD_PS3_PT2_iSC_SC_@rel32@lo+4
	s_addc_u32 s5, s5, __PRETTY_FUNCTION__._Z39paged_attention_ll4mi_QKV_mfma16_kernelIDF16_hLN4vllm18Fp8KVCacheDataTypeE1EDF16_Li32ELi128ELi256ELb0ELi16EL8MFMAType1EEvPKT_PKT0_S8_ifPKiSA_SA_iPKfiiiPfSD_PS3_PT2_iSC_SC_@rel32@hi+12
	v_mov_b32_e32 v0, 0x288
	v_mov_b32_e32 v1, s4
	;; [unrolled: 1-line block ×3, first 2 shown]
	s_barrier
	s_getpc_b64 s[6:7]
	s_add_u32 s6, s6, __assert_fail@rel32@lo+4
	s_addc_u32 s7, s7, __assert_fail@rel32@hi+12
	s_swappc_b64 s[30:31], s[6:7]
	; divergent unreachable
.LBB541_10:
	s_endpgm
.LBB541_11:
	s_mov_b64 s[18:19], 0
	s_branch .LBB541_2
	.section	.rodata,"a",@progbits
	.p2align	6, 0x0
	.amdhsa_kernel _Z39paged_attention_ll4mi_QKV_mfma16_kernelIDF16_hLN4vllm18Fp8KVCacheDataTypeE1EDF16_Li32ELi128ELi256ELb0ELi16EL8MFMAType1EEvPKT_PKT0_S8_ifPKiSA_SA_iPKfiiiPfSD_PS3_PT2_iSC_SC_
		.amdhsa_group_segment_fixed_size 8192
		.amdhsa_private_segment_fixed_size 64
		.amdhsa_kernarg_size 400
		.amdhsa_user_sgpr_count 8
		.amdhsa_user_sgpr_private_segment_buffer 1
		.amdhsa_user_sgpr_dispatch_ptr 0
		.amdhsa_user_sgpr_queue_ptr 0
		.amdhsa_user_sgpr_kernarg_segment_ptr 1
		.amdhsa_user_sgpr_dispatch_id 0
		.amdhsa_user_sgpr_flat_scratch_init 1
		.amdhsa_user_sgpr_kernarg_preload_length 0
		.amdhsa_user_sgpr_kernarg_preload_offset 0
		.amdhsa_user_sgpr_private_segment_size 0
		.amdhsa_uses_dynamic_stack 0
		.amdhsa_system_sgpr_private_segment_wavefront_offset 1
		.amdhsa_system_sgpr_workgroup_id_x 1
		.amdhsa_system_sgpr_workgroup_id_y 1
		.amdhsa_system_sgpr_workgroup_id_z 1
		.amdhsa_system_sgpr_workgroup_info 0
		.amdhsa_system_vgpr_workitem_id 0
		.amdhsa_next_free_vgpr 45
		.amdhsa_next_free_sgpr 34
		.amdhsa_accum_offset 44
		.amdhsa_reserve_vcc 1
		.amdhsa_reserve_flat_scratch 1
		.amdhsa_float_round_mode_32 0
		.amdhsa_float_round_mode_16_64 0
		.amdhsa_float_denorm_mode_32 3
		.amdhsa_float_denorm_mode_16_64 3
		.amdhsa_dx10_clamp 1
		.amdhsa_ieee_mode 1
		.amdhsa_fp16_overflow 0
		.amdhsa_tg_split 0
		.amdhsa_exception_fp_ieee_invalid_op 0
		.amdhsa_exception_fp_denorm_src 0
		.amdhsa_exception_fp_ieee_div_zero 0
		.amdhsa_exception_fp_ieee_overflow 0
		.amdhsa_exception_fp_ieee_underflow 0
		.amdhsa_exception_fp_ieee_inexact 0
		.amdhsa_exception_int_div_zero 0
	.end_amdhsa_kernel
	.section	.text._Z39paged_attention_ll4mi_QKV_mfma16_kernelIDF16_hLN4vllm18Fp8KVCacheDataTypeE1EDF16_Li32ELi128ELi256ELb0ELi16EL8MFMAType1EEvPKT_PKT0_S8_ifPKiSA_SA_iPKfiiiPfSD_PS3_PT2_iSC_SC_,"axG",@progbits,_Z39paged_attention_ll4mi_QKV_mfma16_kernelIDF16_hLN4vllm18Fp8KVCacheDataTypeE1EDF16_Li32ELi128ELi256ELb0ELi16EL8MFMAType1EEvPKT_PKT0_S8_ifPKiSA_SA_iPKfiiiPfSD_PS3_PT2_iSC_SC_,comdat
.Lfunc_end541:
	.size	_Z39paged_attention_ll4mi_QKV_mfma16_kernelIDF16_hLN4vllm18Fp8KVCacheDataTypeE1EDF16_Li32ELi128ELi256ELb0ELi16EL8MFMAType1EEvPKT_PKT0_S8_ifPKiSA_SA_iPKfiiiPfSD_PS3_PT2_iSC_SC_, .Lfunc_end541-_Z39paged_attention_ll4mi_QKV_mfma16_kernelIDF16_hLN4vllm18Fp8KVCacheDataTypeE1EDF16_Li32ELi128ELi256ELb0ELi16EL8MFMAType1EEvPKT_PKT0_S8_ifPKiSA_SA_iPKfiiiPfSD_PS3_PT2_iSC_SC_
                                        ; -- End function
	.section	.AMDGPU.csdata,"",@progbits
; Kernel info:
; codeLenInByte = 492
; NumSgprs: 40
; NumVgprs: 42
; NumAgprs: 1
; TotalNumVgprs: 45
; ScratchSize: 64
; MemoryBound: 0
; FloatMode: 240
; IeeeMode: 1
; LDSByteSize: 8192 bytes/workgroup (compile time only)
; SGPRBlocks: 4
; VGPRBlocks: 5
; NumSGPRsForWavesPerEU: 40
; NumVGPRsForWavesPerEU: 45
; AccumOffset: 44
; Occupancy: 8
; WaveLimiterHint : 1
; COMPUTE_PGM_RSRC2:SCRATCH_EN: 1
; COMPUTE_PGM_RSRC2:USER_SGPR: 8
; COMPUTE_PGM_RSRC2:TRAP_HANDLER: 0
; COMPUTE_PGM_RSRC2:TGID_X_EN: 1
; COMPUTE_PGM_RSRC2:TGID_Y_EN: 1
; COMPUTE_PGM_RSRC2:TGID_Z_EN: 1
; COMPUTE_PGM_RSRC2:TIDIG_COMP_CNT: 0
; COMPUTE_PGM_RSRC3_GFX90A:ACCUM_OFFSET: 10
; COMPUTE_PGM_RSRC3_GFX90A:TG_SPLIT: 0
	.section	.text._Z39paged_attention_ll4mi_QKV_mfma16_kernelIDF16_hLN4vllm18Fp8KVCacheDataTypeE1EDF16_Li32ELi128ELi256ELb0ELi1EL8MFMAType1EEvPKT_PKT0_S8_ifPKiSA_SA_iPKfiiiPfSD_PS3_PT2_iSC_SC_,"axG",@progbits,_Z39paged_attention_ll4mi_QKV_mfma16_kernelIDF16_hLN4vllm18Fp8KVCacheDataTypeE1EDF16_Li32ELi128ELi256ELb0ELi1EL8MFMAType1EEvPKT_PKT0_S8_ifPKiSA_SA_iPKfiiiPfSD_PS3_PT2_iSC_SC_,comdat
	.protected	_Z39paged_attention_ll4mi_QKV_mfma16_kernelIDF16_hLN4vllm18Fp8KVCacheDataTypeE1EDF16_Li32ELi128ELi256ELb0ELi1EL8MFMAType1EEvPKT_PKT0_S8_ifPKiSA_SA_iPKfiiiPfSD_PS3_PT2_iSC_SC_ ; -- Begin function _Z39paged_attention_ll4mi_QKV_mfma16_kernelIDF16_hLN4vllm18Fp8KVCacheDataTypeE1EDF16_Li32ELi128ELi256ELb0ELi1EL8MFMAType1EEvPKT_PKT0_S8_ifPKiSA_SA_iPKfiiiPfSD_PS3_PT2_iSC_SC_
	.globl	_Z39paged_attention_ll4mi_QKV_mfma16_kernelIDF16_hLN4vllm18Fp8KVCacheDataTypeE1EDF16_Li32ELi128ELi256ELb0ELi1EL8MFMAType1EEvPKT_PKT0_S8_ifPKiSA_SA_iPKfiiiPfSD_PS3_PT2_iSC_SC_
	.p2align	8
	.type	_Z39paged_attention_ll4mi_QKV_mfma16_kernelIDF16_hLN4vllm18Fp8KVCacheDataTypeE1EDF16_Li32ELi128ELi256ELb0ELi1EL8MFMAType1EEvPKT_PKT0_S8_ifPKiSA_SA_iPKfiiiPfSD_PS3_PT2_iSC_SC_,@function
_Z39paged_attention_ll4mi_QKV_mfma16_kernelIDF16_hLN4vllm18Fp8KVCacheDataTypeE1EDF16_Li32ELi128ELi256ELb0ELi1EL8MFMAType1EEvPKT_PKT0_S8_ifPKiSA_SA_iPKfiiiPfSD_PS3_PT2_iSC_SC_: ; @_Z39paged_attention_ll4mi_QKV_mfma16_kernelIDF16_hLN4vllm18Fp8KVCacheDataTypeE1EDF16_Li32ELi128ELi256ELb0ELi1EL8MFMAType1EEvPKT_PKT0_S8_ifPKiSA_SA_iPKfiiiPfSD_PS3_PT2_iSC_SC_
; %bb.0:
	s_load_dwordx2 s[12:13], s[4:5], 0x30
	s_add_u32 flat_scratch_lo, s6, s11
	s_addc_u32 flat_scratch_hi, s7, 0
	s_add_u32 s0, s0, s11
	s_addc_u32 s1, s1, 0
	s_waitcnt lgkmcnt(0)
	s_cmp_lg_u64 s[12:13], 0
	s_cselect_b64 s[14:15], -1, 0
	s_mov_b32 s6, s9
	s_mov_b64 s[16:17], 0
	s_and_b64 vcc, exec, s[14:15]
	s_mov_b32 s32, 0
	s_cbranch_vccz .LBB542_11
; %bb.1:
	s_add_i32 s18, s8, 1
	s_mov_b32 s19, 0
	s_lshl_b64 s[20:21], s[18:19], 2
	s_add_u32 s20, s12, s20
	s_mov_b32 s9, s19
	s_addc_u32 s21, s13, s21
	s_lshl_b64 s[18:19], s[8:9], 2
	s_add_u32 s18, s12, s18
	s_addc_u32 s19, s13, s19
	s_load_dword s7, s[20:21], 0x0
	s_load_dword s11, s[18:19], 0x0
	s_waitcnt lgkmcnt(0)
	s_sub_i32 s7, s7, s11
	s_cmp_eq_u32 s7, 1
	s_cselect_b64 s[18:19], -1, 0
	s_andn2_b64 vcc, exec, s[16:17]
	s_cbranch_vccnz .LBB542_3
.LBB542_2:
	s_mov_b32 s9, 0
	s_mov_b64 s[18:19], -1
.LBB542_3:
	s_andn2_b64 vcc, exec, s[18:19]
	s_cbranch_vccnz .LBB542_10
; %bb.4:
	s_load_dwordx2 s[18:19], s[4:5], 0x28
	s_lshl_b64 s[16:17], s[8:9], 2
	s_waitcnt lgkmcnt(0)
	s_add_u32 s18, s18, s16
	s_addc_u32 s19, s19, s17
	s_load_dword s7, s[18:19], 0x0
	s_lshl_b32 s6, s6, 8
	s_waitcnt lgkmcnt(0)
	s_cmp_ge_i32 s6, s7
	s_cbranch_scc1 .LBB542_10
; %bb.5:
	s_andn2_b64 vcc, exec, s[14:15]
	s_cbranch_vccnz .LBB542_7
; %bb.6:
	s_add_u32 s6, s12, s16
	s_addc_u32 s7, s13, s17
	s_load_dword s8, s[6:7], 0x0
.LBB542_7:
	v_cmp_gt_u32_e32 vcc, 16, v0
	s_and_saveexec_b64 s[6:7], vcc
	s_cbranch_execz .LBB542_9
; %bb.8:
	s_load_dword s9, s[4:5], 0x48
	s_load_dwordx2 s[12:13], s[4:5], 0x0
	v_lshlrev_b32_e32 v1, 4, v0
	v_lshlrev_b32_e32 v0, 8, v0
	s_waitcnt lgkmcnt(0)
	s_ashr_i32 s11, s9, 31
	s_mul_hi_u32 s15, s8, s9
	s_mul_i32 s14, s8, s9
	s_mul_i32 s8, s8, s11
	s_add_i32 s15, s15, s8
	s_lshl_b64 s[8:9], s[14:15], 1
	s_add_u32 s11, s12, s8
	s_addc_u32 s12, s13, s9
	s_lshl_b32 s8, s10, 7
	s_ashr_i32 s9, s8, 31
	s_lshl_b64 s[8:9], s[8:9], 1
	s_add_u32 s8, s11, s8
	s_addc_u32 s9, s12, s9
	global_load_dwordx4 v[2:5], v1, s[8:9]
	v_and_b32_e32 v1, 16, v1
	s_mov_b32 s8, 0xfe00
	v_and_or_b32 v0, v0, s8, v1
	s_waitcnt vmcnt(0)
	ds_write_b128 v0, v[2:5]
.LBB542_9:
	s_or_b64 exec, exec, s[6:7]
	s_waitcnt lgkmcnt(0)
	s_add_u32 s8, s4, 0x90
	s_addc_u32 s9, s5, 0
	s_getpc_b64 s[4:5]
	s_add_u32 s4, s4, __PRETTY_FUNCTION__._Z39paged_attention_ll4mi_QKV_mfma16_kernelIDF16_hLN4vllm18Fp8KVCacheDataTypeE1EDF16_Li32ELi128ELi256ELb0ELi1EL8MFMAType1EEvPKT_PKT0_S8_ifPKiSA_SA_iPKfiiiPfSD_PS3_PT2_iSC_SC_@rel32@lo+4
	s_addc_u32 s5, s5, __PRETTY_FUNCTION__._Z39paged_attention_ll4mi_QKV_mfma16_kernelIDF16_hLN4vllm18Fp8KVCacheDataTypeE1EDF16_Li32ELi128ELi256ELb0ELi1EL8MFMAType1EEvPKT_PKT0_S8_ifPKiSA_SA_iPKfiiiPfSD_PS3_PT2_iSC_SC_@rel32@hi+12
	v_mov_b32_e32 v0, 0x288
	v_mov_b32_e32 v1, s4
	;; [unrolled: 1-line block ×3, first 2 shown]
	s_barrier
	s_getpc_b64 s[6:7]
	s_add_u32 s6, s6, __assert_fail@rel32@lo+4
	s_addc_u32 s7, s7, __assert_fail@rel32@hi+12
	s_swappc_b64 s[30:31], s[6:7]
	; divergent unreachable
.LBB542_10:
	s_endpgm
.LBB542_11:
	s_mov_b64 s[18:19], 0
	s_branch .LBB542_2
	.section	.rodata,"a",@progbits
	.p2align	6, 0x0
	.amdhsa_kernel _Z39paged_attention_ll4mi_QKV_mfma16_kernelIDF16_hLN4vllm18Fp8KVCacheDataTypeE1EDF16_Li32ELi128ELi256ELb0ELi1EL8MFMAType1EEvPKT_PKT0_S8_ifPKiSA_SA_iPKfiiiPfSD_PS3_PT2_iSC_SC_
		.amdhsa_group_segment_fixed_size 8192
		.amdhsa_private_segment_fixed_size 64
		.amdhsa_kernarg_size 400
		.amdhsa_user_sgpr_count 8
		.amdhsa_user_sgpr_private_segment_buffer 1
		.amdhsa_user_sgpr_dispatch_ptr 0
		.amdhsa_user_sgpr_queue_ptr 0
		.amdhsa_user_sgpr_kernarg_segment_ptr 1
		.amdhsa_user_sgpr_dispatch_id 0
		.amdhsa_user_sgpr_flat_scratch_init 1
		.amdhsa_user_sgpr_kernarg_preload_length 0
		.amdhsa_user_sgpr_kernarg_preload_offset 0
		.amdhsa_user_sgpr_private_segment_size 0
		.amdhsa_uses_dynamic_stack 0
		.amdhsa_system_sgpr_private_segment_wavefront_offset 1
		.amdhsa_system_sgpr_workgroup_id_x 1
		.amdhsa_system_sgpr_workgroup_id_y 1
		.amdhsa_system_sgpr_workgroup_id_z 1
		.amdhsa_system_sgpr_workgroup_info 0
		.amdhsa_system_vgpr_workitem_id 0
		.amdhsa_next_free_vgpr 45
		.amdhsa_next_free_sgpr 34
		.amdhsa_accum_offset 44
		.amdhsa_reserve_vcc 1
		.amdhsa_reserve_flat_scratch 1
		.amdhsa_float_round_mode_32 0
		.amdhsa_float_round_mode_16_64 0
		.amdhsa_float_denorm_mode_32 3
		.amdhsa_float_denorm_mode_16_64 3
		.amdhsa_dx10_clamp 1
		.amdhsa_ieee_mode 1
		.amdhsa_fp16_overflow 0
		.amdhsa_tg_split 0
		.amdhsa_exception_fp_ieee_invalid_op 0
		.amdhsa_exception_fp_denorm_src 0
		.amdhsa_exception_fp_ieee_div_zero 0
		.amdhsa_exception_fp_ieee_overflow 0
		.amdhsa_exception_fp_ieee_underflow 0
		.amdhsa_exception_fp_ieee_inexact 0
		.amdhsa_exception_int_div_zero 0
	.end_amdhsa_kernel
	.section	.text._Z39paged_attention_ll4mi_QKV_mfma16_kernelIDF16_hLN4vllm18Fp8KVCacheDataTypeE1EDF16_Li32ELi128ELi256ELb0ELi1EL8MFMAType1EEvPKT_PKT0_S8_ifPKiSA_SA_iPKfiiiPfSD_PS3_PT2_iSC_SC_,"axG",@progbits,_Z39paged_attention_ll4mi_QKV_mfma16_kernelIDF16_hLN4vllm18Fp8KVCacheDataTypeE1EDF16_Li32ELi128ELi256ELb0ELi1EL8MFMAType1EEvPKT_PKT0_S8_ifPKiSA_SA_iPKfiiiPfSD_PS3_PT2_iSC_SC_,comdat
.Lfunc_end542:
	.size	_Z39paged_attention_ll4mi_QKV_mfma16_kernelIDF16_hLN4vllm18Fp8KVCacheDataTypeE1EDF16_Li32ELi128ELi256ELb0ELi1EL8MFMAType1EEvPKT_PKT0_S8_ifPKiSA_SA_iPKfiiiPfSD_PS3_PT2_iSC_SC_, .Lfunc_end542-_Z39paged_attention_ll4mi_QKV_mfma16_kernelIDF16_hLN4vllm18Fp8KVCacheDataTypeE1EDF16_Li32ELi128ELi256ELb0ELi1EL8MFMAType1EEvPKT_PKT0_S8_ifPKiSA_SA_iPKfiiiPfSD_PS3_PT2_iSC_SC_
                                        ; -- End function
	.section	.AMDGPU.csdata,"",@progbits
; Kernel info:
; codeLenInByte = 448
; NumSgprs: 40
; NumVgprs: 42
; NumAgprs: 1
; TotalNumVgprs: 45
; ScratchSize: 64
; MemoryBound: 0
; FloatMode: 240
; IeeeMode: 1
; LDSByteSize: 8192 bytes/workgroup (compile time only)
; SGPRBlocks: 4
; VGPRBlocks: 5
; NumSGPRsForWavesPerEU: 40
; NumVGPRsForWavesPerEU: 45
; AccumOffset: 44
; Occupancy: 8
; WaveLimiterHint : 1
; COMPUTE_PGM_RSRC2:SCRATCH_EN: 1
; COMPUTE_PGM_RSRC2:USER_SGPR: 8
; COMPUTE_PGM_RSRC2:TRAP_HANDLER: 0
; COMPUTE_PGM_RSRC2:TGID_X_EN: 1
; COMPUTE_PGM_RSRC2:TGID_Y_EN: 1
; COMPUTE_PGM_RSRC2:TGID_Z_EN: 1
; COMPUTE_PGM_RSRC2:TIDIG_COMP_CNT: 0
; COMPUTE_PGM_RSRC3_GFX90A:ACCUM_OFFSET: 10
; COMPUTE_PGM_RSRC3_GFX90A:TG_SPLIT: 0
	.section	.text._Z39paged_attention_ll4mi_QKV_mfma16_kernelIDF16_hLN4vllm18Fp8KVCacheDataTypeE1EDF16_Li32ELi128ELi256ELb0ELi2EL8MFMAType1EEvPKT_PKT0_S8_ifPKiSA_SA_iPKfiiiPfSD_PS3_PT2_iSC_SC_,"axG",@progbits,_Z39paged_attention_ll4mi_QKV_mfma16_kernelIDF16_hLN4vllm18Fp8KVCacheDataTypeE1EDF16_Li32ELi128ELi256ELb0ELi2EL8MFMAType1EEvPKT_PKT0_S8_ifPKiSA_SA_iPKfiiiPfSD_PS3_PT2_iSC_SC_,comdat
	.protected	_Z39paged_attention_ll4mi_QKV_mfma16_kernelIDF16_hLN4vllm18Fp8KVCacheDataTypeE1EDF16_Li32ELi128ELi256ELb0ELi2EL8MFMAType1EEvPKT_PKT0_S8_ifPKiSA_SA_iPKfiiiPfSD_PS3_PT2_iSC_SC_ ; -- Begin function _Z39paged_attention_ll4mi_QKV_mfma16_kernelIDF16_hLN4vllm18Fp8KVCacheDataTypeE1EDF16_Li32ELi128ELi256ELb0ELi2EL8MFMAType1EEvPKT_PKT0_S8_ifPKiSA_SA_iPKfiiiPfSD_PS3_PT2_iSC_SC_
	.globl	_Z39paged_attention_ll4mi_QKV_mfma16_kernelIDF16_hLN4vllm18Fp8KVCacheDataTypeE1EDF16_Li32ELi128ELi256ELb0ELi2EL8MFMAType1EEvPKT_PKT0_S8_ifPKiSA_SA_iPKfiiiPfSD_PS3_PT2_iSC_SC_
	.p2align	8
	.type	_Z39paged_attention_ll4mi_QKV_mfma16_kernelIDF16_hLN4vllm18Fp8KVCacheDataTypeE1EDF16_Li32ELi128ELi256ELb0ELi2EL8MFMAType1EEvPKT_PKT0_S8_ifPKiSA_SA_iPKfiiiPfSD_PS3_PT2_iSC_SC_,@function
_Z39paged_attention_ll4mi_QKV_mfma16_kernelIDF16_hLN4vllm18Fp8KVCacheDataTypeE1EDF16_Li32ELi128ELi256ELb0ELi2EL8MFMAType1EEvPKT_PKT0_S8_ifPKiSA_SA_iPKfiiiPfSD_PS3_PT2_iSC_SC_: ; @_Z39paged_attention_ll4mi_QKV_mfma16_kernelIDF16_hLN4vllm18Fp8KVCacheDataTypeE1EDF16_Li32ELi128ELi256ELb0ELi2EL8MFMAType1EEvPKT_PKT0_S8_ifPKiSA_SA_iPKfiiiPfSD_PS3_PT2_iSC_SC_
; %bb.0:
	s_load_dwordx2 s[12:13], s[4:5], 0x30
	s_add_u32 flat_scratch_lo, s6, s11
	s_addc_u32 flat_scratch_hi, s7, 0
	s_add_u32 s0, s0, s11
	s_addc_u32 s1, s1, 0
	s_waitcnt lgkmcnt(0)
	s_cmp_lg_u64 s[12:13], 0
	s_cselect_b64 s[14:15], -1, 0
	s_mov_b32 s6, s9
	s_mov_b64 s[16:17], 0
	s_and_b64 vcc, exec, s[14:15]
	s_mov_b32 s32, 0
	s_cbranch_vccz .LBB543_11
; %bb.1:
	s_add_i32 s18, s8, 1
	s_mov_b32 s19, 0
	s_lshl_b64 s[20:21], s[18:19], 2
	s_add_u32 s20, s12, s20
	s_mov_b32 s9, s19
	s_addc_u32 s21, s13, s21
	s_lshl_b64 s[18:19], s[8:9], 2
	s_add_u32 s18, s12, s18
	s_addc_u32 s19, s13, s19
	s_load_dword s7, s[20:21], 0x0
	s_load_dword s11, s[18:19], 0x0
	s_waitcnt lgkmcnt(0)
	s_sub_i32 s7, s7, s11
	s_cmp_eq_u32 s7, 1
	s_cselect_b64 s[18:19], -1, 0
	s_andn2_b64 vcc, exec, s[16:17]
	s_cbranch_vccnz .LBB543_3
.LBB543_2:
	s_mov_b32 s9, 0
	s_mov_b64 s[18:19], -1
.LBB543_3:
	s_andn2_b64 vcc, exec, s[18:19]
	s_cbranch_vccnz .LBB543_10
; %bb.4:
	s_load_dwordx2 s[18:19], s[4:5], 0x28
	s_lshl_b64 s[16:17], s[8:9], 2
	s_waitcnt lgkmcnt(0)
	s_add_u32 s18, s18, s16
	s_addc_u32 s19, s19, s17
	s_load_dword s7, s[18:19], 0x0
	s_lshl_b32 s6, s6, 8
	s_waitcnt lgkmcnt(0)
	s_cmp_ge_i32 s6, s7
	s_cbranch_scc1 .LBB543_10
; %bb.5:
	s_andn2_b64 vcc, exec, s[14:15]
	s_cbranch_vccnz .LBB543_7
; %bb.6:
	s_add_u32 s6, s12, s16
	s_addc_u32 s7, s13, s17
	s_load_dword s8, s[6:7], 0x0
.LBB543_7:
	v_cmp_gt_u32_e32 vcc, 32, v0
	s_and_saveexec_b64 s[6:7], vcc
	s_cbranch_execz .LBB543_9
; %bb.8:
	s_load_dword s11, s[4:5], 0x48
	s_load_dwordx2 s[12:13], s[4:5], 0x0
	v_lshrrev_b32_e32 v6, 4, v0
	v_and_b32_e32 v1, 15, v0
	v_lshlrev_b32_e32 v1, 4, v1
	s_waitcnt lgkmcnt(0)
	s_ashr_i32 s9, s11, 31
	s_mul_hi_u32 s14, s8, s11
	s_mul_i32 s9, s8, s9
	s_add_i32 s9, s14, s9
	s_mul_i32 s8, s8, s11
	s_lshl_b64 s[8:9], s[8:9], 1
	s_add_u32 s8, s12, s8
	s_addc_u32 s9, s13, s9
	s_lshl_b32 s10, s10, 8
	v_lshl_or_b32 v2, v6, 7, s10
	v_ashrrev_i32_e32 v3, 31, v2
	v_lshlrev_b64 v[2:3], 1, v[2:3]
	v_mov_b32_e32 v4, s9
	v_add_co_u32_e32 v2, vcc, s8, v2
	v_addc_co_u32_e32 v3, vcc, v4, v3, vcc
	v_add_co_u32_e32 v2, vcc, v2, v1
	v_addc_co_u32_e32 v3, vcc, 0, v3, vcc
	global_load_dwordx4 v[2:5], v[2:3], off
	v_lshlrev_b32_e32 v1, 4, v0
	v_lshlrev_b32_e32 v0, 8, v0
	v_and_b32_e32 v1, 16, v1
	v_lshlrev_b32_e32 v6, 5, v6
	v_and_b32_e32 v0, 0xe00, v0
	v_or3_b32 v0, v0, v6, v1
	s_waitcnt vmcnt(0)
	ds_write_b128 v0, v[2:5]
.LBB543_9:
	s_or_b64 exec, exec, s[6:7]
	s_waitcnt lgkmcnt(0)
	s_add_u32 s8, s4, 0x90
	s_addc_u32 s9, s5, 0
	s_getpc_b64 s[4:5]
	s_add_u32 s4, s4, __PRETTY_FUNCTION__._Z39paged_attention_ll4mi_QKV_mfma16_kernelIDF16_hLN4vllm18Fp8KVCacheDataTypeE1EDF16_Li32ELi128ELi256ELb0ELi2EL8MFMAType1EEvPKT_PKT0_S8_ifPKiSA_SA_iPKfiiiPfSD_PS3_PT2_iSC_SC_@rel32@lo+4
	s_addc_u32 s5, s5, __PRETTY_FUNCTION__._Z39paged_attention_ll4mi_QKV_mfma16_kernelIDF16_hLN4vllm18Fp8KVCacheDataTypeE1EDF16_Li32ELi128ELi256ELb0ELi2EL8MFMAType1EEvPKT_PKT0_S8_ifPKiSA_SA_iPKfiiiPfSD_PS3_PT2_iSC_SC_@rel32@hi+12
	v_mov_b32_e32 v0, 0x288
	v_mov_b32_e32 v1, s4
	;; [unrolled: 1-line block ×3, first 2 shown]
	s_barrier
	s_getpc_b64 s[6:7]
	s_add_u32 s6, s6, __assert_fail@rel32@lo+4
	s_addc_u32 s7, s7, __assert_fail@rel32@hi+12
	s_swappc_b64 s[30:31], s[6:7]
	; divergent unreachable
.LBB543_10:
	s_endpgm
.LBB543_11:
	s_mov_b64 s[18:19], 0
	s_branch .LBB543_2
	.section	.rodata,"a",@progbits
	.p2align	6, 0x0
	.amdhsa_kernel _Z39paged_attention_ll4mi_QKV_mfma16_kernelIDF16_hLN4vllm18Fp8KVCacheDataTypeE1EDF16_Li32ELi128ELi256ELb0ELi2EL8MFMAType1EEvPKT_PKT0_S8_ifPKiSA_SA_iPKfiiiPfSD_PS3_PT2_iSC_SC_
		.amdhsa_group_segment_fixed_size 8192
		.amdhsa_private_segment_fixed_size 64
		.amdhsa_kernarg_size 400
		.amdhsa_user_sgpr_count 8
		.amdhsa_user_sgpr_private_segment_buffer 1
		.amdhsa_user_sgpr_dispatch_ptr 0
		.amdhsa_user_sgpr_queue_ptr 0
		.amdhsa_user_sgpr_kernarg_segment_ptr 1
		.amdhsa_user_sgpr_dispatch_id 0
		.amdhsa_user_sgpr_flat_scratch_init 1
		.amdhsa_user_sgpr_kernarg_preload_length 0
		.amdhsa_user_sgpr_kernarg_preload_offset 0
		.amdhsa_user_sgpr_private_segment_size 0
		.amdhsa_uses_dynamic_stack 0
		.amdhsa_system_sgpr_private_segment_wavefront_offset 1
		.amdhsa_system_sgpr_workgroup_id_x 1
		.amdhsa_system_sgpr_workgroup_id_y 1
		.amdhsa_system_sgpr_workgroup_id_z 1
		.amdhsa_system_sgpr_workgroup_info 0
		.amdhsa_system_vgpr_workitem_id 0
		.amdhsa_next_free_vgpr 45
		.amdhsa_next_free_sgpr 34
		.amdhsa_accum_offset 44
		.amdhsa_reserve_vcc 1
		.amdhsa_reserve_flat_scratch 1
		.amdhsa_float_round_mode_32 0
		.amdhsa_float_round_mode_16_64 0
		.amdhsa_float_denorm_mode_32 3
		.amdhsa_float_denorm_mode_16_64 3
		.amdhsa_dx10_clamp 1
		.amdhsa_ieee_mode 1
		.amdhsa_fp16_overflow 0
		.amdhsa_tg_split 0
		.amdhsa_exception_fp_ieee_invalid_op 0
		.amdhsa_exception_fp_denorm_src 0
		.amdhsa_exception_fp_ieee_div_zero 0
		.amdhsa_exception_fp_ieee_overflow 0
		.amdhsa_exception_fp_ieee_underflow 0
		.amdhsa_exception_fp_ieee_inexact 0
		.amdhsa_exception_int_div_zero 0
	.end_amdhsa_kernel
	.section	.text._Z39paged_attention_ll4mi_QKV_mfma16_kernelIDF16_hLN4vllm18Fp8KVCacheDataTypeE1EDF16_Li32ELi128ELi256ELb0ELi2EL8MFMAType1EEvPKT_PKT0_S8_ifPKiSA_SA_iPKfiiiPfSD_PS3_PT2_iSC_SC_,"axG",@progbits,_Z39paged_attention_ll4mi_QKV_mfma16_kernelIDF16_hLN4vllm18Fp8KVCacheDataTypeE1EDF16_Li32ELi128ELi256ELb0ELi2EL8MFMAType1EEvPKT_PKT0_S8_ifPKiSA_SA_iPKfiiiPfSD_PS3_PT2_iSC_SC_,comdat
.Lfunc_end543:
	.size	_Z39paged_attention_ll4mi_QKV_mfma16_kernelIDF16_hLN4vllm18Fp8KVCacheDataTypeE1EDF16_Li32ELi128ELi256ELb0ELi2EL8MFMAType1EEvPKT_PKT0_S8_ifPKiSA_SA_iPKfiiiPfSD_PS3_PT2_iSC_SC_, .Lfunc_end543-_Z39paged_attention_ll4mi_QKV_mfma16_kernelIDF16_hLN4vllm18Fp8KVCacheDataTypeE1EDF16_Li32ELi128ELi256ELb0ELi2EL8MFMAType1EEvPKT_PKT0_S8_ifPKiSA_SA_iPKfiiiPfSD_PS3_PT2_iSC_SC_
                                        ; -- End function
	.section	.AMDGPU.csdata,"",@progbits
; Kernel info:
; codeLenInByte = 488
; NumSgprs: 40
; NumVgprs: 42
; NumAgprs: 1
; TotalNumVgprs: 45
; ScratchSize: 64
; MemoryBound: 0
; FloatMode: 240
; IeeeMode: 1
; LDSByteSize: 8192 bytes/workgroup (compile time only)
; SGPRBlocks: 4
; VGPRBlocks: 5
; NumSGPRsForWavesPerEU: 40
; NumVGPRsForWavesPerEU: 45
; AccumOffset: 44
; Occupancy: 8
; WaveLimiterHint : 1
; COMPUTE_PGM_RSRC2:SCRATCH_EN: 1
; COMPUTE_PGM_RSRC2:USER_SGPR: 8
; COMPUTE_PGM_RSRC2:TRAP_HANDLER: 0
; COMPUTE_PGM_RSRC2:TGID_X_EN: 1
; COMPUTE_PGM_RSRC2:TGID_Y_EN: 1
; COMPUTE_PGM_RSRC2:TGID_Z_EN: 1
; COMPUTE_PGM_RSRC2:TIDIG_COMP_CNT: 0
; COMPUTE_PGM_RSRC3_GFX90A:ACCUM_OFFSET: 10
; COMPUTE_PGM_RSRC3_GFX90A:TG_SPLIT: 0
	.section	.text._Z39paged_attention_ll4mi_QKV_mfma16_kernelIDF16_hLN4vllm18Fp8KVCacheDataTypeE1EDF16_Li32ELi128ELi256ELb0ELi3EL8MFMAType1EEvPKT_PKT0_S8_ifPKiSA_SA_iPKfiiiPfSD_PS3_PT2_iSC_SC_,"axG",@progbits,_Z39paged_attention_ll4mi_QKV_mfma16_kernelIDF16_hLN4vllm18Fp8KVCacheDataTypeE1EDF16_Li32ELi128ELi256ELb0ELi3EL8MFMAType1EEvPKT_PKT0_S8_ifPKiSA_SA_iPKfiiiPfSD_PS3_PT2_iSC_SC_,comdat
	.protected	_Z39paged_attention_ll4mi_QKV_mfma16_kernelIDF16_hLN4vllm18Fp8KVCacheDataTypeE1EDF16_Li32ELi128ELi256ELb0ELi3EL8MFMAType1EEvPKT_PKT0_S8_ifPKiSA_SA_iPKfiiiPfSD_PS3_PT2_iSC_SC_ ; -- Begin function _Z39paged_attention_ll4mi_QKV_mfma16_kernelIDF16_hLN4vllm18Fp8KVCacheDataTypeE1EDF16_Li32ELi128ELi256ELb0ELi3EL8MFMAType1EEvPKT_PKT0_S8_ifPKiSA_SA_iPKfiiiPfSD_PS3_PT2_iSC_SC_
	.globl	_Z39paged_attention_ll4mi_QKV_mfma16_kernelIDF16_hLN4vllm18Fp8KVCacheDataTypeE1EDF16_Li32ELi128ELi256ELb0ELi3EL8MFMAType1EEvPKT_PKT0_S8_ifPKiSA_SA_iPKfiiiPfSD_PS3_PT2_iSC_SC_
	.p2align	8
	.type	_Z39paged_attention_ll4mi_QKV_mfma16_kernelIDF16_hLN4vllm18Fp8KVCacheDataTypeE1EDF16_Li32ELi128ELi256ELb0ELi3EL8MFMAType1EEvPKT_PKT0_S8_ifPKiSA_SA_iPKfiiiPfSD_PS3_PT2_iSC_SC_,@function
_Z39paged_attention_ll4mi_QKV_mfma16_kernelIDF16_hLN4vllm18Fp8KVCacheDataTypeE1EDF16_Li32ELi128ELi256ELb0ELi3EL8MFMAType1EEvPKT_PKT0_S8_ifPKiSA_SA_iPKfiiiPfSD_PS3_PT2_iSC_SC_: ; @_Z39paged_attention_ll4mi_QKV_mfma16_kernelIDF16_hLN4vllm18Fp8KVCacheDataTypeE1EDF16_Li32ELi128ELi256ELb0ELi3EL8MFMAType1EEvPKT_PKT0_S8_ifPKiSA_SA_iPKfiiiPfSD_PS3_PT2_iSC_SC_
; %bb.0:
	s_load_dwordx2 s[12:13], s[4:5], 0x30
	s_add_u32 flat_scratch_lo, s6, s11
	s_addc_u32 flat_scratch_hi, s7, 0
	s_add_u32 s0, s0, s11
	s_addc_u32 s1, s1, 0
	s_waitcnt lgkmcnt(0)
	s_cmp_lg_u64 s[12:13], 0
	s_cselect_b64 s[14:15], -1, 0
	s_mov_b32 s6, s9
	s_mov_b64 s[16:17], 0
	s_and_b64 vcc, exec, s[14:15]
	s_mov_b32 s32, 0
	s_cbranch_vccz .LBB544_11
; %bb.1:
	s_add_i32 s18, s8, 1
	s_mov_b32 s19, 0
	s_lshl_b64 s[20:21], s[18:19], 2
	s_add_u32 s20, s12, s20
	s_mov_b32 s9, s19
	s_addc_u32 s21, s13, s21
	s_lshl_b64 s[18:19], s[8:9], 2
	s_add_u32 s18, s12, s18
	s_addc_u32 s19, s13, s19
	s_load_dword s7, s[20:21], 0x0
	s_load_dword s11, s[18:19], 0x0
	s_waitcnt lgkmcnt(0)
	s_sub_i32 s7, s7, s11
	s_cmp_eq_u32 s7, 1
	s_cselect_b64 s[18:19], -1, 0
	s_andn2_b64 vcc, exec, s[16:17]
	s_cbranch_vccnz .LBB544_3
.LBB544_2:
	s_mov_b32 s9, 0
	s_mov_b64 s[18:19], -1
.LBB544_3:
	s_andn2_b64 vcc, exec, s[18:19]
	s_cbranch_vccnz .LBB544_10
; %bb.4:
	s_load_dwordx2 s[18:19], s[4:5], 0x28
	s_lshl_b64 s[16:17], s[8:9], 2
	s_waitcnt lgkmcnt(0)
	s_add_u32 s18, s18, s16
	s_addc_u32 s19, s19, s17
	s_load_dword s7, s[18:19], 0x0
	s_lshl_b32 s6, s6, 8
	s_waitcnt lgkmcnt(0)
	s_cmp_ge_i32 s6, s7
	s_cbranch_scc1 .LBB544_10
; %bb.5:
	s_andn2_b64 vcc, exec, s[14:15]
	s_cbranch_vccnz .LBB544_7
; %bb.6:
	s_add_u32 s6, s12, s16
	s_addc_u32 s7, s13, s17
	s_load_dword s8, s[6:7], 0x0
.LBB544_7:
	v_cmp_gt_u32_e32 vcc, 48, v0
	s_and_saveexec_b64 s[6:7], vcc
	s_cbranch_execz .LBB544_9
; %bb.8:
	s_load_dword s11, s[4:5], 0x48
	s_load_dwordx2 s[12:13], s[4:5], 0x0
	v_lshrrev_b32_e32 v1, 4, v0
	s_mul_i32 s10, s10, 3
	v_add_lshl_u32 v2, v1, s10, 7
	s_waitcnt lgkmcnt(0)
	s_ashr_i32 s9, s11, 31
	s_mul_hi_u32 s14, s8, s11
	s_mul_i32 s9, s8, s9
	s_add_i32 s9, s14, s9
	s_mul_i32 s8, s8, s11
	s_lshl_b64 s[8:9], s[8:9], 1
	s_add_u32 s8, s12, s8
	v_ashrrev_i32_e32 v3, 31, v2
	s_addc_u32 s9, s13, s9
	v_lshlrev_b64 v[2:3], 1, v[2:3]
	v_and_b32_e32 v4, 15, v0
	v_mov_b32_e32 v5, s9
	v_add_co_u32_e32 v2, vcc, s8, v2
	v_addc_co_u32_e32 v3, vcc, v5, v3, vcc
	v_lshlrev_b32_e32 v4, 4, v4
	v_add_co_u32_e32 v2, vcc, v2, v4
	v_addc_co_u32_e32 v3, vcc, 0, v3, vcc
	global_load_dwordx4 v[2:5], v[2:3], off
	v_lshlrev_b32_e32 v6, 4, v0
	v_lshlrev_b32_e32 v0, 8, v0
	v_and_b32_e32 v6, 16, v6
	v_lshlrev_b32_e32 v1, 5, v1
	v_and_b32_e32 v0, 0xe00, v0
	v_or3_b32 v0, v0, v1, v6
	s_waitcnt vmcnt(0)
	ds_write_b128 v0, v[2:5]
.LBB544_9:
	s_or_b64 exec, exec, s[6:7]
	s_waitcnt lgkmcnt(0)
	s_add_u32 s8, s4, 0x90
	s_addc_u32 s9, s5, 0
	s_getpc_b64 s[4:5]
	s_add_u32 s4, s4, __PRETTY_FUNCTION__._Z39paged_attention_ll4mi_QKV_mfma16_kernelIDF16_hLN4vllm18Fp8KVCacheDataTypeE1EDF16_Li32ELi128ELi256ELb0ELi3EL8MFMAType1EEvPKT_PKT0_S8_ifPKiSA_SA_iPKfiiiPfSD_PS3_PT2_iSC_SC_@rel32@lo+4
	s_addc_u32 s5, s5, __PRETTY_FUNCTION__._Z39paged_attention_ll4mi_QKV_mfma16_kernelIDF16_hLN4vllm18Fp8KVCacheDataTypeE1EDF16_Li32ELi128ELi256ELb0ELi3EL8MFMAType1EEvPKT_PKT0_S8_ifPKiSA_SA_iPKfiiiPfSD_PS3_PT2_iSC_SC_@rel32@hi+12
	v_mov_b32_e32 v0, 0x288
	v_mov_b32_e32 v1, s4
	;; [unrolled: 1-line block ×3, first 2 shown]
	s_barrier
	s_getpc_b64 s[6:7]
	s_add_u32 s6, s6, __assert_fail@rel32@lo+4
	s_addc_u32 s7, s7, __assert_fail@rel32@hi+12
	s_swappc_b64 s[30:31], s[6:7]
	; divergent unreachable
.LBB544_10:
	s_endpgm
.LBB544_11:
	s_mov_b64 s[18:19], 0
	s_branch .LBB544_2
	.section	.rodata,"a",@progbits
	.p2align	6, 0x0
	.amdhsa_kernel _Z39paged_attention_ll4mi_QKV_mfma16_kernelIDF16_hLN4vllm18Fp8KVCacheDataTypeE1EDF16_Li32ELi128ELi256ELb0ELi3EL8MFMAType1EEvPKT_PKT0_S8_ifPKiSA_SA_iPKfiiiPfSD_PS3_PT2_iSC_SC_
		.amdhsa_group_segment_fixed_size 8192
		.amdhsa_private_segment_fixed_size 64
		.amdhsa_kernarg_size 400
		.amdhsa_user_sgpr_count 8
		.amdhsa_user_sgpr_private_segment_buffer 1
		.amdhsa_user_sgpr_dispatch_ptr 0
		.amdhsa_user_sgpr_queue_ptr 0
		.amdhsa_user_sgpr_kernarg_segment_ptr 1
		.amdhsa_user_sgpr_dispatch_id 0
		.amdhsa_user_sgpr_flat_scratch_init 1
		.amdhsa_user_sgpr_kernarg_preload_length 0
		.amdhsa_user_sgpr_kernarg_preload_offset 0
		.amdhsa_user_sgpr_private_segment_size 0
		.amdhsa_uses_dynamic_stack 0
		.amdhsa_system_sgpr_private_segment_wavefront_offset 1
		.amdhsa_system_sgpr_workgroup_id_x 1
		.amdhsa_system_sgpr_workgroup_id_y 1
		.amdhsa_system_sgpr_workgroup_id_z 1
		.amdhsa_system_sgpr_workgroup_info 0
		.amdhsa_system_vgpr_workitem_id 0
		.amdhsa_next_free_vgpr 45
		.amdhsa_next_free_sgpr 34
		.amdhsa_accum_offset 44
		.amdhsa_reserve_vcc 1
		.amdhsa_reserve_flat_scratch 1
		.amdhsa_float_round_mode_32 0
		.amdhsa_float_round_mode_16_64 0
		.amdhsa_float_denorm_mode_32 3
		.amdhsa_float_denorm_mode_16_64 3
		.amdhsa_dx10_clamp 1
		.amdhsa_ieee_mode 1
		.amdhsa_fp16_overflow 0
		.amdhsa_tg_split 0
		.amdhsa_exception_fp_ieee_invalid_op 0
		.amdhsa_exception_fp_denorm_src 0
		.amdhsa_exception_fp_ieee_div_zero 0
		.amdhsa_exception_fp_ieee_overflow 0
		.amdhsa_exception_fp_ieee_underflow 0
		.amdhsa_exception_fp_ieee_inexact 0
		.amdhsa_exception_int_div_zero 0
	.end_amdhsa_kernel
	.section	.text._Z39paged_attention_ll4mi_QKV_mfma16_kernelIDF16_hLN4vllm18Fp8KVCacheDataTypeE1EDF16_Li32ELi128ELi256ELb0ELi3EL8MFMAType1EEvPKT_PKT0_S8_ifPKiSA_SA_iPKfiiiPfSD_PS3_PT2_iSC_SC_,"axG",@progbits,_Z39paged_attention_ll4mi_QKV_mfma16_kernelIDF16_hLN4vllm18Fp8KVCacheDataTypeE1EDF16_Li32ELi128ELi256ELb0ELi3EL8MFMAType1EEvPKT_PKT0_S8_ifPKiSA_SA_iPKfiiiPfSD_PS3_PT2_iSC_SC_,comdat
.Lfunc_end544:
	.size	_Z39paged_attention_ll4mi_QKV_mfma16_kernelIDF16_hLN4vllm18Fp8KVCacheDataTypeE1EDF16_Li32ELi128ELi256ELb0ELi3EL8MFMAType1EEvPKT_PKT0_S8_ifPKiSA_SA_iPKfiiiPfSD_PS3_PT2_iSC_SC_, .Lfunc_end544-_Z39paged_attention_ll4mi_QKV_mfma16_kernelIDF16_hLN4vllm18Fp8KVCacheDataTypeE1EDF16_Li32ELi128ELi256ELb0ELi3EL8MFMAType1EEvPKT_PKT0_S8_ifPKiSA_SA_iPKfiiiPfSD_PS3_PT2_iSC_SC_
                                        ; -- End function
	.section	.AMDGPU.csdata,"",@progbits
; Kernel info:
; codeLenInByte = 488
; NumSgprs: 40
; NumVgprs: 42
; NumAgprs: 1
; TotalNumVgprs: 45
; ScratchSize: 64
; MemoryBound: 0
; FloatMode: 240
; IeeeMode: 1
; LDSByteSize: 8192 bytes/workgroup (compile time only)
; SGPRBlocks: 4
; VGPRBlocks: 5
; NumSGPRsForWavesPerEU: 40
; NumVGPRsForWavesPerEU: 45
; AccumOffset: 44
; Occupancy: 8
; WaveLimiterHint : 1
; COMPUTE_PGM_RSRC2:SCRATCH_EN: 1
; COMPUTE_PGM_RSRC2:USER_SGPR: 8
; COMPUTE_PGM_RSRC2:TRAP_HANDLER: 0
; COMPUTE_PGM_RSRC2:TGID_X_EN: 1
; COMPUTE_PGM_RSRC2:TGID_Y_EN: 1
; COMPUTE_PGM_RSRC2:TGID_Z_EN: 1
; COMPUTE_PGM_RSRC2:TIDIG_COMP_CNT: 0
; COMPUTE_PGM_RSRC3_GFX90A:ACCUM_OFFSET: 10
; COMPUTE_PGM_RSRC3_GFX90A:TG_SPLIT: 0
	.section	.text._Z39paged_attention_ll4mi_QKV_mfma16_kernelIDF16_hLN4vllm18Fp8KVCacheDataTypeE1EDF16_Li32ELi128ELi256ELb0ELi4EL8MFMAType1EEvPKT_PKT0_S8_ifPKiSA_SA_iPKfiiiPfSD_PS3_PT2_iSC_SC_,"axG",@progbits,_Z39paged_attention_ll4mi_QKV_mfma16_kernelIDF16_hLN4vllm18Fp8KVCacheDataTypeE1EDF16_Li32ELi128ELi256ELb0ELi4EL8MFMAType1EEvPKT_PKT0_S8_ifPKiSA_SA_iPKfiiiPfSD_PS3_PT2_iSC_SC_,comdat
	.protected	_Z39paged_attention_ll4mi_QKV_mfma16_kernelIDF16_hLN4vllm18Fp8KVCacheDataTypeE1EDF16_Li32ELi128ELi256ELb0ELi4EL8MFMAType1EEvPKT_PKT0_S8_ifPKiSA_SA_iPKfiiiPfSD_PS3_PT2_iSC_SC_ ; -- Begin function _Z39paged_attention_ll4mi_QKV_mfma16_kernelIDF16_hLN4vllm18Fp8KVCacheDataTypeE1EDF16_Li32ELi128ELi256ELb0ELi4EL8MFMAType1EEvPKT_PKT0_S8_ifPKiSA_SA_iPKfiiiPfSD_PS3_PT2_iSC_SC_
	.globl	_Z39paged_attention_ll4mi_QKV_mfma16_kernelIDF16_hLN4vllm18Fp8KVCacheDataTypeE1EDF16_Li32ELi128ELi256ELb0ELi4EL8MFMAType1EEvPKT_PKT0_S8_ifPKiSA_SA_iPKfiiiPfSD_PS3_PT2_iSC_SC_
	.p2align	8
	.type	_Z39paged_attention_ll4mi_QKV_mfma16_kernelIDF16_hLN4vllm18Fp8KVCacheDataTypeE1EDF16_Li32ELi128ELi256ELb0ELi4EL8MFMAType1EEvPKT_PKT0_S8_ifPKiSA_SA_iPKfiiiPfSD_PS3_PT2_iSC_SC_,@function
_Z39paged_attention_ll4mi_QKV_mfma16_kernelIDF16_hLN4vllm18Fp8KVCacheDataTypeE1EDF16_Li32ELi128ELi256ELb0ELi4EL8MFMAType1EEvPKT_PKT0_S8_ifPKiSA_SA_iPKfiiiPfSD_PS3_PT2_iSC_SC_: ; @_Z39paged_attention_ll4mi_QKV_mfma16_kernelIDF16_hLN4vllm18Fp8KVCacheDataTypeE1EDF16_Li32ELi128ELi256ELb0ELi4EL8MFMAType1EEvPKT_PKT0_S8_ifPKiSA_SA_iPKfiiiPfSD_PS3_PT2_iSC_SC_
; %bb.0:
	s_load_dwordx2 s[12:13], s[4:5], 0x30
	s_add_u32 flat_scratch_lo, s6, s11
	s_addc_u32 flat_scratch_hi, s7, 0
	s_add_u32 s0, s0, s11
	s_addc_u32 s1, s1, 0
	s_waitcnt lgkmcnt(0)
	s_cmp_lg_u64 s[12:13], 0
	s_cselect_b64 s[14:15], -1, 0
	s_mov_b32 s6, s9
	s_mov_b64 s[16:17], 0
	s_and_b64 vcc, exec, s[14:15]
	s_mov_b32 s32, 0
	s_cbranch_vccz .LBB545_11
; %bb.1:
	s_add_i32 s18, s8, 1
	s_mov_b32 s19, 0
	s_lshl_b64 s[20:21], s[18:19], 2
	s_add_u32 s20, s12, s20
	s_mov_b32 s9, s19
	s_addc_u32 s21, s13, s21
	s_lshl_b64 s[18:19], s[8:9], 2
	s_add_u32 s18, s12, s18
	s_addc_u32 s19, s13, s19
	s_load_dword s7, s[20:21], 0x0
	s_load_dword s11, s[18:19], 0x0
	s_waitcnt lgkmcnt(0)
	s_sub_i32 s7, s7, s11
	s_cmp_eq_u32 s7, 1
	s_cselect_b64 s[18:19], -1, 0
	s_andn2_b64 vcc, exec, s[16:17]
	s_cbranch_vccnz .LBB545_3
.LBB545_2:
	s_mov_b32 s9, 0
	s_mov_b64 s[18:19], -1
.LBB545_3:
	s_andn2_b64 vcc, exec, s[18:19]
	s_cbranch_vccnz .LBB545_10
; %bb.4:
	s_load_dwordx2 s[18:19], s[4:5], 0x28
	s_lshl_b64 s[16:17], s[8:9], 2
	s_waitcnt lgkmcnt(0)
	s_add_u32 s18, s18, s16
	s_addc_u32 s19, s19, s17
	s_load_dword s7, s[18:19], 0x0
	s_lshl_b32 s6, s6, 8
	s_waitcnt lgkmcnt(0)
	s_cmp_ge_i32 s6, s7
	s_cbranch_scc1 .LBB545_10
; %bb.5:
	s_andn2_b64 vcc, exec, s[14:15]
	s_cbranch_vccnz .LBB545_7
; %bb.6:
	s_add_u32 s6, s12, s16
	s_addc_u32 s7, s13, s17
	s_load_dword s8, s[6:7], 0x0
.LBB545_7:
	v_cmp_gt_u32_e32 vcc, 64, v0
	s_and_saveexec_b64 s[6:7], vcc
	s_cbranch_execz .LBB545_9
; %bb.8:
	s_load_dword s11, s[4:5], 0x48
	s_load_dwordx2 s[12:13], s[4:5], 0x0
	v_lshrrev_b32_e32 v6, 4, v0
	v_and_b32_e32 v1, 15, v0
	v_lshlrev_b32_e32 v1, 4, v1
	s_waitcnt lgkmcnt(0)
	s_ashr_i32 s9, s11, 31
	s_mul_hi_u32 s14, s8, s11
	s_mul_i32 s9, s8, s9
	s_add_i32 s9, s14, s9
	s_mul_i32 s8, s8, s11
	s_lshl_b64 s[8:9], s[8:9], 1
	s_add_u32 s8, s12, s8
	s_addc_u32 s9, s13, s9
	s_lshl_b32 s10, s10, 9
	v_lshl_or_b32 v2, v6, 7, s10
	v_ashrrev_i32_e32 v3, 31, v2
	v_lshlrev_b64 v[2:3], 1, v[2:3]
	v_mov_b32_e32 v4, s9
	v_add_co_u32_e32 v2, vcc, s8, v2
	v_addc_co_u32_e32 v3, vcc, v4, v3, vcc
	v_add_co_u32_e32 v2, vcc, v2, v1
	v_addc_co_u32_e32 v3, vcc, 0, v3, vcc
	global_load_dwordx4 v[2:5], v[2:3], off
	v_lshlrev_b32_e32 v1, 4, v0
	v_lshlrev_b32_e32 v0, 8, v0
	v_and_b32_e32 v1, 16, v1
	v_lshlrev_b32_e32 v6, 5, v6
	v_and_b32_e32 v0, 0xe00, v0
	v_or3_b32 v0, v0, v6, v1
	s_waitcnt vmcnt(0)
	ds_write_b128 v0, v[2:5]
.LBB545_9:
	s_or_b64 exec, exec, s[6:7]
	s_waitcnt lgkmcnt(0)
	s_add_u32 s8, s4, 0x90
	s_addc_u32 s9, s5, 0
	s_getpc_b64 s[4:5]
	s_add_u32 s4, s4, __PRETTY_FUNCTION__._Z39paged_attention_ll4mi_QKV_mfma16_kernelIDF16_hLN4vllm18Fp8KVCacheDataTypeE1EDF16_Li32ELi128ELi256ELb0ELi4EL8MFMAType1EEvPKT_PKT0_S8_ifPKiSA_SA_iPKfiiiPfSD_PS3_PT2_iSC_SC_@rel32@lo+4
	s_addc_u32 s5, s5, __PRETTY_FUNCTION__._Z39paged_attention_ll4mi_QKV_mfma16_kernelIDF16_hLN4vllm18Fp8KVCacheDataTypeE1EDF16_Li32ELi128ELi256ELb0ELi4EL8MFMAType1EEvPKT_PKT0_S8_ifPKiSA_SA_iPKfiiiPfSD_PS3_PT2_iSC_SC_@rel32@hi+12
	v_mov_b32_e32 v0, 0x288
	v_mov_b32_e32 v1, s4
	;; [unrolled: 1-line block ×3, first 2 shown]
	s_barrier
	s_getpc_b64 s[6:7]
	s_add_u32 s6, s6, __assert_fail@rel32@lo+4
	s_addc_u32 s7, s7, __assert_fail@rel32@hi+12
	s_swappc_b64 s[30:31], s[6:7]
	; divergent unreachable
.LBB545_10:
	s_endpgm
.LBB545_11:
	s_mov_b64 s[18:19], 0
	s_branch .LBB545_2
	.section	.rodata,"a",@progbits
	.p2align	6, 0x0
	.amdhsa_kernel _Z39paged_attention_ll4mi_QKV_mfma16_kernelIDF16_hLN4vllm18Fp8KVCacheDataTypeE1EDF16_Li32ELi128ELi256ELb0ELi4EL8MFMAType1EEvPKT_PKT0_S8_ifPKiSA_SA_iPKfiiiPfSD_PS3_PT2_iSC_SC_
		.amdhsa_group_segment_fixed_size 8192
		.amdhsa_private_segment_fixed_size 64
		.amdhsa_kernarg_size 400
		.amdhsa_user_sgpr_count 8
		.amdhsa_user_sgpr_private_segment_buffer 1
		.amdhsa_user_sgpr_dispatch_ptr 0
		.amdhsa_user_sgpr_queue_ptr 0
		.amdhsa_user_sgpr_kernarg_segment_ptr 1
		.amdhsa_user_sgpr_dispatch_id 0
		.amdhsa_user_sgpr_flat_scratch_init 1
		.amdhsa_user_sgpr_kernarg_preload_length 0
		.amdhsa_user_sgpr_kernarg_preload_offset 0
		.amdhsa_user_sgpr_private_segment_size 0
		.amdhsa_uses_dynamic_stack 0
		.amdhsa_system_sgpr_private_segment_wavefront_offset 1
		.amdhsa_system_sgpr_workgroup_id_x 1
		.amdhsa_system_sgpr_workgroup_id_y 1
		.amdhsa_system_sgpr_workgroup_id_z 1
		.amdhsa_system_sgpr_workgroup_info 0
		.amdhsa_system_vgpr_workitem_id 0
		.amdhsa_next_free_vgpr 45
		.amdhsa_next_free_sgpr 34
		.amdhsa_accum_offset 44
		.amdhsa_reserve_vcc 1
		.amdhsa_reserve_flat_scratch 1
		.amdhsa_float_round_mode_32 0
		.amdhsa_float_round_mode_16_64 0
		.amdhsa_float_denorm_mode_32 3
		.amdhsa_float_denorm_mode_16_64 3
		.amdhsa_dx10_clamp 1
		.amdhsa_ieee_mode 1
		.amdhsa_fp16_overflow 0
		.amdhsa_tg_split 0
		.amdhsa_exception_fp_ieee_invalid_op 0
		.amdhsa_exception_fp_denorm_src 0
		.amdhsa_exception_fp_ieee_div_zero 0
		.amdhsa_exception_fp_ieee_overflow 0
		.amdhsa_exception_fp_ieee_underflow 0
		.amdhsa_exception_fp_ieee_inexact 0
		.amdhsa_exception_int_div_zero 0
	.end_amdhsa_kernel
	.section	.text._Z39paged_attention_ll4mi_QKV_mfma16_kernelIDF16_hLN4vllm18Fp8KVCacheDataTypeE1EDF16_Li32ELi128ELi256ELb0ELi4EL8MFMAType1EEvPKT_PKT0_S8_ifPKiSA_SA_iPKfiiiPfSD_PS3_PT2_iSC_SC_,"axG",@progbits,_Z39paged_attention_ll4mi_QKV_mfma16_kernelIDF16_hLN4vllm18Fp8KVCacheDataTypeE1EDF16_Li32ELi128ELi256ELb0ELi4EL8MFMAType1EEvPKT_PKT0_S8_ifPKiSA_SA_iPKfiiiPfSD_PS3_PT2_iSC_SC_,comdat
.Lfunc_end545:
	.size	_Z39paged_attention_ll4mi_QKV_mfma16_kernelIDF16_hLN4vllm18Fp8KVCacheDataTypeE1EDF16_Li32ELi128ELi256ELb0ELi4EL8MFMAType1EEvPKT_PKT0_S8_ifPKiSA_SA_iPKfiiiPfSD_PS3_PT2_iSC_SC_, .Lfunc_end545-_Z39paged_attention_ll4mi_QKV_mfma16_kernelIDF16_hLN4vllm18Fp8KVCacheDataTypeE1EDF16_Li32ELi128ELi256ELb0ELi4EL8MFMAType1EEvPKT_PKT0_S8_ifPKiSA_SA_iPKfiiiPfSD_PS3_PT2_iSC_SC_
                                        ; -- End function
	.section	.AMDGPU.csdata,"",@progbits
; Kernel info:
; codeLenInByte = 488
; NumSgprs: 40
; NumVgprs: 42
; NumAgprs: 1
; TotalNumVgprs: 45
; ScratchSize: 64
; MemoryBound: 0
; FloatMode: 240
; IeeeMode: 1
; LDSByteSize: 8192 bytes/workgroup (compile time only)
; SGPRBlocks: 4
; VGPRBlocks: 5
; NumSGPRsForWavesPerEU: 40
; NumVGPRsForWavesPerEU: 45
; AccumOffset: 44
; Occupancy: 8
; WaveLimiterHint : 1
; COMPUTE_PGM_RSRC2:SCRATCH_EN: 1
; COMPUTE_PGM_RSRC2:USER_SGPR: 8
; COMPUTE_PGM_RSRC2:TRAP_HANDLER: 0
; COMPUTE_PGM_RSRC2:TGID_X_EN: 1
; COMPUTE_PGM_RSRC2:TGID_Y_EN: 1
; COMPUTE_PGM_RSRC2:TGID_Z_EN: 1
; COMPUTE_PGM_RSRC2:TIDIG_COMP_CNT: 0
; COMPUTE_PGM_RSRC3_GFX90A:ACCUM_OFFSET: 10
; COMPUTE_PGM_RSRC3_GFX90A:TG_SPLIT: 0
	.section	.text._Z39paged_attention_ll4mi_QKV_mfma16_kernelIDF16_hLN4vllm18Fp8KVCacheDataTypeE1EDF16_Li16ELi64ELi256ELb1ELi5EL8MFMAType0EEvPKT_PKT0_S8_ifPKiSA_SA_iPKfiiiPfSD_PS3_PT2_iSC_SC_,"axG",@progbits,_Z39paged_attention_ll4mi_QKV_mfma16_kernelIDF16_hLN4vllm18Fp8KVCacheDataTypeE1EDF16_Li16ELi64ELi256ELb1ELi5EL8MFMAType0EEvPKT_PKT0_S8_ifPKiSA_SA_iPKfiiiPfSD_PS3_PT2_iSC_SC_,comdat
	.protected	_Z39paged_attention_ll4mi_QKV_mfma16_kernelIDF16_hLN4vllm18Fp8KVCacheDataTypeE1EDF16_Li16ELi64ELi256ELb1ELi5EL8MFMAType0EEvPKT_PKT0_S8_ifPKiSA_SA_iPKfiiiPfSD_PS3_PT2_iSC_SC_ ; -- Begin function _Z39paged_attention_ll4mi_QKV_mfma16_kernelIDF16_hLN4vllm18Fp8KVCacheDataTypeE1EDF16_Li16ELi64ELi256ELb1ELi5EL8MFMAType0EEvPKT_PKT0_S8_ifPKiSA_SA_iPKfiiiPfSD_PS3_PT2_iSC_SC_
	.globl	_Z39paged_attention_ll4mi_QKV_mfma16_kernelIDF16_hLN4vllm18Fp8KVCacheDataTypeE1EDF16_Li16ELi64ELi256ELb1ELi5EL8MFMAType0EEvPKT_PKT0_S8_ifPKiSA_SA_iPKfiiiPfSD_PS3_PT2_iSC_SC_
	.p2align	8
	.type	_Z39paged_attention_ll4mi_QKV_mfma16_kernelIDF16_hLN4vllm18Fp8KVCacheDataTypeE1EDF16_Li16ELi64ELi256ELb1ELi5EL8MFMAType0EEvPKT_PKT0_S8_ifPKiSA_SA_iPKfiiiPfSD_PS3_PT2_iSC_SC_,@function
_Z39paged_attention_ll4mi_QKV_mfma16_kernelIDF16_hLN4vllm18Fp8KVCacheDataTypeE1EDF16_Li16ELi64ELi256ELb1ELi5EL8MFMAType0EEvPKT_PKT0_S8_ifPKiSA_SA_iPKfiiiPfSD_PS3_PT2_iSC_SC_: ; @_Z39paged_attention_ll4mi_QKV_mfma16_kernelIDF16_hLN4vllm18Fp8KVCacheDataTypeE1EDF16_Li16ELi64ELi256ELb1ELi5EL8MFMAType0EEvPKT_PKT0_S8_ifPKiSA_SA_iPKfiiiPfSD_PS3_PT2_iSC_SC_
; %bb.0:
	s_load_dwordx2 s[0:1], s[4:5], 0x30
	s_mov_b32 s24, s7
	s_mov_b64 s[10:11], 0
	s_waitcnt lgkmcnt(0)
	s_cmp_lg_u64 s[0:1], 0
	s_cselect_b64 s[2:3], -1, 0
	s_and_b64 vcc, exec, s[2:3]
	s_cbranch_vccz .LBB546_7
; %bb.1:
	s_add_i32 s12, s6, 1
	s_mov_b32 s13, 0
	s_lshl_b64 s[14:15], s[12:13], 2
	s_add_u32 s14, s0, s14
	s_mov_b32 s7, s13
	s_addc_u32 s15, s1, s15
	s_lshl_b64 s[12:13], s[6:7], 2
	s_add_u32 s12, s0, s12
	s_addc_u32 s13, s1, s13
	s_load_dword s9, s[14:15], 0x0
	s_load_dword s16, s[12:13], 0x0
	s_waitcnt lgkmcnt(0)
	s_sub_i32 s9, s9, s16
	s_cmp_eq_u32 s9, 1
	s_cselect_b64 s[12:13], -1, 0
	s_andn2_b64 vcc, exec, s[10:11]
	s_cbranch_vccnz .LBB546_3
.LBB546_2:
	s_mov_b32 s7, 0
	s_mov_b64 s[12:13], -1
.LBB546_3:
	s_andn2_b64 vcc, exec, s[12:13]
	s_cbranch_vccnz .LBB546_788
; %bb.4:
	s_load_dwordx2 s[12:13], s[4:5], 0x28
	s_lshl_b64 s[10:11], s[6:7], 2
	s_waitcnt lgkmcnt(0)
	s_add_u32 s12, s12, s10
	s_addc_u32 s13, s13, s11
	s_load_dword s33, s[12:13], 0x0
	s_lshl_b32 s18, s24, 8
	s_waitcnt lgkmcnt(0)
	s_cmp_ge_i32 s18, s33
	s_cbranch_scc1 .LBB546_788
; %bb.5:
	s_add_i32 s14, s33, 15
	s_load_dwordx2 s[12:13], s[4:5], 0x20
	s_load_dword s9, s[4:5], 0x38
	s_ashr_i32 s15, s14, 31
	v_and_b32_e32 v1, 0xcf, v0
	s_lshr_b32 s15, s15, 28
	v_add_u32_e32 v1, s18, v1
	s_add_i32 s14, s14, s15
	v_ashrrev_i32_e32 v2, 31, v1
	s_ashr_i32 s21, s14, 4
	v_lshrrev_b32_e32 v4, 28, v2
	s_add_i32 s21, s21, -1
	v_add_u32_e32 v2, v1, v4
	s_waitcnt lgkmcnt(0)
	s_mul_i32 s14, s6, s9
	s_mov_b32 s15, 0
	v_ashrrev_i32_e32 v2, 4, v2
	v_mov_b32_e32 v5, s21
	v_cmp_gt_i32_e32 vcc, s33, v1
	s_lshl_b64 s[14:15], s[14:15], 2
	v_cndmask_b32_e32 v2, v5, v2, vcc
	s_add_u32 s19, s12, s14
	v_ashrrev_i32_e32 v3, 31, v2
	s_addc_u32 s20, s13, s15
	v_lshlrev_b64 v[2:3], 2, v[2:3]
	v_mov_b32_e32 v7, s20
	v_add_co_u32_e32 v6, vcc, s19, v2
	v_or_b32_e32 v2, 16, v1
	v_addc_co_u32_e32 v7, vcc, v7, v3, vcc
	v_add_u32_e32 v3, v2, v4
	v_ashrrev_i32_e32 v3, 4, v3
	v_cmp_gt_i32_e32 vcc, s33, v2
	v_cndmask_b32_e32 v2, v5, v3, vcc
	v_ashrrev_i32_e32 v3, 31, v2
	v_lshlrev_b64 v[2:3], 2, v[2:3]
	v_mov_b32_e32 v9, s20
	v_add_co_u32_e32 v8, vcc, s19, v2
	v_or_b32_e32 v2, 32, v1
	v_addc_co_u32_e32 v9, vcc, v9, v3, vcc
	v_add_u32_e32 v3, v2, v4
	v_ashrrev_i32_e32 v3, 4, v3
	v_cmp_gt_i32_e32 vcc, s33, v2
	v_cndmask_b32_e32 v2, v5, v3, vcc
	v_ashrrev_i32_e32 v3, 31, v2
	;; [unrolled: 10-line block ×3, first 2 shown]
	v_lshlrev_b64 v[2:3], 2, v[2:3]
	v_mov_b32_e32 v1, s20
	v_add_co_u32_e32 v12, vcc, s19, v2
	v_addc_co_u32_e32 v13, vcc, v1, v3, vcc
	global_load_dword v5, v[6:7], off
	global_load_dword v4, v[8:9], off
	;; [unrolled: 1-line block ×4, first 2 shown]
	s_load_dwordx2 s[16:17], s[4:5], 0x8
	s_andn2_b64 vcc, exec, s[2:3]
	s_cbranch_vccnz .LBB546_8
; %bb.6:
	s_add_u32 s0, s0, s10
	s_addc_u32 s1, s1, s11
	s_load_dword s9, s[0:1], 0x0
	s_branch .LBB546_9
.LBB546_7:
	s_mov_b64 s[12:13], 0
	s_branch .LBB546_2
.LBB546_8:
	s_mov_b32 s9, s6
.LBB546_9:
	s_load_dwordx2 s[2:3], s[4:5], 0x10
	s_load_dwordx4 s[12:15], s[4:5], 0x48
	v_lshrrev_b32_e32 v49, 6, v0
	v_bfe_u32 v1, v0, 4, 2
	v_lshl_or_b32 v6, v49, 2, v1
	v_and_b32_e32 v48, 15, v0
	v_lshlrev_b32_e32 v7, 3, v48
	v_cmp_gt_u32_e32 vcc, 5, v6
	v_cmp_gt_u32_e64 s[0:1], 8, v48
	s_mul_i32 s25, s8, 5
	s_and_b64 s[22:23], s[0:1], vcc
	v_lshlrev_b32_e32 v46, 1, v7
	v_lshlrev_b32_e32 v47, 4, v0
	s_and_saveexec_b64 s[10:11], s[22:23]
	s_cbranch_execz .LBB546_11
; %bb.10:
	s_load_dwordx2 s[22:23], s[4:5], 0x0
	s_waitcnt lgkmcnt(0)
	s_ashr_i32 s15, s12, 31
	s_mul_hi_u32 s26, s9, s12
	s_mul_i32 s15, s9, s15
	s_add_i32 s27, s26, s15
	s_mul_i32 s26, s9, s12
	s_lshl_b64 s[26:27], s[26:27], 1
	v_add_lshl_u32 v8, v6, s25, 6
	s_add_u32 s9, s22, s26
	v_ashrrev_i32_e32 v9, 31, v8
	s_addc_u32 s12, s23, s27
	v_lshlrev_b64 v[8:9], 1, v[8:9]
	v_mov_b32_e32 v7, s12
	v_add_co_u32_e32 v8, vcc, s9, v8
	v_addc_co_u32_e32 v7, vcc, v7, v9, vcc
	v_add_co_u32_e32 v8, vcc, v8, v46
	v_addc_co_u32_e32 v9, vcc, 0, v7, vcc
	global_load_dwordx4 v[8:11], v[8:9], off
	v_lshlrev_b32_e32 v12, 8, v48
	v_lshlrev_b32_e32 v6, 5, v6
	v_and_b32_e32 v7, 16, v47
	v_and_b32_e32 v12, 0xe00, v12
	v_or3_b32 v6, v12, v6, v7
	s_waitcnt vmcnt(0)
	ds_write_b128 v6, v[8:11]
.LBB546_11:
	s_or_b64 exec, exec, s[10:11]
	s_waitcnt lgkmcnt(0)
	s_mul_i32 s10, s8, s14
	s_add_u32 s8, s16, s10
	s_addc_u32 s9, s17, 0
	v_and_b32_e32 v7, 0xf0, v47
	v_and_b32_e32 v6, 48, v0
	v_mov_b32_e32 v8, s9
	v_add_co_u32_e32 v7, vcc, s8, v7
	v_addc_co_u32_e32 v9, vcc, 0, v8, vcc
	v_lshlrev_b32_e32 v8, 4, v6
	v_add_co_u32_e32 v8, vcc, v7, v8
	v_addc_co_u32_e32 v9, vcc, 0, v9, vcc
	s_waitcnt vmcnt(3)
	v_mad_i64_i32 v[10:11], s[8:9], v5, s13, v[8:9]
	s_waitcnt vmcnt(2)
	v_mad_i64_i32 v[4:5], s[8:9], v4, s13, v[8:9]
	s_barrier
	global_load_dwordx4 v[34:37], v[10:11], off
	global_load_dwordx4 v[38:41], v[4:5], off
	s_waitcnt vmcnt(3)
	v_mad_i64_i32 v[4:5], s[8:9], v2, s13, v[8:9]
	s_waitcnt vmcnt(2)
	v_mad_i64_i32 v[2:3], s[8:9], v3, s13, v[8:9]
	global_load_dwordx4 v[30:33], v[4:5], off
	global_load_dwordx4 v[22:25], v[2:3], off
	v_mul_lo_u16_e32 v2, 52, v48
	v_mov_b32_e32 v3, 5
	v_mul_lo_u16_sdwa v2, v2, v3 dst_sel:DWORD dst_unused:UNUSED_PAD src0_sel:BYTE_1 src1_sel:DWORD
	v_sub_u16_e32 v2, v48, v2
	v_lshlrev_b32_sdwa v2, v3, v2 dst_sel:DWORD dst_unused:UNUSED_PAD src0_sel:DWORD src1_sel:BYTE_0
	v_lshl_add_u32 v2, v1, 9, v2
	ds_read_b128 v[26:29], v2
	ds_read_b128 v[18:21], v2 offset:16
	v_cmp_gt_u32_e32 vcc, 5, v48
	v_mov_b32_e32 v43, 0
	v_mov_b32_e32 v50, 0
	s_and_saveexec_b64 s[8:9], vcc
	s_cbranch_execz .LBB546_13
; %bb.12:
	s_load_dwordx2 s[14:15], s[4:5], 0x40
	v_add_u32_e32 v2, s25, v48
	v_ashrrev_i32_e32 v3, 31, v2
	v_lshlrev_b64 v[2:3], 2, v[2:3]
	s_waitcnt lgkmcnt(0)
	v_mov_b32_e32 v4, s15
	v_add_co_u32_e32 v2, vcc, s14, v2
	v_addc_co_u32_e32 v3, vcc, v4, v3, vcc
	global_load_dword v50, v[2:3], off
.LBB546_13:
	s_or_b64 exec, exec, s[8:9]
	v_or_b32_e32 v8, s18, v6
	v_ashrrev_i32_e32 v2, 4, v8
	v_mov_b32_e32 v9, s21
	v_cmp_gt_i32_e32 vcc, s33, v8
	v_cndmask_b32_e32 v2, v9, v2, vcc
	v_ashrrev_i32_e32 v3, 31, v2
	v_lshlrev_b64 v[2:3], 2, v[2:3]
	v_mov_b32_e32 v4, s20
	v_add_co_u32_e32 v2, vcc, s19, v2
	v_addc_co_u32_e32 v3, vcc, v4, v3, vcc
	v_or_b32_e32 v4, 64, v8
	v_ashrrev_i32_e32 v5, 4, v4
	v_cmp_gt_i32_e32 vcc, s33, v4
	v_cndmask_b32_e32 v4, v9, v5, vcc
	v_ashrrev_i32_e32 v5, 31, v4
	v_lshlrev_b64 v[4:5], 2, v[4:5]
	v_mov_b32_e32 v6, s20
	v_add_co_u32_e32 v4, vcc, s19, v4
	v_addc_co_u32_e32 v5, vcc, v6, v5, vcc
	v_or_b32_e32 v6, 0x80, v8
	v_ashrrev_i32_e32 v7, 4, v6
	v_cmp_gt_i32_e32 vcc, s33, v6
	v_cndmask_b32_e32 v6, v9, v7, vcc
	v_ashrrev_i32_e32 v7, 31, v6
	v_lshlrev_b64 v[6:7], 2, v[6:7]
	v_mov_b32_e32 v10, s20
	v_add_co_u32_e32 v6, vcc, s19, v6
	v_addc_co_u32_e32 v7, vcc, v10, v7, vcc
	global_load_dword v10, v[2:3], off
	global_load_dword v11, v[4:5], off
	;; [unrolled: 1-line block ×3, first 2 shown]
	v_or_b32_e32 v2, 0xc0, v8
	v_ashrrev_i32_e32 v3, 4, v2
	v_cmp_gt_i32_e32 vcc, s33, v2
	v_cndmask_b32_e32 v2, v9, v3, vcc
	v_ashrrev_i32_e32 v3, 31, v2
	v_lshlrev_b64 v[2:3], 2, v[2:3]
	v_mov_b32_e32 v4, s20
	v_add_co_u32_e32 v2, vcc, s19, v2
	v_addc_co_u32_e32 v3, vcc, v4, v3, vcc
	global_load_dword v13, v[2:3], off
	s_add_u32 s2, s2, s10
	v_lshlrev_b32_e32 v2, 4, v48
	s_addc_u32 s3, s3, 0
	v_lshl_or_b32 v2, v49, 8, v2
	v_mov_b32_e32 v3, s3
	v_add_co_u32_e32 v2, vcc, s2, v2
	v_addc_co_u32_e32 v3, vcc, 0, v3, vcc
	s_movk_i32 s8, 0x80
	s_waitcnt vmcnt(7)
	v_cmp_ne_u16_sdwa s[10:11], v34, v43 src0_sel:BYTE_0 src1_sel:DWORD
	s_waitcnt vmcnt(3)
	v_mad_i64_i32 v[4:5], s[2:3], v10, s13, v[2:3]
	s_waitcnt vmcnt(2)
	v_mad_i64_i32 v[6:7], s[2:3], v11, s13, v[2:3]
	;; [unrolled: 2-line block ×4, first 2 shown]
	global_load_dwordx4 v[14:17], v[4:5], off
	global_load_dwordx4 v[10:13], v[6:7], off
                                        ; kill: killed $vgpr6_vgpr7
                                        ; kill: killed $vgpr4_vgpr5
	s_nop 0
	global_load_dwordx4 v[6:9], v[8:9], off
	s_nop 0
	global_load_dwordx4 v[2:5], v[2:3], off
	s_load_dwordx4 s[40:43], s[4:5], 0x80
	s_load_dwordx2 s[44:45], s[4:5], 0x94
                                        ; kill: killed $sgpr40_sgpr41
	s_waitcnt lgkmcnt(0)
	s_load_dword s12, s[40:41], 0x0
	s_and_saveexec_b64 s[2:3], s[10:11]
	s_cbranch_execz .LBB546_19
; %bb.14:
	v_cmp_ne_u16_sdwa s[10:11], v34, s8 src0_sel:BYTE_0 src1_sel:DWORD
	v_bfrev_b32_e32 v43, 1
	s_and_saveexec_b64 s[8:9], s[10:11]
	s_cbranch_execz .LBB546_18
; %bb.15:
	s_movk_i32 s10, 0x7f
	v_and_b32_e32 v42, 0x7f, v34
	v_cmp_ne_u32_e32 vcc, s10, v42
	v_mov_b32_e32 v43, 0x7f800001
	s_and_saveexec_b64 s[10:11], vcc
	s_cbranch_execz .LBB546_17
; %bb.16:
	v_and_b32_e32 v43, 7, v34
	v_ffbh_u32_e32 v44, v43
	v_min_u32_e32 v52, 32, v44
	v_subrev_u32_e32 v44, 28, v52
	v_lshlrev_b64 v[44:45], v44, v[34:35]
	v_lshrrev_b32_e32 v51, 3, v42
	v_sub_u32_e32 v45, 29, v52
	v_and_b32_e32 v44, 7, v44
	v_cmp_gt_u32_e32 vcc, 8, v42
	v_cndmask_b32_e32 v42, v51, v45, vcc
	v_cndmask_b32_e32 v43, v43, v44, vcc
	v_lshlrev_b32_e32 v44, 24, v34
	v_bfrev_b32_e32 v45, 60
	v_lshlrev_b32_e32 v43, 20, v43
	v_and_b32_e32 v44, 0x80000000, v44
	v_lshl_add_u32 v42, v42, 23, v45
	v_or3_b32 v43, v44, v42, v43
.LBB546_17:
	s_or_b64 exec, exec, s[10:11]
.LBB546_18:
	s_or_b64 exec, exec, s[8:9]
.LBB546_19:
	s_or_b64 exec, exec, s[2:3]
	v_lshrrev_b16_e32 v42, 8, v34
	v_cmp_ne_u16_e32 vcc, 0, v42
	v_mov_b32_e32 v44, 0
	v_mov_b32_e32 v45, 0
	s_and_saveexec_b64 s[2:3], vcc
	s_cbranch_execz .LBB546_25
; %bb.20:
	s_movk_i32 s8, 0x80
	v_cmp_ne_u16_sdwa s[10:11], v34, s8 src0_sel:BYTE_1 src1_sel:DWORD
	v_bfrev_b32_e32 v45, 1
	s_and_saveexec_b64 s[8:9], s[10:11]
	s_cbranch_execz .LBB546_24
; %bb.21:
	s_movk_i32 s10, 0x7f
	v_and_b32_e32 v51, 0x7f, v42
	v_cmp_ne_u32_e32 vcc, s10, v51
	v_mov_b32_e32 v45, 0x7f800001
	s_and_saveexec_b64 s[10:11], vcc
	s_cbranch_execz .LBB546_23
; %bb.22:
	v_and_b32_e32 v45, 7, v42
	v_ffbh_u32_e32 v52, v45
	v_min_u32_e32 v55, 32, v52
	v_subrev_u32_e32 v52, 28, v55
	v_lshlrev_b64 v[52:53], v52, v[42:43]
	v_lshrrev_b32_e32 v54, 3, v51
	v_sub_u32_e32 v42, 29, v55
	v_and_b32_e32 v52, 7, v52
	v_cmp_gt_u32_e32 vcc, 8, v51
	v_cndmask_b32_e32 v42, v54, v42, vcc
	v_cndmask_b32_e32 v45, v45, v52, vcc
	v_lshlrev_b32_e32 v51, 16, v34
	v_bfrev_b32_e32 v52, 60
	v_lshlrev_b32_e32 v45, 20, v45
	v_and_b32_e32 v51, 0x80000000, v51
	v_lshl_add_u32 v42, v42, 23, v52
	v_or3_b32 v45, v51, v42, v45
.LBB546_23:
	s_or_b64 exec, exec, s[10:11]
.LBB546_24:
	s_or_b64 exec, exec, s[8:9]
.LBB546_25:
	s_or_b64 exec, exec, s[2:3]
	s_movk_i32 s2, 0xff
	v_and_b32_sdwa v51, v34, s2 dst_sel:DWORD dst_unused:UNUSED_PAD src0_sel:WORD_1 src1_sel:DWORD
	v_lshrrev_b32_e32 v42, 16, v34
	v_cmp_ne_u16_e32 vcc, 0, v51
	s_and_saveexec_b64 s[2:3], vcc
	s_cbranch_execz .LBB546_31
; %bb.26:
	s_movk_i32 s8, 0x80
	v_cmp_ne_u16_e32 vcc, s8, v51
	v_bfrev_b32_e32 v44, 1
	s_and_saveexec_b64 s[8:9], vcc
	s_cbranch_execz .LBB546_30
; %bb.27:
	v_bfe_u32 v51, v34, 16, 7
	s_movk_i32 s10, 0x7f
	v_cmp_ne_u32_e32 vcc, s10, v51
	v_mov_b32_e32 v44, 0x7f800001
	s_and_saveexec_b64 s[10:11], vcc
	s_cbranch_execz .LBB546_29
; %bb.28:
	v_and_b32_e32 v44, 7, v42
	v_ffbh_u32_e32 v52, v44
	v_min_u32_e32 v55, 32, v52
	v_subrev_u32_e32 v52, 28, v55
	v_lshlrev_b64 v[52:53], v52, v[42:43]
	v_lshrrev_b32_e32 v54, 3, v51
	v_sub_u32_e32 v42, 29, v55
	v_and_b32_e32 v52, 7, v52
	v_cmp_gt_u32_e32 vcc, 8, v51
	v_mov_b32_e32 v51, 24
	v_cndmask_b32_e32 v42, v54, v42, vcc
	v_cndmask_b32_e32 v44, v44, v52, vcc
	v_lshlrev_b32_sdwa v51, v51, v34 dst_sel:DWORD dst_unused:UNUSED_PAD src0_sel:DWORD src1_sel:WORD_1
	v_bfrev_b32_e32 v52, 60
	v_lshlrev_b32_e32 v44, 20, v44
	v_and_b32_e32 v51, 0x80000000, v51
	v_lshl_add_u32 v42, v42, 23, v52
	v_or3_b32 v44, v51, v42, v44
.LBB546_29:
	s_or_b64 exec, exec, s[10:11]
.LBB546_30:
	s_or_b64 exec, exec, s[8:9]
.LBB546_31:
	s_or_b64 exec, exec, s[2:3]
	s_mov_b32 s2, 0xffffff
	v_cmp_lt_u32_e32 vcc, s2, v34
	v_mov_b32_e32 v52, 0
	v_mov_b32_e32 v53, 0
	s_and_saveexec_b64 s[2:3], vcc
	s_cbranch_execz .LBB546_37
; %bb.32:
	v_lshrrev_b32_e32 v42, 24, v34
	s_movk_i32 s8, 0x80
	v_cmp_ne_u32_e32 vcc, s8, v42
	v_bfrev_b32_e32 v53, 1
	s_and_saveexec_b64 s[8:9], vcc
	s_cbranch_execz .LBB546_36
; %bb.33:
	v_bfe_u32 v34, v34, 24, 7
	s_movk_i32 s10, 0x7f
	v_cmp_ne_u32_e32 vcc, s10, v34
	v_mov_b32_e32 v53, 0x7f800001
	s_and_saveexec_b64 s[10:11], vcc
	s_cbranch_execz .LBB546_35
; %bb.34:
	v_and_b32_e32 v51, 7, v42
	v_ffbh_u32_e32 v54, v51
	v_min_u32_e32 v56, 32, v54
	v_subrev_u32_e32 v54, 28, v56
	v_lshlrev_b64 v[54:55], v54, v[42:43]
	v_lshrrev_b32_e32 v53, 3, v34
	v_sub_u32_e32 v55, 29, v56
	v_and_b32_e32 v54, 7, v54
	v_cmp_gt_u32_e32 vcc, 8, v34
	v_cndmask_b32_e32 v34, v53, v55, vcc
	v_cndmask_b32_e32 v51, v51, v54, vcc
	v_lshlrev_b32_e32 v42, 24, v42
	v_bfrev_b32_e32 v53, 60
	v_lshlrev_b32_e32 v51, 20, v51
	v_and_b32_e32 v42, 0x80000000, v42
	v_lshl_add_u32 v34, v34, 23, v53
	v_or3_b32 v53, v42, v34, v51
.LBB546_35:
	s_or_b64 exec, exec, s[10:11]
.LBB546_36:
	s_or_b64 exec, exec, s[8:9]
.LBB546_37:
	s_or_b64 exec, exec, s[2:3]
	v_cmp_ne_u16_sdwa s[8:9], v35, v52 src0_sel:BYTE_0 src1_sel:DWORD
	s_and_saveexec_b64 s[2:3], s[8:9]
	s_cbranch_execz .LBB546_43
; %bb.38:
	s_movk_i32 s8, 0x80
	v_cmp_ne_u16_sdwa s[10:11], v35, s8 src0_sel:BYTE_0 src1_sel:DWORD
	v_bfrev_b32_e32 v52, 1
	s_and_saveexec_b64 s[8:9], s[10:11]
	s_cbranch_execz .LBB546_42
; %bb.39:
	s_movk_i32 s10, 0x7f
	v_and_b32_e32 v34, 0x7f, v35
	v_cmp_ne_u32_e32 vcc, s10, v34
	v_mov_b32_e32 v52, 0x7f800001
	s_and_saveexec_b64 s[10:11], vcc
	s_cbranch_execz .LBB546_41
; %bb.40:
	v_and_b32_e32 v51, 7, v35
	v_ffbh_u32_e32 v54, v51
	v_min_u32_e32 v56, 32, v54
	v_mov_b32_e32 v42, v35
	v_subrev_u32_e32 v54, 28, v56
	v_lshlrev_b64 v[54:55], v54, v[42:43]
	v_lshrrev_b32_e32 v52, 3, v34
	v_sub_u32_e32 v42, 29, v56
	v_and_b32_e32 v54, 7, v54
	v_cmp_gt_u32_e32 vcc, 8, v34
	v_cndmask_b32_e32 v34, v52, v42, vcc
	v_cndmask_b32_e32 v42, v51, v54, vcc
	v_lshlrev_b32_e32 v51, 24, v35
	v_bfrev_b32_e32 v52, 60
	v_lshlrev_b32_e32 v42, 20, v42
	v_and_b32_e32 v51, 0x80000000, v51
	v_lshl_add_u32 v34, v34, 23, v52
	v_or3_b32 v52, v51, v34, v42
.LBB546_41:
	s_or_b64 exec, exec, s[10:11]
.LBB546_42:
	s_or_b64 exec, exec, s[8:9]
.LBB546_43:
	s_or_b64 exec, exec, s[2:3]
	v_lshrrev_b16_e32 v34, 8, v35
	v_cmp_ne_u16_e32 vcc, 0, v34
	v_mov_b32_e32 v42, 0
	v_mov_b32_e32 v54, 0
	s_and_saveexec_b64 s[2:3], vcc
	s_cbranch_execz .LBB546_49
; %bb.44:
	s_movk_i32 s8, 0x80
	v_cmp_ne_u16_e32 vcc, s8, v34
	v_bfrev_b32_e32 v54, 1
	s_and_saveexec_b64 s[8:9], vcc
	s_cbranch_execz .LBB546_48
; %bb.45:
	s_movk_i32 s10, 0x7f
	v_and_b32_e32 v51, 0x7f, v34
	v_cmp_ne_u32_e32 vcc, s10, v51
	v_mov_b32_e32 v54, 0x7f800001
	s_and_saveexec_b64 s[10:11], vcc
	s_cbranch_execz .LBB546_47
; %bb.46:
	v_and_b32_e32 v56, 7, v34
	v_ffbh_u32_e32 v54, v56
	v_min_u32_e32 v58, 32, v54
	v_subrev_u32_e32 v54, 28, v58
	v_lshlrev_b64 v[54:55], v54, v[34:35]
	v_lshrrev_b32_e32 v57, 3, v51
	v_sub_u32_e32 v34, 29, v58
	v_and_b32_e32 v54, 7, v54
	v_cmp_gt_u32_e32 vcc, 8, v51
	v_cndmask_b32_e32 v34, v57, v34, vcc
	v_cndmask_b32_e32 v51, v56, v54, vcc
	v_lshlrev_b32_e32 v54, 16, v35
	v_bfrev_b32_e32 v55, 60
	v_lshlrev_b32_e32 v51, 20, v51
	v_and_b32_e32 v54, 0x80000000, v54
	v_lshl_add_u32 v34, v34, 23, v55
	v_or3_b32 v54, v54, v34, v51
.LBB546_47:
	s_or_b64 exec, exec, s[10:11]
.LBB546_48:
	s_or_b64 exec, exec, s[8:9]
.LBB546_49:
	s_or_b64 exec, exec, s[2:3]
	s_movk_i32 s2, 0xff
	v_and_b32_sdwa v51, v35, s2 dst_sel:DWORD dst_unused:UNUSED_PAD src0_sel:WORD_1 src1_sel:DWORD
	v_lshrrev_b32_e32 v34, 16, v35
	v_cmp_ne_u16_e32 vcc, 0, v51
	s_and_saveexec_b64 s[2:3], vcc
	s_cbranch_execz .LBB546_55
; %bb.50:
	s_movk_i32 s8, 0x80
	v_cmp_ne_u16_e32 vcc, s8, v51
	v_bfrev_b32_e32 v42, 1
	s_and_saveexec_b64 s[8:9], vcc
	s_cbranch_execz .LBB546_54
; %bb.51:
	v_bfe_u32 v51, v35, 16, 7
	s_movk_i32 s10, 0x7f
	v_cmp_ne_u32_e32 vcc, s10, v51
	v_mov_b32_e32 v42, 0x7f800001
	s_and_saveexec_b64 s[10:11], vcc
	s_cbranch_execz .LBB546_53
; %bb.52:
	v_and_b32_e32 v42, 7, v34
	v_ffbh_u32_e32 v56, v42
	v_min_u32_e32 v58, 32, v56
	v_subrev_u32_e32 v56, 28, v58
	v_lshlrev_b64 v[56:57], v56, v[34:35]
	v_lshrrev_b32_e32 v55, 3, v51
	v_sub_u32_e32 v34, 29, v58
	v_and_b32_e32 v56, 7, v56
	v_cmp_gt_u32_e32 vcc, 8, v51
	v_mov_b32_e32 v51, 24
	v_cndmask_b32_e32 v34, v55, v34, vcc
	v_cndmask_b32_e32 v42, v42, v56, vcc
	v_lshlrev_b32_sdwa v51, v51, v35 dst_sel:DWORD dst_unused:UNUSED_PAD src0_sel:DWORD src1_sel:WORD_1
	v_bfrev_b32_e32 v55, 60
	v_lshlrev_b32_e32 v42, 20, v42
	v_and_b32_e32 v51, 0x80000000, v51
	v_lshl_add_u32 v34, v34, 23, v55
	v_or3_b32 v42, v51, v34, v42
.LBB546_53:
	s_or_b64 exec, exec, s[10:11]
.LBB546_54:
	s_or_b64 exec, exec, s[8:9]
.LBB546_55:
	s_or_b64 exec, exec, s[2:3]
	s_mov_b32 s2, 0xffffff
	v_cmp_lt_u32_e32 vcc, s2, v35
	v_mov_b32_e32 v51, 0
	v_mov_b32_e32 v55, 0
	s_and_saveexec_b64 s[2:3], vcc
	s_cbranch_execz .LBB546_61
; %bb.56:
	v_lshrrev_b32_e32 v34, 24, v35
	s_movk_i32 s8, 0x80
	v_cmp_ne_u32_e32 vcc, s8, v34
	v_bfrev_b32_e32 v55, 1
	s_and_saveexec_b64 s[8:9], vcc
	s_cbranch_execz .LBB546_60
; %bb.57:
	v_bfe_u32 v35, v35, 24, 7
	s_movk_i32 s10, 0x7f
	v_cmp_ne_u32_e32 vcc, s10, v35
	v_mov_b32_e32 v55, 0x7f800001
	s_and_saveexec_b64 s[10:11], vcc
	s_cbranch_execz .LBB546_59
; %bb.58:
	v_and_b32_e32 v55, 7, v34
	v_ffbh_u32_e32 v56, v55
	v_min_u32_e32 v59, 32, v56
	v_subrev_u32_e32 v56, 28, v59
	v_lshlrev_b64 v[56:57], v56, v[34:35]
	v_lshrrev_b32_e32 v58, 3, v35
	v_sub_u32_e32 v57, 29, v59
	v_and_b32_e32 v56, 7, v56
	v_cmp_gt_u32_e32 vcc, 8, v35
	v_cndmask_b32_e32 v35, v58, v57, vcc
	v_cndmask_b32_e32 v55, v55, v56, vcc
	v_lshlrev_b32_e32 v34, 24, v34
	v_bfrev_b32_e32 v56, 60
	v_lshlrev_b32_e32 v55, 20, v55
	v_and_b32_e32 v34, 0x80000000, v34
	v_lshl_add_u32 v35, v35, 23, v56
	v_or3_b32 v55, v34, v35, v55
.LBB546_59:
	s_or_b64 exec, exec, s[10:11]
.LBB546_60:
	s_or_b64 exec, exec, s[8:9]
.LBB546_61:
	s_or_b64 exec, exec, s[2:3]
	v_cvt_pkrtz_f16_f32 v34, v43, v45
	v_cvt_pkrtz_f16_f32 v35, v44, v53
	v_cmp_ne_u16_sdwa s[8:9], v36, v51 src0_sel:BYTE_0 src1_sel:DWORD
	s_nop 0
	v_mfma_f32_16x16x16f16 v[56:59], v[34:35], v[26:27], 0
	v_cvt_pkrtz_f16_f32 v34, v52, v54
	v_cvt_pkrtz_f16_f32 v35, v42, v55
	s_nop 1
	v_mfma_f32_16x16x16f16 v[42:45], v[34:35], v[28:29], v[56:59]
	s_and_saveexec_b64 s[2:3], s[8:9]
	s_cbranch_execz .LBB546_67
; %bb.62:
	s_movk_i32 s8, 0x80
	v_cmp_ne_u16_sdwa s[10:11], v36, s8 src0_sel:BYTE_0 src1_sel:DWORD
	v_bfrev_b32_e32 v51, 1
	s_and_saveexec_b64 s[8:9], s[10:11]
	s_cbranch_execz .LBB546_66
; %bb.63:
	s_movk_i32 s10, 0x7f
	v_and_b32_e32 v34, 0x7f, v36
	v_cmp_ne_u32_e32 vcc, s10, v34
	v_mov_b32_e32 v51, 0x7f800001
	s_and_saveexec_b64 s[10:11], vcc
	s_cbranch_execz .LBB546_65
; %bb.64:
	v_and_b32_e32 v35, 7, v36
	v_ffbh_u32_e32 v52, v35
	v_min_u32_e32 v54, 32, v52
	v_subrev_u32_e32 v52, 28, v54
	v_lshlrev_b64 v[52:53], v52, v[36:37]
	v_lshrrev_b32_e32 v51, 3, v34
	v_sub_u32_e32 v53, 29, v54
	v_and_b32_e32 v52, 7, v52
	v_cmp_gt_u32_e32 vcc, 8, v34
	v_cndmask_b32_e32 v34, v51, v53, vcc
	v_cndmask_b32_e32 v35, v35, v52, vcc
	v_lshlrev_b32_e32 v51, 24, v36
	v_bfrev_b32_e32 v52, 60
	v_lshlrev_b32_e32 v35, 20, v35
	v_and_b32_e32 v51, 0x80000000, v51
	v_lshl_add_u32 v34, v34, 23, v52
	v_or3_b32 v51, v51, v34, v35
.LBB546_65:
	s_or_b64 exec, exec, s[10:11]
.LBB546_66:
	s_or_b64 exec, exec, s[8:9]
.LBB546_67:
	s_or_b64 exec, exec, s[2:3]
	v_lshrrev_b16_e32 v34, 8, v36
	v_cmp_ne_u16_e32 vcc, 0, v34
	v_mov_b32_e32 v35, 0
	v_mov_b32_e32 v53, 0
	s_and_saveexec_b64 s[2:3], vcc
	s_cbranch_execz .LBB546_73
; %bb.68:
	s_movk_i32 s8, 0x80
	v_cmp_ne_u16_e32 vcc, s8, v34
	v_bfrev_b32_e32 v53, 1
	s_and_saveexec_b64 s[8:9], vcc
	s_cbranch_execz .LBB546_72
; %bb.69:
	s_movk_i32 s10, 0x7f
	v_and_b32_e32 v52, 0x7f, v34
	v_cmp_ne_u32_e32 vcc, s10, v52
	v_mov_b32_e32 v53, 0x7f800001
	s_and_saveexec_b64 s[10:11], vcc
	s_cbranch_execz .LBB546_71
; %bb.70:
	v_and_b32_e32 v53, 7, v34
	v_ffbh_u32_e32 v54, v53
	v_min_u32_e32 v57, 32, v54
	v_subrev_u32_e32 v54, 28, v57
	v_lshlrev_b64 v[54:55], v54, v[34:35]
	v_lshrrev_b32_e32 v56, 3, v52
	v_sub_u32_e32 v34, 29, v57
	v_and_b32_e32 v54, 7, v54
	v_cmp_gt_u32_e32 vcc, 8, v52
	v_cndmask_b32_e32 v34, v56, v34, vcc
	v_cndmask_b32_e32 v52, v53, v54, vcc
	v_lshlrev_b32_e32 v53, 16, v36
	v_bfrev_b32_e32 v54, 60
	v_lshlrev_b32_e32 v52, 20, v52
	v_and_b32_e32 v53, 0x80000000, v53
	v_lshl_add_u32 v34, v34, 23, v54
	v_or3_b32 v53, v53, v34, v52
.LBB546_71:
	s_or_b64 exec, exec, s[10:11]
.LBB546_72:
	s_or_b64 exec, exec, s[8:9]
.LBB546_73:
	s_or_b64 exec, exec, s[2:3]
	s_movk_i32 s2, 0xff
	v_and_b32_sdwa v52, v36, s2 dst_sel:DWORD dst_unused:UNUSED_PAD src0_sel:WORD_1 src1_sel:DWORD
	v_lshrrev_b32_e32 v34, 16, v36
	v_cmp_ne_u16_e32 vcc, 0, v52
	s_and_saveexec_b64 s[2:3], vcc
	s_cbranch_execz .LBB546_79
; %bb.74:
	s_movk_i32 s8, 0x80
	v_cmp_ne_u16_e32 vcc, s8, v52
	v_bfrev_b32_e32 v35, 1
	s_and_saveexec_b64 s[8:9], vcc
	s_cbranch_execz .LBB546_78
; %bb.75:
	v_bfe_u32 v52, v36, 16, 7
	s_movk_i32 s10, 0x7f
	v_cmp_ne_u32_e32 vcc, s10, v52
	v_mov_b32_e32 v35, 0x7f800001
	s_and_saveexec_b64 s[10:11], vcc
	s_cbranch_execz .LBB546_77
; %bb.76:
	v_and_b32_e32 v54, 7, v34
	v_ffbh_u32_e32 v35, v54
	v_min_u32_e32 v56, 32, v35
	v_subrev_u32_e32 v35, 28, v56
	v_lshlrev_b64 v[34:35], v35, v[34:35]
	v_lshrrev_b32_e32 v55, 3, v52
	v_sub_u32_e32 v35, 29, v56
	v_and_b32_e32 v34, 7, v34
	v_cmp_gt_u32_e32 vcc, 8, v52
	v_mov_b32_e32 v52, 24
	v_cndmask_b32_e32 v35, v55, v35, vcc
	v_cndmask_b32_e32 v34, v54, v34, vcc
	v_lshlrev_b32_sdwa v52, v52, v36 dst_sel:DWORD dst_unused:UNUSED_PAD src0_sel:DWORD src1_sel:WORD_1
	v_bfrev_b32_e32 v54, 60
	v_lshlrev_b32_e32 v34, 20, v34
	v_and_b32_e32 v52, 0x80000000, v52
	v_lshl_add_u32 v35, v35, 23, v54
	v_or3_b32 v35, v52, v35, v34
.LBB546_77:
	s_or_b64 exec, exec, s[10:11]
.LBB546_78:
	s_or_b64 exec, exec, s[8:9]
.LBB546_79:
	s_or_b64 exec, exec, s[2:3]
	s_mov_b32 s2, 0xffffff
	v_cmp_lt_u32_e32 vcc, s2, v36
	v_mov_b32_e32 v54, 0
	v_mov_b32_e32 v55, 0
	s_and_saveexec_b64 s[2:3], vcc
	s_cbranch_execz .LBB546_85
; %bb.80:
	v_lshrrev_b32_e32 v34, 24, v36
	s_movk_i32 s8, 0x80
	v_cmp_ne_u32_e32 vcc, s8, v34
	v_bfrev_b32_e32 v55, 1
	s_and_saveexec_b64 s[8:9], vcc
	s_cbranch_execz .LBB546_84
; %bb.81:
	v_bfe_u32 v36, v36, 24, 7
	s_movk_i32 s10, 0x7f
	v_cmp_ne_u32_e32 vcc, s10, v36
	v_mov_b32_e32 v55, 0x7f800001
	s_and_saveexec_b64 s[10:11], vcc
	s_cbranch_execz .LBB546_83
; %bb.82:
	v_and_b32_e32 v52, 7, v34
	v_ffbh_u32_e32 v56, v52
	v_min_u32_e32 v58, 32, v56
	v_subrev_u32_e32 v56, 28, v58
	v_lshlrev_b64 v[56:57], v56, v[34:35]
	v_lshrrev_b32_e32 v55, 3, v36
	v_sub_u32_e32 v57, 29, v58
	v_and_b32_e32 v56, 7, v56
	v_cmp_gt_u32_e32 vcc, 8, v36
	v_cndmask_b32_e32 v36, v55, v57, vcc
	v_cndmask_b32_e32 v52, v52, v56, vcc
	v_lshlrev_b32_e32 v34, 24, v34
	v_bfrev_b32_e32 v55, 60
	v_lshlrev_b32_e32 v52, 20, v52
	v_and_b32_e32 v34, 0x80000000, v34
	v_lshl_add_u32 v36, v36, 23, v55
	v_or3_b32 v55, v34, v36, v52
.LBB546_83:
	s_or_b64 exec, exec, s[10:11]
.LBB546_84:
	s_or_b64 exec, exec, s[8:9]
.LBB546_85:
	s_or_b64 exec, exec, s[2:3]
	v_cmp_ne_u16_sdwa s[8:9], v37, v54 src0_sel:BYTE_0 src1_sel:DWORD
	s_and_saveexec_b64 s[2:3], s[8:9]
	s_cbranch_execz .LBB546_91
; %bb.86:
	s_movk_i32 s8, 0x80
	v_cmp_ne_u16_sdwa s[10:11], v37, s8 src0_sel:BYTE_0 src1_sel:DWORD
	v_bfrev_b32_e32 v54, 1
	s_and_saveexec_b64 s[8:9], s[10:11]
	s_cbranch_execz .LBB546_90
; %bb.87:
	s_movk_i32 s10, 0x7f
	v_and_b32_e32 v34, 0x7f, v37
	v_cmp_ne_u32_e32 vcc, s10, v34
	v_mov_b32_e32 v54, 0x7f800001
	s_and_saveexec_b64 s[10:11], vcc
	s_cbranch_execz .LBB546_89
; %bb.88:
	v_and_b32_e32 v52, 7, v37
	v_ffbh_u32_e32 v56, v52
	v_min_u32_e32 v58, 32, v56
	v_mov_b32_e32 v36, v37
	v_subrev_u32_e32 v56, 28, v58
	v_lshlrev_b64 v[56:57], v56, v[36:37]
	v_lshrrev_b32_e32 v54, 3, v34
	v_sub_u32_e32 v36, 29, v58
	v_and_b32_e32 v56, 7, v56
	v_cmp_gt_u32_e32 vcc, 8, v34
	v_cndmask_b32_e32 v34, v54, v36, vcc
	v_cndmask_b32_e32 v36, v52, v56, vcc
	v_lshlrev_b32_e32 v52, 24, v37
	v_bfrev_b32_e32 v54, 60
	v_lshlrev_b32_e32 v36, 20, v36
	v_and_b32_e32 v52, 0x80000000, v52
	v_lshl_add_u32 v34, v34, 23, v54
	v_or3_b32 v54, v52, v34, v36
.LBB546_89:
	s_or_b64 exec, exec, s[10:11]
.LBB546_90:
	s_or_b64 exec, exec, s[8:9]
.LBB546_91:
	s_or_b64 exec, exec, s[2:3]
	v_lshrrev_b16_e32 v34, 8, v37
	v_cmp_ne_u16_e32 vcc, 0, v34
	v_mov_b32_e32 v36, 0
	v_mov_b32_e32 v56, 0
	s_and_saveexec_b64 s[2:3], vcc
	s_cbranch_execz .LBB546_97
; %bb.92:
	s_movk_i32 s8, 0x80
	v_cmp_ne_u16_e32 vcc, s8, v34
	v_bfrev_b32_e32 v56, 1
	s_and_saveexec_b64 s[8:9], vcc
	s_cbranch_execz .LBB546_96
; %bb.93:
	s_movk_i32 s10, 0x7f
	v_and_b32_e32 v52, 0x7f, v34
	v_cmp_ne_u32_e32 vcc, s10, v52
	v_mov_b32_e32 v56, 0x7f800001
	s_and_saveexec_b64 s[10:11], vcc
	s_cbranch_execz .LBB546_95
; %bb.94:
	v_and_b32_e32 v58, 7, v34
	v_ffbh_u32_e32 v56, v58
	v_min_u32_e32 v60, 32, v56
	v_subrev_u32_e32 v56, 28, v60
	v_lshlrev_b64 v[56:57], v56, v[34:35]
	v_lshrrev_b32_e32 v59, 3, v52
	v_sub_u32_e32 v34, 29, v60
	v_and_b32_e32 v56, 7, v56
	v_cmp_gt_u32_e32 vcc, 8, v52
	v_cndmask_b32_e32 v34, v59, v34, vcc
	v_cndmask_b32_e32 v52, v58, v56, vcc
	v_lshlrev_b32_e32 v56, 16, v37
	v_bfrev_b32_e32 v57, 60
	v_lshlrev_b32_e32 v52, 20, v52
	v_and_b32_e32 v56, 0x80000000, v56
	v_lshl_add_u32 v34, v34, 23, v57
	v_or3_b32 v56, v56, v34, v52
.LBB546_95:
	s_or_b64 exec, exec, s[10:11]
.LBB546_96:
	s_or_b64 exec, exec, s[8:9]
.LBB546_97:
	s_or_b64 exec, exec, s[2:3]
	s_movk_i32 s2, 0xff
	v_and_b32_sdwa v52, v37, s2 dst_sel:DWORD dst_unused:UNUSED_PAD src0_sel:WORD_1 src1_sel:DWORD
	v_lshrrev_b32_e32 v34, 16, v37
	v_cmp_ne_u16_e32 vcc, 0, v52
	s_and_saveexec_b64 s[2:3], vcc
	s_cbranch_execz .LBB546_103
; %bb.98:
	s_movk_i32 s8, 0x80
	v_cmp_ne_u16_e32 vcc, s8, v52
	v_bfrev_b32_e32 v36, 1
	s_and_saveexec_b64 s[8:9], vcc
	s_cbranch_execz .LBB546_102
; %bb.99:
	v_bfe_u32 v52, v37, 16, 7
	s_movk_i32 s10, 0x7f
	v_cmp_ne_u32_e32 vcc, s10, v52
	v_mov_b32_e32 v36, 0x7f800001
	s_and_saveexec_b64 s[10:11], vcc
	s_cbranch_execz .LBB546_101
; %bb.100:
	v_and_b32_e32 v36, 7, v34
	v_ffbh_u32_e32 v58, v36
	v_min_u32_e32 v60, 32, v58
	v_subrev_u32_e32 v58, 28, v60
	v_lshlrev_b64 v[58:59], v58, v[34:35]
	v_lshrrev_b32_e32 v57, 3, v52
	v_sub_u32_e32 v34, 29, v60
	v_and_b32_e32 v58, 7, v58
	v_cmp_gt_u32_e32 vcc, 8, v52
	v_mov_b32_e32 v52, 24
	v_cndmask_b32_e32 v34, v57, v34, vcc
	v_cndmask_b32_e32 v36, v36, v58, vcc
	v_lshlrev_b32_sdwa v52, v52, v37 dst_sel:DWORD dst_unused:UNUSED_PAD src0_sel:DWORD src1_sel:WORD_1
	v_bfrev_b32_e32 v57, 60
	v_lshlrev_b32_e32 v36, 20, v36
	v_and_b32_e32 v52, 0x80000000, v52
	v_lshl_add_u32 v34, v34, 23, v57
	v_or3_b32 v36, v52, v34, v36
.LBB546_101:
	s_or_b64 exec, exec, s[10:11]
.LBB546_102:
	s_or_b64 exec, exec, s[8:9]
.LBB546_103:
	s_or_b64 exec, exec, s[2:3]
	s_mov_b32 s2, 0xffffff
	v_cmp_lt_u32_e32 vcc, s2, v37
	v_mov_b32_e32 v52, 0
	v_mov_b32_e32 v57, 0
	s_and_saveexec_b64 s[2:3], vcc
	s_cbranch_execz .LBB546_109
; %bb.104:
	v_lshrrev_b32_e32 v34, 24, v37
	s_movk_i32 s8, 0x80
	v_cmp_ne_u32_e32 vcc, s8, v34
	v_bfrev_b32_e32 v57, 1
	s_and_saveexec_b64 s[8:9], vcc
	s_cbranch_execz .LBB546_108
; %bb.105:
	v_bfe_u32 v37, v37, 24, 7
	s_movk_i32 s10, 0x7f
	v_cmp_ne_u32_e32 vcc, s10, v37
	v_mov_b32_e32 v57, 0x7f800001
	s_and_saveexec_b64 s[10:11], vcc
	s_cbranch_execz .LBB546_107
; %bb.106:
	v_and_b32_e32 v57, 7, v34
	v_ffbh_u32_e32 v58, v57
	v_min_u32_e32 v61, 32, v58
	v_subrev_u32_e32 v58, 28, v61
	v_lshlrev_b64 v[58:59], v58, v[34:35]
	v_lshrrev_b32_e32 v60, 3, v37
	v_sub_u32_e32 v59, 29, v61
	v_and_b32_e32 v58, 7, v58
	v_cmp_gt_u32_e32 vcc, 8, v37
	v_cndmask_b32_e32 v37, v60, v59, vcc
	v_cndmask_b32_e32 v57, v57, v58, vcc
	v_lshlrev_b32_e32 v34, 24, v34
	v_bfrev_b32_e32 v58, 60
	v_lshlrev_b32_e32 v57, 20, v57
	v_and_b32_e32 v34, 0x80000000, v34
	v_lshl_add_u32 v37, v37, 23, v58
	v_or3_b32 v57, v34, v37, v57
.LBB546_107:
	s_or_b64 exec, exec, s[10:11]
.LBB546_108:
	s_or_b64 exec, exec, s[8:9]
.LBB546_109:
	s_or_b64 exec, exec, s[2:3]
	v_cvt_pkrtz_f16_f32 v34, v51, v53
	v_cvt_pkrtz_f16_f32 v35, v35, v55
	v_cmp_ne_u16_sdwa s[8:9], v38, v52 src0_sel:BYTE_0 src1_sel:DWORD
	s_nop 0
	v_mfma_f32_16x16x16f16 v[42:45], v[34:35], v[18:19], v[42:45]
	v_cvt_pkrtz_f16_f32 v34, v54, v56
	v_cvt_pkrtz_f16_f32 v35, v36, v57
	s_nop 1
	v_mfma_f32_16x16x16f16 v[34:37], v[34:35], v[20:21], v[42:45]
	s_and_saveexec_b64 s[2:3], s[8:9]
	s_cbranch_execz .LBB546_115
; %bb.110:
	s_movk_i32 s8, 0x80
	v_cmp_ne_u16_sdwa s[10:11], v38, s8 src0_sel:BYTE_0 src1_sel:DWORD
	v_bfrev_b32_e32 v52, 1
	s_and_saveexec_b64 s[8:9], s[10:11]
	s_cbranch_execz .LBB546_114
; %bb.111:
	s_movk_i32 s10, 0x7f
	v_and_b32_e32 v42, 0x7f, v38
	v_cmp_ne_u32_e32 vcc, s10, v42
	v_mov_b32_e32 v52, 0x7f800001
	s_and_saveexec_b64 s[10:11], vcc
	s_cbranch_execz .LBB546_113
; %bb.112:
	v_and_b32_e32 v43, 7, v38
	v_ffbh_u32_e32 v44, v43
	v_min_u32_e32 v52, 32, v44
	v_subrev_u32_e32 v44, 28, v52
	v_lshlrev_b64 v[44:45], v44, v[38:39]
	v_lshrrev_b32_e32 v51, 3, v42
	v_sub_u32_e32 v45, 29, v52
	v_and_b32_e32 v44, 7, v44
	v_cmp_gt_u32_e32 vcc, 8, v42
	v_cndmask_b32_e32 v42, v51, v45, vcc
	v_cndmask_b32_e32 v43, v43, v44, vcc
	v_lshlrev_b32_e32 v44, 24, v38
	v_bfrev_b32_e32 v45, 60
	v_lshlrev_b32_e32 v43, 20, v43
	v_and_b32_e32 v44, 0x80000000, v44
	v_lshl_add_u32 v42, v42, 23, v45
	v_or3_b32 v52, v44, v42, v43
.LBB546_113:
	s_or_b64 exec, exec, s[10:11]
.LBB546_114:
	s_or_b64 exec, exec, s[8:9]
.LBB546_115:
	s_or_b64 exec, exec, s[2:3]
	s_nop 3
	v_lshrrev_b16_e32 v42, 8, v38
	v_cmp_ne_u16_e32 vcc, 0, v42
	v_mov_b32_e32 v43, 0
	v_mov_b32_e32 v44, 0
	s_and_saveexec_b64 s[2:3], vcc
	s_cbranch_execz .LBB546_121
; %bb.116:
	s_movk_i32 s8, 0x80
	v_cmp_ne_u16_e32 vcc, s8, v42
	v_bfrev_b32_e32 v44, 1
	s_and_saveexec_b64 s[8:9], vcc
	s_cbranch_execz .LBB546_120
; %bb.117:
	s_movk_i32 s10, 0x7f
	v_and_b32_e32 v45, 0x7f, v42
	v_cmp_ne_u32_e32 vcc, s10, v45
	v_mov_b32_e32 v44, 0x7f800001
	s_and_saveexec_b64 s[10:11], vcc
	s_cbranch_execz .LBB546_119
; %bb.118:
	v_and_b32_e32 v44, 7, v42
	v_ffbh_u32_e32 v53, v44
	v_min_u32_e32 v53, 32, v53
	v_subrev_u32_e32 v54, 28, v53
	v_lshlrev_b64 v[54:55], v54, v[42:43]
	v_lshrrev_b32_e32 v51, 3, v45
	v_sub_u32_e32 v42, 29, v53
	v_and_b32_e32 v53, 7, v54
	v_cmp_gt_u32_e32 vcc, 8, v45
	v_cndmask_b32_e32 v42, v51, v42, vcc
	v_cndmask_b32_e32 v44, v44, v53, vcc
	v_lshlrev_b32_e32 v45, 16, v38
	v_bfrev_b32_e32 v51, 60
	v_lshlrev_b32_e32 v44, 20, v44
	v_and_b32_e32 v45, 0x80000000, v45
	v_lshl_add_u32 v42, v42, 23, v51
	v_or3_b32 v44, v45, v42, v44
.LBB546_119:
	s_or_b64 exec, exec, s[10:11]
.LBB546_120:
	s_or_b64 exec, exec, s[8:9]
.LBB546_121:
	s_or_b64 exec, exec, s[2:3]
	s_movk_i32 s2, 0xff
	v_and_b32_sdwa v45, v38, s2 dst_sel:DWORD dst_unused:UNUSED_PAD src0_sel:WORD_1 src1_sel:DWORD
	v_lshrrev_b32_e32 v42, 16, v38
	v_cmp_ne_u16_e32 vcc, 0, v45
	s_and_saveexec_b64 s[2:3], vcc
	s_cbranch_execz .LBB546_127
; %bb.122:
	s_movk_i32 s8, 0x80
	v_cmp_ne_u16_e32 vcc, s8, v45
	v_bfrev_b32_e32 v43, 1
	s_and_saveexec_b64 s[8:9], vcc
	s_cbranch_execz .LBB546_126
; %bb.123:
	v_bfe_u32 v45, v38, 16, 7
	s_movk_i32 s10, 0x7f
	v_cmp_ne_u32_e32 vcc, s10, v45
	v_mov_b32_e32 v43, 0x7f800001
	s_and_saveexec_b64 s[10:11], vcc
	s_cbranch_execz .LBB546_125
; %bb.124:
	v_and_b32_e32 v51, 7, v42
	v_ffbh_u32_e32 v43, v51
	v_min_u32_e32 v54, 32, v43
	v_subrev_u32_e32 v43, 28, v54
	v_lshlrev_b64 v[42:43], v43, v[42:43]
	v_lshrrev_b32_e32 v53, 3, v45
	v_sub_u32_e32 v43, 29, v54
	v_and_b32_e32 v42, 7, v42
	v_cmp_gt_u32_e32 vcc, 8, v45
	v_mov_b32_e32 v45, 24
	v_cndmask_b32_e32 v43, v53, v43, vcc
	v_cndmask_b32_e32 v42, v51, v42, vcc
	v_lshlrev_b32_sdwa v45, v45, v38 dst_sel:DWORD dst_unused:UNUSED_PAD src0_sel:DWORD src1_sel:WORD_1
	v_bfrev_b32_e32 v51, 60
	v_lshlrev_b32_e32 v42, 20, v42
	v_and_b32_e32 v45, 0x80000000, v45
	v_lshl_add_u32 v43, v43, 23, v51
	v_or3_b32 v43, v45, v43, v42
.LBB546_125:
	s_or_b64 exec, exec, s[10:11]
.LBB546_126:
	s_or_b64 exec, exec, s[8:9]
.LBB546_127:
	s_or_b64 exec, exec, s[2:3]
	s_mov_b32 s2, 0xffffff
	v_cmp_lt_u32_e32 vcc, s2, v38
	v_mov_b32_e32 v45, 0
	v_mov_b32_e32 v53, 0
	s_and_saveexec_b64 s[2:3], vcc
	s_cbranch_execz .LBB546_133
; %bb.128:
	v_lshrrev_b32_e32 v42, 24, v38
	s_movk_i32 s8, 0x80
	v_cmp_ne_u32_e32 vcc, s8, v42
	v_bfrev_b32_e32 v53, 1
	s_and_saveexec_b64 s[8:9], vcc
	s_cbranch_execz .LBB546_132
; %bb.129:
	v_bfe_u32 v38, v38, 24, 7
	s_movk_i32 s10, 0x7f
	v_cmp_ne_u32_e32 vcc, s10, v38
	v_mov_b32_e32 v53, 0x7f800001
	s_and_saveexec_b64 s[10:11], vcc
	s_cbranch_execz .LBB546_131
; %bb.130:
	v_and_b32_e32 v51, 7, v42
	v_ffbh_u32_e32 v54, v51
	v_min_u32_e32 v56, 32, v54
	v_subrev_u32_e32 v54, 28, v56
	v_lshlrev_b64 v[54:55], v54, v[42:43]
	v_lshrrev_b32_e32 v53, 3, v38
	v_sub_u32_e32 v55, 29, v56
	v_and_b32_e32 v54, 7, v54
	v_cmp_gt_u32_e32 vcc, 8, v38
	v_cndmask_b32_e32 v38, v53, v55, vcc
	v_cndmask_b32_e32 v51, v51, v54, vcc
	v_lshlrev_b32_e32 v42, 24, v42
	v_bfrev_b32_e32 v53, 60
	v_lshlrev_b32_e32 v51, 20, v51
	v_and_b32_e32 v42, 0x80000000, v42
	v_lshl_add_u32 v38, v38, 23, v53
	v_or3_b32 v53, v42, v38, v51
.LBB546_131:
	s_or_b64 exec, exec, s[10:11]
.LBB546_132:
	s_or_b64 exec, exec, s[8:9]
.LBB546_133:
	s_or_b64 exec, exec, s[2:3]
	v_cmp_ne_u16_sdwa s[8:9], v39, v45 src0_sel:BYTE_0 src1_sel:DWORD
	s_and_saveexec_b64 s[2:3], s[8:9]
	s_cbranch_execz .LBB546_139
; %bb.134:
	s_movk_i32 s8, 0x80
	v_cmp_ne_u16_sdwa s[10:11], v39, s8 src0_sel:BYTE_0 src1_sel:DWORD
	v_bfrev_b32_e32 v45, 1
	s_and_saveexec_b64 s[8:9], s[10:11]
	s_cbranch_execz .LBB546_138
; %bb.135:
	s_movk_i32 s10, 0x7f
	v_and_b32_e32 v38, 0x7f, v39
	v_cmp_ne_u32_e32 vcc, s10, v38
	v_mov_b32_e32 v45, 0x7f800001
	s_and_saveexec_b64 s[10:11], vcc
	s_cbranch_execz .LBB546_137
; %bb.136:
	v_and_b32_e32 v45, 7, v39
	v_ffbh_u32_e32 v54, v45
	v_min_u32_e32 v56, 32, v54
	v_mov_b32_e32 v42, v39
	v_subrev_u32_e32 v54, 28, v56
	v_lshlrev_b64 v[54:55], v54, v[42:43]
	v_lshrrev_b32_e32 v51, 3, v38
	v_sub_u32_e32 v42, 29, v56
	v_and_b32_e32 v54, 7, v54
	v_cmp_gt_u32_e32 vcc, 8, v38
	v_cndmask_b32_e32 v38, v51, v42, vcc
	v_cndmask_b32_e32 v42, v45, v54, vcc
	v_lshlrev_b32_e32 v45, 24, v39
	v_bfrev_b32_e32 v51, 60
	v_lshlrev_b32_e32 v42, 20, v42
	v_and_b32_e32 v45, 0x80000000, v45
	v_lshl_add_u32 v38, v38, 23, v51
	v_or3_b32 v45, v45, v38, v42
.LBB546_137:
	s_or_b64 exec, exec, s[10:11]
.LBB546_138:
	s_or_b64 exec, exec, s[8:9]
.LBB546_139:
	s_or_b64 exec, exec, s[2:3]
	v_lshrrev_b16_e32 v38, 8, v39
	v_cmp_ne_u16_e32 vcc, 0, v38
	v_mov_b32_e32 v42, 0
	v_mov_b32_e32 v54, 0
	s_and_saveexec_b64 s[2:3], vcc
	s_cbranch_execz .LBB546_145
; %bb.140:
	s_movk_i32 s8, 0x80
	v_cmp_ne_u16_e32 vcc, s8, v38
	v_bfrev_b32_e32 v54, 1
	s_and_saveexec_b64 s[8:9], vcc
	s_cbranch_execz .LBB546_144
; %bb.141:
	s_movk_i32 s10, 0x7f
	v_and_b32_e32 v51, 0x7f, v38
	v_cmp_ne_u32_e32 vcc, s10, v51
	v_mov_b32_e32 v54, 0x7f800001
	s_and_saveexec_b64 s[10:11], vcc
	s_cbranch_execz .LBB546_143
; %bb.142:
	v_and_b32_e32 v56, 7, v38
	v_ffbh_u32_e32 v54, v56
	v_min_u32_e32 v58, 32, v54
	v_subrev_u32_e32 v54, 28, v58
	v_lshlrev_b64 v[54:55], v54, v[38:39]
	v_lshrrev_b32_e32 v57, 3, v51
	v_sub_u32_e32 v38, 29, v58
	v_and_b32_e32 v54, 7, v54
	v_cmp_gt_u32_e32 vcc, 8, v51
	v_cndmask_b32_e32 v38, v57, v38, vcc
	v_cndmask_b32_e32 v51, v56, v54, vcc
	v_lshlrev_b32_e32 v54, 16, v39
	v_bfrev_b32_e32 v55, 60
	v_lshlrev_b32_e32 v51, 20, v51
	v_and_b32_e32 v54, 0x80000000, v54
	v_lshl_add_u32 v38, v38, 23, v55
	v_or3_b32 v54, v54, v38, v51
.LBB546_143:
	s_or_b64 exec, exec, s[10:11]
.LBB546_144:
	s_or_b64 exec, exec, s[8:9]
.LBB546_145:
	s_or_b64 exec, exec, s[2:3]
	s_movk_i32 s2, 0xff
	v_and_b32_sdwa v51, v39, s2 dst_sel:DWORD dst_unused:UNUSED_PAD src0_sel:WORD_1 src1_sel:DWORD
	v_lshrrev_b32_e32 v38, 16, v39
	v_cmp_ne_u16_e32 vcc, 0, v51
	s_and_saveexec_b64 s[2:3], vcc
	s_cbranch_execz .LBB546_151
; %bb.146:
	s_movk_i32 s8, 0x80
	v_cmp_ne_u16_e32 vcc, s8, v51
	v_bfrev_b32_e32 v42, 1
	s_and_saveexec_b64 s[8:9], vcc
	s_cbranch_execz .LBB546_150
; %bb.147:
	v_bfe_u32 v51, v39, 16, 7
	s_movk_i32 s10, 0x7f
	v_cmp_ne_u32_e32 vcc, s10, v51
	v_mov_b32_e32 v42, 0x7f800001
	s_and_saveexec_b64 s[10:11], vcc
	s_cbranch_execz .LBB546_149
; %bb.148:
	v_and_b32_e32 v42, 7, v38
	v_ffbh_u32_e32 v56, v42
	v_min_u32_e32 v58, 32, v56
	v_subrev_u32_e32 v56, 28, v58
	v_lshlrev_b64 v[56:57], v56, v[38:39]
	v_lshrrev_b32_e32 v55, 3, v51
	v_sub_u32_e32 v38, 29, v58
	v_and_b32_e32 v56, 7, v56
	v_cmp_gt_u32_e32 vcc, 8, v51
	v_mov_b32_e32 v51, 24
	v_cndmask_b32_e32 v38, v55, v38, vcc
	v_cndmask_b32_e32 v42, v42, v56, vcc
	v_lshlrev_b32_sdwa v51, v51, v39 dst_sel:DWORD dst_unused:UNUSED_PAD src0_sel:DWORD src1_sel:WORD_1
	v_bfrev_b32_e32 v55, 60
	v_lshlrev_b32_e32 v42, 20, v42
	v_and_b32_e32 v51, 0x80000000, v51
	v_lshl_add_u32 v38, v38, 23, v55
	v_or3_b32 v42, v51, v38, v42
.LBB546_149:
	s_or_b64 exec, exec, s[10:11]
.LBB546_150:
	s_or_b64 exec, exec, s[8:9]
.LBB546_151:
	s_or_b64 exec, exec, s[2:3]
	s_mov_b32 s2, 0xffffff
	v_cmp_lt_u32_e32 vcc, s2, v39
	v_mov_b32_e32 v51, 0
	v_mov_b32_e32 v55, 0
	s_and_saveexec_b64 s[2:3], vcc
	s_cbranch_execz .LBB546_157
; %bb.152:
	v_lshrrev_b32_e32 v38, 24, v39
	s_movk_i32 s8, 0x80
	v_cmp_ne_u32_e32 vcc, s8, v38
	v_bfrev_b32_e32 v55, 1
	s_and_saveexec_b64 s[8:9], vcc
	s_cbranch_execz .LBB546_156
; %bb.153:
	v_bfe_u32 v39, v39, 24, 7
	s_movk_i32 s10, 0x7f
	v_cmp_ne_u32_e32 vcc, s10, v39
	v_mov_b32_e32 v55, 0x7f800001
	s_and_saveexec_b64 s[10:11], vcc
	s_cbranch_execz .LBB546_155
; %bb.154:
	v_and_b32_e32 v55, 7, v38
	v_ffbh_u32_e32 v56, v55
	v_min_u32_e32 v59, 32, v56
	v_subrev_u32_e32 v56, 28, v59
	v_lshlrev_b64 v[56:57], v56, v[38:39]
	v_lshrrev_b32_e32 v58, 3, v39
	v_sub_u32_e32 v57, 29, v59
	v_and_b32_e32 v56, 7, v56
	v_cmp_gt_u32_e32 vcc, 8, v39
	v_cndmask_b32_e32 v39, v58, v57, vcc
	v_cndmask_b32_e32 v55, v55, v56, vcc
	v_lshlrev_b32_e32 v38, 24, v38
	v_bfrev_b32_e32 v56, 60
	v_lshlrev_b32_e32 v55, 20, v55
	v_and_b32_e32 v38, 0x80000000, v38
	v_lshl_add_u32 v39, v39, 23, v56
	v_or3_b32 v55, v38, v39, v55
.LBB546_155:
	s_or_b64 exec, exec, s[10:11]
.LBB546_156:
	s_or_b64 exec, exec, s[8:9]
.LBB546_157:
	s_or_b64 exec, exec, s[2:3]
	v_cvt_pkrtz_f16_f32 v38, v52, v44
	v_cvt_pkrtz_f16_f32 v39, v43, v53
	v_cmp_ne_u16_sdwa s[8:9], v40, v51 src0_sel:BYTE_0 src1_sel:DWORD
	s_nop 0
	v_mfma_f32_16x16x16f16 v[56:59], v[38:39], v[26:27], 0
	v_cvt_pkrtz_f16_f32 v38, v45, v54
	v_cvt_pkrtz_f16_f32 v39, v42, v55
	s_nop 1
	v_mfma_f32_16x16x16f16 v[42:45], v[38:39], v[28:29], v[56:59]
	s_and_saveexec_b64 s[2:3], s[8:9]
	s_cbranch_execz .LBB546_163
; %bb.158:
	s_movk_i32 s8, 0x80
	v_cmp_ne_u16_sdwa s[10:11], v40, s8 src0_sel:BYTE_0 src1_sel:DWORD
	v_bfrev_b32_e32 v51, 1
	s_and_saveexec_b64 s[8:9], s[10:11]
	s_cbranch_execz .LBB546_162
; %bb.159:
	s_movk_i32 s10, 0x7f
	v_and_b32_e32 v38, 0x7f, v40
	v_cmp_ne_u32_e32 vcc, s10, v38
	v_mov_b32_e32 v51, 0x7f800001
	s_and_saveexec_b64 s[10:11], vcc
	s_cbranch_execz .LBB546_161
; %bb.160:
	v_and_b32_e32 v39, 7, v40
	v_ffbh_u32_e32 v52, v39
	v_min_u32_e32 v54, 32, v52
	v_subrev_u32_e32 v52, 28, v54
	v_lshlrev_b64 v[52:53], v52, v[40:41]
	v_lshrrev_b32_e32 v51, 3, v38
	v_sub_u32_e32 v53, 29, v54
	v_and_b32_e32 v52, 7, v52
	v_cmp_gt_u32_e32 vcc, 8, v38
	v_cndmask_b32_e32 v38, v51, v53, vcc
	v_cndmask_b32_e32 v39, v39, v52, vcc
	v_lshlrev_b32_e32 v51, 24, v40
	v_bfrev_b32_e32 v52, 60
	v_lshlrev_b32_e32 v39, 20, v39
	v_and_b32_e32 v51, 0x80000000, v51
	v_lshl_add_u32 v38, v38, 23, v52
	v_or3_b32 v51, v51, v38, v39
.LBB546_161:
	s_or_b64 exec, exec, s[10:11]
.LBB546_162:
	s_or_b64 exec, exec, s[8:9]
.LBB546_163:
	s_or_b64 exec, exec, s[2:3]
	v_lshrrev_b16_e32 v38, 8, v40
	v_cmp_ne_u16_e32 vcc, 0, v38
	v_mov_b32_e32 v39, 0
	v_mov_b32_e32 v53, 0
	s_and_saveexec_b64 s[2:3], vcc
	s_cbranch_execz .LBB546_169
; %bb.164:
	s_movk_i32 s8, 0x80
	v_cmp_ne_u16_e32 vcc, s8, v38
	v_bfrev_b32_e32 v53, 1
	s_and_saveexec_b64 s[8:9], vcc
	s_cbranch_execz .LBB546_168
; %bb.165:
	s_movk_i32 s10, 0x7f
	v_and_b32_e32 v52, 0x7f, v38
	v_cmp_ne_u32_e32 vcc, s10, v52
	v_mov_b32_e32 v53, 0x7f800001
	s_and_saveexec_b64 s[10:11], vcc
	s_cbranch_execz .LBB546_167
; %bb.166:
	v_and_b32_e32 v53, 7, v38
	v_ffbh_u32_e32 v54, v53
	v_min_u32_e32 v57, 32, v54
	v_subrev_u32_e32 v54, 28, v57
	v_lshlrev_b64 v[54:55], v54, v[38:39]
	v_lshrrev_b32_e32 v56, 3, v52
	v_sub_u32_e32 v38, 29, v57
	v_and_b32_e32 v54, 7, v54
	v_cmp_gt_u32_e32 vcc, 8, v52
	v_cndmask_b32_e32 v38, v56, v38, vcc
	v_cndmask_b32_e32 v52, v53, v54, vcc
	v_lshlrev_b32_e32 v53, 16, v40
	v_bfrev_b32_e32 v54, 60
	v_lshlrev_b32_e32 v52, 20, v52
	v_and_b32_e32 v53, 0x80000000, v53
	v_lshl_add_u32 v38, v38, 23, v54
	v_or3_b32 v53, v53, v38, v52
.LBB546_167:
	s_or_b64 exec, exec, s[10:11]
.LBB546_168:
	s_or_b64 exec, exec, s[8:9]
.LBB546_169:
	s_or_b64 exec, exec, s[2:3]
	s_movk_i32 s2, 0xff
	v_and_b32_sdwa v52, v40, s2 dst_sel:DWORD dst_unused:UNUSED_PAD src0_sel:WORD_1 src1_sel:DWORD
	v_lshrrev_b32_e32 v38, 16, v40
	v_cmp_ne_u16_e32 vcc, 0, v52
	s_and_saveexec_b64 s[2:3], vcc
	s_cbranch_execz .LBB546_175
; %bb.170:
	s_movk_i32 s8, 0x80
	v_cmp_ne_u16_e32 vcc, s8, v52
	v_bfrev_b32_e32 v39, 1
	s_and_saveexec_b64 s[8:9], vcc
	s_cbranch_execz .LBB546_174
; %bb.171:
	v_bfe_u32 v52, v40, 16, 7
	s_movk_i32 s10, 0x7f
	v_cmp_ne_u32_e32 vcc, s10, v52
	v_mov_b32_e32 v39, 0x7f800001
	s_and_saveexec_b64 s[10:11], vcc
	s_cbranch_execz .LBB546_173
; %bb.172:
	v_and_b32_e32 v54, 7, v38
	v_ffbh_u32_e32 v39, v54
	v_min_u32_e32 v56, 32, v39
	v_subrev_u32_e32 v39, 28, v56
	v_lshlrev_b64 v[38:39], v39, v[38:39]
	v_lshrrev_b32_e32 v55, 3, v52
	v_sub_u32_e32 v39, 29, v56
	v_and_b32_e32 v38, 7, v38
	v_cmp_gt_u32_e32 vcc, 8, v52
	v_mov_b32_e32 v52, 24
	v_cndmask_b32_e32 v39, v55, v39, vcc
	v_cndmask_b32_e32 v38, v54, v38, vcc
	v_lshlrev_b32_sdwa v52, v52, v40 dst_sel:DWORD dst_unused:UNUSED_PAD src0_sel:DWORD src1_sel:WORD_1
	v_bfrev_b32_e32 v54, 60
	v_lshlrev_b32_e32 v38, 20, v38
	v_and_b32_e32 v52, 0x80000000, v52
	v_lshl_add_u32 v39, v39, 23, v54
	v_or3_b32 v39, v52, v39, v38
.LBB546_173:
	s_or_b64 exec, exec, s[10:11]
.LBB546_174:
	s_or_b64 exec, exec, s[8:9]
.LBB546_175:
	s_or_b64 exec, exec, s[2:3]
	s_mov_b32 s2, 0xffffff
	v_cmp_lt_u32_e32 vcc, s2, v40
	v_mov_b32_e32 v54, 0
	v_mov_b32_e32 v55, 0
	s_and_saveexec_b64 s[2:3], vcc
	s_cbranch_execz .LBB546_181
; %bb.176:
	v_lshrrev_b32_e32 v38, 24, v40
	s_movk_i32 s8, 0x80
	v_cmp_ne_u32_e32 vcc, s8, v38
	v_bfrev_b32_e32 v55, 1
	s_and_saveexec_b64 s[8:9], vcc
	s_cbranch_execz .LBB546_180
; %bb.177:
	v_bfe_u32 v40, v40, 24, 7
	s_movk_i32 s10, 0x7f
	v_cmp_ne_u32_e32 vcc, s10, v40
	v_mov_b32_e32 v55, 0x7f800001
	s_and_saveexec_b64 s[10:11], vcc
	s_cbranch_execz .LBB546_179
; %bb.178:
	v_and_b32_e32 v52, 7, v38
	v_ffbh_u32_e32 v56, v52
	v_min_u32_e32 v58, 32, v56
	v_subrev_u32_e32 v56, 28, v58
	v_lshlrev_b64 v[56:57], v56, v[38:39]
	v_lshrrev_b32_e32 v55, 3, v40
	v_sub_u32_e32 v57, 29, v58
	v_and_b32_e32 v56, 7, v56
	v_cmp_gt_u32_e32 vcc, 8, v40
	v_cndmask_b32_e32 v40, v55, v57, vcc
	v_cndmask_b32_e32 v52, v52, v56, vcc
	v_lshlrev_b32_e32 v38, 24, v38
	v_bfrev_b32_e32 v55, 60
	v_lshlrev_b32_e32 v52, 20, v52
	v_and_b32_e32 v38, 0x80000000, v38
	v_lshl_add_u32 v40, v40, 23, v55
	v_or3_b32 v55, v38, v40, v52
.LBB546_179:
	s_or_b64 exec, exec, s[10:11]
.LBB546_180:
	s_or_b64 exec, exec, s[8:9]
.LBB546_181:
	s_or_b64 exec, exec, s[2:3]
	v_cmp_ne_u16_sdwa s[8:9], v41, v54 src0_sel:BYTE_0 src1_sel:DWORD
	s_and_saveexec_b64 s[2:3], s[8:9]
	s_cbranch_execz .LBB546_187
; %bb.182:
	s_movk_i32 s8, 0x80
	v_cmp_ne_u16_sdwa s[10:11], v41, s8 src0_sel:BYTE_0 src1_sel:DWORD
	v_bfrev_b32_e32 v54, 1
	s_and_saveexec_b64 s[8:9], s[10:11]
	s_cbranch_execz .LBB546_186
; %bb.183:
	s_movk_i32 s10, 0x7f
	v_and_b32_e32 v38, 0x7f, v41
	v_cmp_ne_u32_e32 vcc, s10, v38
	v_mov_b32_e32 v54, 0x7f800001
	s_and_saveexec_b64 s[10:11], vcc
	s_cbranch_execz .LBB546_185
; %bb.184:
	v_and_b32_e32 v52, 7, v41
	v_ffbh_u32_e32 v56, v52
	v_min_u32_e32 v58, 32, v56
	v_mov_b32_e32 v40, v41
	v_subrev_u32_e32 v56, 28, v58
	v_lshlrev_b64 v[56:57], v56, v[40:41]
	v_lshrrev_b32_e32 v54, 3, v38
	v_sub_u32_e32 v40, 29, v58
	v_and_b32_e32 v56, 7, v56
	v_cmp_gt_u32_e32 vcc, 8, v38
	v_cndmask_b32_e32 v38, v54, v40, vcc
	v_cndmask_b32_e32 v40, v52, v56, vcc
	v_lshlrev_b32_e32 v52, 24, v41
	v_bfrev_b32_e32 v54, 60
	v_lshlrev_b32_e32 v40, 20, v40
	v_and_b32_e32 v52, 0x80000000, v52
	v_lshl_add_u32 v38, v38, 23, v54
	v_or3_b32 v54, v52, v38, v40
.LBB546_185:
	s_or_b64 exec, exec, s[10:11]
.LBB546_186:
	s_or_b64 exec, exec, s[8:9]
.LBB546_187:
	s_or_b64 exec, exec, s[2:3]
	v_lshrrev_b16_e32 v38, 8, v41
	v_cmp_ne_u16_e32 vcc, 0, v38
	v_mov_b32_e32 v40, 0
	v_mov_b32_e32 v56, 0
	s_and_saveexec_b64 s[2:3], vcc
	s_cbranch_execz .LBB546_193
; %bb.188:
	s_movk_i32 s8, 0x80
	v_cmp_ne_u16_e32 vcc, s8, v38
	v_bfrev_b32_e32 v56, 1
	s_and_saveexec_b64 s[8:9], vcc
	s_cbranch_execz .LBB546_192
; %bb.189:
	s_movk_i32 s10, 0x7f
	v_and_b32_e32 v52, 0x7f, v38
	v_cmp_ne_u32_e32 vcc, s10, v52
	v_mov_b32_e32 v56, 0x7f800001
	s_and_saveexec_b64 s[10:11], vcc
	s_cbranch_execz .LBB546_191
; %bb.190:
	v_and_b32_e32 v58, 7, v38
	v_ffbh_u32_e32 v56, v58
	v_min_u32_e32 v60, 32, v56
	v_subrev_u32_e32 v56, 28, v60
	v_lshlrev_b64 v[56:57], v56, v[38:39]
	v_lshrrev_b32_e32 v59, 3, v52
	v_sub_u32_e32 v38, 29, v60
	v_and_b32_e32 v56, 7, v56
	v_cmp_gt_u32_e32 vcc, 8, v52
	v_cndmask_b32_e32 v38, v59, v38, vcc
	v_cndmask_b32_e32 v52, v58, v56, vcc
	v_lshlrev_b32_e32 v56, 16, v41
	v_bfrev_b32_e32 v57, 60
	v_lshlrev_b32_e32 v52, 20, v52
	v_and_b32_e32 v56, 0x80000000, v56
	v_lshl_add_u32 v38, v38, 23, v57
	v_or3_b32 v56, v56, v38, v52
.LBB546_191:
	s_or_b64 exec, exec, s[10:11]
.LBB546_192:
	s_or_b64 exec, exec, s[8:9]
.LBB546_193:
	s_or_b64 exec, exec, s[2:3]
	s_movk_i32 s2, 0xff
	v_and_b32_sdwa v52, v41, s2 dst_sel:DWORD dst_unused:UNUSED_PAD src0_sel:WORD_1 src1_sel:DWORD
	v_lshrrev_b32_e32 v38, 16, v41
	v_cmp_ne_u16_e32 vcc, 0, v52
	s_and_saveexec_b64 s[2:3], vcc
	s_cbranch_execz .LBB546_199
; %bb.194:
	s_movk_i32 s8, 0x80
	v_cmp_ne_u16_e32 vcc, s8, v52
	v_bfrev_b32_e32 v40, 1
	s_and_saveexec_b64 s[8:9], vcc
	s_cbranch_execz .LBB546_198
; %bb.195:
	v_bfe_u32 v52, v41, 16, 7
	s_movk_i32 s10, 0x7f
	v_cmp_ne_u32_e32 vcc, s10, v52
	v_mov_b32_e32 v40, 0x7f800001
	s_and_saveexec_b64 s[10:11], vcc
	s_cbranch_execz .LBB546_197
; %bb.196:
	v_and_b32_e32 v40, 7, v38
	v_ffbh_u32_e32 v58, v40
	v_min_u32_e32 v60, 32, v58
	v_subrev_u32_e32 v58, 28, v60
	v_lshlrev_b64 v[58:59], v58, v[38:39]
	v_lshrrev_b32_e32 v57, 3, v52
	v_sub_u32_e32 v38, 29, v60
	v_and_b32_e32 v58, 7, v58
	v_cmp_gt_u32_e32 vcc, 8, v52
	v_mov_b32_e32 v52, 24
	v_cndmask_b32_e32 v38, v57, v38, vcc
	v_cndmask_b32_e32 v40, v40, v58, vcc
	v_lshlrev_b32_sdwa v52, v52, v41 dst_sel:DWORD dst_unused:UNUSED_PAD src0_sel:DWORD src1_sel:WORD_1
	v_bfrev_b32_e32 v57, 60
	v_lshlrev_b32_e32 v40, 20, v40
	v_and_b32_e32 v52, 0x80000000, v52
	v_lshl_add_u32 v38, v38, 23, v57
	v_or3_b32 v40, v52, v38, v40
.LBB546_197:
	s_or_b64 exec, exec, s[10:11]
.LBB546_198:
	s_or_b64 exec, exec, s[8:9]
.LBB546_199:
	s_or_b64 exec, exec, s[2:3]
	s_mov_b32 s2, 0xffffff
	v_cmp_lt_u32_e32 vcc, s2, v41
	v_mov_b32_e32 v52, 0
	v_mov_b32_e32 v57, 0
	s_and_saveexec_b64 s[2:3], vcc
	s_cbranch_execz .LBB546_205
; %bb.200:
	v_lshrrev_b32_e32 v38, 24, v41
	s_movk_i32 s8, 0x80
	v_cmp_ne_u32_e32 vcc, s8, v38
	v_bfrev_b32_e32 v57, 1
	s_and_saveexec_b64 s[8:9], vcc
	s_cbranch_execz .LBB546_204
; %bb.201:
	v_bfe_u32 v41, v41, 24, 7
	s_movk_i32 s10, 0x7f
	v_cmp_ne_u32_e32 vcc, s10, v41
	v_mov_b32_e32 v57, 0x7f800001
	s_and_saveexec_b64 s[10:11], vcc
	s_cbranch_execz .LBB546_203
; %bb.202:
	v_and_b32_e32 v57, 7, v38
	v_ffbh_u32_e32 v58, v57
	v_min_u32_e32 v61, 32, v58
	v_subrev_u32_e32 v58, 28, v61
	v_lshlrev_b64 v[58:59], v58, v[38:39]
	v_lshrrev_b32_e32 v60, 3, v41
	v_sub_u32_e32 v59, 29, v61
	v_and_b32_e32 v58, 7, v58
	v_cmp_gt_u32_e32 vcc, 8, v41
	v_cndmask_b32_e32 v41, v60, v59, vcc
	v_cndmask_b32_e32 v57, v57, v58, vcc
	v_lshlrev_b32_e32 v38, 24, v38
	v_bfrev_b32_e32 v58, 60
	v_lshlrev_b32_e32 v57, 20, v57
	v_and_b32_e32 v38, 0x80000000, v38
	v_lshl_add_u32 v41, v41, 23, v58
	v_or3_b32 v57, v38, v41, v57
.LBB546_203:
	s_or_b64 exec, exec, s[10:11]
.LBB546_204:
	s_or_b64 exec, exec, s[8:9]
.LBB546_205:
	s_or_b64 exec, exec, s[2:3]
	v_cvt_pkrtz_f16_f32 v38, v51, v53
	v_cvt_pkrtz_f16_f32 v39, v39, v55
	v_cmp_ne_u16_sdwa s[8:9], v30, v52 src0_sel:BYTE_0 src1_sel:DWORD
	s_nop 0
	v_mfma_f32_16x16x16f16 v[42:45], v[38:39], v[18:19], v[42:45]
	v_cvt_pkrtz_f16_f32 v38, v54, v56
	v_cvt_pkrtz_f16_f32 v39, v40, v57
	s_nop 1
	v_mfma_f32_16x16x16f16 v[38:41], v[38:39], v[20:21], v[42:45]
	s_and_saveexec_b64 s[2:3], s[8:9]
	s_cbranch_execz .LBB546_211
; %bb.206:
	s_movk_i32 s8, 0x80
	v_cmp_ne_u16_sdwa s[10:11], v30, s8 src0_sel:BYTE_0 src1_sel:DWORD
	v_bfrev_b32_e32 v52, 1
	s_and_saveexec_b64 s[8:9], s[10:11]
	s_cbranch_execz .LBB546_210
; %bb.207:
	s_movk_i32 s10, 0x7f
	v_and_b32_e32 v42, 0x7f, v30
	v_cmp_ne_u32_e32 vcc, s10, v42
	v_mov_b32_e32 v52, 0x7f800001
	s_and_saveexec_b64 s[10:11], vcc
	s_cbranch_execz .LBB546_209
; %bb.208:
	v_and_b32_e32 v43, 7, v30
	v_ffbh_u32_e32 v44, v43
	v_min_u32_e32 v52, 32, v44
	v_subrev_u32_e32 v44, 28, v52
	v_lshlrev_b64 v[44:45], v44, v[30:31]
	v_lshrrev_b32_e32 v51, 3, v42
	v_sub_u32_e32 v45, 29, v52
	v_and_b32_e32 v44, 7, v44
	v_cmp_gt_u32_e32 vcc, 8, v42
	v_cndmask_b32_e32 v42, v51, v45, vcc
	v_cndmask_b32_e32 v43, v43, v44, vcc
	v_lshlrev_b32_e32 v44, 24, v30
	v_bfrev_b32_e32 v45, 60
	v_lshlrev_b32_e32 v43, 20, v43
	v_and_b32_e32 v44, 0x80000000, v44
	v_lshl_add_u32 v42, v42, 23, v45
	v_or3_b32 v52, v44, v42, v43
.LBB546_209:
	s_or_b64 exec, exec, s[10:11]
.LBB546_210:
	s_or_b64 exec, exec, s[8:9]
.LBB546_211:
	s_or_b64 exec, exec, s[2:3]
	s_nop 3
	v_lshrrev_b16_e32 v42, 8, v30
	v_cmp_ne_u16_e32 vcc, 0, v42
	v_mov_b32_e32 v43, 0
	v_mov_b32_e32 v44, 0
	s_and_saveexec_b64 s[2:3], vcc
	s_cbranch_execz .LBB546_217
; %bb.212:
	s_movk_i32 s8, 0x80
	v_cmp_ne_u16_e32 vcc, s8, v42
	v_bfrev_b32_e32 v44, 1
	s_and_saveexec_b64 s[8:9], vcc
	s_cbranch_execz .LBB546_216
; %bb.213:
	s_movk_i32 s10, 0x7f
	v_and_b32_e32 v45, 0x7f, v42
	v_cmp_ne_u32_e32 vcc, s10, v45
	v_mov_b32_e32 v44, 0x7f800001
	s_and_saveexec_b64 s[10:11], vcc
	s_cbranch_execz .LBB546_215
; %bb.214:
	v_and_b32_e32 v44, 7, v42
	v_ffbh_u32_e32 v53, v44
	v_min_u32_e32 v53, 32, v53
	v_subrev_u32_e32 v54, 28, v53
	v_lshlrev_b64 v[54:55], v54, v[42:43]
	v_lshrrev_b32_e32 v51, 3, v45
	v_sub_u32_e32 v42, 29, v53
	v_and_b32_e32 v53, 7, v54
	v_cmp_gt_u32_e32 vcc, 8, v45
	v_cndmask_b32_e32 v42, v51, v42, vcc
	v_cndmask_b32_e32 v44, v44, v53, vcc
	v_lshlrev_b32_e32 v45, 16, v30
	v_bfrev_b32_e32 v51, 60
	v_lshlrev_b32_e32 v44, 20, v44
	v_and_b32_e32 v45, 0x80000000, v45
	v_lshl_add_u32 v42, v42, 23, v51
	v_or3_b32 v44, v45, v42, v44
.LBB546_215:
	s_or_b64 exec, exec, s[10:11]
.LBB546_216:
	s_or_b64 exec, exec, s[8:9]
.LBB546_217:
	s_or_b64 exec, exec, s[2:3]
	s_movk_i32 s2, 0xff
	v_and_b32_sdwa v45, v30, s2 dst_sel:DWORD dst_unused:UNUSED_PAD src0_sel:WORD_1 src1_sel:DWORD
	v_lshrrev_b32_e32 v42, 16, v30
	v_cmp_ne_u16_e32 vcc, 0, v45
	s_and_saveexec_b64 s[2:3], vcc
	s_cbranch_execz .LBB546_223
; %bb.218:
	s_movk_i32 s8, 0x80
	v_cmp_ne_u16_e32 vcc, s8, v45
	v_bfrev_b32_e32 v43, 1
	s_and_saveexec_b64 s[8:9], vcc
	s_cbranch_execz .LBB546_222
; %bb.219:
	v_bfe_u32 v45, v30, 16, 7
	s_movk_i32 s10, 0x7f
	v_cmp_ne_u32_e32 vcc, s10, v45
	v_mov_b32_e32 v43, 0x7f800001
	s_and_saveexec_b64 s[10:11], vcc
	s_cbranch_execz .LBB546_221
; %bb.220:
	v_and_b32_e32 v51, 7, v42
	v_ffbh_u32_e32 v43, v51
	v_min_u32_e32 v54, 32, v43
	v_subrev_u32_e32 v43, 28, v54
	v_lshlrev_b64 v[42:43], v43, v[42:43]
	v_lshrrev_b32_e32 v53, 3, v45
	v_sub_u32_e32 v43, 29, v54
	v_and_b32_e32 v42, 7, v42
	v_cmp_gt_u32_e32 vcc, 8, v45
	v_mov_b32_e32 v45, 24
	v_cndmask_b32_e32 v43, v53, v43, vcc
	v_cndmask_b32_e32 v42, v51, v42, vcc
	v_lshlrev_b32_sdwa v45, v45, v30 dst_sel:DWORD dst_unused:UNUSED_PAD src0_sel:DWORD src1_sel:WORD_1
	v_bfrev_b32_e32 v51, 60
	v_lshlrev_b32_e32 v42, 20, v42
	v_and_b32_e32 v45, 0x80000000, v45
	v_lshl_add_u32 v43, v43, 23, v51
	v_or3_b32 v43, v45, v43, v42
.LBB546_221:
	s_or_b64 exec, exec, s[10:11]
.LBB546_222:
	s_or_b64 exec, exec, s[8:9]
.LBB546_223:
	s_or_b64 exec, exec, s[2:3]
	s_mov_b32 s2, 0xffffff
	v_cmp_lt_u32_e32 vcc, s2, v30
	v_mov_b32_e32 v45, 0
	v_mov_b32_e32 v53, 0
	s_and_saveexec_b64 s[2:3], vcc
	s_cbranch_execz .LBB546_229
; %bb.224:
	v_lshrrev_b32_e32 v42, 24, v30
	s_movk_i32 s8, 0x80
	v_cmp_ne_u32_e32 vcc, s8, v42
	v_bfrev_b32_e32 v53, 1
	s_and_saveexec_b64 s[8:9], vcc
	s_cbranch_execz .LBB546_228
; %bb.225:
	v_bfe_u32 v30, v30, 24, 7
	s_movk_i32 s10, 0x7f
	v_cmp_ne_u32_e32 vcc, s10, v30
	v_mov_b32_e32 v53, 0x7f800001
	s_and_saveexec_b64 s[10:11], vcc
	s_cbranch_execz .LBB546_227
; %bb.226:
	v_and_b32_e32 v51, 7, v42
	v_ffbh_u32_e32 v54, v51
	v_min_u32_e32 v56, 32, v54
	v_subrev_u32_e32 v54, 28, v56
	v_lshlrev_b64 v[54:55], v54, v[42:43]
	v_lshrrev_b32_e32 v53, 3, v30
	v_sub_u32_e32 v55, 29, v56
	v_and_b32_e32 v54, 7, v54
	v_cmp_gt_u32_e32 vcc, 8, v30
	v_cndmask_b32_e32 v30, v53, v55, vcc
	v_cndmask_b32_e32 v51, v51, v54, vcc
	v_lshlrev_b32_e32 v42, 24, v42
	v_bfrev_b32_e32 v53, 60
	v_lshlrev_b32_e32 v51, 20, v51
	v_and_b32_e32 v42, 0x80000000, v42
	v_lshl_add_u32 v30, v30, 23, v53
	v_or3_b32 v53, v42, v30, v51
.LBB546_227:
	s_or_b64 exec, exec, s[10:11]
.LBB546_228:
	s_or_b64 exec, exec, s[8:9]
.LBB546_229:
	s_or_b64 exec, exec, s[2:3]
	v_cmp_ne_u16_sdwa s[8:9], v31, v45 src0_sel:BYTE_0 src1_sel:DWORD
	s_and_saveexec_b64 s[2:3], s[8:9]
	s_cbranch_execz .LBB546_235
; %bb.230:
	s_movk_i32 s8, 0x80
	v_cmp_ne_u16_sdwa s[10:11], v31, s8 src0_sel:BYTE_0 src1_sel:DWORD
	v_bfrev_b32_e32 v45, 1
	s_and_saveexec_b64 s[8:9], s[10:11]
	s_cbranch_execz .LBB546_234
; %bb.231:
	s_movk_i32 s10, 0x7f
	v_and_b32_e32 v30, 0x7f, v31
	v_cmp_ne_u32_e32 vcc, s10, v30
	v_mov_b32_e32 v45, 0x7f800001
	s_and_saveexec_b64 s[10:11], vcc
	s_cbranch_execz .LBB546_233
; %bb.232:
	v_and_b32_e32 v45, 7, v31
	v_ffbh_u32_e32 v54, v45
	v_min_u32_e32 v56, 32, v54
	v_mov_b32_e32 v42, v31
	v_subrev_u32_e32 v54, 28, v56
	v_lshlrev_b64 v[54:55], v54, v[42:43]
	v_lshrrev_b32_e32 v51, 3, v30
	v_sub_u32_e32 v42, 29, v56
	v_and_b32_e32 v54, 7, v54
	v_cmp_gt_u32_e32 vcc, 8, v30
	v_cndmask_b32_e32 v30, v51, v42, vcc
	v_cndmask_b32_e32 v42, v45, v54, vcc
	v_lshlrev_b32_e32 v45, 24, v31
	v_bfrev_b32_e32 v51, 60
	v_lshlrev_b32_e32 v42, 20, v42
	v_and_b32_e32 v45, 0x80000000, v45
	v_lshl_add_u32 v30, v30, 23, v51
	v_or3_b32 v45, v45, v30, v42
.LBB546_233:
	s_or_b64 exec, exec, s[10:11]
.LBB546_234:
	s_or_b64 exec, exec, s[8:9]
.LBB546_235:
	s_or_b64 exec, exec, s[2:3]
	v_lshrrev_b16_e32 v30, 8, v31
	v_cmp_ne_u16_e32 vcc, 0, v30
	v_mov_b32_e32 v42, 0
	v_mov_b32_e32 v54, 0
	s_and_saveexec_b64 s[2:3], vcc
	s_cbranch_execz .LBB546_241
; %bb.236:
	s_movk_i32 s8, 0x80
	v_cmp_ne_u16_e32 vcc, s8, v30
	v_bfrev_b32_e32 v54, 1
	s_and_saveexec_b64 s[8:9], vcc
	s_cbranch_execz .LBB546_240
; %bb.237:
	s_movk_i32 s10, 0x7f
	v_and_b32_e32 v51, 0x7f, v30
	v_cmp_ne_u32_e32 vcc, s10, v51
	v_mov_b32_e32 v54, 0x7f800001
	s_and_saveexec_b64 s[10:11], vcc
	s_cbranch_execz .LBB546_239
; %bb.238:
	v_and_b32_e32 v56, 7, v30
	v_ffbh_u32_e32 v54, v56
	v_min_u32_e32 v58, 32, v54
	v_subrev_u32_e32 v54, 28, v58
	v_lshlrev_b64 v[54:55], v54, v[30:31]
	v_lshrrev_b32_e32 v57, 3, v51
	v_sub_u32_e32 v30, 29, v58
	v_and_b32_e32 v54, 7, v54
	v_cmp_gt_u32_e32 vcc, 8, v51
	v_cndmask_b32_e32 v30, v57, v30, vcc
	v_cndmask_b32_e32 v51, v56, v54, vcc
	v_lshlrev_b32_e32 v54, 16, v31
	v_bfrev_b32_e32 v55, 60
	v_lshlrev_b32_e32 v51, 20, v51
	v_and_b32_e32 v54, 0x80000000, v54
	v_lshl_add_u32 v30, v30, 23, v55
	v_or3_b32 v54, v54, v30, v51
.LBB546_239:
	s_or_b64 exec, exec, s[10:11]
.LBB546_240:
	s_or_b64 exec, exec, s[8:9]
.LBB546_241:
	s_or_b64 exec, exec, s[2:3]
	s_movk_i32 s2, 0xff
	v_and_b32_sdwa v51, v31, s2 dst_sel:DWORD dst_unused:UNUSED_PAD src0_sel:WORD_1 src1_sel:DWORD
	v_lshrrev_b32_e32 v30, 16, v31
	v_cmp_ne_u16_e32 vcc, 0, v51
	s_and_saveexec_b64 s[2:3], vcc
	s_cbranch_execz .LBB546_247
; %bb.242:
	s_movk_i32 s8, 0x80
	v_cmp_ne_u16_e32 vcc, s8, v51
	v_bfrev_b32_e32 v42, 1
	s_and_saveexec_b64 s[8:9], vcc
	s_cbranch_execz .LBB546_246
; %bb.243:
	v_bfe_u32 v51, v31, 16, 7
	s_movk_i32 s10, 0x7f
	v_cmp_ne_u32_e32 vcc, s10, v51
	v_mov_b32_e32 v42, 0x7f800001
	s_and_saveexec_b64 s[10:11], vcc
	s_cbranch_execz .LBB546_245
; %bb.244:
	v_and_b32_e32 v42, 7, v30
	v_ffbh_u32_e32 v56, v42
	v_min_u32_e32 v58, 32, v56
	v_subrev_u32_e32 v56, 28, v58
	v_lshlrev_b64 v[56:57], v56, v[30:31]
	v_lshrrev_b32_e32 v55, 3, v51
	v_sub_u32_e32 v30, 29, v58
	v_and_b32_e32 v56, 7, v56
	v_cmp_gt_u32_e32 vcc, 8, v51
	v_mov_b32_e32 v51, 24
	v_cndmask_b32_e32 v30, v55, v30, vcc
	v_cndmask_b32_e32 v42, v42, v56, vcc
	v_lshlrev_b32_sdwa v51, v51, v31 dst_sel:DWORD dst_unused:UNUSED_PAD src0_sel:DWORD src1_sel:WORD_1
	v_bfrev_b32_e32 v55, 60
	v_lshlrev_b32_e32 v42, 20, v42
	v_and_b32_e32 v51, 0x80000000, v51
	v_lshl_add_u32 v30, v30, 23, v55
	v_or3_b32 v42, v51, v30, v42
.LBB546_245:
	s_or_b64 exec, exec, s[10:11]
.LBB546_246:
	s_or_b64 exec, exec, s[8:9]
.LBB546_247:
	s_or_b64 exec, exec, s[2:3]
	s_mov_b32 s2, 0xffffff
	v_cmp_lt_u32_e32 vcc, s2, v31
	v_mov_b32_e32 v51, 0
	v_mov_b32_e32 v55, 0
	s_and_saveexec_b64 s[2:3], vcc
	s_cbranch_execz .LBB546_253
; %bb.248:
	v_lshrrev_b32_e32 v30, 24, v31
	s_movk_i32 s8, 0x80
	v_cmp_ne_u32_e32 vcc, s8, v30
	v_bfrev_b32_e32 v55, 1
	s_and_saveexec_b64 s[8:9], vcc
	s_cbranch_execz .LBB546_252
; %bb.249:
	v_bfe_u32 v31, v31, 24, 7
	s_movk_i32 s10, 0x7f
	v_cmp_ne_u32_e32 vcc, s10, v31
	v_mov_b32_e32 v55, 0x7f800001
	s_and_saveexec_b64 s[10:11], vcc
	s_cbranch_execz .LBB546_251
; %bb.250:
	v_and_b32_e32 v55, 7, v30
	v_ffbh_u32_e32 v56, v55
	v_min_u32_e32 v59, 32, v56
	v_subrev_u32_e32 v56, 28, v59
	v_lshlrev_b64 v[56:57], v56, v[30:31]
	v_lshrrev_b32_e32 v58, 3, v31
	v_sub_u32_e32 v57, 29, v59
	v_and_b32_e32 v56, 7, v56
	v_cmp_gt_u32_e32 vcc, 8, v31
	v_cndmask_b32_e32 v31, v58, v57, vcc
	v_cndmask_b32_e32 v55, v55, v56, vcc
	v_lshlrev_b32_e32 v30, 24, v30
	v_bfrev_b32_e32 v56, 60
	v_lshlrev_b32_e32 v55, 20, v55
	v_and_b32_e32 v30, 0x80000000, v30
	v_lshl_add_u32 v31, v31, 23, v56
	v_or3_b32 v55, v30, v31, v55
.LBB546_251:
	s_or_b64 exec, exec, s[10:11]
.LBB546_252:
	s_or_b64 exec, exec, s[8:9]
.LBB546_253:
	s_or_b64 exec, exec, s[2:3]
	v_cvt_pkrtz_f16_f32 v30, v52, v44
	v_cvt_pkrtz_f16_f32 v31, v43, v53
	v_cmp_ne_u16_sdwa s[8:9], v32, v51 src0_sel:BYTE_0 src1_sel:DWORD
	s_nop 0
	v_mfma_f32_16x16x16f16 v[56:59], v[30:31], v[26:27], 0
	v_cvt_pkrtz_f16_f32 v30, v45, v54
	v_cvt_pkrtz_f16_f32 v31, v42, v55
	s_nop 1
	v_mfma_f32_16x16x16f16 v[42:45], v[30:31], v[28:29], v[56:59]
	s_and_saveexec_b64 s[2:3], s[8:9]
	s_cbranch_execz .LBB546_259
; %bb.254:
	s_movk_i32 s8, 0x80
	v_cmp_ne_u16_sdwa s[10:11], v32, s8 src0_sel:BYTE_0 src1_sel:DWORD
	v_bfrev_b32_e32 v51, 1
	s_and_saveexec_b64 s[8:9], s[10:11]
	s_cbranch_execz .LBB546_258
; %bb.255:
	s_movk_i32 s10, 0x7f
	v_and_b32_e32 v30, 0x7f, v32
	v_cmp_ne_u32_e32 vcc, s10, v30
	v_mov_b32_e32 v51, 0x7f800001
	s_and_saveexec_b64 s[10:11], vcc
	s_cbranch_execz .LBB546_257
; %bb.256:
	v_and_b32_e32 v31, 7, v32
	v_ffbh_u32_e32 v52, v31
	v_min_u32_e32 v54, 32, v52
	v_subrev_u32_e32 v52, 28, v54
	v_lshlrev_b64 v[52:53], v52, v[32:33]
	v_lshrrev_b32_e32 v51, 3, v30
	v_sub_u32_e32 v53, 29, v54
	v_and_b32_e32 v52, 7, v52
	v_cmp_gt_u32_e32 vcc, 8, v30
	v_cndmask_b32_e32 v30, v51, v53, vcc
	v_cndmask_b32_e32 v31, v31, v52, vcc
	v_lshlrev_b32_e32 v51, 24, v32
	v_bfrev_b32_e32 v52, 60
	v_lshlrev_b32_e32 v31, 20, v31
	v_and_b32_e32 v51, 0x80000000, v51
	v_lshl_add_u32 v30, v30, 23, v52
	v_or3_b32 v51, v51, v30, v31
.LBB546_257:
	s_or_b64 exec, exec, s[10:11]
.LBB546_258:
	s_or_b64 exec, exec, s[8:9]
.LBB546_259:
	s_or_b64 exec, exec, s[2:3]
	v_lshrrev_b16_e32 v30, 8, v32
	v_cmp_ne_u16_e32 vcc, 0, v30
	v_mov_b32_e32 v31, 0
	v_mov_b32_e32 v53, 0
	s_and_saveexec_b64 s[2:3], vcc
	s_cbranch_execz .LBB546_265
; %bb.260:
	s_movk_i32 s8, 0x80
	v_cmp_ne_u16_e32 vcc, s8, v30
	v_bfrev_b32_e32 v53, 1
	s_and_saveexec_b64 s[8:9], vcc
	s_cbranch_execz .LBB546_264
; %bb.261:
	s_movk_i32 s10, 0x7f
	v_and_b32_e32 v52, 0x7f, v30
	v_cmp_ne_u32_e32 vcc, s10, v52
	v_mov_b32_e32 v53, 0x7f800001
	s_and_saveexec_b64 s[10:11], vcc
	s_cbranch_execz .LBB546_263
; %bb.262:
	v_and_b32_e32 v53, 7, v30
	v_ffbh_u32_e32 v54, v53
	v_min_u32_e32 v57, 32, v54
	v_subrev_u32_e32 v54, 28, v57
	v_lshlrev_b64 v[54:55], v54, v[30:31]
	v_lshrrev_b32_e32 v56, 3, v52
	v_sub_u32_e32 v30, 29, v57
	v_and_b32_e32 v54, 7, v54
	v_cmp_gt_u32_e32 vcc, 8, v52
	v_cndmask_b32_e32 v30, v56, v30, vcc
	v_cndmask_b32_e32 v52, v53, v54, vcc
	v_lshlrev_b32_e32 v53, 16, v32
	v_bfrev_b32_e32 v54, 60
	v_lshlrev_b32_e32 v52, 20, v52
	v_and_b32_e32 v53, 0x80000000, v53
	v_lshl_add_u32 v30, v30, 23, v54
	v_or3_b32 v53, v53, v30, v52
.LBB546_263:
	s_or_b64 exec, exec, s[10:11]
.LBB546_264:
	s_or_b64 exec, exec, s[8:9]
.LBB546_265:
	s_or_b64 exec, exec, s[2:3]
	s_movk_i32 s2, 0xff
	v_and_b32_sdwa v52, v32, s2 dst_sel:DWORD dst_unused:UNUSED_PAD src0_sel:WORD_1 src1_sel:DWORD
	v_lshrrev_b32_e32 v30, 16, v32
	v_cmp_ne_u16_e32 vcc, 0, v52
	s_and_saveexec_b64 s[2:3], vcc
	s_cbranch_execz .LBB546_271
; %bb.266:
	s_movk_i32 s8, 0x80
	v_cmp_ne_u16_e32 vcc, s8, v52
	v_bfrev_b32_e32 v31, 1
	s_and_saveexec_b64 s[8:9], vcc
	s_cbranch_execz .LBB546_270
; %bb.267:
	v_bfe_u32 v52, v32, 16, 7
	s_movk_i32 s10, 0x7f
	v_cmp_ne_u32_e32 vcc, s10, v52
	v_mov_b32_e32 v31, 0x7f800001
	s_and_saveexec_b64 s[10:11], vcc
	s_cbranch_execz .LBB546_269
; %bb.268:
	v_and_b32_e32 v54, 7, v30
	v_ffbh_u32_e32 v31, v54
	v_min_u32_e32 v56, 32, v31
	v_subrev_u32_e32 v31, 28, v56
	v_lshlrev_b64 v[30:31], v31, v[30:31]
	v_lshrrev_b32_e32 v55, 3, v52
	v_sub_u32_e32 v31, 29, v56
	v_and_b32_e32 v30, 7, v30
	v_cmp_gt_u32_e32 vcc, 8, v52
	v_mov_b32_e32 v52, 24
	v_cndmask_b32_e32 v31, v55, v31, vcc
	v_cndmask_b32_e32 v30, v54, v30, vcc
	v_lshlrev_b32_sdwa v52, v52, v32 dst_sel:DWORD dst_unused:UNUSED_PAD src0_sel:DWORD src1_sel:WORD_1
	v_bfrev_b32_e32 v54, 60
	v_lshlrev_b32_e32 v30, 20, v30
	v_and_b32_e32 v52, 0x80000000, v52
	v_lshl_add_u32 v31, v31, 23, v54
	v_or3_b32 v31, v52, v31, v30
.LBB546_269:
	s_or_b64 exec, exec, s[10:11]
.LBB546_270:
	s_or_b64 exec, exec, s[8:9]
.LBB546_271:
	s_or_b64 exec, exec, s[2:3]
	s_mov_b32 s2, 0xffffff
	v_cmp_lt_u32_e32 vcc, s2, v32
	v_mov_b32_e32 v54, 0
	v_mov_b32_e32 v55, 0
	s_and_saveexec_b64 s[2:3], vcc
	s_cbranch_execz .LBB546_277
; %bb.272:
	v_lshrrev_b32_e32 v30, 24, v32
	s_movk_i32 s8, 0x80
	v_cmp_ne_u32_e32 vcc, s8, v30
	v_bfrev_b32_e32 v55, 1
	s_and_saveexec_b64 s[8:9], vcc
	s_cbranch_execz .LBB546_276
; %bb.273:
	v_bfe_u32 v32, v32, 24, 7
	s_movk_i32 s10, 0x7f
	v_cmp_ne_u32_e32 vcc, s10, v32
	v_mov_b32_e32 v55, 0x7f800001
	s_and_saveexec_b64 s[10:11], vcc
	s_cbranch_execz .LBB546_275
; %bb.274:
	v_and_b32_e32 v52, 7, v30
	v_ffbh_u32_e32 v56, v52
	v_min_u32_e32 v58, 32, v56
	v_subrev_u32_e32 v56, 28, v58
	v_lshlrev_b64 v[56:57], v56, v[30:31]
	v_lshrrev_b32_e32 v55, 3, v32
	v_sub_u32_e32 v57, 29, v58
	v_and_b32_e32 v56, 7, v56
	v_cmp_gt_u32_e32 vcc, 8, v32
	v_cndmask_b32_e32 v32, v55, v57, vcc
	v_cndmask_b32_e32 v52, v52, v56, vcc
	v_lshlrev_b32_e32 v30, 24, v30
	v_bfrev_b32_e32 v55, 60
	v_lshlrev_b32_e32 v52, 20, v52
	v_and_b32_e32 v30, 0x80000000, v30
	v_lshl_add_u32 v32, v32, 23, v55
	v_or3_b32 v55, v30, v32, v52
.LBB546_275:
	s_or_b64 exec, exec, s[10:11]
.LBB546_276:
	s_or_b64 exec, exec, s[8:9]
.LBB546_277:
	s_or_b64 exec, exec, s[2:3]
	v_cmp_ne_u16_sdwa s[8:9], v33, v54 src0_sel:BYTE_0 src1_sel:DWORD
	s_and_saveexec_b64 s[2:3], s[8:9]
	s_cbranch_execz .LBB546_283
; %bb.278:
	s_movk_i32 s8, 0x80
	v_cmp_ne_u16_sdwa s[10:11], v33, s8 src0_sel:BYTE_0 src1_sel:DWORD
	v_bfrev_b32_e32 v54, 1
	s_and_saveexec_b64 s[8:9], s[10:11]
	s_cbranch_execz .LBB546_282
; %bb.279:
	s_movk_i32 s10, 0x7f
	v_and_b32_e32 v30, 0x7f, v33
	v_cmp_ne_u32_e32 vcc, s10, v30
	v_mov_b32_e32 v54, 0x7f800001
	s_and_saveexec_b64 s[10:11], vcc
	s_cbranch_execz .LBB546_281
; %bb.280:
	v_and_b32_e32 v52, 7, v33
	v_ffbh_u32_e32 v56, v52
	v_min_u32_e32 v58, 32, v56
	v_mov_b32_e32 v32, v33
	v_subrev_u32_e32 v56, 28, v58
	v_lshlrev_b64 v[56:57], v56, v[32:33]
	v_lshrrev_b32_e32 v54, 3, v30
	v_sub_u32_e32 v32, 29, v58
	v_and_b32_e32 v56, 7, v56
	v_cmp_gt_u32_e32 vcc, 8, v30
	v_cndmask_b32_e32 v30, v54, v32, vcc
	v_cndmask_b32_e32 v32, v52, v56, vcc
	v_lshlrev_b32_e32 v52, 24, v33
	v_bfrev_b32_e32 v54, 60
	v_lshlrev_b32_e32 v32, 20, v32
	v_and_b32_e32 v52, 0x80000000, v52
	v_lshl_add_u32 v30, v30, 23, v54
	v_or3_b32 v54, v52, v30, v32
.LBB546_281:
	s_or_b64 exec, exec, s[10:11]
.LBB546_282:
	s_or_b64 exec, exec, s[8:9]
.LBB546_283:
	s_or_b64 exec, exec, s[2:3]
	v_lshrrev_b16_e32 v30, 8, v33
	v_cmp_ne_u16_e32 vcc, 0, v30
	v_mov_b32_e32 v32, 0
	v_mov_b32_e32 v56, 0
	s_and_saveexec_b64 s[2:3], vcc
	s_cbranch_execz .LBB546_289
; %bb.284:
	s_movk_i32 s8, 0x80
	v_cmp_ne_u16_e32 vcc, s8, v30
	v_bfrev_b32_e32 v56, 1
	s_and_saveexec_b64 s[8:9], vcc
	s_cbranch_execz .LBB546_288
; %bb.285:
	s_movk_i32 s10, 0x7f
	v_and_b32_e32 v52, 0x7f, v30
	v_cmp_ne_u32_e32 vcc, s10, v52
	v_mov_b32_e32 v56, 0x7f800001
	s_and_saveexec_b64 s[10:11], vcc
	s_cbranch_execz .LBB546_287
; %bb.286:
	v_and_b32_e32 v58, 7, v30
	v_ffbh_u32_e32 v56, v58
	v_min_u32_e32 v60, 32, v56
	v_subrev_u32_e32 v56, 28, v60
	v_lshlrev_b64 v[56:57], v56, v[30:31]
	v_lshrrev_b32_e32 v59, 3, v52
	v_sub_u32_e32 v30, 29, v60
	v_and_b32_e32 v56, 7, v56
	v_cmp_gt_u32_e32 vcc, 8, v52
	v_cndmask_b32_e32 v30, v59, v30, vcc
	v_cndmask_b32_e32 v52, v58, v56, vcc
	v_lshlrev_b32_e32 v56, 16, v33
	v_bfrev_b32_e32 v57, 60
	v_lshlrev_b32_e32 v52, 20, v52
	v_and_b32_e32 v56, 0x80000000, v56
	v_lshl_add_u32 v30, v30, 23, v57
	v_or3_b32 v56, v56, v30, v52
.LBB546_287:
	s_or_b64 exec, exec, s[10:11]
.LBB546_288:
	s_or_b64 exec, exec, s[8:9]
.LBB546_289:
	s_or_b64 exec, exec, s[2:3]
	s_movk_i32 s2, 0xff
	v_and_b32_sdwa v52, v33, s2 dst_sel:DWORD dst_unused:UNUSED_PAD src0_sel:WORD_1 src1_sel:DWORD
	v_lshrrev_b32_e32 v30, 16, v33
	v_cmp_ne_u16_e32 vcc, 0, v52
	s_and_saveexec_b64 s[2:3], vcc
	s_cbranch_execz .LBB546_295
; %bb.290:
	s_movk_i32 s8, 0x80
	v_cmp_ne_u16_e32 vcc, s8, v52
	v_bfrev_b32_e32 v32, 1
	s_and_saveexec_b64 s[8:9], vcc
	s_cbranch_execz .LBB546_294
; %bb.291:
	v_bfe_u32 v52, v33, 16, 7
	s_movk_i32 s10, 0x7f
	v_cmp_ne_u32_e32 vcc, s10, v52
	v_mov_b32_e32 v32, 0x7f800001
	s_and_saveexec_b64 s[10:11], vcc
	s_cbranch_execz .LBB546_293
; %bb.292:
	v_and_b32_e32 v32, 7, v30
	v_ffbh_u32_e32 v58, v32
	v_min_u32_e32 v60, 32, v58
	v_subrev_u32_e32 v58, 28, v60
	v_lshlrev_b64 v[58:59], v58, v[30:31]
	v_lshrrev_b32_e32 v57, 3, v52
	v_sub_u32_e32 v30, 29, v60
	v_and_b32_e32 v58, 7, v58
	v_cmp_gt_u32_e32 vcc, 8, v52
	v_mov_b32_e32 v52, 24
	v_cndmask_b32_e32 v30, v57, v30, vcc
	v_cndmask_b32_e32 v32, v32, v58, vcc
	v_lshlrev_b32_sdwa v52, v52, v33 dst_sel:DWORD dst_unused:UNUSED_PAD src0_sel:DWORD src1_sel:WORD_1
	v_bfrev_b32_e32 v57, 60
	v_lshlrev_b32_e32 v32, 20, v32
	v_and_b32_e32 v52, 0x80000000, v52
	v_lshl_add_u32 v30, v30, 23, v57
	v_or3_b32 v32, v52, v30, v32
.LBB546_293:
	s_or_b64 exec, exec, s[10:11]
.LBB546_294:
	s_or_b64 exec, exec, s[8:9]
.LBB546_295:
	s_or_b64 exec, exec, s[2:3]
	s_mov_b32 s2, 0xffffff
	v_cmp_lt_u32_e32 vcc, s2, v33
	v_mov_b32_e32 v52, 0
	v_mov_b32_e32 v57, 0
	s_and_saveexec_b64 s[2:3], vcc
	s_cbranch_execz .LBB546_301
; %bb.296:
	v_lshrrev_b32_e32 v30, 24, v33
	s_movk_i32 s8, 0x80
	v_cmp_ne_u32_e32 vcc, s8, v30
	v_bfrev_b32_e32 v57, 1
	s_and_saveexec_b64 s[8:9], vcc
	s_cbranch_execz .LBB546_300
; %bb.297:
	v_bfe_u32 v33, v33, 24, 7
	s_movk_i32 s10, 0x7f
	v_cmp_ne_u32_e32 vcc, s10, v33
	v_mov_b32_e32 v57, 0x7f800001
	s_and_saveexec_b64 s[10:11], vcc
	s_cbranch_execz .LBB546_299
; %bb.298:
	v_and_b32_e32 v57, 7, v30
	v_ffbh_u32_e32 v58, v57
	v_min_u32_e32 v61, 32, v58
	v_subrev_u32_e32 v58, 28, v61
	v_lshlrev_b64 v[58:59], v58, v[30:31]
	v_lshrrev_b32_e32 v60, 3, v33
	v_sub_u32_e32 v59, 29, v61
	v_and_b32_e32 v58, 7, v58
	v_cmp_gt_u32_e32 vcc, 8, v33
	v_cndmask_b32_e32 v33, v60, v59, vcc
	v_cndmask_b32_e32 v57, v57, v58, vcc
	v_lshlrev_b32_e32 v30, 24, v30
	v_bfrev_b32_e32 v58, 60
	v_lshlrev_b32_e32 v57, 20, v57
	v_and_b32_e32 v30, 0x80000000, v30
	v_lshl_add_u32 v33, v33, 23, v58
	v_or3_b32 v57, v30, v33, v57
.LBB546_299:
	s_or_b64 exec, exec, s[10:11]
.LBB546_300:
	s_or_b64 exec, exec, s[8:9]
.LBB546_301:
	s_or_b64 exec, exec, s[2:3]
	v_cvt_pkrtz_f16_f32 v30, v51, v53
	v_cvt_pkrtz_f16_f32 v31, v31, v55
	v_cmp_ne_u16_sdwa s[8:9], v22, v52 src0_sel:BYTE_0 src1_sel:DWORD
	s_nop 0
	v_mfma_f32_16x16x16f16 v[42:45], v[30:31], v[18:19], v[42:45]
	v_cvt_pkrtz_f16_f32 v30, v54, v56
	v_cvt_pkrtz_f16_f32 v31, v32, v57
	s_nop 1
	v_mfma_f32_16x16x16f16 v[30:33], v[30:31], v[20:21], v[42:45]
	s_and_saveexec_b64 s[2:3], s[8:9]
	s_cbranch_execz .LBB546_307
; %bb.302:
	s_movk_i32 s8, 0x80
	v_cmp_ne_u16_sdwa s[10:11], v22, s8 src0_sel:BYTE_0 src1_sel:DWORD
	v_bfrev_b32_e32 v52, 1
	s_and_saveexec_b64 s[8:9], s[10:11]
	s_cbranch_execz .LBB546_306
; %bb.303:
	s_movk_i32 s10, 0x7f
	v_and_b32_e32 v42, 0x7f, v22
	v_cmp_ne_u32_e32 vcc, s10, v42
	v_mov_b32_e32 v52, 0x7f800001
	s_and_saveexec_b64 s[10:11], vcc
	s_cbranch_execz .LBB546_305
; %bb.304:
	v_and_b32_e32 v43, 7, v22
	v_ffbh_u32_e32 v44, v43
	v_min_u32_e32 v52, 32, v44
	v_subrev_u32_e32 v44, 28, v52
	v_lshlrev_b64 v[44:45], v44, v[22:23]
	v_lshrrev_b32_e32 v51, 3, v42
	v_sub_u32_e32 v45, 29, v52
	v_and_b32_e32 v44, 7, v44
	v_cmp_gt_u32_e32 vcc, 8, v42
	v_cndmask_b32_e32 v42, v51, v45, vcc
	v_cndmask_b32_e32 v43, v43, v44, vcc
	v_lshlrev_b32_e32 v44, 24, v22
	v_bfrev_b32_e32 v45, 60
	v_lshlrev_b32_e32 v43, 20, v43
	v_and_b32_e32 v44, 0x80000000, v44
	v_lshl_add_u32 v42, v42, 23, v45
	v_or3_b32 v52, v44, v42, v43
.LBB546_305:
	s_or_b64 exec, exec, s[10:11]
.LBB546_306:
	s_or_b64 exec, exec, s[8:9]
.LBB546_307:
	s_or_b64 exec, exec, s[2:3]
	s_nop 3
	v_lshrrev_b16_e32 v42, 8, v22
	v_cmp_ne_u16_e32 vcc, 0, v42
	v_mov_b32_e32 v43, 0
	v_mov_b32_e32 v44, 0
	s_and_saveexec_b64 s[2:3], vcc
	s_cbranch_execz .LBB546_313
; %bb.308:
	s_movk_i32 s8, 0x80
	v_cmp_ne_u16_e32 vcc, s8, v42
	v_bfrev_b32_e32 v44, 1
	s_and_saveexec_b64 s[8:9], vcc
	s_cbranch_execz .LBB546_312
; %bb.309:
	s_movk_i32 s10, 0x7f
	v_and_b32_e32 v45, 0x7f, v42
	v_cmp_ne_u32_e32 vcc, s10, v45
	v_mov_b32_e32 v44, 0x7f800001
	s_and_saveexec_b64 s[10:11], vcc
	s_cbranch_execz .LBB546_311
; %bb.310:
	v_and_b32_e32 v44, 7, v42
	v_ffbh_u32_e32 v53, v44
	v_min_u32_e32 v53, 32, v53
	v_subrev_u32_e32 v54, 28, v53
	v_lshlrev_b64 v[54:55], v54, v[42:43]
	v_lshrrev_b32_e32 v51, 3, v45
	v_sub_u32_e32 v42, 29, v53
	v_and_b32_e32 v53, 7, v54
	v_cmp_gt_u32_e32 vcc, 8, v45
	v_cndmask_b32_e32 v42, v51, v42, vcc
	v_cndmask_b32_e32 v44, v44, v53, vcc
	v_lshlrev_b32_e32 v45, 16, v22
	v_bfrev_b32_e32 v51, 60
	v_lshlrev_b32_e32 v44, 20, v44
	v_and_b32_e32 v45, 0x80000000, v45
	v_lshl_add_u32 v42, v42, 23, v51
	v_or3_b32 v44, v45, v42, v44
.LBB546_311:
	s_or_b64 exec, exec, s[10:11]
.LBB546_312:
	s_or_b64 exec, exec, s[8:9]
.LBB546_313:
	s_or_b64 exec, exec, s[2:3]
	s_movk_i32 s2, 0xff
	v_and_b32_sdwa v45, v22, s2 dst_sel:DWORD dst_unused:UNUSED_PAD src0_sel:WORD_1 src1_sel:DWORD
	v_lshrrev_b32_e32 v42, 16, v22
	v_cmp_ne_u16_e32 vcc, 0, v45
	s_and_saveexec_b64 s[2:3], vcc
	s_cbranch_execz .LBB546_319
; %bb.314:
	s_movk_i32 s8, 0x80
	v_cmp_ne_u16_e32 vcc, s8, v45
	v_bfrev_b32_e32 v43, 1
	s_and_saveexec_b64 s[8:9], vcc
	s_cbranch_execz .LBB546_318
; %bb.315:
	v_bfe_u32 v45, v22, 16, 7
	s_movk_i32 s10, 0x7f
	v_cmp_ne_u32_e32 vcc, s10, v45
	v_mov_b32_e32 v43, 0x7f800001
	s_and_saveexec_b64 s[10:11], vcc
	s_cbranch_execz .LBB546_317
; %bb.316:
	v_and_b32_e32 v51, 7, v42
	v_ffbh_u32_e32 v43, v51
	v_min_u32_e32 v54, 32, v43
	v_subrev_u32_e32 v43, 28, v54
	v_lshlrev_b64 v[42:43], v43, v[42:43]
	v_lshrrev_b32_e32 v53, 3, v45
	v_sub_u32_e32 v43, 29, v54
	v_and_b32_e32 v42, 7, v42
	v_cmp_gt_u32_e32 vcc, 8, v45
	v_mov_b32_e32 v45, 24
	v_cndmask_b32_e32 v43, v53, v43, vcc
	v_cndmask_b32_e32 v42, v51, v42, vcc
	v_lshlrev_b32_sdwa v45, v45, v22 dst_sel:DWORD dst_unused:UNUSED_PAD src0_sel:DWORD src1_sel:WORD_1
	v_bfrev_b32_e32 v51, 60
	v_lshlrev_b32_e32 v42, 20, v42
	v_and_b32_e32 v45, 0x80000000, v45
	v_lshl_add_u32 v43, v43, 23, v51
	v_or3_b32 v43, v45, v43, v42
.LBB546_317:
	s_or_b64 exec, exec, s[10:11]
.LBB546_318:
	s_or_b64 exec, exec, s[8:9]
.LBB546_319:
	s_or_b64 exec, exec, s[2:3]
	s_mov_b32 s2, 0xffffff
	v_cmp_lt_u32_e32 vcc, s2, v22
	v_mov_b32_e32 v45, 0
	v_mov_b32_e32 v51, 0
	s_and_saveexec_b64 s[2:3], vcc
	s_cbranch_execz .LBB546_325
; %bb.320:
	v_lshrrev_b32_e32 v42, 24, v22
	s_movk_i32 s8, 0x80
	v_cmp_ne_u32_e32 vcc, s8, v42
	v_bfrev_b32_e32 v51, 1
	s_and_saveexec_b64 s[8:9], vcc
	s_cbranch_execz .LBB546_324
; %bb.321:
	v_bfe_u32 v22, v22, 24, 7
	s_movk_i32 s10, 0x7f
	v_cmp_ne_u32_e32 vcc, s10, v22
	v_mov_b32_e32 v51, 0x7f800001
	s_and_saveexec_b64 s[10:11], vcc
	s_cbranch_execz .LBB546_323
; %bb.322:
	v_and_b32_e32 v51, 7, v42
	v_ffbh_u32_e32 v54, v51
	v_min_u32_e32 v56, 32, v54
	v_subrev_u32_e32 v54, 28, v56
	v_lshlrev_b64 v[54:55], v54, v[42:43]
	v_lshrrev_b32_e32 v53, 3, v22
	v_sub_u32_e32 v55, 29, v56
	v_and_b32_e32 v54, 7, v54
	v_cmp_gt_u32_e32 vcc, 8, v22
	v_cndmask_b32_e32 v22, v53, v55, vcc
	v_cndmask_b32_e32 v51, v51, v54, vcc
	v_lshlrev_b32_e32 v42, 24, v42
	v_bfrev_b32_e32 v53, 60
	v_lshlrev_b32_e32 v51, 20, v51
	v_and_b32_e32 v42, 0x80000000, v42
	v_lshl_add_u32 v22, v22, 23, v53
	v_or3_b32 v51, v42, v22, v51
.LBB546_323:
	s_or_b64 exec, exec, s[10:11]
.LBB546_324:
	s_or_b64 exec, exec, s[8:9]
.LBB546_325:
	s_or_b64 exec, exec, s[2:3]
	v_cmp_ne_u16_sdwa s[8:9], v23, v45 src0_sel:BYTE_0 src1_sel:DWORD
	s_and_saveexec_b64 s[2:3], s[8:9]
	s_cbranch_execz .LBB546_331
; %bb.326:
	s_movk_i32 s8, 0x80
	v_cmp_ne_u16_sdwa s[10:11], v23, s8 src0_sel:BYTE_0 src1_sel:DWORD
	v_bfrev_b32_e32 v45, 1
	s_and_saveexec_b64 s[8:9], s[10:11]
	s_cbranch_execz .LBB546_330
; %bb.327:
	s_movk_i32 s10, 0x7f
	v_and_b32_e32 v22, 0x7f, v23
	v_cmp_ne_u32_e32 vcc, s10, v22
	v_mov_b32_e32 v45, 0x7f800001
	s_and_saveexec_b64 s[10:11], vcc
	s_cbranch_execz .LBB546_329
; %bb.328:
	v_and_b32_e32 v45, 7, v23
	v_ffbh_u32_e32 v54, v45
	v_min_u32_e32 v56, 32, v54
	v_mov_b32_e32 v42, v23
	v_subrev_u32_e32 v54, 28, v56
	v_lshlrev_b64 v[54:55], v54, v[42:43]
	v_lshrrev_b32_e32 v53, 3, v22
	v_sub_u32_e32 v42, 29, v56
	v_and_b32_e32 v54, 7, v54
	v_cmp_gt_u32_e32 vcc, 8, v22
	v_cndmask_b32_e32 v22, v53, v42, vcc
	v_cndmask_b32_e32 v42, v45, v54, vcc
	v_lshlrev_b32_e32 v45, 24, v23
	v_bfrev_b32_e32 v53, 60
	v_lshlrev_b32_e32 v42, 20, v42
	v_and_b32_e32 v45, 0x80000000, v45
	v_lshl_add_u32 v22, v22, 23, v53
	v_or3_b32 v45, v45, v22, v42
.LBB546_329:
	s_or_b64 exec, exec, s[10:11]
.LBB546_330:
	s_or_b64 exec, exec, s[8:9]
.LBB546_331:
	s_or_b64 exec, exec, s[2:3]
	v_lshrrev_b16_e32 v22, 8, v23
	v_cmp_ne_u16_e32 vcc, 0, v22
	v_mov_b32_e32 v53, 0
	v_mov_b32_e32 v54, 0
	s_and_saveexec_b64 s[2:3], vcc
	s_cbranch_execz .LBB546_337
; %bb.332:
	s_movk_i32 s8, 0x80
	v_cmp_ne_u16_e32 vcc, s8, v22
	v_bfrev_b32_e32 v54, 1
	s_and_saveexec_b64 s[8:9], vcc
	s_cbranch_execz .LBB546_336
; %bb.333:
	s_movk_i32 s10, 0x7f
	v_and_b32_e32 v42, 0x7f, v22
	v_cmp_ne_u32_e32 vcc, s10, v42
	v_mov_b32_e32 v54, 0x7f800001
	s_and_saveexec_b64 s[10:11], vcc
	s_cbranch_execz .LBB546_335
; %bb.334:
	v_and_b32_e32 v56, 7, v22
	v_ffbh_u32_e32 v54, v56
	v_min_u32_e32 v58, 32, v54
	v_subrev_u32_e32 v54, 28, v58
	v_lshlrev_b64 v[54:55], v54, v[22:23]
	v_lshrrev_b32_e32 v57, 3, v42
	v_sub_u32_e32 v22, 29, v58
	v_and_b32_e32 v54, 7, v54
	v_cmp_gt_u32_e32 vcc, 8, v42
	v_cndmask_b32_e32 v22, v57, v22, vcc
	v_cndmask_b32_e32 v42, v56, v54, vcc
	v_lshlrev_b32_e32 v54, 16, v23
	v_bfrev_b32_e32 v55, 60
	v_lshlrev_b32_e32 v42, 20, v42
	v_and_b32_e32 v54, 0x80000000, v54
	v_lshl_add_u32 v22, v22, 23, v55
	v_or3_b32 v54, v54, v22, v42
.LBB546_335:
	s_or_b64 exec, exec, s[10:11]
.LBB546_336:
	s_or_b64 exec, exec, s[8:9]
.LBB546_337:
	s_or_b64 exec, exec, s[2:3]
	s_movk_i32 s2, 0xff
	v_and_b32_sdwa v42, v23, s2 dst_sel:DWORD dst_unused:UNUSED_PAD src0_sel:WORD_1 src1_sel:DWORD
	v_lshrrev_b32_e32 v22, 16, v23
	v_cmp_ne_u16_e32 vcc, 0, v42
	s_and_saveexec_b64 s[2:3], vcc
	s_cbranch_execz .LBB546_343
; %bb.338:
	s_movk_i32 s8, 0x80
	v_cmp_ne_u16_e32 vcc, s8, v42
	v_bfrev_b32_e32 v53, 1
	s_and_saveexec_b64 s[8:9], vcc
	s_cbranch_execz .LBB546_342
; %bb.339:
	v_bfe_u32 v42, v23, 16, 7
	s_movk_i32 s10, 0x7f
	v_cmp_ne_u32_e32 vcc, s10, v42
	v_mov_b32_e32 v53, 0x7f800001
	s_and_saveexec_b64 s[10:11], vcc
	s_cbranch_execz .LBB546_341
; %bb.340:
	v_and_b32_e32 v53, 7, v22
	v_ffbh_u32_e32 v56, v53
	v_min_u32_e32 v58, 32, v56
	v_subrev_u32_e32 v56, 28, v58
	v_lshlrev_b64 v[56:57], v56, v[22:23]
	v_and_b32_e32 v56, 7, v56
	v_cmp_gt_u32_e32 vcc, 8, v42
	v_lshrrev_b32_e32 v55, 3, v42
	v_sub_u32_e32 v22, 29, v58
	v_cndmask_b32_e32 v42, v53, v56, vcc
	v_mov_b32_e32 v53, 24
	v_cndmask_b32_e32 v22, v55, v22, vcc
	v_lshlrev_b32_sdwa v53, v53, v23 dst_sel:DWORD dst_unused:UNUSED_PAD src0_sel:DWORD src1_sel:WORD_1
	v_bfrev_b32_e32 v55, 60
	v_lshlrev_b32_e32 v42, 20, v42
	v_and_b32_e32 v53, 0x80000000, v53
	v_lshl_add_u32 v22, v22, 23, v55
	v_or3_b32 v53, v53, v22, v42
.LBB546_341:
	s_or_b64 exec, exec, s[10:11]
.LBB546_342:
	s_or_b64 exec, exec, s[8:9]
.LBB546_343:
	s_or_b64 exec, exec, s[2:3]
	s_mov_b32 s2, 0xffffff
	v_cmp_lt_u32_e32 vcc, s2, v23
	v_mov_b32_e32 v42, 0
	v_mov_b32_e32 v55, 0
	s_and_saveexec_b64 s[2:3], vcc
	s_cbranch_execz .LBB546_349
; %bb.344:
	v_lshrrev_b32_e32 v22, 24, v23
	s_movk_i32 s8, 0x80
	v_cmp_ne_u32_e32 vcc, s8, v22
	v_bfrev_b32_e32 v55, 1
	s_and_saveexec_b64 s[8:9], vcc
	s_cbranch_execz .LBB546_348
; %bb.345:
	v_bfe_u32 v23, v23, 24, 7
	s_movk_i32 s10, 0x7f
	v_cmp_ne_u32_e32 vcc, s10, v23
	v_mov_b32_e32 v55, 0x7f800001
	s_and_saveexec_b64 s[10:11], vcc
	s_cbranch_execz .LBB546_347
; %bb.346:
	v_and_b32_e32 v55, 7, v22
	v_ffbh_u32_e32 v56, v55
	v_min_u32_e32 v59, 32, v56
	v_subrev_u32_e32 v56, 28, v59
	v_lshlrev_b64 v[56:57], v56, v[22:23]
	v_lshrrev_b32_e32 v58, 3, v23
	v_sub_u32_e32 v57, 29, v59
	v_and_b32_e32 v56, 7, v56
	v_cmp_gt_u32_e32 vcc, 8, v23
	v_cndmask_b32_e32 v23, v58, v57, vcc
	v_cndmask_b32_e32 v55, v55, v56, vcc
	v_lshlrev_b32_e32 v22, 24, v22
	v_bfrev_b32_e32 v56, 60
	v_lshlrev_b32_e32 v55, 20, v55
	v_and_b32_e32 v22, 0x80000000, v22
	v_lshl_add_u32 v23, v23, 23, v56
	v_or3_b32 v55, v22, v23, v55
.LBB546_347:
	s_or_b64 exec, exec, s[10:11]
.LBB546_348:
	s_or_b64 exec, exec, s[8:9]
.LBB546_349:
	s_or_b64 exec, exec, s[2:3]
	v_cvt_pkrtz_f16_f32 v22, v52, v44
	v_cvt_pkrtz_f16_f32 v23, v43, v51
	v_cmp_ne_u16_sdwa s[8:9], v24, v42 src0_sel:BYTE_0 src1_sel:DWORD
	s_nop 0
	v_mfma_f32_16x16x16f16 v[56:59], v[22:23], v[26:27], 0
	v_cvt_pkrtz_f16_f32 v22, v45, v54
	v_cvt_pkrtz_f16_f32 v23, v53, v55
	s_nop 1
	v_mfma_f32_16x16x16f16 v[26:29], v[22:23], v[28:29], v[56:59]
	s_and_saveexec_b64 s[2:3], s[8:9]
	s_cbranch_execz .LBB546_355
; %bb.350:
	s_movk_i32 s8, 0x80
	v_cmp_ne_u16_sdwa s[10:11], v24, s8 src0_sel:BYTE_0 src1_sel:DWORD
	v_bfrev_b32_e32 v42, 1
	s_and_saveexec_b64 s[8:9], s[10:11]
	s_cbranch_execz .LBB546_354
; %bb.351:
	s_movk_i32 s10, 0x7f
	v_and_b32_e32 v22, 0x7f, v24
	v_cmp_ne_u32_e32 vcc, s10, v22
	v_mov_b32_e32 v42, 0x7f800001
	s_and_saveexec_b64 s[10:11], vcc
	s_cbranch_execz .LBB546_353
; %bb.352:
	v_and_b32_e32 v23, 7, v24
	v_ffbh_u32_e32 v42, v23
	v_min_u32_e32 v45, 32, v42
	v_subrev_u32_e32 v42, 28, v45
	v_lshlrev_b64 v[42:43], v42, v[24:25]
	v_lshrrev_b32_e32 v44, 3, v22
	v_sub_u32_e32 v43, 29, v45
	v_and_b32_e32 v42, 7, v42
	v_cmp_gt_u32_e32 vcc, 8, v22
	v_cndmask_b32_e32 v22, v44, v43, vcc
	v_cndmask_b32_e32 v23, v23, v42, vcc
	v_lshlrev_b32_e32 v42, 24, v24
	v_bfrev_b32_e32 v43, 60
	v_lshlrev_b32_e32 v23, 20, v23
	v_and_b32_e32 v42, 0x80000000, v42
	v_lshl_add_u32 v22, v22, 23, v43
	v_or3_b32 v42, v42, v22, v23
.LBB546_353:
	s_or_b64 exec, exec, s[10:11]
.LBB546_354:
	s_or_b64 exec, exec, s[8:9]
.LBB546_355:
	s_or_b64 exec, exec, s[2:3]
	v_lshrrev_b16_e32 v22, 8, v24
	v_cmp_ne_u16_e32 vcc, 0, v22
	v_mov_b32_e32 v23, 0
	v_mov_b32_e32 v43, 0
	s_and_saveexec_b64 s[2:3], vcc
	s_cbranch_execz .LBB546_361
; %bb.356:
	s_movk_i32 s8, 0x80
	v_cmp_ne_u16_e32 vcc, s8, v22
	v_bfrev_b32_e32 v43, 1
	s_and_saveexec_b64 s[8:9], vcc
	s_cbranch_execz .LBB546_360
; %bb.357:
	s_movk_i32 s10, 0x7f
	v_and_b32_e32 v44, 0x7f, v22
	v_cmp_ne_u32_e32 vcc, s10, v44
	v_mov_b32_e32 v43, 0x7f800001
	s_and_saveexec_b64 s[10:11], vcc
	s_cbranch_execz .LBB546_359
; %bb.358:
	v_and_b32_e32 v43, 7, v22
	v_ffbh_u32_e32 v51, v43
	v_min_u32_e32 v51, 32, v51
	v_subrev_u32_e32 v52, 28, v51
	v_lshlrev_b64 v[52:53], v52, v[22:23]
	v_lshrrev_b32_e32 v45, 3, v44
	v_sub_u32_e32 v22, 29, v51
	v_and_b32_e32 v51, 7, v52
	v_cmp_gt_u32_e32 vcc, 8, v44
	v_cndmask_b32_e32 v22, v45, v22, vcc
	v_cndmask_b32_e32 v43, v43, v51, vcc
	v_lshlrev_b32_e32 v44, 16, v24
	v_bfrev_b32_e32 v45, 60
	v_lshlrev_b32_e32 v43, 20, v43
	v_and_b32_e32 v44, 0x80000000, v44
	v_lshl_add_u32 v22, v22, 23, v45
	v_or3_b32 v43, v44, v22, v43
.LBB546_359:
	s_or_b64 exec, exec, s[10:11]
.LBB546_360:
	s_or_b64 exec, exec, s[8:9]
.LBB546_361:
	s_or_b64 exec, exec, s[2:3]
	s_movk_i32 s2, 0xff
	v_and_b32_sdwa v44, v24, s2 dst_sel:DWORD dst_unused:UNUSED_PAD src0_sel:WORD_1 src1_sel:DWORD
	v_lshrrev_b32_e32 v22, 16, v24
	v_cmp_ne_u16_e32 vcc, 0, v44
	s_and_saveexec_b64 s[2:3], vcc
	s_cbranch_execz .LBB546_367
; %bb.362:
	s_movk_i32 s8, 0x80
	v_cmp_ne_u16_e32 vcc, s8, v44
	v_bfrev_b32_e32 v23, 1
	s_and_saveexec_b64 s[8:9], vcc
	s_cbranch_execz .LBB546_366
; %bb.363:
	v_bfe_u32 v44, v24, 16, 7
	s_movk_i32 s10, 0x7f
	v_cmp_ne_u32_e32 vcc, s10, v44
	v_mov_b32_e32 v23, 0x7f800001
	s_and_saveexec_b64 s[10:11], vcc
	s_cbranch_execz .LBB546_365
; %bb.364:
	v_and_b32_e32 v45, 7, v22
	v_ffbh_u32_e32 v23, v45
	v_min_u32_e32 v52, 32, v23
	v_subrev_u32_e32 v23, 28, v52
	v_lshlrev_b64 v[22:23], v23, v[22:23]
	v_lshrrev_b32_e32 v51, 3, v44
	v_sub_u32_e32 v23, 29, v52
	v_and_b32_e32 v22, 7, v22
	v_cmp_gt_u32_e32 vcc, 8, v44
	v_mov_b32_e32 v44, 24
	v_cndmask_b32_e32 v23, v51, v23, vcc
	v_cndmask_b32_e32 v22, v45, v22, vcc
	v_lshlrev_b32_sdwa v44, v44, v24 dst_sel:DWORD dst_unused:UNUSED_PAD src0_sel:DWORD src1_sel:WORD_1
	v_bfrev_b32_e32 v45, 60
	v_lshlrev_b32_e32 v22, 20, v22
	v_and_b32_e32 v44, 0x80000000, v44
	v_lshl_add_u32 v23, v23, 23, v45
	v_or3_b32 v23, v44, v23, v22
.LBB546_365:
	s_or_b64 exec, exec, s[10:11]
.LBB546_366:
	s_or_b64 exec, exec, s[8:9]
.LBB546_367:
	s_or_b64 exec, exec, s[2:3]
	s_mov_b32 s2, 0xffffff
	v_cmp_lt_u32_e32 vcc, s2, v24
	v_mov_b32_e32 v45, 0
	v_mov_b32_e32 v51, 0
	s_and_saveexec_b64 s[2:3], vcc
	s_cbranch_execz .LBB546_373
; %bb.368:
	v_lshrrev_b32_e32 v22, 24, v24
	s_movk_i32 s8, 0x80
	v_cmp_ne_u32_e32 vcc, s8, v22
	v_bfrev_b32_e32 v51, 1
	s_and_saveexec_b64 s[8:9], vcc
	s_cbranch_execz .LBB546_372
; %bb.369:
	v_bfe_u32 v24, v24, 24, 7
	s_movk_i32 s10, 0x7f
	v_cmp_ne_u32_e32 vcc, s10, v24
	v_mov_b32_e32 v51, 0x7f800001
	s_and_saveexec_b64 s[10:11], vcc
	s_cbranch_execz .LBB546_371
; %bb.370:
	v_and_b32_e32 v44, 7, v22
	v_ffbh_u32_e32 v52, v44
	v_min_u32_e32 v54, 32, v52
	v_subrev_u32_e32 v52, 28, v54
	v_lshlrev_b64 v[52:53], v52, v[22:23]
	v_lshrrev_b32_e32 v51, 3, v24
	v_sub_u32_e32 v53, 29, v54
	v_and_b32_e32 v52, 7, v52
	v_cmp_gt_u32_e32 vcc, 8, v24
	v_cndmask_b32_e32 v24, v51, v53, vcc
	v_cndmask_b32_e32 v44, v44, v52, vcc
	v_lshlrev_b32_e32 v22, 24, v22
	v_bfrev_b32_e32 v51, 60
	v_lshlrev_b32_e32 v44, 20, v44
	v_and_b32_e32 v22, 0x80000000, v22
	v_lshl_add_u32 v24, v24, 23, v51
	v_or3_b32 v51, v22, v24, v44
.LBB546_371:
	s_or_b64 exec, exec, s[10:11]
.LBB546_372:
	s_or_b64 exec, exec, s[8:9]
.LBB546_373:
	s_or_b64 exec, exec, s[2:3]
	v_cmp_ne_u16_sdwa s[8:9], v25, v45 src0_sel:BYTE_0 src1_sel:DWORD
	s_and_saveexec_b64 s[2:3], s[8:9]
	s_cbranch_execz .LBB546_379
; %bb.374:
	s_movk_i32 s8, 0x80
	v_cmp_ne_u16_sdwa s[10:11], v25, s8 src0_sel:BYTE_0 src1_sel:DWORD
	v_bfrev_b32_e32 v45, 1
	s_and_saveexec_b64 s[8:9], s[10:11]
	s_cbranch_execz .LBB546_378
; %bb.375:
	s_movk_i32 s10, 0x7f
	v_and_b32_e32 v22, 0x7f, v25
	v_cmp_ne_u32_e32 vcc, s10, v22
	v_mov_b32_e32 v45, 0x7f800001
	s_and_saveexec_b64 s[10:11], vcc
	s_cbranch_execz .LBB546_377
; %bb.376:
	v_and_b32_e32 v52, 7, v25
	v_ffbh_u32_e32 v44, v52
	v_min_u32_e32 v54, 32, v44
	v_mov_b32_e32 v24, v25
	v_subrev_u32_e32 v44, 28, v54
	v_lshlrev_b64 v[44:45], v44, v[24:25]
	v_lshrrev_b32_e32 v53, 3, v22
	v_sub_u32_e32 v24, 29, v54
	v_and_b32_e32 v44, 7, v44
	v_cmp_gt_u32_e32 vcc, 8, v22
	v_cndmask_b32_e32 v22, v53, v24, vcc
	v_cndmask_b32_e32 v24, v52, v44, vcc
	v_lshlrev_b32_e32 v44, 24, v25
	v_bfrev_b32_e32 v45, 60
	v_lshlrev_b32_e32 v24, 20, v24
	v_and_b32_e32 v44, 0x80000000, v44
	v_lshl_add_u32 v22, v22, 23, v45
	v_or3_b32 v45, v44, v22, v24
.LBB546_377:
	s_or_b64 exec, exec, s[10:11]
.LBB546_378:
	s_or_b64 exec, exec, s[8:9]
.LBB546_379:
	s_or_b64 exec, exec, s[2:3]
	v_lshrrev_b16_e32 v22, 8, v25
	v_cmp_ne_u16_e32 vcc, 0, v22
	v_mov_b32_e32 v52, 0
	v_mov_b32_e32 v53, 0
	s_and_saveexec_b64 s[2:3], vcc
	s_cbranch_execz .LBB546_385
; %bb.380:
	s_movk_i32 s8, 0x80
	v_cmp_ne_u16_e32 vcc, s8, v22
	v_bfrev_b32_e32 v53, 1
	s_and_saveexec_b64 s[8:9], vcc
	s_cbranch_execz .LBB546_384
; %bb.381:
	s_movk_i32 s10, 0x7f
	v_and_b32_e32 v24, 0x7f, v22
	v_cmp_ne_u32_e32 vcc, s10, v24
	v_mov_b32_e32 v53, 0x7f800001
	s_and_saveexec_b64 s[10:11], vcc
	s_cbranch_execz .LBB546_383
; %bb.382:
	v_and_b32_e32 v44, 7, v22
	v_ffbh_u32_e32 v54, v44
	v_min_u32_e32 v56, 32, v54
	v_subrev_u32_e32 v54, 28, v56
	v_lshlrev_b64 v[54:55], v54, v[22:23]
	v_lshrrev_b32_e32 v53, 3, v24
	v_sub_u32_e32 v22, 29, v56
	v_and_b32_e32 v54, 7, v54
	v_cmp_gt_u32_e32 vcc, 8, v24
	v_cndmask_b32_e32 v22, v53, v22, vcc
	v_cndmask_b32_e32 v24, v44, v54, vcc
	v_lshlrev_b32_e32 v44, 16, v25
	v_bfrev_b32_e32 v53, 60
	v_lshlrev_b32_e32 v24, 20, v24
	v_and_b32_e32 v44, 0x80000000, v44
	v_lshl_add_u32 v22, v22, 23, v53
	v_or3_b32 v53, v44, v22, v24
.LBB546_383:
	s_or_b64 exec, exec, s[10:11]
.LBB546_384:
	s_or_b64 exec, exec, s[8:9]
.LBB546_385:
	s_or_b64 exec, exec, s[2:3]
	s_movk_i32 s2, 0xff
	v_and_b32_sdwa v24, v25, s2 dst_sel:DWORD dst_unused:UNUSED_PAD src0_sel:WORD_1 src1_sel:DWORD
	v_lshrrev_b32_e32 v22, 16, v25
	v_cmp_ne_u16_e32 vcc, 0, v24
	s_and_saveexec_b64 s[2:3], vcc
	s_cbranch_execz .LBB546_391
; %bb.386:
	s_movk_i32 s8, 0x80
	v_cmp_ne_u16_e32 vcc, s8, v24
	v_bfrev_b32_e32 v52, 1
	s_and_saveexec_b64 s[8:9], vcc
	s_cbranch_execz .LBB546_390
; %bb.387:
	v_bfe_u32 v24, v25, 16, 7
	s_movk_i32 s10, 0x7f
	v_cmp_ne_u32_e32 vcc, s10, v24
	v_mov_b32_e32 v52, 0x7f800001
	s_and_saveexec_b64 s[10:11], vcc
	s_cbranch_execz .LBB546_389
; %bb.388:
	v_and_b32_e32 v44, 7, v22
	v_ffbh_u32_e32 v54, v44
	v_min_u32_e32 v56, 32, v54
	v_subrev_u32_e32 v54, 28, v56
	v_lshlrev_b64 v[54:55], v54, v[22:23]
	v_and_b32_e32 v54, 7, v54
	v_cmp_gt_u32_e32 vcc, 8, v24
	v_lshrrev_b32_e32 v52, 3, v24
	v_sub_u32_e32 v22, 29, v56
	v_cndmask_b32_e32 v24, v44, v54, vcc
	v_mov_b32_e32 v44, 24
	v_cndmask_b32_e32 v22, v52, v22, vcc
	v_lshlrev_b32_sdwa v44, v44, v25 dst_sel:DWORD dst_unused:UNUSED_PAD src0_sel:DWORD src1_sel:WORD_1
	v_bfrev_b32_e32 v52, 60
	v_lshlrev_b32_e32 v24, 20, v24
	v_and_b32_e32 v44, 0x80000000, v44
	v_lshl_add_u32 v22, v22, 23, v52
	v_or3_b32 v52, v44, v22, v24
.LBB546_389:
	s_or_b64 exec, exec, s[10:11]
.LBB546_390:
	s_or_b64 exec, exec, s[8:9]
.LBB546_391:
	s_or_b64 exec, exec, s[2:3]
	s_mov_b32 s2, 0xffffff
	v_and_b32_e32 v44, 63, v0
	v_cmp_lt_u32_e32 vcc, s2, v25
	v_mov_b32_e32 v54, 0
	s_and_saveexec_b64 s[2:3], vcc
	s_cbranch_execz .LBB546_397
; %bb.392:
	v_lshrrev_b32_e32 v22, 24, v25
	s_movk_i32 s8, 0x80
	v_cmp_ne_u32_e32 vcc, s8, v22
	v_bfrev_b32_e32 v54, 1
	s_and_saveexec_b64 s[8:9], vcc
	s_cbranch_execz .LBB546_396
; %bb.393:
	v_bfe_u32 v24, v25, 24, 7
	s_movk_i32 s10, 0x7f
	v_cmp_ne_u32_e32 vcc, s10, v24
	v_mov_b32_e32 v54, 0x7f800001
	s_and_saveexec_b64 s[10:11], vcc
	s_cbranch_execz .LBB546_395
; %bb.394:
	v_and_b32_e32 v25, 7, v22
	v_ffbh_u32_e32 v54, v25
	v_min_u32_e32 v57, 32, v54
	v_subrev_u32_e32 v54, 28, v57
	v_lshlrev_b64 v[54:55], v54, v[22:23]
	v_lshrrev_b32_e32 v56, 3, v24
	v_sub_u32_e32 v55, 29, v57
	v_and_b32_e32 v54, 7, v54
	v_cmp_gt_u32_e32 vcc, 8, v24
	v_cndmask_b32_e32 v24, v56, v55, vcc
	v_cndmask_b32_e32 v25, v25, v54, vcc
	v_lshlrev_b32_e32 v22, 24, v22
	v_bfrev_b32_e32 v54, 60
	v_lshlrev_b32_e32 v25, 20, v25
	v_and_b32_e32 v22, 0x80000000, v22
	v_lshl_add_u32 v24, v24, 23, v54
	v_or3_b32 v54, v22, v24, v25
.LBB546_395:
	s_or_b64 exec, exec, s[10:11]
.LBB546_396:
	s_or_b64 exec, exec, s[8:9]
.LBB546_397:
	s_or_b64 exec, exec, s[2:3]
	v_cvt_pkrtz_f16_f32 v42, v42, v43
	v_cvt_pkrtz_f16_f32 v43, v23, v51
	s_load_dword s2, s[4:5], 0x1c
	s_mov_b32 s46, 0xff7fffff
	s_waitcnt lgkmcnt(0)
	v_mfma_f32_16x16x16f16 v[26:29], v[42:43], v[18:19], v[26:29]
	v_cvt_pkrtz_f16_f32 v18, v45, v53
	v_cvt_pkrtz_f16_f32 v19, v52, v54
	v_mov_b32_e32 v22, s2
	v_mul_f32_e32 v56, s12, v22
	v_pk_mul_f32 v[22:23], v[56:57], v[32:33] op_sel_hi:[0,1]
	v_pk_mul_f32 v[32:33], v[56:57], v[38:39] op_sel_hi:[0,1]
	v_and_b32_e32 v38, 0xc0, v0
	v_mfma_f32_16x16x16f16 v[26:29], v[18:19], v[20:21], v[26:29]
	v_add_u32_e32 v38, s18, v38
	v_lshl_or_b32 v38, v1, 2, v38
	v_or_b32_e32 v39, 1, v38
	v_pk_mul_f32 v[24:25], v[56:57], v[30:31] op_sel_hi:[0,1]
	v_pk_mul_f32 v[30:31], v[56:57], v[40:41] op_sel_hi:[0,1]
	v_subrev_u32_e32 v40, s33, v39
	v_pk_mul_f32 v[34:35], v[56:57], v[34:35] op_sel_hi:[0,1]
	s_nop 3
	v_pk_mul_f32 v[20:21], v[56:57], v[26:27] op_sel_hi:[0,1]
	v_add_u32_e32 v27, 1, v40
	v_pk_mul_f32 v[18:19], v[56:57], v[28:29] op_sel_hi:[0,1]
	v_cvt_f32_i32_e32 v27, v27
	v_add_u32_e32 v29, 3, v40
	v_cvt_f32_i32_e32 v29, v29
	v_cvt_f32_i32_e32 v26, v40
	v_pk_mul_f32 v[36:37], v[56:57], v[36:37] op_sel_hi:[0,1]
	v_fmac_f32_e32 v35, v50, v27
	v_add_u32_e32 v27, 16, v40
	v_fmac_f32_e32 v37, v50, v29
	v_cvt_f32_i32_e32 v27, v27
	v_add_u32_e32 v29, 17, v40
	v_fma_f32 v26, v50, v26, v34
	v_cvt_f32_i32_e32 v29, v29
	v_add_u32_e32 v34, 18, v40
	v_cvt_f32_i32_e32 v34, v34
	v_fma_f32 v41, v50, v27, v32
	v_add_u32_e32 v27, 32, v40
	v_fmac_f32_e32 v33, v50, v29
	v_cvt_f32_i32_e32 v27, v27
	v_add_u32_e32 v29, 33, v40
	v_add_u32_e32 v32, 34, v40
	v_fma_f32 v30, v50, v34, v30
	v_cvt_f32_i32_e32 v29, v29
	v_cvt_f32_i32_e32 v32, v32
	v_add_u32_e32 v34, 35, v40
	v_cvt_f32_i32_e32 v34, v34
	v_fma_f32 v24, v50, v27, v24
	v_add_u32_e32 v27, 48, v40
	v_fmac_f32_e32 v25, v50, v29
	v_fma_f32 v22, v50, v32, v22
	v_cvt_f32_i32_e32 v27, v27
	v_add_u32_e32 v29, 49, v40
	v_add_u32_e32 v32, 50, v40
	v_fmac_f32_e32 v23, v50, v34
	v_cvt_f32_i32_e32 v29, v29
	v_cvt_f32_i32_e32 v32, v32
	v_add_u32_e32 v34, 51, v40
	v_add_u32_e32 v28, 2, v40
	v_cvt_f32_i32_e32 v34, v34
	v_cvt_f32_i32_e32 v28, v28
	v_fma_f32 v20, v50, v27, v20
	v_mov_b32_e32 v27, 0xff7fffff
	v_cmp_gt_i32_e64 s[26:27], s33, v38
	v_cmp_gt_i32_e64 s[28:29], s33, v39
	v_fmac_f32_e32 v21, v50, v29
	v_fma_f32 v18, v50, v32, v18
	v_cndmask_b32_e64 v29, v27, v26, s[26:27]
	v_cndmask_b32_e64 v32, v27, v35, s[28:29]
	v_fmac_f32_e32 v19, v50, v34
	v_max3_f32 v29, v29, s46, v32
	v_or_b32_e32 v32, 2, v38
	v_or_b32_e32 v34, 3, v38
	v_fma_f32 v28, v50, v28, v36
	v_cmp_gt_i32_e64 s[30:31], s33, v32
	v_cmp_gt_i32_e64 s[34:35], s33, v34
	v_add_u32_e32 v36, 19, v40
	v_cndmask_b32_e64 v32, v27, v28, s[30:31]
	v_cndmask_b32_e64 v34, v27, v37, s[34:35]
	v_cvt_f32_i32_e32 v36, v36
	v_max3_f32 v29, v29, v32, v34
	v_or_b32_e32 v32, 16, v38
	v_or_b32_e32 v34, 17, v38
	v_cmp_gt_i32_e64 s[36:37], s33, v32
	v_cmp_gt_i32_e64 s[38:39], s33, v34
	v_cndmask_b32_e64 v32, v27, v41, s[36:37]
	v_cndmask_b32_e64 v34, v27, v33, s[38:39]
	v_max3_f32 v29, v29, v32, v34
	v_or_b32_e32 v32, 18, v38
	v_or_b32_e32 v34, 19, v38
	v_fmac_f32_e32 v31, v50, v36
	v_cmp_gt_i32_e64 s[20:21], s33, v32
	v_cmp_gt_i32_e64 s[22:23], s33, v34
	v_cndmask_b32_e64 v32, v27, v30, s[20:21]
	v_cndmask_b32_e64 v34, v27, v31, s[22:23]
	v_max3_f32 v29, v29, v32, v34
	v_or_b32_e32 v32, 32, v38
	v_or_b32_e32 v34, 33, v38
	v_cmp_gt_i32_e64 s[16:17], s33, v32
	v_cmp_gt_i32_e64 s[18:19], s33, v34
	v_cndmask_b32_e64 v32, v27, v24, s[16:17]
	v_cndmask_b32_e64 v34, v27, v25, s[18:19]
	v_max3_f32 v29, v29, v32, v34
	v_or_b32_e32 v32, 34, v38
	v_or_b32_e32 v34, 35, v38
	;; [unrolled: 7-line block ×4, first 2 shown]
	v_cmp_gt_i32_e32 vcc, s33, v32
	v_cmp_gt_i32_e64 s[2:3], s33, v34
	v_cndmask_b32_e32 v32, v27, v18, vcc
	v_cndmask_b32_e64 v27, v27, v19, s[2:3]
	v_max3_f32 v27, v29, v32, v27
	v_mbcnt_lo_u32_b32 v29, -1, 0
	v_mbcnt_hi_u32_b32 v29, -1, v29
	v_and_b32_e32 v32, 64, v29
	v_add_u32_e32 v32, 64, v32
	v_xor_b32_e32 v34, 32, v29
	v_cmp_lt_i32_e64 s[40:41], v34, v32
	v_cndmask_b32_e64 v34, v29, v34, s[40:41]
	v_lshlrev_b32_e32 v36, 2, v34
	ds_bpermute_b32 v34, v36, v27
	s_barrier
	s_waitcnt lgkmcnt(0)
	v_max_f32_e32 v34, v34, v34
	v_max_f32_e32 v27, v27, v34
	v_xor_b32_e32 v34, 16, v29
	v_cmp_lt_i32_e64 s[40:41], v34, v32
	v_cndmask_b32_e64 v29, v29, v34, s[40:41]
	v_lshlrev_b32_e32 v38, 2, v29
	ds_bpermute_b32 v29, v38, v27
	s_waitcnt lgkmcnt(0)
	v_max_f32_e32 v29, v29, v29
	v_max_f32_e32 v32, v27, v29
	v_sub_f32_e32 v26, v26, v32
	v_mul_f32_e32 v26, 0x3fb8aa3b, v26
	v_sub_f32_e32 v27, v35, v32
	v_exp_f32_e32 v26, v26
	v_mul_f32_e32 v27, 0x3fb8aa3b, v27
	v_sub_f32_e32 v28, v28, v32
	v_exp_f32_e32 v27, v27
	v_mul_f32_e32 v28, 0x3fb8aa3b, v28
	v_exp_f32_e32 v28, v28
	v_cndmask_b32_e64 v26, 0, v26, s[26:27]
	v_sub_f32_e32 v34, v37, v32
	v_add_f32_e32 v29, 0, v26
	v_cndmask_b32_e64 v27, 0, v27, s[28:29]
	v_mul_f32_e32 v34, 0x3fb8aa3b, v34
	v_exp_f32_e32 v35, v34
	v_add_f32_e32 v29, v29, v27
	v_cndmask_b32_e64 v34, 0, v28, s[30:31]
	v_add_f32_e32 v28, v29, v34
	v_sub_f32_e32 v29, v41, v32
	v_mul_f32_e32 v29, 0x3fb8aa3b, v29
	v_sub_f32_e32 v33, v33, v32
	v_exp_f32_e32 v29, v29
	v_mul_f32_e32 v33, 0x3fb8aa3b, v33
	v_sub_f32_e32 v30, v30, v32
	v_exp_f32_e32 v33, v33
	;; [unrolled: 3-line block ×3, first 2 shown]
	v_mul_f32_e32 v31, 0x3fb8aa3b, v31
	v_sub_f32_e32 v24, v24, v32
	v_cndmask_b32_e64 v35, 0, v35, s[34:35]
	v_exp_f32_e32 v31, v31
	v_mul_f32_e32 v24, 0x3fb8aa3b, v24
	v_sub_f32_e32 v25, v25, v32
	v_add_f32_e32 v37, v28, v35
	v_cndmask_b32_e64 v28, 0, v29, s[36:37]
	v_exp_f32_e32 v24, v24
	v_mul_f32_e32 v25, 0x3fb8aa3b, v25
	v_sub_f32_e32 v22, v22, v32
	v_add_f32_e32 v37, v37, v28
	;; [unrolled: 5-line block ×7, first 2 shown]
	v_cndmask_b32_e64 v22, 0, v22, s[12:13]
	v_exp_f32_e32 v18, v18
	v_mul_f32_e32 v19, 0x3fb8aa3b, v19
	v_add_f32_e32 v33, v33, v22
	v_cndmask_b32_e64 v23, 0, v23, s[14:15]
	v_exp_f32_e32 v19, v19
	v_add_f32_e32 v33, v33, v23
	v_cndmask_b32_e64 v20, 0, v20, s[8:9]
	v_add_f32_e32 v33, v33, v20
	v_cndmask_b32_e64 v21, 0, v21, s[10:11]
	v_add_f32_e32 v33, v33, v21
	v_cndmask_b32_e32 v18, 0, v18, vcc
	v_add_f32_e32 v33, v33, v18
	v_cndmask_b32_e64 v19, 0, v19, s[2:3]
	v_add_f32_e32 v33, v33, v19
	ds_bpermute_b32 v36, v36, v33
	v_cmp_gt_u32_e64 s[2:3], 16, v44
	s_waitcnt lgkmcnt(0)
	v_add_f32_e32 v33, v33, v36
	ds_bpermute_b32 v37, v38, v33
	v_lshlrev_b32_e32 v36, 2, v48
	s_and_saveexec_b64 s[8:9], s[2:3]
	s_cbranch_execz .LBB546_399
; %bb.398:
	s_waitcnt lgkmcnt(0)
	v_add_f32_e32 v33, v33, v37
	v_lshl_or_b32 v37, v49, 6, v36
	ds_write2st64_b32 v37, v32, v33 offset1:1
.LBB546_399:
	s_or_b64 exec, exec, s[8:9]
	s_waitcnt lgkmcnt(0)
	s_barrier
	ds_read2_b32 v[38:39], v36 offset1:16
	ds_read2_b32 v[40:41], v36 offset0:32 offset1:48
	ds_read2_b32 v[42:43], v36 offset0:64 offset1:80
	s_mul_i32 s14, s45, 5
	s_waitcnt lgkmcnt(2)
	v_max3_f32 v32, v38, s46, v39
	s_waitcnt lgkmcnt(1)
	v_max3_f32 v33, v32, v40, v41
	v_sub_f32_e32 v32, v38, v33
	v_mul_f32_e32 v32, 0x3fb8aa3b, v32
	v_exp_f32_e32 v37, v32
	v_sub_f32_e32 v32, v39, v33
	v_mul_f32_e32 v32, 0x3fb8aa3b, v32
	v_exp_f32_e32 v44, v32
	;; [unrolled: 3-line block ×3, first 2 shown]
	ds_read2_b32 v[38:39], v36 offset0:96 offset1:112
	v_sub_f32_e32 v32, v41, v33
	v_mul_f32_e32 v32, 0x3fb8aa3b, v32
	v_exp_f32_e32 v41, v32
	s_waitcnt lgkmcnt(1)
	v_fma_f32 v36, v37, v42, 0
	v_fmac_f32_e32 v36, v44, v43
	s_waitcnt lgkmcnt(0)
	v_fmac_f32_e32 v36, v40, v38
	v_fmac_f32_e32 v36, v41, v39
	v_add_f32_e32 v38, 0x358637bd, v36
	v_div_scale_f32 v39, s[8:9], v38, v38, 1.0
	v_rcp_f32_e32 v42, v39
	s_barrier
	v_fma_f32 v43, -v39, v42, 1.0
	v_fmac_f32_e32 v42, v43, v42
	v_div_scale_f32 v43, vcc, 1.0, v38, 1.0
	v_mul_f32_e32 v45, v43, v42
	v_fma_f32 v50, -v39, v45, v43
	v_fmac_f32_e32 v45, v50, v42
	v_fma_f32 v39, -v39, v45, v43
	v_div_fmas_f32 v39, v39, v42, v45
	v_cmp_eq_u32_e32 vcc, 1, v49
	v_cndmask_b32_e32 v37, v37, v44, vcc
	v_cmp_eq_u32_e32 vcc, 2, v49
	v_cndmask_b32_e32 v37, v37, v40, vcc
	v_cmp_eq_u32_e32 vcc, 3, v49
	v_div_fixup_f32 v38, v39, v38, 1.0
	v_cndmask_b32_e32 v37, v37, v41, vcc
	v_mul_f32_e32 v38, v37, v38
	v_pk_mul_f32 v[34:35], v[38:39], v[34:35] op_sel_hi:[0,1]
	v_pk_mul_f32 v[26:27], v[38:39], v[26:27] op_sel_hi:[0,1]
	v_cvt_f16_f32_e32 v26, v26
	v_cvt_f16_f32_e32 v27, v27
	;; [unrolled: 1-line block ×4, first 2 shown]
	v_pk_mul_f32 v[30:31], v[38:39], v[30:31] op_sel_hi:[0,1]
	v_pk_mul_f32 v[28:29], v[38:39], v[28:29] op_sel_hi:[0,1]
	v_cvt_f16_f32_e32 v28, v28
	v_cvt_f16_f32_e32 v29, v29
	;; [unrolled: 1-line block ×4, first 2 shown]
	v_pack_b32_f16 v34, v26, v27
	v_pack_b32_f16 v35, v37, v35
	v_lshlrev_b32_e32 v26, 3, v1
	v_lshlrev_b32_e32 v27, 5, v48
	;; [unrolled: 1-line block ×3, first 2 shown]
	v_or3_b32 v26, v37, v27, v26
	v_pack_b32_f16 v28, v28, v29
	v_pack_b32_f16 v29, v30, v31
	v_pk_mul_f32 v[22:23], v[38:39], v[22:23] op_sel_hi:[0,1]
	v_pk_mul_f32 v[24:25], v[38:39], v[24:25] op_sel_hi:[0,1]
	;; [unrolled: 1-line block ×4, first 2 shown]
	ds_write2st64_b64 v26, v[34:35], v[28:29] offset1:1
	v_cvt_f16_f32_e32 v24, v24
	v_cvt_f16_f32_e32 v25, v25
	;; [unrolled: 1-line block ×8, first 2 shown]
	v_mov_b32_e32 v32, 0
	v_pack_b32_f16 v18, v24, v25
	v_pack_b32_f16 v19, v22, v23
	;; [unrolled: 1-line block ×4, first 2 shown]
	v_cmp_gt_u32_e32 vcc, 5, v0
	ds_write2st64_b64 v26, v[18:19], v[20:21] offset0:2 offset1:3
	s_and_saveexec_b64 s[8:9], vcc
	s_cbranch_execz .LBB546_401
; %bb.400:
	v_add_co_u32_e32 v20, vcc, s25, v48
	v_addc_co_u32_e64 v21, s[10:11], 0, 0, vcc
	v_mov_b32_e32 v18, s14
	v_mov_b32_e32 v19, 0
	v_mad_u64_u32 v[20:21], s[10:11], s6, v18, v[20:21]
	v_mov_b32_e32 v18, s24
	s_load_dwordx4 s[16:19], s[4:5], 0x58
	s_mul_i32 s7, s7, s14
	v_mad_u64_u32 v[18:19], s[10:11], v20, s44, v[18:19]
	v_add_u32_e32 v21, s7, v21
	v_mov_b32_e32 v20, v19
	v_mad_u64_u32 v[20:21], s[10:11], v21, s44, v[20:21]
	v_mov_b32_e32 v19, v20
	v_lshlrev_b64 v[18:19], 2, v[18:19]
	s_waitcnt lgkmcnt(0)
	v_mov_b32_e32 v21, s19
	v_add_co_u32_e32 v20, vcc, s18, v18
	v_addc_co_u32_e32 v21, vcc, v21, v19, vcc
	global_store_dword v[20:21], v33, off
	v_mov_b32_e32 v20, s17
	v_add_co_u32_e32 v18, vcc, s16, v18
	v_addc_co_u32_e32 v19, vcc, v20, v19, vcc
	global_store_dword v[18:19], v36, off
.LBB546_401:
	s_or_b64 exec, exec, s[8:9]
	v_mov_b32_e32 v19, 0
	s_waitcnt vmcnt(3)
	v_cmp_ne_u16_sdwa s[10:11], v14, v19 src0_sel:BYTE_0 src1_sel:DWORD
	s_waitcnt lgkmcnt(0)
	s_barrier
	s_and_saveexec_b64 s[8:9], s[10:11]
	s_cbranch_execz .LBB546_407
; %bb.402:
	s_movk_i32 s7, 0x80
	v_cmp_ne_u16_sdwa s[12:13], v14, s7 src0_sel:BYTE_0 src1_sel:DWORD
	v_bfrev_b32_e32 v32, 1
	s_and_saveexec_b64 s[10:11], s[12:13]
	s_cbranch_execz .LBB546_406
; %bb.403:
	s_movk_i32 s7, 0x7f
	v_and_b32_e32 v18, 0x7f, v14
	v_cmp_ne_u32_e32 vcc, s7, v18
	v_mov_b32_e32 v32, 0x7f800001
	s_and_saveexec_b64 s[12:13], vcc
	s_cbranch_execz .LBB546_405
; %bb.404:
	v_and_b32_e32 v22, 7, v14
	v_ffbh_u32_e32 v20, v22
	v_min_u32_e32 v24, 32, v20
	v_subrev_u32_e32 v20, 28, v24
	v_lshlrev_b64 v[20:21], v20, v[14:15]
	v_lshrrev_b32_e32 v23, 3, v18
	v_sub_u32_e32 v21, 29, v24
	v_and_b32_e32 v20, 7, v20
	v_cmp_gt_u32_e32 vcc, 8, v18
	v_cndmask_b32_e32 v18, v23, v21, vcc
	v_cndmask_b32_e32 v20, v22, v20, vcc
	v_lshlrev_b32_e32 v21, 24, v14
	v_bfrev_b32_e32 v22, 60
	v_lshlrev_b32_e32 v20, 20, v20
	v_and_b32_e32 v21, 0x80000000, v21
	v_lshl_add_u32 v18, v18, 23, v22
	v_or3_b32 v32, v21, v18, v20
.LBB546_405:
	s_or_b64 exec, exec, s[12:13]
.LBB546_406:
	s_or_b64 exec, exec, s[10:11]
.LBB546_407:
	s_or_b64 exec, exec, s[8:9]
	v_lshrrev_b16_e32 v18, 8, v14
	v_cmp_ne_u16_e32 vcc, 0, v18
	v_mov_b32_e32 v20, 0
	s_and_saveexec_b64 s[8:9], vcc
	s_cbranch_execz .LBB546_413
; %bb.408:
	s_movk_i32 s7, 0x80
	v_cmp_ne_u16_e32 vcc, s7, v18
	v_bfrev_b32_e32 v20, 1
	s_and_saveexec_b64 s[10:11], vcc
	s_cbranch_execz .LBB546_412
; %bb.409:
	s_movk_i32 s7, 0x7f
	v_and_b32_e32 v21, 0x7f, v18
	v_cmp_ne_u32_e32 vcc, s7, v21
	v_mov_b32_e32 v20, 0x7f800001
	s_and_saveexec_b64 s[12:13], vcc
	s_cbranch_execz .LBB546_411
; %bb.410:
	v_and_b32_e32 v20, 7, v18
	v_ffbh_u32_e32 v22, v20
	v_min_u32_e32 v25, 32, v22
	v_subrev_u32_e32 v22, 28, v25
	v_lshlrev_b64 v[22:23], v22, v[18:19]
	v_lshrrev_b32_e32 v24, 3, v21
	v_sub_u32_e32 v18, 29, v25
	v_and_b32_e32 v22, 7, v22
	v_cmp_gt_u32_e32 vcc, 8, v21
	v_cndmask_b32_e32 v18, v24, v18, vcc
	v_cndmask_b32_e32 v20, v20, v22, vcc
	v_lshlrev_b32_e32 v21, 16, v14
	v_bfrev_b32_e32 v22, 60
	v_lshlrev_b32_e32 v20, 20, v20
	v_and_b32_e32 v21, 0x80000000, v21
	v_lshl_add_u32 v18, v18, 23, v22
	v_or3_b32 v20, v21, v18, v20
.LBB546_411:
	s_or_b64 exec, exec, s[12:13]
.LBB546_412:
	s_or_b64 exec, exec, s[10:11]
.LBB546_413:
	s_or_b64 exec, exec, s[8:9]
	s_movk_i32 s7, 0xff
	v_and_b32_sdwa v21, v14, s7 dst_sel:DWORD dst_unused:UNUSED_PAD src0_sel:WORD_1 src1_sel:DWORD
	v_lshrrev_b32_e32 v18, 16, v14
	v_cmp_ne_u16_e32 vcc, 0, v21
	s_and_saveexec_b64 s[8:9], vcc
	s_cbranch_execz .LBB546_419
; %bb.414:
	s_movk_i32 s7, 0x80
	v_cmp_ne_u16_e32 vcc, s7, v21
	v_bfrev_b32_e32 v19, 1
	s_and_saveexec_b64 s[10:11], vcc
	s_cbranch_execz .LBB546_418
; %bb.415:
	v_bfe_u32 v21, v14, 16, 7
	s_movk_i32 s7, 0x7f
	v_cmp_ne_u32_e32 vcc, s7, v21
	v_mov_b32_e32 v19, 0x7f800001
	s_and_saveexec_b64 s[12:13], vcc
	s_cbranch_execz .LBB546_417
; %bb.416:
	v_and_b32_e32 v22, 7, v18
	v_ffbh_u32_e32 v19, v22
	v_min_u32_e32 v24, 32, v19
	v_subrev_u32_e32 v19, 28, v24
	v_lshlrev_b64 v[18:19], v19, v[18:19]
	v_lshrrev_b32_e32 v23, 3, v21
	v_sub_u32_e32 v19, 29, v24
	v_and_b32_e32 v18, 7, v18
	v_cmp_gt_u32_e32 vcc, 8, v21
	v_mov_b32_e32 v21, 24
	v_cndmask_b32_e32 v19, v23, v19, vcc
	v_cndmask_b32_e32 v18, v22, v18, vcc
	v_lshlrev_b32_sdwa v21, v21, v14 dst_sel:DWORD dst_unused:UNUSED_PAD src0_sel:DWORD src1_sel:WORD_1
	v_bfrev_b32_e32 v22, 60
	v_lshlrev_b32_e32 v18, 20, v18
	v_and_b32_e32 v21, 0x80000000, v21
	v_lshl_add_u32 v19, v19, 23, v22
	v_or3_b32 v19, v21, v19, v18
.LBB546_417:
	s_or_b64 exec, exec, s[12:13]
.LBB546_418:
	s_or_b64 exec, exec, s[10:11]
.LBB546_419:
	s_or_b64 exec, exec, s[8:9]
	s_mov_b32 s7, 0xffffff
	v_cmp_lt_u32_e32 vcc, s7, v14
	v_mov_b32_e32 v21, 0
	v_mov_b32_e32 v22, 0
	s_and_saveexec_b64 s[8:9], vcc
	s_cbranch_execz .LBB546_425
; %bb.420:
	v_lshrrev_b32_e32 v18, 24, v14
	s_movk_i32 s7, 0x80
	v_cmp_ne_u32_e32 vcc, s7, v18
	v_bfrev_b32_e32 v22, 1
	s_and_saveexec_b64 s[10:11], vcc
	s_cbranch_execz .LBB546_424
; %bb.421:
	v_bfe_u32 v14, v14, 24, 7
	s_movk_i32 s7, 0x7f
	v_cmp_ne_u32_e32 vcc, s7, v14
	v_mov_b32_e32 v22, 0x7f800001
	s_and_saveexec_b64 s[12:13], vcc
	s_cbranch_execz .LBB546_423
; %bb.422:
	v_and_b32_e32 v24, 7, v18
	v_ffbh_u32_e32 v22, v24
	v_min_u32_e32 v28, 32, v22
	v_subrev_u32_e32 v22, 28, v28
	v_lshlrev_b64 v[22:23], v22, v[18:19]
	v_lshrrev_b32_e32 v25, 3, v14
	v_sub_u32_e32 v23, 29, v28
	v_and_b32_e32 v22, 7, v22
	v_cmp_gt_u32_e32 vcc, 8, v14
	v_cndmask_b32_e32 v14, v25, v23, vcc
	v_cndmask_b32_e32 v22, v24, v22, vcc
	v_lshlrev_b32_e32 v18, 24, v18
	v_bfrev_b32_e32 v23, 60
	v_lshlrev_b32_e32 v22, 20, v22
	v_and_b32_e32 v18, 0x80000000, v18
	v_lshl_add_u32 v14, v14, 23, v23
	v_or3_b32 v22, v18, v14, v22
.LBB546_423:
	s_or_b64 exec, exec, s[12:13]
.LBB546_424:
	s_or_b64 exec, exec, s[10:11]
.LBB546_425:
	s_or_b64 exec, exec, s[8:9]
	v_cmp_ne_u16_sdwa s[10:11], v15, v21 src0_sel:BYTE_0 src1_sel:DWORD
	s_and_saveexec_b64 s[8:9], s[10:11]
	s_cbranch_execz .LBB546_431
; %bb.426:
	s_movk_i32 s7, 0x80
	v_cmp_ne_u16_sdwa s[12:13], v15, s7 src0_sel:BYTE_0 src1_sel:DWORD
	v_bfrev_b32_e32 v21, 1
	s_and_saveexec_b64 s[10:11], s[12:13]
	s_cbranch_execz .LBB546_430
; %bb.427:
	s_movk_i32 s7, 0x7f
	v_and_b32_e32 v14, 0x7f, v15
	v_cmp_ne_u32_e32 vcc, s7, v14
	v_mov_b32_e32 v21, 0x7f800001
	s_and_saveexec_b64 s[12:13], vcc
	s_cbranch_execz .LBB546_429
; %bb.428:
	v_and_b32_e32 v21, 7, v15
	v_ffbh_u32_e32 v24, v21
	v_min_u32_e32 v28, 32, v24
	v_mov_b32_e32 v18, v15
	v_subrev_u32_e32 v24, 28, v28
	v_lshlrev_b64 v[24:25], v24, v[18:19]
	v_lshrrev_b32_e32 v23, 3, v14
	v_sub_u32_e32 v18, 29, v28
	v_and_b32_e32 v24, 7, v24
	v_cmp_gt_u32_e32 vcc, 8, v14
	v_cndmask_b32_e32 v14, v23, v18, vcc
	v_cndmask_b32_e32 v18, v21, v24, vcc
	v_lshlrev_b32_e32 v21, 24, v15
	v_bfrev_b32_e32 v23, 60
	v_lshlrev_b32_e32 v18, 20, v18
	v_and_b32_e32 v21, 0x80000000, v21
	v_lshl_add_u32 v14, v14, 23, v23
	v_or3_b32 v21, v21, v14, v18
.LBB546_429:
	s_or_b64 exec, exec, s[12:13]
.LBB546_430:
	s_or_b64 exec, exec, s[10:11]
.LBB546_431:
	s_or_b64 exec, exec, s[8:9]
	v_lshrrev_b16_e32 v14, 8, v15
	v_cmp_ne_u16_e32 vcc, 0, v14
	v_mov_b32_e32 v18, 0
	v_mov_b32_e32 v24, 0
	s_and_saveexec_b64 s[8:9], vcc
	s_cbranch_execz .LBB546_437
; %bb.432:
	s_movk_i32 s7, 0x80
	v_cmp_ne_u16_e32 vcc, s7, v14
	v_bfrev_b32_e32 v24, 1
	s_and_saveexec_b64 s[10:11], vcc
	s_cbranch_execz .LBB546_436
; %bb.433:
	s_movk_i32 s7, 0x7f
	v_and_b32_e32 v23, 0x7f, v14
	v_cmp_ne_u32_e32 vcc, s7, v23
	v_mov_b32_e32 v24, 0x7f800001
	s_and_saveexec_b64 s[12:13], vcc
	s_cbranch_execz .LBB546_435
; %bb.434:
	v_and_b32_e32 v28, 7, v14
	v_ffbh_u32_e32 v24, v28
	v_min_u32_e32 v30, 32, v24
	v_subrev_u32_e32 v24, 28, v30
	v_lshlrev_b64 v[24:25], v24, v[14:15]
	v_lshrrev_b32_e32 v29, 3, v23
	v_sub_u32_e32 v14, 29, v30
	v_and_b32_e32 v24, 7, v24
	v_cmp_gt_u32_e32 vcc, 8, v23
	v_cndmask_b32_e32 v14, v29, v14, vcc
	v_cndmask_b32_e32 v23, v28, v24, vcc
	v_lshlrev_b32_e32 v24, 16, v15
	v_bfrev_b32_e32 v25, 60
	v_lshlrev_b32_e32 v23, 20, v23
	v_and_b32_e32 v24, 0x80000000, v24
	v_lshl_add_u32 v14, v14, 23, v25
	v_or3_b32 v24, v24, v14, v23
.LBB546_435:
	s_or_b64 exec, exec, s[12:13]
.LBB546_436:
	s_or_b64 exec, exec, s[10:11]
.LBB546_437:
	s_or_b64 exec, exec, s[8:9]
	s_movk_i32 s7, 0xff
	v_and_b32_sdwa v23, v15, s7 dst_sel:DWORD dst_unused:UNUSED_PAD src0_sel:WORD_1 src1_sel:DWORD
	v_lshrrev_b32_e32 v14, 16, v15
	v_cmp_ne_u16_e32 vcc, 0, v23
	s_and_saveexec_b64 s[8:9], vcc
	s_cbranch_execz .LBB546_443
; %bb.438:
	s_movk_i32 s7, 0x80
	v_cmp_ne_u16_e32 vcc, s7, v23
	v_bfrev_b32_e32 v18, 1
	s_and_saveexec_b64 s[10:11], vcc
	s_cbranch_execz .LBB546_442
; %bb.439:
	v_bfe_u32 v23, v15, 16, 7
	s_movk_i32 s7, 0x7f
	v_cmp_ne_u32_e32 vcc, s7, v23
	v_mov_b32_e32 v18, 0x7f800001
	s_and_saveexec_b64 s[12:13], vcc
	s_cbranch_execz .LBB546_441
; %bb.440:
	v_and_b32_e32 v18, 7, v14
	v_ffbh_u32_e32 v28, v18
	v_min_u32_e32 v30, 32, v28
	v_subrev_u32_e32 v28, 28, v30
	v_lshlrev_b64 v[28:29], v28, v[14:15]
	v_lshrrev_b32_e32 v25, 3, v23
	v_sub_u32_e32 v14, 29, v30
	v_and_b32_e32 v28, 7, v28
	v_cmp_gt_u32_e32 vcc, 8, v23
	v_mov_b32_e32 v23, 24
	v_cndmask_b32_e32 v14, v25, v14, vcc
	v_cndmask_b32_e32 v18, v18, v28, vcc
	v_lshlrev_b32_sdwa v23, v23, v15 dst_sel:DWORD dst_unused:UNUSED_PAD src0_sel:DWORD src1_sel:WORD_1
	v_bfrev_b32_e32 v25, 60
	v_lshlrev_b32_e32 v18, 20, v18
	v_and_b32_e32 v23, 0x80000000, v23
	v_lshl_add_u32 v14, v14, 23, v25
	v_or3_b32 v18, v23, v14, v18
.LBB546_441:
	s_or_b64 exec, exec, s[12:13]
.LBB546_442:
	s_or_b64 exec, exec, s[10:11]
.LBB546_443:
	s_or_b64 exec, exec, s[8:9]
	s_mov_b32 s7, 0xffffff
	v_cmp_lt_u32_e32 vcc, s7, v15
	v_mov_b32_e32 v23, 0
	v_mov_b32_e32 v25, 0
	s_and_saveexec_b64 s[8:9], vcc
	s_cbranch_execz .LBB546_449
; %bb.444:
	v_lshrrev_b32_e32 v14, 24, v15
	s_movk_i32 s7, 0x80
	v_cmp_ne_u32_e32 vcc, s7, v14
	v_bfrev_b32_e32 v25, 1
	s_and_saveexec_b64 s[10:11], vcc
	s_cbranch_execz .LBB546_448
; %bb.445:
	v_bfe_u32 v15, v15, 24, 7
	s_movk_i32 s7, 0x7f
	v_cmp_ne_u32_e32 vcc, s7, v15
	v_mov_b32_e32 v25, 0x7f800001
	s_and_saveexec_b64 s[12:13], vcc
	s_cbranch_execz .LBB546_447
; %bb.446:
	v_and_b32_e32 v25, 7, v14
	v_ffbh_u32_e32 v28, v25
	v_min_u32_e32 v31, 32, v28
	v_subrev_u32_e32 v28, 28, v31
	v_lshlrev_b64 v[28:29], v28, v[14:15]
	v_lshrrev_b32_e32 v30, 3, v15
	v_sub_u32_e32 v29, 29, v31
	v_and_b32_e32 v28, 7, v28
	v_cmp_gt_u32_e32 vcc, 8, v15
	v_cndmask_b32_e32 v15, v30, v29, vcc
	v_cndmask_b32_e32 v25, v25, v28, vcc
	v_lshlrev_b32_e32 v14, 24, v14
	v_bfrev_b32_e32 v28, 60
	v_lshlrev_b32_e32 v25, 20, v25
	v_and_b32_e32 v14, 0x80000000, v14
	v_lshl_add_u32 v15, v15, 23, v28
	v_or3_b32 v25, v14, v15, v25
.LBB546_447:
	s_or_b64 exec, exec, s[12:13]
.LBB546_448:
	s_or_b64 exec, exec, s[10:11]
.LBB546_449:
	s_or_b64 exec, exec, s[8:9]
	v_cvt_pkrtz_f16_f32 v15, v19, v22
	v_lshl_or_b32 v22, v1, 9, v27
	v_cvt_pkrtz_f16_f32 v14, v32, v20
	ds_read_b128 v[28:31], v22
	v_cmp_ne_u16_sdwa s[10:11], v16, v23 src0_sel:BYTE_0 src1_sel:DWORD
	s_waitcnt lgkmcnt(0)
	v_mfma_f32_16x16x16f16 v[32:35], v[14:15], v[28:29], 0
	v_cvt_pkrtz_f16_f32 v14, v21, v24
	v_cvt_pkrtz_f16_f32 v15, v18, v25
	s_nop 1
	v_mfma_f32_16x16x16f16 v[18:21], v[14:15], v[30:31], v[32:35]
	s_and_saveexec_b64 s[8:9], s[10:11]
	s_cbranch_execz .LBB546_455
; %bb.450:
	s_movk_i32 s7, 0x80
	v_cmp_ne_u16_sdwa s[12:13], v16, s7 src0_sel:BYTE_0 src1_sel:DWORD
	v_bfrev_b32_e32 v23, 1
	s_and_saveexec_b64 s[10:11], s[12:13]
	s_cbranch_execz .LBB546_454
; %bb.451:
	s_movk_i32 s7, 0x7f
	v_and_b32_e32 v14, 0x7f, v16
	v_cmp_ne_u32_e32 vcc, s7, v14
	v_mov_b32_e32 v23, 0x7f800001
	s_and_saveexec_b64 s[12:13], vcc
	s_cbranch_execz .LBB546_453
; %bb.452:
	v_and_b32_e32 v15, 7, v16
	v_ffbh_u32_e32 v24, v15
	v_min_u32_e32 v27, 32, v24
	v_subrev_u32_e32 v24, 28, v27
	v_lshlrev_b64 v[24:25], v24, v[16:17]
	v_lshrrev_b32_e32 v23, 3, v14
	v_sub_u32_e32 v25, 29, v27
	v_and_b32_e32 v24, 7, v24
	v_cmp_gt_u32_e32 vcc, 8, v14
	v_cndmask_b32_e32 v14, v23, v25, vcc
	v_cndmask_b32_e32 v15, v15, v24, vcc
	v_lshlrev_b32_e32 v23, 24, v16
	v_bfrev_b32_e32 v24, 60
	v_lshlrev_b32_e32 v15, 20, v15
	v_and_b32_e32 v23, 0x80000000, v23
	v_lshl_add_u32 v14, v14, 23, v24
	v_or3_b32 v23, v23, v14, v15
.LBB546_453:
	s_or_b64 exec, exec, s[12:13]
.LBB546_454:
	s_or_b64 exec, exec, s[10:11]
.LBB546_455:
	s_or_b64 exec, exec, s[8:9]
	v_lshrrev_b16_e32 v14, 8, v16
	v_cmp_ne_u16_e32 vcc, 0, v14
	v_mov_b32_e32 v15, 0
	v_mov_b32_e32 v25, 0
	s_and_saveexec_b64 s[8:9], vcc
	s_cbranch_execz .LBB546_461
; %bb.456:
	s_movk_i32 s7, 0x80
	v_cmp_ne_u16_e32 vcc, s7, v14
	v_bfrev_b32_e32 v25, 1
	s_and_saveexec_b64 s[10:11], vcc
	s_cbranch_execz .LBB546_460
; %bb.457:
	s_movk_i32 s7, 0x7f
	v_and_b32_e32 v24, 0x7f, v14
	v_cmp_ne_u32_e32 vcc, s7, v24
	v_mov_b32_e32 v25, 0x7f800001
	s_and_saveexec_b64 s[12:13], vcc
	s_cbranch_execz .LBB546_459
; %bb.458:
	v_and_b32_e32 v25, 7, v14
	v_ffbh_u32_e32 v28, v25
	v_min_u32_e32 v30, 32, v28
	v_subrev_u32_e32 v28, 28, v30
	v_lshlrev_b64 v[28:29], v28, v[14:15]
	v_lshrrev_b32_e32 v27, 3, v24
	v_sub_u32_e32 v14, 29, v30
	v_and_b32_e32 v28, 7, v28
	v_cmp_gt_u32_e32 vcc, 8, v24
	v_cndmask_b32_e32 v14, v27, v14, vcc
	v_cndmask_b32_e32 v24, v25, v28, vcc
	v_lshlrev_b32_e32 v25, 16, v16
	v_bfrev_b32_e32 v27, 60
	v_lshlrev_b32_e32 v24, 20, v24
	v_and_b32_e32 v25, 0x80000000, v25
	v_lshl_add_u32 v14, v14, 23, v27
	v_or3_b32 v25, v25, v14, v24
.LBB546_459:
	s_or_b64 exec, exec, s[12:13]
.LBB546_460:
	s_or_b64 exec, exec, s[10:11]
.LBB546_461:
	s_or_b64 exec, exec, s[8:9]
	s_movk_i32 s7, 0xff
	v_and_b32_sdwa v24, v16, s7 dst_sel:DWORD dst_unused:UNUSED_PAD src0_sel:WORD_1 src1_sel:DWORD
	v_lshrrev_b32_e32 v14, 16, v16
	v_cmp_ne_u16_e32 vcc, 0, v24
	s_and_saveexec_b64 s[8:9], vcc
	s_cbranch_execz .LBB546_467
; %bb.462:
	s_movk_i32 s7, 0x80
	v_cmp_ne_u16_e32 vcc, s7, v24
	v_bfrev_b32_e32 v15, 1
	s_and_saveexec_b64 s[10:11], vcc
	s_cbranch_execz .LBB546_466
; %bb.463:
	v_bfe_u32 v24, v16, 16, 7
	s_movk_i32 s7, 0x7f
	v_cmp_ne_u32_e32 vcc, s7, v24
	v_mov_b32_e32 v15, 0x7f800001
	s_and_saveexec_b64 s[12:13], vcc
	s_cbranch_execz .LBB546_465
; %bb.464:
	v_and_b32_e32 v27, 7, v14
	v_ffbh_u32_e32 v15, v27
	v_min_u32_e32 v29, 32, v15
	v_subrev_u32_e32 v15, 28, v29
	v_lshlrev_b64 v[14:15], v15, v[14:15]
	v_lshrrev_b32_e32 v28, 3, v24
	v_sub_u32_e32 v15, 29, v29
	v_and_b32_e32 v14, 7, v14
	v_cmp_gt_u32_e32 vcc, 8, v24
	v_mov_b32_e32 v24, 24
	v_cndmask_b32_e32 v15, v28, v15, vcc
	v_cndmask_b32_e32 v14, v27, v14, vcc
	v_lshlrev_b32_sdwa v24, v24, v16 dst_sel:DWORD dst_unused:UNUSED_PAD src0_sel:DWORD src1_sel:WORD_1
	v_bfrev_b32_e32 v27, 60
	v_lshlrev_b32_e32 v14, 20, v14
	v_and_b32_e32 v24, 0x80000000, v24
	v_lshl_add_u32 v15, v15, 23, v27
	v_or3_b32 v15, v24, v15, v14
.LBB546_465:
	s_or_b64 exec, exec, s[12:13]
.LBB546_466:
	s_or_b64 exec, exec, s[10:11]
.LBB546_467:
	s_or_b64 exec, exec, s[8:9]
	s_mov_b32 s7, 0xffffff
	v_cmp_lt_u32_e32 vcc, s7, v16
	v_mov_b32_e32 v27, 0
	v_mov_b32_e32 v28, 0
	s_and_saveexec_b64 s[8:9], vcc
	s_cbranch_execz .LBB546_473
; %bb.468:
	v_lshrrev_b32_e32 v14, 24, v16
	s_movk_i32 s7, 0x80
	v_cmp_ne_u32_e32 vcc, s7, v14
	v_bfrev_b32_e32 v28, 1
	s_and_saveexec_b64 s[10:11], vcc
	s_cbranch_execz .LBB546_472
; %bb.469:
	v_bfe_u32 v16, v16, 24, 7
	s_movk_i32 s7, 0x7f
	v_cmp_ne_u32_e32 vcc, s7, v16
	v_mov_b32_e32 v28, 0x7f800001
	s_and_saveexec_b64 s[12:13], vcc
	s_cbranch_execz .LBB546_471
; %bb.470:
	v_and_b32_e32 v24, 7, v14
	v_ffbh_u32_e32 v28, v24
	v_min_u32_e32 v31, 32, v28
	v_subrev_u32_e32 v28, 28, v31
	v_lshlrev_b64 v[28:29], v28, v[14:15]
	v_lshrrev_b32_e32 v30, 3, v16
	v_sub_u32_e32 v29, 29, v31
	v_and_b32_e32 v28, 7, v28
	v_cmp_gt_u32_e32 vcc, 8, v16
	v_cndmask_b32_e32 v16, v30, v29, vcc
	v_cndmask_b32_e32 v24, v24, v28, vcc
	v_lshlrev_b32_e32 v14, 24, v14
	v_bfrev_b32_e32 v28, 60
	v_lshlrev_b32_e32 v24, 20, v24
	v_and_b32_e32 v14, 0x80000000, v14
	v_lshl_add_u32 v16, v16, 23, v28
	v_or3_b32 v28, v14, v16, v24
.LBB546_471:
	s_or_b64 exec, exec, s[12:13]
.LBB546_472:
	s_or_b64 exec, exec, s[10:11]
.LBB546_473:
	s_or_b64 exec, exec, s[8:9]
	v_cmp_ne_u16_sdwa s[10:11], v17, v27 src0_sel:BYTE_0 src1_sel:DWORD
	s_and_saveexec_b64 s[8:9], s[10:11]
	s_cbranch_execz .LBB546_479
; %bb.474:
	s_movk_i32 s7, 0x80
	v_cmp_ne_u16_sdwa s[12:13], v17, s7 src0_sel:BYTE_0 src1_sel:DWORD
	v_bfrev_b32_e32 v27, 1
	s_and_saveexec_b64 s[10:11], s[12:13]
	s_cbranch_execz .LBB546_478
; %bb.475:
	s_movk_i32 s7, 0x7f
	v_and_b32_e32 v14, 0x7f, v17
	v_cmp_ne_u32_e32 vcc, s7, v14
	v_mov_b32_e32 v27, 0x7f800001
	s_and_saveexec_b64 s[12:13], vcc
	s_cbranch_execz .LBB546_477
; %bb.476:
	v_and_b32_e32 v24, 7, v17
	v_ffbh_u32_e32 v29, v24
	v_min_u32_e32 v29, 32, v29
	v_mov_b32_e32 v16, v17
	v_subrev_u32_e32 v30, 28, v29
	v_lshlrev_b64 v[30:31], v30, v[16:17]
	v_lshrrev_b32_e32 v27, 3, v14
	v_sub_u32_e32 v16, 29, v29
	v_and_b32_e32 v29, 7, v30
	v_cmp_gt_u32_e32 vcc, 8, v14
	v_cndmask_b32_e32 v14, v27, v16, vcc
	v_cndmask_b32_e32 v16, v24, v29, vcc
	v_lshlrev_b32_e32 v24, 24, v17
	v_bfrev_b32_e32 v27, 60
	v_lshlrev_b32_e32 v16, 20, v16
	v_and_b32_e32 v24, 0x80000000, v24
	v_lshl_add_u32 v14, v14, 23, v27
	v_or3_b32 v27, v24, v14, v16
.LBB546_477:
	s_or_b64 exec, exec, s[12:13]
.LBB546_478:
	s_or_b64 exec, exec, s[10:11]
.LBB546_479:
	s_or_b64 exec, exec, s[8:9]
	v_lshrrev_b16_e32 v14, 8, v17
	v_cmp_ne_u16_e32 vcc, 0, v14
	v_mov_b32_e32 v16, 0
	v_mov_b32_e32 v29, 0
	s_and_saveexec_b64 s[8:9], vcc
	s_cbranch_execz .LBB546_485
; %bb.480:
	s_movk_i32 s7, 0x80
	v_cmp_ne_u16_e32 vcc, s7, v14
	v_bfrev_b32_e32 v29, 1
	s_and_saveexec_b64 s[10:11], vcc
	s_cbranch_execz .LBB546_484
; %bb.481:
	s_movk_i32 s7, 0x7f
	v_and_b32_e32 v24, 0x7f, v14
	v_cmp_ne_u32_e32 vcc, s7, v24
	v_mov_b32_e32 v29, 0x7f800001
	s_and_saveexec_b64 s[12:13], vcc
	s_cbranch_execz .LBB546_483
; %bb.482:
	v_and_b32_e32 v29, 7, v14
	v_ffbh_u32_e32 v30, v29
	v_min_u32_e32 v33, 32, v30
	v_subrev_u32_e32 v30, 28, v33
	v_lshlrev_b64 v[30:31], v30, v[14:15]
	v_lshrrev_b32_e32 v32, 3, v24
	v_sub_u32_e32 v14, 29, v33
	v_and_b32_e32 v30, 7, v30
	v_cmp_gt_u32_e32 vcc, 8, v24
	v_cndmask_b32_e32 v14, v32, v14, vcc
	v_cndmask_b32_e32 v24, v29, v30, vcc
	v_lshlrev_b32_e32 v29, 16, v17
	v_bfrev_b32_e32 v30, 60
	v_lshlrev_b32_e32 v24, 20, v24
	v_and_b32_e32 v29, 0x80000000, v29
	v_lshl_add_u32 v14, v14, 23, v30
	v_or3_b32 v29, v29, v14, v24
.LBB546_483:
	s_or_b64 exec, exec, s[12:13]
.LBB546_484:
	s_or_b64 exec, exec, s[10:11]
.LBB546_485:
	s_or_b64 exec, exec, s[8:9]
	s_movk_i32 s7, 0xff
	v_and_b32_sdwa v24, v17, s7 dst_sel:DWORD dst_unused:UNUSED_PAD src0_sel:WORD_1 src1_sel:DWORD
	v_lshrrev_b32_e32 v14, 16, v17
	v_cmp_ne_u16_e32 vcc, 0, v24
	s_and_saveexec_b64 s[8:9], vcc
	s_cbranch_execz .LBB546_491
; %bb.486:
	s_movk_i32 s7, 0x80
	v_cmp_ne_u16_e32 vcc, s7, v24
	v_bfrev_b32_e32 v16, 1
	s_and_saveexec_b64 s[10:11], vcc
	s_cbranch_execz .LBB546_490
; %bb.487:
	v_bfe_u32 v24, v17, 16, 7
	s_movk_i32 s7, 0x7f
	v_cmp_ne_u32_e32 vcc, s7, v24
	v_mov_b32_e32 v16, 0x7f800001
	s_and_saveexec_b64 s[12:13], vcc
	s_cbranch_execz .LBB546_489
; %bb.488:
	v_and_b32_e32 v16, 7, v14
	v_ffbh_u32_e32 v30, v16
	v_min_u32_e32 v33, 32, v30
	v_subrev_u32_e32 v30, 28, v33
	v_lshlrev_b64 v[30:31], v30, v[14:15]
	v_lshrrev_b32_e32 v32, 3, v24
	v_sub_u32_e32 v14, 29, v33
	v_and_b32_e32 v30, 7, v30
	v_cmp_gt_u32_e32 vcc, 8, v24
	v_mov_b32_e32 v24, 24
	v_cndmask_b32_e32 v14, v32, v14, vcc
	v_cndmask_b32_e32 v16, v16, v30, vcc
	v_lshlrev_b32_sdwa v24, v24, v17 dst_sel:DWORD dst_unused:UNUSED_PAD src0_sel:DWORD src1_sel:WORD_1
	v_bfrev_b32_e32 v30, 60
	v_lshlrev_b32_e32 v16, 20, v16
	v_and_b32_e32 v24, 0x80000000, v24
	v_lshl_add_u32 v14, v14, 23, v30
	v_or3_b32 v16, v24, v14, v16
.LBB546_489:
	s_or_b64 exec, exec, s[12:13]
.LBB546_490:
	s_or_b64 exec, exec, s[10:11]
.LBB546_491:
	s_or_b64 exec, exec, s[8:9]
	s_mov_b32 s7, 0xffffff
	v_cmp_lt_u32_e32 vcc, s7, v17
	v_mov_b32_e32 v24, 0
	v_mov_b32_e32 v30, 0
	s_and_saveexec_b64 s[8:9], vcc
	s_cbranch_execz .LBB546_497
; %bb.492:
	v_lshrrev_b32_e32 v14, 24, v17
	s_movk_i32 s7, 0x80
	v_cmp_ne_u32_e32 vcc, s7, v14
	v_bfrev_b32_e32 v30, 1
	s_and_saveexec_b64 s[10:11], vcc
	s_cbranch_execz .LBB546_496
; %bb.493:
	v_bfe_u32 v17, v17, 24, 7
	s_movk_i32 s7, 0x7f
	v_cmp_ne_u32_e32 vcc, s7, v17
	v_mov_b32_e32 v30, 0x7f800001
	s_and_saveexec_b64 s[12:13], vcc
	s_cbranch_execz .LBB546_495
; %bb.494:
	v_and_b32_e32 v32, 7, v14
	v_ffbh_u32_e32 v30, v32
	v_min_u32_e32 v34, 32, v30
	v_subrev_u32_e32 v30, 28, v34
	v_lshlrev_b64 v[30:31], v30, v[14:15]
	v_lshrrev_b32_e32 v33, 3, v17
	v_sub_u32_e32 v31, 29, v34
	v_and_b32_e32 v30, 7, v30
	v_cmp_gt_u32_e32 vcc, 8, v17
	v_cndmask_b32_e32 v17, v33, v31, vcc
	v_cndmask_b32_e32 v30, v32, v30, vcc
	v_lshlrev_b32_e32 v14, 24, v14
	v_bfrev_b32_e32 v31, 60
	v_lshlrev_b32_e32 v30, 20, v30
	v_and_b32_e32 v14, 0x80000000, v14
	v_lshl_add_u32 v17, v17, 23, v31
	v_or3_b32 v30, v14, v17, v30
.LBB546_495:
	s_or_b64 exec, exec, s[12:13]
.LBB546_496:
	s_or_b64 exec, exec, s[10:11]
.LBB546_497:
	s_or_b64 exec, exec, s[8:9]
	v_cvt_pkrtz_f16_f32 v14, v23, v25
	v_cvt_pkrtz_f16_f32 v15, v15, v28
	ds_read_b128 v[32:35], v22 offset:16
	s_waitcnt vmcnt(2)
	v_cmp_ne_u16_sdwa s[10:11], v10, v24 src0_sel:BYTE_0 src1_sel:DWORD
	s_waitcnt lgkmcnt(0)
	v_mfma_f32_16x16x16f16 v[18:21], v[14:15], v[32:33], v[18:21]
	v_cvt_pkrtz_f16_f32 v14, v27, v29
	v_cvt_pkrtz_f16_f32 v15, v16, v30
	s_nop 1
	v_mfma_f32_16x16x16f16 v[14:17], v[14:15], v[34:35], v[18:21]
	s_and_saveexec_b64 s[8:9], s[10:11]
	s_cbranch_execz .LBB546_503
; %bb.498:
	s_movk_i32 s7, 0x80
	v_cmp_ne_u16_sdwa s[12:13], v10, s7 src0_sel:BYTE_0 src1_sel:DWORD
	v_bfrev_b32_e32 v24, 1
	s_and_saveexec_b64 s[10:11], s[12:13]
	s_cbranch_execz .LBB546_502
; %bb.499:
	s_movk_i32 s7, 0x7f
	v_and_b32_e32 v18, 0x7f, v10
	v_cmp_ne_u32_e32 vcc, s7, v18
	v_mov_b32_e32 v24, 0x7f800001
	s_and_saveexec_b64 s[12:13], vcc
	s_cbranch_execz .LBB546_501
; %bb.500:
	v_and_b32_e32 v19, 7, v10
	v_ffbh_u32_e32 v20, v19
	v_min_u32_e32 v24, 32, v20
	v_subrev_u32_e32 v20, 28, v24
	v_lshlrev_b64 v[20:21], v20, v[10:11]
	v_lshrrev_b32_e32 v23, 3, v18
	v_sub_u32_e32 v21, 29, v24
	v_and_b32_e32 v20, 7, v20
	v_cmp_gt_u32_e32 vcc, 8, v18
	v_cndmask_b32_e32 v18, v23, v21, vcc
	v_cndmask_b32_e32 v19, v19, v20, vcc
	v_lshlrev_b32_e32 v20, 24, v10
	v_bfrev_b32_e32 v21, 60
	v_lshlrev_b32_e32 v19, 20, v19
	v_and_b32_e32 v20, 0x80000000, v20
	v_lshl_add_u32 v18, v18, 23, v21
	v_or3_b32 v24, v20, v18, v19
.LBB546_501:
	s_or_b64 exec, exec, s[12:13]
.LBB546_502:
	s_or_b64 exec, exec, s[10:11]
.LBB546_503:
	s_or_b64 exec, exec, s[8:9]
	s_nop 3
	v_lshrrev_b16_e32 v18, 8, v10
	v_cmp_ne_u16_e32 vcc, 0, v18
	v_mov_b32_e32 v19, 0
	v_mov_b32_e32 v20, 0
	s_and_saveexec_b64 s[8:9], vcc
	s_cbranch_execz .LBB546_509
; %bb.504:
	s_movk_i32 s7, 0x80
	v_cmp_ne_u16_e32 vcc, s7, v18
	v_bfrev_b32_e32 v20, 1
	s_and_saveexec_b64 s[10:11], vcc
	s_cbranch_execz .LBB546_508
; %bb.505:
	s_movk_i32 s7, 0x7f
	v_and_b32_e32 v21, 0x7f, v18
	v_cmp_ne_u32_e32 vcc, s7, v21
	v_mov_b32_e32 v20, 0x7f800001
	s_and_saveexec_b64 s[12:13], vcc
	s_cbranch_execz .LBB546_507
; %bb.506:
	v_and_b32_e32 v20, 7, v18
	v_ffbh_u32_e32 v25, v20
	v_min_u32_e32 v25, 32, v25
	v_subrev_u32_e32 v27, 28, v25
	v_lshlrev_b64 v[28:29], v27, v[18:19]
	v_lshrrev_b32_e32 v23, 3, v21
	v_sub_u32_e32 v18, 29, v25
	v_and_b32_e32 v25, 7, v28
	v_cmp_gt_u32_e32 vcc, 8, v21
	v_cndmask_b32_e32 v18, v23, v18, vcc
	v_cndmask_b32_e32 v20, v20, v25, vcc
	v_lshlrev_b32_e32 v21, 16, v10
	v_bfrev_b32_e32 v23, 60
	v_lshlrev_b32_e32 v20, 20, v20
	v_and_b32_e32 v21, 0x80000000, v21
	v_lshl_add_u32 v18, v18, 23, v23
	v_or3_b32 v20, v21, v18, v20
.LBB546_507:
	s_or_b64 exec, exec, s[12:13]
.LBB546_508:
	s_or_b64 exec, exec, s[10:11]
.LBB546_509:
	s_or_b64 exec, exec, s[8:9]
	s_movk_i32 s7, 0xff
	v_and_b32_sdwa v21, v10, s7 dst_sel:DWORD dst_unused:UNUSED_PAD src0_sel:WORD_1 src1_sel:DWORD
	v_lshrrev_b32_e32 v18, 16, v10
	v_cmp_ne_u16_e32 vcc, 0, v21
	s_and_saveexec_b64 s[8:9], vcc
	s_cbranch_execz .LBB546_515
; %bb.510:
	s_movk_i32 s7, 0x80
	v_cmp_ne_u16_e32 vcc, s7, v21
	v_bfrev_b32_e32 v19, 1
	s_and_saveexec_b64 s[10:11], vcc
	s_cbranch_execz .LBB546_514
; %bb.511:
	v_bfe_u32 v21, v10, 16, 7
	s_movk_i32 s7, 0x7f
	v_cmp_ne_u32_e32 vcc, s7, v21
	v_mov_b32_e32 v19, 0x7f800001
	s_and_saveexec_b64 s[12:13], vcc
	s_cbranch_execz .LBB546_513
; %bb.512:
	v_and_b32_e32 v23, 7, v18
	v_ffbh_u32_e32 v19, v23
	v_min_u32_e32 v27, 32, v19
	v_subrev_u32_e32 v19, 28, v27
	v_lshlrev_b64 v[18:19], v19, v[18:19]
	v_lshrrev_b32_e32 v25, 3, v21
	v_sub_u32_e32 v19, 29, v27
	v_and_b32_e32 v18, 7, v18
	v_cmp_gt_u32_e32 vcc, 8, v21
	v_mov_b32_e32 v21, 24
	v_cndmask_b32_e32 v19, v25, v19, vcc
	v_cndmask_b32_e32 v18, v23, v18, vcc
	v_lshlrev_b32_sdwa v21, v21, v10 dst_sel:DWORD dst_unused:UNUSED_PAD src0_sel:DWORD src1_sel:WORD_1
	v_bfrev_b32_e32 v23, 60
	v_lshlrev_b32_e32 v18, 20, v18
	v_and_b32_e32 v21, 0x80000000, v21
	v_lshl_add_u32 v19, v19, 23, v23
	v_or3_b32 v19, v21, v19, v18
.LBB546_513:
	s_or_b64 exec, exec, s[12:13]
.LBB546_514:
	s_or_b64 exec, exec, s[10:11]
.LBB546_515:
	s_or_b64 exec, exec, s[8:9]
	s_mov_b32 s7, 0xffffff
	v_cmp_lt_u32_e32 vcc, s7, v10
	v_mov_b32_e32 v21, 0
	v_mov_b32_e32 v23, 0
	s_and_saveexec_b64 s[8:9], vcc
	s_cbranch_execz .LBB546_521
; %bb.516:
	v_lshrrev_b32_e32 v18, 24, v10
	s_movk_i32 s7, 0x80
	v_cmp_ne_u32_e32 vcc, s7, v18
	v_bfrev_b32_e32 v23, 1
	s_and_saveexec_b64 s[10:11], vcc
	s_cbranch_execz .LBB546_520
; %bb.517:
	v_bfe_u32 v10, v10, 24, 7
	s_movk_i32 s7, 0x7f
	v_cmp_ne_u32_e32 vcc, s7, v10
	v_mov_b32_e32 v23, 0x7f800001
	s_and_saveexec_b64 s[12:13], vcc
	s_cbranch_execz .LBB546_519
; %bb.518:
	v_and_b32_e32 v23, 7, v18
	v_ffbh_u32_e32 v27, v23
	v_min_u32_e32 v27, 32, v27
	v_subrev_u32_e32 v28, 28, v27
	v_lshlrev_b64 v[28:29], v28, v[18:19]
	v_lshrrev_b32_e32 v25, 3, v10
	v_sub_u32_e32 v27, 29, v27
	v_and_b32_e32 v28, 7, v28
	v_cmp_gt_u32_e32 vcc, 8, v10
	v_cndmask_b32_e32 v10, v25, v27, vcc
	v_cndmask_b32_e32 v23, v23, v28, vcc
	v_lshlrev_b32_e32 v18, 24, v18
	v_bfrev_b32_e32 v25, 60
	v_lshlrev_b32_e32 v23, 20, v23
	v_and_b32_e32 v18, 0x80000000, v18
	v_lshl_add_u32 v10, v10, 23, v25
	v_or3_b32 v23, v18, v10, v23
.LBB546_519:
	s_or_b64 exec, exec, s[12:13]
.LBB546_520:
	s_or_b64 exec, exec, s[10:11]
.LBB546_521:
	s_or_b64 exec, exec, s[8:9]
	v_cmp_ne_u16_sdwa s[10:11], v11, v21 src0_sel:BYTE_0 src1_sel:DWORD
	s_and_saveexec_b64 s[8:9], s[10:11]
	s_cbranch_execz .LBB546_527
; %bb.522:
	s_movk_i32 s7, 0x80
	v_cmp_ne_u16_sdwa s[12:13], v11, s7 src0_sel:BYTE_0 src1_sel:DWORD
	v_bfrev_b32_e32 v21, 1
	s_and_saveexec_b64 s[10:11], s[12:13]
	s_cbranch_execz .LBB546_526
; %bb.523:
	s_movk_i32 s7, 0x7f
	v_and_b32_e32 v10, 0x7f, v11
	v_cmp_ne_u32_e32 vcc, s7, v10
	v_mov_b32_e32 v21, 0x7f800001
	s_and_saveexec_b64 s[12:13], vcc
	s_cbranch_execz .LBB546_525
; %bb.524:
	v_and_b32_e32 v21, 7, v11
	v_ffbh_u32_e32 v27, v21
	v_min_u32_e32 v27, 32, v27
	v_mov_b32_e32 v18, v11
	v_subrev_u32_e32 v28, 28, v27
	v_lshlrev_b64 v[28:29], v28, v[18:19]
	v_lshrrev_b32_e32 v25, 3, v10
	v_sub_u32_e32 v18, 29, v27
	v_and_b32_e32 v27, 7, v28
	v_cmp_gt_u32_e32 vcc, 8, v10
	v_cndmask_b32_e32 v10, v25, v18, vcc
	v_cndmask_b32_e32 v18, v21, v27, vcc
	v_lshlrev_b32_e32 v21, 24, v11
	v_bfrev_b32_e32 v25, 60
	v_lshlrev_b32_e32 v18, 20, v18
	v_and_b32_e32 v21, 0x80000000, v21
	v_lshl_add_u32 v10, v10, 23, v25
	v_or3_b32 v21, v21, v10, v18
.LBB546_525:
	s_or_b64 exec, exec, s[12:13]
.LBB546_526:
	s_or_b64 exec, exec, s[10:11]
.LBB546_527:
	s_or_b64 exec, exec, s[8:9]
	v_lshrrev_b16_e32 v10, 8, v11
	v_cmp_ne_u16_e32 vcc, 0, v10
	v_mov_b32_e32 v25, 0
	v_mov_b32_e32 v27, 0
	s_and_saveexec_b64 s[8:9], vcc
	s_cbranch_execz .LBB546_533
; %bb.528:
	s_movk_i32 s7, 0x80
	v_cmp_ne_u16_e32 vcc, s7, v10
	v_bfrev_b32_e32 v27, 1
	s_and_saveexec_b64 s[10:11], vcc
	s_cbranch_execz .LBB546_532
; %bb.529:
	s_movk_i32 s7, 0x7f
	v_and_b32_e32 v18, 0x7f, v10
	v_cmp_ne_u32_e32 vcc, s7, v18
	v_mov_b32_e32 v27, 0x7f800001
	s_and_saveexec_b64 s[12:13], vcc
	s_cbranch_execz .LBB546_531
; %bb.530:
	v_and_b32_e32 v27, 7, v10
	v_ffbh_u32_e32 v28, v27
	v_min_u32_e32 v31, 32, v28
	v_subrev_u32_e32 v28, 28, v31
	v_lshlrev_b64 v[28:29], v28, v[10:11]
	v_lshrrev_b32_e32 v30, 3, v18
	v_sub_u32_e32 v10, 29, v31
	v_and_b32_e32 v28, 7, v28
	v_cmp_gt_u32_e32 vcc, 8, v18
	v_cndmask_b32_e32 v10, v30, v10, vcc
	v_cndmask_b32_e32 v18, v27, v28, vcc
	v_lshlrev_b32_e32 v27, 16, v11
	v_bfrev_b32_e32 v28, 60
	v_lshlrev_b32_e32 v18, 20, v18
	v_and_b32_e32 v27, 0x80000000, v27
	v_lshl_add_u32 v10, v10, 23, v28
	v_or3_b32 v27, v27, v10, v18
.LBB546_531:
	s_or_b64 exec, exec, s[12:13]
.LBB546_532:
	s_or_b64 exec, exec, s[10:11]
.LBB546_533:
	s_or_b64 exec, exec, s[8:9]
	s_movk_i32 s7, 0xff
	v_and_b32_sdwa v18, v11, s7 dst_sel:DWORD dst_unused:UNUSED_PAD src0_sel:WORD_1 src1_sel:DWORD
	v_lshrrev_b32_e32 v10, 16, v11
	v_cmp_ne_u16_e32 vcc, 0, v18
	s_and_saveexec_b64 s[8:9], vcc
	s_cbranch_execz .LBB546_539
; %bb.534:
	s_movk_i32 s7, 0x80
	v_cmp_ne_u16_e32 vcc, s7, v18
	v_bfrev_b32_e32 v25, 1
	s_and_saveexec_b64 s[10:11], vcc
	s_cbranch_execz .LBB546_538
; %bb.535:
	v_bfe_u32 v18, v11, 16, 7
	s_movk_i32 s7, 0x7f
	v_cmp_ne_u32_e32 vcc, s7, v18
	v_mov_b32_e32 v25, 0x7f800001
	s_and_saveexec_b64 s[12:13], vcc
	s_cbranch_execz .LBB546_537
; %bb.536:
	v_and_b32_e32 v25, 7, v10
	v_ffbh_u32_e32 v28, v25
	v_min_u32_e32 v31, 32, v28
	v_subrev_u32_e32 v28, 28, v31
	v_lshlrev_b64 v[28:29], v28, v[10:11]
	v_and_b32_e32 v28, 7, v28
	v_cmp_gt_u32_e32 vcc, 8, v18
	v_lshrrev_b32_e32 v30, 3, v18
	v_sub_u32_e32 v10, 29, v31
	v_cndmask_b32_e32 v18, v25, v28, vcc
	v_mov_b32_e32 v25, 24
	v_cndmask_b32_e32 v10, v30, v10, vcc
	v_lshlrev_b32_sdwa v25, v25, v11 dst_sel:DWORD dst_unused:UNUSED_PAD src0_sel:DWORD src1_sel:WORD_1
	v_bfrev_b32_e32 v28, 60
	v_lshlrev_b32_e32 v18, 20, v18
	v_and_b32_e32 v25, 0x80000000, v25
	v_lshl_add_u32 v10, v10, 23, v28
	v_or3_b32 v25, v25, v10, v18
.LBB546_537:
	s_or_b64 exec, exec, s[12:13]
.LBB546_538:
	s_or_b64 exec, exec, s[10:11]
.LBB546_539:
	s_or_b64 exec, exec, s[8:9]
	s_mov_b32 s7, 0xffffff
	v_cmp_lt_u32_e32 vcc, s7, v11
	v_mov_b32_e32 v18, 0
	v_mov_b32_e32 v28, 0
	s_and_saveexec_b64 s[8:9], vcc
	s_cbranch_execz .LBB546_545
; %bb.540:
	v_lshrrev_b32_e32 v10, 24, v11
	s_movk_i32 s7, 0x80
	v_cmp_ne_u32_e32 vcc, s7, v10
	v_bfrev_b32_e32 v28, 1
	s_and_saveexec_b64 s[10:11], vcc
	s_cbranch_execz .LBB546_544
; %bb.541:
	v_bfe_u32 v11, v11, 24, 7
	s_movk_i32 s7, 0x7f
	v_cmp_ne_u32_e32 vcc, s7, v11
	v_mov_b32_e32 v28, 0x7f800001
	s_and_saveexec_b64 s[12:13], vcc
	s_cbranch_execz .LBB546_543
; %bb.542:
	v_and_b32_e32 v30, 7, v10
	v_ffbh_u32_e32 v28, v30
	v_min_u32_e32 v32, 32, v28
	v_subrev_u32_e32 v28, 28, v32
	v_lshlrev_b64 v[28:29], v28, v[10:11]
	v_lshrrev_b32_e32 v31, 3, v11
	v_sub_u32_e32 v29, 29, v32
	v_and_b32_e32 v28, 7, v28
	v_cmp_gt_u32_e32 vcc, 8, v11
	v_cndmask_b32_e32 v11, v31, v29, vcc
	v_cndmask_b32_e32 v28, v30, v28, vcc
	v_lshlrev_b32_e32 v10, 24, v10
	v_bfrev_b32_e32 v29, 60
	v_lshlrev_b32_e32 v28, 20, v28
	v_and_b32_e32 v10, 0x80000000, v10
	v_lshl_add_u32 v11, v11, 23, v29
	v_or3_b32 v28, v10, v11, v28
.LBB546_543:
	s_or_b64 exec, exec, s[12:13]
.LBB546_544:
	s_or_b64 exec, exec, s[10:11]
.LBB546_545:
	s_or_b64 exec, exec, s[8:9]
	v_cvt_pkrtz_f16_f32 v10, v24, v20
	v_cvt_pkrtz_f16_f32 v11, v19, v23
	ds_read_b128 v[30:33], v22 offset:2048
	v_cmp_ne_u16_sdwa s[10:11], v12, v18 src0_sel:BYTE_0 src1_sel:DWORD
	s_waitcnt lgkmcnt(0)
	v_mfma_f32_16x16x16f16 v[14:17], v[10:11], v[30:31], v[14:17]
	v_cvt_pkrtz_f16_f32 v10, v21, v27
	v_cvt_pkrtz_f16_f32 v11, v25, v28
	s_nop 1
	v_mfma_f32_16x16x16f16 v[14:17], v[10:11], v[32:33], v[14:17]
	s_and_saveexec_b64 s[8:9], s[10:11]
	s_cbranch_execz .LBB546_551
; %bb.546:
	s_movk_i32 s7, 0x80
	v_cmp_ne_u16_sdwa s[12:13], v12, s7 src0_sel:BYTE_0 src1_sel:DWORD
	v_bfrev_b32_e32 v18, 1
	s_and_saveexec_b64 s[10:11], s[12:13]
	s_cbranch_execz .LBB546_550
; %bb.547:
	s_movk_i32 s7, 0x7f
	v_and_b32_e32 v10, 0x7f, v12
	v_cmp_ne_u32_e32 vcc, s7, v10
	v_mov_b32_e32 v18, 0x7f800001
	s_and_saveexec_b64 s[12:13], vcc
	s_cbranch_execz .LBB546_549
; %bb.548:
	v_and_b32_e32 v11, 7, v12
	v_ffbh_u32_e32 v18, v11
	v_min_u32_e32 v21, 32, v18
	v_subrev_u32_e32 v18, 28, v21
	v_lshlrev_b64 v[18:19], v18, v[12:13]
	v_lshrrev_b32_e32 v20, 3, v10
	v_sub_u32_e32 v19, 29, v21
	v_and_b32_e32 v18, 7, v18
	v_cmp_gt_u32_e32 vcc, 8, v10
	v_cndmask_b32_e32 v10, v20, v19, vcc
	v_cndmask_b32_e32 v11, v11, v18, vcc
	v_lshlrev_b32_e32 v18, 24, v12
	v_bfrev_b32_e32 v19, 60
	v_lshlrev_b32_e32 v11, 20, v11
	v_and_b32_e32 v18, 0x80000000, v18
	v_lshl_add_u32 v10, v10, 23, v19
	v_or3_b32 v18, v18, v10, v11
.LBB546_549:
	s_or_b64 exec, exec, s[12:13]
.LBB546_550:
	s_or_b64 exec, exec, s[10:11]
.LBB546_551:
	s_or_b64 exec, exec, s[8:9]
	v_lshrrev_b16_e32 v10, 8, v12
	v_cmp_ne_u16_e32 vcc, 0, v10
	v_mov_b32_e32 v11, 0
	v_mov_b32_e32 v20, 0
	s_and_saveexec_b64 s[8:9], vcc
	s_cbranch_execz .LBB546_557
; %bb.552:
	s_movk_i32 s7, 0x80
	v_cmp_ne_u16_e32 vcc, s7, v10
	v_bfrev_b32_e32 v20, 1
	s_and_saveexec_b64 s[10:11], vcc
	s_cbranch_execz .LBB546_556
; %bb.553:
	s_movk_i32 s7, 0x7f
	v_and_b32_e32 v19, 0x7f, v10
	v_cmp_ne_u32_e32 vcc, s7, v19
	v_mov_b32_e32 v20, 0x7f800001
	s_and_saveexec_b64 s[12:13], vcc
	s_cbranch_execz .LBB546_555
; %bb.554:
	v_and_b32_e32 v23, 7, v10
	v_ffbh_u32_e32 v20, v23
	v_min_u32_e32 v25, 32, v20
	v_subrev_u32_e32 v20, 28, v25
	v_lshlrev_b64 v[20:21], v20, v[10:11]
	v_lshrrev_b32_e32 v24, 3, v19
	v_sub_u32_e32 v10, 29, v25
	v_and_b32_e32 v20, 7, v20
	v_cmp_gt_u32_e32 vcc, 8, v19
	v_cndmask_b32_e32 v10, v24, v10, vcc
	v_cndmask_b32_e32 v19, v23, v20, vcc
	v_lshlrev_b32_e32 v20, 16, v12
	v_bfrev_b32_e32 v21, 60
	v_lshlrev_b32_e32 v19, 20, v19
	v_and_b32_e32 v20, 0x80000000, v20
	v_lshl_add_u32 v10, v10, 23, v21
	v_or3_b32 v20, v20, v10, v19
.LBB546_555:
	s_or_b64 exec, exec, s[12:13]
.LBB546_556:
	s_or_b64 exec, exec, s[10:11]
.LBB546_557:
	s_or_b64 exec, exec, s[8:9]
	s_movk_i32 s7, 0xff
	v_and_b32_sdwa v19, v12, s7 dst_sel:DWORD dst_unused:UNUSED_PAD src0_sel:WORD_1 src1_sel:DWORD
	v_lshrrev_b32_e32 v10, 16, v12
	v_cmp_ne_u16_e32 vcc, 0, v19
	s_and_saveexec_b64 s[8:9], vcc
	s_cbranch_execz .LBB546_563
; %bb.558:
	s_movk_i32 s7, 0x80
	v_cmp_ne_u16_e32 vcc, s7, v19
	v_bfrev_b32_e32 v11, 1
	s_and_saveexec_b64 s[10:11], vcc
	s_cbranch_execz .LBB546_562
; %bb.559:
	v_bfe_u32 v19, v12, 16, 7
	s_movk_i32 s7, 0x7f
	v_cmp_ne_u32_e32 vcc, s7, v19
	v_mov_b32_e32 v11, 0x7f800001
	s_and_saveexec_b64 s[12:13], vcc
	s_cbranch_execz .LBB546_561
; %bb.560:
	v_and_b32_e32 v21, 7, v10
	v_ffbh_u32_e32 v11, v21
	v_min_u32_e32 v24, 32, v11
	v_subrev_u32_e32 v11, 28, v24
	v_lshlrev_b64 v[10:11], v11, v[10:11]
	v_lshrrev_b32_e32 v23, 3, v19
	v_sub_u32_e32 v11, 29, v24
	v_and_b32_e32 v10, 7, v10
	v_cmp_gt_u32_e32 vcc, 8, v19
	v_mov_b32_e32 v19, 24
	v_cndmask_b32_e32 v11, v23, v11, vcc
	v_cndmask_b32_e32 v10, v21, v10, vcc
	v_lshlrev_b32_sdwa v19, v19, v12 dst_sel:DWORD dst_unused:UNUSED_PAD src0_sel:DWORD src1_sel:WORD_1
	v_bfrev_b32_e32 v21, 60
	v_lshlrev_b32_e32 v10, 20, v10
	v_and_b32_e32 v19, 0x80000000, v19
	v_lshl_add_u32 v11, v11, 23, v21
	v_or3_b32 v11, v19, v11, v10
.LBB546_561:
	s_or_b64 exec, exec, s[12:13]
.LBB546_562:
	s_or_b64 exec, exec, s[10:11]
.LBB546_563:
	s_or_b64 exec, exec, s[8:9]
	s_mov_b32 s7, 0xffffff
	v_cmp_lt_u32_e32 vcc, s7, v12
	v_mov_b32_e32 v21, 0
	v_mov_b32_e32 v23, 0
	s_and_saveexec_b64 s[8:9], vcc
	s_cbranch_execz .LBB546_569
; %bb.564:
	v_lshrrev_b32_e32 v10, 24, v12
	s_movk_i32 s7, 0x80
	v_cmp_ne_u32_e32 vcc, s7, v10
	v_bfrev_b32_e32 v23, 1
	s_and_saveexec_b64 s[10:11], vcc
	s_cbranch_execz .LBB546_568
; %bb.565:
	v_bfe_u32 v12, v12, 24, 7
	s_movk_i32 s7, 0x7f
	v_cmp_ne_u32_e32 vcc, s7, v12
	v_mov_b32_e32 v23, 0x7f800001
	s_and_saveexec_b64 s[12:13], vcc
	s_cbranch_execz .LBB546_567
; %bb.566:
	v_and_b32_e32 v19, 7, v10
	v_ffbh_u32_e32 v24, v19
	v_min_u32_e32 v27, 32, v24
	v_subrev_u32_e32 v24, 28, v27
	v_lshlrev_b64 v[24:25], v24, v[10:11]
	v_lshrrev_b32_e32 v23, 3, v12
	v_sub_u32_e32 v25, 29, v27
	v_and_b32_e32 v24, 7, v24
	v_cmp_gt_u32_e32 vcc, 8, v12
	v_cndmask_b32_e32 v12, v23, v25, vcc
	v_cndmask_b32_e32 v19, v19, v24, vcc
	v_lshlrev_b32_e32 v10, 24, v10
	v_bfrev_b32_e32 v23, 60
	v_lshlrev_b32_e32 v19, 20, v19
	v_and_b32_e32 v10, 0x80000000, v10
	v_lshl_add_u32 v12, v12, 23, v23
	v_or3_b32 v23, v10, v12, v19
.LBB546_567:
	s_or_b64 exec, exec, s[12:13]
.LBB546_568:
	s_or_b64 exec, exec, s[10:11]
.LBB546_569:
	s_or_b64 exec, exec, s[8:9]
	v_cmp_ne_u16_sdwa s[10:11], v13, v21 src0_sel:BYTE_0 src1_sel:DWORD
	s_and_saveexec_b64 s[8:9], s[10:11]
	s_cbranch_execz .LBB546_575
; %bb.570:
	s_movk_i32 s7, 0x80
	v_cmp_ne_u16_sdwa s[12:13], v13, s7 src0_sel:BYTE_0 src1_sel:DWORD
	v_bfrev_b32_e32 v21, 1
	s_and_saveexec_b64 s[10:11], s[12:13]
	s_cbranch_execz .LBB546_574
; %bb.571:
	s_movk_i32 s7, 0x7f
	v_and_b32_e32 v10, 0x7f, v13
	v_cmp_ne_u32_e32 vcc, s7, v10
	v_mov_b32_e32 v21, 0x7f800001
	s_and_saveexec_b64 s[12:13], vcc
	s_cbranch_execz .LBB546_573
; %bb.572:
	v_and_b32_e32 v19, 7, v13
	v_ffbh_u32_e32 v24, v19
	v_min_u32_e32 v27, 32, v24
	v_mov_b32_e32 v12, v13
	v_subrev_u32_e32 v24, 28, v27
	v_lshlrev_b64 v[24:25], v24, v[12:13]
	v_lshrrev_b32_e32 v21, 3, v10
	v_sub_u32_e32 v12, 29, v27
	v_and_b32_e32 v24, 7, v24
	v_cmp_gt_u32_e32 vcc, 8, v10
	v_cndmask_b32_e32 v10, v21, v12, vcc
	v_cndmask_b32_e32 v12, v19, v24, vcc
	v_lshlrev_b32_e32 v19, 24, v13
	v_bfrev_b32_e32 v21, 60
	v_lshlrev_b32_e32 v12, 20, v12
	v_and_b32_e32 v19, 0x80000000, v19
	v_lshl_add_u32 v10, v10, 23, v21
	v_or3_b32 v21, v19, v10, v12
.LBB546_573:
	s_or_b64 exec, exec, s[12:13]
.LBB546_574:
	s_or_b64 exec, exec, s[10:11]
.LBB546_575:
	s_or_b64 exec, exec, s[8:9]
	v_lshrrev_b16_e32 v10, 8, v13
	v_cmp_ne_u16_e32 vcc, 0, v10
	v_mov_b32_e32 v12, 0
	v_mov_b32_e32 v24, 0
	s_and_saveexec_b64 s[8:9], vcc
	s_cbranch_execz .LBB546_581
; %bb.576:
	s_movk_i32 s7, 0x80
	v_cmp_ne_u16_e32 vcc, s7, v10
	v_bfrev_b32_e32 v24, 1
	s_and_saveexec_b64 s[10:11], vcc
	s_cbranch_execz .LBB546_580
; %bb.577:
	s_movk_i32 s7, 0x7f
	v_and_b32_e32 v19, 0x7f, v10
	v_cmp_ne_u32_e32 vcc, s7, v19
	v_mov_b32_e32 v24, 0x7f800001
	s_and_saveexec_b64 s[12:13], vcc
	s_cbranch_execz .LBB546_579
; %bb.578:
	v_and_b32_e32 v27, 7, v10
	v_ffbh_u32_e32 v24, v27
	v_min_u32_e32 v29, 32, v24
	v_subrev_u32_e32 v24, 28, v29
	v_lshlrev_b64 v[24:25], v24, v[10:11]
	v_lshrrev_b32_e32 v28, 3, v19
	v_sub_u32_e32 v10, 29, v29
	v_and_b32_e32 v24, 7, v24
	v_cmp_gt_u32_e32 vcc, 8, v19
	v_cndmask_b32_e32 v10, v28, v10, vcc
	v_cndmask_b32_e32 v19, v27, v24, vcc
	v_lshlrev_b32_e32 v24, 16, v13
	v_bfrev_b32_e32 v25, 60
	v_lshlrev_b32_e32 v19, 20, v19
	v_and_b32_e32 v24, 0x80000000, v24
	v_lshl_add_u32 v10, v10, 23, v25
	v_or3_b32 v24, v24, v10, v19
.LBB546_579:
	s_or_b64 exec, exec, s[12:13]
.LBB546_580:
	s_or_b64 exec, exec, s[10:11]
.LBB546_581:
	s_or_b64 exec, exec, s[8:9]
	s_movk_i32 s7, 0xff
	v_and_b32_sdwa v19, v13, s7 dst_sel:DWORD dst_unused:UNUSED_PAD src0_sel:WORD_1 src1_sel:DWORD
	v_lshrrev_b32_e32 v10, 16, v13
	v_cmp_ne_u16_e32 vcc, 0, v19
	s_and_saveexec_b64 s[8:9], vcc
	s_cbranch_execz .LBB546_587
; %bb.582:
	s_movk_i32 s7, 0x80
	v_cmp_ne_u16_e32 vcc, s7, v19
	v_bfrev_b32_e32 v12, 1
	s_and_saveexec_b64 s[10:11], vcc
	s_cbranch_execz .LBB546_586
; %bb.583:
	v_bfe_u32 v19, v13, 16, 7
	s_movk_i32 s7, 0x7f
	v_cmp_ne_u32_e32 vcc, s7, v19
	v_mov_b32_e32 v12, 0x7f800001
	s_and_saveexec_b64 s[12:13], vcc
	s_cbranch_execz .LBB546_585
; %bb.584:
	v_and_b32_e32 v12, 7, v10
	v_ffbh_u32_e32 v27, v12
	v_min_u32_e32 v27, 32, v27
	v_subrev_u32_e32 v28, 28, v27
	v_lshlrev_b64 v[28:29], v28, v[10:11]
	v_lshrrev_b32_e32 v25, 3, v19
	v_sub_u32_e32 v10, 29, v27
	v_and_b32_e32 v27, 7, v28
	v_cmp_gt_u32_e32 vcc, 8, v19
	v_mov_b32_e32 v19, 24
	v_cndmask_b32_e32 v10, v25, v10, vcc
	v_cndmask_b32_e32 v12, v12, v27, vcc
	v_lshlrev_b32_sdwa v19, v19, v13 dst_sel:DWORD dst_unused:UNUSED_PAD src0_sel:DWORD src1_sel:WORD_1
	v_bfrev_b32_e32 v25, 60
	v_lshlrev_b32_e32 v12, 20, v12
	v_and_b32_e32 v19, 0x80000000, v19
	v_lshl_add_u32 v10, v10, 23, v25
	v_or3_b32 v12, v19, v10, v12
.LBB546_585:
	s_or_b64 exec, exec, s[12:13]
.LBB546_586:
	s_or_b64 exec, exec, s[10:11]
.LBB546_587:
	s_or_b64 exec, exec, s[8:9]
	s_mov_b32 s7, 0xffffff
	v_cmp_lt_u32_e32 vcc, s7, v13
	v_mov_b32_e32 v19, 0
	v_mov_b32_e32 v25, 0
	s_and_saveexec_b64 s[8:9], vcc
	s_cbranch_execz .LBB546_593
; %bb.588:
	v_lshrrev_b32_e32 v10, 24, v13
	s_movk_i32 s7, 0x80
	v_cmp_ne_u32_e32 vcc, s7, v10
	v_bfrev_b32_e32 v25, 1
	s_and_saveexec_b64 s[10:11], vcc
	s_cbranch_execz .LBB546_592
; %bb.589:
	v_bfe_u32 v13, v13, 24, 7
	s_movk_i32 s7, 0x7f
	v_cmp_ne_u32_e32 vcc, s7, v13
	v_mov_b32_e32 v25, 0x7f800001
	s_and_saveexec_b64 s[12:13], vcc
	s_cbranch_execz .LBB546_591
; %bb.590:
	v_and_b32_e32 v25, 7, v10
	v_ffbh_u32_e32 v28, v25
	v_min_u32_e32 v30, 32, v28
	v_subrev_u32_e32 v28, 28, v30
	v_lshlrev_b64 v[28:29], v28, v[10:11]
	v_lshrrev_b32_e32 v27, 3, v13
	v_sub_u32_e32 v29, 29, v30
	v_and_b32_e32 v28, 7, v28
	v_cmp_gt_u32_e32 vcc, 8, v13
	v_cndmask_b32_e32 v13, v27, v29, vcc
	v_cndmask_b32_e32 v25, v25, v28, vcc
	v_lshlrev_b32_e32 v10, 24, v10
	v_bfrev_b32_e32 v27, 60
	v_lshlrev_b32_e32 v25, 20, v25
	v_and_b32_e32 v10, 0x80000000, v10
	v_lshl_add_u32 v13, v13, 23, v27
	v_or3_b32 v25, v10, v13, v25
.LBB546_591:
	s_or_b64 exec, exec, s[12:13]
.LBB546_592:
	s_or_b64 exec, exec, s[10:11]
.LBB546_593:
	s_or_b64 exec, exec, s[8:9]
	v_cvt_pkrtz_f16_f32 v10, v18, v20
	v_cvt_pkrtz_f16_f32 v11, v11, v23
	ds_read_b128 v[28:31], v22 offset:2064
	s_waitcnt vmcnt(1)
	v_cmp_ne_u16_sdwa s[10:11], v6, v19 src0_sel:BYTE_0 src1_sel:DWORD
	s_waitcnt lgkmcnt(0)
	v_mfma_f32_16x16x16f16 v[14:17], v[10:11], v[28:29], v[14:17]
	v_cvt_pkrtz_f16_f32 v10, v21, v24
	v_cvt_pkrtz_f16_f32 v11, v12, v25
	s_nop 1
	v_mfma_f32_16x16x16f16 v[10:13], v[10:11], v[30:31], v[14:17]
	s_and_saveexec_b64 s[8:9], s[10:11]
	s_cbranch_execz .LBB546_599
; %bb.594:
	s_movk_i32 s7, 0x80
	v_cmp_ne_u16_sdwa s[12:13], v6, s7 src0_sel:BYTE_0 src1_sel:DWORD
	v_bfrev_b32_e32 v19, 1
	s_and_saveexec_b64 s[10:11], s[12:13]
	s_cbranch_execz .LBB546_598
; %bb.595:
	s_movk_i32 s7, 0x7f
	v_and_b32_e32 v14, 0x7f, v6
	v_cmp_ne_u32_e32 vcc, s7, v14
	v_mov_b32_e32 v19, 0x7f800001
	s_and_saveexec_b64 s[12:13], vcc
	s_cbranch_execz .LBB546_597
; %bb.596:
	v_and_b32_e32 v15, 7, v6
	v_ffbh_u32_e32 v16, v15
	v_min_u32_e32 v19, 32, v16
	v_subrev_u32_e32 v16, 28, v19
	v_lshlrev_b64 v[16:17], v16, v[6:7]
	v_lshrrev_b32_e32 v18, 3, v14
	v_sub_u32_e32 v17, 29, v19
	v_and_b32_e32 v16, 7, v16
	v_cmp_gt_u32_e32 vcc, 8, v14
	v_cndmask_b32_e32 v14, v18, v17, vcc
	v_cndmask_b32_e32 v15, v15, v16, vcc
	v_lshlrev_b32_e32 v16, 24, v6
	v_bfrev_b32_e32 v17, 60
	v_lshlrev_b32_e32 v15, 20, v15
	v_and_b32_e32 v16, 0x80000000, v16
	v_lshl_add_u32 v14, v14, 23, v17
	v_or3_b32 v19, v16, v14, v15
.LBB546_597:
	s_or_b64 exec, exec, s[12:13]
.LBB546_598:
	s_or_b64 exec, exec, s[10:11]
.LBB546_599:
	s_or_b64 exec, exec, s[8:9]
	s_nop 3
	v_lshrrev_b16_e32 v14, 8, v6
	v_cmp_ne_u16_e32 vcc, 0, v14
	v_mov_b32_e32 v15, 0
	v_mov_b32_e32 v16, 0
	s_and_saveexec_b64 s[8:9], vcc
	s_cbranch_execz .LBB546_605
; %bb.600:
	s_movk_i32 s7, 0x80
	v_cmp_ne_u16_e32 vcc, s7, v14
	v_bfrev_b32_e32 v16, 1
	s_and_saveexec_b64 s[10:11], vcc
	s_cbranch_execz .LBB546_604
; %bb.601:
	s_movk_i32 s7, 0x7f
	v_and_b32_e32 v17, 0x7f, v14
	v_cmp_ne_u32_e32 vcc, s7, v17
	v_mov_b32_e32 v16, 0x7f800001
	s_and_saveexec_b64 s[12:13], vcc
	s_cbranch_execz .LBB546_603
; %bb.602:
	v_and_b32_e32 v16, 7, v14
	v_ffbh_u32_e32 v20, v16
	v_min_u32_e32 v23, 32, v20
	v_subrev_u32_e32 v20, 28, v23
	v_lshlrev_b64 v[20:21], v20, v[14:15]
	v_lshrrev_b32_e32 v18, 3, v17
	v_sub_u32_e32 v14, 29, v23
	v_and_b32_e32 v20, 7, v20
	v_cmp_gt_u32_e32 vcc, 8, v17
	v_cndmask_b32_e32 v14, v18, v14, vcc
	v_cndmask_b32_e32 v16, v16, v20, vcc
	v_lshlrev_b32_e32 v17, 16, v6
	v_bfrev_b32_e32 v18, 60
	v_lshlrev_b32_e32 v16, 20, v16
	v_and_b32_e32 v17, 0x80000000, v17
	v_lshl_add_u32 v14, v14, 23, v18
	v_or3_b32 v16, v17, v14, v16
.LBB546_603:
	s_or_b64 exec, exec, s[12:13]
.LBB546_604:
	s_or_b64 exec, exec, s[10:11]
.LBB546_605:
	s_or_b64 exec, exec, s[8:9]
	s_movk_i32 s7, 0xff
	v_and_b32_sdwa v17, v6, s7 dst_sel:DWORD dst_unused:UNUSED_PAD src0_sel:WORD_1 src1_sel:DWORD
	v_lshrrev_b32_e32 v14, 16, v6
	v_cmp_ne_u16_e32 vcc, 0, v17
	s_and_saveexec_b64 s[8:9], vcc
	s_cbranch_execz .LBB546_611
; %bb.606:
	s_movk_i32 s7, 0x80
	v_cmp_ne_u16_e32 vcc, s7, v17
	v_bfrev_b32_e32 v15, 1
	s_and_saveexec_b64 s[10:11], vcc
	s_cbranch_execz .LBB546_610
; %bb.607:
	v_bfe_u32 v17, v6, 16, 7
	s_movk_i32 s7, 0x7f
	v_cmp_ne_u32_e32 vcc, s7, v17
	v_mov_b32_e32 v15, 0x7f800001
	s_and_saveexec_b64 s[12:13], vcc
	s_cbranch_execz .LBB546_609
; %bb.608:
	v_and_b32_e32 v18, 7, v14
	v_ffbh_u32_e32 v15, v18
	v_min_u32_e32 v21, 32, v15
	v_subrev_u32_e32 v15, 28, v21
	v_lshlrev_b64 v[14:15], v15, v[14:15]
	v_lshrrev_b32_e32 v20, 3, v17
	v_sub_u32_e32 v15, 29, v21
	v_and_b32_e32 v14, 7, v14
	v_cmp_gt_u32_e32 vcc, 8, v17
	v_mov_b32_e32 v17, 24
	v_cndmask_b32_e32 v15, v20, v15, vcc
	v_cndmask_b32_e32 v14, v18, v14, vcc
	v_lshlrev_b32_sdwa v17, v17, v6 dst_sel:DWORD dst_unused:UNUSED_PAD src0_sel:DWORD src1_sel:WORD_1
	v_bfrev_b32_e32 v18, 60
	v_lshlrev_b32_e32 v14, 20, v14
	v_and_b32_e32 v17, 0x80000000, v17
	v_lshl_add_u32 v15, v15, 23, v18
	v_or3_b32 v15, v17, v15, v14
.LBB546_609:
	s_or_b64 exec, exec, s[12:13]
.LBB546_610:
	s_or_b64 exec, exec, s[10:11]
.LBB546_611:
	s_or_b64 exec, exec, s[8:9]
	s_mov_b32 s7, 0xffffff
	v_cmp_lt_u32_e32 vcc, s7, v6
	v_mov_b32_e32 v17, 0
	v_mov_b32_e32 v18, 0
	s_and_saveexec_b64 s[8:9], vcc
	s_cbranch_execz .LBB546_617
; %bb.612:
	v_lshrrev_b32_e32 v14, 24, v6
	s_movk_i32 s7, 0x80
	v_cmp_ne_u32_e32 vcc, s7, v14
	v_bfrev_b32_e32 v18, 1
	s_and_saveexec_b64 s[10:11], vcc
	s_cbranch_execz .LBB546_616
; %bb.613:
	v_bfe_u32 v6, v6, 24, 7
	s_movk_i32 s7, 0x7f
	v_cmp_ne_u32_e32 vcc, s7, v6
	v_mov_b32_e32 v18, 0x7f800001
	s_and_saveexec_b64 s[12:13], vcc
	s_cbranch_execz .LBB546_615
; %bb.614:
	v_and_b32_e32 v18, 7, v14
	v_ffbh_u32_e32 v20, v18
	v_min_u32_e32 v24, 32, v20
	v_subrev_u32_e32 v20, 28, v24
	v_lshlrev_b64 v[20:21], v20, v[14:15]
	v_lshrrev_b32_e32 v23, 3, v6
	v_sub_u32_e32 v21, 29, v24
	v_and_b32_e32 v20, 7, v20
	v_cmp_gt_u32_e32 vcc, 8, v6
	v_cndmask_b32_e32 v6, v23, v21, vcc
	v_cndmask_b32_e32 v18, v18, v20, vcc
	v_lshlrev_b32_e32 v14, 24, v14
	v_bfrev_b32_e32 v20, 60
	v_lshlrev_b32_e32 v18, 20, v18
	v_and_b32_e32 v14, 0x80000000, v14
	v_lshl_add_u32 v6, v6, 23, v20
	v_or3_b32 v18, v14, v6, v18
.LBB546_615:
	s_or_b64 exec, exec, s[12:13]
.LBB546_616:
	s_or_b64 exec, exec, s[10:11]
.LBB546_617:
	s_or_b64 exec, exec, s[8:9]
	v_cmp_ne_u16_sdwa s[10:11], v7, v17 src0_sel:BYTE_0 src1_sel:DWORD
	s_and_saveexec_b64 s[8:9], s[10:11]
	s_cbranch_execz .LBB546_623
; %bb.618:
	s_movk_i32 s7, 0x80
	v_cmp_ne_u16_sdwa s[12:13], v7, s7 src0_sel:BYTE_0 src1_sel:DWORD
	v_bfrev_b32_e32 v17, 1
	s_and_saveexec_b64 s[10:11], s[12:13]
	s_cbranch_execz .LBB546_622
; %bb.619:
	s_movk_i32 s7, 0x7f
	v_and_b32_e32 v6, 0x7f, v7
	v_cmp_ne_u32_e32 vcc, s7, v6
	v_mov_b32_e32 v17, 0x7f800001
	s_and_saveexec_b64 s[12:13], vcc
	s_cbranch_execz .LBB546_621
; %bb.620:
	v_and_b32_e32 v17, 7, v7
	v_ffbh_u32_e32 v20, v17
	v_min_u32_e32 v24, 32, v20
	v_mov_b32_e32 v14, v7
	v_subrev_u32_e32 v20, 28, v24
	v_lshlrev_b64 v[20:21], v20, v[14:15]
	v_lshrrev_b32_e32 v23, 3, v6
	v_sub_u32_e32 v14, 29, v24
	v_and_b32_e32 v20, 7, v20
	v_cmp_gt_u32_e32 vcc, 8, v6
	v_cndmask_b32_e32 v6, v23, v14, vcc
	v_cndmask_b32_e32 v14, v17, v20, vcc
	v_lshlrev_b32_e32 v17, 24, v7
	v_bfrev_b32_e32 v20, 60
	v_lshlrev_b32_e32 v14, 20, v14
	v_and_b32_e32 v17, 0x80000000, v17
	v_lshl_add_u32 v6, v6, 23, v20
	v_or3_b32 v17, v17, v6, v14
.LBB546_621:
	s_or_b64 exec, exec, s[12:13]
.LBB546_622:
	s_or_b64 exec, exec, s[10:11]
.LBB546_623:
	s_or_b64 exec, exec, s[8:9]
	v_lshrrev_b16_e32 v6, 8, v7
	v_cmp_ne_u16_e32 vcc, 0, v6
	v_mov_b32_e32 v20, 0
	v_mov_b32_e32 v21, 0
	s_and_saveexec_b64 s[8:9], vcc
	s_cbranch_execz .LBB546_629
; %bb.624:
	s_movk_i32 s7, 0x80
	v_cmp_ne_u16_e32 vcc, s7, v6
	v_bfrev_b32_e32 v21, 1
	s_and_saveexec_b64 s[10:11], vcc
	s_cbranch_execz .LBB546_628
; %bb.625:
	s_movk_i32 s7, 0x7f
	v_and_b32_e32 v14, 0x7f, v6
	v_cmp_ne_u32_e32 vcc, s7, v14
	v_mov_b32_e32 v21, 0x7f800001
	s_and_saveexec_b64 s[12:13], vcc
	s_cbranch_execz .LBB546_627
; %bb.626:
	v_and_b32_e32 v21, 7, v6
	v_ffbh_u32_e32 v24, v21
	v_min_u32_e32 v27, 32, v24
	v_subrev_u32_e32 v24, 28, v27
	v_lshlrev_b64 v[24:25], v24, v[6:7]
	v_lshrrev_b32_e32 v23, 3, v14
	v_sub_u32_e32 v6, 29, v27
	v_and_b32_e32 v24, 7, v24
	v_cmp_gt_u32_e32 vcc, 8, v14
	v_cndmask_b32_e32 v6, v23, v6, vcc
	v_cndmask_b32_e32 v14, v21, v24, vcc
	v_lshlrev_b32_e32 v21, 16, v7
	v_bfrev_b32_e32 v23, 60
	v_lshlrev_b32_e32 v14, 20, v14
	v_and_b32_e32 v21, 0x80000000, v21
	v_lshl_add_u32 v6, v6, 23, v23
	v_or3_b32 v21, v21, v6, v14
.LBB546_627:
	s_or_b64 exec, exec, s[12:13]
.LBB546_628:
	s_or_b64 exec, exec, s[10:11]
.LBB546_629:
	s_or_b64 exec, exec, s[8:9]
	s_movk_i32 s7, 0xff
	v_and_b32_sdwa v14, v7, s7 dst_sel:DWORD dst_unused:UNUSED_PAD src0_sel:WORD_1 src1_sel:DWORD
	v_lshrrev_b32_e32 v6, 16, v7
	v_cmp_ne_u16_e32 vcc, 0, v14
	s_and_saveexec_b64 s[8:9], vcc
	s_cbranch_execz .LBB546_635
; %bb.630:
	s_movk_i32 s7, 0x80
	v_cmp_ne_u16_e32 vcc, s7, v14
	v_bfrev_b32_e32 v20, 1
	s_and_saveexec_b64 s[10:11], vcc
	s_cbranch_execz .LBB546_634
; %bb.631:
	v_bfe_u32 v14, v7, 16, 7
	s_movk_i32 s7, 0x7f
	v_cmp_ne_u32_e32 vcc, s7, v14
	v_mov_b32_e32 v20, 0x7f800001
	s_and_saveexec_b64 s[12:13], vcc
	s_cbranch_execz .LBB546_633
; %bb.632:
	v_and_b32_e32 v20, 7, v6
	v_ffbh_u32_e32 v24, v20
	v_min_u32_e32 v27, 32, v24
	v_subrev_u32_e32 v24, 28, v27
	v_lshlrev_b64 v[24:25], v24, v[6:7]
	v_and_b32_e32 v24, 7, v24
	v_cmp_gt_u32_e32 vcc, 8, v14
	v_lshrrev_b32_e32 v23, 3, v14
	v_sub_u32_e32 v6, 29, v27
	v_cndmask_b32_e32 v14, v20, v24, vcc
	v_mov_b32_e32 v20, 24
	v_cndmask_b32_e32 v6, v23, v6, vcc
	v_lshlrev_b32_sdwa v20, v20, v7 dst_sel:DWORD dst_unused:UNUSED_PAD src0_sel:DWORD src1_sel:WORD_1
	v_bfrev_b32_e32 v23, 60
	v_lshlrev_b32_e32 v14, 20, v14
	v_and_b32_e32 v20, 0x80000000, v20
	v_lshl_add_u32 v6, v6, 23, v23
	v_or3_b32 v20, v20, v6, v14
.LBB546_633:
	s_or_b64 exec, exec, s[12:13]
.LBB546_634:
	s_or_b64 exec, exec, s[10:11]
.LBB546_635:
	s_or_b64 exec, exec, s[8:9]
	s_mov_b32 s7, 0xffffff
	v_cmp_lt_u32_e32 vcc, s7, v7
	v_mov_b32_e32 v14, 0
	v_mov_b32_e32 v23, 0
	s_and_saveexec_b64 s[8:9], vcc
	s_cbranch_execz .LBB546_641
; %bb.636:
	v_lshrrev_b32_e32 v6, 24, v7
	s_movk_i32 s7, 0x80
	v_cmp_ne_u32_e32 vcc, s7, v6
	v_bfrev_b32_e32 v23, 1
	s_and_saveexec_b64 s[10:11], vcc
	s_cbranch_execz .LBB546_640
; %bb.637:
	v_bfe_u32 v7, v7, 24, 7
	s_movk_i32 s7, 0x7f
	v_cmp_ne_u32_e32 vcc, s7, v7
	v_mov_b32_e32 v23, 0x7f800001
	s_and_saveexec_b64 s[12:13], vcc
	s_cbranch_execz .LBB546_639
; %bb.638:
	v_and_b32_e32 v23, 7, v6
	v_ffbh_u32_e32 v24, v23
	v_min_u32_e32 v28, 32, v24
	v_subrev_u32_e32 v24, 28, v28
	v_lshlrev_b64 v[24:25], v24, v[6:7]
	v_lshrrev_b32_e32 v27, 3, v7
	v_sub_u32_e32 v25, 29, v28
	v_and_b32_e32 v24, 7, v24
	v_cmp_gt_u32_e32 vcc, 8, v7
	v_cndmask_b32_e32 v7, v27, v25, vcc
	v_cndmask_b32_e32 v23, v23, v24, vcc
	v_lshlrev_b32_e32 v6, 24, v6
	v_bfrev_b32_e32 v24, 60
	v_lshlrev_b32_e32 v23, 20, v23
	v_and_b32_e32 v6, 0x80000000, v6
	v_lshl_add_u32 v7, v7, 23, v24
	v_or3_b32 v23, v6, v7, v23
.LBB546_639:
	s_or_b64 exec, exec, s[12:13]
.LBB546_640:
	s_or_b64 exec, exec, s[10:11]
.LBB546_641:
	s_or_b64 exec, exec, s[8:9]
	v_cvt_pkrtz_f16_f32 v6, v19, v16
	v_cvt_pkrtz_f16_f32 v7, v15, v18
	ds_read_b128 v[28:31], v22 offset:4096
	v_cmp_ne_u16_sdwa s[10:11], v8, v14 src0_sel:BYTE_0 src1_sel:DWORD
	s_waitcnt lgkmcnt(0)
	v_mfma_f32_16x16x16f16 v[10:13], v[6:7], v[28:29], v[10:13]
	v_cvt_pkrtz_f16_f32 v6, v17, v21
	v_cvt_pkrtz_f16_f32 v7, v20, v23
	s_nop 1
	v_mfma_f32_16x16x16f16 v[10:13], v[6:7], v[30:31], v[10:13]
	s_and_saveexec_b64 s[8:9], s[10:11]
	s_cbranch_execz .LBB546_647
; %bb.642:
	s_movk_i32 s7, 0x80
	v_cmp_ne_u16_sdwa s[12:13], v8, s7 src0_sel:BYTE_0 src1_sel:DWORD
	v_bfrev_b32_e32 v14, 1
	s_and_saveexec_b64 s[10:11], s[12:13]
	s_cbranch_execz .LBB546_646
; %bb.643:
	s_movk_i32 s7, 0x7f
	v_and_b32_e32 v6, 0x7f, v8
	v_cmp_ne_u32_e32 vcc, s7, v6
	v_mov_b32_e32 v14, 0x7f800001
	s_and_saveexec_b64 s[12:13], vcc
	s_cbranch_execz .LBB546_645
; %bb.644:
	v_and_b32_e32 v7, 7, v8
	v_ffbh_u32_e32 v14, v7
	v_min_u32_e32 v17, 32, v14
	v_subrev_u32_e32 v14, 28, v17
	v_lshlrev_b64 v[14:15], v14, v[8:9]
	v_lshrrev_b32_e32 v16, 3, v6
	v_sub_u32_e32 v15, 29, v17
	v_and_b32_e32 v14, 7, v14
	v_cmp_gt_u32_e32 vcc, 8, v6
	v_cndmask_b32_e32 v6, v16, v15, vcc
	v_cndmask_b32_e32 v7, v7, v14, vcc
	v_lshlrev_b32_e32 v14, 24, v8
	v_bfrev_b32_e32 v15, 60
	v_lshlrev_b32_e32 v7, 20, v7
	v_and_b32_e32 v14, 0x80000000, v14
	v_lshl_add_u32 v6, v6, 23, v15
	v_or3_b32 v14, v14, v6, v7
.LBB546_645:
	s_or_b64 exec, exec, s[12:13]
.LBB546_646:
	s_or_b64 exec, exec, s[10:11]
.LBB546_647:
	s_or_b64 exec, exec, s[8:9]
	v_lshrrev_b16_e32 v6, 8, v8
	v_cmp_ne_u16_e32 vcc, 0, v6
	v_mov_b32_e32 v7, 0
	v_mov_b32_e32 v16, 0
	s_and_saveexec_b64 s[8:9], vcc
	s_cbranch_execz .LBB546_653
; %bb.648:
	s_movk_i32 s7, 0x80
	v_cmp_ne_u16_e32 vcc, s7, v6
	v_bfrev_b32_e32 v16, 1
	s_and_saveexec_b64 s[10:11], vcc
	s_cbranch_execz .LBB546_652
; %bb.649:
	s_movk_i32 s7, 0x7f
	v_and_b32_e32 v15, 0x7f, v6
	v_cmp_ne_u32_e32 vcc, s7, v15
	v_mov_b32_e32 v16, 0x7f800001
	s_and_saveexec_b64 s[12:13], vcc
	s_cbranch_execz .LBB546_651
; %bb.650:
	v_and_b32_e32 v18, 7, v6
	v_ffbh_u32_e32 v16, v18
	v_min_u32_e32 v20, 32, v16
	v_subrev_u32_e32 v16, 28, v20
	v_lshlrev_b64 v[16:17], v16, v[6:7]
	v_lshrrev_b32_e32 v19, 3, v15
	v_sub_u32_e32 v6, 29, v20
	v_and_b32_e32 v16, 7, v16
	v_cmp_gt_u32_e32 vcc, 8, v15
	v_cndmask_b32_e32 v6, v19, v6, vcc
	v_cndmask_b32_e32 v15, v18, v16, vcc
	v_lshlrev_b32_e32 v16, 16, v8
	v_bfrev_b32_e32 v17, 60
	v_lshlrev_b32_e32 v15, 20, v15
	v_and_b32_e32 v16, 0x80000000, v16
	v_lshl_add_u32 v6, v6, 23, v17
	v_or3_b32 v16, v16, v6, v15
.LBB546_651:
	s_or_b64 exec, exec, s[12:13]
.LBB546_652:
	s_or_b64 exec, exec, s[10:11]
.LBB546_653:
	s_or_b64 exec, exec, s[8:9]
	s_movk_i32 s7, 0xff
	v_and_b32_sdwa v15, v8, s7 dst_sel:DWORD dst_unused:UNUSED_PAD src0_sel:WORD_1 src1_sel:DWORD
	v_lshrrev_b32_e32 v6, 16, v8
	v_cmp_ne_u16_e32 vcc, 0, v15
	s_and_saveexec_b64 s[8:9], vcc
	s_cbranch_execz .LBB546_659
; %bb.654:
	s_movk_i32 s7, 0x80
	v_cmp_ne_u16_e32 vcc, s7, v15
	v_bfrev_b32_e32 v7, 1
	s_and_saveexec_b64 s[10:11], vcc
	s_cbranch_execz .LBB546_658
; %bb.655:
	v_bfe_u32 v15, v8, 16, 7
	s_movk_i32 s7, 0x7f
	v_cmp_ne_u32_e32 vcc, s7, v15
	v_mov_b32_e32 v7, 0x7f800001
	s_and_saveexec_b64 s[12:13], vcc
	s_cbranch_execz .LBB546_657
; %bb.656:
	v_and_b32_e32 v17, 7, v6
	v_ffbh_u32_e32 v7, v17
	v_min_u32_e32 v19, 32, v7
	v_subrev_u32_e32 v7, 28, v19
	v_lshlrev_b64 v[6:7], v7, v[6:7]
	v_lshrrev_b32_e32 v18, 3, v15
	v_sub_u32_e32 v7, 29, v19
	v_and_b32_e32 v6, 7, v6
	v_cmp_gt_u32_e32 vcc, 8, v15
	v_mov_b32_e32 v15, 24
	v_cndmask_b32_e32 v7, v18, v7, vcc
	v_cndmask_b32_e32 v6, v17, v6, vcc
	v_lshlrev_b32_sdwa v15, v15, v8 dst_sel:DWORD dst_unused:UNUSED_PAD src0_sel:DWORD src1_sel:WORD_1
	v_bfrev_b32_e32 v17, 60
	v_lshlrev_b32_e32 v6, 20, v6
	v_and_b32_e32 v15, 0x80000000, v15
	v_lshl_add_u32 v7, v7, 23, v17
	v_or3_b32 v7, v15, v7, v6
.LBB546_657:
	s_or_b64 exec, exec, s[12:13]
.LBB546_658:
	s_or_b64 exec, exec, s[10:11]
.LBB546_659:
	s_or_b64 exec, exec, s[8:9]
	s_mov_b32 s7, 0xffffff
	v_cmp_lt_u32_e32 vcc, s7, v8
	v_mov_b32_e32 v17, 0
	v_mov_b32_e32 v18, 0
	s_and_saveexec_b64 s[8:9], vcc
	s_cbranch_execz .LBB546_665
; %bb.660:
	v_lshrrev_b32_e32 v6, 24, v8
	s_movk_i32 s7, 0x80
	v_cmp_ne_u32_e32 vcc, s7, v6
	v_bfrev_b32_e32 v18, 1
	s_and_saveexec_b64 s[10:11], vcc
	s_cbranch_execz .LBB546_664
; %bb.661:
	v_bfe_u32 v8, v8, 24, 7
	s_movk_i32 s7, 0x7f
	v_cmp_ne_u32_e32 vcc, s7, v8
	v_mov_b32_e32 v18, 0x7f800001
	s_and_saveexec_b64 s[12:13], vcc
	s_cbranch_execz .LBB546_663
; %bb.662:
	v_and_b32_e32 v15, 7, v6
	v_ffbh_u32_e32 v18, v15
	v_min_u32_e32 v21, 32, v18
	v_subrev_u32_e32 v18, 28, v21
	v_lshlrev_b64 v[18:19], v18, v[6:7]
	v_lshrrev_b32_e32 v20, 3, v8
	v_sub_u32_e32 v19, 29, v21
	v_and_b32_e32 v18, 7, v18
	v_cmp_gt_u32_e32 vcc, 8, v8
	v_cndmask_b32_e32 v8, v20, v19, vcc
	v_cndmask_b32_e32 v15, v15, v18, vcc
	v_lshlrev_b32_e32 v6, 24, v6
	v_bfrev_b32_e32 v18, 60
	v_lshlrev_b32_e32 v15, 20, v15
	v_and_b32_e32 v6, 0x80000000, v6
	v_lshl_add_u32 v8, v8, 23, v18
	v_or3_b32 v18, v6, v8, v15
.LBB546_663:
	s_or_b64 exec, exec, s[12:13]
.LBB546_664:
	s_or_b64 exec, exec, s[10:11]
.LBB546_665:
	s_or_b64 exec, exec, s[8:9]
	v_cmp_ne_u16_sdwa s[10:11], v9, v17 src0_sel:BYTE_0 src1_sel:DWORD
	s_and_saveexec_b64 s[8:9], s[10:11]
	s_cbranch_execz .LBB546_671
; %bb.666:
	s_movk_i32 s7, 0x80
	v_cmp_ne_u16_sdwa s[12:13], v9, s7 src0_sel:BYTE_0 src1_sel:DWORD
	v_bfrev_b32_e32 v17, 1
	s_and_saveexec_b64 s[10:11], s[12:13]
	s_cbranch_execz .LBB546_670
; %bb.667:
	s_movk_i32 s7, 0x7f
	v_and_b32_e32 v6, 0x7f, v9
	v_cmp_ne_u32_e32 vcc, s7, v6
	v_mov_b32_e32 v17, 0x7f800001
	s_and_saveexec_b64 s[12:13], vcc
	s_cbranch_execz .LBB546_669
; %bb.668:
	v_and_b32_e32 v15, 7, v9
	v_ffbh_u32_e32 v19, v15
	v_min_u32_e32 v19, 32, v19
	v_mov_b32_e32 v8, v9
	v_subrev_u32_e32 v20, 28, v19
	v_lshlrev_b64 v[20:21], v20, v[8:9]
	v_lshrrev_b32_e32 v17, 3, v6
	v_sub_u32_e32 v8, 29, v19
	v_and_b32_e32 v19, 7, v20
	v_cmp_gt_u32_e32 vcc, 8, v6
	v_cndmask_b32_e32 v6, v17, v8, vcc
	v_cndmask_b32_e32 v8, v15, v19, vcc
	v_lshlrev_b32_e32 v15, 24, v9
	v_bfrev_b32_e32 v17, 60
	v_lshlrev_b32_e32 v8, 20, v8
	v_and_b32_e32 v15, 0x80000000, v15
	v_lshl_add_u32 v6, v6, 23, v17
	v_or3_b32 v17, v15, v6, v8
.LBB546_669:
	s_or_b64 exec, exec, s[12:13]
.LBB546_670:
	s_or_b64 exec, exec, s[10:11]
.LBB546_671:
	s_or_b64 exec, exec, s[8:9]
	v_lshrrev_b16_e32 v6, 8, v9
	v_cmp_ne_u16_e32 vcc, 0, v6
	v_mov_b32_e32 v8, 0
	v_mov_b32_e32 v19, 0
	s_and_saveexec_b64 s[8:9], vcc
	s_cbranch_execz .LBB546_677
; %bb.672:
	s_movk_i32 s7, 0x80
	v_cmp_ne_u16_e32 vcc, s7, v6
	v_bfrev_b32_e32 v19, 1
	s_and_saveexec_b64 s[10:11], vcc
	s_cbranch_execz .LBB546_676
; %bb.673:
	s_movk_i32 s7, 0x7f
	v_and_b32_e32 v15, 0x7f, v6
	v_cmp_ne_u32_e32 vcc, s7, v15
	v_mov_b32_e32 v19, 0x7f800001
	s_and_saveexec_b64 s[12:13], vcc
	s_cbranch_execz .LBB546_675
; %bb.674:
	v_and_b32_e32 v19, 7, v6
	v_ffbh_u32_e32 v20, v19
	v_min_u32_e32 v24, 32, v20
	v_subrev_u32_e32 v20, 28, v24
	v_lshlrev_b64 v[20:21], v20, v[6:7]
	v_lshrrev_b32_e32 v23, 3, v15
	v_sub_u32_e32 v6, 29, v24
	v_and_b32_e32 v20, 7, v20
	v_cmp_gt_u32_e32 vcc, 8, v15
	v_cndmask_b32_e32 v6, v23, v6, vcc
	v_cndmask_b32_e32 v15, v19, v20, vcc
	v_lshlrev_b32_e32 v19, 16, v9
	v_bfrev_b32_e32 v20, 60
	v_lshlrev_b32_e32 v15, 20, v15
	v_and_b32_e32 v19, 0x80000000, v19
	v_lshl_add_u32 v6, v6, 23, v20
	v_or3_b32 v19, v19, v6, v15
.LBB546_675:
	s_or_b64 exec, exec, s[12:13]
.LBB546_676:
	s_or_b64 exec, exec, s[10:11]
.LBB546_677:
	s_or_b64 exec, exec, s[8:9]
	s_movk_i32 s7, 0xff
	v_and_b32_sdwa v15, v9, s7 dst_sel:DWORD dst_unused:UNUSED_PAD src0_sel:WORD_1 src1_sel:DWORD
	v_lshrrev_b32_e32 v6, 16, v9
	v_cmp_ne_u16_e32 vcc, 0, v15
	s_and_saveexec_b64 s[8:9], vcc
	s_cbranch_execz .LBB546_683
; %bb.678:
	s_movk_i32 s7, 0x80
	v_cmp_ne_u16_e32 vcc, s7, v15
	v_bfrev_b32_e32 v8, 1
	s_and_saveexec_b64 s[10:11], vcc
	s_cbranch_execz .LBB546_682
; %bb.679:
	v_bfe_u32 v15, v9, 16, 7
	s_movk_i32 s7, 0x7f
	v_cmp_ne_u32_e32 vcc, s7, v15
	v_mov_b32_e32 v8, 0x7f800001
	s_and_saveexec_b64 s[12:13], vcc
	s_cbranch_execz .LBB546_681
; %bb.680:
	v_and_b32_e32 v8, 7, v6
	v_ffbh_u32_e32 v20, v8
	v_min_u32_e32 v24, 32, v20
	v_subrev_u32_e32 v20, 28, v24
	v_lshlrev_b64 v[20:21], v20, v[6:7]
	v_lshrrev_b32_e32 v23, 3, v15
	v_sub_u32_e32 v6, 29, v24
	v_and_b32_e32 v20, 7, v20
	v_cmp_gt_u32_e32 vcc, 8, v15
	v_mov_b32_e32 v15, 24
	v_cndmask_b32_e32 v6, v23, v6, vcc
	v_cndmask_b32_e32 v8, v8, v20, vcc
	v_lshlrev_b32_sdwa v15, v15, v9 dst_sel:DWORD dst_unused:UNUSED_PAD src0_sel:DWORD src1_sel:WORD_1
	v_bfrev_b32_e32 v20, 60
	v_lshlrev_b32_e32 v8, 20, v8
	v_and_b32_e32 v15, 0x80000000, v15
	v_lshl_add_u32 v6, v6, 23, v20
	v_or3_b32 v8, v15, v6, v8
.LBB546_681:
	s_or_b64 exec, exec, s[12:13]
.LBB546_682:
	s_or_b64 exec, exec, s[10:11]
.LBB546_683:
	s_or_b64 exec, exec, s[8:9]
	s_mov_b32 s7, 0xffffff
	v_cmp_lt_u32_e32 vcc, s7, v9
	v_mov_b32_e32 v15, 0
	v_mov_b32_e32 v20, 0
	s_and_saveexec_b64 s[8:9], vcc
	s_cbranch_execz .LBB546_689
; %bb.684:
	v_lshrrev_b32_e32 v6, 24, v9
	s_movk_i32 s7, 0x80
	v_cmp_ne_u32_e32 vcc, s7, v6
	v_bfrev_b32_e32 v20, 1
	s_and_saveexec_b64 s[10:11], vcc
	s_cbranch_execz .LBB546_688
; %bb.685:
	v_bfe_u32 v9, v9, 24, 7
	s_movk_i32 s7, 0x7f
	v_cmp_ne_u32_e32 vcc, s7, v9
	v_mov_b32_e32 v20, 0x7f800001
	s_and_saveexec_b64 s[12:13], vcc
	s_cbranch_execz .LBB546_687
; %bb.686:
	v_and_b32_e32 v23, 7, v6
	v_ffbh_u32_e32 v20, v23
	v_min_u32_e32 v25, 32, v20
	v_subrev_u32_e32 v20, 28, v25
	v_lshlrev_b64 v[20:21], v20, v[6:7]
	v_lshrrev_b32_e32 v24, 3, v9
	v_sub_u32_e32 v21, 29, v25
	v_and_b32_e32 v20, 7, v20
	v_cmp_gt_u32_e32 vcc, 8, v9
	v_cndmask_b32_e32 v9, v24, v21, vcc
	v_cndmask_b32_e32 v20, v23, v20, vcc
	v_lshlrev_b32_e32 v6, 24, v6
	v_bfrev_b32_e32 v21, 60
	v_lshlrev_b32_e32 v20, 20, v20
	v_and_b32_e32 v6, 0x80000000, v6
	v_lshl_add_u32 v9, v9, 23, v21
	v_or3_b32 v20, v6, v9, v20
.LBB546_687:
	s_or_b64 exec, exec, s[12:13]
.LBB546_688:
	s_or_b64 exec, exec, s[10:11]
.LBB546_689:
	s_or_b64 exec, exec, s[8:9]
	v_cvt_pkrtz_f16_f32 v6, v14, v16
	v_cvt_pkrtz_f16_f32 v7, v7, v18
	ds_read_b128 v[28:31], v22 offset:4112
	s_waitcnt vmcnt(0)
	v_cmp_ne_u16_sdwa s[10:11], v2, v15 src0_sel:BYTE_0 src1_sel:DWORD
	s_waitcnt lgkmcnt(0)
	v_mfma_f32_16x16x16f16 v[10:13], v[6:7], v[28:29], v[10:13]
	v_cvt_pkrtz_f16_f32 v6, v17, v19
	v_cvt_pkrtz_f16_f32 v7, v8, v20
	s_nop 1
	v_mfma_f32_16x16x16f16 v[6:9], v[6:7], v[30:31], v[10:13]
	s_and_saveexec_b64 s[8:9], s[10:11]
	s_cbranch_execz .LBB546_695
; %bb.690:
	s_movk_i32 s7, 0x80
	v_cmp_ne_u16_sdwa s[12:13], v2, s7 src0_sel:BYTE_0 src1_sel:DWORD
	v_bfrev_b32_e32 v15, 1
	s_and_saveexec_b64 s[10:11], s[12:13]
	s_cbranch_execz .LBB546_694
; %bb.691:
	s_movk_i32 s7, 0x7f
	v_and_b32_e32 v10, 0x7f, v2
	v_cmp_ne_u32_e32 vcc, s7, v10
	v_mov_b32_e32 v15, 0x7f800001
	s_and_saveexec_b64 s[12:13], vcc
	s_cbranch_execz .LBB546_693
; %bb.692:
	v_and_b32_e32 v11, 7, v2
	v_ffbh_u32_e32 v12, v11
	v_min_u32_e32 v15, 32, v12
	v_subrev_u32_e32 v12, 28, v15
	v_lshlrev_b64 v[12:13], v12, v[2:3]
	v_lshrrev_b32_e32 v14, 3, v10
	v_sub_u32_e32 v13, 29, v15
	v_and_b32_e32 v12, 7, v12
	v_cmp_gt_u32_e32 vcc, 8, v10
	v_cndmask_b32_e32 v10, v14, v13, vcc
	v_cndmask_b32_e32 v11, v11, v12, vcc
	v_lshlrev_b32_e32 v12, 24, v2
	v_bfrev_b32_e32 v13, 60
	v_lshlrev_b32_e32 v11, 20, v11
	v_and_b32_e32 v12, 0x80000000, v12
	v_lshl_add_u32 v10, v10, 23, v13
	v_or3_b32 v15, v12, v10, v11
.LBB546_693:
	s_or_b64 exec, exec, s[12:13]
.LBB546_694:
	s_or_b64 exec, exec, s[10:11]
.LBB546_695:
	s_or_b64 exec, exec, s[8:9]
	s_nop 3
	v_lshrrev_b16_e32 v10, 8, v2
	v_cmp_ne_u16_e32 vcc, 0, v10
	v_mov_b32_e32 v11, 0
	v_mov_b32_e32 v12, 0
	s_and_saveexec_b64 s[8:9], vcc
	s_cbranch_execz .LBB546_701
; %bb.696:
	s_movk_i32 s7, 0x80
	v_cmp_ne_u16_e32 vcc, s7, v10
	v_bfrev_b32_e32 v12, 1
	s_and_saveexec_b64 s[10:11], vcc
	s_cbranch_execz .LBB546_700
; %bb.697:
	s_movk_i32 s7, 0x7f
	v_and_b32_e32 v13, 0x7f, v10
	v_cmp_ne_u32_e32 vcc, s7, v13
	v_mov_b32_e32 v12, 0x7f800001
	s_and_saveexec_b64 s[12:13], vcc
	s_cbranch_execz .LBB546_699
; %bb.698:
	v_and_b32_e32 v12, 7, v10
	v_ffbh_u32_e32 v16, v12
	v_min_u32_e32 v18, 32, v16
	v_subrev_u32_e32 v16, 28, v18
	v_lshlrev_b64 v[16:17], v16, v[10:11]
	v_lshrrev_b32_e32 v14, 3, v13
	v_sub_u32_e32 v10, 29, v18
	v_and_b32_e32 v16, 7, v16
	v_cmp_gt_u32_e32 vcc, 8, v13
	v_cndmask_b32_e32 v10, v14, v10, vcc
	v_cndmask_b32_e32 v12, v12, v16, vcc
	v_lshlrev_b32_e32 v13, 16, v2
	v_bfrev_b32_e32 v14, 60
	v_lshlrev_b32_e32 v12, 20, v12
	v_and_b32_e32 v13, 0x80000000, v13
	v_lshl_add_u32 v10, v10, 23, v14
	v_or3_b32 v12, v13, v10, v12
.LBB546_699:
	s_or_b64 exec, exec, s[12:13]
.LBB546_700:
	s_or_b64 exec, exec, s[10:11]
.LBB546_701:
	s_or_b64 exec, exec, s[8:9]
	s_movk_i32 s7, 0xff
	v_and_b32_sdwa v13, v2, s7 dst_sel:DWORD dst_unused:UNUSED_PAD src0_sel:WORD_1 src1_sel:DWORD
	v_lshrrev_b32_e32 v10, 16, v2
	v_cmp_ne_u16_e32 vcc, 0, v13
	s_and_saveexec_b64 s[8:9], vcc
	s_cbranch_execz .LBB546_707
; %bb.702:
	s_movk_i32 s7, 0x80
	v_cmp_ne_u16_e32 vcc, s7, v13
	v_bfrev_b32_e32 v11, 1
	s_and_saveexec_b64 s[10:11], vcc
	s_cbranch_execz .LBB546_706
; %bb.703:
	v_bfe_u32 v13, v2, 16, 7
	s_movk_i32 s7, 0x7f
	v_cmp_ne_u32_e32 vcc, s7, v13
	v_mov_b32_e32 v11, 0x7f800001
	s_and_saveexec_b64 s[12:13], vcc
	s_cbranch_execz .LBB546_705
; %bb.704:
	v_and_b32_e32 v14, 7, v10
	v_ffbh_u32_e32 v11, v14
	v_min_u32_e32 v17, 32, v11
	v_subrev_u32_e32 v11, 28, v17
	v_lshlrev_b64 v[10:11], v11, v[10:11]
	v_lshrrev_b32_e32 v16, 3, v13
	v_sub_u32_e32 v11, 29, v17
	v_and_b32_e32 v10, 7, v10
	v_cmp_gt_u32_e32 vcc, 8, v13
	v_mov_b32_e32 v13, 24
	v_cndmask_b32_e32 v11, v16, v11, vcc
	v_cndmask_b32_e32 v10, v14, v10, vcc
	v_lshlrev_b32_sdwa v13, v13, v2 dst_sel:DWORD dst_unused:UNUSED_PAD src0_sel:DWORD src1_sel:WORD_1
	v_bfrev_b32_e32 v14, 60
	v_lshlrev_b32_e32 v10, 20, v10
	v_and_b32_e32 v13, 0x80000000, v13
	v_lshl_add_u32 v11, v11, 23, v14
	v_or3_b32 v11, v13, v11, v10
.LBB546_705:
	s_or_b64 exec, exec, s[12:13]
.LBB546_706:
	s_or_b64 exec, exec, s[10:11]
.LBB546_707:
	s_or_b64 exec, exec, s[8:9]
	s_mov_b32 s7, 0xffffff
	v_cmp_lt_u32_e32 vcc, s7, v2
	v_mov_b32_e32 v13, 0
	v_mov_b32_e32 v14, 0
	s_and_saveexec_b64 s[8:9], vcc
	s_cbranch_execz .LBB546_713
; %bb.708:
	v_lshrrev_b32_e32 v10, 24, v2
	s_movk_i32 s7, 0x80
	v_cmp_ne_u32_e32 vcc, s7, v10
	v_bfrev_b32_e32 v14, 1
	s_and_saveexec_b64 s[10:11], vcc
	s_cbranch_execz .LBB546_712
; %bb.709:
	v_bfe_u32 v2, v2, 24, 7
	s_movk_i32 s7, 0x7f
	v_cmp_ne_u32_e32 vcc, s7, v2
	v_mov_b32_e32 v14, 0x7f800001
	s_and_saveexec_b64 s[12:13], vcc
	s_cbranch_execz .LBB546_711
; %bb.710:
	v_and_b32_e32 v14, 7, v10
	v_ffbh_u32_e32 v16, v14
	v_min_u32_e32 v19, 32, v16
	v_subrev_u32_e32 v16, 28, v19
	v_lshlrev_b64 v[16:17], v16, v[10:11]
	v_lshrrev_b32_e32 v18, 3, v2
	v_sub_u32_e32 v17, 29, v19
	v_and_b32_e32 v16, 7, v16
	v_cmp_gt_u32_e32 vcc, 8, v2
	v_cndmask_b32_e32 v2, v18, v17, vcc
	v_cndmask_b32_e32 v14, v14, v16, vcc
	v_lshlrev_b32_e32 v10, 24, v10
	v_bfrev_b32_e32 v16, 60
	v_lshlrev_b32_e32 v14, 20, v14
	v_and_b32_e32 v10, 0x80000000, v10
	v_lshl_add_u32 v2, v2, 23, v16
	v_or3_b32 v14, v10, v2, v14
.LBB546_711:
	s_or_b64 exec, exec, s[12:13]
.LBB546_712:
	s_or_b64 exec, exec, s[10:11]
.LBB546_713:
	s_or_b64 exec, exec, s[8:9]
	v_cmp_ne_u16_sdwa s[10:11], v3, v13 src0_sel:BYTE_0 src1_sel:DWORD
	s_and_saveexec_b64 s[8:9], s[10:11]
	s_cbranch_execz .LBB546_719
; %bb.714:
	s_movk_i32 s7, 0x80
	v_cmp_ne_u16_sdwa s[12:13], v3, s7 src0_sel:BYTE_0 src1_sel:DWORD
	v_bfrev_b32_e32 v13, 1
	s_and_saveexec_b64 s[10:11], s[12:13]
	s_cbranch_execz .LBB546_718
; %bb.715:
	s_movk_i32 s7, 0x7f
	v_and_b32_e32 v2, 0x7f, v3
	v_cmp_ne_u32_e32 vcc, s7, v2
	v_mov_b32_e32 v13, 0x7f800001
	s_and_saveexec_b64 s[12:13], vcc
	s_cbranch_execz .LBB546_717
; %bb.716:
	v_and_b32_e32 v13, 7, v3
	v_ffbh_u32_e32 v16, v13
	v_min_u32_e32 v19, 32, v16
	v_mov_b32_e32 v10, v3
	v_subrev_u32_e32 v16, 28, v19
	v_lshlrev_b64 v[16:17], v16, v[10:11]
	v_lshrrev_b32_e32 v18, 3, v2
	v_sub_u32_e32 v10, 29, v19
	v_and_b32_e32 v16, 7, v16
	v_cmp_gt_u32_e32 vcc, 8, v2
	v_cndmask_b32_e32 v2, v18, v10, vcc
	v_cndmask_b32_e32 v10, v13, v16, vcc
	v_lshlrev_b32_e32 v13, 24, v3
	v_bfrev_b32_e32 v16, 60
	v_lshlrev_b32_e32 v10, 20, v10
	v_and_b32_e32 v13, 0x80000000, v13
	v_lshl_add_u32 v2, v2, 23, v16
	v_or3_b32 v13, v13, v2, v10
.LBB546_717:
	s_or_b64 exec, exec, s[12:13]
.LBB546_718:
	s_or_b64 exec, exec, s[10:11]
.LBB546_719:
	s_or_b64 exec, exec, s[8:9]
	v_lshrrev_b16_e32 v2, 8, v3
	v_cmp_ne_u16_e32 vcc, 0, v2
	v_mov_b32_e32 v16, 0
	v_mov_b32_e32 v17, 0
	s_and_saveexec_b64 s[8:9], vcc
	s_cbranch_execz .LBB546_725
; %bb.720:
	s_movk_i32 s7, 0x80
	v_cmp_ne_u16_e32 vcc, s7, v2
	v_bfrev_b32_e32 v17, 1
	s_and_saveexec_b64 s[10:11], vcc
	s_cbranch_execz .LBB546_724
; %bb.721:
	s_movk_i32 s7, 0x7f
	v_and_b32_e32 v10, 0x7f, v2
	v_cmp_ne_u32_e32 vcc, s7, v10
	v_mov_b32_e32 v17, 0x7f800001
	s_and_saveexec_b64 s[12:13], vcc
	s_cbranch_execz .LBB546_723
; %bb.722:
	v_and_b32_e32 v17, 7, v2
	v_ffbh_u32_e32 v18, v17
	v_min_u32_e32 v21, 32, v18
	v_subrev_u32_e32 v18, 28, v21
	v_lshlrev_b64 v[18:19], v18, v[2:3]
	v_lshrrev_b32_e32 v20, 3, v10
	v_sub_u32_e32 v2, 29, v21
	v_and_b32_e32 v18, 7, v18
	v_cmp_gt_u32_e32 vcc, 8, v10
	v_cndmask_b32_e32 v2, v20, v2, vcc
	v_cndmask_b32_e32 v10, v17, v18, vcc
	v_lshlrev_b32_e32 v17, 16, v3
	v_bfrev_b32_e32 v18, 60
	v_lshlrev_b32_e32 v10, 20, v10
	v_and_b32_e32 v17, 0x80000000, v17
	v_lshl_add_u32 v2, v2, 23, v18
	v_or3_b32 v17, v17, v2, v10
.LBB546_723:
	s_or_b64 exec, exec, s[12:13]
.LBB546_724:
	s_or_b64 exec, exec, s[10:11]
.LBB546_725:
	s_or_b64 exec, exec, s[8:9]
	s_movk_i32 s7, 0xff
	v_and_b32_sdwa v10, v3, s7 dst_sel:DWORD dst_unused:UNUSED_PAD src0_sel:WORD_1 src1_sel:DWORD
	v_lshrrev_b32_e32 v2, 16, v3
	v_cmp_ne_u16_e32 vcc, 0, v10
	s_and_saveexec_b64 s[8:9], vcc
	s_cbranch_execz .LBB546_731
; %bb.726:
	s_movk_i32 s7, 0x80
	v_cmp_ne_u16_e32 vcc, s7, v10
	v_bfrev_b32_e32 v16, 1
	s_and_saveexec_b64 s[10:11], vcc
	s_cbranch_execz .LBB546_730
; %bb.727:
	v_bfe_u32 v10, v3, 16, 7
	s_movk_i32 s7, 0x7f
	v_cmp_ne_u32_e32 vcc, s7, v10
	v_mov_b32_e32 v16, 0x7f800001
	s_and_saveexec_b64 s[12:13], vcc
	s_cbranch_execz .LBB546_729
; %bb.728:
	v_and_b32_e32 v16, 7, v2
	v_ffbh_u32_e32 v18, v16
	v_min_u32_e32 v21, 32, v18
	v_subrev_u32_e32 v18, 28, v21
	v_lshlrev_b64 v[18:19], v18, v[2:3]
	v_and_b32_e32 v18, 7, v18
	v_cmp_gt_u32_e32 vcc, 8, v10
	v_lshrrev_b32_e32 v20, 3, v10
	v_sub_u32_e32 v2, 29, v21
	v_cndmask_b32_e32 v10, v16, v18, vcc
	v_mov_b32_e32 v16, 24
	v_cndmask_b32_e32 v2, v20, v2, vcc
	v_lshlrev_b32_sdwa v16, v16, v3 dst_sel:DWORD dst_unused:UNUSED_PAD src0_sel:DWORD src1_sel:WORD_1
	v_bfrev_b32_e32 v18, 60
	v_lshlrev_b32_e32 v10, 20, v10
	v_and_b32_e32 v16, 0x80000000, v16
	v_lshl_add_u32 v2, v2, 23, v18
	v_or3_b32 v16, v16, v2, v10
.LBB546_729:
	s_or_b64 exec, exec, s[12:13]
.LBB546_730:
	s_or_b64 exec, exec, s[10:11]
.LBB546_731:
	s_or_b64 exec, exec, s[8:9]
	s_mov_b32 s7, 0xffffff
	v_cmp_lt_u32_e32 vcc, s7, v3
	v_mov_b32_e32 v10, 0
	v_mov_b32_e32 v18, 0
	s_and_saveexec_b64 s[8:9], vcc
	s_cbranch_execz .LBB546_737
; %bb.732:
	v_lshrrev_b32_e32 v2, 24, v3
	s_movk_i32 s7, 0x80
	v_cmp_ne_u32_e32 vcc, s7, v2
	v_bfrev_b32_e32 v18, 1
	s_and_saveexec_b64 s[10:11], vcc
	s_cbranch_execz .LBB546_736
; %bb.733:
	v_bfe_u32 v3, v3, 24, 7
	s_movk_i32 s7, 0x7f
	v_cmp_ne_u32_e32 vcc, s7, v3
	v_mov_b32_e32 v18, 0x7f800001
	s_and_saveexec_b64 s[12:13], vcc
	s_cbranch_execz .LBB546_735
; %bb.734:
	v_and_b32_e32 v20, 7, v2
	v_ffbh_u32_e32 v18, v20
	v_min_u32_e32 v23, 32, v18
	v_subrev_u32_e32 v18, 28, v23
	v_lshlrev_b64 v[18:19], v18, v[2:3]
	v_lshrrev_b32_e32 v21, 3, v3
	v_sub_u32_e32 v19, 29, v23
	v_and_b32_e32 v18, 7, v18
	v_cmp_gt_u32_e32 vcc, 8, v3
	v_cndmask_b32_e32 v3, v21, v19, vcc
	v_cndmask_b32_e32 v18, v20, v18, vcc
	v_lshlrev_b32_e32 v2, 24, v2
	v_bfrev_b32_e32 v19, 60
	v_lshlrev_b32_e32 v18, 20, v18
	v_and_b32_e32 v2, 0x80000000, v2
	v_lshl_add_u32 v3, v3, 23, v19
	v_or3_b32 v18, v2, v3, v18
.LBB546_735:
	s_or_b64 exec, exec, s[12:13]
.LBB546_736:
	s_or_b64 exec, exec, s[10:11]
.LBB546_737:
	s_or_b64 exec, exec, s[8:9]
	v_cvt_pkrtz_f16_f32 v2, v15, v12
	v_cvt_pkrtz_f16_f32 v3, v11, v14
	ds_read_b128 v[28:31], v22 offset:6144
	v_cmp_ne_u16_sdwa s[10:11], v4, v10 src0_sel:BYTE_0 src1_sel:DWORD
	s_waitcnt lgkmcnt(0)
	v_mfma_f32_16x16x16f16 v[6:9], v[2:3], v[28:29], v[6:9]
	v_cvt_pkrtz_f16_f32 v2, v13, v17
	v_cvt_pkrtz_f16_f32 v3, v16, v18
	s_nop 1
	v_mfma_f32_16x16x16f16 v[6:9], v[2:3], v[30:31], v[6:9]
	s_and_saveexec_b64 s[8:9], s[10:11]
	s_cbranch_execz .LBB546_743
; %bb.738:
	s_movk_i32 s7, 0x80
	v_cmp_ne_u16_sdwa s[12:13], v4, s7 src0_sel:BYTE_0 src1_sel:DWORD
	v_bfrev_b32_e32 v10, 1
	s_and_saveexec_b64 s[10:11], s[12:13]
	s_cbranch_execz .LBB546_742
; %bb.739:
	s_movk_i32 s7, 0x7f
	v_and_b32_e32 v2, 0x7f, v4
	v_cmp_ne_u32_e32 vcc, s7, v2
	v_mov_b32_e32 v10, 0x7f800001
	s_and_saveexec_b64 s[12:13], vcc
	s_cbranch_execz .LBB546_741
; %bb.740:
	v_and_b32_e32 v3, 7, v4
	v_ffbh_u32_e32 v10, v3
	v_min_u32_e32 v13, 32, v10
	v_subrev_u32_e32 v10, 28, v13
	v_lshlrev_b64 v[10:11], v10, v[4:5]
	v_lshrrev_b32_e32 v12, 3, v2
	v_sub_u32_e32 v11, 29, v13
	v_and_b32_e32 v10, 7, v10
	v_cmp_gt_u32_e32 vcc, 8, v2
	v_cndmask_b32_e32 v2, v12, v11, vcc
	v_cndmask_b32_e32 v3, v3, v10, vcc
	v_lshlrev_b32_e32 v10, 24, v4
	v_bfrev_b32_e32 v11, 60
	v_lshlrev_b32_e32 v3, 20, v3
	v_and_b32_e32 v10, 0x80000000, v10
	v_lshl_add_u32 v2, v2, 23, v11
	v_or3_b32 v10, v10, v2, v3
.LBB546_741:
	s_or_b64 exec, exec, s[12:13]
.LBB546_742:
	s_or_b64 exec, exec, s[10:11]
.LBB546_743:
	s_or_b64 exec, exec, s[8:9]
	v_lshrrev_b16_e32 v2, 8, v4
	v_cmp_ne_u16_e32 vcc, 0, v2
	v_mov_b32_e32 v3, 0
	v_mov_b32_e32 v11, 0
	s_and_saveexec_b64 s[8:9], vcc
	s_cbranch_execz .LBB546_749
; %bb.744:
	s_movk_i32 s7, 0x80
	v_cmp_ne_u16_e32 vcc, s7, v2
	v_bfrev_b32_e32 v11, 1
	s_and_saveexec_b64 s[10:11], vcc
	s_cbranch_execz .LBB546_748
; %bb.745:
	s_movk_i32 s7, 0x7f
	v_and_b32_e32 v12, 0x7f, v2
	v_cmp_ne_u32_e32 vcc, s7, v12
	v_mov_b32_e32 v11, 0x7f800001
	s_and_saveexec_b64 s[12:13], vcc
	s_cbranch_execz .LBB546_747
; %bb.746:
	v_and_b32_e32 v11, 7, v2
	v_ffbh_u32_e32 v14, v11
	v_min_u32_e32 v16, 32, v14
	v_subrev_u32_e32 v14, 28, v16
	v_lshlrev_b64 v[14:15], v14, v[2:3]
	v_lshrrev_b32_e32 v13, 3, v12
	v_sub_u32_e32 v2, 29, v16
	v_and_b32_e32 v14, 7, v14
	v_cmp_gt_u32_e32 vcc, 8, v12
	v_cndmask_b32_e32 v2, v13, v2, vcc
	v_cndmask_b32_e32 v11, v11, v14, vcc
	v_lshlrev_b32_e32 v12, 16, v4
	v_bfrev_b32_e32 v13, 60
	v_lshlrev_b32_e32 v11, 20, v11
	v_and_b32_e32 v12, 0x80000000, v12
	v_lshl_add_u32 v2, v2, 23, v13
	v_or3_b32 v11, v12, v2, v11
.LBB546_747:
	s_or_b64 exec, exec, s[12:13]
.LBB546_748:
	s_or_b64 exec, exec, s[10:11]
.LBB546_749:
	s_or_b64 exec, exec, s[8:9]
	s_movk_i32 s7, 0xff
	v_and_b32_sdwa v12, v4, s7 dst_sel:DWORD dst_unused:UNUSED_PAD src0_sel:WORD_1 src1_sel:DWORD
	v_lshrrev_b32_e32 v2, 16, v4
	v_cmp_ne_u16_e32 vcc, 0, v12
	s_and_saveexec_b64 s[8:9], vcc
	s_cbranch_execz .LBB546_755
; %bb.750:
	s_movk_i32 s7, 0x80
	v_cmp_ne_u16_e32 vcc, s7, v12
	v_bfrev_b32_e32 v3, 1
	s_and_saveexec_b64 s[10:11], vcc
	s_cbranch_execz .LBB546_754
; %bb.751:
	v_bfe_u32 v12, v4, 16, 7
	s_movk_i32 s7, 0x7f
	v_cmp_ne_u32_e32 vcc, s7, v12
	v_mov_b32_e32 v3, 0x7f800001
	s_and_saveexec_b64 s[12:13], vcc
	s_cbranch_execz .LBB546_753
; %bb.752:
	v_and_b32_e32 v13, 7, v2
	v_ffbh_u32_e32 v3, v13
	v_min_u32_e32 v15, 32, v3
	v_subrev_u32_e32 v3, 28, v15
	v_lshlrev_b64 v[2:3], v3, v[2:3]
	v_lshrrev_b32_e32 v14, 3, v12
	v_sub_u32_e32 v3, 29, v15
	v_and_b32_e32 v2, 7, v2
	v_cmp_gt_u32_e32 vcc, 8, v12
	v_mov_b32_e32 v12, 24
	v_cndmask_b32_e32 v3, v14, v3, vcc
	v_cndmask_b32_e32 v2, v13, v2, vcc
	v_lshlrev_b32_sdwa v12, v12, v4 dst_sel:DWORD dst_unused:UNUSED_PAD src0_sel:DWORD src1_sel:WORD_1
	v_bfrev_b32_e32 v13, 60
	v_lshlrev_b32_e32 v2, 20, v2
	v_and_b32_e32 v12, 0x80000000, v12
	v_lshl_add_u32 v3, v3, 23, v13
	v_or3_b32 v3, v12, v3, v2
.LBB546_753:
	s_or_b64 exec, exec, s[12:13]
.LBB546_754:
	s_or_b64 exec, exec, s[10:11]
.LBB546_755:
	s_or_b64 exec, exec, s[8:9]
	s_mov_b32 s7, 0xffffff
	v_cmp_lt_u32_e32 vcc, s7, v4
	v_mov_b32_e32 v12, 0
	v_mov_b32_e32 v13, 0
	s_and_saveexec_b64 s[8:9], vcc
	s_cbranch_execz .LBB546_761
; %bb.756:
	v_lshrrev_b32_e32 v2, 24, v4
	s_movk_i32 s7, 0x80
	v_cmp_ne_u32_e32 vcc, s7, v2
	v_bfrev_b32_e32 v13, 1
	s_and_saveexec_b64 s[10:11], vcc
	s_cbranch_execz .LBB546_760
; %bb.757:
	v_bfe_u32 v4, v4, 24, 7
	s_movk_i32 s7, 0x7f
	v_cmp_ne_u32_e32 vcc, s7, v4
	v_mov_b32_e32 v13, 0x7f800001
	s_and_saveexec_b64 s[12:13], vcc
	s_cbranch_execz .LBB546_759
; %bb.758:
	v_and_b32_e32 v13, 7, v2
	v_ffbh_u32_e32 v14, v13
	v_min_u32_e32 v17, 32, v14
	v_subrev_u32_e32 v14, 28, v17
	v_lshlrev_b64 v[14:15], v14, v[2:3]
	v_lshrrev_b32_e32 v16, 3, v4
	v_sub_u32_e32 v15, 29, v17
	v_and_b32_e32 v14, 7, v14
	v_cmp_gt_u32_e32 vcc, 8, v4
	v_cndmask_b32_e32 v4, v16, v15, vcc
	v_cndmask_b32_e32 v13, v13, v14, vcc
	v_lshlrev_b32_e32 v2, 24, v2
	v_bfrev_b32_e32 v14, 60
	v_lshlrev_b32_e32 v13, 20, v13
	v_and_b32_e32 v2, 0x80000000, v2
	v_lshl_add_u32 v4, v4, 23, v14
	v_or3_b32 v13, v2, v4, v13
.LBB546_759:
	s_or_b64 exec, exec, s[12:13]
.LBB546_760:
	s_or_b64 exec, exec, s[10:11]
.LBB546_761:
	s_or_b64 exec, exec, s[8:9]
	v_cmp_ne_u16_sdwa s[10:11], v5, v12 src0_sel:BYTE_0 src1_sel:DWORD
	s_and_saveexec_b64 s[8:9], s[10:11]
	s_cbranch_execz .LBB546_767
; %bb.762:
	s_movk_i32 s7, 0x80
	v_cmp_ne_u16_sdwa s[12:13], v5, s7 src0_sel:BYTE_0 src1_sel:DWORD
	v_bfrev_b32_e32 v12, 1
	s_and_saveexec_b64 s[10:11], s[12:13]
	s_cbranch_execz .LBB546_766
; %bb.763:
	s_movk_i32 s7, 0x7f
	v_and_b32_e32 v2, 0x7f, v5
	v_cmp_ne_u32_e32 vcc, s7, v2
	v_mov_b32_e32 v12, 0x7f800001
	s_and_saveexec_b64 s[12:13], vcc
	s_cbranch_execz .LBB546_765
; %bb.764:
	v_and_b32_e32 v12, 7, v5
	v_ffbh_u32_e32 v14, v12
	v_min_u32_e32 v17, 32, v14
	v_mov_b32_e32 v4, v5
	v_subrev_u32_e32 v14, 28, v17
	v_lshlrev_b64 v[14:15], v14, v[4:5]
	v_lshrrev_b32_e32 v16, 3, v2
	v_sub_u32_e32 v4, 29, v17
	v_and_b32_e32 v14, 7, v14
	v_cmp_gt_u32_e32 vcc, 8, v2
	v_cndmask_b32_e32 v2, v16, v4, vcc
	v_cndmask_b32_e32 v4, v12, v14, vcc
	v_lshlrev_b32_e32 v12, 24, v5
	v_bfrev_b32_e32 v14, 60
	v_lshlrev_b32_e32 v4, 20, v4
	v_and_b32_e32 v12, 0x80000000, v12
	v_lshl_add_u32 v2, v2, 23, v14
	v_or3_b32 v12, v12, v2, v4
.LBB546_765:
	s_or_b64 exec, exec, s[12:13]
.LBB546_766:
	s_or_b64 exec, exec, s[10:11]
.LBB546_767:
	s_or_b64 exec, exec, s[8:9]
	v_lshrrev_b16_e32 v2, 8, v5
	v_cmp_ne_u16_e32 vcc, 0, v2
	v_mov_b32_e32 v4, 0
	v_mov_b32_e32 v14, 0
	s_and_saveexec_b64 s[8:9], vcc
	s_cbranch_execz .LBB546_773
; %bb.768:
	s_movk_i32 s7, 0x80
	v_cmp_ne_u16_e32 vcc, s7, v2
	v_bfrev_b32_e32 v14, 1
	s_and_saveexec_b64 s[10:11], vcc
	s_cbranch_execz .LBB546_772
; %bb.769:
	s_movk_i32 s7, 0x7f
	v_and_b32_e32 v15, 0x7f, v2
	v_cmp_ne_u32_e32 vcc, s7, v15
	v_mov_b32_e32 v14, 0x7f800001
	s_and_saveexec_b64 s[12:13], vcc
	s_cbranch_execz .LBB546_771
; %bb.770:
	v_and_b32_e32 v14, 7, v2
	v_ffbh_u32_e32 v16, v14
	v_min_u32_e32 v19, 32, v16
	v_subrev_u32_e32 v16, 28, v19
	v_lshlrev_b64 v[16:17], v16, v[2:3]
	v_lshrrev_b32_e32 v18, 3, v15
	v_sub_u32_e32 v2, 29, v19
	v_and_b32_e32 v16, 7, v16
	v_cmp_gt_u32_e32 vcc, 8, v15
	v_cndmask_b32_e32 v2, v18, v2, vcc
	v_cndmask_b32_e32 v14, v14, v16, vcc
	v_lshlrev_b32_e32 v15, 16, v5
	v_bfrev_b32_e32 v16, 60
	v_lshlrev_b32_e32 v14, 20, v14
	v_and_b32_e32 v15, 0x80000000, v15
	v_lshl_add_u32 v2, v2, 23, v16
	v_or3_b32 v14, v15, v2, v14
.LBB546_771:
	s_or_b64 exec, exec, s[12:13]
.LBB546_772:
	s_or_b64 exec, exec, s[10:11]
.LBB546_773:
	s_or_b64 exec, exec, s[8:9]
	s_movk_i32 s7, 0xff
	v_and_b32_sdwa v15, v5, s7 dst_sel:DWORD dst_unused:UNUSED_PAD src0_sel:WORD_1 src1_sel:DWORD
	v_lshrrev_b32_e32 v2, 16, v5
	v_cmp_ne_u16_e32 vcc, 0, v15
	s_and_saveexec_b64 s[8:9], vcc
	s_cbranch_execz .LBB546_779
; %bb.774:
	s_movk_i32 s7, 0x80
	v_cmp_ne_u16_e32 vcc, s7, v15
	v_bfrev_b32_e32 v4, 1
	s_and_saveexec_b64 s[10:11], vcc
	s_cbranch_execz .LBB546_778
; %bb.775:
	v_bfe_u32 v15, v5, 16, 7
	s_movk_i32 s7, 0x7f
	v_cmp_ne_u32_e32 vcc, s7, v15
	v_mov_b32_e32 v4, 0x7f800001
	s_and_saveexec_b64 s[12:13], vcc
	s_cbranch_execz .LBB546_777
; %bb.776:
	v_and_b32_e32 v4, 7, v2
	v_ffbh_u32_e32 v16, v4
	v_min_u32_e32 v19, 32, v16
	v_subrev_u32_e32 v16, 28, v19
	v_lshlrev_b64 v[16:17], v16, v[2:3]
	v_lshrrev_b32_e32 v18, 3, v15
	v_sub_u32_e32 v2, 29, v19
	v_and_b32_e32 v16, 7, v16
	v_cmp_gt_u32_e32 vcc, 8, v15
	v_mov_b32_e32 v15, 24
	v_cndmask_b32_e32 v2, v18, v2, vcc
	v_cndmask_b32_e32 v4, v4, v16, vcc
	v_lshlrev_b32_sdwa v15, v15, v5 dst_sel:DWORD dst_unused:UNUSED_PAD src0_sel:DWORD src1_sel:WORD_1
	v_bfrev_b32_e32 v16, 60
	v_lshlrev_b32_e32 v4, 20, v4
	v_and_b32_e32 v15, 0x80000000, v15
	v_lshl_add_u32 v2, v2, 23, v16
	v_or3_b32 v4, v15, v2, v4
.LBB546_777:
	s_or_b64 exec, exec, s[12:13]
.LBB546_778:
	s_or_b64 exec, exec, s[10:11]
.LBB546_779:
	s_or_b64 exec, exec, s[8:9]
	s_mov_b32 s7, 0xffffff
	v_cmp_lt_u32_e32 vcc, s7, v5
	v_mov_b32_e32 v15, 0
	s_and_saveexec_b64 s[8:9], vcc
	s_cbranch_execz .LBB546_785
; %bb.780:
	v_lshrrev_b32_e32 v2, 24, v5
	s_movk_i32 s7, 0x80
	v_cmp_ne_u32_e32 vcc, s7, v2
	v_bfrev_b32_e32 v15, 1
	s_and_saveexec_b64 s[10:11], vcc
	s_cbranch_execz .LBB546_784
; %bb.781:
	v_bfe_u32 v5, v5, 24, 7
	s_movk_i32 s7, 0x7f
	v_cmp_ne_u32_e32 vcc, s7, v5
	v_mov_b32_e32 v15, 0x7f800001
	s_and_saveexec_b64 s[12:13], vcc
	s_cbranch_execz .LBB546_783
; %bb.782:
	v_and_b32_e32 v15, 7, v2
	v_ffbh_u32_e32 v16, v15
	v_min_u32_e32 v19, 32, v16
	v_subrev_u32_e32 v16, 28, v19
	v_lshlrev_b64 v[16:17], v16, v[2:3]
	v_lshrrev_b32_e32 v18, 3, v5
	v_sub_u32_e32 v17, 29, v19
	v_and_b32_e32 v16, 7, v16
	v_cmp_gt_u32_e32 vcc, 8, v5
	v_cndmask_b32_e32 v5, v18, v17, vcc
	v_cndmask_b32_e32 v15, v15, v16, vcc
	v_lshlrev_b32_e32 v2, 24, v2
	v_bfrev_b32_e32 v16, 60
	v_lshlrev_b32_e32 v15, 20, v15
	v_and_b32_e32 v2, 0x80000000, v2
	v_lshl_add_u32 v5, v5, 23, v16
	v_or3_b32 v15, v2, v5, v15
.LBB546_783:
	s_or_b64 exec, exec, s[12:13]
.LBB546_784:
	s_or_b64 exec, exec, s[10:11]
.LBB546_785:
	s_or_b64 exec, exec, s[8:9]
	v_cvt_pkrtz_f16_f32 v2, v10, v11
	v_cvt_pkrtz_f16_f32 v3, v3, v13
	ds_read_b128 v[16:19], v22 offset:6160
	s_load_dword s8, s[42:43], 0x0
	v_cmp_gt_u32_e32 vcc, 64, v0
	s_waitcnt lgkmcnt(0)
	v_mfma_f32_16x16x16f16 v[6:9], v[2:3], v[16:17], v[6:9]
	v_cvt_pkrtz_f16_f32 v2, v12, v14
	v_cvt_pkrtz_f16_f32 v3, v4, v15
	s_and_b64 s[0:1], vcc, s[0:1]
	s_barrier
	v_mfma_f32_16x16x16f16 v[2:5], v[2:3], v[18:19], v[6:9]
	s_nop 7
	s_nop 2
	v_pk_mul_f32 v[4:5], v[4:5], s[8:9] op_sel_hi:[1,0]
	v_pk_mul_f32 v[2:3], v[2:3], s[8:9] op_sel_hi:[1,0]
	v_cvt_f16_f32_e32 v2, v2
	v_cvt_f16_f32_e32 v3, v3
	;; [unrolled: 1-line block ×4, first 2 shown]
	v_pack_b32_f16 v2, v2, v3
	v_pack_b32_f16 v3, v4, v5
	ds_write_b64 v26, v[2:3]
	s_waitcnt lgkmcnt(0)
	s_barrier
	s_and_saveexec_b64 s[8:9], s[0:1]
	s_cbranch_execz .LBB546_788
; %bb.786:
	s_load_dwordx2 s[4:5], s[4:5], 0x68
	s_lshl_b32 s0, s44, 6
	s_mul_i32 s1, s14, s6
	s_mul_hi_u32 s9, s1, s0
	s_mul_i32 s8, s1, s0
	s_lshl_b64 s[8:9], s[8:9], 1
	s_waitcnt lgkmcnt(0)
	s_add_u32 s1, s4, s8
	v_lshlrev_b32_e32 v0, 10, v0
	s_mov_b32 s7, 0
	s_addc_u32 s8, s5, s9
	s_lshl_b32 s6, s24, 6
	v_and_b32_e32 v0, 0x1800, v0
	v_lshlrev_b32_e32 v2, 5, v1
	v_and_b32_e32 v3, 16, v47
	s_lshl_b64 s[4:5], s[6:7], 1
	v_or3_b32 v0, v0, v2, v3
	s_add_u32 s1, s1, s4
	s_addc_u32 s4, s8, s5
	ds_read_b128 v[4:7], v0
	v_add_u32_e32 v8, s25, v1
	v_mov_b32_e32 v3, s4
	v_add_co_u32_e32 v2, vcc, s1, v46
	v_mad_u64_u32 v[8:9], s[4:5], v8, s0, 0
	v_addc_co_u32_e32 v3, vcc, 0, v3, vcc
	v_lshlrev_b64 v[8:9], 1, v[8:9]
	v_add_co_u32_e32 v8, vcc, v2, v8
	v_addc_co_u32_e32 v9, vcc, v3, v9, vcc
	s_waitcnt lgkmcnt(0)
	global_store_dwordx4 v[8:9], v[4:7], off
	s_and_b64 exec, exec, s[2:3]
	s_cbranch_execz .LBB546_788
; %bb.787:
	ds_read_b128 v[4:7], v0 offset:128
	v_add3_u32 v0, s25, v1, 4
	v_mad_u64_u32 v[0:1], s[0:1], v0, s0, 0
	v_lshlrev_b64 v[0:1], 1, v[0:1]
	v_add_co_u32_e32 v0, vcc, v2, v0
	v_addc_co_u32_e32 v1, vcc, v3, v1, vcc
	s_waitcnt lgkmcnt(0)
	global_store_dwordx4 v[0:1], v[4:7], off
.LBB546_788:
	s_endpgm
	.section	.rodata,"a",@progbits
	.p2align	6, 0x0
	.amdhsa_kernel _Z39paged_attention_ll4mi_QKV_mfma16_kernelIDF16_hLN4vllm18Fp8KVCacheDataTypeE1EDF16_Li16ELi64ELi256ELb1ELi5EL8MFMAType0EEvPKT_PKT0_S8_ifPKiSA_SA_iPKfiiiPfSD_PS3_PT2_iSC_SC_
		.amdhsa_group_segment_fixed_size 8192
		.amdhsa_private_segment_fixed_size 0
		.amdhsa_kernarg_size 400
		.amdhsa_user_sgpr_count 6
		.amdhsa_user_sgpr_private_segment_buffer 1
		.amdhsa_user_sgpr_dispatch_ptr 0
		.amdhsa_user_sgpr_queue_ptr 0
		.amdhsa_user_sgpr_kernarg_segment_ptr 1
		.amdhsa_user_sgpr_dispatch_id 0
		.amdhsa_user_sgpr_flat_scratch_init 0
		.amdhsa_user_sgpr_kernarg_preload_length 0
		.amdhsa_user_sgpr_kernarg_preload_offset 0
		.amdhsa_user_sgpr_private_segment_size 0
		.amdhsa_uses_dynamic_stack 0
		.amdhsa_system_sgpr_private_segment_wavefront_offset 0
		.amdhsa_system_sgpr_workgroup_id_x 1
		.amdhsa_system_sgpr_workgroup_id_y 1
		.amdhsa_system_sgpr_workgroup_id_z 1
		.amdhsa_system_sgpr_workgroup_info 0
		.amdhsa_system_vgpr_workitem_id 0
		.amdhsa_next_free_vgpr 62
		.amdhsa_next_free_sgpr 47
		.amdhsa_accum_offset 64
		.amdhsa_reserve_vcc 1
		.amdhsa_reserve_flat_scratch 0
		.amdhsa_float_round_mode_32 0
		.amdhsa_float_round_mode_16_64 0
		.amdhsa_float_denorm_mode_32 3
		.amdhsa_float_denorm_mode_16_64 3
		.amdhsa_dx10_clamp 1
		.amdhsa_ieee_mode 1
		.amdhsa_fp16_overflow 0
		.amdhsa_tg_split 0
		.amdhsa_exception_fp_ieee_invalid_op 0
		.amdhsa_exception_fp_denorm_src 0
		.amdhsa_exception_fp_ieee_div_zero 0
		.amdhsa_exception_fp_ieee_overflow 0
		.amdhsa_exception_fp_ieee_underflow 0
		.amdhsa_exception_fp_ieee_inexact 0
		.amdhsa_exception_int_div_zero 0
	.end_amdhsa_kernel
	.section	.text._Z39paged_attention_ll4mi_QKV_mfma16_kernelIDF16_hLN4vllm18Fp8KVCacheDataTypeE1EDF16_Li16ELi64ELi256ELb1ELi5EL8MFMAType0EEvPKT_PKT0_S8_ifPKiSA_SA_iPKfiiiPfSD_PS3_PT2_iSC_SC_,"axG",@progbits,_Z39paged_attention_ll4mi_QKV_mfma16_kernelIDF16_hLN4vllm18Fp8KVCacheDataTypeE1EDF16_Li16ELi64ELi256ELb1ELi5EL8MFMAType0EEvPKT_PKT0_S8_ifPKiSA_SA_iPKfiiiPfSD_PS3_PT2_iSC_SC_,comdat
.Lfunc_end546:
	.size	_Z39paged_attention_ll4mi_QKV_mfma16_kernelIDF16_hLN4vllm18Fp8KVCacheDataTypeE1EDF16_Li16ELi64ELi256ELb1ELi5EL8MFMAType0EEvPKT_PKT0_S8_ifPKiSA_SA_iPKfiiiPfSD_PS3_PT2_iSC_SC_, .Lfunc_end546-_Z39paged_attention_ll4mi_QKV_mfma16_kernelIDF16_hLN4vllm18Fp8KVCacheDataTypeE1EDF16_Li16ELi64ELi256ELb1ELi5EL8MFMAType0EEvPKT_PKT0_S8_ifPKiSA_SA_iPKfiiiPfSD_PS3_PT2_iSC_SC_
                                        ; -- End function
	.section	.AMDGPU.csdata,"",@progbits
; Kernel info:
; codeLenInByte = 27252
; NumSgprs: 51
; NumVgprs: 62
; NumAgprs: 0
; TotalNumVgprs: 62
; ScratchSize: 0
; MemoryBound: 0
; FloatMode: 240
; IeeeMode: 1
; LDSByteSize: 8192 bytes/workgroup (compile time only)
; SGPRBlocks: 6
; VGPRBlocks: 7
; NumSGPRsForWavesPerEU: 51
; NumVGPRsForWavesPerEU: 62
; AccumOffset: 64
; Occupancy: 8
; WaveLimiterHint : 1
; COMPUTE_PGM_RSRC2:SCRATCH_EN: 0
; COMPUTE_PGM_RSRC2:USER_SGPR: 6
; COMPUTE_PGM_RSRC2:TRAP_HANDLER: 0
; COMPUTE_PGM_RSRC2:TGID_X_EN: 1
; COMPUTE_PGM_RSRC2:TGID_Y_EN: 1
; COMPUTE_PGM_RSRC2:TGID_Z_EN: 1
; COMPUTE_PGM_RSRC2:TIDIG_COMP_CNT: 0
; COMPUTE_PGM_RSRC3_GFX90A:ACCUM_OFFSET: 15
; COMPUTE_PGM_RSRC3_GFX90A:TG_SPLIT: 0
	.section	.text._Z39paged_attention_ll4mi_QKV_mfma16_kernelIDF16_hLN4vllm18Fp8KVCacheDataTypeE1EDF16_Li16ELi64ELi256ELb1ELi6EL8MFMAType0EEvPKT_PKT0_S8_ifPKiSA_SA_iPKfiiiPfSD_PS3_PT2_iSC_SC_,"axG",@progbits,_Z39paged_attention_ll4mi_QKV_mfma16_kernelIDF16_hLN4vllm18Fp8KVCacheDataTypeE1EDF16_Li16ELi64ELi256ELb1ELi6EL8MFMAType0EEvPKT_PKT0_S8_ifPKiSA_SA_iPKfiiiPfSD_PS3_PT2_iSC_SC_,comdat
	.protected	_Z39paged_attention_ll4mi_QKV_mfma16_kernelIDF16_hLN4vllm18Fp8KVCacheDataTypeE1EDF16_Li16ELi64ELi256ELb1ELi6EL8MFMAType0EEvPKT_PKT0_S8_ifPKiSA_SA_iPKfiiiPfSD_PS3_PT2_iSC_SC_ ; -- Begin function _Z39paged_attention_ll4mi_QKV_mfma16_kernelIDF16_hLN4vllm18Fp8KVCacheDataTypeE1EDF16_Li16ELi64ELi256ELb1ELi6EL8MFMAType0EEvPKT_PKT0_S8_ifPKiSA_SA_iPKfiiiPfSD_PS3_PT2_iSC_SC_
	.globl	_Z39paged_attention_ll4mi_QKV_mfma16_kernelIDF16_hLN4vllm18Fp8KVCacheDataTypeE1EDF16_Li16ELi64ELi256ELb1ELi6EL8MFMAType0EEvPKT_PKT0_S8_ifPKiSA_SA_iPKfiiiPfSD_PS3_PT2_iSC_SC_
	.p2align	8
	.type	_Z39paged_attention_ll4mi_QKV_mfma16_kernelIDF16_hLN4vllm18Fp8KVCacheDataTypeE1EDF16_Li16ELi64ELi256ELb1ELi6EL8MFMAType0EEvPKT_PKT0_S8_ifPKiSA_SA_iPKfiiiPfSD_PS3_PT2_iSC_SC_,@function
_Z39paged_attention_ll4mi_QKV_mfma16_kernelIDF16_hLN4vllm18Fp8KVCacheDataTypeE1EDF16_Li16ELi64ELi256ELb1ELi6EL8MFMAType0EEvPKT_PKT0_S8_ifPKiSA_SA_iPKfiiiPfSD_PS3_PT2_iSC_SC_: ; @_Z39paged_attention_ll4mi_QKV_mfma16_kernelIDF16_hLN4vllm18Fp8KVCacheDataTypeE1EDF16_Li16ELi64ELi256ELb1ELi6EL8MFMAType0EEvPKT_PKT0_S8_ifPKiSA_SA_iPKfiiiPfSD_PS3_PT2_iSC_SC_
; %bb.0:
	s_load_dwordx2 s[0:1], s[4:5], 0x30
	s_mov_b32 s24, s7
	s_mov_b64 s[10:11], 0
	s_waitcnt lgkmcnt(0)
	s_cmp_lg_u64 s[0:1], 0
	s_cselect_b64 s[2:3], -1, 0
	s_and_b64 vcc, exec, s[2:3]
	s_cbranch_vccz .LBB547_7
; %bb.1:
	s_add_i32 s12, s6, 1
	s_mov_b32 s13, 0
	s_lshl_b64 s[14:15], s[12:13], 2
	s_add_u32 s14, s0, s14
	s_mov_b32 s7, s13
	s_addc_u32 s15, s1, s15
	s_lshl_b64 s[12:13], s[6:7], 2
	s_add_u32 s12, s0, s12
	s_addc_u32 s13, s1, s13
	s_load_dword s9, s[14:15], 0x0
	s_load_dword s16, s[12:13], 0x0
	s_waitcnt lgkmcnt(0)
	s_sub_i32 s9, s9, s16
	s_cmp_eq_u32 s9, 1
	s_cselect_b64 s[12:13], -1, 0
	s_andn2_b64 vcc, exec, s[10:11]
	s_cbranch_vccnz .LBB547_3
.LBB547_2:
	s_mov_b32 s7, 0
	s_mov_b64 s[12:13], -1
.LBB547_3:
	s_andn2_b64 vcc, exec, s[12:13]
	s_cbranch_vccnz .LBB547_788
; %bb.4:
	s_load_dwordx2 s[12:13], s[4:5], 0x28
	s_lshl_b64 s[10:11], s[6:7], 2
	s_waitcnt lgkmcnt(0)
	s_add_u32 s12, s12, s10
	s_addc_u32 s13, s13, s11
	s_load_dword s33, s[12:13], 0x0
	s_lshl_b32 s18, s24, 8
	s_waitcnt lgkmcnt(0)
	s_cmp_ge_i32 s18, s33
	s_cbranch_scc1 .LBB547_788
; %bb.5:
	s_add_i32 s14, s33, 15
	s_load_dwordx2 s[12:13], s[4:5], 0x20
	s_load_dword s9, s[4:5], 0x38
	s_ashr_i32 s15, s14, 31
	v_and_b32_e32 v1, 0xcf, v0
	s_lshr_b32 s15, s15, 28
	v_add_u32_e32 v1, s18, v1
	s_add_i32 s14, s14, s15
	v_ashrrev_i32_e32 v2, 31, v1
	s_ashr_i32 s21, s14, 4
	v_lshrrev_b32_e32 v4, 28, v2
	s_add_i32 s21, s21, -1
	v_add_u32_e32 v2, v1, v4
	s_waitcnt lgkmcnt(0)
	s_mul_i32 s14, s6, s9
	s_mov_b32 s15, 0
	v_ashrrev_i32_e32 v2, 4, v2
	v_mov_b32_e32 v5, s21
	v_cmp_gt_i32_e32 vcc, s33, v1
	s_lshl_b64 s[14:15], s[14:15], 2
	v_cndmask_b32_e32 v2, v5, v2, vcc
	s_add_u32 s19, s12, s14
	v_ashrrev_i32_e32 v3, 31, v2
	s_addc_u32 s20, s13, s15
	v_lshlrev_b64 v[2:3], 2, v[2:3]
	v_mov_b32_e32 v7, s20
	v_add_co_u32_e32 v6, vcc, s19, v2
	v_or_b32_e32 v2, 16, v1
	v_addc_co_u32_e32 v7, vcc, v7, v3, vcc
	v_add_u32_e32 v3, v2, v4
	v_ashrrev_i32_e32 v3, 4, v3
	v_cmp_gt_i32_e32 vcc, s33, v2
	v_cndmask_b32_e32 v2, v5, v3, vcc
	v_ashrrev_i32_e32 v3, 31, v2
	v_lshlrev_b64 v[2:3], 2, v[2:3]
	v_mov_b32_e32 v9, s20
	v_add_co_u32_e32 v8, vcc, s19, v2
	v_or_b32_e32 v2, 32, v1
	v_addc_co_u32_e32 v9, vcc, v9, v3, vcc
	v_add_u32_e32 v3, v2, v4
	v_ashrrev_i32_e32 v3, 4, v3
	v_cmp_gt_i32_e32 vcc, s33, v2
	v_cndmask_b32_e32 v2, v5, v3, vcc
	v_ashrrev_i32_e32 v3, 31, v2
	;; [unrolled: 10-line block ×3, first 2 shown]
	v_lshlrev_b64 v[2:3], 2, v[2:3]
	v_mov_b32_e32 v1, s20
	v_add_co_u32_e32 v12, vcc, s19, v2
	v_addc_co_u32_e32 v13, vcc, v1, v3, vcc
	global_load_dword v5, v[6:7], off
	global_load_dword v4, v[8:9], off
	;; [unrolled: 1-line block ×4, first 2 shown]
	s_load_dwordx2 s[16:17], s[4:5], 0x8
	s_andn2_b64 vcc, exec, s[2:3]
	s_cbranch_vccnz .LBB547_8
; %bb.6:
	s_add_u32 s0, s0, s10
	s_addc_u32 s1, s1, s11
	s_load_dword s9, s[0:1], 0x0
	s_branch .LBB547_9
.LBB547_7:
	s_mov_b64 s[12:13], 0
	s_branch .LBB547_2
.LBB547_8:
	s_mov_b32 s9, s6
.LBB547_9:
	s_load_dwordx2 s[2:3], s[4:5], 0x10
	s_load_dwordx4 s[12:15], s[4:5], 0x48
	v_lshrrev_b32_e32 v49, 6, v0
	v_bfe_u32 v1, v0, 4, 2
	v_lshl_or_b32 v6, v49, 2, v1
	v_and_b32_e32 v48, 15, v0
	v_lshlrev_b32_e32 v7, 3, v48
	v_cmp_gt_u32_e32 vcc, 6, v6
	v_cmp_gt_u32_e64 s[0:1], 8, v48
	s_mul_i32 s25, s8, 6
	s_and_b64 s[22:23], s[0:1], vcc
	v_lshlrev_b32_e32 v46, 1, v7
	v_lshlrev_b32_e32 v47, 4, v0
	s_and_saveexec_b64 s[10:11], s[22:23]
	s_cbranch_execz .LBB547_11
; %bb.10:
	s_load_dwordx2 s[22:23], s[4:5], 0x0
	s_waitcnt lgkmcnt(0)
	s_ashr_i32 s15, s12, 31
	s_mul_hi_u32 s26, s9, s12
	s_mul_i32 s15, s9, s15
	s_add_i32 s27, s26, s15
	s_mul_i32 s26, s9, s12
	s_lshl_b64 s[26:27], s[26:27], 1
	v_add_lshl_u32 v8, v6, s25, 6
	s_add_u32 s9, s22, s26
	v_ashrrev_i32_e32 v9, 31, v8
	s_addc_u32 s12, s23, s27
	v_lshlrev_b64 v[8:9], 1, v[8:9]
	v_mov_b32_e32 v7, s12
	v_add_co_u32_e32 v8, vcc, s9, v8
	v_addc_co_u32_e32 v7, vcc, v7, v9, vcc
	v_add_co_u32_e32 v8, vcc, v8, v46
	v_addc_co_u32_e32 v9, vcc, 0, v7, vcc
	global_load_dwordx4 v[8:11], v[8:9], off
	v_lshlrev_b32_e32 v12, 8, v48
	v_lshlrev_b32_e32 v6, 5, v6
	v_and_b32_e32 v7, 16, v47
	v_and_b32_e32 v12, 0xe00, v12
	v_or3_b32 v6, v12, v6, v7
	s_waitcnt vmcnt(0)
	ds_write_b128 v6, v[8:11]
.LBB547_11:
	s_or_b64 exec, exec, s[10:11]
	s_waitcnt lgkmcnt(0)
	s_mul_i32 s10, s8, s14
	s_add_u32 s8, s16, s10
	s_addc_u32 s9, s17, 0
	v_and_b32_e32 v7, 0xf0, v47
	v_and_b32_e32 v6, 48, v0
	v_mov_b32_e32 v8, s9
	v_add_co_u32_e32 v7, vcc, s8, v7
	v_addc_co_u32_e32 v9, vcc, 0, v8, vcc
	v_lshlrev_b32_e32 v8, 4, v6
	v_add_co_u32_e32 v8, vcc, v7, v8
	v_addc_co_u32_e32 v9, vcc, 0, v9, vcc
	s_waitcnt vmcnt(3)
	v_mad_i64_i32 v[10:11], s[8:9], v5, s13, v[8:9]
	s_waitcnt vmcnt(2)
	v_mad_i64_i32 v[4:5], s[8:9], v4, s13, v[8:9]
	s_barrier
	global_load_dwordx4 v[34:37], v[10:11], off
	global_load_dwordx4 v[38:41], v[4:5], off
	s_waitcnt vmcnt(3)
	v_mad_i64_i32 v[4:5], s[8:9], v2, s13, v[8:9]
	s_waitcnt vmcnt(2)
	v_mad_i64_i32 v[2:3], s[8:9], v3, s13, v[8:9]
	global_load_dwordx4 v[30:33], v[4:5], off
	global_load_dwordx4 v[22:25], v[2:3], off
	v_mul_lo_u16_e32 v2, 43, v48
	v_mov_b32_e32 v3, 6
	v_mul_lo_u16_sdwa v2, v2, v3 dst_sel:DWORD dst_unused:UNUSED_PAD src0_sel:BYTE_1 src1_sel:DWORD
	v_sub_u16_e32 v2, v48, v2
	v_mov_b32_e32 v3, 5
	v_lshlrev_b32_sdwa v2, v3, v2 dst_sel:DWORD dst_unused:UNUSED_PAD src0_sel:DWORD src1_sel:BYTE_0
	v_lshl_add_u32 v2, v1, 9, v2
	ds_read_b128 v[26:29], v2
	ds_read_b128 v[18:21], v2 offset:16
	v_cmp_gt_u32_e32 vcc, 6, v48
	v_mov_b32_e32 v43, 0
	v_mov_b32_e32 v50, 0
	s_and_saveexec_b64 s[8:9], vcc
	s_cbranch_execz .LBB547_13
; %bb.12:
	s_load_dwordx2 s[14:15], s[4:5], 0x40
	v_add_u32_e32 v2, s25, v48
	v_ashrrev_i32_e32 v3, 31, v2
	v_lshlrev_b64 v[2:3], 2, v[2:3]
	s_waitcnt lgkmcnt(0)
	v_mov_b32_e32 v4, s15
	v_add_co_u32_e32 v2, vcc, s14, v2
	v_addc_co_u32_e32 v3, vcc, v4, v3, vcc
	global_load_dword v50, v[2:3], off
.LBB547_13:
	s_or_b64 exec, exec, s[8:9]
	v_or_b32_e32 v8, s18, v6
	v_ashrrev_i32_e32 v2, 4, v8
	v_mov_b32_e32 v9, s21
	v_cmp_gt_i32_e32 vcc, s33, v8
	v_cndmask_b32_e32 v2, v9, v2, vcc
	v_ashrrev_i32_e32 v3, 31, v2
	v_lshlrev_b64 v[2:3], 2, v[2:3]
	v_mov_b32_e32 v4, s20
	v_add_co_u32_e32 v2, vcc, s19, v2
	v_addc_co_u32_e32 v3, vcc, v4, v3, vcc
	v_or_b32_e32 v4, 64, v8
	v_ashrrev_i32_e32 v5, 4, v4
	v_cmp_gt_i32_e32 vcc, s33, v4
	v_cndmask_b32_e32 v4, v9, v5, vcc
	v_ashrrev_i32_e32 v5, 31, v4
	v_lshlrev_b64 v[4:5], 2, v[4:5]
	v_mov_b32_e32 v6, s20
	v_add_co_u32_e32 v4, vcc, s19, v4
	v_addc_co_u32_e32 v5, vcc, v6, v5, vcc
	v_or_b32_e32 v6, 0x80, v8
	v_ashrrev_i32_e32 v7, 4, v6
	v_cmp_gt_i32_e32 vcc, s33, v6
	v_cndmask_b32_e32 v6, v9, v7, vcc
	v_ashrrev_i32_e32 v7, 31, v6
	v_lshlrev_b64 v[6:7], 2, v[6:7]
	v_mov_b32_e32 v10, s20
	v_add_co_u32_e32 v6, vcc, s19, v6
	v_addc_co_u32_e32 v7, vcc, v10, v7, vcc
	global_load_dword v10, v[2:3], off
	global_load_dword v11, v[4:5], off
	;; [unrolled: 1-line block ×3, first 2 shown]
	v_or_b32_e32 v2, 0xc0, v8
	v_ashrrev_i32_e32 v3, 4, v2
	v_cmp_gt_i32_e32 vcc, s33, v2
	v_cndmask_b32_e32 v2, v9, v3, vcc
	v_ashrrev_i32_e32 v3, 31, v2
	v_lshlrev_b64 v[2:3], 2, v[2:3]
	v_mov_b32_e32 v4, s20
	v_add_co_u32_e32 v2, vcc, s19, v2
	v_addc_co_u32_e32 v3, vcc, v4, v3, vcc
	global_load_dword v13, v[2:3], off
	s_add_u32 s2, s2, s10
	v_lshlrev_b32_e32 v2, 4, v48
	s_addc_u32 s3, s3, 0
	v_lshl_or_b32 v2, v49, 8, v2
	v_mov_b32_e32 v3, s3
	v_add_co_u32_e32 v2, vcc, s2, v2
	v_addc_co_u32_e32 v3, vcc, 0, v3, vcc
	s_movk_i32 s8, 0x80
	s_waitcnt vmcnt(7)
	v_cmp_ne_u16_sdwa s[10:11], v34, v43 src0_sel:BYTE_0 src1_sel:DWORD
	s_waitcnt vmcnt(3)
	v_mad_i64_i32 v[4:5], s[2:3], v10, s13, v[2:3]
	s_waitcnt vmcnt(2)
	v_mad_i64_i32 v[6:7], s[2:3], v11, s13, v[2:3]
	;; [unrolled: 2-line block ×4, first 2 shown]
	global_load_dwordx4 v[14:17], v[4:5], off
	global_load_dwordx4 v[10:13], v[6:7], off
                                        ; kill: killed $vgpr6_vgpr7
                                        ; kill: killed $vgpr4_vgpr5
	s_nop 0
	global_load_dwordx4 v[6:9], v[8:9], off
	s_nop 0
	global_load_dwordx4 v[2:5], v[2:3], off
	s_load_dwordx4 s[40:43], s[4:5], 0x80
	s_load_dwordx2 s[44:45], s[4:5], 0x94
                                        ; kill: killed $sgpr40_sgpr41
	s_waitcnt lgkmcnt(0)
	s_load_dword s12, s[40:41], 0x0
	s_and_saveexec_b64 s[2:3], s[10:11]
	s_cbranch_execz .LBB547_19
; %bb.14:
	v_cmp_ne_u16_sdwa s[10:11], v34, s8 src0_sel:BYTE_0 src1_sel:DWORD
	v_bfrev_b32_e32 v43, 1
	s_and_saveexec_b64 s[8:9], s[10:11]
	s_cbranch_execz .LBB547_18
; %bb.15:
	s_movk_i32 s10, 0x7f
	v_and_b32_e32 v42, 0x7f, v34
	v_cmp_ne_u32_e32 vcc, s10, v42
	v_mov_b32_e32 v43, 0x7f800001
	s_and_saveexec_b64 s[10:11], vcc
	s_cbranch_execz .LBB547_17
; %bb.16:
	v_and_b32_e32 v43, 7, v34
	v_ffbh_u32_e32 v44, v43
	v_min_u32_e32 v52, 32, v44
	v_subrev_u32_e32 v44, 28, v52
	v_lshlrev_b64 v[44:45], v44, v[34:35]
	v_lshrrev_b32_e32 v51, 3, v42
	v_sub_u32_e32 v45, 29, v52
	v_and_b32_e32 v44, 7, v44
	v_cmp_gt_u32_e32 vcc, 8, v42
	v_cndmask_b32_e32 v42, v51, v45, vcc
	v_cndmask_b32_e32 v43, v43, v44, vcc
	v_lshlrev_b32_e32 v44, 24, v34
	v_bfrev_b32_e32 v45, 60
	v_lshlrev_b32_e32 v43, 20, v43
	v_and_b32_e32 v44, 0x80000000, v44
	v_lshl_add_u32 v42, v42, 23, v45
	v_or3_b32 v43, v44, v42, v43
.LBB547_17:
	s_or_b64 exec, exec, s[10:11]
.LBB547_18:
	s_or_b64 exec, exec, s[8:9]
.LBB547_19:
	s_or_b64 exec, exec, s[2:3]
	v_lshrrev_b16_e32 v42, 8, v34
	v_cmp_ne_u16_e32 vcc, 0, v42
	v_mov_b32_e32 v44, 0
	v_mov_b32_e32 v45, 0
	s_and_saveexec_b64 s[2:3], vcc
	s_cbranch_execz .LBB547_25
; %bb.20:
	s_movk_i32 s8, 0x80
	v_cmp_ne_u16_sdwa s[10:11], v34, s8 src0_sel:BYTE_1 src1_sel:DWORD
	v_bfrev_b32_e32 v45, 1
	s_and_saveexec_b64 s[8:9], s[10:11]
	s_cbranch_execz .LBB547_24
; %bb.21:
	s_movk_i32 s10, 0x7f
	v_and_b32_e32 v51, 0x7f, v42
	v_cmp_ne_u32_e32 vcc, s10, v51
	v_mov_b32_e32 v45, 0x7f800001
	s_and_saveexec_b64 s[10:11], vcc
	s_cbranch_execz .LBB547_23
; %bb.22:
	v_and_b32_e32 v45, 7, v42
	v_ffbh_u32_e32 v52, v45
	v_min_u32_e32 v55, 32, v52
	v_subrev_u32_e32 v52, 28, v55
	v_lshlrev_b64 v[52:53], v52, v[42:43]
	v_lshrrev_b32_e32 v54, 3, v51
	v_sub_u32_e32 v42, 29, v55
	v_and_b32_e32 v52, 7, v52
	v_cmp_gt_u32_e32 vcc, 8, v51
	v_cndmask_b32_e32 v42, v54, v42, vcc
	v_cndmask_b32_e32 v45, v45, v52, vcc
	v_lshlrev_b32_e32 v51, 16, v34
	v_bfrev_b32_e32 v52, 60
	v_lshlrev_b32_e32 v45, 20, v45
	v_and_b32_e32 v51, 0x80000000, v51
	v_lshl_add_u32 v42, v42, 23, v52
	v_or3_b32 v45, v51, v42, v45
.LBB547_23:
	s_or_b64 exec, exec, s[10:11]
.LBB547_24:
	s_or_b64 exec, exec, s[8:9]
.LBB547_25:
	s_or_b64 exec, exec, s[2:3]
	s_movk_i32 s2, 0xff
	v_and_b32_sdwa v51, v34, s2 dst_sel:DWORD dst_unused:UNUSED_PAD src0_sel:WORD_1 src1_sel:DWORD
	v_lshrrev_b32_e32 v42, 16, v34
	v_cmp_ne_u16_e32 vcc, 0, v51
	s_and_saveexec_b64 s[2:3], vcc
	s_cbranch_execz .LBB547_31
; %bb.26:
	s_movk_i32 s8, 0x80
	v_cmp_ne_u16_e32 vcc, s8, v51
	v_bfrev_b32_e32 v44, 1
	s_and_saveexec_b64 s[8:9], vcc
	s_cbranch_execz .LBB547_30
; %bb.27:
	v_bfe_u32 v51, v34, 16, 7
	s_movk_i32 s10, 0x7f
	v_cmp_ne_u32_e32 vcc, s10, v51
	v_mov_b32_e32 v44, 0x7f800001
	s_and_saveexec_b64 s[10:11], vcc
	s_cbranch_execz .LBB547_29
; %bb.28:
	v_and_b32_e32 v44, 7, v42
	v_ffbh_u32_e32 v52, v44
	v_min_u32_e32 v55, 32, v52
	v_subrev_u32_e32 v52, 28, v55
	v_lshlrev_b64 v[52:53], v52, v[42:43]
	v_lshrrev_b32_e32 v54, 3, v51
	v_sub_u32_e32 v42, 29, v55
	v_and_b32_e32 v52, 7, v52
	v_cmp_gt_u32_e32 vcc, 8, v51
	v_mov_b32_e32 v51, 24
	v_cndmask_b32_e32 v42, v54, v42, vcc
	v_cndmask_b32_e32 v44, v44, v52, vcc
	v_lshlrev_b32_sdwa v51, v51, v34 dst_sel:DWORD dst_unused:UNUSED_PAD src0_sel:DWORD src1_sel:WORD_1
	v_bfrev_b32_e32 v52, 60
	v_lshlrev_b32_e32 v44, 20, v44
	v_and_b32_e32 v51, 0x80000000, v51
	v_lshl_add_u32 v42, v42, 23, v52
	v_or3_b32 v44, v51, v42, v44
.LBB547_29:
	s_or_b64 exec, exec, s[10:11]
.LBB547_30:
	s_or_b64 exec, exec, s[8:9]
.LBB547_31:
	s_or_b64 exec, exec, s[2:3]
	s_mov_b32 s2, 0xffffff
	v_cmp_lt_u32_e32 vcc, s2, v34
	v_mov_b32_e32 v52, 0
	v_mov_b32_e32 v53, 0
	s_and_saveexec_b64 s[2:3], vcc
	s_cbranch_execz .LBB547_37
; %bb.32:
	v_lshrrev_b32_e32 v42, 24, v34
	s_movk_i32 s8, 0x80
	v_cmp_ne_u32_e32 vcc, s8, v42
	v_bfrev_b32_e32 v53, 1
	s_and_saveexec_b64 s[8:9], vcc
	s_cbranch_execz .LBB547_36
; %bb.33:
	v_bfe_u32 v34, v34, 24, 7
	s_movk_i32 s10, 0x7f
	v_cmp_ne_u32_e32 vcc, s10, v34
	v_mov_b32_e32 v53, 0x7f800001
	s_and_saveexec_b64 s[10:11], vcc
	s_cbranch_execz .LBB547_35
; %bb.34:
	v_and_b32_e32 v51, 7, v42
	v_ffbh_u32_e32 v54, v51
	v_min_u32_e32 v56, 32, v54
	v_subrev_u32_e32 v54, 28, v56
	v_lshlrev_b64 v[54:55], v54, v[42:43]
	v_lshrrev_b32_e32 v53, 3, v34
	v_sub_u32_e32 v55, 29, v56
	v_and_b32_e32 v54, 7, v54
	v_cmp_gt_u32_e32 vcc, 8, v34
	v_cndmask_b32_e32 v34, v53, v55, vcc
	v_cndmask_b32_e32 v51, v51, v54, vcc
	v_lshlrev_b32_e32 v42, 24, v42
	v_bfrev_b32_e32 v53, 60
	v_lshlrev_b32_e32 v51, 20, v51
	v_and_b32_e32 v42, 0x80000000, v42
	v_lshl_add_u32 v34, v34, 23, v53
	v_or3_b32 v53, v42, v34, v51
.LBB547_35:
	s_or_b64 exec, exec, s[10:11]
.LBB547_36:
	s_or_b64 exec, exec, s[8:9]
.LBB547_37:
	s_or_b64 exec, exec, s[2:3]
	v_cmp_ne_u16_sdwa s[8:9], v35, v52 src0_sel:BYTE_0 src1_sel:DWORD
	s_and_saveexec_b64 s[2:3], s[8:9]
	s_cbranch_execz .LBB547_43
; %bb.38:
	s_movk_i32 s8, 0x80
	v_cmp_ne_u16_sdwa s[10:11], v35, s8 src0_sel:BYTE_0 src1_sel:DWORD
	v_bfrev_b32_e32 v52, 1
	s_and_saveexec_b64 s[8:9], s[10:11]
	s_cbranch_execz .LBB547_42
; %bb.39:
	s_movk_i32 s10, 0x7f
	v_and_b32_e32 v34, 0x7f, v35
	v_cmp_ne_u32_e32 vcc, s10, v34
	v_mov_b32_e32 v52, 0x7f800001
	s_and_saveexec_b64 s[10:11], vcc
	s_cbranch_execz .LBB547_41
; %bb.40:
	v_and_b32_e32 v51, 7, v35
	v_ffbh_u32_e32 v54, v51
	v_min_u32_e32 v56, 32, v54
	v_mov_b32_e32 v42, v35
	v_subrev_u32_e32 v54, 28, v56
	v_lshlrev_b64 v[54:55], v54, v[42:43]
	v_lshrrev_b32_e32 v52, 3, v34
	v_sub_u32_e32 v42, 29, v56
	v_and_b32_e32 v54, 7, v54
	v_cmp_gt_u32_e32 vcc, 8, v34
	v_cndmask_b32_e32 v34, v52, v42, vcc
	v_cndmask_b32_e32 v42, v51, v54, vcc
	v_lshlrev_b32_e32 v51, 24, v35
	v_bfrev_b32_e32 v52, 60
	v_lshlrev_b32_e32 v42, 20, v42
	v_and_b32_e32 v51, 0x80000000, v51
	v_lshl_add_u32 v34, v34, 23, v52
	v_or3_b32 v52, v51, v34, v42
.LBB547_41:
	s_or_b64 exec, exec, s[10:11]
.LBB547_42:
	s_or_b64 exec, exec, s[8:9]
.LBB547_43:
	s_or_b64 exec, exec, s[2:3]
	v_lshrrev_b16_e32 v34, 8, v35
	v_cmp_ne_u16_e32 vcc, 0, v34
	v_mov_b32_e32 v42, 0
	v_mov_b32_e32 v54, 0
	s_and_saveexec_b64 s[2:3], vcc
	s_cbranch_execz .LBB547_49
; %bb.44:
	s_movk_i32 s8, 0x80
	v_cmp_ne_u16_e32 vcc, s8, v34
	v_bfrev_b32_e32 v54, 1
	s_and_saveexec_b64 s[8:9], vcc
	s_cbranch_execz .LBB547_48
; %bb.45:
	s_movk_i32 s10, 0x7f
	v_and_b32_e32 v51, 0x7f, v34
	v_cmp_ne_u32_e32 vcc, s10, v51
	v_mov_b32_e32 v54, 0x7f800001
	s_and_saveexec_b64 s[10:11], vcc
	s_cbranch_execz .LBB547_47
; %bb.46:
	v_and_b32_e32 v56, 7, v34
	v_ffbh_u32_e32 v54, v56
	v_min_u32_e32 v58, 32, v54
	v_subrev_u32_e32 v54, 28, v58
	v_lshlrev_b64 v[54:55], v54, v[34:35]
	v_lshrrev_b32_e32 v57, 3, v51
	v_sub_u32_e32 v34, 29, v58
	v_and_b32_e32 v54, 7, v54
	v_cmp_gt_u32_e32 vcc, 8, v51
	v_cndmask_b32_e32 v34, v57, v34, vcc
	v_cndmask_b32_e32 v51, v56, v54, vcc
	v_lshlrev_b32_e32 v54, 16, v35
	v_bfrev_b32_e32 v55, 60
	v_lshlrev_b32_e32 v51, 20, v51
	v_and_b32_e32 v54, 0x80000000, v54
	v_lshl_add_u32 v34, v34, 23, v55
	v_or3_b32 v54, v54, v34, v51
.LBB547_47:
	s_or_b64 exec, exec, s[10:11]
.LBB547_48:
	s_or_b64 exec, exec, s[8:9]
.LBB547_49:
	s_or_b64 exec, exec, s[2:3]
	s_movk_i32 s2, 0xff
	v_and_b32_sdwa v51, v35, s2 dst_sel:DWORD dst_unused:UNUSED_PAD src0_sel:WORD_1 src1_sel:DWORD
	v_lshrrev_b32_e32 v34, 16, v35
	v_cmp_ne_u16_e32 vcc, 0, v51
	s_and_saveexec_b64 s[2:3], vcc
	s_cbranch_execz .LBB547_55
; %bb.50:
	s_movk_i32 s8, 0x80
	v_cmp_ne_u16_e32 vcc, s8, v51
	v_bfrev_b32_e32 v42, 1
	s_and_saveexec_b64 s[8:9], vcc
	s_cbranch_execz .LBB547_54
; %bb.51:
	v_bfe_u32 v51, v35, 16, 7
	s_movk_i32 s10, 0x7f
	v_cmp_ne_u32_e32 vcc, s10, v51
	v_mov_b32_e32 v42, 0x7f800001
	s_and_saveexec_b64 s[10:11], vcc
	s_cbranch_execz .LBB547_53
; %bb.52:
	v_and_b32_e32 v42, 7, v34
	v_ffbh_u32_e32 v56, v42
	v_min_u32_e32 v58, 32, v56
	v_subrev_u32_e32 v56, 28, v58
	v_lshlrev_b64 v[56:57], v56, v[34:35]
	v_lshrrev_b32_e32 v55, 3, v51
	v_sub_u32_e32 v34, 29, v58
	v_and_b32_e32 v56, 7, v56
	v_cmp_gt_u32_e32 vcc, 8, v51
	v_mov_b32_e32 v51, 24
	v_cndmask_b32_e32 v34, v55, v34, vcc
	v_cndmask_b32_e32 v42, v42, v56, vcc
	v_lshlrev_b32_sdwa v51, v51, v35 dst_sel:DWORD dst_unused:UNUSED_PAD src0_sel:DWORD src1_sel:WORD_1
	v_bfrev_b32_e32 v55, 60
	v_lshlrev_b32_e32 v42, 20, v42
	v_and_b32_e32 v51, 0x80000000, v51
	v_lshl_add_u32 v34, v34, 23, v55
	v_or3_b32 v42, v51, v34, v42
.LBB547_53:
	s_or_b64 exec, exec, s[10:11]
.LBB547_54:
	s_or_b64 exec, exec, s[8:9]
.LBB547_55:
	s_or_b64 exec, exec, s[2:3]
	s_mov_b32 s2, 0xffffff
	v_cmp_lt_u32_e32 vcc, s2, v35
	v_mov_b32_e32 v51, 0
	v_mov_b32_e32 v55, 0
	s_and_saveexec_b64 s[2:3], vcc
	s_cbranch_execz .LBB547_61
; %bb.56:
	v_lshrrev_b32_e32 v34, 24, v35
	s_movk_i32 s8, 0x80
	v_cmp_ne_u32_e32 vcc, s8, v34
	v_bfrev_b32_e32 v55, 1
	s_and_saveexec_b64 s[8:9], vcc
	s_cbranch_execz .LBB547_60
; %bb.57:
	v_bfe_u32 v35, v35, 24, 7
	s_movk_i32 s10, 0x7f
	v_cmp_ne_u32_e32 vcc, s10, v35
	v_mov_b32_e32 v55, 0x7f800001
	s_and_saveexec_b64 s[10:11], vcc
	s_cbranch_execz .LBB547_59
; %bb.58:
	v_and_b32_e32 v55, 7, v34
	v_ffbh_u32_e32 v56, v55
	v_min_u32_e32 v59, 32, v56
	v_subrev_u32_e32 v56, 28, v59
	v_lshlrev_b64 v[56:57], v56, v[34:35]
	v_lshrrev_b32_e32 v58, 3, v35
	v_sub_u32_e32 v57, 29, v59
	v_and_b32_e32 v56, 7, v56
	v_cmp_gt_u32_e32 vcc, 8, v35
	v_cndmask_b32_e32 v35, v58, v57, vcc
	v_cndmask_b32_e32 v55, v55, v56, vcc
	v_lshlrev_b32_e32 v34, 24, v34
	v_bfrev_b32_e32 v56, 60
	v_lshlrev_b32_e32 v55, 20, v55
	v_and_b32_e32 v34, 0x80000000, v34
	v_lshl_add_u32 v35, v35, 23, v56
	v_or3_b32 v55, v34, v35, v55
.LBB547_59:
	s_or_b64 exec, exec, s[10:11]
.LBB547_60:
	s_or_b64 exec, exec, s[8:9]
.LBB547_61:
	s_or_b64 exec, exec, s[2:3]
	v_cvt_pkrtz_f16_f32 v34, v43, v45
	v_cvt_pkrtz_f16_f32 v35, v44, v53
	v_cmp_ne_u16_sdwa s[8:9], v36, v51 src0_sel:BYTE_0 src1_sel:DWORD
	s_nop 0
	v_mfma_f32_16x16x16f16 v[56:59], v[34:35], v[26:27], 0
	v_cvt_pkrtz_f16_f32 v34, v52, v54
	v_cvt_pkrtz_f16_f32 v35, v42, v55
	s_nop 1
	v_mfma_f32_16x16x16f16 v[42:45], v[34:35], v[28:29], v[56:59]
	s_and_saveexec_b64 s[2:3], s[8:9]
	s_cbranch_execz .LBB547_67
; %bb.62:
	s_movk_i32 s8, 0x80
	v_cmp_ne_u16_sdwa s[10:11], v36, s8 src0_sel:BYTE_0 src1_sel:DWORD
	v_bfrev_b32_e32 v51, 1
	s_and_saveexec_b64 s[8:9], s[10:11]
	s_cbranch_execz .LBB547_66
; %bb.63:
	s_movk_i32 s10, 0x7f
	v_and_b32_e32 v34, 0x7f, v36
	v_cmp_ne_u32_e32 vcc, s10, v34
	v_mov_b32_e32 v51, 0x7f800001
	s_and_saveexec_b64 s[10:11], vcc
	s_cbranch_execz .LBB547_65
; %bb.64:
	v_and_b32_e32 v35, 7, v36
	v_ffbh_u32_e32 v52, v35
	v_min_u32_e32 v54, 32, v52
	v_subrev_u32_e32 v52, 28, v54
	v_lshlrev_b64 v[52:53], v52, v[36:37]
	v_lshrrev_b32_e32 v51, 3, v34
	v_sub_u32_e32 v53, 29, v54
	v_and_b32_e32 v52, 7, v52
	v_cmp_gt_u32_e32 vcc, 8, v34
	v_cndmask_b32_e32 v34, v51, v53, vcc
	v_cndmask_b32_e32 v35, v35, v52, vcc
	v_lshlrev_b32_e32 v51, 24, v36
	v_bfrev_b32_e32 v52, 60
	v_lshlrev_b32_e32 v35, 20, v35
	v_and_b32_e32 v51, 0x80000000, v51
	v_lshl_add_u32 v34, v34, 23, v52
	v_or3_b32 v51, v51, v34, v35
.LBB547_65:
	s_or_b64 exec, exec, s[10:11]
.LBB547_66:
	s_or_b64 exec, exec, s[8:9]
.LBB547_67:
	s_or_b64 exec, exec, s[2:3]
	v_lshrrev_b16_e32 v34, 8, v36
	v_cmp_ne_u16_e32 vcc, 0, v34
	v_mov_b32_e32 v35, 0
	v_mov_b32_e32 v53, 0
	s_and_saveexec_b64 s[2:3], vcc
	s_cbranch_execz .LBB547_73
; %bb.68:
	s_movk_i32 s8, 0x80
	v_cmp_ne_u16_e32 vcc, s8, v34
	v_bfrev_b32_e32 v53, 1
	s_and_saveexec_b64 s[8:9], vcc
	s_cbranch_execz .LBB547_72
; %bb.69:
	s_movk_i32 s10, 0x7f
	v_and_b32_e32 v52, 0x7f, v34
	v_cmp_ne_u32_e32 vcc, s10, v52
	v_mov_b32_e32 v53, 0x7f800001
	s_and_saveexec_b64 s[10:11], vcc
	s_cbranch_execz .LBB547_71
; %bb.70:
	v_and_b32_e32 v53, 7, v34
	v_ffbh_u32_e32 v54, v53
	v_min_u32_e32 v57, 32, v54
	v_subrev_u32_e32 v54, 28, v57
	v_lshlrev_b64 v[54:55], v54, v[34:35]
	v_lshrrev_b32_e32 v56, 3, v52
	v_sub_u32_e32 v34, 29, v57
	v_and_b32_e32 v54, 7, v54
	v_cmp_gt_u32_e32 vcc, 8, v52
	v_cndmask_b32_e32 v34, v56, v34, vcc
	v_cndmask_b32_e32 v52, v53, v54, vcc
	v_lshlrev_b32_e32 v53, 16, v36
	v_bfrev_b32_e32 v54, 60
	v_lshlrev_b32_e32 v52, 20, v52
	v_and_b32_e32 v53, 0x80000000, v53
	v_lshl_add_u32 v34, v34, 23, v54
	v_or3_b32 v53, v53, v34, v52
.LBB547_71:
	s_or_b64 exec, exec, s[10:11]
.LBB547_72:
	s_or_b64 exec, exec, s[8:9]
.LBB547_73:
	s_or_b64 exec, exec, s[2:3]
	s_movk_i32 s2, 0xff
	v_and_b32_sdwa v52, v36, s2 dst_sel:DWORD dst_unused:UNUSED_PAD src0_sel:WORD_1 src1_sel:DWORD
	v_lshrrev_b32_e32 v34, 16, v36
	v_cmp_ne_u16_e32 vcc, 0, v52
	s_and_saveexec_b64 s[2:3], vcc
	s_cbranch_execz .LBB547_79
; %bb.74:
	s_movk_i32 s8, 0x80
	v_cmp_ne_u16_e32 vcc, s8, v52
	v_bfrev_b32_e32 v35, 1
	s_and_saveexec_b64 s[8:9], vcc
	s_cbranch_execz .LBB547_78
; %bb.75:
	v_bfe_u32 v52, v36, 16, 7
	s_movk_i32 s10, 0x7f
	v_cmp_ne_u32_e32 vcc, s10, v52
	v_mov_b32_e32 v35, 0x7f800001
	s_and_saveexec_b64 s[10:11], vcc
	s_cbranch_execz .LBB547_77
; %bb.76:
	v_and_b32_e32 v54, 7, v34
	v_ffbh_u32_e32 v35, v54
	v_min_u32_e32 v56, 32, v35
	v_subrev_u32_e32 v35, 28, v56
	v_lshlrev_b64 v[34:35], v35, v[34:35]
	v_lshrrev_b32_e32 v55, 3, v52
	v_sub_u32_e32 v35, 29, v56
	v_and_b32_e32 v34, 7, v34
	v_cmp_gt_u32_e32 vcc, 8, v52
	v_mov_b32_e32 v52, 24
	v_cndmask_b32_e32 v35, v55, v35, vcc
	v_cndmask_b32_e32 v34, v54, v34, vcc
	v_lshlrev_b32_sdwa v52, v52, v36 dst_sel:DWORD dst_unused:UNUSED_PAD src0_sel:DWORD src1_sel:WORD_1
	v_bfrev_b32_e32 v54, 60
	v_lshlrev_b32_e32 v34, 20, v34
	v_and_b32_e32 v52, 0x80000000, v52
	v_lshl_add_u32 v35, v35, 23, v54
	v_or3_b32 v35, v52, v35, v34
.LBB547_77:
	s_or_b64 exec, exec, s[10:11]
.LBB547_78:
	s_or_b64 exec, exec, s[8:9]
.LBB547_79:
	s_or_b64 exec, exec, s[2:3]
	s_mov_b32 s2, 0xffffff
	v_cmp_lt_u32_e32 vcc, s2, v36
	v_mov_b32_e32 v54, 0
	v_mov_b32_e32 v55, 0
	s_and_saveexec_b64 s[2:3], vcc
	s_cbranch_execz .LBB547_85
; %bb.80:
	v_lshrrev_b32_e32 v34, 24, v36
	s_movk_i32 s8, 0x80
	v_cmp_ne_u32_e32 vcc, s8, v34
	v_bfrev_b32_e32 v55, 1
	s_and_saveexec_b64 s[8:9], vcc
	s_cbranch_execz .LBB547_84
; %bb.81:
	v_bfe_u32 v36, v36, 24, 7
	s_movk_i32 s10, 0x7f
	v_cmp_ne_u32_e32 vcc, s10, v36
	v_mov_b32_e32 v55, 0x7f800001
	s_and_saveexec_b64 s[10:11], vcc
	s_cbranch_execz .LBB547_83
; %bb.82:
	v_and_b32_e32 v52, 7, v34
	v_ffbh_u32_e32 v56, v52
	v_min_u32_e32 v58, 32, v56
	v_subrev_u32_e32 v56, 28, v58
	v_lshlrev_b64 v[56:57], v56, v[34:35]
	v_lshrrev_b32_e32 v55, 3, v36
	v_sub_u32_e32 v57, 29, v58
	v_and_b32_e32 v56, 7, v56
	v_cmp_gt_u32_e32 vcc, 8, v36
	v_cndmask_b32_e32 v36, v55, v57, vcc
	v_cndmask_b32_e32 v52, v52, v56, vcc
	v_lshlrev_b32_e32 v34, 24, v34
	v_bfrev_b32_e32 v55, 60
	v_lshlrev_b32_e32 v52, 20, v52
	v_and_b32_e32 v34, 0x80000000, v34
	v_lshl_add_u32 v36, v36, 23, v55
	v_or3_b32 v55, v34, v36, v52
.LBB547_83:
	s_or_b64 exec, exec, s[10:11]
.LBB547_84:
	s_or_b64 exec, exec, s[8:9]
.LBB547_85:
	s_or_b64 exec, exec, s[2:3]
	v_cmp_ne_u16_sdwa s[8:9], v37, v54 src0_sel:BYTE_0 src1_sel:DWORD
	s_and_saveexec_b64 s[2:3], s[8:9]
	s_cbranch_execz .LBB547_91
; %bb.86:
	s_movk_i32 s8, 0x80
	v_cmp_ne_u16_sdwa s[10:11], v37, s8 src0_sel:BYTE_0 src1_sel:DWORD
	v_bfrev_b32_e32 v54, 1
	s_and_saveexec_b64 s[8:9], s[10:11]
	s_cbranch_execz .LBB547_90
; %bb.87:
	s_movk_i32 s10, 0x7f
	v_and_b32_e32 v34, 0x7f, v37
	v_cmp_ne_u32_e32 vcc, s10, v34
	v_mov_b32_e32 v54, 0x7f800001
	s_and_saveexec_b64 s[10:11], vcc
	s_cbranch_execz .LBB547_89
; %bb.88:
	v_and_b32_e32 v52, 7, v37
	v_ffbh_u32_e32 v56, v52
	v_min_u32_e32 v58, 32, v56
	v_mov_b32_e32 v36, v37
	v_subrev_u32_e32 v56, 28, v58
	v_lshlrev_b64 v[56:57], v56, v[36:37]
	v_lshrrev_b32_e32 v54, 3, v34
	v_sub_u32_e32 v36, 29, v58
	v_and_b32_e32 v56, 7, v56
	v_cmp_gt_u32_e32 vcc, 8, v34
	v_cndmask_b32_e32 v34, v54, v36, vcc
	v_cndmask_b32_e32 v36, v52, v56, vcc
	v_lshlrev_b32_e32 v52, 24, v37
	v_bfrev_b32_e32 v54, 60
	v_lshlrev_b32_e32 v36, 20, v36
	v_and_b32_e32 v52, 0x80000000, v52
	v_lshl_add_u32 v34, v34, 23, v54
	v_or3_b32 v54, v52, v34, v36
.LBB547_89:
	s_or_b64 exec, exec, s[10:11]
.LBB547_90:
	s_or_b64 exec, exec, s[8:9]
.LBB547_91:
	s_or_b64 exec, exec, s[2:3]
	v_lshrrev_b16_e32 v34, 8, v37
	v_cmp_ne_u16_e32 vcc, 0, v34
	v_mov_b32_e32 v36, 0
	v_mov_b32_e32 v56, 0
	s_and_saveexec_b64 s[2:3], vcc
	s_cbranch_execz .LBB547_97
; %bb.92:
	s_movk_i32 s8, 0x80
	v_cmp_ne_u16_e32 vcc, s8, v34
	v_bfrev_b32_e32 v56, 1
	s_and_saveexec_b64 s[8:9], vcc
	s_cbranch_execz .LBB547_96
; %bb.93:
	s_movk_i32 s10, 0x7f
	v_and_b32_e32 v52, 0x7f, v34
	v_cmp_ne_u32_e32 vcc, s10, v52
	v_mov_b32_e32 v56, 0x7f800001
	s_and_saveexec_b64 s[10:11], vcc
	s_cbranch_execz .LBB547_95
; %bb.94:
	v_and_b32_e32 v58, 7, v34
	v_ffbh_u32_e32 v56, v58
	v_min_u32_e32 v60, 32, v56
	v_subrev_u32_e32 v56, 28, v60
	v_lshlrev_b64 v[56:57], v56, v[34:35]
	v_lshrrev_b32_e32 v59, 3, v52
	v_sub_u32_e32 v34, 29, v60
	v_and_b32_e32 v56, 7, v56
	v_cmp_gt_u32_e32 vcc, 8, v52
	v_cndmask_b32_e32 v34, v59, v34, vcc
	v_cndmask_b32_e32 v52, v58, v56, vcc
	v_lshlrev_b32_e32 v56, 16, v37
	v_bfrev_b32_e32 v57, 60
	v_lshlrev_b32_e32 v52, 20, v52
	v_and_b32_e32 v56, 0x80000000, v56
	v_lshl_add_u32 v34, v34, 23, v57
	v_or3_b32 v56, v56, v34, v52
.LBB547_95:
	s_or_b64 exec, exec, s[10:11]
.LBB547_96:
	s_or_b64 exec, exec, s[8:9]
.LBB547_97:
	s_or_b64 exec, exec, s[2:3]
	s_movk_i32 s2, 0xff
	v_and_b32_sdwa v52, v37, s2 dst_sel:DWORD dst_unused:UNUSED_PAD src0_sel:WORD_1 src1_sel:DWORD
	v_lshrrev_b32_e32 v34, 16, v37
	v_cmp_ne_u16_e32 vcc, 0, v52
	s_and_saveexec_b64 s[2:3], vcc
	s_cbranch_execz .LBB547_103
; %bb.98:
	s_movk_i32 s8, 0x80
	v_cmp_ne_u16_e32 vcc, s8, v52
	v_bfrev_b32_e32 v36, 1
	s_and_saveexec_b64 s[8:9], vcc
	s_cbranch_execz .LBB547_102
; %bb.99:
	v_bfe_u32 v52, v37, 16, 7
	s_movk_i32 s10, 0x7f
	v_cmp_ne_u32_e32 vcc, s10, v52
	v_mov_b32_e32 v36, 0x7f800001
	s_and_saveexec_b64 s[10:11], vcc
	s_cbranch_execz .LBB547_101
; %bb.100:
	v_and_b32_e32 v36, 7, v34
	v_ffbh_u32_e32 v58, v36
	v_min_u32_e32 v60, 32, v58
	v_subrev_u32_e32 v58, 28, v60
	v_lshlrev_b64 v[58:59], v58, v[34:35]
	v_lshrrev_b32_e32 v57, 3, v52
	v_sub_u32_e32 v34, 29, v60
	v_and_b32_e32 v58, 7, v58
	v_cmp_gt_u32_e32 vcc, 8, v52
	v_mov_b32_e32 v52, 24
	v_cndmask_b32_e32 v34, v57, v34, vcc
	v_cndmask_b32_e32 v36, v36, v58, vcc
	v_lshlrev_b32_sdwa v52, v52, v37 dst_sel:DWORD dst_unused:UNUSED_PAD src0_sel:DWORD src1_sel:WORD_1
	v_bfrev_b32_e32 v57, 60
	v_lshlrev_b32_e32 v36, 20, v36
	v_and_b32_e32 v52, 0x80000000, v52
	v_lshl_add_u32 v34, v34, 23, v57
	v_or3_b32 v36, v52, v34, v36
.LBB547_101:
	s_or_b64 exec, exec, s[10:11]
.LBB547_102:
	s_or_b64 exec, exec, s[8:9]
.LBB547_103:
	s_or_b64 exec, exec, s[2:3]
	s_mov_b32 s2, 0xffffff
	v_cmp_lt_u32_e32 vcc, s2, v37
	v_mov_b32_e32 v52, 0
	v_mov_b32_e32 v57, 0
	s_and_saveexec_b64 s[2:3], vcc
	s_cbranch_execz .LBB547_109
; %bb.104:
	v_lshrrev_b32_e32 v34, 24, v37
	s_movk_i32 s8, 0x80
	v_cmp_ne_u32_e32 vcc, s8, v34
	v_bfrev_b32_e32 v57, 1
	s_and_saveexec_b64 s[8:9], vcc
	s_cbranch_execz .LBB547_108
; %bb.105:
	v_bfe_u32 v37, v37, 24, 7
	s_movk_i32 s10, 0x7f
	v_cmp_ne_u32_e32 vcc, s10, v37
	v_mov_b32_e32 v57, 0x7f800001
	s_and_saveexec_b64 s[10:11], vcc
	s_cbranch_execz .LBB547_107
; %bb.106:
	v_and_b32_e32 v57, 7, v34
	v_ffbh_u32_e32 v58, v57
	v_min_u32_e32 v61, 32, v58
	v_subrev_u32_e32 v58, 28, v61
	v_lshlrev_b64 v[58:59], v58, v[34:35]
	v_lshrrev_b32_e32 v60, 3, v37
	v_sub_u32_e32 v59, 29, v61
	v_and_b32_e32 v58, 7, v58
	v_cmp_gt_u32_e32 vcc, 8, v37
	v_cndmask_b32_e32 v37, v60, v59, vcc
	v_cndmask_b32_e32 v57, v57, v58, vcc
	v_lshlrev_b32_e32 v34, 24, v34
	v_bfrev_b32_e32 v58, 60
	v_lshlrev_b32_e32 v57, 20, v57
	v_and_b32_e32 v34, 0x80000000, v34
	v_lshl_add_u32 v37, v37, 23, v58
	v_or3_b32 v57, v34, v37, v57
.LBB547_107:
	s_or_b64 exec, exec, s[10:11]
.LBB547_108:
	s_or_b64 exec, exec, s[8:9]
.LBB547_109:
	s_or_b64 exec, exec, s[2:3]
	v_cvt_pkrtz_f16_f32 v34, v51, v53
	v_cvt_pkrtz_f16_f32 v35, v35, v55
	v_cmp_ne_u16_sdwa s[8:9], v38, v52 src0_sel:BYTE_0 src1_sel:DWORD
	s_nop 0
	v_mfma_f32_16x16x16f16 v[42:45], v[34:35], v[18:19], v[42:45]
	v_cvt_pkrtz_f16_f32 v34, v54, v56
	v_cvt_pkrtz_f16_f32 v35, v36, v57
	s_nop 1
	v_mfma_f32_16x16x16f16 v[34:37], v[34:35], v[20:21], v[42:45]
	s_and_saveexec_b64 s[2:3], s[8:9]
	s_cbranch_execz .LBB547_115
; %bb.110:
	s_movk_i32 s8, 0x80
	v_cmp_ne_u16_sdwa s[10:11], v38, s8 src0_sel:BYTE_0 src1_sel:DWORD
	v_bfrev_b32_e32 v52, 1
	s_and_saveexec_b64 s[8:9], s[10:11]
	s_cbranch_execz .LBB547_114
; %bb.111:
	s_movk_i32 s10, 0x7f
	v_and_b32_e32 v42, 0x7f, v38
	v_cmp_ne_u32_e32 vcc, s10, v42
	v_mov_b32_e32 v52, 0x7f800001
	s_and_saveexec_b64 s[10:11], vcc
	s_cbranch_execz .LBB547_113
; %bb.112:
	v_and_b32_e32 v43, 7, v38
	v_ffbh_u32_e32 v44, v43
	v_min_u32_e32 v52, 32, v44
	v_subrev_u32_e32 v44, 28, v52
	v_lshlrev_b64 v[44:45], v44, v[38:39]
	v_lshrrev_b32_e32 v51, 3, v42
	v_sub_u32_e32 v45, 29, v52
	v_and_b32_e32 v44, 7, v44
	v_cmp_gt_u32_e32 vcc, 8, v42
	v_cndmask_b32_e32 v42, v51, v45, vcc
	v_cndmask_b32_e32 v43, v43, v44, vcc
	v_lshlrev_b32_e32 v44, 24, v38
	v_bfrev_b32_e32 v45, 60
	v_lshlrev_b32_e32 v43, 20, v43
	v_and_b32_e32 v44, 0x80000000, v44
	v_lshl_add_u32 v42, v42, 23, v45
	v_or3_b32 v52, v44, v42, v43
.LBB547_113:
	s_or_b64 exec, exec, s[10:11]
.LBB547_114:
	s_or_b64 exec, exec, s[8:9]
.LBB547_115:
	s_or_b64 exec, exec, s[2:3]
	s_nop 3
	v_lshrrev_b16_e32 v42, 8, v38
	v_cmp_ne_u16_e32 vcc, 0, v42
	v_mov_b32_e32 v43, 0
	v_mov_b32_e32 v44, 0
	s_and_saveexec_b64 s[2:3], vcc
	s_cbranch_execz .LBB547_121
; %bb.116:
	s_movk_i32 s8, 0x80
	v_cmp_ne_u16_e32 vcc, s8, v42
	v_bfrev_b32_e32 v44, 1
	s_and_saveexec_b64 s[8:9], vcc
	s_cbranch_execz .LBB547_120
; %bb.117:
	s_movk_i32 s10, 0x7f
	v_and_b32_e32 v45, 0x7f, v42
	v_cmp_ne_u32_e32 vcc, s10, v45
	v_mov_b32_e32 v44, 0x7f800001
	s_and_saveexec_b64 s[10:11], vcc
	s_cbranch_execz .LBB547_119
; %bb.118:
	v_and_b32_e32 v44, 7, v42
	v_ffbh_u32_e32 v53, v44
	v_min_u32_e32 v53, 32, v53
	v_subrev_u32_e32 v54, 28, v53
	v_lshlrev_b64 v[54:55], v54, v[42:43]
	v_lshrrev_b32_e32 v51, 3, v45
	v_sub_u32_e32 v42, 29, v53
	v_and_b32_e32 v53, 7, v54
	v_cmp_gt_u32_e32 vcc, 8, v45
	v_cndmask_b32_e32 v42, v51, v42, vcc
	v_cndmask_b32_e32 v44, v44, v53, vcc
	v_lshlrev_b32_e32 v45, 16, v38
	v_bfrev_b32_e32 v51, 60
	v_lshlrev_b32_e32 v44, 20, v44
	v_and_b32_e32 v45, 0x80000000, v45
	v_lshl_add_u32 v42, v42, 23, v51
	v_or3_b32 v44, v45, v42, v44
.LBB547_119:
	s_or_b64 exec, exec, s[10:11]
.LBB547_120:
	s_or_b64 exec, exec, s[8:9]
.LBB547_121:
	s_or_b64 exec, exec, s[2:3]
	s_movk_i32 s2, 0xff
	v_and_b32_sdwa v45, v38, s2 dst_sel:DWORD dst_unused:UNUSED_PAD src0_sel:WORD_1 src1_sel:DWORD
	v_lshrrev_b32_e32 v42, 16, v38
	v_cmp_ne_u16_e32 vcc, 0, v45
	s_and_saveexec_b64 s[2:3], vcc
	s_cbranch_execz .LBB547_127
; %bb.122:
	s_movk_i32 s8, 0x80
	v_cmp_ne_u16_e32 vcc, s8, v45
	v_bfrev_b32_e32 v43, 1
	s_and_saveexec_b64 s[8:9], vcc
	s_cbranch_execz .LBB547_126
; %bb.123:
	v_bfe_u32 v45, v38, 16, 7
	s_movk_i32 s10, 0x7f
	v_cmp_ne_u32_e32 vcc, s10, v45
	v_mov_b32_e32 v43, 0x7f800001
	s_and_saveexec_b64 s[10:11], vcc
	s_cbranch_execz .LBB547_125
; %bb.124:
	v_and_b32_e32 v51, 7, v42
	v_ffbh_u32_e32 v43, v51
	v_min_u32_e32 v54, 32, v43
	v_subrev_u32_e32 v43, 28, v54
	v_lshlrev_b64 v[42:43], v43, v[42:43]
	v_lshrrev_b32_e32 v53, 3, v45
	v_sub_u32_e32 v43, 29, v54
	v_and_b32_e32 v42, 7, v42
	v_cmp_gt_u32_e32 vcc, 8, v45
	v_mov_b32_e32 v45, 24
	v_cndmask_b32_e32 v43, v53, v43, vcc
	v_cndmask_b32_e32 v42, v51, v42, vcc
	v_lshlrev_b32_sdwa v45, v45, v38 dst_sel:DWORD dst_unused:UNUSED_PAD src0_sel:DWORD src1_sel:WORD_1
	v_bfrev_b32_e32 v51, 60
	v_lshlrev_b32_e32 v42, 20, v42
	v_and_b32_e32 v45, 0x80000000, v45
	v_lshl_add_u32 v43, v43, 23, v51
	v_or3_b32 v43, v45, v43, v42
.LBB547_125:
	s_or_b64 exec, exec, s[10:11]
.LBB547_126:
	s_or_b64 exec, exec, s[8:9]
.LBB547_127:
	s_or_b64 exec, exec, s[2:3]
	s_mov_b32 s2, 0xffffff
	v_cmp_lt_u32_e32 vcc, s2, v38
	v_mov_b32_e32 v45, 0
	v_mov_b32_e32 v53, 0
	s_and_saveexec_b64 s[2:3], vcc
	s_cbranch_execz .LBB547_133
; %bb.128:
	v_lshrrev_b32_e32 v42, 24, v38
	s_movk_i32 s8, 0x80
	v_cmp_ne_u32_e32 vcc, s8, v42
	v_bfrev_b32_e32 v53, 1
	s_and_saveexec_b64 s[8:9], vcc
	s_cbranch_execz .LBB547_132
; %bb.129:
	v_bfe_u32 v38, v38, 24, 7
	s_movk_i32 s10, 0x7f
	v_cmp_ne_u32_e32 vcc, s10, v38
	v_mov_b32_e32 v53, 0x7f800001
	s_and_saveexec_b64 s[10:11], vcc
	s_cbranch_execz .LBB547_131
; %bb.130:
	v_and_b32_e32 v51, 7, v42
	v_ffbh_u32_e32 v54, v51
	v_min_u32_e32 v56, 32, v54
	v_subrev_u32_e32 v54, 28, v56
	v_lshlrev_b64 v[54:55], v54, v[42:43]
	v_lshrrev_b32_e32 v53, 3, v38
	v_sub_u32_e32 v55, 29, v56
	v_and_b32_e32 v54, 7, v54
	v_cmp_gt_u32_e32 vcc, 8, v38
	v_cndmask_b32_e32 v38, v53, v55, vcc
	v_cndmask_b32_e32 v51, v51, v54, vcc
	v_lshlrev_b32_e32 v42, 24, v42
	v_bfrev_b32_e32 v53, 60
	v_lshlrev_b32_e32 v51, 20, v51
	v_and_b32_e32 v42, 0x80000000, v42
	v_lshl_add_u32 v38, v38, 23, v53
	v_or3_b32 v53, v42, v38, v51
.LBB547_131:
	s_or_b64 exec, exec, s[10:11]
.LBB547_132:
	s_or_b64 exec, exec, s[8:9]
.LBB547_133:
	s_or_b64 exec, exec, s[2:3]
	v_cmp_ne_u16_sdwa s[8:9], v39, v45 src0_sel:BYTE_0 src1_sel:DWORD
	s_and_saveexec_b64 s[2:3], s[8:9]
	s_cbranch_execz .LBB547_139
; %bb.134:
	s_movk_i32 s8, 0x80
	v_cmp_ne_u16_sdwa s[10:11], v39, s8 src0_sel:BYTE_0 src1_sel:DWORD
	v_bfrev_b32_e32 v45, 1
	s_and_saveexec_b64 s[8:9], s[10:11]
	s_cbranch_execz .LBB547_138
; %bb.135:
	s_movk_i32 s10, 0x7f
	v_and_b32_e32 v38, 0x7f, v39
	v_cmp_ne_u32_e32 vcc, s10, v38
	v_mov_b32_e32 v45, 0x7f800001
	s_and_saveexec_b64 s[10:11], vcc
	s_cbranch_execz .LBB547_137
; %bb.136:
	v_and_b32_e32 v45, 7, v39
	v_ffbh_u32_e32 v54, v45
	v_min_u32_e32 v56, 32, v54
	v_mov_b32_e32 v42, v39
	v_subrev_u32_e32 v54, 28, v56
	v_lshlrev_b64 v[54:55], v54, v[42:43]
	v_lshrrev_b32_e32 v51, 3, v38
	v_sub_u32_e32 v42, 29, v56
	v_and_b32_e32 v54, 7, v54
	v_cmp_gt_u32_e32 vcc, 8, v38
	v_cndmask_b32_e32 v38, v51, v42, vcc
	v_cndmask_b32_e32 v42, v45, v54, vcc
	v_lshlrev_b32_e32 v45, 24, v39
	v_bfrev_b32_e32 v51, 60
	v_lshlrev_b32_e32 v42, 20, v42
	v_and_b32_e32 v45, 0x80000000, v45
	v_lshl_add_u32 v38, v38, 23, v51
	v_or3_b32 v45, v45, v38, v42
.LBB547_137:
	s_or_b64 exec, exec, s[10:11]
.LBB547_138:
	s_or_b64 exec, exec, s[8:9]
.LBB547_139:
	s_or_b64 exec, exec, s[2:3]
	v_lshrrev_b16_e32 v38, 8, v39
	v_cmp_ne_u16_e32 vcc, 0, v38
	v_mov_b32_e32 v42, 0
	v_mov_b32_e32 v54, 0
	s_and_saveexec_b64 s[2:3], vcc
	s_cbranch_execz .LBB547_145
; %bb.140:
	s_movk_i32 s8, 0x80
	v_cmp_ne_u16_e32 vcc, s8, v38
	v_bfrev_b32_e32 v54, 1
	s_and_saveexec_b64 s[8:9], vcc
	s_cbranch_execz .LBB547_144
; %bb.141:
	s_movk_i32 s10, 0x7f
	v_and_b32_e32 v51, 0x7f, v38
	v_cmp_ne_u32_e32 vcc, s10, v51
	v_mov_b32_e32 v54, 0x7f800001
	s_and_saveexec_b64 s[10:11], vcc
	s_cbranch_execz .LBB547_143
; %bb.142:
	v_and_b32_e32 v56, 7, v38
	v_ffbh_u32_e32 v54, v56
	v_min_u32_e32 v58, 32, v54
	v_subrev_u32_e32 v54, 28, v58
	v_lshlrev_b64 v[54:55], v54, v[38:39]
	v_lshrrev_b32_e32 v57, 3, v51
	v_sub_u32_e32 v38, 29, v58
	v_and_b32_e32 v54, 7, v54
	v_cmp_gt_u32_e32 vcc, 8, v51
	v_cndmask_b32_e32 v38, v57, v38, vcc
	v_cndmask_b32_e32 v51, v56, v54, vcc
	v_lshlrev_b32_e32 v54, 16, v39
	v_bfrev_b32_e32 v55, 60
	v_lshlrev_b32_e32 v51, 20, v51
	v_and_b32_e32 v54, 0x80000000, v54
	v_lshl_add_u32 v38, v38, 23, v55
	v_or3_b32 v54, v54, v38, v51
.LBB547_143:
	s_or_b64 exec, exec, s[10:11]
.LBB547_144:
	s_or_b64 exec, exec, s[8:9]
.LBB547_145:
	s_or_b64 exec, exec, s[2:3]
	s_movk_i32 s2, 0xff
	v_and_b32_sdwa v51, v39, s2 dst_sel:DWORD dst_unused:UNUSED_PAD src0_sel:WORD_1 src1_sel:DWORD
	v_lshrrev_b32_e32 v38, 16, v39
	v_cmp_ne_u16_e32 vcc, 0, v51
	s_and_saveexec_b64 s[2:3], vcc
	s_cbranch_execz .LBB547_151
; %bb.146:
	s_movk_i32 s8, 0x80
	v_cmp_ne_u16_e32 vcc, s8, v51
	v_bfrev_b32_e32 v42, 1
	s_and_saveexec_b64 s[8:9], vcc
	s_cbranch_execz .LBB547_150
; %bb.147:
	v_bfe_u32 v51, v39, 16, 7
	s_movk_i32 s10, 0x7f
	v_cmp_ne_u32_e32 vcc, s10, v51
	v_mov_b32_e32 v42, 0x7f800001
	s_and_saveexec_b64 s[10:11], vcc
	s_cbranch_execz .LBB547_149
; %bb.148:
	v_and_b32_e32 v42, 7, v38
	v_ffbh_u32_e32 v56, v42
	v_min_u32_e32 v58, 32, v56
	v_subrev_u32_e32 v56, 28, v58
	v_lshlrev_b64 v[56:57], v56, v[38:39]
	v_lshrrev_b32_e32 v55, 3, v51
	v_sub_u32_e32 v38, 29, v58
	v_and_b32_e32 v56, 7, v56
	v_cmp_gt_u32_e32 vcc, 8, v51
	v_mov_b32_e32 v51, 24
	v_cndmask_b32_e32 v38, v55, v38, vcc
	v_cndmask_b32_e32 v42, v42, v56, vcc
	v_lshlrev_b32_sdwa v51, v51, v39 dst_sel:DWORD dst_unused:UNUSED_PAD src0_sel:DWORD src1_sel:WORD_1
	v_bfrev_b32_e32 v55, 60
	v_lshlrev_b32_e32 v42, 20, v42
	v_and_b32_e32 v51, 0x80000000, v51
	v_lshl_add_u32 v38, v38, 23, v55
	v_or3_b32 v42, v51, v38, v42
.LBB547_149:
	s_or_b64 exec, exec, s[10:11]
.LBB547_150:
	s_or_b64 exec, exec, s[8:9]
.LBB547_151:
	s_or_b64 exec, exec, s[2:3]
	s_mov_b32 s2, 0xffffff
	v_cmp_lt_u32_e32 vcc, s2, v39
	v_mov_b32_e32 v51, 0
	v_mov_b32_e32 v55, 0
	s_and_saveexec_b64 s[2:3], vcc
	s_cbranch_execz .LBB547_157
; %bb.152:
	v_lshrrev_b32_e32 v38, 24, v39
	s_movk_i32 s8, 0x80
	v_cmp_ne_u32_e32 vcc, s8, v38
	v_bfrev_b32_e32 v55, 1
	s_and_saveexec_b64 s[8:9], vcc
	s_cbranch_execz .LBB547_156
; %bb.153:
	v_bfe_u32 v39, v39, 24, 7
	s_movk_i32 s10, 0x7f
	v_cmp_ne_u32_e32 vcc, s10, v39
	v_mov_b32_e32 v55, 0x7f800001
	s_and_saveexec_b64 s[10:11], vcc
	s_cbranch_execz .LBB547_155
; %bb.154:
	v_and_b32_e32 v55, 7, v38
	v_ffbh_u32_e32 v56, v55
	v_min_u32_e32 v59, 32, v56
	v_subrev_u32_e32 v56, 28, v59
	v_lshlrev_b64 v[56:57], v56, v[38:39]
	v_lshrrev_b32_e32 v58, 3, v39
	v_sub_u32_e32 v57, 29, v59
	v_and_b32_e32 v56, 7, v56
	v_cmp_gt_u32_e32 vcc, 8, v39
	v_cndmask_b32_e32 v39, v58, v57, vcc
	v_cndmask_b32_e32 v55, v55, v56, vcc
	v_lshlrev_b32_e32 v38, 24, v38
	v_bfrev_b32_e32 v56, 60
	v_lshlrev_b32_e32 v55, 20, v55
	v_and_b32_e32 v38, 0x80000000, v38
	v_lshl_add_u32 v39, v39, 23, v56
	v_or3_b32 v55, v38, v39, v55
.LBB547_155:
	s_or_b64 exec, exec, s[10:11]
.LBB547_156:
	s_or_b64 exec, exec, s[8:9]
.LBB547_157:
	s_or_b64 exec, exec, s[2:3]
	v_cvt_pkrtz_f16_f32 v38, v52, v44
	v_cvt_pkrtz_f16_f32 v39, v43, v53
	v_cmp_ne_u16_sdwa s[8:9], v40, v51 src0_sel:BYTE_0 src1_sel:DWORD
	s_nop 0
	v_mfma_f32_16x16x16f16 v[56:59], v[38:39], v[26:27], 0
	v_cvt_pkrtz_f16_f32 v38, v45, v54
	v_cvt_pkrtz_f16_f32 v39, v42, v55
	s_nop 1
	v_mfma_f32_16x16x16f16 v[42:45], v[38:39], v[28:29], v[56:59]
	s_and_saveexec_b64 s[2:3], s[8:9]
	s_cbranch_execz .LBB547_163
; %bb.158:
	s_movk_i32 s8, 0x80
	v_cmp_ne_u16_sdwa s[10:11], v40, s8 src0_sel:BYTE_0 src1_sel:DWORD
	v_bfrev_b32_e32 v51, 1
	s_and_saveexec_b64 s[8:9], s[10:11]
	s_cbranch_execz .LBB547_162
; %bb.159:
	s_movk_i32 s10, 0x7f
	v_and_b32_e32 v38, 0x7f, v40
	v_cmp_ne_u32_e32 vcc, s10, v38
	v_mov_b32_e32 v51, 0x7f800001
	s_and_saveexec_b64 s[10:11], vcc
	s_cbranch_execz .LBB547_161
; %bb.160:
	v_and_b32_e32 v39, 7, v40
	v_ffbh_u32_e32 v52, v39
	v_min_u32_e32 v54, 32, v52
	v_subrev_u32_e32 v52, 28, v54
	v_lshlrev_b64 v[52:53], v52, v[40:41]
	v_lshrrev_b32_e32 v51, 3, v38
	v_sub_u32_e32 v53, 29, v54
	v_and_b32_e32 v52, 7, v52
	v_cmp_gt_u32_e32 vcc, 8, v38
	v_cndmask_b32_e32 v38, v51, v53, vcc
	v_cndmask_b32_e32 v39, v39, v52, vcc
	v_lshlrev_b32_e32 v51, 24, v40
	v_bfrev_b32_e32 v52, 60
	v_lshlrev_b32_e32 v39, 20, v39
	v_and_b32_e32 v51, 0x80000000, v51
	v_lshl_add_u32 v38, v38, 23, v52
	v_or3_b32 v51, v51, v38, v39
.LBB547_161:
	s_or_b64 exec, exec, s[10:11]
.LBB547_162:
	s_or_b64 exec, exec, s[8:9]
.LBB547_163:
	s_or_b64 exec, exec, s[2:3]
	v_lshrrev_b16_e32 v38, 8, v40
	v_cmp_ne_u16_e32 vcc, 0, v38
	v_mov_b32_e32 v39, 0
	v_mov_b32_e32 v53, 0
	s_and_saveexec_b64 s[2:3], vcc
	s_cbranch_execz .LBB547_169
; %bb.164:
	s_movk_i32 s8, 0x80
	v_cmp_ne_u16_e32 vcc, s8, v38
	v_bfrev_b32_e32 v53, 1
	s_and_saveexec_b64 s[8:9], vcc
	s_cbranch_execz .LBB547_168
; %bb.165:
	s_movk_i32 s10, 0x7f
	v_and_b32_e32 v52, 0x7f, v38
	v_cmp_ne_u32_e32 vcc, s10, v52
	v_mov_b32_e32 v53, 0x7f800001
	s_and_saveexec_b64 s[10:11], vcc
	s_cbranch_execz .LBB547_167
; %bb.166:
	v_and_b32_e32 v53, 7, v38
	v_ffbh_u32_e32 v54, v53
	v_min_u32_e32 v57, 32, v54
	v_subrev_u32_e32 v54, 28, v57
	v_lshlrev_b64 v[54:55], v54, v[38:39]
	v_lshrrev_b32_e32 v56, 3, v52
	v_sub_u32_e32 v38, 29, v57
	v_and_b32_e32 v54, 7, v54
	v_cmp_gt_u32_e32 vcc, 8, v52
	v_cndmask_b32_e32 v38, v56, v38, vcc
	v_cndmask_b32_e32 v52, v53, v54, vcc
	v_lshlrev_b32_e32 v53, 16, v40
	v_bfrev_b32_e32 v54, 60
	v_lshlrev_b32_e32 v52, 20, v52
	v_and_b32_e32 v53, 0x80000000, v53
	v_lshl_add_u32 v38, v38, 23, v54
	v_or3_b32 v53, v53, v38, v52
.LBB547_167:
	s_or_b64 exec, exec, s[10:11]
.LBB547_168:
	s_or_b64 exec, exec, s[8:9]
.LBB547_169:
	s_or_b64 exec, exec, s[2:3]
	s_movk_i32 s2, 0xff
	v_and_b32_sdwa v52, v40, s2 dst_sel:DWORD dst_unused:UNUSED_PAD src0_sel:WORD_1 src1_sel:DWORD
	v_lshrrev_b32_e32 v38, 16, v40
	v_cmp_ne_u16_e32 vcc, 0, v52
	s_and_saveexec_b64 s[2:3], vcc
	s_cbranch_execz .LBB547_175
; %bb.170:
	s_movk_i32 s8, 0x80
	v_cmp_ne_u16_e32 vcc, s8, v52
	v_bfrev_b32_e32 v39, 1
	s_and_saveexec_b64 s[8:9], vcc
	s_cbranch_execz .LBB547_174
; %bb.171:
	v_bfe_u32 v52, v40, 16, 7
	s_movk_i32 s10, 0x7f
	v_cmp_ne_u32_e32 vcc, s10, v52
	v_mov_b32_e32 v39, 0x7f800001
	s_and_saveexec_b64 s[10:11], vcc
	s_cbranch_execz .LBB547_173
; %bb.172:
	v_and_b32_e32 v54, 7, v38
	v_ffbh_u32_e32 v39, v54
	v_min_u32_e32 v56, 32, v39
	v_subrev_u32_e32 v39, 28, v56
	v_lshlrev_b64 v[38:39], v39, v[38:39]
	v_lshrrev_b32_e32 v55, 3, v52
	v_sub_u32_e32 v39, 29, v56
	v_and_b32_e32 v38, 7, v38
	v_cmp_gt_u32_e32 vcc, 8, v52
	v_mov_b32_e32 v52, 24
	v_cndmask_b32_e32 v39, v55, v39, vcc
	v_cndmask_b32_e32 v38, v54, v38, vcc
	v_lshlrev_b32_sdwa v52, v52, v40 dst_sel:DWORD dst_unused:UNUSED_PAD src0_sel:DWORD src1_sel:WORD_1
	v_bfrev_b32_e32 v54, 60
	v_lshlrev_b32_e32 v38, 20, v38
	v_and_b32_e32 v52, 0x80000000, v52
	v_lshl_add_u32 v39, v39, 23, v54
	v_or3_b32 v39, v52, v39, v38
.LBB547_173:
	s_or_b64 exec, exec, s[10:11]
.LBB547_174:
	s_or_b64 exec, exec, s[8:9]
.LBB547_175:
	s_or_b64 exec, exec, s[2:3]
	s_mov_b32 s2, 0xffffff
	v_cmp_lt_u32_e32 vcc, s2, v40
	v_mov_b32_e32 v54, 0
	v_mov_b32_e32 v55, 0
	s_and_saveexec_b64 s[2:3], vcc
	s_cbranch_execz .LBB547_181
; %bb.176:
	v_lshrrev_b32_e32 v38, 24, v40
	s_movk_i32 s8, 0x80
	v_cmp_ne_u32_e32 vcc, s8, v38
	v_bfrev_b32_e32 v55, 1
	s_and_saveexec_b64 s[8:9], vcc
	s_cbranch_execz .LBB547_180
; %bb.177:
	v_bfe_u32 v40, v40, 24, 7
	s_movk_i32 s10, 0x7f
	v_cmp_ne_u32_e32 vcc, s10, v40
	v_mov_b32_e32 v55, 0x7f800001
	s_and_saveexec_b64 s[10:11], vcc
	s_cbranch_execz .LBB547_179
; %bb.178:
	v_and_b32_e32 v52, 7, v38
	v_ffbh_u32_e32 v56, v52
	v_min_u32_e32 v58, 32, v56
	v_subrev_u32_e32 v56, 28, v58
	v_lshlrev_b64 v[56:57], v56, v[38:39]
	v_lshrrev_b32_e32 v55, 3, v40
	v_sub_u32_e32 v57, 29, v58
	v_and_b32_e32 v56, 7, v56
	v_cmp_gt_u32_e32 vcc, 8, v40
	v_cndmask_b32_e32 v40, v55, v57, vcc
	v_cndmask_b32_e32 v52, v52, v56, vcc
	v_lshlrev_b32_e32 v38, 24, v38
	v_bfrev_b32_e32 v55, 60
	v_lshlrev_b32_e32 v52, 20, v52
	v_and_b32_e32 v38, 0x80000000, v38
	v_lshl_add_u32 v40, v40, 23, v55
	v_or3_b32 v55, v38, v40, v52
.LBB547_179:
	s_or_b64 exec, exec, s[10:11]
.LBB547_180:
	s_or_b64 exec, exec, s[8:9]
.LBB547_181:
	s_or_b64 exec, exec, s[2:3]
	v_cmp_ne_u16_sdwa s[8:9], v41, v54 src0_sel:BYTE_0 src1_sel:DWORD
	s_and_saveexec_b64 s[2:3], s[8:9]
	s_cbranch_execz .LBB547_187
; %bb.182:
	s_movk_i32 s8, 0x80
	v_cmp_ne_u16_sdwa s[10:11], v41, s8 src0_sel:BYTE_0 src1_sel:DWORD
	v_bfrev_b32_e32 v54, 1
	s_and_saveexec_b64 s[8:9], s[10:11]
	s_cbranch_execz .LBB547_186
; %bb.183:
	s_movk_i32 s10, 0x7f
	v_and_b32_e32 v38, 0x7f, v41
	v_cmp_ne_u32_e32 vcc, s10, v38
	v_mov_b32_e32 v54, 0x7f800001
	s_and_saveexec_b64 s[10:11], vcc
	s_cbranch_execz .LBB547_185
; %bb.184:
	v_and_b32_e32 v52, 7, v41
	v_ffbh_u32_e32 v56, v52
	v_min_u32_e32 v58, 32, v56
	v_mov_b32_e32 v40, v41
	v_subrev_u32_e32 v56, 28, v58
	v_lshlrev_b64 v[56:57], v56, v[40:41]
	v_lshrrev_b32_e32 v54, 3, v38
	v_sub_u32_e32 v40, 29, v58
	v_and_b32_e32 v56, 7, v56
	v_cmp_gt_u32_e32 vcc, 8, v38
	v_cndmask_b32_e32 v38, v54, v40, vcc
	v_cndmask_b32_e32 v40, v52, v56, vcc
	v_lshlrev_b32_e32 v52, 24, v41
	v_bfrev_b32_e32 v54, 60
	v_lshlrev_b32_e32 v40, 20, v40
	v_and_b32_e32 v52, 0x80000000, v52
	v_lshl_add_u32 v38, v38, 23, v54
	v_or3_b32 v54, v52, v38, v40
.LBB547_185:
	s_or_b64 exec, exec, s[10:11]
.LBB547_186:
	s_or_b64 exec, exec, s[8:9]
.LBB547_187:
	s_or_b64 exec, exec, s[2:3]
	v_lshrrev_b16_e32 v38, 8, v41
	v_cmp_ne_u16_e32 vcc, 0, v38
	v_mov_b32_e32 v40, 0
	v_mov_b32_e32 v56, 0
	s_and_saveexec_b64 s[2:3], vcc
	s_cbranch_execz .LBB547_193
; %bb.188:
	s_movk_i32 s8, 0x80
	v_cmp_ne_u16_e32 vcc, s8, v38
	v_bfrev_b32_e32 v56, 1
	s_and_saveexec_b64 s[8:9], vcc
	s_cbranch_execz .LBB547_192
; %bb.189:
	s_movk_i32 s10, 0x7f
	v_and_b32_e32 v52, 0x7f, v38
	v_cmp_ne_u32_e32 vcc, s10, v52
	v_mov_b32_e32 v56, 0x7f800001
	s_and_saveexec_b64 s[10:11], vcc
	s_cbranch_execz .LBB547_191
; %bb.190:
	v_and_b32_e32 v58, 7, v38
	v_ffbh_u32_e32 v56, v58
	v_min_u32_e32 v60, 32, v56
	v_subrev_u32_e32 v56, 28, v60
	v_lshlrev_b64 v[56:57], v56, v[38:39]
	v_lshrrev_b32_e32 v59, 3, v52
	v_sub_u32_e32 v38, 29, v60
	v_and_b32_e32 v56, 7, v56
	v_cmp_gt_u32_e32 vcc, 8, v52
	v_cndmask_b32_e32 v38, v59, v38, vcc
	v_cndmask_b32_e32 v52, v58, v56, vcc
	v_lshlrev_b32_e32 v56, 16, v41
	v_bfrev_b32_e32 v57, 60
	v_lshlrev_b32_e32 v52, 20, v52
	v_and_b32_e32 v56, 0x80000000, v56
	v_lshl_add_u32 v38, v38, 23, v57
	v_or3_b32 v56, v56, v38, v52
.LBB547_191:
	s_or_b64 exec, exec, s[10:11]
.LBB547_192:
	s_or_b64 exec, exec, s[8:9]
.LBB547_193:
	s_or_b64 exec, exec, s[2:3]
	s_movk_i32 s2, 0xff
	v_and_b32_sdwa v52, v41, s2 dst_sel:DWORD dst_unused:UNUSED_PAD src0_sel:WORD_1 src1_sel:DWORD
	v_lshrrev_b32_e32 v38, 16, v41
	v_cmp_ne_u16_e32 vcc, 0, v52
	s_and_saveexec_b64 s[2:3], vcc
	s_cbranch_execz .LBB547_199
; %bb.194:
	s_movk_i32 s8, 0x80
	v_cmp_ne_u16_e32 vcc, s8, v52
	v_bfrev_b32_e32 v40, 1
	s_and_saveexec_b64 s[8:9], vcc
	s_cbranch_execz .LBB547_198
; %bb.195:
	v_bfe_u32 v52, v41, 16, 7
	s_movk_i32 s10, 0x7f
	v_cmp_ne_u32_e32 vcc, s10, v52
	v_mov_b32_e32 v40, 0x7f800001
	s_and_saveexec_b64 s[10:11], vcc
	s_cbranch_execz .LBB547_197
; %bb.196:
	v_and_b32_e32 v40, 7, v38
	v_ffbh_u32_e32 v58, v40
	v_min_u32_e32 v60, 32, v58
	v_subrev_u32_e32 v58, 28, v60
	v_lshlrev_b64 v[58:59], v58, v[38:39]
	v_lshrrev_b32_e32 v57, 3, v52
	v_sub_u32_e32 v38, 29, v60
	v_and_b32_e32 v58, 7, v58
	v_cmp_gt_u32_e32 vcc, 8, v52
	v_mov_b32_e32 v52, 24
	v_cndmask_b32_e32 v38, v57, v38, vcc
	v_cndmask_b32_e32 v40, v40, v58, vcc
	v_lshlrev_b32_sdwa v52, v52, v41 dst_sel:DWORD dst_unused:UNUSED_PAD src0_sel:DWORD src1_sel:WORD_1
	v_bfrev_b32_e32 v57, 60
	v_lshlrev_b32_e32 v40, 20, v40
	v_and_b32_e32 v52, 0x80000000, v52
	v_lshl_add_u32 v38, v38, 23, v57
	v_or3_b32 v40, v52, v38, v40
.LBB547_197:
	s_or_b64 exec, exec, s[10:11]
.LBB547_198:
	s_or_b64 exec, exec, s[8:9]
.LBB547_199:
	s_or_b64 exec, exec, s[2:3]
	s_mov_b32 s2, 0xffffff
	v_cmp_lt_u32_e32 vcc, s2, v41
	v_mov_b32_e32 v52, 0
	v_mov_b32_e32 v57, 0
	s_and_saveexec_b64 s[2:3], vcc
	s_cbranch_execz .LBB547_205
; %bb.200:
	v_lshrrev_b32_e32 v38, 24, v41
	s_movk_i32 s8, 0x80
	v_cmp_ne_u32_e32 vcc, s8, v38
	v_bfrev_b32_e32 v57, 1
	s_and_saveexec_b64 s[8:9], vcc
	s_cbranch_execz .LBB547_204
; %bb.201:
	v_bfe_u32 v41, v41, 24, 7
	s_movk_i32 s10, 0x7f
	v_cmp_ne_u32_e32 vcc, s10, v41
	v_mov_b32_e32 v57, 0x7f800001
	s_and_saveexec_b64 s[10:11], vcc
	s_cbranch_execz .LBB547_203
; %bb.202:
	v_and_b32_e32 v57, 7, v38
	v_ffbh_u32_e32 v58, v57
	v_min_u32_e32 v61, 32, v58
	v_subrev_u32_e32 v58, 28, v61
	v_lshlrev_b64 v[58:59], v58, v[38:39]
	v_lshrrev_b32_e32 v60, 3, v41
	v_sub_u32_e32 v59, 29, v61
	v_and_b32_e32 v58, 7, v58
	v_cmp_gt_u32_e32 vcc, 8, v41
	v_cndmask_b32_e32 v41, v60, v59, vcc
	v_cndmask_b32_e32 v57, v57, v58, vcc
	v_lshlrev_b32_e32 v38, 24, v38
	v_bfrev_b32_e32 v58, 60
	v_lshlrev_b32_e32 v57, 20, v57
	v_and_b32_e32 v38, 0x80000000, v38
	v_lshl_add_u32 v41, v41, 23, v58
	v_or3_b32 v57, v38, v41, v57
.LBB547_203:
	s_or_b64 exec, exec, s[10:11]
.LBB547_204:
	s_or_b64 exec, exec, s[8:9]
.LBB547_205:
	s_or_b64 exec, exec, s[2:3]
	v_cvt_pkrtz_f16_f32 v38, v51, v53
	v_cvt_pkrtz_f16_f32 v39, v39, v55
	v_cmp_ne_u16_sdwa s[8:9], v30, v52 src0_sel:BYTE_0 src1_sel:DWORD
	s_nop 0
	v_mfma_f32_16x16x16f16 v[42:45], v[38:39], v[18:19], v[42:45]
	v_cvt_pkrtz_f16_f32 v38, v54, v56
	v_cvt_pkrtz_f16_f32 v39, v40, v57
	s_nop 1
	v_mfma_f32_16x16x16f16 v[38:41], v[38:39], v[20:21], v[42:45]
	s_and_saveexec_b64 s[2:3], s[8:9]
	s_cbranch_execz .LBB547_211
; %bb.206:
	s_movk_i32 s8, 0x80
	v_cmp_ne_u16_sdwa s[10:11], v30, s8 src0_sel:BYTE_0 src1_sel:DWORD
	v_bfrev_b32_e32 v52, 1
	s_and_saveexec_b64 s[8:9], s[10:11]
	s_cbranch_execz .LBB547_210
; %bb.207:
	s_movk_i32 s10, 0x7f
	v_and_b32_e32 v42, 0x7f, v30
	v_cmp_ne_u32_e32 vcc, s10, v42
	v_mov_b32_e32 v52, 0x7f800001
	s_and_saveexec_b64 s[10:11], vcc
	s_cbranch_execz .LBB547_209
; %bb.208:
	v_and_b32_e32 v43, 7, v30
	v_ffbh_u32_e32 v44, v43
	v_min_u32_e32 v52, 32, v44
	v_subrev_u32_e32 v44, 28, v52
	v_lshlrev_b64 v[44:45], v44, v[30:31]
	v_lshrrev_b32_e32 v51, 3, v42
	v_sub_u32_e32 v45, 29, v52
	v_and_b32_e32 v44, 7, v44
	v_cmp_gt_u32_e32 vcc, 8, v42
	v_cndmask_b32_e32 v42, v51, v45, vcc
	v_cndmask_b32_e32 v43, v43, v44, vcc
	v_lshlrev_b32_e32 v44, 24, v30
	v_bfrev_b32_e32 v45, 60
	v_lshlrev_b32_e32 v43, 20, v43
	v_and_b32_e32 v44, 0x80000000, v44
	v_lshl_add_u32 v42, v42, 23, v45
	v_or3_b32 v52, v44, v42, v43
.LBB547_209:
	s_or_b64 exec, exec, s[10:11]
.LBB547_210:
	s_or_b64 exec, exec, s[8:9]
.LBB547_211:
	s_or_b64 exec, exec, s[2:3]
	s_nop 3
	v_lshrrev_b16_e32 v42, 8, v30
	v_cmp_ne_u16_e32 vcc, 0, v42
	v_mov_b32_e32 v43, 0
	v_mov_b32_e32 v44, 0
	s_and_saveexec_b64 s[2:3], vcc
	s_cbranch_execz .LBB547_217
; %bb.212:
	s_movk_i32 s8, 0x80
	v_cmp_ne_u16_e32 vcc, s8, v42
	v_bfrev_b32_e32 v44, 1
	s_and_saveexec_b64 s[8:9], vcc
	s_cbranch_execz .LBB547_216
; %bb.213:
	s_movk_i32 s10, 0x7f
	v_and_b32_e32 v45, 0x7f, v42
	v_cmp_ne_u32_e32 vcc, s10, v45
	v_mov_b32_e32 v44, 0x7f800001
	s_and_saveexec_b64 s[10:11], vcc
	s_cbranch_execz .LBB547_215
; %bb.214:
	v_and_b32_e32 v44, 7, v42
	v_ffbh_u32_e32 v53, v44
	v_min_u32_e32 v53, 32, v53
	v_subrev_u32_e32 v54, 28, v53
	v_lshlrev_b64 v[54:55], v54, v[42:43]
	v_lshrrev_b32_e32 v51, 3, v45
	v_sub_u32_e32 v42, 29, v53
	v_and_b32_e32 v53, 7, v54
	v_cmp_gt_u32_e32 vcc, 8, v45
	v_cndmask_b32_e32 v42, v51, v42, vcc
	v_cndmask_b32_e32 v44, v44, v53, vcc
	v_lshlrev_b32_e32 v45, 16, v30
	v_bfrev_b32_e32 v51, 60
	v_lshlrev_b32_e32 v44, 20, v44
	v_and_b32_e32 v45, 0x80000000, v45
	v_lshl_add_u32 v42, v42, 23, v51
	v_or3_b32 v44, v45, v42, v44
.LBB547_215:
	s_or_b64 exec, exec, s[10:11]
.LBB547_216:
	s_or_b64 exec, exec, s[8:9]
.LBB547_217:
	s_or_b64 exec, exec, s[2:3]
	s_movk_i32 s2, 0xff
	v_and_b32_sdwa v45, v30, s2 dst_sel:DWORD dst_unused:UNUSED_PAD src0_sel:WORD_1 src1_sel:DWORD
	v_lshrrev_b32_e32 v42, 16, v30
	v_cmp_ne_u16_e32 vcc, 0, v45
	s_and_saveexec_b64 s[2:3], vcc
	s_cbranch_execz .LBB547_223
; %bb.218:
	s_movk_i32 s8, 0x80
	v_cmp_ne_u16_e32 vcc, s8, v45
	v_bfrev_b32_e32 v43, 1
	s_and_saveexec_b64 s[8:9], vcc
	s_cbranch_execz .LBB547_222
; %bb.219:
	v_bfe_u32 v45, v30, 16, 7
	s_movk_i32 s10, 0x7f
	v_cmp_ne_u32_e32 vcc, s10, v45
	v_mov_b32_e32 v43, 0x7f800001
	s_and_saveexec_b64 s[10:11], vcc
	s_cbranch_execz .LBB547_221
; %bb.220:
	v_and_b32_e32 v51, 7, v42
	v_ffbh_u32_e32 v43, v51
	v_min_u32_e32 v54, 32, v43
	v_subrev_u32_e32 v43, 28, v54
	v_lshlrev_b64 v[42:43], v43, v[42:43]
	v_lshrrev_b32_e32 v53, 3, v45
	v_sub_u32_e32 v43, 29, v54
	v_and_b32_e32 v42, 7, v42
	v_cmp_gt_u32_e32 vcc, 8, v45
	v_mov_b32_e32 v45, 24
	v_cndmask_b32_e32 v43, v53, v43, vcc
	v_cndmask_b32_e32 v42, v51, v42, vcc
	v_lshlrev_b32_sdwa v45, v45, v30 dst_sel:DWORD dst_unused:UNUSED_PAD src0_sel:DWORD src1_sel:WORD_1
	v_bfrev_b32_e32 v51, 60
	v_lshlrev_b32_e32 v42, 20, v42
	v_and_b32_e32 v45, 0x80000000, v45
	v_lshl_add_u32 v43, v43, 23, v51
	v_or3_b32 v43, v45, v43, v42
.LBB547_221:
	s_or_b64 exec, exec, s[10:11]
.LBB547_222:
	s_or_b64 exec, exec, s[8:9]
.LBB547_223:
	s_or_b64 exec, exec, s[2:3]
	s_mov_b32 s2, 0xffffff
	v_cmp_lt_u32_e32 vcc, s2, v30
	v_mov_b32_e32 v45, 0
	v_mov_b32_e32 v53, 0
	s_and_saveexec_b64 s[2:3], vcc
	s_cbranch_execz .LBB547_229
; %bb.224:
	v_lshrrev_b32_e32 v42, 24, v30
	s_movk_i32 s8, 0x80
	v_cmp_ne_u32_e32 vcc, s8, v42
	v_bfrev_b32_e32 v53, 1
	s_and_saveexec_b64 s[8:9], vcc
	s_cbranch_execz .LBB547_228
; %bb.225:
	v_bfe_u32 v30, v30, 24, 7
	s_movk_i32 s10, 0x7f
	v_cmp_ne_u32_e32 vcc, s10, v30
	v_mov_b32_e32 v53, 0x7f800001
	s_and_saveexec_b64 s[10:11], vcc
	s_cbranch_execz .LBB547_227
; %bb.226:
	v_and_b32_e32 v51, 7, v42
	v_ffbh_u32_e32 v54, v51
	v_min_u32_e32 v56, 32, v54
	v_subrev_u32_e32 v54, 28, v56
	v_lshlrev_b64 v[54:55], v54, v[42:43]
	v_lshrrev_b32_e32 v53, 3, v30
	v_sub_u32_e32 v55, 29, v56
	v_and_b32_e32 v54, 7, v54
	v_cmp_gt_u32_e32 vcc, 8, v30
	v_cndmask_b32_e32 v30, v53, v55, vcc
	v_cndmask_b32_e32 v51, v51, v54, vcc
	v_lshlrev_b32_e32 v42, 24, v42
	v_bfrev_b32_e32 v53, 60
	v_lshlrev_b32_e32 v51, 20, v51
	v_and_b32_e32 v42, 0x80000000, v42
	v_lshl_add_u32 v30, v30, 23, v53
	v_or3_b32 v53, v42, v30, v51
.LBB547_227:
	s_or_b64 exec, exec, s[10:11]
.LBB547_228:
	s_or_b64 exec, exec, s[8:9]
.LBB547_229:
	s_or_b64 exec, exec, s[2:3]
	v_cmp_ne_u16_sdwa s[8:9], v31, v45 src0_sel:BYTE_0 src1_sel:DWORD
	s_and_saveexec_b64 s[2:3], s[8:9]
	s_cbranch_execz .LBB547_235
; %bb.230:
	s_movk_i32 s8, 0x80
	v_cmp_ne_u16_sdwa s[10:11], v31, s8 src0_sel:BYTE_0 src1_sel:DWORD
	v_bfrev_b32_e32 v45, 1
	s_and_saveexec_b64 s[8:9], s[10:11]
	s_cbranch_execz .LBB547_234
; %bb.231:
	s_movk_i32 s10, 0x7f
	v_and_b32_e32 v30, 0x7f, v31
	v_cmp_ne_u32_e32 vcc, s10, v30
	v_mov_b32_e32 v45, 0x7f800001
	s_and_saveexec_b64 s[10:11], vcc
	s_cbranch_execz .LBB547_233
; %bb.232:
	v_and_b32_e32 v45, 7, v31
	v_ffbh_u32_e32 v54, v45
	v_min_u32_e32 v56, 32, v54
	v_mov_b32_e32 v42, v31
	v_subrev_u32_e32 v54, 28, v56
	v_lshlrev_b64 v[54:55], v54, v[42:43]
	v_lshrrev_b32_e32 v51, 3, v30
	v_sub_u32_e32 v42, 29, v56
	v_and_b32_e32 v54, 7, v54
	v_cmp_gt_u32_e32 vcc, 8, v30
	v_cndmask_b32_e32 v30, v51, v42, vcc
	v_cndmask_b32_e32 v42, v45, v54, vcc
	v_lshlrev_b32_e32 v45, 24, v31
	v_bfrev_b32_e32 v51, 60
	v_lshlrev_b32_e32 v42, 20, v42
	v_and_b32_e32 v45, 0x80000000, v45
	v_lshl_add_u32 v30, v30, 23, v51
	v_or3_b32 v45, v45, v30, v42
.LBB547_233:
	s_or_b64 exec, exec, s[10:11]
.LBB547_234:
	s_or_b64 exec, exec, s[8:9]
.LBB547_235:
	s_or_b64 exec, exec, s[2:3]
	v_lshrrev_b16_e32 v30, 8, v31
	v_cmp_ne_u16_e32 vcc, 0, v30
	v_mov_b32_e32 v42, 0
	v_mov_b32_e32 v54, 0
	s_and_saveexec_b64 s[2:3], vcc
	s_cbranch_execz .LBB547_241
; %bb.236:
	s_movk_i32 s8, 0x80
	v_cmp_ne_u16_e32 vcc, s8, v30
	v_bfrev_b32_e32 v54, 1
	s_and_saveexec_b64 s[8:9], vcc
	s_cbranch_execz .LBB547_240
; %bb.237:
	s_movk_i32 s10, 0x7f
	v_and_b32_e32 v51, 0x7f, v30
	v_cmp_ne_u32_e32 vcc, s10, v51
	v_mov_b32_e32 v54, 0x7f800001
	s_and_saveexec_b64 s[10:11], vcc
	s_cbranch_execz .LBB547_239
; %bb.238:
	v_and_b32_e32 v56, 7, v30
	v_ffbh_u32_e32 v54, v56
	v_min_u32_e32 v58, 32, v54
	v_subrev_u32_e32 v54, 28, v58
	v_lshlrev_b64 v[54:55], v54, v[30:31]
	v_lshrrev_b32_e32 v57, 3, v51
	v_sub_u32_e32 v30, 29, v58
	v_and_b32_e32 v54, 7, v54
	v_cmp_gt_u32_e32 vcc, 8, v51
	v_cndmask_b32_e32 v30, v57, v30, vcc
	v_cndmask_b32_e32 v51, v56, v54, vcc
	v_lshlrev_b32_e32 v54, 16, v31
	v_bfrev_b32_e32 v55, 60
	v_lshlrev_b32_e32 v51, 20, v51
	v_and_b32_e32 v54, 0x80000000, v54
	v_lshl_add_u32 v30, v30, 23, v55
	v_or3_b32 v54, v54, v30, v51
.LBB547_239:
	s_or_b64 exec, exec, s[10:11]
.LBB547_240:
	s_or_b64 exec, exec, s[8:9]
.LBB547_241:
	s_or_b64 exec, exec, s[2:3]
	s_movk_i32 s2, 0xff
	v_and_b32_sdwa v51, v31, s2 dst_sel:DWORD dst_unused:UNUSED_PAD src0_sel:WORD_1 src1_sel:DWORD
	v_lshrrev_b32_e32 v30, 16, v31
	v_cmp_ne_u16_e32 vcc, 0, v51
	s_and_saveexec_b64 s[2:3], vcc
	s_cbranch_execz .LBB547_247
; %bb.242:
	s_movk_i32 s8, 0x80
	v_cmp_ne_u16_e32 vcc, s8, v51
	v_bfrev_b32_e32 v42, 1
	s_and_saveexec_b64 s[8:9], vcc
	s_cbranch_execz .LBB547_246
; %bb.243:
	v_bfe_u32 v51, v31, 16, 7
	s_movk_i32 s10, 0x7f
	v_cmp_ne_u32_e32 vcc, s10, v51
	v_mov_b32_e32 v42, 0x7f800001
	s_and_saveexec_b64 s[10:11], vcc
	s_cbranch_execz .LBB547_245
; %bb.244:
	v_and_b32_e32 v42, 7, v30
	v_ffbh_u32_e32 v56, v42
	v_min_u32_e32 v58, 32, v56
	v_subrev_u32_e32 v56, 28, v58
	v_lshlrev_b64 v[56:57], v56, v[30:31]
	v_lshrrev_b32_e32 v55, 3, v51
	v_sub_u32_e32 v30, 29, v58
	v_and_b32_e32 v56, 7, v56
	v_cmp_gt_u32_e32 vcc, 8, v51
	v_mov_b32_e32 v51, 24
	v_cndmask_b32_e32 v30, v55, v30, vcc
	v_cndmask_b32_e32 v42, v42, v56, vcc
	v_lshlrev_b32_sdwa v51, v51, v31 dst_sel:DWORD dst_unused:UNUSED_PAD src0_sel:DWORD src1_sel:WORD_1
	v_bfrev_b32_e32 v55, 60
	v_lshlrev_b32_e32 v42, 20, v42
	v_and_b32_e32 v51, 0x80000000, v51
	v_lshl_add_u32 v30, v30, 23, v55
	v_or3_b32 v42, v51, v30, v42
.LBB547_245:
	s_or_b64 exec, exec, s[10:11]
.LBB547_246:
	s_or_b64 exec, exec, s[8:9]
.LBB547_247:
	s_or_b64 exec, exec, s[2:3]
	s_mov_b32 s2, 0xffffff
	v_cmp_lt_u32_e32 vcc, s2, v31
	v_mov_b32_e32 v51, 0
	v_mov_b32_e32 v55, 0
	s_and_saveexec_b64 s[2:3], vcc
	s_cbranch_execz .LBB547_253
; %bb.248:
	v_lshrrev_b32_e32 v30, 24, v31
	s_movk_i32 s8, 0x80
	v_cmp_ne_u32_e32 vcc, s8, v30
	v_bfrev_b32_e32 v55, 1
	s_and_saveexec_b64 s[8:9], vcc
	s_cbranch_execz .LBB547_252
; %bb.249:
	v_bfe_u32 v31, v31, 24, 7
	s_movk_i32 s10, 0x7f
	v_cmp_ne_u32_e32 vcc, s10, v31
	v_mov_b32_e32 v55, 0x7f800001
	s_and_saveexec_b64 s[10:11], vcc
	s_cbranch_execz .LBB547_251
; %bb.250:
	v_and_b32_e32 v55, 7, v30
	v_ffbh_u32_e32 v56, v55
	v_min_u32_e32 v59, 32, v56
	v_subrev_u32_e32 v56, 28, v59
	v_lshlrev_b64 v[56:57], v56, v[30:31]
	v_lshrrev_b32_e32 v58, 3, v31
	v_sub_u32_e32 v57, 29, v59
	v_and_b32_e32 v56, 7, v56
	v_cmp_gt_u32_e32 vcc, 8, v31
	v_cndmask_b32_e32 v31, v58, v57, vcc
	v_cndmask_b32_e32 v55, v55, v56, vcc
	v_lshlrev_b32_e32 v30, 24, v30
	v_bfrev_b32_e32 v56, 60
	v_lshlrev_b32_e32 v55, 20, v55
	v_and_b32_e32 v30, 0x80000000, v30
	v_lshl_add_u32 v31, v31, 23, v56
	v_or3_b32 v55, v30, v31, v55
.LBB547_251:
	s_or_b64 exec, exec, s[10:11]
.LBB547_252:
	s_or_b64 exec, exec, s[8:9]
.LBB547_253:
	s_or_b64 exec, exec, s[2:3]
	v_cvt_pkrtz_f16_f32 v30, v52, v44
	v_cvt_pkrtz_f16_f32 v31, v43, v53
	v_cmp_ne_u16_sdwa s[8:9], v32, v51 src0_sel:BYTE_0 src1_sel:DWORD
	s_nop 0
	v_mfma_f32_16x16x16f16 v[56:59], v[30:31], v[26:27], 0
	v_cvt_pkrtz_f16_f32 v30, v45, v54
	v_cvt_pkrtz_f16_f32 v31, v42, v55
	s_nop 1
	v_mfma_f32_16x16x16f16 v[42:45], v[30:31], v[28:29], v[56:59]
	s_and_saveexec_b64 s[2:3], s[8:9]
	s_cbranch_execz .LBB547_259
; %bb.254:
	s_movk_i32 s8, 0x80
	v_cmp_ne_u16_sdwa s[10:11], v32, s8 src0_sel:BYTE_0 src1_sel:DWORD
	v_bfrev_b32_e32 v51, 1
	s_and_saveexec_b64 s[8:9], s[10:11]
	s_cbranch_execz .LBB547_258
; %bb.255:
	s_movk_i32 s10, 0x7f
	v_and_b32_e32 v30, 0x7f, v32
	v_cmp_ne_u32_e32 vcc, s10, v30
	v_mov_b32_e32 v51, 0x7f800001
	s_and_saveexec_b64 s[10:11], vcc
	s_cbranch_execz .LBB547_257
; %bb.256:
	v_and_b32_e32 v31, 7, v32
	v_ffbh_u32_e32 v52, v31
	v_min_u32_e32 v54, 32, v52
	v_subrev_u32_e32 v52, 28, v54
	v_lshlrev_b64 v[52:53], v52, v[32:33]
	v_lshrrev_b32_e32 v51, 3, v30
	v_sub_u32_e32 v53, 29, v54
	v_and_b32_e32 v52, 7, v52
	v_cmp_gt_u32_e32 vcc, 8, v30
	v_cndmask_b32_e32 v30, v51, v53, vcc
	v_cndmask_b32_e32 v31, v31, v52, vcc
	v_lshlrev_b32_e32 v51, 24, v32
	v_bfrev_b32_e32 v52, 60
	v_lshlrev_b32_e32 v31, 20, v31
	v_and_b32_e32 v51, 0x80000000, v51
	v_lshl_add_u32 v30, v30, 23, v52
	v_or3_b32 v51, v51, v30, v31
.LBB547_257:
	s_or_b64 exec, exec, s[10:11]
.LBB547_258:
	s_or_b64 exec, exec, s[8:9]
.LBB547_259:
	s_or_b64 exec, exec, s[2:3]
	v_lshrrev_b16_e32 v30, 8, v32
	v_cmp_ne_u16_e32 vcc, 0, v30
	v_mov_b32_e32 v31, 0
	v_mov_b32_e32 v53, 0
	s_and_saveexec_b64 s[2:3], vcc
	s_cbranch_execz .LBB547_265
; %bb.260:
	s_movk_i32 s8, 0x80
	v_cmp_ne_u16_e32 vcc, s8, v30
	v_bfrev_b32_e32 v53, 1
	s_and_saveexec_b64 s[8:9], vcc
	s_cbranch_execz .LBB547_264
; %bb.261:
	s_movk_i32 s10, 0x7f
	v_and_b32_e32 v52, 0x7f, v30
	v_cmp_ne_u32_e32 vcc, s10, v52
	v_mov_b32_e32 v53, 0x7f800001
	s_and_saveexec_b64 s[10:11], vcc
	s_cbranch_execz .LBB547_263
; %bb.262:
	v_and_b32_e32 v53, 7, v30
	v_ffbh_u32_e32 v54, v53
	v_min_u32_e32 v57, 32, v54
	v_subrev_u32_e32 v54, 28, v57
	v_lshlrev_b64 v[54:55], v54, v[30:31]
	v_lshrrev_b32_e32 v56, 3, v52
	v_sub_u32_e32 v30, 29, v57
	v_and_b32_e32 v54, 7, v54
	v_cmp_gt_u32_e32 vcc, 8, v52
	v_cndmask_b32_e32 v30, v56, v30, vcc
	v_cndmask_b32_e32 v52, v53, v54, vcc
	v_lshlrev_b32_e32 v53, 16, v32
	v_bfrev_b32_e32 v54, 60
	v_lshlrev_b32_e32 v52, 20, v52
	v_and_b32_e32 v53, 0x80000000, v53
	v_lshl_add_u32 v30, v30, 23, v54
	v_or3_b32 v53, v53, v30, v52
.LBB547_263:
	s_or_b64 exec, exec, s[10:11]
.LBB547_264:
	s_or_b64 exec, exec, s[8:9]
.LBB547_265:
	s_or_b64 exec, exec, s[2:3]
	s_movk_i32 s2, 0xff
	v_and_b32_sdwa v52, v32, s2 dst_sel:DWORD dst_unused:UNUSED_PAD src0_sel:WORD_1 src1_sel:DWORD
	v_lshrrev_b32_e32 v30, 16, v32
	v_cmp_ne_u16_e32 vcc, 0, v52
	s_and_saveexec_b64 s[2:3], vcc
	s_cbranch_execz .LBB547_271
; %bb.266:
	s_movk_i32 s8, 0x80
	v_cmp_ne_u16_e32 vcc, s8, v52
	v_bfrev_b32_e32 v31, 1
	s_and_saveexec_b64 s[8:9], vcc
	s_cbranch_execz .LBB547_270
; %bb.267:
	v_bfe_u32 v52, v32, 16, 7
	s_movk_i32 s10, 0x7f
	v_cmp_ne_u32_e32 vcc, s10, v52
	v_mov_b32_e32 v31, 0x7f800001
	s_and_saveexec_b64 s[10:11], vcc
	s_cbranch_execz .LBB547_269
; %bb.268:
	v_and_b32_e32 v54, 7, v30
	v_ffbh_u32_e32 v31, v54
	v_min_u32_e32 v56, 32, v31
	v_subrev_u32_e32 v31, 28, v56
	v_lshlrev_b64 v[30:31], v31, v[30:31]
	v_lshrrev_b32_e32 v55, 3, v52
	v_sub_u32_e32 v31, 29, v56
	v_and_b32_e32 v30, 7, v30
	v_cmp_gt_u32_e32 vcc, 8, v52
	v_mov_b32_e32 v52, 24
	v_cndmask_b32_e32 v31, v55, v31, vcc
	v_cndmask_b32_e32 v30, v54, v30, vcc
	v_lshlrev_b32_sdwa v52, v52, v32 dst_sel:DWORD dst_unused:UNUSED_PAD src0_sel:DWORD src1_sel:WORD_1
	v_bfrev_b32_e32 v54, 60
	v_lshlrev_b32_e32 v30, 20, v30
	v_and_b32_e32 v52, 0x80000000, v52
	v_lshl_add_u32 v31, v31, 23, v54
	v_or3_b32 v31, v52, v31, v30
.LBB547_269:
	s_or_b64 exec, exec, s[10:11]
.LBB547_270:
	s_or_b64 exec, exec, s[8:9]
.LBB547_271:
	s_or_b64 exec, exec, s[2:3]
	s_mov_b32 s2, 0xffffff
	v_cmp_lt_u32_e32 vcc, s2, v32
	v_mov_b32_e32 v54, 0
	v_mov_b32_e32 v55, 0
	s_and_saveexec_b64 s[2:3], vcc
	s_cbranch_execz .LBB547_277
; %bb.272:
	v_lshrrev_b32_e32 v30, 24, v32
	s_movk_i32 s8, 0x80
	v_cmp_ne_u32_e32 vcc, s8, v30
	v_bfrev_b32_e32 v55, 1
	s_and_saveexec_b64 s[8:9], vcc
	s_cbranch_execz .LBB547_276
; %bb.273:
	v_bfe_u32 v32, v32, 24, 7
	s_movk_i32 s10, 0x7f
	v_cmp_ne_u32_e32 vcc, s10, v32
	v_mov_b32_e32 v55, 0x7f800001
	s_and_saveexec_b64 s[10:11], vcc
	s_cbranch_execz .LBB547_275
; %bb.274:
	v_and_b32_e32 v52, 7, v30
	v_ffbh_u32_e32 v56, v52
	v_min_u32_e32 v58, 32, v56
	v_subrev_u32_e32 v56, 28, v58
	v_lshlrev_b64 v[56:57], v56, v[30:31]
	v_lshrrev_b32_e32 v55, 3, v32
	v_sub_u32_e32 v57, 29, v58
	v_and_b32_e32 v56, 7, v56
	v_cmp_gt_u32_e32 vcc, 8, v32
	v_cndmask_b32_e32 v32, v55, v57, vcc
	v_cndmask_b32_e32 v52, v52, v56, vcc
	v_lshlrev_b32_e32 v30, 24, v30
	v_bfrev_b32_e32 v55, 60
	v_lshlrev_b32_e32 v52, 20, v52
	v_and_b32_e32 v30, 0x80000000, v30
	v_lshl_add_u32 v32, v32, 23, v55
	v_or3_b32 v55, v30, v32, v52
.LBB547_275:
	s_or_b64 exec, exec, s[10:11]
.LBB547_276:
	s_or_b64 exec, exec, s[8:9]
.LBB547_277:
	s_or_b64 exec, exec, s[2:3]
	v_cmp_ne_u16_sdwa s[8:9], v33, v54 src0_sel:BYTE_0 src1_sel:DWORD
	s_and_saveexec_b64 s[2:3], s[8:9]
	s_cbranch_execz .LBB547_283
; %bb.278:
	s_movk_i32 s8, 0x80
	v_cmp_ne_u16_sdwa s[10:11], v33, s8 src0_sel:BYTE_0 src1_sel:DWORD
	v_bfrev_b32_e32 v54, 1
	s_and_saveexec_b64 s[8:9], s[10:11]
	s_cbranch_execz .LBB547_282
; %bb.279:
	s_movk_i32 s10, 0x7f
	v_and_b32_e32 v30, 0x7f, v33
	v_cmp_ne_u32_e32 vcc, s10, v30
	v_mov_b32_e32 v54, 0x7f800001
	s_and_saveexec_b64 s[10:11], vcc
	s_cbranch_execz .LBB547_281
; %bb.280:
	v_and_b32_e32 v52, 7, v33
	v_ffbh_u32_e32 v56, v52
	v_min_u32_e32 v58, 32, v56
	v_mov_b32_e32 v32, v33
	v_subrev_u32_e32 v56, 28, v58
	v_lshlrev_b64 v[56:57], v56, v[32:33]
	v_lshrrev_b32_e32 v54, 3, v30
	v_sub_u32_e32 v32, 29, v58
	v_and_b32_e32 v56, 7, v56
	v_cmp_gt_u32_e32 vcc, 8, v30
	v_cndmask_b32_e32 v30, v54, v32, vcc
	v_cndmask_b32_e32 v32, v52, v56, vcc
	v_lshlrev_b32_e32 v52, 24, v33
	v_bfrev_b32_e32 v54, 60
	v_lshlrev_b32_e32 v32, 20, v32
	v_and_b32_e32 v52, 0x80000000, v52
	v_lshl_add_u32 v30, v30, 23, v54
	v_or3_b32 v54, v52, v30, v32
.LBB547_281:
	s_or_b64 exec, exec, s[10:11]
.LBB547_282:
	s_or_b64 exec, exec, s[8:9]
.LBB547_283:
	s_or_b64 exec, exec, s[2:3]
	v_lshrrev_b16_e32 v30, 8, v33
	v_cmp_ne_u16_e32 vcc, 0, v30
	v_mov_b32_e32 v32, 0
	v_mov_b32_e32 v56, 0
	s_and_saveexec_b64 s[2:3], vcc
	s_cbranch_execz .LBB547_289
; %bb.284:
	s_movk_i32 s8, 0x80
	v_cmp_ne_u16_e32 vcc, s8, v30
	v_bfrev_b32_e32 v56, 1
	s_and_saveexec_b64 s[8:9], vcc
	s_cbranch_execz .LBB547_288
; %bb.285:
	s_movk_i32 s10, 0x7f
	v_and_b32_e32 v52, 0x7f, v30
	v_cmp_ne_u32_e32 vcc, s10, v52
	v_mov_b32_e32 v56, 0x7f800001
	s_and_saveexec_b64 s[10:11], vcc
	s_cbranch_execz .LBB547_287
; %bb.286:
	v_and_b32_e32 v58, 7, v30
	v_ffbh_u32_e32 v56, v58
	v_min_u32_e32 v60, 32, v56
	v_subrev_u32_e32 v56, 28, v60
	v_lshlrev_b64 v[56:57], v56, v[30:31]
	v_lshrrev_b32_e32 v59, 3, v52
	v_sub_u32_e32 v30, 29, v60
	v_and_b32_e32 v56, 7, v56
	v_cmp_gt_u32_e32 vcc, 8, v52
	v_cndmask_b32_e32 v30, v59, v30, vcc
	v_cndmask_b32_e32 v52, v58, v56, vcc
	v_lshlrev_b32_e32 v56, 16, v33
	v_bfrev_b32_e32 v57, 60
	v_lshlrev_b32_e32 v52, 20, v52
	v_and_b32_e32 v56, 0x80000000, v56
	v_lshl_add_u32 v30, v30, 23, v57
	v_or3_b32 v56, v56, v30, v52
.LBB547_287:
	s_or_b64 exec, exec, s[10:11]
.LBB547_288:
	s_or_b64 exec, exec, s[8:9]
.LBB547_289:
	s_or_b64 exec, exec, s[2:3]
	s_movk_i32 s2, 0xff
	v_and_b32_sdwa v52, v33, s2 dst_sel:DWORD dst_unused:UNUSED_PAD src0_sel:WORD_1 src1_sel:DWORD
	v_lshrrev_b32_e32 v30, 16, v33
	v_cmp_ne_u16_e32 vcc, 0, v52
	s_and_saveexec_b64 s[2:3], vcc
	s_cbranch_execz .LBB547_295
; %bb.290:
	s_movk_i32 s8, 0x80
	v_cmp_ne_u16_e32 vcc, s8, v52
	v_bfrev_b32_e32 v32, 1
	s_and_saveexec_b64 s[8:9], vcc
	s_cbranch_execz .LBB547_294
; %bb.291:
	v_bfe_u32 v52, v33, 16, 7
	s_movk_i32 s10, 0x7f
	v_cmp_ne_u32_e32 vcc, s10, v52
	v_mov_b32_e32 v32, 0x7f800001
	s_and_saveexec_b64 s[10:11], vcc
	s_cbranch_execz .LBB547_293
; %bb.292:
	v_and_b32_e32 v32, 7, v30
	v_ffbh_u32_e32 v58, v32
	v_min_u32_e32 v60, 32, v58
	v_subrev_u32_e32 v58, 28, v60
	v_lshlrev_b64 v[58:59], v58, v[30:31]
	v_lshrrev_b32_e32 v57, 3, v52
	v_sub_u32_e32 v30, 29, v60
	v_and_b32_e32 v58, 7, v58
	v_cmp_gt_u32_e32 vcc, 8, v52
	v_mov_b32_e32 v52, 24
	v_cndmask_b32_e32 v30, v57, v30, vcc
	v_cndmask_b32_e32 v32, v32, v58, vcc
	v_lshlrev_b32_sdwa v52, v52, v33 dst_sel:DWORD dst_unused:UNUSED_PAD src0_sel:DWORD src1_sel:WORD_1
	v_bfrev_b32_e32 v57, 60
	v_lshlrev_b32_e32 v32, 20, v32
	v_and_b32_e32 v52, 0x80000000, v52
	v_lshl_add_u32 v30, v30, 23, v57
	v_or3_b32 v32, v52, v30, v32
.LBB547_293:
	s_or_b64 exec, exec, s[10:11]
.LBB547_294:
	s_or_b64 exec, exec, s[8:9]
.LBB547_295:
	s_or_b64 exec, exec, s[2:3]
	s_mov_b32 s2, 0xffffff
	v_cmp_lt_u32_e32 vcc, s2, v33
	v_mov_b32_e32 v52, 0
	v_mov_b32_e32 v57, 0
	s_and_saveexec_b64 s[2:3], vcc
	s_cbranch_execz .LBB547_301
; %bb.296:
	v_lshrrev_b32_e32 v30, 24, v33
	s_movk_i32 s8, 0x80
	v_cmp_ne_u32_e32 vcc, s8, v30
	v_bfrev_b32_e32 v57, 1
	s_and_saveexec_b64 s[8:9], vcc
	s_cbranch_execz .LBB547_300
; %bb.297:
	v_bfe_u32 v33, v33, 24, 7
	s_movk_i32 s10, 0x7f
	v_cmp_ne_u32_e32 vcc, s10, v33
	v_mov_b32_e32 v57, 0x7f800001
	s_and_saveexec_b64 s[10:11], vcc
	s_cbranch_execz .LBB547_299
; %bb.298:
	v_and_b32_e32 v57, 7, v30
	v_ffbh_u32_e32 v58, v57
	v_min_u32_e32 v61, 32, v58
	v_subrev_u32_e32 v58, 28, v61
	v_lshlrev_b64 v[58:59], v58, v[30:31]
	v_lshrrev_b32_e32 v60, 3, v33
	v_sub_u32_e32 v59, 29, v61
	v_and_b32_e32 v58, 7, v58
	v_cmp_gt_u32_e32 vcc, 8, v33
	v_cndmask_b32_e32 v33, v60, v59, vcc
	v_cndmask_b32_e32 v57, v57, v58, vcc
	v_lshlrev_b32_e32 v30, 24, v30
	v_bfrev_b32_e32 v58, 60
	v_lshlrev_b32_e32 v57, 20, v57
	v_and_b32_e32 v30, 0x80000000, v30
	v_lshl_add_u32 v33, v33, 23, v58
	v_or3_b32 v57, v30, v33, v57
.LBB547_299:
	s_or_b64 exec, exec, s[10:11]
.LBB547_300:
	s_or_b64 exec, exec, s[8:9]
.LBB547_301:
	s_or_b64 exec, exec, s[2:3]
	v_cvt_pkrtz_f16_f32 v30, v51, v53
	v_cvt_pkrtz_f16_f32 v31, v31, v55
	v_cmp_ne_u16_sdwa s[8:9], v22, v52 src0_sel:BYTE_0 src1_sel:DWORD
	s_nop 0
	v_mfma_f32_16x16x16f16 v[42:45], v[30:31], v[18:19], v[42:45]
	v_cvt_pkrtz_f16_f32 v30, v54, v56
	v_cvt_pkrtz_f16_f32 v31, v32, v57
	s_nop 1
	v_mfma_f32_16x16x16f16 v[30:33], v[30:31], v[20:21], v[42:45]
	s_and_saveexec_b64 s[2:3], s[8:9]
	s_cbranch_execz .LBB547_307
; %bb.302:
	s_movk_i32 s8, 0x80
	v_cmp_ne_u16_sdwa s[10:11], v22, s8 src0_sel:BYTE_0 src1_sel:DWORD
	v_bfrev_b32_e32 v52, 1
	s_and_saveexec_b64 s[8:9], s[10:11]
	s_cbranch_execz .LBB547_306
; %bb.303:
	s_movk_i32 s10, 0x7f
	v_and_b32_e32 v42, 0x7f, v22
	v_cmp_ne_u32_e32 vcc, s10, v42
	v_mov_b32_e32 v52, 0x7f800001
	s_and_saveexec_b64 s[10:11], vcc
	s_cbranch_execz .LBB547_305
; %bb.304:
	v_and_b32_e32 v43, 7, v22
	v_ffbh_u32_e32 v44, v43
	v_min_u32_e32 v52, 32, v44
	v_subrev_u32_e32 v44, 28, v52
	v_lshlrev_b64 v[44:45], v44, v[22:23]
	v_lshrrev_b32_e32 v51, 3, v42
	v_sub_u32_e32 v45, 29, v52
	v_and_b32_e32 v44, 7, v44
	v_cmp_gt_u32_e32 vcc, 8, v42
	v_cndmask_b32_e32 v42, v51, v45, vcc
	v_cndmask_b32_e32 v43, v43, v44, vcc
	v_lshlrev_b32_e32 v44, 24, v22
	v_bfrev_b32_e32 v45, 60
	v_lshlrev_b32_e32 v43, 20, v43
	v_and_b32_e32 v44, 0x80000000, v44
	v_lshl_add_u32 v42, v42, 23, v45
	v_or3_b32 v52, v44, v42, v43
.LBB547_305:
	s_or_b64 exec, exec, s[10:11]
.LBB547_306:
	s_or_b64 exec, exec, s[8:9]
.LBB547_307:
	s_or_b64 exec, exec, s[2:3]
	s_nop 3
	v_lshrrev_b16_e32 v42, 8, v22
	v_cmp_ne_u16_e32 vcc, 0, v42
	v_mov_b32_e32 v43, 0
	v_mov_b32_e32 v44, 0
	s_and_saveexec_b64 s[2:3], vcc
	s_cbranch_execz .LBB547_313
; %bb.308:
	s_movk_i32 s8, 0x80
	v_cmp_ne_u16_e32 vcc, s8, v42
	v_bfrev_b32_e32 v44, 1
	s_and_saveexec_b64 s[8:9], vcc
	s_cbranch_execz .LBB547_312
; %bb.309:
	s_movk_i32 s10, 0x7f
	v_and_b32_e32 v45, 0x7f, v42
	v_cmp_ne_u32_e32 vcc, s10, v45
	v_mov_b32_e32 v44, 0x7f800001
	s_and_saveexec_b64 s[10:11], vcc
	s_cbranch_execz .LBB547_311
; %bb.310:
	v_and_b32_e32 v44, 7, v42
	v_ffbh_u32_e32 v53, v44
	v_min_u32_e32 v53, 32, v53
	v_subrev_u32_e32 v54, 28, v53
	v_lshlrev_b64 v[54:55], v54, v[42:43]
	v_lshrrev_b32_e32 v51, 3, v45
	v_sub_u32_e32 v42, 29, v53
	v_and_b32_e32 v53, 7, v54
	v_cmp_gt_u32_e32 vcc, 8, v45
	v_cndmask_b32_e32 v42, v51, v42, vcc
	v_cndmask_b32_e32 v44, v44, v53, vcc
	v_lshlrev_b32_e32 v45, 16, v22
	v_bfrev_b32_e32 v51, 60
	v_lshlrev_b32_e32 v44, 20, v44
	v_and_b32_e32 v45, 0x80000000, v45
	v_lshl_add_u32 v42, v42, 23, v51
	v_or3_b32 v44, v45, v42, v44
.LBB547_311:
	s_or_b64 exec, exec, s[10:11]
.LBB547_312:
	s_or_b64 exec, exec, s[8:9]
.LBB547_313:
	s_or_b64 exec, exec, s[2:3]
	s_movk_i32 s2, 0xff
	v_and_b32_sdwa v45, v22, s2 dst_sel:DWORD dst_unused:UNUSED_PAD src0_sel:WORD_1 src1_sel:DWORD
	v_lshrrev_b32_e32 v42, 16, v22
	v_cmp_ne_u16_e32 vcc, 0, v45
	s_and_saveexec_b64 s[2:3], vcc
	s_cbranch_execz .LBB547_319
; %bb.314:
	s_movk_i32 s8, 0x80
	v_cmp_ne_u16_e32 vcc, s8, v45
	v_bfrev_b32_e32 v43, 1
	s_and_saveexec_b64 s[8:9], vcc
	s_cbranch_execz .LBB547_318
; %bb.315:
	v_bfe_u32 v45, v22, 16, 7
	s_movk_i32 s10, 0x7f
	v_cmp_ne_u32_e32 vcc, s10, v45
	v_mov_b32_e32 v43, 0x7f800001
	s_and_saveexec_b64 s[10:11], vcc
	s_cbranch_execz .LBB547_317
; %bb.316:
	v_and_b32_e32 v51, 7, v42
	v_ffbh_u32_e32 v43, v51
	v_min_u32_e32 v54, 32, v43
	v_subrev_u32_e32 v43, 28, v54
	v_lshlrev_b64 v[42:43], v43, v[42:43]
	v_lshrrev_b32_e32 v53, 3, v45
	v_sub_u32_e32 v43, 29, v54
	v_and_b32_e32 v42, 7, v42
	v_cmp_gt_u32_e32 vcc, 8, v45
	v_mov_b32_e32 v45, 24
	v_cndmask_b32_e32 v43, v53, v43, vcc
	v_cndmask_b32_e32 v42, v51, v42, vcc
	v_lshlrev_b32_sdwa v45, v45, v22 dst_sel:DWORD dst_unused:UNUSED_PAD src0_sel:DWORD src1_sel:WORD_1
	v_bfrev_b32_e32 v51, 60
	v_lshlrev_b32_e32 v42, 20, v42
	v_and_b32_e32 v45, 0x80000000, v45
	v_lshl_add_u32 v43, v43, 23, v51
	v_or3_b32 v43, v45, v43, v42
.LBB547_317:
	s_or_b64 exec, exec, s[10:11]
.LBB547_318:
	s_or_b64 exec, exec, s[8:9]
.LBB547_319:
	s_or_b64 exec, exec, s[2:3]
	s_mov_b32 s2, 0xffffff
	v_cmp_lt_u32_e32 vcc, s2, v22
	v_mov_b32_e32 v45, 0
	v_mov_b32_e32 v51, 0
	s_and_saveexec_b64 s[2:3], vcc
	s_cbranch_execz .LBB547_325
; %bb.320:
	v_lshrrev_b32_e32 v42, 24, v22
	s_movk_i32 s8, 0x80
	v_cmp_ne_u32_e32 vcc, s8, v42
	v_bfrev_b32_e32 v51, 1
	s_and_saveexec_b64 s[8:9], vcc
	s_cbranch_execz .LBB547_324
; %bb.321:
	v_bfe_u32 v22, v22, 24, 7
	s_movk_i32 s10, 0x7f
	v_cmp_ne_u32_e32 vcc, s10, v22
	v_mov_b32_e32 v51, 0x7f800001
	s_and_saveexec_b64 s[10:11], vcc
	s_cbranch_execz .LBB547_323
; %bb.322:
	v_and_b32_e32 v51, 7, v42
	v_ffbh_u32_e32 v54, v51
	v_min_u32_e32 v56, 32, v54
	v_subrev_u32_e32 v54, 28, v56
	v_lshlrev_b64 v[54:55], v54, v[42:43]
	v_lshrrev_b32_e32 v53, 3, v22
	v_sub_u32_e32 v55, 29, v56
	v_and_b32_e32 v54, 7, v54
	v_cmp_gt_u32_e32 vcc, 8, v22
	v_cndmask_b32_e32 v22, v53, v55, vcc
	v_cndmask_b32_e32 v51, v51, v54, vcc
	v_lshlrev_b32_e32 v42, 24, v42
	v_bfrev_b32_e32 v53, 60
	v_lshlrev_b32_e32 v51, 20, v51
	v_and_b32_e32 v42, 0x80000000, v42
	v_lshl_add_u32 v22, v22, 23, v53
	v_or3_b32 v51, v42, v22, v51
.LBB547_323:
	s_or_b64 exec, exec, s[10:11]
.LBB547_324:
	s_or_b64 exec, exec, s[8:9]
.LBB547_325:
	s_or_b64 exec, exec, s[2:3]
	v_cmp_ne_u16_sdwa s[8:9], v23, v45 src0_sel:BYTE_0 src1_sel:DWORD
	s_and_saveexec_b64 s[2:3], s[8:9]
	s_cbranch_execz .LBB547_331
; %bb.326:
	s_movk_i32 s8, 0x80
	v_cmp_ne_u16_sdwa s[10:11], v23, s8 src0_sel:BYTE_0 src1_sel:DWORD
	v_bfrev_b32_e32 v45, 1
	s_and_saveexec_b64 s[8:9], s[10:11]
	s_cbranch_execz .LBB547_330
; %bb.327:
	s_movk_i32 s10, 0x7f
	v_and_b32_e32 v22, 0x7f, v23
	v_cmp_ne_u32_e32 vcc, s10, v22
	v_mov_b32_e32 v45, 0x7f800001
	s_and_saveexec_b64 s[10:11], vcc
	s_cbranch_execz .LBB547_329
; %bb.328:
	v_and_b32_e32 v45, 7, v23
	v_ffbh_u32_e32 v54, v45
	v_min_u32_e32 v56, 32, v54
	v_mov_b32_e32 v42, v23
	v_subrev_u32_e32 v54, 28, v56
	v_lshlrev_b64 v[54:55], v54, v[42:43]
	v_lshrrev_b32_e32 v53, 3, v22
	v_sub_u32_e32 v42, 29, v56
	v_and_b32_e32 v54, 7, v54
	v_cmp_gt_u32_e32 vcc, 8, v22
	v_cndmask_b32_e32 v22, v53, v42, vcc
	v_cndmask_b32_e32 v42, v45, v54, vcc
	v_lshlrev_b32_e32 v45, 24, v23
	v_bfrev_b32_e32 v53, 60
	v_lshlrev_b32_e32 v42, 20, v42
	v_and_b32_e32 v45, 0x80000000, v45
	v_lshl_add_u32 v22, v22, 23, v53
	v_or3_b32 v45, v45, v22, v42
.LBB547_329:
	s_or_b64 exec, exec, s[10:11]
.LBB547_330:
	s_or_b64 exec, exec, s[8:9]
.LBB547_331:
	s_or_b64 exec, exec, s[2:3]
	v_lshrrev_b16_e32 v22, 8, v23
	v_cmp_ne_u16_e32 vcc, 0, v22
	v_mov_b32_e32 v53, 0
	v_mov_b32_e32 v54, 0
	s_and_saveexec_b64 s[2:3], vcc
	s_cbranch_execz .LBB547_337
; %bb.332:
	s_movk_i32 s8, 0x80
	v_cmp_ne_u16_e32 vcc, s8, v22
	v_bfrev_b32_e32 v54, 1
	s_and_saveexec_b64 s[8:9], vcc
	s_cbranch_execz .LBB547_336
; %bb.333:
	s_movk_i32 s10, 0x7f
	v_and_b32_e32 v42, 0x7f, v22
	v_cmp_ne_u32_e32 vcc, s10, v42
	v_mov_b32_e32 v54, 0x7f800001
	s_and_saveexec_b64 s[10:11], vcc
	s_cbranch_execz .LBB547_335
; %bb.334:
	v_and_b32_e32 v56, 7, v22
	v_ffbh_u32_e32 v54, v56
	v_min_u32_e32 v58, 32, v54
	v_subrev_u32_e32 v54, 28, v58
	v_lshlrev_b64 v[54:55], v54, v[22:23]
	v_lshrrev_b32_e32 v57, 3, v42
	v_sub_u32_e32 v22, 29, v58
	v_and_b32_e32 v54, 7, v54
	v_cmp_gt_u32_e32 vcc, 8, v42
	v_cndmask_b32_e32 v22, v57, v22, vcc
	v_cndmask_b32_e32 v42, v56, v54, vcc
	v_lshlrev_b32_e32 v54, 16, v23
	v_bfrev_b32_e32 v55, 60
	v_lshlrev_b32_e32 v42, 20, v42
	v_and_b32_e32 v54, 0x80000000, v54
	v_lshl_add_u32 v22, v22, 23, v55
	v_or3_b32 v54, v54, v22, v42
.LBB547_335:
	s_or_b64 exec, exec, s[10:11]
.LBB547_336:
	s_or_b64 exec, exec, s[8:9]
.LBB547_337:
	s_or_b64 exec, exec, s[2:3]
	s_movk_i32 s2, 0xff
	v_and_b32_sdwa v42, v23, s2 dst_sel:DWORD dst_unused:UNUSED_PAD src0_sel:WORD_1 src1_sel:DWORD
	v_lshrrev_b32_e32 v22, 16, v23
	v_cmp_ne_u16_e32 vcc, 0, v42
	s_and_saveexec_b64 s[2:3], vcc
	s_cbranch_execz .LBB547_343
; %bb.338:
	s_movk_i32 s8, 0x80
	v_cmp_ne_u16_e32 vcc, s8, v42
	v_bfrev_b32_e32 v53, 1
	s_and_saveexec_b64 s[8:9], vcc
	s_cbranch_execz .LBB547_342
; %bb.339:
	v_bfe_u32 v42, v23, 16, 7
	s_movk_i32 s10, 0x7f
	v_cmp_ne_u32_e32 vcc, s10, v42
	v_mov_b32_e32 v53, 0x7f800001
	s_and_saveexec_b64 s[10:11], vcc
	s_cbranch_execz .LBB547_341
; %bb.340:
	v_and_b32_e32 v53, 7, v22
	v_ffbh_u32_e32 v56, v53
	v_min_u32_e32 v58, 32, v56
	v_subrev_u32_e32 v56, 28, v58
	v_lshlrev_b64 v[56:57], v56, v[22:23]
	v_and_b32_e32 v56, 7, v56
	v_cmp_gt_u32_e32 vcc, 8, v42
	v_lshrrev_b32_e32 v55, 3, v42
	v_sub_u32_e32 v22, 29, v58
	v_cndmask_b32_e32 v42, v53, v56, vcc
	v_mov_b32_e32 v53, 24
	v_cndmask_b32_e32 v22, v55, v22, vcc
	v_lshlrev_b32_sdwa v53, v53, v23 dst_sel:DWORD dst_unused:UNUSED_PAD src0_sel:DWORD src1_sel:WORD_1
	v_bfrev_b32_e32 v55, 60
	v_lshlrev_b32_e32 v42, 20, v42
	v_and_b32_e32 v53, 0x80000000, v53
	v_lshl_add_u32 v22, v22, 23, v55
	v_or3_b32 v53, v53, v22, v42
.LBB547_341:
	s_or_b64 exec, exec, s[10:11]
.LBB547_342:
	s_or_b64 exec, exec, s[8:9]
.LBB547_343:
	s_or_b64 exec, exec, s[2:3]
	s_mov_b32 s2, 0xffffff
	v_cmp_lt_u32_e32 vcc, s2, v23
	v_mov_b32_e32 v42, 0
	v_mov_b32_e32 v55, 0
	s_and_saveexec_b64 s[2:3], vcc
	s_cbranch_execz .LBB547_349
; %bb.344:
	v_lshrrev_b32_e32 v22, 24, v23
	s_movk_i32 s8, 0x80
	v_cmp_ne_u32_e32 vcc, s8, v22
	v_bfrev_b32_e32 v55, 1
	s_and_saveexec_b64 s[8:9], vcc
	s_cbranch_execz .LBB547_348
; %bb.345:
	v_bfe_u32 v23, v23, 24, 7
	s_movk_i32 s10, 0x7f
	v_cmp_ne_u32_e32 vcc, s10, v23
	v_mov_b32_e32 v55, 0x7f800001
	s_and_saveexec_b64 s[10:11], vcc
	s_cbranch_execz .LBB547_347
; %bb.346:
	v_and_b32_e32 v55, 7, v22
	v_ffbh_u32_e32 v56, v55
	v_min_u32_e32 v59, 32, v56
	v_subrev_u32_e32 v56, 28, v59
	v_lshlrev_b64 v[56:57], v56, v[22:23]
	v_lshrrev_b32_e32 v58, 3, v23
	v_sub_u32_e32 v57, 29, v59
	v_and_b32_e32 v56, 7, v56
	v_cmp_gt_u32_e32 vcc, 8, v23
	v_cndmask_b32_e32 v23, v58, v57, vcc
	v_cndmask_b32_e32 v55, v55, v56, vcc
	v_lshlrev_b32_e32 v22, 24, v22
	v_bfrev_b32_e32 v56, 60
	v_lshlrev_b32_e32 v55, 20, v55
	v_and_b32_e32 v22, 0x80000000, v22
	v_lshl_add_u32 v23, v23, 23, v56
	v_or3_b32 v55, v22, v23, v55
.LBB547_347:
	s_or_b64 exec, exec, s[10:11]
.LBB547_348:
	s_or_b64 exec, exec, s[8:9]
.LBB547_349:
	s_or_b64 exec, exec, s[2:3]
	v_cvt_pkrtz_f16_f32 v22, v52, v44
	v_cvt_pkrtz_f16_f32 v23, v43, v51
	v_cmp_ne_u16_sdwa s[8:9], v24, v42 src0_sel:BYTE_0 src1_sel:DWORD
	s_nop 0
	v_mfma_f32_16x16x16f16 v[56:59], v[22:23], v[26:27], 0
	v_cvt_pkrtz_f16_f32 v22, v45, v54
	v_cvt_pkrtz_f16_f32 v23, v53, v55
	s_nop 1
	v_mfma_f32_16x16x16f16 v[26:29], v[22:23], v[28:29], v[56:59]
	s_and_saveexec_b64 s[2:3], s[8:9]
	s_cbranch_execz .LBB547_355
; %bb.350:
	s_movk_i32 s8, 0x80
	v_cmp_ne_u16_sdwa s[10:11], v24, s8 src0_sel:BYTE_0 src1_sel:DWORD
	v_bfrev_b32_e32 v42, 1
	s_and_saveexec_b64 s[8:9], s[10:11]
	s_cbranch_execz .LBB547_354
; %bb.351:
	s_movk_i32 s10, 0x7f
	v_and_b32_e32 v22, 0x7f, v24
	v_cmp_ne_u32_e32 vcc, s10, v22
	v_mov_b32_e32 v42, 0x7f800001
	s_and_saveexec_b64 s[10:11], vcc
	s_cbranch_execz .LBB547_353
; %bb.352:
	v_and_b32_e32 v23, 7, v24
	v_ffbh_u32_e32 v42, v23
	v_min_u32_e32 v45, 32, v42
	v_subrev_u32_e32 v42, 28, v45
	v_lshlrev_b64 v[42:43], v42, v[24:25]
	v_lshrrev_b32_e32 v44, 3, v22
	v_sub_u32_e32 v43, 29, v45
	v_and_b32_e32 v42, 7, v42
	v_cmp_gt_u32_e32 vcc, 8, v22
	v_cndmask_b32_e32 v22, v44, v43, vcc
	v_cndmask_b32_e32 v23, v23, v42, vcc
	v_lshlrev_b32_e32 v42, 24, v24
	v_bfrev_b32_e32 v43, 60
	v_lshlrev_b32_e32 v23, 20, v23
	v_and_b32_e32 v42, 0x80000000, v42
	v_lshl_add_u32 v22, v22, 23, v43
	v_or3_b32 v42, v42, v22, v23
.LBB547_353:
	s_or_b64 exec, exec, s[10:11]
.LBB547_354:
	s_or_b64 exec, exec, s[8:9]
.LBB547_355:
	s_or_b64 exec, exec, s[2:3]
	v_lshrrev_b16_e32 v22, 8, v24
	v_cmp_ne_u16_e32 vcc, 0, v22
	v_mov_b32_e32 v23, 0
	v_mov_b32_e32 v43, 0
	s_and_saveexec_b64 s[2:3], vcc
	s_cbranch_execz .LBB547_361
; %bb.356:
	s_movk_i32 s8, 0x80
	v_cmp_ne_u16_e32 vcc, s8, v22
	v_bfrev_b32_e32 v43, 1
	s_and_saveexec_b64 s[8:9], vcc
	s_cbranch_execz .LBB547_360
; %bb.357:
	s_movk_i32 s10, 0x7f
	v_and_b32_e32 v44, 0x7f, v22
	v_cmp_ne_u32_e32 vcc, s10, v44
	v_mov_b32_e32 v43, 0x7f800001
	s_and_saveexec_b64 s[10:11], vcc
	s_cbranch_execz .LBB547_359
; %bb.358:
	v_and_b32_e32 v43, 7, v22
	v_ffbh_u32_e32 v51, v43
	v_min_u32_e32 v51, 32, v51
	v_subrev_u32_e32 v52, 28, v51
	v_lshlrev_b64 v[52:53], v52, v[22:23]
	v_lshrrev_b32_e32 v45, 3, v44
	v_sub_u32_e32 v22, 29, v51
	v_and_b32_e32 v51, 7, v52
	v_cmp_gt_u32_e32 vcc, 8, v44
	v_cndmask_b32_e32 v22, v45, v22, vcc
	v_cndmask_b32_e32 v43, v43, v51, vcc
	v_lshlrev_b32_e32 v44, 16, v24
	v_bfrev_b32_e32 v45, 60
	v_lshlrev_b32_e32 v43, 20, v43
	v_and_b32_e32 v44, 0x80000000, v44
	v_lshl_add_u32 v22, v22, 23, v45
	v_or3_b32 v43, v44, v22, v43
.LBB547_359:
	s_or_b64 exec, exec, s[10:11]
.LBB547_360:
	s_or_b64 exec, exec, s[8:9]
.LBB547_361:
	s_or_b64 exec, exec, s[2:3]
	s_movk_i32 s2, 0xff
	v_and_b32_sdwa v44, v24, s2 dst_sel:DWORD dst_unused:UNUSED_PAD src0_sel:WORD_1 src1_sel:DWORD
	v_lshrrev_b32_e32 v22, 16, v24
	v_cmp_ne_u16_e32 vcc, 0, v44
	s_and_saveexec_b64 s[2:3], vcc
	s_cbranch_execz .LBB547_367
; %bb.362:
	s_movk_i32 s8, 0x80
	v_cmp_ne_u16_e32 vcc, s8, v44
	v_bfrev_b32_e32 v23, 1
	s_and_saveexec_b64 s[8:9], vcc
	s_cbranch_execz .LBB547_366
; %bb.363:
	v_bfe_u32 v44, v24, 16, 7
	s_movk_i32 s10, 0x7f
	v_cmp_ne_u32_e32 vcc, s10, v44
	v_mov_b32_e32 v23, 0x7f800001
	s_and_saveexec_b64 s[10:11], vcc
	s_cbranch_execz .LBB547_365
; %bb.364:
	v_and_b32_e32 v45, 7, v22
	v_ffbh_u32_e32 v23, v45
	v_min_u32_e32 v52, 32, v23
	v_subrev_u32_e32 v23, 28, v52
	v_lshlrev_b64 v[22:23], v23, v[22:23]
	v_lshrrev_b32_e32 v51, 3, v44
	v_sub_u32_e32 v23, 29, v52
	v_and_b32_e32 v22, 7, v22
	v_cmp_gt_u32_e32 vcc, 8, v44
	v_mov_b32_e32 v44, 24
	v_cndmask_b32_e32 v23, v51, v23, vcc
	v_cndmask_b32_e32 v22, v45, v22, vcc
	v_lshlrev_b32_sdwa v44, v44, v24 dst_sel:DWORD dst_unused:UNUSED_PAD src0_sel:DWORD src1_sel:WORD_1
	v_bfrev_b32_e32 v45, 60
	v_lshlrev_b32_e32 v22, 20, v22
	v_and_b32_e32 v44, 0x80000000, v44
	v_lshl_add_u32 v23, v23, 23, v45
	v_or3_b32 v23, v44, v23, v22
.LBB547_365:
	s_or_b64 exec, exec, s[10:11]
.LBB547_366:
	s_or_b64 exec, exec, s[8:9]
.LBB547_367:
	s_or_b64 exec, exec, s[2:3]
	s_mov_b32 s2, 0xffffff
	v_cmp_lt_u32_e32 vcc, s2, v24
	v_mov_b32_e32 v45, 0
	v_mov_b32_e32 v51, 0
	s_and_saveexec_b64 s[2:3], vcc
	s_cbranch_execz .LBB547_373
; %bb.368:
	v_lshrrev_b32_e32 v22, 24, v24
	s_movk_i32 s8, 0x80
	v_cmp_ne_u32_e32 vcc, s8, v22
	v_bfrev_b32_e32 v51, 1
	s_and_saveexec_b64 s[8:9], vcc
	s_cbranch_execz .LBB547_372
; %bb.369:
	v_bfe_u32 v24, v24, 24, 7
	s_movk_i32 s10, 0x7f
	v_cmp_ne_u32_e32 vcc, s10, v24
	v_mov_b32_e32 v51, 0x7f800001
	s_and_saveexec_b64 s[10:11], vcc
	s_cbranch_execz .LBB547_371
; %bb.370:
	v_and_b32_e32 v44, 7, v22
	v_ffbh_u32_e32 v52, v44
	v_min_u32_e32 v54, 32, v52
	v_subrev_u32_e32 v52, 28, v54
	v_lshlrev_b64 v[52:53], v52, v[22:23]
	v_lshrrev_b32_e32 v51, 3, v24
	v_sub_u32_e32 v53, 29, v54
	v_and_b32_e32 v52, 7, v52
	v_cmp_gt_u32_e32 vcc, 8, v24
	v_cndmask_b32_e32 v24, v51, v53, vcc
	v_cndmask_b32_e32 v44, v44, v52, vcc
	v_lshlrev_b32_e32 v22, 24, v22
	v_bfrev_b32_e32 v51, 60
	v_lshlrev_b32_e32 v44, 20, v44
	v_and_b32_e32 v22, 0x80000000, v22
	v_lshl_add_u32 v24, v24, 23, v51
	v_or3_b32 v51, v22, v24, v44
.LBB547_371:
	s_or_b64 exec, exec, s[10:11]
.LBB547_372:
	s_or_b64 exec, exec, s[8:9]
.LBB547_373:
	s_or_b64 exec, exec, s[2:3]
	v_cmp_ne_u16_sdwa s[8:9], v25, v45 src0_sel:BYTE_0 src1_sel:DWORD
	s_and_saveexec_b64 s[2:3], s[8:9]
	s_cbranch_execz .LBB547_379
; %bb.374:
	s_movk_i32 s8, 0x80
	v_cmp_ne_u16_sdwa s[10:11], v25, s8 src0_sel:BYTE_0 src1_sel:DWORD
	v_bfrev_b32_e32 v45, 1
	s_and_saveexec_b64 s[8:9], s[10:11]
	s_cbranch_execz .LBB547_378
; %bb.375:
	s_movk_i32 s10, 0x7f
	v_and_b32_e32 v22, 0x7f, v25
	v_cmp_ne_u32_e32 vcc, s10, v22
	v_mov_b32_e32 v45, 0x7f800001
	s_and_saveexec_b64 s[10:11], vcc
	s_cbranch_execz .LBB547_377
; %bb.376:
	v_and_b32_e32 v52, 7, v25
	v_ffbh_u32_e32 v44, v52
	v_min_u32_e32 v54, 32, v44
	v_mov_b32_e32 v24, v25
	v_subrev_u32_e32 v44, 28, v54
	v_lshlrev_b64 v[44:45], v44, v[24:25]
	v_lshrrev_b32_e32 v53, 3, v22
	v_sub_u32_e32 v24, 29, v54
	v_and_b32_e32 v44, 7, v44
	v_cmp_gt_u32_e32 vcc, 8, v22
	v_cndmask_b32_e32 v22, v53, v24, vcc
	v_cndmask_b32_e32 v24, v52, v44, vcc
	v_lshlrev_b32_e32 v44, 24, v25
	v_bfrev_b32_e32 v45, 60
	v_lshlrev_b32_e32 v24, 20, v24
	v_and_b32_e32 v44, 0x80000000, v44
	v_lshl_add_u32 v22, v22, 23, v45
	v_or3_b32 v45, v44, v22, v24
.LBB547_377:
	s_or_b64 exec, exec, s[10:11]
.LBB547_378:
	s_or_b64 exec, exec, s[8:9]
.LBB547_379:
	s_or_b64 exec, exec, s[2:3]
	v_lshrrev_b16_e32 v22, 8, v25
	v_cmp_ne_u16_e32 vcc, 0, v22
	v_mov_b32_e32 v52, 0
	v_mov_b32_e32 v53, 0
	s_and_saveexec_b64 s[2:3], vcc
	s_cbranch_execz .LBB547_385
; %bb.380:
	s_movk_i32 s8, 0x80
	v_cmp_ne_u16_e32 vcc, s8, v22
	v_bfrev_b32_e32 v53, 1
	s_and_saveexec_b64 s[8:9], vcc
	s_cbranch_execz .LBB547_384
; %bb.381:
	s_movk_i32 s10, 0x7f
	v_and_b32_e32 v24, 0x7f, v22
	v_cmp_ne_u32_e32 vcc, s10, v24
	v_mov_b32_e32 v53, 0x7f800001
	s_and_saveexec_b64 s[10:11], vcc
	s_cbranch_execz .LBB547_383
; %bb.382:
	v_and_b32_e32 v44, 7, v22
	v_ffbh_u32_e32 v54, v44
	v_min_u32_e32 v56, 32, v54
	v_subrev_u32_e32 v54, 28, v56
	v_lshlrev_b64 v[54:55], v54, v[22:23]
	v_lshrrev_b32_e32 v53, 3, v24
	v_sub_u32_e32 v22, 29, v56
	v_and_b32_e32 v54, 7, v54
	v_cmp_gt_u32_e32 vcc, 8, v24
	v_cndmask_b32_e32 v22, v53, v22, vcc
	v_cndmask_b32_e32 v24, v44, v54, vcc
	v_lshlrev_b32_e32 v44, 16, v25
	v_bfrev_b32_e32 v53, 60
	v_lshlrev_b32_e32 v24, 20, v24
	v_and_b32_e32 v44, 0x80000000, v44
	v_lshl_add_u32 v22, v22, 23, v53
	v_or3_b32 v53, v44, v22, v24
.LBB547_383:
	s_or_b64 exec, exec, s[10:11]
.LBB547_384:
	s_or_b64 exec, exec, s[8:9]
.LBB547_385:
	s_or_b64 exec, exec, s[2:3]
	s_movk_i32 s2, 0xff
	v_and_b32_sdwa v24, v25, s2 dst_sel:DWORD dst_unused:UNUSED_PAD src0_sel:WORD_1 src1_sel:DWORD
	v_lshrrev_b32_e32 v22, 16, v25
	v_cmp_ne_u16_e32 vcc, 0, v24
	s_and_saveexec_b64 s[2:3], vcc
	s_cbranch_execz .LBB547_391
; %bb.386:
	s_movk_i32 s8, 0x80
	v_cmp_ne_u16_e32 vcc, s8, v24
	v_bfrev_b32_e32 v52, 1
	s_and_saveexec_b64 s[8:9], vcc
	s_cbranch_execz .LBB547_390
; %bb.387:
	v_bfe_u32 v24, v25, 16, 7
	s_movk_i32 s10, 0x7f
	v_cmp_ne_u32_e32 vcc, s10, v24
	v_mov_b32_e32 v52, 0x7f800001
	s_and_saveexec_b64 s[10:11], vcc
	s_cbranch_execz .LBB547_389
; %bb.388:
	v_and_b32_e32 v44, 7, v22
	v_ffbh_u32_e32 v54, v44
	v_min_u32_e32 v56, 32, v54
	v_subrev_u32_e32 v54, 28, v56
	v_lshlrev_b64 v[54:55], v54, v[22:23]
	v_and_b32_e32 v54, 7, v54
	v_cmp_gt_u32_e32 vcc, 8, v24
	v_lshrrev_b32_e32 v52, 3, v24
	v_sub_u32_e32 v22, 29, v56
	v_cndmask_b32_e32 v24, v44, v54, vcc
	v_mov_b32_e32 v44, 24
	v_cndmask_b32_e32 v22, v52, v22, vcc
	v_lshlrev_b32_sdwa v44, v44, v25 dst_sel:DWORD dst_unused:UNUSED_PAD src0_sel:DWORD src1_sel:WORD_1
	v_bfrev_b32_e32 v52, 60
	v_lshlrev_b32_e32 v24, 20, v24
	v_and_b32_e32 v44, 0x80000000, v44
	v_lshl_add_u32 v22, v22, 23, v52
	v_or3_b32 v52, v44, v22, v24
.LBB547_389:
	s_or_b64 exec, exec, s[10:11]
.LBB547_390:
	s_or_b64 exec, exec, s[8:9]
.LBB547_391:
	s_or_b64 exec, exec, s[2:3]
	s_mov_b32 s2, 0xffffff
	v_and_b32_e32 v44, 63, v0
	v_cmp_lt_u32_e32 vcc, s2, v25
	v_mov_b32_e32 v54, 0
	s_and_saveexec_b64 s[2:3], vcc
	s_cbranch_execz .LBB547_397
; %bb.392:
	v_lshrrev_b32_e32 v22, 24, v25
	s_movk_i32 s8, 0x80
	v_cmp_ne_u32_e32 vcc, s8, v22
	v_bfrev_b32_e32 v54, 1
	s_and_saveexec_b64 s[8:9], vcc
	s_cbranch_execz .LBB547_396
; %bb.393:
	v_bfe_u32 v24, v25, 24, 7
	s_movk_i32 s10, 0x7f
	v_cmp_ne_u32_e32 vcc, s10, v24
	v_mov_b32_e32 v54, 0x7f800001
	s_and_saveexec_b64 s[10:11], vcc
	s_cbranch_execz .LBB547_395
; %bb.394:
	v_and_b32_e32 v25, 7, v22
	v_ffbh_u32_e32 v54, v25
	v_min_u32_e32 v57, 32, v54
	v_subrev_u32_e32 v54, 28, v57
	v_lshlrev_b64 v[54:55], v54, v[22:23]
	v_lshrrev_b32_e32 v56, 3, v24
	v_sub_u32_e32 v55, 29, v57
	v_and_b32_e32 v54, 7, v54
	v_cmp_gt_u32_e32 vcc, 8, v24
	v_cndmask_b32_e32 v24, v56, v55, vcc
	v_cndmask_b32_e32 v25, v25, v54, vcc
	v_lshlrev_b32_e32 v22, 24, v22
	v_bfrev_b32_e32 v54, 60
	v_lshlrev_b32_e32 v25, 20, v25
	v_and_b32_e32 v22, 0x80000000, v22
	v_lshl_add_u32 v24, v24, 23, v54
	v_or3_b32 v54, v22, v24, v25
.LBB547_395:
	s_or_b64 exec, exec, s[10:11]
.LBB547_396:
	s_or_b64 exec, exec, s[8:9]
.LBB547_397:
	s_or_b64 exec, exec, s[2:3]
	v_cvt_pkrtz_f16_f32 v42, v42, v43
	v_cvt_pkrtz_f16_f32 v43, v23, v51
	s_load_dword s2, s[4:5], 0x1c
	s_mov_b32 s46, 0xff7fffff
	s_waitcnt lgkmcnt(0)
	v_mfma_f32_16x16x16f16 v[26:29], v[42:43], v[18:19], v[26:29]
	v_cvt_pkrtz_f16_f32 v18, v45, v53
	v_cvt_pkrtz_f16_f32 v19, v52, v54
	v_mov_b32_e32 v22, s2
	v_mul_f32_e32 v56, s12, v22
	v_pk_mul_f32 v[22:23], v[56:57], v[32:33] op_sel_hi:[0,1]
	v_pk_mul_f32 v[32:33], v[56:57], v[38:39] op_sel_hi:[0,1]
	v_and_b32_e32 v38, 0xc0, v0
	v_mfma_f32_16x16x16f16 v[26:29], v[18:19], v[20:21], v[26:29]
	v_add_u32_e32 v38, s18, v38
	v_lshl_or_b32 v38, v1, 2, v38
	v_or_b32_e32 v39, 1, v38
	v_pk_mul_f32 v[24:25], v[56:57], v[30:31] op_sel_hi:[0,1]
	v_pk_mul_f32 v[30:31], v[56:57], v[40:41] op_sel_hi:[0,1]
	v_subrev_u32_e32 v40, s33, v39
	v_pk_mul_f32 v[34:35], v[56:57], v[34:35] op_sel_hi:[0,1]
	s_nop 3
	v_pk_mul_f32 v[20:21], v[56:57], v[26:27] op_sel_hi:[0,1]
	v_add_u32_e32 v27, 1, v40
	v_pk_mul_f32 v[18:19], v[56:57], v[28:29] op_sel_hi:[0,1]
	v_cvt_f32_i32_e32 v27, v27
	v_add_u32_e32 v29, 3, v40
	v_cvt_f32_i32_e32 v29, v29
	v_cvt_f32_i32_e32 v26, v40
	v_pk_mul_f32 v[36:37], v[56:57], v[36:37] op_sel_hi:[0,1]
	v_fmac_f32_e32 v35, v50, v27
	v_add_u32_e32 v27, 16, v40
	v_fmac_f32_e32 v37, v50, v29
	v_cvt_f32_i32_e32 v27, v27
	v_add_u32_e32 v29, 17, v40
	v_fma_f32 v26, v50, v26, v34
	v_cvt_f32_i32_e32 v29, v29
	v_add_u32_e32 v34, 18, v40
	v_cvt_f32_i32_e32 v34, v34
	v_fma_f32 v41, v50, v27, v32
	v_add_u32_e32 v27, 32, v40
	v_fmac_f32_e32 v33, v50, v29
	v_cvt_f32_i32_e32 v27, v27
	v_add_u32_e32 v29, 33, v40
	v_add_u32_e32 v32, 34, v40
	v_fma_f32 v30, v50, v34, v30
	v_cvt_f32_i32_e32 v29, v29
	v_cvt_f32_i32_e32 v32, v32
	v_add_u32_e32 v34, 35, v40
	v_cvt_f32_i32_e32 v34, v34
	v_fma_f32 v24, v50, v27, v24
	v_add_u32_e32 v27, 48, v40
	v_fmac_f32_e32 v25, v50, v29
	v_fma_f32 v22, v50, v32, v22
	v_cvt_f32_i32_e32 v27, v27
	v_add_u32_e32 v29, 49, v40
	v_add_u32_e32 v32, 50, v40
	v_fmac_f32_e32 v23, v50, v34
	v_cvt_f32_i32_e32 v29, v29
	v_cvt_f32_i32_e32 v32, v32
	v_add_u32_e32 v34, 51, v40
	v_add_u32_e32 v28, 2, v40
	v_cvt_f32_i32_e32 v34, v34
	v_cvt_f32_i32_e32 v28, v28
	v_fma_f32 v20, v50, v27, v20
	v_mov_b32_e32 v27, 0xff7fffff
	v_cmp_gt_i32_e64 s[26:27], s33, v38
	v_cmp_gt_i32_e64 s[28:29], s33, v39
	v_fmac_f32_e32 v21, v50, v29
	v_fma_f32 v18, v50, v32, v18
	v_cndmask_b32_e64 v29, v27, v26, s[26:27]
	v_cndmask_b32_e64 v32, v27, v35, s[28:29]
	v_fmac_f32_e32 v19, v50, v34
	v_max3_f32 v29, v29, s46, v32
	v_or_b32_e32 v32, 2, v38
	v_or_b32_e32 v34, 3, v38
	v_fma_f32 v28, v50, v28, v36
	v_cmp_gt_i32_e64 s[30:31], s33, v32
	v_cmp_gt_i32_e64 s[34:35], s33, v34
	v_add_u32_e32 v36, 19, v40
	v_cndmask_b32_e64 v32, v27, v28, s[30:31]
	v_cndmask_b32_e64 v34, v27, v37, s[34:35]
	v_cvt_f32_i32_e32 v36, v36
	v_max3_f32 v29, v29, v32, v34
	v_or_b32_e32 v32, 16, v38
	v_or_b32_e32 v34, 17, v38
	v_cmp_gt_i32_e64 s[36:37], s33, v32
	v_cmp_gt_i32_e64 s[38:39], s33, v34
	v_cndmask_b32_e64 v32, v27, v41, s[36:37]
	v_cndmask_b32_e64 v34, v27, v33, s[38:39]
	v_max3_f32 v29, v29, v32, v34
	v_or_b32_e32 v32, 18, v38
	v_or_b32_e32 v34, 19, v38
	v_fmac_f32_e32 v31, v50, v36
	v_cmp_gt_i32_e64 s[20:21], s33, v32
	v_cmp_gt_i32_e64 s[22:23], s33, v34
	v_cndmask_b32_e64 v32, v27, v30, s[20:21]
	v_cndmask_b32_e64 v34, v27, v31, s[22:23]
	v_max3_f32 v29, v29, v32, v34
	v_or_b32_e32 v32, 32, v38
	v_or_b32_e32 v34, 33, v38
	v_cmp_gt_i32_e64 s[16:17], s33, v32
	v_cmp_gt_i32_e64 s[18:19], s33, v34
	v_cndmask_b32_e64 v32, v27, v24, s[16:17]
	v_cndmask_b32_e64 v34, v27, v25, s[18:19]
	v_max3_f32 v29, v29, v32, v34
	v_or_b32_e32 v32, 34, v38
	v_or_b32_e32 v34, 35, v38
	;; [unrolled: 7-line block ×4, first 2 shown]
	v_cmp_gt_i32_e32 vcc, s33, v32
	v_cmp_gt_i32_e64 s[2:3], s33, v34
	v_cndmask_b32_e32 v32, v27, v18, vcc
	v_cndmask_b32_e64 v27, v27, v19, s[2:3]
	v_max3_f32 v27, v29, v32, v27
	v_mbcnt_lo_u32_b32 v29, -1, 0
	v_mbcnt_hi_u32_b32 v29, -1, v29
	v_and_b32_e32 v32, 64, v29
	v_add_u32_e32 v32, 64, v32
	v_xor_b32_e32 v34, 32, v29
	v_cmp_lt_i32_e64 s[40:41], v34, v32
	v_cndmask_b32_e64 v34, v29, v34, s[40:41]
	v_lshlrev_b32_e32 v36, 2, v34
	ds_bpermute_b32 v34, v36, v27
	s_barrier
	s_waitcnt lgkmcnt(0)
	v_max_f32_e32 v34, v34, v34
	v_max_f32_e32 v27, v27, v34
	v_xor_b32_e32 v34, 16, v29
	v_cmp_lt_i32_e64 s[40:41], v34, v32
	v_cndmask_b32_e64 v29, v29, v34, s[40:41]
	v_lshlrev_b32_e32 v38, 2, v29
	ds_bpermute_b32 v29, v38, v27
	s_waitcnt lgkmcnt(0)
	v_max_f32_e32 v29, v29, v29
	v_max_f32_e32 v32, v27, v29
	v_sub_f32_e32 v26, v26, v32
	v_mul_f32_e32 v26, 0x3fb8aa3b, v26
	v_sub_f32_e32 v27, v35, v32
	v_exp_f32_e32 v26, v26
	v_mul_f32_e32 v27, 0x3fb8aa3b, v27
	v_sub_f32_e32 v28, v28, v32
	v_exp_f32_e32 v27, v27
	v_mul_f32_e32 v28, 0x3fb8aa3b, v28
	v_exp_f32_e32 v28, v28
	v_cndmask_b32_e64 v26, 0, v26, s[26:27]
	v_sub_f32_e32 v34, v37, v32
	v_add_f32_e32 v29, 0, v26
	v_cndmask_b32_e64 v27, 0, v27, s[28:29]
	v_mul_f32_e32 v34, 0x3fb8aa3b, v34
	v_exp_f32_e32 v35, v34
	v_add_f32_e32 v29, v29, v27
	v_cndmask_b32_e64 v34, 0, v28, s[30:31]
	v_add_f32_e32 v28, v29, v34
	v_sub_f32_e32 v29, v41, v32
	v_mul_f32_e32 v29, 0x3fb8aa3b, v29
	v_sub_f32_e32 v33, v33, v32
	v_exp_f32_e32 v29, v29
	v_mul_f32_e32 v33, 0x3fb8aa3b, v33
	v_sub_f32_e32 v30, v30, v32
	v_exp_f32_e32 v33, v33
	;; [unrolled: 3-line block ×3, first 2 shown]
	v_mul_f32_e32 v31, 0x3fb8aa3b, v31
	v_sub_f32_e32 v24, v24, v32
	v_cndmask_b32_e64 v35, 0, v35, s[34:35]
	v_exp_f32_e32 v31, v31
	v_mul_f32_e32 v24, 0x3fb8aa3b, v24
	v_sub_f32_e32 v25, v25, v32
	v_add_f32_e32 v37, v28, v35
	v_cndmask_b32_e64 v28, 0, v29, s[36:37]
	v_exp_f32_e32 v24, v24
	v_mul_f32_e32 v25, 0x3fb8aa3b, v25
	v_sub_f32_e32 v22, v22, v32
	v_add_f32_e32 v37, v37, v28
	;; [unrolled: 5-line block ×7, first 2 shown]
	v_cndmask_b32_e64 v22, 0, v22, s[12:13]
	v_exp_f32_e32 v18, v18
	v_mul_f32_e32 v19, 0x3fb8aa3b, v19
	v_add_f32_e32 v33, v33, v22
	v_cndmask_b32_e64 v23, 0, v23, s[14:15]
	v_exp_f32_e32 v19, v19
	v_add_f32_e32 v33, v33, v23
	v_cndmask_b32_e64 v20, 0, v20, s[8:9]
	v_add_f32_e32 v33, v33, v20
	v_cndmask_b32_e64 v21, 0, v21, s[10:11]
	v_add_f32_e32 v33, v33, v21
	v_cndmask_b32_e32 v18, 0, v18, vcc
	v_add_f32_e32 v33, v33, v18
	v_cndmask_b32_e64 v19, 0, v19, s[2:3]
	v_add_f32_e32 v33, v33, v19
	ds_bpermute_b32 v36, v36, v33
	v_cmp_gt_u32_e32 vcc, 16, v44
	s_waitcnt lgkmcnt(0)
	v_add_f32_e32 v33, v33, v36
	ds_bpermute_b32 v37, v38, v33
	v_lshlrev_b32_e32 v36, 2, v48
	s_and_saveexec_b64 s[2:3], vcc
	s_cbranch_execz .LBB547_399
; %bb.398:
	s_waitcnt lgkmcnt(0)
	v_add_f32_e32 v33, v33, v37
	v_lshl_or_b32 v37, v49, 6, v36
	ds_write2st64_b32 v37, v32, v33 offset1:1
.LBB547_399:
	s_or_b64 exec, exec, s[2:3]
	s_waitcnt lgkmcnt(0)
	s_barrier
	ds_read2_b32 v[38:39], v36 offset1:16
	ds_read2_b32 v[40:41], v36 offset0:32 offset1:48
	ds_read2_b32 v[42:43], v36 offset0:64 offset1:80
	s_mul_i32 s12, s45, 6
	s_waitcnt lgkmcnt(2)
	v_max3_f32 v32, v38, s46, v39
	s_waitcnt lgkmcnt(1)
	v_max3_f32 v33, v32, v40, v41
	v_sub_f32_e32 v32, v38, v33
	v_mul_f32_e32 v32, 0x3fb8aa3b, v32
	v_exp_f32_e32 v37, v32
	v_sub_f32_e32 v32, v39, v33
	v_mul_f32_e32 v32, 0x3fb8aa3b, v32
	v_exp_f32_e32 v44, v32
	;; [unrolled: 3-line block ×3, first 2 shown]
	ds_read2_b32 v[38:39], v36 offset0:96 offset1:112
	v_sub_f32_e32 v32, v41, v33
	v_mul_f32_e32 v32, 0x3fb8aa3b, v32
	v_exp_f32_e32 v41, v32
	s_waitcnt lgkmcnt(1)
	v_fma_f32 v36, v37, v42, 0
	v_fmac_f32_e32 v36, v44, v43
	s_waitcnt lgkmcnt(0)
	v_fmac_f32_e32 v36, v40, v38
	v_fmac_f32_e32 v36, v41, v39
	v_add_f32_e32 v38, 0x358637bd, v36
	v_div_scale_f32 v39, s[2:3], v38, v38, 1.0
	v_rcp_f32_e32 v42, v39
	s_barrier
	v_fma_f32 v43, -v39, v42, 1.0
	v_fmac_f32_e32 v42, v43, v42
	v_div_scale_f32 v43, vcc, 1.0, v38, 1.0
	v_mul_f32_e32 v45, v43, v42
	v_fma_f32 v50, -v39, v45, v43
	v_fmac_f32_e32 v45, v50, v42
	v_fma_f32 v39, -v39, v45, v43
	v_div_fmas_f32 v39, v39, v42, v45
	v_cmp_eq_u32_e32 vcc, 1, v49
	v_cndmask_b32_e32 v37, v37, v44, vcc
	v_cmp_eq_u32_e32 vcc, 2, v49
	v_cndmask_b32_e32 v37, v37, v40, vcc
	v_cmp_eq_u32_e32 vcc, 3, v49
	v_div_fixup_f32 v38, v39, v38, 1.0
	v_cndmask_b32_e32 v37, v37, v41, vcc
	v_mul_f32_e32 v38, v37, v38
	v_pk_mul_f32 v[34:35], v[38:39], v[34:35] op_sel_hi:[0,1]
	v_pk_mul_f32 v[26:27], v[38:39], v[26:27] op_sel_hi:[0,1]
	v_cvt_f16_f32_e32 v26, v26
	v_cvt_f16_f32_e32 v27, v27
	;; [unrolled: 1-line block ×4, first 2 shown]
	v_pk_mul_f32 v[30:31], v[38:39], v[30:31] op_sel_hi:[0,1]
	v_pk_mul_f32 v[28:29], v[38:39], v[28:29] op_sel_hi:[0,1]
	v_cvt_f16_f32_e32 v28, v28
	v_cvt_f16_f32_e32 v29, v29
	;; [unrolled: 1-line block ×4, first 2 shown]
	v_pack_b32_f16 v34, v26, v27
	v_pack_b32_f16 v35, v37, v35
	v_lshlrev_b32_e32 v26, 3, v1
	v_lshlrev_b32_e32 v27, 5, v48
	;; [unrolled: 1-line block ×3, first 2 shown]
	v_or3_b32 v26, v37, v27, v26
	v_pack_b32_f16 v28, v28, v29
	v_pack_b32_f16 v29, v30, v31
	v_pk_mul_f32 v[22:23], v[38:39], v[22:23] op_sel_hi:[0,1]
	v_pk_mul_f32 v[24:25], v[38:39], v[24:25] op_sel_hi:[0,1]
	;; [unrolled: 1-line block ×4, first 2 shown]
	ds_write2st64_b64 v26, v[34:35], v[28:29] offset1:1
	v_cvt_f16_f32_e32 v24, v24
	v_cvt_f16_f32_e32 v25, v25
	;; [unrolled: 1-line block ×8, first 2 shown]
	v_mov_b32_e32 v32, 0
	v_pack_b32_f16 v18, v24, v25
	v_pack_b32_f16 v19, v22, v23
	;; [unrolled: 1-line block ×4, first 2 shown]
	v_cmp_gt_u32_e32 vcc, 6, v0
	ds_write2st64_b64 v26, v[18:19], v[20:21] offset0:2 offset1:3
	s_and_saveexec_b64 s[2:3], vcc
	s_cbranch_execz .LBB547_401
; %bb.400:
	v_add_co_u32_e32 v20, vcc, s25, v48
	v_addc_co_u32_e64 v21, s[14:15], 0, 0, vcc
	v_mov_b32_e32 v18, s12
	v_mov_b32_e32 v19, 0
	v_mad_u64_u32 v[20:21], s[14:15], s6, v18, v[20:21]
	v_mov_b32_e32 v18, s24
	s_load_dwordx4 s[8:11], s[4:5], 0x58
	s_mul_i32 s7, s7, s12
	v_mad_u64_u32 v[18:19], s[14:15], v20, s44, v[18:19]
	v_add_u32_e32 v21, s7, v21
	v_mov_b32_e32 v20, v19
	v_mad_u64_u32 v[20:21], s[14:15], v21, s44, v[20:21]
	v_mov_b32_e32 v19, v20
	v_lshlrev_b64 v[18:19], 2, v[18:19]
	s_waitcnt lgkmcnt(0)
	v_mov_b32_e32 v21, s11
	v_add_co_u32_e32 v20, vcc, s10, v18
	v_addc_co_u32_e32 v21, vcc, v21, v19, vcc
	global_store_dword v[20:21], v33, off
	v_mov_b32_e32 v20, s9
	v_add_co_u32_e32 v18, vcc, s8, v18
	v_addc_co_u32_e32 v19, vcc, v20, v19, vcc
	global_store_dword v[18:19], v36, off
.LBB547_401:
	s_or_b64 exec, exec, s[2:3]
	v_mov_b32_e32 v19, 0
	s_waitcnt vmcnt(3)
	v_cmp_ne_u16_sdwa s[8:9], v14, v19 src0_sel:BYTE_0 src1_sel:DWORD
	s_waitcnt lgkmcnt(0)
	s_barrier
	s_and_saveexec_b64 s[2:3], s[8:9]
	s_cbranch_execz .LBB547_407
; %bb.402:
	s_movk_i32 s7, 0x80
	v_cmp_ne_u16_sdwa s[10:11], v14, s7 src0_sel:BYTE_0 src1_sel:DWORD
	v_bfrev_b32_e32 v32, 1
	s_and_saveexec_b64 s[8:9], s[10:11]
	s_cbranch_execz .LBB547_406
; %bb.403:
	s_movk_i32 s7, 0x7f
	v_and_b32_e32 v18, 0x7f, v14
	v_cmp_ne_u32_e32 vcc, s7, v18
	v_mov_b32_e32 v32, 0x7f800001
	s_and_saveexec_b64 s[10:11], vcc
	s_cbranch_execz .LBB547_405
; %bb.404:
	v_and_b32_e32 v22, 7, v14
	v_ffbh_u32_e32 v20, v22
	v_min_u32_e32 v24, 32, v20
	v_subrev_u32_e32 v20, 28, v24
	v_lshlrev_b64 v[20:21], v20, v[14:15]
	v_lshrrev_b32_e32 v23, 3, v18
	v_sub_u32_e32 v21, 29, v24
	v_and_b32_e32 v20, 7, v20
	v_cmp_gt_u32_e32 vcc, 8, v18
	v_cndmask_b32_e32 v18, v23, v21, vcc
	v_cndmask_b32_e32 v20, v22, v20, vcc
	v_lshlrev_b32_e32 v21, 24, v14
	v_bfrev_b32_e32 v22, 60
	v_lshlrev_b32_e32 v20, 20, v20
	v_and_b32_e32 v21, 0x80000000, v21
	v_lshl_add_u32 v18, v18, 23, v22
	v_or3_b32 v32, v21, v18, v20
.LBB547_405:
	s_or_b64 exec, exec, s[10:11]
.LBB547_406:
	s_or_b64 exec, exec, s[8:9]
.LBB547_407:
	s_or_b64 exec, exec, s[2:3]
	v_lshrrev_b16_e32 v18, 8, v14
	v_cmp_ne_u16_e32 vcc, 0, v18
	v_mov_b32_e32 v20, 0
	s_and_saveexec_b64 s[2:3], vcc
	s_cbranch_execz .LBB547_413
; %bb.408:
	s_movk_i32 s7, 0x80
	v_cmp_ne_u16_e32 vcc, s7, v18
	v_bfrev_b32_e32 v20, 1
	s_and_saveexec_b64 s[8:9], vcc
	s_cbranch_execz .LBB547_412
; %bb.409:
	s_movk_i32 s7, 0x7f
	v_and_b32_e32 v21, 0x7f, v18
	v_cmp_ne_u32_e32 vcc, s7, v21
	v_mov_b32_e32 v20, 0x7f800001
	s_and_saveexec_b64 s[10:11], vcc
	s_cbranch_execz .LBB547_411
; %bb.410:
	v_and_b32_e32 v20, 7, v18
	v_ffbh_u32_e32 v22, v20
	v_min_u32_e32 v25, 32, v22
	v_subrev_u32_e32 v22, 28, v25
	v_lshlrev_b64 v[22:23], v22, v[18:19]
	v_lshrrev_b32_e32 v24, 3, v21
	v_sub_u32_e32 v18, 29, v25
	v_and_b32_e32 v22, 7, v22
	v_cmp_gt_u32_e32 vcc, 8, v21
	v_cndmask_b32_e32 v18, v24, v18, vcc
	v_cndmask_b32_e32 v20, v20, v22, vcc
	v_lshlrev_b32_e32 v21, 16, v14
	v_bfrev_b32_e32 v22, 60
	v_lshlrev_b32_e32 v20, 20, v20
	v_and_b32_e32 v21, 0x80000000, v21
	v_lshl_add_u32 v18, v18, 23, v22
	v_or3_b32 v20, v21, v18, v20
.LBB547_411:
	s_or_b64 exec, exec, s[10:11]
.LBB547_412:
	s_or_b64 exec, exec, s[8:9]
.LBB547_413:
	s_or_b64 exec, exec, s[2:3]
	s_movk_i32 s2, 0xff
	v_and_b32_sdwa v21, v14, s2 dst_sel:DWORD dst_unused:UNUSED_PAD src0_sel:WORD_1 src1_sel:DWORD
	v_lshrrev_b32_e32 v18, 16, v14
	v_cmp_ne_u16_e32 vcc, 0, v21
	s_and_saveexec_b64 s[2:3], vcc
	s_cbranch_execz .LBB547_419
; %bb.414:
	s_movk_i32 s7, 0x80
	v_cmp_ne_u16_e32 vcc, s7, v21
	v_bfrev_b32_e32 v19, 1
	s_and_saveexec_b64 s[8:9], vcc
	s_cbranch_execz .LBB547_418
; %bb.415:
	v_bfe_u32 v21, v14, 16, 7
	s_movk_i32 s7, 0x7f
	v_cmp_ne_u32_e32 vcc, s7, v21
	v_mov_b32_e32 v19, 0x7f800001
	s_and_saveexec_b64 s[10:11], vcc
	s_cbranch_execz .LBB547_417
; %bb.416:
	v_and_b32_e32 v22, 7, v18
	v_ffbh_u32_e32 v19, v22
	v_min_u32_e32 v24, 32, v19
	v_subrev_u32_e32 v19, 28, v24
	v_lshlrev_b64 v[18:19], v19, v[18:19]
	v_lshrrev_b32_e32 v23, 3, v21
	v_sub_u32_e32 v19, 29, v24
	v_and_b32_e32 v18, 7, v18
	v_cmp_gt_u32_e32 vcc, 8, v21
	v_mov_b32_e32 v21, 24
	v_cndmask_b32_e32 v19, v23, v19, vcc
	v_cndmask_b32_e32 v18, v22, v18, vcc
	v_lshlrev_b32_sdwa v21, v21, v14 dst_sel:DWORD dst_unused:UNUSED_PAD src0_sel:DWORD src1_sel:WORD_1
	v_bfrev_b32_e32 v22, 60
	v_lshlrev_b32_e32 v18, 20, v18
	v_and_b32_e32 v21, 0x80000000, v21
	v_lshl_add_u32 v19, v19, 23, v22
	v_or3_b32 v19, v21, v19, v18
.LBB547_417:
	s_or_b64 exec, exec, s[10:11]
.LBB547_418:
	s_or_b64 exec, exec, s[8:9]
.LBB547_419:
	s_or_b64 exec, exec, s[2:3]
	s_mov_b32 s2, 0xffffff
	v_cmp_lt_u32_e32 vcc, s2, v14
	v_mov_b32_e32 v21, 0
	v_mov_b32_e32 v22, 0
	s_and_saveexec_b64 s[2:3], vcc
	s_cbranch_execz .LBB547_425
; %bb.420:
	v_lshrrev_b32_e32 v18, 24, v14
	s_movk_i32 s7, 0x80
	v_cmp_ne_u32_e32 vcc, s7, v18
	v_bfrev_b32_e32 v22, 1
	s_and_saveexec_b64 s[8:9], vcc
	s_cbranch_execz .LBB547_424
; %bb.421:
	v_bfe_u32 v14, v14, 24, 7
	s_movk_i32 s7, 0x7f
	v_cmp_ne_u32_e32 vcc, s7, v14
	v_mov_b32_e32 v22, 0x7f800001
	s_and_saveexec_b64 s[10:11], vcc
	s_cbranch_execz .LBB547_423
; %bb.422:
	v_and_b32_e32 v24, 7, v18
	v_ffbh_u32_e32 v22, v24
	v_min_u32_e32 v28, 32, v22
	v_subrev_u32_e32 v22, 28, v28
	v_lshlrev_b64 v[22:23], v22, v[18:19]
	v_lshrrev_b32_e32 v25, 3, v14
	v_sub_u32_e32 v23, 29, v28
	v_and_b32_e32 v22, 7, v22
	v_cmp_gt_u32_e32 vcc, 8, v14
	v_cndmask_b32_e32 v14, v25, v23, vcc
	v_cndmask_b32_e32 v22, v24, v22, vcc
	v_lshlrev_b32_e32 v18, 24, v18
	v_bfrev_b32_e32 v23, 60
	v_lshlrev_b32_e32 v22, 20, v22
	v_and_b32_e32 v18, 0x80000000, v18
	v_lshl_add_u32 v14, v14, 23, v23
	v_or3_b32 v22, v18, v14, v22
.LBB547_423:
	s_or_b64 exec, exec, s[10:11]
.LBB547_424:
	s_or_b64 exec, exec, s[8:9]
.LBB547_425:
	s_or_b64 exec, exec, s[2:3]
	v_cmp_ne_u16_sdwa s[8:9], v15, v21 src0_sel:BYTE_0 src1_sel:DWORD
	s_and_saveexec_b64 s[2:3], s[8:9]
	s_cbranch_execz .LBB547_431
; %bb.426:
	s_movk_i32 s7, 0x80
	v_cmp_ne_u16_sdwa s[10:11], v15, s7 src0_sel:BYTE_0 src1_sel:DWORD
	v_bfrev_b32_e32 v21, 1
	s_and_saveexec_b64 s[8:9], s[10:11]
	s_cbranch_execz .LBB547_430
; %bb.427:
	s_movk_i32 s7, 0x7f
	v_and_b32_e32 v14, 0x7f, v15
	v_cmp_ne_u32_e32 vcc, s7, v14
	v_mov_b32_e32 v21, 0x7f800001
	s_and_saveexec_b64 s[10:11], vcc
	s_cbranch_execz .LBB547_429
; %bb.428:
	v_and_b32_e32 v21, 7, v15
	v_ffbh_u32_e32 v24, v21
	v_min_u32_e32 v28, 32, v24
	v_mov_b32_e32 v18, v15
	v_subrev_u32_e32 v24, 28, v28
	v_lshlrev_b64 v[24:25], v24, v[18:19]
	v_lshrrev_b32_e32 v23, 3, v14
	v_sub_u32_e32 v18, 29, v28
	v_and_b32_e32 v24, 7, v24
	v_cmp_gt_u32_e32 vcc, 8, v14
	v_cndmask_b32_e32 v14, v23, v18, vcc
	v_cndmask_b32_e32 v18, v21, v24, vcc
	v_lshlrev_b32_e32 v21, 24, v15
	v_bfrev_b32_e32 v23, 60
	v_lshlrev_b32_e32 v18, 20, v18
	v_and_b32_e32 v21, 0x80000000, v21
	v_lshl_add_u32 v14, v14, 23, v23
	v_or3_b32 v21, v21, v14, v18
.LBB547_429:
	s_or_b64 exec, exec, s[10:11]
.LBB547_430:
	s_or_b64 exec, exec, s[8:9]
.LBB547_431:
	s_or_b64 exec, exec, s[2:3]
	v_lshrrev_b16_e32 v14, 8, v15
	v_cmp_ne_u16_e32 vcc, 0, v14
	v_mov_b32_e32 v18, 0
	v_mov_b32_e32 v24, 0
	s_and_saveexec_b64 s[2:3], vcc
	s_cbranch_execz .LBB547_437
; %bb.432:
	s_movk_i32 s7, 0x80
	v_cmp_ne_u16_e32 vcc, s7, v14
	v_bfrev_b32_e32 v24, 1
	s_and_saveexec_b64 s[8:9], vcc
	s_cbranch_execz .LBB547_436
; %bb.433:
	s_movk_i32 s7, 0x7f
	v_and_b32_e32 v23, 0x7f, v14
	v_cmp_ne_u32_e32 vcc, s7, v23
	v_mov_b32_e32 v24, 0x7f800001
	s_and_saveexec_b64 s[10:11], vcc
	s_cbranch_execz .LBB547_435
; %bb.434:
	v_and_b32_e32 v28, 7, v14
	v_ffbh_u32_e32 v24, v28
	v_min_u32_e32 v30, 32, v24
	v_subrev_u32_e32 v24, 28, v30
	v_lshlrev_b64 v[24:25], v24, v[14:15]
	v_lshrrev_b32_e32 v29, 3, v23
	v_sub_u32_e32 v14, 29, v30
	v_and_b32_e32 v24, 7, v24
	v_cmp_gt_u32_e32 vcc, 8, v23
	v_cndmask_b32_e32 v14, v29, v14, vcc
	v_cndmask_b32_e32 v23, v28, v24, vcc
	v_lshlrev_b32_e32 v24, 16, v15
	v_bfrev_b32_e32 v25, 60
	v_lshlrev_b32_e32 v23, 20, v23
	v_and_b32_e32 v24, 0x80000000, v24
	v_lshl_add_u32 v14, v14, 23, v25
	v_or3_b32 v24, v24, v14, v23
.LBB547_435:
	s_or_b64 exec, exec, s[10:11]
.LBB547_436:
	s_or_b64 exec, exec, s[8:9]
.LBB547_437:
	s_or_b64 exec, exec, s[2:3]
	s_movk_i32 s2, 0xff
	v_and_b32_sdwa v23, v15, s2 dst_sel:DWORD dst_unused:UNUSED_PAD src0_sel:WORD_1 src1_sel:DWORD
	v_lshrrev_b32_e32 v14, 16, v15
	v_cmp_ne_u16_e32 vcc, 0, v23
	s_and_saveexec_b64 s[2:3], vcc
	s_cbranch_execz .LBB547_443
; %bb.438:
	s_movk_i32 s7, 0x80
	v_cmp_ne_u16_e32 vcc, s7, v23
	v_bfrev_b32_e32 v18, 1
	s_and_saveexec_b64 s[8:9], vcc
	s_cbranch_execz .LBB547_442
; %bb.439:
	v_bfe_u32 v23, v15, 16, 7
	s_movk_i32 s7, 0x7f
	v_cmp_ne_u32_e32 vcc, s7, v23
	v_mov_b32_e32 v18, 0x7f800001
	s_and_saveexec_b64 s[10:11], vcc
	s_cbranch_execz .LBB547_441
; %bb.440:
	v_and_b32_e32 v18, 7, v14
	v_ffbh_u32_e32 v28, v18
	v_min_u32_e32 v30, 32, v28
	v_subrev_u32_e32 v28, 28, v30
	v_lshlrev_b64 v[28:29], v28, v[14:15]
	v_lshrrev_b32_e32 v25, 3, v23
	v_sub_u32_e32 v14, 29, v30
	v_and_b32_e32 v28, 7, v28
	v_cmp_gt_u32_e32 vcc, 8, v23
	v_mov_b32_e32 v23, 24
	v_cndmask_b32_e32 v14, v25, v14, vcc
	v_cndmask_b32_e32 v18, v18, v28, vcc
	v_lshlrev_b32_sdwa v23, v23, v15 dst_sel:DWORD dst_unused:UNUSED_PAD src0_sel:DWORD src1_sel:WORD_1
	v_bfrev_b32_e32 v25, 60
	v_lshlrev_b32_e32 v18, 20, v18
	v_and_b32_e32 v23, 0x80000000, v23
	v_lshl_add_u32 v14, v14, 23, v25
	v_or3_b32 v18, v23, v14, v18
.LBB547_441:
	s_or_b64 exec, exec, s[10:11]
.LBB547_442:
	s_or_b64 exec, exec, s[8:9]
.LBB547_443:
	s_or_b64 exec, exec, s[2:3]
	s_mov_b32 s2, 0xffffff
	v_cmp_lt_u32_e32 vcc, s2, v15
	v_mov_b32_e32 v23, 0
	v_mov_b32_e32 v25, 0
	s_and_saveexec_b64 s[2:3], vcc
	s_cbranch_execz .LBB547_449
; %bb.444:
	v_lshrrev_b32_e32 v14, 24, v15
	s_movk_i32 s7, 0x80
	v_cmp_ne_u32_e32 vcc, s7, v14
	v_bfrev_b32_e32 v25, 1
	s_and_saveexec_b64 s[8:9], vcc
	s_cbranch_execz .LBB547_448
; %bb.445:
	v_bfe_u32 v15, v15, 24, 7
	s_movk_i32 s7, 0x7f
	v_cmp_ne_u32_e32 vcc, s7, v15
	v_mov_b32_e32 v25, 0x7f800001
	s_and_saveexec_b64 s[10:11], vcc
	s_cbranch_execz .LBB547_447
; %bb.446:
	v_and_b32_e32 v25, 7, v14
	v_ffbh_u32_e32 v28, v25
	v_min_u32_e32 v31, 32, v28
	v_subrev_u32_e32 v28, 28, v31
	v_lshlrev_b64 v[28:29], v28, v[14:15]
	v_lshrrev_b32_e32 v30, 3, v15
	v_sub_u32_e32 v29, 29, v31
	v_and_b32_e32 v28, 7, v28
	v_cmp_gt_u32_e32 vcc, 8, v15
	v_cndmask_b32_e32 v15, v30, v29, vcc
	v_cndmask_b32_e32 v25, v25, v28, vcc
	v_lshlrev_b32_e32 v14, 24, v14
	v_bfrev_b32_e32 v28, 60
	v_lshlrev_b32_e32 v25, 20, v25
	v_and_b32_e32 v14, 0x80000000, v14
	v_lshl_add_u32 v15, v15, 23, v28
	v_or3_b32 v25, v14, v15, v25
.LBB547_447:
	s_or_b64 exec, exec, s[10:11]
.LBB547_448:
	s_or_b64 exec, exec, s[8:9]
.LBB547_449:
	s_or_b64 exec, exec, s[2:3]
	v_cvt_pkrtz_f16_f32 v15, v19, v22
	v_lshl_or_b32 v22, v1, 9, v27
	v_cvt_pkrtz_f16_f32 v14, v32, v20
	ds_read_b128 v[28:31], v22
	v_cmp_ne_u16_sdwa s[8:9], v16, v23 src0_sel:BYTE_0 src1_sel:DWORD
	s_waitcnt lgkmcnt(0)
	v_mfma_f32_16x16x16f16 v[32:35], v[14:15], v[28:29], 0
	v_cvt_pkrtz_f16_f32 v14, v21, v24
	v_cvt_pkrtz_f16_f32 v15, v18, v25
	s_nop 1
	v_mfma_f32_16x16x16f16 v[18:21], v[14:15], v[30:31], v[32:35]
	s_and_saveexec_b64 s[2:3], s[8:9]
	s_cbranch_execz .LBB547_455
; %bb.450:
	s_movk_i32 s7, 0x80
	v_cmp_ne_u16_sdwa s[10:11], v16, s7 src0_sel:BYTE_0 src1_sel:DWORD
	v_bfrev_b32_e32 v23, 1
	s_and_saveexec_b64 s[8:9], s[10:11]
	s_cbranch_execz .LBB547_454
; %bb.451:
	s_movk_i32 s7, 0x7f
	v_and_b32_e32 v14, 0x7f, v16
	v_cmp_ne_u32_e32 vcc, s7, v14
	v_mov_b32_e32 v23, 0x7f800001
	s_and_saveexec_b64 s[10:11], vcc
	s_cbranch_execz .LBB547_453
; %bb.452:
	v_and_b32_e32 v15, 7, v16
	v_ffbh_u32_e32 v24, v15
	v_min_u32_e32 v27, 32, v24
	v_subrev_u32_e32 v24, 28, v27
	v_lshlrev_b64 v[24:25], v24, v[16:17]
	v_lshrrev_b32_e32 v23, 3, v14
	v_sub_u32_e32 v25, 29, v27
	v_and_b32_e32 v24, 7, v24
	v_cmp_gt_u32_e32 vcc, 8, v14
	v_cndmask_b32_e32 v14, v23, v25, vcc
	v_cndmask_b32_e32 v15, v15, v24, vcc
	v_lshlrev_b32_e32 v23, 24, v16
	v_bfrev_b32_e32 v24, 60
	v_lshlrev_b32_e32 v15, 20, v15
	v_and_b32_e32 v23, 0x80000000, v23
	v_lshl_add_u32 v14, v14, 23, v24
	v_or3_b32 v23, v23, v14, v15
.LBB547_453:
	s_or_b64 exec, exec, s[10:11]
.LBB547_454:
	s_or_b64 exec, exec, s[8:9]
.LBB547_455:
	s_or_b64 exec, exec, s[2:3]
	v_lshrrev_b16_e32 v14, 8, v16
	v_cmp_ne_u16_e32 vcc, 0, v14
	v_mov_b32_e32 v15, 0
	v_mov_b32_e32 v25, 0
	s_and_saveexec_b64 s[2:3], vcc
	s_cbranch_execz .LBB547_461
; %bb.456:
	s_movk_i32 s7, 0x80
	v_cmp_ne_u16_e32 vcc, s7, v14
	v_bfrev_b32_e32 v25, 1
	s_and_saveexec_b64 s[8:9], vcc
	s_cbranch_execz .LBB547_460
; %bb.457:
	s_movk_i32 s7, 0x7f
	v_and_b32_e32 v24, 0x7f, v14
	v_cmp_ne_u32_e32 vcc, s7, v24
	v_mov_b32_e32 v25, 0x7f800001
	s_and_saveexec_b64 s[10:11], vcc
	s_cbranch_execz .LBB547_459
; %bb.458:
	v_and_b32_e32 v25, 7, v14
	v_ffbh_u32_e32 v28, v25
	v_min_u32_e32 v30, 32, v28
	v_subrev_u32_e32 v28, 28, v30
	v_lshlrev_b64 v[28:29], v28, v[14:15]
	v_lshrrev_b32_e32 v27, 3, v24
	v_sub_u32_e32 v14, 29, v30
	v_and_b32_e32 v28, 7, v28
	v_cmp_gt_u32_e32 vcc, 8, v24
	v_cndmask_b32_e32 v14, v27, v14, vcc
	v_cndmask_b32_e32 v24, v25, v28, vcc
	v_lshlrev_b32_e32 v25, 16, v16
	v_bfrev_b32_e32 v27, 60
	v_lshlrev_b32_e32 v24, 20, v24
	v_and_b32_e32 v25, 0x80000000, v25
	v_lshl_add_u32 v14, v14, 23, v27
	v_or3_b32 v25, v25, v14, v24
.LBB547_459:
	s_or_b64 exec, exec, s[10:11]
.LBB547_460:
	s_or_b64 exec, exec, s[8:9]
.LBB547_461:
	s_or_b64 exec, exec, s[2:3]
	s_movk_i32 s2, 0xff
	v_and_b32_sdwa v24, v16, s2 dst_sel:DWORD dst_unused:UNUSED_PAD src0_sel:WORD_1 src1_sel:DWORD
	v_lshrrev_b32_e32 v14, 16, v16
	v_cmp_ne_u16_e32 vcc, 0, v24
	s_and_saveexec_b64 s[2:3], vcc
	s_cbranch_execz .LBB547_467
; %bb.462:
	s_movk_i32 s7, 0x80
	v_cmp_ne_u16_e32 vcc, s7, v24
	v_bfrev_b32_e32 v15, 1
	s_and_saveexec_b64 s[8:9], vcc
	s_cbranch_execz .LBB547_466
; %bb.463:
	v_bfe_u32 v24, v16, 16, 7
	s_movk_i32 s7, 0x7f
	v_cmp_ne_u32_e32 vcc, s7, v24
	v_mov_b32_e32 v15, 0x7f800001
	s_and_saveexec_b64 s[10:11], vcc
	s_cbranch_execz .LBB547_465
; %bb.464:
	v_and_b32_e32 v27, 7, v14
	v_ffbh_u32_e32 v15, v27
	v_min_u32_e32 v29, 32, v15
	v_subrev_u32_e32 v15, 28, v29
	v_lshlrev_b64 v[14:15], v15, v[14:15]
	v_lshrrev_b32_e32 v28, 3, v24
	v_sub_u32_e32 v15, 29, v29
	v_and_b32_e32 v14, 7, v14
	v_cmp_gt_u32_e32 vcc, 8, v24
	v_mov_b32_e32 v24, 24
	v_cndmask_b32_e32 v15, v28, v15, vcc
	v_cndmask_b32_e32 v14, v27, v14, vcc
	v_lshlrev_b32_sdwa v24, v24, v16 dst_sel:DWORD dst_unused:UNUSED_PAD src0_sel:DWORD src1_sel:WORD_1
	v_bfrev_b32_e32 v27, 60
	v_lshlrev_b32_e32 v14, 20, v14
	v_and_b32_e32 v24, 0x80000000, v24
	v_lshl_add_u32 v15, v15, 23, v27
	v_or3_b32 v15, v24, v15, v14
.LBB547_465:
	s_or_b64 exec, exec, s[10:11]
.LBB547_466:
	s_or_b64 exec, exec, s[8:9]
.LBB547_467:
	s_or_b64 exec, exec, s[2:3]
	s_mov_b32 s2, 0xffffff
	v_cmp_lt_u32_e32 vcc, s2, v16
	v_mov_b32_e32 v27, 0
	v_mov_b32_e32 v28, 0
	s_and_saveexec_b64 s[2:3], vcc
	s_cbranch_execz .LBB547_473
; %bb.468:
	v_lshrrev_b32_e32 v14, 24, v16
	s_movk_i32 s7, 0x80
	v_cmp_ne_u32_e32 vcc, s7, v14
	v_bfrev_b32_e32 v28, 1
	s_and_saveexec_b64 s[8:9], vcc
	s_cbranch_execz .LBB547_472
; %bb.469:
	v_bfe_u32 v16, v16, 24, 7
	s_movk_i32 s7, 0x7f
	v_cmp_ne_u32_e32 vcc, s7, v16
	v_mov_b32_e32 v28, 0x7f800001
	s_and_saveexec_b64 s[10:11], vcc
	s_cbranch_execz .LBB547_471
; %bb.470:
	v_and_b32_e32 v24, 7, v14
	v_ffbh_u32_e32 v28, v24
	v_min_u32_e32 v31, 32, v28
	v_subrev_u32_e32 v28, 28, v31
	v_lshlrev_b64 v[28:29], v28, v[14:15]
	v_lshrrev_b32_e32 v30, 3, v16
	v_sub_u32_e32 v29, 29, v31
	v_and_b32_e32 v28, 7, v28
	v_cmp_gt_u32_e32 vcc, 8, v16
	v_cndmask_b32_e32 v16, v30, v29, vcc
	v_cndmask_b32_e32 v24, v24, v28, vcc
	v_lshlrev_b32_e32 v14, 24, v14
	v_bfrev_b32_e32 v28, 60
	v_lshlrev_b32_e32 v24, 20, v24
	v_and_b32_e32 v14, 0x80000000, v14
	v_lshl_add_u32 v16, v16, 23, v28
	v_or3_b32 v28, v14, v16, v24
.LBB547_471:
	s_or_b64 exec, exec, s[10:11]
.LBB547_472:
	s_or_b64 exec, exec, s[8:9]
.LBB547_473:
	s_or_b64 exec, exec, s[2:3]
	v_cmp_ne_u16_sdwa s[8:9], v17, v27 src0_sel:BYTE_0 src1_sel:DWORD
	s_and_saveexec_b64 s[2:3], s[8:9]
	s_cbranch_execz .LBB547_479
; %bb.474:
	s_movk_i32 s7, 0x80
	v_cmp_ne_u16_sdwa s[10:11], v17, s7 src0_sel:BYTE_0 src1_sel:DWORD
	v_bfrev_b32_e32 v27, 1
	s_and_saveexec_b64 s[8:9], s[10:11]
	s_cbranch_execz .LBB547_478
; %bb.475:
	s_movk_i32 s7, 0x7f
	v_and_b32_e32 v14, 0x7f, v17
	v_cmp_ne_u32_e32 vcc, s7, v14
	v_mov_b32_e32 v27, 0x7f800001
	s_and_saveexec_b64 s[10:11], vcc
	s_cbranch_execz .LBB547_477
; %bb.476:
	v_and_b32_e32 v24, 7, v17
	v_ffbh_u32_e32 v29, v24
	v_min_u32_e32 v29, 32, v29
	v_mov_b32_e32 v16, v17
	v_subrev_u32_e32 v30, 28, v29
	v_lshlrev_b64 v[30:31], v30, v[16:17]
	v_lshrrev_b32_e32 v27, 3, v14
	v_sub_u32_e32 v16, 29, v29
	v_and_b32_e32 v29, 7, v30
	v_cmp_gt_u32_e32 vcc, 8, v14
	v_cndmask_b32_e32 v14, v27, v16, vcc
	v_cndmask_b32_e32 v16, v24, v29, vcc
	v_lshlrev_b32_e32 v24, 24, v17
	v_bfrev_b32_e32 v27, 60
	v_lshlrev_b32_e32 v16, 20, v16
	v_and_b32_e32 v24, 0x80000000, v24
	v_lshl_add_u32 v14, v14, 23, v27
	v_or3_b32 v27, v24, v14, v16
.LBB547_477:
	s_or_b64 exec, exec, s[10:11]
.LBB547_478:
	s_or_b64 exec, exec, s[8:9]
.LBB547_479:
	s_or_b64 exec, exec, s[2:3]
	v_lshrrev_b16_e32 v14, 8, v17
	v_cmp_ne_u16_e32 vcc, 0, v14
	v_mov_b32_e32 v16, 0
	v_mov_b32_e32 v29, 0
	s_and_saveexec_b64 s[2:3], vcc
	s_cbranch_execz .LBB547_485
; %bb.480:
	s_movk_i32 s7, 0x80
	v_cmp_ne_u16_e32 vcc, s7, v14
	v_bfrev_b32_e32 v29, 1
	s_and_saveexec_b64 s[8:9], vcc
	s_cbranch_execz .LBB547_484
; %bb.481:
	s_movk_i32 s7, 0x7f
	v_and_b32_e32 v24, 0x7f, v14
	v_cmp_ne_u32_e32 vcc, s7, v24
	v_mov_b32_e32 v29, 0x7f800001
	s_and_saveexec_b64 s[10:11], vcc
	s_cbranch_execz .LBB547_483
; %bb.482:
	v_and_b32_e32 v29, 7, v14
	v_ffbh_u32_e32 v30, v29
	v_min_u32_e32 v33, 32, v30
	v_subrev_u32_e32 v30, 28, v33
	v_lshlrev_b64 v[30:31], v30, v[14:15]
	v_lshrrev_b32_e32 v32, 3, v24
	v_sub_u32_e32 v14, 29, v33
	v_and_b32_e32 v30, 7, v30
	v_cmp_gt_u32_e32 vcc, 8, v24
	v_cndmask_b32_e32 v14, v32, v14, vcc
	v_cndmask_b32_e32 v24, v29, v30, vcc
	v_lshlrev_b32_e32 v29, 16, v17
	v_bfrev_b32_e32 v30, 60
	v_lshlrev_b32_e32 v24, 20, v24
	v_and_b32_e32 v29, 0x80000000, v29
	v_lshl_add_u32 v14, v14, 23, v30
	v_or3_b32 v29, v29, v14, v24
.LBB547_483:
	s_or_b64 exec, exec, s[10:11]
.LBB547_484:
	s_or_b64 exec, exec, s[8:9]
.LBB547_485:
	s_or_b64 exec, exec, s[2:3]
	s_movk_i32 s2, 0xff
	v_and_b32_sdwa v24, v17, s2 dst_sel:DWORD dst_unused:UNUSED_PAD src0_sel:WORD_1 src1_sel:DWORD
	v_lshrrev_b32_e32 v14, 16, v17
	v_cmp_ne_u16_e32 vcc, 0, v24
	s_and_saveexec_b64 s[2:3], vcc
	s_cbranch_execz .LBB547_491
; %bb.486:
	s_movk_i32 s7, 0x80
	v_cmp_ne_u16_e32 vcc, s7, v24
	v_bfrev_b32_e32 v16, 1
	s_and_saveexec_b64 s[8:9], vcc
	s_cbranch_execz .LBB547_490
; %bb.487:
	v_bfe_u32 v24, v17, 16, 7
	s_movk_i32 s7, 0x7f
	v_cmp_ne_u32_e32 vcc, s7, v24
	v_mov_b32_e32 v16, 0x7f800001
	s_and_saveexec_b64 s[10:11], vcc
	s_cbranch_execz .LBB547_489
; %bb.488:
	v_and_b32_e32 v16, 7, v14
	v_ffbh_u32_e32 v30, v16
	v_min_u32_e32 v33, 32, v30
	v_subrev_u32_e32 v30, 28, v33
	v_lshlrev_b64 v[30:31], v30, v[14:15]
	v_lshrrev_b32_e32 v32, 3, v24
	v_sub_u32_e32 v14, 29, v33
	v_and_b32_e32 v30, 7, v30
	v_cmp_gt_u32_e32 vcc, 8, v24
	v_mov_b32_e32 v24, 24
	v_cndmask_b32_e32 v14, v32, v14, vcc
	v_cndmask_b32_e32 v16, v16, v30, vcc
	v_lshlrev_b32_sdwa v24, v24, v17 dst_sel:DWORD dst_unused:UNUSED_PAD src0_sel:DWORD src1_sel:WORD_1
	v_bfrev_b32_e32 v30, 60
	v_lshlrev_b32_e32 v16, 20, v16
	v_and_b32_e32 v24, 0x80000000, v24
	v_lshl_add_u32 v14, v14, 23, v30
	v_or3_b32 v16, v24, v14, v16
.LBB547_489:
	s_or_b64 exec, exec, s[10:11]
.LBB547_490:
	s_or_b64 exec, exec, s[8:9]
.LBB547_491:
	s_or_b64 exec, exec, s[2:3]
	s_mov_b32 s2, 0xffffff
	v_cmp_lt_u32_e32 vcc, s2, v17
	v_mov_b32_e32 v24, 0
	v_mov_b32_e32 v30, 0
	s_and_saveexec_b64 s[2:3], vcc
	s_cbranch_execz .LBB547_497
; %bb.492:
	v_lshrrev_b32_e32 v14, 24, v17
	s_movk_i32 s7, 0x80
	v_cmp_ne_u32_e32 vcc, s7, v14
	v_bfrev_b32_e32 v30, 1
	s_and_saveexec_b64 s[8:9], vcc
	s_cbranch_execz .LBB547_496
; %bb.493:
	v_bfe_u32 v17, v17, 24, 7
	s_movk_i32 s7, 0x7f
	v_cmp_ne_u32_e32 vcc, s7, v17
	v_mov_b32_e32 v30, 0x7f800001
	s_and_saveexec_b64 s[10:11], vcc
	s_cbranch_execz .LBB547_495
; %bb.494:
	v_and_b32_e32 v32, 7, v14
	v_ffbh_u32_e32 v30, v32
	v_min_u32_e32 v34, 32, v30
	v_subrev_u32_e32 v30, 28, v34
	v_lshlrev_b64 v[30:31], v30, v[14:15]
	v_lshrrev_b32_e32 v33, 3, v17
	v_sub_u32_e32 v31, 29, v34
	v_and_b32_e32 v30, 7, v30
	v_cmp_gt_u32_e32 vcc, 8, v17
	v_cndmask_b32_e32 v17, v33, v31, vcc
	v_cndmask_b32_e32 v30, v32, v30, vcc
	v_lshlrev_b32_e32 v14, 24, v14
	v_bfrev_b32_e32 v31, 60
	v_lshlrev_b32_e32 v30, 20, v30
	v_and_b32_e32 v14, 0x80000000, v14
	v_lshl_add_u32 v17, v17, 23, v31
	v_or3_b32 v30, v14, v17, v30
.LBB547_495:
	s_or_b64 exec, exec, s[10:11]
.LBB547_496:
	s_or_b64 exec, exec, s[8:9]
.LBB547_497:
	s_or_b64 exec, exec, s[2:3]
	v_cvt_pkrtz_f16_f32 v14, v23, v25
	v_cvt_pkrtz_f16_f32 v15, v15, v28
	ds_read_b128 v[32:35], v22 offset:16
	s_waitcnt vmcnt(2)
	v_cmp_ne_u16_sdwa s[8:9], v10, v24 src0_sel:BYTE_0 src1_sel:DWORD
	s_waitcnt lgkmcnt(0)
	v_mfma_f32_16x16x16f16 v[18:21], v[14:15], v[32:33], v[18:21]
	v_cvt_pkrtz_f16_f32 v14, v27, v29
	v_cvt_pkrtz_f16_f32 v15, v16, v30
	s_nop 1
	v_mfma_f32_16x16x16f16 v[14:17], v[14:15], v[34:35], v[18:21]
	s_and_saveexec_b64 s[2:3], s[8:9]
	s_cbranch_execz .LBB547_503
; %bb.498:
	s_movk_i32 s7, 0x80
	v_cmp_ne_u16_sdwa s[10:11], v10, s7 src0_sel:BYTE_0 src1_sel:DWORD
	v_bfrev_b32_e32 v24, 1
	s_and_saveexec_b64 s[8:9], s[10:11]
	s_cbranch_execz .LBB547_502
; %bb.499:
	s_movk_i32 s7, 0x7f
	v_and_b32_e32 v18, 0x7f, v10
	v_cmp_ne_u32_e32 vcc, s7, v18
	v_mov_b32_e32 v24, 0x7f800001
	s_and_saveexec_b64 s[10:11], vcc
	s_cbranch_execz .LBB547_501
; %bb.500:
	v_and_b32_e32 v19, 7, v10
	v_ffbh_u32_e32 v20, v19
	v_min_u32_e32 v24, 32, v20
	v_subrev_u32_e32 v20, 28, v24
	v_lshlrev_b64 v[20:21], v20, v[10:11]
	v_lshrrev_b32_e32 v23, 3, v18
	v_sub_u32_e32 v21, 29, v24
	v_and_b32_e32 v20, 7, v20
	v_cmp_gt_u32_e32 vcc, 8, v18
	v_cndmask_b32_e32 v18, v23, v21, vcc
	v_cndmask_b32_e32 v19, v19, v20, vcc
	v_lshlrev_b32_e32 v20, 24, v10
	v_bfrev_b32_e32 v21, 60
	v_lshlrev_b32_e32 v19, 20, v19
	v_and_b32_e32 v20, 0x80000000, v20
	v_lshl_add_u32 v18, v18, 23, v21
	v_or3_b32 v24, v20, v18, v19
.LBB547_501:
	s_or_b64 exec, exec, s[10:11]
.LBB547_502:
	s_or_b64 exec, exec, s[8:9]
.LBB547_503:
	s_or_b64 exec, exec, s[2:3]
	s_nop 3
	v_lshrrev_b16_e32 v18, 8, v10
	v_cmp_ne_u16_e32 vcc, 0, v18
	v_mov_b32_e32 v19, 0
	v_mov_b32_e32 v20, 0
	s_and_saveexec_b64 s[2:3], vcc
	s_cbranch_execz .LBB547_509
; %bb.504:
	s_movk_i32 s7, 0x80
	v_cmp_ne_u16_e32 vcc, s7, v18
	v_bfrev_b32_e32 v20, 1
	s_and_saveexec_b64 s[8:9], vcc
	s_cbranch_execz .LBB547_508
; %bb.505:
	s_movk_i32 s7, 0x7f
	v_and_b32_e32 v21, 0x7f, v18
	v_cmp_ne_u32_e32 vcc, s7, v21
	v_mov_b32_e32 v20, 0x7f800001
	s_and_saveexec_b64 s[10:11], vcc
	s_cbranch_execz .LBB547_507
; %bb.506:
	v_and_b32_e32 v20, 7, v18
	v_ffbh_u32_e32 v25, v20
	v_min_u32_e32 v25, 32, v25
	v_subrev_u32_e32 v27, 28, v25
	v_lshlrev_b64 v[28:29], v27, v[18:19]
	v_lshrrev_b32_e32 v23, 3, v21
	v_sub_u32_e32 v18, 29, v25
	v_and_b32_e32 v25, 7, v28
	v_cmp_gt_u32_e32 vcc, 8, v21
	v_cndmask_b32_e32 v18, v23, v18, vcc
	v_cndmask_b32_e32 v20, v20, v25, vcc
	v_lshlrev_b32_e32 v21, 16, v10
	v_bfrev_b32_e32 v23, 60
	v_lshlrev_b32_e32 v20, 20, v20
	v_and_b32_e32 v21, 0x80000000, v21
	v_lshl_add_u32 v18, v18, 23, v23
	v_or3_b32 v20, v21, v18, v20
.LBB547_507:
	s_or_b64 exec, exec, s[10:11]
.LBB547_508:
	s_or_b64 exec, exec, s[8:9]
.LBB547_509:
	s_or_b64 exec, exec, s[2:3]
	s_movk_i32 s2, 0xff
	v_and_b32_sdwa v21, v10, s2 dst_sel:DWORD dst_unused:UNUSED_PAD src0_sel:WORD_1 src1_sel:DWORD
	v_lshrrev_b32_e32 v18, 16, v10
	v_cmp_ne_u16_e32 vcc, 0, v21
	s_and_saveexec_b64 s[2:3], vcc
	s_cbranch_execz .LBB547_515
; %bb.510:
	s_movk_i32 s7, 0x80
	v_cmp_ne_u16_e32 vcc, s7, v21
	v_bfrev_b32_e32 v19, 1
	s_and_saveexec_b64 s[8:9], vcc
	s_cbranch_execz .LBB547_514
; %bb.511:
	v_bfe_u32 v21, v10, 16, 7
	s_movk_i32 s7, 0x7f
	v_cmp_ne_u32_e32 vcc, s7, v21
	v_mov_b32_e32 v19, 0x7f800001
	s_and_saveexec_b64 s[10:11], vcc
	s_cbranch_execz .LBB547_513
; %bb.512:
	v_and_b32_e32 v23, 7, v18
	v_ffbh_u32_e32 v19, v23
	v_min_u32_e32 v27, 32, v19
	v_subrev_u32_e32 v19, 28, v27
	v_lshlrev_b64 v[18:19], v19, v[18:19]
	v_lshrrev_b32_e32 v25, 3, v21
	v_sub_u32_e32 v19, 29, v27
	v_and_b32_e32 v18, 7, v18
	v_cmp_gt_u32_e32 vcc, 8, v21
	v_mov_b32_e32 v21, 24
	v_cndmask_b32_e32 v19, v25, v19, vcc
	v_cndmask_b32_e32 v18, v23, v18, vcc
	v_lshlrev_b32_sdwa v21, v21, v10 dst_sel:DWORD dst_unused:UNUSED_PAD src0_sel:DWORD src1_sel:WORD_1
	v_bfrev_b32_e32 v23, 60
	v_lshlrev_b32_e32 v18, 20, v18
	v_and_b32_e32 v21, 0x80000000, v21
	v_lshl_add_u32 v19, v19, 23, v23
	v_or3_b32 v19, v21, v19, v18
.LBB547_513:
	s_or_b64 exec, exec, s[10:11]
.LBB547_514:
	s_or_b64 exec, exec, s[8:9]
.LBB547_515:
	s_or_b64 exec, exec, s[2:3]
	s_mov_b32 s2, 0xffffff
	v_cmp_lt_u32_e32 vcc, s2, v10
	v_mov_b32_e32 v21, 0
	v_mov_b32_e32 v23, 0
	s_and_saveexec_b64 s[2:3], vcc
	s_cbranch_execz .LBB547_521
; %bb.516:
	v_lshrrev_b32_e32 v18, 24, v10
	s_movk_i32 s7, 0x80
	v_cmp_ne_u32_e32 vcc, s7, v18
	v_bfrev_b32_e32 v23, 1
	s_and_saveexec_b64 s[8:9], vcc
	s_cbranch_execz .LBB547_520
; %bb.517:
	v_bfe_u32 v10, v10, 24, 7
	s_movk_i32 s7, 0x7f
	v_cmp_ne_u32_e32 vcc, s7, v10
	v_mov_b32_e32 v23, 0x7f800001
	s_and_saveexec_b64 s[10:11], vcc
	s_cbranch_execz .LBB547_519
; %bb.518:
	v_and_b32_e32 v23, 7, v18
	v_ffbh_u32_e32 v27, v23
	v_min_u32_e32 v27, 32, v27
	v_subrev_u32_e32 v28, 28, v27
	v_lshlrev_b64 v[28:29], v28, v[18:19]
	v_lshrrev_b32_e32 v25, 3, v10
	v_sub_u32_e32 v27, 29, v27
	v_and_b32_e32 v28, 7, v28
	v_cmp_gt_u32_e32 vcc, 8, v10
	v_cndmask_b32_e32 v10, v25, v27, vcc
	v_cndmask_b32_e32 v23, v23, v28, vcc
	v_lshlrev_b32_e32 v18, 24, v18
	v_bfrev_b32_e32 v25, 60
	v_lshlrev_b32_e32 v23, 20, v23
	v_and_b32_e32 v18, 0x80000000, v18
	v_lshl_add_u32 v10, v10, 23, v25
	v_or3_b32 v23, v18, v10, v23
.LBB547_519:
	s_or_b64 exec, exec, s[10:11]
.LBB547_520:
	s_or_b64 exec, exec, s[8:9]
.LBB547_521:
	s_or_b64 exec, exec, s[2:3]
	v_cmp_ne_u16_sdwa s[8:9], v11, v21 src0_sel:BYTE_0 src1_sel:DWORD
	s_and_saveexec_b64 s[2:3], s[8:9]
	s_cbranch_execz .LBB547_527
; %bb.522:
	s_movk_i32 s7, 0x80
	v_cmp_ne_u16_sdwa s[10:11], v11, s7 src0_sel:BYTE_0 src1_sel:DWORD
	v_bfrev_b32_e32 v21, 1
	s_and_saveexec_b64 s[8:9], s[10:11]
	s_cbranch_execz .LBB547_526
; %bb.523:
	s_movk_i32 s7, 0x7f
	v_and_b32_e32 v10, 0x7f, v11
	v_cmp_ne_u32_e32 vcc, s7, v10
	v_mov_b32_e32 v21, 0x7f800001
	s_and_saveexec_b64 s[10:11], vcc
	s_cbranch_execz .LBB547_525
; %bb.524:
	v_and_b32_e32 v21, 7, v11
	v_ffbh_u32_e32 v27, v21
	v_min_u32_e32 v27, 32, v27
	v_mov_b32_e32 v18, v11
	v_subrev_u32_e32 v28, 28, v27
	v_lshlrev_b64 v[28:29], v28, v[18:19]
	v_lshrrev_b32_e32 v25, 3, v10
	v_sub_u32_e32 v18, 29, v27
	v_and_b32_e32 v27, 7, v28
	v_cmp_gt_u32_e32 vcc, 8, v10
	v_cndmask_b32_e32 v10, v25, v18, vcc
	v_cndmask_b32_e32 v18, v21, v27, vcc
	v_lshlrev_b32_e32 v21, 24, v11
	v_bfrev_b32_e32 v25, 60
	v_lshlrev_b32_e32 v18, 20, v18
	v_and_b32_e32 v21, 0x80000000, v21
	v_lshl_add_u32 v10, v10, 23, v25
	v_or3_b32 v21, v21, v10, v18
.LBB547_525:
	s_or_b64 exec, exec, s[10:11]
.LBB547_526:
	s_or_b64 exec, exec, s[8:9]
.LBB547_527:
	s_or_b64 exec, exec, s[2:3]
	v_lshrrev_b16_e32 v10, 8, v11
	v_cmp_ne_u16_e32 vcc, 0, v10
	v_mov_b32_e32 v25, 0
	v_mov_b32_e32 v27, 0
	s_and_saveexec_b64 s[2:3], vcc
	s_cbranch_execz .LBB547_533
; %bb.528:
	s_movk_i32 s7, 0x80
	v_cmp_ne_u16_e32 vcc, s7, v10
	v_bfrev_b32_e32 v27, 1
	s_and_saveexec_b64 s[8:9], vcc
	s_cbranch_execz .LBB547_532
; %bb.529:
	s_movk_i32 s7, 0x7f
	v_and_b32_e32 v18, 0x7f, v10
	v_cmp_ne_u32_e32 vcc, s7, v18
	v_mov_b32_e32 v27, 0x7f800001
	s_and_saveexec_b64 s[10:11], vcc
	s_cbranch_execz .LBB547_531
; %bb.530:
	v_and_b32_e32 v27, 7, v10
	v_ffbh_u32_e32 v28, v27
	v_min_u32_e32 v31, 32, v28
	v_subrev_u32_e32 v28, 28, v31
	v_lshlrev_b64 v[28:29], v28, v[10:11]
	v_lshrrev_b32_e32 v30, 3, v18
	v_sub_u32_e32 v10, 29, v31
	v_and_b32_e32 v28, 7, v28
	v_cmp_gt_u32_e32 vcc, 8, v18
	v_cndmask_b32_e32 v10, v30, v10, vcc
	v_cndmask_b32_e32 v18, v27, v28, vcc
	v_lshlrev_b32_e32 v27, 16, v11
	v_bfrev_b32_e32 v28, 60
	v_lshlrev_b32_e32 v18, 20, v18
	v_and_b32_e32 v27, 0x80000000, v27
	v_lshl_add_u32 v10, v10, 23, v28
	v_or3_b32 v27, v27, v10, v18
.LBB547_531:
	s_or_b64 exec, exec, s[10:11]
.LBB547_532:
	s_or_b64 exec, exec, s[8:9]
.LBB547_533:
	s_or_b64 exec, exec, s[2:3]
	s_movk_i32 s2, 0xff
	v_and_b32_sdwa v18, v11, s2 dst_sel:DWORD dst_unused:UNUSED_PAD src0_sel:WORD_1 src1_sel:DWORD
	v_lshrrev_b32_e32 v10, 16, v11
	v_cmp_ne_u16_e32 vcc, 0, v18
	s_and_saveexec_b64 s[2:3], vcc
	s_cbranch_execz .LBB547_539
; %bb.534:
	s_movk_i32 s7, 0x80
	v_cmp_ne_u16_e32 vcc, s7, v18
	v_bfrev_b32_e32 v25, 1
	s_and_saveexec_b64 s[8:9], vcc
	s_cbranch_execz .LBB547_538
; %bb.535:
	v_bfe_u32 v18, v11, 16, 7
	s_movk_i32 s7, 0x7f
	v_cmp_ne_u32_e32 vcc, s7, v18
	v_mov_b32_e32 v25, 0x7f800001
	s_and_saveexec_b64 s[10:11], vcc
	s_cbranch_execz .LBB547_537
; %bb.536:
	v_and_b32_e32 v25, 7, v10
	v_ffbh_u32_e32 v28, v25
	v_min_u32_e32 v31, 32, v28
	v_subrev_u32_e32 v28, 28, v31
	v_lshlrev_b64 v[28:29], v28, v[10:11]
	v_and_b32_e32 v28, 7, v28
	v_cmp_gt_u32_e32 vcc, 8, v18
	v_lshrrev_b32_e32 v30, 3, v18
	v_sub_u32_e32 v10, 29, v31
	v_cndmask_b32_e32 v18, v25, v28, vcc
	v_mov_b32_e32 v25, 24
	v_cndmask_b32_e32 v10, v30, v10, vcc
	v_lshlrev_b32_sdwa v25, v25, v11 dst_sel:DWORD dst_unused:UNUSED_PAD src0_sel:DWORD src1_sel:WORD_1
	v_bfrev_b32_e32 v28, 60
	v_lshlrev_b32_e32 v18, 20, v18
	v_and_b32_e32 v25, 0x80000000, v25
	v_lshl_add_u32 v10, v10, 23, v28
	v_or3_b32 v25, v25, v10, v18
.LBB547_537:
	s_or_b64 exec, exec, s[10:11]
.LBB547_538:
	s_or_b64 exec, exec, s[8:9]
.LBB547_539:
	s_or_b64 exec, exec, s[2:3]
	s_mov_b32 s2, 0xffffff
	v_cmp_lt_u32_e32 vcc, s2, v11
	v_mov_b32_e32 v18, 0
	v_mov_b32_e32 v28, 0
	s_and_saveexec_b64 s[2:3], vcc
	s_cbranch_execz .LBB547_545
; %bb.540:
	v_lshrrev_b32_e32 v10, 24, v11
	s_movk_i32 s7, 0x80
	v_cmp_ne_u32_e32 vcc, s7, v10
	v_bfrev_b32_e32 v28, 1
	s_and_saveexec_b64 s[8:9], vcc
	s_cbranch_execz .LBB547_544
; %bb.541:
	v_bfe_u32 v11, v11, 24, 7
	s_movk_i32 s7, 0x7f
	v_cmp_ne_u32_e32 vcc, s7, v11
	v_mov_b32_e32 v28, 0x7f800001
	s_and_saveexec_b64 s[10:11], vcc
	s_cbranch_execz .LBB547_543
; %bb.542:
	v_and_b32_e32 v30, 7, v10
	v_ffbh_u32_e32 v28, v30
	v_min_u32_e32 v32, 32, v28
	v_subrev_u32_e32 v28, 28, v32
	v_lshlrev_b64 v[28:29], v28, v[10:11]
	v_lshrrev_b32_e32 v31, 3, v11
	v_sub_u32_e32 v29, 29, v32
	v_and_b32_e32 v28, 7, v28
	v_cmp_gt_u32_e32 vcc, 8, v11
	v_cndmask_b32_e32 v11, v31, v29, vcc
	v_cndmask_b32_e32 v28, v30, v28, vcc
	v_lshlrev_b32_e32 v10, 24, v10
	v_bfrev_b32_e32 v29, 60
	v_lshlrev_b32_e32 v28, 20, v28
	v_and_b32_e32 v10, 0x80000000, v10
	v_lshl_add_u32 v11, v11, 23, v29
	v_or3_b32 v28, v10, v11, v28
.LBB547_543:
	s_or_b64 exec, exec, s[10:11]
.LBB547_544:
	s_or_b64 exec, exec, s[8:9]
.LBB547_545:
	s_or_b64 exec, exec, s[2:3]
	v_cvt_pkrtz_f16_f32 v10, v24, v20
	v_cvt_pkrtz_f16_f32 v11, v19, v23
	ds_read_b128 v[30:33], v22 offset:2048
	v_cmp_ne_u16_sdwa s[8:9], v12, v18 src0_sel:BYTE_0 src1_sel:DWORD
	s_waitcnt lgkmcnt(0)
	v_mfma_f32_16x16x16f16 v[14:17], v[10:11], v[30:31], v[14:17]
	v_cvt_pkrtz_f16_f32 v10, v21, v27
	v_cvt_pkrtz_f16_f32 v11, v25, v28
	s_nop 1
	v_mfma_f32_16x16x16f16 v[14:17], v[10:11], v[32:33], v[14:17]
	s_and_saveexec_b64 s[2:3], s[8:9]
	s_cbranch_execz .LBB547_551
; %bb.546:
	s_movk_i32 s7, 0x80
	v_cmp_ne_u16_sdwa s[10:11], v12, s7 src0_sel:BYTE_0 src1_sel:DWORD
	v_bfrev_b32_e32 v18, 1
	s_and_saveexec_b64 s[8:9], s[10:11]
	s_cbranch_execz .LBB547_550
; %bb.547:
	s_movk_i32 s7, 0x7f
	v_and_b32_e32 v10, 0x7f, v12
	v_cmp_ne_u32_e32 vcc, s7, v10
	v_mov_b32_e32 v18, 0x7f800001
	s_and_saveexec_b64 s[10:11], vcc
	s_cbranch_execz .LBB547_549
; %bb.548:
	v_and_b32_e32 v11, 7, v12
	v_ffbh_u32_e32 v18, v11
	v_min_u32_e32 v21, 32, v18
	v_subrev_u32_e32 v18, 28, v21
	v_lshlrev_b64 v[18:19], v18, v[12:13]
	v_lshrrev_b32_e32 v20, 3, v10
	v_sub_u32_e32 v19, 29, v21
	v_and_b32_e32 v18, 7, v18
	v_cmp_gt_u32_e32 vcc, 8, v10
	v_cndmask_b32_e32 v10, v20, v19, vcc
	v_cndmask_b32_e32 v11, v11, v18, vcc
	v_lshlrev_b32_e32 v18, 24, v12
	v_bfrev_b32_e32 v19, 60
	v_lshlrev_b32_e32 v11, 20, v11
	v_and_b32_e32 v18, 0x80000000, v18
	v_lshl_add_u32 v10, v10, 23, v19
	v_or3_b32 v18, v18, v10, v11
.LBB547_549:
	s_or_b64 exec, exec, s[10:11]
.LBB547_550:
	s_or_b64 exec, exec, s[8:9]
.LBB547_551:
	s_or_b64 exec, exec, s[2:3]
	v_lshrrev_b16_e32 v10, 8, v12
	v_cmp_ne_u16_e32 vcc, 0, v10
	v_mov_b32_e32 v11, 0
	v_mov_b32_e32 v20, 0
	s_and_saveexec_b64 s[2:3], vcc
	s_cbranch_execz .LBB547_557
; %bb.552:
	s_movk_i32 s7, 0x80
	v_cmp_ne_u16_e32 vcc, s7, v10
	v_bfrev_b32_e32 v20, 1
	s_and_saveexec_b64 s[8:9], vcc
	s_cbranch_execz .LBB547_556
; %bb.553:
	s_movk_i32 s7, 0x7f
	v_and_b32_e32 v19, 0x7f, v10
	v_cmp_ne_u32_e32 vcc, s7, v19
	v_mov_b32_e32 v20, 0x7f800001
	s_and_saveexec_b64 s[10:11], vcc
	s_cbranch_execz .LBB547_555
; %bb.554:
	v_and_b32_e32 v23, 7, v10
	v_ffbh_u32_e32 v20, v23
	v_min_u32_e32 v25, 32, v20
	v_subrev_u32_e32 v20, 28, v25
	v_lshlrev_b64 v[20:21], v20, v[10:11]
	v_lshrrev_b32_e32 v24, 3, v19
	v_sub_u32_e32 v10, 29, v25
	v_and_b32_e32 v20, 7, v20
	v_cmp_gt_u32_e32 vcc, 8, v19
	v_cndmask_b32_e32 v10, v24, v10, vcc
	v_cndmask_b32_e32 v19, v23, v20, vcc
	v_lshlrev_b32_e32 v20, 16, v12
	v_bfrev_b32_e32 v21, 60
	v_lshlrev_b32_e32 v19, 20, v19
	v_and_b32_e32 v20, 0x80000000, v20
	v_lshl_add_u32 v10, v10, 23, v21
	v_or3_b32 v20, v20, v10, v19
.LBB547_555:
	s_or_b64 exec, exec, s[10:11]
.LBB547_556:
	s_or_b64 exec, exec, s[8:9]
.LBB547_557:
	s_or_b64 exec, exec, s[2:3]
	s_movk_i32 s2, 0xff
	v_and_b32_sdwa v19, v12, s2 dst_sel:DWORD dst_unused:UNUSED_PAD src0_sel:WORD_1 src1_sel:DWORD
	v_lshrrev_b32_e32 v10, 16, v12
	v_cmp_ne_u16_e32 vcc, 0, v19
	s_and_saveexec_b64 s[2:3], vcc
	s_cbranch_execz .LBB547_563
; %bb.558:
	s_movk_i32 s7, 0x80
	v_cmp_ne_u16_e32 vcc, s7, v19
	v_bfrev_b32_e32 v11, 1
	s_and_saveexec_b64 s[8:9], vcc
	s_cbranch_execz .LBB547_562
; %bb.559:
	v_bfe_u32 v19, v12, 16, 7
	s_movk_i32 s7, 0x7f
	v_cmp_ne_u32_e32 vcc, s7, v19
	v_mov_b32_e32 v11, 0x7f800001
	s_and_saveexec_b64 s[10:11], vcc
	s_cbranch_execz .LBB547_561
; %bb.560:
	v_and_b32_e32 v21, 7, v10
	v_ffbh_u32_e32 v11, v21
	v_min_u32_e32 v24, 32, v11
	v_subrev_u32_e32 v11, 28, v24
	v_lshlrev_b64 v[10:11], v11, v[10:11]
	v_lshrrev_b32_e32 v23, 3, v19
	v_sub_u32_e32 v11, 29, v24
	v_and_b32_e32 v10, 7, v10
	v_cmp_gt_u32_e32 vcc, 8, v19
	v_mov_b32_e32 v19, 24
	v_cndmask_b32_e32 v11, v23, v11, vcc
	v_cndmask_b32_e32 v10, v21, v10, vcc
	v_lshlrev_b32_sdwa v19, v19, v12 dst_sel:DWORD dst_unused:UNUSED_PAD src0_sel:DWORD src1_sel:WORD_1
	v_bfrev_b32_e32 v21, 60
	v_lshlrev_b32_e32 v10, 20, v10
	v_and_b32_e32 v19, 0x80000000, v19
	v_lshl_add_u32 v11, v11, 23, v21
	v_or3_b32 v11, v19, v11, v10
.LBB547_561:
	s_or_b64 exec, exec, s[10:11]
.LBB547_562:
	s_or_b64 exec, exec, s[8:9]
.LBB547_563:
	s_or_b64 exec, exec, s[2:3]
	s_mov_b32 s2, 0xffffff
	v_cmp_lt_u32_e32 vcc, s2, v12
	v_mov_b32_e32 v21, 0
	v_mov_b32_e32 v23, 0
	s_and_saveexec_b64 s[2:3], vcc
	s_cbranch_execz .LBB547_569
; %bb.564:
	v_lshrrev_b32_e32 v10, 24, v12
	s_movk_i32 s7, 0x80
	v_cmp_ne_u32_e32 vcc, s7, v10
	v_bfrev_b32_e32 v23, 1
	s_and_saveexec_b64 s[8:9], vcc
	s_cbranch_execz .LBB547_568
; %bb.565:
	v_bfe_u32 v12, v12, 24, 7
	s_movk_i32 s7, 0x7f
	v_cmp_ne_u32_e32 vcc, s7, v12
	v_mov_b32_e32 v23, 0x7f800001
	s_and_saveexec_b64 s[10:11], vcc
	s_cbranch_execz .LBB547_567
; %bb.566:
	v_and_b32_e32 v19, 7, v10
	v_ffbh_u32_e32 v24, v19
	v_min_u32_e32 v27, 32, v24
	v_subrev_u32_e32 v24, 28, v27
	v_lshlrev_b64 v[24:25], v24, v[10:11]
	v_lshrrev_b32_e32 v23, 3, v12
	v_sub_u32_e32 v25, 29, v27
	v_and_b32_e32 v24, 7, v24
	v_cmp_gt_u32_e32 vcc, 8, v12
	v_cndmask_b32_e32 v12, v23, v25, vcc
	v_cndmask_b32_e32 v19, v19, v24, vcc
	v_lshlrev_b32_e32 v10, 24, v10
	v_bfrev_b32_e32 v23, 60
	v_lshlrev_b32_e32 v19, 20, v19
	v_and_b32_e32 v10, 0x80000000, v10
	v_lshl_add_u32 v12, v12, 23, v23
	v_or3_b32 v23, v10, v12, v19
.LBB547_567:
	s_or_b64 exec, exec, s[10:11]
.LBB547_568:
	s_or_b64 exec, exec, s[8:9]
.LBB547_569:
	s_or_b64 exec, exec, s[2:3]
	v_cmp_ne_u16_sdwa s[8:9], v13, v21 src0_sel:BYTE_0 src1_sel:DWORD
	s_and_saveexec_b64 s[2:3], s[8:9]
	s_cbranch_execz .LBB547_575
; %bb.570:
	s_movk_i32 s7, 0x80
	v_cmp_ne_u16_sdwa s[10:11], v13, s7 src0_sel:BYTE_0 src1_sel:DWORD
	v_bfrev_b32_e32 v21, 1
	s_and_saveexec_b64 s[8:9], s[10:11]
	s_cbranch_execz .LBB547_574
; %bb.571:
	s_movk_i32 s7, 0x7f
	v_and_b32_e32 v10, 0x7f, v13
	v_cmp_ne_u32_e32 vcc, s7, v10
	v_mov_b32_e32 v21, 0x7f800001
	s_and_saveexec_b64 s[10:11], vcc
	s_cbranch_execz .LBB547_573
; %bb.572:
	v_and_b32_e32 v19, 7, v13
	v_ffbh_u32_e32 v24, v19
	v_min_u32_e32 v27, 32, v24
	v_mov_b32_e32 v12, v13
	v_subrev_u32_e32 v24, 28, v27
	v_lshlrev_b64 v[24:25], v24, v[12:13]
	v_lshrrev_b32_e32 v21, 3, v10
	v_sub_u32_e32 v12, 29, v27
	v_and_b32_e32 v24, 7, v24
	v_cmp_gt_u32_e32 vcc, 8, v10
	v_cndmask_b32_e32 v10, v21, v12, vcc
	v_cndmask_b32_e32 v12, v19, v24, vcc
	v_lshlrev_b32_e32 v19, 24, v13
	v_bfrev_b32_e32 v21, 60
	v_lshlrev_b32_e32 v12, 20, v12
	v_and_b32_e32 v19, 0x80000000, v19
	v_lshl_add_u32 v10, v10, 23, v21
	v_or3_b32 v21, v19, v10, v12
.LBB547_573:
	s_or_b64 exec, exec, s[10:11]
.LBB547_574:
	s_or_b64 exec, exec, s[8:9]
.LBB547_575:
	s_or_b64 exec, exec, s[2:3]
	v_lshrrev_b16_e32 v10, 8, v13
	v_cmp_ne_u16_e32 vcc, 0, v10
	v_mov_b32_e32 v12, 0
	v_mov_b32_e32 v24, 0
	s_and_saveexec_b64 s[2:3], vcc
	s_cbranch_execz .LBB547_581
; %bb.576:
	s_movk_i32 s7, 0x80
	v_cmp_ne_u16_e32 vcc, s7, v10
	v_bfrev_b32_e32 v24, 1
	s_and_saveexec_b64 s[8:9], vcc
	s_cbranch_execz .LBB547_580
; %bb.577:
	s_movk_i32 s7, 0x7f
	v_and_b32_e32 v19, 0x7f, v10
	v_cmp_ne_u32_e32 vcc, s7, v19
	v_mov_b32_e32 v24, 0x7f800001
	s_and_saveexec_b64 s[10:11], vcc
	s_cbranch_execz .LBB547_579
; %bb.578:
	v_and_b32_e32 v27, 7, v10
	v_ffbh_u32_e32 v24, v27
	v_min_u32_e32 v29, 32, v24
	v_subrev_u32_e32 v24, 28, v29
	v_lshlrev_b64 v[24:25], v24, v[10:11]
	v_lshrrev_b32_e32 v28, 3, v19
	v_sub_u32_e32 v10, 29, v29
	v_and_b32_e32 v24, 7, v24
	v_cmp_gt_u32_e32 vcc, 8, v19
	v_cndmask_b32_e32 v10, v28, v10, vcc
	v_cndmask_b32_e32 v19, v27, v24, vcc
	v_lshlrev_b32_e32 v24, 16, v13
	v_bfrev_b32_e32 v25, 60
	v_lshlrev_b32_e32 v19, 20, v19
	v_and_b32_e32 v24, 0x80000000, v24
	v_lshl_add_u32 v10, v10, 23, v25
	v_or3_b32 v24, v24, v10, v19
.LBB547_579:
	s_or_b64 exec, exec, s[10:11]
.LBB547_580:
	s_or_b64 exec, exec, s[8:9]
.LBB547_581:
	s_or_b64 exec, exec, s[2:3]
	s_movk_i32 s2, 0xff
	v_and_b32_sdwa v19, v13, s2 dst_sel:DWORD dst_unused:UNUSED_PAD src0_sel:WORD_1 src1_sel:DWORD
	v_lshrrev_b32_e32 v10, 16, v13
	v_cmp_ne_u16_e32 vcc, 0, v19
	s_and_saveexec_b64 s[2:3], vcc
	s_cbranch_execz .LBB547_587
; %bb.582:
	s_movk_i32 s7, 0x80
	v_cmp_ne_u16_e32 vcc, s7, v19
	v_bfrev_b32_e32 v12, 1
	s_and_saveexec_b64 s[8:9], vcc
	s_cbranch_execz .LBB547_586
; %bb.583:
	v_bfe_u32 v19, v13, 16, 7
	s_movk_i32 s7, 0x7f
	v_cmp_ne_u32_e32 vcc, s7, v19
	v_mov_b32_e32 v12, 0x7f800001
	s_and_saveexec_b64 s[10:11], vcc
	s_cbranch_execz .LBB547_585
; %bb.584:
	v_and_b32_e32 v12, 7, v10
	v_ffbh_u32_e32 v27, v12
	v_min_u32_e32 v27, 32, v27
	v_subrev_u32_e32 v28, 28, v27
	v_lshlrev_b64 v[28:29], v28, v[10:11]
	v_lshrrev_b32_e32 v25, 3, v19
	v_sub_u32_e32 v10, 29, v27
	v_and_b32_e32 v27, 7, v28
	v_cmp_gt_u32_e32 vcc, 8, v19
	v_mov_b32_e32 v19, 24
	v_cndmask_b32_e32 v10, v25, v10, vcc
	v_cndmask_b32_e32 v12, v12, v27, vcc
	v_lshlrev_b32_sdwa v19, v19, v13 dst_sel:DWORD dst_unused:UNUSED_PAD src0_sel:DWORD src1_sel:WORD_1
	v_bfrev_b32_e32 v25, 60
	v_lshlrev_b32_e32 v12, 20, v12
	v_and_b32_e32 v19, 0x80000000, v19
	v_lshl_add_u32 v10, v10, 23, v25
	v_or3_b32 v12, v19, v10, v12
.LBB547_585:
	s_or_b64 exec, exec, s[10:11]
.LBB547_586:
	s_or_b64 exec, exec, s[8:9]
.LBB547_587:
	s_or_b64 exec, exec, s[2:3]
	s_mov_b32 s2, 0xffffff
	v_cmp_lt_u32_e32 vcc, s2, v13
	v_mov_b32_e32 v19, 0
	v_mov_b32_e32 v25, 0
	s_and_saveexec_b64 s[2:3], vcc
	s_cbranch_execz .LBB547_593
; %bb.588:
	v_lshrrev_b32_e32 v10, 24, v13
	s_movk_i32 s7, 0x80
	v_cmp_ne_u32_e32 vcc, s7, v10
	v_bfrev_b32_e32 v25, 1
	s_and_saveexec_b64 s[8:9], vcc
	s_cbranch_execz .LBB547_592
; %bb.589:
	v_bfe_u32 v13, v13, 24, 7
	s_movk_i32 s7, 0x7f
	v_cmp_ne_u32_e32 vcc, s7, v13
	v_mov_b32_e32 v25, 0x7f800001
	s_and_saveexec_b64 s[10:11], vcc
	s_cbranch_execz .LBB547_591
; %bb.590:
	v_and_b32_e32 v25, 7, v10
	v_ffbh_u32_e32 v28, v25
	v_min_u32_e32 v30, 32, v28
	v_subrev_u32_e32 v28, 28, v30
	v_lshlrev_b64 v[28:29], v28, v[10:11]
	v_lshrrev_b32_e32 v27, 3, v13
	v_sub_u32_e32 v29, 29, v30
	v_and_b32_e32 v28, 7, v28
	v_cmp_gt_u32_e32 vcc, 8, v13
	v_cndmask_b32_e32 v13, v27, v29, vcc
	v_cndmask_b32_e32 v25, v25, v28, vcc
	v_lshlrev_b32_e32 v10, 24, v10
	v_bfrev_b32_e32 v27, 60
	v_lshlrev_b32_e32 v25, 20, v25
	v_and_b32_e32 v10, 0x80000000, v10
	v_lshl_add_u32 v13, v13, 23, v27
	v_or3_b32 v25, v10, v13, v25
.LBB547_591:
	s_or_b64 exec, exec, s[10:11]
.LBB547_592:
	s_or_b64 exec, exec, s[8:9]
.LBB547_593:
	s_or_b64 exec, exec, s[2:3]
	v_cvt_pkrtz_f16_f32 v10, v18, v20
	v_cvt_pkrtz_f16_f32 v11, v11, v23
	ds_read_b128 v[28:31], v22 offset:2064
	s_waitcnt vmcnt(1)
	v_cmp_ne_u16_sdwa s[8:9], v6, v19 src0_sel:BYTE_0 src1_sel:DWORD
	s_waitcnt lgkmcnt(0)
	v_mfma_f32_16x16x16f16 v[14:17], v[10:11], v[28:29], v[14:17]
	v_cvt_pkrtz_f16_f32 v10, v21, v24
	v_cvt_pkrtz_f16_f32 v11, v12, v25
	s_nop 1
	v_mfma_f32_16x16x16f16 v[10:13], v[10:11], v[30:31], v[14:17]
	s_and_saveexec_b64 s[2:3], s[8:9]
	s_cbranch_execz .LBB547_599
; %bb.594:
	s_movk_i32 s7, 0x80
	v_cmp_ne_u16_sdwa s[10:11], v6, s7 src0_sel:BYTE_0 src1_sel:DWORD
	v_bfrev_b32_e32 v19, 1
	s_and_saveexec_b64 s[8:9], s[10:11]
	s_cbranch_execz .LBB547_598
; %bb.595:
	s_movk_i32 s7, 0x7f
	v_and_b32_e32 v14, 0x7f, v6
	v_cmp_ne_u32_e32 vcc, s7, v14
	v_mov_b32_e32 v19, 0x7f800001
	s_and_saveexec_b64 s[10:11], vcc
	s_cbranch_execz .LBB547_597
; %bb.596:
	v_and_b32_e32 v15, 7, v6
	v_ffbh_u32_e32 v16, v15
	v_min_u32_e32 v19, 32, v16
	v_subrev_u32_e32 v16, 28, v19
	v_lshlrev_b64 v[16:17], v16, v[6:7]
	v_lshrrev_b32_e32 v18, 3, v14
	v_sub_u32_e32 v17, 29, v19
	v_and_b32_e32 v16, 7, v16
	v_cmp_gt_u32_e32 vcc, 8, v14
	v_cndmask_b32_e32 v14, v18, v17, vcc
	v_cndmask_b32_e32 v15, v15, v16, vcc
	v_lshlrev_b32_e32 v16, 24, v6
	v_bfrev_b32_e32 v17, 60
	v_lshlrev_b32_e32 v15, 20, v15
	v_and_b32_e32 v16, 0x80000000, v16
	v_lshl_add_u32 v14, v14, 23, v17
	v_or3_b32 v19, v16, v14, v15
.LBB547_597:
	s_or_b64 exec, exec, s[10:11]
.LBB547_598:
	s_or_b64 exec, exec, s[8:9]
.LBB547_599:
	s_or_b64 exec, exec, s[2:3]
	s_nop 3
	v_lshrrev_b16_e32 v14, 8, v6
	v_cmp_ne_u16_e32 vcc, 0, v14
	v_mov_b32_e32 v15, 0
	v_mov_b32_e32 v16, 0
	s_and_saveexec_b64 s[2:3], vcc
	s_cbranch_execz .LBB547_605
; %bb.600:
	s_movk_i32 s7, 0x80
	v_cmp_ne_u16_e32 vcc, s7, v14
	v_bfrev_b32_e32 v16, 1
	s_and_saveexec_b64 s[8:9], vcc
	s_cbranch_execz .LBB547_604
; %bb.601:
	s_movk_i32 s7, 0x7f
	v_and_b32_e32 v17, 0x7f, v14
	v_cmp_ne_u32_e32 vcc, s7, v17
	v_mov_b32_e32 v16, 0x7f800001
	s_and_saveexec_b64 s[10:11], vcc
	s_cbranch_execz .LBB547_603
; %bb.602:
	v_and_b32_e32 v16, 7, v14
	v_ffbh_u32_e32 v20, v16
	v_min_u32_e32 v23, 32, v20
	v_subrev_u32_e32 v20, 28, v23
	v_lshlrev_b64 v[20:21], v20, v[14:15]
	v_lshrrev_b32_e32 v18, 3, v17
	v_sub_u32_e32 v14, 29, v23
	v_and_b32_e32 v20, 7, v20
	v_cmp_gt_u32_e32 vcc, 8, v17
	v_cndmask_b32_e32 v14, v18, v14, vcc
	v_cndmask_b32_e32 v16, v16, v20, vcc
	v_lshlrev_b32_e32 v17, 16, v6
	v_bfrev_b32_e32 v18, 60
	v_lshlrev_b32_e32 v16, 20, v16
	v_and_b32_e32 v17, 0x80000000, v17
	v_lshl_add_u32 v14, v14, 23, v18
	v_or3_b32 v16, v17, v14, v16
.LBB547_603:
	s_or_b64 exec, exec, s[10:11]
.LBB547_604:
	s_or_b64 exec, exec, s[8:9]
.LBB547_605:
	s_or_b64 exec, exec, s[2:3]
	s_movk_i32 s2, 0xff
	v_and_b32_sdwa v17, v6, s2 dst_sel:DWORD dst_unused:UNUSED_PAD src0_sel:WORD_1 src1_sel:DWORD
	v_lshrrev_b32_e32 v14, 16, v6
	v_cmp_ne_u16_e32 vcc, 0, v17
	s_and_saveexec_b64 s[2:3], vcc
	s_cbranch_execz .LBB547_611
; %bb.606:
	s_movk_i32 s7, 0x80
	v_cmp_ne_u16_e32 vcc, s7, v17
	v_bfrev_b32_e32 v15, 1
	s_and_saveexec_b64 s[8:9], vcc
	s_cbranch_execz .LBB547_610
; %bb.607:
	v_bfe_u32 v17, v6, 16, 7
	s_movk_i32 s7, 0x7f
	v_cmp_ne_u32_e32 vcc, s7, v17
	v_mov_b32_e32 v15, 0x7f800001
	s_and_saveexec_b64 s[10:11], vcc
	s_cbranch_execz .LBB547_609
; %bb.608:
	v_and_b32_e32 v18, 7, v14
	v_ffbh_u32_e32 v15, v18
	v_min_u32_e32 v21, 32, v15
	v_subrev_u32_e32 v15, 28, v21
	v_lshlrev_b64 v[14:15], v15, v[14:15]
	v_lshrrev_b32_e32 v20, 3, v17
	v_sub_u32_e32 v15, 29, v21
	v_and_b32_e32 v14, 7, v14
	v_cmp_gt_u32_e32 vcc, 8, v17
	v_mov_b32_e32 v17, 24
	v_cndmask_b32_e32 v15, v20, v15, vcc
	v_cndmask_b32_e32 v14, v18, v14, vcc
	v_lshlrev_b32_sdwa v17, v17, v6 dst_sel:DWORD dst_unused:UNUSED_PAD src0_sel:DWORD src1_sel:WORD_1
	v_bfrev_b32_e32 v18, 60
	v_lshlrev_b32_e32 v14, 20, v14
	v_and_b32_e32 v17, 0x80000000, v17
	v_lshl_add_u32 v15, v15, 23, v18
	v_or3_b32 v15, v17, v15, v14
.LBB547_609:
	s_or_b64 exec, exec, s[10:11]
.LBB547_610:
	s_or_b64 exec, exec, s[8:9]
.LBB547_611:
	s_or_b64 exec, exec, s[2:3]
	s_mov_b32 s2, 0xffffff
	v_cmp_lt_u32_e32 vcc, s2, v6
	v_mov_b32_e32 v17, 0
	v_mov_b32_e32 v18, 0
	s_and_saveexec_b64 s[2:3], vcc
	s_cbranch_execz .LBB547_617
; %bb.612:
	v_lshrrev_b32_e32 v14, 24, v6
	s_movk_i32 s7, 0x80
	v_cmp_ne_u32_e32 vcc, s7, v14
	v_bfrev_b32_e32 v18, 1
	s_and_saveexec_b64 s[8:9], vcc
	s_cbranch_execz .LBB547_616
; %bb.613:
	v_bfe_u32 v6, v6, 24, 7
	s_movk_i32 s7, 0x7f
	v_cmp_ne_u32_e32 vcc, s7, v6
	v_mov_b32_e32 v18, 0x7f800001
	s_and_saveexec_b64 s[10:11], vcc
	s_cbranch_execz .LBB547_615
; %bb.614:
	v_and_b32_e32 v18, 7, v14
	v_ffbh_u32_e32 v20, v18
	v_min_u32_e32 v24, 32, v20
	v_subrev_u32_e32 v20, 28, v24
	v_lshlrev_b64 v[20:21], v20, v[14:15]
	v_lshrrev_b32_e32 v23, 3, v6
	v_sub_u32_e32 v21, 29, v24
	v_and_b32_e32 v20, 7, v20
	v_cmp_gt_u32_e32 vcc, 8, v6
	v_cndmask_b32_e32 v6, v23, v21, vcc
	v_cndmask_b32_e32 v18, v18, v20, vcc
	v_lshlrev_b32_e32 v14, 24, v14
	v_bfrev_b32_e32 v20, 60
	v_lshlrev_b32_e32 v18, 20, v18
	v_and_b32_e32 v14, 0x80000000, v14
	v_lshl_add_u32 v6, v6, 23, v20
	v_or3_b32 v18, v14, v6, v18
.LBB547_615:
	s_or_b64 exec, exec, s[10:11]
.LBB547_616:
	s_or_b64 exec, exec, s[8:9]
.LBB547_617:
	s_or_b64 exec, exec, s[2:3]
	v_cmp_ne_u16_sdwa s[8:9], v7, v17 src0_sel:BYTE_0 src1_sel:DWORD
	s_and_saveexec_b64 s[2:3], s[8:9]
	s_cbranch_execz .LBB547_623
; %bb.618:
	s_movk_i32 s7, 0x80
	v_cmp_ne_u16_sdwa s[10:11], v7, s7 src0_sel:BYTE_0 src1_sel:DWORD
	v_bfrev_b32_e32 v17, 1
	s_and_saveexec_b64 s[8:9], s[10:11]
	s_cbranch_execz .LBB547_622
; %bb.619:
	s_movk_i32 s7, 0x7f
	v_and_b32_e32 v6, 0x7f, v7
	v_cmp_ne_u32_e32 vcc, s7, v6
	v_mov_b32_e32 v17, 0x7f800001
	s_and_saveexec_b64 s[10:11], vcc
	s_cbranch_execz .LBB547_621
; %bb.620:
	v_and_b32_e32 v17, 7, v7
	v_ffbh_u32_e32 v20, v17
	v_min_u32_e32 v24, 32, v20
	v_mov_b32_e32 v14, v7
	v_subrev_u32_e32 v20, 28, v24
	v_lshlrev_b64 v[20:21], v20, v[14:15]
	v_lshrrev_b32_e32 v23, 3, v6
	v_sub_u32_e32 v14, 29, v24
	v_and_b32_e32 v20, 7, v20
	v_cmp_gt_u32_e32 vcc, 8, v6
	v_cndmask_b32_e32 v6, v23, v14, vcc
	v_cndmask_b32_e32 v14, v17, v20, vcc
	v_lshlrev_b32_e32 v17, 24, v7
	v_bfrev_b32_e32 v20, 60
	v_lshlrev_b32_e32 v14, 20, v14
	v_and_b32_e32 v17, 0x80000000, v17
	v_lshl_add_u32 v6, v6, 23, v20
	v_or3_b32 v17, v17, v6, v14
.LBB547_621:
	s_or_b64 exec, exec, s[10:11]
.LBB547_622:
	s_or_b64 exec, exec, s[8:9]
.LBB547_623:
	s_or_b64 exec, exec, s[2:3]
	v_lshrrev_b16_e32 v6, 8, v7
	v_cmp_ne_u16_e32 vcc, 0, v6
	v_mov_b32_e32 v20, 0
	v_mov_b32_e32 v21, 0
	s_and_saveexec_b64 s[2:3], vcc
	s_cbranch_execz .LBB547_629
; %bb.624:
	s_movk_i32 s7, 0x80
	v_cmp_ne_u16_e32 vcc, s7, v6
	v_bfrev_b32_e32 v21, 1
	s_and_saveexec_b64 s[8:9], vcc
	s_cbranch_execz .LBB547_628
; %bb.625:
	s_movk_i32 s7, 0x7f
	v_and_b32_e32 v14, 0x7f, v6
	v_cmp_ne_u32_e32 vcc, s7, v14
	v_mov_b32_e32 v21, 0x7f800001
	s_and_saveexec_b64 s[10:11], vcc
	s_cbranch_execz .LBB547_627
; %bb.626:
	v_and_b32_e32 v21, 7, v6
	v_ffbh_u32_e32 v24, v21
	v_min_u32_e32 v27, 32, v24
	v_subrev_u32_e32 v24, 28, v27
	v_lshlrev_b64 v[24:25], v24, v[6:7]
	v_lshrrev_b32_e32 v23, 3, v14
	v_sub_u32_e32 v6, 29, v27
	v_and_b32_e32 v24, 7, v24
	v_cmp_gt_u32_e32 vcc, 8, v14
	v_cndmask_b32_e32 v6, v23, v6, vcc
	v_cndmask_b32_e32 v14, v21, v24, vcc
	v_lshlrev_b32_e32 v21, 16, v7
	v_bfrev_b32_e32 v23, 60
	v_lshlrev_b32_e32 v14, 20, v14
	v_and_b32_e32 v21, 0x80000000, v21
	v_lshl_add_u32 v6, v6, 23, v23
	v_or3_b32 v21, v21, v6, v14
.LBB547_627:
	s_or_b64 exec, exec, s[10:11]
.LBB547_628:
	s_or_b64 exec, exec, s[8:9]
.LBB547_629:
	s_or_b64 exec, exec, s[2:3]
	s_movk_i32 s2, 0xff
	v_and_b32_sdwa v14, v7, s2 dst_sel:DWORD dst_unused:UNUSED_PAD src0_sel:WORD_1 src1_sel:DWORD
	v_lshrrev_b32_e32 v6, 16, v7
	v_cmp_ne_u16_e32 vcc, 0, v14
	s_and_saveexec_b64 s[2:3], vcc
	s_cbranch_execz .LBB547_635
; %bb.630:
	s_movk_i32 s7, 0x80
	v_cmp_ne_u16_e32 vcc, s7, v14
	v_bfrev_b32_e32 v20, 1
	s_and_saveexec_b64 s[8:9], vcc
	s_cbranch_execz .LBB547_634
; %bb.631:
	v_bfe_u32 v14, v7, 16, 7
	s_movk_i32 s7, 0x7f
	v_cmp_ne_u32_e32 vcc, s7, v14
	v_mov_b32_e32 v20, 0x7f800001
	s_and_saveexec_b64 s[10:11], vcc
	s_cbranch_execz .LBB547_633
; %bb.632:
	v_and_b32_e32 v20, 7, v6
	v_ffbh_u32_e32 v24, v20
	v_min_u32_e32 v27, 32, v24
	v_subrev_u32_e32 v24, 28, v27
	v_lshlrev_b64 v[24:25], v24, v[6:7]
	v_and_b32_e32 v24, 7, v24
	v_cmp_gt_u32_e32 vcc, 8, v14
	v_lshrrev_b32_e32 v23, 3, v14
	v_sub_u32_e32 v6, 29, v27
	v_cndmask_b32_e32 v14, v20, v24, vcc
	v_mov_b32_e32 v20, 24
	v_cndmask_b32_e32 v6, v23, v6, vcc
	v_lshlrev_b32_sdwa v20, v20, v7 dst_sel:DWORD dst_unused:UNUSED_PAD src0_sel:DWORD src1_sel:WORD_1
	v_bfrev_b32_e32 v23, 60
	v_lshlrev_b32_e32 v14, 20, v14
	v_and_b32_e32 v20, 0x80000000, v20
	v_lshl_add_u32 v6, v6, 23, v23
	v_or3_b32 v20, v20, v6, v14
.LBB547_633:
	s_or_b64 exec, exec, s[10:11]
.LBB547_634:
	s_or_b64 exec, exec, s[8:9]
.LBB547_635:
	s_or_b64 exec, exec, s[2:3]
	s_mov_b32 s2, 0xffffff
	v_cmp_lt_u32_e32 vcc, s2, v7
	v_mov_b32_e32 v14, 0
	v_mov_b32_e32 v23, 0
	s_and_saveexec_b64 s[2:3], vcc
	s_cbranch_execz .LBB547_641
; %bb.636:
	v_lshrrev_b32_e32 v6, 24, v7
	s_movk_i32 s7, 0x80
	v_cmp_ne_u32_e32 vcc, s7, v6
	v_bfrev_b32_e32 v23, 1
	s_and_saveexec_b64 s[8:9], vcc
	s_cbranch_execz .LBB547_640
; %bb.637:
	v_bfe_u32 v7, v7, 24, 7
	s_movk_i32 s7, 0x7f
	v_cmp_ne_u32_e32 vcc, s7, v7
	v_mov_b32_e32 v23, 0x7f800001
	s_and_saveexec_b64 s[10:11], vcc
	s_cbranch_execz .LBB547_639
; %bb.638:
	v_and_b32_e32 v23, 7, v6
	v_ffbh_u32_e32 v24, v23
	v_min_u32_e32 v28, 32, v24
	v_subrev_u32_e32 v24, 28, v28
	v_lshlrev_b64 v[24:25], v24, v[6:7]
	v_lshrrev_b32_e32 v27, 3, v7
	v_sub_u32_e32 v25, 29, v28
	v_and_b32_e32 v24, 7, v24
	v_cmp_gt_u32_e32 vcc, 8, v7
	v_cndmask_b32_e32 v7, v27, v25, vcc
	v_cndmask_b32_e32 v23, v23, v24, vcc
	v_lshlrev_b32_e32 v6, 24, v6
	v_bfrev_b32_e32 v24, 60
	v_lshlrev_b32_e32 v23, 20, v23
	v_and_b32_e32 v6, 0x80000000, v6
	v_lshl_add_u32 v7, v7, 23, v24
	v_or3_b32 v23, v6, v7, v23
.LBB547_639:
	s_or_b64 exec, exec, s[10:11]
.LBB547_640:
	s_or_b64 exec, exec, s[8:9]
.LBB547_641:
	s_or_b64 exec, exec, s[2:3]
	v_cvt_pkrtz_f16_f32 v6, v19, v16
	v_cvt_pkrtz_f16_f32 v7, v15, v18
	ds_read_b128 v[28:31], v22 offset:4096
	v_cmp_ne_u16_sdwa s[8:9], v8, v14 src0_sel:BYTE_0 src1_sel:DWORD
	s_waitcnt lgkmcnt(0)
	v_mfma_f32_16x16x16f16 v[10:13], v[6:7], v[28:29], v[10:13]
	v_cvt_pkrtz_f16_f32 v6, v17, v21
	v_cvt_pkrtz_f16_f32 v7, v20, v23
	s_nop 1
	v_mfma_f32_16x16x16f16 v[10:13], v[6:7], v[30:31], v[10:13]
	s_and_saveexec_b64 s[2:3], s[8:9]
	s_cbranch_execz .LBB547_647
; %bb.642:
	s_movk_i32 s7, 0x80
	v_cmp_ne_u16_sdwa s[10:11], v8, s7 src0_sel:BYTE_0 src1_sel:DWORD
	v_bfrev_b32_e32 v14, 1
	s_and_saveexec_b64 s[8:9], s[10:11]
	s_cbranch_execz .LBB547_646
; %bb.643:
	s_movk_i32 s7, 0x7f
	v_and_b32_e32 v6, 0x7f, v8
	v_cmp_ne_u32_e32 vcc, s7, v6
	v_mov_b32_e32 v14, 0x7f800001
	s_and_saveexec_b64 s[10:11], vcc
	s_cbranch_execz .LBB547_645
; %bb.644:
	v_and_b32_e32 v7, 7, v8
	v_ffbh_u32_e32 v14, v7
	v_min_u32_e32 v17, 32, v14
	v_subrev_u32_e32 v14, 28, v17
	v_lshlrev_b64 v[14:15], v14, v[8:9]
	v_lshrrev_b32_e32 v16, 3, v6
	v_sub_u32_e32 v15, 29, v17
	v_and_b32_e32 v14, 7, v14
	v_cmp_gt_u32_e32 vcc, 8, v6
	v_cndmask_b32_e32 v6, v16, v15, vcc
	v_cndmask_b32_e32 v7, v7, v14, vcc
	v_lshlrev_b32_e32 v14, 24, v8
	v_bfrev_b32_e32 v15, 60
	v_lshlrev_b32_e32 v7, 20, v7
	v_and_b32_e32 v14, 0x80000000, v14
	v_lshl_add_u32 v6, v6, 23, v15
	v_or3_b32 v14, v14, v6, v7
.LBB547_645:
	s_or_b64 exec, exec, s[10:11]
.LBB547_646:
	s_or_b64 exec, exec, s[8:9]
.LBB547_647:
	s_or_b64 exec, exec, s[2:3]
	v_lshrrev_b16_e32 v6, 8, v8
	v_cmp_ne_u16_e32 vcc, 0, v6
	v_mov_b32_e32 v7, 0
	v_mov_b32_e32 v16, 0
	s_and_saveexec_b64 s[2:3], vcc
	s_cbranch_execz .LBB547_653
; %bb.648:
	s_movk_i32 s7, 0x80
	v_cmp_ne_u16_e32 vcc, s7, v6
	v_bfrev_b32_e32 v16, 1
	s_and_saveexec_b64 s[8:9], vcc
	s_cbranch_execz .LBB547_652
; %bb.649:
	s_movk_i32 s7, 0x7f
	v_and_b32_e32 v15, 0x7f, v6
	v_cmp_ne_u32_e32 vcc, s7, v15
	v_mov_b32_e32 v16, 0x7f800001
	s_and_saveexec_b64 s[10:11], vcc
	s_cbranch_execz .LBB547_651
; %bb.650:
	v_and_b32_e32 v18, 7, v6
	v_ffbh_u32_e32 v16, v18
	v_min_u32_e32 v20, 32, v16
	v_subrev_u32_e32 v16, 28, v20
	v_lshlrev_b64 v[16:17], v16, v[6:7]
	v_lshrrev_b32_e32 v19, 3, v15
	v_sub_u32_e32 v6, 29, v20
	v_and_b32_e32 v16, 7, v16
	v_cmp_gt_u32_e32 vcc, 8, v15
	v_cndmask_b32_e32 v6, v19, v6, vcc
	v_cndmask_b32_e32 v15, v18, v16, vcc
	v_lshlrev_b32_e32 v16, 16, v8
	v_bfrev_b32_e32 v17, 60
	v_lshlrev_b32_e32 v15, 20, v15
	v_and_b32_e32 v16, 0x80000000, v16
	v_lshl_add_u32 v6, v6, 23, v17
	v_or3_b32 v16, v16, v6, v15
.LBB547_651:
	s_or_b64 exec, exec, s[10:11]
.LBB547_652:
	s_or_b64 exec, exec, s[8:9]
.LBB547_653:
	s_or_b64 exec, exec, s[2:3]
	s_movk_i32 s2, 0xff
	v_and_b32_sdwa v15, v8, s2 dst_sel:DWORD dst_unused:UNUSED_PAD src0_sel:WORD_1 src1_sel:DWORD
	v_lshrrev_b32_e32 v6, 16, v8
	v_cmp_ne_u16_e32 vcc, 0, v15
	s_and_saveexec_b64 s[2:3], vcc
	s_cbranch_execz .LBB547_659
; %bb.654:
	s_movk_i32 s7, 0x80
	v_cmp_ne_u16_e32 vcc, s7, v15
	v_bfrev_b32_e32 v7, 1
	s_and_saveexec_b64 s[8:9], vcc
	s_cbranch_execz .LBB547_658
; %bb.655:
	v_bfe_u32 v15, v8, 16, 7
	s_movk_i32 s7, 0x7f
	v_cmp_ne_u32_e32 vcc, s7, v15
	v_mov_b32_e32 v7, 0x7f800001
	s_and_saveexec_b64 s[10:11], vcc
	s_cbranch_execz .LBB547_657
; %bb.656:
	v_and_b32_e32 v17, 7, v6
	v_ffbh_u32_e32 v7, v17
	v_min_u32_e32 v19, 32, v7
	v_subrev_u32_e32 v7, 28, v19
	v_lshlrev_b64 v[6:7], v7, v[6:7]
	v_lshrrev_b32_e32 v18, 3, v15
	v_sub_u32_e32 v7, 29, v19
	v_and_b32_e32 v6, 7, v6
	v_cmp_gt_u32_e32 vcc, 8, v15
	v_mov_b32_e32 v15, 24
	v_cndmask_b32_e32 v7, v18, v7, vcc
	v_cndmask_b32_e32 v6, v17, v6, vcc
	v_lshlrev_b32_sdwa v15, v15, v8 dst_sel:DWORD dst_unused:UNUSED_PAD src0_sel:DWORD src1_sel:WORD_1
	v_bfrev_b32_e32 v17, 60
	v_lshlrev_b32_e32 v6, 20, v6
	v_and_b32_e32 v15, 0x80000000, v15
	v_lshl_add_u32 v7, v7, 23, v17
	v_or3_b32 v7, v15, v7, v6
.LBB547_657:
	s_or_b64 exec, exec, s[10:11]
.LBB547_658:
	s_or_b64 exec, exec, s[8:9]
.LBB547_659:
	s_or_b64 exec, exec, s[2:3]
	s_mov_b32 s2, 0xffffff
	v_cmp_lt_u32_e32 vcc, s2, v8
	v_mov_b32_e32 v17, 0
	v_mov_b32_e32 v18, 0
	s_and_saveexec_b64 s[2:3], vcc
	s_cbranch_execz .LBB547_665
; %bb.660:
	v_lshrrev_b32_e32 v6, 24, v8
	s_movk_i32 s7, 0x80
	v_cmp_ne_u32_e32 vcc, s7, v6
	v_bfrev_b32_e32 v18, 1
	s_and_saveexec_b64 s[8:9], vcc
	s_cbranch_execz .LBB547_664
; %bb.661:
	v_bfe_u32 v8, v8, 24, 7
	s_movk_i32 s7, 0x7f
	v_cmp_ne_u32_e32 vcc, s7, v8
	v_mov_b32_e32 v18, 0x7f800001
	s_and_saveexec_b64 s[10:11], vcc
	s_cbranch_execz .LBB547_663
; %bb.662:
	v_and_b32_e32 v15, 7, v6
	v_ffbh_u32_e32 v18, v15
	v_min_u32_e32 v21, 32, v18
	v_subrev_u32_e32 v18, 28, v21
	v_lshlrev_b64 v[18:19], v18, v[6:7]
	v_lshrrev_b32_e32 v20, 3, v8
	v_sub_u32_e32 v19, 29, v21
	v_and_b32_e32 v18, 7, v18
	v_cmp_gt_u32_e32 vcc, 8, v8
	v_cndmask_b32_e32 v8, v20, v19, vcc
	v_cndmask_b32_e32 v15, v15, v18, vcc
	v_lshlrev_b32_e32 v6, 24, v6
	v_bfrev_b32_e32 v18, 60
	v_lshlrev_b32_e32 v15, 20, v15
	v_and_b32_e32 v6, 0x80000000, v6
	v_lshl_add_u32 v8, v8, 23, v18
	v_or3_b32 v18, v6, v8, v15
.LBB547_663:
	s_or_b64 exec, exec, s[10:11]
.LBB547_664:
	s_or_b64 exec, exec, s[8:9]
.LBB547_665:
	s_or_b64 exec, exec, s[2:3]
	v_cmp_ne_u16_sdwa s[8:9], v9, v17 src0_sel:BYTE_0 src1_sel:DWORD
	s_and_saveexec_b64 s[2:3], s[8:9]
	s_cbranch_execz .LBB547_671
; %bb.666:
	s_movk_i32 s7, 0x80
	v_cmp_ne_u16_sdwa s[10:11], v9, s7 src0_sel:BYTE_0 src1_sel:DWORD
	v_bfrev_b32_e32 v17, 1
	s_and_saveexec_b64 s[8:9], s[10:11]
	s_cbranch_execz .LBB547_670
; %bb.667:
	s_movk_i32 s7, 0x7f
	v_and_b32_e32 v6, 0x7f, v9
	v_cmp_ne_u32_e32 vcc, s7, v6
	v_mov_b32_e32 v17, 0x7f800001
	s_and_saveexec_b64 s[10:11], vcc
	s_cbranch_execz .LBB547_669
; %bb.668:
	v_and_b32_e32 v15, 7, v9
	v_ffbh_u32_e32 v19, v15
	v_min_u32_e32 v19, 32, v19
	v_mov_b32_e32 v8, v9
	v_subrev_u32_e32 v20, 28, v19
	v_lshlrev_b64 v[20:21], v20, v[8:9]
	v_lshrrev_b32_e32 v17, 3, v6
	v_sub_u32_e32 v8, 29, v19
	v_and_b32_e32 v19, 7, v20
	v_cmp_gt_u32_e32 vcc, 8, v6
	v_cndmask_b32_e32 v6, v17, v8, vcc
	v_cndmask_b32_e32 v8, v15, v19, vcc
	v_lshlrev_b32_e32 v15, 24, v9
	v_bfrev_b32_e32 v17, 60
	v_lshlrev_b32_e32 v8, 20, v8
	v_and_b32_e32 v15, 0x80000000, v15
	v_lshl_add_u32 v6, v6, 23, v17
	v_or3_b32 v17, v15, v6, v8
.LBB547_669:
	s_or_b64 exec, exec, s[10:11]
.LBB547_670:
	s_or_b64 exec, exec, s[8:9]
.LBB547_671:
	s_or_b64 exec, exec, s[2:3]
	v_lshrrev_b16_e32 v6, 8, v9
	v_cmp_ne_u16_e32 vcc, 0, v6
	v_mov_b32_e32 v8, 0
	v_mov_b32_e32 v19, 0
	s_and_saveexec_b64 s[2:3], vcc
	s_cbranch_execz .LBB547_677
; %bb.672:
	s_movk_i32 s7, 0x80
	v_cmp_ne_u16_e32 vcc, s7, v6
	v_bfrev_b32_e32 v19, 1
	s_and_saveexec_b64 s[8:9], vcc
	s_cbranch_execz .LBB547_676
; %bb.673:
	s_movk_i32 s7, 0x7f
	v_and_b32_e32 v15, 0x7f, v6
	v_cmp_ne_u32_e32 vcc, s7, v15
	v_mov_b32_e32 v19, 0x7f800001
	s_and_saveexec_b64 s[10:11], vcc
	s_cbranch_execz .LBB547_675
; %bb.674:
	v_and_b32_e32 v19, 7, v6
	v_ffbh_u32_e32 v20, v19
	v_min_u32_e32 v24, 32, v20
	v_subrev_u32_e32 v20, 28, v24
	v_lshlrev_b64 v[20:21], v20, v[6:7]
	v_lshrrev_b32_e32 v23, 3, v15
	v_sub_u32_e32 v6, 29, v24
	v_and_b32_e32 v20, 7, v20
	v_cmp_gt_u32_e32 vcc, 8, v15
	v_cndmask_b32_e32 v6, v23, v6, vcc
	v_cndmask_b32_e32 v15, v19, v20, vcc
	v_lshlrev_b32_e32 v19, 16, v9
	v_bfrev_b32_e32 v20, 60
	v_lshlrev_b32_e32 v15, 20, v15
	v_and_b32_e32 v19, 0x80000000, v19
	v_lshl_add_u32 v6, v6, 23, v20
	v_or3_b32 v19, v19, v6, v15
.LBB547_675:
	s_or_b64 exec, exec, s[10:11]
.LBB547_676:
	s_or_b64 exec, exec, s[8:9]
.LBB547_677:
	s_or_b64 exec, exec, s[2:3]
	s_movk_i32 s2, 0xff
	v_and_b32_sdwa v15, v9, s2 dst_sel:DWORD dst_unused:UNUSED_PAD src0_sel:WORD_1 src1_sel:DWORD
	v_lshrrev_b32_e32 v6, 16, v9
	v_cmp_ne_u16_e32 vcc, 0, v15
	s_and_saveexec_b64 s[2:3], vcc
	s_cbranch_execz .LBB547_683
; %bb.678:
	s_movk_i32 s7, 0x80
	v_cmp_ne_u16_e32 vcc, s7, v15
	v_bfrev_b32_e32 v8, 1
	s_and_saveexec_b64 s[8:9], vcc
	s_cbranch_execz .LBB547_682
; %bb.679:
	v_bfe_u32 v15, v9, 16, 7
	s_movk_i32 s7, 0x7f
	v_cmp_ne_u32_e32 vcc, s7, v15
	v_mov_b32_e32 v8, 0x7f800001
	s_and_saveexec_b64 s[10:11], vcc
	s_cbranch_execz .LBB547_681
; %bb.680:
	v_and_b32_e32 v8, 7, v6
	v_ffbh_u32_e32 v20, v8
	v_min_u32_e32 v24, 32, v20
	v_subrev_u32_e32 v20, 28, v24
	v_lshlrev_b64 v[20:21], v20, v[6:7]
	v_lshrrev_b32_e32 v23, 3, v15
	v_sub_u32_e32 v6, 29, v24
	v_and_b32_e32 v20, 7, v20
	v_cmp_gt_u32_e32 vcc, 8, v15
	v_mov_b32_e32 v15, 24
	v_cndmask_b32_e32 v6, v23, v6, vcc
	v_cndmask_b32_e32 v8, v8, v20, vcc
	v_lshlrev_b32_sdwa v15, v15, v9 dst_sel:DWORD dst_unused:UNUSED_PAD src0_sel:DWORD src1_sel:WORD_1
	v_bfrev_b32_e32 v20, 60
	v_lshlrev_b32_e32 v8, 20, v8
	v_and_b32_e32 v15, 0x80000000, v15
	v_lshl_add_u32 v6, v6, 23, v20
	v_or3_b32 v8, v15, v6, v8
.LBB547_681:
	s_or_b64 exec, exec, s[10:11]
.LBB547_682:
	s_or_b64 exec, exec, s[8:9]
.LBB547_683:
	s_or_b64 exec, exec, s[2:3]
	s_mov_b32 s2, 0xffffff
	v_cmp_lt_u32_e32 vcc, s2, v9
	v_mov_b32_e32 v15, 0
	v_mov_b32_e32 v20, 0
	s_and_saveexec_b64 s[2:3], vcc
	s_cbranch_execz .LBB547_689
; %bb.684:
	v_lshrrev_b32_e32 v6, 24, v9
	s_movk_i32 s7, 0x80
	v_cmp_ne_u32_e32 vcc, s7, v6
	v_bfrev_b32_e32 v20, 1
	s_and_saveexec_b64 s[8:9], vcc
	s_cbranch_execz .LBB547_688
; %bb.685:
	v_bfe_u32 v9, v9, 24, 7
	s_movk_i32 s7, 0x7f
	v_cmp_ne_u32_e32 vcc, s7, v9
	v_mov_b32_e32 v20, 0x7f800001
	s_and_saveexec_b64 s[10:11], vcc
	s_cbranch_execz .LBB547_687
; %bb.686:
	v_and_b32_e32 v23, 7, v6
	v_ffbh_u32_e32 v20, v23
	v_min_u32_e32 v25, 32, v20
	v_subrev_u32_e32 v20, 28, v25
	v_lshlrev_b64 v[20:21], v20, v[6:7]
	v_lshrrev_b32_e32 v24, 3, v9
	v_sub_u32_e32 v21, 29, v25
	v_and_b32_e32 v20, 7, v20
	v_cmp_gt_u32_e32 vcc, 8, v9
	v_cndmask_b32_e32 v9, v24, v21, vcc
	v_cndmask_b32_e32 v20, v23, v20, vcc
	v_lshlrev_b32_e32 v6, 24, v6
	v_bfrev_b32_e32 v21, 60
	v_lshlrev_b32_e32 v20, 20, v20
	v_and_b32_e32 v6, 0x80000000, v6
	v_lshl_add_u32 v9, v9, 23, v21
	v_or3_b32 v20, v6, v9, v20
.LBB547_687:
	s_or_b64 exec, exec, s[10:11]
.LBB547_688:
	s_or_b64 exec, exec, s[8:9]
.LBB547_689:
	s_or_b64 exec, exec, s[2:3]
	v_cvt_pkrtz_f16_f32 v6, v14, v16
	v_cvt_pkrtz_f16_f32 v7, v7, v18
	ds_read_b128 v[28:31], v22 offset:4112
	s_waitcnt vmcnt(0)
	v_cmp_ne_u16_sdwa s[8:9], v2, v15 src0_sel:BYTE_0 src1_sel:DWORD
	s_waitcnt lgkmcnt(0)
	v_mfma_f32_16x16x16f16 v[10:13], v[6:7], v[28:29], v[10:13]
	v_cvt_pkrtz_f16_f32 v6, v17, v19
	v_cvt_pkrtz_f16_f32 v7, v8, v20
	s_nop 1
	v_mfma_f32_16x16x16f16 v[6:9], v[6:7], v[30:31], v[10:13]
	s_and_saveexec_b64 s[2:3], s[8:9]
	s_cbranch_execz .LBB547_695
; %bb.690:
	s_movk_i32 s7, 0x80
	v_cmp_ne_u16_sdwa s[10:11], v2, s7 src0_sel:BYTE_0 src1_sel:DWORD
	v_bfrev_b32_e32 v15, 1
	s_and_saveexec_b64 s[8:9], s[10:11]
	s_cbranch_execz .LBB547_694
; %bb.691:
	s_movk_i32 s7, 0x7f
	v_and_b32_e32 v10, 0x7f, v2
	v_cmp_ne_u32_e32 vcc, s7, v10
	v_mov_b32_e32 v15, 0x7f800001
	s_and_saveexec_b64 s[10:11], vcc
	s_cbranch_execz .LBB547_693
; %bb.692:
	v_and_b32_e32 v11, 7, v2
	v_ffbh_u32_e32 v12, v11
	v_min_u32_e32 v15, 32, v12
	v_subrev_u32_e32 v12, 28, v15
	v_lshlrev_b64 v[12:13], v12, v[2:3]
	v_lshrrev_b32_e32 v14, 3, v10
	v_sub_u32_e32 v13, 29, v15
	v_and_b32_e32 v12, 7, v12
	v_cmp_gt_u32_e32 vcc, 8, v10
	v_cndmask_b32_e32 v10, v14, v13, vcc
	v_cndmask_b32_e32 v11, v11, v12, vcc
	v_lshlrev_b32_e32 v12, 24, v2
	v_bfrev_b32_e32 v13, 60
	v_lshlrev_b32_e32 v11, 20, v11
	v_and_b32_e32 v12, 0x80000000, v12
	v_lshl_add_u32 v10, v10, 23, v13
	v_or3_b32 v15, v12, v10, v11
.LBB547_693:
	s_or_b64 exec, exec, s[10:11]
.LBB547_694:
	s_or_b64 exec, exec, s[8:9]
.LBB547_695:
	s_or_b64 exec, exec, s[2:3]
	s_nop 3
	v_lshrrev_b16_e32 v10, 8, v2
	v_cmp_ne_u16_e32 vcc, 0, v10
	v_mov_b32_e32 v11, 0
	v_mov_b32_e32 v12, 0
	s_and_saveexec_b64 s[2:3], vcc
	s_cbranch_execz .LBB547_701
; %bb.696:
	s_movk_i32 s7, 0x80
	v_cmp_ne_u16_e32 vcc, s7, v10
	v_bfrev_b32_e32 v12, 1
	s_and_saveexec_b64 s[8:9], vcc
	s_cbranch_execz .LBB547_700
; %bb.697:
	s_movk_i32 s7, 0x7f
	v_and_b32_e32 v13, 0x7f, v10
	v_cmp_ne_u32_e32 vcc, s7, v13
	v_mov_b32_e32 v12, 0x7f800001
	s_and_saveexec_b64 s[10:11], vcc
	s_cbranch_execz .LBB547_699
; %bb.698:
	v_and_b32_e32 v12, 7, v10
	v_ffbh_u32_e32 v16, v12
	v_min_u32_e32 v18, 32, v16
	v_subrev_u32_e32 v16, 28, v18
	v_lshlrev_b64 v[16:17], v16, v[10:11]
	v_lshrrev_b32_e32 v14, 3, v13
	v_sub_u32_e32 v10, 29, v18
	v_and_b32_e32 v16, 7, v16
	v_cmp_gt_u32_e32 vcc, 8, v13
	v_cndmask_b32_e32 v10, v14, v10, vcc
	v_cndmask_b32_e32 v12, v12, v16, vcc
	v_lshlrev_b32_e32 v13, 16, v2
	v_bfrev_b32_e32 v14, 60
	v_lshlrev_b32_e32 v12, 20, v12
	v_and_b32_e32 v13, 0x80000000, v13
	v_lshl_add_u32 v10, v10, 23, v14
	v_or3_b32 v12, v13, v10, v12
.LBB547_699:
	s_or_b64 exec, exec, s[10:11]
.LBB547_700:
	s_or_b64 exec, exec, s[8:9]
.LBB547_701:
	s_or_b64 exec, exec, s[2:3]
	s_movk_i32 s2, 0xff
	v_and_b32_sdwa v13, v2, s2 dst_sel:DWORD dst_unused:UNUSED_PAD src0_sel:WORD_1 src1_sel:DWORD
	v_lshrrev_b32_e32 v10, 16, v2
	v_cmp_ne_u16_e32 vcc, 0, v13
	s_and_saveexec_b64 s[2:3], vcc
	s_cbranch_execz .LBB547_707
; %bb.702:
	s_movk_i32 s7, 0x80
	v_cmp_ne_u16_e32 vcc, s7, v13
	v_bfrev_b32_e32 v11, 1
	s_and_saveexec_b64 s[8:9], vcc
	s_cbranch_execz .LBB547_706
; %bb.703:
	v_bfe_u32 v13, v2, 16, 7
	s_movk_i32 s7, 0x7f
	v_cmp_ne_u32_e32 vcc, s7, v13
	v_mov_b32_e32 v11, 0x7f800001
	s_and_saveexec_b64 s[10:11], vcc
	s_cbranch_execz .LBB547_705
; %bb.704:
	v_and_b32_e32 v14, 7, v10
	v_ffbh_u32_e32 v11, v14
	v_min_u32_e32 v17, 32, v11
	v_subrev_u32_e32 v11, 28, v17
	v_lshlrev_b64 v[10:11], v11, v[10:11]
	v_lshrrev_b32_e32 v16, 3, v13
	v_sub_u32_e32 v11, 29, v17
	v_and_b32_e32 v10, 7, v10
	v_cmp_gt_u32_e32 vcc, 8, v13
	v_mov_b32_e32 v13, 24
	v_cndmask_b32_e32 v11, v16, v11, vcc
	v_cndmask_b32_e32 v10, v14, v10, vcc
	v_lshlrev_b32_sdwa v13, v13, v2 dst_sel:DWORD dst_unused:UNUSED_PAD src0_sel:DWORD src1_sel:WORD_1
	v_bfrev_b32_e32 v14, 60
	v_lshlrev_b32_e32 v10, 20, v10
	v_and_b32_e32 v13, 0x80000000, v13
	v_lshl_add_u32 v11, v11, 23, v14
	v_or3_b32 v11, v13, v11, v10
.LBB547_705:
	s_or_b64 exec, exec, s[10:11]
.LBB547_706:
	s_or_b64 exec, exec, s[8:9]
.LBB547_707:
	s_or_b64 exec, exec, s[2:3]
	s_mov_b32 s2, 0xffffff
	v_cmp_lt_u32_e32 vcc, s2, v2
	v_mov_b32_e32 v13, 0
	v_mov_b32_e32 v14, 0
	s_and_saveexec_b64 s[2:3], vcc
	s_cbranch_execz .LBB547_713
; %bb.708:
	v_lshrrev_b32_e32 v10, 24, v2
	s_movk_i32 s7, 0x80
	v_cmp_ne_u32_e32 vcc, s7, v10
	v_bfrev_b32_e32 v14, 1
	s_and_saveexec_b64 s[8:9], vcc
	s_cbranch_execz .LBB547_712
; %bb.709:
	v_bfe_u32 v2, v2, 24, 7
	s_movk_i32 s7, 0x7f
	v_cmp_ne_u32_e32 vcc, s7, v2
	v_mov_b32_e32 v14, 0x7f800001
	s_and_saveexec_b64 s[10:11], vcc
	s_cbranch_execz .LBB547_711
; %bb.710:
	v_and_b32_e32 v14, 7, v10
	v_ffbh_u32_e32 v16, v14
	v_min_u32_e32 v19, 32, v16
	v_subrev_u32_e32 v16, 28, v19
	v_lshlrev_b64 v[16:17], v16, v[10:11]
	v_lshrrev_b32_e32 v18, 3, v2
	v_sub_u32_e32 v17, 29, v19
	v_and_b32_e32 v16, 7, v16
	v_cmp_gt_u32_e32 vcc, 8, v2
	v_cndmask_b32_e32 v2, v18, v17, vcc
	v_cndmask_b32_e32 v14, v14, v16, vcc
	v_lshlrev_b32_e32 v10, 24, v10
	v_bfrev_b32_e32 v16, 60
	v_lshlrev_b32_e32 v14, 20, v14
	v_and_b32_e32 v10, 0x80000000, v10
	v_lshl_add_u32 v2, v2, 23, v16
	v_or3_b32 v14, v10, v2, v14
.LBB547_711:
	s_or_b64 exec, exec, s[10:11]
.LBB547_712:
	s_or_b64 exec, exec, s[8:9]
.LBB547_713:
	s_or_b64 exec, exec, s[2:3]
	v_cmp_ne_u16_sdwa s[8:9], v3, v13 src0_sel:BYTE_0 src1_sel:DWORD
	s_and_saveexec_b64 s[2:3], s[8:9]
	s_cbranch_execz .LBB547_719
; %bb.714:
	s_movk_i32 s7, 0x80
	v_cmp_ne_u16_sdwa s[10:11], v3, s7 src0_sel:BYTE_0 src1_sel:DWORD
	v_bfrev_b32_e32 v13, 1
	s_and_saveexec_b64 s[8:9], s[10:11]
	s_cbranch_execz .LBB547_718
; %bb.715:
	s_movk_i32 s7, 0x7f
	v_and_b32_e32 v2, 0x7f, v3
	v_cmp_ne_u32_e32 vcc, s7, v2
	v_mov_b32_e32 v13, 0x7f800001
	s_and_saveexec_b64 s[10:11], vcc
	s_cbranch_execz .LBB547_717
; %bb.716:
	v_and_b32_e32 v13, 7, v3
	v_ffbh_u32_e32 v16, v13
	v_min_u32_e32 v19, 32, v16
	v_mov_b32_e32 v10, v3
	v_subrev_u32_e32 v16, 28, v19
	v_lshlrev_b64 v[16:17], v16, v[10:11]
	v_lshrrev_b32_e32 v18, 3, v2
	v_sub_u32_e32 v10, 29, v19
	v_and_b32_e32 v16, 7, v16
	v_cmp_gt_u32_e32 vcc, 8, v2
	v_cndmask_b32_e32 v2, v18, v10, vcc
	v_cndmask_b32_e32 v10, v13, v16, vcc
	v_lshlrev_b32_e32 v13, 24, v3
	v_bfrev_b32_e32 v16, 60
	v_lshlrev_b32_e32 v10, 20, v10
	v_and_b32_e32 v13, 0x80000000, v13
	v_lshl_add_u32 v2, v2, 23, v16
	v_or3_b32 v13, v13, v2, v10
.LBB547_717:
	s_or_b64 exec, exec, s[10:11]
.LBB547_718:
	s_or_b64 exec, exec, s[8:9]
.LBB547_719:
	s_or_b64 exec, exec, s[2:3]
	v_lshrrev_b16_e32 v2, 8, v3
	v_cmp_ne_u16_e32 vcc, 0, v2
	v_mov_b32_e32 v16, 0
	v_mov_b32_e32 v17, 0
	s_and_saveexec_b64 s[2:3], vcc
	s_cbranch_execz .LBB547_725
; %bb.720:
	s_movk_i32 s7, 0x80
	v_cmp_ne_u16_e32 vcc, s7, v2
	v_bfrev_b32_e32 v17, 1
	s_and_saveexec_b64 s[8:9], vcc
	s_cbranch_execz .LBB547_724
; %bb.721:
	s_movk_i32 s7, 0x7f
	v_and_b32_e32 v10, 0x7f, v2
	v_cmp_ne_u32_e32 vcc, s7, v10
	v_mov_b32_e32 v17, 0x7f800001
	s_and_saveexec_b64 s[10:11], vcc
	s_cbranch_execz .LBB547_723
; %bb.722:
	v_and_b32_e32 v17, 7, v2
	v_ffbh_u32_e32 v18, v17
	v_min_u32_e32 v21, 32, v18
	v_subrev_u32_e32 v18, 28, v21
	v_lshlrev_b64 v[18:19], v18, v[2:3]
	v_lshrrev_b32_e32 v20, 3, v10
	v_sub_u32_e32 v2, 29, v21
	v_and_b32_e32 v18, 7, v18
	v_cmp_gt_u32_e32 vcc, 8, v10
	v_cndmask_b32_e32 v2, v20, v2, vcc
	v_cndmask_b32_e32 v10, v17, v18, vcc
	v_lshlrev_b32_e32 v17, 16, v3
	v_bfrev_b32_e32 v18, 60
	v_lshlrev_b32_e32 v10, 20, v10
	v_and_b32_e32 v17, 0x80000000, v17
	v_lshl_add_u32 v2, v2, 23, v18
	v_or3_b32 v17, v17, v2, v10
.LBB547_723:
	s_or_b64 exec, exec, s[10:11]
.LBB547_724:
	s_or_b64 exec, exec, s[8:9]
.LBB547_725:
	s_or_b64 exec, exec, s[2:3]
	s_movk_i32 s2, 0xff
	v_and_b32_sdwa v10, v3, s2 dst_sel:DWORD dst_unused:UNUSED_PAD src0_sel:WORD_1 src1_sel:DWORD
	v_lshrrev_b32_e32 v2, 16, v3
	v_cmp_ne_u16_e32 vcc, 0, v10
	s_and_saveexec_b64 s[2:3], vcc
	s_cbranch_execz .LBB547_731
; %bb.726:
	s_movk_i32 s7, 0x80
	v_cmp_ne_u16_e32 vcc, s7, v10
	v_bfrev_b32_e32 v16, 1
	s_and_saveexec_b64 s[8:9], vcc
	s_cbranch_execz .LBB547_730
; %bb.727:
	v_bfe_u32 v10, v3, 16, 7
	s_movk_i32 s7, 0x7f
	v_cmp_ne_u32_e32 vcc, s7, v10
	v_mov_b32_e32 v16, 0x7f800001
	s_and_saveexec_b64 s[10:11], vcc
	s_cbranch_execz .LBB547_729
; %bb.728:
	v_and_b32_e32 v16, 7, v2
	v_ffbh_u32_e32 v18, v16
	v_min_u32_e32 v21, 32, v18
	v_subrev_u32_e32 v18, 28, v21
	v_lshlrev_b64 v[18:19], v18, v[2:3]
	v_and_b32_e32 v18, 7, v18
	v_cmp_gt_u32_e32 vcc, 8, v10
	v_lshrrev_b32_e32 v20, 3, v10
	v_sub_u32_e32 v2, 29, v21
	v_cndmask_b32_e32 v10, v16, v18, vcc
	v_mov_b32_e32 v16, 24
	v_cndmask_b32_e32 v2, v20, v2, vcc
	v_lshlrev_b32_sdwa v16, v16, v3 dst_sel:DWORD dst_unused:UNUSED_PAD src0_sel:DWORD src1_sel:WORD_1
	v_bfrev_b32_e32 v18, 60
	v_lshlrev_b32_e32 v10, 20, v10
	v_and_b32_e32 v16, 0x80000000, v16
	v_lshl_add_u32 v2, v2, 23, v18
	v_or3_b32 v16, v16, v2, v10
.LBB547_729:
	s_or_b64 exec, exec, s[10:11]
.LBB547_730:
	s_or_b64 exec, exec, s[8:9]
.LBB547_731:
	s_or_b64 exec, exec, s[2:3]
	s_mov_b32 s2, 0xffffff
	v_cmp_lt_u32_e32 vcc, s2, v3
	v_mov_b32_e32 v10, 0
	v_mov_b32_e32 v18, 0
	s_and_saveexec_b64 s[2:3], vcc
	s_cbranch_execz .LBB547_737
; %bb.732:
	v_lshrrev_b32_e32 v2, 24, v3
	s_movk_i32 s7, 0x80
	v_cmp_ne_u32_e32 vcc, s7, v2
	v_bfrev_b32_e32 v18, 1
	s_and_saveexec_b64 s[8:9], vcc
	s_cbranch_execz .LBB547_736
; %bb.733:
	v_bfe_u32 v3, v3, 24, 7
	s_movk_i32 s7, 0x7f
	v_cmp_ne_u32_e32 vcc, s7, v3
	v_mov_b32_e32 v18, 0x7f800001
	s_and_saveexec_b64 s[10:11], vcc
	s_cbranch_execz .LBB547_735
; %bb.734:
	v_and_b32_e32 v20, 7, v2
	v_ffbh_u32_e32 v18, v20
	v_min_u32_e32 v23, 32, v18
	v_subrev_u32_e32 v18, 28, v23
	v_lshlrev_b64 v[18:19], v18, v[2:3]
	v_lshrrev_b32_e32 v21, 3, v3
	v_sub_u32_e32 v19, 29, v23
	v_and_b32_e32 v18, 7, v18
	v_cmp_gt_u32_e32 vcc, 8, v3
	v_cndmask_b32_e32 v3, v21, v19, vcc
	v_cndmask_b32_e32 v18, v20, v18, vcc
	v_lshlrev_b32_e32 v2, 24, v2
	v_bfrev_b32_e32 v19, 60
	v_lshlrev_b32_e32 v18, 20, v18
	v_and_b32_e32 v2, 0x80000000, v2
	v_lshl_add_u32 v3, v3, 23, v19
	v_or3_b32 v18, v2, v3, v18
.LBB547_735:
	s_or_b64 exec, exec, s[10:11]
.LBB547_736:
	s_or_b64 exec, exec, s[8:9]
.LBB547_737:
	s_or_b64 exec, exec, s[2:3]
	v_cvt_pkrtz_f16_f32 v2, v15, v12
	v_cvt_pkrtz_f16_f32 v3, v11, v14
	ds_read_b128 v[28:31], v22 offset:6144
	v_cmp_ne_u16_sdwa s[8:9], v4, v10 src0_sel:BYTE_0 src1_sel:DWORD
	s_waitcnt lgkmcnt(0)
	v_mfma_f32_16x16x16f16 v[6:9], v[2:3], v[28:29], v[6:9]
	v_cvt_pkrtz_f16_f32 v2, v13, v17
	v_cvt_pkrtz_f16_f32 v3, v16, v18
	s_nop 1
	v_mfma_f32_16x16x16f16 v[6:9], v[2:3], v[30:31], v[6:9]
	s_and_saveexec_b64 s[2:3], s[8:9]
	s_cbranch_execz .LBB547_743
; %bb.738:
	s_movk_i32 s7, 0x80
	v_cmp_ne_u16_sdwa s[10:11], v4, s7 src0_sel:BYTE_0 src1_sel:DWORD
	v_bfrev_b32_e32 v10, 1
	s_and_saveexec_b64 s[8:9], s[10:11]
	s_cbranch_execz .LBB547_742
; %bb.739:
	s_movk_i32 s7, 0x7f
	v_and_b32_e32 v2, 0x7f, v4
	v_cmp_ne_u32_e32 vcc, s7, v2
	v_mov_b32_e32 v10, 0x7f800001
	s_and_saveexec_b64 s[10:11], vcc
	s_cbranch_execz .LBB547_741
; %bb.740:
	v_and_b32_e32 v3, 7, v4
	v_ffbh_u32_e32 v10, v3
	v_min_u32_e32 v13, 32, v10
	v_subrev_u32_e32 v10, 28, v13
	v_lshlrev_b64 v[10:11], v10, v[4:5]
	v_lshrrev_b32_e32 v12, 3, v2
	v_sub_u32_e32 v11, 29, v13
	v_and_b32_e32 v10, 7, v10
	v_cmp_gt_u32_e32 vcc, 8, v2
	v_cndmask_b32_e32 v2, v12, v11, vcc
	v_cndmask_b32_e32 v3, v3, v10, vcc
	v_lshlrev_b32_e32 v10, 24, v4
	v_bfrev_b32_e32 v11, 60
	v_lshlrev_b32_e32 v3, 20, v3
	v_and_b32_e32 v10, 0x80000000, v10
	v_lshl_add_u32 v2, v2, 23, v11
	v_or3_b32 v10, v10, v2, v3
.LBB547_741:
	s_or_b64 exec, exec, s[10:11]
.LBB547_742:
	s_or_b64 exec, exec, s[8:9]
.LBB547_743:
	s_or_b64 exec, exec, s[2:3]
	v_lshrrev_b16_e32 v2, 8, v4
	v_cmp_ne_u16_e32 vcc, 0, v2
	v_mov_b32_e32 v3, 0
	v_mov_b32_e32 v11, 0
	s_and_saveexec_b64 s[2:3], vcc
	s_cbranch_execz .LBB547_749
; %bb.744:
	s_movk_i32 s7, 0x80
	v_cmp_ne_u16_e32 vcc, s7, v2
	v_bfrev_b32_e32 v11, 1
	s_and_saveexec_b64 s[8:9], vcc
	s_cbranch_execz .LBB547_748
; %bb.745:
	s_movk_i32 s7, 0x7f
	v_and_b32_e32 v12, 0x7f, v2
	v_cmp_ne_u32_e32 vcc, s7, v12
	v_mov_b32_e32 v11, 0x7f800001
	s_and_saveexec_b64 s[10:11], vcc
	s_cbranch_execz .LBB547_747
; %bb.746:
	v_and_b32_e32 v11, 7, v2
	v_ffbh_u32_e32 v14, v11
	v_min_u32_e32 v16, 32, v14
	v_subrev_u32_e32 v14, 28, v16
	v_lshlrev_b64 v[14:15], v14, v[2:3]
	v_lshrrev_b32_e32 v13, 3, v12
	v_sub_u32_e32 v2, 29, v16
	v_and_b32_e32 v14, 7, v14
	v_cmp_gt_u32_e32 vcc, 8, v12
	v_cndmask_b32_e32 v2, v13, v2, vcc
	v_cndmask_b32_e32 v11, v11, v14, vcc
	v_lshlrev_b32_e32 v12, 16, v4
	v_bfrev_b32_e32 v13, 60
	v_lshlrev_b32_e32 v11, 20, v11
	v_and_b32_e32 v12, 0x80000000, v12
	v_lshl_add_u32 v2, v2, 23, v13
	v_or3_b32 v11, v12, v2, v11
.LBB547_747:
	s_or_b64 exec, exec, s[10:11]
.LBB547_748:
	s_or_b64 exec, exec, s[8:9]
.LBB547_749:
	s_or_b64 exec, exec, s[2:3]
	s_movk_i32 s2, 0xff
	v_and_b32_sdwa v12, v4, s2 dst_sel:DWORD dst_unused:UNUSED_PAD src0_sel:WORD_1 src1_sel:DWORD
	v_lshrrev_b32_e32 v2, 16, v4
	v_cmp_ne_u16_e32 vcc, 0, v12
	s_and_saveexec_b64 s[2:3], vcc
	s_cbranch_execz .LBB547_755
; %bb.750:
	s_movk_i32 s7, 0x80
	v_cmp_ne_u16_e32 vcc, s7, v12
	v_bfrev_b32_e32 v3, 1
	s_and_saveexec_b64 s[8:9], vcc
	s_cbranch_execz .LBB547_754
; %bb.751:
	v_bfe_u32 v12, v4, 16, 7
	s_movk_i32 s7, 0x7f
	v_cmp_ne_u32_e32 vcc, s7, v12
	v_mov_b32_e32 v3, 0x7f800001
	s_and_saveexec_b64 s[10:11], vcc
	s_cbranch_execz .LBB547_753
; %bb.752:
	v_and_b32_e32 v13, 7, v2
	v_ffbh_u32_e32 v3, v13
	v_min_u32_e32 v15, 32, v3
	v_subrev_u32_e32 v3, 28, v15
	v_lshlrev_b64 v[2:3], v3, v[2:3]
	v_lshrrev_b32_e32 v14, 3, v12
	v_sub_u32_e32 v3, 29, v15
	v_and_b32_e32 v2, 7, v2
	v_cmp_gt_u32_e32 vcc, 8, v12
	v_mov_b32_e32 v12, 24
	v_cndmask_b32_e32 v3, v14, v3, vcc
	v_cndmask_b32_e32 v2, v13, v2, vcc
	v_lshlrev_b32_sdwa v12, v12, v4 dst_sel:DWORD dst_unused:UNUSED_PAD src0_sel:DWORD src1_sel:WORD_1
	v_bfrev_b32_e32 v13, 60
	v_lshlrev_b32_e32 v2, 20, v2
	v_and_b32_e32 v12, 0x80000000, v12
	v_lshl_add_u32 v3, v3, 23, v13
	v_or3_b32 v3, v12, v3, v2
.LBB547_753:
	s_or_b64 exec, exec, s[10:11]
.LBB547_754:
	s_or_b64 exec, exec, s[8:9]
.LBB547_755:
	s_or_b64 exec, exec, s[2:3]
	s_mov_b32 s2, 0xffffff
	v_cmp_lt_u32_e32 vcc, s2, v4
	v_mov_b32_e32 v12, 0
	v_mov_b32_e32 v13, 0
	s_and_saveexec_b64 s[2:3], vcc
	s_cbranch_execz .LBB547_761
; %bb.756:
	v_lshrrev_b32_e32 v2, 24, v4
	s_movk_i32 s7, 0x80
	v_cmp_ne_u32_e32 vcc, s7, v2
	v_bfrev_b32_e32 v13, 1
	s_and_saveexec_b64 s[8:9], vcc
	s_cbranch_execz .LBB547_760
; %bb.757:
	v_bfe_u32 v4, v4, 24, 7
	s_movk_i32 s7, 0x7f
	v_cmp_ne_u32_e32 vcc, s7, v4
	v_mov_b32_e32 v13, 0x7f800001
	s_and_saveexec_b64 s[10:11], vcc
	s_cbranch_execz .LBB547_759
; %bb.758:
	v_and_b32_e32 v13, 7, v2
	v_ffbh_u32_e32 v14, v13
	v_min_u32_e32 v17, 32, v14
	v_subrev_u32_e32 v14, 28, v17
	v_lshlrev_b64 v[14:15], v14, v[2:3]
	v_lshrrev_b32_e32 v16, 3, v4
	v_sub_u32_e32 v15, 29, v17
	v_and_b32_e32 v14, 7, v14
	v_cmp_gt_u32_e32 vcc, 8, v4
	v_cndmask_b32_e32 v4, v16, v15, vcc
	v_cndmask_b32_e32 v13, v13, v14, vcc
	v_lshlrev_b32_e32 v2, 24, v2
	v_bfrev_b32_e32 v14, 60
	v_lshlrev_b32_e32 v13, 20, v13
	v_and_b32_e32 v2, 0x80000000, v2
	v_lshl_add_u32 v4, v4, 23, v14
	v_or3_b32 v13, v2, v4, v13
.LBB547_759:
	s_or_b64 exec, exec, s[10:11]
.LBB547_760:
	s_or_b64 exec, exec, s[8:9]
.LBB547_761:
	s_or_b64 exec, exec, s[2:3]
	v_cmp_ne_u16_sdwa s[8:9], v5, v12 src0_sel:BYTE_0 src1_sel:DWORD
	s_and_saveexec_b64 s[2:3], s[8:9]
	s_cbranch_execz .LBB547_767
; %bb.762:
	s_movk_i32 s7, 0x80
	v_cmp_ne_u16_sdwa s[10:11], v5, s7 src0_sel:BYTE_0 src1_sel:DWORD
	v_bfrev_b32_e32 v12, 1
	s_and_saveexec_b64 s[8:9], s[10:11]
	s_cbranch_execz .LBB547_766
; %bb.763:
	s_movk_i32 s7, 0x7f
	v_and_b32_e32 v2, 0x7f, v5
	v_cmp_ne_u32_e32 vcc, s7, v2
	v_mov_b32_e32 v12, 0x7f800001
	s_and_saveexec_b64 s[10:11], vcc
	s_cbranch_execz .LBB547_765
; %bb.764:
	v_and_b32_e32 v12, 7, v5
	v_ffbh_u32_e32 v14, v12
	v_min_u32_e32 v17, 32, v14
	v_mov_b32_e32 v4, v5
	v_subrev_u32_e32 v14, 28, v17
	v_lshlrev_b64 v[14:15], v14, v[4:5]
	v_lshrrev_b32_e32 v16, 3, v2
	v_sub_u32_e32 v4, 29, v17
	v_and_b32_e32 v14, 7, v14
	v_cmp_gt_u32_e32 vcc, 8, v2
	v_cndmask_b32_e32 v2, v16, v4, vcc
	v_cndmask_b32_e32 v4, v12, v14, vcc
	v_lshlrev_b32_e32 v12, 24, v5
	v_bfrev_b32_e32 v14, 60
	v_lshlrev_b32_e32 v4, 20, v4
	v_and_b32_e32 v12, 0x80000000, v12
	v_lshl_add_u32 v2, v2, 23, v14
	v_or3_b32 v12, v12, v2, v4
.LBB547_765:
	s_or_b64 exec, exec, s[10:11]
.LBB547_766:
	s_or_b64 exec, exec, s[8:9]
.LBB547_767:
	s_or_b64 exec, exec, s[2:3]
	v_lshrrev_b16_e32 v2, 8, v5
	v_cmp_ne_u16_e32 vcc, 0, v2
	v_mov_b32_e32 v4, 0
	v_mov_b32_e32 v14, 0
	s_and_saveexec_b64 s[2:3], vcc
	s_cbranch_execz .LBB547_773
; %bb.768:
	s_movk_i32 s7, 0x80
	v_cmp_ne_u16_e32 vcc, s7, v2
	v_bfrev_b32_e32 v14, 1
	s_and_saveexec_b64 s[8:9], vcc
	s_cbranch_execz .LBB547_772
; %bb.769:
	s_movk_i32 s7, 0x7f
	v_and_b32_e32 v15, 0x7f, v2
	v_cmp_ne_u32_e32 vcc, s7, v15
	v_mov_b32_e32 v14, 0x7f800001
	s_and_saveexec_b64 s[10:11], vcc
	s_cbranch_execz .LBB547_771
; %bb.770:
	v_and_b32_e32 v14, 7, v2
	v_ffbh_u32_e32 v16, v14
	v_min_u32_e32 v19, 32, v16
	v_subrev_u32_e32 v16, 28, v19
	v_lshlrev_b64 v[16:17], v16, v[2:3]
	v_lshrrev_b32_e32 v18, 3, v15
	v_sub_u32_e32 v2, 29, v19
	v_and_b32_e32 v16, 7, v16
	v_cmp_gt_u32_e32 vcc, 8, v15
	v_cndmask_b32_e32 v2, v18, v2, vcc
	v_cndmask_b32_e32 v14, v14, v16, vcc
	v_lshlrev_b32_e32 v15, 16, v5
	v_bfrev_b32_e32 v16, 60
	v_lshlrev_b32_e32 v14, 20, v14
	v_and_b32_e32 v15, 0x80000000, v15
	v_lshl_add_u32 v2, v2, 23, v16
	v_or3_b32 v14, v15, v2, v14
.LBB547_771:
	s_or_b64 exec, exec, s[10:11]
.LBB547_772:
	s_or_b64 exec, exec, s[8:9]
.LBB547_773:
	s_or_b64 exec, exec, s[2:3]
	s_movk_i32 s2, 0xff
	v_and_b32_sdwa v15, v5, s2 dst_sel:DWORD dst_unused:UNUSED_PAD src0_sel:WORD_1 src1_sel:DWORD
	v_lshrrev_b32_e32 v2, 16, v5
	v_cmp_ne_u16_e32 vcc, 0, v15
	s_and_saveexec_b64 s[2:3], vcc
	s_cbranch_execz .LBB547_779
; %bb.774:
	s_movk_i32 s7, 0x80
	v_cmp_ne_u16_e32 vcc, s7, v15
	v_bfrev_b32_e32 v4, 1
	s_and_saveexec_b64 s[8:9], vcc
	s_cbranch_execz .LBB547_778
; %bb.775:
	v_bfe_u32 v15, v5, 16, 7
	s_movk_i32 s7, 0x7f
	v_cmp_ne_u32_e32 vcc, s7, v15
	v_mov_b32_e32 v4, 0x7f800001
	s_and_saveexec_b64 s[10:11], vcc
	s_cbranch_execz .LBB547_777
; %bb.776:
	v_and_b32_e32 v4, 7, v2
	v_ffbh_u32_e32 v16, v4
	v_min_u32_e32 v19, 32, v16
	v_subrev_u32_e32 v16, 28, v19
	v_lshlrev_b64 v[16:17], v16, v[2:3]
	v_lshrrev_b32_e32 v18, 3, v15
	v_sub_u32_e32 v2, 29, v19
	v_and_b32_e32 v16, 7, v16
	v_cmp_gt_u32_e32 vcc, 8, v15
	v_mov_b32_e32 v15, 24
	v_cndmask_b32_e32 v2, v18, v2, vcc
	v_cndmask_b32_e32 v4, v4, v16, vcc
	v_lshlrev_b32_sdwa v15, v15, v5 dst_sel:DWORD dst_unused:UNUSED_PAD src0_sel:DWORD src1_sel:WORD_1
	v_bfrev_b32_e32 v16, 60
	v_lshlrev_b32_e32 v4, 20, v4
	v_and_b32_e32 v15, 0x80000000, v15
	v_lshl_add_u32 v2, v2, 23, v16
	v_or3_b32 v4, v15, v2, v4
.LBB547_777:
	s_or_b64 exec, exec, s[10:11]
.LBB547_778:
	s_or_b64 exec, exec, s[8:9]
.LBB547_779:
	s_or_b64 exec, exec, s[2:3]
	s_mov_b32 s2, 0xffffff
	v_cmp_lt_u32_e32 vcc, s2, v5
	v_mov_b32_e32 v15, 0
	s_and_saveexec_b64 s[2:3], vcc
	s_cbranch_execz .LBB547_785
; %bb.780:
	v_lshrrev_b32_e32 v2, 24, v5
	s_movk_i32 s7, 0x80
	v_cmp_ne_u32_e32 vcc, s7, v2
	v_bfrev_b32_e32 v15, 1
	s_and_saveexec_b64 s[8:9], vcc
	s_cbranch_execz .LBB547_784
; %bb.781:
	v_bfe_u32 v5, v5, 24, 7
	s_movk_i32 s7, 0x7f
	v_cmp_ne_u32_e32 vcc, s7, v5
	v_mov_b32_e32 v15, 0x7f800001
	s_and_saveexec_b64 s[10:11], vcc
	s_cbranch_execz .LBB547_783
; %bb.782:
	v_and_b32_e32 v15, 7, v2
	v_ffbh_u32_e32 v16, v15
	v_min_u32_e32 v19, 32, v16
	v_subrev_u32_e32 v16, 28, v19
	v_lshlrev_b64 v[16:17], v16, v[2:3]
	v_lshrrev_b32_e32 v18, 3, v5
	v_sub_u32_e32 v17, 29, v19
	v_and_b32_e32 v16, 7, v16
	v_cmp_gt_u32_e32 vcc, 8, v5
	v_cndmask_b32_e32 v5, v18, v17, vcc
	v_cndmask_b32_e32 v15, v15, v16, vcc
	v_lshlrev_b32_e32 v2, 24, v2
	v_bfrev_b32_e32 v16, 60
	v_lshlrev_b32_e32 v15, 20, v15
	v_and_b32_e32 v2, 0x80000000, v2
	v_lshl_add_u32 v5, v5, 23, v16
	v_or3_b32 v15, v2, v5, v15
.LBB547_783:
	s_or_b64 exec, exec, s[10:11]
.LBB547_784:
	s_or_b64 exec, exec, s[8:9]
.LBB547_785:
	s_or_b64 exec, exec, s[2:3]
	v_cvt_pkrtz_f16_f32 v2, v10, v11
	v_cvt_pkrtz_f16_f32 v3, v3, v13
	ds_read_b128 v[16:19], v22 offset:6160
	s_load_dword s2, s[42:43], 0x0
	v_cmp_gt_u32_e32 vcc, 64, v0
	s_waitcnt lgkmcnt(0)
	v_mfma_f32_16x16x16f16 v[6:9], v[2:3], v[16:17], v[6:9]
	v_cvt_pkrtz_f16_f32 v2, v12, v14
	v_cvt_pkrtz_f16_f32 v3, v4, v15
	s_and_b64 s[0:1], vcc, s[0:1]
	s_barrier
	v_mfma_f32_16x16x16f16 v[2:5], v[2:3], v[18:19], v[6:9]
	s_nop 7
	s_nop 2
	v_pk_mul_f32 v[4:5], v[4:5], s[2:3] op_sel_hi:[1,0]
	v_pk_mul_f32 v[2:3], v[2:3], s[2:3] op_sel_hi:[1,0]
	v_cvt_f16_f32_e32 v2, v2
	v_cvt_f16_f32_e32 v3, v3
	;; [unrolled: 1-line block ×4, first 2 shown]
	v_pack_b32_f16 v2, v2, v3
	v_pack_b32_f16 v3, v4, v5
	ds_write_b64 v26, v[2:3]
	s_waitcnt lgkmcnt(0)
	s_barrier
	s_and_saveexec_b64 s[2:3], s[0:1]
	s_cbranch_execz .LBB547_788
; %bb.786:
	s_load_dwordx2 s[2:3], s[4:5], 0x68
	s_lshl_b32 s0, s44, 6
	s_mul_i32 s1, s12, s6
	s_mul_hi_u32 s7, s1, s0
	s_mul_i32 s6, s1, s0
	s_lshl_b64 s[6:7], s[6:7], 1
	s_waitcnt lgkmcnt(0)
	s_add_u32 s1, s2, s6
	s_mov_b32 s5, 0
	s_addc_u32 s6, s3, s7
	s_lshl_b32 s4, s24, 6
	v_lshlrev_b32_e32 v0, 10, v0
	s_lshl_b64 s[2:3], s[4:5], 1
	v_and_b32_e32 v2, 0x1800, v0
	v_lshlrev_b32_e32 v3, 5, v1
	v_and_b32_e32 v4, 16, v47
	s_add_u32 s1, s1, s2
	v_or_b32_e32 v0, 4, v1
	v_or3_b32 v2, v2, v3, v4
	s_addc_u32 s2, s6, s3
	v_add_u32_e32 v1, s25, v1
	v_mov_b32_e32 v4, s2
	v_add_co_u32_e32 v3, vcc, s1, v46
	ds_read_b128 v[6:9], v2
	v_mad_u64_u32 v[10:11], s[2:3], v1, s0, 0
	v_addc_co_u32_e32 v4, vcc, 0, v4, vcc
	v_lshlrev_b64 v[10:11], 1, v[10:11]
	v_add_co_u32_e32 v10, vcc, v3, v10
	v_addc_co_u32_e32 v11, vcc, v4, v11, vcc
	v_cmp_gt_u32_e32 vcc, 6, v0
	s_waitcnt lgkmcnt(0)
	global_store_dwordx4 v[10:11], v[6:9], off
	s_and_b64 exec, exec, vcc
	s_cbranch_execz .LBB547_788
; %bb.787:
	ds_read_b128 v[6:9], v2 offset:128
	v_add_u32_e32 v0, s25, v0
	v_mad_u64_u32 v[0:1], s[0:1], v0, s0, 0
	v_lshlrev_b64 v[0:1], 1, v[0:1]
	v_add_co_u32_e32 v0, vcc, v3, v0
	v_addc_co_u32_e32 v1, vcc, v4, v1, vcc
	s_waitcnt lgkmcnt(0)
	global_store_dwordx4 v[0:1], v[6:9], off
.LBB547_788:
	s_endpgm
	.section	.rodata,"a",@progbits
	.p2align	6, 0x0
	.amdhsa_kernel _Z39paged_attention_ll4mi_QKV_mfma16_kernelIDF16_hLN4vllm18Fp8KVCacheDataTypeE1EDF16_Li16ELi64ELi256ELb1ELi6EL8MFMAType0EEvPKT_PKT0_S8_ifPKiSA_SA_iPKfiiiPfSD_PS3_PT2_iSC_SC_
		.amdhsa_group_segment_fixed_size 8192
		.amdhsa_private_segment_fixed_size 0
		.amdhsa_kernarg_size 400
		.amdhsa_user_sgpr_count 6
		.amdhsa_user_sgpr_private_segment_buffer 1
		.amdhsa_user_sgpr_dispatch_ptr 0
		.amdhsa_user_sgpr_queue_ptr 0
		.amdhsa_user_sgpr_kernarg_segment_ptr 1
		.amdhsa_user_sgpr_dispatch_id 0
		.amdhsa_user_sgpr_flat_scratch_init 0
		.amdhsa_user_sgpr_kernarg_preload_length 0
		.amdhsa_user_sgpr_kernarg_preload_offset 0
		.amdhsa_user_sgpr_private_segment_size 0
		.amdhsa_uses_dynamic_stack 0
		.amdhsa_system_sgpr_private_segment_wavefront_offset 0
		.amdhsa_system_sgpr_workgroup_id_x 1
		.amdhsa_system_sgpr_workgroup_id_y 1
		.amdhsa_system_sgpr_workgroup_id_z 1
		.amdhsa_system_sgpr_workgroup_info 0
		.amdhsa_system_vgpr_workitem_id 0
		.amdhsa_next_free_vgpr 62
		.amdhsa_next_free_sgpr 47
		.amdhsa_accum_offset 64
		.amdhsa_reserve_vcc 1
		.amdhsa_reserve_flat_scratch 0
		.amdhsa_float_round_mode_32 0
		.amdhsa_float_round_mode_16_64 0
		.amdhsa_float_denorm_mode_32 3
		.amdhsa_float_denorm_mode_16_64 3
		.amdhsa_dx10_clamp 1
		.amdhsa_ieee_mode 1
		.amdhsa_fp16_overflow 0
		.amdhsa_tg_split 0
		.amdhsa_exception_fp_ieee_invalid_op 0
		.amdhsa_exception_fp_denorm_src 0
		.amdhsa_exception_fp_ieee_div_zero 0
		.amdhsa_exception_fp_ieee_overflow 0
		.amdhsa_exception_fp_ieee_underflow 0
		.amdhsa_exception_fp_ieee_inexact 0
		.amdhsa_exception_int_div_zero 0
	.end_amdhsa_kernel
	.section	.text._Z39paged_attention_ll4mi_QKV_mfma16_kernelIDF16_hLN4vllm18Fp8KVCacheDataTypeE1EDF16_Li16ELi64ELi256ELb1ELi6EL8MFMAType0EEvPKT_PKT0_S8_ifPKiSA_SA_iPKfiiiPfSD_PS3_PT2_iSC_SC_,"axG",@progbits,_Z39paged_attention_ll4mi_QKV_mfma16_kernelIDF16_hLN4vllm18Fp8KVCacheDataTypeE1EDF16_Li16ELi64ELi256ELb1ELi6EL8MFMAType0EEvPKT_PKT0_S8_ifPKiSA_SA_iPKfiiiPfSD_PS3_PT2_iSC_SC_,comdat
.Lfunc_end547:
	.size	_Z39paged_attention_ll4mi_QKV_mfma16_kernelIDF16_hLN4vllm18Fp8KVCacheDataTypeE1EDF16_Li16ELi64ELi256ELb1ELi6EL8MFMAType0EEvPKT_PKT0_S8_ifPKiSA_SA_iPKfiiiPfSD_PS3_PT2_iSC_SC_, .Lfunc_end547-_Z39paged_attention_ll4mi_QKV_mfma16_kernelIDF16_hLN4vllm18Fp8KVCacheDataTypeE1EDF16_Li16ELi64ELi256ELb1ELi6EL8MFMAType0EEvPKT_PKT0_S8_ifPKiSA_SA_iPKfiiiPfSD_PS3_PT2_iSC_SC_
                                        ; -- End function
	.section	.AMDGPU.csdata,"",@progbits
; Kernel info:
; codeLenInByte = 27256
; NumSgprs: 51
; NumVgprs: 62
; NumAgprs: 0
; TotalNumVgprs: 62
; ScratchSize: 0
; MemoryBound: 0
; FloatMode: 240
; IeeeMode: 1
; LDSByteSize: 8192 bytes/workgroup (compile time only)
; SGPRBlocks: 6
; VGPRBlocks: 7
; NumSGPRsForWavesPerEU: 51
; NumVGPRsForWavesPerEU: 62
; AccumOffset: 64
; Occupancy: 8
; WaveLimiterHint : 1
; COMPUTE_PGM_RSRC2:SCRATCH_EN: 0
; COMPUTE_PGM_RSRC2:USER_SGPR: 6
; COMPUTE_PGM_RSRC2:TRAP_HANDLER: 0
; COMPUTE_PGM_RSRC2:TGID_X_EN: 1
; COMPUTE_PGM_RSRC2:TGID_Y_EN: 1
; COMPUTE_PGM_RSRC2:TGID_Z_EN: 1
; COMPUTE_PGM_RSRC2:TIDIG_COMP_CNT: 0
; COMPUTE_PGM_RSRC3_GFX90A:ACCUM_OFFSET: 15
; COMPUTE_PGM_RSRC3_GFX90A:TG_SPLIT: 0
	.section	.text._Z39paged_attention_ll4mi_QKV_mfma16_kernelIDF16_hLN4vllm18Fp8KVCacheDataTypeE1EDF16_Li16ELi64ELi256ELb1ELi7EL8MFMAType0EEvPKT_PKT0_S8_ifPKiSA_SA_iPKfiiiPfSD_PS3_PT2_iSC_SC_,"axG",@progbits,_Z39paged_attention_ll4mi_QKV_mfma16_kernelIDF16_hLN4vllm18Fp8KVCacheDataTypeE1EDF16_Li16ELi64ELi256ELb1ELi7EL8MFMAType0EEvPKT_PKT0_S8_ifPKiSA_SA_iPKfiiiPfSD_PS3_PT2_iSC_SC_,comdat
	.protected	_Z39paged_attention_ll4mi_QKV_mfma16_kernelIDF16_hLN4vllm18Fp8KVCacheDataTypeE1EDF16_Li16ELi64ELi256ELb1ELi7EL8MFMAType0EEvPKT_PKT0_S8_ifPKiSA_SA_iPKfiiiPfSD_PS3_PT2_iSC_SC_ ; -- Begin function _Z39paged_attention_ll4mi_QKV_mfma16_kernelIDF16_hLN4vllm18Fp8KVCacheDataTypeE1EDF16_Li16ELi64ELi256ELb1ELi7EL8MFMAType0EEvPKT_PKT0_S8_ifPKiSA_SA_iPKfiiiPfSD_PS3_PT2_iSC_SC_
	.globl	_Z39paged_attention_ll4mi_QKV_mfma16_kernelIDF16_hLN4vllm18Fp8KVCacheDataTypeE1EDF16_Li16ELi64ELi256ELb1ELi7EL8MFMAType0EEvPKT_PKT0_S8_ifPKiSA_SA_iPKfiiiPfSD_PS3_PT2_iSC_SC_
	.p2align	8
	.type	_Z39paged_attention_ll4mi_QKV_mfma16_kernelIDF16_hLN4vllm18Fp8KVCacheDataTypeE1EDF16_Li16ELi64ELi256ELb1ELi7EL8MFMAType0EEvPKT_PKT0_S8_ifPKiSA_SA_iPKfiiiPfSD_PS3_PT2_iSC_SC_,@function
_Z39paged_attention_ll4mi_QKV_mfma16_kernelIDF16_hLN4vllm18Fp8KVCacheDataTypeE1EDF16_Li16ELi64ELi256ELb1ELi7EL8MFMAType0EEvPKT_PKT0_S8_ifPKiSA_SA_iPKfiiiPfSD_PS3_PT2_iSC_SC_: ; @_Z39paged_attention_ll4mi_QKV_mfma16_kernelIDF16_hLN4vllm18Fp8KVCacheDataTypeE1EDF16_Li16ELi64ELi256ELb1ELi7EL8MFMAType0EEvPKT_PKT0_S8_ifPKiSA_SA_iPKfiiiPfSD_PS3_PT2_iSC_SC_
; %bb.0:
	s_load_dwordx2 s[0:1], s[4:5], 0x30
	s_mov_b32 s24, s7
	s_mov_b64 s[10:11], 0
	s_waitcnt lgkmcnt(0)
	s_cmp_lg_u64 s[0:1], 0
	s_cselect_b64 s[2:3], -1, 0
	s_and_b64 vcc, exec, s[2:3]
	s_cbranch_vccz .LBB548_7
; %bb.1:
	s_add_i32 s12, s6, 1
	s_mov_b32 s13, 0
	s_lshl_b64 s[14:15], s[12:13], 2
	s_add_u32 s14, s0, s14
	s_mov_b32 s7, s13
	s_addc_u32 s15, s1, s15
	s_lshl_b64 s[12:13], s[6:7], 2
	s_add_u32 s12, s0, s12
	s_addc_u32 s13, s1, s13
	s_load_dword s9, s[14:15], 0x0
	s_load_dword s16, s[12:13], 0x0
	s_waitcnt lgkmcnt(0)
	s_sub_i32 s9, s9, s16
	s_cmp_eq_u32 s9, 1
	s_cselect_b64 s[12:13], -1, 0
	s_andn2_b64 vcc, exec, s[10:11]
	s_cbranch_vccnz .LBB548_3
.LBB548_2:
	s_mov_b32 s7, 0
	s_mov_b64 s[12:13], -1
.LBB548_3:
	s_andn2_b64 vcc, exec, s[12:13]
	s_cbranch_vccnz .LBB548_788
; %bb.4:
	s_load_dwordx2 s[12:13], s[4:5], 0x28
	s_lshl_b64 s[10:11], s[6:7], 2
	s_waitcnt lgkmcnt(0)
	s_add_u32 s12, s12, s10
	s_addc_u32 s13, s13, s11
	s_load_dword s33, s[12:13], 0x0
	s_lshl_b32 s18, s24, 8
	s_waitcnt lgkmcnt(0)
	s_cmp_ge_i32 s18, s33
	s_cbranch_scc1 .LBB548_788
; %bb.5:
	s_add_i32 s14, s33, 15
	s_load_dwordx2 s[12:13], s[4:5], 0x20
	s_load_dword s9, s[4:5], 0x38
	s_ashr_i32 s15, s14, 31
	v_and_b32_e32 v1, 0xcf, v0
	s_lshr_b32 s15, s15, 28
	v_add_u32_e32 v1, s18, v1
	s_add_i32 s14, s14, s15
	v_ashrrev_i32_e32 v2, 31, v1
	s_ashr_i32 s21, s14, 4
	v_lshrrev_b32_e32 v4, 28, v2
	s_add_i32 s21, s21, -1
	v_add_u32_e32 v2, v1, v4
	s_waitcnt lgkmcnt(0)
	s_mul_i32 s14, s6, s9
	s_mov_b32 s15, 0
	v_ashrrev_i32_e32 v2, 4, v2
	v_mov_b32_e32 v5, s21
	v_cmp_gt_i32_e32 vcc, s33, v1
	s_lshl_b64 s[14:15], s[14:15], 2
	v_cndmask_b32_e32 v2, v5, v2, vcc
	s_add_u32 s19, s12, s14
	v_ashrrev_i32_e32 v3, 31, v2
	s_addc_u32 s20, s13, s15
	v_lshlrev_b64 v[2:3], 2, v[2:3]
	v_mov_b32_e32 v7, s20
	v_add_co_u32_e32 v6, vcc, s19, v2
	v_or_b32_e32 v2, 16, v1
	v_addc_co_u32_e32 v7, vcc, v7, v3, vcc
	v_add_u32_e32 v3, v2, v4
	v_ashrrev_i32_e32 v3, 4, v3
	v_cmp_gt_i32_e32 vcc, s33, v2
	v_cndmask_b32_e32 v2, v5, v3, vcc
	v_ashrrev_i32_e32 v3, 31, v2
	v_lshlrev_b64 v[2:3], 2, v[2:3]
	v_mov_b32_e32 v9, s20
	v_add_co_u32_e32 v8, vcc, s19, v2
	v_or_b32_e32 v2, 32, v1
	v_addc_co_u32_e32 v9, vcc, v9, v3, vcc
	v_add_u32_e32 v3, v2, v4
	v_ashrrev_i32_e32 v3, 4, v3
	v_cmp_gt_i32_e32 vcc, s33, v2
	v_cndmask_b32_e32 v2, v5, v3, vcc
	v_ashrrev_i32_e32 v3, 31, v2
	;; [unrolled: 10-line block ×3, first 2 shown]
	v_lshlrev_b64 v[2:3], 2, v[2:3]
	v_mov_b32_e32 v1, s20
	v_add_co_u32_e32 v12, vcc, s19, v2
	v_addc_co_u32_e32 v13, vcc, v1, v3, vcc
	global_load_dword v5, v[6:7], off
	global_load_dword v4, v[8:9], off
	;; [unrolled: 1-line block ×4, first 2 shown]
	s_load_dwordx2 s[16:17], s[4:5], 0x8
	s_andn2_b64 vcc, exec, s[2:3]
	s_cbranch_vccnz .LBB548_8
; %bb.6:
	s_add_u32 s0, s0, s10
	s_addc_u32 s1, s1, s11
	s_load_dword s9, s[0:1], 0x0
	s_branch .LBB548_9
.LBB548_7:
	s_mov_b64 s[12:13], 0
	s_branch .LBB548_2
.LBB548_8:
	s_mov_b32 s9, s6
.LBB548_9:
	s_load_dwordx2 s[2:3], s[4:5], 0x10
	s_load_dwordx4 s[12:15], s[4:5], 0x48
	v_lshrrev_b32_e32 v49, 6, v0
	v_bfe_u32 v1, v0, 4, 2
	v_lshl_or_b32 v6, v49, 2, v1
	v_and_b32_e32 v48, 15, v0
	v_lshlrev_b32_e32 v7, 3, v48
	v_cmp_gt_u32_e32 vcc, 7, v6
	v_cmp_gt_u32_e64 s[0:1], 8, v48
	s_mul_i32 s25, s8, 7
	s_and_b64 s[22:23], s[0:1], vcc
	v_lshlrev_b32_e32 v46, 1, v7
	v_lshlrev_b32_e32 v47, 4, v0
	s_and_saveexec_b64 s[10:11], s[22:23]
	s_cbranch_execz .LBB548_11
; %bb.10:
	s_load_dwordx2 s[22:23], s[4:5], 0x0
	s_waitcnt lgkmcnt(0)
	s_ashr_i32 s15, s12, 31
	s_mul_hi_u32 s26, s9, s12
	s_mul_i32 s15, s9, s15
	s_add_i32 s27, s26, s15
	s_mul_i32 s26, s9, s12
	s_lshl_b64 s[26:27], s[26:27], 1
	v_add_lshl_u32 v8, v6, s25, 6
	s_add_u32 s9, s22, s26
	v_ashrrev_i32_e32 v9, 31, v8
	s_addc_u32 s12, s23, s27
	v_lshlrev_b64 v[8:9], 1, v[8:9]
	v_mov_b32_e32 v7, s12
	v_add_co_u32_e32 v8, vcc, s9, v8
	v_addc_co_u32_e32 v7, vcc, v7, v9, vcc
	v_add_co_u32_e32 v8, vcc, v8, v46
	v_addc_co_u32_e32 v9, vcc, 0, v7, vcc
	global_load_dwordx4 v[8:11], v[8:9], off
	v_lshlrev_b32_e32 v12, 8, v48
	v_lshlrev_b32_e32 v6, 5, v6
	v_and_b32_e32 v7, 16, v47
	v_and_b32_e32 v12, 0xe00, v12
	v_or3_b32 v6, v12, v6, v7
	s_waitcnt vmcnt(0)
	ds_write_b128 v6, v[8:11]
.LBB548_11:
	s_or_b64 exec, exec, s[10:11]
	s_waitcnt lgkmcnt(0)
	s_mul_i32 s10, s8, s14
	s_add_u32 s8, s16, s10
	s_addc_u32 s9, s17, 0
	v_and_b32_e32 v7, 0xf0, v47
	v_and_b32_e32 v6, 48, v0
	v_mov_b32_e32 v8, s9
	v_add_co_u32_e32 v7, vcc, s8, v7
	v_addc_co_u32_e32 v9, vcc, 0, v8, vcc
	v_lshlrev_b32_e32 v8, 4, v6
	v_add_co_u32_e32 v8, vcc, v7, v8
	v_addc_co_u32_e32 v9, vcc, 0, v9, vcc
	s_waitcnt vmcnt(3)
	v_mad_i64_i32 v[10:11], s[8:9], v5, s13, v[8:9]
	s_waitcnt vmcnt(2)
	v_mad_i64_i32 v[4:5], s[8:9], v4, s13, v[8:9]
	s_barrier
	global_load_dwordx4 v[34:37], v[10:11], off
	global_load_dwordx4 v[38:41], v[4:5], off
	s_waitcnt vmcnt(3)
	v_mad_i64_i32 v[4:5], s[8:9], v2, s13, v[8:9]
	s_waitcnt vmcnt(2)
	v_mad_i64_i32 v[2:3], s[8:9], v3, s13, v[8:9]
	global_load_dwordx4 v[30:33], v[4:5], off
	global_load_dwordx4 v[22:25], v[2:3], off
	v_mul_lo_u16_e32 v2, 37, v48
	v_mov_b32_e32 v3, 7
	v_mul_lo_u16_sdwa v2, v2, v3 dst_sel:DWORD dst_unused:UNUSED_PAD src0_sel:BYTE_1 src1_sel:DWORD
	v_sub_u16_e32 v2, v48, v2
	v_mov_b32_e32 v3, 5
	v_lshlrev_b32_sdwa v2, v3, v2 dst_sel:DWORD dst_unused:UNUSED_PAD src0_sel:DWORD src1_sel:BYTE_0
	v_lshl_add_u32 v2, v1, 9, v2
	ds_read_b128 v[26:29], v2
	ds_read_b128 v[18:21], v2 offset:16
	v_cmp_gt_u32_e32 vcc, 7, v48
	v_mov_b32_e32 v43, 0
	v_mov_b32_e32 v50, 0
	s_and_saveexec_b64 s[8:9], vcc
	s_cbranch_execz .LBB548_13
; %bb.12:
	s_load_dwordx2 s[14:15], s[4:5], 0x40
	v_add_u32_e32 v2, s25, v48
	v_ashrrev_i32_e32 v3, 31, v2
	v_lshlrev_b64 v[2:3], 2, v[2:3]
	s_waitcnt lgkmcnt(0)
	v_mov_b32_e32 v4, s15
	v_add_co_u32_e32 v2, vcc, s14, v2
	v_addc_co_u32_e32 v3, vcc, v4, v3, vcc
	global_load_dword v50, v[2:3], off
.LBB548_13:
	s_or_b64 exec, exec, s[8:9]
	v_or_b32_e32 v8, s18, v6
	v_ashrrev_i32_e32 v2, 4, v8
	v_mov_b32_e32 v9, s21
	v_cmp_gt_i32_e32 vcc, s33, v8
	v_cndmask_b32_e32 v2, v9, v2, vcc
	v_ashrrev_i32_e32 v3, 31, v2
	v_lshlrev_b64 v[2:3], 2, v[2:3]
	v_mov_b32_e32 v4, s20
	v_add_co_u32_e32 v2, vcc, s19, v2
	v_addc_co_u32_e32 v3, vcc, v4, v3, vcc
	v_or_b32_e32 v4, 64, v8
	v_ashrrev_i32_e32 v5, 4, v4
	v_cmp_gt_i32_e32 vcc, s33, v4
	v_cndmask_b32_e32 v4, v9, v5, vcc
	v_ashrrev_i32_e32 v5, 31, v4
	v_lshlrev_b64 v[4:5], 2, v[4:5]
	v_mov_b32_e32 v6, s20
	v_add_co_u32_e32 v4, vcc, s19, v4
	v_addc_co_u32_e32 v5, vcc, v6, v5, vcc
	v_or_b32_e32 v6, 0x80, v8
	v_ashrrev_i32_e32 v7, 4, v6
	v_cmp_gt_i32_e32 vcc, s33, v6
	v_cndmask_b32_e32 v6, v9, v7, vcc
	v_ashrrev_i32_e32 v7, 31, v6
	v_lshlrev_b64 v[6:7], 2, v[6:7]
	v_mov_b32_e32 v10, s20
	v_add_co_u32_e32 v6, vcc, s19, v6
	v_addc_co_u32_e32 v7, vcc, v10, v7, vcc
	global_load_dword v10, v[2:3], off
	global_load_dword v11, v[4:5], off
	;; [unrolled: 1-line block ×3, first 2 shown]
	v_or_b32_e32 v2, 0xc0, v8
	v_ashrrev_i32_e32 v3, 4, v2
	v_cmp_gt_i32_e32 vcc, s33, v2
	v_cndmask_b32_e32 v2, v9, v3, vcc
	v_ashrrev_i32_e32 v3, 31, v2
	v_lshlrev_b64 v[2:3], 2, v[2:3]
	v_mov_b32_e32 v4, s20
	v_add_co_u32_e32 v2, vcc, s19, v2
	v_addc_co_u32_e32 v3, vcc, v4, v3, vcc
	global_load_dword v13, v[2:3], off
	s_add_u32 s2, s2, s10
	v_lshlrev_b32_e32 v2, 4, v48
	s_addc_u32 s3, s3, 0
	v_lshl_or_b32 v2, v49, 8, v2
	v_mov_b32_e32 v3, s3
	v_add_co_u32_e32 v2, vcc, s2, v2
	v_addc_co_u32_e32 v3, vcc, 0, v3, vcc
	s_movk_i32 s8, 0x80
	s_waitcnt vmcnt(7)
	v_cmp_ne_u16_sdwa s[10:11], v34, v43 src0_sel:BYTE_0 src1_sel:DWORD
	s_waitcnt vmcnt(3)
	v_mad_i64_i32 v[4:5], s[2:3], v10, s13, v[2:3]
	s_waitcnt vmcnt(2)
	v_mad_i64_i32 v[6:7], s[2:3], v11, s13, v[2:3]
	;; [unrolled: 2-line block ×4, first 2 shown]
	global_load_dwordx4 v[14:17], v[4:5], off
	global_load_dwordx4 v[10:13], v[6:7], off
                                        ; kill: killed $vgpr6_vgpr7
                                        ; kill: killed $vgpr4_vgpr5
	s_nop 0
	global_load_dwordx4 v[6:9], v[8:9], off
	s_nop 0
	global_load_dwordx4 v[2:5], v[2:3], off
	s_load_dwordx4 s[40:43], s[4:5], 0x80
	s_load_dwordx2 s[44:45], s[4:5], 0x94
                                        ; kill: killed $sgpr40_sgpr41
	s_waitcnt lgkmcnt(0)
	s_load_dword s12, s[40:41], 0x0
	s_and_saveexec_b64 s[2:3], s[10:11]
	s_cbranch_execz .LBB548_19
; %bb.14:
	v_cmp_ne_u16_sdwa s[10:11], v34, s8 src0_sel:BYTE_0 src1_sel:DWORD
	v_bfrev_b32_e32 v43, 1
	s_and_saveexec_b64 s[8:9], s[10:11]
	s_cbranch_execz .LBB548_18
; %bb.15:
	s_movk_i32 s10, 0x7f
	v_and_b32_e32 v42, 0x7f, v34
	v_cmp_ne_u32_e32 vcc, s10, v42
	v_mov_b32_e32 v43, 0x7f800001
	s_and_saveexec_b64 s[10:11], vcc
	s_cbranch_execz .LBB548_17
; %bb.16:
	v_and_b32_e32 v43, 7, v34
	v_ffbh_u32_e32 v44, v43
	v_min_u32_e32 v52, 32, v44
	v_subrev_u32_e32 v44, 28, v52
	v_lshlrev_b64 v[44:45], v44, v[34:35]
	v_lshrrev_b32_e32 v51, 3, v42
	v_sub_u32_e32 v45, 29, v52
	v_and_b32_e32 v44, 7, v44
	v_cmp_gt_u32_e32 vcc, 8, v42
	v_cndmask_b32_e32 v42, v51, v45, vcc
	v_cndmask_b32_e32 v43, v43, v44, vcc
	v_lshlrev_b32_e32 v44, 24, v34
	v_bfrev_b32_e32 v45, 60
	v_lshlrev_b32_e32 v43, 20, v43
	v_and_b32_e32 v44, 0x80000000, v44
	v_lshl_add_u32 v42, v42, 23, v45
	v_or3_b32 v43, v44, v42, v43
.LBB548_17:
	s_or_b64 exec, exec, s[10:11]
.LBB548_18:
	s_or_b64 exec, exec, s[8:9]
.LBB548_19:
	s_or_b64 exec, exec, s[2:3]
	v_lshrrev_b16_e32 v42, 8, v34
	v_cmp_ne_u16_e32 vcc, 0, v42
	v_mov_b32_e32 v44, 0
	v_mov_b32_e32 v45, 0
	s_and_saveexec_b64 s[2:3], vcc
	s_cbranch_execz .LBB548_25
; %bb.20:
	s_movk_i32 s8, 0x80
	v_cmp_ne_u16_sdwa s[10:11], v34, s8 src0_sel:BYTE_1 src1_sel:DWORD
	v_bfrev_b32_e32 v45, 1
	s_and_saveexec_b64 s[8:9], s[10:11]
	s_cbranch_execz .LBB548_24
; %bb.21:
	s_movk_i32 s10, 0x7f
	v_and_b32_e32 v51, 0x7f, v42
	v_cmp_ne_u32_e32 vcc, s10, v51
	v_mov_b32_e32 v45, 0x7f800001
	s_and_saveexec_b64 s[10:11], vcc
	s_cbranch_execz .LBB548_23
; %bb.22:
	v_and_b32_e32 v45, 7, v42
	v_ffbh_u32_e32 v52, v45
	v_min_u32_e32 v55, 32, v52
	v_subrev_u32_e32 v52, 28, v55
	v_lshlrev_b64 v[52:53], v52, v[42:43]
	v_lshrrev_b32_e32 v54, 3, v51
	v_sub_u32_e32 v42, 29, v55
	v_and_b32_e32 v52, 7, v52
	v_cmp_gt_u32_e32 vcc, 8, v51
	v_cndmask_b32_e32 v42, v54, v42, vcc
	v_cndmask_b32_e32 v45, v45, v52, vcc
	v_lshlrev_b32_e32 v51, 16, v34
	v_bfrev_b32_e32 v52, 60
	v_lshlrev_b32_e32 v45, 20, v45
	v_and_b32_e32 v51, 0x80000000, v51
	v_lshl_add_u32 v42, v42, 23, v52
	v_or3_b32 v45, v51, v42, v45
.LBB548_23:
	s_or_b64 exec, exec, s[10:11]
.LBB548_24:
	s_or_b64 exec, exec, s[8:9]
.LBB548_25:
	s_or_b64 exec, exec, s[2:3]
	s_movk_i32 s2, 0xff
	v_and_b32_sdwa v51, v34, s2 dst_sel:DWORD dst_unused:UNUSED_PAD src0_sel:WORD_1 src1_sel:DWORD
	v_lshrrev_b32_e32 v42, 16, v34
	v_cmp_ne_u16_e32 vcc, 0, v51
	s_and_saveexec_b64 s[2:3], vcc
	s_cbranch_execz .LBB548_31
; %bb.26:
	s_movk_i32 s8, 0x80
	v_cmp_ne_u16_e32 vcc, s8, v51
	v_bfrev_b32_e32 v44, 1
	s_and_saveexec_b64 s[8:9], vcc
	s_cbranch_execz .LBB548_30
; %bb.27:
	v_bfe_u32 v51, v34, 16, 7
	s_movk_i32 s10, 0x7f
	v_cmp_ne_u32_e32 vcc, s10, v51
	v_mov_b32_e32 v44, 0x7f800001
	s_and_saveexec_b64 s[10:11], vcc
	s_cbranch_execz .LBB548_29
; %bb.28:
	v_and_b32_e32 v44, 7, v42
	v_ffbh_u32_e32 v52, v44
	v_min_u32_e32 v55, 32, v52
	v_subrev_u32_e32 v52, 28, v55
	v_lshlrev_b64 v[52:53], v52, v[42:43]
	v_lshrrev_b32_e32 v54, 3, v51
	v_sub_u32_e32 v42, 29, v55
	v_and_b32_e32 v52, 7, v52
	v_cmp_gt_u32_e32 vcc, 8, v51
	v_mov_b32_e32 v51, 24
	v_cndmask_b32_e32 v42, v54, v42, vcc
	v_cndmask_b32_e32 v44, v44, v52, vcc
	v_lshlrev_b32_sdwa v51, v51, v34 dst_sel:DWORD dst_unused:UNUSED_PAD src0_sel:DWORD src1_sel:WORD_1
	v_bfrev_b32_e32 v52, 60
	v_lshlrev_b32_e32 v44, 20, v44
	v_and_b32_e32 v51, 0x80000000, v51
	v_lshl_add_u32 v42, v42, 23, v52
	v_or3_b32 v44, v51, v42, v44
.LBB548_29:
	s_or_b64 exec, exec, s[10:11]
.LBB548_30:
	s_or_b64 exec, exec, s[8:9]
.LBB548_31:
	s_or_b64 exec, exec, s[2:3]
	s_mov_b32 s2, 0xffffff
	v_cmp_lt_u32_e32 vcc, s2, v34
	v_mov_b32_e32 v52, 0
	v_mov_b32_e32 v53, 0
	s_and_saveexec_b64 s[2:3], vcc
	s_cbranch_execz .LBB548_37
; %bb.32:
	v_lshrrev_b32_e32 v42, 24, v34
	s_movk_i32 s8, 0x80
	v_cmp_ne_u32_e32 vcc, s8, v42
	v_bfrev_b32_e32 v53, 1
	s_and_saveexec_b64 s[8:9], vcc
	s_cbranch_execz .LBB548_36
; %bb.33:
	v_bfe_u32 v34, v34, 24, 7
	s_movk_i32 s10, 0x7f
	v_cmp_ne_u32_e32 vcc, s10, v34
	v_mov_b32_e32 v53, 0x7f800001
	s_and_saveexec_b64 s[10:11], vcc
	s_cbranch_execz .LBB548_35
; %bb.34:
	v_and_b32_e32 v51, 7, v42
	v_ffbh_u32_e32 v54, v51
	v_min_u32_e32 v56, 32, v54
	v_subrev_u32_e32 v54, 28, v56
	v_lshlrev_b64 v[54:55], v54, v[42:43]
	v_lshrrev_b32_e32 v53, 3, v34
	v_sub_u32_e32 v55, 29, v56
	v_and_b32_e32 v54, 7, v54
	v_cmp_gt_u32_e32 vcc, 8, v34
	v_cndmask_b32_e32 v34, v53, v55, vcc
	v_cndmask_b32_e32 v51, v51, v54, vcc
	v_lshlrev_b32_e32 v42, 24, v42
	v_bfrev_b32_e32 v53, 60
	v_lshlrev_b32_e32 v51, 20, v51
	v_and_b32_e32 v42, 0x80000000, v42
	v_lshl_add_u32 v34, v34, 23, v53
	v_or3_b32 v53, v42, v34, v51
.LBB548_35:
	s_or_b64 exec, exec, s[10:11]
.LBB548_36:
	s_or_b64 exec, exec, s[8:9]
.LBB548_37:
	s_or_b64 exec, exec, s[2:3]
	v_cmp_ne_u16_sdwa s[8:9], v35, v52 src0_sel:BYTE_0 src1_sel:DWORD
	s_and_saveexec_b64 s[2:3], s[8:9]
	s_cbranch_execz .LBB548_43
; %bb.38:
	s_movk_i32 s8, 0x80
	v_cmp_ne_u16_sdwa s[10:11], v35, s8 src0_sel:BYTE_0 src1_sel:DWORD
	v_bfrev_b32_e32 v52, 1
	s_and_saveexec_b64 s[8:9], s[10:11]
	s_cbranch_execz .LBB548_42
; %bb.39:
	s_movk_i32 s10, 0x7f
	v_and_b32_e32 v34, 0x7f, v35
	v_cmp_ne_u32_e32 vcc, s10, v34
	v_mov_b32_e32 v52, 0x7f800001
	s_and_saveexec_b64 s[10:11], vcc
	s_cbranch_execz .LBB548_41
; %bb.40:
	v_and_b32_e32 v51, 7, v35
	v_ffbh_u32_e32 v54, v51
	v_min_u32_e32 v56, 32, v54
	v_mov_b32_e32 v42, v35
	v_subrev_u32_e32 v54, 28, v56
	v_lshlrev_b64 v[54:55], v54, v[42:43]
	v_lshrrev_b32_e32 v52, 3, v34
	v_sub_u32_e32 v42, 29, v56
	v_and_b32_e32 v54, 7, v54
	v_cmp_gt_u32_e32 vcc, 8, v34
	v_cndmask_b32_e32 v34, v52, v42, vcc
	v_cndmask_b32_e32 v42, v51, v54, vcc
	v_lshlrev_b32_e32 v51, 24, v35
	v_bfrev_b32_e32 v52, 60
	v_lshlrev_b32_e32 v42, 20, v42
	v_and_b32_e32 v51, 0x80000000, v51
	v_lshl_add_u32 v34, v34, 23, v52
	v_or3_b32 v52, v51, v34, v42
.LBB548_41:
	s_or_b64 exec, exec, s[10:11]
.LBB548_42:
	s_or_b64 exec, exec, s[8:9]
.LBB548_43:
	s_or_b64 exec, exec, s[2:3]
	v_lshrrev_b16_e32 v34, 8, v35
	v_cmp_ne_u16_e32 vcc, 0, v34
	v_mov_b32_e32 v42, 0
	v_mov_b32_e32 v54, 0
	s_and_saveexec_b64 s[2:3], vcc
	s_cbranch_execz .LBB548_49
; %bb.44:
	s_movk_i32 s8, 0x80
	v_cmp_ne_u16_e32 vcc, s8, v34
	v_bfrev_b32_e32 v54, 1
	s_and_saveexec_b64 s[8:9], vcc
	s_cbranch_execz .LBB548_48
; %bb.45:
	s_movk_i32 s10, 0x7f
	v_and_b32_e32 v51, 0x7f, v34
	v_cmp_ne_u32_e32 vcc, s10, v51
	v_mov_b32_e32 v54, 0x7f800001
	s_and_saveexec_b64 s[10:11], vcc
	s_cbranch_execz .LBB548_47
; %bb.46:
	v_and_b32_e32 v56, 7, v34
	v_ffbh_u32_e32 v54, v56
	v_min_u32_e32 v58, 32, v54
	v_subrev_u32_e32 v54, 28, v58
	v_lshlrev_b64 v[54:55], v54, v[34:35]
	v_lshrrev_b32_e32 v57, 3, v51
	v_sub_u32_e32 v34, 29, v58
	v_and_b32_e32 v54, 7, v54
	v_cmp_gt_u32_e32 vcc, 8, v51
	v_cndmask_b32_e32 v34, v57, v34, vcc
	v_cndmask_b32_e32 v51, v56, v54, vcc
	v_lshlrev_b32_e32 v54, 16, v35
	v_bfrev_b32_e32 v55, 60
	v_lshlrev_b32_e32 v51, 20, v51
	v_and_b32_e32 v54, 0x80000000, v54
	v_lshl_add_u32 v34, v34, 23, v55
	v_or3_b32 v54, v54, v34, v51
.LBB548_47:
	s_or_b64 exec, exec, s[10:11]
.LBB548_48:
	s_or_b64 exec, exec, s[8:9]
.LBB548_49:
	s_or_b64 exec, exec, s[2:3]
	s_movk_i32 s2, 0xff
	v_and_b32_sdwa v51, v35, s2 dst_sel:DWORD dst_unused:UNUSED_PAD src0_sel:WORD_1 src1_sel:DWORD
	v_lshrrev_b32_e32 v34, 16, v35
	v_cmp_ne_u16_e32 vcc, 0, v51
	s_and_saveexec_b64 s[2:3], vcc
	s_cbranch_execz .LBB548_55
; %bb.50:
	s_movk_i32 s8, 0x80
	v_cmp_ne_u16_e32 vcc, s8, v51
	v_bfrev_b32_e32 v42, 1
	s_and_saveexec_b64 s[8:9], vcc
	s_cbranch_execz .LBB548_54
; %bb.51:
	v_bfe_u32 v51, v35, 16, 7
	s_movk_i32 s10, 0x7f
	v_cmp_ne_u32_e32 vcc, s10, v51
	v_mov_b32_e32 v42, 0x7f800001
	s_and_saveexec_b64 s[10:11], vcc
	s_cbranch_execz .LBB548_53
; %bb.52:
	v_and_b32_e32 v42, 7, v34
	v_ffbh_u32_e32 v56, v42
	v_min_u32_e32 v58, 32, v56
	v_subrev_u32_e32 v56, 28, v58
	v_lshlrev_b64 v[56:57], v56, v[34:35]
	v_lshrrev_b32_e32 v55, 3, v51
	v_sub_u32_e32 v34, 29, v58
	v_and_b32_e32 v56, 7, v56
	v_cmp_gt_u32_e32 vcc, 8, v51
	v_mov_b32_e32 v51, 24
	v_cndmask_b32_e32 v34, v55, v34, vcc
	v_cndmask_b32_e32 v42, v42, v56, vcc
	v_lshlrev_b32_sdwa v51, v51, v35 dst_sel:DWORD dst_unused:UNUSED_PAD src0_sel:DWORD src1_sel:WORD_1
	v_bfrev_b32_e32 v55, 60
	v_lshlrev_b32_e32 v42, 20, v42
	v_and_b32_e32 v51, 0x80000000, v51
	v_lshl_add_u32 v34, v34, 23, v55
	v_or3_b32 v42, v51, v34, v42
.LBB548_53:
	s_or_b64 exec, exec, s[10:11]
.LBB548_54:
	s_or_b64 exec, exec, s[8:9]
.LBB548_55:
	s_or_b64 exec, exec, s[2:3]
	s_mov_b32 s2, 0xffffff
	v_cmp_lt_u32_e32 vcc, s2, v35
	v_mov_b32_e32 v51, 0
	v_mov_b32_e32 v55, 0
	s_and_saveexec_b64 s[2:3], vcc
	s_cbranch_execz .LBB548_61
; %bb.56:
	v_lshrrev_b32_e32 v34, 24, v35
	s_movk_i32 s8, 0x80
	v_cmp_ne_u32_e32 vcc, s8, v34
	v_bfrev_b32_e32 v55, 1
	s_and_saveexec_b64 s[8:9], vcc
	s_cbranch_execz .LBB548_60
; %bb.57:
	v_bfe_u32 v35, v35, 24, 7
	s_movk_i32 s10, 0x7f
	v_cmp_ne_u32_e32 vcc, s10, v35
	v_mov_b32_e32 v55, 0x7f800001
	s_and_saveexec_b64 s[10:11], vcc
	s_cbranch_execz .LBB548_59
; %bb.58:
	v_and_b32_e32 v55, 7, v34
	v_ffbh_u32_e32 v56, v55
	v_min_u32_e32 v59, 32, v56
	v_subrev_u32_e32 v56, 28, v59
	v_lshlrev_b64 v[56:57], v56, v[34:35]
	v_lshrrev_b32_e32 v58, 3, v35
	v_sub_u32_e32 v57, 29, v59
	v_and_b32_e32 v56, 7, v56
	v_cmp_gt_u32_e32 vcc, 8, v35
	v_cndmask_b32_e32 v35, v58, v57, vcc
	v_cndmask_b32_e32 v55, v55, v56, vcc
	v_lshlrev_b32_e32 v34, 24, v34
	v_bfrev_b32_e32 v56, 60
	v_lshlrev_b32_e32 v55, 20, v55
	v_and_b32_e32 v34, 0x80000000, v34
	v_lshl_add_u32 v35, v35, 23, v56
	v_or3_b32 v55, v34, v35, v55
.LBB548_59:
	s_or_b64 exec, exec, s[10:11]
.LBB548_60:
	s_or_b64 exec, exec, s[8:9]
.LBB548_61:
	s_or_b64 exec, exec, s[2:3]
	v_cvt_pkrtz_f16_f32 v34, v43, v45
	v_cvt_pkrtz_f16_f32 v35, v44, v53
	v_cmp_ne_u16_sdwa s[8:9], v36, v51 src0_sel:BYTE_0 src1_sel:DWORD
	s_nop 0
	v_mfma_f32_16x16x16f16 v[56:59], v[34:35], v[26:27], 0
	v_cvt_pkrtz_f16_f32 v34, v52, v54
	v_cvt_pkrtz_f16_f32 v35, v42, v55
	s_nop 1
	v_mfma_f32_16x16x16f16 v[42:45], v[34:35], v[28:29], v[56:59]
	s_and_saveexec_b64 s[2:3], s[8:9]
	s_cbranch_execz .LBB548_67
; %bb.62:
	s_movk_i32 s8, 0x80
	v_cmp_ne_u16_sdwa s[10:11], v36, s8 src0_sel:BYTE_0 src1_sel:DWORD
	v_bfrev_b32_e32 v51, 1
	s_and_saveexec_b64 s[8:9], s[10:11]
	s_cbranch_execz .LBB548_66
; %bb.63:
	s_movk_i32 s10, 0x7f
	v_and_b32_e32 v34, 0x7f, v36
	v_cmp_ne_u32_e32 vcc, s10, v34
	v_mov_b32_e32 v51, 0x7f800001
	s_and_saveexec_b64 s[10:11], vcc
	s_cbranch_execz .LBB548_65
; %bb.64:
	v_and_b32_e32 v35, 7, v36
	v_ffbh_u32_e32 v52, v35
	v_min_u32_e32 v54, 32, v52
	v_subrev_u32_e32 v52, 28, v54
	v_lshlrev_b64 v[52:53], v52, v[36:37]
	v_lshrrev_b32_e32 v51, 3, v34
	v_sub_u32_e32 v53, 29, v54
	v_and_b32_e32 v52, 7, v52
	v_cmp_gt_u32_e32 vcc, 8, v34
	v_cndmask_b32_e32 v34, v51, v53, vcc
	v_cndmask_b32_e32 v35, v35, v52, vcc
	v_lshlrev_b32_e32 v51, 24, v36
	v_bfrev_b32_e32 v52, 60
	v_lshlrev_b32_e32 v35, 20, v35
	v_and_b32_e32 v51, 0x80000000, v51
	v_lshl_add_u32 v34, v34, 23, v52
	v_or3_b32 v51, v51, v34, v35
.LBB548_65:
	s_or_b64 exec, exec, s[10:11]
.LBB548_66:
	s_or_b64 exec, exec, s[8:9]
.LBB548_67:
	s_or_b64 exec, exec, s[2:3]
	v_lshrrev_b16_e32 v34, 8, v36
	v_cmp_ne_u16_e32 vcc, 0, v34
	v_mov_b32_e32 v35, 0
	v_mov_b32_e32 v53, 0
	s_and_saveexec_b64 s[2:3], vcc
	s_cbranch_execz .LBB548_73
; %bb.68:
	s_movk_i32 s8, 0x80
	v_cmp_ne_u16_e32 vcc, s8, v34
	v_bfrev_b32_e32 v53, 1
	s_and_saveexec_b64 s[8:9], vcc
	s_cbranch_execz .LBB548_72
; %bb.69:
	s_movk_i32 s10, 0x7f
	v_and_b32_e32 v52, 0x7f, v34
	v_cmp_ne_u32_e32 vcc, s10, v52
	v_mov_b32_e32 v53, 0x7f800001
	s_and_saveexec_b64 s[10:11], vcc
	s_cbranch_execz .LBB548_71
; %bb.70:
	v_and_b32_e32 v53, 7, v34
	v_ffbh_u32_e32 v54, v53
	v_min_u32_e32 v57, 32, v54
	v_subrev_u32_e32 v54, 28, v57
	v_lshlrev_b64 v[54:55], v54, v[34:35]
	v_lshrrev_b32_e32 v56, 3, v52
	v_sub_u32_e32 v34, 29, v57
	v_and_b32_e32 v54, 7, v54
	v_cmp_gt_u32_e32 vcc, 8, v52
	v_cndmask_b32_e32 v34, v56, v34, vcc
	v_cndmask_b32_e32 v52, v53, v54, vcc
	v_lshlrev_b32_e32 v53, 16, v36
	v_bfrev_b32_e32 v54, 60
	v_lshlrev_b32_e32 v52, 20, v52
	v_and_b32_e32 v53, 0x80000000, v53
	v_lshl_add_u32 v34, v34, 23, v54
	v_or3_b32 v53, v53, v34, v52
.LBB548_71:
	s_or_b64 exec, exec, s[10:11]
.LBB548_72:
	s_or_b64 exec, exec, s[8:9]
.LBB548_73:
	s_or_b64 exec, exec, s[2:3]
	s_movk_i32 s2, 0xff
	v_and_b32_sdwa v52, v36, s2 dst_sel:DWORD dst_unused:UNUSED_PAD src0_sel:WORD_1 src1_sel:DWORD
	v_lshrrev_b32_e32 v34, 16, v36
	v_cmp_ne_u16_e32 vcc, 0, v52
	s_and_saveexec_b64 s[2:3], vcc
	s_cbranch_execz .LBB548_79
; %bb.74:
	s_movk_i32 s8, 0x80
	v_cmp_ne_u16_e32 vcc, s8, v52
	v_bfrev_b32_e32 v35, 1
	s_and_saveexec_b64 s[8:9], vcc
	s_cbranch_execz .LBB548_78
; %bb.75:
	v_bfe_u32 v52, v36, 16, 7
	s_movk_i32 s10, 0x7f
	v_cmp_ne_u32_e32 vcc, s10, v52
	v_mov_b32_e32 v35, 0x7f800001
	s_and_saveexec_b64 s[10:11], vcc
	s_cbranch_execz .LBB548_77
; %bb.76:
	v_and_b32_e32 v54, 7, v34
	v_ffbh_u32_e32 v35, v54
	v_min_u32_e32 v56, 32, v35
	v_subrev_u32_e32 v35, 28, v56
	v_lshlrev_b64 v[34:35], v35, v[34:35]
	v_lshrrev_b32_e32 v55, 3, v52
	v_sub_u32_e32 v35, 29, v56
	v_and_b32_e32 v34, 7, v34
	v_cmp_gt_u32_e32 vcc, 8, v52
	v_mov_b32_e32 v52, 24
	v_cndmask_b32_e32 v35, v55, v35, vcc
	v_cndmask_b32_e32 v34, v54, v34, vcc
	v_lshlrev_b32_sdwa v52, v52, v36 dst_sel:DWORD dst_unused:UNUSED_PAD src0_sel:DWORD src1_sel:WORD_1
	v_bfrev_b32_e32 v54, 60
	v_lshlrev_b32_e32 v34, 20, v34
	v_and_b32_e32 v52, 0x80000000, v52
	v_lshl_add_u32 v35, v35, 23, v54
	v_or3_b32 v35, v52, v35, v34
.LBB548_77:
	s_or_b64 exec, exec, s[10:11]
.LBB548_78:
	s_or_b64 exec, exec, s[8:9]
.LBB548_79:
	s_or_b64 exec, exec, s[2:3]
	s_mov_b32 s2, 0xffffff
	v_cmp_lt_u32_e32 vcc, s2, v36
	v_mov_b32_e32 v54, 0
	v_mov_b32_e32 v55, 0
	s_and_saveexec_b64 s[2:3], vcc
	s_cbranch_execz .LBB548_85
; %bb.80:
	v_lshrrev_b32_e32 v34, 24, v36
	s_movk_i32 s8, 0x80
	v_cmp_ne_u32_e32 vcc, s8, v34
	v_bfrev_b32_e32 v55, 1
	s_and_saveexec_b64 s[8:9], vcc
	s_cbranch_execz .LBB548_84
; %bb.81:
	v_bfe_u32 v36, v36, 24, 7
	s_movk_i32 s10, 0x7f
	v_cmp_ne_u32_e32 vcc, s10, v36
	v_mov_b32_e32 v55, 0x7f800001
	s_and_saveexec_b64 s[10:11], vcc
	s_cbranch_execz .LBB548_83
; %bb.82:
	v_and_b32_e32 v52, 7, v34
	v_ffbh_u32_e32 v56, v52
	v_min_u32_e32 v58, 32, v56
	v_subrev_u32_e32 v56, 28, v58
	v_lshlrev_b64 v[56:57], v56, v[34:35]
	v_lshrrev_b32_e32 v55, 3, v36
	v_sub_u32_e32 v57, 29, v58
	v_and_b32_e32 v56, 7, v56
	v_cmp_gt_u32_e32 vcc, 8, v36
	v_cndmask_b32_e32 v36, v55, v57, vcc
	v_cndmask_b32_e32 v52, v52, v56, vcc
	v_lshlrev_b32_e32 v34, 24, v34
	v_bfrev_b32_e32 v55, 60
	v_lshlrev_b32_e32 v52, 20, v52
	v_and_b32_e32 v34, 0x80000000, v34
	v_lshl_add_u32 v36, v36, 23, v55
	v_or3_b32 v55, v34, v36, v52
.LBB548_83:
	s_or_b64 exec, exec, s[10:11]
.LBB548_84:
	s_or_b64 exec, exec, s[8:9]
.LBB548_85:
	s_or_b64 exec, exec, s[2:3]
	v_cmp_ne_u16_sdwa s[8:9], v37, v54 src0_sel:BYTE_0 src1_sel:DWORD
	s_and_saveexec_b64 s[2:3], s[8:9]
	s_cbranch_execz .LBB548_91
; %bb.86:
	s_movk_i32 s8, 0x80
	v_cmp_ne_u16_sdwa s[10:11], v37, s8 src0_sel:BYTE_0 src1_sel:DWORD
	v_bfrev_b32_e32 v54, 1
	s_and_saveexec_b64 s[8:9], s[10:11]
	s_cbranch_execz .LBB548_90
; %bb.87:
	s_movk_i32 s10, 0x7f
	v_and_b32_e32 v34, 0x7f, v37
	v_cmp_ne_u32_e32 vcc, s10, v34
	v_mov_b32_e32 v54, 0x7f800001
	s_and_saveexec_b64 s[10:11], vcc
	s_cbranch_execz .LBB548_89
; %bb.88:
	v_and_b32_e32 v52, 7, v37
	v_ffbh_u32_e32 v56, v52
	v_min_u32_e32 v58, 32, v56
	v_mov_b32_e32 v36, v37
	v_subrev_u32_e32 v56, 28, v58
	v_lshlrev_b64 v[56:57], v56, v[36:37]
	v_lshrrev_b32_e32 v54, 3, v34
	v_sub_u32_e32 v36, 29, v58
	v_and_b32_e32 v56, 7, v56
	v_cmp_gt_u32_e32 vcc, 8, v34
	v_cndmask_b32_e32 v34, v54, v36, vcc
	v_cndmask_b32_e32 v36, v52, v56, vcc
	v_lshlrev_b32_e32 v52, 24, v37
	v_bfrev_b32_e32 v54, 60
	v_lshlrev_b32_e32 v36, 20, v36
	v_and_b32_e32 v52, 0x80000000, v52
	v_lshl_add_u32 v34, v34, 23, v54
	v_or3_b32 v54, v52, v34, v36
.LBB548_89:
	s_or_b64 exec, exec, s[10:11]
.LBB548_90:
	s_or_b64 exec, exec, s[8:9]
.LBB548_91:
	s_or_b64 exec, exec, s[2:3]
	v_lshrrev_b16_e32 v34, 8, v37
	v_cmp_ne_u16_e32 vcc, 0, v34
	v_mov_b32_e32 v36, 0
	v_mov_b32_e32 v56, 0
	s_and_saveexec_b64 s[2:3], vcc
	s_cbranch_execz .LBB548_97
; %bb.92:
	s_movk_i32 s8, 0x80
	v_cmp_ne_u16_e32 vcc, s8, v34
	v_bfrev_b32_e32 v56, 1
	s_and_saveexec_b64 s[8:9], vcc
	s_cbranch_execz .LBB548_96
; %bb.93:
	s_movk_i32 s10, 0x7f
	v_and_b32_e32 v52, 0x7f, v34
	v_cmp_ne_u32_e32 vcc, s10, v52
	v_mov_b32_e32 v56, 0x7f800001
	s_and_saveexec_b64 s[10:11], vcc
	s_cbranch_execz .LBB548_95
; %bb.94:
	v_and_b32_e32 v58, 7, v34
	v_ffbh_u32_e32 v56, v58
	v_min_u32_e32 v60, 32, v56
	v_subrev_u32_e32 v56, 28, v60
	v_lshlrev_b64 v[56:57], v56, v[34:35]
	v_lshrrev_b32_e32 v59, 3, v52
	v_sub_u32_e32 v34, 29, v60
	v_and_b32_e32 v56, 7, v56
	v_cmp_gt_u32_e32 vcc, 8, v52
	v_cndmask_b32_e32 v34, v59, v34, vcc
	v_cndmask_b32_e32 v52, v58, v56, vcc
	v_lshlrev_b32_e32 v56, 16, v37
	v_bfrev_b32_e32 v57, 60
	v_lshlrev_b32_e32 v52, 20, v52
	v_and_b32_e32 v56, 0x80000000, v56
	v_lshl_add_u32 v34, v34, 23, v57
	v_or3_b32 v56, v56, v34, v52
.LBB548_95:
	s_or_b64 exec, exec, s[10:11]
.LBB548_96:
	s_or_b64 exec, exec, s[8:9]
.LBB548_97:
	s_or_b64 exec, exec, s[2:3]
	s_movk_i32 s2, 0xff
	v_and_b32_sdwa v52, v37, s2 dst_sel:DWORD dst_unused:UNUSED_PAD src0_sel:WORD_1 src1_sel:DWORD
	v_lshrrev_b32_e32 v34, 16, v37
	v_cmp_ne_u16_e32 vcc, 0, v52
	s_and_saveexec_b64 s[2:3], vcc
	s_cbranch_execz .LBB548_103
; %bb.98:
	s_movk_i32 s8, 0x80
	v_cmp_ne_u16_e32 vcc, s8, v52
	v_bfrev_b32_e32 v36, 1
	s_and_saveexec_b64 s[8:9], vcc
	s_cbranch_execz .LBB548_102
; %bb.99:
	v_bfe_u32 v52, v37, 16, 7
	s_movk_i32 s10, 0x7f
	v_cmp_ne_u32_e32 vcc, s10, v52
	v_mov_b32_e32 v36, 0x7f800001
	s_and_saveexec_b64 s[10:11], vcc
	s_cbranch_execz .LBB548_101
; %bb.100:
	v_and_b32_e32 v36, 7, v34
	v_ffbh_u32_e32 v58, v36
	v_min_u32_e32 v60, 32, v58
	v_subrev_u32_e32 v58, 28, v60
	v_lshlrev_b64 v[58:59], v58, v[34:35]
	v_lshrrev_b32_e32 v57, 3, v52
	v_sub_u32_e32 v34, 29, v60
	v_and_b32_e32 v58, 7, v58
	v_cmp_gt_u32_e32 vcc, 8, v52
	v_mov_b32_e32 v52, 24
	v_cndmask_b32_e32 v34, v57, v34, vcc
	v_cndmask_b32_e32 v36, v36, v58, vcc
	v_lshlrev_b32_sdwa v52, v52, v37 dst_sel:DWORD dst_unused:UNUSED_PAD src0_sel:DWORD src1_sel:WORD_1
	v_bfrev_b32_e32 v57, 60
	v_lshlrev_b32_e32 v36, 20, v36
	v_and_b32_e32 v52, 0x80000000, v52
	v_lshl_add_u32 v34, v34, 23, v57
	v_or3_b32 v36, v52, v34, v36
.LBB548_101:
	s_or_b64 exec, exec, s[10:11]
.LBB548_102:
	s_or_b64 exec, exec, s[8:9]
.LBB548_103:
	s_or_b64 exec, exec, s[2:3]
	s_mov_b32 s2, 0xffffff
	v_cmp_lt_u32_e32 vcc, s2, v37
	v_mov_b32_e32 v52, 0
	v_mov_b32_e32 v57, 0
	s_and_saveexec_b64 s[2:3], vcc
	s_cbranch_execz .LBB548_109
; %bb.104:
	v_lshrrev_b32_e32 v34, 24, v37
	s_movk_i32 s8, 0x80
	v_cmp_ne_u32_e32 vcc, s8, v34
	v_bfrev_b32_e32 v57, 1
	s_and_saveexec_b64 s[8:9], vcc
	s_cbranch_execz .LBB548_108
; %bb.105:
	v_bfe_u32 v37, v37, 24, 7
	s_movk_i32 s10, 0x7f
	v_cmp_ne_u32_e32 vcc, s10, v37
	v_mov_b32_e32 v57, 0x7f800001
	s_and_saveexec_b64 s[10:11], vcc
	s_cbranch_execz .LBB548_107
; %bb.106:
	v_and_b32_e32 v57, 7, v34
	v_ffbh_u32_e32 v58, v57
	v_min_u32_e32 v61, 32, v58
	v_subrev_u32_e32 v58, 28, v61
	v_lshlrev_b64 v[58:59], v58, v[34:35]
	v_lshrrev_b32_e32 v60, 3, v37
	v_sub_u32_e32 v59, 29, v61
	v_and_b32_e32 v58, 7, v58
	v_cmp_gt_u32_e32 vcc, 8, v37
	v_cndmask_b32_e32 v37, v60, v59, vcc
	v_cndmask_b32_e32 v57, v57, v58, vcc
	v_lshlrev_b32_e32 v34, 24, v34
	v_bfrev_b32_e32 v58, 60
	v_lshlrev_b32_e32 v57, 20, v57
	v_and_b32_e32 v34, 0x80000000, v34
	v_lshl_add_u32 v37, v37, 23, v58
	v_or3_b32 v57, v34, v37, v57
.LBB548_107:
	s_or_b64 exec, exec, s[10:11]
.LBB548_108:
	s_or_b64 exec, exec, s[8:9]
.LBB548_109:
	s_or_b64 exec, exec, s[2:3]
	v_cvt_pkrtz_f16_f32 v34, v51, v53
	v_cvt_pkrtz_f16_f32 v35, v35, v55
	v_cmp_ne_u16_sdwa s[8:9], v38, v52 src0_sel:BYTE_0 src1_sel:DWORD
	s_nop 0
	v_mfma_f32_16x16x16f16 v[42:45], v[34:35], v[18:19], v[42:45]
	v_cvt_pkrtz_f16_f32 v34, v54, v56
	v_cvt_pkrtz_f16_f32 v35, v36, v57
	s_nop 1
	v_mfma_f32_16x16x16f16 v[34:37], v[34:35], v[20:21], v[42:45]
	s_and_saveexec_b64 s[2:3], s[8:9]
	s_cbranch_execz .LBB548_115
; %bb.110:
	s_movk_i32 s8, 0x80
	v_cmp_ne_u16_sdwa s[10:11], v38, s8 src0_sel:BYTE_0 src1_sel:DWORD
	v_bfrev_b32_e32 v52, 1
	s_and_saveexec_b64 s[8:9], s[10:11]
	s_cbranch_execz .LBB548_114
; %bb.111:
	s_movk_i32 s10, 0x7f
	v_and_b32_e32 v42, 0x7f, v38
	v_cmp_ne_u32_e32 vcc, s10, v42
	v_mov_b32_e32 v52, 0x7f800001
	s_and_saveexec_b64 s[10:11], vcc
	s_cbranch_execz .LBB548_113
; %bb.112:
	v_and_b32_e32 v43, 7, v38
	v_ffbh_u32_e32 v44, v43
	v_min_u32_e32 v52, 32, v44
	v_subrev_u32_e32 v44, 28, v52
	v_lshlrev_b64 v[44:45], v44, v[38:39]
	v_lshrrev_b32_e32 v51, 3, v42
	v_sub_u32_e32 v45, 29, v52
	v_and_b32_e32 v44, 7, v44
	v_cmp_gt_u32_e32 vcc, 8, v42
	v_cndmask_b32_e32 v42, v51, v45, vcc
	v_cndmask_b32_e32 v43, v43, v44, vcc
	v_lshlrev_b32_e32 v44, 24, v38
	v_bfrev_b32_e32 v45, 60
	v_lshlrev_b32_e32 v43, 20, v43
	v_and_b32_e32 v44, 0x80000000, v44
	v_lshl_add_u32 v42, v42, 23, v45
	v_or3_b32 v52, v44, v42, v43
.LBB548_113:
	s_or_b64 exec, exec, s[10:11]
.LBB548_114:
	s_or_b64 exec, exec, s[8:9]
.LBB548_115:
	s_or_b64 exec, exec, s[2:3]
	s_nop 3
	v_lshrrev_b16_e32 v42, 8, v38
	v_cmp_ne_u16_e32 vcc, 0, v42
	v_mov_b32_e32 v43, 0
	v_mov_b32_e32 v44, 0
	s_and_saveexec_b64 s[2:3], vcc
	s_cbranch_execz .LBB548_121
; %bb.116:
	s_movk_i32 s8, 0x80
	v_cmp_ne_u16_e32 vcc, s8, v42
	v_bfrev_b32_e32 v44, 1
	s_and_saveexec_b64 s[8:9], vcc
	s_cbranch_execz .LBB548_120
; %bb.117:
	s_movk_i32 s10, 0x7f
	v_and_b32_e32 v45, 0x7f, v42
	v_cmp_ne_u32_e32 vcc, s10, v45
	v_mov_b32_e32 v44, 0x7f800001
	s_and_saveexec_b64 s[10:11], vcc
	s_cbranch_execz .LBB548_119
; %bb.118:
	v_and_b32_e32 v44, 7, v42
	v_ffbh_u32_e32 v53, v44
	v_min_u32_e32 v53, 32, v53
	v_subrev_u32_e32 v54, 28, v53
	v_lshlrev_b64 v[54:55], v54, v[42:43]
	v_lshrrev_b32_e32 v51, 3, v45
	v_sub_u32_e32 v42, 29, v53
	v_and_b32_e32 v53, 7, v54
	v_cmp_gt_u32_e32 vcc, 8, v45
	v_cndmask_b32_e32 v42, v51, v42, vcc
	v_cndmask_b32_e32 v44, v44, v53, vcc
	v_lshlrev_b32_e32 v45, 16, v38
	v_bfrev_b32_e32 v51, 60
	v_lshlrev_b32_e32 v44, 20, v44
	v_and_b32_e32 v45, 0x80000000, v45
	v_lshl_add_u32 v42, v42, 23, v51
	v_or3_b32 v44, v45, v42, v44
.LBB548_119:
	s_or_b64 exec, exec, s[10:11]
.LBB548_120:
	s_or_b64 exec, exec, s[8:9]
.LBB548_121:
	s_or_b64 exec, exec, s[2:3]
	s_movk_i32 s2, 0xff
	v_and_b32_sdwa v45, v38, s2 dst_sel:DWORD dst_unused:UNUSED_PAD src0_sel:WORD_1 src1_sel:DWORD
	v_lshrrev_b32_e32 v42, 16, v38
	v_cmp_ne_u16_e32 vcc, 0, v45
	s_and_saveexec_b64 s[2:3], vcc
	s_cbranch_execz .LBB548_127
; %bb.122:
	s_movk_i32 s8, 0x80
	v_cmp_ne_u16_e32 vcc, s8, v45
	v_bfrev_b32_e32 v43, 1
	s_and_saveexec_b64 s[8:9], vcc
	s_cbranch_execz .LBB548_126
; %bb.123:
	v_bfe_u32 v45, v38, 16, 7
	s_movk_i32 s10, 0x7f
	v_cmp_ne_u32_e32 vcc, s10, v45
	v_mov_b32_e32 v43, 0x7f800001
	s_and_saveexec_b64 s[10:11], vcc
	s_cbranch_execz .LBB548_125
; %bb.124:
	v_and_b32_e32 v51, 7, v42
	v_ffbh_u32_e32 v43, v51
	v_min_u32_e32 v54, 32, v43
	v_subrev_u32_e32 v43, 28, v54
	v_lshlrev_b64 v[42:43], v43, v[42:43]
	v_lshrrev_b32_e32 v53, 3, v45
	v_sub_u32_e32 v43, 29, v54
	v_and_b32_e32 v42, 7, v42
	v_cmp_gt_u32_e32 vcc, 8, v45
	v_mov_b32_e32 v45, 24
	v_cndmask_b32_e32 v43, v53, v43, vcc
	v_cndmask_b32_e32 v42, v51, v42, vcc
	v_lshlrev_b32_sdwa v45, v45, v38 dst_sel:DWORD dst_unused:UNUSED_PAD src0_sel:DWORD src1_sel:WORD_1
	v_bfrev_b32_e32 v51, 60
	v_lshlrev_b32_e32 v42, 20, v42
	v_and_b32_e32 v45, 0x80000000, v45
	v_lshl_add_u32 v43, v43, 23, v51
	v_or3_b32 v43, v45, v43, v42
.LBB548_125:
	s_or_b64 exec, exec, s[10:11]
.LBB548_126:
	s_or_b64 exec, exec, s[8:9]
.LBB548_127:
	s_or_b64 exec, exec, s[2:3]
	s_mov_b32 s2, 0xffffff
	v_cmp_lt_u32_e32 vcc, s2, v38
	v_mov_b32_e32 v45, 0
	v_mov_b32_e32 v53, 0
	s_and_saveexec_b64 s[2:3], vcc
	s_cbranch_execz .LBB548_133
; %bb.128:
	v_lshrrev_b32_e32 v42, 24, v38
	s_movk_i32 s8, 0x80
	v_cmp_ne_u32_e32 vcc, s8, v42
	v_bfrev_b32_e32 v53, 1
	s_and_saveexec_b64 s[8:9], vcc
	s_cbranch_execz .LBB548_132
; %bb.129:
	v_bfe_u32 v38, v38, 24, 7
	s_movk_i32 s10, 0x7f
	v_cmp_ne_u32_e32 vcc, s10, v38
	v_mov_b32_e32 v53, 0x7f800001
	s_and_saveexec_b64 s[10:11], vcc
	s_cbranch_execz .LBB548_131
; %bb.130:
	v_and_b32_e32 v51, 7, v42
	v_ffbh_u32_e32 v54, v51
	v_min_u32_e32 v56, 32, v54
	v_subrev_u32_e32 v54, 28, v56
	v_lshlrev_b64 v[54:55], v54, v[42:43]
	v_lshrrev_b32_e32 v53, 3, v38
	v_sub_u32_e32 v55, 29, v56
	v_and_b32_e32 v54, 7, v54
	v_cmp_gt_u32_e32 vcc, 8, v38
	v_cndmask_b32_e32 v38, v53, v55, vcc
	v_cndmask_b32_e32 v51, v51, v54, vcc
	v_lshlrev_b32_e32 v42, 24, v42
	v_bfrev_b32_e32 v53, 60
	v_lshlrev_b32_e32 v51, 20, v51
	v_and_b32_e32 v42, 0x80000000, v42
	v_lshl_add_u32 v38, v38, 23, v53
	v_or3_b32 v53, v42, v38, v51
.LBB548_131:
	s_or_b64 exec, exec, s[10:11]
.LBB548_132:
	s_or_b64 exec, exec, s[8:9]
.LBB548_133:
	s_or_b64 exec, exec, s[2:3]
	v_cmp_ne_u16_sdwa s[8:9], v39, v45 src0_sel:BYTE_0 src1_sel:DWORD
	s_and_saveexec_b64 s[2:3], s[8:9]
	s_cbranch_execz .LBB548_139
; %bb.134:
	s_movk_i32 s8, 0x80
	v_cmp_ne_u16_sdwa s[10:11], v39, s8 src0_sel:BYTE_0 src1_sel:DWORD
	v_bfrev_b32_e32 v45, 1
	s_and_saveexec_b64 s[8:9], s[10:11]
	s_cbranch_execz .LBB548_138
; %bb.135:
	s_movk_i32 s10, 0x7f
	v_and_b32_e32 v38, 0x7f, v39
	v_cmp_ne_u32_e32 vcc, s10, v38
	v_mov_b32_e32 v45, 0x7f800001
	s_and_saveexec_b64 s[10:11], vcc
	s_cbranch_execz .LBB548_137
; %bb.136:
	v_and_b32_e32 v45, 7, v39
	v_ffbh_u32_e32 v54, v45
	v_min_u32_e32 v56, 32, v54
	v_mov_b32_e32 v42, v39
	v_subrev_u32_e32 v54, 28, v56
	v_lshlrev_b64 v[54:55], v54, v[42:43]
	v_lshrrev_b32_e32 v51, 3, v38
	v_sub_u32_e32 v42, 29, v56
	v_and_b32_e32 v54, 7, v54
	v_cmp_gt_u32_e32 vcc, 8, v38
	v_cndmask_b32_e32 v38, v51, v42, vcc
	v_cndmask_b32_e32 v42, v45, v54, vcc
	v_lshlrev_b32_e32 v45, 24, v39
	v_bfrev_b32_e32 v51, 60
	v_lshlrev_b32_e32 v42, 20, v42
	v_and_b32_e32 v45, 0x80000000, v45
	v_lshl_add_u32 v38, v38, 23, v51
	v_or3_b32 v45, v45, v38, v42
.LBB548_137:
	s_or_b64 exec, exec, s[10:11]
.LBB548_138:
	s_or_b64 exec, exec, s[8:9]
.LBB548_139:
	s_or_b64 exec, exec, s[2:3]
	v_lshrrev_b16_e32 v38, 8, v39
	v_cmp_ne_u16_e32 vcc, 0, v38
	v_mov_b32_e32 v42, 0
	v_mov_b32_e32 v54, 0
	s_and_saveexec_b64 s[2:3], vcc
	s_cbranch_execz .LBB548_145
; %bb.140:
	s_movk_i32 s8, 0x80
	v_cmp_ne_u16_e32 vcc, s8, v38
	v_bfrev_b32_e32 v54, 1
	s_and_saveexec_b64 s[8:9], vcc
	s_cbranch_execz .LBB548_144
; %bb.141:
	s_movk_i32 s10, 0x7f
	v_and_b32_e32 v51, 0x7f, v38
	v_cmp_ne_u32_e32 vcc, s10, v51
	v_mov_b32_e32 v54, 0x7f800001
	s_and_saveexec_b64 s[10:11], vcc
	s_cbranch_execz .LBB548_143
; %bb.142:
	v_and_b32_e32 v56, 7, v38
	v_ffbh_u32_e32 v54, v56
	v_min_u32_e32 v58, 32, v54
	v_subrev_u32_e32 v54, 28, v58
	v_lshlrev_b64 v[54:55], v54, v[38:39]
	v_lshrrev_b32_e32 v57, 3, v51
	v_sub_u32_e32 v38, 29, v58
	v_and_b32_e32 v54, 7, v54
	v_cmp_gt_u32_e32 vcc, 8, v51
	v_cndmask_b32_e32 v38, v57, v38, vcc
	v_cndmask_b32_e32 v51, v56, v54, vcc
	v_lshlrev_b32_e32 v54, 16, v39
	v_bfrev_b32_e32 v55, 60
	v_lshlrev_b32_e32 v51, 20, v51
	v_and_b32_e32 v54, 0x80000000, v54
	v_lshl_add_u32 v38, v38, 23, v55
	v_or3_b32 v54, v54, v38, v51
.LBB548_143:
	s_or_b64 exec, exec, s[10:11]
.LBB548_144:
	s_or_b64 exec, exec, s[8:9]
.LBB548_145:
	s_or_b64 exec, exec, s[2:3]
	s_movk_i32 s2, 0xff
	v_and_b32_sdwa v51, v39, s2 dst_sel:DWORD dst_unused:UNUSED_PAD src0_sel:WORD_1 src1_sel:DWORD
	v_lshrrev_b32_e32 v38, 16, v39
	v_cmp_ne_u16_e32 vcc, 0, v51
	s_and_saveexec_b64 s[2:3], vcc
	s_cbranch_execz .LBB548_151
; %bb.146:
	s_movk_i32 s8, 0x80
	v_cmp_ne_u16_e32 vcc, s8, v51
	v_bfrev_b32_e32 v42, 1
	s_and_saveexec_b64 s[8:9], vcc
	s_cbranch_execz .LBB548_150
; %bb.147:
	v_bfe_u32 v51, v39, 16, 7
	s_movk_i32 s10, 0x7f
	v_cmp_ne_u32_e32 vcc, s10, v51
	v_mov_b32_e32 v42, 0x7f800001
	s_and_saveexec_b64 s[10:11], vcc
	s_cbranch_execz .LBB548_149
; %bb.148:
	v_and_b32_e32 v42, 7, v38
	v_ffbh_u32_e32 v56, v42
	v_min_u32_e32 v58, 32, v56
	v_subrev_u32_e32 v56, 28, v58
	v_lshlrev_b64 v[56:57], v56, v[38:39]
	v_lshrrev_b32_e32 v55, 3, v51
	v_sub_u32_e32 v38, 29, v58
	v_and_b32_e32 v56, 7, v56
	v_cmp_gt_u32_e32 vcc, 8, v51
	v_mov_b32_e32 v51, 24
	v_cndmask_b32_e32 v38, v55, v38, vcc
	v_cndmask_b32_e32 v42, v42, v56, vcc
	v_lshlrev_b32_sdwa v51, v51, v39 dst_sel:DWORD dst_unused:UNUSED_PAD src0_sel:DWORD src1_sel:WORD_1
	v_bfrev_b32_e32 v55, 60
	v_lshlrev_b32_e32 v42, 20, v42
	v_and_b32_e32 v51, 0x80000000, v51
	v_lshl_add_u32 v38, v38, 23, v55
	v_or3_b32 v42, v51, v38, v42
.LBB548_149:
	s_or_b64 exec, exec, s[10:11]
.LBB548_150:
	s_or_b64 exec, exec, s[8:9]
.LBB548_151:
	s_or_b64 exec, exec, s[2:3]
	s_mov_b32 s2, 0xffffff
	v_cmp_lt_u32_e32 vcc, s2, v39
	v_mov_b32_e32 v51, 0
	v_mov_b32_e32 v55, 0
	s_and_saveexec_b64 s[2:3], vcc
	s_cbranch_execz .LBB548_157
; %bb.152:
	v_lshrrev_b32_e32 v38, 24, v39
	s_movk_i32 s8, 0x80
	v_cmp_ne_u32_e32 vcc, s8, v38
	v_bfrev_b32_e32 v55, 1
	s_and_saveexec_b64 s[8:9], vcc
	s_cbranch_execz .LBB548_156
; %bb.153:
	v_bfe_u32 v39, v39, 24, 7
	s_movk_i32 s10, 0x7f
	v_cmp_ne_u32_e32 vcc, s10, v39
	v_mov_b32_e32 v55, 0x7f800001
	s_and_saveexec_b64 s[10:11], vcc
	s_cbranch_execz .LBB548_155
; %bb.154:
	v_and_b32_e32 v55, 7, v38
	v_ffbh_u32_e32 v56, v55
	v_min_u32_e32 v59, 32, v56
	v_subrev_u32_e32 v56, 28, v59
	v_lshlrev_b64 v[56:57], v56, v[38:39]
	v_lshrrev_b32_e32 v58, 3, v39
	v_sub_u32_e32 v57, 29, v59
	v_and_b32_e32 v56, 7, v56
	v_cmp_gt_u32_e32 vcc, 8, v39
	v_cndmask_b32_e32 v39, v58, v57, vcc
	v_cndmask_b32_e32 v55, v55, v56, vcc
	v_lshlrev_b32_e32 v38, 24, v38
	v_bfrev_b32_e32 v56, 60
	v_lshlrev_b32_e32 v55, 20, v55
	v_and_b32_e32 v38, 0x80000000, v38
	v_lshl_add_u32 v39, v39, 23, v56
	v_or3_b32 v55, v38, v39, v55
.LBB548_155:
	s_or_b64 exec, exec, s[10:11]
.LBB548_156:
	s_or_b64 exec, exec, s[8:9]
.LBB548_157:
	s_or_b64 exec, exec, s[2:3]
	v_cvt_pkrtz_f16_f32 v38, v52, v44
	v_cvt_pkrtz_f16_f32 v39, v43, v53
	v_cmp_ne_u16_sdwa s[8:9], v40, v51 src0_sel:BYTE_0 src1_sel:DWORD
	s_nop 0
	v_mfma_f32_16x16x16f16 v[56:59], v[38:39], v[26:27], 0
	v_cvt_pkrtz_f16_f32 v38, v45, v54
	v_cvt_pkrtz_f16_f32 v39, v42, v55
	s_nop 1
	v_mfma_f32_16x16x16f16 v[42:45], v[38:39], v[28:29], v[56:59]
	s_and_saveexec_b64 s[2:3], s[8:9]
	s_cbranch_execz .LBB548_163
; %bb.158:
	s_movk_i32 s8, 0x80
	v_cmp_ne_u16_sdwa s[10:11], v40, s8 src0_sel:BYTE_0 src1_sel:DWORD
	v_bfrev_b32_e32 v51, 1
	s_and_saveexec_b64 s[8:9], s[10:11]
	s_cbranch_execz .LBB548_162
; %bb.159:
	s_movk_i32 s10, 0x7f
	v_and_b32_e32 v38, 0x7f, v40
	v_cmp_ne_u32_e32 vcc, s10, v38
	v_mov_b32_e32 v51, 0x7f800001
	s_and_saveexec_b64 s[10:11], vcc
	s_cbranch_execz .LBB548_161
; %bb.160:
	v_and_b32_e32 v39, 7, v40
	v_ffbh_u32_e32 v52, v39
	v_min_u32_e32 v54, 32, v52
	v_subrev_u32_e32 v52, 28, v54
	v_lshlrev_b64 v[52:53], v52, v[40:41]
	v_lshrrev_b32_e32 v51, 3, v38
	v_sub_u32_e32 v53, 29, v54
	v_and_b32_e32 v52, 7, v52
	v_cmp_gt_u32_e32 vcc, 8, v38
	v_cndmask_b32_e32 v38, v51, v53, vcc
	v_cndmask_b32_e32 v39, v39, v52, vcc
	v_lshlrev_b32_e32 v51, 24, v40
	v_bfrev_b32_e32 v52, 60
	v_lshlrev_b32_e32 v39, 20, v39
	v_and_b32_e32 v51, 0x80000000, v51
	v_lshl_add_u32 v38, v38, 23, v52
	v_or3_b32 v51, v51, v38, v39
.LBB548_161:
	s_or_b64 exec, exec, s[10:11]
.LBB548_162:
	s_or_b64 exec, exec, s[8:9]
.LBB548_163:
	s_or_b64 exec, exec, s[2:3]
	v_lshrrev_b16_e32 v38, 8, v40
	v_cmp_ne_u16_e32 vcc, 0, v38
	v_mov_b32_e32 v39, 0
	v_mov_b32_e32 v53, 0
	s_and_saveexec_b64 s[2:3], vcc
	s_cbranch_execz .LBB548_169
; %bb.164:
	s_movk_i32 s8, 0x80
	v_cmp_ne_u16_e32 vcc, s8, v38
	v_bfrev_b32_e32 v53, 1
	s_and_saveexec_b64 s[8:9], vcc
	s_cbranch_execz .LBB548_168
; %bb.165:
	s_movk_i32 s10, 0x7f
	v_and_b32_e32 v52, 0x7f, v38
	v_cmp_ne_u32_e32 vcc, s10, v52
	v_mov_b32_e32 v53, 0x7f800001
	s_and_saveexec_b64 s[10:11], vcc
	s_cbranch_execz .LBB548_167
; %bb.166:
	v_and_b32_e32 v53, 7, v38
	v_ffbh_u32_e32 v54, v53
	v_min_u32_e32 v57, 32, v54
	v_subrev_u32_e32 v54, 28, v57
	v_lshlrev_b64 v[54:55], v54, v[38:39]
	v_lshrrev_b32_e32 v56, 3, v52
	v_sub_u32_e32 v38, 29, v57
	v_and_b32_e32 v54, 7, v54
	v_cmp_gt_u32_e32 vcc, 8, v52
	v_cndmask_b32_e32 v38, v56, v38, vcc
	v_cndmask_b32_e32 v52, v53, v54, vcc
	v_lshlrev_b32_e32 v53, 16, v40
	v_bfrev_b32_e32 v54, 60
	v_lshlrev_b32_e32 v52, 20, v52
	v_and_b32_e32 v53, 0x80000000, v53
	v_lshl_add_u32 v38, v38, 23, v54
	v_or3_b32 v53, v53, v38, v52
.LBB548_167:
	s_or_b64 exec, exec, s[10:11]
.LBB548_168:
	s_or_b64 exec, exec, s[8:9]
.LBB548_169:
	s_or_b64 exec, exec, s[2:3]
	s_movk_i32 s2, 0xff
	v_and_b32_sdwa v52, v40, s2 dst_sel:DWORD dst_unused:UNUSED_PAD src0_sel:WORD_1 src1_sel:DWORD
	v_lshrrev_b32_e32 v38, 16, v40
	v_cmp_ne_u16_e32 vcc, 0, v52
	s_and_saveexec_b64 s[2:3], vcc
	s_cbranch_execz .LBB548_175
; %bb.170:
	s_movk_i32 s8, 0x80
	v_cmp_ne_u16_e32 vcc, s8, v52
	v_bfrev_b32_e32 v39, 1
	s_and_saveexec_b64 s[8:9], vcc
	s_cbranch_execz .LBB548_174
; %bb.171:
	v_bfe_u32 v52, v40, 16, 7
	s_movk_i32 s10, 0x7f
	v_cmp_ne_u32_e32 vcc, s10, v52
	v_mov_b32_e32 v39, 0x7f800001
	s_and_saveexec_b64 s[10:11], vcc
	s_cbranch_execz .LBB548_173
; %bb.172:
	v_and_b32_e32 v54, 7, v38
	v_ffbh_u32_e32 v39, v54
	v_min_u32_e32 v56, 32, v39
	v_subrev_u32_e32 v39, 28, v56
	v_lshlrev_b64 v[38:39], v39, v[38:39]
	v_lshrrev_b32_e32 v55, 3, v52
	v_sub_u32_e32 v39, 29, v56
	v_and_b32_e32 v38, 7, v38
	v_cmp_gt_u32_e32 vcc, 8, v52
	v_mov_b32_e32 v52, 24
	v_cndmask_b32_e32 v39, v55, v39, vcc
	v_cndmask_b32_e32 v38, v54, v38, vcc
	v_lshlrev_b32_sdwa v52, v52, v40 dst_sel:DWORD dst_unused:UNUSED_PAD src0_sel:DWORD src1_sel:WORD_1
	v_bfrev_b32_e32 v54, 60
	v_lshlrev_b32_e32 v38, 20, v38
	v_and_b32_e32 v52, 0x80000000, v52
	v_lshl_add_u32 v39, v39, 23, v54
	v_or3_b32 v39, v52, v39, v38
.LBB548_173:
	s_or_b64 exec, exec, s[10:11]
.LBB548_174:
	s_or_b64 exec, exec, s[8:9]
.LBB548_175:
	s_or_b64 exec, exec, s[2:3]
	s_mov_b32 s2, 0xffffff
	v_cmp_lt_u32_e32 vcc, s2, v40
	v_mov_b32_e32 v54, 0
	v_mov_b32_e32 v55, 0
	s_and_saveexec_b64 s[2:3], vcc
	s_cbranch_execz .LBB548_181
; %bb.176:
	v_lshrrev_b32_e32 v38, 24, v40
	s_movk_i32 s8, 0x80
	v_cmp_ne_u32_e32 vcc, s8, v38
	v_bfrev_b32_e32 v55, 1
	s_and_saveexec_b64 s[8:9], vcc
	s_cbranch_execz .LBB548_180
; %bb.177:
	v_bfe_u32 v40, v40, 24, 7
	s_movk_i32 s10, 0x7f
	v_cmp_ne_u32_e32 vcc, s10, v40
	v_mov_b32_e32 v55, 0x7f800001
	s_and_saveexec_b64 s[10:11], vcc
	s_cbranch_execz .LBB548_179
; %bb.178:
	v_and_b32_e32 v52, 7, v38
	v_ffbh_u32_e32 v56, v52
	v_min_u32_e32 v58, 32, v56
	v_subrev_u32_e32 v56, 28, v58
	v_lshlrev_b64 v[56:57], v56, v[38:39]
	v_lshrrev_b32_e32 v55, 3, v40
	v_sub_u32_e32 v57, 29, v58
	v_and_b32_e32 v56, 7, v56
	v_cmp_gt_u32_e32 vcc, 8, v40
	v_cndmask_b32_e32 v40, v55, v57, vcc
	v_cndmask_b32_e32 v52, v52, v56, vcc
	v_lshlrev_b32_e32 v38, 24, v38
	v_bfrev_b32_e32 v55, 60
	v_lshlrev_b32_e32 v52, 20, v52
	v_and_b32_e32 v38, 0x80000000, v38
	v_lshl_add_u32 v40, v40, 23, v55
	v_or3_b32 v55, v38, v40, v52
.LBB548_179:
	s_or_b64 exec, exec, s[10:11]
.LBB548_180:
	s_or_b64 exec, exec, s[8:9]
.LBB548_181:
	s_or_b64 exec, exec, s[2:3]
	v_cmp_ne_u16_sdwa s[8:9], v41, v54 src0_sel:BYTE_0 src1_sel:DWORD
	s_and_saveexec_b64 s[2:3], s[8:9]
	s_cbranch_execz .LBB548_187
; %bb.182:
	s_movk_i32 s8, 0x80
	v_cmp_ne_u16_sdwa s[10:11], v41, s8 src0_sel:BYTE_0 src1_sel:DWORD
	v_bfrev_b32_e32 v54, 1
	s_and_saveexec_b64 s[8:9], s[10:11]
	s_cbranch_execz .LBB548_186
; %bb.183:
	s_movk_i32 s10, 0x7f
	v_and_b32_e32 v38, 0x7f, v41
	v_cmp_ne_u32_e32 vcc, s10, v38
	v_mov_b32_e32 v54, 0x7f800001
	s_and_saveexec_b64 s[10:11], vcc
	s_cbranch_execz .LBB548_185
; %bb.184:
	v_and_b32_e32 v52, 7, v41
	v_ffbh_u32_e32 v56, v52
	v_min_u32_e32 v58, 32, v56
	v_mov_b32_e32 v40, v41
	v_subrev_u32_e32 v56, 28, v58
	v_lshlrev_b64 v[56:57], v56, v[40:41]
	v_lshrrev_b32_e32 v54, 3, v38
	v_sub_u32_e32 v40, 29, v58
	v_and_b32_e32 v56, 7, v56
	v_cmp_gt_u32_e32 vcc, 8, v38
	v_cndmask_b32_e32 v38, v54, v40, vcc
	v_cndmask_b32_e32 v40, v52, v56, vcc
	v_lshlrev_b32_e32 v52, 24, v41
	v_bfrev_b32_e32 v54, 60
	v_lshlrev_b32_e32 v40, 20, v40
	v_and_b32_e32 v52, 0x80000000, v52
	v_lshl_add_u32 v38, v38, 23, v54
	v_or3_b32 v54, v52, v38, v40
.LBB548_185:
	s_or_b64 exec, exec, s[10:11]
.LBB548_186:
	s_or_b64 exec, exec, s[8:9]
.LBB548_187:
	s_or_b64 exec, exec, s[2:3]
	v_lshrrev_b16_e32 v38, 8, v41
	v_cmp_ne_u16_e32 vcc, 0, v38
	v_mov_b32_e32 v40, 0
	v_mov_b32_e32 v56, 0
	s_and_saveexec_b64 s[2:3], vcc
	s_cbranch_execz .LBB548_193
; %bb.188:
	s_movk_i32 s8, 0x80
	v_cmp_ne_u16_e32 vcc, s8, v38
	v_bfrev_b32_e32 v56, 1
	s_and_saveexec_b64 s[8:9], vcc
	s_cbranch_execz .LBB548_192
; %bb.189:
	s_movk_i32 s10, 0x7f
	v_and_b32_e32 v52, 0x7f, v38
	v_cmp_ne_u32_e32 vcc, s10, v52
	v_mov_b32_e32 v56, 0x7f800001
	s_and_saveexec_b64 s[10:11], vcc
	s_cbranch_execz .LBB548_191
; %bb.190:
	v_and_b32_e32 v58, 7, v38
	v_ffbh_u32_e32 v56, v58
	v_min_u32_e32 v60, 32, v56
	v_subrev_u32_e32 v56, 28, v60
	v_lshlrev_b64 v[56:57], v56, v[38:39]
	v_lshrrev_b32_e32 v59, 3, v52
	v_sub_u32_e32 v38, 29, v60
	v_and_b32_e32 v56, 7, v56
	v_cmp_gt_u32_e32 vcc, 8, v52
	v_cndmask_b32_e32 v38, v59, v38, vcc
	v_cndmask_b32_e32 v52, v58, v56, vcc
	v_lshlrev_b32_e32 v56, 16, v41
	v_bfrev_b32_e32 v57, 60
	v_lshlrev_b32_e32 v52, 20, v52
	v_and_b32_e32 v56, 0x80000000, v56
	v_lshl_add_u32 v38, v38, 23, v57
	v_or3_b32 v56, v56, v38, v52
.LBB548_191:
	s_or_b64 exec, exec, s[10:11]
.LBB548_192:
	s_or_b64 exec, exec, s[8:9]
.LBB548_193:
	s_or_b64 exec, exec, s[2:3]
	s_movk_i32 s2, 0xff
	v_and_b32_sdwa v52, v41, s2 dst_sel:DWORD dst_unused:UNUSED_PAD src0_sel:WORD_1 src1_sel:DWORD
	v_lshrrev_b32_e32 v38, 16, v41
	v_cmp_ne_u16_e32 vcc, 0, v52
	s_and_saveexec_b64 s[2:3], vcc
	s_cbranch_execz .LBB548_199
; %bb.194:
	s_movk_i32 s8, 0x80
	v_cmp_ne_u16_e32 vcc, s8, v52
	v_bfrev_b32_e32 v40, 1
	s_and_saveexec_b64 s[8:9], vcc
	s_cbranch_execz .LBB548_198
; %bb.195:
	v_bfe_u32 v52, v41, 16, 7
	s_movk_i32 s10, 0x7f
	v_cmp_ne_u32_e32 vcc, s10, v52
	v_mov_b32_e32 v40, 0x7f800001
	s_and_saveexec_b64 s[10:11], vcc
	s_cbranch_execz .LBB548_197
; %bb.196:
	v_and_b32_e32 v40, 7, v38
	v_ffbh_u32_e32 v58, v40
	v_min_u32_e32 v60, 32, v58
	v_subrev_u32_e32 v58, 28, v60
	v_lshlrev_b64 v[58:59], v58, v[38:39]
	v_lshrrev_b32_e32 v57, 3, v52
	v_sub_u32_e32 v38, 29, v60
	v_and_b32_e32 v58, 7, v58
	v_cmp_gt_u32_e32 vcc, 8, v52
	v_mov_b32_e32 v52, 24
	v_cndmask_b32_e32 v38, v57, v38, vcc
	v_cndmask_b32_e32 v40, v40, v58, vcc
	v_lshlrev_b32_sdwa v52, v52, v41 dst_sel:DWORD dst_unused:UNUSED_PAD src0_sel:DWORD src1_sel:WORD_1
	v_bfrev_b32_e32 v57, 60
	v_lshlrev_b32_e32 v40, 20, v40
	v_and_b32_e32 v52, 0x80000000, v52
	v_lshl_add_u32 v38, v38, 23, v57
	v_or3_b32 v40, v52, v38, v40
.LBB548_197:
	s_or_b64 exec, exec, s[10:11]
.LBB548_198:
	s_or_b64 exec, exec, s[8:9]
.LBB548_199:
	s_or_b64 exec, exec, s[2:3]
	s_mov_b32 s2, 0xffffff
	v_cmp_lt_u32_e32 vcc, s2, v41
	v_mov_b32_e32 v52, 0
	v_mov_b32_e32 v57, 0
	s_and_saveexec_b64 s[2:3], vcc
	s_cbranch_execz .LBB548_205
; %bb.200:
	v_lshrrev_b32_e32 v38, 24, v41
	s_movk_i32 s8, 0x80
	v_cmp_ne_u32_e32 vcc, s8, v38
	v_bfrev_b32_e32 v57, 1
	s_and_saveexec_b64 s[8:9], vcc
	s_cbranch_execz .LBB548_204
; %bb.201:
	v_bfe_u32 v41, v41, 24, 7
	s_movk_i32 s10, 0x7f
	v_cmp_ne_u32_e32 vcc, s10, v41
	v_mov_b32_e32 v57, 0x7f800001
	s_and_saveexec_b64 s[10:11], vcc
	s_cbranch_execz .LBB548_203
; %bb.202:
	v_and_b32_e32 v57, 7, v38
	v_ffbh_u32_e32 v58, v57
	v_min_u32_e32 v61, 32, v58
	v_subrev_u32_e32 v58, 28, v61
	v_lshlrev_b64 v[58:59], v58, v[38:39]
	v_lshrrev_b32_e32 v60, 3, v41
	v_sub_u32_e32 v59, 29, v61
	v_and_b32_e32 v58, 7, v58
	v_cmp_gt_u32_e32 vcc, 8, v41
	v_cndmask_b32_e32 v41, v60, v59, vcc
	v_cndmask_b32_e32 v57, v57, v58, vcc
	v_lshlrev_b32_e32 v38, 24, v38
	v_bfrev_b32_e32 v58, 60
	v_lshlrev_b32_e32 v57, 20, v57
	v_and_b32_e32 v38, 0x80000000, v38
	v_lshl_add_u32 v41, v41, 23, v58
	v_or3_b32 v57, v38, v41, v57
.LBB548_203:
	s_or_b64 exec, exec, s[10:11]
.LBB548_204:
	s_or_b64 exec, exec, s[8:9]
.LBB548_205:
	s_or_b64 exec, exec, s[2:3]
	v_cvt_pkrtz_f16_f32 v38, v51, v53
	v_cvt_pkrtz_f16_f32 v39, v39, v55
	v_cmp_ne_u16_sdwa s[8:9], v30, v52 src0_sel:BYTE_0 src1_sel:DWORD
	s_nop 0
	v_mfma_f32_16x16x16f16 v[42:45], v[38:39], v[18:19], v[42:45]
	v_cvt_pkrtz_f16_f32 v38, v54, v56
	v_cvt_pkrtz_f16_f32 v39, v40, v57
	s_nop 1
	v_mfma_f32_16x16x16f16 v[38:41], v[38:39], v[20:21], v[42:45]
	s_and_saveexec_b64 s[2:3], s[8:9]
	s_cbranch_execz .LBB548_211
; %bb.206:
	s_movk_i32 s8, 0x80
	v_cmp_ne_u16_sdwa s[10:11], v30, s8 src0_sel:BYTE_0 src1_sel:DWORD
	v_bfrev_b32_e32 v52, 1
	s_and_saveexec_b64 s[8:9], s[10:11]
	s_cbranch_execz .LBB548_210
; %bb.207:
	s_movk_i32 s10, 0x7f
	v_and_b32_e32 v42, 0x7f, v30
	v_cmp_ne_u32_e32 vcc, s10, v42
	v_mov_b32_e32 v52, 0x7f800001
	s_and_saveexec_b64 s[10:11], vcc
	s_cbranch_execz .LBB548_209
; %bb.208:
	v_and_b32_e32 v43, 7, v30
	v_ffbh_u32_e32 v44, v43
	v_min_u32_e32 v52, 32, v44
	v_subrev_u32_e32 v44, 28, v52
	v_lshlrev_b64 v[44:45], v44, v[30:31]
	v_lshrrev_b32_e32 v51, 3, v42
	v_sub_u32_e32 v45, 29, v52
	v_and_b32_e32 v44, 7, v44
	v_cmp_gt_u32_e32 vcc, 8, v42
	v_cndmask_b32_e32 v42, v51, v45, vcc
	v_cndmask_b32_e32 v43, v43, v44, vcc
	v_lshlrev_b32_e32 v44, 24, v30
	v_bfrev_b32_e32 v45, 60
	v_lshlrev_b32_e32 v43, 20, v43
	v_and_b32_e32 v44, 0x80000000, v44
	v_lshl_add_u32 v42, v42, 23, v45
	v_or3_b32 v52, v44, v42, v43
.LBB548_209:
	s_or_b64 exec, exec, s[10:11]
.LBB548_210:
	s_or_b64 exec, exec, s[8:9]
.LBB548_211:
	s_or_b64 exec, exec, s[2:3]
	s_nop 3
	v_lshrrev_b16_e32 v42, 8, v30
	v_cmp_ne_u16_e32 vcc, 0, v42
	v_mov_b32_e32 v43, 0
	v_mov_b32_e32 v44, 0
	s_and_saveexec_b64 s[2:3], vcc
	s_cbranch_execz .LBB548_217
; %bb.212:
	s_movk_i32 s8, 0x80
	v_cmp_ne_u16_e32 vcc, s8, v42
	v_bfrev_b32_e32 v44, 1
	s_and_saveexec_b64 s[8:9], vcc
	s_cbranch_execz .LBB548_216
; %bb.213:
	s_movk_i32 s10, 0x7f
	v_and_b32_e32 v45, 0x7f, v42
	v_cmp_ne_u32_e32 vcc, s10, v45
	v_mov_b32_e32 v44, 0x7f800001
	s_and_saveexec_b64 s[10:11], vcc
	s_cbranch_execz .LBB548_215
; %bb.214:
	v_and_b32_e32 v44, 7, v42
	v_ffbh_u32_e32 v53, v44
	v_min_u32_e32 v53, 32, v53
	v_subrev_u32_e32 v54, 28, v53
	v_lshlrev_b64 v[54:55], v54, v[42:43]
	v_lshrrev_b32_e32 v51, 3, v45
	v_sub_u32_e32 v42, 29, v53
	v_and_b32_e32 v53, 7, v54
	v_cmp_gt_u32_e32 vcc, 8, v45
	v_cndmask_b32_e32 v42, v51, v42, vcc
	v_cndmask_b32_e32 v44, v44, v53, vcc
	v_lshlrev_b32_e32 v45, 16, v30
	v_bfrev_b32_e32 v51, 60
	v_lshlrev_b32_e32 v44, 20, v44
	v_and_b32_e32 v45, 0x80000000, v45
	v_lshl_add_u32 v42, v42, 23, v51
	v_or3_b32 v44, v45, v42, v44
.LBB548_215:
	s_or_b64 exec, exec, s[10:11]
.LBB548_216:
	s_or_b64 exec, exec, s[8:9]
.LBB548_217:
	s_or_b64 exec, exec, s[2:3]
	s_movk_i32 s2, 0xff
	v_and_b32_sdwa v45, v30, s2 dst_sel:DWORD dst_unused:UNUSED_PAD src0_sel:WORD_1 src1_sel:DWORD
	v_lshrrev_b32_e32 v42, 16, v30
	v_cmp_ne_u16_e32 vcc, 0, v45
	s_and_saveexec_b64 s[2:3], vcc
	s_cbranch_execz .LBB548_223
; %bb.218:
	s_movk_i32 s8, 0x80
	v_cmp_ne_u16_e32 vcc, s8, v45
	v_bfrev_b32_e32 v43, 1
	s_and_saveexec_b64 s[8:9], vcc
	s_cbranch_execz .LBB548_222
; %bb.219:
	v_bfe_u32 v45, v30, 16, 7
	s_movk_i32 s10, 0x7f
	v_cmp_ne_u32_e32 vcc, s10, v45
	v_mov_b32_e32 v43, 0x7f800001
	s_and_saveexec_b64 s[10:11], vcc
	s_cbranch_execz .LBB548_221
; %bb.220:
	v_and_b32_e32 v51, 7, v42
	v_ffbh_u32_e32 v43, v51
	v_min_u32_e32 v54, 32, v43
	v_subrev_u32_e32 v43, 28, v54
	v_lshlrev_b64 v[42:43], v43, v[42:43]
	v_lshrrev_b32_e32 v53, 3, v45
	v_sub_u32_e32 v43, 29, v54
	v_and_b32_e32 v42, 7, v42
	v_cmp_gt_u32_e32 vcc, 8, v45
	v_mov_b32_e32 v45, 24
	v_cndmask_b32_e32 v43, v53, v43, vcc
	v_cndmask_b32_e32 v42, v51, v42, vcc
	v_lshlrev_b32_sdwa v45, v45, v30 dst_sel:DWORD dst_unused:UNUSED_PAD src0_sel:DWORD src1_sel:WORD_1
	v_bfrev_b32_e32 v51, 60
	v_lshlrev_b32_e32 v42, 20, v42
	v_and_b32_e32 v45, 0x80000000, v45
	v_lshl_add_u32 v43, v43, 23, v51
	v_or3_b32 v43, v45, v43, v42
.LBB548_221:
	s_or_b64 exec, exec, s[10:11]
.LBB548_222:
	s_or_b64 exec, exec, s[8:9]
.LBB548_223:
	s_or_b64 exec, exec, s[2:3]
	s_mov_b32 s2, 0xffffff
	v_cmp_lt_u32_e32 vcc, s2, v30
	v_mov_b32_e32 v45, 0
	v_mov_b32_e32 v53, 0
	s_and_saveexec_b64 s[2:3], vcc
	s_cbranch_execz .LBB548_229
; %bb.224:
	v_lshrrev_b32_e32 v42, 24, v30
	s_movk_i32 s8, 0x80
	v_cmp_ne_u32_e32 vcc, s8, v42
	v_bfrev_b32_e32 v53, 1
	s_and_saveexec_b64 s[8:9], vcc
	s_cbranch_execz .LBB548_228
; %bb.225:
	v_bfe_u32 v30, v30, 24, 7
	s_movk_i32 s10, 0x7f
	v_cmp_ne_u32_e32 vcc, s10, v30
	v_mov_b32_e32 v53, 0x7f800001
	s_and_saveexec_b64 s[10:11], vcc
	s_cbranch_execz .LBB548_227
; %bb.226:
	v_and_b32_e32 v51, 7, v42
	v_ffbh_u32_e32 v54, v51
	v_min_u32_e32 v56, 32, v54
	v_subrev_u32_e32 v54, 28, v56
	v_lshlrev_b64 v[54:55], v54, v[42:43]
	v_lshrrev_b32_e32 v53, 3, v30
	v_sub_u32_e32 v55, 29, v56
	v_and_b32_e32 v54, 7, v54
	v_cmp_gt_u32_e32 vcc, 8, v30
	v_cndmask_b32_e32 v30, v53, v55, vcc
	v_cndmask_b32_e32 v51, v51, v54, vcc
	v_lshlrev_b32_e32 v42, 24, v42
	v_bfrev_b32_e32 v53, 60
	v_lshlrev_b32_e32 v51, 20, v51
	v_and_b32_e32 v42, 0x80000000, v42
	v_lshl_add_u32 v30, v30, 23, v53
	v_or3_b32 v53, v42, v30, v51
.LBB548_227:
	s_or_b64 exec, exec, s[10:11]
.LBB548_228:
	s_or_b64 exec, exec, s[8:9]
.LBB548_229:
	s_or_b64 exec, exec, s[2:3]
	v_cmp_ne_u16_sdwa s[8:9], v31, v45 src0_sel:BYTE_0 src1_sel:DWORD
	s_and_saveexec_b64 s[2:3], s[8:9]
	s_cbranch_execz .LBB548_235
; %bb.230:
	s_movk_i32 s8, 0x80
	v_cmp_ne_u16_sdwa s[10:11], v31, s8 src0_sel:BYTE_0 src1_sel:DWORD
	v_bfrev_b32_e32 v45, 1
	s_and_saveexec_b64 s[8:9], s[10:11]
	s_cbranch_execz .LBB548_234
; %bb.231:
	s_movk_i32 s10, 0x7f
	v_and_b32_e32 v30, 0x7f, v31
	v_cmp_ne_u32_e32 vcc, s10, v30
	v_mov_b32_e32 v45, 0x7f800001
	s_and_saveexec_b64 s[10:11], vcc
	s_cbranch_execz .LBB548_233
; %bb.232:
	v_and_b32_e32 v45, 7, v31
	v_ffbh_u32_e32 v54, v45
	v_min_u32_e32 v56, 32, v54
	v_mov_b32_e32 v42, v31
	v_subrev_u32_e32 v54, 28, v56
	v_lshlrev_b64 v[54:55], v54, v[42:43]
	v_lshrrev_b32_e32 v51, 3, v30
	v_sub_u32_e32 v42, 29, v56
	v_and_b32_e32 v54, 7, v54
	v_cmp_gt_u32_e32 vcc, 8, v30
	v_cndmask_b32_e32 v30, v51, v42, vcc
	v_cndmask_b32_e32 v42, v45, v54, vcc
	v_lshlrev_b32_e32 v45, 24, v31
	v_bfrev_b32_e32 v51, 60
	v_lshlrev_b32_e32 v42, 20, v42
	v_and_b32_e32 v45, 0x80000000, v45
	v_lshl_add_u32 v30, v30, 23, v51
	v_or3_b32 v45, v45, v30, v42
.LBB548_233:
	s_or_b64 exec, exec, s[10:11]
.LBB548_234:
	s_or_b64 exec, exec, s[8:9]
.LBB548_235:
	s_or_b64 exec, exec, s[2:3]
	v_lshrrev_b16_e32 v30, 8, v31
	v_cmp_ne_u16_e32 vcc, 0, v30
	v_mov_b32_e32 v42, 0
	v_mov_b32_e32 v54, 0
	s_and_saveexec_b64 s[2:3], vcc
	s_cbranch_execz .LBB548_241
; %bb.236:
	s_movk_i32 s8, 0x80
	v_cmp_ne_u16_e32 vcc, s8, v30
	v_bfrev_b32_e32 v54, 1
	s_and_saveexec_b64 s[8:9], vcc
	s_cbranch_execz .LBB548_240
; %bb.237:
	s_movk_i32 s10, 0x7f
	v_and_b32_e32 v51, 0x7f, v30
	v_cmp_ne_u32_e32 vcc, s10, v51
	v_mov_b32_e32 v54, 0x7f800001
	s_and_saveexec_b64 s[10:11], vcc
	s_cbranch_execz .LBB548_239
; %bb.238:
	v_and_b32_e32 v56, 7, v30
	v_ffbh_u32_e32 v54, v56
	v_min_u32_e32 v58, 32, v54
	v_subrev_u32_e32 v54, 28, v58
	v_lshlrev_b64 v[54:55], v54, v[30:31]
	v_lshrrev_b32_e32 v57, 3, v51
	v_sub_u32_e32 v30, 29, v58
	v_and_b32_e32 v54, 7, v54
	v_cmp_gt_u32_e32 vcc, 8, v51
	v_cndmask_b32_e32 v30, v57, v30, vcc
	v_cndmask_b32_e32 v51, v56, v54, vcc
	v_lshlrev_b32_e32 v54, 16, v31
	v_bfrev_b32_e32 v55, 60
	v_lshlrev_b32_e32 v51, 20, v51
	v_and_b32_e32 v54, 0x80000000, v54
	v_lshl_add_u32 v30, v30, 23, v55
	v_or3_b32 v54, v54, v30, v51
.LBB548_239:
	s_or_b64 exec, exec, s[10:11]
.LBB548_240:
	s_or_b64 exec, exec, s[8:9]
.LBB548_241:
	s_or_b64 exec, exec, s[2:3]
	s_movk_i32 s2, 0xff
	v_and_b32_sdwa v51, v31, s2 dst_sel:DWORD dst_unused:UNUSED_PAD src0_sel:WORD_1 src1_sel:DWORD
	v_lshrrev_b32_e32 v30, 16, v31
	v_cmp_ne_u16_e32 vcc, 0, v51
	s_and_saveexec_b64 s[2:3], vcc
	s_cbranch_execz .LBB548_247
; %bb.242:
	s_movk_i32 s8, 0x80
	v_cmp_ne_u16_e32 vcc, s8, v51
	v_bfrev_b32_e32 v42, 1
	s_and_saveexec_b64 s[8:9], vcc
	s_cbranch_execz .LBB548_246
; %bb.243:
	v_bfe_u32 v51, v31, 16, 7
	s_movk_i32 s10, 0x7f
	v_cmp_ne_u32_e32 vcc, s10, v51
	v_mov_b32_e32 v42, 0x7f800001
	s_and_saveexec_b64 s[10:11], vcc
	s_cbranch_execz .LBB548_245
; %bb.244:
	v_and_b32_e32 v42, 7, v30
	v_ffbh_u32_e32 v56, v42
	v_min_u32_e32 v58, 32, v56
	v_subrev_u32_e32 v56, 28, v58
	v_lshlrev_b64 v[56:57], v56, v[30:31]
	v_lshrrev_b32_e32 v55, 3, v51
	v_sub_u32_e32 v30, 29, v58
	v_and_b32_e32 v56, 7, v56
	v_cmp_gt_u32_e32 vcc, 8, v51
	v_mov_b32_e32 v51, 24
	v_cndmask_b32_e32 v30, v55, v30, vcc
	v_cndmask_b32_e32 v42, v42, v56, vcc
	v_lshlrev_b32_sdwa v51, v51, v31 dst_sel:DWORD dst_unused:UNUSED_PAD src0_sel:DWORD src1_sel:WORD_1
	v_bfrev_b32_e32 v55, 60
	v_lshlrev_b32_e32 v42, 20, v42
	v_and_b32_e32 v51, 0x80000000, v51
	v_lshl_add_u32 v30, v30, 23, v55
	v_or3_b32 v42, v51, v30, v42
.LBB548_245:
	s_or_b64 exec, exec, s[10:11]
.LBB548_246:
	s_or_b64 exec, exec, s[8:9]
.LBB548_247:
	s_or_b64 exec, exec, s[2:3]
	s_mov_b32 s2, 0xffffff
	v_cmp_lt_u32_e32 vcc, s2, v31
	v_mov_b32_e32 v51, 0
	v_mov_b32_e32 v55, 0
	s_and_saveexec_b64 s[2:3], vcc
	s_cbranch_execz .LBB548_253
; %bb.248:
	v_lshrrev_b32_e32 v30, 24, v31
	s_movk_i32 s8, 0x80
	v_cmp_ne_u32_e32 vcc, s8, v30
	v_bfrev_b32_e32 v55, 1
	s_and_saveexec_b64 s[8:9], vcc
	s_cbranch_execz .LBB548_252
; %bb.249:
	v_bfe_u32 v31, v31, 24, 7
	s_movk_i32 s10, 0x7f
	v_cmp_ne_u32_e32 vcc, s10, v31
	v_mov_b32_e32 v55, 0x7f800001
	s_and_saveexec_b64 s[10:11], vcc
	s_cbranch_execz .LBB548_251
; %bb.250:
	v_and_b32_e32 v55, 7, v30
	v_ffbh_u32_e32 v56, v55
	v_min_u32_e32 v59, 32, v56
	v_subrev_u32_e32 v56, 28, v59
	v_lshlrev_b64 v[56:57], v56, v[30:31]
	v_lshrrev_b32_e32 v58, 3, v31
	v_sub_u32_e32 v57, 29, v59
	v_and_b32_e32 v56, 7, v56
	v_cmp_gt_u32_e32 vcc, 8, v31
	v_cndmask_b32_e32 v31, v58, v57, vcc
	v_cndmask_b32_e32 v55, v55, v56, vcc
	v_lshlrev_b32_e32 v30, 24, v30
	v_bfrev_b32_e32 v56, 60
	v_lshlrev_b32_e32 v55, 20, v55
	v_and_b32_e32 v30, 0x80000000, v30
	v_lshl_add_u32 v31, v31, 23, v56
	v_or3_b32 v55, v30, v31, v55
.LBB548_251:
	s_or_b64 exec, exec, s[10:11]
.LBB548_252:
	s_or_b64 exec, exec, s[8:9]
.LBB548_253:
	s_or_b64 exec, exec, s[2:3]
	v_cvt_pkrtz_f16_f32 v30, v52, v44
	v_cvt_pkrtz_f16_f32 v31, v43, v53
	v_cmp_ne_u16_sdwa s[8:9], v32, v51 src0_sel:BYTE_0 src1_sel:DWORD
	s_nop 0
	v_mfma_f32_16x16x16f16 v[56:59], v[30:31], v[26:27], 0
	v_cvt_pkrtz_f16_f32 v30, v45, v54
	v_cvt_pkrtz_f16_f32 v31, v42, v55
	s_nop 1
	v_mfma_f32_16x16x16f16 v[42:45], v[30:31], v[28:29], v[56:59]
	s_and_saveexec_b64 s[2:3], s[8:9]
	s_cbranch_execz .LBB548_259
; %bb.254:
	s_movk_i32 s8, 0x80
	v_cmp_ne_u16_sdwa s[10:11], v32, s8 src0_sel:BYTE_0 src1_sel:DWORD
	v_bfrev_b32_e32 v51, 1
	s_and_saveexec_b64 s[8:9], s[10:11]
	s_cbranch_execz .LBB548_258
; %bb.255:
	s_movk_i32 s10, 0x7f
	v_and_b32_e32 v30, 0x7f, v32
	v_cmp_ne_u32_e32 vcc, s10, v30
	v_mov_b32_e32 v51, 0x7f800001
	s_and_saveexec_b64 s[10:11], vcc
	s_cbranch_execz .LBB548_257
; %bb.256:
	v_and_b32_e32 v31, 7, v32
	v_ffbh_u32_e32 v52, v31
	v_min_u32_e32 v54, 32, v52
	v_subrev_u32_e32 v52, 28, v54
	v_lshlrev_b64 v[52:53], v52, v[32:33]
	v_lshrrev_b32_e32 v51, 3, v30
	v_sub_u32_e32 v53, 29, v54
	v_and_b32_e32 v52, 7, v52
	v_cmp_gt_u32_e32 vcc, 8, v30
	v_cndmask_b32_e32 v30, v51, v53, vcc
	v_cndmask_b32_e32 v31, v31, v52, vcc
	v_lshlrev_b32_e32 v51, 24, v32
	v_bfrev_b32_e32 v52, 60
	v_lshlrev_b32_e32 v31, 20, v31
	v_and_b32_e32 v51, 0x80000000, v51
	v_lshl_add_u32 v30, v30, 23, v52
	v_or3_b32 v51, v51, v30, v31
.LBB548_257:
	s_or_b64 exec, exec, s[10:11]
.LBB548_258:
	s_or_b64 exec, exec, s[8:9]
.LBB548_259:
	s_or_b64 exec, exec, s[2:3]
	v_lshrrev_b16_e32 v30, 8, v32
	v_cmp_ne_u16_e32 vcc, 0, v30
	v_mov_b32_e32 v31, 0
	v_mov_b32_e32 v53, 0
	s_and_saveexec_b64 s[2:3], vcc
	s_cbranch_execz .LBB548_265
; %bb.260:
	s_movk_i32 s8, 0x80
	v_cmp_ne_u16_e32 vcc, s8, v30
	v_bfrev_b32_e32 v53, 1
	s_and_saveexec_b64 s[8:9], vcc
	s_cbranch_execz .LBB548_264
; %bb.261:
	s_movk_i32 s10, 0x7f
	v_and_b32_e32 v52, 0x7f, v30
	v_cmp_ne_u32_e32 vcc, s10, v52
	v_mov_b32_e32 v53, 0x7f800001
	s_and_saveexec_b64 s[10:11], vcc
	s_cbranch_execz .LBB548_263
; %bb.262:
	v_and_b32_e32 v53, 7, v30
	v_ffbh_u32_e32 v54, v53
	v_min_u32_e32 v57, 32, v54
	v_subrev_u32_e32 v54, 28, v57
	v_lshlrev_b64 v[54:55], v54, v[30:31]
	v_lshrrev_b32_e32 v56, 3, v52
	v_sub_u32_e32 v30, 29, v57
	v_and_b32_e32 v54, 7, v54
	v_cmp_gt_u32_e32 vcc, 8, v52
	v_cndmask_b32_e32 v30, v56, v30, vcc
	v_cndmask_b32_e32 v52, v53, v54, vcc
	v_lshlrev_b32_e32 v53, 16, v32
	v_bfrev_b32_e32 v54, 60
	v_lshlrev_b32_e32 v52, 20, v52
	v_and_b32_e32 v53, 0x80000000, v53
	v_lshl_add_u32 v30, v30, 23, v54
	v_or3_b32 v53, v53, v30, v52
.LBB548_263:
	s_or_b64 exec, exec, s[10:11]
.LBB548_264:
	s_or_b64 exec, exec, s[8:9]
.LBB548_265:
	s_or_b64 exec, exec, s[2:3]
	s_movk_i32 s2, 0xff
	v_and_b32_sdwa v52, v32, s2 dst_sel:DWORD dst_unused:UNUSED_PAD src0_sel:WORD_1 src1_sel:DWORD
	v_lshrrev_b32_e32 v30, 16, v32
	v_cmp_ne_u16_e32 vcc, 0, v52
	s_and_saveexec_b64 s[2:3], vcc
	s_cbranch_execz .LBB548_271
; %bb.266:
	s_movk_i32 s8, 0x80
	v_cmp_ne_u16_e32 vcc, s8, v52
	v_bfrev_b32_e32 v31, 1
	s_and_saveexec_b64 s[8:9], vcc
	s_cbranch_execz .LBB548_270
; %bb.267:
	v_bfe_u32 v52, v32, 16, 7
	s_movk_i32 s10, 0x7f
	v_cmp_ne_u32_e32 vcc, s10, v52
	v_mov_b32_e32 v31, 0x7f800001
	s_and_saveexec_b64 s[10:11], vcc
	s_cbranch_execz .LBB548_269
; %bb.268:
	v_and_b32_e32 v54, 7, v30
	v_ffbh_u32_e32 v31, v54
	v_min_u32_e32 v56, 32, v31
	v_subrev_u32_e32 v31, 28, v56
	v_lshlrev_b64 v[30:31], v31, v[30:31]
	v_lshrrev_b32_e32 v55, 3, v52
	v_sub_u32_e32 v31, 29, v56
	v_and_b32_e32 v30, 7, v30
	v_cmp_gt_u32_e32 vcc, 8, v52
	v_mov_b32_e32 v52, 24
	v_cndmask_b32_e32 v31, v55, v31, vcc
	v_cndmask_b32_e32 v30, v54, v30, vcc
	v_lshlrev_b32_sdwa v52, v52, v32 dst_sel:DWORD dst_unused:UNUSED_PAD src0_sel:DWORD src1_sel:WORD_1
	v_bfrev_b32_e32 v54, 60
	v_lshlrev_b32_e32 v30, 20, v30
	v_and_b32_e32 v52, 0x80000000, v52
	v_lshl_add_u32 v31, v31, 23, v54
	v_or3_b32 v31, v52, v31, v30
.LBB548_269:
	s_or_b64 exec, exec, s[10:11]
.LBB548_270:
	s_or_b64 exec, exec, s[8:9]
.LBB548_271:
	s_or_b64 exec, exec, s[2:3]
	s_mov_b32 s2, 0xffffff
	v_cmp_lt_u32_e32 vcc, s2, v32
	v_mov_b32_e32 v54, 0
	v_mov_b32_e32 v55, 0
	s_and_saveexec_b64 s[2:3], vcc
	s_cbranch_execz .LBB548_277
; %bb.272:
	v_lshrrev_b32_e32 v30, 24, v32
	s_movk_i32 s8, 0x80
	v_cmp_ne_u32_e32 vcc, s8, v30
	v_bfrev_b32_e32 v55, 1
	s_and_saveexec_b64 s[8:9], vcc
	s_cbranch_execz .LBB548_276
; %bb.273:
	v_bfe_u32 v32, v32, 24, 7
	s_movk_i32 s10, 0x7f
	v_cmp_ne_u32_e32 vcc, s10, v32
	v_mov_b32_e32 v55, 0x7f800001
	s_and_saveexec_b64 s[10:11], vcc
	s_cbranch_execz .LBB548_275
; %bb.274:
	v_and_b32_e32 v52, 7, v30
	v_ffbh_u32_e32 v56, v52
	v_min_u32_e32 v58, 32, v56
	v_subrev_u32_e32 v56, 28, v58
	v_lshlrev_b64 v[56:57], v56, v[30:31]
	v_lshrrev_b32_e32 v55, 3, v32
	v_sub_u32_e32 v57, 29, v58
	v_and_b32_e32 v56, 7, v56
	v_cmp_gt_u32_e32 vcc, 8, v32
	v_cndmask_b32_e32 v32, v55, v57, vcc
	v_cndmask_b32_e32 v52, v52, v56, vcc
	v_lshlrev_b32_e32 v30, 24, v30
	v_bfrev_b32_e32 v55, 60
	v_lshlrev_b32_e32 v52, 20, v52
	v_and_b32_e32 v30, 0x80000000, v30
	v_lshl_add_u32 v32, v32, 23, v55
	v_or3_b32 v55, v30, v32, v52
.LBB548_275:
	s_or_b64 exec, exec, s[10:11]
.LBB548_276:
	s_or_b64 exec, exec, s[8:9]
.LBB548_277:
	s_or_b64 exec, exec, s[2:3]
	v_cmp_ne_u16_sdwa s[8:9], v33, v54 src0_sel:BYTE_0 src1_sel:DWORD
	s_and_saveexec_b64 s[2:3], s[8:9]
	s_cbranch_execz .LBB548_283
; %bb.278:
	s_movk_i32 s8, 0x80
	v_cmp_ne_u16_sdwa s[10:11], v33, s8 src0_sel:BYTE_0 src1_sel:DWORD
	v_bfrev_b32_e32 v54, 1
	s_and_saveexec_b64 s[8:9], s[10:11]
	s_cbranch_execz .LBB548_282
; %bb.279:
	s_movk_i32 s10, 0x7f
	v_and_b32_e32 v30, 0x7f, v33
	v_cmp_ne_u32_e32 vcc, s10, v30
	v_mov_b32_e32 v54, 0x7f800001
	s_and_saveexec_b64 s[10:11], vcc
	s_cbranch_execz .LBB548_281
; %bb.280:
	v_and_b32_e32 v52, 7, v33
	v_ffbh_u32_e32 v56, v52
	v_min_u32_e32 v58, 32, v56
	v_mov_b32_e32 v32, v33
	v_subrev_u32_e32 v56, 28, v58
	v_lshlrev_b64 v[56:57], v56, v[32:33]
	v_lshrrev_b32_e32 v54, 3, v30
	v_sub_u32_e32 v32, 29, v58
	v_and_b32_e32 v56, 7, v56
	v_cmp_gt_u32_e32 vcc, 8, v30
	v_cndmask_b32_e32 v30, v54, v32, vcc
	v_cndmask_b32_e32 v32, v52, v56, vcc
	v_lshlrev_b32_e32 v52, 24, v33
	v_bfrev_b32_e32 v54, 60
	v_lshlrev_b32_e32 v32, 20, v32
	v_and_b32_e32 v52, 0x80000000, v52
	v_lshl_add_u32 v30, v30, 23, v54
	v_or3_b32 v54, v52, v30, v32
.LBB548_281:
	s_or_b64 exec, exec, s[10:11]
.LBB548_282:
	s_or_b64 exec, exec, s[8:9]
.LBB548_283:
	s_or_b64 exec, exec, s[2:3]
	v_lshrrev_b16_e32 v30, 8, v33
	v_cmp_ne_u16_e32 vcc, 0, v30
	v_mov_b32_e32 v32, 0
	v_mov_b32_e32 v56, 0
	s_and_saveexec_b64 s[2:3], vcc
	s_cbranch_execz .LBB548_289
; %bb.284:
	s_movk_i32 s8, 0x80
	v_cmp_ne_u16_e32 vcc, s8, v30
	v_bfrev_b32_e32 v56, 1
	s_and_saveexec_b64 s[8:9], vcc
	s_cbranch_execz .LBB548_288
; %bb.285:
	s_movk_i32 s10, 0x7f
	v_and_b32_e32 v52, 0x7f, v30
	v_cmp_ne_u32_e32 vcc, s10, v52
	v_mov_b32_e32 v56, 0x7f800001
	s_and_saveexec_b64 s[10:11], vcc
	s_cbranch_execz .LBB548_287
; %bb.286:
	v_and_b32_e32 v58, 7, v30
	v_ffbh_u32_e32 v56, v58
	v_min_u32_e32 v60, 32, v56
	v_subrev_u32_e32 v56, 28, v60
	v_lshlrev_b64 v[56:57], v56, v[30:31]
	v_lshrrev_b32_e32 v59, 3, v52
	v_sub_u32_e32 v30, 29, v60
	v_and_b32_e32 v56, 7, v56
	v_cmp_gt_u32_e32 vcc, 8, v52
	v_cndmask_b32_e32 v30, v59, v30, vcc
	v_cndmask_b32_e32 v52, v58, v56, vcc
	v_lshlrev_b32_e32 v56, 16, v33
	v_bfrev_b32_e32 v57, 60
	v_lshlrev_b32_e32 v52, 20, v52
	v_and_b32_e32 v56, 0x80000000, v56
	v_lshl_add_u32 v30, v30, 23, v57
	v_or3_b32 v56, v56, v30, v52
.LBB548_287:
	s_or_b64 exec, exec, s[10:11]
.LBB548_288:
	s_or_b64 exec, exec, s[8:9]
.LBB548_289:
	s_or_b64 exec, exec, s[2:3]
	s_movk_i32 s2, 0xff
	v_and_b32_sdwa v52, v33, s2 dst_sel:DWORD dst_unused:UNUSED_PAD src0_sel:WORD_1 src1_sel:DWORD
	v_lshrrev_b32_e32 v30, 16, v33
	v_cmp_ne_u16_e32 vcc, 0, v52
	s_and_saveexec_b64 s[2:3], vcc
	s_cbranch_execz .LBB548_295
; %bb.290:
	s_movk_i32 s8, 0x80
	v_cmp_ne_u16_e32 vcc, s8, v52
	v_bfrev_b32_e32 v32, 1
	s_and_saveexec_b64 s[8:9], vcc
	s_cbranch_execz .LBB548_294
; %bb.291:
	v_bfe_u32 v52, v33, 16, 7
	s_movk_i32 s10, 0x7f
	v_cmp_ne_u32_e32 vcc, s10, v52
	v_mov_b32_e32 v32, 0x7f800001
	s_and_saveexec_b64 s[10:11], vcc
	s_cbranch_execz .LBB548_293
; %bb.292:
	v_and_b32_e32 v32, 7, v30
	v_ffbh_u32_e32 v58, v32
	v_min_u32_e32 v60, 32, v58
	v_subrev_u32_e32 v58, 28, v60
	v_lshlrev_b64 v[58:59], v58, v[30:31]
	v_lshrrev_b32_e32 v57, 3, v52
	v_sub_u32_e32 v30, 29, v60
	v_and_b32_e32 v58, 7, v58
	v_cmp_gt_u32_e32 vcc, 8, v52
	v_mov_b32_e32 v52, 24
	v_cndmask_b32_e32 v30, v57, v30, vcc
	v_cndmask_b32_e32 v32, v32, v58, vcc
	v_lshlrev_b32_sdwa v52, v52, v33 dst_sel:DWORD dst_unused:UNUSED_PAD src0_sel:DWORD src1_sel:WORD_1
	v_bfrev_b32_e32 v57, 60
	v_lshlrev_b32_e32 v32, 20, v32
	v_and_b32_e32 v52, 0x80000000, v52
	v_lshl_add_u32 v30, v30, 23, v57
	v_or3_b32 v32, v52, v30, v32
.LBB548_293:
	s_or_b64 exec, exec, s[10:11]
.LBB548_294:
	s_or_b64 exec, exec, s[8:9]
.LBB548_295:
	s_or_b64 exec, exec, s[2:3]
	s_mov_b32 s2, 0xffffff
	v_cmp_lt_u32_e32 vcc, s2, v33
	v_mov_b32_e32 v52, 0
	v_mov_b32_e32 v57, 0
	s_and_saveexec_b64 s[2:3], vcc
	s_cbranch_execz .LBB548_301
; %bb.296:
	v_lshrrev_b32_e32 v30, 24, v33
	s_movk_i32 s8, 0x80
	v_cmp_ne_u32_e32 vcc, s8, v30
	v_bfrev_b32_e32 v57, 1
	s_and_saveexec_b64 s[8:9], vcc
	s_cbranch_execz .LBB548_300
; %bb.297:
	v_bfe_u32 v33, v33, 24, 7
	s_movk_i32 s10, 0x7f
	v_cmp_ne_u32_e32 vcc, s10, v33
	v_mov_b32_e32 v57, 0x7f800001
	s_and_saveexec_b64 s[10:11], vcc
	s_cbranch_execz .LBB548_299
; %bb.298:
	v_and_b32_e32 v57, 7, v30
	v_ffbh_u32_e32 v58, v57
	v_min_u32_e32 v61, 32, v58
	v_subrev_u32_e32 v58, 28, v61
	v_lshlrev_b64 v[58:59], v58, v[30:31]
	v_lshrrev_b32_e32 v60, 3, v33
	v_sub_u32_e32 v59, 29, v61
	v_and_b32_e32 v58, 7, v58
	v_cmp_gt_u32_e32 vcc, 8, v33
	v_cndmask_b32_e32 v33, v60, v59, vcc
	v_cndmask_b32_e32 v57, v57, v58, vcc
	v_lshlrev_b32_e32 v30, 24, v30
	v_bfrev_b32_e32 v58, 60
	v_lshlrev_b32_e32 v57, 20, v57
	v_and_b32_e32 v30, 0x80000000, v30
	v_lshl_add_u32 v33, v33, 23, v58
	v_or3_b32 v57, v30, v33, v57
.LBB548_299:
	s_or_b64 exec, exec, s[10:11]
.LBB548_300:
	s_or_b64 exec, exec, s[8:9]
.LBB548_301:
	s_or_b64 exec, exec, s[2:3]
	v_cvt_pkrtz_f16_f32 v30, v51, v53
	v_cvt_pkrtz_f16_f32 v31, v31, v55
	v_cmp_ne_u16_sdwa s[8:9], v22, v52 src0_sel:BYTE_0 src1_sel:DWORD
	s_nop 0
	v_mfma_f32_16x16x16f16 v[42:45], v[30:31], v[18:19], v[42:45]
	v_cvt_pkrtz_f16_f32 v30, v54, v56
	v_cvt_pkrtz_f16_f32 v31, v32, v57
	s_nop 1
	v_mfma_f32_16x16x16f16 v[30:33], v[30:31], v[20:21], v[42:45]
	s_and_saveexec_b64 s[2:3], s[8:9]
	s_cbranch_execz .LBB548_307
; %bb.302:
	s_movk_i32 s8, 0x80
	v_cmp_ne_u16_sdwa s[10:11], v22, s8 src0_sel:BYTE_0 src1_sel:DWORD
	v_bfrev_b32_e32 v52, 1
	s_and_saveexec_b64 s[8:9], s[10:11]
	s_cbranch_execz .LBB548_306
; %bb.303:
	s_movk_i32 s10, 0x7f
	v_and_b32_e32 v42, 0x7f, v22
	v_cmp_ne_u32_e32 vcc, s10, v42
	v_mov_b32_e32 v52, 0x7f800001
	s_and_saveexec_b64 s[10:11], vcc
	s_cbranch_execz .LBB548_305
; %bb.304:
	v_and_b32_e32 v43, 7, v22
	v_ffbh_u32_e32 v44, v43
	v_min_u32_e32 v52, 32, v44
	v_subrev_u32_e32 v44, 28, v52
	v_lshlrev_b64 v[44:45], v44, v[22:23]
	v_lshrrev_b32_e32 v51, 3, v42
	v_sub_u32_e32 v45, 29, v52
	v_and_b32_e32 v44, 7, v44
	v_cmp_gt_u32_e32 vcc, 8, v42
	v_cndmask_b32_e32 v42, v51, v45, vcc
	v_cndmask_b32_e32 v43, v43, v44, vcc
	v_lshlrev_b32_e32 v44, 24, v22
	v_bfrev_b32_e32 v45, 60
	v_lshlrev_b32_e32 v43, 20, v43
	v_and_b32_e32 v44, 0x80000000, v44
	v_lshl_add_u32 v42, v42, 23, v45
	v_or3_b32 v52, v44, v42, v43
.LBB548_305:
	s_or_b64 exec, exec, s[10:11]
.LBB548_306:
	s_or_b64 exec, exec, s[8:9]
.LBB548_307:
	s_or_b64 exec, exec, s[2:3]
	s_nop 3
	v_lshrrev_b16_e32 v42, 8, v22
	v_cmp_ne_u16_e32 vcc, 0, v42
	v_mov_b32_e32 v43, 0
	v_mov_b32_e32 v44, 0
	s_and_saveexec_b64 s[2:3], vcc
	s_cbranch_execz .LBB548_313
; %bb.308:
	s_movk_i32 s8, 0x80
	v_cmp_ne_u16_e32 vcc, s8, v42
	v_bfrev_b32_e32 v44, 1
	s_and_saveexec_b64 s[8:9], vcc
	s_cbranch_execz .LBB548_312
; %bb.309:
	s_movk_i32 s10, 0x7f
	v_and_b32_e32 v45, 0x7f, v42
	v_cmp_ne_u32_e32 vcc, s10, v45
	v_mov_b32_e32 v44, 0x7f800001
	s_and_saveexec_b64 s[10:11], vcc
	s_cbranch_execz .LBB548_311
; %bb.310:
	v_and_b32_e32 v44, 7, v42
	v_ffbh_u32_e32 v53, v44
	v_min_u32_e32 v53, 32, v53
	v_subrev_u32_e32 v54, 28, v53
	v_lshlrev_b64 v[54:55], v54, v[42:43]
	v_lshrrev_b32_e32 v51, 3, v45
	v_sub_u32_e32 v42, 29, v53
	v_and_b32_e32 v53, 7, v54
	v_cmp_gt_u32_e32 vcc, 8, v45
	v_cndmask_b32_e32 v42, v51, v42, vcc
	v_cndmask_b32_e32 v44, v44, v53, vcc
	v_lshlrev_b32_e32 v45, 16, v22
	v_bfrev_b32_e32 v51, 60
	v_lshlrev_b32_e32 v44, 20, v44
	v_and_b32_e32 v45, 0x80000000, v45
	v_lshl_add_u32 v42, v42, 23, v51
	v_or3_b32 v44, v45, v42, v44
.LBB548_311:
	s_or_b64 exec, exec, s[10:11]
.LBB548_312:
	s_or_b64 exec, exec, s[8:9]
.LBB548_313:
	s_or_b64 exec, exec, s[2:3]
	s_movk_i32 s2, 0xff
	v_and_b32_sdwa v45, v22, s2 dst_sel:DWORD dst_unused:UNUSED_PAD src0_sel:WORD_1 src1_sel:DWORD
	v_lshrrev_b32_e32 v42, 16, v22
	v_cmp_ne_u16_e32 vcc, 0, v45
	s_and_saveexec_b64 s[2:3], vcc
	s_cbranch_execz .LBB548_319
; %bb.314:
	s_movk_i32 s8, 0x80
	v_cmp_ne_u16_e32 vcc, s8, v45
	v_bfrev_b32_e32 v43, 1
	s_and_saveexec_b64 s[8:9], vcc
	s_cbranch_execz .LBB548_318
; %bb.315:
	v_bfe_u32 v45, v22, 16, 7
	s_movk_i32 s10, 0x7f
	v_cmp_ne_u32_e32 vcc, s10, v45
	v_mov_b32_e32 v43, 0x7f800001
	s_and_saveexec_b64 s[10:11], vcc
	s_cbranch_execz .LBB548_317
; %bb.316:
	v_and_b32_e32 v51, 7, v42
	v_ffbh_u32_e32 v43, v51
	v_min_u32_e32 v54, 32, v43
	v_subrev_u32_e32 v43, 28, v54
	v_lshlrev_b64 v[42:43], v43, v[42:43]
	v_lshrrev_b32_e32 v53, 3, v45
	v_sub_u32_e32 v43, 29, v54
	v_and_b32_e32 v42, 7, v42
	v_cmp_gt_u32_e32 vcc, 8, v45
	v_mov_b32_e32 v45, 24
	v_cndmask_b32_e32 v43, v53, v43, vcc
	v_cndmask_b32_e32 v42, v51, v42, vcc
	v_lshlrev_b32_sdwa v45, v45, v22 dst_sel:DWORD dst_unused:UNUSED_PAD src0_sel:DWORD src1_sel:WORD_1
	v_bfrev_b32_e32 v51, 60
	v_lshlrev_b32_e32 v42, 20, v42
	v_and_b32_e32 v45, 0x80000000, v45
	v_lshl_add_u32 v43, v43, 23, v51
	v_or3_b32 v43, v45, v43, v42
.LBB548_317:
	s_or_b64 exec, exec, s[10:11]
.LBB548_318:
	s_or_b64 exec, exec, s[8:9]
.LBB548_319:
	s_or_b64 exec, exec, s[2:3]
	s_mov_b32 s2, 0xffffff
	v_cmp_lt_u32_e32 vcc, s2, v22
	v_mov_b32_e32 v45, 0
	v_mov_b32_e32 v51, 0
	s_and_saveexec_b64 s[2:3], vcc
	s_cbranch_execz .LBB548_325
; %bb.320:
	v_lshrrev_b32_e32 v42, 24, v22
	s_movk_i32 s8, 0x80
	v_cmp_ne_u32_e32 vcc, s8, v42
	v_bfrev_b32_e32 v51, 1
	s_and_saveexec_b64 s[8:9], vcc
	s_cbranch_execz .LBB548_324
; %bb.321:
	v_bfe_u32 v22, v22, 24, 7
	s_movk_i32 s10, 0x7f
	v_cmp_ne_u32_e32 vcc, s10, v22
	v_mov_b32_e32 v51, 0x7f800001
	s_and_saveexec_b64 s[10:11], vcc
	s_cbranch_execz .LBB548_323
; %bb.322:
	v_and_b32_e32 v51, 7, v42
	v_ffbh_u32_e32 v54, v51
	v_min_u32_e32 v56, 32, v54
	v_subrev_u32_e32 v54, 28, v56
	v_lshlrev_b64 v[54:55], v54, v[42:43]
	v_lshrrev_b32_e32 v53, 3, v22
	v_sub_u32_e32 v55, 29, v56
	v_and_b32_e32 v54, 7, v54
	v_cmp_gt_u32_e32 vcc, 8, v22
	v_cndmask_b32_e32 v22, v53, v55, vcc
	v_cndmask_b32_e32 v51, v51, v54, vcc
	v_lshlrev_b32_e32 v42, 24, v42
	v_bfrev_b32_e32 v53, 60
	v_lshlrev_b32_e32 v51, 20, v51
	v_and_b32_e32 v42, 0x80000000, v42
	v_lshl_add_u32 v22, v22, 23, v53
	v_or3_b32 v51, v42, v22, v51
.LBB548_323:
	s_or_b64 exec, exec, s[10:11]
.LBB548_324:
	s_or_b64 exec, exec, s[8:9]
.LBB548_325:
	s_or_b64 exec, exec, s[2:3]
	v_cmp_ne_u16_sdwa s[8:9], v23, v45 src0_sel:BYTE_0 src1_sel:DWORD
	s_and_saveexec_b64 s[2:3], s[8:9]
	s_cbranch_execz .LBB548_331
; %bb.326:
	s_movk_i32 s8, 0x80
	v_cmp_ne_u16_sdwa s[10:11], v23, s8 src0_sel:BYTE_0 src1_sel:DWORD
	v_bfrev_b32_e32 v45, 1
	s_and_saveexec_b64 s[8:9], s[10:11]
	s_cbranch_execz .LBB548_330
; %bb.327:
	s_movk_i32 s10, 0x7f
	v_and_b32_e32 v22, 0x7f, v23
	v_cmp_ne_u32_e32 vcc, s10, v22
	v_mov_b32_e32 v45, 0x7f800001
	s_and_saveexec_b64 s[10:11], vcc
	s_cbranch_execz .LBB548_329
; %bb.328:
	v_and_b32_e32 v45, 7, v23
	v_ffbh_u32_e32 v54, v45
	v_min_u32_e32 v56, 32, v54
	v_mov_b32_e32 v42, v23
	v_subrev_u32_e32 v54, 28, v56
	v_lshlrev_b64 v[54:55], v54, v[42:43]
	v_lshrrev_b32_e32 v53, 3, v22
	v_sub_u32_e32 v42, 29, v56
	v_and_b32_e32 v54, 7, v54
	v_cmp_gt_u32_e32 vcc, 8, v22
	v_cndmask_b32_e32 v22, v53, v42, vcc
	v_cndmask_b32_e32 v42, v45, v54, vcc
	v_lshlrev_b32_e32 v45, 24, v23
	v_bfrev_b32_e32 v53, 60
	v_lshlrev_b32_e32 v42, 20, v42
	v_and_b32_e32 v45, 0x80000000, v45
	v_lshl_add_u32 v22, v22, 23, v53
	v_or3_b32 v45, v45, v22, v42
.LBB548_329:
	s_or_b64 exec, exec, s[10:11]
.LBB548_330:
	s_or_b64 exec, exec, s[8:9]
.LBB548_331:
	s_or_b64 exec, exec, s[2:3]
	v_lshrrev_b16_e32 v22, 8, v23
	v_cmp_ne_u16_e32 vcc, 0, v22
	v_mov_b32_e32 v53, 0
	v_mov_b32_e32 v54, 0
	s_and_saveexec_b64 s[2:3], vcc
	s_cbranch_execz .LBB548_337
; %bb.332:
	s_movk_i32 s8, 0x80
	v_cmp_ne_u16_e32 vcc, s8, v22
	v_bfrev_b32_e32 v54, 1
	s_and_saveexec_b64 s[8:9], vcc
	s_cbranch_execz .LBB548_336
; %bb.333:
	s_movk_i32 s10, 0x7f
	v_and_b32_e32 v42, 0x7f, v22
	v_cmp_ne_u32_e32 vcc, s10, v42
	v_mov_b32_e32 v54, 0x7f800001
	s_and_saveexec_b64 s[10:11], vcc
	s_cbranch_execz .LBB548_335
; %bb.334:
	v_and_b32_e32 v56, 7, v22
	v_ffbh_u32_e32 v54, v56
	v_min_u32_e32 v58, 32, v54
	v_subrev_u32_e32 v54, 28, v58
	v_lshlrev_b64 v[54:55], v54, v[22:23]
	v_lshrrev_b32_e32 v57, 3, v42
	v_sub_u32_e32 v22, 29, v58
	v_and_b32_e32 v54, 7, v54
	v_cmp_gt_u32_e32 vcc, 8, v42
	v_cndmask_b32_e32 v22, v57, v22, vcc
	v_cndmask_b32_e32 v42, v56, v54, vcc
	v_lshlrev_b32_e32 v54, 16, v23
	v_bfrev_b32_e32 v55, 60
	v_lshlrev_b32_e32 v42, 20, v42
	v_and_b32_e32 v54, 0x80000000, v54
	v_lshl_add_u32 v22, v22, 23, v55
	v_or3_b32 v54, v54, v22, v42
.LBB548_335:
	s_or_b64 exec, exec, s[10:11]
.LBB548_336:
	s_or_b64 exec, exec, s[8:9]
.LBB548_337:
	s_or_b64 exec, exec, s[2:3]
	s_movk_i32 s2, 0xff
	v_and_b32_sdwa v42, v23, s2 dst_sel:DWORD dst_unused:UNUSED_PAD src0_sel:WORD_1 src1_sel:DWORD
	v_lshrrev_b32_e32 v22, 16, v23
	v_cmp_ne_u16_e32 vcc, 0, v42
	s_and_saveexec_b64 s[2:3], vcc
	s_cbranch_execz .LBB548_343
; %bb.338:
	s_movk_i32 s8, 0x80
	v_cmp_ne_u16_e32 vcc, s8, v42
	v_bfrev_b32_e32 v53, 1
	s_and_saveexec_b64 s[8:9], vcc
	s_cbranch_execz .LBB548_342
; %bb.339:
	v_bfe_u32 v42, v23, 16, 7
	s_movk_i32 s10, 0x7f
	v_cmp_ne_u32_e32 vcc, s10, v42
	v_mov_b32_e32 v53, 0x7f800001
	s_and_saveexec_b64 s[10:11], vcc
	s_cbranch_execz .LBB548_341
; %bb.340:
	v_and_b32_e32 v53, 7, v22
	v_ffbh_u32_e32 v56, v53
	v_min_u32_e32 v58, 32, v56
	v_subrev_u32_e32 v56, 28, v58
	v_lshlrev_b64 v[56:57], v56, v[22:23]
	v_and_b32_e32 v56, 7, v56
	v_cmp_gt_u32_e32 vcc, 8, v42
	v_lshrrev_b32_e32 v55, 3, v42
	v_sub_u32_e32 v22, 29, v58
	v_cndmask_b32_e32 v42, v53, v56, vcc
	v_mov_b32_e32 v53, 24
	v_cndmask_b32_e32 v22, v55, v22, vcc
	v_lshlrev_b32_sdwa v53, v53, v23 dst_sel:DWORD dst_unused:UNUSED_PAD src0_sel:DWORD src1_sel:WORD_1
	v_bfrev_b32_e32 v55, 60
	v_lshlrev_b32_e32 v42, 20, v42
	v_and_b32_e32 v53, 0x80000000, v53
	v_lshl_add_u32 v22, v22, 23, v55
	v_or3_b32 v53, v53, v22, v42
.LBB548_341:
	s_or_b64 exec, exec, s[10:11]
.LBB548_342:
	s_or_b64 exec, exec, s[8:9]
.LBB548_343:
	s_or_b64 exec, exec, s[2:3]
	s_mov_b32 s2, 0xffffff
	v_cmp_lt_u32_e32 vcc, s2, v23
	v_mov_b32_e32 v42, 0
	v_mov_b32_e32 v55, 0
	s_and_saveexec_b64 s[2:3], vcc
	s_cbranch_execz .LBB548_349
; %bb.344:
	v_lshrrev_b32_e32 v22, 24, v23
	s_movk_i32 s8, 0x80
	v_cmp_ne_u32_e32 vcc, s8, v22
	v_bfrev_b32_e32 v55, 1
	s_and_saveexec_b64 s[8:9], vcc
	s_cbranch_execz .LBB548_348
; %bb.345:
	v_bfe_u32 v23, v23, 24, 7
	s_movk_i32 s10, 0x7f
	v_cmp_ne_u32_e32 vcc, s10, v23
	v_mov_b32_e32 v55, 0x7f800001
	s_and_saveexec_b64 s[10:11], vcc
	s_cbranch_execz .LBB548_347
; %bb.346:
	v_and_b32_e32 v55, 7, v22
	v_ffbh_u32_e32 v56, v55
	v_min_u32_e32 v59, 32, v56
	v_subrev_u32_e32 v56, 28, v59
	v_lshlrev_b64 v[56:57], v56, v[22:23]
	v_lshrrev_b32_e32 v58, 3, v23
	v_sub_u32_e32 v57, 29, v59
	v_and_b32_e32 v56, 7, v56
	v_cmp_gt_u32_e32 vcc, 8, v23
	v_cndmask_b32_e32 v23, v58, v57, vcc
	v_cndmask_b32_e32 v55, v55, v56, vcc
	v_lshlrev_b32_e32 v22, 24, v22
	v_bfrev_b32_e32 v56, 60
	v_lshlrev_b32_e32 v55, 20, v55
	v_and_b32_e32 v22, 0x80000000, v22
	v_lshl_add_u32 v23, v23, 23, v56
	v_or3_b32 v55, v22, v23, v55
.LBB548_347:
	s_or_b64 exec, exec, s[10:11]
.LBB548_348:
	s_or_b64 exec, exec, s[8:9]
.LBB548_349:
	s_or_b64 exec, exec, s[2:3]
	v_cvt_pkrtz_f16_f32 v22, v52, v44
	v_cvt_pkrtz_f16_f32 v23, v43, v51
	v_cmp_ne_u16_sdwa s[8:9], v24, v42 src0_sel:BYTE_0 src1_sel:DWORD
	s_nop 0
	v_mfma_f32_16x16x16f16 v[56:59], v[22:23], v[26:27], 0
	v_cvt_pkrtz_f16_f32 v22, v45, v54
	v_cvt_pkrtz_f16_f32 v23, v53, v55
	s_nop 1
	v_mfma_f32_16x16x16f16 v[26:29], v[22:23], v[28:29], v[56:59]
	s_and_saveexec_b64 s[2:3], s[8:9]
	s_cbranch_execz .LBB548_355
; %bb.350:
	s_movk_i32 s8, 0x80
	v_cmp_ne_u16_sdwa s[10:11], v24, s8 src0_sel:BYTE_0 src1_sel:DWORD
	v_bfrev_b32_e32 v42, 1
	s_and_saveexec_b64 s[8:9], s[10:11]
	s_cbranch_execz .LBB548_354
; %bb.351:
	s_movk_i32 s10, 0x7f
	v_and_b32_e32 v22, 0x7f, v24
	v_cmp_ne_u32_e32 vcc, s10, v22
	v_mov_b32_e32 v42, 0x7f800001
	s_and_saveexec_b64 s[10:11], vcc
	s_cbranch_execz .LBB548_353
; %bb.352:
	v_and_b32_e32 v23, 7, v24
	v_ffbh_u32_e32 v42, v23
	v_min_u32_e32 v45, 32, v42
	v_subrev_u32_e32 v42, 28, v45
	v_lshlrev_b64 v[42:43], v42, v[24:25]
	v_lshrrev_b32_e32 v44, 3, v22
	v_sub_u32_e32 v43, 29, v45
	v_and_b32_e32 v42, 7, v42
	v_cmp_gt_u32_e32 vcc, 8, v22
	v_cndmask_b32_e32 v22, v44, v43, vcc
	v_cndmask_b32_e32 v23, v23, v42, vcc
	v_lshlrev_b32_e32 v42, 24, v24
	v_bfrev_b32_e32 v43, 60
	v_lshlrev_b32_e32 v23, 20, v23
	v_and_b32_e32 v42, 0x80000000, v42
	v_lshl_add_u32 v22, v22, 23, v43
	v_or3_b32 v42, v42, v22, v23
.LBB548_353:
	s_or_b64 exec, exec, s[10:11]
.LBB548_354:
	s_or_b64 exec, exec, s[8:9]
.LBB548_355:
	s_or_b64 exec, exec, s[2:3]
	v_lshrrev_b16_e32 v22, 8, v24
	v_cmp_ne_u16_e32 vcc, 0, v22
	v_mov_b32_e32 v23, 0
	v_mov_b32_e32 v43, 0
	s_and_saveexec_b64 s[2:3], vcc
	s_cbranch_execz .LBB548_361
; %bb.356:
	s_movk_i32 s8, 0x80
	v_cmp_ne_u16_e32 vcc, s8, v22
	v_bfrev_b32_e32 v43, 1
	s_and_saveexec_b64 s[8:9], vcc
	s_cbranch_execz .LBB548_360
; %bb.357:
	s_movk_i32 s10, 0x7f
	v_and_b32_e32 v44, 0x7f, v22
	v_cmp_ne_u32_e32 vcc, s10, v44
	v_mov_b32_e32 v43, 0x7f800001
	s_and_saveexec_b64 s[10:11], vcc
	s_cbranch_execz .LBB548_359
; %bb.358:
	v_and_b32_e32 v43, 7, v22
	v_ffbh_u32_e32 v51, v43
	v_min_u32_e32 v51, 32, v51
	v_subrev_u32_e32 v52, 28, v51
	v_lshlrev_b64 v[52:53], v52, v[22:23]
	v_lshrrev_b32_e32 v45, 3, v44
	v_sub_u32_e32 v22, 29, v51
	v_and_b32_e32 v51, 7, v52
	v_cmp_gt_u32_e32 vcc, 8, v44
	v_cndmask_b32_e32 v22, v45, v22, vcc
	v_cndmask_b32_e32 v43, v43, v51, vcc
	v_lshlrev_b32_e32 v44, 16, v24
	v_bfrev_b32_e32 v45, 60
	v_lshlrev_b32_e32 v43, 20, v43
	v_and_b32_e32 v44, 0x80000000, v44
	v_lshl_add_u32 v22, v22, 23, v45
	v_or3_b32 v43, v44, v22, v43
.LBB548_359:
	s_or_b64 exec, exec, s[10:11]
.LBB548_360:
	s_or_b64 exec, exec, s[8:9]
.LBB548_361:
	s_or_b64 exec, exec, s[2:3]
	s_movk_i32 s2, 0xff
	v_and_b32_sdwa v44, v24, s2 dst_sel:DWORD dst_unused:UNUSED_PAD src0_sel:WORD_1 src1_sel:DWORD
	v_lshrrev_b32_e32 v22, 16, v24
	v_cmp_ne_u16_e32 vcc, 0, v44
	s_and_saveexec_b64 s[2:3], vcc
	s_cbranch_execz .LBB548_367
; %bb.362:
	s_movk_i32 s8, 0x80
	v_cmp_ne_u16_e32 vcc, s8, v44
	v_bfrev_b32_e32 v23, 1
	s_and_saveexec_b64 s[8:9], vcc
	s_cbranch_execz .LBB548_366
; %bb.363:
	v_bfe_u32 v44, v24, 16, 7
	s_movk_i32 s10, 0x7f
	v_cmp_ne_u32_e32 vcc, s10, v44
	v_mov_b32_e32 v23, 0x7f800001
	s_and_saveexec_b64 s[10:11], vcc
	s_cbranch_execz .LBB548_365
; %bb.364:
	v_and_b32_e32 v45, 7, v22
	v_ffbh_u32_e32 v23, v45
	v_min_u32_e32 v52, 32, v23
	v_subrev_u32_e32 v23, 28, v52
	v_lshlrev_b64 v[22:23], v23, v[22:23]
	v_lshrrev_b32_e32 v51, 3, v44
	v_sub_u32_e32 v23, 29, v52
	v_and_b32_e32 v22, 7, v22
	v_cmp_gt_u32_e32 vcc, 8, v44
	v_mov_b32_e32 v44, 24
	v_cndmask_b32_e32 v23, v51, v23, vcc
	v_cndmask_b32_e32 v22, v45, v22, vcc
	v_lshlrev_b32_sdwa v44, v44, v24 dst_sel:DWORD dst_unused:UNUSED_PAD src0_sel:DWORD src1_sel:WORD_1
	v_bfrev_b32_e32 v45, 60
	v_lshlrev_b32_e32 v22, 20, v22
	v_and_b32_e32 v44, 0x80000000, v44
	v_lshl_add_u32 v23, v23, 23, v45
	v_or3_b32 v23, v44, v23, v22
.LBB548_365:
	s_or_b64 exec, exec, s[10:11]
.LBB548_366:
	s_or_b64 exec, exec, s[8:9]
.LBB548_367:
	s_or_b64 exec, exec, s[2:3]
	s_mov_b32 s2, 0xffffff
	v_cmp_lt_u32_e32 vcc, s2, v24
	v_mov_b32_e32 v45, 0
	v_mov_b32_e32 v51, 0
	s_and_saveexec_b64 s[2:3], vcc
	s_cbranch_execz .LBB548_373
; %bb.368:
	v_lshrrev_b32_e32 v22, 24, v24
	s_movk_i32 s8, 0x80
	v_cmp_ne_u32_e32 vcc, s8, v22
	v_bfrev_b32_e32 v51, 1
	s_and_saveexec_b64 s[8:9], vcc
	s_cbranch_execz .LBB548_372
; %bb.369:
	v_bfe_u32 v24, v24, 24, 7
	s_movk_i32 s10, 0x7f
	v_cmp_ne_u32_e32 vcc, s10, v24
	v_mov_b32_e32 v51, 0x7f800001
	s_and_saveexec_b64 s[10:11], vcc
	s_cbranch_execz .LBB548_371
; %bb.370:
	v_and_b32_e32 v44, 7, v22
	v_ffbh_u32_e32 v52, v44
	v_min_u32_e32 v54, 32, v52
	v_subrev_u32_e32 v52, 28, v54
	v_lshlrev_b64 v[52:53], v52, v[22:23]
	v_lshrrev_b32_e32 v51, 3, v24
	v_sub_u32_e32 v53, 29, v54
	v_and_b32_e32 v52, 7, v52
	v_cmp_gt_u32_e32 vcc, 8, v24
	v_cndmask_b32_e32 v24, v51, v53, vcc
	v_cndmask_b32_e32 v44, v44, v52, vcc
	v_lshlrev_b32_e32 v22, 24, v22
	v_bfrev_b32_e32 v51, 60
	v_lshlrev_b32_e32 v44, 20, v44
	v_and_b32_e32 v22, 0x80000000, v22
	v_lshl_add_u32 v24, v24, 23, v51
	v_or3_b32 v51, v22, v24, v44
.LBB548_371:
	s_or_b64 exec, exec, s[10:11]
.LBB548_372:
	s_or_b64 exec, exec, s[8:9]
.LBB548_373:
	s_or_b64 exec, exec, s[2:3]
	v_cmp_ne_u16_sdwa s[8:9], v25, v45 src0_sel:BYTE_0 src1_sel:DWORD
	s_and_saveexec_b64 s[2:3], s[8:9]
	s_cbranch_execz .LBB548_379
; %bb.374:
	s_movk_i32 s8, 0x80
	v_cmp_ne_u16_sdwa s[10:11], v25, s8 src0_sel:BYTE_0 src1_sel:DWORD
	v_bfrev_b32_e32 v45, 1
	s_and_saveexec_b64 s[8:9], s[10:11]
	s_cbranch_execz .LBB548_378
; %bb.375:
	s_movk_i32 s10, 0x7f
	v_and_b32_e32 v22, 0x7f, v25
	v_cmp_ne_u32_e32 vcc, s10, v22
	v_mov_b32_e32 v45, 0x7f800001
	s_and_saveexec_b64 s[10:11], vcc
	s_cbranch_execz .LBB548_377
; %bb.376:
	v_and_b32_e32 v52, 7, v25
	v_ffbh_u32_e32 v44, v52
	v_min_u32_e32 v54, 32, v44
	v_mov_b32_e32 v24, v25
	v_subrev_u32_e32 v44, 28, v54
	v_lshlrev_b64 v[44:45], v44, v[24:25]
	v_lshrrev_b32_e32 v53, 3, v22
	v_sub_u32_e32 v24, 29, v54
	v_and_b32_e32 v44, 7, v44
	v_cmp_gt_u32_e32 vcc, 8, v22
	v_cndmask_b32_e32 v22, v53, v24, vcc
	v_cndmask_b32_e32 v24, v52, v44, vcc
	v_lshlrev_b32_e32 v44, 24, v25
	v_bfrev_b32_e32 v45, 60
	v_lshlrev_b32_e32 v24, 20, v24
	v_and_b32_e32 v44, 0x80000000, v44
	v_lshl_add_u32 v22, v22, 23, v45
	v_or3_b32 v45, v44, v22, v24
.LBB548_377:
	s_or_b64 exec, exec, s[10:11]
.LBB548_378:
	s_or_b64 exec, exec, s[8:9]
.LBB548_379:
	s_or_b64 exec, exec, s[2:3]
	v_lshrrev_b16_e32 v22, 8, v25
	v_cmp_ne_u16_e32 vcc, 0, v22
	v_mov_b32_e32 v52, 0
	v_mov_b32_e32 v53, 0
	s_and_saveexec_b64 s[2:3], vcc
	s_cbranch_execz .LBB548_385
; %bb.380:
	s_movk_i32 s8, 0x80
	v_cmp_ne_u16_e32 vcc, s8, v22
	v_bfrev_b32_e32 v53, 1
	s_and_saveexec_b64 s[8:9], vcc
	s_cbranch_execz .LBB548_384
; %bb.381:
	s_movk_i32 s10, 0x7f
	v_and_b32_e32 v24, 0x7f, v22
	v_cmp_ne_u32_e32 vcc, s10, v24
	v_mov_b32_e32 v53, 0x7f800001
	s_and_saveexec_b64 s[10:11], vcc
	s_cbranch_execz .LBB548_383
; %bb.382:
	v_and_b32_e32 v44, 7, v22
	v_ffbh_u32_e32 v54, v44
	v_min_u32_e32 v56, 32, v54
	v_subrev_u32_e32 v54, 28, v56
	v_lshlrev_b64 v[54:55], v54, v[22:23]
	v_lshrrev_b32_e32 v53, 3, v24
	v_sub_u32_e32 v22, 29, v56
	v_and_b32_e32 v54, 7, v54
	v_cmp_gt_u32_e32 vcc, 8, v24
	v_cndmask_b32_e32 v22, v53, v22, vcc
	v_cndmask_b32_e32 v24, v44, v54, vcc
	v_lshlrev_b32_e32 v44, 16, v25
	v_bfrev_b32_e32 v53, 60
	v_lshlrev_b32_e32 v24, 20, v24
	v_and_b32_e32 v44, 0x80000000, v44
	v_lshl_add_u32 v22, v22, 23, v53
	v_or3_b32 v53, v44, v22, v24
.LBB548_383:
	s_or_b64 exec, exec, s[10:11]
.LBB548_384:
	s_or_b64 exec, exec, s[8:9]
.LBB548_385:
	s_or_b64 exec, exec, s[2:3]
	s_movk_i32 s2, 0xff
	v_and_b32_sdwa v24, v25, s2 dst_sel:DWORD dst_unused:UNUSED_PAD src0_sel:WORD_1 src1_sel:DWORD
	v_lshrrev_b32_e32 v22, 16, v25
	v_cmp_ne_u16_e32 vcc, 0, v24
	s_and_saveexec_b64 s[2:3], vcc
	s_cbranch_execz .LBB548_391
; %bb.386:
	s_movk_i32 s8, 0x80
	v_cmp_ne_u16_e32 vcc, s8, v24
	v_bfrev_b32_e32 v52, 1
	s_and_saveexec_b64 s[8:9], vcc
	s_cbranch_execz .LBB548_390
; %bb.387:
	v_bfe_u32 v24, v25, 16, 7
	s_movk_i32 s10, 0x7f
	v_cmp_ne_u32_e32 vcc, s10, v24
	v_mov_b32_e32 v52, 0x7f800001
	s_and_saveexec_b64 s[10:11], vcc
	s_cbranch_execz .LBB548_389
; %bb.388:
	v_and_b32_e32 v44, 7, v22
	v_ffbh_u32_e32 v54, v44
	v_min_u32_e32 v56, 32, v54
	v_subrev_u32_e32 v54, 28, v56
	v_lshlrev_b64 v[54:55], v54, v[22:23]
	v_and_b32_e32 v54, 7, v54
	v_cmp_gt_u32_e32 vcc, 8, v24
	v_lshrrev_b32_e32 v52, 3, v24
	v_sub_u32_e32 v22, 29, v56
	v_cndmask_b32_e32 v24, v44, v54, vcc
	v_mov_b32_e32 v44, 24
	v_cndmask_b32_e32 v22, v52, v22, vcc
	v_lshlrev_b32_sdwa v44, v44, v25 dst_sel:DWORD dst_unused:UNUSED_PAD src0_sel:DWORD src1_sel:WORD_1
	v_bfrev_b32_e32 v52, 60
	v_lshlrev_b32_e32 v24, 20, v24
	v_and_b32_e32 v44, 0x80000000, v44
	v_lshl_add_u32 v22, v22, 23, v52
	v_or3_b32 v52, v44, v22, v24
.LBB548_389:
	s_or_b64 exec, exec, s[10:11]
.LBB548_390:
	s_or_b64 exec, exec, s[8:9]
.LBB548_391:
	s_or_b64 exec, exec, s[2:3]
	s_mov_b32 s2, 0xffffff
	v_and_b32_e32 v44, 63, v0
	v_cmp_lt_u32_e32 vcc, s2, v25
	v_mov_b32_e32 v54, 0
	s_and_saveexec_b64 s[2:3], vcc
	s_cbranch_execz .LBB548_397
; %bb.392:
	v_lshrrev_b32_e32 v22, 24, v25
	s_movk_i32 s8, 0x80
	v_cmp_ne_u32_e32 vcc, s8, v22
	v_bfrev_b32_e32 v54, 1
	s_and_saveexec_b64 s[8:9], vcc
	s_cbranch_execz .LBB548_396
; %bb.393:
	v_bfe_u32 v24, v25, 24, 7
	s_movk_i32 s10, 0x7f
	v_cmp_ne_u32_e32 vcc, s10, v24
	v_mov_b32_e32 v54, 0x7f800001
	s_and_saveexec_b64 s[10:11], vcc
	s_cbranch_execz .LBB548_395
; %bb.394:
	v_and_b32_e32 v25, 7, v22
	v_ffbh_u32_e32 v54, v25
	v_min_u32_e32 v57, 32, v54
	v_subrev_u32_e32 v54, 28, v57
	v_lshlrev_b64 v[54:55], v54, v[22:23]
	v_lshrrev_b32_e32 v56, 3, v24
	v_sub_u32_e32 v55, 29, v57
	v_and_b32_e32 v54, 7, v54
	v_cmp_gt_u32_e32 vcc, 8, v24
	v_cndmask_b32_e32 v24, v56, v55, vcc
	v_cndmask_b32_e32 v25, v25, v54, vcc
	v_lshlrev_b32_e32 v22, 24, v22
	v_bfrev_b32_e32 v54, 60
	v_lshlrev_b32_e32 v25, 20, v25
	v_and_b32_e32 v22, 0x80000000, v22
	v_lshl_add_u32 v24, v24, 23, v54
	v_or3_b32 v54, v22, v24, v25
.LBB548_395:
	s_or_b64 exec, exec, s[10:11]
.LBB548_396:
	s_or_b64 exec, exec, s[8:9]
.LBB548_397:
	s_or_b64 exec, exec, s[2:3]
	v_cvt_pkrtz_f16_f32 v42, v42, v43
	v_cvt_pkrtz_f16_f32 v43, v23, v51
	s_load_dword s2, s[4:5], 0x1c
	s_mov_b32 s46, 0xff7fffff
	s_waitcnt lgkmcnt(0)
	v_mfma_f32_16x16x16f16 v[26:29], v[42:43], v[18:19], v[26:29]
	v_cvt_pkrtz_f16_f32 v18, v45, v53
	v_cvt_pkrtz_f16_f32 v19, v52, v54
	v_mov_b32_e32 v22, s2
	v_mul_f32_e32 v56, s12, v22
	v_pk_mul_f32 v[22:23], v[56:57], v[32:33] op_sel_hi:[0,1]
	v_pk_mul_f32 v[32:33], v[56:57], v[38:39] op_sel_hi:[0,1]
	v_and_b32_e32 v38, 0xc0, v0
	v_mfma_f32_16x16x16f16 v[26:29], v[18:19], v[20:21], v[26:29]
	v_add_u32_e32 v38, s18, v38
	v_lshl_or_b32 v38, v1, 2, v38
	v_or_b32_e32 v39, 1, v38
	v_pk_mul_f32 v[24:25], v[56:57], v[30:31] op_sel_hi:[0,1]
	v_pk_mul_f32 v[30:31], v[56:57], v[40:41] op_sel_hi:[0,1]
	v_subrev_u32_e32 v40, s33, v39
	v_pk_mul_f32 v[34:35], v[56:57], v[34:35] op_sel_hi:[0,1]
	s_nop 3
	v_pk_mul_f32 v[20:21], v[56:57], v[26:27] op_sel_hi:[0,1]
	v_add_u32_e32 v27, 1, v40
	v_pk_mul_f32 v[18:19], v[56:57], v[28:29] op_sel_hi:[0,1]
	v_cvt_f32_i32_e32 v27, v27
	v_add_u32_e32 v29, 3, v40
	v_cvt_f32_i32_e32 v29, v29
	v_cvt_f32_i32_e32 v26, v40
	v_pk_mul_f32 v[36:37], v[56:57], v[36:37] op_sel_hi:[0,1]
	v_fmac_f32_e32 v35, v50, v27
	v_add_u32_e32 v27, 16, v40
	v_fmac_f32_e32 v37, v50, v29
	v_cvt_f32_i32_e32 v27, v27
	v_add_u32_e32 v29, 17, v40
	v_fma_f32 v26, v50, v26, v34
	v_cvt_f32_i32_e32 v29, v29
	v_add_u32_e32 v34, 18, v40
	v_cvt_f32_i32_e32 v34, v34
	v_fma_f32 v41, v50, v27, v32
	v_add_u32_e32 v27, 32, v40
	v_fmac_f32_e32 v33, v50, v29
	v_cvt_f32_i32_e32 v27, v27
	v_add_u32_e32 v29, 33, v40
	v_add_u32_e32 v32, 34, v40
	v_fma_f32 v30, v50, v34, v30
	v_cvt_f32_i32_e32 v29, v29
	v_cvt_f32_i32_e32 v32, v32
	v_add_u32_e32 v34, 35, v40
	v_cvt_f32_i32_e32 v34, v34
	v_fma_f32 v24, v50, v27, v24
	v_add_u32_e32 v27, 48, v40
	v_fmac_f32_e32 v25, v50, v29
	v_fma_f32 v22, v50, v32, v22
	v_cvt_f32_i32_e32 v27, v27
	v_add_u32_e32 v29, 49, v40
	v_add_u32_e32 v32, 50, v40
	v_fmac_f32_e32 v23, v50, v34
	v_cvt_f32_i32_e32 v29, v29
	v_cvt_f32_i32_e32 v32, v32
	v_add_u32_e32 v34, 51, v40
	v_add_u32_e32 v28, 2, v40
	v_cvt_f32_i32_e32 v34, v34
	v_cvt_f32_i32_e32 v28, v28
	v_fma_f32 v20, v50, v27, v20
	v_mov_b32_e32 v27, 0xff7fffff
	v_cmp_gt_i32_e64 s[26:27], s33, v38
	v_cmp_gt_i32_e64 s[28:29], s33, v39
	v_fmac_f32_e32 v21, v50, v29
	v_fma_f32 v18, v50, v32, v18
	v_cndmask_b32_e64 v29, v27, v26, s[26:27]
	v_cndmask_b32_e64 v32, v27, v35, s[28:29]
	v_fmac_f32_e32 v19, v50, v34
	v_max3_f32 v29, v29, s46, v32
	v_or_b32_e32 v32, 2, v38
	v_or_b32_e32 v34, 3, v38
	v_fma_f32 v28, v50, v28, v36
	v_cmp_gt_i32_e64 s[30:31], s33, v32
	v_cmp_gt_i32_e64 s[34:35], s33, v34
	v_add_u32_e32 v36, 19, v40
	v_cndmask_b32_e64 v32, v27, v28, s[30:31]
	v_cndmask_b32_e64 v34, v27, v37, s[34:35]
	v_cvt_f32_i32_e32 v36, v36
	v_max3_f32 v29, v29, v32, v34
	v_or_b32_e32 v32, 16, v38
	v_or_b32_e32 v34, 17, v38
	v_cmp_gt_i32_e64 s[36:37], s33, v32
	v_cmp_gt_i32_e64 s[38:39], s33, v34
	v_cndmask_b32_e64 v32, v27, v41, s[36:37]
	v_cndmask_b32_e64 v34, v27, v33, s[38:39]
	v_max3_f32 v29, v29, v32, v34
	v_or_b32_e32 v32, 18, v38
	v_or_b32_e32 v34, 19, v38
	v_fmac_f32_e32 v31, v50, v36
	v_cmp_gt_i32_e64 s[20:21], s33, v32
	v_cmp_gt_i32_e64 s[22:23], s33, v34
	v_cndmask_b32_e64 v32, v27, v30, s[20:21]
	v_cndmask_b32_e64 v34, v27, v31, s[22:23]
	v_max3_f32 v29, v29, v32, v34
	v_or_b32_e32 v32, 32, v38
	v_or_b32_e32 v34, 33, v38
	v_cmp_gt_i32_e64 s[16:17], s33, v32
	v_cmp_gt_i32_e64 s[18:19], s33, v34
	v_cndmask_b32_e64 v32, v27, v24, s[16:17]
	v_cndmask_b32_e64 v34, v27, v25, s[18:19]
	v_max3_f32 v29, v29, v32, v34
	v_or_b32_e32 v32, 34, v38
	v_or_b32_e32 v34, 35, v38
	;; [unrolled: 7-line block ×4, first 2 shown]
	v_cmp_gt_i32_e32 vcc, s33, v32
	v_cmp_gt_i32_e64 s[2:3], s33, v34
	v_cndmask_b32_e32 v32, v27, v18, vcc
	v_cndmask_b32_e64 v27, v27, v19, s[2:3]
	v_max3_f32 v27, v29, v32, v27
	v_mbcnt_lo_u32_b32 v29, -1, 0
	v_mbcnt_hi_u32_b32 v29, -1, v29
	v_and_b32_e32 v32, 64, v29
	v_add_u32_e32 v32, 64, v32
	v_xor_b32_e32 v34, 32, v29
	v_cmp_lt_i32_e64 s[40:41], v34, v32
	v_cndmask_b32_e64 v34, v29, v34, s[40:41]
	v_lshlrev_b32_e32 v36, 2, v34
	ds_bpermute_b32 v34, v36, v27
	s_barrier
	s_waitcnt lgkmcnt(0)
	v_max_f32_e32 v34, v34, v34
	v_max_f32_e32 v27, v27, v34
	v_xor_b32_e32 v34, 16, v29
	v_cmp_lt_i32_e64 s[40:41], v34, v32
	v_cndmask_b32_e64 v29, v29, v34, s[40:41]
	v_lshlrev_b32_e32 v38, 2, v29
	ds_bpermute_b32 v29, v38, v27
	s_waitcnt lgkmcnt(0)
	v_max_f32_e32 v29, v29, v29
	v_max_f32_e32 v32, v27, v29
	v_sub_f32_e32 v26, v26, v32
	v_mul_f32_e32 v26, 0x3fb8aa3b, v26
	v_sub_f32_e32 v27, v35, v32
	v_exp_f32_e32 v26, v26
	v_mul_f32_e32 v27, 0x3fb8aa3b, v27
	v_sub_f32_e32 v28, v28, v32
	v_exp_f32_e32 v27, v27
	v_mul_f32_e32 v28, 0x3fb8aa3b, v28
	v_exp_f32_e32 v28, v28
	v_cndmask_b32_e64 v26, 0, v26, s[26:27]
	v_sub_f32_e32 v34, v37, v32
	v_add_f32_e32 v29, 0, v26
	v_cndmask_b32_e64 v27, 0, v27, s[28:29]
	v_mul_f32_e32 v34, 0x3fb8aa3b, v34
	v_exp_f32_e32 v35, v34
	v_add_f32_e32 v29, v29, v27
	v_cndmask_b32_e64 v34, 0, v28, s[30:31]
	v_add_f32_e32 v28, v29, v34
	v_sub_f32_e32 v29, v41, v32
	v_mul_f32_e32 v29, 0x3fb8aa3b, v29
	v_sub_f32_e32 v33, v33, v32
	v_exp_f32_e32 v29, v29
	v_mul_f32_e32 v33, 0x3fb8aa3b, v33
	v_sub_f32_e32 v30, v30, v32
	v_exp_f32_e32 v33, v33
	;; [unrolled: 3-line block ×3, first 2 shown]
	v_mul_f32_e32 v31, 0x3fb8aa3b, v31
	v_sub_f32_e32 v24, v24, v32
	v_cndmask_b32_e64 v35, 0, v35, s[34:35]
	v_exp_f32_e32 v31, v31
	v_mul_f32_e32 v24, 0x3fb8aa3b, v24
	v_sub_f32_e32 v25, v25, v32
	v_add_f32_e32 v37, v28, v35
	v_cndmask_b32_e64 v28, 0, v29, s[36:37]
	v_exp_f32_e32 v24, v24
	v_mul_f32_e32 v25, 0x3fb8aa3b, v25
	v_sub_f32_e32 v22, v22, v32
	v_add_f32_e32 v37, v37, v28
	;; [unrolled: 5-line block ×7, first 2 shown]
	v_cndmask_b32_e64 v22, 0, v22, s[12:13]
	v_exp_f32_e32 v18, v18
	v_mul_f32_e32 v19, 0x3fb8aa3b, v19
	v_add_f32_e32 v33, v33, v22
	v_cndmask_b32_e64 v23, 0, v23, s[14:15]
	v_exp_f32_e32 v19, v19
	v_add_f32_e32 v33, v33, v23
	v_cndmask_b32_e64 v20, 0, v20, s[8:9]
	v_add_f32_e32 v33, v33, v20
	v_cndmask_b32_e64 v21, 0, v21, s[10:11]
	v_add_f32_e32 v33, v33, v21
	v_cndmask_b32_e32 v18, 0, v18, vcc
	v_add_f32_e32 v33, v33, v18
	v_cndmask_b32_e64 v19, 0, v19, s[2:3]
	v_add_f32_e32 v33, v33, v19
	ds_bpermute_b32 v36, v36, v33
	v_cmp_gt_u32_e32 vcc, 16, v44
	s_waitcnt lgkmcnt(0)
	v_add_f32_e32 v33, v33, v36
	ds_bpermute_b32 v37, v38, v33
	v_lshlrev_b32_e32 v36, 2, v48
	s_and_saveexec_b64 s[2:3], vcc
	s_cbranch_execz .LBB548_399
; %bb.398:
	s_waitcnt lgkmcnt(0)
	v_add_f32_e32 v33, v33, v37
	v_lshl_or_b32 v37, v49, 6, v36
	ds_write2st64_b32 v37, v32, v33 offset1:1
.LBB548_399:
	s_or_b64 exec, exec, s[2:3]
	s_waitcnt lgkmcnt(0)
	s_barrier
	ds_read2_b32 v[38:39], v36 offset1:16
	ds_read2_b32 v[40:41], v36 offset0:32 offset1:48
	ds_read2_b32 v[42:43], v36 offset0:64 offset1:80
	s_mul_i32 s12, s45, 7
	s_waitcnt lgkmcnt(2)
	v_max3_f32 v32, v38, s46, v39
	s_waitcnt lgkmcnt(1)
	v_max3_f32 v33, v32, v40, v41
	v_sub_f32_e32 v32, v38, v33
	v_mul_f32_e32 v32, 0x3fb8aa3b, v32
	v_exp_f32_e32 v37, v32
	v_sub_f32_e32 v32, v39, v33
	v_mul_f32_e32 v32, 0x3fb8aa3b, v32
	v_exp_f32_e32 v44, v32
	;; [unrolled: 3-line block ×3, first 2 shown]
	ds_read2_b32 v[38:39], v36 offset0:96 offset1:112
	v_sub_f32_e32 v32, v41, v33
	v_mul_f32_e32 v32, 0x3fb8aa3b, v32
	v_exp_f32_e32 v41, v32
	s_waitcnt lgkmcnt(1)
	v_fma_f32 v36, v37, v42, 0
	v_fmac_f32_e32 v36, v44, v43
	s_waitcnt lgkmcnt(0)
	v_fmac_f32_e32 v36, v40, v38
	v_fmac_f32_e32 v36, v41, v39
	v_add_f32_e32 v38, 0x358637bd, v36
	v_div_scale_f32 v39, s[2:3], v38, v38, 1.0
	v_rcp_f32_e32 v42, v39
	s_barrier
	v_fma_f32 v43, -v39, v42, 1.0
	v_fmac_f32_e32 v42, v43, v42
	v_div_scale_f32 v43, vcc, 1.0, v38, 1.0
	v_mul_f32_e32 v45, v43, v42
	v_fma_f32 v50, -v39, v45, v43
	v_fmac_f32_e32 v45, v50, v42
	v_fma_f32 v39, -v39, v45, v43
	v_div_fmas_f32 v39, v39, v42, v45
	v_cmp_eq_u32_e32 vcc, 1, v49
	v_cndmask_b32_e32 v37, v37, v44, vcc
	v_cmp_eq_u32_e32 vcc, 2, v49
	v_cndmask_b32_e32 v37, v37, v40, vcc
	v_cmp_eq_u32_e32 vcc, 3, v49
	v_div_fixup_f32 v38, v39, v38, 1.0
	v_cndmask_b32_e32 v37, v37, v41, vcc
	v_mul_f32_e32 v38, v37, v38
	v_pk_mul_f32 v[34:35], v[38:39], v[34:35] op_sel_hi:[0,1]
	v_pk_mul_f32 v[26:27], v[38:39], v[26:27] op_sel_hi:[0,1]
	v_cvt_f16_f32_e32 v26, v26
	v_cvt_f16_f32_e32 v27, v27
	;; [unrolled: 1-line block ×4, first 2 shown]
	v_pk_mul_f32 v[30:31], v[38:39], v[30:31] op_sel_hi:[0,1]
	v_pk_mul_f32 v[28:29], v[38:39], v[28:29] op_sel_hi:[0,1]
	v_cvt_f16_f32_e32 v28, v28
	v_cvt_f16_f32_e32 v29, v29
	;; [unrolled: 1-line block ×4, first 2 shown]
	v_pack_b32_f16 v34, v26, v27
	v_pack_b32_f16 v35, v37, v35
	v_lshlrev_b32_e32 v26, 3, v1
	v_lshlrev_b32_e32 v27, 5, v48
	;; [unrolled: 1-line block ×3, first 2 shown]
	v_or3_b32 v26, v37, v27, v26
	v_pack_b32_f16 v28, v28, v29
	v_pack_b32_f16 v29, v30, v31
	v_pk_mul_f32 v[22:23], v[38:39], v[22:23] op_sel_hi:[0,1]
	v_pk_mul_f32 v[24:25], v[38:39], v[24:25] op_sel_hi:[0,1]
	;; [unrolled: 1-line block ×4, first 2 shown]
	ds_write2st64_b64 v26, v[34:35], v[28:29] offset1:1
	v_cvt_f16_f32_e32 v24, v24
	v_cvt_f16_f32_e32 v25, v25
	;; [unrolled: 1-line block ×8, first 2 shown]
	v_mov_b32_e32 v32, 0
	v_pack_b32_f16 v18, v24, v25
	v_pack_b32_f16 v19, v22, v23
	;; [unrolled: 1-line block ×4, first 2 shown]
	v_cmp_gt_u32_e32 vcc, 7, v0
	ds_write2st64_b64 v26, v[18:19], v[20:21] offset0:2 offset1:3
	s_and_saveexec_b64 s[2:3], vcc
	s_cbranch_execz .LBB548_401
; %bb.400:
	v_add_co_u32_e32 v20, vcc, s25, v48
	v_addc_co_u32_e64 v21, s[14:15], 0, 0, vcc
	v_mov_b32_e32 v18, s12
	v_mov_b32_e32 v19, 0
	v_mad_u64_u32 v[20:21], s[14:15], s6, v18, v[20:21]
	v_mov_b32_e32 v18, s24
	s_load_dwordx4 s[8:11], s[4:5], 0x58
	s_mul_i32 s7, s7, s12
	v_mad_u64_u32 v[18:19], s[14:15], v20, s44, v[18:19]
	v_add_u32_e32 v21, s7, v21
	v_mov_b32_e32 v20, v19
	v_mad_u64_u32 v[20:21], s[14:15], v21, s44, v[20:21]
	v_mov_b32_e32 v19, v20
	v_lshlrev_b64 v[18:19], 2, v[18:19]
	s_waitcnt lgkmcnt(0)
	v_mov_b32_e32 v21, s11
	v_add_co_u32_e32 v20, vcc, s10, v18
	v_addc_co_u32_e32 v21, vcc, v21, v19, vcc
	global_store_dword v[20:21], v33, off
	v_mov_b32_e32 v20, s9
	v_add_co_u32_e32 v18, vcc, s8, v18
	v_addc_co_u32_e32 v19, vcc, v20, v19, vcc
	global_store_dword v[18:19], v36, off
.LBB548_401:
	s_or_b64 exec, exec, s[2:3]
	v_mov_b32_e32 v19, 0
	s_waitcnt vmcnt(3)
	v_cmp_ne_u16_sdwa s[8:9], v14, v19 src0_sel:BYTE_0 src1_sel:DWORD
	s_waitcnt lgkmcnt(0)
	s_barrier
	s_and_saveexec_b64 s[2:3], s[8:9]
	s_cbranch_execz .LBB548_407
; %bb.402:
	s_movk_i32 s7, 0x80
	v_cmp_ne_u16_sdwa s[10:11], v14, s7 src0_sel:BYTE_0 src1_sel:DWORD
	v_bfrev_b32_e32 v32, 1
	s_and_saveexec_b64 s[8:9], s[10:11]
	s_cbranch_execz .LBB548_406
; %bb.403:
	s_movk_i32 s7, 0x7f
	v_and_b32_e32 v18, 0x7f, v14
	v_cmp_ne_u32_e32 vcc, s7, v18
	v_mov_b32_e32 v32, 0x7f800001
	s_and_saveexec_b64 s[10:11], vcc
	s_cbranch_execz .LBB548_405
; %bb.404:
	v_and_b32_e32 v22, 7, v14
	v_ffbh_u32_e32 v20, v22
	v_min_u32_e32 v24, 32, v20
	v_subrev_u32_e32 v20, 28, v24
	v_lshlrev_b64 v[20:21], v20, v[14:15]
	v_lshrrev_b32_e32 v23, 3, v18
	v_sub_u32_e32 v21, 29, v24
	v_and_b32_e32 v20, 7, v20
	v_cmp_gt_u32_e32 vcc, 8, v18
	v_cndmask_b32_e32 v18, v23, v21, vcc
	v_cndmask_b32_e32 v20, v22, v20, vcc
	v_lshlrev_b32_e32 v21, 24, v14
	v_bfrev_b32_e32 v22, 60
	v_lshlrev_b32_e32 v20, 20, v20
	v_and_b32_e32 v21, 0x80000000, v21
	v_lshl_add_u32 v18, v18, 23, v22
	v_or3_b32 v32, v21, v18, v20
.LBB548_405:
	s_or_b64 exec, exec, s[10:11]
.LBB548_406:
	s_or_b64 exec, exec, s[8:9]
.LBB548_407:
	s_or_b64 exec, exec, s[2:3]
	v_lshrrev_b16_e32 v18, 8, v14
	v_cmp_ne_u16_e32 vcc, 0, v18
	v_mov_b32_e32 v20, 0
	s_and_saveexec_b64 s[2:3], vcc
	s_cbranch_execz .LBB548_413
; %bb.408:
	s_movk_i32 s7, 0x80
	v_cmp_ne_u16_e32 vcc, s7, v18
	v_bfrev_b32_e32 v20, 1
	s_and_saveexec_b64 s[8:9], vcc
	s_cbranch_execz .LBB548_412
; %bb.409:
	s_movk_i32 s7, 0x7f
	v_and_b32_e32 v21, 0x7f, v18
	v_cmp_ne_u32_e32 vcc, s7, v21
	v_mov_b32_e32 v20, 0x7f800001
	s_and_saveexec_b64 s[10:11], vcc
	s_cbranch_execz .LBB548_411
; %bb.410:
	v_and_b32_e32 v20, 7, v18
	v_ffbh_u32_e32 v22, v20
	v_min_u32_e32 v25, 32, v22
	v_subrev_u32_e32 v22, 28, v25
	v_lshlrev_b64 v[22:23], v22, v[18:19]
	v_lshrrev_b32_e32 v24, 3, v21
	v_sub_u32_e32 v18, 29, v25
	v_and_b32_e32 v22, 7, v22
	v_cmp_gt_u32_e32 vcc, 8, v21
	v_cndmask_b32_e32 v18, v24, v18, vcc
	v_cndmask_b32_e32 v20, v20, v22, vcc
	v_lshlrev_b32_e32 v21, 16, v14
	v_bfrev_b32_e32 v22, 60
	v_lshlrev_b32_e32 v20, 20, v20
	v_and_b32_e32 v21, 0x80000000, v21
	v_lshl_add_u32 v18, v18, 23, v22
	v_or3_b32 v20, v21, v18, v20
.LBB548_411:
	s_or_b64 exec, exec, s[10:11]
.LBB548_412:
	s_or_b64 exec, exec, s[8:9]
.LBB548_413:
	s_or_b64 exec, exec, s[2:3]
	s_movk_i32 s2, 0xff
	v_and_b32_sdwa v21, v14, s2 dst_sel:DWORD dst_unused:UNUSED_PAD src0_sel:WORD_1 src1_sel:DWORD
	v_lshrrev_b32_e32 v18, 16, v14
	v_cmp_ne_u16_e32 vcc, 0, v21
	s_and_saveexec_b64 s[2:3], vcc
	s_cbranch_execz .LBB548_419
; %bb.414:
	s_movk_i32 s7, 0x80
	v_cmp_ne_u16_e32 vcc, s7, v21
	v_bfrev_b32_e32 v19, 1
	s_and_saveexec_b64 s[8:9], vcc
	s_cbranch_execz .LBB548_418
; %bb.415:
	v_bfe_u32 v21, v14, 16, 7
	s_movk_i32 s7, 0x7f
	v_cmp_ne_u32_e32 vcc, s7, v21
	v_mov_b32_e32 v19, 0x7f800001
	s_and_saveexec_b64 s[10:11], vcc
	s_cbranch_execz .LBB548_417
; %bb.416:
	v_and_b32_e32 v22, 7, v18
	v_ffbh_u32_e32 v19, v22
	v_min_u32_e32 v24, 32, v19
	v_subrev_u32_e32 v19, 28, v24
	v_lshlrev_b64 v[18:19], v19, v[18:19]
	v_lshrrev_b32_e32 v23, 3, v21
	v_sub_u32_e32 v19, 29, v24
	v_and_b32_e32 v18, 7, v18
	v_cmp_gt_u32_e32 vcc, 8, v21
	v_mov_b32_e32 v21, 24
	v_cndmask_b32_e32 v19, v23, v19, vcc
	v_cndmask_b32_e32 v18, v22, v18, vcc
	v_lshlrev_b32_sdwa v21, v21, v14 dst_sel:DWORD dst_unused:UNUSED_PAD src0_sel:DWORD src1_sel:WORD_1
	v_bfrev_b32_e32 v22, 60
	v_lshlrev_b32_e32 v18, 20, v18
	v_and_b32_e32 v21, 0x80000000, v21
	v_lshl_add_u32 v19, v19, 23, v22
	v_or3_b32 v19, v21, v19, v18
.LBB548_417:
	s_or_b64 exec, exec, s[10:11]
.LBB548_418:
	s_or_b64 exec, exec, s[8:9]
.LBB548_419:
	s_or_b64 exec, exec, s[2:3]
	s_mov_b32 s2, 0xffffff
	v_cmp_lt_u32_e32 vcc, s2, v14
	v_mov_b32_e32 v21, 0
	v_mov_b32_e32 v22, 0
	s_and_saveexec_b64 s[2:3], vcc
	s_cbranch_execz .LBB548_425
; %bb.420:
	v_lshrrev_b32_e32 v18, 24, v14
	s_movk_i32 s7, 0x80
	v_cmp_ne_u32_e32 vcc, s7, v18
	v_bfrev_b32_e32 v22, 1
	s_and_saveexec_b64 s[8:9], vcc
	s_cbranch_execz .LBB548_424
; %bb.421:
	v_bfe_u32 v14, v14, 24, 7
	s_movk_i32 s7, 0x7f
	v_cmp_ne_u32_e32 vcc, s7, v14
	v_mov_b32_e32 v22, 0x7f800001
	s_and_saveexec_b64 s[10:11], vcc
	s_cbranch_execz .LBB548_423
; %bb.422:
	v_and_b32_e32 v24, 7, v18
	v_ffbh_u32_e32 v22, v24
	v_min_u32_e32 v28, 32, v22
	v_subrev_u32_e32 v22, 28, v28
	v_lshlrev_b64 v[22:23], v22, v[18:19]
	v_lshrrev_b32_e32 v25, 3, v14
	v_sub_u32_e32 v23, 29, v28
	v_and_b32_e32 v22, 7, v22
	v_cmp_gt_u32_e32 vcc, 8, v14
	v_cndmask_b32_e32 v14, v25, v23, vcc
	v_cndmask_b32_e32 v22, v24, v22, vcc
	v_lshlrev_b32_e32 v18, 24, v18
	v_bfrev_b32_e32 v23, 60
	v_lshlrev_b32_e32 v22, 20, v22
	v_and_b32_e32 v18, 0x80000000, v18
	v_lshl_add_u32 v14, v14, 23, v23
	v_or3_b32 v22, v18, v14, v22
.LBB548_423:
	s_or_b64 exec, exec, s[10:11]
.LBB548_424:
	s_or_b64 exec, exec, s[8:9]
.LBB548_425:
	s_or_b64 exec, exec, s[2:3]
	v_cmp_ne_u16_sdwa s[8:9], v15, v21 src0_sel:BYTE_0 src1_sel:DWORD
	s_and_saveexec_b64 s[2:3], s[8:9]
	s_cbranch_execz .LBB548_431
; %bb.426:
	s_movk_i32 s7, 0x80
	v_cmp_ne_u16_sdwa s[10:11], v15, s7 src0_sel:BYTE_0 src1_sel:DWORD
	v_bfrev_b32_e32 v21, 1
	s_and_saveexec_b64 s[8:9], s[10:11]
	s_cbranch_execz .LBB548_430
; %bb.427:
	s_movk_i32 s7, 0x7f
	v_and_b32_e32 v14, 0x7f, v15
	v_cmp_ne_u32_e32 vcc, s7, v14
	v_mov_b32_e32 v21, 0x7f800001
	s_and_saveexec_b64 s[10:11], vcc
	s_cbranch_execz .LBB548_429
; %bb.428:
	v_and_b32_e32 v21, 7, v15
	v_ffbh_u32_e32 v24, v21
	v_min_u32_e32 v28, 32, v24
	v_mov_b32_e32 v18, v15
	v_subrev_u32_e32 v24, 28, v28
	v_lshlrev_b64 v[24:25], v24, v[18:19]
	v_lshrrev_b32_e32 v23, 3, v14
	v_sub_u32_e32 v18, 29, v28
	v_and_b32_e32 v24, 7, v24
	v_cmp_gt_u32_e32 vcc, 8, v14
	v_cndmask_b32_e32 v14, v23, v18, vcc
	v_cndmask_b32_e32 v18, v21, v24, vcc
	v_lshlrev_b32_e32 v21, 24, v15
	v_bfrev_b32_e32 v23, 60
	v_lshlrev_b32_e32 v18, 20, v18
	v_and_b32_e32 v21, 0x80000000, v21
	v_lshl_add_u32 v14, v14, 23, v23
	v_or3_b32 v21, v21, v14, v18
.LBB548_429:
	s_or_b64 exec, exec, s[10:11]
.LBB548_430:
	s_or_b64 exec, exec, s[8:9]
.LBB548_431:
	s_or_b64 exec, exec, s[2:3]
	v_lshrrev_b16_e32 v14, 8, v15
	v_cmp_ne_u16_e32 vcc, 0, v14
	v_mov_b32_e32 v18, 0
	v_mov_b32_e32 v24, 0
	s_and_saveexec_b64 s[2:3], vcc
	s_cbranch_execz .LBB548_437
; %bb.432:
	s_movk_i32 s7, 0x80
	v_cmp_ne_u16_e32 vcc, s7, v14
	v_bfrev_b32_e32 v24, 1
	s_and_saveexec_b64 s[8:9], vcc
	s_cbranch_execz .LBB548_436
; %bb.433:
	s_movk_i32 s7, 0x7f
	v_and_b32_e32 v23, 0x7f, v14
	v_cmp_ne_u32_e32 vcc, s7, v23
	v_mov_b32_e32 v24, 0x7f800001
	s_and_saveexec_b64 s[10:11], vcc
	s_cbranch_execz .LBB548_435
; %bb.434:
	v_and_b32_e32 v28, 7, v14
	v_ffbh_u32_e32 v24, v28
	v_min_u32_e32 v30, 32, v24
	v_subrev_u32_e32 v24, 28, v30
	v_lshlrev_b64 v[24:25], v24, v[14:15]
	v_lshrrev_b32_e32 v29, 3, v23
	v_sub_u32_e32 v14, 29, v30
	v_and_b32_e32 v24, 7, v24
	v_cmp_gt_u32_e32 vcc, 8, v23
	v_cndmask_b32_e32 v14, v29, v14, vcc
	v_cndmask_b32_e32 v23, v28, v24, vcc
	v_lshlrev_b32_e32 v24, 16, v15
	v_bfrev_b32_e32 v25, 60
	v_lshlrev_b32_e32 v23, 20, v23
	v_and_b32_e32 v24, 0x80000000, v24
	v_lshl_add_u32 v14, v14, 23, v25
	v_or3_b32 v24, v24, v14, v23
.LBB548_435:
	s_or_b64 exec, exec, s[10:11]
.LBB548_436:
	s_or_b64 exec, exec, s[8:9]
.LBB548_437:
	s_or_b64 exec, exec, s[2:3]
	s_movk_i32 s2, 0xff
	v_and_b32_sdwa v23, v15, s2 dst_sel:DWORD dst_unused:UNUSED_PAD src0_sel:WORD_1 src1_sel:DWORD
	v_lshrrev_b32_e32 v14, 16, v15
	v_cmp_ne_u16_e32 vcc, 0, v23
	s_and_saveexec_b64 s[2:3], vcc
	s_cbranch_execz .LBB548_443
; %bb.438:
	s_movk_i32 s7, 0x80
	v_cmp_ne_u16_e32 vcc, s7, v23
	v_bfrev_b32_e32 v18, 1
	s_and_saveexec_b64 s[8:9], vcc
	s_cbranch_execz .LBB548_442
; %bb.439:
	v_bfe_u32 v23, v15, 16, 7
	s_movk_i32 s7, 0x7f
	v_cmp_ne_u32_e32 vcc, s7, v23
	v_mov_b32_e32 v18, 0x7f800001
	s_and_saveexec_b64 s[10:11], vcc
	s_cbranch_execz .LBB548_441
; %bb.440:
	v_and_b32_e32 v18, 7, v14
	v_ffbh_u32_e32 v28, v18
	v_min_u32_e32 v30, 32, v28
	v_subrev_u32_e32 v28, 28, v30
	v_lshlrev_b64 v[28:29], v28, v[14:15]
	v_lshrrev_b32_e32 v25, 3, v23
	v_sub_u32_e32 v14, 29, v30
	v_and_b32_e32 v28, 7, v28
	v_cmp_gt_u32_e32 vcc, 8, v23
	v_mov_b32_e32 v23, 24
	v_cndmask_b32_e32 v14, v25, v14, vcc
	v_cndmask_b32_e32 v18, v18, v28, vcc
	v_lshlrev_b32_sdwa v23, v23, v15 dst_sel:DWORD dst_unused:UNUSED_PAD src0_sel:DWORD src1_sel:WORD_1
	v_bfrev_b32_e32 v25, 60
	v_lshlrev_b32_e32 v18, 20, v18
	v_and_b32_e32 v23, 0x80000000, v23
	v_lshl_add_u32 v14, v14, 23, v25
	v_or3_b32 v18, v23, v14, v18
.LBB548_441:
	s_or_b64 exec, exec, s[10:11]
.LBB548_442:
	s_or_b64 exec, exec, s[8:9]
.LBB548_443:
	s_or_b64 exec, exec, s[2:3]
	s_mov_b32 s2, 0xffffff
	v_cmp_lt_u32_e32 vcc, s2, v15
	v_mov_b32_e32 v23, 0
	v_mov_b32_e32 v25, 0
	s_and_saveexec_b64 s[2:3], vcc
	s_cbranch_execz .LBB548_449
; %bb.444:
	v_lshrrev_b32_e32 v14, 24, v15
	s_movk_i32 s7, 0x80
	v_cmp_ne_u32_e32 vcc, s7, v14
	v_bfrev_b32_e32 v25, 1
	s_and_saveexec_b64 s[8:9], vcc
	s_cbranch_execz .LBB548_448
; %bb.445:
	v_bfe_u32 v15, v15, 24, 7
	s_movk_i32 s7, 0x7f
	v_cmp_ne_u32_e32 vcc, s7, v15
	v_mov_b32_e32 v25, 0x7f800001
	s_and_saveexec_b64 s[10:11], vcc
	s_cbranch_execz .LBB548_447
; %bb.446:
	v_and_b32_e32 v25, 7, v14
	v_ffbh_u32_e32 v28, v25
	v_min_u32_e32 v31, 32, v28
	v_subrev_u32_e32 v28, 28, v31
	v_lshlrev_b64 v[28:29], v28, v[14:15]
	v_lshrrev_b32_e32 v30, 3, v15
	v_sub_u32_e32 v29, 29, v31
	v_and_b32_e32 v28, 7, v28
	v_cmp_gt_u32_e32 vcc, 8, v15
	v_cndmask_b32_e32 v15, v30, v29, vcc
	v_cndmask_b32_e32 v25, v25, v28, vcc
	v_lshlrev_b32_e32 v14, 24, v14
	v_bfrev_b32_e32 v28, 60
	v_lshlrev_b32_e32 v25, 20, v25
	v_and_b32_e32 v14, 0x80000000, v14
	v_lshl_add_u32 v15, v15, 23, v28
	v_or3_b32 v25, v14, v15, v25
.LBB548_447:
	s_or_b64 exec, exec, s[10:11]
.LBB548_448:
	s_or_b64 exec, exec, s[8:9]
.LBB548_449:
	s_or_b64 exec, exec, s[2:3]
	v_cvt_pkrtz_f16_f32 v15, v19, v22
	v_lshl_or_b32 v22, v1, 9, v27
	v_cvt_pkrtz_f16_f32 v14, v32, v20
	ds_read_b128 v[28:31], v22
	v_cmp_ne_u16_sdwa s[8:9], v16, v23 src0_sel:BYTE_0 src1_sel:DWORD
	s_waitcnt lgkmcnt(0)
	v_mfma_f32_16x16x16f16 v[32:35], v[14:15], v[28:29], 0
	v_cvt_pkrtz_f16_f32 v14, v21, v24
	v_cvt_pkrtz_f16_f32 v15, v18, v25
	s_nop 1
	v_mfma_f32_16x16x16f16 v[18:21], v[14:15], v[30:31], v[32:35]
	s_and_saveexec_b64 s[2:3], s[8:9]
	s_cbranch_execz .LBB548_455
; %bb.450:
	s_movk_i32 s7, 0x80
	v_cmp_ne_u16_sdwa s[10:11], v16, s7 src0_sel:BYTE_0 src1_sel:DWORD
	v_bfrev_b32_e32 v23, 1
	s_and_saveexec_b64 s[8:9], s[10:11]
	s_cbranch_execz .LBB548_454
; %bb.451:
	s_movk_i32 s7, 0x7f
	v_and_b32_e32 v14, 0x7f, v16
	v_cmp_ne_u32_e32 vcc, s7, v14
	v_mov_b32_e32 v23, 0x7f800001
	s_and_saveexec_b64 s[10:11], vcc
	s_cbranch_execz .LBB548_453
; %bb.452:
	v_and_b32_e32 v15, 7, v16
	v_ffbh_u32_e32 v24, v15
	v_min_u32_e32 v27, 32, v24
	v_subrev_u32_e32 v24, 28, v27
	v_lshlrev_b64 v[24:25], v24, v[16:17]
	v_lshrrev_b32_e32 v23, 3, v14
	v_sub_u32_e32 v25, 29, v27
	v_and_b32_e32 v24, 7, v24
	v_cmp_gt_u32_e32 vcc, 8, v14
	v_cndmask_b32_e32 v14, v23, v25, vcc
	v_cndmask_b32_e32 v15, v15, v24, vcc
	v_lshlrev_b32_e32 v23, 24, v16
	v_bfrev_b32_e32 v24, 60
	v_lshlrev_b32_e32 v15, 20, v15
	v_and_b32_e32 v23, 0x80000000, v23
	v_lshl_add_u32 v14, v14, 23, v24
	v_or3_b32 v23, v23, v14, v15
.LBB548_453:
	s_or_b64 exec, exec, s[10:11]
.LBB548_454:
	s_or_b64 exec, exec, s[8:9]
.LBB548_455:
	s_or_b64 exec, exec, s[2:3]
	v_lshrrev_b16_e32 v14, 8, v16
	v_cmp_ne_u16_e32 vcc, 0, v14
	v_mov_b32_e32 v15, 0
	v_mov_b32_e32 v25, 0
	s_and_saveexec_b64 s[2:3], vcc
	s_cbranch_execz .LBB548_461
; %bb.456:
	s_movk_i32 s7, 0x80
	v_cmp_ne_u16_e32 vcc, s7, v14
	v_bfrev_b32_e32 v25, 1
	s_and_saveexec_b64 s[8:9], vcc
	s_cbranch_execz .LBB548_460
; %bb.457:
	s_movk_i32 s7, 0x7f
	v_and_b32_e32 v24, 0x7f, v14
	v_cmp_ne_u32_e32 vcc, s7, v24
	v_mov_b32_e32 v25, 0x7f800001
	s_and_saveexec_b64 s[10:11], vcc
	s_cbranch_execz .LBB548_459
; %bb.458:
	v_and_b32_e32 v25, 7, v14
	v_ffbh_u32_e32 v28, v25
	v_min_u32_e32 v30, 32, v28
	v_subrev_u32_e32 v28, 28, v30
	v_lshlrev_b64 v[28:29], v28, v[14:15]
	v_lshrrev_b32_e32 v27, 3, v24
	v_sub_u32_e32 v14, 29, v30
	v_and_b32_e32 v28, 7, v28
	v_cmp_gt_u32_e32 vcc, 8, v24
	v_cndmask_b32_e32 v14, v27, v14, vcc
	v_cndmask_b32_e32 v24, v25, v28, vcc
	v_lshlrev_b32_e32 v25, 16, v16
	v_bfrev_b32_e32 v27, 60
	v_lshlrev_b32_e32 v24, 20, v24
	v_and_b32_e32 v25, 0x80000000, v25
	v_lshl_add_u32 v14, v14, 23, v27
	v_or3_b32 v25, v25, v14, v24
.LBB548_459:
	s_or_b64 exec, exec, s[10:11]
.LBB548_460:
	s_or_b64 exec, exec, s[8:9]
.LBB548_461:
	s_or_b64 exec, exec, s[2:3]
	s_movk_i32 s2, 0xff
	v_and_b32_sdwa v24, v16, s2 dst_sel:DWORD dst_unused:UNUSED_PAD src0_sel:WORD_1 src1_sel:DWORD
	v_lshrrev_b32_e32 v14, 16, v16
	v_cmp_ne_u16_e32 vcc, 0, v24
	s_and_saveexec_b64 s[2:3], vcc
	s_cbranch_execz .LBB548_467
; %bb.462:
	s_movk_i32 s7, 0x80
	v_cmp_ne_u16_e32 vcc, s7, v24
	v_bfrev_b32_e32 v15, 1
	s_and_saveexec_b64 s[8:9], vcc
	s_cbranch_execz .LBB548_466
; %bb.463:
	v_bfe_u32 v24, v16, 16, 7
	s_movk_i32 s7, 0x7f
	v_cmp_ne_u32_e32 vcc, s7, v24
	v_mov_b32_e32 v15, 0x7f800001
	s_and_saveexec_b64 s[10:11], vcc
	s_cbranch_execz .LBB548_465
; %bb.464:
	v_and_b32_e32 v27, 7, v14
	v_ffbh_u32_e32 v15, v27
	v_min_u32_e32 v29, 32, v15
	v_subrev_u32_e32 v15, 28, v29
	v_lshlrev_b64 v[14:15], v15, v[14:15]
	v_lshrrev_b32_e32 v28, 3, v24
	v_sub_u32_e32 v15, 29, v29
	v_and_b32_e32 v14, 7, v14
	v_cmp_gt_u32_e32 vcc, 8, v24
	v_mov_b32_e32 v24, 24
	v_cndmask_b32_e32 v15, v28, v15, vcc
	v_cndmask_b32_e32 v14, v27, v14, vcc
	v_lshlrev_b32_sdwa v24, v24, v16 dst_sel:DWORD dst_unused:UNUSED_PAD src0_sel:DWORD src1_sel:WORD_1
	v_bfrev_b32_e32 v27, 60
	v_lshlrev_b32_e32 v14, 20, v14
	v_and_b32_e32 v24, 0x80000000, v24
	v_lshl_add_u32 v15, v15, 23, v27
	v_or3_b32 v15, v24, v15, v14
.LBB548_465:
	s_or_b64 exec, exec, s[10:11]
.LBB548_466:
	s_or_b64 exec, exec, s[8:9]
.LBB548_467:
	s_or_b64 exec, exec, s[2:3]
	s_mov_b32 s2, 0xffffff
	v_cmp_lt_u32_e32 vcc, s2, v16
	v_mov_b32_e32 v27, 0
	v_mov_b32_e32 v28, 0
	s_and_saveexec_b64 s[2:3], vcc
	s_cbranch_execz .LBB548_473
; %bb.468:
	v_lshrrev_b32_e32 v14, 24, v16
	s_movk_i32 s7, 0x80
	v_cmp_ne_u32_e32 vcc, s7, v14
	v_bfrev_b32_e32 v28, 1
	s_and_saveexec_b64 s[8:9], vcc
	s_cbranch_execz .LBB548_472
; %bb.469:
	v_bfe_u32 v16, v16, 24, 7
	s_movk_i32 s7, 0x7f
	v_cmp_ne_u32_e32 vcc, s7, v16
	v_mov_b32_e32 v28, 0x7f800001
	s_and_saveexec_b64 s[10:11], vcc
	s_cbranch_execz .LBB548_471
; %bb.470:
	v_and_b32_e32 v24, 7, v14
	v_ffbh_u32_e32 v28, v24
	v_min_u32_e32 v31, 32, v28
	v_subrev_u32_e32 v28, 28, v31
	v_lshlrev_b64 v[28:29], v28, v[14:15]
	v_lshrrev_b32_e32 v30, 3, v16
	v_sub_u32_e32 v29, 29, v31
	v_and_b32_e32 v28, 7, v28
	v_cmp_gt_u32_e32 vcc, 8, v16
	v_cndmask_b32_e32 v16, v30, v29, vcc
	v_cndmask_b32_e32 v24, v24, v28, vcc
	v_lshlrev_b32_e32 v14, 24, v14
	v_bfrev_b32_e32 v28, 60
	v_lshlrev_b32_e32 v24, 20, v24
	v_and_b32_e32 v14, 0x80000000, v14
	v_lshl_add_u32 v16, v16, 23, v28
	v_or3_b32 v28, v14, v16, v24
.LBB548_471:
	s_or_b64 exec, exec, s[10:11]
.LBB548_472:
	s_or_b64 exec, exec, s[8:9]
.LBB548_473:
	s_or_b64 exec, exec, s[2:3]
	v_cmp_ne_u16_sdwa s[8:9], v17, v27 src0_sel:BYTE_0 src1_sel:DWORD
	s_and_saveexec_b64 s[2:3], s[8:9]
	s_cbranch_execz .LBB548_479
; %bb.474:
	s_movk_i32 s7, 0x80
	v_cmp_ne_u16_sdwa s[10:11], v17, s7 src0_sel:BYTE_0 src1_sel:DWORD
	v_bfrev_b32_e32 v27, 1
	s_and_saveexec_b64 s[8:9], s[10:11]
	s_cbranch_execz .LBB548_478
; %bb.475:
	s_movk_i32 s7, 0x7f
	v_and_b32_e32 v14, 0x7f, v17
	v_cmp_ne_u32_e32 vcc, s7, v14
	v_mov_b32_e32 v27, 0x7f800001
	s_and_saveexec_b64 s[10:11], vcc
	s_cbranch_execz .LBB548_477
; %bb.476:
	v_and_b32_e32 v24, 7, v17
	v_ffbh_u32_e32 v29, v24
	v_min_u32_e32 v29, 32, v29
	v_mov_b32_e32 v16, v17
	v_subrev_u32_e32 v30, 28, v29
	v_lshlrev_b64 v[30:31], v30, v[16:17]
	v_lshrrev_b32_e32 v27, 3, v14
	v_sub_u32_e32 v16, 29, v29
	v_and_b32_e32 v29, 7, v30
	v_cmp_gt_u32_e32 vcc, 8, v14
	v_cndmask_b32_e32 v14, v27, v16, vcc
	v_cndmask_b32_e32 v16, v24, v29, vcc
	v_lshlrev_b32_e32 v24, 24, v17
	v_bfrev_b32_e32 v27, 60
	v_lshlrev_b32_e32 v16, 20, v16
	v_and_b32_e32 v24, 0x80000000, v24
	v_lshl_add_u32 v14, v14, 23, v27
	v_or3_b32 v27, v24, v14, v16
.LBB548_477:
	s_or_b64 exec, exec, s[10:11]
.LBB548_478:
	s_or_b64 exec, exec, s[8:9]
.LBB548_479:
	s_or_b64 exec, exec, s[2:3]
	v_lshrrev_b16_e32 v14, 8, v17
	v_cmp_ne_u16_e32 vcc, 0, v14
	v_mov_b32_e32 v16, 0
	v_mov_b32_e32 v29, 0
	s_and_saveexec_b64 s[2:3], vcc
	s_cbranch_execz .LBB548_485
; %bb.480:
	s_movk_i32 s7, 0x80
	v_cmp_ne_u16_e32 vcc, s7, v14
	v_bfrev_b32_e32 v29, 1
	s_and_saveexec_b64 s[8:9], vcc
	s_cbranch_execz .LBB548_484
; %bb.481:
	s_movk_i32 s7, 0x7f
	v_and_b32_e32 v24, 0x7f, v14
	v_cmp_ne_u32_e32 vcc, s7, v24
	v_mov_b32_e32 v29, 0x7f800001
	s_and_saveexec_b64 s[10:11], vcc
	s_cbranch_execz .LBB548_483
; %bb.482:
	v_and_b32_e32 v29, 7, v14
	v_ffbh_u32_e32 v30, v29
	v_min_u32_e32 v33, 32, v30
	v_subrev_u32_e32 v30, 28, v33
	v_lshlrev_b64 v[30:31], v30, v[14:15]
	v_lshrrev_b32_e32 v32, 3, v24
	v_sub_u32_e32 v14, 29, v33
	v_and_b32_e32 v30, 7, v30
	v_cmp_gt_u32_e32 vcc, 8, v24
	v_cndmask_b32_e32 v14, v32, v14, vcc
	v_cndmask_b32_e32 v24, v29, v30, vcc
	v_lshlrev_b32_e32 v29, 16, v17
	v_bfrev_b32_e32 v30, 60
	v_lshlrev_b32_e32 v24, 20, v24
	v_and_b32_e32 v29, 0x80000000, v29
	v_lshl_add_u32 v14, v14, 23, v30
	v_or3_b32 v29, v29, v14, v24
.LBB548_483:
	s_or_b64 exec, exec, s[10:11]
.LBB548_484:
	s_or_b64 exec, exec, s[8:9]
.LBB548_485:
	s_or_b64 exec, exec, s[2:3]
	s_movk_i32 s2, 0xff
	v_and_b32_sdwa v24, v17, s2 dst_sel:DWORD dst_unused:UNUSED_PAD src0_sel:WORD_1 src1_sel:DWORD
	v_lshrrev_b32_e32 v14, 16, v17
	v_cmp_ne_u16_e32 vcc, 0, v24
	s_and_saveexec_b64 s[2:3], vcc
	s_cbranch_execz .LBB548_491
; %bb.486:
	s_movk_i32 s7, 0x80
	v_cmp_ne_u16_e32 vcc, s7, v24
	v_bfrev_b32_e32 v16, 1
	s_and_saveexec_b64 s[8:9], vcc
	s_cbranch_execz .LBB548_490
; %bb.487:
	v_bfe_u32 v24, v17, 16, 7
	s_movk_i32 s7, 0x7f
	v_cmp_ne_u32_e32 vcc, s7, v24
	v_mov_b32_e32 v16, 0x7f800001
	s_and_saveexec_b64 s[10:11], vcc
	s_cbranch_execz .LBB548_489
; %bb.488:
	v_and_b32_e32 v16, 7, v14
	v_ffbh_u32_e32 v30, v16
	v_min_u32_e32 v33, 32, v30
	v_subrev_u32_e32 v30, 28, v33
	v_lshlrev_b64 v[30:31], v30, v[14:15]
	v_lshrrev_b32_e32 v32, 3, v24
	v_sub_u32_e32 v14, 29, v33
	v_and_b32_e32 v30, 7, v30
	v_cmp_gt_u32_e32 vcc, 8, v24
	v_mov_b32_e32 v24, 24
	v_cndmask_b32_e32 v14, v32, v14, vcc
	v_cndmask_b32_e32 v16, v16, v30, vcc
	v_lshlrev_b32_sdwa v24, v24, v17 dst_sel:DWORD dst_unused:UNUSED_PAD src0_sel:DWORD src1_sel:WORD_1
	v_bfrev_b32_e32 v30, 60
	v_lshlrev_b32_e32 v16, 20, v16
	v_and_b32_e32 v24, 0x80000000, v24
	v_lshl_add_u32 v14, v14, 23, v30
	v_or3_b32 v16, v24, v14, v16
.LBB548_489:
	s_or_b64 exec, exec, s[10:11]
.LBB548_490:
	s_or_b64 exec, exec, s[8:9]
.LBB548_491:
	s_or_b64 exec, exec, s[2:3]
	s_mov_b32 s2, 0xffffff
	v_cmp_lt_u32_e32 vcc, s2, v17
	v_mov_b32_e32 v24, 0
	v_mov_b32_e32 v30, 0
	s_and_saveexec_b64 s[2:3], vcc
	s_cbranch_execz .LBB548_497
; %bb.492:
	v_lshrrev_b32_e32 v14, 24, v17
	s_movk_i32 s7, 0x80
	v_cmp_ne_u32_e32 vcc, s7, v14
	v_bfrev_b32_e32 v30, 1
	s_and_saveexec_b64 s[8:9], vcc
	s_cbranch_execz .LBB548_496
; %bb.493:
	v_bfe_u32 v17, v17, 24, 7
	s_movk_i32 s7, 0x7f
	v_cmp_ne_u32_e32 vcc, s7, v17
	v_mov_b32_e32 v30, 0x7f800001
	s_and_saveexec_b64 s[10:11], vcc
	s_cbranch_execz .LBB548_495
; %bb.494:
	v_and_b32_e32 v32, 7, v14
	v_ffbh_u32_e32 v30, v32
	v_min_u32_e32 v34, 32, v30
	v_subrev_u32_e32 v30, 28, v34
	v_lshlrev_b64 v[30:31], v30, v[14:15]
	v_lshrrev_b32_e32 v33, 3, v17
	v_sub_u32_e32 v31, 29, v34
	v_and_b32_e32 v30, 7, v30
	v_cmp_gt_u32_e32 vcc, 8, v17
	v_cndmask_b32_e32 v17, v33, v31, vcc
	v_cndmask_b32_e32 v30, v32, v30, vcc
	v_lshlrev_b32_e32 v14, 24, v14
	v_bfrev_b32_e32 v31, 60
	v_lshlrev_b32_e32 v30, 20, v30
	v_and_b32_e32 v14, 0x80000000, v14
	v_lshl_add_u32 v17, v17, 23, v31
	v_or3_b32 v30, v14, v17, v30
.LBB548_495:
	s_or_b64 exec, exec, s[10:11]
.LBB548_496:
	s_or_b64 exec, exec, s[8:9]
.LBB548_497:
	s_or_b64 exec, exec, s[2:3]
	v_cvt_pkrtz_f16_f32 v14, v23, v25
	v_cvt_pkrtz_f16_f32 v15, v15, v28
	ds_read_b128 v[32:35], v22 offset:16
	s_waitcnt vmcnt(2)
	v_cmp_ne_u16_sdwa s[8:9], v10, v24 src0_sel:BYTE_0 src1_sel:DWORD
	s_waitcnt lgkmcnt(0)
	v_mfma_f32_16x16x16f16 v[18:21], v[14:15], v[32:33], v[18:21]
	v_cvt_pkrtz_f16_f32 v14, v27, v29
	v_cvt_pkrtz_f16_f32 v15, v16, v30
	s_nop 1
	v_mfma_f32_16x16x16f16 v[14:17], v[14:15], v[34:35], v[18:21]
	s_and_saveexec_b64 s[2:3], s[8:9]
	s_cbranch_execz .LBB548_503
; %bb.498:
	s_movk_i32 s7, 0x80
	v_cmp_ne_u16_sdwa s[10:11], v10, s7 src0_sel:BYTE_0 src1_sel:DWORD
	v_bfrev_b32_e32 v24, 1
	s_and_saveexec_b64 s[8:9], s[10:11]
	s_cbranch_execz .LBB548_502
; %bb.499:
	s_movk_i32 s7, 0x7f
	v_and_b32_e32 v18, 0x7f, v10
	v_cmp_ne_u32_e32 vcc, s7, v18
	v_mov_b32_e32 v24, 0x7f800001
	s_and_saveexec_b64 s[10:11], vcc
	s_cbranch_execz .LBB548_501
; %bb.500:
	v_and_b32_e32 v19, 7, v10
	v_ffbh_u32_e32 v20, v19
	v_min_u32_e32 v24, 32, v20
	v_subrev_u32_e32 v20, 28, v24
	v_lshlrev_b64 v[20:21], v20, v[10:11]
	v_lshrrev_b32_e32 v23, 3, v18
	v_sub_u32_e32 v21, 29, v24
	v_and_b32_e32 v20, 7, v20
	v_cmp_gt_u32_e32 vcc, 8, v18
	v_cndmask_b32_e32 v18, v23, v21, vcc
	v_cndmask_b32_e32 v19, v19, v20, vcc
	v_lshlrev_b32_e32 v20, 24, v10
	v_bfrev_b32_e32 v21, 60
	v_lshlrev_b32_e32 v19, 20, v19
	v_and_b32_e32 v20, 0x80000000, v20
	v_lshl_add_u32 v18, v18, 23, v21
	v_or3_b32 v24, v20, v18, v19
.LBB548_501:
	s_or_b64 exec, exec, s[10:11]
.LBB548_502:
	s_or_b64 exec, exec, s[8:9]
.LBB548_503:
	s_or_b64 exec, exec, s[2:3]
	s_nop 3
	v_lshrrev_b16_e32 v18, 8, v10
	v_cmp_ne_u16_e32 vcc, 0, v18
	v_mov_b32_e32 v19, 0
	v_mov_b32_e32 v20, 0
	s_and_saveexec_b64 s[2:3], vcc
	s_cbranch_execz .LBB548_509
; %bb.504:
	s_movk_i32 s7, 0x80
	v_cmp_ne_u16_e32 vcc, s7, v18
	v_bfrev_b32_e32 v20, 1
	s_and_saveexec_b64 s[8:9], vcc
	s_cbranch_execz .LBB548_508
; %bb.505:
	s_movk_i32 s7, 0x7f
	v_and_b32_e32 v21, 0x7f, v18
	v_cmp_ne_u32_e32 vcc, s7, v21
	v_mov_b32_e32 v20, 0x7f800001
	s_and_saveexec_b64 s[10:11], vcc
	s_cbranch_execz .LBB548_507
; %bb.506:
	v_and_b32_e32 v20, 7, v18
	v_ffbh_u32_e32 v25, v20
	v_min_u32_e32 v25, 32, v25
	v_subrev_u32_e32 v27, 28, v25
	v_lshlrev_b64 v[28:29], v27, v[18:19]
	v_lshrrev_b32_e32 v23, 3, v21
	v_sub_u32_e32 v18, 29, v25
	v_and_b32_e32 v25, 7, v28
	v_cmp_gt_u32_e32 vcc, 8, v21
	v_cndmask_b32_e32 v18, v23, v18, vcc
	v_cndmask_b32_e32 v20, v20, v25, vcc
	v_lshlrev_b32_e32 v21, 16, v10
	v_bfrev_b32_e32 v23, 60
	v_lshlrev_b32_e32 v20, 20, v20
	v_and_b32_e32 v21, 0x80000000, v21
	v_lshl_add_u32 v18, v18, 23, v23
	v_or3_b32 v20, v21, v18, v20
.LBB548_507:
	s_or_b64 exec, exec, s[10:11]
.LBB548_508:
	s_or_b64 exec, exec, s[8:9]
.LBB548_509:
	s_or_b64 exec, exec, s[2:3]
	s_movk_i32 s2, 0xff
	v_and_b32_sdwa v21, v10, s2 dst_sel:DWORD dst_unused:UNUSED_PAD src0_sel:WORD_1 src1_sel:DWORD
	v_lshrrev_b32_e32 v18, 16, v10
	v_cmp_ne_u16_e32 vcc, 0, v21
	s_and_saveexec_b64 s[2:3], vcc
	s_cbranch_execz .LBB548_515
; %bb.510:
	s_movk_i32 s7, 0x80
	v_cmp_ne_u16_e32 vcc, s7, v21
	v_bfrev_b32_e32 v19, 1
	s_and_saveexec_b64 s[8:9], vcc
	s_cbranch_execz .LBB548_514
; %bb.511:
	v_bfe_u32 v21, v10, 16, 7
	s_movk_i32 s7, 0x7f
	v_cmp_ne_u32_e32 vcc, s7, v21
	v_mov_b32_e32 v19, 0x7f800001
	s_and_saveexec_b64 s[10:11], vcc
	s_cbranch_execz .LBB548_513
; %bb.512:
	v_and_b32_e32 v23, 7, v18
	v_ffbh_u32_e32 v19, v23
	v_min_u32_e32 v27, 32, v19
	v_subrev_u32_e32 v19, 28, v27
	v_lshlrev_b64 v[18:19], v19, v[18:19]
	v_lshrrev_b32_e32 v25, 3, v21
	v_sub_u32_e32 v19, 29, v27
	v_and_b32_e32 v18, 7, v18
	v_cmp_gt_u32_e32 vcc, 8, v21
	v_mov_b32_e32 v21, 24
	v_cndmask_b32_e32 v19, v25, v19, vcc
	v_cndmask_b32_e32 v18, v23, v18, vcc
	v_lshlrev_b32_sdwa v21, v21, v10 dst_sel:DWORD dst_unused:UNUSED_PAD src0_sel:DWORD src1_sel:WORD_1
	v_bfrev_b32_e32 v23, 60
	v_lshlrev_b32_e32 v18, 20, v18
	v_and_b32_e32 v21, 0x80000000, v21
	v_lshl_add_u32 v19, v19, 23, v23
	v_or3_b32 v19, v21, v19, v18
.LBB548_513:
	s_or_b64 exec, exec, s[10:11]
.LBB548_514:
	s_or_b64 exec, exec, s[8:9]
.LBB548_515:
	s_or_b64 exec, exec, s[2:3]
	s_mov_b32 s2, 0xffffff
	v_cmp_lt_u32_e32 vcc, s2, v10
	v_mov_b32_e32 v21, 0
	v_mov_b32_e32 v23, 0
	s_and_saveexec_b64 s[2:3], vcc
	s_cbranch_execz .LBB548_521
; %bb.516:
	v_lshrrev_b32_e32 v18, 24, v10
	s_movk_i32 s7, 0x80
	v_cmp_ne_u32_e32 vcc, s7, v18
	v_bfrev_b32_e32 v23, 1
	s_and_saveexec_b64 s[8:9], vcc
	s_cbranch_execz .LBB548_520
; %bb.517:
	v_bfe_u32 v10, v10, 24, 7
	s_movk_i32 s7, 0x7f
	v_cmp_ne_u32_e32 vcc, s7, v10
	v_mov_b32_e32 v23, 0x7f800001
	s_and_saveexec_b64 s[10:11], vcc
	s_cbranch_execz .LBB548_519
; %bb.518:
	v_and_b32_e32 v23, 7, v18
	v_ffbh_u32_e32 v27, v23
	v_min_u32_e32 v27, 32, v27
	v_subrev_u32_e32 v28, 28, v27
	v_lshlrev_b64 v[28:29], v28, v[18:19]
	v_lshrrev_b32_e32 v25, 3, v10
	v_sub_u32_e32 v27, 29, v27
	v_and_b32_e32 v28, 7, v28
	v_cmp_gt_u32_e32 vcc, 8, v10
	v_cndmask_b32_e32 v10, v25, v27, vcc
	v_cndmask_b32_e32 v23, v23, v28, vcc
	v_lshlrev_b32_e32 v18, 24, v18
	v_bfrev_b32_e32 v25, 60
	v_lshlrev_b32_e32 v23, 20, v23
	v_and_b32_e32 v18, 0x80000000, v18
	v_lshl_add_u32 v10, v10, 23, v25
	v_or3_b32 v23, v18, v10, v23
.LBB548_519:
	s_or_b64 exec, exec, s[10:11]
.LBB548_520:
	s_or_b64 exec, exec, s[8:9]
.LBB548_521:
	s_or_b64 exec, exec, s[2:3]
	v_cmp_ne_u16_sdwa s[8:9], v11, v21 src0_sel:BYTE_0 src1_sel:DWORD
	s_and_saveexec_b64 s[2:3], s[8:9]
	s_cbranch_execz .LBB548_527
; %bb.522:
	s_movk_i32 s7, 0x80
	v_cmp_ne_u16_sdwa s[10:11], v11, s7 src0_sel:BYTE_0 src1_sel:DWORD
	v_bfrev_b32_e32 v21, 1
	s_and_saveexec_b64 s[8:9], s[10:11]
	s_cbranch_execz .LBB548_526
; %bb.523:
	s_movk_i32 s7, 0x7f
	v_and_b32_e32 v10, 0x7f, v11
	v_cmp_ne_u32_e32 vcc, s7, v10
	v_mov_b32_e32 v21, 0x7f800001
	s_and_saveexec_b64 s[10:11], vcc
	s_cbranch_execz .LBB548_525
; %bb.524:
	v_and_b32_e32 v21, 7, v11
	v_ffbh_u32_e32 v27, v21
	v_min_u32_e32 v27, 32, v27
	v_mov_b32_e32 v18, v11
	v_subrev_u32_e32 v28, 28, v27
	v_lshlrev_b64 v[28:29], v28, v[18:19]
	v_lshrrev_b32_e32 v25, 3, v10
	v_sub_u32_e32 v18, 29, v27
	v_and_b32_e32 v27, 7, v28
	v_cmp_gt_u32_e32 vcc, 8, v10
	v_cndmask_b32_e32 v10, v25, v18, vcc
	v_cndmask_b32_e32 v18, v21, v27, vcc
	v_lshlrev_b32_e32 v21, 24, v11
	v_bfrev_b32_e32 v25, 60
	v_lshlrev_b32_e32 v18, 20, v18
	v_and_b32_e32 v21, 0x80000000, v21
	v_lshl_add_u32 v10, v10, 23, v25
	v_or3_b32 v21, v21, v10, v18
.LBB548_525:
	s_or_b64 exec, exec, s[10:11]
.LBB548_526:
	s_or_b64 exec, exec, s[8:9]
.LBB548_527:
	s_or_b64 exec, exec, s[2:3]
	v_lshrrev_b16_e32 v10, 8, v11
	v_cmp_ne_u16_e32 vcc, 0, v10
	v_mov_b32_e32 v25, 0
	v_mov_b32_e32 v27, 0
	s_and_saveexec_b64 s[2:3], vcc
	s_cbranch_execz .LBB548_533
; %bb.528:
	s_movk_i32 s7, 0x80
	v_cmp_ne_u16_e32 vcc, s7, v10
	v_bfrev_b32_e32 v27, 1
	s_and_saveexec_b64 s[8:9], vcc
	s_cbranch_execz .LBB548_532
; %bb.529:
	s_movk_i32 s7, 0x7f
	v_and_b32_e32 v18, 0x7f, v10
	v_cmp_ne_u32_e32 vcc, s7, v18
	v_mov_b32_e32 v27, 0x7f800001
	s_and_saveexec_b64 s[10:11], vcc
	s_cbranch_execz .LBB548_531
; %bb.530:
	v_and_b32_e32 v27, 7, v10
	v_ffbh_u32_e32 v28, v27
	v_min_u32_e32 v31, 32, v28
	v_subrev_u32_e32 v28, 28, v31
	v_lshlrev_b64 v[28:29], v28, v[10:11]
	v_lshrrev_b32_e32 v30, 3, v18
	v_sub_u32_e32 v10, 29, v31
	v_and_b32_e32 v28, 7, v28
	v_cmp_gt_u32_e32 vcc, 8, v18
	v_cndmask_b32_e32 v10, v30, v10, vcc
	v_cndmask_b32_e32 v18, v27, v28, vcc
	v_lshlrev_b32_e32 v27, 16, v11
	v_bfrev_b32_e32 v28, 60
	v_lshlrev_b32_e32 v18, 20, v18
	v_and_b32_e32 v27, 0x80000000, v27
	v_lshl_add_u32 v10, v10, 23, v28
	v_or3_b32 v27, v27, v10, v18
.LBB548_531:
	s_or_b64 exec, exec, s[10:11]
.LBB548_532:
	s_or_b64 exec, exec, s[8:9]
.LBB548_533:
	s_or_b64 exec, exec, s[2:3]
	s_movk_i32 s2, 0xff
	v_and_b32_sdwa v18, v11, s2 dst_sel:DWORD dst_unused:UNUSED_PAD src0_sel:WORD_1 src1_sel:DWORD
	v_lshrrev_b32_e32 v10, 16, v11
	v_cmp_ne_u16_e32 vcc, 0, v18
	s_and_saveexec_b64 s[2:3], vcc
	s_cbranch_execz .LBB548_539
; %bb.534:
	s_movk_i32 s7, 0x80
	v_cmp_ne_u16_e32 vcc, s7, v18
	v_bfrev_b32_e32 v25, 1
	s_and_saveexec_b64 s[8:9], vcc
	s_cbranch_execz .LBB548_538
; %bb.535:
	v_bfe_u32 v18, v11, 16, 7
	s_movk_i32 s7, 0x7f
	v_cmp_ne_u32_e32 vcc, s7, v18
	v_mov_b32_e32 v25, 0x7f800001
	s_and_saveexec_b64 s[10:11], vcc
	s_cbranch_execz .LBB548_537
; %bb.536:
	v_and_b32_e32 v25, 7, v10
	v_ffbh_u32_e32 v28, v25
	v_min_u32_e32 v31, 32, v28
	v_subrev_u32_e32 v28, 28, v31
	v_lshlrev_b64 v[28:29], v28, v[10:11]
	v_and_b32_e32 v28, 7, v28
	v_cmp_gt_u32_e32 vcc, 8, v18
	v_lshrrev_b32_e32 v30, 3, v18
	v_sub_u32_e32 v10, 29, v31
	v_cndmask_b32_e32 v18, v25, v28, vcc
	v_mov_b32_e32 v25, 24
	v_cndmask_b32_e32 v10, v30, v10, vcc
	v_lshlrev_b32_sdwa v25, v25, v11 dst_sel:DWORD dst_unused:UNUSED_PAD src0_sel:DWORD src1_sel:WORD_1
	v_bfrev_b32_e32 v28, 60
	v_lshlrev_b32_e32 v18, 20, v18
	v_and_b32_e32 v25, 0x80000000, v25
	v_lshl_add_u32 v10, v10, 23, v28
	v_or3_b32 v25, v25, v10, v18
.LBB548_537:
	s_or_b64 exec, exec, s[10:11]
.LBB548_538:
	s_or_b64 exec, exec, s[8:9]
.LBB548_539:
	s_or_b64 exec, exec, s[2:3]
	s_mov_b32 s2, 0xffffff
	v_cmp_lt_u32_e32 vcc, s2, v11
	v_mov_b32_e32 v18, 0
	v_mov_b32_e32 v28, 0
	s_and_saveexec_b64 s[2:3], vcc
	s_cbranch_execz .LBB548_545
; %bb.540:
	v_lshrrev_b32_e32 v10, 24, v11
	s_movk_i32 s7, 0x80
	v_cmp_ne_u32_e32 vcc, s7, v10
	v_bfrev_b32_e32 v28, 1
	s_and_saveexec_b64 s[8:9], vcc
	s_cbranch_execz .LBB548_544
; %bb.541:
	v_bfe_u32 v11, v11, 24, 7
	s_movk_i32 s7, 0x7f
	v_cmp_ne_u32_e32 vcc, s7, v11
	v_mov_b32_e32 v28, 0x7f800001
	s_and_saveexec_b64 s[10:11], vcc
	s_cbranch_execz .LBB548_543
; %bb.542:
	v_and_b32_e32 v30, 7, v10
	v_ffbh_u32_e32 v28, v30
	v_min_u32_e32 v32, 32, v28
	v_subrev_u32_e32 v28, 28, v32
	v_lshlrev_b64 v[28:29], v28, v[10:11]
	v_lshrrev_b32_e32 v31, 3, v11
	v_sub_u32_e32 v29, 29, v32
	v_and_b32_e32 v28, 7, v28
	v_cmp_gt_u32_e32 vcc, 8, v11
	v_cndmask_b32_e32 v11, v31, v29, vcc
	v_cndmask_b32_e32 v28, v30, v28, vcc
	v_lshlrev_b32_e32 v10, 24, v10
	v_bfrev_b32_e32 v29, 60
	v_lshlrev_b32_e32 v28, 20, v28
	v_and_b32_e32 v10, 0x80000000, v10
	v_lshl_add_u32 v11, v11, 23, v29
	v_or3_b32 v28, v10, v11, v28
.LBB548_543:
	s_or_b64 exec, exec, s[10:11]
.LBB548_544:
	s_or_b64 exec, exec, s[8:9]
.LBB548_545:
	s_or_b64 exec, exec, s[2:3]
	v_cvt_pkrtz_f16_f32 v10, v24, v20
	v_cvt_pkrtz_f16_f32 v11, v19, v23
	ds_read_b128 v[30:33], v22 offset:2048
	v_cmp_ne_u16_sdwa s[8:9], v12, v18 src0_sel:BYTE_0 src1_sel:DWORD
	s_waitcnt lgkmcnt(0)
	v_mfma_f32_16x16x16f16 v[14:17], v[10:11], v[30:31], v[14:17]
	v_cvt_pkrtz_f16_f32 v10, v21, v27
	v_cvt_pkrtz_f16_f32 v11, v25, v28
	s_nop 1
	v_mfma_f32_16x16x16f16 v[14:17], v[10:11], v[32:33], v[14:17]
	s_and_saveexec_b64 s[2:3], s[8:9]
	s_cbranch_execz .LBB548_551
; %bb.546:
	s_movk_i32 s7, 0x80
	v_cmp_ne_u16_sdwa s[10:11], v12, s7 src0_sel:BYTE_0 src1_sel:DWORD
	v_bfrev_b32_e32 v18, 1
	s_and_saveexec_b64 s[8:9], s[10:11]
	s_cbranch_execz .LBB548_550
; %bb.547:
	s_movk_i32 s7, 0x7f
	v_and_b32_e32 v10, 0x7f, v12
	v_cmp_ne_u32_e32 vcc, s7, v10
	v_mov_b32_e32 v18, 0x7f800001
	s_and_saveexec_b64 s[10:11], vcc
	s_cbranch_execz .LBB548_549
; %bb.548:
	v_and_b32_e32 v11, 7, v12
	v_ffbh_u32_e32 v18, v11
	v_min_u32_e32 v21, 32, v18
	v_subrev_u32_e32 v18, 28, v21
	v_lshlrev_b64 v[18:19], v18, v[12:13]
	v_lshrrev_b32_e32 v20, 3, v10
	v_sub_u32_e32 v19, 29, v21
	v_and_b32_e32 v18, 7, v18
	v_cmp_gt_u32_e32 vcc, 8, v10
	v_cndmask_b32_e32 v10, v20, v19, vcc
	v_cndmask_b32_e32 v11, v11, v18, vcc
	v_lshlrev_b32_e32 v18, 24, v12
	v_bfrev_b32_e32 v19, 60
	v_lshlrev_b32_e32 v11, 20, v11
	v_and_b32_e32 v18, 0x80000000, v18
	v_lshl_add_u32 v10, v10, 23, v19
	v_or3_b32 v18, v18, v10, v11
.LBB548_549:
	s_or_b64 exec, exec, s[10:11]
.LBB548_550:
	s_or_b64 exec, exec, s[8:9]
.LBB548_551:
	s_or_b64 exec, exec, s[2:3]
	v_lshrrev_b16_e32 v10, 8, v12
	v_cmp_ne_u16_e32 vcc, 0, v10
	v_mov_b32_e32 v11, 0
	v_mov_b32_e32 v20, 0
	s_and_saveexec_b64 s[2:3], vcc
	s_cbranch_execz .LBB548_557
; %bb.552:
	s_movk_i32 s7, 0x80
	v_cmp_ne_u16_e32 vcc, s7, v10
	v_bfrev_b32_e32 v20, 1
	s_and_saveexec_b64 s[8:9], vcc
	s_cbranch_execz .LBB548_556
; %bb.553:
	s_movk_i32 s7, 0x7f
	v_and_b32_e32 v19, 0x7f, v10
	v_cmp_ne_u32_e32 vcc, s7, v19
	v_mov_b32_e32 v20, 0x7f800001
	s_and_saveexec_b64 s[10:11], vcc
	s_cbranch_execz .LBB548_555
; %bb.554:
	v_and_b32_e32 v23, 7, v10
	v_ffbh_u32_e32 v20, v23
	v_min_u32_e32 v25, 32, v20
	v_subrev_u32_e32 v20, 28, v25
	v_lshlrev_b64 v[20:21], v20, v[10:11]
	v_lshrrev_b32_e32 v24, 3, v19
	v_sub_u32_e32 v10, 29, v25
	v_and_b32_e32 v20, 7, v20
	v_cmp_gt_u32_e32 vcc, 8, v19
	v_cndmask_b32_e32 v10, v24, v10, vcc
	v_cndmask_b32_e32 v19, v23, v20, vcc
	v_lshlrev_b32_e32 v20, 16, v12
	v_bfrev_b32_e32 v21, 60
	v_lshlrev_b32_e32 v19, 20, v19
	v_and_b32_e32 v20, 0x80000000, v20
	v_lshl_add_u32 v10, v10, 23, v21
	v_or3_b32 v20, v20, v10, v19
.LBB548_555:
	s_or_b64 exec, exec, s[10:11]
.LBB548_556:
	s_or_b64 exec, exec, s[8:9]
.LBB548_557:
	s_or_b64 exec, exec, s[2:3]
	s_movk_i32 s2, 0xff
	v_and_b32_sdwa v19, v12, s2 dst_sel:DWORD dst_unused:UNUSED_PAD src0_sel:WORD_1 src1_sel:DWORD
	v_lshrrev_b32_e32 v10, 16, v12
	v_cmp_ne_u16_e32 vcc, 0, v19
	s_and_saveexec_b64 s[2:3], vcc
	s_cbranch_execz .LBB548_563
; %bb.558:
	s_movk_i32 s7, 0x80
	v_cmp_ne_u16_e32 vcc, s7, v19
	v_bfrev_b32_e32 v11, 1
	s_and_saveexec_b64 s[8:9], vcc
	s_cbranch_execz .LBB548_562
; %bb.559:
	v_bfe_u32 v19, v12, 16, 7
	s_movk_i32 s7, 0x7f
	v_cmp_ne_u32_e32 vcc, s7, v19
	v_mov_b32_e32 v11, 0x7f800001
	s_and_saveexec_b64 s[10:11], vcc
	s_cbranch_execz .LBB548_561
; %bb.560:
	v_and_b32_e32 v21, 7, v10
	v_ffbh_u32_e32 v11, v21
	v_min_u32_e32 v24, 32, v11
	v_subrev_u32_e32 v11, 28, v24
	v_lshlrev_b64 v[10:11], v11, v[10:11]
	v_lshrrev_b32_e32 v23, 3, v19
	v_sub_u32_e32 v11, 29, v24
	v_and_b32_e32 v10, 7, v10
	v_cmp_gt_u32_e32 vcc, 8, v19
	v_mov_b32_e32 v19, 24
	v_cndmask_b32_e32 v11, v23, v11, vcc
	v_cndmask_b32_e32 v10, v21, v10, vcc
	v_lshlrev_b32_sdwa v19, v19, v12 dst_sel:DWORD dst_unused:UNUSED_PAD src0_sel:DWORD src1_sel:WORD_1
	v_bfrev_b32_e32 v21, 60
	v_lshlrev_b32_e32 v10, 20, v10
	v_and_b32_e32 v19, 0x80000000, v19
	v_lshl_add_u32 v11, v11, 23, v21
	v_or3_b32 v11, v19, v11, v10
.LBB548_561:
	s_or_b64 exec, exec, s[10:11]
.LBB548_562:
	s_or_b64 exec, exec, s[8:9]
.LBB548_563:
	s_or_b64 exec, exec, s[2:3]
	s_mov_b32 s2, 0xffffff
	v_cmp_lt_u32_e32 vcc, s2, v12
	v_mov_b32_e32 v21, 0
	v_mov_b32_e32 v23, 0
	s_and_saveexec_b64 s[2:3], vcc
	s_cbranch_execz .LBB548_569
; %bb.564:
	v_lshrrev_b32_e32 v10, 24, v12
	s_movk_i32 s7, 0x80
	v_cmp_ne_u32_e32 vcc, s7, v10
	v_bfrev_b32_e32 v23, 1
	s_and_saveexec_b64 s[8:9], vcc
	s_cbranch_execz .LBB548_568
; %bb.565:
	v_bfe_u32 v12, v12, 24, 7
	s_movk_i32 s7, 0x7f
	v_cmp_ne_u32_e32 vcc, s7, v12
	v_mov_b32_e32 v23, 0x7f800001
	s_and_saveexec_b64 s[10:11], vcc
	s_cbranch_execz .LBB548_567
; %bb.566:
	v_and_b32_e32 v19, 7, v10
	v_ffbh_u32_e32 v24, v19
	v_min_u32_e32 v27, 32, v24
	v_subrev_u32_e32 v24, 28, v27
	v_lshlrev_b64 v[24:25], v24, v[10:11]
	v_lshrrev_b32_e32 v23, 3, v12
	v_sub_u32_e32 v25, 29, v27
	v_and_b32_e32 v24, 7, v24
	v_cmp_gt_u32_e32 vcc, 8, v12
	v_cndmask_b32_e32 v12, v23, v25, vcc
	v_cndmask_b32_e32 v19, v19, v24, vcc
	v_lshlrev_b32_e32 v10, 24, v10
	v_bfrev_b32_e32 v23, 60
	v_lshlrev_b32_e32 v19, 20, v19
	v_and_b32_e32 v10, 0x80000000, v10
	v_lshl_add_u32 v12, v12, 23, v23
	v_or3_b32 v23, v10, v12, v19
.LBB548_567:
	s_or_b64 exec, exec, s[10:11]
.LBB548_568:
	s_or_b64 exec, exec, s[8:9]
.LBB548_569:
	s_or_b64 exec, exec, s[2:3]
	v_cmp_ne_u16_sdwa s[8:9], v13, v21 src0_sel:BYTE_0 src1_sel:DWORD
	s_and_saveexec_b64 s[2:3], s[8:9]
	s_cbranch_execz .LBB548_575
; %bb.570:
	s_movk_i32 s7, 0x80
	v_cmp_ne_u16_sdwa s[10:11], v13, s7 src0_sel:BYTE_0 src1_sel:DWORD
	v_bfrev_b32_e32 v21, 1
	s_and_saveexec_b64 s[8:9], s[10:11]
	s_cbranch_execz .LBB548_574
; %bb.571:
	s_movk_i32 s7, 0x7f
	v_and_b32_e32 v10, 0x7f, v13
	v_cmp_ne_u32_e32 vcc, s7, v10
	v_mov_b32_e32 v21, 0x7f800001
	s_and_saveexec_b64 s[10:11], vcc
	s_cbranch_execz .LBB548_573
; %bb.572:
	v_and_b32_e32 v19, 7, v13
	v_ffbh_u32_e32 v24, v19
	v_min_u32_e32 v27, 32, v24
	v_mov_b32_e32 v12, v13
	v_subrev_u32_e32 v24, 28, v27
	v_lshlrev_b64 v[24:25], v24, v[12:13]
	v_lshrrev_b32_e32 v21, 3, v10
	v_sub_u32_e32 v12, 29, v27
	v_and_b32_e32 v24, 7, v24
	v_cmp_gt_u32_e32 vcc, 8, v10
	v_cndmask_b32_e32 v10, v21, v12, vcc
	v_cndmask_b32_e32 v12, v19, v24, vcc
	v_lshlrev_b32_e32 v19, 24, v13
	v_bfrev_b32_e32 v21, 60
	v_lshlrev_b32_e32 v12, 20, v12
	v_and_b32_e32 v19, 0x80000000, v19
	v_lshl_add_u32 v10, v10, 23, v21
	v_or3_b32 v21, v19, v10, v12
.LBB548_573:
	s_or_b64 exec, exec, s[10:11]
.LBB548_574:
	s_or_b64 exec, exec, s[8:9]
.LBB548_575:
	s_or_b64 exec, exec, s[2:3]
	v_lshrrev_b16_e32 v10, 8, v13
	v_cmp_ne_u16_e32 vcc, 0, v10
	v_mov_b32_e32 v12, 0
	v_mov_b32_e32 v24, 0
	s_and_saveexec_b64 s[2:3], vcc
	s_cbranch_execz .LBB548_581
; %bb.576:
	s_movk_i32 s7, 0x80
	v_cmp_ne_u16_e32 vcc, s7, v10
	v_bfrev_b32_e32 v24, 1
	s_and_saveexec_b64 s[8:9], vcc
	s_cbranch_execz .LBB548_580
; %bb.577:
	s_movk_i32 s7, 0x7f
	v_and_b32_e32 v19, 0x7f, v10
	v_cmp_ne_u32_e32 vcc, s7, v19
	v_mov_b32_e32 v24, 0x7f800001
	s_and_saveexec_b64 s[10:11], vcc
	s_cbranch_execz .LBB548_579
; %bb.578:
	v_and_b32_e32 v27, 7, v10
	v_ffbh_u32_e32 v24, v27
	v_min_u32_e32 v29, 32, v24
	v_subrev_u32_e32 v24, 28, v29
	v_lshlrev_b64 v[24:25], v24, v[10:11]
	v_lshrrev_b32_e32 v28, 3, v19
	v_sub_u32_e32 v10, 29, v29
	v_and_b32_e32 v24, 7, v24
	v_cmp_gt_u32_e32 vcc, 8, v19
	v_cndmask_b32_e32 v10, v28, v10, vcc
	v_cndmask_b32_e32 v19, v27, v24, vcc
	v_lshlrev_b32_e32 v24, 16, v13
	v_bfrev_b32_e32 v25, 60
	v_lshlrev_b32_e32 v19, 20, v19
	v_and_b32_e32 v24, 0x80000000, v24
	v_lshl_add_u32 v10, v10, 23, v25
	v_or3_b32 v24, v24, v10, v19
.LBB548_579:
	s_or_b64 exec, exec, s[10:11]
.LBB548_580:
	s_or_b64 exec, exec, s[8:9]
.LBB548_581:
	s_or_b64 exec, exec, s[2:3]
	s_movk_i32 s2, 0xff
	v_and_b32_sdwa v19, v13, s2 dst_sel:DWORD dst_unused:UNUSED_PAD src0_sel:WORD_1 src1_sel:DWORD
	v_lshrrev_b32_e32 v10, 16, v13
	v_cmp_ne_u16_e32 vcc, 0, v19
	s_and_saveexec_b64 s[2:3], vcc
	s_cbranch_execz .LBB548_587
; %bb.582:
	s_movk_i32 s7, 0x80
	v_cmp_ne_u16_e32 vcc, s7, v19
	v_bfrev_b32_e32 v12, 1
	s_and_saveexec_b64 s[8:9], vcc
	s_cbranch_execz .LBB548_586
; %bb.583:
	v_bfe_u32 v19, v13, 16, 7
	s_movk_i32 s7, 0x7f
	v_cmp_ne_u32_e32 vcc, s7, v19
	v_mov_b32_e32 v12, 0x7f800001
	s_and_saveexec_b64 s[10:11], vcc
	s_cbranch_execz .LBB548_585
; %bb.584:
	v_and_b32_e32 v12, 7, v10
	v_ffbh_u32_e32 v27, v12
	v_min_u32_e32 v27, 32, v27
	v_subrev_u32_e32 v28, 28, v27
	v_lshlrev_b64 v[28:29], v28, v[10:11]
	v_lshrrev_b32_e32 v25, 3, v19
	v_sub_u32_e32 v10, 29, v27
	v_and_b32_e32 v27, 7, v28
	v_cmp_gt_u32_e32 vcc, 8, v19
	v_mov_b32_e32 v19, 24
	v_cndmask_b32_e32 v10, v25, v10, vcc
	v_cndmask_b32_e32 v12, v12, v27, vcc
	v_lshlrev_b32_sdwa v19, v19, v13 dst_sel:DWORD dst_unused:UNUSED_PAD src0_sel:DWORD src1_sel:WORD_1
	v_bfrev_b32_e32 v25, 60
	v_lshlrev_b32_e32 v12, 20, v12
	v_and_b32_e32 v19, 0x80000000, v19
	v_lshl_add_u32 v10, v10, 23, v25
	v_or3_b32 v12, v19, v10, v12
.LBB548_585:
	s_or_b64 exec, exec, s[10:11]
.LBB548_586:
	s_or_b64 exec, exec, s[8:9]
.LBB548_587:
	s_or_b64 exec, exec, s[2:3]
	s_mov_b32 s2, 0xffffff
	v_cmp_lt_u32_e32 vcc, s2, v13
	v_mov_b32_e32 v19, 0
	v_mov_b32_e32 v25, 0
	s_and_saveexec_b64 s[2:3], vcc
	s_cbranch_execz .LBB548_593
; %bb.588:
	v_lshrrev_b32_e32 v10, 24, v13
	s_movk_i32 s7, 0x80
	v_cmp_ne_u32_e32 vcc, s7, v10
	v_bfrev_b32_e32 v25, 1
	s_and_saveexec_b64 s[8:9], vcc
	s_cbranch_execz .LBB548_592
; %bb.589:
	v_bfe_u32 v13, v13, 24, 7
	s_movk_i32 s7, 0x7f
	v_cmp_ne_u32_e32 vcc, s7, v13
	v_mov_b32_e32 v25, 0x7f800001
	s_and_saveexec_b64 s[10:11], vcc
	s_cbranch_execz .LBB548_591
; %bb.590:
	v_and_b32_e32 v25, 7, v10
	v_ffbh_u32_e32 v28, v25
	v_min_u32_e32 v30, 32, v28
	v_subrev_u32_e32 v28, 28, v30
	v_lshlrev_b64 v[28:29], v28, v[10:11]
	v_lshrrev_b32_e32 v27, 3, v13
	v_sub_u32_e32 v29, 29, v30
	v_and_b32_e32 v28, 7, v28
	v_cmp_gt_u32_e32 vcc, 8, v13
	v_cndmask_b32_e32 v13, v27, v29, vcc
	v_cndmask_b32_e32 v25, v25, v28, vcc
	v_lshlrev_b32_e32 v10, 24, v10
	v_bfrev_b32_e32 v27, 60
	v_lshlrev_b32_e32 v25, 20, v25
	v_and_b32_e32 v10, 0x80000000, v10
	v_lshl_add_u32 v13, v13, 23, v27
	v_or3_b32 v25, v10, v13, v25
.LBB548_591:
	s_or_b64 exec, exec, s[10:11]
.LBB548_592:
	s_or_b64 exec, exec, s[8:9]
.LBB548_593:
	s_or_b64 exec, exec, s[2:3]
	v_cvt_pkrtz_f16_f32 v10, v18, v20
	v_cvt_pkrtz_f16_f32 v11, v11, v23
	ds_read_b128 v[28:31], v22 offset:2064
	s_waitcnt vmcnt(1)
	v_cmp_ne_u16_sdwa s[8:9], v6, v19 src0_sel:BYTE_0 src1_sel:DWORD
	s_waitcnt lgkmcnt(0)
	v_mfma_f32_16x16x16f16 v[14:17], v[10:11], v[28:29], v[14:17]
	v_cvt_pkrtz_f16_f32 v10, v21, v24
	v_cvt_pkrtz_f16_f32 v11, v12, v25
	s_nop 1
	v_mfma_f32_16x16x16f16 v[10:13], v[10:11], v[30:31], v[14:17]
	s_and_saveexec_b64 s[2:3], s[8:9]
	s_cbranch_execz .LBB548_599
; %bb.594:
	s_movk_i32 s7, 0x80
	v_cmp_ne_u16_sdwa s[10:11], v6, s7 src0_sel:BYTE_0 src1_sel:DWORD
	v_bfrev_b32_e32 v19, 1
	s_and_saveexec_b64 s[8:9], s[10:11]
	s_cbranch_execz .LBB548_598
; %bb.595:
	s_movk_i32 s7, 0x7f
	v_and_b32_e32 v14, 0x7f, v6
	v_cmp_ne_u32_e32 vcc, s7, v14
	v_mov_b32_e32 v19, 0x7f800001
	s_and_saveexec_b64 s[10:11], vcc
	s_cbranch_execz .LBB548_597
; %bb.596:
	v_and_b32_e32 v15, 7, v6
	v_ffbh_u32_e32 v16, v15
	v_min_u32_e32 v19, 32, v16
	v_subrev_u32_e32 v16, 28, v19
	v_lshlrev_b64 v[16:17], v16, v[6:7]
	v_lshrrev_b32_e32 v18, 3, v14
	v_sub_u32_e32 v17, 29, v19
	v_and_b32_e32 v16, 7, v16
	v_cmp_gt_u32_e32 vcc, 8, v14
	v_cndmask_b32_e32 v14, v18, v17, vcc
	v_cndmask_b32_e32 v15, v15, v16, vcc
	v_lshlrev_b32_e32 v16, 24, v6
	v_bfrev_b32_e32 v17, 60
	v_lshlrev_b32_e32 v15, 20, v15
	v_and_b32_e32 v16, 0x80000000, v16
	v_lshl_add_u32 v14, v14, 23, v17
	v_or3_b32 v19, v16, v14, v15
.LBB548_597:
	s_or_b64 exec, exec, s[10:11]
.LBB548_598:
	s_or_b64 exec, exec, s[8:9]
.LBB548_599:
	s_or_b64 exec, exec, s[2:3]
	s_nop 3
	v_lshrrev_b16_e32 v14, 8, v6
	v_cmp_ne_u16_e32 vcc, 0, v14
	v_mov_b32_e32 v15, 0
	v_mov_b32_e32 v16, 0
	s_and_saveexec_b64 s[2:3], vcc
	s_cbranch_execz .LBB548_605
; %bb.600:
	s_movk_i32 s7, 0x80
	v_cmp_ne_u16_e32 vcc, s7, v14
	v_bfrev_b32_e32 v16, 1
	s_and_saveexec_b64 s[8:9], vcc
	s_cbranch_execz .LBB548_604
; %bb.601:
	s_movk_i32 s7, 0x7f
	v_and_b32_e32 v17, 0x7f, v14
	v_cmp_ne_u32_e32 vcc, s7, v17
	v_mov_b32_e32 v16, 0x7f800001
	s_and_saveexec_b64 s[10:11], vcc
	s_cbranch_execz .LBB548_603
; %bb.602:
	v_and_b32_e32 v16, 7, v14
	v_ffbh_u32_e32 v20, v16
	v_min_u32_e32 v23, 32, v20
	v_subrev_u32_e32 v20, 28, v23
	v_lshlrev_b64 v[20:21], v20, v[14:15]
	v_lshrrev_b32_e32 v18, 3, v17
	v_sub_u32_e32 v14, 29, v23
	v_and_b32_e32 v20, 7, v20
	v_cmp_gt_u32_e32 vcc, 8, v17
	v_cndmask_b32_e32 v14, v18, v14, vcc
	v_cndmask_b32_e32 v16, v16, v20, vcc
	v_lshlrev_b32_e32 v17, 16, v6
	v_bfrev_b32_e32 v18, 60
	v_lshlrev_b32_e32 v16, 20, v16
	v_and_b32_e32 v17, 0x80000000, v17
	v_lshl_add_u32 v14, v14, 23, v18
	v_or3_b32 v16, v17, v14, v16
.LBB548_603:
	s_or_b64 exec, exec, s[10:11]
.LBB548_604:
	s_or_b64 exec, exec, s[8:9]
.LBB548_605:
	s_or_b64 exec, exec, s[2:3]
	s_movk_i32 s2, 0xff
	v_and_b32_sdwa v17, v6, s2 dst_sel:DWORD dst_unused:UNUSED_PAD src0_sel:WORD_1 src1_sel:DWORD
	v_lshrrev_b32_e32 v14, 16, v6
	v_cmp_ne_u16_e32 vcc, 0, v17
	s_and_saveexec_b64 s[2:3], vcc
	s_cbranch_execz .LBB548_611
; %bb.606:
	s_movk_i32 s7, 0x80
	v_cmp_ne_u16_e32 vcc, s7, v17
	v_bfrev_b32_e32 v15, 1
	s_and_saveexec_b64 s[8:9], vcc
	s_cbranch_execz .LBB548_610
; %bb.607:
	v_bfe_u32 v17, v6, 16, 7
	s_movk_i32 s7, 0x7f
	v_cmp_ne_u32_e32 vcc, s7, v17
	v_mov_b32_e32 v15, 0x7f800001
	s_and_saveexec_b64 s[10:11], vcc
	s_cbranch_execz .LBB548_609
; %bb.608:
	v_and_b32_e32 v18, 7, v14
	v_ffbh_u32_e32 v15, v18
	v_min_u32_e32 v21, 32, v15
	v_subrev_u32_e32 v15, 28, v21
	v_lshlrev_b64 v[14:15], v15, v[14:15]
	v_lshrrev_b32_e32 v20, 3, v17
	v_sub_u32_e32 v15, 29, v21
	v_and_b32_e32 v14, 7, v14
	v_cmp_gt_u32_e32 vcc, 8, v17
	v_mov_b32_e32 v17, 24
	v_cndmask_b32_e32 v15, v20, v15, vcc
	v_cndmask_b32_e32 v14, v18, v14, vcc
	v_lshlrev_b32_sdwa v17, v17, v6 dst_sel:DWORD dst_unused:UNUSED_PAD src0_sel:DWORD src1_sel:WORD_1
	v_bfrev_b32_e32 v18, 60
	v_lshlrev_b32_e32 v14, 20, v14
	v_and_b32_e32 v17, 0x80000000, v17
	v_lshl_add_u32 v15, v15, 23, v18
	v_or3_b32 v15, v17, v15, v14
.LBB548_609:
	s_or_b64 exec, exec, s[10:11]
.LBB548_610:
	s_or_b64 exec, exec, s[8:9]
.LBB548_611:
	s_or_b64 exec, exec, s[2:3]
	s_mov_b32 s2, 0xffffff
	v_cmp_lt_u32_e32 vcc, s2, v6
	v_mov_b32_e32 v17, 0
	v_mov_b32_e32 v18, 0
	s_and_saveexec_b64 s[2:3], vcc
	s_cbranch_execz .LBB548_617
; %bb.612:
	v_lshrrev_b32_e32 v14, 24, v6
	s_movk_i32 s7, 0x80
	v_cmp_ne_u32_e32 vcc, s7, v14
	v_bfrev_b32_e32 v18, 1
	s_and_saveexec_b64 s[8:9], vcc
	s_cbranch_execz .LBB548_616
; %bb.613:
	v_bfe_u32 v6, v6, 24, 7
	s_movk_i32 s7, 0x7f
	v_cmp_ne_u32_e32 vcc, s7, v6
	v_mov_b32_e32 v18, 0x7f800001
	s_and_saveexec_b64 s[10:11], vcc
	s_cbranch_execz .LBB548_615
; %bb.614:
	v_and_b32_e32 v18, 7, v14
	v_ffbh_u32_e32 v20, v18
	v_min_u32_e32 v24, 32, v20
	v_subrev_u32_e32 v20, 28, v24
	v_lshlrev_b64 v[20:21], v20, v[14:15]
	v_lshrrev_b32_e32 v23, 3, v6
	v_sub_u32_e32 v21, 29, v24
	v_and_b32_e32 v20, 7, v20
	v_cmp_gt_u32_e32 vcc, 8, v6
	v_cndmask_b32_e32 v6, v23, v21, vcc
	v_cndmask_b32_e32 v18, v18, v20, vcc
	v_lshlrev_b32_e32 v14, 24, v14
	v_bfrev_b32_e32 v20, 60
	v_lshlrev_b32_e32 v18, 20, v18
	v_and_b32_e32 v14, 0x80000000, v14
	v_lshl_add_u32 v6, v6, 23, v20
	v_or3_b32 v18, v14, v6, v18
.LBB548_615:
	s_or_b64 exec, exec, s[10:11]
.LBB548_616:
	s_or_b64 exec, exec, s[8:9]
.LBB548_617:
	s_or_b64 exec, exec, s[2:3]
	v_cmp_ne_u16_sdwa s[8:9], v7, v17 src0_sel:BYTE_0 src1_sel:DWORD
	s_and_saveexec_b64 s[2:3], s[8:9]
	s_cbranch_execz .LBB548_623
; %bb.618:
	s_movk_i32 s7, 0x80
	v_cmp_ne_u16_sdwa s[10:11], v7, s7 src0_sel:BYTE_0 src1_sel:DWORD
	v_bfrev_b32_e32 v17, 1
	s_and_saveexec_b64 s[8:9], s[10:11]
	s_cbranch_execz .LBB548_622
; %bb.619:
	s_movk_i32 s7, 0x7f
	v_and_b32_e32 v6, 0x7f, v7
	v_cmp_ne_u32_e32 vcc, s7, v6
	v_mov_b32_e32 v17, 0x7f800001
	s_and_saveexec_b64 s[10:11], vcc
	s_cbranch_execz .LBB548_621
; %bb.620:
	v_and_b32_e32 v17, 7, v7
	v_ffbh_u32_e32 v20, v17
	v_min_u32_e32 v24, 32, v20
	v_mov_b32_e32 v14, v7
	v_subrev_u32_e32 v20, 28, v24
	v_lshlrev_b64 v[20:21], v20, v[14:15]
	v_lshrrev_b32_e32 v23, 3, v6
	v_sub_u32_e32 v14, 29, v24
	v_and_b32_e32 v20, 7, v20
	v_cmp_gt_u32_e32 vcc, 8, v6
	v_cndmask_b32_e32 v6, v23, v14, vcc
	v_cndmask_b32_e32 v14, v17, v20, vcc
	v_lshlrev_b32_e32 v17, 24, v7
	v_bfrev_b32_e32 v20, 60
	v_lshlrev_b32_e32 v14, 20, v14
	v_and_b32_e32 v17, 0x80000000, v17
	v_lshl_add_u32 v6, v6, 23, v20
	v_or3_b32 v17, v17, v6, v14
.LBB548_621:
	s_or_b64 exec, exec, s[10:11]
.LBB548_622:
	s_or_b64 exec, exec, s[8:9]
.LBB548_623:
	s_or_b64 exec, exec, s[2:3]
	v_lshrrev_b16_e32 v6, 8, v7
	v_cmp_ne_u16_e32 vcc, 0, v6
	v_mov_b32_e32 v20, 0
	v_mov_b32_e32 v21, 0
	s_and_saveexec_b64 s[2:3], vcc
	s_cbranch_execz .LBB548_629
; %bb.624:
	s_movk_i32 s7, 0x80
	v_cmp_ne_u16_e32 vcc, s7, v6
	v_bfrev_b32_e32 v21, 1
	s_and_saveexec_b64 s[8:9], vcc
	s_cbranch_execz .LBB548_628
; %bb.625:
	s_movk_i32 s7, 0x7f
	v_and_b32_e32 v14, 0x7f, v6
	v_cmp_ne_u32_e32 vcc, s7, v14
	v_mov_b32_e32 v21, 0x7f800001
	s_and_saveexec_b64 s[10:11], vcc
	s_cbranch_execz .LBB548_627
; %bb.626:
	v_and_b32_e32 v21, 7, v6
	v_ffbh_u32_e32 v24, v21
	v_min_u32_e32 v27, 32, v24
	v_subrev_u32_e32 v24, 28, v27
	v_lshlrev_b64 v[24:25], v24, v[6:7]
	v_lshrrev_b32_e32 v23, 3, v14
	v_sub_u32_e32 v6, 29, v27
	v_and_b32_e32 v24, 7, v24
	v_cmp_gt_u32_e32 vcc, 8, v14
	v_cndmask_b32_e32 v6, v23, v6, vcc
	v_cndmask_b32_e32 v14, v21, v24, vcc
	v_lshlrev_b32_e32 v21, 16, v7
	v_bfrev_b32_e32 v23, 60
	v_lshlrev_b32_e32 v14, 20, v14
	v_and_b32_e32 v21, 0x80000000, v21
	v_lshl_add_u32 v6, v6, 23, v23
	v_or3_b32 v21, v21, v6, v14
.LBB548_627:
	s_or_b64 exec, exec, s[10:11]
.LBB548_628:
	s_or_b64 exec, exec, s[8:9]
.LBB548_629:
	s_or_b64 exec, exec, s[2:3]
	s_movk_i32 s2, 0xff
	v_and_b32_sdwa v14, v7, s2 dst_sel:DWORD dst_unused:UNUSED_PAD src0_sel:WORD_1 src1_sel:DWORD
	v_lshrrev_b32_e32 v6, 16, v7
	v_cmp_ne_u16_e32 vcc, 0, v14
	s_and_saveexec_b64 s[2:3], vcc
	s_cbranch_execz .LBB548_635
; %bb.630:
	s_movk_i32 s7, 0x80
	v_cmp_ne_u16_e32 vcc, s7, v14
	v_bfrev_b32_e32 v20, 1
	s_and_saveexec_b64 s[8:9], vcc
	s_cbranch_execz .LBB548_634
; %bb.631:
	v_bfe_u32 v14, v7, 16, 7
	s_movk_i32 s7, 0x7f
	v_cmp_ne_u32_e32 vcc, s7, v14
	v_mov_b32_e32 v20, 0x7f800001
	s_and_saveexec_b64 s[10:11], vcc
	s_cbranch_execz .LBB548_633
; %bb.632:
	v_and_b32_e32 v20, 7, v6
	v_ffbh_u32_e32 v24, v20
	v_min_u32_e32 v27, 32, v24
	v_subrev_u32_e32 v24, 28, v27
	v_lshlrev_b64 v[24:25], v24, v[6:7]
	v_and_b32_e32 v24, 7, v24
	v_cmp_gt_u32_e32 vcc, 8, v14
	v_lshrrev_b32_e32 v23, 3, v14
	v_sub_u32_e32 v6, 29, v27
	v_cndmask_b32_e32 v14, v20, v24, vcc
	v_mov_b32_e32 v20, 24
	v_cndmask_b32_e32 v6, v23, v6, vcc
	v_lshlrev_b32_sdwa v20, v20, v7 dst_sel:DWORD dst_unused:UNUSED_PAD src0_sel:DWORD src1_sel:WORD_1
	v_bfrev_b32_e32 v23, 60
	v_lshlrev_b32_e32 v14, 20, v14
	v_and_b32_e32 v20, 0x80000000, v20
	v_lshl_add_u32 v6, v6, 23, v23
	v_or3_b32 v20, v20, v6, v14
.LBB548_633:
	s_or_b64 exec, exec, s[10:11]
.LBB548_634:
	s_or_b64 exec, exec, s[8:9]
.LBB548_635:
	s_or_b64 exec, exec, s[2:3]
	s_mov_b32 s2, 0xffffff
	v_cmp_lt_u32_e32 vcc, s2, v7
	v_mov_b32_e32 v14, 0
	v_mov_b32_e32 v23, 0
	s_and_saveexec_b64 s[2:3], vcc
	s_cbranch_execz .LBB548_641
; %bb.636:
	v_lshrrev_b32_e32 v6, 24, v7
	s_movk_i32 s7, 0x80
	v_cmp_ne_u32_e32 vcc, s7, v6
	v_bfrev_b32_e32 v23, 1
	s_and_saveexec_b64 s[8:9], vcc
	s_cbranch_execz .LBB548_640
; %bb.637:
	v_bfe_u32 v7, v7, 24, 7
	s_movk_i32 s7, 0x7f
	v_cmp_ne_u32_e32 vcc, s7, v7
	v_mov_b32_e32 v23, 0x7f800001
	s_and_saveexec_b64 s[10:11], vcc
	s_cbranch_execz .LBB548_639
; %bb.638:
	v_and_b32_e32 v23, 7, v6
	v_ffbh_u32_e32 v24, v23
	v_min_u32_e32 v28, 32, v24
	v_subrev_u32_e32 v24, 28, v28
	v_lshlrev_b64 v[24:25], v24, v[6:7]
	v_lshrrev_b32_e32 v27, 3, v7
	v_sub_u32_e32 v25, 29, v28
	v_and_b32_e32 v24, 7, v24
	v_cmp_gt_u32_e32 vcc, 8, v7
	v_cndmask_b32_e32 v7, v27, v25, vcc
	v_cndmask_b32_e32 v23, v23, v24, vcc
	v_lshlrev_b32_e32 v6, 24, v6
	v_bfrev_b32_e32 v24, 60
	v_lshlrev_b32_e32 v23, 20, v23
	v_and_b32_e32 v6, 0x80000000, v6
	v_lshl_add_u32 v7, v7, 23, v24
	v_or3_b32 v23, v6, v7, v23
.LBB548_639:
	s_or_b64 exec, exec, s[10:11]
.LBB548_640:
	s_or_b64 exec, exec, s[8:9]
.LBB548_641:
	s_or_b64 exec, exec, s[2:3]
	v_cvt_pkrtz_f16_f32 v6, v19, v16
	v_cvt_pkrtz_f16_f32 v7, v15, v18
	ds_read_b128 v[28:31], v22 offset:4096
	v_cmp_ne_u16_sdwa s[8:9], v8, v14 src0_sel:BYTE_0 src1_sel:DWORD
	s_waitcnt lgkmcnt(0)
	v_mfma_f32_16x16x16f16 v[10:13], v[6:7], v[28:29], v[10:13]
	v_cvt_pkrtz_f16_f32 v6, v17, v21
	v_cvt_pkrtz_f16_f32 v7, v20, v23
	s_nop 1
	v_mfma_f32_16x16x16f16 v[10:13], v[6:7], v[30:31], v[10:13]
	s_and_saveexec_b64 s[2:3], s[8:9]
	s_cbranch_execz .LBB548_647
; %bb.642:
	s_movk_i32 s7, 0x80
	v_cmp_ne_u16_sdwa s[10:11], v8, s7 src0_sel:BYTE_0 src1_sel:DWORD
	v_bfrev_b32_e32 v14, 1
	s_and_saveexec_b64 s[8:9], s[10:11]
	s_cbranch_execz .LBB548_646
; %bb.643:
	s_movk_i32 s7, 0x7f
	v_and_b32_e32 v6, 0x7f, v8
	v_cmp_ne_u32_e32 vcc, s7, v6
	v_mov_b32_e32 v14, 0x7f800001
	s_and_saveexec_b64 s[10:11], vcc
	s_cbranch_execz .LBB548_645
; %bb.644:
	v_and_b32_e32 v7, 7, v8
	v_ffbh_u32_e32 v14, v7
	v_min_u32_e32 v17, 32, v14
	v_subrev_u32_e32 v14, 28, v17
	v_lshlrev_b64 v[14:15], v14, v[8:9]
	v_lshrrev_b32_e32 v16, 3, v6
	v_sub_u32_e32 v15, 29, v17
	v_and_b32_e32 v14, 7, v14
	v_cmp_gt_u32_e32 vcc, 8, v6
	v_cndmask_b32_e32 v6, v16, v15, vcc
	v_cndmask_b32_e32 v7, v7, v14, vcc
	v_lshlrev_b32_e32 v14, 24, v8
	v_bfrev_b32_e32 v15, 60
	v_lshlrev_b32_e32 v7, 20, v7
	v_and_b32_e32 v14, 0x80000000, v14
	v_lshl_add_u32 v6, v6, 23, v15
	v_or3_b32 v14, v14, v6, v7
.LBB548_645:
	s_or_b64 exec, exec, s[10:11]
.LBB548_646:
	s_or_b64 exec, exec, s[8:9]
.LBB548_647:
	s_or_b64 exec, exec, s[2:3]
	v_lshrrev_b16_e32 v6, 8, v8
	v_cmp_ne_u16_e32 vcc, 0, v6
	v_mov_b32_e32 v7, 0
	v_mov_b32_e32 v16, 0
	s_and_saveexec_b64 s[2:3], vcc
	s_cbranch_execz .LBB548_653
; %bb.648:
	s_movk_i32 s7, 0x80
	v_cmp_ne_u16_e32 vcc, s7, v6
	v_bfrev_b32_e32 v16, 1
	s_and_saveexec_b64 s[8:9], vcc
	s_cbranch_execz .LBB548_652
; %bb.649:
	s_movk_i32 s7, 0x7f
	v_and_b32_e32 v15, 0x7f, v6
	v_cmp_ne_u32_e32 vcc, s7, v15
	v_mov_b32_e32 v16, 0x7f800001
	s_and_saveexec_b64 s[10:11], vcc
	s_cbranch_execz .LBB548_651
; %bb.650:
	v_and_b32_e32 v18, 7, v6
	v_ffbh_u32_e32 v16, v18
	v_min_u32_e32 v20, 32, v16
	v_subrev_u32_e32 v16, 28, v20
	v_lshlrev_b64 v[16:17], v16, v[6:7]
	v_lshrrev_b32_e32 v19, 3, v15
	v_sub_u32_e32 v6, 29, v20
	v_and_b32_e32 v16, 7, v16
	v_cmp_gt_u32_e32 vcc, 8, v15
	v_cndmask_b32_e32 v6, v19, v6, vcc
	v_cndmask_b32_e32 v15, v18, v16, vcc
	v_lshlrev_b32_e32 v16, 16, v8
	v_bfrev_b32_e32 v17, 60
	v_lshlrev_b32_e32 v15, 20, v15
	v_and_b32_e32 v16, 0x80000000, v16
	v_lshl_add_u32 v6, v6, 23, v17
	v_or3_b32 v16, v16, v6, v15
.LBB548_651:
	s_or_b64 exec, exec, s[10:11]
.LBB548_652:
	s_or_b64 exec, exec, s[8:9]
.LBB548_653:
	s_or_b64 exec, exec, s[2:3]
	s_movk_i32 s2, 0xff
	v_and_b32_sdwa v15, v8, s2 dst_sel:DWORD dst_unused:UNUSED_PAD src0_sel:WORD_1 src1_sel:DWORD
	v_lshrrev_b32_e32 v6, 16, v8
	v_cmp_ne_u16_e32 vcc, 0, v15
	s_and_saveexec_b64 s[2:3], vcc
	s_cbranch_execz .LBB548_659
; %bb.654:
	s_movk_i32 s7, 0x80
	v_cmp_ne_u16_e32 vcc, s7, v15
	v_bfrev_b32_e32 v7, 1
	s_and_saveexec_b64 s[8:9], vcc
	s_cbranch_execz .LBB548_658
; %bb.655:
	v_bfe_u32 v15, v8, 16, 7
	s_movk_i32 s7, 0x7f
	v_cmp_ne_u32_e32 vcc, s7, v15
	v_mov_b32_e32 v7, 0x7f800001
	s_and_saveexec_b64 s[10:11], vcc
	s_cbranch_execz .LBB548_657
; %bb.656:
	v_and_b32_e32 v17, 7, v6
	v_ffbh_u32_e32 v7, v17
	v_min_u32_e32 v19, 32, v7
	v_subrev_u32_e32 v7, 28, v19
	v_lshlrev_b64 v[6:7], v7, v[6:7]
	v_lshrrev_b32_e32 v18, 3, v15
	v_sub_u32_e32 v7, 29, v19
	v_and_b32_e32 v6, 7, v6
	v_cmp_gt_u32_e32 vcc, 8, v15
	v_mov_b32_e32 v15, 24
	v_cndmask_b32_e32 v7, v18, v7, vcc
	v_cndmask_b32_e32 v6, v17, v6, vcc
	v_lshlrev_b32_sdwa v15, v15, v8 dst_sel:DWORD dst_unused:UNUSED_PAD src0_sel:DWORD src1_sel:WORD_1
	v_bfrev_b32_e32 v17, 60
	v_lshlrev_b32_e32 v6, 20, v6
	v_and_b32_e32 v15, 0x80000000, v15
	v_lshl_add_u32 v7, v7, 23, v17
	v_or3_b32 v7, v15, v7, v6
.LBB548_657:
	s_or_b64 exec, exec, s[10:11]
.LBB548_658:
	s_or_b64 exec, exec, s[8:9]
.LBB548_659:
	s_or_b64 exec, exec, s[2:3]
	s_mov_b32 s2, 0xffffff
	v_cmp_lt_u32_e32 vcc, s2, v8
	v_mov_b32_e32 v17, 0
	v_mov_b32_e32 v18, 0
	s_and_saveexec_b64 s[2:3], vcc
	s_cbranch_execz .LBB548_665
; %bb.660:
	v_lshrrev_b32_e32 v6, 24, v8
	s_movk_i32 s7, 0x80
	v_cmp_ne_u32_e32 vcc, s7, v6
	v_bfrev_b32_e32 v18, 1
	s_and_saveexec_b64 s[8:9], vcc
	s_cbranch_execz .LBB548_664
; %bb.661:
	v_bfe_u32 v8, v8, 24, 7
	s_movk_i32 s7, 0x7f
	v_cmp_ne_u32_e32 vcc, s7, v8
	v_mov_b32_e32 v18, 0x7f800001
	s_and_saveexec_b64 s[10:11], vcc
	s_cbranch_execz .LBB548_663
; %bb.662:
	v_and_b32_e32 v15, 7, v6
	v_ffbh_u32_e32 v18, v15
	v_min_u32_e32 v21, 32, v18
	v_subrev_u32_e32 v18, 28, v21
	v_lshlrev_b64 v[18:19], v18, v[6:7]
	v_lshrrev_b32_e32 v20, 3, v8
	v_sub_u32_e32 v19, 29, v21
	v_and_b32_e32 v18, 7, v18
	v_cmp_gt_u32_e32 vcc, 8, v8
	v_cndmask_b32_e32 v8, v20, v19, vcc
	v_cndmask_b32_e32 v15, v15, v18, vcc
	v_lshlrev_b32_e32 v6, 24, v6
	v_bfrev_b32_e32 v18, 60
	v_lshlrev_b32_e32 v15, 20, v15
	v_and_b32_e32 v6, 0x80000000, v6
	v_lshl_add_u32 v8, v8, 23, v18
	v_or3_b32 v18, v6, v8, v15
.LBB548_663:
	s_or_b64 exec, exec, s[10:11]
.LBB548_664:
	s_or_b64 exec, exec, s[8:9]
.LBB548_665:
	s_or_b64 exec, exec, s[2:3]
	v_cmp_ne_u16_sdwa s[8:9], v9, v17 src0_sel:BYTE_0 src1_sel:DWORD
	s_and_saveexec_b64 s[2:3], s[8:9]
	s_cbranch_execz .LBB548_671
; %bb.666:
	s_movk_i32 s7, 0x80
	v_cmp_ne_u16_sdwa s[10:11], v9, s7 src0_sel:BYTE_0 src1_sel:DWORD
	v_bfrev_b32_e32 v17, 1
	s_and_saveexec_b64 s[8:9], s[10:11]
	s_cbranch_execz .LBB548_670
; %bb.667:
	s_movk_i32 s7, 0x7f
	v_and_b32_e32 v6, 0x7f, v9
	v_cmp_ne_u32_e32 vcc, s7, v6
	v_mov_b32_e32 v17, 0x7f800001
	s_and_saveexec_b64 s[10:11], vcc
	s_cbranch_execz .LBB548_669
; %bb.668:
	v_and_b32_e32 v15, 7, v9
	v_ffbh_u32_e32 v19, v15
	v_min_u32_e32 v19, 32, v19
	v_mov_b32_e32 v8, v9
	v_subrev_u32_e32 v20, 28, v19
	v_lshlrev_b64 v[20:21], v20, v[8:9]
	v_lshrrev_b32_e32 v17, 3, v6
	v_sub_u32_e32 v8, 29, v19
	v_and_b32_e32 v19, 7, v20
	v_cmp_gt_u32_e32 vcc, 8, v6
	v_cndmask_b32_e32 v6, v17, v8, vcc
	v_cndmask_b32_e32 v8, v15, v19, vcc
	v_lshlrev_b32_e32 v15, 24, v9
	v_bfrev_b32_e32 v17, 60
	v_lshlrev_b32_e32 v8, 20, v8
	v_and_b32_e32 v15, 0x80000000, v15
	v_lshl_add_u32 v6, v6, 23, v17
	v_or3_b32 v17, v15, v6, v8
.LBB548_669:
	s_or_b64 exec, exec, s[10:11]
.LBB548_670:
	s_or_b64 exec, exec, s[8:9]
.LBB548_671:
	s_or_b64 exec, exec, s[2:3]
	v_lshrrev_b16_e32 v6, 8, v9
	v_cmp_ne_u16_e32 vcc, 0, v6
	v_mov_b32_e32 v8, 0
	v_mov_b32_e32 v19, 0
	s_and_saveexec_b64 s[2:3], vcc
	s_cbranch_execz .LBB548_677
; %bb.672:
	s_movk_i32 s7, 0x80
	v_cmp_ne_u16_e32 vcc, s7, v6
	v_bfrev_b32_e32 v19, 1
	s_and_saveexec_b64 s[8:9], vcc
	s_cbranch_execz .LBB548_676
; %bb.673:
	s_movk_i32 s7, 0x7f
	v_and_b32_e32 v15, 0x7f, v6
	v_cmp_ne_u32_e32 vcc, s7, v15
	v_mov_b32_e32 v19, 0x7f800001
	s_and_saveexec_b64 s[10:11], vcc
	s_cbranch_execz .LBB548_675
; %bb.674:
	v_and_b32_e32 v19, 7, v6
	v_ffbh_u32_e32 v20, v19
	v_min_u32_e32 v24, 32, v20
	v_subrev_u32_e32 v20, 28, v24
	v_lshlrev_b64 v[20:21], v20, v[6:7]
	v_lshrrev_b32_e32 v23, 3, v15
	v_sub_u32_e32 v6, 29, v24
	v_and_b32_e32 v20, 7, v20
	v_cmp_gt_u32_e32 vcc, 8, v15
	v_cndmask_b32_e32 v6, v23, v6, vcc
	v_cndmask_b32_e32 v15, v19, v20, vcc
	v_lshlrev_b32_e32 v19, 16, v9
	v_bfrev_b32_e32 v20, 60
	v_lshlrev_b32_e32 v15, 20, v15
	v_and_b32_e32 v19, 0x80000000, v19
	v_lshl_add_u32 v6, v6, 23, v20
	v_or3_b32 v19, v19, v6, v15
.LBB548_675:
	s_or_b64 exec, exec, s[10:11]
.LBB548_676:
	s_or_b64 exec, exec, s[8:9]
.LBB548_677:
	s_or_b64 exec, exec, s[2:3]
	s_movk_i32 s2, 0xff
	v_and_b32_sdwa v15, v9, s2 dst_sel:DWORD dst_unused:UNUSED_PAD src0_sel:WORD_1 src1_sel:DWORD
	v_lshrrev_b32_e32 v6, 16, v9
	v_cmp_ne_u16_e32 vcc, 0, v15
	s_and_saveexec_b64 s[2:3], vcc
	s_cbranch_execz .LBB548_683
; %bb.678:
	s_movk_i32 s7, 0x80
	v_cmp_ne_u16_e32 vcc, s7, v15
	v_bfrev_b32_e32 v8, 1
	s_and_saveexec_b64 s[8:9], vcc
	s_cbranch_execz .LBB548_682
; %bb.679:
	v_bfe_u32 v15, v9, 16, 7
	s_movk_i32 s7, 0x7f
	v_cmp_ne_u32_e32 vcc, s7, v15
	v_mov_b32_e32 v8, 0x7f800001
	s_and_saveexec_b64 s[10:11], vcc
	s_cbranch_execz .LBB548_681
; %bb.680:
	v_and_b32_e32 v8, 7, v6
	v_ffbh_u32_e32 v20, v8
	v_min_u32_e32 v24, 32, v20
	v_subrev_u32_e32 v20, 28, v24
	v_lshlrev_b64 v[20:21], v20, v[6:7]
	v_lshrrev_b32_e32 v23, 3, v15
	v_sub_u32_e32 v6, 29, v24
	v_and_b32_e32 v20, 7, v20
	v_cmp_gt_u32_e32 vcc, 8, v15
	v_mov_b32_e32 v15, 24
	v_cndmask_b32_e32 v6, v23, v6, vcc
	v_cndmask_b32_e32 v8, v8, v20, vcc
	v_lshlrev_b32_sdwa v15, v15, v9 dst_sel:DWORD dst_unused:UNUSED_PAD src0_sel:DWORD src1_sel:WORD_1
	v_bfrev_b32_e32 v20, 60
	v_lshlrev_b32_e32 v8, 20, v8
	v_and_b32_e32 v15, 0x80000000, v15
	v_lshl_add_u32 v6, v6, 23, v20
	v_or3_b32 v8, v15, v6, v8
.LBB548_681:
	s_or_b64 exec, exec, s[10:11]
.LBB548_682:
	s_or_b64 exec, exec, s[8:9]
.LBB548_683:
	s_or_b64 exec, exec, s[2:3]
	s_mov_b32 s2, 0xffffff
	v_cmp_lt_u32_e32 vcc, s2, v9
	v_mov_b32_e32 v15, 0
	v_mov_b32_e32 v20, 0
	s_and_saveexec_b64 s[2:3], vcc
	s_cbranch_execz .LBB548_689
; %bb.684:
	v_lshrrev_b32_e32 v6, 24, v9
	s_movk_i32 s7, 0x80
	v_cmp_ne_u32_e32 vcc, s7, v6
	v_bfrev_b32_e32 v20, 1
	s_and_saveexec_b64 s[8:9], vcc
	s_cbranch_execz .LBB548_688
; %bb.685:
	v_bfe_u32 v9, v9, 24, 7
	s_movk_i32 s7, 0x7f
	v_cmp_ne_u32_e32 vcc, s7, v9
	v_mov_b32_e32 v20, 0x7f800001
	s_and_saveexec_b64 s[10:11], vcc
	s_cbranch_execz .LBB548_687
; %bb.686:
	v_and_b32_e32 v23, 7, v6
	v_ffbh_u32_e32 v20, v23
	v_min_u32_e32 v25, 32, v20
	v_subrev_u32_e32 v20, 28, v25
	v_lshlrev_b64 v[20:21], v20, v[6:7]
	v_lshrrev_b32_e32 v24, 3, v9
	v_sub_u32_e32 v21, 29, v25
	v_and_b32_e32 v20, 7, v20
	v_cmp_gt_u32_e32 vcc, 8, v9
	v_cndmask_b32_e32 v9, v24, v21, vcc
	v_cndmask_b32_e32 v20, v23, v20, vcc
	v_lshlrev_b32_e32 v6, 24, v6
	v_bfrev_b32_e32 v21, 60
	v_lshlrev_b32_e32 v20, 20, v20
	v_and_b32_e32 v6, 0x80000000, v6
	v_lshl_add_u32 v9, v9, 23, v21
	v_or3_b32 v20, v6, v9, v20
.LBB548_687:
	s_or_b64 exec, exec, s[10:11]
.LBB548_688:
	s_or_b64 exec, exec, s[8:9]
.LBB548_689:
	s_or_b64 exec, exec, s[2:3]
	v_cvt_pkrtz_f16_f32 v6, v14, v16
	v_cvt_pkrtz_f16_f32 v7, v7, v18
	ds_read_b128 v[28:31], v22 offset:4112
	s_waitcnt vmcnt(0)
	v_cmp_ne_u16_sdwa s[8:9], v2, v15 src0_sel:BYTE_0 src1_sel:DWORD
	s_waitcnt lgkmcnt(0)
	v_mfma_f32_16x16x16f16 v[10:13], v[6:7], v[28:29], v[10:13]
	v_cvt_pkrtz_f16_f32 v6, v17, v19
	v_cvt_pkrtz_f16_f32 v7, v8, v20
	s_nop 1
	v_mfma_f32_16x16x16f16 v[6:9], v[6:7], v[30:31], v[10:13]
	s_and_saveexec_b64 s[2:3], s[8:9]
	s_cbranch_execz .LBB548_695
; %bb.690:
	s_movk_i32 s7, 0x80
	v_cmp_ne_u16_sdwa s[10:11], v2, s7 src0_sel:BYTE_0 src1_sel:DWORD
	v_bfrev_b32_e32 v15, 1
	s_and_saveexec_b64 s[8:9], s[10:11]
	s_cbranch_execz .LBB548_694
; %bb.691:
	s_movk_i32 s7, 0x7f
	v_and_b32_e32 v10, 0x7f, v2
	v_cmp_ne_u32_e32 vcc, s7, v10
	v_mov_b32_e32 v15, 0x7f800001
	s_and_saveexec_b64 s[10:11], vcc
	s_cbranch_execz .LBB548_693
; %bb.692:
	v_and_b32_e32 v11, 7, v2
	v_ffbh_u32_e32 v12, v11
	v_min_u32_e32 v15, 32, v12
	v_subrev_u32_e32 v12, 28, v15
	v_lshlrev_b64 v[12:13], v12, v[2:3]
	v_lshrrev_b32_e32 v14, 3, v10
	v_sub_u32_e32 v13, 29, v15
	v_and_b32_e32 v12, 7, v12
	v_cmp_gt_u32_e32 vcc, 8, v10
	v_cndmask_b32_e32 v10, v14, v13, vcc
	v_cndmask_b32_e32 v11, v11, v12, vcc
	v_lshlrev_b32_e32 v12, 24, v2
	v_bfrev_b32_e32 v13, 60
	v_lshlrev_b32_e32 v11, 20, v11
	v_and_b32_e32 v12, 0x80000000, v12
	v_lshl_add_u32 v10, v10, 23, v13
	v_or3_b32 v15, v12, v10, v11
.LBB548_693:
	s_or_b64 exec, exec, s[10:11]
.LBB548_694:
	s_or_b64 exec, exec, s[8:9]
.LBB548_695:
	s_or_b64 exec, exec, s[2:3]
	s_nop 3
	v_lshrrev_b16_e32 v10, 8, v2
	v_cmp_ne_u16_e32 vcc, 0, v10
	v_mov_b32_e32 v11, 0
	v_mov_b32_e32 v12, 0
	s_and_saveexec_b64 s[2:3], vcc
	s_cbranch_execz .LBB548_701
; %bb.696:
	s_movk_i32 s7, 0x80
	v_cmp_ne_u16_e32 vcc, s7, v10
	v_bfrev_b32_e32 v12, 1
	s_and_saveexec_b64 s[8:9], vcc
	s_cbranch_execz .LBB548_700
; %bb.697:
	s_movk_i32 s7, 0x7f
	v_and_b32_e32 v13, 0x7f, v10
	v_cmp_ne_u32_e32 vcc, s7, v13
	v_mov_b32_e32 v12, 0x7f800001
	s_and_saveexec_b64 s[10:11], vcc
	s_cbranch_execz .LBB548_699
; %bb.698:
	v_and_b32_e32 v12, 7, v10
	v_ffbh_u32_e32 v16, v12
	v_min_u32_e32 v18, 32, v16
	v_subrev_u32_e32 v16, 28, v18
	v_lshlrev_b64 v[16:17], v16, v[10:11]
	v_lshrrev_b32_e32 v14, 3, v13
	v_sub_u32_e32 v10, 29, v18
	v_and_b32_e32 v16, 7, v16
	v_cmp_gt_u32_e32 vcc, 8, v13
	v_cndmask_b32_e32 v10, v14, v10, vcc
	v_cndmask_b32_e32 v12, v12, v16, vcc
	v_lshlrev_b32_e32 v13, 16, v2
	v_bfrev_b32_e32 v14, 60
	v_lshlrev_b32_e32 v12, 20, v12
	v_and_b32_e32 v13, 0x80000000, v13
	v_lshl_add_u32 v10, v10, 23, v14
	v_or3_b32 v12, v13, v10, v12
.LBB548_699:
	s_or_b64 exec, exec, s[10:11]
.LBB548_700:
	s_or_b64 exec, exec, s[8:9]
.LBB548_701:
	s_or_b64 exec, exec, s[2:3]
	s_movk_i32 s2, 0xff
	v_and_b32_sdwa v13, v2, s2 dst_sel:DWORD dst_unused:UNUSED_PAD src0_sel:WORD_1 src1_sel:DWORD
	v_lshrrev_b32_e32 v10, 16, v2
	v_cmp_ne_u16_e32 vcc, 0, v13
	s_and_saveexec_b64 s[2:3], vcc
	s_cbranch_execz .LBB548_707
; %bb.702:
	s_movk_i32 s7, 0x80
	v_cmp_ne_u16_e32 vcc, s7, v13
	v_bfrev_b32_e32 v11, 1
	s_and_saveexec_b64 s[8:9], vcc
	s_cbranch_execz .LBB548_706
; %bb.703:
	v_bfe_u32 v13, v2, 16, 7
	s_movk_i32 s7, 0x7f
	v_cmp_ne_u32_e32 vcc, s7, v13
	v_mov_b32_e32 v11, 0x7f800001
	s_and_saveexec_b64 s[10:11], vcc
	s_cbranch_execz .LBB548_705
; %bb.704:
	v_and_b32_e32 v14, 7, v10
	v_ffbh_u32_e32 v11, v14
	v_min_u32_e32 v17, 32, v11
	v_subrev_u32_e32 v11, 28, v17
	v_lshlrev_b64 v[10:11], v11, v[10:11]
	v_lshrrev_b32_e32 v16, 3, v13
	v_sub_u32_e32 v11, 29, v17
	v_and_b32_e32 v10, 7, v10
	v_cmp_gt_u32_e32 vcc, 8, v13
	v_mov_b32_e32 v13, 24
	v_cndmask_b32_e32 v11, v16, v11, vcc
	v_cndmask_b32_e32 v10, v14, v10, vcc
	v_lshlrev_b32_sdwa v13, v13, v2 dst_sel:DWORD dst_unused:UNUSED_PAD src0_sel:DWORD src1_sel:WORD_1
	v_bfrev_b32_e32 v14, 60
	v_lshlrev_b32_e32 v10, 20, v10
	v_and_b32_e32 v13, 0x80000000, v13
	v_lshl_add_u32 v11, v11, 23, v14
	v_or3_b32 v11, v13, v11, v10
.LBB548_705:
	s_or_b64 exec, exec, s[10:11]
.LBB548_706:
	s_or_b64 exec, exec, s[8:9]
.LBB548_707:
	s_or_b64 exec, exec, s[2:3]
	s_mov_b32 s2, 0xffffff
	v_cmp_lt_u32_e32 vcc, s2, v2
	v_mov_b32_e32 v13, 0
	v_mov_b32_e32 v14, 0
	s_and_saveexec_b64 s[2:3], vcc
	s_cbranch_execz .LBB548_713
; %bb.708:
	v_lshrrev_b32_e32 v10, 24, v2
	s_movk_i32 s7, 0x80
	v_cmp_ne_u32_e32 vcc, s7, v10
	v_bfrev_b32_e32 v14, 1
	s_and_saveexec_b64 s[8:9], vcc
	s_cbranch_execz .LBB548_712
; %bb.709:
	v_bfe_u32 v2, v2, 24, 7
	s_movk_i32 s7, 0x7f
	v_cmp_ne_u32_e32 vcc, s7, v2
	v_mov_b32_e32 v14, 0x7f800001
	s_and_saveexec_b64 s[10:11], vcc
	s_cbranch_execz .LBB548_711
; %bb.710:
	v_and_b32_e32 v14, 7, v10
	v_ffbh_u32_e32 v16, v14
	v_min_u32_e32 v19, 32, v16
	v_subrev_u32_e32 v16, 28, v19
	v_lshlrev_b64 v[16:17], v16, v[10:11]
	v_lshrrev_b32_e32 v18, 3, v2
	v_sub_u32_e32 v17, 29, v19
	v_and_b32_e32 v16, 7, v16
	v_cmp_gt_u32_e32 vcc, 8, v2
	v_cndmask_b32_e32 v2, v18, v17, vcc
	v_cndmask_b32_e32 v14, v14, v16, vcc
	v_lshlrev_b32_e32 v10, 24, v10
	v_bfrev_b32_e32 v16, 60
	v_lshlrev_b32_e32 v14, 20, v14
	v_and_b32_e32 v10, 0x80000000, v10
	v_lshl_add_u32 v2, v2, 23, v16
	v_or3_b32 v14, v10, v2, v14
.LBB548_711:
	s_or_b64 exec, exec, s[10:11]
.LBB548_712:
	s_or_b64 exec, exec, s[8:9]
.LBB548_713:
	s_or_b64 exec, exec, s[2:3]
	v_cmp_ne_u16_sdwa s[8:9], v3, v13 src0_sel:BYTE_0 src1_sel:DWORD
	s_and_saveexec_b64 s[2:3], s[8:9]
	s_cbranch_execz .LBB548_719
; %bb.714:
	s_movk_i32 s7, 0x80
	v_cmp_ne_u16_sdwa s[10:11], v3, s7 src0_sel:BYTE_0 src1_sel:DWORD
	v_bfrev_b32_e32 v13, 1
	s_and_saveexec_b64 s[8:9], s[10:11]
	s_cbranch_execz .LBB548_718
; %bb.715:
	s_movk_i32 s7, 0x7f
	v_and_b32_e32 v2, 0x7f, v3
	v_cmp_ne_u32_e32 vcc, s7, v2
	v_mov_b32_e32 v13, 0x7f800001
	s_and_saveexec_b64 s[10:11], vcc
	s_cbranch_execz .LBB548_717
; %bb.716:
	v_and_b32_e32 v13, 7, v3
	v_ffbh_u32_e32 v16, v13
	v_min_u32_e32 v19, 32, v16
	v_mov_b32_e32 v10, v3
	v_subrev_u32_e32 v16, 28, v19
	v_lshlrev_b64 v[16:17], v16, v[10:11]
	v_lshrrev_b32_e32 v18, 3, v2
	v_sub_u32_e32 v10, 29, v19
	v_and_b32_e32 v16, 7, v16
	v_cmp_gt_u32_e32 vcc, 8, v2
	v_cndmask_b32_e32 v2, v18, v10, vcc
	v_cndmask_b32_e32 v10, v13, v16, vcc
	v_lshlrev_b32_e32 v13, 24, v3
	v_bfrev_b32_e32 v16, 60
	v_lshlrev_b32_e32 v10, 20, v10
	v_and_b32_e32 v13, 0x80000000, v13
	v_lshl_add_u32 v2, v2, 23, v16
	v_or3_b32 v13, v13, v2, v10
.LBB548_717:
	s_or_b64 exec, exec, s[10:11]
.LBB548_718:
	s_or_b64 exec, exec, s[8:9]
.LBB548_719:
	s_or_b64 exec, exec, s[2:3]
	v_lshrrev_b16_e32 v2, 8, v3
	v_cmp_ne_u16_e32 vcc, 0, v2
	v_mov_b32_e32 v16, 0
	v_mov_b32_e32 v17, 0
	s_and_saveexec_b64 s[2:3], vcc
	s_cbranch_execz .LBB548_725
; %bb.720:
	s_movk_i32 s7, 0x80
	v_cmp_ne_u16_e32 vcc, s7, v2
	v_bfrev_b32_e32 v17, 1
	s_and_saveexec_b64 s[8:9], vcc
	s_cbranch_execz .LBB548_724
; %bb.721:
	s_movk_i32 s7, 0x7f
	v_and_b32_e32 v10, 0x7f, v2
	v_cmp_ne_u32_e32 vcc, s7, v10
	v_mov_b32_e32 v17, 0x7f800001
	s_and_saveexec_b64 s[10:11], vcc
	s_cbranch_execz .LBB548_723
; %bb.722:
	v_and_b32_e32 v17, 7, v2
	v_ffbh_u32_e32 v18, v17
	v_min_u32_e32 v21, 32, v18
	v_subrev_u32_e32 v18, 28, v21
	v_lshlrev_b64 v[18:19], v18, v[2:3]
	v_lshrrev_b32_e32 v20, 3, v10
	v_sub_u32_e32 v2, 29, v21
	v_and_b32_e32 v18, 7, v18
	v_cmp_gt_u32_e32 vcc, 8, v10
	v_cndmask_b32_e32 v2, v20, v2, vcc
	v_cndmask_b32_e32 v10, v17, v18, vcc
	v_lshlrev_b32_e32 v17, 16, v3
	v_bfrev_b32_e32 v18, 60
	v_lshlrev_b32_e32 v10, 20, v10
	v_and_b32_e32 v17, 0x80000000, v17
	v_lshl_add_u32 v2, v2, 23, v18
	v_or3_b32 v17, v17, v2, v10
.LBB548_723:
	s_or_b64 exec, exec, s[10:11]
.LBB548_724:
	s_or_b64 exec, exec, s[8:9]
.LBB548_725:
	s_or_b64 exec, exec, s[2:3]
	s_movk_i32 s2, 0xff
	v_and_b32_sdwa v10, v3, s2 dst_sel:DWORD dst_unused:UNUSED_PAD src0_sel:WORD_1 src1_sel:DWORD
	v_lshrrev_b32_e32 v2, 16, v3
	v_cmp_ne_u16_e32 vcc, 0, v10
	s_and_saveexec_b64 s[2:3], vcc
	s_cbranch_execz .LBB548_731
; %bb.726:
	s_movk_i32 s7, 0x80
	v_cmp_ne_u16_e32 vcc, s7, v10
	v_bfrev_b32_e32 v16, 1
	s_and_saveexec_b64 s[8:9], vcc
	s_cbranch_execz .LBB548_730
; %bb.727:
	v_bfe_u32 v10, v3, 16, 7
	s_movk_i32 s7, 0x7f
	v_cmp_ne_u32_e32 vcc, s7, v10
	v_mov_b32_e32 v16, 0x7f800001
	s_and_saveexec_b64 s[10:11], vcc
	s_cbranch_execz .LBB548_729
; %bb.728:
	v_and_b32_e32 v16, 7, v2
	v_ffbh_u32_e32 v18, v16
	v_min_u32_e32 v21, 32, v18
	v_subrev_u32_e32 v18, 28, v21
	v_lshlrev_b64 v[18:19], v18, v[2:3]
	v_and_b32_e32 v18, 7, v18
	v_cmp_gt_u32_e32 vcc, 8, v10
	v_lshrrev_b32_e32 v20, 3, v10
	v_sub_u32_e32 v2, 29, v21
	v_cndmask_b32_e32 v10, v16, v18, vcc
	v_mov_b32_e32 v16, 24
	v_cndmask_b32_e32 v2, v20, v2, vcc
	v_lshlrev_b32_sdwa v16, v16, v3 dst_sel:DWORD dst_unused:UNUSED_PAD src0_sel:DWORD src1_sel:WORD_1
	v_bfrev_b32_e32 v18, 60
	v_lshlrev_b32_e32 v10, 20, v10
	v_and_b32_e32 v16, 0x80000000, v16
	v_lshl_add_u32 v2, v2, 23, v18
	v_or3_b32 v16, v16, v2, v10
.LBB548_729:
	s_or_b64 exec, exec, s[10:11]
.LBB548_730:
	s_or_b64 exec, exec, s[8:9]
.LBB548_731:
	s_or_b64 exec, exec, s[2:3]
	s_mov_b32 s2, 0xffffff
	v_cmp_lt_u32_e32 vcc, s2, v3
	v_mov_b32_e32 v10, 0
	v_mov_b32_e32 v18, 0
	s_and_saveexec_b64 s[2:3], vcc
	s_cbranch_execz .LBB548_737
; %bb.732:
	v_lshrrev_b32_e32 v2, 24, v3
	s_movk_i32 s7, 0x80
	v_cmp_ne_u32_e32 vcc, s7, v2
	v_bfrev_b32_e32 v18, 1
	s_and_saveexec_b64 s[8:9], vcc
	s_cbranch_execz .LBB548_736
; %bb.733:
	v_bfe_u32 v3, v3, 24, 7
	s_movk_i32 s7, 0x7f
	v_cmp_ne_u32_e32 vcc, s7, v3
	v_mov_b32_e32 v18, 0x7f800001
	s_and_saveexec_b64 s[10:11], vcc
	s_cbranch_execz .LBB548_735
; %bb.734:
	v_and_b32_e32 v20, 7, v2
	v_ffbh_u32_e32 v18, v20
	v_min_u32_e32 v23, 32, v18
	v_subrev_u32_e32 v18, 28, v23
	v_lshlrev_b64 v[18:19], v18, v[2:3]
	v_lshrrev_b32_e32 v21, 3, v3
	v_sub_u32_e32 v19, 29, v23
	v_and_b32_e32 v18, 7, v18
	v_cmp_gt_u32_e32 vcc, 8, v3
	v_cndmask_b32_e32 v3, v21, v19, vcc
	v_cndmask_b32_e32 v18, v20, v18, vcc
	v_lshlrev_b32_e32 v2, 24, v2
	v_bfrev_b32_e32 v19, 60
	v_lshlrev_b32_e32 v18, 20, v18
	v_and_b32_e32 v2, 0x80000000, v2
	v_lshl_add_u32 v3, v3, 23, v19
	v_or3_b32 v18, v2, v3, v18
.LBB548_735:
	s_or_b64 exec, exec, s[10:11]
.LBB548_736:
	s_or_b64 exec, exec, s[8:9]
.LBB548_737:
	s_or_b64 exec, exec, s[2:3]
	v_cvt_pkrtz_f16_f32 v2, v15, v12
	v_cvt_pkrtz_f16_f32 v3, v11, v14
	ds_read_b128 v[28:31], v22 offset:6144
	v_cmp_ne_u16_sdwa s[8:9], v4, v10 src0_sel:BYTE_0 src1_sel:DWORD
	s_waitcnt lgkmcnt(0)
	v_mfma_f32_16x16x16f16 v[6:9], v[2:3], v[28:29], v[6:9]
	v_cvt_pkrtz_f16_f32 v2, v13, v17
	v_cvt_pkrtz_f16_f32 v3, v16, v18
	s_nop 1
	v_mfma_f32_16x16x16f16 v[6:9], v[2:3], v[30:31], v[6:9]
	s_and_saveexec_b64 s[2:3], s[8:9]
	s_cbranch_execz .LBB548_743
; %bb.738:
	s_movk_i32 s7, 0x80
	v_cmp_ne_u16_sdwa s[10:11], v4, s7 src0_sel:BYTE_0 src1_sel:DWORD
	v_bfrev_b32_e32 v10, 1
	s_and_saveexec_b64 s[8:9], s[10:11]
	s_cbranch_execz .LBB548_742
; %bb.739:
	s_movk_i32 s7, 0x7f
	v_and_b32_e32 v2, 0x7f, v4
	v_cmp_ne_u32_e32 vcc, s7, v2
	v_mov_b32_e32 v10, 0x7f800001
	s_and_saveexec_b64 s[10:11], vcc
	s_cbranch_execz .LBB548_741
; %bb.740:
	v_and_b32_e32 v3, 7, v4
	v_ffbh_u32_e32 v10, v3
	v_min_u32_e32 v13, 32, v10
	v_subrev_u32_e32 v10, 28, v13
	v_lshlrev_b64 v[10:11], v10, v[4:5]
	v_lshrrev_b32_e32 v12, 3, v2
	v_sub_u32_e32 v11, 29, v13
	v_and_b32_e32 v10, 7, v10
	v_cmp_gt_u32_e32 vcc, 8, v2
	v_cndmask_b32_e32 v2, v12, v11, vcc
	v_cndmask_b32_e32 v3, v3, v10, vcc
	v_lshlrev_b32_e32 v10, 24, v4
	v_bfrev_b32_e32 v11, 60
	v_lshlrev_b32_e32 v3, 20, v3
	v_and_b32_e32 v10, 0x80000000, v10
	v_lshl_add_u32 v2, v2, 23, v11
	v_or3_b32 v10, v10, v2, v3
.LBB548_741:
	s_or_b64 exec, exec, s[10:11]
.LBB548_742:
	s_or_b64 exec, exec, s[8:9]
.LBB548_743:
	s_or_b64 exec, exec, s[2:3]
	v_lshrrev_b16_e32 v2, 8, v4
	v_cmp_ne_u16_e32 vcc, 0, v2
	v_mov_b32_e32 v3, 0
	v_mov_b32_e32 v11, 0
	s_and_saveexec_b64 s[2:3], vcc
	s_cbranch_execz .LBB548_749
; %bb.744:
	s_movk_i32 s7, 0x80
	v_cmp_ne_u16_e32 vcc, s7, v2
	v_bfrev_b32_e32 v11, 1
	s_and_saveexec_b64 s[8:9], vcc
	s_cbranch_execz .LBB548_748
; %bb.745:
	s_movk_i32 s7, 0x7f
	v_and_b32_e32 v12, 0x7f, v2
	v_cmp_ne_u32_e32 vcc, s7, v12
	v_mov_b32_e32 v11, 0x7f800001
	s_and_saveexec_b64 s[10:11], vcc
	s_cbranch_execz .LBB548_747
; %bb.746:
	v_and_b32_e32 v11, 7, v2
	v_ffbh_u32_e32 v14, v11
	v_min_u32_e32 v16, 32, v14
	v_subrev_u32_e32 v14, 28, v16
	v_lshlrev_b64 v[14:15], v14, v[2:3]
	v_lshrrev_b32_e32 v13, 3, v12
	v_sub_u32_e32 v2, 29, v16
	v_and_b32_e32 v14, 7, v14
	v_cmp_gt_u32_e32 vcc, 8, v12
	v_cndmask_b32_e32 v2, v13, v2, vcc
	v_cndmask_b32_e32 v11, v11, v14, vcc
	v_lshlrev_b32_e32 v12, 16, v4
	v_bfrev_b32_e32 v13, 60
	v_lshlrev_b32_e32 v11, 20, v11
	v_and_b32_e32 v12, 0x80000000, v12
	v_lshl_add_u32 v2, v2, 23, v13
	v_or3_b32 v11, v12, v2, v11
.LBB548_747:
	s_or_b64 exec, exec, s[10:11]
.LBB548_748:
	s_or_b64 exec, exec, s[8:9]
.LBB548_749:
	s_or_b64 exec, exec, s[2:3]
	s_movk_i32 s2, 0xff
	v_and_b32_sdwa v12, v4, s2 dst_sel:DWORD dst_unused:UNUSED_PAD src0_sel:WORD_1 src1_sel:DWORD
	v_lshrrev_b32_e32 v2, 16, v4
	v_cmp_ne_u16_e32 vcc, 0, v12
	s_and_saveexec_b64 s[2:3], vcc
	s_cbranch_execz .LBB548_755
; %bb.750:
	s_movk_i32 s7, 0x80
	v_cmp_ne_u16_e32 vcc, s7, v12
	v_bfrev_b32_e32 v3, 1
	s_and_saveexec_b64 s[8:9], vcc
	s_cbranch_execz .LBB548_754
; %bb.751:
	v_bfe_u32 v12, v4, 16, 7
	s_movk_i32 s7, 0x7f
	v_cmp_ne_u32_e32 vcc, s7, v12
	v_mov_b32_e32 v3, 0x7f800001
	s_and_saveexec_b64 s[10:11], vcc
	s_cbranch_execz .LBB548_753
; %bb.752:
	v_and_b32_e32 v13, 7, v2
	v_ffbh_u32_e32 v3, v13
	v_min_u32_e32 v15, 32, v3
	v_subrev_u32_e32 v3, 28, v15
	v_lshlrev_b64 v[2:3], v3, v[2:3]
	v_lshrrev_b32_e32 v14, 3, v12
	v_sub_u32_e32 v3, 29, v15
	v_and_b32_e32 v2, 7, v2
	v_cmp_gt_u32_e32 vcc, 8, v12
	v_mov_b32_e32 v12, 24
	v_cndmask_b32_e32 v3, v14, v3, vcc
	v_cndmask_b32_e32 v2, v13, v2, vcc
	v_lshlrev_b32_sdwa v12, v12, v4 dst_sel:DWORD dst_unused:UNUSED_PAD src0_sel:DWORD src1_sel:WORD_1
	v_bfrev_b32_e32 v13, 60
	v_lshlrev_b32_e32 v2, 20, v2
	v_and_b32_e32 v12, 0x80000000, v12
	v_lshl_add_u32 v3, v3, 23, v13
	v_or3_b32 v3, v12, v3, v2
.LBB548_753:
	s_or_b64 exec, exec, s[10:11]
.LBB548_754:
	s_or_b64 exec, exec, s[8:9]
.LBB548_755:
	s_or_b64 exec, exec, s[2:3]
	s_mov_b32 s2, 0xffffff
	v_cmp_lt_u32_e32 vcc, s2, v4
	v_mov_b32_e32 v12, 0
	v_mov_b32_e32 v13, 0
	s_and_saveexec_b64 s[2:3], vcc
	s_cbranch_execz .LBB548_761
; %bb.756:
	v_lshrrev_b32_e32 v2, 24, v4
	s_movk_i32 s7, 0x80
	v_cmp_ne_u32_e32 vcc, s7, v2
	v_bfrev_b32_e32 v13, 1
	s_and_saveexec_b64 s[8:9], vcc
	s_cbranch_execz .LBB548_760
; %bb.757:
	v_bfe_u32 v4, v4, 24, 7
	s_movk_i32 s7, 0x7f
	v_cmp_ne_u32_e32 vcc, s7, v4
	v_mov_b32_e32 v13, 0x7f800001
	s_and_saveexec_b64 s[10:11], vcc
	s_cbranch_execz .LBB548_759
; %bb.758:
	v_and_b32_e32 v13, 7, v2
	v_ffbh_u32_e32 v14, v13
	v_min_u32_e32 v17, 32, v14
	v_subrev_u32_e32 v14, 28, v17
	v_lshlrev_b64 v[14:15], v14, v[2:3]
	v_lshrrev_b32_e32 v16, 3, v4
	v_sub_u32_e32 v15, 29, v17
	v_and_b32_e32 v14, 7, v14
	v_cmp_gt_u32_e32 vcc, 8, v4
	v_cndmask_b32_e32 v4, v16, v15, vcc
	v_cndmask_b32_e32 v13, v13, v14, vcc
	v_lshlrev_b32_e32 v2, 24, v2
	v_bfrev_b32_e32 v14, 60
	v_lshlrev_b32_e32 v13, 20, v13
	v_and_b32_e32 v2, 0x80000000, v2
	v_lshl_add_u32 v4, v4, 23, v14
	v_or3_b32 v13, v2, v4, v13
.LBB548_759:
	s_or_b64 exec, exec, s[10:11]
.LBB548_760:
	s_or_b64 exec, exec, s[8:9]
.LBB548_761:
	s_or_b64 exec, exec, s[2:3]
	v_cmp_ne_u16_sdwa s[8:9], v5, v12 src0_sel:BYTE_0 src1_sel:DWORD
	s_and_saveexec_b64 s[2:3], s[8:9]
	s_cbranch_execz .LBB548_767
; %bb.762:
	s_movk_i32 s7, 0x80
	v_cmp_ne_u16_sdwa s[10:11], v5, s7 src0_sel:BYTE_0 src1_sel:DWORD
	v_bfrev_b32_e32 v12, 1
	s_and_saveexec_b64 s[8:9], s[10:11]
	s_cbranch_execz .LBB548_766
; %bb.763:
	s_movk_i32 s7, 0x7f
	v_and_b32_e32 v2, 0x7f, v5
	v_cmp_ne_u32_e32 vcc, s7, v2
	v_mov_b32_e32 v12, 0x7f800001
	s_and_saveexec_b64 s[10:11], vcc
	s_cbranch_execz .LBB548_765
; %bb.764:
	v_and_b32_e32 v12, 7, v5
	v_ffbh_u32_e32 v14, v12
	v_min_u32_e32 v17, 32, v14
	v_mov_b32_e32 v4, v5
	v_subrev_u32_e32 v14, 28, v17
	v_lshlrev_b64 v[14:15], v14, v[4:5]
	v_lshrrev_b32_e32 v16, 3, v2
	v_sub_u32_e32 v4, 29, v17
	v_and_b32_e32 v14, 7, v14
	v_cmp_gt_u32_e32 vcc, 8, v2
	v_cndmask_b32_e32 v2, v16, v4, vcc
	v_cndmask_b32_e32 v4, v12, v14, vcc
	v_lshlrev_b32_e32 v12, 24, v5
	v_bfrev_b32_e32 v14, 60
	v_lshlrev_b32_e32 v4, 20, v4
	v_and_b32_e32 v12, 0x80000000, v12
	v_lshl_add_u32 v2, v2, 23, v14
	v_or3_b32 v12, v12, v2, v4
.LBB548_765:
	s_or_b64 exec, exec, s[10:11]
.LBB548_766:
	s_or_b64 exec, exec, s[8:9]
.LBB548_767:
	s_or_b64 exec, exec, s[2:3]
	v_lshrrev_b16_e32 v2, 8, v5
	v_cmp_ne_u16_e32 vcc, 0, v2
	v_mov_b32_e32 v4, 0
	v_mov_b32_e32 v14, 0
	s_and_saveexec_b64 s[2:3], vcc
	s_cbranch_execz .LBB548_773
; %bb.768:
	s_movk_i32 s7, 0x80
	v_cmp_ne_u16_e32 vcc, s7, v2
	v_bfrev_b32_e32 v14, 1
	s_and_saveexec_b64 s[8:9], vcc
	s_cbranch_execz .LBB548_772
; %bb.769:
	s_movk_i32 s7, 0x7f
	v_and_b32_e32 v15, 0x7f, v2
	v_cmp_ne_u32_e32 vcc, s7, v15
	v_mov_b32_e32 v14, 0x7f800001
	s_and_saveexec_b64 s[10:11], vcc
	s_cbranch_execz .LBB548_771
; %bb.770:
	v_and_b32_e32 v14, 7, v2
	v_ffbh_u32_e32 v16, v14
	v_min_u32_e32 v19, 32, v16
	v_subrev_u32_e32 v16, 28, v19
	v_lshlrev_b64 v[16:17], v16, v[2:3]
	v_lshrrev_b32_e32 v18, 3, v15
	v_sub_u32_e32 v2, 29, v19
	v_and_b32_e32 v16, 7, v16
	v_cmp_gt_u32_e32 vcc, 8, v15
	v_cndmask_b32_e32 v2, v18, v2, vcc
	v_cndmask_b32_e32 v14, v14, v16, vcc
	v_lshlrev_b32_e32 v15, 16, v5
	v_bfrev_b32_e32 v16, 60
	v_lshlrev_b32_e32 v14, 20, v14
	v_and_b32_e32 v15, 0x80000000, v15
	v_lshl_add_u32 v2, v2, 23, v16
	v_or3_b32 v14, v15, v2, v14
.LBB548_771:
	s_or_b64 exec, exec, s[10:11]
.LBB548_772:
	s_or_b64 exec, exec, s[8:9]
.LBB548_773:
	s_or_b64 exec, exec, s[2:3]
	s_movk_i32 s2, 0xff
	v_and_b32_sdwa v15, v5, s2 dst_sel:DWORD dst_unused:UNUSED_PAD src0_sel:WORD_1 src1_sel:DWORD
	v_lshrrev_b32_e32 v2, 16, v5
	v_cmp_ne_u16_e32 vcc, 0, v15
	s_and_saveexec_b64 s[2:3], vcc
	s_cbranch_execz .LBB548_779
; %bb.774:
	s_movk_i32 s7, 0x80
	v_cmp_ne_u16_e32 vcc, s7, v15
	v_bfrev_b32_e32 v4, 1
	s_and_saveexec_b64 s[8:9], vcc
	s_cbranch_execz .LBB548_778
; %bb.775:
	v_bfe_u32 v15, v5, 16, 7
	s_movk_i32 s7, 0x7f
	v_cmp_ne_u32_e32 vcc, s7, v15
	v_mov_b32_e32 v4, 0x7f800001
	s_and_saveexec_b64 s[10:11], vcc
	s_cbranch_execz .LBB548_777
; %bb.776:
	v_and_b32_e32 v4, 7, v2
	v_ffbh_u32_e32 v16, v4
	v_min_u32_e32 v19, 32, v16
	v_subrev_u32_e32 v16, 28, v19
	v_lshlrev_b64 v[16:17], v16, v[2:3]
	v_lshrrev_b32_e32 v18, 3, v15
	v_sub_u32_e32 v2, 29, v19
	v_and_b32_e32 v16, 7, v16
	v_cmp_gt_u32_e32 vcc, 8, v15
	v_mov_b32_e32 v15, 24
	v_cndmask_b32_e32 v2, v18, v2, vcc
	v_cndmask_b32_e32 v4, v4, v16, vcc
	v_lshlrev_b32_sdwa v15, v15, v5 dst_sel:DWORD dst_unused:UNUSED_PAD src0_sel:DWORD src1_sel:WORD_1
	v_bfrev_b32_e32 v16, 60
	v_lshlrev_b32_e32 v4, 20, v4
	v_and_b32_e32 v15, 0x80000000, v15
	v_lshl_add_u32 v2, v2, 23, v16
	v_or3_b32 v4, v15, v2, v4
.LBB548_777:
	s_or_b64 exec, exec, s[10:11]
.LBB548_778:
	s_or_b64 exec, exec, s[8:9]
.LBB548_779:
	s_or_b64 exec, exec, s[2:3]
	s_mov_b32 s2, 0xffffff
	v_cmp_lt_u32_e32 vcc, s2, v5
	v_mov_b32_e32 v15, 0
	s_and_saveexec_b64 s[2:3], vcc
	s_cbranch_execz .LBB548_785
; %bb.780:
	v_lshrrev_b32_e32 v2, 24, v5
	s_movk_i32 s7, 0x80
	v_cmp_ne_u32_e32 vcc, s7, v2
	v_bfrev_b32_e32 v15, 1
	s_and_saveexec_b64 s[8:9], vcc
	s_cbranch_execz .LBB548_784
; %bb.781:
	v_bfe_u32 v5, v5, 24, 7
	s_movk_i32 s7, 0x7f
	v_cmp_ne_u32_e32 vcc, s7, v5
	v_mov_b32_e32 v15, 0x7f800001
	s_and_saveexec_b64 s[10:11], vcc
	s_cbranch_execz .LBB548_783
; %bb.782:
	v_and_b32_e32 v15, 7, v2
	v_ffbh_u32_e32 v16, v15
	v_min_u32_e32 v19, 32, v16
	v_subrev_u32_e32 v16, 28, v19
	v_lshlrev_b64 v[16:17], v16, v[2:3]
	v_lshrrev_b32_e32 v18, 3, v5
	v_sub_u32_e32 v17, 29, v19
	v_and_b32_e32 v16, 7, v16
	v_cmp_gt_u32_e32 vcc, 8, v5
	v_cndmask_b32_e32 v5, v18, v17, vcc
	v_cndmask_b32_e32 v15, v15, v16, vcc
	v_lshlrev_b32_e32 v2, 24, v2
	v_bfrev_b32_e32 v16, 60
	v_lshlrev_b32_e32 v15, 20, v15
	v_and_b32_e32 v2, 0x80000000, v2
	v_lshl_add_u32 v5, v5, 23, v16
	v_or3_b32 v15, v2, v5, v15
.LBB548_783:
	s_or_b64 exec, exec, s[10:11]
.LBB548_784:
	s_or_b64 exec, exec, s[8:9]
.LBB548_785:
	s_or_b64 exec, exec, s[2:3]
	v_cvt_pkrtz_f16_f32 v2, v10, v11
	v_cvt_pkrtz_f16_f32 v3, v3, v13
	ds_read_b128 v[16:19], v22 offset:6160
	s_load_dword s2, s[42:43], 0x0
	v_cmp_gt_u32_e32 vcc, 64, v0
	s_waitcnt lgkmcnt(0)
	v_mfma_f32_16x16x16f16 v[6:9], v[2:3], v[16:17], v[6:9]
	v_cvt_pkrtz_f16_f32 v2, v12, v14
	v_cvt_pkrtz_f16_f32 v3, v4, v15
	s_and_b64 s[0:1], vcc, s[0:1]
	s_barrier
	v_mfma_f32_16x16x16f16 v[2:5], v[2:3], v[18:19], v[6:9]
	s_nop 7
	s_nop 2
	v_pk_mul_f32 v[4:5], v[4:5], s[2:3] op_sel_hi:[1,0]
	v_pk_mul_f32 v[2:3], v[2:3], s[2:3] op_sel_hi:[1,0]
	v_cvt_f16_f32_e32 v2, v2
	v_cvt_f16_f32_e32 v3, v3
	;; [unrolled: 1-line block ×4, first 2 shown]
	v_pack_b32_f16 v2, v2, v3
	v_pack_b32_f16 v3, v4, v5
	ds_write_b64 v26, v[2:3]
	s_waitcnt lgkmcnt(0)
	s_barrier
	s_and_saveexec_b64 s[2:3], s[0:1]
	s_cbranch_execz .LBB548_788
; %bb.786:
	s_load_dwordx2 s[2:3], s[4:5], 0x68
	s_lshl_b32 s0, s44, 6
	s_mul_i32 s1, s12, s6
	s_mul_hi_u32 s7, s1, s0
	s_mul_i32 s6, s1, s0
	s_lshl_b64 s[6:7], s[6:7], 1
	s_waitcnt lgkmcnt(0)
	s_add_u32 s1, s2, s6
	s_mov_b32 s5, 0
	s_addc_u32 s6, s3, s7
	s_lshl_b32 s4, s24, 6
	v_lshlrev_b32_e32 v0, 10, v0
	s_lshl_b64 s[2:3], s[4:5], 1
	v_and_b32_e32 v0, 0x1800, v0
	v_lshlrev_b32_e32 v2, 5, v1
	v_and_b32_e32 v3, 16, v47
	s_add_u32 s1, s1, s2
	v_or3_b32 v0, v0, v2, v3
	s_addc_u32 s2, s6, s3
	v_add_u32_e32 v8, s25, v1
	v_mov_b32_e32 v3, s2
	v_add_co_u32_e32 v2, vcc, s1, v46
	ds_read_b128 v[4:7], v0
	v_mad_u64_u32 v[8:9], s[2:3], v8, s0, 0
	v_addc_co_u32_e32 v3, vcc, 0, v3, vcc
	v_lshlrev_b64 v[8:9], 1, v[8:9]
	v_add_co_u32_e32 v8, vcc, v2, v8
	v_addc_co_u32_e32 v9, vcc, v3, v9, vcc
	v_cmp_ne_u32_e32 vcc, 3, v1
	s_waitcnt lgkmcnt(0)
	global_store_dwordx4 v[8:9], v[4:7], off
	s_and_b64 exec, exec, vcc
	s_cbranch_execz .LBB548_788
; %bb.787:
	ds_read_b128 v[4:7], v0 offset:128
	v_add3_u32 v0, s25, v1, 4
	v_mad_u64_u32 v[0:1], s[0:1], v0, s0, 0
	v_lshlrev_b64 v[0:1], 1, v[0:1]
	v_add_co_u32_e32 v0, vcc, v2, v0
	v_addc_co_u32_e32 v1, vcc, v3, v1, vcc
	s_waitcnt lgkmcnt(0)
	global_store_dwordx4 v[0:1], v[4:7], off
.LBB548_788:
	s_endpgm
	.section	.rodata,"a",@progbits
	.p2align	6, 0x0
	.amdhsa_kernel _Z39paged_attention_ll4mi_QKV_mfma16_kernelIDF16_hLN4vllm18Fp8KVCacheDataTypeE1EDF16_Li16ELi64ELi256ELb1ELi7EL8MFMAType0EEvPKT_PKT0_S8_ifPKiSA_SA_iPKfiiiPfSD_PS3_PT2_iSC_SC_
		.amdhsa_group_segment_fixed_size 8192
		.amdhsa_private_segment_fixed_size 0
		.amdhsa_kernarg_size 400
		.amdhsa_user_sgpr_count 6
		.amdhsa_user_sgpr_private_segment_buffer 1
		.amdhsa_user_sgpr_dispatch_ptr 0
		.amdhsa_user_sgpr_queue_ptr 0
		.amdhsa_user_sgpr_kernarg_segment_ptr 1
		.amdhsa_user_sgpr_dispatch_id 0
		.amdhsa_user_sgpr_flat_scratch_init 0
		.amdhsa_user_sgpr_kernarg_preload_length 0
		.amdhsa_user_sgpr_kernarg_preload_offset 0
		.amdhsa_user_sgpr_private_segment_size 0
		.amdhsa_uses_dynamic_stack 0
		.amdhsa_system_sgpr_private_segment_wavefront_offset 0
		.amdhsa_system_sgpr_workgroup_id_x 1
		.amdhsa_system_sgpr_workgroup_id_y 1
		.amdhsa_system_sgpr_workgroup_id_z 1
		.amdhsa_system_sgpr_workgroup_info 0
		.amdhsa_system_vgpr_workitem_id 0
		.amdhsa_next_free_vgpr 62
		.amdhsa_next_free_sgpr 47
		.amdhsa_accum_offset 64
		.amdhsa_reserve_vcc 1
		.amdhsa_reserve_flat_scratch 0
		.amdhsa_float_round_mode_32 0
		.amdhsa_float_round_mode_16_64 0
		.amdhsa_float_denorm_mode_32 3
		.amdhsa_float_denorm_mode_16_64 3
		.amdhsa_dx10_clamp 1
		.amdhsa_ieee_mode 1
		.amdhsa_fp16_overflow 0
		.amdhsa_tg_split 0
		.amdhsa_exception_fp_ieee_invalid_op 0
		.amdhsa_exception_fp_denorm_src 0
		.amdhsa_exception_fp_ieee_div_zero 0
		.amdhsa_exception_fp_ieee_overflow 0
		.amdhsa_exception_fp_ieee_underflow 0
		.amdhsa_exception_fp_ieee_inexact 0
		.amdhsa_exception_int_div_zero 0
	.end_amdhsa_kernel
	.section	.text._Z39paged_attention_ll4mi_QKV_mfma16_kernelIDF16_hLN4vllm18Fp8KVCacheDataTypeE1EDF16_Li16ELi64ELi256ELb1ELi7EL8MFMAType0EEvPKT_PKT0_S8_ifPKiSA_SA_iPKfiiiPfSD_PS3_PT2_iSC_SC_,"axG",@progbits,_Z39paged_attention_ll4mi_QKV_mfma16_kernelIDF16_hLN4vllm18Fp8KVCacheDataTypeE1EDF16_Li16ELi64ELi256ELb1ELi7EL8MFMAType0EEvPKT_PKT0_S8_ifPKiSA_SA_iPKfiiiPfSD_PS3_PT2_iSC_SC_,comdat
.Lfunc_end548:
	.size	_Z39paged_attention_ll4mi_QKV_mfma16_kernelIDF16_hLN4vllm18Fp8KVCacheDataTypeE1EDF16_Li16ELi64ELi256ELb1ELi7EL8MFMAType0EEvPKT_PKT0_S8_ifPKiSA_SA_iPKfiiiPfSD_PS3_PT2_iSC_SC_, .Lfunc_end548-_Z39paged_attention_ll4mi_QKV_mfma16_kernelIDF16_hLN4vllm18Fp8KVCacheDataTypeE1EDF16_Li16ELi64ELi256ELb1ELi7EL8MFMAType0EEvPKT_PKT0_S8_ifPKiSA_SA_iPKfiiiPfSD_PS3_PT2_iSC_SC_
                                        ; -- End function
	.section	.AMDGPU.csdata,"",@progbits
; Kernel info:
; codeLenInByte = 27256
; NumSgprs: 51
; NumVgprs: 62
; NumAgprs: 0
; TotalNumVgprs: 62
; ScratchSize: 0
; MemoryBound: 0
; FloatMode: 240
; IeeeMode: 1
; LDSByteSize: 8192 bytes/workgroup (compile time only)
; SGPRBlocks: 6
; VGPRBlocks: 7
; NumSGPRsForWavesPerEU: 51
; NumVGPRsForWavesPerEU: 62
; AccumOffset: 64
; Occupancy: 8
; WaveLimiterHint : 1
; COMPUTE_PGM_RSRC2:SCRATCH_EN: 0
; COMPUTE_PGM_RSRC2:USER_SGPR: 6
; COMPUTE_PGM_RSRC2:TRAP_HANDLER: 0
; COMPUTE_PGM_RSRC2:TGID_X_EN: 1
; COMPUTE_PGM_RSRC2:TGID_Y_EN: 1
; COMPUTE_PGM_RSRC2:TGID_Z_EN: 1
; COMPUTE_PGM_RSRC2:TIDIG_COMP_CNT: 0
; COMPUTE_PGM_RSRC3_GFX90A:ACCUM_OFFSET: 15
; COMPUTE_PGM_RSRC3_GFX90A:TG_SPLIT: 0
	.section	.text._Z39paged_attention_ll4mi_QKV_mfma16_kernelIDF16_hLN4vllm18Fp8KVCacheDataTypeE1EDF16_Li16ELi64ELi256ELb1ELi8EL8MFMAType0EEvPKT_PKT0_S8_ifPKiSA_SA_iPKfiiiPfSD_PS3_PT2_iSC_SC_,"axG",@progbits,_Z39paged_attention_ll4mi_QKV_mfma16_kernelIDF16_hLN4vllm18Fp8KVCacheDataTypeE1EDF16_Li16ELi64ELi256ELb1ELi8EL8MFMAType0EEvPKT_PKT0_S8_ifPKiSA_SA_iPKfiiiPfSD_PS3_PT2_iSC_SC_,comdat
	.protected	_Z39paged_attention_ll4mi_QKV_mfma16_kernelIDF16_hLN4vllm18Fp8KVCacheDataTypeE1EDF16_Li16ELi64ELi256ELb1ELi8EL8MFMAType0EEvPKT_PKT0_S8_ifPKiSA_SA_iPKfiiiPfSD_PS3_PT2_iSC_SC_ ; -- Begin function _Z39paged_attention_ll4mi_QKV_mfma16_kernelIDF16_hLN4vllm18Fp8KVCacheDataTypeE1EDF16_Li16ELi64ELi256ELb1ELi8EL8MFMAType0EEvPKT_PKT0_S8_ifPKiSA_SA_iPKfiiiPfSD_PS3_PT2_iSC_SC_
	.globl	_Z39paged_attention_ll4mi_QKV_mfma16_kernelIDF16_hLN4vllm18Fp8KVCacheDataTypeE1EDF16_Li16ELi64ELi256ELb1ELi8EL8MFMAType0EEvPKT_PKT0_S8_ifPKiSA_SA_iPKfiiiPfSD_PS3_PT2_iSC_SC_
	.p2align	8
	.type	_Z39paged_attention_ll4mi_QKV_mfma16_kernelIDF16_hLN4vllm18Fp8KVCacheDataTypeE1EDF16_Li16ELi64ELi256ELb1ELi8EL8MFMAType0EEvPKT_PKT0_S8_ifPKiSA_SA_iPKfiiiPfSD_PS3_PT2_iSC_SC_,@function
_Z39paged_attention_ll4mi_QKV_mfma16_kernelIDF16_hLN4vllm18Fp8KVCacheDataTypeE1EDF16_Li16ELi64ELi256ELb1ELi8EL8MFMAType0EEvPKT_PKT0_S8_ifPKiSA_SA_iPKfiiiPfSD_PS3_PT2_iSC_SC_: ; @_Z39paged_attention_ll4mi_QKV_mfma16_kernelIDF16_hLN4vllm18Fp8KVCacheDataTypeE1EDF16_Li16ELi64ELi256ELb1ELi8EL8MFMAType0EEvPKT_PKT0_S8_ifPKiSA_SA_iPKfiiiPfSD_PS3_PT2_iSC_SC_
; %bb.0:
	s_load_dwordx2 s[0:1], s[4:5], 0x30
	s_mov_b32 s24, s7
	s_mov_b64 s[10:11], 0
	s_waitcnt lgkmcnt(0)
	s_cmp_lg_u64 s[0:1], 0
	s_cselect_b64 s[2:3], -1, 0
	s_and_b64 vcc, exec, s[2:3]
	s_cbranch_vccz .LBB549_7
; %bb.1:
	s_add_i32 s12, s6, 1
	s_mov_b32 s13, 0
	s_lshl_b64 s[14:15], s[12:13], 2
	s_add_u32 s14, s0, s14
	s_mov_b32 s7, s13
	s_addc_u32 s15, s1, s15
	s_lshl_b64 s[12:13], s[6:7], 2
	s_add_u32 s12, s0, s12
	s_addc_u32 s13, s1, s13
	s_load_dword s9, s[14:15], 0x0
	s_load_dword s16, s[12:13], 0x0
	s_waitcnt lgkmcnt(0)
	s_sub_i32 s9, s9, s16
	s_cmp_eq_u32 s9, 1
	s_cselect_b64 s[12:13], -1, 0
	s_andn2_b64 vcc, exec, s[10:11]
	s_cbranch_vccnz .LBB549_3
.LBB549_2:
	s_mov_b32 s7, 0
	s_mov_b64 s[12:13], -1
.LBB549_3:
	s_andn2_b64 vcc, exec, s[12:13]
	s_cbranch_vccnz .LBB549_787
; %bb.4:
	s_load_dwordx2 s[12:13], s[4:5], 0x28
	s_lshl_b64 s[10:11], s[6:7], 2
	s_waitcnt lgkmcnt(0)
	s_add_u32 s12, s12, s10
	s_addc_u32 s13, s13, s11
	s_load_dword s33, s[12:13], 0x0
	s_lshl_b32 s18, s24, 8
	s_waitcnt lgkmcnt(0)
	s_cmp_ge_i32 s18, s33
	s_cbranch_scc1 .LBB549_787
; %bb.5:
	s_add_i32 s14, s33, 15
	s_load_dwordx2 s[12:13], s[4:5], 0x20
	s_load_dword s9, s[4:5], 0x38
	s_ashr_i32 s15, s14, 31
	v_and_b32_e32 v1, 0xcf, v0
	s_lshr_b32 s15, s15, 28
	v_add_u32_e32 v1, s18, v1
	s_add_i32 s14, s14, s15
	v_ashrrev_i32_e32 v2, 31, v1
	s_ashr_i32 s21, s14, 4
	v_lshrrev_b32_e32 v4, 28, v2
	s_add_i32 s21, s21, -1
	v_add_u32_e32 v2, v1, v4
	s_waitcnt lgkmcnt(0)
	s_mul_i32 s14, s6, s9
	s_mov_b32 s15, 0
	v_ashrrev_i32_e32 v2, 4, v2
	v_mov_b32_e32 v5, s21
	v_cmp_gt_i32_e32 vcc, s33, v1
	s_lshl_b64 s[14:15], s[14:15], 2
	v_cndmask_b32_e32 v2, v5, v2, vcc
	s_add_u32 s19, s12, s14
	v_ashrrev_i32_e32 v3, 31, v2
	s_addc_u32 s20, s13, s15
	v_lshlrev_b64 v[2:3], 2, v[2:3]
	v_mov_b32_e32 v7, s20
	v_add_co_u32_e32 v6, vcc, s19, v2
	v_or_b32_e32 v2, 16, v1
	v_addc_co_u32_e32 v7, vcc, v7, v3, vcc
	v_add_u32_e32 v3, v2, v4
	v_ashrrev_i32_e32 v3, 4, v3
	v_cmp_gt_i32_e32 vcc, s33, v2
	v_cndmask_b32_e32 v2, v5, v3, vcc
	v_ashrrev_i32_e32 v3, 31, v2
	v_lshlrev_b64 v[2:3], 2, v[2:3]
	v_mov_b32_e32 v9, s20
	v_add_co_u32_e32 v8, vcc, s19, v2
	v_or_b32_e32 v2, 32, v1
	v_addc_co_u32_e32 v9, vcc, v9, v3, vcc
	v_add_u32_e32 v3, v2, v4
	v_ashrrev_i32_e32 v3, 4, v3
	v_cmp_gt_i32_e32 vcc, s33, v2
	v_cndmask_b32_e32 v2, v5, v3, vcc
	v_ashrrev_i32_e32 v3, 31, v2
	;; [unrolled: 10-line block ×3, first 2 shown]
	v_lshlrev_b64 v[2:3], 2, v[2:3]
	v_mov_b32_e32 v1, s20
	v_add_co_u32_e32 v12, vcc, s19, v2
	v_addc_co_u32_e32 v13, vcc, v1, v3, vcc
	global_load_dword v5, v[6:7], off
	global_load_dword v4, v[8:9], off
	;; [unrolled: 1-line block ×4, first 2 shown]
	s_load_dwordx2 s[16:17], s[4:5], 0x8
	s_andn2_b64 vcc, exec, s[2:3]
	s_cbranch_vccnz .LBB549_8
; %bb.6:
	s_add_u32 s0, s0, s10
	s_addc_u32 s1, s1, s11
	s_load_dword s9, s[0:1], 0x0
	s_branch .LBB549_9
.LBB549_7:
	s_mov_b64 s[12:13], 0
	s_branch .LBB549_2
.LBB549_8:
	s_mov_b32 s9, s6
.LBB549_9:
	s_load_dwordx2 s[2:3], s[4:5], 0x10
	s_load_dwordx4 s[12:15], s[4:5], 0x48
	v_and_b32_e32 v49, 15, v0
	s_movk_i32 s0, 0x80
	v_lshlrev_b32_e32 v6, 3, v49
	v_cmp_gt_u32_e32 vcc, s0, v0
	v_cmp_gt_u32_e64 s[0:1], 8, v49
	v_lshrrev_b32_e32 v48, 6, v0
	v_bfe_u32 v1, v0, 4, 2
	s_lshl_b32 s25, s8, 3
	s_and_b64 s[22:23], vcc, s[0:1]
	v_lshlrev_b32_e32 v46, 1, v6
	v_lshlrev_b32_e32 v47, 4, v0
	s_and_saveexec_b64 s[10:11], s[22:23]
	s_cbranch_execz .LBB549_11
; %bb.10:
	s_load_dwordx2 s[22:23], s[4:5], 0x0
	s_waitcnt lgkmcnt(0)
	s_ashr_i32 s15, s12, 31
	s_mul_hi_u32 s26, s9, s12
	s_mul_i32 s15, s9, s15
	v_lshl_or_b32 v10, v48, 2, v1
	s_add_i32 s27, s26, s15
	s_mul_i32 s26, s9, s12
	s_lshl_b64 s[26:27], s[26:27], 1
	v_add_lshl_u32 v6, v10, s25, 6
	s_add_u32 s9, s22, s26
	v_ashrrev_i32_e32 v7, 31, v6
	s_addc_u32 s12, s23, s27
	v_lshlrev_b64 v[6:7], 1, v[6:7]
	v_mov_b32_e32 v8, s12
	v_add_co_u32_e32 v6, vcc, s9, v6
	v_addc_co_u32_e32 v7, vcc, v8, v7, vcc
	v_add_co_u32_e32 v6, vcc, v6, v46
	v_addc_co_u32_e32 v7, vcc, 0, v7, vcc
	global_load_dwordx4 v[6:9], v[6:7], off
	v_lshlrev_b32_e32 v12, 8, v49
	v_lshlrev_b32_e32 v10, 5, v10
	v_and_b32_e32 v11, 16, v47
	v_and_b32_e32 v12, 0xe00, v12
	v_or3_b32 v10, v12, v10, v11
	s_waitcnt vmcnt(0)
	ds_write_b128 v10, v[6:9]
.LBB549_11:
	s_or_b64 exec, exec, s[10:11]
	s_waitcnt lgkmcnt(0)
	s_mul_i32 s10, s8, s14
	s_add_u32 s8, s16, s10
	s_addc_u32 s9, s17, 0
	v_and_b32_e32 v7, 0xf0, v47
	v_and_b32_e32 v6, 48, v0
	v_mov_b32_e32 v8, s9
	v_add_co_u32_e32 v7, vcc, s8, v7
	v_addc_co_u32_e32 v9, vcc, 0, v8, vcc
	v_lshlrev_b32_e32 v8, 4, v6
	v_add_co_u32_e32 v8, vcc, v7, v8
	v_addc_co_u32_e32 v9, vcc, 0, v9, vcc
	s_waitcnt vmcnt(3)
	v_mad_i64_i32 v[10:11], s[8:9], v5, s13, v[8:9]
	s_waitcnt vmcnt(2)
	v_mad_i64_i32 v[4:5], s[8:9], v4, s13, v[8:9]
	s_barrier
	global_load_dwordx4 v[34:37], v[10:11], off
	global_load_dwordx4 v[38:41], v[4:5], off
	s_waitcnt vmcnt(3)
	v_mad_i64_i32 v[4:5], s[8:9], v2, s13, v[8:9]
	s_waitcnt vmcnt(2)
	v_mad_i64_i32 v[2:3], s[8:9], v3, s13, v[8:9]
	global_load_dwordx4 v[30:33], v[4:5], off
	global_load_dwordx4 v[22:25], v[2:3], off
	v_and_b32_e32 v2, 7, v0
	v_lshlrev_b32_e32 v2, 5, v2
	v_lshl_or_b32 v2, v1, 9, v2
	ds_read_b128 v[26:29], v2
	ds_read_b128 v[18:21], v2 offset:16
	v_mov_b32_e32 v43, 0
	v_mov_b32_e32 v50, 0
	s_and_saveexec_b64 s[8:9], s[0:1]
	s_cbranch_execz .LBB549_13
; %bb.12:
	s_load_dwordx2 s[14:15], s[4:5], 0x40
	v_or_b32_e32 v2, s25, v49
	v_ashrrev_i32_e32 v3, 31, v2
	v_lshlrev_b64 v[2:3], 2, v[2:3]
	s_waitcnt lgkmcnt(0)
	v_mov_b32_e32 v4, s15
	v_add_co_u32_e32 v2, vcc, s14, v2
	v_addc_co_u32_e32 v3, vcc, v4, v3, vcc
	global_load_dword v50, v[2:3], off
.LBB549_13:
	s_or_b64 exec, exec, s[8:9]
	v_or_b32_e32 v8, s18, v6
	v_ashrrev_i32_e32 v2, 4, v8
	v_mov_b32_e32 v9, s21
	v_cmp_gt_i32_e32 vcc, s33, v8
	v_cndmask_b32_e32 v2, v9, v2, vcc
	v_ashrrev_i32_e32 v3, 31, v2
	v_lshlrev_b64 v[2:3], 2, v[2:3]
	v_mov_b32_e32 v4, s20
	v_add_co_u32_e32 v2, vcc, s19, v2
	v_addc_co_u32_e32 v3, vcc, v4, v3, vcc
	v_or_b32_e32 v4, 64, v8
	v_ashrrev_i32_e32 v5, 4, v4
	v_cmp_gt_i32_e32 vcc, s33, v4
	v_cndmask_b32_e32 v4, v9, v5, vcc
	v_ashrrev_i32_e32 v5, 31, v4
	v_lshlrev_b64 v[4:5], 2, v[4:5]
	v_mov_b32_e32 v6, s20
	v_add_co_u32_e32 v4, vcc, s19, v4
	v_addc_co_u32_e32 v5, vcc, v6, v5, vcc
	v_or_b32_e32 v6, 0x80, v8
	v_ashrrev_i32_e32 v7, 4, v6
	v_cmp_gt_i32_e32 vcc, s33, v6
	v_cndmask_b32_e32 v6, v9, v7, vcc
	v_ashrrev_i32_e32 v7, 31, v6
	v_lshlrev_b64 v[6:7], 2, v[6:7]
	v_mov_b32_e32 v10, s20
	v_add_co_u32_e32 v6, vcc, s19, v6
	v_addc_co_u32_e32 v7, vcc, v10, v7, vcc
	global_load_dword v10, v[2:3], off
	global_load_dword v11, v[4:5], off
	;; [unrolled: 1-line block ×3, first 2 shown]
	v_or_b32_e32 v2, 0xc0, v8
	v_ashrrev_i32_e32 v3, 4, v2
	v_cmp_gt_i32_e32 vcc, s33, v2
	v_cndmask_b32_e32 v2, v9, v3, vcc
	v_ashrrev_i32_e32 v3, 31, v2
	v_lshlrev_b64 v[2:3], 2, v[2:3]
	v_mov_b32_e32 v4, s20
	v_add_co_u32_e32 v2, vcc, s19, v2
	v_addc_co_u32_e32 v3, vcc, v4, v3, vcc
	global_load_dword v13, v[2:3], off
	s_add_u32 s2, s2, s10
	v_lshlrev_b32_e32 v2, 4, v49
	s_addc_u32 s3, s3, 0
	v_lshl_or_b32 v2, v48, 8, v2
	v_mov_b32_e32 v3, s3
	v_add_co_u32_e32 v2, vcc, s2, v2
	v_addc_co_u32_e32 v3, vcc, 0, v3, vcc
	s_movk_i32 s8, 0x80
	s_waitcnt vmcnt(7)
	v_cmp_ne_u16_sdwa s[10:11], v34, v43 src0_sel:BYTE_0 src1_sel:DWORD
	s_waitcnt vmcnt(3)
	v_mad_i64_i32 v[4:5], s[2:3], v10, s13, v[2:3]
	s_waitcnt vmcnt(2)
	v_mad_i64_i32 v[6:7], s[2:3], v11, s13, v[2:3]
	;; [unrolled: 2-line block ×4, first 2 shown]
	global_load_dwordx4 v[14:17], v[4:5], off
	global_load_dwordx4 v[10:13], v[6:7], off
                                        ; kill: killed $vgpr6_vgpr7
                                        ; kill: killed $vgpr4_vgpr5
	s_nop 0
	global_load_dwordx4 v[6:9], v[8:9], off
	s_nop 0
	global_load_dwordx4 v[2:5], v[2:3], off
	s_load_dwordx4 s[40:43], s[4:5], 0x80
	s_load_dwordx2 s[44:45], s[4:5], 0x94
                                        ; kill: killed $sgpr40_sgpr41
	s_waitcnt lgkmcnt(0)
	s_load_dword s12, s[40:41], 0x0
	s_and_saveexec_b64 s[2:3], s[10:11]
	s_cbranch_execz .LBB549_19
; %bb.14:
	v_cmp_ne_u16_sdwa s[10:11], v34, s8 src0_sel:BYTE_0 src1_sel:DWORD
	v_bfrev_b32_e32 v43, 1
	s_and_saveexec_b64 s[8:9], s[10:11]
	s_cbranch_execz .LBB549_18
; %bb.15:
	s_movk_i32 s10, 0x7f
	v_and_b32_e32 v42, 0x7f, v34
	v_cmp_ne_u32_e32 vcc, s10, v42
	v_mov_b32_e32 v43, 0x7f800001
	s_and_saveexec_b64 s[10:11], vcc
	s_cbranch_execz .LBB549_17
; %bb.16:
	v_and_b32_e32 v43, 7, v34
	v_ffbh_u32_e32 v44, v43
	v_min_u32_e32 v52, 32, v44
	v_subrev_u32_e32 v44, 28, v52
	v_lshlrev_b64 v[44:45], v44, v[34:35]
	v_lshrrev_b32_e32 v51, 3, v42
	v_sub_u32_e32 v45, 29, v52
	v_and_b32_e32 v44, 7, v44
	v_cmp_gt_u32_e32 vcc, 8, v42
	v_cndmask_b32_e32 v42, v51, v45, vcc
	v_cndmask_b32_e32 v43, v43, v44, vcc
	v_lshlrev_b32_e32 v44, 24, v34
	v_bfrev_b32_e32 v45, 60
	v_lshlrev_b32_e32 v43, 20, v43
	v_and_b32_e32 v44, 0x80000000, v44
	v_lshl_add_u32 v42, v42, 23, v45
	v_or3_b32 v43, v44, v42, v43
.LBB549_17:
	s_or_b64 exec, exec, s[10:11]
.LBB549_18:
	s_or_b64 exec, exec, s[8:9]
.LBB549_19:
	s_or_b64 exec, exec, s[2:3]
	v_lshrrev_b16_e32 v42, 8, v34
	v_cmp_ne_u16_e32 vcc, 0, v42
	v_mov_b32_e32 v44, 0
	v_mov_b32_e32 v45, 0
	s_and_saveexec_b64 s[2:3], vcc
	s_cbranch_execz .LBB549_25
; %bb.20:
	s_movk_i32 s8, 0x80
	v_cmp_ne_u16_sdwa s[10:11], v34, s8 src0_sel:BYTE_1 src1_sel:DWORD
	v_bfrev_b32_e32 v45, 1
	s_and_saveexec_b64 s[8:9], s[10:11]
	s_cbranch_execz .LBB549_24
; %bb.21:
	s_movk_i32 s10, 0x7f
	v_and_b32_e32 v51, 0x7f, v42
	v_cmp_ne_u32_e32 vcc, s10, v51
	v_mov_b32_e32 v45, 0x7f800001
	s_and_saveexec_b64 s[10:11], vcc
	s_cbranch_execz .LBB549_23
; %bb.22:
	v_and_b32_e32 v45, 7, v42
	v_ffbh_u32_e32 v52, v45
	v_min_u32_e32 v55, 32, v52
	v_subrev_u32_e32 v52, 28, v55
	v_lshlrev_b64 v[52:53], v52, v[42:43]
	v_lshrrev_b32_e32 v54, 3, v51
	v_sub_u32_e32 v42, 29, v55
	v_and_b32_e32 v52, 7, v52
	v_cmp_gt_u32_e32 vcc, 8, v51
	v_cndmask_b32_e32 v42, v54, v42, vcc
	v_cndmask_b32_e32 v45, v45, v52, vcc
	v_lshlrev_b32_e32 v51, 16, v34
	v_bfrev_b32_e32 v52, 60
	v_lshlrev_b32_e32 v45, 20, v45
	v_and_b32_e32 v51, 0x80000000, v51
	v_lshl_add_u32 v42, v42, 23, v52
	v_or3_b32 v45, v51, v42, v45
.LBB549_23:
	s_or_b64 exec, exec, s[10:11]
.LBB549_24:
	s_or_b64 exec, exec, s[8:9]
.LBB549_25:
	s_or_b64 exec, exec, s[2:3]
	s_movk_i32 s2, 0xff
	v_and_b32_sdwa v51, v34, s2 dst_sel:DWORD dst_unused:UNUSED_PAD src0_sel:WORD_1 src1_sel:DWORD
	v_lshrrev_b32_e32 v42, 16, v34
	v_cmp_ne_u16_e32 vcc, 0, v51
	s_and_saveexec_b64 s[2:3], vcc
	s_cbranch_execz .LBB549_31
; %bb.26:
	s_movk_i32 s8, 0x80
	v_cmp_ne_u16_e32 vcc, s8, v51
	v_bfrev_b32_e32 v44, 1
	s_and_saveexec_b64 s[8:9], vcc
	s_cbranch_execz .LBB549_30
; %bb.27:
	v_bfe_u32 v51, v34, 16, 7
	s_movk_i32 s10, 0x7f
	v_cmp_ne_u32_e32 vcc, s10, v51
	v_mov_b32_e32 v44, 0x7f800001
	s_and_saveexec_b64 s[10:11], vcc
	s_cbranch_execz .LBB549_29
; %bb.28:
	v_and_b32_e32 v44, 7, v42
	v_ffbh_u32_e32 v52, v44
	v_min_u32_e32 v55, 32, v52
	v_subrev_u32_e32 v52, 28, v55
	v_lshlrev_b64 v[52:53], v52, v[42:43]
	v_lshrrev_b32_e32 v54, 3, v51
	v_sub_u32_e32 v42, 29, v55
	v_and_b32_e32 v52, 7, v52
	v_cmp_gt_u32_e32 vcc, 8, v51
	v_mov_b32_e32 v51, 24
	v_cndmask_b32_e32 v42, v54, v42, vcc
	v_cndmask_b32_e32 v44, v44, v52, vcc
	v_lshlrev_b32_sdwa v51, v51, v34 dst_sel:DWORD dst_unused:UNUSED_PAD src0_sel:DWORD src1_sel:WORD_1
	v_bfrev_b32_e32 v52, 60
	v_lshlrev_b32_e32 v44, 20, v44
	v_and_b32_e32 v51, 0x80000000, v51
	v_lshl_add_u32 v42, v42, 23, v52
	v_or3_b32 v44, v51, v42, v44
.LBB549_29:
	s_or_b64 exec, exec, s[10:11]
.LBB549_30:
	s_or_b64 exec, exec, s[8:9]
.LBB549_31:
	s_or_b64 exec, exec, s[2:3]
	s_mov_b32 s2, 0xffffff
	v_cmp_lt_u32_e32 vcc, s2, v34
	v_mov_b32_e32 v52, 0
	v_mov_b32_e32 v53, 0
	s_and_saveexec_b64 s[2:3], vcc
	s_cbranch_execz .LBB549_37
; %bb.32:
	v_lshrrev_b32_e32 v42, 24, v34
	s_movk_i32 s8, 0x80
	v_cmp_ne_u32_e32 vcc, s8, v42
	v_bfrev_b32_e32 v53, 1
	s_and_saveexec_b64 s[8:9], vcc
	s_cbranch_execz .LBB549_36
; %bb.33:
	v_bfe_u32 v34, v34, 24, 7
	s_movk_i32 s10, 0x7f
	v_cmp_ne_u32_e32 vcc, s10, v34
	v_mov_b32_e32 v53, 0x7f800001
	s_and_saveexec_b64 s[10:11], vcc
	s_cbranch_execz .LBB549_35
; %bb.34:
	v_and_b32_e32 v51, 7, v42
	v_ffbh_u32_e32 v54, v51
	v_min_u32_e32 v56, 32, v54
	v_subrev_u32_e32 v54, 28, v56
	v_lshlrev_b64 v[54:55], v54, v[42:43]
	v_lshrrev_b32_e32 v53, 3, v34
	v_sub_u32_e32 v55, 29, v56
	v_and_b32_e32 v54, 7, v54
	v_cmp_gt_u32_e32 vcc, 8, v34
	v_cndmask_b32_e32 v34, v53, v55, vcc
	v_cndmask_b32_e32 v51, v51, v54, vcc
	v_lshlrev_b32_e32 v42, 24, v42
	v_bfrev_b32_e32 v53, 60
	v_lshlrev_b32_e32 v51, 20, v51
	v_and_b32_e32 v42, 0x80000000, v42
	v_lshl_add_u32 v34, v34, 23, v53
	v_or3_b32 v53, v42, v34, v51
.LBB549_35:
	s_or_b64 exec, exec, s[10:11]
.LBB549_36:
	s_or_b64 exec, exec, s[8:9]
.LBB549_37:
	s_or_b64 exec, exec, s[2:3]
	v_cmp_ne_u16_sdwa s[8:9], v35, v52 src0_sel:BYTE_0 src1_sel:DWORD
	s_and_saveexec_b64 s[2:3], s[8:9]
	s_cbranch_execz .LBB549_43
; %bb.38:
	s_movk_i32 s8, 0x80
	v_cmp_ne_u16_sdwa s[10:11], v35, s8 src0_sel:BYTE_0 src1_sel:DWORD
	v_bfrev_b32_e32 v52, 1
	s_and_saveexec_b64 s[8:9], s[10:11]
	s_cbranch_execz .LBB549_42
; %bb.39:
	s_movk_i32 s10, 0x7f
	v_and_b32_e32 v34, 0x7f, v35
	v_cmp_ne_u32_e32 vcc, s10, v34
	v_mov_b32_e32 v52, 0x7f800001
	s_and_saveexec_b64 s[10:11], vcc
	s_cbranch_execz .LBB549_41
; %bb.40:
	v_and_b32_e32 v51, 7, v35
	v_ffbh_u32_e32 v54, v51
	v_min_u32_e32 v56, 32, v54
	v_mov_b32_e32 v42, v35
	v_subrev_u32_e32 v54, 28, v56
	v_lshlrev_b64 v[54:55], v54, v[42:43]
	v_lshrrev_b32_e32 v52, 3, v34
	v_sub_u32_e32 v42, 29, v56
	v_and_b32_e32 v54, 7, v54
	v_cmp_gt_u32_e32 vcc, 8, v34
	v_cndmask_b32_e32 v34, v52, v42, vcc
	v_cndmask_b32_e32 v42, v51, v54, vcc
	v_lshlrev_b32_e32 v51, 24, v35
	v_bfrev_b32_e32 v52, 60
	v_lshlrev_b32_e32 v42, 20, v42
	v_and_b32_e32 v51, 0x80000000, v51
	v_lshl_add_u32 v34, v34, 23, v52
	v_or3_b32 v52, v51, v34, v42
.LBB549_41:
	s_or_b64 exec, exec, s[10:11]
.LBB549_42:
	s_or_b64 exec, exec, s[8:9]
.LBB549_43:
	s_or_b64 exec, exec, s[2:3]
	v_lshrrev_b16_e32 v34, 8, v35
	v_cmp_ne_u16_e32 vcc, 0, v34
	v_mov_b32_e32 v42, 0
	v_mov_b32_e32 v54, 0
	s_and_saveexec_b64 s[2:3], vcc
	s_cbranch_execz .LBB549_49
; %bb.44:
	s_movk_i32 s8, 0x80
	v_cmp_ne_u16_e32 vcc, s8, v34
	v_bfrev_b32_e32 v54, 1
	s_and_saveexec_b64 s[8:9], vcc
	s_cbranch_execz .LBB549_48
; %bb.45:
	s_movk_i32 s10, 0x7f
	v_and_b32_e32 v51, 0x7f, v34
	v_cmp_ne_u32_e32 vcc, s10, v51
	v_mov_b32_e32 v54, 0x7f800001
	s_and_saveexec_b64 s[10:11], vcc
	s_cbranch_execz .LBB549_47
; %bb.46:
	v_and_b32_e32 v56, 7, v34
	v_ffbh_u32_e32 v54, v56
	v_min_u32_e32 v58, 32, v54
	v_subrev_u32_e32 v54, 28, v58
	v_lshlrev_b64 v[54:55], v54, v[34:35]
	v_lshrrev_b32_e32 v57, 3, v51
	v_sub_u32_e32 v34, 29, v58
	v_and_b32_e32 v54, 7, v54
	v_cmp_gt_u32_e32 vcc, 8, v51
	v_cndmask_b32_e32 v34, v57, v34, vcc
	v_cndmask_b32_e32 v51, v56, v54, vcc
	v_lshlrev_b32_e32 v54, 16, v35
	v_bfrev_b32_e32 v55, 60
	v_lshlrev_b32_e32 v51, 20, v51
	v_and_b32_e32 v54, 0x80000000, v54
	v_lshl_add_u32 v34, v34, 23, v55
	v_or3_b32 v54, v54, v34, v51
.LBB549_47:
	s_or_b64 exec, exec, s[10:11]
.LBB549_48:
	s_or_b64 exec, exec, s[8:9]
.LBB549_49:
	s_or_b64 exec, exec, s[2:3]
	s_movk_i32 s2, 0xff
	v_and_b32_sdwa v51, v35, s2 dst_sel:DWORD dst_unused:UNUSED_PAD src0_sel:WORD_1 src1_sel:DWORD
	v_lshrrev_b32_e32 v34, 16, v35
	v_cmp_ne_u16_e32 vcc, 0, v51
	s_and_saveexec_b64 s[2:3], vcc
	s_cbranch_execz .LBB549_55
; %bb.50:
	s_movk_i32 s8, 0x80
	v_cmp_ne_u16_e32 vcc, s8, v51
	v_bfrev_b32_e32 v42, 1
	s_and_saveexec_b64 s[8:9], vcc
	s_cbranch_execz .LBB549_54
; %bb.51:
	v_bfe_u32 v51, v35, 16, 7
	s_movk_i32 s10, 0x7f
	v_cmp_ne_u32_e32 vcc, s10, v51
	v_mov_b32_e32 v42, 0x7f800001
	s_and_saveexec_b64 s[10:11], vcc
	s_cbranch_execz .LBB549_53
; %bb.52:
	v_and_b32_e32 v42, 7, v34
	v_ffbh_u32_e32 v56, v42
	v_min_u32_e32 v58, 32, v56
	v_subrev_u32_e32 v56, 28, v58
	v_lshlrev_b64 v[56:57], v56, v[34:35]
	v_lshrrev_b32_e32 v55, 3, v51
	v_sub_u32_e32 v34, 29, v58
	v_and_b32_e32 v56, 7, v56
	v_cmp_gt_u32_e32 vcc, 8, v51
	v_mov_b32_e32 v51, 24
	v_cndmask_b32_e32 v34, v55, v34, vcc
	v_cndmask_b32_e32 v42, v42, v56, vcc
	v_lshlrev_b32_sdwa v51, v51, v35 dst_sel:DWORD dst_unused:UNUSED_PAD src0_sel:DWORD src1_sel:WORD_1
	v_bfrev_b32_e32 v55, 60
	v_lshlrev_b32_e32 v42, 20, v42
	v_and_b32_e32 v51, 0x80000000, v51
	v_lshl_add_u32 v34, v34, 23, v55
	v_or3_b32 v42, v51, v34, v42
.LBB549_53:
	s_or_b64 exec, exec, s[10:11]
.LBB549_54:
	s_or_b64 exec, exec, s[8:9]
.LBB549_55:
	s_or_b64 exec, exec, s[2:3]
	s_mov_b32 s2, 0xffffff
	v_cmp_lt_u32_e32 vcc, s2, v35
	v_mov_b32_e32 v51, 0
	v_mov_b32_e32 v55, 0
	s_and_saveexec_b64 s[2:3], vcc
	s_cbranch_execz .LBB549_61
; %bb.56:
	v_lshrrev_b32_e32 v34, 24, v35
	s_movk_i32 s8, 0x80
	v_cmp_ne_u32_e32 vcc, s8, v34
	v_bfrev_b32_e32 v55, 1
	s_and_saveexec_b64 s[8:9], vcc
	s_cbranch_execz .LBB549_60
; %bb.57:
	v_bfe_u32 v35, v35, 24, 7
	s_movk_i32 s10, 0x7f
	v_cmp_ne_u32_e32 vcc, s10, v35
	v_mov_b32_e32 v55, 0x7f800001
	s_and_saveexec_b64 s[10:11], vcc
	s_cbranch_execz .LBB549_59
; %bb.58:
	v_and_b32_e32 v55, 7, v34
	v_ffbh_u32_e32 v56, v55
	v_min_u32_e32 v59, 32, v56
	v_subrev_u32_e32 v56, 28, v59
	v_lshlrev_b64 v[56:57], v56, v[34:35]
	v_lshrrev_b32_e32 v58, 3, v35
	v_sub_u32_e32 v57, 29, v59
	v_and_b32_e32 v56, 7, v56
	v_cmp_gt_u32_e32 vcc, 8, v35
	v_cndmask_b32_e32 v35, v58, v57, vcc
	v_cndmask_b32_e32 v55, v55, v56, vcc
	v_lshlrev_b32_e32 v34, 24, v34
	v_bfrev_b32_e32 v56, 60
	v_lshlrev_b32_e32 v55, 20, v55
	v_and_b32_e32 v34, 0x80000000, v34
	v_lshl_add_u32 v35, v35, 23, v56
	v_or3_b32 v55, v34, v35, v55
.LBB549_59:
	s_or_b64 exec, exec, s[10:11]
.LBB549_60:
	s_or_b64 exec, exec, s[8:9]
.LBB549_61:
	s_or_b64 exec, exec, s[2:3]
	v_cvt_pkrtz_f16_f32 v34, v43, v45
	v_cvt_pkrtz_f16_f32 v35, v44, v53
	v_cmp_ne_u16_sdwa s[8:9], v36, v51 src0_sel:BYTE_0 src1_sel:DWORD
	s_nop 0
	v_mfma_f32_16x16x16f16 v[56:59], v[34:35], v[26:27], 0
	v_cvt_pkrtz_f16_f32 v34, v52, v54
	v_cvt_pkrtz_f16_f32 v35, v42, v55
	s_nop 1
	v_mfma_f32_16x16x16f16 v[42:45], v[34:35], v[28:29], v[56:59]
	s_and_saveexec_b64 s[2:3], s[8:9]
	s_cbranch_execz .LBB549_67
; %bb.62:
	s_movk_i32 s8, 0x80
	v_cmp_ne_u16_sdwa s[10:11], v36, s8 src0_sel:BYTE_0 src1_sel:DWORD
	v_bfrev_b32_e32 v51, 1
	s_and_saveexec_b64 s[8:9], s[10:11]
	s_cbranch_execz .LBB549_66
; %bb.63:
	s_movk_i32 s10, 0x7f
	v_and_b32_e32 v34, 0x7f, v36
	v_cmp_ne_u32_e32 vcc, s10, v34
	v_mov_b32_e32 v51, 0x7f800001
	s_and_saveexec_b64 s[10:11], vcc
	s_cbranch_execz .LBB549_65
; %bb.64:
	v_and_b32_e32 v35, 7, v36
	v_ffbh_u32_e32 v52, v35
	v_min_u32_e32 v54, 32, v52
	v_subrev_u32_e32 v52, 28, v54
	v_lshlrev_b64 v[52:53], v52, v[36:37]
	v_lshrrev_b32_e32 v51, 3, v34
	v_sub_u32_e32 v53, 29, v54
	v_and_b32_e32 v52, 7, v52
	v_cmp_gt_u32_e32 vcc, 8, v34
	v_cndmask_b32_e32 v34, v51, v53, vcc
	v_cndmask_b32_e32 v35, v35, v52, vcc
	v_lshlrev_b32_e32 v51, 24, v36
	v_bfrev_b32_e32 v52, 60
	v_lshlrev_b32_e32 v35, 20, v35
	v_and_b32_e32 v51, 0x80000000, v51
	v_lshl_add_u32 v34, v34, 23, v52
	v_or3_b32 v51, v51, v34, v35
.LBB549_65:
	s_or_b64 exec, exec, s[10:11]
.LBB549_66:
	s_or_b64 exec, exec, s[8:9]
.LBB549_67:
	s_or_b64 exec, exec, s[2:3]
	v_lshrrev_b16_e32 v34, 8, v36
	v_cmp_ne_u16_e32 vcc, 0, v34
	v_mov_b32_e32 v35, 0
	v_mov_b32_e32 v53, 0
	s_and_saveexec_b64 s[2:3], vcc
	s_cbranch_execz .LBB549_73
; %bb.68:
	s_movk_i32 s8, 0x80
	v_cmp_ne_u16_e32 vcc, s8, v34
	v_bfrev_b32_e32 v53, 1
	s_and_saveexec_b64 s[8:9], vcc
	s_cbranch_execz .LBB549_72
; %bb.69:
	s_movk_i32 s10, 0x7f
	v_and_b32_e32 v52, 0x7f, v34
	v_cmp_ne_u32_e32 vcc, s10, v52
	v_mov_b32_e32 v53, 0x7f800001
	s_and_saveexec_b64 s[10:11], vcc
	s_cbranch_execz .LBB549_71
; %bb.70:
	v_and_b32_e32 v53, 7, v34
	v_ffbh_u32_e32 v54, v53
	v_min_u32_e32 v57, 32, v54
	v_subrev_u32_e32 v54, 28, v57
	v_lshlrev_b64 v[54:55], v54, v[34:35]
	v_lshrrev_b32_e32 v56, 3, v52
	v_sub_u32_e32 v34, 29, v57
	v_and_b32_e32 v54, 7, v54
	v_cmp_gt_u32_e32 vcc, 8, v52
	v_cndmask_b32_e32 v34, v56, v34, vcc
	v_cndmask_b32_e32 v52, v53, v54, vcc
	v_lshlrev_b32_e32 v53, 16, v36
	v_bfrev_b32_e32 v54, 60
	v_lshlrev_b32_e32 v52, 20, v52
	v_and_b32_e32 v53, 0x80000000, v53
	v_lshl_add_u32 v34, v34, 23, v54
	v_or3_b32 v53, v53, v34, v52
.LBB549_71:
	s_or_b64 exec, exec, s[10:11]
.LBB549_72:
	s_or_b64 exec, exec, s[8:9]
.LBB549_73:
	s_or_b64 exec, exec, s[2:3]
	s_movk_i32 s2, 0xff
	v_and_b32_sdwa v52, v36, s2 dst_sel:DWORD dst_unused:UNUSED_PAD src0_sel:WORD_1 src1_sel:DWORD
	v_lshrrev_b32_e32 v34, 16, v36
	v_cmp_ne_u16_e32 vcc, 0, v52
	s_and_saveexec_b64 s[2:3], vcc
	s_cbranch_execz .LBB549_79
; %bb.74:
	s_movk_i32 s8, 0x80
	v_cmp_ne_u16_e32 vcc, s8, v52
	v_bfrev_b32_e32 v35, 1
	s_and_saveexec_b64 s[8:9], vcc
	s_cbranch_execz .LBB549_78
; %bb.75:
	v_bfe_u32 v52, v36, 16, 7
	s_movk_i32 s10, 0x7f
	v_cmp_ne_u32_e32 vcc, s10, v52
	v_mov_b32_e32 v35, 0x7f800001
	s_and_saveexec_b64 s[10:11], vcc
	s_cbranch_execz .LBB549_77
; %bb.76:
	v_and_b32_e32 v54, 7, v34
	v_ffbh_u32_e32 v35, v54
	v_min_u32_e32 v56, 32, v35
	v_subrev_u32_e32 v35, 28, v56
	v_lshlrev_b64 v[34:35], v35, v[34:35]
	v_lshrrev_b32_e32 v55, 3, v52
	v_sub_u32_e32 v35, 29, v56
	v_and_b32_e32 v34, 7, v34
	v_cmp_gt_u32_e32 vcc, 8, v52
	v_mov_b32_e32 v52, 24
	v_cndmask_b32_e32 v35, v55, v35, vcc
	v_cndmask_b32_e32 v34, v54, v34, vcc
	v_lshlrev_b32_sdwa v52, v52, v36 dst_sel:DWORD dst_unused:UNUSED_PAD src0_sel:DWORD src1_sel:WORD_1
	v_bfrev_b32_e32 v54, 60
	v_lshlrev_b32_e32 v34, 20, v34
	v_and_b32_e32 v52, 0x80000000, v52
	v_lshl_add_u32 v35, v35, 23, v54
	v_or3_b32 v35, v52, v35, v34
.LBB549_77:
	s_or_b64 exec, exec, s[10:11]
.LBB549_78:
	s_or_b64 exec, exec, s[8:9]
.LBB549_79:
	s_or_b64 exec, exec, s[2:3]
	s_mov_b32 s2, 0xffffff
	v_cmp_lt_u32_e32 vcc, s2, v36
	v_mov_b32_e32 v54, 0
	v_mov_b32_e32 v55, 0
	s_and_saveexec_b64 s[2:3], vcc
	s_cbranch_execz .LBB549_85
; %bb.80:
	v_lshrrev_b32_e32 v34, 24, v36
	s_movk_i32 s8, 0x80
	v_cmp_ne_u32_e32 vcc, s8, v34
	v_bfrev_b32_e32 v55, 1
	s_and_saveexec_b64 s[8:9], vcc
	s_cbranch_execz .LBB549_84
; %bb.81:
	v_bfe_u32 v36, v36, 24, 7
	s_movk_i32 s10, 0x7f
	v_cmp_ne_u32_e32 vcc, s10, v36
	v_mov_b32_e32 v55, 0x7f800001
	s_and_saveexec_b64 s[10:11], vcc
	s_cbranch_execz .LBB549_83
; %bb.82:
	v_and_b32_e32 v52, 7, v34
	v_ffbh_u32_e32 v56, v52
	v_min_u32_e32 v58, 32, v56
	v_subrev_u32_e32 v56, 28, v58
	v_lshlrev_b64 v[56:57], v56, v[34:35]
	v_lshrrev_b32_e32 v55, 3, v36
	v_sub_u32_e32 v57, 29, v58
	v_and_b32_e32 v56, 7, v56
	v_cmp_gt_u32_e32 vcc, 8, v36
	v_cndmask_b32_e32 v36, v55, v57, vcc
	v_cndmask_b32_e32 v52, v52, v56, vcc
	v_lshlrev_b32_e32 v34, 24, v34
	v_bfrev_b32_e32 v55, 60
	v_lshlrev_b32_e32 v52, 20, v52
	v_and_b32_e32 v34, 0x80000000, v34
	v_lshl_add_u32 v36, v36, 23, v55
	v_or3_b32 v55, v34, v36, v52
.LBB549_83:
	s_or_b64 exec, exec, s[10:11]
.LBB549_84:
	s_or_b64 exec, exec, s[8:9]
.LBB549_85:
	s_or_b64 exec, exec, s[2:3]
	v_cmp_ne_u16_sdwa s[8:9], v37, v54 src0_sel:BYTE_0 src1_sel:DWORD
	s_and_saveexec_b64 s[2:3], s[8:9]
	s_cbranch_execz .LBB549_91
; %bb.86:
	s_movk_i32 s8, 0x80
	v_cmp_ne_u16_sdwa s[10:11], v37, s8 src0_sel:BYTE_0 src1_sel:DWORD
	v_bfrev_b32_e32 v54, 1
	s_and_saveexec_b64 s[8:9], s[10:11]
	s_cbranch_execz .LBB549_90
; %bb.87:
	s_movk_i32 s10, 0x7f
	v_and_b32_e32 v34, 0x7f, v37
	v_cmp_ne_u32_e32 vcc, s10, v34
	v_mov_b32_e32 v54, 0x7f800001
	s_and_saveexec_b64 s[10:11], vcc
	s_cbranch_execz .LBB549_89
; %bb.88:
	v_and_b32_e32 v52, 7, v37
	v_ffbh_u32_e32 v56, v52
	v_min_u32_e32 v58, 32, v56
	v_mov_b32_e32 v36, v37
	v_subrev_u32_e32 v56, 28, v58
	v_lshlrev_b64 v[56:57], v56, v[36:37]
	v_lshrrev_b32_e32 v54, 3, v34
	v_sub_u32_e32 v36, 29, v58
	v_and_b32_e32 v56, 7, v56
	v_cmp_gt_u32_e32 vcc, 8, v34
	v_cndmask_b32_e32 v34, v54, v36, vcc
	v_cndmask_b32_e32 v36, v52, v56, vcc
	v_lshlrev_b32_e32 v52, 24, v37
	v_bfrev_b32_e32 v54, 60
	v_lshlrev_b32_e32 v36, 20, v36
	v_and_b32_e32 v52, 0x80000000, v52
	v_lshl_add_u32 v34, v34, 23, v54
	v_or3_b32 v54, v52, v34, v36
.LBB549_89:
	s_or_b64 exec, exec, s[10:11]
.LBB549_90:
	s_or_b64 exec, exec, s[8:9]
.LBB549_91:
	s_or_b64 exec, exec, s[2:3]
	v_lshrrev_b16_e32 v34, 8, v37
	v_cmp_ne_u16_e32 vcc, 0, v34
	v_mov_b32_e32 v36, 0
	v_mov_b32_e32 v56, 0
	s_and_saveexec_b64 s[2:3], vcc
	s_cbranch_execz .LBB549_97
; %bb.92:
	s_movk_i32 s8, 0x80
	v_cmp_ne_u16_e32 vcc, s8, v34
	v_bfrev_b32_e32 v56, 1
	s_and_saveexec_b64 s[8:9], vcc
	s_cbranch_execz .LBB549_96
; %bb.93:
	s_movk_i32 s10, 0x7f
	v_and_b32_e32 v52, 0x7f, v34
	v_cmp_ne_u32_e32 vcc, s10, v52
	v_mov_b32_e32 v56, 0x7f800001
	s_and_saveexec_b64 s[10:11], vcc
	s_cbranch_execz .LBB549_95
; %bb.94:
	v_and_b32_e32 v58, 7, v34
	v_ffbh_u32_e32 v56, v58
	v_min_u32_e32 v60, 32, v56
	v_subrev_u32_e32 v56, 28, v60
	v_lshlrev_b64 v[56:57], v56, v[34:35]
	v_lshrrev_b32_e32 v59, 3, v52
	v_sub_u32_e32 v34, 29, v60
	v_and_b32_e32 v56, 7, v56
	v_cmp_gt_u32_e32 vcc, 8, v52
	v_cndmask_b32_e32 v34, v59, v34, vcc
	v_cndmask_b32_e32 v52, v58, v56, vcc
	v_lshlrev_b32_e32 v56, 16, v37
	v_bfrev_b32_e32 v57, 60
	v_lshlrev_b32_e32 v52, 20, v52
	v_and_b32_e32 v56, 0x80000000, v56
	v_lshl_add_u32 v34, v34, 23, v57
	v_or3_b32 v56, v56, v34, v52
.LBB549_95:
	s_or_b64 exec, exec, s[10:11]
.LBB549_96:
	s_or_b64 exec, exec, s[8:9]
.LBB549_97:
	s_or_b64 exec, exec, s[2:3]
	s_movk_i32 s2, 0xff
	v_and_b32_sdwa v52, v37, s2 dst_sel:DWORD dst_unused:UNUSED_PAD src0_sel:WORD_1 src1_sel:DWORD
	v_lshrrev_b32_e32 v34, 16, v37
	v_cmp_ne_u16_e32 vcc, 0, v52
	s_and_saveexec_b64 s[2:3], vcc
	s_cbranch_execz .LBB549_103
; %bb.98:
	s_movk_i32 s8, 0x80
	v_cmp_ne_u16_e32 vcc, s8, v52
	v_bfrev_b32_e32 v36, 1
	s_and_saveexec_b64 s[8:9], vcc
	s_cbranch_execz .LBB549_102
; %bb.99:
	v_bfe_u32 v52, v37, 16, 7
	s_movk_i32 s10, 0x7f
	v_cmp_ne_u32_e32 vcc, s10, v52
	v_mov_b32_e32 v36, 0x7f800001
	s_and_saveexec_b64 s[10:11], vcc
	s_cbranch_execz .LBB549_101
; %bb.100:
	v_and_b32_e32 v36, 7, v34
	v_ffbh_u32_e32 v58, v36
	v_min_u32_e32 v60, 32, v58
	v_subrev_u32_e32 v58, 28, v60
	v_lshlrev_b64 v[58:59], v58, v[34:35]
	v_lshrrev_b32_e32 v57, 3, v52
	v_sub_u32_e32 v34, 29, v60
	v_and_b32_e32 v58, 7, v58
	v_cmp_gt_u32_e32 vcc, 8, v52
	v_mov_b32_e32 v52, 24
	v_cndmask_b32_e32 v34, v57, v34, vcc
	v_cndmask_b32_e32 v36, v36, v58, vcc
	v_lshlrev_b32_sdwa v52, v52, v37 dst_sel:DWORD dst_unused:UNUSED_PAD src0_sel:DWORD src1_sel:WORD_1
	v_bfrev_b32_e32 v57, 60
	v_lshlrev_b32_e32 v36, 20, v36
	v_and_b32_e32 v52, 0x80000000, v52
	v_lshl_add_u32 v34, v34, 23, v57
	v_or3_b32 v36, v52, v34, v36
.LBB549_101:
	s_or_b64 exec, exec, s[10:11]
.LBB549_102:
	s_or_b64 exec, exec, s[8:9]
.LBB549_103:
	s_or_b64 exec, exec, s[2:3]
	s_mov_b32 s2, 0xffffff
	v_cmp_lt_u32_e32 vcc, s2, v37
	v_mov_b32_e32 v52, 0
	v_mov_b32_e32 v57, 0
	s_and_saveexec_b64 s[2:3], vcc
	s_cbranch_execz .LBB549_109
; %bb.104:
	v_lshrrev_b32_e32 v34, 24, v37
	s_movk_i32 s8, 0x80
	v_cmp_ne_u32_e32 vcc, s8, v34
	v_bfrev_b32_e32 v57, 1
	s_and_saveexec_b64 s[8:9], vcc
	s_cbranch_execz .LBB549_108
; %bb.105:
	v_bfe_u32 v37, v37, 24, 7
	s_movk_i32 s10, 0x7f
	v_cmp_ne_u32_e32 vcc, s10, v37
	v_mov_b32_e32 v57, 0x7f800001
	s_and_saveexec_b64 s[10:11], vcc
	s_cbranch_execz .LBB549_107
; %bb.106:
	v_and_b32_e32 v57, 7, v34
	v_ffbh_u32_e32 v58, v57
	v_min_u32_e32 v61, 32, v58
	v_subrev_u32_e32 v58, 28, v61
	v_lshlrev_b64 v[58:59], v58, v[34:35]
	v_lshrrev_b32_e32 v60, 3, v37
	v_sub_u32_e32 v59, 29, v61
	v_and_b32_e32 v58, 7, v58
	v_cmp_gt_u32_e32 vcc, 8, v37
	v_cndmask_b32_e32 v37, v60, v59, vcc
	v_cndmask_b32_e32 v57, v57, v58, vcc
	v_lshlrev_b32_e32 v34, 24, v34
	v_bfrev_b32_e32 v58, 60
	v_lshlrev_b32_e32 v57, 20, v57
	v_and_b32_e32 v34, 0x80000000, v34
	v_lshl_add_u32 v37, v37, 23, v58
	v_or3_b32 v57, v34, v37, v57
.LBB549_107:
	s_or_b64 exec, exec, s[10:11]
.LBB549_108:
	s_or_b64 exec, exec, s[8:9]
.LBB549_109:
	s_or_b64 exec, exec, s[2:3]
	v_cvt_pkrtz_f16_f32 v34, v51, v53
	v_cvt_pkrtz_f16_f32 v35, v35, v55
	v_cmp_ne_u16_sdwa s[8:9], v38, v52 src0_sel:BYTE_0 src1_sel:DWORD
	s_nop 0
	v_mfma_f32_16x16x16f16 v[42:45], v[34:35], v[18:19], v[42:45]
	v_cvt_pkrtz_f16_f32 v34, v54, v56
	v_cvt_pkrtz_f16_f32 v35, v36, v57
	s_nop 1
	v_mfma_f32_16x16x16f16 v[34:37], v[34:35], v[20:21], v[42:45]
	s_and_saveexec_b64 s[2:3], s[8:9]
	s_cbranch_execz .LBB549_115
; %bb.110:
	s_movk_i32 s8, 0x80
	v_cmp_ne_u16_sdwa s[10:11], v38, s8 src0_sel:BYTE_0 src1_sel:DWORD
	v_bfrev_b32_e32 v52, 1
	s_and_saveexec_b64 s[8:9], s[10:11]
	s_cbranch_execz .LBB549_114
; %bb.111:
	s_movk_i32 s10, 0x7f
	v_and_b32_e32 v42, 0x7f, v38
	v_cmp_ne_u32_e32 vcc, s10, v42
	v_mov_b32_e32 v52, 0x7f800001
	s_and_saveexec_b64 s[10:11], vcc
	s_cbranch_execz .LBB549_113
; %bb.112:
	v_and_b32_e32 v43, 7, v38
	v_ffbh_u32_e32 v44, v43
	v_min_u32_e32 v52, 32, v44
	v_subrev_u32_e32 v44, 28, v52
	v_lshlrev_b64 v[44:45], v44, v[38:39]
	v_lshrrev_b32_e32 v51, 3, v42
	v_sub_u32_e32 v45, 29, v52
	v_and_b32_e32 v44, 7, v44
	v_cmp_gt_u32_e32 vcc, 8, v42
	v_cndmask_b32_e32 v42, v51, v45, vcc
	v_cndmask_b32_e32 v43, v43, v44, vcc
	v_lshlrev_b32_e32 v44, 24, v38
	v_bfrev_b32_e32 v45, 60
	v_lshlrev_b32_e32 v43, 20, v43
	v_and_b32_e32 v44, 0x80000000, v44
	v_lshl_add_u32 v42, v42, 23, v45
	v_or3_b32 v52, v44, v42, v43
.LBB549_113:
	s_or_b64 exec, exec, s[10:11]
.LBB549_114:
	s_or_b64 exec, exec, s[8:9]
.LBB549_115:
	s_or_b64 exec, exec, s[2:3]
	s_nop 3
	v_lshrrev_b16_e32 v42, 8, v38
	v_cmp_ne_u16_e32 vcc, 0, v42
	v_mov_b32_e32 v43, 0
	v_mov_b32_e32 v44, 0
	s_and_saveexec_b64 s[2:3], vcc
	s_cbranch_execz .LBB549_121
; %bb.116:
	s_movk_i32 s8, 0x80
	v_cmp_ne_u16_e32 vcc, s8, v42
	v_bfrev_b32_e32 v44, 1
	s_and_saveexec_b64 s[8:9], vcc
	s_cbranch_execz .LBB549_120
; %bb.117:
	s_movk_i32 s10, 0x7f
	v_and_b32_e32 v45, 0x7f, v42
	v_cmp_ne_u32_e32 vcc, s10, v45
	v_mov_b32_e32 v44, 0x7f800001
	s_and_saveexec_b64 s[10:11], vcc
	s_cbranch_execz .LBB549_119
; %bb.118:
	v_and_b32_e32 v44, 7, v42
	v_ffbh_u32_e32 v53, v44
	v_min_u32_e32 v53, 32, v53
	v_subrev_u32_e32 v54, 28, v53
	v_lshlrev_b64 v[54:55], v54, v[42:43]
	v_lshrrev_b32_e32 v51, 3, v45
	v_sub_u32_e32 v42, 29, v53
	v_and_b32_e32 v53, 7, v54
	v_cmp_gt_u32_e32 vcc, 8, v45
	v_cndmask_b32_e32 v42, v51, v42, vcc
	v_cndmask_b32_e32 v44, v44, v53, vcc
	v_lshlrev_b32_e32 v45, 16, v38
	v_bfrev_b32_e32 v51, 60
	v_lshlrev_b32_e32 v44, 20, v44
	v_and_b32_e32 v45, 0x80000000, v45
	v_lshl_add_u32 v42, v42, 23, v51
	v_or3_b32 v44, v45, v42, v44
.LBB549_119:
	s_or_b64 exec, exec, s[10:11]
.LBB549_120:
	s_or_b64 exec, exec, s[8:9]
.LBB549_121:
	s_or_b64 exec, exec, s[2:3]
	s_movk_i32 s2, 0xff
	v_and_b32_sdwa v45, v38, s2 dst_sel:DWORD dst_unused:UNUSED_PAD src0_sel:WORD_1 src1_sel:DWORD
	v_lshrrev_b32_e32 v42, 16, v38
	v_cmp_ne_u16_e32 vcc, 0, v45
	s_and_saveexec_b64 s[2:3], vcc
	s_cbranch_execz .LBB549_127
; %bb.122:
	s_movk_i32 s8, 0x80
	v_cmp_ne_u16_e32 vcc, s8, v45
	v_bfrev_b32_e32 v43, 1
	s_and_saveexec_b64 s[8:9], vcc
	s_cbranch_execz .LBB549_126
; %bb.123:
	v_bfe_u32 v45, v38, 16, 7
	s_movk_i32 s10, 0x7f
	v_cmp_ne_u32_e32 vcc, s10, v45
	v_mov_b32_e32 v43, 0x7f800001
	s_and_saveexec_b64 s[10:11], vcc
	s_cbranch_execz .LBB549_125
; %bb.124:
	v_and_b32_e32 v51, 7, v42
	v_ffbh_u32_e32 v43, v51
	v_min_u32_e32 v54, 32, v43
	v_subrev_u32_e32 v43, 28, v54
	v_lshlrev_b64 v[42:43], v43, v[42:43]
	v_lshrrev_b32_e32 v53, 3, v45
	v_sub_u32_e32 v43, 29, v54
	v_and_b32_e32 v42, 7, v42
	v_cmp_gt_u32_e32 vcc, 8, v45
	v_mov_b32_e32 v45, 24
	v_cndmask_b32_e32 v43, v53, v43, vcc
	v_cndmask_b32_e32 v42, v51, v42, vcc
	v_lshlrev_b32_sdwa v45, v45, v38 dst_sel:DWORD dst_unused:UNUSED_PAD src0_sel:DWORD src1_sel:WORD_1
	v_bfrev_b32_e32 v51, 60
	v_lshlrev_b32_e32 v42, 20, v42
	v_and_b32_e32 v45, 0x80000000, v45
	v_lshl_add_u32 v43, v43, 23, v51
	v_or3_b32 v43, v45, v43, v42
.LBB549_125:
	s_or_b64 exec, exec, s[10:11]
.LBB549_126:
	s_or_b64 exec, exec, s[8:9]
.LBB549_127:
	s_or_b64 exec, exec, s[2:3]
	s_mov_b32 s2, 0xffffff
	v_cmp_lt_u32_e32 vcc, s2, v38
	v_mov_b32_e32 v45, 0
	v_mov_b32_e32 v53, 0
	s_and_saveexec_b64 s[2:3], vcc
	s_cbranch_execz .LBB549_133
; %bb.128:
	v_lshrrev_b32_e32 v42, 24, v38
	s_movk_i32 s8, 0x80
	v_cmp_ne_u32_e32 vcc, s8, v42
	v_bfrev_b32_e32 v53, 1
	s_and_saveexec_b64 s[8:9], vcc
	s_cbranch_execz .LBB549_132
; %bb.129:
	v_bfe_u32 v38, v38, 24, 7
	s_movk_i32 s10, 0x7f
	v_cmp_ne_u32_e32 vcc, s10, v38
	v_mov_b32_e32 v53, 0x7f800001
	s_and_saveexec_b64 s[10:11], vcc
	s_cbranch_execz .LBB549_131
; %bb.130:
	v_and_b32_e32 v51, 7, v42
	v_ffbh_u32_e32 v54, v51
	v_min_u32_e32 v56, 32, v54
	v_subrev_u32_e32 v54, 28, v56
	v_lshlrev_b64 v[54:55], v54, v[42:43]
	v_lshrrev_b32_e32 v53, 3, v38
	v_sub_u32_e32 v55, 29, v56
	v_and_b32_e32 v54, 7, v54
	v_cmp_gt_u32_e32 vcc, 8, v38
	v_cndmask_b32_e32 v38, v53, v55, vcc
	v_cndmask_b32_e32 v51, v51, v54, vcc
	v_lshlrev_b32_e32 v42, 24, v42
	v_bfrev_b32_e32 v53, 60
	v_lshlrev_b32_e32 v51, 20, v51
	v_and_b32_e32 v42, 0x80000000, v42
	v_lshl_add_u32 v38, v38, 23, v53
	v_or3_b32 v53, v42, v38, v51
.LBB549_131:
	s_or_b64 exec, exec, s[10:11]
.LBB549_132:
	s_or_b64 exec, exec, s[8:9]
.LBB549_133:
	s_or_b64 exec, exec, s[2:3]
	v_cmp_ne_u16_sdwa s[8:9], v39, v45 src0_sel:BYTE_0 src1_sel:DWORD
	s_and_saveexec_b64 s[2:3], s[8:9]
	s_cbranch_execz .LBB549_139
; %bb.134:
	s_movk_i32 s8, 0x80
	v_cmp_ne_u16_sdwa s[10:11], v39, s8 src0_sel:BYTE_0 src1_sel:DWORD
	v_bfrev_b32_e32 v45, 1
	s_and_saveexec_b64 s[8:9], s[10:11]
	s_cbranch_execz .LBB549_138
; %bb.135:
	s_movk_i32 s10, 0x7f
	v_and_b32_e32 v38, 0x7f, v39
	v_cmp_ne_u32_e32 vcc, s10, v38
	v_mov_b32_e32 v45, 0x7f800001
	s_and_saveexec_b64 s[10:11], vcc
	s_cbranch_execz .LBB549_137
; %bb.136:
	v_and_b32_e32 v45, 7, v39
	v_ffbh_u32_e32 v54, v45
	v_min_u32_e32 v56, 32, v54
	v_mov_b32_e32 v42, v39
	v_subrev_u32_e32 v54, 28, v56
	v_lshlrev_b64 v[54:55], v54, v[42:43]
	v_lshrrev_b32_e32 v51, 3, v38
	v_sub_u32_e32 v42, 29, v56
	v_and_b32_e32 v54, 7, v54
	v_cmp_gt_u32_e32 vcc, 8, v38
	v_cndmask_b32_e32 v38, v51, v42, vcc
	v_cndmask_b32_e32 v42, v45, v54, vcc
	v_lshlrev_b32_e32 v45, 24, v39
	v_bfrev_b32_e32 v51, 60
	v_lshlrev_b32_e32 v42, 20, v42
	v_and_b32_e32 v45, 0x80000000, v45
	v_lshl_add_u32 v38, v38, 23, v51
	v_or3_b32 v45, v45, v38, v42
.LBB549_137:
	s_or_b64 exec, exec, s[10:11]
.LBB549_138:
	s_or_b64 exec, exec, s[8:9]
.LBB549_139:
	s_or_b64 exec, exec, s[2:3]
	v_lshrrev_b16_e32 v38, 8, v39
	v_cmp_ne_u16_e32 vcc, 0, v38
	v_mov_b32_e32 v42, 0
	v_mov_b32_e32 v54, 0
	s_and_saveexec_b64 s[2:3], vcc
	s_cbranch_execz .LBB549_145
; %bb.140:
	s_movk_i32 s8, 0x80
	v_cmp_ne_u16_e32 vcc, s8, v38
	v_bfrev_b32_e32 v54, 1
	s_and_saveexec_b64 s[8:9], vcc
	s_cbranch_execz .LBB549_144
; %bb.141:
	s_movk_i32 s10, 0x7f
	v_and_b32_e32 v51, 0x7f, v38
	v_cmp_ne_u32_e32 vcc, s10, v51
	v_mov_b32_e32 v54, 0x7f800001
	s_and_saveexec_b64 s[10:11], vcc
	s_cbranch_execz .LBB549_143
; %bb.142:
	v_and_b32_e32 v56, 7, v38
	v_ffbh_u32_e32 v54, v56
	v_min_u32_e32 v58, 32, v54
	v_subrev_u32_e32 v54, 28, v58
	v_lshlrev_b64 v[54:55], v54, v[38:39]
	v_lshrrev_b32_e32 v57, 3, v51
	v_sub_u32_e32 v38, 29, v58
	v_and_b32_e32 v54, 7, v54
	v_cmp_gt_u32_e32 vcc, 8, v51
	v_cndmask_b32_e32 v38, v57, v38, vcc
	v_cndmask_b32_e32 v51, v56, v54, vcc
	v_lshlrev_b32_e32 v54, 16, v39
	v_bfrev_b32_e32 v55, 60
	v_lshlrev_b32_e32 v51, 20, v51
	v_and_b32_e32 v54, 0x80000000, v54
	v_lshl_add_u32 v38, v38, 23, v55
	v_or3_b32 v54, v54, v38, v51
.LBB549_143:
	s_or_b64 exec, exec, s[10:11]
.LBB549_144:
	s_or_b64 exec, exec, s[8:9]
.LBB549_145:
	s_or_b64 exec, exec, s[2:3]
	s_movk_i32 s2, 0xff
	v_and_b32_sdwa v51, v39, s2 dst_sel:DWORD dst_unused:UNUSED_PAD src0_sel:WORD_1 src1_sel:DWORD
	v_lshrrev_b32_e32 v38, 16, v39
	v_cmp_ne_u16_e32 vcc, 0, v51
	s_and_saveexec_b64 s[2:3], vcc
	s_cbranch_execz .LBB549_151
; %bb.146:
	s_movk_i32 s8, 0x80
	v_cmp_ne_u16_e32 vcc, s8, v51
	v_bfrev_b32_e32 v42, 1
	s_and_saveexec_b64 s[8:9], vcc
	s_cbranch_execz .LBB549_150
; %bb.147:
	v_bfe_u32 v51, v39, 16, 7
	s_movk_i32 s10, 0x7f
	v_cmp_ne_u32_e32 vcc, s10, v51
	v_mov_b32_e32 v42, 0x7f800001
	s_and_saveexec_b64 s[10:11], vcc
	s_cbranch_execz .LBB549_149
; %bb.148:
	v_and_b32_e32 v42, 7, v38
	v_ffbh_u32_e32 v56, v42
	v_min_u32_e32 v58, 32, v56
	v_subrev_u32_e32 v56, 28, v58
	v_lshlrev_b64 v[56:57], v56, v[38:39]
	v_lshrrev_b32_e32 v55, 3, v51
	v_sub_u32_e32 v38, 29, v58
	v_and_b32_e32 v56, 7, v56
	v_cmp_gt_u32_e32 vcc, 8, v51
	v_mov_b32_e32 v51, 24
	v_cndmask_b32_e32 v38, v55, v38, vcc
	v_cndmask_b32_e32 v42, v42, v56, vcc
	v_lshlrev_b32_sdwa v51, v51, v39 dst_sel:DWORD dst_unused:UNUSED_PAD src0_sel:DWORD src1_sel:WORD_1
	v_bfrev_b32_e32 v55, 60
	v_lshlrev_b32_e32 v42, 20, v42
	v_and_b32_e32 v51, 0x80000000, v51
	v_lshl_add_u32 v38, v38, 23, v55
	v_or3_b32 v42, v51, v38, v42
.LBB549_149:
	s_or_b64 exec, exec, s[10:11]
.LBB549_150:
	s_or_b64 exec, exec, s[8:9]
.LBB549_151:
	s_or_b64 exec, exec, s[2:3]
	s_mov_b32 s2, 0xffffff
	v_cmp_lt_u32_e32 vcc, s2, v39
	v_mov_b32_e32 v51, 0
	v_mov_b32_e32 v55, 0
	s_and_saveexec_b64 s[2:3], vcc
	s_cbranch_execz .LBB549_157
; %bb.152:
	v_lshrrev_b32_e32 v38, 24, v39
	s_movk_i32 s8, 0x80
	v_cmp_ne_u32_e32 vcc, s8, v38
	v_bfrev_b32_e32 v55, 1
	s_and_saveexec_b64 s[8:9], vcc
	s_cbranch_execz .LBB549_156
; %bb.153:
	v_bfe_u32 v39, v39, 24, 7
	s_movk_i32 s10, 0x7f
	v_cmp_ne_u32_e32 vcc, s10, v39
	v_mov_b32_e32 v55, 0x7f800001
	s_and_saveexec_b64 s[10:11], vcc
	s_cbranch_execz .LBB549_155
; %bb.154:
	v_and_b32_e32 v55, 7, v38
	v_ffbh_u32_e32 v56, v55
	v_min_u32_e32 v59, 32, v56
	v_subrev_u32_e32 v56, 28, v59
	v_lshlrev_b64 v[56:57], v56, v[38:39]
	v_lshrrev_b32_e32 v58, 3, v39
	v_sub_u32_e32 v57, 29, v59
	v_and_b32_e32 v56, 7, v56
	v_cmp_gt_u32_e32 vcc, 8, v39
	v_cndmask_b32_e32 v39, v58, v57, vcc
	v_cndmask_b32_e32 v55, v55, v56, vcc
	v_lshlrev_b32_e32 v38, 24, v38
	v_bfrev_b32_e32 v56, 60
	v_lshlrev_b32_e32 v55, 20, v55
	v_and_b32_e32 v38, 0x80000000, v38
	v_lshl_add_u32 v39, v39, 23, v56
	v_or3_b32 v55, v38, v39, v55
.LBB549_155:
	s_or_b64 exec, exec, s[10:11]
.LBB549_156:
	s_or_b64 exec, exec, s[8:9]
.LBB549_157:
	s_or_b64 exec, exec, s[2:3]
	v_cvt_pkrtz_f16_f32 v38, v52, v44
	v_cvt_pkrtz_f16_f32 v39, v43, v53
	v_cmp_ne_u16_sdwa s[8:9], v40, v51 src0_sel:BYTE_0 src1_sel:DWORD
	s_nop 0
	v_mfma_f32_16x16x16f16 v[56:59], v[38:39], v[26:27], 0
	v_cvt_pkrtz_f16_f32 v38, v45, v54
	v_cvt_pkrtz_f16_f32 v39, v42, v55
	s_nop 1
	v_mfma_f32_16x16x16f16 v[42:45], v[38:39], v[28:29], v[56:59]
	s_and_saveexec_b64 s[2:3], s[8:9]
	s_cbranch_execz .LBB549_163
; %bb.158:
	s_movk_i32 s8, 0x80
	v_cmp_ne_u16_sdwa s[10:11], v40, s8 src0_sel:BYTE_0 src1_sel:DWORD
	v_bfrev_b32_e32 v51, 1
	s_and_saveexec_b64 s[8:9], s[10:11]
	s_cbranch_execz .LBB549_162
; %bb.159:
	s_movk_i32 s10, 0x7f
	v_and_b32_e32 v38, 0x7f, v40
	v_cmp_ne_u32_e32 vcc, s10, v38
	v_mov_b32_e32 v51, 0x7f800001
	s_and_saveexec_b64 s[10:11], vcc
	s_cbranch_execz .LBB549_161
; %bb.160:
	v_and_b32_e32 v39, 7, v40
	v_ffbh_u32_e32 v52, v39
	v_min_u32_e32 v54, 32, v52
	v_subrev_u32_e32 v52, 28, v54
	v_lshlrev_b64 v[52:53], v52, v[40:41]
	v_lshrrev_b32_e32 v51, 3, v38
	v_sub_u32_e32 v53, 29, v54
	v_and_b32_e32 v52, 7, v52
	v_cmp_gt_u32_e32 vcc, 8, v38
	v_cndmask_b32_e32 v38, v51, v53, vcc
	v_cndmask_b32_e32 v39, v39, v52, vcc
	v_lshlrev_b32_e32 v51, 24, v40
	v_bfrev_b32_e32 v52, 60
	v_lshlrev_b32_e32 v39, 20, v39
	v_and_b32_e32 v51, 0x80000000, v51
	v_lshl_add_u32 v38, v38, 23, v52
	v_or3_b32 v51, v51, v38, v39
.LBB549_161:
	s_or_b64 exec, exec, s[10:11]
.LBB549_162:
	s_or_b64 exec, exec, s[8:9]
.LBB549_163:
	s_or_b64 exec, exec, s[2:3]
	v_lshrrev_b16_e32 v38, 8, v40
	v_cmp_ne_u16_e32 vcc, 0, v38
	v_mov_b32_e32 v39, 0
	v_mov_b32_e32 v53, 0
	s_and_saveexec_b64 s[2:3], vcc
	s_cbranch_execz .LBB549_169
; %bb.164:
	s_movk_i32 s8, 0x80
	v_cmp_ne_u16_e32 vcc, s8, v38
	v_bfrev_b32_e32 v53, 1
	s_and_saveexec_b64 s[8:9], vcc
	s_cbranch_execz .LBB549_168
; %bb.165:
	s_movk_i32 s10, 0x7f
	v_and_b32_e32 v52, 0x7f, v38
	v_cmp_ne_u32_e32 vcc, s10, v52
	v_mov_b32_e32 v53, 0x7f800001
	s_and_saveexec_b64 s[10:11], vcc
	s_cbranch_execz .LBB549_167
; %bb.166:
	v_and_b32_e32 v53, 7, v38
	v_ffbh_u32_e32 v54, v53
	v_min_u32_e32 v57, 32, v54
	v_subrev_u32_e32 v54, 28, v57
	v_lshlrev_b64 v[54:55], v54, v[38:39]
	v_lshrrev_b32_e32 v56, 3, v52
	v_sub_u32_e32 v38, 29, v57
	v_and_b32_e32 v54, 7, v54
	v_cmp_gt_u32_e32 vcc, 8, v52
	v_cndmask_b32_e32 v38, v56, v38, vcc
	v_cndmask_b32_e32 v52, v53, v54, vcc
	v_lshlrev_b32_e32 v53, 16, v40
	v_bfrev_b32_e32 v54, 60
	v_lshlrev_b32_e32 v52, 20, v52
	v_and_b32_e32 v53, 0x80000000, v53
	v_lshl_add_u32 v38, v38, 23, v54
	v_or3_b32 v53, v53, v38, v52
.LBB549_167:
	s_or_b64 exec, exec, s[10:11]
.LBB549_168:
	s_or_b64 exec, exec, s[8:9]
.LBB549_169:
	s_or_b64 exec, exec, s[2:3]
	s_movk_i32 s2, 0xff
	v_and_b32_sdwa v52, v40, s2 dst_sel:DWORD dst_unused:UNUSED_PAD src0_sel:WORD_1 src1_sel:DWORD
	v_lshrrev_b32_e32 v38, 16, v40
	v_cmp_ne_u16_e32 vcc, 0, v52
	s_and_saveexec_b64 s[2:3], vcc
	s_cbranch_execz .LBB549_175
; %bb.170:
	s_movk_i32 s8, 0x80
	v_cmp_ne_u16_e32 vcc, s8, v52
	v_bfrev_b32_e32 v39, 1
	s_and_saveexec_b64 s[8:9], vcc
	s_cbranch_execz .LBB549_174
; %bb.171:
	v_bfe_u32 v52, v40, 16, 7
	s_movk_i32 s10, 0x7f
	v_cmp_ne_u32_e32 vcc, s10, v52
	v_mov_b32_e32 v39, 0x7f800001
	s_and_saveexec_b64 s[10:11], vcc
	s_cbranch_execz .LBB549_173
; %bb.172:
	v_and_b32_e32 v54, 7, v38
	v_ffbh_u32_e32 v39, v54
	v_min_u32_e32 v56, 32, v39
	v_subrev_u32_e32 v39, 28, v56
	v_lshlrev_b64 v[38:39], v39, v[38:39]
	v_lshrrev_b32_e32 v55, 3, v52
	v_sub_u32_e32 v39, 29, v56
	v_and_b32_e32 v38, 7, v38
	v_cmp_gt_u32_e32 vcc, 8, v52
	v_mov_b32_e32 v52, 24
	v_cndmask_b32_e32 v39, v55, v39, vcc
	v_cndmask_b32_e32 v38, v54, v38, vcc
	v_lshlrev_b32_sdwa v52, v52, v40 dst_sel:DWORD dst_unused:UNUSED_PAD src0_sel:DWORD src1_sel:WORD_1
	v_bfrev_b32_e32 v54, 60
	v_lshlrev_b32_e32 v38, 20, v38
	v_and_b32_e32 v52, 0x80000000, v52
	v_lshl_add_u32 v39, v39, 23, v54
	v_or3_b32 v39, v52, v39, v38
.LBB549_173:
	s_or_b64 exec, exec, s[10:11]
.LBB549_174:
	s_or_b64 exec, exec, s[8:9]
.LBB549_175:
	s_or_b64 exec, exec, s[2:3]
	s_mov_b32 s2, 0xffffff
	v_cmp_lt_u32_e32 vcc, s2, v40
	v_mov_b32_e32 v54, 0
	v_mov_b32_e32 v55, 0
	s_and_saveexec_b64 s[2:3], vcc
	s_cbranch_execz .LBB549_181
; %bb.176:
	v_lshrrev_b32_e32 v38, 24, v40
	s_movk_i32 s8, 0x80
	v_cmp_ne_u32_e32 vcc, s8, v38
	v_bfrev_b32_e32 v55, 1
	s_and_saveexec_b64 s[8:9], vcc
	s_cbranch_execz .LBB549_180
; %bb.177:
	v_bfe_u32 v40, v40, 24, 7
	s_movk_i32 s10, 0x7f
	v_cmp_ne_u32_e32 vcc, s10, v40
	v_mov_b32_e32 v55, 0x7f800001
	s_and_saveexec_b64 s[10:11], vcc
	s_cbranch_execz .LBB549_179
; %bb.178:
	v_and_b32_e32 v52, 7, v38
	v_ffbh_u32_e32 v56, v52
	v_min_u32_e32 v58, 32, v56
	v_subrev_u32_e32 v56, 28, v58
	v_lshlrev_b64 v[56:57], v56, v[38:39]
	v_lshrrev_b32_e32 v55, 3, v40
	v_sub_u32_e32 v57, 29, v58
	v_and_b32_e32 v56, 7, v56
	v_cmp_gt_u32_e32 vcc, 8, v40
	v_cndmask_b32_e32 v40, v55, v57, vcc
	v_cndmask_b32_e32 v52, v52, v56, vcc
	v_lshlrev_b32_e32 v38, 24, v38
	v_bfrev_b32_e32 v55, 60
	v_lshlrev_b32_e32 v52, 20, v52
	v_and_b32_e32 v38, 0x80000000, v38
	v_lshl_add_u32 v40, v40, 23, v55
	v_or3_b32 v55, v38, v40, v52
.LBB549_179:
	s_or_b64 exec, exec, s[10:11]
.LBB549_180:
	s_or_b64 exec, exec, s[8:9]
.LBB549_181:
	s_or_b64 exec, exec, s[2:3]
	v_cmp_ne_u16_sdwa s[8:9], v41, v54 src0_sel:BYTE_0 src1_sel:DWORD
	s_and_saveexec_b64 s[2:3], s[8:9]
	s_cbranch_execz .LBB549_187
; %bb.182:
	s_movk_i32 s8, 0x80
	v_cmp_ne_u16_sdwa s[10:11], v41, s8 src0_sel:BYTE_0 src1_sel:DWORD
	v_bfrev_b32_e32 v54, 1
	s_and_saveexec_b64 s[8:9], s[10:11]
	s_cbranch_execz .LBB549_186
; %bb.183:
	s_movk_i32 s10, 0x7f
	v_and_b32_e32 v38, 0x7f, v41
	v_cmp_ne_u32_e32 vcc, s10, v38
	v_mov_b32_e32 v54, 0x7f800001
	s_and_saveexec_b64 s[10:11], vcc
	s_cbranch_execz .LBB549_185
; %bb.184:
	v_and_b32_e32 v52, 7, v41
	v_ffbh_u32_e32 v56, v52
	v_min_u32_e32 v58, 32, v56
	v_mov_b32_e32 v40, v41
	v_subrev_u32_e32 v56, 28, v58
	v_lshlrev_b64 v[56:57], v56, v[40:41]
	v_lshrrev_b32_e32 v54, 3, v38
	v_sub_u32_e32 v40, 29, v58
	v_and_b32_e32 v56, 7, v56
	v_cmp_gt_u32_e32 vcc, 8, v38
	v_cndmask_b32_e32 v38, v54, v40, vcc
	v_cndmask_b32_e32 v40, v52, v56, vcc
	v_lshlrev_b32_e32 v52, 24, v41
	v_bfrev_b32_e32 v54, 60
	v_lshlrev_b32_e32 v40, 20, v40
	v_and_b32_e32 v52, 0x80000000, v52
	v_lshl_add_u32 v38, v38, 23, v54
	v_or3_b32 v54, v52, v38, v40
.LBB549_185:
	s_or_b64 exec, exec, s[10:11]
.LBB549_186:
	s_or_b64 exec, exec, s[8:9]
.LBB549_187:
	s_or_b64 exec, exec, s[2:3]
	v_lshrrev_b16_e32 v38, 8, v41
	v_cmp_ne_u16_e32 vcc, 0, v38
	v_mov_b32_e32 v40, 0
	v_mov_b32_e32 v56, 0
	s_and_saveexec_b64 s[2:3], vcc
	s_cbranch_execz .LBB549_193
; %bb.188:
	s_movk_i32 s8, 0x80
	v_cmp_ne_u16_e32 vcc, s8, v38
	v_bfrev_b32_e32 v56, 1
	s_and_saveexec_b64 s[8:9], vcc
	s_cbranch_execz .LBB549_192
; %bb.189:
	s_movk_i32 s10, 0x7f
	v_and_b32_e32 v52, 0x7f, v38
	v_cmp_ne_u32_e32 vcc, s10, v52
	v_mov_b32_e32 v56, 0x7f800001
	s_and_saveexec_b64 s[10:11], vcc
	s_cbranch_execz .LBB549_191
; %bb.190:
	v_and_b32_e32 v58, 7, v38
	v_ffbh_u32_e32 v56, v58
	v_min_u32_e32 v60, 32, v56
	v_subrev_u32_e32 v56, 28, v60
	v_lshlrev_b64 v[56:57], v56, v[38:39]
	v_lshrrev_b32_e32 v59, 3, v52
	v_sub_u32_e32 v38, 29, v60
	v_and_b32_e32 v56, 7, v56
	v_cmp_gt_u32_e32 vcc, 8, v52
	v_cndmask_b32_e32 v38, v59, v38, vcc
	v_cndmask_b32_e32 v52, v58, v56, vcc
	v_lshlrev_b32_e32 v56, 16, v41
	v_bfrev_b32_e32 v57, 60
	v_lshlrev_b32_e32 v52, 20, v52
	v_and_b32_e32 v56, 0x80000000, v56
	v_lshl_add_u32 v38, v38, 23, v57
	v_or3_b32 v56, v56, v38, v52
.LBB549_191:
	s_or_b64 exec, exec, s[10:11]
.LBB549_192:
	s_or_b64 exec, exec, s[8:9]
.LBB549_193:
	s_or_b64 exec, exec, s[2:3]
	s_movk_i32 s2, 0xff
	v_and_b32_sdwa v52, v41, s2 dst_sel:DWORD dst_unused:UNUSED_PAD src0_sel:WORD_1 src1_sel:DWORD
	v_lshrrev_b32_e32 v38, 16, v41
	v_cmp_ne_u16_e32 vcc, 0, v52
	s_and_saveexec_b64 s[2:3], vcc
	s_cbranch_execz .LBB549_199
; %bb.194:
	s_movk_i32 s8, 0x80
	v_cmp_ne_u16_e32 vcc, s8, v52
	v_bfrev_b32_e32 v40, 1
	s_and_saveexec_b64 s[8:9], vcc
	s_cbranch_execz .LBB549_198
; %bb.195:
	v_bfe_u32 v52, v41, 16, 7
	s_movk_i32 s10, 0x7f
	v_cmp_ne_u32_e32 vcc, s10, v52
	v_mov_b32_e32 v40, 0x7f800001
	s_and_saveexec_b64 s[10:11], vcc
	s_cbranch_execz .LBB549_197
; %bb.196:
	v_and_b32_e32 v40, 7, v38
	v_ffbh_u32_e32 v58, v40
	v_min_u32_e32 v60, 32, v58
	v_subrev_u32_e32 v58, 28, v60
	v_lshlrev_b64 v[58:59], v58, v[38:39]
	v_lshrrev_b32_e32 v57, 3, v52
	v_sub_u32_e32 v38, 29, v60
	v_and_b32_e32 v58, 7, v58
	v_cmp_gt_u32_e32 vcc, 8, v52
	v_mov_b32_e32 v52, 24
	v_cndmask_b32_e32 v38, v57, v38, vcc
	v_cndmask_b32_e32 v40, v40, v58, vcc
	v_lshlrev_b32_sdwa v52, v52, v41 dst_sel:DWORD dst_unused:UNUSED_PAD src0_sel:DWORD src1_sel:WORD_1
	v_bfrev_b32_e32 v57, 60
	v_lshlrev_b32_e32 v40, 20, v40
	v_and_b32_e32 v52, 0x80000000, v52
	v_lshl_add_u32 v38, v38, 23, v57
	v_or3_b32 v40, v52, v38, v40
.LBB549_197:
	s_or_b64 exec, exec, s[10:11]
.LBB549_198:
	s_or_b64 exec, exec, s[8:9]
.LBB549_199:
	s_or_b64 exec, exec, s[2:3]
	s_mov_b32 s2, 0xffffff
	v_cmp_lt_u32_e32 vcc, s2, v41
	v_mov_b32_e32 v52, 0
	v_mov_b32_e32 v57, 0
	s_and_saveexec_b64 s[2:3], vcc
	s_cbranch_execz .LBB549_205
; %bb.200:
	v_lshrrev_b32_e32 v38, 24, v41
	s_movk_i32 s8, 0x80
	v_cmp_ne_u32_e32 vcc, s8, v38
	v_bfrev_b32_e32 v57, 1
	s_and_saveexec_b64 s[8:9], vcc
	s_cbranch_execz .LBB549_204
; %bb.201:
	v_bfe_u32 v41, v41, 24, 7
	s_movk_i32 s10, 0x7f
	v_cmp_ne_u32_e32 vcc, s10, v41
	v_mov_b32_e32 v57, 0x7f800001
	s_and_saveexec_b64 s[10:11], vcc
	s_cbranch_execz .LBB549_203
; %bb.202:
	v_and_b32_e32 v57, 7, v38
	v_ffbh_u32_e32 v58, v57
	v_min_u32_e32 v61, 32, v58
	v_subrev_u32_e32 v58, 28, v61
	v_lshlrev_b64 v[58:59], v58, v[38:39]
	v_lshrrev_b32_e32 v60, 3, v41
	v_sub_u32_e32 v59, 29, v61
	v_and_b32_e32 v58, 7, v58
	v_cmp_gt_u32_e32 vcc, 8, v41
	v_cndmask_b32_e32 v41, v60, v59, vcc
	v_cndmask_b32_e32 v57, v57, v58, vcc
	v_lshlrev_b32_e32 v38, 24, v38
	v_bfrev_b32_e32 v58, 60
	v_lshlrev_b32_e32 v57, 20, v57
	v_and_b32_e32 v38, 0x80000000, v38
	v_lshl_add_u32 v41, v41, 23, v58
	v_or3_b32 v57, v38, v41, v57
.LBB549_203:
	s_or_b64 exec, exec, s[10:11]
.LBB549_204:
	s_or_b64 exec, exec, s[8:9]
.LBB549_205:
	s_or_b64 exec, exec, s[2:3]
	v_cvt_pkrtz_f16_f32 v38, v51, v53
	v_cvt_pkrtz_f16_f32 v39, v39, v55
	v_cmp_ne_u16_sdwa s[8:9], v30, v52 src0_sel:BYTE_0 src1_sel:DWORD
	s_nop 0
	v_mfma_f32_16x16x16f16 v[42:45], v[38:39], v[18:19], v[42:45]
	v_cvt_pkrtz_f16_f32 v38, v54, v56
	v_cvt_pkrtz_f16_f32 v39, v40, v57
	s_nop 1
	v_mfma_f32_16x16x16f16 v[38:41], v[38:39], v[20:21], v[42:45]
	s_and_saveexec_b64 s[2:3], s[8:9]
	s_cbranch_execz .LBB549_211
; %bb.206:
	s_movk_i32 s8, 0x80
	v_cmp_ne_u16_sdwa s[10:11], v30, s8 src0_sel:BYTE_0 src1_sel:DWORD
	v_bfrev_b32_e32 v52, 1
	s_and_saveexec_b64 s[8:9], s[10:11]
	s_cbranch_execz .LBB549_210
; %bb.207:
	s_movk_i32 s10, 0x7f
	v_and_b32_e32 v42, 0x7f, v30
	v_cmp_ne_u32_e32 vcc, s10, v42
	v_mov_b32_e32 v52, 0x7f800001
	s_and_saveexec_b64 s[10:11], vcc
	s_cbranch_execz .LBB549_209
; %bb.208:
	v_and_b32_e32 v43, 7, v30
	v_ffbh_u32_e32 v44, v43
	v_min_u32_e32 v52, 32, v44
	v_subrev_u32_e32 v44, 28, v52
	v_lshlrev_b64 v[44:45], v44, v[30:31]
	v_lshrrev_b32_e32 v51, 3, v42
	v_sub_u32_e32 v45, 29, v52
	v_and_b32_e32 v44, 7, v44
	v_cmp_gt_u32_e32 vcc, 8, v42
	v_cndmask_b32_e32 v42, v51, v45, vcc
	v_cndmask_b32_e32 v43, v43, v44, vcc
	v_lshlrev_b32_e32 v44, 24, v30
	v_bfrev_b32_e32 v45, 60
	v_lshlrev_b32_e32 v43, 20, v43
	v_and_b32_e32 v44, 0x80000000, v44
	v_lshl_add_u32 v42, v42, 23, v45
	v_or3_b32 v52, v44, v42, v43
.LBB549_209:
	s_or_b64 exec, exec, s[10:11]
.LBB549_210:
	s_or_b64 exec, exec, s[8:9]
.LBB549_211:
	s_or_b64 exec, exec, s[2:3]
	s_nop 3
	v_lshrrev_b16_e32 v42, 8, v30
	v_cmp_ne_u16_e32 vcc, 0, v42
	v_mov_b32_e32 v43, 0
	v_mov_b32_e32 v44, 0
	s_and_saveexec_b64 s[2:3], vcc
	s_cbranch_execz .LBB549_217
; %bb.212:
	s_movk_i32 s8, 0x80
	v_cmp_ne_u16_e32 vcc, s8, v42
	v_bfrev_b32_e32 v44, 1
	s_and_saveexec_b64 s[8:9], vcc
	s_cbranch_execz .LBB549_216
; %bb.213:
	s_movk_i32 s10, 0x7f
	v_and_b32_e32 v45, 0x7f, v42
	v_cmp_ne_u32_e32 vcc, s10, v45
	v_mov_b32_e32 v44, 0x7f800001
	s_and_saveexec_b64 s[10:11], vcc
	s_cbranch_execz .LBB549_215
; %bb.214:
	v_and_b32_e32 v44, 7, v42
	v_ffbh_u32_e32 v53, v44
	v_min_u32_e32 v53, 32, v53
	v_subrev_u32_e32 v54, 28, v53
	v_lshlrev_b64 v[54:55], v54, v[42:43]
	v_lshrrev_b32_e32 v51, 3, v45
	v_sub_u32_e32 v42, 29, v53
	v_and_b32_e32 v53, 7, v54
	v_cmp_gt_u32_e32 vcc, 8, v45
	v_cndmask_b32_e32 v42, v51, v42, vcc
	v_cndmask_b32_e32 v44, v44, v53, vcc
	v_lshlrev_b32_e32 v45, 16, v30
	v_bfrev_b32_e32 v51, 60
	v_lshlrev_b32_e32 v44, 20, v44
	v_and_b32_e32 v45, 0x80000000, v45
	v_lshl_add_u32 v42, v42, 23, v51
	v_or3_b32 v44, v45, v42, v44
.LBB549_215:
	s_or_b64 exec, exec, s[10:11]
.LBB549_216:
	s_or_b64 exec, exec, s[8:9]
.LBB549_217:
	s_or_b64 exec, exec, s[2:3]
	s_movk_i32 s2, 0xff
	v_and_b32_sdwa v45, v30, s2 dst_sel:DWORD dst_unused:UNUSED_PAD src0_sel:WORD_1 src1_sel:DWORD
	v_lshrrev_b32_e32 v42, 16, v30
	v_cmp_ne_u16_e32 vcc, 0, v45
	s_and_saveexec_b64 s[2:3], vcc
	s_cbranch_execz .LBB549_223
; %bb.218:
	s_movk_i32 s8, 0x80
	v_cmp_ne_u16_e32 vcc, s8, v45
	v_bfrev_b32_e32 v43, 1
	s_and_saveexec_b64 s[8:9], vcc
	s_cbranch_execz .LBB549_222
; %bb.219:
	v_bfe_u32 v45, v30, 16, 7
	s_movk_i32 s10, 0x7f
	v_cmp_ne_u32_e32 vcc, s10, v45
	v_mov_b32_e32 v43, 0x7f800001
	s_and_saveexec_b64 s[10:11], vcc
	s_cbranch_execz .LBB549_221
; %bb.220:
	v_and_b32_e32 v51, 7, v42
	v_ffbh_u32_e32 v43, v51
	v_min_u32_e32 v54, 32, v43
	v_subrev_u32_e32 v43, 28, v54
	v_lshlrev_b64 v[42:43], v43, v[42:43]
	v_lshrrev_b32_e32 v53, 3, v45
	v_sub_u32_e32 v43, 29, v54
	v_and_b32_e32 v42, 7, v42
	v_cmp_gt_u32_e32 vcc, 8, v45
	v_mov_b32_e32 v45, 24
	v_cndmask_b32_e32 v43, v53, v43, vcc
	v_cndmask_b32_e32 v42, v51, v42, vcc
	v_lshlrev_b32_sdwa v45, v45, v30 dst_sel:DWORD dst_unused:UNUSED_PAD src0_sel:DWORD src1_sel:WORD_1
	v_bfrev_b32_e32 v51, 60
	v_lshlrev_b32_e32 v42, 20, v42
	v_and_b32_e32 v45, 0x80000000, v45
	v_lshl_add_u32 v43, v43, 23, v51
	v_or3_b32 v43, v45, v43, v42
.LBB549_221:
	s_or_b64 exec, exec, s[10:11]
.LBB549_222:
	s_or_b64 exec, exec, s[8:9]
.LBB549_223:
	s_or_b64 exec, exec, s[2:3]
	s_mov_b32 s2, 0xffffff
	v_cmp_lt_u32_e32 vcc, s2, v30
	v_mov_b32_e32 v45, 0
	v_mov_b32_e32 v53, 0
	s_and_saveexec_b64 s[2:3], vcc
	s_cbranch_execz .LBB549_229
; %bb.224:
	v_lshrrev_b32_e32 v42, 24, v30
	s_movk_i32 s8, 0x80
	v_cmp_ne_u32_e32 vcc, s8, v42
	v_bfrev_b32_e32 v53, 1
	s_and_saveexec_b64 s[8:9], vcc
	s_cbranch_execz .LBB549_228
; %bb.225:
	v_bfe_u32 v30, v30, 24, 7
	s_movk_i32 s10, 0x7f
	v_cmp_ne_u32_e32 vcc, s10, v30
	v_mov_b32_e32 v53, 0x7f800001
	s_and_saveexec_b64 s[10:11], vcc
	s_cbranch_execz .LBB549_227
; %bb.226:
	v_and_b32_e32 v51, 7, v42
	v_ffbh_u32_e32 v54, v51
	v_min_u32_e32 v56, 32, v54
	v_subrev_u32_e32 v54, 28, v56
	v_lshlrev_b64 v[54:55], v54, v[42:43]
	v_lshrrev_b32_e32 v53, 3, v30
	v_sub_u32_e32 v55, 29, v56
	v_and_b32_e32 v54, 7, v54
	v_cmp_gt_u32_e32 vcc, 8, v30
	v_cndmask_b32_e32 v30, v53, v55, vcc
	v_cndmask_b32_e32 v51, v51, v54, vcc
	v_lshlrev_b32_e32 v42, 24, v42
	v_bfrev_b32_e32 v53, 60
	v_lshlrev_b32_e32 v51, 20, v51
	v_and_b32_e32 v42, 0x80000000, v42
	v_lshl_add_u32 v30, v30, 23, v53
	v_or3_b32 v53, v42, v30, v51
.LBB549_227:
	s_or_b64 exec, exec, s[10:11]
.LBB549_228:
	s_or_b64 exec, exec, s[8:9]
.LBB549_229:
	s_or_b64 exec, exec, s[2:3]
	v_cmp_ne_u16_sdwa s[8:9], v31, v45 src0_sel:BYTE_0 src1_sel:DWORD
	s_and_saveexec_b64 s[2:3], s[8:9]
	s_cbranch_execz .LBB549_235
; %bb.230:
	s_movk_i32 s8, 0x80
	v_cmp_ne_u16_sdwa s[10:11], v31, s8 src0_sel:BYTE_0 src1_sel:DWORD
	v_bfrev_b32_e32 v45, 1
	s_and_saveexec_b64 s[8:9], s[10:11]
	s_cbranch_execz .LBB549_234
; %bb.231:
	s_movk_i32 s10, 0x7f
	v_and_b32_e32 v30, 0x7f, v31
	v_cmp_ne_u32_e32 vcc, s10, v30
	v_mov_b32_e32 v45, 0x7f800001
	s_and_saveexec_b64 s[10:11], vcc
	s_cbranch_execz .LBB549_233
; %bb.232:
	v_and_b32_e32 v45, 7, v31
	v_ffbh_u32_e32 v54, v45
	v_min_u32_e32 v56, 32, v54
	v_mov_b32_e32 v42, v31
	v_subrev_u32_e32 v54, 28, v56
	v_lshlrev_b64 v[54:55], v54, v[42:43]
	v_lshrrev_b32_e32 v51, 3, v30
	v_sub_u32_e32 v42, 29, v56
	v_and_b32_e32 v54, 7, v54
	v_cmp_gt_u32_e32 vcc, 8, v30
	v_cndmask_b32_e32 v30, v51, v42, vcc
	v_cndmask_b32_e32 v42, v45, v54, vcc
	v_lshlrev_b32_e32 v45, 24, v31
	v_bfrev_b32_e32 v51, 60
	v_lshlrev_b32_e32 v42, 20, v42
	v_and_b32_e32 v45, 0x80000000, v45
	v_lshl_add_u32 v30, v30, 23, v51
	v_or3_b32 v45, v45, v30, v42
.LBB549_233:
	s_or_b64 exec, exec, s[10:11]
.LBB549_234:
	s_or_b64 exec, exec, s[8:9]
.LBB549_235:
	s_or_b64 exec, exec, s[2:3]
	v_lshrrev_b16_e32 v30, 8, v31
	v_cmp_ne_u16_e32 vcc, 0, v30
	v_mov_b32_e32 v42, 0
	v_mov_b32_e32 v54, 0
	s_and_saveexec_b64 s[2:3], vcc
	s_cbranch_execz .LBB549_241
; %bb.236:
	s_movk_i32 s8, 0x80
	v_cmp_ne_u16_e32 vcc, s8, v30
	v_bfrev_b32_e32 v54, 1
	s_and_saveexec_b64 s[8:9], vcc
	s_cbranch_execz .LBB549_240
; %bb.237:
	s_movk_i32 s10, 0x7f
	v_and_b32_e32 v51, 0x7f, v30
	v_cmp_ne_u32_e32 vcc, s10, v51
	v_mov_b32_e32 v54, 0x7f800001
	s_and_saveexec_b64 s[10:11], vcc
	s_cbranch_execz .LBB549_239
; %bb.238:
	v_and_b32_e32 v56, 7, v30
	v_ffbh_u32_e32 v54, v56
	v_min_u32_e32 v58, 32, v54
	v_subrev_u32_e32 v54, 28, v58
	v_lshlrev_b64 v[54:55], v54, v[30:31]
	v_lshrrev_b32_e32 v57, 3, v51
	v_sub_u32_e32 v30, 29, v58
	v_and_b32_e32 v54, 7, v54
	v_cmp_gt_u32_e32 vcc, 8, v51
	v_cndmask_b32_e32 v30, v57, v30, vcc
	v_cndmask_b32_e32 v51, v56, v54, vcc
	v_lshlrev_b32_e32 v54, 16, v31
	v_bfrev_b32_e32 v55, 60
	v_lshlrev_b32_e32 v51, 20, v51
	v_and_b32_e32 v54, 0x80000000, v54
	v_lshl_add_u32 v30, v30, 23, v55
	v_or3_b32 v54, v54, v30, v51
.LBB549_239:
	s_or_b64 exec, exec, s[10:11]
.LBB549_240:
	s_or_b64 exec, exec, s[8:9]
.LBB549_241:
	s_or_b64 exec, exec, s[2:3]
	s_movk_i32 s2, 0xff
	v_and_b32_sdwa v51, v31, s2 dst_sel:DWORD dst_unused:UNUSED_PAD src0_sel:WORD_1 src1_sel:DWORD
	v_lshrrev_b32_e32 v30, 16, v31
	v_cmp_ne_u16_e32 vcc, 0, v51
	s_and_saveexec_b64 s[2:3], vcc
	s_cbranch_execz .LBB549_247
; %bb.242:
	s_movk_i32 s8, 0x80
	v_cmp_ne_u16_e32 vcc, s8, v51
	v_bfrev_b32_e32 v42, 1
	s_and_saveexec_b64 s[8:9], vcc
	s_cbranch_execz .LBB549_246
; %bb.243:
	v_bfe_u32 v51, v31, 16, 7
	s_movk_i32 s10, 0x7f
	v_cmp_ne_u32_e32 vcc, s10, v51
	v_mov_b32_e32 v42, 0x7f800001
	s_and_saveexec_b64 s[10:11], vcc
	s_cbranch_execz .LBB549_245
; %bb.244:
	v_and_b32_e32 v42, 7, v30
	v_ffbh_u32_e32 v56, v42
	v_min_u32_e32 v58, 32, v56
	v_subrev_u32_e32 v56, 28, v58
	v_lshlrev_b64 v[56:57], v56, v[30:31]
	v_lshrrev_b32_e32 v55, 3, v51
	v_sub_u32_e32 v30, 29, v58
	v_and_b32_e32 v56, 7, v56
	v_cmp_gt_u32_e32 vcc, 8, v51
	v_mov_b32_e32 v51, 24
	v_cndmask_b32_e32 v30, v55, v30, vcc
	v_cndmask_b32_e32 v42, v42, v56, vcc
	v_lshlrev_b32_sdwa v51, v51, v31 dst_sel:DWORD dst_unused:UNUSED_PAD src0_sel:DWORD src1_sel:WORD_1
	v_bfrev_b32_e32 v55, 60
	v_lshlrev_b32_e32 v42, 20, v42
	v_and_b32_e32 v51, 0x80000000, v51
	v_lshl_add_u32 v30, v30, 23, v55
	v_or3_b32 v42, v51, v30, v42
.LBB549_245:
	s_or_b64 exec, exec, s[10:11]
.LBB549_246:
	s_or_b64 exec, exec, s[8:9]
.LBB549_247:
	s_or_b64 exec, exec, s[2:3]
	s_mov_b32 s2, 0xffffff
	v_cmp_lt_u32_e32 vcc, s2, v31
	v_mov_b32_e32 v51, 0
	v_mov_b32_e32 v55, 0
	s_and_saveexec_b64 s[2:3], vcc
	s_cbranch_execz .LBB549_253
; %bb.248:
	v_lshrrev_b32_e32 v30, 24, v31
	s_movk_i32 s8, 0x80
	v_cmp_ne_u32_e32 vcc, s8, v30
	v_bfrev_b32_e32 v55, 1
	s_and_saveexec_b64 s[8:9], vcc
	s_cbranch_execz .LBB549_252
; %bb.249:
	v_bfe_u32 v31, v31, 24, 7
	s_movk_i32 s10, 0x7f
	v_cmp_ne_u32_e32 vcc, s10, v31
	v_mov_b32_e32 v55, 0x7f800001
	s_and_saveexec_b64 s[10:11], vcc
	s_cbranch_execz .LBB549_251
; %bb.250:
	v_and_b32_e32 v55, 7, v30
	v_ffbh_u32_e32 v56, v55
	v_min_u32_e32 v59, 32, v56
	v_subrev_u32_e32 v56, 28, v59
	v_lshlrev_b64 v[56:57], v56, v[30:31]
	v_lshrrev_b32_e32 v58, 3, v31
	v_sub_u32_e32 v57, 29, v59
	v_and_b32_e32 v56, 7, v56
	v_cmp_gt_u32_e32 vcc, 8, v31
	v_cndmask_b32_e32 v31, v58, v57, vcc
	v_cndmask_b32_e32 v55, v55, v56, vcc
	v_lshlrev_b32_e32 v30, 24, v30
	v_bfrev_b32_e32 v56, 60
	v_lshlrev_b32_e32 v55, 20, v55
	v_and_b32_e32 v30, 0x80000000, v30
	v_lshl_add_u32 v31, v31, 23, v56
	v_or3_b32 v55, v30, v31, v55
.LBB549_251:
	s_or_b64 exec, exec, s[10:11]
.LBB549_252:
	s_or_b64 exec, exec, s[8:9]
.LBB549_253:
	s_or_b64 exec, exec, s[2:3]
	v_cvt_pkrtz_f16_f32 v30, v52, v44
	v_cvt_pkrtz_f16_f32 v31, v43, v53
	v_cmp_ne_u16_sdwa s[8:9], v32, v51 src0_sel:BYTE_0 src1_sel:DWORD
	s_nop 0
	v_mfma_f32_16x16x16f16 v[56:59], v[30:31], v[26:27], 0
	v_cvt_pkrtz_f16_f32 v30, v45, v54
	v_cvt_pkrtz_f16_f32 v31, v42, v55
	s_nop 1
	v_mfma_f32_16x16x16f16 v[42:45], v[30:31], v[28:29], v[56:59]
	s_and_saveexec_b64 s[2:3], s[8:9]
	s_cbranch_execz .LBB549_259
; %bb.254:
	s_movk_i32 s8, 0x80
	v_cmp_ne_u16_sdwa s[10:11], v32, s8 src0_sel:BYTE_0 src1_sel:DWORD
	v_bfrev_b32_e32 v51, 1
	s_and_saveexec_b64 s[8:9], s[10:11]
	s_cbranch_execz .LBB549_258
; %bb.255:
	s_movk_i32 s10, 0x7f
	v_and_b32_e32 v30, 0x7f, v32
	v_cmp_ne_u32_e32 vcc, s10, v30
	v_mov_b32_e32 v51, 0x7f800001
	s_and_saveexec_b64 s[10:11], vcc
	s_cbranch_execz .LBB549_257
; %bb.256:
	v_and_b32_e32 v31, 7, v32
	v_ffbh_u32_e32 v52, v31
	v_min_u32_e32 v54, 32, v52
	v_subrev_u32_e32 v52, 28, v54
	v_lshlrev_b64 v[52:53], v52, v[32:33]
	v_lshrrev_b32_e32 v51, 3, v30
	v_sub_u32_e32 v53, 29, v54
	v_and_b32_e32 v52, 7, v52
	v_cmp_gt_u32_e32 vcc, 8, v30
	v_cndmask_b32_e32 v30, v51, v53, vcc
	v_cndmask_b32_e32 v31, v31, v52, vcc
	v_lshlrev_b32_e32 v51, 24, v32
	v_bfrev_b32_e32 v52, 60
	v_lshlrev_b32_e32 v31, 20, v31
	v_and_b32_e32 v51, 0x80000000, v51
	v_lshl_add_u32 v30, v30, 23, v52
	v_or3_b32 v51, v51, v30, v31
.LBB549_257:
	s_or_b64 exec, exec, s[10:11]
.LBB549_258:
	s_or_b64 exec, exec, s[8:9]
.LBB549_259:
	s_or_b64 exec, exec, s[2:3]
	v_lshrrev_b16_e32 v30, 8, v32
	v_cmp_ne_u16_e32 vcc, 0, v30
	v_mov_b32_e32 v31, 0
	v_mov_b32_e32 v53, 0
	s_and_saveexec_b64 s[2:3], vcc
	s_cbranch_execz .LBB549_265
; %bb.260:
	s_movk_i32 s8, 0x80
	v_cmp_ne_u16_e32 vcc, s8, v30
	v_bfrev_b32_e32 v53, 1
	s_and_saveexec_b64 s[8:9], vcc
	s_cbranch_execz .LBB549_264
; %bb.261:
	s_movk_i32 s10, 0x7f
	v_and_b32_e32 v52, 0x7f, v30
	v_cmp_ne_u32_e32 vcc, s10, v52
	v_mov_b32_e32 v53, 0x7f800001
	s_and_saveexec_b64 s[10:11], vcc
	s_cbranch_execz .LBB549_263
; %bb.262:
	v_and_b32_e32 v53, 7, v30
	v_ffbh_u32_e32 v54, v53
	v_min_u32_e32 v57, 32, v54
	v_subrev_u32_e32 v54, 28, v57
	v_lshlrev_b64 v[54:55], v54, v[30:31]
	v_lshrrev_b32_e32 v56, 3, v52
	v_sub_u32_e32 v30, 29, v57
	v_and_b32_e32 v54, 7, v54
	v_cmp_gt_u32_e32 vcc, 8, v52
	v_cndmask_b32_e32 v30, v56, v30, vcc
	v_cndmask_b32_e32 v52, v53, v54, vcc
	v_lshlrev_b32_e32 v53, 16, v32
	v_bfrev_b32_e32 v54, 60
	v_lshlrev_b32_e32 v52, 20, v52
	v_and_b32_e32 v53, 0x80000000, v53
	v_lshl_add_u32 v30, v30, 23, v54
	v_or3_b32 v53, v53, v30, v52
.LBB549_263:
	s_or_b64 exec, exec, s[10:11]
.LBB549_264:
	s_or_b64 exec, exec, s[8:9]
.LBB549_265:
	s_or_b64 exec, exec, s[2:3]
	s_movk_i32 s2, 0xff
	v_and_b32_sdwa v52, v32, s2 dst_sel:DWORD dst_unused:UNUSED_PAD src0_sel:WORD_1 src1_sel:DWORD
	v_lshrrev_b32_e32 v30, 16, v32
	v_cmp_ne_u16_e32 vcc, 0, v52
	s_and_saveexec_b64 s[2:3], vcc
	s_cbranch_execz .LBB549_271
; %bb.266:
	s_movk_i32 s8, 0x80
	v_cmp_ne_u16_e32 vcc, s8, v52
	v_bfrev_b32_e32 v31, 1
	s_and_saveexec_b64 s[8:9], vcc
	s_cbranch_execz .LBB549_270
; %bb.267:
	v_bfe_u32 v52, v32, 16, 7
	s_movk_i32 s10, 0x7f
	v_cmp_ne_u32_e32 vcc, s10, v52
	v_mov_b32_e32 v31, 0x7f800001
	s_and_saveexec_b64 s[10:11], vcc
	s_cbranch_execz .LBB549_269
; %bb.268:
	v_and_b32_e32 v54, 7, v30
	v_ffbh_u32_e32 v31, v54
	v_min_u32_e32 v56, 32, v31
	v_subrev_u32_e32 v31, 28, v56
	v_lshlrev_b64 v[30:31], v31, v[30:31]
	v_lshrrev_b32_e32 v55, 3, v52
	v_sub_u32_e32 v31, 29, v56
	v_and_b32_e32 v30, 7, v30
	v_cmp_gt_u32_e32 vcc, 8, v52
	v_mov_b32_e32 v52, 24
	v_cndmask_b32_e32 v31, v55, v31, vcc
	v_cndmask_b32_e32 v30, v54, v30, vcc
	v_lshlrev_b32_sdwa v52, v52, v32 dst_sel:DWORD dst_unused:UNUSED_PAD src0_sel:DWORD src1_sel:WORD_1
	v_bfrev_b32_e32 v54, 60
	v_lshlrev_b32_e32 v30, 20, v30
	v_and_b32_e32 v52, 0x80000000, v52
	v_lshl_add_u32 v31, v31, 23, v54
	v_or3_b32 v31, v52, v31, v30
.LBB549_269:
	s_or_b64 exec, exec, s[10:11]
.LBB549_270:
	s_or_b64 exec, exec, s[8:9]
.LBB549_271:
	s_or_b64 exec, exec, s[2:3]
	s_mov_b32 s2, 0xffffff
	v_cmp_lt_u32_e32 vcc, s2, v32
	v_mov_b32_e32 v54, 0
	v_mov_b32_e32 v55, 0
	s_and_saveexec_b64 s[2:3], vcc
	s_cbranch_execz .LBB549_277
; %bb.272:
	v_lshrrev_b32_e32 v30, 24, v32
	s_movk_i32 s8, 0x80
	v_cmp_ne_u32_e32 vcc, s8, v30
	v_bfrev_b32_e32 v55, 1
	s_and_saveexec_b64 s[8:9], vcc
	s_cbranch_execz .LBB549_276
; %bb.273:
	v_bfe_u32 v32, v32, 24, 7
	s_movk_i32 s10, 0x7f
	v_cmp_ne_u32_e32 vcc, s10, v32
	v_mov_b32_e32 v55, 0x7f800001
	s_and_saveexec_b64 s[10:11], vcc
	s_cbranch_execz .LBB549_275
; %bb.274:
	v_and_b32_e32 v52, 7, v30
	v_ffbh_u32_e32 v56, v52
	v_min_u32_e32 v58, 32, v56
	v_subrev_u32_e32 v56, 28, v58
	v_lshlrev_b64 v[56:57], v56, v[30:31]
	v_lshrrev_b32_e32 v55, 3, v32
	v_sub_u32_e32 v57, 29, v58
	v_and_b32_e32 v56, 7, v56
	v_cmp_gt_u32_e32 vcc, 8, v32
	v_cndmask_b32_e32 v32, v55, v57, vcc
	v_cndmask_b32_e32 v52, v52, v56, vcc
	v_lshlrev_b32_e32 v30, 24, v30
	v_bfrev_b32_e32 v55, 60
	v_lshlrev_b32_e32 v52, 20, v52
	v_and_b32_e32 v30, 0x80000000, v30
	v_lshl_add_u32 v32, v32, 23, v55
	v_or3_b32 v55, v30, v32, v52
.LBB549_275:
	s_or_b64 exec, exec, s[10:11]
.LBB549_276:
	s_or_b64 exec, exec, s[8:9]
.LBB549_277:
	s_or_b64 exec, exec, s[2:3]
	v_cmp_ne_u16_sdwa s[8:9], v33, v54 src0_sel:BYTE_0 src1_sel:DWORD
	s_and_saveexec_b64 s[2:3], s[8:9]
	s_cbranch_execz .LBB549_283
; %bb.278:
	s_movk_i32 s8, 0x80
	v_cmp_ne_u16_sdwa s[10:11], v33, s8 src0_sel:BYTE_0 src1_sel:DWORD
	v_bfrev_b32_e32 v54, 1
	s_and_saveexec_b64 s[8:9], s[10:11]
	s_cbranch_execz .LBB549_282
; %bb.279:
	s_movk_i32 s10, 0x7f
	v_and_b32_e32 v30, 0x7f, v33
	v_cmp_ne_u32_e32 vcc, s10, v30
	v_mov_b32_e32 v54, 0x7f800001
	s_and_saveexec_b64 s[10:11], vcc
	s_cbranch_execz .LBB549_281
; %bb.280:
	v_and_b32_e32 v52, 7, v33
	v_ffbh_u32_e32 v56, v52
	v_min_u32_e32 v58, 32, v56
	v_mov_b32_e32 v32, v33
	v_subrev_u32_e32 v56, 28, v58
	v_lshlrev_b64 v[56:57], v56, v[32:33]
	v_lshrrev_b32_e32 v54, 3, v30
	v_sub_u32_e32 v32, 29, v58
	v_and_b32_e32 v56, 7, v56
	v_cmp_gt_u32_e32 vcc, 8, v30
	v_cndmask_b32_e32 v30, v54, v32, vcc
	v_cndmask_b32_e32 v32, v52, v56, vcc
	v_lshlrev_b32_e32 v52, 24, v33
	v_bfrev_b32_e32 v54, 60
	v_lshlrev_b32_e32 v32, 20, v32
	v_and_b32_e32 v52, 0x80000000, v52
	v_lshl_add_u32 v30, v30, 23, v54
	v_or3_b32 v54, v52, v30, v32
.LBB549_281:
	s_or_b64 exec, exec, s[10:11]
.LBB549_282:
	s_or_b64 exec, exec, s[8:9]
.LBB549_283:
	s_or_b64 exec, exec, s[2:3]
	v_lshrrev_b16_e32 v30, 8, v33
	v_cmp_ne_u16_e32 vcc, 0, v30
	v_mov_b32_e32 v32, 0
	v_mov_b32_e32 v56, 0
	s_and_saveexec_b64 s[2:3], vcc
	s_cbranch_execz .LBB549_289
; %bb.284:
	s_movk_i32 s8, 0x80
	v_cmp_ne_u16_e32 vcc, s8, v30
	v_bfrev_b32_e32 v56, 1
	s_and_saveexec_b64 s[8:9], vcc
	s_cbranch_execz .LBB549_288
; %bb.285:
	s_movk_i32 s10, 0x7f
	v_and_b32_e32 v52, 0x7f, v30
	v_cmp_ne_u32_e32 vcc, s10, v52
	v_mov_b32_e32 v56, 0x7f800001
	s_and_saveexec_b64 s[10:11], vcc
	s_cbranch_execz .LBB549_287
; %bb.286:
	v_and_b32_e32 v58, 7, v30
	v_ffbh_u32_e32 v56, v58
	v_min_u32_e32 v60, 32, v56
	v_subrev_u32_e32 v56, 28, v60
	v_lshlrev_b64 v[56:57], v56, v[30:31]
	v_lshrrev_b32_e32 v59, 3, v52
	v_sub_u32_e32 v30, 29, v60
	v_and_b32_e32 v56, 7, v56
	v_cmp_gt_u32_e32 vcc, 8, v52
	v_cndmask_b32_e32 v30, v59, v30, vcc
	v_cndmask_b32_e32 v52, v58, v56, vcc
	v_lshlrev_b32_e32 v56, 16, v33
	v_bfrev_b32_e32 v57, 60
	v_lshlrev_b32_e32 v52, 20, v52
	v_and_b32_e32 v56, 0x80000000, v56
	v_lshl_add_u32 v30, v30, 23, v57
	v_or3_b32 v56, v56, v30, v52
.LBB549_287:
	s_or_b64 exec, exec, s[10:11]
.LBB549_288:
	s_or_b64 exec, exec, s[8:9]
.LBB549_289:
	s_or_b64 exec, exec, s[2:3]
	s_movk_i32 s2, 0xff
	v_and_b32_sdwa v52, v33, s2 dst_sel:DWORD dst_unused:UNUSED_PAD src0_sel:WORD_1 src1_sel:DWORD
	v_lshrrev_b32_e32 v30, 16, v33
	v_cmp_ne_u16_e32 vcc, 0, v52
	s_and_saveexec_b64 s[2:3], vcc
	s_cbranch_execz .LBB549_295
; %bb.290:
	s_movk_i32 s8, 0x80
	v_cmp_ne_u16_e32 vcc, s8, v52
	v_bfrev_b32_e32 v32, 1
	s_and_saveexec_b64 s[8:9], vcc
	s_cbranch_execz .LBB549_294
; %bb.291:
	v_bfe_u32 v52, v33, 16, 7
	s_movk_i32 s10, 0x7f
	v_cmp_ne_u32_e32 vcc, s10, v52
	v_mov_b32_e32 v32, 0x7f800001
	s_and_saveexec_b64 s[10:11], vcc
	s_cbranch_execz .LBB549_293
; %bb.292:
	v_and_b32_e32 v32, 7, v30
	v_ffbh_u32_e32 v58, v32
	v_min_u32_e32 v60, 32, v58
	v_subrev_u32_e32 v58, 28, v60
	v_lshlrev_b64 v[58:59], v58, v[30:31]
	v_lshrrev_b32_e32 v57, 3, v52
	v_sub_u32_e32 v30, 29, v60
	v_and_b32_e32 v58, 7, v58
	v_cmp_gt_u32_e32 vcc, 8, v52
	v_mov_b32_e32 v52, 24
	v_cndmask_b32_e32 v30, v57, v30, vcc
	v_cndmask_b32_e32 v32, v32, v58, vcc
	v_lshlrev_b32_sdwa v52, v52, v33 dst_sel:DWORD dst_unused:UNUSED_PAD src0_sel:DWORD src1_sel:WORD_1
	v_bfrev_b32_e32 v57, 60
	v_lshlrev_b32_e32 v32, 20, v32
	v_and_b32_e32 v52, 0x80000000, v52
	v_lshl_add_u32 v30, v30, 23, v57
	v_or3_b32 v32, v52, v30, v32
.LBB549_293:
	s_or_b64 exec, exec, s[10:11]
.LBB549_294:
	s_or_b64 exec, exec, s[8:9]
.LBB549_295:
	s_or_b64 exec, exec, s[2:3]
	s_mov_b32 s2, 0xffffff
	v_cmp_lt_u32_e32 vcc, s2, v33
	v_mov_b32_e32 v52, 0
	v_mov_b32_e32 v57, 0
	s_and_saveexec_b64 s[2:3], vcc
	s_cbranch_execz .LBB549_301
; %bb.296:
	v_lshrrev_b32_e32 v30, 24, v33
	s_movk_i32 s8, 0x80
	v_cmp_ne_u32_e32 vcc, s8, v30
	v_bfrev_b32_e32 v57, 1
	s_and_saveexec_b64 s[8:9], vcc
	s_cbranch_execz .LBB549_300
; %bb.297:
	v_bfe_u32 v33, v33, 24, 7
	s_movk_i32 s10, 0x7f
	v_cmp_ne_u32_e32 vcc, s10, v33
	v_mov_b32_e32 v57, 0x7f800001
	s_and_saveexec_b64 s[10:11], vcc
	s_cbranch_execz .LBB549_299
; %bb.298:
	v_and_b32_e32 v57, 7, v30
	v_ffbh_u32_e32 v58, v57
	v_min_u32_e32 v61, 32, v58
	v_subrev_u32_e32 v58, 28, v61
	v_lshlrev_b64 v[58:59], v58, v[30:31]
	v_lshrrev_b32_e32 v60, 3, v33
	v_sub_u32_e32 v59, 29, v61
	v_and_b32_e32 v58, 7, v58
	v_cmp_gt_u32_e32 vcc, 8, v33
	v_cndmask_b32_e32 v33, v60, v59, vcc
	v_cndmask_b32_e32 v57, v57, v58, vcc
	v_lshlrev_b32_e32 v30, 24, v30
	v_bfrev_b32_e32 v58, 60
	v_lshlrev_b32_e32 v57, 20, v57
	v_and_b32_e32 v30, 0x80000000, v30
	v_lshl_add_u32 v33, v33, 23, v58
	v_or3_b32 v57, v30, v33, v57
.LBB549_299:
	s_or_b64 exec, exec, s[10:11]
.LBB549_300:
	s_or_b64 exec, exec, s[8:9]
.LBB549_301:
	s_or_b64 exec, exec, s[2:3]
	v_cvt_pkrtz_f16_f32 v30, v51, v53
	v_cvt_pkrtz_f16_f32 v31, v31, v55
	v_cmp_ne_u16_sdwa s[8:9], v22, v52 src0_sel:BYTE_0 src1_sel:DWORD
	s_nop 0
	v_mfma_f32_16x16x16f16 v[42:45], v[30:31], v[18:19], v[42:45]
	v_cvt_pkrtz_f16_f32 v30, v54, v56
	v_cvt_pkrtz_f16_f32 v31, v32, v57
	s_nop 1
	v_mfma_f32_16x16x16f16 v[30:33], v[30:31], v[20:21], v[42:45]
	s_and_saveexec_b64 s[2:3], s[8:9]
	s_cbranch_execz .LBB549_307
; %bb.302:
	s_movk_i32 s8, 0x80
	v_cmp_ne_u16_sdwa s[10:11], v22, s8 src0_sel:BYTE_0 src1_sel:DWORD
	v_bfrev_b32_e32 v52, 1
	s_and_saveexec_b64 s[8:9], s[10:11]
	s_cbranch_execz .LBB549_306
; %bb.303:
	s_movk_i32 s10, 0x7f
	v_and_b32_e32 v42, 0x7f, v22
	v_cmp_ne_u32_e32 vcc, s10, v42
	v_mov_b32_e32 v52, 0x7f800001
	s_and_saveexec_b64 s[10:11], vcc
	s_cbranch_execz .LBB549_305
; %bb.304:
	v_and_b32_e32 v43, 7, v22
	v_ffbh_u32_e32 v44, v43
	v_min_u32_e32 v52, 32, v44
	v_subrev_u32_e32 v44, 28, v52
	v_lshlrev_b64 v[44:45], v44, v[22:23]
	v_lshrrev_b32_e32 v51, 3, v42
	v_sub_u32_e32 v45, 29, v52
	v_and_b32_e32 v44, 7, v44
	v_cmp_gt_u32_e32 vcc, 8, v42
	v_cndmask_b32_e32 v42, v51, v45, vcc
	v_cndmask_b32_e32 v43, v43, v44, vcc
	v_lshlrev_b32_e32 v44, 24, v22
	v_bfrev_b32_e32 v45, 60
	v_lshlrev_b32_e32 v43, 20, v43
	v_and_b32_e32 v44, 0x80000000, v44
	v_lshl_add_u32 v42, v42, 23, v45
	v_or3_b32 v52, v44, v42, v43
.LBB549_305:
	s_or_b64 exec, exec, s[10:11]
.LBB549_306:
	s_or_b64 exec, exec, s[8:9]
.LBB549_307:
	s_or_b64 exec, exec, s[2:3]
	s_nop 3
	v_lshrrev_b16_e32 v42, 8, v22
	v_cmp_ne_u16_e32 vcc, 0, v42
	v_mov_b32_e32 v43, 0
	v_mov_b32_e32 v44, 0
	s_and_saveexec_b64 s[2:3], vcc
	s_cbranch_execz .LBB549_313
; %bb.308:
	s_movk_i32 s8, 0x80
	v_cmp_ne_u16_e32 vcc, s8, v42
	v_bfrev_b32_e32 v44, 1
	s_and_saveexec_b64 s[8:9], vcc
	s_cbranch_execz .LBB549_312
; %bb.309:
	s_movk_i32 s10, 0x7f
	v_and_b32_e32 v45, 0x7f, v42
	v_cmp_ne_u32_e32 vcc, s10, v45
	v_mov_b32_e32 v44, 0x7f800001
	s_and_saveexec_b64 s[10:11], vcc
	s_cbranch_execz .LBB549_311
; %bb.310:
	v_and_b32_e32 v44, 7, v42
	v_ffbh_u32_e32 v53, v44
	v_min_u32_e32 v53, 32, v53
	v_subrev_u32_e32 v54, 28, v53
	v_lshlrev_b64 v[54:55], v54, v[42:43]
	v_lshrrev_b32_e32 v51, 3, v45
	v_sub_u32_e32 v42, 29, v53
	v_and_b32_e32 v53, 7, v54
	v_cmp_gt_u32_e32 vcc, 8, v45
	v_cndmask_b32_e32 v42, v51, v42, vcc
	v_cndmask_b32_e32 v44, v44, v53, vcc
	v_lshlrev_b32_e32 v45, 16, v22
	v_bfrev_b32_e32 v51, 60
	v_lshlrev_b32_e32 v44, 20, v44
	v_and_b32_e32 v45, 0x80000000, v45
	v_lshl_add_u32 v42, v42, 23, v51
	v_or3_b32 v44, v45, v42, v44
.LBB549_311:
	s_or_b64 exec, exec, s[10:11]
.LBB549_312:
	s_or_b64 exec, exec, s[8:9]
.LBB549_313:
	s_or_b64 exec, exec, s[2:3]
	s_movk_i32 s2, 0xff
	v_and_b32_sdwa v45, v22, s2 dst_sel:DWORD dst_unused:UNUSED_PAD src0_sel:WORD_1 src1_sel:DWORD
	v_lshrrev_b32_e32 v42, 16, v22
	v_cmp_ne_u16_e32 vcc, 0, v45
	s_and_saveexec_b64 s[2:3], vcc
	s_cbranch_execz .LBB549_319
; %bb.314:
	s_movk_i32 s8, 0x80
	v_cmp_ne_u16_e32 vcc, s8, v45
	v_bfrev_b32_e32 v43, 1
	s_and_saveexec_b64 s[8:9], vcc
	s_cbranch_execz .LBB549_318
; %bb.315:
	v_bfe_u32 v45, v22, 16, 7
	s_movk_i32 s10, 0x7f
	v_cmp_ne_u32_e32 vcc, s10, v45
	v_mov_b32_e32 v43, 0x7f800001
	s_and_saveexec_b64 s[10:11], vcc
	s_cbranch_execz .LBB549_317
; %bb.316:
	v_and_b32_e32 v51, 7, v42
	v_ffbh_u32_e32 v43, v51
	v_min_u32_e32 v54, 32, v43
	v_subrev_u32_e32 v43, 28, v54
	v_lshlrev_b64 v[42:43], v43, v[42:43]
	v_lshrrev_b32_e32 v53, 3, v45
	v_sub_u32_e32 v43, 29, v54
	v_and_b32_e32 v42, 7, v42
	v_cmp_gt_u32_e32 vcc, 8, v45
	v_mov_b32_e32 v45, 24
	v_cndmask_b32_e32 v43, v53, v43, vcc
	v_cndmask_b32_e32 v42, v51, v42, vcc
	v_lshlrev_b32_sdwa v45, v45, v22 dst_sel:DWORD dst_unused:UNUSED_PAD src0_sel:DWORD src1_sel:WORD_1
	v_bfrev_b32_e32 v51, 60
	v_lshlrev_b32_e32 v42, 20, v42
	v_and_b32_e32 v45, 0x80000000, v45
	v_lshl_add_u32 v43, v43, 23, v51
	v_or3_b32 v43, v45, v43, v42
.LBB549_317:
	s_or_b64 exec, exec, s[10:11]
.LBB549_318:
	s_or_b64 exec, exec, s[8:9]
.LBB549_319:
	s_or_b64 exec, exec, s[2:3]
	s_mov_b32 s2, 0xffffff
	v_cmp_lt_u32_e32 vcc, s2, v22
	v_mov_b32_e32 v45, 0
	v_mov_b32_e32 v51, 0
	s_and_saveexec_b64 s[2:3], vcc
	s_cbranch_execz .LBB549_325
; %bb.320:
	v_lshrrev_b32_e32 v42, 24, v22
	s_movk_i32 s8, 0x80
	v_cmp_ne_u32_e32 vcc, s8, v42
	v_bfrev_b32_e32 v51, 1
	s_and_saveexec_b64 s[8:9], vcc
	s_cbranch_execz .LBB549_324
; %bb.321:
	v_bfe_u32 v22, v22, 24, 7
	s_movk_i32 s10, 0x7f
	v_cmp_ne_u32_e32 vcc, s10, v22
	v_mov_b32_e32 v51, 0x7f800001
	s_and_saveexec_b64 s[10:11], vcc
	s_cbranch_execz .LBB549_323
; %bb.322:
	v_and_b32_e32 v51, 7, v42
	v_ffbh_u32_e32 v54, v51
	v_min_u32_e32 v56, 32, v54
	v_subrev_u32_e32 v54, 28, v56
	v_lshlrev_b64 v[54:55], v54, v[42:43]
	v_lshrrev_b32_e32 v53, 3, v22
	v_sub_u32_e32 v55, 29, v56
	v_and_b32_e32 v54, 7, v54
	v_cmp_gt_u32_e32 vcc, 8, v22
	v_cndmask_b32_e32 v22, v53, v55, vcc
	v_cndmask_b32_e32 v51, v51, v54, vcc
	v_lshlrev_b32_e32 v42, 24, v42
	v_bfrev_b32_e32 v53, 60
	v_lshlrev_b32_e32 v51, 20, v51
	v_and_b32_e32 v42, 0x80000000, v42
	v_lshl_add_u32 v22, v22, 23, v53
	v_or3_b32 v51, v42, v22, v51
.LBB549_323:
	s_or_b64 exec, exec, s[10:11]
.LBB549_324:
	s_or_b64 exec, exec, s[8:9]
.LBB549_325:
	s_or_b64 exec, exec, s[2:3]
	v_cmp_ne_u16_sdwa s[8:9], v23, v45 src0_sel:BYTE_0 src1_sel:DWORD
	s_and_saveexec_b64 s[2:3], s[8:9]
	s_cbranch_execz .LBB549_331
; %bb.326:
	s_movk_i32 s8, 0x80
	v_cmp_ne_u16_sdwa s[10:11], v23, s8 src0_sel:BYTE_0 src1_sel:DWORD
	v_bfrev_b32_e32 v45, 1
	s_and_saveexec_b64 s[8:9], s[10:11]
	s_cbranch_execz .LBB549_330
; %bb.327:
	s_movk_i32 s10, 0x7f
	v_and_b32_e32 v22, 0x7f, v23
	v_cmp_ne_u32_e32 vcc, s10, v22
	v_mov_b32_e32 v45, 0x7f800001
	s_and_saveexec_b64 s[10:11], vcc
	s_cbranch_execz .LBB549_329
; %bb.328:
	v_and_b32_e32 v45, 7, v23
	v_ffbh_u32_e32 v54, v45
	v_min_u32_e32 v56, 32, v54
	v_mov_b32_e32 v42, v23
	v_subrev_u32_e32 v54, 28, v56
	v_lshlrev_b64 v[54:55], v54, v[42:43]
	v_lshrrev_b32_e32 v53, 3, v22
	v_sub_u32_e32 v42, 29, v56
	v_and_b32_e32 v54, 7, v54
	v_cmp_gt_u32_e32 vcc, 8, v22
	v_cndmask_b32_e32 v22, v53, v42, vcc
	v_cndmask_b32_e32 v42, v45, v54, vcc
	v_lshlrev_b32_e32 v45, 24, v23
	v_bfrev_b32_e32 v53, 60
	v_lshlrev_b32_e32 v42, 20, v42
	v_and_b32_e32 v45, 0x80000000, v45
	v_lshl_add_u32 v22, v22, 23, v53
	v_or3_b32 v45, v45, v22, v42
.LBB549_329:
	s_or_b64 exec, exec, s[10:11]
.LBB549_330:
	s_or_b64 exec, exec, s[8:9]
.LBB549_331:
	s_or_b64 exec, exec, s[2:3]
	v_lshrrev_b16_e32 v22, 8, v23
	v_cmp_ne_u16_e32 vcc, 0, v22
	v_mov_b32_e32 v53, 0
	v_mov_b32_e32 v54, 0
	s_and_saveexec_b64 s[2:3], vcc
	s_cbranch_execz .LBB549_337
; %bb.332:
	s_movk_i32 s8, 0x80
	v_cmp_ne_u16_e32 vcc, s8, v22
	v_bfrev_b32_e32 v54, 1
	s_and_saveexec_b64 s[8:9], vcc
	s_cbranch_execz .LBB549_336
; %bb.333:
	s_movk_i32 s10, 0x7f
	v_and_b32_e32 v42, 0x7f, v22
	v_cmp_ne_u32_e32 vcc, s10, v42
	v_mov_b32_e32 v54, 0x7f800001
	s_and_saveexec_b64 s[10:11], vcc
	s_cbranch_execz .LBB549_335
; %bb.334:
	v_and_b32_e32 v56, 7, v22
	v_ffbh_u32_e32 v54, v56
	v_min_u32_e32 v58, 32, v54
	v_subrev_u32_e32 v54, 28, v58
	v_lshlrev_b64 v[54:55], v54, v[22:23]
	v_lshrrev_b32_e32 v57, 3, v42
	v_sub_u32_e32 v22, 29, v58
	v_and_b32_e32 v54, 7, v54
	v_cmp_gt_u32_e32 vcc, 8, v42
	v_cndmask_b32_e32 v22, v57, v22, vcc
	v_cndmask_b32_e32 v42, v56, v54, vcc
	v_lshlrev_b32_e32 v54, 16, v23
	v_bfrev_b32_e32 v55, 60
	v_lshlrev_b32_e32 v42, 20, v42
	v_and_b32_e32 v54, 0x80000000, v54
	v_lshl_add_u32 v22, v22, 23, v55
	v_or3_b32 v54, v54, v22, v42
.LBB549_335:
	s_or_b64 exec, exec, s[10:11]
.LBB549_336:
	s_or_b64 exec, exec, s[8:9]
.LBB549_337:
	s_or_b64 exec, exec, s[2:3]
	s_movk_i32 s2, 0xff
	v_and_b32_sdwa v42, v23, s2 dst_sel:DWORD dst_unused:UNUSED_PAD src0_sel:WORD_1 src1_sel:DWORD
	v_lshrrev_b32_e32 v22, 16, v23
	v_cmp_ne_u16_e32 vcc, 0, v42
	s_and_saveexec_b64 s[2:3], vcc
	s_cbranch_execz .LBB549_343
; %bb.338:
	s_movk_i32 s8, 0x80
	v_cmp_ne_u16_e32 vcc, s8, v42
	v_bfrev_b32_e32 v53, 1
	s_and_saveexec_b64 s[8:9], vcc
	s_cbranch_execz .LBB549_342
; %bb.339:
	v_bfe_u32 v42, v23, 16, 7
	s_movk_i32 s10, 0x7f
	v_cmp_ne_u32_e32 vcc, s10, v42
	v_mov_b32_e32 v53, 0x7f800001
	s_and_saveexec_b64 s[10:11], vcc
	s_cbranch_execz .LBB549_341
; %bb.340:
	v_and_b32_e32 v53, 7, v22
	v_ffbh_u32_e32 v56, v53
	v_min_u32_e32 v58, 32, v56
	v_subrev_u32_e32 v56, 28, v58
	v_lshlrev_b64 v[56:57], v56, v[22:23]
	v_and_b32_e32 v56, 7, v56
	v_cmp_gt_u32_e32 vcc, 8, v42
	v_lshrrev_b32_e32 v55, 3, v42
	v_sub_u32_e32 v22, 29, v58
	v_cndmask_b32_e32 v42, v53, v56, vcc
	v_mov_b32_e32 v53, 24
	v_cndmask_b32_e32 v22, v55, v22, vcc
	v_lshlrev_b32_sdwa v53, v53, v23 dst_sel:DWORD dst_unused:UNUSED_PAD src0_sel:DWORD src1_sel:WORD_1
	v_bfrev_b32_e32 v55, 60
	v_lshlrev_b32_e32 v42, 20, v42
	v_and_b32_e32 v53, 0x80000000, v53
	v_lshl_add_u32 v22, v22, 23, v55
	v_or3_b32 v53, v53, v22, v42
.LBB549_341:
	s_or_b64 exec, exec, s[10:11]
.LBB549_342:
	s_or_b64 exec, exec, s[8:9]
.LBB549_343:
	s_or_b64 exec, exec, s[2:3]
	s_mov_b32 s2, 0xffffff
	v_cmp_lt_u32_e32 vcc, s2, v23
	v_mov_b32_e32 v42, 0
	v_mov_b32_e32 v55, 0
	s_and_saveexec_b64 s[2:3], vcc
	s_cbranch_execz .LBB549_349
; %bb.344:
	v_lshrrev_b32_e32 v22, 24, v23
	s_movk_i32 s8, 0x80
	v_cmp_ne_u32_e32 vcc, s8, v22
	v_bfrev_b32_e32 v55, 1
	s_and_saveexec_b64 s[8:9], vcc
	s_cbranch_execz .LBB549_348
; %bb.345:
	v_bfe_u32 v23, v23, 24, 7
	s_movk_i32 s10, 0x7f
	v_cmp_ne_u32_e32 vcc, s10, v23
	v_mov_b32_e32 v55, 0x7f800001
	s_and_saveexec_b64 s[10:11], vcc
	s_cbranch_execz .LBB549_347
; %bb.346:
	v_and_b32_e32 v55, 7, v22
	v_ffbh_u32_e32 v56, v55
	v_min_u32_e32 v59, 32, v56
	v_subrev_u32_e32 v56, 28, v59
	v_lshlrev_b64 v[56:57], v56, v[22:23]
	v_lshrrev_b32_e32 v58, 3, v23
	v_sub_u32_e32 v57, 29, v59
	v_and_b32_e32 v56, 7, v56
	v_cmp_gt_u32_e32 vcc, 8, v23
	v_cndmask_b32_e32 v23, v58, v57, vcc
	v_cndmask_b32_e32 v55, v55, v56, vcc
	v_lshlrev_b32_e32 v22, 24, v22
	v_bfrev_b32_e32 v56, 60
	v_lshlrev_b32_e32 v55, 20, v55
	v_and_b32_e32 v22, 0x80000000, v22
	v_lshl_add_u32 v23, v23, 23, v56
	v_or3_b32 v55, v22, v23, v55
.LBB549_347:
	s_or_b64 exec, exec, s[10:11]
.LBB549_348:
	s_or_b64 exec, exec, s[8:9]
.LBB549_349:
	s_or_b64 exec, exec, s[2:3]
	v_cvt_pkrtz_f16_f32 v22, v52, v44
	v_cvt_pkrtz_f16_f32 v23, v43, v51
	v_cmp_ne_u16_sdwa s[8:9], v24, v42 src0_sel:BYTE_0 src1_sel:DWORD
	s_nop 0
	v_mfma_f32_16x16x16f16 v[56:59], v[22:23], v[26:27], 0
	v_cvt_pkrtz_f16_f32 v22, v45, v54
	v_cvt_pkrtz_f16_f32 v23, v53, v55
	s_nop 1
	v_mfma_f32_16x16x16f16 v[26:29], v[22:23], v[28:29], v[56:59]
	s_and_saveexec_b64 s[2:3], s[8:9]
	s_cbranch_execz .LBB549_355
; %bb.350:
	s_movk_i32 s8, 0x80
	v_cmp_ne_u16_sdwa s[10:11], v24, s8 src0_sel:BYTE_0 src1_sel:DWORD
	v_bfrev_b32_e32 v42, 1
	s_and_saveexec_b64 s[8:9], s[10:11]
	s_cbranch_execz .LBB549_354
; %bb.351:
	s_movk_i32 s10, 0x7f
	v_and_b32_e32 v22, 0x7f, v24
	v_cmp_ne_u32_e32 vcc, s10, v22
	v_mov_b32_e32 v42, 0x7f800001
	s_and_saveexec_b64 s[10:11], vcc
	s_cbranch_execz .LBB549_353
; %bb.352:
	v_and_b32_e32 v23, 7, v24
	v_ffbh_u32_e32 v42, v23
	v_min_u32_e32 v45, 32, v42
	v_subrev_u32_e32 v42, 28, v45
	v_lshlrev_b64 v[42:43], v42, v[24:25]
	v_lshrrev_b32_e32 v44, 3, v22
	v_sub_u32_e32 v43, 29, v45
	v_and_b32_e32 v42, 7, v42
	v_cmp_gt_u32_e32 vcc, 8, v22
	v_cndmask_b32_e32 v22, v44, v43, vcc
	v_cndmask_b32_e32 v23, v23, v42, vcc
	v_lshlrev_b32_e32 v42, 24, v24
	v_bfrev_b32_e32 v43, 60
	v_lshlrev_b32_e32 v23, 20, v23
	v_and_b32_e32 v42, 0x80000000, v42
	v_lshl_add_u32 v22, v22, 23, v43
	v_or3_b32 v42, v42, v22, v23
.LBB549_353:
	s_or_b64 exec, exec, s[10:11]
.LBB549_354:
	s_or_b64 exec, exec, s[8:9]
.LBB549_355:
	s_or_b64 exec, exec, s[2:3]
	v_lshrrev_b16_e32 v22, 8, v24
	v_cmp_ne_u16_e32 vcc, 0, v22
	v_mov_b32_e32 v23, 0
	v_mov_b32_e32 v43, 0
	s_and_saveexec_b64 s[2:3], vcc
	s_cbranch_execz .LBB549_361
; %bb.356:
	s_movk_i32 s8, 0x80
	v_cmp_ne_u16_e32 vcc, s8, v22
	v_bfrev_b32_e32 v43, 1
	s_and_saveexec_b64 s[8:9], vcc
	s_cbranch_execz .LBB549_360
; %bb.357:
	s_movk_i32 s10, 0x7f
	v_and_b32_e32 v44, 0x7f, v22
	v_cmp_ne_u32_e32 vcc, s10, v44
	v_mov_b32_e32 v43, 0x7f800001
	s_and_saveexec_b64 s[10:11], vcc
	s_cbranch_execz .LBB549_359
; %bb.358:
	v_and_b32_e32 v43, 7, v22
	v_ffbh_u32_e32 v51, v43
	v_min_u32_e32 v51, 32, v51
	v_subrev_u32_e32 v52, 28, v51
	v_lshlrev_b64 v[52:53], v52, v[22:23]
	v_lshrrev_b32_e32 v45, 3, v44
	v_sub_u32_e32 v22, 29, v51
	v_and_b32_e32 v51, 7, v52
	v_cmp_gt_u32_e32 vcc, 8, v44
	v_cndmask_b32_e32 v22, v45, v22, vcc
	v_cndmask_b32_e32 v43, v43, v51, vcc
	v_lshlrev_b32_e32 v44, 16, v24
	v_bfrev_b32_e32 v45, 60
	v_lshlrev_b32_e32 v43, 20, v43
	v_and_b32_e32 v44, 0x80000000, v44
	v_lshl_add_u32 v22, v22, 23, v45
	v_or3_b32 v43, v44, v22, v43
.LBB549_359:
	s_or_b64 exec, exec, s[10:11]
.LBB549_360:
	s_or_b64 exec, exec, s[8:9]
.LBB549_361:
	s_or_b64 exec, exec, s[2:3]
	s_movk_i32 s2, 0xff
	v_and_b32_sdwa v44, v24, s2 dst_sel:DWORD dst_unused:UNUSED_PAD src0_sel:WORD_1 src1_sel:DWORD
	v_lshrrev_b32_e32 v22, 16, v24
	v_cmp_ne_u16_e32 vcc, 0, v44
	s_and_saveexec_b64 s[2:3], vcc
	s_cbranch_execz .LBB549_367
; %bb.362:
	s_movk_i32 s8, 0x80
	v_cmp_ne_u16_e32 vcc, s8, v44
	v_bfrev_b32_e32 v23, 1
	s_and_saveexec_b64 s[8:9], vcc
	s_cbranch_execz .LBB549_366
; %bb.363:
	v_bfe_u32 v44, v24, 16, 7
	s_movk_i32 s10, 0x7f
	v_cmp_ne_u32_e32 vcc, s10, v44
	v_mov_b32_e32 v23, 0x7f800001
	s_and_saveexec_b64 s[10:11], vcc
	s_cbranch_execz .LBB549_365
; %bb.364:
	v_and_b32_e32 v45, 7, v22
	v_ffbh_u32_e32 v23, v45
	v_min_u32_e32 v52, 32, v23
	v_subrev_u32_e32 v23, 28, v52
	v_lshlrev_b64 v[22:23], v23, v[22:23]
	v_lshrrev_b32_e32 v51, 3, v44
	v_sub_u32_e32 v23, 29, v52
	v_and_b32_e32 v22, 7, v22
	v_cmp_gt_u32_e32 vcc, 8, v44
	v_mov_b32_e32 v44, 24
	v_cndmask_b32_e32 v23, v51, v23, vcc
	v_cndmask_b32_e32 v22, v45, v22, vcc
	v_lshlrev_b32_sdwa v44, v44, v24 dst_sel:DWORD dst_unused:UNUSED_PAD src0_sel:DWORD src1_sel:WORD_1
	v_bfrev_b32_e32 v45, 60
	v_lshlrev_b32_e32 v22, 20, v22
	v_and_b32_e32 v44, 0x80000000, v44
	v_lshl_add_u32 v23, v23, 23, v45
	v_or3_b32 v23, v44, v23, v22
.LBB549_365:
	s_or_b64 exec, exec, s[10:11]
.LBB549_366:
	s_or_b64 exec, exec, s[8:9]
.LBB549_367:
	s_or_b64 exec, exec, s[2:3]
	s_mov_b32 s2, 0xffffff
	v_cmp_lt_u32_e32 vcc, s2, v24
	v_mov_b32_e32 v45, 0
	v_mov_b32_e32 v51, 0
	s_and_saveexec_b64 s[2:3], vcc
	s_cbranch_execz .LBB549_373
; %bb.368:
	v_lshrrev_b32_e32 v22, 24, v24
	s_movk_i32 s8, 0x80
	v_cmp_ne_u32_e32 vcc, s8, v22
	v_bfrev_b32_e32 v51, 1
	s_and_saveexec_b64 s[8:9], vcc
	s_cbranch_execz .LBB549_372
; %bb.369:
	v_bfe_u32 v24, v24, 24, 7
	s_movk_i32 s10, 0x7f
	v_cmp_ne_u32_e32 vcc, s10, v24
	v_mov_b32_e32 v51, 0x7f800001
	s_and_saveexec_b64 s[10:11], vcc
	s_cbranch_execz .LBB549_371
; %bb.370:
	v_and_b32_e32 v44, 7, v22
	v_ffbh_u32_e32 v52, v44
	v_min_u32_e32 v54, 32, v52
	v_subrev_u32_e32 v52, 28, v54
	v_lshlrev_b64 v[52:53], v52, v[22:23]
	v_lshrrev_b32_e32 v51, 3, v24
	v_sub_u32_e32 v53, 29, v54
	v_and_b32_e32 v52, 7, v52
	v_cmp_gt_u32_e32 vcc, 8, v24
	v_cndmask_b32_e32 v24, v51, v53, vcc
	v_cndmask_b32_e32 v44, v44, v52, vcc
	v_lshlrev_b32_e32 v22, 24, v22
	v_bfrev_b32_e32 v51, 60
	v_lshlrev_b32_e32 v44, 20, v44
	v_and_b32_e32 v22, 0x80000000, v22
	v_lshl_add_u32 v24, v24, 23, v51
	v_or3_b32 v51, v22, v24, v44
.LBB549_371:
	s_or_b64 exec, exec, s[10:11]
.LBB549_372:
	s_or_b64 exec, exec, s[8:9]
.LBB549_373:
	s_or_b64 exec, exec, s[2:3]
	v_cmp_ne_u16_sdwa s[8:9], v25, v45 src0_sel:BYTE_0 src1_sel:DWORD
	s_and_saveexec_b64 s[2:3], s[8:9]
	s_cbranch_execz .LBB549_379
; %bb.374:
	s_movk_i32 s8, 0x80
	v_cmp_ne_u16_sdwa s[10:11], v25, s8 src0_sel:BYTE_0 src1_sel:DWORD
	v_bfrev_b32_e32 v45, 1
	s_and_saveexec_b64 s[8:9], s[10:11]
	s_cbranch_execz .LBB549_378
; %bb.375:
	s_movk_i32 s10, 0x7f
	v_and_b32_e32 v22, 0x7f, v25
	v_cmp_ne_u32_e32 vcc, s10, v22
	v_mov_b32_e32 v45, 0x7f800001
	s_and_saveexec_b64 s[10:11], vcc
	s_cbranch_execz .LBB549_377
; %bb.376:
	v_and_b32_e32 v52, 7, v25
	v_ffbh_u32_e32 v44, v52
	v_min_u32_e32 v54, 32, v44
	v_mov_b32_e32 v24, v25
	v_subrev_u32_e32 v44, 28, v54
	v_lshlrev_b64 v[44:45], v44, v[24:25]
	v_lshrrev_b32_e32 v53, 3, v22
	v_sub_u32_e32 v24, 29, v54
	v_and_b32_e32 v44, 7, v44
	v_cmp_gt_u32_e32 vcc, 8, v22
	v_cndmask_b32_e32 v22, v53, v24, vcc
	v_cndmask_b32_e32 v24, v52, v44, vcc
	v_lshlrev_b32_e32 v44, 24, v25
	v_bfrev_b32_e32 v45, 60
	v_lshlrev_b32_e32 v24, 20, v24
	v_and_b32_e32 v44, 0x80000000, v44
	v_lshl_add_u32 v22, v22, 23, v45
	v_or3_b32 v45, v44, v22, v24
.LBB549_377:
	s_or_b64 exec, exec, s[10:11]
.LBB549_378:
	s_or_b64 exec, exec, s[8:9]
.LBB549_379:
	s_or_b64 exec, exec, s[2:3]
	v_lshrrev_b16_e32 v22, 8, v25
	v_cmp_ne_u16_e32 vcc, 0, v22
	v_mov_b32_e32 v52, 0
	v_mov_b32_e32 v53, 0
	s_and_saveexec_b64 s[2:3], vcc
	s_cbranch_execz .LBB549_385
; %bb.380:
	s_movk_i32 s8, 0x80
	v_cmp_ne_u16_e32 vcc, s8, v22
	v_bfrev_b32_e32 v53, 1
	s_and_saveexec_b64 s[8:9], vcc
	s_cbranch_execz .LBB549_384
; %bb.381:
	s_movk_i32 s10, 0x7f
	v_and_b32_e32 v24, 0x7f, v22
	v_cmp_ne_u32_e32 vcc, s10, v24
	v_mov_b32_e32 v53, 0x7f800001
	s_and_saveexec_b64 s[10:11], vcc
	s_cbranch_execz .LBB549_383
; %bb.382:
	v_and_b32_e32 v44, 7, v22
	v_ffbh_u32_e32 v54, v44
	v_min_u32_e32 v56, 32, v54
	v_subrev_u32_e32 v54, 28, v56
	v_lshlrev_b64 v[54:55], v54, v[22:23]
	v_lshrrev_b32_e32 v53, 3, v24
	v_sub_u32_e32 v22, 29, v56
	v_and_b32_e32 v54, 7, v54
	v_cmp_gt_u32_e32 vcc, 8, v24
	v_cndmask_b32_e32 v22, v53, v22, vcc
	v_cndmask_b32_e32 v24, v44, v54, vcc
	v_lshlrev_b32_e32 v44, 16, v25
	v_bfrev_b32_e32 v53, 60
	v_lshlrev_b32_e32 v24, 20, v24
	v_and_b32_e32 v44, 0x80000000, v44
	v_lshl_add_u32 v22, v22, 23, v53
	v_or3_b32 v53, v44, v22, v24
.LBB549_383:
	s_or_b64 exec, exec, s[10:11]
.LBB549_384:
	s_or_b64 exec, exec, s[8:9]
.LBB549_385:
	s_or_b64 exec, exec, s[2:3]
	s_movk_i32 s2, 0xff
	v_and_b32_sdwa v24, v25, s2 dst_sel:DWORD dst_unused:UNUSED_PAD src0_sel:WORD_1 src1_sel:DWORD
	v_lshrrev_b32_e32 v22, 16, v25
	v_cmp_ne_u16_e32 vcc, 0, v24
	s_and_saveexec_b64 s[2:3], vcc
	s_cbranch_execz .LBB549_391
; %bb.386:
	s_movk_i32 s8, 0x80
	v_cmp_ne_u16_e32 vcc, s8, v24
	v_bfrev_b32_e32 v52, 1
	s_and_saveexec_b64 s[8:9], vcc
	s_cbranch_execz .LBB549_390
; %bb.387:
	v_bfe_u32 v24, v25, 16, 7
	s_movk_i32 s10, 0x7f
	v_cmp_ne_u32_e32 vcc, s10, v24
	v_mov_b32_e32 v52, 0x7f800001
	s_and_saveexec_b64 s[10:11], vcc
	s_cbranch_execz .LBB549_389
; %bb.388:
	v_and_b32_e32 v44, 7, v22
	v_ffbh_u32_e32 v54, v44
	v_min_u32_e32 v56, 32, v54
	v_subrev_u32_e32 v54, 28, v56
	v_lshlrev_b64 v[54:55], v54, v[22:23]
	v_and_b32_e32 v54, 7, v54
	v_cmp_gt_u32_e32 vcc, 8, v24
	v_lshrrev_b32_e32 v52, 3, v24
	v_sub_u32_e32 v22, 29, v56
	v_cndmask_b32_e32 v24, v44, v54, vcc
	v_mov_b32_e32 v44, 24
	v_cndmask_b32_e32 v22, v52, v22, vcc
	v_lshlrev_b32_sdwa v44, v44, v25 dst_sel:DWORD dst_unused:UNUSED_PAD src0_sel:DWORD src1_sel:WORD_1
	v_bfrev_b32_e32 v52, 60
	v_lshlrev_b32_e32 v24, 20, v24
	v_and_b32_e32 v44, 0x80000000, v44
	v_lshl_add_u32 v22, v22, 23, v52
	v_or3_b32 v52, v44, v22, v24
.LBB549_389:
	s_or_b64 exec, exec, s[10:11]
.LBB549_390:
	s_or_b64 exec, exec, s[8:9]
.LBB549_391:
	s_or_b64 exec, exec, s[2:3]
	s_mov_b32 s2, 0xffffff
	v_and_b32_e32 v44, 63, v0
	v_cmp_lt_u32_e32 vcc, s2, v25
	v_mov_b32_e32 v54, 0
	s_and_saveexec_b64 s[2:3], vcc
	s_cbranch_execz .LBB549_397
; %bb.392:
	v_lshrrev_b32_e32 v22, 24, v25
	s_movk_i32 s8, 0x80
	v_cmp_ne_u32_e32 vcc, s8, v22
	v_bfrev_b32_e32 v54, 1
	s_and_saveexec_b64 s[8:9], vcc
	s_cbranch_execz .LBB549_396
; %bb.393:
	v_bfe_u32 v24, v25, 24, 7
	s_movk_i32 s10, 0x7f
	v_cmp_ne_u32_e32 vcc, s10, v24
	v_mov_b32_e32 v54, 0x7f800001
	s_and_saveexec_b64 s[10:11], vcc
	s_cbranch_execz .LBB549_395
; %bb.394:
	v_and_b32_e32 v25, 7, v22
	v_ffbh_u32_e32 v54, v25
	v_min_u32_e32 v57, 32, v54
	v_subrev_u32_e32 v54, 28, v57
	v_lshlrev_b64 v[54:55], v54, v[22:23]
	v_lshrrev_b32_e32 v56, 3, v24
	v_sub_u32_e32 v55, 29, v57
	v_and_b32_e32 v54, 7, v54
	v_cmp_gt_u32_e32 vcc, 8, v24
	v_cndmask_b32_e32 v24, v56, v55, vcc
	v_cndmask_b32_e32 v25, v25, v54, vcc
	v_lshlrev_b32_e32 v22, 24, v22
	v_bfrev_b32_e32 v54, 60
	v_lshlrev_b32_e32 v25, 20, v25
	v_and_b32_e32 v22, 0x80000000, v22
	v_lshl_add_u32 v24, v24, 23, v54
	v_or3_b32 v54, v22, v24, v25
.LBB549_395:
	s_or_b64 exec, exec, s[10:11]
.LBB549_396:
	s_or_b64 exec, exec, s[8:9]
.LBB549_397:
	s_or_b64 exec, exec, s[2:3]
	v_cvt_pkrtz_f16_f32 v42, v42, v43
	v_cvt_pkrtz_f16_f32 v43, v23, v51
	s_load_dword s2, s[4:5], 0x1c
	s_mov_b32 s46, 0xff7fffff
	s_waitcnt lgkmcnt(0)
	v_mfma_f32_16x16x16f16 v[26:29], v[42:43], v[18:19], v[26:29]
	v_cvt_pkrtz_f16_f32 v18, v45, v53
	v_cvt_pkrtz_f16_f32 v19, v52, v54
	v_mov_b32_e32 v22, s2
	v_mul_f32_e32 v56, s12, v22
	v_pk_mul_f32 v[22:23], v[56:57], v[32:33] op_sel_hi:[0,1]
	v_pk_mul_f32 v[32:33], v[56:57], v[38:39] op_sel_hi:[0,1]
	v_and_b32_e32 v38, 0xc0, v0
	v_mfma_f32_16x16x16f16 v[26:29], v[18:19], v[20:21], v[26:29]
	v_add_u32_e32 v38, s18, v38
	v_lshl_or_b32 v38, v1, 2, v38
	v_or_b32_e32 v39, 1, v38
	v_pk_mul_f32 v[24:25], v[56:57], v[30:31] op_sel_hi:[0,1]
	v_pk_mul_f32 v[30:31], v[56:57], v[40:41] op_sel_hi:[0,1]
	v_subrev_u32_e32 v40, s33, v39
	v_pk_mul_f32 v[34:35], v[56:57], v[34:35] op_sel_hi:[0,1]
	s_nop 3
	v_pk_mul_f32 v[20:21], v[56:57], v[26:27] op_sel_hi:[0,1]
	v_add_u32_e32 v27, 1, v40
	v_pk_mul_f32 v[18:19], v[56:57], v[28:29] op_sel_hi:[0,1]
	v_cvt_f32_i32_e32 v27, v27
	v_add_u32_e32 v29, 3, v40
	v_cvt_f32_i32_e32 v29, v29
	v_cvt_f32_i32_e32 v26, v40
	v_pk_mul_f32 v[36:37], v[56:57], v[36:37] op_sel_hi:[0,1]
	v_fmac_f32_e32 v35, v50, v27
	v_add_u32_e32 v27, 16, v40
	v_fmac_f32_e32 v37, v50, v29
	v_cvt_f32_i32_e32 v27, v27
	v_add_u32_e32 v29, 17, v40
	v_fma_f32 v26, v50, v26, v34
	v_cvt_f32_i32_e32 v29, v29
	v_add_u32_e32 v34, 18, v40
	v_cvt_f32_i32_e32 v34, v34
	v_fma_f32 v41, v50, v27, v32
	v_add_u32_e32 v27, 32, v40
	v_fmac_f32_e32 v33, v50, v29
	v_cvt_f32_i32_e32 v27, v27
	v_add_u32_e32 v29, 33, v40
	v_add_u32_e32 v32, 34, v40
	v_fma_f32 v30, v50, v34, v30
	v_cvt_f32_i32_e32 v29, v29
	v_cvt_f32_i32_e32 v32, v32
	v_add_u32_e32 v34, 35, v40
	v_cvt_f32_i32_e32 v34, v34
	v_fma_f32 v24, v50, v27, v24
	v_add_u32_e32 v27, 48, v40
	v_fmac_f32_e32 v25, v50, v29
	v_fma_f32 v22, v50, v32, v22
	v_cvt_f32_i32_e32 v27, v27
	v_add_u32_e32 v29, 49, v40
	v_add_u32_e32 v32, 50, v40
	v_fmac_f32_e32 v23, v50, v34
	v_cvt_f32_i32_e32 v29, v29
	v_cvt_f32_i32_e32 v32, v32
	v_add_u32_e32 v34, 51, v40
	v_add_u32_e32 v28, 2, v40
	v_cvt_f32_i32_e32 v34, v34
	v_cvt_f32_i32_e32 v28, v28
	v_fma_f32 v20, v50, v27, v20
	v_mov_b32_e32 v27, 0xff7fffff
	v_cmp_gt_i32_e64 s[26:27], s33, v38
	v_cmp_gt_i32_e64 s[28:29], s33, v39
	v_fmac_f32_e32 v21, v50, v29
	v_fma_f32 v18, v50, v32, v18
	v_cndmask_b32_e64 v29, v27, v26, s[26:27]
	v_cndmask_b32_e64 v32, v27, v35, s[28:29]
	v_fmac_f32_e32 v19, v50, v34
	v_max3_f32 v29, v29, s46, v32
	v_or_b32_e32 v32, 2, v38
	v_or_b32_e32 v34, 3, v38
	v_fma_f32 v28, v50, v28, v36
	v_cmp_gt_i32_e64 s[30:31], s33, v32
	v_cmp_gt_i32_e64 s[34:35], s33, v34
	v_add_u32_e32 v36, 19, v40
	v_cndmask_b32_e64 v32, v27, v28, s[30:31]
	v_cndmask_b32_e64 v34, v27, v37, s[34:35]
	v_cvt_f32_i32_e32 v36, v36
	v_max3_f32 v29, v29, v32, v34
	v_or_b32_e32 v32, 16, v38
	v_or_b32_e32 v34, 17, v38
	v_cmp_gt_i32_e64 s[36:37], s33, v32
	v_cmp_gt_i32_e64 s[38:39], s33, v34
	v_cndmask_b32_e64 v32, v27, v41, s[36:37]
	v_cndmask_b32_e64 v34, v27, v33, s[38:39]
	v_max3_f32 v29, v29, v32, v34
	v_or_b32_e32 v32, 18, v38
	v_or_b32_e32 v34, 19, v38
	v_fmac_f32_e32 v31, v50, v36
	v_cmp_gt_i32_e64 s[20:21], s33, v32
	v_cmp_gt_i32_e64 s[22:23], s33, v34
	v_cndmask_b32_e64 v32, v27, v30, s[20:21]
	v_cndmask_b32_e64 v34, v27, v31, s[22:23]
	v_max3_f32 v29, v29, v32, v34
	v_or_b32_e32 v32, 32, v38
	v_or_b32_e32 v34, 33, v38
	v_cmp_gt_i32_e64 s[16:17], s33, v32
	v_cmp_gt_i32_e64 s[18:19], s33, v34
	v_cndmask_b32_e64 v32, v27, v24, s[16:17]
	v_cndmask_b32_e64 v34, v27, v25, s[18:19]
	v_max3_f32 v29, v29, v32, v34
	v_or_b32_e32 v32, 34, v38
	v_or_b32_e32 v34, 35, v38
	;; [unrolled: 7-line block ×4, first 2 shown]
	v_cmp_gt_i32_e32 vcc, s33, v32
	v_cmp_gt_i32_e64 s[2:3], s33, v34
	v_cndmask_b32_e32 v32, v27, v18, vcc
	v_cndmask_b32_e64 v27, v27, v19, s[2:3]
	v_max3_f32 v27, v29, v32, v27
	v_mbcnt_lo_u32_b32 v29, -1, 0
	v_mbcnt_hi_u32_b32 v29, -1, v29
	v_and_b32_e32 v32, 64, v29
	v_add_u32_e32 v32, 64, v32
	v_xor_b32_e32 v34, 32, v29
	v_cmp_lt_i32_e64 s[40:41], v34, v32
	v_cndmask_b32_e64 v34, v29, v34, s[40:41]
	v_lshlrev_b32_e32 v36, 2, v34
	ds_bpermute_b32 v34, v36, v27
	s_barrier
	s_waitcnt lgkmcnt(0)
	v_max_f32_e32 v34, v34, v34
	v_max_f32_e32 v27, v27, v34
	v_xor_b32_e32 v34, 16, v29
	v_cmp_lt_i32_e64 s[40:41], v34, v32
	v_cndmask_b32_e64 v29, v29, v34, s[40:41]
	v_lshlrev_b32_e32 v38, 2, v29
	ds_bpermute_b32 v29, v38, v27
	s_waitcnt lgkmcnt(0)
	v_max_f32_e32 v29, v29, v29
	v_max_f32_e32 v32, v27, v29
	v_sub_f32_e32 v26, v26, v32
	v_mul_f32_e32 v26, 0x3fb8aa3b, v26
	v_sub_f32_e32 v27, v35, v32
	v_exp_f32_e32 v26, v26
	v_mul_f32_e32 v27, 0x3fb8aa3b, v27
	v_sub_f32_e32 v28, v28, v32
	v_exp_f32_e32 v27, v27
	v_mul_f32_e32 v28, 0x3fb8aa3b, v28
	v_exp_f32_e32 v28, v28
	v_cndmask_b32_e64 v26, 0, v26, s[26:27]
	v_sub_f32_e32 v34, v37, v32
	v_add_f32_e32 v29, 0, v26
	v_cndmask_b32_e64 v27, 0, v27, s[28:29]
	v_mul_f32_e32 v34, 0x3fb8aa3b, v34
	v_exp_f32_e32 v35, v34
	v_add_f32_e32 v29, v29, v27
	v_cndmask_b32_e64 v34, 0, v28, s[30:31]
	v_add_f32_e32 v28, v29, v34
	v_sub_f32_e32 v29, v41, v32
	v_mul_f32_e32 v29, 0x3fb8aa3b, v29
	v_sub_f32_e32 v33, v33, v32
	v_exp_f32_e32 v29, v29
	v_mul_f32_e32 v33, 0x3fb8aa3b, v33
	v_sub_f32_e32 v30, v30, v32
	v_exp_f32_e32 v33, v33
	;; [unrolled: 3-line block ×3, first 2 shown]
	v_mul_f32_e32 v31, 0x3fb8aa3b, v31
	v_sub_f32_e32 v24, v24, v32
	v_cndmask_b32_e64 v35, 0, v35, s[34:35]
	v_exp_f32_e32 v31, v31
	v_mul_f32_e32 v24, 0x3fb8aa3b, v24
	v_sub_f32_e32 v25, v25, v32
	v_add_f32_e32 v37, v28, v35
	v_cndmask_b32_e64 v28, 0, v29, s[36:37]
	v_exp_f32_e32 v24, v24
	v_mul_f32_e32 v25, 0x3fb8aa3b, v25
	v_sub_f32_e32 v22, v22, v32
	v_add_f32_e32 v37, v37, v28
	;; [unrolled: 5-line block ×7, first 2 shown]
	v_cndmask_b32_e64 v22, 0, v22, s[12:13]
	v_exp_f32_e32 v18, v18
	v_mul_f32_e32 v19, 0x3fb8aa3b, v19
	v_add_f32_e32 v33, v33, v22
	v_cndmask_b32_e64 v23, 0, v23, s[14:15]
	v_exp_f32_e32 v19, v19
	v_add_f32_e32 v33, v33, v23
	v_cndmask_b32_e64 v20, 0, v20, s[8:9]
	v_add_f32_e32 v33, v33, v20
	v_cndmask_b32_e64 v21, 0, v21, s[10:11]
	v_add_f32_e32 v33, v33, v21
	v_cndmask_b32_e32 v18, 0, v18, vcc
	v_add_f32_e32 v33, v33, v18
	v_cndmask_b32_e64 v19, 0, v19, s[2:3]
	v_add_f32_e32 v33, v33, v19
	ds_bpermute_b32 v36, v36, v33
	v_cmp_gt_u32_e32 vcc, 16, v44
	s_waitcnt lgkmcnt(0)
	v_add_f32_e32 v33, v33, v36
	ds_bpermute_b32 v37, v38, v33
	v_lshlrev_b32_e32 v36, 2, v49
	s_and_saveexec_b64 s[2:3], vcc
	s_cbranch_execz .LBB549_399
; %bb.398:
	s_waitcnt lgkmcnt(0)
	v_add_f32_e32 v33, v33, v37
	v_lshl_or_b32 v37, v48, 6, v36
	ds_write2st64_b32 v37, v32, v33 offset1:1
.LBB549_399:
	s_or_b64 exec, exec, s[2:3]
	s_waitcnt lgkmcnt(0)
	s_barrier
	ds_read2_b32 v[38:39], v36 offset1:16
	ds_read2_b32 v[40:41], v36 offset0:32 offset1:48
	ds_read2_b32 v[42:43], v36 offset0:64 offset1:80
	s_lshl_b32 s12, s45, 3
	s_waitcnt lgkmcnt(2)
	v_max3_f32 v32, v38, s46, v39
	s_waitcnt lgkmcnt(1)
	v_max3_f32 v33, v32, v40, v41
	v_sub_f32_e32 v32, v38, v33
	v_mul_f32_e32 v32, 0x3fb8aa3b, v32
	v_exp_f32_e32 v37, v32
	v_sub_f32_e32 v32, v39, v33
	v_mul_f32_e32 v32, 0x3fb8aa3b, v32
	v_exp_f32_e32 v44, v32
	;; [unrolled: 3-line block ×3, first 2 shown]
	ds_read2_b32 v[38:39], v36 offset0:96 offset1:112
	v_sub_f32_e32 v32, v41, v33
	v_mul_f32_e32 v32, 0x3fb8aa3b, v32
	v_exp_f32_e32 v41, v32
	s_waitcnt lgkmcnt(1)
	v_fma_f32 v36, v37, v42, 0
	v_fmac_f32_e32 v36, v44, v43
	s_waitcnt lgkmcnt(0)
	v_fmac_f32_e32 v36, v40, v38
	v_fmac_f32_e32 v36, v41, v39
	v_add_f32_e32 v38, 0x358637bd, v36
	v_div_scale_f32 v39, s[2:3], v38, v38, 1.0
	v_rcp_f32_e32 v42, v39
	s_barrier
	v_fma_f32 v43, -v39, v42, 1.0
	v_fmac_f32_e32 v42, v43, v42
	v_div_scale_f32 v43, vcc, 1.0, v38, 1.0
	v_mul_f32_e32 v45, v43, v42
	v_fma_f32 v50, -v39, v45, v43
	v_fmac_f32_e32 v45, v50, v42
	v_fma_f32 v39, -v39, v45, v43
	v_div_fmas_f32 v39, v39, v42, v45
	v_cmp_eq_u32_e32 vcc, 1, v48
	v_cndmask_b32_e32 v37, v37, v44, vcc
	v_cmp_eq_u32_e32 vcc, 2, v48
	v_cndmask_b32_e32 v37, v37, v40, vcc
	v_cmp_eq_u32_e32 vcc, 3, v48
	v_div_fixup_f32 v38, v39, v38, 1.0
	v_cndmask_b32_e32 v37, v37, v41, vcc
	v_mul_f32_e32 v38, v37, v38
	v_pk_mul_f32 v[34:35], v[38:39], v[34:35] op_sel_hi:[0,1]
	v_pk_mul_f32 v[26:27], v[38:39], v[26:27] op_sel_hi:[0,1]
	v_cvt_f16_f32_e32 v26, v26
	v_cvt_f16_f32_e32 v27, v27
	;; [unrolled: 1-line block ×4, first 2 shown]
	v_pk_mul_f32 v[30:31], v[38:39], v[30:31] op_sel_hi:[0,1]
	v_pk_mul_f32 v[28:29], v[38:39], v[28:29] op_sel_hi:[0,1]
	v_cvt_f16_f32_e32 v28, v28
	v_cvt_f16_f32_e32 v29, v29
	;; [unrolled: 1-line block ×4, first 2 shown]
	v_pack_b32_f16 v34, v26, v27
	v_pack_b32_f16 v35, v37, v35
	v_lshlrev_b32_e32 v26, 3, v1
	v_lshlrev_b32_e32 v27, 5, v49
	;; [unrolled: 1-line block ×3, first 2 shown]
	v_or3_b32 v26, v37, v27, v26
	v_pack_b32_f16 v28, v28, v29
	v_pack_b32_f16 v29, v30, v31
	v_pk_mul_f32 v[22:23], v[38:39], v[22:23] op_sel_hi:[0,1]
	v_pk_mul_f32 v[24:25], v[38:39], v[24:25] op_sel_hi:[0,1]
	;; [unrolled: 1-line block ×4, first 2 shown]
	ds_write2st64_b64 v26, v[34:35], v[28:29] offset1:1
	v_cvt_f16_f32_e32 v24, v24
	v_cvt_f16_f32_e32 v25, v25
	;; [unrolled: 1-line block ×8, first 2 shown]
	v_mov_b32_e32 v32, 0
	v_pack_b32_f16 v18, v24, v25
	v_pack_b32_f16 v19, v22, v23
	;; [unrolled: 1-line block ×4, first 2 shown]
	v_cmp_gt_u32_e32 vcc, 8, v0
	ds_write2st64_b64 v26, v[18:19], v[20:21] offset0:2 offset1:3
	s_and_saveexec_b64 s[2:3], vcc
	s_cbranch_execz .LBB549_401
; %bb.400:
	v_or_b32_e32 v18, s25, v0
	v_mov_b32_e32 v19, 0
	v_mov_b32_e32 v20, s12
	v_mad_u64_u32 v[20:21], s[14:15], s6, v20, v[18:19]
	v_mov_b32_e32 v18, s24
	s_load_dwordx4 s[8:11], s[4:5], 0x58
	s_mul_i32 s7, s7, s12
	v_mad_u64_u32 v[18:19], s[14:15], v20, s44, v[18:19]
	v_add_u32_e32 v21, s7, v21
	v_mov_b32_e32 v20, v19
	v_mad_u64_u32 v[20:21], s[14:15], v21, s44, v[20:21]
	v_mov_b32_e32 v19, v20
	v_lshlrev_b64 v[18:19], 2, v[18:19]
	s_waitcnt lgkmcnt(0)
	v_mov_b32_e32 v21, s11
	v_add_co_u32_e32 v20, vcc, s10, v18
	v_addc_co_u32_e32 v21, vcc, v21, v19, vcc
	global_store_dword v[20:21], v33, off
	v_mov_b32_e32 v20, s9
	v_add_co_u32_e32 v18, vcc, s8, v18
	v_addc_co_u32_e32 v19, vcc, v20, v19, vcc
	global_store_dword v[18:19], v36, off
.LBB549_401:
	s_or_b64 exec, exec, s[2:3]
	v_mov_b32_e32 v19, 0
	s_waitcnt vmcnt(3)
	v_cmp_ne_u16_sdwa s[8:9], v14, v19 src0_sel:BYTE_0 src1_sel:DWORD
	s_waitcnt lgkmcnt(0)
	s_barrier
	s_and_saveexec_b64 s[2:3], s[8:9]
	s_cbranch_execz .LBB549_407
; %bb.402:
	s_movk_i32 s7, 0x80
	v_cmp_ne_u16_sdwa s[10:11], v14, s7 src0_sel:BYTE_0 src1_sel:DWORD
	v_bfrev_b32_e32 v32, 1
	s_and_saveexec_b64 s[8:9], s[10:11]
	s_cbranch_execz .LBB549_406
; %bb.403:
	s_movk_i32 s7, 0x7f
	v_and_b32_e32 v18, 0x7f, v14
	v_cmp_ne_u32_e32 vcc, s7, v18
	v_mov_b32_e32 v32, 0x7f800001
	s_and_saveexec_b64 s[10:11], vcc
	s_cbranch_execz .LBB549_405
; %bb.404:
	v_and_b32_e32 v22, 7, v14
	v_ffbh_u32_e32 v20, v22
	v_min_u32_e32 v24, 32, v20
	v_subrev_u32_e32 v20, 28, v24
	v_lshlrev_b64 v[20:21], v20, v[14:15]
	v_lshrrev_b32_e32 v23, 3, v18
	v_sub_u32_e32 v21, 29, v24
	v_and_b32_e32 v20, 7, v20
	v_cmp_gt_u32_e32 vcc, 8, v18
	v_cndmask_b32_e32 v18, v23, v21, vcc
	v_cndmask_b32_e32 v20, v22, v20, vcc
	v_lshlrev_b32_e32 v21, 24, v14
	v_bfrev_b32_e32 v22, 60
	v_lshlrev_b32_e32 v20, 20, v20
	v_and_b32_e32 v21, 0x80000000, v21
	v_lshl_add_u32 v18, v18, 23, v22
	v_or3_b32 v32, v21, v18, v20
.LBB549_405:
	s_or_b64 exec, exec, s[10:11]
.LBB549_406:
	s_or_b64 exec, exec, s[8:9]
.LBB549_407:
	s_or_b64 exec, exec, s[2:3]
	v_lshrrev_b16_e32 v18, 8, v14
	v_cmp_ne_u16_e32 vcc, 0, v18
	v_mov_b32_e32 v20, 0
	s_and_saveexec_b64 s[2:3], vcc
	s_cbranch_execz .LBB549_413
; %bb.408:
	s_movk_i32 s7, 0x80
	v_cmp_ne_u16_e32 vcc, s7, v18
	v_bfrev_b32_e32 v20, 1
	s_and_saveexec_b64 s[8:9], vcc
	s_cbranch_execz .LBB549_412
; %bb.409:
	s_movk_i32 s7, 0x7f
	v_and_b32_e32 v21, 0x7f, v18
	v_cmp_ne_u32_e32 vcc, s7, v21
	v_mov_b32_e32 v20, 0x7f800001
	s_and_saveexec_b64 s[10:11], vcc
	s_cbranch_execz .LBB549_411
; %bb.410:
	v_and_b32_e32 v20, 7, v18
	v_ffbh_u32_e32 v22, v20
	v_min_u32_e32 v25, 32, v22
	v_subrev_u32_e32 v22, 28, v25
	v_lshlrev_b64 v[22:23], v22, v[18:19]
	v_lshrrev_b32_e32 v24, 3, v21
	v_sub_u32_e32 v18, 29, v25
	v_and_b32_e32 v22, 7, v22
	v_cmp_gt_u32_e32 vcc, 8, v21
	v_cndmask_b32_e32 v18, v24, v18, vcc
	v_cndmask_b32_e32 v20, v20, v22, vcc
	v_lshlrev_b32_e32 v21, 16, v14
	v_bfrev_b32_e32 v22, 60
	v_lshlrev_b32_e32 v20, 20, v20
	v_and_b32_e32 v21, 0x80000000, v21
	v_lshl_add_u32 v18, v18, 23, v22
	v_or3_b32 v20, v21, v18, v20
.LBB549_411:
	s_or_b64 exec, exec, s[10:11]
.LBB549_412:
	s_or_b64 exec, exec, s[8:9]
.LBB549_413:
	s_or_b64 exec, exec, s[2:3]
	s_movk_i32 s2, 0xff
	v_and_b32_sdwa v21, v14, s2 dst_sel:DWORD dst_unused:UNUSED_PAD src0_sel:WORD_1 src1_sel:DWORD
	v_lshrrev_b32_e32 v18, 16, v14
	v_cmp_ne_u16_e32 vcc, 0, v21
	s_and_saveexec_b64 s[2:3], vcc
	s_cbranch_execz .LBB549_419
; %bb.414:
	s_movk_i32 s7, 0x80
	v_cmp_ne_u16_e32 vcc, s7, v21
	v_bfrev_b32_e32 v19, 1
	s_and_saveexec_b64 s[8:9], vcc
	s_cbranch_execz .LBB549_418
; %bb.415:
	v_bfe_u32 v21, v14, 16, 7
	s_movk_i32 s7, 0x7f
	v_cmp_ne_u32_e32 vcc, s7, v21
	v_mov_b32_e32 v19, 0x7f800001
	s_and_saveexec_b64 s[10:11], vcc
	s_cbranch_execz .LBB549_417
; %bb.416:
	v_and_b32_e32 v22, 7, v18
	v_ffbh_u32_e32 v19, v22
	v_min_u32_e32 v24, 32, v19
	v_subrev_u32_e32 v19, 28, v24
	v_lshlrev_b64 v[18:19], v19, v[18:19]
	v_lshrrev_b32_e32 v23, 3, v21
	v_sub_u32_e32 v19, 29, v24
	v_and_b32_e32 v18, 7, v18
	v_cmp_gt_u32_e32 vcc, 8, v21
	v_mov_b32_e32 v21, 24
	v_cndmask_b32_e32 v19, v23, v19, vcc
	v_cndmask_b32_e32 v18, v22, v18, vcc
	v_lshlrev_b32_sdwa v21, v21, v14 dst_sel:DWORD dst_unused:UNUSED_PAD src0_sel:DWORD src1_sel:WORD_1
	v_bfrev_b32_e32 v22, 60
	v_lshlrev_b32_e32 v18, 20, v18
	v_and_b32_e32 v21, 0x80000000, v21
	v_lshl_add_u32 v19, v19, 23, v22
	v_or3_b32 v19, v21, v19, v18
.LBB549_417:
	s_or_b64 exec, exec, s[10:11]
.LBB549_418:
	s_or_b64 exec, exec, s[8:9]
.LBB549_419:
	s_or_b64 exec, exec, s[2:3]
	s_mov_b32 s2, 0xffffff
	v_cmp_lt_u32_e32 vcc, s2, v14
	v_mov_b32_e32 v21, 0
	v_mov_b32_e32 v22, 0
	s_and_saveexec_b64 s[2:3], vcc
	s_cbranch_execz .LBB549_425
; %bb.420:
	v_lshrrev_b32_e32 v18, 24, v14
	s_movk_i32 s7, 0x80
	v_cmp_ne_u32_e32 vcc, s7, v18
	v_bfrev_b32_e32 v22, 1
	s_and_saveexec_b64 s[8:9], vcc
	s_cbranch_execz .LBB549_424
; %bb.421:
	v_bfe_u32 v14, v14, 24, 7
	s_movk_i32 s7, 0x7f
	v_cmp_ne_u32_e32 vcc, s7, v14
	v_mov_b32_e32 v22, 0x7f800001
	s_and_saveexec_b64 s[10:11], vcc
	s_cbranch_execz .LBB549_423
; %bb.422:
	v_and_b32_e32 v24, 7, v18
	v_ffbh_u32_e32 v22, v24
	v_min_u32_e32 v28, 32, v22
	v_subrev_u32_e32 v22, 28, v28
	v_lshlrev_b64 v[22:23], v22, v[18:19]
	v_lshrrev_b32_e32 v25, 3, v14
	v_sub_u32_e32 v23, 29, v28
	v_and_b32_e32 v22, 7, v22
	v_cmp_gt_u32_e32 vcc, 8, v14
	v_cndmask_b32_e32 v14, v25, v23, vcc
	v_cndmask_b32_e32 v22, v24, v22, vcc
	v_lshlrev_b32_e32 v18, 24, v18
	v_bfrev_b32_e32 v23, 60
	v_lshlrev_b32_e32 v22, 20, v22
	v_and_b32_e32 v18, 0x80000000, v18
	v_lshl_add_u32 v14, v14, 23, v23
	v_or3_b32 v22, v18, v14, v22
.LBB549_423:
	s_or_b64 exec, exec, s[10:11]
.LBB549_424:
	s_or_b64 exec, exec, s[8:9]
.LBB549_425:
	s_or_b64 exec, exec, s[2:3]
	v_cmp_ne_u16_sdwa s[8:9], v15, v21 src0_sel:BYTE_0 src1_sel:DWORD
	s_and_saveexec_b64 s[2:3], s[8:9]
	s_cbranch_execz .LBB549_431
; %bb.426:
	s_movk_i32 s7, 0x80
	v_cmp_ne_u16_sdwa s[10:11], v15, s7 src0_sel:BYTE_0 src1_sel:DWORD
	v_bfrev_b32_e32 v21, 1
	s_and_saveexec_b64 s[8:9], s[10:11]
	s_cbranch_execz .LBB549_430
; %bb.427:
	s_movk_i32 s7, 0x7f
	v_and_b32_e32 v14, 0x7f, v15
	v_cmp_ne_u32_e32 vcc, s7, v14
	v_mov_b32_e32 v21, 0x7f800001
	s_and_saveexec_b64 s[10:11], vcc
	s_cbranch_execz .LBB549_429
; %bb.428:
	v_and_b32_e32 v21, 7, v15
	v_ffbh_u32_e32 v24, v21
	v_min_u32_e32 v28, 32, v24
	v_mov_b32_e32 v18, v15
	v_subrev_u32_e32 v24, 28, v28
	v_lshlrev_b64 v[24:25], v24, v[18:19]
	v_lshrrev_b32_e32 v23, 3, v14
	v_sub_u32_e32 v18, 29, v28
	v_and_b32_e32 v24, 7, v24
	v_cmp_gt_u32_e32 vcc, 8, v14
	v_cndmask_b32_e32 v14, v23, v18, vcc
	v_cndmask_b32_e32 v18, v21, v24, vcc
	v_lshlrev_b32_e32 v21, 24, v15
	v_bfrev_b32_e32 v23, 60
	v_lshlrev_b32_e32 v18, 20, v18
	v_and_b32_e32 v21, 0x80000000, v21
	v_lshl_add_u32 v14, v14, 23, v23
	v_or3_b32 v21, v21, v14, v18
.LBB549_429:
	s_or_b64 exec, exec, s[10:11]
.LBB549_430:
	s_or_b64 exec, exec, s[8:9]
.LBB549_431:
	s_or_b64 exec, exec, s[2:3]
	v_lshrrev_b16_e32 v14, 8, v15
	v_cmp_ne_u16_e32 vcc, 0, v14
	v_mov_b32_e32 v18, 0
	v_mov_b32_e32 v24, 0
	s_and_saveexec_b64 s[2:3], vcc
	s_cbranch_execz .LBB549_437
; %bb.432:
	s_movk_i32 s7, 0x80
	v_cmp_ne_u16_e32 vcc, s7, v14
	v_bfrev_b32_e32 v24, 1
	s_and_saveexec_b64 s[8:9], vcc
	s_cbranch_execz .LBB549_436
; %bb.433:
	s_movk_i32 s7, 0x7f
	v_and_b32_e32 v23, 0x7f, v14
	v_cmp_ne_u32_e32 vcc, s7, v23
	v_mov_b32_e32 v24, 0x7f800001
	s_and_saveexec_b64 s[10:11], vcc
	s_cbranch_execz .LBB549_435
; %bb.434:
	v_and_b32_e32 v28, 7, v14
	v_ffbh_u32_e32 v24, v28
	v_min_u32_e32 v30, 32, v24
	v_subrev_u32_e32 v24, 28, v30
	v_lshlrev_b64 v[24:25], v24, v[14:15]
	v_lshrrev_b32_e32 v29, 3, v23
	v_sub_u32_e32 v14, 29, v30
	v_and_b32_e32 v24, 7, v24
	v_cmp_gt_u32_e32 vcc, 8, v23
	v_cndmask_b32_e32 v14, v29, v14, vcc
	v_cndmask_b32_e32 v23, v28, v24, vcc
	v_lshlrev_b32_e32 v24, 16, v15
	v_bfrev_b32_e32 v25, 60
	v_lshlrev_b32_e32 v23, 20, v23
	v_and_b32_e32 v24, 0x80000000, v24
	v_lshl_add_u32 v14, v14, 23, v25
	v_or3_b32 v24, v24, v14, v23
.LBB549_435:
	s_or_b64 exec, exec, s[10:11]
.LBB549_436:
	s_or_b64 exec, exec, s[8:9]
.LBB549_437:
	s_or_b64 exec, exec, s[2:3]
	s_movk_i32 s2, 0xff
	v_and_b32_sdwa v23, v15, s2 dst_sel:DWORD dst_unused:UNUSED_PAD src0_sel:WORD_1 src1_sel:DWORD
	v_lshrrev_b32_e32 v14, 16, v15
	v_cmp_ne_u16_e32 vcc, 0, v23
	s_and_saveexec_b64 s[2:3], vcc
	s_cbranch_execz .LBB549_443
; %bb.438:
	s_movk_i32 s7, 0x80
	v_cmp_ne_u16_e32 vcc, s7, v23
	v_bfrev_b32_e32 v18, 1
	s_and_saveexec_b64 s[8:9], vcc
	s_cbranch_execz .LBB549_442
; %bb.439:
	v_bfe_u32 v23, v15, 16, 7
	s_movk_i32 s7, 0x7f
	v_cmp_ne_u32_e32 vcc, s7, v23
	v_mov_b32_e32 v18, 0x7f800001
	s_and_saveexec_b64 s[10:11], vcc
	s_cbranch_execz .LBB549_441
; %bb.440:
	v_and_b32_e32 v18, 7, v14
	v_ffbh_u32_e32 v28, v18
	v_min_u32_e32 v30, 32, v28
	v_subrev_u32_e32 v28, 28, v30
	v_lshlrev_b64 v[28:29], v28, v[14:15]
	v_lshrrev_b32_e32 v25, 3, v23
	v_sub_u32_e32 v14, 29, v30
	v_and_b32_e32 v28, 7, v28
	v_cmp_gt_u32_e32 vcc, 8, v23
	v_mov_b32_e32 v23, 24
	v_cndmask_b32_e32 v14, v25, v14, vcc
	v_cndmask_b32_e32 v18, v18, v28, vcc
	v_lshlrev_b32_sdwa v23, v23, v15 dst_sel:DWORD dst_unused:UNUSED_PAD src0_sel:DWORD src1_sel:WORD_1
	v_bfrev_b32_e32 v25, 60
	v_lshlrev_b32_e32 v18, 20, v18
	v_and_b32_e32 v23, 0x80000000, v23
	v_lshl_add_u32 v14, v14, 23, v25
	v_or3_b32 v18, v23, v14, v18
.LBB549_441:
	s_or_b64 exec, exec, s[10:11]
.LBB549_442:
	s_or_b64 exec, exec, s[8:9]
.LBB549_443:
	s_or_b64 exec, exec, s[2:3]
	s_mov_b32 s2, 0xffffff
	v_cmp_lt_u32_e32 vcc, s2, v15
	v_mov_b32_e32 v23, 0
	v_mov_b32_e32 v25, 0
	s_and_saveexec_b64 s[2:3], vcc
	s_cbranch_execz .LBB549_449
; %bb.444:
	v_lshrrev_b32_e32 v14, 24, v15
	s_movk_i32 s7, 0x80
	v_cmp_ne_u32_e32 vcc, s7, v14
	v_bfrev_b32_e32 v25, 1
	s_and_saveexec_b64 s[8:9], vcc
	s_cbranch_execz .LBB549_448
; %bb.445:
	v_bfe_u32 v15, v15, 24, 7
	s_movk_i32 s7, 0x7f
	v_cmp_ne_u32_e32 vcc, s7, v15
	v_mov_b32_e32 v25, 0x7f800001
	s_and_saveexec_b64 s[10:11], vcc
	s_cbranch_execz .LBB549_447
; %bb.446:
	v_and_b32_e32 v25, 7, v14
	v_ffbh_u32_e32 v28, v25
	v_min_u32_e32 v31, 32, v28
	v_subrev_u32_e32 v28, 28, v31
	v_lshlrev_b64 v[28:29], v28, v[14:15]
	v_lshrrev_b32_e32 v30, 3, v15
	v_sub_u32_e32 v29, 29, v31
	v_and_b32_e32 v28, 7, v28
	v_cmp_gt_u32_e32 vcc, 8, v15
	v_cndmask_b32_e32 v15, v30, v29, vcc
	v_cndmask_b32_e32 v25, v25, v28, vcc
	v_lshlrev_b32_e32 v14, 24, v14
	v_bfrev_b32_e32 v28, 60
	v_lshlrev_b32_e32 v25, 20, v25
	v_and_b32_e32 v14, 0x80000000, v14
	v_lshl_add_u32 v15, v15, 23, v28
	v_or3_b32 v25, v14, v15, v25
.LBB549_447:
	s_or_b64 exec, exec, s[10:11]
.LBB549_448:
	s_or_b64 exec, exec, s[8:9]
.LBB549_449:
	s_or_b64 exec, exec, s[2:3]
	v_cvt_pkrtz_f16_f32 v15, v19, v22
	v_lshl_or_b32 v22, v1, 9, v27
	v_cvt_pkrtz_f16_f32 v14, v32, v20
	ds_read_b128 v[28:31], v22
	v_cmp_ne_u16_sdwa s[8:9], v16, v23 src0_sel:BYTE_0 src1_sel:DWORD
	s_waitcnt lgkmcnt(0)
	v_mfma_f32_16x16x16f16 v[32:35], v[14:15], v[28:29], 0
	v_cvt_pkrtz_f16_f32 v14, v21, v24
	v_cvt_pkrtz_f16_f32 v15, v18, v25
	s_nop 1
	v_mfma_f32_16x16x16f16 v[18:21], v[14:15], v[30:31], v[32:35]
	s_and_saveexec_b64 s[2:3], s[8:9]
	s_cbranch_execz .LBB549_455
; %bb.450:
	s_movk_i32 s7, 0x80
	v_cmp_ne_u16_sdwa s[10:11], v16, s7 src0_sel:BYTE_0 src1_sel:DWORD
	v_bfrev_b32_e32 v23, 1
	s_and_saveexec_b64 s[8:9], s[10:11]
	s_cbranch_execz .LBB549_454
; %bb.451:
	s_movk_i32 s7, 0x7f
	v_and_b32_e32 v14, 0x7f, v16
	v_cmp_ne_u32_e32 vcc, s7, v14
	v_mov_b32_e32 v23, 0x7f800001
	s_and_saveexec_b64 s[10:11], vcc
	s_cbranch_execz .LBB549_453
; %bb.452:
	v_and_b32_e32 v15, 7, v16
	v_ffbh_u32_e32 v24, v15
	v_min_u32_e32 v27, 32, v24
	v_subrev_u32_e32 v24, 28, v27
	v_lshlrev_b64 v[24:25], v24, v[16:17]
	v_lshrrev_b32_e32 v23, 3, v14
	v_sub_u32_e32 v25, 29, v27
	v_and_b32_e32 v24, 7, v24
	v_cmp_gt_u32_e32 vcc, 8, v14
	v_cndmask_b32_e32 v14, v23, v25, vcc
	v_cndmask_b32_e32 v15, v15, v24, vcc
	v_lshlrev_b32_e32 v23, 24, v16
	v_bfrev_b32_e32 v24, 60
	v_lshlrev_b32_e32 v15, 20, v15
	v_and_b32_e32 v23, 0x80000000, v23
	v_lshl_add_u32 v14, v14, 23, v24
	v_or3_b32 v23, v23, v14, v15
.LBB549_453:
	s_or_b64 exec, exec, s[10:11]
.LBB549_454:
	s_or_b64 exec, exec, s[8:9]
.LBB549_455:
	s_or_b64 exec, exec, s[2:3]
	v_lshrrev_b16_e32 v14, 8, v16
	v_cmp_ne_u16_e32 vcc, 0, v14
	v_mov_b32_e32 v15, 0
	v_mov_b32_e32 v25, 0
	s_and_saveexec_b64 s[2:3], vcc
	s_cbranch_execz .LBB549_461
; %bb.456:
	s_movk_i32 s7, 0x80
	v_cmp_ne_u16_e32 vcc, s7, v14
	v_bfrev_b32_e32 v25, 1
	s_and_saveexec_b64 s[8:9], vcc
	s_cbranch_execz .LBB549_460
; %bb.457:
	s_movk_i32 s7, 0x7f
	v_and_b32_e32 v24, 0x7f, v14
	v_cmp_ne_u32_e32 vcc, s7, v24
	v_mov_b32_e32 v25, 0x7f800001
	s_and_saveexec_b64 s[10:11], vcc
	s_cbranch_execz .LBB549_459
; %bb.458:
	v_and_b32_e32 v25, 7, v14
	v_ffbh_u32_e32 v28, v25
	v_min_u32_e32 v30, 32, v28
	v_subrev_u32_e32 v28, 28, v30
	v_lshlrev_b64 v[28:29], v28, v[14:15]
	v_lshrrev_b32_e32 v27, 3, v24
	v_sub_u32_e32 v14, 29, v30
	v_and_b32_e32 v28, 7, v28
	v_cmp_gt_u32_e32 vcc, 8, v24
	v_cndmask_b32_e32 v14, v27, v14, vcc
	v_cndmask_b32_e32 v24, v25, v28, vcc
	v_lshlrev_b32_e32 v25, 16, v16
	v_bfrev_b32_e32 v27, 60
	v_lshlrev_b32_e32 v24, 20, v24
	v_and_b32_e32 v25, 0x80000000, v25
	v_lshl_add_u32 v14, v14, 23, v27
	v_or3_b32 v25, v25, v14, v24
.LBB549_459:
	s_or_b64 exec, exec, s[10:11]
.LBB549_460:
	s_or_b64 exec, exec, s[8:9]
.LBB549_461:
	s_or_b64 exec, exec, s[2:3]
	s_movk_i32 s2, 0xff
	v_and_b32_sdwa v24, v16, s2 dst_sel:DWORD dst_unused:UNUSED_PAD src0_sel:WORD_1 src1_sel:DWORD
	v_lshrrev_b32_e32 v14, 16, v16
	v_cmp_ne_u16_e32 vcc, 0, v24
	s_and_saveexec_b64 s[2:3], vcc
	s_cbranch_execz .LBB549_467
; %bb.462:
	s_movk_i32 s7, 0x80
	v_cmp_ne_u16_e32 vcc, s7, v24
	v_bfrev_b32_e32 v15, 1
	s_and_saveexec_b64 s[8:9], vcc
	s_cbranch_execz .LBB549_466
; %bb.463:
	v_bfe_u32 v24, v16, 16, 7
	s_movk_i32 s7, 0x7f
	v_cmp_ne_u32_e32 vcc, s7, v24
	v_mov_b32_e32 v15, 0x7f800001
	s_and_saveexec_b64 s[10:11], vcc
	s_cbranch_execz .LBB549_465
; %bb.464:
	v_and_b32_e32 v27, 7, v14
	v_ffbh_u32_e32 v15, v27
	v_min_u32_e32 v29, 32, v15
	v_subrev_u32_e32 v15, 28, v29
	v_lshlrev_b64 v[14:15], v15, v[14:15]
	v_lshrrev_b32_e32 v28, 3, v24
	v_sub_u32_e32 v15, 29, v29
	v_and_b32_e32 v14, 7, v14
	v_cmp_gt_u32_e32 vcc, 8, v24
	v_mov_b32_e32 v24, 24
	v_cndmask_b32_e32 v15, v28, v15, vcc
	v_cndmask_b32_e32 v14, v27, v14, vcc
	v_lshlrev_b32_sdwa v24, v24, v16 dst_sel:DWORD dst_unused:UNUSED_PAD src0_sel:DWORD src1_sel:WORD_1
	v_bfrev_b32_e32 v27, 60
	v_lshlrev_b32_e32 v14, 20, v14
	v_and_b32_e32 v24, 0x80000000, v24
	v_lshl_add_u32 v15, v15, 23, v27
	v_or3_b32 v15, v24, v15, v14
.LBB549_465:
	s_or_b64 exec, exec, s[10:11]
.LBB549_466:
	s_or_b64 exec, exec, s[8:9]
.LBB549_467:
	s_or_b64 exec, exec, s[2:3]
	s_mov_b32 s2, 0xffffff
	v_cmp_lt_u32_e32 vcc, s2, v16
	v_mov_b32_e32 v27, 0
	v_mov_b32_e32 v28, 0
	s_and_saveexec_b64 s[2:3], vcc
	s_cbranch_execz .LBB549_473
; %bb.468:
	v_lshrrev_b32_e32 v14, 24, v16
	s_movk_i32 s7, 0x80
	v_cmp_ne_u32_e32 vcc, s7, v14
	v_bfrev_b32_e32 v28, 1
	s_and_saveexec_b64 s[8:9], vcc
	s_cbranch_execz .LBB549_472
; %bb.469:
	v_bfe_u32 v16, v16, 24, 7
	s_movk_i32 s7, 0x7f
	v_cmp_ne_u32_e32 vcc, s7, v16
	v_mov_b32_e32 v28, 0x7f800001
	s_and_saveexec_b64 s[10:11], vcc
	s_cbranch_execz .LBB549_471
; %bb.470:
	v_and_b32_e32 v24, 7, v14
	v_ffbh_u32_e32 v28, v24
	v_min_u32_e32 v31, 32, v28
	v_subrev_u32_e32 v28, 28, v31
	v_lshlrev_b64 v[28:29], v28, v[14:15]
	v_lshrrev_b32_e32 v30, 3, v16
	v_sub_u32_e32 v29, 29, v31
	v_and_b32_e32 v28, 7, v28
	v_cmp_gt_u32_e32 vcc, 8, v16
	v_cndmask_b32_e32 v16, v30, v29, vcc
	v_cndmask_b32_e32 v24, v24, v28, vcc
	v_lshlrev_b32_e32 v14, 24, v14
	v_bfrev_b32_e32 v28, 60
	v_lshlrev_b32_e32 v24, 20, v24
	v_and_b32_e32 v14, 0x80000000, v14
	v_lshl_add_u32 v16, v16, 23, v28
	v_or3_b32 v28, v14, v16, v24
.LBB549_471:
	s_or_b64 exec, exec, s[10:11]
.LBB549_472:
	s_or_b64 exec, exec, s[8:9]
.LBB549_473:
	s_or_b64 exec, exec, s[2:3]
	v_cmp_ne_u16_sdwa s[8:9], v17, v27 src0_sel:BYTE_0 src1_sel:DWORD
	s_and_saveexec_b64 s[2:3], s[8:9]
	s_cbranch_execz .LBB549_479
; %bb.474:
	s_movk_i32 s7, 0x80
	v_cmp_ne_u16_sdwa s[10:11], v17, s7 src0_sel:BYTE_0 src1_sel:DWORD
	v_bfrev_b32_e32 v27, 1
	s_and_saveexec_b64 s[8:9], s[10:11]
	s_cbranch_execz .LBB549_478
; %bb.475:
	s_movk_i32 s7, 0x7f
	v_and_b32_e32 v14, 0x7f, v17
	v_cmp_ne_u32_e32 vcc, s7, v14
	v_mov_b32_e32 v27, 0x7f800001
	s_and_saveexec_b64 s[10:11], vcc
	s_cbranch_execz .LBB549_477
; %bb.476:
	v_and_b32_e32 v24, 7, v17
	v_ffbh_u32_e32 v29, v24
	v_min_u32_e32 v29, 32, v29
	v_mov_b32_e32 v16, v17
	v_subrev_u32_e32 v30, 28, v29
	v_lshlrev_b64 v[30:31], v30, v[16:17]
	v_lshrrev_b32_e32 v27, 3, v14
	v_sub_u32_e32 v16, 29, v29
	v_and_b32_e32 v29, 7, v30
	v_cmp_gt_u32_e32 vcc, 8, v14
	v_cndmask_b32_e32 v14, v27, v16, vcc
	v_cndmask_b32_e32 v16, v24, v29, vcc
	v_lshlrev_b32_e32 v24, 24, v17
	v_bfrev_b32_e32 v27, 60
	v_lshlrev_b32_e32 v16, 20, v16
	v_and_b32_e32 v24, 0x80000000, v24
	v_lshl_add_u32 v14, v14, 23, v27
	v_or3_b32 v27, v24, v14, v16
.LBB549_477:
	s_or_b64 exec, exec, s[10:11]
.LBB549_478:
	s_or_b64 exec, exec, s[8:9]
.LBB549_479:
	s_or_b64 exec, exec, s[2:3]
	v_lshrrev_b16_e32 v14, 8, v17
	v_cmp_ne_u16_e32 vcc, 0, v14
	v_mov_b32_e32 v16, 0
	v_mov_b32_e32 v29, 0
	s_and_saveexec_b64 s[2:3], vcc
	s_cbranch_execz .LBB549_485
; %bb.480:
	s_movk_i32 s7, 0x80
	v_cmp_ne_u16_e32 vcc, s7, v14
	v_bfrev_b32_e32 v29, 1
	s_and_saveexec_b64 s[8:9], vcc
	s_cbranch_execz .LBB549_484
; %bb.481:
	s_movk_i32 s7, 0x7f
	v_and_b32_e32 v24, 0x7f, v14
	v_cmp_ne_u32_e32 vcc, s7, v24
	v_mov_b32_e32 v29, 0x7f800001
	s_and_saveexec_b64 s[10:11], vcc
	s_cbranch_execz .LBB549_483
; %bb.482:
	v_and_b32_e32 v29, 7, v14
	v_ffbh_u32_e32 v30, v29
	v_min_u32_e32 v33, 32, v30
	v_subrev_u32_e32 v30, 28, v33
	v_lshlrev_b64 v[30:31], v30, v[14:15]
	v_lshrrev_b32_e32 v32, 3, v24
	v_sub_u32_e32 v14, 29, v33
	v_and_b32_e32 v30, 7, v30
	v_cmp_gt_u32_e32 vcc, 8, v24
	v_cndmask_b32_e32 v14, v32, v14, vcc
	v_cndmask_b32_e32 v24, v29, v30, vcc
	v_lshlrev_b32_e32 v29, 16, v17
	v_bfrev_b32_e32 v30, 60
	v_lshlrev_b32_e32 v24, 20, v24
	v_and_b32_e32 v29, 0x80000000, v29
	v_lshl_add_u32 v14, v14, 23, v30
	v_or3_b32 v29, v29, v14, v24
.LBB549_483:
	s_or_b64 exec, exec, s[10:11]
.LBB549_484:
	s_or_b64 exec, exec, s[8:9]
.LBB549_485:
	s_or_b64 exec, exec, s[2:3]
	s_movk_i32 s2, 0xff
	v_and_b32_sdwa v24, v17, s2 dst_sel:DWORD dst_unused:UNUSED_PAD src0_sel:WORD_1 src1_sel:DWORD
	v_lshrrev_b32_e32 v14, 16, v17
	v_cmp_ne_u16_e32 vcc, 0, v24
	s_and_saveexec_b64 s[2:3], vcc
	s_cbranch_execz .LBB549_491
; %bb.486:
	s_movk_i32 s7, 0x80
	v_cmp_ne_u16_e32 vcc, s7, v24
	v_bfrev_b32_e32 v16, 1
	s_and_saveexec_b64 s[8:9], vcc
	s_cbranch_execz .LBB549_490
; %bb.487:
	v_bfe_u32 v24, v17, 16, 7
	s_movk_i32 s7, 0x7f
	v_cmp_ne_u32_e32 vcc, s7, v24
	v_mov_b32_e32 v16, 0x7f800001
	s_and_saveexec_b64 s[10:11], vcc
	s_cbranch_execz .LBB549_489
; %bb.488:
	v_and_b32_e32 v16, 7, v14
	v_ffbh_u32_e32 v30, v16
	v_min_u32_e32 v33, 32, v30
	v_subrev_u32_e32 v30, 28, v33
	v_lshlrev_b64 v[30:31], v30, v[14:15]
	v_lshrrev_b32_e32 v32, 3, v24
	v_sub_u32_e32 v14, 29, v33
	v_and_b32_e32 v30, 7, v30
	v_cmp_gt_u32_e32 vcc, 8, v24
	v_mov_b32_e32 v24, 24
	v_cndmask_b32_e32 v14, v32, v14, vcc
	v_cndmask_b32_e32 v16, v16, v30, vcc
	v_lshlrev_b32_sdwa v24, v24, v17 dst_sel:DWORD dst_unused:UNUSED_PAD src0_sel:DWORD src1_sel:WORD_1
	v_bfrev_b32_e32 v30, 60
	v_lshlrev_b32_e32 v16, 20, v16
	v_and_b32_e32 v24, 0x80000000, v24
	v_lshl_add_u32 v14, v14, 23, v30
	v_or3_b32 v16, v24, v14, v16
.LBB549_489:
	s_or_b64 exec, exec, s[10:11]
.LBB549_490:
	s_or_b64 exec, exec, s[8:9]
.LBB549_491:
	s_or_b64 exec, exec, s[2:3]
	s_mov_b32 s2, 0xffffff
	v_cmp_lt_u32_e32 vcc, s2, v17
	v_mov_b32_e32 v24, 0
	v_mov_b32_e32 v30, 0
	s_and_saveexec_b64 s[2:3], vcc
	s_cbranch_execz .LBB549_497
; %bb.492:
	v_lshrrev_b32_e32 v14, 24, v17
	s_movk_i32 s7, 0x80
	v_cmp_ne_u32_e32 vcc, s7, v14
	v_bfrev_b32_e32 v30, 1
	s_and_saveexec_b64 s[8:9], vcc
	s_cbranch_execz .LBB549_496
; %bb.493:
	v_bfe_u32 v17, v17, 24, 7
	s_movk_i32 s7, 0x7f
	v_cmp_ne_u32_e32 vcc, s7, v17
	v_mov_b32_e32 v30, 0x7f800001
	s_and_saveexec_b64 s[10:11], vcc
	s_cbranch_execz .LBB549_495
; %bb.494:
	v_and_b32_e32 v32, 7, v14
	v_ffbh_u32_e32 v30, v32
	v_min_u32_e32 v34, 32, v30
	v_subrev_u32_e32 v30, 28, v34
	v_lshlrev_b64 v[30:31], v30, v[14:15]
	v_lshrrev_b32_e32 v33, 3, v17
	v_sub_u32_e32 v31, 29, v34
	v_and_b32_e32 v30, 7, v30
	v_cmp_gt_u32_e32 vcc, 8, v17
	v_cndmask_b32_e32 v17, v33, v31, vcc
	v_cndmask_b32_e32 v30, v32, v30, vcc
	v_lshlrev_b32_e32 v14, 24, v14
	v_bfrev_b32_e32 v31, 60
	v_lshlrev_b32_e32 v30, 20, v30
	v_and_b32_e32 v14, 0x80000000, v14
	v_lshl_add_u32 v17, v17, 23, v31
	v_or3_b32 v30, v14, v17, v30
.LBB549_495:
	s_or_b64 exec, exec, s[10:11]
.LBB549_496:
	s_or_b64 exec, exec, s[8:9]
.LBB549_497:
	s_or_b64 exec, exec, s[2:3]
	v_cvt_pkrtz_f16_f32 v14, v23, v25
	v_cvt_pkrtz_f16_f32 v15, v15, v28
	ds_read_b128 v[32:35], v22 offset:16
	s_waitcnt vmcnt(2)
	v_cmp_ne_u16_sdwa s[8:9], v10, v24 src0_sel:BYTE_0 src1_sel:DWORD
	s_waitcnt lgkmcnt(0)
	v_mfma_f32_16x16x16f16 v[18:21], v[14:15], v[32:33], v[18:21]
	v_cvt_pkrtz_f16_f32 v14, v27, v29
	v_cvt_pkrtz_f16_f32 v15, v16, v30
	s_nop 1
	v_mfma_f32_16x16x16f16 v[14:17], v[14:15], v[34:35], v[18:21]
	s_and_saveexec_b64 s[2:3], s[8:9]
	s_cbranch_execz .LBB549_503
; %bb.498:
	s_movk_i32 s7, 0x80
	v_cmp_ne_u16_sdwa s[10:11], v10, s7 src0_sel:BYTE_0 src1_sel:DWORD
	v_bfrev_b32_e32 v24, 1
	s_and_saveexec_b64 s[8:9], s[10:11]
	s_cbranch_execz .LBB549_502
; %bb.499:
	s_movk_i32 s7, 0x7f
	v_and_b32_e32 v18, 0x7f, v10
	v_cmp_ne_u32_e32 vcc, s7, v18
	v_mov_b32_e32 v24, 0x7f800001
	s_and_saveexec_b64 s[10:11], vcc
	s_cbranch_execz .LBB549_501
; %bb.500:
	v_and_b32_e32 v19, 7, v10
	v_ffbh_u32_e32 v20, v19
	v_min_u32_e32 v24, 32, v20
	v_subrev_u32_e32 v20, 28, v24
	v_lshlrev_b64 v[20:21], v20, v[10:11]
	v_lshrrev_b32_e32 v23, 3, v18
	v_sub_u32_e32 v21, 29, v24
	v_and_b32_e32 v20, 7, v20
	v_cmp_gt_u32_e32 vcc, 8, v18
	v_cndmask_b32_e32 v18, v23, v21, vcc
	v_cndmask_b32_e32 v19, v19, v20, vcc
	v_lshlrev_b32_e32 v20, 24, v10
	v_bfrev_b32_e32 v21, 60
	v_lshlrev_b32_e32 v19, 20, v19
	v_and_b32_e32 v20, 0x80000000, v20
	v_lshl_add_u32 v18, v18, 23, v21
	v_or3_b32 v24, v20, v18, v19
.LBB549_501:
	s_or_b64 exec, exec, s[10:11]
.LBB549_502:
	s_or_b64 exec, exec, s[8:9]
.LBB549_503:
	s_or_b64 exec, exec, s[2:3]
	s_nop 3
	v_lshrrev_b16_e32 v18, 8, v10
	v_cmp_ne_u16_e32 vcc, 0, v18
	v_mov_b32_e32 v19, 0
	v_mov_b32_e32 v20, 0
	s_and_saveexec_b64 s[2:3], vcc
	s_cbranch_execz .LBB549_509
; %bb.504:
	s_movk_i32 s7, 0x80
	v_cmp_ne_u16_e32 vcc, s7, v18
	v_bfrev_b32_e32 v20, 1
	s_and_saveexec_b64 s[8:9], vcc
	s_cbranch_execz .LBB549_508
; %bb.505:
	s_movk_i32 s7, 0x7f
	v_and_b32_e32 v21, 0x7f, v18
	v_cmp_ne_u32_e32 vcc, s7, v21
	v_mov_b32_e32 v20, 0x7f800001
	s_and_saveexec_b64 s[10:11], vcc
	s_cbranch_execz .LBB549_507
; %bb.506:
	v_and_b32_e32 v20, 7, v18
	v_ffbh_u32_e32 v25, v20
	v_min_u32_e32 v25, 32, v25
	v_subrev_u32_e32 v27, 28, v25
	v_lshlrev_b64 v[28:29], v27, v[18:19]
	v_lshrrev_b32_e32 v23, 3, v21
	v_sub_u32_e32 v18, 29, v25
	v_and_b32_e32 v25, 7, v28
	v_cmp_gt_u32_e32 vcc, 8, v21
	v_cndmask_b32_e32 v18, v23, v18, vcc
	v_cndmask_b32_e32 v20, v20, v25, vcc
	v_lshlrev_b32_e32 v21, 16, v10
	v_bfrev_b32_e32 v23, 60
	v_lshlrev_b32_e32 v20, 20, v20
	v_and_b32_e32 v21, 0x80000000, v21
	v_lshl_add_u32 v18, v18, 23, v23
	v_or3_b32 v20, v21, v18, v20
.LBB549_507:
	s_or_b64 exec, exec, s[10:11]
.LBB549_508:
	s_or_b64 exec, exec, s[8:9]
.LBB549_509:
	s_or_b64 exec, exec, s[2:3]
	s_movk_i32 s2, 0xff
	v_and_b32_sdwa v21, v10, s2 dst_sel:DWORD dst_unused:UNUSED_PAD src0_sel:WORD_1 src1_sel:DWORD
	v_lshrrev_b32_e32 v18, 16, v10
	v_cmp_ne_u16_e32 vcc, 0, v21
	s_and_saveexec_b64 s[2:3], vcc
	s_cbranch_execz .LBB549_515
; %bb.510:
	s_movk_i32 s7, 0x80
	v_cmp_ne_u16_e32 vcc, s7, v21
	v_bfrev_b32_e32 v19, 1
	s_and_saveexec_b64 s[8:9], vcc
	s_cbranch_execz .LBB549_514
; %bb.511:
	v_bfe_u32 v21, v10, 16, 7
	s_movk_i32 s7, 0x7f
	v_cmp_ne_u32_e32 vcc, s7, v21
	v_mov_b32_e32 v19, 0x7f800001
	s_and_saveexec_b64 s[10:11], vcc
	s_cbranch_execz .LBB549_513
; %bb.512:
	v_and_b32_e32 v23, 7, v18
	v_ffbh_u32_e32 v19, v23
	v_min_u32_e32 v27, 32, v19
	v_subrev_u32_e32 v19, 28, v27
	v_lshlrev_b64 v[18:19], v19, v[18:19]
	v_lshrrev_b32_e32 v25, 3, v21
	v_sub_u32_e32 v19, 29, v27
	v_and_b32_e32 v18, 7, v18
	v_cmp_gt_u32_e32 vcc, 8, v21
	v_mov_b32_e32 v21, 24
	v_cndmask_b32_e32 v19, v25, v19, vcc
	v_cndmask_b32_e32 v18, v23, v18, vcc
	v_lshlrev_b32_sdwa v21, v21, v10 dst_sel:DWORD dst_unused:UNUSED_PAD src0_sel:DWORD src1_sel:WORD_1
	v_bfrev_b32_e32 v23, 60
	v_lshlrev_b32_e32 v18, 20, v18
	v_and_b32_e32 v21, 0x80000000, v21
	v_lshl_add_u32 v19, v19, 23, v23
	v_or3_b32 v19, v21, v19, v18
.LBB549_513:
	s_or_b64 exec, exec, s[10:11]
.LBB549_514:
	s_or_b64 exec, exec, s[8:9]
.LBB549_515:
	s_or_b64 exec, exec, s[2:3]
	s_mov_b32 s2, 0xffffff
	v_cmp_lt_u32_e32 vcc, s2, v10
	v_mov_b32_e32 v21, 0
	v_mov_b32_e32 v23, 0
	s_and_saveexec_b64 s[2:3], vcc
	s_cbranch_execz .LBB549_521
; %bb.516:
	v_lshrrev_b32_e32 v18, 24, v10
	s_movk_i32 s7, 0x80
	v_cmp_ne_u32_e32 vcc, s7, v18
	v_bfrev_b32_e32 v23, 1
	s_and_saveexec_b64 s[8:9], vcc
	s_cbranch_execz .LBB549_520
; %bb.517:
	v_bfe_u32 v10, v10, 24, 7
	s_movk_i32 s7, 0x7f
	v_cmp_ne_u32_e32 vcc, s7, v10
	v_mov_b32_e32 v23, 0x7f800001
	s_and_saveexec_b64 s[10:11], vcc
	s_cbranch_execz .LBB549_519
; %bb.518:
	v_and_b32_e32 v23, 7, v18
	v_ffbh_u32_e32 v27, v23
	v_min_u32_e32 v27, 32, v27
	v_subrev_u32_e32 v28, 28, v27
	v_lshlrev_b64 v[28:29], v28, v[18:19]
	v_lshrrev_b32_e32 v25, 3, v10
	v_sub_u32_e32 v27, 29, v27
	v_and_b32_e32 v28, 7, v28
	v_cmp_gt_u32_e32 vcc, 8, v10
	v_cndmask_b32_e32 v10, v25, v27, vcc
	v_cndmask_b32_e32 v23, v23, v28, vcc
	v_lshlrev_b32_e32 v18, 24, v18
	v_bfrev_b32_e32 v25, 60
	v_lshlrev_b32_e32 v23, 20, v23
	v_and_b32_e32 v18, 0x80000000, v18
	v_lshl_add_u32 v10, v10, 23, v25
	v_or3_b32 v23, v18, v10, v23
.LBB549_519:
	s_or_b64 exec, exec, s[10:11]
.LBB549_520:
	s_or_b64 exec, exec, s[8:9]
.LBB549_521:
	s_or_b64 exec, exec, s[2:3]
	v_cmp_ne_u16_sdwa s[8:9], v11, v21 src0_sel:BYTE_0 src1_sel:DWORD
	s_and_saveexec_b64 s[2:3], s[8:9]
	s_cbranch_execz .LBB549_527
; %bb.522:
	s_movk_i32 s7, 0x80
	v_cmp_ne_u16_sdwa s[10:11], v11, s7 src0_sel:BYTE_0 src1_sel:DWORD
	v_bfrev_b32_e32 v21, 1
	s_and_saveexec_b64 s[8:9], s[10:11]
	s_cbranch_execz .LBB549_526
; %bb.523:
	s_movk_i32 s7, 0x7f
	v_and_b32_e32 v10, 0x7f, v11
	v_cmp_ne_u32_e32 vcc, s7, v10
	v_mov_b32_e32 v21, 0x7f800001
	s_and_saveexec_b64 s[10:11], vcc
	s_cbranch_execz .LBB549_525
; %bb.524:
	v_and_b32_e32 v21, 7, v11
	v_ffbh_u32_e32 v27, v21
	v_min_u32_e32 v27, 32, v27
	v_mov_b32_e32 v18, v11
	v_subrev_u32_e32 v28, 28, v27
	v_lshlrev_b64 v[28:29], v28, v[18:19]
	v_lshrrev_b32_e32 v25, 3, v10
	v_sub_u32_e32 v18, 29, v27
	v_and_b32_e32 v27, 7, v28
	v_cmp_gt_u32_e32 vcc, 8, v10
	v_cndmask_b32_e32 v10, v25, v18, vcc
	v_cndmask_b32_e32 v18, v21, v27, vcc
	v_lshlrev_b32_e32 v21, 24, v11
	v_bfrev_b32_e32 v25, 60
	v_lshlrev_b32_e32 v18, 20, v18
	v_and_b32_e32 v21, 0x80000000, v21
	v_lshl_add_u32 v10, v10, 23, v25
	v_or3_b32 v21, v21, v10, v18
.LBB549_525:
	s_or_b64 exec, exec, s[10:11]
.LBB549_526:
	s_or_b64 exec, exec, s[8:9]
.LBB549_527:
	s_or_b64 exec, exec, s[2:3]
	v_lshrrev_b16_e32 v10, 8, v11
	v_cmp_ne_u16_e32 vcc, 0, v10
	v_mov_b32_e32 v25, 0
	v_mov_b32_e32 v27, 0
	s_and_saveexec_b64 s[2:3], vcc
	s_cbranch_execz .LBB549_533
; %bb.528:
	s_movk_i32 s7, 0x80
	v_cmp_ne_u16_e32 vcc, s7, v10
	v_bfrev_b32_e32 v27, 1
	s_and_saveexec_b64 s[8:9], vcc
	s_cbranch_execz .LBB549_532
; %bb.529:
	s_movk_i32 s7, 0x7f
	v_and_b32_e32 v18, 0x7f, v10
	v_cmp_ne_u32_e32 vcc, s7, v18
	v_mov_b32_e32 v27, 0x7f800001
	s_and_saveexec_b64 s[10:11], vcc
	s_cbranch_execz .LBB549_531
; %bb.530:
	v_and_b32_e32 v27, 7, v10
	v_ffbh_u32_e32 v28, v27
	v_min_u32_e32 v31, 32, v28
	v_subrev_u32_e32 v28, 28, v31
	v_lshlrev_b64 v[28:29], v28, v[10:11]
	v_lshrrev_b32_e32 v30, 3, v18
	v_sub_u32_e32 v10, 29, v31
	v_and_b32_e32 v28, 7, v28
	v_cmp_gt_u32_e32 vcc, 8, v18
	v_cndmask_b32_e32 v10, v30, v10, vcc
	v_cndmask_b32_e32 v18, v27, v28, vcc
	v_lshlrev_b32_e32 v27, 16, v11
	v_bfrev_b32_e32 v28, 60
	v_lshlrev_b32_e32 v18, 20, v18
	v_and_b32_e32 v27, 0x80000000, v27
	v_lshl_add_u32 v10, v10, 23, v28
	v_or3_b32 v27, v27, v10, v18
.LBB549_531:
	s_or_b64 exec, exec, s[10:11]
.LBB549_532:
	s_or_b64 exec, exec, s[8:9]
.LBB549_533:
	s_or_b64 exec, exec, s[2:3]
	s_movk_i32 s2, 0xff
	v_and_b32_sdwa v18, v11, s2 dst_sel:DWORD dst_unused:UNUSED_PAD src0_sel:WORD_1 src1_sel:DWORD
	v_lshrrev_b32_e32 v10, 16, v11
	v_cmp_ne_u16_e32 vcc, 0, v18
	s_and_saveexec_b64 s[2:3], vcc
	s_cbranch_execz .LBB549_539
; %bb.534:
	s_movk_i32 s7, 0x80
	v_cmp_ne_u16_e32 vcc, s7, v18
	v_bfrev_b32_e32 v25, 1
	s_and_saveexec_b64 s[8:9], vcc
	s_cbranch_execz .LBB549_538
; %bb.535:
	v_bfe_u32 v18, v11, 16, 7
	s_movk_i32 s7, 0x7f
	v_cmp_ne_u32_e32 vcc, s7, v18
	v_mov_b32_e32 v25, 0x7f800001
	s_and_saveexec_b64 s[10:11], vcc
	s_cbranch_execz .LBB549_537
; %bb.536:
	v_and_b32_e32 v25, 7, v10
	v_ffbh_u32_e32 v28, v25
	v_min_u32_e32 v31, 32, v28
	v_subrev_u32_e32 v28, 28, v31
	v_lshlrev_b64 v[28:29], v28, v[10:11]
	v_and_b32_e32 v28, 7, v28
	v_cmp_gt_u32_e32 vcc, 8, v18
	v_lshrrev_b32_e32 v30, 3, v18
	v_sub_u32_e32 v10, 29, v31
	v_cndmask_b32_e32 v18, v25, v28, vcc
	v_mov_b32_e32 v25, 24
	v_cndmask_b32_e32 v10, v30, v10, vcc
	v_lshlrev_b32_sdwa v25, v25, v11 dst_sel:DWORD dst_unused:UNUSED_PAD src0_sel:DWORD src1_sel:WORD_1
	v_bfrev_b32_e32 v28, 60
	v_lshlrev_b32_e32 v18, 20, v18
	v_and_b32_e32 v25, 0x80000000, v25
	v_lshl_add_u32 v10, v10, 23, v28
	v_or3_b32 v25, v25, v10, v18
.LBB549_537:
	s_or_b64 exec, exec, s[10:11]
.LBB549_538:
	s_or_b64 exec, exec, s[8:9]
.LBB549_539:
	s_or_b64 exec, exec, s[2:3]
	s_mov_b32 s2, 0xffffff
	v_cmp_lt_u32_e32 vcc, s2, v11
	v_mov_b32_e32 v18, 0
	v_mov_b32_e32 v28, 0
	s_and_saveexec_b64 s[2:3], vcc
	s_cbranch_execz .LBB549_545
; %bb.540:
	v_lshrrev_b32_e32 v10, 24, v11
	s_movk_i32 s7, 0x80
	v_cmp_ne_u32_e32 vcc, s7, v10
	v_bfrev_b32_e32 v28, 1
	s_and_saveexec_b64 s[8:9], vcc
	s_cbranch_execz .LBB549_544
; %bb.541:
	v_bfe_u32 v11, v11, 24, 7
	s_movk_i32 s7, 0x7f
	v_cmp_ne_u32_e32 vcc, s7, v11
	v_mov_b32_e32 v28, 0x7f800001
	s_and_saveexec_b64 s[10:11], vcc
	s_cbranch_execz .LBB549_543
; %bb.542:
	v_and_b32_e32 v30, 7, v10
	v_ffbh_u32_e32 v28, v30
	v_min_u32_e32 v32, 32, v28
	v_subrev_u32_e32 v28, 28, v32
	v_lshlrev_b64 v[28:29], v28, v[10:11]
	v_lshrrev_b32_e32 v31, 3, v11
	v_sub_u32_e32 v29, 29, v32
	v_and_b32_e32 v28, 7, v28
	v_cmp_gt_u32_e32 vcc, 8, v11
	v_cndmask_b32_e32 v11, v31, v29, vcc
	v_cndmask_b32_e32 v28, v30, v28, vcc
	v_lshlrev_b32_e32 v10, 24, v10
	v_bfrev_b32_e32 v29, 60
	v_lshlrev_b32_e32 v28, 20, v28
	v_and_b32_e32 v10, 0x80000000, v10
	v_lshl_add_u32 v11, v11, 23, v29
	v_or3_b32 v28, v10, v11, v28
.LBB549_543:
	s_or_b64 exec, exec, s[10:11]
.LBB549_544:
	s_or_b64 exec, exec, s[8:9]
.LBB549_545:
	s_or_b64 exec, exec, s[2:3]
	v_cvt_pkrtz_f16_f32 v10, v24, v20
	v_cvt_pkrtz_f16_f32 v11, v19, v23
	ds_read_b128 v[30:33], v22 offset:2048
	v_cmp_ne_u16_sdwa s[8:9], v12, v18 src0_sel:BYTE_0 src1_sel:DWORD
	s_waitcnt lgkmcnt(0)
	v_mfma_f32_16x16x16f16 v[14:17], v[10:11], v[30:31], v[14:17]
	v_cvt_pkrtz_f16_f32 v10, v21, v27
	v_cvt_pkrtz_f16_f32 v11, v25, v28
	s_nop 1
	v_mfma_f32_16x16x16f16 v[14:17], v[10:11], v[32:33], v[14:17]
	s_and_saveexec_b64 s[2:3], s[8:9]
	s_cbranch_execz .LBB549_551
; %bb.546:
	s_movk_i32 s7, 0x80
	v_cmp_ne_u16_sdwa s[10:11], v12, s7 src0_sel:BYTE_0 src1_sel:DWORD
	v_bfrev_b32_e32 v18, 1
	s_and_saveexec_b64 s[8:9], s[10:11]
	s_cbranch_execz .LBB549_550
; %bb.547:
	s_movk_i32 s7, 0x7f
	v_and_b32_e32 v10, 0x7f, v12
	v_cmp_ne_u32_e32 vcc, s7, v10
	v_mov_b32_e32 v18, 0x7f800001
	s_and_saveexec_b64 s[10:11], vcc
	s_cbranch_execz .LBB549_549
; %bb.548:
	v_and_b32_e32 v11, 7, v12
	v_ffbh_u32_e32 v18, v11
	v_min_u32_e32 v21, 32, v18
	v_subrev_u32_e32 v18, 28, v21
	v_lshlrev_b64 v[18:19], v18, v[12:13]
	v_lshrrev_b32_e32 v20, 3, v10
	v_sub_u32_e32 v19, 29, v21
	v_and_b32_e32 v18, 7, v18
	v_cmp_gt_u32_e32 vcc, 8, v10
	v_cndmask_b32_e32 v10, v20, v19, vcc
	v_cndmask_b32_e32 v11, v11, v18, vcc
	v_lshlrev_b32_e32 v18, 24, v12
	v_bfrev_b32_e32 v19, 60
	v_lshlrev_b32_e32 v11, 20, v11
	v_and_b32_e32 v18, 0x80000000, v18
	v_lshl_add_u32 v10, v10, 23, v19
	v_or3_b32 v18, v18, v10, v11
.LBB549_549:
	s_or_b64 exec, exec, s[10:11]
.LBB549_550:
	s_or_b64 exec, exec, s[8:9]
.LBB549_551:
	s_or_b64 exec, exec, s[2:3]
	v_lshrrev_b16_e32 v10, 8, v12
	v_cmp_ne_u16_e32 vcc, 0, v10
	v_mov_b32_e32 v11, 0
	v_mov_b32_e32 v20, 0
	s_and_saveexec_b64 s[2:3], vcc
	s_cbranch_execz .LBB549_557
; %bb.552:
	s_movk_i32 s7, 0x80
	v_cmp_ne_u16_e32 vcc, s7, v10
	v_bfrev_b32_e32 v20, 1
	s_and_saveexec_b64 s[8:9], vcc
	s_cbranch_execz .LBB549_556
; %bb.553:
	s_movk_i32 s7, 0x7f
	v_and_b32_e32 v19, 0x7f, v10
	v_cmp_ne_u32_e32 vcc, s7, v19
	v_mov_b32_e32 v20, 0x7f800001
	s_and_saveexec_b64 s[10:11], vcc
	s_cbranch_execz .LBB549_555
; %bb.554:
	v_and_b32_e32 v23, 7, v10
	v_ffbh_u32_e32 v20, v23
	v_min_u32_e32 v25, 32, v20
	v_subrev_u32_e32 v20, 28, v25
	v_lshlrev_b64 v[20:21], v20, v[10:11]
	v_lshrrev_b32_e32 v24, 3, v19
	v_sub_u32_e32 v10, 29, v25
	v_and_b32_e32 v20, 7, v20
	v_cmp_gt_u32_e32 vcc, 8, v19
	v_cndmask_b32_e32 v10, v24, v10, vcc
	v_cndmask_b32_e32 v19, v23, v20, vcc
	v_lshlrev_b32_e32 v20, 16, v12
	v_bfrev_b32_e32 v21, 60
	v_lshlrev_b32_e32 v19, 20, v19
	v_and_b32_e32 v20, 0x80000000, v20
	v_lshl_add_u32 v10, v10, 23, v21
	v_or3_b32 v20, v20, v10, v19
.LBB549_555:
	s_or_b64 exec, exec, s[10:11]
.LBB549_556:
	s_or_b64 exec, exec, s[8:9]
.LBB549_557:
	s_or_b64 exec, exec, s[2:3]
	s_movk_i32 s2, 0xff
	v_and_b32_sdwa v19, v12, s2 dst_sel:DWORD dst_unused:UNUSED_PAD src0_sel:WORD_1 src1_sel:DWORD
	v_lshrrev_b32_e32 v10, 16, v12
	v_cmp_ne_u16_e32 vcc, 0, v19
	s_and_saveexec_b64 s[2:3], vcc
	s_cbranch_execz .LBB549_563
; %bb.558:
	s_movk_i32 s7, 0x80
	v_cmp_ne_u16_e32 vcc, s7, v19
	v_bfrev_b32_e32 v11, 1
	s_and_saveexec_b64 s[8:9], vcc
	s_cbranch_execz .LBB549_562
; %bb.559:
	v_bfe_u32 v19, v12, 16, 7
	s_movk_i32 s7, 0x7f
	v_cmp_ne_u32_e32 vcc, s7, v19
	v_mov_b32_e32 v11, 0x7f800001
	s_and_saveexec_b64 s[10:11], vcc
	s_cbranch_execz .LBB549_561
; %bb.560:
	v_and_b32_e32 v21, 7, v10
	v_ffbh_u32_e32 v11, v21
	v_min_u32_e32 v24, 32, v11
	v_subrev_u32_e32 v11, 28, v24
	v_lshlrev_b64 v[10:11], v11, v[10:11]
	v_lshrrev_b32_e32 v23, 3, v19
	v_sub_u32_e32 v11, 29, v24
	v_and_b32_e32 v10, 7, v10
	v_cmp_gt_u32_e32 vcc, 8, v19
	v_mov_b32_e32 v19, 24
	v_cndmask_b32_e32 v11, v23, v11, vcc
	v_cndmask_b32_e32 v10, v21, v10, vcc
	v_lshlrev_b32_sdwa v19, v19, v12 dst_sel:DWORD dst_unused:UNUSED_PAD src0_sel:DWORD src1_sel:WORD_1
	v_bfrev_b32_e32 v21, 60
	v_lshlrev_b32_e32 v10, 20, v10
	v_and_b32_e32 v19, 0x80000000, v19
	v_lshl_add_u32 v11, v11, 23, v21
	v_or3_b32 v11, v19, v11, v10
.LBB549_561:
	s_or_b64 exec, exec, s[10:11]
.LBB549_562:
	s_or_b64 exec, exec, s[8:9]
.LBB549_563:
	s_or_b64 exec, exec, s[2:3]
	s_mov_b32 s2, 0xffffff
	v_cmp_lt_u32_e32 vcc, s2, v12
	v_mov_b32_e32 v21, 0
	v_mov_b32_e32 v23, 0
	s_and_saveexec_b64 s[2:3], vcc
	s_cbranch_execz .LBB549_569
; %bb.564:
	v_lshrrev_b32_e32 v10, 24, v12
	s_movk_i32 s7, 0x80
	v_cmp_ne_u32_e32 vcc, s7, v10
	v_bfrev_b32_e32 v23, 1
	s_and_saveexec_b64 s[8:9], vcc
	s_cbranch_execz .LBB549_568
; %bb.565:
	v_bfe_u32 v12, v12, 24, 7
	s_movk_i32 s7, 0x7f
	v_cmp_ne_u32_e32 vcc, s7, v12
	v_mov_b32_e32 v23, 0x7f800001
	s_and_saveexec_b64 s[10:11], vcc
	s_cbranch_execz .LBB549_567
; %bb.566:
	v_and_b32_e32 v19, 7, v10
	v_ffbh_u32_e32 v24, v19
	v_min_u32_e32 v27, 32, v24
	v_subrev_u32_e32 v24, 28, v27
	v_lshlrev_b64 v[24:25], v24, v[10:11]
	v_lshrrev_b32_e32 v23, 3, v12
	v_sub_u32_e32 v25, 29, v27
	v_and_b32_e32 v24, 7, v24
	v_cmp_gt_u32_e32 vcc, 8, v12
	v_cndmask_b32_e32 v12, v23, v25, vcc
	v_cndmask_b32_e32 v19, v19, v24, vcc
	v_lshlrev_b32_e32 v10, 24, v10
	v_bfrev_b32_e32 v23, 60
	v_lshlrev_b32_e32 v19, 20, v19
	v_and_b32_e32 v10, 0x80000000, v10
	v_lshl_add_u32 v12, v12, 23, v23
	v_or3_b32 v23, v10, v12, v19
.LBB549_567:
	s_or_b64 exec, exec, s[10:11]
.LBB549_568:
	s_or_b64 exec, exec, s[8:9]
.LBB549_569:
	s_or_b64 exec, exec, s[2:3]
	v_cmp_ne_u16_sdwa s[8:9], v13, v21 src0_sel:BYTE_0 src1_sel:DWORD
	s_and_saveexec_b64 s[2:3], s[8:9]
	s_cbranch_execz .LBB549_575
; %bb.570:
	s_movk_i32 s7, 0x80
	v_cmp_ne_u16_sdwa s[10:11], v13, s7 src0_sel:BYTE_0 src1_sel:DWORD
	v_bfrev_b32_e32 v21, 1
	s_and_saveexec_b64 s[8:9], s[10:11]
	s_cbranch_execz .LBB549_574
; %bb.571:
	s_movk_i32 s7, 0x7f
	v_and_b32_e32 v10, 0x7f, v13
	v_cmp_ne_u32_e32 vcc, s7, v10
	v_mov_b32_e32 v21, 0x7f800001
	s_and_saveexec_b64 s[10:11], vcc
	s_cbranch_execz .LBB549_573
; %bb.572:
	v_and_b32_e32 v19, 7, v13
	v_ffbh_u32_e32 v24, v19
	v_min_u32_e32 v27, 32, v24
	v_mov_b32_e32 v12, v13
	v_subrev_u32_e32 v24, 28, v27
	v_lshlrev_b64 v[24:25], v24, v[12:13]
	v_lshrrev_b32_e32 v21, 3, v10
	v_sub_u32_e32 v12, 29, v27
	v_and_b32_e32 v24, 7, v24
	v_cmp_gt_u32_e32 vcc, 8, v10
	v_cndmask_b32_e32 v10, v21, v12, vcc
	v_cndmask_b32_e32 v12, v19, v24, vcc
	v_lshlrev_b32_e32 v19, 24, v13
	v_bfrev_b32_e32 v21, 60
	v_lshlrev_b32_e32 v12, 20, v12
	v_and_b32_e32 v19, 0x80000000, v19
	v_lshl_add_u32 v10, v10, 23, v21
	v_or3_b32 v21, v19, v10, v12
.LBB549_573:
	s_or_b64 exec, exec, s[10:11]
.LBB549_574:
	s_or_b64 exec, exec, s[8:9]
.LBB549_575:
	s_or_b64 exec, exec, s[2:3]
	v_lshrrev_b16_e32 v10, 8, v13
	v_cmp_ne_u16_e32 vcc, 0, v10
	v_mov_b32_e32 v12, 0
	v_mov_b32_e32 v24, 0
	s_and_saveexec_b64 s[2:3], vcc
	s_cbranch_execz .LBB549_581
; %bb.576:
	s_movk_i32 s7, 0x80
	v_cmp_ne_u16_e32 vcc, s7, v10
	v_bfrev_b32_e32 v24, 1
	s_and_saveexec_b64 s[8:9], vcc
	s_cbranch_execz .LBB549_580
; %bb.577:
	s_movk_i32 s7, 0x7f
	v_and_b32_e32 v19, 0x7f, v10
	v_cmp_ne_u32_e32 vcc, s7, v19
	v_mov_b32_e32 v24, 0x7f800001
	s_and_saveexec_b64 s[10:11], vcc
	s_cbranch_execz .LBB549_579
; %bb.578:
	v_and_b32_e32 v27, 7, v10
	v_ffbh_u32_e32 v24, v27
	v_min_u32_e32 v29, 32, v24
	v_subrev_u32_e32 v24, 28, v29
	v_lshlrev_b64 v[24:25], v24, v[10:11]
	v_lshrrev_b32_e32 v28, 3, v19
	v_sub_u32_e32 v10, 29, v29
	v_and_b32_e32 v24, 7, v24
	v_cmp_gt_u32_e32 vcc, 8, v19
	v_cndmask_b32_e32 v10, v28, v10, vcc
	v_cndmask_b32_e32 v19, v27, v24, vcc
	v_lshlrev_b32_e32 v24, 16, v13
	v_bfrev_b32_e32 v25, 60
	v_lshlrev_b32_e32 v19, 20, v19
	v_and_b32_e32 v24, 0x80000000, v24
	v_lshl_add_u32 v10, v10, 23, v25
	v_or3_b32 v24, v24, v10, v19
.LBB549_579:
	s_or_b64 exec, exec, s[10:11]
.LBB549_580:
	s_or_b64 exec, exec, s[8:9]
.LBB549_581:
	s_or_b64 exec, exec, s[2:3]
	s_movk_i32 s2, 0xff
	v_and_b32_sdwa v19, v13, s2 dst_sel:DWORD dst_unused:UNUSED_PAD src0_sel:WORD_1 src1_sel:DWORD
	v_lshrrev_b32_e32 v10, 16, v13
	v_cmp_ne_u16_e32 vcc, 0, v19
	s_and_saveexec_b64 s[2:3], vcc
	s_cbranch_execz .LBB549_587
; %bb.582:
	s_movk_i32 s7, 0x80
	v_cmp_ne_u16_e32 vcc, s7, v19
	v_bfrev_b32_e32 v12, 1
	s_and_saveexec_b64 s[8:9], vcc
	s_cbranch_execz .LBB549_586
; %bb.583:
	v_bfe_u32 v19, v13, 16, 7
	s_movk_i32 s7, 0x7f
	v_cmp_ne_u32_e32 vcc, s7, v19
	v_mov_b32_e32 v12, 0x7f800001
	s_and_saveexec_b64 s[10:11], vcc
	s_cbranch_execz .LBB549_585
; %bb.584:
	v_and_b32_e32 v12, 7, v10
	v_ffbh_u32_e32 v27, v12
	v_min_u32_e32 v27, 32, v27
	v_subrev_u32_e32 v28, 28, v27
	v_lshlrev_b64 v[28:29], v28, v[10:11]
	v_lshrrev_b32_e32 v25, 3, v19
	v_sub_u32_e32 v10, 29, v27
	v_and_b32_e32 v27, 7, v28
	v_cmp_gt_u32_e32 vcc, 8, v19
	v_mov_b32_e32 v19, 24
	v_cndmask_b32_e32 v10, v25, v10, vcc
	v_cndmask_b32_e32 v12, v12, v27, vcc
	v_lshlrev_b32_sdwa v19, v19, v13 dst_sel:DWORD dst_unused:UNUSED_PAD src0_sel:DWORD src1_sel:WORD_1
	v_bfrev_b32_e32 v25, 60
	v_lshlrev_b32_e32 v12, 20, v12
	v_and_b32_e32 v19, 0x80000000, v19
	v_lshl_add_u32 v10, v10, 23, v25
	v_or3_b32 v12, v19, v10, v12
.LBB549_585:
	s_or_b64 exec, exec, s[10:11]
.LBB549_586:
	s_or_b64 exec, exec, s[8:9]
.LBB549_587:
	s_or_b64 exec, exec, s[2:3]
	s_mov_b32 s2, 0xffffff
	v_cmp_lt_u32_e32 vcc, s2, v13
	v_mov_b32_e32 v19, 0
	v_mov_b32_e32 v25, 0
	s_and_saveexec_b64 s[2:3], vcc
	s_cbranch_execz .LBB549_593
; %bb.588:
	v_lshrrev_b32_e32 v10, 24, v13
	s_movk_i32 s7, 0x80
	v_cmp_ne_u32_e32 vcc, s7, v10
	v_bfrev_b32_e32 v25, 1
	s_and_saveexec_b64 s[8:9], vcc
	s_cbranch_execz .LBB549_592
; %bb.589:
	v_bfe_u32 v13, v13, 24, 7
	s_movk_i32 s7, 0x7f
	v_cmp_ne_u32_e32 vcc, s7, v13
	v_mov_b32_e32 v25, 0x7f800001
	s_and_saveexec_b64 s[10:11], vcc
	s_cbranch_execz .LBB549_591
; %bb.590:
	v_and_b32_e32 v25, 7, v10
	v_ffbh_u32_e32 v28, v25
	v_min_u32_e32 v30, 32, v28
	v_subrev_u32_e32 v28, 28, v30
	v_lshlrev_b64 v[28:29], v28, v[10:11]
	v_lshrrev_b32_e32 v27, 3, v13
	v_sub_u32_e32 v29, 29, v30
	v_and_b32_e32 v28, 7, v28
	v_cmp_gt_u32_e32 vcc, 8, v13
	v_cndmask_b32_e32 v13, v27, v29, vcc
	v_cndmask_b32_e32 v25, v25, v28, vcc
	v_lshlrev_b32_e32 v10, 24, v10
	v_bfrev_b32_e32 v27, 60
	v_lshlrev_b32_e32 v25, 20, v25
	v_and_b32_e32 v10, 0x80000000, v10
	v_lshl_add_u32 v13, v13, 23, v27
	v_or3_b32 v25, v10, v13, v25
.LBB549_591:
	s_or_b64 exec, exec, s[10:11]
.LBB549_592:
	s_or_b64 exec, exec, s[8:9]
.LBB549_593:
	s_or_b64 exec, exec, s[2:3]
	v_cvt_pkrtz_f16_f32 v10, v18, v20
	v_cvt_pkrtz_f16_f32 v11, v11, v23
	ds_read_b128 v[28:31], v22 offset:2064
	s_waitcnt vmcnt(1)
	v_cmp_ne_u16_sdwa s[8:9], v6, v19 src0_sel:BYTE_0 src1_sel:DWORD
	s_waitcnt lgkmcnt(0)
	v_mfma_f32_16x16x16f16 v[14:17], v[10:11], v[28:29], v[14:17]
	v_cvt_pkrtz_f16_f32 v10, v21, v24
	v_cvt_pkrtz_f16_f32 v11, v12, v25
	s_nop 1
	v_mfma_f32_16x16x16f16 v[10:13], v[10:11], v[30:31], v[14:17]
	s_and_saveexec_b64 s[2:3], s[8:9]
	s_cbranch_execz .LBB549_599
; %bb.594:
	s_movk_i32 s7, 0x80
	v_cmp_ne_u16_sdwa s[10:11], v6, s7 src0_sel:BYTE_0 src1_sel:DWORD
	v_bfrev_b32_e32 v19, 1
	s_and_saveexec_b64 s[8:9], s[10:11]
	s_cbranch_execz .LBB549_598
; %bb.595:
	s_movk_i32 s7, 0x7f
	v_and_b32_e32 v14, 0x7f, v6
	v_cmp_ne_u32_e32 vcc, s7, v14
	v_mov_b32_e32 v19, 0x7f800001
	s_and_saveexec_b64 s[10:11], vcc
	s_cbranch_execz .LBB549_597
; %bb.596:
	v_and_b32_e32 v15, 7, v6
	v_ffbh_u32_e32 v16, v15
	v_min_u32_e32 v19, 32, v16
	v_subrev_u32_e32 v16, 28, v19
	v_lshlrev_b64 v[16:17], v16, v[6:7]
	v_lshrrev_b32_e32 v18, 3, v14
	v_sub_u32_e32 v17, 29, v19
	v_and_b32_e32 v16, 7, v16
	v_cmp_gt_u32_e32 vcc, 8, v14
	v_cndmask_b32_e32 v14, v18, v17, vcc
	v_cndmask_b32_e32 v15, v15, v16, vcc
	v_lshlrev_b32_e32 v16, 24, v6
	v_bfrev_b32_e32 v17, 60
	v_lshlrev_b32_e32 v15, 20, v15
	v_and_b32_e32 v16, 0x80000000, v16
	v_lshl_add_u32 v14, v14, 23, v17
	v_or3_b32 v19, v16, v14, v15
.LBB549_597:
	s_or_b64 exec, exec, s[10:11]
.LBB549_598:
	s_or_b64 exec, exec, s[8:9]
.LBB549_599:
	s_or_b64 exec, exec, s[2:3]
	s_nop 3
	v_lshrrev_b16_e32 v14, 8, v6
	v_cmp_ne_u16_e32 vcc, 0, v14
	v_mov_b32_e32 v15, 0
	v_mov_b32_e32 v16, 0
	s_and_saveexec_b64 s[2:3], vcc
	s_cbranch_execz .LBB549_605
; %bb.600:
	s_movk_i32 s7, 0x80
	v_cmp_ne_u16_e32 vcc, s7, v14
	v_bfrev_b32_e32 v16, 1
	s_and_saveexec_b64 s[8:9], vcc
	s_cbranch_execz .LBB549_604
; %bb.601:
	s_movk_i32 s7, 0x7f
	v_and_b32_e32 v17, 0x7f, v14
	v_cmp_ne_u32_e32 vcc, s7, v17
	v_mov_b32_e32 v16, 0x7f800001
	s_and_saveexec_b64 s[10:11], vcc
	s_cbranch_execz .LBB549_603
; %bb.602:
	v_and_b32_e32 v16, 7, v14
	v_ffbh_u32_e32 v20, v16
	v_min_u32_e32 v23, 32, v20
	v_subrev_u32_e32 v20, 28, v23
	v_lshlrev_b64 v[20:21], v20, v[14:15]
	v_lshrrev_b32_e32 v18, 3, v17
	v_sub_u32_e32 v14, 29, v23
	v_and_b32_e32 v20, 7, v20
	v_cmp_gt_u32_e32 vcc, 8, v17
	v_cndmask_b32_e32 v14, v18, v14, vcc
	v_cndmask_b32_e32 v16, v16, v20, vcc
	v_lshlrev_b32_e32 v17, 16, v6
	v_bfrev_b32_e32 v18, 60
	v_lshlrev_b32_e32 v16, 20, v16
	v_and_b32_e32 v17, 0x80000000, v17
	v_lshl_add_u32 v14, v14, 23, v18
	v_or3_b32 v16, v17, v14, v16
.LBB549_603:
	s_or_b64 exec, exec, s[10:11]
.LBB549_604:
	s_or_b64 exec, exec, s[8:9]
.LBB549_605:
	s_or_b64 exec, exec, s[2:3]
	s_movk_i32 s2, 0xff
	v_and_b32_sdwa v17, v6, s2 dst_sel:DWORD dst_unused:UNUSED_PAD src0_sel:WORD_1 src1_sel:DWORD
	v_lshrrev_b32_e32 v14, 16, v6
	v_cmp_ne_u16_e32 vcc, 0, v17
	s_and_saveexec_b64 s[2:3], vcc
	s_cbranch_execz .LBB549_611
; %bb.606:
	s_movk_i32 s7, 0x80
	v_cmp_ne_u16_e32 vcc, s7, v17
	v_bfrev_b32_e32 v15, 1
	s_and_saveexec_b64 s[8:9], vcc
	s_cbranch_execz .LBB549_610
; %bb.607:
	v_bfe_u32 v17, v6, 16, 7
	s_movk_i32 s7, 0x7f
	v_cmp_ne_u32_e32 vcc, s7, v17
	v_mov_b32_e32 v15, 0x7f800001
	s_and_saveexec_b64 s[10:11], vcc
	s_cbranch_execz .LBB549_609
; %bb.608:
	v_and_b32_e32 v18, 7, v14
	v_ffbh_u32_e32 v15, v18
	v_min_u32_e32 v21, 32, v15
	v_subrev_u32_e32 v15, 28, v21
	v_lshlrev_b64 v[14:15], v15, v[14:15]
	v_lshrrev_b32_e32 v20, 3, v17
	v_sub_u32_e32 v15, 29, v21
	v_and_b32_e32 v14, 7, v14
	v_cmp_gt_u32_e32 vcc, 8, v17
	v_mov_b32_e32 v17, 24
	v_cndmask_b32_e32 v15, v20, v15, vcc
	v_cndmask_b32_e32 v14, v18, v14, vcc
	v_lshlrev_b32_sdwa v17, v17, v6 dst_sel:DWORD dst_unused:UNUSED_PAD src0_sel:DWORD src1_sel:WORD_1
	v_bfrev_b32_e32 v18, 60
	v_lshlrev_b32_e32 v14, 20, v14
	v_and_b32_e32 v17, 0x80000000, v17
	v_lshl_add_u32 v15, v15, 23, v18
	v_or3_b32 v15, v17, v15, v14
.LBB549_609:
	s_or_b64 exec, exec, s[10:11]
.LBB549_610:
	s_or_b64 exec, exec, s[8:9]
.LBB549_611:
	s_or_b64 exec, exec, s[2:3]
	s_mov_b32 s2, 0xffffff
	v_cmp_lt_u32_e32 vcc, s2, v6
	v_mov_b32_e32 v17, 0
	v_mov_b32_e32 v18, 0
	s_and_saveexec_b64 s[2:3], vcc
	s_cbranch_execz .LBB549_617
; %bb.612:
	v_lshrrev_b32_e32 v14, 24, v6
	s_movk_i32 s7, 0x80
	v_cmp_ne_u32_e32 vcc, s7, v14
	v_bfrev_b32_e32 v18, 1
	s_and_saveexec_b64 s[8:9], vcc
	s_cbranch_execz .LBB549_616
; %bb.613:
	v_bfe_u32 v6, v6, 24, 7
	s_movk_i32 s7, 0x7f
	v_cmp_ne_u32_e32 vcc, s7, v6
	v_mov_b32_e32 v18, 0x7f800001
	s_and_saveexec_b64 s[10:11], vcc
	s_cbranch_execz .LBB549_615
; %bb.614:
	v_and_b32_e32 v18, 7, v14
	v_ffbh_u32_e32 v20, v18
	v_min_u32_e32 v24, 32, v20
	v_subrev_u32_e32 v20, 28, v24
	v_lshlrev_b64 v[20:21], v20, v[14:15]
	v_lshrrev_b32_e32 v23, 3, v6
	v_sub_u32_e32 v21, 29, v24
	v_and_b32_e32 v20, 7, v20
	v_cmp_gt_u32_e32 vcc, 8, v6
	v_cndmask_b32_e32 v6, v23, v21, vcc
	v_cndmask_b32_e32 v18, v18, v20, vcc
	v_lshlrev_b32_e32 v14, 24, v14
	v_bfrev_b32_e32 v20, 60
	v_lshlrev_b32_e32 v18, 20, v18
	v_and_b32_e32 v14, 0x80000000, v14
	v_lshl_add_u32 v6, v6, 23, v20
	v_or3_b32 v18, v14, v6, v18
.LBB549_615:
	s_or_b64 exec, exec, s[10:11]
.LBB549_616:
	s_or_b64 exec, exec, s[8:9]
.LBB549_617:
	s_or_b64 exec, exec, s[2:3]
	v_cmp_ne_u16_sdwa s[8:9], v7, v17 src0_sel:BYTE_0 src1_sel:DWORD
	s_and_saveexec_b64 s[2:3], s[8:9]
	s_cbranch_execz .LBB549_623
; %bb.618:
	s_movk_i32 s7, 0x80
	v_cmp_ne_u16_sdwa s[10:11], v7, s7 src0_sel:BYTE_0 src1_sel:DWORD
	v_bfrev_b32_e32 v17, 1
	s_and_saveexec_b64 s[8:9], s[10:11]
	s_cbranch_execz .LBB549_622
; %bb.619:
	s_movk_i32 s7, 0x7f
	v_and_b32_e32 v6, 0x7f, v7
	v_cmp_ne_u32_e32 vcc, s7, v6
	v_mov_b32_e32 v17, 0x7f800001
	s_and_saveexec_b64 s[10:11], vcc
	s_cbranch_execz .LBB549_621
; %bb.620:
	v_and_b32_e32 v17, 7, v7
	v_ffbh_u32_e32 v20, v17
	v_min_u32_e32 v24, 32, v20
	v_mov_b32_e32 v14, v7
	v_subrev_u32_e32 v20, 28, v24
	v_lshlrev_b64 v[20:21], v20, v[14:15]
	v_lshrrev_b32_e32 v23, 3, v6
	v_sub_u32_e32 v14, 29, v24
	v_and_b32_e32 v20, 7, v20
	v_cmp_gt_u32_e32 vcc, 8, v6
	v_cndmask_b32_e32 v6, v23, v14, vcc
	v_cndmask_b32_e32 v14, v17, v20, vcc
	v_lshlrev_b32_e32 v17, 24, v7
	v_bfrev_b32_e32 v20, 60
	v_lshlrev_b32_e32 v14, 20, v14
	v_and_b32_e32 v17, 0x80000000, v17
	v_lshl_add_u32 v6, v6, 23, v20
	v_or3_b32 v17, v17, v6, v14
.LBB549_621:
	s_or_b64 exec, exec, s[10:11]
.LBB549_622:
	s_or_b64 exec, exec, s[8:9]
.LBB549_623:
	s_or_b64 exec, exec, s[2:3]
	v_lshrrev_b16_e32 v6, 8, v7
	v_cmp_ne_u16_e32 vcc, 0, v6
	v_mov_b32_e32 v20, 0
	v_mov_b32_e32 v21, 0
	s_and_saveexec_b64 s[2:3], vcc
	s_cbranch_execz .LBB549_629
; %bb.624:
	s_movk_i32 s7, 0x80
	v_cmp_ne_u16_e32 vcc, s7, v6
	v_bfrev_b32_e32 v21, 1
	s_and_saveexec_b64 s[8:9], vcc
	s_cbranch_execz .LBB549_628
; %bb.625:
	s_movk_i32 s7, 0x7f
	v_and_b32_e32 v14, 0x7f, v6
	v_cmp_ne_u32_e32 vcc, s7, v14
	v_mov_b32_e32 v21, 0x7f800001
	s_and_saveexec_b64 s[10:11], vcc
	s_cbranch_execz .LBB549_627
; %bb.626:
	v_and_b32_e32 v21, 7, v6
	v_ffbh_u32_e32 v24, v21
	v_min_u32_e32 v27, 32, v24
	v_subrev_u32_e32 v24, 28, v27
	v_lshlrev_b64 v[24:25], v24, v[6:7]
	v_lshrrev_b32_e32 v23, 3, v14
	v_sub_u32_e32 v6, 29, v27
	v_and_b32_e32 v24, 7, v24
	v_cmp_gt_u32_e32 vcc, 8, v14
	v_cndmask_b32_e32 v6, v23, v6, vcc
	v_cndmask_b32_e32 v14, v21, v24, vcc
	v_lshlrev_b32_e32 v21, 16, v7
	v_bfrev_b32_e32 v23, 60
	v_lshlrev_b32_e32 v14, 20, v14
	v_and_b32_e32 v21, 0x80000000, v21
	v_lshl_add_u32 v6, v6, 23, v23
	v_or3_b32 v21, v21, v6, v14
.LBB549_627:
	s_or_b64 exec, exec, s[10:11]
.LBB549_628:
	s_or_b64 exec, exec, s[8:9]
.LBB549_629:
	s_or_b64 exec, exec, s[2:3]
	s_movk_i32 s2, 0xff
	v_and_b32_sdwa v14, v7, s2 dst_sel:DWORD dst_unused:UNUSED_PAD src0_sel:WORD_1 src1_sel:DWORD
	v_lshrrev_b32_e32 v6, 16, v7
	v_cmp_ne_u16_e32 vcc, 0, v14
	s_and_saveexec_b64 s[2:3], vcc
	s_cbranch_execz .LBB549_635
; %bb.630:
	s_movk_i32 s7, 0x80
	v_cmp_ne_u16_e32 vcc, s7, v14
	v_bfrev_b32_e32 v20, 1
	s_and_saveexec_b64 s[8:9], vcc
	s_cbranch_execz .LBB549_634
; %bb.631:
	v_bfe_u32 v14, v7, 16, 7
	s_movk_i32 s7, 0x7f
	v_cmp_ne_u32_e32 vcc, s7, v14
	v_mov_b32_e32 v20, 0x7f800001
	s_and_saveexec_b64 s[10:11], vcc
	s_cbranch_execz .LBB549_633
; %bb.632:
	v_and_b32_e32 v20, 7, v6
	v_ffbh_u32_e32 v24, v20
	v_min_u32_e32 v27, 32, v24
	v_subrev_u32_e32 v24, 28, v27
	v_lshlrev_b64 v[24:25], v24, v[6:7]
	v_and_b32_e32 v24, 7, v24
	v_cmp_gt_u32_e32 vcc, 8, v14
	v_lshrrev_b32_e32 v23, 3, v14
	v_sub_u32_e32 v6, 29, v27
	v_cndmask_b32_e32 v14, v20, v24, vcc
	v_mov_b32_e32 v20, 24
	v_cndmask_b32_e32 v6, v23, v6, vcc
	v_lshlrev_b32_sdwa v20, v20, v7 dst_sel:DWORD dst_unused:UNUSED_PAD src0_sel:DWORD src1_sel:WORD_1
	v_bfrev_b32_e32 v23, 60
	v_lshlrev_b32_e32 v14, 20, v14
	v_and_b32_e32 v20, 0x80000000, v20
	v_lshl_add_u32 v6, v6, 23, v23
	v_or3_b32 v20, v20, v6, v14
.LBB549_633:
	s_or_b64 exec, exec, s[10:11]
.LBB549_634:
	s_or_b64 exec, exec, s[8:9]
.LBB549_635:
	s_or_b64 exec, exec, s[2:3]
	s_mov_b32 s2, 0xffffff
	v_cmp_lt_u32_e32 vcc, s2, v7
	v_mov_b32_e32 v14, 0
	v_mov_b32_e32 v23, 0
	s_and_saveexec_b64 s[2:3], vcc
	s_cbranch_execz .LBB549_641
; %bb.636:
	v_lshrrev_b32_e32 v6, 24, v7
	s_movk_i32 s7, 0x80
	v_cmp_ne_u32_e32 vcc, s7, v6
	v_bfrev_b32_e32 v23, 1
	s_and_saveexec_b64 s[8:9], vcc
	s_cbranch_execz .LBB549_640
; %bb.637:
	v_bfe_u32 v7, v7, 24, 7
	s_movk_i32 s7, 0x7f
	v_cmp_ne_u32_e32 vcc, s7, v7
	v_mov_b32_e32 v23, 0x7f800001
	s_and_saveexec_b64 s[10:11], vcc
	s_cbranch_execz .LBB549_639
; %bb.638:
	v_and_b32_e32 v23, 7, v6
	v_ffbh_u32_e32 v24, v23
	v_min_u32_e32 v28, 32, v24
	v_subrev_u32_e32 v24, 28, v28
	v_lshlrev_b64 v[24:25], v24, v[6:7]
	v_lshrrev_b32_e32 v27, 3, v7
	v_sub_u32_e32 v25, 29, v28
	v_and_b32_e32 v24, 7, v24
	v_cmp_gt_u32_e32 vcc, 8, v7
	v_cndmask_b32_e32 v7, v27, v25, vcc
	v_cndmask_b32_e32 v23, v23, v24, vcc
	v_lshlrev_b32_e32 v6, 24, v6
	v_bfrev_b32_e32 v24, 60
	v_lshlrev_b32_e32 v23, 20, v23
	v_and_b32_e32 v6, 0x80000000, v6
	v_lshl_add_u32 v7, v7, 23, v24
	v_or3_b32 v23, v6, v7, v23
.LBB549_639:
	s_or_b64 exec, exec, s[10:11]
.LBB549_640:
	s_or_b64 exec, exec, s[8:9]
.LBB549_641:
	s_or_b64 exec, exec, s[2:3]
	v_cvt_pkrtz_f16_f32 v6, v19, v16
	v_cvt_pkrtz_f16_f32 v7, v15, v18
	ds_read_b128 v[28:31], v22 offset:4096
	v_cmp_ne_u16_sdwa s[8:9], v8, v14 src0_sel:BYTE_0 src1_sel:DWORD
	s_waitcnt lgkmcnt(0)
	v_mfma_f32_16x16x16f16 v[10:13], v[6:7], v[28:29], v[10:13]
	v_cvt_pkrtz_f16_f32 v6, v17, v21
	v_cvt_pkrtz_f16_f32 v7, v20, v23
	s_nop 1
	v_mfma_f32_16x16x16f16 v[10:13], v[6:7], v[30:31], v[10:13]
	s_and_saveexec_b64 s[2:3], s[8:9]
	s_cbranch_execz .LBB549_647
; %bb.642:
	s_movk_i32 s7, 0x80
	v_cmp_ne_u16_sdwa s[10:11], v8, s7 src0_sel:BYTE_0 src1_sel:DWORD
	v_bfrev_b32_e32 v14, 1
	s_and_saveexec_b64 s[8:9], s[10:11]
	s_cbranch_execz .LBB549_646
; %bb.643:
	s_movk_i32 s7, 0x7f
	v_and_b32_e32 v6, 0x7f, v8
	v_cmp_ne_u32_e32 vcc, s7, v6
	v_mov_b32_e32 v14, 0x7f800001
	s_and_saveexec_b64 s[10:11], vcc
	s_cbranch_execz .LBB549_645
; %bb.644:
	v_and_b32_e32 v7, 7, v8
	v_ffbh_u32_e32 v14, v7
	v_min_u32_e32 v17, 32, v14
	v_subrev_u32_e32 v14, 28, v17
	v_lshlrev_b64 v[14:15], v14, v[8:9]
	v_lshrrev_b32_e32 v16, 3, v6
	v_sub_u32_e32 v15, 29, v17
	v_and_b32_e32 v14, 7, v14
	v_cmp_gt_u32_e32 vcc, 8, v6
	v_cndmask_b32_e32 v6, v16, v15, vcc
	v_cndmask_b32_e32 v7, v7, v14, vcc
	v_lshlrev_b32_e32 v14, 24, v8
	v_bfrev_b32_e32 v15, 60
	v_lshlrev_b32_e32 v7, 20, v7
	v_and_b32_e32 v14, 0x80000000, v14
	v_lshl_add_u32 v6, v6, 23, v15
	v_or3_b32 v14, v14, v6, v7
.LBB549_645:
	s_or_b64 exec, exec, s[10:11]
.LBB549_646:
	s_or_b64 exec, exec, s[8:9]
.LBB549_647:
	s_or_b64 exec, exec, s[2:3]
	v_lshrrev_b16_e32 v6, 8, v8
	v_cmp_ne_u16_e32 vcc, 0, v6
	v_mov_b32_e32 v7, 0
	v_mov_b32_e32 v16, 0
	s_and_saveexec_b64 s[2:3], vcc
	s_cbranch_execz .LBB549_653
; %bb.648:
	s_movk_i32 s7, 0x80
	v_cmp_ne_u16_e32 vcc, s7, v6
	v_bfrev_b32_e32 v16, 1
	s_and_saveexec_b64 s[8:9], vcc
	s_cbranch_execz .LBB549_652
; %bb.649:
	s_movk_i32 s7, 0x7f
	v_and_b32_e32 v15, 0x7f, v6
	v_cmp_ne_u32_e32 vcc, s7, v15
	v_mov_b32_e32 v16, 0x7f800001
	s_and_saveexec_b64 s[10:11], vcc
	s_cbranch_execz .LBB549_651
; %bb.650:
	v_and_b32_e32 v18, 7, v6
	v_ffbh_u32_e32 v16, v18
	v_min_u32_e32 v20, 32, v16
	v_subrev_u32_e32 v16, 28, v20
	v_lshlrev_b64 v[16:17], v16, v[6:7]
	v_lshrrev_b32_e32 v19, 3, v15
	v_sub_u32_e32 v6, 29, v20
	v_and_b32_e32 v16, 7, v16
	v_cmp_gt_u32_e32 vcc, 8, v15
	v_cndmask_b32_e32 v6, v19, v6, vcc
	v_cndmask_b32_e32 v15, v18, v16, vcc
	v_lshlrev_b32_e32 v16, 16, v8
	v_bfrev_b32_e32 v17, 60
	v_lshlrev_b32_e32 v15, 20, v15
	v_and_b32_e32 v16, 0x80000000, v16
	v_lshl_add_u32 v6, v6, 23, v17
	v_or3_b32 v16, v16, v6, v15
.LBB549_651:
	s_or_b64 exec, exec, s[10:11]
.LBB549_652:
	s_or_b64 exec, exec, s[8:9]
.LBB549_653:
	s_or_b64 exec, exec, s[2:3]
	s_movk_i32 s2, 0xff
	v_and_b32_sdwa v15, v8, s2 dst_sel:DWORD dst_unused:UNUSED_PAD src0_sel:WORD_1 src1_sel:DWORD
	v_lshrrev_b32_e32 v6, 16, v8
	v_cmp_ne_u16_e32 vcc, 0, v15
	s_and_saveexec_b64 s[2:3], vcc
	s_cbranch_execz .LBB549_659
; %bb.654:
	s_movk_i32 s7, 0x80
	v_cmp_ne_u16_e32 vcc, s7, v15
	v_bfrev_b32_e32 v7, 1
	s_and_saveexec_b64 s[8:9], vcc
	s_cbranch_execz .LBB549_658
; %bb.655:
	v_bfe_u32 v15, v8, 16, 7
	s_movk_i32 s7, 0x7f
	v_cmp_ne_u32_e32 vcc, s7, v15
	v_mov_b32_e32 v7, 0x7f800001
	s_and_saveexec_b64 s[10:11], vcc
	s_cbranch_execz .LBB549_657
; %bb.656:
	v_and_b32_e32 v17, 7, v6
	v_ffbh_u32_e32 v7, v17
	v_min_u32_e32 v19, 32, v7
	v_subrev_u32_e32 v7, 28, v19
	v_lshlrev_b64 v[6:7], v7, v[6:7]
	v_lshrrev_b32_e32 v18, 3, v15
	v_sub_u32_e32 v7, 29, v19
	v_and_b32_e32 v6, 7, v6
	v_cmp_gt_u32_e32 vcc, 8, v15
	v_mov_b32_e32 v15, 24
	v_cndmask_b32_e32 v7, v18, v7, vcc
	v_cndmask_b32_e32 v6, v17, v6, vcc
	v_lshlrev_b32_sdwa v15, v15, v8 dst_sel:DWORD dst_unused:UNUSED_PAD src0_sel:DWORD src1_sel:WORD_1
	v_bfrev_b32_e32 v17, 60
	v_lshlrev_b32_e32 v6, 20, v6
	v_and_b32_e32 v15, 0x80000000, v15
	v_lshl_add_u32 v7, v7, 23, v17
	v_or3_b32 v7, v15, v7, v6
.LBB549_657:
	s_or_b64 exec, exec, s[10:11]
.LBB549_658:
	s_or_b64 exec, exec, s[8:9]
.LBB549_659:
	s_or_b64 exec, exec, s[2:3]
	s_mov_b32 s2, 0xffffff
	v_cmp_lt_u32_e32 vcc, s2, v8
	v_mov_b32_e32 v17, 0
	v_mov_b32_e32 v18, 0
	s_and_saveexec_b64 s[2:3], vcc
	s_cbranch_execz .LBB549_665
; %bb.660:
	v_lshrrev_b32_e32 v6, 24, v8
	s_movk_i32 s7, 0x80
	v_cmp_ne_u32_e32 vcc, s7, v6
	v_bfrev_b32_e32 v18, 1
	s_and_saveexec_b64 s[8:9], vcc
	s_cbranch_execz .LBB549_664
; %bb.661:
	v_bfe_u32 v8, v8, 24, 7
	s_movk_i32 s7, 0x7f
	v_cmp_ne_u32_e32 vcc, s7, v8
	v_mov_b32_e32 v18, 0x7f800001
	s_and_saveexec_b64 s[10:11], vcc
	s_cbranch_execz .LBB549_663
; %bb.662:
	v_and_b32_e32 v15, 7, v6
	v_ffbh_u32_e32 v18, v15
	v_min_u32_e32 v21, 32, v18
	v_subrev_u32_e32 v18, 28, v21
	v_lshlrev_b64 v[18:19], v18, v[6:7]
	v_lshrrev_b32_e32 v20, 3, v8
	v_sub_u32_e32 v19, 29, v21
	v_and_b32_e32 v18, 7, v18
	v_cmp_gt_u32_e32 vcc, 8, v8
	v_cndmask_b32_e32 v8, v20, v19, vcc
	v_cndmask_b32_e32 v15, v15, v18, vcc
	v_lshlrev_b32_e32 v6, 24, v6
	v_bfrev_b32_e32 v18, 60
	v_lshlrev_b32_e32 v15, 20, v15
	v_and_b32_e32 v6, 0x80000000, v6
	v_lshl_add_u32 v8, v8, 23, v18
	v_or3_b32 v18, v6, v8, v15
.LBB549_663:
	s_or_b64 exec, exec, s[10:11]
.LBB549_664:
	s_or_b64 exec, exec, s[8:9]
.LBB549_665:
	s_or_b64 exec, exec, s[2:3]
	v_cmp_ne_u16_sdwa s[8:9], v9, v17 src0_sel:BYTE_0 src1_sel:DWORD
	s_and_saveexec_b64 s[2:3], s[8:9]
	s_cbranch_execz .LBB549_671
; %bb.666:
	s_movk_i32 s7, 0x80
	v_cmp_ne_u16_sdwa s[10:11], v9, s7 src0_sel:BYTE_0 src1_sel:DWORD
	v_bfrev_b32_e32 v17, 1
	s_and_saveexec_b64 s[8:9], s[10:11]
	s_cbranch_execz .LBB549_670
; %bb.667:
	s_movk_i32 s7, 0x7f
	v_and_b32_e32 v6, 0x7f, v9
	v_cmp_ne_u32_e32 vcc, s7, v6
	v_mov_b32_e32 v17, 0x7f800001
	s_and_saveexec_b64 s[10:11], vcc
	s_cbranch_execz .LBB549_669
; %bb.668:
	v_and_b32_e32 v15, 7, v9
	v_ffbh_u32_e32 v19, v15
	v_min_u32_e32 v19, 32, v19
	v_mov_b32_e32 v8, v9
	v_subrev_u32_e32 v20, 28, v19
	v_lshlrev_b64 v[20:21], v20, v[8:9]
	v_lshrrev_b32_e32 v17, 3, v6
	v_sub_u32_e32 v8, 29, v19
	v_and_b32_e32 v19, 7, v20
	v_cmp_gt_u32_e32 vcc, 8, v6
	v_cndmask_b32_e32 v6, v17, v8, vcc
	v_cndmask_b32_e32 v8, v15, v19, vcc
	v_lshlrev_b32_e32 v15, 24, v9
	v_bfrev_b32_e32 v17, 60
	v_lshlrev_b32_e32 v8, 20, v8
	v_and_b32_e32 v15, 0x80000000, v15
	v_lshl_add_u32 v6, v6, 23, v17
	v_or3_b32 v17, v15, v6, v8
.LBB549_669:
	s_or_b64 exec, exec, s[10:11]
.LBB549_670:
	s_or_b64 exec, exec, s[8:9]
.LBB549_671:
	s_or_b64 exec, exec, s[2:3]
	v_lshrrev_b16_e32 v6, 8, v9
	v_cmp_ne_u16_e32 vcc, 0, v6
	v_mov_b32_e32 v8, 0
	v_mov_b32_e32 v19, 0
	s_and_saveexec_b64 s[2:3], vcc
	s_cbranch_execz .LBB549_677
; %bb.672:
	s_movk_i32 s7, 0x80
	v_cmp_ne_u16_e32 vcc, s7, v6
	v_bfrev_b32_e32 v19, 1
	s_and_saveexec_b64 s[8:9], vcc
	s_cbranch_execz .LBB549_676
; %bb.673:
	s_movk_i32 s7, 0x7f
	v_and_b32_e32 v15, 0x7f, v6
	v_cmp_ne_u32_e32 vcc, s7, v15
	v_mov_b32_e32 v19, 0x7f800001
	s_and_saveexec_b64 s[10:11], vcc
	s_cbranch_execz .LBB549_675
; %bb.674:
	v_and_b32_e32 v19, 7, v6
	v_ffbh_u32_e32 v20, v19
	v_min_u32_e32 v24, 32, v20
	v_subrev_u32_e32 v20, 28, v24
	v_lshlrev_b64 v[20:21], v20, v[6:7]
	v_lshrrev_b32_e32 v23, 3, v15
	v_sub_u32_e32 v6, 29, v24
	v_and_b32_e32 v20, 7, v20
	v_cmp_gt_u32_e32 vcc, 8, v15
	v_cndmask_b32_e32 v6, v23, v6, vcc
	v_cndmask_b32_e32 v15, v19, v20, vcc
	v_lshlrev_b32_e32 v19, 16, v9
	v_bfrev_b32_e32 v20, 60
	v_lshlrev_b32_e32 v15, 20, v15
	v_and_b32_e32 v19, 0x80000000, v19
	v_lshl_add_u32 v6, v6, 23, v20
	v_or3_b32 v19, v19, v6, v15
.LBB549_675:
	s_or_b64 exec, exec, s[10:11]
.LBB549_676:
	s_or_b64 exec, exec, s[8:9]
.LBB549_677:
	s_or_b64 exec, exec, s[2:3]
	s_movk_i32 s2, 0xff
	v_and_b32_sdwa v15, v9, s2 dst_sel:DWORD dst_unused:UNUSED_PAD src0_sel:WORD_1 src1_sel:DWORD
	v_lshrrev_b32_e32 v6, 16, v9
	v_cmp_ne_u16_e32 vcc, 0, v15
	s_and_saveexec_b64 s[2:3], vcc
	s_cbranch_execz .LBB549_683
; %bb.678:
	s_movk_i32 s7, 0x80
	v_cmp_ne_u16_e32 vcc, s7, v15
	v_bfrev_b32_e32 v8, 1
	s_and_saveexec_b64 s[8:9], vcc
	s_cbranch_execz .LBB549_682
; %bb.679:
	v_bfe_u32 v15, v9, 16, 7
	s_movk_i32 s7, 0x7f
	v_cmp_ne_u32_e32 vcc, s7, v15
	v_mov_b32_e32 v8, 0x7f800001
	s_and_saveexec_b64 s[10:11], vcc
	s_cbranch_execz .LBB549_681
; %bb.680:
	v_and_b32_e32 v8, 7, v6
	v_ffbh_u32_e32 v20, v8
	v_min_u32_e32 v24, 32, v20
	v_subrev_u32_e32 v20, 28, v24
	v_lshlrev_b64 v[20:21], v20, v[6:7]
	v_lshrrev_b32_e32 v23, 3, v15
	v_sub_u32_e32 v6, 29, v24
	v_and_b32_e32 v20, 7, v20
	v_cmp_gt_u32_e32 vcc, 8, v15
	v_mov_b32_e32 v15, 24
	v_cndmask_b32_e32 v6, v23, v6, vcc
	v_cndmask_b32_e32 v8, v8, v20, vcc
	v_lshlrev_b32_sdwa v15, v15, v9 dst_sel:DWORD dst_unused:UNUSED_PAD src0_sel:DWORD src1_sel:WORD_1
	v_bfrev_b32_e32 v20, 60
	v_lshlrev_b32_e32 v8, 20, v8
	v_and_b32_e32 v15, 0x80000000, v15
	v_lshl_add_u32 v6, v6, 23, v20
	v_or3_b32 v8, v15, v6, v8
.LBB549_681:
	s_or_b64 exec, exec, s[10:11]
.LBB549_682:
	s_or_b64 exec, exec, s[8:9]
.LBB549_683:
	s_or_b64 exec, exec, s[2:3]
	s_mov_b32 s2, 0xffffff
	v_cmp_lt_u32_e32 vcc, s2, v9
	v_mov_b32_e32 v15, 0
	v_mov_b32_e32 v20, 0
	s_and_saveexec_b64 s[2:3], vcc
	s_cbranch_execz .LBB549_689
; %bb.684:
	v_lshrrev_b32_e32 v6, 24, v9
	s_movk_i32 s7, 0x80
	v_cmp_ne_u32_e32 vcc, s7, v6
	v_bfrev_b32_e32 v20, 1
	s_and_saveexec_b64 s[8:9], vcc
	s_cbranch_execz .LBB549_688
; %bb.685:
	v_bfe_u32 v9, v9, 24, 7
	s_movk_i32 s7, 0x7f
	v_cmp_ne_u32_e32 vcc, s7, v9
	v_mov_b32_e32 v20, 0x7f800001
	s_and_saveexec_b64 s[10:11], vcc
	s_cbranch_execz .LBB549_687
; %bb.686:
	v_and_b32_e32 v23, 7, v6
	v_ffbh_u32_e32 v20, v23
	v_min_u32_e32 v25, 32, v20
	v_subrev_u32_e32 v20, 28, v25
	v_lshlrev_b64 v[20:21], v20, v[6:7]
	v_lshrrev_b32_e32 v24, 3, v9
	v_sub_u32_e32 v21, 29, v25
	v_and_b32_e32 v20, 7, v20
	v_cmp_gt_u32_e32 vcc, 8, v9
	v_cndmask_b32_e32 v9, v24, v21, vcc
	v_cndmask_b32_e32 v20, v23, v20, vcc
	v_lshlrev_b32_e32 v6, 24, v6
	v_bfrev_b32_e32 v21, 60
	v_lshlrev_b32_e32 v20, 20, v20
	v_and_b32_e32 v6, 0x80000000, v6
	v_lshl_add_u32 v9, v9, 23, v21
	v_or3_b32 v20, v6, v9, v20
.LBB549_687:
	s_or_b64 exec, exec, s[10:11]
.LBB549_688:
	s_or_b64 exec, exec, s[8:9]
.LBB549_689:
	s_or_b64 exec, exec, s[2:3]
	v_cvt_pkrtz_f16_f32 v6, v14, v16
	v_cvt_pkrtz_f16_f32 v7, v7, v18
	ds_read_b128 v[28:31], v22 offset:4112
	s_waitcnt vmcnt(0)
	v_cmp_ne_u16_sdwa s[8:9], v2, v15 src0_sel:BYTE_0 src1_sel:DWORD
	s_waitcnt lgkmcnt(0)
	v_mfma_f32_16x16x16f16 v[10:13], v[6:7], v[28:29], v[10:13]
	v_cvt_pkrtz_f16_f32 v6, v17, v19
	v_cvt_pkrtz_f16_f32 v7, v8, v20
	s_nop 1
	v_mfma_f32_16x16x16f16 v[6:9], v[6:7], v[30:31], v[10:13]
	s_and_saveexec_b64 s[2:3], s[8:9]
	s_cbranch_execz .LBB549_695
; %bb.690:
	s_movk_i32 s7, 0x80
	v_cmp_ne_u16_sdwa s[10:11], v2, s7 src0_sel:BYTE_0 src1_sel:DWORD
	v_bfrev_b32_e32 v15, 1
	s_and_saveexec_b64 s[8:9], s[10:11]
	s_cbranch_execz .LBB549_694
; %bb.691:
	s_movk_i32 s7, 0x7f
	v_and_b32_e32 v10, 0x7f, v2
	v_cmp_ne_u32_e32 vcc, s7, v10
	v_mov_b32_e32 v15, 0x7f800001
	s_and_saveexec_b64 s[10:11], vcc
	s_cbranch_execz .LBB549_693
; %bb.692:
	v_and_b32_e32 v11, 7, v2
	v_ffbh_u32_e32 v12, v11
	v_min_u32_e32 v15, 32, v12
	v_subrev_u32_e32 v12, 28, v15
	v_lshlrev_b64 v[12:13], v12, v[2:3]
	v_lshrrev_b32_e32 v14, 3, v10
	v_sub_u32_e32 v13, 29, v15
	v_and_b32_e32 v12, 7, v12
	v_cmp_gt_u32_e32 vcc, 8, v10
	v_cndmask_b32_e32 v10, v14, v13, vcc
	v_cndmask_b32_e32 v11, v11, v12, vcc
	v_lshlrev_b32_e32 v12, 24, v2
	v_bfrev_b32_e32 v13, 60
	v_lshlrev_b32_e32 v11, 20, v11
	v_and_b32_e32 v12, 0x80000000, v12
	v_lshl_add_u32 v10, v10, 23, v13
	v_or3_b32 v15, v12, v10, v11
.LBB549_693:
	s_or_b64 exec, exec, s[10:11]
.LBB549_694:
	s_or_b64 exec, exec, s[8:9]
.LBB549_695:
	s_or_b64 exec, exec, s[2:3]
	s_nop 3
	v_lshrrev_b16_e32 v10, 8, v2
	v_cmp_ne_u16_e32 vcc, 0, v10
	v_mov_b32_e32 v11, 0
	v_mov_b32_e32 v12, 0
	s_and_saveexec_b64 s[2:3], vcc
	s_cbranch_execz .LBB549_701
; %bb.696:
	s_movk_i32 s7, 0x80
	v_cmp_ne_u16_e32 vcc, s7, v10
	v_bfrev_b32_e32 v12, 1
	s_and_saveexec_b64 s[8:9], vcc
	s_cbranch_execz .LBB549_700
; %bb.697:
	s_movk_i32 s7, 0x7f
	v_and_b32_e32 v13, 0x7f, v10
	v_cmp_ne_u32_e32 vcc, s7, v13
	v_mov_b32_e32 v12, 0x7f800001
	s_and_saveexec_b64 s[10:11], vcc
	s_cbranch_execz .LBB549_699
; %bb.698:
	v_and_b32_e32 v12, 7, v10
	v_ffbh_u32_e32 v16, v12
	v_min_u32_e32 v18, 32, v16
	v_subrev_u32_e32 v16, 28, v18
	v_lshlrev_b64 v[16:17], v16, v[10:11]
	v_lshrrev_b32_e32 v14, 3, v13
	v_sub_u32_e32 v10, 29, v18
	v_and_b32_e32 v16, 7, v16
	v_cmp_gt_u32_e32 vcc, 8, v13
	v_cndmask_b32_e32 v10, v14, v10, vcc
	v_cndmask_b32_e32 v12, v12, v16, vcc
	v_lshlrev_b32_e32 v13, 16, v2
	v_bfrev_b32_e32 v14, 60
	v_lshlrev_b32_e32 v12, 20, v12
	v_and_b32_e32 v13, 0x80000000, v13
	v_lshl_add_u32 v10, v10, 23, v14
	v_or3_b32 v12, v13, v10, v12
.LBB549_699:
	s_or_b64 exec, exec, s[10:11]
.LBB549_700:
	s_or_b64 exec, exec, s[8:9]
.LBB549_701:
	s_or_b64 exec, exec, s[2:3]
	s_movk_i32 s2, 0xff
	v_and_b32_sdwa v13, v2, s2 dst_sel:DWORD dst_unused:UNUSED_PAD src0_sel:WORD_1 src1_sel:DWORD
	v_lshrrev_b32_e32 v10, 16, v2
	v_cmp_ne_u16_e32 vcc, 0, v13
	s_and_saveexec_b64 s[2:3], vcc
	s_cbranch_execz .LBB549_707
; %bb.702:
	s_movk_i32 s7, 0x80
	v_cmp_ne_u16_e32 vcc, s7, v13
	v_bfrev_b32_e32 v11, 1
	s_and_saveexec_b64 s[8:9], vcc
	s_cbranch_execz .LBB549_706
; %bb.703:
	v_bfe_u32 v13, v2, 16, 7
	s_movk_i32 s7, 0x7f
	v_cmp_ne_u32_e32 vcc, s7, v13
	v_mov_b32_e32 v11, 0x7f800001
	s_and_saveexec_b64 s[10:11], vcc
	s_cbranch_execz .LBB549_705
; %bb.704:
	v_and_b32_e32 v14, 7, v10
	v_ffbh_u32_e32 v11, v14
	v_min_u32_e32 v17, 32, v11
	v_subrev_u32_e32 v11, 28, v17
	v_lshlrev_b64 v[10:11], v11, v[10:11]
	v_lshrrev_b32_e32 v16, 3, v13
	v_sub_u32_e32 v11, 29, v17
	v_and_b32_e32 v10, 7, v10
	v_cmp_gt_u32_e32 vcc, 8, v13
	v_mov_b32_e32 v13, 24
	v_cndmask_b32_e32 v11, v16, v11, vcc
	v_cndmask_b32_e32 v10, v14, v10, vcc
	v_lshlrev_b32_sdwa v13, v13, v2 dst_sel:DWORD dst_unused:UNUSED_PAD src0_sel:DWORD src1_sel:WORD_1
	v_bfrev_b32_e32 v14, 60
	v_lshlrev_b32_e32 v10, 20, v10
	v_and_b32_e32 v13, 0x80000000, v13
	v_lshl_add_u32 v11, v11, 23, v14
	v_or3_b32 v11, v13, v11, v10
.LBB549_705:
	s_or_b64 exec, exec, s[10:11]
.LBB549_706:
	s_or_b64 exec, exec, s[8:9]
.LBB549_707:
	s_or_b64 exec, exec, s[2:3]
	s_mov_b32 s2, 0xffffff
	v_cmp_lt_u32_e32 vcc, s2, v2
	v_mov_b32_e32 v13, 0
	v_mov_b32_e32 v14, 0
	s_and_saveexec_b64 s[2:3], vcc
	s_cbranch_execz .LBB549_713
; %bb.708:
	v_lshrrev_b32_e32 v10, 24, v2
	s_movk_i32 s7, 0x80
	v_cmp_ne_u32_e32 vcc, s7, v10
	v_bfrev_b32_e32 v14, 1
	s_and_saveexec_b64 s[8:9], vcc
	s_cbranch_execz .LBB549_712
; %bb.709:
	v_bfe_u32 v2, v2, 24, 7
	s_movk_i32 s7, 0x7f
	v_cmp_ne_u32_e32 vcc, s7, v2
	v_mov_b32_e32 v14, 0x7f800001
	s_and_saveexec_b64 s[10:11], vcc
	s_cbranch_execz .LBB549_711
; %bb.710:
	v_and_b32_e32 v14, 7, v10
	v_ffbh_u32_e32 v16, v14
	v_min_u32_e32 v19, 32, v16
	v_subrev_u32_e32 v16, 28, v19
	v_lshlrev_b64 v[16:17], v16, v[10:11]
	v_lshrrev_b32_e32 v18, 3, v2
	v_sub_u32_e32 v17, 29, v19
	v_and_b32_e32 v16, 7, v16
	v_cmp_gt_u32_e32 vcc, 8, v2
	v_cndmask_b32_e32 v2, v18, v17, vcc
	v_cndmask_b32_e32 v14, v14, v16, vcc
	v_lshlrev_b32_e32 v10, 24, v10
	v_bfrev_b32_e32 v16, 60
	v_lshlrev_b32_e32 v14, 20, v14
	v_and_b32_e32 v10, 0x80000000, v10
	v_lshl_add_u32 v2, v2, 23, v16
	v_or3_b32 v14, v10, v2, v14
.LBB549_711:
	s_or_b64 exec, exec, s[10:11]
.LBB549_712:
	s_or_b64 exec, exec, s[8:9]
.LBB549_713:
	s_or_b64 exec, exec, s[2:3]
	v_cmp_ne_u16_sdwa s[8:9], v3, v13 src0_sel:BYTE_0 src1_sel:DWORD
	s_and_saveexec_b64 s[2:3], s[8:9]
	s_cbranch_execz .LBB549_719
; %bb.714:
	s_movk_i32 s7, 0x80
	v_cmp_ne_u16_sdwa s[10:11], v3, s7 src0_sel:BYTE_0 src1_sel:DWORD
	v_bfrev_b32_e32 v13, 1
	s_and_saveexec_b64 s[8:9], s[10:11]
	s_cbranch_execz .LBB549_718
; %bb.715:
	s_movk_i32 s7, 0x7f
	v_and_b32_e32 v2, 0x7f, v3
	v_cmp_ne_u32_e32 vcc, s7, v2
	v_mov_b32_e32 v13, 0x7f800001
	s_and_saveexec_b64 s[10:11], vcc
	s_cbranch_execz .LBB549_717
; %bb.716:
	v_and_b32_e32 v13, 7, v3
	v_ffbh_u32_e32 v16, v13
	v_min_u32_e32 v19, 32, v16
	v_mov_b32_e32 v10, v3
	v_subrev_u32_e32 v16, 28, v19
	v_lshlrev_b64 v[16:17], v16, v[10:11]
	v_lshrrev_b32_e32 v18, 3, v2
	v_sub_u32_e32 v10, 29, v19
	v_and_b32_e32 v16, 7, v16
	v_cmp_gt_u32_e32 vcc, 8, v2
	v_cndmask_b32_e32 v2, v18, v10, vcc
	v_cndmask_b32_e32 v10, v13, v16, vcc
	v_lshlrev_b32_e32 v13, 24, v3
	v_bfrev_b32_e32 v16, 60
	v_lshlrev_b32_e32 v10, 20, v10
	v_and_b32_e32 v13, 0x80000000, v13
	v_lshl_add_u32 v2, v2, 23, v16
	v_or3_b32 v13, v13, v2, v10
.LBB549_717:
	s_or_b64 exec, exec, s[10:11]
.LBB549_718:
	s_or_b64 exec, exec, s[8:9]
.LBB549_719:
	s_or_b64 exec, exec, s[2:3]
	v_lshrrev_b16_e32 v2, 8, v3
	v_cmp_ne_u16_e32 vcc, 0, v2
	v_mov_b32_e32 v16, 0
	v_mov_b32_e32 v17, 0
	s_and_saveexec_b64 s[2:3], vcc
	s_cbranch_execz .LBB549_725
; %bb.720:
	s_movk_i32 s7, 0x80
	v_cmp_ne_u16_e32 vcc, s7, v2
	v_bfrev_b32_e32 v17, 1
	s_and_saveexec_b64 s[8:9], vcc
	s_cbranch_execz .LBB549_724
; %bb.721:
	s_movk_i32 s7, 0x7f
	v_and_b32_e32 v10, 0x7f, v2
	v_cmp_ne_u32_e32 vcc, s7, v10
	v_mov_b32_e32 v17, 0x7f800001
	s_and_saveexec_b64 s[10:11], vcc
	s_cbranch_execz .LBB549_723
; %bb.722:
	v_and_b32_e32 v17, 7, v2
	v_ffbh_u32_e32 v18, v17
	v_min_u32_e32 v21, 32, v18
	v_subrev_u32_e32 v18, 28, v21
	v_lshlrev_b64 v[18:19], v18, v[2:3]
	v_lshrrev_b32_e32 v20, 3, v10
	v_sub_u32_e32 v2, 29, v21
	v_and_b32_e32 v18, 7, v18
	v_cmp_gt_u32_e32 vcc, 8, v10
	v_cndmask_b32_e32 v2, v20, v2, vcc
	v_cndmask_b32_e32 v10, v17, v18, vcc
	v_lshlrev_b32_e32 v17, 16, v3
	v_bfrev_b32_e32 v18, 60
	v_lshlrev_b32_e32 v10, 20, v10
	v_and_b32_e32 v17, 0x80000000, v17
	v_lshl_add_u32 v2, v2, 23, v18
	v_or3_b32 v17, v17, v2, v10
.LBB549_723:
	s_or_b64 exec, exec, s[10:11]
.LBB549_724:
	s_or_b64 exec, exec, s[8:9]
.LBB549_725:
	s_or_b64 exec, exec, s[2:3]
	s_movk_i32 s2, 0xff
	v_and_b32_sdwa v10, v3, s2 dst_sel:DWORD dst_unused:UNUSED_PAD src0_sel:WORD_1 src1_sel:DWORD
	v_lshrrev_b32_e32 v2, 16, v3
	v_cmp_ne_u16_e32 vcc, 0, v10
	s_and_saveexec_b64 s[2:3], vcc
	s_cbranch_execz .LBB549_731
; %bb.726:
	s_movk_i32 s7, 0x80
	v_cmp_ne_u16_e32 vcc, s7, v10
	v_bfrev_b32_e32 v16, 1
	s_and_saveexec_b64 s[8:9], vcc
	s_cbranch_execz .LBB549_730
; %bb.727:
	v_bfe_u32 v10, v3, 16, 7
	s_movk_i32 s7, 0x7f
	v_cmp_ne_u32_e32 vcc, s7, v10
	v_mov_b32_e32 v16, 0x7f800001
	s_and_saveexec_b64 s[10:11], vcc
	s_cbranch_execz .LBB549_729
; %bb.728:
	v_and_b32_e32 v16, 7, v2
	v_ffbh_u32_e32 v18, v16
	v_min_u32_e32 v21, 32, v18
	v_subrev_u32_e32 v18, 28, v21
	v_lshlrev_b64 v[18:19], v18, v[2:3]
	v_and_b32_e32 v18, 7, v18
	v_cmp_gt_u32_e32 vcc, 8, v10
	v_lshrrev_b32_e32 v20, 3, v10
	v_sub_u32_e32 v2, 29, v21
	v_cndmask_b32_e32 v10, v16, v18, vcc
	v_mov_b32_e32 v16, 24
	v_cndmask_b32_e32 v2, v20, v2, vcc
	v_lshlrev_b32_sdwa v16, v16, v3 dst_sel:DWORD dst_unused:UNUSED_PAD src0_sel:DWORD src1_sel:WORD_1
	v_bfrev_b32_e32 v18, 60
	v_lshlrev_b32_e32 v10, 20, v10
	v_and_b32_e32 v16, 0x80000000, v16
	v_lshl_add_u32 v2, v2, 23, v18
	v_or3_b32 v16, v16, v2, v10
.LBB549_729:
	s_or_b64 exec, exec, s[10:11]
.LBB549_730:
	s_or_b64 exec, exec, s[8:9]
.LBB549_731:
	s_or_b64 exec, exec, s[2:3]
	s_mov_b32 s2, 0xffffff
	v_cmp_lt_u32_e32 vcc, s2, v3
	v_mov_b32_e32 v10, 0
	v_mov_b32_e32 v18, 0
	s_and_saveexec_b64 s[2:3], vcc
	s_cbranch_execz .LBB549_737
; %bb.732:
	v_lshrrev_b32_e32 v2, 24, v3
	s_movk_i32 s7, 0x80
	v_cmp_ne_u32_e32 vcc, s7, v2
	v_bfrev_b32_e32 v18, 1
	s_and_saveexec_b64 s[8:9], vcc
	s_cbranch_execz .LBB549_736
; %bb.733:
	v_bfe_u32 v3, v3, 24, 7
	s_movk_i32 s7, 0x7f
	v_cmp_ne_u32_e32 vcc, s7, v3
	v_mov_b32_e32 v18, 0x7f800001
	s_and_saveexec_b64 s[10:11], vcc
	s_cbranch_execz .LBB549_735
; %bb.734:
	v_and_b32_e32 v20, 7, v2
	v_ffbh_u32_e32 v18, v20
	v_min_u32_e32 v23, 32, v18
	v_subrev_u32_e32 v18, 28, v23
	v_lshlrev_b64 v[18:19], v18, v[2:3]
	v_lshrrev_b32_e32 v21, 3, v3
	v_sub_u32_e32 v19, 29, v23
	v_and_b32_e32 v18, 7, v18
	v_cmp_gt_u32_e32 vcc, 8, v3
	v_cndmask_b32_e32 v3, v21, v19, vcc
	v_cndmask_b32_e32 v18, v20, v18, vcc
	v_lshlrev_b32_e32 v2, 24, v2
	v_bfrev_b32_e32 v19, 60
	v_lshlrev_b32_e32 v18, 20, v18
	v_and_b32_e32 v2, 0x80000000, v2
	v_lshl_add_u32 v3, v3, 23, v19
	v_or3_b32 v18, v2, v3, v18
.LBB549_735:
	s_or_b64 exec, exec, s[10:11]
.LBB549_736:
	s_or_b64 exec, exec, s[8:9]
.LBB549_737:
	s_or_b64 exec, exec, s[2:3]
	v_cvt_pkrtz_f16_f32 v2, v15, v12
	v_cvt_pkrtz_f16_f32 v3, v11, v14
	ds_read_b128 v[28:31], v22 offset:6144
	v_cmp_ne_u16_sdwa s[8:9], v4, v10 src0_sel:BYTE_0 src1_sel:DWORD
	s_waitcnt lgkmcnt(0)
	v_mfma_f32_16x16x16f16 v[6:9], v[2:3], v[28:29], v[6:9]
	v_cvt_pkrtz_f16_f32 v2, v13, v17
	v_cvt_pkrtz_f16_f32 v3, v16, v18
	s_nop 1
	v_mfma_f32_16x16x16f16 v[6:9], v[2:3], v[30:31], v[6:9]
	s_and_saveexec_b64 s[2:3], s[8:9]
	s_cbranch_execz .LBB549_743
; %bb.738:
	s_movk_i32 s7, 0x80
	v_cmp_ne_u16_sdwa s[10:11], v4, s7 src0_sel:BYTE_0 src1_sel:DWORD
	v_bfrev_b32_e32 v10, 1
	s_and_saveexec_b64 s[8:9], s[10:11]
	s_cbranch_execz .LBB549_742
; %bb.739:
	s_movk_i32 s7, 0x7f
	v_and_b32_e32 v2, 0x7f, v4
	v_cmp_ne_u32_e32 vcc, s7, v2
	v_mov_b32_e32 v10, 0x7f800001
	s_and_saveexec_b64 s[10:11], vcc
	s_cbranch_execz .LBB549_741
; %bb.740:
	v_and_b32_e32 v3, 7, v4
	v_ffbh_u32_e32 v10, v3
	v_min_u32_e32 v13, 32, v10
	v_subrev_u32_e32 v10, 28, v13
	v_lshlrev_b64 v[10:11], v10, v[4:5]
	v_lshrrev_b32_e32 v12, 3, v2
	v_sub_u32_e32 v11, 29, v13
	v_and_b32_e32 v10, 7, v10
	v_cmp_gt_u32_e32 vcc, 8, v2
	v_cndmask_b32_e32 v2, v12, v11, vcc
	v_cndmask_b32_e32 v3, v3, v10, vcc
	v_lshlrev_b32_e32 v10, 24, v4
	v_bfrev_b32_e32 v11, 60
	v_lshlrev_b32_e32 v3, 20, v3
	v_and_b32_e32 v10, 0x80000000, v10
	v_lshl_add_u32 v2, v2, 23, v11
	v_or3_b32 v10, v10, v2, v3
.LBB549_741:
	s_or_b64 exec, exec, s[10:11]
.LBB549_742:
	s_or_b64 exec, exec, s[8:9]
.LBB549_743:
	s_or_b64 exec, exec, s[2:3]
	v_lshrrev_b16_e32 v2, 8, v4
	v_cmp_ne_u16_e32 vcc, 0, v2
	v_mov_b32_e32 v3, 0
	v_mov_b32_e32 v11, 0
	s_and_saveexec_b64 s[2:3], vcc
	s_cbranch_execz .LBB549_749
; %bb.744:
	s_movk_i32 s7, 0x80
	v_cmp_ne_u16_e32 vcc, s7, v2
	v_bfrev_b32_e32 v11, 1
	s_and_saveexec_b64 s[8:9], vcc
	s_cbranch_execz .LBB549_748
; %bb.745:
	s_movk_i32 s7, 0x7f
	v_and_b32_e32 v12, 0x7f, v2
	v_cmp_ne_u32_e32 vcc, s7, v12
	v_mov_b32_e32 v11, 0x7f800001
	s_and_saveexec_b64 s[10:11], vcc
	s_cbranch_execz .LBB549_747
; %bb.746:
	v_and_b32_e32 v11, 7, v2
	v_ffbh_u32_e32 v14, v11
	v_min_u32_e32 v16, 32, v14
	v_subrev_u32_e32 v14, 28, v16
	v_lshlrev_b64 v[14:15], v14, v[2:3]
	v_lshrrev_b32_e32 v13, 3, v12
	v_sub_u32_e32 v2, 29, v16
	v_and_b32_e32 v14, 7, v14
	v_cmp_gt_u32_e32 vcc, 8, v12
	v_cndmask_b32_e32 v2, v13, v2, vcc
	v_cndmask_b32_e32 v11, v11, v14, vcc
	v_lshlrev_b32_e32 v12, 16, v4
	v_bfrev_b32_e32 v13, 60
	v_lshlrev_b32_e32 v11, 20, v11
	v_and_b32_e32 v12, 0x80000000, v12
	v_lshl_add_u32 v2, v2, 23, v13
	v_or3_b32 v11, v12, v2, v11
.LBB549_747:
	s_or_b64 exec, exec, s[10:11]
.LBB549_748:
	s_or_b64 exec, exec, s[8:9]
.LBB549_749:
	s_or_b64 exec, exec, s[2:3]
	s_movk_i32 s2, 0xff
	v_and_b32_sdwa v12, v4, s2 dst_sel:DWORD dst_unused:UNUSED_PAD src0_sel:WORD_1 src1_sel:DWORD
	v_lshrrev_b32_e32 v2, 16, v4
	v_cmp_ne_u16_e32 vcc, 0, v12
	s_and_saveexec_b64 s[2:3], vcc
	s_cbranch_execz .LBB549_755
; %bb.750:
	s_movk_i32 s7, 0x80
	v_cmp_ne_u16_e32 vcc, s7, v12
	v_bfrev_b32_e32 v3, 1
	s_and_saveexec_b64 s[8:9], vcc
	s_cbranch_execz .LBB549_754
; %bb.751:
	v_bfe_u32 v12, v4, 16, 7
	s_movk_i32 s7, 0x7f
	v_cmp_ne_u32_e32 vcc, s7, v12
	v_mov_b32_e32 v3, 0x7f800001
	s_and_saveexec_b64 s[10:11], vcc
	s_cbranch_execz .LBB549_753
; %bb.752:
	v_and_b32_e32 v13, 7, v2
	v_ffbh_u32_e32 v3, v13
	v_min_u32_e32 v15, 32, v3
	v_subrev_u32_e32 v3, 28, v15
	v_lshlrev_b64 v[2:3], v3, v[2:3]
	v_lshrrev_b32_e32 v14, 3, v12
	v_sub_u32_e32 v3, 29, v15
	v_and_b32_e32 v2, 7, v2
	v_cmp_gt_u32_e32 vcc, 8, v12
	v_mov_b32_e32 v12, 24
	v_cndmask_b32_e32 v3, v14, v3, vcc
	v_cndmask_b32_e32 v2, v13, v2, vcc
	v_lshlrev_b32_sdwa v12, v12, v4 dst_sel:DWORD dst_unused:UNUSED_PAD src0_sel:DWORD src1_sel:WORD_1
	v_bfrev_b32_e32 v13, 60
	v_lshlrev_b32_e32 v2, 20, v2
	v_and_b32_e32 v12, 0x80000000, v12
	v_lshl_add_u32 v3, v3, 23, v13
	v_or3_b32 v3, v12, v3, v2
.LBB549_753:
	s_or_b64 exec, exec, s[10:11]
.LBB549_754:
	s_or_b64 exec, exec, s[8:9]
.LBB549_755:
	s_or_b64 exec, exec, s[2:3]
	s_mov_b32 s2, 0xffffff
	v_cmp_lt_u32_e32 vcc, s2, v4
	v_mov_b32_e32 v12, 0
	v_mov_b32_e32 v13, 0
	s_and_saveexec_b64 s[2:3], vcc
	s_cbranch_execz .LBB549_761
; %bb.756:
	v_lshrrev_b32_e32 v2, 24, v4
	s_movk_i32 s7, 0x80
	v_cmp_ne_u32_e32 vcc, s7, v2
	v_bfrev_b32_e32 v13, 1
	s_and_saveexec_b64 s[8:9], vcc
	s_cbranch_execz .LBB549_760
; %bb.757:
	v_bfe_u32 v4, v4, 24, 7
	s_movk_i32 s7, 0x7f
	v_cmp_ne_u32_e32 vcc, s7, v4
	v_mov_b32_e32 v13, 0x7f800001
	s_and_saveexec_b64 s[10:11], vcc
	s_cbranch_execz .LBB549_759
; %bb.758:
	v_and_b32_e32 v13, 7, v2
	v_ffbh_u32_e32 v14, v13
	v_min_u32_e32 v17, 32, v14
	v_subrev_u32_e32 v14, 28, v17
	v_lshlrev_b64 v[14:15], v14, v[2:3]
	v_lshrrev_b32_e32 v16, 3, v4
	v_sub_u32_e32 v15, 29, v17
	v_and_b32_e32 v14, 7, v14
	v_cmp_gt_u32_e32 vcc, 8, v4
	v_cndmask_b32_e32 v4, v16, v15, vcc
	v_cndmask_b32_e32 v13, v13, v14, vcc
	v_lshlrev_b32_e32 v2, 24, v2
	v_bfrev_b32_e32 v14, 60
	v_lshlrev_b32_e32 v13, 20, v13
	v_and_b32_e32 v2, 0x80000000, v2
	v_lshl_add_u32 v4, v4, 23, v14
	v_or3_b32 v13, v2, v4, v13
.LBB549_759:
	s_or_b64 exec, exec, s[10:11]
.LBB549_760:
	s_or_b64 exec, exec, s[8:9]
.LBB549_761:
	s_or_b64 exec, exec, s[2:3]
	v_cmp_ne_u16_sdwa s[8:9], v5, v12 src0_sel:BYTE_0 src1_sel:DWORD
	s_and_saveexec_b64 s[2:3], s[8:9]
	s_cbranch_execz .LBB549_767
; %bb.762:
	s_movk_i32 s7, 0x80
	v_cmp_ne_u16_sdwa s[10:11], v5, s7 src0_sel:BYTE_0 src1_sel:DWORD
	v_bfrev_b32_e32 v12, 1
	s_and_saveexec_b64 s[8:9], s[10:11]
	s_cbranch_execz .LBB549_766
; %bb.763:
	s_movk_i32 s7, 0x7f
	v_and_b32_e32 v2, 0x7f, v5
	v_cmp_ne_u32_e32 vcc, s7, v2
	v_mov_b32_e32 v12, 0x7f800001
	s_and_saveexec_b64 s[10:11], vcc
	s_cbranch_execz .LBB549_765
; %bb.764:
	v_and_b32_e32 v12, 7, v5
	v_ffbh_u32_e32 v14, v12
	v_min_u32_e32 v17, 32, v14
	v_mov_b32_e32 v4, v5
	v_subrev_u32_e32 v14, 28, v17
	v_lshlrev_b64 v[14:15], v14, v[4:5]
	v_lshrrev_b32_e32 v16, 3, v2
	v_sub_u32_e32 v4, 29, v17
	v_and_b32_e32 v14, 7, v14
	v_cmp_gt_u32_e32 vcc, 8, v2
	v_cndmask_b32_e32 v2, v16, v4, vcc
	v_cndmask_b32_e32 v4, v12, v14, vcc
	v_lshlrev_b32_e32 v12, 24, v5
	v_bfrev_b32_e32 v14, 60
	v_lshlrev_b32_e32 v4, 20, v4
	v_and_b32_e32 v12, 0x80000000, v12
	v_lshl_add_u32 v2, v2, 23, v14
	v_or3_b32 v12, v12, v2, v4
.LBB549_765:
	s_or_b64 exec, exec, s[10:11]
.LBB549_766:
	s_or_b64 exec, exec, s[8:9]
.LBB549_767:
	s_or_b64 exec, exec, s[2:3]
	v_lshrrev_b16_e32 v2, 8, v5
	v_cmp_ne_u16_e32 vcc, 0, v2
	v_mov_b32_e32 v4, 0
	v_mov_b32_e32 v14, 0
	s_and_saveexec_b64 s[2:3], vcc
	s_cbranch_execz .LBB549_773
; %bb.768:
	s_movk_i32 s7, 0x80
	v_cmp_ne_u16_e32 vcc, s7, v2
	v_bfrev_b32_e32 v14, 1
	s_and_saveexec_b64 s[8:9], vcc
	s_cbranch_execz .LBB549_772
; %bb.769:
	s_movk_i32 s7, 0x7f
	v_and_b32_e32 v15, 0x7f, v2
	v_cmp_ne_u32_e32 vcc, s7, v15
	v_mov_b32_e32 v14, 0x7f800001
	s_and_saveexec_b64 s[10:11], vcc
	s_cbranch_execz .LBB549_771
; %bb.770:
	v_and_b32_e32 v14, 7, v2
	v_ffbh_u32_e32 v16, v14
	v_min_u32_e32 v19, 32, v16
	v_subrev_u32_e32 v16, 28, v19
	v_lshlrev_b64 v[16:17], v16, v[2:3]
	v_lshrrev_b32_e32 v18, 3, v15
	v_sub_u32_e32 v2, 29, v19
	v_and_b32_e32 v16, 7, v16
	v_cmp_gt_u32_e32 vcc, 8, v15
	v_cndmask_b32_e32 v2, v18, v2, vcc
	v_cndmask_b32_e32 v14, v14, v16, vcc
	v_lshlrev_b32_e32 v15, 16, v5
	v_bfrev_b32_e32 v16, 60
	v_lshlrev_b32_e32 v14, 20, v14
	v_and_b32_e32 v15, 0x80000000, v15
	v_lshl_add_u32 v2, v2, 23, v16
	v_or3_b32 v14, v15, v2, v14
.LBB549_771:
	s_or_b64 exec, exec, s[10:11]
.LBB549_772:
	s_or_b64 exec, exec, s[8:9]
.LBB549_773:
	s_or_b64 exec, exec, s[2:3]
	s_movk_i32 s2, 0xff
	v_and_b32_sdwa v15, v5, s2 dst_sel:DWORD dst_unused:UNUSED_PAD src0_sel:WORD_1 src1_sel:DWORD
	v_lshrrev_b32_e32 v2, 16, v5
	v_cmp_ne_u16_e32 vcc, 0, v15
	s_and_saveexec_b64 s[2:3], vcc
	s_cbranch_execz .LBB549_779
; %bb.774:
	s_movk_i32 s7, 0x80
	v_cmp_ne_u16_e32 vcc, s7, v15
	v_bfrev_b32_e32 v4, 1
	s_and_saveexec_b64 s[8:9], vcc
	s_cbranch_execz .LBB549_778
; %bb.775:
	v_bfe_u32 v15, v5, 16, 7
	s_movk_i32 s7, 0x7f
	v_cmp_ne_u32_e32 vcc, s7, v15
	v_mov_b32_e32 v4, 0x7f800001
	s_and_saveexec_b64 s[10:11], vcc
	s_cbranch_execz .LBB549_777
; %bb.776:
	v_and_b32_e32 v4, 7, v2
	v_ffbh_u32_e32 v16, v4
	v_min_u32_e32 v19, 32, v16
	v_subrev_u32_e32 v16, 28, v19
	v_lshlrev_b64 v[16:17], v16, v[2:3]
	v_lshrrev_b32_e32 v18, 3, v15
	v_sub_u32_e32 v2, 29, v19
	v_and_b32_e32 v16, 7, v16
	v_cmp_gt_u32_e32 vcc, 8, v15
	v_mov_b32_e32 v15, 24
	v_cndmask_b32_e32 v2, v18, v2, vcc
	v_cndmask_b32_e32 v4, v4, v16, vcc
	v_lshlrev_b32_sdwa v15, v15, v5 dst_sel:DWORD dst_unused:UNUSED_PAD src0_sel:DWORD src1_sel:WORD_1
	v_bfrev_b32_e32 v16, 60
	v_lshlrev_b32_e32 v4, 20, v4
	v_and_b32_e32 v15, 0x80000000, v15
	v_lshl_add_u32 v2, v2, 23, v16
	v_or3_b32 v4, v15, v2, v4
.LBB549_777:
	s_or_b64 exec, exec, s[10:11]
.LBB549_778:
	s_or_b64 exec, exec, s[8:9]
.LBB549_779:
	s_or_b64 exec, exec, s[2:3]
	s_mov_b32 s2, 0xffffff
	v_cmp_lt_u32_e32 vcc, s2, v5
	v_mov_b32_e32 v15, 0
	s_and_saveexec_b64 s[2:3], vcc
	s_cbranch_execz .LBB549_785
; %bb.780:
	v_lshrrev_b32_e32 v2, 24, v5
	s_movk_i32 s7, 0x80
	v_cmp_ne_u32_e32 vcc, s7, v2
	v_bfrev_b32_e32 v15, 1
	s_and_saveexec_b64 s[8:9], vcc
	s_cbranch_execz .LBB549_784
; %bb.781:
	v_bfe_u32 v5, v5, 24, 7
	s_movk_i32 s7, 0x7f
	v_cmp_ne_u32_e32 vcc, s7, v5
	v_mov_b32_e32 v15, 0x7f800001
	s_and_saveexec_b64 s[10:11], vcc
	s_cbranch_execz .LBB549_783
; %bb.782:
	v_and_b32_e32 v15, 7, v2
	v_ffbh_u32_e32 v16, v15
	v_min_u32_e32 v19, 32, v16
	v_subrev_u32_e32 v16, 28, v19
	v_lshlrev_b64 v[16:17], v16, v[2:3]
	v_lshrrev_b32_e32 v18, 3, v5
	v_sub_u32_e32 v17, 29, v19
	v_and_b32_e32 v16, 7, v16
	v_cmp_gt_u32_e32 vcc, 8, v5
	v_cndmask_b32_e32 v5, v18, v17, vcc
	v_cndmask_b32_e32 v15, v15, v16, vcc
	v_lshlrev_b32_e32 v2, 24, v2
	v_bfrev_b32_e32 v16, 60
	v_lshlrev_b32_e32 v15, 20, v15
	v_and_b32_e32 v2, 0x80000000, v2
	v_lshl_add_u32 v5, v5, 23, v16
	v_or3_b32 v15, v2, v5, v15
.LBB549_783:
	s_or_b64 exec, exec, s[10:11]
.LBB549_784:
	s_or_b64 exec, exec, s[8:9]
.LBB549_785:
	s_or_b64 exec, exec, s[2:3]
	v_cvt_pkrtz_f16_f32 v2, v10, v11
	v_cvt_pkrtz_f16_f32 v3, v3, v13
	ds_read_b128 v[16:19], v22 offset:6160
	s_load_dword s2, s[42:43], 0x0
	v_cmp_gt_u32_e32 vcc, 64, v0
	s_waitcnt lgkmcnt(0)
	v_mfma_f32_16x16x16f16 v[6:9], v[2:3], v[16:17], v[6:9]
	v_cvt_pkrtz_f16_f32 v2, v12, v14
	v_cvt_pkrtz_f16_f32 v3, v4, v15
	s_and_b64 s[0:1], vcc, s[0:1]
	s_barrier
	v_mfma_f32_16x16x16f16 v[2:5], v[2:3], v[18:19], v[6:9]
	s_nop 7
	s_nop 2
	v_pk_mul_f32 v[4:5], v[4:5], s[2:3] op_sel_hi:[1,0]
	v_pk_mul_f32 v[2:3], v[2:3], s[2:3] op_sel_hi:[1,0]
	v_cvt_f16_f32_e32 v2, v2
	v_cvt_f16_f32_e32 v3, v3
	;; [unrolled: 1-line block ×4, first 2 shown]
	v_pack_b32_f16 v2, v2, v3
	v_pack_b32_f16 v3, v4, v5
	ds_write_b64 v26, v[2:3]
	s_waitcnt lgkmcnt(0)
	s_barrier
	s_and_saveexec_b64 s[2:3], s[0:1]
	s_cbranch_execz .LBB549_787
; %bb.786:
	s_load_dwordx2 s[0:1], s[4:5], 0x68
	s_lshl_b32 s4, s44, 6
	s_mul_i32 s2, s12, s6
	s_mul_hi_u32 s3, s2, s4
	s_mul_i32 s2, s2, s4
	s_lshl_b64 s[2:3], s[2:3], 1
	s_waitcnt lgkmcnt(0)
	s_add_u32 s2, s0, s2
	s_addc_u32 s3, s1, s3
	s_lshl_b32 s0, s24, 6
	s_mov_b32 s1, 0
	v_lshlrev_b32_e32 v0, 10, v0
	s_lshl_b64 s[0:1], s[0:1], 1
	v_and_b32_e32 v0, 0x1800, v0
	v_lshlrev_b32_e32 v2, 5, v1
	v_and_b32_e32 v3, 16, v47
	s_add_u32 s0, s2, s0
	v_or3_b32 v0, v0, v2, v3
	s_addc_u32 s1, s3, s1
	ds_read_b128 v[2:5], v0
	ds_read_b128 v[6:9], v0 offset:128
	v_mov_b32_e32 v0, s1
	v_add_co_u32_e32 v10, vcc, s0, v46
	v_or_b32_e32 v12, s25, v1
	v_addc_co_u32_e32 v11, vcc, 0, v0, vcc
	v_mad_u64_u32 v[0:1], s[0:1], v12, s4, 0
	v_lshlrev_b64 v[0:1], 1, v[0:1]
	v_add_co_u32_e32 v0, vcc, v10, v0
	v_addc_co_u32_e32 v1, vcc, v11, v1, vcc
	s_waitcnt lgkmcnt(1)
	global_store_dwordx4 v[0:1], v[2:5], off
	v_or_b32_e32 v0, 4, v12
	v_mad_u64_u32 v[0:1], s[0:1], v0, s4, 0
	v_lshlrev_b64 v[0:1], 1, v[0:1]
	v_add_co_u32_e32 v0, vcc, v10, v0
	v_addc_co_u32_e32 v1, vcc, v11, v1, vcc
	s_waitcnt lgkmcnt(0)
	global_store_dwordx4 v[0:1], v[6:9], off
.LBB549_787:
	s_endpgm
	.section	.rodata,"a",@progbits
	.p2align	6, 0x0
	.amdhsa_kernel _Z39paged_attention_ll4mi_QKV_mfma16_kernelIDF16_hLN4vllm18Fp8KVCacheDataTypeE1EDF16_Li16ELi64ELi256ELb1ELi8EL8MFMAType0EEvPKT_PKT0_S8_ifPKiSA_SA_iPKfiiiPfSD_PS3_PT2_iSC_SC_
		.amdhsa_group_segment_fixed_size 8192
		.amdhsa_private_segment_fixed_size 0
		.amdhsa_kernarg_size 400
		.amdhsa_user_sgpr_count 6
		.amdhsa_user_sgpr_private_segment_buffer 1
		.amdhsa_user_sgpr_dispatch_ptr 0
		.amdhsa_user_sgpr_queue_ptr 0
		.amdhsa_user_sgpr_kernarg_segment_ptr 1
		.amdhsa_user_sgpr_dispatch_id 0
		.amdhsa_user_sgpr_flat_scratch_init 0
		.amdhsa_user_sgpr_kernarg_preload_length 0
		.amdhsa_user_sgpr_kernarg_preload_offset 0
		.amdhsa_user_sgpr_private_segment_size 0
		.amdhsa_uses_dynamic_stack 0
		.amdhsa_system_sgpr_private_segment_wavefront_offset 0
		.amdhsa_system_sgpr_workgroup_id_x 1
		.amdhsa_system_sgpr_workgroup_id_y 1
		.amdhsa_system_sgpr_workgroup_id_z 1
		.amdhsa_system_sgpr_workgroup_info 0
		.amdhsa_system_vgpr_workitem_id 0
		.amdhsa_next_free_vgpr 62
		.amdhsa_next_free_sgpr 47
		.amdhsa_accum_offset 64
		.amdhsa_reserve_vcc 1
		.amdhsa_reserve_flat_scratch 0
		.amdhsa_float_round_mode_32 0
		.amdhsa_float_round_mode_16_64 0
		.amdhsa_float_denorm_mode_32 3
		.amdhsa_float_denorm_mode_16_64 3
		.amdhsa_dx10_clamp 1
		.amdhsa_ieee_mode 1
		.amdhsa_fp16_overflow 0
		.amdhsa_tg_split 0
		.amdhsa_exception_fp_ieee_invalid_op 0
		.amdhsa_exception_fp_denorm_src 0
		.amdhsa_exception_fp_ieee_div_zero 0
		.amdhsa_exception_fp_ieee_overflow 0
		.amdhsa_exception_fp_ieee_underflow 0
		.amdhsa_exception_fp_ieee_inexact 0
		.amdhsa_exception_int_div_zero 0
	.end_amdhsa_kernel
	.section	.text._Z39paged_attention_ll4mi_QKV_mfma16_kernelIDF16_hLN4vllm18Fp8KVCacheDataTypeE1EDF16_Li16ELi64ELi256ELb1ELi8EL8MFMAType0EEvPKT_PKT0_S8_ifPKiSA_SA_iPKfiiiPfSD_PS3_PT2_iSC_SC_,"axG",@progbits,_Z39paged_attention_ll4mi_QKV_mfma16_kernelIDF16_hLN4vllm18Fp8KVCacheDataTypeE1EDF16_Li16ELi64ELi256ELb1ELi8EL8MFMAType0EEvPKT_PKT0_S8_ifPKiSA_SA_iPKfiiiPfSD_PS3_PT2_iSC_SC_,comdat
.Lfunc_end549:
	.size	_Z39paged_attention_ll4mi_QKV_mfma16_kernelIDF16_hLN4vllm18Fp8KVCacheDataTypeE1EDF16_Li16ELi64ELi256ELb1ELi8EL8MFMAType0EEvPKT_PKT0_S8_ifPKiSA_SA_iPKfiiiPfSD_PS3_PT2_iSC_SC_, .Lfunc_end549-_Z39paged_attention_ll4mi_QKV_mfma16_kernelIDF16_hLN4vllm18Fp8KVCacheDataTypeE1EDF16_Li16ELi64ELi256ELb1ELi8EL8MFMAType0EEvPKT_PKT0_S8_ifPKiSA_SA_iPKfiiiPfSD_PS3_PT2_iSC_SC_
                                        ; -- End function
	.section	.AMDGPU.csdata,"",@progbits
; Kernel info:
; codeLenInByte = 27208
; NumSgprs: 51
; NumVgprs: 62
; NumAgprs: 0
; TotalNumVgprs: 62
; ScratchSize: 0
; MemoryBound: 0
; FloatMode: 240
; IeeeMode: 1
; LDSByteSize: 8192 bytes/workgroup (compile time only)
; SGPRBlocks: 6
; VGPRBlocks: 7
; NumSGPRsForWavesPerEU: 51
; NumVGPRsForWavesPerEU: 62
; AccumOffset: 64
; Occupancy: 8
; WaveLimiterHint : 1
; COMPUTE_PGM_RSRC2:SCRATCH_EN: 0
; COMPUTE_PGM_RSRC2:USER_SGPR: 6
; COMPUTE_PGM_RSRC2:TRAP_HANDLER: 0
; COMPUTE_PGM_RSRC2:TGID_X_EN: 1
; COMPUTE_PGM_RSRC2:TGID_Y_EN: 1
; COMPUTE_PGM_RSRC2:TGID_Z_EN: 1
; COMPUTE_PGM_RSRC2:TIDIG_COMP_CNT: 0
; COMPUTE_PGM_RSRC3_GFX90A:ACCUM_OFFSET: 15
; COMPUTE_PGM_RSRC3_GFX90A:TG_SPLIT: 0
	.section	.text._Z39paged_attention_ll4mi_QKV_mfma16_kernelIDF16_hLN4vllm18Fp8KVCacheDataTypeE1EDF16_Li16ELi64ELi256ELb1ELi9EL8MFMAType0EEvPKT_PKT0_S8_ifPKiSA_SA_iPKfiiiPfSD_PS3_PT2_iSC_SC_,"axG",@progbits,_Z39paged_attention_ll4mi_QKV_mfma16_kernelIDF16_hLN4vllm18Fp8KVCacheDataTypeE1EDF16_Li16ELi64ELi256ELb1ELi9EL8MFMAType0EEvPKT_PKT0_S8_ifPKiSA_SA_iPKfiiiPfSD_PS3_PT2_iSC_SC_,comdat
	.protected	_Z39paged_attention_ll4mi_QKV_mfma16_kernelIDF16_hLN4vllm18Fp8KVCacheDataTypeE1EDF16_Li16ELi64ELi256ELb1ELi9EL8MFMAType0EEvPKT_PKT0_S8_ifPKiSA_SA_iPKfiiiPfSD_PS3_PT2_iSC_SC_ ; -- Begin function _Z39paged_attention_ll4mi_QKV_mfma16_kernelIDF16_hLN4vllm18Fp8KVCacheDataTypeE1EDF16_Li16ELi64ELi256ELb1ELi9EL8MFMAType0EEvPKT_PKT0_S8_ifPKiSA_SA_iPKfiiiPfSD_PS3_PT2_iSC_SC_
	.globl	_Z39paged_attention_ll4mi_QKV_mfma16_kernelIDF16_hLN4vllm18Fp8KVCacheDataTypeE1EDF16_Li16ELi64ELi256ELb1ELi9EL8MFMAType0EEvPKT_PKT0_S8_ifPKiSA_SA_iPKfiiiPfSD_PS3_PT2_iSC_SC_
	.p2align	8
	.type	_Z39paged_attention_ll4mi_QKV_mfma16_kernelIDF16_hLN4vllm18Fp8KVCacheDataTypeE1EDF16_Li16ELi64ELi256ELb1ELi9EL8MFMAType0EEvPKT_PKT0_S8_ifPKiSA_SA_iPKfiiiPfSD_PS3_PT2_iSC_SC_,@function
_Z39paged_attention_ll4mi_QKV_mfma16_kernelIDF16_hLN4vllm18Fp8KVCacheDataTypeE1EDF16_Li16ELi64ELi256ELb1ELi9EL8MFMAType0EEvPKT_PKT0_S8_ifPKiSA_SA_iPKfiiiPfSD_PS3_PT2_iSC_SC_: ; @_Z39paged_attention_ll4mi_QKV_mfma16_kernelIDF16_hLN4vllm18Fp8KVCacheDataTypeE1EDF16_Li16ELi64ELi256ELb1ELi9EL8MFMAType0EEvPKT_PKT0_S8_ifPKiSA_SA_iPKfiiiPfSD_PS3_PT2_iSC_SC_
; %bb.0:
	s_load_dwordx2 s[0:1], s[4:5], 0x30
	s_mov_b32 s24, s7
	s_mov_b64 s[10:11], 0
	s_waitcnt lgkmcnt(0)
	s_cmp_lg_u64 s[0:1], 0
	s_cselect_b64 s[2:3], -1, 0
	s_and_b64 vcc, exec, s[2:3]
	s_cbranch_vccz .LBB550_7
; %bb.1:
	s_add_i32 s12, s6, 1
	s_mov_b32 s13, 0
	s_lshl_b64 s[14:15], s[12:13], 2
	s_add_u32 s14, s0, s14
	s_mov_b32 s7, s13
	s_addc_u32 s15, s1, s15
	s_lshl_b64 s[12:13], s[6:7], 2
	s_add_u32 s12, s0, s12
	s_addc_u32 s13, s1, s13
	s_load_dword s9, s[14:15], 0x0
	s_load_dword s16, s[12:13], 0x0
	s_waitcnt lgkmcnt(0)
	s_sub_i32 s9, s9, s16
	s_cmp_eq_u32 s9, 1
	s_cselect_b64 s[12:13], -1, 0
	s_andn2_b64 vcc, exec, s[10:11]
	s_cbranch_vccnz .LBB550_3
.LBB550_2:
	s_mov_b32 s7, 0
	s_mov_b64 s[12:13], -1
.LBB550_3:
	s_andn2_b64 vcc, exec, s[12:13]
	s_cbranch_vccnz .LBB550_788
; %bb.4:
	s_load_dwordx2 s[12:13], s[4:5], 0x28
	s_lshl_b64 s[10:11], s[6:7], 2
	s_waitcnt lgkmcnt(0)
	s_add_u32 s12, s12, s10
	s_addc_u32 s13, s13, s11
	s_load_dword s33, s[12:13], 0x0
	s_lshl_b32 s18, s24, 8
	s_waitcnt lgkmcnt(0)
	s_cmp_ge_i32 s18, s33
	s_cbranch_scc1 .LBB550_788
; %bb.5:
	s_add_i32 s14, s33, 15
	s_load_dwordx2 s[12:13], s[4:5], 0x20
	s_load_dword s9, s[4:5], 0x38
	s_ashr_i32 s15, s14, 31
	v_and_b32_e32 v1, 0xcf, v0
	s_lshr_b32 s15, s15, 28
	v_add_u32_e32 v1, s18, v1
	s_add_i32 s14, s14, s15
	v_ashrrev_i32_e32 v2, 31, v1
	s_ashr_i32 s21, s14, 4
	v_lshrrev_b32_e32 v4, 28, v2
	s_add_i32 s21, s21, -1
	v_add_u32_e32 v2, v1, v4
	s_waitcnt lgkmcnt(0)
	s_mul_i32 s14, s6, s9
	s_mov_b32 s15, 0
	v_ashrrev_i32_e32 v2, 4, v2
	v_mov_b32_e32 v5, s21
	v_cmp_gt_i32_e32 vcc, s33, v1
	s_lshl_b64 s[14:15], s[14:15], 2
	v_cndmask_b32_e32 v2, v5, v2, vcc
	s_add_u32 s19, s12, s14
	v_ashrrev_i32_e32 v3, 31, v2
	s_addc_u32 s20, s13, s15
	v_lshlrev_b64 v[2:3], 2, v[2:3]
	v_mov_b32_e32 v7, s20
	v_add_co_u32_e32 v6, vcc, s19, v2
	v_or_b32_e32 v2, 16, v1
	v_addc_co_u32_e32 v7, vcc, v7, v3, vcc
	v_add_u32_e32 v3, v2, v4
	v_ashrrev_i32_e32 v3, 4, v3
	v_cmp_gt_i32_e32 vcc, s33, v2
	v_cndmask_b32_e32 v2, v5, v3, vcc
	v_ashrrev_i32_e32 v3, 31, v2
	v_lshlrev_b64 v[2:3], 2, v[2:3]
	v_mov_b32_e32 v9, s20
	v_add_co_u32_e32 v8, vcc, s19, v2
	v_or_b32_e32 v2, 32, v1
	v_addc_co_u32_e32 v9, vcc, v9, v3, vcc
	v_add_u32_e32 v3, v2, v4
	v_ashrrev_i32_e32 v3, 4, v3
	v_cmp_gt_i32_e32 vcc, s33, v2
	v_cndmask_b32_e32 v2, v5, v3, vcc
	v_ashrrev_i32_e32 v3, 31, v2
	;; [unrolled: 10-line block ×3, first 2 shown]
	v_lshlrev_b64 v[2:3], 2, v[2:3]
	v_mov_b32_e32 v1, s20
	v_add_co_u32_e32 v12, vcc, s19, v2
	v_addc_co_u32_e32 v13, vcc, v1, v3, vcc
	global_load_dword v5, v[6:7], off
	global_load_dword v4, v[8:9], off
	;; [unrolled: 1-line block ×4, first 2 shown]
	s_load_dwordx2 s[16:17], s[4:5], 0x8
	s_andn2_b64 vcc, exec, s[2:3]
	s_cbranch_vccnz .LBB550_8
; %bb.6:
	s_add_u32 s0, s0, s10
	s_addc_u32 s1, s1, s11
	s_load_dword s9, s[0:1], 0x0
	s_branch .LBB550_9
.LBB550_7:
	s_mov_b64 s[12:13], 0
	s_branch .LBB550_2
.LBB550_8:
	s_mov_b32 s9, s6
.LBB550_9:
	s_load_dwordx2 s[2:3], s[4:5], 0x10
	s_load_dwordx4 s[12:15], s[4:5], 0x48
	v_lshrrev_b32_e32 v49, 6, v0
	v_bfe_u32 v1, v0, 4, 2
	v_lshl_or_b32 v6, v49, 2, v1
	v_and_b32_e32 v48, 15, v0
	v_lshlrev_b32_e32 v7, 3, v48
	v_cmp_gt_u32_e32 vcc, 9, v6
	v_cmp_gt_u32_e64 s[0:1], 8, v48
	s_mul_i32 s25, s8, 9
	s_and_b64 s[22:23], s[0:1], vcc
	v_lshlrev_b32_e32 v46, 1, v7
	v_lshlrev_b32_e32 v47, 4, v0
	s_and_saveexec_b64 s[10:11], s[22:23]
	s_cbranch_execz .LBB550_11
; %bb.10:
	s_load_dwordx2 s[22:23], s[4:5], 0x0
	s_waitcnt lgkmcnt(0)
	s_ashr_i32 s15, s12, 31
	s_mul_hi_u32 s26, s9, s12
	s_mul_i32 s15, s9, s15
	s_add_i32 s27, s26, s15
	s_mul_i32 s26, s9, s12
	s_lshl_b64 s[26:27], s[26:27], 1
	v_add_lshl_u32 v8, v6, s25, 6
	s_add_u32 s9, s22, s26
	v_ashrrev_i32_e32 v9, 31, v8
	s_addc_u32 s12, s23, s27
	v_lshlrev_b64 v[8:9], 1, v[8:9]
	v_mov_b32_e32 v7, s12
	v_add_co_u32_e32 v8, vcc, s9, v8
	v_addc_co_u32_e32 v7, vcc, v7, v9, vcc
	v_add_co_u32_e32 v8, vcc, v8, v46
	v_addc_co_u32_e32 v9, vcc, 0, v7, vcc
	global_load_dwordx4 v[8:11], v[8:9], off
	v_lshlrev_b32_e32 v12, 8, v48
	v_lshlrev_b32_e32 v6, 5, v6
	v_and_b32_e32 v7, 16, v47
	v_and_b32_e32 v12, 0xe00, v12
	v_or3_b32 v6, v12, v6, v7
	s_waitcnt vmcnt(0)
	ds_write_b128 v6, v[8:11]
.LBB550_11:
	s_or_b64 exec, exec, s[10:11]
	s_waitcnt lgkmcnt(0)
	s_mul_i32 s10, s8, s14
	s_add_u32 s8, s16, s10
	s_addc_u32 s9, s17, 0
	v_and_b32_e32 v7, 0xf0, v47
	v_and_b32_e32 v6, 48, v0
	v_mov_b32_e32 v8, s9
	v_add_co_u32_e32 v7, vcc, s8, v7
	v_addc_co_u32_e32 v9, vcc, 0, v8, vcc
	v_lshlrev_b32_e32 v8, 4, v6
	v_add_co_u32_e32 v8, vcc, v7, v8
	v_addc_co_u32_e32 v9, vcc, 0, v9, vcc
	s_waitcnt vmcnt(3)
	v_mad_i64_i32 v[10:11], s[8:9], v5, s13, v[8:9]
	s_waitcnt vmcnt(2)
	v_mad_i64_i32 v[4:5], s[8:9], v4, s13, v[8:9]
	s_barrier
	global_load_dwordx4 v[34:37], v[10:11], off
	global_load_dwordx4 v[38:41], v[4:5], off
	s_waitcnt vmcnt(3)
	v_mad_i64_i32 v[4:5], s[8:9], v2, s13, v[8:9]
	s_waitcnt vmcnt(2)
	v_mad_i64_i32 v[2:3], s[8:9], v3, s13, v[8:9]
	global_load_dwordx4 v[30:33], v[4:5], off
	global_load_dwordx4 v[22:25], v[2:3], off
	v_add_u32_e32 v2, -9, v48
	v_cmp_gt_u32_e32 vcc, 9, v48
	v_cndmask_b32_e32 v2, v2, v48, vcc
	v_lshlrev_b32_e32 v2, 5, v2
	v_lshl_add_u32 v2, v1, 9, v2
	ds_read_b128 v[26:29], v2
	ds_read_b128 v[18:21], v2 offset:16
	v_mov_b32_e32 v43, 0
	v_mov_b32_e32 v50, 0
	s_and_saveexec_b64 s[8:9], vcc
	s_cbranch_execz .LBB550_13
; %bb.12:
	s_load_dwordx2 s[14:15], s[4:5], 0x40
	v_add_u32_e32 v2, s25, v48
	v_ashrrev_i32_e32 v3, 31, v2
	v_lshlrev_b64 v[2:3], 2, v[2:3]
	s_waitcnt lgkmcnt(0)
	v_mov_b32_e32 v4, s15
	v_add_co_u32_e32 v2, vcc, s14, v2
	v_addc_co_u32_e32 v3, vcc, v4, v3, vcc
	global_load_dword v50, v[2:3], off
.LBB550_13:
	s_or_b64 exec, exec, s[8:9]
	v_or_b32_e32 v8, s18, v6
	v_ashrrev_i32_e32 v2, 4, v8
	v_mov_b32_e32 v9, s21
	v_cmp_gt_i32_e32 vcc, s33, v8
	v_cndmask_b32_e32 v2, v9, v2, vcc
	v_ashrrev_i32_e32 v3, 31, v2
	v_lshlrev_b64 v[2:3], 2, v[2:3]
	v_mov_b32_e32 v4, s20
	v_add_co_u32_e32 v2, vcc, s19, v2
	v_addc_co_u32_e32 v3, vcc, v4, v3, vcc
	v_or_b32_e32 v4, 64, v8
	v_ashrrev_i32_e32 v5, 4, v4
	v_cmp_gt_i32_e32 vcc, s33, v4
	v_cndmask_b32_e32 v4, v9, v5, vcc
	v_ashrrev_i32_e32 v5, 31, v4
	v_lshlrev_b64 v[4:5], 2, v[4:5]
	v_mov_b32_e32 v6, s20
	v_add_co_u32_e32 v4, vcc, s19, v4
	v_addc_co_u32_e32 v5, vcc, v6, v5, vcc
	v_or_b32_e32 v6, 0x80, v8
	v_ashrrev_i32_e32 v7, 4, v6
	v_cmp_gt_i32_e32 vcc, s33, v6
	v_cndmask_b32_e32 v6, v9, v7, vcc
	v_ashrrev_i32_e32 v7, 31, v6
	v_lshlrev_b64 v[6:7], 2, v[6:7]
	v_mov_b32_e32 v10, s20
	v_add_co_u32_e32 v6, vcc, s19, v6
	v_addc_co_u32_e32 v7, vcc, v10, v7, vcc
	global_load_dword v10, v[2:3], off
	global_load_dword v11, v[4:5], off
	;; [unrolled: 1-line block ×3, first 2 shown]
	v_or_b32_e32 v2, 0xc0, v8
	v_ashrrev_i32_e32 v3, 4, v2
	v_cmp_gt_i32_e32 vcc, s33, v2
	v_cndmask_b32_e32 v2, v9, v3, vcc
	v_ashrrev_i32_e32 v3, 31, v2
	v_lshlrev_b64 v[2:3], 2, v[2:3]
	v_mov_b32_e32 v4, s20
	v_add_co_u32_e32 v2, vcc, s19, v2
	v_addc_co_u32_e32 v3, vcc, v4, v3, vcc
	global_load_dword v13, v[2:3], off
	s_add_u32 s2, s2, s10
	v_lshlrev_b32_e32 v2, 4, v48
	s_addc_u32 s3, s3, 0
	v_lshl_or_b32 v2, v49, 8, v2
	v_mov_b32_e32 v3, s3
	v_add_co_u32_e32 v2, vcc, s2, v2
	v_addc_co_u32_e32 v3, vcc, 0, v3, vcc
	s_movk_i32 s8, 0x80
	s_waitcnt vmcnt(7)
	v_cmp_ne_u16_sdwa s[10:11], v34, v43 src0_sel:BYTE_0 src1_sel:DWORD
	s_waitcnt vmcnt(3)
	v_mad_i64_i32 v[4:5], s[2:3], v10, s13, v[2:3]
	s_waitcnt vmcnt(2)
	v_mad_i64_i32 v[6:7], s[2:3], v11, s13, v[2:3]
	;; [unrolled: 2-line block ×4, first 2 shown]
	global_load_dwordx4 v[14:17], v[4:5], off
	global_load_dwordx4 v[10:13], v[6:7], off
                                        ; kill: killed $vgpr6_vgpr7
                                        ; kill: killed $vgpr4_vgpr5
	s_nop 0
	global_load_dwordx4 v[6:9], v[8:9], off
	s_nop 0
	global_load_dwordx4 v[2:5], v[2:3], off
	s_load_dwordx4 s[40:43], s[4:5], 0x80
	s_load_dwordx2 s[44:45], s[4:5], 0x94
                                        ; kill: killed $sgpr40_sgpr41
	s_waitcnt lgkmcnt(0)
	s_load_dword s12, s[40:41], 0x0
	s_and_saveexec_b64 s[2:3], s[10:11]
	s_cbranch_execz .LBB550_19
; %bb.14:
	v_cmp_ne_u16_sdwa s[10:11], v34, s8 src0_sel:BYTE_0 src1_sel:DWORD
	v_bfrev_b32_e32 v43, 1
	s_and_saveexec_b64 s[8:9], s[10:11]
	s_cbranch_execz .LBB550_18
; %bb.15:
	s_movk_i32 s10, 0x7f
	v_and_b32_e32 v42, 0x7f, v34
	v_cmp_ne_u32_e32 vcc, s10, v42
	v_mov_b32_e32 v43, 0x7f800001
	s_and_saveexec_b64 s[10:11], vcc
	s_cbranch_execz .LBB550_17
; %bb.16:
	v_and_b32_e32 v43, 7, v34
	v_ffbh_u32_e32 v44, v43
	v_min_u32_e32 v52, 32, v44
	v_subrev_u32_e32 v44, 28, v52
	v_lshlrev_b64 v[44:45], v44, v[34:35]
	v_lshrrev_b32_e32 v51, 3, v42
	v_sub_u32_e32 v45, 29, v52
	v_and_b32_e32 v44, 7, v44
	v_cmp_gt_u32_e32 vcc, 8, v42
	v_cndmask_b32_e32 v42, v51, v45, vcc
	v_cndmask_b32_e32 v43, v43, v44, vcc
	v_lshlrev_b32_e32 v44, 24, v34
	v_bfrev_b32_e32 v45, 60
	v_lshlrev_b32_e32 v43, 20, v43
	v_and_b32_e32 v44, 0x80000000, v44
	v_lshl_add_u32 v42, v42, 23, v45
	v_or3_b32 v43, v44, v42, v43
.LBB550_17:
	s_or_b64 exec, exec, s[10:11]
.LBB550_18:
	s_or_b64 exec, exec, s[8:9]
.LBB550_19:
	s_or_b64 exec, exec, s[2:3]
	v_lshrrev_b16_e32 v42, 8, v34
	v_cmp_ne_u16_e32 vcc, 0, v42
	v_mov_b32_e32 v44, 0
	v_mov_b32_e32 v45, 0
	s_and_saveexec_b64 s[2:3], vcc
	s_cbranch_execz .LBB550_25
; %bb.20:
	s_movk_i32 s8, 0x80
	v_cmp_ne_u16_sdwa s[10:11], v34, s8 src0_sel:BYTE_1 src1_sel:DWORD
	v_bfrev_b32_e32 v45, 1
	s_and_saveexec_b64 s[8:9], s[10:11]
	s_cbranch_execz .LBB550_24
; %bb.21:
	s_movk_i32 s10, 0x7f
	v_and_b32_e32 v51, 0x7f, v42
	v_cmp_ne_u32_e32 vcc, s10, v51
	v_mov_b32_e32 v45, 0x7f800001
	s_and_saveexec_b64 s[10:11], vcc
	s_cbranch_execz .LBB550_23
; %bb.22:
	v_and_b32_e32 v45, 7, v42
	v_ffbh_u32_e32 v52, v45
	v_min_u32_e32 v55, 32, v52
	v_subrev_u32_e32 v52, 28, v55
	v_lshlrev_b64 v[52:53], v52, v[42:43]
	v_lshrrev_b32_e32 v54, 3, v51
	v_sub_u32_e32 v42, 29, v55
	v_and_b32_e32 v52, 7, v52
	v_cmp_gt_u32_e32 vcc, 8, v51
	v_cndmask_b32_e32 v42, v54, v42, vcc
	v_cndmask_b32_e32 v45, v45, v52, vcc
	v_lshlrev_b32_e32 v51, 16, v34
	v_bfrev_b32_e32 v52, 60
	v_lshlrev_b32_e32 v45, 20, v45
	v_and_b32_e32 v51, 0x80000000, v51
	v_lshl_add_u32 v42, v42, 23, v52
	v_or3_b32 v45, v51, v42, v45
.LBB550_23:
	s_or_b64 exec, exec, s[10:11]
.LBB550_24:
	s_or_b64 exec, exec, s[8:9]
.LBB550_25:
	s_or_b64 exec, exec, s[2:3]
	s_movk_i32 s2, 0xff
	v_and_b32_sdwa v51, v34, s2 dst_sel:DWORD dst_unused:UNUSED_PAD src0_sel:WORD_1 src1_sel:DWORD
	v_lshrrev_b32_e32 v42, 16, v34
	v_cmp_ne_u16_e32 vcc, 0, v51
	s_and_saveexec_b64 s[2:3], vcc
	s_cbranch_execz .LBB550_31
; %bb.26:
	s_movk_i32 s8, 0x80
	v_cmp_ne_u16_e32 vcc, s8, v51
	v_bfrev_b32_e32 v44, 1
	s_and_saveexec_b64 s[8:9], vcc
	s_cbranch_execz .LBB550_30
; %bb.27:
	v_bfe_u32 v51, v34, 16, 7
	s_movk_i32 s10, 0x7f
	v_cmp_ne_u32_e32 vcc, s10, v51
	v_mov_b32_e32 v44, 0x7f800001
	s_and_saveexec_b64 s[10:11], vcc
	s_cbranch_execz .LBB550_29
; %bb.28:
	v_and_b32_e32 v44, 7, v42
	v_ffbh_u32_e32 v52, v44
	v_min_u32_e32 v55, 32, v52
	v_subrev_u32_e32 v52, 28, v55
	v_lshlrev_b64 v[52:53], v52, v[42:43]
	v_lshrrev_b32_e32 v54, 3, v51
	v_sub_u32_e32 v42, 29, v55
	v_and_b32_e32 v52, 7, v52
	v_cmp_gt_u32_e32 vcc, 8, v51
	v_mov_b32_e32 v51, 24
	v_cndmask_b32_e32 v42, v54, v42, vcc
	v_cndmask_b32_e32 v44, v44, v52, vcc
	v_lshlrev_b32_sdwa v51, v51, v34 dst_sel:DWORD dst_unused:UNUSED_PAD src0_sel:DWORD src1_sel:WORD_1
	v_bfrev_b32_e32 v52, 60
	v_lshlrev_b32_e32 v44, 20, v44
	v_and_b32_e32 v51, 0x80000000, v51
	v_lshl_add_u32 v42, v42, 23, v52
	v_or3_b32 v44, v51, v42, v44
.LBB550_29:
	s_or_b64 exec, exec, s[10:11]
.LBB550_30:
	s_or_b64 exec, exec, s[8:9]
.LBB550_31:
	s_or_b64 exec, exec, s[2:3]
	s_mov_b32 s2, 0xffffff
	v_cmp_lt_u32_e32 vcc, s2, v34
	v_mov_b32_e32 v52, 0
	v_mov_b32_e32 v53, 0
	s_and_saveexec_b64 s[2:3], vcc
	s_cbranch_execz .LBB550_37
; %bb.32:
	v_lshrrev_b32_e32 v42, 24, v34
	s_movk_i32 s8, 0x80
	v_cmp_ne_u32_e32 vcc, s8, v42
	v_bfrev_b32_e32 v53, 1
	s_and_saveexec_b64 s[8:9], vcc
	s_cbranch_execz .LBB550_36
; %bb.33:
	v_bfe_u32 v34, v34, 24, 7
	s_movk_i32 s10, 0x7f
	v_cmp_ne_u32_e32 vcc, s10, v34
	v_mov_b32_e32 v53, 0x7f800001
	s_and_saveexec_b64 s[10:11], vcc
	s_cbranch_execz .LBB550_35
; %bb.34:
	v_and_b32_e32 v51, 7, v42
	v_ffbh_u32_e32 v54, v51
	v_min_u32_e32 v56, 32, v54
	v_subrev_u32_e32 v54, 28, v56
	v_lshlrev_b64 v[54:55], v54, v[42:43]
	v_lshrrev_b32_e32 v53, 3, v34
	v_sub_u32_e32 v55, 29, v56
	v_and_b32_e32 v54, 7, v54
	v_cmp_gt_u32_e32 vcc, 8, v34
	v_cndmask_b32_e32 v34, v53, v55, vcc
	v_cndmask_b32_e32 v51, v51, v54, vcc
	v_lshlrev_b32_e32 v42, 24, v42
	v_bfrev_b32_e32 v53, 60
	v_lshlrev_b32_e32 v51, 20, v51
	v_and_b32_e32 v42, 0x80000000, v42
	v_lshl_add_u32 v34, v34, 23, v53
	v_or3_b32 v53, v42, v34, v51
.LBB550_35:
	s_or_b64 exec, exec, s[10:11]
.LBB550_36:
	s_or_b64 exec, exec, s[8:9]
.LBB550_37:
	s_or_b64 exec, exec, s[2:3]
	v_cmp_ne_u16_sdwa s[8:9], v35, v52 src0_sel:BYTE_0 src1_sel:DWORD
	s_and_saveexec_b64 s[2:3], s[8:9]
	s_cbranch_execz .LBB550_43
; %bb.38:
	s_movk_i32 s8, 0x80
	v_cmp_ne_u16_sdwa s[10:11], v35, s8 src0_sel:BYTE_0 src1_sel:DWORD
	v_bfrev_b32_e32 v52, 1
	s_and_saveexec_b64 s[8:9], s[10:11]
	s_cbranch_execz .LBB550_42
; %bb.39:
	s_movk_i32 s10, 0x7f
	v_and_b32_e32 v34, 0x7f, v35
	v_cmp_ne_u32_e32 vcc, s10, v34
	v_mov_b32_e32 v52, 0x7f800001
	s_and_saveexec_b64 s[10:11], vcc
	s_cbranch_execz .LBB550_41
; %bb.40:
	v_and_b32_e32 v51, 7, v35
	v_ffbh_u32_e32 v54, v51
	v_min_u32_e32 v56, 32, v54
	v_mov_b32_e32 v42, v35
	v_subrev_u32_e32 v54, 28, v56
	v_lshlrev_b64 v[54:55], v54, v[42:43]
	v_lshrrev_b32_e32 v52, 3, v34
	v_sub_u32_e32 v42, 29, v56
	v_and_b32_e32 v54, 7, v54
	v_cmp_gt_u32_e32 vcc, 8, v34
	v_cndmask_b32_e32 v34, v52, v42, vcc
	v_cndmask_b32_e32 v42, v51, v54, vcc
	v_lshlrev_b32_e32 v51, 24, v35
	v_bfrev_b32_e32 v52, 60
	v_lshlrev_b32_e32 v42, 20, v42
	v_and_b32_e32 v51, 0x80000000, v51
	v_lshl_add_u32 v34, v34, 23, v52
	v_or3_b32 v52, v51, v34, v42
.LBB550_41:
	s_or_b64 exec, exec, s[10:11]
.LBB550_42:
	s_or_b64 exec, exec, s[8:9]
.LBB550_43:
	s_or_b64 exec, exec, s[2:3]
	v_lshrrev_b16_e32 v34, 8, v35
	v_cmp_ne_u16_e32 vcc, 0, v34
	v_mov_b32_e32 v42, 0
	v_mov_b32_e32 v54, 0
	s_and_saveexec_b64 s[2:3], vcc
	s_cbranch_execz .LBB550_49
; %bb.44:
	s_movk_i32 s8, 0x80
	v_cmp_ne_u16_e32 vcc, s8, v34
	v_bfrev_b32_e32 v54, 1
	s_and_saveexec_b64 s[8:9], vcc
	s_cbranch_execz .LBB550_48
; %bb.45:
	s_movk_i32 s10, 0x7f
	v_and_b32_e32 v51, 0x7f, v34
	v_cmp_ne_u32_e32 vcc, s10, v51
	v_mov_b32_e32 v54, 0x7f800001
	s_and_saveexec_b64 s[10:11], vcc
	s_cbranch_execz .LBB550_47
; %bb.46:
	v_and_b32_e32 v56, 7, v34
	v_ffbh_u32_e32 v54, v56
	v_min_u32_e32 v58, 32, v54
	v_subrev_u32_e32 v54, 28, v58
	v_lshlrev_b64 v[54:55], v54, v[34:35]
	v_lshrrev_b32_e32 v57, 3, v51
	v_sub_u32_e32 v34, 29, v58
	v_and_b32_e32 v54, 7, v54
	v_cmp_gt_u32_e32 vcc, 8, v51
	v_cndmask_b32_e32 v34, v57, v34, vcc
	v_cndmask_b32_e32 v51, v56, v54, vcc
	v_lshlrev_b32_e32 v54, 16, v35
	v_bfrev_b32_e32 v55, 60
	v_lshlrev_b32_e32 v51, 20, v51
	v_and_b32_e32 v54, 0x80000000, v54
	v_lshl_add_u32 v34, v34, 23, v55
	v_or3_b32 v54, v54, v34, v51
.LBB550_47:
	s_or_b64 exec, exec, s[10:11]
.LBB550_48:
	s_or_b64 exec, exec, s[8:9]
.LBB550_49:
	s_or_b64 exec, exec, s[2:3]
	s_movk_i32 s2, 0xff
	v_and_b32_sdwa v51, v35, s2 dst_sel:DWORD dst_unused:UNUSED_PAD src0_sel:WORD_1 src1_sel:DWORD
	v_lshrrev_b32_e32 v34, 16, v35
	v_cmp_ne_u16_e32 vcc, 0, v51
	s_and_saveexec_b64 s[2:3], vcc
	s_cbranch_execz .LBB550_55
; %bb.50:
	s_movk_i32 s8, 0x80
	v_cmp_ne_u16_e32 vcc, s8, v51
	v_bfrev_b32_e32 v42, 1
	s_and_saveexec_b64 s[8:9], vcc
	s_cbranch_execz .LBB550_54
; %bb.51:
	v_bfe_u32 v51, v35, 16, 7
	s_movk_i32 s10, 0x7f
	v_cmp_ne_u32_e32 vcc, s10, v51
	v_mov_b32_e32 v42, 0x7f800001
	s_and_saveexec_b64 s[10:11], vcc
	s_cbranch_execz .LBB550_53
; %bb.52:
	v_and_b32_e32 v42, 7, v34
	v_ffbh_u32_e32 v56, v42
	v_min_u32_e32 v58, 32, v56
	v_subrev_u32_e32 v56, 28, v58
	v_lshlrev_b64 v[56:57], v56, v[34:35]
	v_lshrrev_b32_e32 v55, 3, v51
	v_sub_u32_e32 v34, 29, v58
	v_and_b32_e32 v56, 7, v56
	v_cmp_gt_u32_e32 vcc, 8, v51
	v_mov_b32_e32 v51, 24
	v_cndmask_b32_e32 v34, v55, v34, vcc
	v_cndmask_b32_e32 v42, v42, v56, vcc
	v_lshlrev_b32_sdwa v51, v51, v35 dst_sel:DWORD dst_unused:UNUSED_PAD src0_sel:DWORD src1_sel:WORD_1
	v_bfrev_b32_e32 v55, 60
	v_lshlrev_b32_e32 v42, 20, v42
	v_and_b32_e32 v51, 0x80000000, v51
	v_lshl_add_u32 v34, v34, 23, v55
	v_or3_b32 v42, v51, v34, v42
.LBB550_53:
	s_or_b64 exec, exec, s[10:11]
.LBB550_54:
	s_or_b64 exec, exec, s[8:9]
.LBB550_55:
	s_or_b64 exec, exec, s[2:3]
	s_mov_b32 s2, 0xffffff
	v_cmp_lt_u32_e32 vcc, s2, v35
	v_mov_b32_e32 v51, 0
	v_mov_b32_e32 v55, 0
	s_and_saveexec_b64 s[2:3], vcc
	s_cbranch_execz .LBB550_61
; %bb.56:
	v_lshrrev_b32_e32 v34, 24, v35
	s_movk_i32 s8, 0x80
	v_cmp_ne_u32_e32 vcc, s8, v34
	v_bfrev_b32_e32 v55, 1
	s_and_saveexec_b64 s[8:9], vcc
	s_cbranch_execz .LBB550_60
; %bb.57:
	v_bfe_u32 v35, v35, 24, 7
	s_movk_i32 s10, 0x7f
	v_cmp_ne_u32_e32 vcc, s10, v35
	v_mov_b32_e32 v55, 0x7f800001
	s_and_saveexec_b64 s[10:11], vcc
	s_cbranch_execz .LBB550_59
; %bb.58:
	v_and_b32_e32 v55, 7, v34
	v_ffbh_u32_e32 v56, v55
	v_min_u32_e32 v59, 32, v56
	v_subrev_u32_e32 v56, 28, v59
	v_lshlrev_b64 v[56:57], v56, v[34:35]
	v_lshrrev_b32_e32 v58, 3, v35
	v_sub_u32_e32 v57, 29, v59
	v_and_b32_e32 v56, 7, v56
	v_cmp_gt_u32_e32 vcc, 8, v35
	v_cndmask_b32_e32 v35, v58, v57, vcc
	v_cndmask_b32_e32 v55, v55, v56, vcc
	v_lshlrev_b32_e32 v34, 24, v34
	v_bfrev_b32_e32 v56, 60
	v_lshlrev_b32_e32 v55, 20, v55
	v_and_b32_e32 v34, 0x80000000, v34
	v_lshl_add_u32 v35, v35, 23, v56
	v_or3_b32 v55, v34, v35, v55
.LBB550_59:
	s_or_b64 exec, exec, s[10:11]
.LBB550_60:
	s_or_b64 exec, exec, s[8:9]
.LBB550_61:
	s_or_b64 exec, exec, s[2:3]
	v_cvt_pkrtz_f16_f32 v34, v43, v45
	v_cvt_pkrtz_f16_f32 v35, v44, v53
	v_cmp_ne_u16_sdwa s[8:9], v36, v51 src0_sel:BYTE_0 src1_sel:DWORD
	s_nop 0
	v_mfma_f32_16x16x16f16 v[56:59], v[34:35], v[26:27], 0
	v_cvt_pkrtz_f16_f32 v34, v52, v54
	v_cvt_pkrtz_f16_f32 v35, v42, v55
	s_nop 1
	v_mfma_f32_16x16x16f16 v[42:45], v[34:35], v[28:29], v[56:59]
	s_and_saveexec_b64 s[2:3], s[8:9]
	s_cbranch_execz .LBB550_67
; %bb.62:
	s_movk_i32 s8, 0x80
	v_cmp_ne_u16_sdwa s[10:11], v36, s8 src0_sel:BYTE_0 src1_sel:DWORD
	v_bfrev_b32_e32 v51, 1
	s_and_saveexec_b64 s[8:9], s[10:11]
	s_cbranch_execz .LBB550_66
; %bb.63:
	s_movk_i32 s10, 0x7f
	v_and_b32_e32 v34, 0x7f, v36
	v_cmp_ne_u32_e32 vcc, s10, v34
	v_mov_b32_e32 v51, 0x7f800001
	s_and_saveexec_b64 s[10:11], vcc
	s_cbranch_execz .LBB550_65
; %bb.64:
	v_and_b32_e32 v35, 7, v36
	v_ffbh_u32_e32 v52, v35
	v_min_u32_e32 v54, 32, v52
	v_subrev_u32_e32 v52, 28, v54
	v_lshlrev_b64 v[52:53], v52, v[36:37]
	v_lshrrev_b32_e32 v51, 3, v34
	v_sub_u32_e32 v53, 29, v54
	v_and_b32_e32 v52, 7, v52
	v_cmp_gt_u32_e32 vcc, 8, v34
	v_cndmask_b32_e32 v34, v51, v53, vcc
	v_cndmask_b32_e32 v35, v35, v52, vcc
	v_lshlrev_b32_e32 v51, 24, v36
	v_bfrev_b32_e32 v52, 60
	v_lshlrev_b32_e32 v35, 20, v35
	v_and_b32_e32 v51, 0x80000000, v51
	v_lshl_add_u32 v34, v34, 23, v52
	v_or3_b32 v51, v51, v34, v35
.LBB550_65:
	s_or_b64 exec, exec, s[10:11]
.LBB550_66:
	s_or_b64 exec, exec, s[8:9]
.LBB550_67:
	s_or_b64 exec, exec, s[2:3]
	v_lshrrev_b16_e32 v34, 8, v36
	v_cmp_ne_u16_e32 vcc, 0, v34
	v_mov_b32_e32 v35, 0
	v_mov_b32_e32 v53, 0
	s_and_saveexec_b64 s[2:3], vcc
	s_cbranch_execz .LBB550_73
; %bb.68:
	s_movk_i32 s8, 0x80
	v_cmp_ne_u16_e32 vcc, s8, v34
	v_bfrev_b32_e32 v53, 1
	s_and_saveexec_b64 s[8:9], vcc
	s_cbranch_execz .LBB550_72
; %bb.69:
	s_movk_i32 s10, 0x7f
	v_and_b32_e32 v52, 0x7f, v34
	v_cmp_ne_u32_e32 vcc, s10, v52
	v_mov_b32_e32 v53, 0x7f800001
	s_and_saveexec_b64 s[10:11], vcc
	s_cbranch_execz .LBB550_71
; %bb.70:
	v_and_b32_e32 v53, 7, v34
	v_ffbh_u32_e32 v54, v53
	v_min_u32_e32 v57, 32, v54
	v_subrev_u32_e32 v54, 28, v57
	v_lshlrev_b64 v[54:55], v54, v[34:35]
	v_lshrrev_b32_e32 v56, 3, v52
	v_sub_u32_e32 v34, 29, v57
	v_and_b32_e32 v54, 7, v54
	v_cmp_gt_u32_e32 vcc, 8, v52
	v_cndmask_b32_e32 v34, v56, v34, vcc
	v_cndmask_b32_e32 v52, v53, v54, vcc
	v_lshlrev_b32_e32 v53, 16, v36
	v_bfrev_b32_e32 v54, 60
	v_lshlrev_b32_e32 v52, 20, v52
	v_and_b32_e32 v53, 0x80000000, v53
	v_lshl_add_u32 v34, v34, 23, v54
	v_or3_b32 v53, v53, v34, v52
.LBB550_71:
	s_or_b64 exec, exec, s[10:11]
.LBB550_72:
	s_or_b64 exec, exec, s[8:9]
.LBB550_73:
	s_or_b64 exec, exec, s[2:3]
	s_movk_i32 s2, 0xff
	v_and_b32_sdwa v52, v36, s2 dst_sel:DWORD dst_unused:UNUSED_PAD src0_sel:WORD_1 src1_sel:DWORD
	v_lshrrev_b32_e32 v34, 16, v36
	v_cmp_ne_u16_e32 vcc, 0, v52
	s_and_saveexec_b64 s[2:3], vcc
	s_cbranch_execz .LBB550_79
; %bb.74:
	s_movk_i32 s8, 0x80
	v_cmp_ne_u16_e32 vcc, s8, v52
	v_bfrev_b32_e32 v35, 1
	s_and_saveexec_b64 s[8:9], vcc
	s_cbranch_execz .LBB550_78
; %bb.75:
	v_bfe_u32 v52, v36, 16, 7
	s_movk_i32 s10, 0x7f
	v_cmp_ne_u32_e32 vcc, s10, v52
	v_mov_b32_e32 v35, 0x7f800001
	s_and_saveexec_b64 s[10:11], vcc
	s_cbranch_execz .LBB550_77
; %bb.76:
	v_and_b32_e32 v54, 7, v34
	v_ffbh_u32_e32 v35, v54
	v_min_u32_e32 v56, 32, v35
	v_subrev_u32_e32 v35, 28, v56
	v_lshlrev_b64 v[34:35], v35, v[34:35]
	v_lshrrev_b32_e32 v55, 3, v52
	v_sub_u32_e32 v35, 29, v56
	v_and_b32_e32 v34, 7, v34
	v_cmp_gt_u32_e32 vcc, 8, v52
	v_mov_b32_e32 v52, 24
	v_cndmask_b32_e32 v35, v55, v35, vcc
	v_cndmask_b32_e32 v34, v54, v34, vcc
	v_lshlrev_b32_sdwa v52, v52, v36 dst_sel:DWORD dst_unused:UNUSED_PAD src0_sel:DWORD src1_sel:WORD_1
	v_bfrev_b32_e32 v54, 60
	v_lshlrev_b32_e32 v34, 20, v34
	v_and_b32_e32 v52, 0x80000000, v52
	v_lshl_add_u32 v35, v35, 23, v54
	v_or3_b32 v35, v52, v35, v34
.LBB550_77:
	s_or_b64 exec, exec, s[10:11]
.LBB550_78:
	s_or_b64 exec, exec, s[8:9]
.LBB550_79:
	s_or_b64 exec, exec, s[2:3]
	s_mov_b32 s2, 0xffffff
	v_cmp_lt_u32_e32 vcc, s2, v36
	v_mov_b32_e32 v54, 0
	v_mov_b32_e32 v55, 0
	s_and_saveexec_b64 s[2:3], vcc
	s_cbranch_execz .LBB550_85
; %bb.80:
	v_lshrrev_b32_e32 v34, 24, v36
	s_movk_i32 s8, 0x80
	v_cmp_ne_u32_e32 vcc, s8, v34
	v_bfrev_b32_e32 v55, 1
	s_and_saveexec_b64 s[8:9], vcc
	s_cbranch_execz .LBB550_84
; %bb.81:
	v_bfe_u32 v36, v36, 24, 7
	s_movk_i32 s10, 0x7f
	v_cmp_ne_u32_e32 vcc, s10, v36
	v_mov_b32_e32 v55, 0x7f800001
	s_and_saveexec_b64 s[10:11], vcc
	s_cbranch_execz .LBB550_83
; %bb.82:
	v_and_b32_e32 v52, 7, v34
	v_ffbh_u32_e32 v56, v52
	v_min_u32_e32 v58, 32, v56
	v_subrev_u32_e32 v56, 28, v58
	v_lshlrev_b64 v[56:57], v56, v[34:35]
	v_lshrrev_b32_e32 v55, 3, v36
	v_sub_u32_e32 v57, 29, v58
	v_and_b32_e32 v56, 7, v56
	v_cmp_gt_u32_e32 vcc, 8, v36
	v_cndmask_b32_e32 v36, v55, v57, vcc
	v_cndmask_b32_e32 v52, v52, v56, vcc
	v_lshlrev_b32_e32 v34, 24, v34
	v_bfrev_b32_e32 v55, 60
	v_lshlrev_b32_e32 v52, 20, v52
	v_and_b32_e32 v34, 0x80000000, v34
	v_lshl_add_u32 v36, v36, 23, v55
	v_or3_b32 v55, v34, v36, v52
.LBB550_83:
	s_or_b64 exec, exec, s[10:11]
.LBB550_84:
	s_or_b64 exec, exec, s[8:9]
.LBB550_85:
	s_or_b64 exec, exec, s[2:3]
	v_cmp_ne_u16_sdwa s[8:9], v37, v54 src0_sel:BYTE_0 src1_sel:DWORD
	s_and_saveexec_b64 s[2:3], s[8:9]
	s_cbranch_execz .LBB550_91
; %bb.86:
	s_movk_i32 s8, 0x80
	v_cmp_ne_u16_sdwa s[10:11], v37, s8 src0_sel:BYTE_0 src1_sel:DWORD
	v_bfrev_b32_e32 v54, 1
	s_and_saveexec_b64 s[8:9], s[10:11]
	s_cbranch_execz .LBB550_90
; %bb.87:
	s_movk_i32 s10, 0x7f
	v_and_b32_e32 v34, 0x7f, v37
	v_cmp_ne_u32_e32 vcc, s10, v34
	v_mov_b32_e32 v54, 0x7f800001
	s_and_saveexec_b64 s[10:11], vcc
	s_cbranch_execz .LBB550_89
; %bb.88:
	v_and_b32_e32 v52, 7, v37
	v_ffbh_u32_e32 v56, v52
	v_min_u32_e32 v58, 32, v56
	v_mov_b32_e32 v36, v37
	v_subrev_u32_e32 v56, 28, v58
	v_lshlrev_b64 v[56:57], v56, v[36:37]
	v_lshrrev_b32_e32 v54, 3, v34
	v_sub_u32_e32 v36, 29, v58
	v_and_b32_e32 v56, 7, v56
	v_cmp_gt_u32_e32 vcc, 8, v34
	v_cndmask_b32_e32 v34, v54, v36, vcc
	v_cndmask_b32_e32 v36, v52, v56, vcc
	v_lshlrev_b32_e32 v52, 24, v37
	v_bfrev_b32_e32 v54, 60
	v_lshlrev_b32_e32 v36, 20, v36
	v_and_b32_e32 v52, 0x80000000, v52
	v_lshl_add_u32 v34, v34, 23, v54
	v_or3_b32 v54, v52, v34, v36
.LBB550_89:
	s_or_b64 exec, exec, s[10:11]
.LBB550_90:
	s_or_b64 exec, exec, s[8:9]
.LBB550_91:
	s_or_b64 exec, exec, s[2:3]
	v_lshrrev_b16_e32 v34, 8, v37
	v_cmp_ne_u16_e32 vcc, 0, v34
	v_mov_b32_e32 v36, 0
	v_mov_b32_e32 v56, 0
	s_and_saveexec_b64 s[2:3], vcc
	s_cbranch_execz .LBB550_97
; %bb.92:
	s_movk_i32 s8, 0x80
	v_cmp_ne_u16_e32 vcc, s8, v34
	v_bfrev_b32_e32 v56, 1
	s_and_saveexec_b64 s[8:9], vcc
	s_cbranch_execz .LBB550_96
; %bb.93:
	s_movk_i32 s10, 0x7f
	v_and_b32_e32 v52, 0x7f, v34
	v_cmp_ne_u32_e32 vcc, s10, v52
	v_mov_b32_e32 v56, 0x7f800001
	s_and_saveexec_b64 s[10:11], vcc
	s_cbranch_execz .LBB550_95
; %bb.94:
	v_and_b32_e32 v58, 7, v34
	v_ffbh_u32_e32 v56, v58
	v_min_u32_e32 v60, 32, v56
	v_subrev_u32_e32 v56, 28, v60
	v_lshlrev_b64 v[56:57], v56, v[34:35]
	v_lshrrev_b32_e32 v59, 3, v52
	v_sub_u32_e32 v34, 29, v60
	v_and_b32_e32 v56, 7, v56
	v_cmp_gt_u32_e32 vcc, 8, v52
	v_cndmask_b32_e32 v34, v59, v34, vcc
	v_cndmask_b32_e32 v52, v58, v56, vcc
	v_lshlrev_b32_e32 v56, 16, v37
	v_bfrev_b32_e32 v57, 60
	v_lshlrev_b32_e32 v52, 20, v52
	v_and_b32_e32 v56, 0x80000000, v56
	v_lshl_add_u32 v34, v34, 23, v57
	v_or3_b32 v56, v56, v34, v52
.LBB550_95:
	s_or_b64 exec, exec, s[10:11]
.LBB550_96:
	s_or_b64 exec, exec, s[8:9]
.LBB550_97:
	s_or_b64 exec, exec, s[2:3]
	s_movk_i32 s2, 0xff
	v_and_b32_sdwa v52, v37, s2 dst_sel:DWORD dst_unused:UNUSED_PAD src0_sel:WORD_1 src1_sel:DWORD
	v_lshrrev_b32_e32 v34, 16, v37
	v_cmp_ne_u16_e32 vcc, 0, v52
	s_and_saveexec_b64 s[2:3], vcc
	s_cbranch_execz .LBB550_103
; %bb.98:
	s_movk_i32 s8, 0x80
	v_cmp_ne_u16_e32 vcc, s8, v52
	v_bfrev_b32_e32 v36, 1
	s_and_saveexec_b64 s[8:9], vcc
	s_cbranch_execz .LBB550_102
; %bb.99:
	v_bfe_u32 v52, v37, 16, 7
	s_movk_i32 s10, 0x7f
	v_cmp_ne_u32_e32 vcc, s10, v52
	v_mov_b32_e32 v36, 0x7f800001
	s_and_saveexec_b64 s[10:11], vcc
	s_cbranch_execz .LBB550_101
; %bb.100:
	v_and_b32_e32 v36, 7, v34
	v_ffbh_u32_e32 v58, v36
	v_min_u32_e32 v60, 32, v58
	v_subrev_u32_e32 v58, 28, v60
	v_lshlrev_b64 v[58:59], v58, v[34:35]
	v_lshrrev_b32_e32 v57, 3, v52
	v_sub_u32_e32 v34, 29, v60
	v_and_b32_e32 v58, 7, v58
	v_cmp_gt_u32_e32 vcc, 8, v52
	v_mov_b32_e32 v52, 24
	v_cndmask_b32_e32 v34, v57, v34, vcc
	v_cndmask_b32_e32 v36, v36, v58, vcc
	v_lshlrev_b32_sdwa v52, v52, v37 dst_sel:DWORD dst_unused:UNUSED_PAD src0_sel:DWORD src1_sel:WORD_1
	v_bfrev_b32_e32 v57, 60
	v_lshlrev_b32_e32 v36, 20, v36
	v_and_b32_e32 v52, 0x80000000, v52
	v_lshl_add_u32 v34, v34, 23, v57
	v_or3_b32 v36, v52, v34, v36
.LBB550_101:
	s_or_b64 exec, exec, s[10:11]
.LBB550_102:
	s_or_b64 exec, exec, s[8:9]
.LBB550_103:
	s_or_b64 exec, exec, s[2:3]
	s_mov_b32 s2, 0xffffff
	v_cmp_lt_u32_e32 vcc, s2, v37
	v_mov_b32_e32 v52, 0
	v_mov_b32_e32 v57, 0
	s_and_saveexec_b64 s[2:3], vcc
	s_cbranch_execz .LBB550_109
; %bb.104:
	v_lshrrev_b32_e32 v34, 24, v37
	s_movk_i32 s8, 0x80
	v_cmp_ne_u32_e32 vcc, s8, v34
	v_bfrev_b32_e32 v57, 1
	s_and_saveexec_b64 s[8:9], vcc
	s_cbranch_execz .LBB550_108
; %bb.105:
	v_bfe_u32 v37, v37, 24, 7
	s_movk_i32 s10, 0x7f
	v_cmp_ne_u32_e32 vcc, s10, v37
	v_mov_b32_e32 v57, 0x7f800001
	s_and_saveexec_b64 s[10:11], vcc
	s_cbranch_execz .LBB550_107
; %bb.106:
	v_and_b32_e32 v57, 7, v34
	v_ffbh_u32_e32 v58, v57
	v_min_u32_e32 v61, 32, v58
	v_subrev_u32_e32 v58, 28, v61
	v_lshlrev_b64 v[58:59], v58, v[34:35]
	v_lshrrev_b32_e32 v60, 3, v37
	v_sub_u32_e32 v59, 29, v61
	v_and_b32_e32 v58, 7, v58
	v_cmp_gt_u32_e32 vcc, 8, v37
	v_cndmask_b32_e32 v37, v60, v59, vcc
	v_cndmask_b32_e32 v57, v57, v58, vcc
	v_lshlrev_b32_e32 v34, 24, v34
	v_bfrev_b32_e32 v58, 60
	v_lshlrev_b32_e32 v57, 20, v57
	v_and_b32_e32 v34, 0x80000000, v34
	v_lshl_add_u32 v37, v37, 23, v58
	v_or3_b32 v57, v34, v37, v57
.LBB550_107:
	s_or_b64 exec, exec, s[10:11]
.LBB550_108:
	s_or_b64 exec, exec, s[8:9]
.LBB550_109:
	s_or_b64 exec, exec, s[2:3]
	v_cvt_pkrtz_f16_f32 v34, v51, v53
	v_cvt_pkrtz_f16_f32 v35, v35, v55
	v_cmp_ne_u16_sdwa s[8:9], v38, v52 src0_sel:BYTE_0 src1_sel:DWORD
	s_nop 0
	v_mfma_f32_16x16x16f16 v[42:45], v[34:35], v[18:19], v[42:45]
	v_cvt_pkrtz_f16_f32 v34, v54, v56
	v_cvt_pkrtz_f16_f32 v35, v36, v57
	s_nop 1
	v_mfma_f32_16x16x16f16 v[34:37], v[34:35], v[20:21], v[42:45]
	s_and_saveexec_b64 s[2:3], s[8:9]
	s_cbranch_execz .LBB550_115
; %bb.110:
	s_movk_i32 s8, 0x80
	v_cmp_ne_u16_sdwa s[10:11], v38, s8 src0_sel:BYTE_0 src1_sel:DWORD
	v_bfrev_b32_e32 v52, 1
	s_and_saveexec_b64 s[8:9], s[10:11]
	s_cbranch_execz .LBB550_114
; %bb.111:
	s_movk_i32 s10, 0x7f
	v_and_b32_e32 v42, 0x7f, v38
	v_cmp_ne_u32_e32 vcc, s10, v42
	v_mov_b32_e32 v52, 0x7f800001
	s_and_saveexec_b64 s[10:11], vcc
	s_cbranch_execz .LBB550_113
; %bb.112:
	v_and_b32_e32 v43, 7, v38
	v_ffbh_u32_e32 v44, v43
	v_min_u32_e32 v52, 32, v44
	v_subrev_u32_e32 v44, 28, v52
	v_lshlrev_b64 v[44:45], v44, v[38:39]
	v_lshrrev_b32_e32 v51, 3, v42
	v_sub_u32_e32 v45, 29, v52
	v_and_b32_e32 v44, 7, v44
	v_cmp_gt_u32_e32 vcc, 8, v42
	v_cndmask_b32_e32 v42, v51, v45, vcc
	v_cndmask_b32_e32 v43, v43, v44, vcc
	v_lshlrev_b32_e32 v44, 24, v38
	v_bfrev_b32_e32 v45, 60
	v_lshlrev_b32_e32 v43, 20, v43
	v_and_b32_e32 v44, 0x80000000, v44
	v_lshl_add_u32 v42, v42, 23, v45
	v_or3_b32 v52, v44, v42, v43
.LBB550_113:
	s_or_b64 exec, exec, s[10:11]
.LBB550_114:
	s_or_b64 exec, exec, s[8:9]
.LBB550_115:
	s_or_b64 exec, exec, s[2:3]
	s_nop 3
	v_lshrrev_b16_e32 v42, 8, v38
	v_cmp_ne_u16_e32 vcc, 0, v42
	v_mov_b32_e32 v43, 0
	v_mov_b32_e32 v44, 0
	s_and_saveexec_b64 s[2:3], vcc
	s_cbranch_execz .LBB550_121
; %bb.116:
	s_movk_i32 s8, 0x80
	v_cmp_ne_u16_e32 vcc, s8, v42
	v_bfrev_b32_e32 v44, 1
	s_and_saveexec_b64 s[8:9], vcc
	s_cbranch_execz .LBB550_120
; %bb.117:
	s_movk_i32 s10, 0x7f
	v_and_b32_e32 v45, 0x7f, v42
	v_cmp_ne_u32_e32 vcc, s10, v45
	v_mov_b32_e32 v44, 0x7f800001
	s_and_saveexec_b64 s[10:11], vcc
	s_cbranch_execz .LBB550_119
; %bb.118:
	v_and_b32_e32 v44, 7, v42
	v_ffbh_u32_e32 v53, v44
	v_min_u32_e32 v53, 32, v53
	v_subrev_u32_e32 v54, 28, v53
	v_lshlrev_b64 v[54:55], v54, v[42:43]
	v_lshrrev_b32_e32 v51, 3, v45
	v_sub_u32_e32 v42, 29, v53
	v_and_b32_e32 v53, 7, v54
	v_cmp_gt_u32_e32 vcc, 8, v45
	v_cndmask_b32_e32 v42, v51, v42, vcc
	v_cndmask_b32_e32 v44, v44, v53, vcc
	v_lshlrev_b32_e32 v45, 16, v38
	v_bfrev_b32_e32 v51, 60
	v_lshlrev_b32_e32 v44, 20, v44
	v_and_b32_e32 v45, 0x80000000, v45
	v_lshl_add_u32 v42, v42, 23, v51
	v_or3_b32 v44, v45, v42, v44
.LBB550_119:
	s_or_b64 exec, exec, s[10:11]
.LBB550_120:
	s_or_b64 exec, exec, s[8:9]
.LBB550_121:
	s_or_b64 exec, exec, s[2:3]
	s_movk_i32 s2, 0xff
	v_and_b32_sdwa v45, v38, s2 dst_sel:DWORD dst_unused:UNUSED_PAD src0_sel:WORD_1 src1_sel:DWORD
	v_lshrrev_b32_e32 v42, 16, v38
	v_cmp_ne_u16_e32 vcc, 0, v45
	s_and_saveexec_b64 s[2:3], vcc
	s_cbranch_execz .LBB550_127
; %bb.122:
	s_movk_i32 s8, 0x80
	v_cmp_ne_u16_e32 vcc, s8, v45
	v_bfrev_b32_e32 v43, 1
	s_and_saveexec_b64 s[8:9], vcc
	s_cbranch_execz .LBB550_126
; %bb.123:
	v_bfe_u32 v45, v38, 16, 7
	s_movk_i32 s10, 0x7f
	v_cmp_ne_u32_e32 vcc, s10, v45
	v_mov_b32_e32 v43, 0x7f800001
	s_and_saveexec_b64 s[10:11], vcc
	s_cbranch_execz .LBB550_125
; %bb.124:
	v_and_b32_e32 v51, 7, v42
	v_ffbh_u32_e32 v43, v51
	v_min_u32_e32 v54, 32, v43
	v_subrev_u32_e32 v43, 28, v54
	v_lshlrev_b64 v[42:43], v43, v[42:43]
	v_lshrrev_b32_e32 v53, 3, v45
	v_sub_u32_e32 v43, 29, v54
	v_and_b32_e32 v42, 7, v42
	v_cmp_gt_u32_e32 vcc, 8, v45
	v_mov_b32_e32 v45, 24
	v_cndmask_b32_e32 v43, v53, v43, vcc
	v_cndmask_b32_e32 v42, v51, v42, vcc
	v_lshlrev_b32_sdwa v45, v45, v38 dst_sel:DWORD dst_unused:UNUSED_PAD src0_sel:DWORD src1_sel:WORD_1
	v_bfrev_b32_e32 v51, 60
	v_lshlrev_b32_e32 v42, 20, v42
	v_and_b32_e32 v45, 0x80000000, v45
	v_lshl_add_u32 v43, v43, 23, v51
	v_or3_b32 v43, v45, v43, v42
.LBB550_125:
	s_or_b64 exec, exec, s[10:11]
.LBB550_126:
	s_or_b64 exec, exec, s[8:9]
.LBB550_127:
	s_or_b64 exec, exec, s[2:3]
	s_mov_b32 s2, 0xffffff
	v_cmp_lt_u32_e32 vcc, s2, v38
	v_mov_b32_e32 v45, 0
	v_mov_b32_e32 v53, 0
	s_and_saveexec_b64 s[2:3], vcc
	s_cbranch_execz .LBB550_133
; %bb.128:
	v_lshrrev_b32_e32 v42, 24, v38
	s_movk_i32 s8, 0x80
	v_cmp_ne_u32_e32 vcc, s8, v42
	v_bfrev_b32_e32 v53, 1
	s_and_saveexec_b64 s[8:9], vcc
	s_cbranch_execz .LBB550_132
; %bb.129:
	v_bfe_u32 v38, v38, 24, 7
	s_movk_i32 s10, 0x7f
	v_cmp_ne_u32_e32 vcc, s10, v38
	v_mov_b32_e32 v53, 0x7f800001
	s_and_saveexec_b64 s[10:11], vcc
	s_cbranch_execz .LBB550_131
; %bb.130:
	v_and_b32_e32 v51, 7, v42
	v_ffbh_u32_e32 v54, v51
	v_min_u32_e32 v56, 32, v54
	v_subrev_u32_e32 v54, 28, v56
	v_lshlrev_b64 v[54:55], v54, v[42:43]
	v_lshrrev_b32_e32 v53, 3, v38
	v_sub_u32_e32 v55, 29, v56
	v_and_b32_e32 v54, 7, v54
	v_cmp_gt_u32_e32 vcc, 8, v38
	v_cndmask_b32_e32 v38, v53, v55, vcc
	v_cndmask_b32_e32 v51, v51, v54, vcc
	v_lshlrev_b32_e32 v42, 24, v42
	v_bfrev_b32_e32 v53, 60
	v_lshlrev_b32_e32 v51, 20, v51
	v_and_b32_e32 v42, 0x80000000, v42
	v_lshl_add_u32 v38, v38, 23, v53
	v_or3_b32 v53, v42, v38, v51
.LBB550_131:
	s_or_b64 exec, exec, s[10:11]
.LBB550_132:
	s_or_b64 exec, exec, s[8:9]
.LBB550_133:
	s_or_b64 exec, exec, s[2:3]
	v_cmp_ne_u16_sdwa s[8:9], v39, v45 src0_sel:BYTE_0 src1_sel:DWORD
	s_and_saveexec_b64 s[2:3], s[8:9]
	s_cbranch_execz .LBB550_139
; %bb.134:
	s_movk_i32 s8, 0x80
	v_cmp_ne_u16_sdwa s[10:11], v39, s8 src0_sel:BYTE_0 src1_sel:DWORD
	v_bfrev_b32_e32 v45, 1
	s_and_saveexec_b64 s[8:9], s[10:11]
	s_cbranch_execz .LBB550_138
; %bb.135:
	s_movk_i32 s10, 0x7f
	v_and_b32_e32 v38, 0x7f, v39
	v_cmp_ne_u32_e32 vcc, s10, v38
	v_mov_b32_e32 v45, 0x7f800001
	s_and_saveexec_b64 s[10:11], vcc
	s_cbranch_execz .LBB550_137
; %bb.136:
	v_and_b32_e32 v45, 7, v39
	v_ffbh_u32_e32 v54, v45
	v_min_u32_e32 v56, 32, v54
	v_mov_b32_e32 v42, v39
	v_subrev_u32_e32 v54, 28, v56
	v_lshlrev_b64 v[54:55], v54, v[42:43]
	v_lshrrev_b32_e32 v51, 3, v38
	v_sub_u32_e32 v42, 29, v56
	v_and_b32_e32 v54, 7, v54
	v_cmp_gt_u32_e32 vcc, 8, v38
	v_cndmask_b32_e32 v38, v51, v42, vcc
	v_cndmask_b32_e32 v42, v45, v54, vcc
	v_lshlrev_b32_e32 v45, 24, v39
	v_bfrev_b32_e32 v51, 60
	v_lshlrev_b32_e32 v42, 20, v42
	v_and_b32_e32 v45, 0x80000000, v45
	v_lshl_add_u32 v38, v38, 23, v51
	v_or3_b32 v45, v45, v38, v42
.LBB550_137:
	s_or_b64 exec, exec, s[10:11]
.LBB550_138:
	s_or_b64 exec, exec, s[8:9]
.LBB550_139:
	s_or_b64 exec, exec, s[2:3]
	v_lshrrev_b16_e32 v38, 8, v39
	v_cmp_ne_u16_e32 vcc, 0, v38
	v_mov_b32_e32 v42, 0
	v_mov_b32_e32 v54, 0
	s_and_saveexec_b64 s[2:3], vcc
	s_cbranch_execz .LBB550_145
; %bb.140:
	s_movk_i32 s8, 0x80
	v_cmp_ne_u16_e32 vcc, s8, v38
	v_bfrev_b32_e32 v54, 1
	s_and_saveexec_b64 s[8:9], vcc
	s_cbranch_execz .LBB550_144
; %bb.141:
	s_movk_i32 s10, 0x7f
	v_and_b32_e32 v51, 0x7f, v38
	v_cmp_ne_u32_e32 vcc, s10, v51
	v_mov_b32_e32 v54, 0x7f800001
	s_and_saveexec_b64 s[10:11], vcc
	s_cbranch_execz .LBB550_143
; %bb.142:
	v_and_b32_e32 v56, 7, v38
	v_ffbh_u32_e32 v54, v56
	v_min_u32_e32 v58, 32, v54
	v_subrev_u32_e32 v54, 28, v58
	v_lshlrev_b64 v[54:55], v54, v[38:39]
	v_lshrrev_b32_e32 v57, 3, v51
	v_sub_u32_e32 v38, 29, v58
	v_and_b32_e32 v54, 7, v54
	v_cmp_gt_u32_e32 vcc, 8, v51
	v_cndmask_b32_e32 v38, v57, v38, vcc
	v_cndmask_b32_e32 v51, v56, v54, vcc
	v_lshlrev_b32_e32 v54, 16, v39
	v_bfrev_b32_e32 v55, 60
	v_lshlrev_b32_e32 v51, 20, v51
	v_and_b32_e32 v54, 0x80000000, v54
	v_lshl_add_u32 v38, v38, 23, v55
	v_or3_b32 v54, v54, v38, v51
.LBB550_143:
	s_or_b64 exec, exec, s[10:11]
.LBB550_144:
	s_or_b64 exec, exec, s[8:9]
.LBB550_145:
	s_or_b64 exec, exec, s[2:3]
	s_movk_i32 s2, 0xff
	v_and_b32_sdwa v51, v39, s2 dst_sel:DWORD dst_unused:UNUSED_PAD src0_sel:WORD_1 src1_sel:DWORD
	v_lshrrev_b32_e32 v38, 16, v39
	v_cmp_ne_u16_e32 vcc, 0, v51
	s_and_saveexec_b64 s[2:3], vcc
	s_cbranch_execz .LBB550_151
; %bb.146:
	s_movk_i32 s8, 0x80
	v_cmp_ne_u16_e32 vcc, s8, v51
	v_bfrev_b32_e32 v42, 1
	s_and_saveexec_b64 s[8:9], vcc
	s_cbranch_execz .LBB550_150
; %bb.147:
	v_bfe_u32 v51, v39, 16, 7
	s_movk_i32 s10, 0x7f
	v_cmp_ne_u32_e32 vcc, s10, v51
	v_mov_b32_e32 v42, 0x7f800001
	s_and_saveexec_b64 s[10:11], vcc
	s_cbranch_execz .LBB550_149
; %bb.148:
	v_and_b32_e32 v42, 7, v38
	v_ffbh_u32_e32 v56, v42
	v_min_u32_e32 v58, 32, v56
	v_subrev_u32_e32 v56, 28, v58
	v_lshlrev_b64 v[56:57], v56, v[38:39]
	v_lshrrev_b32_e32 v55, 3, v51
	v_sub_u32_e32 v38, 29, v58
	v_and_b32_e32 v56, 7, v56
	v_cmp_gt_u32_e32 vcc, 8, v51
	v_mov_b32_e32 v51, 24
	v_cndmask_b32_e32 v38, v55, v38, vcc
	v_cndmask_b32_e32 v42, v42, v56, vcc
	v_lshlrev_b32_sdwa v51, v51, v39 dst_sel:DWORD dst_unused:UNUSED_PAD src0_sel:DWORD src1_sel:WORD_1
	v_bfrev_b32_e32 v55, 60
	v_lshlrev_b32_e32 v42, 20, v42
	v_and_b32_e32 v51, 0x80000000, v51
	v_lshl_add_u32 v38, v38, 23, v55
	v_or3_b32 v42, v51, v38, v42
.LBB550_149:
	s_or_b64 exec, exec, s[10:11]
.LBB550_150:
	s_or_b64 exec, exec, s[8:9]
.LBB550_151:
	s_or_b64 exec, exec, s[2:3]
	s_mov_b32 s2, 0xffffff
	v_cmp_lt_u32_e32 vcc, s2, v39
	v_mov_b32_e32 v51, 0
	v_mov_b32_e32 v55, 0
	s_and_saveexec_b64 s[2:3], vcc
	s_cbranch_execz .LBB550_157
; %bb.152:
	v_lshrrev_b32_e32 v38, 24, v39
	s_movk_i32 s8, 0x80
	v_cmp_ne_u32_e32 vcc, s8, v38
	v_bfrev_b32_e32 v55, 1
	s_and_saveexec_b64 s[8:9], vcc
	s_cbranch_execz .LBB550_156
; %bb.153:
	v_bfe_u32 v39, v39, 24, 7
	s_movk_i32 s10, 0x7f
	v_cmp_ne_u32_e32 vcc, s10, v39
	v_mov_b32_e32 v55, 0x7f800001
	s_and_saveexec_b64 s[10:11], vcc
	s_cbranch_execz .LBB550_155
; %bb.154:
	v_and_b32_e32 v55, 7, v38
	v_ffbh_u32_e32 v56, v55
	v_min_u32_e32 v59, 32, v56
	v_subrev_u32_e32 v56, 28, v59
	v_lshlrev_b64 v[56:57], v56, v[38:39]
	v_lshrrev_b32_e32 v58, 3, v39
	v_sub_u32_e32 v57, 29, v59
	v_and_b32_e32 v56, 7, v56
	v_cmp_gt_u32_e32 vcc, 8, v39
	v_cndmask_b32_e32 v39, v58, v57, vcc
	v_cndmask_b32_e32 v55, v55, v56, vcc
	v_lshlrev_b32_e32 v38, 24, v38
	v_bfrev_b32_e32 v56, 60
	v_lshlrev_b32_e32 v55, 20, v55
	v_and_b32_e32 v38, 0x80000000, v38
	v_lshl_add_u32 v39, v39, 23, v56
	v_or3_b32 v55, v38, v39, v55
.LBB550_155:
	s_or_b64 exec, exec, s[10:11]
.LBB550_156:
	s_or_b64 exec, exec, s[8:9]
.LBB550_157:
	s_or_b64 exec, exec, s[2:3]
	v_cvt_pkrtz_f16_f32 v38, v52, v44
	v_cvt_pkrtz_f16_f32 v39, v43, v53
	v_cmp_ne_u16_sdwa s[8:9], v40, v51 src0_sel:BYTE_0 src1_sel:DWORD
	s_nop 0
	v_mfma_f32_16x16x16f16 v[56:59], v[38:39], v[26:27], 0
	v_cvt_pkrtz_f16_f32 v38, v45, v54
	v_cvt_pkrtz_f16_f32 v39, v42, v55
	s_nop 1
	v_mfma_f32_16x16x16f16 v[42:45], v[38:39], v[28:29], v[56:59]
	s_and_saveexec_b64 s[2:3], s[8:9]
	s_cbranch_execz .LBB550_163
; %bb.158:
	s_movk_i32 s8, 0x80
	v_cmp_ne_u16_sdwa s[10:11], v40, s8 src0_sel:BYTE_0 src1_sel:DWORD
	v_bfrev_b32_e32 v51, 1
	s_and_saveexec_b64 s[8:9], s[10:11]
	s_cbranch_execz .LBB550_162
; %bb.159:
	s_movk_i32 s10, 0x7f
	v_and_b32_e32 v38, 0x7f, v40
	v_cmp_ne_u32_e32 vcc, s10, v38
	v_mov_b32_e32 v51, 0x7f800001
	s_and_saveexec_b64 s[10:11], vcc
	s_cbranch_execz .LBB550_161
; %bb.160:
	v_and_b32_e32 v39, 7, v40
	v_ffbh_u32_e32 v52, v39
	v_min_u32_e32 v54, 32, v52
	v_subrev_u32_e32 v52, 28, v54
	v_lshlrev_b64 v[52:53], v52, v[40:41]
	v_lshrrev_b32_e32 v51, 3, v38
	v_sub_u32_e32 v53, 29, v54
	v_and_b32_e32 v52, 7, v52
	v_cmp_gt_u32_e32 vcc, 8, v38
	v_cndmask_b32_e32 v38, v51, v53, vcc
	v_cndmask_b32_e32 v39, v39, v52, vcc
	v_lshlrev_b32_e32 v51, 24, v40
	v_bfrev_b32_e32 v52, 60
	v_lshlrev_b32_e32 v39, 20, v39
	v_and_b32_e32 v51, 0x80000000, v51
	v_lshl_add_u32 v38, v38, 23, v52
	v_or3_b32 v51, v51, v38, v39
.LBB550_161:
	s_or_b64 exec, exec, s[10:11]
.LBB550_162:
	s_or_b64 exec, exec, s[8:9]
.LBB550_163:
	s_or_b64 exec, exec, s[2:3]
	v_lshrrev_b16_e32 v38, 8, v40
	v_cmp_ne_u16_e32 vcc, 0, v38
	v_mov_b32_e32 v39, 0
	v_mov_b32_e32 v53, 0
	s_and_saveexec_b64 s[2:3], vcc
	s_cbranch_execz .LBB550_169
; %bb.164:
	s_movk_i32 s8, 0x80
	v_cmp_ne_u16_e32 vcc, s8, v38
	v_bfrev_b32_e32 v53, 1
	s_and_saveexec_b64 s[8:9], vcc
	s_cbranch_execz .LBB550_168
; %bb.165:
	s_movk_i32 s10, 0x7f
	v_and_b32_e32 v52, 0x7f, v38
	v_cmp_ne_u32_e32 vcc, s10, v52
	v_mov_b32_e32 v53, 0x7f800001
	s_and_saveexec_b64 s[10:11], vcc
	s_cbranch_execz .LBB550_167
; %bb.166:
	v_and_b32_e32 v53, 7, v38
	v_ffbh_u32_e32 v54, v53
	v_min_u32_e32 v57, 32, v54
	v_subrev_u32_e32 v54, 28, v57
	v_lshlrev_b64 v[54:55], v54, v[38:39]
	v_lshrrev_b32_e32 v56, 3, v52
	v_sub_u32_e32 v38, 29, v57
	v_and_b32_e32 v54, 7, v54
	v_cmp_gt_u32_e32 vcc, 8, v52
	v_cndmask_b32_e32 v38, v56, v38, vcc
	v_cndmask_b32_e32 v52, v53, v54, vcc
	v_lshlrev_b32_e32 v53, 16, v40
	v_bfrev_b32_e32 v54, 60
	v_lshlrev_b32_e32 v52, 20, v52
	v_and_b32_e32 v53, 0x80000000, v53
	v_lshl_add_u32 v38, v38, 23, v54
	v_or3_b32 v53, v53, v38, v52
.LBB550_167:
	s_or_b64 exec, exec, s[10:11]
.LBB550_168:
	s_or_b64 exec, exec, s[8:9]
.LBB550_169:
	s_or_b64 exec, exec, s[2:3]
	s_movk_i32 s2, 0xff
	v_and_b32_sdwa v52, v40, s2 dst_sel:DWORD dst_unused:UNUSED_PAD src0_sel:WORD_1 src1_sel:DWORD
	v_lshrrev_b32_e32 v38, 16, v40
	v_cmp_ne_u16_e32 vcc, 0, v52
	s_and_saveexec_b64 s[2:3], vcc
	s_cbranch_execz .LBB550_175
; %bb.170:
	s_movk_i32 s8, 0x80
	v_cmp_ne_u16_e32 vcc, s8, v52
	v_bfrev_b32_e32 v39, 1
	s_and_saveexec_b64 s[8:9], vcc
	s_cbranch_execz .LBB550_174
; %bb.171:
	v_bfe_u32 v52, v40, 16, 7
	s_movk_i32 s10, 0x7f
	v_cmp_ne_u32_e32 vcc, s10, v52
	v_mov_b32_e32 v39, 0x7f800001
	s_and_saveexec_b64 s[10:11], vcc
	s_cbranch_execz .LBB550_173
; %bb.172:
	v_and_b32_e32 v54, 7, v38
	v_ffbh_u32_e32 v39, v54
	v_min_u32_e32 v56, 32, v39
	v_subrev_u32_e32 v39, 28, v56
	v_lshlrev_b64 v[38:39], v39, v[38:39]
	v_lshrrev_b32_e32 v55, 3, v52
	v_sub_u32_e32 v39, 29, v56
	v_and_b32_e32 v38, 7, v38
	v_cmp_gt_u32_e32 vcc, 8, v52
	v_mov_b32_e32 v52, 24
	v_cndmask_b32_e32 v39, v55, v39, vcc
	v_cndmask_b32_e32 v38, v54, v38, vcc
	v_lshlrev_b32_sdwa v52, v52, v40 dst_sel:DWORD dst_unused:UNUSED_PAD src0_sel:DWORD src1_sel:WORD_1
	v_bfrev_b32_e32 v54, 60
	v_lshlrev_b32_e32 v38, 20, v38
	v_and_b32_e32 v52, 0x80000000, v52
	v_lshl_add_u32 v39, v39, 23, v54
	v_or3_b32 v39, v52, v39, v38
.LBB550_173:
	s_or_b64 exec, exec, s[10:11]
.LBB550_174:
	s_or_b64 exec, exec, s[8:9]
.LBB550_175:
	s_or_b64 exec, exec, s[2:3]
	s_mov_b32 s2, 0xffffff
	v_cmp_lt_u32_e32 vcc, s2, v40
	v_mov_b32_e32 v54, 0
	v_mov_b32_e32 v55, 0
	s_and_saveexec_b64 s[2:3], vcc
	s_cbranch_execz .LBB550_181
; %bb.176:
	v_lshrrev_b32_e32 v38, 24, v40
	s_movk_i32 s8, 0x80
	v_cmp_ne_u32_e32 vcc, s8, v38
	v_bfrev_b32_e32 v55, 1
	s_and_saveexec_b64 s[8:9], vcc
	s_cbranch_execz .LBB550_180
; %bb.177:
	v_bfe_u32 v40, v40, 24, 7
	s_movk_i32 s10, 0x7f
	v_cmp_ne_u32_e32 vcc, s10, v40
	v_mov_b32_e32 v55, 0x7f800001
	s_and_saveexec_b64 s[10:11], vcc
	s_cbranch_execz .LBB550_179
; %bb.178:
	v_and_b32_e32 v52, 7, v38
	v_ffbh_u32_e32 v56, v52
	v_min_u32_e32 v58, 32, v56
	v_subrev_u32_e32 v56, 28, v58
	v_lshlrev_b64 v[56:57], v56, v[38:39]
	v_lshrrev_b32_e32 v55, 3, v40
	v_sub_u32_e32 v57, 29, v58
	v_and_b32_e32 v56, 7, v56
	v_cmp_gt_u32_e32 vcc, 8, v40
	v_cndmask_b32_e32 v40, v55, v57, vcc
	v_cndmask_b32_e32 v52, v52, v56, vcc
	v_lshlrev_b32_e32 v38, 24, v38
	v_bfrev_b32_e32 v55, 60
	v_lshlrev_b32_e32 v52, 20, v52
	v_and_b32_e32 v38, 0x80000000, v38
	v_lshl_add_u32 v40, v40, 23, v55
	v_or3_b32 v55, v38, v40, v52
.LBB550_179:
	s_or_b64 exec, exec, s[10:11]
.LBB550_180:
	s_or_b64 exec, exec, s[8:9]
.LBB550_181:
	s_or_b64 exec, exec, s[2:3]
	v_cmp_ne_u16_sdwa s[8:9], v41, v54 src0_sel:BYTE_0 src1_sel:DWORD
	s_and_saveexec_b64 s[2:3], s[8:9]
	s_cbranch_execz .LBB550_187
; %bb.182:
	s_movk_i32 s8, 0x80
	v_cmp_ne_u16_sdwa s[10:11], v41, s8 src0_sel:BYTE_0 src1_sel:DWORD
	v_bfrev_b32_e32 v54, 1
	s_and_saveexec_b64 s[8:9], s[10:11]
	s_cbranch_execz .LBB550_186
; %bb.183:
	s_movk_i32 s10, 0x7f
	v_and_b32_e32 v38, 0x7f, v41
	v_cmp_ne_u32_e32 vcc, s10, v38
	v_mov_b32_e32 v54, 0x7f800001
	s_and_saveexec_b64 s[10:11], vcc
	s_cbranch_execz .LBB550_185
; %bb.184:
	v_and_b32_e32 v52, 7, v41
	v_ffbh_u32_e32 v56, v52
	v_min_u32_e32 v58, 32, v56
	v_mov_b32_e32 v40, v41
	v_subrev_u32_e32 v56, 28, v58
	v_lshlrev_b64 v[56:57], v56, v[40:41]
	v_lshrrev_b32_e32 v54, 3, v38
	v_sub_u32_e32 v40, 29, v58
	v_and_b32_e32 v56, 7, v56
	v_cmp_gt_u32_e32 vcc, 8, v38
	v_cndmask_b32_e32 v38, v54, v40, vcc
	v_cndmask_b32_e32 v40, v52, v56, vcc
	v_lshlrev_b32_e32 v52, 24, v41
	v_bfrev_b32_e32 v54, 60
	v_lshlrev_b32_e32 v40, 20, v40
	v_and_b32_e32 v52, 0x80000000, v52
	v_lshl_add_u32 v38, v38, 23, v54
	v_or3_b32 v54, v52, v38, v40
.LBB550_185:
	s_or_b64 exec, exec, s[10:11]
.LBB550_186:
	s_or_b64 exec, exec, s[8:9]
.LBB550_187:
	s_or_b64 exec, exec, s[2:3]
	v_lshrrev_b16_e32 v38, 8, v41
	v_cmp_ne_u16_e32 vcc, 0, v38
	v_mov_b32_e32 v40, 0
	v_mov_b32_e32 v56, 0
	s_and_saveexec_b64 s[2:3], vcc
	s_cbranch_execz .LBB550_193
; %bb.188:
	s_movk_i32 s8, 0x80
	v_cmp_ne_u16_e32 vcc, s8, v38
	v_bfrev_b32_e32 v56, 1
	s_and_saveexec_b64 s[8:9], vcc
	s_cbranch_execz .LBB550_192
; %bb.189:
	s_movk_i32 s10, 0x7f
	v_and_b32_e32 v52, 0x7f, v38
	v_cmp_ne_u32_e32 vcc, s10, v52
	v_mov_b32_e32 v56, 0x7f800001
	s_and_saveexec_b64 s[10:11], vcc
	s_cbranch_execz .LBB550_191
; %bb.190:
	v_and_b32_e32 v58, 7, v38
	v_ffbh_u32_e32 v56, v58
	v_min_u32_e32 v60, 32, v56
	v_subrev_u32_e32 v56, 28, v60
	v_lshlrev_b64 v[56:57], v56, v[38:39]
	v_lshrrev_b32_e32 v59, 3, v52
	v_sub_u32_e32 v38, 29, v60
	v_and_b32_e32 v56, 7, v56
	v_cmp_gt_u32_e32 vcc, 8, v52
	v_cndmask_b32_e32 v38, v59, v38, vcc
	v_cndmask_b32_e32 v52, v58, v56, vcc
	v_lshlrev_b32_e32 v56, 16, v41
	v_bfrev_b32_e32 v57, 60
	v_lshlrev_b32_e32 v52, 20, v52
	v_and_b32_e32 v56, 0x80000000, v56
	v_lshl_add_u32 v38, v38, 23, v57
	v_or3_b32 v56, v56, v38, v52
.LBB550_191:
	s_or_b64 exec, exec, s[10:11]
.LBB550_192:
	s_or_b64 exec, exec, s[8:9]
.LBB550_193:
	s_or_b64 exec, exec, s[2:3]
	s_movk_i32 s2, 0xff
	v_and_b32_sdwa v52, v41, s2 dst_sel:DWORD dst_unused:UNUSED_PAD src0_sel:WORD_1 src1_sel:DWORD
	v_lshrrev_b32_e32 v38, 16, v41
	v_cmp_ne_u16_e32 vcc, 0, v52
	s_and_saveexec_b64 s[2:3], vcc
	s_cbranch_execz .LBB550_199
; %bb.194:
	s_movk_i32 s8, 0x80
	v_cmp_ne_u16_e32 vcc, s8, v52
	v_bfrev_b32_e32 v40, 1
	s_and_saveexec_b64 s[8:9], vcc
	s_cbranch_execz .LBB550_198
; %bb.195:
	v_bfe_u32 v52, v41, 16, 7
	s_movk_i32 s10, 0x7f
	v_cmp_ne_u32_e32 vcc, s10, v52
	v_mov_b32_e32 v40, 0x7f800001
	s_and_saveexec_b64 s[10:11], vcc
	s_cbranch_execz .LBB550_197
; %bb.196:
	v_and_b32_e32 v40, 7, v38
	v_ffbh_u32_e32 v58, v40
	v_min_u32_e32 v60, 32, v58
	v_subrev_u32_e32 v58, 28, v60
	v_lshlrev_b64 v[58:59], v58, v[38:39]
	v_lshrrev_b32_e32 v57, 3, v52
	v_sub_u32_e32 v38, 29, v60
	v_and_b32_e32 v58, 7, v58
	v_cmp_gt_u32_e32 vcc, 8, v52
	v_mov_b32_e32 v52, 24
	v_cndmask_b32_e32 v38, v57, v38, vcc
	v_cndmask_b32_e32 v40, v40, v58, vcc
	v_lshlrev_b32_sdwa v52, v52, v41 dst_sel:DWORD dst_unused:UNUSED_PAD src0_sel:DWORD src1_sel:WORD_1
	v_bfrev_b32_e32 v57, 60
	v_lshlrev_b32_e32 v40, 20, v40
	v_and_b32_e32 v52, 0x80000000, v52
	v_lshl_add_u32 v38, v38, 23, v57
	v_or3_b32 v40, v52, v38, v40
.LBB550_197:
	s_or_b64 exec, exec, s[10:11]
.LBB550_198:
	s_or_b64 exec, exec, s[8:9]
.LBB550_199:
	s_or_b64 exec, exec, s[2:3]
	s_mov_b32 s2, 0xffffff
	v_cmp_lt_u32_e32 vcc, s2, v41
	v_mov_b32_e32 v52, 0
	v_mov_b32_e32 v57, 0
	s_and_saveexec_b64 s[2:3], vcc
	s_cbranch_execz .LBB550_205
; %bb.200:
	v_lshrrev_b32_e32 v38, 24, v41
	s_movk_i32 s8, 0x80
	v_cmp_ne_u32_e32 vcc, s8, v38
	v_bfrev_b32_e32 v57, 1
	s_and_saveexec_b64 s[8:9], vcc
	s_cbranch_execz .LBB550_204
; %bb.201:
	v_bfe_u32 v41, v41, 24, 7
	s_movk_i32 s10, 0x7f
	v_cmp_ne_u32_e32 vcc, s10, v41
	v_mov_b32_e32 v57, 0x7f800001
	s_and_saveexec_b64 s[10:11], vcc
	s_cbranch_execz .LBB550_203
; %bb.202:
	v_and_b32_e32 v57, 7, v38
	v_ffbh_u32_e32 v58, v57
	v_min_u32_e32 v61, 32, v58
	v_subrev_u32_e32 v58, 28, v61
	v_lshlrev_b64 v[58:59], v58, v[38:39]
	v_lshrrev_b32_e32 v60, 3, v41
	v_sub_u32_e32 v59, 29, v61
	v_and_b32_e32 v58, 7, v58
	v_cmp_gt_u32_e32 vcc, 8, v41
	v_cndmask_b32_e32 v41, v60, v59, vcc
	v_cndmask_b32_e32 v57, v57, v58, vcc
	v_lshlrev_b32_e32 v38, 24, v38
	v_bfrev_b32_e32 v58, 60
	v_lshlrev_b32_e32 v57, 20, v57
	v_and_b32_e32 v38, 0x80000000, v38
	v_lshl_add_u32 v41, v41, 23, v58
	v_or3_b32 v57, v38, v41, v57
.LBB550_203:
	s_or_b64 exec, exec, s[10:11]
.LBB550_204:
	s_or_b64 exec, exec, s[8:9]
.LBB550_205:
	s_or_b64 exec, exec, s[2:3]
	v_cvt_pkrtz_f16_f32 v38, v51, v53
	v_cvt_pkrtz_f16_f32 v39, v39, v55
	v_cmp_ne_u16_sdwa s[8:9], v30, v52 src0_sel:BYTE_0 src1_sel:DWORD
	s_nop 0
	v_mfma_f32_16x16x16f16 v[42:45], v[38:39], v[18:19], v[42:45]
	v_cvt_pkrtz_f16_f32 v38, v54, v56
	v_cvt_pkrtz_f16_f32 v39, v40, v57
	s_nop 1
	v_mfma_f32_16x16x16f16 v[38:41], v[38:39], v[20:21], v[42:45]
	s_and_saveexec_b64 s[2:3], s[8:9]
	s_cbranch_execz .LBB550_211
; %bb.206:
	s_movk_i32 s8, 0x80
	v_cmp_ne_u16_sdwa s[10:11], v30, s8 src0_sel:BYTE_0 src1_sel:DWORD
	v_bfrev_b32_e32 v52, 1
	s_and_saveexec_b64 s[8:9], s[10:11]
	s_cbranch_execz .LBB550_210
; %bb.207:
	s_movk_i32 s10, 0x7f
	v_and_b32_e32 v42, 0x7f, v30
	v_cmp_ne_u32_e32 vcc, s10, v42
	v_mov_b32_e32 v52, 0x7f800001
	s_and_saveexec_b64 s[10:11], vcc
	s_cbranch_execz .LBB550_209
; %bb.208:
	v_and_b32_e32 v43, 7, v30
	v_ffbh_u32_e32 v44, v43
	v_min_u32_e32 v52, 32, v44
	v_subrev_u32_e32 v44, 28, v52
	v_lshlrev_b64 v[44:45], v44, v[30:31]
	v_lshrrev_b32_e32 v51, 3, v42
	v_sub_u32_e32 v45, 29, v52
	v_and_b32_e32 v44, 7, v44
	v_cmp_gt_u32_e32 vcc, 8, v42
	v_cndmask_b32_e32 v42, v51, v45, vcc
	v_cndmask_b32_e32 v43, v43, v44, vcc
	v_lshlrev_b32_e32 v44, 24, v30
	v_bfrev_b32_e32 v45, 60
	v_lshlrev_b32_e32 v43, 20, v43
	v_and_b32_e32 v44, 0x80000000, v44
	v_lshl_add_u32 v42, v42, 23, v45
	v_or3_b32 v52, v44, v42, v43
.LBB550_209:
	s_or_b64 exec, exec, s[10:11]
.LBB550_210:
	s_or_b64 exec, exec, s[8:9]
.LBB550_211:
	s_or_b64 exec, exec, s[2:3]
	s_nop 3
	v_lshrrev_b16_e32 v42, 8, v30
	v_cmp_ne_u16_e32 vcc, 0, v42
	v_mov_b32_e32 v43, 0
	v_mov_b32_e32 v44, 0
	s_and_saveexec_b64 s[2:3], vcc
	s_cbranch_execz .LBB550_217
; %bb.212:
	s_movk_i32 s8, 0x80
	v_cmp_ne_u16_e32 vcc, s8, v42
	v_bfrev_b32_e32 v44, 1
	s_and_saveexec_b64 s[8:9], vcc
	s_cbranch_execz .LBB550_216
; %bb.213:
	s_movk_i32 s10, 0x7f
	v_and_b32_e32 v45, 0x7f, v42
	v_cmp_ne_u32_e32 vcc, s10, v45
	v_mov_b32_e32 v44, 0x7f800001
	s_and_saveexec_b64 s[10:11], vcc
	s_cbranch_execz .LBB550_215
; %bb.214:
	v_and_b32_e32 v44, 7, v42
	v_ffbh_u32_e32 v53, v44
	v_min_u32_e32 v53, 32, v53
	v_subrev_u32_e32 v54, 28, v53
	v_lshlrev_b64 v[54:55], v54, v[42:43]
	v_lshrrev_b32_e32 v51, 3, v45
	v_sub_u32_e32 v42, 29, v53
	v_and_b32_e32 v53, 7, v54
	v_cmp_gt_u32_e32 vcc, 8, v45
	v_cndmask_b32_e32 v42, v51, v42, vcc
	v_cndmask_b32_e32 v44, v44, v53, vcc
	v_lshlrev_b32_e32 v45, 16, v30
	v_bfrev_b32_e32 v51, 60
	v_lshlrev_b32_e32 v44, 20, v44
	v_and_b32_e32 v45, 0x80000000, v45
	v_lshl_add_u32 v42, v42, 23, v51
	v_or3_b32 v44, v45, v42, v44
.LBB550_215:
	s_or_b64 exec, exec, s[10:11]
.LBB550_216:
	s_or_b64 exec, exec, s[8:9]
.LBB550_217:
	s_or_b64 exec, exec, s[2:3]
	s_movk_i32 s2, 0xff
	v_and_b32_sdwa v45, v30, s2 dst_sel:DWORD dst_unused:UNUSED_PAD src0_sel:WORD_1 src1_sel:DWORD
	v_lshrrev_b32_e32 v42, 16, v30
	v_cmp_ne_u16_e32 vcc, 0, v45
	s_and_saveexec_b64 s[2:3], vcc
	s_cbranch_execz .LBB550_223
; %bb.218:
	s_movk_i32 s8, 0x80
	v_cmp_ne_u16_e32 vcc, s8, v45
	v_bfrev_b32_e32 v43, 1
	s_and_saveexec_b64 s[8:9], vcc
	s_cbranch_execz .LBB550_222
; %bb.219:
	v_bfe_u32 v45, v30, 16, 7
	s_movk_i32 s10, 0x7f
	v_cmp_ne_u32_e32 vcc, s10, v45
	v_mov_b32_e32 v43, 0x7f800001
	s_and_saveexec_b64 s[10:11], vcc
	s_cbranch_execz .LBB550_221
; %bb.220:
	v_and_b32_e32 v51, 7, v42
	v_ffbh_u32_e32 v43, v51
	v_min_u32_e32 v54, 32, v43
	v_subrev_u32_e32 v43, 28, v54
	v_lshlrev_b64 v[42:43], v43, v[42:43]
	v_lshrrev_b32_e32 v53, 3, v45
	v_sub_u32_e32 v43, 29, v54
	v_and_b32_e32 v42, 7, v42
	v_cmp_gt_u32_e32 vcc, 8, v45
	v_mov_b32_e32 v45, 24
	v_cndmask_b32_e32 v43, v53, v43, vcc
	v_cndmask_b32_e32 v42, v51, v42, vcc
	v_lshlrev_b32_sdwa v45, v45, v30 dst_sel:DWORD dst_unused:UNUSED_PAD src0_sel:DWORD src1_sel:WORD_1
	v_bfrev_b32_e32 v51, 60
	v_lshlrev_b32_e32 v42, 20, v42
	v_and_b32_e32 v45, 0x80000000, v45
	v_lshl_add_u32 v43, v43, 23, v51
	v_or3_b32 v43, v45, v43, v42
.LBB550_221:
	s_or_b64 exec, exec, s[10:11]
.LBB550_222:
	s_or_b64 exec, exec, s[8:9]
.LBB550_223:
	s_or_b64 exec, exec, s[2:3]
	s_mov_b32 s2, 0xffffff
	v_cmp_lt_u32_e32 vcc, s2, v30
	v_mov_b32_e32 v45, 0
	v_mov_b32_e32 v53, 0
	s_and_saveexec_b64 s[2:3], vcc
	s_cbranch_execz .LBB550_229
; %bb.224:
	v_lshrrev_b32_e32 v42, 24, v30
	s_movk_i32 s8, 0x80
	v_cmp_ne_u32_e32 vcc, s8, v42
	v_bfrev_b32_e32 v53, 1
	s_and_saveexec_b64 s[8:9], vcc
	s_cbranch_execz .LBB550_228
; %bb.225:
	v_bfe_u32 v30, v30, 24, 7
	s_movk_i32 s10, 0x7f
	v_cmp_ne_u32_e32 vcc, s10, v30
	v_mov_b32_e32 v53, 0x7f800001
	s_and_saveexec_b64 s[10:11], vcc
	s_cbranch_execz .LBB550_227
; %bb.226:
	v_and_b32_e32 v51, 7, v42
	v_ffbh_u32_e32 v54, v51
	v_min_u32_e32 v56, 32, v54
	v_subrev_u32_e32 v54, 28, v56
	v_lshlrev_b64 v[54:55], v54, v[42:43]
	v_lshrrev_b32_e32 v53, 3, v30
	v_sub_u32_e32 v55, 29, v56
	v_and_b32_e32 v54, 7, v54
	v_cmp_gt_u32_e32 vcc, 8, v30
	v_cndmask_b32_e32 v30, v53, v55, vcc
	v_cndmask_b32_e32 v51, v51, v54, vcc
	v_lshlrev_b32_e32 v42, 24, v42
	v_bfrev_b32_e32 v53, 60
	v_lshlrev_b32_e32 v51, 20, v51
	v_and_b32_e32 v42, 0x80000000, v42
	v_lshl_add_u32 v30, v30, 23, v53
	v_or3_b32 v53, v42, v30, v51
.LBB550_227:
	s_or_b64 exec, exec, s[10:11]
.LBB550_228:
	s_or_b64 exec, exec, s[8:9]
.LBB550_229:
	s_or_b64 exec, exec, s[2:3]
	v_cmp_ne_u16_sdwa s[8:9], v31, v45 src0_sel:BYTE_0 src1_sel:DWORD
	s_and_saveexec_b64 s[2:3], s[8:9]
	s_cbranch_execz .LBB550_235
; %bb.230:
	s_movk_i32 s8, 0x80
	v_cmp_ne_u16_sdwa s[10:11], v31, s8 src0_sel:BYTE_0 src1_sel:DWORD
	v_bfrev_b32_e32 v45, 1
	s_and_saveexec_b64 s[8:9], s[10:11]
	s_cbranch_execz .LBB550_234
; %bb.231:
	s_movk_i32 s10, 0x7f
	v_and_b32_e32 v30, 0x7f, v31
	v_cmp_ne_u32_e32 vcc, s10, v30
	v_mov_b32_e32 v45, 0x7f800001
	s_and_saveexec_b64 s[10:11], vcc
	s_cbranch_execz .LBB550_233
; %bb.232:
	v_and_b32_e32 v45, 7, v31
	v_ffbh_u32_e32 v54, v45
	v_min_u32_e32 v56, 32, v54
	v_mov_b32_e32 v42, v31
	v_subrev_u32_e32 v54, 28, v56
	v_lshlrev_b64 v[54:55], v54, v[42:43]
	v_lshrrev_b32_e32 v51, 3, v30
	v_sub_u32_e32 v42, 29, v56
	v_and_b32_e32 v54, 7, v54
	v_cmp_gt_u32_e32 vcc, 8, v30
	v_cndmask_b32_e32 v30, v51, v42, vcc
	v_cndmask_b32_e32 v42, v45, v54, vcc
	v_lshlrev_b32_e32 v45, 24, v31
	v_bfrev_b32_e32 v51, 60
	v_lshlrev_b32_e32 v42, 20, v42
	v_and_b32_e32 v45, 0x80000000, v45
	v_lshl_add_u32 v30, v30, 23, v51
	v_or3_b32 v45, v45, v30, v42
.LBB550_233:
	s_or_b64 exec, exec, s[10:11]
.LBB550_234:
	s_or_b64 exec, exec, s[8:9]
.LBB550_235:
	s_or_b64 exec, exec, s[2:3]
	v_lshrrev_b16_e32 v30, 8, v31
	v_cmp_ne_u16_e32 vcc, 0, v30
	v_mov_b32_e32 v42, 0
	v_mov_b32_e32 v54, 0
	s_and_saveexec_b64 s[2:3], vcc
	s_cbranch_execz .LBB550_241
; %bb.236:
	s_movk_i32 s8, 0x80
	v_cmp_ne_u16_e32 vcc, s8, v30
	v_bfrev_b32_e32 v54, 1
	s_and_saveexec_b64 s[8:9], vcc
	s_cbranch_execz .LBB550_240
; %bb.237:
	s_movk_i32 s10, 0x7f
	v_and_b32_e32 v51, 0x7f, v30
	v_cmp_ne_u32_e32 vcc, s10, v51
	v_mov_b32_e32 v54, 0x7f800001
	s_and_saveexec_b64 s[10:11], vcc
	s_cbranch_execz .LBB550_239
; %bb.238:
	v_and_b32_e32 v56, 7, v30
	v_ffbh_u32_e32 v54, v56
	v_min_u32_e32 v58, 32, v54
	v_subrev_u32_e32 v54, 28, v58
	v_lshlrev_b64 v[54:55], v54, v[30:31]
	v_lshrrev_b32_e32 v57, 3, v51
	v_sub_u32_e32 v30, 29, v58
	v_and_b32_e32 v54, 7, v54
	v_cmp_gt_u32_e32 vcc, 8, v51
	v_cndmask_b32_e32 v30, v57, v30, vcc
	v_cndmask_b32_e32 v51, v56, v54, vcc
	v_lshlrev_b32_e32 v54, 16, v31
	v_bfrev_b32_e32 v55, 60
	v_lshlrev_b32_e32 v51, 20, v51
	v_and_b32_e32 v54, 0x80000000, v54
	v_lshl_add_u32 v30, v30, 23, v55
	v_or3_b32 v54, v54, v30, v51
.LBB550_239:
	s_or_b64 exec, exec, s[10:11]
.LBB550_240:
	s_or_b64 exec, exec, s[8:9]
.LBB550_241:
	s_or_b64 exec, exec, s[2:3]
	s_movk_i32 s2, 0xff
	v_and_b32_sdwa v51, v31, s2 dst_sel:DWORD dst_unused:UNUSED_PAD src0_sel:WORD_1 src1_sel:DWORD
	v_lshrrev_b32_e32 v30, 16, v31
	v_cmp_ne_u16_e32 vcc, 0, v51
	s_and_saveexec_b64 s[2:3], vcc
	s_cbranch_execz .LBB550_247
; %bb.242:
	s_movk_i32 s8, 0x80
	v_cmp_ne_u16_e32 vcc, s8, v51
	v_bfrev_b32_e32 v42, 1
	s_and_saveexec_b64 s[8:9], vcc
	s_cbranch_execz .LBB550_246
; %bb.243:
	v_bfe_u32 v51, v31, 16, 7
	s_movk_i32 s10, 0x7f
	v_cmp_ne_u32_e32 vcc, s10, v51
	v_mov_b32_e32 v42, 0x7f800001
	s_and_saveexec_b64 s[10:11], vcc
	s_cbranch_execz .LBB550_245
; %bb.244:
	v_and_b32_e32 v42, 7, v30
	v_ffbh_u32_e32 v56, v42
	v_min_u32_e32 v58, 32, v56
	v_subrev_u32_e32 v56, 28, v58
	v_lshlrev_b64 v[56:57], v56, v[30:31]
	v_lshrrev_b32_e32 v55, 3, v51
	v_sub_u32_e32 v30, 29, v58
	v_and_b32_e32 v56, 7, v56
	v_cmp_gt_u32_e32 vcc, 8, v51
	v_mov_b32_e32 v51, 24
	v_cndmask_b32_e32 v30, v55, v30, vcc
	v_cndmask_b32_e32 v42, v42, v56, vcc
	v_lshlrev_b32_sdwa v51, v51, v31 dst_sel:DWORD dst_unused:UNUSED_PAD src0_sel:DWORD src1_sel:WORD_1
	v_bfrev_b32_e32 v55, 60
	v_lshlrev_b32_e32 v42, 20, v42
	v_and_b32_e32 v51, 0x80000000, v51
	v_lshl_add_u32 v30, v30, 23, v55
	v_or3_b32 v42, v51, v30, v42
.LBB550_245:
	s_or_b64 exec, exec, s[10:11]
.LBB550_246:
	s_or_b64 exec, exec, s[8:9]
.LBB550_247:
	s_or_b64 exec, exec, s[2:3]
	s_mov_b32 s2, 0xffffff
	v_cmp_lt_u32_e32 vcc, s2, v31
	v_mov_b32_e32 v51, 0
	v_mov_b32_e32 v55, 0
	s_and_saveexec_b64 s[2:3], vcc
	s_cbranch_execz .LBB550_253
; %bb.248:
	v_lshrrev_b32_e32 v30, 24, v31
	s_movk_i32 s8, 0x80
	v_cmp_ne_u32_e32 vcc, s8, v30
	v_bfrev_b32_e32 v55, 1
	s_and_saveexec_b64 s[8:9], vcc
	s_cbranch_execz .LBB550_252
; %bb.249:
	v_bfe_u32 v31, v31, 24, 7
	s_movk_i32 s10, 0x7f
	v_cmp_ne_u32_e32 vcc, s10, v31
	v_mov_b32_e32 v55, 0x7f800001
	s_and_saveexec_b64 s[10:11], vcc
	s_cbranch_execz .LBB550_251
; %bb.250:
	v_and_b32_e32 v55, 7, v30
	v_ffbh_u32_e32 v56, v55
	v_min_u32_e32 v59, 32, v56
	v_subrev_u32_e32 v56, 28, v59
	v_lshlrev_b64 v[56:57], v56, v[30:31]
	v_lshrrev_b32_e32 v58, 3, v31
	v_sub_u32_e32 v57, 29, v59
	v_and_b32_e32 v56, 7, v56
	v_cmp_gt_u32_e32 vcc, 8, v31
	v_cndmask_b32_e32 v31, v58, v57, vcc
	v_cndmask_b32_e32 v55, v55, v56, vcc
	v_lshlrev_b32_e32 v30, 24, v30
	v_bfrev_b32_e32 v56, 60
	v_lshlrev_b32_e32 v55, 20, v55
	v_and_b32_e32 v30, 0x80000000, v30
	v_lshl_add_u32 v31, v31, 23, v56
	v_or3_b32 v55, v30, v31, v55
.LBB550_251:
	s_or_b64 exec, exec, s[10:11]
.LBB550_252:
	s_or_b64 exec, exec, s[8:9]
.LBB550_253:
	s_or_b64 exec, exec, s[2:3]
	v_cvt_pkrtz_f16_f32 v30, v52, v44
	v_cvt_pkrtz_f16_f32 v31, v43, v53
	v_cmp_ne_u16_sdwa s[8:9], v32, v51 src0_sel:BYTE_0 src1_sel:DWORD
	s_nop 0
	v_mfma_f32_16x16x16f16 v[56:59], v[30:31], v[26:27], 0
	v_cvt_pkrtz_f16_f32 v30, v45, v54
	v_cvt_pkrtz_f16_f32 v31, v42, v55
	s_nop 1
	v_mfma_f32_16x16x16f16 v[42:45], v[30:31], v[28:29], v[56:59]
	s_and_saveexec_b64 s[2:3], s[8:9]
	s_cbranch_execz .LBB550_259
; %bb.254:
	s_movk_i32 s8, 0x80
	v_cmp_ne_u16_sdwa s[10:11], v32, s8 src0_sel:BYTE_0 src1_sel:DWORD
	v_bfrev_b32_e32 v51, 1
	s_and_saveexec_b64 s[8:9], s[10:11]
	s_cbranch_execz .LBB550_258
; %bb.255:
	s_movk_i32 s10, 0x7f
	v_and_b32_e32 v30, 0x7f, v32
	v_cmp_ne_u32_e32 vcc, s10, v30
	v_mov_b32_e32 v51, 0x7f800001
	s_and_saveexec_b64 s[10:11], vcc
	s_cbranch_execz .LBB550_257
; %bb.256:
	v_and_b32_e32 v31, 7, v32
	v_ffbh_u32_e32 v52, v31
	v_min_u32_e32 v54, 32, v52
	v_subrev_u32_e32 v52, 28, v54
	v_lshlrev_b64 v[52:53], v52, v[32:33]
	v_lshrrev_b32_e32 v51, 3, v30
	v_sub_u32_e32 v53, 29, v54
	v_and_b32_e32 v52, 7, v52
	v_cmp_gt_u32_e32 vcc, 8, v30
	v_cndmask_b32_e32 v30, v51, v53, vcc
	v_cndmask_b32_e32 v31, v31, v52, vcc
	v_lshlrev_b32_e32 v51, 24, v32
	v_bfrev_b32_e32 v52, 60
	v_lshlrev_b32_e32 v31, 20, v31
	v_and_b32_e32 v51, 0x80000000, v51
	v_lshl_add_u32 v30, v30, 23, v52
	v_or3_b32 v51, v51, v30, v31
.LBB550_257:
	s_or_b64 exec, exec, s[10:11]
.LBB550_258:
	s_or_b64 exec, exec, s[8:9]
.LBB550_259:
	s_or_b64 exec, exec, s[2:3]
	v_lshrrev_b16_e32 v30, 8, v32
	v_cmp_ne_u16_e32 vcc, 0, v30
	v_mov_b32_e32 v31, 0
	v_mov_b32_e32 v53, 0
	s_and_saveexec_b64 s[2:3], vcc
	s_cbranch_execz .LBB550_265
; %bb.260:
	s_movk_i32 s8, 0x80
	v_cmp_ne_u16_e32 vcc, s8, v30
	v_bfrev_b32_e32 v53, 1
	s_and_saveexec_b64 s[8:9], vcc
	s_cbranch_execz .LBB550_264
; %bb.261:
	s_movk_i32 s10, 0x7f
	v_and_b32_e32 v52, 0x7f, v30
	v_cmp_ne_u32_e32 vcc, s10, v52
	v_mov_b32_e32 v53, 0x7f800001
	s_and_saveexec_b64 s[10:11], vcc
	s_cbranch_execz .LBB550_263
; %bb.262:
	v_and_b32_e32 v53, 7, v30
	v_ffbh_u32_e32 v54, v53
	v_min_u32_e32 v57, 32, v54
	v_subrev_u32_e32 v54, 28, v57
	v_lshlrev_b64 v[54:55], v54, v[30:31]
	v_lshrrev_b32_e32 v56, 3, v52
	v_sub_u32_e32 v30, 29, v57
	v_and_b32_e32 v54, 7, v54
	v_cmp_gt_u32_e32 vcc, 8, v52
	v_cndmask_b32_e32 v30, v56, v30, vcc
	v_cndmask_b32_e32 v52, v53, v54, vcc
	v_lshlrev_b32_e32 v53, 16, v32
	v_bfrev_b32_e32 v54, 60
	v_lshlrev_b32_e32 v52, 20, v52
	v_and_b32_e32 v53, 0x80000000, v53
	v_lshl_add_u32 v30, v30, 23, v54
	v_or3_b32 v53, v53, v30, v52
.LBB550_263:
	s_or_b64 exec, exec, s[10:11]
.LBB550_264:
	s_or_b64 exec, exec, s[8:9]
.LBB550_265:
	s_or_b64 exec, exec, s[2:3]
	s_movk_i32 s2, 0xff
	v_and_b32_sdwa v52, v32, s2 dst_sel:DWORD dst_unused:UNUSED_PAD src0_sel:WORD_1 src1_sel:DWORD
	v_lshrrev_b32_e32 v30, 16, v32
	v_cmp_ne_u16_e32 vcc, 0, v52
	s_and_saveexec_b64 s[2:3], vcc
	s_cbranch_execz .LBB550_271
; %bb.266:
	s_movk_i32 s8, 0x80
	v_cmp_ne_u16_e32 vcc, s8, v52
	v_bfrev_b32_e32 v31, 1
	s_and_saveexec_b64 s[8:9], vcc
	s_cbranch_execz .LBB550_270
; %bb.267:
	v_bfe_u32 v52, v32, 16, 7
	s_movk_i32 s10, 0x7f
	v_cmp_ne_u32_e32 vcc, s10, v52
	v_mov_b32_e32 v31, 0x7f800001
	s_and_saveexec_b64 s[10:11], vcc
	s_cbranch_execz .LBB550_269
; %bb.268:
	v_and_b32_e32 v54, 7, v30
	v_ffbh_u32_e32 v31, v54
	v_min_u32_e32 v56, 32, v31
	v_subrev_u32_e32 v31, 28, v56
	v_lshlrev_b64 v[30:31], v31, v[30:31]
	v_lshrrev_b32_e32 v55, 3, v52
	v_sub_u32_e32 v31, 29, v56
	v_and_b32_e32 v30, 7, v30
	v_cmp_gt_u32_e32 vcc, 8, v52
	v_mov_b32_e32 v52, 24
	v_cndmask_b32_e32 v31, v55, v31, vcc
	v_cndmask_b32_e32 v30, v54, v30, vcc
	v_lshlrev_b32_sdwa v52, v52, v32 dst_sel:DWORD dst_unused:UNUSED_PAD src0_sel:DWORD src1_sel:WORD_1
	v_bfrev_b32_e32 v54, 60
	v_lshlrev_b32_e32 v30, 20, v30
	v_and_b32_e32 v52, 0x80000000, v52
	v_lshl_add_u32 v31, v31, 23, v54
	v_or3_b32 v31, v52, v31, v30
.LBB550_269:
	s_or_b64 exec, exec, s[10:11]
.LBB550_270:
	s_or_b64 exec, exec, s[8:9]
.LBB550_271:
	s_or_b64 exec, exec, s[2:3]
	s_mov_b32 s2, 0xffffff
	v_cmp_lt_u32_e32 vcc, s2, v32
	v_mov_b32_e32 v54, 0
	v_mov_b32_e32 v55, 0
	s_and_saveexec_b64 s[2:3], vcc
	s_cbranch_execz .LBB550_277
; %bb.272:
	v_lshrrev_b32_e32 v30, 24, v32
	s_movk_i32 s8, 0x80
	v_cmp_ne_u32_e32 vcc, s8, v30
	v_bfrev_b32_e32 v55, 1
	s_and_saveexec_b64 s[8:9], vcc
	s_cbranch_execz .LBB550_276
; %bb.273:
	v_bfe_u32 v32, v32, 24, 7
	s_movk_i32 s10, 0x7f
	v_cmp_ne_u32_e32 vcc, s10, v32
	v_mov_b32_e32 v55, 0x7f800001
	s_and_saveexec_b64 s[10:11], vcc
	s_cbranch_execz .LBB550_275
; %bb.274:
	v_and_b32_e32 v52, 7, v30
	v_ffbh_u32_e32 v56, v52
	v_min_u32_e32 v58, 32, v56
	v_subrev_u32_e32 v56, 28, v58
	v_lshlrev_b64 v[56:57], v56, v[30:31]
	v_lshrrev_b32_e32 v55, 3, v32
	v_sub_u32_e32 v57, 29, v58
	v_and_b32_e32 v56, 7, v56
	v_cmp_gt_u32_e32 vcc, 8, v32
	v_cndmask_b32_e32 v32, v55, v57, vcc
	v_cndmask_b32_e32 v52, v52, v56, vcc
	v_lshlrev_b32_e32 v30, 24, v30
	v_bfrev_b32_e32 v55, 60
	v_lshlrev_b32_e32 v52, 20, v52
	v_and_b32_e32 v30, 0x80000000, v30
	v_lshl_add_u32 v32, v32, 23, v55
	v_or3_b32 v55, v30, v32, v52
.LBB550_275:
	s_or_b64 exec, exec, s[10:11]
.LBB550_276:
	s_or_b64 exec, exec, s[8:9]
.LBB550_277:
	s_or_b64 exec, exec, s[2:3]
	v_cmp_ne_u16_sdwa s[8:9], v33, v54 src0_sel:BYTE_0 src1_sel:DWORD
	s_and_saveexec_b64 s[2:3], s[8:9]
	s_cbranch_execz .LBB550_283
; %bb.278:
	s_movk_i32 s8, 0x80
	v_cmp_ne_u16_sdwa s[10:11], v33, s8 src0_sel:BYTE_0 src1_sel:DWORD
	v_bfrev_b32_e32 v54, 1
	s_and_saveexec_b64 s[8:9], s[10:11]
	s_cbranch_execz .LBB550_282
; %bb.279:
	s_movk_i32 s10, 0x7f
	v_and_b32_e32 v30, 0x7f, v33
	v_cmp_ne_u32_e32 vcc, s10, v30
	v_mov_b32_e32 v54, 0x7f800001
	s_and_saveexec_b64 s[10:11], vcc
	s_cbranch_execz .LBB550_281
; %bb.280:
	v_and_b32_e32 v52, 7, v33
	v_ffbh_u32_e32 v56, v52
	v_min_u32_e32 v58, 32, v56
	v_mov_b32_e32 v32, v33
	v_subrev_u32_e32 v56, 28, v58
	v_lshlrev_b64 v[56:57], v56, v[32:33]
	v_lshrrev_b32_e32 v54, 3, v30
	v_sub_u32_e32 v32, 29, v58
	v_and_b32_e32 v56, 7, v56
	v_cmp_gt_u32_e32 vcc, 8, v30
	v_cndmask_b32_e32 v30, v54, v32, vcc
	v_cndmask_b32_e32 v32, v52, v56, vcc
	v_lshlrev_b32_e32 v52, 24, v33
	v_bfrev_b32_e32 v54, 60
	v_lshlrev_b32_e32 v32, 20, v32
	v_and_b32_e32 v52, 0x80000000, v52
	v_lshl_add_u32 v30, v30, 23, v54
	v_or3_b32 v54, v52, v30, v32
.LBB550_281:
	s_or_b64 exec, exec, s[10:11]
.LBB550_282:
	s_or_b64 exec, exec, s[8:9]
.LBB550_283:
	s_or_b64 exec, exec, s[2:3]
	v_lshrrev_b16_e32 v30, 8, v33
	v_cmp_ne_u16_e32 vcc, 0, v30
	v_mov_b32_e32 v32, 0
	v_mov_b32_e32 v56, 0
	s_and_saveexec_b64 s[2:3], vcc
	s_cbranch_execz .LBB550_289
; %bb.284:
	s_movk_i32 s8, 0x80
	v_cmp_ne_u16_e32 vcc, s8, v30
	v_bfrev_b32_e32 v56, 1
	s_and_saveexec_b64 s[8:9], vcc
	s_cbranch_execz .LBB550_288
; %bb.285:
	s_movk_i32 s10, 0x7f
	v_and_b32_e32 v52, 0x7f, v30
	v_cmp_ne_u32_e32 vcc, s10, v52
	v_mov_b32_e32 v56, 0x7f800001
	s_and_saveexec_b64 s[10:11], vcc
	s_cbranch_execz .LBB550_287
; %bb.286:
	v_and_b32_e32 v58, 7, v30
	v_ffbh_u32_e32 v56, v58
	v_min_u32_e32 v60, 32, v56
	v_subrev_u32_e32 v56, 28, v60
	v_lshlrev_b64 v[56:57], v56, v[30:31]
	v_lshrrev_b32_e32 v59, 3, v52
	v_sub_u32_e32 v30, 29, v60
	v_and_b32_e32 v56, 7, v56
	v_cmp_gt_u32_e32 vcc, 8, v52
	v_cndmask_b32_e32 v30, v59, v30, vcc
	v_cndmask_b32_e32 v52, v58, v56, vcc
	v_lshlrev_b32_e32 v56, 16, v33
	v_bfrev_b32_e32 v57, 60
	v_lshlrev_b32_e32 v52, 20, v52
	v_and_b32_e32 v56, 0x80000000, v56
	v_lshl_add_u32 v30, v30, 23, v57
	v_or3_b32 v56, v56, v30, v52
.LBB550_287:
	s_or_b64 exec, exec, s[10:11]
.LBB550_288:
	s_or_b64 exec, exec, s[8:9]
.LBB550_289:
	s_or_b64 exec, exec, s[2:3]
	s_movk_i32 s2, 0xff
	v_and_b32_sdwa v52, v33, s2 dst_sel:DWORD dst_unused:UNUSED_PAD src0_sel:WORD_1 src1_sel:DWORD
	v_lshrrev_b32_e32 v30, 16, v33
	v_cmp_ne_u16_e32 vcc, 0, v52
	s_and_saveexec_b64 s[2:3], vcc
	s_cbranch_execz .LBB550_295
; %bb.290:
	s_movk_i32 s8, 0x80
	v_cmp_ne_u16_e32 vcc, s8, v52
	v_bfrev_b32_e32 v32, 1
	s_and_saveexec_b64 s[8:9], vcc
	s_cbranch_execz .LBB550_294
; %bb.291:
	v_bfe_u32 v52, v33, 16, 7
	s_movk_i32 s10, 0x7f
	v_cmp_ne_u32_e32 vcc, s10, v52
	v_mov_b32_e32 v32, 0x7f800001
	s_and_saveexec_b64 s[10:11], vcc
	s_cbranch_execz .LBB550_293
; %bb.292:
	v_and_b32_e32 v32, 7, v30
	v_ffbh_u32_e32 v58, v32
	v_min_u32_e32 v60, 32, v58
	v_subrev_u32_e32 v58, 28, v60
	v_lshlrev_b64 v[58:59], v58, v[30:31]
	v_lshrrev_b32_e32 v57, 3, v52
	v_sub_u32_e32 v30, 29, v60
	v_and_b32_e32 v58, 7, v58
	v_cmp_gt_u32_e32 vcc, 8, v52
	v_mov_b32_e32 v52, 24
	v_cndmask_b32_e32 v30, v57, v30, vcc
	v_cndmask_b32_e32 v32, v32, v58, vcc
	v_lshlrev_b32_sdwa v52, v52, v33 dst_sel:DWORD dst_unused:UNUSED_PAD src0_sel:DWORD src1_sel:WORD_1
	v_bfrev_b32_e32 v57, 60
	v_lshlrev_b32_e32 v32, 20, v32
	v_and_b32_e32 v52, 0x80000000, v52
	v_lshl_add_u32 v30, v30, 23, v57
	v_or3_b32 v32, v52, v30, v32
.LBB550_293:
	s_or_b64 exec, exec, s[10:11]
.LBB550_294:
	s_or_b64 exec, exec, s[8:9]
.LBB550_295:
	s_or_b64 exec, exec, s[2:3]
	s_mov_b32 s2, 0xffffff
	v_cmp_lt_u32_e32 vcc, s2, v33
	v_mov_b32_e32 v52, 0
	v_mov_b32_e32 v57, 0
	s_and_saveexec_b64 s[2:3], vcc
	s_cbranch_execz .LBB550_301
; %bb.296:
	v_lshrrev_b32_e32 v30, 24, v33
	s_movk_i32 s8, 0x80
	v_cmp_ne_u32_e32 vcc, s8, v30
	v_bfrev_b32_e32 v57, 1
	s_and_saveexec_b64 s[8:9], vcc
	s_cbranch_execz .LBB550_300
; %bb.297:
	v_bfe_u32 v33, v33, 24, 7
	s_movk_i32 s10, 0x7f
	v_cmp_ne_u32_e32 vcc, s10, v33
	v_mov_b32_e32 v57, 0x7f800001
	s_and_saveexec_b64 s[10:11], vcc
	s_cbranch_execz .LBB550_299
; %bb.298:
	v_and_b32_e32 v57, 7, v30
	v_ffbh_u32_e32 v58, v57
	v_min_u32_e32 v61, 32, v58
	v_subrev_u32_e32 v58, 28, v61
	v_lshlrev_b64 v[58:59], v58, v[30:31]
	v_lshrrev_b32_e32 v60, 3, v33
	v_sub_u32_e32 v59, 29, v61
	v_and_b32_e32 v58, 7, v58
	v_cmp_gt_u32_e32 vcc, 8, v33
	v_cndmask_b32_e32 v33, v60, v59, vcc
	v_cndmask_b32_e32 v57, v57, v58, vcc
	v_lshlrev_b32_e32 v30, 24, v30
	v_bfrev_b32_e32 v58, 60
	v_lshlrev_b32_e32 v57, 20, v57
	v_and_b32_e32 v30, 0x80000000, v30
	v_lshl_add_u32 v33, v33, 23, v58
	v_or3_b32 v57, v30, v33, v57
.LBB550_299:
	s_or_b64 exec, exec, s[10:11]
.LBB550_300:
	s_or_b64 exec, exec, s[8:9]
.LBB550_301:
	s_or_b64 exec, exec, s[2:3]
	v_cvt_pkrtz_f16_f32 v30, v51, v53
	v_cvt_pkrtz_f16_f32 v31, v31, v55
	v_cmp_ne_u16_sdwa s[8:9], v22, v52 src0_sel:BYTE_0 src1_sel:DWORD
	s_nop 0
	v_mfma_f32_16x16x16f16 v[42:45], v[30:31], v[18:19], v[42:45]
	v_cvt_pkrtz_f16_f32 v30, v54, v56
	v_cvt_pkrtz_f16_f32 v31, v32, v57
	s_nop 1
	v_mfma_f32_16x16x16f16 v[30:33], v[30:31], v[20:21], v[42:45]
	s_and_saveexec_b64 s[2:3], s[8:9]
	s_cbranch_execz .LBB550_307
; %bb.302:
	s_movk_i32 s8, 0x80
	v_cmp_ne_u16_sdwa s[10:11], v22, s8 src0_sel:BYTE_0 src1_sel:DWORD
	v_bfrev_b32_e32 v52, 1
	s_and_saveexec_b64 s[8:9], s[10:11]
	s_cbranch_execz .LBB550_306
; %bb.303:
	s_movk_i32 s10, 0x7f
	v_and_b32_e32 v42, 0x7f, v22
	v_cmp_ne_u32_e32 vcc, s10, v42
	v_mov_b32_e32 v52, 0x7f800001
	s_and_saveexec_b64 s[10:11], vcc
	s_cbranch_execz .LBB550_305
; %bb.304:
	v_and_b32_e32 v43, 7, v22
	v_ffbh_u32_e32 v44, v43
	v_min_u32_e32 v52, 32, v44
	v_subrev_u32_e32 v44, 28, v52
	v_lshlrev_b64 v[44:45], v44, v[22:23]
	v_lshrrev_b32_e32 v51, 3, v42
	v_sub_u32_e32 v45, 29, v52
	v_and_b32_e32 v44, 7, v44
	v_cmp_gt_u32_e32 vcc, 8, v42
	v_cndmask_b32_e32 v42, v51, v45, vcc
	v_cndmask_b32_e32 v43, v43, v44, vcc
	v_lshlrev_b32_e32 v44, 24, v22
	v_bfrev_b32_e32 v45, 60
	v_lshlrev_b32_e32 v43, 20, v43
	v_and_b32_e32 v44, 0x80000000, v44
	v_lshl_add_u32 v42, v42, 23, v45
	v_or3_b32 v52, v44, v42, v43
.LBB550_305:
	s_or_b64 exec, exec, s[10:11]
.LBB550_306:
	s_or_b64 exec, exec, s[8:9]
.LBB550_307:
	s_or_b64 exec, exec, s[2:3]
	s_nop 3
	v_lshrrev_b16_e32 v42, 8, v22
	v_cmp_ne_u16_e32 vcc, 0, v42
	v_mov_b32_e32 v43, 0
	v_mov_b32_e32 v44, 0
	s_and_saveexec_b64 s[2:3], vcc
	s_cbranch_execz .LBB550_313
; %bb.308:
	s_movk_i32 s8, 0x80
	v_cmp_ne_u16_e32 vcc, s8, v42
	v_bfrev_b32_e32 v44, 1
	s_and_saveexec_b64 s[8:9], vcc
	s_cbranch_execz .LBB550_312
; %bb.309:
	s_movk_i32 s10, 0x7f
	v_and_b32_e32 v45, 0x7f, v42
	v_cmp_ne_u32_e32 vcc, s10, v45
	v_mov_b32_e32 v44, 0x7f800001
	s_and_saveexec_b64 s[10:11], vcc
	s_cbranch_execz .LBB550_311
; %bb.310:
	v_and_b32_e32 v44, 7, v42
	v_ffbh_u32_e32 v53, v44
	v_min_u32_e32 v53, 32, v53
	v_subrev_u32_e32 v54, 28, v53
	v_lshlrev_b64 v[54:55], v54, v[42:43]
	v_lshrrev_b32_e32 v51, 3, v45
	v_sub_u32_e32 v42, 29, v53
	v_and_b32_e32 v53, 7, v54
	v_cmp_gt_u32_e32 vcc, 8, v45
	v_cndmask_b32_e32 v42, v51, v42, vcc
	v_cndmask_b32_e32 v44, v44, v53, vcc
	v_lshlrev_b32_e32 v45, 16, v22
	v_bfrev_b32_e32 v51, 60
	v_lshlrev_b32_e32 v44, 20, v44
	v_and_b32_e32 v45, 0x80000000, v45
	v_lshl_add_u32 v42, v42, 23, v51
	v_or3_b32 v44, v45, v42, v44
.LBB550_311:
	s_or_b64 exec, exec, s[10:11]
.LBB550_312:
	s_or_b64 exec, exec, s[8:9]
.LBB550_313:
	s_or_b64 exec, exec, s[2:3]
	s_movk_i32 s2, 0xff
	v_and_b32_sdwa v45, v22, s2 dst_sel:DWORD dst_unused:UNUSED_PAD src0_sel:WORD_1 src1_sel:DWORD
	v_lshrrev_b32_e32 v42, 16, v22
	v_cmp_ne_u16_e32 vcc, 0, v45
	s_and_saveexec_b64 s[2:3], vcc
	s_cbranch_execz .LBB550_319
; %bb.314:
	s_movk_i32 s8, 0x80
	v_cmp_ne_u16_e32 vcc, s8, v45
	v_bfrev_b32_e32 v43, 1
	s_and_saveexec_b64 s[8:9], vcc
	s_cbranch_execz .LBB550_318
; %bb.315:
	v_bfe_u32 v45, v22, 16, 7
	s_movk_i32 s10, 0x7f
	v_cmp_ne_u32_e32 vcc, s10, v45
	v_mov_b32_e32 v43, 0x7f800001
	s_and_saveexec_b64 s[10:11], vcc
	s_cbranch_execz .LBB550_317
; %bb.316:
	v_and_b32_e32 v51, 7, v42
	v_ffbh_u32_e32 v43, v51
	v_min_u32_e32 v54, 32, v43
	v_subrev_u32_e32 v43, 28, v54
	v_lshlrev_b64 v[42:43], v43, v[42:43]
	v_lshrrev_b32_e32 v53, 3, v45
	v_sub_u32_e32 v43, 29, v54
	v_and_b32_e32 v42, 7, v42
	v_cmp_gt_u32_e32 vcc, 8, v45
	v_mov_b32_e32 v45, 24
	v_cndmask_b32_e32 v43, v53, v43, vcc
	v_cndmask_b32_e32 v42, v51, v42, vcc
	v_lshlrev_b32_sdwa v45, v45, v22 dst_sel:DWORD dst_unused:UNUSED_PAD src0_sel:DWORD src1_sel:WORD_1
	v_bfrev_b32_e32 v51, 60
	v_lshlrev_b32_e32 v42, 20, v42
	v_and_b32_e32 v45, 0x80000000, v45
	v_lshl_add_u32 v43, v43, 23, v51
	v_or3_b32 v43, v45, v43, v42
.LBB550_317:
	s_or_b64 exec, exec, s[10:11]
.LBB550_318:
	s_or_b64 exec, exec, s[8:9]
.LBB550_319:
	s_or_b64 exec, exec, s[2:3]
	s_mov_b32 s2, 0xffffff
	v_cmp_lt_u32_e32 vcc, s2, v22
	v_mov_b32_e32 v45, 0
	v_mov_b32_e32 v51, 0
	s_and_saveexec_b64 s[2:3], vcc
	s_cbranch_execz .LBB550_325
; %bb.320:
	v_lshrrev_b32_e32 v42, 24, v22
	s_movk_i32 s8, 0x80
	v_cmp_ne_u32_e32 vcc, s8, v42
	v_bfrev_b32_e32 v51, 1
	s_and_saveexec_b64 s[8:9], vcc
	s_cbranch_execz .LBB550_324
; %bb.321:
	v_bfe_u32 v22, v22, 24, 7
	s_movk_i32 s10, 0x7f
	v_cmp_ne_u32_e32 vcc, s10, v22
	v_mov_b32_e32 v51, 0x7f800001
	s_and_saveexec_b64 s[10:11], vcc
	s_cbranch_execz .LBB550_323
; %bb.322:
	v_and_b32_e32 v51, 7, v42
	v_ffbh_u32_e32 v54, v51
	v_min_u32_e32 v56, 32, v54
	v_subrev_u32_e32 v54, 28, v56
	v_lshlrev_b64 v[54:55], v54, v[42:43]
	v_lshrrev_b32_e32 v53, 3, v22
	v_sub_u32_e32 v55, 29, v56
	v_and_b32_e32 v54, 7, v54
	v_cmp_gt_u32_e32 vcc, 8, v22
	v_cndmask_b32_e32 v22, v53, v55, vcc
	v_cndmask_b32_e32 v51, v51, v54, vcc
	v_lshlrev_b32_e32 v42, 24, v42
	v_bfrev_b32_e32 v53, 60
	v_lshlrev_b32_e32 v51, 20, v51
	v_and_b32_e32 v42, 0x80000000, v42
	v_lshl_add_u32 v22, v22, 23, v53
	v_or3_b32 v51, v42, v22, v51
.LBB550_323:
	s_or_b64 exec, exec, s[10:11]
.LBB550_324:
	s_or_b64 exec, exec, s[8:9]
.LBB550_325:
	s_or_b64 exec, exec, s[2:3]
	v_cmp_ne_u16_sdwa s[8:9], v23, v45 src0_sel:BYTE_0 src1_sel:DWORD
	s_and_saveexec_b64 s[2:3], s[8:9]
	s_cbranch_execz .LBB550_331
; %bb.326:
	s_movk_i32 s8, 0x80
	v_cmp_ne_u16_sdwa s[10:11], v23, s8 src0_sel:BYTE_0 src1_sel:DWORD
	v_bfrev_b32_e32 v45, 1
	s_and_saveexec_b64 s[8:9], s[10:11]
	s_cbranch_execz .LBB550_330
; %bb.327:
	s_movk_i32 s10, 0x7f
	v_and_b32_e32 v22, 0x7f, v23
	v_cmp_ne_u32_e32 vcc, s10, v22
	v_mov_b32_e32 v45, 0x7f800001
	s_and_saveexec_b64 s[10:11], vcc
	s_cbranch_execz .LBB550_329
; %bb.328:
	v_and_b32_e32 v45, 7, v23
	v_ffbh_u32_e32 v54, v45
	v_min_u32_e32 v56, 32, v54
	v_mov_b32_e32 v42, v23
	v_subrev_u32_e32 v54, 28, v56
	v_lshlrev_b64 v[54:55], v54, v[42:43]
	v_lshrrev_b32_e32 v53, 3, v22
	v_sub_u32_e32 v42, 29, v56
	v_and_b32_e32 v54, 7, v54
	v_cmp_gt_u32_e32 vcc, 8, v22
	v_cndmask_b32_e32 v22, v53, v42, vcc
	v_cndmask_b32_e32 v42, v45, v54, vcc
	v_lshlrev_b32_e32 v45, 24, v23
	v_bfrev_b32_e32 v53, 60
	v_lshlrev_b32_e32 v42, 20, v42
	v_and_b32_e32 v45, 0x80000000, v45
	v_lshl_add_u32 v22, v22, 23, v53
	v_or3_b32 v45, v45, v22, v42
.LBB550_329:
	s_or_b64 exec, exec, s[10:11]
.LBB550_330:
	s_or_b64 exec, exec, s[8:9]
.LBB550_331:
	s_or_b64 exec, exec, s[2:3]
	v_lshrrev_b16_e32 v22, 8, v23
	v_cmp_ne_u16_e32 vcc, 0, v22
	v_mov_b32_e32 v53, 0
	v_mov_b32_e32 v54, 0
	s_and_saveexec_b64 s[2:3], vcc
	s_cbranch_execz .LBB550_337
; %bb.332:
	s_movk_i32 s8, 0x80
	v_cmp_ne_u16_e32 vcc, s8, v22
	v_bfrev_b32_e32 v54, 1
	s_and_saveexec_b64 s[8:9], vcc
	s_cbranch_execz .LBB550_336
; %bb.333:
	s_movk_i32 s10, 0x7f
	v_and_b32_e32 v42, 0x7f, v22
	v_cmp_ne_u32_e32 vcc, s10, v42
	v_mov_b32_e32 v54, 0x7f800001
	s_and_saveexec_b64 s[10:11], vcc
	s_cbranch_execz .LBB550_335
; %bb.334:
	v_and_b32_e32 v56, 7, v22
	v_ffbh_u32_e32 v54, v56
	v_min_u32_e32 v58, 32, v54
	v_subrev_u32_e32 v54, 28, v58
	v_lshlrev_b64 v[54:55], v54, v[22:23]
	v_lshrrev_b32_e32 v57, 3, v42
	v_sub_u32_e32 v22, 29, v58
	v_and_b32_e32 v54, 7, v54
	v_cmp_gt_u32_e32 vcc, 8, v42
	v_cndmask_b32_e32 v22, v57, v22, vcc
	v_cndmask_b32_e32 v42, v56, v54, vcc
	v_lshlrev_b32_e32 v54, 16, v23
	v_bfrev_b32_e32 v55, 60
	v_lshlrev_b32_e32 v42, 20, v42
	v_and_b32_e32 v54, 0x80000000, v54
	v_lshl_add_u32 v22, v22, 23, v55
	v_or3_b32 v54, v54, v22, v42
.LBB550_335:
	s_or_b64 exec, exec, s[10:11]
.LBB550_336:
	s_or_b64 exec, exec, s[8:9]
.LBB550_337:
	s_or_b64 exec, exec, s[2:3]
	s_movk_i32 s2, 0xff
	v_and_b32_sdwa v42, v23, s2 dst_sel:DWORD dst_unused:UNUSED_PAD src0_sel:WORD_1 src1_sel:DWORD
	v_lshrrev_b32_e32 v22, 16, v23
	v_cmp_ne_u16_e32 vcc, 0, v42
	s_and_saveexec_b64 s[2:3], vcc
	s_cbranch_execz .LBB550_343
; %bb.338:
	s_movk_i32 s8, 0x80
	v_cmp_ne_u16_e32 vcc, s8, v42
	v_bfrev_b32_e32 v53, 1
	s_and_saveexec_b64 s[8:9], vcc
	s_cbranch_execz .LBB550_342
; %bb.339:
	v_bfe_u32 v42, v23, 16, 7
	s_movk_i32 s10, 0x7f
	v_cmp_ne_u32_e32 vcc, s10, v42
	v_mov_b32_e32 v53, 0x7f800001
	s_and_saveexec_b64 s[10:11], vcc
	s_cbranch_execz .LBB550_341
; %bb.340:
	v_and_b32_e32 v53, 7, v22
	v_ffbh_u32_e32 v56, v53
	v_min_u32_e32 v58, 32, v56
	v_subrev_u32_e32 v56, 28, v58
	v_lshlrev_b64 v[56:57], v56, v[22:23]
	v_and_b32_e32 v56, 7, v56
	v_cmp_gt_u32_e32 vcc, 8, v42
	v_lshrrev_b32_e32 v55, 3, v42
	v_sub_u32_e32 v22, 29, v58
	v_cndmask_b32_e32 v42, v53, v56, vcc
	v_mov_b32_e32 v53, 24
	v_cndmask_b32_e32 v22, v55, v22, vcc
	v_lshlrev_b32_sdwa v53, v53, v23 dst_sel:DWORD dst_unused:UNUSED_PAD src0_sel:DWORD src1_sel:WORD_1
	v_bfrev_b32_e32 v55, 60
	v_lshlrev_b32_e32 v42, 20, v42
	v_and_b32_e32 v53, 0x80000000, v53
	v_lshl_add_u32 v22, v22, 23, v55
	v_or3_b32 v53, v53, v22, v42
.LBB550_341:
	s_or_b64 exec, exec, s[10:11]
.LBB550_342:
	s_or_b64 exec, exec, s[8:9]
.LBB550_343:
	s_or_b64 exec, exec, s[2:3]
	s_mov_b32 s2, 0xffffff
	v_cmp_lt_u32_e32 vcc, s2, v23
	v_mov_b32_e32 v42, 0
	v_mov_b32_e32 v55, 0
	s_and_saveexec_b64 s[2:3], vcc
	s_cbranch_execz .LBB550_349
; %bb.344:
	v_lshrrev_b32_e32 v22, 24, v23
	s_movk_i32 s8, 0x80
	v_cmp_ne_u32_e32 vcc, s8, v22
	v_bfrev_b32_e32 v55, 1
	s_and_saveexec_b64 s[8:9], vcc
	s_cbranch_execz .LBB550_348
; %bb.345:
	v_bfe_u32 v23, v23, 24, 7
	s_movk_i32 s10, 0x7f
	v_cmp_ne_u32_e32 vcc, s10, v23
	v_mov_b32_e32 v55, 0x7f800001
	s_and_saveexec_b64 s[10:11], vcc
	s_cbranch_execz .LBB550_347
; %bb.346:
	v_and_b32_e32 v55, 7, v22
	v_ffbh_u32_e32 v56, v55
	v_min_u32_e32 v59, 32, v56
	v_subrev_u32_e32 v56, 28, v59
	v_lshlrev_b64 v[56:57], v56, v[22:23]
	v_lshrrev_b32_e32 v58, 3, v23
	v_sub_u32_e32 v57, 29, v59
	v_and_b32_e32 v56, 7, v56
	v_cmp_gt_u32_e32 vcc, 8, v23
	v_cndmask_b32_e32 v23, v58, v57, vcc
	v_cndmask_b32_e32 v55, v55, v56, vcc
	v_lshlrev_b32_e32 v22, 24, v22
	v_bfrev_b32_e32 v56, 60
	v_lshlrev_b32_e32 v55, 20, v55
	v_and_b32_e32 v22, 0x80000000, v22
	v_lshl_add_u32 v23, v23, 23, v56
	v_or3_b32 v55, v22, v23, v55
.LBB550_347:
	s_or_b64 exec, exec, s[10:11]
.LBB550_348:
	s_or_b64 exec, exec, s[8:9]
.LBB550_349:
	s_or_b64 exec, exec, s[2:3]
	v_cvt_pkrtz_f16_f32 v22, v52, v44
	v_cvt_pkrtz_f16_f32 v23, v43, v51
	v_cmp_ne_u16_sdwa s[8:9], v24, v42 src0_sel:BYTE_0 src1_sel:DWORD
	s_nop 0
	v_mfma_f32_16x16x16f16 v[56:59], v[22:23], v[26:27], 0
	v_cvt_pkrtz_f16_f32 v22, v45, v54
	v_cvt_pkrtz_f16_f32 v23, v53, v55
	s_nop 1
	v_mfma_f32_16x16x16f16 v[26:29], v[22:23], v[28:29], v[56:59]
	s_and_saveexec_b64 s[2:3], s[8:9]
	s_cbranch_execz .LBB550_355
; %bb.350:
	s_movk_i32 s8, 0x80
	v_cmp_ne_u16_sdwa s[10:11], v24, s8 src0_sel:BYTE_0 src1_sel:DWORD
	v_bfrev_b32_e32 v42, 1
	s_and_saveexec_b64 s[8:9], s[10:11]
	s_cbranch_execz .LBB550_354
; %bb.351:
	s_movk_i32 s10, 0x7f
	v_and_b32_e32 v22, 0x7f, v24
	v_cmp_ne_u32_e32 vcc, s10, v22
	v_mov_b32_e32 v42, 0x7f800001
	s_and_saveexec_b64 s[10:11], vcc
	s_cbranch_execz .LBB550_353
; %bb.352:
	v_and_b32_e32 v23, 7, v24
	v_ffbh_u32_e32 v42, v23
	v_min_u32_e32 v45, 32, v42
	v_subrev_u32_e32 v42, 28, v45
	v_lshlrev_b64 v[42:43], v42, v[24:25]
	v_lshrrev_b32_e32 v44, 3, v22
	v_sub_u32_e32 v43, 29, v45
	v_and_b32_e32 v42, 7, v42
	v_cmp_gt_u32_e32 vcc, 8, v22
	v_cndmask_b32_e32 v22, v44, v43, vcc
	v_cndmask_b32_e32 v23, v23, v42, vcc
	v_lshlrev_b32_e32 v42, 24, v24
	v_bfrev_b32_e32 v43, 60
	v_lshlrev_b32_e32 v23, 20, v23
	v_and_b32_e32 v42, 0x80000000, v42
	v_lshl_add_u32 v22, v22, 23, v43
	v_or3_b32 v42, v42, v22, v23
.LBB550_353:
	s_or_b64 exec, exec, s[10:11]
.LBB550_354:
	s_or_b64 exec, exec, s[8:9]
.LBB550_355:
	s_or_b64 exec, exec, s[2:3]
	v_lshrrev_b16_e32 v22, 8, v24
	v_cmp_ne_u16_e32 vcc, 0, v22
	v_mov_b32_e32 v23, 0
	v_mov_b32_e32 v43, 0
	s_and_saveexec_b64 s[2:3], vcc
	s_cbranch_execz .LBB550_361
; %bb.356:
	s_movk_i32 s8, 0x80
	v_cmp_ne_u16_e32 vcc, s8, v22
	v_bfrev_b32_e32 v43, 1
	s_and_saveexec_b64 s[8:9], vcc
	s_cbranch_execz .LBB550_360
; %bb.357:
	s_movk_i32 s10, 0x7f
	v_and_b32_e32 v44, 0x7f, v22
	v_cmp_ne_u32_e32 vcc, s10, v44
	v_mov_b32_e32 v43, 0x7f800001
	s_and_saveexec_b64 s[10:11], vcc
	s_cbranch_execz .LBB550_359
; %bb.358:
	v_and_b32_e32 v43, 7, v22
	v_ffbh_u32_e32 v51, v43
	v_min_u32_e32 v51, 32, v51
	v_subrev_u32_e32 v52, 28, v51
	v_lshlrev_b64 v[52:53], v52, v[22:23]
	v_lshrrev_b32_e32 v45, 3, v44
	v_sub_u32_e32 v22, 29, v51
	v_and_b32_e32 v51, 7, v52
	v_cmp_gt_u32_e32 vcc, 8, v44
	v_cndmask_b32_e32 v22, v45, v22, vcc
	v_cndmask_b32_e32 v43, v43, v51, vcc
	v_lshlrev_b32_e32 v44, 16, v24
	v_bfrev_b32_e32 v45, 60
	v_lshlrev_b32_e32 v43, 20, v43
	v_and_b32_e32 v44, 0x80000000, v44
	v_lshl_add_u32 v22, v22, 23, v45
	v_or3_b32 v43, v44, v22, v43
.LBB550_359:
	s_or_b64 exec, exec, s[10:11]
.LBB550_360:
	s_or_b64 exec, exec, s[8:9]
.LBB550_361:
	s_or_b64 exec, exec, s[2:3]
	s_movk_i32 s2, 0xff
	v_and_b32_sdwa v44, v24, s2 dst_sel:DWORD dst_unused:UNUSED_PAD src0_sel:WORD_1 src1_sel:DWORD
	v_lshrrev_b32_e32 v22, 16, v24
	v_cmp_ne_u16_e32 vcc, 0, v44
	s_and_saveexec_b64 s[2:3], vcc
	s_cbranch_execz .LBB550_367
; %bb.362:
	s_movk_i32 s8, 0x80
	v_cmp_ne_u16_e32 vcc, s8, v44
	v_bfrev_b32_e32 v23, 1
	s_and_saveexec_b64 s[8:9], vcc
	s_cbranch_execz .LBB550_366
; %bb.363:
	v_bfe_u32 v44, v24, 16, 7
	s_movk_i32 s10, 0x7f
	v_cmp_ne_u32_e32 vcc, s10, v44
	v_mov_b32_e32 v23, 0x7f800001
	s_and_saveexec_b64 s[10:11], vcc
	s_cbranch_execz .LBB550_365
; %bb.364:
	v_and_b32_e32 v45, 7, v22
	v_ffbh_u32_e32 v23, v45
	v_min_u32_e32 v52, 32, v23
	v_subrev_u32_e32 v23, 28, v52
	v_lshlrev_b64 v[22:23], v23, v[22:23]
	v_lshrrev_b32_e32 v51, 3, v44
	v_sub_u32_e32 v23, 29, v52
	v_and_b32_e32 v22, 7, v22
	v_cmp_gt_u32_e32 vcc, 8, v44
	v_mov_b32_e32 v44, 24
	v_cndmask_b32_e32 v23, v51, v23, vcc
	v_cndmask_b32_e32 v22, v45, v22, vcc
	v_lshlrev_b32_sdwa v44, v44, v24 dst_sel:DWORD dst_unused:UNUSED_PAD src0_sel:DWORD src1_sel:WORD_1
	v_bfrev_b32_e32 v45, 60
	v_lshlrev_b32_e32 v22, 20, v22
	v_and_b32_e32 v44, 0x80000000, v44
	v_lshl_add_u32 v23, v23, 23, v45
	v_or3_b32 v23, v44, v23, v22
.LBB550_365:
	s_or_b64 exec, exec, s[10:11]
.LBB550_366:
	s_or_b64 exec, exec, s[8:9]
.LBB550_367:
	s_or_b64 exec, exec, s[2:3]
	s_mov_b32 s2, 0xffffff
	v_cmp_lt_u32_e32 vcc, s2, v24
	v_mov_b32_e32 v45, 0
	v_mov_b32_e32 v51, 0
	s_and_saveexec_b64 s[2:3], vcc
	s_cbranch_execz .LBB550_373
; %bb.368:
	v_lshrrev_b32_e32 v22, 24, v24
	s_movk_i32 s8, 0x80
	v_cmp_ne_u32_e32 vcc, s8, v22
	v_bfrev_b32_e32 v51, 1
	s_and_saveexec_b64 s[8:9], vcc
	s_cbranch_execz .LBB550_372
; %bb.369:
	v_bfe_u32 v24, v24, 24, 7
	s_movk_i32 s10, 0x7f
	v_cmp_ne_u32_e32 vcc, s10, v24
	v_mov_b32_e32 v51, 0x7f800001
	s_and_saveexec_b64 s[10:11], vcc
	s_cbranch_execz .LBB550_371
; %bb.370:
	v_and_b32_e32 v44, 7, v22
	v_ffbh_u32_e32 v52, v44
	v_min_u32_e32 v54, 32, v52
	v_subrev_u32_e32 v52, 28, v54
	v_lshlrev_b64 v[52:53], v52, v[22:23]
	v_lshrrev_b32_e32 v51, 3, v24
	v_sub_u32_e32 v53, 29, v54
	v_and_b32_e32 v52, 7, v52
	v_cmp_gt_u32_e32 vcc, 8, v24
	v_cndmask_b32_e32 v24, v51, v53, vcc
	v_cndmask_b32_e32 v44, v44, v52, vcc
	v_lshlrev_b32_e32 v22, 24, v22
	v_bfrev_b32_e32 v51, 60
	v_lshlrev_b32_e32 v44, 20, v44
	v_and_b32_e32 v22, 0x80000000, v22
	v_lshl_add_u32 v24, v24, 23, v51
	v_or3_b32 v51, v22, v24, v44
.LBB550_371:
	s_or_b64 exec, exec, s[10:11]
.LBB550_372:
	s_or_b64 exec, exec, s[8:9]
.LBB550_373:
	s_or_b64 exec, exec, s[2:3]
	v_cmp_ne_u16_sdwa s[8:9], v25, v45 src0_sel:BYTE_0 src1_sel:DWORD
	s_and_saveexec_b64 s[2:3], s[8:9]
	s_cbranch_execz .LBB550_379
; %bb.374:
	s_movk_i32 s8, 0x80
	v_cmp_ne_u16_sdwa s[10:11], v25, s8 src0_sel:BYTE_0 src1_sel:DWORD
	v_bfrev_b32_e32 v45, 1
	s_and_saveexec_b64 s[8:9], s[10:11]
	s_cbranch_execz .LBB550_378
; %bb.375:
	s_movk_i32 s10, 0x7f
	v_and_b32_e32 v22, 0x7f, v25
	v_cmp_ne_u32_e32 vcc, s10, v22
	v_mov_b32_e32 v45, 0x7f800001
	s_and_saveexec_b64 s[10:11], vcc
	s_cbranch_execz .LBB550_377
; %bb.376:
	v_and_b32_e32 v52, 7, v25
	v_ffbh_u32_e32 v44, v52
	v_min_u32_e32 v54, 32, v44
	v_mov_b32_e32 v24, v25
	v_subrev_u32_e32 v44, 28, v54
	v_lshlrev_b64 v[44:45], v44, v[24:25]
	v_lshrrev_b32_e32 v53, 3, v22
	v_sub_u32_e32 v24, 29, v54
	v_and_b32_e32 v44, 7, v44
	v_cmp_gt_u32_e32 vcc, 8, v22
	v_cndmask_b32_e32 v22, v53, v24, vcc
	v_cndmask_b32_e32 v24, v52, v44, vcc
	v_lshlrev_b32_e32 v44, 24, v25
	v_bfrev_b32_e32 v45, 60
	v_lshlrev_b32_e32 v24, 20, v24
	v_and_b32_e32 v44, 0x80000000, v44
	v_lshl_add_u32 v22, v22, 23, v45
	v_or3_b32 v45, v44, v22, v24
.LBB550_377:
	s_or_b64 exec, exec, s[10:11]
.LBB550_378:
	s_or_b64 exec, exec, s[8:9]
.LBB550_379:
	s_or_b64 exec, exec, s[2:3]
	v_lshrrev_b16_e32 v22, 8, v25
	v_cmp_ne_u16_e32 vcc, 0, v22
	v_mov_b32_e32 v52, 0
	v_mov_b32_e32 v53, 0
	s_and_saveexec_b64 s[2:3], vcc
	s_cbranch_execz .LBB550_385
; %bb.380:
	s_movk_i32 s8, 0x80
	v_cmp_ne_u16_e32 vcc, s8, v22
	v_bfrev_b32_e32 v53, 1
	s_and_saveexec_b64 s[8:9], vcc
	s_cbranch_execz .LBB550_384
; %bb.381:
	s_movk_i32 s10, 0x7f
	v_and_b32_e32 v24, 0x7f, v22
	v_cmp_ne_u32_e32 vcc, s10, v24
	v_mov_b32_e32 v53, 0x7f800001
	s_and_saveexec_b64 s[10:11], vcc
	s_cbranch_execz .LBB550_383
; %bb.382:
	v_and_b32_e32 v44, 7, v22
	v_ffbh_u32_e32 v54, v44
	v_min_u32_e32 v56, 32, v54
	v_subrev_u32_e32 v54, 28, v56
	v_lshlrev_b64 v[54:55], v54, v[22:23]
	v_lshrrev_b32_e32 v53, 3, v24
	v_sub_u32_e32 v22, 29, v56
	v_and_b32_e32 v54, 7, v54
	v_cmp_gt_u32_e32 vcc, 8, v24
	v_cndmask_b32_e32 v22, v53, v22, vcc
	v_cndmask_b32_e32 v24, v44, v54, vcc
	v_lshlrev_b32_e32 v44, 16, v25
	v_bfrev_b32_e32 v53, 60
	v_lshlrev_b32_e32 v24, 20, v24
	v_and_b32_e32 v44, 0x80000000, v44
	v_lshl_add_u32 v22, v22, 23, v53
	v_or3_b32 v53, v44, v22, v24
.LBB550_383:
	s_or_b64 exec, exec, s[10:11]
.LBB550_384:
	s_or_b64 exec, exec, s[8:9]
.LBB550_385:
	s_or_b64 exec, exec, s[2:3]
	s_movk_i32 s2, 0xff
	v_and_b32_sdwa v24, v25, s2 dst_sel:DWORD dst_unused:UNUSED_PAD src0_sel:WORD_1 src1_sel:DWORD
	v_lshrrev_b32_e32 v22, 16, v25
	v_cmp_ne_u16_e32 vcc, 0, v24
	s_and_saveexec_b64 s[2:3], vcc
	s_cbranch_execz .LBB550_391
; %bb.386:
	s_movk_i32 s8, 0x80
	v_cmp_ne_u16_e32 vcc, s8, v24
	v_bfrev_b32_e32 v52, 1
	s_and_saveexec_b64 s[8:9], vcc
	s_cbranch_execz .LBB550_390
; %bb.387:
	v_bfe_u32 v24, v25, 16, 7
	s_movk_i32 s10, 0x7f
	v_cmp_ne_u32_e32 vcc, s10, v24
	v_mov_b32_e32 v52, 0x7f800001
	s_and_saveexec_b64 s[10:11], vcc
	s_cbranch_execz .LBB550_389
; %bb.388:
	v_and_b32_e32 v44, 7, v22
	v_ffbh_u32_e32 v54, v44
	v_min_u32_e32 v56, 32, v54
	v_subrev_u32_e32 v54, 28, v56
	v_lshlrev_b64 v[54:55], v54, v[22:23]
	v_and_b32_e32 v54, 7, v54
	v_cmp_gt_u32_e32 vcc, 8, v24
	v_lshrrev_b32_e32 v52, 3, v24
	v_sub_u32_e32 v22, 29, v56
	v_cndmask_b32_e32 v24, v44, v54, vcc
	v_mov_b32_e32 v44, 24
	v_cndmask_b32_e32 v22, v52, v22, vcc
	v_lshlrev_b32_sdwa v44, v44, v25 dst_sel:DWORD dst_unused:UNUSED_PAD src0_sel:DWORD src1_sel:WORD_1
	v_bfrev_b32_e32 v52, 60
	v_lshlrev_b32_e32 v24, 20, v24
	v_and_b32_e32 v44, 0x80000000, v44
	v_lshl_add_u32 v22, v22, 23, v52
	v_or3_b32 v52, v44, v22, v24
.LBB550_389:
	s_or_b64 exec, exec, s[10:11]
.LBB550_390:
	s_or_b64 exec, exec, s[8:9]
.LBB550_391:
	s_or_b64 exec, exec, s[2:3]
	s_mov_b32 s2, 0xffffff
	v_and_b32_e32 v44, 63, v0
	v_cmp_lt_u32_e32 vcc, s2, v25
	v_mov_b32_e32 v54, 0
	s_and_saveexec_b64 s[2:3], vcc
	s_cbranch_execz .LBB550_397
; %bb.392:
	v_lshrrev_b32_e32 v22, 24, v25
	s_movk_i32 s8, 0x80
	v_cmp_ne_u32_e32 vcc, s8, v22
	v_bfrev_b32_e32 v54, 1
	s_and_saveexec_b64 s[8:9], vcc
	s_cbranch_execz .LBB550_396
; %bb.393:
	v_bfe_u32 v24, v25, 24, 7
	s_movk_i32 s10, 0x7f
	v_cmp_ne_u32_e32 vcc, s10, v24
	v_mov_b32_e32 v54, 0x7f800001
	s_and_saveexec_b64 s[10:11], vcc
	s_cbranch_execz .LBB550_395
; %bb.394:
	v_and_b32_e32 v25, 7, v22
	v_ffbh_u32_e32 v54, v25
	v_min_u32_e32 v57, 32, v54
	v_subrev_u32_e32 v54, 28, v57
	v_lshlrev_b64 v[54:55], v54, v[22:23]
	v_lshrrev_b32_e32 v56, 3, v24
	v_sub_u32_e32 v55, 29, v57
	v_and_b32_e32 v54, 7, v54
	v_cmp_gt_u32_e32 vcc, 8, v24
	v_cndmask_b32_e32 v24, v56, v55, vcc
	v_cndmask_b32_e32 v25, v25, v54, vcc
	v_lshlrev_b32_e32 v22, 24, v22
	v_bfrev_b32_e32 v54, 60
	v_lshlrev_b32_e32 v25, 20, v25
	v_and_b32_e32 v22, 0x80000000, v22
	v_lshl_add_u32 v24, v24, 23, v54
	v_or3_b32 v54, v22, v24, v25
.LBB550_395:
	s_or_b64 exec, exec, s[10:11]
.LBB550_396:
	s_or_b64 exec, exec, s[8:9]
.LBB550_397:
	s_or_b64 exec, exec, s[2:3]
	v_cvt_pkrtz_f16_f32 v42, v42, v43
	v_cvt_pkrtz_f16_f32 v43, v23, v51
	s_load_dword s2, s[4:5], 0x1c
	s_mov_b32 s46, 0xff7fffff
	s_waitcnt lgkmcnt(0)
	v_mfma_f32_16x16x16f16 v[26:29], v[42:43], v[18:19], v[26:29]
	v_cvt_pkrtz_f16_f32 v18, v45, v53
	v_cvt_pkrtz_f16_f32 v19, v52, v54
	v_mov_b32_e32 v22, s2
	v_mul_f32_e32 v56, s12, v22
	v_pk_mul_f32 v[22:23], v[56:57], v[32:33] op_sel_hi:[0,1]
	v_pk_mul_f32 v[32:33], v[56:57], v[38:39] op_sel_hi:[0,1]
	v_and_b32_e32 v38, 0xc0, v0
	v_mfma_f32_16x16x16f16 v[26:29], v[18:19], v[20:21], v[26:29]
	v_add_u32_e32 v38, s18, v38
	v_lshl_or_b32 v38, v1, 2, v38
	v_or_b32_e32 v39, 1, v38
	v_pk_mul_f32 v[24:25], v[56:57], v[30:31] op_sel_hi:[0,1]
	v_pk_mul_f32 v[30:31], v[56:57], v[40:41] op_sel_hi:[0,1]
	v_subrev_u32_e32 v40, s33, v39
	v_pk_mul_f32 v[34:35], v[56:57], v[34:35] op_sel_hi:[0,1]
	s_nop 3
	v_pk_mul_f32 v[20:21], v[56:57], v[26:27] op_sel_hi:[0,1]
	v_add_u32_e32 v27, 1, v40
	v_pk_mul_f32 v[18:19], v[56:57], v[28:29] op_sel_hi:[0,1]
	v_cvt_f32_i32_e32 v27, v27
	v_add_u32_e32 v29, 3, v40
	v_cvt_f32_i32_e32 v29, v29
	v_cvt_f32_i32_e32 v26, v40
	v_pk_mul_f32 v[36:37], v[56:57], v[36:37] op_sel_hi:[0,1]
	v_fmac_f32_e32 v35, v50, v27
	v_add_u32_e32 v27, 16, v40
	v_fmac_f32_e32 v37, v50, v29
	v_cvt_f32_i32_e32 v27, v27
	v_add_u32_e32 v29, 17, v40
	v_fma_f32 v26, v50, v26, v34
	v_cvt_f32_i32_e32 v29, v29
	v_add_u32_e32 v34, 18, v40
	v_cvt_f32_i32_e32 v34, v34
	v_fma_f32 v41, v50, v27, v32
	v_add_u32_e32 v27, 32, v40
	v_fmac_f32_e32 v33, v50, v29
	v_cvt_f32_i32_e32 v27, v27
	v_add_u32_e32 v29, 33, v40
	v_add_u32_e32 v32, 34, v40
	v_fma_f32 v30, v50, v34, v30
	v_cvt_f32_i32_e32 v29, v29
	v_cvt_f32_i32_e32 v32, v32
	v_add_u32_e32 v34, 35, v40
	v_cvt_f32_i32_e32 v34, v34
	v_fma_f32 v24, v50, v27, v24
	v_add_u32_e32 v27, 48, v40
	v_fmac_f32_e32 v25, v50, v29
	v_fma_f32 v22, v50, v32, v22
	v_cvt_f32_i32_e32 v27, v27
	v_add_u32_e32 v29, 49, v40
	v_add_u32_e32 v32, 50, v40
	v_fmac_f32_e32 v23, v50, v34
	v_cvt_f32_i32_e32 v29, v29
	v_cvt_f32_i32_e32 v32, v32
	v_add_u32_e32 v34, 51, v40
	v_add_u32_e32 v28, 2, v40
	v_cvt_f32_i32_e32 v34, v34
	v_cvt_f32_i32_e32 v28, v28
	v_fma_f32 v20, v50, v27, v20
	v_mov_b32_e32 v27, 0xff7fffff
	v_cmp_gt_i32_e64 s[26:27], s33, v38
	v_cmp_gt_i32_e64 s[28:29], s33, v39
	v_fmac_f32_e32 v21, v50, v29
	v_fma_f32 v18, v50, v32, v18
	v_cndmask_b32_e64 v29, v27, v26, s[26:27]
	v_cndmask_b32_e64 v32, v27, v35, s[28:29]
	v_fmac_f32_e32 v19, v50, v34
	v_max3_f32 v29, v29, s46, v32
	v_or_b32_e32 v32, 2, v38
	v_or_b32_e32 v34, 3, v38
	v_fma_f32 v28, v50, v28, v36
	v_cmp_gt_i32_e64 s[30:31], s33, v32
	v_cmp_gt_i32_e64 s[34:35], s33, v34
	v_add_u32_e32 v36, 19, v40
	v_cndmask_b32_e64 v32, v27, v28, s[30:31]
	v_cndmask_b32_e64 v34, v27, v37, s[34:35]
	v_cvt_f32_i32_e32 v36, v36
	v_max3_f32 v29, v29, v32, v34
	v_or_b32_e32 v32, 16, v38
	v_or_b32_e32 v34, 17, v38
	v_cmp_gt_i32_e64 s[36:37], s33, v32
	v_cmp_gt_i32_e64 s[38:39], s33, v34
	v_cndmask_b32_e64 v32, v27, v41, s[36:37]
	v_cndmask_b32_e64 v34, v27, v33, s[38:39]
	v_max3_f32 v29, v29, v32, v34
	v_or_b32_e32 v32, 18, v38
	v_or_b32_e32 v34, 19, v38
	v_fmac_f32_e32 v31, v50, v36
	v_cmp_gt_i32_e64 s[20:21], s33, v32
	v_cmp_gt_i32_e64 s[22:23], s33, v34
	v_cndmask_b32_e64 v32, v27, v30, s[20:21]
	v_cndmask_b32_e64 v34, v27, v31, s[22:23]
	v_max3_f32 v29, v29, v32, v34
	v_or_b32_e32 v32, 32, v38
	v_or_b32_e32 v34, 33, v38
	v_cmp_gt_i32_e64 s[16:17], s33, v32
	v_cmp_gt_i32_e64 s[18:19], s33, v34
	v_cndmask_b32_e64 v32, v27, v24, s[16:17]
	v_cndmask_b32_e64 v34, v27, v25, s[18:19]
	v_max3_f32 v29, v29, v32, v34
	v_or_b32_e32 v32, 34, v38
	v_or_b32_e32 v34, 35, v38
	;; [unrolled: 7-line block ×4, first 2 shown]
	v_cmp_gt_i32_e32 vcc, s33, v32
	v_cmp_gt_i32_e64 s[2:3], s33, v34
	v_cndmask_b32_e32 v32, v27, v18, vcc
	v_cndmask_b32_e64 v27, v27, v19, s[2:3]
	v_max3_f32 v27, v29, v32, v27
	v_mbcnt_lo_u32_b32 v29, -1, 0
	v_mbcnt_hi_u32_b32 v29, -1, v29
	v_and_b32_e32 v32, 64, v29
	v_add_u32_e32 v32, 64, v32
	v_xor_b32_e32 v34, 32, v29
	v_cmp_lt_i32_e64 s[40:41], v34, v32
	v_cndmask_b32_e64 v34, v29, v34, s[40:41]
	v_lshlrev_b32_e32 v36, 2, v34
	ds_bpermute_b32 v34, v36, v27
	s_barrier
	s_waitcnt lgkmcnt(0)
	v_max_f32_e32 v34, v34, v34
	v_max_f32_e32 v27, v27, v34
	v_xor_b32_e32 v34, 16, v29
	v_cmp_lt_i32_e64 s[40:41], v34, v32
	v_cndmask_b32_e64 v29, v29, v34, s[40:41]
	v_lshlrev_b32_e32 v38, 2, v29
	ds_bpermute_b32 v29, v38, v27
	s_waitcnt lgkmcnt(0)
	v_max_f32_e32 v29, v29, v29
	v_max_f32_e32 v32, v27, v29
	v_sub_f32_e32 v26, v26, v32
	v_mul_f32_e32 v26, 0x3fb8aa3b, v26
	v_sub_f32_e32 v27, v35, v32
	v_exp_f32_e32 v26, v26
	v_mul_f32_e32 v27, 0x3fb8aa3b, v27
	v_sub_f32_e32 v28, v28, v32
	v_exp_f32_e32 v27, v27
	v_mul_f32_e32 v28, 0x3fb8aa3b, v28
	v_exp_f32_e32 v28, v28
	v_cndmask_b32_e64 v26, 0, v26, s[26:27]
	v_sub_f32_e32 v34, v37, v32
	v_add_f32_e32 v29, 0, v26
	v_cndmask_b32_e64 v27, 0, v27, s[28:29]
	v_mul_f32_e32 v34, 0x3fb8aa3b, v34
	v_exp_f32_e32 v35, v34
	v_add_f32_e32 v29, v29, v27
	v_cndmask_b32_e64 v34, 0, v28, s[30:31]
	v_add_f32_e32 v28, v29, v34
	v_sub_f32_e32 v29, v41, v32
	v_mul_f32_e32 v29, 0x3fb8aa3b, v29
	v_sub_f32_e32 v33, v33, v32
	v_exp_f32_e32 v29, v29
	v_mul_f32_e32 v33, 0x3fb8aa3b, v33
	v_sub_f32_e32 v30, v30, v32
	v_exp_f32_e32 v33, v33
	v_mul_f32_e32 v30, 0x3fb8aa3b, v30
	v_sub_f32_e32 v31, v31, v32
	v_exp_f32_e32 v30, v30
	v_mul_f32_e32 v31, 0x3fb8aa3b, v31
	v_sub_f32_e32 v24, v24, v32
	v_cndmask_b32_e64 v35, 0, v35, s[34:35]
	v_exp_f32_e32 v31, v31
	v_mul_f32_e32 v24, 0x3fb8aa3b, v24
	v_sub_f32_e32 v25, v25, v32
	v_add_f32_e32 v37, v28, v35
	v_cndmask_b32_e64 v28, 0, v29, s[36:37]
	v_exp_f32_e32 v24, v24
	v_mul_f32_e32 v25, 0x3fb8aa3b, v25
	v_sub_f32_e32 v22, v22, v32
	v_add_f32_e32 v37, v37, v28
	;; [unrolled: 5-line block ×7, first 2 shown]
	v_cndmask_b32_e64 v22, 0, v22, s[12:13]
	v_exp_f32_e32 v18, v18
	v_mul_f32_e32 v19, 0x3fb8aa3b, v19
	v_add_f32_e32 v33, v33, v22
	v_cndmask_b32_e64 v23, 0, v23, s[14:15]
	v_exp_f32_e32 v19, v19
	v_add_f32_e32 v33, v33, v23
	v_cndmask_b32_e64 v20, 0, v20, s[8:9]
	v_add_f32_e32 v33, v33, v20
	v_cndmask_b32_e64 v21, 0, v21, s[10:11]
	v_add_f32_e32 v33, v33, v21
	v_cndmask_b32_e32 v18, 0, v18, vcc
	v_add_f32_e32 v33, v33, v18
	v_cndmask_b32_e64 v19, 0, v19, s[2:3]
	v_add_f32_e32 v33, v33, v19
	ds_bpermute_b32 v36, v36, v33
	v_cmp_gt_u32_e64 s[2:3], 16, v44
	s_waitcnt lgkmcnt(0)
	v_add_f32_e32 v33, v33, v36
	ds_bpermute_b32 v37, v38, v33
	v_lshlrev_b32_e32 v36, 2, v48
	s_and_saveexec_b64 s[8:9], s[2:3]
	s_cbranch_execz .LBB550_399
; %bb.398:
	s_waitcnt lgkmcnt(0)
	v_add_f32_e32 v33, v33, v37
	v_lshl_or_b32 v37, v49, 6, v36
	ds_write2st64_b32 v37, v32, v33 offset1:1
.LBB550_399:
	s_or_b64 exec, exec, s[8:9]
	s_waitcnt lgkmcnt(0)
	s_barrier
	ds_read2_b32 v[38:39], v36 offset1:16
	ds_read2_b32 v[40:41], v36 offset0:32 offset1:48
	ds_read2_b32 v[42:43], v36 offset0:64 offset1:80
	s_mul_i32 s14, s45, 9
	s_waitcnt lgkmcnt(2)
	v_max3_f32 v32, v38, s46, v39
	s_waitcnt lgkmcnt(1)
	v_max3_f32 v33, v32, v40, v41
	v_sub_f32_e32 v32, v38, v33
	v_mul_f32_e32 v32, 0x3fb8aa3b, v32
	v_exp_f32_e32 v37, v32
	v_sub_f32_e32 v32, v39, v33
	v_mul_f32_e32 v32, 0x3fb8aa3b, v32
	v_exp_f32_e32 v44, v32
	;; [unrolled: 3-line block ×3, first 2 shown]
	ds_read2_b32 v[38:39], v36 offset0:96 offset1:112
	v_sub_f32_e32 v32, v41, v33
	v_mul_f32_e32 v32, 0x3fb8aa3b, v32
	v_exp_f32_e32 v41, v32
	s_waitcnt lgkmcnt(1)
	v_fma_f32 v36, v37, v42, 0
	v_fmac_f32_e32 v36, v44, v43
	s_waitcnt lgkmcnt(0)
	v_fmac_f32_e32 v36, v40, v38
	v_fmac_f32_e32 v36, v41, v39
	v_add_f32_e32 v38, 0x358637bd, v36
	v_div_scale_f32 v39, s[8:9], v38, v38, 1.0
	v_rcp_f32_e32 v42, v39
	s_barrier
	v_fma_f32 v43, -v39, v42, 1.0
	v_fmac_f32_e32 v42, v43, v42
	v_div_scale_f32 v43, vcc, 1.0, v38, 1.0
	v_mul_f32_e32 v45, v43, v42
	v_fma_f32 v50, -v39, v45, v43
	v_fmac_f32_e32 v45, v50, v42
	v_fma_f32 v39, -v39, v45, v43
	v_div_fmas_f32 v39, v39, v42, v45
	v_cmp_eq_u32_e32 vcc, 1, v49
	v_cndmask_b32_e32 v37, v37, v44, vcc
	v_cmp_eq_u32_e32 vcc, 2, v49
	v_cndmask_b32_e32 v37, v37, v40, vcc
	v_cmp_eq_u32_e32 vcc, 3, v49
	v_div_fixup_f32 v38, v39, v38, 1.0
	v_cndmask_b32_e32 v37, v37, v41, vcc
	v_mul_f32_e32 v38, v37, v38
	v_pk_mul_f32 v[34:35], v[38:39], v[34:35] op_sel_hi:[0,1]
	v_pk_mul_f32 v[26:27], v[38:39], v[26:27] op_sel_hi:[0,1]
	v_cvt_f16_f32_e32 v26, v26
	v_cvt_f16_f32_e32 v27, v27
	;; [unrolled: 1-line block ×4, first 2 shown]
	v_pk_mul_f32 v[30:31], v[38:39], v[30:31] op_sel_hi:[0,1]
	v_pk_mul_f32 v[28:29], v[38:39], v[28:29] op_sel_hi:[0,1]
	v_cvt_f16_f32_e32 v28, v28
	v_cvt_f16_f32_e32 v29, v29
	;; [unrolled: 1-line block ×4, first 2 shown]
	v_pack_b32_f16 v34, v26, v27
	v_pack_b32_f16 v35, v37, v35
	v_lshlrev_b32_e32 v26, 3, v1
	v_lshlrev_b32_e32 v27, 5, v48
	;; [unrolled: 1-line block ×3, first 2 shown]
	v_or3_b32 v26, v37, v27, v26
	v_pack_b32_f16 v28, v28, v29
	v_pack_b32_f16 v29, v30, v31
	v_pk_mul_f32 v[22:23], v[38:39], v[22:23] op_sel_hi:[0,1]
	v_pk_mul_f32 v[24:25], v[38:39], v[24:25] op_sel_hi:[0,1]
	;; [unrolled: 1-line block ×4, first 2 shown]
	ds_write2st64_b64 v26, v[34:35], v[28:29] offset1:1
	v_cvt_f16_f32_e32 v24, v24
	v_cvt_f16_f32_e32 v25, v25
	;; [unrolled: 1-line block ×8, first 2 shown]
	v_mov_b32_e32 v32, 0
	v_pack_b32_f16 v18, v24, v25
	v_pack_b32_f16 v19, v22, v23
	;; [unrolled: 1-line block ×4, first 2 shown]
	v_cmp_gt_u32_e32 vcc, 9, v0
	ds_write2st64_b64 v26, v[18:19], v[20:21] offset0:2 offset1:3
	s_and_saveexec_b64 s[8:9], vcc
	s_cbranch_execz .LBB550_401
; %bb.400:
	v_add_co_u32_e32 v20, vcc, s25, v48
	v_addc_co_u32_e64 v21, s[10:11], 0, 0, vcc
	v_mov_b32_e32 v18, s14
	v_mov_b32_e32 v19, 0
	v_mad_u64_u32 v[20:21], s[10:11], s6, v18, v[20:21]
	v_mov_b32_e32 v18, s24
	s_load_dwordx4 s[16:19], s[4:5], 0x58
	s_mul_i32 s7, s7, s14
	v_mad_u64_u32 v[18:19], s[10:11], v20, s44, v[18:19]
	v_add_u32_e32 v21, s7, v21
	v_mov_b32_e32 v20, v19
	v_mad_u64_u32 v[20:21], s[10:11], v21, s44, v[20:21]
	v_mov_b32_e32 v19, v20
	v_lshlrev_b64 v[18:19], 2, v[18:19]
	s_waitcnt lgkmcnt(0)
	v_mov_b32_e32 v21, s19
	v_add_co_u32_e32 v20, vcc, s18, v18
	v_addc_co_u32_e32 v21, vcc, v21, v19, vcc
	global_store_dword v[20:21], v33, off
	v_mov_b32_e32 v20, s17
	v_add_co_u32_e32 v18, vcc, s16, v18
	v_addc_co_u32_e32 v19, vcc, v20, v19, vcc
	global_store_dword v[18:19], v36, off
.LBB550_401:
	s_or_b64 exec, exec, s[8:9]
	v_mov_b32_e32 v19, 0
	s_waitcnt vmcnt(3)
	v_cmp_ne_u16_sdwa s[10:11], v14, v19 src0_sel:BYTE_0 src1_sel:DWORD
	s_waitcnt lgkmcnt(0)
	s_barrier
	s_and_saveexec_b64 s[8:9], s[10:11]
	s_cbranch_execz .LBB550_407
; %bb.402:
	s_movk_i32 s7, 0x80
	v_cmp_ne_u16_sdwa s[12:13], v14, s7 src0_sel:BYTE_0 src1_sel:DWORD
	v_bfrev_b32_e32 v32, 1
	s_and_saveexec_b64 s[10:11], s[12:13]
	s_cbranch_execz .LBB550_406
; %bb.403:
	s_movk_i32 s7, 0x7f
	v_and_b32_e32 v18, 0x7f, v14
	v_cmp_ne_u32_e32 vcc, s7, v18
	v_mov_b32_e32 v32, 0x7f800001
	s_and_saveexec_b64 s[12:13], vcc
	s_cbranch_execz .LBB550_405
; %bb.404:
	v_and_b32_e32 v22, 7, v14
	v_ffbh_u32_e32 v20, v22
	v_min_u32_e32 v24, 32, v20
	v_subrev_u32_e32 v20, 28, v24
	v_lshlrev_b64 v[20:21], v20, v[14:15]
	v_lshrrev_b32_e32 v23, 3, v18
	v_sub_u32_e32 v21, 29, v24
	v_and_b32_e32 v20, 7, v20
	v_cmp_gt_u32_e32 vcc, 8, v18
	v_cndmask_b32_e32 v18, v23, v21, vcc
	v_cndmask_b32_e32 v20, v22, v20, vcc
	v_lshlrev_b32_e32 v21, 24, v14
	v_bfrev_b32_e32 v22, 60
	v_lshlrev_b32_e32 v20, 20, v20
	v_and_b32_e32 v21, 0x80000000, v21
	v_lshl_add_u32 v18, v18, 23, v22
	v_or3_b32 v32, v21, v18, v20
.LBB550_405:
	s_or_b64 exec, exec, s[12:13]
.LBB550_406:
	s_or_b64 exec, exec, s[10:11]
.LBB550_407:
	s_or_b64 exec, exec, s[8:9]
	v_lshrrev_b16_e32 v18, 8, v14
	v_cmp_ne_u16_e32 vcc, 0, v18
	v_mov_b32_e32 v20, 0
	s_and_saveexec_b64 s[8:9], vcc
	s_cbranch_execz .LBB550_413
; %bb.408:
	s_movk_i32 s7, 0x80
	v_cmp_ne_u16_e32 vcc, s7, v18
	v_bfrev_b32_e32 v20, 1
	s_and_saveexec_b64 s[10:11], vcc
	s_cbranch_execz .LBB550_412
; %bb.409:
	s_movk_i32 s7, 0x7f
	v_and_b32_e32 v21, 0x7f, v18
	v_cmp_ne_u32_e32 vcc, s7, v21
	v_mov_b32_e32 v20, 0x7f800001
	s_and_saveexec_b64 s[12:13], vcc
	s_cbranch_execz .LBB550_411
; %bb.410:
	v_and_b32_e32 v20, 7, v18
	v_ffbh_u32_e32 v22, v20
	v_min_u32_e32 v25, 32, v22
	v_subrev_u32_e32 v22, 28, v25
	v_lshlrev_b64 v[22:23], v22, v[18:19]
	v_lshrrev_b32_e32 v24, 3, v21
	v_sub_u32_e32 v18, 29, v25
	v_and_b32_e32 v22, 7, v22
	v_cmp_gt_u32_e32 vcc, 8, v21
	v_cndmask_b32_e32 v18, v24, v18, vcc
	v_cndmask_b32_e32 v20, v20, v22, vcc
	v_lshlrev_b32_e32 v21, 16, v14
	v_bfrev_b32_e32 v22, 60
	v_lshlrev_b32_e32 v20, 20, v20
	v_and_b32_e32 v21, 0x80000000, v21
	v_lshl_add_u32 v18, v18, 23, v22
	v_or3_b32 v20, v21, v18, v20
.LBB550_411:
	s_or_b64 exec, exec, s[12:13]
.LBB550_412:
	s_or_b64 exec, exec, s[10:11]
.LBB550_413:
	s_or_b64 exec, exec, s[8:9]
	s_movk_i32 s7, 0xff
	v_and_b32_sdwa v21, v14, s7 dst_sel:DWORD dst_unused:UNUSED_PAD src0_sel:WORD_1 src1_sel:DWORD
	v_lshrrev_b32_e32 v18, 16, v14
	v_cmp_ne_u16_e32 vcc, 0, v21
	s_and_saveexec_b64 s[8:9], vcc
	s_cbranch_execz .LBB550_419
; %bb.414:
	s_movk_i32 s7, 0x80
	v_cmp_ne_u16_e32 vcc, s7, v21
	v_bfrev_b32_e32 v19, 1
	s_and_saveexec_b64 s[10:11], vcc
	s_cbranch_execz .LBB550_418
; %bb.415:
	v_bfe_u32 v21, v14, 16, 7
	s_movk_i32 s7, 0x7f
	v_cmp_ne_u32_e32 vcc, s7, v21
	v_mov_b32_e32 v19, 0x7f800001
	s_and_saveexec_b64 s[12:13], vcc
	s_cbranch_execz .LBB550_417
; %bb.416:
	v_and_b32_e32 v22, 7, v18
	v_ffbh_u32_e32 v19, v22
	v_min_u32_e32 v24, 32, v19
	v_subrev_u32_e32 v19, 28, v24
	v_lshlrev_b64 v[18:19], v19, v[18:19]
	v_lshrrev_b32_e32 v23, 3, v21
	v_sub_u32_e32 v19, 29, v24
	v_and_b32_e32 v18, 7, v18
	v_cmp_gt_u32_e32 vcc, 8, v21
	v_mov_b32_e32 v21, 24
	v_cndmask_b32_e32 v19, v23, v19, vcc
	v_cndmask_b32_e32 v18, v22, v18, vcc
	v_lshlrev_b32_sdwa v21, v21, v14 dst_sel:DWORD dst_unused:UNUSED_PAD src0_sel:DWORD src1_sel:WORD_1
	v_bfrev_b32_e32 v22, 60
	v_lshlrev_b32_e32 v18, 20, v18
	v_and_b32_e32 v21, 0x80000000, v21
	v_lshl_add_u32 v19, v19, 23, v22
	v_or3_b32 v19, v21, v19, v18
.LBB550_417:
	s_or_b64 exec, exec, s[12:13]
.LBB550_418:
	s_or_b64 exec, exec, s[10:11]
.LBB550_419:
	s_or_b64 exec, exec, s[8:9]
	s_mov_b32 s7, 0xffffff
	v_cmp_lt_u32_e32 vcc, s7, v14
	v_mov_b32_e32 v21, 0
	v_mov_b32_e32 v22, 0
	s_and_saveexec_b64 s[8:9], vcc
	s_cbranch_execz .LBB550_425
; %bb.420:
	v_lshrrev_b32_e32 v18, 24, v14
	s_movk_i32 s7, 0x80
	v_cmp_ne_u32_e32 vcc, s7, v18
	v_bfrev_b32_e32 v22, 1
	s_and_saveexec_b64 s[10:11], vcc
	s_cbranch_execz .LBB550_424
; %bb.421:
	v_bfe_u32 v14, v14, 24, 7
	s_movk_i32 s7, 0x7f
	v_cmp_ne_u32_e32 vcc, s7, v14
	v_mov_b32_e32 v22, 0x7f800001
	s_and_saveexec_b64 s[12:13], vcc
	s_cbranch_execz .LBB550_423
; %bb.422:
	v_and_b32_e32 v24, 7, v18
	v_ffbh_u32_e32 v22, v24
	v_min_u32_e32 v28, 32, v22
	v_subrev_u32_e32 v22, 28, v28
	v_lshlrev_b64 v[22:23], v22, v[18:19]
	v_lshrrev_b32_e32 v25, 3, v14
	v_sub_u32_e32 v23, 29, v28
	v_and_b32_e32 v22, 7, v22
	v_cmp_gt_u32_e32 vcc, 8, v14
	v_cndmask_b32_e32 v14, v25, v23, vcc
	v_cndmask_b32_e32 v22, v24, v22, vcc
	v_lshlrev_b32_e32 v18, 24, v18
	v_bfrev_b32_e32 v23, 60
	v_lshlrev_b32_e32 v22, 20, v22
	v_and_b32_e32 v18, 0x80000000, v18
	v_lshl_add_u32 v14, v14, 23, v23
	v_or3_b32 v22, v18, v14, v22
.LBB550_423:
	s_or_b64 exec, exec, s[12:13]
.LBB550_424:
	s_or_b64 exec, exec, s[10:11]
.LBB550_425:
	s_or_b64 exec, exec, s[8:9]
	v_cmp_ne_u16_sdwa s[10:11], v15, v21 src0_sel:BYTE_0 src1_sel:DWORD
	s_and_saveexec_b64 s[8:9], s[10:11]
	s_cbranch_execz .LBB550_431
; %bb.426:
	s_movk_i32 s7, 0x80
	v_cmp_ne_u16_sdwa s[12:13], v15, s7 src0_sel:BYTE_0 src1_sel:DWORD
	v_bfrev_b32_e32 v21, 1
	s_and_saveexec_b64 s[10:11], s[12:13]
	s_cbranch_execz .LBB550_430
; %bb.427:
	s_movk_i32 s7, 0x7f
	v_and_b32_e32 v14, 0x7f, v15
	v_cmp_ne_u32_e32 vcc, s7, v14
	v_mov_b32_e32 v21, 0x7f800001
	s_and_saveexec_b64 s[12:13], vcc
	s_cbranch_execz .LBB550_429
; %bb.428:
	v_and_b32_e32 v21, 7, v15
	v_ffbh_u32_e32 v24, v21
	v_min_u32_e32 v28, 32, v24
	v_mov_b32_e32 v18, v15
	v_subrev_u32_e32 v24, 28, v28
	v_lshlrev_b64 v[24:25], v24, v[18:19]
	v_lshrrev_b32_e32 v23, 3, v14
	v_sub_u32_e32 v18, 29, v28
	v_and_b32_e32 v24, 7, v24
	v_cmp_gt_u32_e32 vcc, 8, v14
	v_cndmask_b32_e32 v14, v23, v18, vcc
	v_cndmask_b32_e32 v18, v21, v24, vcc
	v_lshlrev_b32_e32 v21, 24, v15
	v_bfrev_b32_e32 v23, 60
	v_lshlrev_b32_e32 v18, 20, v18
	v_and_b32_e32 v21, 0x80000000, v21
	v_lshl_add_u32 v14, v14, 23, v23
	v_or3_b32 v21, v21, v14, v18
.LBB550_429:
	s_or_b64 exec, exec, s[12:13]
.LBB550_430:
	s_or_b64 exec, exec, s[10:11]
.LBB550_431:
	s_or_b64 exec, exec, s[8:9]
	v_lshrrev_b16_e32 v14, 8, v15
	v_cmp_ne_u16_e32 vcc, 0, v14
	v_mov_b32_e32 v18, 0
	v_mov_b32_e32 v24, 0
	s_and_saveexec_b64 s[8:9], vcc
	s_cbranch_execz .LBB550_437
; %bb.432:
	s_movk_i32 s7, 0x80
	v_cmp_ne_u16_e32 vcc, s7, v14
	v_bfrev_b32_e32 v24, 1
	s_and_saveexec_b64 s[10:11], vcc
	s_cbranch_execz .LBB550_436
; %bb.433:
	s_movk_i32 s7, 0x7f
	v_and_b32_e32 v23, 0x7f, v14
	v_cmp_ne_u32_e32 vcc, s7, v23
	v_mov_b32_e32 v24, 0x7f800001
	s_and_saveexec_b64 s[12:13], vcc
	s_cbranch_execz .LBB550_435
; %bb.434:
	v_and_b32_e32 v28, 7, v14
	v_ffbh_u32_e32 v24, v28
	v_min_u32_e32 v30, 32, v24
	v_subrev_u32_e32 v24, 28, v30
	v_lshlrev_b64 v[24:25], v24, v[14:15]
	v_lshrrev_b32_e32 v29, 3, v23
	v_sub_u32_e32 v14, 29, v30
	v_and_b32_e32 v24, 7, v24
	v_cmp_gt_u32_e32 vcc, 8, v23
	v_cndmask_b32_e32 v14, v29, v14, vcc
	v_cndmask_b32_e32 v23, v28, v24, vcc
	v_lshlrev_b32_e32 v24, 16, v15
	v_bfrev_b32_e32 v25, 60
	v_lshlrev_b32_e32 v23, 20, v23
	v_and_b32_e32 v24, 0x80000000, v24
	v_lshl_add_u32 v14, v14, 23, v25
	v_or3_b32 v24, v24, v14, v23
.LBB550_435:
	s_or_b64 exec, exec, s[12:13]
.LBB550_436:
	s_or_b64 exec, exec, s[10:11]
.LBB550_437:
	s_or_b64 exec, exec, s[8:9]
	s_movk_i32 s7, 0xff
	v_and_b32_sdwa v23, v15, s7 dst_sel:DWORD dst_unused:UNUSED_PAD src0_sel:WORD_1 src1_sel:DWORD
	v_lshrrev_b32_e32 v14, 16, v15
	v_cmp_ne_u16_e32 vcc, 0, v23
	s_and_saveexec_b64 s[8:9], vcc
	s_cbranch_execz .LBB550_443
; %bb.438:
	s_movk_i32 s7, 0x80
	v_cmp_ne_u16_e32 vcc, s7, v23
	v_bfrev_b32_e32 v18, 1
	s_and_saveexec_b64 s[10:11], vcc
	s_cbranch_execz .LBB550_442
; %bb.439:
	v_bfe_u32 v23, v15, 16, 7
	s_movk_i32 s7, 0x7f
	v_cmp_ne_u32_e32 vcc, s7, v23
	v_mov_b32_e32 v18, 0x7f800001
	s_and_saveexec_b64 s[12:13], vcc
	s_cbranch_execz .LBB550_441
; %bb.440:
	v_and_b32_e32 v18, 7, v14
	v_ffbh_u32_e32 v28, v18
	v_min_u32_e32 v30, 32, v28
	v_subrev_u32_e32 v28, 28, v30
	v_lshlrev_b64 v[28:29], v28, v[14:15]
	v_lshrrev_b32_e32 v25, 3, v23
	v_sub_u32_e32 v14, 29, v30
	v_and_b32_e32 v28, 7, v28
	v_cmp_gt_u32_e32 vcc, 8, v23
	v_mov_b32_e32 v23, 24
	v_cndmask_b32_e32 v14, v25, v14, vcc
	v_cndmask_b32_e32 v18, v18, v28, vcc
	v_lshlrev_b32_sdwa v23, v23, v15 dst_sel:DWORD dst_unused:UNUSED_PAD src0_sel:DWORD src1_sel:WORD_1
	v_bfrev_b32_e32 v25, 60
	v_lshlrev_b32_e32 v18, 20, v18
	v_and_b32_e32 v23, 0x80000000, v23
	v_lshl_add_u32 v14, v14, 23, v25
	v_or3_b32 v18, v23, v14, v18
.LBB550_441:
	s_or_b64 exec, exec, s[12:13]
.LBB550_442:
	s_or_b64 exec, exec, s[10:11]
.LBB550_443:
	s_or_b64 exec, exec, s[8:9]
	s_mov_b32 s7, 0xffffff
	v_cmp_lt_u32_e32 vcc, s7, v15
	v_mov_b32_e32 v23, 0
	v_mov_b32_e32 v25, 0
	s_and_saveexec_b64 s[8:9], vcc
	s_cbranch_execz .LBB550_449
; %bb.444:
	v_lshrrev_b32_e32 v14, 24, v15
	s_movk_i32 s7, 0x80
	v_cmp_ne_u32_e32 vcc, s7, v14
	v_bfrev_b32_e32 v25, 1
	s_and_saveexec_b64 s[10:11], vcc
	s_cbranch_execz .LBB550_448
; %bb.445:
	v_bfe_u32 v15, v15, 24, 7
	s_movk_i32 s7, 0x7f
	v_cmp_ne_u32_e32 vcc, s7, v15
	v_mov_b32_e32 v25, 0x7f800001
	s_and_saveexec_b64 s[12:13], vcc
	s_cbranch_execz .LBB550_447
; %bb.446:
	v_and_b32_e32 v25, 7, v14
	v_ffbh_u32_e32 v28, v25
	v_min_u32_e32 v31, 32, v28
	v_subrev_u32_e32 v28, 28, v31
	v_lshlrev_b64 v[28:29], v28, v[14:15]
	v_lshrrev_b32_e32 v30, 3, v15
	v_sub_u32_e32 v29, 29, v31
	v_and_b32_e32 v28, 7, v28
	v_cmp_gt_u32_e32 vcc, 8, v15
	v_cndmask_b32_e32 v15, v30, v29, vcc
	v_cndmask_b32_e32 v25, v25, v28, vcc
	v_lshlrev_b32_e32 v14, 24, v14
	v_bfrev_b32_e32 v28, 60
	v_lshlrev_b32_e32 v25, 20, v25
	v_and_b32_e32 v14, 0x80000000, v14
	v_lshl_add_u32 v15, v15, 23, v28
	v_or3_b32 v25, v14, v15, v25
.LBB550_447:
	s_or_b64 exec, exec, s[12:13]
.LBB550_448:
	s_or_b64 exec, exec, s[10:11]
.LBB550_449:
	s_or_b64 exec, exec, s[8:9]
	v_cvt_pkrtz_f16_f32 v15, v19, v22
	v_lshl_or_b32 v22, v1, 9, v27
	v_cvt_pkrtz_f16_f32 v14, v32, v20
	ds_read_b128 v[28:31], v22
	v_cmp_ne_u16_sdwa s[10:11], v16, v23 src0_sel:BYTE_0 src1_sel:DWORD
	s_waitcnt lgkmcnt(0)
	v_mfma_f32_16x16x16f16 v[32:35], v[14:15], v[28:29], 0
	v_cvt_pkrtz_f16_f32 v14, v21, v24
	v_cvt_pkrtz_f16_f32 v15, v18, v25
	s_nop 1
	v_mfma_f32_16x16x16f16 v[18:21], v[14:15], v[30:31], v[32:35]
	s_and_saveexec_b64 s[8:9], s[10:11]
	s_cbranch_execz .LBB550_455
; %bb.450:
	s_movk_i32 s7, 0x80
	v_cmp_ne_u16_sdwa s[12:13], v16, s7 src0_sel:BYTE_0 src1_sel:DWORD
	v_bfrev_b32_e32 v23, 1
	s_and_saveexec_b64 s[10:11], s[12:13]
	s_cbranch_execz .LBB550_454
; %bb.451:
	s_movk_i32 s7, 0x7f
	v_and_b32_e32 v14, 0x7f, v16
	v_cmp_ne_u32_e32 vcc, s7, v14
	v_mov_b32_e32 v23, 0x7f800001
	s_and_saveexec_b64 s[12:13], vcc
	s_cbranch_execz .LBB550_453
; %bb.452:
	v_and_b32_e32 v15, 7, v16
	v_ffbh_u32_e32 v24, v15
	v_min_u32_e32 v27, 32, v24
	v_subrev_u32_e32 v24, 28, v27
	v_lshlrev_b64 v[24:25], v24, v[16:17]
	v_lshrrev_b32_e32 v23, 3, v14
	v_sub_u32_e32 v25, 29, v27
	v_and_b32_e32 v24, 7, v24
	v_cmp_gt_u32_e32 vcc, 8, v14
	v_cndmask_b32_e32 v14, v23, v25, vcc
	v_cndmask_b32_e32 v15, v15, v24, vcc
	v_lshlrev_b32_e32 v23, 24, v16
	v_bfrev_b32_e32 v24, 60
	v_lshlrev_b32_e32 v15, 20, v15
	v_and_b32_e32 v23, 0x80000000, v23
	v_lshl_add_u32 v14, v14, 23, v24
	v_or3_b32 v23, v23, v14, v15
.LBB550_453:
	s_or_b64 exec, exec, s[12:13]
.LBB550_454:
	s_or_b64 exec, exec, s[10:11]
.LBB550_455:
	s_or_b64 exec, exec, s[8:9]
	v_lshrrev_b16_e32 v14, 8, v16
	v_cmp_ne_u16_e32 vcc, 0, v14
	v_mov_b32_e32 v15, 0
	v_mov_b32_e32 v25, 0
	s_and_saveexec_b64 s[8:9], vcc
	s_cbranch_execz .LBB550_461
; %bb.456:
	s_movk_i32 s7, 0x80
	v_cmp_ne_u16_e32 vcc, s7, v14
	v_bfrev_b32_e32 v25, 1
	s_and_saveexec_b64 s[10:11], vcc
	s_cbranch_execz .LBB550_460
; %bb.457:
	s_movk_i32 s7, 0x7f
	v_and_b32_e32 v24, 0x7f, v14
	v_cmp_ne_u32_e32 vcc, s7, v24
	v_mov_b32_e32 v25, 0x7f800001
	s_and_saveexec_b64 s[12:13], vcc
	s_cbranch_execz .LBB550_459
; %bb.458:
	v_and_b32_e32 v25, 7, v14
	v_ffbh_u32_e32 v28, v25
	v_min_u32_e32 v30, 32, v28
	v_subrev_u32_e32 v28, 28, v30
	v_lshlrev_b64 v[28:29], v28, v[14:15]
	v_lshrrev_b32_e32 v27, 3, v24
	v_sub_u32_e32 v14, 29, v30
	v_and_b32_e32 v28, 7, v28
	v_cmp_gt_u32_e32 vcc, 8, v24
	v_cndmask_b32_e32 v14, v27, v14, vcc
	v_cndmask_b32_e32 v24, v25, v28, vcc
	v_lshlrev_b32_e32 v25, 16, v16
	v_bfrev_b32_e32 v27, 60
	v_lshlrev_b32_e32 v24, 20, v24
	v_and_b32_e32 v25, 0x80000000, v25
	v_lshl_add_u32 v14, v14, 23, v27
	v_or3_b32 v25, v25, v14, v24
.LBB550_459:
	s_or_b64 exec, exec, s[12:13]
.LBB550_460:
	s_or_b64 exec, exec, s[10:11]
.LBB550_461:
	s_or_b64 exec, exec, s[8:9]
	s_movk_i32 s7, 0xff
	v_and_b32_sdwa v24, v16, s7 dst_sel:DWORD dst_unused:UNUSED_PAD src0_sel:WORD_1 src1_sel:DWORD
	v_lshrrev_b32_e32 v14, 16, v16
	v_cmp_ne_u16_e32 vcc, 0, v24
	s_and_saveexec_b64 s[8:9], vcc
	s_cbranch_execz .LBB550_467
; %bb.462:
	s_movk_i32 s7, 0x80
	v_cmp_ne_u16_e32 vcc, s7, v24
	v_bfrev_b32_e32 v15, 1
	s_and_saveexec_b64 s[10:11], vcc
	s_cbranch_execz .LBB550_466
; %bb.463:
	v_bfe_u32 v24, v16, 16, 7
	s_movk_i32 s7, 0x7f
	v_cmp_ne_u32_e32 vcc, s7, v24
	v_mov_b32_e32 v15, 0x7f800001
	s_and_saveexec_b64 s[12:13], vcc
	s_cbranch_execz .LBB550_465
; %bb.464:
	v_and_b32_e32 v27, 7, v14
	v_ffbh_u32_e32 v15, v27
	v_min_u32_e32 v29, 32, v15
	v_subrev_u32_e32 v15, 28, v29
	v_lshlrev_b64 v[14:15], v15, v[14:15]
	v_lshrrev_b32_e32 v28, 3, v24
	v_sub_u32_e32 v15, 29, v29
	v_and_b32_e32 v14, 7, v14
	v_cmp_gt_u32_e32 vcc, 8, v24
	v_mov_b32_e32 v24, 24
	v_cndmask_b32_e32 v15, v28, v15, vcc
	v_cndmask_b32_e32 v14, v27, v14, vcc
	v_lshlrev_b32_sdwa v24, v24, v16 dst_sel:DWORD dst_unused:UNUSED_PAD src0_sel:DWORD src1_sel:WORD_1
	v_bfrev_b32_e32 v27, 60
	v_lshlrev_b32_e32 v14, 20, v14
	v_and_b32_e32 v24, 0x80000000, v24
	v_lshl_add_u32 v15, v15, 23, v27
	v_or3_b32 v15, v24, v15, v14
.LBB550_465:
	s_or_b64 exec, exec, s[12:13]
.LBB550_466:
	s_or_b64 exec, exec, s[10:11]
.LBB550_467:
	s_or_b64 exec, exec, s[8:9]
	s_mov_b32 s7, 0xffffff
	v_cmp_lt_u32_e32 vcc, s7, v16
	v_mov_b32_e32 v27, 0
	v_mov_b32_e32 v28, 0
	s_and_saveexec_b64 s[8:9], vcc
	s_cbranch_execz .LBB550_473
; %bb.468:
	v_lshrrev_b32_e32 v14, 24, v16
	s_movk_i32 s7, 0x80
	v_cmp_ne_u32_e32 vcc, s7, v14
	v_bfrev_b32_e32 v28, 1
	s_and_saveexec_b64 s[10:11], vcc
	s_cbranch_execz .LBB550_472
; %bb.469:
	v_bfe_u32 v16, v16, 24, 7
	s_movk_i32 s7, 0x7f
	v_cmp_ne_u32_e32 vcc, s7, v16
	v_mov_b32_e32 v28, 0x7f800001
	s_and_saveexec_b64 s[12:13], vcc
	s_cbranch_execz .LBB550_471
; %bb.470:
	v_and_b32_e32 v24, 7, v14
	v_ffbh_u32_e32 v28, v24
	v_min_u32_e32 v31, 32, v28
	v_subrev_u32_e32 v28, 28, v31
	v_lshlrev_b64 v[28:29], v28, v[14:15]
	v_lshrrev_b32_e32 v30, 3, v16
	v_sub_u32_e32 v29, 29, v31
	v_and_b32_e32 v28, 7, v28
	v_cmp_gt_u32_e32 vcc, 8, v16
	v_cndmask_b32_e32 v16, v30, v29, vcc
	v_cndmask_b32_e32 v24, v24, v28, vcc
	v_lshlrev_b32_e32 v14, 24, v14
	v_bfrev_b32_e32 v28, 60
	v_lshlrev_b32_e32 v24, 20, v24
	v_and_b32_e32 v14, 0x80000000, v14
	v_lshl_add_u32 v16, v16, 23, v28
	v_or3_b32 v28, v14, v16, v24
.LBB550_471:
	s_or_b64 exec, exec, s[12:13]
.LBB550_472:
	s_or_b64 exec, exec, s[10:11]
.LBB550_473:
	s_or_b64 exec, exec, s[8:9]
	v_cmp_ne_u16_sdwa s[10:11], v17, v27 src0_sel:BYTE_0 src1_sel:DWORD
	s_and_saveexec_b64 s[8:9], s[10:11]
	s_cbranch_execz .LBB550_479
; %bb.474:
	s_movk_i32 s7, 0x80
	v_cmp_ne_u16_sdwa s[12:13], v17, s7 src0_sel:BYTE_0 src1_sel:DWORD
	v_bfrev_b32_e32 v27, 1
	s_and_saveexec_b64 s[10:11], s[12:13]
	s_cbranch_execz .LBB550_478
; %bb.475:
	s_movk_i32 s7, 0x7f
	v_and_b32_e32 v14, 0x7f, v17
	v_cmp_ne_u32_e32 vcc, s7, v14
	v_mov_b32_e32 v27, 0x7f800001
	s_and_saveexec_b64 s[12:13], vcc
	s_cbranch_execz .LBB550_477
; %bb.476:
	v_and_b32_e32 v24, 7, v17
	v_ffbh_u32_e32 v29, v24
	v_min_u32_e32 v29, 32, v29
	v_mov_b32_e32 v16, v17
	v_subrev_u32_e32 v30, 28, v29
	v_lshlrev_b64 v[30:31], v30, v[16:17]
	v_lshrrev_b32_e32 v27, 3, v14
	v_sub_u32_e32 v16, 29, v29
	v_and_b32_e32 v29, 7, v30
	v_cmp_gt_u32_e32 vcc, 8, v14
	v_cndmask_b32_e32 v14, v27, v16, vcc
	v_cndmask_b32_e32 v16, v24, v29, vcc
	v_lshlrev_b32_e32 v24, 24, v17
	v_bfrev_b32_e32 v27, 60
	v_lshlrev_b32_e32 v16, 20, v16
	v_and_b32_e32 v24, 0x80000000, v24
	v_lshl_add_u32 v14, v14, 23, v27
	v_or3_b32 v27, v24, v14, v16
.LBB550_477:
	s_or_b64 exec, exec, s[12:13]
.LBB550_478:
	s_or_b64 exec, exec, s[10:11]
.LBB550_479:
	s_or_b64 exec, exec, s[8:9]
	v_lshrrev_b16_e32 v14, 8, v17
	v_cmp_ne_u16_e32 vcc, 0, v14
	v_mov_b32_e32 v16, 0
	v_mov_b32_e32 v29, 0
	s_and_saveexec_b64 s[8:9], vcc
	s_cbranch_execz .LBB550_485
; %bb.480:
	s_movk_i32 s7, 0x80
	v_cmp_ne_u16_e32 vcc, s7, v14
	v_bfrev_b32_e32 v29, 1
	s_and_saveexec_b64 s[10:11], vcc
	s_cbranch_execz .LBB550_484
; %bb.481:
	s_movk_i32 s7, 0x7f
	v_and_b32_e32 v24, 0x7f, v14
	v_cmp_ne_u32_e32 vcc, s7, v24
	v_mov_b32_e32 v29, 0x7f800001
	s_and_saveexec_b64 s[12:13], vcc
	s_cbranch_execz .LBB550_483
; %bb.482:
	v_and_b32_e32 v29, 7, v14
	v_ffbh_u32_e32 v30, v29
	v_min_u32_e32 v33, 32, v30
	v_subrev_u32_e32 v30, 28, v33
	v_lshlrev_b64 v[30:31], v30, v[14:15]
	v_lshrrev_b32_e32 v32, 3, v24
	v_sub_u32_e32 v14, 29, v33
	v_and_b32_e32 v30, 7, v30
	v_cmp_gt_u32_e32 vcc, 8, v24
	v_cndmask_b32_e32 v14, v32, v14, vcc
	v_cndmask_b32_e32 v24, v29, v30, vcc
	v_lshlrev_b32_e32 v29, 16, v17
	v_bfrev_b32_e32 v30, 60
	v_lshlrev_b32_e32 v24, 20, v24
	v_and_b32_e32 v29, 0x80000000, v29
	v_lshl_add_u32 v14, v14, 23, v30
	v_or3_b32 v29, v29, v14, v24
.LBB550_483:
	s_or_b64 exec, exec, s[12:13]
.LBB550_484:
	s_or_b64 exec, exec, s[10:11]
.LBB550_485:
	s_or_b64 exec, exec, s[8:9]
	s_movk_i32 s7, 0xff
	v_and_b32_sdwa v24, v17, s7 dst_sel:DWORD dst_unused:UNUSED_PAD src0_sel:WORD_1 src1_sel:DWORD
	v_lshrrev_b32_e32 v14, 16, v17
	v_cmp_ne_u16_e32 vcc, 0, v24
	s_and_saveexec_b64 s[8:9], vcc
	s_cbranch_execz .LBB550_491
; %bb.486:
	s_movk_i32 s7, 0x80
	v_cmp_ne_u16_e32 vcc, s7, v24
	v_bfrev_b32_e32 v16, 1
	s_and_saveexec_b64 s[10:11], vcc
	s_cbranch_execz .LBB550_490
; %bb.487:
	v_bfe_u32 v24, v17, 16, 7
	s_movk_i32 s7, 0x7f
	v_cmp_ne_u32_e32 vcc, s7, v24
	v_mov_b32_e32 v16, 0x7f800001
	s_and_saveexec_b64 s[12:13], vcc
	s_cbranch_execz .LBB550_489
; %bb.488:
	v_and_b32_e32 v16, 7, v14
	v_ffbh_u32_e32 v30, v16
	v_min_u32_e32 v33, 32, v30
	v_subrev_u32_e32 v30, 28, v33
	v_lshlrev_b64 v[30:31], v30, v[14:15]
	v_lshrrev_b32_e32 v32, 3, v24
	v_sub_u32_e32 v14, 29, v33
	v_and_b32_e32 v30, 7, v30
	v_cmp_gt_u32_e32 vcc, 8, v24
	v_mov_b32_e32 v24, 24
	v_cndmask_b32_e32 v14, v32, v14, vcc
	v_cndmask_b32_e32 v16, v16, v30, vcc
	v_lshlrev_b32_sdwa v24, v24, v17 dst_sel:DWORD dst_unused:UNUSED_PAD src0_sel:DWORD src1_sel:WORD_1
	v_bfrev_b32_e32 v30, 60
	v_lshlrev_b32_e32 v16, 20, v16
	v_and_b32_e32 v24, 0x80000000, v24
	v_lshl_add_u32 v14, v14, 23, v30
	v_or3_b32 v16, v24, v14, v16
.LBB550_489:
	s_or_b64 exec, exec, s[12:13]
.LBB550_490:
	s_or_b64 exec, exec, s[10:11]
.LBB550_491:
	s_or_b64 exec, exec, s[8:9]
	s_mov_b32 s7, 0xffffff
	v_cmp_lt_u32_e32 vcc, s7, v17
	v_mov_b32_e32 v24, 0
	v_mov_b32_e32 v30, 0
	s_and_saveexec_b64 s[8:9], vcc
	s_cbranch_execz .LBB550_497
; %bb.492:
	v_lshrrev_b32_e32 v14, 24, v17
	s_movk_i32 s7, 0x80
	v_cmp_ne_u32_e32 vcc, s7, v14
	v_bfrev_b32_e32 v30, 1
	s_and_saveexec_b64 s[10:11], vcc
	s_cbranch_execz .LBB550_496
; %bb.493:
	v_bfe_u32 v17, v17, 24, 7
	s_movk_i32 s7, 0x7f
	v_cmp_ne_u32_e32 vcc, s7, v17
	v_mov_b32_e32 v30, 0x7f800001
	s_and_saveexec_b64 s[12:13], vcc
	s_cbranch_execz .LBB550_495
; %bb.494:
	v_and_b32_e32 v32, 7, v14
	v_ffbh_u32_e32 v30, v32
	v_min_u32_e32 v34, 32, v30
	v_subrev_u32_e32 v30, 28, v34
	v_lshlrev_b64 v[30:31], v30, v[14:15]
	v_lshrrev_b32_e32 v33, 3, v17
	v_sub_u32_e32 v31, 29, v34
	v_and_b32_e32 v30, 7, v30
	v_cmp_gt_u32_e32 vcc, 8, v17
	v_cndmask_b32_e32 v17, v33, v31, vcc
	v_cndmask_b32_e32 v30, v32, v30, vcc
	v_lshlrev_b32_e32 v14, 24, v14
	v_bfrev_b32_e32 v31, 60
	v_lshlrev_b32_e32 v30, 20, v30
	v_and_b32_e32 v14, 0x80000000, v14
	v_lshl_add_u32 v17, v17, 23, v31
	v_or3_b32 v30, v14, v17, v30
.LBB550_495:
	s_or_b64 exec, exec, s[12:13]
.LBB550_496:
	s_or_b64 exec, exec, s[10:11]
.LBB550_497:
	s_or_b64 exec, exec, s[8:9]
	v_cvt_pkrtz_f16_f32 v14, v23, v25
	v_cvt_pkrtz_f16_f32 v15, v15, v28
	ds_read_b128 v[32:35], v22 offset:16
	s_waitcnt vmcnt(2)
	v_cmp_ne_u16_sdwa s[10:11], v10, v24 src0_sel:BYTE_0 src1_sel:DWORD
	s_waitcnt lgkmcnt(0)
	v_mfma_f32_16x16x16f16 v[18:21], v[14:15], v[32:33], v[18:21]
	v_cvt_pkrtz_f16_f32 v14, v27, v29
	v_cvt_pkrtz_f16_f32 v15, v16, v30
	s_nop 1
	v_mfma_f32_16x16x16f16 v[14:17], v[14:15], v[34:35], v[18:21]
	s_and_saveexec_b64 s[8:9], s[10:11]
	s_cbranch_execz .LBB550_503
; %bb.498:
	s_movk_i32 s7, 0x80
	v_cmp_ne_u16_sdwa s[12:13], v10, s7 src0_sel:BYTE_0 src1_sel:DWORD
	v_bfrev_b32_e32 v24, 1
	s_and_saveexec_b64 s[10:11], s[12:13]
	s_cbranch_execz .LBB550_502
; %bb.499:
	s_movk_i32 s7, 0x7f
	v_and_b32_e32 v18, 0x7f, v10
	v_cmp_ne_u32_e32 vcc, s7, v18
	v_mov_b32_e32 v24, 0x7f800001
	s_and_saveexec_b64 s[12:13], vcc
	s_cbranch_execz .LBB550_501
; %bb.500:
	v_and_b32_e32 v19, 7, v10
	v_ffbh_u32_e32 v20, v19
	v_min_u32_e32 v24, 32, v20
	v_subrev_u32_e32 v20, 28, v24
	v_lshlrev_b64 v[20:21], v20, v[10:11]
	v_lshrrev_b32_e32 v23, 3, v18
	v_sub_u32_e32 v21, 29, v24
	v_and_b32_e32 v20, 7, v20
	v_cmp_gt_u32_e32 vcc, 8, v18
	v_cndmask_b32_e32 v18, v23, v21, vcc
	v_cndmask_b32_e32 v19, v19, v20, vcc
	v_lshlrev_b32_e32 v20, 24, v10
	v_bfrev_b32_e32 v21, 60
	v_lshlrev_b32_e32 v19, 20, v19
	v_and_b32_e32 v20, 0x80000000, v20
	v_lshl_add_u32 v18, v18, 23, v21
	v_or3_b32 v24, v20, v18, v19
.LBB550_501:
	s_or_b64 exec, exec, s[12:13]
.LBB550_502:
	s_or_b64 exec, exec, s[10:11]
.LBB550_503:
	s_or_b64 exec, exec, s[8:9]
	s_nop 3
	v_lshrrev_b16_e32 v18, 8, v10
	v_cmp_ne_u16_e32 vcc, 0, v18
	v_mov_b32_e32 v19, 0
	v_mov_b32_e32 v20, 0
	s_and_saveexec_b64 s[8:9], vcc
	s_cbranch_execz .LBB550_509
; %bb.504:
	s_movk_i32 s7, 0x80
	v_cmp_ne_u16_e32 vcc, s7, v18
	v_bfrev_b32_e32 v20, 1
	s_and_saveexec_b64 s[10:11], vcc
	s_cbranch_execz .LBB550_508
; %bb.505:
	s_movk_i32 s7, 0x7f
	v_and_b32_e32 v21, 0x7f, v18
	v_cmp_ne_u32_e32 vcc, s7, v21
	v_mov_b32_e32 v20, 0x7f800001
	s_and_saveexec_b64 s[12:13], vcc
	s_cbranch_execz .LBB550_507
; %bb.506:
	v_and_b32_e32 v20, 7, v18
	v_ffbh_u32_e32 v25, v20
	v_min_u32_e32 v25, 32, v25
	v_subrev_u32_e32 v27, 28, v25
	v_lshlrev_b64 v[28:29], v27, v[18:19]
	v_lshrrev_b32_e32 v23, 3, v21
	v_sub_u32_e32 v18, 29, v25
	v_and_b32_e32 v25, 7, v28
	v_cmp_gt_u32_e32 vcc, 8, v21
	v_cndmask_b32_e32 v18, v23, v18, vcc
	v_cndmask_b32_e32 v20, v20, v25, vcc
	v_lshlrev_b32_e32 v21, 16, v10
	v_bfrev_b32_e32 v23, 60
	v_lshlrev_b32_e32 v20, 20, v20
	v_and_b32_e32 v21, 0x80000000, v21
	v_lshl_add_u32 v18, v18, 23, v23
	v_or3_b32 v20, v21, v18, v20
.LBB550_507:
	s_or_b64 exec, exec, s[12:13]
.LBB550_508:
	s_or_b64 exec, exec, s[10:11]
.LBB550_509:
	s_or_b64 exec, exec, s[8:9]
	s_movk_i32 s7, 0xff
	v_and_b32_sdwa v21, v10, s7 dst_sel:DWORD dst_unused:UNUSED_PAD src0_sel:WORD_1 src1_sel:DWORD
	v_lshrrev_b32_e32 v18, 16, v10
	v_cmp_ne_u16_e32 vcc, 0, v21
	s_and_saveexec_b64 s[8:9], vcc
	s_cbranch_execz .LBB550_515
; %bb.510:
	s_movk_i32 s7, 0x80
	v_cmp_ne_u16_e32 vcc, s7, v21
	v_bfrev_b32_e32 v19, 1
	s_and_saveexec_b64 s[10:11], vcc
	s_cbranch_execz .LBB550_514
; %bb.511:
	v_bfe_u32 v21, v10, 16, 7
	s_movk_i32 s7, 0x7f
	v_cmp_ne_u32_e32 vcc, s7, v21
	v_mov_b32_e32 v19, 0x7f800001
	s_and_saveexec_b64 s[12:13], vcc
	s_cbranch_execz .LBB550_513
; %bb.512:
	v_and_b32_e32 v23, 7, v18
	v_ffbh_u32_e32 v19, v23
	v_min_u32_e32 v27, 32, v19
	v_subrev_u32_e32 v19, 28, v27
	v_lshlrev_b64 v[18:19], v19, v[18:19]
	v_lshrrev_b32_e32 v25, 3, v21
	v_sub_u32_e32 v19, 29, v27
	v_and_b32_e32 v18, 7, v18
	v_cmp_gt_u32_e32 vcc, 8, v21
	v_mov_b32_e32 v21, 24
	v_cndmask_b32_e32 v19, v25, v19, vcc
	v_cndmask_b32_e32 v18, v23, v18, vcc
	v_lshlrev_b32_sdwa v21, v21, v10 dst_sel:DWORD dst_unused:UNUSED_PAD src0_sel:DWORD src1_sel:WORD_1
	v_bfrev_b32_e32 v23, 60
	v_lshlrev_b32_e32 v18, 20, v18
	v_and_b32_e32 v21, 0x80000000, v21
	v_lshl_add_u32 v19, v19, 23, v23
	v_or3_b32 v19, v21, v19, v18
.LBB550_513:
	s_or_b64 exec, exec, s[12:13]
.LBB550_514:
	s_or_b64 exec, exec, s[10:11]
.LBB550_515:
	s_or_b64 exec, exec, s[8:9]
	s_mov_b32 s7, 0xffffff
	v_cmp_lt_u32_e32 vcc, s7, v10
	v_mov_b32_e32 v21, 0
	v_mov_b32_e32 v23, 0
	s_and_saveexec_b64 s[8:9], vcc
	s_cbranch_execz .LBB550_521
; %bb.516:
	v_lshrrev_b32_e32 v18, 24, v10
	s_movk_i32 s7, 0x80
	v_cmp_ne_u32_e32 vcc, s7, v18
	v_bfrev_b32_e32 v23, 1
	s_and_saveexec_b64 s[10:11], vcc
	s_cbranch_execz .LBB550_520
; %bb.517:
	v_bfe_u32 v10, v10, 24, 7
	s_movk_i32 s7, 0x7f
	v_cmp_ne_u32_e32 vcc, s7, v10
	v_mov_b32_e32 v23, 0x7f800001
	s_and_saveexec_b64 s[12:13], vcc
	s_cbranch_execz .LBB550_519
; %bb.518:
	v_and_b32_e32 v23, 7, v18
	v_ffbh_u32_e32 v27, v23
	v_min_u32_e32 v27, 32, v27
	v_subrev_u32_e32 v28, 28, v27
	v_lshlrev_b64 v[28:29], v28, v[18:19]
	v_lshrrev_b32_e32 v25, 3, v10
	v_sub_u32_e32 v27, 29, v27
	v_and_b32_e32 v28, 7, v28
	v_cmp_gt_u32_e32 vcc, 8, v10
	v_cndmask_b32_e32 v10, v25, v27, vcc
	v_cndmask_b32_e32 v23, v23, v28, vcc
	v_lshlrev_b32_e32 v18, 24, v18
	v_bfrev_b32_e32 v25, 60
	v_lshlrev_b32_e32 v23, 20, v23
	v_and_b32_e32 v18, 0x80000000, v18
	v_lshl_add_u32 v10, v10, 23, v25
	v_or3_b32 v23, v18, v10, v23
.LBB550_519:
	s_or_b64 exec, exec, s[12:13]
.LBB550_520:
	s_or_b64 exec, exec, s[10:11]
.LBB550_521:
	s_or_b64 exec, exec, s[8:9]
	v_cmp_ne_u16_sdwa s[10:11], v11, v21 src0_sel:BYTE_0 src1_sel:DWORD
	s_and_saveexec_b64 s[8:9], s[10:11]
	s_cbranch_execz .LBB550_527
; %bb.522:
	s_movk_i32 s7, 0x80
	v_cmp_ne_u16_sdwa s[12:13], v11, s7 src0_sel:BYTE_0 src1_sel:DWORD
	v_bfrev_b32_e32 v21, 1
	s_and_saveexec_b64 s[10:11], s[12:13]
	s_cbranch_execz .LBB550_526
; %bb.523:
	s_movk_i32 s7, 0x7f
	v_and_b32_e32 v10, 0x7f, v11
	v_cmp_ne_u32_e32 vcc, s7, v10
	v_mov_b32_e32 v21, 0x7f800001
	s_and_saveexec_b64 s[12:13], vcc
	s_cbranch_execz .LBB550_525
; %bb.524:
	v_and_b32_e32 v21, 7, v11
	v_ffbh_u32_e32 v27, v21
	v_min_u32_e32 v27, 32, v27
	v_mov_b32_e32 v18, v11
	v_subrev_u32_e32 v28, 28, v27
	v_lshlrev_b64 v[28:29], v28, v[18:19]
	v_lshrrev_b32_e32 v25, 3, v10
	v_sub_u32_e32 v18, 29, v27
	v_and_b32_e32 v27, 7, v28
	v_cmp_gt_u32_e32 vcc, 8, v10
	v_cndmask_b32_e32 v10, v25, v18, vcc
	v_cndmask_b32_e32 v18, v21, v27, vcc
	v_lshlrev_b32_e32 v21, 24, v11
	v_bfrev_b32_e32 v25, 60
	v_lshlrev_b32_e32 v18, 20, v18
	v_and_b32_e32 v21, 0x80000000, v21
	v_lshl_add_u32 v10, v10, 23, v25
	v_or3_b32 v21, v21, v10, v18
.LBB550_525:
	s_or_b64 exec, exec, s[12:13]
.LBB550_526:
	s_or_b64 exec, exec, s[10:11]
.LBB550_527:
	s_or_b64 exec, exec, s[8:9]
	v_lshrrev_b16_e32 v10, 8, v11
	v_cmp_ne_u16_e32 vcc, 0, v10
	v_mov_b32_e32 v25, 0
	v_mov_b32_e32 v27, 0
	s_and_saveexec_b64 s[8:9], vcc
	s_cbranch_execz .LBB550_533
; %bb.528:
	s_movk_i32 s7, 0x80
	v_cmp_ne_u16_e32 vcc, s7, v10
	v_bfrev_b32_e32 v27, 1
	s_and_saveexec_b64 s[10:11], vcc
	s_cbranch_execz .LBB550_532
; %bb.529:
	s_movk_i32 s7, 0x7f
	v_and_b32_e32 v18, 0x7f, v10
	v_cmp_ne_u32_e32 vcc, s7, v18
	v_mov_b32_e32 v27, 0x7f800001
	s_and_saveexec_b64 s[12:13], vcc
	s_cbranch_execz .LBB550_531
; %bb.530:
	v_and_b32_e32 v27, 7, v10
	v_ffbh_u32_e32 v28, v27
	v_min_u32_e32 v31, 32, v28
	v_subrev_u32_e32 v28, 28, v31
	v_lshlrev_b64 v[28:29], v28, v[10:11]
	v_lshrrev_b32_e32 v30, 3, v18
	v_sub_u32_e32 v10, 29, v31
	v_and_b32_e32 v28, 7, v28
	v_cmp_gt_u32_e32 vcc, 8, v18
	v_cndmask_b32_e32 v10, v30, v10, vcc
	v_cndmask_b32_e32 v18, v27, v28, vcc
	v_lshlrev_b32_e32 v27, 16, v11
	v_bfrev_b32_e32 v28, 60
	v_lshlrev_b32_e32 v18, 20, v18
	v_and_b32_e32 v27, 0x80000000, v27
	v_lshl_add_u32 v10, v10, 23, v28
	v_or3_b32 v27, v27, v10, v18
.LBB550_531:
	s_or_b64 exec, exec, s[12:13]
.LBB550_532:
	s_or_b64 exec, exec, s[10:11]
.LBB550_533:
	s_or_b64 exec, exec, s[8:9]
	s_movk_i32 s7, 0xff
	v_and_b32_sdwa v18, v11, s7 dst_sel:DWORD dst_unused:UNUSED_PAD src0_sel:WORD_1 src1_sel:DWORD
	v_lshrrev_b32_e32 v10, 16, v11
	v_cmp_ne_u16_e32 vcc, 0, v18
	s_and_saveexec_b64 s[8:9], vcc
	s_cbranch_execz .LBB550_539
; %bb.534:
	s_movk_i32 s7, 0x80
	v_cmp_ne_u16_e32 vcc, s7, v18
	v_bfrev_b32_e32 v25, 1
	s_and_saveexec_b64 s[10:11], vcc
	s_cbranch_execz .LBB550_538
; %bb.535:
	v_bfe_u32 v18, v11, 16, 7
	s_movk_i32 s7, 0x7f
	v_cmp_ne_u32_e32 vcc, s7, v18
	v_mov_b32_e32 v25, 0x7f800001
	s_and_saveexec_b64 s[12:13], vcc
	s_cbranch_execz .LBB550_537
; %bb.536:
	v_and_b32_e32 v25, 7, v10
	v_ffbh_u32_e32 v28, v25
	v_min_u32_e32 v31, 32, v28
	v_subrev_u32_e32 v28, 28, v31
	v_lshlrev_b64 v[28:29], v28, v[10:11]
	v_and_b32_e32 v28, 7, v28
	v_cmp_gt_u32_e32 vcc, 8, v18
	v_lshrrev_b32_e32 v30, 3, v18
	v_sub_u32_e32 v10, 29, v31
	v_cndmask_b32_e32 v18, v25, v28, vcc
	v_mov_b32_e32 v25, 24
	v_cndmask_b32_e32 v10, v30, v10, vcc
	v_lshlrev_b32_sdwa v25, v25, v11 dst_sel:DWORD dst_unused:UNUSED_PAD src0_sel:DWORD src1_sel:WORD_1
	v_bfrev_b32_e32 v28, 60
	v_lshlrev_b32_e32 v18, 20, v18
	v_and_b32_e32 v25, 0x80000000, v25
	v_lshl_add_u32 v10, v10, 23, v28
	v_or3_b32 v25, v25, v10, v18
.LBB550_537:
	s_or_b64 exec, exec, s[12:13]
.LBB550_538:
	s_or_b64 exec, exec, s[10:11]
.LBB550_539:
	s_or_b64 exec, exec, s[8:9]
	s_mov_b32 s7, 0xffffff
	v_cmp_lt_u32_e32 vcc, s7, v11
	v_mov_b32_e32 v18, 0
	v_mov_b32_e32 v28, 0
	s_and_saveexec_b64 s[8:9], vcc
	s_cbranch_execz .LBB550_545
; %bb.540:
	v_lshrrev_b32_e32 v10, 24, v11
	s_movk_i32 s7, 0x80
	v_cmp_ne_u32_e32 vcc, s7, v10
	v_bfrev_b32_e32 v28, 1
	s_and_saveexec_b64 s[10:11], vcc
	s_cbranch_execz .LBB550_544
; %bb.541:
	v_bfe_u32 v11, v11, 24, 7
	s_movk_i32 s7, 0x7f
	v_cmp_ne_u32_e32 vcc, s7, v11
	v_mov_b32_e32 v28, 0x7f800001
	s_and_saveexec_b64 s[12:13], vcc
	s_cbranch_execz .LBB550_543
; %bb.542:
	v_and_b32_e32 v30, 7, v10
	v_ffbh_u32_e32 v28, v30
	v_min_u32_e32 v32, 32, v28
	v_subrev_u32_e32 v28, 28, v32
	v_lshlrev_b64 v[28:29], v28, v[10:11]
	v_lshrrev_b32_e32 v31, 3, v11
	v_sub_u32_e32 v29, 29, v32
	v_and_b32_e32 v28, 7, v28
	v_cmp_gt_u32_e32 vcc, 8, v11
	v_cndmask_b32_e32 v11, v31, v29, vcc
	v_cndmask_b32_e32 v28, v30, v28, vcc
	v_lshlrev_b32_e32 v10, 24, v10
	v_bfrev_b32_e32 v29, 60
	v_lshlrev_b32_e32 v28, 20, v28
	v_and_b32_e32 v10, 0x80000000, v10
	v_lshl_add_u32 v11, v11, 23, v29
	v_or3_b32 v28, v10, v11, v28
.LBB550_543:
	s_or_b64 exec, exec, s[12:13]
.LBB550_544:
	s_or_b64 exec, exec, s[10:11]
.LBB550_545:
	s_or_b64 exec, exec, s[8:9]
	v_cvt_pkrtz_f16_f32 v10, v24, v20
	v_cvt_pkrtz_f16_f32 v11, v19, v23
	ds_read_b128 v[30:33], v22 offset:2048
	v_cmp_ne_u16_sdwa s[10:11], v12, v18 src0_sel:BYTE_0 src1_sel:DWORD
	s_waitcnt lgkmcnt(0)
	v_mfma_f32_16x16x16f16 v[14:17], v[10:11], v[30:31], v[14:17]
	v_cvt_pkrtz_f16_f32 v10, v21, v27
	v_cvt_pkrtz_f16_f32 v11, v25, v28
	s_nop 1
	v_mfma_f32_16x16x16f16 v[14:17], v[10:11], v[32:33], v[14:17]
	s_and_saveexec_b64 s[8:9], s[10:11]
	s_cbranch_execz .LBB550_551
; %bb.546:
	s_movk_i32 s7, 0x80
	v_cmp_ne_u16_sdwa s[12:13], v12, s7 src0_sel:BYTE_0 src1_sel:DWORD
	v_bfrev_b32_e32 v18, 1
	s_and_saveexec_b64 s[10:11], s[12:13]
	s_cbranch_execz .LBB550_550
; %bb.547:
	s_movk_i32 s7, 0x7f
	v_and_b32_e32 v10, 0x7f, v12
	v_cmp_ne_u32_e32 vcc, s7, v10
	v_mov_b32_e32 v18, 0x7f800001
	s_and_saveexec_b64 s[12:13], vcc
	s_cbranch_execz .LBB550_549
; %bb.548:
	v_and_b32_e32 v11, 7, v12
	v_ffbh_u32_e32 v18, v11
	v_min_u32_e32 v21, 32, v18
	v_subrev_u32_e32 v18, 28, v21
	v_lshlrev_b64 v[18:19], v18, v[12:13]
	v_lshrrev_b32_e32 v20, 3, v10
	v_sub_u32_e32 v19, 29, v21
	v_and_b32_e32 v18, 7, v18
	v_cmp_gt_u32_e32 vcc, 8, v10
	v_cndmask_b32_e32 v10, v20, v19, vcc
	v_cndmask_b32_e32 v11, v11, v18, vcc
	v_lshlrev_b32_e32 v18, 24, v12
	v_bfrev_b32_e32 v19, 60
	v_lshlrev_b32_e32 v11, 20, v11
	v_and_b32_e32 v18, 0x80000000, v18
	v_lshl_add_u32 v10, v10, 23, v19
	v_or3_b32 v18, v18, v10, v11
.LBB550_549:
	s_or_b64 exec, exec, s[12:13]
.LBB550_550:
	s_or_b64 exec, exec, s[10:11]
.LBB550_551:
	s_or_b64 exec, exec, s[8:9]
	v_lshrrev_b16_e32 v10, 8, v12
	v_cmp_ne_u16_e32 vcc, 0, v10
	v_mov_b32_e32 v11, 0
	v_mov_b32_e32 v20, 0
	s_and_saveexec_b64 s[8:9], vcc
	s_cbranch_execz .LBB550_557
; %bb.552:
	s_movk_i32 s7, 0x80
	v_cmp_ne_u16_e32 vcc, s7, v10
	v_bfrev_b32_e32 v20, 1
	s_and_saveexec_b64 s[10:11], vcc
	s_cbranch_execz .LBB550_556
; %bb.553:
	s_movk_i32 s7, 0x7f
	v_and_b32_e32 v19, 0x7f, v10
	v_cmp_ne_u32_e32 vcc, s7, v19
	v_mov_b32_e32 v20, 0x7f800001
	s_and_saveexec_b64 s[12:13], vcc
	s_cbranch_execz .LBB550_555
; %bb.554:
	v_and_b32_e32 v23, 7, v10
	v_ffbh_u32_e32 v20, v23
	v_min_u32_e32 v25, 32, v20
	v_subrev_u32_e32 v20, 28, v25
	v_lshlrev_b64 v[20:21], v20, v[10:11]
	v_lshrrev_b32_e32 v24, 3, v19
	v_sub_u32_e32 v10, 29, v25
	v_and_b32_e32 v20, 7, v20
	v_cmp_gt_u32_e32 vcc, 8, v19
	v_cndmask_b32_e32 v10, v24, v10, vcc
	v_cndmask_b32_e32 v19, v23, v20, vcc
	v_lshlrev_b32_e32 v20, 16, v12
	v_bfrev_b32_e32 v21, 60
	v_lshlrev_b32_e32 v19, 20, v19
	v_and_b32_e32 v20, 0x80000000, v20
	v_lshl_add_u32 v10, v10, 23, v21
	v_or3_b32 v20, v20, v10, v19
.LBB550_555:
	s_or_b64 exec, exec, s[12:13]
.LBB550_556:
	s_or_b64 exec, exec, s[10:11]
.LBB550_557:
	s_or_b64 exec, exec, s[8:9]
	s_movk_i32 s7, 0xff
	v_and_b32_sdwa v19, v12, s7 dst_sel:DWORD dst_unused:UNUSED_PAD src0_sel:WORD_1 src1_sel:DWORD
	v_lshrrev_b32_e32 v10, 16, v12
	v_cmp_ne_u16_e32 vcc, 0, v19
	s_and_saveexec_b64 s[8:9], vcc
	s_cbranch_execz .LBB550_563
; %bb.558:
	s_movk_i32 s7, 0x80
	v_cmp_ne_u16_e32 vcc, s7, v19
	v_bfrev_b32_e32 v11, 1
	s_and_saveexec_b64 s[10:11], vcc
	s_cbranch_execz .LBB550_562
; %bb.559:
	v_bfe_u32 v19, v12, 16, 7
	s_movk_i32 s7, 0x7f
	v_cmp_ne_u32_e32 vcc, s7, v19
	v_mov_b32_e32 v11, 0x7f800001
	s_and_saveexec_b64 s[12:13], vcc
	s_cbranch_execz .LBB550_561
; %bb.560:
	v_and_b32_e32 v21, 7, v10
	v_ffbh_u32_e32 v11, v21
	v_min_u32_e32 v24, 32, v11
	v_subrev_u32_e32 v11, 28, v24
	v_lshlrev_b64 v[10:11], v11, v[10:11]
	v_lshrrev_b32_e32 v23, 3, v19
	v_sub_u32_e32 v11, 29, v24
	v_and_b32_e32 v10, 7, v10
	v_cmp_gt_u32_e32 vcc, 8, v19
	v_mov_b32_e32 v19, 24
	v_cndmask_b32_e32 v11, v23, v11, vcc
	v_cndmask_b32_e32 v10, v21, v10, vcc
	v_lshlrev_b32_sdwa v19, v19, v12 dst_sel:DWORD dst_unused:UNUSED_PAD src0_sel:DWORD src1_sel:WORD_1
	v_bfrev_b32_e32 v21, 60
	v_lshlrev_b32_e32 v10, 20, v10
	v_and_b32_e32 v19, 0x80000000, v19
	v_lshl_add_u32 v11, v11, 23, v21
	v_or3_b32 v11, v19, v11, v10
.LBB550_561:
	s_or_b64 exec, exec, s[12:13]
.LBB550_562:
	s_or_b64 exec, exec, s[10:11]
.LBB550_563:
	s_or_b64 exec, exec, s[8:9]
	s_mov_b32 s7, 0xffffff
	v_cmp_lt_u32_e32 vcc, s7, v12
	v_mov_b32_e32 v21, 0
	v_mov_b32_e32 v23, 0
	s_and_saveexec_b64 s[8:9], vcc
	s_cbranch_execz .LBB550_569
; %bb.564:
	v_lshrrev_b32_e32 v10, 24, v12
	s_movk_i32 s7, 0x80
	v_cmp_ne_u32_e32 vcc, s7, v10
	v_bfrev_b32_e32 v23, 1
	s_and_saveexec_b64 s[10:11], vcc
	s_cbranch_execz .LBB550_568
; %bb.565:
	v_bfe_u32 v12, v12, 24, 7
	s_movk_i32 s7, 0x7f
	v_cmp_ne_u32_e32 vcc, s7, v12
	v_mov_b32_e32 v23, 0x7f800001
	s_and_saveexec_b64 s[12:13], vcc
	s_cbranch_execz .LBB550_567
; %bb.566:
	v_and_b32_e32 v19, 7, v10
	v_ffbh_u32_e32 v24, v19
	v_min_u32_e32 v27, 32, v24
	v_subrev_u32_e32 v24, 28, v27
	v_lshlrev_b64 v[24:25], v24, v[10:11]
	v_lshrrev_b32_e32 v23, 3, v12
	v_sub_u32_e32 v25, 29, v27
	v_and_b32_e32 v24, 7, v24
	v_cmp_gt_u32_e32 vcc, 8, v12
	v_cndmask_b32_e32 v12, v23, v25, vcc
	v_cndmask_b32_e32 v19, v19, v24, vcc
	v_lshlrev_b32_e32 v10, 24, v10
	v_bfrev_b32_e32 v23, 60
	v_lshlrev_b32_e32 v19, 20, v19
	v_and_b32_e32 v10, 0x80000000, v10
	v_lshl_add_u32 v12, v12, 23, v23
	v_or3_b32 v23, v10, v12, v19
.LBB550_567:
	s_or_b64 exec, exec, s[12:13]
.LBB550_568:
	s_or_b64 exec, exec, s[10:11]
.LBB550_569:
	s_or_b64 exec, exec, s[8:9]
	v_cmp_ne_u16_sdwa s[10:11], v13, v21 src0_sel:BYTE_0 src1_sel:DWORD
	s_and_saveexec_b64 s[8:9], s[10:11]
	s_cbranch_execz .LBB550_575
; %bb.570:
	s_movk_i32 s7, 0x80
	v_cmp_ne_u16_sdwa s[12:13], v13, s7 src0_sel:BYTE_0 src1_sel:DWORD
	v_bfrev_b32_e32 v21, 1
	s_and_saveexec_b64 s[10:11], s[12:13]
	s_cbranch_execz .LBB550_574
; %bb.571:
	s_movk_i32 s7, 0x7f
	v_and_b32_e32 v10, 0x7f, v13
	v_cmp_ne_u32_e32 vcc, s7, v10
	v_mov_b32_e32 v21, 0x7f800001
	s_and_saveexec_b64 s[12:13], vcc
	s_cbranch_execz .LBB550_573
; %bb.572:
	v_and_b32_e32 v19, 7, v13
	v_ffbh_u32_e32 v24, v19
	v_min_u32_e32 v27, 32, v24
	v_mov_b32_e32 v12, v13
	v_subrev_u32_e32 v24, 28, v27
	v_lshlrev_b64 v[24:25], v24, v[12:13]
	v_lshrrev_b32_e32 v21, 3, v10
	v_sub_u32_e32 v12, 29, v27
	v_and_b32_e32 v24, 7, v24
	v_cmp_gt_u32_e32 vcc, 8, v10
	v_cndmask_b32_e32 v10, v21, v12, vcc
	v_cndmask_b32_e32 v12, v19, v24, vcc
	v_lshlrev_b32_e32 v19, 24, v13
	v_bfrev_b32_e32 v21, 60
	v_lshlrev_b32_e32 v12, 20, v12
	v_and_b32_e32 v19, 0x80000000, v19
	v_lshl_add_u32 v10, v10, 23, v21
	v_or3_b32 v21, v19, v10, v12
.LBB550_573:
	s_or_b64 exec, exec, s[12:13]
.LBB550_574:
	s_or_b64 exec, exec, s[10:11]
.LBB550_575:
	s_or_b64 exec, exec, s[8:9]
	v_lshrrev_b16_e32 v10, 8, v13
	v_cmp_ne_u16_e32 vcc, 0, v10
	v_mov_b32_e32 v12, 0
	v_mov_b32_e32 v24, 0
	s_and_saveexec_b64 s[8:9], vcc
	s_cbranch_execz .LBB550_581
; %bb.576:
	s_movk_i32 s7, 0x80
	v_cmp_ne_u16_e32 vcc, s7, v10
	v_bfrev_b32_e32 v24, 1
	s_and_saveexec_b64 s[10:11], vcc
	s_cbranch_execz .LBB550_580
; %bb.577:
	s_movk_i32 s7, 0x7f
	v_and_b32_e32 v19, 0x7f, v10
	v_cmp_ne_u32_e32 vcc, s7, v19
	v_mov_b32_e32 v24, 0x7f800001
	s_and_saveexec_b64 s[12:13], vcc
	s_cbranch_execz .LBB550_579
; %bb.578:
	v_and_b32_e32 v27, 7, v10
	v_ffbh_u32_e32 v24, v27
	v_min_u32_e32 v29, 32, v24
	v_subrev_u32_e32 v24, 28, v29
	v_lshlrev_b64 v[24:25], v24, v[10:11]
	v_lshrrev_b32_e32 v28, 3, v19
	v_sub_u32_e32 v10, 29, v29
	v_and_b32_e32 v24, 7, v24
	v_cmp_gt_u32_e32 vcc, 8, v19
	v_cndmask_b32_e32 v10, v28, v10, vcc
	v_cndmask_b32_e32 v19, v27, v24, vcc
	v_lshlrev_b32_e32 v24, 16, v13
	v_bfrev_b32_e32 v25, 60
	v_lshlrev_b32_e32 v19, 20, v19
	v_and_b32_e32 v24, 0x80000000, v24
	v_lshl_add_u32 v10, v10, 23, v25
	v_or3_b32 v24, v24, v10, v19
.LBB550_579:
	s_or_b64 exec, exec, s[12:13]
.LBB550_580:
	s_or_b64 exec, exec, s[10:11]
.LBB550_581:
	s_or_b64 exec, exec, s[8:9]
	s_movk_i32 s7, 0xff
	v_and_b32_sdwa v19, v13, s7 dst_sel:DWORD dst_unused:UNUSED_PAD src0_sel:WORD_1 src1_sel:DWORD
	v_lshrrev_b32_e32 v10, 16, v13
	v_cmp_ne_u16_e32 vcc, 0, v19
	s_and_saveexec_b64 s[8:9], vcc
	s_cbranch_execz .LBB550_587
; %bb.582:
	s_movk_i32 s7, 0x80
	v_cmp_ne_u16_e32 vcc, s7, v19
	v_bfrev_b32_e32 v12, 1
	s_and_saveexec_b64 s[10:11], vcc
	s_cbranch_execz .LBB550_586
; %bb.583:
	v_bfe_u32 v19, v13, 16, 7
	s_movk_i32 s7, 0x7f
	v_cmp_ne_u32_e32 vcc, s7, v19
	v_mov_b32_e32 v12, 0x7f800001
	s_and_saveexec_b64 s[12:13], vcc
	s_cbranch_execz .LBB550_585
; %bb.584:
	v_and_b32_e32 v12, 7, v10
	v_ffbh_u32_e32 v27, v12
	v_min_u32_e32 v27, 32, v27
	v_subrev_u32_e32 v28, 28, v27
	v_lshlrev_b64 v[28:29], v28, v[10:11]
	v_lshrrev_b32_e32 v25, 3, v19
	v_sub_u32_e32 v10, 29, v27
	v_and_b32_e32 v27, 7, v28
	v_cmp_gt_u32_e32 vcc, 8, v19
	v_mov_b32_e32 v19, 24
	v_cndmask_b32_e32 v10, v25, v10, vcc
	v_cndmask_b32_e32 v12, v12, v27, vcc
	v_lshlrev_b32_sdwa v19, v19, v13 dst_sel:DWORD dst_unused:UNUSED_PAD src0_sel:DWORD src1_sel:WORD_1
	v_bfrev_b32_e32 v25, 60
	v_lshlrev_b32_e32 v12, 20, v12
	v_and_b32_e32 v19, 0x80000000, v19
	v_lshl_add_u32 v10, v10, 23, v25
	v_or3_b32 v12, v19, v10, v12
.LBB550_585:
	s_or_b64 exec, exec, s[12:13]
.LBB550_586:
	s_or_b64 exec, exec, s[10:11]
.LBB550_587:
	s_or_b64 exec, exec, s[8:9]
	s_mov_b32 s7, 0xffffff
	v_cmp_lt_u32_e32 vcc, s7, v13
	v_mov_b32_e32 v19, 0
	v_mov_b32_e32 v25, 0
	s_and_saveexec_b64 s[8:9], vcc
	s_cbranch_execz .LBB550_593
; %bb.588:
	v_lshrrev_b32_e32 v10, 24, v13
	s_movk_i32 s7, 0x80
	v_cmp_ne_u32_e32 vcc, s7, v10
	v_bfrev_b32_e32 v25, 1
	s_and_saveexec_b64 s[10:11], vcc
	s_cbranch_execz .LBB550_592
; %bb.589:
	v_bfe_u32 v13, v13, 24, 7
	s_movk_i32 s7, 0x7f
	v_cmp_ne_u32_e32 vcc, s7, v13
	v_mov_b32_e32 v25, 0x7f800001
	s_and_saveexec_b64 s[12:13], vcc
	s_cbranch_execz .LBB550_591
; %bb.590:
	v_and_b32_e32 v25, 7, v10
	v_ffbh_u32_e32 v28, v25
	v_min_u32_e32 v30, 32, v28
	v_subrev_u32_e32 v28, 28, v30
	v_lshlrev_b64 v[28:29], v28, v[10:11]
	v_lshrrev_b32_e32 v27, 3, v13
	v_sub_u32_e32 v29, 29, v30
	v_and_b32_e32 v28, 7, v28
	v_cmp_gt_u32_e32 vcc, 8, v13
	v_cndmask_b32_e32 v13, v27, v29, vcc
	v_cndmask_b32_e32 v25, v25, v28, vcc
	v_lshlrev_b32_e32 v10, 24, v10
	v_bfrev_b32_e32 v27, 60
	v_lshlrev_b32_e32 v25, 20, v25
	v_and_b32_e32 v10, 0x80000000, v10
	v_lshl_add_u32 v13, v13, 23, v27
	v_or3_b32 v25, v10, v13, v25
.LBB550_591:
	s_or_b64 exec, exec, s[12:13]
.LBB550_592:
	s_or_b64 exec, exec, s[10:11]
.LBB550_593:
	s_or_b64 exec, exec, s[8:9]
	v_cvt_pkrtz_f16_f32 v10, v18, v20
	v_cvt_pkrtz_f16_f32 v11, v11, v23
	ds_read_b128 v[28:31], v22 offset:2064
	s_waitcnt vmcnt(1)
	v_cmp_ne_u16_sdwa s[10:11], v6, v19 src0_sel:BYTE_0 src1_sel:DWORD
	s_waitcnt lgkmcnt(0)
	v_mfma_f32_16x16x16f16 v[14:17], v[10:11], v[28:29], v[14:17]
	v_cvt_pkrtz_f16_f32 v10, v21, v24
	v_cvt_pkrtz_f16_f32 v11, v12, v25
	s_nop 1
	v_mfma_f32_16x16x16f16 v[10:13], v[10:11], v[30:31], v[14:17]
	s_and_saveexec_b64 s[8:9], s[10:11]
	s_cbranch_execz .LBB550_599
; %bb.594:
	s_movk_i32 s7, 0x80
	v_cmp_ne_u16_sdwa s[12:13], v6, s7 src0_sel:BYTE_0 src1_sel:DWORD
	v_bfrev_b32_e32 v19, 1
	s_and_saveexec_b64 s[10:11], s[12:13]
	s_cbranch_execz .LBB550_598
; %bb.595:
	s_movk_i32 s7, 0x7f
	v_and_b32_e32 v14, 0x7f, v6
	v_cmp_ne_u32_e32 vcc, s7, v14
	v_mov_b32_e32 v19, 0x7f800001
	s_and_saveexec_b64 s[12:13], vcc
	s_cbranch_execz .LBB550_597
; %bb.596:
	v_and_b32_e32 v15, 7, v6
	v_ffbh_u32_e32 v16, v15
	v_min_u32_e32 v19, 32, v16
	v_subrev_u32_e32 v16, 28, v19
	v_lshlrev_b64 v[16:17], v16, v[6:7]
	v_lshrrev_b32_e32 v18, 3, v14
	v_sub_u32_e32 v17, 29, v19
	v_and_b32_e32 v16, 7, v16
	v_cmp_gt_u32_e32 vcc, 8, v14
	v_cndmask_b32_e32 v14, v18, v17, vcc
	v_cndmask_b32_e32 v15, v15, v16, vcc
	v_lshlrev_b32_e32 v16, 24, v6
	v_bfrev_b32_e32 v17, 60
	v_lshlrev_b32_e32 v15, 20, v15
	v_and_b32_e32 v16, 0x80000000, v16
	v_lshl_add_u32 v14, v14, 23, v17
	v_or3_b32 v19, v16, v14, v15
.LBB550_597:
	s_or_b64 exec, exec, s[12:13]
.LBB550_598:
	s_or_b64 exec, exec, s[10:11]
.LBB550_599:
	s_or_b64 exec, exec, s[8:9]
	s_nop 3
	v_lshrrev_b16_e32 v14, 8, v6
	v_cmp_ne_u16_e32 vcc, 0, v14
	v_mov_b32_e32 v15, 0
	v_mov_b32_e32 v16, 0
	s_and_saveexec_b64 s[8:9], vcc
	s_cbranch_execz .LBB550_605
; %bb.600:
	s_movk_i32 s7, 0x80
	v_cmp_ne_u16_e32 vcc, s7, v14
	v_bfrev_b32_e32 v16, 1
	s_and_saveexec_b64 s[10:11], vcc
	s_cbranch_execz .LBB550_604
; %bb.601:
	s_movk_i32 s7, 0x7f
	v_and_b32_e32 v17, 0x7f, v14
	v_cmp_ne_u32_e32 vcc, s7, v17
	v_mov_b32_e32 v16, 0x7f800001
	s_and_saveexec_b64 s[12:13], vcc
	s_cbranch_execz .LBB550_603
; %bb.602:
	v_and_b32_e32 v16, 7, v14
	v_ffbh_u32_e32 v20, v16
	v_min_u32_e32 v23, 32, v20
	v_subrev_u32_e32 v20, 28, v23
	v_lshlrev_b64 v[20:21], v20, v[14:15]
	v_lshrrev_b32_e32 v18, 3, v17
	v_sub_u32_e32 v14, 29, v23
	v_and_b32_e32 v20, 7, v20
	v_cmp_gt_u32_e32 vcc, 8, v17
	v_cndmask_b32_e32 v14, v18, v14, vcc
	v_cndmask_b32_e32 v16, v16, v20, vcc
	v_lshlrev_b32_e32 v17, 16, v6
	v_bfrev_b32_e32 v18, 60
	v_lshlrev_b32_e32 v16, 20, v16
	v_and_b32_e32 v17, 0x80000000, v17
	v_lshl_add_u32 v14, v14, 23, v18
	v_or3_b32 v16, v17, v14, v16
.LBB550_603:
	s_or_b64 exec, exec, s[12:13]
.LBB550_604:
	s_or_b64 exec, exec, s[10:11]
.LBB550_605:
	s_or_b64 exec, exec, s[8:9]
	s_movk_i32 s7, 0xff
	v_and_b32_sdwa v17, v6, s7 dst_sel:DWORD dst_unused:UNUSED_PAD src0_sel:WORD_1 src1_sel:DWORD
	v_lshrrev_b32_e32 v14, 16, v6
	v_cmp_ne_u16_e32 vcc, 0, v17
	s_and_saveexec_b64 s[8:9], vcc
	s_cbranch_execz .LBB550_611
; %bb.606:
	s_movk_i32 s7, 0x80
	v_cmp_ne_u16_e32 vcc, s7, v17
	v_bfrev_b32_e32 v15, 1
	s_and_saveexec_b64 s[10:11], vcc
	s_cbranch_execz .LBB550_610
; %bb.607:
	v_bfe_u32 v17, v6, 16, 7
	s_movk_i32 s7, 0x7f
	v_cmp_ne_u32_e32 vcc, s7, v17
	v_mov_b32_e32 v15, 0x7f800001
	s_and_saveexec_b64 s[12:13], vcc
	s_cbranch_execz .LBB550_609
; %bb.608:
	v_and_b32_e32 v18, 7, v14
	v_ffbh_u32_e32 v15, v18
	v_min_u32_e32 v21, 32, v15
	v_subrev_u32_e32 v15, 28, v21
	v_lshlrev_b64 v[14:15], v15, v[14:15]
	v_lshrrev_b32_e32 v20, 3, v17
	v_sub_u32_e32 v15, 29, v21
	v_and_b32_e32 v14, 7, v14
	v_cmp_gt_u32_e32 vcc, 8, v17
	v_mov_b32_e32 v17, 24
	v_cndmask_b32_e32 v15, v20, v15, vcc
	v_cndmask_b32_e32 v14, v18, v14, vcc
	v_lshlrev_b32_sdwa v17, v17, v6 dst_sel:DWORD dst_unused:UNUSED_PAD src0_sel:DWORD src1_sel:WORD_1
	v_bfrev_b32_e32 v18, 60
	v_lshlrev_b32_e32 v14, 20, v14
	v_and_b32_e32 v17, 0x80000000, v17
	v_lshl_add_u32 v15, v15, 23, v18
	v_or3_b32 v15, v17, v15, v14
.LBB550_609:
	s_or_b64 exec, exec, s[12:13]
.LBB550_610:
	s_or_b64 exec, exec, s[10:11]
.LBB550_611:
	s_or_b64 exec, exec, s[8:9]
	s_mov_b32 s7, 0xffffff
	v_cmp_lt_u32_e32 vcc, s7, v6
	v_mov_b32_e32 v17, 0
	v_mov_b32_e32 v18, 0
	s_and_saveexec_b64 s[8:9], vcc
	s_cbranch_execz .LBB550_617
; %bb.612:
	v_lshrrev_b32_e32 v14, 24, v6
	s_movk_i32 s7, 0x80
	v_cmp_ne_u32_e32 vcc, s7, v14
	v_bfrev_b32_e32 v18, 1
	s_and_saveexec_b64 s[10:11], vcc
	s_cbranch_execz .LBB550_616
; %bb.613:
	v_bfe_u32 v6, v6, 24, 7
	s_movk_i32 s7, 0x7f
	v_cmp_ne_u32_e32 vcc, s7, v6
	v_mov_b32_e32 v18, 0x7f800001
	s_and_saveexec_b64 s[12:13], vcc
	s_cbranch_execz .LBB550_615
; %bb.614:
	v_and_b32_e32 v18, 7, v14
	v_ffbh_u32_e32 v20, v18
	v_min_u32_e32 v24, 32, v20
	v_subrev_u32_e32 v20, 28, v24
	v_lshlrev_b64 v[20:21], v20, v[14:15]
	v_lshrrev_b32_e32 v23, 3, v6
	v_sub_u32_e32 v21, 29, v24
	v_and_b32_e32 v20, 7, v20
	v_cmp_gt_u32_e32 vcc, 8, v6
	v_cndmask_b32_e32 v6, v23, v21, vcc
	v_cndmask_b32_e32 v18, v18, v20, vcc
	v_lshlrev_b32_e32 v14, 24, v14
	v_bfrev_b32_e32 v20, 60
	v_lshlrev_b32_e32 v18, 20, v18
	v_and_b32_e32 v14, 0x80000000, v14
	v_lshl_add_u32 v6, v6, 23, v20
	v_or3_b32 v18, v14, v6, v18
.LBB550_615:
	s_or_b64 exec, exec, s[12:13]
.LBB550_616:
	s_or_b64 exec, exec, s[10:11]
.LBB550_617:
	s_or_b64 exec, exec, s[8:9]
	v_cmp_ne_u16_sdwa s[10:11], v7, v17 src0_sel:BYTE_0 src1_sel:DWORD
	s_and_saveexec_b64 s[8:9], s[10:11]
	s_cbranch_execz .LBB550_623
; %bb.618:
	s_movk_i32 s7, 0x80
	v_cmp_ne_u16_sdwa s[12:13], v7, s7 src0_sel:BYTE_0 src1_sel:DWORD
	v_bfrev_b32_e32 v17, 1
	s_and_saveexec_b64 s[10:11], s[12:13]
	s_cbranch_execz .LBB550_622
; %bb.619:
	s_movk_i32 s7, 0x7f
	v_and_b32_e32 v6, 0x7f, v7
	v_cmp_ne_u32_e32 vcc, s7, v6
	v_mov_b32_e32 v17, 0x7f800001
	s_and_saveexec_b64 s[12:13], vcc
	s_cbranch_execz .LBB550_621
; %bb.620:
	v_and_b32_e32 v17, 7, v7
	v_ffbh_u32_e32 v20, v17
	v_min_u32_e32 v24, 32, v20
	v_mov_b32_e32 v14, v7
	v_subrev_u32_e32 v20, 28, v24
	v_lshlrev_b64 v[20:21], v20, v[14:15]
	v_lshrrev_b32_e32 v23, 3, v6
	v_sub_u32_e32 v14, 29, v24
	v_and_b32_e32 v20, 7, v20
	v_cmp_gt_u32_e32 vcc, 8, v6
	v_cndmask_b32_e32 v6, v23, v14, vcc
	v_cndmask_b32_e32 v14, v17, v20, vcc
	v_lshlrev_b32_e32 v17, 24, v7
	v_bfrev_b32_e32 v20, 60
	v_lshlrev_b32_e32 v14, 20, v14
	v_and_b32_e32 v17, 0x80000000, v17
	v_lshl_add_u32 v6, v6, 23, v20
	v_or3_b32 v17, v17, v6, v14
.LBB550_621:
	s_or_b64 exec, exec, s[12:13]
.LBB550_622:
	s_or_b64 exec, exec, s[10:11]
.LBB550_623:
	s_or_b64 exec, exec, s[8:9]
	v_lshrrev_b16_e32 v6, 8, v7
	v_cmp_ne_u16_e32 vcc, 0, v6
	v_mov_b32_e32 v20, 0
	v_mov_b32_e32 v21, 0
	s_and_saveexec_b64 s[8:9], vcc
	s_cbranch_execz .LBB550_629
; %bb.624:
	s_movk_i32 s7, 0x80
	v_cmp_ne_u16_e32 vcc, s7, v6
	v_bfrev_b32_e32 v21, 1
	s_and_saveexec_b64 s[10:11], vcc
	s_cbranch_execz .LBB550_628
; %bb.625:
	s_movk_i32 s7, 0x7f
	v_and_b32_e32 v14, 0x7f, v6
	v_cmp_ne_u32_e32 vcc, s7, v14
	v_mov_b32_e32 v21, 0x7f800001
	s_and_saveexec_b64 s[12:13], vcc
	s_cbranch_execz .LBB550_627
; %bb.626:
	v_and_b32_e32 v21, 7, v6
	v_ffbh_u32_e32 v24, v21
	v_min_u32_e32 v27, 32, v24
	v_subrev_u32_e32 v24, 28, v27
	v_lshlrev_b64 v[24:25], v24, v[6:7]
	v_lshrrev_b32_e32 v23, 3, v14
	v_sub_u32_e32 v6, 29, v27
	v_and_b32_e32 v24, 7, v24
	v_cmp_gt_u32_e32 vcc, 8, v14
	v_cndmask_b32_e32 v6, v23, v6, vcc
	v_cndmask_b32_e32 v14, v21, v24, vcc
	v_lshlrev_b32_e32 v21, 16, v7
	v_bfrev_b32_e32 v23, 60
	v_lshlrev_b32_e32 v14, 20, v14
	v_and_b32_e32 v21, 0x80000000, v21
	v_lshl_add_u32 v6, v6, 23, v23
	v_or3_b32 v21, v21, v6, v14
.LBB550_627:
	s_or_b64 exec, exec, s[12:13]
.LBB550_628:
	s_or_b64 exec, exec, s[10:11]
.LBB550_629:
	s_or_b64 exec, exec, s[8:9]
	s_movk_i32 s7, 0xff
	v_and_b32_sdwa v14, v7, s7 dst_sel:DWORD dst_unused:UNUSED_PAD src0_sel:WORD_1 src1_sel:DWORD
	v_lshrrev_b32_e32 v6, 16, v7
	v_cmp_ne_u16_e32 vcc, 0, v14
	s_and_saveexec_b64 s[8:9], vcc
	s_cbranch_execz .LBB550_635
; %bb.630:
	s_movk_i32 s7, 0x80
	v_cmp_ne_u16_e32 vcc, s7, v14
	v_bfrev_b32_e32 v20, 1
	s_and_saveexec_b64 s[10:11], vcc
	s_cbranch_execz .LBB550_634
; %bb.631:
	v_bfe_u32 v14, v7, 16, 7
	s_movk_i32 s7, 0x7f
	v_cmp_ne_u32_e32 vcc, s7, v14
	v_mov_b32_e32 v20, 0x7f800001
	s_and_saveexec_b64 s[12:13], vcc
	s_cbranch_execz .LBB550_633
; %bb.632:
	v_and_b32_e32 v20, 7, v6
	v_ffbh_u32_e32 v24, v20
	v_min_u32_e32 v27, 32, v24
	v_subrev_u32_e32 v24, 28, v27
	v_lshlrev_b64 v[24:25], v24, v[6:7]
	v_and_b32_e32 v24, 7, v24
	v_cmp_gt_u32_e32 vcc, 8, v14
	v_lshrrev_b32_e32 v23, 3, v14
	v_sub_u32_e32 v6, 29, v27
	v_cndmask_b32_e32 v14, v20, v24, vcc
	v_mov_b32_e32 v20, 24
	v_cndmask_b32_e32 v6, v23, v6, vcc
	v_lshlrev_b32_sdwa v20, v20, v7 dst_sel:DWORD dst_unused:UNUSED_PAD src0_sel:DWORD src1_sel:WORD_1
	v_bfrev_b32_e32 v23, 60
	v_lshlrev_b32_e32 v14, 20, v14
	v_and_b32_e32 v20, 0x80000000, v20
	v_lshl_add_u32 v6, v6, 23, v23
	v_or3_b32 v20, v20, v6, v14
.LBB550_633:
	s_or_b64 exec, exec, s[12:13]
.LBB550_634:
	s_or_b64 exec, exec, s[10:11]
.LBB550_635:
	s_or_b64 exec, exec, s[8:9]
	s_mov_b32 s7, 0xffffff
	v_cmp_lt_u32_e32 vcc, s7, v7
	v_mov_b32_e32 v14, 0
	v_mov_b32_e32 v23, 0
	s_and_saveexec_b64 s[8:9], vcc
	s_cbranch_execz .LBB550_641
; %bb.636:
	v_lshrrev_b32_e32 v6, 24, v7
	s_movk_i32 s7, 0x80
	v_cmp_ne_u32_e32 vcc, s7, v6
	v_bfrev_b32_e32 v23, 1
	s_and_saveexec_b64 s[10:11], vcc
	s_cbranch_execz .LBB550_640
; %bb.637:
	v_bfe_u32 v7, v7, 24, 7
	s_movk_i32 s7, 0x7f
	v_cmp_ne_u32_e32 vcc, s7, v7
	v_mov_b32_e32 v23, 0x7f800001
	s_and_saveexec_b64 s[12:13], vcc
	s_cbranch_execz .LBB550_639
; %bb.638:
	v_and_b32_e32 v23, 7, v6
	v_ffbh_u32_e32 v24, v23
	v_min_u32_e32 v28, 32, v24
	v_subrev_u32_e32 v24, 28, v28
	v_lshlrev_b64 v[24:25], v24, v[6:7]
	v_lshrrev_b32_e32 v27, 3, v7
	v_sub_u32_e32 v25, 29, v28
	v_and_b32_e32 v24, 7, v24
	v_cmp_gt_u32_e32 vcc, 8, v7
	v_cndmask_b32_e32 v7, v27, v25, vcc
	v_cndmask_b32_e32 v23, v23, v24, vcc
	v_lshlrev_b32_e32 v6, 24, v6
	v_bfrev_b32_e32 v24, 60
	v_lshlrev_b32_e32 v23, 20, v23
	v_and_b32_e32 v6, 0x80000000, v6
	v_lshl_add_u32 v7, v7, 23, v24
	v_or3_b32 v23, v6, v7, v23
.LBB550_639:
	s_or_b64 exec, exec, s[12:13]
.LBB550_640:
	s_or_b64 exec, exec, s[10:11]
.LBB550_641:
	s_or_b64 exec, exec, s[8:9]
	v_cvt_pkrtz_f16_f32 v6, v19, v16
	v_cvt_pkrtz_f16_f32 v7, v15, v18
	ds_read_b128 v[28:31], v22 offset:4096
	v_cmp_ne_u16_sdwa s[10:11], v8, v14 src0_sel:BYTE_0 src1_sel:DWORD
	s_waitcnt lgkmcnt(0)
	v_mfma_f32_16x16x16f16 v[10:13], v[6:7], v[28:29], v[10:13]
	v_cvt_pkrtz_f16_f32 v6, v17, v21
	v_cvt_pkrtz_f16_f32 v7, v20, v23
	s_nop 1
	v_mfma_f32_16x16x16f16 v[10:13], v[6:7], v[30:31], v[10:13]
	s_and_saveexec_b64 s[8:9], s[10:11]
	s_cbranch_execz .LBB550_647
; %bb.642:
	s_movk_i32 s7, 0x80
	v_cmp_ne_u16_sdwa s[12:13], v8, s7 src0_sel:BYTE_0 src1_sel:DWORD
	v_bfrev_b32_e32 v14, 1
	s_and_saveexec_b64 s[10:11], s[12:13]
	s_cbranch_execz .LBB550_646
; %bb.643:
	s_movk_i32 s7, 0x7f
	v_and_b32_e32 v6, 0x7f, v8
	v_cmp_ne_u32_e32 vcc, s7, v6
	v_mov_b32_e32 v14, 0x7f800001
	s_and_saveexec_b64 s[12:13], vcc
	s_cbranch_execz .LBB550_645
; %bb.644:
	v_and_b32_e32 v7, 7, v8
	v_ffbh_u32_e32 v14, v7
	v_min_u32_e32 v17, 32, v14
	v_subrev_u32_e32 v14, 28, v17
	v_lshlrev_b64 v[14:15], v14, v[8:9]
	v_lshrrev_b32_e32 v16, 3, v6
	v_sub_u32_e32 v15, 29, v17
	v_and_b32_e32 v14, 7, v14
	v_cmp_gt_u32_e32 vcc, 8, v6
	v_cndmask_b32_e32 v6, v16, v15, vcc
	v_cndmask_b32_e32 v7, v7, v14, vcc
	v_lshlrev_b32_e32 v14, 24, v8
	v_bfrev_b32_e32 v15, 60
	v_lshlrev_b32_e32 v7, 20, v7
	v_and_b32_e32 v14, 0x80000000, v14
	v_lshl_add_u32 v6, v6, 23, v15
	v_or3_b32 v14, v14, v6, v7
.LBB550_645:
	s_or_b64 exec, exec, s[12:13]
.LBB550_646:
	s_or_b64 exec, exec, s[10:11]
.LBB550_647:
	s_or_b64 exec, exec, s[8:9]
	v_lshrrev_b16_e32 v6, 8, v8
	v_cmp_ne_u16_e32 vcc, 0, v6
	v_mov_b32_e32 v7, 0
	v_mov_b32_e32 v16, 0
	s_and_saveexec_b64 s[8:9], vcc
	s_cbranch_execz .LBB550_653
; %bb.648:
	s_movk_i32 s7, 0x80
	v_cmp_ne_u16_e32 vcc, s7, v6
	v_bfrev_b32_e32 v16, 1
	s_and_saveexec_b64 s[10:11], vcc
	s_cbranch_execz .LBB550_652
; %bb.649:
	s_movk_i32 s7, 0x7f
	v_and_b32_e32 v15, 0x7f, v6
	v_cmp_ne_u32_e32 vcc, s7, v15
	v_mov_b32_e32 v16, 0x7f800001
	s_and_saveexec_b64 s[12:13], vcc
	s_cbranch_execz .LBB550_651
; %bb.650:
	v_and_b32_e32 v18, 7, v6
	v_ffbh_u32_e32 v16, v18
	v_min_u32_e32 v20, 32, v16
	v_subrev_u32_e32 v16, 28, v20
	v_lshlrev_b64 v[16:17], v16, v[6:7]
	v_lshrrev_b32_e32 v19, 3, v15
	v_sub_u32_e32 v6, 29, v20
	v_and_b32_e32 v16, 7, v16
	v_cmp_gt_u32_e32 vcc, 8, v15
	v_cndmask_b32_e32 v6, v19, v6, vcc
	v_cndmask_b32_e32 v15, v18, v16, vcc
	v_lshlrev_b32_e32 v16, 16, v8
	v_bfrev_b32_e32 v17, 60
	v_lshlrev_b32_e32 v15, 20, v15
	v_and_b32_e32 v16, 0x80000000, v16
	v_lshl_add_u32 v6, v6, 23, v17
	v_or3_b32 v16, v16, v6, v15
.LBB550_651:
	s_or_b64 exec, exec, s[12:13]
.LBB550_652:
	s_or_b64 exec, exec, s[10:11]
.LBB550_653:
	s_or_b64 exec, exec, s[8:9]
	s_movk_i32 s7, 0xff
	v_and_b32_sdwa v15, v8, s7 dst_sel:DWORD dst_unused:UNUSED_PAD src0_sel:WORD_1 src1_sel:DWORD
	v_lshrrev_b32_e32 v6, 16, v8
	v_cmp_ne_u16_e32 vcc, 0, v15
	s_and_saveexec_b64 s[8:9], vcc
	s_cbranch_execz .LBB550_659
; %bb.654:
	s_movk_i32 s7, 0x80
	v_cmp_ne_u16_e32 vcc, s7, v15
	v_bfrev_b32_e32 v7, 1
	s_and_saveexec_b64 s[10:11], vcc
	s_cbranch_execz .LBB550_658
; %bb.655:
	v_bfe_u32 v15, v8, 16, 7
	s_movk_i32 s7, 0x7f
	v_cmp_ne_u32_e32 vcc, s7, v15
	v_mov_b32_e32 v7, 0x7f800001
	s_and_saveexec_b64 s[12:13], vcc
	s_cbranch_execz .LBB550_657
; %bb.656:
	v_and_b32_e32 v17, 7, v6
	v_ffbh_u32_e32 v7, v17
	v_min_u32_e32 v19, 32, v7
	v_subrev_u32_e32 v7, 28, v19
	v_lshlrev_b64 v[6:7], v7, v[6:7]
	v_lshrrev_b32_e32 v18, 3, v15
	v_sub_u32_e32 v7, 29, v19
	v_and_b32_e32 v6, 7, v6
	v_cmp_gt_u32_e32 vcc, 8, v15
	v_mov_b32_e32 v15, 24
	v_cndmask_b32_e32 v7, v18, v7, vcc
	v_cndmask_b32_e32 v6, v17, v6, vcc
	v_lshlrev_b32_sdwa v15, v15, v8 dst_sel:DWORD dst_unused:UNUSED_PAD src0_sel:DWORD src1_sel:WORD_1
	v_bfrev_b32_e32 v17, 60
	v_lshlrev_b32_e32 v6, 20, v6
	v_and_b32_e32 v15, 0x80000000, v15
	v_lshl_add_u32 v7, v7, 23, v17
	v_or3_b32 v7, v15, v7, v6
.LBB550_657:
	s_or_b64 exec, exec, s[12:13]
.LBB550_658:
	s_or_b64 exec, exec, s[10:11]
.LBB550_659:
	s_or_b64 exec, exec, s[8:9]
	s_mov_b32 s7, 0xffffff
	v_cmp_lt_u32_e32 vcc, s7, v8
	v_mov_b32_e32 v17, 0
	v_mov_b32_e32 v18, 0
	s_and_saveexec_b64 s[8:9], vcc
	s_cbranch_execz .LBB550_665
; %bb.660:
	v_lshrrev_b32_e32 v6, 24, v8
	s_movk_i32 s7, 0x80
	v_cmp_ne_u32_e32 vcc, s7, v6
	v_bfrev_b32_e32 v18, 1
	s_and_saveexec_b64 s[10:11], vcc
	s_cbranch_execz .LBB550_664
; %bb.661:
	v_bfe_u32 v8, v8, 24, 7
	s_movk_i32 s7, 0x7f
	v_cmp_ne_u32_e32 vcc, s7, v8
	v_mov_b32_e32 v18, 0x7f800001
	s_and_saveexec_b64 s[12:13], vcc
	s_cbranch_execz .LBB550_663
; %bb.662:
	v_and_b32_e32 v15, 7, v6
	v_ffbh_u32_e32 v18, v15
	v_min_u32_e32 v21, 32, v18
	v_subrev_u32_e32 v18, 28, v21
	v_lshlrev_b64 v[18:19], v18, v[6:7]
	v_lshrrev_b32_e32 v20, 3, v8
	v_sub_u32_e32 v19, 29, v21
	v_and_b32_e32 v18, 7, v18
	v_cmp_gt_u32_e32 vcc, 8, v8
	v_cndmask_b32_e32 v8, v20, v19, vcc
	v_cndmask_b32_e32 v15, v15, v18, vcc
	v_lshlrev_b32_e32 v6, 24, v6
	v_bfrev_b32_e32 v18, 60
	v_lshlrev_b32_e32 v15, 20, v15
	v_and_b32_e32 v6, 0x80000000, v6
	v_lshl_add_u32 v8, v8, 23, v18
	v_or3_b32 v18, v6, v8, v15
.LBB550_663:
	s_or_b64 exec, exec, s[12:13]
.LBB550_664:
	s_or_b64 exec, exec, s[10:11]
.LBB550_665:
	s_or_b64 exec, exec, s[8:9]
	v_cmp_ne_u16_sdwa s[10:11], v9, v17 src0_sel:BYTE_0 src1_sel:DWORD
	s_and_saveexec_b64 s[8:9], s[10:11]
	s_cbranch_execz .LBB550_671
; %bb.666:
	s_movk_i32 s7, 0x80
	v_cmp_ne_u16_sdwa s[12:13], v9, s7 src0_sel:BYTE_0 src1_sel:DWORD
	v_bfrev_b32_e32 v17, 1
	s_and_saveexec_b64 s[10:11], s[12:13]
	s_cbranch_execz .LBB550_670
; %bb.667:
	s_movk_i32 s7, 0x7f
	v_and_b32_e32 v6, 0x7f, v9
	v_cmp_ne_u32_e32 vcc, s7, v6
	v_mov_b32_e32 v17, 0x7f800001
	s_and_saveexec_b64 s[12:13], vcc
	s_cbranch_execz .LBB550_669
; %bb.668:
	v_and_b32_e32 v15, 7, v9
	v_ffbh_u32_e32 v19, v15
	v_min_u32_e32 v19, 32, v19
	v_mov_b32_e32 v8, v9
	v_subrev_u32_e32 v20, 28, v19
	v_lshlrev_b64 v[20:21], v20, v[8:9]
	v_lshrrev_b32_e32 v17, 3, v6
	v_sub_u32_e32 v8, 29, v19
	v_and_b32_e32 v19, 7, v20
	v_cmp_gt_u32_e32 vcc, 8, v6
	v_cndmask_b32_e32 v6, v17, v8, vcc
	v_cndmask_b32_e32 v8, v15, v19, vcc
	v_lshlrev_b32_e32 v15, 24, v9
	v_bfrev_b32_e32 v17, 60
	v_lshlrev_b32_e32 v8, 20, v8
	v_and_b32_e32 v15, 0x80000000, v15
	v_lshl_add_u32 v6, v6, 23, v17
	v_or3_b32 v17, v15, v6, v8
.LBB550_669:
	s_or_b64 exec, exec, s[12:13]
.LBB550_670:
	s_or_b64 exec, exec, s[10:11]
.LBB550_671:
	s_or_b64 exec, exec, s[8:9]
	v_lshrrev_b16_e32 v6, 8, v9
	v_cmp_ne_u16_e32 vcc, 0, v6
	v_mov_b32_e32 v8, 0
	v_mov_b32_e32 v19, 0
	s_and_saveexec_b64 s[8:9], vcc
	s_cbranch_execz .LBB550_677
; %bb.672:
	s_movk_i32 s7, 0x80
	v_cmp_ne_u16_e32 vcc, s7, v6
	v_bfrev_b32_e32 v19, 1
	s_and_saveexec_b64 s[10:11], vcc
	s_cbranch_execz .LBB550_676
; %bb.673:
	s_movk_i32 s7, 0x7f
	v_and_b32_e32 v15, 0x7f, v6
	v_cmp_ne_u32_e32 vcc, s7, v15
	v_mov_b32_e32 v19, 0x7f800001
	s_and_saveexec_b64 s[12:13], vcc
	s_cbranch_execz .LBB550_675
; %bb.674:
	v_and_b32_e32 v19, 7, v6
	v_ffbh_u32_e32 v20, v19
	v_min_u32_e32 v24, 32, v20
	v_subrev_u32_e32 v20, 28, v24
	v_lshlrev_b64 v[20:21], v20, v[6:7]
	v_lshrrev_b32_e32 v23, 3, v15
	v_sub_u32_e32 v6, 29, v24
	v_and_b32_e32 v20, 7, v20
	v_cmp_gt_u32_e32 vcc, 8, v15
	v_cndmask_b32_e32 v6, v23, v6, vcc
	v_cndmask_b32_e32 v15, v19, v20, vcc
	v_lshlrev_b32_e32 v19, 16, v9
	v_bfrev_b32_e32 v20, 60
	v_lshlrev_b32_e32 v15, 20, v15
	v_and_b32_e32 v19, 0x80000000, v19
	v_lshl_add_u32 v6, v6, 23, v20
	v_or3_b32 v19, v19, v6, v15
.LBB550_675:
	s_or_b64 exec, exec, s[12:13]
.LBB550_676:
	s_or_b64 exec, exec, s[10:11]
.LBB550_677:
	s_or_b64 exec, exec, s[8:9]
	s_movk_i32 s7, 0xff
	v_and_b32_sdwa v15, v9, s7 dst_sel:DWORD dst_unused:UNUSED_PAD src0_sel:WORD_1 src1_sel:DWORD
	v_lshrrev_b32_e32 v6, 16, v9
	v_cmp_ne_u16_e32 vcc, 0, v15
	s_and_saveexec_b64 s[8:9], vcc
	s_cbranch_execz .LBB550_683
; %bb.678:
	s_movk_i32 s7, 0x80
	v_cmp_ne_u16_e32 vcc, s7, v15
	v_bfrev_b32_e32 v8, 1
	s_and_saveexec_b64 s[10:11], vcc
	s_cbranch_execz .LBB550_682
; %bb.679:
	v_bfe_u32 v15, v9, 16, 7
	s_movk_i32 s7, 0x7f
	v_cmp_ne_u32_e32 vcc, s7, v15
	v_mov_b32_e32 v8, 0x7f800001
	s_and_saveexec_b64 s[12:13], vcc
	s_cbranch_execz .LBB550_681
; %bb.680:
	v_and_b32_e32 v8, 7, v6
	v_ffbh_u32_e32 v20, v8
	v_min_u32_e32 v24, 32, v20
	v_subrev_u32_e32 v20, 28, v24
	v_lshlrev_b64 v[20:21], v20, v[6:7]
	v_lshrrev_b32_e32 v23, 3, v15
	v_sub_u32_e32 v6, 29, v24
	v_and_b32_e32 v20, 7, v20
	v_cmp_gt_u32_e32 vcc, 8, v15
	v_mov_b32_e32 v15, 24
	v_cndmask_b32_e32 v6, v23, v6, vcc
	v_cndmask_b32_e32 v8, v8, v20, vcc
	v_lshlrev_b32_sdwa v15, v15, v9 dst_sel:DWORD dst_unused:UNUSED_PAD src0_sel:DWORD src1_sel:WORD_1
	v_bfrev_b32_e32 v20, 60
	v_lshlrev_b32_e32 v8, 20, v8
	v_and_b32_e32 v15, 0x80000000, v15
	v_lshl_add_u32 v6, v6, 23, v20
	v_or3_b32 v8, v15, v6, v8
.LBB550_681:
	s_or_b64 exec, exec, s[12:13]
.LBB550_682:
	s_or_b64 exec, exec, s[10:11]
.LBB550_683:
	s_or_b64 exec, exec, s[8:9]
	s_mov_b32 s7, 0xffffff
	v_cmp_lt_u32_e32 vcc, s7, v9
	v_mov_b32_e32 v15, 0
	v_mov_b32_e32 v20, 0
	s_and_saveexec_b64 s[8:9], vcc
	s_cbranch_execz .LBB550_689
; %bb.684:
	v_lshrrev_b32_e32 v6, 24, v9
	s_movk_i32 s7, 0x80
	v_cmp_ne_u32_e32 vcc, s7, v6
	v_bfrev_b32_e32 v20, 1
	s_and_saveexec_b64 s[10:11], vcc
	s_cbranch_execz .LBB550_688
; %bb.685:
	v_bfe_u32 v9, v9, 24, 7
	s_movk_i32 s7, 0x7f
	v_cmp_ne_u32_e32 vcc, s7, v9
	v_mov_b32_e32 v20, 0x7f800001
	s_and_saveexec_b64 s[12:13], vcc
	s_cbranch_execz .LBB550_687
; %bb.686:
	v_and_b32_e32 v23, 7, v6
	v_ffbh_u32_e32 v20, v23
	v_min_u32_e32 v25, 32, v20
	v_subrev_u32_e32 v20, 28, v25
	v_lshlrev_b64 v[20:21], v20, v[6:7]
	v_lshrrev_b32_e32 v24, 3, v9
	v_sub_u32_e32 v21, 29, v25
	v_and_b32_e32 v20, 7, v20
	v_cmp_gt_u32_e32 vcc, 8, v9
	v_cndmask_b32_e32 v9, v24, v21, vcc
	v_cndmask_b32_e32 v20, v23, v20, vcc
	v_lshlrev_b32_e32 v6, 24, v6
	v_bfrev_b32_e32 v21, 60
	v_lshlrev_b32_e32 v20, 20, v20
	v_and_b32_e32 v6, 0x80000000, v6
	v_lshl_add_u32 v9, v9, 23, v21
	v_or3_b32 v20, v6, v9, v20
.LBB550_687:
	s_or_b64 exec, exec, s[12:13]
.LBB550_688:
	s_or_b64 exec, exec, s[10:11]
.LBB550_689:
	s_or_b64 exec, exec, s[8:9]
	v_cvt_pkrtz_f16_f32 v6, v14, v16
	v_cvt_pkrtz_f16_f32 v7, v7, v18
	ds_read_b128 v[28:31], v22 offset:4112
	s_waitcnt vmcnt(0)
	v_cmp_ne_u16_sdwa s[10:11], v2, v15 src0_sel:BYTE_0 src1_sel:DWORD
	s_waitcnt lgkmcnt(0)
	v_mfma_f32_16x16x16f16 v[10:13], v[6:7], v[28:29], v[10:13]
	v_cvt_pkrtz_f16_f32 v6, v17, v19
	v_cvt_pkrtz_f16_f32 v7, v8, v20
	s_nop 1
	v_mfma_f32_16x16x16f16 v[6:9], v[6:7], v[30:31], v[10:13]
	s_and_saveexec_b64 s[8:9], s[10:11]
	s_cbranch_execz .LBB550_695
; %bb.690:
	s_movk_i32 s7, 0x80
	v_cmp_ne_u16_sdwa s[12:13], v2, s7 src0_sel:BYTE_0 src1_sel:DWORD
	v_bfrev_b32_e32 v15, 1
	s_and_saveexec_b64 s[10:11], s[12:13]
	s_cbranch_execz .LBB550_694
; %bb.691:
	s_movk_i32 s7, 0x7f
	v_and_b32_e32 v10, 0x7f, v2
	v_cmp_ne_u32_e32 vcc, s7, v10
	v_mov_b32_e32 v15, 0x7f800001
	s_and_saveexec_b64 s[12:13], vcc
	s_cbranch_execz .LBB550_693
; %bb.692:
	v_and_b32_e32 v11, 7, v2
	v_ffbh_u32_e32 v12, v11
	v_min_u32_e32 v15, 32, v12
	v_subrev_u32_e32 v12, 28, v15
	v_lshlrev_b64 v[12:13], v12, v[2:3]
	v_lshrrev_b32_e32 v14, 3, v10
	v_sub_u32_e32 v13, 29, v15
	v_and_b32_e32 v12, 7, v12
	v_cmp_gt_u32_e32 vcc, 8, v10
	v_cndmask_b32_e32 v10, v14, v13, vcc
	v_cndmask_b32_e32 v11, v11, v12, vcc
	v_lshlrev_b32_e32 v12, 24, v2
	v_bfrev_b32_e32 v13, 60
	v_lshlrev_b32_e32 v11, 20, v11
	v_and_b32_e32 v12, 0x80000000, v12
	v_lshl_add_u32 v10, v10, 23, v13
	v_or3_b32 v15, v12, v10, v11
.LBB550_693:
	s_or_b64 exec, exec, s[12:13]
.LBB550_694:
	s_or_b64 exec, exec, s[10:11]
.LBB550_695:
	s_or_b64 exec, exec, s[8:9]
	s_nop 3
	v_lshrrev_b16_e32 v10, 8, v2
	v_cmp_ne_u16_e32 vcc, 0, v10
	v_mov_b32_e32 v11, 0
	v_mov_b32_e32 v12, 0
	s_and_saveexec_b64 s[8:9], vcc
	s_cbranch_execz .LBB550_701
; %bb.696:
	s_movk_i32 s7, 0x80
	v_cmp_ne_u16_e32 vcc, s7, v10
	v_bfrev_b32_e32 v12, 1
	s_and_saveexec_b64 s[10:11], vcc
	s_cbranch_execz .LBB550_700
; %bb.697:
	s_movk_i32 s7, 0x7f
	v_and_b32_e32 v13, 0x7f, v10
	v_cmp_ne_u32_e32 vcc, s7, v13
	v_mov_b32_e32 v12, 0x7f800001
	s_and_saveexec_b64 s[12:13], vcc
	s_cbranch_execz .LBB550_699
; %bb.698:
	v_and_b32_e32 v12, 7, v10
	v_ffbh_u32_e32 v16, v12
	v_min_u32_e32 v18, 32, v16
	v_subrev_u32_e32 v16, 28, v18
	v_lshlrev_b64 v[16:17], v16, v[10:11]
	v_lshrrev_b32_e32 v14, 3, v13
	v_sub_u32_e32 v10, 29, v18
	v_and_b32_e32 v16, 7, v16
	v_cmp_gt_u32_e32 vcc, 8, v13
	v_cndmask_b32_e32 v10, v14, v10, vcc
	v_cndmask_b32_e32 v12, v12, v16, vcc
	v_lshlrev_b32_e32 v13, 16, v2
	v_bfrev_b32_e32 v14, 60
	v_lshlrev_b32_e32 v12, 20, v12
	v_and_b32_e32 v13, 0x80000000, v13
	v_lshl_add_u32 v10, v10, 23, v14
	v_or3_b32 v12, v13, v10, v12
.LBB550_699:
	s_or_b64 exec, exec, s[12:13]
.LBB550_700:
	s_or_b64 exec, exec, s[10:11]
.LBB550_701:
	s_or_b64 exec, exec, s[8:9]
	s_movk_i32 s7, 0xff
	v_and_b32_sdwa v13, v2, s7 dst_sel:DWORD dst_unused:UNUSED_PAD src0_sel:WORD_1 src1_sel:DWORD
	v_lshrrev_b32_e32 v10, 16, v2
	v_cmp_ne_u16_e32 vcc, 0, v13
	s_and_saveexec_b64 s[8:9], vcc
	s_cbranch_execz .LBB550_707
; %bb.702:
	s_movk_i32 s7, 0x80
	v_cmp_ne_u16_e32 vcc, s7, v13
	v_bfrev_b32_e32 v11, 1
	s_and_saveexec_b64 s[10:11], vcc
	s_cbranch_execz .LBB550_706
; %bb.703:
	v_bfe_u32 v13, v2, 16, 7
	s_movk_i32 s7, 0x7f
	v_cmp_ne_u32_e32 vcc, s7, v13
	v_mov_b32_e32 v11, 0x7f800001
	s_and_saveexec_b64 s[12:13], vcc
	s_cbranch_execz .LBB550_705
; %bb.704:
	v_and_b32_e32 v14, 7, v10
	v_ffbh_u32_e32 v11, v14
	v_min_u32_e32 v17, 32, v11
	v_subrev_u32_e32 v11, 28, v17
	v_lshlrev_b64 v[10:11], v11, v[10:11]
	v_lshrrev_b32_e32 v16, 3, v13
	v_sub_u32_e32 v11, 29, v17
	v_and_b32_e32 v10, 7, v10
	v_cmp_gt_u32_e32 vcc, 8, v13
	v_mov_b32_e32 v13, 24
	v_cndmask_b32_e32 v11, v16, v11, vcc
	v_cndmask_b32_e32 v10, v14, v10, vcc
	v_lshlrev_b32_sdwa v13, v13, v2 dst_sel:DWORD dst_unused:UNUSED_PAD src0_sel:DWORD src1_sel:WORD_1
	v_bfrev_b32_e32 v14, 60
	v_lshlrev_b32_e32 v10, 20, v10
	v_and_b32_e32 v13, 0x80000000, v13
	v_lshl_add_u32 v11, v11, 23, v14
	v_or3_b32 v11, v13, v11, v10
.LBB550_705:
	s_or_b64 exec, exec, s[12:13]
.LBB550_706:
	s_or_b64 exec, exec, s[10:11]
.LBB550_707:
	s_or_b64 exec, exec, s[8:9]
	s_mov_b32 s7, 0xffffff
	v_cmp_lt_u32_e32 vcc, s7, v2
	v_mov_b32_e32 v13, 0
	v_mov_b32_e32 v14, 0
	s_and_saveexec_b64 s[8:9], vcc
	s_cbranch_execz .LBB550_713
; %bb.708:
	v_lshrrev_b32_e32 v10, 24, v2
	s_movk_i32 s7, 0x80
	v_cmp_ne_u32_e32 vcc, s7, v10
	v_bfrev_b32_e32 v14, 1
	s_and_saveexec_b64 s[10:11], vcc
	s_cbranch_execz .LBB550_712
; %bb.709:
	v_bfe_u32 v2, v2, 24, 7
	s_movk_i32 s7, 0x7f
	v_cmp_ne_u32_e32 vcc, s7, v2
	v_mov_b32_e32 v14, 0x7f800001
	s_and_saveexec_b64 s[12:13], vcc
	s_cbranch_execz .LBB550_711
; %bb.710:
	v_and_b32_e32 v14, 7, v10
	v_ffbh_u32_e32 v16, v14
	v_min_u32_e32 v19, 32, v16
	v_subrev_u32_e32 v16, 28, v19
	v_lshlrev_b64 v[16:17], v16, v[10:11]
	v_lshrrev_b32_e32 v18, 3, v2
	v_sub_u32_e32 v17, 29, v19
	v_and_b32_e32 v16, 7, v16
	v_cmp_gt_u32_e32 vcc, 8, v2
	v_cndmask_b32_e32 v2, v18, v17, vcc
	v_cndmask_b32_e32 v14, v14, v16, vcc
	v_lshlrev_b32_e32 v10, 24, v10
	v_bfrev_b32_e32 v16, 60
	v_lshlrev_b32_e32 v14, 20, v14
	v_and_b32_e32 v10, 0x80000000, v10
	v_lshl_add_u32 v2, v2, 23, v16
	v_or3_b32 v14, v10, v2, v14
.LBB550_711:
	s_or_b64 exec, exec, s[12:13]
.LBB550_712:
	s_or_b64 exec, exec, s[10:11]
.LBB550_713:
	s_or_b64 exec, exec, s[8:9]
	v_cmp_ne_u16_sdwa s[10:11], v3, v13 src0_sel:BYTE_0 src1_sel:DWORD
	s_and_saveexec_b64 s[8:9], s[10:11]
	s_cbranch_execz .LBB550_719
; %bb.714:
	s_movk_i32 s7, 0x80
	v_cmp_ne_u16_sdwa s[12:13], v3, s7 src0_sel:BYTE_0 src1_sel:DWORD
	v_bfrev_b32_e32 v13, 1
	s_and_saveexec_b64 s[10:11], s[12:13]
	s_cbranch_execz .LBB550_718
; %bb.715:
	s_movk_i32 s7, 0x7f
	v_and_b32_e32 v2, 0x7f, v3
	v_cmp_ne_u32_e32 vcc, s7, v2
	v_mov_b32_e32 v13, 0x7f800001
	s_and_saveexec_b64 s[12:13], vcc
	s_cbranch_execz .LBB550_717
; %bb.716:
	v_and_b32_e32 v13, 7, v3
	v_ffbh_u32_e32 v16, v13
	v_min_u32_e32 v19, 32, v16
	v_mov_b32_e32 v10, v3
	v_subrev_u32_e32 v16, 28, v19
	v_lshlrev_b64 v[16:17], v16, v[10:11]
	v_lshrrev_b32_e32 v18, 3, v2
	v_sub_u32_e32 v10, 29, v19
	v_and_b32_e32 v16, 7, v16
	v_cmp_gt_u32_e32 vcc, 8, v2
	v_cndmask_b32_e32 v2, v18, v10, vcc
	v_cndmask_b32_e32 v10, v13, v16, vcc
	v_lshlrev_b32_e32 v13, 24, v3
	v_bfrev_b32_e32 v16, 60
	v_lshlrev_b32_e32 v10, 20, v10
	v_and_b32_e32 v13, 0x80000000, v13
	v_lshl_add_u32 v2, v2, 23, v16
	v_or3_b32 v13, v13, v2, v10
.LBB550_717:
	s_or_b64 exec, exec, s[12:13]
.LBB550_718:
	s_or_b64 exec, exec, s[10:11]
.LBB550_719:
	s_or_b64 exec, exec, s[8:9]
	v_lshrrev_b16_e32 v2, 8, v3
	v_cmp_ne_u16_e32 vcc, 0, v2
	v_mov_b32_e32 v16, 0
	v_mov_b32_e32 v17, 0
	s_and_saveexec_b64 s[8:9], vcc
	s_cbranch_execz .LBB550_725
; %bb.720:
	s_movk_i32 s7, 0x80
	v_cmp_ne_u16_e32 vcc, s7, v2
	v_bfrev_b32_e32 v17, 1
	s_and_saveexec_b64 s[10:11], vcc
	s_cbranch_execz .LBB550_724
; %bb.721:
	s_movk_i32 s7, 0x7f
	v_and_b32_e32 v10, 0x7f, v2
	v_cmp_ne_u32_e32 vcc, s7, v10
	v_mov_b32_e32 v17, 0x7f800001
	s_and_saveexec_b64 s[12:13], vcc
	s_cbranch_execz .LBB550_723
; %bb.722:
	v_and_b32_e32 v17, 7, v2
	v_ffbh_u32_e32 v18, v17
	v_min_u32_e32 v21, 32, v18
	v_subrev_u32_e32 v18, 28, v21
	v_lshlrev_b64 v[18:19], v18, v[2:3]
	v_lshrrev_b32_e32 v20, 3, v10
	v_sub_u32_e32 v2, 29, v21
	v_and_b32_e32 v18, 7, v18
	v_cmp_gt_u32_e32 vcc, 8, v10
	v_cndmask_b32_e32 v2, v20, v2, vcc
	v_cndmask_b32_e32 v10, v17, v18, vcc
	v_lshlrev_b32_e32 v17, 16, v3
	v_bfrev_b32_e32 v18, 60
	v_lshlrev_b32_e32 v10, 20, v10
	v_and_b32_e32 v17, 0x80000000, v17
	v_lshl_add_u32 v2, v2, 23, v18
	v_or3_b32 v17, v17, v2, v10
.LBB550_723:
	s_or_b64 exec, exec, s[12:13]
.LBB550_724:
	s_or_b64 exec, exec, s[10:11]
.LBB550_725:
	s_or_b64 exec, exec, s[8:9]
	s_movk_i32 s7, 0xff
	v_and_b32_sdwa v10, v3, s7 dst_sel:DWORD dst_unused:UNUSED_PAD src0_sel:WORD_1 src1_sel:DWORD
	v_lshrrev_b32_e32 v2, 16, v3
	v_cmp_ne_u16_e32 vcc, 0, v10
	s_and_saveexec_b64 s[8:9], vcc
	s_cbranch_execz .LBB550_731
; %bb.726:
	s_movk_i32 s7, 0x80
	v_cmp_ne_u16_e32 vcc, s7, v10
	v_bfrev_b32_e32 v16, 1
	s_and_saveexec_b64 s[10:11], vcc
	s_cbranch_execz .LBB550_730
; %bb.727:
	v_bfe_u32 v10, v3, 16, 7
	s_movk_i32 s7, 0x7f
	v_cmp_ne_u32_e32 vcc, s7, v10
	v_mov_b32_e32 v16, 0x7f800001
	s_and_saveexec_b64 s[12:13], vcc
	s_cbranch_execz .LBB550_729
; %bb.728:
	v_and_b32_e32 v16, 7, v2
	v_ffbh_u32_e32 v18, v16
	v_min_u32_e32 v21, 32, v18
	v_subrev_u32_e32 v18, 28, v21
	v_lshlrev_b64 v[18:19], v18, v[2:3]
	v_and_b32_e32 v18, 7, v18
	v_cmp_gt_u32_e32 vcc, 8, v10
	v_lshrrev_b32_e32 v20, 3, v10
	v_sub_u32_e32 v2, 29, v21
	v_cndmask_b32_e32 v10, v16, v18, vcc
	v_mov_b32_e32 v16, 24
	v_cndmask_b32_e32 v2, v20, v2, vcc
	v_lshlrev_b32_sdwa v16, v16, v3 dst_sel:DWORD dst_unused:UNUSED_PAD src0_sel:DWORD src1_sel:WORD_1
	v_bfrev_b32_e32 v18, 60
	v_lshlrev_b32_e32 v10, 20, v10
	v_and_b32_e32 v16, 0x80000000, v16
	v_lshl_add_u32 v2, v2, 23, v18
	v_or3_b32 v16, v16, v2, v10
.LBB550_729:
	s_or_b64 exec, exec, s[12:13]
.LBB550_730:
	s_or_b64 exec, exec, s[10:11]
.LBB550_731:
	s_or_b64 exec, exec, s[8:9]
	s_mov_b32 s7, 0xffffff
	v_cmp_lt_u32_e32 vcc, s7, v3
	v_mov_b32_e32 v10, 0
	v_mov_b32_e32 v18, 0
	s_and_saveexec_b64 s[8:9], vcc
	s_cbranch_execz .LBB550_737
; %bb.732:
	v_lshrrev_b32_e32 v2, 24, v3
	s_movk_i32 s7, 0x80
	v_cmp_ne_u32_e32 vcc, s7, v2
	v_bfrev_b32_e32 v18, 1
	s_and_saveexec_b64 s[10:11], vcc
	s_cbranch_execz .LBB550_736
; %bb.733:
	v_bfe_u32 v3, v3, 24, 7
	s_movk_i32 s7, 0x7f
	v_cmp_ne_u32_e32 vcc, s7, v3
	v_mov_b32_e32 v18, 0x7f800001
	s_and_saveexec_b64 s[12:13], vcc
	s_cbranch_execz .LBB550_735
; %bb.734:
	v_and_b32_e32 v20, 7, v2
	v_ffbh_u32_e32 v18, v20
	v_min_u32_e32 v23, 32, v18
	v_subrev_u32_e32 v18, 28, v23
	v_lshlrev_b64 v[18:19], v18, v[2:3]
	v_lshrrev_b32_e32 v21, 3, v3
	v_sub_u32_e32 v19, 29, v23
	v_and_b32_e32 v18, 7, v18
	v_cmp_gt_u32_e32 vcc, 8, v3
	v_cndmask_b32_e32 v3, v21, v19, vcc
	v_cndmask_b32_e32 v18, v20, v18, vcc
	v_lshlrev_b32_e32 v2, 24, v2
	v_bfrev_b32_e32 v19, 60
	v_lshlrev_b32_e32 v18, 20, v18
	v_and_b32_e32 v2, 0x80000000, v2
	v_lshl_add_u32 v3, v3, 23, v19
	v_or3_b32 v18, v2, v3, v18
.LBB550_735:
	s_or_b64 exec, exec, s[12:13]
.LBB550_736:
	s_or_b64 exec, exec, s[10:11]
.LBB550_737:
	s_or_b64 exec, exec, s[8:9]
	v_cvt_pkrtz_f16_f32 v2, v15, v12
	v_cvt_pkrtz_f16_f32 v3, v11, v14
	ds_read_b128 v[28:31], v22 offset:6144
	v_cmp_ne_u16_sdwa s[10:11], v4, v10 src0_sel:BYTE_0 src1_sel:DWORD
	s_waitcnt lgkmcnt(0)
	v_mfma_f32_16x16x16f16 v[6:9], v[2:3], v[28:29], v[6:9]
	v_cvt_pkrtz_f16_f32 v2, v13, v17
	v_cvt_pkrtz_f16_f32 v3, v16, v18
	s_nop 1
	v_mfma_f32_16x16x16f16 v[6:9], v[2:3], v[30:31], v[6:9]
	s_and_saveexec_b64 s[8:9], s[10:11]
	s_cbranch_execz .LBB550_743
; %bb.738:
	s_movk_i32 s7, 0x80
	v_cmp_ne_u16_sdwa s[12:13], v4, s7 src0_sel:BYTE_0 src1_sel:DWORD
	v_bfrev_b32_e32 v10, 1
	s_and_saveexec_b64 s[10:11], s[12:13]
	s_cbranch_execz .LBB550_742
; %bb.739:
	s_movk_i32 s7, 0x7f
	v_and_b32_e32 v2, 0x7f, v4
	v_cmp_ne_u32_e32 vcc, s7, v2
	v_mov_b32_e32 v10, 0x7f800001
	s_and_saveexec_b64 s[12:13], vcc
	s_cbranch_execz .LBB550_741
; %bb.740:
	v_and_b32_e32 v3, 7, v4
	v_ffbh_u32_e32 v10, v3
	v_min_u32_e32 v13, 32, v10
	v_subrev_u32_e32 v10, 28, v13
	v_lshlrev_b64 v[10:11], v10, v[4:5]
	v_lshrrev_b32_e32 v12, 3, v2
	v_sub_u32_e32 v11, 29, v13
	v_and_b32_e32 v10, 7, v10
	v_cmp_gt_u32_e32 vcc, 8, v2
	v_cndmask_b32_e32 v2, v12, v11, vcc
	v_cndmask_b32_e32 v3, v3, v10, vcc
	v_lshlrev_b32_e32 v10, 24, v4
	v_bfrev_b32_e32 v11, 60
	v_lshlrev_b32_e32 v3, 20, v3
	v_and_b32_e32 v10, 0x80000000, v10
	v_lshl_add_u32 v2, v2, 23, v11
	v_or3_b32 v10, v10, v2, v3
.LBB550_741:
	s_or_b64 exec, exec, s[12:13]
.LBB550_742:
	s_or_b64 exec, exec, s[10:11]
.LBB550_743:
	s_or_b64 exec, exec, s[8:9]
	v_lshrrev_b16_e32 v2, 8, v4
	v_cmp_ne_u16_e32 vcc, 0, v2
	v_mov_b32_e32 v3, 0
	v_mov_b32_e32 v11, 0
	s_and_saveexec_b64 s[8:9], vcc
	s_cbranch_execz .LBB550_749
; %bb.744:
	s_movk_i32 s7, 0x80
	v_cmp_ne_u16_e32 vcc, s7, v2
	v_bfrev_b32_e32 v11, 1
	s_and_saveexec_b64 s[10:11], vcc
	s_cbranch_execz .LBB550_748
; %bb.745:
	s_movk_i32 s7, 0x7f
	v_and_b32_e32 v12, 0x7f, v2
	v_cmp_ne_u32_e32 vcc, s7, v12
	v_mov_b32_e32 v11, 0x7f800001
	s_and_saveexec_b64 s[12:13], vcc
	s_cbranch_execz .LBB550_747
; %bb.746:
	v_and_b32_e32 v11, 7, v2
	v_ffbh_u32_e32 v14, v11
	v_min_u32_e32 v16, 32, v14
	v_subrev_u32_e32 v14, 28, v16
	v_lshlrev_b64 v[14:15], v14, v[2:3]
	v_lshrrev_b32_e32 v13, 3, v12
	v_sub_u32_e32 v2, 29, v16
	v_and_b32_e32 v14, 7, v14
	v_cmp_gt_u32_e32 vcc, 8, v12
	v_cndmask_b32_e32 v2, v13, v2, vcc
	v_cndmask_b32_e32 v11, v11, v14, vcc
	v_lshlrev_b32_e32 v12, 16, v4
	v_bfrev_b32_e32 v13, 60
	v_lshlrev_b32_e32 v11, 20, v11
	v_and_b32_e32 v12, 0x80000000, v12
	v_lshl_add_u32 v2, v2, 23, v13
	v_or3_b32 v11, v12, v2, v11
.LBB550_747:
	s_or_b64 exec, exec, s[12:13]
.LBB550_748:
	s_or_b64 exec, exec, s[10:11]
.LBB550_749:
	s_or_b64 exec, exec, s[8:9]
	s_movk_i32 s7, 0xff
	v_and_b32_sdwa v12, v4, s7 dst_sel:DWORD dst_unused:UNUSED_PAD src0_sel:WORD_1 src1_sel:DWORD
	v_lshrrev_b32_e32 v2, 16, v4
	v_cmp_ne_u16_e32 vcc, 0, v12
	s_and_saveexec_b64 s[8:9], vcc
	s_cbranch_execz .LBB550_755
; %bb.750:
	s_movk_i32 s7, 0x80
	v_cmp_ne_u16_e32 vcc, s7, v12
	v_bfrev_b32_e32 v3, 1
	s_and_saveexec_b64 s[10:11], vcc
	s_cbranch_execz .LBB550_754
; %bb.751:
	v_bfe_u32 v12, v4, 16, 7
	s_movk_i32 s7, 0x7f
	v_cmp_ne_u32_e32 vcc, s7, v12
	v_mov_b32_e32 v3, 0x7f800001
	s_and_saveexec_b64 s[12:13], vcc
	s_cbranch_execz .LBB550_753
; %bb.752:
	v_and_b32_e32 v13, 7, v2
	v_ffbh_u32_e32 v3, v13
	v_min_u32_e32 v15, 32, v3
	v_subrev_u32_e32 v3, 28, v15
	v_lshlrev_b64 v[2:3], v3, v[2:3]
	v_lshrrev_b32_e32 v14, 3, v12
	v_sub_u32_e32 v3, 29, v15
	v_and_b32_e32 v2, 7, v2
	v_cmp_gt_u32_e32 vcc, 8, v12
	v_mov_b32_e32 v12, 24
	v_cndmask_b32_e32 v3, v14, v3, vcc
	v_cndmask_b32_e32 v2, v13, v2, vcc
	v_lshlrev_b32_sdwa v12, v12, v4 dst_sel:DWORD dst_unused:UNUSED_PAD src0_sel:DWORD src1_sel:WORD_1
	v_bfrev_b32_e32 v13, 60
	v_lshlrev_b32_e32 v2, 20, v2
	v_and_b32_e32 v12, 0x80000000, v12
	v_lshl_add_u32 v3, v3, 23, v13
	v_or3_b32 v3, v12, v3, v2
.LBB550_753:
	s_or_b64 exec, exec, s[12:13]
.LBB550_754:
	s_or_b64 exec, exec, s[10:11]
.LBB550_755:
	s_or_b64 exec, exec, s[8:9]
	s_mov_b32 s7, 0xffffff
	v_cmp_lt_u32_e32 vcc, s7, v4
	v_mov_b32_e32 v12, 0
	v_mov_b32_e32 v13, 0
	s_and_saveexec_b64 s[8:9], vcc
	s_cbranch_execz .LBB550_761
; %bb.756:
	v_lshrrev_b32_e32 v2, 24, v4
	s_movk_i32 s7, 0x80
	v_cmp_ne_u32_e32 vcc, s7, v2
	v_bfrev_b32_e32 v13, 1
	s_and_saveexec_b64 s[10:11], vcc
	s_cbranch_execz .LBB550_760
; %bb.757:
	v_bfe_u32 v4, v4, 24, 7
	s_movk_i32 s7, 0x7f
	v_cmp_ne_u32_e32 vcc, s7, v4
	v_mov_b32_e32 v13, 0x7f800001
	s_and_saveexec_b64 s[12:13], vcc
	s_cbranch_execz .LBB550_759
; %bb.758:
	v_and_b32_e32 v13, 7, v2
	v_ffbh_u32_e32 v14, v13
	v_min_u32_e32 v17, 32, v14
	v_subrev_u32_e32 v14, 28, v17
	v_lshlrev_b64 v[14:15], v14, v[2:3]
	v_lshrrev_b32_e32 v16, 3, v4
	v_sub_u32_e32 v15, 29, v17
	v_and_b32_e32 v14, 7, v14
	v_cmp_gt_u32_e32 vcc, 8, v4
	v_cndmask_b32_e32 v4, v16, v15, vcc
	v_cndmask_b32_e32 v13, v13, v14, vcc
	v_lshlrev_b32_e32 v2, 24, v2
	v_bfrev_b32_e32 v14, 60
	v_lshlrev_b32_e32 v13, 20, v13
	v_and_b32_e32 v2, 0x80000000, v2
	v_lshl_add_u32 v4, v4, 23, v14
	v_or3_b32 v13, v2, v4, v13
.LBB550_759:
	s_or_b64 exec, exec, s[12:13]
.LBB550_760:
	s_or_b64 exec, exec, s[10:11]
.LBB550_761:
	s_or_b64 exec, exec, s[8:9]
	v_cmp_ne_u16_sdwa s[10:11], v5, v12 src0_sel:BYTE_0 src1_sel:DWORD
	s_and_saveexec_b64 s[8:9], s[10:11]
	s_cbranch_execz .LBB550_767
; %bb.762:
	s_movk_i32 s7, 0x80
	v_cmp_ne_u16_sdwa s[12:13], v5, s7 src0_sel:BYTE_0 src1_sel:DWORD
	v_bfrev_b32_e32 v12, 1
	s_and_saveexec_b64 s[10:11], s[12:13]
	s_cbranch_execz .LBB550_766
; %bb.763:
	s_movk_i32 s7, 0x7f
	v_and_b32_e32 v2, 0x7f, v5
	v_cmp_ne_u32_e32 vcc, s7, v2
	v_mov_b32_e32 v12, 0x7f800001
	s_and_saveexec_b64 s[12:13], vcc
	s_cbranch_execz .LBB550_765
; %bb.764:
	v_and_b32_e32 v12, 7, v5
	v_ffbh_u32_e32 v14, v12
	v_min_u32_e32 v17, 32, v14
	v_mov_b32_e32 v4, v5
	v_subrev_u32_e32 v14, 28, v17
	v_lshlrev_b64 v[14:15], v14, v[4:5]
	v_lshrrev_b32_e32 v16, 3, v2
	v_sub_u32_e32 v4, 29, v17
	v_and_b32_e32 v14, 7, v14
	v_cmp_gt_u32_e32 vcc, 8, v2
	v_cndmask_b32_e32 v2, v16, v4, vcc
	v_cndmask_b32_e32 v4, v12, v14, vcc
	v_lshlrev_b32_e32 v12, 24, v5
	v_bfrev_b32_e32 v14, 60
	v_lshlrev_b32_e32 v4, 20, v4
	v_and_b32_e32 v12, 0x80000000, v12
	v_lshl_add_u32 v2, v2, 23, v14
	v_or3_b32 v12, v12, v2, v4
.LBB550_765:
	s_or_b64 exec, exec, s[12:13]
.LBB550_766:
	s_or_b64 exec, exec, s[10:11]
.LBB550_767:
	s_or_b64 exec, exec, s[8:9]
	v_lshrrev_b16_e32 v2, 8, v5
	v_cmp_ne_u16_e32 vcc, 0, v2
	v_mov_b32_e32 v4, 0
	v_mov_b32_e32 v14, 0
	s_and_saveexec_b64 s[8:9], vcc
	s_cbranch_execz .LBB550_773
; %bb.768:
	s_movk_i32 s7, 0x80
	v_cmp_ne_u16_e32 vcc, s7, v2
	v_bfrev_b32_e32 v14, 1
	s_and_saveexec_b64 s[10:11], vcc
	s_cbranch_execz .LBB550_772
; %bb.769:
	s_movk_i32 s7, 0x7f
	v_and_b32_e32 v15, 0x7f, v2
	v_cmp_ne_u32_e32 vcc, s7, v15
	v_mov_b32_e32 v14, 0x7f800001
	s_and_saveexec_b64 s[12:13], vcc
	s_cbranch_execz .LBB550_771
; %bb.770:
	v_and_b32_e32 v14, 7, v2
	v_ffbh_u32_e32 v16, v14
	v_min_u32_e32 v19, 32, v16
	v_subrev_u32_e32 v16, 28, v19
	v_lshlrev_b64 v[16:17], v16, v[2:3]
	v_lshrrev_b32_e32 v18, 3, v15
	v_sub_u32_e32 v2, 29, v19
	v_and_b32_e32 v16, 7, v16
	v_cmp_gt_u32_e32 vcc, 8, v15
	v_cndmask_b32_e32 v2, v18, v2, vcc
	v_cndmask_b32_e32 v14, v14, v16, vcc
	v_lshlrev_b32_e32 v15, 16, v5
	v_bfrev_b32_e32 v16, 60
	v_lshlrev_b32_e32 v14, 20, v14
	v_and_b32_e32 v15, 0x80000000, v15
	v_lshl_add_u32 v2, v2, 23, v16
	v_or3_b32 v14, v15, v2, v14
.LBB550_771:
	s_or_b64 exec, exec, s[12:13]
.LBB550_772:
	s_or_b64 exec, exec, s[10:11]
.LBB550_773:
	s_or_b64 exec, exec, s[8:9]
	s_movk_i32 s7, 0xff
	v_and_b32_sdwa v15, v5, s7 dst_sel:DWORD dst_unused:UNUSED_PAD src0_sel:WORD_1 src1_sel:DWORD
	v_lshrrev_b32_e32 v2, 16, v5
	v_cmp_ne_u16_e32 vcc, 0, v15
	s_and_saveexec_b64 s[8:9], vcc
	s_cbranch_execz .LBB550_779
; %bb.774:
	s_movk_i32 s7, 0x80
	v_cmp_ne_u16_e32 vcc, s7, v15
	v_bfrev_b32_e32 v4, 1
	s_and_saveexec_b64 s[10:11], vcc
	s_cbranch_execz .LBB550_778
; %bb.775:
	v_bfe_u32 v15, v5, 16, 7
	s_movk_i32 s7, 0x7f
	v_cmp_ne_u32_e32 vcc, s7, v15
	v_mov_b32_e32 v4, 0x7f800001
	s_and_saveexec_b64 s[12:13], vcc
	s_cbranch_execz .LBB550_777
; %bb.776:
	v_and_b32_e32 v4, 7, v2
	v_ffbh_u32_e32 v16, v4
	v_min_u32_e32 v19, 32, v16
	v_subrev_u32_e32 v16, 28, v19
	v_lshlrev_b64 v[16:17], v16, v[2:3]
	v_lshrrev_b32_e32 v18, 3, v15
	v_sub_u32_e32 v2, 29, v19
	v_and_b32_e32 v16, 7, v16
	v_cmp_gt_u32_e32 vcc, 8, v15
	v_mov_b32_e32 v15, 24
	v_cndmask_b32_e32 v2, v18, v2, vcc
	v_cndmask_b32_e32 v4, v4, v16, vcc
	v_lshlrev_b32_sdwa v15, v15, v5 dst_sel:DWORD dst_unused:UNUSED_PAD src0_sel:DWORD src1_sel:WORD_1
	v_bfrev_b32_e32 v16, 60
	v_lshlrev_b32_e32 v4, 20, v4
	v_and_b32_e32 v15, 0x80000000, v15
	v_lshl_add_u32 v2, v2, 23, v16
	v_or3_b32 v4, v15, v2, v4
.LBB550_777:
	s_or_b64 exec, exec, s[12:13]
.LBB550_778:
	s_or_b64 exec, exec, s[10:11]
.LBB550_779:
	s_or_b64 exec, exec, s[8:9]
	s_mov_b32 s7, 0xffffff
	v_cmp_lt_u32_e32 vcc, s7, v5
	v_mov_b32_e32 v15, 0
	s_and_saveexec_b64 s[8:9], vcc
	s_cbranch_execz .LBB550_785
; %bb.780:
	v_lshrrev_b32_e32 v2, 24, v5
	s_movk_i32 s7, 0x80
	v_cmp_ne_u32_e32 vcc, s7, v2
	v_bfrev_b32_e32 v15, 1
	s_and_saveexec_b64 s[10:11], vcc
	s_cbranch_execz .LBB550_784
; %bb.781:
	v_bfe_u32 v5, v5, 24, 7
	s_movk_i32 s7, 0x7f
	v_cmp_ne_u32_e32 vcc, s7, v5
	v_mov_b32_e32 v15, 0x7f800001
	s_and_saveexec_b64 s[12:13], vcc
	s_cbranch_execz .LBB550_783
; %bb.782:
	v_and_b32_e32 v15, 7, v2
	v_ffbh_u32_e32 v16, v15
	v_min_u32_e32 v19, 32, v16
	v_subrev_u32_e32 v16, 28, v19
	v_lshlrev_b64 v[16:17], v16, v[2:3]
	v_lshrrev_b32_e32 v18, 3, v5
	v_sub_u32_e32 v17, 29, v19
	v_and_b32_e32 v16, 7, v16
	v_cmp_gt_u32_e32 vcc, 8, v5
	v_cndmask_b32_e32 v5, v18, v17, vcc
	v_cndmask_b32_e32 v15, v15, v16, vcc
	v_lshlrev_b32_e32 v2, 24, v2
	v_bfrev_b32_e32 v16, 60
	v_lshlrev_b32_e32 v15, 20, v15
	v_and_b32_e32 v2, 0x80000000, v2
	v_lshl_add_u32 v5, v5, 23, v16
	v_or3_b32 v15, v2, v5, v15
.LBB550_783:
	s_or_b64 exec, exec, s[12:13]
.LBB550_784:
	s_or_b64 exec, exec, s[10:11]
.LBB550_785:
	s_or_b64 exec, exec, s[8:9]
	v_cvt_pkrtz_f16_f32 v2, v10, v11
	v_cvt_pkrtz_f16_f32 v3, v3, v13
	ds_read_b128 v[16:19], v22 offset:6160
	s_load_dword s8, s[42:43], 0x0
	v_cmp_gt_u32_e32 vcc, 64, v0
	s_waitcnt lgkmcnt(0)
	v_mfma_f32_16x16x16f16 v[6:9], v[2:3], v[16:17], v[6:9]
	v_cvt_pkrtz_f16_f32 v2, v12, v14
	v_cvt_pkrtz_f16_f32 v3, v4, v15
	s_and_b64 s[0:1], vcc, s[0:1]
	s_barrier
	v_mfma_f32_16x16x16f16 v[2:5], v[2:3], v[18:19], v[6:9]
	s_nop 7
	s_nop 2
	v_pk_mul_f32 v[4:5], v[4:5], s[8:9] op_sel_hi:[1,0]
	v_pk_mul_f32 v[2:3], v[2:3], s[8:9] op_sel_hi:[1,0]
	v_cvt_f16_f32_e32 v2, v2
	v_cvt_f16_f32_e32 v3, v3
	;; [unrolled: 1-line block ×4, first 2 shown]
	v_pack_b32_f16 v2, v2, v3
	v_pack_b32_f16 v3, v4, v5
	ds_write_b64 v26, v[2:3]
	s_waitcnt lgkmcnt(0)
	s_barrier
	s_and_saveexec_b64 s[8:9], s[0:1]
	s_cbranch_execz .LBB550_788
; %bb.786:
	s_load_dwordx2 s[4:5], s[4:5], 0x68
	s_lshl_b32 s0, s44, 6
	s_mul_i32 s1, s14, s6
	s_mul_hi_u32 s9, s1, s0
	s_mul_i32 s8, s1, s0
	s_lshl_b64 s[8:9], s[8:9], 1
	s_waitcnt lgkmcnt(0)
	s_add_u32 s1, s4, s8
	v_lshlrev_b32_e32 v0, 10, v0
	s_mov_b32 s7, 0
	s_addc_u32 s8, s5, s9
	s_lshl_b32 s6, s24, 6
	v_and_b32_e32 v0, 0x1800, v0
	v_lshlrev_b32_e32 v2, 5, v1
	v_and_b32_e32 v3, 16, v47
	s_lshl_b64 s[4:5], s[6:7], 1
	v_or3_b32 v0, v0, v2, v3
	s_add_u32 s1, s1, s4
	s_addc_u32 s4, s8, s5
	ds_read_b128 v[4:7], v0 offset:128
	ds_read_b128 v[8:11], v0
	v_add_u32_e32 v14, s25, v1
	v_mov_b32_e32 v3, s4
	v_add_co_u32_e32 v2, vcc, s1, v46
	v_mad_u64_u32 v[12:13], s[4:5], v14, s0, 0
	v_addc_co_u32_e32 v3, vcc, 0, v3, vcc
	v_lshlrev_b64 v[12:13], 1, v[12:13]
	v_add_co_u32_e32 v12, vcc, v2, v12
	v_addc_co_u32_e32 v13, vcc, v3, v13, vcc
	s_waitcnt lgkmcnt(0)
	global_store_dwordx4 v[12:13], v[8:11], off
	s_nop 0
	v_add_u32_e32 v8, 4, v14
	v_mad_u64_u32 v[8:9], s[4:5], v8, s0, 0
	v_lshlrev_b64 v[8:9], 1, v[8:9]
	v_add_co_u32_e32 v8, vcc, v2, v8
	v_addc_co_u32_e32 v9, vcc, v3, v9, vcc
	global_store_dwordx4 v[8:9], v[4:7], off
	s_and_b64 exec, exec, s[2:3]
	s_cbranch_execz .LBB550_788
; %bb.787:
	ds_read_b128 v[4:7], v0 offset:256
	v_add3_u32 v0, s25, v1, 8
	v_mad_u64_u32 v[0:1], s[0:1], v0, s0, 0
	v_lshlrev_b64 v[0:1], 1, v[0:1]
	v_add_co_u32_e32 v0, vcc, v2, v0
	v_addc_co_u32_e32 v1, vcc, v3, v1, vcc
	s_waitcnt lgkmcnt(0)
	global_store_dwordx4 v[0:1], v[4:7], off
.LBB550_788:
	s_endpgm
	.section	.rodata,"a",@progbits
	.p2align	6, 0x0
	.amdhsa_kernel _Z39paged_attention_ll4mi_QKV_mfma16_kernelIDF16_hLN4vllm18Fp8KVCacheDataTypeE1EDF16_Li16ELi64ELi256ELb1ELi9EL8MFMAType0EEvPKT_PKT0_S8_ifPKiSA_SA_iPKfiiiPfSD_PS3_PT2_iSC_SC_
		.amdhsa_group_segment_fixed_size 8192
		.amdhsa_private_segment_fixed_size 0
		.amdhsa_kernarg_size 400
		.amdhsa_user_sgpr_count 6
		.amdhsa_user_sgpr_private_segment_buffer 1
		.amdhsa_user_sgpr_dispatch_ptr 0
		.amdhsa_user_sgpr_queue_ptr 0
		.amdhsa_user_sgpr_kernarg_segment_ptr 1
		.amdhsa_user_sgpr_dispatch_id 0
		.amdhsa_user_sgpr_flat_scratch_init 0
		.amdhsa_user_sgpr_kernarg_preload_length 0
		.amdhsa_user_sgpr_kernarg_preload_offset 0
		.amdhsa_user_sgpr_private_segment_size 0
		.amdhsa_uses_dynamic_stack 0
		.amdhsa_system_sgpr_private_segment_wavefront_offset 0
		.amdhsa_system_sgpr_workgroup_id_x 1
		.amdhsa_system_sgpr_workgroup_id_y 1
		.amdhsa_system_sgpr_workgroup_id_z 1
		.amdhsa_system_sgpr_workgroup_info 0
		.amdhsa_system_vgpr_workitem_id 0
		.amdhsa_next_free_vgpr 62
		.amdhsa_next_free_sgpr 47
		.amdhsa_accum_offset 64
		.amdhsa_reserve_vcc 1
		.amdhsa_reserve_flat_scratch 0
		.amdhsa_float_round_mode_32 0
		.amdhsa_float_round_mode_16_64 0
		.amdhsa_float_denorm_mode_32 3
		.amdhsa_float_denorm_mode_16_64 3
		.amdhsa_dx10_clamp 1
		.amdhsa_ieee_mode 1
		.amdhsa_fp16_overflow 0
		.amdhsa_tg_split 0
		.amdhsa_exception_fp_ieee_invalid_op 0
		.amdhsa_exception_fp_denorm_src 0
		.amdhsa_exception_fp_ieee_div_zero 0
		.amdhsa_exception_fp_ieee_overflow 0
		.amdhsa_exception_fp_ieee_underflow 0
		.amdhsa_exception_fp_ieee_inexact 0
		.amdhsa_exception_int_div_zero 0
	.end_amdhsa_kernel
	.section	.text._Z39paged_attention_ll4mi_QKV_mfma16_kernelIDF16_hLN4vllm18Fp8KVCacheDataTypeE1EDF16_Li16ELi64ELi256ELb1ELi9EL8MFMAType0EEvPKT_PKT0_S8_ifPKiSA_SA_iPKfiiiPfSD_PS3_PT2_iSC_SC_,"axG",@progbits,_Z39paged_attention_ll4mi_QKV_mfma16_kernelIDF16_hLN4vllm18Fp8KVCacheDataTypeE1EDF16_Li16ELi64ELi256ELb1ELi9EL8MFMAType0EEvPKT_PKT0_S8_ifPKiSA_SA_iPKfiiiPfSD_PS3_PT2_iSC_SC_,comdat
.Lfunc_end550:
	.size	_Z39paged_attention_ll4mi_QKV_mfma16_kernelIDF16_hLN4vllm18Fp8KVCacheDataTypeE1EDF16_Li16ELi64ELi256ELb1ELi9EL8MFMAType0EEvPKT_PKT0_S8_ifPKiSA_SA_iPKfiiiPfSD_PS3_PT2_iSC_SC_, .Lfunc_end550-_Z39paged_attention_ll4mi_QKV_mfma16_kernelIDF16_hLN4vllm18Fp8KVCacheDataTypeE1EDF16_Li16ELi64ELi256ELb1ELi9EL8MFMAType0EEvPKT_PKT0_S8_ifPKiSA_SA_iPKfiiiPfSD_PS3_PT2_iSC_SC_
                                        ; -- End function
	.section	.AMDGPU.csdata,"",@progbits
; Kernel info:
; codeLenInByte = 27284
; NumSgprs: 51
; NumVgprs: 62
; NumAgprs: 0
; TotalNumVgprs: 62
; ScratchSize: 0
; MemoryBound: 0
; FloatMode: 240
; IeeeMode: 1
; LDSByteSize: 8192 bytes/workgroup (compile time only)
; SGPRBlocks: 6
; VGPRBlocks: 7
; NumSGPRsForWavesPerEU: 51
; NumVGPRsForWavesPerEU: 62
; AccumOffset: 64
; Occupancy: 8
; WaveLimiterHint : 1
; COMPUTE_PGM_RSRC2:SCRATCH_EN: 0
; COMPUTE_PGM_RSRC2:USER_SGPR: 6
; COMPUTE_PGM_RSRC2:TRAP_HANDLER: 0
; COMPUTE_PGM_RSRC2:TGID_X_EN: 1
; COMPUTE_PGM_RSRC2:TGID_Y_EN: 1
; COMPUTE_PGM_RSRC2:TGID_Z_EN: 1
; COMPUTE_PGM_RSRC2:TIDIG_COMP_CNT: 0
; COMPUTE_PGM_RSRC3_GFX90A:ACCUM_OFFSET: 15
; COMPUTE_PGM_RSRC3_GFX90A:TG_SPLIT: 0
	.section	.text._Z39paged_attention_ll4mi_QKV_mfma16_kernelIDF16_hLN4vllm18Fp8KVCacheDataTypeE1EDF16_Li16ELi64ELi256ELb1ELi10EL8MFMAType0EEvPKT_PKT0_S8_ifPKiSA_SA_iPKfiiiPfSD_PS3_PT2_iSC_SC_,"axG",@progbits,_Z39paged_attention_ll4mi_QKV_mfma16_kernelIDF16_hLN4vllm18Fp8KVCacheDataTypeE1EDF16_Li16ELi64ELi256ELb1ELi10EL8MFMAType0EEvPKT_PKT0_S8_ifPKiSA_SA_iPKfiiiPfSD_PS3_PT2_iSC_SC_,comdat
	.protected	_Z39paged_attention_ll4mi_QKV_mfma16_kernelIDF16_hLN4vllm18Fp8KVCacheDataTypeE1EDF16_Li16ELi64ELi256ELb1ELi10EL8MFMAType0EEvPKT_PKT0_S8_ifPKiSA_SA_iPKfiiiPfSD_PS3_PT2_iSC_SC_ ; -- Begin function _Z39paged_attention_ll4mi_QKV_mfma16_kernelIDF16_hLN4vllm18Fp8KVCacheDataTypeE1EDF16_Li16ELi64ELi256ELb1ELi10EL8MFMAType0EEvPKT_PKT0_S8_ifPKiSA_SA_iPKfiiiPfSD_PS3_PT2_iSC_SC_
	.globl	_Z39paged_attention_ll4mi_QKV_mfma16_kernelIDF16_hLN4vllm18Fp8KVCacheDataTypeE1EDF16_Li16ELi64ELi256ELb1ELi10EL8MFMAType0EEvPKT_PKT0_S8_ifPKiSA_SA_iPKfiiiPfSD_PS3_PT2_iSC_SC_
	.p2align	8
	.type	_Z39paged_attention_ll4mi_QKV_mfma16_kernelIDF16_hLN4vllm18Fp8KVCacheDataTypeE1EDF16_Li16ELi64ELi256ELb1ELi10EL8MFMAType0EEvPKT_PKT0_S8_ifPKiSA_SA_iPKfiiiPfSD_PS3_PT2_iSC_SC_,@function
_Z39paged_attention_ll4mi_QKV_mfma16_kernelIDF16_hLN4vllm18Fp8KVCacheDataTypeE1EDF16_Li16ELi64ELi256ELb1ELi10EL8MFMAType0EEvPKT_PKT0_S8_ifPKiSA_SA_iPKfiiiPfSD_PS3_PT2_iSC_SC_: ; @_Z39paged_attention_ll4mi_QKV_mfma16_kernelIDF16_hLN4vllm18Fp8KVCacheDataTypeE1EDF16_Li16ELi64ELi256ELb1ELi10EL8MFMAType0EEvPKT_PKT0_S8_ifPKiSA_SA_iPKfiiiPfSD_PS3_PT2_iSC_SC_
; %bb.0:
	s_load_dwordx2 s[0:1], s[4:5], 0x30
	s_mov_b32 s24, s7
	s_mov_b64 s[10:11], 0
	s_waitcnt lgkmcnt(0)
	s_cmp_lg_u64 s[0:1], 0
	s_cselect_b64 s[2:3], -1, 0
	s_and_b64 vcc, exec, s[2:3]
	s_cbranch_vccz .LBB551_7
; %bb.1:
	s_add_i32 s12, s6, 1
	s_mov_b32 s13, 0
	s_lshl_b64 s[14:15], s[12:13], 2
	s_add_u32 s14, s0, s14
	s_mov_b32 s7, s13
	s_addc_u32 s15, s1, s15
	s_lshl_b64 s[12:13], s[6:7], 2
	s_add_u32 s12, s0, s12
	s_addc_u32 s13, s1, s13
	s_load_dword s9, s[14:15], 0x0
	s_load_dword s16, s[12:13], 0x0
	s_waitcnt lgkmcnt(0)
	s_sub_i32 s9, s9, s16
	s_cmp_eq_u32 s9, 1
	s_cselect_b64 s[12:13], -1, 0
	s_andn2_b64 vcc, exec, s[10:11]
	s_cbranch_vccnz .LBB551_3
.LBB551_2:
	s_mov_b32 s7, 0
	s_mov_b64 s[12:13], -1
.LBB551_3:
	s_andn2_b64 vcc, exec, s[12:13]
	s_cbranch_vccnz .LBB551_788
; %bb.4:
	s_load_dwordx2 s[12:13], s[4:5], 0x28
	s_lshl_b64 s[10:11], s[6:7], 2
	s_waitcnt lgkmcnt(0)
	s_add_u32 s12, s12, s10
	s_addc_u32 s13, s13, s11
	s_load_dword s33, s[12:13], 0x0
	s_lshl_b32 s18, s24, 8
	s_waitcnt lgkmcnt(0)
	s_cmp_ge_i32 s18, s33
	s_cbranch_scc1 .LBB551_788
; %bb.5:
	s_add_i32 s14, s33, 15
	s_load_dwordx2 s[12:13], s[4:5], 0x20
	s_load_dword s9, s[4:5], 0x38
	s_ashr_i32 s15, s14, 31
	v_and_b32_e32 v1, 0xcf, v0
	s_lshr_b32 s15, s15, 28
	v_add_u32_e32 v1, s18, v1
	s_add_i32 s14, s14, s15
	v_ashrrev_i32_e32 v2, 31, v1
	s_ashr_i32 s21, s14, 4
	v_lshrrev_b32_e32 v4, 28, v2
	s_add_i32 s21, s21, -1
	v_add_u32_e32 v2, v1, v4
	s_waitcnt lgkmcnt(0)
	s_mul_i32 s14, s6, s9
	s_mov_b32 s15, 0
	v_ashrrev_i32_e32 v2, 4, v2
	v_mov_b32_e32 v5, s21
	v_cmp_gt_i32_e32 vcc, s33, v1
	s_lshl_b64 s[14:15], s[14:15], 2
	v_cndmask_b32_e32 v2, v5, v2, vcc
	s_add_u32 s19, s12, s14
	v_ashrrev_i32_e32 v3, 31, v2
	s_addc_u32 s20, s13, s15
	v_lshlrev_b64 v[2:3], 2, v[2:3]
	v_mov_b32_e32 v7, s20
	v_add_co_u32_e32 v6, vcc, s19, v2
	v_or_b32_e32 v2, 16, v1
	v_addc_co_u32_e32 v7, vcc, v7, v3, vcc
	v_add_u32_e32 v3, v2, v4
	v_ashrrev_i32_e32 v3, 4, v3
	v_cmp_gt_i32_e32 vcc, s33, v2
	v_cndmask_b32_e32 v2, v5, v3, vcc
	v_ashrrev_i32_e32 v3, 31, v2
	v_lshlrev_b64 v[2:3], 2, v[2:3]
	v_mov_b32_e32 v9, s20
	v_add_co_u32_e32 v8, vcc, s19, v2
	v_or_b32_e32 v2, 32, v1
	v_addc_co_u32_e32 v9, vcc, v9, v3, vcc
	v_add_u32_e32 v3, v2, v4
	v_ashrrev_i32_e32 v3, 4, v3
	v_cmp_gt_i32_e32 vcc, s33, v2
	v_cndmask_b32_e32 v2, v5, v3, vcc
	v_ashrrev_i32_e32 v3, 31, v2
	;; [unrolled: 10-line block ×3, first 2 shown]
	v_lshlrev_b64 v[2:3], 2, v[2:3]
	v_mov_b32_e32 v1, s20
	v_add_co_u32_e32 v12, vcc, s19, v2
	v_addc_co_u32_e32 v13, vcc, v1, v3, vcc
	global_load_dword v5, v[6:7], off
	global_load_dword v4, v[8:9], off
	;; [unrolled: 1-line block ×4, first 2 shown]
	s_load_dwordx2 s[16:17], s[4:5], 0x8
	s_andn2_b64 vcc, exec, s[2:3]
	s_cbranch_vccnz .LBB551_8
; %bb.6:
	s_add_u32 s0, s0, s10
	s_addc_u32 s1, s1, s11
	s_load_dword s9, s[0:1], 0x0
	s_branch .LBB551_9
.LBB551_7:
	s_mov_b64 s[12:13], 0
	s_branch .LBB551_2
.LBB551_8:
	s_mov_b32 s9, s6
.LBB551_9:
	s_load_dwordx2 s[2:3], s[4:5], 0x10
	s_load_dwordx4 s[12:15], s[4:5], 0x48
	v_lshrrev_b32_e32 v49, 6, v0
	v_bfe_u32 v1, v0, 4, 2
	v_lshl_or_b32 v6, v49, 2, v1
	v_and_b32_e32 v48, 15, v0
	v_lshlrev_b32_e32 v7, 3, v48
	v_cmp_gt_u32_e32 vcc, 10, v6
	v_cmp_gt_u32_e64 s[0:1], 8, v48
	s_mul_i32 s25, s8, 10
	s_and_b64 s[22:23], s[0:1], vcc
	v_lshlrev_b32_e32 v46, 1, v7
	v_lshlrev_b32_e32 v47, 4, v0
	s_and_saveexec_b64 s[10:11], s[22:23]
	s_cbranch_execz .LBB551_11
; %bb.10:
	s_load_dwordx2 s[22:23], s[4:5], 0x0
	s_waitcnt lgkmcnt(0)
	s_ashr_i32 s15, s12, 31
	s_mul_hi_u32 s26, s9, s12
	s_mul_i32 s15, s9, s15
	s_add_i32 s27, s26, s15
	s_mul_i32 s26, s9, s12
	s_lshl_b64 s[26:27], s[26:27], 1
	v_add_lshl_u32 v8, v6, s25, 6
	s_add_u32 s9, s22, s26
	v_ashrrev_i32_e32 v9, 31, v8
	s_addc_u32 s12, s23, s27
	v_lshlrev_b64 v[8:9], 1, v[8:9]
	v_mov_b32_e32 v7, s12
	v_add_co_u32_e32 v8, vcc, s9, v8
	v_addc_co_u32_e32 v7, vcc, v7, v9, vcc
	v_add_co_u32_e32 v8, vcc, v8, v46
	v_addc_co_u32_e32 v9, vcc, 0, v7, vcc
	global_load_dwordx4 v[8:11], v[8:9], off
	v_lshlrev_b32_e32 v12, 8, v48
	v_lshlrev_b32_e32 v6, 5, v6
	v_and_b32_e32 v7, 16, v47
	v_and_b32_e32 v12, 0xe00, v12
	v_or3_b32 v6, v12, v6, v7
	s_waitcnt vmcnt(0)
	ds_write_b128 v6, v[8:11]
.LBB551_11:
	s_or_b64 exec, exec, s[10:11]
	s_waitcnt lgkmcnt(0)
	s_mul_i32 s10, s8, s14
	s_add_u32 s8, s16, s10
	s_addc_u32 s9, s17, 0
	v_and_b32_e32 v7, 0xf0, v47
	v_and_b32_e32 v6, 48, v0
	v_mov_b32_e32 v8, s9
	v_add_co_u32_e32 v7, vcc, s8, v7
	v_addc_co_u32_e32 v9, vcc, 0, v8, vcc
	v_lshlrev_b32_e32 v8, 4, v6
	v_add_co_u32_e32 v8, vcc, v7, v8
	v_addc_co_u32_e32 v9, vcc, 0, v9, vcc
	s_waitcnt vmcnt(3)
	v_mad_i64_i32 v[10:11], s[8:9], v5, s13, v[8:9]
	s_waitcnt vmcnt(2)
	v_mad_i64_i32 v[4:5], s[8:9], v4, s13, v[8:9]
	s_barrier
	global_load_dwordx4 v[34:37], v[10:11], off
	global_load_dwordx4 v[38:41], v[4:5], off
	s_waitcnt vmcnt(3)
	v_mad_i64_i32 v[4:5], s[8:9], v2, s13, v[8:9]
	s_waitcnt vmcnt(2)
	v_mad_i64_i32 v[2:3], s[8:9], v3, s13, v[8:9]
	global_load_dwordx4 v[30:33], v[4:5], off
	global_load_dwordx4 v[22:25], v[2:3], off
	v_add_u32_e32 v2, -10, v48
	v_cmp_gt_u32_e32 vcc, 10, v48
	v_cndmask_b32_e32 v2, v2, v48, vcc
	v_lshlrev_b32_e32 v2, 5, v2
	v_lshl_add_u32 v2, v1, 9, v2
	ds_read_b128 v[26:29], v2
	ds_read_b128 v[18:21], v2 offset:16
	v_mov_b32_e32 v43, 0
	v_mov_b32_e32 v50, 0
	s_and_saveexec_b64 s[8:9], vcc
	s_cbranch_execz .LBB551_13
; %bb.12:
	s_load_dwordx2 s[14:15], s[4:5], 0x40
	v_add_u32_e32 v2, s25, v48
	v_ashrrev_i32_e32 v3, 31, v2
	v_lshlrev_b64 v[2:3], 2, v[2:3]
	s_waitcnt lgkmcnt(0)
	v_mov_b32_e32 v4, s15
	v_add_co_u32_e32 v2, vcc, s14, v2
	v_addc_co_u32_e32 v3, vcc, v4, v3, vcc
	global_load_dword v50, v[2:3], off
.LBB551_13:
	s_or_b64 exec, exec, s[8:9]
	v_or_b32_e32 v8, s18, v6
	v_ashrrev_i32_e32 v2, 4, v8
	v_mov_b32_e32 v9, s21
	v_cmp_gt_i32_e32 vcc, s33, v8
	v_cndmask_b32_e32 v2, v9, v2, vcc
	v_ashrrev_i32_e32 v3, 31, v2
	v_lshlrev_b64 v[2:3], 2, v[2:3]
	v_mov_b32_e32 v4, s20
	v_add_co_u32_e32 v2, vcc, s19, v2
	v_addc_co_u32_e32 v3, vcc, v4, v3, vcc
	v_or_b32_e32 v4, 64, v8
	v_ashrrev_i32_e32 v5, 4, v4
	v_cmp_gt_i32_e32 vcc, s33, v4
	v_cndmask_b32_e32 v4, v9, v5, vcc
	v_ashrrev_i32_e32 v5, 31, v4
	v_lshlrev_b64 v[4:5], 2, v[4:5]
	v_mov_b32_e32 v6, s20
	v_add_co_u32_e32 v4, vcc, s19, v4
	v_addc_co_u32_e32 v5, vcc, v6, v5, vcc
	v_or_b32_e32 v6, 0x80, v8
	v_ashrrev_i32_e32 v7, 4, v6
	v_cmp_gt_i32_e32 vcc, s33, v6
	v_cndmask_b32_e32 v6, v9, v7, vcc
	v_ashrrev_i32_e32 v7, 31, v6
	v_lshlrev_b64 v[6:7], 2, v[6:7]
	v_mov_b32_e32 v10, s20
	v_add_co_u32_e32 v6, vcc, s19, v6
	v_addc_co_u32_e32 v7, vcc, v10, v7, vcc
	global_load_dword v10, v[2:3], off
	global_load_dword v11, v[4:5], off
	;; [unrolled: 1-line block ×3, first 2 shown]
	v_or_b32_e32 v2, 0xc0, v8
	v_ashrrev_i32_e32 v3, 4, v2
	v_cmp_gt_i32_e32 vcc, s33, v2
	v_cndmask_b32_e32 v2, v9, v3, vcc
	v_ashrrev_i32_e32 v3, 31, v2
	v_lshlrev_b64 v[2:3], 2, v[2:3]
	v_mov_b32_e32 v4, s20
	v_add_co_u32_e32 v2, vcc, s19, v2
	v_addc_co_u32_e32 v3, vcc, v4, v3, vcc
	global_load_dword v13, v[2:3], off
	s_add_u32 s2, s2, s10
	v_lshlrev_b32_e32 v2, 4, v48
	s_addc_u32 s3, s3, 0
	v_lshl_or_b32 v2, v49, 8, v2
	v_mov_b32_e32 v3, s3
	v_add_co_u32_e32 v2, vcc, s2, v2
	v_addc_co_u32_e32 v3, vcc, 0, v3, vcc
	s_movk_i32 s8, 0x80
	s_waitcnt vmcnt(7)
	v_cmp_ne_u16_sdwa s[10:11], v34, v43 src0_sel:BYTE_0 src1_sel:DWORD
	s_waitcnt vmcnt(3)
	v_mad_i64_i32 v[4:5], s[2:3], v10, s13, v[2:3]
	s_waitcnt vmcnt(2)
	v_mad_i64_i32 v[6:7], s[2:3], v11, s13, v[2:3]
	;; [unrolled: 2-line block ×4, first 2 shown]
	global_load_dwordx4 v[14:17], v[4:5], off
	global_load_dwordx4 v[10:13], v[6:7], off
                                        ; kill: killed $vgpr6_vgpr7
                                        ; kill: killed $vgpr4_vgpr5
	s_nop 0
	global_load_dwordx4 v[6:9], v[8:9], off
	s_nop 0
	global_load_dwordx4 v[2:5], v[2:3], off
	s_load_dwordx4 s[40:43], s[4:5], 0x80
	s_load_dwordx2 s[44:45], s[4:5], 0x94
                                        ; kill: killed $sgpr40_sgpr41
	s_waitcnt lgkmcnt(0)
	s_load_dword s12, s[40:41], 0x0
	s_and_saveexec_b64 s[2:3], s[10:11]
	s_cbranch_execz .LBB551_19
; %bb.14:
	v_cmp_ne_u16_sdwa s[10:11], v34, s8 src0_sel:BYTE_0 src1_sel:DWORD
	v_bfrev_b32_e32 v43, 1
	s_and_saveexec_b64 s[8:9], s[10:11]
	s_cbranch_execz .LBB551_18
; %bb.15:
	s_movk_i32 s10, 0x7f
	v_and_b32_e32 v42, 0x7f, v34
	v_cmp_ne_u32_e32 vcc, s10, v42
	v_mov_b32_e32 v43, 0x7f800001
	s_and_saveexec_b64 s[10:11], vcc
	s_cbranch_execz .LBB551_17
; %bb.16:
	v_and_b32_e32 v43, 7, v34
	v_ffbh_u32_e32 v44, v43
	v_min_u32_e32 v52, 32, v44
	v_subrev_u32_e32 v44, 28, v52
	v_lshlrev_b64 v[44:45], v44, v[34:35]
	v_lshrrev_b32_e32 v51, 3, v42
	v_sub_u32_e32 v45, 29, v52
	v_and_b32_e32 v44, 7, v44
	v_cmp_gt_u32_e32 vcc, 8, v42
	v_cndmask_b32_e32 v42, v51, v45, vcc
	v_cndmask_b32_e32 v43, v43, v44, vcc
	v_lshlrev_b32_e32 v44, 24, v34
	v_bfrev_b32_e32 v45, 60
	v_lshlrev_b32_e32 v43, 20, v43
	v_and_b32_e32 v44, 0x80000000, v44
	v_lshl_add_u32 v42, v42, 23, v45
	v_or3_b32 v43, v44, v42, v43
.LBB551_17:
	s_or_b64 exec, exec, s[10:11]
.LBB551_18:
	s_or_b64 exec, exec, s[8:9]
.LBB551_19:
	s_or_b64 exec, exec, s[2:3]
	v_lshrrev_b16_e32 v42, 8, v34
	v_cmp_ne_u16_e32 vcc, 0, v42
	v_mov_b32_e32 v44, 0
	v_mov_b32_e32 v45, 0
	s_and_saveexec_b64 s[2:3], vcc
	s_cbranch_execz .LBB551_25
; %bb.20:
	s_movk_i32 s8, 0x80
	v_cmp_ne_u16_sdwa s[10:11], v34, s8 src0_sel:BYTE_1 src1_sel:DWORD
	v_bfrev_b32_e32 v45, 1
	s_and_saveexec_b64 s[8:9], s[10:11]
	s_cbranch_execz .LBB551_24
; %bb.21:
	s_movk_i32 s10, 0x7f
	v_and_b32_e32 v51, 0x7f, v42
	v_cmp_ne_u32_e32 vcc, s10, v51
	v_mov_b32_e32 v45, 0x7f800001
	s_and_saveexec_b64 s[10:11], vcc
	s_cbranch_execz .LBB551_23
; %bb.22:
	v_and_b32_e32 v45, 7, v42
	v_ffbh_u32_e32 v52, v45
	v_min_u32_e32 v55, 32, v52
	v_subrev_u32_e32 v52, 28, v55
	v_lshlrev_b64 v[52:53], v52, v[42:43]
	v_lshrrev_b32_e32 v54, 3, v51
	v_sub_u32_e32 v42, 29, v55
	v_and_b32_e32 v52, 7, v52
	v_cmp_gt_u32_e32 vcc, 8, v51
	v_cndmask_b32_e32 v42, v54, v42, vcc
	v_cndmask_b32_e32 v45, v45, v52, vcc
	v_lshlrev_b32_e32 v51, 16, v34
	v_bfrev_b32_e32 v52, 60
	v_lshlrev_b32_e32 v45, 20, v45
	v_and_b32_e32 v51, 0x80000000, v51
	v_lshl_add_u32 v42, v42, 23, v52
	v_or3_b32 v45, v51, v42, v45
.LBB551_23:
	s_or_b64 exec, exec, s[10:11]
.LBB551_24:
	s_or_b64 exec, exec, s[8:9]
.LBB551_25:
	s_or_b64 exec, exec, s[2:3]
	s_movk_i32 s2, 0xff
	v_and_b32_sdwa v51, v34, s2 dst_sel:DWORD dst_unused:UNUSED_PAD src0_sel:WORD_1 src1_sel:DWORD
	v_lshrrev_b32_e32 v42, 16, v34
	v_cmp_ne_u16_e32 vcc, 0, v51
	s_and_saveexec_b64 s[2:3], vcc
	s_cbranch_execz .LBB551_31
; %bb.26:
	s_movk_i32 s8, 0x80
	v_cmp_ne_u16_e32 vcc, s8, v51
	v_bfrev_b32_e32 v44, 1
	s_and_saveexec_b64 s[8:9], vcc
	s_cbranch_execz .LBB551_30
; %bb.27:
	v_bfe_u32 v51, v34, 16, 7
	s_movk_i32 s10, 0x7f
	v_cmp_ne_u32_e32 vcc, s10, v51
	v_mov_b32_e32 v44, 0x7f800001
	s_and_saveexec_b64 s[10:11], vcc
	s_cbranch_execz .LBB551_29
; %bb.28:
	v_and_b32_e32 v44, 7, v42
	v_ffbh_u32_e32 v52, v44
	v_min_u32_e32 v55, 32, v52
	v_subrev_u32_e32 v52, 28, v55
	v_lshlrev_b64 v[52:53], v52, v[42:43]
	v_lshrrev_b32_e32 v54, 3, v51
	v_sub_u32_e32 v42, 29, v55
	v_and_b32_e32 v52, 7, v52
	v_cmp_gt_u32_e32 vcc, 8, v51
	v_mov_b32_e32 v51, 24
	v_cndmask_b32_e32 v42, v54, v42, vcc
	v_cndmask_b32_e32 v44, v44, v52, vcc
	v_lshlrev_b32_sdwa v51, v51, v34 dst_sel:DWORD dst_unused:UNUSED_PAD src0_sel:DWORD src1_sel:WORD_1
	v_bfrev_b32_e32 v52, 60
	v_lshlrev_b32_e32 v44, 20, v44
	v_and_b32_e32 v51, 0x80000000, v51
	v_lshl_add_u32 v42, v42, 23, v52
	v_or3_b32 v44, v51, v42, v44
.LBB551_29:
	s_or_b64 exec, exec, s[10:11]
.LBB551_30:
	s_or_b64 exec, exec, s[8:9]
.LBB551_31:
	s_or_b64 exec, exec, s[2:3]
	s_mov_b32 s2, 0xffffff
	v_cmp_lt_u32_e32 vcc, s2, v34
	v_mov_b32_e32 v52, 0
	v_mov_b32_e32 v53, 0
	s_and_saveexec_b64 s[2:3], vcc
	s_cbranch_execz .LBB551_37
; %bb.32:
	v_lshrrev_b32_e32 v42, 24, v34
	s_movk_i32 s8, 0x80
	v_cmp_ne_u32_e32 vcc, s8, v42
	v_bfrev_b32_e32 v53, 1
	s_and_saveexec_b64 s[8:9], vcc
	s_cbranch_execz .LBB551_36
; %bb.33:
	v_bfe_u32 v34, v34, 24, 7
	s_movk_i32 s10, 0x7f
	v_cmp_ne_u32_e32 vcc, s10, v34
	v_mov_b32_e32 v53, 0x7f800001
	s_and_saveexec_b64 s[10:11], vcc
	s_cbranch_execz .LBB551_35
; %bb.34:
	v_and_b32_e32 v51, 7, v42
	v_ffbh_u32_e32 v54, v51
	v_min_u32_e32 v56, 32, v54
	v_subrev_u32_e32 v54, 28, v56
	v_lshlrev_b64 v[54:55], v54, v[42:43]
	v_lshrrev_b32_e32 v53, 3, v34
	v_sub_u32_e32 v55, 29, v56
	v_and_b32_e32 v54, 7, v54
	v_cmp_gt_u32_e32 vcc, 8, v34
	v_cndmask_b32_e32 v34, v53, v55, vcc
	v_cndmask_b32_e32 v51, v51, v54, vcc
	v_lshlrev_b32_e32 v42, 24, v42
	v_bfrev_b32_e32 v53, 60
	v_lshlrev_b32_e32 v51, 20, v51
	v_and_b32_e32 v42, 0x80000000, v42
	v_lshl_add_u32 v34, v34, 23, v53
	v_or3_b32 v53, v42, v34, v51
.LBB551_35:
	s_or_b64 exec, exec, s[10:11]
.LBB551_36:
	s_or_b64 exec, exec, s[8:9]
.LBB551_37:
	s_or_b64 exec, exec, s[2:3]
	v_cmp_ne_u16_sdwa s[8:9], v35, v52 src0_sel:BYTE_0 src1_sel:DWORD
	s_and_saveexec_b64 s[2:3], s[8:9]
	s_cbranch_execz .LBB551_43
; %bb.38:
	s_movk_i32 s8, 0x80
	v_cmp_ne_u16_sdwa s[10:11], v35, s8 src0_sel:BYTE_0 src1_sel:DWORD
	v_bfrev_b32_e32 v52, 1
	s_and_saveexec_b64 s[8:9], s[10:11]
	s_cbranch_execz .LBB551_42
; %bb.39:
	s_movk_i32 s10, 0x7f
	v_and_b32_e32 v34, 0x7f, v35
	v_cmp_ne_u32_e32 vcc, s10, v34
	v_mov_b32_e32 v52, 0x7f800001
	s_and_saveexec_b64 s[10:11], vcc
	s_cbranch_execz .LBB551_41
; %bb.40:
	v_and_b32_e32 v51, 7, v35
	v_ffbh_u32_e32 v54, v51
	v_min_u32_e32 v56, 32, v54
	v_mov_b32_e32 v42, v35
	v_subrev_u32_e32 v54, 28, v56
	v_lshlrev_b64 v[54:55], v54, v[42:43]
	v_lshrrev_b32_e32 v52, 3, v34
	v_sub_u32_e32 v42, 29, v56
	v_and_b32_e32 v54, 7, v54
	v_cmp_gt_u32_e32 vcc, 8, v34
	v_cndmask_b32_e32 v34, v52, v42, vcc
	v_cndmask_b32_e32 v42, v51, v54, vcc
	v_lshlrev_b32_e32 v51, 24, v35
	v_bfrev_b32_e32 v52, 60
	v_lshlrev_b32_e32 v42, 20, v42
	v_and_b32_e32 v51, 0x80000000, v51
	v_lshl_add_u32 v34, v34, 23, v52
	v_or3_b32 v52, v51, v34, v42
.LBB551_41:
	s_or_b64 exec, exec, s[10:11]
.LBB551_42:
	s_or_b64 exec, exec, s[8:9]
.LBB551_43:
	s_or_b64 exec, exec, s[2:3]
	v_lshrrev_b16_e32 v34, 8, v35
	v_cmp_ne_u16_e32 vcc, 0, v34
	v_mov_b32_e32 v42, 0
	v_mov_b32_e32 v54, 0
	s_and_saveexec_b64 s[2:3], vcc
	s_cbranch_execz .LBB551_49
; %bb.44:
	s_movk_i32 s8, 0x80
	v_cmp_ne_u16_e32 vcc, s8, v34
	v_bfrev_b32_e32 v54, 1
	s_and_saveexec_b64 s[8:9], vcc
	s_cbranch_execz .LBB551_48
; %bb.45:
	s_movk_i32 s10, 0x7f
	v_and_b32_e32 v51, 0x7f, v34
	v_cmp_ne_u32_e32 vcc, s10, v51
	v_mov_b32_e32 v54, 0x7f800001
	s_and_saveexec_b64 s[10:11], vcc
	s_cbranch_execz .LBB551_47
; %bb.46:
	v_and_b32_e32 v56, 7, v34
	v_ffbh_u32_e32 v54, v56
	v_min_u32_e32 v58, 32, v54
	v_subrev_u32_e32 v54, 28, v58
	v_lshlrev_b64 v[54:55], v54, v[34:35]
	v_lshrrev_b32_e32 v57, 3, v51
	v_sub_u32_e32 v34, 29, v58
	v_and_b32_e32 v54, 7, v54
	v_cmp_gt_u32_e32 vcc, 8, v51
	v_cndmask_b32_e32 v34, v57, v34, vcc
	v_cndmask_b32_e32 v51, v56, v54, vcc
	v_lshlrev_b32_e32 v54, 16, v35
	v_bfrev_b32_e32 v55, 60
	v_lshlrev_b32_e32 v51, 20, v51
	v_and_b32_e32 v54, 0x80000000, v54
	v_lshl_add_u32 v34, v34, 23, v55
	v_or3_b32 v54, v54, v34, v51
.LBB551_47:
	s_or_b64 exec, exec, s[10:11]
.LBB551_48:
	s_or_b64 exec, exec, s[8:9]
.LBB551_49:
	s_or_b64 exec, exec, s[2:3]
	s_movk_i32 s2, 0xff
	v_and_b32_sdwa v51, v35, s2 dst_sel:DWORD dst_unused:UNUSED_PAD src0_sel:WORD_1 src1_sel:DWORD
	v_lshrrev_b32_e32 v34, 16, v35
	v_cmp_ne_u16_e32 vcc, 0, v51
	s_and_saveexec_b64 s[2:3], vcc
	s_cbranch_execz .LBB551_55
; %bb.50:
	s_movk_i32 s8, 0x80
	v_cmp_ne_u16_e32 vcc, s8, v51
	v_bfrev_b32_e32 v42, 1
	s_and_saveexec_b64 s[8:9], vcc
	s_cbranch_execz .LBB551_54
; %bb.51:
	v_bfe_u32 v51, v35, 16, 7
	s_movk_i32 s10, 0x7f
	v_cmp_ne_u32_e32 vcc, s10, v51
	v_mov_b32_e32 v42, 0x7f800001
	s_and_saveexec_b64 s[10:11], vcc
	s_cbranch_execz .LBB551_53
; %bb.52:
	v_and_b32_e32 v42, 7, v34
	v_ffbh_u32_e32 v56, v42
	v_min_u32_e32 v58, 32, v56
	v_subrev_u32_e32 v56, 28, v58
	v_lshlrev_b64 v[56:57], v56, v[34:35]
	v_lshrrev_b32_e32 v55, 3, v51
	v_sub_u32_e32 v34, 29, v58
	v_and_b32_e32 v56, 7, v56
	v_cmp_gt_u32_e32 vcc, 8, v51
	v_mov_b32_e32 v51, 24
	v_cndmask_b32_e32 v34, v55, v34, vcc
	v_cndmask_b32_e32 v42, v42, v56, vcc
	v_lshlrev_b32_sdwa v51, v51, v35 dst_sel:DWORD dst_unused:UNUSED_PAD src0_sel:DWORD src1_sel:WORD_1
	v_bfrev_b32_e32 v55, 60
	v_lshlrev_b32_e32 v42, 20, v42
	v_and_b32_e32 v51, 0x80000000, v51
	v_lshl_add_u32 v34, v34, 23, v55
	v_or3_b32 v42, v51, v34, v42
.LBB551_53:
	s_or_b64 exec, exec, s[10:11]
.LBB551_54:
	s_or_b64 exec, exec, s[8:9]
.LBB551_55:
	s_or_b64 exec, exec, s[2:3]
	s_mov_b32 s2, 0xffffff
	v_cmp_lt_u32_e32 vcc, s2, v35
	v_mov_b32_e32 v51, 0
	v_mov_b32_e32 v55, 0
	s_and_saveexec_b64 s[2:3], vcc
	s_cbranch_execz .LBB551_61
; %bb.56:
	v_lshrrev_b32_e32 v34, 24, v35
	s_movk_i32 s8, 0x80
	v_cmp_ne_u32_e32 vcc, s8, v34
	v_bfrev_b32_e32 v55, 1
	s_and_saveexec_b64 s[8:9], vcc
	s_cbranch_execz .LBB551_60
; %bb.57:
	v_bfe_u32 v35, v35, 24, 7
	s_movk_i32 s10, 0x7f
	v_cmp_ne_u32_e32 vcc, s10, v35
	v_mov_b32_e32 v55, 0x7f800001
	s_and_saveexec_b64 s[10:11], vcc
	s_cbranch_execz .LBB551_59
; %bb.58:
	v_and_b32_e32 v55, 7, v34
	v_ffbh_u32_e32 v56, v55
	v_min_u32_e32 v59, 32, v56
	v_subrev_u32_e32 v56, 28, v59
	v_lshlrev_b64 v[56:57], v56, v[34:35]
	v_lshrrev_b32_e32 v58, 3, v35
	v_sub_u32_e32 v57, 29, v59
	v_and_b32_e32 v56, 7, v56
	v_cmp_gt_u32_e32 vcc, 8, v35
	v_cndmask_b32_e32 v35, v58, v57, vcc
	v_cndmask_b32_e32 v55, v55, v56, vcc
	v_lshlrev_b32_e32 v34, 24, v34
	v_bfrev_b32_e32 v56, 60
	v_lshlrev_b32_e32 v55, 20, v55
	v_and_b32_e32 v34, 0x80000000, v34
	v_lshl_add_u32 v35, v35, 23, v56
	v_or3_b32 v55, v34, v35, v55
.LBB551_59:
	s_or_b64 exec, exec, s[10:11]
.LBB551_60:
	s_or_b64 exec, exec, s[8:9]
.LBB551_61:
	s_or_b64 exec, exec, s[2:3]
	v_cvt_pkrtz_f16_f32 v34, v43, v45
	v_cvt_pkrtz_f16_f32 v35, v44, v53
	v_cmp_ne_u16_sdwa s[8:9], v36, v51 src0_sel:BYTE_0 src1_sel:DWORD
	s_nop 0
	v_mfma_f32_16x16x16f16 v[56:59], v[34:35], v[26:27], 0
	v_cvt_pkrtz_f16_f32 v34, v52, v54
	v_cvt_pkrtz_f16_f32 v35, v42, v55
	s_nop 1
	v_mfma_f32_16x16x16f16 v[42:45], v[34:35], v[28:29], v[56:59]
	s_and_saveexec_b64 s[2:3], s[8:9]
	s_cbranch_execz .LBB551_67
; %bb.62:
	s_movk_i32 s8, 0x80
	v_cmp_ne_u16_sdwa s[10:11], v36, s8 src0_sel:BYTE_0 src1_sel:DWORD
	v_bfrev_b32_e32 v51, 1
	s_and_saveexec_b64 s[8:9], s[10:11]
	s_cbranch_execz .LBB551_66
; %bb.63:
	s_movk_i32 s10, 0x7f
	v_and_b32_e32 v34, 0x7f, v36
	v_cmp_ne_u32_e32 vcc, s10, v34
	v_mov_b32_e32 v51, 0x7f800001
	s_and_saveexec_b64 s[10:11], vcc
	s_cbranch_execz .LBB551_65
; %bb.64:
	v_and_b32_e32 v35, 7, v36
	v_ffbh_u32_e32 v52, v35
	v_min_u32_e32 v54, 32, v52
	v_subrev_u32_e32 v52, 28, v54
	v_lshlrev_b64 v[52:53], v52, v[36:37]
	v_lshrrev_b32_e32 v51, 3, v34
	v_sub_u32_e32 v53, 29, v54
	v_and_b32_e32 v52, 7, v52
	v_cmp_gt_u32_e32 vcc, 8, v34
	v_cndmask_b32_e32 v34, v51, v53, vcc
	v_cndmask_b32_e32 v35, v35, v52, vcc
	v_lshlrev_b32_e32 v51, 24, v36
	v_bfrev_b32_e32 v52, 60
	v_lshlrev_b32_e32 v35, 20, v35
	v_and_b32_e32 v51, 0x80000000, v51
	v_lshl_add_u32 v34, v34, 23, v52
	v_or3_b32 v51, v51, v34, v35
.LBB551_65:
	s_or_b64 exec, exec, s[10:11]
.LBB551_66:
	s_or_b64 exec, exec, s[8:9]
.LBB551_67:
	s_or_b64 exec, exec, s[2:3]
	v_lshrrev_b16_e32 v34, 8, v36
	v_cmp_ne_u16_e32 vcc, 0, v34
	v_mov_b32_e32 v35, 0
	v_mov_b32_e32 v53, 0
	s_and_saveexec_b64 s[2:3], vcc
	s_cbranch_execz .LBB551_73
; %bb.68:
	s_movk_i32 s8, 0x80
	v_cmp_ne_u16_e32 vcc, s8, v34
	v_bfrev_b32_e32 v53, 1
	s_and_saveexec_b64 s[8:9], vcc
	s_cbranch_execz .LBB551_72
; %bb.69:
	s_movk_i32 s10, 0x7f
	v_and_b32_e32 v52, 0x7f, v34
	v_cmp_ne_u32_e32 vcc, s10, v52
	v_mov_b32_e32 v53, 0x7f800001
	s_and_saveexec_b64 s[10:11], vcc
	s_cbranch_execz .LBB551_71
; %bb.70:
	v_and_b32_e32 v53, 7, v34
	v_ffbh_u32_e32 v54, v53
	v_min_u32_e32 v57, 32, v54
	v_subrev_u32_e32 v54, 28, v57
	v_lshlrev_b64 v[54:55], v54, v[34:35]
	v_lshrrev_b32_e32 v56, 3, v52
	v_sub_u32_e32 v34, 29, v57
	v_and_b32_e32 v54, 7, v54
	v_cmp_gt_u32_e32 vcc, 8, v52
	v_cndmask_b32_e32 v34, v56, v34, vcc
	v_cndmask_b32_e32 v52, v53, v54, vcc
	v_lshlrev_b32_e32 v53, 16, v36
	v_bfrev_b32_e32 v54, 60
	v_lshlrev_b32_e32 v52, 20, v52
	v_and_b32_e32 v53, 0x80000000, v53
	v_lshl_add_u32 v34, v34, 23, v54
	v_or3_b32 v53, v53, v34, v52
.LBB551_71:
	s_or_b64 exec, exec, s[10:11]
.LBB551_72:
	s_or_b64 exec, exec, s[8:9]
.LBB551_73:
	s_or_b64 exec, exec, s[2:3]
	s_movk_i32 s2, 0xff
	v_and_b32_sdwa v52, v36, s2 dst_sel:DWORD dst_unused:UNUSED_PAD src0_sel:WORD_1 src1_sel:DWORD
	v_lshrrev_b32_e32 v34, 16, v36
	v_cmp_ne_u16_e32 vcc, 0, v52
	s_and_saveexec_b64 s[2:3], vcc
	s_cbranch_execz .LBB551_79
; %bb.74:
	s_movk_i32 s8, 0x80
	v_cmp_ne_u16_e32 vcc, s8, v52
	v_bfrev_b32_e32 v35, 1
	s_and_saveexec_b64 s[8:9], vcc
	s_cbranch_execz .LBB551_78
; %bb.75:
	v_bfe_u32 v52, v36, 16, 7
	s_movk_i32 s10, 0x7f
	v_cmp_ne_u32_e32 vcc, s10, v52
	v_mov_b32_e32 v35, 0x7f800001
	s_and_saveexec_b64 s[10:11], vcc
	s_cbranch_execz .LBB551_77
; %bb.76:
	v_and_b32_e32 v54, 7, v34
	v_ffbh_u32_e32 v35, v54
	v_min_u32_e32 v56, 32, v35
	v_subrev_u32_e32 v35, 28, v56
	v_lshlrev_b64 v[34:35], v35, v[34:35]
	v_lshrrev_b32_e32 v55, 3, v52
	v_sub_u32_e32 v35, 29, v56
	v_and_b32_e32 v34, 7, v34
	v_cmp_gt_u32_e32 vcc, 8, v52
	v_mov_b32_e32 v52, 24
	v_cndmask_b32_e32 v35, v55, v35, vcc
	v_cndmask_b32_e32 v34, v54, v34, vcc
	v_lshlrev_b32_sdwa v52, v52, v36 dst_sel:DWORD dst_unused:UNUSED_PAD src0_sel:DWORD src1_sel:WORD_1
	v_bfrev_b32_e32 v54, 60
	v_lshlrev_b32_e32 v34, 20, v34
	v_and_b32_e32 v52, 0x80000000, v52
	v_lshl_add_u32 v35, v35, 23, v54
	v_or3_b32 v35, v52, v35, v34
.LBB551_77:
	s_or_b64 exec, exec, s[10:11]
.LBB551_78:
	s_or_b64 exec, exec, s[8:9]
.LBB551_79:
	s_or_b64 exec, exec, s[2:3]
	s_mov_b32 s2, 0xffffff
	v_cmp_lt_u32_e32 vcc, s2, v36
	v_mov_b32_e32 v54, 0
	v_mov_b32_e32 v55, 0
	s_and_saveexec_b64 s[2:3], vcc
	s_cbranch_execz .LBB551_85
; %bb.80:
	v_lshrrev_b32_e32 v34, 24, v36
	s_movk_i32 s8, 0x80
	v_cmp_ne_u32_e32 vcc, s8, v34
	v_bfrev_b32_e32 v55, 1
	s_and_saveexec_b64 s[8:9], vcc
	s_cbranch_execz .LBB551_84
; %bb.81:
	v_bfe_u32 v36, v36, 24, 7
	s_movk_i32 s10, 0x7f
	v_cmp_ne_u32_e32 vcc, s10, v36
	v_mov_b32_e32 v55, 0x7f800001
	s_and_saveexec_b64 s[10:11], vcc
	s_cbranch_execz .LBB551_83
; %bb.82:
	v_and_b32_e32 v52, 7, v34
	v_ffbh_u32_e32 v56, v52
	v_min_u32_e32 v58, 32, v56
	v_subrev_u32_e32 v56, 28, v58
	v_lshlrev_b64 v[56:57], v56, v[34:35]
	v_lshrrev_b32_e32 v55, 3, v36
	v_sub_u32_e32 v57, 29, v58
	v_and_b32_e32 v56, 7, v56
	v_cmp_gt_u32_e32 vcc, 8, v36
	v_cndmask_b32_e32 v36, v55, v57, vcc
	v_cndmask_b32_e32 v52, v52, v56, vcc
	v_lshlrev_b32_e32 v34, 24, v34
	v_bfrev_b32_e32 v55, 60
	v_lshlrev_b32_e32 v52, 20, v52
	v_and_b32_e32 v34, 0x80000000, v34
	v_lshl_add_u32 v36, v36, 23, v55
	v_or3_b32 v55, v34, v36, v52
.LBB551_83:
	s_or_b64 exec, exec, s[10:11]
.LBB551_84:
	s_or_b64 exec, exec, s[8:9]
.LBB551_85:
	s_or_b64 exec, exec, s[2:3]
	v_cmp_ne_u16_sdwa s[8:9], v37, v54 src0_sel:BYTE_0 src1_sel:DWORD
	s_and_saveexec_b64 s[2:3], s[8:9]
	s_cbranch_execz .LBB551_91
; %bb.86:
	s_movk_i32 s8, 0x80
	v_cmp_ne_u16_sdwa s[10:11], v37, s8 src0_sel:BYTE_0 src1_sel:DWORD
	v_bfrev_b32_e32 v54, 1
	s_and_saveexec_b64 s[8:9], s[10:11]
	s_cbranch_execz .LBB551_90
; %bb.87:
	s_movk_i32 s10, 0x7f
	v_and_b32_e32 v34, 0x7f, v37
	v_cmp_ne_u32_e32 vcc, s10, v34
	v_mov_b32_e32 v54, 0x7f800001
	s_and_saveexec_b64 s[10:11], vcc
	s_cbranch_execz .LBB551_89
; %bb.88:
	v_and_b32_e32 v52, 7, v37
	v_ffbh_u32_e32 v56, v52
	v_min_u32_e32 v58, 32, v56
	v_mov_b32_e32 v36, v37
	v_subrev_u32_e32 v56, 28, v58
	v_lshlrev_b64 v[56:57], v56, v[36:37]
	v_lshrrev_b32_e32 v54, 3, v34
	v_sub_u32_e32 v36, 29, v58
	v_and_b32_e32 v56, 7, v56
	v_cmp_gt_u32_e32 vcc, 8, v34
	v_cndmask_b32_e32 v34, v54, v36, vcc
	v_cndmask_b32_e32 v36, v52, v56, vcc
	v_lshlrev_b32_e32 v52, 24, v37
	v_bfrev_b32_e32 v54, 60
	v_lshlrev_b32_e32 v36, 20, v36
	v_and_b32_e32 v52, 0x80000000, v52
	v_lshl_add_u32 v34, v34, 23, v54
	v_or3_b32 v54, v52, v34, v36
.LBB551_89:
	s_or_b64 exec, exec, s[10:11]
.LBB551_90:
	s_or_b64 exec, exec, s[8:9]
.LBB551_91:
	s_or_b64 exec, exec, s[2:3]
	v_lshrrev_b16_e32 v34, 8, v37
	v_cmp_ne_u16_e32 vcc, 0, v34
	v_mov_b32_e32 v36, 0
	v_mov_b32_e32 v56, 0
	s_and_saveexec_b64 s[2:3], vcc
	s_cbranch_execz .LBB551_97
; %bb.92:
	s_movk_i32 s8, 0x80
	v_cmp_ne_u16_e32 vcc, s8, v34
	v_bfrev_b32_e32 v56, 1
	s_and_saveexec_b64 s[8:9], vcc
	s_cbranch_execz .LBB551_96
; %bb.93:
	s_movk_i32 s10, 0x7f
	v_and_b32_e32 v52, 0x7f, v34
	v_cmp_ne_u32_e32 vcc, s10, v52
	v_mov_b32_e32 v56, 0x7f800001
	s_and_saveexec_b64 s[10:11], vcc
	s_cbranch_execz .LBB551_95
; %bb.94:
	v_and_b32_e32 v58, 7, v34
	v_ffbh_u32_e32 v56, v58
	v_min_u32_e32 v60, 32, v56
	v_subrev_u32_e32 v56, 28, v60
	v_lshlrev_b64 v[56:57], v56, v[34:35]
	v_lshrrev_b32_e32 v59, 3, v52
	v_sub_u32_e32 v34, 29, v60
	v_and_b32_e32 v56, 7, v56
	v_cmp_gt_u32_e32 vcc, 8, v52
	v_cndmask_b32_e32 v34, v59, v34, vcc
	v_cndmask_b32_e32 v52, v58, v56, vcc
	v_lshlrev_b32_e32 v56, 16, v37
	v_bfrev_b32_e32 v57, 60
	v_lshlrev_b32_e32 v52, 20, v52
	v_and_b32_e32 v56, 0x80000000, v56
	v_lshl_add_u32 v34, v34, 23, v57
	v_or3_b32 v56, v56, v34, v52
.LBB551_95:
	s_or_b64 exec, exec, s[10:11]
.LBB551_96:
	s_or_b64 exec, exec, s[8:9]
.LBB551_97:
	s_or_b64 exec, exec, s[2:3]
	s_movk_i32 s2, 0xff
	v_and_b32_sdwa v52, v37, s2 dst_sel:DWORD dst_unused:UNUSED_PAD src0_sel:WORD_1 src1_sel:DWORD
	v_lshrrev_b32_e32 v34, 16, v37
	v_cmp_ne_u16_e32 vcc, 0, v52
	s_and_saveexec_b64 s[2:3], vcc
	s_cbranch_execz .LBB551_103
; %bb.98:
	s_movk_i32 s8, 0x80
	v_cmp_ne_u16_e32 vcc, s8, v52
	v_bfrev_b32_e32 v36, 1
	s_and_saveexec_b64 s[8:9], vcc
	s_cbranch_execz .LBB551_102
; %bb.99:
	v_bfe_u32 v52, v37, 16, 7
	s_movk_i32 s10, 0x7f
	v_cmp_ne_u32_e32 vcc, s10, v52
	v_mov_b32_e32 v36, 0x7f800001
	s_and_saveexec_b64 s[10:11], vcc
	s_cbranch_execz .LBB551_101
; %bb.100:
	v_and_b32_e32 v36, 7, v34
	v_ffbh_u32_e32 v58, v36
	v_min_u32_e32 v60, 32, v58
	v_subrev_u32_e32 v58, 28, v60
	v_lshlrev_b64 v[58:59], v58, v[34:35]
	v_lshrrev_b32_e32 v57, 3, v52
	v_sub_u32_e32 v34, 29, v60
	v_and_b32_e32 v58, 7, v58
	v_cmp_gt_u32_e32 vcc, 8, v52
	v_mov_b32_e32 v52, 24
	v_cndmask_b32_e32 v34, v57, v34, vcc
	v_cndmask_b32_e32 v36, v36, v58, vcc
	v_lshlrev_b32_sdwa v52, v52, v37 dst_sel:DWORD dst_unused:UNUSED_PAD src0_sel:DWORD src1_sel:WORD_1
	v_bfrev_b32_e32 v57, 60
	v_lshlrev_b32_e32 v36, 20, v36
	v_and_b32_e32 v52, 0x80000000, v52
	v_lshl_add_u32 v34, v34, 23, v57
	v_or3_b32 v36, v52, v34, v36
.LBB551_101:
	s_or_b64 exec, exec, s[10:11]
.LBB551_102:
	s_or_b64 exec, exec, s[8:9]
.LBB551_103:
	s_or_b64 exec, exec, s[2:3]
	s_mov_b32 s2, 0xffffff
	v_cmp_lt_u32_e32 vcc, s2, v37
	v_mov_b32_e32 v52, 0
	v_mov_b32_e32 v57, 0
	s_and_saveexec_b64 s[2:3], vcc
	s_cbranch_execz .LBB551_109
; %bb.104:
	v_lshrrev_b32_e32 v34, 24, v37
	s_movk_i32 s8, 0x80
	v_cmp_ne_u32_e32 vcc, s8, v34
	v_bfrev_b32_e32 v57, 1
	s_and_saveexec_b64 s[8:9], vcc
	s_cbranch_execz .LBB551_108
; %bb.105:
	v_bfe_u32 v37, v37, 24, 7
	s_movk_i32 s10, 0x7f
	v_cmp_ne_u32_e32 vcc, s10, v37
	v_mov_b32_e32 v57, 0x7f800001
	s_and_saveexec_b64 s[10:11], vcc
	s_cbranch_execz .LBB551_107
; %bb.106:
	v_and_b32_e32 v57, 7, v34
	v_ffbh_u32_e32 v58, v57
	v_min_u32_e32 v61, 32, v58
	v_subrev_u32_e32 v58, 28, v61
	v_lshlrev_b64 v[58:59], v58, v[34:35]
	v_lshrrev_b32_e32 v60, 3, v37
	v_sub_u32_e32 v59, 29, v61
	v_and_b32_e32 v58, 7, v58
	v_cmp_gt_u32_e32 vcc, 8, v37
	v_cndmask_b32_e32 v37, v60, v59, vcc
	v_cndmask_b32_e32 v57, v57, v58, vcc
	v_lshlrev_b32_e32 v34, 24, v34
	v_bfrev_b32_e32 v58, 60
	v_lshlrev_b32_e32 v57, 20, v57
	v_and_b32_e32 v34, 0x80000000, v34
	v_lshl_add_u32 v37, v37, 23, v58
	v_or3_b32 v57, v34, v37, v57
.LBB551_107:
	s_or_b64 exec, exec, s[10:11]
.LBB551_108:
	s_or_b64 exec, exec, s[8:9]
.LBB551_109:
	s_or_b64 exec, exec, s[2:3]
	v_cvt_pkrtz_f16_f32 v34, v51, v53
	v_cvt_pkrtz_f16_f32 v35, v35, v55
	v_cmp_ne_u16_sdwa s[8:9], v38, v52 src0_sel:BYTE_0 src1_sel:DWORD
	s_nop 0
	v_mfma_f32_16x16x16f16 v[42:45], v[34:35], v[18:19], v[42:45]
	v_cvt_pkrtz_f16_f32 v34, v54, v56
	v_cvt_pkrtz_f16_f32 v35, v36, v57
	s_nop 1
	v_mfma_f32_16x16x16f16 v[34:37], v[34:35], v[20:21], v[42:45]
	s_and_saveexec_b64 s[2:3], s[8:9]
	s_cbranch_execz .LBB551_115
; %bb.110:
	s_movk_i32 s8, 0x80
	v_cmp_ne_u16_sdwa s[10:11], v38, s8 src0_sel:BYTE_0 src1_sel:DWORD
	v_bfrev_b32_e32 v52, 1
	s_and_saveexec_b64 s[8:9], s[10:11]
	s_cbranch_execz .LBB551_114
; %bb.111:
	s_movk_i32 s10, 0x7f
	v_and_b32_e32 v42, 0x7f, v38
	v_cmp_ne_u32_e32 vcc, s10, v42
	v_mov_b32_e32 v52, 0x7f800001
	s_and_saveexec_b64 s[10:11], vcc
	s_cbranch_execz .LBB551_113
; %bb.112:
	v_and_b32_e32 v43, 7, v38
	v_ffbh_u32_e32 v44, v43
	v_min_u32_e32 v52, 32, v44
	v_subrev_u32_e32 v44, 28, v52
	v_lshlrev_b64 v[44:45], v44, v[38:39]
	v_lshrrev_b32_e32 v51, 3, v42
	v_sub_u32_e32 v45, 29, v52
	v_and_b32_e32 v44, 7, v44
	v_cmp_gt_u32_e32 vcc, 8, v42
	v_cndmask_b32_e32 v42, v51, v45, vcc
	v_cndmask_b32_e32 v43, v43, v44, vcc
	v_lshlrev_b32_e32 v44, 24, v38
	v_bfrev_b32_e32 v45, 60
	v_lshlrev_b32_e32 v43, 20, v43
	v_and_b32_e32 v44, 0x80000000, v44
	v_lshl_add_u32 v42, v42, 23, v45
	v_or3_b32 v52, v44, v42, v43
.LBB551_113:
	s_or_b64 exec, exec, s[10:11]
.LBB551_114:
	s_or_b64 exec, exec, s[8:9]
.LBB551_115:
	s_or_b64 exec, exec, s[2:3]
	s_nop 3
	v_lshrrev_b16_e32 v42, 8, v38
	v_cmp_ne_u16_e32 vcc, 0, v42
	v_mov_b32_e32 v43, 0
	v_mov_b32_e32 v44, 0
	s_and_saveexec_b64 s[2:3], vcc
	s_cbranch_execz .LBB551_121
; %bb.116:
	s_movk_i32 s8, 0x80
	v_cmp_ne_u16_e32 vcc, s8, v42
	v_bfrev_b32_e32 v44, 1
	s_and_saveexec_b64 s[8:9], vcc
	s_cbranch_execz .LBB551_120
; %bb.117:
	s_movk_i32 s10, 0x7f
	v_and_b32_e32 v45, 0x7f, v42
	v_cmp_ne_u32_e32 vcc, s10, v45
	v_mov_b32_e32 v44, 0x7f800001
	s_and_saveexec_b64 s[10:11], vcc
	s_cbranch_execz .LBB551_119
; %bb.118:
	v_and_b32_e32 v44, 7, v42
	v_ffbh_u32_e32 v53, v44
	v_min_u32_e32 v53, 32, v53
	v_subrev_u32_e32 v54, 28, v53
	v_lshlrev_b64 v[54:55], v54, v[42:43]
	v_lshrrev_b32_e32 v51, 3, v45
	v_sub_u32_e32 v42, 29, v53
	v_and_b32_e32 v53, 7, v54
	v_cmp_gt_u32_e32 vcc, 8, v45
	v_cndmask_b32_e32 v42, v51, v42, vcc
	v_cndmask_b32_e32 v44, v44, v53, vcc
	v_lshlrev_b32_e32 v45, 16, v38
	v_bfrev_b32_e32 v51, 60
	v_lshlrev_b32_e32 v44, 20, v44
	v_and_b32_e32 v45, 0x80000000, v45
	v_lshl_add_u32 v42, v42, 23, v51
	v_or3_b32 v44, v45, v42, v44
.LBB551_119:
	s_or_b64 exec, exec, s[10:11]
.LBB551_120:
	s_or_b64 exec, exec, s[8:9]
.LBB551_121:
	s_or_b64 exec, exec, s[2:3]
	s_movk_i32 s2, 0xff
	v_and_b32_sdwa v45, v38, s2 dst_sel:DWORD dst_unused:UNUSED_PAD src0_sel:WORD_1 src1_sel:DWORD
	v_lshrrev_b32_e32 v42, 16, v38
	v_cmp_ne_u16_e32 vcc, 0, v45
	s_and_saveexec_b64 s[2:3], vcc
	s_cbranch_execz .LBB551_127
; %bb.122:
	s_movk_i32 s8, 0x80
	v_cmp_ne_u16_e32 vcc, s8, v45
	v_bfrev_b32_e32 v43, 1
	s_and_saveexec_b64 s[8:9], vcc
	s_cbranch_execz .LBB551_126
; %bb.123:
	v_bfe_u32 v45, v38, 16, 7
	s_movk_i32 s10, 0x7f
	v_cmp_ne_u32_e32 vcc, s10, v45
	v_mov_b32_e32 v43, 0x7f800001
	s_and_saveexec_b64 s[10:11], vcc
	s_cbranch_execz .LBB551_125
; %bb.124:
	v_and_b32_e32 v51, 7, v42
	v_ffbh_u32_e32 v43, v51
	v_min_u32_e32 v54, 32, v43
	v_subrev_u32_e32 v43, 28, v54
	v_lshlrev_b64 v[42:43], v43, v[42:43]
	v_lshrrev_b32_e32 v53, 3, v45
	v_sub_u32_e32 v43, 29, v54
	v_and_b32_e32 v42, 7, v42
	v_cmp_gt_u32_e32 vcc, 8, v45
	v_mov_b32_e32 v45, 24
	v_cndmask_b32_e32 v43, v53, v43, vcc
	v_cndmask_b32_e32 v42, v51, v42, vcc
	v_lshlrev_b32_sdwa v45, v45, v38 dst_sel:DWORD dst_unused:UNUSED_PAD src0_sel:DWORD src1_sel:WORD_1
	v_bfrev_b32_e32 v51, 60
	v_lshlrev_b32_e32 v42, 20, v42
	v_and_b32_e32 v45, 0x80000000, v45
	v_lshl_add_u32 v43, v43, 23, v51
	v_or3_b32 v43, v45, v43, v42
.LBB551_125:
	s_or_b64 exec, exec, s[10:11]
.LBB551_126:
	s_or_b64 exec, exec, s[8:9]
.LBB551_127:
	s_or_b64 exec, exec, s[2:3]
	s_mov_b32 s2, 0xffffff
	v_cmp_lt_u32_e32 vcc, s2, v38
	v_mov_b32_e32 v45, 0
	v_mov_b32_e32 v53, 0
	s_and_saveexec_b64 s[2:3], vcc
	s_cbranch_execz .LBB551_133
; %bb.128:
	v_lshrrev_b32_e32 v42, 24, v38
	s_movk_i32 s8, 0x80
	v_cmp_ne_u32_e32 vcc, s8, v42
	v_bfrev_b32_e32 v53, 1
	s_and_saveexec_b64 s[8:9], vcc
	s_cbranch_execz .LBB551_132
; %bb.129:
	v_bfe_u32 v38, v38, 24, 7
	s_movk_i32 s10, 0x7f
	v_cmp_ne_u32_e32 vcc, s10, v38
	v_mov_b32_e32 v53, 0x7f800001
	s_and_saveexec_b64 s[10:11], vcc
	s_cbranch_execz .LBB551_131
; %bb.130:
	v_and_b32_e32 v51, 7, v42
	v_ffbh_u32_e32 v54, v51
	v_min_u32_e32 v56, 32, v54
	v_subrev_u32_e32 v54, 28, v56
	v_lshlrev_b64 v[54:55], v54, v[42:43]
	v_lshrrev_b32_e32 v53, 3, v38
	v_sub_u32_e32 v55, 29, v56
	v_and_b32_e32 v54, 7, v54
	v_cmp_gt_u32_e32 vcc, 8, v38
	v_cndmask_b32_e32 v38, v53, v55, vcc
	v_cndmask_b32_e32 v51, v51, v54, vcc
	v_lshlrev_b32_e32 v42, 24, v42
	v_bfrev_b32_e32 v53, 60
	v_lshlrev_b32_e32 v51, 20, v51
	v_and_b32_e32 v42, 0x80000000, v42
	v_lshl_add_u32 v38, v38, 23, v53
	v_or3_b32 v53, v42, v38, v51
.LBB551_131:
	s_or_b64 exec, exec, s[10:11]
.LBB551_132:
	s_or_b64 exec, exec, s[8:9]
.LBB551_133:
	s_or_b64 exec, exec, s[2:3]
	v_cmp_ne_u16_sdwa s[8:9], v39, v45 src0_sel:BYTE_0 src1_sel:DWORD
	s_and_saveexec_b64 s[2:3], s[8:9]
	s_cbranch_execz .LBB551_139
; %bb.134:
	s_movk_i32 s8, 0x80
	v_cmp_ne_u16_sdwa s[10:11], v39, s8 src0_sel:BYTE_0 src1_sel:DWORD
	v_bfrev_b32_e32 v45, 1
	s_and_saveexec_b64 s[8:9], s[10:11]
	s_cbranch_execz .LBB551_138
; %bb.135:
	s_movk_i32 s10, 0x7f
	v_and_b32_e32 v38, 0x7f, v39
	v_cmp_ne_u32_e32 vcc, s10, v38
	v_mov_b32_e32 v45, 0x7f800001
	s_and_saveexec_b64 s[10:11], vcc
	s_cbranch_execz .LBB551_137
; %bb.136:
	v_and_b32_e32 v45, 7, v39
	v_ffbh_u32_e32 v54, v45
	v_min_u32_e32 v56, 32, v54
	v_mov_b32_e32 v42, v39
	v_subrev_u32_e32 v54, 28, v56
	v_lshlrev_b64 v[54:55], v54, v[42:43]
	v_lshrrev_b32_e32 v51, 3, v38
	v_sub_u32_e32 v42, 29, v56
	v_and_b32_e32 v54, 7, v54
	v_cmp_gt_u32_e32 vcc, 8, v38
	v_cndmask_b32_e32 v38, v51, v42, vcc
	v_cndmask_b32_e32 v42, v45, v54, vcc
	v_lshlrev_b32_e32 v45, 24, v39
	v_bfrev_b32_e32 v51, 60
	v_lshlrev_b32_e32 v42, 20, v42
	v_and_b32_e32 v45, 0x80000000, v45
	v_lshl_add_u32 v38, v38, 23, v51
	v_or3_b32 v45, v45, v38, v42
.LBB551_137:
	s_or_b64 exec, exec, s[10:11]
.LBB551_138:
	s_or_b64 exec, exec, s[8:9]
.LBB551_139:
	s_or_b64 exec, exec, s[2:3]
	v_lshrrev_b16_e32 v38, 8, v39
	v_cmp_ne_u16_e32 vcc, 0, v38
	v_mov_b32_e32 v42, 0
	v_mov_b32_e32 v54, 0
	s_and_saveexec_b64 s[2:3], vcc
	s_cbranch_execz .LBB551_145
; %bb.140:
	s_movk_i32 s8, 0x80
	v_cmp_ne_u16_e32 vcc, s8, v38
	v_bfrev_b32_e32 v54, 1
	s_and_saveexec_b64 s[8:9], vcc
	s_cbranch_execz .LBB551_144
; %bb.141:
	s_movk_i32 s10, 0x7f
	v_and_b32_e32 v51, 0x7f, v38
	v_cmp_ne_u32_e32 vcc, s10, v51
	v_mov_b32_e32 v54, 0x7f800001
	s_and_saveexec_b64 s[10:11], vcc
	s_cbranch_execz .LBB551_143
; %bb.142:
	v_and_b32_e32 v56, 7, v38
	v_ffbh_u32_e32 v54, v56
	v_min_u32_e32 v58, 32, v54
	v_subrev_u32_e32 v54, 28, v58
	v_lshlrev_b64 v[54:55], v54, v[38:39]
	v_lshrrev_b32_e32 v57, 3, v51
	v_sub_u32_e32 v38, 29, v58
	v_and_b32_e32 v54, 7, v54
	v_cmp_gt_u32_e32 vcc, 8, v51
	v_cndmask_b32_e32 v38, v57, v38, vcc
	v_cndmask_b32_e32 v51, v56, v54, vcc
	v_lshlrev_b32_e32 v54, 16, v39
	v_bfrev_b32_e32 v55, 60
	v_lshlrev_b32_e32 v51, 20, v51
	v_and_b32_e32 v54, 0x80000000, v54
	v_lshl_add_u32 v38, v38, 23, v55
	v_or3_b32 v54, v54, v38, v51
.LBB551_143:
	s_or_b64 exec, exec, s[10:11]
.LBB551_144:
	s_or_b64 exec, exec, s[8:9]
.LBB551_145:
	s_or_b64 exec, exec, s[2:3]
	s_movk_i32 s2, 0xff
	v_and_b32_sdwa v51, v39, s2 dst_sel:DWORD dst_unused:UNUSED_PAD src0_sel:WORD_1 src1_sel:DWORD
	v_lshrrev_b32_e32 v38, 16, v39
	v_cmp_ne_u16_e32 vcc, 0, v51
	s_and_saveexec_b64 s[2:3], vcc
	s_cbranch_execz .LBB551_151
; %bb.146:
	s_movk_i32 s8, 0x80
	v_cmp_ne_u16_e32 vcc, s8, v51
	v_bfrev_b32_e32 v42, 1
	s_and_saveexec_b64 s[8:9], vcc
	s_cbranch_execz .LBB551_150
; %bb.147:
	v_bfe_u32 v51, v39, 16, 7
	s_movk_i32 s10, 0x7f
	v_cmp_ne_u32_e32 vcc, s10, v51
	v_mov_b32_e32 v42, 0x7f800001
	s_and_saveexec_b64 s[10:11], vcc
	s_cbranch_execz .LBB551_149
; %bb.148:
	v_and_b32_e32 v42, 7, v38
	v_ffbh_u32_e32 v56, v42
	v_min_u32_e32 v58, 32, v56
	v_subrev_u32_e32 v56, 28, v58
	v_lshlrev_b64 v[56:57], v56, v[38:39]
	v_lshrrev_b32_e32 v55, 3, v51
	v_sub_u32_e32 v38, 29, v58
	v_and_b32_e32 v56, 7, v56
	v_cmp_gt_u32_e32 vcc, 8, v51
	v_mov_b32_e32 v51, 24
	v_cndmask_b32_e32 v38, v55, v38, vcc
	v_cndmask_b32_e32 v42, v42, v56, vcc
	v_lshlrev_b32_sdwa v51, v51, v39 dst_sel:DWORD dst_unused:UNUSED_PAD src0_sel:DWORD src1_sel:WORD_1
	v_bfrev_b32_e32 v55, 60
	v_lshlrev_b32_e32 v42, 20, v42
	v_and_b32_e32 v51, 0x80000000, v51
	v_lshl_add_u32 v38, v38, 23, v55
	v_or3_b32 v42, v51, v38, v42
.LBB551_149:
	s_or_b64 exec, exec, s[10:11]
.LBB551_150:
	s_or_b64 exec, exec, s[8:9]
.LBB551_151:
	s_or_b64 exec, exec, s[2:3]
	s_mov_b32 s2, 0xffffff
	v_cmp_lt_u32_e32 vcc, s2, v39
	v_mov_b32_e32 v51, 0
	v_mov_b32_e32 v55, 0
	s_and_saveexec_b64 s[2:3], vcc
	s_cbranch_execz .LBB551_157
; %bb.152:
	v_lshrrev_b32_e32 v38, 24, v39
	s_movk_i32 s8, 0x80
	v_cmp_ne_u32_e32 vcc, s8, v38
	v_bfrev_b32_e32 v55, 1
	s_and_saveexec_b64 s[8:9], vcc
	s_cbranch_execz .LBB551_156
; %bb.153:
	v_bfe_u32 v39, v39, 24, 7
	s_movk_i32 s10, 0x7f
	v_cmp_ne_u32_e32 vcc, s10, v39
	v_mov_b32_e32 v55, 0x7f800001
	s_and_saveexec_b64 s[10:11], vcc
	s_cbranch_execz .LBB551_155
; %bb.154:
	v_and_b32_e32 v55, 7, v38
	v_ffbh_u32_e32 v56, v55
	v_min_u32_e32 v59, 32, v56
	v_subrev_u32_e32 v56, 28, v59
	v_lshlrev_b64 v[56:57], v56, v[38:39]
	v_lshrrev_b32_e32 v58, 3, v39
	v_sub_u32_e32 v57, 29, v59
	v_and_b32_e32 v56, 7, v56
	v_cmp_gt_u32_e32 vcc, 8, v39
	v_cndmask_b32_e32 v39, v58, v57, vcc
	v_cndmask_b32_e32 v55, v55, v56, vcc
	v_lshlrev_b32_e32 v38, 24, v38
	v_bfrev_b32_e32 v56, 60
	v_lshlrev_b32_e32 v55, 20, v55
	v_and_b32_e32 v38, 0x80000000, v38
	v_lshl_add_u32 v39, v39, 23, v56
	v_or3_b32 v55, v38, v39, v55
.LBB551_155:
	s_or_b64 exec, exec, s[10:11]
.LBB551_156:
	s_or_b64 exec, exec, s[8:9]
.LBB551_157:
	s_or_b64 exec, exec, s[2:3]
	v_cvt_pkrtz_f16_f32 v38, v52, v44
	v_cvt_pkrtz_f16_f32 v39, v43, v53
	v_cmp_ne_u16_sdwa s[8:9], v40, v51 src0_sel:BYTE_0 src1_sel:DWORD
	s_nop 0
	v_mfma_f32_16x16x16f16 v[56:59], v[38:39], v[26:27], 0
	v_cvt_pkrtz_f16_f32 v38, v45, v54
	v_cvt_pkrtz_f16_f32 v39, v42, v55
	s_nop 1
	v_mfma_f32_16x16x16f16 v[42:45], v[38:39], v[28:29], v[56:59]
	s_and_saveexec_b64 s[2:3], s[8:9]
	s_cbranch_execz .LBB551_163
; %bb.158:
	s_movk_i32 s8, 0x80
	v_cmp_ne_u16_sdwa s[10:11], v40, s8 src0_sel:BYTE_0 src1_sel:DWORD
	v_bfrev_b32_e32 v51, 1
	s_and_saveexec_b64 s[8:9], s[10:11]
	s_cbranch_execz .LBB551_162
; %bb.159:
	s_movk_i32 s10, 0x7f
	v_and_b32_e32 v38, 0x7f, v40
	v_cmp_ne_u32_e32 vcc, s10, v38
	v_mov_b32_e32 v51, 0x7f800001
	s_and_saveexec_b64 s[10:11], vcc
	s_cbranch_execz .LBB551_161
; %bb.160:
	v_and_b32_e32 v39, 7, v40
	v_ffbh_u32_e32 v52, v39
	v_min_u32_e32 v54, 32, v52
	v_subrev_u32_e32 v52, 28, v54
	v_lshlrev_b64 v[52:53], v52, v[40:41]
	v_lshrrev_b32_e32 v51, 3, v38
	v_sub_u32_e32 v53, 29, v54
	v_and_b32_e32 v52, 7, v52
	v_cmp_gt_u32_e32 vcc, 8, v38
	v_cndmask_b32_e32 v38, v51, v53, vcc
	v_cndmask_b32_e32 v39, v39, v52, vcc
	v_lshlrev_b32_e32 v51, 24, v40
	v_bfrev_b32_e32 v52, 60
	v_lshlrev_b32_e32 v39, 20, v39
	v_and_b32_e32 v51, 0x80000000, v51
	v_lshl_add_u32 v38, v38, 23, v52
	v_or3_b32 v51, v51, v38, v39
.LBB551_161:
	s_or_b64 exec, exec, s[10:11]
.LBB551_162:
	s_or_b64 exec, exec, s[8:9]
.LBB551_163:
	s_or_b64 exec, exec, s[2:3]
	v_lshrrev_b16_e32 v38, 8, v40
	v_cmp_ne_u16_e32 vcc, 0, v38
	v_mov_b32_e32 v39, 0
	v_mov_b32_e32 v53, 0
	s_and_saveexec_b64 s[2:3], vcc
	s_cbranch_execz .LBB551_169
; %bb.164:
	s_movk_i32 s8, 0x80
	v_cmp_ne_u16_e32 vcc, s8, v38
	v_bfrev_b32_e32 v53, 1
	s_and_saveexec_b64 s[8:9], vcc
	s_cbranch_execz .LBB551_168
; %bb.165:
	s_movk_i32 s10, 0x7f
	v_and_b32_e32 v52, 0x7f, v38
	v_cmp_ne_u32_e32 vcc, s10, v52
	v_mov_b32_e32 v53, 0x7f800001
	s_and_saveexec_b64 s[10:11], vcc
	s_cbranch_execz .LBB551_167
; %bb.166:
	v_and_b32_e32 v53, 7, v38
	v_ffbh_u32_e32 v54, v53
	v_min_u32_e32 v57, 32, v54
	v_subrev_u32_e32 v54, 28, v57
	v_lshlrev_b64 v[54:55], v54, v[38:39]
	v_lshrrev_b32_e32 v56, 3, v52
	v_sub_u32_e32 v38, 29, v57
	v_and_b32_e32 v54, 7, v54
	v_cmp_gt_u32_e32 vcc, 8, v52
	v_cndmask_b32_e32 v38, v56, v38, vcc
	v_cndmask_b32_e32 v52, v53, v54, vcc
	v_lshlrev_b32_e32 v53, 16, v40
	v_bfrev_b32_e32 v54, 60
	v_lshlrev_b32_e32 v52, 20, v52
	v_and_b32_e32 v53, 0x80000000, v53
	v_lshl_add_u32 v38, v38, 23, v54
	v_or3_b32 v53, v53, v38, v52
.LBB551_167:
	s_or_b64 exec, exec, s[10:11]
.LBB551_168:
	s_or_b64 exec, exec, s[8:9]
.LBB551_169:
	s_or_b64 exec, exec, s[2:3]
	s_movk_i32 s2, 0xff
	v_and_b32_sdwa v52, v40, s2 dst_sel:DWORD dst_unused:UNUSED_PAD src0_sel:WORD_1 src1_sel:DWORD
	v_lshrrev_b32_e32 v38, 16, v40
	v_cmp_ne_u16_e32 vcc, 0, v52
	s_and_saveexec_b64 s[2:3], vcc
	s_cbranch_execz .LBB551_175
; %bb.170:
	s_movk_i32 s8, 0x80
	v_cmp_ne_u16_e32 vcc, s8, v52
	v_bfrev_b32_e32 v39, 1
	s_and_saveexec_b64 s[8:9], vcc
	s_cbranch_execz .LBB551_174
; %bb.171:
	v_bfe_u32 v52, v40, 16, 7
	s_movk_i32 s10, 0x7f
	v_cmp_ne_u32_e32 vcc, s10, v52
	v_mov_b32_e32 v39, 0x7f800001
	s_and_saveexec_b64 s[10:11], vcc
	s_cbranch_execz .LBB551_173
; %bb.172:
	v_and_b32_e32 v54, 7, v38
	v_ffbh_u32_e32 v39, v54
	v_min_u32_e32 v56, 32, v39
	v_subrev_u32_e32 v39, 28, v56
	v_lshlrev_b64 v[38:39], v39, v[38:39]
	v_lshrrev_b32_e32 v55, 3, v52
	v_sub_u32_e32 v39, 29, v56
	v_and_b32_e32 v38, 7, v38
	v_cmp_gt_u32_e32 vcc, 8, v52
	v_mov_b32_e32 v52, 24
	v_cndmask_b32_e32 v39, v55, v39, vcc
	v_cndmask_b32_e32 v38, v54, v38, vcc
	v_lshlrev_b32_sdwa v52, v52, v40 dst_sel:DWORD dst_unused:UNUSED_PAD src0_sel:DWORD src1_sel:WORD_1
	v_bfrev_b32_e32 v54, 60
	v_lshlrev_b32_e32 v38, 20, v38
	v_and_b32_e32 v52, 0x80000000, v52
	v_lshl_add_u32 v39, v39, 23, v54
	v_or3_b32 v39, v52, v39, v38
.LBB551_173:
	s_or_b64 exec, exec, s[10:11]
.LBB551_174:
	s_or_b64 exec, exec, s[8:9]
.LBB551_175:
	s_or_b64 exec, exec, s[2:3]
	s_mov_b32 s2, 0xffffff
	v_cmp_lt_u32_e32 vcc, s2, v40
	v_mov_b32_e32 v54, 0
	v_mov_b32_e32 v55, 0
	s_and_saveexec_b64 s[2:3], vcc
	s_cbranch_execz .LBB551_181
; %bb.176:
	v_lshrrev_b32_e32 v38, 24, v40
	s_movk_i32 s8, 0x80
	v_cmp_ne_u32_e32 vcc, s8, v38
	v_bfrev_b32_e32 v55, 1
	s_and_saveexec_b64 s[8:9], vcc
	s_cbranch_execz .LBB551_180
; %bb.177:
	v_bfe_u32 v40, v40, 24, 7
	s_movk_i32 s10, 0x7f
	v_cmp_ne_u32_e32 vcc, s10, v40
	v_mov_b32_e32 v55, 0x7f800001
	s_and_saveexec_b64 s[10:11], vcc
	s_cbranch_execz .LBB551_179
; %bb.178:
	v_and_b32_e32 v52, 7, v38
	v_ffbh_u32_e32 v56, v52
	v_min_u32_e32 v58, 32, v56
	v_subrev_u32_e32 v56, 28, v58
	v_lshlrev_b64 v[56:57], v56, v[38:39]
	v_lshrrev_b32_e32 v55, 3, v40
	v_sub_u32_e32 v57, 29, v58
	v_and_b32_e32 v56, 7, v56
	v_cmp_gt_u32_e32 vcc, 8, v40
	v_cndmask_b32_e32 v40, v55, v57, vcc
	v_cndmask_b32_e32 v52, v52, v56, vcc
	v_lshlrev_b32_e32 v38, 24, v38
	v_bfrev_b32_e32 v55, 60
	v_lshlrev_b32_e32 v52, 20, v52
	v_and_b32_e32 v38, 0x80000000, v38
	v_lshl_add_u32 v40, v40, 23, v55
	v_or3_b32 v55, v38, v40, v52
.LBB551_179:
	s_or_b64 exec, exec, s[10:11]
.LBB551_180:
	s_or_b64 exec, exec, s[8:9]
.LBB551_181:
	s_or_b64 exec, exec, s[2:3]
	v_cmp_ne_u16_sdwa s[8:9], v41, v54 src0_sel:BYTE_0 src1_sel:DWORD
	s_and_saveexec_b64 s[2:3], s[8:9]
	s_cbranch_execz .LBB551_187
; %bb.182:
	s_movk_i32 s8, 0x80
	v_cmp_ne_u16_sdwa s[10:11], v41, s8 src0_sel:BYTE_0 src1_sel:DWORD
	v_bfrev_b32_e32 v54, 1
	s_and_saveexec_b64 s[8:9], s[10:11]
	s_cbranch_execz .LBB551_186
; %bb.183:
	s_movk_i32 s10, 0x7f
	v_and_b32_e32 v38, 0x7f, v41
	v_cmp_ne_u32_e32 vcc, s10, v38
	v_mov_b32_e32 v54, 0x7f800001
	s_and_saveexec_b64 s[10:11], vcc
	s_cbranch_execz .LBB551_185
; %bb.184:
	v_and_b32_e32 v52, 7, v41
	v_ffbh_u32_e32 v56, v52
	v_min_u32_e32 v58, 32, v56
	v_mov_b32_e32 v40, v41
	v_subrev_u32_e32 v56, 28, v58
	v_lshlrev_b64 v[56:57], v56, v[40:41]
	v_lshrrev_b32_e32 v54, 3, v38
	v_sub_u32_e32 v40, 29, v58
	v_and_b32_e32 v56, 7, v56
	v_cmp_gt_u32_e32 vcc, 8, v38
	v_cndmask_b32_e32 v38, v54, v40, vcc
	v_cndmask_b32_e32 v40, v52, v56, vcc
	v_lshlrev_b32_e32 v52, 24, v41
	v_bfrev_b32_e32 v54, 60
	v_lshlrev_b32_e32 v40, 20, v40
	v_and_b32_e32 v52, 0x80000000, v52
	v_lshl_add_u32 v38, v38, 23, v54
	v_or3_b32 v54, v52, v38, v40
.LBB551_185:
	s_or_b64 exec, exec, s[10:11]
.LBB551_186:
	s_or_b64 exec, exec, s[8:9]
.LBB551_187:
	s_or_b64 exec, exec, s[2:3]
	v_lshrrev_b16_e32 v38, 8, v41
	v_cmp_ne_u16_e32 vcc, 0, v38
	v_mov_b32_e32 v40, 0
	v_mov_b32_e32 v56, 0
	s_and_saveexec_b64 s[2:3], vcc
	s_cbranch_execz .LBB551_193
; %bb.188:
	s_movk_i32 s8, 0x80
	v_cmp_ne_u16_e32 vcc, s8, v38
	v_bfrev_b32_e32 v56, 1
	s_and_saveexec_b64 s[8:9], vcc
	s_cbranch_execz .LBB551_192
; %bb.189:
	s_movk_i32 s10, 0x7f
	v_and_b32_e32 v52, 0x7f, v38
	v_cmp_ne_u32_e32 vcc, s10, v52
	v_mov_b32_e32 v56, 0x7f800001
	s_and_saveexec_b64 s[10:11], vcc
	s_cbranch_execz .LBB551_191
; %bb.190:
	v_and_b32_e32 v58, 7, v38
	v_ffbh_u32_e32 v56, v58
	v_min_u32_e32 v60, 32, v56
	v_subrev_u32_e32 v56, 28, v60
	v_lshlrev_b64 v[56:57], v56, v[38:39]
	v_lshrrev_b32_e32 v59, 3, v52
	v_sub_u32_e32 v38, 29, v60
	v_and_b32_e32 v56, 7, v56
	v_cmp_gt_u32_e32 vcc, 8, v52
	v_cndmask_b32_e32 v38, v59, v38, vcc
	v_cndmask_b32_e32 v52, v58, v56, vcc
	v_lshlrev_b32_e32 v56, 16, v41
	v_bfrev_b32_e32 v57, 60
	v_lshlrev_b32_e32 v52, 20, v52
	v_and_b32_e32 v56, 0x80000000, v56
	v_lshl_add_u32 v38, v38, 23, v57
	v_or3_b32 v56, v56, v38, v52
.LBB551_191:
	s_or_b64 exec, exec, s[10:11]
.LBB551_192:
	s_or_b64 exec, exec, s[8:9]
.LBB551_193:
	s_or_b64 exec, exec, s[2:3]
	s_movk_i32 s2, 0xff
	v_and_b32_sdwa v52, v41, s2 dst_sel:DWORD dst_unused:UNUSED_PAD src0_sel:WORD_1 src1_sel:DWORD
	v_lshrrev_b32_e32 v38, 16, v41
	v_cmp_ne_u16_e32 vcc, 0, v52
	s_and_saveexec_b64 s[2:3], vcc
	s_cbranch_execz .LBB551_199
; %bb.194:
	s_movk_i32 s8, 0x80
	v_cmp_ne_u16_e32 vcc, s8, v52
	v_bfrev_b32_e32 v40, 1
	s_and_saveexec_b64 s[8:9], vcc
	s_cbranch_execz .LBB551_198
; %bb.195:
	v_bfe_u32 v52, v41, 16, 7
	s_movk_i32 s10, 0x7f
	v_cmp_ne_u32_e32 vcc, s10, v52
	v_mov_b32_e32 v40, 0x7f800001
	s_and_saveexec_b64 s[10:11], vcc
	s_cbranch_execz .LBB551_197
; %bb.196:
	v_and_b32_e32 v40, 7, v38
	v_ffbh_u32_e32 v58, v40
	v_min_u32_e32 v60, 32, v58
	v_subrev_u32_e32 v58, 28, v60
	v_lshlrev_b64 v[58:59], v58, v[38:39]
	v_lshrrev_b32_e32 v57, 3, v52
	v_sub_u32_e32 v38, 29, v60
	v_and_b32_e32 v58, 7, v58
	v_cmp_gt_u32_e32 vcc, 8, v52
	v_mov_b32_e32 v52, 24
	v_cndmask_b32_e32 v38, v57, v38, vcc
	v_cndmask_b32_e32 v40, v40, v58, vcc
	v_lshlrev_b32_sdwa v52, v52, v41 dst_sel:DWORD dst_unused:UNUSED_PAD src0_sel:DWORD src1_sel:WORD_1
	v_bfrev_b32_e32 v57, 60
	v_lshlrev_b32_e32 v40, 20, v40
	v_and_b32_e32 v52, 0x80000000, v52
	v_lshl_add_u32 v38, v38, 23, v57
	v_or3_b32 v40, v52, v38, v40
.LBB551_197:
	s_or_b64 exec, exec, s[10:11]
.LBB551_198:
	s_or_b64 exec, exec, s[8:9]
.LBB551_199:
	s_or_b64 exec, exec, s[2:3]
	s_mov_b32 s2, 0xffffff
	v_cmp_lt_u32_e32 vcc, s2, v41
	v_mov_b32_e32 v52, 0
	v_mov_b32_e32 v57, 0
	s_and_saveexec_b64 s[2:3], vcc
	s_cbranch_execz .LBB551_205
; %bb.200:
	v_lshrrev_b32_e32 v38, 24, v41
	s_movk_i32 s8, 0x80
	v_cmp_ne_u32_e32 vcc, s8, v38
	v_bfrev_b32_e32 v57, 1
	s_and_saveexec_b64 s[8:9], vcc
	s_cbranch_execz .LBB551_204
; %bb.201:
	v_bfe_u32 v41, v41, 24, 7
	s_movk_i32 s10, 0x7f
	v_cmp_ne_u32_e32 vcc, s10, v41
	v_mov_b32_e32 v57, 0x7f800001
	s_and_saveexec_b64 s[10:11], vcc
	s_cbranch_execz .LBB551_203
; %bb.202:
	v_and_b32_e32 v57, 7, v38
	v_ffbh_u32_e32 v58, v57
	v_min_u32_e32 v61, 32, v58
	v_subrev_u32_e32 v58, 28, v61
	v_lshlrev_b64 v[58:59], v58, v[38:39]
	v_lshrrev_b32_e32 v60, 3, v41
	v_sub_u32_e32 v59, 29, v61
	v_and_b32_e32 v58, 7, v58
	v_cmp_gt_u32_e32 vcc, 8, v41
	v_cndmask_b32_e32 v41, v60, v59, vcc
	v_cndmask_b32_e32 v57, v57, v58, vcc
	v_lshlrev_b32_e32 v38, 24, v38
	v_bfrev_b32_e32 v58, 60
	v_lshlrev_b32_e32 v57, 20, v57
	v_and_b32_e32 v38, 0x80000000, v38
	v_lshl_add_u32 v41, v41, 23, v58
	v_or3_b32 v57, v38, v41, v57
.LBB551_203:
	s_or_b64 exec, exec, s[10:11]
.LBB551_204:
	s_or_b64 exec, exec, s[8:9]
.LBB551_205:
	s_or_b64 exec, exec, s[2:3]
	v_cvt_pkrtz_f16_f32 v38, v51, v53
	v_cvt_pkrtz_f16_f32 v39, v39, v55
	v_cmp_ne_u16_sdwa s[8:9], v30, v52 src0_sel:BYTE_0 src1_sel:DWORD
	s_nop 0
	v_mfma_f32_16x16x16f16 v[42:45], v[38:39], v[18:19], v[42:45]
	v_cvt_pkrtz_f16_f32 v38, v54, v56
	v_cvt_pkrtz_f16_f32 v39, v40, v57
	s_nop 1
	v_mfma_f32_16x16x16f16 v[38:41], v[38:39], v[20:21], v[42:45]
	s_and_saveexec_b64 s[2:3], s[8:9]
	s_cbranch_execz .LBB551_211
; %bb.206:
	s_movk_i32 s8, 0x80
	v_cmp_ne_u16_sdwa s[10:11], v30, s8 src0_sel:BYTE_0 src1_sel:DWORD
	v_bfrev_b32_e32 v52, 1
	s_and_saveexec_b64 s[8:9], s[10:11]
	s_cbranch_execz .LBB551_210
; %bb.207:
	s_movk_i32 s10, 0x7f
	v_and_b32_e32 v42, 0x7f, v30
	v_cmp_ne_u32_e32 vcc, s10, v42
	v_mov_b32_e32 v52, 0x7f800001
	s_and_saveexec_b64 s[10:11], vcc
	s_cbranch_execz .LBB551_209
; %bb.208:
	v_and_b32_e32 v43, 7, v30
	v_ffbh_u32_e32 v44, v43
	v_min_u32_e32 v52, 32, v44
	v_subrev_u32_e32 v44, 28, v52
	v_lshlrev_b64 v[44:45], v44, v[30:31]
	v_lshrrev_b32_e32 v51, 3, v42
	v_sub_u32_e32 v45, 29, v52
	v_and_b32_e32 v44, 7, v44
	v_cmp_gt_u32_e32 vcc, 8, v42
	v_cndmask_b32_e32 v42, v51, v45, vcc
	v_cndmask_b32_e32 v43, v43, v44, vcc
	v_lshlrev_b32_e32 v44, 24, v30
	v_bfrev_b32_e32 v45, 60
	v_lshlrev_b32_e32 v43, 20, v43
	v_and_b32_e32 v44, 0x80000000, v44
	v_lshl_add_u32 v42, v42, 23, v45
	v_or3_b32 v52, v44, v42, v43
.LBB551_209:
	s_or_b64 exec, exec, s[10:11]
.LBB551_210:
	s_or_b64 exec, exec, s[8:9]
.LBB551_211:
	s_or_b64 exec, exec, s[2:3]
	s_nop 3
	v_lshrrev_b16_e32 v42, 8, v30
	v_cmp_ne_u16_e32 vcc, 0, v42
	v_mov_b32_e32 v43, 0
	v_mov_b32_e32 v44, 0
	s_and_saveexec_b64 s[2:3], vcc
	s_cbranch_execz .LBB551_217
; %bb.212:
	s_movk_i32 s8, 0x80
	v_cmp_ne_u16_e32 vcc, s8, v42
	v_bfrev_b32_e32 v44, 1
	s_and_saveexec_b64 s[8:9], vcc
	s_cbranch_execz .LBB551_216
; %bb.213:
	s_movk_i32 s10, 0x7f
	v_and_b32_e32 v45, 0x7f, v42
	v_cmp_ne_u32_e32 vcc, s10, v45
	v_mov_b32_e32 v44, 0x7f800001
	s_and_saveexec_b64 s[10:11], vcc
	s_cbranch_execz .LBB551_215
; %bb.214:
	v_and_b32_e32 v44, 7, v42
	v_ffbh_u32_e32 v53, v44
	v_min_u32_e32 v53, 32, v53
	v_subrev_u32_e32 v54, 28, v53
	v_lshlrev_b64 v[54:55], v54, v[42:43]
	v_lshrrev_b32_e32 v51, 3, v45
	v_sub_u32_e32 v42, 29, v53
	v_and_b32_e32 v53, 7, v54
	v_cmp_gt_u32_e32 vcc, 8, v45
	v_cndmask_b32_e32 v42, v51, v42, vcc
	v_cndmask_b32_e32 v44, v44, v53, vcc
	v_lshlrev_b32_e32 v45, 16, v30
	v_bfrev_b32_e32 v51, 60
	v_lshlrev_b32_e32 v44, 20, v44
	v_and_b32_e32 v45, 0x80000000, v45
	v_lshl_add_u32 v42, v42, 23, v51
	v_or3_b32 v44, v45, v42, v44
.LBB551_215:
	s_or_b64 exec, exec, s[10:11]
.LBB551_216:
	s_or_b64 exec, exec, s[8:9]
.LBB551_217:
	s_or_b64 exec, exec, s[2:3]
	s_movk_i32 s2, 0xff
	v_and_b32_sdwa v45, v30, s2 dst_sel:DWORD dst_unused:UNUSED_PAD src0_sel:WORD_1 src1_sel:DWORD
	v_lshrrev_b32_e32 v42, 16, v30
	v_cmp_ne_u16_e32 vcc, 0, v45
	s_and_saveexec_b64 s[2:3], vcc
	s_cbranch_execz .LBB551_223
; %bb.218:
	s_movk_i32 s8, 0x80
	v_cmp_ne_u16_e32 vcc, s8, v45
	v_bfrev_b32_e32 v43, 1
	s_and_saveexec_b64 s[8:9], vcc
	s_cbranch_execz .LBB551_222
; %bb.219:
	v_bfe_u32 v45, v30, 16, 7
	s_movk_i32 s10, 0x7f
	v_cmp_ne_u32_e32 vcc, s10, v45
	v_mov_b32_e32 v43, 0x7f800001
	s_and_saveexec_b64 s[10:11], vcc
	s_cbranch_execz .LBB551_221
; %bb.220:
	v_and_b32_e32 v51, 7, v42
	v_ffbh_u32_e32 v43, v51
	v_min_u32_e32 v54, 32, v43
	v_subrev_u32_e32 v43, 28, v54
	v_lshlrev_b64 v[42:43], v43, v[42:43]
	v_lshrrev_b32_e32 v53, 3, v45
	v_sub_u32_e32 v43, 29, v54
	v_and_b32_e32 v42, 7, v42
	v_cmp_gt_u32_e32 vcc, 8, v45
	v_mov_b32_e32 v45, 24
	v_cndmask_b32_e32 v43, v53, v43, vcc
	v_cndmask_b32_e32 v42, v51, v42, vcc
	v_lshlrev_b32_sdwa v45, v45, v30 dst_sel:DWORD dst_unused:UNUSED_PAD src0_sel:DWORD src1_sel:WORD_1
	v_bfrev_b32_e32 v51, 60
	v_lshlrev_b32_e32 v42, 20, v42
	v_and_b32_e32 v45, 0x80000000, v45
	v_lshl_add_u32 v43, v43, 23, v51
	v_or3_b32 v43, v45, v43, v42
.LBB551_221:
	s_or_b64 exec, exec, s[10:11]
.LBB551_222:
	s_or_b64 exec, exec, s[8:9]
.LBB551_223:
	s_or_b64 exec, exec, s[2:3]
	s_mov_b32 s2, 0xffffff
	v_cmp_lt_u32_e32 vcc, s2, v30
	v_mov_b32_e32 v45, 0
	v_mov_b32_e32 v53, 0
	s_and_saveexec_b64 s[2:3], vcc
	s_cbranch_execz .LBB551_229
; %bb.224:
	v_lshrrev_b32_e32 v42, 24, v30
	s_movk_i32 s8, 0x80
	v_cmp_ne_u32_e32 vcc, s8, v42
	v_bfrev_b32_e32 v53, 1
	s_and_saveexec_b64 s[8:9], vcc
	s_cbranch_execz .LBB551_228
; %bb.225:
	v_bfe_u32 v30, v30, 24, 7
	s_movk_i32 s10, 0x7f
	v_cmp_ne_u32_e32 vcc, s10, v30
	v_mov_b32_e32 v53, 0x7f800001
	s_and_saveexec_b64 s[10:11], vcc
	s_cbranch_execz .LBB551_227
; %bb.226:
	v_and_b32_e32 v51, 7, v42
	v_ffbh_u32_e32 v54, v51
	v_min_u32_e32 v56, 32, v54
	v_subrev_u32_e32 v54, 28, v56
	v_lshlrev_b64 v[54:55], v54, v[42:43]
	v_lshrrev_b32_e32 v53, 3, v30
	v_sub_u32_e32 v55, 29, v56
	v_and_b32_e32 v54, 7, v54
	v_cmp_gt_u32_e32 vcc, 8, v30
	v_cndmask_b32_e32 v30, v53, v55, vcc
	v_cndmask_b32_e32 v51, v51, v54, vcc
	v_lshlrev_b32_e32 v42, 24, v42
	v_bfrev_b32_e32 v53, 60
	v_lshlrev_b32_e32 v51, 20, v51
	v_and_b32_e32 v42, 0x80000000, v42
	v_lshl_add_u32 v30, v30, 23, v53
	v_or3_b32 v53, v42, v30, v51
.LBB551_227:
	s_or_b64 exec, exec, s[10:11]
.LBB551_228:
	s_or_b64 exec, exec, s[8:9]
.LBB551_229:
	s_or_b64 exec, exec, s[2:3]
	v_cmp_ne_u16_sdwa s[8:9], v31, v45 src0_sel:BYTE_0 src1_sel:DWORD
	s_and_saveexec_b64 s[2:3], s[8:9]
	s_cbranch_execz .LBB551_235
; %bb.230:
	s_movk_i32 s8, 0x80
	v_cmp_ne_u16_sdwa s[10:11], v31, s8 src0_sel:BYTE_0 src1_sel:DWORD
	v_bfrev_b32_e32 v45, 1
	s_and_saveexec_b64 s[8:9], s[10:11]
	s_cbranch_execz .LBB551_234
; %bb.231:
	s_movk_i32 s10, 0x7f
	v_and_b32_e32 v30, 0x7f, v31
	v_cmp_ne_u32_e32 vcc, s10, v30
	v_mov_b32_e32 v45, 0x7f800001
	s_and_saveexec_b64 s[10:11], vcc
	s_cbranch_execz .LBB551_233
; %bb.232:
	v_and_b32_e32 v45, 7, v31
	v_ffbh_u32_e32 v54, v45
	v_min_u32_e32 v56, 32, v54
	v_mov_b32_e32 v42, v31
	v_subrev_u32_e32 v54, 28, v56
	v_lshlrev_b64 v[54:55], v54, v[42:43]
	v_lshrrev_b32_e32 v51, 3, v30
	v_sub_u32_e32 v42, 29, v56
	v_and_b32_e32 v54, 7, v54
	v_cmp_gt_u32_e32 vcc, 8, v30
	v_cndmask_b32_e32 v30, v51, v42, vcc
	v_cndmask_b32_e32 v42, v45, v54, vcc
	v_lshlrev_b32_e32 v45, 24, v31
	v_bfrev_b32_e32 v51, 60
	v_lshlrev_b32_e32 v42, 20, v42
	v_and_b32_e32 v45, 0x80000000, v45
	v_lshl_add_u32 v30, v30, 23, v51
	v_or3_b32 v45, v45, v30, v42
.LBB551_233:
	s_or_b64 exec, exec, s[10:11]
.LBB551_234:
	s_or_b64 exec, exec, s[8:9]
.LBB551_235:
	s_or_b64 exec, exec, s[2:3]
	v_lshrrev_b16_e32 v30, 8, v31
	v_cmp_ne_u16_e32 vcc, 0, v30
	v_mov_b32_e32 v42, 0
	v_mov_b32_e32 v54, 0
	s_and_saveexec_b64 s[2:3], vcc
	s_cbranch_execz .LBB551_241
; %bb.236:
	s_movk_i32 s8, 0x80
	v_cmp_ne_u16_e32 vcc, s8, v30
	v_bfrev_b32_e32 v54, 1
	s_and_saveexec_b64 s[8:9], vcc
	s_cbranch_execz .LBB551_240
; %bb.237:
	s_movk_i32 s10, 0x7f
	v_and_b32_e32 v51, 0x7f, v30
	v_cmp_ne_u32_e32 vcc, s10, v51
	v_mov_b32_e32 v54, 0x7f800001
	s_and_saveexec_b64 s[10:11], vcc
	s_cbranch_execz .LBB551_239
; %bb.238:
	v_and_b32_e32 v56, 7, v30
	v_ffbh_u32_e32 v54, v56
	v_min_u32_e32 v58, 32, v54
	v_subrev_u32_e32 v54, 28, v58
	v_lshlrev_b64 v[54:55], v54, v[30:31]
	v_lshrrev_b32_e32 v57, 3, v51
	v_sub_u32_e32 v30, 29, v58
	v_and_b32_e32 v54, 7, v54
	v_cmp_gt_u32_e32 vcc, 8, v51
	v_cndmask_b32_e32 v30, v57, v30, vcc
	v_cndmask_b32_e32 v51, v56, v54, vcc
	v_lshlrev_b32_e32 v54, 16, v31
	v_bfrev_b32_e32 v55, 60
	v_lshlrev_b32_e32 v51, 20, v51
	v_and_b32_e32 v54, 0x80000000, v54
	v_lshl_add_u32 v30, v30, 23, v55
	v_or3_b32 v54, v54, v30, v51
.LBB551_239:
	s_or_b64 exec, exec, s[10:11]
.LBB551_240:
	s_or_b64 exec, exec, s[8:9]
.LBB551_241:
	s_or_b64 exec, exec, s[2:3]
	s_movk_i32 s2, 0xff
	v_and_b32_sdwa v51, v31, s2 dst_sel:DWORD dst_unused:UNUSED_PAD src0_sel:WORD_1 src1_sel:DWORD
	v_lshrrev_b32_e32 v30, 16, v31
	v_cmp_ne_u16_e32 vcc, 0, v51
	s_and_saveexec_b64 s[2:3], vcc
	s_cbranch_execz .LBB551_247
; %bb.242:
	s_movk_i32 s8, 0x80
	v_cmp_ne_u16_e32 vcc, s8, v51
	v_bfrev_b32_e32 v42, 1
	s_and_saveexec_b64 s[8:9], vcc
	s_cbranch_execz .LBB551_246
; %bb.243:
	v_bfe_u32 v51, v31, 16, 7
	s_movk_i32 s10, 0x7f
	v_cmp_ne_u32_e32 vcc, s10, v51
	v_mov_b32_e32 v42, 0x7f800001
	s_and_saveexec_b64 s[10:11], vcc
	s_cbranch_execz .LBB551_245
; %bb.244:
	v_and_b32_e32 v42, 7, v30
	v_ffbh_u32_e32 v56, v42
	v_min_u32_e32 v58, 32, v56
	v_subrev_u32_e32 v56, 28, v58
	v_lshlrev_b64 v[56:57], v56, v[30:31]
	v_lshrrev_b32_e32 v55, 3, v51
	v_sub_u32_e32 v30, 29, v58
	v_and_b32_e32 v56, 7, v56
	v_cmp_gt_u32_e32 vcc, 8, v51
	v_mov_b32_e32 v51, 24
	v_cndmask_b32_e32 v30, v55, v30, vcc
	v_cndmask_b32_e32 v42, v42, v56, vcc
	v_lshlrev_b32_sdwa v51, v51, v31 dst_sel:DWORD dst_unused:UNUSED_PAD src0_sel:DWORD src1_sel:WORD_1
	v_bfrev_b32_e32 v55, 60
	v_lshlrev_b32_e32 v42, 20, v42
	v_and_b32_e32 v51, 0x80000000, v51
	v_lshl_add_u32 v30, v30, 23, v55
	v_or3_b32 v42, v51, v30, v42
.LBB551_245:
	s_or_b64 exec, exec, s[10:11]
.LBB551_246:
	s_or_b64 exec, exec, s[8:9]
.LBB551_247:
	s_or_b64 exec, exec, s[2:3]
	s_mov_b32 s2, 0xffffff
	v_cmp_lt_u32_e32 vcc, s2, v31
	v_mov_b32_e32 v51, 0
	v_mov_b32_e32 v55, 0
	s_and_saveexec_b64 s[2:3], vcc
	s_cbranch_execz .LBB551_253
; %bb.248:
	v_lshrrev_b32_e32 v30, 24, v31
	s_movk_i32 s8, 0x80
	v_cmp_ne_u32_e32 vcc, s8, v30
	v_bfrev_b32_e32 v55, 1
	s_and_saveexec_b64 s[8:9], vcc
	s_cbranch_execz .LBB551_252
; %bb.249:
	v_bfe_u32 v31, v31, 24, 7
	s_movk_i32 s10, 0x7f
	v_cmp_ne_u32_e32 vcc, s10, v31
	v_mov_b32_e32 v55, 0x7f800001
	s_and_saveexec_b64 s[10:11], vcc
	s_cbranch_execz .LBB551_251
; %bb.250:
	v_and_b32_e32 v55, 7, v30
	v_ffbh_u32_e32 v56, v55
	v_min_u32_e32 v59, 32, v56
	v_subrev_u32_e32 v56, 28, v59
	v_lshlrev_b64 v[56:57], v56, v[30:31]
	v_lshrrev_b32_e32 v58, 3, v31
	v_sub_u32_e32 v57, 29, v59
	v_and_b32_e32 v56, 7, v56
	v_cmp_gt_u32_e32 vcc, 8, v31
	v_cndmask_b32_e32 v31, v58, v57, vcc
	v_cndmask_b32_e32 v55, v55, v56, vcc
	v_lshlrev_b32_e32 v30, 24, v30
	v_bfrev_b32_e32 v56, 60
	v_lshlrev_b32_e32 v55, 20, v55
	v_and_b32_e32 v30, 0x80000000, v30
	v_lshl_add_u32 v31, v31, 23, v56
	v_or3_b32 v55, v30, v31, v55
.LBB551_251:
	s_or_b64 exec, exec, s[10:11]
.LBB551_252:
	s_or_b64 exec, exec, s[8:9]
.LBB551_253:
	s_or_b64 exec, exec, s[2:3]
	v_cvt_pkrtz_f16_f32 v30, v52, v44
	v_cvt_pkrtz_f16_f32 v31, v43, v53
	v_cmp_ne_u16_sdwa s[8:9], v32, v51 src0_sel:BYTE_0 src1_sel:DWORD
	s_nop 0
	v_mfma_f32_16x16x16f16 v[56:59], v[30:31], v[26:27], 0
	v_cvt_pkrtz_f16_f32 v30, v45, v54
	v_cvt_pkrtz_f16_f32 v31, v42, v55
	s_nop 1
	v_mfma_f32_16x16x16f16 v[42:45], v[30:31], v[28:29], v[56:59]
	s_and_saveexec_b64 s[2:3], s[8:9]
	s_cbranch_execz .LBB551_259
; %bb.254:
	s_movk_i32 s8, 0x80
	v_cmp_ne_u16_sdwa s[10:11], v32, s8 src0_sel:BYTE_0 src1_sel:DWORD
	v_bfrev_b32_e32 v51, 1
	s_and_saveexec_b64 s[8:9], s[10:11]
	s_cbranch_execz .LBB551_258
; %bb.255:
	s_movk_i32 s10, 0x7f
	v_and_b32_e32 v30, 0x7f, v32
	v_cmp_ne_u32_e32 vcc, s10, v30
	v_mov_b32_e32 v51, 0x7f800001
	s_and_saveexec_b64 s[10:11], vcc
	s_cbranch_execz .LBB551_257
; %bb.256:
	v_and_b32_e32 v31, 7, v32
	v_ffbh_u32_e32 v52, v31
	v_min_u32_e32 v54, 32, v52
	v_subrev_u32_e32 v52, 28, v54
	v_lshlrev_b64 v[52:53], v52, v[32:33]
	v_lshrrev_b32_e32 v51, 3, v30
	v_sub_u32_e32 v53, 29, v54
	v_and_b32_e32 v52, 7, v52
	v_cmp_gt_u32_e32 vcc, 8, v30
	v_cndmask_b32_e32 v30, v51, v53, vcc
	v_cndmask_b32_e32 v31, v31, v52, vcc
	v_lshlrev_b32_e32 v51, 24, v32
	v_bfrev_b32_e32 v52, 60
	v_lshlrev_b32_e32 v31, 20, v31
	v_and_b32_e32 v51, 0x80000000, v51
	v_lshl_add_u32 v30, v30, 23, v52
	v_or3_b32 v51, v51, v30, v31
.LBB551_257:
	s_or_b64 exec, exec, s[10:11]
.LBB551_258:
	s_or_b64 exec, exec, s[8:9]
.LBB551_259:
	s_or_b64 exec, exec, s[2:3]
	v_lshrrev_b16_e32 v30, 8, v32
	v_cmp_ne_u16_e32 vcc, 0, v30
	v_mov_b32_e32 v31, 0
	v_mov_b32_e32 v53, 0
	s_and_saveexec_b64 s[2:3], vcc
	s_cbranch_execz .LBB551_265
; %bb.260:
	s_movk_i32 s8, 0x80
	v_cmp_ne_u16_e32 vcc, s8, v30
	v_bfrev_b32_e32 v53, 1
	s_and_saveexec_b64 s[8:9], vcc
	s_cbranch_execz .LBB551_264
; %bb.261:
	s_movk_i32 s10, 0x7f
	v_and_b32_e32 v52, 0x7f, v30
	v_cmp_ne_u32_e32 vcc, s10, v52
	v_mov_b32_e32 v53, 0x7f800001
	s_and_saveexec_b64 s[10:11], vcc
	s_cbranch_execz .LBB551_263
; %bb.262:
	v_and_b32_e32 v53, 7, v30
	v_ffbh_u32_e32 v54, v53
	v_min_u32_e32 v57, 32, v54
	v_subrev_u32_e32 v54, 28, v57
	v_lshlrev_b64 v[54:55], v54, v[30:31]
	v_lshrrev_b32_e32 v56, 3, v52
	v_sub_u32_e32 v30, 29, v57
	v_and_b32_e32 v54, 7, v54
	v_cmp_gt_u32_e32 vcc, 8, v52
	v_cndmask_b32_e32 v30, v56, v30, vcc
	v_cndmask_b32_e32 v52, v53, v54, vcc
	v_lshlrev_b32_e32 v53, 16, v32
	v_bfrev_b32_e32 v54, 60
	v_lshlrev_b32_e32 v52, 20, v52
	v_and_b32_e32 v53, 0x80000000, v53
	v_lshl_add_u32 v30, v30, 23, v54
	v_or3_b32 v53, v53, v30, v52
.LBB551_263:
	s_or_b64 exec, exec, s[10:11]
.LBB551_264:
	s_or_b64 exec, exec, s[8:9]
.LBB551_265:
	s_or_b64 exec, exec, s[2:3]
	s_movk_i32 s2, 0xff
	v_and_b32_sdwa v52, v32, s2 dst_sel:DWORD dst_unused:UNUSED_PAD src0_sel:WORD_1 src1_sel:DWORD
	v_lshrrev_b32_e32 v30, 16, v32
	v_cmp_ne_u16_e32 vcc, 0, v52
	s_and_saveexec_b64 s[2:3], vcc
	s_cbranch_execz .LBB551_271
; %bb.266:
	s_movk_i32 s8, 0x80
	v_cmp_ne_u16_e32 vcc, s8, v52
	v_bfrev_b32_e32 v31, 1
	s_and_saveexec_b64 s[8:9], vcc
	s_cbranch_execz .LBB551_270
; %bb.267:
	v_bfe_u32 v52, v32, 16, 7
	s_movk_i32 s10, 0x7f
	v_cmp_ne_u32_e32 vcc, s10, v52
	v_mov_b32_e32 v31, 0x7f800001
	s_and_saveexec_b64 s[10:11], vcc
	s_cbranch_execz .LBB551_269
; %bb.268:
	v_and_b32_e32 v54, 7, v30
	v_ffbh_u32_e32 v31, v54
	v_min_u32_e32 v56, 32, v31
	v_subrev_u32_e32 v31, 28, v56
	v_lshlrev_b64 v[30:31], v31, v[30:31]
	v_lshrrev_b32_e32 v55, 3, v52
	v_sub_u32_e32 v31, 29, v56
	v_and_b32_e32 v30, 7, v30
	v_cmp_gt_u32_e32 vcc, 8, v52
	v_mov_b32_e32 v52, 24
	v_cndmask_b32_e32 v31, v55, v31, vcc
	v_cndmask_b32_e32 v30, v54, v30, vcc
	v_lshlrev_b32_sdwa v52, v52, v32 dst_sel:DWORD dst_unused:UNUSED_PAD src0_sel:DWORD src1_sel:WORD_1
	v_bfrev_b32_e32 v54, 60
	v_lshlrev_b32_e32 v30, 20, v30
	v_and_b32_e32 v52, 0x80000000, v52
	v_lshl_add_u32 v31, v31, 23, v54
	v_or3_b32 v31, v52, v31, v30
.LBB551_269:
	s_or_b64 exec, exec, s[10:11]
.LBB551_270:
	s_or_b64 exec, exec, s[8:9]
.LBB551_271:
	s_or_b64 exec, exec, s[2:3]
	s_mov_b32 s2, 0xffffff
	v_cmp_lt_u32_e32 vcc, s2, v32
	v_mov_b32_e32 v54, 0
	v_mov_b32_e32 v55, 0
	s_and_saveexec_b64 s[2:3], vcc
	s_cbranch_execz .LBB551_277
; %bb.272:
	v_lshrrev_b32_e32 v30, 24, v32
	s_movk_i32 s8, 0x80
	v_cmp_ne_u32_e32 vcc, s8, v30
	v_bfrev_b32_e32 v55, 1
	s_and_saveexec_b64 s[8:9], vcc
	s_cbranch_execz .LBB551_276
; %bb.273:
	v_bfe_u32 v32, v32, 24, 7
	s_movk_i32 s10, 0x7f
	v_cmp_ne_u32_e32 vcc, s10, v32
	v_mov_b32_e32 v55, 0x7f800001
	s_and_saveexec_b64 s[10:11], vcc
	s_cbranch_execz .LBB551_275
; %bb.274:
	v_and_b32_e32 v52, 7, v30
	v_ffbh_u32_e32 v56, v52
	v_min_u32_e32 v58, 32, v56
	v_subrev_u32_e32 v56, 28, v58
	v_lshlrev_b64 v[56:57], v56, v[30:31]
	v_lshrrev_b32_e32 v55, 3, v32
	v_sub_u32_e32 v57, 29, v58
	v_and_b32_e32 v56, 7, v56
	v_cmp_gt_u32_e32 vcc, 8, v32
	v_cndmask_b32_e32 v32, v55, v57, vcc
	v_cndmask_b32_e32 v52, v52, v56, vcc
	v_lshlrev_b32_e32 v30, 24, v30
	v_bfrev_b32_e32 v55, 60
	v_lshlrev_b32_e32 v52, 20, v52
	v_and_b32_e32 v30, 0x80000000, v30
	v_lshl_add_u32 v32, v32, 23, v55
	v_or3_b32 v55, v30, v32, v52
.LBB551_275:
	s_or_b64 exec, exec, s[10:11]
.LBB551_276:
	s_or_b64 exec, exec, s[8:9]
.LBB551_277:
	s_or_b64 exec, exec, s[2:3]
	v_cmp_ne_u16_sdwa s[8:9], v33, v54 src0_sel:BYTE_0 src1_sel:DWORD
	s_and_saveexec_b64 s[2:3], s[8:9]
	s_cbranch_execz .LBB551_283
; %bb.278:
	s_movk_i32 s8, 0x80
	v_cmp_ne_u16_sdwa s[10:11], v33, s8 src0_sel:BYTE_0 src1_sel:DWORD
	v_bfrev_b32_e32 v54, 1
	s_and_saveexec_b64 s[8:9], s[10:11]
	s_cbranch_execz .LBB551_282
; %bb.279:
	s_movk_i32 s10, 0x7f
	v_and_b32_e32 v30, 0x7f, v33
	v_cmp_ne_u32_e32 vcc, s10, v30
	v_mov_b32_e32 v54, 0x7f800001
	s_and_saveexec_b64 s[10:11], vcc
	s_cbranch_execz .LBB551_281
; %bb.280:
	v_and_b32_e32 v52, 7, v33
	v_ffbh_u32_e32 v56, v52
	v_min_u32_e32 v58, 32, v56
	v_mov_b32_e32 v32, v33
	v_subrev_u32_e32 v56, 28, v58
	v_lshlrev_b64 v[56:57], v56, v[32:33]
	v_lshrrev_b32_e32 v54, 3, v30
	v_sub_u32_e32 v32, 29, v58
	v_and_b32_e32 v56, 7, v56
	v_cmp_gt_u32_e32 vcc, 8, v30
	v_cndmask_b32_e32 v30, v54, v32, vcc
	v_cndmask_b32_e32 v32, v52, v56, vcc
	v_lshlrev_b32_e32 v52, 24, v33
	v_bfrev_b32_e32 v54, 60
	v_lshlrev_b32_e32 v32, 20, v32
	v_and_b32_e32 v52, 0x80000000, v52
	v_lshl_add_u32 v30, v30, 23, v54
	v_or3_b32 v54, v52, v30, v32
.LBB551_281:
	s_or_b64 exec, exec, s[10:11]
.LBB551_282:
	s_or_b64 exec, exec, s[8:9]
.LBB551_283:
	s_or_b64 exec, exec, s[2:3]
	v_lshrrev_b16_e32 v30, 8, v33
	v_cmp_ne_u16_e32 vcc, 0, v30
	v_mov_b32_e32 v32, 0
	v_mov_b32_e32 v56, 0
	s_and_saveexec_b64 s[2:3], vcc
	s_cbranch_execz .LBB551_289
; %bb.284:
	s_movk_i32 s8, 0x80
	v_cmp_ne_u16_e32 vcc, s8, v30
	v_bfrev_b32_e32 v56, 1
	s_and_saveexec_b64 s[8:9], vcc
	s_cbranch_execz .LBB551_288
; %bb.285:
	s_movk_i32 s10, 0x7f
	v_and_b32_e32 v52, 0x7f, v30
	v_cmp_ne_u32_e32 vcc, s10, v52
	v_mov_b32_e32 v56, 0x7f800001
	s_and_saveexec_b64 s[10:11], vcc
	s_cbranch_execz .LBB551_287
; %bb.286:
	v_and_b32_e32 v58, 7, v30
	v_ffbh_u32_e32 v56, v58
	v_min_u32_e32 v60, 32, v56
	v_subrev_u32_e32 v56, 28, v60
	v_lshlrev_b64 v[56:57], v56, v[30:31]
	v_lshrrev_b32_e32 v59, 3, v52
	v_sub_u32_e32 v30, 29, v60
	v_and_b32_e32 v56, 7, v56
	v_cmp_gt_u32_e32 vcc, 8, v52
	v_cndmask_b32_e32 v30, v59, v30, vcc
	v_cndmask_b32_e32 v52, v58, v56, vcc
	v_lshlrev_b32_e32 v56, 16, v33
	v_bfrev_b32_e32 v57, 60
	v_lshlrev_b32_e32 v52, 20, v52
	v_and_b32_e32 v56, 0x80000000, v56
	v_lshl_add_u32 v30, v30, 23, v57
	v_or3_b32 v56, v56, v30, v52
.LBB551_287:
	s_or_b64 exec, exec, s[10:11]
.LBB551_288:
	s_or_b64 exec, exec, s[8:9]
.LBB551_289:
	s_or_b64 exec, exec, s[2:3]
	s_movk_i32 s2, 0xff
	v_and_b32_sdwa v52, v33, s2 dst_sel:DWORD dst_unused:UNUSED_PAD src0_sel:WORD_1 src1_sel:DWORD
	v_lshrrev_b32_e32 v30, 16, v33
	v_cmp_ne_u16_e32 vcc, 0, v52
	s_and_saveexec_b64 s[2:3], vcc
	s_cbranch_execz .LBB551_295
; %bb.290:
	s_movk_i32 s8, 0x80
	v_cmp_ne_u16_e32 vcc, s8, v52
	v_bfrev_b32_e32 v32, 1
	s_and_saveexec_b64 s[8:9], vcc
	s_cbranch_execz .LBB551_294
; %bb.291:
	v_bfe_u32 v52, v33, 16, 7
	s_movk_i32 s10, 0x7f
	v_cmp_ne_u32_e32 vcc, s10, v52
	v_mov_b32_e32 v32, 0x7f800001
	s_and_saveexec_b64 s[10:11], vcc
	s_cbranch_execz .LBB551_293
; %bb.292:
	v_and_b32_e32 v32, 7, v30
	v_ffbh_u32_e32 v58, v32
	v_min_u32_e32 v60, 32, v58
	v_subrev_u32_e32 v58, 28, v60
	v_lshlrev_b64 v[58:59], v58, v[30:31]
	v_lshrrev_b32_e32 v57, 3, v52
	v_sub_u32_e32 v30, 29, v60
	v_and_b32_e32 v58, 7, v58
	v_cmp_gt_u32_e32 vcc, 8, v52
	v_mov_b32_e32 v52, 24
	v_cndmask_b32_e32 v30, v57, v30, vcc
	v_cndmask_b32_e32 v32, v32, v58, vcc
	v_lshlrev_b32_sdwa v52, v52, v33 dst_sel:DWORD dst_unused:UNUSED_PAD src0_sel:DWORD src1_sel:WORD_1
	v_bfrev_b32_e32 v57, 60
	v_lshlrev_b32_e32 v32, 20, v32
	v_and_b32_e32 v52, 0x80000000, v52
	v_lshl_add_u32 v30, v30, 23, v57
	v_or3_b32 v32, v52, v30, v32
.LBB551_293:
	s_or_b64 exec, exec, s[10:11]
.LBB551_294:
	s_or_b64 exec, exec, s[8:9]
.LBB551_295:
	s_or_b64 exec, exec, s[2:3]
	s_mov_b32 s2, 0xffffff
	v_cmp_lt_u32_e32 vcc, s2, v33
	v_mov_b32_e32 v52, 0
	v_mov_b32_e32 v57, 0
	s_and_saveexec_b64 s[2:3], vcc
	s_cbranch_execz .LBB551_301
; %bb.296:
	v_lshrrev_b32_e32 v30, 24, v33
	s_movk_i32 s8, 0x80
	v_cmp_ne_u32_e32 vcc, s8, v30
	v_bfrev_b32_e32 v57, 1
	s_and_saveexec_b64 s[8:9], vcc
	s_cbranch_execz .LBB551_300
; %bb.297:
	v_bfe_u32 v33, v33, 24, 7
	s_movk_i32 s10, 0x7f
	v_cmp_ne_u32_e32 vcc, s10, v33
	v_mov_b32_e32 v57, 0x7f800001
	s_and_saveexec_b64 s[10:11], vcc
	s_cbranch_execz .LBB551_299
; %bb.298:
	v_and_b32_e32 v57, 7, v30
	v_ffbh_u32_e32 v58, v57
	v_min_u32_e32 v61, 32, v58
	v_subrev_u32_e32 v58, 28, v61
	v_lshlrev_b64 v[58:59], v58, v[30:31]
	v_lshrrev_b32_e32 v60, 3, v33
	v_sub_u32_e32 v59, 29, v61
	v_and_b32_e32 v58, 7, v58
	v_cmp_gt_u32_e32 vcc, 8, v33
	v_cndmask_b32_e32 v33, v60, v59, vcc
	v_cndmask_b32_e32 v57, v57, v58, vcc
	v_lshlrev_b32_e32 v30, 24, v30
	v_bfrev_b32_e32 v58, 60
	v_lshlrev_b32_e32 v57, 20, v57
	v_and_b32_e32 v30, 0x80000000, v30
	v_lshl_add_u32 v33, v33, 23, v58
	v_or3_b32 v57, v30, v33, v57
.LBB551_299:
	s_or_b64 exec, exec, s[10:11]
.LBB551_300:
	s_or_b64 exec, exec, s[8:9]
.LBB551_301:
	s_or_b64 exec, exec, s[2:3]
	v_cvt_pkrtz_f16_f32 v30, v51, v53
	v_cvt_pkrtz_f16_f32 v31, v31, v55
	v_cmp_ne_u16_sdwa s[8:9], v22, v52 src0_sel:BYTE_0 src1_sel:DWORD
	s_nop 0
	v_mfma_f32_16x16x16f16 v[42:45], v[30:31], v[18:19], v[42:45]
	v_cvt_pkrtz_f16_f32 v30, v54, v56
	v_cvt_pkrtz_f16_f32 v31, v32, v57
	s_nop 1
	v_mfma_f32_16x16x16f16 v[30:33], v[30:31], v[20:21], v[42:45]
	s_and_saveexec_b64 s[2:3], s[8:9]
	s_cbranch_execz .LBB551_307
; %bb.302:
	s_movk_i32 s8, 0x80
	v_cmp_ne_u16_sdwa s[10:11], v22, s8 src0_sel:BYTE_0 src1_sel:DWORD
	v_bfrev_b32_e32 v52, 1
	s_and_saveexec_b64 s[8:9], s[10:11]
	s_cbranch_execz .LBB551_306
; %bb.303:
	s_movk_i32 s10, 0x7f
	v_and_b32_e32 v42, 0x7f, v22
	v_cmp_ne_u32_e32 vcc, s10, v42
	v_mov_b32_e32 v52, 0x7f800001
	s_and_saveexec_b64 s[10:11], vcc
	s_cbranch_execz .LBB551_305
; %bb.304:
	v_and_b32_e32 v43, 7, v22
	v_ffbh_u32_e32 v44, v43
	v_min_u32_e32 v52, 32, v44
	v_subrev_u32_e32 v44, 28, v52
	v_lshlrev_b64 v[44:45], v44, v[22:23]
	v_lshrrev_b32_e32 v51, 3, v42
	v_sub_u32_e32 v45, 29, v52
	v_and_b32_e32 v44, 7, v44
	v_cmp_gt_u32_e32 vcc, 8, v42
	v_cndmask_b32_e32 v42, v51, v45, vcc
	v_cndmask_b32_e32 v43, v43, v44, vcc
	v_lshlrev_b32_e32 v44, 24, v22
	v_bfrev_b32_e32 v45, 60
	v_lshlrev_b32_e32 v43, 20, v43
	v_and_b32_e32 v44, 0x80000000, v44
	v_lshl_add_u32 v42, v42, 23, v45
	v_or3_b32 v52, v44, v42, v43
.LBB551_305:
	s_or_b64 exec, exec, s[10:11]
.LBB551_306:
	s_or_b64 exec, exec, s[8:9]
.LBB551_307:
	s_or_b64 exec, exec, s[2:3]
	s_nop 3
	v_lshrrev_b16_e32 v42, 8, v22
	v_cmp_ne_u16_e32 vcc, 0, v42
	v_mov_b32_e32 v43, 0
	v_mov_b32_e32 v44, 0
	s_and_saveexec_b64 s[2:3], vcc
	s_cbranch_execz .LBB551_313
; %bb.308:
	s_movk_i32 s8, 0x80
	v_cmp_ne_u16_e32 vcc, s8, v42
	v_bfrev_b32_e32 v44, 1
	s_and_saveexec_b64 s[8:9], vcc
	s_cbranch_execz .LBB551_312
; %bb.309:
	s_movk_i32 s10, 0x7f
	v_and_b32_e32 v45, 0x7f, v42
	v_cmp_ne_u32_e32 vcc, s10, v45
	v_mov_b32_e32 v44, 0x7f800001
	s_and_saveexec_b64 s[10:11], vcc
	s_cbranch_execz .LBB551_311
; %bb.310:
	v_and_b32_e32 v44, 7, v42
	v_ffbh_u32_e32 v53, v44
	v_min_u32_e32 v53, 32, v53
	v_subrev_u32_e32 v54, 28, v53
	v_lshlrev_b64 v[54:55], v54, v[42:43]
	v_lshrrev_b32_e32 v51, 3, v45
	v_sub_u32_e32 v42, 29, v53
	v_and_b32_e32 v53, 7, v54
	v_cmp_gt_u32_e32 vcc, 8, v45
	v_cndmask_b32_e32 v42, v51, v42, vcc
	v_cndmask_b32_e32 v44, v44, v53, vcc
	v_lshlrev_b32_e32 v45, 16, v22
	v_bfrev_b32_e32 v51, 60
	v_lshlrev_b32_e32 v44, 20, v44
	v_and_b32_e32 v45, 0x80000000, v45
	v_lshl_add_u32 v42, v42, 23, v51
	v_or3_b32 v44, v45, v42, v44
.LBB551_311:
	s_or_b64 exec, exec, s[10:11]
.LBB551_312:
	s_or_b64 exec, exec, s[8:9]
.LBB551_313:
	s_or_b64 exec, exec, s[2:3]
	s_movk_i32 s2, 0xff
	v_and_b32_sdwa v45, v22, s2 dst_sel:DWORD dst_unused:UNUSED_PAD src0_sel:WORD_1 src1_sel:DWORD
	v_lshrrev_b32_e32 v42, 16, v22
	v_cmp_ne_u16_e32 vcc, 0, v45
	s_and_saveexec_b64 s[2:3], vcc
	s_cbranch_execz .LBB551_319
; %bb.314:
	s_movk_i32 s8, 0x80
	v_cmp_ne_u16_e32 vcc, s8, v45
	v_bfrev_b32_e32 v43, 1
	s_and_saveexec_b64 s[8:9], vcc
	s_cbranch_execz .LBB551_318
; %bb.315:
	v_bfe_u32 v45, v22, 16, 7
	s_movk_i32 s10, 0x7f
	v_cmp_ne_u32_e32 vcc, s10, v45
	v_mov_b32_e32 v43, 0x7f800001
	s_and_saveexec_b64 s[10:11], vcc
	s_cbranch_execz .LBB551_317
; %bb.316:
	v_and_b32_e32 v51, 7, v42
	v_ffbh_u32_e32 v43, v51
	v_min_u32_e32 v54, 32, v43
	v_subrev_u32_e32 v43, 28, v54
	v_lshlrev_b64 v[42:43], v43, v[42:43]
	v_lshrrev_b32_e32 v53, 3, v45
	v_sub_u32_e32 v43, 29, v54
	v_and_b32_e32 v42, 7, v42
	v_cmp_gt_u32_e32 vcc, 8, v45
	v_mov_b32_e32 v45, 24
	v_cndmask_b32_e32 v43, v53, v43, vcc
	v_cndmask_b32_e32 v42, v51, v42, vcc
	v_lshlrev_b32_sdwa v45, v45, v22 dst_sel:DWORD dst_unused:UNUSED_PAD src0_sel:DWORD src1_sel:WORD_1
	v_bfrev_b32_e32 v51, 60
	v_lshlrev_b32_e32 v42, 20, v42
	v_and_b32_e32 v45, 0x80000000, v45
	v_lshl_add_u32 v43, v43, 23, v51
	v_or3_b32 v43, v45, v43, v42
.LBB551_317:
	s_or_b64 exec, exec, s[10:11]
.LBB551_318:
	s_or_b64 exec, exec, s[8:9]
.LBB551_319:
	s_or_b64 exec, exec, s[2:3]
	s_mov_b32 s2, 0xffffff
	v_cmp_lt_u32_e32 vcc, s2, v22
	v_mov_b32_e32 v45, 0
	v_mov_b32_e32 v51, 0
	s_and_saveexec_b64 s[2:3], vcc
	s_cbranch_execz .LBB551_325
; %bb.320:
	v_lshrrev_b32_e32 v42, 24, v22
	s_movk_i32 s8, 0x80
	v_cmp_ne_u32_e32 vcc, s8, v42
	v_bfrev_b32_e32 v51, 1
	s_and_saveexec_b64 s[8:9], vcc
	s_cbranch_execz .LBB551_324
; %bb.321:
	v_bfe_u32 v22, v22, 24, 7
	s_movk_i32 s10, 0x7f
	v_cmp_ne_u32_e32 vcc, s10, v22
	v_mov_b32_e32 v51, 0x7f800001
	s_and_saveexec_b64 s[10:11], vcc
	s_cbranch_execz .LBB551_323
; %bb.322:
	v_and_b32_e32 v51, 7, v42
	v_ffbh_u32_e32 v54, v51
	v_min_u32_e32 v56, 32, v54
	v_subrev_u32_e32 v54, 28, v56
	v_lshlrev_b64 v[54:55], v54, v[42:43]
	v_lshrrev_b32_e32 v53, 3, v22
	v_sub_u32_e32 v55, 29, v56
	v_and_b32_e32 v54, 7, v54
	v_cmp_gt_u32_e32 vcc, 8, v22
	v_cndmask_b32_e32 v22, v53, v55, vcc
	v_cndmask_b32_e32 v51, v51, v54, vcc
	v_lshlrev_b32_e32 v42, 24, v42
	v_bfrev_b32_e32 v53, 60
	v_lshlrev_b32_e32 v51, 20, v51
	v_and_b32_e32 v42, 0x80000000, v42
	v_lshl_add_u32 v22, v22, 23, v53
	v_or3_b32 v51, v42, v22, v51
.LBB551_323:
	s_or_b64 exec, exec, s[10:11]
.LBB551_324:
	s_or_b64 exec, exec, s[8:9]
.LBB551_325:
	s_or_b64 exec, exec, s[2:3]
	v_cmp_ne_u16_sdwa s[8:9], v23, v45 src0_sel:BYTE_0 src1_sel:DWORD
	s_and_saveexec_b64 s[2:3], s[8:9]
	s_cbranch_execz .LBB551_331
; %bb.326:
	s_movk_i32 s8, 0x80
	v_cmp_ne_u16_sdwa s[10:11], v23, s8 src0_sel:BYTE_0 src1_sel:DWORD
	v_bfrev_b32_e32 v45, 1
	s_and_saveexec_b64 s[8:9], s[10:11]
	s_cbranch_execz .LBB551_330
; %bb.327:
	s_movk_i32 s10, 0x7f
	v_and_b32_e32 v22, 0x7f, v23
	v_cmp_ne_u32_e32 vcc, s10, v22
	v_mov_b32_e32 v45, 0x7f800001
	s_and_saveexec_b64 s[10:11], vcc
	s_cbranch_execz .LBB551_329
; %bb.328:
	v_and_b32_e32 v45, 7, v23
	v_ffbh_u32_e32 v54, v45
	v_min_u32_e32 v56, 32, v54
	v_mov_b32_e32 v42, v23
	v_subrev_u32_e32 v54, 28, v56
	v_lshlrev_b64 v[54:55], v54, v[42:43]
	v_lshrrev_b32_e32 v53, 3, v22
	v_sub_u32_e32 v42, 29, v56
	v_and_b32_e32 v54, 7, v54
	v_cmp_gt_u32_e32 vcc, 8, v22
	v_cndmask_b32_e32 v22, v53, v42, vcc
	v_cndmask_b32_e32 v42, v45, v54, vcc
	v_lshlrev_b32_e32 v45, 24, v23
	v_bfrev_b32_e32 v53, 60
	v_lshlrev_b32_e32 v42, 20, v42
	v_and_b32_e32 v45, 0x80000000, v45
	v_lshl_add_u32 v22, v22, 23, v53
	v_or3_b32 v45, v45, v22, v42
.LBB551_329:
	s_or_b64 exec, exec, s[10:11]
.LBB551_330:
	s_or_b64 exec, exec, s[8:9]
.LBB551_331:
	s_or_b64 exec, exec, s[2:3]
	v_lshrrev_b16_e32 v22, 8, v23
	v_cmp_ne_u16_e32 vcc, 0, v22
	v_mov_b32_e32 v53, 0
	v_mov_b32_e32 v54, 0
	s_and_saveexec_b64 s[2:3], vcc
	s_cbranch_execz .LBB551_337
; %bb.332:
	s_movk_i32 s8, 0x80
	v_cmp_ne_u16_e32 vcc, s8, v22
	v_bfrev_b32_e32 v54, 1
	s_and_saveexec_b64 s[8:9], vcc
	s_cbranch_execz .LBB551_336
; %bb.333:
	s_movk_i32 s10, 0x7f
	v_and_b32_e32 v42, 0x7f, v22
	v_cmp_ne_u32_e32 vcc, s10, v42
	v_mov_b32_e32 v54, 0x7f800001
	s_and_saveexec_b64 s[10:11], vcc
	s_cbranch_execz .LBB551_335
; %bb.334:
	v_and_b32_e32 v56, 7, v22
	v_ffbh_u32_e32 v54, v56
	v_min_u32_e32 v58, 32, v54
	v_subrev_u32_e32 v54, 28, v58
	v_lshlrev_b64 v[54:55], v54, v[22:23]
	v_lshrrev_b32_e32 v57, 3, v42
	v_sub_u32_e32 v22, 29, v58
	v_and_b32_e32 v54, 7, v54
	v_cmp_gt_u32_e32 vcc, 8, v42
	v_cndmask_b32_e32 v22, v57, v22, vcc
	v_cndmask_b32_e32 v42, v56, v54, vcc
	v_lshlrev_b32_e32 v54, 16, v23
	v_bfrev_b32_e32 v55, 60
	v_lshlrev_b32_e32 v42, 20, v42
	v_and_b32_e32 v54, 0x80000000, v54
	v_lshl_add_u32 v22, v22, 23, v55
	v_or3_b32 v54, v54, v22, v42
.LBB551_335:
	s_or_b64 exec, exec, s[10:11]
.LBB551_336:
	s_or_b64 exec, exec, s[8:9]
.LBB551_337:
	s_or_b64 exec, exec, s[2:3]
	s_movk_i32 s2, 0xff
	v_and_b32_sdwa v42, v23, s2 dst_sel:DWORD dst_unused:UNUSED_PAD src0_sel:WORD_1 src1_sel:DWORD
	v_lshrrev_b32_e32 v22, 16, v23
	v_cmp_ne_u16_e32 vcc, 0, v42
	s_and_saveexec_b64 s[2:3], vcc
	s_cbranch_execz .LBB551_343
; %bb.338:
	s_movk_i32 s8, 0x80
	v_cmp_ne_u16_e32 vcc, s8, v42
	v_bfrev_b32_e32 v53, 1
	s_and_saveexec_b64 s[8:9], vcc
	s_cbranch_execz .LBB551_342
; %bb.339:
	v_bfe_u32 v42, v23, 16, 7
	s_movk_i32 s10, 0x7f
	v_cmp_ne_u32_e32 vcc, s10, v42
	v_mov_b32_e32 v53, 0x7f800001
	s_and_saveexec_b64 s[10:11], vcc
	s_cbranch_execz .LBB551_341
; %bb.340:
	v_and_b32_e32 v53, 7, v22
	v_ffbh_u32_e32 v56, v53
	v_min_u32_e32 v58, 32, v56
	v_subrev_u32_e32 v56, 28, v58
	v_lshlrev_b64 v[56:57], v56, v[22:23]
	v_and_b32_e32 v56, 7, v56
	v_cmp_gt_u32_e32 vcc, 8, v42
	v_lshrrev_b32_e32 v55, 3, v42
	v_sub_u32_e32 v22, 29, v58
	v_cndmask_b32_e32 v42, v53, v56, vcc
	v_mov_b32_e32 v53, 24
	v_cndmask_b32_e32 v22, v55, v22, vcc
	v_lshlrev_b32_sdwa v53, v53, v23 dst_sel:DWORD dst_unused:UNUSED_PAD src0_sel:DWORD src1_sel:WORD_1
	v_bfrev_b32_e32 v55, 60
	v_lshlrev_b32_e32 v42, 20, v42
	v_and_b32_e32 v53, 0x80000000, v53
	v_lshl_add_u32 v22, v22, 23, v55
	v_or3_b32 v53, v53, v22, v42
.LBB551_341:
	s_or_b64 exec, exec, s[10:11]
.LBB551_342:
	s_or_b64 exec, exec, s[8:9]
.LBB551_343:
	s_or_b64 exec, exec, s[2:3]
	s_mov_b32 s2, 0xffffff
	v_cmp_lt_u32_e32 vcc, s2, v23
	v_mov_b32_e32 v42, 0
	v_mov_b32_e32 v55, 0
	s_and_saveexec_b64 s[2:3], vcc
	s_cbranch_execz .LBB551_349
; %bb.344:
	v_lshrrev_b32_e32 v22, 24, v23
	s_movk_i32 s8, 0x80
	v_cmp_ne_u32_e32 vcc, s8, v22
	v_bfrev_b32_e32 v55, 1
	s_and_saveexec_b64 s[8:9], vcc
	s_cbranch_execz .LBB551_348
; %bb.345:
	v_bfe_u32 v23, v23, 24, 7
	s_movk_i32 s10, 0x7f
	v_cmp_ne_u32_e32 vcc, s10, v23
	v_mov_b32_e32 v55, 0x7f800001
	s_and_saveexec_b64 s[10:11], vcc
	s_cbranch_execz .LBB551_347
; %bb.346:
	v_and_b32_e32 v55, 7, v22
	v_ffbh_u32_e32 v56, v55
	v_min_u32_e32 v59, 32, v56
	v_subrev_u32_e32 v56, 28, v59
	v_lshlrev_b64 v[56:57], v56, v[22:23]
	v_lshrrev_b32_e32 v58, 3, v23
	v_sub_u32_e32 v57, 29, v59
	v_and_b32_e32 v56, 7, v56
	v_cmp_gt_u32_e32 vcc, 8, v23
	v_cndmask_b32_e32 v23, v58, v57, vcc
	v_cndmask_b32_e32 v55, v55, v56, vcc
	v_lshlrev_b32_e32 v22, 24, v22
	v_bfrev_b32_e32 v56, 60
	v_lshlrev_b32_e32 v55, 20, v55
	v_and_b32_e32 v22, 0x80000000, v22
	v_lshl_add_u32 v23, v23, 23, v56
	v_or3_b32 v55, v22, v23, v55
.LBB551_347:
	s_or_b64 exec, exec, s[10:11]
.LBB551_348:
	s_or_b64 exec, exec, s[8:9]
.LBB551_349:
	s_or_b64 exec, exec, s[2:3]
	v_cvt_pkrtz_f16_f32 v22, v52, v44
	v_cvt_pkrtz_f16_f32 v23, v43, v51
	v_cmp_ne_u16_sdwa s[8:9], v24, v42 src0_sel:BYTE_0 src1_sel:DWORD
	s_nop 0
	v_mfma_f32_16x16x16f16 v[56:59], v[22:23], v[26:27], 0
	v_cvt_pkrtz_f16_f32 v22, v45, v54
	v_cvt_pkrtz_f16_f32 v23, v53, v55
	s_nop 1
	v_mfma_f32_16x16x16f16 v[26:29], v[22:23], v[28:29], v[56:59]
	s_and_saveexec_b64 s[2:3], s[8:9]
	s_cbranch_execz .LBB551_355
; %bb.350:
	s_movk_i32 s8, 0x80
	v_cmp_ne_u16_sdwa s[10:11], v24, s8 src0_sel:BYTE_0 src1_sel:DWORD
	v_bfrev_b32_e32 v42, 1
	s_and_saveexec_b64 s[8:9], s[10:11]
	s_cbranch_execz .LBB551_354
; %bb.351:
	s_movk_i32 s10, 0x7f
	v_and_b32_e32 v22, 0x7f, v24
	v_cmp_ne_u32_e32 vcc, s10, v22
	v_mov_b32_e32 v42, 0x7f800001
	s_and_saveexec_b64 s[10:11], vcc
	s_cbranch_execz .LBB551_353
; %bb.352:
	v_and_b32_e32 v23, 7, v24
	v_ffbh_u32_e32 v42, v23
	v_min_u32_e32 v45, 32, v42
	v_subrev_u32_e32 v42, 28, v45
	v_lshlrev_b64 v[42:43], v42, v[24:25]
	v_lshrrev_b32_e32 v44, 3, v22
	v_sub_u32_e32 v43, 29, v45
	v_and_b32_e32 v42, 7, v42
	v_cmp_gt_u32_e32 vcc, 8, v22
	v_cndmask_b32_e32 v22, v44, v43, vcc
	v_cndmask_b32_e32 v23, v23, v42, vcc
	v_lshlrev_b32_e32 v42, 24, v24
	v_bfrev_b32_e32 v43, 60
	v_lshlrev_b32_e32 v23, 20, v23
	v_and_b32_e32 v42, 0x80000000, v42
	v_lshl_add_u32 v22, v22, 23, v43
	v_or3_b32 v42, v42, v22, v23
.LBB551_353:
	s_or_b64 exec, exec, s[10:11]
.LBB551_354:
	s_or_b64 exec, exec, s[8:9]
.LBB551_355:
	s_or_b64 exec, exec, s[2:3]
	v_lshrrev_b16_e32 v22, 8, v24
	v_cmp_ne_u16_e32 vcc, 0, v22
	v_mov_b32_e32 v23, 0
	v_mov_b32_e32 v43, 0
	s_and_saveexec_b64 s[2:3], vcc
	s_cbranch_execz .LBB551_361
; %bb.356:
	s_movk_i32 s8, 0x80
	v_cmp_ne_u16_e32 vcc, s8, v22
	v_bfrev_b32_e32 v43, 1
	s_and_saveexec_b64 s[8:9], vcc
	s_cbranch_execz .LBB551_360
; %bb.357:
	s_movk_i32 s10, 0x7f
	v_and_b32_e32 v44, 0x7f, v22
	v_cmp_ne_u32_e32 vcc, s10, v44
	v_mov_b32_e32 v43, 0x7f800001
	s_and_saveexec_b64 s[10:11], vcc
	s_cbranch_execz .LBB551_359
; %bb.358:
	v_and_b32_e32 v43, 7, v22
	v_ffbh_u32_e32 v51, v43
	v_min_u32_e32 v51, 32, v51
	v_subrev_u32_e32 v52, 28, v51
	v_lshlrev_b64 v[52:53], v52, v[22:23]
	v_lshrrev_b32_e32 v45, 3, v44
	v_sub_u32_e32 v22, 29, v51
	v_and_b32_e32 v51, 7, v52
	v_cmp_gt_u32_e32 vcc, 8, v44
	v_cndmask_b32_e32 v22, v45, v22, vcc
	v_cndmask_b32_e32 v43, v43, v51, vcc
	v_lshlrev_b32_e32 v44, 16, v24
	v_bfrev_b32_e32 v45, 60
	v_lshlrev_b32_e32 v43, 20, v43
	v_and_b32_e32 v44, 0x80000000, v44
	v_lshl_add_u32 v22, v22, 23, v45
	v_or3_b32 v43, v44, v22, v43
.LBB551_359:
	s_or_b64 exec, exec, s[10:11]
.LBB551_360:
	s_or_b64 exec, exec, s[8:9]
.LBB551_361:
	s_or_b64 exec, exec, s[2:3]
	s_movk_i32 s2, 0xff
	v_and_b32_sdwa v44, v24, s2 dst_sel:DWORD dst_unused:UNUSED_PAD src0_sel:WORD_1 src1_sel:DWORD
	v_lshrrev_b32_e32 v22, 16, v24
	v_cmp_ne_u16_e32 vcc, 0, v44
	s_and_saveexec_b64 s[2:3], vcc
	s_cbranch_execz .LBB551_367
; %bb.362:
	s_movk_i32 s8, 0x80
	v_cmp_ne_u16_e32 vcc, s8, v44
	v_bfrev_b32_e32 v23, 1
	s_and_saveexec_b64 s[8:9], vcc
	s_cbranch_execz .LBB551_366
; %bb.363:
	v_bfe_u32 v44, v24, 16, 7
	s_movk_i32 s10, 0x7f
	v_cmp_ne_u32_e32 vcc, s10, v44
	v_mov_b32_e32 v23, 0x7f800001
	s_and_saveexec_b64 s[10:11], vcc
	s_cbranch_execz .LBB551_365
; %bb.364:
	v_and_b32_e32 v45, 7, v22
	v_ffbh_u32_e32 v23, v45
	v_min_u32_e32 v52, 32, v23
	v_subrev_u32_e32 v23, 28, v52
	v_lshlrev_b64 v[22:23], v23, v[22:23]
	v_lshrrev_b32_e32 v51, 3, v44
	v_sub_u32_e32 v23, 29, v52
	v_and_b32_e32 v22, 7, v22
	v_cmp_gt_u32_e32 vcc, 8, v44
	v_mov_b32_e32 v44, 24
	v_cndmask_b32_e32 v23, v51, v23, vcc
	v_cndmask_b32_e32 v22, v45, v22, vcc
	v_lshlrev_b32_sdwa v44, v44, v24 dst_sel:DWORD dst_unused:UNUSED_PAD src0_sel:DWORD src1_sel:WORD_1
	v_bfrev_b32_e32 v45, 60
	v_lshlrev_b32_e32 v22, 20, v22
	v_and_b32_e32 v44, 0x80000000, v44
	v_lshl_add_u32 v23, v23, 23, v45
	v_or3_b32 v23, v44, v23, v22
.LBB551_365:
	s_or_b64 exec, exec, s[10:11]
.LBB551_366:
	s_or_b64 exec, exec, s[8:9]
.LBB551_367:
	s_or_b64 exec, exec, s[2:3]
	s_mov_b32 s2, 0xffffff
	v_cmp_lt_u32_e32 vcc, s2, v24
	v_mov_b32_e32 v45, 0
	v_mov_b32_e32 v51, 0
	s_and_saveexec_b64 s[2:3], vcc
	s_cbranch_execz .LBB551_373
; %bb.368:
	v_lshrrev_b32_e32 v22, 24, v24
	s_movk_i32 s8, 0x80
	v_cmp_ne_u32_e32 vcc, s8, v22
	v_bfrev_b32_e32 v51, 1
	s_and_saveexec_b64 s[8:9], vcc
	s_cbranch_execz .LBB551_372
; %bb.369:
	v_bfe_u32 v24, v24, 24, 7
	s_movk_i32 s10, 0x7f
	v_cmp_ne_u32_e32 vcc, s10, v24
	v_mov_b32_e32 v51, 0x7f800001
	s_and_saveexec_b64 s[10:11], vcc
	s_cbranch_execz .LBB551_371
; %bb.370:
	v_and_b32_e32 v44, 7, v22
	v_ffbh_u32_e32 v52, v44
	v_min_u32_e32 v54, 32, v52
	v_subrev_u32_e32 v52, 28, v54
	v_lshlrev_b64 v[52:53], v52, v[22:23]
	v_lshrrev_b32_e32 v51, 3, v24
	v_sub_u32_e32 v53, 29, v54
	v_and_b32_e32 v52, 7, v52
	v_cmp_gt_u32_e32 vcc, 8, v24
	v_cndmask_b32_e32 v24, v51, v53, vcc
	v_cndmask_b32_e32 v44, v44, v52, vcc
	v_lshlrev_b32_e32 v22, 24, v22
	v_bfrev_b32_e32 v51, 60
	v_lshlrev_b32_e32 v44, 20, v44
	v_and_b32_e32 v22, 0x80000000, v22
	v_lshl_add_u32 v24, v24, 23, v51
	v_or3_b32 v51, v22, v24, v44
.LBB551_371:
	s_or_b64 exec, exec, s[10:11]
.LBB551_372:
	s_or_b64 exec, exec, s[8:9]
.LBB551_373:
	s_or_b64 exec, exec, s[2:3]
	v_cmp_ne_u16_sdwa s[8:9], v25, v45 src0_sel:BYTE_0 src1_sel:DWORD
	s_and_saveexec_b64 s[2:3], s[8:9]
	s_cbranch_execz .LBB551_379
; %bb.374:
	s_movk_i32 s8, 0x80
	v_cmp_ne_u16_sdwa s[10:11], v25, s8 src0_sel:BYTE_0 src1_sel:DWORD
	v_bfrev_b32_e32 v45, 1
	s_and_saveexec_b64 s[8:9], s[10:11]
	s_cbranch_execz .LBB551_378
; %bb.375:
	s_movk_i32 s10, 0x7f
	v_and_b32_e32 v22, 0x7f, v25
	v_cmp_ne_u32_e32 vcc, s10, v22
	v_mov_b32_e32 v45, 0x7f800001
	s_and_saveexec_b64 s[10:11], vcc
	s_cbranch_execz .LBB551_377
; %bb.376:
	v_and_b32_e32 v52, 7, v25
	v_ffbh_u32_e32 v44, v52
	v_min_u32_e32 v54, 32, v44
	v_mov_b32_e32 v24, v25
	v_subrev_u32_e32 v44, 28, v54
	v_lshlrev_b64 v[44:45], v44, v[24:25]
	v_lshrrev_b32_e32 v53, 3, v22
	v_sub_u32_e32 v24, 29, v54
	v_and_b32_e32 v44, 7, v44
	v_cmp_gt_u32_e32 vcc, 8, v22
	v_cndmask_b32_e32 v22, v53, v24, vcc
	v_cndmask_b32_e32 v24, v52, v44, vcc
	v_lshlrev_b32_e32 v44, 24, v25
	v_bfrev_b32_e32 v45, 60
	v_lshlrev_b32_e32 v24, 20, v24
	v_and_b32_e32 v44, 0x80000000, v44
	v_lshl_add_u32 v22, v22, 23, v45
	v_or3_b32 v45, v44, v22, v24
.LBB551_377:
	s_or_b64 exec, exec, s[10:11]
.LBB551_378:
	s_or_b64 exec, exec, s[8:9]
.LBB551_379:
	s_or_b64 exec, exec, s[2:3]
	v_lshrrev_b16_e32 v22, 8, v25
	v_cmp_ne_u16_e32 vcc, 0, v22
	v_mov_b32_e32 v52, 0
	v_mov_b32_e32 v53, 0
	s_and_saveexec_b64 s[2:3], vcc
	s_cbranch_execz .LBB551_385
; %bb.380:
	s_movk_i32 s8, 0x80
	v_cmp_ne_u16_e32 vcc, s8, v22
	v_bfrev_b32_e32 v53, 1
	s_and_saveexec_b64 s[8:9], vcc
	s_cbranch_execz .LBB551_384
; %bb.381:
	s_movk_i32 s10, 0x7f
	v_and_b32_e32 v24, 0x7f, v22
	v_cmp_ne_u32_e32 vcc, s10, v24
	v_mov_b32_e32 v53, 0x7f800001
	s_and_saveexec_b64 s[10:11], vcc
	s_cbranch_execz .LBB551_383
; %bb.382:
	v_and_b32_e32 v44, 7, v22
	v_ffbh_u32_e32 v54, v44
	v_min_u32_e32 v56, 32, v54
	v_subrev_u32_e32 v54, 28, v56
	v_lshlrev_b64 v[54:55], v54, v[22:23]
	v_lshrrev_b32_e32 v53, 3, v24
	v_sub_u32_e32 v22, 29, v56
	v_and_b32_e32 v54, 7, v54
	v_cmp_gt_u32_e32 vcc, 8, v24
	v_cndmask_b32_e32 v22, v53, v22, vcc
	v_cndmask_b32_e32 v24, v44, v54, vcc
	v_lshlrev_b32_e32 v44, 16, v25
	v_bfrev_b32_e32 v53, 60
	v_lshlrev_b32_e32 v24, 20, v24
	v_and_b32_e32 v44, 0x80000000, v44
	v_lshl_add_u32 v22, v22, 23, v53
	v_or3_b32 v53, v44, v22, v24
.LBB551_383:
	s_or_b64 exec, exec, s[10:11]
.LBB551_384:
	s_or_b64 exec, exec, s[8:9]
.LBB551_385:
	s_or_b64 exec, exec, s[2:3]
	s_movk_i32 s2, 0xff
	v_and_b32_sdwa v24, v25, s2 dst_sel:DWORD dst_unused:UNUSED_PAD src0_sel:WORD_1 src1_sel:DWORD
	v_lshrrev_b32_e32 v22, 16, v25
	v_cmp_ne_u16_e32 vcc, 0, v24
	s_and_saveexec_b64 s[2:3], vcc
	s_cbranch_execz .LBB551_391
; %bb.386:
	s_movk_i32 s8, 0x80
	v_cmp_ne_u16_e32 vcc, s8, v24
	v_bfrev_b32_e32 v52, 1
	s_and_saveexec_b64 s[8:9], vcc
	s_cbranch_execz .LBB551_390
; %bb.387:
	v_bfe_u32 v24, v25, 16, 7
	s_movk_i32 s10, 0x7f
	v_cmp_ne_u32_e32 vcc, s10, v24
	v_mov_b32_e32 v52, 0x7f800001
	s_and_saveexec_b64 s[10:11], vcc
	s_cbranch_execz .LBB551_389
; %bb.388:
	v_and_b32_e32 v44, 7, v22
	v_ffbh_u32_e32 v54, v44
	v_min_u32_e32 v56, 32, v54
	v_subrev_u32_e32 v54, 28, v56
	v_lshlrev_b64 v[54:55], v54, v[22:23]
	v_and_b32_e32 v54, 7, v54
	v_cmp_gt_u32_e32 vcc, 8, v24
	v_lshrrev_b32_e32 v52, 3, v24
	v_sub_u32_e32 v22, 29, v56
	v_cndmask_b32_e32 v24, v44, v54, vcc
	v_mov_b32_e32 v44, 24
	v_cndmask_b32_e32 v22, v52, v22, vcc
	v_lshlrev_b32_sdwa v44, v44, v25 dst_sel:DWORD dst_unused:UNUSED_PAD src0_sel:DWORD src1_sel:WORD_1
	v_bfrev_b32_e32 v52, 60
	v_lshlrev_b32_e32 v24, 20, v24
	v_and_b32_e32 v44, 0x80000000, v44
	v_lshl_add_u32 v22, v22, 23, v52
	v_or3_b32 v52, v44, v22, v24
.LBB551_389:
	s_or_b64 exec, exec, s[10:11]
.LBB551_390:
	s_or_b64 exec, exec, s[8:9]
.LBB551_391:
	s_or_b64 exec, exec, s[2:3]
	s_mov_b32 s2, 0xffffff
	v_and_b32_e32 v44, 63, v0
	v_cmp_lt_u32_e32 vcc, s2, v25
	v_mov_b32_e32 v54, 0
	s_and_saveexec_b64 s[2:3], vcc
	s_cbranch_execz .LBB551_397
; %bb.392:
	v_lshrrev_b32_e32 v22, 24, v25
	s_movk_i32 s8, 0x80
	v_cmp_ne_u32_e32 vcc, s8, v22
	v_bfrev_b32_e32 v54, 1
	s_and_saveexec_b64 s[8:9], vcc
	s_cbranch_execz .LBB551_396
; %bb.393:
	v_bfe_u32 v24, v25, 24, 7
	s_movk_i32 s10, 0x7f
	v_cmp_ne_u32_e32 vcc, s10, v24
	v_mov_b32_e32 v54, 0x7f800001
	s_and_saveexec_b64 s[10:11], vcc
	s_cbranch_execz .LBB551_395
; %bb.394:
	v_and_b32_e32 v25, 7, v22
	v_ffbh_u32_e32 v54, v25
	v_min_u32_e32 v57, 32, v54
	v_subrev_u32_e32 v54, 28, v57
	v_lshlrev_b64 v[54:55], v54, v[22:23]
	v_lshrrev_b32_e32 v56, 3, v24
	v_sub_u32_e32 v55, 29, v57
	v_and_b32_e32 v54, 7, v54
	v_cmp_gt_u32_e32 vcc, 8, v24
	v_cndmask_b32_e32 v24, v56, v55, vcc
	v_cndmask_b32_e32 v25, v25, v54, vcc
	v_lshlrev_b32_e32 v22, 24, v22
	v_bfrev_b32_e32 v54, 60
	v_lshlrev_b32_e32 v25, 20, v25
	v_and_b32_e32 v22, 0x80000000, v22
	v_lshl_add_u32 v24, v24, 23, v54
	v_or3_b32 v54, v22, v24, v25
.LBB551_395:
	s_or_b64 exec, exec, s[10:11]
.LBB551_396:
	s_or_b64 exec, exec, s[8:9]
.LBB551_397:
	s_or_b64 exec, exec, s[2:3]
	v_cvt_pkrtz_f16_f32 v42, v42, v43
	v_cvt_pkrtz_f16_f32 v43, v23, v51
	s_load_dword s2, s[4:5], 0x1c
	s_mov_b32 s46, 0xff7fffff
	s_waitcnt lgkmcnt(0)
	v_mfma_f32_16x16x16f16 v[26:29], v[42:43], v[18:19], v[26:29]
	v_cvt_pkrtz_f16_f32 v18, v45, v53
	v_cvt_pkrtz_f16_f32 v19, v52, v54
	v_mov_b32_e32 v22, s2
	v_mul_f32_e32 v56, s12, v22
	v_pk_mul_f32 v[22:23], v[56:57], v[32:33] op_sel_hi:[0,1]
	v_pk_mul_f32 v[32:33], v[56:57], v[38:39] op_sel_hi:[0,1]
	v_and_b32_e32 v38, 0xc0, v0
	v_mfma_f32_16x16x16f16 v[26:29], v[18:19], v[20:21], v[26:29]
	v_add_u32_e32 v38, s18, v38
	v_lshl_or_b32 v38, v1, 2, v38
	v_or_b32_e32 v39, 1, v38
	v_pk_mul_f32 v[24:25], v[56:57], v[30:31] op_sel_hi:[0,1]
	v_pk_mul_f32 v[30:31], v[56:57], v[40:41] op_sel_hi:[0,1]
	v_subrev_u32_e32 v40, s33, v39
	v_pk_mul_f32 v[34:35], v[56:57], v[34:35] op_sel_hi:[0,1]
	s_nop 3
	v_pk_mul_f32 v[20:21], v[56:57], v[26:27] op_sel_hi:[0,1]
	v_add_u32_e32 v27, 1, v40
	v_pk_mul_f32 v[18:19], v[56:57], v[28:29] op_sel_hi:[0,1]
	v_cvt_f32_i32_e32 v27, v27
	v_add_u32_e32 v29, 3, v40
	v_cvt_f32_i32_e32 v29, v29
	v_cvt_f32_i32_e32 v26, v40
	v_pk_mul_f32 v[36:37], v[56:57], v[36:37] op_sel_hi:[0,1]
	v_fmac_f32_e32 v35, v50, v27
	v_add_u32_e32 v27, 16, v40
	v_fmac_f32_e32 v37, v50, v29
	v_cvt_f32_i32_e32 v27, v27
	v_add_u32_e32 v29, 17, v40
	v_fma_f32 v26, v50, v26, v34
	v_cvt_f32_i32_e32 v29, v29
	v_add_u32_e32 v34, 18, v40
	v_cvt_f32_i32_e32 v34, v34
	v_fma_f32 v41, v50, v27, v32
	v_add_u32_e32 v27, 32, v40
	v_fmac_f32_e32 v33, v50, v29
	v_cvt_f32_i32_e32 v27, v27
	v_add_u32_e32 v29, 33, v40
	v_add_u32_e32 v32, 34, v40
	v_fma_f32 v30, v50, v34, v30
	v_cvt_f32_i32_e32 v29, v29
	v_cvt_f32_i32_e32 v32, v32
	v_add_u32_e32 v34, 35, v40
	v_cvt_f32_i32_e32 v34, v34
	v_fma_f32 v24, v50, v27, v24
	v_add_u32_e32 v27, 48, v40
	v_fmac_f32_e32 v25, v50, v29
	v_fma_f32 v22, v50, v32, v22
	v_cvt_f32_i32_e32 v27, v27
	v_add_u32_e32 v29, 49, v40
	v_add_u32_e32 v32, 50, v40
	v_fmac_f32_e32 v23, v50, v34
	v_cvt_f32_i32_e32 v29, v29
	v_cvt_f32_i32_e32 v32, v32
	v_add_u32_e32 v34, 51, v40
	v_add_u32_e32 v28, 2, v40
	v_cvt_f32_i32_e32 v34, v34
	v_cvt_f32_i32_e32 v28, v28
	v_fma_f32 v20, v50, v27, v20
	v_mov_b32_e32 v27, 0xff7fffff
	v_cmp_gt_i32_e64 s[26:27], s33, v38
	v_cmp_gt_i32_e64 s[28:29], s33, v39
	v_fmac_f32_e32 v21, v50, v29
	v_fma_f32 v18, v50, v32, v18
	v_cndmask_b32_e64 v29, v27, v26, s[26:27]
	v_cndmask_b32_e64 v32, v27, v35, s[28:29]
	v_fmac_f32_e32 v19, v50, v34
	v_max3_f32 v29, v29, s46, v32
	v_or_b32_e32 v32, 2, v38
	v_or_b32_e32 v34, 3, v38
	v_fma_f32 v28, v50, v28, v36
	v_cmp_gt_i32_e64 s[30:31], s33, v32
	v_cmp_gt_i32_e64 s[34:35], s33, v34
	v_add_u32_e32 v36, 19, v40
	v_cndmask_b32_e64 v32, v27, v28, s[30:31]
	v_cndmask_b32_e64 v34, v27, v37, s[34:35]
	v_cvt_f32_i32_e32 v36, v36
	v_max3_f32 v29, v29, v32, v34
	v_or_b32_e32 v32, 16, v38
	v_or_b32_e32 v34, 17, v38
	v_cmp_gt_i32_e64 s[36:37], s33, v32
	v_cmp_gt_i32_e64 s[38:39], s33, v34
	v_cndmask_b32_e64 v32, v27, v41, s[36:37]
	v_cndmask_b32_e64 v34, v27, v33, s[38:39]
	v_max3_f32 v29, v29, v32, v34
	v_or_b32_e32 v32, 18, v38
	v_or_b32_e32 v34, 19, v38
	v_fmac_f32_e32 v31, v50, v36
	v_cmp_gt_i32_e64 s[20:21], s33, v32
	v_cmp_gt_i32_e64 s[22:23], s33, v34
	v_cndmask_b32_e64 v32, v27, v30, s[20:21]
	v_cndmask_b32_e64 v34, v27, v31, s[22:23]
	v_max3_f32 v29, v29, v32, v34
	v_or_b32_e32 v32, 32, v38
	v_or_b32_e32 v34, 33, v38
	v_cmp_gt_i32_e64 s[16:17], s33, v32
	v_cmp_gt_i32_e64 s[18:19], s33, v34
	v_cndmask_b32_e64 v32, v27, v24, s[16:17]
	v_cndmask_b32_e64 v34, v27, v25, s[18:19]
	v_max3_f32 v29, v29, v32, v34
	v_or_b32_e32 v32, 34, v38
	v_or_b32_e32 v34, 35, v38
	;; [unrolled: 7-line block ×4, first 2 shown]
	v_cmp_gt_i32_e32 vcc, s33, v32
	v_cmp_gt_i32_e64 s[2:3], s33, v34
	v_cndmask_b32_e32 v32, v27, v18, vcc
	v_cndmask_b32_e64 v27, v27, v19, s[2:3]
	v_max3_f32 v27, v29, v32, v27
	v_mbcnt_lo_u32_b32 v29, -1, 0
	v_mbcnt_hi_u32_b32 v29, -1, v29
	v_and_b32_e32 v32, 64, v29
	v_add_u32_e32 v32, 64, v32
	v_xor_b32_e32 v34, 32, v29
	v_cmp_lt_i32_e64 s[40:41], v34, v32
	v_cndmask_b32_e64 v34, v29, v34, s[40:41]
	v_lshlrev_b32_e32 v36, 2, v34
	ds_bpermute_b32 v34, v36, v27
	s_barrier
	s_waitcnt lgkmcnt(0)
	v_max_f32_e32 v34, v34, v34
	v_max_f32_e32 v27, v27, v34
	v_xor_b32_e32 v34, 16, v29
	v_cmp_lt_i32_e64 s[40:41], v34, v32
	v_cndmask_b32_e64 v29, v29, v34, s[40:41]
	v_lshlrev_b32_e32 v38, 2, v29
	ds_bpermute_b32 v29, v38, v27
	s_waitcnt lgkmcnt(0)
	v_max_f32_e32 v29, v29, v29
	v_max_f32_e32 v32, v27, v29
	v_sub_f32_e32 v26, v26, v32
	v_mul_f32_e32 v26, 0x3fb8aa3b, v26
	v_sub_f32_e32 v27, v35, v32
	v_exp_f32_e32 v26, v26
	v_mul_f32_e32 v27, 0x3fb8aa3b, v27
	v_sub_f32_e32 v28, v28, v32
	v_exp_f32_e32 v27, v27
	v_mul_f32_e32 v28, 0x3fb8aa3b, v28
	v_exp_f32_e32 v28, v28
	v_cndmask_b32_e64 v26, 0, v26, s[26:27]
	v_sub_f32_e32 v34, v37, v32
	v_add_f32_e32 v29, 0, v26
	v_cndmask_b32_e64 v27, 0, v27, s[28:29]
	v_mul_f32_e32 v34, 0x3fb8aa3b, v34
	v_exp_f32_e32 v35, v34
	v_add_f32_e32 v29, v29, v27
	v_cndmask_b32_e64 v34, 0, v28, s[30:31]
	v_add_f32_e32 v28, v29, v34
	v_sub_f32_e32 v29, v41, v32
	v_mul_f32_e32 v29, 0x3fb8aa3b, v29
	v_sub_f32_e32 v33, v33, v32
	v_exp_f32_e32 v29, v29
	v_mul_f32_e32 v33, 0x3fb8aa3b, v33
	v_sub_f32_e32 v30, v30, v32
	v_exp_f32_e32 v33, v33
	;; [unrolled: 3-line block ×3, first 2 shown]
	v_mul_f32_e32 v31, 0x3fb8aa3b, v31
	v_sub_f32_e32 v24, v24, v32
	v_cndmask_b32_e64 v35, 0, v35, s[34:35]
	v_exp_f32_e32 v31, v31
	v_mul_f32_e32 v24, 0x3fb8aa3b, v24
	v_sub_f32_e32 v25, v25, v32
	v_add_f32_e32 v37, v28, v35
	v_cndmask_b32_e64 v28, 0, v29, s[36:37]
	v_exp_f32_e32 v24, v24
	v_mul_f32_e32 v25, 0x3fb8aa3b, v25
	v_sub_f32_e32 v22, v22, v32
	v_add_f32_e32 v37, v37, v28
	;; [unrolled: 5-line block ×7, first 2 shown]
	v_cndmask_b32_e64 v22, 0, v22, s[12:13]
	v_exp_f32_e32 v18, v18
	v_mul_f32_e32 v19, 0x3fb8aa3b, v19
	v_add_f32_e32 v33, v33, v22
	v_cndmask_b32_e64 v23, 0, v23, s[14:15]
	v_exp_f32_e32 v19, v19
	v_add_f32_e32 v33, v33, v23
	v_cndmask_b32_e64 v20, 0, v20, s[8:9]
	v_add_f32_e32 v33, v33, v20
	v_cndmask_b32_e64 v21, 0, v21, s[10:11]
	v_add_f32_e32 v33, v33, v21
	v_cndmask_b32_e32 v18, 0, v18, vcc
	v_add_f32_e32 v33, v33, v18
	v_cndmask_b32_e64 v19, 0, v19, s[2:3]
	v_add_f32_e32 v33, v33, v19
	ds_bpermute_b32 v36, v36, v33
	v_cmp_gt_u32_e32 vcc, 16, v44
	s_waitcnt lgkmcnt(0)
	v_add_f32_e32 v33, v33, v36
	ds_bpermute_b32 v37, v38, v33
	v_lshlrev_b32_e32 v36, 2, v48
	s_and_saveexec_b64 s[2:3], vcc
	s_cbranch_execz .LBB551_399
; %bb.398:
	s_waitcnt lgkmcnt(0)
	v_add_f32_e32 v33, v33, v37
	v_lshl_or_b32 v37, v49, 6, v36
	ds_write2st64_b32 v37, v32, v33 offset1:1
.LBB551_399:
	s_or_b64 exec, exec, s[2:3]
	s_waitcnt lgkmcnt(0)
	s_barrier
	ds_read2_b32 v[38:39], v36 offset1:16
	ds_read2_b32 v[40:41], v36 offset0:32 offset1:48
	ds_read2_b32 v[42:43], v36 offset0:64 offset1:80
	s_mul_i32 s12, s45, 10
	s_waitcnt lgkmcnt(2)
	v_max3_f32 v32, v38, s46, v39
	s_waitcnt lgkmcnt(1)
	v_max3_f32 v33, v32, v40, v41
	v_sub_f32_e32 v32, v38, v33
	v_mul_f32_e32 v32, 0x3fb8aa3b, v32
	v_exp_f32_e32 v37, v32
	v_sub_f32_e32 v32, v39, v33
	v_mul_f32_e32 v32, 0x3fb8aa3b, v32
	v_exp_f32_e32 v44, v32
	;; [unrolled: 3-line block ×3, first 2 shown]
	ds_read2_b32 v[38:39], v36 offset0:96 offset1:112
	v_sub_f32_e32 v32, v41, v33
	v_mul_f32_e32 v32, 0x3fb8aa3b, v32
	v_exp_f32_e32 v41, v32
	s_waitcnt lgkmcnt(1)
	v_fma_f32 v36, v37, v42, 0
	v_fmac_f32_e32 v36, v44, v43
	s_waitcnt lgkmcnt(0)
	v_fmac_f32_e32 v36, v40, v38
	v_fmac_f32_e32 v36, v41, v39
	v_add_f32_e32 v38, 0x358637bd, v36
	v_div_scale_f32 v39, s[2:3], v38, v38, 1.0
	v_rcp_f32_e32 v42, v39
	s_barrier
	v_fma_f32 v43, -v39, v42, 1.0
	v_fmac_f32_e32 v42, v43, v42
	v_div_scale_f32 v43, vcc, 1.0, v38, 1.0
	v_mul_f32_e32 v45, v43, v42
	v_fma_f32 v50, -v39, v45, v43
	v_fmac_f32_e32 v45, v50, v42
	v_fma_f32 v39, -v39, v45, v43
	v_div_fmas_f32 v39, v39, v42, v45
	v_cmp_eq_u32_e32 vcc, 1, v49
	v_cndmask_b32_e32 v37, v37, v44, vcc
	v_cmp_eq_u32_e32 vcc, 2, v49
	v_cndmask_b32_e32 v37, v37, v40, vcc
	v_cmp_eq_u32_e32 vcc, 3, v49
	v_div_fixup_f32 v38, v39, v38, 1.0
	v_cndmask_b32_e32 v37, v37, v41, vcc
	v_mul_f32_e32 v38, v37, v38
	v_pk_mul_f32 v[34:35], v[38:39], v[34:35] op_sel_hi:[0,1]
	v_pk_mul_f32 v[26:27], v[38:39], v[26:27] op_sel_hi:[0,1]
	v_cvt_f16_f32_e32 v26, v26
	v_cvt_f16_f32_e32 v27, v27
	;; [unrolled: 1-line block ×4, first 2 shown]
	v_pk_mul_f32 v[30:31], v[38:39], v[30:31] op_sel_hi:[0,1]
	v_pk_mul_f32 v[28:29], v[38:39], v[28:29] op_sel_hi:[0,1]
	v_cvt_f16_f32_e32 v28, v28
	v_cvt_f16_f32_e32 v29, v29
	;; [unrolled: 1-line block ×4, first 2 shown]
	v_pack_b32_f16 v34, v26, v27
	v_pack_b32_f16 v35, v37, v35
	v_lshlrev_b32_e32 v26, 3, v1
	v_lshlrev_b32_e32 v27, 5, v48
	;; [unrolled: 1-line block ×3, first 2 shown]
	v_or3_b32 v26, v37, v27, v26
	v_pack_b32_f16 v28, v28, v29
	v_pack_b32_f16 v29, v30, v31
	v_pk_mul_f32 v[22:23], v[38:39], v[22:23] op_sel_hi:[0,1]
	v_pk_mul_f32 v[24:25], v[38:39], v[24:25] op_sel_hi:[0,1]
	;; [unrolled: 1-line block ×4, first 2 shown]
	ds_write2st64_b64 v26, v[34:35], v[28:29] offset1:1
	v_cvt_f16_f32_e32 v24, v24
	v_cvt_f16_f32_e32 v25, v25
	;; [unrolled: 1-line block ×8, first 2 shown]
	v_mov_b32_e32 v32, 0
	v_pack_b32_f16 v18, v24, v25
	v_pack_b32_f16 v19, v22, v23
	;; [unrolled: 1-line block ×4, first 2 shown]
	v_cmp_gt_u32_e32 vcc, 10, v0
	ds_write2st64_b64 v26, v[18:19], v[20:21] offset0:2 offset1:3
	s_and_saveexec_b64 s[2:3], vcc
	s_cbranch_execz .LBB551_401
; %bb.400:
	v_add_co_u32_e32 v20, vcc, s25, v48
	v_addc_co_u32_e64 v21, s[14:15], 0, 0, vcc
	v_mov_b32_e32 v18, s12
	v_mov_b32_e32 v19, 0
	v_mad_u64_u32 v[20:21], s[14:15], s6, v18, v[20:21]
	v_mov_b32_e32 v18, s24
	s_load_dwordx4 s[8:11], s[4:5], 0x58
	s_mul_i32 s7, s7, s12
	v_mad_u64_u32 v[18:19], s[14:15], v20, s44, v[18:19]
	v_add_u32_e32 v21, s7, v21
	v_mov_b32_e32 v20, v19
	v_mad_u64_u32 v[20:21], s[14:15], v21, s44, v[20:21]
	v_mov_b32_e32 v19, v20
	v_lshlrev_b64 v[18:19], 2, v[18:19]
	s_waitcnt lgkmcnt(0)
	v_mov_b32_e32 v21, s11
	v_add_co_u32_e32 v20, vcc, s10, v18
	v_addc_co_u32_e32 v21, vcc, v21, v19, vcc
	global_store_dword v[20:21], v33, off
	v_mov_b32_e32 v20, s9
	v_add_co_u32_e32 v18, vcc, s8, v18
	v_addc_co_u32_e32 v19, vcc, v20, v19, vcc
	global_store_dword v[18:19], v36, off
.LBB551_401:
	s_or_b64 exec, exec, s[2:3]
	v_mov_b32_e32 v19, 0
	s_waitcnt vmcnt(3)
	v_cmp_ne_u16_sdwa s[8:9], v14, v19 src0_sel:BYTE_0 src1_sel:DWORD
	s_waitcnt lgkmcnt(0)
	s_barrier
	s_and_saveexec_b64 s[2:3], s[8:9]
	s_cbranch_execz .LBB551_407
; %bb.402:
	s_movk_i32 s7, 0x80
	v_cmp_ne_u16_sdwa s[10:11], v14, s7 src0_sel:BYTE_0 src1_sel:DWORD
	v_bfrev_b32_e32 v32, 1
	s_and_saveexec_b64 s[8:9], s[10:11]
	s_cbranch_execz .LBB551_406
; %bb.403:
	s_movk_i32 s7, 0x7f
	v_and_b32_e32 v18, 0x7f, v14
	v_cmp_ne_u32_e32 vcc, s7, v18
	v_mov_b32_e32 v32, 0x7f800001
	s_and_saveexec_b64 s[10:11], vcc
	s_cbranch_execz .LBB551_405
; %bb.404:
	v_and_b32_e32 v22, 7, v14
	v_ffbh_u32_e32 v20, v22
	v_min_u32_e32 v24, 32, v20
	v_subrev_u32_e32 v20, 28, v24
	v_lshlrev_b64 v[20:21], v20, v[14:15]
	v_lshrrev_b32_e32 v23, 3, v18
	v_sub_u32_e32 v21, 29, v24
	v_and_b32_e32 v20, 7, v20
	v_cmp_gt_u32_e32 vcc, 8, v18
	v_cndmask_b32_e32 v18, v23, v21, vcc
	v_cndmask_b32_e32 v20, v22, v20, vcc
	v_lshlrev_b32_e32 v21, 24, v14
	v_bfrev_b32_e32 v22, 60
	v_lshlrev_b32_e32 v20, 20, v20
	v_and_b32_e32 v21, 0x80000000, v21
	v_lshl_add_u32 v18, v18, 23, v22
	v_or3_b32 v32, v21, v18, v20
.LBB551_405:
	s_or_b64 exec, exec, s[10:11]
.LBB551_406:
	s_or_b64 exec, exec, s[8:9]
.LBB551_407:
	s_or_b64 exec, exec, s[2:3]
	v_lshrrev_b16_e32 v18, 8, v14
	v_cmp_ne_u16_e32 vcc, 0, v18
	v_mov_b32_e32 v20, 0
	s_and_saveexec_b64 s[2:3], vcc
	s_cbranch_execz .LBB551_413
; %bb.408:
	s_movk_i32 s7, 0x80
	v_cmp_ne_u16_e32 vcc, s7, v18
	v_bfrev_b32_e32 v20, 1
	s_and_saveexec_b64 s[8:9], vcc
	s_cbranch_execz .LBB551_412
; %bb.409:
	s_movk_i32 s7, 0x7f
	v_and_b32_e32 v21, 0x7f, v18
	v_cmp_ne_u32_e32 vcc, s7, v21
	v_mov_b32_e32 v20, 0x7f800001
	s_and_saveexec_b64 s[10:11], vcc
	s_cbranch_execz .LBB551_411
; %bb.410:
	v_and_b32_e32 v20, 7, v18
	v_ffbh_u32_e32 v22, v20
	v_min_u32_e32 v25, 32, v22
	v_subrev_u32_e32 v22, 28, v25
	v_lshlrev_b64 v[22:23], v22, v[18:19]
	v_lshrrev_b32_e32 v24, 3, v21
	v_sub_u32_e32 v18, 29, v25
	v_and_b32_e32 v22, 7, v22
	v_cmp_gt_u32_e32 vcc, 8, v21
	v_cndmask_b32_e32 v18, v24, v18, vcc
	v_cndmask_b32_e32 v20, v20, v22, vcc
	v_lshlrev_b32_e32 v21, 16, v14
	v_bfrev_b32_e32 v22, 60
	v_lshlrev_b32_e32 v20, 20, v20
	v_and_b32_e32 v21, 0x80000000, v21
	v_lshl_add_u32 v18, v18, 23, v22
	v_or3_b32 v20, v21, v18, v20
.LBB551_411:
	s_or_b64 exec, exec, s[10:11]
.LBB551_412:
	s_or_b64 exec, exec, s[8:9]
.LBB551_413:
	s_or_b64 exec, exec, s[2:3]
	s_movk_i32 s2, 0xff
	v_and_b32_sdwa v21, v14, s2 dst_sel:DWORD dst_unused:UNUSED_PAD src0_sel:WORD_1 src1_sel:DWORD
	v_lshrrev_b32_e32 v18, 16, v14
	v_cmp_ne_u16_e32 vcc, 0, v21
	s_and_saveexec_b64 s[2:3], vcc
	s_cbranch_execz .LBB551_419
; %bb.414:
	s_movk_i32 s7, 0x80
	v_cmp_ne_u16_e32 vcc, s7, v21
	v_bfrev_b32_e32 v19, 1
	s_and_saveexec_b64 s[8:9], vcc
	s_cbranch_execz .LBB551_418
; %bb.415:
	v_bfe_u32 v21, v14, 16, 7
	s_movk_i32 s7, 0x7f
	v_cmp_ne_u32_e32 vcc, s7, v21
	v_mov_b32_e32 v19, 0x7f800001
	s_and_saveexec_b64 s[10:11], vcc
	s_cbranch_execz .LBB551_417
; %bb.416:
	v_and_b32_e32 v22, 7, v18
	v_ffbh_u32_e32 v19, v22
	v_min_u32_e32 v24, 32, v19
	v_subrev_u32_e32 v19, 28, v24
	v_lshlrev_b64 v[18:19], v19, v[18:19]
	v_lshrrev_b32_e32 v23, 3, v21
	v_sub_u32_e32 v19, 29, v24
	v_and_b32_e32 v18, 7, v18
	v_cmp_gt_u32_e32 vcc, 8, v21
	v_mov_b32_e32 v21, 24
	v_cndmask_b32_e32 v19, v23, v19, vcc
	v_cndmask_b32_e32 v18, v22, v18, vcc
	v_lshlrev_b32_sdwa v21, v21, v14 dst_sel:DWORD dst_unused:UNUSED_PAD src0_sel:DWORD src1_sel:WORD_1
	v_bfrev_b32_e32 v22, 60
	v_lshlrev_b32_e32 v18, 20, v18
	v_and_b32_e32 v21, 0x80000000, v21
	v_lshl_add_u32 v19, v19, 23, v22
	v_or3_b32 v19, v21, v19, v18
.LBB551_417:
	s_or_b64 exec, exec, s[10:11]
.LBB551_418:
	s_or_b64 exec, exec, s[8:9]
.LBB551_419:
	s_or_b64 exec, exec, s[2:3]
	s_mov_b32 s2, 0xffffff
	v_cmp_lt_u32_e32 vcc, s2, v14
	v_mov_b32_e32 v21, 0
	v_mov_b32_e32 v22, 0
	s_and_saveexec_b64 s[2:3], vcc
	s_cbranch_execz .LBB551_425
; %bb.420:
	v_lshrrev_b32_e32 v18, 24, v14
	s_movk_i32 s7, 0x80
	v_cmp_ne_u32_e32 vcc, s7, v18
	v_bfrev_b32_e32 v22, 1
	s_and_saveexec_b64 s[8:9], vcc
	s_cbranch_execz .LBB551_424
; %bb.421:
	v_bfe_u32 v14, v14, 24, 7
	s_movk_i32 s7, 0x7f
	v_cmp_ne_u32_e32 vcc, s7, v14
	v_mov_b32_e32 v22, 0x7f800001
	s_and_saveexec_b64 s[10:11], vcc
	s_cbranch_execz .LBB551_423
; %bb.422:
	v_and_b32_e32 v24, 7, v18
	v_ffbh_u32_e32 v22, v24
	v_min_u32_e32 v28, 32, v22
	v_subrev_u32_e32 v22, 28, v28
	v_lshlrev_b64 v[22:23], v22, v[18:19]
	v_lshrrev_b32_e32 v25, 3, v14
	v_sub_u32_e32 v23, 29, v28
	v_and_b32_e32 v22, 7, v22
	v_cmp_gt_u32_e32 vcc, 8, v14
	v_cndmask_b32_e32 v14, v25, v23, vcc
	v_cndmask_b32_e32 v22, v24, v22, vcc
	v_lshlrev_b32_e32 v18, 24, v18
	v_bfrev_b32_e32 v23, 60
	v_lshlrev_b32_e32 v22, 20, v22
	v_and_b32_e32 v18, 0x80000000, v18
	v_lshl_add_u32 v14, v14, 23, v23
	v_or3_b32 v22, v18, v14, v22
.LBB551_423:
	s_or_b64 exec, exec, s[10:11]
.LBB551_424:
	s_or_b64 exec, exec, s[8:9]
.LBB551_425:
	s_or_b64 exec, exec, s[2:3]
	v_cmp_ne_u16_sdwa s[8:9], v15, v21 src0_sel:BYTE_0 src1_sel:DWORD
	s_and_saveexec_b64 s[2:3], s[8:9]
	s_cbranch_execz .LBB551_431
; %bb.426:
	s_movk_i32 s7, 0x80
	v_cmp_ne_u16_sdwa s[10:11], v15, s7 src0_sel:BYTE_0 src1_sel:DWORD
	v_bfrev_b32_e32 v21, 1
	s_and_saveexec_b64 s[8:9], s[10:11]
	s_cbranch_execz .LBB551_430
; %bb.427:
	s_movk_i32 s7, 0x7f
	v_and_b32_e32 v14, 0x7f, v15
	v_cmp_ne_u32_e32 vcc, s7, v14
	v_mov_b32_e32 v21, 0x7f800001
	s_and_saveexec_b64 s[10:11], vcc
	s_cbranch_execz .LBB551_429
; %bb.428:
	v_and_b32_e32 v21, 7, v15
	v_ffbh_u32_e32 v24, v21
	v_min_u32_e32 v28, 32, v24
	v_mov_b32_e32 v18, v15
	v_subrev_u32_e32 v24, 28, v28
	v_lshlrev_b64 v[24:25], v24, v[18:19]
	v_lshrrev_b32_e32 v23, 3, v14
	v_sub_u32_e32 v18, 29, v28
	v_and_b32_e32 v24, 7, v24
	v_cmp_gt_u32_e32 vcc, 8, v14
	v_cndmask_b32_e32 v14, v23, v18, vcc
	v_cndmask_b32_e32 v18, v21, v24, vcc
	v_lshlrev_b32_e32 v21, 24, v15
	v_bfrev_b32_e32 v23, 60
	v_lshlrev_b32_e32 v18, 20, v18
	v_and_b32_e32 v21, 0x80000000, v21
	v_lshl_add_u32 v14, v14, 23, v23
	v_or3_b32 v21, v21, v14, v18
.LBB551_429:
	s_or_b64 exec, exec, s[10:11]
.LBB551_430:
	s_or_b64 exec, exec, s[8:9]
.LBB551_431:
	s_or_b64 exec, exec, s[2:3]
	v_lshrrev_b16_e32 v14, 8, v15
	v_cmp_ne_u16_e32 vcc, 0, v14
	v_mov_b32_e32 v18, 0
	v_mov_b32_e32 v24, 0
	s_and_saveexec_b64 s[2:3], vcc
	s_cbranch_execz .LBB551_437
; %bb.432:
	s_movk_i32 s7, 0x80
	v_cmp_ne_u16_e32 vcc, s7, v14
	v_bfrev_b32_e32 v24, 1
	s_and_saveexec_b64 s[8:9], vcc
	s_cbranch_execz .LBB551_436
; %bb.433:
	s_movk_i32 s7, 0x7f
	v_and_b32_e32 v23, 0x7f, v14
	v_cmp_ne_u32_e32 vcc, s7, v23
	v_mov_b32_e32 v24, 0x7f800001
	s_and_saveexec_b64 s[10:11], vcc
	s_cbranch_execz .LBB551_435
; %bb.434:
	v_and_b32_e32 v28, 7, v14
	v_ffbh_u32_e32 v24, v28
	v_min_u32_e32 v30, 32, v24
	v_subrev_u32_e32 v24, 28, v30
	v_lshlrev_b64 v[24:25], v24, v[14:15]
	v_lshrrev_b32_e32 v29, 3, v23
	v_sub_u32_e32 v14, 29, v30
	v_and_b32_e32 v24, 7, v24
	v_cmp_gt_u32_e32 vcc, 8, v23
	v_cndmask_b32_e32 v14, v29, v14, vcc
	v_cndmask_b32_e32 v23, v28, v24, vcc
	v_lshlrev_b32_e32 v24, 16, v15
	v_bfrev_b32_e32 v25, 60
	v_lshlrev_b32_e32 v23, 20, v23
	v_and_b32_e32 v24, 0x80000000, v24
	v_lshl_add_u32 v14, v14, 23, v25
	v_or3_b32 v24, v24, v14, v23
.LBB551_435:
	s_or_b64 exec, exec, s[10:11]
.LBB551_436:
	s_or_b64 exec, exec, s[8:9]
.LBB551_437:
	s_or_b64 exec, exec, s[2:3]
	s_movk_i32 s2, 0xff
	v_and_b32_sdwa v23, v15, s2 dst_sel:DWORD dst_unused:UNUSED_PAD src0_sel:WORD_1 src1_sel:DWORD
	v_lshrrev_b32_e32 v14, 16, v15
	v_cmp_ne_u16_e32 vcc, 0, v23
	s_and_saveexec_b64 s[2:3], vcc
	s_cbranch_execz .LBB551_443
; %bb.438:
	s_movk_i32 s7, 0x80
	v_cmp_ne_u16_e32 vcc, s7, v23
	v_bfrev_b32_e32 v18, 1
	s_and_saveexec_b64 s[8:9], vcc
	s_cbranch_execz .LBB551_442
; %bb.439:
	v_bfe_u32 v23, v15, 16, 7
	s_movk_i32 s7, 0x7f
	v_cmp_ne_u32_e32 vcc, s7, v23
	v_mov_b32_e32 v18, 0x7f800001
	s_and_saveexec_b64 s[10:11], vcc
	s_cbranch_execz .LBB551_441
; %bb.440:
	v_and_b32_e32 v18, 7, v14
	v_ffbh_u32_e32 v28, v18
	v_min_u32_e32 v30, 32, v28
	v_subrev_u32_e32 v28, 28, v30
	v_lshlrev_b64 v[28:29], v28, v[14:15]
	v_lshrrev_b32_e32 v25, 3, v23
	v_sub_u32_e32 v14, 29, v30
	v_and_b32_e32 v28, 7, v28
	v_cmp_gt_u32_e32 vcc, 8, v23
	v_mov_b32_e32 v23, 24
	v_cndmask_b32_e32 v14, v25, v14, vcc
	v_cndmask_b32_e32 v18, v18, v28, vcc
	v_lshlrev_b32_sdwa v23, v23, v15 dst_sel:DWORD dst_unused:UNUSED_PAD src0_sel:DWORD src1_sel:WORD_1
	v_bfrev_b32_e32 v25, 60
	v_lshlrev_b32_e32 v18, 20, v18
	v_and_b32_e32 v23, 0x80000000, v23
	v_lshl_add_u32 v14, v14, 23, v25
	v_or3_b32 v18, v23, v14, v18
.LBB551_441:
	s_or_b64 exec, exec, s[10:11]
.LBB551_442:
	s_or_b64 exec, exec, s[8:9]
.LBB551_443:
	s_or_b64 exec, exec, s[2:3]
	s_mov_b32 s2, 0xffffff
	v_cmp_lt_u32_e32 vcc, s2, v15
	v_mov_b32_e32 v23, 0
	v_mov_b32_e32 v25, 0
	s_and_saveexec_b64 s[2:3], vcc
	s_cbranch_execz .LBB551_449
; %bb.444:
	v_lshrrev_b32_e32 v14, 24, v15
	s_movk_i32 s7, 0x80
	v_cmp_ne_u32_e32 vcc, s7, v14
	v_bfrev_b32_e32 v25, 1
	s_and_saveexec_b64 s[8:9], vcc
	s_cbranch_execz .LBB551_448
; %bb.445:
	v_bfe_u32 v15, v15, 24, 7
	s_movk_i32 s7, 0x7f
	v_cmp_ne_u32_e32 vcc, s7, v15
	v_mov_b32_e32 v25, 0x7f800001
	s_and_saveexec_b64 s[10:11], vcc
	s_cbranch_execz .LBB551_447
; %bb.446:
	v_and_b32_e32 v25, 7, v14
	v_ffbh_u32_e32 v28, v25
	v_min_u32_e32 v31, 32, v28
	v_subrev_u32_e32 v28, 28, v31
	v_lshlrev_b64 v[28:29], v28, v[14:15]
	v_lshrrev_b32_e32 v30, 3, v15
	v_sub_u32_e32 v29, 29, v31
	v_and_b32_e32 v28, 7, v28
	v_cmp_gt_u32_e32 vcc, 8, v15
	v_cndmask_b32_e32 v15, v30, v29, vcc
	v_cndmask_b32_e32 v25, v25, v28, vcc
	v_lshlrev_b32_e32 v14, 24, v14
	v_bfrev_b32_e32 v28, 60
	v_lshlrev_b32_e32 v25, 20, v25
	v_and_b32_e32 v14, 0x80000000, v14
	v_lshl_add_u32 v15, v15, 23, v28
	v_or3_b32 v25, v14, v15, v25
.LBB551_447:
	s_or_b64 exec, exec, s[10:11]
.LBB551_448:
	s_or_b64 exec, exec, s[8:9]
.LBB551_449:
	s_or_b64 exec, exec, s[2:3]
	v_cvt_pkrtz_f16_f32 v15, v19, v22
	v_lshl_or_b32 v22, v1, 9, v27
	v_cvt_pkrtz_f16_f32 v14, v32, v20
	ds_read_b128 v[28:31], v22
	v_cmp_ne_u16_sdwa s[8:9], v16, v23 src0_sel:BYTE_0 src1_sel:DWORD
	s_waitcnt lgkmcnt(0)
	v_mfma_f32_16x16x16f16 v[32:35], v[14:15], v[28:29], 0
	v_cvt_pkrtz_f16_f32 v14, v21, v24
	v_cvt_pkrtz_f16_f32 v15, v18, v25
	s_nop 1
	v_mfma_f32_16x16x16f16 v[18:21], v[14:15], v[30:31], v[32:35]
	s_and_saveexec_b64 s[2:3], s[8:9]
	s_cbranch_execz .LBB551_455
; %bb.450:
	s_movk_i32 s7, 0x80
	v_cmp_ne_u16_sdwa s[10:11], v16, s7 src0_sel:BYTE_0 src1_sel:DWORD
	v_bfrev_b32_e32 v23, 1
	s_and_saveexec_b64 s[8:9], s[10:11]
	s_cbranch_execz .LBB551_454
; %bb.451:
	s_movk_i32 s7, 0x7f
	v_and_b32_e32 v14, 0x7f, v16
	v_cmp_ne_u32_e32 vcc, s7, v14
	v_mov_b32_e32 v23, 0x7f800001
	s_and_saveexec_b64 s[10:11], vcc
	s_cbranch_execz .LBB551_453
; %bb.452:
	v_and_b32_e32 v15, 7, v16
	v_ffbh_u32_e32 v24, v15
	v_min_u32_e32 v27, 32, v24
	v_subrev_u32_e32 v24, 28, v27
	v_lshlrev_b64 v[24:25], v24, v[16:17]
	v_lshrrev_b32_e32 v23, 3, v14
	v_sub_u32_e32 v25, 29, v27
	v_and_b32_e32 v24, 7, v24
	v_cmp_gt_u32_e32 vcc, 8, v14
	v_cndmask_b32_e32 v14, v23, v25, vcc
	v_cndmask_b32_e32 v15, v15, v24, vcc
	v_lshlrev_b32_e32 v23, 24, v16
	v_bfrev_b32_e32 v24, 60
	v_lshlrev_b32_e32 v15, 20, v15
	v_and_b32_e32 v23, 0x80000000, v23
	v_lshl_add_u32 v14, v14, 23, v24
	v_or3_b32 v23, v23, v14, v15
.LBB551_453:
	s_or_b64 exec, exec, s[10:11]
.LBB551_454:
	s_or_b64 exec, exec, s[8:9]
.LBB551_455:
	s_or_b64 exec, exec, s[2:3]
	v_lshrrev_b16_e32 v14, 8, v16
	v_cmp_ne_u16_e32 vcc, 0, v14
	v_mov_b32_e32 v15, 0
	v_mov_b32_e32 v25, 0
	s_and_saveexec_b64 s[2:3], vcc
	s_cbranch_execz .LBB551_461
; %bb.456:
	s_movk_i32 s7, 0x80
	v_cmp_ne_u16_e32 vcc, s7, v14
	v_bfrev_b32_e32 v25, 1
	s_and_saveexec_b64 s[8:9], vcc
	s_cbranch_execz .LBB551_460
; %bb.457:
	s_movk_i32 s7, 0x7f
	v_and_b32_e32 v24, 0x7f, v14
	v_cmp_ne_u32_e32 vcc, s7, v24
	v_mov_b32_e32 v25, 0x7f800001
	s_and_saveexec_b64 s[10:11], vcc
	s_cbranch_execz .LBB551_459
; %bb.458:
	v_and_b32_e32 v25, 7, v14
	v_ffbh_u32_e32 v28, v25
	v_min_u32_e32 v30, 32, v28
	v_subrev_u32_e32 v28, 28, v30
	v_lshlrev_b64 v[28:29], v28, v[14:15]
	v_lshrrev_b32_e32 v27, 3, v24
	v_sub_u32_e32 v14, 29, v30
	v_and_b32_e32 v28, 7, v28
	v_cmp_gt_u32_e32 vcc, 8, v24
	v_cndmask_b32_e32 v14, v27, v14, vcc
	v_cndmask_b32_e32 v24, v25, v28, vcc
	v_lshlrev_b32_e32 v25, 16, v16
	v_bfrev_b32_e32 v27, 60
	v_lshlrev_b32_e32 v24, 20, v24
	v_and_b32_e32 v25, 0x80000000, v25
	v_lshl_add_u32 v14, v14, 23, v27
	v_or3_b32 v25, v25, v14, v24
.LBB551_459:
	s_or_b64 exec, exec, s[10:11]
.LBB551_460:
	s_or_b64 exec, exec, s[8:9]
.LBB551_461:
	s_or_b64 exec, exec, s[2:3]
	s_movk_i32 s2, 0xff
	v_and_b32_sdwa v24, v16, s2 dst_sel:DWORD dst_unused:UNUSED_PAD src0_sel:WORD_1 src1_sel:DWORD
	v_lshrrev_b32_e32 v14, 16, v16
	v_cmp_ne_u16_e32 vcc, 0, v24
	s_and_saveexec_b64 s[2:3], vcc
	s_cbranch_execz .LBB551_467
; %bb.462:
	s_movk_i32 s7, 0x80
	v_cmp_ne_u16_e32 vcc, s7, v24
	v_bfrev_b32_e32 v15, 1
	s_and_saveexec_b64 s[8:9], vcc
	s_cbranch_execz .LBB551_466
; %bb.463:
	v_bfe_u32 v24, v16, 16, 7
	s_movk_i32 s7, 0x7f
	v_cmp_ne_u32_e32 vcc, s7, v24
	v_mov_b32_e32 v15, 0x7f800001
	s_and_saveexec_b64 s[10:11], vcc
	s_cbranch_execz .LBB551_465
; %bb.464:
	v_and_b32_e32 v27, 7, v14
	v_ffbh_u32_e32 v15, v27
	v_min_u32_e32 v29, 32, v15
	v_subrev_u32_e32 v15, 28, v29
	v_lshlrev_b64 v[14:15], v15, v[14:15]
	v_lshrrev_b32_e32 v28, 3, v24
	v_sub_u32_e32 v15, 29, v29
	v_and_b32_e32 v14, 7, v14
	v_cmp_gt_u32_e32 vcc, 8, v24
	v_mov_b32_e32 v24, 24
	v_cndmask_b32_e32 v15, v28, v15, vcc
	v_cndmask_b32_e32 v14, v27, v14, vcc
	v_lshlrev_b32_sdwa v24, v24, v16 dst_sel:DWORD dst_unused:UNUSED_PAD src0_sel:DWORD src1_sel:WORD_1
	v_bfrev_b32_e32 v27, 60
	v_lshlrev_b32_e32 v14, 20, v14
	v_and_b32_e32 v24, 0x80000000, v24
	v_lshl_add_u32 v15, v15, 23, v27
	v_or3_b32 v15, v24, v15, v14
.LBB551_465:
	s_or_b64 exec, exec, s[10:11]
.LBB551_466:
	s_or_b64 exec, exec, s[8:9]
.LBB551_467:
	s_or_b64 exec, exec, s[2:3]
	s_mov_b32 s2, 0xffffff
	v_cmp_lt_u32_e32 vcc, s2, v16
	v_mov_b32_e32 v27, 0
	v_mov_b32_e32 v28, 0
	s_and_saveexec_b64 s[2:3], vcc
	s_cbranch_execz .LBB551_473
; %bb.468:
	v_lshrrev_b32_e32 v14, 24, v16
	s_movk_i32 s7, 0x80
	v_cmp_ne_u32_e32 vcc, s7, v14
	v_bfrev_b32_e32 v28, 1
	s_and_saveexec_b64 s[8:9], vcc
	s_cbranch_execz .LBB551_472
; %bb.469:
	v_bfe_u32 v16, v16, 24, 7
	s_movk_i32 s7, 0x7f
	v_cmp_ne_u32_e32 vcc, s7, v16
	v_mov_b32_e32 v28, 0x7f800001
	s_and_saveexec_b64 s[10:11], vcc
	s_cbranch_execz .LBB551_471
; %bb.470:
	v_and_b32_e32 v24, 7, v14
	v_ffbh_u32_e32 v28, v24
	v_min_u32_e32 v31, 32, v28
	v_subrev_u32_e32 v28, 28, v31
	v_lshlrev_b64 v[28:29], v28, v[14:15]
	v_lshrrev_b32_e32 v30, 3, v16
	v_sub_u32_e32 v29, 29, v31
	v_and_b32_e32 v28, 7, v28
	v_cmp_gt_u32_e32 vcc, 8, v16
	v_cndmask_b32_e32 v16, v30, v29, vcc
	v_cndmask_b32_e32 v24, v24, v28, vcc
	v_lshlrev_b32_e32 v14, 24, v14
	v_bfrev_b32_e32 v28, 60
	v_lshlrev_b32_e32 v24, 20, v24
	v_and_b32_e32 v14, 0x80000000, v14
	v_lshl_add_u32 v16, v16, 23, v28
	v_or3_b32 v28, v14, v16, v24
.LBB551_471:
	s_or_b64 exec, exec, s[10:11]
.LBB551_472:
	s_or_b64 exec, exec, s[8:9]
.LBB551_473:
	s_or_b64 exec, exec, s[2:3]
	v_cmp_ne_u16_sdwa s[8:9], v17, v27 src0_sel:BYTE_0 src1_sel:DWORD
	s_and_saveexec_b64 s[2:3], s[8:9]
	s_cbranch_execz .LBB551_479
; %bb.474:
	s_movk_i32 s7, 0x80
	v_cmp_ne_u16_sdwa s[10:11], v17, s7 src0_sel:BYTE_0 src1_sel:DWORD
	v_bfrev_b32_e32 v27, 1
	s_and_saveexec_b64 s[8:9], s[10:11]
	s_cbranch_execz .LBB551_478
; %bb.475:
	s_movk_i32 s7, 0x7f
	v_and_b32_e32 v14, 0x7f, v17
	v_cmp_ne_u32_e32 vcc, s7, v14
	v_mov_b32_e32 v27, 0x7f800001
	s_and_saveexec_b64 s[10:11], vcc
	s_cbranch_execz .LBB551_477
; %bb.476:
	v_and_b32_e32 v24, 7, v17
	v_ffbh_u32_e32 v29, v24
	v_min_u32_e32 v29, 32, v29
	v_mov_b32_e32 v16, v17
	v_subrev_u32_e32 v30, 28, v29
	v_lshlrev_b64 v[30:31], v30, v[16:17]
	v_lshrrev_b32_e32 v27, 3, v14
	v_sub_u32_e32 v16, 29, v29
	v_and_b32_e32 v29, 7, v30
	v_cmp_gt_u32_e32 vcc, 8, v14
	v_cndmask_b32_e32 v14, v27, v16, vcc
	v_cndmask_b32_e32 v16, v24, v29, vcc
	v_lshlrev_b32_e32 v24, 24, v17
	v_bfrev_b32_e32 v27, 60
	v_lshlrev_b32_e32 v16, 20, v16
	v_and_b32_e32 v24, 0x80000000, v24
	v_lshl_add_u32 v14, v14, 23, v27
	v_or3_b32 v27, v24, v14, v16
.LBB551_477:
	s_or_b64 exec, exec, s[10:11]
.LBB551_478:
	s_or_b64 exec, exec, s[8:9]
.LBB551_479:
	s_or_b64 exec, exec, s[2:3]
	v_lshrrev_b16_e32 v14, 8, v17
	v_cmp_ne_u16_e32 vcc, 0, v14
	v_mov_b32_e32 v16, 0
	v_mov_b32_e32 v29, 0
	s_and_saveexec_b64 s[2:3], vcc
	s_cbranch_execz .LBB551_485
; %bb.480:
	s_movk_i32 s7, 0x80
	v_cmp_ne_u16_e32 vcc, s7, v14
	v_bfrev_b32_e32 v29, 1
	s_and_saveexec_b64 s[8:9], vcc
	s_cbranch_execz .LBB551_484
; %bb.481:
	s_movk_i32 s7, 0x7f
	v_and_b32_e32 v24, 0x7f, v14
	v_cmp_ne_u32_e32 vcc, s7, v24
	v_mov_b32_e32 v29, 0x7f800001
	s_and_saveexec_b64 s[10:11], vcc
	s_cbranch_execz .LBB551_483
; %bb.482:
	v_and_b32_e32 v29, 7, v14
	v_ffbh_u32_e32 v30, v29
	v_min_u32_e32 v33, 32, v30
	v_subrev_u32_e32 v30, 28, v33
	v_lshlrev_b64 v[30:31], v30, v[14:15]
	v_lshrrev_b32_e32 v32, 3, v24
	v_sub_u32_e32 v14, 29, v33
	v_and_b32_e32 v30, 7, v30
	v_cmp_gt_u32_e32 vcc, 8, v24
	v_cndmask_b32_e32 v14, v32, v14, vcc
	v_cndmask_b32_e32 v24, v29, v30, vcc
	v_lshlrev_b32_e32 v29, 16, v17
	v_bfrev_b32_e32 v30, 60
	v_lshlrev_b32_e32 v24, 20, v24
	v_and_b32_e32 v29, 0x80000000, v29
	v_lshl_add_u32 v14, v14, 23, v30
	v_or3_b32 v29, v29, v14, v24
.LBB551_483:
	s_or_b64 exec, exec, s[10:11]
.LBB551_484:
	s_or_b64 exec, exec, s[8:9]
.LBB551_485:
	s_or_b64 exec, exec, s[2:3]
	s_movk_i32 s2, 0xff
	v_and_b32_sdwa v24, v17, s2 dst_sel:DWORD dst_unused:UNUSED_PAD src0_sel:WORD_1 src1_sel:DWORD
	v_lshrrev_b32_e32 v14, 16, v17
	v_cmp_ne_u16_e32 vcc, 0, v24
	s_and_saveexec_b64 s[2:3], vcc
	s_cbranch_execz .LBB551_491
; %bb.486:
	s_movk_i32 s7, 0x80
	v_cmp_ne_u16_e32 vcc, s7, v24
	v_bfrev_b32_e32 v16, 1
	s_and_saveexec_b64 s[8:9], vcc
	s_cbranch_execz .LBB551_490
; %bb.487:
	v_bfe_u32 v24, v17, 16, 7
	s_movk_i32 s7, 0x7f
	v_cmp_ne_u32_e32 vcc, s7, v24
	v_mov_b32_e32 v16, 0x7f800001
	s_and_saveexec_b64 s[10:11], vcc
	s_cbranch_execz .LBB551_489
; %bb.488:
	v_and_b32_e32 v16, 7, v14
	v_ffbh_u32_e32 v30, v16
	v_min_u32_e32 v33, 32, v30
	v_subrev_u32_e32 v30, 28, v33
	v_lshlrev_b64 v[30:31], v30, v[14:15]
	v_lshrrev_b32_e32 v32, 3, v24
	v_sub_u32_e32 v14, 29, v33
	v_and_b32_e32 v30, 7, v30
	v_cmp_gt_u32_e32 vcc, 8, v24
	v_mov_b32_e32 v24, 24
	v_cndmask_b32_e32 v14, v32, v14, vcc
	v_cndmask_b32_e32 v16, v16, v30, vcc
	v_lshlrev_b32_sdwa v24, v24, v17 dst_sel:DWORD dst_unused:UNUSED_PAD src0_sel:DWORD src1_sel:WORD_1
	v_bfrev_b32_e32 v30, 60
	v_lshlrev_b32_e32 v16, 20, v16
	v_and_b32_e32 v24, 0x80000000, v24
	v_lshl_add_u32 v14, v14, 23, v30
	v_or3_b32 v16, v24, v14, v16
.LBB551_489:
	s_or_b64 exec, exec, s[10:11]
.LBB551_490:
	s_or_b64 exec, exec, s[8:9]
.LBB551_491:
	s_or_b64 exec, exec, s[2:3]
	s_mov_b32 s2, 0xffffff
	v_cmp_lt_u32_e32 vcc, s2, v17
	v_mov_b32_e32 v24, 0
	v_mov_b32_e32 v30, 0
	s_and_saveexec_b64 s[2:3], vcc
	s_cbranch_execz .LBB551_497
; %bb.492:
	v_lshrrev_b32_e32 v14, 24, v17
	s_movk_i32 s7, 0x80
	v_cmp_ne_u32_e32 vcc, s7, v14
	v_bfrev_b32_e32 v30, 1
	s_and_saveexec_b64 s[8:9], vcc
	s_cbranch_execz .LBB551_496
; %bb.493:
	v_bfe_u32 v17, v17, 24, 7
	s_movk_i32 s7, 0x7f
	v_cmp_ne_u32_e32 vcc, s7, v17
	v_mov_b32_e32 v30, 0x7f800001
	s_and_saveexec_b64 s[10:11], vcc
	s_cbranch_execz .LBB551_495
; %bb.494:
	v_and_b32_e32 v32, 7, v14
	v_ffbh_u32_e32 v30, v32
	v_min_u32_e32 v34, 32, v30
	v_subrev_u32_e32 v30, 28, v34
	v_lshlrev_b64 v[30:31], v30, v[14:15]
	v_lshrrev_b32_e32 v33, 3, v17
	v_sub_u32_e32 v31, 29, v34
	v_and_b32_e32 v30, 7, v30
	v_cmp_gt_u32_e32 vcc, 8, v17
	v_cndmask_b32_e32 v17, v33, v31, vcc
	v_cndmask_b32_e32 v30, v32, v30, vcc
	v_lshlrev_b32_e32 v14, 24, v14
	v_bfrev_b32_e32 v31, 60
	v_lshlrev_b32_e32 v30, 20, v30
	v_and_b32_e32 v14, 0x80000000, v14
	v_lshl_add_u32 v17, v17, 23, v31
	v_or3_b32 v30, v14, v17, v30
.LBB551_495:
	s_or_b64 exec, exec, s[10:11]
.LBB551_496:
	s_or_b64 exec, exec, s[8:9]
.LBB551_497:
	s_or_b64 exec, exec, s[2:3]
	v_cvt_pkrtz_f16_f32 v14, v23, v25
	v_cvt_pkrtz_f16_f32 v15, v15, v28
	ds_read_b128 v[32:35], v22 offset:16
	s_waitcnt vmcnt(2)
	v_cmp_ne_u16_sdwa s[8:9], v10, v24 src0_sel:BYTE_0 src1_sel:DWORD
	s_waitcnt lgkmcnt(0)
	v_mfma_f32_16x16x16f16 v[18:21], v[14:15], v[32:33], v[18:21]
	v_cvt_pkrtz_f16_f32 v14, v27, v29
	v_cvt_pkrtz_f16_f32 v15, v16, v30
	s_nop 1
	v_mfma_f32_16x16x16f16 v[14:17], v[14:15], v[34:35], v[18:21]
	s_and_saveexec_b64 s[2:3], s[8:9]
	s_cbranch_execz .LBB551_503
; %bb.498:
	s_movk_i32 s7, 0x80
	v_cmp_ne_u16_sdwa s[10:11], v10, s7 src0_sel:BYTE_0 src1_sel:DWORD
	v_bfrev_b32_e32 v24, 1
	s_and_saveexec_b64 s[8:9], s[10:11]
	s_cbranch_execz .LBB551_502
; %bb.499:
	s_movk_i32 s7, 0x7f
	v_and_b32_e32 v18, 0x7f, v10
	v_cmp_ne_u32_e32 vcc, s7, v18
	v_mov_b32_e32 v24, 0x7f800001
	s_and_saveexec_b64 s[10:11], vcc
	s_cbranch_execz .LBB551_501
; %bb.500:
	v_and_b32_e32 v19, 7, v10
	v_ffbh_u32_e32 v20, v19
	v_min_u32_e32 v24, 32, v20
	v_subrev_u32_e32 v20, 28, v24
	v_lshlrev_b64 v[20:21], v20, v[10:11]
	v_lshrrev_b32_e32 v23, 3, v18
	v_sub_u32_e32 v21, 29, v24
	v_and_b32_e32 v20, 7, v20
	v_cmp_gt_u32_e32 vcc, 8, v18
	v_cndmask_b32_e32 v18, v23, v21, vcc
	v_cndmask_b32_e32 v19, v19, v20, vcc
	v_lshlrev_b32_e32 v20, 24, v10
	v_bfrev_b32_e32 v21, 60
	v_lshlrev_b32_e32 v19, 20, v19
	v_and_b32_e32 v20, 0x80000000, v20
	v_lshl_add_u32 v18, v18, 23, v21
	v_or3_b32 v24, v20, v18, v19
.LBB551_501:
	s_or_b64 exec, exec, s[10:11]
.LBB551_502:
	s_or_b64 exec, exec, s[8:9]
.LBB551_503:
	s_or_b64 exec, exec, s[2:3]
	s_nop 3
	v_lshrrev_b16_e32 v18, 8, v10
	v_cmp_ne_u16_e32 vcc, 0, v18
	v_mov_b32_e32 v19, 0
	v_mov_b32_e32 v20, 0
	s_and_saveexec_b64 s[2:3], vcc
	s_cbranch_execz .LBB551_509
; %bb.504:
	s_movk_i32 s7, 0x80
	v_cmp_ne_u16_e32 vcc, s7, v18
	v_bfrev_b32_e32 v20, 1
	s_and_saveexec_b64 s[8:9], vcc
	s_cbranch_execz .LBB551_508
; %bb.505:
	s_movk_i32 s7, 0x7f
	v_and_b32_e32 v21, 0x7f, v18
	v_cmp_ne_u32_e32 vcc, s7, v21
	v_mov_b32_e32 v20, 0x7f800001
	s_and_saveexec_b64 s[10:11], vcc
	s_cbranch_execz .LBB551_507
; %bb.506:
	v_and_b32_e32 v20, 7, v18
	v_ffbh_u32_e32 v25, v20
	v_min_u32_e32 v25, 32, v25
	v_subrev_u32_e32 v27, 28, v25
	v_lshlrev_b64 v[28:29], v27, v[18:19]
	v_lshrrev_b32_e32 v23, 3, v21
	v_sub_u32_e32 v18, 29, v25
	v_and_b32_e32 v25, 7, v28
	v_cmp_gt_u32_e32 vcc, 8, v21
	v_cndmask_b32_e32 v18, v23, v18, vcc
	v_cndmask_b32_e32 v20, v20, v25, vcc
	v_lshlrev_b32_e32 v21, 16, v10
	v_bfrev_b32_e32 v23, 60
	v_lshlrev_b32_e32 v20, 20, v20
	v_and_b32_e32 v21, 0x80000000, v21
	v_lshl_add_u32 v18, v18, 23, v23
	v_or3_b32 v20, v21, v18, v20
.LBB551_507:
	s_or_b64 exec, exec, s[10:11]
.LBB551_508:
	s_or_b64 exec, exec, s[8:9]
.LBB551_509:
	s_or_b64 exec, exec, s[2:3]
	s_movk_i32 s2, 0xff
	v_and_b32_sdwa v21, v10, s2 dst_sel:DWORD dst_unused:UNUSED_PAD src0_sel:WORD_1 src1_sel:DWORD
	v_lshrrev_b32_e32 v18, 16, v10
	v_cmp_ne_u16_e32 vcc, 0, v21
	s_and_saveexec_b64 s[2:3], vcc
	s_cbranch_execz .LBB551_515
; %bb.510:
	s_movk_i32 s7, 0x80
	v_cmp_ne_u16_e32 vcc, s7, v21
	v_bfrev_b32_e32 v19, 1
	s_and_saveexec_b64 s[8:9], vcc
	s_cbranch_execz .LBB551_514
; %bb.511:
	v_bfe_u32 v21, v10, 16, 7
	s_movk_i32 s7, 0x7f
	v_cmp_ne_u32_e32 vcc, s7, v21
	v_mov_b32_e32 v19, 0x7f800001
	s_and_saveexec_b64 s[10:11], vcc
	s_cbranch_execz .LBB551_513
; %bb.512:
	v_and_b32_e32 v23, 7, v18
	v_ffbh_u32_e32 v19, v23
	v_min_u32_e32 v27, 32, v19
	v_subrev_u32_e32 v19, 28, v27
	v_lshlrev_b64 v[18:19], v19, v[18:19]
	v_lshrrev_b32_e32 v25, 3, v21
	v_sub_u32_e32 v19, 29, v27
	v_and_b32_e32 v18, 7, v18
	v_cmp_gt_u32_e32 vcc, 8, v21
	v_mov_b32_e32 v21, 24
	v_cndmask_b32_e32 v19, v25, v19, vcc
	v_cndmask_b32_e32 v18, v23, v18, vcc
	v_lshlrev_b32_sdwa v21, v21, v10 dst_sel:DWORD dst_unused:UNUSED_PAD src0_sel:DWORD src1_sel:WORD_1
	v_bfrev_b32_e32 v23, 60
	v_lshlrev_b32_e32 v18, 20, v18
	v_and_b32_e32 v21, 0x80000000, v21
	v_lshl_add_u32 v19, v19, 23, v23
	v_or3_b32 v19, v21, v19, v18
.LBB551_513:
	s_or_b64 exec, exec, s[10:11]
.LBB551_514:
	s_or_b64 exec, exec, s[8:9]
.LBB551_515:
	s_or_b64 exec, exec, s[2:3]
	s_mov_b32 s2, 0xffffff
	v_cmp_lt_u32_e32 vcc, s2, v10
	v_mov_b32_e32 v21, 0
	v_mov_b32_e32 v23, 0
	s_and_saveexec_b64 s[2:3], vcc
	s_cbranch_execz .LBB551_521
; %bb.516:
	v_lshrrev_b32_e32 v18, 24, v10
	s_movk_i32 s7, 0x80
	v_cmp_ne_u32_e32 vcc, s7, v18
	v_bfrev_b32_e32 v23, 1
	s_and_saveexec_b64 s[8:9], vcc
	s_cbranch_execz .LBB551_520
; %bb.517:
	v_bfe_u32 v10, v10, 24, 7
	s_movk_i32 s7, 0x7f
	v_cmp_ne_u32_e32 vcc, s7, v10
	v_mov_b32_e32 v23, 0x7f800001
	s_and_saveexec_b64 s[10:11], vcc
	s_cbranch_execz .LBB551_519
; %bb.518:
	v_and_b32_e32 v23, 7, v18
	v_ffbh_u32_e32 v27, v23
	v_min_u32_e32 v27, 32, v27
	v_subrev_u32_e32 v28, 28, v27
	v_lshlrev_b64 v[28:29], v28, v[18:19]
	v_lshrrev_b32_e32 v25, 3, v10
	v_sub_u32_e32 v27, 29, v27
	v_and_b32_e32 v28, 7, v28
	v_cmp_gt_u32_e32 vcc, 8, v10
	v_cndmask_b32_e32 v10, v25, v27, vcc
	v_cndmask_b32_e32 v23, v23, v28, vcc
	v_lshlrev_b32_e32 v18, 24, v18
	v_bfrev_b32_e32 v25, 60
	v_lshlrev_b32_e32 v23, 20, v23
	v_and_b32_e32 v18, 0x80000000, v18
	v_lshl_add_u32 v10, v10, 23, v25
	v_or3_b32 v23, v18, v10, v23
.LBB551_519:
	s_or_b64 exec, exec, s[10:11]
.LBB551_520:
	s_or_b64 exec, exec, s[8:9]
.LBB551_521:
	s_or_b64 exec, exec, s[2:3]
	v_cmp_ne_u16_sdwa s[8:9], v11, v21 src0_sel:BYTE_0 src1_sel:DWORD
	s_and_saveexec_b64 s[2:3], s[8:9]
	s_cbranch_execz .LBB551_527
; %bb.522:
	s_movk_i32 s7, 0x80
	v_cmp_ne_u16_sdwa s[10:11], v11, s7 src0_sel:BYTE_0 src1_sel:DWORD
	v_bfrev_b32_e32 v21, 1
	s_and_saveexec_b64 s[8:9], s[10:11]
	s_cbranch_execz .LBB551_526
; %bb.523:
	s_movk_i32 s7, 0x7f
	v_and_b32_e32 v10, 0x7f, v11
	v_cmp_ne_u32_e32 vcc, s7, v10
	v_mov_b32_e32 v21, 0x7f800001
	s_and_saveexec_b64 s[10:11], vcc
	s_cbranch_execz .LBB551_525
; %bb.524:
	v_and_b32_e32 v21, 7, v11
	v_ffbh_u32_e32 v27, v21
	v_min_u32_e32 v27, 32, v27
	v_mov_b32_e32 v18, v11
	v_subrev_u32_e32 v28, 28, v27
	v_lshlrev_b64 v[28:29], v28, v[18:19]
	v_lshrrev_b32_e32 v25, 3, v10
	v_sub_u32_e32 v18, 29, v27
	v_and_b32_e32 v27, 7, v28
	v_cmp_gt_u32_e32 vcc, 8, v10
	v_cndmask_b32_e32 v10, v25, v18, vcc
	v_cndmask_b32_e32 v18, v21, v27, vcc
	v_lshlrev_b32_e32 v21, 24, v11
	v_bfrev_b32_e32 v25, 60
	v_lshlrev_b32_e32 v18, 20, v18
	v_and_b32_e32 v21, 0x80000000, v21
	v_lshl_add_u32 v10, v10, 23, v25
	v_or3_b32 v21, v21, v10, v18
.LBB551_525:
	s_or_b64 exec, exec, s[10:11]
.LBB551_526:
	s_or_b64 exec, exec, s[8:9]
.LBB551_527:
	s_or_b64 exec, exec, s[2:3]
	v_lshrrev_b16_e32 v10, 8, v11
	v_cmp_ne_u16_e32 vcc, 0, v10
	v_mov_b32_e32 v25, 0
	v_mov_b32_e32 v27, 0
	s_and_saveexec_b64 s[2:3], vcc
	s_cbranch_execz .LBB551_533
; %bb.528:
	s_movk_i32 s7, 0x80
	v_cmp_ne_u16_e32 vcc, s7, v10
	v_bfrev_b32_e32 v27, 1
	s_and_saveexec_b64 s[8:9], vcc
	s_cbranch_execz .LBB551_532
; %bb.529:
	s_movk_i32 s7, 0x7f
	v_and_b32_e32 v18, 0x7f, v10
	v_cmp_ne_u32_e32 vcc, s7, v18
	v_mov_b32_e32 v27, 0x7f800001
	s_and_saveexec_b64 s[10:11], vcc
	s_cbranch_execz .LBB551_531
; %bb.530:
	v_and_b32_e32 v27, 7, v10
	v_ffbh_u32_e32 v28, v27
	v_min_u32_e32 v31, 32, v28
	v_subrev_u32_e32 v28, 28, v31
	v_lshlrev_b64 v[28:29], v28, v[10:11]
	v_lshrrev_b32_e32 v30, 3, v18
	v_sub_u32_e32 v10, 29, v31
	v_and_b32_e32 v28, 7, v28
	v_cmp_gt_u32_e32 vcc, 8, v18
	v_cndmask_b32_e32 v10, v30, v10, vcc
	v_cndmask_b32_e32 v18, v27, v28, vcc
	v_lshlrev_b32_e32 v27, 16, v11
	v_bfrev_b32_e32 v28, 60
	v_lshlrev_b32_e32 v18, 20, v18
	v_and_b32_e32 v27, 0x80000000, v27
	v_lshl_add_u32 v10, v10, 23, v28
	v_or3_b32 v27, v27, v10, v18
.LBB551_531:
	s_or_b64 exec, exec, s[10:11]
.LBB551_532:
	s_or_b64 exec, exec, s[8:9]
.LBB551_533:
	s_or_b64 exec, exec, s[2:3]
	s_movk_i32 s2, 0xff
	v_and_b32_sdwa v18, v11, s2 dst_sel:DWORD dst_unused:UNUSED_PAD src0_sel:WORD_1 src1_sel:DWORD
	v_lshrrev_b32_e32 v10, 16, v11
	v_cmp_ne_u16_e32 vcc, 0, v18
	s_and_saveexec_b64 s[2:3], vcc
	s_cbranch_execz .LBB551_539
; %bb.534:
	s_movk_i32 s7, 0x80
	v_cmp_ne_u16_e32 vcc, s7, v18
	v_bfrev_b32_e32 v25, 1
	s_and_saveexec_b64 s[8:9], vcc
	s_cbranch_execz .LBB551_538
; %bb.535:
	v_bfe_u32 v18, v11, 16, 7
	s_movk_i32 s7, 0x7f
	v_cmp_ne_u32_e32 vcc, s7, v18
	v_mov_b32_e32 v25, 0x7f800001
	s_and_saveexec_b64 s[10:11], vcc
	s_cbranch_execz .LBB551_537
; %bb.536:
	v_and_b32_e32 v25, 7, v10
	v_ffbh_u32_e32 v28, v25
	v_min_u32_e32 v31, 32, v28
	v_subrev_u32_e32 v28, 28, v31
	v_lshlrev_b64 v[28:29], v28, v[10:11]
	v_and_b32_e32 v28, 7, v28
	v_cmp_gt_u32_e32 vcc, 8, v18
	v_lshrrev_b32_e32 v30, 3, v18
	v_sub_u32_e32 v10, 29, v31
	v_cndmask_b32_e32 v18, v25, v28, vcc
	v_mov_b32_e32 v25, 24
	v_cndmask_b32_e32 v10, v30, v10, vcc
	v_lshlrev_b32_sdwa v25, v25, v11 dst_sel:DWORD dst_unused:UNUSED_PAD src0_sel:DWORD src1_sel:WORD_1
	v_bfrev_b32_e32 v28, 60
	v_lshlrev_b32_e32 v18, 20, v18
	v_and_b32_e32 v25, 0x80000000, v25
	v_lshl_add_u32 v10, v10, 23, v28
	v_or3_b32 v25, v25, v10, v18
.LBB551_537:
	s_or_b64 exec, exec, s[10:11]
.LBB551_538:
	s_or_b64 exec, exec, s[8:9]
.LBB551_539:
	s_or_b64 exec, exec, s[2:3]
	s_mov_b32 s2, 0xffffff
	v_cmp_lt_u32_e32 vcc, s2, v11
	v_mov_b32_e32 v18, 0
	v_mov_b32_e32 v28, 0
	s_and_saveexec_b64 s[2:3], vcc
	s_cbranch_execz .LBB551_545
; %bb.540:
	v_lshrrev_b32_e32 v10, 24, v11
	s_movk_i32 s7, 0x80
	v_cmp_ne_u32_e32 vcc, s7, v10
	v_bfrev_b32_e32 v28, 1
	s_and_saveexec_b64 s[8:9], vcc
	s_cbranch_execz .LBB551_544
; %bb.541:
	v_bfe_u32 v11, v11, 24, 7
	s_movk_i32 s7, 0x7f
	v_cmp_ne_u32_e32 vcc, s7, v11
	v_mov_b32_e32 v28, 0x7f800001
	s_and_saveexec_b64 s[10:11], vcc
	s_cbranch_execz .LBB551_543
; %bb.542:
	v_and_b32_e32 v30, 7, v10
	v_ffbh_u32_e32 v28, v30
	v_min_u32_e32 v32, 32, v28
	v_subrev_u32_e32 v28, 28, v32
	v_lshlrev_b64 v[28:29], v28, v[10:11]
	v_lshrrev_b32_e32 v31, 3, v11
	v_sub_u32_e32 v29, 29, v32
	v_and_b32_e32 v28, 7, v28
	v_cmp_gt_u32_e32 vcc, 8, v11
	v_cndmask_b32_e32 v11, v31, v29, vcc
	v_cndmask_b32_e32 v28, v30, v28, vcc
	v_lshlrev_b32_e32 v10, 24, v10
	v_bfrev_b32_e32 v29, 60
	v_lshlrev_b32_e32 v28, 20, v28
	v_and_b32_e32 v10, 0x80000000, v10
	v_lshl_add_u32 v11, v11, 23, v29
	v_or3_b32 v28, v10, v11, v28
.LBB551_543:
	s_or_b64 exec, exec, s[10:11]
.LBB551_544:
	s_or_b64 exec, exec, s[8:9]
.LBB551_545:
	s_or_b64 exec, exec, s[2:3]
	v_cvt_pkrtz_f16_f32 v10, v24, v20
	v_cvt_pkrtz_f16_f32 v11, v19, v23
	ds_read_b128 v[30:33], v22 offset:2048
	v_cmp_ne_u16_sdwa s[8:9], v12, v18 src0_sel:BYTE_0 src1_sel:DWORD
	s_waitcnt lgkmcnt(0)
	v_mfma_f32_16x16x16f16 v[14:17], v[10:11], v[30:31], v[14:17]
	v_cvt_pkrtz_f16_f32 v10, v21, v27
	v_cvt_pkrtz_f16_f32 v11, v25, v28
	s_nop 1
	v_mfma_f32_16x16x16f16 v[14:17], v[10:11], v[32:33], v[14:17]
	s_and_saveexec_b64 s[2:3], s[8:9]
	s_cbranch_execz .LBB551_551
; %bb.546:
	s_movk_i32 s7, 0x80
	v_cmp_ne_u16_sdwa s[10:11], v12, s7 src0_sel:BYTE_0 src1_sel:DWORD
	v_bfrev_b32_e32 v18, 1
	s_and_saveexec_b64 s[8:9], s[10:11]
	s_cbranch_execz .LBB551_550
; %bb.547:
	s_movk_i32 s7, 0x7f
	v_and_b32_e32 v10, 0x7f, v12
	v_cmp_ne_u32_e32 vcc, s7, v10
	v_mov_b32_e32 v18, 0x7f800001
	s_and_saveexec_b64 s[10:11], vcc
	s_cbranch_execz .LBB551_549
; %bb.548:
	v_and_b32_e32 v11, 7, v12
	v_ffbh_u32_e32 v18, v11
	v_min_u32_e32 v21, 32, v18
	v_subrev_u32_e32 v18, 28, v21
	v_lshlrev_b64 v[18:19], v18, v[12:13]
	v_lshrrev_b32_e32 v20, 3, v10
	v_sub_u32_e32 v19, 29, v21
	v_and_b32_e32 v18, 7, v18
	v_cmp_gt_u32_e32 vcc, 8, v10
	v_cndmask_b32_e32 v10, v20, v19, vcc
	v_cndmask_b32_e32 v11, v11, v18, vcc
	v_lshlrev_b32_e32 v18, 24, v12
	v_bfrev_b32_e32 v19, 60
	v_lshlrev_b32_e32 v11, 20, v11
	v_and_b32_e32 v18, 0x80000000, v18
	v_lshl_add_u32 v10, v10, 23, v19
	v_or3_b32 v18, v18, v10, v11
.LBB551_549:
	s_or_b64 exec, exec, s[10:11]
.LBB551_550:
	s_or_b64 exec, exec, s[8:9]
.LBB551_551:
	s_or_b64 exec, exec, s[2:3]
	v_lshrrev_b16_e32 v10, 8, v12
	v_cmp_ne_u16_e32 vcc, 0, v10
	v_mov_b32_e32 v11, 0
	v_mov_b32_e32 v20, 0
	s_and_saveexec_b64 s[2:3], vcc
	s_cbranch_execz .LBB551_557
; %bb.552:
	s_movk_i32 s7, 0x80
	v_cmp_ne_u16_e32 vcc, s7, v10
	v_bfrev_b32_e32 v20, 1
	s_and_saveexec_b64 s[8:9], vcc
	s_cbranch_execz .LBB551_556
; %bb.553:
	s_movk_i32 s7, 0x7f
	v_and_b32_e32 v19, 0x7f, v10
	v_cmp_ne_u32_e32 vcc, s7, v19
	v_mov_b32_e32 v20, 0x7f800001
	s_and_saveexec_b64 s[10:11], vcc
	s_cbranch_execz .LBB551_555
; %bb.554:
	v_and_b32_e32 v23, 7, v10
	v_ffbh_u32_e32 v20, v23
	v_min_u32_e32 v25, 32, v20
	v_subrev_u32_e32 v20, 28, v25
	v_lshlrev_b64 v[20:21], v20, v[10:11]
	v_lshrrev_b32_e32 v24, 3, v19
	v_sub_u32_e32 v10, 29, v25
	v_and_b32_e32 v20, 7, v20
	v_cmp_gt_u32_e32 vcc, 8, v19
	v_cndmask_b32_e32 v10, v24, v10, vcc
	v_cndmask_b32_e32 v19, v23, v20, vcc
	v_lshlrev_b32_e32 v20, 16, v12
	v_bfrev_b32_e32 v21, 60
	v_lshlrev_b32_e32 v19, 20, v19
	v_and_b32_e32 v20, 0x80000000, v20
	v_lshl_add_u32 v10, v10, 23, v21
	v_or3_b32 v20, v20, v10, v19
.LBB551_555:
	s_or_b64 exec, exec, s[10:11]
.LBB551_556:
	s_or_b64 exec, exec, s[8:9]
.LBB551_557:
	s_or_b64 exec, exec, s[2:3]
	s_movk_i32 s2, 0xff
	v_and_b32_sdwa v19, v12, s2 dst_sel:DWORD dst_unused:UNUSED_PAD src0_sel:WORD_1 src1_sel:DWORD
	v_lshrrev_b32_e32 v10, 16, v12
	v_cmp_ne_u16_e32 vcc, 0, v19
	s_and_saveexec_b64 s[2:3], vcc
	s_cbranch_execz .LBB551_563
; %bb.558:
	s_movk_i32 s7, 0x80
	v_cmp_ne_u16_e32 vcc, s7, v19
	v_bfrev_b32_e32 v11, 1
	s_and_saveexec_b64 s[8:9], vcc
	s_cbranch_execz .LBB551_562
; %bb.559:
	v_bfe_u32 v19, v12, 16, 7
	s_movk_i32 s7, 0x7f
	v_cmp_ne_u32_e32 vcc, s7, v19
	v_mov_b32_e32 v11, 0x7f800001
	s_and_saveexec_b64 s[10:11], vcc
	s_cbranch_execz .LBB551_561
; %bb.560:
	v_and_b32_e32 v21, 7, v10
	v_ffbh_u32_e32 v11, v21
	v_min_u32_e32 v24, 32, v11
	v_subrev_u32_e32 v11, 28, v24
	v_lshlrev_b64 v[10:11], v11, v[10:11]
	v_lshrrev_b32_e32 v23, 3, v19
	v_sub_u32_e32 v11, 29, v24
	v_and_b32_e32 v10, 7, v10
	v_cmp_gt_u32_e32 vcc, 8, v19
	v_mov_b32_e32 v19, 24
	v_cndmask_b32_e32 v11, v23, v11, vcc
	v_cndmask_b32_e32 v10, v21, v10, vcc
	v_lshlrev_b32_sdwa v19, v19, v12 dst_sel:DWORD dst_unused:UNUSED_PAD src0_sel:DWORD src1_sel:WORD_1
	v_bfrev_b32_e32 v21, 60
	v_lshlrev_b32_e32 v10, 20, v10
	v_and_b32_e32 v19, 0x80000000, v19
	v_lshl_add_u32 v11, v11, 23, v21
	v_or3_b32 v11, v19, v11, v10
.LBB551_561:
	s_or_b64 exec, exec, s[10:11]
.LBB551_562:
	s_or_b64 exec, exec, s[8:9]
.LBB551_563:
	s_or_b64 exec, exec, s[2:3]
	s_mov_b32 s2, 0xffffff
	v_cmp_lt_u32_e32 vcc, s2, v12
	v_mov_b32_e32 v21, 0
	v_mov_b32_e32 v23, 0
	s_and_saveexec_b64 s[2:3], vcc
	s_cbranch_execz .LBB551_569
; %bb.564:
	v_lshrrev_b32_e32 v10, 24, v12
	s_movk_i32 s7, 0x80
	v_cmp_ne_u32_e32 vcc, s7, v10
	v_bfrev_b32_e32 v23, 1
	s_and_saveexec_b64 s[8:9], vcc
	s_cbranch_execz .LBB551_568
; %bb.565:
	v_bfe_u32 v12, v12, 24, 7
	s_movk_i32 s7, 0x7f
	v_cmp_ne_u32_e32 vcc, s7, v12
	v_mov_b32_e32 v23, 0x7f800001
	s_and_saveexec_b64 s[10:11], vcc
	s_cbranch_execz .LBB551_567
; %bb.566:
	v_and_b32_e32 v19, 7, v10
	v_ffbh_u32_e32 v24, v19
	v_min_u32_e32 v27, 32, v24
	v_subrev_u32_e32 v24, 28, v27
	v_lshlrev_b64 v[24:25], v24, v[10:11]
	v_lshrrev_b32_e32 v23, 3, v12
	v_sub_u32_e32 v25, 29, v27
	v_and_b32_e32 v24, 7, v24
	v_cmp_gt_u32_e32 vcc, 8, v12
	v_cndmask_b32_e32 v12, v23, v25, vcc
	v_cndmask_b32_e32 v19, v19, v24, vcc
	v_lshlrev_b32_e32 v10, 24, v10
	v_bfrev_b32_e32 v23, 60
	v_lshlrev_b32_e32 v19, 20, v19
	v_and_b32_e32 v10, 0x80000000, v10
	v_lshl_add_u32 v12, v12, 23, v23
	v_or3_b32 v23, v10, v12, v19
.LBB551_567:
	s_or_b64 exec, exec, s[10:11]
.LBB551_568:
	s_or_b64 exec, exec, s[8:9]
.LBB551_569:
	s_or_b64 exec, exec, s[2:3]
	v_cmp_ne_u16_sdwa s[8:9], v13, v21 src0_sel:BYTE_0 src1_sel:DWORD
	s_and_saveexec_b64 s[2:3], s[8:9]
	s_cbranch_execz .LBB551_575
; %bb.570:
	s_movk_i32 s7, 0x80
	v_cmp_ne_u16_sdwa s[10:11], v13, s7 src0_sel:BYTE_0 src1_sel:DWORD
	v_bfrev_b32_e32 v21, 1
	s_and_saveexec_b64 s[8:9], s[10:11]
	s_cbranch_execz .LBB551_574
; %bb.571:
	s_movk_i32 s7, 0x7f
	v_and_b32_e32 v10, 0x7f, v13
	v_cmp_ne_u32_e32 vcc, s7, v10
	v_mov_b32_e32 v21, 0x7f800001
	s_and_saveexec_b64 s[10:11], vcc
	s_cbranch_execz .LBB551_573
; %bb.572:
	v_and_b32_e32 v19, 7, v13
	v_ffbh_u32_e32 v24, v19
	v_min_u32_e32 v27, 32, v24
	v_mov_b32_e32 v12, v13
	v_subrev_u32_e32 v24, 28, v27
	v_lshlrev_b64 v[24:25], v24, v[12:13]
	v_lshrrev_b32_e32 v21, 3, v10
	v_sub_u32_e32 v12, 29, v27
	v_and_b32_e32 v24, 7, v24
	v_cmp_gt_u32_e32 vcc, 8, v10
	v_cndmask_b32_e32 v10, v21, v12, vcc
	v_cndmask_b32_e32 v12, v19, v24, vcc
	v_lshlrev_b32_e32 v19, 24, v13
	v_bfrev_b32_e32 v21, 60
	v_lshlrev_b32_e32 v12, 20, v12
	v_and_b32_e32 v19, 0x80000000, v19
	v_lshl_add_u32 v10, v10, 23, v21
	v_or3_b32 v21, v19, v10, v12
.LBB551_573:
	s_or_b64 exec, exec, s[10:11]
.LBB551_574:
	s_or_b64 exec, exec, s[8:9]
.LBB551_575:
	s_or_b64 exec, exec, s[2:3]
	v_lshrrev_b16_e32 v10, 8, v13
	v_cmp_ne_u16_e32 vcc, 0, v10
	v_mov_b32_e32 v12, 0
	v_mov_b32_e32 v24, 0
	s_and_saveexec_b64 s[2:3], vcc
	s_cbranch_execz .LBB551_581
; %bb.576:
	s_movk_i32 s7, 0x80
	v_cmp_ne_u16_e32 vcc, s7, v10
	v_bfrev_b32_e32 v24, 1
	s_and_saveexec_b64 s[8:9], vcc
	s_cbranch_execz .LBB551_580
; %bb.577:
	s_movk_i32 s7, 0x7f
	v_and_b32_e32 v19, 0x7f, v10
	v_cmp_ne_u32_e32 vcc, s7, v19
	v_mov_b32_e32 v24, 0x7f800001
	s_and_saveexec_b64 s[10:11], vcc
	s_cbranch_execz .LBB551_579
; %bb.578:
	v_and_b32_e32 v27, 7, v10
	v_ffbh_u32_e32 v24, v27
	v_min_u32_e32 v29, 32, v24
	v_subrev_u32_e32 v24, 28, v29
	v_lshlrev_b64 v[24:25], v24, v[10:11]
	v_lshrrev_b32_e32 v28, 3, v19
	v_sub_u32_e32 v10, 29, v29
	v_and_b32_e32 v24, 7, v24
	v_cmp_gt_u32_e32 vcc, 8, v19
	v_cndmask_b32_e32 v10, v28, v10, vcc
	v_cndmask_b32_e32 v19, v27, v24, vcc
	v_lshlrev_b32_e32 v24, 16, v13
	v_bfrev_b32_e32 v25, 60
	v_lshlrev_b32_e32 v19, 20, v19
	v_and_b32_e32 v24, 0x80000000, v24
	v_lshl_add_u32 v10, v10, 23, v25
	v_or3_b32 v24, v24, v10, v19
.LBB551_579:
	s_or_b64 exec, exec, s[10:11]
.LBB551_580:
	s_or_b64 exec, exec, s[8:9]
.LBB551_581:
	s_or_b64 exec, exec, s[2:3]
	s_movk_i32 s2, 0xff
	v_and_b32_sdwa v19, v13, s2 dst_sel:DWORD dst_unused:UNUSED_PAD src0_sel:WORD_1 src1_sel:DWORD
	v_lshrrev_b32_e32 v10, 16, v13
	v_cmp_ne_u16_e32 vcc, 0, v19
	s_and_saveexec_b64 s[2:3], vcc
	s_cbranch_execz .LBB551_587
; %bb.582:
	s_movk_i32 s7, 0x80
	v_cmp_ne_u16_e32 vcc, s7, v19
	v_bfrev_b32_e32 v12, 1
	s_and_saveexec_b64 s[8:9], vcc
	s_cbranch_execz .LBB551_586
; %bb.583:
	v_bfe_u32 v19, v13, 16, 7
	s_movk_i32 s7, 0x7f
	v_cmp_ne_u32_e32 vcc, s7, v19
	v_mov_b32_e32 v12, 0x7f800001
	s_and_saveexec_b64 s[10:11], vcc
	s_cbranch_execz .LBB551_585
; %bb.584:
	v_and_b32_e32 v12, 7, v10
	v_ffbh_u32_e32 v27, v12
	v_min_u32_e32 v27, 32, v27
	v_subrev_u32_e32 v28, 28, v27
	v_lshlrev_b64 v[28:29], v28, v[10:11]
	v_lshrrev_b32_e32 v25, 3, v19
	v_sub_u32_e32 v10, 29, v27
	v_and_b32_e32 v27, 7, v28
	v_cmp_gt_u32_e32 vcc, 8, v19
	v_mov_b32_e32 v19, 24
	v_cndmask_b32_e32 v10, v25, v10, vcc
	v_cndmask_b32_e32 v12, v12, v27, vcc
	v_lshlrev_b32_sdwa v19, v19, v13 dst_sel:DWORD dst_unused:UNUSED_PAD src0_sel:DWORD src1_sel:WORD_1
	v_bfrev_b32_e32 v25, 60
	v_lshlrev_b32_e32 v12, 20, v12
	v_and_b32_e32 v19, 0x80000000, v19
	v_lshl_add_u32 v10, v10, 23, v25
	v_or3_b32 v12, v19, v10, v12
.LBB551_585:
	s_or_b64 exec, exec, s[10:11]
.LBB551_586:
	s_or_b64 exec, exec, s[8:9]
.LBB551_587:
	s_or_b64 exec, exec, s[2:3]
	s_mov_b32 s2, 0xffffff
	v_cmp_lt_u32_e32 vcc, s2, v13
	v_mov_b32_e32 v19, 0
	v_mov_b32_e32 v25, 0
	s_and_saveexec_b64 s[2:3], vcc
	s_cbranch_execz .LBB551_593
; %bb.588:
	v_lshrrev_b32_e32 v10, 24, v13
	s_movk_i32 s7, 0x80
	v_cmp_ne_u32_e32 vcc, s7, v10
	v_bfrev_b32_e32 v25, 1
	s_and_saveexec_b64 s[8:9], vcc
	s_cbranch_execz .LBB551_592
; %bb.589:
	v_bfe_u32 v13, v13, 24, 7
	s_movk_i32 s7, 0x7f
	v_cmp_ne_u32_e32 vcc, s7, v13
	v_mov_b32_e32 v25, 0x7f800001
	s_and_saveexec_b64 s[10:11], vcc
	s_cbranch_execz .LBB551_591
; %bb.590:
	v_and_b32_e32 v25, 7, v10
	v_ffbh_u32_e32 v28, v25
	v_min_u32_e32 v30, 32, v28
	v_subrev_u32_e32 v28, 28, v30
	v_lshlrev_b64 v[28:29], v28, v[10:11]
	v_lshrrev_b32_e32 v27, 3, v13
	v_sub_u32_e32 v29, 29, v30
	v_and_b32_e32 v28, 7, v28
	v_cmp_gt_u32_e32 vcc, 8, v13
	v_cndmask_b32_e32 v13, v27, v29, vcc
	v_cndmask_b32_e32 v25, v25, v28, vcc
	v_lshlrev_b32_e32 v10, 24, v10
	v_bfrev_b32_e32 v27, 60
	v_lshlrev_b32_e32 v25, 20, v25
	v_and_b32_e32 v10, 0x80000000, v10
	v_lshl_add_u32 v13, v13, 23, v27
	v_or3_b32 v25, v10, v13, v25
.LBB551_591:
	s_or_b64 exec, exec, s[10:11]
.LBB551_592:
	s_or_b64 exec, exec, s[8:9]
.LBB551_593:
	s_or_b64 exec, exec, s[2:3]
	v_cvt_pkrtz_f16_f32 v10, v18, v20
	v_cvt_pkrtz_f16_f32 v11, v11, v23
	ds_read_b128 v[28:31], v22 offset:2064
	s_waitcnt vmcnt(1)
	v_cmp_ne_u16_sdwa s[8:9], v6, v19 src0_sel:BYTE_0 src1_sel:DWORD
	s_waitcnt lgkmcnt(0)
	v_mfma_f32_16x16x16f16 v[14:17], v[10:11], v[28:29], v[14:17]
	v_cvt_pkrtz_f16_f32 v10, v21, v24
	v_cvt_pkrtz_f16_f32 v11, v12, v25
	s_nop 1
	v_mfma_f32_16x16x16f16 v[10:13], v[10:11], v[30:31], v[14:17]
	s_and_saveexec_b64 s[2:3], s[8:9]
	s_cbranch_execz .LBB551_599
; %bb.594:
	s_movk_i32 s7, 0x80
	v_cmp_ne_u16_sdwa s[10:11], v6, s7 src0_sel:BYTE_0 src1_sel:DWORD
	v_bfrev_b32_e32 v19, 1
	s_and_saveexec_b64 s[8:9], s[10:11]
	s_cbranch_execz .LBB551_598
; %bb.595:
	s_movk_i32 s7, 0x7f
	v_and_b32_e32 v14, 0x7f, v6
	v_cmp_ne_u32_e32 vcc, s7, v14
	v_mov_b32_e32 v19, 0x7f800001
	s_and_saveexec_b64 s[10:11], vcc
	s_cbranch_execz .LBB551_597
; %bb.596:
	v_and_b32_e32 v15, 7, v6
	v_ffbh_u32_e32 v16, v15
	v_min_u32_e32 v19, 32, v16
	v_subrev_u32_e32 v16, 28, v19
	v_lshlrev_b64 v[16:17], v16, v[6:7]
	v_lshrrev_b32_e32 v18, 3, v14
	v_sub_u32_e32 v17, 29, v19
	v_and_b32_e32 v16, 7, v16
	v_cmp_gt_u32_e32 vcc, 8, v14
	v_cndmask_b32_e32 v14, v18, v17, vcc
	v_cndmask_b32_e32 v15, v15, v16, vcc
	v_lshlrev_b32_e32 v16, 24, v6
	v_bfrev_b32_e32 v17, 60
	v_lshlrev_b32_e32 v15, 20, v15
	v_and_b32_e32 v16, 0x80000000, v16
	v_lshl_add_u32 v14, v14, 23, v17
	v_or3_b32 v19, v16, v14, v15
.LBB551_597:
	s_or_b64 exec, exec, s[10:11]
.LBB551_598:
	s_or_b64 exec, exec, s[8:9]
.LBB551_599:
	s_or_b64 exec, exec, s[2:3]
	s_nop 3
	v_lshrrev_b16_e32 v14, 8, v6
	v_cmp_ne_u16_e32 vcc, 0, v14
	v_mov_b32_e32 v15, 0
	v_mov_b32_e32 v16, 0
	s_and_saveexec_b64 s[2:3], vcc
	s_cbranch_execz .LBB551_605
; %bb.600:
	s_movk_i32 s7, 0x80
	v_cmp_ne_u16_e32 vcc, s7, v14
	v_bfrev_b32_e32 v16, 1
	s_and_saveexec_b64 s[8:9], vcc
	s_cbranch_execz .LBB551_604
; %bb.601:
	s_movk_i32 s7, 0x7f
	v_and_b32_e32 v17, 0x7f, v14
	v_cmp_ne_u32_e32 vcc, s7, v17
	v_mov_b32_e32 v16, 0x7f800001
	s_and_saveexec_b64 s[10:11], vcc
	s_cbranch_execz .LBB551_603
; %bb.602:
	v_and_b32_e32 v16, 7, v14
	v_ffbh_u32_e32 v20, v16
	v_min_u32_e32 v23, 32, v20
	v_subrev_u32_e32 v20, 28, v23
	v_lshlrev_b64 v[20:21], v20, v[14:15]
	v_lshrrev_b32_e32 v18, 3, v17
	v_sub_u32_e32 v14, 29, v23
	v_and_b32_e32 v20, 7, v20
	v_cmp_gt_u32_e32 vcc, 8, v17
	v_cndmask_b32_e32 v14, v18, v14, vcc
	v_cndmask_b32_e32 v16, v16, v20, vcc
	v_lshlrev_b32_e32 v17, 16, v6
	v_bfrev_b32_e32 v18, 60
	v_lshlrev_b32_e32 v16, 20, v16
	v_and_b32_e32 v17, 0x80000000, v17
	v_lshl_add_u32 v14, v14, 23, v18
	v_or3_b32 v16, v17, v14, v16
.LBB551_603:
	s_or_b64 exec, exec, s[10:11]
.LBB551_604:
	s_or_b64 exec, exec, s[8:9]
.LBB551_605:
	s_or_b64 exec, exec, s[2:3]
	s_movk_i32 s2, 0xff
	v_and_b32_sdwa v17, v6, s2 dst_sel:DWORD dst_unused:UNUSED_PAD src0_sel:WORD_1 src1_sel:DWORD
	v_lshrrev_b32_e32 v14, 16, v6
	v_cmp_ne_u16_e32 vcc, 0, v17
	s_and_saveexec_b64 s[2:3], vcc
	s_cbranch_execz .LBB551_611
; %bb.606:
	s_movk_i32 s7, 0x80
	v_cmp_ne_u16_e32 vcc, s7, v17
	v_bfrev_b32_e32 v15, 1
	s_and_saveexec_b64 s[8:9], vcc
	s_cbranch_execz .LBB551_610
; %bb.607:
	v_bfe_u32 v17, v6, 16, 7
	s_movk_i32 s7, 0x7f
	v_cmp_ne_u32_e32 vcc, s7, v17
	v_mov_b32_e32 v15, 0x7f800001
	s_and_saveexec_b64 s[10:11], vcc
	s_cbranch_execz .LBB551_609
; %bb.608:
	v_and_b32_e32 v18, 7, v14
	v_ffbh_u32_e32 v15, v18
	v_min_u32_e32 v21, 32, v15
	v_subrev_u32_e32 v15, 28, v21
	v_lshlrev_b64 v[14:15], v15, v[14:15]
	v_lshrrev_b32_e32 v20, 3, v17
	v_sub_u32_e32 v15, 29, v21
	v_and_b32_e32 v14, 7, v14
	v_cmp_gt_u32_e32 vcc, 8, v17
	v_mov_b32_e32 v17, 24
	v_cndmask_b32_e32 v15, v20, v15, vcc
	v_cndmask_b32_e32 v14, v18, v14, vcc
	v_lshlrev_b32_sdwa v17, v17, v6 dst_sel:DWORD dst_unused:UNUSED_PAD src0_sel:DWORD src1_sel:WORD_1
	v_bfrev_b32_e32 v18, 60
	v_lshlrev_b32_e32 v14, 20, v14
	v_and_b32_e32 v17, 0x80000000, v17
	v_lshl_add_u32 v15, v15, 23, v18
	v_or3_b32 v15, v17, v15, v14
.LBB551_609:
	s_or_b64 exec, exec, s[10:11]
.LBB551_610:
	s_or_b64 exec, exec, s[8:9]
.LBB551_611:
	s_or_b64 exec, exec, s[2:3]
	s_mov_b32 s2, 0xffffff
	v_cmp_lt_u32_e32 vcc, s2, v6
	v_mov_b32_e32 v17, 0
	v_mov_b32_e32 v18, 0
	s_and_saveexec_b64 s[2:3], vcc
	s_cbranch_execz .LBB551_617
; %bb.612:
	v_lshrrev_b32_e32 v14, 24, v6
	s_movk_i32 s7, 0x80
	v_cmp_ne_u32_e32 vcc, s7, v14
	v_bfrev_b32_e32 v18, 1
	s_and_saveexec_b64 s[8:9], vcc
	s_cbranch_execz .LBB551_616
; %bb.613:
	v_bfe_u32 v6, v6, 24, 7
	s_movk_i32 s7, 0x7f
	v_cmp_ne_u32_e32 vcc, s7, v6
	v_mov_b32_e32 v18, 0x7f800001
	s_and_saveexec_b64 s[10:11], vcc
	s_cbranch_execz .LBB551_615
; %bb.614:
	v_and_b32_e32 v18, 7, v14
	v_ffbh_u32_e32 v20, v18
	v_min_u32_e32 v24, 32, v20
	v_subrev_u32_e32 v20, 28, v24
	v_lshlrev_b64 v[20:21], v20, v[14:15]
	v_lshrrev_b32_e32 v23, 3, v6
	v_sub_u32_e32 v21, 29, v24
	v_and_b32_e32 v20, 7, v20
	v_cmp_gt_u32_e32 vcc, 8, v6
	v_cndmask_b32_e32 v6, v23, v21, vcc
	v_cndmask_b32_e32 v18, v18, v20, vcc
	v_lshlrev_b32_e32 v14, 24, v14
	v_bfrev_b32_e32 v20, 60
	v_lshlrev_b32_e32 v18, 20, v18
	v_and_b32_e32 v14, 0x80000000, v14
	v_lshl_add_u32 v6, v6, 23, v20
	v_or3_b32 v18, v14, v6, v18
.LBB551_615:
	s_or_b64 exec, exec, s[10:11]
.LBB551_616:
	s_or_b64 exec, exec, s[8:9]
.LBB551_617:
	s_or_b64 exec, exec, s[2:3]
	v_cmp_ne_u16_sdwa s[8:9], v7, v17 src0_sel:BYTE_0 src1_sel:DWORD
	s_and_saveexec_b64 s[2:3], s[8:9]
	s_cbranch_execz .LBB551_623
; %bb.618:
	s_movk_i32 s7, 0x80
	v_cmp_ne_u16_sdwa s[10:11], v7, s7 src0_sel:BYTE_0 src1_sel:DWORD
	v_bfrev_b32_e32 v17, 1
	s_and_saveexec_b64 s[8:9], s[10:11]
	s_cbranch_execz .LBB551_622
; %bb.619:
	s_movk_i32 s7, 0x7f
	v_and_b32_e32 v6, 0x7f, v7
	v_cmp_ne_u32_e32 vcc, s7, v6
	v_mov_b32_e32 v17, 0x7f800001
	s_and_saveexec_b64 s[10:11], vcc
	s_cbranch_execz .LBB551_621
; %bb.620:
	v_and_b32_e32 v17, 7, v7
	v_ffbh_u32_e32 v20, v17
	v_min_u32_e32 v24, 32, v20
	v_mov_b32_e32 v14, v7
	v_subrev_u32_e32 v20, 28, v24
	v_lshlrev_b64 v[20:21], v20, v[14:15]
	v_lshrrev_b32_e32 v23, 3, v6
	v_sub_u32_e32 v14, 29, v24
	v_and_b32_e32 v20, 7, v20
	v_cmp_gt_u32_e32 vcc, 8, v6
	v_cndmask_b32_e32 v6, v23, v14, vcc
	v_cndmask_b32_e32 v14, v17, v20, vcc
	v_lshlrev_b32_e32 v17, 24, v7
	v_bfrev_b32_e32 v20, 60
	v_lshlrev_b32_e32 v14, 20, v14
	v_and_b32_e32 v17, 0x80000000, v17
	v_lshl_add_u32 v6, v6, 23, v20
	v_or3_b32 v17, v17, v6, v14
.LBB551_621:
	s_or_b64 exec, exec, s[10:11]
.LBB551_622:
	s_or_b64 exec, exec, s[8:9]
.LBB551_623:
	s_or_b64 exec, exec, s[2:3]
	v_lshrrev_b16_e32 v6, 8, v7
	v_cmp_ne_u16_e32 vcc, 0, v6
	v_mov_b32_e32 v20, 0
	v_mov_b32_e32 v21, 0
	s_and_saveexec_b64 s[2:3], vcc
	s_cbranch_execz .LBB551_629
; %bb.624:
	s_movk_i32 s7, 0x80
	v_cmp_ne_u16_e32 vcc, s7, v6
	v_bfrev_b32_e32 v21, 1
	s_and_saveexec_b64 s[8:9], vcc
	s_cbranch_execz .LBB551_628
; %bb.625:
	s_movk_i32 s7, 0x7f
	v_and_b32_e32 v14, 0x7f, v6
	v_cmp_ne_u32_e32 vcc, s7, v14
	v_mov_b32_e32 v21, 0x7f800001
	s_and_saveexec_b64 s[10:11], vcc
	s_cbranch_execz .LBB551_627
; %bb.626:
	v_and_b32_e32 v21, 7, v6
	v_ffbh_u32_e32 v24, v21
	v_min_u32_e32 v27, 32, v24
	v_subrev_u32_e32 v24, 28, v27
	v_lshlrev_b64 v[24:25], v24, v[6:7]
	v_lshrrev_b32_e32 v23, 3, v14
	v_sub_u32_e32 v6, 29, v27
	v_and_b32_e32 v24, 7, v24
	v_cmp_gt_u32_e32 vcc, 8, v14
	v_cndmask_b32_e32 v6, v23, v6, vcc
	v_cndmask_b32_e32 v14, v21, v24, vcc
	v_lshlrev_b32_e32 v21, 16, v7
	v_bfrev_b32_e32 v23, 60
	v_lshlrev_b32_e32 v14, 20, v14
	v_and_b32_e32 v21, 0x80000000, v21
	v_lshl_add_u32 v6, v6, 23, v23
	v_or3_b32 v21, v21, v6, v14
.LBB551_627:
	s_or_b64 exec, exec, s[10:11]
.LBB551_628:
	s_or_b64 exec, exec, s[8:9]
.LBB551_629:
	s_or_b64 exec, exec, s[2:3]
	s_movk_i32 s2, 0xff
	v_and_b32_sdwa v14, v7, s2 dst_sel:DWORD dst_unused:UNUSED_PAD src0_sel:WORD_1 src1_sel:DWORD
	v_lshrrev_b32_e32 v6, 16, v7
	v_cmp_ne_u16_e32 vcc, 0, v14
	s_and_saveexec_b64 s[2:3], vcc
	s_cbranch_execz .LBB551_635
; %bb.630:
	s_movk_i32 s7, 0x80
	v_cmp_ne_u16_e32 vcc, s7, v14
	v_bfrev_b32_e32 v20, 1
	s_and_saveexec_b64 s[8:9], vcc
	s_cbranch_execz .LBB551_634
; %bb.631:
	v_bfe_u32 v14, v7, 16, 7
	s_movk_i32 s7, 0x7f
	v_cmp_ne_u32_e32 vcc, s7, v14
	v_mov_b32_e32 v20, 0x7f800001
	s_and_saveexec_b64 s[10:11], vcc
	s_cbranch_execz .LBB551_633
; %bb.632:
	v_and_b32_e32 v20, 7, v6
	v_ffbh_u32_e32 v24, v20
	v_min_u32_e32 v27, 32, v24
	v_subrev_u32_e32 v24, 28, v27
	v_lshlrev_b64 v[24:25], v24, v[6:7]
	v_and_b32_e32 v24, 7, v24
	v_cmp_gt_u32_e32 vcc, 8, v14
	v_lshrrev_b32_e32 v23, 3, v14
	v_sub_u32_e32 v6, 29, v27
	v_cndmask_b32_e32 v14, v20, v24, vcc
	v_mov_b32_e32 v20, 24
	v_cndmask_b32_e32 v6, v23, v6, vcc
	v_lshlrev_b32_sdwa v20, v20, v7 dst_sel:DWORD dst_unused:UNUSED_PAD src0_sel:DWORD src1_sel:WORD_1
	v_bfrev_b32_e32 v23, 60
	v_lshlrev_b32_e32 v14, 20, v14
	v_and_b32_e32 v20, 0x80000000, v20
	v_lshl_add_u32 v6, v6, 23, v23
	v_or3_b32 v20, v20, v6, v14
.LBB551_633:
	s_or_b64 exec, exec, s[10:11]
.LBB551_634:
	s_or_b64 exec, exec, s[8:9]
.LBB551_635:
	s_or_b64 exec, exec, s[2:3]
	s_mov_b32 s2, 0xffffff
	v_cmp_lt_u32_e32 vcc, s2, v7
	v_mov_b32_e32 v14, 0
	v_mov_b32_e32 v23, 0
	s_and_saveexec_b64 s[2:3], vcc
	s_cbranch_execz .LBB551_641
; %bb.636:
	v_lshrrev_b32_e32 v6, 24, v7
	s_movk_i32 s7, 0x80
	v_cmp_ne_u32_e32 vcc, s7, v6
	v_bfrev_b32_e32 v23, 1
	s_and_saveexec_b64 s[8:9], vcc
	s_cbranch_execz .LBB551_640
; %bb.637:
	v_bfe_u32 v7, v7, 24, 7
	s_movk_i32 s7, 0x7f
	v_cmp_ne_u32_e32 vcc, s7, v7
	v_mov_b32_e32 v23, 0x7f800001
	s_and_saveexec_b64 s[10:11], vcc
	s_cbranch_execz .LBB551_639
; %bb.638:
	v_and_b32_e32 v23, 7, v6
	v_ffbh_u32_e32 v24, v23
	v_min_u32_e32 v28, 32, v24
	v_subrev_u32_e32 v24, 28, v28
	v_lshlrev_b64 v[24:25], v24, v[6:7]
	v_lshrrev_b32_e32 v27, 3, v7
	v_sub_u32_e32 v25, 29, v28
	v_and_b32_e32 v24, 7, v24
	v_cmp_gt_u32_e32 vcc, 8, v7
	v_cndmask_b32_e32 v7, v27, v25, vcc
	v_cndmask_b32_e32 v23, v23, v24, vcc
	v_lshlrev_b32_e32 v6, 24, v6
	v_bfrev_b32_e32 v24, 60
	v_lshlrev_b32_e32 v23, 20, v23
	v_and_b32_e32 v6, 0x80000000, v6
	v_lshl_add_u32 v7, v7, 23, v24
	v_or3_b32 v23, v6, v7, v23
.LBB551_639:
	s_or_b64 exec, exec, s[10:11]
.LBB551_640:
	s_or_b64 exec, exec, s[8:9]
.LBB551_641:
	s_or_b64 exec, exec, s[2:3]
	v_cvt_pkrtz_f16_f32 v6, v19, v16
	v_cvt_pkrtz_f16_f32 v7, v15, v18
	ds_read_b128 v[28:31], v22 offset:4096
	v_cmp_ne_u16_sdwa s[8:9], v8, v14 src0_sel:BYTE_0 src1_sel:DWORD
	s_waitcnt lgkmcnt(0)
	v_mfma_f32_16x16x16f16 v[10:13], v[6:7], v[28:29], v[10:13]
	v_cvt_pkrtz_f16_f32 v6, v17, v21
	v_cvt_pkrtz_f16_f32 v7, v20, v23
	s_nop 1
	v_mfma_f32_16x16x16f16 v[10:13], v[6:7], v[30:31], v[10:13]
	s_and_saveexec_b64 s[2:3], s[8:9]
	s_cbranch_execz .LBB551_647
; %bb.642:
	s_movk_i32 s7, 0x80
	v_cmp_ne_u16_sdwa s[10:11], v8, s7 src0_sel:BYTE_0 src1_sel:DWORD
	v_bfrev_b32_e32 v14, 1
	s_and_saveexec_b64 s[8:9], s[10:11]
	s_cbranch_execz .LBB551_646
; %bb.643:
	s_movk_i32 s7, 0x7f
	v_and_b32_e32 v6, 0x7f, v8
	v_cmp_ne_u32_e32 vcc, s7, v6
	v_mov_b32_e32 v14, 0x7f800001
	s_and_saveexec_b64 s[10:11], vcc
	s_cbranch_execz .LBB551_645
; %bb.644:
	v_and_b32_e32 v7, 7, v8
	v_ffbh_u32_e32 v14, v7
	v_min_u32_e32 v17, 32, v14
	v_subrev_u32_e32 v14, 28, v17
	v_lshlrev_b64 v[14:15], v14, v[8:9]
	v_lshrrev_b32_e32 v16, 3, v6
	v_sub_u32_e32 v15, 29, v17
	v_and_b32_e32 v14, 7, v14
	v_cmp_gt_u32_e32 vcc, 8, v6
	v_cndmask_b32_e32 v6, v16, v15, vcc
	v_cndmask_b32_e32 v7, v7, v14, vcc
	v_lshlrev_b32_e32 v14, 24, v8
	v_bfrev_b32_e32 v15, 60
	v_lshlrev_b32_e32 v7, 20, v7
	v_and_b32_e32 v14, 0x80000000, v14
	v_lshl_add_u32 v6, v6, 23, v15
	v_or3_b32 v14, v14, v6, v7
.LBB551_645:
	s_or_b64 exec, exec, s[10:11]
.LBB551_646:
	s_or_b64 exec, exec, s[8:9]
.LBB551_647:
	s_or_b64 exec, exec, s[2:3]
	v_lshrrev_b16_e32 v6, 8, v8
	v_cmp_ne_u16_e32 vcc, 0, v6
	v_mov_b32_e32 v7, 0
	v_mov_b32_e32 v16, 0
	s_and_saveexec_b64 s[2:3], vcc
	s_cbranch_execz .LBB551_653
; %bb.648:
	s_movk_i32 s7, 0x80
	v_cmp_ne_u16_e32 vcc, s7, v6
	v_bfrev_b32_e32 v16, 1
	s_and_saveexec_b64 s[8:9], vcc
	s_cbranch_execz .LBB551_652
; %bb.649:
	s_movk_i32 s7, 0x7f
	v_and_b32_e32 v15, 0x7f, v6
	v_cmp_ne_u32_e32 vcc, s7, v15
	v_mov_b32_e32 v16, 0x7f800001
	s_and_saveexec_b64 s[10:11], vcc
	s_cbranch_execz .LBB551_651
; %bb.650:
	v_and_b32_e32 v18, 7, v6
	v_ffbh_u32_e32 v16, v18
	v_min_u32_e32 v20, 32, v16
	v_subrev_u32_e32 v16, 28, v20
	v_lshlrev_b64 v[16:17], v16, v[6:7]
	v_lshrrev_b32_e32 v19, 3, v15
	v_sub_u32_e32 v6, 29, v20
	v_and_b32_e32 v16, 7, v16
	v_cmp_gt_u32_e32 vcc, 8, v15
	v_cndmask_b32_e32 v6, v19, v6, vcc
	v_cndmask_b32_e32 v15, v18, v16, vcc
	v_lshlrev_b32_e32 v16, 16, v8
	v_bfrev_b32_e32 v17, 60
	v_lshlrev_b32_e32 v15, 20, v15
	v_and_b32_e32 v16, 0x80000000, v16
	v_lshl_add_u32 v6, v6, 23, v17
	v_or3_b32 v16, v16, v6, v15
.LBB551_651:
	s_or_b64 exec, exec, s[10:11]
.LBB551_652:
	s_or_b64 exec, exec, s[8:9]
.LBB551_653:
	s_or_b64 exec, exec, s[2:3]
	s_movk_i32 s2, 0xff
	v_and_b32_sdwa v15, v8, s2 dst_sel:DWORD dst_unused:UNUSED_PAD src0_sel:WORD_1 src1_sel:DWORD
	v_lshrrev_b32_e32 v6, 16, v8
	v_cmp_ne_u16_e32 vcc, 0, v15
	s_and_saveexec_b64 s[2:3], vcc
	s_cbranch_execz .LBB551_659
; %bb.654:
	s_movk_i32 s7, 0x80
	v_cmp_ne_u16_e32 vcc, s7, v15
	v_bfrev_b32_e32 v7, 1
	s_and_saveexec_b64 s[8:9], vcc
	s_cbranch_execz .LBB551_658
; %bb.655:
	v_bfe_u32 v15, v8, 16, 7
	s_movk_i32 s7, 0x7f
	v_cmp_ne_u32_e32 vcc, s7, v15
	v_mov_b32_e32 v7, 0x7f800001
	s_and_saveexec_b64 s[10:11], vcc
	s_cbranch_execz .LBB551_657
; %bb.656:
	v_and_b32_e32 v17, 7, v6
	v_ffbh_u32_e32 v7, v17
	v_min_u32_e32 v19, 32, v7
	v_subrev_u32_e32 v7, 28, v19
	v_lshlrev_b64 v[6:7], v7, v[6:7]
	v_lshrrev_b32_e32 v18, 3, v15
	v_sub_u32_e32 v7, 29, v19
	v_and_b32_e32 v6, 7, v6
	v_cmp_gt_u32_e32 vcc, 8, v15
	v_mov_b32_e32 v15, 24
	v_cndmask_b32_e32 v7, v18, v7, vcc
	v_cndmask_b32_e32 v6, v17, v6, vcc
	v_lshlrev_b32_sdwa v15, v15, v8 dst_sel:DWORD dst_unused:UNUSED_PAD src0_sel:DWORD src1_sel:WORD_1
	v_bfrev_b32_e32 v17, 60
	v_lshlrev_b32_e32 v6, 20, v6
	v_and_b32_e32 v15, 0x80000000, v15
	v_lshl_add_u32 v7, v7, 23, v17
	v_or3_b32 v7, v15, v7, v6
.LBB551_657:
	s_or_b64 exec, exec, s[10:11]
.LBB551_658:
	s_or_b64 exec, exec, s[8:9]
.LBB551_659:
	s_or_b64 exec, exec, s[2:3]
	s_mov_b32 s2, 0xffffff
	v_cmp_lt_u32_e32 vcc, s2, v8
	v_mov_b32_e32 v17, 0
	v_mov_b32_e32 v18, 0
	s_and_saveexec_b64 s[2:3], vcc
	s_cbranch_execz .LBB551_665
; %bb.660:
	v_lshrrev_b32_e32 v6, 24, v8
	s_movk_i32 s7, 0x80
	v_cmp_ne_u32_e32 vcc, s7, v6
	v_bfrev_b32_e32 v18, 1
	s_and_saveexec_b64 s[8:9], vcc
	s_cbranch_execz .LBB551_664
; %bb.661:
	v_bfe_u32 v8, v8, 24, 7
	s_movk_i32 s7, 0x7f
	v_cmp_ne_u32_e32 vcc, s7, v8
	v_mov_b32_e32 v18, 0x7f800001
	s_and_saveexec_b64 s[10:11], vcc
	s_cbranch_execz .LBB551_663
; %bb.662:
	v_and_b32_e32 v15, 7, v6
	v_ffbh_u32_e32 v18, v15
	v_min_u32_e32 v21, 32, v18
	v_subrev_u32_e32 v18, 28, v21
	v_lshlrev_b64 v[18:19], v18, v[6:7]
	v_lshrrev_b32_e32 v20, 3, v8
	v_sub_u32_e32 v19, 29, v21
	v_and_b32_e32 v18, 7, v18
	v_cmp_gt_u32_e32 vcc, 8, v8
	v_cndmask_b32_e32 v8, v20, v19, vcc
	v_cndmask_b32_e32 v15, v15, v18, vcc
	v_lshlrev_b32_e32 v6, 24, v6
	v_bfrev_b32_e32 v18, 60
	v_lshlrev_b32_e32 v15, 20, v15
	v_and_b32_e32 v6, 0x80000000, v6
	v_lshl_add_u32 v8, v8, 23, v18
	v_or3_b32 v18, v6, v8, v15
.LBB551_663:
	s_or_b64 exec, exec, s[10:11]
.LBB551_664:
	s_or_b64 exec, exec, s[8:9]
.LBB551_665:
	s_or_b64 exec, exec, s[2:3]
	v_cmp_ne_u16_sdwa s[8:9], v9, v17 src0_sel:BYTE_0 src1_sel:DWORD
	s_and_saveexec_b64 s[2:3], s[8:9]
	s_cbranch_execz .LBB551_671
; %bb.666:
	s_movk_i32 s7, 0x80
	v_cmp_ne_u16_sdwa s[10:11], v9, s7 src0_sel:BYTE_0 src1_sel:DWORD
	v_bfrev_b32_e32 v17, 1
	s_and_saveexec_b64 s[8:9], s[10:11]
	s_cbranch_execz .LBB551_670
; %bb.667:
	s_movk_i32 s7, 0x7f
	v_and_b32_e32 v6, 0x7f, v9
	v_cmp_ne_u32_e32 vcc, s7, v6
	v_mov_b32_e32 v17, 0x7f800001
	s_and_saveexec_b64 s[10:11], vcc
	s_cbranch_execz .LBB551_669
; %bb.668:
	v_and_b32_e32 v15, 7, v9
	v_ffbh_u32_e32 v19, v15
	v_min_u32_e32 v19, 32, v19
	v_mov_b32_e32 v8, v9
	v_subrev_u32_e32 v20, 28, v19
	v_lshlrev_b64 v[20:21], v20, v[8:9]
	v_lshrrev_b32_e32 v17, 3, v6
	v_sub_u32_e32 v8, 29, v19
	v_and_b32_e32 v19, 7, v20
	v_cmp_gt_u32_e32 vcc, 8, v6
	v_cndmask_b32_e32 v6, v17, v8, vcc
	v_cndmask_b32_e32 v8, v15, v19, vcc
	v_lshlrev_b32_e32 v15, 24, v9
	v_bfrev_b32_e32 v17, 60
	v_lshlrev_b32_e32 v8, 20, v8
	v_and_b32_e32 v15, 0x80000000, v15
	v_lshl_add_u32 v6, v6, 23, v17
	v_or3_b32 v17, v15, v6, v8
.LBB551_669:
	s_or_b64 exec, exec, s[10:11]
.LBB551_670:
	s_or_b64 exec, exec, s[8:9]
.LBB551_671:
	s_or_b64 exec, exec, s[2:3]
	v_lshrrev_b16_e32 v6, 8, v9
	v_cmp_ne_u16_e32 vcc, 0, v6
	v_mov_b32_e32 v8, 0
	v_mov_b32_e32 v19, 0
	s_and_saveexec_b64 s[2:3], vcc
	s_cbranch_execz .LBB551_677
; %bb.672:
	s_movk_i32 s7, 0x80
	v_cmp_ne_u16_e32 vcc, s7, v6
	v_bfrev_b32_e32 v19, 1
	s_and_saveexec_b64 s[8:9], vcc
	s_cbranch_execz .LBB551_676
; %bb.673:
	s_movk_i32 s7, 0x7f
	v_and_b32_e32 v15, 0x7f, v6
	v_cmp_ne_u32_e32 vcc, s7, v15
	v_mov_b32_e32 v19, 0x7f800001
	s_and_saveexec_b64 s[10:11], vcc
	s_cbranch_execz .LBB551_675
; %bb.674:
	v_and_b32_e32 v19, 7, v6
	v_ffbh_u32_e32 v20, v19
	v_min_u32_e32 v24, 32, v20
	v_subrev_u32_e32 v20, 28, v24
	v_lshlrev_b64 v[20:21], v20, v[6:7]
	v_lshrrev_b32_e32 v23, 3, v15
	v_sub_u32_e32 v6, 29, v24
	v_and_b32_e32 v20, 7, v20
	v_cmp_gt_u32_e32 vcc, 8, v15
	v_cndmask_b32_e32 v6, v23, v6, vcc
	v_cndmask_b32_e32 v15, v19, v20, vcc
	v_lshlrev_b32_e32 v19, 16, v9
	v_bfrev_b32_e32 v20, 60
	v_lshlrev_b32_e32 v15, 20, v15
	v_and_b32_e32 v19, 0x80000000, v19
	v_lshl_add_u32 v6, v6, 23, v20
	v_or3_b32 v19, v19, v6, v15
.LBB551_675:
	s_or_b64 exec, exec, s[10:11]
.LBB551_676:
	s_or_b64 exec, exec, s[8:9]
.LBB551_677:
	s_or_b64 exec, exec, s[2:3]
	s_movk_i32 s2, 0xff
	v_and_b32_sdwa v15, v9, s2 dst_sel:DWORD dst_unused:UNUSED_PAD src0_sel:WORD_1 src1_sel:DWORD
	v_lshrrev_b32_e32 v6, 16, v9
	v_cmp_ne_u16_e32 vcc, 0, v15
	s_and_saveexec_b64 s[2:3], vcc
	s_cbranch_execz .LBB551_683
; %bb.678:
	s_movk_i32 s7, 0x80
	v_cmp_ne_u16_e32 vcc, s7, v15
	v_bfrev_b32_e32 v8, 1
	s_and_saveexec_b64 s[8:9], vcc
	s_cbranch_execz .LBB551_682
; %bb.679:
	v_bfe_u32 v15, v9, 16, 7
	s_movk_i32 s7, 0x7f
	v_cmp_ne_u32_e32 vcc, s7, v15
	v_mov_b32_e32 v8, 0x7f800001
	s_and_saveexec_b64 s[10:11], vcc
	s_cbranch_execz .LBB551_681
; %bb.680:
	v_and_b32_e32 v8, 7, v6
	v_ffbh_u32_e32 v20, v8
	v_min_u32_e32 v24, 32, v20
	v_subrev_u32_e32 v20, 28, v24
	v_lshlrev_b64 v[20:21], v20, v[6:7]
	v_lshrrev_b32_e32 v23, 3, v15
	v_sub_u32_e32 v6, 29, v24
	v_and_b32_e32 v20, 7, v20
	v_cmp_gt_u32_e32 vcc, 8, v15
	v_mov_b32_e32 v15, 24
	v_cndmask_b32_e32 v6, v23, v6, vcc
	v_cndmask_b32_e32 v8, v8, v20, vcc
	v_lshlrev_b32_sdwa v15, v15, v9 dst_sel:DWORD dst_unused:UNUSED_PAD src0_sel:DWORD src1_sel:WORD_1
	v_bfrev_b32_e32 v20, 60
	v_lshlrev_b32_e32 v8, 20, v8
	v_and_b32_e32 v15, 0x80000000, v15
	v_lshl_add_u32 v6, v6, 23, v20
	v_or3_b32 v8, v15, v6, v8
.LBB551_681:
	s_or_b64 exec, exec, s[10:11]
.LBB551_682:
	s_or_b64 exec, exec, s[8:9]
.LBB551_683:
	s_or_b64 exec, exec, s[2:3]
	s_mov_b32 s2, 0xffffff
	v_cmp_lt_u32_e32 vcc, s2, v9
	v_mov_b32_e32 v15, 0
	v_mov_b32_e32 v20, 0
	s_and_saveexec_b64 s[2:3], vcc
	s_cbranch_execz .LBB551_689
; %bb.684:
	v_lshrrev_b32_e32 v6, 24, v9
	s_movk_i32 s7, 0x80
	v_cmp_ne_u32_e32 vcc, s7, v6
	v_bfrev_b32_e32 v20, 1
	s_and_saveexec_b64 s[8:9], vcc
	s_cbranch_execz .LBB551_688
; %bb.685:
	v_bfe_u32 v9, v9, 24, 7
	s_movk_i32 s7, 0x7f
	v_cmp_ne_u32_e32 vcc, s7, v9
	v_mov_b32_e32 v20, 0x7f800001
	s_and_saveexec_b64 s[10:11], vcc
	s_cbranch_execz .LBB551_687
; %bb.686:
	v_and_b32_e32 v23, 7, v6
	v_ffbh_u32_e32 v20, v23
	v_min_u32_e32 v25, 32, v20
	v_subrev_u32_e32 v20, 28, v25
	v_lshlrev_b64 v[20:21], v20, v[6:7]
	v_lshrrev_b32_e32 v24, 3, v9
	v_sub_u32_e32 v21, 29, v25
	v_and_b32_e32 v20, 7, v20
	v_cmp_gt_u32_e32 vcc, 8, v9
	v_cndmask_b32_e32 v9, v24, v21, vcc
	v_cndmask_b32_e32 v20, v23, v20, vcc
	v_lshlrev_b32_e32 v6, 24, v6
	v_bfrev_b32_e32 v21, 60
	v_lshlrev_b32_e32 v20, 20, v20
	v_and_b32_e32 v6, 0x80000000, v6
	v_lshl_add_u32 v9, v9, 23, v21
	v_or3_b32 v20, v6, v9, v20
.LBB551_687:
	s_or_b64 exec, exec, s[10:11]
.LBB551_688:
	s_or_b64 exec, exec, s[8:9]
.LBB551_689:
	s_or_b64 exec, exec, s[2:3]
	v_cvt_pkrtz_f16_f32 v6, v14, v16
	v_cvt_pkrtz_f16_f32 v7, v7, v18
	ds_read_b128 v[28:31], v22 offset:4112
	s_waitcnt vmcnt(0)
	v_cmp_ne_u16_sdwa s[8:9], v2, v15 src0_sel:BYTE_0 src1_sel:DWORD
	s_waitcnt lgkmcnt(0)
	v_mfma_f32_16x16x16f16 v[10:13], v[6:7], v[28:29], v[10:13]
	v_cvt_pkrtz_f16_f32 v6, v17, v19
	v_cvt_pkrtz_f16_f32 v7, v8, v20
	s_nop 1
	v_mfma_f32_16x16x16f16 v[6:9], v[6:7], v[30:31], v[10:13]
	s_and_saveexec_b64 s[2:3], s[8:9]
	s_cbranch_execz .LBB551_695
; %bb.690:
	s_movk_i32 s7, 0x80
	v_cmp_ne_u16_sdwa s[10:11], v2, s7 src0_sel:BYTE_0 src1_sel:DWORD
	v_bfrev_b32_e32 v15, 1
	s_and_saveexec_b64 s[8:9], s[10:11]
	s_cbranch_execz .LBB551_694
; %bb.691:
	s_movk_i32 s7, 0x7f
	v_and_b32_e32 v10, 0x7f, v2
	v_cmp_ne_u32_e32 vcc, s7, v10
	v_mov_b32_e32 v15, 0x7f800001
	s_and_saveexec_b64 s[10:11], vcc
	s_cbranch_execz .LBB551_693
; %bb.692:
	v_and_b32_e32 v11, 7, v2
	v_ffbh_u32_e32 v12, v11
	v_min_u32_e32 v15, 32, v12
	v_subrev_u32_e32 v12, 28, v15
	v_lshlrev_b64 v[12:13], v12, v[2:3]
	v_lshrrev_b32_e32 v14, 3, v10
	v_sub_u32_e32 v13, 29, v15
	v_and_b32_e32 v12, 7, v12
	v_cmp_gt_u32_e32 vcc, 8, v10
	v_cndmask_b32_e32 v10, v14, v13, vcc
	v_cndmask_b32_e32 v11, v11, v12, vcc
	v_lshlrev_b32_e32 v12, 24, v2
	v_bfrev_b32_e32 v13, 60
	v_lshlrev_b32_e32 v11, 20, v11
	v_and_b32_e32 v12, 0x80000000, v12
	v_lshl_add_u32 v10, v10, 23, v13
	v_or3_b32 v15, v12, v10, v11
.LBB551_693:
	s_or_b64 exec, exec, s[10:11]
.LBB551_694:
	s_or_b64 exec, exec, s[8:9]
.LBB551_695:
	s_or_b64 exec, exec, s[2:3]
	s_nop 3
	v_lshrrev_b16_e32 v10, 8, v2
	v_cmp_ne_u16_e32 vcc, 0, v10
	v_mov_b32_e32 v11, 0
	v_mov_b32_e32 v12, 0
	s_and_saveexec_b64 s[2:3], vcc
	s_cbranch_execz .LBB551_701
; %bb.696:
	s_movk_i32 s7, 0x80
	v_cmp_ne_u16_e32 vcc, s7, v10
	v_bfrev_b32_e32 v12, 1
	s_and_saveexec_b64 s[8:9], vcc
	s_cbranch_execz .LBB551_700
; %bb.697:
	s_movk_i32 s7, 0x7f
	v_and_b32_e32 v13, 0x7f, v10
	v_cmp_ne_u32_e32 vcc, s7, v13
	v_mov_b32_e32 v12, 0x7f800001
	s_and_saveexec_b64 s[10:11], vcc
	s_cbranch_execz .LBB551_699
; %bb.698:
	v_and_b32_e32 v12, 7, v10
	v_ffbh_u32_e32 v16, v12
	v_min_u32_e32 v18, 32, v16
	v_subrev_u32_e32 v16, 28, v18
	v_lshlrev_b64 v[16:17], v16, v[10:11]
	v_lshrrev_b32_e32 v14, 3, v13
	v_sub_u32_e32 v10, 29, v18
	v_and_b32_e32 v16, 7, v16
	v_cmp_gt_u32_e32 vcc, 8, v13
	v_cndmask_b32_e32 v10, v14, v10, vcc
	v_cndmask_b32_e32 v12, v12, v16, vcc
	v_lshlrev_b32_e32 v13, 16, v2
	v_bfrev_b32_e32 v14, 60
	v_lshlrev_b32_e32 v12, 20, v12
	v_and_b32_e32 v13, 0x80000000, v13
	v_lshl_add_u32 v10, v10, 23, v14
	v_or3_b32 v12, v13, v10, v12
.LBB551_699:
	s_or_b64 exec, exec, s[10:11]
.LBB551_700:
	s_or_b64 exec, exec, s[8:9]
.LBB551_701:
	s_or_b64 exec, exec, s[2:3]
	s_movk_i32 s2, 0xff
	v_and_b32_sdwa v13, v2, s2 dst_sel:DWORD dst_unused:UNUSED_PAD src0_sel:WORD_1 src1_sel:DWORD
	v_lshrrev_b32_e32 v10, 16, v2
	v_cmp_ne_u16_e32 vcc, 0, v13
	s_and_saveexec_b64 s[2:3], vcc
	s_cbranch_execz .LBB551_707
; %bb.702:
	s_movk_i32 s7, 0x80
	v_cmp_ne_u16_e32 vcc, s7, v13
	v_bfrev_b32_e32 v11, 1
	s_and_saveexec_b64 s[8:9], vcc
	s_cbranch_execz .LBB551_706
; %bb.703:
	v_bfe_u32 v13, v2, 16, 7
	s_movk_i32 s7, 0x7f
	v_cmp_ne_u32_e32 vcc, s7, v13
	v_mov_b32_e32 v11, 0x7f800001
	s_and_saveexec_b64 s[10:11], vcc
	s_cbranch_execz .LBB551_705
; %bb.704:
	v_and_b32_e32 v14, 7, v10
	v_ffbh_u32_e32 v11, v14
	v_min_u32_e32 v17, 32, v11
	v_subrev_u32_e32 v11, 28, v17
	v_lshlrev_b64 v[10:11], v11, v[10:11]
	v_lshrrev_b32_e32 v16, 3, v13
	v_sub_u32_e32 v11, 29, v17
	v_and_b32_e32 v10, 7, v10
	v_cmp_gt_u32_e32 vcc, 8, v13
	v_mov_b32_e32 v13, 24
	v_cndmask_b32_e32 v11, v16, v11, vcc
	v_cndmask_b32_e32 v10, v14, v10, vcc
	v_lshlrev_b32_sdwa v13, v13, v2 dst_sel:DWORD dst_unused:UNUSED_PAD src0_sel:DWORD src1_sel:WORD_1
	v_bfrev_b32_e32 v14, 60
	v_lshlrev_b32_e32 v10, 20, v10
	v_and_b32_e32 v13, 0x80000000, v13
	v_lshl_add_u32 v11, v11, 23, v14
	v_or3_b32 v11, v13, v11, v10
.LBB551_705:
	s_or_b64 exec, exec, s[10:11]
.LBB551_706:
	s_or_b64 exec, exec, s[8:9]
.LBB551_707:
	s_or_b64 exec, exec, s[2:3]
	s_mov_b32 s2, 0xffffff
	v_cmp_lt_u32_e32 vcc, s2, v2
	v_mov_b32_e32 v13, 0
	v_mov_b32_e32 v14, 0
	s_and_saveexec_b64 s[2:3], vcc
	s_cbranch_execz .LBB551_713
; %bb.708:
	v_lshrrev_b32_e32 v10, 24, v2
	s_movk_i32 s7, 0x80
	v_cmp_ne_u32_e32 vcc, s7, v10
	v_bfrev_b32_e32 v14, 1
	s_and_saveexec_b64 s[8:9], vcc
	s_cbranch_execz .LBB551_712
; %bb.709:
	v_bfe_u32 v2, v2, 24, 7
	s_movk_i32 s7, 0x7f
	v_cmp_ne_u32_e32 vcc, s7, v2
	v_mov_b32_e32 v14, 0x7f800001
	s_and_saveexec_b64 s[10:11], vcc
	s_cbranch_execz .LBB551_711
; %bb.710:
	v_and_b32_e32 v14, 7, v10
	v_ffbh_u32_e32 v16, v14
	v_min_u32_e32 v19, 32, v16
	v_subrev_u32_e32 v16, 28, v19
	v_lshlrev_b64 v[16:17], v16, v[10:11]
	v_lshrrev_b32_e32 v18, 3, v2
	v_sub_u32_e32 v17, 29, v19
	v_and_b32_e32 v16, 7, v16
	v_cmp_gt_u32_e32 vcc, 8, v2
	v_cndmask_b32_e32 v2, v18, v17, vcc
	v_cndmask_b32_e32 v14, v14, v16, vcc
	v_lshlrev_b32_e32 v10, 24, v10
	v_bfrev_b32_e32 v16, 60
	v_lshlrev_b32_e32 v14, 20, v14
	v_and_b32_e32 v10, 0x80000000, v10
	v_lshl_add_u32 v2, v2, 23, v16
	v_or3_b32 v14, v10, v2, v14
.LBB551_711:
	s_or_b64 exec, exec, s[10:11]
.LBB551_712:
	s_or_b64 exec, exec, s[8:9]
.LBB551_713:
	s_or_b64 exec, exec, s[2:3]
	v_cmp_ne_u16_sdwa s[8:9], v3, v13 src0_sel:BYTE_0 src1_sel:DWORD
	s_and_saveexec_b64 s[2:3], s[8:9]
	s_cbranch_execz .LBB551_719
; %bb.714:
	s_movk_i32 s7, 0x80
	v_cmp_ne_u16_sdwa s[10:11], v3, s7 src0_sel:BYTE_0 src1_sel:DWORD
	v_bfrev_b32_e32 v13, 1
	s_and_saveexec_b64 s[8:9], s[10:11]
	s_cbranch_execz .LBB551_718
; %bb.715:
	s_movk_i32 s7, 0x7f
	v_and_b32_e32 v2, 0x7f, v3
	v_cmp_ne_u32_e32 vcc, s7, v2
	v_mov_b32_e32 v13, 0x7f800001
	s_and_saveexec_b64 s[10:11], vcc
	s_cbranch_execz .LBB551_717
; %bb.716:
	v_and_b32_e32 v13, 7, v3
	v_ffbh_u32_e32 v16, v13
	v_min_u32_e32 v19, 32, v16
	v_mov_b32_e32 v10, v3
	v_subrev_u32_e32 v16, 28, v19
	v_lshlrev_b64 v[16:17], v16, v[10:11]
	v_lshrrev_b32_e32 v18, 3, v2
	v_sub_u32_e32 v10, 29, v19
	v_and_b32_e32 v16, 7, v16
	v_cmp_gt_u32_e32 vcc, 8, v2
	v_cndmask_b32_e32 v2, v18, v10, vcc
	v_cndmask_b32_e32 v10, v13, v16, vcc
	v_lshlrev_b32_e32 v13, 24, v3
	v_bfrev_b32_e32 v16, 60
	v_lshlrev_b32_e32 v10, 20, v10
	v_and_b32_e32 v13, 0x80000000, v13
	v_lshl_add_u32 v2, v2, 23, v16
	v_or3_b32 v13, v13, v2, v10
.LBB551_717:
	s_or_b64 exec, exec, s[10:11]
.LBB551_718:
	s_or_b64 exec, exec, s[8:9]
.LBB551_719:
	s_or_b64 exec, exec, s[2:3]
	v_lshrrev_b16_e32 v2, 8, v3
	v_cmp_ne_u16_e32 vcc, 0, v2
	v_mov_b32_e32 v16, 0
	v_mov_b32_e32 v17, 0
	s_and_saveexec_b64 s[2:3], vcc
	s_cbranch_execz .LBB551_725
; %bb.720:
	s_movk_i32 s7, 0x80
	v_cmp_ne_u16_e32 vcc, s7, v2
	v_bfrev_b32_e32 v17, 1
	s_and_saveexec_b64 s[8:9], vcc
	s_cbranch_execz .LBB551_724
; %bb.721:
	s_movk_i32 s7, 0x7f
	v_and_b32_e32 v10, 0x7f, v2
	v_cmp_ne_u32_e32 vcc, s7, v10
	v_mov_b32_e32 v17, 0x7f800001
	s_and_saveexec_b64 s[10:11], vcc
	s_cbranch_execz .LBB551_723
; %bb.722:
	v_and_b32_e32 v17, 7, v2
	v_ffbh_u32_e32 v18, v17
	v_min_u32_e32 v21, 32, v18
	v_subrev_u32_e32 v18, 28, v21
	v_lshlrev_b64 v[18:19], v18, v[2:3]
	v_lshrrev_b32_e32 v20, 3, v10
	v_sub_u32_e32 v2, 29, v21
	v_and_b32_e32 v18, 7, v18
	v_cmp_gt_u32_e32 vcc, 8, v10
	v_cndmask_b32_e32 v2, v20, v2, vcc
	v_cndmask_b32_e32 v10, v17, v18, vcc
	v_lshlrev_b32_e32 v17, 16, v3
	v_bfrev_b32_e32 v18, 60
	v_lshlrev_b32_e32 v10, 20, v10
	v_and_b32_e32 v17, 0x80000000, v17
	v_lshl_add_u32 v2, v2, 23, v18
	v_or3_b32 v17, v17, v2, v10
.LBB551_723:
	s_or_b64 exec, exec, s[10:11]
.LBB551_724:
	s_or_b64 exec, exec, s[8:9]
.LBB551_725:
	s_or_b64 exec, exec, s[2:3]
	s_movk_i32 s2, 0xff
	v_and_b32_sdwa v10, v3, s2 dst_sel:DWORD dst_unused:UNUSED_PAD src0_sel:WORD_1 src1_sel:DWORD
	v_lshrrev_b32_e32 v2, 16, v3
	v_cmp_ne_u16_e32 vcc, 0, v10
	s_and_saveexec_b64 s[2:3], vcc
	s_cbranch_execz .LBB551_731
; %bb.726:
	s_movk_i32 s7, 0x80
	v_cmp_ne_u16_e32 vcc, s7, v10
	v_bfrev_b32_e32 v16, 1
	s_and_saveexec_b64 s[8:9], vcc
	s_cbranch_execz .LBB551_730
; %bb.727:
	v_bfe_u32 v10, v3, 16, 7
	s_movk_i32 s7, 0x7f
	v_cmp_ne_u32_e32 vcc, s7, v10
	v_mov_b32_e32 v16, 0x7f800001
	s_and_saveexec_b64 s[10:11], vcc
	s_cbranch_execz .LBB551_729
; %bb.728:
	v_and_b32_e32 v16, 7, v2
	v_ffbh_u32_e32 v18, v16
	v_min_u32_e32 v21, 32, v18
	v_subrev_u32_e32 v18, 28, v21
	v_lshlrev_b64 v[18:19], v18, v[2:3]
	v_and_b32_e32 v18, 7, v18
	v_cmp_gt_u32_e32 vcc, 8, v10
	v_lshrrev_b32_e32 v20, 3, v10
	v_sub_u32_e32 v2, 29, v21
	v_cndmask_b32_e32 v10, v16, v18, vcc
	v_mov_b32_e32 v16, 24
	v_cndmask_b32_e32 v2, v20, v2, vcc
	v_lshlrev_b32_sdwa v16, v16, v3 dst_sel:DWORD dst_unused:UNUSED_PAD src0_sel:DWORD src1_sel:WORD_1
	v_bfrev_b32_e32 v18, 60
	v_lshlrev_b32_e32 v10, 20, v10
	v_and_b32_e32 v16, 0x80000000, v16
	v_lshl_add_u32 v2, v2, 23, v18
	v_or3_b32 v16, v16, v2, v10
.LBB551_729:
	s_or_b64 exec, exec, s[10:11]
.LBB551_730:
	s_or_b64 exec, exec, s[8:9]
.LBB551_731:
	s_or_b64 exec, exec, s[2:3]
	s_mov_b32 s2, 0xffffff
	v_cmp_lt_u32_e32 vcc, s2, v3
	v_mov_b32_e32 v10, 0
	v_mov_b32_e32 v18, 0
	s_and_saveexec_b64 s[2:3], vcc
	s_cbranch_execz .LBB551_737
; %bb.732:
	v_lshrrev_b32_e32 v2, 24, v3
	s_movk_i32 s7, 0x80
	v_cmp_ne_u32_e32 vcc, s7, v2
	v_bfrev_b32_e32 v18, 1
	s_and_saveexec_b64 s[8:9], vcc
	s_cbranch_execz .LBB551_736
; %bb.733:
	v_bfe_u32 v3, v3, 24, 7
	s_movk_i32 s7, 0x7f
	v_cmp_ne_u32_e32 vcc, s7, v3
	v_mov_b32_e32 v18, 0x7f800001
	s_and_saveexec_b64 s[10:11], vcc
	s_cbranch_execz .LBB551_735
; %bb.734:
	v_and_b32_e32 v20, 7, v2
	v_ffbh_u32_e32 v18, v20
	v_min_u32_e32 v23, 32, v18
	v_subrev_u32_e32 v18, 28, v23
	v_lshlrev_b64 v[18:19], v18, v[2:3]
	v_lshrrev_b32_e32 v21, 3, v3
	v_sub_u32_e32 v19, 29, v23
	v_and_b32_e32 v18, 7, v18
	v_cmp_gt_u32_e32 vcc, 8, v3
	v_cndmask_b32_e32 v3, v21, v19, vcc
	v_cndmask_b32_e32 v18, v20, v18, vcc
	v_lshlrev_b32_e32 v2, 24, v2
	v_bfrev_b32_e32 v19, 60
	v_lshlrev_b32_e32 v18, 20, v18
	v_and_b32_e32 v2, 0x80000000, v2
	v_lshl_add_u32 v3, v3, 23, v19
	v_or3_b32 v18, v2, v3, v18
.LBB551_735:
	s_or_b64 exec, exec, s[10:11]
.LBB551_736:
	s_or_b64 exec, exec, s[8:9]
.LBB551_737:
	s_or_b64 exec, exec, s[2:3]
	v_cvt_pkrtz_f16_f32 v2, v15, v12
	v_cvt_pkrtz_f16_f32 v3, v11, v14
	ds_read_b128 v[28:31], v22 offset:6144
	v_cmp_ne_u16_sdwa s[8:9], v4, v10 src0_sel:BYTE_0 src1_sel:DWORD
	s_waitcnt lgkmcnt(0)
	v_mfma_f32_16x16x16f16 v[6:9], v[2:3], v[28:29], v[6:9]
	v_cvt_pkrtz_f16_f32 v2, v13, v17
	v_cvt_pkrtz_f16_f32 v3, v16, v18
	s_nop 1
	v_mfma_f32_16x16x16f16 v[6:9], v[2:3], v[30:31], v[6:9]
	s_and_saveexec_b64 s[2:3], s[8:9]
	s_cbranch_execz .LBB551_743
; %bb.738:
	s_movk_i32 s7, 0x80
	v_cmp_ne_u16_sdwa s[10:11], v4, s7 src0_sel:BYTE_0 src1_sel:DWORD
	v_bfrev_b32_e32 v10, 1
	s_and_saveexec_b64 s[8:9], s[10:11]
	s_cbranch_execz .LBB551_742
; %bb.739:
	s_movk_i32 s7, 0x7f
	v_and_b32_e32 v2, 0x7f, v4
	v_cmp_ne_u32_e32 vcc, s7, v2
	v_mov_b32_e32 v10, 0x7f800001
	s_and_saveexec_b64 s[10:11], vcc
	s_cbranch_execz .LBB551_741
; %bb.740:
	v_and_b32_e32 v3, 7, v4
	v_ffbh_u32_e32 v10, v3
	v_min_u32_e32 v13, 32, v10
	v_subrev_u32_e32 v10, 28, v13
	v_lshlrev_b64 v[10:11], v10, v[4:5]
	v_lshrrev_b32_e32 v12, 3, v2
	v_sub_u32_e32 v11, 29, v13
	v_and_b32_e32 v10, 7, v10
	v_cmp_gt_u32_e32 vcc, 8, v2
	v_cndmask_b32_e32 v2, v12, v11, vcc
	v_cndmask_b32_e32 v3, v3, v10, vcc
	v_lshlrev_b32_e32 v10, 24, v4
	v_bfrev_b32_e32 v11, 60
	v_lshlrev_b32_e32 v3, 20, v3
	v_and_b32_e32 v10, 0x80000000, v10
	v_lshl_add_u32 v2, v2, 23, v11
	v_or3_b32 v10, v10, v2, v3
.LBB551_741:
	s_or_b64 exec, exec, s[10:11]
.LBB551_742:
	s_or_b64 exec, exec, s[8:9]
.LBB551_743:
	s_or_b64 exec, exec, s[2:3]
	v_lshrrev_b16_e32 v2, 8, v4
	v_cmp_ne_u16_e32 vcc, 0, v2
	v_mov_b32_e32 v3, 0
	v_mov_b32_e32 v11, 0
	s_and_saveexec_b64 s[2:3], vcc
	s_cbranch_execz .LBB551_749
; %bb.744:
	s_movk_i32 s7, 0x80
	v_cmp_ne_u16_e32 vcc, s7, v2
	v_bfrev_b32_e32 v11, 1
	s_and_saveexec_b64 s[8:9], vcc
	s_cbranch_execz .LBB551_748
; %bb.745:
	s_movk_i32 s7, 0x7f
	v_and_b32_e32 v12, 0x7f, v2
	v_cmp_ne_u32_e32 vcc, s7, v12
	v_mov_b32_e32 v11, 0x7f800001
	s_and_saveexec_b64 s[10:11], vcc
	s_cbranch_execz .LBB551_747
; %bb.746:
	v_and_b32_e32 v11, 7, v2
	v_ffbh_u32_e32 v14, v11
	v_min_u32_e32 v16, 32, v14
	v_subrev_u32_e32 v14, 28, v16
	v_lshlrev_b64 v[14:15], v14, v[2:3]
	v_lshrrev_b32_e32 v13, 3, v12
	v_sub_u32_e32 v2, 29, v16
	v_and_b32_e32 v14, 7, v14
	v_cmp_gt_u32_e32 vcc, 8, v12
	v_cndmask_b32_e32 v2, v13, v2, vcc
	v_cndmask_b32_e32 v11, v11, v14, vcc
	v_lshlrev_b32_e32 v12, 16, v4
	v_bfrev_b32_e32 v13, 60
	v_lshlrev_b32_e32 v11, 20, v11
	v_and_b32_e32 v12, 0x80000000, v12
	v_lshl_add_u32 v2, v2, 23, v13
	v_or3_b32 v11, v12, v2, v11
.LBB551_747:
	s_or_b64 exec, exec, s[10:11]
.LBB551_748:
	s_or_b64 exec, exec, s[8:9]
.LBB551_749:
	s_or_b64 exec, exec, s[2:3]
	s_movk_i32 s2, 0xff
	v_and_b32_sdwa v12, v4, s2 dst_sel:DWORD dst_unused:UNUSED_PAD src0_sel:WORD_1 src1_sel:DWORD
	v_lshrrev_b32_e32 v2, 16, v4
	v_cmp_ne_u16_e32 vcc, 0, v12
	s_and_saveexec_b64 s[2:3], vcc
	s_cbranch_execz .LBB551_755
; %bb.750:
	s_movk_i32 s7, 0x80
	v_cmp_ne_u16_e32 vcc, s7, v12
	v_bfrev_b32_e32 v3, 1
	s_and_saveexec_b64 s[8:9], vcc
	s_cbranch_execz .LBB551_754
; %bb.751:
	v_bfe_u32 v12, v4, 16, 7
	s_movk_i32 s7, 0x7f
	v_cmp_ne_u32_e32 vcc, s7, v12
	v_mov_b32_e32 v3, 0x7f800001
	s_and_saveexec_b64 s[10:11], vcc
	s_cbranch_execz .LBB551_753
; %bb.752:
	v_and_b32_e32 v13, 7, v2
	v_ffbh_u32_e32 v3, v13
	v_min_u32_e32 v15, 32, v3
	v_subrev_u32_e32 v3, 28, v15
	v_lshlrev_b64 v[2:3], v3, v[2:3]
	v_lshrrev_b32_e32 v14, 3, v12
	v_sub_u32_e32 v3, 29, v15
	v_and_b32_e32 v2, 7, v2
	v_cmp_gt_u32_e32 vcc, 8, v12
	v_mov_b32_e32 v12, 24
	v_cndmask_b32_e32 v3, v14, v3, vcc
	v_cndmask_b32_e32 v2, v13, v2, vcc
	v_lshlrev_b32_sdwa v12, v12, v4 dst_sel:DWORD dst_unused:UNUSED_PAD src0_sel:DWORD src1_sel:WORD_1
	v_bfrev_b32_e32 v13, 60
	v_lshlrev_b32_e32 v2, 20, v2
	v_and_b32_e32 v12, 0x80000000, v12
	v_lshl_add_u32 v3, v3, 23, v13
	v_or3_b32 v3, v12, v3, v2
.LBB551_753:
	s_or_b64 exec, exec, s[10:11]
.LBB551_754:
	s_or_b64 exec, exec, s[8:9]
.LBB551_755:
	s_or_b64 exec, exec, s[2:3]
	s_mov_b32 s2, 0xffffff
	v_cmp_lt_u32_e32 vcc, s2, v4
	v_mov_b32_e32 v12, 0
	v_mov_b32_e32 v13, 0
	s_and_saveexec_b64 s[2:3], vcc
	s_cbranch_execz .LBB551_761
; %bb.756:
	v_lshrrev_b32_e32 v2, 24, v4
	s_movk_i32 s7, 0x80
	v_cmp_ne_u32_e32 vcc, s7, v2
	v_bfrev_b32_e32 v13, 1
	s_and_saveexec_b64 s[8:9], vcc
	s_cbranch_execz .LBB551_760
; %bb.757:
	v_bfe_u32 v4, v4, 24, 7
	s_movk_i32 s7, 0x7f
	v_cmp_ne_u32_e32 vcc, s7, v4
	v_mov_b32_e32 v13, 0x7f800001
	s_and_saveexec_b64 s[10:11], vcc
	s_cbranch_execz .LBB551_759
; %bb.758:
	v_and_b32_e32 v13, 7, v2
	v_ffbh_u32_e32 v14, v13
	v_min_u32_e32 v17, 32, v14
	v_subrev_u32_e32 v14, 28, v17
	v_lshlrev_b64 v[14:15], v14, v[2:3]
	v_lshrrev_b32_e32 v16, 3, v4
	v_sub_u32_e32 v15, 29, v17
	v_and_b32_e32 v14, 7, v14
	v_cmp_gt_u32_e32 vcc, 8, v4
	v_cndmask_b32_e32 v4, v16, v15, vcc
	v_cndmask_b32_e32 v13, v13, v14, vcc
	v_lshlrev_b32_e32 v2, 24, v2
	v_bfrev_b32_e32 v14, 60
	v_lshlrev_b32_e32 v13, 20, v13
	v_and_b32_e32 v2, 0x80000000, v2
	v_lshl_add_u32 v4, v4, 23, v14
	v_or3_b32 v13, v2, v4, v13
.LBB551_759:
	s_or_b64 exec, exec, s[10:11]
.LBB551_760:
	s_or_b64 exec, exec, s[8:9]
.LBB551_761:
	s_or_b64 exec, exec, s[2:3]
	v_cmp_ne_u16_sdwa s[8:9], v5, v12 src0_sel:BYTE_0 src1_sel:DWORD
	s_and_saveexec_b64 s[2:3], s[8:9]
	s_cbranch_execz .LBB551_767
; %bb.762:
	s_movk_i32 s7, 0x80
	v_cmp_ne_u16_sdwa s[10:11], v5, s7 src0_sel:BYTE_0 src1_sel:DWORD
	v_bfrev_b32_e32 v12, 1
	s_and_saveexec_b64 s[8:9], s[10:11]
	s_cbranch_execz .LBB551_766
; %bb.763:
	s_movk_i32 s7, 0x7f
	v_and_b32_e32 v2, 0x7f, v5
	v_cmp_ne_u32_e32 vcc, s7, v2
	v_mov_b32_e32 v12, 0x7f800001
	s_and_saveexec_b64 s[10:11], vcc
	s_cbranch_execz .LBB551_765
; %bb.764:
	v_and_b32_e32 v12, 7, v5
	v_ffbh_u32_e32 v14, v12
	v_min_u32_e32 v17, 32, v14
	v_mov_b32_e32 v4, v5
	v_subrev_u32_e32 v14, 28, v17
	v_lshlrev_b64 v[14:15], v14, v[4:5]
	v_lshrrev_b32_e32 v16, 3, v2
	v_sub_u32_e32 v4, 29, v17
	v_and_b32_e32 v14, 7, v14
	v_cmp_gt_u32_e32 vcc, 8, v2
	v_cndmask_b32_e32 v2, v16, v4, vcc
	v_cndmask_b32_e32 v4, v12, v14, vcc
	v_lshlrev_b32_e32 v12, 24, v5
	v_bfrev_b32_e32 v14, 60
	v_lshlrev_b32_e32 v4, 20, v4
	v_and_b32_e32 v12, 0x80000000, v12
	v_lshl_add_u32 v2, v2, 23, v14
	v_or3_b32 v12, v12, v2, v4
.LBB551_765:
	s_or_b64 exec, exec, s[10:11]
.LBB551_766:
	s_or_b64 exec, exec, s[8:9]
.LBB551_767:
	s_or_b64 exec, exec, s[2:3]
	v_lshrrev_b16_e32 v2, 8, v5
	v_cmp_ne_u16_e32 vcc, 0, v2
	v_mov_b32_e32 v4, 0
	v_mov_b32_e32 v14, 0
	s_and_saveexec_b64 s[2:3], vcc
	s_cbranch_execz .LBB551_773
; %bb.768:
	s_movk_i32 s7, 0x80
	v_cmp_ne_u16_e32 vcc, s7, v2
	v_bfrev_b32_e32 v14, 1
	s_and_saveexec_b64 s[8:9], vcc
	s_cbranch_execz .LBB551_772
; %bb.769:
	s_movk_i32 s7, 0x7f
	v_and_b32_e32 v15, 0x7f, v2
	v_cmp_ne_u32_e32 vcc, s7, v15
	v_mov_b32_e32 v14, 0x7f800001
	s_and_saveexec_b64 s[10:11], vcc
	s_cbranch_execz .LBB551_771
; %bb.770:
	v_and_b32_e32 v14, 7, v2
	v_ffbh_u32_e32 v16, v14
	v_min_u32_e32 v19, 32, v16
	v_subrev_u32_e32 v16, 28, v19
	v_lshlrev_b64 v[16:17], v16, v[2:3]
	v_lshrrev_b32_e32 v18, 3, v15
	v_sub_u32_e32 v2, 29, v19
	v_and_b32_e32 v16, 7, v16
	v_cmp_gt_u32_e32 vcc, 8, v15
	v_cndmask_b32_e32 v2, v18, v2, vcc
	v_cndmask_b32_e32 v14, v14, v16, vcc
	v_lshlrev_b32_e32 v15, 16, v5
	v_bfrev_b32_e32 v16, 60
	v_lshlrev_b32_e32 v14, 20, v14
	v_and_b32_e32 v15, 0x80000000, v15
	v_lshl_add_u32 v2, v2, 23, v16
	v_or3_b32 v14, v15, v2, v14
.LBB551_771:
	s_or_b64 exec, exec, s[10:11]
.LBB551_772:
	s_or_b64 exec, exec, s[8:9]
.LBB551_773:
	s_or_b64 exec, exec, s[2:3]
	s_movk_i32 s2, 0xff
	v_and_b32_sdwa v15, v5, s2 dst_sel:DWORD dst_unused:UNUSED_PAD src0_sel:WORD_1 src1_sel:DWORD
	v_lshrrev_b32_e32 v2, 16, v5
	v_cmp_ne_u16_e32 vcc, 0, v15
	s_and_saveexec_b64 s[2:3], vcc
	s_cbranch_execz .LBB551_779
; %bb.774:
	s_movk_i32 s7, 0x80
	v_cmp_ne_u16_e32 vcc, s7, v15
	v_bfrev_b32_e32 v4, 1
	s_and_saveexec_b64 s[8:9], vcc
	s_cbranch_execz .LBB551_778
; %bb.775:
	v_bfe_u32 v15, v5, 16, 7
	s_movk_i32 s7, 0x7f
	v_cmp_ne_u32_e32 vcc, s7, v15
	v_mov_b32_e32 v4, 0x7f800001
	s_and_saveexec_b64 s[10:11], vcc
	s_cbranch_execz .LBB551_777
; %bb.776:
	v_and_b32_e32 v4, 7, v2
	v_ffbh_u32_e32 v16, v4
	v_min_u32_e32 v19, 32, v16
	v_subrev_u32_e32 v16, 28, v19
	v_lshlrev_b64 v[16:17], v16, v[2:3]
	v_lshrrev_b32_e32 v18, 3, v15
	v_sub_u32_e32 v2, 29, v19
	v_and_b32_e32 v16, 7, v16
	v_cmp_gt_u32_e32 vcc, 8, v15
	v_mov_b32_e32 v15, 24
	v_cndmask_b32_e32 v2, v18, v2, vcc
	v_cndmask_b32_e32 v4, v4, v16, vcc
	v_lshlrev_b32_sdwa v15, v15, v5 dst_sel:DWORD dst_unused:UNUSED_PAD src0_sel:DWORD src1_sel:WORD_1
	v_bfrev_b32_e32 v16, 60
	v_lshlrev_b32_e32 v4, 20, v4
	v_and_b32_e32 v15, 0x80000000, v15
	v_lshl_add_u32 v2, v2, 23, v16
	v_or3_b32 v4, v15, v2, v4
.LBB551_777:
	s_or_b64 exec, exec, s[10:11]
.LBB551_778:
	s_or_b64 exec, exec, s[8:9]
.LBB551_779:
	s_or_b64 exec, exec, s[2:3]
	s_mov_b32 s2, 0xffffff
	v_cmp_lt_u32_e32 vcc, s2, v5
	v_mov_b32_e32 v15, 0
	s_and_saveexec_b64 s[2:3], vcc
	s_cbranch_execz .LBB551_785
; %bb.780:
	v_lshrrev_b32_e32 v2, 24, v5
	s_movk_i32 s7, 0x80
	v_cmp_ne_u32_e32 vcc, s7, v2
	v_bfrev_b32_e32 v15, 1
	s_and_saveexec_b64 s[8:9], vcc
	s_cbranch_execz .LBB551_784
; %bb.781:
	v_bfe_u32 v5, v5, 24, 7
	s_movk_i32 s7, 0x7f
	v_cmp_ne_u32_e32 vcc, s7, v5
	v_mov_b32_e32 v15, 0x7f800001
	s_and_saveexec_b64 s[10:11], vcc
	s_cbranch_execz .LBB551_783
; %bb.782:
	v_and_b32_e32 v15, 7, v2
	v_ffbh_u32_e32 v16, v15
	v_min_u32_e32 v19, 32, v16
	v_subrev_u32_e32 v16, 28, v19
	v_lshlrev_b64 v[16:17], v16, v[2:3]
	v_lshrrev_b32_e32 v18, 3, v5
	v_sub_u32_e32 v17, 29, v19
	v_and_b32_e32 v16, 7, v16
	v_cmp_gt_u32_e32 vcc, 8, v5
	v_cndmask_b32_e32 v5, v18, v17, vcc
	v_cndmask_b32_e32 v15, v15, v16, vcc
	v_lshlrev_b32_e32 v2, 24, v2
	v_bfrev_b32_e32 v16, 60
	v_lshlrev_b32_e32 v15, 20, v15
	v_and_b32_e32 v2, 0x80000000, v2
	v_lshl_add_u32 v5, v5, 23, v16
	v_or3_b32 v15, v2, v5, v15
.LBB551_783:
	s_or_b64 exec, exec, s[10:11]
.LBB551_784:
	s_or_b64 exec, exec, s[8:9]
.LBB551_785:
	s_or_b64 exec, exec, s[2:3]
	v_cvt_pkrtz_f16_f32 v2, v10, v11
	v_cvt_pkrtz_f16_f32 v3, v3, v13
	ds_read_b128 v[16:19], v22 offset:6160
	s_load_dword s2, s[42:43], 0x0
	v_cmp_gt_u32_e32 vcc, 64, v0
	s_waitcnt lgkmcnt(0)
	v_mfma_f32_16x16x16f16 v[6:9], v[2:3], v[16:17], v[6:9]
	v_cvt_pkrtz_f16_f32 v2, v12, v14
	v_cvt_pkrtz_f16_f32 v3, v4, v15
	s_and_b64 s[0:1], vcc, s[0:1]
	s_barrier
	v_mfma_f32_16x16x16f16 v[2:5], v[2:3], v[18:19], v[6:9]
	s_nop 7
	s_nop 2
	v_pk_mul_f32 v[4:5], v[4:5], s[2:3] op_sel_hi:[1,0]
	v_pk_mul_f32 v[2:3], v[2:3], s[2:3] op_sel_hi:[1,0]
	v_cvt_f16_f32_e32 v2, v2
	v_cvt_f16_f32_e32 v3, v3
	;; [unrolled: 1-line block ×4, first 2 shown]
	v_pack_b32_f16 v2, v2, v3
	v_pack_b32_f16 v3, v4, v5
	ds_write_b64 v26, v[2:3]
	s_waitcnt lgkmcnt(0)
	s_barrier
	s_and_saveexec_b64 s[2:3], s[0:1]
	s_cbranch_execz .LBB551_788
; %bb.786:
	s_load_dwordx2 s[2:3], s[4:5], 0x68
	s_lshl_b32 s0, s44, 6
	s_mul_i32 s1, s12, s6
	s_mul_hi_u32 s7, s1, s0
	s_mul_i32 s6, s1, s0
	s_lshl_b64 s[6:7], s[6:7], 1
	s_waitcnt lgkmcnt(0)
	s_add_u32 s1, s2, s6
	v_lshlrev_b32_e32 v0, 10, v0
	s_mov_b32 s5, 0
	s_addc_u32 s6, s3, s7
	s_lshl_b32 s4, s24, 6
	v_and_b32_e32 v0, 0x1800, v0
	v_lshlrev_b32_e32 v2, 5, v1
	v_and_b32_e32 v3, 16, v47
	s_lshl_b64 s[2:3], s[4:5], 1
	v_or3_b32 v0, v0, v2, v3
	s_add_u32 s1, s1, s2
	v_or_b32_e32 v2, 8, v1
	s_addc_u32 s2, s6, s3
	ds_read_b128 v[6:9], v0 offset:128
	ds_read_b128 v[10:13], v0
	v_add_u32_e32 v1, s25, v1
	v_mov_b32_e32 v4, s2
	v_add_co_u32_e32 v3, vcc, s1, v46
	v_mad_u64_u32 v[14:15], s[2:3], v1, s0, 0
	v_addc_co_u32_e32 v4, vcc, 0, v4, vcc
	v_lshlrev_b64 v[14:15], 1, v[14:15]
	v_add_co_u32_e32 v14, vcc, v3, v14
	v_addc_co_u32_e32 v15, vcc, v4, v15, vcc
	v_add_u32_e32 v1, 4, v1
	s_waitcnt lgkmcnt(0)
	global_store_dwordx4 v[14:15], v[10:13], off
	s_nop 0
	v_mad_u64_u32 v[10:11], s[2:3], v1, s0, 0
	v_lshlrev_b64 v[10:11], 1, v[10:11]
	v_add_co_u32_e32 v10, vcc, v3, v10
	v_addc_co_u32_e32 v11, vcc, v4, v11, vcc
	v_cmp_gt_u32_e32 vcc, 10, v2
	global_store_dwordx4 v[10:11], v[6:9], off
	s_and_b64 exec, exec, vcc
	s_cbranch_execz .LBB551_788
; %bb.787:
	ds_read_b128 v[6:9], v0 offset:256
	v_add_u32_e32 v0, s25, v2
	v_mad_u64_u32 v[0:1], s[0:1], v0, s0, 0
	v_lshlrev_b64 v[0:1], 1, v[0:1]
	v_add_co_u32_e32 v0, vcc, v3, v0
	v_addc_co_u32_e32 v1, vcc, v4, v1, vcc
	s_waitcnt lgkmcnt(0)
	global_store_dwordx4 v[0:1], v[6:9], off
.LBB551_788:
	s_endpgm
	.section	.rodata,"a",@progbits
	.p2align	6, 0x0
	.amdhsa_kernel _Z39paged_attention_ll4mi_QKV_mfma16_kernelIDF16_hLN4vllm18Fp8KVCacheDataTypeE1EDF16_Li16ELi64ELi256ELb1ELi10EL8MFMAType0EEvPKT_PKT0_S8_ifPKiSA_SA_iPKfiiiPfSD_PS3_PT2_iSC_SC_
		.amdhsa_group_segment_fixed_size 8192
		.amdhsa_private_segment_fixed_size 0
		.amdhsa_kernarg_size 400
		.amdhsa_user_sgpr_count 6
		.amdhsa_user_sgpr_private_segment_buffer 1
		.amdhsa_user_sgpr_dispatch_ptr 0
		.amdhsa_user_sgpr_queue_ptr 0
		.amdhsa_user_sgpr_kernarg_segment_ptr 1
		.amdhsa_user_sgpr_dispatch_id 0
		.amdhsa_user_sgpr_flat_scratch_init 0
		.amdhsa_user_sgpr_kernarg_preload_length 0
		.amdhsa_user_sgpr_kernarg_preload_offset 0
		.amdhsa_user_sgpr_private_segment_size 0
		.amdhsa_uses_dynamic_stack 0
		.amdhsa_system_sgpr_private_segment_wavefront_offset 0
		.amdhsa_system_sgpr_workgroup_id_x 1
		.amdhsa_system_sgpr_workgroup_id_y 1
		.amdhsa_system_sgpr_workgroup_id_z 1
		.amdhsa_system_sgpr_workgroup_info 0
		.amdhsa_system_vgpr_workitem_id 0
		.amdhsa_next_free_vgpr 62
		.amdhsa_next_free_sgpr 47
		.amdhsa_accum_offset 64
		.amdhsa_reserve_vcc 1
		.amdhsa_reserve_flat_scratch 0
		.amdhsa_float_round_mode_32 0
		.amdhsa_float_round_mode_16_64 0
		.amdhsa_float_denorm_mode_32 3
		.amdhsa_float_denorm_mode_16_64 3
		.amdhsa_dx10_clamp 1
		.amdhsa_ieee_mode 1
		.amdhsa_fp16_overflow 0
		.amdhsa_tg_split 0
		.amdhsa_exception_fp_ieee_invalid_op 0
		.amdhsa_exception_fp_denorm_src 0
		.amdhsa_exception_fp_ieee_div_zero 0
		.amdhsa_exception_fp_ieee_overflow 0
		.amdhsa_exception_fp_ieee_underflow 0
		.amdhsa_exception_fp_ieee_inexact 0
		.amdhsa_exception_int_div_zero 0
	.end_amdhsa_kernel
	.section	.text._Z39paged_attention_ll4mi_QKV_mfma16_kernelIDF16_hLN4vllm18Fp8KVCacheDataTypeE1EDF16_Li16ELi64ELi256ELb1ELi10EL8MFMAType0EEvPKT_PKT0_S8_ifPKiSA_SA_iPKfiiiPfSD_PS3_PT2_iSC_SC_,"axG",@progbits,_Z39paged_attention_ll4mi_QKV_mfma16_kernelIDF16_hLN4vllm18Fp8KVCacheDataTypeE1EDF16_Li16ELi64ELi256ELb1ELi10EL8MFMAType0EEvPKT_PKT0_S8_ifPKiSA_SA_iPKfiiiPfSD_PS3_PT2_iSC_SC_,comdat
.Lfunc_end551:
	.size	_Z39paged_attention_ll4mi_QKV_mfma16_kernelIDF16_hLN4vllm18Fp8KVCacheDataTypeE1EDF16_Li16ELi64ELi256ELb1ELi10EL8MFMAType0EEvPKT_PKT0_S8_ifPKiSA_SA_iPKfiiiPfSD_PS3_PT2_iSC_SC_, .Lfunc_end551-_Z39paged_attention_ll4mi_QKV_mfma16_kernelIDF16_hLN4vllm18Fp8KVCacheDataTypeE1EDF16_Li16ELi64ELi256ELb1ELi10EL8MFMAType0EEvPKT_PKT0_S8_ifPKiSA_SA_iPKfiiiPfSD_PS3_PT2_iSC_SC_
                                        ; -- End function
	.section	.AMDGPU.csdata,"",@progbits
; Kernel info:
; codeLenInByte = 27284
; NumSgprs: 51
; NumVgprs: 62
; NumAgprs: 0
; TotalNumVgprs: 62
; ScratchSize: 0
; MemoryBound: 0
; FloatMode: 240
; IeeeMode: 1
; LDSByteSize: 8192 bytes/workgroup (compile time only)
; SGPRBlocks: 6
; VGPRBlocks: 7
; NumSGPRsForWavesPerEU: 51
; NumVGPRsForWavesPerEU: 62
; AccumOffset: 64
; Occupancy: 8
; WaveLimiterHint : 1
; COMPUTE_PGM_RSRC2:SCRATCH_EN: 0
; COMPUTE_PGM_RSRC2:USER_SGPR: 6
; COMPUTE_PGM_RSRC2:TRAP_HANDLER: 0
; COMPUTE_PGM_RSRC2:TGID_X_EN: 1
; COMPUTE_PGM_RSRC2:TGID_Y_EN: 1
; COMPUTE_PGM_RSRC2:TGID_Z_EN: 1
; COMPUTE_PGM_RSRC2:TIDIG_COMP_CNT: 0
; COMPUTE_PGM_RSRC3_GFX90A:ACCUM_OFFSET: 15
; COMPUTE_PGM_RSRC3_GFX90A:TG_SPLIT: 0
	.section	.text._Z39paged_attention_ll4mi_QKV_mfma16_kernelIDF16_hLN4vllm18Fp8KVCacheDataTypeE1EDF16_Li16ELi64ELi256ELb1ELi11EL8MFMAType0EEvPKT_PKT0_S8_ifPKiSA_SA_iPKfiiiPfSD_PS3_PT2_iSC_SC_,"axG",@progbits,_Z39paged_attention_ll4mi_QKV_mfma16_kernelIDF16_hLN4vllm18Fp8KVCacheDataTypeE1EDF16_Li16ELi64ELi256ELb1ELi11EL8MFMAType0EEvPKT_PKT0_S8_ifPKiSA_SA_iPKfiiiPfSD_PS3_PT2_iSC_SC_,comdat
	.protected	_Z39paged_attention_ll4mi_QKV_mfma16_kernelIDF16_hLN4vllm18Fp8KVCacheDataTypeE1EDF16_Li16ELi64ELi256ELb1ELi11EL8MFMAType0EEvPKT_PKT0_S8_ifPKiSA_SA_iPKfiiiPfSD_PS3_PT2_iSC_SC_ ; -- Begin function _Z39paged_attention_ll4mi_QKV_mfma16_kernelIDF16_hLN4vllm18Fp8KVCacheDataTypeE1EDF16_Li16ELi64ELi256ELb1ELi11EL8MFMAType0EEvPKT_PKT0_S8_ifPKiSA_SA_iPKfiiiPfSD_PS3_PT2_iSC_SC_
	.globl	_Z39paged_attention_ll4mi_QKV_mfma16_kernelIDF16_hLN4vllm18Fp8KVCacheDataTypeE1EDF16_Li16ELi64ELi256ELb1ELi11EL8MFMAType0EEvPKT_PKT0_S8_ifPKiSA_SA_iPKfiiiPfSD_PS3_PT2_iSC_SC_
	.p2align	8
	.type	_Z39paged_attention_ll4mi_QKV_mfma16_kernelIDF16_hLN4vllm18Fp8KVCacheDataTypeE1EDF16_Li16ELi64ELi256ELb1ELi11EL8MFMAType0EEvPKT_PKT0_S8_ifPKiSA_SA_iPKfiiiPfSD_PS3_PT2_iSC_SC_,@function
_Z39paged_attention_ll4mi_QKV_mfma16_kernelIDF16_hLN4vllm18Fp8KVCacheDataTypeE1EDF16_Li16ELi64ELi256ELb1ELi11EL8MFMAType0EEvPKT_PKT0_S8_ifPKiSA_SA_iPKfiiiPfSD_PS3_PT2_iSC_SC_: ; @_Z39paged_attention_ll4mi_QKV_mfma16_kernelIDF16_hLN4vllm18Fp8KVCacheDataTypeE1EDF16_Li16ELi64ELi256ELb1ELi11EL8MFMAType0EEvPKT_PKT0_S8_ifPKiSA_SA_iPKfiiiPfSD_PS3_PT2_iSC_SC_
; %bb.0:
	s_load_dwordx2 s[0:1], s[4:5], 0x30
	s_mov_b32 s24, s7
	s_mov_b64 s[10:11], 0
	s_waitcnt lgkmcnt(0)
	s_cmp_lg_u64 s[0:1], 0
	s_cselect_b64 s[2:3], -1, 0
	s_and_b64 vcc, exec, s[2:3]
	s_cbranch_vccz .LBB552_7
; %bb.1:
	s_add_i32 s12, s6, 1
	s_mov_b32 s13, 0
	s_lshl_b64 s[14:15], s[12:13], 2
	s_add_u32 s14, s0, s14
	s_mov_b32 s7, s13
	s_addc_u32 s15, s1, s15
	s_lshl_b64 s[12:13], s[6:7], 2
	s_add_u32 s12, s0, s12
	s_addc_u32 s13, s1, s13
	s_load_dword s9, s[14:15], 0x0
	s_load_dword s16, s[12:13], 0x0
	s_waitcnt lgkmcnt(0)
	s_sub_i32 s9, s9, s16
	s_cmp_eq_u32 s9, 1
	s_cselect_b64 s[12:13], -1, 0
	s_andn2_b64 vcc, exec, s[10:11]
	s_cbranch_vccnz .LBB552_3
.LBB552_2:
	s_mov_b32 s7, 0
	s_mov_b64 s[12:13], -1
.LBB552_3:
	s_andn2_b64 vcc, exec, s[12:13]
	s_cbranch_vccnz .LBB552_788
; %bb.4:
	s_load_dwordx2 s[12:13], s[4:5], 0x28
	s_lshl_b64 s[10:11], s[6:7], 2
	s_waitcnt lgkmcnt(0)
	s_add_u32 s12, s12, s10
	s_addc_u32 s13, s13, s11
	s_load_dword s33, s[12:13], 0x0
	s_lshl_b32 s18, s24, 8
	s_waitcnt lgkmcnt(0)
	s_cmp_ge_i32 s18, s33
	s_cbranch_scc1 .LBB552_788
; %bb.5:
	s_add_i32 s14, s33, 15
	s_load_dwordx2 s[12:13], s[4:5], 0x20
	s_load_dword s9, s[4:5], 0x38
	s_ashr_i32 s15, s14, 31
	v_and_b32_e32 v1, 0xcf, v0
	s_lshr_b32 s15, s15, 28
	v_add_u32_e32 v1, s18, v1
	s_add_i32 s14, s14, s15
	v_ashrrev_i32_e32 v2, 31, v1
	s_ashr_i32 s21, s14, 4
	v_lshrrev_b32_e32 v4, 28, v2
	s_add_i32 s21, s21, -1
	v_add_u32_e32 v2, v1, v4
	s_waitcnt lgkmcnt(0)
	s_mul_i32 s14, s6, s9
	s_mov_b32 s15, 0
	v_ashrrev_i32_e32 v2, 4, v2
	v_mov_b32_e32 v5, s21
	v_cmp_gt_i32_e32 vcc, s33, v1
	s_lshl_b64 s[14:15], s[14:15], 2
	v_cndmask_b32_e32 v2, v5, v2, vcc
	s_add_u32 s19, s12, s14
	v_ashrrev_i32_e32 v3, 31, v2
	s_addc_u32 s20, s13, s15
	v_lshlrev_b64 v[2:3], 2, v[2:3]
	v_mov_b32_e32 v7, s20
	v_add_co_u32_e32 v6, vcc, s19, v2
	v_or_b32_e32 v2, 16, v1
	v_addc_co_u32_e32 v7, vcc, v7, v3, vcc
	v_add_u32_e32 v3, v2, v4
	v_ashrrev_i32_e32 v3, 4, v3
	v_cmp_gt_i32_e32 vcc, s33, v2
	v_cndmask_b32_e32 v2, v5, v3, vcc
	v_ashrrev_i32_e32 v3, 31, v2
	v_lshlrev_b64 v[2:3], 2, v[2:3]
	v_mov_b32_e32 v9, s20
	v_add_co_u32_e32 v8, vcc, s19, v2
	v_or_b32_e32 v2, 32, v1
	v_addc_co_u32_e32 v9, vcc, v9, v3, vcc
	v_add_u32_e32 v3, v2, v4
	v_ashrrev_i32_e32 v3, 4, v3
	v_cmp_gt_i32_e32 vcc, s33, v2
	v_cndmask_b32_e32 v2, v5, v3, vcc
	v_ashrrev_i32_e32 v3, 31, v2
	v_lshlrev_b64 v[2:3], 2, v[2:3]
	v_mov_b32_e32 v11, s20
	v_add_co_u32_e32 v10, vcc, s19, v2
	v_or_b32_e32 v1, 48, v1
	v_addc_co_u32_e32 v11, vcc, v11, v3, vcc
	v_add_u32_e32 v2, v1, v4
	v_ashrrev_i32_e32 v2, 4, v2
	v_cmp_gt_i32_e32 vcc, s33, v1
	v_cndmask_b32_e32 v2, v5, v2, vcc
	v_ashrrev_i32_e32 v3, 31, v2
	v_lshlrev_b64 v[2:3], 2, v[2:3]
	v_mov_b32_e32 v1, s20
	v_add_co_u32_e32 v12, vcc, s19, v2
	v_addc_co_u32_e32 v13, vcc, v1, v3, vcc
	global_load_dword v5, v[6:7], off
	global_load_dword v4, v[8:9], off
	;; [unrolled: 1-line block ×4, first 2 shown]
	s_load_dwordx2 s[16:17], s[4:5], 0x8
	s_andn2_b64 vcc, exec, s[2:3]
	s_cbranch_vccnz .LBB552_8
; %bb.6:
	s_add_u32 s0, s0, s10
	s_addc_u32 s1, s1, s11
	s_load_dword s9, s[0:1], 0x0
	s_branch .LBB552_9
.LBB552_7:
	s_mov_b64 s[12:13], 0
	s_branch .LBB552_2
.LBB552_8:
	s_mov_b32 s9, s6
.LBB552_9:
	s_load_dwordx2 s[2:3], s[4:5], 0x10
	s_load_dwordx4 s[12:15], s[4:5], 0x48
	v_lshrrev_b32_e32 v49, 6, v0
	v_bfe_u32 v1, v0, 4, 2
	v_lshl_or_b32 v6, v49, 2, v1
	v_and_b32_e32 v48, 15, v0
	v_lshlrev_b32_e32 v7, 3, v48
	v_cmp_gt_u32_e32 vcc, 11, v6
	v_cmp_gt_u32_e64 s[0:1], 8, v48
	s_mul_i32 s25, s8, 11
	s_and_b64 s[22:23], s[0:1], vcc
	v_lshlrev_b32_e32 v46, 1, v7
	v_lshlrev_b32_e32 v47, 4, v0
	s_and_saveexec_b64 s[10:11], s[22:23]
	s_cbranch_execz .LBB552_11
; %bb.10:
	s_load_dwordx2 s[22:23], s[4:5], 0x0
	s_waitcnt lgkmcnt(0)
	s_ashr_i32 s15, s12, 31
	s_mul_hi_u32 s26, s9, s12
	s_mul_i32 s15, s9, s15
	s_add_i32 s27, s26, s15
	s_mul_i32 s26, s9, s12
	s_lshl_b64 s[26:27], s[26:27], 1
	v_add_lshl_u32 v8, v6, s25, 6
	s_add_u32 s9, s22, s26
	v_ashrrev_i32_e32 v9, 31, v8
	s_addc_u32 s12, s23, s27
	v_lshlrev_b64 v[8:9], 1, v[8:9]
	v_mov_b32_e32 v7, s12
	v_add_co_u32_e32 v8, vcc, s9, v8
	v_addc_co_u32_e32 v7, vcc, v7, v9, vcc
	v_add_co_u32_e32 v8, vcc, v8, v46
	v_addc_co_u32_e32 v9, vcc, 0, v7, vcc
	global_load_dwordx4 v[8:11], v[8:9], off
	v_lshlrev_b32_e32 v12, 8, v48
	v_lshlrev_b32_e32 v6, 5, v6
	v_and_b32_e32 v7, 16, v47
	v_and_b32_e32 v12, 0xe00, v12
	v_or3_b32 v6, v12, v6, v7
	s_waitcnt vmcnt(0)
	ds_write_b128 v6, v[8:11]
.LBB552_11:
	s_or_b64 exec, exec, s[10:11]
	s_waitcnt lgkmcnt(0)
	s_mul_i32 s10, s8, s14
	s_add_u32 s8, s16, s10
	s_addc_u32 s9, s17, 0
	v_and_b32_e32 v7, 0xf0, v47
	v_and_b32_e32 v6, 48, v0
	v_mov_b32_e32 v8, s9
	v_add_co_u32_e32 v7, vcc, s8, v7
	v_addc_co_u32_e32 v9, vcc, 0, v8, vcc
	v_lshlrev_b32_e32 v8, 4, v6
	v_add_co_u32_e32 v8, vcc, v7, v8
	v_addc_co_u32_e32 v9, vcc, 0, v9, vcc
	s_waitcnt vmcnt(3)
	v_mad_i64_i32 v[10:11], s[8:9], v5, s13, v[8:9]
	s_waitcnt vmcnt(2)
	v_mad_i64_i32 v[4:5], s[8:9], v4, s13, v[8:9]
	s_barrier
	global_load_dwordx4 v[34:37], v[10:11], off
	global_load_dwordx4 v[38:41], v[4:5], off
	s_waitcnt vmcnt(3)
	v_mad_i64_i32 v[4:5], s[8:9], v2, s13, v[8:9]
	s_waitcnt vmcnt(2)
	v_mad_i64_i32 v[2:3], s[8:9], v3, s13, v[8:9]
	global_load_dwordx4 v[30:33], v[4:5], off
	global_load_dwordx4 v[22:25], v[2:3], off
	v_add_u32_e32 v2, -11, v48
	v_cmp_gt_u32_e32 vcc, 11, v48
	v_cndmask_b32_e32 v2, v2, v48, vcc
	v_lshlrev_b32_e32 v2, 5, v2
	v_lshl_add_u32 v2, v1, 9, v2
	ds_read_b128 v[26:29], v2
	ds_read_b128 v[18:21], v2 offset:16
	v_mov_b32_e32 v43, 0
	v_mov_b32_e32 v50, 0
	s_and_saveexec_b64 s[8:9], vcc
	s_cbranch_execz .LBB552_13
; %bb.12:
	s_load_dwordx2 s[14:15], s[4:5], 0x40
	v_add_u32_e32 v2, s25, v48
	v_ashrrev_i32_e32 v3, 31, v2
	v_lshlrev_b64 v[2:3], 2, v[2:3]
	s_waitcnt lgkmcnt(0)
	v_mov_b32_e32 v4, s15
	v_add_co_u32_e32 v2, vcc, s14, v2
	v_addc_co_u32_e32 v3, vcc, v4, v3, vcc
	global_load_dword v50, v[2:3], off
.LBB552_13:
	s_or_b64 exec, exec, s[8:9]
	v_or_b32_e32 v8, s18, v6
	v_ashrrev_i32_e32 v2, 4, v8
	v_mov_b32_e32 v9, s21
	v_cmp_gt_i32_e32 vcc, s33, v8
	v_cndmask_b32_e32 v2, v9, v2, vcc
	v_ashrrev_i32_e32 v3, 31, v2
	v_lshlrev_b64 v[2:3], 2, v[2:3]
	v_mov_b32_e32 v4, s20
	v_add_co_u32_e32 v2, vcc, s19, v2
	v_addc_co_u32_e32 v3, vcc, v4, v3, vcc
	v_or_b32_e32 v4, 64, v8
	v_ashrrev_i32_e32 v5, 4, v4
	v_cmp_gt_i32_e32 vcc, s33, v4
	v_cndmask_b32_e32 v4, v9, v5, vcc
	v_ashrrev_i32_e32 v5, 31, v4
	v_lshlrev_b64 v[4:5], 2, v[4:5]
	v_mov_b32_e32 v6, s20
	v_add_co_u32_e32 v4, vcc, s19, v4
	v_addc_co_u32_e32 v5, vcc, v6, v5, vcc
	v_or_b32_e32 v6, 0x80, v8
	v_ashrrev_i32_e32 v7, 4, v6
	v_cmp_gt_i32_e32 vcc, s33, v6
	v_cndmask_b32_e32 v6, v9, v7, vcc
	v_ashrrev_i32_e32 v7, 31, v6
	v_lshlrev_b64 v[6:7], 2, v[6:7]
	v_mov_b32_e32 v10, s20
	v_add_co_u32_e32 v6, vcc, s19, v6
	v_addc_co_u32_e32 v7, vcc, v10, v7, vcc
	global_load_dword v10, v[2:3], off
	global_load_dword v11, v[4:5], off
	;; [unrolled: 1-line block ×3, first 2 shown]
	v_or_b32_e32 v2, 0xc0, v8
	v_ashrrev_i32_e32 v3, 4, v2
	v_cmp_gt_i32_e32 vcc, s33, v2
	v_cndmask_b32_e32 v2, v9, v3, vcc
	v_ashrrev_i32_e32 v3, 31, v2
	v_lshlrev_b64 v[2:3], 2, v[2:3]
	v_mov_b32_e32 v4, s20
	v_add_co_u32_e32 v2, vcc, s19, v2
	v_addc_co_u32_e32 v3, vcc, v4, v3, vcc
	global_load_dword v13, v[2:3], off
	s_add_u32 s2, s2, s10
	v_lshlrev_b32_e32 v2, 4, v48
	s_addc_u32 s3, s3, 0
	v_lshl_or_b32 v2, v49, 8, v2
	v_mov_b32_e32 v3, s3
	v_add_co_u32_e32 v2, vcc, s2, v2
	v_addc_co_u32_e32 v3, vcc, 0, v3, vcc
	s_movk_i32 s8, 0x80
	s_waitcnt vmcnt(7)
	v_cmp_ne_u16_sdwa s[10:11], v34, v43 src0_sel:BYTE_0 src1_sel:DWORD
	s_waitcnt vmcnt(3)
	v_mad_i64_i32 v[4:5], s[2:3], v10, s13, v[2:3]
	s_waitcnt vmcnt(2)
	v_mad_i64_i32 v[6:7], s[2:3], v11, s13, v[2:3]
	;; [unrolled: 2-line block ×4, first 2 shown]
	global_load_dwordx4 v[14:17], v[4:5], off
	global_load_dwordx4 v[10:13], v[6:7], off
                                        ; kill: killed $vgpr6_vgpr7
                                        ; kill: killed $vgpr4_vgpr5
	s_nop 0
	global_load_dwordx4 v[6:9], v[8:9], off
	s_nop 0
	global_load_dwordx4 v[2:5], v[2:3], off
	s_load_dwordx4 s[40:43], s[4:5], 0x80
	s_load_dwordx2 s[44:45], s[4:5], 0x94
                                        ; kill: killed $sgpr40_sgpr41
	s_waitcnt lgkmcnt(0)
	s_load_dword s12, s[40:41], 0x0
	s_and_saveexec_b64 s[2:3], s[10:11]
	s_cbranch_execz .LBB552_19
; %bb.14:
	v_cmp_ne_u16_sdwa s[10:11], v34, s8 src0_sel:BYTE_0 src1_sel:DWORD
	v_bfrev_b32_e32 v43, 1
	s_and_saveexec_b64 s[8:9], s[10:11]
	s_cbranch_execz .LBB552_18
; %bb.15:
	s_movk_i32 s10, 0x7f
	v_and_b32_e32 v42, 0x7f, v34
	v_cmp_ne_u32_e32 vcc, s10, v42
	v_mov_b32_e32 v43, 0x7f800001
	s_and_saveexec_b64 s[10:11], vcc
	s_cbranch_execz .LBB552_17
; %bb.16:
	v_and_b32_e32 v43, 7, v34
	v_ffbh_u32_e32 v44, v43
	v_min_u32_e32 v52, 32, v44
	v_subrev_u32_e32 v44, 28, v52
	v_lshlrev_b64 v[44:45], v44, v[34:35]
	v_lshrrev_b32_e32 v51, 3, v42
	v_sub_u32_e32 v45, 29, v52
	v_and_b32_e32 v44, 7, v44
	v_cmp_gt_u32_e32 vcc, 8, v42
	v_cndmask_b32_e32 v42, v51, v45, vcc
	v_cndmask_b32_e32 v43, v43, v44, vcc
	v_lshlrev_b32_e32 v44, 24, v34
	v_bfrev_b32_e32 v45, 60
	v_lshlrev_b32_e32 v43, 20, v43
	v_and_b32_e32 v44, 0x80000000, v44
	v_lshl_add_u32 v42, v42, 23, v45
	v_or3_b32 v43, v44, v42, v43
.LBB552_17:
	s_or_b64 exec, exec, s[10:11]
.LBB552_18:
	s_or_b64 exec, exec, s[8:9]
.LBB552_19:
	s_or_b64 exec, exec, s[2:3]
	v_lshrrev_b16_e32 v42, 8, v34
	v_cmp_ne_u16_e32 vcc, 0, v42
	v_mov_b32_e32 v44, 0
	v_mov_b32_e32 v45, 0
	s_and_saveexec_b64 s[2:3], vcc
	s_cbranch_execz .LBB552_25
; %bb.20:
	s_movk_i32 s8, 0x80
	v_cmp_ne_u16_sdwa s[10:11], v34, s8 src0_sel:BYTE_1 src1_sel:DWORD
	v_bfrev_b32_e32 v45, 1
	s_and_saveexec_b64 s[8:9], s[10:11]
	s_cbranch_execz .LBB552_24
; %bb.21:
	s_movk_i32 s10, 0x7f
	v_and_b32_e32 v51, 0x7f, v42
	v_cmp_ne_u32_e32 vcc, s10, v51
	v_mov_b32_e32 v45, 0x7f800001
	s_and_saveexec_b64 s[10:11], vcc
	s_cbranch_execz .LBB552_23
; %bb.22:
	v_and_b32_e32 v45, 7, v42
	v_ffbh_u32_e32 v52, v45
	v_min_u32_e32 v55, 32, v52
	v_subrev_u32_e32 v52, 28, v55
	v_lshlrev_b64 v[52:53], v52, v[42:43]
	v_lshrrev_b32_e32 v54, 3, v51
	v_sub_u32_e32 v42, 29, v55
	v_and_b32_e32 v52, 7, v52
	v_cmp_gt_u32_e32 vcc, 8, v51
	v_cndmask_b32_e32 v42, v54, v42, vcc
	v_cndmask_b32_e32 v45, v45, v52, vcc
	v_lshlrev_b32_e32 v51, 16, v34
	v_bfrev_b32_e32 v52, 60
	v_lshlrev_b32_e32 v45, 20, v45
	v_and_b32_e32 v51, 0x80000000, v51
	v_lshl_add_u32 v42, v42, 23, v52
	v_or3_b32 v45, v51, v42, v45
.LBB552_23:
	s_or_b64 exec, exec, s[10:11]
.LBB552_24:
	s_or_b64 exec, exec, s[8:9]
.LBB552_25:
	s_or_b64 exec, exec, s[2:3]
	s_movk_i32 s2, 0xff
	v_and_b32_sdwa v51, v34, s2 dst_sel:DWORD dst_unused:UNUSED_PAD src0_sel:WORD_1 src1_sel:DWORD
	v_lshrrev_b32_e32 v42, 16, v34
	v_cmp_ne_u16_e32 vcc, 0, v51
	s_and_saveexec_b64 s[2:3], vcc
	s_cbranch_execz .LBB552_31
; %bb.26:
	s_movk_i32 s8, 0x80
	v_cmp_ne_u16_e32 vcc, s8, v51
	v_bfrev_b32_e32 v44, 1
	s_and_saveexec_b64 s[8:9], vcc
	s_cbranch_execz .LBB552_30
; %bb.27:
	v_bfe_u32 v51, v34, 16, 7
	s_movk_i32 s10, 0x7f
	v_cmp_ne_u32_e32 vcc, s10, v51
	v_mov_b32_e32 v44, 0x7f800001
	s_and_saveexec_b64 s[10:11], vcc
	s_cbranch_execz .LBB552_29
; %bb.28:
	v_and_b32_e32 v44, 7, v42
	v_ffbh_u32_e32 v52, v44
	v_min_u32_e32 v55, 32, v52
	v_subrev_u32_e32 v52, 28, v55
	v_lshlrev_b64 v[52:53], v52, v[42:43]
	v_lshrrev_b32_e32 v54, 3, v51
	v_sub_u32_e32 v42, 29, v55
	v_and_b32_e32 v52, 7, v52
	v_cmp_gt_u32_e32 vcc, 8, v51
	v_mov_b32_e32 v51, 24
	v_cndmask_b32_e32 v42, v54, v42, vcc
	v_cndmask_b32_e32 v44, v44, v52, vcc
	v_lshlrev_b32_sdwa v51, v51, v34 dst_sel:DWORD dst_unused:UNUSED_PAD src0_sel:DWORD src1_sel:WORD_1
	v_bfrev_b32_e32 v52, 60
	v_lshlrev_b32_e32 v44, 20, v44
	v_and_b32_e32 v51, 0x80000000, v51
	v_lshl_add_u32 v42, v42, 23, v52
	v_or3_b32 v44, v51, v42, v44
.LBB552_29:
	s_or_b64 exec, exec, s[10:11]
.LBB552_30:
	s_or_b64 exec, exec, s[8:9]
.LBB552_31:
	s_or_b64 exec, exec, s[2:3]
	s_mov_b32 s2, 0xffffff
	v_cmp_lt_u32_e32 vcc, s2, v34
	v_mov_b32_e32 v52, 0
	v_mov_b32_e32 v53, 0
	s_and_saveexec_b64 s[2:3], vcc
	s_cbranch_execz .LBB552_37
; %bb.32:
	v_lshrrev_b32_e32 v42, 24, v34
	s_movk_i32 s8, 0x80
	v_cmp_ne_u32_e32 vcc, s8, v42
	v_bfrev_b32_e32 v53, 1
	s_and_saveexec_b64 s[8:9], vcc
	s_cbranch_execz .LBB552_36
; %bb.33:
	v_bfe_u32 v34, v34, 24, 7
	s_movk_i32 s10, 0x7f
	v_cmp_ne_u32_e32 vcc, s10, v34
	v_mov_b32_e32 v53, 0x7f800001
	s_and_saveexec_b64 s[10:11], vcc
	s_cbranch_execz .LBB552_35
; %bb.34:
	v_and_b32_e32 v51, 7, v42
	v_ffbh_u32_e32 v54, v51
	v_min_u32_e32 v56, 32, v54
	v_subrev_u32_e32 v54, 28, v56
	v_lshlrev_b64 v[54:55], v54, v[42:43]
	v_lshrrev_b32_e32 v53, 3, v34
	v_sub_u32_e32 v55, 29, v56
	v_and_b32_e32 v54, 7, v54
	v_cmp_gt_u32_e32 vcc, 8, v34
	v_cndmask_b32_e32 v34, v53, v55, vcc
	v_cndmask_b32_e32 v51, v51, v54, vcc
	v_lshlrev_b32_e32 v42, 24, v42
	v_bfrev_b32_e32 v53, 60
	v_lshlrev_b32_e32 v51, 20, v51
	v_and_b32_e32 v42, 0x80000000, v42
	v_lshl_add_u32 v34, v34, 23, v53
	v_or3_b32 v53, v42, v34, v51
.LBB552_35:
	s_or_b64 exec, exec, s[10:11]
.LBB552_36:
	s_or_b64 exec, exec, s[8:9]
.LBB552_37:
	s_or_b64 exec, exec, s[2:3]
	v_cmp_ne_u16_sdwa s[8:9], v35, v52 src0_sel:BYTE_0 src1_sel:DWORD
	s_and_saveexec_b64 s[2:3], s[8:9]
	s_cbranch_execz .LBB552_43
; %bb.38:
	s_movk_i32 s8, 0x80
	v_cmp_ne_u16_sdwa s[10:11], v35, s8 src0_sel:BYTE_0 src1_sel:DWORD
	v_bfrev_b32_e32 v52, 1
	s_and_saveexec_b64 s[8:9], s[10:11]
	s_cbranch_execz .LBB552_42
; %bb.39:
	s_movk_i32 s10, 0x7f
	v_and_b32_e32 v34, 0x7f, v35
	v_cmp_ne_u32_e32 vcc, s10, v34
	v_mov_b32_e32 v52, 0x7f800001
	s_and_saveexec_b64 s[10:11], vcc
	s_cbranch_execz .LBB552_41
; %bb.40:
	v_and_b32_e32 v51, 7, v35
	v_ffbh_u32_e32 v54, v51
	v_min_u32_e32 v56, 32, v54
	v_mov_b32_e32 v42, v35
	v_subrev_u32_e32 v54, 28, v56
	v_lshlrev_b64 v[54:55], v54, v[42:43]
	v_lshrrev_b32_e32 v52, 3, v34
	v_sub_u32_e32 v42, 29, v56
	v_and_b32_e32 v54, 7, v54
	v_cmp_gt_u32_e32 vcc, 8, v34
	v_cndmask_b32_e32 v34, v52, v42, vcc
	v_cndmask_b32_e32 v42, v51, v54, vcc
	v_lshlrev_b32_e32 v51, 24, v35
	v_bfrev_b32_e32 v52, 60
	v_lshlrev_b32_e32 v42, 20, v42
	v_and_b32_e32 v51, 0x80000000, v51
	v_lshl_add_u32 v34, v34, 23, v52
	v_or3_b32 v52, v51, v34, v42
.LBB552_41:
	s_or_b64 exec, exec, s[10:11]
.LBB552_42:
	s_or_b64 exec, exec, s[8:9]
.LBB552_43:
	s_or_b64 exec, exec, s[2:3]
	v_lshrrev_b16_e32 v34, 8, v35
	v_cmp_ne_u16_e32 vcc, 0, v34
	v_mov_b32_e32 v42, 0
	v_mov_b32_e32 v54, 0
	s_and_saveexec_b64 s[2:3], vcc
	s_cbranch_execz .LBB552_49
; %bb.44:
	s_movk_i32 s8, 0x80
	v_cmp_ne_u16_e32 vcc, s8, v34
	v_bfrev_b32_e32 v54, 1
	s_and_saveexec_b64 s[8:9], vcc
	s_cbranch_execz .LBB552_48
; %bb.45:
	s_movk_i32 s10, 0x7f
	v_and_b32_e32 v51, 0x7f, v34
	v_cmp_ne_u32_e32 vcc, s10, v51
	v_mov_b32_e32 v54, 0x7f800001
	s_and_saveexec_b64 s[10:11], vcc
	s_cbranch_execz .LBB552_47
; %bb.46:
	v_and_b32_e32 v56, 7, v34
	v_ffbh_u32_e32 v54, v56
	v_min_u32_e32 v58, 32, v54
	v_subrev_u32_e32 v54, 28, v58
	v_lshlrev_b64 v[54:55], v54, v[34:35]
	v_lshrrev_b32_e32 v57, 3, v51
	v_sub_u32_e32 v34, 29, v58
	v_and_b32_e32 v54, 7, v54
	v_cmp_gt_u32_e32 vcc, 8, v51
	v_cndmask_b32_e32 v34, v57, v34, vcc
	v_cndmask_b32_e32 v51, v56, v54, vcc
	v_lshlrev_b32_e32 v54, 16, v35
	v_bfrev_b32_e32 v55, 60
	v_lshlrev_b32_e32 v51, 20, v51
	v_and_b32_e32 v54, 0x80000000, v54
	v_lshl_add_u32 v34, v34, 23, v55
	v_or3_b32 v54, v54, v34, v51
.LBB552_47:
	s_or_b64 exec, exec, s[10:11]
.LBB552_48:
	s_or_b64 exec, exec, s[8:9]
.LBB552_49:
	s_or_b64 exec, exec, s[2:3]
	s_movk_i32 s2, 0xff
	v_and_b32_sdwa v51, v35, s2 dst_sel:DWORD dst_unused:UNUSED_PAD src0_sel:WORD_1 src1_sel:DWORD
	v_lshrrev_b32_e32 v34, 16, v35
	v_cmp_ne_u16_e32 vcc, 0, v51
	s_and_saveexec_b64 s[2:3], vcc
	s_cbranch_execz .LBB552_55
; %bb.50:
	s_movk_i32 s8, 0x80
	v_cmp_ne_u16_e32 vcc, s8, v51
	v_bfrev_b32_e32 v42, 1
	s_and_saveexec_b64 s[8:9], vcc
	s_cbranch_execz .LBB552_54
; %bb.51:
	v_bfe_u32 v51, v35, 16, 7
	s_movk_i32 s10, 0x7f
	v_cmp_ne_u32_e32 vcc, s10, v51
	v_mov_b32_e32 v42, 0x7f800001
	s_and_saveexec_b64 s[10:11], vcc
	s_cbranch_execz .LBB552_53
; %bb.52:
	v_and_b32_e32 v42, 7, v34
	v_ffbh_u32_e32 v56, v42
	v_min_u32_e32 v58, 32, v56
	v_subrev_u32_e32 v56, 28, v58
	v_lshlrev_b64 v[56:57], v56, v[34:35]
	v_lshrrev_b32_e32 v55, 3, v51
	v_sub_u32_e32 v34, 29, v58
	v_and_b32_e32 v56, 7, v56
	v_cmp_gt_u32_e32 vcc, 8, v51
	v_mov_b32_e32 v51, 24
	v_cndmask_b32_e32 v34, v55, v34, vcc
	v_cndmask_b32_e32 v42, v42, v56, vcc
	v_lshlrev_b32_sdwa v51, v51, v35 dst_sel:DWORD dst_unused:UNUSED_PAD src0_sel:DWORD src1_sel:WORD_1
	v_bfrev_b32_e32 v55, 60
	v_lshlrev_b32_e32 v42, 20, v42
	v_and_b32_e32 v51, 0x80000000, v51
	v_lshl_add_u32 v34, v34, 23, v55
	v_or3_b32 v42, v51, v34, v42
.LBB552_53:
	s_or_b64 exec, exec, s[10:11]
.LBB552_54:
	s_or_b64 exec, exec, s[8:9]
.LBB552_55:
	s_or_b64 exec, exec, s[2:3]
	s_mov_b32 s2, 0xffffff
	v_cmp_lt_u32_e32 vcc, s2, v35
	v_mov_b32_e32 v51, 0
	v_mov_b32_e32 v55, 0
	s_and_saveexec_b64 s[2:3], vcc
	s_cbranch_execz .LBB552_61
; %bb.56:
	v_lshrrev_b32_e32 v34, 24, v35
	s_movk_i32 s8, 0x80
	v_cmp_ne_u32_e32 vcc, s8, v34
	v_bfrev_b32_e32 v55, 1
	s_and_saveexec_b64 s[8:9], vcc
	s_cbranch_execz .LBB552_60
; %bb.57:
	v_bfe_u32 v35, v35, 24, 7
	s_movk_i32 s10, 0x7f
	v_cmp_ne_u32_e32 vcc, s10, v35
	v_mov_b32_e32 v55, 0x7f800001
	s_and_saveexec_b64 s[10:11], vcc
	s_cbranch_execz .LBB552_59
; %bb.58:
	v_and_b32_e32 v55, 7, v34
	v_ffbh_u32_e32 v56, v55
	v_min_u32_e32 v59, 32, v56
	v_subrev_u32_e32 v56, 28, v59
	v_lshlrev_b64 v[56:57], v56, v[34:35]
	v_lshrrev_b32_e32 v58, 3, v35
	v_sub_u32_e32 v57, 29, v59
	v_and_b32_e32 v56, 7, v56
	v_cmp_gt_u32_e32 vcc, 8, v35
	v_cndmask_b32_e32 v35, v58, v57, vcc
	v_cndmask_b32_e32 v55, v55, v56, vcc
	v_lshlrev_b32_e32 v34, 24, v34
	v_bfrev_b32_e32 v56, 60
	v_lshlrev_b32_e32 v55, 20, v55
	v_and_b32_e32 v34, 0x80000000, v34
	v_lshl_add_u32 v35, v35, 23, v56
	v_or3_b32 v55, v34, v35, v55
.LBB552_59:
	s_or_b64 exec, exec, s[10:11]
.LBB552_60:
	s_or_b64 exec, exec, s[8:9]
.LBB552_61:
	s_or_b64 exec, exec, s[2:3]
	v_cvt_pkrtz_f16_f32 v34, v43, v45
	v_cvt_pkrtz_f16_f32 v35, v44, v53
	v_cmp_ne_u16_sdwa s[8:9], v36, v51 src0_sel:BYTE_0 src1_sel:DWORD
	s_nop 0
	v_mfma_f32_16x16x16f16 v[56:59], v[34:35], v[26:27], 0
	v_cvt_pkrtz_f16_f32 v34, v52, v54
	v_cvt_pkrtz_f16_f32 v35, v42, v55
	s_nop 1
	v_mfma_f32_16x16x16f16 v[42:45], v[34:35], v[28:29], v[56:59]
	s_and_saveexec_b64 s[2:3], s[8:9]
	s_cbranch_execz .LBB552_67
; %bb.62:
	s_movk_i32 s8, 0x80
	v_cmp_ne_u16_sdwa s[10:11], v36, s8 src0_sel:BYTE_0 src1_sel:DWORD
	v_bfrev_b32_e32 v51, 1
	s_and_saveexec_b64 s[8:9], s[10:11]
	s_cbranch_execz .LBB552_66
; %bb.63:
	s_movk_i32 s10, 0x7f
	v_and_b32_e32 v34, 0x7f, v36
	v_cmp_ne_u32_e32 vcc, s10, v34
	v_mov_b32_e32 v51, 0x7f800001
	s_and_saveexec_b64 s[10:11], vcc
	s_cbranch_execz .LBB552_65
; %bb.64:
	v_and_b32_e32 v35, 7, v36
	v_ffbh_u32_e32 v52, v35
	v_min_u32_e32 v54, 32, v52
	v_subrev_u32_e32 v52, 28, v54
	v_lshlrev_b64 v[52:53], v52, v[36:37]
	v_lshrrev_b32_e32 v51, 3, v34
	v_sub_u32_e32 v53, 29, v54
	v_and_b32_e32 v52, 7, v52
	v_cmp_gt_u32_e32 vcc, 8, v34
	v_cndmask_b32_e32 v34, v51, v53, vcc
	v_cndmask_b32_e32 v35, v35, v52, vcc
	v_lshlrev_b32_e32 v51, 24, v36
	v_bfrev_b32_e32 v52, 60
	v_lshlrev_b32_e32 v35, 20, v35
	v_and_b32_e32 v51, 0x80000000, v51
	v_lshl_add_u32 v34, v34, 23, v52
	v_or3_b32 v51, v51, v34, v35
.LBB552_65:
	s_or_b64 exec, exec, s[10:11]
.LBB552_66:
	s_or_b64 exec, exec, s[8:9]
.LBB552_67:
	s_or_b64 exec, exec, s[2:3]
	v_lshrrev_b16_e32 v34, 8, v36
	v_cmp_ne_u16_e32 vcc, 0, v34
	v_mov_b32_e32 v35, 0
	v_mov_b32_e32 v53, 0
	s_and_saveexec_b64 s[2:3], vcc
	s_cbranch_execz .LBB552_73
; %bb.68:
	s_movk_i32 s8, 0x80
	v_cmp_ne_u16_e32 vcc, s8, v34
	v_bfrev_b32_e32 v53, 1
	s_and_saveexec_b64 s[8:9], vcc
	s_cbranch_execz .LBB552_72
; %bb.69:
	s_movk_i32 s10, 0x7f
	v_and_b32_e32 v52, 0x7f, v34
	v_cmp_ne_u32_e32 vcc, s10, v52
	v_mov_b32_e32 v53, 0x7f800001
	s_and_saveexec_b64 s[10:11], vcc
	s_cbranch_execz .LBB552_71
; %bb.70:
	v_and_b32_e32 v53, 7, v34
	v_ffbh_u32_e32 v54, v53
	v_min_u32_e32 v57, 32, v54
	v_subrev_u32_e32 v54, 28, v57
	v_lshlrev_b64 v[54:55], v54, v[34:35]
	v_lshrrev_b32_e32 v56, 3, v52
	v_sub_u32_e32 v34, 29, v57
	v_and_b32_e32 v54, 7, v54
	v_cmp_gt_u32_e32 vcc, 8, v52
	v_cndmask_b32_e32 v34, v56, v34, vcc
	v_cndmask_b32_e32 v52, v53, v54, vcc
	v_lshlrev_b32_e32 v53, 16, v36
	v_bfrev_b32_e32 v54, 60
	v_lshlrev_b32_e32 v52, 20, v52
	v_and_b32_e32 v53, 0x80000000, v53
	v_lshl_add_u32 v34, v34, 23, v54
	v_or3_b32 v53, v53, v34, v52
.LBB552_71:
	s_or_b64 exec, exec, s[10:11]
.LBB552_72:
	s_or_b64 exec, exec, s[8:9]
.LBB552_73:
	s_or_b64 exec, exec, s[2:3]
	s_movk_i32 s2, 0xff
	v_and_b32_sdwa v52, v36, s2 dst_sel:DWORD dst_unused:UNUSED_PAD src0_sel:WORD_1 src1_sel:DWORD
	v_lshrrev_b32_e32 v34, 16, v36
	v_cmp_ne_u16_e32 vcc, 0, v52
	s_and_saveexec_b64 s[2:3], vcc
	s_cbranch_execz .LBB552_79
; %bb.74:
	s_movk_i32 s8, 0x80
	v_cmp_ne_u16_e32 vcc, s8, v52
	v_bfrev_b32_e32 v35, 1
	s_and_saveexec_b64 s[8:9], vcc
	s_cbranch_execz .LBB552_78
; %bb.75:
	v_bfe_u32 v52, v36, 16, 7
	s_movk_i32 s10, 0x7f
	v_cmp_ne_u32_e32 vcc, s10, v52
	v_mov_b32_e32 v35, 0x7f800001
	s_and_saveexec_b64 s[10:11], vcc
	s_cbranch_execz .LBB552_77
; %bb.76:
	v_and_b32_e32 v54, 7, v34
	v_ffbh_u32_e32 v35, v54
	v_min_u32_e32 v56, 32, v35
	v_subrev_u32_e32 v35, 28, v56
	v_lshlrev_b64 v[34:35], v35, v[34:35]
	v_lshrrev_b32_e32 v55, 3, v52
	v_sub_u32_e32 v35, 29, v56
	v_and_b32_e32 v34, 7, v34
	v_cmp_gt_u32_e32 vcc, 8, v52
	v_mov_b32_e32 v52, 24
	v_cndmask_b32_e32 v35, v55, v35, vcc
	v_cndmask_b32_e32 v34, v54, v34, vcc
	v_lshlrev_b32_sdwa v52, v52, v36 dst_sel:DWORD dst_unused:UNUSED_PAD src0_sel:DWORD src1_sel:WORD_1
	v_bfrev_b32_e32 v54, 60
	v_lshlrev_b32_e32 v34, 20, v34
	v_and_b32_e32 v52, 0x80000000, v52
	v_lshl_add_u32 v35, v35, 23, v54
	v_or3_b32 v35, v52, v35, v34
.LBB552_77:
	s_or_b64 exec, exec, s[10:11]
.LBB552_78:
	s_or_b64 exec, exec, s[8:9]
.LBB552_79:
	s_or_b64 exec, exec, s[2:3]
	s_mov_b32 s2, 0xffffff
	v_cmp_lt_u32_e32 vcc, s2, v36
	v_mov_b32_e32 v54, 0
	v_mov_b32_e32 v55, 0
	s_and_saveexec_b64 s[2:3], vcc
	s_cbranch_execz .LBB552_85
; %bb.80:
	v_lshrrev_b32_e32 v34, 24, v36
	s_movk_i32 s8, 0x80
	v_cmp_ne_u32_e32 vcc, s8, v34
	v_bfrev_b32_e32 v55, 1
	s_and_saveexec_b64 s[8:9], vcc
	s_cbranch_execz .LBB552_84
; %bb.81:
	v_bfe_u32 v36, v36, 24, 7
	s_movk_i32 s10, 0x7f
	v_cmp_ne_u32_e32 vcc, s10, v36
	v_mov_b32_e32 v55, 0x7f800001
	s_and_saveexec_b64 s[10:11], vcc
	s_cbranch_execz .LBB552_83
; %bb.82:
	v_and_b32_e32 v52, 7, v34
	v_ffbh_u32_e32 v56, v52
	v_min_u32_e32 v58, 32, v56
	v_subrev_u32_e32 v56, 28, v58
	v_lshlrev_b64 v[56:57], v56, v[34:35]
	v_lshrrev_b32_e32 v55, 3, v36
	v_sub_u32_e32 v57, 29, v58
	v_and_b32_e32 v56, 7, v56
	v_cmp_gt_u32_e32 vcc, 8, v36
	v_cndmask_b32_e32 v36, v55, v57, vcc
	v_cndmask_b32_e32 v52, v52, v56, vcc
	v_lshlrev_b32_e32 v34, 24, v34
	v_bfrev_b32_e32 v55, 60
	v_lshlrev_b32_e32 v52, 20, v52
	v_and_b32_e32 v34, 0x80000000, v34
	v_lshl_add_u32 v36, v36, 23, v55
	v_or3_b32 v55, v34, v36, v52
.LBB552_83:
	s_or_b64 exec, exec, s[10:11]
.LBB552_84:
	s_or_b64 exec, exec, s[8:9]
.LBB552_85:
	s_or_b64 exec, exec, s[2:3]
	v_cmp_ne_u16_sdwa s[8:9], v37, v54 src0_sel:BYTE_0 src1_sel:DWORD
	s_and_saveexec_b64 s[2:3], s[8:9]
	s_cbranch_execz .LBB552_91
; %bb.86:
	s_movk_i32 s8, 0x80
	v_cmp_ne_u16_sdwa s[10:11], v37, s8 src0_sel:BYTE_0 src1_sel:DWORD
	v_bfrev_b32_e32 v54, 1
	s_and_saveexec_b64 s[8:9], s[10:11]
	s_cbranch_execz .LBB552_90
; %bb.87:
	s_movk_i32 s10, 0x7f
	v_and_b32_e32 v34, 0x7f, v37
	v_cmp_ne_u32_e32 vcc, s10, v34
	v_mov_b32_e32 v54, 0x7f800001
	s_and_saveexec_b64 s[10:11], vcc
	s_cbranch_execz .LBB552_89
; %bb.88:
	v_and_b32_e32 v52, 7, v37
	v_ffbh_u32_e32 v56, v52
	v_min_u32_e32 v58, 32, v56
	v_mov_b32_e32 v36, v37
	v_subrev_u32_e32 v56, 28, v58
	v_lshlrev_b64 v[56:57], v56, v[36:37]
	v_lshrrev_b32_e32 v54, 3, v34
	v_sub_u32_e32 v36, 29, v58
	v_and_b32_e32 v56, 7, v56
	v_cmp_gt_u32_e32 vcc, 8, v34
	v_cndmask_b32_e32 v34, v54, v36, vcc
	v_cndmask_b32_e32 v36, v52, v56, vcc
	v_lshlrev_b32_e32 v52, 24, v37
	v_bfrev_b32_e32 v54, 60
	v_lshlrev_b32_e32 v36, 20, v36
	v_and_b32_e32 v52, 0x80000000, v52
	v_lshl_add_u32 v34, v34, 23, v54
	v_or3_b32 v54, v52, v34, v36
.LBB552_89:
	s_or_b64 exec, exec, s[10:11]
.LBB552_90:
	s_or_b64 exec, exec, s[8:9]
.LBB552_91:
	s_or_b64 exec, exec, s[2:3]
	v_lshrrev_b16_e32 v34, 8, v37
	v_cmp_ne_u16_e32 vcc, 0, v34
	v_mov_b32_e32 v36, 0
	v_mov_b32_e32 v56, 0
	s_and_saveexec_b64 s[2:3], vcc
	s_cbranch_execz .LBB552_97
; %bb.92:
	s_movk_i32 s8, 0x80
	v_cmp_ne_u16_e32 vcc, s8, v34
	v_bfrev_b32_e32 v56, 1
	s_and_saveexec_b64 s[8:9], vcc
	s_cbranch_execz .LBB552_96
; %bb.93:
	s_movk_i32 s10, 0x7f
	v_and_b32_e32 v52, 0x7f, v34
	v_cmp_ne_u32_e32 vcc, s10, v52
	v_mov_b32_e32 v56, 0x7f800001
	s_and_saveexec_b64 s[10:11], vcc
	s_cbranch_execz .LBB552_95
; %bb.94:
	v_and_b32_e32 v58, 7, v34
	v_ffbh_u32_e32 v56, v58
	v_min_u32_e32 v60, 32, v56
	v_subrev_u32_e32 v56, 28, v60
	v_lshlrev_b64 v[56:57], v56, v[34:35]
	v_lshrrev_b32_e32 v59, 3, v52
	v_sub_u32_e32 v34, 29, v60
	v_and_b32_e32 v56, 7, v56
	v_cmp_gt_u32_e32 vcc, 8, v52
	v_cndmask_b32_e32 v34, v59, v34, vcc
	v_cndmask_b32_e32 v52, v58, v56, vcc
	v_lshlrev_b32_e32 v56, 16, v37
	v_bfrev_b32_e32 v57, 60
	v_lshlrev_b32_e32 v52, 20, v52
	v_and_b32_e32 v56, 0x80000000, v56
	v_lshl_add_u32 v34, v34, 23, v57
	v_or3_b32 v56, v56, v34, v52
.LBB552_95:
	s_or_b64 exec, exec, s[10:11]
.LBB552_96:
	s_or_b64 exec, exec, s[8:9]
.LBB552_97:
	s_or_b64 exec, exec, s[2:3]
	s_movk_i32 s2, 0xff
	v_and_b32_sdwa v52, v37, s2 dst_sel:DWORD dst_unused:UNUSED_PAD src0_sel:WORD_1 src1_sel:DWORD
	v_lshrrev_b32_e32 v34, 16, v37
	v_cmp_ne_u16_e32 vcc, 0, v52
	s_and_saveexec_b64 s[2:3], vcc
	s_cbranch_execz .LBB552_103
; %bb.98:
	s_movk_i32 s8, 0x80
	v_cmp_ne_u16_e32 vcc, s8, v52
	v_bfrev_b32_e32 v36, 1
	s_and_saveexec_b64 s[8:9], vcc
	s_cbranch_execz .LBB552_102
; %bb.99:
	v_bfe_u32 v52, v37, 16, 7
	s_movk_i32 s10, 0x7f
	v_cmp_ne_u32_e32 vcc, s10, v52
	v_mov_b32_e32 v36, 0x7f800001
	s_and_saveexec_b64 s[10:11], vcc
	s_cbranch_execz .LBB552_101
; %bb.100:
	v_and_b32_e32 v36, 7, v34
	v_ffbh_u32_e32 v58, v36
	v_min_u32_e32 v60, 32, v58
	v_subrev_u32_e32 v58, 28, v60
	v_lshlrev_b64 v[58:59], v58, v[34:35]
	v_lshrrev_b32_e32 v57, 3, v52
	v_sub_u32_e32 v34, 29, v60
	v_and_b32_e32 v58, 7, v58
	v_cmp_gt_u32_e32 vcc, 8, v52
	v_mov_b32_e32 v52, 24
	v_cndmask_b32_e32 v34, v57, v34, vcc
	v_cndmask_b32_e32 v36, v36, v58, vcc
	v_lshlrev_b32_sdwa v52, v52, v37 dst_sel:DWORD dst_unused:UNUSED_PAD src0_sel:DWORD src1_sel:WORD_1
	v_bfrev_b32_e32 v57, 60
	v_lshlrev_b32_e32 v36, 20, v36
	v_and_b32_e32 v52, 0x80000000, v52
	v_lshl_add_u32 v34, v34, 23, v57
	v_or3_b32 v36, v52, v34, v36
.LBB552_101:
	s_or_b64 exec, exec, s[10:11]
.LBB552_102:
	s_or_b64 exec, exec, s[8:9]
.LBB552_103:
	s_or_b64 exec, exec, s[2:3]
	s_mov_b32 s2, 0xffffff
	v_cmp_lt_u32_e32 vcc, s2, v37
	v_mov_b32_e32 v52, 0
	v_mov_b32_e32 v57, 0
	s_and_saveexec_b64 s[2:3], vcc
	s_cbranch_execz .LBB552_109
; %bb.104:
	v_lshrrev_b32_e32 v34, 24, v37
	s_movk_i32 s8, 0x80
	v_cmp_ne_u32_e32 vcc, s8, v34
	v_bfrev_b32_e32 v57, 1
	s_and_saveexec_b64 s[8:9], vcc
	s_cbranch_execz .LBB552_108
; %bb.105:
	v_bfe_u32 v37, v37, 24, 7
	s_movk_i32 s10, 0x7f
	v_cmp_ne_u32_e32 vcc, s10, v37
	v_mov_b32_e32 v57, 0x7f800001
	s_and_saveexec_b64 s[10:11], vcc
	s_cbranch_execz .LBB552_107
; %bb.106:
	v_and_b32_e32 v57, 7, v34
	v_ffbh_u32_e32 v58, v57
	v_min_u32_e32 v61, 32, v58
	v_subrev_u32_e32 v58, 28, v61
	v_lshlrev_b64 v[58:59], v58, v[34:35]
	v_lshrrev_b32_e32 v60, 3, v37
	v_sub_u32_e32 v59, 29, v61
	v_and_b32_e32 v58, 7, v58
	v_cmp_gt_u32_e32 vcc, 8, v37
	v_cndmask_b32_e32 v37, v60, v59, vcc
	v_cndmask_b32_e32 v57, v57, v58, vcc
	v_lshlrev_b32_e32 v34, 24, v34
	v_bfrev_b32_e32 v58, 60
	v_lshlrev_b32_e32 v57, 20, v57
	v_and_b32_e32 v34, 0x80000000, v34
	v_lshl_add_u32 v37, v37, 23, v58
	v_or3_b32 v57, v34, v37, v57
.LBB552_107:
	s_or_b64 exec, exec, s[10:11]
.LBB552_108:
	s_or_b64 exec, exec, s[8:9]
.LBB552_109:
	s_or_b64 exec, exec, s[2:3]
	v_cvt_pkrtz_f16_f32 v34, v51, v53
	v_cvt_pkrtz_f16_f32 v35, v35, v55
	v_cmp_ne_u16_sdwa s[8:9], v38, v52 src0_sel:BYTE_0 src1_sel:DWORD
	s_nop 0
	v_mfma_f32_16x16x16f16 v[42:45], v[34:35], v[18:19], v[42:45]
	v_cvt_pkrtz_f16_f32 v34, v54, v56
	v_cvt_pkrtz_f16_f32 v35, v36, v57
	s_nop 1
	v_mfma_f32_16x16x16f16 v[34:37], v[34:35], v[20:21], v[42:45]
	s_and_saveexec_b64 s[2:3], s[8:9]
	s_cbranch_execz .LBB552_115
; %bb.110:
	s_movk_i32 s8, 0x80
	v_cmp_ne_u16_sdwa s[10:11], v38, s8 src0_sel:BYTE_0 src1_sel:DWORD
	v_bfrev_b32_e32 v52, 1
	s_and_saveexec_b64 s[8:9], s[10:11]
	s_cbranch_execz .LBB552_114
; %bb.111:
	s_movk_i32 s10, 0x7f
	v_and_b32_e32 v42, 0x7f, v38
	v_cmp_ne_u32_e32 vcc, s10, v42
	v_mov_b32_e32 v52, 0x7f800001
	s_and_saveexec_b64 s[10:11], vcc
	s_cbranch_execz .LBB552_113
; %bb.112:
	v_and_b32_e32 v43, 7, v38
	v_ffbh_u32_e32 v44, v43
	v_min_u32_e32 v52, 32, v44
	v_subrev_u32_e32 v44, 28, v52
	v_lshlrev_b64 v[44:45], v44, v[38:39]
	v_lshrrev_b32_e32 v51, 3, v42
	v_sub_u32_e32 v45, 29, v52
	v_and_b32_e32 v44, 7, v44
	v_cmp_gt_u32_e32 vcc, 8, v42
	v_cndmask_b32_e32 v42, v51, v45, vcc
	v_cndmask_b32_e32 v43, v43, v44, vcc
	v_lshlrev_b32_e32 v44, 24, v38
	v_bfrev_b32_e32 v45, 60
	v_lshlrev_b32_e32 v43, 20, v43
	v_and_b32_e32 v44, 0x80000000, v44
	v_lshl_add_u32 v42, v42, 23, v45
	v_or3_b32 v52, v44, v42, v43
.LBB552_113:
	s_or_b64 exec, exec, s[10:11]
.LBB552_114:
	s_or_b64 exec, exec, s[8:9]
.LBB552_115:
	s_or_b64 exec, exec, s[2:3]
	s_nop 3
	v_lshrrev_b16_e32 v42, 8, v38
	v_cmp_ne_u16_e32 vcc, 0, v42
	v_mov_b32_e32 v43, 0
	v_mov_b32_e32 v44, 0
	s_and_saveexec_b64 s[2:3], vcc
	s_cbranch_execz .LBB552_121
; %bb.116:
	s_movk_i32 s8, 0x80
	v_cmp_ne_u16_e32 vcc, s8, v42
	v_bfrev_b32_e32 v44, 1
	s_and_saveexec_b64 s[8:9], vcc
	s_cbranch_execz .LBB552_120
; %bb.117:
	s_movk_i32 s10, 0x7f
	v_and_b32_e32 v45, 0x7f, v42
	v_cmp_ne_u32_e32 vcc, s10, v45
	v_mov_b32_e32 v44, 0x7f800001
	s_and_saveexec_b64 s[10:11], vcc
	s_cbranch_execz .LBB552_119
; %bb.118:
	v_and_b32_e32 v44, 7, v42
	v_ffbh_u32_e32 v53, v44
	v_min_u32_e32 v53, 32, v53
	v_subrev_u32_e32 v54, 28, v53
	v_lshlrev_b64 v[54:55], v54, v[42:43]
	v_lshrrev_b32_e32 v51, 3, v45
	v_sub_u32_e32 v42, 29, v53
	v_and_b32_e32 v53, 7, v54
	v_cmp_gt_u32_e32 vcc, 8, v45
	v_cndmask_b32_e32 v42, v51, v42, vcc
	v_cndmask_b32_e32 v44, v44, v53, vcc
	v_lshlrev_b32_e32 v45, 16, v38
	v_bfrev_b32_e32 v51, 60
	v_lshlrev_b32_e32 v44, 20, v44
	v_and_b32_e32 v45, 0x80000000, v45
	v_lshl_add_u32 v42, v42, 23, v51
	v_or3_b32 v44, v45, v42, v44
.LBB552_119:
	s_or_b64 exec, exec, s[10:11]
.LBB552_120:
	s_or_b64 exec, exec, s[8:9]
.LBB552_121:
	s_or_b64 exec, exec, s[2:3]
	s_movk_i32 s2, 0xff
	v_and_b32_sdwa v45, v38, s2 dst_sel:DWORD dst_unused:UNUSED_PAD src0_sel:WORD_1 src1_sel:DWORD
	v_lshrrev_b32_e32 v42, 16, v38
	v_cmp_ne_u16_e32 vcc, 0, v45
	s_and_saveexec_b64 s[2:3], vcc
	s_cbranch_execz .LBB552_127
; %bb.122:
	s_movk_i32 s8, 0x80
	v_cmp_ne_u16_e32 vcc, s8, v45
	v_bfrev_b32_e32 v43, 1
	s_and_saveexec_b64 s[8:9], vcc
	s_cbranch_execz .LBB552_126
; %bb.123:
	v_bfe_u32 v45, v38, 16, 7
	s_movk_i32 s10, 0x7f
	v_cmp_ne_u32_e32 vcc, s10, v45
	v_mov_b32_e32 v43, 0x7f800001
	s_and_saveexec_b64 s[10:11], vcc
	s_cbranch_execz .LBB552_125
; %bb.124:
	v_and_b32_e32 v51, 7, v42
	v_ffbh_u32_e32 v43, v51
	v_min_u32_e32 v54, 32, v43
	v_subrev_u32_e32 v43, 28, v54
	v_lshlrev_b64 v[42:43], v43, v[42:43]
	v_lshrrev_b32_e32 v53, 3, v45
	v_sub_u32_e32 v43, 29, v54
	v_and_b32_e32 v42, 7, v42
	v_cmp_gt_u32_e32 vcc, 8, v45
	v_mov_b32_e32 v45, 24
	v_cndmask_b32_e32 v43, v53, v43, vcc
	v_cndmask_b32_e32 v42, v51, v42, vcc
	v_lshlrev_b32_sdwa v45, v45, v38 dst_sel:DWORD dst_unused:UNUSED_PAD src0_sel:DWORD src1_sel:WORD_1
	v_bfrev_b32_e32 v51, 60
	v_lshlrev_b32_e32 v42, 20, v42
	v_and_b32_e32 v45, 0x80000000, v45
	v_lshl_add_u32 v43, v43, 23, v51
	v_or3_b32 v43, v45, v43, v42
.LBB552_125:
	s_or_b64 exec, exec, s[10:11]
.LBB552_126:
	s_or_b64 exec, exec, s[8:9]
.LBB552_127:
	s_or_b64 exec, exec, s[2:3]
	s_mov_b32 s2, 0xffffff
	v_cmp_lt_u32_e32 vcc, s2, v38
	v_mov_b32_e32 v45, 0
	v_mov_b32_e32 v53, 0
	s_and_saveexec_b64 s[2:3], vcc
	s_cbranch_execz .LBB552_133
; %bb.128:
	v_lshrrev_b32_e32 v42, 24, v38
	s_movk_i32 s8, 0x80
	v_cmp_ne_u32_e32 vcc, s8, v42
	v_bfrev_b32_e32 v53, 1
	s_and_saveexec_b64 s[8:9], vcc
	s_cbranch_execz .LBB552_132
; %bb.129:
	v_bfe_u32 v38, v38, 24, 7
	s_movk_i32 s10, 0x7f
	v_cmp_ne_u32_e32 vcc, s10, v38
	v_mov_b32_e32 v53, 0x7f800001
	s_and_saveexec_b64 s[10:11], vcc
	s_cbranch_execz .LBB552_131
; %bb.130:
	v_and_b32_e32 v51, 7, v42
	v_ffbh_u32_e32 v54, v51
	v_min_u32_e32 v56, 32, v54
	v_subrev_u32_e32 v54, 28, v56
	v_lshlrev_b64 v[54:55], v54, v[42:43]
	v_lshrrev_b32_e32 v53, 3, v38
	v_sub_u32_e32 v55, 29, v56
	v_and_b32_e32 v54, 7, v54
	v_cmp_gt_u32_e32 vcc, 8, v38
	v_cndmask_b32_e32 v38, v53, v55, vcc
	v_cndmask_b32_e32 v51, v51, v54, vcc
	v_lshlrev_b32_e32 v42, 24, v42
	v_bfrev_b32_e32 v53, 60
	v_lshlrev_b32_e32 v51, 20, v51
	v_and_b32_e32 v42, 0x80000000, v42
	v_lshl_add_u32 v38, v38, 23, v53
	v_or3_b32 v53, v42, v38, v51
.LBB552_131:
	s_or_b64 exec, exec, s[10:11]
.LBB552_132:
	s_or_b64 exec, exec, s[8:9]
.LBB552_133:
	s_or_b64 exec, exec, s[2:3]
	v_cmp_ne_u16_sdwa s[8:9], v39, v45 src0_sel:BYTE_0 src1_sel:DWORD
	s_and_saveexec_b64 s[2:3], s[8:9]
	s_cbranch_execz .LBB552_139
; %bb.134:
	s_movk_i32 s8, 0x80
	v_cmp_ne_u16_sdwa s[10:11], v39, s8 src0_sel:BYTE_0 src1_sel:DWORD
	v_bfrev_b32_e32 v45, 1
	s_and_saveexec_b64 s[8:9], s[10:11]
	s_cbranch_execz .LBB552_138
; %bb.135:
	s_movk_i32 s10, 0x7f
	v_and_b32_e32 v38, 0x7f, v39
	v_cmp_ne_u32_e32 vcc, s10, v38
	v_mov_b32_e32 v45, 0x7f800001
	s_and_saveexec_b64 s[10:11], vcc
	s_cbranch_execz .LBB552_137
; %bb.136:
	v_and_b32_e32 v45, 7, v39
	v_ffbh_u32_e32 v54, v45
	v_min_u32_e32 v56, 32, v54
	v_mov_b32_e32 v42, v39
	v_subrev_u32_e32 v54, 28, v56
	v_lshlrev_b64 v[54:55], v54, v[42:43]
	v_lshrrev_b32_e32 v51, 3, v38
	v_sub_u32_e32 v42, 29, v56
	v_and_b32_e32 v54, 7, v54
	v_cmp_gt_u32_e32 vcc, 8, v38
	v_cndmask_b32_e32 v38, v51, v42, vcc
	v_cndmask_b32_e32 v42, v45, v54, vcc
	v_lshlrev_b32_e32 v45, 24, v39
	v_bfrev_b32_e32 v51, 60
	v_lshlrev_b32_e32 v42, 20, v42
	v_and_b32_e32 v45, 0x80000000, v45
	v_lshl_add_u32 v38, v38, 23, v51
	v_or3_b32 v45, v45, v38, v42
.LBB552_137:
	s_or_b64 exec, exec, s[10:11]
.LBB552_138:
	s_or_b64 exec, exec, s[8:9]
.LBB552_139:
	s_or_b64 exec, exec, s[2:3]
	v_lshrrev_b16_e32 v38, 8, v39
	v_cmp_ne_u16_e32 vcc, 0, v38
	v_mov_b32_e32 v42, 0
	v_mov_b32_e32 v54, 0
	s_and_saveexec_b64 s[2:3], vcc
	s_cbranch_execz .LBB552_145
; %bb.140:
	s_movk_i32 s8, 0x80
	v_cmp_ne_u16_e32 vcc, s8, v38
	v_bfrev_b32_e32 v54, 1
	s_and_saveexec_b64 s[8:9], vcc
	s_cbranch_execz .LBB552_144
; %bb.141:
	s_movk_i32 s10, 0x7f
	v_and_b32_e32 v51, 0x7f, v38
	v_cmp_ne_u32_e32 vcc, s10, v51
	v_mov_b32_e32 v54, 0x7f800001
	s_and_saveexec_b64 s[10:11], vcc
	s_cbranch_execz .LBB552_143
; %bb.142:
	v_and_b32_e32 v56, 7, v38
	v_ffbh_u32_e32 v54, v56
	v_min_u32_e32 v58, 32, v54
	v_subrev_u32_e32 v54, 28, v58
	v_lshlrev_b64 v[54:55], v54, v[38:39]
	v_lshrrev_b32_e32 v57, 3, v51
	v_sub_u32_e32 v38, 29, v58
	v_and_b32_e32 v54, 7, v54
	v_cmp_gt_u32_e32 vcc, 8, v51
	v_cndmask_b32_e32 v38, v57, v38, vcc
	v_cndmask_b32_e32 v51, v56, v54, vcc
	v_lshlrev_b32_e32 v54, 16, v39
	v_bfrev_b32_e32 v55, 60
	v_lshlrev_b32_e32 v51, 20, v51
	v_and_b32_e32 v54, 0x80000000, v54
	v_lshl_add_u32 v38, v38, 23, v55
	v_or3_b32 v54, v54, v38, v51
.LBB552_143:
	s_or_b64 exec, exec, s[10:11]
.LBB552_144:
	s_or_b64 exec, exec, s[8:9]
.LBB552_145:
	s_or_b64 exec, exec, s[2:3]
	s_movk_i32 s2, 0xff
	v_and_b32_sdwa v51, v39, s2 dst_sel:DWORD dst_unused:UNUSED_PAD src0_sel:WORD_1 src1_sel:DWORD
	v_lshrrev_b32_e32 v38, 16, v39
	v_cmp_ne_u16_e32 vcc, 0, v51
	s_and_saveexec_b64 s[2:3], vcc
	s_cbranch_execz .LBB552_151
; %bb.146:
	s_movk_i32 s8, 0x80
	v_cmp_ne_u16_e32 vcc, s8, v51
	v_bfrev_b32_e32 v42, 1
	s_and_saveexec_b64 s[8:9], vcc
	s_cbranch_execz .LBB552_150
; %bb.147:
	v_bfe_u32 v51, v39, 16, 7
	s_movk_i32 s10, 0x7f
	v_cmp_ne_u32_e32 vcc, s10, v51
	v_mov_b32_e32 v42, 0x7f800001
	s_and_saveexec_b64 s[10:11], vcc
	s_cbranch_execz .LBB552_149
; %bb.148:
	v_and_b32_e32 v42, 7, v38
	v_ffbh_u32_e32 v56, v42
	v_min_u32_e32 v58, 32, v56
	v_subrev_u32_e32 v56, 28, v58
	v_lshlrev_b64 v[56:57], v56, v[38:39]
	v_lshrrev_b32_e32 v55, 3, v51
	v_sub_u32_e32 v38, 29, v58
	v_and_b32_e32 v56, 7, v56
	v_cmp_gt_u32_e32 vcc, 8, v51
	v_mov_b32_e32 v51, 24
	v_cndmask_b32_e32 v38, v55, v38, vcc
	v_cndmask_b32_e32 v42, v42, v56, vcc
	v_lshlrev_b32_sdwa v51, v51, v39 dst_sel:DWORD dst_unused:UNUSED_PAD src0_sel:DWORD src1_sel:WORD_1
	v_bfrev_b32_e32 v55, 60
	v_lshlrev_b32_e32 v42, 20, v42
	v_and_b32_e32 v51, 0x80000000, v51
	v_lshl_add_u32 v38, v38, 23, v55
	v_or3_b32 v42, v51, v38, v42
.LBB552_149:
	s_or_b64 exec, exec, s[10:11]
.LBB552_150:
	s_or_b64 exec, exec, s[8:9]
.LBB552_151:
	s_or_b64 exec, exec, s[2:3]
	s_mov_b32 s2, 0xffffff
	v_cmp_lt_u32_e32 vcc, s2, v39
	v_mov_b32_e32 v51, 0
	v_mov_b32_e32 v55, 0
	s_and_saveexec_b64 s[2:3], vcc
	s_cbranch_execz .LBB552_157
; %bb.152:
	v_lshrrev_b32_e32 v38, 24, v39
	s_movk_i32 s8, 0x80
	v_cmp_ne_u32_e32 vcc, s8, v38
	v_bfrev_b32_e32 v55, 1
	s_and_saveexec_b64 s[8:9], vcc
	s_cbranch_execz .LBB552_156
; %bb.153:
	v_bfe_u32 v39, v39, 24, 7
	s_movk_i32 s10, 0x7f
	v_cmp_ne_u32_e32 vcc, s10, v39
	v_mov_b32_e32 v55, 0x7f800001
	s_and_saveexec_b64 s[10:11], vcc
	s_cbranch_execz .LBB552_155
; %bb.154:
	v_and_b32_e32 v55, 7, v38
	v_ffbh_u32_e32 v56, v55
	v_min_u32_e32 v59, 32, v56
	v_subrev_u32_e32 v56, 28, v59
	v_lshlrev_b64 v[56:57], v56, v[38:39]
	v_lshrrev_b32_e32 v58, 3, v39
	v_sub_u32_e32 v57, 29, v59
	v_and_b32_e32 v56, 7, v56
	v_cmp_gt_u32_e32 vcc, 8, v39
	v_cndmask_b32_e32 v39, v58, v57, vcc
	v_cndmask_b32_e32 v55, v55, v56, vcc
	v_lshlrev_b32_e32 v38, 24, v38
	v_bfrev_b32_e32 v56, 60
	v_lshlrev_b32_e32 v55, 20, v55
	v_and_b32_e32 v38, 0x80000000, v38
	v_lshl_add_u32 v39, v39, 23, v56
	v_or3_b32 v55, v38, v39, v55
.LBB552_155:
	s_or_b64 exec, exec, s[10:11]
.LBB552_156:
	s_or_b64 exec, exec, s[8:9]
.LBB552_157:
	s_or_b64 exec, exec, s[2:3]
	v_cvt_pkrtz_f16_f32 v38, v52, v44
	v_cvt_pkrtz_f16_f32 v39, v43, v53
	v_cmp_ne_u16_sdwa s[8:9], v40, v51 src0_sel:BYTE_0 src1_sel:DWORD
	s_nop 0
	v_mfma_f32_16x16x16f16 v[56:59], v[38:39], v[26:27], 0
	v_cvt_pkrtz_f16_f32 v38, v45, v54
	v_cvt_pkrtz_f16_f32 v39, v42, v55
	s_nop 1
	v_mfma_f32_16x16x16f16 v[42:45], v[38:39], v[28:29], v[56:59]
	s_and_saveexec_b64 s[2:3], s[8:9]
	s_cbranch_execz .LBB552_163
; %bb.158:
	s_movk_i32 s8, 0x80
	v_cmp_ne_u16_sdwa s[10:11], v40, s8 src0_sel:BYTE_0 src1_sel:DWORD
	v_bfrev_b32_e32 v51, 1
	s_and_saveexec_b64 s[8:9], s[10:11]
	s_cbranch_execz .LBB552_162
; %bb.159:
	s_movk_i32 s10, 0x7f
	v_and_b32_e32 v38, 0x7f, v40
	v_cmp_ne_u32_e32 vcc, s10, v38
	v_mov_b32_e32 v51, 0x7f800001
	s_and_saveexec_b64 s[10:11], vcc
	s_cbranch_execz .LBB552_161
; %bb.160:
	v_and_b32_e32 v39, 7, v40
	v_ffbh_u32_e32 v52, v39
	v_min_u32_e32 v54, 32, v52
	v_subrev_u32_e32 v52, 28, v54
	v_lshlrev_b64 v[52:53], v52, v[40:41]
	v_lshrrev_b32_e32 v51, 3, v38
	v_sub_u32_e32 v53, 29, v54
	v_and_b32_e32 v52, 7, v52
	v_cmp_gt_u32_e32 vcc, 8, v38
	v_cndmask_b32_e32 v38, v51, v53, vcc
	v_cndmask_b32_e32 v39, v39, v52, vcc
	v_lshlrev_b32_e32 v51, 24, v40
	v_bfrev_b32_e32 v52, 60
	v_lshlrev_b32_e32 v39, 20, v39
	v_and_b32_e32 v51, 0x80000000, v51
	v_lshl_add_u32 v38, v38, 23, v52
	v_or3_b32 v51, v51, v38, v39
.LBB552_161:
	s_or_b64 exec, exec, s[10:11]
.LBB552_162:
	s_or_b64 exec, exec, s[8:9]
.LBB552_163:
	s_or_b64 exec, exec, s[2:3]
	v_lshrrev_b16_e32 v38, 8, v40
	v_cmp_ne_u16_e32 vcc, 0, v38
	v_mov_b32_e32 v39, 0
	v_mov_b32_e32 v53, 0
	s_and_saveexec_b64 s[2:3], vcc
	s_cbranch_execz .LBB552_169
; %bb.164:
	s_movk_i32 s8, 0x80
	v_cmp_ne_u16_e32 vcc, s8, v38
	v_bfrev_b32_e32 v53, 1
	s_and_saveexec_b64 s[8:9], vcc
	s_cbranch_execz .LBB552_168
; %bb.165:
	s_movk_i32 s10, 0x7f
	v_and_b32_e32 v52, 0x7f, v38
	v_cmp_ne_u32_e32 vcc, s10, v52
	v_mov_b32_e32 v53, 0x7f800001
	s_and_saveexec_b64 s[10:11], vcc
	s_cbranch_execz .LBB552_167
; %bb.166:
	v_and_b32_e32 v53, 7, v38
	v_ffbh_u32_e32 v54, v53
	v_min_u32_e32 v57, 32, v54
	v_subrev_u32_e32 v54, 28, v57
	v_lshlrev_b64 v[54:55], v54, v[38:39]
	v_lshrrev_b32_e32 v56, 3, v52
	v_sub_u32_e32 v38, 29, v57
	v_and_b32_e32 v54, 7, v54
	v_cmp_gt_u32_e32 vcc, 8, v52
	v_cndmask_b32_e32 v38, v56, v38, vcc
	v_cndmask_b32_e32 v52, v53, v54, vcc
	v_lshlrev_b32_e32 v53, 16, v40
	v_bfrev_b32_e32 v54, 60
	v_lshlrev_b32_e32 v52, 20, v52
	v_and_b32_e32 v53, 0x80000000, v53
	v_lshl_add_u32 v38, v38, 23, v54
	v_or3_b32 v53, v53, v38, v52
.LBB552_167:
	s_or_b64 exec, exec, s[10:11]
.LBB552_168:
	s_or_b64 exec, exec, s[8:9]
.LBB552_169:
	s_or_b64 exec, exec, s[2:3]
	s_movk_i32 s2, 0xff
	v_and_b32_sdwa v52, v40, s2 dst_sel:DWORD dst_unused:UNUSED_PAD src0_sel:WORD_1 src1_sel:DWORD
	v_lshrrev_b32_e32 v38, 16, v40
	v_cmp_ne_u16_e32 vcc, 0, v52
	s_and_saveexec_b64 s[2:3], vcc
	s_cbranch_execz .LBB552_175
; %bb.170:
	s_movk_i32 s8, 0x80
	v_cmp_ne_u16_e32 vcc, s8, v52
	v_bfrev_b32_e32 v39, 1
	s_and_saveexec_b64 s[8:9], vcc
	s_cbranch_execz .LBB552_174
; %bb.171:
	v_bfe_u32 v52, v40, 16, 7
	s_movk_i32 s10, 0x7f
	v_cmp_ne_u32_e32 vcc, s10, v52
	v_mov_b32_e32 v39, 0x7f800001
	s_and_saveexec_b64 s[10:11], vcc
	s_cbranch_execz .LBB552_173
; %bb.172:
	v_and_b32_e32 v54, 7, v38
	v_ffbh_u32_e32 v39, v54
	v_min_u32_e32 v56, 32, v39
	v_subrev_u32_e32 v39, 28, v56
	v_lshlrev_b64 v[38:39], v39, v[38:39]
	v_lshrrev_b32_e32 v55, 3, v52
	v_sub_u32_e32 v39, 29, v56
	v_and_b32_e32 v38, 7, v38
	v_cmp_gt_u32_e32 vcc, 8, v52
	v_mov_b32_e32 v52, 24
	v_cndmask_b32_e32 v39, v55, v39, vcc
	v_cndmask_b32_e32 v38, v54, v38, vcc
	v_lshlrev_b32_sdwa v52, v52, v40 dst_sel:DWORD dst_unused:UNUSED_PAD src0_sel:DWORD src1_sel:WORD_1
	v_bfrev_b32_e32 v54, 60
	v_lshlrev_b32_e32 v38, 20, v38
	v_and_b32_e32 v52, 0x80000000, v52
	v_lshl_add_u32 v39, v39, 23, v54
	v_or3_b32 v39, v52, v39, v38
.LBB552_173:
	s_or_b64 exec, exec, s[10:11]
.LBB552_174:
	s_or_b64 exec, exec, s[8:9]
.LBB552_175:
	s_or_b64 exec, exec, s[2:3]
	s_mov_b32 s2, 0xffffff
	v_cmp_lt_u32_e32 vcc, s2, v40
	v_mov_b32_e32 v54, 0
	v_mov_b32_e32 v55, 0
	s_and_saveexec_b64 s[2:3], vcc
	s_cbranch_execz .LBB552_181
; %bb.176:
	v_lshrrev_b32_e32 v38, 24, v40
	s_movk_i32 s8, 0x80
	v_cmp_ne_u32_e32 vcc, s8, v38
	v_bfrev_b32_e32 v55, 1
	s_and_saveexec_b64 s[8:9], vcc
	s_cbranch_execz .LBB552_180
; %bb.177:
	v_bfe_u32 v40, v40, 24, 7
	s_movk_i32 s10, 0x7f
	v_cmp_ne_u32_e32 vcc, s10, v40
	v_mov_b32_e32 v55, 0x7f800001
	s_and_saveexec_b64 s[10:11], vcc
	s_cbranch_execz .LBB552_179
; %bb.178:
	v_and_b32_e32 v52, 7, v38
	v_ffbh_u32_e32 v56, v52
	v_min_u32_e32 v58, 32, v56
	v_subrev_u32_e32 v56, 28, v58
	v_lshlrev_b64 v[56:57], v56, v[38:39]
	v_lshrrev_b32_e32 v55, 3, v40
	v_sub_u32_e32 v57, 29, v58
	v_and_b32_e32 v56, 7, v56
	v_cmp_gt_u32_e32 vcc, 8, v40
	v_cndmask_b32_e32 v40, v55, v57, vcc
	v_cndmask_b32_e32 v52, v52, v56, vcc
	v_lshlrev_b32_e32 v38, 24, v38
	v_bfrev_b32_e32 v55, 60
	v_lshlrev_b32_e32 v52, 20, v52
	v_and_b32_e32 v38, 0x80000000, v38
	v_lshl_add_u32 v40, v40, 23, v55
	v_or3_b32 v55, v38, v40, v52
.LBB552_179:
	s_or_b64 exec, exec, s[10:11]
.LBB552_180:
	s_or_b64 exec, exec, s[8:9]
.LBB552_181:
	s_or_b64 exec, exec, s[2:3]
	v_cmp_ne_u16_sdwa s[8:9], v41, v54 src0_sel:BYTE_0 src1_sel:DWORD
	s_and_saveexec_b64 s[2:3], s[8:9]
	s_cbranch_execz .LBB552_187
; %bb.182:
	s_movk_i32 s8, 0x80
	v_cmp_ne_u16_sdwa s[10:11], v41, s8 src0_sel:BYTE_0 src1_sel:DWORD
	v_bfrev_b32_e32 v54, 1
	s_and_saveexec_b64 s[8:9], s[10:11]
	s_cbranch_execz .LBB552_186
; %bb.183:
	s_movk_i32 s10, 0x7f
	v_and_b32_e32 v38, 0x7f, v41
	v_cmp_ne_u32_e32 vcc, s10, v38
	v_mov_b32_e32 v54, 0x7f800001
	s_and_saveexec_b64 s[10:11], vcc
	s_cbranch_execz .LBB552_185
; %bb.184:
	v_and_b32_e32 v52, 7, v41
	v_ffbh_u32_e32 v56, v52
	v_min_u32_e32 v58, 32, v56
	v_mov_b32_e32 v40, v41
	v_subrev_u32_e32 v56, 28, v58
	v_lshlrev_b64 v[56:57], v56, v[40:41]
	v_lshrrev_b32_e32 v54, 3, v38
	v_sub_u32_e32 v40, 29, v58
	v_and_b32_e32 v56, 7, v56
	v_cmp_gt_u32_e32 vcc, 8, v38
	v_cndmask_b32_e32 v38, v54, v40, vcc
	v_cndmask_b32_e32 v40, v52, v56, vcc
	v_lshlrev_b32_e32 v52, 24, v41
	v_bfrev_b32_e32 v54, 60
	v_lshlrev_b32_e32 v40, 20, v40
	v_and_b32_e32 v52, 0x80000000, v52
	v_lshl_add_u32 v38, v38, 23, v54
	v_or3_b32 v54, v52, v38, v40
.LBB552_185:
	s_or_b64 exec, exec, s[10:11]
.LBB552_186:
	s_or_b64 exec, exec, s[8:9]
.LBB552_187:
	s_or_b64 exec, exec, s[2:3]
	v_lshrrev_b16_e32 v38, 8, v41
	v_cmp_ne_u16_e32 vcc, 0, v38
	v_mov_b32_e32 v40, 0
	v_mov_b32_e32 v56, 0
	s_and_saveexec_b64 s[2:3], vcc
	s_cbranch_execz .LBB552_193
; %bb.188:
	s_movk_i32 s8, 0x80
	v_cmp_ne_u16_e32 vcc, s8, v38
	v_bfrev_b32_e32 v56, 1
	s_and_saveexec_b64 s[8:9], vcc
	s_cbranch_execz .LBB552_192
; %bb.189:
	s_movk_i32 s10, 0x7f
	v_and_b32_e32 v52, 0x7f, v38
	v_cmp_ne_u32_e32 vcc, s10, v52
	v_mov_b32_e32 v56, 0x7f800001
	s_and_saveexec_b64 s[10:11], vcc
	s_cbranch_execz .LBB552_191
; %bb.190:
	v_and_b32_e32 v58, 7, v38
	v_ffbh_u32_e32 v56, v58
	v_min_u32_e32 v60, 32, v56
	v_subrev_u32_e32 v56, 28, v60
	v_lshlrev_b64 v[56:57], v56, v[38:39]
	v_lshrrev_b32_e32 v59, 3, v52
	v_sub_u32_e32 v38, 29, v60
	v_and_b32_e32 v56, 7, v56
	v_cmp_gt_u32_e32 vcc, 8, v52
	v_cndmask_b32_e32 v38, v59, v38, vcc
	v_cndmask_b32_e32 v52, v58, v56, vcc
	v_lshlrev_b32_e32 v56, 16, v41
	v_bfrev_b32_e32 v57, 60
	v_lshlrev_b32_e32 v52, 20, v52
	v_and_b32_e32 v56, 0x80000000, v56
	v_lshl_add_u32 v38, v38, 23, v57
	v_or3_b32 v56, v56, v38, v52
.LBB552_191:
	s_or_b64 exec, exec, s[10:11]
.LBB552_192:
	s_or_b64 exec, exec, s[8:9]
.LBB552_193:
	s_or_b64 exec, exec, s[2:3]
	s_movk_i32 s2, 0xff
	v_and_b32_sdwa v52, v41, s2 dst_sel:DWORD dst_unused:UNUSED_PAD src0_sel:WORD_1 src1_sel:DWORD
	v_lshrrev_b32_e32 v38, 16, v41
	v_cmp_ne_u16_e32 vcc, 0, v52
	s_and_saveexec_b64 s[2:3], vcc
	s_cbranch_execz .LBB552_199
; %bb.194:
	s_movk_i32 s8, 0x80
	v_cmp_ne_u16_e32 vcc, s8, v52
	v_bfrev_b32_e32 v40, 1
	s_and_saveexec_b64 s[8:9], vcc
	s_cbranch_execz .LBB552_198
; %bb.195:
	v_bfe_u32 v52, v41, 16, 7
	s_movk_i32 s10, 0x7f
	v_cmp_ne_u32_e32 vcc, s10, v52
	v_mov_b32_e32 v40, 0x7f800001
	s_and_saveexec_b64 s[10:11], vcc
	s_cbranch_execz .LBB552_197
; %bb.196:
	v_and_b32_e32 v40, 7, v38
	v_ffbh_u32_e32 v58, v40
	v_min_u32_e32 v60, 32, v58
	v_subrev_u32_e32 v58, 28, v60
	v_lshlrev_b64 v[58:59], v58, v[38:39]
	v_lshrrev_b32_e32 v57, 3, v52
	v_sub_u32_e32 v38, 29, v60
	v_and_b32_e32 v58, 7, v58
	v_cmp_gt_u32_e32 vcc, 8, v52
	v_mov_b32_e32 v52, 24
	v_cndmask_b32_e32 v38, v57, v38, vcc
	v_cndmask_b32_e32 v40, v40, v58, vcc
	v_lshlrev_b32_sdwa v52, v52, v41 dst_sel:DWORD dst_unused:UNUSED_PAD src0_sel:DWORD src1_sel:WORD_1
	v_bfrev_b32_e32 v57, 60
	v_lshlrev_b32_e32 v40, 20, v40
	v_and_b32_e32 v52, 0x80000000, v52
	v_lshl_add_u32 v38, v38, 23, v57
	v_or3_b32 v40, v52, v38, v40
.LBB552_197:
	s_or_b64 exec, exec, s[10:11]
.LBB552_198:
	s_or_b64 exec, exec, s[8:9]
.LBB552_199:
	s_or_b64 exec, exec, s[2:3]
	s_mov_b32 s2, 0xffffff
	v_cmp_lt_u32_e32 vcc, s2, v41
	v_mov_b32_e32 v52, 0
	v_mov_b32_e32 v57, 0
	s_and_saveexec_b64 s[2:3], vcc
	s_cbranch_execz .LBB552_205
; %bb.200:
	v_lshrrev_b32_e32 v38, 24, v41
	s_movk_i32 s8, 0x80
	v_cmp_ne_u32_e32 vcc, s8, v38
	v_bfrev_b32_e32 v57, 1
	s_and_saveexec_b64 s[8:9], vcc
	s_cbranch_execz .LBB552_204
; %bb.201:
	v_bfe_u32 v41, v41, 24, 7
	s_movk_i32 s10, 0x7f
	v_cmp_ne_u32_e32 vcc, s10, v41
	v_mov_b32_e32 v57, 0x7f800001
	s_and_saveexec_b64 s[10:11], vcc
	s_cbranch_execz .LBB552_203
; %bb.202:
	v_and_b32_e32 v57, 7, v38
	v_ffbh_u32_e32 v58, v57
	v_min_u32_e32 v61, 32, v58
	v_subrev_u32_e32 v58, 28, v61
	v_lshlrev_b64 v[58:59], v58, v[38:39]
	v_lshrrev_b32_e32 v60, 3, v41
	v_sub_u32_e32 v59, 29, v61
	v_and_b32_e32 v58, 7, v58
	v_cmp_gt_u32_e32 vcc, 8, v41
	v_cndmask_b32_e32 v41, v60, v59, vcc
	v_cndmask_b32_e32 v57, v57, v58, vcc
	v_lshlrev_b32_e32 v38, 24, v38
	v_bfrev_b32_e32 v58, 60
	v_lshlrev_b32_e32 v57, 20, v57
	v_and_b32_e32 v38, 0x80000000, v38
	v_lshl_add_u32 v41, v41, 23, v58
	v_or3_b32 v57, v38, v41, v57
.LBB552_203:
	s_or_b64 exec, exec, s[10:11]
.LBB552_204:
	s_or_b64 exec, exec, s[8:9]
.LBB552_205:
	s_or_b64 exec, exec, s[2:3]
	v_cvt_pkrtz_f16_f32 v38, v51, v53
	v_cvt_pkrtz_f16_f32 v39, v39, v55
	v_cmp_ne_u16_sdwa s[8:9], v30, v52 src0_sel:BYTE_0 src1_sel:DWORD
	s_nop 0
	v_mfma_f32_16x16x16f16 v[42:45], v[38:39], v[18:19], v[42:45]
	v_cvt_pkrtz_f16_f32 v38, v54, v56
	v_cvt_pkrtz_f16_f32 v39, v40, v57
	s_nop 1
	v_mfma_f32_16x16x16f16 v[38:41], v[38:39], v[20:21], v[42:45]
	s_and_saveexec_b64 s[2:3], s[8:9]
	s_cbranch_execz .LBB552_211
; %bb.206:
	s_movk_i32 s8, 0x80
	v_cmp_ne_u16_sdwa s[10:11], v30, s8 src0_sel:BYTE_0 src1_sel:DWORD
	v_bfrev_b32_e32 v52, 1
	s_and_saveexec_b64 s[8:9], s[10:11]
	s_cbranch_execz .LBB552_210
; %bb.207:
	s_movk_i32 s10, 0x7f
	v_and_b32_e32 v42, 0x7f, v30
	v_cmp_ne_u32_e32 vcc, s10, v42
	v_mov_b32_e32 v52, 0x7f800001
	s_and_saveexec_b64 s[10:11], vcc
	s_cbranch_execz .LBB552_209
; %bb.208:
	v_and_b32_e32 v43, 7, v30
	v_ffbh_u32_e32 v44, v43
	v_min_u32_e32 v52, 32, v44
	v_subrev_u32_e32 v44, 28, v52
	v_lshlrev_b64 v[44:45], v44, v[30:31]
	v_lshrrev_b32_e32 v51, 3, v42
	v_sub_u32_e32 v45, 29, v52
	v_and_b32_e32 v44, 7, v44
	v_cmp_gt_u32_e32 vcc, 8, v42
	v_cndmask_b32_e32 v42, v51, v45, vcc
	v_cndmask_b32_e32 v43, v43, v44, vcc
	v_lshlrev_b32_e32 v44, 24, v30
	v_bfrev_b32_e32 v45, 60
	v_lshlrev_b32_e32 v43, 20, v43
	v_and_b32_e32 v44, 0x80000000, v44
	v_lshl_add_u32 v42, v42, 23, v45
	v_or3_b32 v52, v44, v42, v43
.LBB552_209:
	s_or_b64 exec, exec, s[10:11]
.LBB552_210:
	s_or_b64 exec, exec, s[8:9]
.LBB552_211:
	s_or_b64 exec, exec, s[2:3]
	s_nop 3
	v_lshrrev_b16_e32 v42, 8, v30
	v_cmp_ne_u16_e32 vcc, 0, v42
	v_mov_b32_e32 v43, 0
	v_mov_b32_e32 v44, 0
	s_and_saveexec_b64 s[2:3], vcc
	s_cbranch_execz .LBB552_217
; %bb.212:
	s_movk_i32 s8, 0x80
	v_cmp_ne_u16_e32 vcc, s8, v42
	v_bfrev_b32_e32 v44, 1
	s_and_saveexec_b64 s[8:9], vcc
	s_cbranch_execz .LBB552_216
; %bb.213:
	s_movk_i32 s10, 0x7f
	v_and_b32_e32 v45, 0x7f, v42
	v_cmp_ne_u32_e32 vcc, s10, v45
	v_mov_b32_e32 v44, 0x7f800001
	s_and_saveexec_b64 s[10:11], vcc
	s_cbranch_execz .LBB552_215
; %bb.214:
	v_and_b32_e32 v44, 7, v42
	v_ffbh_u32_e32 v53, v44
	v_min_u32_e32 v53, 32, v53
	v_subrev_u32_e32 v54, 28, v53
	v_lshlrev_b64 v[54:55], v54, v[42:43]
	v_lshrrev_b32_e32 v51, 3, v45
	v_sub_u32_e32 v42, 29, v53
	v_and_b32_e32 v53, 7, v54
	v_cmp_gt_u32_e32 vcc, 8, v45
	v_cndmask_b32_e32 v42, v51, v42, vcc
	v_cndmask_b32_e32 v44, v44, v53, vcc
	v_lshlrev_b32_e32 v45, 16, v30
	v_bfrev_b32_e32 v51, 60
	v_lshlrev_b32_e32 v44, 20, v44
	v_and_b32_e32 v45, 0x80000000, v45
	v_lshl_add_u32 v42, v42, 23, v51
	v_or3_b32 v44, v45, v42, v44
.LBB552_215:
	s_or_b64 exec, exec, s[10:11]
.LBB552_216:
	s_or_b64 exec, exec, s[8:9]
.LBB552_217:
	s_or_b64 exec, exec, s[2:3]
	s_movk_i32 s2, 0xff
	v_and_b32_sdwa v45, v30, s2 dst_sel:DWORD dst_unused:UNUSED_PAD src0_sel:WORD_1 src1_sel:DWORD
	v_lshrrev_b32_e32 v42, 16, v30
	v_cmp_ne_u16_e32 vcc, 0, v45
	s_and_saveexec_b64 s[2:3], vcc
	s_cbranch_execz .LBB552_223
; %bb.218:
	s_movk_i32 s8, 0x80
	v_cmp_ne_u16_e32 vcc, s8, v45
	v_bfrev_b32_e32 v43, 1
	s_and_saveexec_b64 s[8:9], vcc
	s_cbranch_execz .LBB552_222
; %bb.219:
	v_bfe_u32 v45, v30, 16, 7
	s_movk_i32 s10, 0x7f
	v_cmp_ne_u32_e32 vcc, s10, v45
	v_mov_b32_e32 v43, 0x7f800001
	s_and_saveexec_b64 s[10:11], vcc
	s_cbranch_execz .LBB552_221
; %bb.220:
	v_and_b32_e32 v51, 7, v42
	v_ffbh_u32_e32 v43, v51
	v_min_u32_e32 v54, 32, v43
	v_subrev_u32_e32 v43, 28, v54
	v_lshlrev_b64 v[42:43], v43, v[42:43]
	v_lshrrev_b32_e32 v53, 3, v45
	v_sub_u32_e32 v43, 29, v54
	v_and_b32_e32 v42, 7, v42
	v_cmp_gt_u32_e32 vcc, 8, v45
	v_mov_b32_e32 v45, 24
	v_cndmask_b32_e32 v43, v53, v43, vcc
	v_cndmask_b32_e32 v42, v51, v42, vcc
	v_lshlrev_b32_sdwa v45, v45, v30 dst_sel:DWORD dst_unused:UNUSED_PAD src0_sel:DWORD src1_sel:WORD_1
	v_bfrev_b32_e32 v51, 60
	v_lshlrev_b32_e32 v42, 20, v42
	v_and_b32_e32 v45, 0x80000000, v45
	v_lshl_add_u32 v43, v43, 23, v51
	v_or3_b32 v43, v45, v43, v42
.LBB552_221:
	s_or_b64 exec, exec, s[10:11]
.LBB552_222:
	s_or_b64 exec, exec, s[8:9]
.LBB552_223:
	s_or_b64 exec, exec, s[2:3]
	s_mov_b32 s2, 0xffffff
	v_cmp_lt_u32_e32 vcc, s2, v30
	v_mov_b32_e32 v45, 0
	v_mov_b32_e32 v53, 0
	s_and_saveexec_b64 s[2:3], vcc
	s_cbranch_execz .LBB552_229
; %bb.224:
	v_lshrrev_b32_e32 v42, 24, v30
	s_movk_i32 s8, 0x80
	v_cmp_ne_u32_e32 vcc, s8, v42
	v_bfrev_b32_e32 v53, 1
	s_and_saveexec_b64 s[8:9], vcc
	s_cbranch_execz .LBB552_228
; %bb.225:
	v_bfe_u32 v30, v30, 24, 7
	s_movk_i32 s10, 0x7f
	v_cmp_ne_u32_e32 vcc, s10, v30
	v_mov_b32_e32 v53, 0x7f800001
	s_and_saveexec_b64 s[10:11], vcc
	s_cbranch_execz .LBB552_227
; %bb.226:
	v_and_b32_e32 v51, 7, v42
	v_ffbh_u32_e32 v54, v51
	v_min_u32_e32 v56, 32, v54
	v_subrev_u32_e32 v54, 28, v56
	v_lshlrev_b64 v[54:55], v54, v[42:43]
	v_lshrrev_b32_e32 v53, 3, v30
	v_sub_u32_e32 v55, 29, v56
	v_and_b32_e32 v54, 7, v54
	v_cmp_gt_u32_e32 vcc, 8, v30
	v_cndmask_b32_e32 v30, v53, v55, vcc
	v_cndmask_b32_e32 v51, v51, v54, vcc
	v_lshlrev_b32_e32 v42, 24, v42
	v_bfrev_b32_e32 v53, 60
	v_lshlrev_b32_e32 v51, 20, v51
	v_and_b32_e32 v42, 0x80000000, v42
	v_lshl_add_u32 v30, v30, 23, v53
	v_or3_b32 v53, v42, v30, v51
.LBB552_227:
	s_or_b64 exec, exec, s[10:11]
.LBB552_228:
	s_or_b64 exec, exec, s[8:9]
.LBB552_229:
	s_or_b64 exec, exec, s[2:3]
	v_cmp_ne_u16_sdwa s[8:9], v31, v45 src0_sel:BYTE_0 src1_sel:DWORD
	s_and_saveexec_b64 s[2:3], s[8:9]
	s_cbranch_execz .LBB552_235
; %bb.230:
	s_movk_i32 s8, 0x80
	v_cmp_ne_u16_sdwa s[10:11], v31, s8 src0_sel:BYTE_0 src1_sel:DWORD
	v_bfrev_b32_e32 v45, 1
	s_and_saveexec_b64 s[8:9], s[10:11]
	s_cbranch_execz .LBB552_234
; %bb.231:
	s_movk_i32 s10, 0x7f
	v_and_b32_e32 v30, 0x7f, v31
	v_cmp_ne_u32_e32 vcc, s10, v30
	v_mov_b32_e32 v45, 0x7f800001
	s_and_saveexec_b64 s[10:11], vcc
	s_cbranch_execz .LBB552_233
; %bb.232:
	v_and_b32_e32 v45, 7, v31
	v_ffbh_u32_e32 v54, v45
	v_min_u32_e32 v56, 32, v54
	v_mov_b32_e32 v42, v31
	v_subrev_u32_e32 v54, 28, v56
	v_lshlrev_b64 v[54:55], v54, v[42:43]
	v_lshrrev_b32_e32 v51, 3, v30
	v_sub_u32_e32 v42, 29, v56
	v_and_b32_e32 v54, 7, v54
	v_cmp_gt_u32_e32 vcc, 8, v30
	v_cndmask_b32_e32 v30, v51, v42, vcc
	v_cndmask_b32_e32 v42, v45, v54, vcc
	v_lshlrev_b32_e32 v45, 24, v31
	v_bfrev_b32_e32 v51, 60
	v_lshlrev_b32_e32 v42, 20, v42
	v_and_b32_e32 v45, 0x80000000, v45
	v_lshl_add_u32 v30, v30, 23, v51
	v_or3_b32 v45, v45, v30, v42
.LBB552_233:
	s_or_b64 exec, exec, s[10:11]
.LBB552_234:
	s_or_b64 exec, exec, s[8:9]
.LBB552_235:
	s_or_b64 exec, exec, s[2:3]
	v_lshrrev_b16_e32 v30, 8, v31
	v_cmp_ne_u16_e32 vcc, 0, v30
	v_mov_b32_e32 v42, 0
	v_mov_b32_e32 v54, 0
	s_and_saveexec_b64 s[2:3], vcc
	s_cbranch_execz .LBB552_241
; %bb.236:
	s_movk_i32 s8, 0x80
	v_cmp_ne_u16_e32 vcc, s8, v30
	v_bfrev_b32_e32 v54, 1
	s_and_saveexec_b64 s[8:9], vcc
	s_cbranch_execz .LBB552_240
; %bb.237:
	s_movk_i32 s10, 0x7f
	v_and_b32_e32 v51, 0x7f, v30
	v_cmp_ne_u32_e32 vcc, s10, v51
	v_mov_b32_e32 v54, 0x7f800001
	s_and_saveexec_b64 s[10:11], vcc
	s_cbranch_execz .LBB552_239
; %bb.238:
	v_and_b32_e32 v56, 7, v30
	v_ffbh_u32_e32 v54, v56
	v_min_u32_e32 v58, 32, v54
	v_subrev_u32_e32 v54, 28, v58
	v_lshlrev_b64 v[54:55], v54, v[30:31]
	v_lshrrev_b32_e32 v57, 3, v51
	v_sub_u32_e32 v30, 29, v58
	v_and_b32_e32 v54, 7, v54
	v_cmp_gt_u32_e32 vcc, 8, v51
	v_cndmask_b32_e32 v30, v57, v30, vcc
	v_cndmask_b32_e32 v51, v56, v54, vcc
	v_lshlrev_b32_e32 v54, 16, v31
	v_bfrev_b32_e32 v55, 60
	v_lshlrev_b32_e32 v51, 20, v51
	v_and_b32_e32 v54, 0x80000000, v54
	v_lshl_add_u32 v30, v30, 23, v55
	v_or3_b32 v54, v54, v30, v51
.LBB552_239:
	s_or_b64 exec, exec, s[10:11]
.LBB552_240:
	s_or_b64 exec, exec, s[8:9]
.LBB552_241:
	s_or_b64 exec, exec, s[2:3]
	s_movk_i32 s2, 0xff
	v_and_b32_sdwa v51, v31, s2 dst_sel:DWORD dst_unused:UNUSED_PAD src0_sel:WORD_1 src1_sel:DWORD
	v_lshrrev_b32_e32 v30, 16, v31
	v_cmp_ne_u16_e32 vcc, 0, v51
	s_and_saveexec_b64 s[2:3], vcc
	s_cbranch_execz .LBB552_247
; %bb.242:
	s_movk_i32 s8, 0x80
	v_cmp_ne_u16_e32 vcc, s8, v51
	v_bfrev_b32_e32 v42, 1
	s_and_saveexec_b64 s[8:9], vcc
	s_cbranch_execz .LBB552_246
; %bb.243:
	v_bfe_u32 v51, v31, 16, 7
	s_movk_i32 s10, 0x7f
	v_cmp_ne_u32_e32 vcc, s10, v51
	v_mov_b32_e32 v42, 0x7f800001
	s_and_saveexec_b64 s[10:11], vcc
	s_cbranch_execz .LBB552_245
; %bb.244:
	v_and_b32_e32 v42, 7, v30
	v_ffbh_u32_e32 v56, v42
	v_min_u32_e32 v58, 32, v56
	v_subrev_u32_e32 v56, 28, v58
	v_lshlrev_b64 v[56:57], v56, v[30:31]
	v_lshrrev_b32_e32 v55, 3, v51
	v_sub_u32_e32 v30, 29, v58
	v_and_b32_e32 v56, 7, v56
	v_cmp_gt_u32_e32 vcc, 8, v51
	v_mov_b32_e32 v51, 24
	v_cndmask_b32_e32 v30, v55, v30, vcc
	v_cndmask_b32_e32 v42, v42, v56, vcc
	v_lshlrev_b32_sdwa v51, v51, v31 dst_sel:DWORD dst_unused:UNUSED_PAD src0_sel:DWORD src1_sel:WORD_1
	v_bfrev_b32_e32 v55, 60
	v_lshlrev_b32_e32 v42, 20, v42
	v_and_b32_e32 v51, 0x80000000, v51
	v_lshl_add_u32 v30, v30, 23, v55
	v_or3_b32 v42, v51, v30, v42
.LBB552_245:
	s_or_b64 exec, exec, s[10:11]
.LBB552_246:
	s_or_b64 exec, exec, s[8:9]
.LBB552_247:
	s_or_b64 exec, exec, s[2:3]
	s_mov_b32 s2, 0xffffff
	v_cmp_lt_u32_e32 vcc, s2, v31
	v_mov_b32_e32 v51, 0
	v_mov_b32_e32 v55, 0
	s_and_saveexec_b64 s[2:3], vcc
	s_cbranch_execz .LBB552_253
; %bb.248:
	v_lshrrev_b32_e32 v30, 24, v31
	s_movk_i32 s8, 0x80
	v_cmp_ne_u32_e32 vcc, s8, v30
	v_bfrev_b32_e32 v55, 1
	s_and_saveexec_b64 s[8:9], vcc
	s_cbranch_execz .LBB552_252
; %bb.249:
	v_bfe_u32 v31, v31, 24, 7
	s_movk_i32 s10, 0x7f
	v_cmp_ne_u32_e32 vcc, s10, v31
	v_mov_b32_e32 v55, 0x7f800001
	s_and_saveexec_b64 s[10:11], vcc
	s_cbranch_execz .LBB552_251
; %bb.250:
	v_and_b32_e32 v55, 7, v30
	v_ffbh_u32_e32 v56, v55
	v_min_u32_e32 v59, 32, v56
	v_subrev_u32_e32 v56, 28, v59
	v_lshlrev_b64 v[56:57], v56, v[30:31]
	v_lshrrev_b32_e32 v58, 3, v31
	v_sub_u32_e32 v57, 29, v59
	v_and_b32_e32 v56, 7, v56
	v_cmp_gt_u32_e32 vcc, 8, v31
	v_cndmask_b32_e32 v31, v58, v57, vcc
	v_cndmask_b32_e32 v55, v55, v56, vcc
	v_lshlrev_b32_e32 v30, 24, v30
	v_bfrev_b32_e32 v56, 60
	v_lshlrev_b32_e32 v55, 20, v55
	v_and_b32_e32 v30, 0x80000000, v30
	v_lshl_add_u32 v31, v31, 23, v56
	v_or3_b32 v55, v30, v31, v55
.LBB552_251:
	s_or_b64 exec, exec, s[10:11]
.LBB552_252:
	s_or_b64 exec, exec, s[8:9]
.LBB552_253:
	s_or_b64 exec, exec, s[2:3]
	v_cvt_pkrtz_f16_f32 v30, v52, v44
	v_cvt_pkrtz_f16_f32 v31, v43, v53
	v_cmp_ne_u16_sdwa s[8:9], v32, v51 src0_sel:BYTE_0 src1_sel:DWORD
	s_nop 0
	v_mfma_f32_16x16x16f16 v[56:59], v[30:31], v[26:27], 0
	v_cvt_pkrtz_f16_f32 v30, v45, v54
	v_cvt_pkrtz_f16_f32 v31, v42, v55
	s_nop 1
	v_mfma_f32_16x16x16f16 v[42:45], v[30:31], v[28:29], v[56:59]
	s_and_saveexec_b64 s[2:3], s[8:9]
	s_cbranch_execz .LBB552_259
; %bb.254:
	s_movk_i32 s8, 0x80
	v_cmp_ne_u16_sdwa s[10:11], v32, s8 src0_sel:BYTE_0 src1_sel:DWORD
	v_bfrev_b32_e32 v51, 1
	s_and_saveexec_b64 s[8:9], s[10:11]
	s_cbranch_execz .LBB552_258
; %bb.255:
	s_movk_i32 s10, 0x7f
	v_and_b32_e32 v30, 0x7f, v32
	v_cmp_ne_u32_e32 vcc, s10, v30
	v_mov_b32_e32 v51, 0x7f800001
	s_and_saveexec_b64 s[10:11], vcc
	s_cbranch_execz .LBB552_257
; %bb.256:
	v_and_b32_e32 v31, 7, v32
	v_ffbh_u32_e32 v52, v31
	v_min_u32_e32 v54, 32, v52
	v_subrev_u32_e32 v52, 28, v54
	v_lshlrev_b64 v[52:53], v52, v[32:33]
	v_lshrrev_b32_e32 v51, 3, v30
	v_sub_u32_e32 v53, 29, v54
	v_and_b32_e32 v52, 7, v52
	v_cmp_gt_u32_e32 vcc, 8, v30
	v_cndmask_b32_e32 v30, v51, v53, vcc
	v_cndmask_b32_e32 v31, v31, v52, vcc
	v_lshlrev_b32_e32 v51, 24, v32
	v_bfrev_b32_e32 v52, 60
	v_lshlrev_b32_e32 v31, 20, v31
	v_and_b32_e32 v51, 0x80000000, v51
	v_lshl_add_u32 v30, v30, 23, v52
	v_or3_b32 v51, v51, v30, v31
.LBB552_257:
	s_or_b64 exec, exec, s[10:11]
.LBB552_258:
	s_or_b64 exec, exec, s[8:9]
.LBB552_259:
	s_or_b64 exec, exec, s[2:3]
	v_lshrrev_b16_e32 v30, 8, v32
	v_cmp_ne_u16_e32 vcc, 0, v30
	v_mov_b32_e32 v31, 0
	v_mov_b32_e32 v53, 0
	s_and_saveexec_b64 s[2:3], vcc
	s_cbranch_execz .LBB552_265
; %bb.260:
	s_movk_i32 s8, 0x80
	v_cmp_ne_u16_e32 vcc, s8, v30
	v_bfrev_b32_e32 v53, 1
	s_and_saveexec_b64 s[8:9], vcc
	s_cbranch_execz .LBB552_264
; %bb.261:
	s_movk_i32 s10, 0x7f
	v_and_b32_e32 v52, 0x7f, v30
	v_cmp_ne_u32_e32 vcc, s10, v52
	v_mov_b32_e32 v53, 0x7f800001
	s_and_saveexec_b64 s[10:11], vcc
	s_cbranch_execz .LBB552_263
; %bb.262:
	v_and_b32_e32 v53, 7, v30
	v_ffbh_u32_e32 v54, v53
	v_min_u32_e32 v57, 32, v54
	v_subrev_u32_e32 v54, 28, v57
	v_lshlrev_b64 v[54:55], v54, v[30:31]
	v_lshrrev_b32_e32 v56, 3, v52
	v_sub_u32_e32 v30, 29, v57
	v_and_b32_e32 v54, 7, v54
	v_cmp_gt_u32_e32 vcc, 8, v52
	v_cndmask_b32_e32 v30, v56, v30, vcc
	v_cndmask_b32_e32 v52, v53, v54, vcc
	v_lshlrev_b32_e32 v53, 16, v32
	v_bfrev_b32_e32 v54, 60
	v_lshlrev_b32_e32 v52, 20, v52
	v_and_b32_e32 v53, 0x80000000, v53
	v_lshl_add_u32 v30, v30, 23, v54
	v_or3_b32 v53, v53, v30, v52
.LBB552_263:
	s_or_b64 exec, exec, s[10:11]
.LBB552_264:
	s_or_b64 exec, exec, s[8:9]
.LBB552_265:
	s_or_b64 exec, exec, s[2:3]
	s_movk_i32 s2, 0xff
	v_and_b32_sdwa v52, v32, s2 dst_sel:DWORD dst_unused:UNUSED_PAD src0_sel:WORD_1 src1_sel:DWORD
	v_lshrrev_b32_e32 v30, 16, v32
	v_cmp_ne_u16_e32 vcc, 0, v52
	s_and_saveexec_b64 s[2:3], vcc
	s_cbranch_execz .LBB552_271
; %bb.266:
	s_movk_i32 s8, 0x80
	v_cmp_ne_u16_e32 vcc, s8, v52
	v_bfrev_b32_e32 v31, 1
	s_and_saveexec_b64 s[8:9], vcc
	s_cbranch_execz .LBB552_270
; %bb.267:
	v_bfe_u32 v52, v32, 16, 7
	s_movk_i32 s10, 0x7f
	v_cmp_ne_u32_e32 vcc, s10, v52
	v_mov_b32_e32 v31, 0x7f800001
	s_and_saveexec_b64 s[10:11], vcc
	s_cbranch_execz .LBB552_269
; %bb.268:
	v_and_b32_e32 v54, 7, v30
	v_ffbh_u32_e32 v31, v54
	v_min_u32_e32 v56, 32, v31
	v_subrev_u32_e32 v31, 28, v56
	v_lshlrev_b64 v[30:31], v31, v[30:31]
	v_lshrrev_b32_e32 v55, 3, v52
	v_sub_u32_e32 v31, 29, v56
	v_and_b32_e32 v30, 7, v30
	v_cmp_gt_u32_e32 vcc, 8, v52
	v_mov_b32_e32 v52, 24
	v_cndmask_b32_e32 v31, v55, v31, vcc
	v_cndmask_b32_e32 v30, v54, v30, vcc
	v_lshlrev_b32_sdwa v52, v52, v32 dst_sel:DWORD dst_unused:UNUSED_PAD src0_sel:DWORD src1_sel:WORD_1
	v_bfrev_b32_e32 v54, 60
	v_lshlrev_b32_e32 v30, 20, v30
	v_and_b32_e32 v52, 0x80000000, v52
	v_lshl_add_u32 v31, v31, 23, v54
	v_or3_b32 v31, v52, v31, v30
.LBB552_269:
	s_or_b64 exec, exec, s[10:11]
.LBB552_270:
	s_or_b64 exec, exec, s[8:9]
.LBB552_271:
	s_or_b64 exec, exec, s[2:3]
	s_mov_b32 s2, 0xffffff
	v_cmp_lt_u32_e32 vcc, s2, v32
	v_mov_b32_e32 v54, 0
	v_mov_b32_e32 v55, 0
	s_and_saveexec_b64 s[2:3], vcc
	s_cbranch_execz .LBB552_277
; %bb.272:
	v_lshrrev_b32_e32 v30, 24, v32
	s_movk_i32 s8, 0x80
	v_cmp_ne_u32_e32 vcc, s8, v30
	v_bfrev_b32_e32 v55, 1
	s_and_saveexec_b64 s[8:9], vcc
	s_cbranch_execz .LBB552_276
; %bb.273:
	v_bfe_u32 v32, v32, 24, 7
	s_movk_i32 s10, 0x7f
	v_cmp_ne_u32_e32 vcc, s10, v32
	v_mov_b32_e32 v55, 0x7f800001
	s_and_saveexec_b64 s[10:11], vcc
	s_cbranch_execz .LBB552_275
; %bb.274:
	v_and_b32_e32 v52, 7, v30
	v_ffbh_u32_e32 v56, v52
	v_min_u32_e32 v58, 32, v56
	v_subrev_u32_e32 v56, 28, v58
	v_lshlrev_b64 v[56:57], v56, v[30:31]
	v_lshrrev_b32_e32 v55, 3, v32
	v_sub_u32_e32 v57, 29, v58
	v_and_b32_e32 v56, 7, v56
	v_cmp_gt_u32_e32 vcc, 8, v32
	v_cndmask_b32_e32 v32, v55, v57, vcc
	v_cndmask_b32_e32 v52, v52, v56, vcc
	v_lshlrev_b32_e32 v30, 24, v30
	v_bfrev_b32_e32 v55, 60
	v_lshlrev_b32_e32 v52, 20, v52
	v_and_b32_e32 v30, 0x80000000, v30
	v_lshl_add_u32 v32, v32, 23, v55
	v_or3_b32 v55, v30, v32, v52
.LBB552_275:
	s_or_b64 exec, exec, s[10:11]
.LBB552_276:
	s_or_b64 exec, exec, s[8:9]
.LBB552_277:
	s_or_b64 exec, exec, s[2:3]
	v_cmp_ne_u16_sdwa s[8:9], v33, v54 src0_sel:BYTE_0 src1_sel:DWORD
	s_and_saveexec_b64 s[2:3], s[8:9]
	s_cbranch_execz .LBB552_283
; %bb.278:
	s_movk_i32 s8, 0x80
	v_cmp_ne_u16_sdwa s[10:11], v33, s8 src0_sel:BYTE_0 src1_sel:DWORD
	v_bfrev_b32_e32 v54, 1
	s_and_saveexec_b64 s[8:9], s[10:11]
	s_cbranch_execz .LBB552_282
; %bb.279:
	s_movk_i32 s10, 0x7f
	v_and_b32_e32 v30, 0x7f, v33
	v_cmp_ne_u32_e32 vcc, s10, v30
	v_mov_b32_e32 v54, 0x7f800001
	s_and_saveexec_b64 s[10:11], vcc
	s_cbranch_execz .LBB552_281
; %bb.280:
	v_and_b32_e32 v52, 7, v33
	v_ffbh_u32_e32 v56, v52
	v_min_u32_e32 v58, 32, v56
	v_mov_b32_e32 v32, v33
	v_subrev_u32_e32 v56, 28, v58
	v_lshlrev_b64 v[56:57], v56, v[32:33]
	v_lshrrev_b32_e32 v54, 3, v30
	v_sub_u32_e32 v32, 29, v58
	v_and_b32_e32 v56, 7, v56
	v_cmp_gt_u32_e32 vcc, 8, v30
	v_cndmask_b32_e32 v30, v54, v32, vcc
	v_cndmask_b32_e32 v32, v52, v56, vcc
	v_lshlrev_b32_e32 v52, 24, v33
	v_bfrev_b32_e32 v54, 60
	v_lshlrev_b32_e32 v32, 20, v32
	v_and_b32_e32 v52, 0x80000000, v52
	v_lshl_add_u32 v30, v30, 23, v54
	v_or3_b32 v54, v52, v30, v32
.LBB552_281:
	s_or_b64 exec, exec, s[10:11]
.LBB552_282:
	s_or_b64 exec, exec, s[8:9]
.LBB552_283:
	s_or_b64 exec, exec, s[2:3]
	v_lshrrev_b16_e32 v30, 8, v33
	v_cmp_ne_u16_e32 vcc, 0, v30
	v_mov_b32_e32 v32, 0
	v_mov_b32_e32 v56, 0
	s_and_saveexec_b64 s[2:3], vcc
	s_cbranch_execz .LBB552_289
; %bb.284:
	s_movk_i32 s8, 0x80
	v_cmp_ne_u16_e32 vcc, s8, v30
	v_bfrev_b32_e32 v56, 1
	s_and_saveexec_b64 s[8:9], vcc
	s_cbranch_execz .LBB552_288
; %bb.285:
	s_movk_i32 s10, 0x7f
	v_and_b32_e32 v52, 0x7f, v30
	v_cmp_ne_u32_e32 vcc, s10, v52
	v_mov_b32_e32 v56, 0x7f800001
	s_and_saveexec_b64 s[10:11], vcc
	s_cbranch_execz .LBB552_287
; %bb.286:
	v_and_b32_e32 v58, 7, v30
	v_ffbh_u32_e32 v56, v58
	v_min_u32_e32 v60, 32, v56
	v_subrev_u32_e32 v56, 28, v60
	v_lshlrev_b64 v[56:57], v56, v[30:31]
	v_lshrrev_b32_e32 v59, 3, v52
	v_sub_u32_e32 v30, 29, v60
	v_and_b32_e32 v56, 7, v56
	v_cmp_gt_u32_e32 vcc, 8, v52
	v_cndmask_b32_e32 v30, v59, v30, vcc
	v_cndmask_b32_e32 v52, v58, v56, vcc
	v_lshlrev_b32_e32 v56, 16, v33
	v_bfrev_b32_e32 v57, 60
	v_lshlrev_b32_e32 v52, 20, v52
	v_and_b32_e32 v56, 0x80000000, v56
	v_lshl_add_u32 v30, v30, 23, v57
	v_or3_b32 v56, v56, v30, v52
.LBB552_287:
	s_or_b64 exec, exec, s[10:11]
.LBB552_288:
	s_or_b64 exec, exec, s[8:9]
.LBB552_289:
	s_or_b64 exec, exec, s[2:3]
	s_movk_i32 s2, 0xff
	v_and_b32_sdwa v52, v33, s2 dst_sel:DWORD dst_unused:UNUSED_PAD src0_sel:WORD_1 src1_sel:DWORD
	v_lshrrev_b32_e32 v30, 16, v33
	v_cmp_ne_u16_e32 vcc, 0, v52
	s_and_saveexec_b64 s[2:3], vcc
	s_cbranch_execz .LBB552_295
; %bb.290:
	s_movk_i32 s8, 0x80
	v_cmp_ne_u16_e32 vcc, s8, v52
	v_bfrev_b32_e32 v32, 1
	s_and_saveexec_b64 s[8:9], vcc
	s_cbranch_execz .LBB552_294
; %bb.291:
	v_bfe_u32 v52, v33, 16, 7
	s_movk_i32 s10, 0x7f
	v_cmp_ne_u32_e32 vcc, s10, v52
	v_mov_b32_e32 v32, 0x7f800001
	s_and_saveexec_b64 s[10:11], vcc
	s_cbranch_execz .LBB552_293
; %bb.292:
	v_and_b32_e32 v32, 7, v30
	v_ffbh_u32_e32 v58, v32
	v_min_u32_e32 v60, 32, v58
	v_subrev_u32_e32 v58, 28, v60
	v_lshlrev_b64 v[58:59], v58, v[30:31]
	v_lshrrev_b32_e32 v57, 3, v52
	v_sub_u32_e32 v30, 29, v60
	v_and_b32_e32 v58, 7, v58
	v_cmp_gt_u32_e32 vcc, 8, v52
	v_mov_b32_e32 v52, 24
	v_cndmask_b32_e32 v30, v57, v30, vcc
	v_cndmask_b32_e32 v32, v32, v58, vcc
	v_lshlrev_b32_sdwa v52, v52, v33 dst_sel:DWORD dst_unused:UNUSED_PAD src0_sel:DWORD src1_sel:WORD_1
	v_bfrev_b32_e32 v57, 60
	v_lshlrev_b32_e32 v32, 20, v32
	v_and_b32_e32 v52, 0x80000000, v52
	v_lshl_add_u32 v30, v30, 23, v57
	v_or3_b32 v32, v52, v30, v32
.LBB552_293:
	s_or_b64 exec, exec, s[10:11]
.LBB552_294:
	s_or_b64 exec, exec, s[8:9]
.LBB552_295:
	s_or_b64 exec, exec, s[2:3]
	s_mov_b32 s2, 0xffffff
	v_cmp_lt_u32_e32 vcc, s2, v33
	v_mov_b32_e32 v52, 0
	v_mov_b32_e32 v57, 0
	s_and_saveexec_b64 s[2:3], vcc
	s_cbranch_execz .LBB552_301
; %bb.296:
	v_lshrrev_b32_e32 v30, 24, v33
	s_movk_i32 s8, 0x80
	v_cmp_ne_u32_e32 vcc, s8, v30
	v_bfrev_b32_e32 v57, 1
	s_and_saveexec_b64 s[8:9], vcc
	s_cbranch_execz .LBB552_300
; %bb.297:
	v_bfe_u32 v33, v33, 24, 7
	s_movk_i32 s10, 0x7f
	v_cmp_ne_u32_e32 vcc, s10, v33
	v_mov_b32_e32 v57, 0x7f800001
	s_and_saveexec_b64 s[10:11], vcc
	s_cbranch_execz .LBB552_299
; %bb.298:
	v_and_b32_e32 v57, 7, v30
	v_ffbh_u32_e32 v58, v57
	v_min_u32_e32 v61, 32, v58
	v_subrev_u32_e32 v58, 28, v61
	v_lshlrev_b64 v[58:59], v58, v[30:31]
	v_lshrrev_b32_e32 v60, 3, v33
	v_sub_u32_e32 v59, 29, v61
	v_and_b32_e32 v58, 7, v58
	v_cmp_gt_u32_e32 vcc, 8, v33
	v_cndmask_b32_e32 v33, v60, v59, vcc
	v_cndmask_b32_e32 v57, v57, v58, vcc
	v_lshlrev_b32_e32 v30, 24, v30
	v_bfrev_b32_e32 v58, 60
	v_lshlrev_b32_e32 v57, 20, v57
	v_and_b32_e32 v30, 0x80000000, v30
	v_lshl_add_u32 v33, v33, 23, v58
	v_or3_b32 v57, v30, v33, v57
.LBB552_299:
	s_or_b64 exec, exec, s[10:11]
.LBB552_300:
	s_or_b64 exec, exec, s[8:9]
.LBB552_301:
	s_or_b64 exec, exec, s[2:3]
	v_cvt_pkrtz_f16_f32 v30, v51, v53
	v_cvt_pkrtz_f16_f32 v31, v31, v55
	v_cmp_ne_u16_sdwa s[8:9], v22, v52 src0_sel:BYTE_0 src1_sel:DWORD
	s_nop 0
	v_mfma_f32_16x16x16f16 v[42:45], v[30:31], v[18:19], v[42:45]
	v_cvt_pkrtz_f16_f32 v30, v54, v56
	v_cvt_pkrtz_f16_f32 v31, v32, v57
	s_nop 1
	v_mfma_f32_16x16x16f16 v[30:33], v[30:31], v[20:21], v[42:45]
	s_and_saveexec_b64 s[2:3], s[8:9]
	s_cbranch_execz .LBB552_307
; %bb.302:
	s_movk_i32 s8, 0x80
	v_cmp_ne_u16_sdwa s[10:11], v22, s8 src0_sel:BYTE_0 src1_sel:DWORD
	v_bfrev_b32_e32 v52, 1
	s_and_saveexec_b64 s[8:9], s[10:11]
	s_cbranch_execz .LBB552_306
; %bb.303:
	s_movk_i32 s10, 0x7f
	v_and_b32_e32 v42, 0x7f, v22
	v_cmp_ne_u32_e32 vcc, s10, v42
	v_mov_b32_e32 v52, 0x7f800001
	s_and_saveexec_b64 s[10:11], vcc
	s_cbranch_execz .LBB552_305
; %bb.304:
	v_and_b32_e32 v43, 7, v22
	v_ffbh_u32_e32 v44, v43
	v_min_u32_e32 v52, 32, v44
	v_subrev_u32_e32 v44, 28, v52
	v_lshlrev_b64 v[44:45], v44, v[22:23]
	v_lshrrev_b32_e32 v51, 3, v42
	v_sub_u32_e32 v45, 29, v52
	v_and_b32_e32 v44, 7, v44
	v_cmp_gt_u32_e32 vcc, 8, v42
	v_cndmask_b32_e32 v42, v51, v45, vcc
	v_cndmask_b32_e32 v43, v43, v44, vcc
	v_lshlrev_b32_e32 v44, 24, v22
	v_bfrev_b32_e32 v45, 60
	v_lshlrev_b32_e32 v43, 20, v43
	v_and_b32_e32 v44, 0x80000000, v44
	v_lshl_add_u32 v42, v42, 23, v45
	v_or3_b32 v52, v44, v42, v43
.LBB552_305:
	s_or_b64 exec, exec, s[10:11]
.LBB552_306:
	s_or_b64 exec, exec, s[8:9]
.LBB552_307:
	s_or_b64 exec, exec, s[2:3]
	s_nop 3
	v_lshrrev_b16_e32 v42, 8, v22
	v_cmp_ne_u16_e32 vcc, 0, v42
	v_mov_b32_e32 v43, 0
	v_mov_b32_e32 v44, 0
	s_and_saveexec_b64 s[2:3], vcc
	s_cbranch_execz .LBB552_313
; %bb.308:
	s_movk_i32 s8, 0x80
	v_cmp_ne_u16_e32 vcc, s8, v42
	v_bfrev_b32_e32 v44, 1
	s_and_saveexec_b64 s[8:9], vcc
	s_cbranch_execz .LBB552_312
; %bb.309:
	s_movk_i32 s10, 0x7f
	v_and_b32_e32 v45, 0x7f, v42
	v_cmp_ne_u32_e32 vcc, s10, v45
	v_mov_b32_e32 v44, 0x7f800001
	s_and_saveexec_b64 s[10:11], vcc
	s_cbranch_execz .LBB552_311
; %bb.310:
	v_and_b32_e32 v44, 7, v42
	v_ffbh_u32_e32 v53, v44
	v_min_u32_e32 v53, 32, v53
	v_subrev_u32_e32 v54, 28, v53
	v_lshlrev_b64 v[54:55], v54, v[42:43]
	v_lshrrev_b32_e32 v51, 3, v45
	v_sub_u32_e32 v42, 29, v53
	v_and_b32_e32 v53, 7, v54
	v_cmp_gt_u32_e32 vcc, 8, v45
	v_cndmask_b32_e32 v42, v51, v42, vcc
	v_cndmask_b32_e32 v44, v44, v53, vcc
	v_lshlrev_b32_e32 v45, 16, v22
	v_bfrev_b32_e32 v51, 60
	v_lshlrev_b32_e32 v44, 20, v44
	v_and_b32_e32 v45, 0x80000000, v45
	v_lshl_add_u32 v42, v42, 23, v51
	v_or3_b32 v44, v45, v42, v44
.LBB552_311:
	s_or_b64 exec, exec, s[10:11]
.LBB552_312:
	s_or_b64 exec, exec, s[8:9]
.LBB552_313:
	s_or_b64 exec, exec, s[2:3]
	s_movk_i32 s2, 0xff
	v_and_b32_sdwa v45, v22, s2 dst_sel:DWORD dst_unused:UNUSED_PAD src0_sel:WORD_1 src1_sel:DWORD
	v_lshrrev_b32_e32 v42, 16, v22
	v_cmp_ne_u16_e32 vcc, 0, v45
	s_and_saveexec_b64 s[2:3], vcc
	s_cbranch_execz .LBB552_319
; %bb.314:
	s_movk_i32 s8, 0x80
	v_cmp_ne_u16_e32 vcc, s8, v45
	v_bfrev_b32_e32 v43, 1
	s_and_saveexec_b64 s[8:9], vcc
	s_cbranch_execz .LBB552_318
; %bb.315:
	v_bfe_u32 v45, v22, 16, 7
	s_movk_i32 s10, 0x7f
	v_cmp_ne_u32_e32 vcc, s10, v45
	v_mov_b32_e32 v43, 0x7f800001
	s_and_saveexec_b64 s[10:11], vcc
	s_cbranch_execz .LBB552_317
; %bb.316:
	v_and_b32_e32 v51, 7, v42
	v_ffbh_u32_e32 v43, v51
	v_min_u32_e32 v54, 32, v43
	v_subrev_u32_e32 v43, 28, v54
	v_lshlrev_b64 v[42:43], v43, v[42:43]
	v_lshrrev_b32_e32 v53, 3, v45
	v_sub_u32_e32 v43, 29, v54
	v_and_b32_e32 v42, 7, v42
	v_cmp_gt_u32_e32 vcc, 8, v45
	v_mov_b32_e32 v45, 24
	v_cndmask_b32_e32 v43, v53, v43, vcc
	v_cndmask_b32_e32 v42, v51, v42, vcc
	v_lshlrev_b32_sdwa v45, v45, v22 dst_sel:DWORD dst_unused:UNUSED_PAD src0_sel:DWORD src1_sel:WORD_1
	v_bfrev_b32_e32 v51, 60
	v_lshlrev_b32_e32 v42, 20, v42
	v_and_b32_e32 v45, 0x80000000, v45
	v_lshl_add_u32 v43, v43, 23, v51
	v_or3_b32 v43, v45, v43, v42
.LBB552_317:
	s_or_b64 exec, exec, s[10:11]
.LBB552_318:
	s_or_b64 exec, exec, s[8:9]
.LBB552_319:
	s_or_b64 exec, exec, s[2:3]
	s_mov_b32 s2, 0xffffff
	v_cmp_lt_u32_e32 vcc, s2, v22
	v_mov_b32_e32 v45, 0
	v_mov_b32_e32 v51, 0
	s_and_saveexec_b64 s[2:3], vcc
	s_cbranch_execz .LBB552_325
; %bb.320:
	v_lshrrev_b32_e32 v42, 24, v22
	s_movk_i32 s8, 0x80
	v_cmp_ne_u32_e32 vcc, s8, v42
	v_bfrev_b32_e32 v51, 1
	s_and_saveexec_b64 s[8:9], vcc
	s_cbranch_execz .LBB552_324
; %bb.321:
	v_bfe_u32 v22, v22, 24, 7
	s_movk_i32 s10, 0x7f
	v_cmp_ne_u32_e32 vcc, s10, v22
	v_mov_b32_e32 v51, 0x7f800001
	s_and_saveexec_b64 s[10:11], vcc
	s_cbranch_execz .LBB552_323
; %bb.322:
	v_and_b32_e32 v51, 7, v42
	v_ffbh_u32_e32 v54, v51
	v_min_u32_e32 v56, 32, v54
	v_subrev_u32_e32 v54, 28, v56
	v_lshlrev_b64 v[54:55], v54, v[42:43]
	v_lshrrev_b32_e32 v53, 3, v22
	v_sub_u32_e32 v55, 29, v56
	v_and_b32_e32 v54, 7, v54
	v_cmp_gt_u32_e32 vcc, 8, v22
	v_cndmask_b32_e32 v22, v53, v55, vcc
	v_cndmask_b32_e32 v51, v51, v54, vcc
	v_lshlrev_b32_e32 v42, 24, v42
	v_bfrev_b32_e32 v53, 60
	v_lshlrev_b32_e32 v51, 20, v51
	v_and_b32_e32 v42, 0x80000000, v42
	v_lshl_add_u32 v22, v22, 23, v53
	v_or3_b32 v51, v42, v22, v51
.LBB552_323:
	s_or_b64 exec, exec, s[10:11]
.LBB552_324:
	s_or_b64 exec, exec, s[8:9]
.LBB552_325:
	s_or_b64 exec, exec, s[2:3]
	v_cmp_ne_u16_sdwa s[8:9], v23, v45 src0_sel:BYTE_0 src1_sel:DWORD
	s_and_saveexec_b64 s[2:3], s[8:9]
	s_cbranch_execz .LBB552_331
; %bb.326:
	s_movk_i32 s8, 0x80
	v_cmp_ne_u16_sdwa s[10:11], v23, s8 src0_sel:BYTE_0 src1_sel:DWORD
	v_bfrev_b32_e32 v45, 1
	s_and_saveexec_b64 s[8:9], s[10:11]
	s_cbranch_execz .LBB552_330
; %bb.327:
	s_movk_i32 s10, 0x7f
	v_and_b32_e32 v22, 0x7f, v23
	v_cmp_ne_u32_e32 vcc, s10, v22
	v_mov_b32_e32 v45, 0x7f800001
	s_and_saveexec_b64 s[10:11], vcc
	s_cbranch_execz .LBB552_329
; %bb.328:
	v_and_b32_e32 v45, 7, v23
	v_ffbh_u32_e32 v54, v45
	v_min_u32_e32 v56, 32, v54
	v_mov_b32_e32 v42, v23
	v_subrev_u32_e32 v54, 28, v56
	v_lshlrev_b64 v[54:55], v54, v[42:43]
	v_lshrrev_b32_e32 v53, 3, v22
	v_sub_u32_e32 v42, 29, v56
	v_and_b32_e32 v54, 7, v54
	v_cmp_gt_u32_e32 vcc, 8, v22
	v_cndmask_b32_e32 v22, v53, v42, vcc
	v_cndmask_b32_e32 v42, v45, v54, vcc
	v_lshlrev_b32_e32 v45, 24, v23
	v_bfrev_b32_e32 v53, 60
	v_lshlrev_b32_e32 v42, 20, v42
	v_and_b32_e32 v45, 0x80000000, v45
	v_lshl_add_u32 v22, v22, 23, v53
	v_or3_b32 v45, v45, v22, v42
.LBB552_329:
	s_or_b64 exec, exec, s[10:11]
.LBB552_330:
	s_or_b64 exec, exec, s[8:9]
.LBB552_331:
	s_or_b64 exec, exec, s[2:3]
	v_lshrrev_b16_e32 v22, 8, v23
	v_cmp_ne_u16_e32 vcc, 0, v22
	v_mov_b32_e32 v53, 0
	v_mov_b32_e32 v54, 0
	s_and_saveexec_b64 s[2:3], vcc
	s_cbranch_execz .LBB552_337
; %bb.332:
	s_movk_i32 s8, 0x80
	v_cmp_ne_u16_e32 vcc, s8, v22
	v_bfrev_b32_e32 v54, 1
	s_and_saveexec_b64 s[8:9], vcc
	s_cbranch_execz .LBB552_336
; %bb.333:
	s_movk_i32 s10, 0x7f
	v_and_b32_e32 v42, 0x7f, v22
	v_cmp_ne_u32_e32 vcc, s10, v42
	v_mov_b32_e32 v54, 0x7f800001
	s_and_saveexec_b64 s[10:11], vcc
	s_cbranch_execz .LBB552_335
; %bb.334:
	v_and_b32_e32 v56, 7, v22
	v_ffbh_u32_e32 v54, v56
	v_min_u32_e32 v58, 32, v54
	v_subrev_u32_e32 v54, 28, v58
	v_lshlrev_b64 v[54:55], v54, v[22:23]
	v_lshrrev_b32_e32 v57, 3, v42
	v_sub_u32_e32 v22, 29, v58
	v_and_b32_e32 v54, 7, v54
	v_cmp_gt_u32_e32 vcc, 8, v42
	v_cndmask_b32_e32 v22, v57, v22, vcc
	v_cndmask_b32_e32 v42, v56, v54, vcc
	v_lshlrev_b32_e32 v54, 16, v23
	v_bfrev_b32_e32 v55, 60
	v_lshlrev_b32_e32 v42, 20, v42
	v_and_b32_e32 v54, 0x80000000, v54
	v_lshl_add_u32 v22, v22, 23, v55
	v_or3_b32 v54, v54, v22, v42
.LBB552_335:
	s_or_b64 exec, exec, s[10:11]
.LBB552_336:
	s_or_b64 exec, exec, s[8:9]
.LBB552_337:
	s_or_b64 exec, exec, s[2:3]
	s_movk_i32 s2, 0xff
	v_and_b32_sdwa v42, v23, s2 dst_sel:DWORD dst_unused:UNUSED_PAD src0_sel:WORD_1 src1_sel:DWORD
	v_lshrrev_b32_e32 v22, 16, v23
	v_cmp_ne_u16_e32 vcc, 0, v42
	s_and_saveexec_b64 s[2:3], vcc
	s_cbranch_execz .LBB552_343
; %bb.338:
	s_movk_i32 s8, 0x80
	v_cmp_ne_u16_e32 vcc, s8, v42
	v_bfrev_b32_e32 v53, 1
	s_and_saveexec_b64 s[8:9], vcc
	s_cbranch_execz .LBB552_342
; %bb.339:
	v_bfe_u32 v42, v23, 16, 7
	s_movk_i32 s10, 0x7f
	v_cmp_ne_u32_e32 vcc, s10, v42
	v_mov_b32_e32 v53, 0x7f800001
	s_and_saveexec_b64 s[10:11], vcc
	s_cbranch_execz .LBB552_341
; %bb.340:
	v_and_b32_e32 v53, 7, v22
	v_ffbh_u32_e32 v56, v53
	v_min_u32_e32 v58, 32, v56
	v_subrev_u32_e32 v56, 28, v58
	v_lshlrev_b64 v[56:57], v56, v[22:23]
	v_and_b32_e32 v56, 7, v56
	v_cmp_gt_u32_e32 vcc, 8, v42
	v_lshrrev_b32_e32 v55, 3, v42
	v_sub_u32_e32 v22, 29, v58
	v_cndmask_b32_e32 v42, v53, v56, vcc
	v_mov_b32_e32 v53, 24
	v_cndmask_b32_e32 v22, v55, v22, vcc
	v_lshlrev_b32_sdwa v53, v53, v23 dst_sel:DWORD dst_unused:UNUSED_PAD src0_sel:DWORD src1_sel:WORD_1
	v_bfrev_b32_e32 v55, 60
	v_lshlrev_b32_e32 v42, 20, v42
	v_and_b32_e32 v53, 0x80000000, v53
	v_lshl_add_u32 v22, v22, 23, v55
	v_or3_b32 v53, v53, v22, v42
.LBB552_341:
	s_or_b64 exec, exec, s[10:11]
.LBB552_342:
	s_or_b64 exec, exec, s[8:9]
.LBB552_343:
	s_or_b64 exec, exec, s[2:3]
	s_mov_b32 s2, 0xffffff
	v_cmp_lt_u32_e32 vcc, s2, v23
	v_mov_b32_e32 v42, 0
	v_mov_b32_e32 v55, 0
	s_and_saveexec_b64 s[2:3], vcc
	s_cbranch_execz .LBB552_349
; %bb.344:
	v_lshrrev_b32_e32 v22, 24, v23
	s_movk_i32 s8, 0x80
	v_cmp_ne_u32_e32 vcc, s8, v22
	v_bfrev_b32_e32 v55, 1
	s_and_saveexec_b64 s[8:9], vcc
	s_cbranch_execz .LBB552_348
; %bb.345:
	v_bfe_u32 v23, v23, 24, 7
	s_movk_i32 s10, 0x7f
	v_cmp_ne_u32_e32 vcc, s10, v23
	v_mov_b32_e32 v55, 0x7f800001
	s_and_saveexec_b64 s[10:11], vcc
	s_cbranch_execz .LBB552_347
; %bb.346:
	v_and_b32_e32 v55, 7, v22
	v_ffbh_u32_e32 v56, v55
	v_min_u32_e32 v59, 32, v56
	v_subrev_u32_e32 v56, 28, v59
	v_lshlrev_b64 v[56:57], v56, v[22:23]
	v_lshrrev_b32_e32 v58, 3, v23
	v_sub_u32_e32 v57, 29, v59
	v_and_b32_e32 v56, 7, v56
	v_cmp_gt_u32_e32 vcc, 8, v23
	v_cndmask_b32_e32 v23, v58, v57, vcc
	v_cndmask_b32_e32 v55, v55, v56, vcc
	v_lshlrev_b32_e32 v22, 24, v22
	v_bfrev_b32_e32 v56, 60
	v_lshlrev_b32_e32 v55, 20, v55
	v_and_b32_e32 v22, 0x80000000, v22
	v_lshl_add_u32 v23, v23, 23, v56
	v_or3_b32 v55, v22, v23, v55
.LBB552_347:
	s_or_b64 exec, exec, s[10:11]
.LBB552_348:
	s_or_b64 exec, exec, s[8:9]
.LBB552_349:
	s_or_b64 exec, exec, s[2:3]
	v_cvt_pkrtz_f16_f32 v22, v52, v44
	v_cvt_pkrtz_f16_f32 v23, v43, v51
	v_cmp_ne_u16_sdwa s[8:9], v24, v42 src0_sel:BYTE_0 src1_sel:DWORD
	s_nop 0
	v_mfma_f32_16x16x16f16 v[56:59], v[22:23], v[26:27], 0
	v_cvt_pkrtz_f16_f32 v22, v45, v54
	v_cvt_pkrtz_f16_f32 v23, v53, v55
	s_nop 1
	v_mfma_f32_16x16x16f16 v[26:29], v[22:23], v[28:29], v[56:59]
	s_and_saveexec_b64 s[2:3], s[8:9]
	s_cbranch_execz .LBB552_355
; %bb.350:
	s_movk_i32 s8, 0x80
	v_cmp_ne_u16_sdwa s[10:11], v24, s8 src0_sel:BYTE_0 src1_sel:DWORD
	v_bfrev_b32_e32 v42, 1
	s_and_saveexec_b64 s[8:9], s[10:11]
	s_cbranch_execz .LBB552_354
; %bb.351:
	s_movk_i32 s10, 0x7f
	v_and_b32_e32 v22, 0x7f, v24
	v_cmp_ne_u32_e32 vcc, s10, v22
	v_mov_b32_e32 v42, 0x7f800001
	s_and_saveexec_b64 s[10:11], vcc
	s_cbranch_execz .LBB552_353
; %bb.352:
	v_and_b32_e32 v23, 7, v24
	v_ffbh_u32_e32 v42, v23
	v_min_u32_e32 v45, 32, v42
	v_subrev_u32_e32 v42, 28, v45
	v_lshlrev_b64 v[42:43], v42, v[24:25]
	v_lshrrev_b32_e32 v44, 3, v22
	v_sub_u32_e32 v43, 29, v45
	v_and_b32_e32 v42, 7, v42
	v_cmp_gt_u32_e32 vcc, 8, v22
	v_cndmask_b32_e32 v22, v44, v43, vcc
	v_cndmask_b32_e32 v23, v23, v42, vcc
	v_lshlrev_b32_e32 v42, 24, v24
	v_bfrev_b32_e32 v43, 60
	v_lshlrev_b32_e32 v23, 20, v23
	v_and_b32_e32 v42, 0x80000000, v42
	v_lshl_add_u32 v22, v22, 23, v43
	v_or3_b32 v42, v42, v22, v23
.LBB552_353:
	s_or_b64 exec, exec, s[10:11]
.LBB552_354:
	s_or_b64 exec, exec, s[8:9]
.LBB552_355:
	s_or_b64 exec, exec, s[2:3]
	v_lshrrev_b16_e32 v22, 8, v24
	v_cmp_ne_u16_e32 vcc, 0, v22
	v_mov_b32_e32 v23, 0
	v_mov_b32_e32 v43, 0
	s_and_saveexec_b64 s[2:3], vcc
	s_cbranch_execz .LBB552_361
; %bb.356:
	s_movk_i32 s8, 0x80
	v_cmp_ne_u16_e32 vcc, s8, v22
	v_bfrev_b32_e32 v43, 1
	s_and_saveexec_b64 s[8:9], vcc
	s_cbranch_execz .LBB552_360
; %bb.357:
	s_movk_i32 s10, 0x7f
	v_and_b32_e32 v44, 0x7f, v22
	v_cmp_ne_u32_e32 vcc, s10, v44
	v_mov_b32_e32 v43, 0x7f800001
	s_and_saveexec_b64 s[10:11], vcc
	s_cbranch_execz .LBB552_359
; %bb.358:
	v_and_b32_e32 v43, 7, v22
	v_ffbh_u32_e32 v51, v43
	v_min_u32_e32 v51, 32, v51
	v_subrev_u32_e32 v52, 28, v51
	v_lshlrev_b64 v[52:53], v52, v[22:23]
	v_lshrrev_b32_e32 v45, 3, v44
	v_sub_u32_e32 v22, 29, v51
	v_and_b32_e32 v51, 7, v52
	v_cmp_gt_u32_e32 vcc, 8, v44
	v_cndmask_b32_e32 v22, v45, v22, vcc
	v_cndmask_b32_e32 v43, v43, v51, vcc
	v_lshlrev_b32_e32 v44, 16, v24
	v_bfrev_b32_e32 v45, 60
	v_lshlrev_b32_e32 v43, 20, v43
	v_and_b32_e32 v44, 0x80000000, v44
	v_lshl_add_u32 v22, v22, 23, v45
	v_or3_b32 v43, v44, v22, v43
.LBB552_359:
	s_or_b64 exec, exec, s[10:11]
.LBB552_360:
	s_or_b64 exec, exec, s[8:9]
.LBB552_361:
	s_or_b64 exec, exec, s[2:3]
	s_movk_i32 s2, 0xff
	v_and_b32_sdwa v44, v24, s2 dst_sel:DWORD dst_unused:UNUSED_PAD src0_sel:WORD_1 src1_sel:DWORD
	v_lshrrev_b32_e32 v22, 16, v24
	v_cmp_ne_u16_e32 vcc, 0, v44
	s_and_saveexec_b64 s[2:3], vcc
	s_cbranch_execz .LBB552_367
; %bb.362:
	s_movk_i32 s8, 0x80
	v_cmp_ne_u16_e32 vcc, s8, v44
	v_bfrev_b32_e32 v23, 1
	s_and_saveexec_b64 s[8:9], vcc
	s_cbranch_execz .LBB552_366
; %bb.363:
	v_bfe_u32 v44, v24, 16, 7
	s_movk_i32 s10, 0x7f
	v_cmp_ne_u32_e32 vcc, s10, v44
	v_mov_b32_e32 v23, 0x7f800001
	s_and_saveexec_b64 s[10:11], vcc
	s_cbranch_execz .LBB552_365
; %bb.364:
	v_and_b32_e32 v45, 7, v22
	v_ffbh_u32_e32 v23, v45
	v_min_u32_e32 v52, 32, v23
	v_subrev_u32_e32 v23, 28, v52
	v_lshlrev_b64 v[22:23], v23, v[22:23]
	v_lshrrev_b32_e32 v51, 3, v44
	v_sub_u32_e32 v23, 29, v52
	v_and_b32_e32 v22, 7, v22
	v_cmp_gt_u32_e32 vcc, 8, v44
	v_mov_b32_e32 v44, 24
	v_cndmask_b32_e32 v23, v51, v23, vcc
	v_cndmask_b32_e32 v22, v45, v22, vcc
	v_lshlrev_b32_sdwa v44, v44, v24 dst_sel:DWORD dst_unused:UNUSED_PAD src0_sel:DWORD src1_sel:WORD_1
	v_bfrev_b32_e32 v45, 60
	v_lshlrev_b32_e32 v22, 20, v22
	v_and_b32_e32 v44, 0x80000000, v44
	v_lshl_add_u32 v23, v23, 23, v45
	v_or3_b32 v23, v44, v23, v22
.LBB552_365:
	s_or_b64 exec, exec, s[10:11]
.LBB552_366:
	s_or_b64 exec, exec, s[8:9]
.LBB552_367:
	s_or_b64 exec, exec, s[2:3]
	s_mov_b32 s2, 0xffffff
	v_cmp_lt_u32_e32 vcc, s2, v24
	v_mov_b32_e32 v45, 0
	v_mov_b32_e32 v51, 0
	s_and_saveexec_b64 s[2:3], vcc
	s_cbranch_execz .LBB552_373
; %bb.368:
	v_lshrrev_b32_e32 v22, 24, v24
	s_movk_i32 s8, 0x80
	v_cmp_ne_u32_e32 vcc, s8, v22
	v_bfrev_b32_e32 v51, 1
	s_and_saveexec_b64 s[8:9], vcc
	s_cbranch_execz .LBB552_372
; %bb.369:
	v_bfe_u32 v24, v24, 24, 7
	s_movk_i32 s10, 0x7f
	v_cmp_ne_u32_e32 vcc, s10, v24
	v_mov_b32_e32 v51, 0x7f800001
	s_and_saveexec_b64 s[10:11], vcc
	s_cbranch_execz .LBB552_371
; %bb.370:
	v_and_b32_e32 v44, 7, v22
	v_ffbh_u32_e32 v52, v44
	v_min_u32_e32 v54, 32, v52
	v_subrev_u32_e32 v52, 28, v54
	v_lshlrev_b64 v[52:53], v52, v[22:23]
	v_lshrrev_b32_e32 v51, 3, v24
	v_sub_u32_e32 v53, 29, v54
	v_and_b32_e32 v52, 7, v52
	v_cmp_gt_u32_e32 vcc, 8, v24
	v_cndmask_b32_e32 v24, v51, v53, vcc
	v_cndmask_b32_e32 v44, v44, v52, vcc
	v_lshlrev_b32_e32 v22, 24, v22
	v_bfrev_b32_e32 v51, 60
	v_lshlrev_b32_e32 v44, 20, v44
	v_and_b32_e32 v22, 0x80000000, v22
	v_lshl_add_u32 v24, v24, 23, v51
	v_or3_b32 v51, v22, v24, v44
.LBB552_371:
	s_or_b64 exec, exec, s[10:11]
.LBB552_372:
	s_or_b64 exec, exec, s[8:9]
.LBB552_373:
	s_or_b64 exec, exec, s[2:3]
	v_cmp_ne_u16_sdwa s[8:9], v25, v45 src0_sel:BYTE_0 src1_sel:DWORD
	s_and_saveexec_b64 s[2:3], s[8:9]
	s_cbranch_execz .LBB552_379
; %bb.374:
	s_movk_i32 s8, 0x80
	v_cmp_ne_u16_sdwa s[10:11], v25, s8 src0_sel:BYTE_0 src1_sel:DWORD
	v_bfrev_b32_e32 v45, 1
	s_and_saveexec_b64 s[8:9], s[10:11]
	s_cbranch_execz .LBB552_378
; %bb.375:
	s_movk_i32 s10, 0x7f
	v_and_b32_e32 v22, 0x7f, v25
	v_cmp_ne_u32_e32 vcc, s10, v22
	v_mov_b32_e32 v45, 0x7f800001
	s_and_saveexec_b64 s[10:11], vcc
	s_cbranch_execz .LBB552_377
; %bb.376:
	v_and_b32_e32 v52, 7, v25
	v_ffbh_u32_e32 v44, v52
	v_min_u32_e32 v54, 32, v44
	v_mov_b32_e32 v24, v25
	v_subrev_u32_e32 v44, 28, v54
	v_lshlrev_b64 v[44:45], v44, v[24:25]
	v_lshrrev_b32_e32 v53, 3, v22
	v_sub_u32_e32 v24, 29, v54
	v_and_b32_e32 v44, 7, v44
	v_cmp_gt_u32_e32 vcc, 8, v22
	v_cndmask_b32_e32 v22, v53, v24, vcc
	v_cndmask_b32_e32 v24, v52, v44, vcc
	v_lshlrev_b32_e32 v44, 24, v25
	v_bfrev_b32_e32 v45, 60
	v_lshlrev_b32_e32 v24, 20, v24
	v_and_b32_e32 v44, 0x80000000, v44
	v_lshl_add_u32 v22, v22, 23, v45
	v_or3_b32 v45, v44, v22, v24
.LBB552_377:
	s_or_b64 exec, exec, s[10:11]
.LBB552_378:
	s_or_b64 exec, exec, s[8:9]
.LBB552_379:
	s_or_b64 exec, exec, s[2:3]
	v_lshrrev_b16_e32 v22, 8, v25
	v_cmp_ne_u16_e32 vcc, 0, v22
	v_mov_b32_e32 v52, 0
	v_mov_b32_e32 v53, 0
	s_and_saveexec_b64 s[2:3], vcc
	s_cbranch_execz .LBB552_385
; %bb.380:
	s_movk_i32 s8, 0x80
	v_cmp_ne_u16_e32 vcc, s8, v22
	v_bfrev_b32_e32 v53, 1
	s_and_saveexec_b64 s[8:9], vcc
	s_cbranch_execz .LBB552_384
; %bb.381:
	s_movk_i32 s10, 0x7f
	v_and_b32_e32 v24, 0x7f, v22
	v_cmp_ne_u32_e32 vcc, s10, v24
	v_mov_b32_e32 v53, 0x7f800001
	s_and_saveexec_b64 s[10:11], vcc
	s_cbranch_execz .LBB552_383
; %bb.382:
	v_and_b32_e32 v44, 7, v22
	v_ffbh_u32_e32 v54, v44
	v_min_u32_e32 v56, 32, v54
	v_subrev_u32_e32 v54, 28, v56
	v_lshlrev_b64 v[54:55], v54, v[22:23]
	v_lshrrev_b32_e32 v53, 3, v24
	v_sub_u32_e32 v22, 29, v56
	v_and_b32_e32 v54, 7, v54
	v_cmp_gt_u32_e32 vcc, 8, v24
	v_cndmask_b32_e32 v22, v53, v22, vcc
	v_cndmask_b32_e32 v24, v44, v54, vcc
	v_lshlrev_b32_e32 v44, 16, v25
	v_bfrev_b32_e32 v53, 60
	v_lshlrev_b32_e32 v24, 20, v24
	v_and_b32_e32 v44, 0x80000000, v44
	v_lshl_add_u32 v22, v22, 23, v53
	v_or3_b32 v53, v44, v22, v24
.LBB552_383:
	s_or_b64 exec, exec, s[10:11]
.LBB552_384:
	s_or_b64 exec, exec, s[8:9]
.LBB552_385:
	s_or_b64 exec, exec, s[2:3]
	s_movk_i32 s2, 0xff
	v_and_b32_sdwa v24, v25, s2 dst_sel:DWORD dst_unused:UNUSED_PAD src0_sel:WORD_1 src1_sel:DWORD
	v_lshrrev_b32_e32 v22, 16, v25
	v_cmp_ne_u16_e32 vcc, 0, v24
	s_and_saveexec_b64 s[2:3], vcc
	s_cbranch_execz .LBB552_391
; %bb.386:
	s_movk_i32 s8, 0x80
	v_cmp_ne_u16_e32 vcc, s8, v24
	v_bfrev_b32_e32 v52, 1
	s_and_saveexec_b64 s[8:9], vcc
	s_cbranch_execz .LBB552_390
; %bb.387:
	v_bfe_u32 v24, v25, 16, 7
	s_movk_i32 s10, 0x7f
	v_cmp_ne_u32_e32 vcc, s10, v24
	v_mov_b32_e32 v52, 0x7f800001
	s_and_saveexec_b64 s[10:11], vcc
	s_cbranch_execz .LBB552_389
; %bb.388:
	v_and_b32_e32 v44, 7, v22
	v_ffbh_u32_e32 v54, v44
	v_min_u32_e32 v56, 32, v54
	v_subrev_u32_e32 v54, 28, v56
	v_lshlrev_b64 v[54:55], v54, v[22:23]
	v_and_b32_e32 v54, 7, v54
	v_cmp_gt_u32_e32 vcc, 8, v24
	v_lshrrev_b32_e32 v52, 3, v24
	v_sub_u32_e32 v22, 29, v56
	v_cndmask_b32_e32 v24, v44, v54, vcc
	v_mov_b32_e32 v44, 24
	v_cndmask_b32_e32 v22, v52, v22, vcc
	v_lshlrev_b32_sdwa v44, v44, v25 dst_sel:DWORD dst_unused:UNUSED_PAD src0_sel:DWORD src1_sel:WORD_1
	v_bfrev_b32_e32 v52, 60
	v_lshlrev_b32_e32 v24, 20, v24
	v_and_b32_e32 v44, 0x80000000, v44
	v_lshl_add_u32 v22, v22, 23, v52
	v_or3_b32 v52, v44, v22, v24
.LBB552_389:
	s_or_b64 exec, exec, s[10:11]
.LBB552_390:
	s_or_b64 exec, exec, s[8:9]
.LBB552_391:
	s_or_b64 exec, exec, s[2:3]
	s_mov_b32 s2, 0xffffff
	v_and_b32_e32 v44, 63, v0
	v_cmp_lt_u32_e32 vcc, s2, v25
	v_mov_b32_e32 v54, 0
	s_and_saveexec_b64 s[2:3], vcc
	s_cbranch_execz .LBB552_397
; %bb.392:
	v_lshrrev_b32_e32 v22, 24, v25
	s_movk_i32 s8, 0x80
	v_cmp_ne_u32_e32 vcc, s8, v22
	v_bfrev_b32_e32 v54, 1
	s_and_saveexec_b64 s[8:9], vcc
	s_cbranch_execz .LBB552_396
; %bb.393:
	v_bfe_u32 v24, v25, 24, 7
	s_movk_i32 s10, 0x7f
	v_cmp_ne_u32_e32 vcc, s10, v24
	v_mov_b32_e32 v54, 0x7f800001
	s_and_saveexec_b64 s[10:11], vcc
	s_cbranch_execz .LBB552_395
; %bb.394:
	v_and_b32_e32 v25, 7, v22
	v_ffbh_u32_e32 v54, v25
	v_min_u32_e32 v57, 32, v54
	v_subrev_u32_e32 v54, 28, v57
	v_lshlrev_b64 v[54:55], v54, v[22:23]
	v_lshrrev_b32_e32 v56, 3, v24
	v_sub_u32_e32 v55, 29, v57
	v_and_b32_e32 v54, 7, v54
	v_cmp_gt_u32_e32 vcc, 8, v24
	v_cndmask_b32_e32 v24, v56, v55, vcc
	v_cndmask_b32_e32 v25, v25, v54, vcc
	v_lshlrev_b32_e32 v22, 24, v22
	v_bfrev_b32_e32 v54, 60
	v_lshlrev_b32_e32 v25, 20, v25
	v_and_b32_e32 v22, 0x80000000, v22
	v_lshl_add_u32 v24, v24, 23, v54
	v_or3_b32 v54, v22, v24, v25
.LBB552_395:
	s_or_b64 exec, exec, s[10:11]
.LBB552_396:
	s_or_b64 exec, exec, s[8:9]
.LBB552_397:
	s_or_b64 exec, exec, s[2:3]
	v_cvt_pkrtz_f16_f32 v42, v42, v43
	v_cvt_pkrtz_f16_f32 v43, v23, v51
	s_load_dword s2, s[4:5], 0x1c
	s_mov_b32 s46, 0xff7fffff
	s_waitcnt lgkmcnt(0)
	v_mfma_f32_16x16x16f16 v[26:29], v[42:43], v[18:19], v[26:29]
	v_cvt_pkrtz_f16_f32 v18, v45, v53
	v_cvt_pkrtz_f16_f32 v19, v52, v54
	v_mov_b32_e32 v22, s2
	v_mul_f32_e32 v56, s12, v22
	v_pk_mul_f32 v[22:23], v[56:57], v[32:33] op_sel_hi:[0,1]
	v_pk_mul_f32 v[32:33], v[56:57], v[38:39] op_sel_hi:[0,1]
	v_and_b32_e32 v38, 0xc0, v0
	v_mfma_f32_16x16x16f16 v[26:29], v[18:19], v[20:21], v[26:29]
	v_add_u32_e32 v38, s18, v38
	v_lshl_or_b32 v38, v1, 2, v38
	v_or_b32_e32 v39, 1, v38
	v_pk_mul_f32 v[24:25], v[56:57], v[30:31] op_sel_hi:[0,1]
	v_pk_mul_f32 v[30:31], v[56:57], v[40:41] op_sel_hi:[0,1]
	v_subrev_u32_e32 v40, s33, v39
	v_pk_mul_f32 v[34:35], v[56:57], v[34:35] op_sel_hi:[0,1]
	s_nop 3
	v_pk_mul_f32 v[20:21], v[56:57], v[26:27] op_sel_hi:[0,1]
	v_add_u32_e32 v27, 1, v40
	v_pk_mul_f32 v[18:19], v[56:57], v[28:29] op_sel_hi:[0,1]
	v_cvt_f32_i32_e32 v27, v27
	v_add_u32_e32 v29, 3, v40
	v_cvt_f32_i32_e32 v29, v29
	v_cvt_f32_i32_e32 v26, v40
	v_pk_mul_f32 v[36:37], v[56:57], v[36:37] op_sel_hi:[0,1]
	v_fmac_f32_e32 v35, v50, v27
	v_add_u32_e32 v27, 16, v40
	v_fmac_f32_e32 v37, v50, v29
	v_cvt_f32_i32_e32 v27, v27
	v_add_u32_e32 v29, 17, v40
	v_fma_f32 v26, v50, v26, v34
	v_cvt_f32_i32_e32 v29, v29
	v_add_u32_e32 v34, 18, v40
	v_cvt_f32_i32_e32 v34, v34
	v_fma_f32 v41, v50, v27, v32
	v_add_u32_e32 v27, 32, v40
	v_fmac_f32_e32 v33, v50, v29
	v_cvt_f32_i32_e32 v27, v27
	v_add_u32_e32 v29, 33, v40
	v_add_u32_e32 v32, 34, v40
	v_fma_f32 v30, v50, v34, v30
	v_cvt_f32_i32_e32 v29, v29
	v_cvt_f32_i32_e32 v32, v32
	v_add_u32_e32 v34, 35, v40
	v_cvt_f32_i32_e32 v34, v34
	v_fma_f32 v24, v50, v27, v24
	v_add_u32_e32 v27, 48, v40
	v_fmac_f32_e32 v25, v50, v29
	v_fma_f32 v22, v50, v32, v22
	v_cvt_f32_i32_e32 v27, v27
	v_add_u32_e32 v29, 49, v40
	v_add_u32_e32 v32, 50, v40
	v_fmac_f32_e32 v23, v50, v34
	v_cvt_f32_i32_e32 v29, v29
	v_cvt_f32_i32_e32 v32, v32
	v_add_u32_e32 v34, 51, v40
	v_add_u32_e32 v28, 2, v40
	v_cvt_f32_i32_e32 v34, v34
	v_cvt_f32_i32_e32 v28, v28
	v_fma_f32 v20, v50, v27, v20
	v_mov_b32_e32 v27, 0xff7fffff
	v_cmp_gt_i32_e64 s[26:27], s33, v38
	v_cmp_gt_i32_e64 s[28:29], s33, v39
	v_fmac_f32_e32 v21, v50, v29
	v_fma_f32 v18, v50, v32, v18
	v_cndmask_b32_e64 v29, v27, v26, s[26:27]
	v_cndmask_b32_e64 v32, v27, v35, s[28:29]
	v_fmac_f32_e32 v19, v50, v34
	v_max3_f32 v29, v29, s46, v32
	v_or_b32_e32 v32, 2, v38
	v_or_b32_e32 v34, 3, v38
	v_fma_f32 v28, v50, v28, v36
	v_cmp_gt_i32_e64 s[30:31], s33, v32
	v_cmp_gt_i32_e64 s[34:35], s33, v34
	v_add_u32_e32 v36, 19, v40
	v_cndmask_b32_e64 v32, v27, v28, s[30:31]
	v_cndmask_b32_e64 v34, v27, v37, s[34:35]
	v_cvt_f32_i32_e32 v36, v36
	v_max3_f32 v29, v29, v32, v34
	v_or_b32_e32 v32, 16, v38
	v_or_b32_e32 v34, 17, v38
	v_cmp_gt_i32_e64 s[36:37], s33, v32
	v_cmp_gt_i32_e64 s[38:39], s33, v34
	v_cndmask_b32_e64 v32, v27, v41, s[36:37]
	v_cndmask_b32_e64 v34, v27, v33, s[38:39]
	v_max3_f32 v29, v29, v32, v34
	v_or_b32_e32 v32, 18, v38
	v_or_b32_e32 v34, 19, v38
	v_fmac_f32_e32 v31, v50, v36
	v_cmp_gt_i32_e64 s[20:21], s33, v32
	v_cmp_gt_i32_e64 s[22:23], s33, v34
	v_cndmask_b32_e64 v32, v27, v30, s[20:21]
	v_cndmask_b32_e64 v34, v27, v31, s[22:23]
	v_max3_f32 v29, v29, v32, v34
	v_or_b32_e32 v32, 32, v38
	v_or_b32_e32 v34, 33, v38
	v_cmp_gt_i32_e64 s[16:17], s33, v32
	v_cmp_gt_i32_e64 s[18:19], s33, v34
	v_cndmask_b32_e64 v32, v27, v24, s[16:17]
	v_cndmask_b32_e64 v34, v27, v25, s[18:19]
	v_max3_f32 v29, v29, v32, v34
	v_or_b32_e32 v32, 34, v38
	v_or_b32_e32 v34, 35, v38
	;; [unrolled: 7-line block ×4, first 2 shown]
	v_cmp_gt_i32_e32 vcc, s33, v32
	v_cmp_gt_i32_e64 s[2:3], s33, v34
	v_cndmask_b32_e32 v32, v27, v18, vcc
	v_cndmask_b32_e64 v27, v27, v19, s[2:3]
	v_max3_f32 v27, v29, v32, v27
	v_mbcnt_lo_u32_b32 v29, -1, 0
	v_mbcnt_hi_u32_b32 v29, -1, v29
	v_and_b32_e32 v32, 64, v29
	v_add_u32_e32 v32, 64, v32
	v_xor_b32_e32 v34, 32, v29
	v_cmp_lt_i32_e64 s[40:41], v34, v32
	v_cndmask_b32_e64 v34, v29, v34, s[40:41]
	v_lshlrev_b32_e32 v36, 2, v34
	ds_bpermute_b32 v34, v36, v27
	s_barrier
	s_waitcnt lgkmcnt(0)
	v_max_f32_e32 v34, v34, v34
	v_max_f32_e32 v27, v27, v34
	v_xor_b32_e32 v34, 16, v29
	v_cmp_lt_i32_e64 s[40:41], v34, v32
	v_cndmask_b32_e64 v29, v29, v34, s[40:41]
	v_lshlrev_b32_e32 v38, 2, v29
	ds_bpermute_b32 v29, v38, v27
	s_waitcnt lgkmcnt(0)
	v_max_f32_e32 v29, v29, v29
	v_max_f32_e32 v32, v27, v29
	v_sub_f32_e32 v26, v26, v32
	v_mul_f32_e32 v26, 0x3fb8aa3b, v26
	v_sub_f32_e32 v27, v35, v32
	v_exp_f32_e32 v26, v26
	v_mul_f32_e32 v27, 0x3fb8aa3b, v27
	v_sub_f32_e32 v28, v28, v32
	v_exp_f32_e32 v27, v27
	v_mul_f32_e32 v28, 0x3fb8aa3b, v28
	v_exp_f32_e32 v28, v28
	v_cndmask_b32_e64 v26, 0, v26, s[26:27]
	v_sub_f32_e32 v34, v37, v32
	v_add_f32_e32 v29, 0, v26
	v_cndmask_b32_e64 v27, 0, v27, s[28:29]
	v_mul_f32_e32 v34, 0x3fb8aa3b, v34
	v_exp_f32_e32 v35, v34
	v_add_f32_e32 v29, v29, v27
	v_cndmask_b32_e64 v34, 0, v28, s[30:31]
	v_add_f32_e32 v28, v29, v34
	v_sub_f32_e32 v29, v41, v32
	v_mul_f32_e32 v29, 0x3fb8aa3b, v29
	v_sub_f32_e32 v33, v33, v32
	v_exp_f32_e32 v29, v29
	v_mul_f32_e32 v33, 0x3fb8aa3b, v33
	v_sub_f32_e32 v30, v30, v32
	v_exp_f32_e32 v33, v33
	;; [unrolled: 3-line block ×3, first 2 shown]
	v_mul_f32_e32 v31, 0x3fb8aa3b, v31
	v_sub_f32_e32 v24, v24, v32
	v_cndmask_b32_e64 v35, 0, v35, s[34:35]
	v_exp_f32_e32 v31, v31
	v_mul_f32_e32 v24, 0x3fb8aa3b, v24
	v_sub_f32_e32 v25, v25, v32
	v_add_f32_e32 v37, v28, v35
	v_cndmask_b32_e64 v28, 0, v29, s[36:37]
	v_exp_f32_e32 v24, v24
	v_mul_f32_e32 v25, 0x3fb8aa3b, v25
	v_sub_f32_e32 v22, v22, v32
	v_add_f32_e32 v37, v37, v28
	v_cndmask_b32_e64 v29, 0, v33, s[38:39]
	v_exp_f32_e32 v25, v25
	v_mul_f32_e32 v22, 0x3fb8aa3b, v22
	v_sub_f32_e32 v23, v23, v32
	v_add_f32_e32 v33, v37, v29
	v_cndmask_b32_e64 v30, 0, v30, s[20:21]
	v_exp_f32_e32 v22, v22
	v_mul_f32_e32 v23, 0x3fb8aa3b, v23
	v_sub_f32_e32 v20, v20, v32
	v_add_f32_e32 v33, v33, v30
	v_cndmask_b32_e64 v31, 0, v31, s[22:23]
	v_exp_f32_e32 v23, v23
	v_mul_f32_e32 v20, 0x3fb8aa3b, v20
	v_sub_f32_e32 v21, v21, v32
	v_add_f32_e32 v33, v33, v31
	v_cndmask_b32_e64 v24, 0, v24, s[16:17]
	v_exp_f32_e32 v20, v20
	v_mul_f32_e32 v21, 0x3fb8aa3b, v21
	v_sub_f32_e32 v18, v18, v32
	v_add_f32_e32 v33, v33, v24
	v_cndmask_b32_e64 v25, 0, v25, s[18:19]
	v_exp_f32_e32 v21, v21
	v_mul_f32_e32 v18, 0x3fb8aa3b, v18
	v_sub_f32_e32 v19, v19, v32
	v_add_f32_e32 v33, v33, v25
	v_cndmask_b32_e64 v22, 0, v22, s[12:13]
	v_exp_f32_e32 v18, v18
	v_mul_f32_e32 v19, 0x3fb8aa3b, v19
	v_add_f32_e32 v33, v33, v22
	v_cndmask_b32_e64 v23, 0, v23, s[14:15]
	v_exp_f32_e32 v19, v19
	v_add_f32_e32 v33, v33, v23
	v_cndmask_b32_e64 v20, 0, v20, s[8:9]
	v_add_f32_e32 v33, v33, v20
	v_cndmask_b32_e64 v21, 0, v21, s[10:11]
	v_add_f32_e32 v33, v33, v21
	v_cndmask_b32_e32 v18, 0, v18, vcc
	v_add_f32_e32 v33, v33, v18
	v_cndmask_b32_e64 v19, 0, v19, s[2:3]
	v_add_f32_e32 v33, v33, v19
	ds_bpermute_b32 v36, v36, v33
	v_cmp_gt_u32_e32 vcc, 16, v44
	s_waitcnt lgkmcnt(0)
	v_add_f32_e32 v33, v33, v36
	ds_bpermute_b32 v37, v38, v33
	v_lshlrev_b32_e32 v36, 2, v48
	s_and_saveexec_b64 s[2:3], vcc
	s_cbranch_execz .LBB552_399
; %bb.398:
	s_waitcnt lgkmcnt(0)
	v_add_f32_e32 v33, v33, v37
	v_lshl_or_b32 v37, v49, 6, v36
	ds_write2st64_b32 v37, v32, v33 offset1:1
.LBB552_399:
	s_or_b64 exec, exec, s[2:3]
	s_waitcnt lgkmcnt(0)
	s_barrier
	ds_read2_b32 v[38:39], v36 offset1:16
	ds_read2_b32 v[40:41], v36 offset0:32 offset1:48
	ds_read2_b32 v[42:43], v36 offset0:64 offset1:80
	s_mul_i32 s12, s45, 11
	s_waitcnt lgkmcnt(2)
	v_max3_f32 v32, v38, s46, v39
	s_waitcnt lgkmcnt(1)
	v_max3_f32 v33, v32, v40, v41
	v_sub_f32_e32 v32, v38, v33
	v_mul_f32_e32 v32, 0x3fb8aa3b, v32
	v_exp_f32_e32 v37, v32
	v_sub_f32_e32 v32, v39, v33
	v_mul_f32_e32 v32, 0x3fb8aa3b, v32
	v_exp_f32_e32 v44, v32
	v_sub_f32_e32 v32, v40, v33
	v_mul_f32_e32 v32, 0x3fb8aa3b, v32
	v_exp_f32_e32 v40, v32
	ds_read2_b32 v[38:39], v36 offset0:96 offset1:112
	v_sub_f32_e32 v32, v41, v33
	v_mul_f32_e32 v32, 0x3fb8aa3b, v32
	v_exp_f32_e32 v41, v32
	s_waitcnt lgkmcnt(1)
	v_fma_f32 v36, v37, v42, 0
	v_fmac_f32_e32 v36, v44, v43
	s_waitcnt lgkmcnt(0)
	v_fmac_f32_e32 v36, v40, v38
	v_fmac_f32_e32 v36, v41, v39
	v_add_f32_e32 v38, 0x358637bd, v36
	v_div_scale_f32 v39, s[2:3], v38, v38, 1.0
	v_rcp_f32_e32 v42, v39
	s_barrier
	v_fma_f32 v43, -v39, v42, 1.0
	v_fmac_f32_e32 v42, v43, v42
	v_div_scale_f32 v43, vcc, 1.0, v38, 1.0
	v_mul_f32_e32 v45, v43, v42
	v_fma_f32 v50, -v39, v45, v43
	v_fmac_f32_e32 v45, v50, v42
	v_fma_f32 v39, -v39, v45, v43
	v_div_fmas_f32 v39, v39, v42, v45
	v_cmp_eq_u32_e32 vcc, 1, v49
	v_cndmask_b32_e32 v37, v37, v44, vcc
	v_cmp_eq_u32_e32 vcc, 2, v49
	v_cndmask_b32_e32 v37, v37, v40, vcc
	v_cmp_eq_u32_e32 vcc, 3, v49
	v_div_fixup_f32 v38, v39, v38, 1.0
	v_cndmask_b32_e32 v37, v37, v41, vcc
	v_mul_f32_e32 v38, v37, v38
	v_pk_mul_f32 v[34:35], v[38:39], v[34:35] op_sel_hi:[0,1]
	v_pk_mul_f32 v[26:27], v[38:39], v[26:27] op_sel_hi:[0,1]
	v_cvt_f16_f32_e32 v26, v26
	v_cvt_f16_f32_e32 v27, v27
	v_cvt_f16_f32_e32 v37, v34
	v_cvt_f16_f32_e32 v35, v35
	v_pk_mul_f32 v[30:31], v[38:39], v[30:31] op_sel_hi:[0,1]
	v_pk_mul_f32 v[28:29], v[38:39], v[28:29] op_sel_hi:[0,1]
	v_cvt_f16_f32_e32 v28, v28
	v_cvt_f16_f32_e32 v29, v29
	;; [unrolled: 1-line block ×4, first 2 shown]
	v_pack_b32_f16 v34, v26, v27
	v_pack_b32_f16 v35, v37, v35
	v_lshlrev_b32_e32 v26, 3, v1
	v_lshlrev_b32_e32 v27, 5, v48
	;; [unrolled: 1-line block ×3, first 2 shown]
	v_or3_b32 v26, v37, v27, v26
	v_pack_b32_f16 v28, v28, v29
	v_pack_b32_f16 v29, v30, v31
	v_pk_mul_f32 v[22:23], v[38:39], v[22:23] op_sel_hi:[0,1]
	v_pk_mul_f32 v[24:25], v[38:39], v[24:25] op_sel_hi:[0,1]
	;; [unrolled: 1-line block ×4, first 2 shown]
	ds_write2st64_b64 v26, v[34:35], v[28:29] offset1:1
	v_cvt_f16_f32_e32 v24, v24
	v_cvt_f16_f32_e32 v25, v25
	;; [unrolled: 1-line block ×8, first 2 shown]
	v_mov_b32_e32 v32, 0
	v_pack_b32_f16 v18, v24, v25
	v_pack_b32_f16 v19, v22, v23
	;; [unrolled: 1-line block ×4, first 2 shown]
	v_cmp_gt_u32_e32 vcc, 11, v0
	ds_write2st64_b64 v26, v[18:19], v[20:21] offset0:2 offset1:3
	s_and_saveexec_b64 s[2:3], vcc
	s_cbranch_execz .LBB552_401
; %bb.400:
	v_add_co_u32_e32 v20, vcc, s25, v48
	v_addc_co_u32_e64 v21, s[14:15], 0, 0, vcc
	v_mov_b32_e32 v18, s12
	v_mov_b32_e32 v19, 0
	v_mad_u64_u32 v[20:21], s[14:15], s6, v18, v[20:21]
	v_mov_b32_e32 v18, s24
	s_load_dwordx4 s[8:11], s[4:5], 0x58
	s_mul_i32 s7, s7, s12
	v_mad_u64_u32 v[18:19], s[14:15], v20, s44, v[18:19]
	v_add_u32_e32 v21, s7, v21
	v_mov_b32_e32 v20, v19
	v_mad_u64_u32 v[20:21], s[14:15], v21, s44, v[20:21]
	v_mov_b32_e32 v19, v20
	v_lshlrev_b64 v[18:19], 2, v[18:19]
	s_waitcnt lgkmcnt(0)
	v_mov_b32_e32 v21, s11
	v_add_co_u32_e32 v20, vcc, s10, v18
	v_addc_co_u32_e32 v21, vcc, v21, v19, vcc
	global_store_dword v[20:21], v33, off
	v_mov_b32_e32 v20, s9
	v_add_co_u32_e32 v18, vcc, s8, v18
	v_addc_co_u32_e32 v19, vcc, v20, v19, vcc
	global_store_dword v[18:19], v36, off
.LBB552_401:
	s_or_b64 exec, exec, s[2:3]
	v_mov_b32_e32 v19, 0
	s_waitcnt vmcnt(3)
	v_cmp_ne_u16_sdwa s[8:9], v14, v19 src0_sel:BYTE_0 src1_sel:DWORD
	s_waitcnt lgkmcnt(0)
	s_barrier
	s_and_saveexec_b64 s[2:3], s[8:9]
	s_cbranch_execz .LBB552_407
; %bb.402:
	s_movk_i32 s7, 0x80
	v_cmp_ne_u16_sdwa s[10:11], v14, s7 src0_sel:BYTE_0 src1_sel:DWORD
	v_bfrev_b32_e32 v32, 1
	s_and_saveexec_b64 s[8:9], s[10:11]
	s_cbranch_execz .LBB552_406
; %bb.403:
	s_movk_i32 s7, 0x7f
	v_and_b32_e32 v18, 0x7f, v14
	v_cmp_ne_u32_e32 vcc, s7, v18
	v_mov_b32_e32 v32, 0x7f800001
	s_and_saveexec_b64 s[10:11], vcc
	s_cbranch_execz .LBB552_405
; %bb.404:
	v_and_b32_e32 v22, 7, v14
	v_ffbh_u32_e32 v20, v22
	v_min_u32_e32 v24, 32, v20
	v_subrev_u32_e32 v20, 28, v24
	v_lshlrev_b64 v[20:21], v20, v[14:15]
	v_lshrrev_b32_e32 v23, 3, v18
	v_sub_u32_e32 v21, 29, v24
	v_and_b32_e32 v20, 7, v20
	v_cmp_gt_u32_e32 vcc, 8, v18
	v_cndmask_b32_e32 v18, v23, v21, vcc
	v_cndmask_b32_e32 v20, v22, v20, vcc
	v_lshlrev_b32_e32 v21, 24, v14
	v_bfrev_b32_e32 v22, 60
	v_lshlrev_b32_e32 v20, 20, v20
	v_and_b32_e32 v21, 0x80000000, v21
	v_lshl_add_u32 v18, v18, 23, v22
	v_or3_b32 v32, v21, v18, v20
.LBB552_405:
	s_or_b64 exec, exec, s[10:11]
.LBB552_406:
	s_or_b64 exec, exec, s[8:9]
.LBB552_407:
	s_or_b64 exec, exec, s[2:3]
	v_lshrrev_b16_e32 v18, 8, v14
	v_cmp_ne_u16_e32 vcc, 0, v18
	v_mov_b32_e32 v20, 0
	s_and_saveexec_b64 s[2:3], vcc
	s_cbranch_execz .LBB552_413
; %bb.408:
	s_movk_i32 s7, 0x80
	v_cmp_ne_u16_e32 vcc, s7, v18
	v_bfrev_b32_e32 v20, 1
	s_and_saveexec_b64 s[8:9], vcc
	s_cbranch_execz .LBB552_412
; %bb.409:
	s_movk_i32 s7, 0x7f
	v_and_b32_e32 v21, 0x7f, v18
	v_cmp_ne_u32_e32 vcc, s7, v21
	v_mov_b32_e32 v20, 0x7f800001
	s_and_saveexec_b64 s[10:11], vcc
	s_cbranch_execz .LBB552_411
; %bb.410:
	v_and_b32_e32 v20, 7, v18
	v_ffbh_u32_e32 v22, v20
	v_min_u32_e32 v25, 32, v22
	v_subrev_u32_e32 v22, 28, v25
	v_lshlrev_b64 v[22:23], v22, v[18:19]
	v_lshrrev_b32_e32 v24, 3, v21
	v_sub_u32_e32 v18, 29, v25
	v_and_b32_e32 v22, 7, v22
	v_cmp_gt_u32_e32 vcc, 8, v21
	v_cndmask_b32_e32 v18, v24, v18, vcc
	v_cndmask_b32_e32 v20, v20, v22, vcc
	v_lshlrev_b32_e32 v21, 16, v14
	v_bfrev_b32_e32 v22, 60
	v_lshlrev_b32_e32 v20, 20, v20
	v_and_b32_e32 v21, 0x80000000, v21
	v_lshl_add_u32 v18, v18, 23, v22
	v_or3_b32 v20, v21, v18, v20
.LBB552_411:
	s_or_b64 exec, exec, s[10:11]
.LBB552_412:
	s_or_b64 exec, exec, s[8:9]
.LBB552_413:
	s_or_b64 exec, exec, s[2:3]
	s_movk_i32 s2, 0xff
	v_and_b32_sdwa v21, v14, s2 dst_sel:DWORD dst_unused:UNUSED_PAD src0_sel:WORD_1 src1_sel:DWORD
	v_lshrrev_b32_e32 v18, 16, v14
	v_cmp_ne_u16_e32 vcc, 0, v21
	s_and_saveexec_b64 s[2:3], vcc
	s_cbranch_execz .LBB552_419
; %bb.414:
	s_movk_i32 s7, 0x80
	v_cmp_ne_u16_e32 vcc, s7, v21
	v_bfrev_b32_e32 v19, 1
	s_and_saveexec_b64 s[8:9], vcc
	s_cbranch_execz .LBB552_418
; %bb.415:
	v_bfe_u32 v21, v14, 16, 7
	s_movk_i32 s7, 0x7f
	v_cmp_ne_u32_e32 vcc, s7, v21
	v_mov_b32_e32 v19, 0x7f800001
	s_and_saveexec_b64 s[10:11], vcc
	s_cbranch_execz .LBB552_417
; %bb.416:
	v_and_b32_e32 v22, 7, v18
	v_ffbh_u32_e32 v19, v22
	v_min_u32_e32 v24, 32, v19
	v_subrev_u32_e32 v19, 28, v24
	v_lshlrev_b64 v[18:19], v19, v[18:19]
	v_lshrrev_b32_e32 v23, 3, v21
	v_sub_u32_e32 v19, 29, v24
	v_and_b32_e32 v18, 7, v18
	v_cmp_gt_u32_e32 vcc, 8, v21
	v_mov_b32_e32 v21, 24
	v_cndmask_b32_e32 v19, v23, v19, vcc
	v_cndmask_b32_e32 v18, v22, v18, vcc
	v_lshlrev_b32_sdwa v21, v21, v14 dst_sel:DWORD dst_unused:UNUSED_PAD src0_sel:DWORD src1_sel:WORD_1
	v_bfrev_b32_e32 v22, 60
	v_lshlrev_b32_e32 v18, 20, v18
	v_and_b32_e32 v21, 0x80000000, v21
	v_lshl_add_u32 v19, v19, 23, v22
	v_or3_b32 v19, v21, v19, v18
.LBB552_417:
	s_or_b64 exec, exec, s[10:11]
.LBB552_418:
	s_or_b64 exec, exec, s[8:9]
.LBB552_419:
	s_or_b64 exec, exec, s[2:3]
	s_mov_b32 s2, 0xffffff
	v_cmp_lt_u32_e32 vcc, s2, v14
	v_mov_b32_e32 v21, 0
	v_mov_b32_e32 v22, 0
	s_and_saveexec_b64 s[2:3], vcc
	s_cbranch_execz .LBB552_425
; %bb.420:
	v_lshrrev_b32_e32 v18, 24, v14
	s_movk_i32 s7, 0x80
	v_cmp_ne_u32_e32 vcc, s7, v18
	v_bfrev_b32_e32 v22, 1
	s_and_saveexec_b64 s[8:9], vcc
	s_cbranch_execz .LBB552_424
; %bb.421:
	v_bfe_u32 v14, v14, 24, 7
	s_movk_i32 s7, 0x7f
	v_cmp_ne_u32_e32 vcc, s7, v14
	v_mov_b32_e32 v22, 0x7f800001
	s_and_saveexec_b64 s[10:11], vcc
	s_cbranch_execz .LBB552_423
; %bb.422:
	v_and_b32_e32 v24, 7, v18
	v_ffbh_u32_e32 v22, v24
	v_min_u32_e32 v28, 32, v22
	v_subrev_u32_e32 v22, 28, v28
	v_lshlrev_b64 v[22:23], v22, v[18:19]
	v_lshrrev_b32_e32 v25, 3, v14
	v_sub_u32_e32 v23, 29, v28
	v_and_b32_e32 v22, 7, v22
	v_cmp_gt_u32_e32 vcc, 8, v14
	v_cndmask_b32_e32 v14, v25, v23, vcc
	v_cndmask_b32_e32 v22, v24, v22, vcc
	v_lshlrev_b32_e32 v18, 24, v18
	v_bfrev_b32_e32 v23, 60
	v_lshlrev_b32_e32 v22, 20, v22
	v_and_b32_e32 v18, 0x80000000, v18
	v_lshl_add_u32 v14, v14, 23, v23
	v_or3_b32 v22, v18, v14, v22
.LBB552_423:
	s_or_b64 exec, exec, s[10:11]
.LBB552_424:
	s_or_b64 exec, exec, s[8:9]
.LBB552_425:
	s_or_b64 exec, exec, s[2:3]
	v_cmp_ne_u16_sdwa s[8:9], v15, v21 src0_sel:BYTE_0 src1_sel:DWORD
	s_and_saveexec_b64 s[2:3], s[8:9]
	s_cbranch_execz .LBB552_431
; %bb.426:
	s_movk_i32 s7, 0x80
	v_cmp_ne_u16_sdwa s[10:11], v15, s7 src0_sel:BYTE_0 src1_sel:DWORD
	v_bfrev_b32_e32 v21, 1
	s_and_saveexec_b64 s[8:9], s[10:11]
	s_cbranch_execz .LBB552_430
; %bb.427:
	s_movk_i32 s7, 0x7f
	v_and_b32_e32 v14, 0x7f, v15
	v_cmp_ne_u32_e32 vcc, s7, v14
	v_mov_b32_e32 v21, 0x7f800001
	s_and_saveexec_b64 s[10:11], vcc
	s_cbranch_execz .LBB552_429
; %bb.428:
	v_and_b32_e32 v21, 7, v15
	v_ffbh_u32_e32 v24, v21
	v_min_u32_e32 v28, 32, v24
	v_mov_b32_e32 v18, v15
	v_subrev_u32_e32 v24, 28, v28
	v_lshlrev_b64 v[24:25], v24, v[18:19]
	v_lshrrev_b32_e32 v23, 3, v14
	v_sub_u32_e32 v18, 29, v28
	v_and_b32_e32 v24, 7, v24
	v_cmp_gt_u32_e32 vcc, 8, v14
	v_cndmask_b32_e32 v14, v23, v18, vcc
	v_cndmask_b32_e32 v18, v21, v24, vcc
	v_lshlrev_b32_e32 v21, 24, v15
	v_bfrev_b32_e32 v23, 60
	v_lshlrev_b32_e32 v18, 20, v18
	v_and_b32_e32 v21, 0x80000000, v21
	v_lshl_add_u32 v14, v14, 23, v23
	v_or3_b32 v21, v21, v14, v18
.LBB552_429:
	s_or_b64 exec, exec, s[10:11]
.LBB552_430:
	s_or_b64 exec, exec, s[8:9]
.LBB552_431:
	s_or_b64 exec, exec, s[2:3]
	v_lshrrev_b16_e32 v14, 8, v15
	v_cmp_ne_u16_e32 vcc, 0, v14
	v_mov_b32_e32 v18, 0
	v_mov_b32_e32 v24, 0
	s_and_saveexec_b64 s[2:3], vcc
	s_cbranch_execz .LBB552_437
; %bb.432:
	s_movk_i32 s7, 0x80
	v_cmp_ne_u16_e32 vcc, s7, v14
	v_bfrev_b32_e32 v24, 1
	s_and_saveexec_b64 s[8:9], vcc
	s_cbranch_execz .LBB552_436
; %bb.433:
	s_movk_i32 s7, 0x7f
	v_and_b32_e32 v23, 0x7f, v14
	v_cmp_ne_u32_e32 vcc, s7, v23
	v_mov_b32_e32 v24, 0x7f800001
	s_and_saveexec_b64 s[10:11], vcc
	s_cbranch_execz .LBB552_435
; %bb.434:
	v_and_b32_e32 v28, 7, v14
	v_ffbh_u32_e32 v24, v28
	v_min_u32_e32 v30, 32, v24
	v_subrev_u32_e32 v24, 28, v30
	v_lshlrev_b64 v[24:25], v24, v[14:15]
	v_lshrrev_b32_e32 v29, 3, v23
	v_sub_u32_e32 v14, 29, v30
	v_and_b32_e32 v24, 7, v24
	v_cmp_gt_u32_e32 vcc, 8, v23
	v_cndmask_b32_e32 v14, v29, v14, vcc
	v_cndmask_b32_e32 v23, v28, v24, vcc
	v_lshlrev_b32_e32 v24, 16, v15
	v_bfrev_b32_e32 v25, 60
	v_lshlrev_b32_e32 v23, 20, v23
	v_and_b32_e32 v24, 0x80000000, v24
	v_lshl_add_u32 v14, v14, 23, v25
	v_or3_b32 v24, v24, v14, v23
.LBB552_435:
	s_or_b64 exec, exec, s[10:11]
.LBB552_436:
	s_or_b64 exec, exec, s[8:9]
.LBB552_437:
	s_or_b64 exec, exec, s[2:3]
	s_movk_i32 s2, 0xff
	v_and_b32_sdwa v23, v15, s2 dst_sel:DWORD dst_unused:UNUSED_PAD src0_sel:WORD_1 src1_sel:DWORD
	v_lshrrev_b32_e32 v14, 16, v15
	v_cmp_ne_u16_e32 vcc, 0, v23
	s_and_saveexec_b64 s[2:3], vcc
	s_cbranch_execz .LBB552_443
; %bb.438:
	s_movk_i32 s7, 0x80
	v_cmp_ne_u16_e32 vcc, s7, v23
	v_bfrev_b32_e32 v18, 1
	s_and_saveexec_b64 s[8:9], vcc
	s_cbranch_execz .LBB552_442
; %bb.439:
	v_bfe_u32 v23, v15, 16, 7
	s_movk_i32 s7, 0x7f
	v_cmp_ne_u32_e32 vcc, s7, v23
	v_mov_b32_e32 v18, 0x7f800001
	s_and_saveexec_b64 s[10:11], vcc
	s_cbranch_execz .LBB552_441
; %bb.440:
	v_and_b32_e32 v18, 7, v14
	v_ffbh_u32_e32 v28, v18
	v_min_u32_e32 v30, 32, v28
	v_subrev_u32_e32 v28, 28, v30
	v_lshlrev_b64 v[28:29], v28, v[14:15]
	v_lshrrev_b32_e32 v25, 3, v23
	v_sub_u32_e32 v14, 29, v30
	v_and_b32_e32 v28, 7, v28
	v_cmp_gt_u32_e32 vcc, 8, v23
	v_mov_b32_e32 v23, 24
	v_cndmask_b32_e32 v14, v25, v14, vcc
	v_cndmask_b32_e32 v18, v18, v28, vcc
	v_lshlrev_b32_sdwa v23, v23, v15 dst_sel:DWORD dst_unused:UNUSED_PAD src0_sel:DWORD src1_sel:WORD_1
	v_bfrev_b32_e32 v25, 60
	v_lshlrev_b32_e32 v18, 20, v18
	v_and_b32_e32 v23, 0x80000000, v23
	v_lshl_add_u32 v14, v14, 23, v25
	v_or3_b32 v18, v23, v14, v18
.LBB552_441:
	s_or_b64 exec, exec, s[10:11]
.LBB552_442:
	s_or_b64 exec, exec, s[8:9]
.LBB552_443:
	s_or_b64 exec, exec, s[2:3]
	s_mov_b32 s2, 0xffffff
	v_cmp_lt_u32_e32 vcc, s2, v15
	v_mov_b32_e32 v23, 0
	v_mov_b32_e32 v25, 0
	s_and_saveexec_b64 s[2:3], vcc
	s_cbranch_execz .LBB552_449
; %bb.444:
	v_lshrrev_b32_e32 v14, 24, v15
	s_movk_i32 s7, 0x80
	v_cmp_ne_u32_e32 vcc, s7, v14
	v_bfrev_b32_e32 v25, 1
	s_and_saveexec_b64 s[8:9], vcc
	s_cbranch_execz .LBB552_448
; %bb.445:
	v_bfe_u32 v15, v15, 24, 7
	s_movk_i32 s7, 0x7f
	v_cmp_ne_u32_e32 vcc, s7, v15
	v_mov_b32_e32 v25, 0x7f800001
	s_and_saveexec_b64 s[10:11], vcc
	s_cbranch_execz .LBB552_447
; %bb.446:
	v_and_b32_e32 v25, 7, v14
	v_ffbh_u32_e32 v28, v25
	v_min_u32_e32 v31, 32, v28
	v_subrev_u32_e32 v28, 28, v31
	v_lshlrev_b64 v[28:29], v28, v[14:15]
	v_lshrrev_b32_e32 v30, 3, v15
	v_sub_u32_e32 v29, 29, v31
	v_and_b32_e32 v28, 7, v28
	v_cmp_gt_u32_e32 vcc, 8, v15
	v_cndmask_b32_e32 v15, v30, v29, vcc
	v_cndmask_b32_e32 v25, v25, v28, vcc
	v_lshlrev_b32_e32 v14, 24, v14
	v_bfrev_b32_e32 v28, 60
	v_lshlrev_b32_e32 v25, 20, v25
	v_and_b32_e32 v14, 0x80000000, v14
	v_lshl_add_u32 v15, v15, 23, v28
	v_or3_b32 v25, v14, v15, v25
.LBB552_447:
	s_or_b64 exec, exec, s[10:11]
.LBB552_448:
	s_or_b64 exec, exec, s[8:9]
.LBB552_449:
	s_or_b64 exec, exec, s[2:3]
	v_cvt_pkrtz_f16_f32 v15, v19, v22
	v_lshl_or_b32 v22, v1, 9, v27
	v_cvt_pkrtz_f16_f32 v14, v32, v20
	ds_read_b128 v[28:31], v22
	v_cmp_ne_u16_sdwa s[8:9], v16, v23 src0_sel:BYTE_0 src1_sel:DWORD
	s_waitcnt lgkmcnt(0)
	v_mfma_f32_16x16x16f16 v[32:35], v[14:15], v[28:29], 0
	v_cvt_pkrtz_f16_f32 v14, v21, v24
	v_cvt_pkrtz_f16_f32 v15, v18, v25
	s_nop 1
	v_mfma_f32_16x16x16f16 v[18:21], v[14:15], v[30:31], v[32:35]
	s_and_saveexec_b64 s[2:3], s[8:9]
	s_cbranch_execz .LBB552_455
; %bb.450:
	s_movk_i32 s7, 0x80
	v_cmp_ne_u16_sdwa s[10:11], v16, s7 src0_sel:BYTE_0 src1_sel:DWORD
	v_bfrev_b32_e32 v23, 1
	s_and_saveexec_b64 s[8:9], s[10:11]
	s_cbranch_execz .LBB552_454
; %bb.451:
	s_movk_i32 s7, 0x7f
	v_and_b32_e32 v14, 0x7f, v16
	v_cmp_ne_u32_e32 vcc, s7, v14
	v_mov_b32_e32 v23, 0x7f800001
	s_and_saveexec_b64 s[10:11], vcc
	s_cbranch_execz .LBB552_453
; %bb.452:
	v_and_b32_e32 v15, 7, v16
	v_ffbh_u32_e32 v24, v15
	v_min_u32_e32 v27, 32, v24
	v_subrev_u32_e32 v24, 28, v27
	v_lshlrev_b64 v[24:25], v24, v[16:17]
	v_lshrrev_b32_e32 v23, 3, v14
	v_sub_u32_e32 v25, 29, v27
	v_and_b32_e32 v24, 7, v24
	v_cmp_gt_u32_e32 vcc, 8, v14
	v_cndmask_b32_e32 v14, v23, v25, vcc
	v_cndmask_b32_e32 v15, v15, v24, vcc
	v_lshlrev_b32_e32 v23, 24, v16
	v_bfrev_b32_e32 v24, 60
	v_lshlrev_b32_e32 v15, 20, v15
	v_and_b32_e32 v23, 0x80000000, v23
	v_lshl_add_u32 v14, v14, 23, v24
	v_or3_b32 v23, v23, v14, v15
.LBB552_453:
	s_or_b64 exec, exec, s[10:11]
.LBB552_454:
	s_or_b64 exec, exec, s[8:9]
.LBB552_455:
	s_or_b64 exec, exec, s[2:3]
	v_lshrrev_b16_e32 v14, 8, v16
	v_cmp_ne_u16_e32 vcc, 0, v14
	v_mov_b32_e32 v15, 0
	v_mov_b32_e32 v25, 0
	s_and_saveexec_b64 s[2:3], vcc
	s_cbranch_execz .LBB552_461
; %bb.456:
	s_movk_i32 s7, 0x80
	v_cmp_ne_u16_e32 vcc, s7, v14
	v_bfrev_b32_e32 v25, 1
	s_and_saveexec_b64 s[8:9], vcc
	s_cbranch_execz .LBB552_460
; %bb.457:
	s_movk_i32 s7, 0x7f
	v_and_b32_e32 v24, 0x7f, v14
	v_cmp_ne_u32_e32 vcc, s7, v24
	v_mov_b32_e32 v25, 0x7f800001
	s_and_saveexec_b64 s[10:11], vcc
	s_cbranch_execz .LBB552_459
; %bb.458:
	v_and_b32_e32 v25, 7, v14
	v_ffbh_u32_e32 v28, v25
	v_min_u32_e32 v30, 32, v28
	v_subrev_u32_e32 v28, 28, v30
	v_lshlrev_b64 v[28:29], v28, v[14:15]
	v_lshrrev_b32_e32 v27, 3, v24
	v_sub_u32_e32 v14, 29, v30
	v_and_b32_e32 v28, 7, v28
	v_cmp_gt_u32_e32 vcc, 8, v24
	v_cndmask_b32_e32 v14, v27, v14, vcc
	v_cndmask_b32_e32 v24, v25, v28, vcc
	v_lshlrev_b32_e32 v25, 16, v16
	v_bfrev_b32_e32 v27, 60
	v_lshlrev_b32_e32 v24, 20, v24
	v_and_b32_e32 v25, 0x80000000, v25
	v_lshl_add_u32 v14, v14, 23, v27
	v_or3_b32 v25, v25, v14, v24
.LBB552_459:
	s_or_b64 exec, exec, s[10:11]
.LBB552_460:
	s_or_b64 exec, exec, s[8:9]
.LBB552_461:
	s_or_b64 exec, exec, s[2:3]
	s_movk_i32 s2, 0xff
	v_and_b32_sdwa v24, v16, s2 dst_sel:DWORD dst_unused:UNUSED_PAD src0_sel:WORD_1 src1_sel:DWORD
	v_lshrrev_b32_e32 v14, 16, v16
	v_cmp_ne_u16_e32 vcc, 0, v24
	s_and_saveexec_b64 s[2:3], vcc
	s_cbranch_execz .LBB552_467
; %bb.462:
	s_movk_i32 s7, 0x80
	v_cmp_ne_u16_e32 vcc, s7, v24
	v_bfrev_b32_e32 v15, 1
	s_and_saveexec_b64 s[8:9], vcc
	s_cbranch_execz .LBB552_466
; %bb.463:
	v_bfe_u32 v24, v16, 16, 7
	s_movk_i32 s7, 0x7f
	v_cmp_ne_u32_e32 vcc, s7, v24
	v_mov_b32_e32 v15, 0x7f800001
	s_and_saveexec_b64 s[10:11], vcc
	s_cbranch_execz .LBB552_465
; %bb.464:
	v_and_b32_e32 v27, 7, v14
	v_ffbh_u32_e32 v15, v27
	v_min_u32_e32 v29, 32, v15
	v_subrev_u32_e32 v15, 28, v29
	v_lshlrev_b64 v[14:15], v15, v[14:15]
	v_lshrrev_b32_e32 v28, 3, v24
	v_sub_u32_e32 v15, 29, v29
	v_and_b32_e32 v14, 7, v14
	v_cmp_gt_u32_e32 vcc, 8, v24
	v_mov_b32_e32 v24, 24
	v_cndmask_b32_e32 v15, v28, v15, vcc
	v_cndmask_b32_e32 v14, v27, v14, vcc
	v_lshlrev_b32_sdwa v24, v24, v16 dst_sel:DWORD dst_unused:UNUSED_PAD src0_sel:DWORD src1_sel:WORD_1
	v_bfrev_b32_e32 v27, 60
	v_lshlrev_b32_e32 v14, 20, v14
	v_and_b32_e32 v24, 0x80000000, v24
	v_lshl_add_u32 v15, v15, 23, v27
	v_or3_b32 v15, v24, v15, v14
.LBB552_465:
	s_or_b64 exec, exec, s[10:11]
.LBB552_466:
	s_or_b64 exec, exec, s[8:9]
.LBB552_467:
	s_or_b64 exec, exec, s[2:3]
	s_mov_b32 s2, 0xffffff
	v_cmp_lt_u32_e32 vcc, s2, v16
	v_mov_b32_e32 v27, 0
	v_mov_b32_e32 v28, 0
	s_and_saveexec_b64 s[2:3], vcc
	s_cbranch_execz .LBB552_473
; %bb.468:
	v_lshrrev_b32_e32 v14, 24, v16
	s_movk_i32 s7, 0x80
	v_cmp_ne_u32_e32 vcc, s7, v14
	v_bfrev_b32_e32 v28, 1
	s_and_saveexec_b64 s[8:9], vcc
	s_cbranch_execz .LBB552_472
; %bb.469:
	v_bfe_u32 v16, v16, 24, 7
	s_movk_i32 s7, 0x7f
	v_cmp_ne_u32_e32 vcc, s7, v16
	v_mov_b32_e32 v28, 0x7f800001
	s_and_saveexec_b64 s[10:11], vcc
	s_cbranch_execz .LBB552_471
; %bb.470:
	v_and_b32_e32 v24, 7, v14
	v_ffbh_u32_e32 v28, v24
	v_min_u32_e32 v31, 32, v28
	v_subrev_u32_e32 v28, 28, v31
	v_lshlrev_b64 v[28:29], v28, v[14:15]
	v_lshrrev_b32_e32 v30, 3, v16
	v_sub_u32_e32 v29, 29, v31
	v_and_b32_e32 v28, 7, v28
	v_cmp_gt_u32_e32 vcc, 8, v16
	v_cndmask_b32_e32 v16, v30, v29, vcc
	v_cndmask_b32_e32 v24, v24, v28, vcc
	v_lshlrev_b32_e32 v14, 24, v14
	v_bfrev_b32_e32 v28, 60
	v_lshlrev_b32_e32 v24, 20, v24
	v_and_b32_e32 v14, 0x80000000, v14
	v_lshl_add_u32 v16, v16, 23, v28
	v_or3_b32 v28, v14, v16, v24
.LBB552_471:
	s_or_b64 exec, exec, s[10:11]
.LBB552_472:
	s_or_b64 exec, exec, s[8:9]
.LBB552_473:
	s_or_b64 exec, exec, s[2:3]
	v_cmp_ne_u16_sdwa s[8:9], v17, v27 src0_sel:BYTE_0 src1_sel:DWORD
	s_and_saveexec_b64 s[2:3], s[8:9]
	s_cbranch_execz .LBB552_479
; %bb.474:
	s_movk_i32 s7, 0x80
	v_cmp_ne_u16_sdwa s[10:11], v17, s7 src0_sel:BYTE_0 src1_sel:DWORD
	v_bfrev_b32_e32 v27, 1
	s_and_saveexec_b64 s[8:9], s[10:11]
	s_cbranch_execz .LBB552_478
; %bb.475:
	s_movk_i32 s7, 0x7f
	v_and_b32_e32 v14, 0x7f, v17
	v_cmp_ne_u32_e32 vcc, s7, v14
	v_mov_b32_e32 v27, 0x7f800001
	s_and_saveexec_b64 s[10:11], vcc
	s_cbranch_execz .LBB552_477
; %bb.476:
	v_and_b32_e32 v24, 7, v17
	v_ffbh_u32_e32 v29, v24
	v_min_u32_e32 v29, 32, v29
	v_mov_b32_e32 v16, v17
	v_subrev_u32_e32 v30, 28, v29
	v_lshlrev_b64 v[30:31], v30, v[16:17]
	v_lshrrev_b32_e32 v27, 3, v14
	v_sub_u32_e32 v16, 29, v29
	v_and_b32_e32 v29, 7, v30
	v_cmp_gt_u32_e32 vcc, 8, v14
	v_cndmask_b32_e32 v14, v27, v16, vcc
	v_cndmask_b32_e32 v16, v24, v29, vcc
	v_lshlrev_b32_e32 v24, 24, v17
	v_bfrev_b32_e32 v27, 60
	v_lshlrev_b32_e32 v16, 20, v16
	v_and_b32_e32 v24, 0x80000000, v24
	v_lshl_add_u32 v14, v14, 23, v27
	v_or3_b32 v27, v24, v14, v16
.LBB552_477:
	s_or_b64 exec, exec, s[10:11]
.LBB552_478:
	s_or_b64 exec, exec, s[8:9]
.LBB552_479:
	s_or_b64 exec, exec, s[2:3]
	v_lshrrev_b16_e32 v14, 8, v17
	v_cmp_ne_u16_e32 vcc, 0, v14
	v_mov_b32_e32 v16, 0
	v_mov_b32_e32 v29, 0
	s_and_saveexec_b64 s[2:3], vcc
	s_cbranch_execz .LBB552_485
; %bb.480:
	s_movk_i32 s7, 0x80
	v_cmp_ne_u16_e32 vcc, s7, v14
	v_bfrev_b32_e32 v29, 1
	s_and_saveexec_b64 s[8:9], vcc
	s_cbranch_execz .LBB552_484
; %bb.481:
	s_movk_i32 s7, 0x7f
	v_and_b32_e32 v24, 0x7f, v14
	v_cmp_ne_u32_e32 vcc, s7, v24
	v_mov_b32_e32 v29, 0x7f800001
	s_and_saveexec_b64 s[10:11], vcc
	s_cbranch_execz .LBB552_483
; %bb.482:
	v_and_b32_e32 v29, 7, v14
	v_ffbh_u32_e32 v30, v29
	v_min_u32_e32 v33, 32, v30
	v_subrev_u32_e32 v30, 28, v33
	v_lshlrev_b64 v[30:31], v30, v[14:15]
	v_lshrrev_b32_e32 v32, 3, v24
	v_sub_u32_e32 v14, 29, v33
	v_and_b32_e32 v30, 7, v30
	v_cmp_gt_u32_e32 vcc, 8, v24
	v_cndmask_b32_e32 v14, v32, v14, vcc
	v_cndmask_b32_e32 v24, v29, v30, vcc
	v_lshlrev_b32_e32 v29, 16, v17
	v_bfrev_b32_e32 v30, 60
	v_lshlrev_b32_e32 v24, 20, v24
	v_and_b32_e32 v29, 0x80000000, v29
	v_lshl_add_u32 v14, v14, 23, v30
	v_or3_b32 v29, v29, v14, v24
.LBB552_483:
	s_or_b64 exec, exec, s[10:11]
.LBB552_484:
	s_or_b64 exec, exec, s[8:9]
.LBB552_485:
	s_or_b64 exec, exec, s[2:3]
	s_movk_i32 s2, 0xff
	v_and_b32_sdwa v24, v17, s2 dst_sel:DWORD dst_unused:UNUSED_PAD src0_sel:WORD_1 src1_sel:DWORD
	v_lshrrev_b32_e32 v14, 16, v17
	v_cmp_ne_u16_e32 vcc, 0, v24
	s_and_saveexec_b64 s[2:3], vcc
	s_cbranch_execz .LBB552_491
; %bb.486:
	s_movk_i32 s7, 0x80
	v_cmp_ne_u16_e32 vcc, s7, v24
	v_bfrev_b32_e32 v16, 1
	s_and_saveexec_b64 s[8:9], vcc
	s_cbranch_execz .LBB552_490
; %bb.487:
	v_bfe_u32 v24, v17, 16, 7
	s_movk_i32 s7, 0x7f
	v_cmp_ne_u32_e32 vcc, s7, v24
	v_mov_b32_e32 v16, 0x7f800001
	s_and_saveexec_b64 s[10:11], vcc
	s_cbranch_execz .LBB552_489
; %bb.488:
	v_and_b32_e32 v16, 7, v14
	v_ffbh_u32_e32 v30, v16
	v_min_u32_e32 v33, 32, v30
	v_subrev_u32_e32 v30, 28, v33
	v_lshlrev_b64 v[30:31], v30, v[14:15]
	v_lshrrev_b32_e32 v32, 3, v24
	v_sub_u32_e32 v14, 29, v33
	v_and_b32_e32 v30, 7, v30
	v_cmp_gt_u32_e32 vcc, 8, v24
	v_mov_b32_e32 v24, 24
	v_cndmask_b32_e32 v14, v32, v14, vcc
	v_cndmask_b32_e32 v16, v16, v30, vcc
	v_lshlrev_b32_sdwa v24, v24, v17 dst_sel:DWORD dst_unused:UNUSED_PAD src0_sel:DWORD src1_sel:WORD_1
	v_bfrev_b32_e32 v30, 60
	v_lshlrev_b32_e32 v16, 20, v16
	v_and_b32_e32 v24, 0x80000000, v24
	v_lshl_add_u32 v14, v14, 23, v30
	v_or3_b32 v16, v24, v14, v16
.LBB552_489:
	s_or_b64 exec, exec, s[10:11]
.LBB552_490:
	s_or_b64 exec, exec, s[8:9]
.LBB552_491:
	s_or_b64 exec, exec, s[2:3]
	s_mov_b32 s2, 0xffffff
	v_cmp_lt_u32_e32 vcc, s2, v17
	v_mov_b32_e32 v24, 0
	v_mov_b32_e32 v30, 0
	s_and_saveexec_b64 s[2:3], vcc
	s_cbranch_execz .LBB552_497
; %bb.492:
	v_lshrrev_b32_e32 v14, 24, v17
	s_movk_i32 s7, 0x80
	v_cmp_ne_u32_e32 vcc, s7, v14
	v_bfrev_b32_e32 v30, 1
	s_and_saveexec_b64 s[8:9], vcc
	s_cbranch_execz .LBB552_496
; %bb.493:
	v_bfe_u32 v17, v17, 24, 7
	s_movk_i32 s7, 0x7f
	v_cmp_ne_u32_e32 vcc, s7, v17
	v_mov_b32_e32 v30, 0x7f800001
	s_and_saveexec_b64 s[10:11], vcc
	s_cbranch_execz .LBB552_495
; %bb.494:
	v_and_b32_e32 v32, 7, v14
	v_ffbh_u32_e32 v30, v32
	v_min_u32_e32 v34, 32, v30
	v_subrev_u32_e32 v30, 28, v34
	v_lshlrev_b64 v[30:31], v30, v[14:15]
	v_lshrrev_b32_e32 v33, 3, v17
	v_sub_u32_e32 v31, 29, v34
	v_and_b32_e32 v30, 7, v30
	v_cmp_gt_u32_e32 vcc, 8, v17
	v_cndmask_b32_e32 v17, v33, v31, vcc
	v_cndmask_b32_e32 v30, v32, v30, vcc
	v_lshlrev_b32_e32 v14, 24, v14
	v_bfrev_b32_e32 v31, 60
	v_lshlrev_b32_e32 v30, 20, v30
	v_and_b32_e32 v14, 0x80000000, v14
	v_lshl_add_u32 v17, v17, 23, v31
	v_or3_b32 v30, v14, v17, v30
.LBB552_495:
	s_or_b64 exec, exec, s[10:11]
.LBB552_496:
	s_or_b64 exec, exec, s[8:9]
.LBB552_497:
	s_or_b64 exec, exec, s[2:3]
	v_cvt_pkrtz_f16_f32 v14, v23, v25
	v_cvt_pkrtz_f16_f32 v15, v15, v28
	ds_read_b128 v[32:35], v22 offset:16
	s_waitcnt vmcnt(2)
	v_cmp_ne_u16_sdwa s[8:9], v10, v24 src0_sel:BYTE_0 src1_sel:DWORD
	s_waitcnt lgkmcnt(0)
	v_mfma_f32_16x16x16f16 v[18:21], v[14:15], v[32:33], v[18:21]
	v_cvt_pkrtz_f16_f32 v14, v27, v29
	v_cvt_pkrtz_f16_f32 v15, v16, v30
	s_nop 1
	v_mfma_f32_16x16x16f16 v[14:17], v[14:15], v[34:35], v[18:21]
	s_and_saveexec_b64 s[2:3], s[8:9]
	s_cbranch_execz .LBB552_503
; %bb.498:
	s_movk_i32 s7, 0x80
	v_cmp_ne_u16_sdwa s[10:11], v10, s7 src0_sel:BYTE_0 src1_sel:DWORD
	v_bfrev_b32_e32 v24, 1
	s_and_saveexec_b64 s[8:9], s[10:11]
	s_cbranch_execz .LBB552_502
; %bb.499:
	s_movk_i32 s7, 0x7f
	v_and_b32_e32 v18, 0x7f, v10
	v_cmp_ne_u32_e32 vcc, s7, v18
	v_mov_b32_e32 v24, 0x7f800001
	s_and_saveexec_b64 s[10:11], vcc
	s_cbranch_execz .LBB552_501
; %bb.500:
	v_and_b32_e32 v19, 7, v10
	v_ffbh_u32_e32 v20, v19
	v_min_u32_e32 v24, 32, v20
	v_subrev_u32_e32 v20, 28, v24
	v_lshlrev_b64 v[20:21], v20, v[10:11]
	v_lshrrev_b32_e32 v23, 3, v18
	v_sub_u32_e32 v21, 29, v24
	v_and_b32_e32 v20, 7, v20
	v_cmp_gt_u32_e32 vcc, 8, v18
	v_cndmask_b32_e32 v18, v23, v21, vcc
	v_cndmask_b32_e32 v19, v19, v20, vcc
	v_lshlrev_b32_e32 v20, 24, v10
	v_bfrev_b32_e32 v21, 60
	v_lshlrev_b32_e32 v19, 20, v19
	v_and_b32_e32 v20, 0x80000000, v20
	v_lshl_add_u32 v18, v18, 23, v21
	v_or3_b32 v24, v20, v18, v19
.LBB552_501:
	s_or_b64 exec, exec, s[10:11]
.LBB552_502:
	s_or_b64 exec, exec, s[8:9]
.LBB552_503:
	s_or_b64 exec, exec, s[2:3]
	s_nop 3
	v_lshrrev_b16_e32 v18, 8, v10
	v_cmp_ne_u16_e32 vcc, 0, v18
	v_mov_b32_e32 v19, 0
	v_mov_b32_e32 v20, 0
	s_and_saveexec_b64 s[2:3], vcc
	s_cbranch_execz .LBB552_509
; %bb.504:
	s_movk_i32 s7, 0x80
	v_cmp_ne_u16_e32 vcc, s7, v18
	v_bfrev_b32_e32 v20, 1
	s_and_saveexec_b64 s[8:9], vcc
	s_cbranch_execz .LBB552_508
; %bb.505:
	s_movk_i32 s7, 0x7f
	v_and_b32_e32 v21, 0x7f, v18
	v_cmp_ne_u32_e32 vcc, s7, v21
	v_mov_b32_e32 v20, 0x7f800001
	s_and_saveexec_b64 s[10:11], vcc
	s_cbranch_execz .LBB552_507
; %bb.506:
	v_and_b32_e32 v20, 7, v18
	v_ffbh_u32_e32 v25, v20
	v_min_u32_e32 v25, 32, v25
	v_subrev_u32_e32 v27, 28, v25
	v_lshlrev_b64 v[28:29], v27, v[18:19]
	v_lshrrev_b32_e32 v23, 3, v21
	v_sub_u32_e32 v18, 29, v25
	v_and_b32_e32 v25, 7, v28
	v_cmp_gt_u32_e32 vcc, 8, v21
	v_cndmask_b32_e32 v18, v23, v18, vcc
	v_cndmask_b32_e32 v20, v20, v25, vcc
	v_lshlrev_b32_e32 v21, 16, v10
	v_bfrev_b32_e32 v23, 60
	v_lshlrev_b32_e32 v20, 20, v20
	v_and_b32_e32 v21, 0x80000000, v21
	v_lshl_add_u32 v18, v18, 23, v23
	v_or3_b32 v20, v21, v18, v20
.LBB552_507:
	s_or_b64 exec, exec, s[10:11]
.LBB552_508:
	s_or_b64 exec, exec, s[8:9]
.LBB552_509:
	s_or_b64 exec, exec, s[2:3]
	s_movk_i32 s2, 0xff
	v_and_b32_sdwa v21, v10, s2 dst_sel:DWORD dst_unused:UNUSED_PAD src0_sel:WORD_1 src1_sel:DWORD
	v_lshrrev_b32_e32 v18, 16, v10
	v_cmp_ne_u16_e32 vcc, 0, v21
	s_and_saveexec_b64 s[2:3], vcc
	s_cbranch_execz .LBB552_515
; %bb.510:
	s_movk_i32 s7, 0x80
	v_cmp_ne_u16_e32 vcc, s7, v21
	v_bfrev_b32_e32 v19, 1
	s_and_saveexec_b64 s[8:9], vcc
	s_cbranch_execz .LBB552_514
; %bb.511:
	v_bfe_u32 v21, v10, 16, 7
	s_movk_i32 s7, 0x7f
	v_cmp_ne_u32_e32 vcc, s7, v21
	v_mov_b32_e32 v19, 0x7f800001
	s_and_saveexec_b64 s[10:11], vcc
	s_cbranch_execz .LBB552_513
; %bb.512:
	v_and_b32_e32 v23, 7, v18
	v_ffbh_u32_e32 v19, v23
	v_min_u32_e32 v27, 32, v19
	v_subrev_u32_e32 v19, 28, v27
	v_lshlrev_b64 v[18:19], v19, v[18:19]
	v_lshrrev_b32_e32 v25, 3, v21
	v_sub_u32_e32 v19, 29, v27
	v_and_b32_e32 v18, 7, v18
	v_cmp_gt_u32_e32 vcc, 8, v21
	v_mov_b32_e32 v21, 24
	v_cndmask_b32_e32 v19, v25, v19, vcc
	v_cndmask_b32_e32 v18, v23, v18, vcc
	v_lshlrev_b32_sdwa v21, v21, v10 dst_sel:DWORD dst_unused:UNUSED_PAD src0_sel:DWORD src1_sel:WORD_1
	v_bfrev_b32_e32 v23, 60
	v_lshlrev_b32_e32 v18, 20, v18
	v_and_b32_e32 v21, 0x80000000, v21
	v_lshl_add_u32 v19, v19, 23, v23
	v_or3_b32 v19, v21, v19, v18
.LBB552_513:
	s_or_b64 exec, exec, s[10:11]
.LBB552_514:
	s_or_b64 exec, exec, s[8:9]
.LBB552_515:
	s_or_b64 exec, exec, s[2:3]
	s_mov_b32 s2, 0xffffff
	v_cmp_lt_u32_e32 vcc, s2, v10
	v_mov_b32_e32 v21, 0
	v_mov_b32_e32 v23, 0
	s_and_saveexec_b64 s[2:3], vcc
	s_cbranch_execz .LBB552_521
; %bb.516:
	v_lshrrev_b32_e32 v18, 24, v10
	s_movk_i32 s7, 0x80
	v_cmp_ne_u32_e32 vcc, s7, v18
	v_bfrev_b32_e32 v23, 1
	s_and_saveexec_b64 s[8:9], vcc
	s_cbranch_execz .LBB552_520
; %bb.517:
	v_bfe_u32 v10, v10, 24, 7
	s_movk_i32 s7, 0x7f
	v_cmp_ne_u32_e32 vcc, s7, v10
	v_mov_b32_e32 v23, 0x7f800001
	s_and_saveexec_b64 s[10:11], vcc
	s_cbranch_execz .LBB552_519
; %bb.518:
	v_and_b32_e32 v23, 7, v18
	v_ffbh_u32_e32 v27, v23
	v_min_u32_e32 v27, 32, v27
	v_subrev_u32_e32 v28, 28, v27
	v_lshlrev_b64 v[28:29], v28, v[18:19]
	v_lshrrev_b32_e32 v25, 3, v10
	v_sub_u32_e32 v27, 29, v27
	v_and_b32_e32 v28, 7, v28
	v_cmp_gt_u32_e32 vcc, 8, v10
	v_cndmask_b32_e32 v10, v25, v27, vcc
	v_cndmask_b32_e32 v23, v23, v28, vcc
	v_lshlrev_b32_e32 v18, 24, v18
	v_bfrev_b32_e32 v25, 60
	v_lshlrev_b32_e32 v23, 20, v23
	v_and_b32_e32 v18, 0x80000000, v18
	v_lshl_add_u32 v10, v10, 23, v25
	v_or3_b32 v23, v18, v10, v23
.LBB552_519:
	s_or_b64 exec, exec, s[10:11]
.LBB552_520:
	s_or_b64 exec, exec, s[8:9]
.LBB552_521:
	s_or_b64 exec, exec, s[2:3]
	v_cmp_ne_u16_sdwa s[8:9], v11, v21 src0_sel:BYTE_0 src1_sel:DWORD
	s_and_saveexec_b64 s[2:3], s[8:9]
	s_cbranch_execz .LBB552_527
; %bb.522:
	s_movk_i32 s7, 0x80
	v_cmp_ne_u16_sdwa s[10:11], v11, s7 src0_sel:BYTE_0 src1_sel:DWORD
	v_bfrev_b32_e32 v21, 1
	s_and_saveexec_b64 s[8:9], s[10:11]
	s_cbranch_execz .LBB552_526
; %bb.523:
	s_movk_i32 s7, 0x7f
	v_and_b32_e32 v10, 0x7f, v11
	v_cmp_ne_u32_e32 vcc, s7, v10
	v_mov_b32_e32 v21, 0x7f800001
	s_and_saveexec_b64 s[10:11], vcc
	s_cbranch_execz .LBB552_525
; %bb.524:
	v_and_b32_e32 v21, 7, v11
	v_ffbh_u32_e32 v27, v21
	v_min_u32_e32 v27, 32, v27
	v_mov_b32_e32 v18, v11
	v_subrev_u32_e32 v28, 28, v27
	v_lshlrev_b64 v[28:29], v28, v[18:19]
	v_lshrrev_b32_e32 v25, 3, v10
	v_sub_u32_e32 v18, 29, v27
	v_and_b32_e32 v27, 7, v28
	v_cmp_gt_u32_e32 vcc, 8, v10
	v_cndmask_b32_e32 v10, v25, v18, vcc
	v_cndmask_b32_e32 v18, v21, v27, vcc
	v_lshlrev_b32_e32 v21, 24, v11
	v_bfrev_b32_e32 v25, 60
	v_lshlrev_b32_e32 v18, 20, v18
	v_and_b32_e32 v21, 0x80000000, v21
	v_lshl_add_u32 v10, v10, 23, v25
	v_or3_b32 v21, v21, v10, v18
.LBB552_525:
	s_or_b64 exec, exec, s[10:11]
.LBB552_526:
	s_or_b64 exec, exec, s[8:9]
.LBB552_527:
	s_or_b64 exec, exec, s[2:3]
	v_lshrrev_b16_e32 v10, 8, v11
	v_cmp_ne_u16_e32 vcc, 0, v10
	v_mov_b32_e32 v25, 0
	v_mov_b32_e32 v27, 0
	s_and_saveexec_b64 s[2:3], vcc
	s_cbranch_execz .LBB552_533
; %bb.528:
	s_movk_i32 s7, 0x80
	v_cmp_ne_u16_e32 vcc, s7, v10
	v_bfrev_b32_e32 v27, 1
	s_and_saveexec_b64 s[8:9], vcc
	s_cbranch_execz .LBB552_532
; %bb.529:
	s_movk_i32 s7, 0x7f
	v_and_b32_e32 v18, 0x7f, v10
	v_cmp_ne_u32_e32 vcc, s7, v18
	v_mov_b32_e32 v27, 0x7f800001
	s_and_saveexec_b64 s[10:11], vcc
	s_cbranch_execz .LBB552_531
; %bb.530:
	v_and_b32_e32 v27, 7, v10
	v_ffbh_u32_e32 v28, v27
	v_min_u32_e32 v31, 32, v28
	v_subrev_u32_e32 v28, 28, v31
	v_lshlrev_b64 v[28:29], v28, v[10:11]
	v_lshrrev_b32_e32 v30, 3, v18
	v_sub_u32_e32 v10, 29, v31
	v_and_b32_e32 v28, 7, v28
	v_cmp_gt_u32_e32 vcc, 8, v18
	v_cndmask_b32_e32 v10, v30, v10, vcc
	v_cndmask_b32_e32 v18, v27, v28, vcc
	v_lshlrev_b32_e32 v27, 16, v11
	v_bfrev_b32_e32 v28, 60
	v_lshlrev_b32_e32 v18, 20, v18
	v_and_b32_e32 v27, 0x80000000, v27
	v_lshl_add_u32 v10, v10, 23, v28
	v_or3_b32 v27, v27, v10, v18
.LBB552_531:
	s_or_b64 exec, exec, s[10:11]
.LBB552_532:
	s_or_b64 exec, exec, s[8:9]
.LBB552_533:
	s_or_b64 exec, exec, s[2:3]
	s_movk_i32 s2, 0xff
	v_and_b32_sdwa v18, v11, s2 dst_sel:DWORD dst_unused:UNUSED_PAD src0_sel:WORD_1 src1_sel:DWORD
	v_lshrrev_b32_e32 v10, 16, v11
	v_cmp_ne_u16_e32 vcc, 0, v18
	s_and_saveexec_b64 s[2:3], vcc
	s_cbranch_execz .LBB552_539
; %bb.534:
	s_movk_i32 s7, 0x80
	v_cmp_ne_u16_e32 vcc, s7, v18
	v_bfrev_b32_e32 v25, 1
	s_and_saveexec_b64 s[8:9], vcc
	s_cbranch_execz .LBB552_538
; %bb.535:
	v_bfe_u32 v18, v11, 16, 7
	s_movk_i32 s7, 0x7f
	v_cmp_ne_u32_e32 vcc, s7, v18
	v_mov_b32_e32 v25, 0x7f800001
	s_and_saveexec_b64 s[10:11], vcc
	s_cbranch_execz .LBB552_537
; %bb.536:
	v_and_b32_e32 v25, 7, v10
	v_ffbh_u32_e32 v28, v25
	v_min_u32_e32 v31, 32, v28
	v_subrev_u32_e32 v28, 28, v31
	v_lshlrev_b64 v[28:29], v28, v[10:11]
	v_and_b32_e32 v28, 7, v28
	v_cmp_gt_u32_e32 vcc, 8, v18
	v_lshrrev_b32_e32 v30, 3, v18
	v_sub_u32_e32 v10, 29, v31
	v_cndmask_b32_e32 v18, v25, v28, vcc
	v_mov_b32_e32 v25, 24
	v_cndmask_b32_e32 v10, v30, v10, vcc
	v_lshlrev_b32_sdwa v25, v25, v11 dst_sel:DWORD dst_unused:UNUSED_PAD src0_sel:DWORD src1_sel:WORD_1
	v_bfrev_b32_e32 v28, 60
	v_lshlrev_b32_e32 v18, 20, v18
	v_and_b32_e32 v25, 0x80000000, v25
	v_lshl_add_u32 v10, v10, 23, v28
	v_or3_b32 v25, v25, v10, v18
.LBB552_537:
	s_or_b64 exec, exec, s[10:11]
.LBB552_538:
	s_or_b64 exec, exec, s[8:9]
.LBB552_539:
	s_or_b64 exec, exec, s[2:3]
	s_mov_b32 s2, 0xffffff
	v_cmp_lt_u32_e32 vcc, s2, v11
	v_mov_b32_e32 v18, 0
	v_mov_b32_e32 v28, 0
	s_and_saveexec_b64 s[2:3], vcc
	s_cbranch_execz .LBB552_545
; %bb.540:
	v_lshrrev_b32_e32 v10, 24, v11
	s_movk_i32 s7, 0x80
	v_cmp_ne_u32_e32 vcc, s7, v10
	v_bfrev_b32_e32 v28, 1
	s_and_saveexec_b64 s[8:9], vcc
	s_cbranch_execz .LBB552_544
; %bb.541:
	v_bfe_u32 v11, v11, 24, 7
	s_movk_i32 s7, 0x7f
	v_cmp_ne_u32_e32 vcc, s7, v11
	v_mov_b32_e32 v28, 0x7f800001
	s_and_saveexec_b64 s[10:11], vcc
	s_cbranch_execz .LBB552_543
; %bb.542:
	v_and_b32_e32 v30, 7, v10
	v_ffbh_u32_e32 v28, v30
	v_min_u32_e32 v32, 32, v28
	v_subrev_u32_e32 v28, 28, v32
	v_lshlrev_b64 v[28:29], v28, v[10:11]
	v_lshrrev_b32_e32 v31, 3, v11
	v_sub_u32_e32 v29, 29, v32
	v_and_b32_e32 v28, 7, v28
	v_cmp_gt_u32_e32 vcc, 8, v11
	v_cndmask_b32_e32 v11, v31, v29, vcc
	v_cndmask_b32_e32 v28, v30, v28, vcc
	v_lshlrev_b32_e32 v10, 24, v10
	v_bfrev_b32_e32 v29, 60
	v_lshlrev_b32_e32 v28, 20, v28
	v_and_b32_e32 v10, 0x80000000, v10
	v_lshl_add_u32 v11, v11, 23, v29
	v_or3_b32 v28, v10, v11, v28
.LBB552_543:
	s_or_b64 exec, exec, s[10:11]
.LBB552_544:
	s_or_b64 exec, exec, s[8:9]
.LBB552_545:
	s_or_b64 exec, exec, s[2:3]
	v_cvt_pkrtz_f16_f32 v10, v24, v20
	v_cvt_pkrtz_f16_f32 v11, v19, v23
	ds_read_b128 v[30:33], v22 offset:2048
	v_cmp_ne_u16_sdwa s[8:9], v12, v18 src0_sel:BYTE_0 src1_sel:DWORD
	s_waitcnt lgkmcnt(0)
	v_mfma_f32_16x16x16f16 v[14:17], v[10:11], v[30:31], v[14:17]
	v_cvt_pkrtz_f16_f32 v10, v21, v27
	v_cvt_pkrtz_f16_f32 v11, v25, v28
	s_nop 1
	v_mfma_f32_16x16x16f16 v[14:17], v[10:11], v[32:33], v[14:17]
	s_and_saveexec_b64 s[2:3], s[8:9]
	s_cbranch_execz .LBB552_551
; %bb.546:
	s_movk_i32 s7, 0x80
	v_cmp_ne_u16_sdwa s[10:11], v12, s7 src0_sel:BYTE_0 src1_sel:DWORD
	v_bfrev_b32_e32 v18, 1
	s_and_saveexec_b64 s[8:9], s[10:11]
	s_cbranch_execz .LBB552_550
; %bb.547:
	s_movk_i32 s7, 0x7f
	v_and_b32_e32 v10, 0x7f, v12
	v_cmp_ne_u32_e32 vcc, s7, v10
	v_mov_b32_e32 v18, 0x7f800001
	s_and_saveexec_b64 s[10:11], vcc
	s_cbranch_execz .LBB552_549
; %bb.548:
	v_and_b32_e32 v11, 7, v12
	v_ffbh_u32_e32 v18, v11
	v_min_u32_e32 v21, 32, v18
	v_subrev_u32_e32 v18, 28, v21
	v_lshlrev_b64 v[18:19], v18, v[12:13]
	v_lshrrev_b32_e32 v20, 3, v10
	v_sub_u32_e32 v19, 29, v21
	v_and_b32_e32 v18, 7, v18
	v_cmp_gt_u32_e32 vcc, 8, v10
	v_cndmask_b32_e32 v10, v20, v19, vcc
	v_cndmask_b32_e32 v11, v11, v18, vcc
	v_lshlrev_b32_e32 v18, 24, v12
	v_bfrev_b32_e32 v19, 60
	v_lshlrev_b32_e32 v11, 20, v11
	v_and_b32_e32 v18, 0x80000000, v18
	v_lshl_add_u32 v10, v10, 23, v19
	v_or3_b32 v18, v18, v10, v11
.LBB552_549:
	s_or_b64 exec, exec, s[10:11]
.LBB552_550:
	s_or_b64 exec, exec, s[8:9]
.LBB552_551:
	s_or_b64 exec, exec, s[2:3]
	v_lshrrev_b16_e32 v10, 8, v12
	v_cmp_ne_u16_e32 vcc, 0, v10
	v_mov_b32_e32 v11, 0
	v_mov_b32_e32 v20, 0
	s_and_saveexec_b64 s[2:3], vcc
	s_cbranch_execz .LBB552_557
; %bb.552:
	s_movk_i32 s7, 0x80
	v_cmp_ne_u16_e32 vcc, s7, v10
	v_bfrev_b32_e32 v20, 1
	s_and_saveexec_b64 s[8:9], vcc
	s_cbranch_execz .LBB552_556
; %bb.553:
	s_movk_i32 s7, 0x7f
	v_and_b32_e32 v19, 0x7f, v10
	v_cmp_ne_u32_e32 vcc, s7, v19
	v_mov_b32_e32 v20, 0x7f800001
	s_and_saveexec_b64 s[10:11], vcc
	s_cbranch_execz .LBB552_555
; %bb.554:
	v_and_b32_e32 v23, 7, v10
	v_ffbh_u32_e32 v20, v23
	v_min_u32_e32 v25, 32, v20
	v_subrev_u32_e32 v20, 28, v25
	v_lshlrev_b64 v[20:21], v20, v[10:11]
	v_lshrrev_b32_e32 v24, 3, v19
	v_sub_u32_e32 v10, 29, v25
	v_and_b32_e32 v20, 7, v20
	v_cmp_gt_u32_e32 vcc, 8, v19
	v_cndmask_b32_e32 v10, v24, v10, vcc
	v_cndmask_b32_e32 v19, v23, v20, vcc
	v_lshlrev_b32_e32 v20, 16, v12
	v_bfrev_b32_e32 v21, 60
	v_lshlrev_b32_e32 v19, 20, v19
	v_and_b32_e32 v20, 0x80000000, v20
	v_lshl_add_u32 v10, v10, 23, v21
	v_or3_b32 v20, v20, v10, v19
.LBB552_555:
	s_or_b64 exec, exec, s[10:11]
.LBB552_556:
	s_or_b64 exec, exec, s[8:9]
.LBB552_557:
	s_or_b64 exec, exec, s[2:3]
	s_movk_i32 s2, 0xff
	v_and_b32_sdwa v19, v12, s2 dst_sel:DWORD dst_unused:UNUSED_PAD src0_sel:WORD_1 src1_sel:DWORD
	v_lshrrev_b32_e32 v10, 16, v12
	v_cmp_ne_u16_e32 vcc, 0, v19
	s_and_saveexec_b64 s[2:3], vcc
	s_cbranch_execz .LBB552_563
; %bb.558:
	s_movk_i32 s7, 0x80
	v_cmp_ne_u16_e32 vcc, s7, v19
	v_bfrev_b32_e32 v11, 1
	s_and_saveexec_b64 s[8:9], vcc
	s_cbranch_execz .LBB552_562
; %bb.559:
	v_bfe_u32 v19, v12, 16, 7
	s_movk_i32 s7, 0x7f
	v_cmp_ne_u32_e32 vcc, s7, v19
	v_mov_b32_e32 v11, 0x7f800001
	s_and_saveexec_b64 s[10:11], vcc
	s_cbranch_execz .LBB552_561
; %bb.560:
	v_and_b32_e32 v21, 7, v10
	v_ffbh_u32_e32 v11, v21
	v_min_u32_e32 v24, 32, v11
	v_subrev_u32_e32 v11, 28, v24
	v_lshlrev_b64 v[10:11], v11, v[10:11]
	v_lshrrev_b32_e32 v23, 3, v19
	v_sub_u32_e32 v11, 29, v24
	v_and_b32_e32 v10, 7, v10
	v_cmp_gt_u32_e32 vcc, 8, v19
	v_mov_b32_e32 v19, 24
	v_cndmask_b32_e32 v11, v23, v11, vcc
	v_cndmask_b32_e32 v10, v21, v10, vcc
	v_lshlrev_b32_sdwa v19, v19, v12 dst_sel:DWORD dst_unused:UNUSED_PAD src0_sel:DWORD src1_sel:WORD_1
	v_bfrev_b32_e32 v21, 60
	v_lshlrev_b32_e32 v10, 20, v10
	v_and_b32_e32 v19, 0x80000000, v19
	v_lshl_add_u32 v11, v11, 23, v21
	v_or3_b32 v11, v19, v11, v10
.LBB552_561:
	s_or_b64 exec, exec, s[10:11]
.LBB552_562:
	s_or_b64 exec, exec, s[8:9]
.LBB552_563:
	s_or_b64 exec, exec, s[2:3]
	s_mov_b32 s2, 0xffffff
	v_cmp_lt_u32_e32 vcc, s2, v12
	v_mov_b32_e32 v21, 0
	v_mov_b32_e32 v23, 0
	s_and_saveexec_b64 s[2:3], vcc
	s_cbranch_execz .LBB552_569
; %bb.564:
	v_lshrrev_b32_e32 v10, 24, v12
	s_movk_i32 s7, 0x80
	v_cmp_ne_u32_e32 vcc, s7, v10
	v_bfrev_b32_e32 v23, 1
	s_and_saveexec_b64 s[8:9], vcc
	s_cbranch_execz .LBB552_568
; %bb.565:
	v_bfe_u32 v12, v12, 24, 7
	s_movk_i32 s7, 0x7f
	v_cmp_ne_u32_e32 vcc, s7, v12
	v_mov_b32_e32 v23, 0x7f800001
	s_and_saveexec_b64 s[10:11], vcc
	s_cbranch_execz .LBB552_567
; %bb.566:
	v_and_b32_e32 v19, 7, v10
	v_ffbh_u32_e32 v24, v19
	v_min_u32_e32 v27, 32, v24
	v_subrev_u32_e32 v24, 28, v27
	v_lshlrev_b64 v[24:25], v24, v[10:11]
	v_lshrrev_b32_e32 v23, 3, v12
	v_sub_u32_e32 v25, 29, v27
	v_and_b32_e32 v24, 7, v24
	v_cmp_gt_u32_e32 vcc, 8, v12
	v_cndmask_b32_e32 v12, v23, v25, vcc
	v_cndmask_b32_e32 v19, v19, v24, vcc
	v_lshlrev_b32_e32 v10, 24, v10
	v_bfrev_b32_e32 v23, 60
	v_lshlrev_b32_e32 v19, 20, v19
	v_and_b32_e32 v10, 0x80000000, v10
	v_lshl_add_u32 v12, v12, 23, v23
	v_or3_b32 v23, v10, v12, v19
.LBB552_567:
	s_or_b64 exec, exec, s[10:11]
.LBB552_568:
	s_or_b64 exec, exec, s[8:9]
.LBB552_569:
	s_or_b64 exec, exec, s[2:3]
	v_cmp_ne_u16_sdwa s[8:9], v13, v21 src0_sel:BYTE_0 src1_sel:DWORD
	s_and_saveexec_b64 s[2:3], s[8:9]
	s_cbranch_execz .LBB552_575
; %bb.570:
	s_movk_i32 s7, 0x80
	v_cmp_ne_u16_sdwa s[10:11], v13, s7 src0_sel:BYTE_0 src1_sel:DWORD
	v_bfrev_b32_e32 v21, 1
	s_and_saveexec_b64 s[8:9], s[10:11]
	s_cbranch_execz .LBB552_574
; %bb.571:
	s_movk_i32 s7, 0x7f
	v_and_b32_e32 v10, 0x7f, v13
	v_cmp_ne_u32_e32 vcc, s7, v10
	v_mov_b32_e32 v21, 0x7f800001
	s_and_saveexec_b64 s[10:11], vcc
	s_cbranch_execz .LBB552_573
; %bb.572:
	v_and_b32_e32 v19, 7, v13
	v_ffbh_u32_e32 v24, v19
	v_min_u32_e32 v27, 32, v24
	v_mov_b32_e32 v12, v13
	v_subrev_u32_e32 v24, 28, v27
	v_lshlrev_b64 v[24:25], v24, v[12:13]
	v_lshrrev_b32_e32 v21, 3, v10
	v_sub_u32_e32 v12, 29, v27
	v_and_b32_e32 v24, 7, v24
	v_cmp_gt_u32_e32 vcc, 8, v10
	v_cndmask_b32_e32 v10, v21, v12, vcc
	v_cndmask_b32_e32 v12, v19, v24, vcc
	v_lshlrev_b32_e32 v19, 24, v13
	v_bfrev_b32_e32 v21, 60
	v_lshlrev_b32_e32 v12, 20, v12
	v_and_b32_e32 v19, 0x80000000, v19
	v_lshl_add_u32 v10, v10, 23, v21
	v_or3_b32 v21, v19, v10, v12
.LBB552_573:
	s_or_b64 exec, exec, s[10:11]
.LBB552_574:
	s_or_b64 exec, exec, s[8:9]
.LBB552_575:
	s_or_b64 exec, exec, s[2:3]
	v_lshrrev_b16_e32 v10, 8, v13
	v_cmp_ne_u16_e32 vcc, 0, v10
	v_mov_b32_e32 v12, 0
	v_mov_b32_e32 v24, 0
	s_and_saveexec_b64 s[2:3], vcc
	s_cbranch_execz .LBB552_581
; %bb.576:
	s_movk_i32 s7, 0x80
	v_cmp_ne_u16_e32 vcc, s7, v10
	v_bfrev_b32_e32 v24, 1
	s_and_saveexec_b64 s[8:9], vcc
	s_cbranch_execz .LBB552_580
; %bb.577:
	s_movk_i32 s7, 0x7f
	v_and_b32_e32 v19, 0x7f, v10
	v_cmp_ne_u32_e32 vcc, s7, v19
	v_mov_b32_e32 v24, 0x7f800001
	s_and_saveexec_b64 s[10:11], vcc
	s_cbranch_execz .LBB552_579
; %bb.578:
	v_and_b32_e32 v27, 7, v10
	v_ffbh_u32_e32 v24, v27
	v_min_u32_e32 v29, 32, v24
	v_subrev_u32_e32 v24, 28, v29
	v_lshlrev_b64 v[24:25], v24, v[10:11]
	v_lshrrev_b32_e32 v28, 3, v19
	v_sub_u32_e32 v10, 29, v29
	v_and_b32_e32 v24, 7, v24
	v_cmp_gt_u32_e32 vcc, 8, v19
	v_cndmask_b32_e32 v10, v28, v10, vcc
	v_cndmask_b32_e32 v19, v27, v24, vcc
	v_lshlrev_b32_e32 v24, 16, v13
	v_bfrev_b32_e32 v25, 60
	v_lshlrev_b32_e32 v19, 20, v19
	v_and_b32_e32 v24, 0x80000000, v24
	v_lshl_add_u32 v10, v10, 23, v25
	v_or3_b32 v24, v24, v10, v19
.LBB552_579:
	s_or_b64 exec, exec, s[10:11]
.LBB552_580:
	s_or_b64 exec, exec, s[8:9]
.LBB552_581:
	s_or_b64 exec, exec, s[2:3]
	s_movk_i32 s2, 0xff
	v_and_b32_sdwa v19, v13, s2 dst_sel:DWORD dst_unused:UNUSED_PAD src0_sel:WORD_1 src1_sel:DWORD
	v_lshrrev_b32_e32 v10, 16, v13
	v_cmp_ne_u16_e32 vcc, 0, v19
	s_and_saveexec_b64 s[2:3], vcc
	s_cbranch_execz .LBB552_587
; %bb.582:
	s_movk_i32 s7, 0x80
	v_cmp_ne_u16_e32 vcc, s7, v19
	v_bfrev_b32_e32 v12, 1
	s_and_saveexec_b64 s[8:9], vcc
	s_cbranch_execz .LBB552_586
; %bb.583:
	v_bfe_u32 v19, v13, 16, 7
	s_movk_i32 s7, 0x7f
	v_cmp_ne_u32_e32 vcc, s7, v19
	v_mov_b32_e32 v12, 0x7f800001
	s_and_saveexec_b64 s[10:11], vcc
	s_cbranch_execz .LBB552_585
; %bb.584:
	v_and_b32_e32 v12, 7, v10
	v_ffbh_u32_e32 v27, v12
	v_min_u32_e32 v27, 32, v27
	v_subrev_u32_e32 v28, 28, v27
	v_lshlrev_b64 v[28:29], v28, v[10:11]
	v_lshrrev_b32_e32 v25, 3, v19
	v_sub_u32_e32 v10, 29, v27
	v_and_b32_e32 v27, 7, v28
	v_cmp_gt_u32_e32 vcc, 8, v19
	v_mov_b32_e32 v19, 24
	v_cndmask_b32_e32 v10, v25, v10, vcc
	v_cndmask_b32_e32 v12, v12, v27, vcc
	v_lshlrev_b32_sdwa v19, v19, v13 dst_sel:DWORD dst_unused:UNUSED_PAD src0_sel:DWORD src1_sel:WORD_1
	v_bfrev_b32_e32 v25, 60
	v_lshlrev_b32_e32 v12, 20, v12
	v_and_b32_e32 v19, 0x80000000, v19
	v_lshl_add_u32 v10, v10, 23, v25
	v_or3_b32 v12, v19, v10, v12
.LBB552_585:
	s_or_b64 exec, exec, s[10:11]
.LBB552_586:
	s_or_b64 exec, exec, s[8:9]
.LBB552_587:
	s_or_b64 exec, exec, s[2:3]
	s_mov_b32 s2, 0xffffff
	v_cmp_lt_u32_e32 vcc, s2, v13
	v_mov_b32_e32 v19, 0
	v_mov_b32_e32 v25, 0
	s_and_saveexec_b64 s[2:3], vcc
	s_cbranch_execz .LBB552_593
; %bb.588:
	v_lshrrev_b32_e32 v10, 24, v13
	s_movk_i32 s7, 0x80
	v_cmp_ne_u32_e32 vcc, s7, v10
	v_bfrev_b32_e32 v25, 1
	s_and_saveexec_b64 s[8:9], vcc
	s_cbranch_execz .LBB552_592
; %bb.589:
	v_bfe_u32 v13, v13, 24, 7
	s_movk_i32 s7, 0x7f
	v_cmp_ne_u32_e32 vcc, s7, v13
	v_mov_b32_e32 v25, 0x7f800001
	s_and_saveexec_b64 s[10:11], vcc
	s_cbranch_execz .LBB552_591
; %bb.590:
	v_and_b32_e32 v25, 7, v10
	v_ffbh_u32_e32 v28, v25
	v_min_u32_e32 v30, 32, v28
	v_subrev_u32_e32 v28, 28, v30
	v_lshlrev_b64 v[28:29], v28, v[10:11]
	v_lshrrev_b32_e32 v27, 3, v13
	v_sub_u32_e32 v29, 29, v30
	v_and_b32_e32 v28, 7, v28
	v_cmp_gt_u32_e32 vcc, 8, v13
	v_cndmask_b32_e32 v13, v27, v29, vcc
	v_cndmask_b32_e32 v25, v25, v28, vcc
	v_lshlrev_b32_e32 v10, 24, v10
	v_bfrev_b32_e32 v27, 60
	v_lshlrev_b32_e32 v25, 20, v25
	v_and_b32_e32 v10, 0x80000000, v10
	v_lshl_add_u32 v13, v13, 23, v27
	v_or3_b32 v25, v10, v13, v25
.LBB552_591:
	s_or_b64 exec, exec, s[10:11]
.LBB552_592:
	s_or_b64 exec, exec, s[8:9]
.LBB552_593:
	s_or_b64 exec, exec, s[2:3]
	v_cvt_pkrtz_f16_f32 v10, v18, v20
	v_cvt_pkrtz_f16_f32 v11, v11, v23
	ds_read_b128 v[28:31], v22 offset:2064
	s_waitcnt vmcnt(1)
	v_cmp_ne_u16_sdwa s[8:9], v6, v19 src0_sel:BYTE_0 src1_sel:DWORD
	s_waitcnt lgkmcnt(0)
	v_mfma_f32_16x16x16f16 v[14:17], v[10:11], v[28:29], v[14:17]
	v_cvt_pkrtz_f16_f32 v10, v21, v24
	v_cvt_pkrtz_f16_f32 v11, v12, v25
	s_nop 1
	v_mfma_f32_16x16x16f16 v[10:13], v[10:11], v[30:31], v[14:17]
	s_and_saveexec_b64 s[2:3], s[8:9]
	s_cbranch_execz .LBB552_599
; %bb.594:
	s_movk_i32 s7, 0x80
	v_cmp_ne_u16_sdwa s[10:11], v6, s7 src0_sel:BYTE_0 src1_sel:DWORD
	v_bfrev_b32_e32 v19, 1
	s_and_saveexec_b64 s[8:9], s[10:11]
	s_cbranch_execz .LBB552_598
; %bb.595:
	s_movk_i32 s7, 0x7f
	v_and_b32_e32 v14, 0x7f, v6
	v_cmp_ne_u32_e32 vcc, s7, v14
	v_mov_b32_e32 v19, 0x7f800001
	s_and_saveexec_b64 s[10:11], vcc
	s_cbranch_execz .LBB552_597
; %bb.596:
	v_and_b32_e32 v15, 7, v6
	v_ffbh_u32_e32 v16, v15
	v_min_u32_e32 v19, 32, v16
	v_subrev_u32_e32 v16, 28, v19
	v_lshlrev_b64 v[16:17], v16, v[6:7]
	v_lshrrev_b32_e32 v18, 3, v14
	v_sub_u32_e32 v17, 29, v19
	v_and_b32_e32 v16, 7, v16
	v_cmp_gt_u32_e32 vcc, 8, v14
	v_cndmask_b32_e32 v14, v18, v17, vcc
	v_cndmask_b32_e32 v15, v15, v16, vcc
	v_lshlrev_b32_e32 v16, 24, v6
	v_bfrev_b32_e32 v17, 60
	v_lshlrev_b32_e32 v15, 20, v15
	v_and_b32_e32 v16, 0x80000000, v16
	v_lshl_add_u32 v14, v14, 23, v17
	v_or3_b32 v19, v16, v14, v15
.LBB552_597:
	s_or_b64 exec, exec, s[10:11]
.LBB552_598:
	s_or_b64 exec, exec, s[8:9]
.LBB552_599:
	s_or_b64 exec, exec, s[2:3]
	s_nop 3
	v_lshrrev_b16_e32 v14, 8, v6
	v_cmp_ne_u16_e32 vcc, 0, v14
	v_mov_b32_e32 v15, 0
	v_mov_b32_e32 v16, 0
	s_and_saveexec_b64 s[2:3], vcc
	s_cbranch_execz .LBB552_605
; %bb.600:
	s_movk_i32 s7, 0x80
	v_cmp_ne_u16_e32 vcc, s7, v14
	v_bfrev_b32_e32 v16, 1
	s_and_saveexec_b64 s[8:9], vcc
	s_cbranch_execz .LBB552_604
; %bb.601:
	s_movk_i32 s7, 0x7f
	v_and_b32_e32 v17, 0x7f, v14
	v_cmp_ne_u32_e32 vcc, s7, v17
	v_mov_b32_e32 v16, 0x7f800001
	s_and_saveexec_b64 s[10:11], vcc
	s_cbranch_execz .LBB552_603
; %bb.602:
	v_and_b32_e32 v16, 7, v14
	v_ffbh_u32_e32 v20, v16
	v_min_u32_e32 v23, 32, v20
	v_subrev_u32_e32 v20, 28, v23
	v_lshlrev_b64 v[20:21], v20, v[14:15]
	v_lshrrev_b32_e32 v18, 3, v17
	v_sub_u32_e32 v14, 29, v23
	v_and_b32_e32 v20, 7, v20
	v_cmp_gt_u32_e32 vcc, 8, v17
	v_cndmask_b32_e32 v14, v18, v14, vcc
	v_cndmask_b32_e32 v16, v16, v20, vcc
	v_lshlrev_b32_e32 v17, 16, v6
	v_bfrev_b32_e32 v18, 60
	v_lshlrev_b32_e32 v16, 20, v16
	v_and_b32_e32 v17, 0x80000000, v17
	v_lshl_add_u32 v14, v14, 23, v18
	v_or3_b32 v16, v17, v14, v16
.LBB552_603:
	s_or_b64 exec, exec, s[10:11]
.LBB552_604:
	s_or_b64 exec, exec, s[8:9]
.LBB552_605:
	s_or_b64 exec, exec, s[2:3]
	s_movk_i32 s2, 0xff
	v_and_b32_sdwa v17, v6, s2 dst_sel:DWORD dst_unused:UNUSED_PAD src0_sel:WORD_1 src1_sel:DWORD
	v_lshrrev_b32_e32 v14, 16, v6
	v_cmp_ne_u16_e32 vcc, 0, v17
	s_and_saveexec_b64 s[2:3], vcc
	s_cbranch_execz .LBB552_611
; %bb.606:
	s_movk_i32 s7, 0x80
	v_cmp_ne_u16_e32 vcc, s7, v17
	v_bfrev_b32_e32 v15, 1
	s_and_saveexec_b64 s[8:9], vcc
	s_cbranch_execz .LBB552_610
; %bb.607:
	v_bfe_u32 v17, v6, 16, 7
	s_movk_i32 s7, 0x7f
	v_cmp_ne_u32_e32 vcc, s7, v17
	v_mov_b32_e32 v15, 0x7f800001
	s_and_saveexec_b64 s[10:11], vcc
	s_cbranch_execz .LBB552_609
; %bb.608:
	v_and_b32_e32 v18, 7, v14
	v_ffbh_u32_e32 v15, v18
	v_min_u32_e32 v21, 32, v15
	v_subrev_u32_e32 v15, 28, v21
	v_lshlrev_b64 v[14:15], v15, v[14:15]
	v_lshrrev_b32_e32 v20, 3, v17
	v_sub_u32_e32 v15, 29, v21
	v_and_b32_e32 v14, 7, v14
	v_cmp_gt_u32_e32 vcc, 8, v17
	v_mov_b32_e32 v17, 24
	v_cndmask_b32_e32 v15, v20, v15, vcc
	v_cndmask_b32_e32 v14, v18, v14, vcc
	v_lshlrev_b32_sdwa v17, v17, v6 dst_sel:DWORD dst_unused:UNUSED_PAD src0_sel:DWORD src1_sel:WORD_1
	v_bfrev_b32_e32 v18, 60
	v_lshlrev_b32_e32 v14, 20, v14
	v_and_b32_e32 v17, 0x80000000, v17
	v_lshl_add_u32 v15, v15, 23, v18
	v_or3_b32 v15, v17, v15, v14
.LBB552_609:
	s_or_b64 exec, exec, s[10:11]
.LBB552_610:
	s_or_b64 exec, exec, s[8:9]
.LBB552_611:
	s_or_b64 exec, exec, s[2:3]
	s_mov_b32 s2, 0xffffff
	v_cmp_lt_u32_e32 vcc, s2, v6
	v_mov_b32_e32 v17, 0
	v_mov_b32_e32 v18, 0
	s_and_saveexec_b64 s[2:3], vcc
	s_cbranch_execz .LBB552_617
; %bb.612:
	v_lshrrev_b32_e32 v14, 24, v6
	s_movk_i32 s7, 0x80
	v_cmp_ne_u32_e32 vcc, s7, v14
	v_bfrev_b32_e32 v18, 1
	s_and_saveexec_b64 s[8:9], vcc
	s_cbranch_execz .LBB552_616
; %bb.613:
	v_bfe_u32 v6, v6, 24, 7
	s_movk_i32 s7, 0x7f
	v_cmp_ne_u32_e32 vcc, s7, v6
	v_mov_b32_e32 v18, 0x7f800001
	s_and_saveexec_b64 s[10:11], vcc
	s_cbranch_execz .LBB552_615
; %bb.614:
	v_and_b32_e32 v18, 7, v14
	v_ffbh_u32_e32 v20, v18
	v_min_u32_e32 v24, 32, v20
	v_subrev_u32_e32 v20, 28, v24
	v_lshlrev_b64 v[20:21], v20, v[14:15]
	v_lshrrev_b32_e32 v23, 3, v6
	v_sub_u32_e32 v21, 29, v24
	v_and_b32_e32 v20, 7, v20
	v_cmp_gt_u32_e32 vcc, 8, v6
	v_cndmask_b32_e32 v6, v23, v21, vcc
	v_cndmask_b32_e32 v18, v18, v20, vcc
	v_lshlrev_b32_e32 v14, 24, v14
	v_bfrev_b32_e32 v20, 60
	v_lshlrev_b32_e32 v18, 20, v18
	v_and_b32_e32 v14, 0x80000000, v14
	v_lshl_add_u32 v6, v6, 23, v20
	v_or3_b32 v18, v14, v6, v18
.LBB552_615:
	s_or_b64 exec, exec, s[10:11]
.LBB552_616:
	s_or_b64 exec, exec, s[8:9]
.LBB552_617:
	s_or_b64 exec, exec, s[2:3]
	v_cmp_ne_u16_sdwa s[8:9], v7, v17 src0_sel:BYTE_0 src1_sel:DWORD
	s_and_saveexec_b64 s[2:3], s[8:9]
	s_cbranch_execz .LBB552_623
; %bb.618:
	s_movk_i32 s7, 0x80
	v_cmp_ne_u16_sdwa s[10:11], v7, s7 src0_sel:BYTE_0 src1_sel:DWORD
	v_bfrev_b32_e32 v17, 1
	s_and_saveexec_b64 s[8:9], s[10:11]
	s_cbranch_execz .LBB552_622
; %bb.619:
	s_movk_i32 s7, 0x7f
	v_and_b32_e32 v6, 0x7f, v7
	v_cmp_ne_u32_e32 vcc, s7, v6
	v_mov_b32_e32 v17, 0x7f800001
	s_and_saveexec_b64 s[10:11], vcc
	s_cbranch_execz .LBB552_621
; %bb.620:
	v_and_b32_e32 v17, 7, v7
	v_ffbh_u32_e32 v20, v17
	v_min_u32_e32 v24, 32, v20
	v_mov_b32_e32 v14, v7
	v_subrev_u32_e32 v20, 28, v24
	v_lshlrev_b64 v[20:21], v20, v[14:15]
	v_lshrrev_b32_e32 v23, 3, v6
	v_sub_u32_e32 v14, 29, v24
	v_and_b32_e32 v20, 7, v20
	v_cmp_gt_u32_e32 vcc, 8, v6
	v_cndmask_b32_e32 v6, v23, v14, vcc
	v_cndmask_b32_e32 v14, v17, v20, vcc
	v_lshlrev_b32_e32 v17, 24, v7
	v_bfrev_b32_e32 v20, 60
	v_lshlrev_b32_e32 v14, 20, v14
	v_and_b32_e32 v17, 0x80000000, v17
	v_lshl_add_u32 v6, v6, 23, v20
	v_or3_b32 v17, v17, v6, v14
.LBB552_621:
	s_or_b64 exec, exec, s[10:11]
.LBB552_622:
	s_or_b64 exec, exec, s[8:9]
.LBB552_623:
	s_or_b64 exec, exec, s[2:3]
	v_lshrrev_b16_e32 v6, 8, v7
	v_cmp_ne_u16_e32 vcc, 0, v6
	v_mov_b32_e32 v20, 0
	v_mov_b32_e32 v21, 0
	s_and_saveexec_b64 s[2:3], vcc
	s_cbranch_execz .LBB552_629
; %bb.624:
	s_movk_i32 s7, 0x80
	v_cmp_ne_u16_e32 vcc, s7, v6
	v_bfrev_b32_e32 v21, 1
	s_and_saveexec_b64 s[8:9], vcc
	s_cbranch_execz .LBB552_628
; %bb.625:
	s_movk_i32 s7, 0x7f
	v_and_b32_e32 v14, 0x7f, v6
	v_cmp_ne_u32_e32 vcc, s7, v14
	v_mov_b32_e32 v21, 0x7f800001
	s_and_saveexec_b64 s[10:11], vcc
	s_cbranch_execz .LBB552_627
; %bb.626:
	v_and_b32_e32 v21, 7, v6
	v_ffbh_u32_e32 v24, v21
	v_min_u32_e32 v27, 32, v24
	v_subrev_u32_e32 v24, 28, v27
	v_lshlrev_b64 v[24:25], v24, v[6:7]
	v_lshrrev_b32_e32 v23, 3, v14
	v_sub_u32_e32 v6, 29, v27
	v_and_b32_e32 v24, 7, v24
	v_cmp_gt_u32_e32 vcc, 8, v14
	v_cndmask_b32_e32 v6, v23, v6, vcc
	v_cndmask_b32_e32 v14, v21, v24, vcc
	v_lshlrev_b32_e32 v21, 16, v7
	v_bfrev_b32_e32 v23, 60
	v_lshlrev_b32_e32 v14, 20, v14
	v_and_b32_e32 v21, 0x80000000, v21
	v_lshl_add_u32 v6, v6, 23, v23
	v_or3_b32 v21, v21, v6, v14
.LBB552_627:
	s_or_b64 exec, exec, s[10:11]
.LBB552_628:
	s_or_b64 exec, exec, s[8:9]
.LBB552_629:
	s_or_b64 exec, exec, s[2:3]
	s_movk_i32 s2, 0xff
	v_and_b32_sdwa v14, v7, s2 dst_sel:DWORD dst_unused:UNUSED_PAD src0_sel:WORD_1 src1_sel:DWORD
	v_lshrrev_b32_e32 v6, 16, v7
	v_cmp_ne_u16_e32 vcc, 0, v14
	s_and_saveexec_b64 s[2:3], vcc
	s_cbranch_execz .LBB552_635
; %bb.630:
	s_movk_i32 s7, 0x80
	v_cmp_ne_u16_e32 vcc, s7, v14
	v_bfrev_b32_e32 v20, 1
	s_and_saveexec_b64 s[8:9], vcc
	s_cbranch_execz .LBB552_634
; %bb.631:
	v_bfe_u32 v14, v7, 16, 7
	s_movk_i32 s7, 0x7f
	v_cmp_ne_u32_e32 vcc, s7, v14
	v_mov_b32_e32 v20, 0x7f800001
	s_and_saveexec_b64 s[10:11], vcc
	s_cbranch_execz .LBB552_633
; %bb.632:
	v_and_b32_e32 v20, 7, v6
	v_ffbh_u32_e32 v24, v20
	v_min_u32_e32 v27, 32, v24
	v_subrev_u32_e32 v24, 28, v27
	v_lshlrev_b64 v[24:25], v24, v[6:7]
	v_and_b32_e32 v24, 7, v24
	v_cmp_gt_u32_e32 vcc, 8, v14
	v_lshrrev_b32_e32 v23, 3, v14
	v_sub_u32_e32 v6, 29, v27
	v_cndmask_b32_e32 v14, v20, v24, vcc
	v_mov_b32_e32 v20, 24
	v_cndmask_b32_e32 v6, v23, v6, vcc
	v_lshlrev_b32_sdwa v20, v20, v7 dst_sel:DWORD dst_unused:UNUSED_PAD src0_sel:DWORD src1_sel:WORD_1
	v_bfrev_b32_e32 v23, 60
	v_lshlrev_b32_e32 v14, 20, v14
	v_and_b32_e32 v20, 0x80000000, v20
	v_lshl_add_u32 v6, v6, 23, v23
	v_or3_b32 v20, v20, v6, v14
.LBB552_633:
	s_or_b64 exec, exec, s[10:11]
.LBB552_634:
	s_or_b64 exec, exec, s[8:9]
.LBB552_635:
	s_or_b64 exec, exec, s[2:3]
	s_mov_b32 s2, 0xffffff
	v_cmp_lt_u32_e32 vcc, s2, v7
	v_mov_b32_e32 v14, 0
	v_mov_b32_e32 v23, 0
	s_and_saveexec_b64 s[2:3], vcc
	s_cbranch_execz .LBB552_641
; %bb.636:
	v_lshrrev_b32_e32 v6, 24, v7
	s_movk_i32 s7, 0x80
	v_cmp_ne_u32_e32 vcc, s7, v6
	v_bfrev_b32_e32 v23, 1
	s_and_saveexec_b64 s[8:9], vcc
	s_cbranch_execz .LBB552_640
; %bb.637:
	v_bfe_u32 v7, v7, 24, 7
	s_movk_i32 s7, 0x7f
	v_cmp_ne_u32_e32 vcc, s7, v7
	v_mov_b32_e32 v23, 0x7f800001
	s_and_saveexec_b64 s[10:11], vcc
	s_cbranch_execz .LBB552_639
; %bb.638:
	v_and_b32_e32 v23, 7, v6
	v_ffbh_u32_e32 v24, v23
	v_min_u32_e32 v28, 32, v24
	v_subrev_u32_e32 v24, 28, v28
	v_lshlrev_b64 v[24:25], v24, v[6:7]
	v_lshrrev_b32_e32 v27, 3, v7
	v_sub_u32_e32 v25, 29, v28
	v_and_b32_e32 v24, 7, v24
	v_cmp_gt_u32_e32 vcc, 8, v7
	v_cndmask_b32_e32 v7, v27, v25, vcc
	v_cndmask_b32_e32 v23, v23, v24, vcc
	v_lshlrev_b32_e32 v6, 24, v6
	v_bfrev_b32_e32 v24, 60
	v_lshlrev_b32_e32 v23, 20, v23
	v_and_b32_e32 v6, 0x80000000, v6
	v_lshl_add_u32 v7, v7, 23, v24
	v_or3_b32 v23, v6, v7, v23
.LBB552_639:
	s_or_b64 exec, exec, s[10:11]
.LBB552_640:
	s_or_b64 exec, exec, s[8:9]
.LBB552_641:
	s_or_b64 exec, exec, s[2:3]
	v_cvt_pkrtz_f16_f32 v6, v19, v16
	v_cvt_pkrtz_f16_f32 v7, v15, v18
	ds_read_b128 v[28:31], v22 offset:4096
	v_cmp_ne_u16_sdwa s[8:9], v8, v14 src0_sel:BYTE_0 src1_sel:DWORD
	s_waitcnt lgkmcnt(0)
	v_mfma_f32_16x16x16f16 v[10:13], v[6:7], v[28:29], v[10:13]
	v_cvt_pkrtz_f16_f32 v6, v17, v21
	v_cvt_pkrtz_f16_f32 v7, v20, v23
	s_nop 1
	v_mfma_f32_16x16x16f16 v[10:13], v[6:7], v[30:31], v[10:13]
	s_and_saveexec_b64 s[2:3], s[8:9]
	s_cbranch_execz .LBB552_647
; %bb.642:
	s_movk_i32 s7, 0x80
	v_cmp_ne_u16_sdwa s[10:11], v8, s7 src0_sel:BYTE_0 src1_sel:DWORD
	v_bfrev_b32_e32 v14, 1
	s_and_saveexec_b64 s[8:9], s[10:11]
	s_cbranch_execz .LBB552_646
; %bb.643:
	s_movk_i32 s7, 0x7f
	v_and_b32_e32 v6, 0x7f, v8
	v_cmp_ne_u32_e32 vcc, s7, v6
	v_mov_b32_e32 v14, 0x7f800001
	s_and_saveexec_b64 s[10:11], vcc
	s_cbranch_execz .LBB552_645
; %bb.644:
	v_and_b32_e32 v7, 7, v8
	v_ffbh_u32_e32 v14, v7
	v_min_u32_e32 v17, 32, v14
	v_subrev_u32_e32 v14, 28, v17
	v_lshlrev_b64 v[14:15], v14, v[8:9]
	v_lshrrev_b32_e32 v16, 3, v6
	v_sub_u32_e32 v15, 29, v17
	v_and_b32_e32 v14, 7, v14
	v_cmp_gt_u32_e32 vcc, 8, v6
	v_cndmask_b32_e32 v6, v16, v15, vcc
	v_cndmask_b32_e32 v7, v7, v14, vcc
	v_lshlrev_b32_e32 v14, 24, v8
	v_bfrev_b32_e32 v15, 60
	v_lshlrev_b32_e32 v7, 20, v7
	v_and_b32_e32 v14, 0x80000000, v14
	v_lshl_add_u32 v6, v6, 23, v15
	v_or3_b32 v14, v14, v6, v7
.LBB552_645:
	s_or_b64 exec, exec, s[10:11]
.LBB552_646:
	s_or_b64 exec, exec, s[8:9]
.LBB552_647:
	s_or_b64 exec, exec, s[2:3]
	v_lshrrev_b16_e32 v6, 8, v8
	v_cmp_ne_u16_e32 vcc, 0, v6
	v_mov_b32_e32 v7, 0
	v_mov_b32_e32 v16, 0
	s_and_saveexec_b64 s[2:3], vcc
	s_cbranch_execz .LBB552_653
; %bb.648:
	s_movk_i32 s7, 0x80
	v_cmp_ne_u16_e32 vcc, s7, v6
	v_bfrev_b32_e32 v16, 1
	s_and_saveexec_b64 s[8:9], vcc
	s_cbranch_execz .LBB552_652
; %bb.649:
	s_movk_i32 s7, 0x7f
	v_and_b32_e32 v15, 0x7f, v6
	v_cmp_ne_u32_e32 vcc, s7, v15
	v_mov_b32_e32 v16, 0x7f800001
	s_and_saveexec_b64 s[10:11], vcc
	s_cbranch_execz .LBB552_651
; %bb.650:
	v_and_b32_e32 v18, 7, v6
	v_ffbh_u32_e32 v16, v18
	v_min_u32_e32 v20, 32, v16
	v_subrev_u32_e32 v16, 28, v20
	v_lshlrev_b64 v[16:17], v16, v[6:7]
	v_lshrrev_b32_e32 v19, 3, v15
	v_sub_u32_e32 v6, 29, v20
	v_and_b32_e32 v16, 7, v16
	v_cmp_gt_u32_e32 vcc, 8, v15
	v_cndmask_b32_e32 v6, v19, v6, vcc
	v_cndmask_b32_e32 v15, v18, v16, vcc
	v_lshlrev_b32_e32 v16, 16, v8
	v_bfrev_b32_e32 v17, 60
	v_lshlrev_b32_e32 v15, 20, v15
	v_and_b32_e32 v16, 0x80000000, v16
	v_lshl_add_u32 v6, v6, 23, v17
	v_or3_b32 v16, v16, v6, v15
.LBB552_651:
	s_or_b64 exec, exec, s[10:11]
.LBB552_652:
	s_or_b64 exec, exec, s[8:9]
.LBB552_653:
	s_or_b64 exec, exec, s[2:3]
	s_movk_i32 s2, 0xff
	v_and_b32_sdwa v15, v8, s2 dst_sel:DWORD dst_unused:UNUSED_PAD src0_sel:WORD_1 src1_sel:DWORD
	v_lshrrev_b32_e32 v6, 16, v8
	v_cmp_ne_u16_e32 vcc, 0, v15
	s_and_saveexec_b64 s[2:3], vcc
	s_cbranch_execz .LBB552_659
; %bb.654:
	s_movk_i32 s7, 0x80
	v_cmp_ne_u16_e32 vcc, s7, v15
	v_bfrev_b32_e32 v7, 1
	s_and_saveexec_b64 s[8:9], vcc
	s_cbranch_execz .LBB552_658
; %bb.655:
	v_bfe_u32 v15, v8, 16, 7
	s_movk_i32 s7, 0x7f
	v_cmp_ne_u32_e32 vcc, s7, v15
	v_mov_b32_e32 v7, 0x7f800001
	s_and_saveexec_b64 s[10:11], vcc
	s_cbranch_execz .LBB552_657
; %bb.656:
	v_and_b32_e32 v17, 7, v6
	v_ffbh_u32_e32 v7, v17
	v_min_u32_e32 v19, 32, v7
	v_subrev_u32_e32 v7, 28, v19
	v_lshlrev_b64 v[6:7], v7, v[6:7]
	v_lshrrev_b32_e32 v18, 3, v15
	v_sub_u32_e32 v7, 29, v19
	v_and_b32_e32 v6, 7, v6
	v_cmp_gt_u32_e32 vcc, 8, v15
	v_mov_b32_e32 v15, 24
	v_cndmask_b32_e32 v7, v18, v7, vcc
	v_cndmask_b32_e32 v6, v17, v6, vcc
	v_lshlrev_b32_sdwa v15, v15, v8 dst_sel:DWORD dst_unused:UNUSED_PAD src0_sel:DWORD src1_sel:WORD_1
	v_bfrev_b32_e32 v17, 60
	v_lshlrev_b32_e32 v6, 20, v6
	v_and_b32_e32 v15, 0x80000000, v15
	v_lshl_add_u32 v7, v7, 23, v17
	v_or3_b32 v7, v15, v7, v6
.LBB552_657:
	s_or_b64 exec, exec, s[10:11]
.LBB552_658:
	s_or_b64 exec, exec, s[8:9]
.LBB552_659:
	s_or_b64 exec, exec, s[2:3]
	s_mov_b32 s2, 0xffffff
	v_cmp_lt_u32_e32 vcc, s2, v8
	v_mov_b32_e32 v17, 0
	v_mov_b32_e32 v18, 0
	s_and_saveexec_b64 s[2:3], vcc
	s_cbranch_execz .LBB552_665
; %bb.660:
	v_lshrrev_b32_e32 v6, 24, v8
	s_movk_i32 s7, 0x80
	v_cmp_ne_u32_e32 vcc, s7, v6
	v_bfrev_b32_e32 v18, 1
	s_and_saveexec_b64 s[8:9], vcc
	s_cbranch_execz .LBB552_664
; %bb.661:
	v_bfe_u32 v8, v8, 24, 7
	s_movk_i32 s7, 0x7f
	v_cmp_ne_u32_e32 vcc, s7, v8
	v_mov_b32_e32 v18, 0x7f800001
	s_and_saveexec_b64 s[10:11], vcc
	s_cbranch_execz .LBB552_663
; %bb.662:
	v_and_b32_e32 v15, 7, v6
	v_ffbh_u32_e32 v18, v15
	v_min_u32_e32 v21, 32, v18
	v_subrev_u32_e32 v18, 28, v21
	v_lshlrev_b64 v[18:19], v18, v[6:7]
	v_lshrrev_b32_e32 v20, 3, v8
	v_sub_u32_e32 v19, 29, v21
	v_and_b32_e32 v18, 7, v18
	v_cmp_gt_u32_e32 vcc, 8, v8
	v_cndmask_b32_e32 v8, v20, v19, vcc
	v_cndmask_b32_e32 v15, v15, v18, vcc
	v_lshlrev_b32_e32 v6, 24, v6
	v_bfrev_b32_e32 v18, 60
	v_lshlrev_b32_e32 v15, 20, v15
	v_and_b32_e32 v6, 0x80000000, v6
	v_lshl_add_u32 v8, v8, 23, v18
	v_or3_b32 v18, v6, v8, v15
.LBB552_663:
	s_or_b64 exec, exec, s[10:11]
.LBB552_664:
	s_or_b64 exec, exec, s[8:9]
.LBB552_665:
	s_or_b64 exec, exec, s[2:3]
	v_cmp_ne_u16_sdwa s[8:9], v9, v17 src0_sel:BYTE_0 src1_sel:DWORD
	s_and_saveexec_b64 s[2:3], s[8:9]
	s_cbranch_execz .LBB552_671
; %bb.666:
	s_movk_i32 s7, 0x80
	v_cmp_ne_u16_sdwa s[10:11], v9, s7 src0_sel:BYTE_0 src1_sel:DWORD
	v_bfrev_b32_e32 v17, 1
	s_and_saveexec_b64 s[8:9], s[10:11]
	s_cbranch_execz .LBB552_670
; %bb.667:
	s_movk_i32 s7, 0x7f
	v_and_b32_e32 v6, 0x7f, v9
	v_cmp_ne_u32_e32 vcc, s7, v6
	v_mov_b32_e32 v17, 0x7f800001
	s_and_saveexec_b64 s[10:11], vcc
	s_cbranch_execz .LBB552_669
; %bb.668:
	v_and_b32_e32 v15, 7, v9
	v_ffbh_u32_e32 v19, v15
	v_min_u32_e32 v19, 32, v19
	v_mov_b32_e32 v8, v9
	v_subrev_u32_e32 v20, 28, v19
	v_lshlrev_b64 v[20:21], v20, v[8:9]
	v_lshrrev_b32_e32 v17, 3, v6
	v_sub_u32_e32 v8, 29, v19
	v_and_b32_e32 v19, 7, v20
	v_cmp_gt_u32_e32 vcc, 8, v6
	v_cndmask_b32_e32 v6, v17, v8, vcc
	v_cndmask_b32_e32 v8, v15, v19, vcc
	v_lshlrev_b32_e32 v15, 24, v9
	v_bfrev_b32_e32 v17, 60
	v_lshlrev_b32_e32 v8, 20, v8
	v_and_b32_e32 v15, 0x80000000, v15
	v_lshl_add_u32 v6, v6, 23, v17
	v_or3_b32 v17, v15, v6, v8
.LBB552_669:
	s_or_b64 exec, exec, s[10:11]
.LBB552_670:
	s_or_b64 exec, exec, s[8:9]
.LBB552_671:
	s_or_b64 exec, exec, s[2:3]
	v_lshrrev_b16_e32 v6, 8, v9
	v_cmp_ne_u16_e32 vcc, 0, v6
	v_mov_b32_e32 v8, 0
	v_mov_b32_e32 v19, 0
	s_and_saveexec_b64 s[2:3], vcc
	s_cbranch_execz .LBB552_677
; %bb.672:
	s_movk_i32 s7, 0x80
	v_cmp_ne_u16_e32 vcc, s7, v6
	v_bfrev_b32_e32 v19, 1
	s_and_saveexec_b64 s[8:9], vcc
	s_cbranch_execz .LBB552_676
; %bb.673:
	s_movk_i32 s7, 0x7f
	v_and_b32_e32 v15, 0x7f, v6
	v_cmp_ne_u32_e32 vcc, s7, v15
	v_mov_b32_e32 v19, 0x7f800001
	s_and_saveexec_b64 s[10:11], vcc
	s_cbranch_execz .LBB552_675
; %bb.674:
	v_and_b32_e32 v19, 7, v6
	v_ffbh_u32_e32 v20, v19
	v_min_u32_e32 v24, 32, v20
	v_subrev_u32_e32 v20, 28, v24
	v_lshlrev_b64 v[20:21], v20, v[6:7]
	v_lshrrev_b32_e32 v23, 3, v15
	v_sub_u32_e32 v6, 29, v24
	v_and_b32_e32 v20, 7, v20
	v_cmp_gt_u32_e32 vcc, 8, v15
	v_cndmask_b32_e32 v6, v23, v6, vcc
	v_cndmask_b32_e32 v15, v19, v20, vcc
	v_lshlrev_b32_e32 v19, 16, v9
	v_bfrev_b32_e32 v20, 60
	v_lshlrev_b32_e32 v15, 20, v15
	v_and_b32_e32 v19, 0x80000000, v19
	v_lshl_add_u32 v6, v6, 23, v20
	v_or3_b32 v19, v19, v6, v15
.LBB552_675:
	s_or_b64 exec, exec, s[10:11]
.LBB552_676:
	s_or_b64 exec, exec, s[8:9]
.LBB552_677:
	s_or_b64 exec, exec, s[2:3]
	s_movk_i32 s2, 0xff
	v_and_b32_sdwa v15, v9, s2 dst_sel:DWORD dst_unused:UNUSED_PAD src0_sel:WORD_1 src1_sel:DWORD
	v_lshrrev_b32_e32 v6, 16, v9
	v_cmp_ne_u16_e32 vcc, 0, v15
	s_and_saveexec_b64 s[2:3], vcc
	s_cbranch_execz .LBB552_683
; %bb.678:
	s_movk_i32 s7, 0x80
	v_cmp_ne_u16_e32 vcc, s7, v15
	v_bfrev_b32_e32 v8, 1
	s_and_saveexec_b64 s[8:9], vcc
	s_cbranch_execz .LBB552_682
; %bb.679:
	v_bfe_u32 v15, v9, 16, 7
	s_movk_i32 s7, 0x7f
	v_cmp_ne_u32_e32 vcc, s7, v15
	v_mov_b32_e32 v8, 0x7f800001
	s_and_saveexec_b64 s[10:11], vcc
	s_cbranch_execz .LBB552_681
; %bb.680:
	v_and_b32_e32 v8, 7, v6
	v_ffbh_u32_e32 v20, v8
	v_min_u32_e32 v24, 32, v20
	v_subrev_u32_e32 v20, 28, v24
	v_lshlrev_b64 v[20:21], v20, v[6:7]
	v_lshrrev_b32_e32 v23, 3, v15
	v_sub_u32_e32 v6, 29, v24
	v_and_b32_e32 v20, 7, v20
	v_cmp_gt_u32_e32 vcc, 8, v15
	v_mov_b32_e32 v15, 24
	v_cndmask_b32_e32 v6, v23, v6, vcc
	v_cndmask_b32_e32 v8, v8, v20, vcc
	v_lshlrev_b32_sdwa v15, v15, v9 dst_sel:DWORD dst_unused:UNUSED_PAD src0_sel:DWORD src1_sel:WORD_1
	v_bfrev_b32_e32 v20, 60
	v_lshlrev_b32_e32 v8, 20, v8
	v_and_b32_e32 v15, 0x80000000, v15
	v_lshl_add_u32 v6, v6, 23, v20
	v_or3_b32 v8, v15, v6, v8
.LBB552_681:
	s_or_b64 exec, exec, s[10:11]
.LBB552_682:
	s_or_b64 exec, exec, s[8:9]
.LBB552_683:
	s_or_b64 exec, exec, s[2:3]
	s_mov_b32 s2, 0xffffff
	v_cmp_lt_u32_e32 vcc, s2, v9
	v_mov_b32_e32 v15, 0
	v_mov_b32_e32 v20, 0
	s_and_saveexec_b64 s[2:3], vcc
	s_cbranch_execz .LBB552_689
; %bb.684:
	v_lshrrev_b32_e32 v6, 24, v9
	s_movk_i32 s7, 0x80
	v_cmp_ne_u32_e32 vcc, s7, v6
	v_bfrev_b32_e32 v20, 1
	s_and_saveexec_b64 s[8:9], vcc
	s_cbranch_execz .LBB552_688
; %bb.685:
	v_bfe_u32 v9, v9, 24, 7
	s_movk_i32 s7, 0x7f
	v_cmp_ne_u32_e32 vcc, s7, v9
	v_mov_b32_e32 v20, 0x7f800001
	s_and_saveexec_b64 s[10:11], vcc
	s_cbranch_execz .LBB552_687
; %bb.686:
	v_and_b32_e32 v23, 7, v6
	v_ffbh_u32_e32 v20, v23
	v_min_u32_e32 v25, 32, v20
	v_subrev_u32_e32 v20, 28, v25
	v_lshlrev_b64 v[20:21], v20, v[6:7]
	v_lshrrev_b32_e32 v24, 3, v9
	v_sub_u32_e32 v21, 29, v25
	v_and_b32_e32 v20, 7, v20
	v_cmp_gt_u32_e32 vcc, 8, v9
	v_cndmask_b32_e32 v9, v24, v21, vcc
	v_cndmask_b32_e32 v20, v23, v20, vcc
	v_lshlrev_b32_e32 v6, 24, v6
	v_bfrev_b32_e32 v21, 60
	v_lshlrev_b32_e32 v20, 20, v20
	v_and_b32_e32 v6, 0x80000000, v6
	v_lshl_add_u32 v9, v9, 23, v21
	v_or3_b32 v20, v6, v9, v20
.LBB552_687:
	s_or_b64 exec, exec, s[10:11]
.LBB552_688:
	s_or_b64 exec, exec, s[8:9]
.LBB552_689:
	s_or_b64 exec, exec, s[2:3]
	v_cvt_pkrtz_f16_f32 v6, v14, v16
	v_cvt_pkrtz_f16_f32 v7, v7, v18
	ds_read_b128 v[28:31], v22 offset:4112
	s_waitcnt vmcnt(0)
	v_cmp_ne_u16_sdwa s[8:9], v2, v15 src0_sel:BYTE_0 src1_sel:DWORD
	s_waitcnt lgkmcnt(0)
	v_mfma_f32_16x16x16f16 v[10:13], v[6:7], v[28:29], v[10:13]
	v_cvt_pkrtz_f16_f32 v6, v17, v19
	v_cvt_pkrtz_f16_f32 v7, v8, v20
	s_nop 1
	v_mfma_f32_16x16x16f16 v[6:9], v[6:7], v[30:31], v[10:13]
	s_and_saveexec_b64 s[2:3], s[8:9]
	s_cbranch_execz .LBB552_695
; %bb.690:
	s_movk_i32 s7, 0x80
	v_cmp_ne_u16_sdwa s[10:11], v2, s7 src0_sel:BYTE_0 src1_sel:DWORD
	v_bfrev_b32_e32 v15, 1
	s_and_saveexec_b64 s[8:9], s[10:11]
	s_cbranch_execz .LBB552_694
; %bb.691:
	s_movk_i32 s7, 0x7f
	v_and_b32_e32 v10, 0x7f, v2
	v_cmp_ne_u32_e32 vcc, s7, v10
	v_mov_b32_e32 v15, 0x7f800001
	s_and_saveexec_b64 s[10:11], vcc
	s_cbranch_execz .LBB552_693
; %bb.692:
	v_and_b32_e32 v11, 7, v2
	v_ffbh_u32_e32 v12, v11
	v_min_u32_e32 v15, 32, v12
	v_subrev_u32_e32 v12, 28, v15
	v_lshlrev_b64 v[12:13], v12, v[2:3]
	v_lshrrev_b32_e32 v14, 3, v10
	v_sub_u32_e32 v13, 29, v15
	v_and_b32_e32 v12, 7, v12
	v_cmp_gt_u32_e32 vcc, 8, v10
	v_cndmask_b32_e32 v10, v14, v13, vcc
	v_cndmask_b32_e32 v11, v11, v12, vcc
	v_lshlrev_b32_e32 v12, 24, v2
	v_bfrev_b32_e32 v13, 60
	v_lshlrev_b32_e32 v11, 20, v11
	v_and_b32_e32 v12, 0x80000000, v12
	v_lshl_add_u32 v10, v10, 23, v13
	v_or3_b32 v15, v12, v10, v11
.LBB552_693:
	s_or_b64 exec, exec, s[10:11]
.LBB552_694:
	s_or_b64 exec, exec, s[8:9]
.LBB552_695:
	s_or_b64 exec, exec, s[2:3]
	s_nop 3
	v_lshrrev_b16_e32 v10, 8, v2
	v_cmp_ne_u16_e32 vcc, 0, v10
	v_mov_b32_e32 v11, 0
	v_mov_b32_e32 v12, 0
	s_and_saveexec_b64 s[2:3], vcc
	s_cbranch_execz .LBB552_701
; %bb.696:
	s_movk_i32 s7, 0x80
	v_cmp_ne_u16_e32 vcc, s7, v10
	v_bfrev_b32_e32 v12, 1
	s_and_saveexec_b64 s[8:9], vcc
	s_cbranch_execz .LBB552_700
; %bb.697:
	s_movk_i32 s7, 0x7f
	v_and_b32_e32 v13, 0x7f, v10
	v_cmp_ne_u32_e32 vcc, s7, v13
	v_mov_b32_e32 v12, 0x7f800001
	s_and_saveexec_b64 s[10:11], vcc
	s_cbranch_execz .LBB552_699
; %bb.698:
	v_and_b32_e32 v12, 7, v10
	v_ffbh_u32_e32 v16, v12
	v_min_u32_e32 v18, 32, v16
	v_subrev_u32_e32 v16, 28, v18
	v_lshlrev_b64 v[16:17], v16, v[10:11]
	v_lshrrev_b32_e32 v14, 3, v13
	v_sub_u32_e32 v10, 29, v18
	v_and_b32_e32 v16, 7, v16
	v_cmp_gt_u32_e32 vcc, 8, v13
	v_cndmask_b32_e32 v10, v14, v10, vcc
	v_cndmask_b32_e32 v12, v12, v16, vcc
	v_lshlrev_b32_e32 v13, 16, v2
	v_bfrev_b32_e32 v14, 60
	v_lshlrev_b32_e32 v12, 20, v12
	v_and_b32_e32 v13, 0x80000000, v13
	v_lshl_add_u32 v10, v10, 23, v14
	v_or3_b32 v12, v13, v10, v12
.LBB552_699:
	s_or_b64 exec, exec, s[10:11]
.LBB552_700:
	s_or_b64 exec, exec, s[8:9]
.LBB552_701:
	s_or_b64 exec, exec, s[2:3]
	s_movk_i32 s2, 0xff
	v_and_b32_sdwa v13, v2, s2 dst_sel:DWORD dst_unused:UNUSED_PAD src0_sel:WORD_1 src1_sel:DWORD
	v_lshrrev_b32_e32 v10, 16, v2
	v_cmp_ne_u16_e32 vcc, 0, v13
	s_and_saveexec_b64 s[2:3], vcc
	s_cbranch_execz .LBB552_707
; %bb.702:
	s_movk_i32 s7, 0x80
	v_cmp_ne_u16_e32 vcc, s7, v13
	v_bfrev_b32_e32 v11, 1
	s_and_saveexec_b64 s[8:9], vcc
	s_cbranch_execz .LBB552_706
; %bb.703:
	v_bfe_u32 v13, v2, 16, 7
	s_movk_i32 s7, 0x7f
	v_cmp_ne_u32_e32 vcc, s7, v13
	v_mov_b32_e32 v11, 0x7f800001
	s_and_saveexec_b64 s[10:11], vcc
	s_cbranch_execz .LBB552_705
; %bb.704:
	v_and_b32_e32 v14, 7, v10
	v_ffbh_u32_e32 v11, v14
	v_min_u32_e32 v17, 32, v11
	v_subrev_u32_e32 v11, 28, v17
	v_lshlrev_b64 v[10:11], v11, v[10:11]
	v_lshrrev_b32_e32 v16, 3, v13
	v_sub_u32_e32 v11, 29, v17
	v_and_b32_e32 v10, 7, v10
	v_cmp_gt_u32_e32 vcc, 8, v13
	v_mov_b32_e32 v13, 24
	v_cndmask_b32_e32 v11, v16, v11, vcc
	v_cndmask_b32_e32 v10, v14, v10, vcc
	v_lshlrev_b32_sdwa v13, v13, v2 dst_sel:DWORD dst_unused:UNUSED_PAD src0_sel:DWORD src1_sel:WORD_1
	v_bfrev_b32_e32 v14, 60
	v_lshlrev_b32_e32 v10, 20, v10
	v_and_b32_e32 v13, 0x80000000, v13
	v_lshl_add_u32 v11, v11, 23, v14
	v_or3_b32 v11, v13, v11, v10
.LBB552_705:
	s_or_b64 exec, exec, s[10:11]
.LBB552_706:
	s_or_b64 exec, exec, s[8:9]
.LBB552_707:
	s_or_b64 exec, exec, s[2:3]
	s_mov_b32 s2, 0xffffff
	v_cmp_lt_u32_e32 vcc, s2, v2
	v_mov_b32_e32 v13, 0
	v_mov_b32_e32 v14, 0
	s_and_saveexec_b64 s[2:3], vcc
	s_cbranch_execz .LBB552_713
; %bb.708:
	v_lshrrev_b32_e32 v10, 24, v2
	s_movk_i32 s7, 0x80
	v_cmp_ne_u32_e32 vcc, s7, v10
	v_bfrev_b32_e32 v14, 1
	s_and_saveexec_b64 s[8:9], vcc
	s_cbranch_execz .LBB552_712
; %bb.709:
	v_bfe_u32 v2, v2, 24, 7
	s_movk_i32 s7, 0x7f
	v_cmp_ne_u32_e32 vcc, s7, v2
	v_mov_b32_e32 v14, 0x7f800001
	s_and_saveexec_b64 s[10:11], vcc
	s_cbranch_execz .LBB552_711
; %bb.710:
	v_and_b32_e32 v14, 7, v10
	v_ffbh_u32_e32 v16, v14
	v_min_u32_e32 v19, 32, v16
	v_subrev_u32_e32 v16, 28, v19
	v_lshlrev_b64 v[16:17], v16, v[10:11]
	v_lshrrev_b32_e32 v18, 3, v2
	v_sub_u32_e32 v17, 29, v19
	v_and_b32_e32 v16, 7, v16
	v_cmp_gt_u32_e32 vcc, 8, v2
	v_cndmask_b32_e32 v2, v18, v17, vcc
	v_cndmask_b32_e32 v14, v14, v16, vcc
	v_lshlrev_b32_e32 v10, 24, v10
	v_bfrev_b32_e32 v16, 60
	v_lshlrev_b32_e32 v14, 20, v14
	v_and_b32_e32 v10, 0x80000000, v10
	v_lshl_add_u32 v2, v2, 23, v16
	v_or3_b32 v14, v10, v2, v14
.LBB552_711:
	s_or_b64 exec, exec, s[10:11]
.LBB552_712:
	s_or_b64 exec, exec, s[8:9]
.LBB552_713:
	s_or_b64 exec, exec, s[2:3]
	v_cmp_ne_u16_sdwa s[8:9], v3, v13 src0_sel:BYTE_0 src1_sel:DWORD
	s_and_saveexec_b64 s[2:3], s[8:9]
	s_cbranch_execz .LBB552_719
; %bb.714:
	s_movk_i32 s7, 0x80
	v_cmp_ne_u16_sdwa s[10:11], v3, s7 src0_sel:BYTE_0 src1_sel:DWORD
	v_bfrev_b32_e32 v13, 1
	s_and_saveexec_b64 s[8:9], s[10:11]
	s_cbranch_execz .LBB552_718
; %bb.715:
	s_movk_i32 s7, 0x7f
	v_and_b32_e32 v2, 0x7f, v3
	v_cmp_ne_u32_e32 vcc, s7, v2
	v_mov_b32_e32 v13, 0x7f800001
	s_and_saveexec_b64 s[10:11], vcc
	s_cbranch_execz .LBB552_717
; %bb.716:
	v_and_b32_e32 v13, 7, v3
	v_ffbh_u32_e32 v16, v13
	v_min_u32_e32 v19, 32, v16
	v_mov_b32_e32 v10, v3
	v_subrev_u32_e32 v16, 28, v19
	v_lshlrev_b64 v[16:17], v16, v[10:11]
	v_lshrrev_b32_e32 v18, 3, v2
	v_sub_u32_e32 v10, 29, v19
	v_and_b32_e32 v16, 7, v16
	v_cmp_gt_u32_e32 vcc, 8, v2
	v_cndmask_b32_e32 v2, v18, v10, vcc
	v_cndmask_b32_e32 v10, v13, v16, vcc
	v_lshlrev_b32_e32 v13, 24, v3
	v_bfrev_b32_e32 v16, 60
	v_lshlrev_b32_e32 v10, 20, v10
	v_and_b32_e32 v13, 0x80000000, v13
	v_lshl_add_u32 v2, v2, 23, v16
	v_or3_b32 v13, v13, v2, v10
.LBB552_717:
	s_or_b64 exec, exec, s[10:11]
.LBB552_718:
	s_or_b64 exec, exec, s[8:9]
.LBB552_719:
	s_or_b64 exec, exec, s[2:3]
	v_lshrrev_b16_e32 v2, 8, v3
	v_cmp_ne_u16_e32 vcc, 0, v2
	v_mov_b32_e32 v16, 0
	v_mov_b32_e32 v17, 0
	s_and_saveexec_b64 s[2:3], vcc
	s_cbranch_execz .LBB552_725
; %bb.720:
	s_movk_i32 s7, 0x80
	v_cmp_ne_u16_e32 vcc, s7, v2
	v_bfrev_b32_e32 v17, 1
	s_and_saveexec_b64 s[8:9], vcc
	s_cbranch_execz .LBB552_724
; %bb.721:
	s_movk_i32 s7, 0x7f
	v_and_b32_e32 v10, 0x7f, v2
	v_cmp_ne_u32_e32 vcc, s7, v10
	v_mov_b32_e32 v17, 0x7f800001
	s_and_saveexec_b64 s[10:11], vcc
	s_cbranch_execz .LBB552_723
; %bb.722:
	v_and_b32_e32 v17, 7, v2
	v_ffbh_u32_e32 v18, v17
	v_min_u32_e32 v21, 32, v18
	v_subrev_u32_e32 v18, 28, v21
	v_lshlrev_b64 v[18:19], v18, v[2:3]
	v_lshrrev_b32_e32 v20, 3, v10
	v_sub_u32_e32 v2, 29, v21
	v_and_b32_e32 v18, 7, v18
	v_cmp_gt_u32_e32 vcc, 8, v10
	v_cndmask_b32_e32 v2, v20, v2, vcc
	v_cndmask_b32_e32 v10, v17, v18, vcc
	v_lshlrev_b32_e32 v17, 16, v3
	v_bfrev_b32_e32 v18, 60
	v_lshlrev_b32_e32 v10, 20, v10
	v_and_b32_e32 v17, 0x80000000, v17
	v_lshl_add_u32 v2, v2, 23, v18
	v_or3_b32 v17, v17, v2, v10
.LBB552_723:
	s_or_b64 exec, exec, s[10:11]
.LBB552_724:
	s_or_b64 exec, exec, s[8:9]
.LBB552_725:
	s_or_b64 exec, exec, s[2:3]
	s_movk_i32 s2, 0xff
	v_and_b32_sdwa v10, v3, s2 dst_sel:DWORD dst_unused:UNUSED_PAD src0_sel:WORD_1 src1_sel:DWORD
	v_lshrrev_b32_e32 v2, 16, v3
	v_cmp_ne_u16_e32 vcc, 0, v10
	s_and_saveexec_b64 s[2:3], vcc
	s_cbranch_execz .LBB552_731
; %bb.726:
	s_movk_i32 s7, 0x80
	v_cmp_ne_u16_e32 vcc, s7, v10
	v_bfrev_b32_e32 v16, 1
	s_and_saveexec_b64 s[8:9], vcc
	s_cbranch_execz .LBB552_730
; %bb.727:
	v_bfe_u32 v10, v3, 16, 7
	s_movk_i32 s7, 0x7f
	v_cmp_ne_u32_e32 vcc, s7, v10
	v_mov_b32_e32 v16, 0x7f800001
	s_and_saveexec_b64 s[10:11], vcc
	s_cbranch_execz .LBB552_729
; %bb.728:
	v_and_b32_e32 v16, 7, v2
	v_ffbh_u32_e32 v18, v16
	v_min_u32_e32 v21, 32, v18
	v_subrev_u32_e32 v18, 28, v21
	v_lshlrev_b64 v[18:19], v18, v[2:3]
	v_and_b32_e32 v18, 7, v18
	v_cmp_gt_u32_e32 vcc, 8, v10
	v_lshrrev_b32_e32 v20, 3, v10
	v_sub_u32_e32 v2, 29, v21
	v_cndmask_b32_e32 v10, v16, v18, vcc
	v_mov_b32_e32 v16, 24
	v_cndmask_b32_e32 v2, v20, v2, vcc
	v_lshlrev_b32_sdwa v16, v16, v3 dst_sel:DWORD dst_unused:UNUSED_PAD src0_sel:DWORD src1_sel:WORD_1
	v_bfrev_b32_e32 v18, 60
	v_lshlrev_b32_e32 v10, 20, v10
	v_and_b32_e32 v16, 0x80000000, v16
	v_lshl_add_u32 v2, v2, 23, v18
	v_or3_b32 v16, v16, v2, v10
.LBB552_729:
	s_or_b64 exec, exec, s[10:11]
.LBB552_730:
	s_or_b64 exec, exec, s[8:9]
.LBB552_731:
	s_or_b64 exec, exec, s[2:3]
	s_mov_b32 s2, 0xffffff
	v_cmp_lt_u32_e32 vcc, s2, v3
	v_mov_b32_e32 v10, 0
	v_mov_b32_e32 v18, 0
	s_and_saveexec_b64 s[2:3], vcc
	s_cbranch_execz .LBB552_737
; %bb.732:
	v_lshrrev_b32_e32 v2, 24, v3
	s_movk_i32 s7, 0x80
	v_cmp_ne_u32_e32 vcc, s7, v2
	v_bfrev_b32_e32 v18, 1
	s_and_saveexec_b64 s[8:9], vcc
	s_cbranch_execz .LBB552_736
; %bb.733:
	v_bfe_u32 v3, v3, 24, 7
	s_movk_i32 s7, 0x7f
	v_cmp_ne_u32_e32 vcc, s7, v3
	v_mov_b32_e32 v18, 0x7f800001
	s_and_saveexec_b64 s[10:11], vcc
	s_cbranch_execz .LBB552_735
; %bb.734:
	v_and_b32_e32 v20, 7, v2
	v_ffbh_u32_e32 v18, v20
	v_min_u32_e32 v23, 32, v18
	v_subrev_u32_e32 v18, 28, v23
	v_lshlrev_b64 v[18:19], v18, v[2:3]
	v_lshrrev_b32_e32 v21, 3, v3
	v_sub_u32_e32 v19, 29, v23
	v_and_b32_e32 v18, 7, v18
	v_cmp_gt_u32_e32 vcc, 8, v3
	v_cndmask_b32_e32 v3, v21, v19, vcc
	v_cndmask_b32_e32 v18, v20, v18, vcc
	v_lshlrev_b32_e32 v2, 24, v2
	v_bfrev_b32_e32 v19, 60
	v_lshlrev_b32_e32 v18, 20, v18
	v_and_b32_e32 v2, 0x80000000, v2
	v_lshl_add_u32 v3, v3, 23, v19
	v_or3_b32 v18, v2, v3, v18
.LBB552_735:
	s_or_b64 exec, exec, s[10:11]
.LBB552_736:
	s_or_b64 exec, exec, s[8:9]
.LBB552_737:
	s_or_b64 exec, exec, s[2:3]
	v_cvt_pkrtz_f16_f32 v2, v15, v12
	v_cvt_pkrtz_f16_f32 v3, v11, v14
	ds_read_b128 v[28:31], v22 offset:6144
	v_cmp_ne_u16_sdwa s[8:9], v4, v10 src0_sel:BYTE_0 src1_sel:DWORD
	s_waitcnt lgkmcnt(0)
	v_mfma_f32_16x16x16f16 v[6:9], v[2:3], v[28:29], v[6:9]
	v_cvt_pkrtz_f16_f32 v2, v13, v17
	v_cvt_pkrtz_f16_f32 v3, v16, v18
	s_nop 1
	v_mfma_f32_16x16x16f16 v[6:9], v[2:3], v[30:31], v[6:9]
	s_and_saveexec_b64 s[2:3], s[8:9]
	s_cbranch_execz .LBB552_743
; %bb.738:
	s_movk_i32 s7, 0x80
	v_cmp_ne_u16_sdwa s[10:11], v4, s7 src0_sel:BYTE_0 src1_sel:DWORD
	v_bfrev_b32_e32 v10, 1
	s_and_saveexec_b64 s[8:9], s[10:11]
	s_cbranch_execz .LBB552_742
; %bb.739:
	s_movk_i32 s7, 0x7f
	v_and_b32_e32 v2, 0x7f, v4
	v_cmp_ne_u32_e32 vcc, s7, v2
	v_mov_b32_e32 v10, 0x7f800001
	s_and_saveexec_b64 s[10:11], vcc
	s_cbranch_execz .LBB552_741
; %bb.740:
	v_and_b32_e32 v3, 7, v4
	v_ffbh_u32_e32 v10, v3
	v_min_u32_e32 v13, 32, v10
	v_subrev_u32_e32 v10, 28, v13
	v_lshlrev_b64 v[10:11], v10, v[4:5]
	v_lshrrev_b32_e32 v12, 3, v2
	v_sub_u32_e32 v11, 29, v13
	v_and_b32_e32 v10, 7, v10
	v_cmp_gt_u32_e32 vcc, 8, v2
	v_cndmask_b32_e32 v2, v12, v11, vcc
	v_cndmask_b32_e32 v3, v3, v10, vcc
	v_lshlrev_b32_e32 v10, 24, v4
	v_bfrev_b32_e32 v11, 60
	v_lshlrev_b32_e32 v3, 20, v3
	v_and_b32_e32 v10, 0x80000000, v10
	v_lshl_add_u32 v2, v2, 23, v11
	v_or3_b32 v10, v10, v2, v3
.LBB552_741:
	s_or_b64 exec, exec, s[10:11]
.LBB552_742:
	s_or_b64 exec, exec, s[8:9]
.LBB552_743:
	s_or_b64 exec, exec, s[2:3]
	v_lshrrev_b16_e32 v2, 8, v4
	v_cmp_ne_u16_e32 vcc, 0, v2
	v_mov_b32_e32 v3, 0
	v_mov_b32_e32 v11, 0
	s_and_saveexec_b64 s[2:3], vcc
	s_cbranch_execz .LBB552_749
; %bb.744:
	s_movk_i32 s7, 0x80
	v_cmp_ne_u16_e32 vcc, s7, v2
	v_bfrev_b32_e32 v11, 1
	s_and_saveexec_b64 s[8:9], vcc
	s_cbranch_execz .LBB552_748
; %bb.745:
	s_movk_i32 s7, 0x7f
	v_and_b32_e32 v12, 0x7f, v2
	v_cmp_ne_u32_e32 vcc, s7, v12
	v_mov_b32_e32 v11, 0x7f800001
	s_and_saveexec_b64 s[10:11], vcc
	s_cbranch_execz .LBB552_747
; %bb.746:
	v_and_b32_e32 v11, 7, v2
	v_ffbh_u32_e32 v14, v11
	v_min_u32_e32 v16, 32, v14
	v_subrev_u32_e32 v14, 28, v16
	v_lshlrev_b64 v[14:15], v14, v[2:3]
	v_lshrrev_b32_e32 v13, 3, v12
	v_sub_u32_e32 v2, 29, v16
	v_and_b32_e32 v14, 7, v14
	v_cmp_gt_u32_e32 vcc, 8, v12
	v_cndmask_b32_e32 v2, v13, v2, vcc
	v_cndmask_b32_e32 v11, v11, v14, vcc
	v_lshlrev_b32_e32 v12, 16, v4
	v_bfrev_b32_e32 v13, 60
	v_lshlrev_b32_e32 v11, 20, v11
	v_and_b32_e32 v12, 0x80000000, v12
	v_lshl_add_u32 v2, v2, 23, v13
	v_or3_b32 v11, v12, v2, v11
.LBB552_747:
	s_or_b64 exec, exec, s[10:11]
.LBB552_748:
	s_or_b64 exec, exec, s[8:9]
.LBB552_749:
	s_or_b64 exec, exec, s[2:3]
	s_movk_i32 s2, 0xff
	v_and_b32_sdwa v12, v4, s2 dst_sel:DWORD dst_unused:UNUSED_PAD src0_sel:WORD_1 src1_sel:DWORD
	v_lshrrev_b32_e32 v2, 16, v4
	v_cmp_ne_u16_e32 vcc, 0, v12
	s_and_saveexec_b64 s[2:3], vcc
	s_cbranch_execz .LBB552_755
; %bb.750:
	s_movk_i32 s7, 0x80
	v_cmp_ne_u16_e32 vcc, s7, v12
	v_bfrev_b32_e32 v3, 1
	s_and_saveexec_b64 s[8:9], vcc
	s_cbranch_execz .LBB552_754
; %bb.751:
	v_bfe_u32 v12, v4, 16, 7
	s_movk_i32 s7, 0x7f
	v_cmp_ne_u32_e32 vcc, s7, v12
	v_mov_b32_e32 v3, 0x7f800001
	s_and_saveexec_b64 s[10:11], vcc
	s_cbranch_execz .LBB552_753
; %bb.752:
	v_and_b32_e32 v13, 7, v2
	v_ffbh_u32_e32 v3, v13
	v_min_u32_e32 v15, 32, v3
	v_subrev_u32_e32 v3, 28, v15
	v_lshlrev_b64 v[2:3], v3, v[2:3]
	v_lshrrev_b32_e32 v14, 3, v12
	v_sub_u32_e32 v3, 29, v15
	v_and_b32_e32 v2, 7, v2
	v_cmp_gt_u32_e32 vcc, 8, v12
	v_mov_b32_e32 v12, 24
	v_cndmask_b32_e32 v3, v14, v3, vcc
	v_cndmask_b32_e32 v2, v13, v2, vcc
	v_lshlrev_b32_sdwa v12, v12, v4 dst_sel:DWORD dst_unused:UNUSED_PAD src0_sel:DWORD src1_sel:WORD_1
	v_bfrev_b32_e32 v13, 60
	v_lshlrev_b32_e32 v2, 20, v2
	v_and_b32_e32 v12, 0x80000000, v12
	v_lshl_add_u32 v3, v3, 23, v13
	v_or3_b32 v3, v12, v3, v2
.LBB552_753:
	s_or_b64 exec, exec, s[10:11]
.LBB552_754:
	s_or_b64 exec, exec, s[8:9]
.LBB552_755:
	s_or_b64 exec, exec, s[2:3]
	s_mov_b32 s2, 0xffffff
	v_cmp_lt_u32_e32 vcc, s2, v4
	v_mov_b32_e32 v12, 0
	v_mov_b32_e32 v13, 0
	s_and_saveexec_b64 s[2:3], vcc
	s_cbranch_execz .LBB552_761
; %bb.756:
	v_lshrrev_b32_e32 v2, 24, v4
	s_movk_i32 s7, 0x80
	v_cmp_ne_u32_e32 vcc, s7, v2
	v_bfrev_b32_e32 v13, 1
	s_and_saveexec_b64 s[8:9], vcc
	s_cbranch_execz .LBB552_760
; %bb.757:
	v_bfe_u32 v4, v4, 24, 7
	s_movk_i32 s7, 0x7f
	v_cmp_ne_u32_e32 vcc, s7, v4
	v_mov_b32_e32 v13, 0x7f800001
	s_and_saveexec_b64 s[10:11], vcc
	s_cbranch_execz .LBB552_759
; %bb.758:
	v_and_b32_e32 v13, 7, v2
	v_ffbh_u32_e32 v14, v13
	v_min_u32_e32 v17, 32, v14
	v_subrev_u32_e32 v14, 28, v17
	v_lshlrev_b64 v[14:15], v14, v[2:3]
	v_lshrrev_b32_e32 v16, 3, v4
	v_sub_u32_e32 v15, 29, v17
	v_and_b32_e32 v14, 7, v14
	v_cmp_gt_u32_e32 vcc, 8, v4
	v_cndmask_b32_e32 v4, v16, v15, vcc
	v_cndmask_b32_e32 v13, v13, v14, vcc
	v_lshlrev_b32_e32 v2, 24, v2
	v_bfrev_b32_e32 v14, 60
	v_lshlrev_b32_e32 v13, 20, v13
	v_and_b32_e32 v2, 0x80000000, v2
	v_lshl_add_u32 v4, v4, 23, v14
	v_or3_b32 v13, v2, v4, v13
.LBB552_759:
	s_or_b64 exec, exec, s[10:11]
.LBB552_760:
	s_or_b64 exec, exec, s[8:9]
.LBB552_761:
	s_or_b64 exec, exec, s[2:3]
	v_cmp_ne_u16_sdwa s[8:9], v5, v12 src0_sel:BYTE_0 src1_sel:DWORD
	s_and_saveexec_b64 s[2:3], s[8:9]
	s_cbranch_execz .LBB552_767
; %bb.762:
	s_movk_i32 s7, 0x80
	v_cmp_ne_u16_sdwa s[10:11], v5, s7 src0_sel:BYTE_0 src1_sel:DWORD
	v_bfrev_b32_e32 v12, 1
	s_and_saveexec_b64 s[8:9], s[10:11]
	s_cbranch_execz .LBB552_766
; %bb.763:
	s_movk_i32 s7, 0x7f
	v_and_b32_e32 v2, 0x7f, v5
	v_cmp_ne_u32_e32 vcc, s7, v2
	v_mov_b32_e32 v12, 0x7f800001
	s_and_saveexec_b64 s[10:11], vcc
	s_cbranch_execz .LBB552_765
; %bb.764:
	v_and_b32_e32 v12, 7, v5
	v_ffbh_u32_e32 v14, v12
	v_min_u32_e32 v17, 32, v14
	v_mov_b32_e32 v4, v5
	v_subrev_u32_e32 v14, 28, v17
	v_lshlrev_b64 v[14:15], v14, v[4:5]
	v_lshrrev_b32_e32 v16, 3, v2
	v_sub_u32_e32 v4, 29, v17
	v_and_b32_e32 v14, 7, v14
	v_cmp_gt_u32_e32 vcc, 8, v2
	v_cndmask_b32_e32 v2, v16, v4, vcc
	v_cndmask_b32_e32 v4, v12, v14, vcc
	v_lshlrev_b32_e32 v12, 24, v5
	v_bfrev_b32_e32 v14, 60
	v_lshlrev_b32_e32 v4, 20, v4
	v_and_b32_e32 v12, 0x80000000, v12
	v_lshl_add_u32 v2, v2, 23, v14
	v_or3_b32 v12, v12, v2, v4
.LBB552_765:
	s_or_b64 exec, exec, s[10:11]
.LBB552_766:
	s_or_b64 exec, exec, s[8:9]
.LBB552_767:
	s_or_b64 exec, exec, s[2:3]
	v_lshrrev_b16_e32 v2, 8, v5
	v_cmp_ne_u16_e32 vcc, 0, v2
	v_mov_b32_e32 v4, 0
	v_mov_b32_e32 v14, 0
	s_and_saveexec_b64 s[2:3], vcc
	s_cbranch_execz .LBB552_773
; %bb.768:
	s_movk_i32 s7, 0x80
	v_cmp_ne_u16_e32 vcc, s7, v2
	v_bfrev_b32_e32 v14, 1
	s_and_saveexec_b64 s[8:9], vcc
	s_cbranch_execz .LBB552_772
; %bb.769:
	s_movk_i32 s7, 0x7f
	v_and_b32_e32 v15, 0x7f, v2
	v_cmp_ne_u32_e32 vcc, s7, v15
	v_mov_b32_e32 v14, 0x7f800001
	s_and_saveexec_b64 s[10:11], vcc
	s_cbranch_execz .LBB552_771
; %bb.770:
	v_and_b32_e32 v14, 7, v2
	v_ffbh_u32_e32 v16, v14
	v_min_u32_e32 v19, 32, v16
	v_subrev_u32_e32 v16, 28, v19
	v_lshlrev_b64 v[16:17], v16, v[2:3]
	v_lshrrev_b32_e32 v18, 3, v15
	v_sub_u32_e32 v2, 29, v19
	v_and_b32_e32 v16, 7, v16
	v_cmp_gt_u32_e32 vcc, 8, v15
	v_cndmask_b32_e32 v2, v18, v2, vcc
	v_cndmask_b32_e32 v14, v14, v16, vcc
	v_lshlrev_b32_e32 v15, 16, v5
	v_bfrev_b32_e32 v16, 60
	v_lshlrev_b32_e32 v14, 20, v14
	v_and_b32_e32 v15, 0x80000000, v15
	v_lshl_add_u32 v2, v2, 23, v16
	v_or3_b32 v14, v15, v2, v14
.LBB552_771:
	s_or_b64 exec, exec, s[10:11]
.LBB552_772:
	s_or_b64 exec, exec, s[8:9]
.LBB552_773:
	s_or_b64 exec, exec, s[2:3]
	s_movk_i32 s2, 0xff
	v_and_b32_sdwa v15, v5, s2 dst_sel:DWORD dst_unused:UNUSED_PAD src0_sel:WORD_1 src1_sel:DWORD
	v_lshrrev_b32_e32 v2, 16, v5
	v_cmp_ne_u16_e32 vcc, 0, v15
	s_and_saveexec_b64 s[2:3], vcc
	s_cbranch_execz .LBB552_779
; %bb.774:
	s_movk_i32 s7, 0x80
	v_cmp_ne_u16_e32 vcc, s7, v15
	v_bfrev_b32_e32 v4, 1
	s_and_saveexec_b64 s[8:9], vcc
	s_cbranch_execz .LBB552_778
; %bb.775:
	v_bfe_u32 v15, v5, 16, 7
	s_movk_i32 s7, 0x7f
	v_cmp_ne_u32_e32 vcc, s7, v15
	v_mov_b32_e32 v4, 0x7f800001
	s_and_saveexec_b64 s[10:11], vcc
	s_cbranch_execz .LBB552_777
; %bb.776:
	v_and_b32_e32 v4, 7, v2
	v_ffbh_u32_e32 v16, v4
	v_min_u32_e32 v19, 32, v16
	v_subrev_u32_e32 v16, 28, v19
	v_lshlrev_b64 v[16:17], v16, v[2:3]
	v_lshrrev_b32_e32 v18, 3, v15
	v_sub_u32_e32 v2, 29, v19
	v_and_b32_e32 v16, 7, v16
	v_cmp_gt_u32_e32 vcc, 8, v15
	v_mov_b32_e32 v15, 24
	v_cndmask_b32_e32 v2, v18, v2, vcc
	v_cndmask_b32_e32 v4, v4, v16, vcc
	v_lshlrev_b32_sdwa v15, v15, v5 dst_sel:DWORD dst_unused:UNUSED_PAD src0_sel:DWORD src1_sel:WORD_1
	v_bfrev_b32_e32 v16, 60
	v_lshlrev_b32_e32 v4, 20, v4
	v_and_b32_e32 v15, 0x80000000, v15
	v_lshl_add_u32 v2, v2, 23, v16
	v_or3_b32 v4, v15, v2, v4
.LBB552_777:
	s_or_b64 exec, exec, s[10:11]
.LBB552_778:
	s_or_b64 exec, exec, s[8:9]
.LBB552_779:
	s_or_b64 exec, exec, s[2:3]
	s_mov_b32 s2, 0xffffff
	v_cmp_lt_u32_e32 vcc, s2, v5
	v_mov_b32_e32 v15, 0
	s_and_saveexec_b64 s[2:3], vcc
	s_cbranch_execz .LBB552_785
; %bb.780:
	v_lshrrev_b32_e32 v2, 24, v5
	s_movk_i32 s7, 0x80
	v_cmp_ne_u32_e32 vcc, s7, v2
	v_bfrev_b32_e32 v15, 1
	s_and_saveexec_b64 s[8:9], vcc
	s_cbranch_execz .LBB552_784
; %bb.781:
	v_bfe_u32 v5, v5, 24, 7
	s_movk_i32 s7, 0x7f
	v_cmp_ne_u32_e32 vcc, s7, v5
	v_mov_b32_e32 v15, 0x7f800001
	s_and_saveexec_b64 s[10:11], vcc
	s_cbranch_execz .LBB552_783
; %bb.782:
	v_and_b32_e32 v15, 7, v2
	v_ffbh_u32_e32 v16, v15
	v_min_u32_e32 v19, 32, v16
	v_subrev_u32_e32 v16, 28, v19
	v_lshlrev_b64 v[16:17], v16, v[2:3]
	v_lshrrev_b32_e32 v18, 3, v5
	v_sub_u32_e32 v17, 29, v19
	v_and_b32_e32 v16, 7, v16
	v_cmp_gt_u32_e32 vcc, 8, v5
	v_cndmask_b32_e32 v5, v18, v17, vcc
	v_cndmask_b32_e32 v15, v15, v16, vcc
	v_lshlrev_b32_e32 v2, 24, v2
	v_bfrev_b32_e32 v16, 60
	v_lshlrev_b32_e32 v15, 20, v15
	v_and_b32_e32 v2, 0x80000000, v2
	v_lshl_add_u32 v5, v5, 23, v16
	v_or3_b32 v15, v2, v5, v15
.LBB552_783:
	s_or_b64 exec, exec, s[10:11]
.LBB552_784:
	s_or_b64 exec, exec, s[8:9]
.LBB552_785:
	s_or_b64 exec, exec, s[2:3]
	v_cvt_pkrtz_f16_f32 v2, v10, v11
	v_cvt_pkrtz_f16_f32 v3, v3, v13
	ds_read_b128 v[16:19], v22 offset:6160
	s_load_dword s2, s[42:43], 0x0
	v_cmp_gt_u32_e32 vcc, 64, v0
	s_waitcnt lgkmcnt(0)
	v_mfma_f32_16x16x16f16 v[6:9], v[2:3], v[16:17], v[6:9]
	v_cvt_pkrtz_f16_f32 v2, v12, v14
	v_cvt_pkrtz_f16_f32 v3, v4, v15
	s_and_b64 s[0:1], vcc, s[0:1]
	s_barrier
	v_mfma_f32_16x16x16f16 v[2:5], v[2:3], v[18:19], v[6:9]
	s_nop 7
	s_nop 2
	v_pk_mul_f32 v[4:5], v[4:5], s[2:3] op_sel_hi:[1,0]
	v_pk_mul_f32 v[2:3], v[2:3], s[2:3] op_sel_hi:[1,0]
	v_cvt_f16_f32_e32 v2, v2
	v_cvt_f16_f32_e32 v3, v3
	;; [unrolled: 1-line block ×4, first 2 shown]
	v_pack_b32_f16 v2, v2, v3
	v_pack_b32_f16 v3, v4, v5
	ds_write_b64 v26, v[2:3]
	s_waitcnt lgkmcnt(0)
	s_barrier
	s_and_saveexec_b64 s[2:3], s[0:1]
	s_cbranch_execz .LBB552_788
; %bb.786:
	s_load_dwordx2 s[2:3], s[4:5], 0x68
	s_lshl_b32 s0, s44, 6
	s_mul_i32 s1, s12, s6
	s_mul_hi_u32 s7, s1, s0
	s_mul_i32 s6, s1, s0
	s_lshl_b64 s[6:7], s[6:7], 1
	s_waitcnt lgkmcnt(0)
	s_add_u32 s1, s2, s6
	v_lshlrev_b32_e32 v0, 10, v0
	s_mov_b32 s5, 0
	s_addc_u32 s6, s3, s7
	s_lshl_b32 s4, s24, 6
	v_and_b32_e32 v0, 0x1800, v0
	v_lshlrev_b32_e32 v2, 5, v1
	v_and_b32_e32 v3, 16, v47
	s_lshl_b64 s[2:3], s[4:5], 1
	v_or3_b32 v0, v0, v2, v3
	s_add_u32 s1, s1, s2
	s_addc_u32 s2, s6, s3
	ds_read_b128 v[4:7], v0 offset:128
	ds_read_b128 v[8:11], v0
	v_add_u32_e32 v14, s25, v1
	v_mov_b32_e32 v3, s2
	v_add_co_u32_e32 v2, vcc, s1, v46
	v_mad_u64_u32 v[12:13], s[2:3], v14, s0, 0
	v_addc_co_u32_e32 v3, vcc, 0, v3, vcc
	v_lshlrev_b64 v[12:13], 1, v[12:13]
	v_add_co_u32_e32 v12, vcc, v2, v12
	v_addc_co_u32_e32 v13, vcc, v3, v13, vcc
	s_waitcnt lgkmcnt(0)
	global_store_dwordx4 v[12:13], v[8:11], off
	s_nop 0
	v_add_u32_e32 v8, 4, v14
	v_mad_u64_u32 v[8:9], s[2:3], v8, s0, 0
	v_lshlrev_b64 v[8:9], 1, v[8:9]
	v_add_co_u32_e32 v8, vcc, v2, v8
	v_addc_co_u32_e32 v9, vcc, v3, v9, vcc
	v_cmp_ne_u32_e32 vcc, 3, v1
	global_store_dwordx4 v[8:9], v[4:7], off
	s_and_b64 exec, exec, vcc
	s_cbranch_execz .LBB552_788
; %bb.787:
	ds_read_b128 v[4:7], v0 offset:256
	v_add3_u32 v0, s25, v1, 8
	v_mad_u64_u32 v[0:1], s[0:1], v0, s0, 0
	v_lshlrev_b64 v[0:1], 1, v[0:1]
	v_add_co_u32_e32 v0, vcc, v2, v0
	v_addc_co_u32_e32 v1, vcc, v3, v1, vcc
	s_waitcnt lgkmcnt(0)
	global_store_dwordx4 v[0:1], v[4:7], off
.LBB552_788:
	s_endpgm
	.section	.rodata,"a",@progbits
	.p2align	6, 0x0
	.amdhsa_kernel _Z39paged_attention_ll4mi_QKV_mfma16_kernelIDF16_hLN4vllm18Fp8KVCacheDataTypeE1EDF16_Li16ELi64ELi256ELb1ELi11EL8MFMAType0EEvPKT_PKT0_S8_ifPKiSA_SA_iPKfiiiPfSD_PS3_PT2_iSC_SC_
		.amdhsa_group_segment_fixed_size 8192
		.amdhsa_private_segment_fixed_size 0
		.amdhsa_kernarg_size 400
		.amdhsa_user_sgpr_count 6
		.amdhsa_user_sgpr_private_segment_buffer 1
		.amdhsa_user_sgpr_dispatch_ptr 0
		.amdhsa_user_sgpr_queue_ptr 0
		.amdhsa_user_sgpr_kernarg_segment_ptr 1
		.amdhsa_user_sgpr_dispatch_id 0
		.amdhsa_user_sgpr_flat_scratch_init 0
		.amdhsa_user_sgpr_kernarg_preload_length 0
		.amdhsa_user_sgpr_kernarg_preload_offset 0
		.amdhsa_user_sgpr_private_segment_size 0
		.amdhsa_uses_dynamic_stack 0
		.amdhsa_system_sgpr_private_segment_wavefront_offset 0
		.amdhsa_system_sgpr_workgroup_id_x 1
		.amdhsa_system_sgpr_workgroup_id_y 1
		.amdhsa_system_sgpr_workgroup_id_z 1
		.amdhsa_system_sgpr_workgroup_info 0
		.amdhsa_system_vgpr_workitem_id 0
		.amdhsa_next_free_vgpr 62
		.amdhsa_next_free_sgpr 47
		.amdhsa_accum_offset 64
		.amdhsa_reserve_vcc 1
		.amdhsa_reserve_flat_scratch 0
		.amdhsa_float_round_mode_32 0
		.amdhsa_float_round_mode_16_64 0
		.amdhsa_float_denorm_mode_32 3
		.amdhsa_float_denorm_mode_16_64 3
		.amdhsa_dx10_clamp 1
		.amdhsa_ieee_mode 1
		.amdhsa_fp16_overflow 0
		.amdhsa_tg_split 0
		.amdhsa_exception_fp_ieee_invalid_op 0
		.amdhsa_exception_fp_denorm_src 0
		.amdhsa_exception_fp_ieee_div_zero 0
		.amdhsa_exception_fp_ieee_overflow 0
		.amdhsa_exception_fp_ieee_underflow 0
		.amdhsa_exception_fp_ieee_inexact 0
		.amdhsa_exception_int_div_zero 0
	.end_amdhsa_kernel
	.section	.text._Z39paged_attention_ll4mi_QKV_mfma16_kernelIDF16_hLN4vllm18Fp8KVCacheDataTypeE1EDF16_Li16ELi64ELi256ELb1ELi11EL8MFMAType0EEvPKT_PKT0_S8_ifPKiSA_SA_iPKfiiiPfSD_PS3_PT2_iSC_SC_,"axG",@progbits,_Z39paged_attention_ll4mi_QKV_mfma16_kernelIDF16_hLN4vllm18Fp8KVCacheDataTypeE1EDF16_Li16ELi64ELi256ELb1ELi11EL8MFMAType0EEvPKT_PKT0_S8_ifPKiSA_SA_iPKfiiiPfSD_PS3_PT2_iSC_SC_,comdat
.Lfunc_end552:
	.size	_Z39paged_attention_ll4mi_QKV_mfma16_kernelIDF16_hLN4vllm18Fp8KVCacheDataTypeE1EDF16_Li16ELi64ELi256ELb1ELi11EL8MFMAType0EEvPKT_PKT0_S8_ifPKiSA_SA_iPKfiiiPfSD_PS3_PT2_iSC_SC_, .Lfunc_end552-_Z39paged_attention_ll4mi_QKV_mfma16_kernelIDF16_hLN4vllm18Fp8KVCacheDataTypeE1EDF16_Li16ELi64ELi256ELb1ELi11EL8MFMAType0EEvPKT_PKT0_S8_ifPKiSA_SA_iPKfiiiPfSD_PS3_PT2_iSC_SC_
                                        ; -- End function
	.section	.AMDGPU.csdata,"",@progbits
; Kernel info:
; codeLenInByte = 27284
; NumSgprs: 51
; NumVgprs: 62
; NumAgprs: 0
; TotalNumVgprs: 62
; ScratchSize: 0
; MemoryBound: 0
; FloatMode: 240
; IeeeMode: 1
; LDSByteSize: 8192 bytes/workgroup (compile time only)
; SGPRBlocks: 6
; VGPRBlocks: 7
; NumSGPRsForWavesPerEU: 51
; NumVGPRsForWavesPerEU: 62
; AccumOffset: 64
; Occupancy: 8
; WaveLimiterHint : 1
; COMPUTE_PGM_RSRC2:SCRATCH_EN: 0
; COMPUTE_PGM_RSRC2:USER_SGPR: 6
; COMPUTE_PGM_RSRC2:TRAP_HANDLER: 0
; COMPUTE_PGM_RSRC2:TGID_X_EN: 1
; COMPUTE_PGM_RSRC2:TGID_Y_EN: 1
; COMPUTE_PGM_RSRC2:TGID_Z_EN: 1
; COMPUTE_PGM_RSRC2:TIDIG_COMP_CNT: 0
; COMPUTE_PGM_RSRC3_GFX90A:ACCUM_OFFSET: 15
; COMPUTE_PGM_RSRC3_GFX90A:TG_SPLIT: 0
	.section	.text._Z39paged_attention_ll4mi_QKV_mfma16_kernelIDF16_hLN4vllm18Fp8KVCacheDataTypeE1EDF16_Li16ELi64ELi256ELb1ELi12EL8MFMAType0EEvPKT_PKT0_S8_ifPKiSA_SA_iPKfiiiPfSD_PS3_PT2_iSC_SC_,"axG",@progbits,_Z39paged_attention_ll4mi_QKV_mfma16_kernelIDF16_hLN4vllm18Fp8KVCacheDataTypeE1EDF16_Li16ELi64ELi256ELb1ELi12EL8MFMAType0EEvPKT_PKT0_S8_ifPKiSA_SA_iPKfiiiPfSD_PS3_PT2_iSC_SC_,comdat
	.protected	_Z39paged_attention_ll4mi_QKV_mfma16_kernelIDF16_hLN4vllm18Fp8KVCacheDataTypeE1EDF16_Li16ELi64ELi256ELb1ELi12EL8MFMAType0EEvPKT_PKT0_S8_ifPKiSA_SA_iPKfiiiPfSD_PS3_PT2_iSC_SC_ ; -- Begin function _Z39paged_attention_ll4mi_QKV_mfma16_kernelIDF16_hLN4vllm18Fp8KVCacheDataTypeE1EDF16_Li16ELi64ELi256ELb1ELi12EL8MFMAType0EEvPKT_PKT0_S8_ifPKiSA_SA_iPKfiiiPfSD_PS3_PT2_iSC_SC_
	.globl	_Z39paged_attention_ll4mi_QKV_mfma16_kernelIDF16_hLN4vllm18Fp8KVCacheDataTypeE1EDF16_Li16ELi64ELi256ELb1ELi12EL8MFMAType0EEvPKT_PKT0_S8_ifPKiSA_SA_iPKfiiiPfSD_PS3_PT2_iSC_SC_
	.p2align	8
	.type	_Z39paged_attention_ll4mi_QKV_mfma16_kernelIDF16_hLN4vllm18Fp8KVCacheDataTypeE1EDF16_Li16ELi64ELi256ELb1ELi12EL8MFMAType0EEvPKT_PKT0_S8_ifPKiSA_SA_iPKfiiiPfSD_PS3_PT2_iSC_SC_,@function
_Z39paged_attention_ll4mi_QKV_mfma16_kernelIDF16_hLN4vllm18Fp8KVCacheDataTypeE1EDF16_Li16ELi64ELi256ELb1ELi12EL8MFMAType0EEvPKT_PKT0_S8_ifPKiSA_SA_iPKfiiiPfSD_PS3_PT2_iSC_SC_: ; @_Z39paged_attention_ll4mi_QKV_mfma16_kernelIDF16_hLN4vllm18Fp8KVCacheDataTypeE1EDF16_Li16ELi64ELi256ELb1ELi12EL8MFMAType0EEvPKT_PKT0_S8_ifPKiSA_SA_iPKfiiiPfSD_PS3_PT2_iSC_SC_
; %bb.0:
	s_load_dwordx2 s[0:1], s[4:5], 0x30
	s_mov_b32 s24, s7
	s_mov_b64 s[10:11], 0
	s_waitcnt lgkmcnt(0)
	s_cmp_lg_u64 s[0:1], 0
	s_cselect_b64 s[2:3], -1, 0
	s_and_b64 vcc, exec, s[2:3]
	s_cbranch_vccz .LBB553_7
; %bb.1:
	s_add_i32 s12, s6, 1
	s_mov_b32 s13, 0
	s_lshl_b64 s[14:15], s[12:13], 2
	s_add_u32 s14, s0, s14
	s_mov_b32 s7, s13
	s_addc_u32 s15, s1, s15
	s_lshl_b64 s[12:13], s[6:7], 2
	s_add_u32 s12, s0, s12
	s_addc_u32 s13, s1, s13
	s_load_dword s9, s[14:15], 0x0
	s_load_dword s16, s[12:13], 0x0
	s_waitcnt lgkmcnt(0)
	s_sub_i32 s9, s9, s16
	s_cmp_eq_u32 s9, 1
	s_cselect_b64 s[12:13], -1, 0
	s_andn2_b64 vcc, exec, s[10:11]
	s_cbranch_vccnz .LBB553_3
.LBB553_2:
	s_mov_b32 s7, 0
	s_mov_b64 s[12:13], -1
.LBB553_3:
	s_andn2_b64 vcc, exec, s[12:13]
	s_cbranch_vccnz .LBB553_787
; %bb.4:
	s_load_dwordx2 s[12:13], s[4:5], 0x28
	s_lshl_b64 s[10:11], s[6:7], 2
	s_waitcnt lgkmcnt(0)
	s_add_u32 s12, s12, s10
	s_addc_u32 s13, s13, s11
	s_load_dword s33, s[12:13], 0x0
	s_lshl_b32 s18, s24, 8
	s_waitcnt lgkmcnt(0)
	s_cmp_ge_i32 s18, s33
	s_cbranch_scc1 .LBB553_787
; %bb.5:
	s_add_i32 s14, s33, 15
	s_load_dwordx2 s[12:13], s[4:5], 0x20
	s_load_dword s9, s[4:5], 0x38
	s_ashr_i32 s15, s14, 31
	v_and_b32_e32 v1, 0xcf, v0
	s_lshr_b32 s15, s15, 28
	v_add_u32_e32 v1, s18, v1
	s_add_i32 s14, s14, s15
	v_ashrrev_i32_e32 v2, 31, v1
	s_ashr_i32 s21, s14, 4
	v_lshrrev_b32_e32 v4, 28, v2
	s_add_i32 s21, s21, -1
	v_add_u32_e32 v2, v1, v4
	s_waitcnt lgkmcnt(0)
	s_mul_i32 s14, s6, s9
	s_mov_b32 s15, 0
	v_ashrrev_i32_e32 v2, 4, v2
	v_mov_b32_e32 v5, s21
	v_cmp_gt_i32_e32 vcc, s33, v1
	s_lshl_b64 s[14:15], s[14:15], 2
	v_cndmask_b32_e32 v2, v5, v2, vcc
	s_add_u32 s19, s12, s14
	v_ashrrev_i32_e32 v3, 31, v2
	s_addc_u32 s20, s13, s15
	v_lshlrev_b64 v[2:3], 2, v[2:3]
	v_mov_b32_e32 v7, s20
	v_add_co_u32_e32 v6, vcc, s19, v2
	v_or_b32_e32 v2, 16, v1
	v_addc_co_u32_e32 v7, vcc, v7, v3, vcc
	v_add_u32_e32 v3, v2, v4
	v_ashrrev_i32_e32 v3, 4, v3
	v_cmp_gt_i32_e32 vcc, s33, v2
	v_cndmask_b32_e32 v2, v5, v3, vcc
	v_ashrrev_i32_e32 v3, 31, v2
	v_lshlrev_b64 v[2:3], 2, v[2:3]
	v_mov_b32_e32 v9, s20
	v_add_co_u32_e32 v8, vcc, s19, v2
	v_or_b32_e32 v2, 32, v1
	v_addc_co_u32_e32 v9, vcc, v9, v3, vcc
	v_add_u32_e32 v3, v2, v4
	v_ashrrev_i32_e32 v3, 4, v3
	v_cmp_gt_i32_e32 vcc, s33, v2
	v_cndmask_b32_e32 v2, v5, v3, vcc
	v_ashrrev_i32_e32 v3, 31, v2
	;; [unrolled: 10-line block ×3, first 2 shown]
	v_lshlrev_b64 v[2:3], 2, v[2:3]
	v_mov_b32_e32 v1, s20
	v_add_co_u32_e32 v12, vcc, s19, v2
	v_addc_co_u32_e32 v13, vcc, v1, v3, vcc
	global_load_dword v5, v[6:7], off
	global_load_dword v4, v[8:9], off
	;; [unrolled: 1-line block ×4, first 2 shown]
	s_load_dwordx2 s[16:17], s[4:5], 0x8
	s_andn2_b64 vcc, exec, s[2:3]
	s_cbranch_vccnz .LBB553_8
; %bb.6:
	s_add_u32 s0, s0, s10
	s_addc_u32 s1, s1, s11
	s_load_dword s9, s[0:1], 0x0
	s_branch .LBB553_9
.LBB553_7:
	s_mov_b64 s[12:13], 0
	s_branch .LBB553_2
.LBB553_8:
	s_mov_b32 s9, s6
.LBB553_9:
	s_load_dwordx2 s[2:3], s[4:5], 0x10
	s_load_dwordx4 s[12:15], s[4:5], 0x48
	v_and_b32_e32 v48, 15, v0
	s_movk_i32 s0, 0xc0
	v_lshlrev_b32_e32 v6, 3, v48
	v_cmp_gt_u32_e32 vcc, s0, v0
	v_cmp_gt_u32_e64 s[0:1], 8, v48
	v_lshrrev_b32_e32 v49, 6, v0
	v_bfe_u32 v1, v0, 4, 2
	s_mul_i32 s25, s8, 12
	s_and_b64 s[22:23], vcc, s[0:1]
	v_lshlrev_b32_e32 v46, 1, v6
	v_lshlrev_b32_e32 v47, 4, v0
	s_and_saveexec_b64 s[10:11], s[22:23]
	s_cbranch_execz .LBB553_11
; %bb.10:
	s_load_dwordx2 s[22:23], s[4:5], 0x0
	s_waitcnt lgkmcnt(0)
	s_ashr_i32 s15, s12, 31
	s_mul_hi_u32 s26, s9, s12
	s_mul_i32 s15, s9, s15
	v_lshl_or_b32 v10, v49, 2, v1
	s_add_i32 s27, s26, s15
	s_mul_i32 s26, s9, s12
	s_lshl_b64 s[26:27], s[26:27], 1
	v_add_lshl_u32 v6, v10, s25, 6
	s_add_u32 s9, s22, s26
	v_ashrrev_i32_e32 v7, 31, v6
	s_addc_u32 s12, s23, s27
	v_lshlrev_b64 v[6:7], 1, v[6:7]
	v_mov_b32_e32 v8, s12
	v_add_co_u32_e32 v6, vcc, s9, v6
	v_addc_co_u32_e32 v7, vcc, v8, v7, vcc
	v_add_co_u32_e32 v6, vcc, v6, v46
	v_addc_co_u32_e32 v7, vcc, 0, v7, vcc
	global_load_dwordx4 v[6:9], v[6:7], off
	v_lshlrev_b32_e32 v12, 8, v48
	v_lshlrev_b32_e32 v10, 5, v10
	v_and_b32_e32 v11, 16, v47
	v_and_b32_e32 v12, 0xe00, v12
	v_or3_b32 v10, v12, v10, v11
	s_waitcnt vmcnt(0)
	ds_write_b128 v10, v[6:9]
.LBB553_11:
	s_or_b64 exec, exec, s[10:11]
	s_waitcnt lgkmcnt(0)
	s_mul_i32 s10, s8, s14
	s_add_u32 s8, s16, s10
	s_addc_u32 s9, s17, 0
	v_and_b32_e32 v7, 0xf0, v47
	v_and_b32_e32 v6, 48, v0
	v_mov_b32_e32 v8, s9
	v_add_co_u32_e32 v7, vcc, s8, v7
	v_addc_co_u32_e32 v9, vcc, 0, v8, vcc
	v_lshlrev_b32_e32 v8, 4, v6
	v_add_co_u32_e32 v8, vcc, v7, v8
	v_addc_co_u32_e32 v9, vcc, 0, v9, vcc
	s_waitcnt vmcnt(3)
	v_mad_i64_i32 v[10:11], s[8:9], v5, s13, v[8:9]
	s_waitcnt vmcnt(2)
	v_mad_i64_i32 v[4:5], s[8:9], v4, s13, v[8:9]
	s_barrier
	global_load_dwordx4 v[34:37], v[10:11], off
	global_load_dwordx4 v[38:41], v[4:5], off
	s_waitcnt vmcnt(3)
	v_mad_i64_i32 v[4:5], s[8:9], v2, s13, v[8:9]
	s_waitcnt vmcnt(2)
	v_mad_i64_i32 v[2:3], s[8:9], v3, s13, v[8:9]
	global_load_dwordx4 v[30:33], v[4:5], off
	global_load_dwordx4 v[22:25], v[2:3], off
	v_add_u32_e32 v2, -12, v48
	v_cmp_gt_u32_e32 vcc, 12, v48
	v_cndmask_b32_e32 v2, v2, v48, vcc
	v_lshlrev_b32_e32 v2, 5, v2
	v_lshl_add_u32 v2, v1, 9, v2
	ds_read_b128 v[26:29], v2
	ds_read_b128 v[18:21], v2 offset:16
	v_mov_b32_e32 v43, 0
	v_mov_b32_e32 v50, 0
	s_and_saveexec_b64 s[8:9], vcc
	s_cbranch_execz .LBB553_13
; %bb.12:
	s_load_dwordx2 s[14:15], s[4:5], 0x40
	v_add_u32_e32 v2, s25, v48
	v_ashrrev_i32_e32 v3, 31, v2
	v_lshlrev_b64 v[2:3], 2, v[2:3]
	s_waitcnt lgkmcnt(0)
	v_mov_b32_e32 v4, s15
	v_add_co_u32_e32 v2, vcc, s14, v2
	v_addc_co_u32_e32 v3, vcc, v4, v3, vcc
	global_load_dword v50, v[2:3], off
.LBB553_13:
	s_or_b64 exec, exec, s[8:9]
	v_or_b32_e32 v8, s18, v6
	v_ashrrev_i32_e32 v2, 4, v8
	v_mov_b32_e32 v9, s21
	v_cmp_gt_i32_e32 vcc, s33, v8
	v_cndmask_b32_e32 v2, v9, v2, vcc
	v_ashrrev_i32_e32 v3, 31, v2
	v_lshlrev_b64 v[2:3], 2, v[2:3]
	v_mov_b32_e32 v4, s20
	v_add_co_u32_e32 v2, vcc, s19, v2
	v_addc_co_u32_e32 v3, vcc, v4, v3, vcc
	v_or_b32_e32 v4, 64, v8
	v_ashrrev_i32_e32 v5, 4, v4
	v_cmp_gt_i32_e32 vcc, s33, v4
	v_cndmask_b32_e32 v4, v9, v5, vcc
	v_ashrrev_i32_e32 v5, 31, v4
	v_lshlrev_b64 v[4:5], 2, v[4:5]
	v_mov_b32_e32 v6, s20
	v_add_co_u32_e32 v4, vcc, s19, v4
	v_addc_co_u32_e32 v5, vcc, v6, v5, vcc
	v_or_b32_e32 v6, 0x80, v8
	v_ashrrev_i32_e32 v7, 4, v6
	v_cmp_gt_i32_e32 vcc, s33, v6
	v_cndmask_b32_e32 v6, v9, v7, vcc
	v_ashrrev_i32_e32 v7, 31, v6
	v_lshlrev_b64 v[6:7], 2, v[6:7]
	v_mov_b32_e32 v10, s20
	v_add_co_u32_e32 v6, vcc, s19, v6
	v_addc_co_u32_e32 v7, vcc, v10, v7, vcc
	global_load_dword v10, v[2:3], off
	global_load_dword v11, v[4:5], off
	;; [unrolled: 1-line block ×3, first 2 shown]
	v_or_b32_e32 v2, 0xc0, v8
	v_ashrrev_i32_e32 v3, 4, v2
	v_cmp_gt_i32_e32 vcc, s33, v2
	v_cndmask_b32_e32 v2, v9, v3, vcc
	v_ashrrev_i32_e32 v3, 31, v2
	v_lshlrev_b64 v[2:3], 2, v[2:3]
	v_mov_b32_e32 v4, s20
	v_add_co_u32_e32 v2, vcc, s19, v2
	v_addc_co_u32_e32 v3, vcc, v4, v3, vcc
	global_load_dword v13, v[2:3], off
	s_add_u32 s2, s2, s10
	v_lshlrev_b32_e32 v2, 4, v48
	s_addc_u32 s3, s3, 0
	v_lshl_or_b32 v2, v49, 8, v2
	v_mov_b32_e32 v3, s3
	v_add_co_u32_e32 v2, vcc, s2, v2
	v_addc_co_u32_e32 v3, vcc, 0, v3, vcc
	s_movk_i32 s8, 0x80
	s_waitcnt vmcnt(7)
	v_cmp_ne_u16_sdwa s[10:11], v34, v43 src0_sel:BYTE_0 src1_sel:DWORD
	s_waitcnt vmcnt(3)
	v_mad_i64_i32 v[4:5], s[2:3], v10, s13, v[2:3]
	s_waitcnt vmcnt(2)
	v_mad_i64_i32 v[6:7], s[2:3], v11, s13, v[2:3]
	;; [unrolled: 2-line block ×4, first 2 shown]
	global_load_dwordx4 v[14:17], v[4:5], off
	global_load_dwordx4 v[10:13], v[6:7], off
                                        ; kill: killed $vgpr6_vgpr7
                                        ; kill: killed $vgpr4_vgpr5
	s_nop 0
	global_load_dwordx4 v[6:9], v[8:9], off
	s_nop 0
	global_load_dwordx4 v[2:5], v[2:3], off
	s_load_dwordx4 s[40:43], s[4:5], 0x80
	s_load_dwordx2 s[44:45], s[4:5], 0x94
                                        ; kill: killed $sgpr40_sgpr41
	s_waitcnt lgkmcnt(0)
	s_load_dword s12, s[40:41], 0x0
	s_and_saveexec_b64 s[2:3], s[10:11]
	s_cbranch_execz .LBB553_19
; %bb.14:
	v_cmp_ne_u16_sdwa s[10:11], v34, s8 src0_sel:BYTE_0 src1_sel:DWORD
	v_bfrev_b32_e32 v43, 1
	s_and_saveexec_b64 s[8:9], s[10:11]
	s_cbranch_execz .LBB553_18
; %bb.15:
	s_movk_i32 s10, 0x7f
	v_and_b32_e32 v42, 0x7f, v34
	v_cmp_ne_u32_e32 vcc, s10, v42
	v_mov_b32_e32 v43, 0x7f800001
	s_and_saveexec_b64 s[10:11], vcc
	s_cbranch_execz .LBB553_17
; %bb.16:
	v_and_b32_e32 v43, 7, v34
	v_ffbh_u32_e32 v44, v43
	v_min_u32_e32 v52, 32, v44
	v_subrev_u32_e32 v44, 28, v52
	v_lshlrev_b64 v[44:45], v44, v[34:35]
	v_lshrrev_b32_e32 v51, 3, v42
	v_sub_u32_e32 v45, 29, v52
	v_and_b32_e32 v44, 7, v44
	v_cmp_gt_u32_e32 vcc, 8, v42
	v_cndmask_b32_e32 v42, v51, v45, vcc
	v_cndmask_b32_e32 v43, v43, v44, vcc
	v_lshlrev_b32_e32 v44, 24, v34
	v_bfrev_b32_e32 v45, 60
	v_lshlrev_b32_e32 v43, 20, v43
	v_and_b32_e32 v44, 0x80000000, v44
	v_lshl_add_u32 v42, v42, 23, v45
	v_or3_b32 v43, v44, v42, v43
.LBB553_17:
	s_or_b64 exec, exec, s[10:11]
.LBB553_18:
	s_or_b64 exec, exec, s[8:9]
.LBB553_19:
	s_or_b64 exec, exec, s[2:3]
	v_lshrrev_b16_e32 v42, 8, v34
	v_cmp_ne_u16_e32 vcc, 0, v42
	v_mov_b32_e32 v44, 0
	v_mov_b32_e32 v45, 0
	s_and_saveexec_b64 s[2:3], vcc
	s_cbranch_execz .LBB553_25
; %bb.20:
	s_movk_i32 s8, 0x80
	v_cmp_ne_u16_sdwa s[10:11], v34, s8 src0_sel:BYTE_1 src1_sel:DWORD
	v_bfrev_b32_e32 v45, 1
	s_and_saveexec_b64 s[8:9], s[10:11]
	s_cbranch_execz .LBB553_24
; %bb.21:
	s_movk_i32 s10, 0x7f
	v_and_b32_e32 v51, 0x7f, v42
	v_cmp_ne_u32_e32 vcc, s10, v51
	v_mov_b32_e32 v45, 0x7f800001
	s_and_saveexec_b64 s[10:11], vcc
	s_cbranch_execz .LBB553_23
; %bb.22:
	v_and_b32_e32 v45, 7, v42
	v_ffbh_u32_e32 v52, v45
	v_min_u32_e32 v55, 32, v52
	v_subrev_u32_e32 v52, 28, v55
	v_lshlrev_b64 v[52:53], v52, v[42:43]
	v_lshrrev_b32_e32 v54, 3, v51
	v_sub_u32_e32 v42, 29, v55
	v_and_b32_e32 v52, 7, v52
	v_cmp_gt_u32_e32 vcc, 8, v51
	v_cndmask_b32_e32 v42, v54, v42, vcc
	v_cndmask_b32_e32 v45, v45, v52, vcc
	v_lshlrev_b32_e32 v51, 16, v34
	v_bfrev_b32_e32 v52, 60
	v_lshlrev_b32_e32 v45, 20, v45
	v_and_b32_e32 v51, 0x80000000, v51
	v_lshl_add_u32 v42, v42, 23, v52
	v_or3_b32 v45, v51, v42, v45
.LBB553_23:
	s_or_b64 exec, exec, s[10:11]
.LBB553_24:
	s_or_b64 exec, exec, s[8:9]
.LBB553_25:
	s_or_b64 exec, exec, s[2:3]
	s_movk_i32 s2, 0xff
	v_and_b32_sdwa v51, v34, s2 dst_sel:DWORD dst_unused:UNUSED_PAD src0_sel:WORD_1 src1_sel:DWORD
	v_lshrrev_b32_e32 v42, 16, v34
	v_cmp_ne_u16_e32 vcc, 0, v51
	s_and_saveexec_b64 s[2:3], vcc
	s_cbranch_execz .LBB553_31
; %bb.26:
	s_movk_i32 s8, 0x80
	v_cmp_ne_u16_e32 vcc, s8, v51
	v_bfrev_b32_e32 v44, 1
	s_and_saveexec_b64 s[8:9], vcc
	s_cbranch_execz .LBB553_30
; %bb.27:
	v_bfe_u32 v51, v34, 16, 7
	s_movk_i32 s10, 0x7f
	v_cmp_ne_u32_e32 vcc, s10, v51
	v_mov_b32_e32 v44, 0x7f800001
	s_and_saveexec_b64 s[10:11], vcc
	s_cbranch_execz .LBB553_29
; %bb.28:
	v_and_b32_e32 v44, 7, v42
	v_ffbh_u32_e32 v52, v44
	v_min_u32_e32 v55, 32, v52
	v_subrev_u32_e32 v52, 28, v55
	v_lshlrev_b64 v[52:53], v52, v[42:43]
	v_lshrrev_b32_e32 v54, 3, v51
	v_sub_u32_e32 v42, 29, v55
	v_and_b32_e32 v52, 7, v52
	v_cmp_gt_u32_e32 vcc, 8, v51
	v_mov_b32_e32 v51, 24
	v_cndmask_b32_e32 v42, v54, v42, vcc
	v_cndmask_b32_e32 v44, v44, v52, vcc
	v_lshlrev_b32_sdwa v51, v51, v34 dst_sel:DWORD dst_unused:UNUSED_PAD src0_sel:DWORD src1_sel:WORD_1
	v_bfrev_b32_e32 v52, 60
	v_lshlrev_b32_e32 v44, 20, v44
	v_and_b32_e32 v51, 0x80000000, v51
	v_lshl_add_u32 v42, v42, 23, v52
	v_or3_b32 v44, v51, v42, v44
.LBB553_29:
	s_or_b64 exec, exec, s[10:11]
.LBB553_30:
	s_or_b64 exec, exec, s[8:9]
.LBB553_31:
	s_or_b64 exec, exec, s[2:3]
	s_mov_b32 s2, 0xffffff
	v_cmp_lt_u32_e32 vcc, s2, v34
	v_mov_b32_e32 v52, 0
	v_mov_b32_e32 v53, 0
	s_and_saveexec_b64 s[2:3], vcc
	s_cbranch_execz .LBB553_37
; %bb.32:
	v_lshrrev_b32_e32 v42, 24, v34
	s_movk_i32 s8, 0x80
	v_cmp_ne_u32_e32 vcc, s8, v42
	v_bfrev_b32_e32 v53, 1
	s_and_saveexec_b64 s[8:9], vcc
	s_cbranch_execz .LBB553_36
; %bb.33:
	v_bfe_u32 v34, v34, 24, 7
	s_movk_i32 s10, 0x7f
	v_cmp_ne_u32_e32 vcc, s10, v34
	v_mov_b32_e32 v53, 0x7f800001
	s_and_saveexec_b64 s[10:11], vcc
	s_cbranch_execz .LBB553_35
; %bb.34:
	v_and_b32_e32 v51, 7, v42
	v_ffbh_u32_e32 v54, v51
	v_min_u32_e32 v56, 32, v54
	v_subrev_u32_e32 v54, 28, v56
	v_lshlrev_b64 v[54:55], v54, v[42:43]
	v_lshrrev_b32_e32 v53, 3, v34
	v_sub_u32_e32 v55, 29, v56
	v_and_b32_e32 v54, 7, v54
	v_cmp_gt_u32_e32 vcc, 8, v34
	v_cndmask_b32_e32 v34, v53, v55, vcc
	v_cndmask_b32_e32 v51, v51, v54, vcc
	v_lshlrev_b32_e32 v42, 24, v42
	v_bfrev_b32_e32 v53, 60
	v_lshlrev_b32_e32 v51, 20, v51
	v_and_b32_e32 v42, 0x80000000, v42
	v_lshl_add_u32 v34, v34, 23, v53
	v_or3_b32 v53, v42, v34, v51
.LBB553_35:
	s_or_b64 exec, exec, s[10:11]
.LBB553_36:
	s_or_b64 exec, exec, s[8:9]
.LBB553_37:
	s_or_b64 exec, exec, s[2:3]
	v_cmp_ne_u16_sdwa s[8:9], v35, v52 src0_sel:BYTE_0 src1_sel:DWORD
	s_and_saveexec_b64 s[2:3], s[8:9]
	s_cbranch_execz .LBB553_43
; %bb.38:
	s_movk_i32 s8, 0x80
	v_cmp_ne_u16_sdwa s[10:11], v35, s8 src0_sel:BYTE_0 src1_sel:DWORD
	v_bfrev_b32_e32 v52, 1
	s_and_saveexec_b64 s[8:9], s[10:11]
	s_cbranch_execz .LBB553_42
; %bb.39:
	s_movk_i32 s10, 0x7f
	v_and_b32_e32 v34, 0x7f, v35
	v_cmp_ne_u32_e32 vcc, s10, v34
	v_mov_b32_e32 v52, 0x7f800001
	s_and_saveexec_b64 s[10:11], vcc
	s_cbranch_execz .LBB553_41
; %bb.40:
	v_and_b32_e32 v51, 7, v35
	v_ffbh_u32_e32 v54, v51
	v_min_u32_e32 v56, 32, v54
	v_mov_b32_e32 v42, v35
	v_subrev_u32_e32 v54, 28, v56
	v_lshlrev_b64 v[54:55], v54, v[42:43]
	v_lshrrev_b32_e32 v52, 3, v34
	v_sub_u32_e32 v42, 29, v56
	v_and_b32_e32 v54, 7, v54
	v_cmp_gt_u32_e32 vcc, 8, v34
	v_cndmask_b32_e32 v34, v52, v42, vcc
	v_cndmask_b32_e32 v42, v51, v54, vcc
	v_lshlrev_b32_e32 v51, 24, v35
	v_bfrev_b32_e32 v52, 60
	v_lshlrev_b32_e32 v42, 20, v42
	v_and_b32_e32 v51, 0x80000000, v51
	v_lshl_add_u32 v34, v34, 23, v52
	v_or3_b32 v52, v51, v34, v42
.LBB553_41:
	s_or_b64 exec, exec, s[10:11]
.LBB553_42:
	s_or_b64 exec, exec, s[8:9]
.LBB553_43:
	s_or_b64 exec, exec, s[2:3]
	v_lshrrev_b16_e32 v34, 8, v35
	v_cmp_ne_u16_e32 vcc, 0, v34
	v_mov_b32_e32 v42, 0
	v_mov_b32_e32 v54, 0
	s_and_saveexec_b64 s[2:3], vcc
	s_cbranch_execz .LBB553_49
; %bb.44:
	s_movk_i32 s8, 0x80
	v_cmp_ne_u16_e32 vcc, s8, v34
	v_bfrev_b32_e32 v54, 1
	s_and_saveexec_b64 s[8:9], vcc
	s_cbranch_execz .LBB553_48
; %bb.45:
	s_movk_i32 s10, 0x7f
	v_and_b32_e32 v51, 0x7f, v34
	v_cmp_ne_u32_e32 vcc, s10, v51
	v_mov_b32_e32 v54, 0x7f800001
	s_and_saveexec_b64 s[10:11], vcc
	s_cbranch_execz .LBB553_47
; %bb.46:
	v_and_b32_e32 v56, 7, v34
	v_ffbh_u32_e32 v54, v56
	v_min_u32_e32 v58, 32, v54
	v_subrev_u32_e32 v54, 28, v58
	v_lshlrev_b64 v[54:55], v54, v[34:35]
	v_lshrrev_b32_e32 v57, 3, v51
	v_sub_u32_e32 v34, 29, v58
	v_and_b32_e32 v54, 7, v54
	v_cmp_gt_u32_e32 vcc, 8, v51
	v_cndmask_b32_e32 v34, v57, v34, vcc
	v_cndmask_b32_e32 v51, v56, v54, vcc
	v_lshlrev_b32_e32 v54, 16, v35
	v_bfrev_b32_e32 v55, 60
	v_lshlrev_b32_e32 v51, 20, v51
	v_and_b32_e32 v54, 0x80000000, v54
	v_lshl_add_u32 v34, v34, 23, v55
	v_or3_b32 v54, v54, v34, v51
.LBB553_47:
	s_or_b64 exec, exec, s[10:11]
.LBB553_48:
	s_or_b64 exec, exec, s[8:9]
.LBB553_49:
	s_or_b64 exec, exec, s[2:3]
	s_movk_i32 s2, 0xff
	v_and_b32_sdwa v51, v35, s2 dst_sel:DWORD dst_unused:UNUSED_PAD src0_sel:WORD_1 src1_sel:DWORD
	v_lshrrev_b32_e32 v34, 16, v35
	v_cmp_ne_u16_e32 vcc, 0, v51
	s_and_saveexec_b64 s[2:3], vcc
	s_cbranch_execz .LBB553_55
; %bb.50:
	s_movk_i32 s8, 0x80
	v_cmp_ne_u16_e32 vcc, s8, v51
	v_bfrev_b32_e32 v42, 1
	s_and_saveexec_b64 s[8:9], vcc
	s_cbranch_execz .LBB553_54
; %bb.51:
	v_bfe_u32 v51, v35, 16, 7
	s_movk_i32 s10, 0x7f
	v_cmp_ne_u32_e32 vcc, s10, v51
	v_mov_b32_e32 v42, 0x7f800001
	s_and_saveexec_b64 s[10:11], vcc
	s_cbranch_execz .LBB553_53
; %bb.52:
	v_and_b32_e32 v42, 7, v34
	v_ffbh_u32_e32 v56, v42
	v_min_u32_e32 v58, 32, v56
	v_subrev_u32_e32 v56, 28, v58
	v_lshlrev_b64 v[56:57], v56, v[34:35]
	v_lshrrev_b32_e32 v55, 3, v51
	v_sub_u32_e32 v34, 29, v58
	v_and_b32_e32 v56, 7, v56
	v_cmp_gt_u32_e32 vcc, 8, v51
	v_mov_b32_e32 v51, 24
	v_cndmask_b32_e32 v34, v55, v34, vcc
	v_cndmask_b32_e32 v42, v42, v56, vcc
	v_lshlrev_b32_sdwa v51, v51, v35 dst_sel:DWORD dst_unused:UNUSED_PAD src0_sel:DWORD src1_sel:WORD_1
	v_bfrev_b32_e32 v55, 60
	v_lshlrev_b32_e32 v42, 20, v42
	v_and_b32_e32 v51, 0x80000000, v51
	v_lshl_add_u32 v34, v34, 23, v55
	v_or3_b32 v42, v51, v34, v42
.LBB553_53:
	s_or_b64 exec, exec, s[10:11]
.LBB553_54:
	s_or_b64 exec, exec, s[8:9]
.LBB553_55:
	s_or_b64 exec, exec, s[2:3]
	s_mov_b32 s2, 0xffffff
	v_cmp_lt_u32_e32 vcc, s2, v35
	v_mov_b32_e32 v51, 0
	v_mov_b32_e32 v55, 0
	s_and_saveexec_b64 s[2:3], vcc
	s_cbranch_execz .LBB553_61
; %bb.56:
	v_lshrrev_b32_e32 v34, 24, v35
	s_movk_i32 s8, 0x80
	v_cmp_ne_u32_e32 vcc, s8, v34
	v_bfrev_b32_e32 v55, 1
	s_and_saveexec_b64 s[8:9], vcc
	s_cbranch_execz .LBB553_60
; %bb.57:
	v_bfe_u32 v35, v35, 24, 7
	s_movk_i32 s10, 0x7f
	v_cmp_ne_u32_e32 vcc, s10, v35
	v_mov_b32_e32 v55, 0x7f800001
	s_and_saveexec_b64 s[10:11], vcc
	s_cbranch_execz .LBB553_59
; %bb.58:
	v_and_b32_e32 v55, 7, v34
	v_ffbh_u32_e32 v56, v55
	v_min_u32_e32 v59, 32, v56
	v_subrev_u32_e32 v56, 28, v59
	v_lshlrev_b64 v[56:57], v56, v[34:35]
	v_lshrrev_b32_e32 v58, 3, v35
	v_sub_u32_e32 v57, 29, v59
	v_and_b32_e32 v56, 7, v56
	v_cmp_gt_u32_e32 vcc, 8, v35
	v_cndmask_b32_e32 v35, v58, v57, vcc
	v_cndmask_b32_e32 v55, v55, v56, vcc
	v_lshlrev_b32_e32 v34, 24, v34
	v_bfrev_b32_e32 v56, 60
	v_lshlrev_b32_e32 v55, 20, v55
	v_and_b32_e32 v34, 0x80000000, v34
	v_lshl_add_u32 v35, v35, 23, v56
	v_or3_b32 v55, v34, v35, v55
.LBB553_59:
	s_or_b64 exec, exec, s[10:11]
.LBB553_60:
	s_or_b64 exec, exec, s[8:9]
.LBB553_61:
	s_or_b64 exec, exec, s[2:3]
	v_cvt_pkrtz_f16_f32 v34, v43, v45
	v_cvt_pkrtz_f16_f32 v35, v44, v53
	v_cmp_ne_u16_sdwa s[8:9], v36, v51 src0_sel:BYTE_0 src1_sel:DWORD
	s_nop 0
	v_mfma_f32_16x16x16f16 v[56:59], v[34:35], v[26:27], 0
	v_cvt_pkrtz_f16_f32 v34, v52, v54
	v_cvt_pkrtz_f16_f32 v35, v42, v55
	s_nop 1
	v_mfma_f32_16x16x16f16 v[42:45], v[34:35], v[28:29], v[56:59]
	s_and_saveexec_b64 s[2:3], s[8:9]
	s_cbranch_execz .LBB553_67
; %bb.62:
	s_movk_i32 s8, 0x80
	v_cmp_ne_u16_sdwa s[10:11], v36, s8 src0_sel:BYTE_0 src1_sel:DWORD
	v_bfrev_b32_e32 v51, 1
	s_and_saveexec_b64 s[8:9], s[10:11]
	s_cbranch_execz .LBB553_66
; %bb.63:
	s_movk_i32 s10, 0x7f
	v_and_b32_e32 v34, 0x7f, v36
	v_cmp_ne_u32_e32 vcc, s10, v34
	v_mov_b32_e32 v51, 0x7f800001
	s_and_saveexec_b64 s[10:11], vcc
	s_cbranch_execz .LBB553_65
; %bb.64:
	v_and_b32_e32 v35, 7, v36
	v_ffbh_u32_e32 v52, v35
	v_min_u32_e32 v54, 32, v52
	v_subrev_u32_e32 v52, 28, v54
	v_lshlrev_b64 v[52:53], v52, v[36:37]
	v_lshrrev_b32_e32 v51, 3, v34
	v_sub_u32_e32 v53, 29, v54
	v_and_b32_e32 v52, 7, v52
	v_cmp_gt_u32_e32 vcc, 8, v34
	v_cndmask_b32_e32 v34, v51, v53, vcc
	v_cndmask_b32_e32 v35, v35, v52, vcc
	v_lshlrev_b32_e32 v51, 24, v36
	v_bfrev_b32_e32 v52, 60
	v_lshlrev_b32_e32 v35, 20, v35
	v_and_b32_e32 v51, 0x80000000, v51
	v_lshl_add_u32 v34, v34, 23, v52
	v_or3_b32 v51, v51, v34, v35
.LBB553_65:
	s_or_b64 exec, exec, s[10:11]
.LBB553_66:
	s_or_b64 exec, exec, s[8:9]
.LBB553_67:
	s_or_b64 exec, exec, s[2:3]
	v_lshrrev_b16_e32 v34, 8, v36
	v_cmp_ne_u16_e32 vcc, 0, v34
	v_mov_b32_e32 v35, 0
	v_mov_b32_e32 v53, 0
	s_and_saveexec_b64 s[2:3], vcc
	s_cbranch_execz .LBB553_73
; %bb.68:
	s_movk_i32 s8, 0x80
	v_cmp_ne_u16_e32 vcc, s8, v34
	v_bfrev_b32_e32 v53, 1
	s_and_saveexec_b64 s[8:9], vcc
	s_cbranch_execz .LBB553_72
; %bb.69:
	s_movk_i32 s10, 0x7f
	v_and_b32_e32 v52, 0x7f, v34
	v_cmp_ne_u32_e32 vcc, s10, v52
	v_mov_b32_e32 v53, 0x7f800001
	s_and_saveexec_b64 s[10:11], vcc
	s_cbranch_execz .LBB553_71
; %bb.70:
	v_and_b32_e32 v53, 7, v34
	v_ffbh_u32_e32 v54, v53
	v_min_u32_e32 v57, 32, v54
	v_subrev_u32_e32 v54, 28, v57
	v_lshlrev_b64 v[54:55], v54, v[34:35]
	v_lshrrev_b32_e32 v56, 3, v52
	v_sub_u32_e32 v34, 29, v57
	v_and_b32_e32 v54, 7, v54
	v_cmp_gt_u32_e32 vcc, 8, v52
	v_cndmask_b32_e32 v34, v56, v34, vcc
	v_cndmask_b32_e32 v52, v53, v54, vcc
	v_lshlrev_b32_e32 v53, 16, v36
	v_bfrev_b32_e32 v54, 60
	v_lshlrev_b32_e32 v52, 20, v52
	v_and_b32_e32 v53, 0x80000000, v53
	v_lshl_add_u32 v34, v34, 23, v54
	v_or3_b32 v53, v53, v34, v52
.LBB553_71:
	s_or_b64 exec, exec, s[10:11]
.LBB553_72:
	s_or_b64 exec, exec, s[8:9]
.LBB553_73:
	s_or_b64 exec, exec, s[2:3]
	s_movk_i32 s2, 0xff
	v_and_b32_sdwa v52, v36, s2 dst_sel:DWORD dst_unused:UNUSED_PAD src0_sel:WORD_1 src1_sel:DWORD
	v_lshrrev_b32_e32 v34, 16, v36
	v_cmp_ne_u16_e32 vcc, 0, v52
	s_and_saveexec_b64 s[2:3], vcc
	s_cbranch_execz .LBB553_79
; %bb.74:
	s_movk_i32 s8, 0x80
	v_cmp_ne_u16_e32 vcc, s8, v52
	v_bfrev_b32_e32 v35, 1
	s_and_saveexec_b64 s[8:9], vcc
	s_cbranch_execz .LBB553_78
; %bb.75:
	v_bfe_u32 v52, v36, 16, 7
	s_movk_i32 s10, 0x7f
	v_cmp_ne_u32_e32 vcc, s10, v52
	v_mov_b32_e32 v35, 0x7f800001
	s_and_saveexec_b64 s[10:11], vcc
	s_cbranch_execz .LBB553_77
; %bb.76:
	v_and_b32_e32 v54, 7, v34
	v_ffbh_u32_e32 v35, v54
	v_min_u32_e32 v56, 32, v35
	v_subrev_u32_e32 v35, 28, v56
	v_lshlrev_b64 v[34:35], v35, v[34:35]
	v_lshrrev_b32_e32 v55, 3, v52
	v_sub_u32_e32 v35, 29, v56
	v_and_b32_e32 v34, 7, v34
	v_cmp_gt_u32_e32 vcc, 8, v52
	v_mov_b32_e32 v52, 24
	v_cndmask_b32_e32 v35, v55, v35, vcc
	v_cndmask_b32_e32 v34, v54, v34, vcc
	v_lshlrev_b32_sdwa v52, v52, v36 dst_sel:DWORD dst_unused:UNUSED_PAD src0_sel:DWORD src1_sel:WORD_1
	v_bfrev_b32_e32 v54, 60
	v_lshlrev_b32_e32 v34, 20, v34
	v_and_b32_e32 v52, 0x80000000, v52
	v_lshl_add_u32 v35, v35, 23, v54
	v_or3_b32 v35, v52, v35, v34
.LBB553_77:
	s_or_b64 exec, exec, s[10:11]
.LBB553_78:
	s_or_b64 exec, exec, s[8:9]
.LBB553_79:
	s_or_b64 exec, exec, s[2:3]
	s_mov_b32 s2, 0xffffff
	v_cmp_lt_u32_e32 vcc, s2, v36
	v_mov_b32_e32 v54, 0
	v_mov_b32_e32 v55, 0
	s_and_saveexec_b64 s[2:3], vcc
	s_cbranch_execz .LBB553_85
; %bb.80:
	v_lshrrev_b32_e32 v34, 24, v36
	s_movk_i32 s8, 0x80
	v_cmp_ne_u32_e32 vcc, s8, v34
	v_bfrev_b32_e32 v55, 1
	s_and_saveexec_b64 s[8:9], vcc
	s_cbranch_execz .LBB553_84
; %bb.81:
	v_bfe_u32 v36, v36, 24, 7
	s_movk_i32 s10, 0x7f
	v_cmp_ne_u32_e32 vcc, s10, v36
	v_mov_b32_e32 v55, 0x7f800001
	s_and_saveexec_b64 s[10:11], vcc
	s_cbranch_execz .LBB553_83
; %bb.82:
	v_and_b32_e32 v52, 7, v34
	v_ffbh_u32_e32 v56, v52
	v_min_u32_e32 v58, 32, v56
	v_subrev_u32_e32 v56, 28, v58
	v_lshlrev_b64 v[56:57], v56, v[34:35]
	v_lshrrev_b32_e32 v55, 3, v36
	v_sub_u32_e32 v57, 29, v58
	v_and_b32_e32 v56, 7, v56
	v_cmp_gt_u32_e32 vcc, 8, v36
	v_cndmask_b32_e32 v36, v55, v57, vcc
	v_cndmask_b32_e32 v52, v52, v56, vcc
	v_lshlrev_b32_e32 v34, 24, v34
	v_bfrev_b32_e32 v55, 60
	v_lshlrev_b32_e32 v52, 20, v52
	v_and_b32_e32 v34, 0x80000000, v34
	v_lshl_add_u32 v36, v36, 23, v55
	v_or3_b32 v55, v34, v36, v52
.LBB553_83:
	s_or_b64 exec, exec, s[10:11]
.LBB553_84:
	s_or_b64 exec, exec, s[8:9]
.LBB553_85:
	s_or_b64 exec, exec, s[2:3]
	v_cmp_ne_u16_sdwa s[8:9], v37, v54 src0_sel:BYTE_0 src1_sel:DWORD
	s_and_saveexec_b64 s[2:3], s[8:9]
	s_cbranch_execz .LBB553_91
; %bb.86:
	s_movk_i32 s8, 0x80
	v_cmp_ne_u16_sdwa s[10:11], v37, s8 src0_sel:BYTE_0 src1_sel:DWORD
	v_bfrev_b32_e32 v54, 1
	s_and_saveexec_b64 s[8:9], s[10:11]
	s_cbranch_execz .LBB553_90
; %bb.87:
	s_movk_i32 s10, 0x7f
	v_and_b32_e32 v34, 0x7f, v37
	v_cmp_ne_u32_e32 vcc, s10, v34
	v_mov_b32_e32 v54, 0x7f800001
	s_and_saveexec_b64 s[10:11], vcc
	s_cbranch_execz .LBB553_89
; %bb.88:
	v_and_b32_e32 v52, 7, v37
	v_ffbh_u32_e32 v56, v52
	v_min_u32_e32 v58, 32, v56
	v_mov_b32_e32 v36, v37
	v_subrev_u32_e32 v56, 28, v58
	v_lshlrev_b64 v[56:57], v56, v[36:37]
	v_lshrrev_b32_e32 v54, 3, v34
	v_sub_u32_e32 v36, 29, v58
	v_and_b32_e32 v56, 7, v56
	v_cmp_gt_u32_e32 vcc, 8, v34
	v_cndmask_b32_e32 v34, v54, v36, vcc
	v_cndmask_b32_e32 v36, v52, v56, vcc
	v_lshlrev_b32_e32 v52, 24, v37
	v_bfrev_b32_e32 v54, 60
	v_lshlrev_b32_e32 v36, 20, v36
	v_and_b32_e32 v52, 0x80000000, v52
	v_lshl_add_u32 v34, v34, 23, v54
	v_or3_b32 v54, v52, v34, v36
.LBB553_89:
	s_or_b64 exec, exec, s[10:11]
.LBB553_90:
	s_or_b64 exec, exec, s[8:9]
.LBB553_91:
	s_or_b64 exec, exec, s[2:3]
	v_lshrrev_b16_e32 v34, 8, v37
	v_cmp_ne_u16_e32 vcc, 0, v34
	v_mov_b32_e32 v36, 0
	v_mov_b32_e32 v56, 0
	s_and_saveexec_b64 s[2:3], vcc
	s_cbranch_execz .LBB553_97
; %bb.92:
	s_movk_i32 s8, 0x80
	v_cmp_ne_u16_e32 vcc, s8, v34
	v_bfrev_b32_e32 v56, 1
	s_and_saveexec_b64 s[8:9], vcc
	s_cbranch_execz .LBB553_96
; %bb.93:
	s_movk_i32 s10, 0x7f
	v_and_b32_e32 v52, 0x7f, v34
	v_cmp_ne_u32_e32 vcc, s10, v52
	v_mov_b32_e32 v56, 0x7f800001
	s_and_saveexec_b64 s[10:11], vcc
	s_cbranch_execz .LBB553_95
; %bb.94:
	v_and_b32_e32 v58, 7, v34
	v_ffbh_u32_e32 v56, v58
	v_min_u32_e32 v60, 32, v56
	v_subrev_u32_e32 v56, 28, v60
	v_lshlrev_b64 v[56:57], v56, v[34:35]
	v_lshrrev_b32_e32 v59, 3, v52
	v_sub_u32_e32 v34, 29, v60
	v_and_b32_e32 v56, 7, v56
	v_cmp_gt_u32_e32 vcc, 8, v52
	v_cndmask_b32_e32 v34, v59, v34, vcc
	v_cndmask_b32_e32 v52, v58, v56, vcc
	v_lshlrev_b32_e32 v56, 16, v37
	v_bfrev_b32_e32 v57, 60
	v_lshlrev_b32_e32 v52, 20, v52
	v_and_b32_e32 v56, 0x80000000, v56
	v_lshl_add_u32 v34, v34, 23, v57
	v_or3_b32 v56, v56, v34, v52
.LBB553_95:
	s_or_b64 exec, exec, s[10:11]
.LBB553_96:
	s_or_b64 exec, exec, s[8:9]
.LBB553_97:
	s_or_b64 exec, exec, s[2:3]
	s_movk_i32 s2, 0xff
	v_and_b32_sdwa v52, v37, s2 dst_sel:DWORD dst_unused:UNUSED_PAD src0_sel:WORD_1 src1_sel:DWORD
	v_lshrrev_b32_e32 v34, 16, v37
	v_cmp_ne_u16_e32 vcc, 0, v52
	s_and_saveexec_b64 s[2:3], vcc
	s_cbranch_execz .LBB553_103
; %bb.98:
	s_movk_i32 s8, 0x80
	v_cmp_ne_u16_e32 vcc, s8, v52
	v_bfrev_b32_e32 v36, 1
	s_and_saveexec_b64 s[8:9], vcc
	s_cbranch_execz .LBB553_102
; %bb.99:
	v_bfe_u32 v52, v37, 16, 7
	s_movk_i32 s10, 0x7f
	v_cmp_ne_u32_e32 vcc, s10, v52
	v_mov_b32_e32 v36, 0x7f800001
	s_and_saveexec_b64 s[10:11], vcc
	s_cbranch_execz .LBB553_101
; %bb.100:
	v_and_b32_e32 v36, 7, v34
	v_ffbh_u32_e32 v58, v36
	v_min_u32_e32 v60, 32, v58
	v_subrev_u32_e32 v58, 28, v60
	v_lshlrev_b64 v[58:59], v58, v[34:35]
	v_lshrrev_b32_e32 v57, 3, v52
	v_sub_u32_e32 v34, 29, v60
	v_and_b32_e32 v58, 7, v58
	v_cmp_gt_u32_e32 vcc, 8, v52
	v_mov_b32_e32 v52, 24
	v_cndmask_b32_e32 v34, v57, v34, vcc
	v_cndmask_b32_e32 v36, v36, v58, vcc
	v_lshlrev_b32_sdwa v52, v52, v37 dst_sel:DWORD dst_unused:UNUSED_PAD src0_sel:DWORD src1_sel:WORD_1
	v_bfrev_b32_e32 v57, 60
	v_lshlrev_b32_e32 v36, 20, v36
	v_and_b32_e32 v52, 0x80000000, v52
	v_lshl_add_u32 v34, v34, 23, v57
	v_or3_b32 v36, v52, v34, v36
.LBB553_101:
	s_or_b64 exec, exec, s[10:11]
.LBB553_102:
	s_or_b64 exec, exec, s[8:9]
.LBB553_103:
	s_or_b64 exec, exec, s[2:3]
	s_mov_b32 s2, 0xffffff
	v_cmp_lt_u32_e32 vcc, s2, v37
	v_mov_b32_e32 v52, 0
	v_mov_b32_e32 v57, 0
	s_and_saveexec_b64 s[2:3], vcc
	s_cbranch_execz .LBB553_109
; %bb.104:
	v_lshrrev_b32_e32 v34, 24, v37
	s_movk_i32 s8, 0x80
	v_cmp_ne_u32_e32 vcc, s8, v34
	v_bfrev_b32_e32 v57, 1
	s_and_saveexec_b64 s[8:9], vcc
	s_cbranch_execz .LBB553_108
; %bb.105:
	v_bfe_u32 v37, v37, 24, 7
	s_movk_i32 s10, 0x7f
	v_cmp_ne_u32_e32 vcc, s10, v37
	v_mov_b32_e32 v57, 0x7f800001
	s_and_saveexec_b64 s[10:11], vcc
	s_cbranch_execz .LBB553_107
; %bb.106:
	v_and_b32_e32 v57, 7, v34
	v_ffbh_u32_e32 v58, v57
	v_min_u32_e32 v61, 32, v58
	v_subrev_u32_e32 v58, 28, v61
	v_lshlrev_b64 v[58:59], v58, v[34:35]
	v_lshrrev_b32_e32 v60, 3, v37
	v_sub_u32_e32 v59, 29, v61
	v_and_b32_e32 v58, 7, v58
	v_cmp_gt_u32_e32 vcc, 8, v37
	v_cndmask_b32_e32 v37, v60, v59, vcc
	v_cndmask_b32_e32 v57, v57, v58, vcc
	v_lshlrev_b32_e32 v34, 24, v34
	v_bfrev_b32_e32 v58, 60
	v_lshlrev_b32_e32 v57, 20, v57
	v_and_b32_e32 v34, 0x80000000, v34
	v_lshl_add_u32 v37, v37, 23, v58
	v_or3_b32 v57, v34, v37, v57
.LBB553_107:
	s_or_b64 exec, exec, s[10:11]
.LBB553_108:
	s_or_b64 exec, exec, s[8:9]
.LBB553_109:
	s_or_b64 exec, exec, s[2:3]
	v_cvt_pkrtz_f16_f32 v34, v51, v53
	v_cvt_pkrtz_f16_f32 v35, v35, v55
	v_cmp_ne_u16_sdwa s[8:9], v38, v52 src0_sel:BYTE_0 src1_sel:DWORD
	s_nop 0
	v_mfma_f32_16x16x16f16 v[42:45], v[34:35], v[18:19], v[42:45]
	v_cvt_pkrtz_f16_f32 v34, v54, v56
	v_cvt_pkrtz_f16_f32 v35, v36, v57
	s_nop 1
	v_mfma_f32_16x16x16f16 v[34:37], v[34:35], v[20:21], v[42:45]
	s_and_saveexec_b64 s[2:3], s[8:9]
	s_cbranch_execz .LBB553_115
; %bb.110:
	s_movk_i32 s8, 0x80
	v_cmp_ne_u16_sdwa s[10:11], v38, s8 src0_sel:BYTE_0 src1_sel:DWORD
	v_bfrev_b32_e32 v52, 1
	s_and_saveexec_b64 s[8:9], s[10:11]
	s_cbranch_execz .LBB553_114
; %bb.111:
	s_movk_i32 s10, 0x7f
	v_and_b32_e32 v42, 0x7f, v38
	v_cmp_ne_u32_e32 vcc, s10, v42
	v_mov_b32_e32 v52, 0x7f800001
	s_and_saveexec_b64 s[10:11], vcc
	s_cbranch_execz .LBB553_113
; %bb.112:
	v_and_b32_e32 v43, 7, v38
	v_ffbh_u32_e32 v44, v43
	v_min_u32_e32 v52, 32, v44
	v_subrev_u32_e32 v44, 28, v52
	v_lshlrev_b64 v[44:45], v44, v[38:39]
	v_lshrrev_b32_e32 v51, 3, v42
	v_sub_u32_e32 v45, 29, v52
	v_and_b32_e32 v44, 7, v44
	v_cmp_gt_u32_e32 vcc, 8, v42
	v_cndmask_b32_e32 v42, v51, v45, vcc
	v_cndmask_b32_e32 v43, v43, v44, vcc
	v_lshlrev_b32_e32 v44, 24, v38
	v_bfrev_b32_e32 v45, 60
	v_lshlrev_b32_e32 v43, 20, v43
	v_and_b32_e32 v44, 0x80000000, v44
	v_lshl_add_u32 v42, v42, 23, v45
	v_or3_b32 v52, v44, v42, v43
.LBB553_113:
	s_or_b64 exec, exec, s[10:11]
.LBB553_114:
	s_or_b64 exec, exec, s[8:9]
.LBB553_115:
	s_or_b64 exec, exec, s[2:3]
	s_nop 3
	v_lshrrev_b16_e32 v42, 8, v38
	v_cmp_ne_u16_e32 vcc, 0, v42
	v_mov_b32_e32 v43, 0
	v_mov_b32_e32 v44, 0
	s_and_saveexec_b64 s[2:3], vcc
	s_cbranch_execz .LBB553_121
; %bb.116:
	s_movk_i32 s8, 0x80
	v_cmp_ne_u16_e32 vcc, s8, v42
	v_bfrev_b32_e32 v44, 1
	s_and_saveexec_b64 s[8:9], vcc
	s_cbranch_execz .LBB553_120
; %bb.117:
	s_movk_i32 s10, 0x7f
	v_and_b32_e32 v45, 0x7f, v42
	v_cmp_ne_u32_e32 vcc, s10, v45
	v_mov_b32_e32 v44, 0x7f800001
	s_and_saveexec_b64 s[10:11], vcc
	s_cbranch_execz .LBB553_119
; %bb.118:
	v_and_b32_e32 v44, 7, v42
	v_ffbh_u32_e32 v53, v44
	v_min_u32_e32 v53, 32, v53
	v_subrev_u32_e32 v54, 28, v53
	v_lshlrev_b64 v[54:55], v54, v[42:43]
	v_lshrrev_b32_e32 v51, 3, v45
	v_sub_u32_e32 v42, 29, v53
	v_and_b32_e32 v53, 7, v54
	v_cmp_gt_u32_e32 vcc, 8, v45
	v_cndmask_b32_e32 v42, v51, v42, vcc
	v_cndmask_b32_e32 v44, v44, v53, vcc
	v_lshlrev_b32_e32 v45, 16, v38
	v_bfrev_b32_e32 v51, 60
	v_lshlrev_b32_e32 v44, 20, v44
	v_and_b32_e32 v45, 0x80000000, v45
	v_lshl_add_u32 v42, v42, 23, v51
	v_or3_b32 v44, v45, v42, v44
.LBB553_119:
	s_or_b64 exec, exec, s[10:11]
.LBB553_120:
	s_or_b64 exec, exec, s[8:9]
.LBB553_121:
	s_or_b64 exec, exec, s[2:3]
	s_movk_i32 s2, 0xff
	v_and_b32_sdwa v45, v38, s2 dst_sel:DWORD dst_unused:UNUSED_PAD src0_sel:WORD_1 src1_sel:DWORD
	v_lshrrev_b32_e32 v42, 16, v38
	v_cmp_ne_u16_e32 vcc, 0, v45
	s_and_saveexec_b64 s[2:3], vcc
	s_cbranch_execz .LBB553_127
; %bb.122:
	s_movk_i32 s8, 0x80
	v_cmp_ne_u16_e32 vcc, s8, v45
	v_bfrev_b32_e32 v43, 1
	s_and_saveexec_b64 s[8:9], vcc
	s_cbranch_execz .LBB553_126
; %bb.123:
	v_bfe_u32 v45, v38, 16, 7
	s_movk_i32 s10, 0x7f
	v_cmp_ne_u32_e32 vcc, s10, v45
	v_mov_b32_e32 v43, 0x7f800001
	s_and_saveexec_b64 s[10:11], vcc
	s_cbranch_execz .LBB553_125
; %bb.124:
	v_and_b32_e32 v51, 7, v42
	v_ffbh_u32_e32 v43, v51
	v_min_u32_e32 v54, 32, v43
	v_subrev_u32_e32 v43, 28, v54
	v_lshlrev_b64 v[42:43], v43, v[42:43]
	v_lshrrev_b32_e32 v53, 3, v45
	v_sub_u32_e32 v43, 29, v54
	v_and_b32_e32 v42, 7, v42
	v_cmp_gt_u32_e32 vcc, 8, v45
	v_mov_b32_e32 v45, 24
	v_cndmask_b32_e32 v43, v53, v43, vcc
	v_cndmask_b32_e32 v42, v51, v42, vcc
	v_lshlrev_b32_sdwa v45, v45, v38 dst_sel:DWORD dst_unused:UNUSED_PAD src0_sel:DWORD src1_sel:WORD_1
	v_bfrev_b32_e32 v51, 60
	v_lshlrev_b32_e32 v42, 20, v42
	v_and_b32_e32 v45, 0x80000000, v45
	v_lshl_add_u32 v43, v43, 23, v51
	v_or3_b32 v43, v45, v43, v42
.LBB553_125:
	s_or_b64 exec, exec, s[10:11]
.LBB553_126:
	s_or_b64 exec, exec, s[8:9]
.LBB553_127:
	s_or_b64 exec, exec, s[2:3]
	s_mov_b32 s2, 0xffffff
	v_cmp_lt_u32_e32 vcc, s2, v38
	v_mov_b32_e32 v45, 0
	v_mov_b32_e32 v53, 0
	s_and_saveexec_b64 s[2:3], vcc
	s_cbranch_execz .LBB553_133
; %bb.128:
	v_lshrrev_b32_e32 v42, 24, v38
	s_movk_i32 s8, 0x80
	v_cmp_ne_u32_e32 vcc, s8, v42
	v_bfrev_b32_e32 v53, 1
	s_and_saveexec_b64 s[8:9], vcc
	s_cbranch_execz .LBB553_132
; %bb.129:
	v_bfe_u32 v38, v38, 24, 7
	s_movk_i32 s10, 0x7f
	v_cmp_ne_u32_e32 vcc, s10, v38
	v_mov_b32_e32 v53, 0x7f800001
	s_and_saveexec_b64 s[10:11], vcc
	s_cbranch_execz .LBB553_131
; %bb.130:
	v_and_b32_e32 v51, 7, v42
	v_ffbh_u32_e32 v54, v51
	v_min_u32_e32 v56, 32, v54
	v_subrev_u32_e32 v54, 28, v56
	v_lshlrev_b64 v[54:55], v54, v[42:43]
	v_lshrrev_b32_e32 v53, 3, v38
	v_sub_u32_e32 v55, 29, v56
	v_and_b32_e32 v54, 7, v54
	v_cmp_gt_u32_e32 vcc, 8, v38
	v_cndmask_b32_e32 v38, v53, v55, vcc
	v_cndmask_b32_e32 v51, v51, v54, vcc
	v_lshlrev_b32_e32 v42, 24, v42
	v_bfrev_b32_e32 v53, 60
	v_lshlrev_b32_e32 v51, 20, v51
	v_and_b32_e32 v42, 0x80000000, v42
	v_lshl_add_u32 v38, v38, 23, v53
	v_or3_b32 v53, v42, v38, v51
.LBB553_131:
	s_or_b64 exec, exec, s[10:11]
.LBB553_132:
	s_or_b64 exec, exec, s[8:9]
.LBB553_133:
	s_or_b64 exec, exec, s[2:3]
	v_cmp_ne_u16_sdwa s[8:9], v39, v45 src0_sel:BYTE_0 src1_sel:DWORD
	s_and_saveexec_b64 s[2:3], s[8:9]
	s_cbranch_execz .LBB553_139
; %bb.134:
	s_movk_i32 s8, 0x80
	v_cmp_ne_u16_sdwa s[10:11], v39, s8 src0_sel:BYTE_0 src1_sel:DWORD
	v_bfrev_b32_e32 v45, 1
	s_and_saveexec_b64 s[8:9], s[10:11]
	s_cbranch_execz .LBB553_138
; %bb.135:
	s_movk_i32 s10, 0x7f
	v_and_b32_e32 v38, 0x7f, v39
	v_cmp_ne_u32_e32 vcc, s10, v38
	v_mov_b32_e32 v45, 0x7f800001
	s_and_saveexec_b64 s[10:11], vcc
	s_cbranch_execz .LBB553_137
; %bb.136:
	v_and_b32_e32 v45, 7, v39
	v_ffbh_u32_e32 v54, v45
	v_min_u32_e32 v56, 32, v54
	v_mov_b32_e32 v42, v39
	v_subrev_u32_e32 v54, 28, v56
	v_lshlrev_b64 v[54:55], v54, v[42:43]
	v_lshrrev_b32_e32 v51, 3, v38
	v_sub_u32_e32 v42, 29, v56
	v_and_b32_e32 v54, 7, v54
	v_cmp_gt_u32_e32 vcc, 8, v38
	v_cndmask_b32_e32 v38, v51, v42, vcc
	v_cndmask_b32_e32 v42, v45, v54, vcc
	v_lshlrev_b32_e32 v45, 24, v39
	v_bfrev_b32_e32 v51, 60
	v_lshlrev_b32_e32 v42, 20, v42
	v_and_b32_e32 v45, 0x80000000, v45
	v_lshl_add_u32 v38, v38, 23, v51
	v_or3_b32 v45, v45, v38, v42
.LBB553_137:
	s_or_b64 exec, exec, s[10:11]
.LBB553_138:
	s_or_b64 exec, exec, s[8:9]
.LBB553_139:
	s_or_b64 exec, exec, s[2:3]
	v_lshrrev_b16_e32 v38, 8, v39
	v_cmp_ne_u16_e32 vcc, 0, v38
	v_mov_b32_e32 v42, 0
	v_mov_b32_e32 v54, 0
	s_and_saveexec_b64 s[2:3], vcc
	s_cbranch_execz .LBB553_145
; %bb.140:
	s_movk_i32 s8, 0x80
	v_cmp_ne_u16_e32 vcc, s8, v38
	v_bfrev_b32_e32 v54, 1
	s_and_saveexec_b64 s[8:9], vcc
	s_cbranch_execz .LBB553_144
; %bb.141:
	s_movk_i32 s10, 0x7f
	v_and_b32_e32 v51, 0x7f, v38
	v_cmp_ne_u32_e32 vcc, s10, v51
	v_mov_b32_e32 v54, 0x7f800001
	s_and_saveexec_b64 s[10:11], vcc
	s_cbranch_execz .LBB553_143
; %bb.142:
	v_and_b32_e32 v56, 7, v38
	v_ffbh_u32_e32 v54, v56
	v_min_u32_e32 v58, 32, v54
	v_subrev_u32_e32 v54, 28, v58
	v_lshlrev_b64 v[54:55], v54, v[38:39]
	v_lshrrev_b32_e32 v57, 3, v51
	v_sub_u32_e32 v38, 29, v58
	v_and_b32_e32 v54, 7, v54
	v_cmp_gt_u32_e32 vcc, 8, v51
	v_cndmask_b32_e32 v38, v57, v38, vcc
	v_cndmask_b32_e32 v51, v56, v54, vcc
	v_lshlrev_b32_e32 v54, 16, v39
	v_bfrev_b32_e32 v55, 60
	v_lshlrev_b32_e32 v51, 20, v51
	v_and_b32_e32 v54, 0x80000000, v54
	v_lshl_add_u32 v38, v38, 23, v55
	v_or3_b32 v54, v54, v38, v51
.LBB553_143:
	s_or_b64 exec, exec, s[10:11]
.LBB553_144:
	s_or_b64 exec, exec, s[8:9]
.LBB553_145:
	s_or_b64 exec, exec, s[2:3]
	s_movk_i32 s2, 0xff
	v_and_b32_sdwa v51, v39, s2 dst_sel:DWORD dst_unused:UNUSED_PAD src0_sel:WORD_1 src1_sel:DWORD
	v_lshrrev_b32_e32 v38, 16, v39
	v_cmp_ne_u16_e32 vcc, 0, v51
	s_and_saveexec_b64 s[2:3], vcc
	s_cbranch_execz .LBB553_151
; %bb.146:
	s_movk_i32 s8, 0x80
	v_cmp_ne_u16_e32 vcc, s8, v51
	v_bfrev_b32_e32 v42, 1
	s_and_saveexec_b64 s[8:9], vcc
	s_cbranch_execz .LBB553_150
; %bb.147:
	v_bfe_u32 v51, v39, 16, 7
	s_movk_i32 s10, 0x7f
	v_cmp_ne_u32_e32 vcc, s10, v51
	v_mov_b32_e32 v42, 0x7f800001
	s_and_saveexec_b64 s[10:11], vcc
	s_cbranch_execz .LBB553_149
; %bb.148:
	v_and_b32_e32 v42, 7, v38
	v_ffbh_u32_e32 v56, v42
	v_min_u32_e32 v58, 32, v56
	v_subrev_u32_e32 v56, 28, v58
	v_lshlrev_b64 v[56:57], v56, v[38:39]
	v_lshrrev_b32_e32 v55, 3, v51
	v_sub_u32_e32 v38, 29, v58
	v_and_b32_e32 v56, 7, v56
	v_cmp_gt_u32_e32 vcc, 8, v51
	v_mov_b32_e32 v51, 24
	v_cndmask_b32_e32 v38, v55, v38, vcc
	v_cndmask_b32_e32 v42, v42, v56, vcc
	v_lshlrev_b32_sdwa v51, v51, v39 dst_sel:DWORD dst_unused:UNUSED_PAD src0_sel:DWORD src1_sel:WORD_1
	v_bfrev_b32_e32 v55, 60
	v_lshlrev_b32_e32 v42, 20, v42
	v_and_b32_e32 v51, 0x80000000, v51
	v_lshl_add_u32 v38, v38, 23, v55
	v_or3_b32 v42, v51, v38, v42
.LBB553_149:
	s_or_b64 exec, exec, s[10:11]
.LBB553_150:
	s_or_b64 exec, exec, s[8:9]
.LBB553_151:
	s_or_b64 exec, exec, s[2:3]
	s_mov_b32 s2, 0xffffff
	v_cmp_lt_u32_e32 vcc, s2, v39
	v_mov_b32_e32 v51, 0
	v_mov_b32_e32 v55, 0
	s_and_saveexec_b64 s[2:3], vcc
	s_cbranch_execz .LBB553_157
; %bb.152:
	v_lshrrev_b32_e32 v38, 24, v39
	s_movk_i32 s8, 0x80
	v_cmp_ne_u32_e32 vcc, s8, v38
	v_bfrev_b32_e32 v55, 1
	s_and_saveexec_b64 s[8:9], vcc
	s_cbranch_execz .LBB553_156
; %bb.153:
	v_bfe_u32 v39, v39, 24, 7
	s_movk_i32 s10, 0x7f
	v_cmp_ne_u32_e32 vcc, s10, v39
	v_mov_b32_e32 v55, 0x7f800001
	s_and_saveexec_b64 s[10:11], vcc
	s_cbranch_execz .LBB553_155
; %bb.154:
	v_and_b32_e32 v55, 7, v38
	v_ffbh_u32_e32 v56, v55
	v_min_u32_e32 v59, 32, v56
	v_subrev_u32_e32 v56, 28, v59
	v_lshlrev_b64 v[56:57], v56, v[38:39]
	v_lshrrev_b32_e32 v58, 3, v39
	v_sub_u32_e32 v57, 29, v59
	v_and_b32_e32 v56, 7, v56
	v_cmp_gt_u32_e32 vcc, 8, v39
	v_cndmask_b32_e32 v39, v58, v57, vcc
	v_cndmask_b32_e32 v55, v55, v56, vcc
	v_lshlrev_b32_e32 v38, 24, v38
	v_bfrev_b32_e32 v56, 60
	v_lshlrev_b32_e32 v55, 20, v55
	v_and_b32_e32 v38, 0x80000000, v38
	v_lshl_add_u32 v39, v39, 23, v56
	v_or3_b32 v55, v38, v39, v55
.LBB553_155:
	s_or_b64 exec, exec, s[10:11]
.LBB553_156:
	s_or_b64 exec, exec, s[8:9]
.LBB553_157:
	s_or_b64 exec, exec, s[2:3]
	v_cvt_pkrtz_f16_f32 v38, v52, v44
	v_cvt_pkrtz_f16_f32 v39, v43, v53
	v_cmp_ne_u16_sdwa s[8:9], v40, v51 src0_sel:BYTE_0 src1_sel:DWORD
	s_nop 0
	v_mfma_f32_16x16x16f16 v[56:59], v[38:39], v[26:27], 0
	v_cvt_pkrtz_f16_f32 v38, v45, v54
	v_cvt_pkrtz_f16_f32 v39, v42, v55
	s_nop 1
	v_mfma_f32_16x16x16f16 v[42:45], v[38:39], v[28:29], v[56:59]
	s_and_saveexec_b64 s[2:3], s[8:9]
	s_cbranch_execz .LBB553_163
; %bb.158:
	s_movk_i32 s8, 0x80
	v_cmp_ne_u16_sdwa s[10:11], v40, s8 src0_sel:BYTE_0 src1_sel:DWORD
	v_bfrev_b32_e32 v51, 1
	s_and_saveexec_b64 s[8:9], s[10:11]
	s_cbranch_execz .LBB553_162
; %bb.159:
	s_movk_i32 s10, 0x7f
	v_and_b32_e32 v38, 0x7f, v40
	v_cmp_ne_u32_e32 vcc, s10, v38
	v_mov_b32_e32 v51, 0x7f800001
	s_and_saveexec_b64 s[10:11], vcc
	s_cbranch_execz .LBB553_161
; %bb.160:
	v_and_b32_e32 v39, 7, v40
	v_ffbh_u32_e32 v52, v39
	v_min_u32_e32 v54, 32, v52
	v_subrev_u32_e32 v52, 28, v54
	v_lshlrev_b64 v[52:53], v52, v[40:41]
	v_lshrrev_b32_e32 v51, 3, v38
	v_sub_u32_e32 v53, 29, v54
	v_and_b32_e32 v52, 7, v52
	v_cmp_gt_u32_e32 vcc, 8, v38
	v_cndmask_b32_e32 v38, v51, v53, vcc
	v_cndmask_b32_e32 v39, v39, v52, vcc
	v_lshlrev_b32_e32 v51, 24, v40
	v_bfrev_b32_e32 v52, 60
	v_lshlrev_b32_e32 v39, 20, v39
	v_and_b32_e32 v51, 0x80000000, v51
	v_lshl_add_u32 v38, v38, 23, v52
	v_or3_b32 v51, v51, v38, v39
.LBB553_161:
	s_or_b64 exec, exec, s[10:11]
.LBB553_162:
	s_or_b64 exec, exec, s[8:9]
.LBB553_163:
	s_or_b64 exec, exec, s[2:3]
	v_lshrrev_b16_e32 v38, 8, v40
	v_cmp_ne_u16_e32 vcc, 0, v38
	v_mov_b32_e32 v39, 0
	v_mov_b32_e32 v53, 0
	s_and_saveexec_b64 s[2:3], vcc
	s_cbranch_execz .LBB553_169
; %bb.164:
	s_movk_i32 s8, 0x80
	v_cmp_ne_u16_e32 vcc, s8, v38
	v_bfrev_b32_e32 v53, 1
	s_and_saveexec_b64 s[8:9], vcc
	s_cbranch_execz .LBB553_168
; %bb.165:
	s_movk_i32 s10, 0x7f
	v_and_b32_e32 v52, 0x7f, v38
	v_cmp_ne_u32_e32 vcc, s10, v52
	v_mov_b32_e32 v53, 0x7f800001
	s_and_saveexec_b64 s[10:11], vcc
	s_cbranch_execz .LBB553_167
; %bb.166:
	v_and_b32_e32 v53, 7, v38
	v_ffbh_u32_e32 v54, v53
	v_min_u32_e32 v57, 32, v54
	v_subrev_u32_e32 v54, 28, v57
	v_lshlrev_b64 v[54:55], v54, v[38:39]
	v_lshrrev_b32_e32 v56, 3, v52
	v_sub_u32_e32 v38, 29, v57
	v_and_b32_e32 v54, 7, v54
	v_cmp_gt_u32_e32 vcc, 8, v52
	v_cndmask_b32_e32 v38, v56, v38, vcc
	v_cndmask_b32_e32 v52, v53, v54, vcc
	v_lshlrev_b32_e32 v53, 16, v40
	v_bfrev_b32_e32 v54, 60
	v_lshlrev_b32_e32 v52, 20, v52
	v_and_b32_e32 v53, 0x80000000, v53
	v_lshl_add_u32 v38, v38, 23, v54
	v_or3_b32 v53, v53, v38, v52
.LBB553_167:
	s_or_b64 exec, exec, s[10:11]
.LBB553_168:
	s_or_b64 exec, exec, s[8:9]
.LBB553_169:
	s_or_b64 exec, exec, s[2:3]
	s_movk_i32 s2, 0xff
	v_and_b32_sdwa v52, v40, s2 dst_sel:DWORD dst_unused:UNUSED_PAD src0_sel:WORD_1 src1_sel:DWORD
	v_lshrrev_b32_e32 v38, 16, v40
	v_cmp_ne_u16_e32 vcc, 0, v52
	s_and_saveexec_b64 s[2:3], vcc
	s_cbranch_execz .LBB553_175
; %bb.170:
	s_movk_i32 s8, 0x80
	v_cmp_ne_u16_e32 vcc, s8, v52
	v_bfrev_b32_e32 v39, 1
	s_and_saveexec_b64 s[8:9], vcc
	s_cbranch_execz .LBB553_174
; %bb.171:
	v_bfe_u32 v52, v40, 16, 7
	s_movk_i32 s10, 0x7f
	v_cmp_ne_u32_e32 vcc, s10, v52
	v_mov_b32_e32 v39, 0x7f800001
	s_and_saveexec_b64 s[10:11], vcc
	s_cbranch_execz .LBB553_173
; %bb.172:
	v_and_b32_e32 v54, 7, v38
	v_ffbh_u32_e32 v39, v54
	v_min_u32_e32 v56, 32, v39
	v_subrev_u32_e32 v39, 28, v56
	v_lshlrev_b64 v[38:39], v39, v[38:39]
	v_lshrrev_b32_e32 v55, 3, v52
	v_sub_u32_e32 v39, 29, v56
	v_and_b32_e32 v38, 7, v38
	v_cmp_gt_u32_e32 vcc, 8, v52
	v_mov_b32_e32 v52, 24
	v_cndmask_b32_e32 v39, v55, v39, vcc
	v_cndmask_b32_e32 v38, v54, v38, vcc
	v_lshlrev_b32_sdwa v52, v52, v40 dst_sel:DWORD dst_unused:UNUSED_PAD src0_sel:DWORD src1_sel:WORD_1
	v_bfrev_b32_e32 v54, 60
	v_lshlrev_b32_e32 v38, 20, v38
	v_and_b32_e32 v52, 0x80000000, v52
	v_lshl_add_u32 v39, v39, 23, v54
	v_or3_b32 v39, v52, v39, v38
.LBB553_173:
	s_or_b64 exec, exec, s[10:11]
.LBB553_174:
	s_or_b64 exec, exec, s[8:9]
.LBB553_175:
	s_or_b64 exec, exec, s[2:3]
	s_mov_b32 s2, 0xffffff
	v_cmp_lt_u32_e32 vcc, s2, v40
	v_mov_b32_e32 v54, 0
	v_mov_b32_e32 v55, 0
	s_and_saveexec_b64 s[2:3], vcc
	s_cbranch_execz .LBB553_181
; %bb.176:
	v_lshrrev_b32_e32 v38, 24, v40
	s_movk_i32 s8, 0x80
	v_cmp_ne_u32_e32 vcc, s8, v38
	v_bfrev_b32_e32 v55, 1
	s_and_saveexec_b64 s[8:9], vcc
	s_cbranch_execz .LBB553_180
; %bb.177:
	v_bfe_u32 v40, v40, 24, 7
	s_movk_i32 s10, 0x7f
	v_cmp_ne_u32_e32 vcc, s10, v40
	v_mov_b32_e32 v55, 0x7f800001
	s_and_saveexec_b64 s[10:11], vcc
	s_cbranch_execz .LBB553_179
; %bb.178:
	v_and_b32_e32 v52, 7, v38
	v_ffbh_u32_e32 v56, v52
	v_min_u32_e32 v58, 32, v56
	v_subrev_u32_e32 v56, 28, v58
	v_lshlrev_b64 v[56:57], v56, v[38:39]
	v_lshrrev_b32_e32 v55, 3, v40
	v_sub_u32_e32 v57, 29, v58
	v_and_b32_e32 v56, 7, v56
	v_cmp_gt_u32_e32 vcc, 8, v40
	v_cndmask_b32_e32 v40, v55, v57, vcc
	v_cndmask_b32_e32 v52, v52, v56, vcc
	v_lshlrev_b32_e32 v38, 24, v38
	v_bfrev_b32_e32 v55, 60
	v_lshlrev_b32_e32 v52, 20, v52
	v_and_b32_e32 v38, 0x80000000, v38
	v_lshl_add_u32 v40, v40, 23, v55
	v_or3_b32 v55, v38, v40, v52
.LBB553_179:
	s_or_b64 exec, exec, s[10:11]
.LBB553_180:
	s_or_b64 exec, exec, s[8:9]
.LBB553_181:
	s_or_b64 exec, exec, s[2:3]
	v_cmp_ne_u16_sdwa s[8:9], v41, v54 src0_sel:BYTE_0 src1_sel:DWORD
	s_and_saveexec_b64 s[2:3], s[8:9]
	s_cbranch_execz .LBB553_187
; %bb.182:
	s_movk_i32 s8, 0x80
	v_cmp_ne_u16_sdwa s[10:11], v41, s8 src0_sel:BYTE_0 src1_sel:DWORD
	v_bfrev_b32_e32 v54, 1
	s_and_saveexec_b64 s[8:9], s[10:11]
	s_cbranch_execz .LBB553_186
; %bb.183:
	s_movk_i32 s10, 0x7f
	v_and_b32_e32 v38, 0x7f, v41
	v_cmp_ne_u32_e32 vcc, s10, v38
	v_mov_b32_e32 v54, 0x7f800001
	s_and_saveexec_b64 s[10:11], vcc
	s_cbranch_execz .LBB553_185
; %bb.184:
	v_and_b32_e32 v52, 7, v41
	v_ffbh_u32_e32 v56, v52
	v_min_u32_e32 v58, 32, v56
	v_mov_b32_e32 v40, v41
	v_subrev_u32_e32 v56, 28, v58
	v_lshlrev_b64 v[56:57], v56, v[40:41]
	v_lshrrev_b32_e32 v54, 3, v38
	v_sub_u32_e32 v40, 29, v58
	v_and_b32_e32 v56, 7, v56
	v_cmp_gt_u32_e32 vcc, 8, v38
	v_cndmask_b32_e32 v38, v54, v40, vcc
	v_cndmask_b32_e32 v40, v52, v56, vcc
	v_lshlrev_b32_e32 v52, 24, v41
	v_bfrev_b32_e32 v54, 60
	v_lshlrev_b32_e32 v40, 20, v40
	v_and_b32_e32 v52, 0x80000000, v52
	v_lshl_add_u32 v38, v38, 23, v54
	v_or3_b32 v54, v52, v38, v40
.LBB553_185:
	s_or_b64 exec, exec, s[10:11]
.LBB553_186:
	s_or_b64 exec, exec, s[8:9]
.LBB553_187:
	s_or_b64 exec, exec, s[2:3]
	v_lshrrev_b16_e32 v38, 8, v41
	v_cmp_ne_u16_e32 vcc, 0, v38
	v_mov_b32_e32 v40, 0
	v_mov_b32_e32 v56, 0
	s_and_saveexec_b64 s[2:3], vcc
	s_cbranch_execz .LBB553_193
; %bb.188:
	s_movk_i32 s8, 0x80
	v_cmp_ne_u16_e32 vcc, s8, v38
	v_bfrev_b32_e32 v56, 1
	s_and_saveexec_b64 s[8:9], vcc
	s_cbranch_execz .LBB553_192
; %bb.189:
	s_movk_i32 s10, 0x7f
	v_and_b32_e32 v52, 0x7f, v38
	v_cmp_ne_u32_e32 vcc, s10, v52
	v_mov_b32_e32 v56, 0x7f800001
	s_and_saveexec_b64 s[10:11], vcc
	s_cbranch_execz .LBB553_191
; %bb.190:
	v_and_b32_e32 v58, 7, v38
	v_ffbh_u32_e32 v56, v58
	v_min_u32_e32 v60, 32, v56
	v_subrev_u32_e32 v56, 28, v60
	v_lshlrev_b64 v[56:57], v56, v[38:39]
	v_lshrrev_b32_e32 v59, 3, v52
	v_sub_u32_e32 v38, 29, v60
	v_and_b32_e32 v56, 7, v56
	v_cmp_gt_u32_e32 vcc, 8, v52
	v_cndmask_b32_e32 v38, v59, v38, vcc
	v_cndmask_b32_e32 v52, v58, v56, vcc
	v_lshlrev_b32_e32 v56, 16, v41
	v_bfrev_b32_e32 v57, 60
	v_lshlrev_b32_e32 v52, 20, v52
	v_and_b32_e32 v56, 0x80000000, v56
	v_lshl_add_u32 v38, v38, 23, v57
	v_or3_b32 v56, v56, v38, v52
.LBB553_191:
	s_or_b64 exec, exec, s[10:11]
.LBB553_192:
	s_or_b64 exec, exec, s[8:9]
.LBB553_193:
	s_or_b64 exec, exec, s[2:3]
	s_movk_i32 s2, 0xff
	v_and_b32_sdwa v52, v41, s2 dst_sel:DWORD dst_unused:UNUSED_PAD src0_sel:WORD_1 src1_sel:DWORD
	v_lshrrev_b32_e32 v38, 16, v41
	v_cmp_ne_u16_e32 vcc, 0, v52
	s_and_saveexec_b64 s[2:3], vcc
	s_cbranch_execz .LBB553_199
; %bb.194:
	s_movk_i32 s8, 0x80
	v_cmp_ne_u16_e32 vcc, s8, v52
	v_bfrev_b32_e32 v40, 1
	s_and_saveexec_b64 s[8:9], vcc
	s_cbranch_execz .LBB553_198
; %bb.195:
	v_bfe_u32 v52, v41, 16, 7
	s_movk_i32 s10, 0x7f
	v_cmp_ne_u32_e32 vcc, s10, v52
	v_mov_b32_e32 v40, 0x7f800001
	s_and_saveexec_b64 s[10:11], vcc
	s_cbranch_execz .LBB553_197
; %bb.196:
	v_and_b32_e32 v40, 7, v38
	v_ffbh_u32_e32 v58, v40
	v_min_u32_e32 v60, 32, v58
	v_subrev_u32_e32 v58, 28, v60
	v_lshlrev_b64 v[58:59], v58, v[38:39]
	v_lshrrev_b32_e32 v57, 3, v52
	v_sub_u32_e32 v38, 29, v60
	v_and_b32_e32 v58, 7, v58
	v_cmp_gt_u32_e32 vcc, 8, v52
	v_mov_b32_e32 v52, 24
	v_cndmask_b32_e32 v38, v57, v38, vcc
	v_cndmask_b32_e32 v40, v40, v58, vcc
	v_lshlrev_b32_sdwa v52, v52, v41 dst_sel:DWORD dst_unused:UNUSED_PAD src0_sel:DWORD src1_sel:WORD_1
	v_bfrev_b32_e32 v57, 60
	v_lshlrev_b32_e32 v40, 20, v40
	v_and_b32_e32 v52, 0x80000000, v52
	v_lshl_add_u32 v38, v38, 23, v57
	v_or3_b32 v40, v52, v38, v40
.LBB553_197:
	s_or_b64 exec, exec, s[10:11]
.LBB553_198:
	s_or_b64 exec, exec, s[8:9]
.LBB553_199:
	s_or_b64 exec, exec, s[2:3]
	s_mov_b32 s2, 0xffffff
	v_cmp_lt_u32_e32 vcc, s2, v41
	v_mov_b32_e32 v52, 0
	v_mov_b32_e32 v57, 0
	s_and_saveexec_b64 s[2:3], vcc
	s_cbranch_execz .LBB553_205
; %bb.200:
	v_lshrrev_b32_e32 v38, 24, v41
	s_movk_i32 s8, 0x80
	v_cmp_ne_u32_e32 vcc, s8, v38
	v_bfrev_b32_e32 v57, 1
	s_and_saveexec_b64 s[8:9], vcc
	s_cbranch_execz .LBB553_204
; %bb.201:
	v_bfe_u32 v41, v41, 24, 7
	s_movk_i32 s10, 0x7f
	v_cmp_ne_u32_e32 vcc, s10, v41
	v_mov_b32_e32 v57, 0x7f800001
	s_and_saveexec_b64 s[10:11], vcc
	s_cbranch_execz .LBB553_203
; %bb.202:
	v_and_b32_e32 v57, 7, v38
	v_ffbh_u32_e32 v58, v57
	v_min_u32_e32 v61, 32, v58
	v_subrev_u32_e32 v58, 28, v61
	v_lshlrev_b64 v[58:59], v58, v[38:39]
	v_lshrrev_b32_e32 v60, 3, v41
	v_sub_u32_e32 v59, 29, v61
	v_and_b32_e32 v58, 7, v58
	v_cmp_gt_u32_e32 vcc, 8, v41
	v_cndmask_b32_e32 v41, v60, v59, vcc
	v_cndmask_b32_e32 v57, v57, v58, vcc
	v_lshlrev_b32_e32 v38, 24, v38
	v_bfrev_b32_e32 v58, 60
	v_lshlrev_b32_e32 v57, 20, v57
	v_and_b32_e32 v38, 0x80000000, v38
	v_lshl_add_u32 v41, v41, 23, v58
	v_or3_b32 v57, v38, v41, v57
.LBB553_203:
	s_or_b64 exec, exec, s[10:11]
.LBB553_204:
	s_or_b64 exec, exec, s[8:9]
.LBB553_205:
	s_or_b64 exec, exec, s[2:3]
	v_cvt_pkrtz_f16_f32 v38, v51, v53
	v_cvt_pkrtz_f16_f32 v39, v39, v55
	v_cmp_ne_u16_sdwa s[8:9], v30, v52 src0_sel:BYTE_0 src1_sel:DWORD
	s_nop 0
	v_mfma_f32_16x16x16f16 v[42:45], v[38:39], v[18:19], v[42:45]
	v_cvt_pkrtz_f16_f32 v38, v54, v56
	v_cvt_pkrtz_f16_f32 v39, v40, v57
	s_nop 1
	v_mfma_f32_16x16x16f16 v[38:41], v[38:39], v[20:21], v[42:45]
	s_and_saveexec_b64 s[2:3], s[8:9]
	s_cbranch_execz .LBB553_211
; %bb.206:
	s_movk_i32 s8, 0x80
	v_cmp_ne_u16_sdwa s[10:11], v30, s8 src0_sel:BYTE_0 src1_sel:DWORD
	v_bfrev_b32_e32 v52, 1
	s_and_saveexec_b64 s[8:9], s[10:11]
	s_cbranch_execz .LBB553_210
; %bb.207:
	s_movk_i32 s10, 0x7f
	v_and_b32_e32 v42, 0x7f, v30
	v_cmp_ne_u32_e32 vcc, s10, v42
	v_mov_b32_e32 v52, 0x7f800001
	s_and_saveexec_b64 s[10:11], vcc
	s_cbranch_execz .LBB553_209
; %bb.208:
	v_and_b32_e32 v43, 7, v30
	v_ffbh_u32_e32 v44, v43
	v_min_u32_e32 v52, 32, v44
	v_subrev_u32_e32 v44, 28, v52
	v_lshlrev_b64 v[44:45], v44, v[30:31]
	v_lshrrev_b32_e32 v51, 3, v42
	v_sub_u32_e32 v45, 29, v52
	v_and_b32_e32 v44, 7, v44
	v_cmp_gt_u32_e32 vcc, 8, v42
	v_cndmask_b32_e32 v42, v51, v45, vcc
	v_cndmask_b32_e32 v43, v43, v44, vcc
	v_lshlrev_b32_e32 v44, 24, v30
	v_bfrev_b32_e32 v45, 60
	v_lshlrev_b32_e32 v43, 20, v43
	v_and_b32_e32 v44, 0x80000000, v44
	v_lshl_add_u32 v42, v42, 23, v45
	v_or3_b32 v52, v44, v42, v43
.LBB553_209:
	s_or_b64 exec, exec, s[10:11]
.LBB553_210:
	s_or_b64 exec, exec, s[8:9]
.LBB553_211:
	s_or_b64 exec, exec, s[2:3]
	s_nop 3
	v_lshrrev_b16_e32 v42, 8, v30
	v_cmp_ne_u16_e32 vcc, 0, v42
	v_mov_b32_e32 v43, 0
	v_mov_b32_e32 v44, 0
	s_and_saveexec_b64 s[2:3], vcc
	s_cbranch_execz .LBB553_217
; %bb.212:
	s_movk_i32 s8, 0x80
	v_cmp_ne_u16_e32 vcc, s8, v42
	v_bfrev_b32_e32 v44, 1
	s_and_saveexec_b64 s[8:9], vcc
	s_cbranch_execz .LBB553_216
; %bb.213:
	s_movk_i32 s10, 0x7f
	v_and_b32_e32 v45, 0x7f, v42
	v_cmp_ne_u32_e32 vcc, s10, v45
	v_mov_b32_e32 v44, 0x7f800001
	s_and_saveexec_b64 s[10:11], vcc
	s_cbranch_execz .LBB553_215
; %bb.214:
	v_and_b32_e32 v44, 7, v42
	v_ffbh_u32_e32 v53, v44
	v_min_u32_e32 v53, 32, v53
	v_subrev_u32_e32 v54, 28, v53
	v_lshlrev_b64 v[54:55], v54, v[42:43]
	v_lshrrev_b32_e32 v51, 3, v45
	v_sub_u32_e32 v42, 29, v53
	v_and_b32_e32 v53, 7, v54
	v_cmp_gt_u32_e32 vcc, 8, v45
	v_cndmask_b32_e32 v42, v51, v42, vcc
	v_cndmask_b32_e32 v44, v44, v53, vcc
	v_lshlrev_b32_e32 v45, 16, v30
	v_bfrev_b32_e32 v51, 60
	v_lshlrev_b32_e32 v44, 20, v44
	v_and_b32_e32 v45, 0x80000000, v45
	v_lshl_add_u32 v42, v42, 23, v51
	v_or3_b32 v44, v45, v42, v44
.LBB553_215:
	s_or_b64 exec, exec, s[10:11]
.LBB553_216:
	s_or_b64 exec, exec, s[8:9]
.LBB553_217:
	s_or_b64 exec, exec, s[2:3]
	s_movk_i32 s2, 0xff
	v_and_b32_sdwa v45, v30, s2 dst_sel:DWORD dst_unused:UNUSED_PAD src0_sel:WORD_1 src1_sel:DWORD
	v_lshrrev_b32_e32 v42, 16, v30
	v_cmp_ne_u16_e32 vcc, 0, v45
	s_and_saveexec_b64 s[2:3], vcc
	s_cbranch_execz .LBB553_223
; %bb.218:
	s_movk_i32 s8, 0x80
	v_cmp_ne_u16_e32 vcc, s8, v45
	v_bfrev_b32_e32 v43, 1
	s_and_saveexec_b64 s[8:9], vcc
	s_cbranch_execz .LBB553_222
; %bb.219:
	v_bfe_u32 v45, v30, 16, 7
	s_movk_i32 s10, 0x7f
	v_cmp_ne_u32_e32 vcc, s10, v45
	v_mov_b32_e32 v43, 0x7f800001
	s_and_saveexec_b64 s[10:11], vcc
	s_cbranch_execz .LBB553_221
; %bb.220:
	v_and_b32_e32 v51, 7, v42
	v_ffbh_u32_e32 v43, v51
	v_min_u32_e32 v54, 32, v43
	v_subrev_u32_e32 v43, 28, v54
	v_lshlrev_b64 v[42:43], v43, v[42:43]
	v_lshrrev_b32_e32 v53, 3, v45
	v_sub_u32_e32 v43, 29, v54
	v_and_b32_e32 v42, 7, v42
	v_cmp_gt_u32_e32 vcc, 8, v45
	v_mov_b32_e32 v45, 24
	v_cndmask_b32_e32 v43, v53, v43, vcc
	v_cndmask_b32_e32 v42, v51, v42, vcc
	v_lshlrev_b32_sdwa v45, v45, v30 dst_sel:DWORD dst_unused:UNUSED_PAD src0_sel:DWORD src1_sel:WORD_1
	v_bfrev_b32_e32 v51, 60
	v_lshlrev_b32_e32 v42, 20, v42
	v_and_b32_e32 v45, 0x80000000, v45
	v_lshl_add_u32 v43, v43, 23, v51
	v_or3_b32 v43, v45, v43, v42
.LBB553_221:
	s_or_b64 exec, exec, s[10:11]
.LBB553_222:
	s_or_b64 exec, exec, s[8:9]
.LBB553_223:
	s_or_b64 exec, exec, s[2:3]
	s_mov_b32 s2, 0xffffff
	v_cmp_lt_u32_e32 vcc, s2, v30
	v_mov_b32_e32 v45, 0
	v_mov_b32_e32 v53, 0
	s_and_saveexec_b64 s[2:3], vcc
	s_cbranch_execz .LBB553_229
; %bb.224:
	v_lshrrev_b32_e32 v42, 24, v30
	s_movk_i32 s8, 0x80
	v_cmp_ne_u32_e32 vcc, s8, v42
	v_bfrev_b32_e32 v53, 1
	s_and_saveexec_b64 s[8:9], vcc
	s_cbranch_execz .LBB553_228
; %bb.225:
	v_bfe_u32 v30, v30, 24, 7
	s_movk_i32 s10, 0x7f
	v_cmp_ne_u32_e32 vcc, s10, v30
	v_mov_b32_e32 v53, 0x7f800001
	s_and_saveexec_b64 s[10:11], vcc
	s_cbranch_execz .LBB553_227
; %bb.226:
	v_and_b32_e32 v51, 7, v42
	v_ffbh_u32_e32 v54, v51
	v_min_u32_e32 v56, 32, v54
	v_subrev_u32_e32 v54, 28, v56
	v_lshlrev_b64 v[54:55], v54, v[42:43]
	v_lshrrev_b32_e32 v53, 3, v30
	v_sub_u32_e32 v55, 29, v56
	v_and_b32_e32 v54, 7, v54
	v_cmp_gt_u32_e32 vcc, 8, v30
	v_cndmask_b32_e32 v30, v53, v55, vcc
	v_cndmask_b32_e32 v51, v51, v54, vcc
	v_lshlrev_b32_e32 v42, 24, v42
	v_bfrev_b32_e32 v53, 60
	v_lshlrev_b32_e32 v51, 20, v51
	v_and_b32_e32 v42, 0x80000000, v42
	v_lshl_add_u32 v30, v30, 23, v53
	v_or3_b32 v53, v42, v30, v51
.LBB553_227:
	s_or_b64 exec, exec, s[10:11]
.LBB553_228:
	s_or_b64 exec, exec, s[8:9]
.LBB553_229:
	s_or_b64 exec, exec, s[2:3]
	v_cmp_ne_u16_sdwa s[8:9], v31, v45 src0_sel:BYTE_0 src1_sel:DWORD
	s_and_saveexec_b64 s[2:3], s[8:9]
	s_cbranch_execz .LBB553_235
; %bb.230:
	s_movk_i32 s8, 0x80
	v_cmp_ne_u16_sdwa s[10:11], v31, s8 src0_sel:BYTE_0 src1_sel:DWORD
	v_bfrev_b32_e32 v45, 1
	s_and_saveexec_b64 s[8:9], s[10:11]
	s_cbranch_execz .LBB553_234
; %bb.231:
	s_movk_i32 s10, 0x7f
	v_and_b32_e32 v30, 0x7f, v31
	v_cmp_ne_u32_e32 vcc, s10, v30
	v_mov_b32_e32 v45, 0x7f800001
	s_and_saveexec_b64 s[10:11], vcc
	s_cbranch_execz .LBB553_233
; %bb.232:
	v_and_b32_e32 v45, 7, v31
	v_ffbh_u32_e32 v54, v45
	v_min_u32_e32 v56, 32, v54
	v_mov_b32_e32 v42, v31
	v_subrev_u32_e32 v54, 28, v56
	v_lshlrev_b64 v[54:55], v54, v[42:43]
	v_lshrrev_b32_e32 v51, 3, v30
	v_sub_u32_e32 v42, 29, v56
	v_and_b32_e32 v54, 7, v54
	v_cmp_gt_u32_e32 vcc, 8, v30
	v_cndmask_b32_e32 v30, v51, v42, vcc
	v_cndmask_b32_e32 v42, v45, v54, vcc
	v_lshlrev_b32_e32 v45, 24, v31
	v_bfrev_b32_e32 v51, 60
	v_lshlrev_b32_e32 v42, 20, v42
	v_and_b32_e32 v45, 0x80000000, v45
	v_lshl_add_u32 v30, v30, 23, v51
	v_or3_b32 v45, v45, v30, v42
.LBB553_233:
	s_or_b64 exec, exec, s[10:11]
.LBB553_234:
	s_or_b64 exec, exec, s[8:9]
.LBB553_235:
	s_or_b64 exec, exec, s[2:3]
	v_lshrrev_b16_e32 v30, 8, v31
	v_cmp_ne_u16_e32 vcc, 0, v30
	v_mov_b32_e32 v42, 0
	v_mov_b32_e32 v54, 0
	s_and_saveexec_b64 s[2:3], vcc
	s_cbranch_execz .LBB553_241
; %bb.236:
	s_movk_i32 s8, 0x80
	v_cmp_ne_u16_e32 vcc, s8, v30
	v_bfrev_b32_e32 v54, 1
	s_and_saveexec_b64 s[8:9], vcc
	s_cbranch_execz .LBB553_240
; %bb.237:
	s_movk_i32 s10, 0x7f
	v_and_b32_e32 v51, 0x7f, v30
	v_cmp_ne_u32_e32 vcc, s10, v51
	v_mov_b32_e32 v54, 0x7f800001
	s_and_saveexec_b64 s[10:11], vcc
	s_cbranch_execz .LBB553_239
; %bb.238:
	v_and_b32_e32 v56, 7, v30
	v_ffbh_u32_e32 v54, v56
	v_min_u32_e32 v58, 32, v54
	v_subrev_u32_e32 v54, 28, v58
	v_lshlrev_b64 v[54:55], v54, v[30:31]
	v_lshrrev_b32_e32 v57, 3, v51
	v_sub_u32_e32 v30, 29, v58
	v_and_b32_e32 v54, 7, v54
	v_cmp_gt_u32_e32 vcc, 8, v51
	v_cndmask_b32_e32 v30, v57, v30, vcc
	v_cndmask_b32_e32 v51, v56, v54, vcc
	v_lshlrev_b32_e32 v54, 16, v31
	v_bfrev_b32_e32 v55, 60
	v_lshlrev_b32_e32 v51, 20, v51
	v_and_b32_e32 v54, 0x80000000, v54
	v_lshl_add_u32 v30, v30, 23, v55
	v_or3_b32 v54, v54, v30, v51
.LBB553_239:
	s_or_b64 exec, exec, s[10:11]
.LBB553_240:
	s_or_b64 exec, exec, s[8:9]
.LBB553_241:
	s_or_b64 exec, exec, s[2:3]
	s_movk_i32 s2, 0xff
	v_and_b32_sdwa v51, v31, s2 dst_sel:DWORD dst_unused:UNUSED_PAD src0_sel:WORD_1 src1_sel:DWORD
	v_lshrrev_b32_e32 v30, 16, v31
	v_cmp_ne_u16_e32 vcc, 0, v51
	s_and_saveexec_b64 s[2:3], vcc
	s_cbranch_execz .LBB553_247
; %bb.242:
	s_movk_i32 s8, 0x80
	v_cmp_ne_u16_e32 vcc, s8, v51
	v_bfrev_b32_e32 v42, 1
	s_and_saveexec_b64 s[8:9], vcc
	s_cbranch_execz .LBB553_246
; %bb.243:
	v_bfe_u32 v51, v31, 16, 7
	s_movk_i32 s10, 0x7f
	v_cmp_ne_u32_e32 vcc, s10, v51
	v_mov_b32_e32 v42, 0x7f800001
	s_and_saveexec_b64 s[10:11], vcc
	s_cbranch_execz .LBB553_245
; %bb.244:
	v_and_b32_e32 v42, 7, v30
	v_ffbh_u32_e32 v56, v42
	v_min_u32_e32 v58, 32, v56
	v_subrev_u32_e32 v56, 28, v58
	v_lshlrev_b64 v[56:57], v56, v[30:31]
	v_lshrrev_b32_e32 v55, 3, v51
	v_sub_u32_e32 v30, 29, v58
	v_and_b32_e32 v56, 7, v56
	v_cmp_gt_u32_e32 vcc, 8, v51
	v_mov_b32_e32 v51, 24
	v_cndmask_b32_e32 v30, v55, v30, vcc
	v_cndmask_b32_e32 v42, v42, v56, vcc
	v_lshlrev_b32_sdwa v51, v51, v31 dst_sel:DWORD dst_unused:UNUSED_PAD src0_sel:DWORD src1_sel:WORD_1
	v_bfrev_b32_e32 v55, 60
	v_lshlrev_b32_e32 v42, 20, v42
	v_and_b32_e32 v51, 0x80000000, v51
	v_lshl_add_u32 v30, v30, 23, v55
	v_or3_b32 v42, v51, v30, v42
.LBB553_245:
	s_or_b64 exec, exec, s[10:11]
.LBB553_246:
	s_or_b64 exec, exec, s[8:9]
.LBB553_247:
	s_or_b64 exec, exec, s[2:3]
	s_mov_b32 s2, 0xffffff
	v_cmp_lt_u32_e32 vcc, s2, v31
	v_mov_b32_e32 v51, 0
	v_mov_b32_e32 v55, 0
	s_and_saveexec_b64 s[2:3], vcc
	s_cbranch_execz .LBB553_253
; %bb.248:
	v_lshrrev_b32_e32 v30, 24, v31
	s_movk_i32 s8, 0x80
	v_cmp_ne_u32_e32 vcc, s8, v30
	v_bfrev_b32_e32 v55, 1
	s_and_saveexec_b64 s[8:9], vcc
	s_cbranch_execz .LBB553_252
; %bb.249:
	v_bfe_u32 v31, v31, 24, 7
	s_movk_i32 s10, 0x7f
	v_cmp_ne_u32_e32 vcc, s10, v31
	v_mov_b32_e32 v55, 0x7f800001
	s_and_saveexec_b64 s[10:11], vcc
	s_cbranch_execz .LBB553_251
; %bb.250:
	v_and_b32_e32 v55, 7, v30
	v_ffbh_u32_e32 v56, v55
	v_min_u32_e32 v59, 32, v56
	v_subrev_u32_e32 v56, 28, v59
	v_lshlrev_b64 v[56:57], v56, v[30:31]
	v_lshrrev_b32_e32 v58, 3, v31
	v_sub_u32_e32 v57, 29, v59
	v_and_b32_e32 v56, 7, v56
	v_cmp_gt_u32_e32 vcc, 8, v31
	v_cndmask_b32_e32 v31, v58, v57, vcc
	v_cndmask_b32_e32 v55, v55, v56, vcc
	v_lshlrev_b32_e32 v30, 24, v30
	v_bfrev_b32_e32 v56, 60
	v_lshlrev_b32_e32 v55, 20, v55
	v_and_b32_e32 v30, 0x80000000, v30
	v_lshl_add_u32 v31, v31, 23, v56
	v_or3_b32 v55, v30, v31, v55
.LBB553_251:
	s_or_b64 exec, exec, s[10:11]
.LBB553_252:
	s_or_b64 exec, exec, s[8:9]
.LBB553_253:
	s_or_b64 exec, exec, s[2:3]
	v_cvt_pkrtz_f16_f32 v30, v52, v44
	v_cvt_pkrtz_f16_f32 v31, v43, v53
	v_cmp_ne_u16_sdwa s[8:9], v32, v51 src0_sel:BYTE_0 src1_sel:DWORD
	s_nop 0
	v_mfma_f32_16x16x16f16 v[56:59], v[30:31], v[26:27], 0
	v_cvt_pkrtz_f16_f32 v30, v45, v54
	v_cvt_pkrtz_f16_f32 v31, v42, v55
	s_nop 1
	v_mfma_f32_16x16x16f16 v[42:45], v[30:31], v[28:29], v[56:59]
	s_and_saveexec_b64 s[2:3], s[8:9]
	s_cbranch_execz .LBB553_259
; %bb.254:
	s_movk_i32 s8, 0x80
	v_cmp_ne_u16_sdwa s[10:11], v32, s8 src0_sel:BYTE_0 src1_sel:DWORD
	v_bfrev_b32_e32 v51, 1
	s_and_saveexec_b64 s[8:9], s[10:11]
	s_cbranch_execz .LBB553_258
; %bb.255:
	s_movk_i32 s10, 0x7f
	v_and_b32_e32 v30, 0x7f, v32
	v_cmp_ne_u32_e32 vcc, s10, v30
	v_mov_b32_e32 v51, 0x7f800001
	s_and_saveexec_b64 s[10:11], vcc
	s_cbranch_execz .LBB553_257
; %bb.256:
	v_and_b32_e32 v31, 7, v32
	v_ffbh_u32_e32 v52, v31
	v_min_u32_e32 v54, 32, v52
	v_subrev_u32_e32 v52, 28, v54
	v_lshlrev_b64 v[52:53], v52, v[32:33]
	v_lshrrev_b32_e32 v51, 3, v30
	v_sub_u32_e32 v53, 29, v54
	v_and_b32_e32 v52, 7, v52
	v_cmp_gt_u32_e32 vcc, 8, v30
	v_cndmask_b32_e32 v30, v51, v53, vcc
	v_cndmask_b32_e32 v31, v31, v52, vcc
	v_lshlrev_b32_e32 v51, 24, v32
	v_bfrev_b32_e32 v52, 60
	v_lshlrev_b32_e32 v31, 20, v31
	v_and_b32_e32 v51, 0x80000000, v51
	v_lshl_add_u32 v30, v30, 23, v52
	v_or3_b32 v51, v51, v30, v31
.LBB553_257:
	s_or_b64 exec, exec, s[10:11]
.LBB553_258:
	s_or_b64 exec, exec, s[8:9]
.LBB553_259:
	s_or_b64 exec, exec, s[2:3]
	v_lshrrev_b16_e32 v30, 8, v32
	v_cmp_ne_u16_e32 vcc, 0, v30
	v_mov_b32_e32 v31, 0
	v_mov_b32_e32 v53, 0
	s_and_saveexec_b64 s[2:3], vcc
	s_cbranch_execz .LBB553_265
; %bb.260:
	s_movk_i32 s8, 0x80
	v_cmp_ne_u16_e32 vcc, s8, v30
	v_bfrev_b32_e32 v53, 1
	s_and_saveexec_b64 s[8:9], vcc
	s_cbranch_execz .LBB553_264
; %bb.261:
	s_movk_i32 s10, 0x7f
	v_and_b32_e32 v52, 0x7f, v30
	v_cmp_ne_u32_e32 vcc, s10, v52
	v_mov_b32_e32 v53, 0x7f800001
	s_and_saveexec_b64 s[10:11], vcc
	s_cbranch_execz .LBB553_263
; %bb.262:
	v_and_b32_e32 v53, 7, v30
	v_ffbh_u32_e32 v54, v53
	v_min_u32_e32 v57, 32, v54
	v_subrev_u32_e32 v54, 28, v57
	v_lshlrev_b64 v[54:55], v54, v[30:31]
	v_lshrrev_b32_e32 v56, 3, v52
	v_sub_u32_e32 v30, 29, v57
	v_and_b32_e32 v54, 7, v54
	v_cmp_gt_u32_e32 vcc, 8, v52
	v_cndmask_b32_e32 v30, v56, v30, vcc
	v_cndmask_b32_e32 v52, v53, v54, vcc
	v_lshlrev_b32_e32 v53, 16, v32
	v_bfrev_b32_e32 v54, 60
	v_lshlrev_b32_e32 v52, 20, v52
	v_and_b32_e32 v53, 0x80000000, v53
	v_lshl_add_u32 v30, v30, 23, v54
	v_or3_b32 v53, v53, v30, v52
.LBB553_263:
	s_or_b64 exec, exec, s[10:11]
.LBB553_264:
	s_or_b64 exec, exec, s[8:9]
.LBB553_265:
	s_or_b64 exec, exec, s[2:3]
	s_movk_i32 s2, 0xff
	v_and_b32_sdwa v52, v32, s2 dst_sel:DWORD dst_unused:UNUSED_PAD src0_sel:WORD_1 src1_sel:DWORD
	v_lshrrev_b32_e32 v30, 16, v32
	v_cmp_ne_u16_e32 vcc, 0, v52
	s_and_saveexec_b64 s[2:3], vcc
	s_cbranch_execz .LBB553_271
; %bb.266:
	s_movk_i32 s8, 0x80
	v_cmp_ne_u16_e32 vcc, s8, v52
	v_bfrev_b32_e32 v31, 1
	s_and_saveexec_b64 s[8:9], vcc
	s_cbranch_execz .LBB553_270
; %bb.267:
	v_bfe_u32 v52, v32, 16, 7
	s_movk_i32 s10, 0x7f
	v_cmp_ne_u32_e32 vcc, s10, v52
	v_mov_b32_e32 v31, 0x7f800001
	s_and_saveexec_b64 s[10:11], vcc
	s_cbranch_execz .LBB553_269
; %bb.268:
	v_and_b32_e32 v54, 7, v30
	v_ffbh_u32_e32 v31, v54
	v_min_u32_e32 v56, 32, v31
	v_subrev_u32_e32 v31, 28, v56
	v_lshlrev_b64 v[30:31], v31, v[30:31]
	v_lshrrev_b32_e32 v55, 3, v52
	v_sub_u32_e32 v31, 29, v56
	v_and_b32_e32 v30, 7, v30
	v_cmp_gt_u32_e32 vcc, 8, v52
	v_mov_b32_e32 v52, 24
	v_cndmask_b32_e32 v31, v55, v31, vcc
	v_cndmask_b32_e32 v30, v54, v30, vcc
	v_lshlrev_b32_sdwa v52, v52, v32 dst_sel:DWORD dst_unused:UNUSED_PAD src0_sel:DWORD src1_sel:WORD_1
	v_bfrev_b32_e32 v54, 60
	v_lshlrev_b32_e32 v30, 20, v30
	v_and_b32_e32 v52, 0x80000000, v52
	v_lshl_add_u32 v31, v31, 23, v54
	v_or3_b32 v31, v52, v31, v30
.LBB553_269:
	s_or_b64 exec, exec, s[10:11]
.LBB553_270:
	s_or_b64 exec, exec, s[8:9]
.LBB553_271:
	s_or_b64 exec, exec, s[2:3]
	s_mov_b32 s2, 0xffffff
	v_cmp_lt_u32_e32 vcc, s2, v32
	v_mov_b32_e32 v54, 0
	v_mov_b32_e32 v55, 0
	s_and_saveexec_b64 s[2:3], vcc
	s_cbranch_execz .LBB553_277
; %bb.272:
	v_lshrrev_b32_e32 v30, 24, v32
	s_movk_i32 s8, 0x80
	v_cmp_ne_u32_e32 vcc, s8, v30
	v_bfrev_b32_e32 v55, 1
	s_and_saveexec_b64 s[8:9], vcc
	s_cbranch_execz .LBB553_276
; %bb.273:
	v_bfe_u32 v32, v32, 24, 7
	s_movk_i32 s10, 0x7f
	v_cmp_ne_u32_e32 vcc, s10, v32
	v_mov_b32_e32 v55, 0x7f800001
	s_and_saveexec_b64 s[10:11], vcc
	s_cbranch_execz .LBB553_275
; %bb.274:
	v_and_b32_e32 v52, 7, v30
	v_ffbh_u32_e32 v56, v52
	v_min_u32_e32 v58, 32, v56
	v_subrev_u32_e32 v56, 28, v58
	v_lshlrev_b64 v[56:57], v56, v[30:31]
	v_lshrrev_b32_e32 v55, 3, v32
	v_sub_u32_e32 v57, 29, v58
	v_and_b32_e32 v56, 7, v56
	v_cmp_gt_u32_e32 vcc, 8, v32
	v_cndmask_b32_e32 v32, v55, v57, vcc
	v_cndmask_b32_e32 v52, v52, v56, vcc
	v_lshlrev_b32_e32 v30, 24, v30
	v_bfrev_b32_e32 v55, 60
	v_lshlrev_b32_e32 v52, 20, v52
	v_and_b32_e32 v30, 0x80000000, v30
	v_lshl_add_u32 v32, v32, 23, v55
	v_or3_b32 v55, v30, v32, v52
.LBB553_275:
	s_or_b64 exec, exec, s[10:11]
.LBB553_276:
	s_or_b64 exec, exec, s[8:9]
.LBB553_277:
	s_or_b64 exec, exec, s[2:3]
	v_cmp_ne_u16_sdwa s[8:9], v33, v54 src0_sel:BYTE_0 src1_sel:DWORD
	s_and_saveexec_b64 s[2:3], s[8:9]
	s_cbranch_execz .LBB553_283
; %bb.278:
	s_movk_i32 s8, 0x80
	v_cmp_ne_u16_sdwa s[10:11], v33, s8 src0_sel:BYTE_0 src1_sel:DWORD
	v_bfrev_b32_e32 v54, 1
	s_and_saveexec_b64 s[8:9], s[10:11]
	s_cbranch_execz .LBB553_282
; %bb.279:
	s_movk_i32 s10, 0x7f
	v_and_b32_e32 v30, 0x7f, v33
	v_cmp_ne_u32_e32 vcc, s10, v30
	v_mov_b32_e32 v54, 0x7f800001
	s_and_saveexec_b64 s[10:11], vcc
	s_cbranch_execz .LBB553_281
; %bb.280:
	v_and_b32_e32 v52, 7, v33
	v_ffbh_u32_e32 v56, v52
	v_min_u32_e32 v58, 32, v56
	v_mov_b32_e32 v32, v33
	v_subrev_u32_e32 v56, 28, v58
	v_lshlrev_b64 v[56:57], v56, v[32:33]
	v_lshrrev_b32_e32 v54, 3, v30
	v_sub_u32_e32 v32, 29, v58
	v_and_b32_e32 v56, 7, v56
	v_cmp_gt_u32_e32 vcc, 8, v30
	v_cndmask_b32_e32 v30, v54, v32, vcc
	v_cndmask_b32_e32 v32, v52, v56, vcc
	v_lshlrev_b32_e32 v52, 24, v33
	v_bfrev_b32_e32 v54, 60
	v_lshlrev_b32_e32 v32, 20, v32
	v_and_b32_e32 v52, 0x80000000, v52
	v_lshl_add_u32 v30, v30, 23, v54
	v_or3_b32 v54, v52, v30, v32
.LBB553_281:
	s_or_b64 exec, exec, s[10:11]
.LBB553_282:
	s_or_b64 exec, exec, s[8:9]
.LBB553_283:
	s_or_b64 exec, exec, s[2:3]
	v_lshrrev_b16_e32 v30, 8, v33
	v_cmp_ne_u16_e32 vcc, 0, v30
	v_mov_b32_e32 v32, 0
	v_mov_b32_e32 v56, 0
	s_and_saveexec_b64 s[2:3], vcc
	s_cbranch_execz .LBB553_289
; %bb.284:
	s_movk_i32 s8, 0x80
	v_cmp_ne_u16_e32 vcc, s8, v30
	v_bfrev_b32_e32 v56, 1
	s_and_saveexec_b64 s[8:9], vcc
	s_cbranch_execz .LBB553_288
; %bb.285:
	s_movk_i32 s10, 0x7f
	v_and_b32_e32 v52, 0x7f, v30
	v_cmp_ne_u32_e32 vcc, s10, v52
	v_mov_b32_e32 v56, 0x7f800001
	s_and_saveexec_b64 s[10:11], vcc
	s_cbranch_execz .LBB553_287
; %bb.286:
	v_and_b32_e32 v58, 7, v30
	v_ffbh_u32_e32 v56, v58
	v_min_u32_e32 v60, 32, v56
	v_subrev_u32_e32 v56, 28, v60
	v_lshlrev_b64 v[56:57], v56, v[30:31]
	v_lshrrev_b32_e32 v59, 3, v52
	v_sub_u32_e32 v30, 29, v60
	v_and_b32_e32 v56, 7, v56
	v_cmp_gt_u32_e32 vcc, 8, v52
	v_cndmask_b32_e32 v30, v59, v30, vcc
	v_cndmask_b32_e32 v52, v58, v56, vcc
	v_lshlrev_b32_e32 v56, 16, v33
	v_bfrev_b32_e32 v57, 60
	v_lshlrev_b32_e32 v52, 20, v52
	v_and_b32_e32 v56, 0x80000000, v56
	v_lshl_add_u32 v30, v30, 23, v57
	v_or3_b32 v56, v56, v30, v52
.LBB553_287:
	s_or_b64 exec, exec, s[10:11]
.LBB553_288:
	s_or_b64 exec, exec, s[8:9]
.LBB553_289:
	s_or_b64 exec, exec, s[2:3]
	s_movk_i32 s2, 0xff
	v_and_b32_sdwa v52, v33, s2 dst_sel:DWORD dst_unused:UNUSED_PAD src0_sel:WORD_1 src1_sel:DWORD
	v_lshrrev_b32_e32 v30, 16, v33
	v_cmp_ne_u16_e32 vcc, 0, v52
	s_and_saveexec_b64 s[2:3], vcc
	s_cbranch_execz .LBB553_295
; %bb.290:
	s_movk_i32 s8, 0x80
	v_cmp_ne_u16_e32 vcc, s8, v52
	v_bfrev_b32_e32 v32, 1
	s_and_saveexec_b64 s[8:9], vcc
	s_cbranch_execz .LBB553_294
; %bb.291:
	v_bfe_u32 v52, v33, 16, 7
	s_movk_i32 s10, 0x7f
	v_cmp_ne_u32_e32 vcc, s10, v52
	v_mov_b32_e32 v32, 0x7f800001
	s_and_saveexec_b64 s[10:11], vcc
	s_cbranch_execz .LBB553_293
; %bb.292:
	v_and_b32_e32 v32, 7, v30
	v_ffbh_u32_e32 v58, v32
	v_min_u32_e32 v60, 32, v58
	v_subrev_u32_e32 v58, 28, v60
	v_lshlrev_b64 v[58:59], v58, v[30:31]
	v_lshrrev_b32_e32 v57, 3, v52
	v_sub_u32_e32 v30, 29, v60
	v_and_b32_e32 v58, 7, v58
	v_cmp_gt_u32_e32 vcc, 8, v52
	v_mov_b32_e32 v52, 24
	v_cndmask_b32_e32 v30, v57, v30, vcc
	v_cndmask_b32_e32 v32, v32, v58, vcc
	v_lshlrev_b32_sdwa v52, v52, v33 dst_sel:DWORD dst_unused:UNUSED_PAD src0_sel:DWORD src1_sel:WORD_1
	v_bfrev_b32_e32 v57, 60
	v_lshlrev_b32_e32 v32, 20, v32
	v_and_b32_e32 v52, 0x80000000, v52
	v_lshl_add_u32 v30, v30, 23, v57
	v_or3_b32 v32, v52, v30, v32
.LBB553_293:
	s_or_b64 exec, exec, s[10:11]
.LBB553_294:
	s_or_b64 exec, exec, s[8:9]
.LBB553_295:
	s_or_b64 exec, exec, s[2:3]
	s_mov_b32 s2, 0xffffff
	v_cmp_lt_u32_e32 vcc, s2, v33
	v_mov_b32_e32 v52, 0
	v_mov_b32_e32 v57, 0
	s_and_saveexec_b64 s[2:3], vcc
	s_cbranch_execz .LBB553_301
; %bb.296:
	v_lshrrev_b32_e32 v30, 24, v33
	s_movk_i32 s8, 0x80
	v_cmp_ne_u32_e32 vcc, s8, v30
	v_bfrev_b32_e32 v57, 1
	s_and_saveexec_b64 s[8:9], vcc
	s_cbranch_execz .LBB553_300
; %bb.297:
	v_bfe_u32 v33, v33, 24, 7
	s_movk_i32 s10, 0x7f
	v_cmp_ne_u32_e32 vcc, s10, v33
	v_mov_b32_e32 v57, 0x7f800001
	s_and_saveexec_b64 s[10:11], vcc
	s_cbranch_execz .LBB553_299
; %bb.298:
	v_and_b32_e32 v57, 7, v30
	v_ffbh_u32_e32 v58, v57
	v_min_u32_e32 v61, 32, v58
	v_subrev_u32_e32 v58, 28, v61
	v_lshlrev_b64 v[58:59], v58, v[30:31]
	v_lshrrev_b32_e32 v60, 3, v33
	v_sub_u32_e32 v59, 29, v61
	v_and_b32_e32 v58, 7, v58
	v_cmp_gt_u32_e32 vcc, 8, v33
	v_cndmask_b32_e32 v33, v60, v59, vcc
	v_cndmask_b32_e32 v57, v57, v58, vcc
	v_lshlrev_b32_e32 v30, 24, v30
	v_bfrev_b32_e32 v58, 60
	v_lshlrev_b32_e32 v57, 20, v57
	v_and_b32_e32 v30, 0x80000000, v30
	v_lshl_add_u32 v33, v33, 23, v58
	v_or3_b32 v57, v30, v33, v57
.LBB553_299:
	s_or_b64 exec, exec, s[10:11]
.LBB553_300:
	s_or_b64 exec, exec, s[8:9]
.LBB553_301:
	s_or_b64 exec, exec, s[2:3]
	v_cvt_pkrtz_f16_f32 v30, v51, v53
	v_cvt_pkrtz_f16_f32 v31, v31, v55
	v_cmp_ne_u16_sdwa s[8:9], v22, v52 src0_sel:BYTE_0 src1_sel:DWORD
	s_nop 0
	v_mfma_f32_16x16x16f16 v[42:45], v[30:31], v[18:19], v[42:45]
	v_cvt_pkrtz_f16_f32 v30, v54, v56
	v_cvt_pkrtz_f16_f32 v31, v32, v57
	s_nop 1
	v_mfma_f32_16x16x16f16 v[30:33], v[30:31], v[20:21], v[42:45]
	s_and_saveexec_b64 s[2:3], s[8:9]
	s_cbranch_execz .LBB553_307
; %bb.302:
	s_movk_i32 s8, 0x80
	v_cmp_ne_u16_sdwa s[10:11], v22, s8 src0_sel:BYTE_0 src1_sel:DWORD
	v_bfrev_b32_e32 v52, 1
	s_and_saveexec_b64 s[8:9], s[10:11]
	s_cbranch_execz .LBB553_306
; %bb.303:
	s_movk_i32 s10, 0x7f
	v_and_b32_e32 v42, 0x7f, v22
	v_cmp_ne_u32_e32 vcc, s10, v42
	v_mov_b32_e32 v52, 0x7f800001
	s_and_saveexec_b64 s[10:11], vcc
	s_cbranch_execz .LBB553_305
; %bb.304:
	v_and_b32_e32 v43, 7, v22
	v_ffbh_u32_e32 v44, v43
	v_min_u32_e32 v52, 32, v44
	v_subrev_u32_e32 v44, 28, v52
	v_lshlrev_b64 v[44:45], v44, v[22:23]
	v_lshrrev_b32_e32 v51, 3, v42
	v_sub_u32_e32 v45, 29, v52
	v_and_b32_e32 v44, 7, v44
	v_cmp_gt_u32_e32 vcc, 8, v42
	v_cndmask_b32_e32 v42, v51, v45, vcc
	v_cndmask_b32_e32 v43, v43, v44, vcc
	v_lshlrev_b32_e32 v44, 24, v22
	v_bfrev_b32_e32 v45, 60
	v_lshlrev_b32_e32 v43, 20, v43
	v_and_b32_e32 v44, 0x80000000, v44
	v_lshl_add_u32 v42, v42, 23, v45
	v_or3_b32 v52, v44, v42, v43
.LBB553_305:
	s_or_b64 exec, exec, s[10:11]
.LBB553_306:
	s_or_b64 exec, exec, s[8:9]
.LBB553_307:
	s_or_b64 exec, exec, s[2:3]
	s_nop 3
	v_lshrrev_b16_e32 v42, 8, v22
	v_cmp_ne_u16_e32 vcc, 0, v42
	v_mov_b32_e32 v43, 0
	v_mov_b32_e32 v44, 0
	s_and_saveexec_b64 s[2:3], vcc
	s_cbranch_execz .LBB553_313
; %bb.308:
	s_movk_i32 s8, 0x80
	v_cmp_ne_u16_e32 vcc, s8, v42
	v_bfrev_b32_e32 v44, 1
	s_and_saveexec_b64 s[8:9], vcc
	s_cbranch_execz .LBB553_312
; %bb.309:
	s_movk_i32 s10, 0x7f
	v_and_b32_e32 v45, 0x7f, v42
	v_cmp_ne_u32_e32 vcc, s10, v45
	v_mov_b32_e32 v44, 0x7f800001
	s_and_saveexec_b64 s[10:11], vcc
	s_cbranch_execz .LBB553_311
; %bb.310:
	v_and_b32_e32 v44, 7, v42
	v_ffbh_u32_e32 v53, v44
	v_min_u32_e32 v53, 32, v53
	v_subrev_u32_e32 v54, 28, v53
	v_lshlrev_b64 v[54:55], v54, v[42:43]
	v_lshrrev_b32_e32 v51, 3, v45
	v_sub_u32_e32 v42, 29, v53
	v_and_b32_e32 v53, 7, v54
	v_cmp_gt_u32_e32 vcc, 8, v45
	v_cndmask_b32_e32 v42, v51, v42, vcc
	v_cndmask_b32_e32 v44, v44, v53, vcc
	v_lshlrev_b32_e32 v45, 16, v22
	v_bfrev_b32_e32 v51, 60
	v_lshlrev_b32_e32 v44, 20, v44
	v_and_b32_e32 v45, 0x80000000, v45
	v_lshl_add_u32 v42, v42, 23, v51
	v_or3_b32 v44, v45, v42, v44
.LBB553_311:
	s_or_b64 exec, exec, s[10:11]
.LBB553_312:
	s_or_b64 exec, exec, s[8:9]
.LBB553_313:
	s_or_b64 exec, exec, s[2:3]
	s_movk_i32 s2, 0xff
	v_and_b32_sdwa v45, v22, s2 dst_sel:DWORD dst_unused:UNUSED_PAD src0_sel:WORD_1 src1_sel:DWORD
	v_lshrrev_b32_e32 v42, 16, v22
	v_cmp_ne_u16_e32 vcc, 0, v45
	s_and_saveexec_b64 s[2:3], vcc
	s_cbranch_execz .LBB553_319
; %bb.314:
	s_movk_i32 s8, 0x80
	v_cmp_ne_u16_e32 vcc, s8, v45
	v_bfrev_b32_e32 v43, 1
	s_and_saveexec_b64 s[8:9], vcc
	s_cbranch_execz .LBB553_318
; %bb.315:
	v_bfe_u32 v45, v22, 16, 7
	s_movk_i32 s10, 0x7f
	v_cmp_ne_u32_e32 vcc, s10, v45
	v_mov_b32_e32 v43, 0x7f800001
	s_and_saveexec_b64 s[10:11], vcc
	s_cbranch_execz .LBB553_317
; %bb.316:
	v_and_b32_e32 v51, 7, v42
	v_ffbh_u32_e32 v43, v51
	v_min_u32_e32 v54, 32, v43
	v_subrev_u32_e32 v43, 28, v54
	v_lshlrev_b64 v[42:43], v43, v[42:43]
	v_lshrrev_b32_e32 v53, 3, v45
	v_sub_u32_e32 v43, 29, v54
	v_and_b32_e32 v42, 7, v42
	v_cmp_gt_u32_e32 vcc, 8, v45
	v_mov_b32_e32 v45, 24
	v_cndmask_b32_e32 v43, v53, v43, vcc
	v_cndmask_b32_e32 v42, v51, v42, vcc
	v_lshlrev_b32_sdwa v45, v45, v22 dst_sel:DWORD dst_unused:UNUSED_PAD src0_sel:DWORD src1_sel:WORD_1
	v_bfrev_b32_e32 v51, 60
	v_lshlrev_b32_e32 v42, 20, v42
	v_and_b32_e32 v45, 0x80000000, v45
	v_lshl_add_u32 v43, v43, 23, v51
	v_or3_b32 v43, v45, v43, v42
.LBB553_317:
	s_or_b64 exec, exec, s[10:11]
.LBB553_318:
	s_or_b64 exec, exec, s[8:9]
.LBB553_319:
	s_or_b64 exec, exec, s[2:3]
	s_mov_b32 s2, 0xffffff
	v_cmp_lt_u32_e32 vcc, s2, v22
	v_mov_b32_e32 v45, 0
	v_mov_b32_e32 v51, 0
	s_and_saveexec_b64 s[2:3], vcc
	s_cbranch_execz .LBB553_325
; %bb.320:
	v_lshrrev_b32_e32 v42, 24, v22
	s_movk_i32 s8, 0x80
	v_cmp_ne_u32_e32 vcc, s8, v42
	v_bfrev_b32_e32 v51, 1
	s_and_saveexec_b64 s[8:9], vcc
	s_cbranch_execz .LBB553_324
; %bb.321:
	v_bfe_u32 v22, v22, 24, 7
	s_movk_i32 s10, 0x7f
	v_cmp_ne_u32_e32 vcc, s10, v22
	v_mov_b32_e32 v51, 0x7f800001
	s_and_saveexec_b64 s[10:11], vcc
	s_cbranch_execz .LBB553_323
; %bb.322:
	v_and_b32_e32 v51, 7, v42
	v_ffbh_u32_e32 v54, v51
	v_min_u32_e32 v56, 32, v54
	v_subrev_u32_e32 v54, 28, v56
	v_lshlrev_b64 v[54:55], v54, v[42:43]
	v_lshrrev_b32_e32 v53, 3, v22
	v_sub_u32_e32 v55, 29, v56
	v_and_b32_e32 v54, 7, v54
	v_cmp_gt_u32_e32 vcc, 8, v22
	v_cndmask_b32_e32 v22, v53, v55, vcc
	v_cndmask_b32_e32 v51, v51, v54, vcc
	v_lshlrev_b32_e32 v42, 24, v42
	v_bfrev_b32_e32 v53, 60
	v_lshlrev_b32_e32 v51, 20, v51
	v_and_b32_e32 v42, 0x80000000, v42
	v_lshl_add_u32 v22, v22, 23, v53
	v_or3_b32 v51, v42, v22, v51
.LBB553_323:
	s_or_b64 exec, exec, s[10:11]
.LBB553_324:
	s_or_b64 exec, exec, s[8:9]
.LBB553_325:
	s_or_b64 exec, exec, s[2:3]
	v_cmp_ne_u16_sdwa s[8:9], v23, v45 src0_sel:BYTE_0 src1_sel:DWORD
	s_and_saveexec_b64 s[2:3], s[8:9]
	s_cbranch_execz .LBB553_331
; %bb.326:
	s_movk_i32 s8, 0x80
	v_cmp_ne_u16_sdwa s[10:11], v23, s8 src0_sel:BYTE_0 src1_sel:DWORD
	v_bfrev_b32_e32 v45, 1
	s_and_saveexec_b64 s[8:9], s[10:11]
	s_cbranch_execz .LBB553_330
; %bb.327:
	s_movk_i32 s10, 0x7f
	v_and_b32_e32 v22, 0x7f, v23
	v_cmp_ne_u32_e32 vcc, s10, v22
	v_mov_b32_e32 v45, 0x7f800001
	s_and_saveexec_b64 s[10:11], vcc
	s_cbranch_execz .LBB553_329
; %bb.328:
	v_and_b32_e32 v45, 7, v23
	v_ffbh_u32_e32 v54, v45
	v_min_u32_e32 v56, 32, v54
	v_mov_b32_e32 v42, v23
	v_subrev_u32_e32 v54, 28, v56
	v_lshlrev_b64 v[54:55], v54, v[42:43]
	v_lshrrev_b32_e32 v53, 3, v22
	v_sub_u32_e32 v42, 29, v56
	v_and_b32_e32 v54, 7, v54
	v_cmp_gt_u32_e32 vcc, 8, v22
	v_cndmask_b32_e32 v22, v53, v42, vcc
	v_cndmask_b32_e32 v42, v45, v54, vcc
	v_lshlrev_b32_e32 v45, 24, v23
	v_bfrev_b32_e32 v53, 60
	v_lshlrev_b32_e32 v42, 20, v42
	v_and_b32_e32 v45, 0x80000000, v45
	v_lshl_add_u32 v22, v22, 23, v53
	v_or3_b32 v45, v45, v22, v42
.LBB553_329:
	s_or_b64 exec, exec, s[10:11]
.LBB553_330:
	s_or_b64 exec, exec, s[8:9]
.LBB553_331:
	s_or_b64 exec, exec, s[2:3]
	v_lshrrev_b16_e32 v22, 8, v23
	v_cmp_ne_u16_e32 vcc, 0, v22
	v_mov_b32_e32 v53, 0
	v_mov_b32_e32 v54, 0
	s_and_saveexec_b64 s[2:3], vcc
	s_cbranch_execz .LBB553_337
; %bb.332:
	s_movk_i32 s8, 0x80
	v_cmp_ne_u16_e32 vcc, s8, v22
	v_bfrev_b32_e32 v54, 1
	s_and_saveexec_b64 s[8:9], vcc
	s_cbranch_execz .LBB553_336
; %bb.333:
	s_movk_i32 s10, 0x7f
	v_and_b32_e32 v42, 0x7f, v22
	v_cmp_ne_u32_e32 vcc, s10, v42
	v_mov_b32_e32 v54, 0x7f800001
	s_and_saveexec_b64 s[10:11], vcc
	s_cbranch_execz .LBB553_335
; %bb.334:
	v_and_b32_e32 v56, 7, v22
	v_ffbh_u32_e32 v54, v56
	v_min_u32_e32 v58, 32, v54
	v_subrev_u32_e32 v54, 28, v58
	v_lshlrev_b64 v[54:55], v54, v[22:23]
	v_lshrrev_b32_e32 v57, 3, v42
	v_sub_u32_e32 v22, 29, v58
	v_and_b32_e32 v54, 7, v54
	v_cmp_gt_u32_e32 vcc, 8, v42
	v_cndmask_b32_e32 v22, v57, v22, vcc
	v_cndmask_b32_e32 v42, v56, v54, vcc
	v_lshlrev_b32_e32 v54, 16, v23
	v_bfrev_b32_e32 v55, 60
	v_lshlrev_b32_e32 v42, 20, v42
	v_and_b32_e32 v54, 0x80000000, v54
	v_lshl_add_u32 v22, v22, 23, v55
	v_or3_b32 v54, v54, v22, v42
.LBB553_335:
	s_or_b64 exec, exec, s[10:11]
.LBB553_336:
	s_or_b64 exec, exec, s[8:9]
.LBB553_337:
	s_or_b64 exec, exec, s[2:3]
	s_movk_i32 s2, 0xff
	v_and_b32_sdwa v42, v23, s2 dst_sel:DWORD dst_unused:UNUSED_PAD src0_sel:WORD_1 src1_sel:DWORD
	v_lshrrev_b32_e32 v22, 16, v23
	v_cmp_ne_u16_e32 vcc, 0, v42
	s_and_saveexec_b64 s[2:3], vcc
	s_cbranch_execz .LBB553_343
; %bb.338:
	s_movk_i32 s8, 0x80
	v_cmp_ne_u16_e32 vcc, s8, v42
	v_bfrev_b32_e32 v53, 1
	s_and_saveexec_b64 s[8:9], vcc
	s_cbranch_execz .LBB553_342
; %bb.339:
	v_bfe_u32 v42, v23, 16, 7
	s_movk_i32 s10, 0x7f
	v_cmp_ne_u32_e32 vcc, s10, v42
	v_mov_b32_e32 v53, 0x7f800001
	s_and_saveexec_b64 s[10:11], vcc
	s_cbranch_execz .LBB553_341
; %bb.340:
	v_and_b32_e32 v53, 7, v22
	v_ffbh_u32_e32 v56, v53
	v_min_u32_e32 v58, 32, v56
	v_subrev_u32_e32 v56, 28, v58
	v_lshlrev_b64 v[56:57], v56, v[22:23]
	v_and_b32_e32 v56, 7, v56
	v_cmp_gt_u32_e32 vcc, 8, v42
	v_lshrrev_b32_e32 v55, 3, v42
	v_sub_u32_e32 v22, 29, v58
	v_cndmask_b32_e32 v42, v53, v56, vcc
	v_mov_b32_e32 v53, 24
	v_cndmask_b32_e32 v22, v55, v22, vcc
	v_lshlrev_b32_sdwa v53, v53, v23 dst_sel:DWORD dst_unused:UNUSED_PAD src0_sel:DWORD src1_sel:WORD_1
	v_bfrev_b32_e32 v55, 60
	v_lshlrev_b32_e32 v42, 20, v42
	v_and_b32_e32 v53, 0x80000000, v53
	v_lshl_add_u32 v22, v22, 23, v55
	v_or3_b32 v53, v53, v22, v42
.LBB553_341:
	s_or_b64 exec, exec, s[10:11]
.LBB553_342:
	s_or_b64 exec, exec, s[8:9]
.LBB553_343:
	s_or_b64 exec, exec, s[2:3]
	s_mov_b32 s2, 0xffffff
	v_cmp_lt_u32_e32 vcc, s2, v23
	v_mov_b32_e32 v42, 0
	v_mov_b32_e32 v55, 0
	s_and_saveexec_b64 s[2:3], vcc
	s_cbranch_execz .LBB553_349
; %bb.344:
	v_lshrrev_b32_e32 v22, 24, v23
	s_movk_i32 s8, 0x80
	v_cmp_ne_u32_e32 vcc, s8, v22
	v_bfrev_b32_e32 v55, 1
	s_and_saveexec_b64 s[8:9], vcc
	s_cbranch_execz .LBB553_348
; %bb.345:
	v_bfe_u32 v23, v23, 24, 7
	s_movk_i32 s10, 0x7f
	v_cmp_ne_u32_e32 vcc, s10, v23
	v_mov_b32_e32 v55, 0x7f800001
	s_and_saveexec_b64 s[10:11], vcc
	s_cbranch_execz .LBB553_347
; %bb.346:
	v_and_b32_e32 v55, 7, v22
	v_ffbh_u32_e32 v56, v55
	v_min_u32_e32 v59, 32, v56
	v_subrev_u32_e32 v56, 28, v59
	v_lshlrev_b64 v[56:57], v56, v[22:23]
	v_lshrrev_b32_e32 v58, 3, v23
	v_sub_u32_e32 v57, 29, v59
	v_and_b32_e32 v56, 7, v56
	v_cmp_gt_u32_e32 vcc, 8, v23
	v_cndmask_b32_e32 v23, v58, v57, vcc
	v_cndmask_b32_e32 v55, v55, v56, vcc
	v_lshlrev_b32_e32 v22, 24, v22
	v_bfrev_b32_e32 v56, 60
	v_lshlrev_b32_e32 v55, 20, v55
	v_and_b32_e32 v22, 0x80000000, v22
	v_lshl_add_u32 v23, v23, 23, v56
	v_or3_b32 v55, v22, v23, v55
.LBB553_347:
	s_or_b64 exec, exec, s[10:11]
.LBB553_348:
	s_or_b64 exec, exec, s[8:9]
.LBB553_349:
	s_or_b64 exec, exec, s[2:3]
	v_cvt_pkrtz_f16_f32 v22, v52, v44
	v_cvt_pkrtz_f16_f32 v23, v43, v51
	v_cmp_ne_u16_sdwa s[8:9], v24, v42 src0_sel:BYTE_0 src1_sel:DWORD
	s_nop 0
	v_mfma_f32_16x16x16f16 v[56:59], v[22:23], v[26:27], 0
	v_cvt_pkrtz_f16_f32 v22, v45, v54
	v_cvt_pkrtz_f16_f32 v23, v53, v55
	s_nop 1
	v_mfma_f32_16x16x16f16 v[26:29], v[22:23], v[28:29], v[56:59]
	s_and_saveexec_b64 s[2:3], s[8:9]
	s_cbranch_execz .LBB553_355
; %bb.350:
	s_movk_i32 s8, 0x80
	v_cmp_ne_u16_sdwa s[10:11], v24, s8 src0_sel:BYTE_0 src1_sel:DWORD
	v_bfrev_b32_e32 v42, 1
	s_and_saveexec_b64 s[8:9], s[10:11]
	s_cbranch_execz .LBB553_354
; %bb.351:
	s_movk_i32 s10, 0x7f
	v_and_b32_e32 v22, 0x7f, v24
	v_cmp_ne_u32_e32 vcc, s10, v22
	v_mov_b32_e32 v42, 0x7f800001
	s_and_saveexec_b64 s[10:11], vcc
	s_cbranch_execz .LBB553_353
; %bb.352:
	v_and_b32_e32 v23, 7, v24
	v_ffbh_u32_e32 v42, v23
	v_min_u32_e32 v45, 32, v42
	v_subrev_u32_e32 v42, 28, v45
	v_lshlrev_b64 v[42:43], v42, v[24:25]
	v_lshrrev_b32_e32 v44, 3, v22
	v_sub_u32_e32 v43, 29, v45
	v_and_b32_e32 v42, 7, v42
	v_cmp_gt_u32_e32 vcc, 8, v22
	v_cndmask_b32_e32 v22, v44, v43, vcc
	v_cndmask_b32_e32 v23, v23, v42, vcc
	v_lshlrev_b32_e32 v42, 24, v24
	v_bfrev_b32_e32 v43, 60
	v_lshlrev_b32_e32 v23, 20, v23
	v_and_b32_e32 v42, 0x80000000, v42
	v_lshl_add_u32 v22, v22, 23, v43
	v_or3_b32 v42, v42, v22, v23
.LBB553_353:
	s_or_b64 exec, exec, s[10:11]
.LBB553_354:
	s_or_b64 exec, exec, s[8:9]
.LBB553_355:
	s_or_b64 exec, exec, s[2:3]
	v_lshrrev_b16_e32 v22, 8, v24
	v_cmp_ne_u16_e32 vcc, 0, v22
	v_mov_b32_e32 v23, 0
	v_mov_b32_e32 v43, 0
	s_and_saveexec_b64 s[2:3], vcc
	s_cbranch_execz .LBB553_361
; %bb.356:
	s_movk_i32 s8, 0x80
	v_cmp_ne_u16_e32 vcc, s8, v22
	v_bfrev_b32_e32 v43, 1
	s_and_saveexec_b64 s[8:9], vcc
	s_cbranch_execz .LBB553_360
; %bb.357:
	s_movk_i32 s10, 0x7f
	v_and_b32_e32 v44, 0x7f, v22
	v_cmp_ne_u32_e32 vcc, s10, v44
	v_mov_b32_e32 v43, 0x7f800001
	s_and_saveexec_b64 s[10:11], vcc
	s_cbranch_execz .LBB553_359
; %bb.358:
	v_and_b32_e32 v43, 7, v22
	v_ffbh_u32_e32 v51, v43
	v_min_u32_e32 v51, 32, v51
	v_subrev_u32_e32 v52, 28, v51
	v_lshlrev_b64 v[52:53], v52, v[22:23]
	v_lshrrev_b32_e32 v45, 3, v44
	v_sub_u32_e32 v22, 29, v51
	v_and_b32_e32 v51, 7, v52
	v_cmp_gt_u32_e32 vcc, 8, v44
	v_cndmask_b32_e32 v22, v45, v22, vcc
	v_cndmask_b32_e32 v43, v43, v51, vcc
	v_lshlrev_b32_e32 v44, 16, v24
	v_bfrev_b32_e32 v45, 60
	v_lshlrev_b32_e32 v43, 20, v43
	v_and_b32_e32 v44, 0x80000000, v44
	v_lshl_add_u32 v22, v22, 23, v45
	v_or3_b32 v43, v44, v22, v43
.LBB553_359:
	s_or_b64 exec, exec, s[10:11]
.LBB553_360:
	s_or_b64 exec, exec, s[8:9]
.LBB553_361:
	s_or_b64 exec, exec, s[2:3]
	s_movk_i32 s2, 0xff
	v_and_b32_sdwa v44, v24, s2 dst_sel:DWORD dst_unused:UNUSED_PAD src0_sel:WORD_1 src1_sel:DWORD
	v_lshrrev_b32_e32 v22, 16, v24
	v_cmp_ne_u16_e32 vcc, 0, v44
	s_and_saveexec_b64 s[2:3], vcc
	s_cbranch_execz .LBB553_367
; %bb.362:
	s_movk_i32 s8, 0x80
	v_cmp_ne_u16_e32 vcc, s8, v44
	v_bfrev_b32_e32 v23, 1
	s_and_saveexec_b64 s[8:9], vcc
	s_cbranch_execz .LBB553_366
; %bb.363:
	v_bfe_u32 v44, v24, 16, 7
	s_movk_i32 s10, 0x7f
	v_cmp_ne_u32_e32 vcc, s10, v44
	v_mov_b32_e32 v23, 0x7f800001
	s_and_saveexec_b64 s[10:11], vcc
	s_cbranch_execz .LBB553_365
; %bb.364:
	v_and_b32_e32 v45, 7, v22
	v_ffbh_u32_e32 v23, v45
	v_min_u32_e32 v52, 32, v23
	v_subrev_u32_e32 v23, 28, v52
	v_lshlrev_b64 v[22:23], v23, v[22:23]
	v_lshrrev_b32_e32 v51, 3, v44
	v_sub_u32_e32 v23, 29, v52
	v_and_b32_e32 v22, 7, v22
	v_cmp_gt_u32_e32 vcc, 8, v44
	v_mov_b32_e32 v44, 24
	v_cndmask_b32_e32 v23, v51, v23, vcc
	v_cndmask_b32_e32 v22, v45, v22, vcc
	v_lshlrev_b32_sdwa v44, v44, v24 dst_sel:DWORD dst_unused:UNUSED_PAD src0_sel:DWORD src1_sel:WORD_1
	v_bfrev_b32_e32 v45, 60
	v_lshlrev_b32_e32 v22, 20, v22
	v_and_b32_e32 v44, 0x80000000, v44
	v_lshl_add_u32 v23, v23, 23, v45
	v_or3_b32 v23, v44, v23, v22
.LBB553_365:
	s_or_b64 exec, exec, s[10:11]
.LBB553_366:
	s_or_b64 exec, exec, s[8:9]
.LBB553_367:
	s_or_b64 exec, exec, s[2:3]
	s_mov_b32 s2, 0xffffff
	v_cmp_lt_u32_e32 vcc, s2, v24
	v_mov_b32_e32 v45, 0
	v_mov_b32_e32 v51, 0
	s_and_saveexec_b64 s[2:3], vcc
	s_cbranch_execz .LBB553_373
; %bb.368:
	v_lshrrev_b32_e32 v22, 24, v24
	s_movk_i32 s8, 0x80
	v_cmp_ne_u32_e32 vcc, s8, v22
	v_bfrev_b32_e32 v51, 1
	s_and_saveexec_b64 s[8:9], vcc
	s_cbranch_execz .LBB553_372
; %bb.369:
	v_bfe_u32 v24, v24, 24, 7
	s_movk_i32 s10, 0x7f
	v_cmp_ne_u32_e32 vcc, s10, v24
	v_mov_b32_e32 v51, 0x7f800001
	s_and_saveexec_b64 s[10:11], vcc
	s_cbranch_execz .LBB553_371
; %bb.370:
	v_and_b32_e32 v44, 7, v22
	v_ffbh_u32_e32 v52, v44
	v_min_u32_e32 v54, 32, v52
	v_subrev_u32_e32 v52, 28, v54
	v_lshlrev_b64 v[52:53], v52, v[22:23]
	v_lshrrev_b32_e32 v51, 3, v24
	v_sub_u32_e32 v53, 29, v54
	v_and_b32_e32 v52, 7, v52
	v_cmp_gt_u32_e32 vcc, 8, v24
	v_cndmask_b32_e32 v24, v51, v53, vcc
	v_cndmask_b32_e32 v44, v44, v52, vcc
	v_lshlrev_b32_e32 v22, 24, v22
	v_bfrev_b32_e32 v51, 60
	v_lshlrev_b32_e32 v44, 20, v44
	v_and_b32_e32 v22, 0x80000000, v22
	v_lshl_add_u32 v24, v24, 23, v51
	v_or3_b32 v51, v22, v24, v44
.LBB553_371:
	s_or_b64 exec, exec, s[10:11]
.LBB553_372:
	s_or_b64 exec, exec, s[8:9]
.LBB553_373:
	s_or_b64 exec, exec, s[2:3]
	v_cmp_ne_u16_sdwa s[8:9], v25, v45 src0_sel:BYTE_0 src1_sel:DWORD
	s_and_saveexec_b64 s[2:3], s[8:9]
	s_cbranch_execz .LBB553_379
; %bb.374:
	s_movk_i32 s8, 0x80
	v_cmp_ne_u16_sdwa s[10:11], v25, s8 src0_sel:BYTE_0 src1_sel:DWORD
	v_bfrev_b32_e32 v45, 1
	s_and_saveexec_b64 s[8:9], s[10:11]
	s_cbranch_execz .LBB553_378
; %bb.375:
	s_movk_i32 s10, 0x7f
	v_and_b32_e32 v22, 0x7f, v25
	v_cmp_ne_u32_e32 vcc, s10, v22
	v_mov_b32_e32 v45, 0x7f800001
	s_and_saveexec_b64 s[10:11], vcc
	s_cbranch_execz .LBB553_377
; %bb.376:
	v_and_b32_e32 v52, 7, v25
	v_ffbh_u32_e32 v44, v52
	v_min_u32_e32 v54, 32, v44
	v_mov_b32_e32 v24, v25
	v_subrev_u32_e32 v44, 28, v54
	v_lshlrev_b64 v[44:45], v44, v[24:25]
	v_lshrrev_b32_e32 v53, 3, v22
	v_sub_u32_e32 v24, 29, v54
	v_and_b32_e32 v44, 7, v44
	v_cmp_gt_u32_e32 vcc, 8, v22
	v_cndmask_b32_e32 v22, v53, v24, vcc
	v_cndmask_b32_e32 v24, v52, v44, vcc
	v_lshlrev_b32_e32 v44, 24, v25
	v_bfrev_b32_e32 v45, 60
	v_lshlrev_b32_e32 v24, 20, v24
	v_and_b32_e32 v44, 0x80000000, v44
	v_lshl_add_u32 v22, v22, 23, v45
	v_or3_b32 v45, v44, v22, v24
.LBB553_377:
	s_or_b64 exec, exec, s[10:11]
.LBB553_378:
	s_or_b64 exec, exec, s[8:9]
.LBB553_379:
	s_or_b64 exec, exec, s[2:3]
	v_lshrrev_b16_e32 v22, 8, v25
	v_cmp_ne_u16_e32 vcc, 0, v22
	v_mov_b32_e32 v52, 0
	v_mov_b32_e32 v53, 0
	s_and_saveexec_b64 s[2:3], vcc
	s_cbranch_execz .LBB553_385
; %bb.380:
	s_movk_i32 s8, 0x80
	v_cmp_ne_u16_e32 vcc, s8, v22
	v_bfrev_b32_e32 v53, 1
	s_and_saveexec_b64 s[8:9], vcc
	s_cbranch_execz .LBB553_384
; %bb.381:
	s_movk_i32 s10, 0x7f
	v_and_b32_e32 v24, 0x7f, v22
	v_cmp_ne_u32_e32 vcc, s10, v24
	v_mov_b32_e32 v53, 0x7f800001
	s_and_saveexec_b64 s[10:11], vcc
	s_cbranch_execz .LBB553_383
; %bb.382:
	v_and_b32_e32 v44, 7, v22
	v_ffbh_u32_e32 v54, v44
	v_min_u32_e32 v56, 32, v54
	v_subrev_u32_e32 v54, 28, v56
	v_lshlrev_b64 v[54:55], v54, v[22:23]
	v_lshrrev_b32_e32 v53, 3, v24
	v_sub_u32_e32 v22, 29, v56
	v_and_b32_e32 v54, 7, v54
	v_cmp_gt_u32_e32 vcc, 8, v24
	v_cndmask_b32_e32 v22, v53, v22, vcc
	v_cndmask_b32_e32 v24, v44, v54, vcc
	v_lshlrev_b32_e32 v44, 16, v25
	v_bfrev_b32_e32 v53, 60
	v_lshlrev_b32_e32 v24, 20, v24
	v_and_b32_e32 v44, 0x80000000, v44
	v_lshl_add_u32 v22, v22, 23, v53
	v_or3_b32 v53, v44, v22, v24
.LBB553_383:
	s_or_b64 exec, exec, s[10:11]
.LBB553_384:
	s_or_b64 exec, exec, s[8:9]
.LBB553_385:
	s_or_b64 exec, exec, s[2:3]
	s_movk_i32 s2, 0xff
	v_and_b32_sdwa v24, v25, s2 dst_sel:DWORD dst_unused:UNUSED_PAD src0_sel:WORD_1 src1_sel:DWORD
	v_lshrrev_b32_e32 v22, 16, v25
	v_cmp_ne_u16_e32 vcc, 0, v24
	s_and_saveexec_b64 s[2:3], vcc
	s_cbranch_execz .LBB553_391
; %bb.386:
	s_movk_i32 s8, 0x80
	v_cmp_ne_u16_e32 vcc, s8, v24
	v_bfrev_b32_e32 v52, 1
	s_and_saveexec_b64 s[8:9], vcc
	s_cbranch_execz .LBB553_390
; %bb.387:
	v_bfe_u32 v24, v25, 16, 7
	s_movk_i32 s10, 0x7f
	v_cmp_ne_u32_e32 vcc, s10, v24
	v_mov_b32_e32 v52, 0x7f800001
	s_and_saveexec_b64 s[10:11], vcc
	s_cbranch_execz .LBB553_389
; %bb.388:
	v_and_b32_e32 v44, 7, v22
	v_ffbh_u32_e32 v54, v44
	v_min_u32_e32 v56, 32, v54
	v_subrev_u32_e32 v54, 28, v56
	v_lshlrev_b64 v[54:55], v54, v[22:23]
	v_and_b32_e32 v54, 7, v54
	v_cmp_gt_u32_e32 vcc, 8, v24
	v_lshrrev_b32_e32 v52, 3, v24
	v_sub_u32_e32 v22, 29, v56
	v_cndmask_b32_e32 v24, v44, v54, vcc
	v_mov_b32_e32 v44, 24
	v_cndmask_b32_e32 v22, v52, v22, vcc
	v_lshlrev_b32_sdwa v44, v44, v25 dst_sel:DWORD dst_unused:UNUSED_PAD src0_sel:DWORD src1_sel:WORD_1
	v_bfrev_b32_e32 v52, 60
	v_lshlrev_b32_e32 v24, 20, v24
	v_and_b32_e32 v44, 0x80000000, v44
	v_lshl_add_u32 v22, v22, 23, v52
	v_or3_b32 v52, v44, v22, v24
.LBB553_389:
	s_or_b64 exec, exec, s[10:11]
.LBB553_390:
	s_or_b64 exec, exec, s[8:9]
.LBB553_391:
	s_or_b64 exec, exec, s[2:3]
	s_mov_b32 s2, 0xffffff
	v_and_b32_e32 v44, 63, v0
	v_cmp_lt_u32_e32 vcc, s2, v25
	v_mov_b32_e32 v54, 0
	s_and_saveexec_b64 s[2:3], vcc
	s_cbranch_execz .LBB553_397
; %bb.392:
	v_lshrrev_b32_e32 v22, 24, v25
	s_movk_i32 s8, 0x80
	v_cmp_ne_u32_e32 vcc, s8, v22
	v_bfrev_b32_e32 v54, 1
	s_and_saveexec_b64 s[8:9], vcc
	s_cbranch_execz .LBB553_396
; %bb.393:
	v_bfe_u32 v24, v25, 24, 7
	s_movk_i32 s10, 0x7f
	v_cmp_ne_u32_e32 vcc, s10, v24
	v_mov_b32_e32 v54, 0x7f800001
	s_and_saveexec_b64 s[10:11], vcc
	s_cbranch_execz .LBB553_395
; %bb.394:
	v_and_b32_e32 v25, 7, v22
	v_ffbh_u32_e32 v54, v25
	v_min_u32_e32 v57, 32, v54
	v_subrev_u32_e32 v54, 28, v57
	v_lshlrev_b64 v[54:55], v54, v[22:23]
	v_lshrrev_b32_e32 v56, 3, v24
	v_sub_u32_e32 v55, 29, v57
	v_and_b32_e32 v54, 7, v54
	v_cmp_gt_u32_e32 vcc, 8, v24
	v_cndmask_b32_e32 v24, v56, v55, vcc
	v_cndmask_b32_e32 v25, v25, v54, vcc
	v_lshlrev_b32_e32 v22, 24, v22
	v_bfrev_b32_e32 v54, 60
	v_lshlrev_b32_e32 v25, 20, v25
	v_and_b32_e32 v22, 0x80000000, v22
	v_lshl_add_u32 v24, v24, 23, v54
	v_or3_b32 v54, v22, v24, v25
.LBB553_395:
	s_or_b64 exec, exec, s[10:11]
.LBB553_396:
	s_or_b64 exec, exec, s[8:9]
.LBB553_397:
	s_or_b64 exec, exec, s[2:3]
	v_cvt_pkrtz_f16_f32 v42, v42, v43
	v_cvt_pkrtz_f16_f32 v43, v23, v51
	s_load_dword s2, s[4:5], 0x1c
	s_mov_b32 s46, 0xff7fffff
	s_waitcnt lgkmcnt(0)
	v_mfma_f32_16x16x16f16 v[26:29], v[42:43], v[18:19], v[26:29]
	v_cvt_pkrtz_f16_f32 v18, v45, v53
	v_cvt_pkrtz_f16_f32 v19, v52, v54
	v_mov_b32_e32 v22, s2
	v_mul_f32_e32 v56, s12, v22
	v_pk_mul_f32 v[22:23], v[56:57], v[32:33] op_sel_hi:[0,1]
	v_pk_mul_f32 v[32:33], v[56:57], v[38:39] op_sel_hi:[0,1]
	v_and_b32_e32 v38, 0xc0, v0
	v_mfma_f32_16x16x16f16 v[26:29], v[18:19], v[20:21], v[26:29]
	v_add_u32_e32 v38, s18, v38
	v_lshl_or_b32 v38, v1, 2, v38
	v_or_b32_e32 v39, 1, v38
	v_pk_mul_f32 v[24:25], v[56:57], v[30:31] op_sel_hi:[0,1]
	v_pk_mul_f32 v[30:31], v[56:57], v[40:41] op_sel_hi:[0,1]
	v_subrev_u32_e32 v40, s33, v39
	v_pk_mul_f32 v[34:35], v[56:57], v[34:35] op_sel_hi:[0,1]
	s_nop 3
	v_pk_mul_f32 v[20:21], v[56:57], v[26:27] op_sel_hi:[0,1]
	v_add_u32_e32 v27, 1, v40
	v_pk_mul_f32 v[18:19], v[56:57], v[28:29] op_sel_hi:[0,1]
	v_cvt_f32_i32_e32 v27, v27
	v_add_u32_e32 v29, 3, v40
	v_cvt_f32_i32_e32 v29, v29
	v_cvt_f32_i32_e32 v26, v40
	v_pk_mul_f32 v[36:37], v[56:57], v[36:37] op_sel_hi:[0,1]
	v_fmac_f32_e32 v35, v50, v27
	v_add_u32_e32 v27, 16, v40
	v_fmac_f32_e32 v37, v50, v29
	v_cvt_f32_i32_e32 v27, v27
	v_add_u32_e32 v29, 17, v40
	v_fma_f32 v26, v50, v26, v34
	v_cvt_f32_i32_e32 v29, v29
	v_add_u32_e32 v34, 18, v40
	v_cvt_f32_i32_e32 v34, v34
	v_fma_f32 v41, v50, v27, v32
	v_add_u32_e32 v27, 32, v40
	v_fmac_f32_e32 v33, v50, v29
	v_cvt_f32_i32_e32 v27, v27
	v_add_u32_e32 v29, 33, v40
	v_add_u32_e32 v32, 34, v40
	v_fma_f32 v30, v50, v34, v30
	v_cvt_f32_i32_e32 v29, v29
	v_cvt_f32_i32_e32 v32, v32
	v_add_u32_e32 v34, 35, v40
	v_cvt_f32_i32_e32 v34, v34
	v_fma_f32 v24, v50, v27, v24
	v_add_u32_e32 v27, 48, v40
	v_fmac_f32_e32 v25, v50, v29
	v_fma_f32 v22, v50, v32, v22
	v_cvt_f32_i32_e32 v27, v27
	v_add_u32_e32 v29, 49, v40
	v_add_u32_e32 v32, 50, v40
	v_fmac_f32_e32 v23, v50, v34
	v_cvt_f32_i32_e32 v29, v29
	v_cvt_f32_i32_e32 v32, v32
	v_add_u32_e32 v34, 51, v40
	v_add_u32_e32 v28, 2, v40
	v_cvt_f32_i32_e32 v34, v34
	v_cvt_f32_i32_e32 v28, v28
	v_fma_f32 v20, v50, v27, v20
	v_mov_b32_e32 v27, 0xff7fffff
	v_cmp_gt_i32_e64 s[26:27], s33, v38
	v_cmp_gt_i32_e64 s[28:29], s33, v39
	v_fmac_f32_e32 v21, v50, v29
	v_fma_f32 v18, v50, v32, v18
	v_cndmask_b32_e64 v29, v27, v26, s[26:27]
	v_cndmask_b32_e64 v32, v27, v35, s[28:29]
	v_fmac_f32_e32 v19, v50, v34
	v_max3_f32 v29, v29, s46, v32
	v_or_b32_e32 v32, 2, v38
	v_or_b32_e32 v34, 3, v38
	v_fma_f32 v28, v50, v28, v36
	v_cmp_gt_i32_e64 s[30:31], s33, v32
	v_cmp_gt_i32_e64 s[34:35], s33, v34
	v_add_u32_e32 v36, 19, v40
	v_cndmask_b32_e64 v32, v27, v28, s[30:31]
	v_cndmask_b32_e64 v34, v27, v37, s[34:35]
	v_cvt_f32_i32_e32 v36, v36
	v_max3_f32 v29, v29, v32, v34
	v_or_b32_e32 v32, 16, v38
	v_or_b32_e32 v34, 17, v38
	v_cmp_gt_i32_e64 s[36:37], s33, v32
	v_cmp_gt_i32_e64 s[38:39], s33, v34
	v_cndmask_b32_e64 v32, v27, v41, s[36:37]
	v_cndmask_b32_e64 v34, v27, v33, s[38:39]
	v_max3_f32 v29, v29, v32, v34
	v_or_b32_e32 v32, 18, v38
	v_or_b32_e32 v34, 19, v38
	v_fmac_f32_e32 v31, v50, v36
	v_cmp_gt_i32_e64 s[20:21], s33, v32
	v_cmp_gt_i32_e64 s[22:23], s33, v34
	v_cndmask_b32_e64 v32, v27, v30, s[20:21]
	v_cndmask_b32_e64 v34, v27, v31, s[22:23]
	v_max3_f32 v29, v29, v32, v34
	v_or_b32_e32 v32, 32, v38
	v_or_b32_e32 v34, 33, v38
	v_cmp_gt_i32_e64 s[16:17], s33, v32
	v_cmp_gt_i32_e64 s[18:19], s33, v34
	v_cndmask_b32_e64 v32, v27, v24, s[16:17]
	v_cndmask_b32_e64 v34, v27, v25, s[18:19]
	v_max3_f32 v29, v29, v32, v34
	v_or_b32_e32 v32, 34, v38
	v_or_b32_e32 v34, 35, v38
	;; [unrolled: 7-line block ×4, first 2 shown]
	v_cmp_gt_i32_e32 vcc, s33, v32
	v_cmp_gt_i32_e64 s[2:3], s33, v34
	v_cndmask_b32_e32 v32, v27, v18, vcc
	v_cndmask_b32_e64 v27, v27, v19, s[2:3]
	v_max3_f32 v27, v29, v32, v27
	v_mbcnt_lo_u32_b32 v29, -1, 0
	v_mbcnt_hi_u32_b32 v29, -1, v29
	v_and_b32_e32 v32, 64, v29
	v_add_u32_e32 v32, 64, v32
	v_xor_b32_e32 v34, 32, v29
	v_cmp_lt_i32_e64 s[40:41], v34, v32
	v_cndmask_b32_e64 v34, v29, v34, s[40:41]
	v_lshlrev_b32_e32 v36, 2, v34
	ds_bpermute_b32 v34, v36, v27
	s_barrier
	s_waitcnt lgkmcnt(0)
	v_max_f32_e32 v34, v34, v34
	v_max_f32_e32 v27, v27, v34
	v_xor_b32_e32 v34, 16, v29
	v_cmp_lt_i32_e64 s[40:41], v34, v32
	v_cndmask_b32_e64 v29, v29, v34, s[40:41]
	v_lshlrev_b32_e32 v38, 2, v29
	ds_bpermute_b32 v29, v38, v27
	s_waitcnt lgkmcnt(0)
	v_max_f32_e32 v29, v29, v29
	v_max_f32_e32 v32, v27, v29
	v_sub_f32_e32 v26, v26, v32
	v_mul_f32_e32 v26, 0x3fb8aa3b, v26
	v_sub_f32_e32 v27, v35, v32
	v_exp_f32_e32 v26, v26
	v_mul_f32_e32 v27, 0x3fb8aa3b, v27
	v_sub_f32_e32 v28, v28, v32
	v_exp_f32_e32 v27, v27
	v_mul_f32_e32 v28, 0x3fb8aa3b, v28
	v_exp_f32_e32 v28, v28
	v_cndmask_b32_e64 v26, 0, v26, s[26:27]
	v_sub_f32_e32 v34, v37, v32
	v_add_f32_e32 v29, 0, v26
	v_cndmask_b32_e64 v27, 0, v27, s[28:29]
	v_mul_f32_e32 v34, 0x3fb8aa3b, v34
	v_exp_f32_e32 v35, v34
	v_add_f32_e32 v29, v29, v27
	v_cndmask_b32_e64 v34, 0, v28, s[30:31]
	v_add_f32_e32 v28, v29, v34
	v_sub_f32_e32 v29, v41, v32
	v_mul_f32_e32 v29, 0x3fb8aa3b, v29
	v_sub_f32_e32 v33, v33, v32
	v_exp_f32_e32 v29, v29
	v_mul_f32_e32 v33, 0x3fb8aa3b, v33
	v_sub_f32_e32 v30, v30, v32
	v_exp_f32_e32 v33, v33
	;; [unrolled: 3-line block ×3, first 2 shown]
	v_mul_f32_e32 v31, 0x3fb8aa3b, v31
	v_sub_f32_e32 v24, v24, v32
	v_cndmask_b32_e64 v35, 0, v35, s[34:35]
	v_exp_f32_e32 v31, v31
	v_mul_f32_e32 v24, 0x3fb8aa3b, v24
	v_sub_f32_e32 v25, v25, v32
	v_add_f32_e32 v37, v28, v35
	v_cndmask_b32_e64 v28, 0, v29, s[36:37]
	v_exp_f32_e32 v24, v24
	v_mul_f32_e32 v25, 0x3fb8aa3b, v25
	v_sub_f32_e32 v22, v22, v32
	v_add_f32_e32 v37, v37, v28
	;; [unrolled: 5-line block ×7, first 2 shown]
	v_cndmask_b32_e64 v22, 0, v22, s[12:13]
	v_exp_f32_e32 v18, v18
	v_mul_f32_e32 v19, 0x3fb8aa3b, v19
	v_add_f32_e32 v33, v33, v22
	v_cndmask_b32_e64 v23, 0, v23, s[14:15]
	v_exp_f32_e32 v19, v19
	v_add_f32_e32 v33, v33, v23
	v_cndmask_b32_e64 v20, 0, v20, s[8:9]
	v_add_f32_e32 v33, v33, v20
	v_cndmask_b32_e64 v21, 0, v21, s[10:11]
	v_add_f32_e32 v33, v33, v21
	v_cndmask_b32_e32 v18, 0, v18, vcc
	v_add_f32_e32 v33, v33, v18
	v_cndmask_b32_e64 v19, 0, v19, s[2:3]
	v_add_f32_e32 v33, v33, v19
	ds_bpermute_b32 v36, v36, v33
	v_cmp_gt_u32_e32 vcc, 16, v44
	s_waitcnt lgkmcnt(0)
	v_add_f32_e32 v33, v33, v36
	ds_bpermute_b32 v37, v38, v33
	v_lshlrev_b32_e32 v36, 2, v48
	s_and_saveexec_b64 s[2:3], vcc
	s_cbranch_execz .LBB553_399
; %bb.398:
	s_waitcnt lgkmcnt(0)
	v_add_f32_e32 v33, v33, v37
	v_lshl_or_b32 v37, v49, 6, v36
	ds_write2st64_b32 v37, v32, v33 offset1:1
.LBB553_399:
	s_or_b64 exec, exec, s[2:3]
	s_waitcnt lgkmcnt(0)
	s_barrier
	ds_read2_b32 v[38:39], v36 offset1:16
	ds_read2_b32 v[40:41], v36 offset0:32 offset1:48
	ds_read2_b32 v[42:43], v36 offset0:64 offset1:80
	s_mul_i32 s12, s45, 12
	s_waitcnt lgkmcnt(2)
	v_max3_f32 v32, v38, s46, v39
	s_waitcnt lgkmcnt(1)
	v_max3_f32 v33, v32, v40, v41
	v_sub_f32_e32 v32, v38, v33
	v_mul_f32_e32 v32, 0x3fb8aa3b, v32
	v_exp_f32_e32 v37, v32
	v_sub_f32_e32 v32, v39, v33
	v_mul_f32_e32 v32, 0x3fb8aa3b, v32
	v_exp_f32_e32 v44, v32
	;; [unrolled: 3-line block ×3, first 2 shown]
	ds_read2_b32 v[38:39], v36 offset0:96 offset1:112
	v_sub_f32_e32 v32, v41, v33
	v_mul_f32_e32 v32, 0x3fb8aa3b, v32
	v_exp_f32_e32 v41, v32
	s_waitcnt lgkmcnt(1)
	v_fma_f32 v36, v37, v42, 0
	v_fmac_f32_e32 v36, v44, v43
	s_waitcnt lgkmcnt(0)
	v_fmac_f32_e32 v36, v40, v38
	v_fmac_f32_e32 v36, v41, v39
	v_add_f32_e32 v38, 0x358637bd, v36
	v_div_scale_f32 v39, s[2:3], v38, v38, 1.0
	v_rcp_f32_e32 v42, v39
	s_barrier
	v_fma_f32 v43, -v39, v42, 1.0
	v_fmac_f32_e32 v42, v43, v42
	v_div_scale_f32 v43, vcc, 1.0, v38, 1.0
	v_mul_f32_e32 v45, v43, v42
	v_fma_f32 v50, -v39, v45, v43
	v_fmac_f32_e32 v45, v50, v42
	v_fma_f32 v39, -v39, v45, v43
	v_div_fmas_f32 v39, v39, v42, v45
	v_cmp_eq_u32_e32 vcc, 1, v49
	v_cndmask_b32_e32 v37, v37, v44, vcc
	v_cmp_eq_u32_e32 vcc, 2, v49
	v_cndmask_b32_e32 v37, v37, v40, vcc
	v_cmp_eq_u32_e32 vcc, 3, v49
	v_div_fixup_f32 v38, v39, v38, 1.0
	v_cndmask_b32_e32 v37, v37, v41, vcc
	v_mul_f32_e32 v38, v37, v38
	v_pk_mul_f32 v[34:35], v[38:39], v[34:35] op_sel_hi:[0,1]
	v_pk_mul_f32 v[26:27], v[38:39], v[26:27] op_sel_hi:[0,1]
	v_cvt_f16_f32_e32 v26, v26
	v_cvt_f16_f32_e32 v27, v27
	v_cvt_f16_f32_e32 v37, v34
	v_cvt_f16_f32_e32 v35, v35
	v_pk_mul_f32 v[30:31], v[38:39], v[30:31] op_sel_hi:[0,1]
	v_pk_mul_f32 v[28:29], v[38:39], v[28:29] op_sel_hi:[0,1]
	v_cvt_f16_f32_e32 v28, v28
	v_cvt_f16_f32_e32 v29, v29
	;; [unrolled: 1-line block ×4, first 2 shown]
	v_pack_b32_f16 v34, v26, v27
	v_pack_b32_f16 v35, v37, v35
	v_lshlrev_b32_e32 v26, 3, v1
	v_lshlrev_b32_e32 v27, 5, v48
	;; [unrolled: 1-line block ×3, first 2 shown]
	v_or3_b32 v26, v37, v27, v26
	v_pack_b32_f16 v28, v28, v29
	v_pack_b32_f16 v29, v30, v31
	v_pk_mul_f32 v[22:23], v[38:39], v[22:23] op_sel_hi:[0,1]
	v_pk_mul_f32 v[24:25], v[38:39], v[24:25] op_sel_hi:[0,1]
	;; [unrolled: 1-line block ×4, first 2 shown]
	ds_write2st64_b64 v26, v[34:35], v[28:29] offset1:1
	v_cvt_f16_f32_e32 v24, v24
	v_cvt_f16_f32_e32 v25, v25
	;; [unrolled: 1-line block ×8, first 2 shown]
	v_mov_b32_e32 v32, 0
	v_pack_b32_f16 v18, v24, v25
	v_pack_b32_f16 v19, v22, v23
	;; [unrolled: 1-line block ×4, first 2 shown]
	v_cmp_gt_u32_e32 vcc, 12, v0
	ds_write2st64_b64 v26, v[18:19], v[20:21] offset0:2 offset1:3
	s_and_saveexec_b64 s[2:3], vcc
	s_cbranch_execz .LBB553_401
; %bb.400:
	v_add_co_u32_e32 v20, vcc, s25, v48
	v_addc_co_u32_e64 v21, s[14:15], 0, 0, vcc
	v_mov_b32_e32 v18, s12
	v_mov_b32_e32 v19, 0
	v_mad_u64_u32 v[20:21], s[14:15], s6, v18, v[20:21]
	v_mov_b32_e32 v18, s24
	s_load_dwordx4 s[8:11], s[4:5], 0x58
	s_mul_i32 s7, s7, s12
	v_mad_u64_u32 v[18:19], s[14:15], v20, s44, v[18:19]
	v_add_u32_e32 v21, s7, v21
	v_mov_b32_e32 v20, v19
	v_mad_u64_u32 v[20:21], s[14:15], v21, s44, v[20:21]
	v_mov_b32_e32 v19, v20
	v_lshlrev_b64 v[18:19], 2, v[18:19]
	s_waitcnt lgkmcnt(0)
	v_mov_b32_e32 v21, s11
	v_add_co_u32_e32 v20, vcc, s10, v18
	v_addc_co_u32_e32 v21, vcc, v21, v19, vcc
	global_store_dword v[20:21], v33, off
	v_mov_b32_e32 v20, s9
	v_add_co_u32_e32 v18, vcc, s8, v18
	v_addc_co_u32_e32 v19, vcc, v20, v19, vcc
	global_store_dword v[18:19], v36, off
.LBB553_401:
	s_or_b64 exec, exec, s[2:3]
	v_mov_b32_e32 v19, 0
	s_waitcnt vmcnt(3)
	v_cmp_ne_u16_sdwa s[8:9], v14, v19 src0_sel:BYTE_0 src1_sel:DWORD
	s_waitcnt lgkmcnt(0)
	s_barrier
	s_and_saveexec_b64 s[2:3], s[8:9]
	s_cbranch_execz .LBB553_407
; %bb.402:
	s_movk_i32 s7, 0x80
	v_cmp_ne_u16_sdwa s[10:11], v14, s7 src0_sel:BYTE_0 src1_sel:DWORD
	v_bfrev_b32_e32 v32, 1
	s_and_saveexec_b64 s[8:9], s[10:11]
	s_cbranch_execz .LBB553_406
; %bb.403:
	s_movk_i32 s7, 0x7f
	v_and_b32_e32 v18, 0x7f, v14
	v_cmp_ne_u32_e32 vcc, s7, v18
	v_mov_b32_e32 v32, 0x7f800001
	s_and_saveexec_b64 s[10:11], vcc
	s_cbranch_execz .LBB553_405
; %bb.404:
	v_and_b32_e32 v22, 7, v14
	v_ffbh_u32_e32 v20, v22
	v_min_u32_e32 v24, 32, v20
	v_subrev_u32_e32 v20, 28, v24
	v_lshlrev_b64 v[20:21], v20, v[14:15]
	v_lshrrev_b32_e32 v23, 3, v18
	v_sub_u32_e32 v21, 29, v24
	v_and_b32_e32 v20, 7, v20
	v_cmp_gt_u32_e32 vcc, 8, v18
	v_cndmask_b32_e32 v18, v23, v21, vcc
	v_cndmask_b32_e32 v20, v22, v20, vcc
	v_lshlrev_b32_e32 v21, 24, v14
	v_bfrev_b32_e32 v22, 60
	v_lshlrev_b32_e32 v20, 20, v20
	v_and_b32_e32 v21, 0x80000000, v21
	v_lshl_add_u32 v18, v18, 23, v22
	v_or3_b32 v32, v21, v18, v20
.LBB553_405:
	s_or_b64 exec, exec, s[10:11]
.LBB553_406:
	s_or_b64 exec, exec, s[8:9]
.LBB553_407:
	s_or_b64 exec, exec, s[2:3]
	v_lshrrev_b16_e32 v18, 8, v14
	v_cmp_ne_u16_e32 vcc, 0, v18
	v_mov_b32_e32 v20, 0
	s_and_saveexec_b64 s[2:3], vcc
	s_cbranch_execz .LBB553_413
; %bb.408:
	s_movk_i32 s7, 0x80
	v_cmp_ne_u16_e32 vcc, s7, v18
	v_bfrev_b32_e32 v20, 1
	s_and_saveexec_b64 s[8:9], vcc
	s_cbranch_execz .LBB553_412
; %bb.409:
	s_movk_i32 s7, 0x7f
	v_and_b32_e32 v21, 0x7f, v18
	v_cmp_ne_u32_e32 vcc, s7, v21
	v_mov_b32_e32 v20, 0x7f800001
	s_and_saveexec_b64 s[10:11], vcc
	s_cbranch_execz .LBB553_411
; %bb.410:
	v_and_b32_e32 v20, 7, v18
	v_ffbh_u32_e32 v22, v20
	v_min_u32_e32 v25, 32, v22
	v_subrev_u32_e32 v22, 28, v25
	v_lshlrev_b64 v[22:23], v22, v[18:19]
	v_lshrrev_b32_e32 v24, 3, v21
	v_sub_u32_e32 v18, 29, v25
	v_and_b32_e32 v22, 7, v22
	v_cmp_gt_u32_e32 vcc, 8, v21
	v_cndmask_b32_e32 v18, v24, v18, vcc
	v_cndmask_b32_e32 v20, v20, v22, vcc
	v_lshlrev_b32_e32 v21, 16, v14
	v_bfrev_b32_e32 v22, 60
	v_lshlrev_b32_e32 v20, 20, v20
	v_and_b32_e32 v21, 0x80000000, v21
	v_lshl_add_u32 v18, v18, 23, v22
	v_or3_b32 v20, v21, v18, v20
.LBB553_411:
	s_or_b64 exec, exec, s[10:11]
.LBB553_412:
	s_or_b64 exec, exec, s[8:9]
.LBB553_413:
	s_or_b64 exec, exec, s[2:3]
	s_movk_i32 s2, 0xff
	v_and_b32_sdwa v21, v14, s2 dst_sel:DWORD dst_unused:UNUSED_PAD src0_sel:WORD_1 src1_sel:DWORD
	v_lshrrev_b32_e32 v18, 16, v14
	v_cmp_ne_u16_e32 vcc, 0, v21
	s_and_saveexec_b64 s[2:3], vcc
	s_cbranch_execz .LBB553_419
; %bb.414:
	s_movk_i32 s7, 0x80
	v_cmp_ne_u16_e32 vcc, s7, v21
	v_bfrev_b32_e32 v19, 1
	s_and_saveexec_b64 s[8:9], vcc
	s_cbranch_execz .LBB553_418
; %bb.415:
	v_bfe_u32 v21, v14, 16, 7
	s_movk_i32 s7, 0x7f
	v_cmp_ne_u32_e32 vcc, s7, v21
	v_mov_b32_e32 v19, 0x7f800001
	s_and_saveexec_b64 s[10:11], vcc
	s_cbranch_execz .LBB553_417
; %bb.416:
	v_and_b32_e32 v22, 7, v18
	v_ffbh_u32_e32 v19, v22
	v_min_u32_e32 v24, 32, v19
	v_subrev_u32_e32 v19, 28, v24
	v_lshlrev_b64 v[18:19], v19, v[18:19]
	v_lshrrev_b32_e32 v23, 3, v21
	v_sub_u32_e32 v19, 29, v24
	v_and_b32_e32 v18, 7, v18
	v_cmp_gt_u32_e32 vcc, 8, v21
	v_mov_b32_e32 v21, 24
	v_cndmask_b32_e32 v19, v23, v19, vcc
	v_cndmask_b32_e32 v18, v22, v18, vcc
	v_lshlrev_b32_sdwa v21, v21, v14 dst_sel:DWORD dst_unused:UNUSED_PAD src0_sel:DWORD src1_sel:WORD_1
	v_bfrev_b32_e32 v22, 60
	v_lshlrev_b32_e32 v18, 20, v18
	v_and_b32_e32 v21, 0x80000000, v21
	v_lshl_add_u32 v19, v19, 23, v22
	v_or3_b32 v19, v21, v19, v18
.LBB553_417:
	s_or_b64 exec, exec, s[10:11]
.LBB553_418:
	s_or_b64 exec, exec, s[8:9]
.LBB553_419:
	s_or_b64 exec, exec, s[2:3]
	s_mov_b32 s2, 0xffffff
	v_cmp_lt_u32_e32 vcc, s2, v14
	v_mov_b32_e32 v21, 0
	v_mov_b32_e32 v22, 0
	s_and_saveexec_b64 s[2:3], vcc
	s_cbranch_execz .LBB553_425
; %bb.420:
	v_lshrrev_b32_e32 v18, 24, v14
	s_movk_i32 s7, 0x80
	v_cmp_ne_u32_e32 vcc, s7, v18
	v_bfrev_b32_e32 v22, 1
	s_and_saveexec_b64 s[8:9], vcc
	s_cbranch_execz .LBB553_424
; %bb.421:
	v_bfe_u32 v14, v14, 24, 7
	s_movk_i32 s7, 0x7f
	v_cmp_ne_u32_e32 vcc, s7, v14
	v_mov_b32_e32 v22, 0x7f800001
	s_and_saveexec_b64 s[10:11], vcc
	s_cbranch_execz .LBB553_423
; %bb.422:
	v_and_b32_e32 v24, 7, v18
	v_ffbh_u32_e32 v22, v24
	v_min_u32_e32 v28, 32, v22
	v_subrev_u32_e32 v22, 28, v28
	v_lshlrev_b64 v[22:23], v22, v[18:19]
	v_lshrrev_b32_e32 v25, 3, v14
	v_sub_u32_e32 v23, 29, v28
	v_and_b32_e32 v22, 7, v22
	v_cmp_gt_u32_e32 vcc, 8, v14
	v_cndmask_b32_e32 v14, v25, v23, vcc
	v_cndmask_b32_e32 v22, v24, v22, vcc
	v_lshlrev_b32_e32 v18, 24, v18
	v_bfrev_b32_e32 v23, 60
	v_lshlrev_b32_e32 v22, 20, v22
	v_and_b32_e32 v18, 0x80000000, v18
	v_lshl_add_u32 v14, v14, 23, v23
	v_or3_b32 v22, v18, v14, v22
.LBB553_423:
	s_or_b64 exec, exec, s[10:11]
.LBB553_424:
	s_or_b64 exec, exec, s[8:9]
.LBB553_425:
	s_or_b64 exec, exec, s[2:3]
	v_cmp_ne_u16_sdwa s[8:9], v15, v21 src0_sel:BYTE_0 src1_sel:DWORD
	s_and_saveexec_b64 s[2:3], s[8:9]
	s_cbranch_execz .LBB553_431
; %bb.426:
	s_movk_i32 s7, 0x80
	v_cmp_ne_u16_sdwa s[10:11], v15, s7 src0_sel:BYTE_0 src1_sel:DWORD
	v_bfrev_b32_e32 v21, 1
	s_and_saveexec_b64 s[8:9], s[10:11]
	s_cbranch_execz .LBB553_430
; %bb.427:
	s_movk_i32 s7, 0x7f
	v_and_b32_e32 v14, 0x7f, v15
	v_cmp_ne_u32_e32 vcc, s7, v14
	v_mov_b32_e32 v21, 0x7f800001
	s_and_saveexec_b64 s[10:11], vcc
	s_cbranch_execz .LBB553_429
; %bb.428:
	v_and_b32_e32 v21, 7, v15
	v_ffbh_u32_e32 v24, v21
	v_min_u32_e32 v28, 32, v24
	v_mov_b32_e32 v18, v15
	v_subrev_u32_e32 v24, 28, v28
	v_lshlrev_b64 v[24:25], v24, v[18:19]
	v_lshrrev_b32_e32 v23, 3, v14
	v_sub_u32_e32 v18, 29, v28
	v_and_b32_e32 v24, 7, v24
	v_cmp_gt_u32_e32 vcc, 8, v14
	v_cndmask_b32_e32 v14, v23, v18, vcc
	v_cndmask_b32_e32 v18, v21, v24, vcc
	v_lshlrev_b32_e32 v21, 24, v15
	v_bfrev_b32_e32 v23, 60
	v_lshlrev_b32_e32 v18, 20, v18
	v_and_b32_e32 v21, 0x80000000, v21
	v_lshl_add_u32 v14, v14, 23, v23
	v_or3_b32 v21, v21, v14, v18
.LBB553_429:
	s_or_b64 exec, exec, s[10:11]
.LBB553_430:
	s_or_b64 exec, exec, s[8:9]
.LBB553_431:
	s_or_b64 exec, exec, s[2:3]
	v_lshrrev_b16_e32 v14, 8, v15
	v_cmp_ne_u16_e32 vcc, 0, v14
	v_mov_b32_e32 v18, 0
	v_mov_b32_e32 v24, 0
	s_and_saveexec_b64 s[2:3], vcc
	s_cbranch_execz .LBB553_437
; %bb.432:
	s_movk_i32 s7, 0x80
	v_cmp_ne_u16_e32 vcc, s7, v14
	v_bfrev_b32_e32 v24, 1
	s_and_saveexec_b64 s[8:9], vcc
	s_cbranch_execz .LBB553_436
; %bb.433:
	s_movk_i32 s7, 0x7f
	v_and_b32_e32 v23, 0x7f, v14
	v_cmp_ne_u32_e32 vcc, s7, v23
	v_mov_b32_e32 v24, 0x7f800001
	s_and_saveexec_b64 s[10:11], vcc
	s_cbranch_execz .LBB553_435
; %bb.434:
	v_and_b32_e32 v28, 7, v14
	v_ffbh_u32_e32 v24, v28
	v_min_u32_e32 v30, 32, v24
	v_subrev_u32_e32 v24, 28, v30
	v_lshlrev_b64 v[24:25], v24, v[14:15]
	v_lshrrev_b32_e32 v29, 3, v23
	v_sub_u32_e32 v14, 29, v30
	v_and_b32_e32 v24, 7, v24
	v_cmp_gt_u32_e32 vcc, 8, v23
	v_cndmask_b32_e32 v14, v29, v14, vcc
	v_cndmask_b32_e32 v23, v28, v24, vcc
	v_lshlrev_b32_e32 v24, 16, v15
	v_bfrev_b32_e32 v25, 60
	v_lshlrev_b32_e32 v23, 20, v23
	v_and_b32_e32 v24, 0x80000000, v24
	v_lshl_add_u32 v14, v14, 23, v25
	v_or3_b32 v24, v24, v14, v23
.LBB553_435:
	s_or_b64 exec, exec, s[10:11]
.LBB553_436:
	s_or_b64 exec, exec, s[8:9]
.LBB553_437:
	s_or_b64 exec, exec, s[2:3]
	s_movk_i32 s2, 0xff
	v_and_b32_sdwa v23, v15, s2 dst_sel:DWORD dst_unused:UNUSED_PAD src0_sel:WORD_1 src1_sel:DWORD
	v_lshrrev_b32_e32 v14, 16, v15
	v_cmp_ne_u16_e32 vcc, 0, v23
	s_and_saveexec_b64 s[2:3], vcc
	s_cbranch_execz .LBB553_443
; %bb.438:
	s_movk_i32 s7, 0x80
	v_cmp_ne_u16_e32 vcc, s7, v23
	v_bfrev_b32_e32 v18, 1
	s_and_saveexec_b64 s[8:9], vcc
	s_cbranch_execz .LBB553_442
; %bb.439:
	v_bfe_u32 v23, v15, 16, 7
	s_movk_i32 s7, 0x7f
	v_cmp_ne_u32_e32 vcc, s7, v23
	v_mov_b32_e32 v18, 0x7f800001
	s_and_saveexec_b64 s[10:11], vcc
	s_cbranch_execz .LBB553_441
; %bb.440:
	v_and_b32_e32 v18, 7, v14
	v_ffbh_u32_e32 v28, v18
	v_min_u32_e32 v30, 32, v28
	v_subrev_u32_e32 v28, 28, v30
	v_lshlrev_b64 v[28:29], v28, v[14:15]
	v_lshrrev_b32_e32 v25, 3, v23
	v_sub_u32_e32 v14, 29, v30
	v_and_b32_e32 v28, 7, v28
	v_cmp_gt_u32_e32 vcc, 8, v23
	v_mov_b32_e32 v23, 24
	v_cndmask_b32_e32 v14, v25, v14, vcc
	v_cndmask_b32_e32 v18, v18, v28, vcc
	v_lshlrev_b32_sdwa v23, v23, v15 dst_sel:DWORD dst_unused:UNUSED_PAD src0_sel:DWORD src1_sel:WORD_1
	v_bfrev_b32_e32 v25, 60
	v_lshlrev_b32_e32 v18, 20, v18
	v_and_b32_e32 v23, 0x80000000, v23
	v_lshl_add_u32 v14, v14, 23, v25
	v_or3_b32 v18, v23, v14, v18
.LBB553_441:
	s_or_b64 exec, exec, s[10:11]
.LBB553_442:
	s_or_b64 exec, exec, s[8:9]
.LBB553_443:
	s_or_b64 exec, exec, s[2:3]
	s_mov_b32 s2, 0xffffff
	v_cmp_lt_u32_e32 vcc, s2, v15
	v_mov_b32_e32 v23, 0
	v_mov_b32_e32 v25, 0
	s_and_saveexec_b64 s[2:3], vcc
	s_cbranch_execz .LBB553_449
; %bb.444:
	v_lshrrev_b32_e32 v14, 24, v15
	s_movk_i32 s7, 0x80
	v_cmp_ne_u32_e32 vcc, s7, v14
	v_bfrev_b32_e32 v25, 1
	s_and_saveexec_b64 s[8:9], vcc
	s_cbranch_execz .LBB553_448
; %bb.445:
	v_bfe_u32 v15, v15, 24, 7
	s_movk_i32 s7, 0x7f
	v_cmp_ne_u32_e32 vcc, s7, v15
	v_mov_b32_e32 v25, 0x7f800001
	s_and_saveexec_b64 s[10:11], vcc
	s_cbranch_execz .LBB553_447
; %bb.446:
	v_and_b32_e32 v25, 7, v14
	v_ffbh_u32_e32 v28, v25
	v_min_u32_e32 v31, 32, v28
	v_subrev_u32_e32 v28, 28, v31
	v_lshlrev_b64 v[28:29], v28, v[14:15]
	v_lshrrev_b32_e32 v30, 3, v15
	v_sub_u32_e32 v29, 29, v31
	v_and_b32_e32 v28, 7, v28
	v_cmp_gt_u32_e32 vcc, 8, v15
	v_cndmask_b32_e32 v15, v30, v29, vcc
	v_cndmask_b32_e32 v25, v25, v28, vcc
	v_lshlrev_b32_e32 v14, 24, v14
	v_bfrev_b32_e32 v28, 60
	v_lshlrev_b32_e32 v25, 20, v25
	v_and_b32_e32 v14, 0x80000000, v14
	v_lshl_add_u32 v15, v15, 23, v28
	v_or3_b32 v25, v14, v15, v25
.LBB553_447:
	s_or_b64 exec, exec, s[10:11]
.LBB553_448:
	s_or_b64 exec, exec, s[8:9]
.LBB553_449:
	s_or_b64 exec, exec, s[2:3]
	v_cvt_pkrtz_f16_f32 v15, v19, v22
	v_lshl_or_b32 v22, v1, 9, v27
	v_cvt_pkrtz_f16_f32 v14, v32, v20
	ds_read_b128 v[28:31], v22
	v_cmp_ne_u16_sdwa s[8:9], v16, v23 src0_sel:BYTE_0 src1_sel:DWORD
	s_waitcnt lgkmcnt(0)
	v_mfma_f32_16x16x16f16 v[32:35], v[14:15], v[28:29], 0
	v_cvt_pkrtz_f16_f32 v14, v21, v24
	v_cvt_pkrtz_f16_f32 v15, v18, v25
	s_nop 1
	v_mfma_f32_16x16x16f16 v[18:21], v[14:15], v[30:31], v[32:35]
	s_and_saveexec_b64 s[2:3], s[8:9]
	s_cbranch_execz .LBB553_455
; %bb.450:
	s_movk_i32 s7, 0x80
	v_cmp_ne_u16_sdwa s[10:11], v16, s7 src0_sel:BYTE_0 src1_sel:DWORD
	v_bfrev_b32_e32 v23, 1
	s_and_saveexec_b64 s[8:9], s[10:11]
	s_cbranch_execz .LBB553_454
; %bb.451:
	s_movk_i32 s7, 0x7f
	v_and_b32_e32 v14, 0x7f, v16
	v_cmp_ne_u32_e32 vcc, s7, v14
	v_mov_b32_e32 v23, 0x7f800001
	s_and_saveexec_b64 s[10:11], vcc
	s_cbranch_execz .LBB553_453
; %bb.452:
	v_and_b32_e32 v15, 7, v16
	v_ffbh_u32_e32 v24, v15
	v_min_u32_e32 v27, 32, v24
	v_subrev_u32_e32 v24, 28, v27
	v_lshlrev_b64 v[24:25], v24, v[16:17]
	v_lshrrev_b32_e32 v23, 3, v14
	v_sub_u32_e32 v25, 29, v27
	v_and_b32_e32 v24, 7, v24
	v_cmp_gt_u32_e32 vcc, 8, v14
	v_cndmask_b32_e32 v14, v23, v25, vcc
	v_cndmask_b32_e32 v15, v15, v24, vcc
	v_lshlrev_b32_e32 v23, 24, v16
	v_bfrev_b32_e32 v24, 60
	v_lshlrev_b32_e32 v15, 20, v15
	v_and_b32_e32 v23, 0x80000000, v23
	v_lshl_add_u32 v14, v14, 23, v24
	v_or3_b32 v23, v23, v14, v15
.LBB553_453:
	s_or_b64 exec, exec, s[10:11]
.LBB553_454:
	s_or_b64 exec, exec, s[8:9]
.LBB553_455:
	s_or_b64 exec, exec, s[2:3]
	v_lshrrev_b16_e32 v14, 8, v16
	v_cmp_ne_u16_e32 vcc, 0, v14
	v_mov_b32_e32 v15, 0
	v_mov_b32_e32 v25, 0
	s_and_saveexec_b64 s[2:3], vcc
	s_cbranch_execz .LBB553_461
; %bb.456:
	s_movk_i32 s7, 0x80
	v_cmp_ne_u16_e32 vcc, s7, v14
	v_bfrev_b32_e32 v25, 1
	s_and_saveexec_b64 s[8:9], vcc
	s_cbranch_execz .LBB553_460
; %bb.457:
	s_movk_i32 s7, 0x7f
	v_and_b32_e32 v24, 0x7f, v14
	v_cmp_ne_u32_e32 vcc, s7, v24
	v_mov_b32_e32 v25, 0x7f800001
	s_and_saveexec_b64 s[10:11], vcc
	s_cbranch_execz .LBB553_459
; %bb.458:
	v_and_b32_e32 v25, 7, v14
	v_ffbh_u32_e32 v28, v25
	v_min_u32_e32 v30, 32, v28
	v_subrev_u32_e32 v28, 28, v30
	v_lshlrev_b64 v[28:29], v28, v[14:15]
	v_lshrrev_b32_e32 v27, 3, v24
	v_sub_u32_e32 v14, 29, v30
	v_and_b32_e32 v28, 7, v28
	v_cmp_gt_u32_e32 vcc, 8, v24
	v_cndmask_b32_e32 v14, v27, v14, vcc
	v_cndmask_b32_e32 v24, v25, v28, vcc
	v_lshlrev_b32_e32 v25, 16, v16
	v_bfrev_b32_e32 v27, 60
	v_lshlrev_b32_e32 v24, 20, v24
	v_and_b32_e32 v25, 0x80000000, v25
	v_lshl_add_u32 v14, v14, 23, v27
	v_or3_b32 v25, v25, v14, v24
.LBB553_459:
	s_or_b64 exec, exec, s[10:11]
.LBB553_460:
	s_or_b64 exec, exec, s[8:9]
.LBB553_461:
	s_or_b64 exec, exec, s[2:3]
	s_movk_i32 s2, 0xff
	v_and_b32_sdwa v24, v16, s2 dst_sel:DWORD dst_unused:UNUSED_PAD src0_sel:WORD_1 src1_sel:DWORD
	v_lshrrev_b32_e32 v14, 16, v16
	v_cmp_ne_u16_e32 vcc, 0, v24
	s_and_saveexec_b64 s[2:3], vcc
	s_cbranch_execz .LBB553_467
; %bb.462:
	s_movk_i32 s7, 0x80
	v_cmp_ne_u16_e32 vcc, s7, v24
	v_bfrev_b32_e32 v15, 1
	s_and_saveexec_b64 s[8:9], vcc
	s_cbranch_execz .LBB553_466
; %bb.463:
	v_bfe_u32 v24, v16, 16, 7
	s_movk_i32 s7, 0x7f
	v_cmp_ne_u32_e32 vcc, s7, v24
	v_mov_b32_e32 v15, 0x7f800001
	s_and_saveexec_b64 s[10:11], vcc
	s_cbranch_execz .LBB553_465
; %bb.464:
	v_and_b32_e32 v27, 7, v14
	v_ffbh_u32_e32 v15, v27
	v_min_u32_e32 v29, 32, v15
	v_subrev_u32_e32 v15, 28, v29
	v_lshlrev_b64 v[14:15], v15, v[14:15]
	v_lshrrev_b32_e32 v28, 3, v24
	v_sub_u32_e32 v15, 29, v29
	v_and_b32_e32 v14, 7, v14
	v_cmp_gt_u32_e32 vcc, 8, v24
	v_mov_b32_e32 v24, 24
	v_cndmask_b32_e32 v15, v28, v15, vcc
	v_cndmask_b32_e32 v14, v27, v14, vcc
	v_lshlrev_b32_sdwa v24, v24, v16 dst_sel:DWORD dst_unused:UNUSED_PAD src0_sel:DWORD src1_sel:WORD_1
	v_bfrev_b32_e32 v27, 60
	v_lshlrev_b32_e32 v14, 20, v14
	v_and_b32_e32 v24, 0x80000000, v24
	v_lshl_add_u32 v15, v15, 23, v27
	v_or3_b32 v15, v24, v15, v14
.LBB553_465:
	s_or_b64 exec, exec, s[10:11]
.LBB553_466:
	s_or_b64 exec, exec, s[8:9]
.LBB553_467:
	s_or_b64 exec, exec, s[2:3]
	s_mov_b32 s2, 0xffffff
	v_cmp_lt_u32_e32 vcc, s2, v16
	v_mov_b32_e32 v27, 0
	v_mov_b32_e32 v28, 0
	s_and_saveexec_b64 s[2:3], vcc
	s_cbranch_execz .LBB553_473
; %bb.468:
	v_lshrrev_b32_e32 v14, 24, v16
	s_movk_i32 s7, 0x80
	v_cmp_ne_u32_e32 vcc, s7, v14
	v_bfrev_b32_e32 v28, 1
	s_and_saveexec_b64 s[8:9], vcc
	s_cbranch_execz .LBB553_472
; %bb.469:
	v_bfe_u32 v16, v16, 24, 7
	s_movk_i32 s7, 0x7f
	v_cmp_ne_u32_e32 vcc, s7, v16
	v_mov_b32_e32 v28, 0x7f800001
	s_and_saveexec_b64 s[10:11], vcc
	s_cbranch_execz .LBB553_471
; %bb.470:
	v_and_b32_e32 v24, 7, v14
	v_ffbh_u32_e32 v28, v24
	v_min_u32_e32 v31, 32, v28
	v_subrev_u32_e32 v28, 28, v31
	v_lshlrev_b64 v[28:29], v28, v[14:15]
	v_lshrrev_b32_e32 v30, 3, v16
	v_sub_u32_e32 v29, 29, v31
	v_and_b32_e32 v28, 7, v28
	v_cmp_gt_u32_e32 vcc, 8, v16
	v_cndmask_b32_e32 v16, v30, v29, vcc
	v_cndmask_b32_e32 v24, v24, v28, vcc
	v_lshlrev_b32_e32 v14, 24, v14
	v_bfrev_b32_e32 v28, 60
	v_lshlrev_b32_e32 v24, 20, v24
	v_and_b32_e32 v14, 0x80000000, v14
	v_lshl_add_u32 v16, v16, 23, v28
	v_or3_b32 v28, v14, v16, v24
.LBB553_471:
	s_or_b64 exec, exec, s[10:11]
.LBB553_472:
	s_or_b64 exec, exec, s[8:9]
.LBB553_473:
	s_or_b64 exec, exec, s[2:3]
	v_cmp_ne_u16_sdwa s[8:9], v17, v27 src0_sel:BYTE_0 src1_sel:DWORD
	s_and_saveexec_b64 s[2:3], s[8:9]
	s_cbranch_execz .LBB553_479
; %bb.474:
	s_movk_i32 s7, 0x80
	v_cmp_ne_u16_sdwa s[10:11], v17, s7 src0_sel:BYTE_0 src1_sel:DWORD
	v_bfrev_b32_e32 v27, 1
	s_and_saveexec_b64 s[8:9], s[10:11]
	s_cbranch_execz .LBB553_478
; %bb.475:
	s_movk_i32 s7, 0x7f
	v_and_b32_e32 v14, 0x7f, v17
	v_cmp_ne_u32_e32 vcc, s7, v14
	v_mov_b32_e32 v27, 0x7f800001
	s_and_saveexec_b64 s[10:11], vcc
	s_cbranch_execz .LBB553_477
; %bb.476:
	v_and_b32_e32 v24, 7, v17
	v_ffbh_u32_e32 v29, v24
	v_min_u32_e32 v29, 32, v29
	v_mov_b32_e32 v16, v17
	v_subrev_u32_e32 v30, 28, v29
	v_lshlrev_b64 v[30:31], v30, v[16:17]
	v_lshrrev_b32_e32 v27, 3, v14
	v_sub_u32_e32 v16, 29, v29
	v_and_b32_e32 v29, 7, v30
	v_cmp_gt_u32_e32 vcc, 8, v14
	v_cndmask_b32_e32 v14, v27, v16, vcc
	v_cndmask_b32_e32 v16, v24, v29, vcc
	v_lshlrev_b32_e32 v24, 24, v17
	v_bfrev_b32_e32 v27, 60
	v_lshlrev_b32_e32 v16, 20, v16
	v_and_b32_e32 v24, 0x80000000, v24
	v_lshl_add_u32 v14, v14, 23, v27
	v_or3_b32 v27, v24, v14, v16
.LBB553_477:
	s_or_b64 exec, exec, s[10:11]
.LBB553_478:
	s_or_b64 exec, exec, s[8:9]
.LBB553_479:
	s_or_b64 exec, exec, s[2:3]
	v_lshrrev_b16_e32 v14, 8, v17
	v_cmp_ne_u16_e32 vcc, 0, v14
	v_mov_b32_e32 v16, 0
	v_mov_b32_e32 v29, 0
	s_and_saveexec_b64 s[2:3], vcc
	s_cbranch_execz .LBB553_485
; %bb.480:
	s_movk_i32 s7, 0x80
	v_cmp_ne_u16_e32 vcc, s7, v14
	v_bfrev_b32_e32 v29, 1
	s_and_saveexec_b64 s[8:9], vcc
	s_cbranch_execz .LBB553_484
; %bb.481:
	s_movk_i32 s7, 0x7f
	v_and_b32_e32 v24, 0x7f, v14
	v_cmp_ne_u32_e32 vcc, s7, v24
	v_mov_b32_e32 v29, 0x7f800001
	s_and_saveexec_b64 s[10:11], vcc
	s_cbranch_execz .LBB553_483
; %bb.482:
	v_and_b32_e32 v29, 7, v14
	v_ffbh_u32_e32 v30, v29
	v_min_u32_e32 v33, 32, v30
	v_subrev_u32_e32 v30, 28, v33
	v_lshlrev_b64 v[30:31], v30, v[14:15]
	v_lshrrev_b32_e32 v32, 3, v24
	v_sub_u32_e32 v14, 29, v33
	v_and_b32_e32 v30, 7, v30
	v_cmp_gt_u32_e32 vcc, 8, v24
	v_cndmask_b32_e32 v14, v32, v14, vcc
	v_cndmask_b32_e32 v24, v29, v30, vcc
	v_lshlrev_b32_e32 v29, 16, v17
	v_bfrev_b32_e32 v30, 60
	v_lshlrev_b32_e32 v24, 20, v24
	v_and_b32_e32 v29, 0x80000000, v29
	v_lshl_add_u32 v14, v14, 23, v30
	v_or3_b32 v29, v29, v14, v24
.LBB553_483:
	s_or_b64 exec, exec, s[10:11]
.LBB553_484:
	s_or_b64 exec, exec, s[8:9]
.LBB553_485:
	s_or_b64 exec, exec, s[2:3]
	s_movk_i32 s2, 0xff
	v_and_b32_sdwa v24, v17, s2 dst_sel:DWORD dst_unused:UNUSED_PAD src0_sel:WORD_1 src1_sel:DWORD
	v_lshrrev_b32_e32 v14, 16, v17
	v_cmp_ne_u16_e32 vcc, 0, v24
	s_and_saveexec_b64 s[2:3], vcc
	s_cbranch_execz .LBB553_491
; %bb.486:
	s_movk_i32 s7, 0x80
	v_cmp_ne_u16_e32 vcc, s7, v24
	v_bfrev_b32_e32 v16, 1
	s_and_saveexec_b64 s[8:9], vcc
	s_cbranch_execz .LBB553_490
; %bb.487:
	v_bfe_u32 v24, v17, 16, 7
	s_movk_i32 s7, 0x7f
	v_cmp_ne_u32_e32 vcc, s7, v24
	v_mov_b32_e32 v16, 0x7f800001
	s_and_saveexec_b64 s[10:11], vcc
	s_cbranch_execz .LBB553_489
; %bb.488:
	v_and_b32_e32 v16, 7, v14
	v_ffbh_u32_e32 v30, v16
	v_min_u32_e32 v33, 32, v30
	v_subrev_u32_e32 v30, 28, v33
	v_lshlrev_b64 v[30:31], v30, v[14:15]
	v_lshrrev_b32_e32 v32, 3, v24
	v_sub_u32_e32 v14, 29, v33
	v_and_b32_e32 v30, 7, v30
	v_cmp_gt_u32_e32 vcc, 8, v24
	v_mov_b32_e32 v24, 24
	v_cndmask_b32_e32 v14, v32, v14, vcc
	v_cndmask_b32_e32 v16, v16, v30, vcc
	v_lshlrev_b32_sdwa v24, v24, v17 dst_sel:DWORD dst_unused:UNUSED_PAD src0_sel:DWORD src1_sel:WORD_1
	v_bfrev_b32_e32 v30, 60
	v_lshlrev_b32_e32 v16, 20, v16
	v_and_b32_e32 v24, 0x80000000, v24
	v_lshl_add_u32 v14, v14, 23, v30
	v_or3_b32 v16, v24, v14, v16
.LBB553_489:
	s_or_b64 exec, exec, s[10:11]
.LBB553_490:
	s_or_b64 exec, exec, s[8:9]
.LBB553_491:
	s_or_b64 exec, exec, s[2:3]
	s_mov_b32 s2, 0xffffff
	v_cmp_lt_u32_e32 vcc, s2, v17
	v_mov_b32_e32 v24, 0
	v_mov_b32_e32 v30, 0
	s_and_saveexec_b64 s[2:3], vcc
	s_cbranch_execz .LBB553_497
; %bb.492:
	v_lshrrev_b32_e32 v14, 24, v17
	s_movk_i32 s7, 0x80
	v_cmp_ne_u32_e32 vcc, s7, v14
	v_bfrev_b32_e32 v30, 1
	s_and_saveexec_b64 s[8:9], vcc
	s_cbranch_execz .LBB553_496
; %bb.493:
	v_bfe_u32 v17, v17, 24, 7
	s_movk_i32 s7, 0x7f
	v_cmp_ne_u32_e32 vcc, s7, v17
	v_mov_b32_e32 v30, 0x7f800001
	s_and_saveexec_b64 s[10:11], vcc
	s_cbranch_execz .LBB553_495
; %bb.494:
	v_and_b32_e32 v32, 7, v14
	v_ffbh_u32_e32 v30, v32
	v_min_u32_e32 v34, 32, v30
	v_subrev_u32_e32 v30, 28, v34
	v_lshlrev_b64 v[30:31], v30, v[14:15]
	v_lshrrev_b32_e32 v33, 3, v17
	v_sub_u32_e32 v31, 29, v34
	v_and_b32_e32 v30, 7, v30
	v_cmp_gt_u32_e32 vcc, 8, v17
	v_cndmask_b32_e32 v17, v33, v31, vcc
	v_cndmask_b32_e32 v30, v32, v30, vcc
	v_lshlrev_b32_e32 v14, 24, v14
	v_bfrev_b32_e32 v31, 60
	v_lshlrev_b32_e32 v30, 20, v30
	v_and_b32_e32 v14, 0x80000000, v14
	v_lshl_add_u32 v17, v17, 23, v31
	v_or3_b32 v30, v14, v17, v30
.LBB553_495:
	s_or_b64 exec, exec, s[10:11]
.LBB553_496:
	s_or_b64 exec, exec, s[8:9]
.LBB553_497:
	s_or_b64 exec, exec, s[2:3]
	v_cvt_pkrtz_f16_f32 v14, v23, v25
	v_cvt_pkrtz_f16_f32 v15, v15, v28
	ds_read_b128 v[32:35], v22 offset:16
	s_waitcnt vmcnt(2)
	v_cmp_ne_u16_sdwa s[8:9], v10, v24 src0_sel:BYTE_0 src1_sel:DWORD
	s_waitcnt lgkmcnt(0)
	v_mfma_f32_16x16x16f16 v[18:21], v[14:15], v[32:33], v[18:21]
	v_cvt_pkrtz_f16_f32 v14, v27, v29
	v_cvt_pkrtz_f16_f32 v15, v16, v30
	s_nop 1
	v_mfma_f32_16x16x16f16 v[14:17], v[14:15], v[34:35], v[18:21]
	s_and_saveexec_b64 s[2:3], s[8:9]
	s_cbranch_execz .LBB553_503
; %bb.498:
	s_movk_i32 s7, 0x80
	v_cmp_ne_u16_sdwa s[10:11], v10, s7 src0_sel:BYTE_0 src1_sel:DWORD
	v_bfrev_b32_e32 v24, 1
	s_and_saveexec_b64 s[8:9], s[10:11]
	s_cbranch_execz .LBB553_502
; %bb.499:
	s_movk_i32 s7, 0x7f
	v_and_b32_e32 v18, 0x7f, v10
	v_cmp_ne_u32_e32 vcc, s7, v18
	v_mov_b32_e32 v24, 0x7f800001
	s_and_saveexec_b64 s[10:11], vcc
	s_cbranch_execz .LBB553_501
; %bb.500:
	v_and_b32_e32 v19, 7, v10
	v_ffbh_u32_e32 v20, v19
	v_min_u32_e32 v24, 32, v20
	v_subrev_u32_e32 v20, 28, v24
	v_lshlrev_b64 v[20:21], v20, v[10:11]
	v_lshrrev_b32_e32 v23, 3, v18
	v_sub_u32_e32 v21, 29, v24
	v_and_b32_e32 v20, 7, v20
	v_cmp_gt_u32_e32 vcc, 8, v18
	v_cndmask_b32_e32 v18, v23, v21, vcc
	v_cndmask_b32_e32 v19, v19, v20, vcc
	v_lshlrev_b32_e32 v20, 24, v10
	v_bfrev_b32_e32 v21, 60
	v_lshlrev_b32_e32 v19, 20, v19
	v_and_b32_e32 v20, 0x80000000, v20
	v_lshl_add_u32 v18, v18, 23, v21
	v_or3_b32 v24, v20, v18, v19
.LBB553_501:
	s_or_b64 exec, exec, s[10:11]
.LBB553_502:
	s_or_b64 exec, exec, s[8:9]
.LBB553_503:
	s_or_b64 exec, exec, s[2:3]
	s_nop 3
	v_lshrrev_b16_e32 v18, 8, v10
	v_cmp_ne_u16_e32 vcc, 0, v18
	v_mov_b32_e32 v19, 0
	v_mov_b32_e32 v20, 0
	s_and_saveexec_b64 s[2:3], vcc
	s_cbranch_execz .LBB553_509
; %bb.504:
	s_movk_i32 s7, 0x80
	v_cmp_ne_u16_e32 vcc, s7, v18
	v_bfrev_b32_e32 v20, 1
	s_and_saveexec_b64 s[8:9], vcc
	s_cbranch_execz .LBB553_508
; %bb.505:
	s_movk_i32 s7, 0x7f
	v_and_b32_e32 v21, 0x7f, v18
	v_cmp_ne_u32_e32 vcc, s7, v21
	v_mov_b32_e32 v20, 0x7f800001
	s_and_saveexec_b64 s[10:11], vcc
	s_cbranch_execz .LBB553_507
; %bb.506:
	v_and_b32_e32 v20, 7, v18
	v_ffbh_u32_e32 v25, v20
	v_min_u32_e32 v25, 32, v25
	v_subrev_u32_e32 v27, 28, v25
	v_lshlrev_b64 v[28:29], v27, v[18:19]
	v_lshrrev_b32_e32 v23, 3, v21
	v_sub_u32_e32 v18, 29, v25
	v_and_b32_e32 v25, 7, v28
	v_cmp_gt_u32_e32 vcc, 8, v21
	v_cndmask_b32_e32 v18, v23, v18, vcc
	v_cndmask_b32_e32 v20, v20, v25, vcc
	v_lshlrev_b32_e32 v21, 16, v10
	v_bfrev_b32_e32 v23, 60
	v_lshlrev_b32_e32 v20, 20, v20
	v_and_b32_e32 v21, 0x80000000, v21
	v_lshl_add_u32 v18, v18, 23, v23
	v_or3_b32 v20, v21, v18, v20
.LBB553_507:
	s_or_b64 exec, exec, s[10:11]
.LBB553_508:
	s_or_b64 exec, exec, s[8:9]
.LBB553_509:
	s_or_b64 exec, exec, s[2:3]
	s_movk_i32 s2, 0xff
	v_and_b32_sdwa v21, v10, s2 dst_sel:DWORD dst_unused:UNUSED_PAD src0_sel:WORD_1 src1_sel:DWORD
	v_lshrrev_b32_e32 v18, 16, v10
	v_cmp_ne_u16_e32 vcc, 0, v21
	s_and_saveexec_b64 s[2:3], vcc
	s_cbranch_execz .LBB553_515
; %bb.510:
	s_movk_i32 s7, 0x80
	v_cmp_ne_u16_e32 vcc, s7, v21
	v_bfrev_b32_e32 v19, 1
	s_and_saveexec_b64 s[8:9], vcc
	s_cbranch_execz .LBB553_514
; %bb.511:
	v_bfe_u32 v21, v10, 16, 7
	s_movk_i32 s7, 0x7f
	v_cmp_ne_u32_e32 vcc, s7, v21
	v_mov_b32_e32 v19, 0x7f800001
	s_and_saveexec_b64 s[10:11], vcc
	s_cbranch_execz .LBB553_513
; %bb.512:
	v_and_b32_e32 v23, 7, v18
	v_ffbh_u32_e32 v19, v23
	v_min_u32_e32 v27, 32, v19
	v_subrev_u32_e32 v19, 28, v27
	v_lshlrev_b64 v[18:19], v19, v[18:19]
	v_lshrrev_b32_e32 v25, 3, v21
	v_sub_u32_e32 v19, 29, v27
	v_and_b32_e32 v18, 7, v18
	v_cmp_gt_u32_e32 vcc, 8, v21
	v_mov_b32_e32 v21, 24
	v_cndmask_b32_e32 v19, v25, v19, vcc
	v_cndmask_b32_e32 v18, v23, v18, vcc
	v_lshlrev_b32_sdwa v21, v21, v10 dst_sel:DWORD dst_unused:UNUSED_PAD src0_sel:DWORD src1_sel:WORD_1
	v_bfrev_b32_e32 v23, 60
	v_lshlrev_b32_e32 v18, 20, v18
	v_and_b32_e32 v21, 0x80000000, v21
	v_lshl_add_u32 v19, v19, 23, v23
	v_or3_b32 v19, v21, v19, v18
.LBB553_513:
	s_or_b64 exec, exec, s[10:11]
.LBB553_514:
	s_or_b64 exec, exec, s[8:9]
.LBB553_515:
	s_or_b64 exec, exec, s[2:3]
	s_mov_b32 s2, 0xffffff
	v_cmp_lt_u32_e32 vcc, s2, v10
	v_mov_b32_e32 v21, 0
	v_mov_b32_e32 v23, 0
	s_and_saveexec_b64 s[2:3], vcc
	s_cbranch_execz .LBB553_521
; %bb.516:
	v_lshrrev_b32_e32 v18, 24, v10
	s_movk_i32 s7, 0x80
	v_cmp_ne_u32_e32 vcc, s7, v18
	v_bfrev_b32_e32 v23, 1
	s_and_saveexec_b64 s[8:9], vcc
	s_cbranch_execz .LBB553_520
; %bb.517:
	v_bfe_u32 v10, v10, 24, 7
	s_movk_i32 s7, 0x7f
	v_cmp_ne_u32_e32 vcc, s7, v10
	v_mov_b32_e32 v23, 0x7f800001
	s_and_saveexec_b64 s[10:11], vcc
	s_cbranch_execz .LBB553_519
; %bb.518:
	v_and_b32_e32 v23, 7, v18
	v_ffbh_u32_e32 v27, v23
	v_min_u32_e32 v27, 32, v27
	v_subrev_u32_e32 v28, 28, v27
	v_lshlrev_b64 v[28:29], v28, v[18:19]
	v_lshrrev_b32_e32 v25, 3, v10
	v_sub_u32_e32 v27, 29, v27
	v_and_b32_e32 v28, 7, v28
	v_cmp_gt_u32_e32 vcc, 8, v10
	v_cndmask_b32_e32 v10, v25, v27, vcc
	v_cndmask_b32_e32 v23, v23, v28, vcc
	v_lshlrev_b32_e32 v18, 24, v18
	v_bfrev_b32_e32 v25, 60
	v_lshlrev_b32_e32 v23, 20, v23
	v_and_b32_e32 v18, 0x80000000, v18
	v_lshl_add_u32 v10, v10, 23, v25
	v_or3_b32 v23, v18, v10, v23
.LBB553_519:
	s_or_b64 exec, exec, s[10:11]
.LBB553_520:
	s_or_b64 exec, exec, s[8:9]
.LBB553_521:
	s_or_b64 exec, exec, s[2:3]
	v_cmp_ne_u16_sdwa s[8:9], v11, v21 src0_sel:BYTE_0 src1_sel:DWORD
	s_and_saveexec_b64 s[2:3], s[8:9]
	s_cbranch_execz .LBB553_527
; %bb.522:
	s_movk_i32 s7, 0x80
	v_cmp_ne_u16_sdwa s[10:11], v11, s7 src0_sel:BYTE_0 src1_sel:DWORD
	v_bfrev_b32_e32 v21, 1
	s_and_saveexec_b64 s[8:9], s[10:11]
	s_cbranch_execz .LBB553_526
; %bb.523:
	s_movk_i32 s7, 0x7f
	v_and_b32_e32 v10, 0x7f, v11
	v_cmp_ne_u32_e32 vcc, s7, v10
	v_mov_b32_e32 v21, 0x7f800001
	s_and_saveexec_b64 s[10:11], vcc
	s_cbranch_execz .LBB553_525
; %bb.524:
	v_and_b32_e32 v21, 7, v11
	v_ffbh_u32_e32 v27, v21
	v_min_u32_e32 v27, 32, v27
	v_mov_b32_e32 v18, v11
	v_subrev_u32_e32 v28, 28, v27
	v_lshlrev_b64 v[28:29], v28, v[18:19]
	v_lshrrev_b32_e32 v25, 3, v10
	v_sub_u32_e32 v18, 29, v27
	v_and_b32_e32 v27, 7, v28
	v_cmp_gt_u32_e32 vcc, 8, v10
	v_cndmask_b32_e32 v10, v25, v18, vcc
	v_cndmask_b32_e32 v18, v21, v27, vcc
	v_lshlrev_b32_e32 v21, 24, v11
	v_bfrev_b32_e32 v25, 60
	v_lshlrev_b32_e32 v18, 20, v18
	v_and_b32_e32 v21, 0x80000000, v21
	v_lshl_add_u32 v10, v10, 23, v25
	v_or3_b32 v21, v21, v10, v18
.LBB553_525:
	s_or_b64 exec, exec, s[10:11]
.LBB553_526:
	s_or_b64 exec, exec, s[8:9]
.LBB553_527:
	s_or_b64 exec, exec, s[2:3]
	v_lshrrev_b16_e32 v10, 8, v11
	v_cmp_ne_u16_e32 vcc, 0, v10
	v_mov_b32_e32 v25, 0
	v_mov_b32_e32 v27, 0
	s_and_saveexec_b64 s[2:3], vcc
	s_cbranch_execz .LBB553_533
; %bb.528:
	s_movk_i32 s7, 0x80
	v_cmp_ne_u16_e32 vcc, s7, v10
	v_bfrev_b32_e32 v27, 1
	s_and_saveexec_b64 s[8:9], vcc
	s_cbranch_execz .LBB553_532
; %bb.529:
	s_movk_i32 s7, 0x7f
	v_and_b32_e32 v18, 0x7f, v10
	v_cmp_ne_u32_e32 vcc, s7, v18
	v_mov_b32_e32 v27, 0x7f800001
	s_and_saveexec_b64 s[10:11], vcc
	s_cbranch_execz .LBB553_531
; %bb.530:
	v_and_b32_e32 v27, 7, v10
	v_ffbh_u32_e32 v28, v27
	v_min_u32_e32 v31, 32, v28
	v_subrev_u32_e32 v28, 28, v31
	v_lshlrev_b64 v[28:29], v28, v[10:11]
	v_lshrrev_b32_e32 v30, 3, v18
	v_sub_u32_e32 v10, 29, v31
	v_and_b32_e32 v28, 7, v28
	v_cmp_gt_u32_e32 vcc, 8, v18
	v_cndmask_b32_e32 v10, v30, v10, vcc
	v_cndmask_b32_e32 v18, v27, v28, vcc
	v_lshlrev_b32_e32 v27, 16, v11
	v_bfrev_b32_e32 v28, 60
	v_lshlrev_b32_e32 v18, 20, v18
	v_and_b32_e32 v27, 0x80000000, v27
	v_lshl_add_u32 v10, v10, 23, v28
	v_or3_b32 v27, v27, v10, v18
.LBB553_531:
	s_or_b64 exec, exec, s[10:11]
.LBB553_532:
	s_or_b64 exec, exec, s[8:9]
.LBB553_533:
	s_or_b64 exec, exec, s[2:3]
	s_movk_i32 s2, 0xff
	v_and_b32_sdwa v18, v11, s2 dst_sel:DWORD dst_unused:UNUSED_PAD src0_sel:WORD_1 src1_sel:DWORD
	v_lshrrev_b32_e32 v10, 16, v11
	v_cmp_ne_u16_e32 vcc, 0, v18
	s_and_saveexec_b64 s[2:3], vcc
	s_cbranch_execz .LBB553_539
; %bb.534:
	s_movk_i32 s7, 0x80
	v_cmp_ne_u16_e32 vcc, s7, v18
	v_bfrev_b32_e32 v25, 1
	s_and_saveexec_b64 s[8:9], vcc
	s_cbranch_execz .LBB553_538
; %bb.535:
	v_bfe_u32 v18, v11, 16, 7
	s_movk_i32 s7, 0x7f
	v_cmp_ne_u32_e32 vcc, s7, v18
	v_mov_b32_e32 v25, 0x7f800001
	s_and_saveexec_b64 s[10:11], vcc
	s_cbranch_execz .LBB553_537
; %bb.536:
	v_and_b32_e32 v25, 7, v10
	v_ffbh_u32_e32 v28, v25
	v_min_u32_e32 v31, 32, v28
	v_subrev_u32_e32 v28, 28, v31
	v_lshlrev_b64 v[28:29], v28, v[10:11]
	v_and_b32_e32 v28, 7, v28
	v_cmp_gt_u32_e32 vcc, 8, v18
	v_lshrrev_b32_e32 v30, 3, v18
	v_sub_u32_e32 v10, 29, v31
	v_cndmask_b32_e32 v18, v25, v28, vcc
	v_mov_b32_e32 v25, 24
	v_cndmask_b32_e32 v10, v30, v10, vcc
	v_lshlrev_b32_sdwa v25, v25, v11 dst_sel:DWORD dst_unused:UNUSED_PAD src0_sel:DWORD src1_sel:WORD_1
	v_bfrev_b32_e32 v28, 60
	v_lshlrev_b32_e32 v18, 20, v18
	v_and_b32_e32 v25, 0x80000000, v25
	v_lshl_add_u32 v10, v10, 23, v28
	v_or3_b32 v25, v25, v10, v18
.LBB553_537:
	s_or_b64 exec, exec, s[10:11]
.LBB553_538:
	s_or_b64 exec, exec, s[8:9]
.LBB553_539:
	s_or_b64 exec, exec, s[2:3]
	s_mov_b32 s2, 0xffffff
	v_cmp_lt_u32_e32 vcc, s2, v11
	v_mov_b32_e32 v18, 0
	v_mov_b32_e32 v28, 0
	s_and_saveexec_b64 s[2:3], vcc
	s_cbranch_execz .LBB553_545
; %bb.540:
	v_lshrrev_b32_e32 v10, 24, v11
	s_movk_i32 s7, 0x80
	v_cmp_ne_u32_e32 vcc, s7, v10
	v_bfrev_b32_e32 v28, 1
	s_and_saveexec_b64 s[8:9], vcc
	s_cbranch_execz .LBB553_544
; %bb.541:
	v_bfe_u32 v11, v11, 24, 7
	s_movk_i32 s7, 0x7f
	v_cmp_ne_u32_e32 vcc, s7, v11
	v_mov_b32_e32 v28, 0x7f800001
	s_and_saveexec_b64 s[10:11], vcc
	s_cbranch_execz .LBB553_543
; %bb.542:
	v_and_b32_e32 v30, 7, v10
	v_ffbh_u32_e32 v28, v30
	v_min_u32_e32 v32, 32, v28
	v_subrev_u32_e32 v28, 28, v32
	v_lshlrev_b64 v[28:29], v28, v[10:11]
	v_lshrrev_b32_e32 v31, 3, v11
	v_sub_u32_e32 v29, 29, v32
	v_and_b32_e32 v28, 7, v28
	v_cmp_gt_u32_e32 vcc, 8, v11
	v_cndmask_b32_e32 v11, v31, v29, vcc
	v_cndmask_b32_e32 v28, v30, v28, vcc
	v_lshlrev_b32_e32 v10, 24, v10
	v_bfrev_b32_e32 v29, 60
	v_lshlrev_b32_e32 v28, 20, v28
	v_and_b32_e32 v10, 0x80000000, v10
	v_lshl_add_u32 v11, v11, 23, v29
	v_or3_b32 v28, v10, v11, v28
.LBB553_543:
	s_or_b64 exec, exec, s[10:11]
.LBB553_544:
	s_or_b64 exec, exec, s[8:9]
.LBB553_545:
	s_or_b64 exec, exec, s[2:3]
	v_cvt_pkrtz_f16_f32 v10, v24, v20
	v_cvt_pkrtz_f16_f32 v11, v19, v23
	ds_read_b128 v[30:33], v22 offset:2048
	v_cmp_ne_u16_sdwa s[8:9], v12, v18 src0_sel:BYTE_0 src1_sel:DWORD
	s_waitcnt lgkmcnt(0)
	v_mfma_f32_16x16x16f16 v[14:17], v[10:11], v[30:31], v[14:17]
	v_cvt_pkrtz_f16_f32 v10, v21, v27
	v_cvt_pkrtz_f16_f32 v11, v25, v28
	s_nop 1
	v_mfma_f32_16x16x16f16 v[14:17], v[10:11], v[32:33], v[14:17]
	s_and_saveexec_b64 s[2:3], s[8:9]
	s_cbranch_execz .LBB553_551
; %bb.546:
	s_movk_i32 s7, 0x80
	v_cmp_ne_u16_sdwa s[10:11], v12, s7 src0_sel:BYTE_0 src1_sel:DWORD
	v_bfrev_b32_e32 v18, 1
	s_and_saveexec_b64 s[8:9], s[10:11]
	s_cbranch_execz .LBB553_550
; %bb.547:
	s_movk_i32 s7, 0x7f
	v_and_b32_e32 v10, 0x7f, v12
	v_cmp_ne_u32_e32 vcc, s7, v10
	v_mov_b32_e32 v18, 0x7f800001
	s_and_saveexec_b64 s[10:11], vcc
	s_cbranch_execz .LBB553_549
; %bb.548:
	v_and_b32_e32 v11, 7, v12
	v_ffbh_u32_e32 v18, v11
	v_min_u32_e32 v21, 32, v18
	v_subrev_u32_e32 v18, 28, v21
	v_lshlrev_b64 v[18:19], v18, v[12:13]
	v_lshrrev_b32_e32 v20, 3, v10
	v_sub_u32_e32 v19, 29, v21
	v_and_b32_e32 v18, 7, v18
	v_cmp_gt_u32_e32 vcc, 8, v10
	v_cndmask_b32_e32 v10, v20, v19, vcc
	v_cndmask_b32_e32 v11, v11, v18, vcc
	v_lshlrev_b32_e32 v18, 24, v12
	v_bfrev_b32_e32 v19, 60
	v_lshlrev_b32_e32 v11, 20, v11
	v_and_b32_e32 v18, 0x80000000, v18
	v_lshl_add_u32 v10, v10, 23, v19
	v_or3_b32 v18, v18, v10, v11
.LBB553_549:
	s_or_b64 exec, exec, s[10:11]
.LBB553_550:
	s_or_b64 exec, exec, s[8:9]
.LBB553_551:
	s_or_b64 exec, exec, s[2:3]
	v_lshrrev_b16_e32 v10, 8, v12
	v_cmp_ne_u16_e32 vcc, 0, v10
	v_mov_b32_e32 v11, 0
	v_mov_b32_e32 v20, 0
	s_and_saveexec_b64 s[2:3], vcc
	s_cbranch_execz .LBB553_557
; %bb.552:
	s_movk_i32 s7, 0x80
	v_cmp_ne_u16_e32 vcc, s7, v10
	v_bfrev_b32_e32 v20, 1
	s_and_saveexec_b64 s[8:9], vcc
	s_cbranch_execz .LBB553_556
; %bb.553:
	s_movk_i32 s7, 0x7f
	v_and_b32_e32 v19, 0x7f, v10
	v_cmp_ne_u32_e32 vcc, s7, v19
	v_mov_b32_e32 v20, 0x7f800001
	s_and_saveexec_b64 s[10:11], vcc
	s_cbranch_execz .LBB553_555
; %bb.554:
	v_and_b32_e32 v23, 7, v10
	v_ffbh_u32_e32 v20, v23
	v_min_u32_e32 v25, 32, v20
	v_subrev_u32_e32 v20, 28, v25
	v_lshlrev_b64 v[20:21], v20, v[10:11]
	v_lshrrev_b32_e32 v24, 3, v19
	v_sub_u32_e32 v10, 29, v25
	v_and_b32_e32 v20, 7, v20
	v_cmp_gt_u32_e32 vcc, 8, v19
	v_cndmask_b32_e32 v10, v24, v10, vcc
	v_cndmask_b32_e32 v19, v23, v20, vcc
	v_lshlrev_b32_e32 v20, 16, v12
	v_bfrev_b32_e32 v21, 60
	v_lshlrev_b32_e32 v19, 20, v19
	v_and_b32_e32 v20, 0x80000000, v20
	v_lshl_add_u32 v10, v10, 23, v21
	v_or3_b32 v20, v20, v10, v19
.LBB553_555:
	s_or_b64 exec, exec, s[10:11]
.LBB553_556:
	s_or_b64 exec, exec, s[8:9]
.LBB553_557:
	s_or_b64 exec, exec, s[2:3]
	s_movk_i32 s2, 0xff
	v_and_b32_sdwa v19, v12, s2 dst_sel:DWORD dst_unused:UNUSED_PAD src0_sel:WORD_1 src1_sel:DWORD
	v_lshrrev_b32_e32 v10, 16, v12
	v_cmp_ne_u16_e32 vcc, 0, v19
	s_and_saveexec_b64 s[2:3], vcc
	s_cbranch_execz .LBB553_563
; %bb.558:
	s_movk_i32 s7, 0x80
	v_cmp_ne_u16_e32 vcc, s7, v19
	v_bfrev_b32_e32 v11, 1
	s_and_saveexec_b64 s[8:9], vcc
	s_cbranch_execz .LBB553_562
; %bb.559:
	v_bfe_u32 v19, v12, 16, 7
	s_movk_i32 s7, 0x7f
	v_cmp_ne_u32_e32 vcc, s7, v19
	v_mov_b32_e32 v11, 0x7f800001
	s_and_saveexec_b64 s[10:11], vcc
	s_cbranch_execz .LBB553_561
; %bb.560:
	v_and_b32_e32 v21, 7, v10
	v_ffbh_u32_e32 v11, v21
	v_min_u32_e32 v24, 32, v11
	v_subrev_u32_e32 v11, 28, v24
	v_lshlrev_b64 v[10:11], v11, v[10:11]
	v_lshrrev_b32_e32 v23, 3, v19
	v_sub_u32_e32 v11, 29, v24
	v_and_b32_e32 v10, 7, v10
	v_cmp_gt_u32_e32 vcc, 8, v19
	v_mov_b32_e32 v19, 24
	v_cndmask_b32_e32 v11, v23, v11, vcc
	v_cndmask_b32_e32 v10, v21, v10, vcc
	v_lshlrev_b32_sdwa v19, v19, v12 dst_sel:DWORD dst_unused:UNUSED_PAD src0_sel:DWORD src1_sel:WORD_1
	v_bfrev_b32_e32 v21, 60
	v_lshlrev_b32_e32 v10, 20, v10
	v_and_b32_e32 v19, 0x80000000, v19
	v_lshl_add_u32 v11, v11, 23, v21
	v_or3_b32 v11, v19, v11, v10
.LBB553_561:
	s_or_b64 exec, exec, s[10:11]
.LBB553_562:
	s_or_b64 exec, exec, s[8:9]
.LBB553_563:
	s_or_b64 exec, exec, s[2:3]
	s_mov_b32 s2, 0xffffff
	v_cmp_lt_u32_e32 vcc, s2, v12
	v_mov_b32_e32 v21, 0
	v_mov_b32_e32 v23, 0
	s_and_saveexec_b64 s[2:3], vcc
	s_cbranch_execz .LBB553_569
; %bb.564:
	v_lshrrev_b32_e32 v10, 24, v12
	s_movk_i32 s7, 0x80
	v_cmp_ne_u32_e32 vcc, s7, v10
	v_bfrev_b32_e32 v23, 1
	s_and_saveexec_b64 s[8:9], vcc
	s_cbranch_execz .LBB553_568
; %bb.565:
	v_bfe_u32 v12, v12, 24, 7
	s_movk_i32 s7, 0x7f
	v_cmp_ne_u32_e32 vcc, s7, v12
	v_mov_b32_e32 v23, 0x7f800001
	s_and_saveexec_b64 s[10:11], vcc
	s_cbranch_execz .LBB553_567
; %bb.566:
	v_and_b32_e32 v19, 7, v10
	v_ffbh_u32_e32 v24, v19
	v_min_u32_e32 v27, 32, v24
	v_subrev_u32_e32 v24, 28, v27
	v_lshlrev_b64 v[24:25], v24, v[10:11]
	v_lshrrev_b32_e32 v23, 3, v12
	v_sub_u32_e32 v25, 29, v27
	v_and_b32_e32 v24, 7, v24
	v_cmp_gt_u32_e32 vcc, 8, v12
	v_cndmask_b32_e32 v12, v23, v25, vcc
	v_cndmask_b32_e32 v19, v19, v24, vcc
	v_lshlrev_b32_e32 v10, 24, v10
	v_bfrev_b32_e32 v23, 60
	v_lshlrev_b32_e32 v19, 20, v19
	v_and_b32_e32 v10, 0x80000000, v10
	v_lshl_add_u32 v12, v12, 23, v23
	v_or3_b32 v23, v10, v12, v19
.LBB553_567:
	s_or_b64 exec, exec, s[10:11]
.LBB553_568:
	s_or_b64 exec, exec, s[8:9]
.LBB553_569:
	s_or_b64 exec, exec, s[2:3]
	v_cmp_ne_u16_sdwa s[8:9], v13, v21 src0_sel:BYTE_0 src1_sel:DWORD
	s_and_saveexec_b64 s[2:3], s[8:9]
	s_cbranch_execz .LBB553_575
; %bb.570:
	s_movk_i32 s7, 0x80
	v_cmp_ne_u16_sdwa s[10:11], v13, s7 src0_sel:BYTE_0 src1_sel:DWORD
	v_bfrev_b32_e32 v21, 1
	s_and_saveexec_b64 s[8:9], s[10:11]
	s_cbranch_execz .LBB553_574
; %bb.571:
	s_movk_i32 s7, 0x7f
	v_and_b32_e32 v10, 0x7f, v13
	v_cmp_ne_u32_e32 vcc, s7, v10
	v_mov_b32_e32 v21, 0x7f800001
	s_and_saveexec_b64 s[10:11], vcc
	s_cbranch_execz .LBB553_573
; %bb.572:
	v_and_b32_e32 v19, 7, v13
	v_ffbh_u32_e32 v24, v19
	v_min_u32_e32 v27, 32, v24
	v_mov_b32_e32 v12, v13
	v_subrev_u32_e32 v24, 28, v27
	v_lshlrev_b64 v[24:25], v24, v[12:13]
	v_lshrrev_b32_e32 v21, 3, v10
	v_sub_u32_e32 v12, 29, v27
	v_and_b32_e32 v24, 7, v24
	v_cmp_gt_u32_e32 vcc, 8, v10
	v_cndmask_b32_e32 v10, v21, v12, vcc
	v_cndmask_b32_e32 v12, v19, v24, vcc
	v_lshlrev_b32_e32 v19, 24, v13
	v_bfrev_b32_e32 v21, 60
	v_lshlrev_b32_e32 v12, 20, v12
	v_and_b32_e32 v19, 0x80000000, v19
	v_lshl_add_u32 v10, v10, 23, v21
	v_or3_b32 v21, v19, v10, v12
.LBB553_573:
	s_or_b64 exec, exec, s[10:11]
.LBB553_574:
	s_or_b64 exec, exec, s[8:9]
.LBB553_575:
	s_or_b64 exec, exec, s[2:3]
	v_lshrrev_b16_e32 v10, 8, v13
	v_cmp_ne_u16_e32 vcc, 0, v10
	v_mov_b32_e32 v12, 0
	v_mov_b32_e32 v24, 0
	s_and_saveexec_b64 s[2:3], vcc
	s_cbranch_execz .LBB553_581
; %bb.576:
	s_movk_i32 s7, 0x80
	v_cmp_ne_u16_e32 vcc, s7, v10
	v_bfrev_b32_e32 v24, 1
	s_and_saveexec_b64 s[8:9], vcc
	s_cbranch_execz .LBB553_580
; %bb.577:
	s_movk_i32 s7, 0x7f
	v_and_b32_e32 v19, 0x7f, v10
	v_cmp_ne_u32_e32 vcc, s7, v19
	v_mov_b32_e32 v24, 0x7f800001
	s_and_saveexec_b64 s[10:11], vcc
	s_cbranch_execz .LBB553_579
; %bb.578:
	v_and_b32_e32 v27, 7, v10
	v_ffbh_u32_e32 v24, v27
	v_min_u32_e32 v29, 32, v24
	v_subrev_u32_e32 v24, 28, v29
	v_lshlrev_b64 v[24:25], v24, v[10:11]
	v_lshrrev_b32_e32 v28, 3, v19
	v_sub_u32_e32 v10, 29, v29
	v_and_b32_e32 v24, 7, v24
	v_cmp_gt_u32_e32 vcc, 8, v19
	v_cndmask_b32_e32 v10, v28, v10, vcc
	v_cndmask_b32_e32 v19, v27, v24, vcc
	v_lshlrev_b32_e32 v24, 16, v13
	v_bfrev_b32_e32 v25, 60
	v_lshlrev_b32_e32 v19, 20, v19
	v_and_b32_e32 v24, 0x80000000, v24
	v_lshl_add_u32 v10, v10, 23, v25
	v_or3_b32 v24, v24, v10, v19
.LBB553_579:
	s_or_b64 exec, exec, s[10:11]
.LBB553_580:
	s_or_b64 exec, exec, s[8:9]
.LBB553_581:
	s_or_b64 exec, exec, s[2:3]
	s_movk_i32 s2, 0xff
	v_and_b32_sdwa v19, v13, s2 dst_sel:DWORD dst_unused:UNUSED_PAD src0_sel:WORD_1 src1_sel:DWORD
	v_lshrrev_b32_e32 v10, 16, v13
	v_cmp_ne_u16_e32 vcc, 0, v19
	s_and_saveexec_b64 s[2:3], vcc
	s_cbranch_execz .LBB553_587
; %bb.582:
	s_movk_i32 s7, 0x80
	v_cmp_ne_u16_e32 vcc, s7, v19
	v_bfrev_b32_e32 v12, 1
	s_and_saveexec_b64 s[8:9], vcc
	s_cbranch_execz .LBB553_586
; %bb.583:
	v_bfe_u32 v19, v13, 16, 7
	s_movk_i32 s7, 0x7f
	v_cmp_ne_u32_e32 vcc, s7, v19
	v_mov_b32_e32 v12, 0x7f800001
	s_and_saveexec_b64 s[10:11], vcc
	s_cbranch_execz .LBB553_585
; %bb.584:
	v_and_b32_e32 v12, 7, v10
	v_ffbh_u32_e32 v27, v12
	v_min_u32_e32 v27, 32, v27
	v_subrev_u32_e32 v28, 28, v27
	v_lshlrev_b64 v[28:29], v28, v[10:11]
	v_lshrrev_b32_e32 v25, 3, v19
	v_sub_u32_e32 v10, 29, v27
	v_and_b32_e32 v27, 7, v28
	v_cmp_gt_u32_e32 vcc, 8, v19
	v_mov_b32_e32 v19, 24
	v_cndmask_b32_e32 v10, v25, v10, vcc
	v_cndmask_b32_e32 v12, v12, v27, vcc
	v_lshlrev_b32_sdwa v19, v19, v13 dst_sel:DWORD dst_unused:UNUSED_PAD src0_sel:DWORD src1_sel:WORD_1
	v_bfrev_b32_e32 v25, 60
	v_lshlrev_b32_e32 v12, 20, v12
	v_and_b32_e32 v19, 0x80000000, v19
	v_lshl_add_u32 v10, v10, 23, v25
	v_or3_b32 v12, v19, v10, v12
.LBB553_585:
	s_or_b64 exec, exec, s[10:11]
.LBB553_586:
	s_or_b64 exec, exec, s[8:9]
.LBB553_587:
	s_or_b64 exec, exec, s[2:3]
	s_mov_b32 s2, 0xffffff
	v_cmp_lt_u32_e32 vcc, s2, v13
	v_mov_b32_e32 v19, 0
	v_mov_b32_e32 v25, 0
	s_and_saveexec_b64 s[2:3], vcc
	s_cbranch_execz .LBB553_593
; %bb.588:
	v_lshrrev_b32_e32 v10, 24, v13
	s_movk_i32 s7, 0x80
	v_cmp_ne_u32_e32 vcc, s7, v10
	v_bfrev_b32_e32 v25, 1
	s_and_saveexec_b64 s[8:9], vcc
	s_cbranch_execz .LBB553_592
; %bb.589:
	v_bfe_u32 v13, v13, 24, 7
	s_movk_i32 s7, 0x7f
	v_cmp_ne_u32_e32 vcc, s7, v13
	v_mov_b32_e32 v25, 0x7f800001
	s_and_saveexec_b64 s[10:11], vcc
	s_cbranch_execz .LBB553_591
; %bb.590:
	v_and_b32_e32 v25, 7, v10
	v_ffbh_u32_e32 v28, v25
	v_min_u32_e32 v30, 32, v28
	v_subrev_u32_e32 v28, 28, v30
	v_lshlrev_b64 v[28:29], v28, v[10:11]
	v_lshrrev_b32_e32 v27, 3, v13
	v_sub_u32_e32 v29, 29, v30
	v_and_b32_e32 v28, 7, v28
	v_cmp_gt_u32_e32 vcc, 8, v13
	v_cndmask_b32_e32 v13, v27, v29, vcc
	v_cndmask_b32_e32 v25, v25, v28, vcc
	v_lshlrev_b32_e32 v10, 24, v10
	v_bfrev_b32_e32 v27, 60
	v_lshlrev_b32_e32 v25, 20, v25
	v_and_b32_e32 v10, 0x80000000, v10
	v_lshl_add_u32 v13, v13, 23, v27
	v_or3_b32 v25, v10, v13, v25
.LBB553_591:
	s_or_b64 exec, exec, s[10:11]
.LBB553_592:
	s_or_b64 exec, exec, s[8:9]
.LBB553_593:
	s_or_b64 exec, exec, s[2:3]
	v_cvt_pkrtz_f16_f32 v10, v18, v20
	v_cvt_pkrtz_f16_f32 v11, v11, v23
	ds_read_b128 v[28:31], v22 offset:2064
	s_waitcnt vmcnt(1)
	v_cmp_ne_u16_sdwa s[8:9], v6, v19 src0_sel:BYTE_0 src1_sel:DWORD
	s_waitcnt lgkmcnt(0)
	v_mfma_f32_16x16x16f16 v[14:17], v[10:11], v[28:29], v[14:17]
	v_cvt_pkrtz_f16_f32 v10, v21, v24
	v_cvt_pkrtz_f16_f32 v11, v12, v25
	s_nop 1
	v_mfma_f32_16x16x16f16 v[10:13], v[10:11], v[30:31], v[14:17]
	s_and_saveexec_b64 s[2:3], s[8:9]
	s_cbranch_execz .LBB553_599
; %bb.594:
	s_movk_i32 s7, 0x80
	v_cmp_ne_u16_sdwa s[10:11], v6, s7 src0_sel:BYTE_0 src1_sel:DWORD
	v_bfrev_b32_e32 v19, 1
	s_and_saveexec_b64 s[8:9], s[10:11]
	s_cbranch_execz .LBB553_598
; %bb.595:
	s_movk_i32 s7, 0x7f
	v_and_b32_e32 v14, 0x7f, v6
	v_cmp_ne_u32_e32 vcc, s7, v14
	v_mov_b32_e32 v19, 0x7f800001
	s_and_saveexec_b64 s[10:11], vcc
	s_cbranch_execz .LBB553_597
; %bb.596:
	v_and_b32_e32 v15, 7, v6
	v_ffbh_u32_e32 v16, v15
	v_min_u32_e32 v19, 32, v16
	v_subrev_u32_e32 v16, 28, v19
	v_lshlrev_b64 v[16:17], v16, v[6:7]
	v_lshrrev_b32_e32 v18, 3, v14
	v_sub_u32_e32 v17, 29, v19
	v_and_b32_e32 v16, 7, v16
	v_cmp_gt_u32_e32 vcc, 8, v14
	v_cndmask_b32_e32 v14, v18, v17, vcc
	v_cndmask_b32_e32 v15, v15, v16, vcc
	v_lshlrev_b32_e32 v16, 24, v6
	v_bfrev_b32_e32 v17, 60
	v_lshlrev_b32_e32 v15, 20, v15
	v_and_b32_e32 v16, 0x80000000, v16
	v_lshl_add_u32 v14, v14, 23, v17
	v_or3_b32 v19, v16, v14, v15
.LBB553_597:
	s_or_b64 exec, exec, s[10:11]
.LBB553_598:
	s_or_b64 exec, exec, s[8:9]
.LBB553_599:
	s_or_b64 exec, exec, s[2:3]
	s_nop 3
	v_lshrrev_b16_e32 v14, 8, v6
	v_cmp_ne_u16_e32 vcc, 0, v14
	v_mov_b32_e32 v15, 0
	v_mov_b32_e32 v16, 0
	s_and_saveexec_b64 s[2:3], vcc
	s_cbranch_execz .LBB553_605
; %bb.600:
	s_movk_i32 s7, 0x80
	v_cmp_ne_u16_e32 vcc, s7, v14
	v_bfrev_b32_e32 v16, 1
	s_and_saveexec_b64 s[8:9], vcc
	s_cbranch_execz .LBB553_604
; %bb.601:
	s_movk_i32 s7, 0x7f
	v_and_b32_e32 v17, 0x7f, v14
	v_cmp_ne_u32_e32 vcc, s7, v17
	v_mov_b32_e32 v16, 0x7f800001
	s_and_saveexec_b64 s[10:11], vcc
	s_cbranch_execz .LBB553_603
; %bb.602:
	v_and_b32_e32 v16, 7, v14
	v_ffbh_u32_e32 v20, v16
	v_min_u32_e32 v23, 32, v20
	v_subrev_u32_e32 v20, 28, v23
	v_lshlrev_b64 v[20:21], v20, v[14:15]
	v_lshrrev_b32_e32 v18, 3, v17
	v_sub_u32_e32 v14, 29, v23
	v_and_b32_e32 v20, 7, v20
	v_cmp_gt_u32_e32 vcc, 8, v17
	v_cndmask_b32_e32 v14, v18, v14, vcc
	v_cndmask_b32_e32 v16, v16, v20, vcc
	v_lshlrev_b32_e32 v17, 16, v6
	v_bfrev_b32_e32 v18, 60
	v_lshlrev_b32_e32 v16, 20, v16
	v_and_b32_e32 v17, 0x80000000, v17
	v_lshl_add_u32 v14, v14, 23, v18
	v_or3_b32 v16, v17, v14, v16
.LBB553_603:
	s_or_b64 exec, exec, s[10:11]
.LBB553_604:
	s_or_b64 exec, exec, s[8:9]
.LBB553_605:
	s_or_b64 exec, exec, s[2:3]
	s_movk_i32 s2, 0xff
	v_and_b32_sdwa v17, v6, s2 dst_sel:DWORD dst_unused:UNUSED_PAD src0_sel:WORD_1 src1_sel:DWORD
	v_lshrrev_b32_e32 v14, 16, v6
	v_cmp_ne_u16_e32 vcc, 0, v17
	s_and_saveexec_b64 s[2:3], vcc
	s_cbranch_execz .LBB553_611
; %bb.606:
	s_movk_i32 s7, 0x80
	v_cmp_ne_u16_e32 vcc, s7, v17
	v_bfrev_b32_e32 v15, 1
	s_and_saveexec_b64 s[8:9], vcc
	s_cbranch_execz .LBB553_610
; %bb.607:
	v_bfe_u32 v17, v6, 16, 7
	s_movk_i32 s7, 0x7f
	v_cmp_ne_u32_e32 vcc, s7, v17
	v_mov_b32_e32 v15, 0x7f800001
	s_and_saveexec_b64 s[10:11], vcc
	s_cbranch_execz .LBB553_609
; %bb.608:
	v_and_b32_e32 v18, 7, v14
	v_ffbh_u32_e32 v15, v18
	v_min_u32_e32 v21, 32, v15
	v_subrev_u32_e32 v15, 28, v21
	v_lshlrev_b64 v[14:15], v15, v[14:15]
	v_lshrrev_b32_e32 v20, 3, v17
	v_sub_u32_e32 v15, 29, v21
	v_and_b32_e32 v14, 7, v14
	v_cmp_gt_u32_e32 vcc, 8, v17
	v_mov_b32_e32 v17, 24
	v_cndmask_b32_e32 v15, v20, v15, vcc
	v_cndmask_b32_e32 v14, v18, v14, vcc
	v_lshlrev_b32_sdwa v17, v17, v6 dst_sel:DWORD dst_unused:UNUSED_PAD src0_sel:DWORD src1_sel:WORD_1
	v_bfrev_b32_e32 v18, 60
	v_lshlrev_b32_e32 v14, 20, v14
	v_and_b32_e32 v17, 0x80000000, v17
	v_lshl_add_u32 v15, v15, 23, v18
	v_or3_b32 v15, v17, v15, v14
.LBB553_609:
	s_or_b64 exec, exec, s[10:11]
.LBB553_610:
	s_or_b64 exec, exec, s[8:9]
.LBB553_611:
	s_or_b64 exec, exec, s[2:3]
	s_mov_b32 s2, 0xffffff
	v_cmp_lt_u32_e32 vcc, s2, v6
	v_mov_b32_e32 v17, 0
	v_mov_b32_e32 v18, 0
	s_and_saveexec_b64 s[2:3], vcc
	s_cbranch_execz .LBB553_617
; %bb.612:
	v_lshrrev_b32_e32 v14, 24, v6
	s_movk_i32 s7, 0x80
	v_cmp_ne_u32_e32 vcc, s7, v14
	v_bfrev_b32_e32 v18, 1
	s_and_saveexec_b64 s[8:9], vcc
	s_cbranch_execz .LBB553_616
; %bb.613:
	v_bfe_u32 v6, v6, 24, 7
	s_movk_i32 s7, 0x7f
	v_cmp_ne_u32_e32 vcc, s7, v6
	v_mov_b32_e32 v18, 0x7f800001
	s_and_saveexec_b64 s[10:11], vcc
	s_cbranch_execz .LBB553_615
; %bb.614:
	v_and_b32_e32 v18, 7, v14
	v_ffbh_u32_e32 v20, v18
	v_min_u32_e32 v24, 32, v20
	v_subrev_u32_e32 v20, 28, v24
	v_lshlrev_b64 v[20:21], v20, v[14:15]
	v_lshrrev_b32_e32 v23, 3, v6
	v_sub_u32_e32 v21, 29, v24
	v_and_b32_e32 v20, 7, v20
	v_cmp_gt_u32_e32 vcc, 8, v6
	v_cndmask_b32_e32 v6, v23, v21, vcc
	v_cndmask_b32_e32 v18, v18, v20, vcc
	v_lshlrev_b32_e32 v14, 24, v14
	v_bfrev_b32_e32 v20, 60
	v_lshlrev_b32_e32 v18, 20, v18
	v_and_b32_e32 v14, 0x80000000, v14
	v_lshl_add_u32 v6, v6, 23, v20
	v_or3_b32 v18, v14, v6, v18
.LBB553_615:
	s_or_b64 exec, exec, s[10:11]
.LBB553_616:
	s_or_b64 exec, exec, s[8:9]
.LBB553_617:
	s_or_b64 exec, exec, s[2:3]
	v_cmp_ne_u16_sdwa s[8:9], v7, v17 src0_sel:BYTE_0 src1_sel:DWORD
	s_and_saveexec_b64 s[2:3], s[8:9]
	s_cbranch_execz .LBB553_623
; %bb.618:
	s_movk_i32 s7, 0x80
	v_cmp_ne_u16_sdwa s[10:11], v7, s7 src0_sel:BYTE_0 src1_sel:DWORD
	v_bfrev_b32_e32 v17, 1
	s_and_saveexec_b64 s[8:9], s[10:11]
	s_cbranch_execz .LBB553_622
; %bb.619:
	s_movk_i32 s7, 0x7f
	v_and_b32_e32 v6, 0x7f, v7
	v_cmp_ne_u32_e32 vcc, s7, v6
	v_mov_b32_e32 v17, 0x7f800001
	s_and_saveexec_b64 s[10:11], vcc
	s_cbranch_execz .LBB553_621
; %bb.620:
	v_and_b32_e32 v17, 7, v7
	v_ffbh_u32_e32 v20, v17
	v_min_u32_e32 v24, 32, v20
	v_mov_b32_e32 v14, v7
	v_subrev_u32_e32 v20, 28, v24
	v_lshlrev_b64 v[20:21], v20, v[14:15]
	v_lshrrev_b32_e32 v23, 3, v6
	v_sub_u32_e32 v14, 29, v24
	v_and_b32_e32 v20, 7, v20
	v_cmp_gt_u32_e32 vcc, 8, v6
	v_cndmask_b32_e32 v6, v23, v14, vcc
	v_cndmask_b32_e32 v14, v17, v20, vcc
	v_lshlrev_b32_e32 v17, 24, v7
	v_bfrev_b32_e32 v20, 60
	v_lshlrev_b32_e32 v14, 20, v14
	v_and_b32_e32 v17, 0x80000000, v17
	v_lshl_add_u32 v6, v6, 23, v20
	v_or3_b32 v17, v17, v6, v14
.LBB553_621:
	s_or_b64 exec, exec, s[10:11]
.LBB553_622:
	s_or_b64 exec, exec, s[8:9]
.LBB553_623:
	s_or_b64 exec, exec, s[2:3]
	v_lshrrev_b16_e32 v6, 8, v7
	v_cmp_ne_u16_e32 vcc, 0, v6
	v_mov_b32_e32 v20, 0
	v_mov_b32_e32 v21, 0
	s_and_saveexec_b64 s[2:3], vcc
	s_cbranch_execz .LBB553_629
; %bb.624:
	s_movk_i32 s7, 0x80
	v_cmp_ne_u16_e32 vcc, s7, v6
	v_bfrev_b32_e32 v21, 1
	s_and_saveexec_b64 s[8:9], vcc
	s_cbranch_execz .LBB553_628
; %bb.625:
	s_movk_i32 s7, 0x7f
	v_and_b32_e32 v14, 0x7f, v6
	v_cmp_ne_u32_e32 vcc, s7, v14
	v_mov_b32_e32 v21, 0x7f800001
	s_and_saveexec_b64 s[10:11], vcc
	s_cbranch_execz .LBB553_627
; %bb.626:
	v_and_b32_e32 v21, 7, v6
	v_ffbh_u32_e32 v24, v21
	v_min_u32_e32 v27, 32, v24
	v_subrev_u32_e32 v24, 28, v27
	v_lshlrev_b64 v[24:25], v24, v[6:7]
	v_lshrrev_b32_e32 v23, 3, v14
	v_sub_u32_e32 v6, 29, v27
	v_and_b32_e32 v24, 7, v24
	v_cmp_gt_u32_e32 vcc, 8, v14
	v_cndmask_b32_e32 v6, v23, v6, vcc
	v_cndmask_b32_e32 v14, v21, v24, vcc
	v_lshlrev_b32_e32 v21, 16, v7
	v_bfrev_b32_e32 v23, 60
	v_lshlrev_b32_e32 v14, 20, v14
	v_and_b32_e32 v21, 0x80000000, v21
	v_lshl_add_u32 v6, v6, 23, v23
	v_or3_b32 v21, v21, v6, v14
.LBB553_627:
	s_or_b64 exec, exec, s[10:11]
.LBB553_628:
	s_or_b64 exec, exec, s[8:9]
.LBB553_629:
	s_or_b64 exec, exec, s[2:3]
	s_movk_i32 s2, 0xff
	v_and_b32_sdwa v14, v7, s2 dst_sel:DWORD dst_unused:UNUSED_PAD src0_sel:WORD_1 src1_sel:DWORD
	v_lshrrev_b32_e32 v6, 16, v7
	v_cmp_ne_u16_e32 vcc, 0, v14
	s_and_saveexec_b64 s[2:3], vcc
	s_cbranch_execz .LBB553_635
; %bb.630:
	s_movk_i32 s7, 0x80
	v_cmp_ne_u16_e32 vcc, s7, v14
	v_bfrev_b32_e32 v20, 1
	s_and_saveexec_b64 s[8:9], vcc
	s_cbranch_execz .LBB553_634
; %bb.631:
	v_bfe_u32 v14, v7, 16, 7
	s_movk_i32 s7, 0x7f
	v_cmp_ne_u32_e32 vcc, s7, v14
	v_mov_b32_e32 v20, 0x7f800001
	s_and_saveexec_b64 s[10:11], vcc
	s_cbranch_execz .LBB553_633
; %bb.632:
	v_and_b32_e32 v20, 7, v6
	v_ffbh_u32_e32 v24, v20
	v_min_u32_e32 v27, 32, v24
	v_subrev_u32_e32 v24, 28, v27
	v_lshlrev_b64 v[24:25], v24, v[6:7]
	v_and_b32_e32 v24, 7, v24
	v_cmp_gt_u32_e32 vcc, 8, v14
	v_lshrrev_b32_e32 v23, 3, v14
	v_sub_u32_e32 v6, 29, v27
	v_cndmask_b32_e32 v14, v20, v24, vcc
	v_mov_b32_e32 v20, 24
	v_cndmask_b32_e32 v6, v23, v6, vcc
	v_lshlrev_b32_sdwa v20, v20, v7 dst_sel:DWORD dst_unused:UNUSED_PAD src0_sel:DWORD src1_sel:WORD_1
	v_bfrev_b32_e32 v23, 60
	v_lshlrev_b32_e32 v14, 20, v14
	v_and_b32_e32 v20, 0x80000000, v20
	v_lshl_add_u32 v6, v6, 23, v23
	v_or3_b32 v20, v20, v6, v14
.LBB553_633:
	s_or_b64 exec, exec, s[10:11]
.LBB553_634:
	s_or_b64 exec, exec, s[8:9]
.LBB553_635:
	s_or_b64 exec, exec, s[2:3]
	s_mov_b32 s2, 0xffffff
	v_cmp_lt_u32_e32 vcc, s2, v7
	v_mov_b32_e32 v14, 0
	v_mov_b32_e32 v23, 0
	s_and_saveexec_b64 s[2:3], vcc
	s_cbranch_execz .LBB553_641
; %bb.636:
	v_lshrrev_b32_e32 v6, 24, v7
	s_movk_i32 s7, 0x80
	v_cmp_ne_u32_e32 vcc, s7, v6
	v_bfrev_b32_e32 v23, 1
	s_and_saveexec_b64 s[8:9], vcc
	s_cbranch_execz .LBB553_640
; %bb.637:
	v_bfe_u32 v7, v7, 24, 7
	s_movk_i32 s7, 0x7f
	v_cmp_ne_u32_e32 vcc, s7, v7
	v_mov_b32_e32 v23, 0x7f800001
	s_and_saveexec_b64 s[10:11], vcc
	s_cbranch_execz .LBB553_639
; %bb.638:
	v_and_b32_e32 v23, 7, v6
	v_ffbh_u32_e32 v24, v23
	v_min_u32_e32 v28, 32, v24
	v_subrev_u32_e32 v24, 28, v28
	v_lshlrev_b64 v[24:25], v24, v[6:7]
	v_lshrrev_b32_e32 v27, 3, v7
	v_sub_u32_e32 v25, 29, v28
	v_and_b32_e32 v24, 7, v24
	v_cmp_gt_u32_e32 vcc, 8, v7
	v_cndmask_b32_e32 v7, v27, v25, vcc
	v_cndmask_b32_e32 v23, v23, v24, vcc
	v_lshlrev_b32_e32 v6, 24, v6
	v_bfrev_b32_e32 v24, 60
	v_lshlrev_b32_e32 v23, 20, v23
	v_and_b32_e32 v6, 0x80000000, v6
	v_lshl_add_u32 v7, v7, 23, v24
	v_or3_b32 v23, v6, v7, v23
.LBB553_639:
	s_or_b64 exec, exec, s[10:11]
.LBB553_640:
	s_or_b64 exec, exec, s[8:9]
.LBB553_641:
	s_or_b64 exec, exec, s[2:3]
	v_cvt_pkrtz_f16_f32 v6, v19, v16
	v_cvt_pkrtz_f16_f32 v7, v15, v18
	ds_read_b128 v[28:31], v22 offset:4096
	v_cmp_ne_u16_sdwa s[8:9], v8, v14 src0_sel:BYTE_0 src1_sel:DWORD
	s_waitcnt lgkmcnt(0)
	v_mfma_f32_16x16x16f16 v[10:13], v[6:7], v[28:29], v[10:13]
	v_cvt_pkrtz_f16_f32 v6, v17, v21
	v_cvt_pkrtz_f16_f32 v7, v20, v23
	s_nop 1
	v_mfma_f32_16x16x16f16 v[10:13], v[6:7], v[30:31], v[10:13]
	s_and_saveexec_b64 s[2:3], s[8:9]
	s_cbranch_execz .LBB553_647
; %bb.642:
	s_movk_i32 s7, 0x80
	v_cmp_ne_u16_sdwa s[10:11], v8, s7 src0_sel:BYTE_0 src1_sel:DWORD
	v_bfrev_b32_e32 v14, 1
	s_and_saveexec_b64 s[8:9], s[10:11]
	s_cbranch_execz .LBB553_646
; %bb.643:
	s_movk_i32 s7, 0x7f
	v_and_b32_e32 v6, 0x7f, v8
	v_cmp_ne_u32_e32 vcc, s7, v6
	v_mov_b32_e32 v14, 0x7f800001
	s_and_saveexec_b64 s[10:11], vcc
	s_cbranch_execz .LBB553_645
; %bb.644:
	v_and_b32_e32 v7, 7, v8
	v_ffbh_u32_e32 v14, v7
	v_min_u32_e32 v17, 32, v14
	v_subrev_u32_e32 v14, 28, v17
	v_lshlrev_b64 v[14:15], v14, v[8:9]
	v_lshrrev_b32_e32 v16, 3, v6
	v_sub_u32_e32 v15, 29, v17
	v_and_b32_e32 v14, 7, v14
	v_cmp_gt_u32_e32 vcc, 8, v6
	v_cndmask_b32_e32 v6, v16, v15, vcc
	v_cndmask_b32_e32 v7, v7, v14, vcc
	v_lshlrev_b32_e32 v14, 24, v8
	v_bfrev_b32_e32 v15, 60
	v_lshlrev_b32_e32 v7, 20, v7
	v_and_b32_e32 v14, 0x80000000, v14
	v_lshl_add_u32 v6, v6, 23, v15
	v_or3_b32 v14, v14, v6, v7
.LBB553_645:
	s_or_b64 exec, exec, s[10:11]
.LBB553_646:
	s_or_b64 exec, exec, s[8:9]
.LBB553_647:
	s_or_b64 exec, exec, s[2:3]
	v_lshrrev_b16_e32 v6, 8, v8
	v_cmp_ne_u16_e32 vcc, 0, v6
	v_mov_b32_e32 v7, 0
	v_mov_b32_e32 v16, 0
	s_and_saveexec_b64 s[2:3], vcc
	s_cbranch_execz .LBB553_653
; %bb.648:
	s_movk_i32 s7, 0x80
	v_cmp_ne_u16_e32 vcc, s7, v6
	v_bfrev_b32_e32 v16, 1
	s_and_saveexec_b64 s[8:9], vcc
	s_cbranch_execz .LBB553_652
; %bb.649:
	s_movk_i32 s7, 0x7f
	v_and_b32_e32 v15, 0x7f, v6
	v_cmp_ne_u32_e32 vcc, s7, v15
	v_mov_b32_e32 v16, 0x7f800001
	s_and_saveexec_b64 s[10:11], vcc
	s_cbranch_execz .LBB553_651
; %bb.650:
	v_and_b32_e32 v18, 7, v6
	v_ffbh_u32_e32 v16, v18
	v_min_u32_e32 v20, 32, v16
	v_subrev_u32_e32 v16, 28, v20
	v_lshlrev_b64 v[16:17], v16, v[6:7]
	v_lshrrev_b32_e32 v19, 3, v15
	v_sub_u32_e32 v6, 29, v20
	v_and_b32_e32 v16, 7, v16
	v_cmp_gt_u32_e32 vcc, 8, v15
	v_cndmask_b32_e32 v6, v19, v6, vcc
	v_cndmask_b32_e32 v15, v18, v16, vcc
	v_lshlrev_b32_e32 v16, 16, v8
	v_bfrev_b32_e32 v17, 60
	v_lshlrev_b32_e32 v15, 20, v15
	v_and_b32_e32 v16, 0x80000000, v16
	v_lshl_add_u32 v6, v6, 23, v17
	v_or3_b32 v16, v16, v6, v15
.LBB553_651:
	s_or_b64 exec, exec, s[10:11]
.LBB553_652:
	s_or_b64 exec, exec, s[8:9]
.LBB553_653:
	s_or_b64 exec, exec, s[2:3]
	s_movk_i32 s2, 0xff
	v_and_b32_sdwa v15, v8, s2 dst_sel:DWORD dst_unused:UNUSED_PAD src0_sel:WORD_1 src1_sel:DWORD
	v_lshrrev_b32_e32 v6, 16, v8
	v_cmp_ne_u16_e32 vcc, 0, v15
	s_and_saveexec_b64 s[2:3], vcc
	s_cbranch_execz .LBB553_659
; %bb.654:
	s_movk_i32 s7, 0x80
	v_cmp_ne_u16_e32 vcc, s7, v15
	v_bfrev_b32_e32 v7, 1
	s_and_saveexec_b64 s[8:9], vcc
	s_cbranch_execz .LBB553_658
; %bb.655:
	v_bfe_u32 v15, v8, 16, 7
	s_movk_i32 s7, 0x7f
	v_cmp_ne_u32_e32 vcc, s7, v15
	v_mov_b32_e32 v7, 0x7f800001
	s_and_saveexec_b64 s[10:11], vcc
	s_cbranch_execz .LBB553_657
; %bb.656:
	v_and_b32_e32 v17, 7, v6
	v_ffbh_u32_e32 v7, v17
	v_min_u32_e32 v19, 32, v7
	v_subrev_u32_e32 v7, 28, v19
	v_lshlrev_b64 v[6:7], v7, v[6:7]
	v_lshrrev_b32_e32 v18, 3, v15
	v_sub_u32_e32 v7, 29, v19
	v_and_b32_e32 v6, 7, v6
	v_cmp_gt_u32_e32 vcc, 8, v15
	v_mov_b32_e32 v15, 24
	v_cndmask_b32_e32 v7, v18, v7, vcc
	v_cndmask_b32_e32 v6, v17, v6, vcc
	v_lshlrev_b32_sdwa v15, v15, v8 dst_sel:DWORD dst_unused:UNUSED_PAD src0_sel:DWORD src1_sel:WORD_1
	v_bfrev_b32_e32 v17, 60
	v_lshlrev_b32_e32 v6, 20, v6
	v_and_b32_e32 v15, 0x80000000, v15
	v_lshl_add_u32 v7, v7, 23, v17
	v_or3_b32 v7, v15, v7, v6
.LBB553_657:
	s_or_b64 exec, exec, s[10:11]
.LBB553_658:
	s_or_b64 exec, exec, s[8:9]
.LBB553_659:
	s_or_b64 exec, exec, s[2:3]
	s_mov_b32 s2, 0xffffff
	v_cmp_lt_u32_e32 vcc, s2, v8
	v_mov_b32_e32 v17, 0
	v_mov_b32_e32 v18, 0
	s_and_saveexec_b64 s[2:3], vcc
	s_cbranch_execz .LBB553_665
; %bb.660:
	v_lshrrev_b32_e32 v6, 24, v8
	s_movk_i32 s7, 0x80
	v_cmp_ne_u32_e32 vcc, s7, v6
	v_bfrev_b32_e32 v18, 1
	s_and_saveexec_b64 s[8:9], vcc
	s_cbranch_execz .LBB553_664
; %bb.661:
	v_bfe_u32 v8, v8, 24, 7
	s_movk_i32 s7, 0x7f
	v_cmp_ne_u32_e32 vcc, s7, v8
	v_mov_b32_e32 v18, 0x7f800001
	s_and_saveexec_b64 s[10:11], vcc
	s_cbranch_execz .LBB553_663
; %bb.662:
	v_and_b32_e32 v15, 7, v6
	v_ffbh_u32_e32 v18, v15
	v_min_u32_e32 v21, 32, v18
	v_subrev_u32_e32 v18, 28, v21
	v_lshlrev_b64 v[18:19], v18, v[6:7]
	v_lshrrev_b32_e32 v20, 3, v8
	v_sub_u32_e32 v19, 29, v21
	v_and_b32_e32 v18, 7, v18
	v_cmp_gt_u32_e32 vcc, 8, v8
	v_cndmask_b32_e32 v8, v20, v19, vcc
	v_cndmask_b32_e32 v15, v15, v18, vcc
	v_lshlrev_b32_e32 v6, 24, v6
	v_bfrev_b32_e32 v18, 60
	v_lshlrev_b32_e32 v15, 20, v15
	v_and_b32_e32 v6, 0x80000000, v6
	v_lshl_add_u32 v8, v8, 23, v18
	v_or3_b32 v18, v6, v8, v15
.LBB553_663:
	s_or_b64 exec, exec, s[10:11]
.LBB553_664:
	s_or_b64 exec, exec, s[8:9]
.LBB553_665:
	s_or_b64 exec, exec, s[2:3]
	v_cmp_ne_u16_sdwa s[8:9], v9, v17 src0_sel:BYTE_0 src1_sel:DWORD
	s_and_saveexec_b64 s[2:3], s[8:9]
	s_cbranch_execz .LBB553_671
; %bb.666:
	s_movk_i32 s7, 0x80
	v_cmp_ne_u16_sdwa s[10:11], v9, s7 src0_sel:BYTE_0 src1_sel:DWORD
	v_bfrev_b32_e32 v17, 1
	s_and_saveexec_b64 s[8:9], s[10:11]
	s_cbranch_execz .LBB553_670
; %bb.667:
	s_movk_i32 s7, 0x7f
	v_and_b32_e32 v6, 0x7f, v9
	v_cmp_ne_u32_e32 vcc, s7, v6
	v_mov_b32_e32 v17, 0x7f800001
	s_and_saveexec_b64 s[10:11], vcc
	s_cbranch_execz .LBB553_669
; %bb.668:
	v_and_b32_e32 v15, 7, v9
	v_ffbh_u32_e32 v19, v15
	v_min_u32_e32 v19, 32, v19
	v_mov_b32_e32 v8, v9
	v_subrev_u32_e32 v20, 28, v19
	v_lshlrev_b64 v[20:21], v20, v[8:9]
	v_lshrrev_b32_e32 v17, 3, v6
	v_sub_u32_e32 v8, 29, v19
	v_and_b32_e32 v19, 7, v20
	v_cmp_gt_u32_e32 vcc, 8, v6
	v_cndmask_b32_e32 v6, v17, v8, vcc
	v_cndmask_b32_e32 v8, v15, v19, vcc
	v_lshlrev_b32_e32 v15, 24, v9
	v_bfrev_b32_e32 v17, 60
	v_lshlrev_b32_e32 v8, 20, v8
	v_and_b32_e32 v15, 0x80000000, v15
	v_lshl_add_u32 v6, v6, 23, v17
	v_or3_b32 v17, v15, v6, v8
.LBB553_669:
	s_or_b64 exec, exec, s[10:11]
.LBB553_670:
	s_or_b64 exec, exec, s[8:9]
.LBB553_671:
	s_or_b64 exec, exec, s[2:3]
	v_lshrrev_b16_e32 v6, 8, v9
	v_cmp_ne_u16_e32 vcc, 0, v6
	v_mov_b32_e32 v8, 0
	v_mov_b32_e32 v19, 0
	s_and_saveexec_b64 s[2:3], vcc
	s_cbranch_execz .LBB553_677
; %bb.672:
	s_movk_i32 s7, 0x80
	v_cmp_ne_u16_e32 vcc, s7, v6
	v_bfrev_b32_e32 v19, 1
	s_and_saveexec_b64 s[8:9], vcc
	s_cbranch_execz .LBB553_676
; %bb.673:
	s_movk_i32 s7, 0x7f
	v_and_b32_e32 v15, 0x7f, v6
	v_cmp_ne_u32_e32 vcc, s7, v15
	v_mov_b32_e32 v19, 0x7f800001
	s_and_saveexec_b64 s[10:11], vcc
	s_cbranch_execz .LBB553_675
; %bb.674:
	v_and_b32_e32 v19, 7, v6
	v_ffbh_u32_e32 v20, v19
	v_min_u32_e32 v24, 32, v20
	v_subrev_u32_e32 v20, 28, v24
	v_lshlrev_b64 v[20:21], v20, v[6:7]
	v_lshrrev_b32_e32 v23, 3, v15
	v_sub_u32_e32 v6, 29, v24
	v_and_b32_e32 v20, 7, v20
	v_cmp_gt_u32_e32 vcc, 8, v15
	v_cndmask_b32_e32 v6, v23, v6, vcc
	v_cndmask_b32_e32 v15, v19, v20, vcc
	v_lshlrev_b32_e32 v19, 16, v9
	v_bfrev_b32_e32 v20, 60
	v_lshlrev_b32_e32 v15, 20, v15
	v_and_b32_e32 v19, 0x80000000, v19
	v_lshl_add_u32 v6, v6, 23, v20
	v_or3_b32 v19, v19, v6, v15
.LBB553_675:
	s_or_b64 exec, exec, s[10:11]
.LBB553_676:
	s_or_b64 exec, exec, s[8:9]
.LBB553_677:
	s_or_b64 exec, exec, s[2:3]
	s_movk_i32 s2, 0xff
	v_and_b32_sdwa v15, v9, s2 dst_sel:DWORD dst_unused:UNUSED_PAD src0_sel:WORD_1 src1_sel:DWORD
	v_lshrrev_b32_e32 v6, 16, v9
	v_cmp_ne_u16_e32 vcc, 0, v15
	s_and_saveexec_b64 s[2:3], vcc
	s_cbranch_execz .LBB553_683
; %bb.678:
	s_movk_i32 s7, 0x80
	v_cmp_ne_u16_e32 vcc, s7, v15
	v_bfrev_b32_e32 v8, 1
	s_and_saveexec_b64 s[8:9], vcc
	s_cbranch_execz .LBB553_682
; %bb.679:
	v_bfe_u32 v15, v9, 16, 7
	s_movk_i32 s7, 0x7f
	v_cmp_ne_u32_e32 vcc, s7, v15
	v_mov_b32_e32 v8, 0x7f800001
	s_and_saveexec_b64 s[10:11], vcc
	s_cbranch_execz .LBB553_681
; %bb.680:
	v_and_b32_e32 v8, 7, v6
	v_ffbh_u32_e32 v20, v8
	v_min_u32_e32 v24, 32, v20
	v_subrev_u32_e32 v20, 28, v24
	v_lshlrev_b64 v[20:21], v20, v[6:7]
	v_lshrrev_b32_e32 v23, 3, v15
	v_sub_u32_e32 v6, 29, v24
	v_and_b32_e32 v20, 7, v20
	v_cmp_gt_u32_e32 vcc, 8, v15
	v_mov_b32_e32 v15, 24
	v_cndmask_b32_e32 v6, v23, v6, vcc
	v_cndmask_b32_e32 v8, v8, v20, vcc
	v_lshlrev_b32_sdwa v15, v15, v9 dst_sel:DWORD dst_unused:UNUSED_PAD src0_sel:DWORD src1_sel:WORD_1
	v_bfrev_b32_e32 v20, 60
	v_lshlrev_b32_e32 v8, 20, v8
	v_and_b32_e32 v15, 0x80000000, v15
	v_lshl_add_u32 v6, v6, 23, v20
	v_or3_b32 v8, v15, v6, v8
.LBB553_681:
	s_or_b64 exec, exec, s[10:11]
.LBB553_682:
	s_or_b64 exec, exec, s[8:9]
.LBB553_683:
	s_or_b64 exec, exec, s[2:3]
	s_mov_b32 s2, 0xffffff
	v_cmp_lt_u32_e32 vcc, s2, v9
	v_mov_b32_e32 v15, 0
	v_mov_b32_e32 v20, 0
	s_and_saveexec_b64 s[2:3], vcc
	s_cbranch_execz .LBB553_689
; %bb.684:
	v_lshrrev_b32_e32 v6, 24, v9
	s_movk_i32 s7, 0x80
	v_cmp_ne_u32_e32 vcc, s7, v6
	v_bfrev_b32_e32 v20, 1
	s_and_saveexec_b64 s[8:9], vcc
	s_cbranch_execz .LBB553_688
; %bb.685:
	v_bfe_u32 v9, v9, 24, 7
	s_movk_i32 s7, 0x7f
	v_cmp_ne_u32_e32 vcc, s7, v9
	v_mov_b32_e32 v20, 0x7f800001
	s_and_saveexec_b64 s[10:11], vcc
	s_cbranch_execz .LBB553_687
; %bb.686:
	v_and_b32_e32 v23, 7, v6
	v_ffbh_u32_e32 v20, v23
	v_min_u32_e32 v25, 32, v20
	v_subrev_u32_e32 v20, 28, v25
	v_lshlrev_b64 v[20:21], v20, v[6:7]
	v_lshrrev_b32_e32 v24, 3, v9
	v_sub_u32_e32 v21, 29, v25
	v_and_b32_e32 v20, 7, v20
	v_cmp_gt_u32_e32 vcc, 8, v9
	v_cndmask_b32_e32 v9, v24, v21, vcc
	v_cndmask_b32_e32 v20, v23, v20, vcc
	v_lshlrev_b32_e32 v6, 24, v6
	v_bfrev_b32_e32 v21, 60
	v_lshlrev_b32_e32 v20, 20, v20
	v_and_b32_e32 v6, 0x80000000, v6
	v_lshl_add_u32 v9, v9, 23, v21
	v_or3_b32 v20, v6, v9, v20
.LBB553_687:
	s_or_b64 exec, exec, s[10:11]
.LBB553_688:
	s_or_b64 exec, exec, s[8:9]
.LBB553_689:
	s_or_b64 exec, exec, s[2:3]
	v_cvt_pkrtz_f16_f32 v6, v14, v16
	v_cvt_pkrtz_f16_f32 v7, v7, v18
	ds_read_b128 v[28:31], v22 offset:4112
	s_waitcnt vmcnt(0)
	v_cmp_ne_u16_sdwa s[8:9], v2, v15 src0_sel:BYTE_0 src1_sel:DWORD
	s_waitcnt lgkmcnt(0)
	v_mfma_f32_16x16x16f16 v[10:13], v[6:7], v[28:29], v[10:13]
	v_cvt_pkrtz_f16_f32 v6, v17, v19
	v_cvt_pkrtz_f16_f32 v7, v8, v20
	s_nop 1
	v_mfma_f32_16x16x16f16 v[6:9], v[6:7], v[30:31], v[10:13]
	s_and_saveexec_b64 s[2:3], s[8:9]
	s_cbranch_execz .LBB553_695
; %bb.690:
	s_movk_i32 s7, 0x80
	v_cmp_ne_u16_sdwa s[10:11], v2, s7 src0_sel:BYTE_0 src1_sel:DWORD
	v_bfrev_b32_e32 v15, 1
	s_and_saveexec_b64 s[8:9], s[10:11]
	s_cbranch_execz .LBB553_694
; %bb.691:
	s_movk_i32 s7, 0x7f
	v_and_b32_e32 v10, 0x7f, v2
	v_cmp_ne_u32_e32 vcc, s7, v10
	v_mov_b32_e32 v15, 0x7f800001
	s_and_saveexec_b64 s[10:11], vcc
	s_cbranch_execz .LBB553_693
; %bb.692:
	v_and_b32_e32 v11, 7, v2
	v_ffbh_u32_e32 v12, v11
	v_min_u32_e32 v15, 32, v12
	v_subrev_u32_e32 v12, 28, v15
	v_lshlrev_b64 v[12:13], v12, v[2:3]
	v_lshrrev_b32_e32 v14, 3, v10
	v_sub_u32_e32 v13, 29, v15
	v_and_b32_e32 v12, 7, v12
	v_cmp_gt_u32_e32 vcc, 8, v10
	v_cndmask_b32_e32 v10, v14, v13, vcc
	v_cndmask_b32_e32 v11, v11, v12, vcc
	v_lshlrev_b32_e32 v12, 24, v2
	v_bfrev_b32_e32 v13, 60
	v_lshlrev_b32_e32 v11, 20, v11
	v_and_b32_e32 v12, 0x80000000, v12
	v_lshl_add_u32 v10, v10, 23, v13
	v_or3_b32 v15, v12, v10, v11
.LBB553_693:
	s_or_b64 exec, exec, s[10:11]
.LBB553_694:
	s_or_b64 exec, exec, s[8:9]
.LBB553_695:
	s_or_b64 exec, exec, s[2:3]
	s_nop 3
	v_lshrrev_b16_e32 v10, 8, v2
	v_cmp_ne_u16_e32 vcc, 0, v10
	v_mov_b32_e32 v11, 0
	v_mov_b32_e32 v12, 0
	s_and_saveexec_b64 s[2:3], vcc
	s_cbranch_execz .LBB553_701
; %bb.696:
	s_movk_i32 s7, 0x80
	v_cmp_ne_u16_e32 vcc, s7, v10
	v_bfrev_b32_e32 v12, 1
	s_and_saveexec_b64 s[8:9], vcc
	s_cbranch_execz .LBB553_700
; %bb.697:
	s_movk_i32 s7, 0x7f
	v_and_b32_e32 v13, 0x7f, v10
	v_cmp_ne_u32_e32 vcc, s7, v13
	v_mov_b32_e32 v12, 0x7f800001
	s_and_saveexec_b64 s[10:11], vcc
	s_cbranch_execz .LBB553_699
; %bb.698:
	v_and_b32_e32 v12, 7, v10
	v_ffbh_u32_e32 v16, v12
	v_min_u32_e32 v18, 32, v16
	v_subrev_u32_e32 v16, 28, v18
	v_lshlrev_b64 v[16:17], v16, v[10:11]
	v_lshrrev_b32_e32 v14, 3, v13
	v_sub_u32_e32 v10, 29, v18
	v_and_b32_e32 v16, 7, v16
	v_cmp_gt_u32_e32 vcc, 8, v13
	v_cndmask_b32_e32 v10, v14, v10, vcc
	v_cndmask_b32_e32 v12, v12, v16, vcc
	v_lshlrev_b32_e32 v13, 16, v2
	v_bfrev_b32_e32 v14, 60
	v_lshlrev_b32_e32 v12, 20, v12
	v_and_b32_e32 v13, 0x80000000, v13
	v_lshl_add_u32 v10, v10, 23, v14
	v_or3_b32 v12, v13, v10, v12
.LBB553_699:
	s_or_b64 exec, exec, s[10:11]
.LBB553_700:
	s_or_b64 exec, exec, s[8:9]
.LBB553_701:
	s_or_b64 exec, exec, s[2:3]
	s_movk_i32 s2, 0xff
	v_and_b32_sdwa v13, v2, s2 dst_sel:DWORD dst_unused:UNUSED_PAD src0_sel:WORD_1 src1_sel:DWORD
	v_lshrrev_b32_e32 v10, 16, v2
	v_cmp_ne_u16_e32 vcc, 0, v13
	s_and_saveexec_b64 s[2:3], vcc
	s_cbranch_execz .LBB553_707
; %bb.702:
	s_movk_i32 s7, 0x80
	v_cmp_ne_u16_e32 vcc, s7, v13
	v_bfrev_b32_e32 v11, 1
	s_and_saveexec_b64 s[8:9], vcc
	s_cbranch_execz .LBB553_706
; %bb.703:
	v_bfe_u32 v13, v2, 16, 7
	s_movk_i32 s7, 0x7f
	v_cmp_ne_u32_e32 vcc, s7, v13
	v_mov_b32_e32 v11, 0x7f800001
	s_and_saveexec_b64 s[10:11], vcc
	s_cbranch_execz .LBB553_705
; %bb.704:
	v_and_b32_e32 v14, 7, v10
	v_ffbh_u32_e32 v11, v14
	v_min_u32_e32 v17, 32, v11
	v_subrev_u32_e32 v11, 28, v17
	v_lshlrev_b64 v[10:11], v11, v[10:11]
	v_lshrrev_b32_e32 v16, 3, v13
	v_sub_u32_e32 v11, 29, v17
	v_and_b32_e32 v10, 7, v10
	v_cmp_gt_u32_e32 vcc, 8, v13
	v_mov_b32_e32 v13, 24
	v_cndmask_b32_e32 v11, v16, v11, vcc
	v_cndmask_b32_e32 v10, v14, v10, vcc
	v_lshlrev_b32_sdwa v13, v13, v2 dst_sel:DWORD dst_unused:UNUSED_PAD src0_sel:DWORD src1_sel:WORD_1
	v_bfrev_b32_e32 v14, 60
	v_lshlrev_b32_e32 v10, 20, v10
	v_and_b32_e32 v13, 0x80000000, v13
	v_lshl_add_u32 v11, v11, 23, v14
	v_or3_b32 v11, v13, v11, v10
.LBB553_705:
	s_or_b64 exec, exec, s[10:11]
.LBB553_706:
	s_or_b64 exec, exec, s[8:9]
.LBB553_707:
	s_or_b64 exec, exec, s[2:3]
	s_mov_b32 s2, 0xffffff
	v_cmp_lt_u32_e32 vcc, s2, v2
	v_mov_b32_e32 v13, 0
	v_mov_b32_e32 v14, 0
	s_and_saveexec_b64 s[2:3], vcc
	s_cbranch_execz .LBB553_713
; %bb.708:
	v_lshrrev_b32_e32 v10, 24, v2
	s_movk_i32 s7, 0x80
	v_cmp_ne_u32_e32 vcc, s7, v10
	v_bfrev_b32_e32 v14, 1
	s_and_saveexec_b64 s[8:9], vcc
	s_cbranch_execz .LBB553_712
; %bb.709:
	v_bfe_u32 v2, v2, 24, 7
	s_movk_i32 s7, 0x7f
	v_cmp_ne_u32_e32 vcc, s7, v2
	v_mov_b32_e32 v14, 0x7f800001
	s_and_saveexec_b64 s[10:11], vcc
	s_cbranch_execz .LBB553_711
; %bb.710:
	v_and_b32_e32 v14, 7, v10
	v_ffbh_u32_e32 v16, v14
	v_min_u32_e32 v19, 32, v16
	v_subrev_u32_e32 v16, 28, v19
	v_lshlrev_b64 v[16:17], v16, v[10:11]
	v_lshrrev_b32_e32 v18, 3, v2
	v_sub_u32_e32 v17, 29, v19
	v_and_b32_e32 v16, 7, v16
	v_cmp_gt_u32_e32 vcc, 8, v2
	v_cndmask_b32_e32 v2, v18, v17, vcc
	v_cndmask_b32_e32 v14, v14, v16, vcc
	v_lshlrev_b32_e32 v10, 24, v10
	v_bfrev_b32_e32 v16, 60
	v_lshlrev_b32_e32 v14, 20, v14
	v_and_b32_e32 v10, 0x80000000, v10
	v_lshl_add_u32 v2, v2, 23, v16
	v_or3_b32 v14, v10, v2, v14
.LBB553_711:
	s_or_b64 exec, exec, s[10:11]
.LBB553_712:
	s_or_b64 exec, exec, s[8:9]
.LBB553_713:
	s_or_b64 exec, exec, s[2:3]
	v_cmp_ne_u16_sdwa s[8:9], v3, v13 src0_sel:BYTE_0 src1_sel:DWORD
	s_and_saveexec_b64 s[2:3], s[8:9]
	s_cbranch_execz .LBB553_719
; %bb.714:
	s_movk_i32 s7, 0x80
	v_cmp_ne_u16_sdwa s[10:11], v3, s7 src0_sel:BYTE_0 src1_sel:DWORD
	v_bfrev_b32_e32 v13, 1
	s_and_saveexec_b64 s[8:9], s[10:11]
	s_cbranch_execz .LBB553_718
; %bb.715:
	s_movk_i32 s7, 0x7f
	v_and_b32_e32 v2, 0x7f, v3
	v_cmp_ne_u32_e32 vcc, s7, v2
	v_mov_b32_e32 v13, 0x7f800001
	s_and_saveexec_b64 s[10:11], vcc
	s_cbranch_execz .LBB553_717
; %bb.716:
	v_and_b32_e32 v13, 7, v3
	v_ffbh_u32_e32 v16, v13
	v_min_u32_e32 v19, 32, v16
	v_mov_b32_e32 v10, v3
	v_subrev_u32_e32 v16, 28, v19
	v_lshlrev_b64 v[16:17], v16, v[10:11]
	v_lshrrev_b32_e32 v18, 3, v2
	v_sub_u32_e32 v10, 29, v19
	v_and_b32_e32 v16, 7, v16
	v_cmp_gt_u32_e32 vcc, 8, v2
	v_cndmask_b32_e32 v2, v18, v10, vcc
	v_cndmask_b32_e32 v10, v13, v16, vcc
	v_lshlrev_b32_e32 v13, 24, v3
	v_bfrev_b32_e32 v16, 60
	v_lshlrev_b32_e32 v10, 20, v10
	v_and_b32_e32 v13, 0x80000000, v13
	v_lshl_add_u32 v2, v2, 23, v16
	v_or3_b32 v13, v13, v2, v10
.LBB553_717:
	s_or_b64 exec, exec, s[10:11]
.LBB553_718:
	s_or_b64 exec, exec, s[8:9]
.LBB553_719:
	s_or_b64 exec, exec, s[2:3]
	v_lshrrev_b16_e32 v2, 8, v3
	v_cmp_ne_u16_e32 vcc, 0, v2
	v_mov_b32_e32 v16, 0
	v_mov_b32_e32 v17, 0
	s_and_saveexec_b64 s[2:3], vcc
	s_cbranch_execz .LBB553_725
; %bb.720:
	s_movk_i32 s7, 0x80
	v_cmp_ne_u16_e32 vcc, s7, v2
	v_bfrev_b32_e32 v17, 1
	s_and_saveexec_b64 s[8:9], vcc
	s_cbranch_execz .LBB553_724
; %bb.721:
	s_movk_i32 s7, 0x7f
	v_and_b32_e32 v10, 0x7f, v2
	v_cmp_ne_u32_e32 vcc, s7, v10
	v_mov_b32_e32 v17, 0x7f800001
	s_and_saveexec_b64 s[10:11], vcc
	s_cbranch_execz .LBB553_723
; %bb.722:
	v_and_b32_e32 v17, 7, v2
	v_ffbh_u32_e32 v18, v17
	v_min_u32_e32 v21, 32, v18
	v_subrev_u32_e32 v18, 28, v21
	v_lshlrev_b64 v[18:19], v18, v[2:3]
	v_lshrrev_b32_e32 v20, 3, v10
	v_sub_u32_e32 v2, 29, v21
	v_and_b32_e32 v18, 7, v18
	v_cmp_gt_u32_e32 vcc, 8, v10
	v_cndmask_b32_e32 v2, v20, v2, vcc
	v_cndmask_b32_e32 v10, v17, v18, vcc
	v_lshlrev_b32_e32 v17, 16, v3
	v_bfrev_b32_e32 v18, 60
	v_lshlrev_b32_e32 v10, 20, v10
	v_and_b32_e32 v17, 0x80000000, v17
	v_lshl_add_u32 v2, v2, 23, v18
	v_or3_b32 v17, v17, v2, v10
.LBB553_723:
	s_or_b64 exec, exec, s[10:11]
.LBB553_724:
	s_or_b64 exec, exec, s[8:9]
.LBB553_725:
	s_or_b64 exec, exec, s[2:3]
	s_movk_i32 s2, 0xff
	v_and_b32_sdwa v10, v3, s2 dst_sel:DWORD dst_unused:UNUSED_PAD src0_sel:WORD_1 src1_sel:DWORD
	v_lshrrev_b32_e32 v2, 16, v3
	v_cmp_ne_u16_e32 vcc, 0, v10
	s_and_saveexec_b64 s[2:3], vcc
	s_cbranch_execz .LBB553_731
; %bb.726:
	s_movk_i32 s7, 0x80
	v_cmp_ne_u16_e32 vcc, s7, v10
	v_bfrev_b32_e32 v16, 1
	s_and_saveexec_b64 s[8:9], vcc
	s_cbranch_execz .LBB553_730
; %bb.727:
	v_bfe_u32 v10, v3, 16, 7
	s_movk_i32 s7, 0x7f
	v_cmp_ne_u32_e32 vcc, s7, v10
	v_mov_b32_e32 v16, 0x7f800001
	s_and_saveexec_b64 s[10:11], vcc
	s_cbranch_execz .LBB553_729
; %bb.728:
	v_and_b32_e32 v16, 7, v2
	v_ffbh_u32_e32 v18, v16
	v_min_u32_e32 v21, 32, v18
	v_subrev_u32_e32 v18, 28, v21
	v_lshlrev_b64 v[18:19], v18, v[2:3]
	v_and_b32_e32 v18, 7, v18
	v_cmp_gt_u32_e32 vcc, 8, v10
	v_lshrrev_b32_e32 v20, 3, v10
	v_sub_u32_e32 v2, 29, v21
	v_cndmask_b32_e32 v10, v16, v18, vcc
	v_mov_b32_e32 v16, 24
	v_cndmask_b32_e32 v2, v20, v2, vcc
	v_lshlrev_b32_sdwa v16, v16, v3 dst_sel:DWORD dst_unused:UNUSED_PAD src0_sel:DWORD src1_sel:WORD_1
	v_bfrev_b32_e32 v18, 60
	v_lshlrev_b32_e32 v10, 20, v10
	v_and_b32_e32 v16, 0x80000000, v16
	v_lshl_add_u32 v2, v2, 23, v18
	v_or3_b32 v16, v16, v2, v10
.LBB553_729:
	s_or_b64 exec, exec, s[10:11]
.LBB553_730:
	s_or_b64 exec, exec, s[8:9]
.LBB553_731:
	s_or_b64 exec, exec, s[2:3]
	s_mov_b32 s2, 0xffffff
	v_cmp_lt_u32_e32 vcc, s2, v3
	v_mov_b32_e32 v10, 0
	v_mov_b32_e32 v18, 0
	s_and_saveexec_b64 s[2:3], vcc
	s_cbranch_execz .LBB553_737
; %bb.732:
	v_lshrrev_b32_e32 v2, 24, v3
	s_movk_i32 s7, 0x80
	v_cmp_ne_u32_e32 vcc, s7, v2
	v_bfrev_b32_e32 v18, 1
	s_and_saveexec_b64 s[8:9], vcc
	s_cbranch_execz .LBB553_736
; %bb.733:
	v_bfe_u32 v3, v3, 24, 7
	s_movk_i32 s7, 0x7f
	v_cmp_ne_u32_e32 vcc, s7, v3
	v_mov_b32_e32 v18, 0x7f800001
	s_and_saveexec_b64 s[10:11], vcc
	s_cbranch_execz .LBB553_735
; %bb.734:
	v_and_b32_e32 v20, 7, v2
	v_ffbh_u32_e32 v18, v20
	v_min_u32_e32 v23, 32, v18
	v_subrev_u32_e32 v18, 28, v23
	v_lshlrev_b64 v[18:19], v18, v[2:3]
	v_lshrrev_b32_e32 v21, 3, v3
	v_sub_u32_e32 v19, 29, v23
	v_and_b32_e32 v18, 7, v18
	v_cmp_gt_u32_e32 vcc, 8, v3
	v_cndmask_b32_e32 v3, v21, v19, vcc
	v_cndmask_b32_e32 v18, v20, v18, vcc
	v_lshlrev_b32_e32 v2, 24, v2
	v_bfrev_b32_e32 v19, 60
	v_lshlrev_b32_e32 v18, 20, v18
	v_and_b32_e32 v2, 0x80000000, v2
	v_lshl_add_u32 v3, v3, 23, v19
	v_or3_b32 v18, v2, v3, v18
.LBB553_735:
	s_or_b64 exec, exec, s[10:11]
.LBB553_736:
	s_or_b64 exec, exec, s[8:9]
.LBB553_737:
	s_or_b64 exec, exec, s[2:3]
	v_cvt_pkrtz_f16_f32 v2, v15, v12
	v_cvt_pkrtz_f16_f32 v3, v11, v14
	ds_read_b128 v[28:31], v22 offset:6144
	v_cmp_ne_u16_sdwa s[8:9], v4, v10 src0_sel:BYTE_0 src1_sel:DWORD
	s_waitcnt lgkmcnt(0)
	v_mfma_f32_16x16x16f16 v[6:9], v[2:3], v[28:29], v[6:9]
	v_cvt_pkrtz_f16_f32 v2, v13, v17
	v_cvt_pkrtz_f16_f32 v3, v16, v18
	s_nop 1
	v_mfma_f32_16x16x16f16 v[6:9], v[2:3], v[30:31], v[6:9]
	s_and_saveexec_b64 s[2:3], s[8:9]
	s_cbranch_execz .LBB553_743
; %bb.738:
	s_movk_i32 s7, 0x80
	v_cmp_ne_u16_sdwa s[10:11], v4, s7 src0_sel:BYTE_0 src1_sel:DWORD
	v_bfrev_b32_e32 v10, 1
	s_and_saveexec_b64 s[8:9], s[10:11]
	s_cbranch_execz .LBB553_742
; %bb.739:
	s_movk_i32 s7, 0x7f
	v_and_b32_e32 v2, 0x7f, v4
	v_cmp_ne_u32_e32 vcc, s7, v2
	v_mov_b32_e32 v10, 0x7f800001
	s_and_saveexec_b64 s[10:11], vcc
	s_cbranch_execz .LBB553_741
; %bb.740:
	v_and_b32_e32 v3, 7, v4
	v_ffbh_u32_e32 v10, v3
	v_min_u32_e32 v13, 32, v10
	v_subrev_u32_e32 v10, 28, v13
	v_lshlrev_b64 v[10:11], v10, v[4:5]
	v_lshrrev_b32_e32 v12, 3, v2
	v_sub_u32_e32 v11, 29, v13
	v_and_b32_e32 v10, 7, v10
	v_cmp_gt_u32_e32 vcc, 8, v2
	v_cndmask_b32_e32 v2, v12, v11, vcc
	v_cndmask_b32_e32 v3, v3, v10, vcc
	v_lshlrev_b32_e32 v10, 24, v4
	v_bfrev_b32_e32 v11, 60
	v_lshlrev_b32_e32 v3, 20, v3
	v_and_b32_e32 v10, 0x80000000, v10
	v_lshl_add_u32 v2, v2, 23, v11
	v_or3_b32 v10, v10, v2, v3
.LBB553_741:
	s_or_b64 exec, exec, s[10:11]
.LBB553_742:
	s_or_b64 exec, exec, s[8:9]
.LBB553_743:
	s_or_b64 exec, exec, s[2:3]
	v_lshrrev_b16_e32 v2, 8, v4
	v_cmp_ne_u16_e32 vcc, 0, v2
	v_mov_b32_e32 v3, 0
	v_mov_b32_e32 v11, 0
	s_and_saveexec_b64 s[2:3], vcc
	s_cbranch_execz .LBB553_749
; %bb.744:
	s_movk_i32 s7, 0x80
	v_cmp_ne_u16_e32 vcc, s7, v2
	v_bfrev_b32_e32 v11, 1
	s_and_saveexec_b64 s[8:9], vcc
	s_cbranch_execz .LBB553_748
; %bb.745:
	s_movk_i32 s7, 0x7f
	v_and_b32_e32 v12, 0x7f, v2
	v_cmp_ne_u32_e32 vcc, s7, v12
	v_mov_b32_e32 v11, 0x7f800001
	s_and_saveexec_b64 s[10:11], vcc
	s_cbranch_execz .LBB553_747
; %bb.746:
	v_and_b32_e32 v11, 7, v2
	v_ffbh_u32_e32 v14, v11
	v_min_u32_e32 v16, 32, v14
	v_subrev_u32_e32 v14, 28, v16
	v_lshlrev_b64 v[14:15], v14, v[2:3]
	v_lshrrev_b32_e32 v13, 3, v12
	v_sub_u32_e32 v2, 29, v16
	v_and_b32_e32 v14, 7, v14
	v_cmp_gt_u32_e32 vcc, 8, v12
	v_cndmask_b32_e32 v2, v13, v2, vcc
	v_cndmask_b32_e32 v11, v11, v14, vcc
	v_lshlrev_b32_e32 v12, 16, v4
	v_bfrev_b32_e32 v13, 60
	v_lshlrev_b32_e32 v11, 20, v11
	v_and_b32_e32 v12, 0x80000000, v12
	v_lshl_add_u32 v2, v2, 23, v13
	v_or3_b32 v11, v12, v2, v11
.LBB553_747:
	s_or_b64 exec, exec, s[10:11]
.LBB553_748:
	s_or_b64 exec, exec, s[8:9]
.LBB553_749:
	s_or_b64 exec, exec, s[2:3]
	s_movk_i32 s2, 0xff
	v_and_b32_sdwa v12, v4, s2 dst_sel:DWORD dst_unused:UNUSED_PAD src0_sel:WORD_1 src1_sel:DWORD
	v_lshrrev_b32_e32 v2, 16, v4
	v_cmp_ne_u16_e32 vcc, 0, v12
	s_and_saveexec_b64 s[2:3], vcc
	s_cbranch_execz .LBB553_755
; %bb.750:
	s_movk_i32 s7, 0x80
	v_cmp_ne_u16_e32 vcc, s7, v12
	v_bfrev_b32_e32 v3, 1
	s_and_saveexec_b64 s[8:9], vcc
	s_cbranch_execz .LBB553_754
; %bb.751:
	v_bfe_u32 v12, v4, 16, 7
	s_movk_i32 s7, 0x7f
	v_cmp_ne_u32_e32 vcc, s7, v12
	v_mov_b32_e32 v3, 0x7f800001
	s_and_saveexec_b64 s[10:11], vcc
	s_cbranch_execz .LBB553_753
; %bb.752:
	v_and_b32_e32 v13, 7, v2
	v_ffbh_u32_e32 v3, v13
	v_min_u32_e32 v15, 32, v3
	v_subrev_u32_e32 v3, 28, v15
	v_lshlrev_b64 v[2:3], v3, v[2:3]
	v_lshrrev_b32_e32 v14, 3, v12
	v_sub_u32_e32 v3, 29, v15
	v_and_b32_e32 v2, 7, v2
	v_cmp_gt_u32_e32 vcc, 8, v12
	v_mov_b32_e32 v12, 24
	v_cndmask_b32_e32 v3, v14, v3, vcc
	v_cndmask_b32_e32 v2, v13, v2, vcc
	v_lshlrev_b32_sdwa v12, v12, v4 dst_sel:DWORD dst_unused:UNUSED_PAD src0_sel:DWORD src1_sel:WORD_1
	v_bfrev_b32_e32 v13, 60
	v_lshlrev_b32_e32 v2, 20, v2
	v_and_b32_e32 v12, 0x80000000, v12
	v_lshl_add_u32 v3, v3, 23, v13
	v_or3_b32 v3, v12, v3, v2
.LBB553_753:
	s_or_b64 exec, exec, s[10:11]
.LBB553_754:
	s_or_b64 exec, exec, s[8:9]
.LBB553_755:
	s_or_b64 exec, exec, s[2:3]
	s_mov_b32 s2, 0xffffff
	v_cmp_lt_u32_e32 vcc, s2, v4
	v_mov_b32_e32 v12, 0
	v_mov_b32_e32 v13, 0
	s_and_saveexec_b64 s[2:3], vcc
	s_cbranch_execz .LBB553_761
; %bb.756:
	v_lshrrev_b32_e32 v2, 24, v4
	s_movk_i32 s7, 0x80
	v_cmp_ne_u32_e32 vcc, s7, v2
	v_bfrev_b32_e32 v13, 1
	s_and_saveexec_b64 s[8:9], vcc
	s_cbranch_execz .LBB553_760
; %bb.757:
	v_bfe_u32 v4, v4, 24, 7
	s_movk_i32 s7, 0x7f
	v_cmp_ne_u32_e32 vcc, s7, v4
	v_mov_b32_e32 v13, 0x7f800001
	s_and_saveexec_b64 s[10:11], vcc
	s_cbranch_execz .LBB553_759
; %bb.758:
	v_and_b32_e32 v13, 7, v2
	v_ffbh_u32_e32 v14, v13
	v_min_u32_e32 v17, 32, v14
	v_subrev_u32_e32 v14, 28, v17
	v_lshlrev_b64 v[14:15], v14, v[2:3]
	v_lshrrev_b32_e32 v16, 3, v4
	v_sub_u32_e32 v15, 29, v17
	v_and_b32_e32 v14, 7, v14
	v_cmp_gt_u32_e32 vcc, 8, v4
	v_cndmask_b32_e32 v4, v16, v15, vcc
	v_cndmask_b32_e32 v13, v13, v14, vcc
	v_lshlrev_b32_e32 v2, 24, v2
	v_bfrev_b32_e32 v14, 60
	v_lshlrev_b32_e32 v13, 20, v13
	v_and_b32_e32 v2, 0x80000000, v2
	v_lshl_add_u32 v4, v4, 23, v14
	v_or3_b32 v13, v2, v4, v13
.LBB553_759:
	s_or_b64 exec, exec, s[10:11]
.LBB553_760:
	s_or_b64 exec, exec, s[8:9]
.LBB553_761:
	s_or_b64 exec, exec, s[2:3]
	v_cmp_ne_u16_sdwa s[8:9], v5, v12 src0_sel:BYTE_0 src1_sel:DWORD
	s_and_saveexec_b64 s[2:3], s[8:9]
	s_cbranch_execz .LBB553_767
; %bb.762:
	s_movk_i32 s7, 0x80
	v_cmp_ne_u16_sdwa s[10:11], v5, s7 src0_sel:BYTE_0 src1_sel:DWORD
	v_bfrev_b32_e32 v12, 1
	s_and_saveexec_b64 s[8:9], s[10:11]
	s_cbranch_execz .LBB553_766
; %bb.763:
	s_movk_i32 s7, 0x7f
	v_and_b32_e32 v2, 0x7f, v5
	v_cmp_ne_u32_e32 vcc, s7, v2
	v_mov_b32_e32 v12, 0x7f800001
	s_and_saveexec_b64 s[10:11], vcc
	s_cbranch_execz .LBB553_765
; %bb.764:
	v_and_b32_e32 v12, 7, v5
	v_ffbh_u32_e32 v14, v12
	v_min_u32_e32 v17, 32, v14
	v_mov_b32_e32 v4, v5
	v_subrev_u32_e32 v14, 28, v17
	v_lshlrev_b64 v[14:15], v14, v[4:5]
	v_lshrrev_b32_e32 v16, 3, v2
	v_sub_u32_e32 v4, 29, v17
	v_and_b32_e32 v14, 7, v14
	v_cmp_gt_u32_e32 vcc, 8, v2
	v_cndmask_b32_e32 v2, v16, v4, vcc
	v_cndmask_b32_e32 v4, v12, v14, vcc
	v_lshlrev_b32_e32 v12, 24, v5
	v_bfrev_b32_e32 v14, 60
	v_lshlrev_b32_e32 v4, 20, v4
	v_and_b32_e32 v12, 0x80000000, v12
	v_lshl_add_u32 v2, v2, 23, v14
	v_or3_b32 v12, v12, v2, v4
.LBB553_765:
	s_or_b64 exec, exec, s[10:11]
.LBB553_766:
	s_or_b64 exec, exec, s[8:9]
.LBB553_767:
	s_or_b64 exec, exec, s[2:3]
	v_lshrrev_b16_e32 v2, 8, v5
	v_cmp_ne_u16_e32 vcc, 0, v2
	v_mov_b32_e32 v4, 0
	v_mov_b32_e32 v14, 0
	s_and_saveexec_b64 s[2:3], vcc
	s_cbranch_execz .LBB553_773
; %bb.768:
	s_movk_i32 s7, 0x80
	v_cmp_ne_u16_e32 vcc, s7, v2
	v_bfrev_b32_e32 v14, 1
	s_and_saveexec_b64 s[8:9], vcc
	s_cbranch_execz .LBB553_772
; %bb.769:
	s_movk_i32 s7, 0x7f
	v_and_b32_e32 v15, 0x7f, v2
	v_cmp_ne_u32_e32 vcc, s7, v15
	v_mov_b32_e32 v14, 0x7f800001
	s_and_saveexec_b64 s[10:11], vcc
	s_cbranch_execz .LBB553_771
; %bb.770:
	v_and_b32_e32 v14, 7, v2
	v_ffbh_u32_e32 v16, v14
	v_min_u32_e32 v19, 32, v16
	v_subrev_u32_e32 v16, 28, v19
	v_lshlrev_b64 v[16:17], v16, v[2:3]
	v_lshrrev_b32_e32 v18, 3, v15
	v_sub_u32_e32 v2, 29, v19
	v_and_b32_e32 v16, 7, v16
	v_cmp_gt_u32_e32 vcc, 8, v15
	v_cndmask_b32_e32 v2, v18, v2, vcc
	v_cndmask_b32_e32 v14, v14, v16, vcc
	v_lshlrev_b32_e32 v15, 16, v5
	v_bfrev_b32_e32 v16, 60
	v_lshlrev_b32_e32 v14, 20, v14
	v_and_b32_e32 v15, 0x80000000, v15
	v_lshl_add_u32 v2, v2, 23, v16
	v_or3_b32 v14, v15, v2, v14
.LBB553_771:
	s_or_b64 exec, exec, s[10:11]
.LBB553_772:
	s_or_b64 exec, exec, s[8:9]
.LBB553_773:
	s_or_b64 exec, exec, s[2:3]
	s_movk_i32 s2, 0xff
	v_and_b32_sdwa v15, v5, s2 dst_sel:DWORD dst_unused:UNUSED_PAD src0_sel:WORD_1 src1_sel:DWORD
	v_lshrrev_b32_e32 v2, 16, v5
	v_cmp_ne_u16_e32 vcc, 0, v15
	s_and_saveexec_b64 s[2:3], vcc
	s_cbranch_execz .LBB553_779
; %bb.774:
	s_movk_i32 s7, 0x80
	v_cmp_ne_u16_e32 vcc, s7, v15
	v_bfrev_b32_e32 v4, 1
	s_and_saveexec_b64 s[8:9], vcc
	s_cbranch_execz .LBB553_778
; %bb.775:
	v_bfe_u32 v15, v5, 16, 7
	s_movk_i32 s7, 0x7f
	v_cmp_ne_u32_e32 vcc, s7, v15
	v_mov_b32_e32 v4, 0x7f800001
	s_and_saveexec_b64 s[10:11], vcc
	s_cbranch_execz .LBB553_777
; %bb.776:
	v_and_b32_e32 v4, 7, v2
	v_ffbh_u32_e32 v16, v4
	v_min_u32_e32 v19, 32, v16
	v_subrev_u32_e32 v16, 28, v19
	v_lshlrev_b64 v[16:17], v16, v[2:3]
	v_lshrrev_b32_e32 v18, 3, v15
	v_sub_u32_e32 v2, 29, v19
	v_and_b32_e32 v16, 7, v16
	v_cmp_gt_u32_e32 vcc, 8, v15
	v_mov_b32_e32 v15, 24
	v_cndmask_b32_e32 v2, v18, v2, vcc
	v_cndmask_b32_e32 v4, v4, v16, vcc
	v_lshlrev_b32_sdwa v15, v15, v5 dst_sel:DWORD dst_unused:UNUSED_PAD src0_sel:DWORD src1_sel:WORD_1
	v_bfrev_b32_e32 v16, 60
	v_lshlrev_b32_e32 v4, 20, v4
	v_and_b32_e32 v15, 0x80000000, v15
	v_lshl_add_u32 v2, v2, 23, v16
	v_or3_b32 v4, v15, v2, v4
.LBB553_777:
	s_or_b64 exec, exec, s[10:11]
.LBB553_778:
	s_or_b64 exec, exec, s[8:9]
.LBB553_779:
	s_or_b64 exec, exec, s[2:3]
	s_mov_b32 s2, 0xffffff
	v_cmp_lt_u32_e32 vcc, s2, v5
	v_mov_b32_e32 v15, 0
	s_and_saveexec_b64 s[2:3], vcc
	s_cbranch_execz .LBB553_785
; %bb.780:
	v_lshrrev_b32_e32 v2, 24, v5
	s_movk_i32 s7, 0x80
	v_cmp_ne_u32_e32 vcc, s7, v2
	v_bfrev_b32_e32 v15, 1
	s_and_saveexec_b64 s[8:9], vcc
	s_cbranch_execz .LBB553_784
; %bb.781:
	v_bfe_u32 v5, v5, 24, 7
	s_movk_i32 s7, 0x7f
	v_cmp_ne_u32_e32 vcc, s7, v5
	v_mov_b32_e32 v15, 0x7f800001
	s_and_saveexec_b64 s[10:11], vcc
	s_cbranch_execz .LBB553_783
; %bb.782:
	v_and_b32_e32 v15, 7, v2
	v_ffbh_u32_e32 v16, v15
	v_min_u32_e32 v19, 32, v16
	v_subrev_u32_e32 v16, 28, v19
	v_lshlrev_b64 v[16:17], v16, v[2:3]
	v_lshrrev_b32_e32 v18, 3, v5
	v_sub_u32_e32 v17, 29, v19
	v_and_b32_e32 v16, 7, v16
	v_cmp_gt_u32_e32 vcc, 8, v5
	v_cndmask_b32_e32 v5, v18, v17, vcc
	v_cndmask_b32_e32 v15, v15, v16, vcc
	v_lshlrev_b32_e32 v2, 24, v2
	v_bfrev_b32_e32 v16, 60
	v_lshlrev_b32_e32 v15, 20, v15
	v_and_b32_e32 v2, 0x80000000, v2
	v_lshl_add_u32 v5, v5, 23, v16
	v_or3_b32 v15, v2, v5, v15
.LBB553_783:
	s_or_b64 exec, exec, s[10:11]
.LBB553_784:
	s_or_b64 exec, exec, s[8:9]
.LBB553_785:
	s_or_b64 exec, exec, s[2:3]
	v_cvt_pkrtz_f16_f32 v2, v10, v11
	v_cvt_pkrtz_f16_f32 v3, v3, v13
	ds_read_b128 v[16:19], v22 offset:6160
	s_load_dword s2, s[42:43], 0x0
	v_cmp_gt_u32_e32 vcc, 64, v0
	s_waitcnt lgkmcnt(0)
	v_mfma_f32_16x16x16f16 v[6:9], v[2:3], v[16:17], v[6:9]
	v_cvt_pkrtz_f16_f32 v2, v12, v14
	v_cvt_pkrtz_f16_f32 v3, v4, v15
	s_and_b64 s[0:1], vcc, s[0:1]
	s_barrier
	v_mfma_f32_16x16x16f16 v[2:5], v[2:3], v[18:19], v[6:9]
	s_nop 7
	s_nop 2
	v_pk_mul_f32 v[4:5], v[4:5], s[2:3] op_sel_hi:[1,0]
	v_pk_mul_f32 v[2:3], v[2:3], s[2:3] op_sel_hi:[1,0]
	v_cvt_f16_f32_e32 v2, v2
	v_cvt_f16_f32_e32 v3, v3
	;; [unrolled: 1-line block ×4, first 2 shown]
	v_pack_b32_f16 v2, v2, v3
	v_pack_b32_f16 v3, v4, v5
	ds_write_b64 v26, v[2:3]
	s_waitcnt lgkmcnt(0)
	s_barrier
	s_and_saveexec_b64 s[2:3], s[0:1]
	s_cbranch_execz .LBB553_787
; %bb.786:
	s_load_dwordx2 s[0:1], s[4:5], 0x68
	s_lshl_b32 s4, s44, 6
	s_mul_i32 s2, s12, s6
	s_mul_hi_u32 s3, s2, s4
	s_mul_i32 s2, s2, s4
	s_lshl_b64 s[2:3], s[2:3], 1
	s_waitcnt lgkmcnt(0)
	s_add_u32 s2, s0, s2
	s_addc_u32 s3, s1, s3
	s_lshl_b32 s0, s24, 6
	s_mov_b32 s1, 0
	v_lshlrev_b32_e32 v0, 10, v0
	s_lshl_b64 s[0:1], s[0:1], 1
	v_and_b32_e32 v0, 0x1800, v0
	v_lshlrev_b32_e32 v2, 5, v1
	v_and_b32_e32 v3, 16, v47
	s_add_u32 s0, s2, s0
	v_or3_b32 v0, v0, v2, v3
	s_addc_u32 s1, s3, s1
	ds_read_b128 v[2:5], v0
	ds_read_b128 v[6:9], v0 offset:128
	ds_read_b128 v[10:13], v0 offset:256
	v_or_b32_e32 v14, s25, v1
	v_mov_b32_e32 v0, s1
	v_add_co_u32_e32 v15, vcc, s0, v46
	v_addc_co_u32_e32 v16, vcc, 0, v0, vcc
	v_mad_u64_u32 v[0:1], s[0:1], v14, s4, 0
	v_lshlrev_b64 v[0:1], 1, v[0:1]
	v_add_co_u32_e32 v0, vcc, v15, v0
	v_addc_co_u32_e32 v1, vcc, v16, v1, vcc
	s_waitcnt lgkmcnt(2)
	global_store_dwordx4 v[0:1], v[2:5], off
	v_add_u32_e32 v0, 4, v14
	v_mad_u64_u32 v[0:1], s[0:1], v0, s4, 0
	v_lshlrev_b64 v[0:1], 1, v[0:1]
	v_add_co_u32_e32 v0, vcc, v15, v0
	v_addc_co_u32_e32 v1, vcc, v16, v1, vcc
	s_waitcnt lgkmcnt(1)
	global_store_dwordx4 v[0:1], v[6:9], off
	v_add_u32_e32 v0, 8, v14
	v_mad_u64_u32 v[0:1], s[0:1], v0, s4, 0
	v_lshlrev_b64 v[0:1], 1, v[0:1]
	v_add_co_u32_e32 v0, vcc, v15, v0
	v_addc_co_u32_e32 v1, vcc, v16, v1, vcc
	s_waitcnt lgkmcnt(0)
	global_store_dwordx4 v[0:1], v[10:13], off
.LBB553_787:
	s_endpgm
	.section	.rodata,"a",@progbits
	.p2align	6, 0x0
	.amdhsa_kernel _Z39paged_attention_ll4mi_QKV_mfma16_kernelIDF16_hLN4vllm18Fp8KVCacheDataTypeE1EDF16_Li16ELi64ELi256ELb1ELi12EL8MFMAType0EEvPKT_PKT0_S8_ifPKiSA_SA_iPKfiiiPfSD_PS3_PT2_iSC_SC_
		.amdhsa_group_segment_fixed_size 8192
		.amdhsa_private_segment_fixed_size 0
		.amdhsa_kernarg_size 400
		.amdhsa_user_sgpr_count 6
		.amdhsa_user_sgpr_private_segment_buffer 1
		.amdhsa_user_sgpr_dispatch_ptr 0
		.amdhsa_user_sgpr_queue_ptr 0
		.amdhsa_user_sgpr_kernarg_segment_ptr 1
		.amdhsa_user_sgpr_dispatch_id 0
		.amdhsa_user_sgpr_flat_scratch_init 0
		.amdhsa_user_sgpr_kernarg_preload_length 0
		.amdhsa_user_sgpr_kernarg_preload_offset 0
		.amdhsa_user_sgpr_private_segment_size 0
		.amdhsa_uses_dynamic_stack 0
		.amdhsa_system_sgpr_private_segment_wavefront_offset 0
		.amdhsa_system_sgpr_workgroup_id_x 1
		.amdhsa_system_sgpr_workgroup_id_y 1
		.amdhsa_system_sgpr_workgroup_id_z 1
		.amdhsa_system_sgpr_workgroup_info 0
		.amdhsa_system_vgpr_workitem_id 0
		.amdhsa_next_free_vgpr 62
		.amdhsa_next_free_sgpr 47
		.amdhsa_accum_offset 64
		.amdhsa_reserve_vcc 1
		.amdhsa_reserve_flat_scratch 0
		.amdhsa_float_round_mode_32 0
		.amdhsa_float_round_mode_16_64 0
		.amdhsa_float_denorm_mode_32 3
		.amdhsa_float_denorm_mode_16_64 3
		.amdhsa_dx10_clamp 1
		.amdhsa_ieee_mode 1
		.amdhsa_fp16_overflow 0
		.amdhsa_tg_split 0
		.amdhsa_exception_fp_ieee_invalid_op 0
		.amdhsa_exception_fp_denorm_src 0
		.amdhsa_exception_fp_ieee_div_zero 0
		.amdhsa_exception_fp_ieee_overflow 0
		.amdhsa_exception_fp_ieee_underflow 0
		.amdhsa_exception_fp_ieee_inexact 0
		.amdhsa_exception_int_div_zero 0
	.end_amdhsa_kernel
	.section	.text._Z39paged_attention_ll4mi_QKV_mfma16_kernelIDF16_hLN4vllm18Fp8KVCacheDataTypeE1EDF16_Li16ELi64ELi256ELb1ELi12EL8MFMAType0EEvPKT_PKT0_S8_ifPKiSA_SA_iPKfiiiPfSD_PS3_PT2_iSC_SC_,"axG",@progbits,_Z39paged_attention_ll4mi_QKV_mfma16_kernelIDF16_hLN4vllm18Fp8KVCacheDataTypeE1EDF16_Li16ELi64ELi256ELb1ELi12EL8MFMAType0EEvPKT_PKT0_S8_ifPKiSA_SA_iPKfiiiPfSD_PS3_PT2_iSC_SC_,comdat
.Lfunc_end553:
	.size	_Z39paged_attention_ll4mi_QKV_mfma16_kernelIDF16_hLN4vllm18Fp8KVCacheDataTypeE1EDF16_Li16ELi64ELi256ELb1ELi12EL8MFMAType0EEvPKT_PKT0_S8_ifPKiSA_SA_iPKfiiiPfSD_PS3_PT2_iSC_SC_, .Lfunc_end553-_Z39paged_attention_ll4mi_QKV_mfma16_kernelIDF16_hLN4vllm18Fp8KVCacheDataTypeE1EDF16_Li16ELi64ELi256ELb1ELi12EL8MFMAType0EEvPKT_PKT0_S8_ifPKiSA_SA_iPKfiiiPfSD_PS3_PT2_iSC_SC_
                                        ; -- End function
	.section	.AMDGPU.csdata,"",@progbits
; Kernel info:
; codeLenInByte = 27272
; NumSgprs: 51
; NumVgprs: 62
; NumAgprs: 0
; TotalNumVgprs: 62
; ScratchSize: 0
; MemoryBound: 0
; FloatMode: 240
; IeeeMode: 1
; LDSByteSize: 8192 bytes/workgroup (compile time only)
; SGPRBlocks: 6
; VGPRBlocks: 7
; NumSGPRsForWavesPerEU: 51
; NumVGPRsForWavesPerEU: 62
; AccumOffset: 64
; Occupancy: 8
; WaveLimiterHint : 1
; COMPUTE_PGM_RSRC2:SCRATCH_EN: 0
; COMPUTE_PGM_RSRC2:USER_SGPR: 6
; COMPUTE_PGM_RSRC2:TRAP_HANDLER: 0
; COMPUTE_PGM_RSRC2:TGID_X_EN: 1
; COMPUTE_PGM_RSRC2:TGID_Y_EN: 1
; COMPUTE_PGM_RSRC2:TGID_Z_EN: 1
; COMPUTE_PGM_RSRC2:TIDIG_COMP_CNT: 0
; COMPUTE_PGM_RSRC3_GFX90A:ACCUM_OFFSET: 15
; COMPUTE_PGM_RSRC3_GFX90A:TG_SPLIT: 0
	.section	.text._Z39paged_attention_ll4mi_QKV_mfma16_kernelIDF16_hLN4vllm18Fp8KVCacheDataTypeE1EDF16_Li16ELi64ELi256ELb1ELi13EL8MFMAType0EEvPKT_PKT0_S8_ifPKiSA_SA_iPKfiiiPfSD_PS3_PT2_iSC_SC_,"axG",@progbits,_Z39paged_attention_ll4mi_QKV_mfma16_kernelIDF16_hLN4vllm18Fp8KVCacheDataTypeE1EDF16_Li16ELi64ELi256ELb1ELi13EL8MFMAType0EEvPKT_PKT0_S8_ifPKiSA_SA_iPKfiiiPfSD_PS3_PT2_iSC_SC_,comdat
	.protected	_Z39paged_attention_ll4mi_QKV_mfma16_kernelIDF16_hLN4vllm18Fp8KVCacheDataTypeE1EDF16_Li16ELi64ELi256ELb1ELi13EL8MFMAType0EEvPKT_PKT0_S8_ifPKiSA_SA_iPKfiiiPfSD_PS3_PT2_iSC_SC_ ; -- Begin function _Z39paged_attention_ll4mi_QKV_mfma16_kernelIDF16_hLN4vllm18Fp8KVCacheDataTypeE1EDF16_Li16ELi64ELi256ELb1ELi13EL8MFMAType0EEvPKT_PKT0_S8_ifPKiSA_SA_iPKfiiiPfSD_PS3_PT2_iSC_SC_
	.globl	_Z39paged_attention_ll4mi_QKV_mfma16_kernelIDF16_hLN4vllm18Fp8KVCacheDataTypeE1EDF16_Li16ELi64ELi256ELb1ELi13EL8MFMAType0EEvPKT_PKT0_S8_ifPKiSA_SA_iPKfiiiPfSD_PS3_PT2_iSC_SC_
	.p2align	8
	.type	_Z39paged_attention_ll4mi_QKV_mfma16_kernelIDF16_hLN4vllm18Fp8KVCacheDataTypeE1EDF16_Li16ELi64ELi256ELb1ELi13EL8MFMAType0EEvPKT_PKT0_S8_ifPKiSA_SA_iPKfiiiPfSD_PS3_PT2_iSC_SC_,@function
_Z39paged_attention_ll4mi_QKV_mfma16_kernelIDF16_hLN4vllm18Fp8KVCacheDataTypeE1EDF16_Li16ELi64ELi256ELb1ELi13EL8MFMAType0EEvPKT_PKT0_S8_ifPKiSA_SA_iPKfiiiPfSD_PS3_PT2_iSC_SC_: ; @_Z39paged_attention_ll4mi_QKV_mfma16_kernelIDF16_hLN4vllm18Fp8KVCacheDataTypeE1EDF16_Li16ELi64ELi256ELb1ELi13EL8MFMAType0EEvPKT_PKT0_S8_ifPKiSA_SA_iPKfiiiPfSD_PS3_PT2_iSC_SC_
; %bb.0:
	s_load_dwordx2 s[0:1], s[4:5], 0x30
	s_mov_b32 s24, s7
	s_mov_b64 s[10:11], 0
	s_waitcnt lgkmcnt(0)
	s_cmp_lg_u64 s[0:1], 0
	s_cselect_b64 s[2:3], -1, 0
	s_and_b64 vcc, exec, s[2:3]
	s_cbranch_vccz .LBB554_7
; %bb.1:
	s_add_i32 s12, s6, 1
	s_mov_b32 s13, 0
	s_lshl_b64 s[14:15], s[12:13], 2
	s_add_u32 s14, s0, s14
	s_mov_b32 s7, s13
	s_addc_u32 s15, s1, s15
	s_lshl_b64 s[12:13], s[6:7], 2
	s_add_u32 s12, s0, s12
	s_addc_u32 s13, s1, s13
	s_load_dword s9, s[14:15], 0x0
	s_load_dword s16, s[12:13], 0x0
	s_waitcnt lgkmcnt(0)
	s_sub_i32 s9, s9, s16
	s_cmp_eq_u32 s9, 1
	s_cselect_b64 s[12:13], -1, 0
	s_andn2_b64 vcc, exec, s[10:11]
	s_cbranch_vccnz .LBB554_3
.LBB554_2:
	s_mov_b32 s7, 0
	s_mov_b64 s[12:13], -1
.LBB554_3:
	s_andn2_b64 vcc, exec, s[12:13]
	s_cbranch_vccnz .LBB554_788
; %bb.4:
	s_load_dwordx2 s[12:13], s[4:5], 0x28
	s_lshl_b64 s[10:11], s[6:7], 2
	s_waitcnt lgkmcnt(0)
	s_add_u32 s12, s12, s10
	s_addc_u32 s13, s13, s11
	s_load_dword s33, s[12:13], 0x0
	s_lshl_b32 s18, s24, 8
	s_waitcnt lgkmcnt(0)
	s_cmp_ge_i32 s18, s33
	s_cbranch_scc1 .LBB554_788
; %bb.5:
	s_add_i32 s14, s33, 15
	s_load_dwordx2 s[12:13], s[4:5], 0x20
	s_load_dword s9, s[4:5], 0x38
	s_ashr_i32 s15, s14, 31
	v_and_b32_e32 v1, 0xcf, v0
	s_lshr_b32 s15, s15, 28
	v_add_u32_e32 v1, s18, v1
	s_add_i32 s14, s14, s15
	v_ashrrev_i32_e32 v2, 31, v1
	s_ashr_i32 s21, s14, 4
	v_lshrrev_b32_e32 v4, 28, v2
	s_add_i32 s21, s21, -1
	v_add_u32_e32 v2, v1, v4
	s_waitcnt lgkmcnt(0)
	s_mul_i32 s14, s6, s9
	s_mov_b32 s15, 0
	v_ashrrev_i32_e32 v2, 4, v2
	v_mov_b32_e32 v5, s21
	v_cmp_gt_i32_e32 vcc, s33, v1
	s_lshl_b64 s[14:15], s[14:15], 2
	v_cndmask_b32_e32 v2, v5, v2, vcc
	s_add_u32 s19, s12, s14
	v_ashrrev_i32_e32 v3, 31, v2
	s_addc_u32 s20, s13, s15
	v_lshlrev_b64 v[2:3], 2, v[2:3]
	v_mov_b32_e32 v7, s20
	v_add_co_u32_e32 v6, vcc, s19, v2
	v_or_b32_e32 v2, 16, v1
	v_addc_co_u32_e32 v7, vcc, v7, v3, vcc
	v_add_u32_e32 v3, v2, v4
	v_ashrrev_i32_e32 v3, 4, v3
	v_cmp_gt_i32_e32 vcc, s33, v2
	v_cndmask_b32_e32 v2, v5, v3, vcc
	v_ashrrev_i32_e32 v3, 31, v2
	v_lshlrev_b64 v[2:3], 2, v[2:3]
	v_mov_b32_e32 v9, s20
	v_add_co_u32_e32 v8, vcc, s19, v2
	v_or_b32_e32 v2, 32, v1
	v_addc_co_u32_e32 v9, vcc, v9, v3, vcc
	v_add_u32_e32 v3, v2, v4
	v_ashrrev_i32_e32 v3, 4, v3
	v_cmp_gt_i32_e32 vcc, s33, v2
	v_cndmask_b32_e32 v2, v5, v3, vcc
	v_ashrrev_i32_e32 v3, 31, v2
	;; [unrolled: 10-line block ×3, first 2 shown]
	v_lshlrev_b64 v[2:3], 2, v[2:3]
	v_mov_b32_e32 v1, s20
	v_add_co_u32_e32 v12, vcc, s19, v2
	v_addc_co_u32_e32 v13, vcc, v1, v3, vcc
	global_load_dword v5, v[6:7], off
	global_load_dword v4, v[8:9], off
	;; [unrolled: 1-line block ×4, first 2 shown]
	s_load_dwordx2 s[16:17], s[4:5], 0x8
	s_andn2_b64 vcc, exec, s[2:3]
	s_cbranch_vccnz .LBB554_8
; %bb.6:
	s_add_u32 s0, s0, s10
	s_addc_u32 s1, s1, s11
	s_load_dword s9, s[0:1], 0x0
	s_branch .LBB554_9
.LBB554_7:
	s_mov_b64 s[12:13], 0
	s_branch .LBB554_2
.LBB554_8:
	s_mov_b32 s9, s6
.LBB554_9:
	s_load_dwordx2 s[2:3], s[4:5], 0x10
	s_load_dwordx4 s[12:15], s[4:5], 0x48
	v_lshrrev_b32_e32 v49, 6, v0
	v_bfe_u32 v1, v0, 4, 2
	v_lshl_or_b32 v6, v49, 2, v1
	v_and_b32_e32 v48, 15, v0
	v_lshlrev_b32_e32 v7, 3, v48
	v_cmp_gt_u32_e32 vcc, 13, v6
	v_cmp_gt_u32_e64 s[0:1], 8, v48
	s_mul_i32 s25, s8, 13
	s_and_b64 s[22:23], s[0:1], vcc
	v_lshlrev_b32_e32 v46, 1, v7
	v_lshlrev_b32_e32 v47, 4, v0
	s_and_saveexec_b64 s[10:11], s[22:23]
	s_cbranch_execz .LBB554_11
; %bb.10:
	s_load_dwordx2 s[22:23], s[4:5], 0x0
	s_waitcnt lgkmcnt(0)
	s_ashr_i32 s15, s12, 31
	s_mul_hi_u32 s26, s9, s12
	s_mul_i32 s15, s9, s15
	s_add_i32 s27, s26, s15
	s_mul_i32 s26, s9, s12
	s_lshl_b64 s[26:27], s[26:27], 1
	v_add_lshl_u32 v8, v6, s25, 6
	s_add_u32 s9, s22, s26
	v_ashrrev_i32_e32 v9, 31, v8
	s_addc_u32 s12, s23, s27
	v_lshlrev_b64 v[8:9], 1, v[8:9]
	v_mov_b32_e32 v7, s12
	v_add_co_u32_e32 v8, vcc, s9, v8
	v_addc_co_u32_e32 v7, vcc, v7, v9, vcc
	v_add_co_u32_e32 v8, vcc, v8, v46
	v_addc_co_u32_e32 v9, vcc, 0, v7, vcc
	global_load_dwordx4 v[8:11], v[8:9], off
	v_lshlrev_b32_e32 v12, 8, v48
	v_lshlrev_b32_e32 v6, 5, v6
	v_and_b32_e32 v7, 16, v47
	v_and_b32_e32 v12, 0xe00, v12
	v_or3_b32 v6, v12, v6, v7
	s_waitcnt vmcnt(0)
	ds_write_b128 v6, v[8:11]
.LBB554_11:
	s_or_b64 exec, exec, s[10:11]
	s_waitcnt lgkmcnt(0)
	s_mul_i32 s10, s8, s14
	s_add_u32 s8, s16, s10
	s_addc_u32 s9, s17, 0
	v_and_b32_e32 v7, 0xf0, v47
	v_and_b32_e32 v6, 48, v0
	v_mov_b32_e32 v8, s9
	v_add_co_u32_e32 v7, vcc, s8, v7
	v_addc_co_u32_e32 v9, vcc, 0, v8, vcc
	v_lshlrev_b32_e32 v8, 4, v6
	v_add_co_u32_e32 v8, vcc, v7, v8
	v_addc_co_u32_e32 v9, vcc, 0, v9, vcc
	s_waitcnt vmcnt(3)
	v_mad_i64_i32 v[10:11], s[8:9], v5, s13, v[8:9]
	s_waitcnt vmcnt(2)
	v_mad_i64_i32 v[4:5], s[8:9], v4, s13, v[8:9]
	s_barrier
	global_load_dwordx4 v[34:37], v[10:11], off
	global_load_dwordx4 v[38:41], v[4:5], off
	s_waitcnt vmcnt(3)
	v_mad_i64_i32 v[4:5], s[8:9], v2, s13, v[8:9]
	s_waitcnt vmcnt(2)
	v_mad_i64_i32 v[2:3], s[8:9], v3, s13, v[8:9]
	global_load_dwordx4 v[30:33], v[4:5], off
	global_load_dwordx4 v[22:25], v[2:3], off
	v_add_u32_e32 v2, -13, v48
	v_cmp_gt_u32_e32 vcc, 13, v48
	v_cndmask_b32_e32 v2, v2, v48, vcc
	v_lshlrev_b32_e32 v2, 5, v2
	v_lshl_add_u32 v2, v1, 9, v2
	ds_read_b128 v[26:29], v2
	ds_read_b128 v[18:21], v2 offset:16
	v_mov_b32_e32 v43, 0
	v_mov_b32_e32 v50, 0
	s_and_saveexec_b64 s[8:9], vcc
	s_cbranch_execz .LBB554_13
; %bb.12:
	s_load_dwordx2 s[14:15], s[4:5], 0x40
	v_add_u32_e32 v2, s25, v48
	v_ashrrev_i32_e32 v3, 31, v2
	v_lshlrev_b64 v[2:3], 2, v[2:3]
	s_waitcnt lgkmcnt(0)
	v_mov_b32_e32 v4, s15
	v_add_co_u32_e32 v2, vcc, s14, v2
	v_addc_co_u32_e32 v3, vcc, v4, v3, vcc
	global_load_dword v50, v[2:3], off
.LBB554_13:
	s_or_b64 exec, exec, s[8:9]
	v_or_b32_e32 v8, s18, v6
	v_ashrrev_i32_e32 v2, 4, v8
	v_mov_b32_e32 v9, s21
	v_cmp_gt_i32_e32 vcc, s33, v8
	v_cndmask_b32_e32 v2, v9, v2, vcc
	v_ashrrev_i32_e32 v3, 31, v2
	v_lshlrev_b64 v[2:3], 2, v[2:3]
	v_mov_b32_e32 v4, s20
	v_add_co_u32_e32 v2, vcc, s19, v2
	v_addc_co_u32_e32 v3, vcc, v4, v3, vcc
	v_or_b32_e32 v4, 64, v8
	v_ashrrev_i32_e32 v5, 4, v4
	v_cmp_gt_i32_e32 vcc, s33, v4
	v_cndmask_b32_e32 v4, v9, v5, vcc
	v_ashrrev_i32_e32 v5, 31, v4
	v_lshlrev_b64 v[4:5], 2, v[4:5]
	v_mov_b32_e32 v6, s20
	v_add_co_u32_e32 v4, vcc, s19, v4
	v_addc_co_u32_e32 v5, vcc, v6, v5, vcc
	v_or_b32_e32 v6, 0x80, v8
	v_ashrrev_i32_e32 v7, 4, v6
	v_cmp_gt_i32_e32 vcc, s33, v6
	v_cndmask_b32_e32 v6, v9, v7, vcc
	v_ashrrev_i32_e32 v7, 31, v6
	v_lshlrev_b64 v[6:7], 2, v[6:7]
	v_mov_b32_e32 v10, s20
	v_add_co_u32_e32 v6, vcc, s19, v6
	v_addc_co_u32_e32 v7, vcc, v10, v7, vcc
	global_load_dword v10, v[2:3], off
	global_load_dword v11, v[4:5], off
	global_load_dword v12, v[6:7], off
	v_or_b32_e32 v2, 0xc0, v8
	v_ashrrev_i32_e32 v3, 4, v2
	v_cmp_gt_i32_e32 vcc, s33, v2
	v_cndmask_b32_e32 v2, v9, v3, vcc
	v_ashrrev_i32_e32 v3, 31, v2
	v_lshlrev_b64 v[2:3], 2, v[2:3]
	v_mov_b32_e32 v4, s20
	v_add_co_u32_e32 v2, vcc, s19, v2
	v_addc_co_u32_e32 v3, vcc, v4, v3, vcc
	global_load_dword v13, v[2:3], off
	s_add_u32 s2, s2, s10
	v_lshlrev_b32_e32 v2, 4, v48
	s_addc_u32 s3, s3, 0
	v_lshl_or_b32 v2, v49, 8, v2
	v_mov_b32_e32 v3, s3
	v_add_co_u32_e32 v2, vcc, s2, v2
	v_addc_co_u32_e32 v3, vcc, 0, v3, vcc
	s_movk_i32 s8, 0x80
	s_waitcnt vmcnt(7)
	v_cmp_ne_u16_sdwa s[10:11], v34, v43 src0_sel:BYTE_0 src1_sel:DWORD
	s_waitcnt vmcnt(3)
	v_mad_i64_i32 v[4:5], s[2:3], v10, s13, v[2:3]
	s_waitcnt vmcnt(2)
	v_mad_i64_i32 v[6:7], s[2:3], v11, s13, v[2:3]
	;; [unrolled: 2-line block ×4, first 2 shown]
	global_load_dwordx4 v[14:17], v[4:5], off
	global_load_dwordx4 v[10:13], v[6:7], off
                                        ; kill: killed $vgpr6_vgpr7
                                        ; kill: killed $vgpr4_vgpr5
	s_nop 0
	global_load_dwordx4 v[6:9], v[8:9], off
	s_nop 0
	global_load_dwordx4 v[2:5], v[2:3], off
	s_load_dwordx4 s[40:43], s[4:5], 0x80
	s_load_dwordx2 s[44:45], s[4:5], 0x94
                                        ; kill: killed $sgpr40_sgpr41
	s_waitcnt lgkmcnt(0)
	s_load_dword s12, s[40:41], 0x0
	s_and_saveexec_b64 s[2:3], s[10:11]
	s_cbranch_execz .LBB554_19
; %bb.14:
	v_cmp_ne_u16_sdwa s[10:11], v34, s8 src0_sel:BYTE_0 src1_sel:DWORD
	v_bfrev_b32_e32 v43, 1
	s_and_saveexec_b64 s[8:9], s[10:11]
	s_cbranch_execz .LBB554_18
; %bb.15:
	s_movk_i32 s10, 0x7f
	v_and_b32_e32 v42, 0x7f, v34
	v_cmp_ne_u32_e32 vcc, s10, v42
	v_mov_b32_e32 v43, 0x7f800001
	s_and_saveexec_b64 s[10:11], vcc
	s_cbranch_execz .LBB554_17
; %bb.16:
	v_and_b32_e32 v43, 7, v34
	v_ffbh_u32_e32 v44, v43
	v_min_u32_e32 v52, 32, v44
	v_subrev_u32_e32 v44, 28, v52
	v_lshlrev_b64 v[44:45], v44, v[34:35]
	v_lshrrev_b32_e32 v51, 3, v42
	v_sub_u32_e32 v45, 29, v52
	v_and_b32_e32 v44, 7, v44
	v_cmp_gt_u32_e32 vcc, 8, v42
	v_cndmask_b32_e32 v42, v51, v45, vcc
	v_cndmask_b32_e32 v43, v43, v44, vcc
	v_lshlrev_b32_e32 v44, 24, v34
	v_bfrev_b32_e32 v45, 60
	v_lshlrev_b32_e32 v43, 20, v43
	v_and_b32_e32 v44, 0x80000000, v44
	v_lshl_add_u32 v42, v42, 23, v45
	v_or3_b32 v43, v44, v42, v43
.LBB554_17:
	s_or_b64 exec, exec, s[10:11]
.LBB554_18:
	s_or_b64 exec, exec, s[8:9]
.LBB554_19:
	s_or_b64 exec, exec, s[2:3]
	v_lshrrev_b16_e32 v42, 8, v34
	v_cmp_ne_u16_e32 vcc, 0, v42
	v_mov_b32_e32 v44, 0
	v_mov_b32_e32 v45, 0
	s_and_saveexec_b64 s[2:3], vcc
	s_cbranch_execz .LBB554_25
; %bb.20:
	s_movk_i32 s8, 0x80
	v_cmp_ne_u16_sdwa s[10:11], v34, s8 src0_sel:BYTE_1 src1_sel:DWORD
	v_bfrev_b32_e32 v45, 1
	s_and_saveexec_b64 s[8:9], s[10:11]
	s_cbranch_execz .LBB554_24
; %bb.21:
	s_movk_i32 s10, 0x7f
	v_and_b32_e32 v51, 0x7f, v42
	v_cmp_ne_u32_e32 vcc, s10, v51
	v_mov_b32_e32 v45, 0x7f800001
	s_and_saveexec_b64 s[10:11], vcc
	s_cbranch_execz .LBB554_23
; %bb.22:
	v_and_b32_e32 v45, 7, v42
	v_ffbh_u32_e32 v52, v45
	v_min_u32_e32 v55, 32, v52
	v_subrev_u32_e32 v52, 28, v55
	v_lshlrev_b64 v[52:53], v52, v[42:43]
	v_lshrrev_b32_e32 v54, 3, v51
	v_sub_u32_e32 v42, 29, v55
	v_and_b32_e32 v52, 7, v52
	v_cmp_gt_u32_e32 vcc, 8, v51
	v_cndmask_b32_e32 v42, v54, v42, vcc
	v_cndmask_b32_e32 v45, v45, v52, vcc
	v_lshlrev_b32_e32 v51, 16, v34
	v_bfrev_b32_e32 v52, 60
	v_lshlrev_b32_e32 v45, 20, v45
	v_and_b32_e32 v51, 0x80000000, v51
	v_lshl_add_u32 v42, v42, 23, v52
	v_or3_b32 v45, v51, v42, v45
.LBB554_23:
	s_or_b64 exec, exec, s[10:11]
.LBB554_24:
	s_or_b64 exec, exec, s[8:9]
.LBB554_25:
	s_or_b64 exec, exec, s[2:3]
	s_movk_i32 s2, 0xff
	v_and_b32_sdwa v51, v34, s2 dst_sel:DWORD dst_unused:UNUSED_PAD src0_sel:WORD_1 src1_sel:DWORD
	v_lshrrev_b32_e32 v42, 16, v34
	v_cmp_ne_u16_e32 vcc, 0, v51
	s_and_saveexec_b64 s[2:3], vcc
	s_cbranch_execz .LBB554_31
; %bb.26:
	s_movk_i32 s8, 0x80
	v_cmp_ne_u16_e32 vcc, s8, v51
	v_bfrev_b32_e32 v44, 1
	s_and_saveexec_b64 s[8:9], vcc
	s_cbranch_execz .LBB554_30
; %bb.27:
	v_bfe_u32 v51, v34, 16, 7
	s_movk_i32 s10, 0x7f
	v_cmp_ne_u32_e32 vcc, s10, v51
	v_mov_b32_e32 v44, 0x7f800001
	s_and_saveexec_b64 s[10:11], vcc
	s_cbranch_execz .LBB554_29
; %bb.28:
	v_and_b32_e32 v44, 7, v42
	v_ffbh_u32_e32 v52, v44
	v_min_u32_e32 v55, 32, v52
	v_subrev_u32_e32 v52, 28, v55
	v_lshlrev_b64 v[52:53], v52, v[42:43]
	v_lshrrev_b32_e32 v54, 3, v51
	v_sub_u32_e32 v42, 29, v55
	v_and_b32_e32 v52, 7, v52
	v_cmp_gt_u32_e32 vcc, 8, v51
	v_mov_b32_e32 v51, 24
	v_cndmask_b32_e32 v42, v54, v42, vcc
	v_cndmask_b32_e32 v44, v44, v52, vcc
	v_lshlrev_b32_sdwa v51, v51, v34 dst_sel:DWORD dst_unused:UNUSED_PAD src0_sel:DWORD src1_sel:WORD_1
	v_bfrev_b32_e32 v52, 60
	v_lshlrev_b32_e32 v44, 20, v44
	v_and_b32_e32 v51, 0x80000000, v51
	v_lshl_add_u32 v42, v42, 23, v52
	v_or3_b32 v44, v51, v42, v44
.LBB554_29:
	s_or_b64 exec, exec, s[10:11]
.LBB554_30:
	s_or_b64 exec, exec, s[8:9]
.LBB554_31:
	s_or_b64 exec, exec, s[2:3]
	s_mov_b32 s2, 0xffffff
	v_cmp_lt_u32_e32 vcc, s2, v34
	v_mov_b32_e32 v52, 0
	v_mov_b32_e32 v53, 0
	s_and_saveexec_b64 s[2:3], vcc
	s_cbranch_execz .LBB554_37
; %bb.32:
	v_lshrrev_b32_e32 v42, 24, v34
	s_movk_i32 s8, 0x80
	v_cmp_ne_u32_e32 vcc, s8, v42
	v_bfrev_b32_e32 v53, 1
	s_and_saveexec_b64 s[8:9], vcc
	s_cbranch_execz .LBB554_36
; %bb.33:
	v_bfe_u32 v34, v34, 24, 7
	s_movk_i32 s10, 0x7f
	v_cmp_ne_u32_e32 vcc, s10, v34
	v_mov_b32_e32 v53, 0x7f800001
	s_and_saveexec_b64 s[10:11], vcc
	s_cbranch_execz .LBB554_35
; %bb.34:
	v_and_b32_e32 v51, 7, v42
	v_ffbh_u32_e32 v54, v51
	v_min_u32_e32 v56, 32, v54
	v_subrev_u32_e32 v54, 28, v56
	v_lshlrev_b64 v[54:55], v54, v[42:43]
	v_lshrrev_b32_e32 v53, 3, v34
	v_sub_u32_e32 v55, 29, v56
	v_and_b32_e32 v54, 7, v54
	v_cmp_gt_u32_e32 vcc, 8, v34
	v_cndmask_b32_e32 v34, v53, v55, vcc
	v_cndmask_b32_e32 v51, v51, v54, vcc
	v_lshlrev_b32_e32 v42, 24, v42
	v_bfrev_b32_e32 v53, 60
	v_lshlrev_b32_e32 v51, 20, v51
	v_and_b32_e32 v42, 0x80000000, v42
	v_lshl_add_u32 v34, v34, 23, v53
	v_or3_b32 v53, v42, v34, v51
.LBB554_35:
	s_or_b64 exec, exec, s[10:11]
.LBB554_36:
	s_or_b64 exec, exec, s[8:9]
.LBB554_37:
	s_or_b64 exec, exec, s[2:3]
	v_cmp_ne_u16_sdwa s[8:9], v35, v52 src0_sel:BYTE_0 src1_sel:DWORD
	s_and_saveexec_b64 s[2:3], s[8:9]
	s_cbranch_execz .LBB554_43
; %bb.38:
	s_movk_i32 s8, 0x80
	v_cmp_ne_u16_sdwa s[10:11], v35, s8 src0_sel:BYTE_0 src1_sel:DWORD
	v_bfrev_b32_e32 v52, 1
	s_and_saveexec_b64 s[8:9], s[10:11]
	s_cbranch_execz .LBB554_42
; %bb.39:
	s_movk_i32 s10, 0x7f
	v_and_b32_e32 v34, 0x7f, v35
	v_cmp_ne_u32_e32 vcc, s10, v34
	v_mov_b32_e32 v52, 0x7f800001
	s_and_saveexec_b64 s[10:11], vcc
	s_cbranch_execz .LBB554_41
; %bb.40:
	v_and_b32_e32 v51, 7, v35
	v_ffbh_u32_e32 v54, v51
	v_min_u32_e32 v56, 32, v54
	v_mov_b32_e32 v42, v35
	v_subrev_u32_e32 v54, 28, v56
	v_lshlrev_b64 v[54:55], v54, v[42:43]
	v_lshrrev_b32_e32 v52, 3, v34
	v_sub_u32_e32 v42, 29, v56
	v_and_b32_e32 v54, 7, v54
	v_cmp_gt_u32_e32 vcc, 8, v34
	v_cndmask_b32_e32 v34, v52, v42, vcc
	v_cndmask_b32_e32 v42, v51, v54, vcc
	v_lshlrev_b32_e32 v51, 24, v35
	v_bfrev_b32_e32 v52, 60
	v_lshlrev_b32_e32 v42, 20, v42
	v_and_b32_e32 v51, 0x80000000, v51
	v_lshl_add_u32 v34, v34, 23, v52
	v_or3_b32 v52, v51, v34, v42
.LBB554_41:
	s_or_b64 exec, exec, s[10:11]
.LBB554_42:
	s_or_b64 exec, exec, s[8:9]
.LBB554_43:
	s_or_b64 exec, exec, s[2:3]
	v_lshrrev_b16_e32 v34, 8, v35
	v_cmp_ne_u16_e32 vcc, 0, v34
	v_mov_b32_e32 v42, 0
	v_mov_b32_e32 v54, 0
	s_and_saveexec_b64 s[2:3], vcc
	s_cbranch_execz .LBB554_49
; %bb.44:
	s_movk_i32 s8, 0x80
	v_cmp_ne_u16_e32 vcc, s8, v34
	v_bfrev_b32_e32 v54, 1
	s_and_saveexec_b64 s[8:9], vcc
	s_cbranch_execz .LBB554_48
; %bb.45:
	s_movk_i32 s10, 0x7f
	v_and_b32_e32 v51, 0x7f, v34
	v_cmp_ne_u32_e32 vcc, s10, v51
	v_mov_b32_e32 v54, 0x7f800001
	s_and_saveexec_b64 s[10:11], vcc
	s_cbranch_execz .LBB554_47
; %bb.46:
	v_and_b32_e32 v56, 7, v34
	v_ffbh_u32_e32 v54, v56
	v_min_u32_e32 v58, 32, v54
	v_subrev_u32_e32 v54, 28, v58
	v_lshlrev_b64 v[54:55], v54, v[34:35]
	v_lshrrev_b32_e32 v57, 3, v51
	v_sub_u32_e32 v34, 29, v58
	v_and_b32_e32 v54, 7, v54
	v_cmp_gt_u32_e32 vcc, 8, v51
	v_cndmask_b32_e32 v34, v57, v34, vcc
	v_cndmask_b32_e32 v51, v56, v54, vcc
	v_lshlrev_b32_e32 v54, 16, v35
	v_bfrev_b32_e32 v55, 60
	v_lshlrev_b32_e32 v51, 20, v51
	v_and_b32_e32 v54, 0x80000000, v54
	v_lshl_add_u32 v34, v34, 23, v55
	v_or3_b32 v54, v54, v34, v51
.LBB554_47:
	s_or_b64 exec, exec, s[10:11]
.LBB554_48:
	s_or_b64 exec, exec, s[8:9]
.LBB554_49:
	s_or_b64 exec, exec, s[2:3]
	s_movk_i32 s2, 0xff
	v_and_b32_sdwa v51, v35, s2 dst_sel:DWORD dst_unused:UNUSED_PAD src0_sel:WORD_1 src1_sel:DWORD
	v_lshrrev_b32_e32 v34, 16, v35
	v_cmp_ne_u16_e32 vcc, 0, v51
	s_and_saveexec_b64 s[2:3], vcc
	s_cbranch_execz .LBB554_55
; %bb.50:
	s_movk_i32 s8, 0x80
	v_cmp_ne_u16_e32 vcc, s8, v51
	v_bfrev_b32_e32 v42, 1
	s_and_saveexec_b64 s[8:9], vcc
	s_cbranch_execz .LBB554_54
; %bb.51:
	v_bfe_u32 v51, v35, 16, 7
	s_movk_i32 s10, 0x7f
	v_cmp_ne_u32_e32 vcc, s10, v51
	v_mov_b32_e32 v42, 0x7f800001
	s_and_saveexec_b64 s[10:11], vcc
	s_cbranch_execz .LBB554_53
; %bb.52:
	v_and_b32_e32 v42, 7, v34
	v_ffbh_u32_e32 v56, v42
	v_min_u32_e32 v58, 32, v56
	v_subrev_u32_e32 v56, 28, v58
	v_lshlrev_b64 v[56:57], v56, v[34:35]
	v_lshrrev_b32_e32 v55, 3, v51
	v_sub_u32_e32 v34, 29, v58
	v_and_b32_e32 v56, 7, v56
	v_cmp_gt_u32_e32 vcc, 8, v51
	v_mov_b32_e32 v51, 24
	v_cndmask_b32_e32 v34, v55, v34, vcc
	v_cndmask_b32_e32 v42, v42, v56, vcc
	v_lshlrev_b32_sdwa v51, v51, v35 dst_sel:DWORD dst_unused:UNUSED_PAD src0_sel:DWORD src1_sel:WORD_1
	v_bfrev_b32_e32 v55, 60
	v_lshlrev_b32_e32 v42, 20, v42
	v_and_b32_e32 v51, 0x80000000, v51
	v_lshl_add_u32 v34, v34, 23, v55
	v_or3_b32 v42, v51, v34, v42
.LBB554_53:
	s_or_b64 exec, exec, s[10:11]
.LBB554_54:
	s_or_b64 exec, exec, s[8:9]
.LBB554_55:
	s_or_b64 exec, exec, s[2:3]
	s_mov_b32 s2, 0xffffff
	v_cmp_lt_u32_e32 vcc, s2, v35
	v_mov_b32_e32 v51, 0
	v_mov_b32_e32 v55, 0
	s_and_saveexec_b64 s[2:3], vcc
	s_cbranch_execz .LBB554_61
; %bb.56:
	v_lshrrev_b32_e32 v34, 24, v35
	s_movk_i32 s8, 0x80
	v_cmp_ne_u32_e32 vcc, s8, v34
	v_bfrev_b32_e32 v55, 1
	s_and_saveexec_b64 s[8:9], vcc
	s_cbranch_execz .LBB554_60
; %bb.57:
	v_bfe_u32 v35, v35, 24, 7
	s_movk_i32 s10, 0x7f
	v_cmp_ne_u32_e32 vcc, s10, v35
	v_mov_b32_e32 v55, 0x7f800001
	s_and_saveexec_b64 s[10:11], vcc
	s_cbranch_execz .LBB554_59
; %bb.58:
	v_and_b32_e32 v55, 7, v34
	v_ffbh_u32_e32 v56, v55
	v_min_u32_e32 v59, 32, v56
	v_subrev_u32_e32 v56, 28, v59
	v_lshlrev_b64 v[56:57], v56, v[34:35]
	v_lshrrev_b32_e32 v58, 3, v35
	v_sub_u32_e32 v57, 29, v59
	v_and_b32_e32 v56, 7, v56
	v_cmp_gt_u32_e32 vcc, 8, v35
	v_cndmask_b32_e32 v35, v58, v57, vcc
	v_cndmask_b32_e32 v55, v55, v56, vcc
	v_lshlrev_b32_e32 v34, 24, v34
	v_bfrev_b32_e32 v56, 60
	v_lshlrev_b32_e32 v55, 20, v55
	v_and_b32_e32 v34, 0x80000000, v34
	v_lshl_add_u32 v35, v35, 23, v56
	v_or3_b32 v55, v34, v35, v55
.LBB554_59:
	s_or_b64 exec, exec, s[10:11]
.LBB554_60:
	s_or_b64 exec, exec, s[8:9]
.LBB554_61:
	s_or_b64 exec, exec, s[2:3]
	v_cvt_pkrtz_f16_f32 v34, v43, v45
	v_cvt_pkrtz_f16_f32 v35, v44, v53
	v_cmp_ne_u16_sdwa s[8:9], v36, v51 src0_sel:BYTE_0 src1_sel:DWORD
	s_nop 0
	v_mfma_f32_16x16x16f16 v[56:59], v[34:35], v[26:27], 0
	v_cvt_pkrtz_f16_f32 v34, v52, v54
	v_cvt_pkrtz_f16_f32 v35, v42, v55
	s_nop 1
	v_mfma_f32_16x16x16f16 v[42:45], v[34:35], v[28:29], v[56:59]
	s_and_saveexec_b64 s[2:3], s[8:9]
	s_cbranch_execz .LBB554_67
; %bb.62:
	s_movk_i32 s8, 0x80
	v_cmp_ne_u16_sdwa s[10:11], v36, s8 src0_sel:BYTE_0 src1_sel:DWORD
	v_bfrev_b32_e32 v51, 1
	s_and_saveexec_b64 s[8:9], s[10:11]
	s_cbranch_execz .LBB554_66
; %bb.63:
	s_movk_i32 s10, 0x7f
	v_and_b32_e32 v34, 0x7f, v36
	v_cmp_ne_u32_e32 vcc, s10, v34
	v_mov_b32_e32 v51, 0x7f800001
	s_and_saveexec_b64 s[10:11], vcc
	s_cbranch_execz .LBB554_65
; %bb.64:
	v_and_b32_e32 v35, 7, v36
	v_ffbh_u32_e32 v52, v35
	v_min_u32_e32 v54, 32, v52
	v_subrev_u32_e32 v52, 28, v54
	v_lshlrev_b64 v[52:53], v52, v[36:37]
	v_lshrrev_b32_e32 v51, 3, v34
	v_sub_u32_e32 v53, 29, v54
	v_and_b32_e32 v52, 7, v52
	v_cmp_gt_u32_e32 vcc, 8, v34
	v_cndmask_b32_e32 v34, v51, v53, vcc
	v_cndmask_b32_e32 v35, v35, v52, vcc
	v_lshlrev_b32_e32 v51, 24, v36
	v_bfrev_b32_e32 v52, 60
	v_lshlrev_b32_e32 v35, 20, v35
	v_and_b32_e32 v51, 0x80000000, v51
	v_lshl_add_u32 v34, v34, 23, v52
	v_or3_b32 v51, v51, v34, v35
.LBB554_65:
	s_or_b64 exec, exec, s[10:11]
.LBB554_66:
	s_or_b64 exec, exec, s[8:9]
.LBB554_67:
	s_or_b64 exec, exec, s[2:3]
	v_lshrrev_b16_e32 v34, 8, v36
	v_cmp_ne_u16_e32 vcc, 0, v34
	v_mov_b32_e32 v35, 0
	v_mov_b32_e32 v53, 0
	s_and_saveexec_b64 s[2:3], vcc
	s_cbranch_execz .LBB554_73
; %bb.68:
	s_movk_i32 s8, 0x80
	v_cmp_ne_u16_e32 vcc, s8, v34
	v_bfrev_b32_e32 v53, 1
	s_and_saveexec_b64 s[8:9], vcc
	s_cbranch_execz .LBB554_72
; %bb.69:
	s_movk_i32 s10, 0x7f
	v_and_b32_e32 v52, 0x7f, v34
	v_cmp_ne_u32_e32 vcc, s10, v52
	v_mov_b32_e32 v53, 0x7f800001
	s_and_saveexec_b64 s[10:11], vcc
	s_cbranch_execz .LBB554_71
; %bb.70:
	v_and_b32_e32 v53, 7, v34
	v_ffbh_u32_e32 v54, v53
	v_min_u32_e32 v57, 32, v54
	v_subrev_u32_e32 v54, 28, v57
	v_lshlrev_b64 v[54:55], v54, v[34:35]
	v_lshrrev_b32_e32 v56, 3, v52
	v_sub_u32_e32 v34, 29, v57
	v_and_b32_e32 v54, 7, v54
	v_cmp_gt_u32_e32 vcc, 8, v52
	v_cndmask_b32_e32 v34, v56, v34, vcc
	v_cndmask_b32_e32 v52, v53, v54, vcc
	v_lshlrev_b32_e32 v53, 16, v36
	v_bfrev_b32_e32 v54, 60
	v_lshlrev_b32_e32 v52, 20, v52
	v_and_b32_e32 v53, 0x80000000, v53
	v_lshl_add_u32 v34, v34, 23, v54
	v_or3_b32 v53, v53, v34, v52
.LBB554_71:
	s_or_b64 exec, exec, s[10:11]
.LBB554_72:
	s_or_b64 exec, exec, s[8:9]
.LBB554_73:
	s_or_b64 exec, exec, s[2:3]
	s_movk_i32 s2, 0xff
	v_and_b32_sdwa v52, v36, s2 dst_sel:DWORD dst_unused:UNUSED_PAD src0_sel:WORD_1 src1_sel:DWORD
	v_lshrrev_b32_e32 v34, 16, v36
	v_cmp_ne_u16_e32 vcc, 0, v52
	s_and_saveexec_b64 s[2:3], vcc
	s_cbranch_execz .LBB554_79
; %bb.74:
	s_movk_i32 s8, 0x80
	v_cmp_ne_u16_e32 vcc, s8, v52
	v_bfrev_b32_e32 v35, 1
	s_and_saveexec_b64 s[8:9], vcc
	s_cbranch_execz .LBB554_78
; %bb.75:
	v_bfe_u32 v52, v36, 16, 7
	s_movk_i32 s10, 0x7f
	v_cmp_ne_u32_e32 vcc, s10, v52
	v_mov_b32_e32 v35, 0x7f800001
	s_and_saveexec_b64 s[10:11], vcc
	s_cbranch_execz .LBB554_77
; %bb.76:
	v_and_b32_e32 v54, 7, v34
	v_ffbh_u32_e32 v35, v54
	v_min_u32_e32 v56, 32, v35
	v_subrev_u32_e32 v35, 28, v56
	v_lshlrev_b64 v[34:35], v35, v[34:35]
	v_lshrrev_b32_e32 v55, 3, v52
	v_sub_u32_e32 v35, 29, v56
	v_and_b32_e32 v34, 7, v34
	v_cmp_gt_u32_e32 vcc, 8, v52
	v_mov_b32_e32 v52, 24
	v_cndmask_b32_e32 v35, v55, v35, vcc
	v_cndmask_b32_e32 v34, v54, v34, vcc
	v_lshlrev_b32_sdwa v52, v52, v36 dst_sel:DWORD dst_unused:UNUSED_PAD src0_sel:DWORD src1_sel:WORD_1
	v_bfrev_b32_e32 v54, 60
	v_lshlrev_b32_e32 v34, 20, v34
	v_and_b32_e32 v52, 0x80000000, v52
	v_lshl_add_u32 v35, v35, 23, v54
	v_or3_b32 v35, v52, v35, v34
.LBB554_77:
	s_or_b64 exec, exec, s[10:11]
.LBB554_78:
	s_or_b64 exec, exec, s[8:9]
.LBB554_79:
	s_or_b64 exec, exec, s[2:3]
	s_mov_b32 s2, 0xffffff
	v_cmp_lt_u32_e32 vcc, s2, v36
	v_mov_b32_e32 v54, 0
	v_mov_b32_e32 v55, 0
	s_and_saveexec_b64 s[2:3], vcc
	s_cbranch_execz .LBB554_85
; %bb.80:
	v_lshrrev_b32_e32 v34, 24, v36
	s_movk_i32 s8, 0x80
	v_cmp_ne_u32_e32 vcc, s8, v34
	v_bfrev_b32_e32 v55, 1
	s_and_saveexec_b64 s[8:9], vcc
	s_cbranch_execz .LBB554_84
; %bb.81:
	v_bfe_u32 v36, v36, 24, 7
	s_movk_i32 s10, 0x7f
	v_cmp_ne_u32_e32 vcc, s10, v36
	v_mov_b32_e32 v55, 0x7f800001
	s_and_saveexec_b64 s[10:11], vcc
	s_cbranch_execz .LBB554_83
; %bb.82:
	v_and_b32_e32 v52, 7, v34
	v_ffbh_u32_e32 v56, v52
	v_min_u32_e32 v58, 32, v56
	v_subrev_u32_e32 v56, 28, v58
	v_lshlrev_b64 v[56:57], v56, v[34:35]
	v_lshrrev_b32_e32 v55, 3, v36
	v_sub_u32_e32 v57, 29, v58
	v_and_b32_e32 v56, 7, v56
	v_cmp_gt_u32_e32 vcc, 8, v36
	v_cndmask_b32_e32 v36, v55, v57, vcc
	v_cndmask_b32_e32 v52, v52, v56, vcc
	v_lshlrev_b32_e32 v34, 24, v34
	v_bfrev_b32_e32 v55, 60
	v_lshlrev_b32_e32 v52, 20, v52
	v_and_b32_e32 v34, 0x80000000, v34
	v_lshl_add_u32 v36, v36, 23, v55
	v_or3_b32 v55, v34, v36, v52
.LBB554_83:
	s_or_b64 exec, exec, s[10:11]
.LBB554_84:
	s_or_b64 exec, exec, s[8:9]
.LBB554_85:
	s_or_b64 exec, exec, s[2:3]
	v_cmp_ne_u16_sdwa s[8:9], v37, v54 src0_sel:BYTE_0 src1_sel:DWORD
	s_and_saveexec_b64 s[2:3], s[8:9]
	s_cbranch_execz .LBB554_91
; %bb.86:
	s_movk_i32 s8, 0x80
	v_cmp_ne_u16_sdwa s[10:11], v37, s8 src0_sel:BYTE_0 src1_sel:DWORD
	v_bfrev_b32_e32 v54, 1
	s_and_saveexec_b64 s[8:9], s[10:11]
	s_cbranch_execz .LBB554_90
; %bb.87:
	s_movk_i32 s10, 0x7f
	v_and_b32_e32 v34, 0x7f, v37
	v_cmp_ne_u32_e32 vcc, s10, v34
	v_mov_b32_e32 v54, 0x7f800001
	s_and_saveexec_b64 s[10:11], vcc
	s_cbranch_execz .LBB554_89
; %bb.88:
	v_and_b32_e32 v52, 7, v37
	v_ffbh_u32_e32 v56, v52
	v_min_u32_e32 v58, 32, v56
	v_mov_b32_e32 v36, v37
	v_subrev_u32_e32 v56, 28, v58
	v_lshlrev_b64 v[56:57], v56, v[36:37]
	v_lshrrev_b32_e32 v54, 3, v34
	v_sub_u32_e32 v36, 29, v58
	v_and_b32_e32 v56, 7, v56
	v_cmp_gt_u32_e32 vcc, 8, v34
	v_cndmask_b32_e32 v34, v54, v36, vcc
	v_cndmask_b32_e32 v36, v52, v56, vcc
	v_lshlrev_b32_e32 v52, 24, v37
	v_bfrev_b32_e32 v54, 60
	v_lshlrev_b32_e32 v36, 20, v36
	v_and_b32_e32 v52, 0x80000000, v52
	v_lshl_add_u32 v34, v34, 23, v54
	v_or3_b32 v54, v52, v34, v36
.LBB554_89:
	s_or_b64 exec, exec, s[10:11]
.LBB554_90:
	s_or_b64 exec, exec, s[8:9]
.LBB554_91:
	s_or_b64 exec, exec, s[2:3]
	v_lshrrev_b16_e32 v34, 8, v37
	v_cmp_ne_u16_e32 vcc, 0, v34
	v_mov_b32_e32 v36, 0
	v_mov_b32_e32 v56, 0
	s_and_saveexec_b64 s[2:3], vcc
	s_cbranch_execz .LBB554_97
; %bb.92:
	s_movk_i32 s8, 0x80
	v_cmp_ne_u16_e32 vcc, s8, v34
	v_bfrev_b32_e32 v56, 1
	s_and_saveexec_b64 s[8:9], vcc
	s_cbranch_execz .LBB554_96
; %bb.93:
	s_movk_i32 s10, 0x7f
	v_and_b32_e32 v52, 0x7f, v34
	v_cmp_ne_u32_e32 vcc, s10, v52
	v_mov_b32_e32 v56, 0x7f800001
	s_and_saveexec_b64 s[10:11], vcc
	s_cbranch_execz .LBB554_95
; %bb.94:
	v_and_b32_e32 v58, 7, v34
	v_ffbh_u32_e32 v56, v58
	v_min_u32_e32 v60, 32, v56
	v_subrev_u32_e32 v56, 28, v60
	v_lshlrev_b64 v[56:57], v56, v[34:35]
	v_lshrrev_b32_e32 v59, 3, v52
	v_sub_u32_e32 v34, 29, v60
	v_and_b32_e32 v56, 7, v56
	v_cmp_gt_u32_e32 vcc, 8, v52
	v_cndmask_b32_e32 v34, v59, v34, vcc
	v_cndmask_b32_e32 v52, v58, v56, vcc
	v_lshlrev_b32_e32 v56, 16, v37
	v_bfrev_b32_e32 v57, 60
	v_lshlrev_b32_e32 v52, 20, v52
	v_and_b32_e32 v56, 0x80000000, v56
	v_lshl_add_u32 v34, v34, 23, v57
	v_or3_b32 v56, v56, v34, v52
.LBB554_95:
	s_or_b64 exec, exec, s[10:11]
.LBB554_96:
	s_or_b64 exec, exec, s[8:9]
.LBB554_97:
	s_or_b64 exec, exec, s[2:3]
	s_movk_i32 s2, 0xff
	v_and_b32_sdwa v52, v37, s2 dst_sel:DWORD dst_unused:UNUSED_PAD src0_sel:WORD_1 src1_sel:DWORD
	v_lshrrev_b32_e32 v34, 16, v37
	v_cmp_ne_u16_e32 vcc, 0, v52
	s_and_saveexec_b64 s[2:3], vcc
	s_cbranch_execz .LBB554_103
; %bb.98:
	s_movk_i32 s8, 0x80
	v_cmp_ne_u16_e32 vcc, s8, v52
	v_bfrev_b32_e32 v36, 1
	s_and_saveexec_b64 s[8:9], vcc
	s_cbranch_execz .LBB554_102
; %bb.99:
	v_bfe_u32 v52, v37, 16, 7
	s_movk_i32 s10, 0x7f
	v_cmp_ne_u32_e32 vcc, s10, v52
	v_mov_b32_e32 v36, 0x7f800001
	s_and_saveexec_b64 s[10:11], vcc
	s_cbranch_execz .LBB554_101
; %bb.100:
	v_and_b32_e32 v36, 7, v34
	v_ffbh_u32_e32 v58, v36
	v_min_u32_e32 v60, 32, v58
	v_subrev_u32_e32 v58, 28, v60
	v_lshlrev_b64 v[58:59], v58, v[34:35]
	v_lshrrev_b32_e32 v57, 3, v52
	v_sub_u32_e32 v34, 29, v60
	v_and_b32_e32 v58, 7, v58
	v_cmp_gt_u32_e32 vcc, 8, v52
	v_mov_b32_e32 v52, 24
	v_cndmask_b32_e32 v34, v57, v34, vcc
	v_cndmask_b32_e32 v36, v36, v58, vcc
	v_lshlrev_b32_sdwa v52, v52, v37 dst_sel:DWORD dst_unused:UNUSED_PAD src0_sel:DWORD src1_sel:WORD_1
	v_bfrev_b32_e32 v57, 60
	v_lshlrev_b32_e32 v36, 20, v36
	v_and_b32_e32 v52, 0x80000000, v52
	v_lshl_add_u32 v34, v34, 23, v57
	v_or3_b32 v36, v52, v34, v36
.LBB554_101:
	s_or_b64 exec, exec, s[10:11]
.LBB554_102:
	s_or_b64 exec, exec, s[8:9]
.LBB554_103:
	s_or_b64 exec, exec, s[2:3]
	s_mov_b32 s2, 0xffffff
	v_cmp_lt_u32_e32 vcc, s2, v37
	v_mov_b32_e32 v52, 0
	v_mov_b32_e32 v57, 0
	s_and_saveexec_b64 s[2:3], vcc
	s_cbranch_execz .LBB554_109
; %bb.104:
	v_lshrrev_b32_e32 v34, 24, v37
	s_movk_i32 s8, 0x80
	v_cmp_ne_u32_e32 vcc, s8, v34
	v_bfrev_b32_e32 v57, 1
	s_and_saveexec_b64 s[8:9], vcc
	s_cbranch_execz .LBB554_108
; %bb.105:
	v_bfe_u32 v37, v37, 24, 7
	s_movk_i32 s10, 0x7f
	v_cmp_ne_u32_e32 vcc, s10, v37
	v_mov_b32_e32 v57, 0x7f800001
	s_and_saveexec_b64 s[10:11], vcc
	s_cbranch_execz .LBB554_107
; %bb.106:
	v_and_b32_e32 v57, 7, v34
	v_ffbh_u32_e32 v58, v57
	v_min_u32_e32 v61, 32, v58
	v_subrev_u32_e32 v58, 28, v61
	v_lshlrev_b64 v[58:59], v58, v[34:35]
	v_lshrrev_b32_e32 v60, 3, v37
	v_sub_u32_e32 v59, 29, v61
	v_and_b32_e32 v58, 7, v58
	v_cmp_gt_u32_e32 vcc, 8, v37
	v_cndmask_b32_e32 v37, v60, v59, vcc
	v_cndmask_b32_e32 v57, v57, v58, vcc
	v_lshlrev_b32_e32 v34, 24, v34
	v_bfrev_b32_e32 v58, 60
	v_lshlrev_b32_e32 v57, 20, v57
	v_and_b32_e32 v34, 0x80000000, v34
	v_lshl_add_u32 v37, v37, 23, v58
	v_or3_b32 v57, v34, v37, v57
.LBB554_107:
	s_or_b64 exec, exec, s[10:11]
.LBB554_108:
	s_or_b64 exec, exec, s[8:9]
.LBB554_109:
	s_or_b64 exec, exec, s[2:3]
	v_cvt_pkrtz_f16_f32 v34, v51, v53
	v_cvt_pkrtz_f16_f32 v35, v35, v55
	v_cmp_ne_u16_sdwa s[8:9], v38, v52 src0_sel:BYTE_0 src1_sel:DWORD
	s_nop 0
	v_mfma_f32_16x16x16f16 v[42:45], v[34:35], v[18:19], v[42:45]
	v_cvt_pkrtz_f16_f32 v34, v54, v56
	v_cvt_pkrtz_f16_f32 v35, v36, v57
	s_nop 1
	v_mfma_f32_16x16x16f16 v[34:37], v[34:35], v[20:21], v[42:45]
	s_and_saveexec_b64 s[2:3], s[8:9]
	s_cbranch_execz .LBB554_115
; %bb.110:
	s_movk_i32 s8, 0x80
	v_cmp_ne_u16_sdwa s[10:11], v38, s8 src0_sel:BYTE_0 src1_sel:DWORD
	v_bfrev_b32_e32 v52, 1
	s_and_saveexec_b64 s[8:9], s[10:11]
	s_cbranch_execz .LBB554_114
; %bb.111:
	s_movk_i32 s10, 0x7f
	v_and_b32_e32 v42, 0x7f, v38
	v_cmp_ne_u32_e32 vcc, s10, v42
	v_mov_b32_e32 v52, 0x7f800001
	s_and_saveexec_b64 s[10:11], vcc
	s_cbranch_execz .LBB554_113
; %bb.112:
	v_and_b32_e32 v43, 7, v38
	v_ffbh_u32_e32 v44, v43
	v_min_u32_e32 v52, 32, v44
	v_subrev_u32_e32 v44, 28, v52
	v_lshlrev_b64 v[44:45], v44, v[38:39]
	v_lshrrev_b32_e32 v51, 3, v42
	v_sub_u32_e32 v45, 29, v52
	v_and_b32_e32 v44, 7, v44
	v_cmp_gt_u32_e32 vcc, 8, v42
	v_cndmask_b32_e32 v42, v51, v45, vcc
	v_cndmask_b32_e32 v43, v43, v44, vcc
	v_lshlrev_b32_e32 v44, 24, v38
	v_bfrev_b32_e32 v45, 60
	v_lshlrev_b32_e32 v43, 20, v43
	v_and_b32_e32 v44, 0x80000000, v44
	v_lshl_add_u32 v42, v42, 23, v45
	v_or3_b32 v52, v44, v42, v43
.LBB554_113:
	s_or_b64 exec, exec, s[10:11]
.LBB554_114:
	s_or_b64 exec, exec, s[8:9]
.LBB554_115:
	s_or_b64 exec, exec, s[2:3]
	s_nop 3
	v_lshrrev_b16_e32 v42, 8, v38
	v_cmp_ne_u16_e32 vcc, 0, v42
	v_mov_b32_e32 v43, 0
	v_mov_b32_e32 v44, 0
	s_and_saveexec_b64 s[2:3], vcc
	s_cbranch_execz .LBB554_121
; %bb.116:
	s_movk_i32 s8, 0x80
	v_cmp_ne_u16_e32 vcc, s8, v42
	v_bfrev_b32_e32 v44, 1
	s_and_saveexec_b64 s[8:9], vcc
	s_cbranch_execz .LBB554_120
; %bb.117:
	s_movk_i32 s10, 0x7f
	v_and_b32_e32 v45, 0x7f, v42
	v_cmp_ne_u32_e32 vcc, s10, v45
	v_mov_b32_e32 v44, 0x7f800001
	s_and_saveexec_b64 s[10:11], vcc
	s_cbranch_execz .LBB554_119
; %bb.118:
	v_and_b32_e32 v44, 7, v42
	v_ffbh_u32_e32 v53, v44
	v_min_u32_e32 v53, 32, v53
	v_subrev_u32_e32 v54, 28, v53
	v_lshlrev_b64 v[54:55], v54, v[42:43]
	v_lshrrev_b32_e32 v51, 3, v45
	v_sub_u32_e32 v42, 29, v53
	v_and_b32_e32 v53, 7, v54
	v_cmp_gt_u32_e32 vcc, 8, v45
	v_cndmask_b32_e32 v42, v51, v42, vcc
	v_cndmask_b32_e32 v44, v44, v53, vcc
	v_lshlrev_b32_e32 v45, 16, v38
	v_bfrev_b32_e32 v51, 60
	v_lshlrev_b32_e32 v44, 20, v44
	v_and_b32_e32 v45, 0x80000000, v45
	v_lshl_add_u32 v42, v42, 23, v51
	v_or3_b32 v44, v45, v42, v44
.LBB554_119:
	s_or_b64 exec, exec, s[10:11]
.LBB554_120:
	s_or_b64 exec, exec, s[8:9]
.LBB554_121:
	s_or_b64 exec, exec, s[2:3]
	s_movk_i32 s2, 0xff
	v_and_b32_sdwa v45, v38, s2 dst_sel:DWORD dst_unused:UNUSED_PAD src0_sel:WORD_1 src1_sel:DWORD
	v_lshrrev_b32_e32 v42, 16, v38
	v_cmp_ne_u16_e32 vcc, 0, v45
	s_and_saveexec_b64 s[2:3], vcc
	s_cbranch_execz .LBB554_127
; %bb.122:
	s_movk_i32 s8, 0x80
	v_cmp_ne_u16_e32 vcc, s8, v45
	v_bfrev_b32_e32 v43, 1
	s_and_saveexec_b64 s[8:9], vcc
	s_cbranch_execz .LBB554_126
; %bb.123:
	v_bfe_u32 v45, v38, 16, 7
	s_movk_i32 s10, 0x7f
	v_cmp_ne_u32_e32 vcc, s10, v45
	v_mov_b32_e32 v43, 0x7f800001
	s_and_saveexec_b64 s[10:11], vcc
	s_cbranch_execz .LBB554_125
; %bb.124:
	v_and_b32_e32 v51, 7, v42
	v_ffbh_u32_e32 v43, v51
	v_min_u32_e32 v54, 32, v43
	v_subrev_u32_e32 v43, 28, v54
	v_lshlrev_b64 v[42:43], v43, v[42:43]
	v_lshrrev_b32_e32 v53, 3, v45
	v_sub_u32_e32 v43, 29, v54
	v_and_b32_e32 v42, 7, v42
	v_cmp_gt_u32_e32 vcc, 8, v45
	v_mov_b32_e32 v45, 24
	v_cndmask_b32_e32 v43, v53, v43, vcc
	v_cndmask_b32_e32 v42, v51, v42, vcc
	v_lshlrev_b32_sdwa v45, v45, v38 dst_sel:DWORD dst_unused:UNUSED_PAD src0_sel:DWORD src1_sel:WORD_1
	v_bfrev_b32_e32 v51, 60
	v_lshlrev_b32_e32 v42, 20, v42
	v_and_b32_e32 v45, 0x80000000, v45
	v_lshl_add_u32 v43, v43, 23, v51
	v_or3_b32 v43, v45, v43, v42
.LBB554_125:
	s_or_b64 exec, exec, s[10:11]
.LBB554_126:
	s_or_b64 exec, exec, s[8:9]
.LBB554_127:
	s_or_b64 exec, exec, s[2:3]
	s_mov_b32 s2, 0xffffff
	v_cmp_lt_u32_e32 vcc, s2, v38
	v_mov_b32_e32 v45, 0
	v_mov_b32_e32 v53, 0
	s_and_saveexec_b64 s[2:3], vcc
	s_cbranch_execz .LBB554_133
; %bb.128:
	v_lshrrev_b32_e32 v42, 24, v38
	s_movk_i32 s8, 0x80
	v_cmp_ne_u32_e32 vcc, s8, v42
	v_bfrev_b32_e32 v53, 1
	s_and_saveexec_b64 s[8:9], vcc
	s_cbranch_execz .LBB554_132
; %bb.129:
	v_bfe_u32 v38, v38, 24, 7
	s_movk_i32 s10, 0x7f
	v_cmp_ne_u32_e32 vcc, s10, v38
	v_mov_b32_e32 v53, 0x7f800001
	s_and_saveexec_b64 s[10:11], vcc
	s_cbranch_execz .LBB554_131
; %bb.130:
	v_and_b32_e32 v51, 7, v42
	v_ffbh_u32_e32 v54, v51
	v_min_u32_e32 v56, 32, v54
	v_subrev_u32_e32 v54, 28, v56
	v_lshlrev_b64 v[54:55], v54, v[42:43]
	v_lshrrev_b32_e32 v53, 3, v38
	v_sub_u32_e32 v55, 29, v56
	v_and_b32_e32 v54, 7, v54
	v_cmp_gt_u32_e32 vcc, 8, v38
	v_cndmask_b32_e32 v38, v53, v55, vcc
	v_cndmask_b32_e32 v51, v51, v54, vcc
	v_lshlrev_b32_e32 v42, 24, v42
	v_bfrev_b32_e32 v53, 60
	v_lshlrev_b32_e32 v51, 20, v51
	v_and_b32_e32 v42, 0x80000000, v42
	v_lshl_add_u32 v38, v38, 23, v53
	v_or3_b32 v53, v42, v38, v51
.LBB554_131:
	s_or_b64 exec, exec, s[10:11]
.LBB554_132:
	s_or_b64 exec, exec, s[8:9]
.LBB554_133:
	s_or_b64 exec, exec, s[2:3]
	v_cmp_ne_u16_sdwa s[8:9], v39, v45 src0_sel:BYTE_0 src1_sel:DWORD
	s_and_saveexec_b64 s[2:3], s[8:9]
	s_cbranch_execz .LBB554_139
; %bb.134:
	s_movk_i32 s8, 0x80
	v_cmp_ne_u16_sdwa s[10:11], v39, s8 src0_sel:BYTE_0 src1_sel:DWORD
	v_bfrev_b32_e32 v45, 1
	s_and_saveexec_b64 s[8:9], s[10:11]
	s_cbranch_execz .LBB554_138
; %bb.135:
	s_movk_i32 s10, 0x7f
	v_and_b32_e32 v38, 0x7f, v39
	v_cmp_ne_u32_e32 vcc, s10, v38
	v_mov_b32_e32 v45, 0x7f800001
	s_and_saveexec_b64 s[10:11], vcc
	s_cbranch_execz .LBB554_137
; %bb.136:
	v_and_b32_e32 v45, 7, v39
	v_ffbh_u32_e32 v54, v45
	v_min_u32_e32 v56, 32, v54
	v_mov_b32_e32 v42, v39
	v_subrev_u32_e32 v54, 28, v56
	v_lshlrev_b64 v[54:55], v54, v[42:43]
	v_lshrrev_b32_e32 v51, 3, v38
	v_sub_u32_e32 v42, 29, v56
	v_and_b32_e32 v54, 7, v54
	v_cmp_gt_u32_e32 vcc, 8, v38
	v_cndmask_b32_e32 v38, v51, v42, vcc
	v_cndmask_b32_e32 v42, v45, v54, vcc
	v_lshlrev_b32_e32 v45, 24, v39
	v_bfrev_b32_e32 v51, 60
	v_lshlrev_b32_e32 v42, 20, v42
	v_and_b32_e32 v45, 0x80000000, v45
	v_lshl_add_u32 v38, v38, 23, v51
	v_or3_b32 v45, v45, v38, v42
.LBB554_137:
	s_or_b64 exec, exec, s[10:11]
.LBB554_138:
	s_or_b64 exec, exec, s[8:9]
.LBB554_139:
	s_or_b64 exec, exec, s[2:3]
	v_lshrrev_b16_e32 v38, 8, v39
	v_cmp_ne_u16_e32 vcc, 0, v38
	v_mov_b32_e32 v42, 0
	v_mov_b32_e32 v54, 0
	s_and_saveexec_b64 s[2:3], vcc
	s_cbranch_execz .LBB554_145
; %bb.140:
	s_movk_i32 s8, 0x80
	v_cmp_ne_u16_e32 vcc, s8, v38
	v_bfrev_b32_e32 v54, 1
	s_and_saveexec_b64 s[8:9], vcc
	s_cbranch_execz .LBB554_144
; %bb.141:
	s_movk_i32 s10, 0x7f
	v_and_b32_e32 v51, 0x7f, v38
	v_cmp_ne_u32_e32 vcc, s10, v51
	v_mov_b32_e32 v54, 0x7f800001
	s_and_saveexec_b64 s[10:11], vcc
	s_cbranch_execz .LBB554_143
; %bb.142:
	v_and_b32_e32 v56, 7, v38
	v_ffbh_u32_e32 v54, v56
	v_min_u32_e32 v58, 32, v54
	v_subrev_u32_e32 v54, 28, v58
	v_lshlrev_b64 v[54:55], v54, v[38:39]
	v_lshrrev_b32_e32 v57, 3, v51
	v_sub_u32_e32 v38, 29, v58
	v_and_b32_e32 v54, 7, v54
	v_cmp_gt_u32_e32 vcc, 8, v51
	v_cndmask_b32_e32 v38, v57, v38, vcc
	v_cndmask_b32_e32 v51, v56, v54, vcc
	v_lshlrev_b32_e32 v54, 16, v39
	v_bfrev_b32_e32 v55, 60
	v_lshlrev_b32_e32 v51, 20, v51
	v_and_b32_e32 v54, 0x80000000, v54
	v_lshl_add_u32 v38, v38, 23, v55
	v_or3_b32 v54, v54, v38, v51
.LBB554_143:
	s_or_b64 exec, exec, s[10:11]
.LBB554_144:
	s_or_b64 exec, exec, s[8:9]
.LBB554_145:
	s_or_b64 exec, exec, s[2:3]
	s_movk_i32 s2, 0xff
	v_and_b32_sdwa v51, v39, s2 dst_sel:DWORD dst_unused:UNUSED_PAD src0_sel:WORD_1 src1_sel:DWORD
	v_lshrrev_b32_e32 v38, 16, v39
	v_cmp_ne_u16_e32 vcc, 0, v51
	s_and_saveexec_b64 s[2:3], vcc
	s_cbranch_execz .LBB554_151
; %bb.146:
	s_movk_i32 s8, 0x80
	v_cmp_ne_u16_e32 vcc, s8, v51
	v_bfrev_b32_e32 v42, 1
	s_and_saveexec_b64 s[8:9], vcc
	s_cbranch_execz .LBB554_150
; %bb.147:
	v_bfe_u32 v51, v39, 16, 7
	s_movk_i32 s10, 0x7f
	v_cmp_ne_u32_e32 vcc, s10, v51
	v_mov_b32_e32 v42, 0x7f800001
	s_and_saveexec_b64 s[10:11], vcc
	s_cbranch_execz .LBB554_149
; %bb.148:
	v_and_b32_e32 v42, 7, v38
	v_ffbh_u32_e32 v56, v42
	v_min_u32_e32 v58, 32, v56
	v_subrev_u32_e32 v56, 28, v58
	v_lshlrev_b64 v[56:57], v56, v[38:39]
	v_lshrrev_b32_e32 v55, 3, v51
	v_sub_u32_e32 v38, 29, v58
	v_and_b32_e32 v56, 7, v56
	v_cmp_gt_u32_e32 vcc, 8, v51
	v_mov_b32_e32 v51, 24
	v_cndmask_b32_e32 v38, v55, v38, vcc
	v_cndmask_b32_e32 v42, v42, v56, vcc
	v_lshlrev_b32_sdwa v51, v51, v39 dst_sel:DWORD dst_unused:UNUSED_PAD src0_sel:DWORD src1_sel:WORD_1
	v_bfrev_b32_e32 v55, 60
	v_lshlrev_b32_e32 v42, 20, v42
	v_and_b32_e32 v51, 0x80000000, v51
	v_lshl_add_u32 v38, v38, 23, v55
	v_or3_b32 v42, v51, v38, v42
.LBB554_149:
	s_or_b64 exec, exec, s[10:11]
.LBB554_150:
	s_or_b64 exec, exec, s[8:9]
.LBB554_151:
	s_or_b64 exec, exec, s[2:3]
	s_mov_b32 s2, 0xffffff
	v_cmp_lt_u32_e32 vcc, s2, v39
	v_mov_b32_e32 v51, 0
	v_mov_b32_e32 v55, 0
	s_and_saveexec_b64 s[2:3], vcc
	s_cbranch_execz .LBB554_157
; %bb.152:
	v_lshrrev_b32_e32 v38, 24, v39
	s_movk_i32 s8, 0x80
	v_cmp_ne_u32_e32 vcc, s8, v38
	v_bfrev_b32_e32 v55, 1
	s_and_saveexec_b64 s[8:9], vcc
	s_cbranch_execz .LBB554_156
; %bb.153:
	v_bfe_u32 v39, v39, 24, 7
	s_movk_i32 s10, 0x7f
	v_cmp_ne_u32_e32 vcc, s10, v39
	v_mov_b32_e32 v55, 0x7f800001
	s_and_saveexec_b64 s[10:11], vcc
	s_cbranch_execz .LBB554_155
; %bb.154:
	v_and_b32_e32 v55, 7, v38
	v_ffbh_u32_e32 v56, v55
	v_min_u32_e32 v59, 32, v56
	v_subrev_u32_e32 v56, 28, v59
	v_lshlrev_b64 v[56:57], v56, v[38:39]
	v_lshrrev_b32_e32 v58, 3, v39
	v_sub_u32_e32 v57, 29, v59
	v_and_b32_e32 v56, 7, v56
	v_cmp_gt_u32_e32 vcc, 8, v39
	v_cndmask_b32_e32 v39, v58, v57, vcc
	v_cndmask_b32_e32 v55, v55, v56, vcc
	v_lshlrev_b32_e32 v38, 24, v38
	v_bfrev_b32_e32 v56, 60
	v_lshlrev_b32_e32 v55, 20, v55
	v_and_b32_e32 v38, 0x80000000, v38
	v_lshl_add_u32 v39, v39, 23, v56
	v_or3_b32 v55, v38, v39, v55
.LBB554_155:
	s_or_b64 exec, exec, s[10:11]
.LBB554_156:
	s_or_b64 exec, exec, s[8:9]
.LBB554_157:
	s_or_b64 exec, exec, s[2:3]
	v_cvt_pkrtz_f16_f32 v38, v52, v44
	v_cvt_pkrtz_f16_f32 v39, v43, v53
	v_cmp_ne_u16_sdwa s[8:9], v40, v51 src0_sel:BYTE_0 src1_sel:DWORD
	s_nop 0
	v_mfma_f32_16x16x16f16 v[56:59], v[38:39], v[26:27], 0
	v_cvt_pkrtz_f16_f32 v38, v45, v54
	v_cvt_pkrtz_f16_f32 v39, v42, v55
	s_nop 1
	v_mfma_f32_16x16x16f16 v[42:45], v[38:39], v[28:29], v[56:59]
	s_and_saveexec_b64 s[2:3], s[8:9]
	s_cbranch_execz .LBB554_163
; %bb.158:
	s_movk_i32 s8, 0x80
	v_cmp_ne_u16_sdwa s[10:11], v40, s8 src0_sel:BYTE_0 src1_sel:DWORD
	v_bfrev_b32_e32 v51, 1
	s_and_saveexec_b64 s[8:9], s[10:11]
	s_cbranch_execz .LBB554_162
; %bb.159:
	s_movk_i32 s10, 0x7f
	v_and_b32_e32 v38, 0x7f, v40
	v_cmp_ne_u32_e32 vcc, s10, v38
	v_mov_b32_e32 v51, 0x7f800001
	s_and_saveexec_b64 s[10:11], vcc
	s_cbranch_execz .LBB554_161
; %bb.160:
	v_and_b32_e32 v39, 7, v40
	v_ffbh_u32_e32 v52, v39
	v_min_u32_e32 v54, 32, v52
	v_subrev_u32_e32 v52, 28, v54
	v_lshlrev_b64 v[52:53], v52, v[40:41]
	v_lshrrev_b32_e32 v51, 3, v38
	v_sub_u32_e32 v53, 29, v54
	v_and_b32_e32 v52, 7, v52
	v_cmp_gt_u32_e32 vcc, 8, v38
	v_cndmask_b32_e32 v38, v51, v53, vcc
	v_cndmask_b32_e32 v39, v39, v52, vcc
	v_lshlrev_b32_e32 v51, 24, v40
	v_bfrev_b32_e32 v52, 60
	v_lshlrev_b32_e32 v39, 20, v39
	v_and_b32_e32 v51, 0x80000000, v51
	v_lshl_add_u32 v38, v38, 23, v52
	v_or3_b32 v51, v51, v38, v39
.LBB554_161:
	s_or_b64 exec, exec, s[10:11]
.LBB554_162:
	s_or_b64 exec, exec, s[8:9]
.LBB554_163:
	s_or_b64 exec, exec, s[2:3]
	v_lshrrev_b16_e32 v38, 8, v40
	v_cmp_ne_u16_e32 vcc, 0, v38
	v_mov_b32_e32 v39, 0
	v_mov_b32_e32 v53, 0
	s_and_saveexec_b64 s[2:3], vcc
	s_cbranch_execz .LBB554_169
; %bb.164:
	s_movk_i32 s8, 0x80
	v_cmp_ne_u16_e32 vcc, s8, v38
	v_bfrev_b32_e32 v53, 1
	s_and_saveexec_b64 s[8:9], vcc
	s_cbranch_execz .LBB554_168
; %bb.165:
	s_movk_i32 s10, 0x7f
	v_and_b32_e32 v52, 0x7f, v38
	v_cmp_ne_u32_e32 vcc, s10, v52
	v_mov_b32_e32 v53, 0x7f800001
	s_and_saveexec_b64 s[10:11], vcc
	s_cbranch_execz .LBB554_167
; %bb.166:
	v_and_b32_e32 v53, 7, v38
	v_ffbh_u32_e32 v54, v53
	v_min_u32_e32 v57, 32, v54
	v_subrev_u32_e32 v54, 28, v57
	v_lshlrev_b64 v[54:55], v54, v[38:39]
	v_lshrrev_b32_e32 v56, 3, v52
	v_sub_u32_e32 v38, 29, v57
	v_and_b32_e32 v54, 7, v54
	v_cmp_gt_u32_e32 vcc, 8, v52
	v_cndmask_b32_e32 v38, v56, v38, vcc
	v_cndmask_b32_e32 v52, v53, v54, vcc
	v_lshlrev_b32_e32 v53, 16, v40
	v_bfrev_b32_e32 v54, 60
	v_lshlrev_b32_e32 v52, 20, v52
	v_and_b32_e32 v53, 0x80000000, v53
	v_lshl_add_u32 v38, v38, 23, v54
	v_or3_b32 v53, v53, v38, v52
.LBB554_167:
	s_or_b64 exec, exec, s[10:11]
.LBB554_168:
	s_or_b64 exec, exec, s[8:9]
.LBB554_169:
	s_or_b64 exec, exec, s[2:3]
	s_movk_i32 s2, 0xff
	v_and_b32_sdwa v52, v40, s2 dst_sel:DWORD dst_unused:UNUSED_PAD src0_sel:WORD_1 src1_sel:DWORD
	v_lshrrev_b32_e32 v38, 16, v40
	v_cmp_ne_u16_e32 vcc, 0, v52
	s_and_saveexec_b64 s[2:3], vcc
	s_cbranch_execz .LBB554_175
; %bb.170:
	s_movk_i32 s8, 0x80
	v_cmp_ne_u16_e32 vcc, s8, v52
	v_bfrev_b32_e32 v39, 1
	s_and_saveexec_b64 s[8:9], vcc
	s_cbranch_execz .LBB554_174
; %bb.171:
	v_bfe_u32 v52, v40, 16, 7
	s_movk_i32 s10, 0x7f
	v_cmp_ne_u32_e32 vcc, s10, v52
	v_mov_b32_e32 v39, 0x7f800001
	s_and_saveexec_b64 s[10:11], vcc
	s_cbranch_execz .LBB554_173
; %bb.172:
	v_and_b32_e32 v54, 7, v38
	v_ffbh_u32_e32 v39, v54
	v_min_u32_e32 v56, 32, v39
	v_subrev_u32_e32 v39, 28, v56
	v_lshlrev_b64 v[38:39], v39, v[38:39]
	v_lshrrev_b32_e32 v55, 3, v52
	v_sub_u32_e32 v39, 29, v56
	v_and_b32_e32 v38, 7, v38
	v_cmp_gt_u32_e32 vcc, 8, v52
	v_mov_b32_e32 v52, 24
	v_cndmask_b32_e32 v39, v55, v39, vcc
	v_cndmask_b32_e32 v38, v54, v38, vcc
	v_lshlrev_b32_sdwa v52, v52, v40 dst_sel:DWORD dst_unused:UNUSED_PAD src0_sel:DWORD src1_sel:WORD_1
	v_bfrev_b32_e32 v54, 60
	v_lshlrev_b32_e32 v38, 20, v38
	v_and_b32_e32 v52, 0x80000000, v52
	v_lshl_add_u32 v39, v39, 23, v54
	v_or3_b32 v39, v52, v39, v38
.LBB554_173:
	s_or_b64 exec, exec, s[10:11]
.LBB554_174:
	s_or_b64 exec, exec, s[8:9]
.LBB554_175:
	s_or_b64 exec, exec, s[2:3]
	s_mov_b32 s2, 0xffffff
	v_cmp_lt_u32_e32 vcc, s2, v40
	v_mov_b32_e32 v54, 0
	v_mov_b32_e32 v55, 0
	s_and_saveexec_b64 s[2:3], vcc
	s_cbranch_execz .LBB554_181
; %bb.176:
	v_lshrrev_b32_e32 v38, 24, v40
	s_movk_i32 s8, 0x80
	v_cmp_ne_u32_e32 vcc, s8, v38
	v_bfrev_b32_e32 v55, 1
	s_and_saveexec_b64 s[8:9], vcc
	s_cbranch_execz .LBB554_180
; %bb.177:
	v_bfe_u32 v40, v40, 24, 7
	s_movk_i32 s10, 0x7f
	v_cmp_ne_u32_e32 vcc, s10, v40
	v_mov_b32_e32 v55, 0x7f800001
	s_and_saveexec_b64 s[10:11], vcc
	s_cbranch_execz .LBB554_179
; %bb.178:
	v_and_b32_e32 v52, 7, v38
	v_ffbh_u32_e32 v56, v52
	v_min_u32_e32 v58, 32, v56
	v_subrev_u32_e32 v56, 28, v58
	v_lshlrev_b64 v[56:57], v56, v[38:39]
	v_lshrrev_b32_e32 v55, 3, v40
	v_sub_u32_e32 v57, 29, v58
	v_and_b32_e32 v56, 7, v56
	v_cmp_gt_u32_e32 vcc, 8, v40
	v_cndmask_b32_e32 v40, v55, v57, vcc
	v_cndmask_b32_e32 v52, v52, v56, vcc
	v_lshlrev_b32_e32 v38, 24, v38
	v_bfrev_b32_e32 v55, 60
	v_lshlrev_b32_e32 v52, 20, v52
	v_and_b32_e32 v38, 0x80000000, v38
	v_lshl_add_u32 v40, v40, 23, v55
	v_or3_b32 v55, v38, v40, v52
.LBB554_179:
	s_or_b64 exec, exec, s[10:11]
.LBB554_180:
	s_or_b64 exec, exec, s[8:9]
.LBB554_181:
	s_or_b64 exec, exec, s[2:3]
	v_cmp_ne_u16_sdwa s[8:9], v41, v54 src0_sel:BYTE_0 src1_sel:DWORD
	s_and_saveexec_b64 s[2:3], s[8:9]
	s_cbranch_execz .LBB554_187
; %bb.182:
	s_movk_i32 s8, 0x80
	v_cmp_ne_u16_sdwa s[10:11], v41, s8 src0_sel:BYTE_0 src1_sel:DWORD
	v_bfrev_b32_e32 v54, 1
	s_and_saveexec_b64 s[8:9], s[10:11]
	s_cbranch_execz .LBB554_186
; %bb.183:
	s_movk_i32 s10, 0x7f
	v_and_b32_e32 v38, 0x7f, v41
	v_cmp_ne_u32_e32 vcc, s10, v38
	v_mov_b32_e32 v54, 0x7f800001
	s_and_saveexec_b64 s[10:11], vcc
	s_cbranch_execz .LBB554_185
; %bb.184:
	v_and_b32_e32 v52, 7, v41
	v_ffbh_u32_e32 v56, v52
	v_min_u32_e32 v58, 32, v56
	v_mov_b32_e32 v40, v41
	v_subrev_u32_e32 v56, 28, v58
	v_lshlrev_b64 v[56:57], v56, v[40:41]
	v_lshrrev_b32_e32 v54, 3, v38
	v_sub_u32_e32 v40, 29, v58
	v_and_b32_e32 v56, 7, v56
	v_cmp_gt_u32_e32 vcc, 8, v38
	v_cndmask_b32_e32 v38, v54, v40, vcc
	v_cndmask_b32_e32 v40, v52, v56, vcc
	v_lshlrev_b32_e32 v52, 24, v41
	v_bfrev_b32_e32 v54, 60
	v_lshlrev_b32_e32 v40, 20, v40
	v_and_b32_e32 v52, 0x80000000, v52
	v_lshl_add_u32 v38, v38, 23, v54
	v_or3_b32 v54, v52, v38, v40
.LBB554_185:
	s_or_b64 exec, exec, s[10:11]
.LBB554_186:
	s_or_b64 exec, exec, s[8:9]
.LBB554_187:
	s_or_b64 exec, exec, s[2:3]
	v_lshrrev_b16_e32 v38, 8, v41
	v_cmp_ne_u16_e32 vcc, 0, v38
	v_mov_b32_e32 v40, 0
	v_mov_b32_e32 v56, 0
	s_and_saveexec_b64 s[2:3], vcc
	s_cbranch_execz .LBB554_193
; %bb.188:
	s_movk_i32 s8, 0x80
	v_cmp_ne_u16_e32 vcc, s8, v38
	v_bfrev_b32_e32 v56, 1
	s_and_saveexec_b64 s[8:9], vcc
	s_cbranch_execz .LBB554_192
; %bb.189:
	s_movk_i32 s10, 0x7f
	v_and_b32_e32 v52, 0x7f, v38
	v_cmp_ne_u32_e32 vcc, s10, v52
	v_mov_b32_e32 v56, 0x7f800001
	s_and_saveexec_b64 s[10:11], vcc
	s_cbranch_execz .LBB554_191
; %bb.190:
	v_and_b32_e32 v58, 7, v38
	v_ffbh_u32_e32 v56, v58
	v_min_u32_e32 v60, 32, v56
	v_subrev_u32_e32 v56, 28, v60
	v_lshlrev_b64 v[56:57], v56, v[38:39]
	v_lshrrev_b32_e32 v59, 3, v52
	v_sub_u32_e32 v38, 29, v60
	v_and_b32_e32 v56, 7, v56
	v_cmp_gt_u32_e32 vcc, 8, v52
	v_cndmask_b32_e32 v38, v59, v38, vcc
	v_cndmask_b32_e32 v52, v58, v56, vcc
	v_lshlrev_b32_e32 v56, 16, v41
	v_bfrev_b32_e32 v57, 60
	v_lshlrev_b32_e32 v52, 20, v52
	v_and_b32_e32 v56, 0x80000000, v56
	v_lshl_add_u32 v38, v38, 23, v57
	v_or3_b32 v56, v56, v38, v52
.LBB554_191:
	s_or_b64 exec, exec, s[10:11]
.LBB554_192:
	s_or_b64 exec, exec, s[8:9]
.LBB554_193:
	s_or_b64 exec, exec, s[2:3]
	s_movk_i32 s2, 0xff
	v_and_b32_sdwa v52, v41, s2 dst_sel:DWORD dst_unused:UNUSED_PAD src0_sel:WORD_1 src1_sel:DWORD
	v_lshrrev_b32_e32 v38, 16, v41
	v_cmp_ne_u16_e32 vcc, 0, v52
	s_and_saveexec_b64 s[2:3], vcc
	s_cbranch_execz .LBB554_199
; %bb.194:
	s_movk_i32 s8, 0x80
	v_cmp_ne_u16_e32 vcc, s8, v52
	v_bfrev_b32_e32 v40, 1
	s_and_saveexec_b64 s[8:9], vcc
	s_cbranch_execz .LBB554_198
; %bb.195:
	v_bfe_u32 v52, v41, 16, 7
	s_movk_i32 s10, 0x7f
	v_cmp_ne_u32_e32 vcc, s10, v52
	v_mov_b32_e32 v40, 0x7f800001
	s_and_saveexec_b64 s[10:11], vcc
	s_cbranch_execz .LBB554_197
; %bb.196:
	v_and_b32_e32 v40, 7, v38
	v_ffbh_u32_e32 v58, v40
	v_min_u32_e32 v60, 32, v58
	v_subrev_u32_e32 v58, 28, v60
	v_lshlrev_b64 v[58:59], v58, v[38:39]
	v_lshrrev_b32_e32 v57, 3, v52
	v_sub_u32_e32 v38, 29, v60
	v_and_b32_e32 v58, 7, v58
	v_cmp_gt_u32_e32 vcc, 8, v52
	v_mov_b32_e32 v52, 24
	v_cndmask_b32_e32 v38, v57, v38, vcc
	v_cndmask_b32_e32 v40, v40, v58, vcc
	v_lshlrev_b32_sdwa v52, v52, v41 dst_sel:DWORD dst_unused:UNUSED_PAD src0_sel:DWORD src1_sel:WORD_1
	v_bfrev_b32_e32 v57, 60
	v_lshlrev_b32_e32 v40, 20, v40
	v_and_b32_e32 v52, 0x80000000, v52
	v_lshl_add_u32 v38, v38, 23, v57
	v_or3_b32 v40, v52, v38, v40
.LBB554_197:
	s_or_b64 exec, exec, s[10:11]
.LBB554_198:
	s_or_b64 exec, exec, s[8:9]
.LBB554_199:
	s_or_b64 exec, exec, s[2:3]
	s_mov_b32 s2, 0xffffff
	v_cmp_lt_u32_e32 vcc, s2, v41
	v_mov_b32_e32 v52, 0
	v_mov_b32_e32 v57, 0
	s_and_saveexec_b64 s[2:3], vcc
	s_cbranch_execz .LBB554_205
; %bb.200:
	v_lshrrev_b32_e32 v38, 24, v41
	s_movk_i32 s8, 0x80
	v_cmp_ne_u32_e32 vcc, s8, v38
	v_bfrev_b32_e32 v57, 1
	s_and_saveexec_b64 s[8:9], vcc
	s_cbranch_execz .LBB554_204
; %bb.201:
	v_bfe_u32 v41, v41, 24, 7
	s_movk_i32 s10, 0x7f
	v_cmp_ne_u32_e32 vcc, s10, v41
	v_mov_b32_e32 v57, 0x7f800001
	s_and_saveexec_b64 s[10:11], vcc
	s_cbranch_execz .LBB554_203
; %bb.202:
	v_and_b32_e32 v57, 7, v38
	v_ffbh_u32_e32 v58, v57
	v_min_u32_e32 v61, 32, v58
	v_subrev_u32_e32 v58, 28, v61
	v_lshlrev_b64 v[58:59], v58, v[38:39]
	v_lshrrev_b32_e32 v60, 3, v41
	v_sub_u32_e32 v59, 29, v61
	v_and_b32_e32 v58, 7, v58
	v_cmp_gt_u32_e32 vcc, 8, v41
	v_cndmask_b32_e32 v41, v60, v59, vcc
	v_cndmask_b32_e32 v57, v57, v58, vcc
	v_lshlrev_b32_e32 v38, 24, v38
	v_bfrev_b32_e32 v58, 60
	v_lshlrev_b32_e32 v57, 20, v57
	v_and_b32_e32 v38, 0x80000000, v38
	v_lshl_add_u32 v41, v41, 23, v58
	v_or3_b32 v57, v38, v41, v57
.LBB554_203:
	s_or_b64 exec, exec, s[10:11]
.LBB554_204:
	s_or_b64 exec, exec, s[8:9]
.LBB554_205:
	s_or_b64 exec, exec, s[2:3]
	v_cvt_pkrtz_f16_f32 v38, v51, v53
	v_cvt_pkrtz_f16_f32 v39, v39, v55
	v_cmp_ne_u16_sdwa s[8:9], v30, v52 src0_sel:BYTE_0 src1_sel:DWORD
	s_nop 0
	v_mfma_f32_16x16x16f16 v[42:45], v[38:39], v[18:19], v[42:45]
	v_cvt_pkrtz_f16_f32 v38, v54, v56
	v_cvt_pkrtz_f16_f32 v39, v40, v57
	s_nop 1
	v_mfma_f32_16x16x16f16 v[38:41], v[38:39], v[20:21], v[42:45]
	s_and_saveexec_b64 s[2:3], s[8:9]
	s_cbranch_execz .LBB554_211
; %bb.206:
	s_movk_i32 s8, 0x80
	v_cmp_ne_u16_sdwa s[10:11], v30, s8 src0_sel:BYTE_0 src1_sel:DWORD
	v_bfrev_b32_e32 v52, 1
	s_and_saveexec_b64 s[8:9], s[10:11]
	s_cbranch_execz .LBB554_210
; %bb.207:
	s_movk_i32 s10, 0x7f
	v_and_b32_e32 v42, 0x7f, v30
	v_cmp_ne_u32_e32 vcc, s10, v42
	v_mov_b32_e32 v52, 0x7f800001
	s_and_saveexec_b64 s[10:11], vcc
	s_cbranch_execz .LBB554_209
; %bb.208:
	v_and_b32_e32 v43, 7, v30
	v_ffbh_u32_e32 v44, v43
	v_min_u32_e32 v52, 32, v44
	v_subrev_u32_e32 v44, 28, v52
	v_lshlrev_b64 v[44:45], v44, v[30:31]
	v_lshrrev_b32_e32 v51, 3, v42
	v_sub_u32_e32 v45, 29, v52
	v_and_b32_e32 v44, 7, v44
	v_cmp_gt_u32_e32 vcc, 8, v42
	v_cndmask_b32_e32 v42, v51, v45, vcc
	v_cndmask_b32_e32 v43, v43, v44, vcc
	v_lshlrev_b32_e32 v44, 24, v30
	v_bfrev_b32_e32 v45, 60
	v_lshlrev_b32_e32 v43, 20, v43
	v_and_b32_e32 v44, 0x80000000, v44
	v_lshl_add_u32 v42, v42, 23, v45
	v_or3_b32 v52, v44, v42, v43
.LBB554_209:
	s_or_b64 exec, exec, s[10:11]
.LBB554_210:
	s_or_b64 exec, exec, s[8:9]
.LBB554_211:
	s_or_b64 exec, exec, s[2:3]
	s_nop 3
	v_lshrrev_b16_e32 v42, 8, v30
	v_cmp_ne_u16_e32 vcc, 0, v42
	v_mov_b32_e32 v43, 0
	v_mov_b32_e32 v44, 0
	s_and_saveexec_b64 s[2:3], vcc
	s_cbranch_execz .LBB554_217
; %bb.212:
	s_movk_i32 s8, 0x80
	v_cmp_ne_u16_e32 vcc, s8, v42
	v_bfrev_b32_e32 v44, 1
	s_and_saveexec_b64 s[8:9], vcc
	s_cbranch_execz .LBB554_216
; %bb.213:
	s_movk_i32 s10, 0x7f
	v_and_b32_e32 v45, 0x7f, v42
	v_cmp_ne_u32_e32 vcc, s10, v45
	v_mov_b32_e32 v44, 0x7f800001
	s_and_saveexec_b64 s[10:11], vcc
	s_cbranch_execz .LBB554_215
; %bb.214:
	v_and_b32_e32 v44, 7, v42
	v_ffbh_u32_e32 v53, v44
	v_min_u32_e32 v53, 32, v53
	v_subrev_u32_e32 v54, 28, v53
	v_lshlrev_b64 v[54:55], v54, v[42:43]
	v_lshrrev_b32_e32 v51, 3, v45
	v_sub_u32_e32 v42, 29, v53
	v_and_b32_e32 v53, 7, v54
	v_cmp_gt_u32_e32 vcc, 8, v45
	v_cndmask_b32_e32 v42, v51, v42, vcc
	v_cndmask_b32_e32 v44, v44, v53, vcc
	v_lshlrev_b32_e32 v45, 16, v30
	v_bfrev_b32_e32 v51, 60
	v_lshlrev_b32_e32 v44, 20, v44
	v_and_b32_e32 v45, 0x80000000, v45
	v_lshl_add_u32 v42, v42, 23, v51
	v_or3_b32 v44, v45, v42, v44
.LBB554_215:
	s_or_b64 exec, exec, s[10:11]
.LBB554_216:
	s_or_b64 exec, exec, s[8:9]
.LBB554_217:
	s_or_b64 exec, exec, s[2:3]
	s_movk_i32 s2, 0xff
	v_and_b32_sdwa v45, v30, s2 dst_sel:DWORD dst_unused:UNUSED_PAD src0_sel:WORD_1 src1_sel:DWORD
	v_lshrrev_b32_e32 v42, 16, v30
	v_cmp_ne_u16_e32 vcc, 0, v45
	s_and_saveexec_b64 s[2:3], vcc
	s_cbranch_execz .LBB554_223
; %bb.218:
	s_movk_i32 s8, 0x80
	v_cmp_ne_u16_e32 vcc, s8, v45
	v_bfrev_b32_e32 v43, 1
	s_and_saveexec_b64 s[8:9], vcc
	s_cbranch_execz .LBB554_222
; %bb.219:
	v_bfe_u32 v45, v30, 16, 7
	s_movk_i32 s10, 0x7f
	v_cmp_ne_u32_e32 vcc, s10, v45
	v_mov_b32_e32 v43, 0x7f800001
	s_and_saveexec_b64 s[10:11], vcc
	s_cbranch_execz .LBB554_221
; %bb.220:
	v_and_b32_e32 v51, 7, v42
	v_ffbh_u32_e32 v43, v51
	v_min_u32_e32 v54, 32, v43
	v_subrev_u32_e32 v43, 28, v54
	v_lshlrev_b64 v[42:43], v43, v[42:43]
	v_lshrrev_b32_e32 v53, 3, v45
	v_sub_u32_e32 v43, 29, v54
	v_and_b32_e32 v42, 7, v42
	v_cmp_gt_u32_e32 vcc, 8, v45
	v_mov_b32_e32 v45, 24
	v_cndmask_b32_e32 v43, v53, v43, vcc
	v_cndmask_b32_e32 v42, v51, v42, vcc
	v_lshlrev_b32_sdwa v45, v45, v30 dst_sel:DWORD dst_unused:UNUSED_PAD src0_sel:DWORD src1_sel:WORD_1
	v_bfrev_b32_e32 v51, 60
	v_lshlrev_b32_e32 v42, 20, v42
	v_and_b32_e32 v45, 0x80000000, v45
	v_lshl_add_u32 v43, v43, 23, v51
	v_or3_b32 v43, v45, v43, v42
.LBB554_221:
	s_or_b64 exec, exec, s[10:11]
.LBB554_222:
	s_or_b64 exec, exec, s[8:9]
.LBB554_223:
	s_or_b64 exec, exec, s[2:3]
	s_mov_b32 s2, 0xffffff
	v_cmp_lt_u32_e32 vcc, s2, v30
	v_mov_b32_e32 v45, 0
	v_mov_b32_e32 v53, 0
	s_and_saveexec_b64 s[2:3], vcc
	s_cbranch_execz .LBB554_229
; %bb.224:
	v_lshrrev_b32_e32 v42, 24, v30
	s_movk_i32 s8, 0x80
	v_cmp_ne_u32_e32 vcc, s8, v42
	v_bfrev_b32_e32 v53, 1
	s_and_saveexec_b64 s[8:9], vcc
	s_cbranch_execz .LBB554_228
; %bb.225:
	v_bfe_u32 v30, v30, 24, 7
	s_movk_i32 s10, 0x7f
	v_cmp_ne_u32_e32 vcc, s10, v30
	v_mov_b32_e32 v53, 0x7f800001
	s_and_saveexec_b64 s[10:11], vcc
	s_cbranch_execz .LBB554_227
; %bb.226:
	v_and_b32_e32 v51, 7, v42
	v_ffbh_u32_e32 v54, v51
	v_min_u32_e32 v56, 32, v54
	v_subrev_u32_e32 v54, 28, v56
	v_lshlrev_b64 v[54:55], v54, v[42:43]
	v_lshrrev_b32_e32 v53, 3, v30
	v_sub_u32_e32 v55, 29, v56
	v_and_b32_e32 v54, 7, v54
	v_cmp_gt_u32_e32 vcc, 8, v30
	v_cndmask_b32_e32 v30, v53, v55, vcc
	v_cndmask_b32_e32 v51, v51, v54, vcc
	v_lshlrev_b32_e32 v42, 24, v42
	v_bfrev_b32_e32 v53, 60
	v_lshlrev_b32_e32 v51, 20, v51
	v_and_b32_e32 v42, 0x80000000, v42
	v_lshl_add_u32 v30, v30, 23, v53
	v_or3_b32 v53, v42, v30, v51
.LBB554_227:
	s_or_b64 exec, exec, s[10:11]
.LBB554_228:
	s_or_b64 exec, exec, s[8:9]
.LBB554_229:
	s_or_b64 exec, exec, s[2:3]
	v_cmp_ne_u16_sdwa s[8:9], v31, v45 src0_sel:BYTE_0 src1_sel:DWORD
	s_and_saveexec_b64 s[2:3], s[8:9]
	s_cbranch_execz .LBB554_235
; %bb.230:
	s_movk_i32 s8, 0x80
	v_cmp_ne_u16_sdwa s[10:11], v31, s8 src0_sel:BYTE_0 src1_sel:DWORD
	v_bfrev_b32_e32 v45, 1
	s_and_saveexec_b64 s[8:9], s[10:11]
	s_cbranch_execz .LBB554_234
; %bb.231:
	s_movk_i32 s10, 0x7f
	v_and_b32_e32 v30, 0x7f, v31
	v_cmp_ne_u32_e32 vcc, s10, v30
	v_mov_b32_e32 v45, 0x7f800001
	s_and_saveexec_b64 s[10:11], vcc
	s_cbranch_execz .LBB554_233
; %bb.232:
	v_and_b32_e32 v45, 7, v31
	v_ffbh_u32_e32 v54, v45
	v_min_u32_e32 v56, 32, v54
	v_mov_b32_e32 v42, v31
	v_subrev_u32_e32 v54, 28, v56
	v_lshlrev_b64 v[54:55], v54, v[42:43]
	v_lshrrev_b32_e32 v51, 3, v30
	v_sub_u32_e32 v42, 29, v56
	v_and_b32_e32 v54, 7, v54
	v_cmp_gt_u32_e32 vcc, 8, v30
	v_cndmask_b32_e32 v30, v51, v42, vcc
	v_cndmask_b32_e32 v42, v45, v54, vcc
	v_lshlrev_b32_e32 v45, 24, v31
	v_bfrev_b32_e32 v51, 60
	v_lshlrev_b32_e32 v42, 20, v42
	v_and_b32_e32 v45, 0x80000000, v45
	v_lshl_add_u32 v30, v30, 23, v51
	v_or3_b32 v45, v45, v30, v42
.LBB554_233:
	s_or_b64 exec, exec, s[10:11]
.LBB554_234:
	s_or_b64 exec, exec, s[8:9]
.LBB554_235:
	s_or_b64 exec, exec, s[2:3]
	v_lshrrev_b16_e32 v30, 8, v31
	v_cmp_ne_u16_e32 vcc, 0, v30
	v_mov_b32_e32 v42, 0
	v_mov_b32_e32 v54, 0
	s_and_saveexec_b64 s[2:3], vcc
	s_cbranch_execz .LBB554_241
; %bb.236:
	s_movk_i32 s8, 0x80
	v_cmp_ne_u16_e32 vcc, s8, v30
	v_bfrev_b32_e32 v54, 1
	s_and_saveexec_b64 s[8:9], vcc
	s_cbranch_execz .LBB554_240
; %bb.237:
	s_movk_i32 s10, 0x7f
	v_and_b32_e32 v51, 0x7f, v30
	v_cmp_ne_u32_e32 vcc, s10, v51
	v_mov_b32_e32 v54, 0x7f800001
	s_and_saveexec_b64 s[10:11], vcc
	s_cbranch_execz .LBB554_239
; %bb.238:
	v_and_b32_e32 v56, 7, v30
	v_ffbh_u32_e32 v54, v56
	v_min_u32_e32 v58, 32, v54
	v_subrev_u32_e32 v54, 28, v58
	v_lshlrev_b64 v[54:55], v54, v[30:31]
	v_lshrrev_b32_e32 v57, 3, v51
	v_sub_u32_e32 v30, 29, v58
	v_and_b32_e32 v54, 7, v54
	v_cmp_gt_u32_e32 vcc, 8, v51
	v_cndmask_b32_e32 v30, v57, v30, vcc
	v_cndmask_b32_e32 v51, v56, v54, vcc
	v_lshlrev_b32_e32 v54, 16, v31
	v_bfrev_b32_e32 v55, 60
	v_lshlrev_b32_e32 v51, 20, v51
	v_and_b32_e32 v54, 0x80000000, v54
	v_lshl_add_u32 v30, v30, 23, v55
	v_or3_b32 v54, v54, v30, v51
.LBB554_239:
	s_or_b64 exec, exec, s[10:11]
.LBB554_240:
	s_or_b64 exec, exec, s[8:9]
.LBB554_241:
	s_or_b64 exec, exec, s[2:3]
	s_movk_i32 s2, 0xff
	v_and_b32_sdwa v51, v31, s2 dst_sel:DWORD dst_unused:UNUSED_PAD src0_sel:WORD_1 src1_sel:DWORD
	v_lshrrev_b32_e32 v30, 16, v31
	v_cmp_ne_u16_e32 vcc, 0, v51
	s_and_saveexec_b64 s[2:3], vcc
	s_cbranch_execz .LBB554_247
; %bb.242:
	s_movk_i32 s8, 0x80
	v_cmp_ne_u16_e32 vcc, s8, v51
	v_bfrev_b32_e32 v42, 1
	s_and_saveexec_b64 s[8:9], vcc
	s_cbranch_execz .LBB554_246
; %bb.243:
	v_bfe_u32 v51, v31, 16, 7
	s_movk_i32 s10, 0x7f
	v_cmp_ne_u32_e32 vcc, s10, v51
	v_mov_b32_e32 v42, 0x7f800001
	s_and_saveexec_b64 s[10:11], vcc
	s_cbranch_execz .LBB554_245
; %bb.244:
	v_and_b32_e32 v42, 7, v30
	v_ffbh_u32_e32 v56, v42
	v_min_u32_e32 v58, 32, v56
	v_subrev_u32_e32 v56, 28, v58
	v_lshlrev_b64 v[56:57], v56, v[30:31]
	v_lshrrev_b32_e32 v55, 3, v51
	v_sub_u32_e32 v30, 29, v58
	v_and_b32_e32 v56, 7, v56
	v_cmp_gt_u32_e32 vcc, 8, v51
	v_mov_b32_e32 v51, 24
	v_cndmask_b32_e32 v30, v55, v30, vcc
	v_cndmask_b32_e32 v42, v42, v56, vcc
	v_lshlrev_b32_sdwa v51, v51, v31 dst_sel:DWORD dst_unused:UNUSED_PAD src0_sel:DWORD src1_sel:WORD_1
	v_bfrev_b32_e32 v55, 60
	v_lshlrev_b32_e32 v42, 20, v42
	v_and_b32_e32 v51, 0x80000000, v51
	v_lshl_add_u32 v30, v30, 23, v55
	v_or3_b32 v42, v51, v30, v42
.LBB554_245:
	s_or_b64 exec, exec, s[10:11]
.LBB554_246:
	s_or_b64 exec, exec, s[8:9]
.LBB554_247:
	s_or_b64 exec, exec, s[2:3]
	s_mov_b32 s2, 0xffffff
	v_cmp_lt_u32_e32 vcc, s2, v31
	v_mov_b32_e32 v51, 0
	v_mov_b32_e32 v55, 0
	s_and_saveexec_b64 s[2:3], vcc
	s_cbranch_execz .LBB554_253
; %bb.248:
	v_lshrrev_b32_e32 v30, 24, v31
	s_movk_i32 s8, 0x80
	v_cmp_ne_u32_e32 vcc, s8, v30
	v_bfrev_b32_e32 v55, 1
	s_and_saveexec_b64 s[8:9], vcc
	s_cbranch_execz .LBB554_252
; %bb.249:
	v_bfe_u32 v31, v31, 24, 7
	s_movk_i32 s10, 0x7f
	v_cmp_ne_u32_e32 vcc, s10, v31
	v_mov_b32_e32 v55, 0x7f800001
	s_and_saveexec_b64 s[10:11], vcc
	s_cbranch_execz .LBB554_251
; %bb.250:
	v_and_b32_e32 v55, 7, v30
	v_ffbh_u32_e32 v56, v55
	v_min_u32_e32 v59, 32, v56
	v_subrev_u32_e32 v56, 28, v59
	v_lshlrev_b64 v[56:57], v56, v[30:31]
	v_lshrrev_b32_e32 v58, 3, v31
	v_sub_u32_e32 v57, 29, v59
	v_and_b32_e32 v56, 7, v56
	v_cmp_gt_u32_e32 vcc, 8, v31
	v_cndmask_b32_e32 v31, v58, v57, vcc
	v_cndmask_b32_e32 v55, v55, v56, vcc
	v_lshlrev_b32_e32 v30, 24, v30
	v_bfrev_b32_e32 v56, 60
	v_lshlrev_b32_e32 v55, 20, v55
	v_and_b32_e32 v30, 0x80000000, v30
	v_lshl_add_u32 v31, v31, 23, v56
	v_or3_b32 v55, v30, v31, v55
.LBB554_251:
	s_or_b64 exec, exec, s[10:11]
.LBB554_252:
	s_or_b64 exec, exec, s[8:9]
.LBB554_253:
	s_or_b64 exec, exec, s[2:3]
	v_cvt_pkrtz_f16_f32 v30, v52, v44
	v_cvt_pkrtz_f16_f32 v31, v43, v53
	v_cmp_ne_u16_sdwa s[8:9], v32, v51 src0_sel:BYTE_0 src1_sel:DWORD
	s_nop 0
	v_mfma_f32_16x16x16f16 v[56:59], v[30:31], v[26:27], 0
	v_cvt_pkrtz_f16_f32 v30, v45, v54
	v_cvt_pkrtz_f16_f32 v31, v42, v55
	s_nop 1
	v_mfma_f32_16x16x16f16 v[42:45], v[30:31], v[28:29], v[56:59]
	s_and_saveexec_b64 s[2:3], s[8:9]
	s_cbranch_execz .LBB554_259
; %bb.254:
	s_movk_i32 s8, 0x80
	v_cmp_ne_u16_sdwa s[10:11], v32, s8 src0_sel:BYTE_0 src1_sel:DWORD
	v_bfrev_b32_e32 v51, 1
	s_and_saveexec_b64 s[8:9], s[10:11]
	s_cbranch_execz .LBB554_258
; %bb.255:
	s_movk_i32 s10, 0x7f
	v_and_b32_e32 v30, 0x7f, v32
	v_cmp_ne_u32_e32 vcc, s10, v30
	v_mov_b32_e32 v51, 0x7f800001
	s_and_saveexec_b64 s[10:11], vcc
	s_cbranch_execz .LBB554_257
; %bb.256:
	v_and_b32_e32 v31, 7, v32
	v_ffbh_u32_e32 v52, v31
	v_min_u32_e32 v54, 32, v52
	v_subrev_u32_e32 v52, 28, v54
	v_lshlrev_b64 v[52:53], v52, v[32:33]
	v_lshrrev_b32_e32 v51, 3, v30
	v_sub_u32_e32 v53, 29, v54
	v_and_b32_e32 v52, 7, v52
	v_cmp_gt_u32_e32 vcc, 8, v30
	v_cndmask_b32_e32 v30, v51, v53, vcc
	v_cndmask_b32_e32 v31, v31, v52, vcc
	v_lshlrev_b32_e32 v51, 24, v32
	v_bfrev_b32_e32 v52, 60
	v_lshlrev_b32_e32 v31, 20, v31
	v_and_b32_e32 v51, 0x80000000, v51
	v_lshl_add_u32 v30, v30, 23, v52
	v_or3_b32 v51, v51, v30, v31
.LBB554_257:
	s_or_b64 exec, exec, s[10:11]
.LBB554_258:
	s_or_b64 exec, exec, s[8:9]
.LBB554_259:
	s_or_b64 exec, exec, s[2:3]
	v_lshrrev_b16_e32 v30, 8, v32
	v_cmp_ne_u16_e32 vcc, 0, v30
	v_mov_b32_e32 v31, 0
	v_mov_b32_e32 v53, 0
	s_and_saveexec_b64 s[2:3], vcc
	s_cbranch_execz .LBB554_265
; %bb.260:
	s_movk_i32 s8, 0x80
	v_cmp_ne_u16_e32 vcc, s8, v30
	v_bfrev_b32_e32 v53, 1
	s_and_saveexec_b64 s[8:9], vcc
	s_cbranch_execz .LBB554_264
; %bb.261:
	s_movk_i32 s10, 0x7f
	v_and_b32_e32 v52, 0x7f, v30
	v_cmp_ne_u32_e32 vcc, s10, v52
	v_mov_b32_e32 v53, 0x7f800001
	s_and_saveexec_b64 s[10:11], vcc
	s_cbranch_execz .LBB554_263
; %bb.262:
	v_and_b32_e32 v53, 7, v30
	v_ffbh_u32_e32 v54, v53
	v_min_u32_e32 v57, 32, v54
	v_subrev_u32_e32 v54, 28, v57
	v_lshlrev_b64 v[54:55], v54, v[30:31]
	v_lshrrev_b32_e32 v56, 3, v52
	v_sub_u32_e32 v30, 29, v57
	v_and_b32_e32 v54, 7, v54
	v_cmp_gt_u32_e32 vcc, 8, v52
	v_cndmask_b32_e32 v30, v56, v30, vcc
	v_cndmask_b32_e32 v52, v53, v54, vcc
	v_lshlrev_b32_e32 v53, 16, v32
	v_bfrev_b32_e32 v54, 60
	v_lshlrev_b32_e32 v52, 20, v52
	v_and_b32_e32 v53, 0x80000000, v53
	v_lshl_add_u32 v30, v30, 23, v54
	v_or3_b32 v53, v53, v30, v52
.LBB554_263:
	s_or_b64 exec, exec, s[10:11]
.LBB554_264:
	s_or_b64 exec, exec, s[8:9]
.LBB554_265:
	s_or_b64 exec, exec, s[2:3]
	s_movk_i32 s2, 0xff
	v_and_b32_sdwa v52, v32, s2 dst_sel:DWORD dst_unused:UNUSED_PAD src0_sel:WORD_1 src1_sel:DWORD
	v_lshrrev_b32_e32 v30, 16, v32
	v_cmp_ne_u16_e32 vcc, 0, v52
	s_and_saveexec_b64 s[2:3], vcc
	s_cbranch_execz .LBB554_271
; %bb.266:
	s_movk_i32 s8, 0x80
	v_cmp_ne_u16_e32 vcc, s8, v52
	v_bfrev_b32_e32 v31, 1
	s_and_saveexec_b64 s[8:9], vcc
	s_cbranch_execz .LBB554_270
; %bb.267:
	v_bfe_u32 v52, v32, 16, 7
	s_movk_i32 s10, 0x7f
	v_cmp_ne_u32_e32 vcc, s10, v52
	v_mov_b32_e32 v31, 0x7f800001
	s_and_saveexec_b64 s[10:11], vcc
	s_cbranch_execz .LBB554_269
; %bb.268:
	v_and_b32_e32 v54, 7, v30
	v_ffbh_u32_e32 v31, v54
	v_min_u32_e32 v56, 32, v31
	v_subrev_u32_e32 v31, 28, v56
	v_lshlrev_b64 v[30:31], v31, v[30:31]
	v_lshrrev_b32_e32 v55, 3, v52
	v_sub_u32_e32 v31, 29, v56
	v_and_b32_e32 v30, 7, v30
	v_cmp_gt_u32_e32 vcc, 8, v52
	v_mov_b32_e32 v52, 24
	v_cndmask_b32_e32 v31, v55, v31, vcc
	v_cndmask_b32_e32 v30, v54, v30, vcc
	v_lshlrev_b32_sdwa v52, v52, v32 dst_sel:DWORD dst_unused:UNUSED_PAD src0_sel:DWORD src1_sel:WORD_1
	v_bfrev_b32_e32 v54, 60
	v_lshlrev_b32_e32 v30, 20, v30
	v_and_b32_e32 v52, 0x80000000, v52
	v_lshl_add_u32 v31, v31, 23, v54
	v_or3_b32 v31, v52, v31, v30
.LBB554_269:
	s_or_b64 exec, exec, s[10:11]
.LBB554_270:
	s_or_b64 exec, exec, s[8:9]
.LBB554_271:
	s_or_b64 exec, exec, s[2:3]
	s_mov_b32 s2, 0xffffff
	v_cmp_lt_u32_e32 vcc, s2, v32
	v_mov_b32_e32 v54, 0
	v_mov_b32_e32 v55, 0
	s_and_saveexec_b64 s[2:3], vcc
	s_cbranch_execz .LBB554_277
; %bb.272:
	v_lshrrev_b32_e32 v30, 24, v32
	s_movk_i32 s8, 0x80
	v_cmp_ne_u32_e32 vcc, s8, v30
	v_bfrev_b32_e32 v55, 1
	s_and_saveexec_b64 s[8:9], vcc
	s_cbranch_execz .LBB554_276
; %bb.273:
	v_bfe_u32 v32, v32, 24, 7
	s_movk_i32 s10, 0x7f
	v_cmp_ne_u32_e32 vcc, s10, v32
	v_mov_b32_e32 v55, 0x7f800001
	s_and_saveexec_b64 s[10:11], vcc
	s_cbranch_execz .LBB554_275
; %bb.274:
	v_and_b32_e32 v52, 7, v30
	v_ffbh_u32_e32 v56, v52
	v_min_u32_e32 v58, 32, v56
	v_subrev_u32_e32 v56, 28, v58
	v_lshlrev_b64 v[56:57], v56, v[30:31]
	v_lshrrev_b32_e32 v55, 3, v32
	v_sub_u32_e32 v57, 29, v58
	v_and_b32_e32 v56, 7, v56
	v_cmp_gt_u32_e32 vcc, 8, v32
	v_cndmask_b32_e32 v32, v55, v57, vcc
	v_cndmask_b32_e32 v52, v52, v56, vcc
	v_lshlrev_b32_e32 v30, 24, v30
	v_bfrev_b32_e32 v55, 60
	v_lshlrev_b32_e32 v52, 20, v52
	v_and_b32_e32 v30, 0x80000000, v30
	v_lshl_add_u32 v32, v32, 23, v55
	v_or3_b32 v55, v30, v32, v52
.LBB554_275:
	s_or_b64 exec, exec, s[10:11]
.LBB554_276:
	s_or_b64 exec, exec, s[8:9]
.LBB554_277:
	s_or_b64 exec, exec, s[2:3]
	v_cmp_ne_u16_sdwa s[8:9], v33, v54 src0_sel:BYTE_0 src1_sel:DWORD
	s_and_saveexec_b64 s[2:3], s[8:9]
	s_cbranch_execz .LBB554_283
; %bb.278:
	s_movk_i32 s8, 0x80
	v_cmp_ne_u16_sdwa s[10:11], v33, s8 src0_sel:BYTE_0 src1_sel:DWORD
	v_bfrev_b32_e32 v54, 1
	s_and_saveexec_b64 s[8:9], s[10:11]
	s_cbranch_execz .LBB554_282
; %bb.279:
	s_movk_i32 s10, 0x7f
	v_and_b32_e32 v30, 0x7f, v33
	v_cmp_ne_u32_e32 vcc, s10, v30
	v_mov_b32_e32 v54, 0x7f800001
	s_and_saveexec_b64 s[10:11], vcc
	s_cbranch_execz .LBB554_281
; %bb.280:
	v_and_b32_e32 v52, 7, v33
	v_ffbh_u32_e32 v56, v52
	v_min_u32_e32 v58, 32, v56
	v_mov_b32_e32 v32, v33
	v_subrev_u32_e32 v56, 28, v58
	v_lshlrev_b64 v[56:57], v56, v[32:33]
	v_lshrrev_b32_e32 v54, 3, v30
	v_sub_u32_e32 v32, 29, v58
	v_and_b32_e32 v56, 7, v56
	v_cmp_gt_u32_e32 vcc, 8, v30
	v_cndmask_b32_e32 v30, v54, v32, vcc
	v_cndmask_b32_e32 v32, v52, v56, vcc
	v_lshlrev_b32_e32 v52, 24, v33
	v_bfrev_b32_e32 v54, 60
	v_lshlrev_b32_e32 v32, 20, v32
	v_and_b32_e32 v52, 0x80000000, v52
	v_lshl_add_u32 v30, v30, 23, v54
	v_or3_b32 v54, v52, v30, v32
.LBB554_281:
	s_or_b64 exec, exec, s[10:11]
.LBB554_282:
	s_or_b64 exec, exec, s[8:9]
.LBB554_283:
	s_or_b64 exec, exec, s[2:3]
	v_lshrrev_b16_e32 v30, 8, v33
	v_cmp_ne_u16_e32 vcc, 0, v30
	v_mov_b32_e32 v32, 0
	v_mov_b32_e32 v56, 0
	s_and_saveexec_b64 s[2:3], vcc
	s_cbranch_execz .LBB554_289
; %bb.284:
	s_movk_i32 s8, 0x80
	v_cmp_ne_u16_e32 vcc, s8, v30
	v_bfrev_b32_e32 v56, 1
	s_and_saveexec_b64 s[8:9], vcc
	s_cbranch_execz .LBB554_288
; %bb.285:
	s_movk_i32 s10, 0x7f
	v_and_b32_e32 v52, 0x7f, v30
	v_cmp_ne_u32_e32 vcc, s10, v52
	v_mov_b32_e32 v56, 0x7f800001
	s_and_saveexec_b64 s[10:11], vcc
	s_cbranch_execz .LBB554_287
; %bb.286:
	v_and_b32_e32 v58, 7, v30
	v_ffbh_u32_e32 v56, v58
	v_min_u32_e32 v60, 32, v56
	v_subrev_u32_e32 v56, 28, v60
	v_lshlrev_b64 v[56:57], v56, v[30:31]
	v_lshrrev_b32_e32 v59, 3, v52
	v_sub_u32_e32 v30, 29, v60
	v_and_b32_e32 v56, 7, v56
	v_cmp_gt_u32_e32 vcc, 8, v52
	v_cndmask_b32_e32 v30, v59, v30, vcc
	v_cndmask_b32_e32 v52, v58, v56, vcc
	v_lshlrev_b32_e32 v56, 16, v33
	v_bfrev_b32_e32 v57, 60
	v_lshlrev_b32_e32 v52, 20, v52
	v_and_b32_e32 v56, 0x80000000, v56
	v_lshl_add_u32 v30, v30, 23, v57
	v_or3_b32 v56, v56, v30, v52
.LBB554_287:
	s_or_b64 exec, exec, s[10:11]
.LBB554_288:
	s_or_b64 exec, exec, s[8:9]
.LBB554_289:
	s_or_b64 exec, exec, s[2:3]
	s_movk_i32 s2, 0xff
	v_and_b32_sdwa v52, v33, s2 dst_sel:DWORD dst_unused:UNUSED_PAD src0_sel:WORD_1 src1_sel:DWORD
	v_lshrrev_b32_e32 v30, 16, v33
	v_cmp_ne_u16_e32 vcc, 0, v52
	s_and_saveexec_b64 s[2:3], vcc
	s_cbranch_execz .LBB554_295
; %bb.290:
	s_movk_i32 s8, 0x80
	v_cmp_ne_u16_e32 vcc, s8, v52
	v_bfrev_b32_e32 v32, 1
	s_and_saveexec_b64 s[8:9], vcc
	s_cbranch_execz .LBB554_294
; %bb.291:
	v_bfe_u32 v52, v33, 16, 7
	s_movk_i32 s10, 0x7f
	v_cmp_ne_u32_e32 vcc, s10, v52
	v_mov_b32_e32 v32, 0x7f800001
	s_and_saveexec_b64 s[10:11], vcc
	s_cbranch_execz .LBB554_293
; %bb.292:
	v_and_b32_e32 v32, 7, v30
	v_ffbh_u32_e32 v58, v32
	v_min_u32_e32 v60, 32, v58
	v_subrev_u32_e32 v58, 28, v60
	v_lshlrev_b64 v[58:59], v58, v[30:31]
	v_lshrrev_b32_e32 v57, 3, v52
	v_sub_u32_e32 v30, 29, v60
	v_and_b32_e32 v58, 7, v58
	v_cmp_gt_u32_e32 vcc, 8, v52
	v_mov_b32_e32 v52, 24
	v_cndmask_b32_e32 v30, v57, v30, vcc
	v_cndmask_b32_e32 v32, v32, v58, vcc
	v_lshlrev_b32_sdwa v52, v52, v33 dst_sel:DWORD dst_unused:UNUSED_PAD src0_sel:DWORD src1_sel:WORD_1
	v_bfrev_b32_e32 v57, 60
	v_lshlrev_b32_e32 v32, 20, v32
	v_and_b32_e32 v52, 0x80000000, v52
	v_lshl_add_u32 v30, v30, 23, v57
	v_or3_b32 v32, v52, v30, v32
.LBB554_293:
	s_or_b64 exec, exec, s[10:11]
.LBB554_294:
	s_or_b64 exec, exec, s[8:9]
.LBB554_295:
	s_or_b64 exec, exec, s[2:3]
	s_mov_b32 s2, 0xffffff
	v_cmp_lt_u32_e32 vcc, s2, v33
	v_mov_b32_e32 v52, 0
	v_mov_b32_e32 v57, 0
	s_and_saveexec_b64 s[2:3], vcc
	s_cbranch_execz .LBB554_301
; %bb.296:
	v_lshrrev_b32_e32 v30, 24, v33
	s_movk_i32 s8, 0x80
	v_cmp_ne_u32_e32 vcc, s8, v30
	v_bfrev_b32_e32 v57, 1
	s_and_saveexec_b64 s[8:9], vcc
	s_cbranch_execz .LBB554_300
; %bb.297:
	v_bfe_u32 v33, v33, 24, 7
	s_movk_i32 s10, 0x7f
	v_cmp_ne_u32_e32 vcc, s10, v33
	v_mov_b32_e32 v57, 0x7f800001
	s_and_saveexec_b64 s[10:11], vcc
	s_cbranch_execz .LBB554_299
; %bb.298:
	v_and_b32_e32 v57, 7, v30
	v_ffbh_u32_e32 v58, v57
	v_min_u32_e32 v61, 32, v58
	v_subrev_u32_e32 v58, 28, v61
	v_lshlrev_b64 v[58:59], v58, v[30:31]
	v_lshrrev_b32_e32 v60, 3, v33
	v_sub_u32_e32 v59, 29, v61
	v_and_b32_e32 v58, 7, v58
	v_cmp_gt_u32_e32 vcc, 8, v33
	v_cndmask_b32_e32 v33, v60, v59, vcc
	v_cndmask_b32_e32 v57, v57, v58, vcc
	v_lshlrev_b32_e32 v30, 24, v30
	v_bfrev_b32_e32 v58, 60
	v_lshlrev_b32_e32 v57, 20, v57
	v_and_b32_e32 v30, 0x80000000, v30
	v_lshl_add_u32 v33, v33, 23, v58
	v_or3_b32 v57, v30, v33, v57
.LBB554_299:
	s_or_b64 exec, exec, s[10:11]
.LBB554_300:
	s_or_b64 exec, exec, s[8:9]
.LBB554_301:
	s_or_b64 exec, exec, s[2:3]
	v_cvt_pkrtz_f16_f32 v30, v51, v53
	v_cvt_pkrtz_f16_f32 v31, v31, v55
	v_cmp_ne_u16_sdwa s[8:9], v22, v52 src0_sel:BYTE_0 src1_sel:DWORD
	s_nop 0
	v_mfma_f32_16x16x16f16 v[42:45], v[30:31], v[18:19], v[42:45]
	v_cvt_pkrtz_f16_f32 v30, v54, v56
	v_cvt_pkrtz_f16_f32 v31, v32, v57
	s_nop 1
	v_mfma_f32_16x16x16f16 v[30:33], v[30:31], v[20:21], v[42:45]
	s_and_saveexec_b64 s[2:3], s[8:9]
	s_cbranch_execz .LBB554_307
; %bb.302:
	s_movk_i32 s8, 0x80
	v_cmp_ne_u16_sdwa s[10:11], v22, s8 src0_sel:BYTE_0 src1_sel:DWORD
	v_bfrev_b32_e32 v52, 1
	s_and_saveexec_b64 s[8:9], s[10:11]
	s_cbranch_execz .LBB554_306
; %bb.303:
	s_movk_i32 s10, 0x7f
	v_and_b32_e32 v42, 0x7f, v22
	v_cmp_ne_u32_e32 vcc, s10, v42
	v_mov_b32_e32 v52, 0x7f800001
	s_and_saveexec_b64 s[10:11], vcc
	s_cbranch_execz .LBB554_305
; %bb.304:
	v_and_b32_e32 v43, 7, v22
	v_ffbh_u32_e32 v44, v43
	v_min_u32_e32 v52, 32, v44
	v_subrev_u32_e32 v44, 28, v52
	v_lshlrev_b64 v[44:45], v44, v[22:23]
	v_lshrrev_b32_e32 v51, 3, v42
	v_sub_u32_e32 v45, 29, v52
	v_and_b32_e32 v44, 7, v44
	v_cmp_gt_u32_e32 vcc, 8, v42
	v_cndmask_b32_e32 v42, v51, v45, vcc
	v_cndmask_b32_e32 v43, v43, v44, vcc
	v_lshlrev_b32_e32 v44, 24, v22
	v_bfrev_b32_e32 v45, 60
	v_lshlrev_b32_e32 v43, 20, v43
	v_and_b32_e32 v44, 0x80000000, v44
	v_lshl_add_u32 v42, v42, 23, v45
	v_or3_b32 v52, v44, v42, v43
.LBB554_305:
	s_or_b64 exec, exec, s[10:11]
.LBB554_306:
	s_or_b64 exec, exec, s[8:9]
.LBB554_307:
	s_or_b64 exec, exec, s[2:3]
	s_nop 3
	v_lshrrev_b16_e32 v42, 8, v22
	v_cmp_ne_u16_e32 vcc, 0, v42
	v_mov_b32_e32 v43, 0
	v_mov_b32_e32 v44, 0
	s_and_saveexec_b64 s[2:3], vcc
	s_cbranch_execz .LBB554_313
; %bb.308:
	s_movk_i32 s8, 0x80
	v_cmp_ne_u16_e32 vcc, s8, v42
	v_bfrev_b32_e32 v44, 1
	s_and_saveexec_b64 s[8:9], vcc
	s_cbranch_execz .LBB554_312
; %bb.309:
	s_movk_i32 s10, 0x7f
	v_and_b32_e32 v45, 0x7f, v42
	v_cmp_ne_u32_e32 vcc, s10, v45
	v_mov_b32_e32 v44, 0x7f800001
	s_and_saveexec_b64 s[10:11], vcc
	s_cbranch_execz .LBB554_311
; %bb.310:
	v_and_b32_e32 v44, 7, v42
	v_ffbh_u32_e32 v53, v44
	v_min_u32_e32 v53, 32, v53
	v_subrev_u32_e32 v54, 28, v53
	v_lshlrev_b64 v[54:55], v54, v[42:43]
	v_lshrrev_b32_e32 v51, 3, v45
	v_sub_u32_e32 v42, 29, v53
	v_and_b32_e32 v53, 7, v54
	v_cmp_gt_u32_e32 vcc, 8, v45
	v_cndmask_b32_e32 v42, v51, v42, vcc
	v_cndmask_b32_e32 v44, v44, v53, vcc
	v_lshlrev_b32_e32 v45, 16, v22
	v_bfrev_b32_e32 v51, 60
	v_lshlrev_b32_e32 v44, 20, v44
	v_and_b32_e32 v45, 0x80000000, v45
	v_lshl_add_u32 v42, v42, 23, v51
	v_or3_b32 v44, v45, v42, v44
.LBB554_311:
	s_or_b64 exec, exec, s[10:11]
.LBB554_312:
	s_or_b64 exec, exec, s[8:9]
.LBB554_313:
	s_or_b64 exec, exec, s[2:3]
	s_movk_i32 s2, 0xff
	v_and_b32_sdwa v45, v22, s2 dst_sel:DWORD dst_unused:UNUSED_PAD src0_sel:WORD_1 src1_sel:DWORD
	v_lshrrev_b32_e32 v42, 16, v22
	v_cmp_ne_u16_e32 vcc, 0, v45
	s_and_saveexec_b64 s[2:3], vcc
	s_cbranch_execz .LBB554_319
; %bb.314:
	s_movk_i32 s8, 0x80
	v_cmp_ne_u16_e32 vcc, s8, v45
	v_bfrev_b32_e32 v43, 1
	s_and_saveexec_b64 s[8:9], vcc
	s_cbranch_execz .LBB554_318
; %bb.315:
	v_bfe_u32 v45, v22, 16, 7
	s_movk_i32 s10, 0x7f
	v_cmp_ne_u32_e32 vcc, s10, v45
	v_mov_b32_e32 v43, 0x7f800001
	s_and_saveexec_b64 s[10:11], vcc
	s_cbranch_execz .LBB554_317
; %bb.316:
	v_and_b32_e32 v51, 7, v42
	v_ffbh_u32_e32 v43, v51
	v_min_u32_e32 v54, 32, v43
	v_subrev_u32_e32 v43, 28, v54
	v_lshlrev_b64 v[42:43], v43, v[42:43]
	v_lshrrev_b32_e32 v53, 3, v45
	v_sub_u32_e32 v43, 29, v54
	v_and_b32_e32 v42, 7, v42
	v_cmp_gt_u32_e32 vcc, 8, v45
	v_mov_b32_e32 v45, 24
	v_cndmask_b32_e32 v43, v53, v43, vcc
	v_cndmask_b32_e32 v42, v51, v42, vcc
	v_lshlrev_b32_sdwa v45, v45, v22 dst_sel:DWORD dst_unused:UNUSED_PAD src0_sel:DWORD src1_sel:WORD_1
	v_bfrev_b32_e32 v51, 60
	v_lshlrev_b32_e32 v42, 20, v42
	v_and_b32_e32 v45, 0x80000000, v45
	v_lshl_add_u32 v43, v43, 23, v51
	v_or3_b32 v43, v45, v43, v42
.LBB554_317:
	s_or_b64 exec, exec, s[10:11]
.LBB554_318:
	s_or_b64 exec, exec, s[8:9]
.LBB554_319:
	s_or_b64 exec, exec, s[2:3]
	s_mov_b32 s2, 0xffffff
	v_cmp_lt_u32_e32 vcc, s2, v22
	v_mov_b32_e32 v45, 0
	v_mov_b32_e32 v51, 0
	s_and_saveexec_b64 s[2:3], vcc
	s_cbranch_execz .LBB554_325
; %bb.320:
	v_lshrrev_b32_e32 v42, 24, v22
	s_movk_i32 s8, 0x80
	v_cmp_ne_u32_e32 vcc, s8, v42
	v_bfrev_b32_e32 v51, 1
	s_and_saveexec_b64 s[8:9], vcc
	s_cbranch_execz .LBB554_324
; %bb.321:
	v_bfe_u32 v22, v22, 24, 7
	s_movk_i32 s10, 0x7f
	v_cmp_ne_u32_e32 vcc, s10, v22
	v_mov_b32_e32 v51, 0x7f800001
	s_and_saveexec_b64 s[10:11], vcc
	s_cbranch_execz .LBB554_323
; %bb.322:
	v_and_b32_e32 v51, 7, v42
	v_ffbh_u32_e32 v54, v51
	v_min_u32_e32 v56, 32, v54
	v_subrev_u32_e32 v54, 28, v56
	v_lshlrev_b64 v[54:55], v54, v[42:43]
	v_lshrrev_b32_e32 v53, 3, v22
	v_sub_u32_e32 v55, 29, v56
	v_and_b32_e32 v54, 7, v54
	v_cmp_gt_u32_e32 vcc, 8, v22
	v_cndmask_b32_e32 v22, v53, v55, vcc
	v_cndmask_b32_e32 v51, v51, v54, vcc
	v_lshlrev_b32_e32 v42, 24, v42
	v_bfrev_b32_e32 v53, 60
	v_lshlrev_b32_e32 v51, 20, v51
	v_and_b32_e32 v42, 0x80000000, v42
	v_lshl_add_u32 v22, v22, 23, v53
	v_or3_b32 v51, v42, v22, v51
.LBB554_323:
	s_or_b64 exec, exec, s[10:11]
.LBB554_324:
	s_or_b64 exec, exec, s[8:9]
.LBB554_325:
	s_or_b64 exec, exec, s[2:3]
	v_cmp_ne_u16_sdwa s[8:9], v23, v45 src0_sel:BYTE_0 src1_sel:DWORD
	s_and_saveexec_b64 s[2:3], s[8:9]
	s_cbranch_execz .LBB554_331
; %bb.326:
	s_movk_i32 s8, 0x80
	v_cmp_ne_u16_sdwa s[10:11], v23, s8 src0_sel:BYTE_0 src1_sel:DWORD
	v_bfrev_b32_e32 v45, 1
	s_and_saveexec_b64 s[8:9], s[10:11]
	s_cbranch_execz .LBB554_330
; %bb.327:
	s_movk_i32 s10, 0x7f
	v_and_b32_e32 v22, 0x7f, v23
	v_cmp_ne_u32_e32 vcc, s10, v22
	v_mov_b32_e32 v45, 0x7f800001
	s_and_saveexec_b64 s[10:11], vcc
	s_cbranch_execz .LBB554_329
; %bb.328:
	v_and_b32_e32 v45, 7, v23
	v_ffbh_u32_e32 v54, v45
	v_min_u32_e32 v56, 32, v54
	v_mov_b32_e32 v42, v23
	v_subrev_u32_e32 v54, 28, v56
	v_lshlrev_b64 v[54:55], v54, v[42:43]
	v_lshrrev_b32_e32 v53, 3, v22
	v_sub_u32_e32 v42, 29, v56
	v_and_b32_e32 v54, 7, v54
	v_cmp_gt_u32_e32 vcc, 8, v22
	v_cndmask_b32_e32 v22, v53, v42, vcc
	v_cndmask_b32_e32 v42, v45, v54, vcc
	v_lshlrev_b32_e32 v45, 24, v23
	v_bfrev_b32_e32 v53, 60
	v_lshlrev_b32_e32 v42, 20, v42
	v_and_b32_e32 v45, 0x80000000, v45
	v_lshl_add_u32 v22, v22, 23, v53
	v_or3_b32 v45, v45, v22, v42
.LBB554_329:
	s_or_b64 exec, exec, s[10:11]
.LBB554_330:
	s_or_b64 exec, exec, s[8:9]
.LBB554_331:
	s_or_b64 exec, exec, s[2:3]
	v_lshrrev_b16_e32 v22, 8, v23
	v_cmp_ne_u16_e32 vcc, 0, v22
	v_mov_b32_e32 v53, 0
	v_mov_b32_e32 v54, 0
	s_and_saveexec_b64 s[2:3], vcc
	s_cbranch_execz .LBB554_337
; %bb.332:
	s_movk_i32 s8, 0x80
	v_cmp_ne_u16_e32 vcc, s8, v22
	v_bfrev_b32_e32 v54, 1
	s_and_saveexec_b64 s[8:9], vcc
	s_cbranch_execz .LBB554_336
; %bb.333:
	s_movk_i32 s10, 0x7f
	v_and_b32_e32 v42, 0x7f, v22
	v_cmp_ne_u32_e32 vcc, s10, v42
	v_mov_b32_e32 v54, 0x7f800001
	s_and_saveexec_b64 s[10:11], vcc
	s_cbranch_execz .LBB554_335
; %bb.334:
	v_and_b32_e32 v56, 7, v22
	v_ffbh_u32_e32 v54, v56
	v_min_u32_e32 v58, 32, v54
	v_subrev_u32_e32 v54, 28, v58
	v_lshlrev_b64 v[54:55], v54, v[22:23]
	v_lshrrev_b32_e32 v57, 3, v42
	v_sub_u32_e32 v22, 29, v58
	v_and_b32_e32 v54, 7, v54
	v_cmp_gt_u32_e32 vcc, 8, v42
	v_cndmask_b32_e32 v22, v57, v22, vcc
	v_cndmask_b32_e32 v42, v56, v54, vcc
	v_lshlrev_b32_e32 v54, 16, v23
	v_bfrev_b32_e32 v55, 60
	v_lshlrev_b32_e32 v42, 20, v42
	v_and_b32_e32 v54, 0x80000000, v54
	v_lshl_add_u32 v22, v22, 23, v55
	v_or3_b32 v54, v54, v22, v42
.LBB554_335:
	s_or_b64 exec, exec, s[10:11]
.LBB554_336:
	s_or_b64 exec, exec, s[8:9]
.LBB554_337:
	s_or_b64 exec, exec, s[2:3]
	s_movk_i32 s2, 0xff
	v_and_b32_sdwa v42, v23, s2 dst_sel:DWORD dst_unused:UNUSED_PAD src0_sel:WORD_1 src1_sel:DWORD
	v_lshrrev_b32_e32 v22, 16, v23
	v_cmp_ne_u16_e32 vcc, 0, v42
	s_and_saveexec_b64 s[2:3], vcc
	s_cbranch_execz .LBB554_343
; %bb.338:
	s_movk_i32 s8, 0x80
	v_cmp_ne_u16_e32 vcc, s8, v42
	v_bfrev_b32_e32 v53, 1
	s_and_saveexec_b64 s[8:9], vcc
	s_cbranch_execz .LBB554_342
; %bb.339:
	v_bfe_u32 v42, v23, 16, 7
	s_movk_i32 s10, 0x7f
	v_cmp_ne_u32_e32 vcc, s10, v42
	v_mov_b32_e32 v53, 0x7f800001
	s_and_saveexec_b64 s[10:11], vcc
	s_cbranch_execz .LBB554_341
; %bb.340:
	v_and_b32_e32 v53, 7, v22
	v_ffbh_u32_e32 v56, v53
	v_min_u32_e32 v58, 32, v56
	v_subrev_u32_e32 v56, 28, v58
	v_lshlrev_b64 v[56:57], v56, v[22:23]
	v_and_b32_e32 v56, 7, v56
	v_cmp_gt_u32_e32 vcc, 8, v42
	v_lshrrev_b32_e32 v55, 3, v42
	v_sub_u32_e32 v22, 29, v58
	v_cndmask_b32_e32 v42, v53, v56, vcc
	v_mov_b32_e32 v53, 24
	v_cndmask_b32_e32 v22, v55, v22, vcc
	v_lshlrev_b32_sdwa v53, v53, v23 dst_sel:DWORD dst_unused:UNUSED_PAD src0_sel:DWORD src1_sel:WORD_1
	v_bfrev_b32_e32 v55, 60
	v_lshlrev_b32_e32 v42, 20, v42
	v_and_b32_e32 v53, 0x80000000, v53
	v_lshl_add_u32 v22, v22, 23, v55
	v_or3_b32 v53, v53, v22, v42
.LBB554_341:
	s_or_b64 exec, exec, s[10:11]
.LBB554_342:
	s_or_b64 exec, exec, s[8:9]
.LBB554_343:
	s_or_b64 exec, exec, s[2:3]
	s_mov_b32 s2, 0xffffff
	v_cmp_lt_u32_e32 vcc, s2, v23
	v_mov_b32_e32 v42, 0
	v_mov_b32_e32 v55, 0
	s_and_saveexec_b64 s[2:3], vcc
	s_cbranch_execz .LBB554_349
; %bb.344:
	v_lshrrev_b32_e32 v22, 24, v23
	s_movk_i32 s8, 0x80
	v_cmp_ne_u32_e32 vcc, s8, v22
	v_bfrev_b32_e32 v55, 1
	s_and_saveexec_b64 s[8:9], vcc
	s_cbranch_execz .LBB554_348
; %bb.345:
	v_bfe_u32 v23, v23, 24, 7
	s_movk_i32 s10, 0x7f
	v_cmp_ne_u32_e32 vcc, s10, v23
	v_mov_b32_e32 v55, 0x7f800001
	s_and_saveexec_b64 s[10:11], vcc
	s_cbranch_execz .LBB554_347
; %bb.346:
	v_and_b32_e32 v55, 7, v22
	v_ffbh_u32_e32 v56, v55
	v_min_u32_e32 v59, 32, v56
	v_subrev_u32_e32 v56, 28, v59
	v_lshlrev_b64 v[56:57], v56, v[22:23]
	v_lshrrev_b32_e32 v58, 3, v23
	v_sub_u32_e32 v57, 29, v59
	v_and_b32_e32 v56, 7, v56
	v_cmp_gt_u32_e32 vcc, 8, v23
	v_cndmask_b32_e32 v23, v58, v57, vcc
	v_cndmask_b32_e32 v55, v55, v56, vcc
	v_lshlrev_b32_e32 v22, 24, v22
	v_bfrev_b32_e32 v56, 60
	v_lshlrev_b32_e32 v55, 20, v55
	v_and_b32_e32 v22, 0x80000000, v22
	v_lshl_add_u32 v23, v23, 23, v56
	v_or3_b32 v55, v22, v23, v55
.LBB554_347:
	s_or_b64 exec, exec, s[10:11]
.LBB554_348:
	s_or_b64 exec, exec, s[8:9]
.LBB554_349:
	s_or_b64 exec, exec, s[2:3]
	v_cvt_pkrtz_f16_f32 v22, v52, v44
	v_cvt_pkrtz_f16_f32 v23, v43, v51
	v_cmp_ne_u16_sdwa s[8:9], v24, v42 src0_sel:BYTE_0 src1_sel:DWORD
	s_nop 0
	v_mfma_f32_16x16x16f16 v[56:59], v[22:23], v[26:27], 0
	v_cvt_pkrtz_f16_f32 v22, v45, v54
	v_cvt_pkrtz_f16_f32 v23, v53, v55
	s_nop 1
	v_mfma_f32_16x16x16f16 v[26:29], v[22:23], v[28:29], v[56:59]
	s_and_saveexec_b64 s[2:3], s[8:9]
	s_cbranch_execz .LBB554_355
; %bb.350:
	s_movk_i32 s8, 0x80
	v_cmp_ne_u16_sdwa s[10:11], v24, s8 src0_sel:BYTE_0 src1_sel:DWORD
	v_bfrev_b32_e32 v42, 1
	s_and_saveexec_b64 s[8:9], s[10:11]
	s_cbranch_execz .LBB554_354
; %bb.351:
	s_movk_i32 s10, 0x7f
	v_and_b32_e32 v22, 0x7f, v24
	v_cmp_ne_u32_e32 vcc, s10, v22
	v_mov_b32_e32 v42, 0x7f800001
	s_and_saveexec_b64 s[10:11], vcc
	s_cbranch_execz .LBB554_353
; %bb.352:
	v_and_b32_e32 v23, 7, v24
	v_ffbh_u32_e32 v42, v23
	v_min_u32_e32 v45, 32, v42
	v_subrev_u32_e32 v42, 28, v45
	v_lshlrev_b64 v[42:43], v42, v[24:25]
	v_lshrrev_b32_e32 v44, 3, v22
	v_sub_u32_e32 v43, 29, v45
	v_and_b32_e32 v42, 7, v42
	v_cmp_gt_u32_e32 vcc, 8, v22
	v_cndmask_b32_e32 v22, v44, v43, vcc
	v_cndmask_b32_e32 v23, v23, v42, vcc
	v_lshlrev_b32_e32 v42, 24, v24
	v_bfrev_b32_e32 v43, 60
	v_lshlrev_b32_e32 v23, 20, v23
	v_and_b32_e32 v42, 0x80000000, v42
	v_lshl_add_u32 v22, v22, 23, v43
	v_or3_b32 v42, v42, v22, v23
.LBB554_353:
	s_or_b64 exec, exec, s[10:11]
.LBB554_354:
	s_or_b64 exec, exec, s[8:9]
.LBB554_355:
	s_or_b64 exec, exec, s[2:3]
	v_lshrrev_b16_e32 v22, 8, v24
	v_cmp_ne_u16_e32 vcc, 0, v22
	v_mov_b32_e32 v23, 0
	v_mov_b32_e32 v43, 0
	s_and_saveexec_b64 s[2:3], vcc
	s_cbranch_execz .LBB554_361
; %bb.356:
	s_movk_i32 s8, 0x80
	v_cmp_ne_u16_e32 vcc, s8, v22
	v_bfrev_b32_e32 v43, 1
	s_and_saveexec_b64 s[8:9], vcc
	s_cbranch_execz .LBB554_360
; %bb.357:
	s_movk_i32 s10, 0x7f
	v_and_b32_e32 v44, 0x7f, v22
	v_cmp_ne_u32_e32 vcc, s10, v44
	v_mov_b32_e32 v43, 0x7f800001
	s_and_saveexec_b64 s[10:11], vcc
	s_cbranch_execz .LBB554_359
; %bb.358:
	v_and_b32_e32 v43, 7, v22
	v_ffbh_u32_e32 v51, v43
	v_min_u32_e32 v51, 32, v51
	v_subrev_u32_e32 v52, 28, v51
	v_lshlrev_b64 v[52:53], v52, v[22:23]
	v_lshrrev_b32_e32 v45, 3, v44
	v_sub_u32_e32 v22, 29, v51
	v_and_b32_e32 v51, 7, v52
	v_cmp_gt_u32_e32 vcc, 8, v44
	v_cndmask_b32_e32 v22, v45, v22, vcc
	v_cndmask_b32_e32 v43, v43, v51, vcc
	v_lshlrev_b32_e32 v44, 16, v24
	v_bfrev_b32_e32 v45, 60
	v_lshlrev_b32_e32 v43, 20, v43
	v_and_b32_e32 v44, 0x80000000, v44
	v_lshl_add_u32 v22, v22, 23, v45
	v_or3_b32 v43, v44, v22, v43
.LBB554_359:
	s_or_b64 exec, exec, s[10:11]
.LBB554_360:
	s_or_b64 exec, exec, s[8:9]
.LBB554_361:
	s_or_b64 exec, exec, s[2:3]
	s_movk_i32 s2, 0xff
	v_and_b32_sdwa v44, v24, s2 dst_sel:DWORD dst_unused:UNUSED_PAD src0_sel:WORD_1 src1_sel:DWORD
	v_lshrrev_b32_e32 v22, 16, v24
	v_cmp_ne_u16_e32 vcc, 0, v44
	s_and_saveexec_b64 s[2:3], vcc
	s_cbranch_execz .LBB554_367
; %bb.362:
	s_movk_i32 s8, 0x80
	v_cmp_ne_u16_e32 vcc, s8, v44
	v_bfrev_b32_e32 v23, 1
	s_and_saveexec_b64 s[8:9], vcc
	s_cbranch_execz .LBB554_366
; %bb.363:
	v_bfe_u32 v44, v24, 16, 7
	s_movk_i32 s10, 0x7f
	v_cmp_ne_u32_e32 vcc, s10, v44
	v_mov_b32_e32 v23, 0x7f800001
	s_and_saveexec_b64 s[10:11], vcc
	s_cbranch_execz .LBB554_365
; %bb.364:
	v_and_b32_e32 v45, 7, v22
	v_ffbh_u32_e32 v23, v45
	v_min_u32_e32 v52, 32, v23
	v_subrev_u32_e32 v23, 28, v52
	v_lshlrev_b64 v[22:23], v23, v[22:23]
	v_lshrrev_b32_e32 v51, 3, v44
	v_sub_u32_e32 v23, 29, v52
	v_and_b32_e32 v22, 7, v22
	v_cmp_gt_u32_e32 vcc, 8, v44
	v_mov_b32_e32 v44, 24
	v_cndmask_b32_e32 v23, v51, v23, vcc
	v_cndmask_b32_e32 v22, v45, v22, vcc
	v_lshlrev_b32_sdwa v44, v44, v24 dst_sel:DWORD dst_unused:UNUSED_PAD src0_sel:DWORD src1_sel:WORD_1
	v_bfrev_b32_e32 v45, 60
	v_lshlrev_b32_e32 v22, 20, v22
	v_and_b32_e32 v44, 0x80000000, v44
	v_lshl_add_u32 v23, v23, 23, v45
	v_or3_b32 v23, v44, v23, v22
.LBB554_365:
	s_or_b64 exec, exec, s[10:11]
.LBB554_366:
	s_or_b64 exec, exec, s[8:9]
.LBB554_367:
	s_or_b64 exec, exec, s[2:3]
	s_mov_b32 s2, 0xffffff
	v_cmp_lt_u32_e32 vcc, s2, v24
	v_mov_b32_e32 v45, 0
	v_mov_b32_e32 v51, 0
	s_and_saveexec_b64 s[2:3], vcc
	s_cbranch_execz .LBB554_373
; %bb.368:
	v_lshrrev_b32_e32 v22, 24, v24
	s_movk_i32 s8, 0x80
	v_cmp_ne_u32_e32 vcc, s8, v22
	v_bfrev_b32_e32 v51, 1
	s_and_saveexec_b64 s[8:9], vcc
	s_cbranch_execz .LBB554_372
; %bb.369:
	v_bfe_u32 v24, v24, 24, 7
	s_movk_i32 s10, 0x7f
	v_cmp_ne_u32_e32 vcc, s10, v24
	v_mov_b32_e32 v51, 0x7f800001
	s_and_saveexec_b64 s[10:11], vcc
	s_cbranch_execz .LBB554_371
; %bb.370:
	v_and_b32_e32 v44, 7, v22
	v_ffbh_u32_e32 v52, v44
	v_min_u32_e32 v54, 32, v52
	v_subrev_u32_e32 v52, 28, v54
	v_lshlrev_b64 v[52:53], v52, v[22:23]
	v_lshrrev_b32_e32 v51, 3, v24
	v_sub_u32_e32 v53, 29, v54
	v_and_b32_e32 v52, 7, v52
	v_cmp_gt_u32_e32 vcc, 8, v24
	v_cndmask_b32_e32 v24, v51, v53, vcc
	v_cndmask_b32_e32 v44, v44, v52, vcc
	v_lshlrev_b32_e32 v22, 24, v22
	v_bfrev_b32_e32 v51, 60
	v_lshlrev_b32_e32 v44, 20, v44
	v_and_b32_e32 v22, 0x80000000, v22
	v_lshl_add_u32 v24, v24, 23, v51
	v_or3_b32 v51, v22, v24, v44
.LBB554_371:
	s_or_b64 exec, exec, s[10:11]
.LBB554_372:
	s_or_b64 exec, exec, s[8:9]
.LBB554_373:
	s_or_b64 exec, exec, s[2:3]
	v_cmp_ne_u16_sdwa s[8:9], v25, v45 src0_sel:BYTE_0 src1_sel:DWORD
	s_and_saveexec_b64 s[2:3], s[8:9]
	s_cbranch_execz .LBB554_379
; %bb.374:
	s_movk_i32 s8, 0x80
	v_cmp_ne_u16_sdwa s[10:11], v25, s8 src0_sel:BYTE_0 src1_sel:DWORD
	v_bfrev_b32_e32 v45, 1
	s_and_saveexec_b64 s[8:9], s[10:11]
	s_cbranch_execz .LBB554_378
; %bb.375:
	s_movk_i32 s10, 0x7f
	v_and_b32_e32 v22, 0x7f, v25
	v_cmp_ne_u32_e32 vcc, s10, v22
	v_mov_b32_e32 v45, 0x7f800001
	s_and_saveexec_b64 s[10:11], vcc
	s_cbranch_execz .LBB554_377
; %bb.376:
	v_and_b32_e32 v52, 7, v25
	v_ffbh_u32_e32 v44, v52
	v_min_u32_e32 v54, 32, v44
	v_mov_b32_e32 v24, v25
	v_subrev_u32_e32 v44, 28, v54
	v_lshlrev_b64 v[44:45], v44, v[24:25]
	v_lshrrev_b32_e32 v53, 3, v22
	v_sub_u32_e32 v24, 29, v54
	v_and_b32_e32 v44, 7, v44
	v_cmp_gt_u32_e32 vcc, 8, v22
	v_cndmask_b32_e32 v22, v53, v24, vcc
	v_cndmask_b32_e32 v24, v52, v44, vcc
	v_lshlrev_b32_e32 v44, 24, v25
	v_bfrev_b32_e32 v45, 60
	v_lshlrev_b32_e32 v24, 20, v24
	v_and_b32_e32 v44, 0x80000000, v44
	v_lshl_add_u32 v22, v22, 23, v45
	v_or3_b32 v45, v44, v22, v24
.LBB554_377:
	s_or_b64 exec, exec, s[10:11]
.LBB554_378:
	s_or_b64 exec, exec, s[8:9]
.LBB554_379:
	s_or_b64 exec, exec, s[2:3]
	v_lshrrev_b16_e32 v22, 8, v25
	v_cmp_ne_u16_e32 vcc, 0, v22
	v_mov_b32_e32 v52, 0
	v_mov_b32_e32 v53, 0
	s_and_saveexec_b64 s[2:3], vcc
	s_cbranch_execz .LBB554_385
; %bb.380:
	s_movk_i32 s8, 0x80
	v_cmp_ne_u16_e32 vcc, s8, v22
	v_bfrev_b32_e32 v53, 1
	s_and_saveexec_b64 s[8:9], vcc
	s_cbranch_execz .LBB554_384
; %bb.381:
	s_movk_i32 s10, 0x7f
	v_and_b32_e32 v24, 0x7f, v22
	v_cmp_ne_u32_e32 vcc, s10, v24
	v_mov_b32_e32 v53, 0x7f800001
	s_and_saveexec_b64 s[10:11], vcc
	s_cbranch_execz .LBB554_383
; %bb.382:
	v_and_b32_e32 v44, 7, v22
	v_ffbh_u32_e32 v54, v44
	v_min_u32_e32 v56, 32, v54
	v_subrev_u32_e32 v54, 28, v56
	v_lshlrev_b64 v[54:55], v54, v[22:23]
	v_lshrrev_b32_e32 v53, 3, v24
	v_sub_u32_e32 v22, 29, v56
	v_and_b32_e32 v54, 7, v54
	v_cmp_gt_u32_e32 vcc, 8, v24
	v_cndmask_b32_e32 v22, v53, v22, vcc
	v_cndmask_b32_e32 v24, v44, v54, vcc
	v_lshlrev_b32_e32 v44, 16, v25
	v_bfrev_b32_e32 v53, 60
	v_lshlrev_b32_e32 v24, 20, v24
	v_and_b32_e32 v44, 0x80000000, v44
	v_lshl_add_u32 v22, v22, 23, v53
	v_or3_b32 v53, v44, v22, v24
.LBB554_383:
	s_or_b64 exec, exec, s[10:11]
.LBB554_384:
	s_or_b64 exec, exec, s[8:9]
.LBB554_385:
	s_or_b64 exec, exec, s[2:3]
	s_movk_i32 s2, 0xff
	v_and_b32_sdwa v24, v25, s2 dst_sel:DWORD dst_unused:UNUSED_PAD src0_sel:WORD_1 src1_sel:DWORD
	v_lshrrev_b32_e32 v22, 16, v25
	v_cmp_ne_u16_e32 vcc, 0, v24
	s_and_saveexec_b64 s[2:3], vcc
	s_cbranch_execz .LBB554_391
; %bb.386:
	s_movk_i32 s8, 0x80
	v_cmp_ne_u16_e32 vcc, s8, v24
	v_bfrev_b32_e32 v52, 1
	s_and_saveexec_b64 s[8:9], vcc
	s_cbranch_execz .LBB554_390
; %bb.387:
	v_bfe_u32 v24, v25, 16, 7
	s_movk_i32 s10, 0x7f
	v_cmp_ne_u32_e32 vcc, s10, v24
	v_mov_b32_e32 v52, 0x7f800001
	s_and_saveexec_b64 s[10:11], vcc
	s_cbranch_execz .LBB554_389
; %bb.388:
	v_and_b32_e32 v44, 7, v22
	v_ffbh_u32_e32 v54, v44
	v_min_u32_e32 v56, 32, v54
	v_subrev_u32_e32 v54, 28, v56
	v_lshlrev_b64 v[54:55], v54, v[22:23]
	v_and_b32_e32 v54, 7, v54
	v_cmp_gt_u32_e32 vcc, 8, v24
	v_lshrrev_b32_e32 v52, 3, v24
	v_sub_u32_e32 v22, 29, v56
	v_cndmask_b32_e32 v24, v44, v54, vcc
	v_mov_b32_e32 v44, 24
	v_cndmask_b32_e32 v22, v52, v22, vcc
	v_lshlrev_b32_sdwa v44, v44, v25 dst_sel:DWORD dst_unused:UNUSED_PAD src0_sel:DWORD src1_sel:WORD_1
	v_bfrev_b32_e32 v52, 60
	v_lshlrev_b32_e32 v24, 20, v24
	v_and_b32_e32 v44, 0x80000000, v44
	v_lshl_add_u32 v22, v22, 23, v52
	v_or3_b32 v52, v44, v22, v24
.LBB554_389:
	s_or_b64 exec, exec, s[10:11]
.LBB554_390:
	s_or_b64 exec, exec, s[8:9]
.LBB554_391:
	s_or_b64 exec, exec, s[2:3]
	s_mov_b32 s2, 0xffffff
	v_and_b32_e32 v44, 63, v0
	v_cmp_lt_u32_e32 vcc, s2, v25
	v_mov_b32_e32 v54, 0
	s_and_saveexec_b64 s[2:3], vcc
	s_cbranch_execz .LBB554_397
; %bb.392:
	v_lshrrev_b32_e32 v22, 24, v25
	s_movk_i32 s8, 0x80
	v_cmp_ne_u32_e32 vcc, s8, v22
	v_bfrev_b32_e32 v54, 1
	s_and_saveexec_b64 s[8:9], vcc
	s_cbranch_execz .LBB554_396
; %bb.393:
	v_bfe_u32 v24, v25, 24, 7
	s_movk_i32 s10, 0x7f
	v_cmp_ne_u32_e32 vcc, s10, v24
	v_mov_b32_e32 v54, 0x7f800001
	s_and_saveexec_b64 s[10:11], vcc
	s_cbranch_execz .LBB554_395
; %bb.394:
	v_and_b32_e32 v25, 7, v22
	v_ffbh_u32_e32 v54, v25
	v_min_u32_e32 v57, 32, v54
	v_subrev_u32_e32 v54, 28, v57
	v_lshlrev_b64 v[54:55], v54, v[22:23]
	v_lshrrev_b32_e32 v56, 3, v24
	v_sub_u32_e32 v55, 29, v57
	v_and_b32_e32 v54, 7, v54
	v_cmp_gt_u32_e32 vcc, 8, v24
	v_cndmask_b32_e32 v24, v56, v55, vcc
	v_cndmask_b32_e32 v25, v25, v54, vcc
	v_lshlrev_b32_e32 v22, 24, v22
	v_bfrev_b32_e32 v54, 60
	v_lshlrev_b32_e32 v25, 20, v25
	v_and_b32_e32 v22, 0x80000000, v22
	v_lshl_add_u32 v24, v24, 23, v54
	v_or3_b32 v54, v22, v24, v25
.LBB554_395:
	s_or_b64 exec, exec, s[10:11]
.LBB554_396:
	s_or_b64 exec, exec, s[8:9]
.LBB554_397:
	s_or_b64 exec, exec, s[2:3]
	v_cvt_pkrtz_f16_f32 v42, v42, v43
	v_cvt_pkrtz_f16_f32 v43, v23, v51
	s_load_dword s2, s[4:5], 0x1c
	s_mov_b32 s46, 0xff7fffff
	s_waitcnt lgkmcnt(0)
	v_mfma_f32_16x16x16f16 v[26:29], v[42:43], v[18:19], v[26:29]
	v_cvt_pkrtz_f16_f32 v18, v45, v53
	v_cvt_pkrtz_f16_f32 v19, v52, v54
	v_mov_b32_e32 v22, s2
	v_mul_f32_e32 v56, s12, v22
	v_pk_mul_f32 v[22:23], v[56:57], v[32:33] op_sel_hi:[0,1]
	v_pk_mul_f32 v[32:33], v[56:57], v[38:39] op_sel_hi:[0,1]
	v_and_b32_e32 v38, 0xc0, v0
	v_mfma_f32_16x16x16f16 v[26:29], v[18:19], v[20:21], v[26:29]
	v_add_u32_e32 v38, s18, v38
	v_lshl_or_b32 v38, v1, 2, v38
	v_or_b32_e32 v39, 1, v38
	v_pk_mul_f32 v[24:25], v[56:57], v[30:31] op_sel_hi:[0,1]
	v_pk_mul_f32 v[30:31], v[56:57], v[40:41] op_sel_hi:[0,1]
	v_subrev_u32_e32 v40, s33, v39
	v_pk_mul_f32 v[34:35], v[56:57], v[34:35] op_sel_hi:[0,1]
	s_nop 3
	v_pk_mul_f32 v[20:21], v[56:57], v[26:27] op_sel_hi:[0,1]
	v_add_u32_e32 v27, 1, v40
	v_pk_mul_f32 v[18:19], v[56:57], v[28:29] op_sel_hi:[0,1]
	v_cvt_f32_i32_e32 v27, v27
	v_add_u32_e32 v29, 3, v40
	v_cvt_f32_i32_e32 v29, v29
	v_cvt_f32_i32_e32 v26, v40
	v_pk_mul_f32 v[36:37], v[56:57], v[36:37] op_sel_hi:[0,1]
	v_fmac_f32_e32 v35, v50, v27
	v_add_u32_e32 v27, 16, v40
	v_fmac_f32_e32 v37, v50, v29
	v_cvt_f32_i32_e32 v27, v27
	v_add_u32_e32 v29, 17, v40
	v_fma_f32 v26, v50, v26, v34
	v_cvt_f32_i32_e32 v29, v29
	v_add_u32_e32 v34, 18, v40
	v_cvt_f32_i32_e32 v34, v34
	v_fma_f32 v41, v50, v27, v32
	v_add_u32_e32 v27, 32, v40
	v_fmac_f32_e32 v33, v50, v29
	v_cvt_f32_i32_e32 v27, v27
	v_add_u32_e32 v29, 33, v40
	v_add_u32_e32 v32, 34, v40
	v_fma_f32 v30, v50, v34, v30
	v_cvt_f32_i32_e32 v29, v29
	v_cvt_f32_i32_e32 v32, v32
	v_add_u32_e32 v34, 35, v40
	v_cvt_f32_i32_e32 v34, v34
	v_fma_f32 v24, v50, v27, v24
	v_add_u32_e32 v27, 48, v40
	v_fmac_f32_e32 v25, v50, v29
	v_fma_f32 v22, v50, v32, v22
	v_cvt_f32_i32_e32 v27, v27
	v_add_u32_e32 v29, 49, v40
	v_add_u32_e32 v32, 50, v40
	v_fmac_f32_e32 v23, v50, v34
	v_cvt_f32_i32_e32 v29, v29
	v_cvt_f32_i32_e32 v32, v32
	v_add_u32_e32 v34, 51, v40
	v_add_u32_e32 v28, 2, v40
	v_cvt_f32_i32_e32 v34, v34
	v_cvt_f32_i32_e32 v28, v28
	v_fma_f32 v20, v50, v27, v20
	v_mov_b32_e32 v27, 0xff7fffff
	v_cmp_gt_i32_e64 s[26:27], s33, v38
	v_cmp_gt_i32_e64 s[28:29], s33, v39
	v_fmac_f32_e32 v21, v50, v29
	v_fma_f32 v18, v50, v32, v18
	v_cndmask_b32_e64 v29, v27, v26, s[26:27]
	v_cndmask_b32_e64 v32, v27, v35, s[28:29]
	v_fmac_f32_e32 v19, v50, v34
	v_max3_f32 v29, v29, s46, v32
	v_or_b32_e32 v32, 2, v38
	v_or_b32_e32 v34, 3, v38
	v_fma_f32 v28, v50, v28, v36
	v_cmp_gt_i32_e64 s[30:31], s33, v32
	v_cmp_gt_i32_e64 s[34:35], s33, v34
	v_add_u32_e32 v36, 19, v40
	v_cndmask_b32_e64 v32, v27, v28, s[30:31]
	v_cndmask_b32_e64 v34, v27, v37, s[34:35]
	v_cvt_f32_i32_e32 v36, v36
	v_max3_f32 v29, v29, v32, v34
	v_or_b32_e32 v32, 16, v38
	v_or_b32_e32 v34, 17, v38
	v_cmp_gt_i32_e64 s[36:37], s33, v32
	v_cmp_gt_i32_e64 s[38:39], s33, v34
	v_cndmask_b32_e64 v32, v27, v41, s[36:37]
	v_cndmask_b32_e64 v34, v27, v33, s[38:39]
	v_max3_f32 v29, v29, v32, v34
	v_or_b32_e32 v32, 18, v38
	v_or_b32_e32 v34, 19, v38
	v_fmac_f32_e32 v31, v50, v36
	v_cmp_gt_i32_e64 s[20:21], s33, v32
	v_cmp_gt_i32_e64 s[22:23], s33, v34
	v_cndmask_b32_e64 v32, v27, v30, s[20:21]
	v_cndmask_b32_e64 v34, v27, v31, s[22:23]
	v_max3_f32 v29, v29, v32, v34
	v_or_b32_e32 v32, 32, v38
	v_or_b32_e32 v34, 33, v38
	v_cmp_gt_i32_e64 s[16:17], s33, v32
	v_cmp_gt_i32_e64 s[18:19], s33, v34
	v_cndmask_b32_e64 v32, v27, v24, s[16:17]
	v_cndmask_b32_e64 v34, v27, v25, s[18:19]
	v_max3_f32 v29, v29, v32, v34
	v_or_b32_e32 v32, 34, v38
	v_or_b32_e32 v34, 35, v38
	;; [unrolled: 7-line block ×4, first 2 shown]
	v_cmp_gt_i32_e32 vcc, s33, v32
	v_cmp_gt_i32_e64 s[2:3], s33, v34
	v_cndmask_b32_e32 v32, v27, v18, vcc
	v_cndmask_b32_e64 v27, v27, v19, s[2:3]
	v_max3_f32 v27, v29, v32, v27
	v_mbcnt_lo_u32_b32 v29, -1, 0
	v_mbcnt_hi_u32_b32 v29, -1, v29
	v_and_b32_e32 v32, 64, v29
	v_add_u32_e32 v32, 64, v32
	v_xor_b32_e32 v34, 32, v29
	v_cmp_lt_i32_e64 s[40:41], v34, v32
	v_cndmask_b32_e64 v34, v29, v34, s[40:41]
	v_lshlrev_b32_e32 v36, 2, v34
	ds_bpermute_b32 v34, v36, v27
	s_barrier
	s_waitcnt lgkmcnt(0)
	v_max_f32_e32 v34, v34, v34
	v_max_f32_e32 v27, v27, v34
	v_xor_b32_e32 v34, 16, v29
	v_cmp_lt_i32_e64 s[40:41], v34, v32
	v_cndmask_b32_e64 v29, v29, v34, s[40:41]
	v_lshlrev_b32_e32 v38, 2, v29
	ds_bpermute_b32 v29, v38, v27
	s_waitcnt lgkmcnt(0)
	v_max_f32_e32 v29, v29, v29
	v_max_f32_e32 v32, v27, v29
	v_sub_f32_e32 v26, v26, v32
	v_mul_f32_e32 v26, 0x3fb8aa3b, v26
	v_sub_f32_e32 v27, v35, v32
	v_exp_f32_e32 v26, v26
	v_mul_f32_e32 v27, 0x3fb8aa3b, v27
	v_sub_f32_e32 v28, v28, v32
	v_exp_f32_e32 v27, v27
	v_mul_f32_e32 v28, 0x3fb8aa3b, v28
	v_exp_f32_e32 v28, v28
	v_cndmask_b32_e64 v26, 0, v26, s[26:27]
	v_sub_f32_e32 v34, v37, v32
	v_add_f32_e32 v29, 0, v26
	v_cndmask_b32_e64 v27, 0, v27, s[28:29]
	v_mul_f32_e32 v34, 0x3fb8aa3b, v34
	v_exp_f32_e32 v35, v34
	v_add_f32_e32 v29, v29, v27
	v_cndmask_b32_e64 v34, 0, v28, s[30:31]
	v_add_f32_e32 v28, v29, v34
	v_sub_f32_e32 v29, v41, v32
	v_mul_f32_e32 v29, 0x3fb8aa3b, v29
	v_sub_f32_e32 v33, v33, v32
	v_exp_f32_e32 v29, v29
	v_mul_f32_e32 v33, 0x3fb8aa3b, v33
	v_sub_f32_e32 v30, v30, v32
	v_exp_f32_e32 v33, v33
	;; [unrolled: 3-line block ×3, first 2 shown]
	v_mul_f32_e32 v31, 0x3fb8aa3b, v31
	v_sub_f32_e32 v24, v24, v32
	v_cndmask_b32_e64 v35, 0, v35, s[34:35]
	v_exp_f32_e32 v31, v31
	v_mul_f32_e32 v24, 0x3fb8aa3b, v24
	v_sub_f32_e32 v25, v25, v32
	v_add_f32_e32 v37, v28, v35
	v_cndmask_b32_e64 v28, 0, v29, s[36:37]
	v_exp_f32_e32 v24, v24
	v_mul_f32_e32 v25, 0x3fb8aa3b, v25
	v_sub_f32_e32 v22, v22, v32
	v_add_f32_e32 v37, v37, v28
	;; [unrolled: 5-line block ×7, first 2 shown]
	v_cndmask_b32_e64 v22, 0, v22, s[12:13]
	v_exp_f32_e32 v18, v18
	v_mul_f32_e32 v19, 0x3fb8aa3b, v19
	v_add_f32_e32 v33, v33, v22
	v_cndmask_b32_e64 v23, 0, v23, s[14:15]
	v_exp_f32_e32 v19, v19
	v_add_f32_e32 v33, v33, v23
	v_cndmask_b32_e64 v20, 0, v20, s[8:9]
	v_add_f32_e32 v33, v33, v20
	v_cndmask_b32_e64 v21, 0, v21, s[10:11]
	v_add_f32_e32 v33, v33, v21
	v_cndmask_b32_e32 v18, 0, v18, vcc
	v_add_f32_e32 v33, v33, v18
	v_cndmask_b32_e64 v19, 0, v19, s[2:3]
	v_add_f32_e32 v33, v33, v19
	ds_bpermute_b32 v36, v36, v33
	v_cmp_gt_u32_e64 s[2:3], 16, v44
	s_waitcnt lgkmcnt(0)
	v_add_f32_e32 v33, v33, v36
	ds_bpermute_b32 v37, v38, v33
	v_lshlrev_b32_e32 v36, 2, v48
	s_and_saveexec_b64 s[8:9], s[2:3]
	s_cbranch_execz .LBB554_399
; %bb.398:
	s_waitcnt lgkmcnt(0)
	v_add_f32_e32 v33, v33, v37
	v_lshl_or_b32 v37, v49, 6, v36
	ds_write2st64_b32 v37, v32, v33 offset1:1
.LBB554_399:
	s_or_b64 exec, exec, s[8:9]
	s_waitcnt lgkmcnt(0)
	s_barrier
	ds_read2_b32 v[38:39], v36 offset1:16
	ds_read2_b32 v[40:41], v36 offset0:32 offset1:48
	ds_read2_b32 v[42:43], v36 offset0:64 offset1:80
	s_mul_i32 s14, s45, 13
	s_waitcnt lgkmcnt(2)
	v_max3_f32 v32, v38, s46, v39
	s_waitcnt lgkmcnt(1)
	v_max3_f32 v33, v32, v40, v41
	v_sub_f32_e32 v32, v38, v33
	v_mul_f32_e32 v32, 0x3fb8aa3b, v32
	v_exp_f32_e32 v37, v32
	v_sub_f32_e32 v32, v39, v33
	v_mul_f32_e32 v32, 0x3fb8aa3b, v32
	v_exp_f32_e32 v44, v32
	;; [unrolled: 3-line block ×3, first 2 shown]
	ds_read2_b32 v[38:39], v36 offset0:96 offset1:112
	v_sub_f32_e32 v32, v41, v33
	v_mul_f32_e32 v32, 0x3fb8aa3b, v32
	v_exp_f32_e32 v41, v32
	s_waitcnt lgkmcnt(1)
	v_fma_f32 v36, v37, v42, 0
	v_fmac_f32_e32 v36, v44, v43
	s_waitcnt lgkmcnt(0)
	v_fmac_f32_e32 v36, v40, v38
	v_fmac_f32_e32 v36, v41, v39
	v_add_f32_e32 v38, 0x358637bd, v36
	v_div_scale_f32 v39, s[8:9], v38, v38, 1.0
	v_rcp_f32_e32 v42, v39
	s_barrier
	v_fma_f32 v43, -v39, v42, 1.0
	v_fmac_f32_e32 v42, v43, v42
	v_div_scale_f32 v43, vcc, 1.0, v38, 1.0
	v_mul_f32_e32 v45, v43, v42
	v_fma_f32 v50, -v39, v45, v43
	v_fmac_f32_e32 v45, v50, v42
	v_fma_f32 v39, -v39, v45, v43
	v_div_fmas_f32 v39, v39, v42, v45
	v_cmp_eq_u32_e32 vcc, 1, v49
	v_cndmask_b32_e32 v37, v37, v44, vcc
	v_cmp_eq_u32_e32 vcc, 2, v49
	v_cndmask_b32_e32 v37, v37, v40, vcc
	v_cmp_eq_u32_e32 vcc, 3, v49
	v_div_fixup_f32 v38, v39, v38, 1.0
	v_cndmask_b32_e32 v37, v37, v41, vcc
	v_mul_f32_e32 v38, v37, v38
	v_pk_mul_f32 v[34:35], v[38:39], v[34:35] op_sel_hi:[0,1]
	v_pk_mul_f32 v[26:27], v[38:39], v[26:27] op_sel_hi:[0,1]
	v_cvt_f16_f32_e32 v26, v26
	v_cvt_f16_f32_e32 v27, v27
	;; [unrolled: 1-line block ×4, first 2 shown]
	v_pk_mul_f32 v[30:31], v[38:39], v[30:31] op_sel_hi:[0,1]
	v_pk_mul_f32 v[28:29], v[38:39], v[28:29] op_sel_hi:[0,1]
	v_cvt_f16_f32_e32 v28, v28
	v_cvt_f16_f32_e32 v29, v29
	;; [unrolled: 1-line block ×4, first 2 shown]
	v_pack_b32_f16 v34, v26, v27
	v_pack_b32_f16 v35, v37, v35
	v_lshlrev_b32_e32 v26, 3, v1
	v_lshlrev_b32_e32 v27, 5, v48
	;; [unrolled: 1-line block ×3, first 2 shown]
	v_or3_b32 v26, v37, v27, v26
	v_pack_b32_f16 v28, v28, v29
	v_pack_b32_f16 v29, v30, v31
	v_pk_mul_f32 v[22:23], v[38:39], v[22:23] op_sel_hi:[0,1]
	v_pk_mul_f32 v[24:25], v[38:39], v[24:25] op_sel_hi:[0,1]
	;; [unrolled: 1-line block ×4, first 2 shown]
	ds_write2st64_b64 v26, v[34:35], v[28:29] offset1:1
	v_cvt_f16_f32_e32 v24, v24
	v_cvt_f16_f32_e32 v25, v25
	;; [unrolled: 1-line block ×8, first 2 shown]
	v_mov_b32_e32 v32, 0
	v_pack_b32_f16 v18, v24, v25
	v_pack_b32_f16 v19, v22, v23
	;; [unrolled: 1-line block ×4, first 2 shown]
	v_cmp_gt_u32_e32 vcc, 13, v0
	ds_write2st64_b64 v26, v[18:19], v[20:21] offset0:2 offset1:3
	s_and_saveexec_b64 s[8:9], vcc
	s_cbranch_execz .LBB554_401
; %bb.400:
	v_add_co_u32_e32 v20, vcc, s25, v48
	v_addc_co_u32_e64 v21, s[10:11], 0, 0, vcc
	v_mov_b32_e32 v18, s14
	v_mov_b32_e32 v19, 0
	v_mad_u64_u32 v[20:21], s[10:11], s6, v18, v[20:21]
	v_mov_b32_e32 v18, s24
	s_load_dwordx4 s[16:19], s[4:5], 0x58
	s_mul_i32 s7, s7, s14
	v_mad_u64_u32 v[18:19], s[10:11], v20, s44, v[18:19]
	v_add_u32_e32 v21, s7, v21
	v_mov_b32_e32 v20, v19
	v_mad_u64_u32 v[20:21], s[10:11], v21, s44, v[20:21]
	v_mov_b32_e32 v19, v20
	v_lshlrev_b64 v[18:19], 2, v[18:19]
	s_waitcnt lgkmcnt(0)
	v_mov_b32_e32 v21, s19
	v_add_co_u32_e32 v20, vcc, s18, v18
	v_addc_co_u32_e32 v21, vcc, v21, v19, vcc
	global_store_dword v[20:21], v33, off
	v_mov_b32_e32 v20, s17
	v_add_co_u32_e32 v18, vcc, s16, v18
	v_addc_co_u32_e32 v19, vcc, v20, v19, vcc
	global_store_dword v[18:19], v36, off
.LBB554_401:
	s_or_b64 exec, exec, s[8:9]
	v_mov_b32_e32 v19, 0
	s_waitcnt vmcnt(3)
	v_cmp_ne_u16_sdwa s[10:11], v14, v19 src0_sel:BYTE_0 src1_sel:DWORD
	s_waitcnt lgkmcnt(0)
	s_barrier
	s_and_saveexec_b64 s[8:9], s[10:11]
	s_cbranch_execz .LBB554_407
; %bb.402:
	s_movk_i32 s7, 0x80
	v_cmp_ne_u16_sdwa s[12:13], v14, s7 src0_sel:BYTE_0 src1_sel:DWORD
	v_bfrev_b32_e32 v32, 1
	s_and_saveexec_b64 s[10:11], s[12:13]
	s_cbranch_execz .LBB554_406
; %bb.403:
	s_movk_i32 s7, 0x7f
	v_and_b32_e32 v18, 0x7f, v14
	v_cmp_ne_u32_e32 vcc, s7, v18
	v_mov_b32_e32 v32, 0x7f800001
	s_and_saveexec_b64 s[12:13], vcc
	s_cbranch_execz .LBB554_405
; %bb.404:
	v_and_b32_e32 v22, 7, v14
	v_ffbh_u32_e32 v20, v22
	v_min_u32_e32 v24, 32, v20
	v_subrev_u32_e32 v20, 28, v24
	v_lshlrev_b64 v[20:21], v20, v[14:15]
	v_lshrrev_b32_e32 v23, 3, v18
	v_sub_u32_e32 v21, 29, v24
	v_and_b32_e32 v20, 7, v20
	v_cmp_gt_u32_e32 vcc, 8, v18
	v_cndmask_b32_e32 v18, v23, v21, vcc
	v_cndmask_b32_e32 v20, v22, v20, vcc
	v_lshlrev_b32_e32 v21, 24, v14
	v_bfrev_b32_e32 v22, 60
	v_lshlrev_b32_e32 v20, 20, v20
	v_and_b32_e32 v21, 0x80000000, v21
	v_lshl_add_u32 v18, v18, 23, v22
	v_or3_b32 v32, v21, v18, v20
.LBB554_405:
	s_or_b64 exec, exec, s[12:13]
.LBB554_406:
	s_or_b64 exec, exec, s[10:11]
.LBB554_407:
	s_or_b64 exec, exec, s[8:9]
	v_lshrrev_b16_e32 v18, 8, v14
	v_cmp_ne_u16_e32 vcc, 0, v18
	v_mov_b32_e32 v20, 0
	s_and_saveexec_b64 s[8:9], vcc
	s_cbranch_execz .LBB554_413
; %bb.408:
	s_movk_i32 s7, 0x80
	v_cmp_ne_u16_e32 vcc, s7, v18
	v_bfrev_b32_e32 v20, 1
	s_and_saveexec_b64 s[10:11], vcc
	s_cbranch_execz .LBB554_412
; %bb.409:
	s_movk_i32 s7, 0x7f
	v_and_b32_e32 v21, 0x7f, v18
	v_cmp_ne_u32_e32 vcc, s7, v21
	v_mov_b32_e32 v20, 0x7f800001
	s_and_saveexec_b64 s[12:13], vcc
	s_cbranch_execz .LBB554_411
; %bb.410:
	v_and_b32_e32 v20, 7, v18
	v_ffbh_u32_e32 v22, v20
	v_min_u32_e32 v25, 32, v22
	v_subrev_u32_e32 v22, 28, v25
	v_lshlrev_b64 v[22:23], v22, v[18:19]
	v_lshrrev_b32_e32 v24, 3, v21
	v_sub_u32_e32 v18, 29, v25
	v_and_b32_e32 v22, 7, v22
	v_cmp_gt_u32_e32 vcc, 8, v21
	v_cndmask_b32_e32 v18, v24, v18, vcc
	v_cndmask_b32_e32 v20, v20, v22, vcc
	v_lshlrev_b32_e32 v21, 16, v14
	v_bfrev_b32_e32 v22, 60
	v_lshlrev_b32_e32 v20, 20, v20
	v_and_b32_e32 v21, 0x80000000, v21
	v_lshl_add_u32 v18, v18, 23, v22
	v_or3_b32 v20, v21, v18, v20
.LBB554_411:
	s_or_b64 exec, exec, s[12:13]
.LBB554_412:
	s_or_b64 exec, exec, s[10:11]
.LBB554_413:
	s_or_b64 exec, exec, s[8:9]
	s_movk_i32 s7, 0xff
	v_and_b32_sdwa v21, v14, s7 dst_sel:DWORD dst_unused:UNUSED_PAD src0_sel:WORD_1 src1_sel:DWORD
	v_lshrrev_b32_e32 v18, 16, v14
	v_cmp_ne_u16_e32 vcc, 0, v21
	s_and_saveexec_b64 s[8:9], vcc
	s_cbranch_execz .LBB554_419
; %bb.414:
	s_movk_i32 s7, 0x80
	v_cmp_ne_u16_e32 vcc, s7, v21
	v_bfrev_b32_e32 v19, 1
	s_and_saveexec_b64 s[10:11], vcc
	s_cbranch_execz .LBB554_418
; %bb.415:
	v_bfe_u32 v21, v14, 16, 7
	s_movk_i32 s7, 0x7f
	v_cmp_ne_u32_e32 vcc, s7, v21
	v_mov_b32_e32 v19, 0x7f800001
	s_and_saveexec_b64 s[12:13], vcc
	s_cbranch_execz .LBB554_417
; %bb.416:
	v_and_b32_e32 v22, 7, v18
	v_ffbh_u32_e32 v19, v22
	v_min_u32_e32 v24, 32, v19
	v_subrev_u32_e32 v19, 28, v24
	v_lshlrev_b64 v[18:19], v19, v[18:19]
	v_lshrrev_b32_e32 v23, 3, v21
	v_sub_u32_e32 v19, 29, v24
	v_and_b32_e32 v18, 7, v18
	v_cmp_gt_u32_e32 vcc, 8, v21
	v_mov_b32_e32 v21, 24
	v_cndmask_b32_e32 v19, v23, v19, vcc
	v_cndmask_b32_e32 v18, v22, v18, vcc
	v_lshlrev_b32_sdwa v21, v21, v14 dst_sel:DWORD dst_unused:UNUSED_PAD src0_sel:DWORD src1_sel:WORD_1
	v_bfrev_b32_e32 v22, 60
	v_lshlrev_b32_e32 v18, 20, v18
	v_and_b32_e32 v21, 0x80000000, v21
	v_lshl_add_u32 v19, v19, 23, v22
	v_or3_b32 v19, v21, v19, v18
.LBB554_417:
	s_or_b64 exec, exec, s[12:13]
.LBB554_418:
	s_or_b64 exec, exec, s[10:11]
.LBB554_419:
	s_or_b64 exec, exec, s[8:9]
	s_mov_b32 s7, 0xffffff
	v_cmp_lt_u32_e32 vcc, s7, v14
	v_mov_b32_e32 v21, 0
	v_mov_b32_e32 v22, 0
	s_and_saveexec_b64 s[8:9], vcc
	s_cbranch_execz .LBB554_425
; %bb.420:
	v_lshrrev_b32_e32 v18, 24, v14
	s_movk_i32 s7, 0x80
	v_cmp_ne_u32_e32 vcc, s7, v18
	v_bfrev_b32_e32 v22, 1
	s_and_saveexec_b64 s[10:11], vcc
	s_cbranch_execz .LBB554_424
; %bb.421:
	v_bfe_u32 v14, v14, 24, 7
	s_movk_i32 s7, 0x7f
	v_cmp_ne_u32_e32 vcc, s7, v14
	v_mov_b32_e32 v22, 0x7f800001
	s_and_saveexec_b64 s[12:13], vcc
	s_cbranch_execz .LBB554_423
; %bb.422:
	v_and_b32_e32 v24, 7, v18
	v_ffbh_u32_e32 v22, v24
	v_min_u32_e32 v28, 32, v22
	v_subrev_u32_e32 v22, 28, v28
	v_lshlrev_b64 v[22:23], v22, v[18:19]
	v_lshrrev_b32_e32 v25, 3, v14
	v_sub_u32_e32 v23, 29, v28
	v_and_b32_e32 v22, 7, v22
	v_cmp_gt_u32_e32 vcc, 8, v14
	v_cndmask_b32_e32 v14, v25, v23, vcc
	v_cndmask_b32_e32 v22, v24, v22, vcc
	v_lshlrev_b32_e32 v18, 24, v18
	v_bfrev_b32_e32 v23, 60
	v_lshlrev_b32_e32 v22, 20, v22
	v_and_b32_e32 v18, 0x80000000, v18
	v_lshl_add_u32 v14, v14, 23, v23
	v_or3_b32 v22, v18, v14, v22
.LBB554_423:
	s_or_b64 exec, exec, s[12:13]
.LBB554_424:
	s_or_b64 exec, exec, s[10:11]
.LBB554_425:
	s_or_b64 exec, exec, s[8:9]
	v_cmp_ne_u16_sdwa s[10:11], v15, v21 src0_sel:BYTE_0 src1_sel:DWORD
	s_and_saveexec_b64 s[8:9], s[10:11]
	s_cbranch_execz .LBB554_431
; %bb.426:
	s_movk_i32 s7, 0x80
	v_cmp_ne_u16_sdwa s[12:13], v15, s7 src0_sel:BYTE_0 src1_sel:DWORD
	v_bfrev_b32_e32 v21, 1
	s_and_saveexec_b64 s[10:11], s[12:13]
	s_cbranch_execz .LBB554_430
; %bb.427:
	s_movk_i32 s7, 0x7f
	v_and_b32_e32 v14, 0x7f, v15
	v_cmp_ne_u32_e32 vcc, s7, v14
	v_mov_b32_e32 v21, 0x7f800001
	s_and_saveexec_b64 s[12:13], vcc
	s_cbranch_execz .LBB554_429
; %bb.428:
	v_and_b32_e32 v21, 7, v15
	v_ffbh_u32_e32 v24, v21
	v_min_u32_e32 v28, 32, v24
	v_mov_b32_e32 v18, v15
	v_subrev_u32_e32 v24, 28, v28
	v_lshlrev_b64 v[24:25], v24, v[18:19]
	v_lshrrev_b32_e32 v23, 3, v14
	v_sub_u32_e32 v18, 29, v28
	v_and_b32_e32 v24, 7, v24
	v_cmp_gt_u32_e32 vcc, 8, v14
	v_cndmask_b32_e32 v14, v23, v18, vcc
	v_cndmask_b32_e32 v18, v21, v24, vcc
	v_lshlrev_b32_e32 v21, 24, v15
	v_bfrev_b32_e32 v23, 60
	v_lshlrev_b32_e32 v18, 20, v18
	v_and_b32_e32 v21, 0x80000000, v21
	v_lshl_add_u32 v14, v14, 23, v23
	v_or3_b32 v21, v21, v14, v18
.LBB554_429:
	s_or_b64 exec, exec, s[12:13]
.LBB554_430:
	s_or_b64 exec, exec, s[10:11]
.LBB554_431:
	s_or_b64 exec, exec, s[8:9]
	v_lshrrev_b16_e32 v14, 8, v15
	v_cmp_ne_u16_e32 vcc, 0, v14
	v_mov_b32_e32 v18, 0
	v_mov_b32_e32 v24, 0
	s_and_saveexec_b64 s[8:9], vcc
	s_cbranch_execz .LBB554_437
; %bb.432:
	s_movk_i32 s7, 0x80
	v_cmp_ne_u16_e32 vcc, s7, v14
	v_bfrev_b32_e32 v24, 1
	s_and_saveexec_b64 s[10:11], vcc
	s_cbranch_execz .LBB554_436
; %bb.433:
	s_movk_i32 s7, 0x7f
	v_and_b32_e32 v23, 0x7f, v14
	v_cmp_ne_u32_e32 vcc, s7, v23
	v_mov_b32_e32 v24, 0x7f800001
	s_and_saveexec_b64 s[12:13], vcc
	s_cbranch_execz .LBB554_435
; %bb.434:
	v_and_b32_e32 v28, 7, v14
	v_ffbh_u32_e32 v24, v28
	v_min_u32_e32 v30, 32, v24
	v_subrev_u32_e32 v24, 28, v30
	v_lshlrev_b64 v[24:25], v24, v[14:15]
	v_lshrrev_b32_e32 v29, 3, v23
	v_sub_u32_e32 v14, 29, v30
	v_and_b32_e32 v24, 7, v24
	v_cmp_gt_u32_e32 vcc, 8, v23
	v_cndmask_b32_e32 v14, v29, v14, vcc
	v_cndmask_b32_e32 v23, v28, v24, vcc
	v_lshlrev_b32_e32 v24, 16, v15
	v_bfrev_b32_e32 v25, 60
	v_lshlrev_b32_e32 v23, 20, v23
	v_and_b32_e32 v24, 0x80000000, v24
	v_lshl_add_u32 v14, v14, 23, v25
	v_or3_b32 v24, v24, v14, v23
.LBB554_435:
	s_or_b64 exec, exec, s[12:13]
.LBB554_436:
	s_or_b64 exec, exec, s[10:11]
.LBB554_437:
	s_or_b64 exec, exec, s[8:9]
	s_movk_i32 s7, 0xff
	v_and_b32_sdwa v23, v15, s7 dst_sel:DWORD dst_unused:UNUSED_PAD src0_sel:WORD_1 src1_sel:DWORD
	v_lshrrev_b32_e32 v14, 16, v15
	v_cmp_ne_u16_e32 vcc, 0, v23
	s_and_saveexec_b64 s[8:9], vcc
	s_cbranch_execz .LBB554_443
; %bb.438:
	s_movk_i32 s7, 0x80
	v_cmp_ne_u16_e32 vcc, s7, v23
	v_bfrev_b32_e32 v18, 1
	s_and_saveexec_b64 s[10:11], vcc
	s_cbranch_execz .LBB554_442
; %bb.439:
	v_bfe_u32 v23, v15, 16, 7
	s_movk_i32 s7, 0x7f
	v_cmp_ne_u32_e32 vcc, s7, v23
	v_mov_b32_e32 v18, 0x7f800001
	s_and_saveexec_b64 s[12:13], vcc
	s_cbranch_execz .LBB554_441
; %bb.440:
	v_and_b32_e32 v18, 7, v14
	v_ffbh_u32_e32 v28, v18
	v_min_u32_e32 v30, 32, v28
	v_subrev_u32_e32 v28, 28, v30
	v_lshlrev_b64 v[28:29], v28, v[14:15]
	v_lshrrev_b32_e32 v25, 3, v23
	v_sub_u32_e32 v14, 29, v30
	v_and_b32_e32 v28, 7, v28
	v_cmp_gt_u32_e32 vcc, 8, v23
	v_mov_b32_e32 v23, 24
	v_cndmask_b32_e32 v14, v25, v14, vcc
	v_cndmask_b32_e32 v18, v18, v28, vcc
	v_lshlrev_b32_sdwa v23, v23, v15 dst_sel:DWORD dst_unused:UNUSED_PAD src0_sel:DWORD src1_sel:WORD_1
	v_bfrev_b32_e32 v25, 60
	v_lshlrev_b32_e32 v18, 20, v18
	v_and_b32_e32 v23, 0x80000000, v23
	v_lshl_add_u32 v14, v14, 23, v25
	v_or3_b32 v18, v23, v14, v18
.LBB554_441:
	s_or_b64 exec, exec, s[12:13]
.LBB554_442:
	s_or_b64 exec, exec, s[10:11]
.LBB554_443:
	s_or_b64 exec, exec, s[8:9]
	s_mov_b32 s7, 0xffffff
	v_cmp_lt_u32_e32 vcc, s7, v15
	v_mov_b32_e32 v23, 0
	v_mov_b32_e32 v25, 0
	s_and_saveexec_b64 s[8:9], vcc
	s_cbranch_execz .LBB554_449
; %bb.444:
	v_lshrrev_b32_e32 v14, 24, v15
	s_movk_i32 s7, 0x80
	v_cmp_ne_u32_e32 vcc, s7, v14
	v_bfrev_b32_e32 v25, 1
	s_and_saveexec_b64 s[10:11], vcc
	s_cbranch_execz .LBB554_448
; %bb.445:
	v_bfe_u32 v15, v15, 24, 7
	s_movk_i32 s7, 0x7f
	v_cmp_ne_u32_e32 vcc, s7, v15
	v_mov_b32_e32 v25, 0x7f800001
	s_and_saveexec_b64 s[12:13], vcc
	s_cbranch_execz .LBB554_447
; %bb.446:
	v_and_b32_e32 v25, 7, v14
	v_ffbh_u32_e32 v28, v25
	v_min_u32_e32 v31, 32, v28
	v_subrev_u32_e32 v28, 28, v31
	v_lshlrev_b64 v[28:29], v28, v[14:15]
	v_lshrrev_b32_e32 v30, 3, v15
	v_sub_u32_e32 v29, 29, v31
	v_and_b32_e32 v28, 7, v28
	v_cmp_gt_u32_e32 vcc, 8, v15
	v_cndmask_b32_e32 v15, v30, v29, vcc
	v_cndmask_b32_e32 v25, v25, v28, vcc
	v_lshlrev_b32_e32 v14, 24, v14
	v_bfrev_b32_e32 v28, 60
	v_lshlrev_b32_e32 v25, 20, v25
	v_and_b32_e32 v14, 0x80000000, v14
	v_lshl_add_u32 v15, v15, 23, v28
	v_or3_b32 v25, v14, v15, v25
.LBB554_447:
	s_or_b64 exec, exec, s[12:13]
.LBB554_448:
	s_or_b64 exec, exec, s[10:11]
.LBB554_449:
	s_or_b64 exec, exec, s[8:9]
	v_cvt_pkrtz_f16_f32 v15, v19, v22
	v_lshl_or_b32 v22, v1, 9, v27
	v_cvt_pkrtz_f16_f32 v14, v32, v20
	ds_read_b128 v[28:31], v22
	v_cmp_ne_u16_sdwa s[10:11], v16, v23 src0_sel:BYTE_0 src1_sel:DWORD
	s_waitcnt lgkmcnt(0)
	v_mfma_f32_16x16x16f16 v[32:35], v[14:15], v[28:29], 0
	v_cvt_pkrtz_f16_f32 v14, v21, v24
	v_cvt_pkrtz_f16_f32 v15, v18, v25
	s_nop 1
	v_mfma_f32_16x16x16f16 v[18:21], v[14:15], v[30:31], v[32:35]
	s_and_saveexec_b64 s[8:9], s[10:11]
	s_cbranch_execz .LBB554_455
; %bb.450:
	s_movk_i32 s7, 0x80
	v_cmp_ne_u16_sdwa s[12:13], v16, s7 src0_sel:BYTE_0 src1_sel:DWORD
	v_bfrev_b32_e32 v23, 1
	s_and_saveexec_b64 s[10:11], s[12:13]
	s_cbranch_execz .LBB554_454
; %bb.451:
	s_movk_i32 s7, 0x7f
	v_and_b32_e32 v14, 0x7f, v16
	v_cmp_ne_u32_e32 vcc, s7, v14
	v_mov_b32_e32 v23, 0x7f800001
	s_and_saveexec_b64 s[12:13], vcc
	s_cbranch_execz .LBB554_453
; %bb.452:
	v_and_b32_e32 v15, 7, v16
	v_ffbh_u32_e32 v24, v15
	v_min_u32_e32 v27, 32, v24
	v_subrev_u32_e32 v24, 28, v27
	v_lshlrev_b64 v[24:25], v24, v[16:17]
	v_lshrrev_b32_e32 v23, 3, v14
	v_sub_u32_e32 v25, 29, v27
	v_and_b32_e32 v24, 7, v24
	v_cmp_gt_u32_e32 vcc, 8, v14
	v_cndmask_b32_e32 v14, v23, v25, vcc
	v_cndmask_b32_e32 v15, v15, v24, vcc
	v_lshlrev_b32_e32 v23, 24, v16
	v_bfrev_b32_e32 v24, 60
	v_lshlrev_b32_e32 v15, 20, v15
	v_and_b32_e32 v23, 0x80000000, v23
	v_lshl_add_u32 v14, v14, 23, v24
	v_or3_b32 v23, v23, v14, v15
.LBB554_453:
	s_or_b64 exec, exec, s[12:13]
.LBB554_454:
	s_or_b64 exec, exec, s[10:11]
.LBB554_455:
	s_or_b64 exec, exec, s[8:9]
	v_lshrrev_b16_e32 v14, 8, v16
	v_cmp_ne_u16_e32 vcc, 0, v14
	v_mov_b32_e32 v15, 0
	v_mov_b32_e32 v25, 0
	s_and_saveexec_b64 s[8:9], vcc
	s_cbranch_execz .LBB554_461
; %bb.456:
	s_movk_i32 s7, 0x80
	v_cmp_ne_u16_e32 vcc, s7, v14
	v_bfrev_b32_e32 v25, 1
	s_and_saveexec_b64 s[10:11], vcc
	s_cbranch_execz .LBB554_460
; %bb.457:
	s_movk_i32 s7, 0x7f
	v_and_b32_e32 v24, 0x7f, v14
	v_cmp_ne_u32_e32 vcc, s7, v24
	v_mov_b32_e32 v25, 0x7f800001
	s_and_saveexec_b64 s[12:13], vcc
	s_cbranch_execz .LBB554_459
; %bb.458:
	v_and_b32_e32 v25, 7, v14
	v_ffbh_u32_e32 v28, v25
	v_min_u32_e32 v30, 32, v28
	v_subrev_u32_e32 v28, 28, v30
	v_lshlrev_b64 v[28:29], v28, v[14:15]
	v_lshrrev_b32_e32 v27, 3, v24
	v_sub_u32_e32 v14, 29, v30
	v_and_b32_e32 v28, 7, v28
	v_cmp_gt_u32_e32 vcc, 8, v24
	v_cndmask_b32_e32 v14, v27, v14, vcc
	v_cndmask_b32_e32 v24, v25, v28, vcc
	v_lshlrev_b32_e32 v25, 16, v16
	v_bfrev_b32_e32 v27, 60
	v_lshlrev_b32_e32 v24, 20, v24
	v_and_b32_e32 v25, 0x80000000, v25
	v_lshl_add_u32 v14, v14, 23, v27
	v_or3_b32 v25, v25, v14, v24
.LBB554_459:
	s_or_b64 exec, exec, s[12:13]
.LBB554_460:
	s_or_b64 exec, exec, s[10:11]
.LBB554_461:
	s_or_b64 exec, exec, s[8:9]
	s_movk_i32 s7, 0xff
	v_and_b32_sdwa v24, v16, s7 dst_sel:DWORD dst_unused:UNUSED_PAD src0_sel:WORD_1 src1_sel:DWORD
	v_lshrrev_b32_e32 v14, 16, v16
	v_cmp_ne_u16_e32 vcc, 0, v24
	s_and_saveexec_b64 s[8:9], vcc
	s_cbranch_execz .LBB554_467
; %bb.462:
	s_movk_i32 s7, 0x80
	v_cmp_ne_u16_e32 vcc, s7, v24
	v_bfrev_b32_e32 v15, 1
	s_and_saveexec_b64 s[10:11], vcc
	s_cbranch_execz .LBB554_466
; %bb.463:
	v_bfe_u32 v24, v16, 16, 7
	s_movk_i32 s7, 0x7f
	v_cmp_ne_u32_e32 vcc, s7, v24
	v_mov_b32_e32 v15, 0x7f800001
	s_and_saveexec_b64 s[12:13], vcc
	s_cbranch_execz .LBB554_465
; %bb.464:
	v_and_b32_e32 v27, 7, v14
	v_ffbh_u32_e32 v15, v27
	v_min_u32_e32 v29, 32, v15
	v_subrev_u32_e32 v15, 28, v29
	v_lshlrev_b64 v[14:15], v15, v[14:15]
	v_lshrrev_b32_e32 v28, 3, v24
	v_sub_u32_e32 v15, 29, v29
	v_and_b32_e32 v14, 7, v14
	v_cmp_gt_u32_e32 vcc, 8, v24
	v_mov_b32_e32 v24, 24
	v_cndmask_b32_e32 v15, v28, v15, vcc
	v_cndmask_b32_e32 v14, v27, v14, vcc
	v_lshlrev_b32_sdwa v24, v24, v16 dst_sel:DWORD dst_unused:UNUSED_PAD src0_sel:DWORD src1_sel:WORD_1
	v_bfrev_b32_e32 v27, 60
	v_lshlrev_b32_e32 v14, 20, v14
	v_and_b32_e32 v24, 0x80000000, v24
	v_lshl_add_u32 v15, v15, 23, v27
	v_or3_b32 v15, v24, v15, v14
.LBB554_465:
	s_or_b64 exec, exec, s[12:13]
.LBB554_466:
	s_or_b64 exec, exec, s[10:11]
.LBB554_467:
	s_or_b64 exec, exec, s[8:9]
	s_mov_b32 s7, 0xffffff
	v_cmp_lt_u32_e32 vcc, s7, v16
	v_mov_b32_e32 v27, 0
	v_mov_b32_e32 v28, 0
	s_and_saveexec_b64 s[8:9], vcc
	s_cbranch_execz .LBB554_473
; %bb.468:
	v_lshrrev_b32_e32 v14, 24, v16
	s_movk_i32 s7, 0x80
	v_cmp_ne_u32_e32 vcc, s7, v14
	v_bfrev_b32_e32 v28, 1
	s_and_saveexec_b64 s[10:11], vcc
	s_cbranch_execz .LBB554_472
; %bb.469:
	v_bfe_u32 v16, v16, 24, 7
	s_movk_i32 s7, 0x7f
	v_cmp_ne_u32_e32 vcc, s7, v16
	v_mov_b32_e32 v28, 0x7f800001
	s_and_saveexec_b64 s[12:13], vcc
	s_cbranch_execz .LBB554_471
; %bb.470:
	v_and_b32_e32 v24, 7, v14
	v_ffbh_u32_e32 v28, v24
	v_min_u32_e32 v31, 32, v28
	v_subrev_u32_e32 v28, 28, v31
	v_lshlrev_b64 v[28:29], v28, v[14:15]
	v_lshrrev_b32_e32 v30, 3, v16
	v_sub_u32_e32 v29, 29, v31
	v_and_b32_e32 v28, 7, v28
	v_cmp_gt_u32_e32 vcc, 8, v16
	v_cndmask_b32_e32 v16, v30, v29, vcc
	v_cndmask_b32_e32 v24, v24, v28, vcc
	v_lshlrev_b32_e32 v14, 24, v14
	v_bfrev_b32_e32 v28, 60
	v_lshlrev_b32_e32 v24, 20, v24
	v_and_b32_e32 v14, 0x80000000, v14
	v_lshl_add_u32 v16, v16, 23, v28
	v_or3_b32 v28, v14, v16, v24
.LBB554_471:
	s_or_b64 exec, exec, s[12:13]
.LBB554_472:
	s_or_b64 exec, exec, s[10:11]
.LBB554_473:
	s_or_b64 exec, exec, s[8:9]
	v_cmp_ne_u16_sdwa s[10:11], v17, v27 src0_sel:BYTE_0 src1_sel:DWORD
	s_and_saveexec_b64 s[8:9], s[10:11]
	s_cbranch_execz .LBB554_479
; %bb.474:
	s_movk_i32 s7, 0x80
	v_cmp_ne_u16_sdwa s[12:13], v17, s7 src0_sel:BYTE_0 src1_sel:DWORD
	v_bfrev_b32_e32 v27, 1
	s_and_saveexec_b64 s[10:11], s[12:13]
	s_cbranch_execz .LBB554_478
; %bb.475:
	s_movk_i32 s7, 0x7f
	v_and_b32_e32 v14, 0x7f, v17
	v_cmp_ne_u32_e32 vcc, s7, v14
	v_mov_b32_e32 v27, 0x7f800001
	s_and_saveexec_b64 s[12:13], vcc
	s_cbranch_execz .LBB554_477
; %bb.476:
	v_and_b32_e32 v24, 7, v17
	v_ffbh_u32_e32 v29, v24
	v_min_u32_e32 v29, 32, v29
	v_mov_b32_e32 v16, v17
	v_subrev_u32_e32 v30, 28, v29
	v_lshlrev_b64 v[30:31], v30, v[16:17]
	v_lshrrev_b32_e32 v27, 3, v14
	v_sub_u32_e32 v16, 29, v29
	v_and_b32_e32 v29, 7, v30
	v_cmp_gt_u32_e32 vcc, 8, v14
	v_cndmask_b32_e32 v14, v27, v16, vcc
	v_cndmask_b32_e32 v16, v24, v29, vcc
	v_lshlrev_b32_e32 v24, 24, v17
	v_bfrev_b32_e32 v27, 60
	v_lshlrev_b32_e32 v16, 20, v16
	v_and_b32_e32 v24, 0x80000000, v24
	v_lshl_add_u32 v14, v14, 23, v27
	v_or3_b32 v27, v24, v14, v16
.LBB554_477:
	s_or_b64 exec, exec, s[12:13]
.LBB554_478:
	s_or_b64 exec, exec, s[10:11]
.LBB554_479:
	s_or_b64 exec, exec, s[8:9]
	v_lshrrev_b16_e32 v14, 8, v17
	v_cmp_ne_u16_e32 vcc, 0, v14
	v_mov_b32_e32 v16, 0
	v_mov_b32_e32 v29, 0
	s_and_saveexec_b64 s[8:9], vcc
	s_cbranch_execz .LBB554_485
; %bb.480:
	s_movk_i32 s7, 0x80
	v_cmp_ne_u16_e32 vcc, s7, v14
	v_bfrev_b32_e32 v29, 1
	s_and_saveexec_b64 s[10:11], vcc
	s_cbranch_execz .LBB554_484
; %bb.481:
	s_movk_i32 s7, 0x7f
	v_and_b32_e32 v24, 0x7f, v14
	v_cmp_ne_u32_e32 vcc, s7, v24
	v_mov_b32_e32 v29, 0x7f800001
	s_and_saveexec_b64 s[12:13], vcc
	s_cbranch_execz .LBB554_483
; %bb.482:
	v_and_b32_e32 v29, 7, v14
	v_ffbh_u32_e32 v30, v29
	v_min_u32_e32 v33, 32, v30
	v_subrev_u32_e32 v30, 28, v33
	v_lshlrev_b64 v[30:31], v30, v[14:15]
	v_lshrrev_b32_e32 v32, 3, v24
	v_sub_u32_e32 v14, 29, v33
	v_and_b32_e32 v30, 7, v30
	v_cmp_gt_u32_e32 vcc, 8, v24
	v_cndmask_b32_e32 v14, v32, v14, vcc
	v_cndmask_b32_e32 v24, v29, v30, vcc
	v_lshlrev_b32_e32 v29, 16, v17
	v_bfrev_b32_e32 v30, 60
	v_lshlrev_b32_e32 v24, 20, v24
	v_and_b32_e32 v29, 0x80000000, v29
	v_lshl_add_u32 v14, v14, 23, v30
	v_or3_b32 v29, v29, v14, v24
.LBB554_483:
	s_or_b64 exec, exec, s[12:13]
.LBB554_484:
	s_or_b64 exec, exec, s[10:11]
.LBB554_485:
	s_or_b64 exec, exec, s[8:9]
	s_movk_i32 s7, 0xff
	v_and_b32_sdwa v24, v17, s7 dst_sel:DWORD dst_unused:UNUSED_PAD src0_sel:WORD_1 src1_sel:DWORD
	v_lshrrev_b32_e32 v14, 16, v17
	v_cmp_ne_u16_e32 vcc, 0, v24
	s_and_saveexec_b64 s[8:9], vcc
	s_cbranch_execz .LBB554_491
; %bb.486:
	s_movk_i32 s7, 0x80
	v_cmp_ne_u16_e32 vcc, s7, v24
	v_bfrev_b32_e32 v16, 1
	s_and_saveexec_b64 s[10:11], vcc
	s_cbranch_execz .LBB554_490
; %bb.487:
	v_bfe_u32 v24, v17, 16, 7
	s_movk_i32 s7, 0x7f
	v_cmp_ne_u32_e32 vcc, s7, v24
	v_mov_b32_e32 v16, 0x7f800001
	s_and_saveexec_b64 s[12:13], vcc
	s_cbranch_execz .LBB554_489
; %bb.488:
	v_and_b32_e32 v16, 7, v14
	v_ffbh_u32_e32 v30, v16
	v_min_u32_e32 v33, 32, v30
	v_subrev_u32_e32 v30, 28, v33
	v_lshlrev_b64 v[30:31], v30, v[14:15]
	v_lshrrev_b32_e32 v32, 3, v24
	v_sub_u32_e32 v14, 29, v33
	v_and_b32_e32 v30, 7, v30
	v_cmp_gt_u32_e32 vcc, 8, v24
	v_mov_b32_e32 v24, 24
	v_cndmask_b32_e32 v14, v32, v14, vcc
	v_cndmask_b32_e32 v16, v16, v30, vcc
	v_lshlrev_b32_sdwa v24, v24, v17 dst_sel:DWORD dst_unused:UNUSED_PAD src0_sel:DWORD src1_sel:WORD_1
	v_bfrev_b32_e32 v30, 60
	v_lshlrev_b32_e32 v16, 20, v16
	v_and_b32_e32 v24, 0x80000000, v24
	v_lshl_add_u32 v14, v14, 23, v30
	v_or3_b32 v16, v24, v14, v16
.LBB554_489:
	s_or_b64 exec, exec, s[12:13]
.LBB554_490:
	s_or_b64 exec, exec, s[10:11]
.LBB554_491:
	s_or_b64 exec, exec, s[8:9]
	s_mov_b32 s7, 0xffffff
	v_cmp_lt_u32_e32 vcc, s7, v17
	v_mov_b32_e32 v24, 0
	v_mov_b32_e32 v30, 0
	s_and_saveexec_b64 s[8:9], vcc
	s_cbranch_execz .LBB554_497
; %bb.492:
	v_lshrrev_b32_e32 v14, 24, v17
	s_movk_i32 s7, 0x80
	v_cmp_ne_u32_e32 vcc, s7, v14
	v_bfrev_b32_e32 v30, 1
	s_and_saveexec_b64 s[10:11], vcc
	s_cbranch_execz .LBB554_496
; %bb.493:
	v_bfe_u32 v17, v17, 24, 7
	s_movk_i32 s7, 0x7f
	v_cmp_ne_u32_e32 vcc, s7, v17
	v_mov_b32_e32 v30, 0x7f800001
	s_and_saveexec_b64 s[12:13], vcc
	s_cbranch_execz .LBB554_495
; %bb.494:
	v_and_b32_e32 v32, 7, v14
	v_ffbh_u32_e32 v30, v32
	v_min_u32_e32 v34, 32, v30
	v_subrev_u32_e32 v30, 28, v34
	v_lshlrev_b64 v[30:31], v30, v[14:15]
	v_lshrrev_b32_e32 v33, 3, v17
	v_sub_u32_e32 v31, 29, v34
	v_and_b32_e32 v30, 7, v30
	v_cmp_gt_u32_e32 vcc, 8, v17
	v_cndmask_b32_e32 v17, v33, v31, vcc
	v_cndmask_b32_e32 v30, v32, v30, vcc
	v_lshlrev_b32_e32 v14, 24, v14
	v_bfrev_b32_e32 v31, 60
	v_lshlrev_b32_e32 v30, 20, v30
	v_and_b32_e32 v14, 0x80000000, v14
	v_lshl_add_u32 v17, v17, 23, v31
	v_or3_b32 v30, v14, v17, v30
.LBB554_495:
	s_or_b64 exec, exec, s[12:13]
.LBB554_496:
	s_or_b64 exec, exec, s[10:11]
.LBB554_497:
	s_or_b64 exec, exec, s[8:9]
	v_cvt_pkrtz_f16_f32 v14, v23, v25
	v_cvt_pkrtz_f16_f32 v15, v15, v28
	ds_read_b128 v[32:35], v22 offset:16
	s_waitcnt vmcnt(2)
	v_cmp_ne_u16_sdwa s[10:11], v10, v24 src0_sel:BYTE_0 src1_sel:DWORD
	s_waitcnt lgkmcnt(0)
	v_mfma_f32_16x16x16f16 v[18:21], v[14:15], v[32:33], v[18:21]
	v_cvt_pkrtz_f16_f32 v14, v27, v29
	v_cvt_pkrtz_f16_f32 v15, v16, v30
	s_nop 1
	v_mfma_f32_16x16x16f16 v[14:17], v[14:15], v[34:35], v[18:21]
	s_and_saveexec_b64 s[8:9], s[10:11]
	s_cbranch_execz .LBB554_503
; %bb.498:
	s_movk_i32 s7, 0x80
	v_cmp_ne_u16_sdwa s[12:13], v10, s7 src0_sel:BYTE_0 src1_sel:DWORD
	v_bfrev_b32_e32 v24, 1
	s_and_saveexec_b64 s[10:11], s[12:13]
	s_cbranch_execz .LBB554_502
; %bb.499:
	s_movk_i32 s7, 0x7f
	v_and_b32_e32 v18, 0x7f, v10
	v_cmp_ne_u32_e32 vcc, s7, v18
	v_mov_b32_e32 v24, 0x7f800001
	s_and_saveexec_b64 s[12:13], vcc
	s_cbranch_execz .LBB554_501
; %bb.500:
	v_and_b32_e32 v19, 7, v10
	v_ffbh_u32_e32 v20, v19
	v_min_u32_e32 v24, 32, v20
	v_subrev_u32_e32 v20, 28, v24
	v_lshlrev_b64 v[20:21], v20, v[10:11]
	v_lshrrev_b32_e32 v23, 3, v18
	v_sub_u32_e32 v21, 29, v24
	v_and_b32_e32 v20, 7, v20
	v_cmp_gt_u32_e32 vcc, 8, v18
	v_cndmask_b32_e32 v18, v23, v21, vcc
	v_cndmask_b32_e32 v19, v19, v20, vcc
	v_lshlrev_b32_e32 v20, 24, v10
	v_bfrev_b32_e32 v21, 60
	v_lshlrev_b32_e32 v19, 20, v19
	v_and_b32_e32 v20, 0x80000000, v20
	v_lshl_add_u32 v18, v18, 23, v21
	v_or3_b32 v24, v20, v18, v19
.LBB554_501:
	s_or_b64 exec, exec, s[12:13]
.LBB554_502:
	s_or_b64 exec, exec, s[10:11]
.LBB554_503:
	s_or_b64 exec, exec, s[8:9]
	s_nop 3
	v_lshrrev_b16_e32 v18, 8, v10
	v_cmp_ne_u16_e32 vcc, 0, v18
	v_mov_b32_e32 v19, 0
	v_mov_b32_e32 v20, 0
	s_and_saveexec_b64 s[8:9], vcc
	s_cbranch_execz .LBB554_509
; %bb.504:
	s_movk_i32 s7, 0x80
	v_cmp_ne_u16_e32 vcc, s7, v18
	v_bfrev_b32_e32 v20, 1
	s_and_saveexec_b64 s[10:11], vcc
	s_cbranch_execz .LBB554_508
; %bb.505:
	s_movk_i32 s7, 0x7f
	v_and_b32_e32 v21, 0x7f, v18
	v_cmp_ne_u32_e32 vcc, s7, v21
	v_mov_b32_e32 v20, 0x7f800001
	s_and_saveexec_b64 s[12:13], vcc
	s_cbranch_execz .LBB554_507
; %bb.506:
	v_and_b32_e32 v20, 7, v18
	v_ffbh_u32_e32 v25, v20
	v_min_u32_e32 v25, 32, v25
	v_subrev_u32_e32 v27, 28, v25
	v_lshlrev_b64 v[28:29], v27, v[18:19]
	v_lshrrev_b32_e32 v23, 3, v21
	v_sub_u32_e32 v18, 29, v25
	v_and_b32_e32 v25, 7, v28
	v_cmp_gt_u32_e32 vcc, 8, v21
	v_cndmask_b32_e32 v18, v23, v18, vcc
	v_cndmask_b32_e32 v20, v20, v25, vcc
	v_lshlrev_b32_e32 v21, 16, v10
	v_bfrev_b32_e32 v23, 60
	v_lshlrev_b32_e32 v20, 20, v20
	v_and_b32_e32 v21, 0x80000000, v21
	v_lshl_add_u32 v18, v18, 23, v23
	v_or3_b32 v20, v21, v18, v20
.LBB554_507:
	s_or_b64 exec, exec, s[12:13]
.LBB554_508:
	s_or_b64 exec, exec, s[10:11]
.LBB554_509:
	s_or_b64 exec, exec, s[8:9]
	s_movk_i32 s7, 0xff
	v_and_b32_sdwa v21, v10, s7 dst_sel:DWORD dst_unused:UNUSED_PAD src0_sel:WORD_1 src1_sel:DWORD
	v_lshrrev_b32_e32 v18, 16, v10
	v_cmp_ne_u16_e32 vcc, 0, v21
	s_and_saveexec_b64 s[8:9], vcc
	s_cbranch_execz .LBB554_515
; %bb.510:
	s_movk_i32 s7, 0x80
	v_cmp_ne_u16_e32 vcc, s7, v21
	v_bfrev_b32_e32 v19, 1
	s_and_saveexec_b64 s[10:11], vcc
	s_cbranch_execz .LBB554_514
; %bb.511:
	v_bfe_u32 v21, v10, 16, 7
	s_movk_i32 s7, 0x7f
	v_cmp_ne_u32_e32 vcc, s7, v21
	v_mov_b32_e32 v19, 0x7f800001
	s_and_saveexec_b64 s[12:13], vcc
	s_cbranch_execz .LBB554_513
; %bb.512:
	v_and_b32_e32 v23, 7, v18
	v_ffbh_u32_e32 v19, v23
	v_min_u32_e32 v27, 32, v19
	v_subrev_u32_e32 v19, 28, v27
	v_lshlrev_b64 v[18:19], v19, v[18:19]
	v_lshrrev_b32_e32 v25, 3, v21
	v_sub_u32_e32 v19, 29, v27
	v_and_b32_e32 v18, 7, v18
	v_cmp_gt_u32_e32 vcc, 8, v21
	v_mov_b32_e32 v21, 24
	v_cndmask_b32_e32 v19, v25, v19, vcc
	v_cndmask_b32_e32 v18, v23, v18, vcc
	v_lshlrev_b32_sdwa v21, v21, v10 dst_sel:DWORD dst_unused:UNUSED_PAD src0_sel:DWORD src1_sel:WORD_1
	v_bfrev_b32_e32 v23, 60
	v_lshlrev_b32_e32 v18, 20, v18
	v_and_b32_e32 v21, 0x80000000, v21
	v_lshl_add_u32 v19, v19, 23, v23
	v_or3_b32 v19, v21, v19, v18
.LBB554_513:
	s_or_b64 exec, exec, s[12:13]
.LBB554_514:
	s_or_b64 exec, exec, s[10:11]
.LBB554_515:
	s_or_b64 exec, exec, s[8:9]
	s_mov_b32 s7, 0xffffff
	v_cmp_lt_u32_e32 vcc, s7, v10
	v_mov_b32_e32 v21, 0
	v_mov_b32_e32 v23, 0
	s_and_saveexec_b64 s[8:9], vcc
	s_cbranch_execz .LBB554_521
; %bb.516:
	v_lshrrev_b32_e32 v18, 24, v10
	s_movk_i32 s7, 0x80
	v_cmp_ne_u32_e32 vcc, s7, v18
	v_bfrev_b32_e32 v23, 1
	s_and_saveexec_b64 s[10:11], vcc
	s_cbranch_execz .LBB554_520
; %bb.517:
	v_bfe_u32 v10, v10, 24, 7
	s_movk_i32 s7, 0x7f
	v_cmp_ne_u32_e32 vcc, s7, v10
	v_mov_b32_e32 v23, 0x7f800001
	s_and_saveexec_b64 s[12:13], vcc
	s_cbranch_execz .LBB554_519
; %bb.518:
	v_and_b32_e32 v23, 7, v18
	v_ffbh_u32_e32 v27, v23
	v_min_u32_e32 v27, 32, v27
	v_subrev_u32_e32 v28, 28, v27
	v_lshlrev_b64 v[28:29], v28, v[18:19]
	v_lshrrev_b32_e32 v25, 3, v10
	v_sub_u32_e32 v27, 29, v27
	v_and_b32_e32 v28, 7, v28
	v_cmp_gt_u32_e32 vcc, 8, v10
	v_cndmask_b32_e32 v10, v25, v27, vcc
	v_cndmask_b32_e32 v23, v23, v28, vcc
	v_lshlrev_b32_e32 v18, 24, v18
	v_bfrev_b32_e32 v25, 60
	v_lshlrev_b32_e32 v23, 20, v23
	v_and_b32_e32 v18, 0x80000000, v18
	v_lshl_add_u32 v10, v10, 23, v25
	v_or3_b32 v23, v18, v10, v23
.LBB554_519:
	s_or_b64 exec, exec, s[12:13]
.LBB554_520:
	s_or_b64 exec, exec, s[10:11]
.LBB554_521:
	s_or_b64 exec, exec, s[8:9]
	v_cmp_ne_u16_sdwa s[10:11], v11, v21 src0_sel:BYTE_0 src1_sel:DWORD
	s_and_saveexec_b64 s[8:9], s[10:11]
	s_cbranch_execz .LBB554_527
; %bb.522:
	s_movk_i32 s7, 0x80
	v_cmp_ne_u16_sdwa s[12:13], v11, s7 src0_sel:BYTE_0 src1_sel:DWORD
	v_bfrev_b32_e32 v21, 1
	s_and_saveexec_b64 s[10:11], s[12:13]
	s_cbranch_execz .LBB554_526
; %bb.523:
	s_movk_i32 s7, 0x7f
	v_and_b32_e32 v10, 0x7f, v11
	v_cmp_ne_u32_e32 vcc, s7, v10
	v_mov_b32_e32 v21, 0x7f800001
	s_and_saveexec_b64 s[12:13], vcc
	s_cbranch_execz .LBB554_525
; %bb.524:
	v_and_b32_e32 v21, 7, v11
	v_ffbh_u32_e32 v27, v21
	v_min_u32_e32 v27, 32, v27
	v_mov_b32_e32 v18, v11
	v_subrev_u32_e32 v28, 28, v27
	v_lshlrev_b64 v[28:29], v28, v[18:19]
	v_lshrrev_b32_e32 v25, 3, v10
	v_sub_u32_e32 v18, 29, v27
	v_and_b32_e32 v27, 7, v28
	v_cmp_gt_u32_e32 vcc, 8, v10
	v_cndmask_b32_e32 v10, v25, v18, vcc
	v_cndmask_b32_e32 v18, v21, v27, vcc
	v_lshlrev_b32_e32 v21, 24, v11
	v_bfrev_b32_e32 v25, 60
	v_lshlrev_b32_e32 v18, 20, v18
	v_and_b32_e32 v21, 0x80000000, v21
	v_lshl_add_u32 v10, v10, 23, v25
	v_or3_b32 v21, v21, v10, v18
.LBB554_525:
	s_or_b64 exec, exec, s[12:13]
.LBB554_526:
	s_or_b64 exec, exec, s[10:11]
.LBB554_527:
	s_or_b64 exec, exec, s[8:9]
	v_lshrrev_b16_e32 v10, 8, v11
	v_cmp_ne_u16_e32 vcc, 0, v10
	v_mov_b32_e32 v25, 0
	v_mov_b32_e32 v27, 0
	s_and_saveexec_b64 s[8:9], vcc
	s_cbranch_execz .LBB554_533
; %bb.528:
	s_movk_i32 s7, 0x80
	v_cmp_ne_u16_e32 vcc, s7, v10
	v_bfrev_b32_e32 v27, 1
	s_and_saveexec_b64 s[10:11], vcc
	s_cbranch_execz .LBB554_532
; %bb.529:
	s_movk_i32 s7, 0x7f
	v_and_b32_e32 v18, 0x7f, v10
	v_cmp_ne_u32_e32 vcc, s7, v18
	v_mov_b32_e32 v27, 0x7f800001
	s_and_saveexec_b64 s[12:13], vcc
	s_cbranch_execz .LBB554_531
; %bb.530:
	v_and_b32_e32 v27, 7, v10
	v_ffbh_u32_e32 v28, v27
	v_min_u32_e32 v31, 32, v28
	v_subrev_u32_e32 v28, 28, v31
	v_lshlrev_b64 v[28:29], v28, v[10:11]
	v_lshrrev_b32_e32 v30, 3, v18
	v_sub_u32_e32 v10, 29, v31
	v_and_b32_e32 v28, 7, v28
	v_cmp_gt_u32_e32 vcc, 8, v18
	v_cndmask_b32_e32 v10, v30, v10, vcc
	v_cndmask_b32_e32 v18, v27, v28, vcc
	v_lshlrev_b32_e32 v27, 16, v11
	v_bfrev_b32_e32 v28, 60
	v_lshlrev_b32_e32 v18, 20, v18
	v_and_b32_e32 v27, 0x80000000, v27
	v_lshl_add_u32 v10, v10, 23, v28
	v_or3_b32 v27, v27, v10, v18
.LBB554_531:
	s_or_b64 exec, exec, s[12:13]
.LBB554_532:
	s_or_b64 exec, exec, s[10:11]
.LBB554_533:
	s_or_b64 exec, exec, s[8:9]
	s_movk_i32 s7, 0xff
	v_and_b32_sdwa v18, v11, s7 dst_sel:DWORD dst_unused:UNUSED_PAD src0_sel:WORD_1 src1_sel:DWORD
	v_lshrrev_b32_e32 v10, 16, v11
	v_cmp_ne_u16_e32 vcc, 0, v18
	s_and_saveexec_b64 s[8:9], vcc
	s_cbranch_execz .LBB554_539
; %bb.534:
	s_movk_i32 s7, 0x80
	v_cmp_ne_u16_e32 vcc, s7, v18
	v_bfrev_b32_e32 v25, 1
	s_and_saveexec_b64 s[10:11], vcc
	s_cbranch_execz .LBB554_538
; %bb.535:
	v_bfe_u32 v18, v11, 16, 7
	s_movk_i32 s7, 0x7f
	v_cmp_ne_u32_e32 vcc, s7, v18
	v_mov_b32_e32 v25, 0x7f800001
	s_and_saveexec_b64 s[12:13], vcc
	s_cbranch_execz .LBB554_537
; %bb.536:
	v_and_b32_e32 v25, 7, v10
	v_ffbh_u32_e32 v28, v25
	v_min_u32_e32 v31, 32, v28
	v_subrev_u32_e32 v28, 28, v31
	v_lshlrev_b64 v[28:29], v28, v[10:11]
	v_and_b32_e32 v28, 7, v28
	v_cmp_gt_u32_e32 vcc, 8, v18
	v_lshrrev_b32_e32 v30, 3, v18
	v_sub_u32_e32 v10, 29, v31
	v_cndmask_b32_e32 v18, v25, v28, vcc
	v_mov_b32_e32 v25, 24
	v_cndmask_b32_e32 v10, v30, v10, vcc
	v_lshlrev_b32_sdwa v25, v25, v11 dst_sel:DWORD dst_unused:UNUSED_PAD src0_sel:DWORD src1_sel:WORD_1
	v_bfrev_b32_e32 v28, 60
	v_lshlrev_b32_e32 v18, 20, v18
	v_and_b32_e32 v25, 0x80000000, v25
	v_lshl_add_u32 v10, v10, 23, v28
	v_or3_b32 v25, v25, v10, v18
.LBB554_537:
	s_or_b64 exec, exec, s[12:13]
.LBB554_538:
	s_or_b64 exec, exec, s[10:11]
.LBB554_539:
	s_or_b64 exec, exec, s[8:9]
	s_mov_b32 s7, 0xffffff
	v_cmp_lt_u32_e32 vcc, s7, v11
	v_mov_b32_e32 v18, 0
	v_mov_b32_e32 v28, 0
	s_and_saveexec_b64 s[8:9], vcc
	s_cbranch_execz .LBB554_545
; %bb.540:
	v_lshrrev_b32_e32 v10, 24, v11
	s_movk_i32 s7, 0x80
	v_cmp_ne_u32_e32 vcc, s7, v10
	v_bfrev_b32_e32 v28, 1
	s_and_saveexec_b64 s[10:11], vcc
	s_cbranch_execz .LBB554_544
; %bb.541:
	v_bfe_u32 v11, v11, 24, 7
	s_movk_i32 s7, 0x7f
	v_cmp_ne_u32_e32 vcc, s7, v11
	v_mov_b32_e32 v28, 0x7f800001
	s_and_saveexec_b64 s[12:13], vcc
	s_cbranch_execz .LBB554_543
; %bb.542:
	v_and_b32_e32 v30, 7, v10
	v_ffbh_u32_e32 v28, v30
	v_min_u32_e32 v32, 32, v28
	v_subrev_u32_e32 v28, 28, v32
	v_lshlrev_b64 v[28:29], v28, v[10:11]
	v_lshrrev_b32_e32 v31, 3, v11
	v_sub_u32_e32 v29, 29, v32
	v_and_b32_e32 v28, 7, v28
	v_cmp_gt_u32_e32 vcc, 8, v11
	v_cndmask_b32_e32 v11, v31, v29, vcc
	v_cndmask_b32_e32 v28, v30, v28, vcc
	v_lshlrev_b32_e32 v10, 24, v10
	v_bfrev_b32_e32 v29, 60
	v_lshlrev_b32_e32 v28, 20, v28
	v_and_b32_e32 v10, 0x80000000, v10
	v_lshl_add_u32 v11, v11, 23, v29
	v_or3_b32 v28, v10, v11, v28
.LBB554_543:
	s_or_b64 exec, exec, s[12:13]
.LBB554_544:
	s_or_b64 exec, exec, s[10:11]
.LBB554_545:
	s_or_b64 exec, exec, s[8:9]
	v_cvt_pkrtz_f16_f32 v10, v24, v20
	v_cvt_pkrtz_f16_f32 v11, v19, v23
	ds_read_b128 v[30:33], v22 offset:2048
	v_cmp_ne_u16_sdwa s[10:11], v12, v18 src0_sel:BYTE_0 src1_sel:DWORD
	s_waitcnt lgkmcnt(0)
	v_mfma_f32_16x16x16f16 v[14:17], v[10:11], v[30:31], v[14:17]
	v_cvt_pkrtz_f16_f32 v10, v21, v27
	v_cvt_pkrtz_f16_f32 v11, v25, v28
	s_nop 1
	v_mfma_f32_16x16x16f16 v[14:17], v[10:11], v[32:33], v[14:17]
	s_and_saveexec_b64 s[8:9], s[10:11]
	s_cbranch_execz .LBB554_551
; %bb.546:
	s_movk_i32 s7, 0x80
	v_cmp_ne_u16_sdwa s[12:13], v12, s7 src0_sel:BYTE_0 src1_sel:DWORD
	v_bfrev_b32_e32 v18, 1
	s_and_saveexec_b64 s[10:11], s[12:13]
	s_cbranch_execz .LBB554_550
; %bb.547:
	s_movk_i32 s7, 0x7f
	v_and_b32_e32 v10, 0x7f, v12
	v_cmp_ne_u32_e32 vcc, s7, v10
	v_mov_b32_e32 v18, 0x7f800001
	s_and_saveexec_b64 s[12:13], vcc
	s_cbranch_execz .LBB554_549
; %bb.548:
	v_and_b32_e32 v11, 7, v12
	v_ffbh_u32_e32 v18, v11
	v_min_u32_e32 v21, 32, v18
	v_subrev_u32_e32 v18, 28, v21
	v_lshlrev_b64 v[18:19], v18, v[12:13]
	v_lshrrev_b32_e32 v20, 3, v10
	v_sub_u32_e32 v19, 29, v21
	v_and_b32_e32 v18, 7, v18
	v_cmp_gt_u32_e32 vcc, 8, v10
	v_cndmask_b32_e32 v10, v20, v19, vcc
	v_cndmask_b32_e32 v11, v11, v18, vcc
	v_lshlrev_b32_e32 v18, 24, v12
	v_bfrev_b32_e32 v19, 60
	v_lshlrev_b32_e32 v11, 20, v11
	v_and_b32_e32 v18, 0x80000000, v18
	v_lshl_add_u32 v10, v10, 23, v19
	v_or3_b32 v18, v18, v10, v11
.LBB554_549:
	s_or_b64 exec, exec, s[12:13]
.LBB554_550:
	s_or_b64 exec, exec, s[10:11]
.LBB554_551:
	s_or_b64 exec, exec, s[8:9]
	v_lshrrev_b16_e32 v10, 8, v12
	v_cmp_ne_u16_e32 vcc, 0, v10
	v_mov_b32_e32 v11, 0
	v_mov_b32_e32 v20, 0
	s_and_saveexec_b64 s[8:9], vcc
	s_cbranch_execz .LBB554_557
; %bb.552:
	s_movk_i32 s7, 0x80
	v_cmp_ne_u16_e32 vcc, s7, v10
	v_bfrev_b32_e32 v20, 1
	s_and_saveexec_b64 s[10:11], vcc
	s_cbranch_execz .LBB554_556
; %bb.553:
	s_movk_i32 s7, 0x7f
	v_and_b32_e32 v19, 0x7f, v10
	v_cmp_ne_u32_e32 vcc, s7, v19
	v_mov_b32_e32 v20, 0x7f800001
	s_and_saveexec_b64 s[12:13], vcc
	s_cbranch_execz .LBB554_555
; %bb.554:
	v_and_b32_e32 v23, 7, v10
	v_ffbh_u32_e32 v20, v23
	v_min_u32_e32 v25, 32, v20
	v_subrev_u32_e32 v20, 28, v25
	v_lshlrev_b64 v[20:21], v20, v[10:11]
	v_lshrrev_b32_e32 v24, 3, v19
	v_sub_u32_e32 v10, 29, v25
	v_and_b32_e32 v20, 7, v20
	v_cmp_gt_u32_e32 vcc, 8, v19
	v_cndmask_b32_e32 v10, v24, v10, vcc
	v_cndmask_b32_e32 v19, v23, v20, vcc
	v_lshlrev_b32_e32 v20, 16, v12
	v_bfrev_b32_e32 v21, 60
	v_lshlrev_b32_e32 v19, 20, v19
	v_and_b32_e32 v20, 0x80000000, v20
	v_lshl_add_u32 v10, v10, 23, v21
	v_or3_b32 v20, v20, v10, v19
.LBB554_555:
	s_or_b64 exec, exec, s[12:13]
.LBB554_556:
	s_or_b64 exec, exec, s[10:11]
.LBB554_557:
	s_or_b64 exec, exec, s[8:9]
	s_movk_i32 s7, 0xff
	v_and_b32_sdwa v19, v12, s7 dst_sel:DWORD dst_unused:UNUSED_PAD src0_sel:WORD_1 src1_sel:DWORD
	v_lshrrev_b32_e32 v10, 16, v12
	v_cmp_ne_u16_e32 vcc, 0, v19
	s_and_saveexec_b64 s[8:9], vcc
	s_cbranch_execz .LBB554_563
; %bb.558:
	s_movk_i32 s7, 0x80
	v_cmp_ne_u16_e32 vcc, s7, v19
	v_bfrev_b32_e32 v11, 1
	s_and_saveexec_b64 s[10:11], vcc
	s_cbranch_execz .LBB554_562
; %bb.559:
	v_bfe_u32 v19, v12, 16, 7
	s_movk_i32 s7, 0x7f
	v_cmp_ne_u32_e32 vcc, s7, v19
	v_mov_b32_e32 v11, 0x7f800001
	s_and_saveexec_b64 s[12:13], vcc
	s_cbranch_execz .LBB554_561
; %bb.560:
	v_and_b32_e32 v21, 7, v10
	v_ffbh_u32_e32 v11, v21
	v_min_u32_e32 v24, 32, v11
	v_subrev_u32_e32 v11, 28, v24
	v_lshlrev_b64 v[10:11], v11, v[10:11]
	v_lshrrev_b32_e32 v23, 3, v19
	v_sub_u32_e32 v11, 29, v24
	v_and_b32_e32 v10, 7, v10
	v_cmp_gt_u32_e32 vcc, 8, v19
	v_mov_b32_e32 v19, 24
	v_cndmask_b32_e32 v11, v23, v11, vcc
	v_cndmask_b32_e32 v10, v21, v10, vcc
	v_lshlrev_b32_sdwa v19, v19, v12 dst_sel:DWORD dst_unused:UNUSED_PAD src0_sel:DWORD src1_sel:WORD_1
	v_bfrev_b32_e32 v21, 60
	v_lshlrev_b32_e32 v10, 20, v10
	v_and_b32_e32 v19, 0x80000000, v19
	v_lshl_add_u32 v11, v11, 23, v21
	v_or3_b32 v11, v19, v11, v10
.LBB554_561:
	s_or_b64 exec, exec, s[12:13]
.LBB554_562:
	s_or_b64 exec, exec, s[10:11]
.LBB554_563:
	s_or_b64 exec, exec, s[8:9]
	s_mov_b32 s7, 0xffffff
	v_cmp_lt_u32_e32 vcc, s7, v12
	v_mov_b32_e32 v21, 0
	v_mov_b32_e32 v23, 0
	s_and_saveexec_b64 s[8:9], vcc
	s_cbranch_execz .LBB554_569
; %bb.564:
	v_lshrrev_b32_e32 v10, 24, v12
	s_movk_i32 s7, 0x80
	v_cmp_ne_u32_e32 vcc, s7, v10
	v_bfrev_b32_e32 v23, 1
	s_and_saveexec_b64 s[10:11], vcc
	s_cbranch_execz .LBB554_568
; %bb.565:
	v_bfe_u32 v12, v12, 24, 7
	s_movk_i32 s7, 0x7f
	v_cmp_ne_u32_e32 vcc, s7, v12
	v_mov_b32_e32 v23, 0x7f800001
	s_and_saveexec_b64 s[12:13], vcc
	s_cbranch_execz .LBB554_567
; %bb.566:
	v_and_b32_e32 v19, 7, v10
	v_ffbh_u32_e32 v24, v19
	v_min_u32_e32 v27, 32, v24
	v_subrev_u32_e32 v24, 28, v27
	v_lshlrev_b64 v[24:25], v24, v[10:11]
	v_lshrrev_b32_e32 v23, 3, v12
	v_sub_u32_e32 v25, 29, v27
	v_and_b32_e32 v24, 7, v24
	v_cmp_gt_u32_e32 vcc, 8, v12
	v_cndmask_b32_e32 v12, v23, v25, vcc
	v_cndmask_b32_e32 v19, v19, v24, vcc
	v_lshlrev_b32_e32 v10, 24, v10
	v_bfrev_b32_e32 v23, 60
	v_lshlrev_b32_e32 v19, 20, v19
	v_and_b32_e32 v10, 0x80000000, v10
	v_lshl_add_u32 v12, v12, 23, v23
	v_or3_b32 v23, v10, v12, v19
.LBB554_567:
	s_or_b64 exec, exec, s[12:13]
.LBB554_568:
	s_or_b64 exec, exec, s[10:11]
.LBB554_569:
	s_or_b64 exec, exec, s[8:9]
	v_cmp_ne_u16_sdwa s[10:11], v13, v21 src0_sel:BYTE_0 src1_sel:DWORD
	s_and_saveexec_b64 s[8:9], s[10:11]
	s_cbranch_execz .LBB554_575
; %bb.570:
	s_movk_i32 s7, 0x80
	v_cmp_ne_u16_sdwa s[12:13], v13, s7 src0_sel:BYTE_0 src1_sel:DWORD
	v_bfrev_b32_e32 v21, 1
	s_and_saveexec_b64 s[10:11], s[12:13]
	s_cbranch_execz .LBB554_574
; %bb.571:
	s_movk_i32 s7, 0x7f
	v_and_b32_e32 v10, 0x7f, v13
	v_cmp_ne_u32_e32 vcc, s7, v10
	v_mov_b32_e32 v21, 0x7f800001
	s_and_saveexec_b64 s[12:13], vcc
	s_cbranch_execz .LBB554_573
; %bb.572:
	v_and_b32_e32 v19, 7, v13
	v_ffbh_u32_e32 v24, v19
	v_min_u32_e32 v27, 32, v24
	v_mov_b32_e32 v12, v13
	v_subrev_u32_e32 v24, 28, v27
	v_lshlrev_b64 v[24:25], v24, v[12:13]
	v_lshrrev_b32_e32 v21, 3, v10
	v_sub_u32_e32 v12, 29, v27
	v_and_b32_e32 v24, 7, v24
	v_cmp_gt_u32_e32 vcc, 8, v10
	v_cndmask_b32_e32 v10, v21, v12, vcc
	v_cndmask_b32_e32 v12, v19, v24, vcc
	v_lshlrev_b32_e32 v19, 24, v13
	v_bfrev_b32_e32 v21, 60
	v_lshlrev_b32_e32 v12, 20, v12
	v_and_b32_e32 v19, 0x80000000, v19
	v_lshl_add_u32 v10, v10, 23, v21
	v_or3_b32 v21, v19, v10, v12
.LBB554_573:
	s_or_b64 exec, exec, s[12:13]
.LBB554_574:
	s_or_b64 exec, exec, s[10:11]
.LBB554_575:
	s_or_b64 exec, exec, s[8:9]
	v_lshrrev_b16_e32 v10, 8, v13
	v_cmp_ne_u16_e32 vcc, 0, v10
	v_mov_b32_e32 v12, 0
	v_mov_b32_e32 v24, 0
	s_and_saveexec_b64 s[8:9], vcc
	s_cbranch_execz .LBB554_581
; %bb.576:
	s_movk_i32 s7, 0x80
	v_cmp_ne_u16_e32 vcc, s7, v10
	v_bfrev_b32_e32 v24, 1
	s_and_saveexec_b64 s[10:11], vcc
	s_cbranch_execz .LBB554_580
; %bb.577:
	s_movk_i32 s7, 0x7f
	v_and_b32_e32 v19, 0x7f, v10
	v_cmp_ne_u32_e32 vcc, s7, v19
	v_mov_b32_e32 v24, 0x7f800001
	s_and_saveexec_b64 s[12:13], vcc
	s_cbranch_execz .LBB554_579
; %bb.578:
	v_and_b32_e32 v27, 7, v10
	v_ffbh_u32_e32 v24, v27
	v_min_u32_e32 v29, 32, v24
	v_subrev_u32_e32 v24, 28, v29
	v_lshlrev_b64 v[24:25], v24, v[10:11]
	v_lshrrev_b32_e32 v28, 3, v19
	v_sub_u32_e32 v10, 29, v29
	v_and_b32_e32 v24, 7, v24
	v_cmp_gt_u32_e32 vcc, 8, v19
	v_cndmask_b32_e32 v10, v28, v10, vcc
	v_cndmask_b32_e32 v19, v27, v24, vcc
	v_lshlrev_b32_e32 v24, 16, v13
	v_bfrev_b32_e32 v25, 60
	v_lshlrev_b32_e32 v19, 20, v19
	v_and_b32_e32 v24, 0x80000000, v24
	v_lshl_add_u32 v10, v10, 23, v25
	v_or3_b32 v24, v24, v10, v19
.LBB554_579:
	s_or_b64 exec, exec, s[12:13]
.LBB554_580:
	s_or_b64 exec, exec, s[10:11]
.LBB554_581:
	s_or_b64 exec, exec, s[8:9]
	s_movk_i32 s7, 0xff
	v_and_b32_sdwa v19, v13, s7 dst_sel:DWORD dst_unused:UNUSED_PAD src0_sel:WORD_1 src1_sel:DWORD
	v_lshrrev_b32_e32 v10, 16, v13
	v_cmp_ne_u16_e32 vcc, 0, v19
	s_and_saveexec_b64 s[8:9], vcc
	s_cbranch_execz .LBB554_587
; %bb.582:
	s_movk_i32 s7, 0x80
	v_cmp_ne_u16_e32 vcc, s7, v19
	v_bfrev_b32_e32 v12, 1
	s_and_saveexec_b64 s[10:11], vcc
	s_cbranch_execz .LBB554_586
; %bb.583:
	v_bfe_u32 v19, v13, 16, 7
	s_movk_i32 s7, 0x7f
	v_cmp_ne_u32_e32 vcc, s7, v19
	v_mov_b32_e32 v12, 0x7f800001
	s_and_saveexec_b64 s[12:13], vcc
	s_cbranch_execz .LBB554_585
; %bb.584:
	v_and_b32_e32 v12, 7, v10
	v_ffbh_u32_e32 v27, v12
	v_min_u32_e32 v27, 32, v27
	v_subrev_u32_e32 v28, 28, v27
	v_lshlrev_b64 v[28:29], v28, v[10:11]
	v_lshrrev_b32_e32 v25, 3, v19
	v_sub_u32_e32 v10, 29, v27
	v_and_b32_e32 v27, 7, v28
	v_cmp_gt_u32_e32 vcc, 8, v19
	v_mov_b32_e32 v19, 24
	v_cndmask_b32_e32 v10, v25, v10, vcc
	v_cndmask_b32_e32 v12, v12, v27, vcc
	v_lshlrev_b32_sdwa v19, v19, v13 dst_sel:DWORD dst_unused:UNUSED_PAD src0_sel:DWORD src1_sel:WORD_1
	v_bfrev_b32_e32 v25, 60
	v_lshlrev_b32_e32 v12, 20, v12
	v_and_b32_e32 v19, 0x80000000, v19
	v_lshl_add_u32 v10, v10, 23, v25
	v_or3_b32 v12, v19, v10, v12
.LBB554_585:
	s_or_b64 exec, exec, s[12:13]
.LBB554_586:
	s_or_b64 exec, exec, s[10:11]
.LBB554_587:
	s_or_b64 exec, exec, s[8:9]
	s_mov_b32 s7, 0xffffff
	v_cmp_lt_u32_e32 vcc, s7, v13
	v_mov_b32_e32 v19, 0
	v_mov_b32_e32 v25, 0
	s_and_saveexec_b64 s[8:9], vcc
	s_cbranch_execz .LBB554_593
; %bb.588:
	v_lshrrev_b32_e32 v10, 24, v13
	s_movk_i32 s7, 0x80
	v_cmp_ne_u32_e32 vcc, s7, v10
	v_bfrev_b32_e32 v25, 1
	s_and_saveexec_b64 s[10:11], vcc
	s_cbranch_execz .LBB554_592
; %bb.589:
	v_bfe_u32 v13, v13, 24, 7
	s_movk_i32 s7, 0x7f
	v_cmp_ne_u32_e32 vcc, s7, v13
	v_mov_b32_e32 v25, 0x7f800001
	s_and_saveexec_b64 s[12:13], vcc
	s_cbranch_execz .LBB554_591
; %bb.590:
	v_and_b32_e32 v25, 7, v10
	v_ffbh_u32_e32 v28, v25
	v_min_u32_e32 v30, 32, v28
	v_subrev_u32_e32 v28, 28, v30
	v_lshlrev_b64 v[28:29], v28, v[10:11]
	v_lshrrev_b32_e32 v27, 3, v13
	v_sub_u32_e32 v29, 29, v30
	v_and_b32_e32 v28, 7, v28
	v_cmp_gt_u32_e32 vcc, 8, v13
	v_cndmask_b32_e32 v13, v27, v29, vcc
	v_cndmask_b32_e32 v25, v25, v28, vcc
	v_lshlrev_b32_e32 v10, 24, v10
	v_bfrev_b32_e32 v27, 60
	v_lshlrev_b32_e32 v25, 20, v25
	v_and_b32_e32 v10, 0x80000000, v10
	v_lshl_add_u32 v13, v13, 23, v27
	v_or3_b32 v25, v10, v13, v25
.LBB554_591:
	s_or_b64 exec, exec, s[12:13]
.LBB554_592:
	s_or_b64 exec, exec, s[10:11]
.LBB554_593:
	s_or_b64 exec, exec, s[8:9]
	v_cvt_pkrtz_f16_f32 v10, v18, v20
	v_cvt_pkrtz_f16_f32 v11, v11, v23
	ds_read_b128 v[28:31], v22 offset:2064
	s_waitcnt vmcnt(1)
	v_cmp_ne_u16_sdwa s[10:11], v6, v19 src0_sel:BYTE_0 src1_sel:DWORD
	s_waitcnt lgkmcnt(0)
	v_mfma_f32_16x16x16f16 v[14:17], v[10:11], v[28:29], v[14:17]
	v_cvt_pkrtz_f16_f32 v10, v21, v24
	v_cvt_pkrtz_f16_f32 v11, v12, v25
	s_nop 1
	v_mfma_f32_16x16x16f16 v[10:13], v[10:11], v[30:31], v[14:17]
	s_and_saveexec_b64 s[8:9], s[10:11]
	s_cbranch_execz .LBB554_599
; %bb.594:
	s_movk_i32 s7, 0x80
	v_cmp_ne_u16_sdwa s[12:13], v6, s7 src0_sel:BYTE_0 src1_sel:DWORD
	v_bfrev_b32_e32 v19, 1
	s_and_saveexec_b64 s[10:11], s[12:13]
	s_cbranch_execz .LBB554_598
; %bb.595:
	s_movk_i32 s7, 0x7f
	v_and_b32_e32 v14, 0x7f, v6
	v_cmp_ne_u32_e32 vcc, s7, v14
	v_mov_b32_e32 v19, 0x7f800001
	s_and_saveexec_b64 s[12:13], vcc
	s_cbranch_execz .LBB554_597
; %bb.596:
	v_and_b32_e32 v15, 7, v6
	v_ffbh_u32_e32 v16, v15
	v_min_u32_e32 v19, 32, v16
	v_subrev_u32_e32 v16, 28, v19
	v_lshlrev_b64 v[16:17], v16, v[6:7]
	v_lshrrev_b32_e32 v18, 3, v14
	v_sub_u32_e32 v17, 29, v19
	v_and_b32_e32 v16, 7, v16
	v_cmp_gt_u32_e32 vcc, 8, v14
	v_cndmask_b32_e32 v14, v18, v17, vcc
	v_cndmask_b32_e32 v15, v15, v16, vcc
	v_lshlrev_b32_e32 v16, 24, v6
	v_bfrev_b32_e32 v17, 60
	v_lshlrev_b32_e32 v15, 20, v15
	v_and_b32_e32 v16, 0x80000000, v16
	v_lshl_add_u32 v14, v14, 23, v17
	v_or3_b32 v19, v16, v14, v15
.LBB554_597:
	s_or_b64 exec, exec, s[12:13]
.LBB554_598:
	s_or_b64 exec, exec, s[10:11]
.LBB554_599:
	s_or_b64 exec, exec, s[8:9]
	s_nop 3
	v_lshrrev_b16_e32 v14, 8, v6
	v_cmp_ne_u16_e32 vcc, 0, v14
	v_mov_b32_e32 v15, 0
	v_mov_b32_e32 v16, 0
	s_and_saveexec_b64 s[8:9], vcc
	s_cbranch_execz .LBB554_605
; %bb.600:
	s_movk_i32 s7, 0x80
	v_cmp_ne_u16_e32 vcc, s7, v14
	v_bfrev_b32_e32 v16, 1
	s_and_saveexec_b64 s[10:11], vcc
	s_cbranch_execz .LBB554_604
; %bb.601:
	s_movk_i32 s7, 0x7f
	v_and_b32_e32 v17, 0x7f, v14
	v_cmp_ne_u32_e32 vcc, s7, v17
	v_mov_b32_e32 v16, 0x7f800001
	s_and_saveexec_b64 s[12:13], vcc
	s_cbranch_execz .LBB554_603
; %bb.602:
	v_and_b32_e32 v16, 7, v14
	v_ffbh_u32_e32 v20, v16
	v_min_u32_e32 v23, 32, v20
	v_subrev_u32_e32 v20, 28, v23
	v_lshlrev_b64 v[20:21], v20, v[14:15]
	v_lshrrev_b32_e32 v18, 3, v17
	v_sub_u32_e32 v14, 29, v23
	v_and_b32_e32 v20, 7, v20
	v_cmp_gt_u32_e32 vcc, 8, v17
	v_cndmask_b32_e32 v14, v18, v14, vcc
	v_cndmask_b32_e32 v16, v16, v20, vcc
	v_lshlrev_b32_e32 v17, 16, v6
	v_bfrev_b32_e32 v18, 60
	v_lshlrev_b32_e32 v16, 20, v16
	v_and_b32_e32 v17, 0x80000000, v17
	v_lshl_add_u32 v14, v14, 23, v18
	v_or3_b32 v16, v17, v14, v16
.LBB554_603:
	s_or_b64 exec, exec, s[12:13]
.LBB554_604:
	s_or_b64 exec, exec, s[10:11]
.LBB554_605:
	s_or_b64 exec, exec, s[8:9]
	s_movk_i32 s7, 0xff
	v_and_b32_sdwa v17, v6, s7 dst_sel:DWORD dst_unused:UNUSED_PAD src0_sel:WORD_1 src1_sel:DWORD
	v_lshrrev_b32_e32 v14, 16, v6
	v_cmp_ne_u16_e32 vcc, 0, v17
	s_and_saveexec_b64 s[8:9], vcc
	s_cbranch_execz .LBB554_611
; %bb.606:
	s_movk_i32 s7, 0x80
	v_cmp_ne_u16_e32 vcc, s7, v17
	v_bfrev_b32_e32 v15, 1
	s_and_saveexec_b64 s[10:11], vcc
	s_cbranch_execz .LBB554_610
; %bb.607:
	v_bfe_u32 v17, v6, 16, 7
	s_movk_i32 s7, 0x7f
	v_cmp_ne_u32_e32 vcc, s7, v17
	v_mov_b32_e32 v15, 0x7f800001
	s_and_saveexec_b64 s[12:13], vcc
	s_cbranch_execz .LBB554_609
; %bb.608:
	v_and_b32_e32 v18, 7, v14
	v_ffbh_u32_e32 v15, v18
	v_min_u32_e32 v21, 32, v15
	v_subrev_u32_e32 v15, 28, v21
	v_lshlrev_b64 v[14:15], v15, v[14:15]
	v_lshrrev_b32_e32 v20, 3, v17
	v_sub_u32_e32 v15, 29, v21
	v_and_b32_e32 v14, 7, v14
	v_cmp_gt_u32_e32 vcc, 8, v17
	v_mov_b32_e32 v17, 24
	v_cndmask_b32_e32 v15, v20, v15, vcc
	v_cndmask_b32_e32 v14, v18, v14, vcc
	v_lshlrev_b32_sdwa v17, v17, v6 dst_sel:DWORD dst_unused:UNUSED_PAD src0_sel:DWORD src1_sel:WORD_1
	v_bfrev_b32_e32 v18, 60
	v_lshlrev_b32_e32 v14, 20, v14
	v_and_b32_e32 v17, 0x80000000, v17
	v_lshl_add_u32 v15, v15, 23, v18
	v_or3_b32 v15, v17, v15, v14
.LBB554_609:
	s_or_b64 exec, exec, s[12:13]
.LBB554_610:
	s_or_b64 exec, exec, s[10:11]
.LBB554_611:
	s_or_b64 exec, exec, s[8:9]
	s_mov_b32 s7, 0xffffff
	v_cmp_lt_u32_e32 vcc, s7, v6
	v_mov_b32_e32 v17, 0
	v_mov_b32_e32 v18, 0
	s_and_saveexec_b64 s[8:9], vcc
	s_cbranch_execz .LBB554_617
; %bb.612:
	v_lshrrev_b32_e32 v14, 24, v6
	s_movk_i32 s7, 0x80
	v_cmp_ne_u32_e32 vcc, s7, v14
	v_bfrev_b32_e32 v18, 1
	s_and_saveexec_b64 s[10:11], vcc
	s_cbranch_execz .LBB554_616
; %bb.613:
	v_bfe_u32 v6, v6, 24, 7
	s_movk_i32 s7, 0x7f
	v_cmp_ne_u32_e32 vcc, s7, v6
	v_mov_b32_e32 v18, 0x7f800001
	s_and_saveexec_b64 s[12:13], vcc
	s_cbranch_execz .LBB554_615
; %bb.614:
	v_and_b32_e32 v18, 7, v14
	v_ffbh_u32_e32 v20, v18
	v_min_u32_e32 v24, 32, v20
	v_subrev_u32_e32 v20, 28, v24
	v_lshlrev_b64 v[20:21], v20, v[14:15]
	v_lshrrev_b32_e32 v23, 3, v6
	v_sub_u32_e32 v21, 29, v24
	v_and_b32_e32 v20, 7, v20
	v_cmp_gt_u32_e32 vcc, 8, v6
	v_cndmask_b32_e32 v6, v23, v21, vcc
	v_cndmask_b32_e32 v18, v18, v20, vcc
	v_lshlrev_b32_e32 v14, 24, v14
	v_bfrev_b32_e32 v20, 60
	v_lshlrev_b32_e32 v18, 20, v18
	v_and_b32_e32 v14, 0x80000000, v14
	v_lshl_add_u32 v6, v6, 23, v20
	v_or3_b32 v18, v14, v6, v18
.LBB554_615:
	s_or_b64 exec, exec, s[12:13]
.LBB554_616:
	s_or_b64 exec, exec, s[10:11]
.LBB554_617:
	s_or_b64 exec, exec, s[8:9]
	v_cmp_ne_u16_sdwa s[10:11], v7, v17 src0_sel:BYTE_0 src1_sel:DWORD
	s_and_saveexec_b64 s[8:9], s[10:11]
	s_cbranch_execz .LBB554_623
; %bb.618:
	s_movk_i32 s7, 0x80
	v_cmp_ne_u16_sdwa s[12:13], v7, s7 src0_sel:BYTE_0 src1_sel:DWORD
	v_bfrev_b32_e32 v17, 1
	s_and_saveexec_b64 s[10:11], s[12:13]
	s_cbranch_execz .LBB554_622
; %bb.619:
	s_movk_i32 s7, 0x7f
	v_and_b32_e32 v6, 0x7f, v7
	v_cmp_ne_u32_e32 vcc, s7, v6
	v_mov_b32_e32 v17, 0x7f800001
	s_and_saveexec_b64 s[12:13], vcc
	s_cbranch_execz .LBB554_621
; %bb.620:
	v_and_b32_e32 v17, 7, v7
	v_ffbh_u32_e32 v20, v17
	v_min_u32_e32 v24, 32, v20
	v_mov_b32_e32 v14, v7
	v_subrev_u32_e32 v20, 28, v24
	v_lshlrev_b64 v[20:21], v20, v[14:15]
	v_lshrrev_b32_e32 v23, 3, v6
	v_sub_u32_e32 v14, 29, v24
	v_and_b32_e32 v20, 7, v20
	v_cmp_gt_u32_e32 vcc, 8, v6
	v_cndmask_b32_e32 v6, v23, v14, vcc
	v_cndmask_b32_e32 v14, v17, v20, vcc
	v_lshlrev_b32_e32 v17, 24, v7
	v_bfrev_b32_e32 v20, 60
	v_lshlrev_b32_e32 v14, 20, v14
	v_and_b32_e32 v17, 0x80000000, v17
	v_lshl_add_u32 v6, v6, 23, v20
	v_or3_b32 v17, v17, v6, v14
.LBB554_621:
	s_or_b64 exec, exec, s[12:13]
.LBB554_622:
	s_or_b64 exec, exec, s[10:11]
.LBB554_623:
	s_or_b64 exec, exec, s[8:9]
	v_lshrrev_b16_e32 v6, 8, v7
	v_cmp_ne_u16_e32 vcc, 0, v6
	v_mov_b32_e32 v20, 0
	v_mov_b32_e32 v21, 0
	s_and_saveexec_b64 s[8:9], vcc
	s_cbranch_execz .LBB554_629
; %bb.624:
	s_movk_i32 s7, 0x80
	v_cmp_ne_u16_e32 vcc, s7, v6
	v_bfrev_b32_e32 v21, 1
	s_and_saveexec_b64 s[10:11], vcc
	s_cbranch_execz .LBB554_628
; %bb.625:
	s_movk_i32 s7, 0x7f
	v_and_b32_e32 v14, 0x7f, v6
	v_cmp_ne_u32_e32 vcc, s7, v14
	v_mov_b32_e32 v21, 0x7f800001
	s_and_saveexec_b64 s[12:13], vcc
	s_cbranch_execz .LBB554_627
; %bb.626:
	v_and_b32_e32 v21, 7, v6
	v_ffbh_u32_e32 v24, v21
	v_min_u32_e32 v27, 32, v24
	v_subrev_u32_e32 v24, 28, v27
	v_lshlrev_b64 v[24:25], v24, v[6:7]
	v_lshrrev_b32_e32 v23, 3, v14
	v_sub_u32_e32 v6, 29, v27
	v_and_b32_e32 v24, 7, v24
	v_cmp_gt_u32_e32 vcc, 8, v14
	v_cndmask_b32_e32 v6, v23, v6, vcc
	v_cndmask_b32_e32 v14, v21, v24, vcc
	v_lshlrev_b32_e32 v21, 16, v7
	v_bfrev_b32_e32 v23, 60
	v_lshlrev_b32_e32 v14, 20, v14
	v_and_b32_e32 v21, 0x80000000, v21
	v_lshl_add_u32 v6, v6, 23, v23
	v_or3_b32 v21, v21, v6, v14
.LBB554_627:
	s_or_b64 exec, exec, s[12:13]
.LBB554_628:
	s_or_b64 exec, exec, s[10:11]
.LBB554_629:
	s_or_b64 exec, exec, s[8:9]
	s_movk_i32 s7, 0xff
	v_and_b32_sdwa v14, v7, s7 dst_sel:DWORD dst_unused:UNUSED_PAD src0_sel:WORD_1 src1_sel:DWORD
	v_lshrrev_b32_e32 v6, 16, v7
	v_cmp_ne_u16_e32 vcc, 0, v14
	s_and_saveexec_b64 s[8:9], vcc
	s_cbranch_execz .LBB554_635
; %bb.630:
	s_movk_i32 s7, 0x80
	v_cmp_ne_u16_e32 vcc, s7, v14
	v_bfrev_b32_e32 v20, 1
	s_and_saveexec_b64 s[10:11], vcc
	s_cbranch_execz .LBB554_634
; %bb.631:
	v_bfe_u32 v14, v7, 16, 7
	s_movk_i32 s7, 0x7f
	v_cmp_ne_u32_e32 vcc, s7, v14
	v_mov_b32_e32 v20, 0x7f800001
	s_and_saveexec_b64 s[12:13], vcc
	s_cbranch_execz .LBB554_633
; %bb.632:
	v_and_b32_e32 v20, 7, v6
	v_ffbh_u32_e32 v24, v20
	v_min_u32_e32 v27, 32, v24
	v_subrev_u32_e32 v24, 28, v27
	v_lshlrev_b64 v[24:25], v24, v[6:7]
	v_and_b32_e32 v24, 7, v24
	v_cmp_gt_u32_e32 vcc, 8, v14
	v_lshrrev_b32_e32 v23, 3, v14
	v_sub_u32_e32 v6, 29, v27
	v_cndmask_b32_e32 v14, v20, v24, vcc
	v_mov_b32_e32 v20, 24
	v_cndmask_b32_e32 v6, v23, v6, vcc
	v_lshlrev_b32_sdwa v20, v20, v7 dst_sel:DWORD dst_unused:UNUSED_PAD src0_sel:DWORD src1_sel:WORD_1
	v_bfrev_b32_e32 v23, 60
	v_lshlrev_b32_e32 v14, 20, v14
	v_and_b32_e32 v20, 0x80000000, v20
	v_lshl_add_u32 v6, v6, 23, v23
	v_or3_b32 v20, v20, v6, v14
.LBB554_633:
	s_or_b64 exec, exec, s[12:13]
.LBB554_634:
	s_or_b64 exec, exec, s[10:11]
.LBB554_635:
	s_or_b64 exec, exec, s[8:9]
	s_mov_b32 s7, 0xffffff
	v_cmp_lt_u32_e32 vcc, s7, v7
	v_mov_b32_e32 v14, 0
	v_mov_b32_e32 v23, 0
	s_and_saveexec_b64 s[8:9], vcc
	s_cbranch_execz .LBB554_641
; %bb.636:
	v_lshrrev_b32_e32 v6, 24, v7
	s_movk_i32 s7, 0x80
	v_cmp_ne_u32_e32 vcc, s7, v6
	v_bfrev_b32_e32 v23, 1
	s_and_saveexec_b64 s[10:11], vcc
	s_cbranch_execz .LBB554_640
; %bb.637:
	v_bfe_u32 v7, v7, 24, 7
	s_movk_i32 s7, 0x7f
	v_cmp_ne_u32_e32 vcc, s7, v7
	v_mov_b32_e32 v23, 0x7f800001
	s_and_saveexec_b64 s[12:13], vcc
	s_cbranch_execz .LBB554_639
; %bb.638:
	v_and_b32_e32 v23, 7, v6
	v_ffbh_u32_e32 v24, v23
	v_min_u32_e32 v28, 32, v24
	v_subrev_u32_e32 v24, 28, v28
	v_lshlrev_b64 v[24:25], v24, v[6:7]
	v_lshrrev_b32_e32 v27, 3, v7
	v_sub_u32_e32 v25, 29, v28
	v_and_b32_e32 v24, 7, v24
	v_cmp_gt_u32_e32 vcc, 8, v7
	v_cndmask_b32_e32 v7, v27, v25, vcc
	v_cndmask_b32_e32 v23, v23, v24, vcc
	v_lshlrev_b32_e32 v6, 24, v6
	v_bfrev_b32_e32 v24, 60
	v_lshlrev_b32_e32 v23, 20, v23
	v_and_b32_e32 v6, 0x80000000, v6
	v_lshl_add_u32 v7, v7, 23, v24
	v_or3_b32 v23, v6, v7, v23
.LBB554_639:
	s_or_b64 exec, exec, s[12:13]
.LBB554_640:
	s_or_b64 exec, exec, s[10:11]
.LBB554_641:
	s_or_b64 exec, exec, s[8:9]
	v_cvt_pkrtz_f16_f32 v6, v19, v16
	v_cvt_pkrtz_f16_f32 v7, v15, v18
	ds_read_b128 v[28:31], v22 offset:4096
	v_cmp_ne_u16_sdwa s[10:11], v8, v14 src0_sel:BYTE_0 src1_sel:DWORD
	s_waitcnt lgkmcnt(0)
	v_mfma_f32_16x16x16f16 v[10:13], v[6:7], v[28:29], v[10:13]
	v_cvt_pkrtz_f16_f32 v6, v17, v21
	v_cvt_pkrtz_f16_f32 v7, v20, v23
	s_nop 1
	v_mfma_f32_16x16x16f16 v[10:13], v[6:7], v[30:31], v[10:13]
	s_and_saveexec_b64 s[8:9], s[10:11]
	s_cbranch_execz .LBB554_647
; %bb.642:
	s_movk_i32 s7, 0x80
	v_cmp_ne_u16_sdwa s[12:13], v8, s7 src0_sel:BYTE_0 src1_sel:DWORD
	v_bfrev_b32_e32 v14, 1
	s_and_saveexec_b64 s[10:11], s[12:13]
	s_cbranch_execz .LBB554_646
; %bb.643:
	s_movk_i32 s7, 0x7f
	v_and_b32_e32 v6, 0x7f, v8
	v_cmp_ne_u32_e32 vcc, s7, v6
	v_mov_b32_e32 v14, 0x7f800001
	s_and_saveexec_b64 s[12:13], vcc
	s_cbranch_execz .LBB554_645
; %bb.644:
	v_and_b32_e32 v7, 7, v8
	v_ffbh_u32_e32 v14, v7
	v_min_u32_e32 v17, 32, v14
	v_subrev_u32_e32 v14, 28, v17
	v_lshlrev_b64 v[14:15], v14, v[8:9]
	v_lshrrev_b32_e32 v16, 3, v6
	v_sub_u32_e32 v15, 29, v17
	v_and_b32_e32 v14, 7, v14
	v_cmp_gt_u32_e32 vcc, 8, v6
	v_cndmask_b32_e32 v6, v16, v15, vcc
	v_cndmask_b32_e32 v7, v7, v14, vcc
	v_lshlrev_b32_e32 v14, 24, v8
	v_bfrev_b32_e32 v15, 60
	v_lshlrev_b32_e32 v7, 20, v7
	v_and_b32_e32 v14, 0x80000000, v14
	v_lshl_add_u32 v6, v6, 23, v15
	v_or3_b32 v14, v14, v6, v7
.LBB554_645:
	s_or_b64 exec, exec, s[12:13]
.LBB554_646:
	s_or_b64 exec, exec, s[10:11]
.LBB554_647:
	s_or_b64 exec, exec, s[8:9]
	v_lshrrev_b16_e32 v6, 8, v8
	v_cmp_ne_u16_e32 vcc, 0, v6
	v_mov_b32_e32 v7, 0
	v_mov_b32_e32 v16, 0
	s_and_saveexec_b64 s[8:9], vcc
	s_cbranch_execz .LBB554_653
; %bb.648:
	s_movk_i32 s7, 0x80
	v_cmp_ne_u16_e32 vcc, s7, v6
	v_bfrev_b32_e32 v16, 1
	s_and_saveexec_b64 s[10:11], vcc
	s_cbranch_execz .LBB554_652
; %bb.649:
	s_movk_i32 s7, 0x7f
	v_and_b32_e32 v15, 0x7f, v6
	v_cmp_ne_u32_e32 vcc, s7, v15
	v_mov_b32_e32 v16, 0x7f800001
	s_and_saveexec_b64 s[12:13], vcc
	s_cbranch_execz .LBB554_651
; %bb.650:
	v_and_b32_e32 v18, 7, v6
	v_ffbh_u32_e32 v16, v18
	v_min_u32_e32 v20, 32, v16
	v_subrev_u32_e32 v16, 28, v20
	v_lshlrev_b64 v[16:17], v16, v[6:7]
	v_lshrrev_b32_e32 v19, 3, v15
	v_sub_u32_e32 v6, 29, v20
	v_and_b32_e32 v16, 7, v16
	v_cmp_gt_u32_e32 vcc, 8, v15
	v_cndmask_b32_e32 v6, v19, v6, vcc
	v_cndmask_b32_e32 v15, v18, v16, vcc
	v_lshlrev_b32_e32 v16, 16, v8
	v_bfrev_b32_e32 v17, 60
	v_lshlrev_b32_e32 v15, 20, v15
	v_and_b32_e32 v16, 0x80000000, v16
	v_lshl_add_u32 v6, v6, 23, v17
	v_or3_b32 v16, v16, v6, v15
.LBB554_651:
	s_or_b64 exec, exec, s[12:13]
.LBB554_652:
	s_or_b64 exec, exec, s[10:11]
.LBB554_653:
	s_or_b64 exec, exec, s[8:9]
	s_movk_i32 s7, 0xff
	v_and_b32_sdwa v15, v8, s7 dst_sel:DWORD dst_unused:UNUSED_PAD src0_sel:WORD_1 src1_sel:DWORD
	v_lshrrev_b32_e32 v6, 16, v8
	v_cmp_ne_u16_e32 vcc, 0, v15
	s_and_saveexec_b64 s[8:9], vcc
	s_cbranch_execz .LBB554_659
; %bb.654:
	s_movk_i32 s7, 0x80
	v_cmp_ne_u16_e32 vcc, s7, v15
	v_bfrev_b32_e32 v7, 1
	s_and_saveexec_b64 s[10:11], vcc
	s_cbranch_execz .LBB554_658
; %bb.655:
	v_bfe_u32 v15, v8, 16, 7
	s_movk_i32 s7, 0x7f
	v_cmp_ne_u32_e32 vcc, s7, v15
	v_mov_b32_e32 v7, 0x7f800001
	s_and_saveexec_b64 s[12:13], vcc
	s_cbranch_execz .LBB554_657
; %bb.656:
	v_and_b32_e32 v17, 7, v6
	v_ffbh_u32_e32 v7, v17
	v_min_u32_e32 v19, 32, v7
	v_subrev_u32_e32 v7, 28, v19
	v_lshlrev_b64 v[6:7], v7, v[6:7]
	v_lshrrev_b32_e32 v18, 3, v15
	v_sub_u32_e32 v7, 29, v19
	v_and_b32_e32 v6, 7, v6
	v_cmp_gt_u32_e32 vcc, 8, v15
	v_mov_b32_e32 v15, 24
	v_cndmask_b32_e32 v7, v18, v7, vcc
	v_cndmask_b32_e32 v6, v17, v6, vcc
	v_lshlrev_b32_sdwa v15, v15, v8 dst_sel:DWORD dst_unused:UNUSED_PAD src0_sel:DWORD src1_sel:WORD_1
	v_bfrev_b32_e32 v17, 60
	v_lshlrev_b32_e32 v6, 20, v6
	v_and_b32_e32 v15, 0x80000000, v15
	v_lshl_add_u32 v7, v7, 23, v17
	v_or3_b32 v7, v15, v7, v6
.LBB554_657:
	s_or_b64 exec, exec, s[12:13]
.LBB554_658:
	s_or_b64 exec, exec, s[10:11]
.LBB554_659:
	s_or_b64 exec, exec, s[8:9]
	s_mov_b32 s7, 0xffffff
	v_cmp_lt_u32_e32 vcc, s7, v8
	v_mov_b32_e32 v17, 0
	v_mov_b32_e32 v18, 0
	s_and_saveexec_b64 s[8:9], vcc
	s_cbranch_execz .LBB554_665
; %bb.660:
	v_lshrrev_b32_e32 v6, 24, v8
	s_movk_i32 s7, 0x80
	v_cmp_ne_u32_e32 vcc, s7, v6
	v_bfrev_b32_e32 v18, 1
	s_and_saveexec_b64 s[10:11], vcc
	s_cbranch_execz .LBB554_664
; %bb.661:
	v_bfe_u32 v8, v8, 24, 7
	s_movk_i32 s7, 0x7f
	v_cmp_ne_u32_e32 vcc, s7, v8
	v_mov_b32_e32 v18, 0x7f800001
	s_and_saveexec_b64 s[12:13], vcc
	s_cbranch_execz .LBB554_663
; %bb.662:
	v_and_b32_e32 v15, 7, v6
	v_ffbh_u32_e32 v18, v15
	v_min_u32_e32 v21, 32, v18
	v_subrev_u32_e32 v18, 28, v21
	v_lshlrev_b64 v[18:19], v18, v[6:7]
	v_lshrrev_b32_e32 v20, 3, v8
	v_sub_u32_e32 v19, 29, v21
	v_and_b32_e32 v18, 7, v18
	v_cmp_gt_u32_e32 vcc, 8, v8
	v_cndmask_b32_e32 v8, v20, v19, vcc
	v_cndmask_b32_e32 v15, v15, v18, vcc
	v_lshlrev_b32_e32 v6, 24, v6
	v_bfrev_b32_e32 v18, 60
	v_lshlrev_b32_e32 v15, 20, v15
	v_and_b32_e32 v6, 0x80000000, v6
	v_lshl_add_u32 v8, v8, 23, v18
	v_or3_b32 v18, v6, v8, v15
.LBB554_663:
	s_or_b64 exec, exec, s[12:13]
.LBB554_664:
	s_or_b64 exec, exec, s[10:11]
.LBB554_665:
	s_or_b64 exec, exec, s[8:9]
	v_cmp_ne_u16_sdwa s[10:11], v9, v17 src0_sel:BYTE_0 src1_sel:DWORD
	s_and_saveexec_b64 s[8:9], s[10:11]
	s_cbranch_execz .LBB554_671
; %bb.666:
	s_movk_i32 s7, 0x80
	v_cmp_ne_u16_sdwa s[12:13], v9, s7 src0_sel:BYTE_0 src1_sel:DWORD
	v_bfrev_b32_e32 v17, 1
	s_and_saveexec_b64 s[10:11], s[12:13]
	s_cbranch_execz .LBB554_670
; %bb.667:
	s_movk_i32 s7, 0x7f
	v_and_b32_e32 v6, 0x7f, v9
	v_cmp_ne_u32_e32 vcc, s7, v6
	v_mov_b32_e32 v17, 0x7f800001
	s_and_saveexec_b64 s[12:13], vcc
	s_cbranch_execz .LBB554_669
; %bb.668:
	v_and_b32_e32 v15, 7, v9
	v_ffbh_u32_e32 v19, v15
	v_min_u32_e32 v19, 32, v19
	v_mov_b32_e32 v8, v9
	v_subrev_u32_e32 v20, 28, v19
	v_lshlrev_b64 v[20:21], v20, v[8:9]
	v_lshrrev_b32_e32 v17, 3, v6
	v_sub_u32_e32 v8, 29, v19
	v_and_b32_e32 v19, 7, v20
	v_cmp_gt_u32_e32 vcc, 8, v6
	v_cndmask_b32_e32 v6, v17, v8, vcc
	v_cndmask_b32_e32 v8, v15, v19, vcc
	v_lshlrev_b32_e32 v15, 24, v9
	v_bfrev_b32_e32 v17, 60
	v_lshlrev_b32_e32 v8, 20, v8
	v_and_b32_e32 v15, 0x80000000, v15
	v_lshl_add_u32 v6, v6, 23, v17
	v_or3_b32 v17, v15, v6, v8
.LBB554_669:
	s_or_b64 exec, exec, s[12:13]
.LBB554_670:
	s_or_b64 exec, exec, s[10:11]
.LBB554_671:
	s_or_b64 exec, exec, s[8:9]
	v_lshrrev_b16_e32 v6, 8, v9
	v_cmp_ne_u16_e32 vcc, 0, v6
	v_mov_b32_e32 v8, 0
	v_mov_b32_e32 v19, 0
	s_and_saveexec_b64 s[8:9], vcc
	s_cbranch_execz .LBB554_677
; %bb.672:
	s_movk_i32 s7, 0x80
	v_cmp_ne_u16_e32 vcc, s7, v6
	v_bfrev_b32_e32 v19, 1
	s_and_saveexec_b64 s[10:11], vcc
	s_cbranch_execz .LBB554_676
; %bb.673:
	s_movk_i32 s7, 0x7f
	v_and_b32_e32 v15, 0x7f, v6
	v_cmp_ne_u32_e32 vcc, s7, v15
	v_mov_b32_e32 v19, 0x7f800001
	s_and_saveexec_b64 s[12:13], vcc
	s_cbranch_execz .LBB554_675
; %bb.674:
	v_and_b32_e32 v19, 7, v6
	v_ffbh_u32_e32 v20, v19
	v_min_u32_e32 v24, 32, v20
	v_subrev_u32_e32 v20, 28, v24
	v_lshlrev_b64 v[20:21], v20, v[6:7]
	v_lshrrev_b32_e32 v23, 3, v15
	v_sub_u32_e32 v6, 29, v24
	v_and_b32_e32 v20, 7, v20
	v_cmp_gt_u32_e32 vcc, 8, v15
	v_cndmask_b32_e32 v6, v23, v6, vcc
	v_cndmask_b32_e32 v15, v19, v20, vcc
	v_lshlrev_b32_e32 v19, 16, v9
	v_bfrev_b32_e32 v20, 60
	v_lshlrev_b32_e32 v15, 20, v15
	v_and_b32_e32 v19, 0x80000000, v19
	v_lshl_add_u32 v6, v6, 23, v20
	v_or3_b32 v19, v19, v6, v15
.LBB554_675:
	s_or_b64 exec, exec, s[12:13]
.LBB554_676:
	s_or_b64 exec, exec, s[10:11]
.LBB554_677:
	s_or_b64 exec, exec, s[8:9]
	s_movk_i32 s7, 0xff
	v_and_b32_sdwa v15, v9, s7 dst_sel:DWORD dst_unused:UNUSED_PAD src0_sel:WORD_1 src1_sel:DWORD
	v_lshrrev_b32_e32 v6, 16, v9
	v_cmp_ne_u16_e32 vcc, 0, v15
	s_and_saveexec_b64 s[8:9], vcc
	s_cbranch_execz .LBB554_683
; %bb.678:
	s_movk_i32 s7, 0x80
	v_cmp_ne_u16_e32 vcc, s7, v15
	v_bfrev_b32_e32 v8, 1
	s_and_saveexec_b64 s[10:11], vcc
	s_cbranch_execz .LBB554_682
; %bb.679:
	v_bfe_u32 v15, v9, 16, 7
	s_movk_i32 s7, 0x7f
	v_cmp_ne_u32_e32 vcc, s7, v15
	v_mov_b32_e32 v8, 0x7f800001
	s_and_saveexec_b64 s[12:13], vcc
	s_cbranch_execz .LBB554_681
; %bb.680:
	v_and_b32_e32 v8, 7, v6
	v_ffbh_u32_e32 v20, v8
	v_min_u32_e32 v24, 32, v20
	v_subrev_u32_e32 v20, 28, v24
	v_lshlrev_b64 v[20:21], v20, v[6:7]
	v_lshrrev_b32_e32 v23, 3, v15
	v_sub_u32_e32 v6, 29, v24
	v_and_b32_e32 v20, 7, v20
	v_cmp_gt_u32_e32 vcc, 8, v15
	v_mov_b32_e32 v15, 24
	v_cndmask_b32_e32 v6, v23, v6, vcc
	v_cndmask_b32_e32 v8, v8, v20, vcc
	v_lshlrev_b32_sdwa v15, v15, v9 dst_sel:DWORD dst_unused:UNUSED_PAD src0_sel:DWORD src1_sel:WORD_1
	v_bfrev_b32_e32 v20, 60
	v_lshlrev_b32_e32 v8, 20, v8
	v_and_b32_e32 v15, 0x80000000, v15
	v_lshl_add_u32 v6, v6, 23, v20
	v_or3_b32 v8, v15, v6, v8
.LBB554_681:
	s_or_b64 exec, exec, s[12:13]
.LBB554_682:
	s_or_b64 exec, exec, s[10:11]
.LBB554_683:
	s_or_b64 exec, exec, s[8:9]
	s_mov_b32 s7, 0xffffff
	v_cmp_lt_u32_e32 vcc, s7, v9
	v_mov_b32_e32 v15, 0
	v_mov_b32_e32 v20, 0
	s_and_saveexec_b64 s[8:9], vcc
	s_cbranch_execz .LBB554_689
; %bb.684:
	v_lshrrev_b32_e32 v6, 24, v9
	s_movk_i32 s7, 0x80
	v_cmp_ne_u32_e32 vcc, s7, v6
	v_bfrev_b32_e32 v20, 1
	s_and_saveexec_b64 s[10:11], vcc
	s_cbranch_execz .LBB554_688
; %bb.685:
	v_bfe_u32 v9, v9, 24, 7
	s_movk_i32 s7, 0x7f
	v_cmp_ne_u32_e32 vcc, s7, v9
	v_mov_b32_e32 v20, 0x7f800001
	s_and_saveexec_b64 s[12:13], vcc
	s_cbranch_execz .LBB554_687
; %bb.686:
	v_and_b32_e32 v23, 7, v6
	v_ffbh_u32_e32 v20, v23
	v_min_u32_e32 v25, 32, v20
	v_subrev_u32_e32 v20, 28, v25
	v_lshlrev_b64 v[20:21], v20, v[6:7]
	v_lshrrev_b32_e32 v24, 3, v9
	v_sub_u32_e32 v21, 29, v25
	v_and_b32_e32 v20, 7, v20
	v_cmp_gt_u32_e32 vcc, 8, v9
	v_cndmask_b32_e32 v9, v24, v21, vcc
	v_cndmask_b32_e32 v20, v23, v20, vcc
	v_lshlrev_b32_e32 v6, 24, v6
	v_bfrev_b32_e32 v21, 60
	v_lshlrev_b32_e32 v20, 20, v20
	v_and_b32_e32 v6, 0x80000000, v6
	v_lshl_add_u32 v9, v9, 23, v21
	v_or3_b32 v20, v6, v9, v20
.LBB554_687:
	s_or_b64 exec, exec, s[12:13]
.LBB554_688:
	s_or_b64 exec, exec, s[10:11]
.LBB554_689:
	s_or_b64 exec, exec, s[8:9]
	v_cvt_pkrtz_f16_f32 v6, v14, v16
	v_cvt_pkrtz_f16_f32 v7, v7, v18
	ds_read_b128 v[28:31], v22 offset:4112
	s_waitcnt vmcnt(0)
	v_cmp_ne_u16_sdwa s[10:11], v2, v15 src0_sel:BYTE_0 src1_sel:DWORD
	s_waitcnt lgkmcnt(0)
	v_mfma_f32_16x16x16f16 v[10:13], v[6:7], v[28:29], v[10:13]
	v_cvt_pkrtz_f16_f32 v6, v17, v19
	v_cvt_pkrtz_f16_f32 v7, v8, v20
	s_nop 1
	v_mfma_f32_16x16x16f16 v[6:9], v[6:7], v[30:31], v[10:13]
	s_and_saveexec_b64 s[8:9], s[10:11]
	s_cbranch_execz .LBB554_695
; %bb.690:
	s_movk_i32 s7, 0x80
	v_cmp_ne_u16_sdwa s[12:13], v2, s7 src0_sel:BYTE_0 src1_sel:DWORD
	v_bfrev_b32_e32 v15, 1
	s_and_saveexec_b64 s[10:11], s[12:13]
	s_cbranch_execz .LBB554_694
; %bb.691:
	s_movk_i32 s7, 0x7f
	v_and_b32_e32 v10, 0x7f, v2
	v_cmp_ne_u32_e32 vcc, s7, v10
	v_mov_b32_e32 v15, 0x7f800001
	s_and_saveexec_b64 s[12:13], vcc
	s_cbranch_execz .LBB554_693
; %bb.692:
	v_and_b32_e32 v11, 7, v2
	v_ffbh_u32_e32 v12, v11
	v_min_u32_e32 v15, 32, v12
	v_subrev_u32_e32 v12, 28, v15
	v_lshlrev_b64 v[12:13], v12, v[2:3]
	v_lshrrev_b32_e32 v14, 3, v10
	v_sub_u32_e32 v13, 29, v15
	v_and_b32_e32 v12, 7, v12
	v_cmp_gt_u32_e32 vcc, 8, v10
	v_cndmask_b32_e32 v10, v14, v13, vcc
	v_cndmask_b32_e32 v11, v11, v12, vcc
	v_lshlrev_b32_e32 v12, 24, v2
	v_bfrev_b32_e32 v13, 60
	v_lshlrev_b32_e32 v11, 20, v11
	v_and_b32_e32 v12, 0x80000000, v12
	v_lshl_add_u32 v10, v10, 23, v13
	v_or3_b32 v15, v12, v10, v11
.LBB554_693:
	s_or_b64 exec, exec, s[12:13]
.LBB554_694:
	s_or_b64 exec, exec, s[10:11]
.LBB554_695:
	s_or_b64 exec, exec, s[8:9]
	s_nop 3
	v_lshrrev_b16_e32 v10, 8, v2
	v_cmp_ne_u16_e32 vcc, 0, v10
	v_mov_b32_e32 v11, 0
	v_mov_b32_e32 v12, 0
	s_and_saveexec_b64 s[8:9], vcc
	s_cbranch_execz .LBB554_701
; %bb.696:
	s_movk_i32 s7, 0x80
	v_cmp_ne_u16_e32 vcc, s7, v10
	v_bfrev_b32_e32 v12, 1
	s_and_saveexec_b64 s[10:11], vcc
	s_cbranch_execz .LBB554_700
; %bb.697:
	s_movk_i32 s7, 0x7f
	v_and_b32_e32 v13, 0x7f, v10
	v_cmp_ne_u32_e32 vcc, s7, v13
	v_mov_b32_e32 v12, 0x7f800001
	s_and_saveexec_b64 s[12:13], vcc
	s_cbranch_execz .LBB554_699
; %bb.698:
	v_and_b32_e32 v12, 7, v10
	v_ffbh_u32_e32 v16, v12
	v_min_u32_e32 v18, 32, v16
	v_subrev_u32_e32 v16, 28, v18
	v_lshlrev_b64 v[16:17], v16, v[10:11]
	v_lshrrev_b32_e32 v14, 3, v13
	v_sub_u32_e32 v10, 29, v18
	v_and_b32_e32 v16, 7, v16
	v_cmp_gt_u32_e32 vcc, 8, v13
	v_cndmask_b32_e32 v10, v14, v10, vcc
	v_cndmask_b32_e32 v12, v12, v16, vcc
	v_lshlrev_b32_e32 v13, 16, v2
	v_bfrev_b32_e32 v14, 60
	v_lshlrev_b32_e32 v12, 20, v12
	v_and_b32_e32 v13, 0x80000000, v13
	v_lshl_add_u32 v10, v10, 23, v14
	v_or3_b32 v12, v13, v10, v12
.LBB554_699:
	s_or_b64 exec, exec, s[12:13]
.LBB554_700:
	s_or_b64 exec, exec, s[10:11]
.LBB554_701:
	s_or_b64 exec, exec, s[8:9]
	s_movk_i32 s7, 0xff
	v_and_b32_sdwa v13, v2, s7 dst_sel:DWORD dst_unused:UNUSED_PAD src0_sel:WORD_1 src1_sel:DWORD
	v_lshrrev_b32_e32 v10, 16, v2
	v_cmp_ne_u16_e32 vcc, 0, v13
	s_and_saveexec_b64 s[8:9], vcc
	s_cbranch_execz .LBB554_707
; %bb.702:
	s_movk_i32 s7, 0x80
	v_cmp_ne_u16_e32 vcc, s7, v13
	v_bfrev_b32_e32 v11, 1
	s_and_saveexec_b64 s[10:11], vcc
	s_cbranch_execz .LBB554_706
; %bb.703:
	v_bfe_u32 v13, v2, 16, 7
	s_movk_i32 s7, 0x7f
	v_cmp_ne_u32_e32 vcc, s7, v13
	v_mov_b32_e32 v11, 0x7f800001
	s_and_saveexec_b64 s[12:13], vcc
	s_cbranch_execz .LBB554_705
; %bb.704:
	v_and_b32_e32 v14, 7, v10
	v_ffbh_u32_e32 v11, v14
	v_min_u32_e32 v17, 32, v11
	v_subrev_u32_e32 v11, 28, v17
	v_lshlrev_b64 v[10:11], v11, v[10:11]
	v_lshrrev_b32_e32 v16, 3, v13
	v_sub_u32_e32 v11, 29, v17
	v_and_b32_e32 v10, 7, v10
	v_cmp_gt_u32_e32 vcc, 8, v13
	v_mov_b32_e32 v13, 24
	v_cndmask_b32_e32 v11, v16, v11, vcc
	v_cndmask_b32_e32 v10, v14, v10, vcc
	v_lshlrev_b32_sdwa v13, v13, v2 dst_sel:DWORD dst_unused:UNUSED_PAD src0_sel:DWORD src1_sel:WORD_1
	v_bfrev_b32_e32 v14, 60
	v_lshlrev_b32_e32 v10, 20, v10
	v_and_b32_e32 v13, 0x80000000, v13
	v_lshl_add_u32 v11, v11, 23, v14
	v_or3_b32 v11, v13, v11, v10
.LBB554_705:
	s_or_b64 exec, exec, s[12:13]
.LBB554_706:
	s_or_b64 exec, exec, s[10:11]
.LBB554_707:
	s_or_b64 exec, exec, s[8:9]
	s_mov_b32 s7, 0xffffff
	v_cmp_lt_u32_e32 vcc, s7, v2
	v_mov_b32_e32 v13, 0
	v_mov_b32_e32 v14, 0
	s_and_saveexec_b64 s[8:9], vcc
	s_cbranch_execz .LBB554_713
; %bb.708:
	v_lshrrev_b32_e32 v10, 24, v2
	s_movk_i32 s7, 0x80
	v_cmp_ne_u32_e32 vcc, s7, v10
	v_bfrev_b32_e32 v14, 1
	s_and_saveexec_b64 s[10:11], vcc
	s_cbranch_execz .LBB554_712
; %bb.709:
	v_bfe_u32 v2, v2, 24, 7
	s_movk_i32 s7, 0x7f
	v_cmp_ne_u32_e32 vcc, s7, v2
	v_mov_b32_e32 v14, 0x7f800001
	s_and_saveexec_b64 s[12:13], vcc
	s_cbranch_execz .LBB554_711
; %bb.710:
	v_and_b32_e32 v14, 7, v10
	v_ffbh_u32_e32 v16, v14
	v_min_u32_e32 v19, 32, v16
	v_subrev_u32_e32 v16, 28, v19
	v_lshlrev_b64 v[16:17], v16, v[10:11]
	v_lshrrev_b32_e32 v18, 3, v2
	v_sub_u32_e32 v17, 29, v19
	v_and_b32_e32 v16, 7, v16
	v_cmp_gt_u32_e32 vcc, 8, v2
	v_cndmask_b32_e32 v2, v18, v17, vcc
	v_cndmask_b32_e32 v14, v14, v16, vcc
	v_lshlrev_b32_e32 v10, 24, v10
	v_bfrev_b32_e32 v16, 60
	v_lshlrev_b32_e32 v14, 20, v14
	v_and_b32_e32 v10, 0x80000000, v10
	v_lshl_add_u32 v2, v2, 23, v16
	v_or3_b32 v14, v10, v2, v14
.LBB554_711:
	s_or_b64 exec, exec, s[12:13]
.LBB554_712:
	s_or_b64 exec, exec, s[10:11]
.LBB554_713:
	s_or_b64 exec, exec, s[8:9]
	v_cmp_ne_u16_sdwa s[10:11], v3, v13 src0_sel:BYTE_0 src1_sel:DWORD
	s_and_saveexec_b64 s[8:9], s[10:11]
	s_cbranch_execz .LBB554_719
; %bb.714:
	s_movk_i32 s7, 0x80
	v_cmp_ne_u16_sdwa s[12:13], v3, s7 src0_sel:BYTE_0 src1_sel:DWORD
	v_bfrev_b32_e32 v13, 1
	s_and_saveexec_b64 s[10:11], s[12:13]
	s_cbranch_execz .LBB554_718
; %bb.715:
	s_movk_i32 s7, 0x7f
	v_and_b32_e32 v2, 0x7f, v3
	v_cmp_ne_u32_e32 vcc, s7, v2
	v_mov_b32_e32 v13, 0x7f800001
	s_and_saveexec_b64 s[12:13], vcc
	s_cbranch_execz .LBB554_717
; %bb.716:
	v_and_b32_e32 v13, 7, v3
	v_ffbh_u32_e32 v16, v13
	v_min_u32_e32 v19, 32, v16
	v_mov_b32_e32 v10, v3
	v_subrev_u32_e32 v16, 28, v19
	v_lshlrev_b64 v[16:17], v16, v[10:11]
	v_lshrrev_b32_e32 v18, 3, v2
	v_sub_u32_e32 v10, 29, v19
	v_and_b32_e32 v16, 7, v16
	v_cmp_gt_u32_e32 vcc, 8, v2
	v_cndmask_b32_e32 v2, v18, v10, vcc
	v_cndmask_b32_e32 v10, v13, v16, vcc
	v_lshlrev_b32_e32 v13, 24, v3
	v_bfrev_b32_e32 v16, 60
	v_lshlrev_b32_e32 v10, 20, v10
	v_and_b32_e32 v13, 0x80000000, v13
	v_lshl_add_u32 v2, v2, 23, v16
	v_or3_b32 v13, v13, v2, v10
.LBB554_717:
	s_or_b64 exec, exec, s[12:13]
.LBB554_718:
	s_or_b64 exec, exec, s[10:11]
.LBB554_719:
	s_or_b64 exec, exec, s[8:9]
	v_lshrrev_b16_e32 v2, 8, v3
	v_cmp_ne_u16_e32 vcc, 0, v2
	v_mov_b32_e32 v16, 0
	v_mov_b32_e32 v17, 0
	s_and_saveexec_b64 s[8:9], vcc
	s_cbranch_execz .LBB554_725
; %bb.720:
	s_movk_i32 s7, 0x80
	v_cmp_ne_u16_e32 vcc, s7, v2
	v_bfrev_b32_e32 v17, 1
	s_and_saveexec_b64 s[10:11], vcc
	s_cbranch_execz .LBB554_724
; %bb.721:
	s_movk_i32 s7, 0x7f
	v_and_b32_e32 v10, 0x7f, v2
	v_cmp_ne_u32_e32 vcc, s7, v10
	v_mov_b32_e32 v17, 0x7f800001
	s_and_saveexec_b64 s[12:13], vcc
	s_cbranch_execz .LBB554_723
; %bb.722:
	v_and_b32_e32 v17, 7, v2
	v_ffbh_u32_e32 v18, v17
	v_min_u32_e32 v21, 32, v18
	v_subrev_u32_e32 v18, 28, v21
	v_lshlrev_b64 v[18:19], v18, v[2:3]
	v_lshrrev_b32_e32 v20, 3, v10
	v_sub_u32_e32 v2, 29, v21
	v_and_b32_e32 v18, 7, v18
	v_cmp_gt_u32_e32 vcc, 8, v10
	v_cndmask_b32_e32 v2, v20, v2, vcc
	v_cndmask_b32_e32 v10, v17, v18, vcc
	v_lshlrev_b32_e32 v17, 16, v3
	v_bfrev_b32_e32 v18, 60
	v_lshlrev_b32_e32 v10, 20, v10
	v_and_b32_e32 v17, 0x80000000, v17
	v_lshl_add_u32 v2, v2, 23, v18
	v_or3_b32 v17, v17, v2, v10
.LBB554_723:
	s_or_b64 exec, exec, s[12:13]
.LBB554_724:
	s_or_b64 exec, exec, s[10:11]
.LBB554_725:
	s_or_b64 exec, exec, s[8:9]
	s_movk_i32 s7, 0xff
	v_and_b32_sdwa v10, v3, s7 dst_sel:DWORD dst_unused:UNUSED_PAD src0_sel:WORD_1 src1_sel:DWORD
	v_lshrrev_b32_e32 v2, 16, v3
	v_cmp_ne_u16_e32 vcc, 0, v10
	s_and_saveexec_b64 s[8:9], vcc
	s_cbranch_execz .LBB554_731
; %bb.726:
	s_movk_i32 s7, 0x80
	v_cmp_ne_u16_e32 vcc, s7, v10
	v_bfrev_b32_e32 v16, 1
	s_and_saveexec_b64 s[10:11], vcc
	s_cbranch_execz .LBB554_730
; %bb.727:
	v_bfe_u32 v10, v3, 16, 7
	s_movk_i32 s7, 0x7f
	v_cmp_ne_u32_e32 vcc, s7, v10
	v_mov_b32_e32 v16, 0x7f800001
	s_and_saveexec_b64 s[12:13], vcc
	s_cbranch_execz .LBB554_729
; %bb.728:
	v_and_b32_e32 v16, 7, v2
	v_ffbh_u32_e32 v18, v16
	v_min_u32_e32 v21, 32, v18
	v_subrev_u32_e32 v18, 28, v21
	v_lshlrev_b64 v[18:19], v18, v[2:3]
	v_and_b32_e32 v18, 7, v18
	v_cmp_gt_u32_e32 vcc, 8, v10
	v_lshrrev_b32_e32 v20, 3, v10
	v_sub_u32_e32 v2, 29, v21
	v_cndmask_b32_e32 v10, v16, v18, vcc
	v_mov_b32_e32 v16, 24
	v_cndmask_b32_e32 v2, v20, v2, vcc
	v_lshlrev_b32_sdwa v16, v16, v3 dst_sel:DWORD dst_unused:UNUSED_PAD src0_sel:DWORD src1_sel:WORD_1
	v_bfrev_b32_e32 v18, 60
	v_lshlrev_b32_e32 v10, 20, v10
	v_and_b32_e32 v16, 0x80000000, v16
	v_lshl_add_u32 v2, v2, 23, v18
	v_or3_b32 v16, v16, v2, v10
.LBB554_729:
	s_or_b64 exec, exec, s[12:13]
.LBB554_730:
	s_or_b64 exec, exec, s[10:11]
.LBB554_731:
	s_or_b64 exec, exec, s[8:9]
	s_mov_b32 s7, 0xffffff
	v_cmp_lt_u32_e32 vcc, s7, v3
	v_mov_b32_e32 v10, 0
	v_mov_b32_e32 v18, 0
	s_and_saveexec_b64 s[8:9], vcc
	s_cbranch_execz .LBB554_737
; %bb.732:
	v_lshrrev_b32_e32 v2, 24, v3
	s_movk_i32 s7, 0x80
	v_cmp_ne_u32_e32 vcc, s7, v2
	v_bfrev_b32_e32 v18, 1
	s_and_saveexec_b64 s[10:11], vcc
	s_cbranch_execz .LBB554_736
; %bb.733:
	v_bfe_u32 v3, v3, 24, 7
	s_movk_i32 s7, 0x7f
	v_cmp_ne_u32_e32 vcc, s7, v3
	v_mov_b32_e32 v18, 0x7f800001
	s_and_saveexec_b64 s[12:13], vcc
	s_cbranch_execz .LBB554_735
; %bb.734:
	v_and_b32_e32 v20, 7, v2
	v_ffbh_u32_e32 v18, v20
	v_min_u32_e32 v23, 32, v18
	v_subrev_u32_e32 v18, 28, v23
	v_lshlrev_b64 v[18:19], v18, v[2:3]
	v_lshrrev_b32_e32 v21, 3, v3
	v_sub_u32_e32 v19, 29, v23
	v_and_b32_e32 v18, 7, v18
	v_cmp_gt_u32_e32 vcc, 8, v3
	v_cndmask_b32_e32 v3, v21, v19, vcc
	v_cndmask_b32_e32 v18, v20, v18, vcc
	v_lshlrev_b32_e32 v2, 24, v2
	v_bfrev_b32_e32 v19, 60
	v_lshlrev_b32_e32 v18, 20, v18
	v_and_b32_e32 v2, 0x80000000, v2
	v_lshl_add_u32 v3, v3, 23, v19
	v_or3_b32 v18, v2, v3, v18
.LBB554_735:
	s_or_b64 exec, exec, s[12:13]
.LBB554_736:
	s_or_b64 exec, exec, s[10:11]
.LBB554_737:
	s_or_b64 exec, exec, s[8:9]
	v_cvt_pkrtz_f16_f32 v2, v15, v12
	v_cvt_pkrtz_f16_f32 v3, v11, v14
	ds_read_b128 v[28:31], v22 offset:6144
	v_cmp_ne_u16_sdwa s[10:11], v4, v10 src0_sel:BYTE_0 src1_sel:DWORD
	s_waitcnt lgkmcnt(0)
	v_mfma_f32_16x16x16f16 v[6:9], v[2:3], v[28:29], v[6:9]
	v_cvt_pkrtz_f16_f32 v2, v13, v17
	v_cvt_pkrtz_f16_f32 v3, v16, v18
	s_nop 1
	v_mfma_f32_16x16x16f16 v[6:9], v[2:3], v[30:31], v[6:9]
	s_and_saveexec_b64 s[8:9], s[10:11]
	s_cbranch_execz .LBB554_743
; %bb.738:
	s_movk_i32 s7, 0x80
	v_cmp_ne_u16_sdwa s[12:13], v4, s7 src0_sel:BYTE_0 src1_sel:DWORD
	v_bfrev_b32_e32 v10, 1
	s_and_saveexec_b64 s[10:11], s[12:13]
	s_cbranch_execz .LBB554_742
; %bb.739:
	s_movk_i32 s7, 0x7f
	v_and_b32_e32 v2, 0x7f, v4
	v_cmp_ne_u32_e32 vcc, s7, v2
	v_mov_b32_e32 v10, 0x7f800001
	s_and_saveexec_b64 s[12:13], vcc
	s_cbranch_execz .LBB554_741
; %bb.740:
	v_and_b32_e32 v3, 7, v4
	v_ffbh_u32_e32 v10, v3
	v_min_u32_e32 v13, 32, v10
	v_subrev_u32_e32 v10, 28, v13
	v_lshlrev_b64 v[10:11], v10, v[4:5]
	v_lshrrev_b32_e32 v12, 3, v2
	v_sub_u32_e32 v11, 29, v13
	v_and_b32_e32 v10, 7, v10
	v_cmp_gt_u32_e32 vcc, 8, v2
	v_cndmask_b32_e32 v2, v12, v11, vcc
	v_cndmask_b32_e32 v3, v3, v10, vcc
	v_lshlrev_b32_e32 v10, 24, v4
	v_bfrev_b32_e32 v11, 60
	v_lshlrev_b32_e32 v3, 20, v3
	v_and_b32_e32 v10, 0x80000000, v10
	v_lshl_add_u32 v2, v2, 23, v11
	v_or3_b32 v10, v10, v2, v3
.LBB554_741:
	s_or_b64 exec, exec, s[12:13]
.LBB554_742:
	s_or_b64 exec, exec, s[10:11]
.LBB554_743:
	s_or_b64 exec, exec, s[8:9]
	v_lshrrev_b16_e32 v2, 8, v4
	v_cmp_ne_u16_e32 vcc, 0, v2
	v_mov_b32_e32 v3, 0
	v_mov_b32_e32 v11, 0
	s_and_saveexec_b64 s[8:9], vcc
	s_cbranch_execz .LBB554_749
; %bb.744:
	s_movk_i32 s7, 0x80
	v_cmp_ne_u16_e32 vcc, s7, v2
	v_bfrev_b32_e32 v11, 1
	s_and_saveexec_b64 s[10:11], vcc
	s_cbranch_execz .LBB554_748
; %bb.745:
	s_movk_i32 s7, 0x7f
	v_and_b32_e32 v12, 0x7f, v2
	v_cmp_ne_u32_e32 vcc, s7, v12
	v_mov_b32_e32 v11, 0x7f800001
	s_and_saveexec_b64 s[12:13], vcc
	s_cbranch_execz .LBB554_747
; %bb.746:
	v_and_b32_e32 v11, 7, v2
	v_ffbh_u32_e32 v14, v11
	v_min_u32_e32 v16, 32, v14
	v_subrev_u32_e32 v14, 28, v16
	v_lshlrev_b64 v[14:15], v14, v[2:3]
	v_lshrrev_b32_e32 v13, 3, v12
	v_sub_u32_e32 v2, 29, v16
	v_and_b32_e32 v14, 7, v14
	v_cmp_gt_u32_e32 vcc, 8, v12
	v_cndmask_b32_e32 v2, v13, v2, vcc
	v_cndmask_b32_e32 v11, v11, v14, vcc
	v_lshlrev_b32_e32 v12, 16, v4
	v_bfrev_b32_e32 v13, 60
	v_lshlrev_b32_e32 v11, 20, v11
	v_and_b32_e32 v12, 0x80000000, v12
	v_lshl_add_u32 v2, v2, 23, v13
	v_or3_b32 v11, v12, v2, v11
.LBB554_747:
	s_or_b64 exec, exec, s[12:13]
.LBB554_748:
	s_or_b64 exec, exec, s[10:11]
.LBB554_749:
	s_or_b64 exec, exec, s[8:9]
	s_movk_i32 s7, 0xff
	v_and_b32_sdwa v12, v4, s7 dst_sel:DWORD dst_unused:UNUSED_PAD src0_sel:WORD_1 src1_sel:DWORD
	v_lshrrev_b32_e32 v2, 16, v4
	v_cmp_ne_u16_e32 vcc, 0, v12
	s_and_saveexec_b64 s[8:9], vcc
	s_cbranch_execz .LBB554_755
; %bb.750:
	s_movk_i32 s7, 0x80
	v_cmp_ne_u16_e32 vcc, s7, v12
	v_bfrev_b32_e32 v3, 1
	s_and_saveexec_b64 s[10:11], vcc
	s_cbranch_execz .LBB554_754
; %bb.751:
	v_bfe_u32 v12, v4, 16, 7
	s_movk_i32 s7, 0x7f
	v_cmp_ne_u32_e32 vcc, s7, v12
	v_mov_b32_e32 v3, 0x7f800001
	s_and_saveexec_b64 s[12:13], vcc
	s_cbranch_execz .LBB554_753
; %bb.752:
	v_and_b32_e32 v13, 7, v2
	v_ffbh_u32_e32 v3, v13
	v_min_u32_e32 v15, 32, v3
	v_subrev_u32_e32 v3, 28, v15
	v_lshlrev_b64 v[2:3], v3, v[2:3]
	v_lshrrev_b32_e32 v14, 3, v12
	v_sub_u32_e32 v3, 29, v15
	v_and_b32_e32 v2, 7, v2
	v_cmp_gt_u32_e32 vcc, 8, v12
	v_mov_b32_e32 v12, 24
	v_cndmask_b32_e32 v3, v14, v3, vcc
	v_cndmask_b32_e32 v2, v13, v2, vcc
	v_lshlrev_b32_sdwa v12, v12, v4 dst_sel:DWORD dst_unused:UNUSED_PAD src0_sel:DWORD src1_sel:WORD_1
	v_bfrev_b32_e32 v13, 60
	v_lshlrev_b32_e32 v2, 20, v2
	v_and_b32_e32 v12, 0x80000000, v12
	v_lshl_add_u32 v3, v3, 23, v13
	v_or3_b32 v3, v12, v3, v2
.LBB554_753:
	s_or_b64 exec, exec, s[12:13]
.LBB554_754:
	s_or_b64 exec, exec, s[10:11]
.LBB554_755:
	s_or_b64 exec, exec, s[8:9]
	s_mov_b32 s7, 0xffffff
	v_cmp_lt_u32_e32 vcc, s7, v4
	v_mov_b32_e32 v12, 0
	v_mov_b32_e32 v13, 0
	s_and_saveexec_b64 s[8:9], vcc
	s_cbranch_execz .LBB554_761
; %bb.756:
	v_lshrrev_b32_e32 v2, 24, v4
	s_movk_i32 s7, 0x80
	v_cmp_ne_u32_e32 vcc, s7, v2
	v_bfrev_b32_e32 v13, 1
	s_and_saveexec_b64 s[10:11], vcc
	s_cbranch_execz .LBB554_760
; %bb.757:
	v_bfe_u32 v4, v4, 24, 7
	s_movk_i32 s7, 0x7f
	v_cmp_ne_u32_e32 vcc, s7, v4
	v_mov_b32_e32 v13, 0x7f800001
	s_and_saveexec_b64 s[12:13], vcc
	s_cbranch_execz .LBB554_759
; %bb.758:
	v_and_b32_e32 v13, 7, v2
	v_ffbh_u32_e32 v14, v13
	v_min_u32_e32 v17, 32, v14
	v_subrev_u32_e32 v14, 28, v17
	v_lshlrev_b64 v[14:15], v14, v[2:3]
	v_lshrrev_b32_e32 v16, 3, v4
	v_sub_u32_e32 v15, 29, v17
	v_and_b32_e32 v14, 7, v14
	v_cmp_gt_u32_e32 vcc, 8, v4
	v_cndmask_b32_e32 v4, v16, v15, vcc
	v_cndmask_b32_e32 v13, v13, v14, vcc
	v_lshlrev_b32_e32 v2, 24, v2
	v_bfrev_b32_e32 v14, 60
	v_lshlrev_b32_e32 v13, 20, v13
	v_and_b32_e32 v2, 0x80000000, v2
	v_lshl_add_u32 v4, v4, 23, v14
	v_or3_b32 v13, v2, v4, v13
.LBB554_759:
	s_or_b64 exec, exec, s[12:13]
.LBB554_760:
	s_or_b64 exec, exec, s[10:11]
.LBB554_761:
	s_or_b64 exec, exec, s[8:9]
	v_cmp_ne_u16_sdwa s[10:11], v5, v12 src0_sel:BYTE_0 src1_sel:DWORD
	s_and_saveexec_b64 s[8:9], s[10:11]
	s_cbranch_execz .LBB554_767
; %bb.762:
	s_movk_i32 s7, 0x80
	v_cmp_ne_u16_sdwa s[12:13], v5, s7 src0_sel:BYTE_0 src1_sel:DWORD
	v_bfrev_b32_e32 v12, 1
	s_and_saveexec_b64 s[10:11], s[12:13]
	s_cbranch_execz .LBB554_766
; %bb.763:
	s_movk_i32 s7, 0x7f
	v_and_b32_e32 v2, 0x7f, v5
	v_cmp_ne_u32_e32 vcc, s7, v2
	v_mov_b32_e32 v12, 0x7f800001
	s_and_saveexec_b64 s[12:13], vcc
	s_cbranch_execz .LBB554_765
; %bb.764:
	v_and_b32_e32 v12, 7, v5
	v_ffbh_u32_e32 v14, v12
	v_min_u32_e32 v17, 32, v14
	v_mov_b32_e32 v4, v5
	v_subrev_u32_e32 v14, 28, v17
	v_lshlrev_b64 v[14:15], v14, v[4:5]
	v_lshrrev_b32_e32 v16, 3, v2
	v_sub_u32_e32 v4, 29, v17
	v_and_b32_e32 v14, 7, v14
	v_cmp_gt_u32_e32 vcc, 8, v2
	v_cndmask_b32_e32 v2, v16, v4, vcc
	v_cndmask_b32_e32 v4, v12, v14, vcc
	v_lshlrev_b32_e32 v12, 24, v5
	v_bfrev_b32_e32 v14, 60
	v_lshlrev_b32_e32 v4, 20, v4
	v_and_b32_e32 v12, 0x80000000, v12
	v_lshl_add_u32 v2, v2, 23, v14
	v_or3_b32 v12, v12, v2, v4
.LBB554_765:
	s_or_b64 exec, exec, s[12:13]
.LBB554_766:
	s_or_b64 exec, exec, s[10:11]
.LBB554_767:
	s_or_b64 exec, exec, s[8:9]
	v_lshrrev_b16_e32 v2, 8, v5
	v_cmp_ne_u16_e32 vcc, 0, v2
	v_mov_b32_e32 v4, 0
	v_mov_b32_e32 v14, 0
	s_and_saveexec_b64 s[8:9], vcc
	s_cbranch_execz .LBB554_773
; %bb.768:
	s_movk_i32 s7, 0x80
	v_cmp_ne_u16_e32 vcc, s7, v2
	v_bfrev_b32_e32 v14, 1
	s_and_saveexec_b64 s[10:11], vcc
	s_cbranch_execz .LBB554_772
; %bb.769:
	s_movk_i32 s7, 0x7f
	v_and_b32_e32 v15, 0x7f, v2
	v_cmp_ne_u32_e32 vcc, s7, v15
	v_mov_b32_e32 v14, 0x7f800001
	s_and_saveexec_b64 s[12:13], vcc
	s_cbranch_execz .LBB554_771
; %bb.770:
	v_and_b32_e32 v14, 7, v2
	v_ffbh_u32_e32 v16, v14
	v_min_u32_e32 v19, 32, v16
	v_subrev_u32_e32 v16, 28, v19
	v_lshlrev_b64 v[16:17], v16, v[2:3]
	v_lshrrev_b32_e32 v18, 3, v15
	v_sub_u32_e32 v2, 29, v19
	v_and_b32_e32 v16, 7, v16
	v_cmp_gt_u32_e32 vcc, 8, v15
	v_cndmask_b32_e32 v2, v18, v2, vcc
	v_cndmask_b32_e32 v14, v14, v16, vcc
	v_lshlrev_b32_e32 v15, 16, v5
	v_bfrev_b32_e32 v16, 60
	v_lshlrev_b32_e32 v14, 20, v14
	v_and_b32_e32 v15, 0x80000000, v15
	v_lshl_add_u32 v2, v2, 23, v16
	v_or3_b32 v14, v15, v2, v14
.LBB554_771:
	s_or_b64 exec, exec, s[12:13]
.LBB554_772:
	s_or_b64 exec, exec, s[10:11]
.LBB554_773:
	s_or_b64 exec, exec, s[8:9]
	s_movk_i32 s7, 0xff
	v_and_b32_sdwa v15, v5, s7 dst_sel:DWORD dst_unused:UNUSED_PAD src0_sel:WORD_1 src1_sel:DWORD
	v_lshrrev_b32_e32 v2, 16, v5
	v_cmp_ne_u16_e32 vcc, 0, v15
	s_and_saveexec_b64 s[8:9], vcc
	s_cbranch_execz .LBB554_779
; %bb.774:
	s_movk_i32 s7, 0x80
	v_cmp_ne_u16_e32 vcc, s7, v15
	v_bfrev_b32_e32 v4, 1
	s_and_saveexec_b64 s[10:11], vcc
	s_cbranch_execz .LBB554_778
; %bb.775:
	v_bfe_u32 v15, v5, 16, 7
	s_movk_i32 s7, 0x7f
	v_cmp_ne_u32_e32 vcc, s7, v15
	v_mov_b32_e32 v4, 0x7f800001
	s_and_saveexec_b64 s[12:13], vcc
	s_cbranch_execz .LBB554_777
; %bb.776:
	v_and_b32_e32 v4, 7, v2
	v_ffbh_u32_e32 v16, v4
	v_min_u32_e32 v19, 32, v16
	v_subrev_u32_e32 v16, 28, v19
	v_lshlrev_b64 v[16:17], v16, v[2:3]
	v_lshrrev_b32_e32 v18, 3, v15
	v_sub_u32_e32 v2, 29, v19
	v_and_b32_e32 v16, 7, v16
	v_cmp_gt_u32_e32 vcc, 8, v15
	v_mov_b32_e32 v15, 24
	v_cndmask_b32_e32 v2, v18, v2, vcc
	v_cndmask_b32_e32 v4, v4, v16, vcc
	v_lshlrev_b32_sdwa v15, v15, v5 dst_sel:DWORD dst_unused:UNUSED_PAD src0_sel:DWORD src1_sel:WORD_1
	v_bfrev_b32_e32 v16, 60
	v_lshlrev_b32_e32 v4, 20, v4
	v_and_b32_e32 v15, 0x80000000, v15
	v_lshl_add_u32 v2, v2, 23, v16
	v_or3_b32 v4, v15, v2, v4
.LBB554_777:
	s_or_b64 exec, exec, s[12:13]
.LBB554_778:
	s_or_b64 exec, exec, s[10:11]
.LBB554_779:
	s_or_b64 exec, exec, s[8:9]
	s_mov_b32 s7, 0xffffff
	v_cmp_lt_u32_e32 vcc, s7, v5
	v_mov_b32_e32 v15, 0
	s_and_saveexec_b64 s[8:9], vcc
	s_cbranch_execz .LBB554_785
; %bb.780:
	v_lshrrev_b32_e32 v2, 24, v5
	s_movk_i32 s7, 0x80
	v_cmp_ne_u32_e32 vcc, s7, v2
	v_bfrev_b32_e32 v15, 1
	s_and_saveexec_b64 s[10:11], vcc
	s_cbranch_execz .LBB554_784
; %bb.781:
	v_bfe_u32 v5, v5, 24, 7
	s_movk_i32 s7, 0x7f
	v_cmp_ne_u32_e32 vcc, s7, v5
	v_mov_b32_e32 v15, 0x7f800001
	s_and_saveexec_b64 s[12:13], vcc
	s_cbranch_execz .LBB554_783
; %bb.782:
	v_and_b32_e32 v15, 7, v2
	v_ffbh_u32_e32 v16, v15
	v_min_u32_e32 v19, 32, v16
	v_subrev_u32_e32 v16, 28, v19
	v_lshlrev_b64 v[16:17], v16, v[2:3]
	v_lshrrev_b32_e32 v18, 3, v5
	v_sub_u32_e32 v17, 29, v19
	v_and_b32_e32 v16, 7, v16
	v_cmp_gt_u32_e32 vcc, 8, v5
	v_cndmask_b32_e32 v5, v18, v17, vcc
	v_cndmask_b32_e32 v15, v15, v16, vcc
	v_lshlrev_b32_e32 v2, 24, v2
	v_bfrev_b32_e32 v16, 60
	v_lshlrev_b32_e32 v15, 20, v15
	v_and_b32_e32 v2, 0x80000000, v2
	v_lshl_add_u32 v5, v5, 23, v16
	v_or3_b32 v15, v2, v5, v15
.LBB554_783:
	s_or_b64 exec, exec, s[12:13]
.LBB554_784:
	s_or_b64 exec, exec, s[10:11]
.LBB554_785:
	s_or_b64 exec, exec, s[8:9]
	v_cvt_pkrtz_f16_f32 v2, v10, v11
	v_cvt_pkrtz_f16_f32 v3, v3, v13
	ds_read_b128 v[16:19], v22 offset:6160
	s_load_dword s8, s[42:43], 0x0
	v_cmp_gt_u32_e32 vcc, 64, v0
	s_waitcnt lgkmcnt(0)
	v_mfma_f32_16x16x16f16 v[6:9], v[2:3], v[16:17], v[6:9]
	v_cvt_pkrtz_f16_f32 v2, v12, v14
	v_cvt_pkrtz_f16_f32 v3, v4, v15
	s_and_b64 s[0:1], vcc, s[0:1]
	s_barrier
	v_mfma_f32_16x16x16f16 v[2:5], v[2:3], v[18:19], v[6:9]
	s_nop 7
	s_nop 2
	v_pk_mul_f32 v[4:5], v[4:5], s[8:9] op_sel_hi:[1,0]
	v_pk_mul_f32 v[2:3], v[2:3], s[8:9] op_sel_hi:[1,0]
	v_cvt_f16_f32_e32 v2, v2
	v_cvt_f16_f32_e32 v3, v3
	;; [unrolled: 1-line block ×4, first 2 shown]
	v_pack_b32_f16 v2, v2, v3
	v_pack_b32_f16 v3, v4, v5
	ds_write_b64 v26, v[2:3]
	s_waitcnt lgkmcnt(0)
	s_barrier
	s_and_saveexec_b64 s[8:9], s[0:1]
	s_cbranch_execz .LBB554_788
; %bb.786:
	s_load_dwordx2 s[4:5], s[4:5], 0x68
	s_lshl_b32 s0, s44, 6
	s_mul_i32 s1, s14, s6
	s_mul_hi_u32 s9, s1, s0
	s_mul_i32 s8, s1, s0
	s_lshl_b64 s[8:9], s[8:9], 1
	s_waitcnt lgkmcnt(0)
	s_add_u32 s1, s4, s8
	v_lshlrev_b32_e32 v0, 10, v0
	s_mov_b32 s7, 0
	s_addc_u32 s8, s5, s9
	s_lshl_b32 s6, s24, 6
	v_and_b32_e32 v0, 0x1800, v0
	v_lshlrev_b32_e32 v2, 5, v1
	v_and_b32_e32 v3, 16, v47
	s_lshl_b64 s[4:5], s[6:7], 1
	v_or3_b32 v0, v0, v2, v3
	s_add_u32 s1, s1, s4
	ds_read_b128 v[4:7], v0 offset:256
	s_addc_u32 s4, s8, s5
	ds_read_b128 v[8:11], v0 offset:128
	ds_read_b128 v[12:15], v0
	v_add_u32_e32 v18, s25, v1
	v_mov_b32_e32 v3, s4
	v_add_co_u32_e32 v2, vcc, s1, v46
	v_mad_u64_u32 v[16:17], s[4:5], v18, s0, 0
	v_addc_co_u32_e32 v3, vcc, 0, v3, vcc
	v_lshlrev_b64 v[16:17], 1, v[16:17]
	v_add_co_u32_e32 v16, vcc, v2, v16
	v_addc_co_u32_e32 v17, vcc, v3, v17, vcc
	s_waitcnt lgkmcnt(0)
	global_store_dwordx4 v[16:17], v[12:15], off
	s_nop 0
	v_add_u32_e32 v12, 4, v18
	v_mad_u64_u32 v[12:13], s[4:5], v12, s0, 0
	v_lshlrev_b64 v[12:13], 1, v[12:13]
	v_add_co_u32_e32 v12, vcc, v2, v12
	v_addc_co_u32_e32 v13, vcc, v3, v13, vcc
	global_store_dwordx4 v[12:13], v[8:11], off
	s_nop 0
	v_add_u32_e32 v8, 8, v18
	v_mad_u64_u32 v[8:9], s[4:5], v8, s0, 0
	v_lshlrev_b64 v[8:9], 1, v[8:9]
	v_add_co_u32_e32 v8, vcc, v2, v8
	v_addc_co_u32_e32 v9, vcc, v3, v9, vcc
	global_store_dwordx4 v[8:9], v[4:7], off
	s_and_b64 exec, exec, s[2:3]
	s_cbranch_execz .LBB554_788
; %bb.787:
	ds_read_b128 v[4:7], v0 offset:384
	v_add3_u32 v0, s25, v1, 12
	v_mad_u64_u32 v[0:1], s[0:1], v0, s0, 0
	v_lshlrev_b64 v[0:1], 1, v[0:1]
	v_add_co_u32_e32 v0, vcc, v2, v0
	v_addc_co_u32_e32 v1, vcc, v3, v1, vcc
	s_waitcnt lgkmcnt(0)
	global_store_dwordx4 v[0:1], v[4:7], off
.LBB554_788:
	s_endpgm
	.section	.rodata,"a",@progbits
	.p2align	6, 0x0
	.amdhsa_kernel _Z39paged_attention_ll4mi_QKV_mfma16_kernelIDF16_hLN4vllm18Fp8KVCacheDataTypeE1EDF16_Li16ELi64ELi256ELb1ELi13EL8MFMAType0EEvPKT_PKT0_S8_ifPKiSA_SA_iPKfiiiPfSD_PS3_PT2_iSC_SC_
		.amdhsa_group_segment_fixed_size 8192
		.amdhsa_private_segment_fixed_size 0
		.amdhsa_kernarg_size 400
		.amdhsa_user_sgpr_count 6
		.amdhsa_user_sgpr_private_segment_buffer 1
		.amdhsa_user_sgpr_dispatch_ptr 0
		.amdhsa_user_sgpr_queue_ptr 0
		.amdhsa_user_sgpr_kernarg_segment_ptr 1
		.amdhsa_user_sgpr_dispatch_id 0
		.amdhsa_user_sgpr_flat_scratch_init 0
		.amdhsa_user_sgpr_kernarg_preload_length 0
		.amdhsa_user_sgpr_kernarg_preload_offset 0
		.amdhsa_user_sgpr_private_segment_size 0
		.amdhsa_uses_dynamic_stack 0
		.amdhsa_system_sgpr_private_segment_wavefront_offset 0
		.amdhsa_system_sgpr_workgroup_id_x 1
		.amdhsa_system_sgpr_workgroup_id_y 1
		.amdhsa_system_sgpr_workgroup_id_z 1
		.amdhsa_system_sgpr_workgroup_info 0
		.amdhsa_system_vgpr_workitem_id 0
		.amdhsa_next_free_vgpr 62
		.amdhsa_next_free_sgpr 47
		.amdhsa_accum_offset 64
		.amdhsa_reserve_vcc 1
		.amdhsa_reserve_flat_scratch 0
		.amdhsa_float_round_mode_32 0
		.amdhsa_float_round_mode_16_64 0
		.amdhsa_float_denorm_mode_32 3
		.amdhsa_float_denorm_mode_16_64 3
		.amdhsa_dx10_clamp 1
		.amdhsa_ieee_mode 1
		.amdhsa_fp16_overflow 0
		.amdhsa_tg_split 0
		.amdhsa_exception_fp_ieee_invalid_op 0
		.amdhsa_exception_fp_denorm_src 0
		.amdhsa_exception_fp_ieee_div_zero 0
		.amdhsa_exception_fp_ieee_overflow 0
		.amdhsa_exception_fp_ieee_underflow 0
		.amdhsa_exception_fp_ieee_inexact 0
		.amdhsa_exception_int_div_zero 0
	.end_amdhsa_kernel
	.section	.text._Z39paged_attention_ll4mi_QKV_mfma16_kernelIDF16_hLN4vllm18Fp8KVCacheDataTypeE1EDF16_Li16ELi64ELi256ELb1ELi13EL8MFMAType0EEvPKT_PKT0_S8_ifPKiSA_SA_iPKfiiiPfSD_PS3_PT2_iSC_SC_,"axG",@progbits,_Z39paged_attention_ll4mi_QKV_mfma16_kernelIDF16_hLN4vllm18Fp8KVCacheDataTypeE1EDF16_Li16ELi64ELi256ELb1ELi13EL8MFMAType0EEvPKT_PKT0_S8_ifPKiSA_SA_iPKfiiiPfSD_PS3_PT2_iSC_SC_,comdat
.Lfunc_end554:
	.size	_Z39paged_attention_ll4mi_QKV_mfma16_kernelIDF16_hLN4vllm18Fp8KVCacheDataTypeE1EDF16_Li16ELi64ELi256ELb1ELi13EL8MFMAType0EEvPKT_PKT0_S8_ifPKiSA_SA_iPKfiiiPfSD_PS3_PT2_iSC_SC_, .Lfunc_end554-_Z39paged_attention_ll4mi_QKV_mfma16_kernelIDF16_hLN4vllm18Fp8KVCacheDataTypeE1EDF16_Li16ELi64ELi256ELb1ELi13EL8MFMAType0EEvPKT_PKT0_S8_ifPKiSA_SA_iPKfiiiPfSD_PS3_PT2_iSC_SC_
                                        ; -- End function
	.section	.AMDGPU.csdata,"",@progbits
; Kernel info:
; codeLenInByte = 27332
; NumSgprs: 51
; NumVgprs: 62
; NumAgprs: 0
; TotalNumVgprs: 62
; ScratchSize: 0
; MemoryBound: 0
; FloatMode: 240
; IeeeMode: 1
; LDSByteSize: 8192 bytes/workgroup (compile time only)
; SGPRBlocks: 6
; VGPRBlocks: 7
; NumSGPRsForWavesPerEU: 51
; NumVGPRsForWavesPerEU: 62
; AccumOffset: 64
; Occupancy: 8
; WaveLimiterHint : 1
; COMPUTE_PGM_RSRC2:SCRATCH_EN: 0
; COMPUTE_PGM_RSRC2:USER_SGPR: 6
; COMPUTE_PGM_RSRC2:TRAP_HANDLER: 0
; COMPUTE_PGM_RSRC2:TGID_X_EN: 1
; COMPUTE_PGM_RSRC2:TGID_Y_EN: 1
; COMPUTE_PGM_RSRC2:TGID_Z_EN: 1
; COMPUTE_PGM_RSRC2:TIDIG_COMP_CNT: 0
; COMPUTE_PGM_RSRC3_GFX90A:ACCUM_OFFSET: 15
; COMPUTE_PGM_RSRC3_GFX90A:TG_SPLIT: 0
	.section	.text._Z39paged_attention_ll4mi_QKV_mfma16_kernelIDF16_hLN4vllm18Fp8KVCacheDataTypeE1EDF16_Li16ELi64ELi256ELb1ELi14EL8MFMAType0EEvPKT_PKT0_S8_ifPKiSA_SA_iPKfiiiPfSD_PS3_PT2_iSC_SC_,"axG",@progbits,_Z39paged_attention_ll4mi_QKV_mfma16_kernelIDF16_hLN4vllm18Fp8KVCacheDataTypeE1EDF16_Li16ELi64ELi256ELb1ELi14EL8MFMAType0EEvPKT_PKT0_S8_ifPKiSA_SA_iPKfiiiPfSD_PS3_PT2_iSC_SC_,comdat
	.protected	_Z39paged_attention_ll4mi_QKV_mfma16_kernelIDF16_hLN4vllm18Fp8KVCacheDataTypeE1EDF16_Li16ELi64ELi256ELb1ELi14EL8MFMAType0EEvPKT_PKT0_S8_ifPKiSA_SA_iPKfiiiPfSD_PS3_PT2_iSC_SC_ ; -- Begin function _Z39paged_attention_ll4mi_QKV_mfma16_kernelIDF16_hLN4vllm18Fp8KVCacheDataTypeE1EDF16_Li16ELi64ELi256ELb1ELi14EL8MFMAType0EEvPKT_PKT0_S8_ifPKiSA_SA_iPKfiiiPfSD_PS3_PT2_iSC_SC_
	.globl	_Z39paged_attention_ll4mi_QKV_mfma16_kernelIDF16_hLN4vllm18Fp8KVCacheDataTypeE1EDF16_Li16ELi64ELi256ELb1ELi14EL8MFMAType0EEvPKT_PKT0_S8_ifPKiSA_SA_iPKfiiiPfSD_PS3_PT2_iSC_SC_
	.p2align	8
	.type	_Z39paged_attention_ll4mi_QKV_mfma16_kernelIDF16_hLN4vllm18Fp8KVCacheDataTypeE1EDF16_Li16ELi64ELi256ELb1ELi14EL8MFMAType0EEvPKT_PKT0_S8_ifPKiSA_SA_iPKfiiiPfSD_PS3_PT2_iSC_SC_,@function
_Z39paged_attention_ll4mi_QKV_mfma16_kernelIDF16_hLN4vllm18Fp8KVCacheDataTypeE1EDF16_Li16ELi64ELi256ELb1ELi14EL8MFMAType0EEvPKT_PKT0_S8_ifPKiSA_SA_iPKfiiiPfSD_PS3_PT2_iSC_SC_: ; @_Z39paged_attention_ll4mi_QKV_mfma16_kernelIDF16_hLN4vllm18Fp8KVCacheDataTypeE1EDF16_Li16ELi64ELi256ELb1ELi14EL8MFMAType0EEvPKT_PKT0_S8_ifPKiSA_SA_iPKfiiiPfSD_PS3_PT2_iSC_SC_
; %bb.0:
	s_load_dwordx2 s[0:1], s[4:5], 0x30
	s_mov_b32 s24, s7
	s_mov_b64 s[10:11], 0
	s_waitcnt lgkmcnt(0)
	s_cmp_lg_u64 s[0:1], 0
	s_cselect_b64 s[2:3], -1, 0
	s_and_b64 vcc, exec, s[2:3]
	s_cbranch_vccz .LBB555_7
; %bb.1:
	s_add_i32 s12, s6, 1
	s_mov_b32 s13, 0
	s_lshl_b64 s[14:15], s[12:13], 2
	s_add_u32 s14, s0, s14
	s_mov_b32 s7, s13
	s_addc_u32 s15, s1, s15
	s_lshl_b64 s[12:13], s[6:7], 2
	s_add_u32 s12, s0, s12
	s_addc_u32 s13, s1, s13
	s_load_dword s9, s[14:15], 0x0
	s_load_dword s16, s[12:13], 0x0
	s_waitcnt lgkmcnt(0)
	s_sub_i32 s9, s9, s16
	s_cmp_eq_u32 s9, 1
	s_cselect_b64 s[12:13], -1, 0
	s_andn2_b64 vcc, exec, s[10:11]
	s_cbranch_vccnz .LBB555_3
.LBB555_2:
	s_mov_b32 s7, 0
	s_mov_b64 s[12:13], -1
.LBB555_3:
	s_andn2_b64 vcc, exec, s[12:13]
	s_cbranch_vccnz .LBB555_788
; %bb.4:
	s_load_dwordx2 s[12:13], s[4:5], 0x28
	s_lshl_b64 s[10:11], s[6:7], 2
	s_waitcnt lgkmcnt(0)
	s_add_u32 s12, s12, s10
	s_addc_u32 s13, s13, s11
	s_load_dword s33, s[12:13], 0x0
	s_lshl_b32 s18, s24, 8
	s_waitcnt lgkmcnt(0)
	s_cmp_ge_i32 s18, s33
	s_cbranch_scc1 .LBB555_788
; %bb.5:
	s_add_i32 s14, s33, 15
	s_load_dwordx2 s[12:13], s[4:5], 0x20
	s_load_dword s9, s[4:5], 0x38
	s_ashr_i32 s15, s14, 31
	v_and_b32_e32 v1, 0xcf, v0
	s_lshr_b32 s15, s15, 28
	v_add_u32_e32 v1, s18, v1
	s_add_i32 s14, s14, s15
	v_ashrrev_i32_e32 v2, 31, v1
	s_ashr_i32 s21, s14, 4
	v_lshrrev_b32_e32 v4, 28, v2
	s_add_i32 s21, s21, -1
	v_add_u32_e32 v2, v1, v4
	s_waitcnt lgkmcnt(0)
	s_mul_i32 s14, s6, s9
	s_mov_b32 s15, 0
	v_ashrrev_i32_e32 v2, 4, v2
	v_mov_b32_e32 v5, s21
	v_cmp_gt_i32_e32 vcc, s33, v1
	s_lshl_b64 s[14:15], s[14:15], 2
	v_cndmask_b32_e32 v2, v5, v2, vcc
	s_add_u32 s19, s12, s14
	v_ashrrev_i32_e32 v3, 31, v2
	s_addc_u32 s20, s13, s15
	v_lshlrev_b64 v[2:3], 2, v[2:3]
	v_mov_b32_e32 v7, s20
	v_add_co_u32_e32 v6, vcc, s19, v2
	v_or_b32_e32 v2, 16, v1
	v_addc_co_u32_e32 v7, vcc, v7, v3, vcc
	v_add_u32_e32 v3, v2, v4
	v_ashrrev_i32_e32 v3, 4, v3
	v_cmp_gt_i32_e32 vcc, s33, v2
	v_cndmask_b32_e32 v2, v5, v3, vcc
	v_ashrrev_i32_e32 v3, 31, v2
	v_lshlrev_b64 v[2:3], 2, v[2:3]
	v_mov_b32_e32 v9, s20
	v_add_co_u32_e32 v8, vcc, s19, v2
	v_or_b32_e32 v2, 32, v1
	v_addc_co_u32_e32 v9, vcc, v9, v3, vcc
	v_add_u32_e32 v3, v2, v4
	v_ashrrev_i32_e32 v3, 4, v3
	v_cmp_gt_i32_e32 vcc, s33, v2
	v_cndmask_b32_e32 v2, v5, v3, vcc
	v_ashrrev_i32_e32 v3, 31, v2
	;; [unrolled: 10-line block ×3, first 2 shown]
	v_lshlrev_b64 v[2:3], 2, v[2:3]
	v_mov_b32_e32 v1, s20
	v_add_co_u32_e32 v12, vcc, s19, v2
	v_addc_co_u32_e32 v13, vcc, v1, v3, vcc
	global_load_dword v5, v[6:7], off
	global_load_dword v4, v[8:9], off
	;; [unrolled: 1-line block ×4, first 2 shown]
	s_load_dwordx2 s[16:17], s[4:5], 0x8
	s_andn2_b64 vcc, exec, s[2:3]
	s_cbranch_vccnz .LBB555_8
; %bb.6:
	s_add_u32 s0, s0, s10
	s_addc_u32 s1, s1, s11
	s_load_dword s9, s[0:1], 0x0
	s_branch .LBB555_9
.LBB555_7:
	s_mov_b64 s[12:13], 0
	s_branch .LBB555_2
.LBB555_8:
	s_mov_b32 s9, s6
.LBB555_9:
	s_load_dwordx2 s[2:3], s[4:5], 0x10
	s_load_dwordx4 s[12:15], s[4:5], 0x48
	v_lshrrev_b32_e32 v49, 6, v0
	v_bfe_u32 v1, v0, 4, 2
	v_lshl_or_b32 v6, v49, 2, v1
	v_and_b32_e32 v48, 15, v0
	v_lshlrev_b32_e32 v7, 3, v48
	v_cmp_gt_u32_e32 vcc, 14, v6
	v_cmp_gt_u32_e64 s[0:1], 8, v48
	s_mul_i32 s25, s8, 14
	s_and_b64 s[22:23], s[0:1], vcc
	v_lshlrev_b32_e32 v46, 1, v7
	v_lshlrev_b32_e32 v47, 4, v0
	s_and_saveexec_b64 s[10:11], s[22:23]
	s_cbranch_execz .LBB555_11
; %bb.10:
	s_load_dwordx2 s[22:23], s[4:5], 0x0
	s_waitcnt lgkmcnt(0)
	s_ashr_i32 s15, s12, 31
	s_mul_hi_u32 s26, s9, s12
	s_mul_i32 s15, s9, s15
	s_add_i32 s27, s26, s15
	s_mul_i32 s26, s9, s12
	s_lshl_b64 s[26:27], s[26:27], 1
	v_add_lshl_u32 v8, v6, s25, 6
	s_add_u32 s9, s22, s26
	v_ashrrev_i32_e32 v9, 31, v8
	s_addc_u32 s12, s23, s27
	v_lshlrev_b64 v[8:9], 1, v[8:9]
	v_mov_b32_e32 v7, s12
	v_add_co_u32_e32 v8, vcc, s9, v8
	v_addc_co_u32_e32 v7, vcc, v7, v9, vcc
	v_add_co_u32_e32 v8, vcc, v8, v46
	v_addc_co_u32_e32 v9, vcc, 0, v7, vcc
	global_load_dwordx4 v[8:11], v[8:9], off
	v_lshlrev_b32_e32 v12, 8, v48
	v_lshlrev_b32_e32 v6, 5, v6
	v_and_b32_e32 v7, 16, v47
	v_and_b32_e32 v12, 0xe00, v12
	v_or3_b32 v6, v12, v6, v7
	s_waitcnt vmcnt(0)
	ds_write_b128 v6, v[8:11]
.LBB555_11:
	s_or_b64 exec, exec, s[10:11]
	s_waitcnt lgkmcnt(0)
	s_mul_i32 s10, s8, s14
	s_add_u32 s8, s16, s10
	s_addc_u32 s9, s17, 0
	v_and_b32_e32 v7, 0xf0, v47
	v_and_b32_e32 v6, 48, v0
	v_mov_b32_e32 v8, s9
	v_add_co_u32_e32 v7, vcc, s8, v7
	v_addc_co_u32_e32 v9, vcc, 0, v8, vcc
	v_lshlrev_b32_e32 v8, 4, v6
	v_add_co_u32_e32 v8, vcc, v7, v8
	v_addc_co_u32_e32 v9, vcc, 0, v9, vcc
	s_waitcnt vmcnt(3)
	v_mad_i64_i32 v[10:11], s[8:9], v5, s13, v[8:9]
	s_waitcnt vmcnt(2)
	v_mad_i64_i32 v[4:5], s[8:9], v4, s13, v[8:9]
	s_barrier
	global_load_dwordx4 v[34:37], v[10:11], off
	global_load_dwordx4 v[38:41], v[4:5], off
	s_waitcnt vmcnt(3)
	v_mad_i64_i32 v[4:5], s[8:9], v2, s13, v[8:9]
	s_waitcnt vmcnt(2)
	v_mad_i64_i32 v[2:3], s[8:9], v3, s13, v[8:9]
	global_load_dwordx4 v[30:33], v[4:5], off
	global_load_dwordx4 v[22:25], v[2:3], off
	v_add_u32_e32 v2, -14, v48
	v_cmp_gt_u32_e32 vcc, 14, v48
	v_cndmask_b32_e32 v2, v2, v48, vcc
	v_lshlrev_b32_e32 v2, 5, v2
	v_lshl_add_u32 v2, v1, 9, v2
	ds_read_b128 v[26:29], v2
	ds_read_b128 v[18:21], v2 offset:16
	v_mov_b32_e32 v43, 0
	v_mov_b32_e32 v50, 0
	s_and_saveexec_b64 s[8:9], vcc
	s_cbranch_execz .LBB555_13
; %bb.12:
	s_load_dwordx2 s[14:15], s[4:5], 0x40
	v_add_u32_e32 v2, s25, v48
	v_ashrrev_i32_e32 v3, 31, v2
	v_lshlrev_b64 v[2:3], 2, v[2:3]
	s_waitcnt lgkmcnt(0)
	v_mov_b32_e32 v4, s15
	v_add_co_u32_e32 v2, vcc, s14, v2
	v_addc_co_u32_e32 v3, vcc, v4, v3, vcc
	global_load_dword v50, v[2:3], off
.LBB555_13:
	s_or_b64 exec, exec, s[8:9]
	v_or_b32_e32 v8, s18, v6
	v_ashrrev_i32_e32 v2, 4, v8
	v_mov_b32_e32 v9, s21
	v_cmp_gt_i32_e32 vcc, s33, v8
	v_cndmask_b32_e32 v2, v9, v2, vcc
	v_ashrrev_i32_e32 v3, 31, v2
	v_lshlrev_b64 v[2:3], 2, v[2:3]
	v_mov_b32_e32 v4, s20
	v_add_co_u32_e32 v2, vcc, s19, v2
	v_addc_co_u32_e32 v3, vcc, v4, v3, vcc
	v_or_b32_e32 v4, 64, v8
	v_ashrrev_i32_e32 v5, 4, v4
	v_cmp_gt_i32_e32 vcc, s33, v4
	v_cndmask_b32_e32 v4, v9, v5, vcc
	v_ashrrev_i32_e32 v5, 31, v4
	v_lshlrev_b64 v[4:5], 2, v[4:5]
	v_mov_b32_e32 v6, s20
	v_add_co_u32_e32 v4, vcc, s19, v4
	v_addc_co_u32_e32 v5, vcc, v6, v5, vcc
	v_or_b32_e32 v6, 0x80, v8
	v_ashrrev_i32_e32 v7, 4, v6
	v_cmp_gt_i32_e32 vcc, s33, v6
	v_cndmask_b32_e32 v6, v9, v7, vcc
	v_ashrrev_i32_e32 v7, 31, v6
	v_lshlrev_b64 v[6:7], 2, v[6:7]
	v_mov_b32_e32 v10, s20
	v_add_co_u32_e32 v6, vcc, s19, v6
	v_addc_co_u32_e32 v7, vcc, v10, v7, vcc
	global_load_dword v10, v[2:3], off
	global_load_dword v11, v[4:5], off
	;; [unrolled: 1-line block ×3, first 2 shown]
	v_or_b32_e32 v2, 0xc0, v8
	v_ashrrev_i32_e32 v3, 4, v2
	v_cmp_gt_i32_e32 vcc, s33, v2
	v_cndmask_b32_e32 v2, v9, v3, vcc
	v_ashrrev_i32_e32 v3, 31, v2
	v_lshlrev_b64 v[2:3], 2, v[2:3]
	v_mov_b32_e32 v4, s20
	v_add_co_u32_e32 v2, vcc, s19, v2
	v_addc_co_u32_e32 v3, vcc, v4, v3, vcc
	global_load_dword v13, v[2:3], off
	s_add_u32 s2, s2, s10
	v_lshlrev_b32_e32 v2, 4, v48
	s_addc_u32 s3, s3, 0
	v_lshl_or_b32 v2, v49, 8, v2
	v_mov_b32_e32 v3, s3
	v_add_co_u32_e32 v2, vcc, s2, v2
	v_addc_co_u32_e32 v3, vcc, 0, v3, vcc
	s_movk_i32 s8, 0x80
	s_waitcnt vmcnt(7)
	v_cmp_ne_u16_sdwa s[10:11], v34, v43 src0_sel:BYTE_0 src1_sel:DWORD
	s_waitcnt vmcnt(3)
	v_mad_i64_i32 v[4:5], s[2:3], v10, s13, v[2:3]
	s_waitcnt vmcnt(2)
	v_mad_i64_i32 v[6:7], s[2:3], v11, s13, v[2:3]
	;; [unrolled: 2-line block ×4, first 2 shown]
	global_load_dwordx4 v[14:17], v[4:5], off
	global_load_dwordx4 v[10:13], v[6:7], off
                                        ; kill: killed $vgpr6_vgpr7
                                        ; kill: killed $vgpr4_vgpr5
	s_nop 0
	global_load_dwordx4 v[6:9], v[8:9], off
	s_nop 0
	global_load_dwordx4 v[2:5], v[2:3], off
	s_load_dwordx4 s[40:43], s[4:5], 0x80
	s_load_dwordx2 s[44:45], s[4:5], 0x94
                                        ; kill: killed $sgpr40_sgpr41
	s_waitcnt lgkmcnt(0)
	s_load_dword s12, s[40:41], 0x0
	s_and_saveexec_b64 s[2:3], s[10:11]
	s_cbranch_execz .LBB555_19
; %bb.14:
	v_cmp_ne_u16_sdwa s[10:11], v34, s8 src0_sel:BYTE_0 src1_sel:DWORD
	v_bfrev_b32_e32 v43, 1
	s_and_saveexec_b64 s[8:9], s[10:11]
	s_cbranch_execz .LBB555_18
; %bb.15:
	s_movk_i32 s10, 0x7f
	v_and_b32_e32 v42, 0x7f, v34
	v_cmp_ne_u32_e32 vcc, s10, v42
	v_mov_b32_e32 v43, 0x7f800001
	s_and_saveexec_b64 s[10:11], vcc
	s_cbranch_execz .LBB555_17
; %bb.16:
	v_and_b32_e32 v43, 7, v34
	v_ffbh_u32_e32 v44, v43
	v_min_u32_e32 v52, 32, v44
	v_subrev_u32_e32 v44, 28, v52
	v_lshlrev_b64 v[44:45], v44, v[34:35]
	v_lshrrev_b32_e32 v51, 3, v42
	v_sub_u32_e32 v45, 29, v52
	v_and_b32_e32 v44, 7, v44
	v_cmp_gt_u32_e32 vcc, 8, v42
	v_cndmask_b32_e32 v42, v51, v45, vcc
	v_cndmask_b32_e32 v43, v43, v44, vcc
	v_lshlrev_b32_e32 v44, 24, v34
	v_bfrev_b32_e32 v45, 60
	v_lshlrev_b32_e32 v43, 20, v43
	v_and_b32_e32 v44, 0x80000000, v44
	v_lshl_add_u32 v42, v42, 23, v45
	v_or3_b32 v43, v44, v42, v43
.LBB555_17:
	s_or_b64 exec, exec, s[10:11]
.LBB555_18:
	s_or_b64 exec, exec, s[8:9]
.LBB555_19:
	s_or_b64 exec, exec, s[2:3]
	v_lshrrev_b16_e32 v42, 8, v34
	v_cmp_ne_u16_e32 vcc, 0, v42
	v_mov_b32_e32 v44, 0
	v_mov_b32_e32 v45, 0
	s_and_saveexec_b64 s[2:3], vcc
	s_cbranch_execz .LBB555_25
; %bb.20:
	s_movk_i32 s8, 0x80
	v_cmp_ne_u16_sdwa s[10:11], v34, s8 src0_sel:BYTE_1 src1_sel:DWORD
	v_bfrev_b32_e32 v45, 1
	s_and_saveexec_b64 s[8:9], s[10:11]
	s_cbranch_execz .LBB555_24
; %bb.21:
	s_movk_i32 s10, 0x7f
	v_and_b32_e32 v51, 0x7f, v42
	v_cmp_ne_u32_e32 vcc, s10, v51
	v_mov_b32_e32 v45, 0x7f800001
	s_and_saveexec_b64 s[10:11], vcc
	s_cbranch_execz .LBB555_23
; %bb.22:
	v_and_b32_e32 v45, 7, v42
	v_ffbh_u32_e32 v52, v45
	v_min_u32_e32 v55, 32, v52
	v_subrev_u32_e32 v52, 28, v55
	v_lshlrev_b64 v[52:53], v52, v[42:43]
	v_lshrrev_b32_e32 v54, 3, v51
	v_sub_u32_e32 v42, 29, v55
	v_and_b32_e32 v52, 7, v52
	v_cmp_gt_u32_e32 vcc, 8, v51
	v_cndmask_b32_e32 v42, v54, v42, vcc
	v_cndmask_b32_e32 v45, v45, v52, vcc
	v_lshlrev_b32_e32 v51, 16, v34
	v_bfrev_b32_e32 v52, 60
	v_lshlrev_b32_e32 v45, 20, v45
	v_and_b32_e32 v51, 0x80000000, v51
	v_lshl_add_u32 v42, v42, 23, v52
	v_or3_b32 v45, v51, v42, v45
.LBB555_23:
	s_or_b64 exec, exec, s[10:11]
.LBB555_24:
	s_or_b64 exec, exec, s[8:9]
.LBB555_25:
	s_or_b64 exec, exec, s[2:3]
	s_movk_i32 s2, 0xff
	v_and_b32_sdwa v51, v34, s2 dst_sel:DWORD dst_unused:UNUSED_PAD src0_sel:WORD_1 src1_sel:DWORD
	v_lshrrev_b32_e32 v42, 16, v34
	v_cmp_ne_u16_e32 vcc, 0, v51
	s_and_saveexec_b64 s[2:3], vcc
	s_cbranch_execz .LBB555_31
; %bb.26:
	s_movk_i32 s8, 0x80
	v_cmp_ne_u16_e32 vcc, s8, v51
	v_bfrev_b32_e32 v44, 1
	s_and_saveexec_b64 s[8:9], vcc
	s_cbranch_execz .LBB555_30
; %bb.27:
	v_bfe_u32 v51, v34, 16, 7
	s_movk_i32 s10, 0x7f
	v_cmp_ne_u32_e32 vcc, s10, v51
	v_mov_b32_e32 v44, 0x7f800001
	s_and_saveexec_b64 s[10:11], vcc
	s_cbranch_execz .LBB555_29
; %bb.28:
	v_and_b32_e32 v44, 7, v42
	v_ffbh_u32_e32 v52, v44
	v_min_u32_e32 v55, 32, v52
	v_subrev_u32_e32 v52, 28, v55
	v_lshlrev_b64 v[52:53], v52, v[42:43]
	v_lshrrev_b32_e32 v54, 3, v51
	v_sub_u32_e32 v42, 29, v55
	v_and_b32_e32 v52, 7, v52
	v_cmp_gt_u32_e32 vcc, 8, v51
	v_mov_b32_e32 v51, 24
	v_cndmask_b32_e32 v42, v54, v42, vcc
	v_cndmask_b32_e32 v44, v44, v52, vcc
	v_lshlrev_b32_sdwa v51, v51, v34 dst_sel:DWORD dst_unused:UNUSED_PAD src0_sel:DWORD src1_sel:WORD_1
	v_bfrev_b32_e32 v52, 60
	v_lshlrev_b32_e32 v44, 20, v44
	v_and_b32_e32 v51, 0x80000000, v51
	v_lshl_add_u32 v42, v42, 23, v52
	v_or3_b32 v44, v51, v42, v44
.LBB555_29:
	s_or_b64 exec, exec, s[10:11]
.LBB555_30:
	s_or_b64 exec, exec, s[8:9]
.LBB555_31:
	s_or_b64 exec, exec, s[2:3]
	s_mov_b32 s2, 0xffffff
	v_cmp_lt_u32_e32 vcc, s2, v34
	v_mov_b32_e32 v52, 0
	v_mov_b32_e32 v53, 0
	s_and_saveexec_b64 s[2:3], vcc
	s_cbranch_execz .LBB555_37
; %bb.32:
	v_lshrrev_b32_e32 v42, 24, v34
	s_movk_i32 s8, 0x80
	v_cmp_ne_u32_e32 vcc, s8, v42
	v_bfrev_b32_e32 v53, 1
	s_and_saveexec_b64 s[8:9], vcc
	s_cbranch_execz .LBB555_36
; %bb.33:
	v_bfe_u32 v34, v34, 24, 7
	s_movk_i32 s10, 0x7f
	v_cmp_ne_u32_e32 vcc, s10, v34
	v_mov_b32_e32 v53, 0x7f800001
	s_and_saveexec_b64 s[10:11], vcc
	s_cbranch_execz .LBB555_35
; %bb.34:
	v_and_b32_e32 v51, 7, v42
	v_ffbh_u32_e32 v54, v51
	v_min_u32_e32 v56, 32, v54
	v_subrev_u32_e32 v54, 28, v56
	v_lshlrev_b64 v[54:55], v54, v[42:43]
	v_lshrrev_b32_e32 v53, 3, v34
	v_sub_u32_e32 v55, 29, v56
	v_and_b32_e32 v54, 7, v54
	v_cmp_gt_u32_e32 vcc, 8, v34
	v_cndmask_b32_e32 v34, v53, v55, vcc
	v_cndmask_b32_e32 v51, v51, v54, vcc
	v_lshlrev_b32_e32 v42, 24, v42
	v_bfrev_b32_e32 v53, 60
	v_lshlrev_b32_e32 v51, 20, v51
	v_and_b32_e32 v42, 0x80000000, v42
	v_lshl_add_u32 v34, v34, 23, v53
	v_or3_b32 v53, v42, v34, v51
.LBB555_35:
	s_or_b64 exec, exec, s[10:11]
.LBB555_36:
	s_or_b64 exec, exec, s[8:9]
.LBB555_37:
	s_or_b64 exec, exec, s[2:3]
	v_cmp_ne_u16_sdwa s[8:9], v35, v52 src0_sel:BYTE_0 src1_sel:DWORD
	s_and_saveexec_b64 s[2:3], s[8:9]
	s_cbranch_execz .LBB555_43
; %bb.38:
	s_movk_i32 s8, 0x80
	v_cmp_ne_u16_sdwa s[10:11], v35, s8 src0_sel:BYTE_0 src1_sel:DWORD
	v_bfrev_b32_e32 v52, 1
	s_and_saveexec_b64 s[8:9], s[10:11]
	s_cbranch_execz .LBB555_42
; %bb.39:
	s_movk_i32 s10, 0x7f
	v_and_b32_e32 v34, 0x7f, v35
	v_cmp_ne_u32_e32 vcc, s10, v34
	v_mov_b32_e32 v52, 0x7f800001
	s_and_saveexec_b64 s[10:11], vcc
	s_cbranch_execz .LBB555_41
; %bb.40:
	v_and_b32_e32 v51, 7, v35
	v_ffbh_u32_e32 v54, v51
	v_min_u32_e32 v56, 32, v54
	v_mov_b32_e32 v42, v35
	v_subrev_u32_e32 v54, 28, v56
	v_lshlrev_b64 v[54:55], v54, v[42:43]
	v_lshrrev_b32_e32 v52, 3, v34
	v_sub_u32_e32 v42, 29, v56
	v_and_b32_e32 v54, 7, v54
	v_cmp_gt_u32_e32 vcc, 8, v34
	v_cndmask_b32_e32 v34, v52, v42, vcc
	v_cndmask_b32_e32 v42, v51, v54, vcc
	v_lshlrev_b32_e32 v51, 24, v35
	v_bfrev_b32_e32 v52, 60
	v_lshlrev_b32_e32 v42, 20, v42
	v_and_b32_e32 v51, 0x80000000, v51
	v_lshl_add_u32 v34, v34, 23, v52
	v_or3_b32 v52, v51, v34, v42
.LBB555_41:
	s_or_b64 exec, exec, s[10:11]
.LBB555_42:
	s_or_b64 exec, exec, s[8:9]
.LBB555_43:
	s_or_b64 exec, exec, s[2:3]
	v_lshrrev_b16_e32 v34, 8, v35
	v_cmp_ne_u16_e32 vcc, 0, v34
	v_mov_b32_e32 v42, 0
	v_mov_b32_e32 v54, 0
	s_and_saveexec_b64 s[2:3], vcc
	s_cbranch_execz .LBB555_49
; %bb.44:
	s_movk_i32 s8, 0x80
	v_cmp_ne_u16_e32 vcc, s8, v34
	v_bfrev_b32_e32 v54, 1
	s_and_saveexec_b64 s[8:9], vcc
	s_cbranch_execz .LBB555_48
; %bb.45:
	s_movk_i32 s10, 0x7f
	v_and_b32_e32 v51, 0x7f, v34
	v_cmp_ne_u32_e32 vcc, s10, v51
	v_mov_b32_e32 v54, 0x7f800001
	s_and_saveexec_b64 s[10:11], vcc
	s_cbranch_execz .LBB555_47
; %bb.46:
	v_and_b32_e32 v56, 7, v34
	v_ffbh_u32_e32 v54, v56
	v_min_u32_e32 v58, 32, v54
	v_subrev_u32_e32 v54, 28, v58
	v_lshlrev_b64 v[54:55], v54, v[34:35]
	v_lshrrev_b32_e32 v57, 3, v51
	v_sub_u32_e32 v34, 29, v58
	v_and_b32_e32 v54, 7, v54
	v_cmp_gt_u32_e32 vcc, 8, v51
	v_cndmask_b32_e32 v34, v57, v34, vcc
	v_cndmask_b32_e32 v51, v56, v54, vcc
	v_lshlrev_b32_e32 v54, 16, v35
	v_bfrev_b32_e32 v55, 60
	v_lshlrev_b32_e32 v51, 20, v51
	v_and_b32_e32 v54, 0x80000000, v54
	v_lshl_add_u32 v34, v34, 23, v55
	v_or3_b32 v54, v54, v34, v51
.LBB555_47:
	s_or_b64 exec, exec, s[10:11]
.LBB555_48:
	s_or_b64 exec, exec, s[8:9]
.LBB555_49:
	s_or_b64 exec, exec, s[2:3]
	s_movk_i32 s2, 0xff
	v_and_b32_sdwa v51, v35, s2 dst_sel:DWORD dst_unused:UNUSED_PAD src0_sel:WORD_1 src1_sel:DWORD
	v_lshrrev_b32_e32 v34, 16, v35
	v_cmp_ne_u16_e32 vcc, 0, v51
	s_and_saveexec_b64 s[2:3], vcc
	s_cbranch_execz .LBB555_55
; %bb.50:
	s_movk_i32 s8, 0x80
	v_cmp_ne_u16_e32 vcc, s8, v51
	v_bfrev_b32_e32 v42, 1
	s_and_saveexec_b64 s[8:9], vcc
	s_cbranch_execz .LBB555_54
; %bb.51:
	v_bfe_u32 v51, v35, 16, 7
	s_movk_i32 s10, 0x7f
	v_cmp_ne_u32_e32 vcc, s10, v51
	v_mov_b32_e32 v42, 0x7f800001
	s_and_saveexec_b64 s[10:11], vcc
	s_cbranch_execz .LBB555_53
; %bb.52:
	v_and_b32_e32 v42, 7, v34
	v_ffbh_u32_e32 v56, v42
	v_min_u32_e32 v58, 32, v56
	v_subrev_u32_e32 v56, 28, v58
	v_lshlrev_b64 v[56:57], v56, v[34:35]
	v_lshrrev_b32_e32 v55, 3, v51
	v_sub_u32_e32 v34, 29, v58
	v_and_b32_e32 v56, 7, v56
	v_cmp_gt_u32_e32 vcc, 8, v51
	v_mov_b32_e32 v51, 24
	v_cndmask_b32_e32 v34, v55, v34, vcc
	v_cndmask_b32_e32 v42, v42, v56, vcc
	v_lshlrev_b32_sdwa v51, v51, v35 dst_sel:DWORD dst_unused:UNUSED_PAD src0_sel:DWORD src1_sel:WORD_1
	v_bfrev_b32_e32 v55, 60
	v_lshlrev_b32_e32 v42, 20, v42
	v_and_b32_e32 v51, 0x80000000, v51
	v_lshl_add_u32 v34, v34, 23, v55
	v_or3_b32 v42, v51, v34, v42
.LBB555_53:
	s_or_b64 exec, exec, s[10:11]
.LBB555_54:
	s_or_b64 exec, exec, s[8:9]
.LBB555_55:
	s_or_b64 exec, exec, s[2:3]
	s_mov_b32 s2, 0xffffff
	v_cmp_lt_u32_e32 vcc, s2, v35
	v_mov_b32_e32 v51, 0
	v_mov_b32_e32 v55, 0
	s_and_saveexec_b64 s[2:3], vcc
	s_cbranch_execz .LBB555_61
; %bb.56:
	v_lshrrev_b32_e32 v34, 24, v35
	s_movk_i32 s8, 0x80
	v_cmp_ne_u32_e32 vcc, s8, v34
	v_bfrev_b32_e32 v55, 1
	s_and_saveexec_b64 s[8:9], vcc
	s_cbranch_execz .LBB555_60
; %bb.57:
	v_bfe_u32 v35, v35, 24, 7
	s_movk_i32 s10, 0x7f
	v_cmp_ne_u32_e32 vcc, s10, v35
	v_mov_b32_e32 v55, 0x7f800001
	s_and_saveexec_b64 s[10:11], vcc
	s_cbranch_execz .LBB555_59
; %bb.58:
	v_and_b32_e32 v55, 7, v34
	v_ffbh_u32_e32 v56, v55
	v_min_u32_e32 v59, 32, v56
	v_subrev_u32_e32 v56, 28, v59
	v_lshlrev_b64 v[56:57], v56, v[34:35]
	v_lshrrev_b32_e32 v58, 3, v35
	v_sub_u32_e32 v57, 29, v59
	v_and_b32_e32 v56, 7, v56
	v_cmp_gt_u32_e32 vcc, 8, v35
	v_cndmask_b32_e32 v35, v58, v57, vcc
	v_cndmask_b32_e32 v55, v55, v56, vcc
	v_lshlrev_b32_e32 v34, 24, v34
	v_bfrev_b32_e32 v56, 60
	v_lshlrev_b32_e32 v55, 20, v55
	v_and_b32_e32 v34, 0x80000000, v34
	v_lshl_add_u32 v35, v35, 23, v56
	v_or3_b32 v55, v34, v35, v55
.LBB555_59:
	s_or_b64 exec, exec, s[10:11]
.LBB555_60:
	s_or_b64 exec, exec, s[8:9]
.LBB555_61:
	s_or_b64 exec, exec, s[2:3]
	v_cvt_pkrtz_f16_f32 v34, v43, v45
	v_cvt_pkrtz_f16_f32 v35, v44, v53
	v_cmp_ne_u16_sdwa s[8:9], v36, v51 src0_sel:BYTE_0 src1_sel:DWORD
	s_nop 0
	v_mfma_f32_16x16x16f16 v[56:59], v[34:35], v[26:27], 0
	v_cvt_pkrtz_f16_f32 v34, v52, v54
	v_cvt_pkrtz_f16_f32 v35, v42, v55
	s_nop 1
	v_mfma_f32_16x16x16f16 v[42:45], v[34:35], v[28:29], v[56:59]
	s_and_saveexec_b64 s[2:3], s[8:9]
	s_cbranch_execz .LBB555_67
; %bb.62:
	s_movk_i32 s8, 0x80
	v_cmp_ne_u16_sdwa s[10:11], v36, s8 src0_sel:BYTE_0 src1_sel:DWORD
	v_bfrev_b32_e32 v51, 1
	s_and_saveexec_b64 s[8:9], s[10:11]
	s_cbranch_execz .LBB555_66
; %bb.63:
	s_movk_i32 s10, 0x7f
	v_and_b32_e32 v34, 0x7f, v36
	v_cmp_ne_u32_e32 vcc, s10, v34
	v_mov_b32_e32 v51, 0x7f800001
	s_and_saveexec_b64 s[10:11], vcc
	s_cbranch_execz .LBB555_65
; %bb.64:
	v_and_b32_e32 v35, 7, v36
	v_ffbh_u32_e32 v52, v35
	v_min_u32_e32 v54, 32, v52
	v_subrev_u32_e32 v52, 28, v54
	v_lshlrev_b64 v[52:53], v52, v[36:37]
	v_lshrrev_b32_e32 v51, 3, v34
	v_sub_u32_e32 v53, 29, v54
	v_and_b32_e32 v52, 7, v52
	v_cmp_gt_u32_e32 vcc, 8, v34
	v_cndmask_b32_e32 v34, v51, v53, vcc
	v_cndmask_b32_e32 v35, v35, v52, vcc
	v_lshlrev_b32_e32 v51, 24, v36
	v_bfrev_b32_e32 v52, 60
	v_lshlrev_b32_e32 v35, 20, v35
	v_and_b32_e32 v51, 0x80000000, v51
	v_lshl_add_u32 v34, v34, 23, v52
	v_or3_b32 v51, v51, v34, v35
.LBB555_65:
	s_or_b64 exec, exec, s[10:11]
.LBB555_66:
	s_or_b64 exec, exec, s[8:9]
.LBB555_67:
	s_or_b64 exec, exec, s[2:3]
	v_lshrrev_b16_e32 v34, 8, v36
	v_cmp_ne_u16_e32 vcc, 0, v34
	v_mov_b32_e32 v35, 0
	v_mov_b32_e32 v53, 0
	s_and_saveexec_b64 s[2:3], vcc
	s_cbranch_execz .LBB555_73
; %bb.68:
	s_movk_i32 s8, 0x80
	v_cmp_ne_u16_e32 vcc, s8, v34
	v_bfrev_b32_e32 v53, 1
	s_and_saveexec_b64 s[8:9], vcc
	s_cbranch_execz .LBB555_72
; %bb.69:
	s_movk_i32 s10, 0x7f
	v_and_b32_e32 v52, 0x7f, v34
	v_cmp_ne_u32_e32 vcc, s10, v52
	v_mov_b32_e32 v53, 0x7f800001
	s_and_saveexec_b64 s[10:11], vcc
	s_cbranch_execz .LBB555_71
; %bb.70:
	v_and_b32_e32 v53, 7, v34
	v_ffbh_u32_e32 v54, v53
	v_min_u32_e32 v57, 32, v54
	v_subrev_u32_e32 v54, 28, v57
	v_lshlrev_b64 v[54:55], v54, v[34:35]
	v_lshrrev_b32_e32 v56, 3, v52
	v_sub_u32_e32 v34, 29, v57
	v_and_b32_e32 v54, 7, v54
	v_cmp_gt_u32_e32 vcc, 8, v52
	v_cndmask_b32_e32 v34, v56, v34, vcc
	v_cndmask_b32_e32 v52, v53, v54, vcc
	v_lshlrev_b32_e32 v53, 16, v36
	v_bfrev_b32_e32 v54, 60
	v_lshlrev_b32_e32 v52, 20, v52
	v_and_b32_e32 v53, 0x80000000, v53
	v_lshl_add_u32 v34, v34, 23, v54
	v_or3_b32 v53, v53, v34, v52
.LBB555_71:
	s_or_b64 exec, exec, s[10:11]
.LBB555_72:
	s_or_b64 exec, exec, s[8:9]
.LBB555_73:
	s_or_b64 exec, exec, s[2:3]
	s_movk_i32 s2, 0xff
	v_and_b32_sdwa v52, v36, s2 dst_sel:DWORD dst_unused:UNUSED_PAD src0_sel:WORD_1 src1_sel:DWORD
	v_lshrrev_b32_e32 v34, 16, v36
	v_cmp_ne_u16_e32 vcc, 0, v52
	s_and_saveexec_b64 s[2:3], vcc
	s_cbranch_execz .LBB555_79
; %bb.74:
	s_movk_i32 s8, 0x80
	v_cmp_ne_u16_e32 vcc, s8, v52
	v_bfrev_b32_e32 v35, 1
	s_and_saveexec_b64 s[8:9], vcc
	s_cbranch_execz .LBB555_78
; %bb.75:
	v_bfe_u32 v52, v36, 16, 7
	s_movk_i32 s10, 0x7f
	v_cmp_ne_u32_e32 vcc, s10, v52
	v_mov_b32_e32 v35, 0x7f800001
	s_and_saveexec_b64 s[10:11], vcc
	s_cbranch_execz .LBB555_77
; %bb.76:
	v_and_b32_e32 v54, 7, v34
	v_ffbh_u32_e32 v35, v54
	v_min_u32_e32 v56, 32, v35
	v_subrev_u32_e32 v35, 28, v56
	v_lshlrev_b64 v[34:35], v35, v[34:35]
	v_lshrrev_b32_e32 v55, 3, v52
	v_sub_u32_e32 v35, 29, v56
	v_and_b32_e32 v34, 7, v34
	v_cmp_gt_u32_e32 vcc, 8, v52
	v_mov_b32_e32 v52, 24
	v_cndmask_b32_e32 v35, v55, v35, vcc
	v_cndmask_b32_e32 v34, v54, v34, vcc
	v_lshlrev_b32_sdwa v52, v52, v36 dst_sel:DWORD dst_unused:UNUSED_PAD src0_sel:DWORD src1_sel:WORD_1
	v_bfrev_b32_e32 v54, 60
	v_lshlrev_b32_e32 v34, 20, v34
	v_and_b32_e32 v52, 0x80000000, v52
	v_lshl_add_u32 v35, v35, 23, v54
	v_or3_b32 v35, v52, v35, v34
.LBB555_77:
	s_or_b64 exec, exec, s[10:11]
.LBB555_78:
	s_or_b64 exec, exec, s[8:9]
.LBB555_79:
	s_or_b64 exec, exec, s[2:3]
	s_mov_b32 s2, 0xffffff
	v_cmp_lt_u32_e32 vcc, s2, v36
	v_mov_b32_e32 v54, 0
	v_mov_b32_e32 v55, 0
	s_and_saveexec_b64 s[2:3], vcc
	s_cbranch_execz .LBB555_85
; %bb.80:
	v_lshrrev_b32_e32 v34, 24, v36
	s_movk_i32 s8, 0x80
	v_cmp_ne_u32_e32 vcc, s8, v34
	v_bfrev_b32_e32 v55, 1
	s_and_saveexec_b64 s[8:9], vcc
	s_cbranch_execz .LBB555_84
; %bb.81:
	v_bfe_u32 v36, v36, 24, 7
	s_movk_i32 s10, 0x7f
	v_cmp_ne_u32_e32 vcc, s10, v36
	v_mov_b32_e32 v55, 0x7f800001
	s_and_saveexec_b64 s[10:11], vcc
	s_cbranch_execz .LBB555_83
; %bb.82:
	v_and_b32_e32 v52, 7, v34
	v_ffbh_u32_e32 v56, v52
	v_min_u32_e32 v58, 32, v56
	v_subrev_u32_e32 v56, 28, v58
	v_lshlrev_b64 v[56:57], v56, v[34:35]
	v_lshrrev_b32_e32 v55, 3, v36
	v_sub_u32_e32 v57, 29, v58
	v_and_b32_e32 v56, 7, v56
	v_cmp_gt_u32_e32 vcc, 8, v36
	v_cndmask_b32_e32 v36, v55, v57, vcc
	v_cndmask_b32_e32 v52, v52, v56, vcc
	v_lshlrev_b32_e32 v34, 24, v34
	v_bfrev_b32_e32 v55, 60
	v_lshlrev_b32_e32 v52, 20, v52
	v_and_b32_e32 v34, 0x80000000, v34
	v_lshl_add_u32 v36, v36, 23, v55
	v_or3_b32 v55, v34, v36, v52
.LBB555_83:
	s_or_b64 exec, exec, s[10:11]
.LBB555_84:
	s_or_b64 exec, exec, s[8:9]
.LBB555_85:
	s_or_b64 exec, exec, s[2:3]
	v_cmp_ne_u16_sdwa s[8:9], v37, v54 src0_sel:BYTE_0 src1_sel:DWORD
	s_and_saveexec_b64 s[2:3], s[8:9]
	s_cbranch_execz .LBB555_91
; %bb.86:
	s_movk_i32 s8, 0x80
	v_cmp_ne_u16_sdwa s[10:11], v37, s8 src0_sel:BYTE_0 src1_sel:DWORD
	v_bfrev_b32_e32 v54, 1
	s_and_saveexec_b64 s[8:9], s[10:11]
	s_cbranch_execz .LBB555_90
; %bb.87:
	s_movk_i32 s10, 0x7f
	v_and_b32_e32 v34, 0x7f, v37
	v_cmp_ne_u32_e32 vcc, s10, v34
	v_mov_b32_e32 v54, 0x7f800001
	s_and_saveexec_b64 s[10:11], vcc
	s_cbranch_execz .LBB555_89
; %bb.88:
	v_and_b32_e32 v52, 7, v37
	v_ffbh_u32_e32 v56, v52
	v_min_u32_e32 v58, 32, v56
	v_mov_b32_e32 v36, v37
	v_subrev_u32_e32 v56, 28, v58
	v_lshlrev_b64 v[56:57], v56, v[36:37]
	v_lshrrev_b32_e32 v54, 3, v34
	v_sub_u32_e32 v36, 29, v58
	v_and_b32_e32 v56, 7, v56
	v_cmp_gt_u32_e32 vcc, 8, v34
	v_cndmask_b32_e32 v34, v54, v36, vcc
	v_cndmask_b32_e32 v36, v52, v56, vcc
	v_lshlrev_b32_e32 v52, 24, v37
	v_bfrev_b32_e32 v54, 60
	v_lshlrev_b32_e32 v36, 20, v36
	v_and_b32_e32 v52, 0x80000000, v52
	v_lshl_add_u32 v34, v34, 23, v54
	v_or3_b32 v54, v52, v34, v36
.LBB555_89:
	s_or_b64 exec, exec, s[10:11]
.LBB555_90:
	s_or_b64 exec, exec, s[8:9]
.LBB555_91:
	s_or_b64 exec, exec, s[2:3]
	v_lshrrev_b16_e32 v34, 8, v37
	v_cmp_ne_u16_e32 vcc, 0, v34
	v_mov_b32_e32 v36, 0
	v_mov_b32_e32 v56, 0
	s_and_saveexec_b64 s[2:3], vcc
	s_cbranch_execz .LBB555_97
; %bb.92:
	s_movk_i32 s8, 0x80
	v_cmp_ne_u16_e32 vcc, s8, v34
	v_bfrev_b32_e32 v56, 1
	s_and_saveexec_b64 s[8:9], vcc
	s_cbranch_execz .LBB555_96
; %bb.93:
	s_movk_i32 s10, 0x7f
	v_and_b32_e32 v52, 0x7f, v34
	v_cmp_ne_u32_e32 vcc, s10, v52
	v_mov_b32_e32 v56, 0x7f800001
	s_and_saveexec_b64 s[10:11], vcc
	s_cbranch_execz .LBB555_95
; %bb.94:
	v_and_b32_e32 v58, 7, v34
	v_ffbh_u32_e32 v56, v58
	v_min_u32_e32 v60, 32, v56
	v_subrev_u32_e32 v56, 28, v60
	v_lshlrev_b64 v[56:57], v56, v[34:35]
	v_lshrrev_b32_e32 v59, 3, v52
	v_sub_u32_e32 v34, 29, v60
	v_and_b32_e32 v56, 7, v56
	v_cmp_gt_u32_e32 vcc, 8, v52
	v_cndmask_b32_e32 v34, v59, v34, vcc
	v_cndmask_b32_e32 v52, v58, v56, vcc
	v_lshlrev_b32_e32 v56, 16, v37
	v_bfrev_b32_e32 v57, 60
	v_lshlrev_b32_e32 v52, 20, v52
	v_and_b32_e32 v56, 0x80000000, v56
	v_lshl_add_u32 v34, v34, 23, v57
	v_or3_b32 v56, v56, v34, v52
.LBB555_95:
	s_or_b64 exec, exec, s[10:11]
.LBB555_96:
	s_or_b64 exec, exec, s[8:9]
.LBB555_97:
	s_or_b64 exec, exec, s[2:3]
	s_movk_i32 s2, 0xff
	v_and_b32_sdwa v52, v37, s2 dst_sel:DWORD dst_unused:UNUSED_PAD src0_sel:WORD_1 src1_sel:DWORD
	v_lshrrev_b32_e32 v34, 16, v37
	v_cmp_ne_u16_e32 vcc, 0, v52
	s_and_saveexec_b64 s[2:3], vcc
	s_cbranch_execz .LBB555_103
; %bb.98:
	s_movk_i32 s8, 0x80
	v_cmp_ne_u16_e32 vcc, s8, v52
	v_bfrev_b32_e32 v36, 1
	s_and_saveexec_b64 s[8:9], vcc
	s_cbranch_execz .LBB555_102
; %bb.99:
	v_bfe_u32 v52, v37, 16, 7
	s_movk_i32 s10, 0x7f
	v_cmp_ne_u32_e32 vcc, s10, v52
	v_mov_b32_e32 v36, 0x7f800001
	s_and_saveexec_b64 s[10:11], vcc
	s_cbranch_execz .LBB555_101
; %bb.100:
	v_and_b32_e32 v36, 7, v34
	v_ffbh_u32_e32 v58, v36
	v_min_u32_e32 v60, 32, v58
	v_subrev_u32_e32 v58, 28, v60
	v_lshlrev_b64 v[58:59], v58, v[34:35]
	v_lshrrev_b32_e32 v57, 3, v52
	v_sub_u32_e32 v34, 29, v60
	v_and_b32_e32 v58, 7, v58
	v_cmp_gt_u32_e32 vcc, 8, v52
	v_mov_b32_e32 v52, 24
	v_cndmask_b32_e32 v34, v57, v34, vcc
	v_cndmask_b32_e32 v36, v36, v58, vcc
	v_lshlrev_b32_sdwa v52, v52, v37 dst_sel:DWORD dst_unused:UNUSED_PAD src0_sel:DWORD src1_sel:WORD_1
	v_bfrev_b32_e32 v57, 60
	v_lshlrev_b32_e32 v36, 20, v36
	v_and_b32_e32 v52, 0x80000000, v52
	v_lshl_add_u32 v34, v34, 23, v57
	v_or3_b32 v36, v52, v34, v36
.LBB555_101:
	s_or_b64 exec, exec, s[10:11]
.LBB555_102:
	s_or_b64 exec, exec, s[8:9]
.LBB555_103:
	s_or_b64 exec, exec, s[2:3]
	s_mov_b32 s2, 0xffffff
	v_cmp_lt_u32_e32 vcc, s2, v37
	v_mov_b32_e32 v52, 0
	v_mov_b32_e32 v57, 0
	s_and_saveexec_b64 s[2:3], vcc
	s_cbranch_execz .LBB555_109
; %bb.104:
	v_lshrrev_b32_e32 v34, 24, v37
	s_movk_i32 s8, 0x80
	v_cmp_ne_u32_e32 vcc, s8, v34
	v_bfrev_b32_e32 v57, 1
	s_and_saveexec_b64 s[8:9], vcc
	s_cbranch_execz .LBB555_108
; %bb.105:
	v_bfe_u32 v37, v37, 24, 7
	s_movk_i32 s10, 0x7f
	v_cmp_ne_u32_e32 vcc, s10, v37
	v_mov_b32_e32 v57, 0x7f800001
	s_and_saveexec_b64 s[10:11], vcc
	s_cbranch_execz .LBB555_107
; %bb.106:
	v_and_b32_e32 v57, 7, v34
	v_ffbh_u32_e32 v58, v57
	v_min_u32_e32 v61, 32, v58
	v_subrev_u32_e32 v58, 28, v61
	v_lshlrev_b64 v[58:59], v58, v[34:35]
	v_lshrrev_b32_e32 v60, 3, v37
	v_sub_u32_e32 v59, 29, v61
	v_and_b32_e32 v58, 7, v58
	v_cmp_gt_u32_e32 vcc, 8, v37
	v_cndmask_b32_e32 v37, v60, v59, vcc
	v_cndmask_b32_e32 v57, v57, v58, vcc
	v_lshlrev_b32_e32 v34, 24, v34
	v_bfrev_b32_e32 v58, 60
	v_lshlrev_b32_e32 v57, 20, v57
	v_and_b32_e32 v34, 0x80000000, v34
	v_lshl_add_u32 v37, v37, 23, v58
	v_or3_b32 v57, v34, v37, v57
.LBB555_107:
	s_or_b64 exec, exec, s[10:11]
.LBB555_108:
	s_or_b64 exec, exec, s[8:9]
.LBB555_109:
	s_or_b64 exec, exec, s[2:3]
	v_cvt_pkrtz_f16_f32 v34, v51, v53
	v_cvt_pkrtz_f16_f32 v35, v35, v55
	v_cmp_ne_u16_sdwa s[8:9], v38, v52 src0_sel:BYTE_0 src1_sel:DWORD
	s_nop 0
	v_mfma_f32_16x16x16f16 v[42:45], v[34:35], v[18:19], v[42:45]
	v_cvt_pkrtz_f16_f32 v34, v54, v56
	v_cvt_pkrtz_f16_f32 v35, v36, v57
	s_nop 1
	v_mfma_f32_16x16x16f16 v[34:37], v[34:35], v[20:21], v[42:45]
	s_and_saveexec_b64 s[2:3], s[8:9]
	s_cbranch_execz .LBB555_115
; %bb.110:
	s_movk_i32 s8, 0x80
	v_cmp_ne_u16_sdwa s[10:11], v38, s8 src0_sel:BYTE_0 src1_sel:DWORD
	v_bfrev_b32_e32 v52, 1
	s_and_saveexec_b64 s[8:9], s[10:11]
	s_cbranch_execz .LBB555_114
; %bb.111:
	s_movk_i32 s10, 0x7f
	v_and_b32_e32 v42, 0x7f, v38
	v_cmp_ne_u32_e32 vcc, s10, v42
	v_mov_b32_e32 v52, 0x7f800001
	s_and_saveexec_b64 s[10:11], vcc
	s_cbranch_execz .LBB555_113
; %bb.112:
	v_and_b32_e32 v43, 7, v38
	v_ffbh_u32_e32 v44, v43
	v_min_u32_e32 v52, 32, v44
	v_subrev_u32_e32 v44, 28, v52
	v_lshlrev_b64 v[44:45], v44, v[38:39]
	v_lshrrev_b32_e32 v51, 3, v42
	v_sub_u32_e32 v45, 29, v52
	v_and_b32_e32 v44, 7, v44
	v_cmp_gt_u32_e32 vcc, 8, v42
	v_cndmask_b32_e32 v42, v51, v45, vcc
	v_cndmask_b32_e32 v43, v43, v44, vcc
	v_lshlrev_b32_e32 v44, 24, v38
	v_bfrev_b32_e32 v45, 60
	v_lshlrev_b32_e32 v43, 20, v43
	v_and_b32_e32 v44, 0x80000000, v44
	v_lshl_add_u32 v42, v42, 23, v45
	v_or3_b32 v52, v44, v42, v43
.LBB555_113:
	s_or_b64 exec, exec, s[10:11]
.LBB555_114:
	s_or_b64 exec, exec, s[8:9]
.LBB555_115:
	s_or_b64 exec, exec, s[2:3]
	s_nop 3
	v_lshrrev_b16_e32 v42, 8, v38
	v_cmp_ne_u16_e32 vcc, 0, v42
	v_mov_b32_e32 v43, 0
	v_mov_b32_e32 v44, 0
	s_and_saveexec_b64 s[2:3], vcc
	s_cbranch_execz .LBB555_121
; %bb.116:
	s_movk_i32 s8, 0x80
	v_cmp_ne_u16_e32 vcc, s8, v42
	v_bfrev_b32_e32 v44, 1
	s_and_saveexec_b64 s[8:9], vcc
	s_cbranch_execz .LBB555_120
; %bb.117:
	s_movk_i32 s10, 0x7f
	v_and_b32_e32 v45, 0x7f, v42
	v_cmp_ne_u32_e32 vcc, s10, v45
	v_mov_b32_e32 v44, 0x7f800001
	s_and_saveexec_b64 s[10:11], vcc
	s_cbranch_execz .LBB555_119
; %bb.118:
	v_and_b32_e32 v44, 7, v42
	v_ffbh_u32_e32 v53, v44
	v_min_u32_e32 v53, 32, v53
	v_subrev_u32_e32 v54, 28, v53
	v_lshlrev_b64 v[54:55], v54, v[42:43]
	v_lshrrev_b32_e32 v51, 3, v45
	v_sub_u32_e32 v42, 29, v53
	v_and_b32_e32 v53, 7, v54
	v_cmp_gt_u32_e32 vcc, 8, v45
	v_cndmask_b32_e32 v42, v51, v42, vcc
	v_cndmask_b32_e32 v44, v44, v53, vcc
	v_lshlrev_b32_e32 v45, 16, v38
	v_bfrev_b32_e32 v51, 60
	v_lshlrev_b32_e32 v44, 20, v44
	v_and_b32_e32 v45, 0x80000000, v45
	v_lshl_add_u32 v42, v42, 23, v51
	v_or3_b32 v44, v45, v42, v44
.LBB555_119:
	s_or_b64 exec, exec, s[10:11]
.LBB555_120:
	s_or_b64 exec, exec, s[8:9]
.LBB555_121:
	s_or_b64 exec, exec, s[2:3]
	s_movk_i32 s2, 0xff
	v_and_b32_sdwa v45, v38, s2 dst_sel:DWORD dst_unused:UNUSED_PAD src0_sel:WORD_1 src1_sel:DWORD
	v_lshrrev_b32_e32 v42, 16, v38
	v_cmp_ne_u16_e32 vcc, 0, v45
	s_and_saveexec_b64 s[2:3], vcc
	s_cbranch_execz .LBB555_127
; %bb.122:
	s_movk_i32 s8, 0x80
	v_cmp_ne_u16_e32 vcc, s8, v45
	v_bfrev_b32_e32 v43, 1
	s_and_saveexec_b64 s[8:9], vcc
	s_cbranch_execz .LBB555_126
; %bb.123:
	v_bfe_u32 v45, v38, 16, 7
	s_movk_i32 s10, 0x7f
	v_cmp_ne_u32_e32 vcc, s10, v45
	v_mov_b32_e32 v43, 0x7f800001
	s_and_saveexec_b64 s[10:11], vcc
	s_cbranch_execz .LBB555_125
; %bb.124:
	v_and_b32_e32 v51, 7, v42
	v_ffbh_u32_e32 v43, v51
	v_min_u32_e32 v54, 32, v43
	v_subrev_u32_e32 v43, 28, v54
	v_lshlrev_b64 v[42:43], v43, v[42:43]
	v_lshrrev_b32_e32 v53, 3, v45
	v_sub_u32_e32 v43, 29, v54
	v_and_b32_e32 v42, 7, v42
	v_cmp_gt_u32_e32 vcc, 8, v45
	v_mov_b32_e32 v45, 24
	v_cndmask_b32_e32 v43, v53, v43, vcc
	v_cndmask_b32_e32 v42, v51, v42, vcc
	v_lshlrev_b32_sdwa v45, v45, v38 dst_sel:DWORD dst_unused:UNUSED_PAD src0_sel:DWORD src1_sel:WORD_1
	v_bfrev_b32_e32 v51, 60
	v_lshlrev_b32_e32 v42, 20, v42
	v_and_b32_e32 v45, 0x80000000, v45
	v_lshl_add_u32 v43, v43, 23, v51
	v_or3_b32 v43, v45, v43, v42
.LBB555_125:
	s_or_b64 exec, exec, s[10:11]
.LBB555_126:
	s_or_b64 exec, exec, s[8:9]
.LBB555_127:
	s_or_b64 exec, exec, s[2:3]
	s_mov_b32 s2, 0xffffff
	v_cmp_lt_u32_e32 vcc, s2, v38
	v_mov_b32_e32 v45, 0
	v_mov_b32_e32 v53, 0
	s_and_saveexec_b64 s[2:3], vcc
	s_cbranch_execz .LBB555_133
; %bb.128:
	v_lshrrev_b32_e32 v42, 24, v38
	s_movk_i32 s8, 0x80
	v_cmp_ne_u32_e32 vcc, s8, v42
	v_bfrev_b32_e32 v53, 1
	s_and_saveexec_b64 s[8:9], vcc
	s_cbranch_execz .LBB555_132
; %bb.129:
	v_bfe_u32 v38, v38, 24, 7
	s_movk_i32 s10, 0x7f
	v_cmp_ne_u32_e32 vcc, s10, v38
	v_mov_b32_e32 v53, 0x7f800001
	s_and_saveexec_b64 s[10:11], vcc
	s_cbranch_execz .LBB555_131
; %bb.130:
	v_and_b32_e32 v51, 7, v42
	v_ffbh_u32_e32 v54, v51
	v_min_u32_e32 v56, 32, v54
	v_subrev_u32_e32 v54, 28, v56
	v_lshlrev_b64 v[54:55], v54, v[42:43]
	v_lshrrev_b32_e32 v53, 3, v38
	v_sub_u32_e32 v55, 29, v56
	v_and_b32_e32 v54, 7, v54
	v_cmp_gt_u32_e32 vcc, 8, v38
	v_cndmask_b32_e32 v38, v53, v55, vcc
	v_cndmask_b32_e32 v51, v51, v54, vcc
	v_lshlrev_b32_e32 v42, 24, v42
	v_bfrev_b32_e32 v53, 60
	v_lshlrev_b32_e32 v51, 20, v51
	v_and_b32_e32 v42, 0x80000000, v42
	v_lshl_add_u32 v38, v38, 23, v53
	v_or3_b32 v53, v42, v38, v51
.LBB555_131:
	s_or_b64 exec, exec, s[10:11]
.LBB555_132:
	s_or_b64 exec, exec, s[8:9]
.LBB555_133:
	s_or_b64 exec, exec, s[2:3]
	v_cmp_ne_u16_sdwa s[8:9], v39, v45 src0_sel:BYTE_0 src1_sel:DWORD
	s_and_saveexec_b64 s[2:3], s[8:9]
	s_cbranch_execz .LBB555_139
; %bb.134:
	s_movk_i32 s8, 0x80
	v_cmp_ne_u16_sdwa s[10:11], v39, s8 src0_sel:BYTE_0 src1_sel:DWORD
	v_bfrev_b32_e32 v45, 1
	s_and_saveexec_b64 s[8:9], s[10:11]
	s_cbranch_execz .LBB555_138
; %bb.135:
	s_movk_i32 s10, 0x7f
	v_and_b32_e32 v38, 0x7f, v39
	v_cmp_ne_u32_e32 vcc, s10, v38
	v_mov_b32_e32 v45, 0x7f800001
	s_and_saveexec_b64 s[10:11], vcc
	s_cbranch_execz .LBB555_137
; %bb.136:
	v_and_b32_e32 v45, 7, v39
	v_ffbh_u32_e32 v54, v45
	v_min_u32_e32 v56, 32, v54
	v_mov_b32_e32 v42, v39
	v_subrev_u32_e32 v54, 28, v56
	v_lshlrev_b64 v[54:55], v54, v[42:43]
	v_lshrrev_b32_e32 v51, 3, v38
	v_sub_u32_e32 v42, 29, v56
	v_and_b32_e32 v54, 7, v54
	v_cmp_gt_u32_e32 vcc, 8, v38
	v_cndmask_b32_e32 v38, v51, v42, vcc
	v_cndmask_b32_e32 v42, v45, v54, vcc
	v_lshlrev_b32_e32 v45, 24, v39
	v_bfrev_b32_e32 v51, 60
	v_lshlrev_b32_e32 v42, 20, v42
	v_and_b32_e32 v45, 0x80000000, v45
	v_lshl_add_u32 v38, v38, 23, v51
	v_or3_b32 v45, v45, v38, v42
.LBB555_137:
	s_or_b64 exec, exec, s[10:11]
.LBB555_138:
	s_or_b64 exec, exec, s[8:9]
.LBB555_139:
	s_or_b64 exec, exec, s[2:3]
	v_lshrrev_b16_e32 v38, 8, v39
	v_cmp_ne_u16_e32 vcc, 0, v38
	v_mov_b32_e32 v42, 0
	v_mov_b32_e32 v54, 0
	s_and_saveexec_b64 s[2:3], vcc
	s_cbranch_execz .LBB555_145
; %bb.140:
	s_movk_i32 s8, 0x80
	v_cmp_ne_u16_e32 vcc, s8, v38
	v_bfrev_b32_e32 v54, 1
	s_and_saveexec_b64 s[8:9], vcc
	s_cbranch_execz .LBB555_144
; %bb.141:
	s_movk_i32 s10, 0x7f
	v_and_b32_e32 v51, 0x7f, v38
	v_cmp_ne_u32_e32 vcc, s10, v51
	v_mov_b32_e32 v54, 0x7f800001
	s_and_saveexec_b64 s[10:11], vcc
	s_cbranch_execz .LBB555_143
; %bb.142:
	v_and_b32_e32 v56, 7, v38
	v_ffbh_u32_e32 v54, v56
	v_min_u32_e32 v58, 32, v54
	v_subrev_u32_e32 v54, 28, v58
	v_lshlrev_b64 v[54:55], v54, v[38:39]
	v_lshrrev_b32_e32 v57, 3, v51
	v_sub_u32_e32 v38, 29, v58
	v_and_b32_e32 v54, 7, v54
	v_cmp_gt_u32_e32 vcc, 8, v51
	v_cndmask_b32_e32 v38, v57, v38, vcc
	v_cndmask_b32_e32 v51, v56, v54, vcc
	v_lshlrev_b32_e32 v54, 16, v39
	v_bfrev_b32_e32 v55, 60
	v_lshlrev_b32_e32 v51, 20, v51
	v_and_b32_e32 v54, 0x80000000, v54
	v_lshl_add_u32 v38, v38, 23, v55
	v_or3_b32 v54, v54, v38, v51
.LBB555_143:
	s_or_b64 exec, exec, s[10:11]
.LBB555_144:
	s_or_b64 exec, exec, s[8:9]
.LBB555_145:
	s_or_b64 exec, exec, s[2:3]
	s_movk_i32 s2, 0xff
	v_and_b32_sdwa v51, v39, s2 dst_sel:DWORD dst_unused:UNUSED_PAD src0_sel:WORD_1 src1_sel:DWORD
	v_lshrrev_b32_e32 v38, 16, v39
	v_cmp_ne_u16_e32 vcc, 0, v51
	s_and_saveexec_b64 s[2:3], vcc
	s_cbranch_execz .LBB555_151
; %bb.146:
	s_movk_i32 s8, 0x80
	v_cmp_ne_u16_e32 vcc, s8, v51
	v_bfrev_b32_e32 v42, 1
	s_and_saveexec_b64 s[8:9], vcc
	s_cbranch_execz .LBB555_150
; %bb.147:
	v_bfe_u32 v51, v39, 16, 7
	s_movk_i32 s10, 0x7f
	v_cmp_ne_u32_e32 vcc, s10, v51
	v_mov_b32_e32 v42, 0x7f800001
	s_and_saveexec_b64 s[10:11], vcc
	s_cbranch_execz .LBB555_149
; %bb.148:
	v_and_b32_e32 v42, 7, v38
	v_ffbh_u32_e32 v56, v42
	v_min_u32_e32 v58, 32, v56
	v_subrev_u32_e32 v56, 28, v58
	v_lshlrev_b64 v[56:57], v56, v[38:39]
	v_lshrrev_b32_e32 v55, 3, v51
	v_sub_u32_e32 v38, 29, v58
	v_and_b32_e32 v56, 7, v56
	v_cmp_gt_u32_e32 vcc, 8, v51
	v_mov_b32_e32 v51, 24
	v_cndmask_b32_e32 v38, v55, v38, vcc
	v_cndmask_b32_e32 v42, v42, v56, vcc
	v_lshlrev_b32_sdwa v51, v51, v39 dst_sel:DWORD dst_unused:UNUSED_PAD src0_sel:DWORD src1_sel:WORD_1
	v_bfrev_b32_e32 v55, 60
	v_lshlrev_b32_e32 v42, 20, v42
	v_and_b32_e32 v51, 0x80000000, v51
	v_lshl_add_u32 v38, v38, 23, v55
	v_or3_b32 v42, v51, v38, v42
.LBB555_149:
	s_or_b64 exec, exec, s[10:11]
.LBB555_150:
	s_or_b64 exec, exec, s[8:9]
.LBB555_151:
	s_or_b64 exec, exec, s[2:3]
	s_mov_b32 s2, 0xffffff
	v_cmp_lt_u32_e32 vcc, s2, v39
	v_mov_b32_e32 v51, 0
	v_mov_b32_e32 v55, 0
	s_and_saveexec_b64 s[2:3], vcc
	s_cbranch_execz .LBB555_157
; %bb.152:
	v_lshrrev_b32_e32 v38, 24, v39
	s_movk_i32 s8, 0x80
	v_cmp_ne_u32_e32 vcc, s8, v38
	v_bfrev_b32_e32 v55, 1
	s_and_saveexec_b64 s[8:9], vcc
	s_cbranch_execz .LBB555_156
; %bb.153:
	v_bfe_u32 v39, v39, 24, 7
	s_movk_i32 s10, 0x7f
	v_cmp_ne_u32_e32 vcc, s10, v39
	v_mov_b32_e32 v55, 0x7f800001
	s_and_saveexec_b64 s[10:11], vcc
	s_cbranch_execz .LBB555_155
; %bb.154:
	v_and_b32_e32 v55, 7, v38
	v_ffbh_u32_e32 v56, v55
	v_min_u32_e32 v59, 32, v56
	v_subrev_u32_e32 v56, 28, v59
	v_lshlrev_b64 v[56:57], v56, v[38:39]
	v_lshrrev_b32_e32 v58, 3, v39
	v_sub_u32_e32 v57, 29, v59
	v_and_b32_e32 v56, 7, v56
	v_cmp_gt_u32_e32 vcc, 8, v39
	v_cndmask_b32_e32 v39, v58, v57, vcc
	v_cndmask_b32_e32 v55, v55, v56, vcc
	v_lshlrev_b32_e32 v38, 24, v38
	v_bfrev_b32_e32 v56, 60
	v_lshlrev_b32_e32 v55, 20, v55
	v_and_b32_e32 v38, 0x80000000, v38
	v_lshl_add_u32 v39, v39, 23, v56
	v_or3_b32 v55, v38, v39, v55
.LBB555_155:
	s_or_b64 exec, exec, s[10:11]
.LBB555_156:
	s_or_b64 exec, exec, s[8:9]
.LBB555_157:
	s_or_b64 exec, exec, s[2:3]
	v_cvt_pkrtz_f16_f32 v38, v52, v44
	v_cvt_pkrtz_f16_f32 v39, v43, v53
	v_cmp_ne_u16_sdwa s[8:9], v40, v51 src0_sel:BYTE_0 src1_sel:DWORD
	s_nop 0
	v_mfma_f32_16x16x16f16 v[56:59], v[38:39], v[26:27], 0
	v_cvt_pkrtz_f16_f32 v38, v45, v54
	v_cvt_pkrtz_f16_f32 v39, v42, v55
	s_nop 1
	v_mfma_f32_16x16x16f16 v[42:45], v[38:39], v[28:29], v[56:59]
	s_and_saveexec_b64 s[2:3], s[8:9]
	s_cbranch_execz .LBB555_163
; %bb.158:
	s_movk_i32 s8, 0x80
	v_cmp_ne_u16_sdwa s[10:11], v40, s8 src0_sel:BYTE_0 src1_sel:DWORD
	v_bfrev_b32_e32 v51, 1
	s_and_saveexec_b64 s[8:9], s[10:11]
	s_cbranch_execz .LBB555_162
; %bb.159:
	s_movk_i32 s10, 0x7f
	v_and_b32_e32 v38, 0x7f, v40
	v_cmp_ne_u32_e32 vcc, s10, v38
	v_mov_b32_e32 v51, 0x7f800001
	s_and_saveexec_b64 s[10:11], vcc
	s_cbranch_execz .LBB555_161
; %bb.160:
	v_and_b32_e32 v39, 7, v40
	v_ffbh_u32_e32 v52, v39
	v_min_u32_e32 v54, 32, v52
	v_subrev_u32_e32 v52, 28, v54
	v_lshlrev_b64 v[52:53], v52, v[40:41]
	v_lshrrev_b32_e32 v51, 3, v38
	v_sub_u32_e32 v53, 29, v54
	v_and_b32_e32 v52, 7, v52
	v_cmp_gt_u32_e32 vcc, 8, v38
	v_cndmask_b32_e32 v38, v51, v53, vcc
	v_cndmask_b32_e32 v39, v39, v52, vcc
	v_lshlrev_b32_e32 v51, 24, v40
	v_bfrev_b32_e32 v52, 60
	v_lshlrev_b32_e32 v39, 20, v39
	v_and_b32_e32 v51, 0x80000000, v51
	v_lshl_add_u32 v38, v38, 23, v52
	v_or3_b32 v51, v51, v38, v39
.LBB555_161:
	s_or_b64 exec, exec, s[10:11]
.LBB555_162:
	s_or_b64 exec, exec, s[8:9]
.LBB555_163:
	s_or_b64 exec, exec, s[2:3]
	v_lshrrev_b16_e32 v38, 8, v40
	v_cmp_ne_u16_e32 vcc, 0, v38
	v_mov_b32_e32 v39, 0
	v_mov_b32_e32 v53, 0
	s_and_saveexec_b64 s[2:3], vcc
	s_cbranch_execz .LBB555_169
; %bb.164:
	s_movk_i32 s8, 0x80
	v_cmp_ne_u16_e32 vcc, s8, v38
	v_bfrev_b32_e32 v53, 1
	s_and_saveexec_b64 s[8:9], vcc
	s_cbranch_execz .LBB555_168
; %bb.165:
	s_movk_i32 s10, 0x7f
	v_and_b32_e32 v52, 0x7f, v38
	v_cmp_ne_u32_e32 vcc, s10, v52
	v_mov_b32_e32 v53, 0x7f800001
	s_and_saveexec_b64 s[10:11], vcc
	s_cbranch_execz .LBB555_167
; %bb.166:
	v_and_b32_e32 v53, 7, v38
	v_ffbh_u32_e32 v54, v53
	v_min_u32_e32 v57, 32, v54
	v_subrev_u32_e32 v54, 28, v57
	v_lshlrev_b64 v[54:55], v54, v[38:39]
	v_lshrrev_b32_e32 v56, 3, v52
	v_sub_u32_e32 v38, 29, v57
	v_and_b32_e32 v54, 7, v54
	v_cmp_gt_u32_e32 vcc, 8, v52
	v_cndmask_b32_e32 v38, v56, v38, vcc
	v_cndmask_b32_e32 v52, v53, v54, vcc
	v_lshlrev_b32_e32 v53, 16, v40
	v_bfrev_b32_e32 v54, 60
	v_lshlrev_b32_e32 v52, 20, v52
	v_and_b32_e32 v53, 0x80000000, v53
	v_lshl_add_u32 v38, v38, 23, v54
	v_or3_b32 v53, v53, v38, v52
.LBB555_167:
	s_or_b64 exec, exec, s[10:11]
.LBB555_168:
	s_or_b64 exec, exec, s[8:9]
.LBB555_169:
	s_or_b64 exec, exec, s[2:3]
	s_movk_i32 s2, 0xff
	v_and_b32_sdwa v52, v40, s2 dst_sel:DWORD dst_unused:UNUSED_PAD src0_sel:WORD_1 src1_sel:DWORD
	v_lshrrev_b32_e32 v38, 16, v40
	v_cmp_ne_u16_e32 vcc, 0, v52
	s_and_saveexec_b64 s[2:3], vcc
	s_cbranch_execz .LBB555_175
; %bb.170:
	s_movk_i32 s8, 0x80
	v_cmp_ne_u16_e32 vcc, s8, v52
	v_bfrev_b32_e32 v39, 1
	s_and_saveexec_b64 s[8:9], vcc
	s_cbranch_execz .LBB555_174
; %bb.171:
	v_bfe_u32 v52, v40, 16, 7
	s_movk_i32 s10, 0x7f
	v_cmp_ne_u32_e32 vcc, s10, v52
	v_mov_b32_e32 v39, 0x7f800001
	s_and_saveexec_b64 s[10:11], vcc
	s_cbranch_execz .LBB555_173
; %bb.172:
	v_and_b32_e32 v54, 7, v38
	v_ffbh_u32_e32 v39, v54
	v_min_u32_e32 v56, 32, v39
	v_subrev_u32_e32 v39, 28, v56
	v_lshlrev_b64 v[38:39], v39, v[38:39]
	v_lshrrev_b32_e32 v55, 3, v52
	v_sub_u32_e32 v39, 29, v56
	v_and_b32_e32 v38, 7, v38
	v_cmp_gt_u32_e32 vcc, 8, v52
	v_mov_b32_e32 v52, 24
	v_cndmask_b32_e32 v39, v55, v39, vcc
	v_cndmask_b32_e32 v38, v54, v38, vcc
	v_lshlrev_b32_sdwa v52, v52, v40 dst_sel:DWORD dst_unused:UNUSED_PAD src0_sel:DWORD src1_sel:WORD_1
	v_bfrev_b32_e32 v54, 60
	v_lshlrev_b32_e32 v38, 20, v38
	v_and_b32_e32 v52, 0x80000000, v52
	v_lshl_add_u32 v39, v39, 23, v54
	v_or3_b32 v39, v52, v39, v38
.LBB555_173:
	s_or_b64 exec, exec, s[10:11]
.LBB555_174:
	s_or_b64 exec, exec, s[8:9]
.LBB555_175:
	s_or_b64 exec, exec, s[2:3]
	s_mov_b32 s2, 0xffffff
	v_cmp_lt_u32_e32 vcc, s2, v40
	v_mov_b32_e32 v54, 0
	v_mov_b32_e32 v55, 0
	s_and_saveexec_b64 s[2:3], vcc
	s_cbranch_execz .LBB555_181
; %bb.176:
	v_lshrrev_b32_e32 v38, 24, v40
	s_movk_i32 s8, 0x80
	v_cmp_ne_u32_e32 vcc, s8, v38
	v_bfrev_b32_e32 v55, 1
	s_and_saveexec_b64 s[8:9], vcc
	s_cbranch_execz .LBB555_180
; %bb.177:
	v_bfe_u32 v40, v40, 24, 7
	s_movk_i32 s10, 0x7f
	v_cmp_ne_u32_e32 vcc, s10, v40
	v_mov_b32_e32 v55, 0x7f800001
	s_and_saveexec_b64 s[10:11], vcc
	s_cbranch_execz .LBB555_179
; %bb.178:
	v_and_b32_e32 v52, 7, v38
	v_ffbh_u32_e32 v56, v52
	v_min_u32_e32 v58, 32, v56
	v_subrev_u32_e32 v56, 28, v58
	v_lshlrev_b64 v[56:57], v56, v[38:39]
	v_lshrrev_b32_e32 v55, 3, v40
	v_sub_u32_e32 v57, 29, v58
	v_and_b32_e32 v56, 7, v56
	v_cmp_gt_u32_e32 vcc, 8, v40
	v_cndmask_b32_e32 v40, v55, v57, vcc
	v_cndmask_b32_e32 v52, v52, v56, vcc
	v_lshlrev_b32_e32 v38, 24, v38
	v_bfrev_b32_e32 v55, 60
	v_lshlrev_b32_e32 v52, 20, v52
	v_and_b32_e32 v38, 0x80000000, v38
	v_lshl_add_u32 v40, v40, 23, v55
	v_or3_b32 v55, v38, v40, v52
.LBB555_179:
	s_or_b64 exec, exec, s[10:11]
.LBB555_180:
	s_or_b64 exec, exec, s[8:9]
.LBB555_181:
	s_or_b64 exec, exec, s[2:3]
	v_cmp_ne_u16_sdwa s[8:9], v41, v54 src0_sel:BYTE_0 src1_sel:DWORD
	s_and_saveexec_b64 s[2:3], s[8:9]
	s_cbranch_execz .LBB555_187
; %bb.182:
	s_movk_i32 s8, 0x80
	v_cmp_ne_u16_sdwa s[10:11], v41, s8 src0_sel:BYTE_0 src1_sel:DWORD
	v_bfrev_b32_e32 v54, 1
	s_and_saveexec_b64 s[8:9], s[10:11]
	s_cbranch_execz .LBB555_186
; %bb.183:
	s_movk_i32 s10, 0x7f
	v_and_b32_e32 v38, 0x7f, v41
	v_cmp_ne_u32_e32 vcc, s10, v38
	v_mov_b32_e32 v54, 0x7f800001
	s_and_saveexec_b64 s[10:11], vcc
	s_cbranch_execz .LBB555_185
; %bb.184:
	v_and_b32_e32 v52, 7, v41
	v_ffbh_u32_e32 v56, v52
	v_min_u32_e32 v58, 32, v56
	v_mov_b32_e32 v40, v41
	v_subrev_u32_e32 v56, 28, v58
	v_lshlrev_b64 v[56:57], v56, v[40:41]
	v_lshrrev_b32_e32 v54, 3, v38
	v_sub_u32_e32 v40, 29, v58
	v_and_b32_e32 v56, 7, v56
	v_cmp_gt_u32_e32 vcc, 8, v38
	v_cndmask_b32_e32 v38, v54, v40, vcc
	v_cndmask_b32_e32 v40, v52, v56, vcc
	v_lshlrev_b32_e32 v52, 24, v41
	v_bfrev_b32_e32 v54, 60
	v_lshlrev_b32_e32 v40, 20, v40
	v_and_b32_e32 v52, 0x80000000, v52
	v_lshl_add_u32 v38, v38, 23, v54
	v_or3_b32 v54, v52, v38, v40
.LBB555_185:
	s_or_b64 exec, exec, s[10:11]
.LBB555_186:
	s_or_b64 exec, exec, s[8:9]
.LBB555_187:
	s_or_b64 exec, exec, s[2:3]
	v_lshrrev_b16_e32 v38, 8, v41
	v_cmp_ne_u16_e32 vcc, 0, v38
	v_mov_b32_e32 v40, 0
	v_mov_b32_e32 v56, 0
	s_and_saveexec_b64 s[2:3], vcc
	s_cbranch_execz .LBB555_193
; %bb.188:
	s_movk_i32 s8, 0x80
	v_cmp_ne_u16_e32 vcc, s8, v38
	v_bfrev_b32_e32 v56, 1
	s_and_saveexec_b64 s[8:9], vcc
	s_cbranch_execz .LBB555_192
; %bb.189:
	s_movk_i32 s10, 0x7f
	v_and_b32_e32 v52, 0x7f, v38
	v_cmp_ne_u32_e32 vcc, s10, v52
	v_mov_b32_e32 v56, 0x7f800001
	s_and_saveexec_b64 s[10:11], vcc
	s_cbranch_execz .LBB555_191
; %bb.190:
	v_and_b32_e32 v58, 7, v38
	v_ffbh_u32_e32 v56, v58
	v_min_u32_e32 v60, 32, v56
	v_subrev_u32_e32 v56, 28, v60
	v_lshlrev_b64 v[56:57], v56, v[38:39]
	v_lshrrev_b32_e32 v59, 3, v52
	v_sub_u32_e32 v38, 29, v60
	v_and_b32_e32 v56, 7, v56
	v_cmp_gt_u32_e32 vcc, 8, v52
	v_cndmask_b32_e32 v38, v59, v38, vcc
	v_cndmask_b32_e32 v52, v58, v56, vcc
	v_lshlrev_b32_e32 v56, 16, v41
	v_bfrev_b32_e32 v57, 60
	v_lshlrev_b32_e32 v52, 20, v52
	v_and_b32_e32 v56, 0x80000000, v56
	v_lshl_add_u32 v38, v38, 23, v57
	v_or3_b32 v56, v56, v38, v52
.LBB555_191:
	s_or_b64 exec, exec, s[10:11]
.LBB555_192:
	s_or_b64 exec, exec, s[8:9]
.LBB555_193:
	s_or_b64 exec, exec, s[2:3]
	s_movk_i32 s2, 0xff
	v_and_b32_sdwa v52, v41, s2 dst_sel:DWORD dst_unused:UNUSED_PAD src0_sel:WORD_1 src1_sel:DWORD
	v_lshrrev_b32_e32 v38, 16, v41
	v_cmp_ne_u16_e32 vcc, 0, v52
	s_and_saveexec_b64 s[2:3], vcc
	s_cbranch_execz .LBB555_199
; %bb.194:
	s_movk_i32 s8, 0x80
	v_cmp_ne_u16_e32 vcc, s8, v52
	v_bfrev_b32_e32 v40, 1
	s_and_saveexec_b64 s[8:9], vcc
	s_cbranch_execz .LBB555_198
; %bb.195:
	v_bfe_u32 v52, v41, 16, 7
	s_movk_i32 s10, 0x7f
	v_cmp_ne_u32_e32 vcc, s10, v52
	v_mov_b32_e32 v40, 0x7f800001
	s_and_saveexec_b64 s[10:11], vcc
	s_cbranch_execz .LBB555_197
; %bb.196:
	v_and_b32_e32 v40, 7, v38
	v_ffbh_u32_e32 v58, v40
	v_min_u32_e32 v60, 32, v58
	v_subrev_u32_e32 v58, 28, v60
	v_lshlrev_b64 v[58:59], v58, v[38:39]
	v_lshrrev_b32_e32 v57, 3, v52
	v_sub_u32_e32 v38, 29, v60
	v_and_b32_e32 v58, 7, v58
	v_cmp_gt_u32_e32 vcc, 8, v52
	v_mov_b32_e32 v52, 24
	v_cndmask_b32_e32 v38, v57, v38, vcc
	v_cndmask_b32_e32 v40, v40, v58, vcc
	v_lshlrev_b32_sdwa v52, v52, v41 dst_sel:DWORD dst_unused:UNUSED_PAD src0_sel:DWORD src1_sel:WORD_1
	v_bfrev_b32_e32 v57, 60
	v_lshlrev_b32_e32 v40, 20, v40
	v_and_b32_e32 v52, 0x80000000, v52
	v_lshl_add_u32 v38, v38, 23, v57
	v_or3_b32 v40, v52, v38, v40
.LBB555_197:
	s_or_b64 exec, exec, s[10:11]
.LBB555_198:
	s_or_b64 exec, exec, s[8:9]
.LBB555_199:
	s_or_b64 exec, exec, s[2:3]
	s_mov_b32 s2, 0xffffff
	v_cmp_lt_u32_e32 vcc, s2, v41
	v_mov_b32_e32 v52, 0
	v_mov_b32_e32 v57, 0
	s_and_saveexec_b64 s[2:3], vcc
	s_cbranch_execz .LBB555_205
; %bb.200:
	v_lshrrev_b32_e32 v38, 24, v41
	s_movk_i32 s8, 0x80
	v_cmp_ne_u32_e32 vcc, s8, v38
	v_bfrev_b32_e32 v57, 1
	s_and_saveexec_b64 s[8:9], vcc
	s_cbranch_execz .LBB555_204
; %bb.201:
	v_bfe_u32 v41, v41, 24, 7
	s_movk_i32 s10, 0x7f
	v_cmp_ne_u32_e32 vcc, s10, v41
	v_mov_b32_e32 v57, 0x7f800001
	s_and_saveexec_b64 s[10:11], vcc
	s_cbranch_execz .LBB555_203
; %bb.202:
	v_and_b32_e32 v57, 7, v38
	v_ffbh_u32_e32 v58, v57
	v_min_u32_e32 v61, 32, v58
	v_subrev_u32_e32 v58, 28, v61
	v_lshlrev_b64 v[58:59], v58, v[38:39]
	v_lshrrev_b32_e32 v60, 3, v41
	v_sub_u32_e32 v59, 29, v61
	v_and_b32_e32 v58, 7, v58
	v_cmp_gt_u32_e32 vcc, 8, v41
	v_cndmask_b32_e32 v41, v60, v59, vcc
	v_cndmask_b32_e32 v57, v57, v58, vcc
	v_lshlrev_b32_e32 v38, 24, v38
	v_bfrev_b32_e32 v58, 60
	v_lshlrev_b32_e32 v57, 20, v57
	v_and_b32_e32 v38, 0x80000000, v38
	v_lshl_add_u32 v41, v41, 23, v58
	v_or3_b32 v57, v38, v41, v57
.LBB555_203:
	s_or_b64 exec, exec, s[10:11]
.LBB555_204:
	s_or_b64 exec, exec, s[8:9]
.LBB555_205:
	s_or_b64 exec, exec, s[2:3]
	v_cvt_pkrtz_f16_f32 v38, v51, v53
	v_cvt_pkrtz_f16_f32 v39, v39, v55
	v_cmp_ne_u16_sdwa s[8:9], v30, v52 src0_sel:BYTE_0 src1_sel:DWORD
	s_nop 0
	v_mfma_f32_16x16x16f16 v[42:45], v[38:39], v[18:19], v[42:45]
	v_cvt_pkrtz_f16_f32 v38, v54, v56
	v_cvt_pkrtz_f16_f32 v39, v40, v57
	s_nop 1
	v_mfma_f32_16x16x16f16 v[38:41], v[38:39], v[20:21], v[42:45]
	s_and_saveexec_b64 s[2:3], s[8:9]
	s_cbranch_execz .LBB555_211
; %bb.206:
	s_movk_i32 s8, 0x80
	v_cmp_ne_u16_sdwa s[10:11], v30, s8 src0_sel:BYTE_0 src1_sel:DWORD
	v_bfrev_b32_e32 v52, 1
	s_and_saveexec_b64 s[8:9], s[10:11]
	s_cbranch_execz .LBB555_210
; %bb.207:
	s_movk_i32 s10, 0x7f
	v_and_b32_e32 v42, 0x7f, v30
	v_cmp_ne_u32_e32 vcc, s10, v42
	v_mov_b32_e32 v52, 0x7f800001
	s_and_saveexec_b64 s[10:11], vcc
	s_cbranch_execz .LBB555_209
; %bb.208:
	v_and_b32_e32 v43, 7, v30
	v_ffbh_u32_e32 v44, v43
	v_min_u32_e32 v52, 32, v44
	v_subrev_u32_e32 v44, 28, v52
	v_lshlrev_b64 v[44:45], v44, v[30:31]
	v_lshrrev_b32_e32 v51, 3, v42
	v_sub_u32_e32 v45, 29, v52
	v_and_b32_e32 v44, 7, v44
	v_cmp_gt_u32_e32 vcc, 8, v42
	v_cndmask_b32_e32 v42, v51, v45, vcc
	v_cndmask_b32_e32 v43, v43, v44, vcc
	v_lshlrev_b32_e32 v44, 24, v30
	v_bfrev_b32_e32 v45, 60
	v_lshlrev_b32_e32 v43, 20, v43
	v_and_b32_e32 v44, 0x80000000, v44
	v_lshl_add_u32 v42, v42, 23, v45
	v_or3_b32 v52, v44, v42, v43
.LBB555_209:
	s_or_b64 exec, exec, s[10:11]
.LBB555_210:
	s_or_b64 exec, exec, s[8:9]
.LBB555_211:
	s_or_b64 exec, exec, s[2:3]
	s_nop 3
	v_lshrrev_b16_e32 v42, 8, v30
	v_cmp_ne_u16_e32 vcc, 0, v42
	v_mov_b32_e32 v43, 0
	v_mov_b32_e32 v44, 0
	s_and_saveexec_b64 s[2:3], vcc
	s_cbranch_execz .LBB555_217
; %bb.212:
	s_movk_i32 s8, 0x80
	v_cmp_ne_u16_e32 vcc, s8, v42
	v_bfrev_b32_e32 v44, 1
	s_and_saveexec_b64 s[8:9], vcc
	s_cbranch_execz .LBB555_216
; %bb.213:
	s_movk_i32 s10, 0x7f
	v_and_b32_e32 v45, 0x7f, v42
	v_cmp_ne_u32_e32 vcc, s10, v45
	v_mov_b32_e32 v44, 0x7f800001
	s_and_saveexec_b64 s[10:11], vcc
	s_cbranch_execz .LBB555_215
; %bb.214:
	v_and_b32_e32 v44, 7, v42
	v_ffbh_u32_e32 v53, v44
	v_min_u32_e32 v53, 32, v53
	v_subrev_u32_e32 v54, 28, v53
	v_lshlrev_b64 v[54:55], v54, v[42:43]
	v_lshrrev_b32_e32 v51, 3, v45
	v_sub_u32_e32 v42, 29, v53
	v_and_b32_e32 v53, 7, v54
	v_cmp_gt_u32_e32 vcc, 8, v45
	v_cndmask_b32_e32 v42, v51, v42, vcc
	v_cndmask_b32_e32 v44, v44, v53, vcc
	v_lshlrev_b32_e32 v45, 16, v30
	v_bfrev_b32_e32 v51, 60
	v_lshlrev_b32_e32 v44, 20, v44
	v_and_b32_e32 v45, 0x80000000, v45
	v_lshl_add_u32 v42, v42, 23, v51
	v_or3_b32 v44, v45, v42, v44
.LBB555_215:
	s_or_b64 exec, exec, s[10:11]
.LBB555_216:
	s_or_b64 exec, exec, s[8:9]
.LBB555_217:
	s_or_b64 exec, exec, s[2:3]
	s_movk_i32 s2, 0xff
	v_and_b32_sdwa v45, v30, s2 dst_sel:DWORD dst_unused:UNUSED_PAD src0_sel:WORD_1 src1_sel:DWORD
	v_lshrrev_b32_e32 v42, 16, v30
	v_cmp_ne_u16_e32 vcc, 0, v45
	s_and_saveexec_b64 s[2:3], vcc
	s_cbranch_execz .LBB555_223
; %bb.218:
	s_movk_i32 s8, 0x80
	v_cmp_ne_u16_e32 vcc, s8, v45
	v_bfrev_b32_e32 v43, 1
	s_and_saveexec_b64 s[8:9], vcc
	s_cbranch_execz .LBB555_222
; %bb.219:
	v_bfe_u32 v45, v30, 16, 7
	s_movk_i32 s10, 0x7f
	v_cmp_ne_u32_e32 vcc, s10, v45
	v_mov_b32_e32 v43, 0x7f800001
	s_and_saveexec_b64 s[10:11], vcc
	s_cbranch_execz .LBB555_221
; %bb.220:
	v_and_b32_e32 v51, 7, v42
	v_ffbh_u32_e32 v43, v51
	v_min_u32_e32 v54, 32, v43
	v_subrev_u32_e32 v43, 28, v54
	v_lshlrev_b64 v[42:43], v43, v[42:43]
	v_lshrrev_b32_e32 v53, 3, v45
	v_sub_u32_e32 v43, 29, v54
	v_and_b32_e32 v42, 7, v42
	v_cmp_gt_u32_e32 vcc, 8, v45
	v_mov_b32_e32 v45, 24
	v_cndmask_b32_e32 v43, v53, v43, vcc
	v_cndmask_b32_e32 v42, v51, v42, vcc
	v_lshlrev_b32_sdwa v45, v45, v30 dst_sel:DWORD dst_unused:UNUSED_PAD src0_sel:DWORD src1_sel:WORD_1
	v_bfrev_b32_e32 v51, 60
	v_lshlrev_b32_e32 v42, 20, v42
	v_and_b32_e32 v45, 0x80000000, v45
	v_lshl_add_u32 v43, v43, 23, v51
	v_or3_b32 v43, v45, v43, v42
.LBB555_221:
	s_or_b64 exec, exec, s[10:11]
.LBB555_222:
	s_or_b64 exec, exec, s[8:9]
.LBB555_223:
	s_or_b64 exec, exec, s[2:3]
	s_mov_b32 s2, 0xffffff
	v_cmp_lt_u32_e32 vcc, s2, v30
	v_mov_b32_e32 v45, 0
	v_mov_b32_e32 v53, 0
	s_and_saveexec_b64 s[2:3], vcc
	s_cbranch_execz .LBB555_229
; %bb.224:
	v_lshrrev_b32_e32 v42, 24, v30
	s_movk_i32 s8, 0x80
	v_cmp_ne_u32_e32 vcc, s8, v42
	v_bfrev_b32_e32 v53, 1
	s_and_saveexec_b64 s[8:9], vcc
	s_cbranch_execz .LBB555_228
; %bb.225:
	v_bfe_u32 v30, v30, 24, 7
	s_movk_i32 s10, 0x7f
	v_cmp_ne_u32_e32 vcc, s10, v30
	v_mov_b32_e32 v53, 0x7f800001
	s_and_saveexec_b64 s[10:11], vcc
	s_cbranch_execz .LBB555_227
; %bb.226:
	v_and_b32_e32 v51, 7, v42
	v_ffbh_u32_e32 v54, v51
	v_min_u32_e32 v56, 32, v54
	v_subrev_u32_e32 v54, 28, v56
	v_lshlrev_b64 v[54:55], v54, v[42:43]
	v_lshrrev_b32_e32 v53, 3, v30
	v_sub_u32_e32 v55, 29, v56
	v_and_b32_e32 v54, 7, v54
	v_cmp_gt_u32_e32 vcc, 8, v30
	v_cndmask_b32_e32 v30, v53, v55, vcc
	v_cndmask_b32_e32 v51, v51, v54, vcc
	v_lshlrev_b32_e32 v42, 24, v42
	v_bfrev_b32_e32 v53, 60
	v_lshlrev_b32_e32 v51, 20, v51
	v_and_b32_e32 v42, 0x80000000, v42
	v_lshl_add_u32 v30, v30, 23, v53
	v_or3_b32 v53, v42, v30, v51
.LBB555_227:
	s_or_b64 exec, exec, s[10:11]
.LBB555_228:
	s_or_b64 exec, exec, s[8:9]
.LBB555_229:
	s_or_b64 exec, exec, s[2:3]
	v_cmp_ne_u16_sdwa s[8:9], v31, v45 src0_sel:BYTE_0 src1_sel:DWORD
	s_and_saveexec_b64 s[2:3], s[8:9]
	s_cbranch_execz .LBB555_235
; %bb.230:
	s_movk_i32 s8, 0x80
	v_cmp_ne_u16_sdwa s[10:11], v31, s8 src0_sel:BYTE_0 src1_sel:DWORD
	v_bfrev_b32_e32 v45, 1
	s_and_saveexec_b64 s[8:9], s[10:11]
	s_cbranch_execz .LBB555_234
; %bb.231:
	s_movk_i32 s10, 0x7f
	v_and_b32_e32 v30, 0x7f, v31
	v_cmp_ne_u32_e32 vcc, s10, v30
	v_mov_b32_e32 v45, 0x7f800001
	s_and_saveexec_b64 s[10:11], vcc
	s_cbranch_execz .LBB555_233
; %bb.232:
	v_and_b32_e32 v45, 7, v31
	v_ffbh_u32_e32 v54, v45
	v_min_u32_e32 v56, 32, v54
	v_mov_b32_e32 v42, v31
	v_subrev_u32_e32 v54, 28, v56
	v_lshlrev_b64 v[54:55], v54, v[42:43]
	v_lshrrev_b32_e32 v51, 3, v30
	v_sub_u32_e32 v42, 29, v56
	v_and_b32_e32 v54, 7, v54
	v_cmp_gt_u32_e32 vcc, 8, v30
	v_cndmask_b32_e32 v30, v51, v42, vcc
	v_cndmask_b32_e32 v42, v45, v54, vcc
	v_lshlrev_b32_e32 v45, 24, v31
	v_bfrev_b32_e32 v51, 60
	v_lshlrev_b32_e32 v42, 20, v42
	v_and_b32_e32 v45, 0x80000000, v45
	v_lshl_add_u32 v30, v30, 23, v51
	v_or3_b32 v45, v45, v30, v42
.LBB555_233:
	s_or_b64 exec, exec, s[10:11]
.LBB555_234:
	s_or_b64 exec, exec, s[8:9]
.LBB555_235:
	s_or_b64 exec, exec, s[2:3]
	v_lshrrev_b16_e32 v30, 8, v31
	v_cmp_ne_u16_e32 vcc, 0, v30
	v_mov_b32_e32 v42, 0
	v_mov_b32_e32 v54, 0
	s_and_saveexec_b64 s[2:3], vcc
	s_cbranch_execz .LBB555_241
; %bb.236:
	s_movk_i32 s8, 0x80
	v_cmp_ne_u16_e32 vcc, s8, v30
	v_bfrev_b32_e32 v54, 1
	s_and_saveexec_b64 s[8:9], vcc
	s_cbranch_execz .LBB555_240
; %bb.237:
	s_movk_i32 s10, 0x7f
	v_and_b32_e32 v51, 0x7f, v30
	v_cmp_ne_u32_e32 vcc, s10, v51
	v_mov_b32_e32 v54, 0x7f800001
	s_and_saveexec_b64 s[10:11], vcc
	s_cbranch_execz .LBB555_239
; %bb.238:
	v_and_b32_e32 v56, 7, v30
	v_ffbh_u32_e32 v54, v56
	v_min_u32_e32 v58, 32, v54
	v_subrev_u32_e32 v54, 28, v58
	v_lshlrev_b64 v[54:55], v54, v[30:31]
	v_lshrrev_b32_e32 v57, 3, v51
	v_sub_u32_e32 v30, 29, v58
	v_and_b32_e32 v54, 7, v54
	v_cmp_gt_u32_e32 vcc, 8, v51
	v_cndmask_b32_e32 v30, v57, v30, vcc
	v_cndmask_b32_e32 v51, v56, v54, vcc
	v_lshlrev_b32_e32 v54, 16, v31
	v_bfrev_b32_e32 v55, 60
	v_lshlrev_b32_e32 v51, 20, v51
	v_and_b32_e32 v54, 0x80000000, v54
	v_lshl_add_u32 v30, v30, 23, v55
	v_or3_b32 v54, v54, v30, v51
.LBB555_239:
	s_or_b64 exec, exec, s[10:11]
.LBB555_240:
	s_or_b64 exec, exec, s[8:9]
.LBB555_241:
	s_or_b64 exec, exec, s[2:3]
	s_movk_i32 s2, 0xff
	v_and_b32_sdwa v51, v31, s2 dst_sel:DWORD dst_unused:UNUSED_PAD src0_sel:WORD_1 src1_sel:DWORD
	v_lshrrev_b32_e32 v30, 16, v31
	v_cmp_ne_u16_e32 vcc, 0, v51
	s_and_saveexec_b64 s[2:3], vcc
	s_cbranch_execz .LBB555_247
; %bb.242:
	s_movk_i32 s8, 0x80
	v_cmp_ne_u16_e32 vcc, s8, v51
	v_bfrev_b32_e32 v42, 1
	s_and_saveexec_b64 s[8:9], vcc
	s_cbranch_execz .LBB555_246
; %bb.243:
	v_bfe_u32 v51, v31, 16, 7
	s_movk_i32 s10, 0x7f
	v_cmp_ne_u32_e32 vcc, s10, v51
	v_mov_b32_e32 v42, 0x7f800001
	s_and_saveexec_b64 s[10:11], vcc
	s_cbranch_execz .LBB555_245
; %bb.244:
	v_and_b32_e32 v42, 7, v30
	v_ffbh_u32_e32 v56, v42
	v_min_u32_e32 v58, 32, v56
	v_subrev_u32_e32 v56, 28, v58
	v_lshlrev_b64 v[56:57], v56, v[30:31]
	v_lshrrev_b32_e32 v55, 3, v51
	v_sub_u32_e32 v30, 29, v58
	v_and_b32_e32 v56, 7, v56
	v_cmp_gt_u32_e32 vcc, 8, v51
	v_mov_b32_e32 v51, 24
	v_cndmask_b32_e32 v30, v55, v30, vcc
	v_cndmask_b32_e32 v42, v42, v56, vcc
	v_lshlrev_b32_sdwa v51, v51, v31 dst_sel:DWORD dst_unused:UNUSED_PAD src0_sel:DWORD src1_sel:WORD_1
	v_bfrev_b32_e32 v55, 60
	v_lshlrev_b32_e32 v42, 20, v42
	v_and_b32_e32 v51, 0x80000000, v51
	v_lshl_add_u32 v30, v30, 23, v55
	v_or3_b32 v42, v51, v30, v42
.LBB555_245:
	s_or_b64 exec, exec, s[10:11]
.LBB555_246:
	s_or_b64 exec, exec, s[8:9]
.LBB555_247:
	s_or_b64 exec, exec, s[2:3]
	s_mov_b32 s2, 0xffffff
	v_cmp_lt_u32_e32 vcc, s2, v31
	v_mov_b32_e32 v51, 0
	v_mov_b32_e32 v55, 0
	s_and_saveexec_b64 s[2:3], vcc
	s_cbranch_execz .LBB555_253
; %bb.248:
	v_lshrrev_b32_e32 v30, 24, v31
	s_movk_i32 s8, 0x80
	v_cmp_ne_u32_e32 vcc, s8, v30
	v_bfrev_b32_e32 v55, 1
	s_and_saveexec_b64 s[8:9], vcc
	s_cbranch_execz .LBB555_252
; %bb.249:
	v_bfe_u32 v31, v31, 24, 7
	s_movk_i32 s10, 0x7f
	v_cmp_ne_u32_e32 vcc, s10, v31
	v_mov_b32_e32 v55, 0x7f800001
	s_and_saveexec_b64 s[10:11], vcc
	s_cbranch_execz .LBB555_251
; %bb.250:
	v_and_b32_e32 v55, 7, v30
	v_ffbh_u32_e32 v56, v55
	v_min_u32_e32 v59, 32, v56
	v_subrev_u32_e32 v56, 28, v59
	v_lshlrev_b64 v[56:57], v56, v[30:31]
	v_lshrrev_b32_e32 v58, 3, v31
	v_sub_u32_e32 v57, 29, v59
	v_and_b32_e32 v56, 7, v56
	v_cmp_gt_u32_e32 vcc, 8, v31
	v_cndmask_b32_e32 v31, v58, v57, vcc
	v_cndmask_b32_e32 v55, v55, v56, vcc
	v_lshlrev_b32_e32 v30, 24, v30
	v_bfrev_b32_e32 v56, 60
	v_lshlrev_b32_e32 v55, 20, v55
	v_and_b32_e32 v30, 0x80000000, v30
	v_lshl_add_u32 v31, v31, 23, v56
	v_or3_b32 v55, v30, v31, v55
.LBB555_251:
	s_or_b64 exec, exec, s[10:11]
.LBB555_252:
	s_or_b64 exec, exec, s[8:9]
.LBB555_253:
	s_or_b64 exec, exec, s[2:3]
	v_cvt_pkrtz_f16_f32 v30, v52, v44
	v_cvt_pkrtz_f16_f32 v31, v43, v53
	v_cmp_ne_u16_sdwa s[8:9], v32, v51 src0_sel:BYTE_0 src1_sel:DWORD
	s_nop 0
	v_mfma_f32_16x16x16f16 v[56:59], v[30:31], v[26:27], 0
	v_cvt_pkrtz_f16_f32 v30, v45, v54
	v_cvt_pkrtz_f16_f32 v31, v42, v55
	s_nop 1
	v_mfma_f32_16x16x16f16 v[42:45], v[30:31], v[28:29], v[56:59]
	s_and_saveexec_b64 s[2:3], s[8:9]
	s_cbranch_execz .LBB555_259
; %bb.254:
	s_movk_i32 s8, 0x80
	v_cmp_ne_u16_sdwa s[10:11], v32, s8 src0_sel:BYTE_0 src1_sel:DWORD
	v_bfrev_b32_e32 v51, 1
	s_and_saveexec_b64 s[8:9], s[10:11]
	s_cbranch_execz .LBB555_258
; %bb.255:
	s_movk_i32 s10, 0x7f
	v_and_b32_e32 v30, 0x7f, v32
	v_cmp_ne_u32_e32 vcc, s10, v30
	v_mov_b32_e32 v51, 0x7f800001
	s_and_saveexec_b64 s[10:11], vcc
	s_cbranch_execz .LBB555_257
; %bb.256:
	v_and_b32_e32 v31, 7, v32
	v_ffbh_u32_e32 v52, v31
	v_min_u32_e32 v54, 32, v52
	v_subrev_u32_e32 v52, 28, v54
	v_lshlrev_b64 v[52:53], v52, v[32:33]
	v_lshrrev_b32_e32 v51, 3, v30
	v_sub_u32_e32 v53, 29, v54
	v_and_b32_e32 v52, 7, v52
	v_cmp_gt_u32_e32 vcc, 8, v30
	v_cndmask_b32_e32 v30, v51, v53, vcc
	v_cndmask_b32_e32 v31, v31, v52, vcc
	v_lshlrev_b32_e32 v51, 24, v32
	v_bfrev_b32_e32 v52, 60
	v_lshlrev_b32_e32 v31, 20, v31
	v_and_b32_e32 v51, 0x80000000, v51
	v_lshl_add_u32 v30, v30, 23, v52
	v_or3_b32 v51, v51, v30, v31
.LBB555_257:
	s_or_b64 exec, exec, s[10:11]
.LBB555_258:
	s_or_b64 exec, exec, s[8:9]
.LBB555_259:
	s_or_b64 exec, exec, s[2:3]
	v_lshrrev_b16_e32 v30, 8, v32
	v_cmp_ne_u16_e32 vcc, 0, v30
	v_mov_b32_e32 v31, 0
	v_mov_b32_e32 v53, 0
	s_and_saveexec_b64 s[2:3], vcc
	s_cbranch_execz .LBB555_265
; %bb.260:
	s_movk_i32 s8, 0x80
	v_cmp_ne_u16_e32 vcc, s8, v30
	v_bfrev_b32_e32 v53, 1
	s_and_saveexec_b64 s[8:9], vcc
	s_cbranch_execz .LBB555_264
; %bb.261:
	s_movk_i32 s10, 0x7f
	v_and_b32_e32 v52, 0x7f, v30
	v_cmp_ne_u32_e32 vcc, s10, v52
	v_mov_b32_e32 v53, 0x7f800001
	s_and_saveexec_b64 s[10:11], vcc
	s_cbranch_execz .LBB555_263
; %bb.262:
	v_and_b32_e32 v53, 7, v30
	v_ffbh_u32_e32 v54, v53
	v_min_u32_e32 v57, 32, v54
	v_subrev_u32_e32 v54, 28, v57
	v_lshlrev_b64 v[54:55], v54, v[30:31]
	v_lshrrev_b32_e32 v56, 3, v52
	v_sub_u32_e32 v30, 29, v57
	v_and_b32_e32 v54, 7, v54
	v_cmp_gt_u32_e32 vcc, 8, v52
	v_cndmask_b32_e32 v30, v56, v30, vcc
	v_cndmask_b32_e32 v52, v53, v54, vcc
	v_lshlrev_b32_e32 v53, 16, v32
	v_bfrev_b32_e32 v54, 60
	v_lshlrev_b32_e32 v52, 20, v52
	v_and_b32_e32 v53, 0x80000000, v53
	v_lshl_add_u32 v30, v30, 23, v54
	v_or3_b32 v53, v53, v30, v52
.LBB555_263:
	s_or_b64 exec, exec, s[10:11]
.LBB555_264:
	s_or_b64 exec, exec, s[8:9]
.LBB555_265:
	s_or_b64 exec, exec, s[2:3]
	s_movk_i32 s2, 0xff
	v_and_b32_sdwa v52, v32, s2 dst_sel:DWORD dst_unused:UNUSED_PAD src0_sel:WORD_1 src1_sel:DWORD
	v_lshrrev_b32_e32 v30, 16, v32
	v_cmp_ne_u16_e32 vcc, 0, v52
	s_and_saveexec_b64 s[2:3], vcc
	s_cbranch_execz .LBB555_271
; %bb.266:
	s_movk_i32 s8, 0x80
	v_cmp_ne_u16_e32 vcc, s8, v52
	v_bfrev_b32_e32 v31, 1
	s_and_saveexec_b64 s[8:9], vcc
	s_cbranch_execz .LBB555_270
; %bb.267:
	v_bfe_u32 v52, v32, 16, 7
	s_movk_i32 s10, 0x7f
	v_cmp_ne_u32_e32 vcc, s10, v52
	v_mov_b32_e32 v31, 0x7f800001
	s_and_saveexec_b64 s[10:11], vcc
	s_cbranch_execz .LBB555_269
; %bb.268:
	v_and_b32_e32 v54, 7, v30
	v_ffbh_u32_e32 v31, v54
	v_min_u32_e32 v56, 32, v31
	v_subrev_u32_e32 v31, 28, v56
	v_lshlrev_b64 v[30:31], v31, v[30:31]
	v_lshrrev_b32_e32 v55, 3, v52
	v_sub_u32_e32 v31, 29, v56
	v_and_b32_e32 v30, 7, v30
	v_cmp_gt_u32_e32 vcc, 8, v52
	v_mov_b32_e32 v52, 24
	v_cndmask_b32_e32 v31, v55, v31, vcc
	v_cndmask_b32_e32 v30, v54, v30, vcc
	v_lshlrev_b32_sdwa v52, v52, v32 dst_sel:DWORD dst_unused:UNUSED_PAD src0_sel:DWORD src1_sel:WORD_1
	v_bfrev_b32_e32 v54, 60
	v_lshlrev_b32_e32 v30, 20, v30
	v_and_b32_e32 v52, 0x80000000, v52
	v_lshl_add_u32 v31, v31, 23, v54
	v_or3_b32 v31, v52, v31, v30
.LBB555_269:
	s_or_b64 exec, exec, s[10:11]
.LBB555_270:
	s_or_b64 exec, exec, s[8:9]
.LBB555_271:
	s_or_b64 exec, exec, s[2:3]
	s_mov_b32 s2, 0xffffff
	v_cmp_lt_u32_e32 vcc, s2, v32
	v_mov_b32_e32 v54, 0
	v_mov_b32_e32 v55, 0
	s_and_saveexec_b64 s[2:3], vcc
	s_cbranch_execz .LBB555_277
; %bb.272:
	v_lshrrev_b32_e32 v30, 24, v32
	s_movk_i32 s8, 0x80
	v_cmp_ne_u32_e32 vcc, s8, v30
	v_bfrev_b32_e32 v55, 1
	s_and_saveexec_b64 s[8:9], vcc
	s_cbranch_execz .LBB555_276
; %bb.273:
	v_bfe_u32 v32, v32, 24, 7
	s_movk_i32 s10, 0x7f
	v_cmp_ne_u32_e32 vcc, s10, v32
	v_mov_b32_e32 v55, 0x7f800001
	s_and_saveexec_b64 s[10:11], vcc
	s_cbranch_execz .LBB555_275
; %bb.274:
	v_and_b32_e32 v52, 7, v30
	v_ffbh_u32_e32 v56, v52
	v_min_u32_e32 v58, 32, v56
	v_subrev_u32_e32 v56, 28, v58
	v_lshlrev_b64 v[56:57], v56, v[30:31]
	v_lshrrev_b32_e32 v55, 3, v32
	v_sub_u32_e32 v57, 29, v58
	v_and_b32_e32 v56, 7, v56
	v_cmp_gt_u32_e32 vcc, 8, v32
	v_cndmask_b32_e32 v32, v55, v57, vcc
	v_cndmask_b32_e32 v52, v52, v56, vcc
	v_lshlrev_b32_e32 v30, 24, v30
	v_bfrev_b32_e32 v55, 60
	v_lshlrev_b32_e32 v52, 20, v52
	v_and_b32_e32 v30, 0x80000000, v30
	v_lshl_add_u32 v32, v32, 23, v55
	v_or3_b32 v55, v30, v32, v52
.LBB555_275:
	s_or_b64 exec, exec, s[10:11]
.LBB555_276:
	s_or_b64 exec, exec, s[8:9]
.LBB555_277:
	s_or_b64 exec, exec, s[2:3]
	v_cmp_ne_u16_sdwa s[8:9], v33, v54 src0_sel:BYTE_0 src1_sel:DWORD
	s_and_saveexec_b64 s[2:3], s[8:9]
	s_cbranch_execz .LBB555_283
; %bb.278:
	s_movk_i32 s8, 0x80
	v_cmp_ne_u16_sdwa s[10:11], v33, s8 src0_sel:BYTE_0 src1_sel:DWORD
	v_bfrev_b32_e32 v54, 1
	s_and_saveexec_b64 s[8:9], s[10:11]
	s_cbranch_execz .LBB555_282
; %bb.279:
	s_movk_i32 s10, 0x7f
	v_and_b32_e32 v30, 0x7f, v33
	v_cmp_ne_u32_e32 vcc, s10, v30
	v_mov_b32_e32 v54, 0x7f800001
	s_and_saveexec_b64 s[10:11], vcc
	s_cbranch_execz .LBB555_281
; %bb.280:
	v_and_b32_e32 v52, 7, v33
	v_ffbh_u32_e32 v56, v52
	v_min_u32_e32 v58, 32, v56
	v_mov_b32_e32 v32, v33
	v_subrev_u32_e32 v56, 28, v58
	v_lshlrev_b64 v[56:57], v56, v[32:33]
	v_lshrrev_b32_e32 v54, 3, v30
	v_sub_u32_e32 v32, 29, v58
	v_and_b32_e32 v56, 7, v56
	v_cmp_gt_u32_e32 vcc, 8, v30
	v_cndmask_b32_e32 v30, v54, v32, vcc
	v_cndmask_b32_e32 v32, v52, v56, vcc
	v_lshlrev_b32_e32 v52, 24, v33
	v_bfrev_b32_e32 v54, 60
	v_lshlrev_b32_e32 v32, 20, v32
	v_and_b32_e32 v52, 0x80000000, v52
	v_lshl_add_u32 v30, v30, 23, v54
	v_or3_b32 v54, v52, v30, v32
.LBB555_281:
	s_or_b64 exec, exec, s[10:11]
.LBB555_282:
	s_or_b64 exec, exec, s[8:9]
.LBB555_283:
	s_or_b64 exec, exec, s[2:3]
	v_lshrrev_b16_e32 v30, 8, v33
	v_cmp_ne_u16_e32 vcc, 0, v30
	v_mov_b32_e32 v32, 0
	v_mov_b32_e32 v56, 0
	s_and_saveexec_b64 s[2:3], vcc
	s_cbranch_execz .LBB555_289
; %bb.284:
	s_movk_i32 s8, 0x80
	v_cmp_ne_u16_e32 vcc, s8, v30
	v_bfrev_b32_e32 v56, 1
	s_and_saveexec_b64 s[8:9], vcc
	s_cbranch_execz .LBB555_288
; %bb.285:
	s_movk_i32 s10, 0x7f
	v_and_b32_e32 v52, 0x7f, v30
	v_cmp_ne_u32_e32 vcc, s10, v52
	v_mov_b32_e32 v56, 0x7f800001
	s_and_saveexec_b64 s[10:11], vcc
	s_cbranch_execz .LBB555_287
; %bb.286:
	v_and_b32_e32 v58, 7, v30
	v_ffbh_u32_e32 v56, v58
	v_min_u32_e32 v60, 32, v56
	v_subrev_u32_e32 v56, 28, v60
	v_lshlrev_b64 v[56:57], v56, v[30:31]
	v_lshrrev_b32_e32 v59, 3, v52
	v_sub_u32_e32 v30, 29, v60
	v_and_b32_e32 v56, 7, v56
	v_cmp_gt_u32_e32 vcc, 8, v52
	v_cndmask_b32_e32 v30, v59, v30, vcc
	v_cndmask_b32_e32 v52, v58, v56, vcc
	v_lshlrev_b32_e32 v56, 16, v33
	v_bfrev_b32_e32 v57, 60
	v_lshlrev_b32_e32 v52, 20, v52
	v_and_b32_e32 v56, 0x80000000, v56
	v_lshl_add_u32 v30, v30, 23, v57
	v_or3_b32 v56, v56, v30, v52
.LBB555_287:
	s_or_b64 exec, exec, s[10:11]
.LBB555_288:
	s_or_b64 exec, exec, s[8:9]
.LBB555_289:
	s_or_b64 exec, exec, s[2:3]
	s_movk_i32 s2, 0xff
	v_and_b32_sdwa v52, v33, s2 dst_sel:DWORD dst_unused:UNUSED_PAD src0_sel:WORD_1 src1_sel:DWORD
	v_lshrrev_b32_e32 v30, 16, v33
	v_cmp_ne_u16_e32 vcc, 0, v52
	s_and_saveexec_b64 s[2:3], vcc
	s_cbranch_execz .LBB555_295
; %bb.290:
	s_movk_i32 s8, 0x80
	v_cmp_ne_u16_e32 vcc, s8, v52
	v_bfrev_b32_e32 v32, 1
	s_and_saveexec_b64 s[8:9], vcc
	s_cbranch_execz .LBB555_294
; %bb.291:
	v_bfe_u32 v52, v33, 16, 7
	s_movk_i32 s10, 0x7f
	v_cmp_ne_u32_e32 vcc, s10, v52
	v_mov_b32_e32 v32, 0x7f800001
	s_and_saveexec_b64 s[10:11], vcc
	s_cbranch_execz .LBB555_293
; %bb.292:
	v_and_b32_e32 v32, 7, v30
	v_ffbh_u32_e32 v58, v32
	v_min_u32_e32 v60, 32, v58
	v_subrev_u32_e32 v58, 28, v60
	v_lshlrev_b64 v[58:59], v58, v[30:31]
	v_lshrrev_b32_e32 v57, 3, v52
	v_sub_u32_e32 v30, 29, v60
	v_and_b32_e32 v58, 7, v58
	v_cmp_gt_u32_e32 vcc, 8, v52
	v_mov_b32_e32 v52, 24
	v_cndmask_b32_e32 v30, v57, v30, vcc
	v_cndmask_b32_e32 v32, v32, v58, vcc
	v_lshlrev_b32_sdwa v52, v52, v33 dst_sel:DWORD dst_unused:UNUSED_PAD src0_sel:DWORD src1_sel:WORD_1
	v_bfrev_b32_e32 v57, 60
	v_lshlrev_b32_e32 v32, 20, v32
	v_and_b32_e32 v52, 0x80000000, v52
	v_lshl_add_u32 v30, v30, 23, v57
	v_or3_b32 v32, v52, v30, v32
.LBB555_293:
	s_or_b64 exec, exec, s[10:11]
.LBB555_294:
	s_or_b64 exec, exec, s[8:9]
.LBB555_295:
	s_or_b64 exec, exec, s[2:3]
	s_mov_b32 s2, 0xffffff
	v_cmp_lt_u32_e32 vcc, s2, v33
	v_mov_b32_e32 v52, 0
	v_mov_b32_e32 v57, 0
	s_and_saveexec_b64 s[2:3], vcc
	s_cbranch_execz .LBB555_301
; %bb.296:
	v_lshrrev_b32_e32 v30, 24, v33
	s_movk_i32 s8, 0x80
	v_cmp_ne_u32_e32 vcc, s8, v30
	v_bfrev_b32_e32 v57, 1
	s_and_saveexec_b64 s[8:9], vcc
	s_cbranch_execz .LBB555_300
; %bb.297:
	v_bfe_u32 v33, v33, 24, 7
	s_movk_i32 s10, 0x7f
	v_cmp_ne_u32_e32 vcc, s10, v33
	v_mov_b32_e32 v57, 0x7f800001
	s_and_saveexec_b64 s[10:11], vcc
	s_cbranch_execz .LBB555_299
; %bb.298:
	v_and_b32_e32 v57, 7, v30
	v_ffbh_u32_e32 v58, v57
	v_min_u32_e32 v61, 32, v58
	v_subrev_u32_e32 v58, 28, v61
	v_lshlrev_b64 v[58:59], v58, v[30:31]
	v_lshrrev_b32_e32 v60, 3, v33
	v_sub_u32_e32 v59, 29, v61
	v_and_b32_e32 v58, 7, v58
	v_cmp_gt_u32_e32 vcc, 8, v33
	v_cndmask_b32_e32 v33, v60, v59, vcc
	v_cndmask_b32_e32 v57, v57, v58, vcc
	v_lshlrev_b32_e32 v30, 24, v30
	v_bfrev_b32_e32 v58, 60
	v_lshlrev_b32_e32 v57, 20, v57
	v_and_b32_e32 v30, 0x80000000, v30
	v_lshl_add_u32 v33, v33, 23, v58
	v_or3_b32 v57, v30, v33, v57
.LBB555_299:
	s_or_b64 exec, exec, s[10:11]
.LBB555_300:
	s_or_b64 exec, exec, s[8:9]
.LBB555_301:
	s_or_b64 exec, exec, s[2:3]
	v_cvt_pkrtz_f16_f32 v30, v51, v53
	v_cvt_pkrtz_f16_f32 v31, v31, v55
	v_cmp_ne_u16_sdwa s[8:9], v22, v52 src0_sel:BYTE_0 src1_sel:DWORD
	s_nop 0
	v_mfma_f32_16x16x16f16 v[42:45], v[30:31], v[18:19], v[42:45]
	v_cvt_pkrtz_f16_f32 v30, v54, v56
	v_cvt_pkrtz_f16_f32 v31, v32, v57
	s_nop 1
	v_mfma_f32_16x16x16f16 v[30:33], v[30:31], v[20:21], v[42:45]
	s_and_saveexec_b64 s[2:3], s[8:9]
	s_cbranch_execz .LBB555_307
; %bb.302:
	s_movk_i32 s8, 0x80
	v_cmp_ne_u16_sdwa s[10:11], v22, s8 src0_sel:BYTE_0 src1_sel:DWORD
	v_bfrev_b32_e32 v52, 1
	s_and_saveexec_b64 s[8:9], s[10:11]
	s_cbranch_execz .LBB555_306
; %bb.303:
	s_movk_i32 s10, 0x7f
	v_and_b32_e32 v42, 0x7f, v22
	v_cmp_ne_u32_e32 vcc, s10, v42
	v_mov_b32_e32 v52, 0x7f800001
	s_and_saveexec_b64 s[10:11], vcc
	s_cbranch_execz .LBB555_305
; %bb.304:
	v_and_b32_e32 v43, 7, v22
	v_ffbh_u32_e32 v44, v43
	v_min_u32_e32 v52, 32, v44
	v_subrev_u32_e32 v44, 28, v52
	v_lshlrev_b64 v[44:45], v44, v[22:23]
	v_lshrrev_b32_e32 v51, 3, v42
	v_sub_u32_e32 v45, 29, v52
	v_and_b32_e32 v44, 7, v44
	v_cmp_gt_u32_e32 vcc, 8, v42
	v_cndmask_b32_e32 v42, v51, v45, vcc
	v_cndmask_b32_e32 v43, v43, v44, vcc
	v_lshlrev_b32_e32 v44, 24, v22
	v_bfrev_b32_e32 v45, 60
	v_lshlrev_b32_e32 v43, 20, v43
	v_and_b32_e32 v44, 0x80000000, v44
	v_lshl_add_u32 v42, v42, 23, v45
	v_or3_b32 v52, v44, v42, v43
.LBB555_305:
	s_or_b64 exec, exec, s[10:11]
.LBB555_306:
	s_or_b64 exec, exec, s[8:9]
.LBB555_307:
	s_or_b64 exec, exec, s[2:3]
	s_nop 3
	v_lshrrev_b16_e32 v42, 8, v22
	v_cmp_ne_u16_e32 vcc, 0, v42
	v_mov_b32_e32 v43, 0
	v_mov_b32_e32 v44, 0
	s_and_saveexec_b64 s[2:3], vcc
	s_cbranch_execz .LBB555_313
; %bb.308:
	s_movk_i32 s8, 0x80
	v_cmp_ne_u16_e32 vcc, s8, v42
	v_bfrev_b32_e32 v44, 1
	s_and_saveexec_b64 s[8:9], vcc
	s_cbranch_execz .LBB555_312
; %bb.309:
	s_movk_i32 s10, 0x7f
	v_and_b32_e32 v45, 0x7f, v42
	v_cmp_ne_u32_e32 vcc, s10, v45
	v_mov_b32_e32 v44, 0x7f800001
	s_and_saveexec_b64 s[10:11], vcc
	s_cbranch_execz .LBB555_311
; %bb.310:
	v_and_b32_e32 v44, 7, v42
	v_ffbh_u32_e32 v53, v44
	v_min_u32_e32 v53, 32, v53
	v_subrev_u32_e32 v54, 28, v53
	v_lshlrev_b64 v[54:55], v54, v[42:43]
	v_lshrrev_b32_e32 v51, 3, v45
	v_sub_u32_e32 v42, 29, v53
	v_and_b32_e32 v53, 7, v54
	v_cmp_gt_u32_e32 vcc, 8, v45
	v_cndmask_b32_e32 v42, v51, v42, vcc
	v_cndmask_b32_e32 v44, v44, v53, vcc
	v_lshlrev_b32_e32 v45, 16, v22
	v_bfrev_b32_e32 v51, 60
	v_lshlrev_b32_e32 v44, 20, v44
	v_and_b32_e32 v45, 0x80000000, v45
	v_lshl_add_u32 v42, v42, 23, v51
	v_or3_b32 v44, v45, v42, v44
.LBB555_311:
	s_or_b64 exec, exec, s[10:11]
.LBB555_312:
	s_or_b64 exec, exec, s[8:9]
.LBB555_313:
	s_or_b64 exec, exec, s[2:3]
	s_movk_i32 s2, 0xff
	v_and_b32_sdwa v45, v22, s2 dst_sel:DWORD dst_unused:UNUSED_PAD src0_sel:WORD_1 src1_sel:DWORD
	v_lshrrev_b32_e32 v42, 16, v22
	v_cmp_ne_u16_e32 vcc, 0, v45
	s_and_saveexec_b64 s[2:3], vcc
	s_cbranch_execz .LBB555_319
; %bb.314:
	s_movk_i32 s8, 0x80
	v_cmp_ne_u16_e32 vcc, s8, v45
	v_bfrev_b32_e32 v43, 1
	s_and_saveexec_b64 s[8:9], vcc
	s_cbranch_execz .LBB555_318
; %bb.315:
	v_bfe_u32 v45, v22, 16, 7
	s_movk_i32 s10, 0x7f
	v_cmp_ne_u32_e32 vcc, s10, v45
	v_mov_b32_e32 v43, 0x7f800001
	s_and_saveexec_b64 s[10:11], vcc
	s_cbranch_execz .LBB555_317
; %bb.316:
	v_and_b32_e32 v51, 7, v42
	v_ffbh_u32_e32 v43, v51
	v_min_u32_e32 v54, 32, v43
	v_subrev_u32_e32 v43, 28, v54
	v_lshlrev_b64 v[42:43], v43, v[42:43]
	v_lshrrev_b32_e32 v53, 3, v45
	v_sub_u32_e32 v43, 29, v54
	v_and_b32_e32 v42, 7, v42
	v_cmp_gt_u32_e32 vcc, 8, v45
	v_mov_b32_e32 v45, 24
	v_cndmask_b32_e32 v43, v53, v43, vcc
	v_cndmask_b32_e32 v42, v51, v42, vcc
	v_lshlrev_b32_sdwa v45, v45, v22 dst_sel:DWORD dst_unused:UNUSED_PAD src0_sel:DWORD src1_sel:WORD_1
	v_bfrev_b32_e32 v51, 60
	v_lshlrev_b32_e32 v42, 20, v42
	v_and_b32_e32 v45, 0x80000000, v45
	v_lshl_add_u32 v43, v43, 23, v51
	v_or3_b32 v43, v45, v43, v42
.LBB555_317:
	s_or_b64 exec, exec, s[10:11]
.LBB555_318:
	s_or_b64 exec, exec, s[8:9]
.LBB555_319:
	s_or_b64 exec, exec, s[2:3]
	s_mov_b32 s2, 0xffffff
	v_cmp_lt_u32_e32 vcc, s2, v22
	v_mov_b32_e32 v45, 0
	v_mov_b32_e32 v51, 0
	s_and_saveexec_b64 s[2:3], vcc
	s_cbranch_execz .LBB555_325
; %bb.320:
	v_lshrrev_b32_e32 v42, 24, v22
	s_movk_i32 s8, 0x80
	v_cmp_ne_u32_e32 vcc, s8, v42
	v_bfrev_b32_e32 v51, 1
	s_and_saveexec_b64 s[8:9], vcc
	s_cbranch_execz .LBB555_324
; %bb.321:
	v_bfe_u32 v22, v22, 24, 7
	s_movk_i32 s10, 0x7f
	v_cmp_ne_u32_e32 vcc, s10, v22
	v_mov_b32_e32 v51, 0x7f800001
	s_and_saveexec_b64 s[10:11], vcc
	s_cbranch_execz .LBB555_323
; %bb.322:
	v_and_b32_e32 v51, 7, v42
	v_ffbh_u32_e32 v54, v51
	v_min_u32_e32 v56, 32, v54
	v_subrev_u32_e32 v54, 28, v56
	v_lshlrev_b64 v[54:55], v54, v[42:43]
	v_lshrrev_b32_e32 v53, 3, v22
	v_sub_u32_e32 v55, 29, v56
	v_and_b32_e32 v54, 7, v54
	v_cmp_gt_u32_e32 vcc, 8, v22
	v_cndmask_b32_e32 v22, v53, v55, vcc
	v_cndmask_b32_e32 v51, v51, v54, vcc
	v_lshlrev_b32_e32 v42, 24, v42
	v_bfrev_b32_e32 v53, 60
	v_lshlrev_b32_e32 v51, 20, v51
	v_and_b32_e32 v42, 0x80000000, v42
	v_lshl_add_u32 v22, v22, 23, v53
	v_or3_b32 v51, v42, v22, v51
.LBB555_323:
	s_or_b64 exec, exec, s[10:11]
.LBB555_324:
	s_or_b64 exec, exec, s[8:9]
.LBB555_325:
	s_or_b64 exec, exec, s[2:3]
	v_cmp_ne_u16_sdwa s[8:9], v23, v45 src0_sel:BYTE_0 src1_sel:DWORD
	s_and_saveexec_b64 s[2:3], s[8:9]
	s_cbranch_execz .LBB555_331
; %bb.326:
	s_movk_i32 s8, 0x80
	v_cmp_ne_u16_sdwa s[10:11], v23, s8 src0_sel:BYTE_0 src1_sel:DWORD
	v_bfrev_b32_e32 v45, 1
	s_and_saveexec_b64 s[8:9], s[10:11]
	s_cbranch_execz .LBB555_330
; %bb.327:
	s_movk_i32 s10, 0x7f
	v_and_b32_e32 v22, 0x7f, v23
	v_cmp_ne_u32_e32 vcc, s10, v22
	v_mov_b32_e32 v45, 0x7f800001
	s_and_saveexec_b64 s[10:11], vcc
	s_cbranch_execz .LBB555_329
; %bb.328:
	v_and_b32_e32 v45, 7, v23
	v_ffbh_u32_e32 v54, v45
	v_min_u32_e32 v56, 32, v54
	v_mov_b32_e32 v42, v23
	v_subrev_u32_e32 v54, 28, v56
	v_lshlrev_b64 v[54:55], v54, v[42:43]
	v_lshrrev_b32_e32 v53, 3, v22
	v_sub_u32_e32 v42, 29, v56
	v_and_b32_e32 v54, 7, v54
	v_cmp_gt_u32_e32 vcc, 8, v22
	v_cndmask_b32_e32 v22, v53, v42, vcc
	v_cndmask_b32_e32 v42, v45, v54, vcc
	v_lshlrev_b32_e32 v45, 24, v23
	v_bfrev_b32_e32 v53, 60
	v_lshlrev_b32_e32 v42, 20, v42
	v_and_b32_e32 v45, 0x80000000, v45
	v_lshl_add_u32 v22, v22, 23, v53
	v_or3_b32 v45, v45, v22, v42
.LBB555_329:
	s_or_b64 exec, exec, s[10:11]
.LBB555_330:
	s_or_b64 exec, exec, s[8:9]
.LBB555_331:
	s_or_b64 exec, exec, s[2:3]
	v_lshrrev_b16_e32 v22, 8, v23
	v_cmp_ne_u16_e32 vcc, 0, v22
	v_mov_b32_e32 v53, 0
	v_mov_b32_e32 v54, 0
	s_and_saveexec_b64 s[2:3], vcc
	s_cbranch_execz .LBB555_337
; %bb.332:
	s_movk_i32 s8, 0x80
	v_cmp_ne_u16_e32 vcc, s8, v22
	v_bfrev_b32_e32 v54, 1
	s_and_saveexec_b64 s[8:9], vcc
	s_cbranch_execz .LBB555_336
; %bb.333:
	s_movk_i32 s10, 0x7f
	v_and_b32_e32 v42, 0x7f, v22
	v_cmp_ne_u32_e32 vcc, s10, v42
	v_mov_b32_e32 v54, 0x7f800001
	s_and_saveexec_b64 s[10:11], vcc
	s_cbranch_execz .LBB555_335
; %bb.334:
	v_and_b32_e32 v56, 7, v22
	v_ffbh_u32_e32 v54, v56
	v_min_u32_e32 v58, 32, v54
	v_subrev_u32_e32 v54, 28, v58
	v_lshlrev_b64 v[54:55], v54, v[22:23]
	v_lshrrev_b32_e32 v57, 3, v42
	v_sub_u32_e32 v22, 29, v58
	v_and_b32_e32 v54, 7, v54
	v_cmp_gt_u32_e32 vcc, 8, v42
	v_cndmask_b32_e32 v22, v57, v22, vcc
	v_cndmask_b32_e32 v42, v56, v54, vcc
	v_lshlrev_b32_e32 v54, 16, v23
	v_bfrev_b32_e32 v55, 60
	v_lshlrev_b32_e32 v42, 20, v42
	v_and_b32_e32 v54, 0x80000000, v54
	v_lshl_add_u32 v22, v22, 23, v55
	v_or3_b32 v54, v54, v22, v42
.LBB555_335:
	s_or_b64 exec, exec, s[10:11]
.LBB555_336:
	s_or_b64 exec, exec, s[8:9]
.LBB555_337:
	s_or_b64 exec, exec, s[2:3]
	s_movk_i32 s2, 0xff
	v_and_b32_sdwa v42, v23, s2 dst_sel:DWORD dst_unused:UNUSED_PAD src0_sel:WORD_1 src1_sel:DWORD
	v_lshrrev_b32_e32 v22, 16, v23
	v_cmp_ne_u16_e32 vcc, 0, v42
	s_and_saveexec_b64 s[2:3], vcc
	s_cbranch_execz .LBB555_343
; %bb.338:
	s_movk_i32 s8, 0x80
	v_cmp_ne_u16_e32 vcc, s8, v42
	v_bfrev_b32_e32 v53, 1
	s_and_saveexec_b64 s[8:9], vcc
	s_cbranch_execz .LBB555_342
; %bb.339:
	v_bfe_u32 v42, v23, 16, 7
	s_movk_i32 s10, 0x7f
	v_cmp_ne_u32_e32 vcc, s10, v42
	v_mov_b32_e32 v53, 0x7f800001
	s_and_saveexec_b64 s[10:11], vcc
	s_cbranch_execz .LBB555_341
; %bb.340:
	v_and_b32_e32 v53, 7, v22
	v_ffbh_u32_e32 v56, v53
	v_min_u32_e32 v58, 32, v56
	v_subrev_u32_e32 v56, 28, v58
	v_lshlrev_b64 v[56:57], v56, v[22:23]
	v_and_b32_e32 v56, 7, v56
	v_cmp_gt_u32_e32 vcc, 8, v42
	v_lshrrev_b32_e32 v55, 3, v42
	v_sub_u32_e32 v22, 29, v58
	v_cndmask_b32_e32 v42, v53, v56, vcc
	v_mov_b32_e32 v53, 24
	v_cndmask_b32_e32 v22, v55, v22, vcc
	v_lshlrev_b32_sdwa v53, v53, v23 dst_sel:DWORD dst_unused:UNUSED_PAD src0_sel:DWORD src1_sel:WORD_1
	v_bfrev_b32_e32 v55, 60
	v_lshlrev_b32_e32 v42, 20, v42
	v_and_b32_e32 v53, 0x80000000, v53
	v_lshl_add_u32 v22, v22, 23, v55
	v_or3_b32 v53, v53, v22, v42
.LBB555_341:
	s_or_b64 exec, exec, s[10:11]
.LBB555_342:
	s_or_b64 exec, exec, s[8:9]
.LBB555_343:
	s_or_b64 exec, exec, s[2:3]
	s_mov_b32 s2, 0xffffff
	v_cmp_lt_u32_e32 vcc, s2, v23
	v_mov_b32_e32 v42, 0
	v_mov_b32_e32 v55, 0
	s_and_saveexec_b64 s[2:3], vcc
	s_cbranch_execz .LBB555_349
; %bb.344:
	v_lshrrev_b32_e32 v22, 24, v23
	s_movk_i32 s8, 0x80
	v_cmp_ne_u32_e32 vcc, s8, v22
	v_bfrev_b32_e32 v55, 1
	s_and_saveexec_b64 s[8:9], vcc
	s_cbranch_execz .LBB555_348
; %bb.345:
	v_bfe_u32 v23, v23, 24, 7
	s_movk_i32 s10, 0x7f
	v_cmp_ne_u32_e32 vcc, s10, v23
	v_mov_b32_e32 v55, 0x7f800001
	s_and_saveexec_b64 s[10:11], vcc
	s_cbranch_execz .LBB555_347
; %bb.346:
	v_and_b32_e32 v55, 7, v22
	v_ffbh_u32_e32 v56, v55
	v_min_u32_e32 v59, 32, v56
	v_subrev_u32_e32 v56, 28, v59
	v_lshlrev_b64 v[56:57], v56, v[22:23]
	v_lshrrev_b32_e32 v58, 3, v23
	v_sub_u32_e32 v57, 29, v59
	v_and_b32_e32 v56, 7, v56
	v_cmp_gt_u32_e32 vcc, 8, v23
	v_cndmask_b32_e32 v23, v58, v57, vcc
	v_cndmask_b32_e32 v55, v55, v56, vcc
	v_lshlrev_b32_e32 v22, 24, v22
	v_bfrev_b32_e32 v56, 60
	v_lshlrev_b32_e32 v55, 20, v55
	v_and_b32_e32 v22, 0x80000000, v22
	v_lshl_add_u32 v23, v23, 23, v56
	v_or3_b32 v55, v22, v23, v55
.LBB555_347:
	s_or_b64 exec, exec, s[10:11]
.LBB555_348:
	s_or_b64 exec, exec, s[8:9]
.LBB555_349:
	s_or_b64 exec, exec, s[2:3]
	v_cvt_pkrtz_f16_f32 v22, v52, v44
	v_cvt_pkrtz_f16_f32 v23, v43, v51
	v_cmp_ne_u16_sdwa s[8:9], v24, v42 src0_sel:BYTE_0 src1_sel:DWORD
	s_nop 0
	v_mfma_f32_16x16x16f16 v[56:59], v[22:23], v[26:27], 0
	v_cvt_pkrtz_f16_f32 v22, v45, v54
	v_cvt_pkrtz_f16_f32 v23, v53, v55
	s_nop 1
	v_mfma_f32_16x16x16f16 v[26:29], v[22:23], v[28:29], v[56:59]
	s_and_saveexec_b64 s[2:3], s[8:9]
	s_cbranch_execz .LBB555_355
; %bb.350:
	s_movk_i32 s8, 0x80
	v_cmp_ne_u16_sdwa s[10:11], v24, s8 src0_sel:BYTE_0 src1_sel:DWORD
	v_bfrev_b32_e32 v42, 1
	s_and_saveexec_b64 s[8:9], s[10:11]
	s_cbranch_execz .LBB555_354
; %bb.351:
	s_movk_i32 s10, 0x7f
	v_and_b32_e32 v22, 0x7f, v24
	v_cmp_ne_u32_e32 vcc, s10, v22
	v_mov_b32_e32 v42, 0x7f800001
	s_and_saveexec_b64 s[10:11], vcc
	s_cbranch_execz .LBB555_353
; %bb.352:
	v_and_b32_e32 v23, 7, v24
	v_ffbh_u32_e32 v42, v23
	v_min_u32_e32 v45, 32, v42
	v_subrev_u32_e32 v42, 28, v45
	v_lshlrev_b64 v[42:43], v42, v[24:25]
	v_lshrrev_b32_e32 v44, 3, v22
	v_sub_u32_e32 v43, 29, v45
	v_and_b32_e32 v42, 7, v42
	v_cmp_gt_u32_e32 vcc, 8, v22
	v_cndmask_b32_e32 v22, v44, v43, vcc
	v_cndmask_b32_e32 v23, v23, v42, vcc
	v_lshlrev_b32_e32 v42, 24, v24
	v_bfrev_b32_e32 v43, 60
	v_lshlrev_b32_e32 v23, 20, v23
	v_and_b32_e32 v42, 0x80000000, v42
	v_lshl_add_u32 v22, v22, 23, v43
	v_or3_b32 v42, v42, v22, v23
.LBB555_353:
	s_or_b64 exec, exec, s[10:11]
.LBB555_354:
	s_or_b64 exec, exec, s[8:9]
.LBB555_355:
	s_or_b64 exec, exec, s[2:3]
	v_lshrrev_b16_e32 v22, 8, v24
	v_cmp_ne_u16_e32 vcc, 0, v22
	v_mov_b32_e32 v23, 0
	v_mov_b32_e32 v43, 0
	s_and_saveexec_b64 s[2:3], vcc
	s_cbranch_execz .LBB555_361
; %bb.356:
	s_movk_i32 s8, 0x80
	v_cmp_ne_u16_e32 vcc, s8, v22
	v_bfrev_b32_e32 v43, 1
	s_and_saveexec_b64 s[8:9], vcc
	s_cbranch_execz .LBB555_360
; %bb.357:
	s_movk_i32 s10, 0x7f
	v_and_b32_e32 v44, 0x7f, v22
	v_cmp_ne_u32_e32 vcc, s10, v44
	v_mov_b32_e32 v43, 0x7f800001
	s_and_saveexec_b64 s[10:11], vcc
	s_cbranch_execz .LBB555_359
; %bb.358:
	v_and_b32_e32 v43, 7, v22
	v_ffbh_u32_e32 v51, v43
	v_min_u32_e32 v51, 32, v51
	v_subrev_u32_e32 v52, 28, v51
	v_lshlrev_b64 v[52:53], v52, v[22:23]
	v_lshrrev_b32_e32 v45, 3, v44
	v_sub_u32_e32 v22, 29, v51
	v_and_b32_e32 v51, 7, v52
	v_cmp_gt_u32_e32 vcc, 8, v44
	v_cndmask_b32_e32 v22, v45, v22, vcc
	v_cndmask_b32_e32 v43, v43, v51, vcc
	v_lshlrev_b32_e32 v44, 16, v24
	v_bfrev_b32_e32 v45, 60
	v_lshlrev_b32_e32 v43, 20, v43
	v_and_b32_e32 v44, 0x80000000, v44
	v_lshl_add_u32 v22, v22, 23, v45
	v_or3_b32 v43, v44, v22, v43
.LBB555_359:
	s_or_b64 exec, exec, s[10:11]
.LBB555_360:
	s_or_b64 exec, exec, s[8:9]
.LBB555_361:
	s_or_b64 exec, exec, s[2:3]
	s_movk_i32 s2, 0xff
	v_and_b32_sdwa v44, v24, s2 dst_sel:DWORD dst_unused:UNUSED_PAD src0_sel:WORD_1 src1_sel:DWORD
	v_lshrrev_b32_e32 v22, 16, v24
	v_cmp_ne_u16_e32 vcc, 0, v44
	s_and_saveexec_b64 s[2:3], vcc
	s_cbranch_execz .LBB555_367
; %bb.362:
	s_movk_i32 s8, 0x80
	v_cmp_ne_u16_e32 vcc, s8, v44
	v_bfrev_b32_e32 v23, 1
	s_and_saveexec_b64 s[8:9], vcc
	s_cbranch_execz .LBB555_366
; %bb.363:
	v_bfe_u32 v44, v24, 16, 7
	s_movk_i32 s10, 0x7f
	v_cmp_ne_u32_e32 vcc, s10, v44
	v_mov_b32_e32 v23, 0x7f800001
	s_and_saveexec_b64 s[10:11], vcc
	s_cbranch_execz .LBB555_365
; %bb.364:
	v_and_b32_e32 v45, 7, v22
	v_ffbh_u32_e32 v23, v45
	v_min_u32_e32 v52, 32, v23
	v_subrev_u32_e32 v23, 28, v52
	v_lshlrev_b64 v[22:23], v23, v[22:23]
	v_lshrrev_b32_e32 v51, 3, v44
	v_sub_u32_e32 v23, 29, v52
	v_and_b32_e32 v22, 7, v22
	v_cmp_gt_u32_e32 vcc, 8, v44
	v_mov_b32_e32 v44, 24
	v_cndmask_b32_e32 v23, v51, v23, vcc
	v_cndmask_b32_e32 v22, v45, v22, vcc
	v_lshlrev_b32_sdwa v44, v44, v24 dst_sel:DWORD dst_unused:UNUSED_PAD src0_sel:DWORD src1_sel:WORD_1
	v_bfrev_b32_e32 v45, 60
	v_lshlrev_b32_e32 v22, 20, v22
	v_and_b32_e32 v44, 0x80000000, v44
	v_lshl_add_u32 v23, v23, 23, v45
	v_or3_b32 v23, v44, v23, v22
.LBB555_365:
	s_or_b64 exec, exec, s[10:11]
.LBB555_366:
	s_or_b64 exec, exec, s[8:9]
.LBB555_367:
	s_or_b64 exec, exec, s[2:3]
	s_mov_b32 s2, 0xffffff
	v_cmp_lt_u32_e32 vcc, s2, v24
	v_mov_b32_e32 v45, 0
	v_mov_b32_e32 v51, 0
	s_and_saveexec_b64 s[2:3], vcc
	s_cbranch_execz .LBB555_373
; %bb.368:
	v_lshrrev_b32_e32 v22, 24, v24
	s_movk_i32 s8, 0x80
	v_cmp_ne_u32_e32 vcc, s8, v22
	v_bfrev_b32_e32 v51, 1
	s_and_saveexec_b64 s[8:9], vcc
	s_cbranch_execz .LBB555_372
; %bb.369:
	v_bfe_u32 v24, v24, 24, 7
	s_movk_i32 s10, 0x7f
	v_cmp_ne_u32_e32 vcc, s10, v24
	v_mov_b32_e32 v51, 0x7f800001
	s_and_saveexec_b64 s[10:11], vcc
	s_cbranch_execz .LBB555_371
; %bb.370:
	v_and_b32_e32 v44, 7, v22
	v_ffbh_u32_e32 v52, v44
	v_min_u32_e32 v54, 32, v52
	v_subrev_u32_e32 v52, 28, v54
	v_lshlrev_b64 v[52:53], v52, v[22:23]
	v_lshrrev_b32_e32 v51, 3, v24
	v_sub_u32_e32 v53, 29, v54
	v_and_b32_e32 v52, 7, v52
	v_cmp_gt_u32_e32 vcc, 8, v24
	v_cndmask_b32_e32 v24, v51, v53, vcc
	v_cndmask_b32_e32 v44, v44, v52, vcc
	v_lshlrev_b32_e32 v22, 24, v22
	v_bfrev_b32_e32 v51, 60
	v_lshlrev_b32_e32 v44, 20, v44
	v_and_b32_e32 v22, 0x80000000, v22
	v_lshl_add_u32 v24, v24, 23, v51
	v_or3_b32 v51, v22, v24, v44
.LBB555_371:
	s_or_b64 exec, exec, s[10:11]
.LBB555_372:
	s_or_b64 exec, exec, s[8:9]
.LBB555_373:
	s_or_b64 exec, exec, s[2:3]
	v_cmp_ne_u16_sdwa s[8:9], v25, v45 src0_sel:BYTE_0 src1_sel:DWORD
	s_and_saveexec_b64 s[2:3], s[8:9]
	s_cbranch_execz .LBB555_379
; %bb.374:
	s_movk_i32 s8, 0x80
	v_cmp_ne_u16_sdwa s[10:11], v25, s8 src0_sel:BYTE_0 src1_sel:DWORD
	v_bfrev_b32_e32 v45, 1
	s_and_saveexec_b64 s[8:9], s[10:11]
	s_cbranch_execz .LBB555_378
; %bb.375:
	s_movk_i32 s10, 0x7f
	v_and_b32_e32 v22, 0x7f, v25
	v_cmp_ne_u32_e32 vcc, s10, v22
	v_mov_b32_e32 v45, 0x7f800001
	s_and_saveexec_b64 s[10:11], vcc
	s_cbranch_execz .LBB555_377
; %bb.376:
	v_and_b32_e32 v52, 7, v25
	v_ffbh_u32_e32 v44, v52
	v_min_u32_e32 v54, 32, v44
	v_mov_b32_e32 v24, v25
	v_subrev_u32_e32 v44, 28, v54
	v_lshlrev_b64 v[44:45], v44, v[24:25]
	v_lshrrev_b32_e32 v53, 3, v22
	v_sub_u32_e32 v24, 29, v54
	v_and_b32_e32 v44, 7, v44
	v_cmp_gt_u32_e32 vcc, 8, v22
	v_cndmask_b32_e32 v22, v53, v24, vcc
	v_cndmask_b32_e32 v24, v52, v44, vcc
	v_lshlrev_b32_e32 v44, 24, v25
	v_bfrev_b32_e32 v45, 60
	v_lshlrev_b32_e32 v24, 20, v24
	v_and_b32_e32 v44, 0x80000000, v44
	v_lshl_add_u32 v22, v22, 23, v45
	v_or3_b32 v45, v44, v22, v24
.LBB555_377:
	s_or_b64 exec, exec, s[10:11]
.LBB555_378:
	s_or_b64 exec, exec, s[8:9]
.LBB555_379:
	s_or_b64 exec, exec, s[2:3]
	v_lshrrev_b16_e32 v22, 8, v25
	v_cmp_ne_u16_e32 vcc, 0, v22
	v_mov_b32_e32 v52, 0
	v_mov_b32_e32 v53, 0
	s_and_saveexec_b64 s[2:3], vcc
	s_cbranch_execz .LBB555_385
; %bb.380:
	s_movk_i32 s8, 0x80
	v_cmp_ne_u16_e32 vcc, s8, v22
	v_bfrev_b32_e32 v53, 1
	s_and_saveexec_b64 s[8:9], vcc
	s_cbranch_execz .LBB555_384
; %bb.381:
	s_movk_i32 s10, 0x7f
	v_and_b32_e32 v24, 0x7f, v22
	v_cmp_ne_u32_e32 vcc, s10, v24
	v_mov_b32_e32 v53, 0x7f800001
	s_and_saveexec_b64 s[10:11], vcc
	s_cbranch_execz .LBB555_383
; %bb.382:
	v_and_b32_e32 v44, 7, v22
	v_ffbh_u32_e32 v54, v44
	v_min_u32_e32 v56, 32, v54
	v_subrev_u32_e32 v54, 28, v56
	v_lshlrev_b64 v[54:55], v54, v[22:23]
	v_lshrrev_b32_e32 v53, 3, v24
	v_sub_u32_e32 v22, 29, v56
	v_and_b32_e32 v54, 7, v54
	v_cmp_gt_u32_e32 vcc, 8, v24
	v_cndmask_b32_e32 v22, v53, v22, vcc
	v_cndmask_b32_e32 v24, v44, v54, vcc
	v_lshlrev_b32_e32 v44, 16, v25
	v_bfrev_b32_e32 v53, 60
	v_lshlrev_b32_e32 v24, 20, v24
	v_and_b32_e32 v44, 0x80000000, v44
	v_lshl_add_u32 v22, v22, 23, v53
	v_or3_b32 v53, v44, v22, v24
.LBB555_383:
	s_or_b64 exec, exec, s[10:11]
.LBB555_384:
	s_or_b64 exec, exec, s[8:9]
.LBB555_385:
	s_or_b64 exec, exec, s[2:3]
	s_movk_i32 s2, 0xff
	v_and_b32_sdwa v24, v25, s2 dst_sel:DWORD dst_unused:UNUSED_PAD src0_sel:WORD_1 src1_sel:DWORD
	v_lshrrev_b32_e32 v22, 16, v25
	v_cmp_ne_u16_e32 vcc, 0, v24
	s_and_saveexec_b64 s[2:3], vcc
	s_cbranch_execz .LBB555_391
; %bb.386:
	s_movk_i32 s8, 0x80
	v_cmp_ne_u16_e32 vcc, s8, v24
	v_bfrev_b32_e32 v52, 1
	s_and_saveexec_b64 s[8:9], vcc
	s_cbranch_execz .LBB555_390
; %bb.387:
	v_bfe_u32 v24, v25, 16, 7
	s_movk_i32 s10, 0x7f
	v_cmp_ne_u32_e32 vcc, s10, v24
	v_mov_b32_e32 v52, 0x7f800001
	s_and_saveexec_b64 s[10:11], vcc
	s_cbranch_execz .LBB555_389
; %bb.388:
	v_and_b32_e32 v44, 7, v22
	v_ffbh_u32_e32 v54, v44
	v_min_u32_e32 v56, 32, v54
	v_subrev_u32_e32 v54, 28, v56
	v_lshlrev_b64 v[54:55], v54, v[22:23]
	v_and_b32_e32 v54, 7, v54
	v_cmp_gt_u32_e32 vcc, 8, v24
	v_lshrrev_b32_e32 v52, 3, v24
	v_sub_u32_e32 v22, 29, v56
	v_cndmask_b32_e32 v24, v44, v54, vcc
	v_mov_b32_e32 v44, 24
	v_cndmask_b32_e32 v22, v52, v22, vcc
	v_lshlrev_b32_sdwa v44, v44, v25 dst_sel:DWORD dst_unused:UNUSED_PAD src0_sel:DWORD src1_sel:WORD_1
	v_bfrev_b32_e32 v52, 60
	v_lshlrev_b32_e32 v24, 20, v24
	v_and_b32_e32 v44, 0x80000000, v44
	v_lshl_add_u32 v22, v22, 23, v52
	v_or3_b32 v52, v44, v22, v24
.LBB555_389:
	s_or_b64 exec, exec, s[10:11]
.LBB555_390:
	s_or_b64 exec, exec, s[8:9]
.LBB555_391:
	s_or_b64 exec, exec, s[2:3]
	s_mov_b32 s2, 0xffffff
	v_and_b32_e32 v44, 63, v0
	v_cmp_lt_u32_e32 vcc, s2, v25
	v_mov_b32_e32 v54, 0
	s_and_saveexec_b64 s[2:3], vcc
	s_cbranch_execz .LBB555_397
; %bb.392:
	v_lshrrev_b32_e32 v22, 24, v25
	s_movk_i32 s8, 0x80
	v_cmp_ne_u32_e32 vcc, s8, v22
	v_bfrev_b32_e32 v54, 1
	s_and_saveexec_b64 s[8:9], vcc
	s_cbranch_execz .LBB555_396
; %bb.393:
	v_bfe_u32 v24, v25, 24, 7
	s_movk_i32 s10, 0x7f
	v_cmp_ne_u32_e32 vcc, s10, v24
	v_mov_b32_e32 v54, 0x7f800001
	s_and_saveexec_b64 s[10:11], vcc
	s_cbranch_execz .LBB555_395
; %bb.394:
	v_and_b32_e32 v25, 7, v22
	v_ffbh_u32_e32 v54, v25
	v_min_u32_e32 v57, 32, v54
	v_subrev_u32_e32 v54, 28, v57
	v_lshlrev_b64 v[54:55], v54, v[22:23]
	v_lshrrev_b32_e32 v56, 3, v24
	v_sub_u32_e32 v55, 29, v57
	v_and_b32_e32 v54, 7, v54
	v_cmp_gt_u32_e32 vcc, 8, v24
	v_cndmask_b32_e32 v24, v56, v55, vcc
	v_cndmask_b32_e32 v25, v25, v54, vcc
	v_lshlrev_b32_e32 v22, 24, v22
	v_bfrev_b32_e32 v54, 60
	v_lshlrev_b32_e32 v25, 20, v25
	v_and_b32_e32 v22, 0x80000000, v22
	v_lshl_add_u32 v24, v24, 23, v54
	v_or3_b32 v54, v22, v24, v25
.LBB555_395:
	s_or_b64 exec, exec, s[10:11]
.LBB555_396:
	s_or_b64 exec, exec, s[8:9]
.LBB555_397:
	s_or_b64 exec, exec, s[2:3]
	v_cvt_pkrtz_f16_f32 v42, v42, v43
	v_cvt_pkrtz_f16_f32 v43, v23, v51
	s_load_dword s2, s[4:5], 0x1c
	s_mov_b32 s46, 0xff7fffff
	s_waitcnt lgkmcnt(0)
	v_mfma_f32_16x16x16f16 v[26:29], v[42:43], v[18:19], v[26:29]
	v_cvt_pkrtz_f16_f32 v18, v45, v53
	v_cvt_pkrtz_f16_f32 v19, v52, v54
	v_mov_b32_e32 v22, s2
	v_mul_f32_e32 v56, s12, v22
	v_pk_mul_f32 v[22:23], v[56:57], v[32:33] op_sel_hi:[0,1]
	v_pk_mul_f32 v[32:33], v[56:57], v[38:39] op_sel_hi:[0,1]
	v_and_b32_e32 v38, 0xc0, v0
	v_mfma_f32_16x16x16f16 v[26:29], v[18:19], v[20:21], v[26:29]
	v_add_u32_e32 v38, s18, v38
	v_lshl_or_b32 v38, v1, 2, v38
	v_or_b32_e32 v39, 1, v38
	v_pk_mul_f32 v[24:25], v[56:57], v[30:31] op_sel_hi:[0,1]
	v_pk_mul_f32 v[30:31], v[56:57], v[40:41] op_sel_hi:[0,1]
	v_subrev_u32_e32 v40, s33, v39
	v_pk_mul_f32 v[34:35], v[56:57], v[34:35] op_sel_hi:[0,1]
	s_nop 3
	v_pk_mul_f32 v[20:21], v[56:57], v[26:27] op_sel_hi:[0,1]
	v_add_u32_e32 v27, 1, v40
	v_pk_mul_f32 v[18:19], v[56:57], v[28:29] op_sel_hi:[0,1]
	v_cvt_f32_i32_e32 v27, v27
	v_add_u32_e32 v29, 3, v40
	v_cvt_f32_i32_e32 v29, v29
	v_cvt_f32_i32_e32 v26, v40
	v_pk_mul_f32 v[36:37], v[56:57], v[36:37] op_sel_hi:[0,1]
	v_fmac_f32_e32 v35, v50, v27
	v_add_u32_e32 v27, 16, v40
	v_fmac_f32_e32 v37, v50, v29
	v_cvt_f32_i32_e32 v27, v27
	v_add_u32_e32 v29, 17, v40
	v_fma_f32 v26, v50, v26, v34
	v_cvt_f32_i32_e32 v29, v29
	v_add_u32_e32 v34, 18, v40
	v_cvt_f32_i32_e32 v34, v34
	v_fma_f32 v41, v50, v27, v32
	v_add_u32_e32 v27, 32, v40
	v_fmac_f32_e32 v33, v50, v29
	v_cvt_f32_i32_e32 v27, v27
	v_add_u32_e32 v29, 33, v40
	v_add_u32_e32 v32, 34, v40
	v_fma_f32 v30, v50, v34, v30
	v_cvt_f32_i32_e32 v29, v29
	v_cvt_f32_i32_e32 v32, v32
	v_add_u32_e32 v34, 35, v40
	v_cvt_f32_i32_e32 v34, v34
	v_fma_f32 v24, v50, v27, v24
	v_add_u32_e32 v27, 48, v40
	v_fmac_f32_e32 v25, v50, v29
	v_fma_f32 v22, v50, v32, v22
	v_cvt_f32_i32_e32 v27, v27
	v_add_u32_e32 v29, 49, v40
	v_add_u32_e32 v32, 50, v40
	v_fmac_f32_e32 v23, v50, v34
	v_cvt_f32_i32_e32 v29, v29
	v_cvt_f32_i32_e32 v32, v32
	v_add_u32_e32 v34, 51, v40
	v_add_u32_e32 v28, 2, v40
	v_cvt_f32_i32_e32 v34, v34
	v_cvt_f32_i32_e32 v28, v28
	v_fma_f32 v20, v50, v27, v20
	v_mov_b32_e32 v27, 0xff7fffff
	v_cmp_gt_i32_e64 s[26:27], s33, v38
	v_cmp_gt_i32_e64 s[28:29], s33, v39
	v_fmac_f32_e32 v21, v50, v29
	v_fma_f32 v18, v50, v32, v18
	v_cndmask_b32_e64 v29, v27, v26, s[26:27]
	v_cndmask_b32_e64 v32, v27, v35, s[28:29]
	v_fmac_f32_e32 v19, v50, v34
	v_max3_f32 v29, v29, s46, v32
	v_or_b32_e32 v32, 2, v38
	v_or_b32_e32 v34, 3, v38
	v_fma_f32 v28, v50, v28, v36
	v_cmp_gt_i32_e64 s[30:31], s33, v32
	v_cmp_gt_i32_e64 s[34:35], s33, v34
	v_add_u32_e32 v36, 19, v40
	v_cndmask_b32_e64 v32, v27, v28, s[30:31]
	v_cndmask_b32_e64 v34, v27, v37, s[34:35]
	v_cvt_f32_i32_e32 v36, v36
	v_max3_f32 v29, v29, v32, v34
	v_or_b32_e32 v32, 16, v38
	v_or_b32_e32 v34, 17, v38
	v_cmp_gt_i32_e64 s[36:37], s33, v32
	v_cmp_gt_i32_e64 s[38:39], s33, v34
	v_cndmask_b32_e64 v32, v27, v41, s[36:37]
	v_cndmask_b32_e64 v34, v27, v33, s[38:39]
	v_max3_f32 v29, v29, v32, v34
	v_or_b32_e32 v32, 18, v38
	v_or_b32_e32 v34, 19, v38
	v_fmac_f32_e32 v31, v50, v36
	v_cmp_gt_i32_e64 s[20:21], s33, v32
	v_cmp_gt_i32_e64 s[22:23], s33, v34
	v_cndmask_b32_e64 v32, v27, v30, s[20:21]
	v_cndmask_b32_e64 v34, v27, v31, s[22:23]
	v_max3_f32 v29, v29, v32, v34
	v_or_b32_e32 v32, 32, v38
	v_or_b32_e32 v34, 33, v38
	v_cmp_gt_i32_e64 s[16:17], s33, v32
	v_cmp_gt_i32_e64 s[18:19], s33, v34
	v_cndmask_b32_e64 v32, v27, v24, s[16:17]
	v_cndmask_b32_e64 v34, v27, v25, s[18:19]
	v_max3_f32 v29, v29, v32, v34
	v_or_b32_e32 v32, 34, v38
	v_or_b32_e32 v34, 35, v38
	;; [unrolled: 7-line block ×4, first 2 shown]
	v_cmp_gt_i32_e32 vcc, s33, v32
	v_cmp_gt_i32_e64 s[2:3], s33, v34
	v_cndmask_b32_e32 v32, v27, v18, vcc
	v_cndmask_b32_e64 v27, v27, v19, s[2:3]
	v_max3_f32 v27, v29, v32, v27
	v_mbcnt_lo_u32_b32 v29, -1, 0
	v_mbcnt_hi_u32_b32 v29, -1, v29
	v_and_b32_e32 v32, 64, v29
	v_add_u32_e32 v32, 64, v32
	v_xor_b32_e32 v34, 32, v29
	v_cmp_lt_i32_e64 s[40:41], v34, v32
	v_cndmask_b32_e64 v34, v29, v34, s[40:41]
	v_lshlrev_b32_e32 v36, 2, v34
	ds_bpermute_b32 v34, v36, v27
	s_barrier
	s_waitcnt lgkmcnt(0)
	v_max_f32_e32 v34, v34, v34
	v_max_f32_e32 v27, v27, v34
	v_xor_b32_e32 v34, 16, v29
	v_cmp_lt_i32_e64 s[40:41], v34, v32
	v_cndmask_b32_e64 v29, v29, v34, s[40:41]
	v_lshlrev_b32_e32 v38, 2, v29
	ds_bpermute_b32 v29, v38, v27
	s_waitcnt lgkmcnt(0)
	v_max_f32_e32 v29, v29, v29
	v_max_f32_e32 v32, v27, v29
	v_sub_f32_e32 v26, v26, v32
	v_mul_f32_e32 v26, 0x3fb8aa3b, v26
	v_sub_f32_e32 v27, v35, v32
	v_exp_f32_e32 v26, v26
	v_mul_f32_e32 v27, 0x3fb8aa3b, v27
	v_sub_f32_e32 v28, v28, v32
	v_exp_f32_e32 v27, v27
	v_mul_f32_e32 v28, 0x3fb8aa3b, v28
	v_exp_f32_e32 v28, v28
	v_cndmask_b32_e64 v26, 0, v26, s[26:27]
	v_sub_f32_e32 v34, v37, v32
	v_add_f32_e32 v29, 0, v26
	v_cndmask_b32_e64 v27, 0, v27, s[28:29]
	v_mul_f32_e32 v34, 0x3fb8aa3b, v34
	v_exp_f32_e32 v35, v34
	v_add_f32_e32 v29, v29, v27
	v_cndmask_b32_e64 v34, 0, v28, s[30:31]
	v_add_f32_e32 v28, v29, v34
	v_sub_f32_e32 v29, v41, v32
	v_mul_f32_e32 v29, 0x3fb8aa3b, v29
	v_sub_f32_e32 v33, v33, v32
	v_exp_f32_e32 v29, v29
	v_mul_f32_e32 v33, 0x3fb8aa3b, v33
	v_sub_f32_e32 v30, v30, v32
	v_exp_f32_e32 v33, v33
	;; [unrolled: 3-line block ×3, first 2 shown]
	v_mul_f32_e32 v31, 0x3fb8aa3b, v31
	v_sub_f32_e32 v24, v24, v32
	v_cndmask_b32_e64 v35, 0, v35, s[34:35]
	v_exp_f32_e32 v31, v31
	v_mul_f32_e32 v24, 0x3fb8aa3b, v24
	v_sub_f32_e32 v25, v25, v32
	v_add_f32_e32 v37, v28, v35
	v_cndmask_b32_e64 v28, 0, v29, s[36:37]
	v_exp_f32_e32 v24, v24
	v_mul_f32_e32 v25, 0x3fb8aa3b, v25
	v_sub_f32_e32 v22, v22, v32
	v_add_f32_e32 v37, v37, v28
	;; [unrolled: 5-line block ×7, first 2 shown]
	v_cndmask_b32_e64 v22, 0, v22, s[12:13]
	v_exp_f32_e32 v18, v18
	v_mul_f32_e32 v19, 0x3fb8aa3b, v19
	v_add_f32_e32 v33, v33, v22
	v_cndmask_b32_e64 v23, 0, v23, s[14:15]
	v_exp_f32_e32 v19, v19
	v_add_f32_e32 v33, v33, v23
	v_cndmask_b32_e64 v20, 0, v20, s[8:9]
	v_add_f32_e32 v33, v33, v20
	v_cndmask_b32_e64 v21, 0, v21, s[10:11]
	v_add_f32_e32 v33, v33, v21
	v_cndmask_b32_e32 v18, 0, v18, vcc
	v_add_f32_e32 v33, v33, v18
	v_cndmask_b32_e64 v19, 0, v19, s[2:3]
	v_add_f32_e32 v33, v33, v19
	ds_bpermute_b32 v36, v36, v33
	v_cmp_gt_u32_e32 vcc, 16, v44
	s_waitcnt lgkmcnt(0)
	v_add_f32_e32 v33, v33, v36
	ds_bpermute_b32 v37, v38, v33
	v_lshlrev_b32_e32 v36, 2, v48
	s_and_saveexec_b64 s[2:3], vcc
	s_cbranch_execz .LBB555_399
; %bb.398:
	s_waitcnt lgkmcnt(0)
	v_add_f32_e32 v33, v33, v37
	v_lshl_or_b32 v37, v49, 6, v36
	ds_write2st64_b32 v37, v32, v33 offset1:1
.LBB555_399:
	s_or_b64 exec, exec, s[2:3]
	s_waitcnt lgkmcnt(0)
	s_barrier
	ds_read2_b32 v[38:39], v36 offset1:16
	ds_read2_b32 v[40:41], v36 offset0:32 offset1:48
	ds_read2_b32 v[42:43], v36 offset0:64 offset1:80
	s_mul_i32 s12, s45, 14
	s_waitcnt lgkmcnt(2)
	v_max3_f32 v32, v38, s46, v39
	s_waitcnt lgkmcnt(1)
	v_max3_f32 v33, v32, v40, v41
	v_sub_f32_e32 v32, v38, v33
	v_mul_f32_e32 v32, 0x3fb8aa3b, v32
	v_exp_f32_e32 v37, v32
	v_sub_f32_e32 v32, v39, v33
	v_mul_f32_e32 v32, 0x3fb8aa3b, v32
	v_exp_f32_e32 v44, v32
	;; [unrolled: 3-line block ×3, first 2 shown]
	ds_read2_b32 v[38:39], v36 offset0:96 offset1:112
	v_sub_f32_e32 v32, v41, v33
	v_mul_f32_e32 v32, 0x3fb8aa3b, v32
	v_exp_f32_e32 v41, v32
	s_waitcnt lgkmcnt(1)
	v_fma_f32 v36, v37, v42, 0
	v_fmac_f32_e32 v36, v44, v43
	s_waitcnt lgkmcnt(0)
	v_fmac_f32_e32 v36, v40, v38
	v_fmac_f32_e32 v36, v41, v39
	v_add_f32_e32 v38, 0x358637bd, v36
	v_div_scale_f32 v39, s[2:3], v38, v38, 1.0
	v_rcp_f32_e32 v42, v39
	s_barrier
	v_fma_f32 v43, -v39, v42, 1.0
	v_fmac_f32_e32 v42, v43, v42
	v_div_scale_f32 v43, vcc, 1.0, v38, 1.0
	v_mul_f32_e32 v45, v43, v42
	v_fma_f32 v50, -v39, v45, v43
	v_fmac_f32_e32 v45, v50, v42
	v_fma_f32 v39, -v39, v45, v43
	v_div_fmas_f32 v39, v39, v42, v45
	v_cmp_eq_u32_e32 vcc, 1, v49
	v_cndmask_b32_e32 v37, v37, v44, vcc
	v_cmp_eq_u32_e32 vcc, 2, v49
	v_cndmask_b32_e32 v37, v37, v40, vcc
	v_cmp_eq_u32_e32 vcc, 3, v49
	v_div_fixup_f32 v38, v39, v38, 1.0
	v_cndmask_b32_e32 v37, v37, v41, vcc
	v_mul_f32_e32 v38, v37, v38
	v_pk_mul_f32 v[34:35], v[38:39], v[34:35] op_sel_hi:[0,1]
	v_pk_mul_f32 v[26:27], v[38:39], v[26:27] op_sel_hi:[0,1]
	v_cvt_f16_f32_e32 v26, v26
	v_cvt_f16_f32_e32 v27, v27
	;; [unrolled: 1-line block ×4, first 2 shown]
	v_pk_mul_f32 v[30:31], v[38:39], v[30:31] op_sel_hi:[0,1]
	v_pk_mul_f32 v[28:29], v[38:39], v[28:29] op_sel_hi:[0,1]
	v_cvt_f16_f32_e32 v28, v28
	v_cvt_f16_f32_e32 v29, v29
	;; [unrolled: 1-line block ×4, first 2 shown]
	v_pack_b32_f16 v34, v26, v27
	v_pack_b32_f16 v35, v37, v35
	v_lshlrev_b32_e32 v26, 3, v1
	v_lshlrev_b32_e32 v27, 5, v48
	;; [unrolled: 1-line block ×3, first 2 shown]
	v_or3_b32 v26, v37, v27, v26
	v_pack_b32_f16 v28, v28, v29
	v_pack_b32_f16 v29, v30, v31
	v_pk_mul_f32 v[22:23], v[38:39], v[22:23] op_sel_hi:[0,1]
	v_pk_mul_f32 v[24:25], v[38:39], v[24:25] op_sel_hi:[0,1]
	;; [unrolled: 1-line block ×4, first 2 shown]
	ds_write2st64_b64 v26, v[34:35], v[28:29] offset1:1
	v_cvt_f16_f32_e32 v24, v24
	v_cvt_f16_f32_e32 v25, v25
	;; [unrolled: 1-line block ×8, first 2 shown]
	v_mov_b32_e32 v32, 0
	v_pack_b32_f16 v18, v24, v25
	v_pack_b32_f16 v19, v22, v23
	;; [unrolled: 1-line block ×4, first 2 shown]
	v_cmp_gt_u32_e32 vcc, 14, v0
	ds_write2st64_b64 v26, v[18:19], v[20:21] offset0:2 offset1:3
	s_and_saveexec_b64 s[2:3], vcc
	s_cbranch_execz .LBB555_401
; %bb.400:
	v_add_co_u32_e32 v20, vcc, s25, v48
	v_addc_co_u32_e64 v21, s[14:15], 0, 0, vcc
	v_mov_b32_e32 v18, s12
	v_mov_b32_e32 v19, 0
	v_mad_u64_u32 v[20:21], s[14:15], s6, v18, v[20:21]
	v_mov_b32_e32 v18, s24
	s_load_dwordx4 s[8:11], s[4:5], 0x58
	s_mul_i32 s7, s7, s12
	v_mad_u64_u32 v[18:19], s[14:15], v20, s44, v[18:19]
	v_add_u32_e32 v21, s7, v21
	v_mov_b32_e32 v20, v19
	v_mad_u64_u32 v[20:21], s[14:15], v21, s44, v[20:21]
	v_mov_b32_e32 v19, v20
	v_lshlrev_b64 v[18:19], 2, v[18:19]
	s_waitcnt lgkmcnt(0)
	v_mov_b32_e32 v21, s11
	v_add_co_u32_e32 v20, vcc, s10, v18
	v_addc_co_u32_e32 v21, vcc, v21, v19, vcc
	global_store_dword v[20:21], v33, off
	v_mov_b32_e32 v20, s9
	v_add_co_u32_e32 v18, vcc, s8, v18
	v_addc_co_u32_e32 v19, vcc, v20, v19, vcc
	global_store_dword v[18:19], v36, off
.LBB555_401:
	s_or_b64 exec, exec, s[2:3]
	v_mov_b32_e32 v19, 0
	s_waitcnt vmcnt(3)
	v_cmp_ne_u16_sdwa s[8:9], v14, v19 src0_sel:BYTE_0 src1_sel:DWORD
	s_waitcnt lgkmcnt(0)
	s_barrier
	s_and_saveexec_b64 s[2:3], s[8:9]
	s_cbranch_execz .LBB555_407
; %bb.402:
	s_movk_i32 s7, 0x80
	v_cmp_ne_u16_sdwa s[10:11], v14, s7 src0_sel:BYTE_0 src1_sel:DWORD
	v_bfrev_b32_e32 v32, 1
	s_and_saveexec_b64 s[8:9], s[10:11]
	s_cbranch_execz .LBB555_406
; %bb.403:
	s_movk_i32 s7, 0x7f
	v_and_b32_e32 v18, 0x7f, v14
	v_cmp_ne_u32_e32 vcc, s7, v18
	v_mov_b32_e32 v32, 0x7f800001
	s_and_saveexec_b64 s[10:11], vcc
	s_cbranch_execz .LBB555_405
; %bb.404:
	v_and_b32_e32 v22, 7, v14
	v_ffbh_u32_e32 v20, v22
	v_min_u32_e32 v24, 32, v20
	v_subrev_u32_e32 v20, 28, v24
	v_lshlrev_b64 v[20:21], v20, v[14:15]
	v_lshrrev_b32_e32 v23, 3, v18
	v_sub_u32_e32 v21, 29, v24
	v_and_b32_e32 v20, 7, v20
	v_cmp_gt_u32_e32 vcc, 8, v18
	v_cndmask_b32_e32 v18, v23, v21, vcc
	v_cndmask_b32_e32 v20, v22, v20, vcc
	v_lshlrev_b32_e32 v21, 24, v14
	v_bfrev_b32_e32 v22, 60
	v_lshlrev_b32_e32 v20, 20, v20
	v_and_b32_e32 v21, 0x80000000, v21
	v_lshl_add_u32 v18, v18, 23, v22
	v_or3_b32 v32, v21, v18, v20
.LBB555_405:
	s_or_b64 exec, exec, s[10:11]
.LBB555_406:
	s_or_b64 exec, exec, s[8:9]
.LBB555_407:
	s_or_b64 exec, exec, s[2:3]
	v_lshrrev_b16_e32 v18, 8, v14
	v_cmp_ne_u16_e32 vcc, 0, v18
	v_mov_b32_e32 v20, 0
	s_and_saveexec_b64 s[2:3], vcc
	s_cbranch_execz .LBB555_413
; %bb.408:
	s_movk_i32 s7, 0x80
	v_cmp_ne_u16_e32 vcc, s7, v18
	v_bfrev_b32_e32 v20, 1
	s_and_saveexec_b64 s[8:9], vcc
	s_cbranch_execz .LBB555_412
; %bb.409:
	s_movk_i32 s7, 0x7f
	v_and_b32_e32 v21, 0x7f, v18
	v_cmp_ne_u32_e32 vcc, s7, v21
	v_mov_b32_e32 v20, 0x7f800001
	s_and_saveexec_b64 s[10:11], vcc
	s_cbranch_execz .LBB555_411
; %bb.410:
	v_and_b32_e32 v20, 7, v18
	v_ffbh_u32_e32 v22, v20
	v_min_u32_e32 v25, 32, v22
	v_subrev_u32_e32 v22, 28, v25
	v_lshlrev_b64 v[22:23], v22, v[18:19]
	v_lshrrev_b32_e32 v24, 3, v21
	v_sub_u32_e32 v18, 29, v25
	v_and_b32_e32 v22, 7, v22
	v_cmp_gt_u32_e32 vcc, 8, v21
	v_cndmask_b32_e32 v18, v24, v18, vcc
	v_cndmask_b32_e32 v20, v20, v22, vcc
	v_lshlrev_b32_e32 v21, 16, v14
	v_bfrev_b32_e32 v22, 60
	v_lshlrev_b32_e32 v20, 20, v20
	v_and_b32_e32 v21, 0x80000000, v21
	v_lshl_add_u32 v18, v18, 23, v22
	v_or3_b32 v20, v21, v18, v20
.LBB555_411:
	s_or_b64 exec, exec, s[10:11]
.LBB555_412:
	s_or_b64 exec, exec, s[8:9]
.LBB555_413:
	s_or_b64 exec, exec, s[2:3]
	s_movk_i32 s2, 0xff
	v_and_b32_sdwa v21, v14, s2 dst_sel:DWORD dst_unused:UNUSED_PAD src0_sel:WORD_1 src1_sel:DWORD
	v_lshrrev_b32_e32 v18, 16, v14
	v_cmp_ne_u16_e32 vcc, 0, v21
	s_and_saveexec_b64 s[2:3], vcc
	s_cbranch_execz .LBB555_419
; %bb.414:
	s_movk_i32 s7, 0x80
	v_cmp_ne_u16_e32 vcc, s7, v21
	v_bfrev_b32_e32 v19, 1
	s_and_saveexec_b64 s[8:9], vcc
	s_cbranch_execz .LBB555_418
; %bb.415:
	v_bfe_u32 v21, v14, 16, 7
	s_movk_i32 s7, 0x7f
	v_cmp_ne_u32_e32 vcc, s7, v21
	v_mov_b32_e32 v19, 0x7f800001
	s_and_saveexec_b64 s[10:11], vcc
	s_cbranch_execz .LBB555_417
; %bb.416:
	v_and_b32_e32 v22, 7, v18
	v_ffbh_u32_e32 v19, v22
	v_min_u32_e32 v24, 32, v19
	v_subrev_u32_e32 v19, 28, v24
	v_lshlrev_b64 v[18:19], v19, v[18:19]
	v_lshrrev_b32_e32 v23, 3, v21
	v_sub_u32_e32 v19, 29, v24
	v_and_b32_e32 v18, 7, v18
	v_cmp_gt_u32_e32 vcc, 8, v21
	v_mov_b32_e32 v21, 24
	v_cndmask_b32_e32 v19, v23, v19, vcc
	v_cndmask_b32_e32 v18, v22, v18, vcc
	v_lshlrev_b32_sdwa v21, v21, v14 dst_sel:DWORD dst_unused:UNUSED_PAD src0_sel:DWORD src1_sel:WORD_1
	v_bfrev_b32_e32 v22, 60
	v_lshlrev_b32_e32 v18, 20, v18
	v_and_b32_e32 v21, 0x80000000, v21
	v_lshl_add_u32 v19, v19, 23, v22
	v_or3_b32 v19, v21, v19, v18
.LBB555_417:
	s_or_b64 exec, exec, s[10:11]
.LBB555_418:
	s_or_b64 exec, exec, s[8:9]
.LBB555_419:
	s_or_b64 exec, exec, s[2:3]
	s_mov_b32 s2, 0xffffff
	v_cmp_lt_u32_e32 vcc, s2, v14
	v_mov_b32_e32 v21, 0
	v_mov_b32_e32 v22, 0
	s_and_saveexec_b64 s[2:3], vcc
	s_cbranch_execz .LBB555_425
; %bb.420:
	v_lshrrev_b32_e32 v18, 24, v14
	s_movk_i32 s7, 0x80
	v_cmp_ne_u32_e32 vcc, s7, v18
	v_bfrev_b32_e32 v22, 1
	s_and_saveexec_b64 s[8:9], vcc
	s_cbranch_execz .LBB555_424
; %bb.421:
	v_bfe_u32 v14, v14, 24, 7
	s_movk_i32 s7, 0x7f
	v_cmp_ne_u32_e32 vcc, s7, v14
	v_mov_b32_e32 v22, 0x7f800001
	s_and_saveexec_b64 s[10:11], vcc
	s_cbranch_execz .LBB555_423
; %bb.422:
	v_and_b32_e32 v24, 7, v18
	v_ffbh_u32_e32 v22, v24
	v_min_u32_e32 v28, 32, v22
	v_subrev_u32_e32 v22, 28, v28
	v_lshlrev_b64 v[22:23], v22, v[18:19]
	v_lshrrev_b32_e32 v25, 3, v14
	v_sub_u32_e32 v23, 29, v28
	v_and_b32_e32 v22, 7, v22
	v_cmp_gt_u32_e32 vcc, 8, v14
	v_cndmask_b32_e32 v14, v25, v23, vcc
	v_cndmask_b32_e32 v22, v24, v22, vcc
	v_lshlrev_b32_e32 v18, 24, v18
	v_bfrev_b32_e32 v23, 60
	v_lshlrev_b32_e32 v22, 20, v22
	v_and_b32_e32 v18, 0x80000000, v18
	v_lshl_add_u32 v14, v14, 23, v23
	v_or3_b32 v22, v18, v14, v22
.LBB555_423:
	s_or_b64 exec, exec, s[10:11]
.LBB555_424:
	s_or_b64 exec, exec, s[8:9]
.LBB555_425:
	s_or_b64 exec, exec, s[2:3]
	v_cmp_ne_u16_sdwa s[8:9], v15, v21 src0_sel:BYTE_0 src1_sel:DWORD
	s_and_saveexec_b64 s[2:3], s[8:9]
	s_cbranch_execz .LBB555_431
; %bb.426:
	s_movk_i32 s7, 0x80
	v_cmp_ne_u16_sdwa s[10:11], v15, s7 src0_sel:BYTE_0 src1_sel:DWORD
	v_bfrev_b32_e32 v21, 1
	s_and_saveexec_b64 s[8:9], s[10:11]
	s_cbranch_execz .LBB555_430
; %bb.427:
	s_movk_i32 s7, 0x7f
	v_and_b32_e32 v14, 0x7f, v15
	v_cmp_ne_u32_e32 vcc, s7, v14
	v_mov_b32_e32 v21, 0x7f800001
	s_and_saveexec_b64 s[10:11], vcc
	s_cbranch_execz .LBB555_429
; %bb.428:
	v_and_b32_e32 v21, 7, v15
	v_ffbh_u32_e32 v24, v21
	v_min_u32_e32 v28, 32, v24
	v_mov_b32_e32 v18, v15
	v_subrev_u32_e32 v24, 28, v28
	v_lshlrev_b64 v[24:25], v24, v[18:19]
	v_lshrrev_b32_e32 v23, 3, v14
	v_sub_u32_e32 v18, 29, v28
	v_and_b32_e32 v24, 7, v24
	v_cmp_gt_u32_e32 vcc, 8, v14
	v_cndmask_b32_e32 v14, v23, v18, vcc
	v_cndmask_b32_e32 v18, v21, v24, vcc
	v_lshlrev_b32_e32 v21, 24, v15
	v_bfrev_b32_e32 v23, 60
	v_lshlrev_b32_e32 v18, 20, v18
	v_and_b32_e32 v21, 0x80000000, v21
	v_lshl_add_u32 v14, v14, 23, v23
	v_or3_b32 v21, v21, v14, v18
.LBB555_429:
	s_or_b64 exec, exec, s[10:11]
.LBB555_430:
	s_or_b64 exec, exec, s[8:9]
.LBB555_431:
	s_or_b64 exec, exec, s[2:3]
	v_lshrrev_b16_e32 v14, 8, v15
	v_cmp_ne_u16_e32 vcc, 0, v14
	v_mov_b32_e32 v18, 0
	v_mov_b32_e32 v24, 0
	s_and_saveexec_b64 s[2:3], vcc
	s_cbranch_execz .LBB555_437
; %bb.432:
	s_movk_i32 s7, 0x80
	v_cmp_ne_u16_e32 vcc, s7, v14
	v_bfrev_b32_e32 v24, 1
	s_and_saveexec_b64 s[8:9], vcc
	s_cbranch_execz .LBB555_436
; %bb.433:
	s_movk_i32 s7, 0x7f
	v_and_b32_e32 v23, 0x7f, v14
	v_cmp_ne_u32_e32 vcc, s7, v23
	v_mov_b32_e32 v24, 0x7f800001
	s_and_saveexec_b64 s[10:11], vcc
	s_cbranch_execz .LBB555_435
; %bb.434:
	v_and_b32_e32 v28, 7, v14
	v_ffbh_u32_e32 v24, v28
	v_min_u32_e32 v30, 32, v24
	v_subrev_u32_e32 v24, 28, v30
	v_lshlrev_b64 v[24:25], v24, v[14:15]
	v_lshrrev_b32_e32 v29, 3, v23
	v_sub_u32_e32 v14, 29, v30
	v_and_b32_e32 v24, 7, v24
	v_cmp_gt_u32_e32 vcc, 8, v23
	v_cndmask_b32_e32 v14, v29, v14, vcc
	v_cndmask_b32_e32 v23, v28, v24, vcc
	v_lshlrev_b32_e32 v24, 16, v15
	v_bfrev_b32_e32 v25, 60
	v_lshlrev_b32_e32 v23, 20, v23
	v_and_b32_e32 v24, 0x80000000, v24
	v_lshl_add_u32 v14, v14, 23, v25
	v_or3_b32 v24, v24, v14, v23
.LBB555_435:
	s_or_b64 exec, exec, s[10:11]
.LBB555_436:
	s_or_b64 exec, exec, s[8:9]
.LBB555_437:
	s_or_b64 exec, exec, s[2:3]
	s_movk_i32 s2, 0xff
	v_and_b32_sdwa v23, v15, s2 dst_sel:DWORD dst_unused:UNUSED_PAD src0_sel:WORD_1 src1_sel:DWORD
	v_lshrrev_b32_e32 v14, 16, v15
	v_cmp_ne_u16_e32 vcc, 0, v23
	s_and_saveexec_b64 s[2:3], vcc
	s_cbranch_execz .LBB555_443
; %bb.438:
	s_movk_i32 s7, 0x80
	v_cmp_ne_u16_e32 vcc, s7, v23
	v_bfrev_b32_e32 v18, 1
	s_and_saveexec_b64 s[8:9], vcc
	s_cbranch_execz .LBB555_442
; %bb.439:
	v_bfe_u32 v23, v15, 16, 7
	s_movk_i32 s7, 0x7f
	v_cmp_ne_u32_e32 vcc, s7, v23
	v_mov_b32_e32 v18, 0x7f800001
	s_and_saveexec_b64 s[10:11], vcc
	s_cbranch_execz .LBB555_441
; %bb.440:
	v_and_b32_e32 v18, 7, v14
	v_ffbh_u32_e32 v28, v18
	v_min_u32_e32 v30, 32, v28
	v_subrev_u32_e32 v28, 28, v30
	v_lshlrev_b64 v[28:29], v28, v[14:15]
	v_lshrrev_b32_e32 v25, 3, v23
	v_sub_u32_e32 v14, 29, v30
	v_and_b32_e32 v28, 7, v28
	v_cmp_gt_u32_e32 vcc, 8, v23
	v_mov_b32_e32 v23, 24
	v_cndmask_b32_e32 v14, v25, v14, vcc
	v_cndmask_b32_e32 v18, v18, v28, vcc
	v_lshlrev_b32_sdwa v23, v23, v15 dst_sel:DWORD dst_unused:UNUSED_PAD src0_sel:DWORD src1_sel:WORD_1
	v_bfrev_b32_e32 v25, 60
	v_lshlrev_b32_e32 v18, 20, v18
	v_and_b32_e32 v23, 0x80000000, v23
	v_lshl_add_u32 v14, v14, 23, v25
	v_or3_b32 v18, v23, v14, v18
.LBB555_441:
	s_or_b64 exec, exec, s[10:11]
.LBB555_442:
	s_or_b64 exec, exec, s[8:9]
.LBB555_443:
	s_or_b64 exec, exec, s[2:3]
	s_mov_b32 s2, 0xffffff
	v_cmp_lt_u32_e32 vcc, s2, v15
	v_mov_b32_e32 v23, 0
	v_mov_b32_e32 v25, 0
	s_and_saveexec_b64 s[2:3], vcc
	s_cbranch_execz .LBB555_449
; %bb.444:
	v_lshrrev_b32_e32 v14, 24, v15
	s_movk_i32 s7, 0x80
	v_cmp_ne_u32_e32 vcc, s7, v14
	v_bfrev_b32_e32 v25, 1
	s_and_saveexec_b64 s[8:9], vcc
	s_cbranch_execz .LBB555_448
; %bb.445:
	v_bfe_u32 v15, v15, 24, 7
	s_movk_i32 s7, 0x7f
	v_cmp_ne_u32_e32 vcc, s7, v15
	v_mov_b32_e32 v25, 0x7f800001
	s_and_saveexec_b64 s[10:11], vcc
	s_cbranch_execz .LBB555_447
; %bb.446:
	v_and_b32_e32 v25, 7, v14
	v_ffbh_u32_e32 v28, v25
	v_min_u32_e32 v31, 32, v28
	v_subrev_u32_e32 v28, 28, v31
	v_lshlrev_b64 v[28:29], v28, v[14:15]
	v_lshrrev_b32_e32 v30, 3, v15
	v_sub_u32_e32 v29, 29, v31
	v_and_b32_e32 v28, 7, v28
	v_cmp_gt_u32_e32 vcc, 8, v15
	v_cndmask_b32_e32 v15, v30, v29, vcc
	v_cndmask_b32_e32 v25, v25, v28, vcc
	v_lshlrev_b32_e32 v14, 24, v14
	v_bfrev_b32_e32 v28, 60
	v_lshlrev_b32_e32 v25, 20, v25
	v_and_b32_e32 v14, 0x80000000, v14
	v_lshl_add_u32 v15, v15, 23, v28
	v_or3_b32 v25, v14, v15, v25
.LBB555_447:
	s_or_b64 exec, exec, s[10:11]
.LBB555_448:
	s_or_b64 exec, exec, s[8:9]
.LBB555_449:
	s_or_b64 exec, exec, s[2:3]
	v_cvt_pkrtz_f16_f32 v15, v19, v22
	v_lshl_or_b32 v22, v1, 9, v27
	v_cvt_pkrtz_f16_f32 v14, v32, v20
	ds_read_b128 v[28:31], v22
	v_cmp_ne_u16_sdwa s[8:9], v16, v23 src0_sel:BYTE_0 src1_sel:DWORD
	s_waitcnt lgkmcnt(0)
	v_mfma_f32_16x16x16f16 v[32:35], v[14:15], v[28:29], 0
	v_cvt_pkrtz_f16_f32 v14, v21, v24
	v_cvt_pkrtz_f16_f32 v15, v18, v25
	s_nop 1
	v_mfma_f32_16x16x16f16 v[18:21], v[14:15], v[30:31], v[32:35]
	s_and_saveexec_b64 s[2:3], s[8:9]
	s_cbranch_execz .LBB555_455
; %bb.450:
	s_movk_i32 s7, 0x80
	v_cmp_ne_u16_sdwa s[10:11], v16, s7 src0_sel:BYTE_0 src1_sel:DWORD
	v_bfrev_b32_e32 v23, 1
	s_and_saveexec_b64 s[8:9], s[10:11]
	s_cbranch_execz .LBB555_454
; %bb.451:
	s_movk_i32 s7, 0x7f
	v_and_b32_e32 v14, 0x7f, v16
	v_cmp_ne_u32_e32 vcc, s7, v14
	v_mov_b32_e32 v23, 0x7f800001
	s_and_saveexec_b64 s[10:11], vcc
	s_cbranch_execz .LBB555_453
; %bb.452:
	v_and_b32_e32 v15, 7, v16
	v_ffbh_u32_e32 v24, v15
	v_min_u32_e32 v27, 32, v24
	v_subrev_u32_e32 v24, 28, v27
	v_lshlrev_b64 v[24:25], v24, v[16:17]
	v_lshrrev_b32_e32 v23, 3, v14
	v_sub_u32_e32 v25, 29, v27
	v_and_b32_e32 v24, 7, v24
	v_cmp_gt_u32_e32 vcc, 8, v14
	v_cndmask_b32_e32 v14, v23, v25, vcc
	v_cndmask_b32_e32 v15, v15, v24, vcc
	v_lshlrev_b32_e32 v23, 24, v16
	v_bfrev_b32_e32 v24, 60
	v_lshlrev_b32_e32 v15, 20, v15
	v_and_b32_e32 v23, 0x80000000, v23
	v_lshl_add_u32 v14, v14, 23, v24
	v_or3_b32 v23, v23, v14, v15
.LBB555_453:
	s_or_b64 exec, exec, s[10:11]
.LBB555_454:
	s_or_b64 exec, exec, s[8:9]
.LBB555_455:
	s_or_b64 exec, exec, s[2:3]
	v_lshrrev_b16_e32 v14, 8, v16
	v_cmp_ne_u16_e32 vcc, 0, v14
	v_mov_b32_e32 v15, 0
	v_mov_b32_e32 v25, 0
	s_and_saveexec_b64 s[2:3], vcc
	s_cbranch_execz .LBB555_461
; %bb.456:
	s_movk_i32 s7, 0x80
	v_cmp_ne_u16_e32 vcc, s7, v14
	v_bfrev_b32_e32 v25, 1
	s_and_saveexec_b64 s[8:9], vcc
	s_cbranch_execz .LBB555_460
; %bb.457:
	s_movk_i32 s7, 0x7f
	v_and_b32_e32 v24, 0x7f, v14
	v_cmp_ne_u32_e32 vcc, s7, v24
	v_mov_b32_e32 v25, 0x7f800001
	s_and_saveexec_b64 s[10:11], vcc
	s_cbranch_execz .LBB555_459
; %bb.458:
	v_and_b32_e32 v25, 7, v14
	v_ffbh_u32_e32 v28, v25
	v_min_u32_e32 v30, 32, v28
	v_subrev_u32_e32 v28, 28, v30
	v_lshlrev_b64 v[28:29], v28, v[14:15]
	v_lshrrev_b32_e32 v27, 3, v24
	v_sub_u32_e32 v14, 29, v30
	v_and_b32_e32 v28, 7, v28
	v_cmp_gt_u32_e32 vcc, 8, v24
	v_cndmask_b32_e32 v14, v27, v14, vcc
	v_cndmask_b32_e32 v24, v25, v28, vcc
	v_lshlrev_b32_e32 v25, 16, v16
	v_bfrev_b32_e32 v27, 60
	v_lshlrev_b32_e32 v24, 20, v24
	v_and_b32_e32 v25, 0x80000000, v25
	v_lshl_add_u32 v14, v14, 23, v27
	v_or3_b32 v25, v25, v14, v24
.LBB555_459:
	s_or_b64 exec, exec, s[10:11]
.LBB555_460:
	s_or_b64 exec, exec, s[8:9]
.LBB555_461:
	s_or_b64 exec, exec, s[2:3]
	s_movk_i32 s2, 0xff
	v_and_b32_sdwa v24, v16, s2 dst_sel:DWORD dst_unused:UNUSED_PAD src0_sel:WORD_1 src1_sel:DWORD
	v_lshrrev_b32_e32 v14, 16, v16
	v_cmp_ne_u16_e32 vcc, 0, v24
	s_and_saveexec_b64 s[2:3], vcc
	s_cbranch_execz .LBB555_467
; %bb.462:
	s_movk_i32 s7, 0x80
	v_cmp_ne_u16_e32 vcc, s7, v24
	v_bfrev_b32_e32 v15, 1
	s_and_saveexec_b64 s[8:9], vcc
	s_cbranch_execz .LBB555_466
; %bb.463:
	v_bfe_u32 v24, v16, 16, 7
	s_movk_i32 s7, 0x7f
	v_cmp_ne_u32_e32 vcc, s7, v24
	v_mov_b32_e32 v15, 0x7f800001
	s_and_saveexec_b64 s[10:11], vcc
	s_cbranch_execz .LBB555_465
; %bb.464:
	v_and_b32_e32 v27, 7, v14
	v_ffbh_u32_e32 v15, v27
	v_min_u32_e32 v29, 32, v15
	v_subrev_u32_e32 v15, 28, v29
	v_lshlrev_b64 v[14:15], v15, v[14:15]
	v_lshrrev_b32_e32 v28, 3, v24
	v_sub_u32_e32 v15, 29, v29
	v_and_b32_e32 v14, 7, v14
	v_cmp_gt_u32_e32 vcc, 8, v24
	v_mov_b32_e32 v24, 24
	v_cndmask_b32_e32 v15, v28, v15, vcc
	v_cndmask_b32_e32 v14, v27, v14, vcc
	v_lshlrev_b32_sdwa v24, v24, v16 dst_sel:DWORD dst_unused:UNUSED_PAD src0_sel:DWORD src1_sel:WORD_1
	v_bfrev_b32_e32 v27, 60
	v_lshlrev_b32_e32 v14, 20, v14
	v_and_b32_e32 v24, 0x80000000, v24
	v_lshl_add_u32 v15, v15, 23, v27
	v_or3_b32 v15, v24, v15, v14
.LBB555_465:
	s_or_b64 exec, exec, s[10:11]
.LBB555_466:
	s_or_b64 exec, exec, s[8:9]
.LBB555_467:
	s_or_b64 exec, exec, s[2:3]
	s_mov_b32 s2, 0xffffff
	v_cmp_lt_u32_e32 vcc, s2, v16
	v_mov_b32_e32 v27, 0
	v_mov_b32_e32 v28, 0
	s_and_saveexec_b64 s[2:3], vcc
	s_cbranch_execz .LBB555_473
; %bb.468:
	v_lshrrev_b32_e32 v14, 24, v16
	s_movk_i32 s7, 0x80
	v_cmp_ne_u32_e32 vcc, s7, v14
	v_bfrev_b32_e32 v28, 1
	s_and_saveexec_b64 s[8:9], vcc
	s_cbranch_execz .LBB555_472
; %bb.469:
	v_bfe_u32 v16, v16, 24, 7
	s_movk_i32 s7, 0x7f
	v_cmp_ne_u32_e32 vcc, s7, v16
	v_mov_b32_e32 v28, 0x7f800001
	s_and_saveexec_b64 s[10:11], vcc
	s_cbranch_execz .LBB555_471
; %bb.470:
	v_and_b32_e32 v24, 7, v14
	v_ffbh_u32_e32 v28, v24
	v_min_u32_e32 v31, 32, v28
	v_subrev_u32_e32 v28, 28, v31
	v_lshlrev_b64 v[28:29], v28, v[14:15]
	v_lshrrev_b32_e32 v30, 3, v16
	v_sub_u32_e32 v29, 29, v31
	v_and_b32_e32 v28, 7, v28
	v_cmp_gt_u32_e32 vcc, 8, v16
	v_cndmask_b32_e32 v16, v30, v29, vcc
	v_cndmask_b32_e32 v24, v24, v28, vcc
	v_lshlrev_b32_e32 v14, 24, v14
	v_bfrev_b32_e32 v28, 60
	v_lshlrev_b32_e32 v24, 20, v24
	v_and_b32_e32 v14, 0x80000000, v14
	v_lshl_add_u32 v16, v16, 23, v28
	v_or3_b32 v28, v14, v16, v24
.LBB555_471:
	s_or_b64 exec, exec, s[10:11]
.LBB555_472:
	s_or_b64 exec, exec, s[8:9]
.LBB555_473:
	s_or_b64 exec, exec, s[2:3]
	v_cmp_ne_u16_sdwa s[8:9], v17, v27 src0_sel:BYTE_0 src1_sel:DWORD
	s_and_saveexec_b64 s[2:3], s[8:9]
	s_cbranch_execz .LBB555_479
; %bb.474:
	s_movk_i32 s7, 0x80
	v_cmp_ne_u16_sdwa s[10:11], v17, s7 src0_sel:BYTE_0 src1_sel:DWORD
	v_bfrev_b32_e32 v27, 1
	s_and_saveexec_b64 s[8:9], s[10:11]
	s_cbranch_execz .LBB555_478
; %bb.475:
	s_movk_i32 s7, 0x7f
	v_and_b32_e32 v14, 0x7f, v17
	v_cmp_ne_u32_e32 vcc, s7, v14
	v_mov_b32_e32 v27, 0x7f800001
	s_and_saveexec_b64 s[10:11], vcc
	s_cbranch_execz .LBB555_477
; %bb.476:
	v_and_b32_e32 v24, 7, v17
	v_ffbh_u32_e32 v29, v24
	v_min_u32_e32 v29, 32, v29
	v_mov_b32_e32 v16, v17
	v_subrev_u32_e32 v30, 28, v29
	v_lshlrev_b64 v[30:31], v30, v[16:17]
	v_lshrrev_b32_e32 v27, 3, v14
	v_sub_u32_e32 v16, 29, v29
	v_and_b32_e32 v29, 7, v30
	v_cmp_gt_u32_e32 vcc, 8, v14
	v_cndmask_b32_e32 v14, v27, v16, vcc
	v_cndmask_b32_e32 v16, v24, v29, vcc
	v_lshlrev_b32_e32 v24, 24, v17
	v_bfrev_b32_e32 v27, 60
	v_lshlrev_b32_e32 v16, 20, v16
	v_and_b32_e32 v24, 0x80000000, v24
	v_lshl_add_u32 v14, v14, 23, v27
	v_or3_b32 v27, v24, v14, v16
.LBB555_477:
	s_or_b64 exec, exec, s[10:11]
.LBB555_478:
	s_or_b64 exec, exec, s[8:9]
.LBB555_479:
	s_or_b64 exec, exec, s[2:3]
	v_lshrrev_b16_e32 v14, 8, v17
	v_cmp_ne_u16_e32 vcc, 0, v14
	v_mov_b32_e32 v16, 0
	v_mov_b32_e32 v29, 0
	s_and_saveexec_b64 s[2:3], vcc
	s_cbranch_execz .LBB555_485
; %bb.480:
	s_movk_i32 s7, 0x80
	v_cmp_ne_u16_e32 vcc, s7, v14
	v_bfrev_b32_e32 v29, 1
	s_and_saveexec_b64 s[8:9], vcc
	s_cbranch_execz .LBB555_484
; %bb.481:
	s_movk_i32 s7, 0x7f
	v_and_b32_e32 v24, 0x7f, v14
	v_cmp_ne_u32_e32 vcc, s7, v24
	v_mov_b32_e32 v29, 0x7f800001
	s_and_saveexec_b64 s[10:11], vcc
	s_cbranch_execz .LBB555_483
; %bb.482:
	v_and_b32_e32 v29, 7, v14
	v_ffbh_u32_e32 v30, v29
	v_min_u32_e32 v33, 32, v30
	v_subrev_u32_e32 v30, 28, v33
	v_lshlrev_b64 v[30:31], v30, v[14:15]
	v_lshrrev_b32_e32 v32, 3, v24
	v_sub_u32_e32 v14, 29, v33
	v_and_b32_e32 v30, 7, v30
	v_cmp_gt_u32_e32 vcc, 8, v24
	v_cndmask_b32_e32 v14, v32, v14, vcc
	v_cndmask_b32_e32 v24, v29, v30, vcc
	v_lshlrev_b32_e32 v29, 16, v17
	v_bfrev_b32_e32 v30, 60
	v_lshlrev_b32_e32 v24, 20, v24
	v_and_b32_e32 v29, 0x80000000, v29
	v_lshl_add_u32 v14, v14, 23, v30
	v_or3_b32 v29, v29, v14, v24
.LBB555_483:
	s_or_b64 exec, exec, s[10:11]
.LBB555_484:
	s_or_b64 exec, exec, s[8:9]
.LBB555_485:
	s_or_b64 exec, exec, s[2:3]
	s_movk_i32 s2, 0xff
	v_and_b32_sdwa v24, v17, s2 dst_sel:DWORD dst_unused:UNUSED_PAD src0_sel:WORD_1 src1_sel:DWORD
	v_lshrrev_b32_e32 v14, 16, v17
	v_cmp_ne_u16_e32 vcc, 0, v24
	s_and_saveexec_b64 s[2:3], vcc
	s_cbranch_execz .LBB555_491
; %bb.486:
	s_movk_i32 s7, 0x80
	v_cmp_ne_u16_e32 vcc, s7, v24
	v_bfrev_b32_e32 v16, 1
	s_and_saveexec_b64 s[8:9], vcc
	s_cbranch_execz .LBB555_490
; %bb.487:
	v_bfe_u32 v24, v17, 16, 7
	s_movk_i32 s7, 0x7f
	v_cmp_ne_u32_e32 vcc, s7, v24
	v_mov_b32_e32 v16, 0x7f800001
	s_and_saveexec_b64 s[10:11], vcc
	s_cbranch_execz .LBB555_489
; %bb.488:
	v_and_b32_e32 v16, 7, v14
	v_ffbh_u32_e32 v30, v16
	v_min_u32_e32 v33, 32, v30
	v_subrev_u32_e32 v30, 28, v33
	v_lshlrev_b64 v[30:31], v30, v[14:15]
	v_lshrrev_b32_e32 v32, 3, v24
	v_sub_u32_e32 v14, 29, v33
	v_and_b32_e32 v30, 7, v30
	v_cmp_gt_u32_e32 vcc, 8, v24
	v_mov_b32_e32 v24, 24
	v_cndmask_b32_e32 v14, v32, v14, vcc
	v_cndmask_b32_e32 v16, v16, v30, vcc
	v_lshlrev_b32_sdwa v24, v24, v17 dst_sel:DWORD dst_unused:UNUSED_PAD src0_sel:DWORD src1_sel:WORD_1
	v_bfrev_b32_e32 v30, 60
	v_lshlrev_b32_e32 v16, 20, v16
	v_and_b32_e32 v24, 0x80000000, v24
	v_lshl_add_u32 v14, v14, 23, v30
	v_or3_b32 v16, v24, v14, v16
.LBB555_489:
	s_or_b64 exec, exec, s[10:11]
.LBB555_490:
	s_or_b64 exec, exec, s[8:9]
.LBB555_491:
	s_or_b64 exec, exec, s[2:3]
	s_mov_b32 s2, 0xffffff
	v_cmp_lt_u32_e32 vcc, s2, v17
	v_mov_b32_e32 v24, 0
	v_mov_b32_e32 v30, 0
	s_and_saveexec_b64 s[2:3], vcc
	s_cbranch_execz .LBB555_497
; %bb.492:
	v_lshrrev_b32_e32 v14, 24, v17
	s_movk_i32 s7, 0x80
	v_cmp_ne_u32_e32 vcc, s7, v14
	v_bfrev_b32_e32 v30, 1
	s_and_saveexec_b64 s[8:9], vcc
	s_cbranch_execz .LBB555_496
; %bb.493:
	v_bfe_u32 v17, v17, 24, 7
	s_movk_i32 s7, 0x7f
	v_cmp_ne_u32_e32 vcc, s7, v17
	v_mov_b32_e32 v30, 0x7f800001
	s_and_saveexec_b64 s[10:11], vcc
	s_cbranch_execz .LBB555_495
; %bb.494:
	v_and_b32_e32 v32, 7, v14
	v_ffbh_u32_e32 v30, v32
	v_min_u32_e32 v34, 32, v30
	v_subrev_u32_e32 v30, 28, v34
	v_lshlrev_b64 v[30:31], v30, v[14:15]
	v_lshrrev_b32_e32 v33, 3, v17
	v_sub_u32_e32 v31, 29, v34
	v_and_b32_e32 v30, 7, v30
	v_cmp_gt_u32_e32 vcc, 8, v17
	v_cndmask_b32_e32 v17, v33, v31, vcc
	v_cndmask_b32_e32 v30, v32, v30, vcc
	v_lshlrev_b32_e32 v14, 24, v14
	v_bfrev_b32_e32 v31, 60
	v_lshlrev_b32_e32 v30, 20, v30
	v_and_b32_e32 v14, 0x80000000, v14
	v_lshl_add_u32 v17, v17, 23, v31
	v_or3_b32 v30, v14, v17, v30
.LBB555_495:
	s_or_b64 exec, exec, s[10:11]
.LBB555_496:
	s_or_b64 exec, exec, s[8:9]
.LBB555_497:
	s_or_b64 exec, exec, s[2:3]
	v_cvt_pkrtz_f16_f32 v14, v23, v25
	v_cvt_pkrtz_f16_f32 v15, v15, v28
	ds_read_b128 v[32:35], v22 offset:16
	s_waitcnt vmcnt(2)
	v_cmp_ne_u16_sdwa s[8:9], v10, v24 src0_sel:BYTE_0 src1_sel:DWORD
	s_waitcnt lgkmcnt(0)
	v_mfma_f32_16x16x16f16 v[18:21], v[14:15], v[32:33], v[18:21]
	v_cvt_pkrtz_f16_f32 v14, v27, v29
	v_cvt_pkrtz_f16_f32 v15, v16, v30
	s_nop 1
	v_mfma_f32_16x16x16f16 v[14:17], v[14:15], v[34:35], v[18:21]
	s_and_saveexec_b64 s[2:3], s[8:9]
	s_cbranch_execz .LBB555_503
; %bb.498:
	s_movk_i32 s7, 0x80
	v_cmp_ne_u16_sdwa s[10:11], v10, s7 src0_sel:BYTE_0 src1_sel:DWORD
	v_bfrev_b32_e32 v24, 1
	s_and_saveexec_b64 s[8:9], s[10:11]
	s_cbranch_execz .LBB555_502
; %bb.499:
	s_movk_i32 s7, 0x7f
	v_and_b32_e32 v18, 0x7f, v10
	v_cmp_ne_u32_e32 vcc, s7, v18
	v_mov_b32_e32 v24, 0x7f800001
	s_and_saveexec_b64 s[10:11], vcc
	s_cbranch_execz .LBB555_501
; %bb.500:
	v_and_b32_e32 v19, 7, v10
	v_ffbh_u32_e32 v20, v19
	v_min_u32_e32 v24, 32, v20
	v_subrev_u32_e32 v20, 28, v24
	v_lshlrev_b64 v[20:21], v20, v[10:11]
	v_lshrrev_b32_e32 v23, 3, v18
	v_sub_u32_e32 v21, 29, v24
	v_and_b32_e32 v20, 7, v20
	v_cmp_gt_u32_e32 vcc, 8, v18
	v_cndmask_b32_e32 v18, v23, v21, vcc
	v_cndmask_b32_e32 v19, v19, v20, vcc
	v_lshlrev_b32_e32 v20, 24, v10
	v_bfrev_b32_e32 v21, 60
	v_lshlrev_b32_e32 v19, 20, v19
	v_and_b32_e32 v20, 0x80000000, v20
	v_lshl_add_u32 v18, v18, 23, v21
	v_or3_b32 v24, v20, v18, v19
.LBB555_501:
	s_or_b64 exec, exec, s[10:11]
.LBB555_502:
	s_or_b64 exec, exec, s[8:9]
.LBB555_503:
	s_or_b64 exec, exec, s[2:3]
	s_nop 3
	v_lshrrev_b16_e32 v18, 8, v10
	v_cmp_ne_u16_e32 vcc, 0, v18
	v_mov_b32_e32 v19, 0
	v_mov_b32_e32 v20, 0
	s_and_saveexec_b64 s[2:3], vcc
	s_cbranch_execz .LBB555_509
; %bb.504:
	s_movk_i32 s7, 0x80
	v_cmp_ne_u16_e32 vcc, s7, v18
	v_bfrev_b32_e32 v20, 1
	s_and_saveexec_b64 s[8:9], vcc
	s_cbranch_execz .LBB555_508
; %bb.505:
	s_movk_i32 s7, 0x7f
	v_and_b32_e32 v21, 0x7f, v18
	v_cmp_ne_u32_e32 vcc, s7, v21
	v_mov_b32_e32 v20, 0x7f800001
	s_and_saveexec_b64 s[10:11], vcc
	s_cbranch_execz .LBB555_507
; %bb.506:
	v_and_b32_e32 v20, 7, v18
	v_ffbh_u32_e32 v25, v20
	v_min_u32_e32 v25, 32, v25
	v_subrev_u32_e32 v27, 28, v25
	v_lshlrev_b64 v[28:29], v27, v[18:19]
	v_lshrrev_b32_e32 v23, 3, v21
	v_sub_u32_e32 v18, 29, v25
	v_and_b32_e32 v25, 7, v28
	v_cmp_gt_u32_e32 vcc, 8, v21
	v_cndmask_b32_e32 v18, v23, v18, vcc
	v_cndmask_b32_e32 v20, v20, v25, vcc
	v_lshlrev_b32_e32 v21, 16, v10
	v_bfrev_b32_e32 v23, 60
	v_lshlrev_b32_e32 v20, 20, v20
	v_and_b32_e32 v21, 0x80000000, v21
	v_lshl_add_u32 v18, v18, 23, v23
	v_or3_b32 v20, v21, v18, v20
.LBB555_507:
	s_or_b64 exec, exec, s[10:11]
.LBB555_508:
	s_or_b64 exec, exec, s[8:9]
.LBB555_509:
	s_or_b64 exec, exec, s[2:3]
	s_movk_i32 s2, 0xff
	v_and_b32_sdwa v21, v10, s2 dst_sel:DWORD dst_unused:UNUSED_PAD src0_sel:WORD_1 src1_sel:DWORD
	v_lshrrev_b32_e32 v18, 16, v10
	v_cmp_ne_u16_e32 vcc, 0, v21
	s_and_saveexec_b64 s[2:3], vcc
	s_cbranch_execz .LBB555_515
; %bb.510:
	s_movk_i32 s7, 0x80
	v_cmp_ne_u16_e32 vcc, s7, v21
	v_bfrev_b32_e32 v19, 1
	s_and_saveexec_b64 s[8:9], vcc
	s_cbranch_execz .LBB555_514
; %bb.511:
	v_bfe_u32 v21, v10, 16, 7
	s_movk_i32 s7, 0x7f
	v_cmp_ne_u32_e32 vcc, s7, v21
	v_mov_b32_e32 v19, 0x7f800001
	s_and_saveexec_b64 s[10:11], vcc
	s_cbranch_execz .LBB555_513
; %bb.512:
	v_and_b32_e32 v23, 7, v18
	v_ffbh_u32_e32 v19, v23
	v_min_u32_e32 v27, 32, v19
	v_subrev_u32_e32 v19, 28, v27
	v_lshlrev_b64 v[18:19], v19, v[18:19]
	v_lshrrev_b32_e32 v25, 3, v21
	v_sub_u32_e32 v19, 29, v27
	v_and_b32_e32 v18, 7, v18
	v_cmp_gt_u32_e32 vcc, 8, v21
	v_mov_b32_e32 v21, 24
	v_cndmask_b32_e32 v19, v25, v19, vcc
	v_cndmask_b32_e32 v18, v23, v18, vcc
	v_lshlrev_b32_sdwa v21, v21, v10 dst_sel:DWORD dst_unused:UNUSED_PAD src0_sel:DWORD src1_sel:WORD_1
	v_bfrev_b32_e32 v23, 60
	v_lshlrev_b32_e32 v18, 20, v18
	v_and_b32_e32 v21, 0x80000000, v21
	v_lshl_add_u32 v19, v19, 23, v23
	v_or3_b32 v19, v21, v19, v18
.LBB555_513:
	s_or_b64 exec, exec, s[10:11]
.LBB555_514:
	s_or_b64 exec, exec, s[8:9]
.LBB555_515:
	s_or_b64 exec, exec, s[2:3]
	s_mov_b32 s2, 0xffffff
	v_cmp_lt_u32_e32 vcc, s2, v10
	v_mov_b32_e32 v21, 0
	v_mov_b32_e32 v23, 0
	s_and_saveexec_b64 s[2:3], vcc
	s_cbranch_execz .LBB555_521
; %bb.516:
	v_lshrrev_b32_e32 v18, 24, v10
	s_movk_i32 s7, 0x80
	v_cmp_ne_u32_e32 vcc, s7, v18
	v_bfrev_b32_e32 v23, 1
	s_and_saveexec_b64 s[8:9], vcc
	s_cbranch_execz .LBB555_520
; %bb.517:
	v_bfe_u32 v10, v10, 24, 7
	s_movk_i32 s7, 0x7f
	v_cmp_ne_u32_e32 vcc, s7, v10
	v_mov_b32_e32 v23, 0x7f800001
	s_and_saveexec_b64 s[10:11], vcc
	s_cbranch_execz .LBB555_519
; %bb.518:
	v_and_b32_e32 v23, 7, v18
	v_ffbh_u32_e32 v27, v23
	v_min_u32_e32 v27, 32, v27
	v_subrev_u32_e32 v28, 28, v27
	v_lshlrev_b64 v[28:29], v28, v[18:19]
	v_lshrrev_b32_e32 v25, 3, v10
	v_sub_u32_e32 v27, 29, v27
	v_and_b32_e32 v28, 7, v28
	v_cmp_gt_u32_e32 vcc, 8, v10
	v_cndmask_b32_e32 v10, v25, v27, vcc
	v_cndmask_b32_e32 v23, v23, v28, vcc
	v_lshlrev_b32_e32 v18, 24, v18
	v_bfrev_b32_e32 v25, 60
	v_lshlrev_b32_e32 v23, 20, v23
	v_and_b32_e32 v18, 0x80000000, v18
	v_lshl_add_u32 v10, v10, 23, v25
	v_or3_b32 v23, v18, v10, v23
.LBB555_519:
	s_or_b64 exec, exec, s[10:11]
.LBB555_520:
	s_or_b64 exec, exec, s[8:9]
.LBB555_521:
	s_or_b64 exec, exec, s[2:3]
	v_cmp_ne_u16_sdwa s[8:9], v11, v21 src0_sel:BYTE_0 src1_sel:DWORD
	s_and_saveexec_b64 s[2:3], s[8:9]
	s_cbranch_execz .LBB555_527
; %bb.522:
	s_movk_i32 s7, 0x80
	v_cmp_ne_u16_sdwa s[10:11], v11, s7 src0_sel:BYTE_0 src1_sel:DWORD
	v_bfrev_b32_e32 v21, 1
	s_and_saveexec_b64 s[8:9], s[10:11]
	s_cbranch_execz .LBB555_526
; %bb.523:
	s_movk_i32 s7, 0x7f
	v_and_b32_e32 v10, 0x7f, v11
	v_cmp_ne_u32_e32 vcc, s7, v10
	v_mov_b32_e32 v21, 0x7f800001
	s_and_saveexec_b64 s[10:11], vcc
	s_cbranch_execz .LBB555_525
; %bb.524:
	v_and_b32_e32 v21, 7, v11
	v_ffbh_u32_e32 v27, v21
	v_min_u32_e32 v27, 32, v27
	v_mov_b32_e32 v18, v11
	v_subrev_u32_e32 v28, 28, v27
	v_lshlrev_b64 v[28:29], v28, v[18:19]
	v_lshrrev_b32_e32 v25, 3, v10
	v_sub_u32_e32 v18, 29, v27
	v_and_b32_e32 v27, 7, v28
	v_cmp_gt_u32_e32 vcc, 8, v10
	v_cndmask_b32_e32 v10, v25, v18, vcc
	v_cndmask_b32_e32 v18, v21, v27, vcc
	v_lshlrev_b32_e32 v21, 24, v11
	v_bfrev_b32_e32 v25, 60
	v_lshlrev_b32_e32 v18, 20, v18
	v_and_b32_e32 v21, 0x80000000, v21
	v_lshl_add_u32 v10, v10, 23, v25
	v_or3_b32 v21, v21, v10, v18
.LBB555_525:
	s_or_b64 exec, exec, s[10:11]
.LBB555_526:
	s_or_b64 exec, exec, s[8:9]
.LBB555_527:
	s_or_b64 exec, exec, s[2:3]
	v_lshrrev_b16_e32 v10, 8, v11
	v_cmp_ne_u16_e32 vcc, 0, v10
	v_mov_b32_e32 v25, 0
	v_mov_b32_e32 v27, 0
	s_and_saveexec_b64 s[2:3], vcc
	s_cbranch_execz .LBB555_533
; %bb.528:
	s_movk_i32 s7, 0x80
	v_cmp_ne_u16_e32 vcc, s7, v10
	v_bfrev_b32_e32 v27, 1
	s_and_saveexec_b64 s[8:9], vcc
	s_cbranch_execz .LBB555_532
; %bb.529:
	s_movk_i32 s7, 0x7f
	v_and_b32_e32 v18, 0x7f, v10
	v_cmp_ne_u32_e32 vcc, s7, v18
	v_mov_b32_e32 v27, 0x7f800001
	s_and_saveexec_b64 s[10:11], vcc
	s_cbranch_execz .LBB555_531
; %bb.530:
	v_and_b32_e32 v27, 7, v10
	v_ffbh_u32_e32 v28, v27
	v_min_u32_e32 v31, 32, v28
	v_subrev_u32_e32 v28, 28, v31
	v_lshlrev_b64 v[28:29], v28, v[10:11]
	v_lshrrev_b32_e32 v30, 3, v18
	v_sub_u32_e32 v10, 29, v31
	v_and_b32_e32 v28, 7, v28
	v_cmp_gt_u32_e32 vcc, 8, v18
	v_cndmask_b32_e32 v10, v30, v10, vcc
	v_cndmask_b32_e32 v18, v27, v28, vcc
	v_lshlrev_b32_e32 v27, 16, v11
	v_bfrev_b32_e32 v28, 60
	v_lshlrev_b32_e32 v18, 20, v18
	v_and_b32_e32 v27, 0x80000000, v27
	v_lshl_add_u32 v10, v10, 23, v28
	v_or3_b32 v27, v27, v10, v18
.LBB555_531:
	s_or_b64 exec, exec, s[10:11]
.LBB555_532:
	s_or_b64 exec, exec, s[8:9]
.LBB555_533:
	s_or_b64 exec, exec, s[2:3]
	s_movk_i32 s2, 0xff
	v_and_b32_sdwa v18, v11, s2 dst_sel:DWORD dst_unused:UNUSED_PAD src0_sel:WORD_1 src1_sel:DWORD
	v_lshrrev_b32_e32 v10, 16, v11
	v_cmp_ne_u16_e32 vcc, 0, v18
	s_and_saveexec_b64 s[2:3], vcc
	s_cbranch_execz .LBB555_539
; %bb.534:
	s_movk_i32 s7, 0x80
	v_cmp_ne_u16_e32 vcc, s7, v18
	v_bfrev_b32_e32 v25, 1
	s_and_saveexec_b64 s[8:9], vcc
	s_cbranch_execz .LBB555_538
; %bb.535:
	v_bfe_u32 v18, v11, 16, 7
	s_movk_i32 s7, 0x7f
	v_cmp_ne_u32_e32 vcc, s7, v18
	v_mov_b32_e32 v25, 0x7f800001
	s_and_saveexec_b64 s[10:11], vcc
	s_cbranch_execz .LBB555_537
; %bb.536:
	v_and_b32_e32 v25, 7, v10
	v_ffbh_u32_e32 v28, v25
	v_min_u32_e32 v31, 32, v28
	v_subrev_u32_e32 v28, 28, v31
	v_lshlrev_b64 v[28:29], v28, v[10:11]
	v_and_b32_e32 v28, 7, v28
	v_cmp_gt_u32_e32 vcc, 8, v18
	v_lshrrev_b32_e32 v30, 3, v18
	v_sub_u32_e32 v10, 29, v31
	v_cndmask_b32_e32 v18, v25, v28, vcc
	v_mov_b32_e32 v25, 24
	v_cndmask_b32_e32 v10, v30, v10, vcc
	v_lshlrev_b32_sdwa v25, v25, v11 dst_sel:DWORD dst_unused:UNUSED_PAD src0_sel:DWORD src1_sel:WORD_1
	v_bfrev_b32_e32 v28, 60
	v_lshlrev_b32_e32 v18, 20, v18
	v_and_b32_e32 v25, 0x80000000, v25
	v_lshl_add_u32 v10, v10, 23, v28
	v_or3_b32 v25, v25, v10, v18
.LBB555_537:
	s_or_b64 exec, exec, s[10:11]
.LBB555_538:
	s_or_b64 exec, exec, s[8:9]
.LBB555_539:
	s_or_b64 exec, exec, s[2:3]
	s_mov_b32 s2, 0xffffff
	v_cmp_lt_u32_e32 vcc, s2, v11
	v_mov_b32_e32 v18, 0
	v_mov_b32_e32 v28, 0
	s_and_saveexec_b64 s[2:3], vcc
	s_cbranch_execz .LBB555_545
; %bb.540:
	v_lshrrev_b32_e32 v10, 24, v11
	s_movk_i32 s7, 0x80
	v_cmp_ne_u32_e32 vcc, s7, v10
	v_bfrev_b32_e32 v28, 1
	s_and_saveexec_b64 s[8:9], vcc
	s_cbranch_execz .LBB555_544
; %bb.541:
	v_bfe_u32 v11, v11, 24, 7
	s_movk_i32 s7, 0x7f
	v_cmp_ne_u32_e32 vcc, s7, v11
	v_mov_b32_e32 v28, 0x7f800001
	s_and_saveexec_b64 s[10:11], vcc
	s_cbranch_execz .LBB555_543
; %bb.542:
	v_and_b32_e32 v30, 7, v10
	v_ffbh_u32_e32 v28, v30
	v_min_u32_e32 v32, 32, v28
	v_subrev_u32_e32 v28, 28, v32
	v_lshlrev_b64 v[28:29], v28, v[10:11]
	v_lshrrev_b32_e32 v31, 3, v11
	v_sub_u32_e32 v29, 29, v32
	v_and_b32_e32 v28, 7, v28
	v_cmp_gt_u32_e32 vcc, 8, v11
	v_cndmask_b32_e32 v11, v31, v29, vcc
	v_cndmask_b32_e32 v28, v30, v28, vcc
	v_lshlrev_b32_e32 v10, 24, v10
	v_bfrev_b32_e32 v29, 60
	v_lshlrev_b32_e32 v28, 20, v28
	v_and_b32_e32 v10, 0x80000000, v10
	v_lshl_add_u32 v11, v11, 23, v29
	v_or3_b32 v28, v10, v11, v28
.LBB555_543:
	s_or_b64 exec, exec, s[10:11]
.LBB555_544:
	s_or_b64 exec, exec, s[8:9]
.LBB555_545:
	s_or_b64 exec, exec, s[2:3]
	v_cvt_pkrtz_f16_f32 v10, v24, v20
	v_cvt_pkrtz_f16_f32 v11, v19, v23
	ds_read_b128 v[30:33], v22 offset:2048
	v_cmp_ne_u16_sdwa s[8:9], v12, v18 src0_sel:BYTE_0 src1_sel:DWORD
	s_waitcnt lgkmcnt(0)
	v_mfma_f32_16x16x16f16 v[14:17], v[10:11], v[30:31], v[14:17]
	v_cvt_pkrtz_f16_f32 v10, v21, v27
	v_cvt_pkrtz_f16_f32 v11, v25, v28
	s_nop 1
	v_mfma_f32_16x16x16f16 v[14:17], v[10:11], v[32:33], v[14:17]
	s_and_saveexec_b64 s[2:3], s[8:9]
	s_cbranch_execz .LBB555_551
; %bb.546:
	s_movk_i32 s7, 0x80
	v_cmp_ne_u16_sdwa s[10:11], v12, s7 src0_sel:BYTE_0 src1_sel:DWORD
	v_bfrev_b32_e32 v18, 1
	s_and_saveexec_b64 s[8:9], s[10:11]
	s_cbranch_execz .LBB555_550
; %bb.547:
	s_movk_i32 s7, 0x7f
	v_and_b32_e32 v10, 0x7f, v12
	v_cmp_ne_u32_e32 vcc, s7, v10
	v_mov_b32_e32 v18, 0x7f800001
	s_and_saveexec_b64 s[10:11], vcc
	s_cbranch_execz .LBB555_549
; %bb.548:
	v_and_b32_e32 v11, 7, v12
	v_ffbh_u32_e32 v18, v11
	v_min_u32_e32 v21, 32, v18
	v_subrev_u32_e32 v18, 28, v21
	v_lshlrev_b64 v[18:19], v18, v[12:13]
	v_lshrrev_b32_e32 v20, 3, v10
	v_sub_u32_e32 v19, 29, v21
	v_and_b32_e32 v18, 7, v18
	v_cmp_gt_u32_e32 vcc, 8, v10
	v_cndmask_b32_e32 v10, v20, v19, vcc
	v_cndmask_b32_e32 v11, v11, v18, vcc
	v_lshlrev_b32_e32 v18, 24, v12
	v_bfrev_b32_e32 v19, 60
	v_lshlrev_b32_e32 v11, 20, v11
	v_and_b32_e32 v18, 0x80000000, v18
	v_lshl_add_u32 v10, v10, 23, v19
	v_or3_b32 v18, v18, v10, v11
.LBB555_549:
	s_or_b64 exec, exec, s[10:11]
.LBB555_550:
	s_or_b64 exec, exec, s[8:9]
.LBB555_551:
	s_or_b64 exec, exec, s[2:3]
	v_lshrrev_b16_e32 v10, 8, v12
	v_cmp_ne_u16_e32 vcc, 0, v10
	v_mov_b32_e32 v11, 0
	v_mov_b32_e32 v20, 0
	s_and_saveexec_b64 s[2:3], vcc
	s_cbranch_execz .LBB555_557
; %bb.552:
	s_movk_i32 s7, 0x80
	v_cmp_ne_u16_e32 vcc, s7, v10
	v_bfrev_b32_e32 v20, 1
	s_and_saveexec_b64 s[8:9], vcc
	s_cbranch_execz .LBB555_556
; %bb.553:
	s_movk_i32 s7, 0x7f
	v_and_b32_e32 v19, 0x7f, v10
	v_cmp_ne_u32_e32 vcc, s7, v19
	v_mov_b32_e32 v20, 0x7f800001
	s_and_saveexec_b64 s[10:11], vcc
	s_cbranch_execz .LBB555_555
; %bb.554:
	v_and_b32_e32 v23, 7, v10
	v_ffbh_u32_e32 v20, v23
	v_min_u32_e32 v25, 32, v20
	v_subrev_u32_e32 v20, 28, v25
	v_lshlrev_b64 v[20:21], v20, v[10:11]
	v_lshrrev_b32_e32 v24, 3, v19
	v_sub_u32_e32 v10, 29, v25
	v_and_b32_e32 v20, 7, v20
	v_cmp_gt_u32_e32 vcc, 8, v19
	v_cndmask_b32_e32 v10, v24, v10, vcc
	v_cndmask_b32_e32 v19, v23, v20, vcc
	v_lshlrev_b32_e32 v20, 16, v12
	v_bfrev_b32_e32 v21, 60
	v_lshlrev_b32_e32 v19, 20, v19
	v_and_b32_e32 v20, 0x80000000, v20
	v_lshl_add_u32 v10, v10, 23, v21
	v_or3_b32 v20, v20, v10, v19
.LBB555_555:
	s_or_b64 exec, exec, s[10:11]
.LBB555_556:
	s_or_b64 exec, exec, s[8:9]
.LBB555_557:
	s_or_b64 exec, exec, s[2:3]
	s_movk_i32 s2, 0xff
	v_and_b32_sdwa v19, v12, s2 dst_sel:DWORD dst_unused:UNUSED_PAD src0_sel:WORD_1 src1_sel:DWORD
	v_lshrrev_b32_e32 v10, 16, v12
	v_cmp_ne_u16_e32 vcc, 0, v19
	s_and_saveexec_b64 s[2:3], vcc
	s_cbranch_execz .LBB555_563
; %bb.558:
	s_movk_i32 s7, 0x80
	v_cmp_ne_u16_e32 vcc, s7, v19
	v_bfrev_b32_e32 v11, 1
	s_and_saveexec_b64 s[8:9], vcc
	s_cbranch_execz .LBB555_562
; %bb.559:
	v_bfe_u32 v19, v12, 16, 7
	s_movk_i32 s7, 0x7f
	v_cmp_ne_u32_e32 vcc, s7, v19
	v_mov_b32_e32 v11, 0x7f800001
	s_and_saveexec_b64 s[10:11], vcc
	s_cbranch_execz .LBB555_561
; %bb.560:
	v_and_b32_e32 v21, 7, v10
	v_ffbh_u32_e32 v11, v21
	v_min_u32_e32 v24, 32, v11
	v_subrev_u32_e32 v11, 28, v24
	v_lshlrev_b64 v[10:11], v11, v[10:11]
	v_lshrrev_b32_e32 v23, 3, v19
	v_sub_u32_e32 v11, 29, v24
	v_and_b32_e32 v10, 7, v10
	v_cmp_gt_u32_e32 vcc, 8, v19
	v_mov_b32_e32 v19, 24
	v_cndmask_b32_e32 v11, v23, v11, vcc
	v_cndmask_b32_e32 v10, v21, v10, vcc
	v_lshlrev_b32_sdwa v19, v19, v12 dst_sel:DWORD dst_unused:UNUSED_PAD src0_sel:DWORD src1_sel:WORD_1
	v_bfrev_b32_e32 v21, 60
	v_lshlrev_b32_e32 v10, 20, v10
	v_and_b32_e32 v19, 0x80000000, v19
	v_lshl_add_u32 v11, v11, 23, v21
	v_or3_b32 v11, v19, v11, v10
.LBB555_561:
	s_or_b64 exec, exec, s[10:11]
.LBB555_562:
	s_or_b64 exec, exec, s[8:9]
.LBB555_563:
	s_or_b64 exec, exec, s[2:3]
	s_mov_b32 s2, 0xffffff
	v_cmp_lt_u32_e32 vcc, s2, v12
	v_mov_b32_e32 v21, 0
	v_mov_b32_e32 v23, 0
	s_and_saveexec_b64 s[2:3], vcc
	s_cbranch_execz .LBB555_569
; %bb.564:
	v_lshrrev_b32_e32 v10, 24, v12
	s_movk_i32 s7, 0x80
	v_cmp_ne_u32_e32 vcc, s7, v10
	v_bfrev_b32_e32 v23, 1
	s_and_saveexec_b64 s[8:9], vcc
	s_cbranch_execz .LBB555_568
; %bb.565:
	v_bfe_u32 v12, v12, 24, 7
	s_movk_i32 s7, 0x7f
	v_cmp_ne_u32_e32 vcc, s7, v12
	v_mov_b32_e32 v23, 0x7f800001
	s_and_saveexec_b64 s[10:11], vcc
	s_cbranch_execz .LBB555_567
; %bb.566:
	v_and_b32_e32 v19, 7, v10
	v_ffbh_u32_e32 v24, v19
	v_min_u32_e32 v27, 32, v24
	v_subrev_u32_e32 v24, 28, v27
	v_lshlrev_b64 v[24:25], v24, v[10:11]
	v_lshrrev_b32_e32 v23, 3, v12
	v_sub_u32_e32 v25, 29, v27
	v_and_b32_e32 v24, 7, v24
	v_cmp_gt_u32_e32 vcc, 8, v12
	v_cndmask_b32_e32 v12, v23, v25, vcc
	v_cndmask_b32_e32 v19, v19, v24, vcc
	v_lshlrev_b32_e32 v10, 24, v10
	v_bfrev_b32_e32 v23, 60
	v_lshlrev_b32_e32 v19, 20, v19
	v_and_b32_e32 v10, 0x80000000, v10
	v_lshl_add_u32 v12, v12, 23, v23
	v_or3_b32 v23, v10, v12, v19
.LBB555_567:
	s_or_b64 exec, exec, s[10:11]
.LBB555_568:
	s_or_b64 exec, exec, s[8:9]
.LBB555_569:
	s_or_b64 exec, exec, s[2:3]
	v_cmp_ne_u16_sdwa s[8:9], v13, v21 src0_sel:BYTE_0 src1_sel:DWORD
	s_and_saveexec_b64 s[2:3], s[8:9]
	s_cbranch_execz .LBB555_575
; %bb.570:
	s_movk_i32 s7, 0x80
	v_cmp_ne_u16_sdwa s[10:11], v13, s7 src0_sel:BYTE_0 src1_sel:DWORD
	v_bfrev_b32_e32 v21, 1
	s_and_saveexec_b64 s[8:9], s[10:11]
	s_cbranch_execz .LBB555_574
; %bb.571:
	s_movk_i32 s7, 0x7f
	v_and_b32_e32 v10, 0x7f, v13
	v_cmp_ne_u32_e32 vcc, s7, v10
	v_mov_b32_e32 v21, 0x7f800001
	s_and_saveexec_b64 s[10:11], vcc
	s_cbranch_execz .LBB555_573
; %bb.572:
	v_and_b32_e32 v19, 7, v13
	v_ffbh_u32_e32 v24, v19
	v_min_u32_e32 v27, 32, v24
	v_mov_b32_e32 v12, v13
	v_subrev_u32_e32 v24, 28, v27
	v_lshlrev_b64 v[24:25], v24, v[12:13]
	v_lshrrev_b32_e32 v21, 3, v10
	v_sub_u32_e32 v12, 29, v27
	v_and_b32_e32 v24, 7, v24
	v_cmp_gt_u32_e32 vcc, 8, v10
	v_cndmask_b32_e32 v10, v21, v12, vcc
	v_cndmask_b32_e32 v12, v19, v24, vcc
	v_lshlrev_b32_e32 v19, 24, v13
	v_bfrev_b32_e32 v21, 60
	v_lshlrev_b32_e32 v12, 20, v12
	v_and_b32_e32 v19, 0x80000000, v19
	v_lshl_add_u32 v10, v10, 23, v21
	v_or3_b32 v21, v19, v10, v12
.LBB555_573:
	s_or_b64 exec, exec, s[10:11]
.LBB555_574:
	s_or_b64 exec, exec, s[8:9]
.LBB555_575:
	s_or_b64 exec, exec, s[2:3]
	v_lshrrev_b16_e32 v10, 8, v13
	v_cmp_ne_u16_e32 vcc, 0, v10
	v_mov_b32_e32 v12, 0
	v_mov_b32_e32 v24, 0
	s_and_saveexec_b64 s[2:3], vcc
	s_cbranch_execz .LBB555_581
; %bb.576:
	s_movk_i32 s7, 0x80
	v_cmp_ne_u16_e32 vcc, s7, v10
	v_bfrev_b32_e32 v24, 1
	s_and_saveexec_b64 s[8:9], vcc
	s_cbranch_execz .LBB555_580
; %bb.577:
	s_movk_i32 s7, 0x7f
	v_and_b32_e32 v19, 0x7f, v10
	v_cmp_ne_u32_e32 vcc, s7, v19
	v_mov_b32_e32 v24, 0x7f800001
	s_and_saveexec_b64 s[10:11], vcc
	s_cbranch_execz .LBB555_579
; %bb.578:
	v_and_b32_e32 v27, 7, v10
	v_ffbh_u32_e32 v24, v27
	v_min_u32_e32 v29, 32, v24
	v_subrev_u32_e32 v24, 28, v29
	v_lshlrev_b64 v[24:25], v24, v[10:11]
	v_lshrrev_b32_e32 v28, 3, v19
	v_sub_u32_e32 v10, 29, v29
	v_and_b32_e32 v24, 7, v24
	v_cmp_gt_u32_e32 vcc, 8, v19
	v_cndmask_b32_e32 v10, v28, v10, vcc
	v_cndmask_b32_e32 v19, v27, v24, vcc
	v_lshlrev_b32_e32 v24, 16, v13
	v_bfrev_b32_e32 v25, 60
	v_lshlrev_b32_e32 v19, 20, v19
	v_and_b32_e32 v24, 0x80000000, v24
	v_lshl_add_u32 v10, v10, 23, v25
	v_or3_b32 v24, v24, v10, v19
.LBB555_579:
	s_or_b64 exec, exec, s[10:11]
.LBB555_580:
	s_or_b64 exec, exec, s[8:9]
.LBB555_581:
	s_or_b64 exec, exec, s[2:3]
	s_movk_i32 s2, 0xff
	v_and_b32_sdwa v19, v13, s2 dst_sel:DWORD dst_unused:UNUSED_PAD src0_sel:WORD_1 src1_sel:DWORD
	v_lshrrev_b32_e32 v10, 16, v13
	v_cmp_ne_u16_e32 vcc, 0, v19
	s_and_saveexec_b64 s[2:3], vcc
	s_cbranch_execz .LBB555_587
; %bb.582:
	s_movk_i32 s7, 0x80
	v_cmp_ne_u16_e32 vcc, s7, v19
	v_bfrev_b32_e32 v12, 1
	s_and_saveexec_b64 s[8:9], vcc
	s_cbranch_execz .LBB555_586
; %bb.583:
	v_bfe_u32 v19, v13, 16, 7
	s_movk_i32 s7, 0x7f
	v_cmp_ne_u32_e32 vcc, s7, v19
	v_mov_b32_e32 v12, 0x7f800001
	s_and_saveexec_b64 s[10:11], vcc
	s_cbranch_execz .LBB555_585
; %bb.584:
	v_and_b32_e32 v12, 7, v10
	v_ffbh_u32_e32 v27, v12
	v_min_u32_e32 v27, 32, v27
	v_subrev_u32_e32 v28, 28, v27
	v_lshlrev_b64 v[28:29], v28, v[10:11]
	v_lshrrev_b32_e32 v25, 3, v19
	v_sub_u32_e32 v10, 29, v27
	v_and_b32_e32 v27, 7, v28
	v_cmp_gt_u32_e32 vcc, 8, v19
	v_mov_b32_e32 v19, 24
	v_cndmask_b32_e32 v10, v25, v10, vcc
	v_cndmask_b32_e32 v12, v12, v27, vcc
	v_lshlrev_b32_sdwa v19, v19, v13 dst_sel:DWORD dst_unused:UNUSED_PAD src0_sel:DWORD src1_sel:WORD_1
	v_bfrev_b32_e32 v25, 60
	v_lshlrev_b32_e32 v12, 20, v12
	v_and_b32_e32 v19, 0x80000000, v19
	v_lshl_add_u32 v10, v10, 23, v25
	v_or3_b32 v12, v19, v10, v12
.LBB555_585:
	s_or_b64 exec, exec, s[10:11]
.LBB555_586:
	s_or_b64 exec, exec, s[8:9]
.LBB555_587:
	s_or_b64 exec, exec, s[2:3]
	s_mov_b32 s2, 0xffffff
	v_cmp_lt_u32_e32 vcc, s2, v13
	v_mov_b32_e32 v19, 0
	v_mov_b32_e32 v25, 0
	s_and_saveexec_b64 s[2:3], vcc
	s_cbranch_execz .LBB555_593
; %bb.588:
	v_lshrrev_b32_e32 v10, 24, v13
	s_movk_i32 s7, 0x80
	v_cmp_ne_u32_e32 vcc, s7, v10
	v_bfrev_b32_e32 v25, 1
	s_and_saveexec_b64 s[8:9], vcc
	s_cbranch_execz .LBB555_592
; %bb.589:
	v_bfe_u32 v13, v13, 24, 7
	s_movk_i32 s7, 0x7f
	v_cmp_ne_u32_e32 vcc, s7, v13
	v_mov_b32_e32 v25, 0x7f800001
	s_and_saveexec_b64 s[10:11], vcc
	s_cbranch_execz .LBB555_591
; %bb.590:
	v_and_b32_e32 v25, 7, v10
	v_ffbh_u32_e32 v28, v25
	v_min_u32_e32 v30, 32, v28
	v_subrev_u32_e32 v28, 28, v30
	v_lshlrev_b64 v[28:29], v28, v[10:11]
	v_lshrrev_b32_e32 v27, 3, v13
	v_sub_u32_e32 v29, 29, v30
	v_and_b32_e32 v28, 7, v28
	v_cmp_gt_u32_e32 vcc, 8, v13
	v_cndmask_b32_e32 v13, v27, v29, vcc
	v_cndmask_b32_e32 v25, v25, v28, vcc
	v_lshlrev_b32_e32 v10, 24, v10
	v_bfrev_b32_e32 v27, 60
	v_lshlrev_b32_e32 v25, 20, v25
	v_and_b32_e32 v10, 0x80000000, v10
	v_lshl_add_u32 v13, v13, 23, v27
	v_or3_b32 v25, v10, v13, v25
.LBB555_591:
	s_or_b64 exec, exec, s[10:11]
.LBB555_592:
	s_or_b64 exec, exec, s[8:9]
.LBB555_593:
	s_or_b64 exec, exec, s[2:3]
	v_cvt_pkrtz_f16_f32 v10, v18, v20
	v_cvt_pkrtz_f16_f32 v11, v11, v23
	ds_read_b128 v[28:31], v22 offset:2064
	s_waitcnt vmcnt(1)
	v_cmp_ne_u16_sdwa s[8:9], v6, v19 src0_sel:BYTE_0 src1_sel:DWORD
	s_waitcnt lgkmcnt(0)
	v_mfma_f32_16x16x16f16 v[14:17], v[10:11], v[28:29], v[14:17]
	v_cvt_pkrtz_f16_f32 v10, v21, v24
	v_cvt_pkrtz_f16_f32 v11, v12, v25
	s_nop 1
	v_mfma_f32_16x16x16f16 v[10:13], v[10:11], v[30:31], v[14:17]
	s_and_saveexec_b64 s[2:3], s[8:9]
	s_cbranch_execz .LBB555_599
; %bb.594:
	s_movk_i32 s7, 0x80
	v_cmp_ne_u16_sdwa s[10:11], v6, s7 src0_sel:BYTE_0 src1_sel:DWORD
	v_bfrev_b32_e32 v19, 1
	s_and_saveexec_b64 s[8:9], s[10:11]
	s_cbranch_execz .LBB555_598
; %bb.595:
	s_movk_i32 s7, 0x7f
	v_and_b32_e32 v14, 0x7f, v6
	v_cmp_ne_u32_e32 vcc, s7, v14
	v_mov_b32_e32 v19, 0x7f800001
	s_and_saveexec_b64 s[10:11], vcc
	s_cbranch_execz .LBB555_597
; %bb.596:
	v_and_b32_e32 v15, 7, v6
	v_ffbh_u32_e32 v16, v15
	v_min_u32_e32 v19, 32, v16
	v_subrev_u32_e32 v16, 28, v19
	v_lshlrev_b64 v[16:17], v16, v[6:7]
	v_lshrrev_b32_e32 v18, 3, v14
	v_sub_u32_e32 v17, 29, v19
	v_and_b32_e32 v16, 7, v16
	v_cmp_gt_u32_e32 vcc, 8, v14
	v_cndmask_b32_e32 v14, v18, v17, vcc
	v_cndmask_b32_e32 v15, v15, v16, vcc
	v_lshlrev_b32_e32 v16, 24, v6
	v_bfrev_b32_e32 v17, 60
	v_lshlrev_b32_e32 v15, 20, v15
	v_and_b32_e32 v16, 0x80000000, v16
	v_lshl_add_u32 v14, v14, 23, v17
	v_or3_b32 v19, v16, v14, v15
.LBB555_597:
	s_or_b64 exec, exec, s[10:11]
.LBB555_598:
	s_or_b64 exec, exec, s[8:9]
.LBB555_599:
	s_or_b64 exec, exec, s[2:3]
	s_nop 3
	v_lshrrev_b16_e32 v14, 8, v6
	v_cmp_ne_u16_e32 vcc, 0, v14
	v_mov_b32_e32 v15, 0
	v_mov_b32_e32 v16, 0
	s_and_saveexec_b64 s[2:3], vcc
	s_cbranch_execz .LBB555_605
; %bb.600:
	s_movk_i32 s7, 0x80
	v_cmp_ne_u16_e32 vcc, s7, v14
	v_bfrev_b32_e32 v16, 1
	s_and_saveexec_b64 s[8:9], vcc
	s_cbranch_execz .LBB555_604
; %bb.601:
	s_movk_i32 s7, 0x7f
	v_and_b32_e32 v17, 0x7f, v14
	v_cmp_ne_u32_e32 vcc, s7, v17
	v_mov_b32_e32 v16, 0x7f800001
	s_and_saveexec_b64 s[10:11], vcc
	s_cbranch_execz .LBB555_603
; %bb.602:
	v_and_b32_e32 v16, 7, v14
	v_ffbh_u32_e32 v20, v16
	v_min_u32_e32 v23, 32, v20
	v_subrev_u32_e32 v20, 28, v23
	v_lshlrev_b64 v[20:21], v20, v[14:15]
	v_lshrrev_b32_e32 v18, 3, v17
	v_sub_u32_e32 v14, 29, v23
	v_and_b32_e32 v20, 7, v20
	v_cmp_gt_u32_e32 vcc, 8, v17
	v_cndmask_b32_e32 v14, v18, v14, vcc
	v_cndmask_b32_e32 v16, v16, v20, vcc
	v_lshlrev_b32_e32 v17, 16, v6
	v_bfrev_b32_e32 v18, 60
	v_lshlrev_b32_e32 v16, 20, v16
	v_and_b32_e32 v17, 0x80000000, v17
	v_lshl_add_u32 v14, v14, 23, v18
	v_or3_b32 v16, v17, v14, v16
.LBB555_603:
	s_or_b64 exec, exec, s[10:11]
.LBB555_604:
	s_or_b64 exec, exec, s[8:9]
.LBB555_605:
	s_or_b64 exec, exec, s[2:3]
	s_movk_i32 s2, 0xff
	v_and_b32_sdwa v17, v6, s2 dst_sel:DWORD dst_unused:UNUSED_PAD src0_sel:WORD_1 src1_sel:DWORD
	v_lshrrev_b32_e32 v14, 16, v6
	v_cmp_ne_u16_e32 vcc, 0, v17
	s_and_saveexec_b64 s[2:3], vcc
	s_cbranch_execz .LBB555_611
; %bb.606:
	s_movk_i32 s7, 0x80
	v_cmp_ne_u16_e32 vcc, s7, v17
	v_bfrev_b32_e32 v15, 1
	s_and_saveexec_b64 s[8:9], vcc
	s_cbranch_execz .LBB555_610
; %bb.607:
	v_bfe_u32 v17, v6, 16, 7
	s_movk_i32 s7, 0x7f
	v_cmp_ne_u32_e32 vcc, s7, v17
	v_mov_b32_e32 v15, 0x7f800001
	s_and_saveexec_b64 s[10:11], vcc
	s_cbranch_execz .LBB555_609
; %bb.608:
	v_and_b32_e32 v18, 7, v14
	v_ffbh_u32_e32 v15, v18
	v_min_u32_e32 v21, 32, v15
	v_subrev_u32_e32 v15, 28, v21
	v_lshlrev_b64 v[14:15], v15, v[14:15]
	v_lshrrev_b32_e32 v20, 3, v17
	v_sub_u32_e32 v15, 29, v21
	v_and_b32_e32 v14, 7, v14
	v_cmp_gt_u32_e32 vcc, 8, v17
	v_mov_b32_e32 v17, 24
	v_cndmask_b32_e32 v15, v20, v15, vcc
	v_cndmask_b32_e32 v14, v18, v14, vcc
	v_lshlrev_b32_sdwa v17, v17, v6 dst_sel:DWORD dst_unused:UNUSED_PAD src0_sel:DWORD src1_sel:WORD_1
	v_bfrev_b32_e32 v18, 60
	v_lshlrev_b32_e32 v14, 20, v14
	v_and_b32_e32 v17, 0x80000000, v17
	v_lshl_add_u32 v15, v15, 23, v18
	v_or3_b32 v15, v17, v15, v14
.LBB555_609:
	s_or_b64 exec, exec, s[10:11]
.LBB555_610:
	s_or_b64 exec, exec, s[8:9]
.LBB555_611:
	s_or_b64 exec, exec, s[2:3]
	s_mov_b32 s2, 0xffffff
	v_cmp_lt_u32_e32 vcc, s2, v6
	v_mov_b32_e32 v17, 0
	v_mov_b32_e32 v18, 0
	s_and_saveexec_b64 s[2:3], vcc
	s_cbranch_execz .LBB555_617
; %bb.612:
	v_lshrrev_b32_e32 v14, 24, v6
	s_movk_i32 s7, 0x80
	v_cmp_ne_u32_e32 vcc, s7, v14
	v_bfrev_b32_e32 v18, 1
	s_and_saveexec_b64 s[8:9], vcc
	s_cbranch_execz .LBB555_616
; %bb.613:
	v_bfe_u32 v6, v6, 24, 7
	s_movk_i32 s7, 0x7f
	v_cmp_ne_u32_e32 vcc, s7, v6
	v_mov_b32_e32 v18, 0x7f800001
	s_and_saveexec_b64 s[10:11], vcc
	s_cbranch_execz .LBB555_615
; %bb.614:
	v_and_b32_e32 v18, 7, v14
	v_ffbh_u32_e32 v20, v18
	v_min_u32_e32 v24, 32, v20
	v_subrev_u32_e32 v20, 28, v24
	v_lshlrev_b64 v[20:21], v20, v[14:15]
	v_lshrrev_b32_e32 v23, 3, v6
	v_sub_u32_e32 v21, 29, v24
	v_and_b32_e32 v20, 7, v20
	v_cmp_gt_u32_e32 vcc, 8, v6
	v_cndmask_b32_e32 v6, v23, v21, vcc
	v_cndmask_b32_e32 v18, v18, v20, vcc
	v_lshlrev_b32_e32 v14, 24, v14
	v_bfrev_b32_e32 v20, 60
	v_lshlrev_b32_e32 v18, 20, v18
	v_and_b32_e32 v14, 0x80000000, v14
	v_lshl_add_u32 v6, v6, 23, v20
	v_or3_b32 v18, v14, v6, v18
.LBB555_615:
	s_or_b64 exec, exec, s[10:11]
.LBB555_616:
	s_or_b64 exec, exec, s[8:9]
.LBB555_617:
	s_or_b64 exec, exec, s[2:3]
	v_cmp_ne_u16_sdwa s[8:9], v7, v17 src0_sel:BYTE_0 src1_sel:DWORD
	s_and_saveexec_b64 s[2:3], s[8:9]
	s_cbranch_execz .LBB555_623
; %bb.618:
	s_movk_i32 s7, 0x80
	v_cmp_ne_u16_sdwa s[10:11], v7, s7 src0_sel:BYTE_0 src1_sel:DWORD
	v_bfrev_b32_e32 v17, 1
	s_and_saveexec_b64 s[8:9], s[10:11]
	s_cbranch_execz .LBB555_622
; %bb.619:
	s_movk_i32 s7, 0x7f
	v_and_b32_e32 v6, 0x7f, v7
	v_cmp_ne_u32_e32 vcc, s7, v6
	v_mov_b32_e32 v17, 0x7f800001
	s_and_saveexec_b64 s[10:11], vcc
	s_cbranch_execz .LBB555_621
; %bb.620:
	v_and_b32_e32 v17, 7, v7
	v_ffbh_u32_e32 v20, v17
	v_min_u32_e32 v24, 32, v20
	v_mov_b32_e32 v14, v7
	v_subrev_u32_e32 v20, 28, v24
	v_lshlrev_b64 v[20:21], v20, v[14:15]
	v_lshrrev_b32_e32 v23, 3, v6
	v_sub_u32_e32 v14, 29, v24
	v_and_b32_e32 v20, 7, v20
	v_cmp_gt_u32_e32 vcc, 8, v6
	v_cndmask_b32_e32 v6, v23, v14, vcc
	v_cndmask_b32_e32 v14, v17, v20, vcc
	v_lshlrev_b32_e32 v17, 24, v7
	v_bfrev_b32_e32 v20, 60
	v_lshlrev_b32_e32 v14, 20, v14
	v_and_b32_e32 v17, 0x80000000, v17
	v_lshl_add_u32 v6, v6, 23, v20
	v_or3_b32 v17, v17, v6, v14
.LBB555_621:
	s_or_b64 exec, exec, s[10:11]
.LBB555_622:
	s_or_b64 exec, exec, s[8:9]
.LBB555_623:
	s_or_b64 exec, exec, s[2:3]
	v_lshrrev_b16_e32 v6, 8, v7
	v_cmp_ne_u16_e32 vcc, 0, v6
	v_mov_b32_e32 v20, 0
	v_mov_b32_e32 v21, 0
	s_and_saveexec_b64 s[2:3], vcc
	s_cbranch_execz .LBB555_629
; %bb.624:
	s_movk_i32 s7, 0x80
	v_cmp_ne_u16_e32 vcc, s7, v6
	v_bfrev_b32_e32 v21, 1
	s_and_saveexec_b64 s[8:9], vcc
	s_cbranch_execz .LBB555_628
; %bb.625:
	s_movk_i32 s7, 0x7f
	v_and_b32_e32 v14, 0x7f, v6
	v_cmp_ne_u32_e32 vcc, s7, v14
	v_mov_b32_e32 v21, 0x7f800001
	s_and_saveexec_b64 s[10:11], vcc
	s_cbranch_execz .LBB555_627
; %bb.626:
	v_and_b32_e32 v21, 7, v6
	v_ffbh_u32_e32 v24, v21
	v_min_u32_e32 v27, 32, v24
	v_subrev_u32_e32 v24, 28, v27
	v_lshlrev_b64 v[24:25], v24, v[6:7]
	v_lshrrev_b32_e32 v23, 3, v14
	v_sub_u32_e32 v6, 29, v27
	v_and_b32_e32 v24, 7, v24
	v_cmp_gt_u32_e32 vcc, 8, v14
	v_cndmask_b32_e32 v6, v23, v6, vcc
	v_cndmask_b32_e32 v14, v21, v24, vcc
	v_lshlrev_b32_e32 v21, 16, v7
	v_bfrev_b32_e32 v23, 60
	v_lshlrev_b32_e32 v14, 20, v14
	v_and_b32_e32 v21, 0x80000000, v21
	v_lshl_add_u32 v6, v6, 23, v23
	v_or3_b32 v21, v21, v6, v14
.LBB555_627:
	s_or_b64 exec, exec, s[10:11]
.LBB555_628:
	s_or_b64 exec, exec, s[8:9]
.LBB555_629:
	s_or_b64 exec, exec, s[2:3]
	s_movk_i32 s2, 0xff
	v_and_b32_sdwa v14, v7, s2 dst_sel:DWORD dst_unused:UNUSED_PAD src0_sel:WORD_1 src1_sel:DWORD
	v_lshrrev_b32_e32 v6, 16, v7
	v_cmp_ne_u16_e32 vcc, 0, v14
	s_and_saveexec_b64 s[2:3], vcc
	s_cbranch_execz .LBB555_635
; %bb.630:
	s_movk_i32 s7, 0x80
	v_cmp_ne_u16_e32 vcc, s7, v14
	v_bfrev_b32_e32 v20, 1
	s_and_saveexec_b64 s[8:9], vcc
	s_cbranch_execz .LBB555_634
; %bb.631:
	v_bfe_u32 v14, v7, 16, 7
	s_movk_i32 s7, 0x7f
	v_cmp_ne_u32_e32 vcc, s7, v14
	v_mov_b32_e32 v20, 0x7f800001
	s_and_saveexec_b64 s[10:11], vcc
	s_cbranch_execz .LBB555_633
; %bb.632:
	v_and_b32_e32 v20, 7, v6
	v_ffbh_u32_e32 v24, v20
	v_min_u32_e32 v27, 32, v24
	v_subrev_u32_e32 v24, 28, v27
	v_lshlrev_b64 v[24:25], v24, v[6:7]
	v_and_b32_e32 v24, 7, v24
	v_cmp_gt_u32_e32 vcc, 8, v14
	v_lshrrev_b32_e32 v23, 3, v14
	v_sub_u32_e32 v6, 29, v27
	v_cndmask_b32_e32 v14, v20, v24, vcc
	v_mov_b32_e32 v20, 24
	v_cndmask_b32_e32 v6, v23, v6, vcc
	v_lshlrev_b32_sdwa v20, v20, v7 dst_sel:DWORD dst_unused:UNUSED_PAD src0_sel:DWORD src1_sel:WORD_1
	v_bfrev_b32_e32 v23, 60
	v_lshlrev_b32_e32 v14, 20, v14
	v_and_b32_e32 v20, 0x80000000, v20
	v_lshl_add_u32 v6, v6, 23, v23
	v_or3_b32 v20, v20, v6, v14
.LBB555_633:
	s_or_b64 exec, exec, s[10:11]
.LBB555_634:
	s_or_b64 exec, exec, s[8:9]
.LBB555_635:
	s_or_b64 exec, exec, s[2:3]
	s_mov_b32 s2, 0xffffff
	v_cmp_lt_u32_e32 vcc, s2, v7
	v_mov_b32_e32 v14, 0
	v_mov_b32_e32 v23, 0
	s_and_saveexec_b64 s[2:3], vcc
	s_cbranch_execz .LBB555_641
; %bb.636:
	v_lshrrev_b32_e32 v6, 24, v7
	s_movk_i32 s7, 0x80
	v_cmp_ne_u32_e32 vcc, s7, v6
	v_bfrev_b32_e32 v23, 1
	s_and_saveexec_b64 s[8:9], vcc
	s_cbranch_execz .LBB555_640
; %bb.637:
	v_bfe_u32 v7, v7, 24, 7
	s_movk_i32 s7, 0x7f
	v_cmp_ne_u32_e32 vcc, s7, v7
	v_mov_b32_e32 v23, 0x7f800001
	s_and_saveexec_b64 s[10:11], vcc
	s_cbranch_execz .LBB555_639
; %bb.638:
	v_and_b32_e32 v23, 7, v6
	v_ffbh_u32_e32 v24, v23
	v_min_u32_e32 v28, 32, v24
	v_subrev_u32_e32 v24, 28, v28
	v_lshlrev_b64 v[24:25], v24, v[6:7]
	v_lshrrev_b32_e32 v27, 3, v7
	v_sub_u32_e32 v25, 29, v28
	v_and_b32_e32 v24, 7, v24
	v_cmp_gt_u32_e32 vcc, 8, v7
	v_cndmask_b32_e32 v7, v27, v25, vcc
	v_cndmask_b32_e32 v23, v23, v24, vcc
	v_lshlrev_b32_e32 v6, 24, v6
	v_bfrev_b32_e32 v24, 60
	v_lshlrev_b32_e32 v23, 20, v23
	v_and_b32_e32 v6, 0x80000000, v6
	v_lshl_add_u32 v7, v7, 23, v24
	v_or3_b32 v23, v6, v7, v23
.LBB555_639:
	s_or_b64 exec, exec, s[10:11]
.LBB555_640:
	s_or_b64 exec, exec, s[8:9]
.LBB555_641:
	s_or_b64 exec, exec, s[2:3]
	v_cvt_pkrtz_f16_f32 v6, v19, v16
	v_cvt_pkrtz_f16_f32 v7, v15, v18
	ds_read_b128 v[28:31], v22 offset:4096
	v_cmp_ne_u16_sdwa s[8:9], v8, v14 src0_sel:BYTE_0 src1_sel:DWORD
	s_waitcnt lgkmcnt(0)
	v_mfma_f32_16x16x16f16 v[10:13], v[6:7], v[28:29], v[10:13]
	v_cvt_pkrtz_f16_f32 v6, v17, v21
	v_cvt_pkrtz_f16_f32 v7, v20, v23
	s_nop 1
	v_mfma_f32_16x16x16f16 v[10:13], v[6:7], v[30:31], v[10:13]
	s_and_saveexec_b64 s[2:3], s[8:9]
	s_cbranch_execz .LBB555_647
; %bb.642:
	s_movk_i32 s7, 0x80
	v_cmp_ne_u16_sdwa s[10:11], v8, s7 src0_sel:BYTE_0 src1_sel:DWORD
	v_bfrev_b32_e32 v14, 1
	s_and_saveexec_b64 s[8:9], s[10:11]
	s_cbranch_execz .LBB555_646
; %bb.643:
	s_movk_i32 s7, 0x7f
	v_and_b32_e32 v6, 0x7f, v8
	v_cmp_ne_u32_e32 vcc, s7, v6
	v_mov_b32_e32 v14, 0x7f800001
	s_and_saveexec_b64 s[10:11], vcc
	s_cbranch_execz .LBB555_645
; %bb.644:
	v_and_b32_e32 v7, 7, v8
	v_ffbh_u32_e32 v14, v7
	v_min_u32_e32 v17, 32, v14
	v_subrev_u32_e32 v14, 28, v17
	v_lshlrev_b64 v[14:15], v14, v[8:9]
	v_lshrrev_b32_e32 v16, 3, v6
	v_sub_u32_e32 v15, 29, v17
	v_and_b32_e32 v14, 7, v14
	v_cmp_gt_u32_e32 vcc, 8, v6
	v_cndmask_b32_e32 v6, v16, v15, vcc
	v_cndmask_b32_e32 v7, v7, v14, vcc
	v_lshlrev_b32_e32 v14, 24, v8
	v_bfrev_b32_e32 v15, 60
	v_lshlrev_b32_e32 v7, 20, v7
	v_and_b32_e32 v14, 0x80000000, v14
	v_lshl_add_u32 v6, v6, 23, v15
	v_or3_b32 v14, v14, v6, v7
.LBB555_645:
	s_or_b64 exec, exec, s[10:11]
.LBB555_646:
	s_or_b64 exec, exec, s[8:9]
.LBB555_647:
	s_or_b64 exec, exec, s[2:3]
	v_lshrrev_b16_e32 v6, 8, v8
	v_cmp_ne_u16_e32 vcc, 0, v6
	v_mov_b32_e32 v7, 0
	v_mov_b32_e32 v16, 0
	s_and_saveexec_b64 s[2:3], vcc
	s_cbranch_execz .LBB555_653
; %bb.648:
	s_movk_i32 s7, 0x80
	v_cmp_ne_u16_e32 vcc, s7, v6
	v_bfrev_b32_e32 v16, 1
	s_and_saveexec_b64 s[8:9], vcc
	s_cbranch_execz .LBB555_652
; %bb.649:
	s_movk_i32 s7, 0x7f
	v_and_b32_e32 v15, 0x7f, v6
	v_cmp_ne_u32_e32 vcc, s7, v15
	v_mov_b32_e32 v16, 0x7f800001
	s_and_saveexec_b64 s[10:11], vcc
	s_cbranch_execz .LBB555_651
; %bb.650:
	v_and_b32_e32 v18, 7, v6
	v_ffbh_u32_e32 v16, v18
	v_min_u32_e32 v20, 32, v16
	v_subrev_u32_e32 v16, 28, v20
	v_lshlrev_b64 v[16:17], v16, v[6:7]
	v_lshrrev_b32_e32 v19, 3, v15
	v_sub_u32_e32 v6, 29, v20
	v_and_b32_e32 v16, 7, v16
	v_cmp_gt_u32_e32 vcc, 8, v15
	v_cndmask_b32_e32 v6, v19, v6, vcc
	v_cndmask_b32_e32 v15, v18, v16, vcc
	v_lshlrev_b32_e32 v16, 16, v8
	v_bfrev_b32_e32 v17, 60
	v_lshlrev_b32_e32 v15, 20, v15
	v_and_b32_e32 v16, 0x80000000, v16
	v_lshl_add_u32 v6, v6, 23, v17
	v_or3_b32 v16, v16, v6, v15
.LBB555_651:
	s_or_b64 exec, exec, s[10:11]
.LBB555_652:
	s_or_b64 exec, exec, s[8:9]
.LBB555_653:
	s_or_b64 exec, exec, s[2:3]
	s_movk_i32 s2, 0xff
	v_and_b32_sdwa v15, v8, s2 dst_sel:DWORD dst_unused:UNUSED_PAD src0_sel:WORD_1 src1_sel:DWORD
	v_lshrrev_b32_e32 v6, 16, v8
	v_cmp_ne_u16_e32 vcc, 0, v15
	s_and_saveexec_b64 s[2:3], vcc
	s_cbranch_execz .LBB555_659
; %bb.654:
	s_movk_i32 s7, 0x80
	v_cmp_ne_u16_e32 vcc, s7, v15
	v_bfrev_b32_e32 v7, 1
	s_and_saveexec_b64 s[8:9], vcc
	s_cbranch_execz .LBB555_658
; %bb.655:
	v_bfe_u32 v15, v8, 16, 7
	s_movk_i32 s7, 0x7f
	v_cmp_ne_u32_e32 vcc, s7, v15
	v_mov_b32_e32 v7, 0x7f800001
	s_and_saveexec_b64 s[10:11], vcc
	s_cbranch_execz .LBB555_657
; %bb.656:
	v_and_b32_e32 v17, 7, v6
	v_ffbh_u32_e32 v7, v17
	v_min_u32_e32 v19, 32, v7
	v_subrev_u32_e32 v7, 28, v19
	v_lshlrev_b64 v[6:7], v7, v[6:7]
	v_lshrrev_b32_e32 v18, 3, v15
	v_sub_u32_e32 v7, 29, v19
	v_and_b32_e32 v6, 7, v6
	v_cmp_gt_u32_e32 vcc, 8, v15
	v_mov_b32_e32 v15, 24
	v_cndmask_b32_e32 v7, v18, v7, vcc
	v_cndmask_b32_e32 v6, v17, v6, vcc
	v_lshlrev_b32_sdwa v15, v15, v8 dst_sel:DWORD dst_unused:UNUSED_PAD src0_sel:DWORD src1_sel:WORD_1
	v_bfrev_b32_e32 v17, 60
	v_lshlrev_b32_e32 v6, 20, v6
	v_and_b32_e32 v15, 0x80000000, v15
	v_lshl_add_u32 v7, v7, 23, v17
	v_or3_b32 v7, v15, v7, v6
.LBB555_657:
	s_or_b64 exec, exec, s[10:11]
.LBB555_658:
	s_or_b64 exec, exec, s[8:9]
.LBB555_659:
	s_or_b64 exec, exec, s[2:3]
	s_mov_b32 s2, 0xffffff
	v_cmp_lt_u32_e32 vcc, s2, v8
	v_mov_b32_e32 v17, 0
	v_mov_b32_e32 v18, 0
	s_and_saveexec_b64 s[2:3], vcc
	s_cbranch_execz .LBB555_665
; %bb.660:
	v_lshrrev_b32_e32 v6, 24, v8
	s_movk_i32 s7, 0x80
	v_cmp_ne_u32_e32 vcc, s7, v6
	v_bfrev_b32_e32 v18, 1
	s_and_saveexec_b64 s[8:9], vcc
	s_cbranch_execz .LBB555_664
; %bb.661:
	v_bfe_u32 v8, v8, 24, 7
	s_movk_i32 s7, 0x7f
	v_cmp_ne_u32_e32 vcc, s7, v8
	v_mov_b32_e32 v18, 0x7f800001
	s_and_saveexec_b64 s[10:11], vcc
	s_cbranch_execz .LBB555_663
; %bb.662:
	v_and_b32_e32 v15, 7, v6
	v_ffbh_u32_e32 v18, v15
	v_min_u32_e32 v21, 32, v18
	v_subrev_u32_e32 v18, 28, v21
	v_lshlrev_b64 v[18:19], v18, v[6:7]
	v_lshrrev_b32_e32 v20, 3, v8
	v_sub_u32_e32 v19, 29, v21
	v_and_b32_e32 v18, 7, v18
	v_cmp_gt_u32_e32 vcc, 8, v8
	v_cndmask_b32_e32 v8, v20, v19, vcc
	v_cndmask_b32_e32 v15, v15, v18, vcc
	v_lshlrev_b32_e32 v6, 24, v6
	v_bfrev_b32_e32 v18, 60
	v_lshlrev_b32_e32 v15, 20, v15
	v_and_b32_e32 v6, 0x80000000, v6
	v_lshl_add_u32 v8, v8, 23, v18
	v_or3_b32 v18, v6, v8, v15
.LBB555_663:
	s_or_b64 exec, exec, s[10:11]
.LBB555_664:
	s_or_b64 exec, exec, s[8:9]
.LBB555_665:
	s_or_b64 exec, exec, s[2:3]
	v_cmp_ne_u16_sdwa s[8:9], v9, v17 src0_sel:BYTE_0 src1_sel:DWORD
	s_and_saveexec_b64 s[2:3], s[8:9]
	s_cbranch_execz .LBB555_671
; %bb.666:
	s_movk_i32 s7, 0x80
	v_cmp_ne_u16_sdwa s[10:11], v9, s7 src0_sel:BYTE_0 src1_sel:DWORD
	v_bfrev_b32_e32 v17, 1
	s_and_saveexec_b64 s[8:9], s[10:11]
	s_cbranch_execz .LBB555_670
; %bb.667:
	s_movk_i32 s7, 0x7f
	v_and_b32_e32 v6, 0x7f, v9
	v_cmp_ne_u32_e32 vcc, s7, v6
	v_mov_b32_e32 v17, 0x7f800001
	s_and_saveexec_b64 s[10:11], vcc
	s_cbranch_execz .LBB555_669
; %bb.668:
	v_and_b32_e32 v15, 7, v9
	v_ffbh_u32_e32 v19, v15
	v_min_u32_e32 v19, 32, v19
	v_mov_b32_e32 v8, v9
	v_subrev_u32_e32 v20, 28, v19
	v_lshlrev_b64 v[20:21], v20, v[8:9]
	v_lshrrev_b32_e32 v17, 3, v6
	v_sub_u32_e32 v8, 29, v19
	v_and_b32_e32 v19, 7, v20
	v_cmp_gt_u32_e32 vcc, 8, v6
	v_cndmask_b32_e32 v6, v17, v8, vcc
	v_cndmask_b32_e32 v8, v15, v19, vcc
	v_lshlrev_b32_e32 v15, 24, v9
	v_bfrev_b32_e32 v17, 60
	v_lshlrev_b32_e32 v8, 20, v8
	v_and_b32_e32 v15, 0x80000000, v15
	v_lshl_add_u32 v6, v6, 23, v17
	v_or3_b32 v17, v15, v6, v8
.LBB555_669:
	s_or_b64 exec, exec, s[10:11]
.LBB555_670:
	s_or_b64 exec, exec, s[8:9]
.LBB555_671:
	s_or_b64 exec, exec, s[2:3]
	v_lshrrev_b16_e32 v6, 8, v9
	v_cmp_ne_u16_e32 vcc, 0, v6
	v_mov_b32_e32 v8, 0
	v_mov_b32_e32 v19, 0
	s_and_saveexec_b64 s[2:3], vcc
	s_cbranch_execz .LBB555_677
; %bb.672:
	s_movk_i32 s7, 0x80
	v_cmp_ne_u16_e32 vcc, s7, v6
	v_bfrev_b32_e32 v19, 1
	s_and_saveexec_b64 s[8:9], vcc
	s_cbranch_execz .LBB555_676
; %bb.673:
	s_movk_i32 s7, 0x7f
	v_and_b32_e32 v15, 0x7f, v6
	v_cmp_ne_u32_e32 vcc, s7, v15
	v_mov_b32_e32 v19, 0x7f800001
	s_and_saveexec_b64 s[10:11], vcc
	s_cbranch_execz .LBB555_675
; %bb.674:
	v_and_b32_e32 v19, 7, v6
	v_ffbh_u32_e32 v20, v19
	v_min_u32_e32 v24, 32, v20
	v_subrev_u32_e32 v20, 28, v24
	v_lshlrev_b64 v[20:21], v20, v[6:7]
	v_lshrrev_b32_e32 v23, 3, v15
	v_sub_u32_e32 v6, 29, v24
	v_and_b32_e32 v20, 7, v20
	v_cmp_gt_u32_e32 vcc, 8, v15
	v_cndmask_b32_e32 v6, v23, v6, vcc
	v_cndmask_b32_e32 v15, v19, v20, vcc
	v_lshlrev_b32_e32 v19, 16, v9
	v_bfrev_b32_e32 v20, 60
	v_lshlrev_b32_e32 v15, 20, v15
	v_and_b32_e32 v19, 0x80000000, v19
	v_lshl_add_u32 v6, v6, 23, v20
	v_or3_b32 v19, v19, v6, v15
.LBB555_675:
	s_or_b64 exec, exec, s[10:11]
.LBB555_676:
	s_or_b64 exec, exec, s[8:9]
.LBB555_677:
	s_or_b64 exec, exec, s[2:3]
	s_movk_i32 s2, 0xff
	v_and_b32_sdwa v15, v9, s2 dst_sel:DWORD dst_unused:UNUSED_PAD src0_sel:WORD_1 src1_sel:DWORD
	v_lshrrev_b32_e32 v6, 16, v9
	v_cmp_ne_u16_e32 vcc, 0, v15
	s_and_saveexec_b64 s[2:3], vcc
	s_cbranch_execz .LBB555_683
; %bb.678:
	s_movk_i32 s7, 0x80
	v_cmp_ne_u16_e32 vcc, s7, v15
	v_bfrev_b32_e32 v8, 1
	s_and_saveexec_b64 s[8:9], vcc
	s_cbranch_execz .LBB555_682
; %bb.679:
	v_bfe_u32 v15, v9, 16, 7
	s_movk_i32 s7, 0x7f
	v_cmp_ne_u32_e32 vcc, s7, v15
	v_mov_b32_e32 v8, 0x7f800001
	s_and_saveexec_b64 s[10:11], vcc
	s_cbranch_execz .LBB555_681
; %bb.680:
	v_and_b32_e32 v8, 7, v6
	v_ffbh_u32_e32 v20, v8
	v_min_u32_e32 v24, 32, v20
	v_subrev_u32_e32 v20, 28, v24
	v_lshlrev_b64 v[20:21], v20, v[6:7]
	v_lshrrev_b32_e32 v23, 3, v15
	v_sub_u32_e32 v6, 29, v24
	v_and_b32_e32 v20, 7, v20
	v_cmp_gt_u32_e32 vcc, 8, v15
	v_mov_b32_e32 v15, 24
	v_cndmask_b32_e32 v6, v23, v6, vcc
	v_cndmask_b32_e32 v8, v8, v20, vcc
	v_lshlrev_b32_sdwa v15, v15, v9 dst_sel:DWORD dst_unused:UNUSED_PAD src0_sel:DWORD src1_sel:WORD_1
	v_bfrev_b32_e32 v20, 60
	v_lshlrev_b32_e32 v8, 20, v8
	v_and_b32_e32 v15, 0x80000000, v15
	v_lshl_add_u32 v6, v6, 23, v20
	v_or3_b32 v8, v15, v6, v8
.LBB555_681:
	s_or_b64 exec, exec, s[10:11]
.LBB555_682:
	s_or_b64 exec, exec, s[8:9]
.LBB555_683:
	s_or_b64 exec, exec, s[2:3]
	s_mov_b32 s2, 0xffffff
	v_cmp_lt_u32_e32 vcc, s2, v9
	v_mov_b32_e32 v15, 0
	v_mov_b32_e32 v20, 0
	s_and_saveexec_b64 s[2:3], vcc
	s_cbranch_execz .LBB555_689
; %bb.684:
	v_lshrrev_b32_e32 v6, 24, v9
	s_movk_i32 s7, 0x80
	v_cmp_ne_u32_e32 vcc, s7, v6
	v_bfrev_b32_e32 v20, 1
	s_and_saveexec_b64 s[8:9], vcc
	s_cbranch_execz .LBB555_688
; %bb.685:
	v_bfe_u32 v9, v9, 24, 7
	s_movk_i32 s7, 0x7f
	v_cmp_ne_u32_e32 vcc, s7, v9
	v_mov_b32_e32 v20, 0x7f800001
	s_and_saveexec_b64 s[10:11], vcc
	s_cbranch_execz .LBB555_687
; %bb.686:
	v_and_b32_e32 v23, 7, v6
	v_ffbh_u32_e32 v20, v23
	v_min_u32_e32 v25, 32, v20
	v_subrev_u32_e32 v20, 28, v25
	v_lshlrev_b64 v[20:21], v20, v[6:7]
	v_lshrrev_b32_e32 v24, 3, v9
	v_sub_u32_e32 v21, 29, v25
	v_and_b32_e32 v20, 7, v20
	v_cmp_gt_u32_e32 vcc, 8, v9
	v_cndmask_b32_e32 v9, v24, v21, vcc
	v_cndmask_b32_e32 v20, v23, v20, vcc
	v_lshlrev_b32_e32 v6, 24, v6
	v_bfrev_b32_e32 v21, 60
	v_lshlrev_b32_e32 v20, 20, v20
	v_and_b32_e32 v6, 0x80000000, v6
	v_lshl_add_u32 v9, v9, 23, v21
	v_or3_b32 v20, v6, v9, v20
.LBB555_687:
	s_or_b64 exec, exec, s[10:11]
.LBB555_688:
	s_or_b64 exec, exec, s[8:9]
.LBB555_689:
	s_or_b64 exec, exec, s[2:3]
	v_cvt_pkrtz_f16_f32 v6, v14, v16
	v_cvt_pkrtz_f16_f32 v7, v7, v18
	ds_read_b128 v[28:31], v22 offset:4112
	s_waitcnt vmcnt(0)
	v_cmp_ne_u16_sdwa s[8:9], v2, v15 src0_sel:BYTE_0 src1_sel:DWORD
	s_waitcnt lgkmcnt(0)
	v_mfma_f32_16x16x16f16 v[10:13], v[6:7], v[28:29], v[10:13]
	v_cvt_pkrtz_f16_f32 v6, v17, v19
	v_cvt_pkrtz_f16_f32 v7, v8, v20
	s_nop 1
	v_mfma_f32_16x16x16f16 v[6:9], v[6:7], v[30:31], v[10:13]
	s_and_saveexec_b64 s[2:3], s[8:9]
	s_cbranch_execz .LBB555_695
; %bb.690:
	s_movk_i32 s7, 0x80
	v_cmp_ne_u16_sdwa s[10:11], v2, s7 src0_sel:BYTE_0 src1_sel:DWORD
	v_bfrev_b32_e32 v15, 1
	s_and_saveexec_b64 s[8:9], s[10:11]
	s_cbranch_execz .LBB555_694
; %bb.691:
	s_movk_i32 s7, 0x7f
	v_and_b32_e32 v10, 0x7f, v2
	v_cmp_ne_u32_e32 vcc, s7, v10
	v_mov_b32_e32 v15, 0x7f800001
	s_and_saveexec_b64 s[10:11], vcc
	s_cbranch_execz .LBB555_693
; %bb.692:
	v_and_b32_e32 v11, 7, v2
	v_ffbh_u32_e32 v12, v11
	v_min_u32_e32 v15, 32, v12
	v_subrev_u32_e32 v12, 28, v15
	v_lshlrev_b64 v[12:13], v12, v[2:3]
	v_lshrrev_b32_e32 v14, 3, v10
	v_sub_u32_e32 v13, 29, v15
	v_and_b32_e32 v12, 7, v12
	v_cmp_gt_u32_e32 vcc, 8, v10
	v_cndmask_b32_e32 v10, v14, v13, vcc
	v_cndmask_b32_e32 v11, v11, v12, vcc
	v_lshlrev_b32_e32 v12, 24, v2
	v_bfrev_b32_e32 v13, 60
	v_lshlrev_b32_e32 v11, 20, v11
	v_and_b32_e32 v12, 0x80000000, v12
	v_lshl_add_u32 v10, v10, 23, v13
	v_or3_b32 v15, v12, v10, v11
.LBB555_693:
	s_or_b64 exec, exec, s[10:11]
.LBB555_694:
	s_or_b64 exec, exec, s[8:9]
.LBB555_695:
	s_or_b64 exec, exec, s[2:3]
	s_nop 3
	v_lshrrev_b16_e32 v10, 8, v2
	v_cmp_ne_u16_e32 vcc, 0, v10
	v_mov_b32_e32 v11, 0
	v_mov_b32_e32 v12, 0
	s_and_saveexec_b64 s[2:3], vcc
	s_cbranch_execz .LBB555_701
; %bb.696:
	s_movk_i32 s7, 0x80
	v_cmp_ne_u16_e32 vcc, s7, v10
	v_bfrev_b32_e32 v12, 1
	s_and_saveexec_b64 s[8:9], vcc
	s_cbranch_execz .LBB555_700
; %bb.697:
	s_movk_i32 s7, 0x7f
	v_and_b32_e32 v13, 0x7f, v10
	v_cmp_ne_u32_e32 vcc, s7, v13
	v_mov_b32_e32 v12, 0x7f800001
	s_and_saveexec_b64 s[10:11], vcc
	s_cbranch_execz .LBB555_699
; %bb.698:
	v_and_b32_e32 v12, 7, v10
	v_ffbh_u32_e32 v16, v12
	v_min_u32_e32 v18, 32, v16
	v_subrev_u32_e32 v16, 28, v18
	v_lshlrev_b64 v[16:17], v16, v[10:11]
	v_lshrrev_b32_e32 v14, 3, v13
	v_sub_u32_e32 v10, 29, v18
	v_and_b32_e32 v16, 7, v16
	v_cmp_gt_u32_e32 vcc, 8, v13
	v_cndmask_b32_e32 v10, v14, v10, vcc
	v_cndmask_b32_e32 v12, v12, v16, vcc
	v_lshlrev_b32_e32 v13, 16, v2
	v_bfrev_b32_e32 v14, 60
	v_lshlrev_b32_e32 v12, 20, v12
	v_and_b32_e32 v13, 0x80000000, v13
	v_lshl_add_u32 v10, v10, 23, v14
	v_or3_b32 v12, v13, v10, v12
.LBB555_699:
	s_or_b64 exec, exec, s[10:11]
.LBB555_700:
	s_or_b64 exec, exec, s[8:9]
.LBB555_701:
	s_or_b64 exec, exec, s[2:3]
	s_movk_i32 s2, 0xff
	v_and_b32_sdwa v13, v2, s2 dst_sel:DWORD dst_unused:UNUSED_PAD src0_sel:WORD_1 src1_sel:DWORD
	v_lshrrev_b32_e32 v10, 16, v2
	v_cmp_ne_u16_e32 vcc, 0, v13
	s_and_saveexec_b64 s[2:3], vcc
	s_cbranch_execz .LBB555_707
; %bb.702:
	s_movk_i32 s7, 0x80
	v_cmp_ne_u16_e32 vcc, s7, v13
	v_bfrev_b32_e32 v11, 1
	s_and_saveexec_b64 s[8:9], vcc
	s_cbranch_execz .LBB555_706
; %bb.703:
	v_bfe_u32 v13, v2, 16, 7
	s_movk_i32 s7, 0x7f
	v_cmp_ne_u32_e32 vcc, s7, v13
	v_mov_b32_e32 v11, 0x7f800001
	s_and_saveexec_b64 s[10:11], vcc
	s_cbranch_execz .LBB555_705
; %bb.704:
	v_and_b32_e32 v14, 7, v10
	v_ffbh_u32_e32 v11, v14
	v_min_u32_e32 v17, 32, v11
	v_subrev_u32_e32 v11, 28, v17
	v_lshlrev_b64 v[10:11], v11, v[10:11]
	v_lshrrev_b32_e32 v16, 3, v13
	v_sub_u32_e32 v11, 29, v17
	v_and_b32_e32 v10, 7, v10
	v_cmp_gt_u32_e32 vcc, 8, v13
	v_mov_b32_e32 v13, 24
	v_cndmask_b32_e32 v11, v16, v11, vcc
	v_cndmask_b32_e32 v10, v14, v10, vcc
	v_lshlrev_b32_sdwa v13, v13, v2 dst_sel:DWORD dst_unused:UNUSED_PAD src0_sel:DWORD src1_sel:WORD_1
	v_bfrev_b32_e32 v14, 60
	v_lshlrev_b32_e32 v10, 20, v10
	v_and_b32_e32 v13, 0x80000000, v13
	v_lshl_add_u32 v11, v11, 23, v14
	v_or3_b32 v11, v13, v11, v10
.LBB555_705:
	s_or_b64 exec, exec, s[10:11]
.LBB555_706:
	s_or_b64 exec, exec, s[8:9]
.LBB555_707:
	s_or_b64 exec, exec, s[2:3]
	s_mov_b32 s2, 0xffffff
	v_cmp_lt_u32_e32 vcc, s2, v2
	v_mov_b32_e32 v13, 0
	v_mov_b32_e32 v14, 0
	s_and_saveexec_b64 s[2:3], vcc
	s_cbranch_execz .LBB555_713
; %bb.708:
	v_lshrrev_b32_e32 v10, 24, v2
	s_movk_i32 s7, 0x80
	v_cmp_ne_u32_e32 vcc, s7, v10
	v_bfrev_b32_e32 v14, 1
	s_and_saveexec_b64 s[8:9], vcc
	s_cbranch_execz .LBB555_712
; %bb.709:
	v_bfe_u32 v2, v2, 24, 7
	s_movk_i32 s7, 0x7f
	v_cmp_ne_u32_e32 vcc, s7, v2
	v_mov_b32_e32 v14, 0x7f800001
	s_and_saveexec_b64 s[10:11], vcc
	s_cbranch_execz .LBB555_711
; %bb.710:
	v_and_b32_e32 v14, 7, v10
	v_ffbh_u32_e32 v16, v14
	v_min_u32_e32 v19, 32, v16
	v_subrev_u32_e32 v16, 28, v19
	v_lshlrev_b64 v[16:17], v16, v[10:11]
	v_lshrrev_b32_e32 v18, 3, v2
	v_sub_u32_e32 v17, 29, v19
	v_and_b32_e32 v16, 7, v16
	v_cmp_gt_u32_e32 vcc, 8, v2
	v_cndmask_b32_e32 v2, v18, v17, vcc
	v_cndmask_b32_e32 v14, v14, v16, vcc
	v_lshlrev_b32_e32 v10, 24, v10
	v_bfrev_b32_e32 v16, 60
	v_lshlrev_b32_e32 v14, 20, v14
	v_and_b32_e32 v10, 0x80000000, v10
	v_lshl_add_u32 v2, v2, 23, v16
	v_or3_b32 v14, v10, v2, v14
.LBB555_711:
	s_or_b64 exec, exec, s[10:11]
.LBB555_712:
	s_or_b64 exec, exec, s[8:9]
.LBB555_713:
	s_or_b64 exec, exec, s[2:3]
	v_cmp_ne_u16_sdwa s[8:9], v3, v13 src0_sel:BYTE_0 src1_sel:DWORD
	s_and_saveexec_b64 s[2:3], s[8:9]
	s_cbranch_execz .LBB555_719
; %bb.714:
	s_movk_i32 s7, 0x80
	v_cmp_ne_u16_sdwa s[10:11], v3, s7 src0_sel:BYTE_0 src1_sel:DWORD
	v_bfrev_b32_e32 v13, 1
	s_and_saveexec_b64 s[8:9], s[10:11]
	s_cbranch_execz .LBB555_718
; %bb.715:
	s_movk_i32 s7, 0x7f
	v_and_b32_e32 v2, 0x7f, v3
	v_cmp_ne_u32_e32 vcc, s7, v2
	v_mov_b32_e32 v13, 0x7f800001
	s_and_saveexec_b64 s[10:11], vcc
	s_cbranch_execz .LBB555_717
; %bb.716:
	v_and_b32_e32 v13, 7, v3
	v_ffbh_u32_e32 v16, v13
	v_min_u32_e32 v19, 32, v16
	v_mov_b32_e32 v10, v3
	v_subrev_u32_e32 v16, 28, v19
	v_lshlrev_b64 v[16:17], v16, v[10:11]
	v_lshrrev_b32_e32 v18, 3, v2
	v_sub_u32_e32 v10, 29, v19
	v_and_b32_e32 v16, 7, v16
	v_cmp_gt_u32_e32 vcc, 8, v2
	v_cndmask_b32_e32 v2, v18, v10, vcc
	v_cndmask_b32_e32 v10, v13, v16, vcc
	v_lshlrev_b32_e32 v13, 24, v3
	v_bfrev_b32_e32 v16, 60
	v_lshlrev_b32_e32 v10, 20, v10
	v_and_b32_e32 v13, 0x80000000, v13
	v_lshl_add_u32 v2, v2, 23, v16
	v_or3_b32 v13, v13, v2, v10
.LBB555_717:
	s_or_b64 exec, exec, s[10:11]
.LBB555_718:
	s_or_b64 exec, exec, s[8:9]
.LBB555_719:
	s_or_b64 exec, exec, s[2:3]
	v_lshrrev_b16_e32 v2, 8, v3
	v_cmp_ne_u16_e32 vcc, 0, v2
	v_mov_b32_e32 v16, 0
	v_mov_b32_e32 v17, 0
	s_and_saveexec_b64 s[2:3], vcc
	s_cbranch_execz .LBB555_725
; %bb.720:
	s_movk_i32 s7, 0x80
	v_cmp_ne_u16_e32 vcc, s7, v2
	v_bfrev_b32_e32 v17, 1
	s_and_saveexec_b64 s[8:9], vcc
	s_cbranch_execz .LBB555_724
; %bb.721:
	s_movk_i32 s7, 0x7f
	v_and_b32_e32 v10, 0x7f, v2
	v_cmp_ne_u32_e32 vcc, s7, v10
	v_mov_b32_e32 v17, 0x7f800001
	s_and_saveexec_b64 s[10:11], vcc
	s_cbranch_execz .LBB555_723
; %bb.722:
	v_and_b32_e32 v17, 7, v2
	v_ffbh_u32_e32 v18, v17
	v_min_u32_e32 v21, 32, v18
	v_subrev_u32_e32 v18, 28, v21
	v_lshlrev_b64 v[18:19], v18, v[2:3]
	v_lshrrev_b32_e32 v20, 3, v10
	v_sub_u32_e32 v2, 29, v21
	v_and_b32_e32 v18, 7, v18
	v_cmp_gt_u32_e32 vcc, 8, v10
	v_cndmask_b32_e32 v2, v20, v2, vcc
	v_cndmask_b32_e32 v10, v17, v18, vcc
	v_lshlrev_b32_e32 v17, 16, v3
	v_bfrev_b32_e32 v18, 60
	v_lshlrev_b32_e32 v10, 20, v10
	v_and_b32_e32 v17, 0x80000000, v17
	v_lshl_add_u32 v2, v2, 23, v18
	v_or3_b32 v17, v17, v2, v10
.LBB555_723:
	s_or_b64 exec, exec, s[10:11]
.LBB555_724:
	s_or_b64 exec, exec, s[8:9]
.LBB555_725:
	s_or_b64 exec, exec, s[2:3]
	s_movk_i32 s2, 0xff
	v_and_b32_sdwa v10, v3, s2 dst_sel:DWORD dst_unused:UNUSED_PAD src0_sel:WORD_1 src1_sel:DWORD
	v_lshrrev_b32_e32 v2, 16, v3
	v_cmp_ne_u16_e32 vcc, 0, v10
	s_and_saveexec_b64 s[2:3], vcc
	s_cbranch_execz .LBB555_731
; %bb.726:
	s_movk_i32 s7, 0x80
	v_cmp_ne_u16_e32 vcc, s7, v10
	v_bfrev_b32_e32 v16, 1
	s_and_saveexec_b64 s[8:9], vcc
	s_cbranch_execz .LBB555_730
; %bb.727:
	v_bfe_u32 v10, v3, 16, 7
	s_movk_i32 s7, 0x7f
	v_cmp_ne_u32_e32 vcc, s7, v10
	v_mov_b32_e32 v16, 0x7f800001
	s_and_saveexec_b64 s[10:11], vcc
	s_cbranch_execz .LBB555_729
; %bb.728:
	v_and_b32_e32 v16, 7, v2
	v_ffbh_u32_e32 v18, v16
	v_min_u32_e32 v21, 32, v18
	v_subrev_u32_e32 v18, 28, v21
	v_lshlrev_b64 v[18:19], v18, v[2:3]
	v_and_b32_e32 v18, 7, v18
	v_cmp_gt_u32_e32 vcc, 8, v10
	v_lshrrev_b32_e32 v20, 3, v10
	v_sub_u32_e32 v2, 29, v21
	v_cndmask_b32_e32 v10, v16, v18, vcc
	v_mov_b32_e32 v16, 24
	v_cndmask_b32_e32 v2, v20, v2, vcc
	v_lshlrev_b32_sdwa v16, v16, v3 dst_sel:DWORD dst_unused:UNUSED_PAD src0_sel:DWORD src1_sel:WORD_1
	v_bfrev_b32_e32 v18, 60
	v_lshlrev_b32_e32 v10, 20, v10
	v_and_b32_e32 v16, 0x80000000, v16
	v_lshl_add_u32 v2, v2, 23, v18
	v_or3_b32 v16, v16, v2, v10
.LBB555_729:
	s_or_b64 exec, exec, s[10:11]
.LBB555_730:
	s_or_b64 exec, exec, s[8:9]
.LBB555_731:
	s_or_b64 exec, exec, s[2:3]
	s_mov_b32 s2, 0xffffff
	v_cmp_lt_u32_e32 vcc, s2, v3
	v_mov_b32_e32 v10, 0
	v_mov_b32_e32 v18, 0
	s_and_saveexec_b64 s[2:3], vcc
	s_cbranch_execz .LBB555_737
; %bb.732:
	v_lshrrev_b32_e32 v2, 24, v3
	s_movk_i32 s7, 0x80
	v_cmp_ne_u32_e32 vcc, s7, v2
	v_bfrev_b32_e32 v18, 1
	s_and_saveexec_b64 s[8:9], vcc
	s_cbranch_execz .LBB555_736
; %bb.733:
	v_bfe_u32 v3, v3, 24, 7
	s_movk_i32 s7, 0x7f
	v_cmp_ne_u32_e32 vcc, s7, v3
	v_mov_b32_e32 v18, 0x7f800001
	s_and_saveexec_b64 s[10:11], vcc
	s_cbranch_execz .LBB555_735
; %bb.734:
	v_and_b32_e32 v20, 7, v2
	v_ffbh_u32_e32 v18, v20
	v_min_u32_e32 v23, 32, v18
	v_subrev_u32_e32 v18, 28, v23
	v_lshlrev_b64 v[18:19], v18, v[2:3]
	v_lshrrev_b32_e32 v21, 3, v3
	v_sub_u32_e32 v19, 29, v23
	v_and_b32_e32 v18, 7, v18
	v_cmp_gt_u32_e32 vcc, 8, v3
	v_cndmask_b32_e32 v3, v21, v19, vcc
	v_cndmask_b32_e32 v18, v20, v18, vcc
	v_lshlrev_b32_e32 v2, 24, v2
	v_bfrev_b32_e32 v19, 60
	v_lshlrev_b32_e32 v18, 20, v18
	v_and_b32_e32 v2, 0x80000000, v2
	v_lshl_add_u32 v3, v3, 23, v19
	v_or3_b32 v18, v2, v3, v18
.LBB555_735:
	s_or_b64 exec, exec, s[10:11]
.LBB555_736:
	s_or_b64 exec, exec, s[8:9]
.LBB555_737:
	s_or_b64 exec, exec, s[2:3]
	v_cvt_pkrtz_f16_f32 v2, v15, v12
	v_cvt_pkrtz_f16_f32 v3, v11, v14
	ds_read_b128 v[28:31], v22 offset:6144
	v_cmp_ne_u16_sdwa s[8:9], v4, v10 src0_sel:BYTE_0 src1_sel:DWORD
	s_waitcnt lgkmcnt(0)
	v_mfma_f32_16x16x16f16 v[6:9], v[2:3], v[28:29], v[6:9]
	v_cvt_pkrtz_f16_f32 v2, v13, v17
	v_cvt_pkrtz_f16_f32 v3, v16, v18
	s_nop 1
	v_mfma_f32_16x16x16f16 v[6:9], v[2:3], v[30:31], v[6:9]
	s_and_saveexec_b64 s[2:3], s[8:9]
	s_cbranch_execz .LBB555_743
; %bb.738:
	s_movk_i32 s7, 0x80
	v_cmp_ne_u16_sdwa s[10:11], v4, s7 src0_sel:BYTE_0 src1_sel:DWORD
	v_bfrev_b32_e32 v10, 1
	s_and_saveexec_b64 s[8:9], s[10:11]
	s_cbranch_execz .LBB555_742
; %bb.739:
	s_movk_i32 s7, 0x7f
	v_and_b32_e32 v2, 0x7f, v4
	v_cmp_ne_u32_e32 vcc, s7, v2
	v_mov_b32_e32 v10, 0x7f800001
	s_and_saveexec_b64 s[10:11], vcc
	s_cbranch_execz .LBB555_741
; %bb.740:
	v_and_b32_e32 v3, 7, v4
	v_ffbh_u32_e32 v10, v3
	v_min_u32_e32 v13, 32, v10
	v_subrev_u32_e32 v10, 28, v13
	v_lshlrev_b64 v[10:11], v10, v[4:5]
	v_lshrrev_b32_e32 v12, 3, v2
	v_sub_u32_e32 v11, 29, v13
	v_and_b32_e32 v10, 7, v10
	v_cmp_gt_u32_e32 vcc, 8, v2
	v_cndmask_b32_e32 v2, v12, v11, vcc
	v_cndmask_b32_e32 v3, v3, v10, vcc
	v_lshlrev_b32_e32 v10, 24, v4
	v_bfrev_b32_e32 v11, 60
	v_lshlrev_b32_e32 v3, 20, v3
	v_and_b32_e32 v10, 0x80000000, v10
	v_lshl_add_u32 v2, v2, 23, v11
	v_or3_b32 v10, v10, v2, v3
.LBB555_741:
	s_or_b64 exec, exec, s[10:11]
.LBB555_742:
	s_or_b64 exec, exec, s[8:9]
.LBB555_743:
	s_or_b64 exec, exec, s[2:3]
	v_lshrrev_b16_e32 v2, 8, v4
	v_cmp_ne_u16_e32 vcc, 0, v2
	v_mov_b32_e32 v3, 0
	v_mov_b32_e32 v11, 0
	s_and_saveexec_b64 s[2:3], vcc
	s_cbranch_execz .LBB555_749
; %bb.744:
	s_movk_i32 s7, 0x80
	v_cmp_ne_u16_e32 vcc, s7, v2
	v_bfrev_b32_e32 v11, 1
	s_and_saveexec_b64 s[8:9], vcc
	s_cbranch_execz .LBB555_748
; %bb.745:
	s_movk_i32 s7, 0x7f
	v_and_b32_e32 v12, 0x7f, v2
	v_cmp_ne_u32_e32 vcc, s7, v12
	v_mov_b32_e32 v11, 0x7f800001
	s_and_saveexec_b64 s[10:11], vcc
	s_cbranch_execz .LBB555_747
; %bb.746:
	v_and_b32_e32 v11, 7, v2
	v_ffbh_u32_e32 v14, v11
	v_min_u32_e32 v16, 32, v14
	v_subrev_u32_e32 v14, 28, v16
	v_lshlrev_b64 v[14:15], v14, v[2:3]
	v_lshrrev_b32_e32 v13, 3, v12
	v_sub_u32_e32 v2, 29, v16
	v_and_b32_e32 v14, 7, v14
	v_cmp_gt_u32_e32 vcc, 8, v12
	v_cndmask_b32_e32 v2, v13, v2, vcc
	v_cndmask_b32_e32 v11, v11, v14, vcc
	v_lshlrev_b32_e32 v12, 16, v4
	v_bfrev_b32_e32 v13, 60
	v_lshlrev_b32_e32 v11, 20, v11
	v_and_b32_e32 v12, 0x80000000, v12
	v_lshl_add_u32 v2, v2, 23, v13
	v_or3_b32 v11, v12, v2, v11
.LBB555_747:
	s_or_b64 exec, exec, s[10:11]
.LBB555_748:
	s_or_b64 exec, exec, s[8:9]
.LBB555_749:
	s_or_b64 exec, exec, s[2:3]
	s_movk_i32 s2, 0xff
	v_and_b32_sdwa v12, v4, s2 dst_sel:DWORD dst_unused:UNUSED_PAD src0_sel:WORD_1 src1_sel:DWORD
	v_lshrrev_b32_e32 v2, 16, v4
	v_cmp_ne_u16_e32 vcc, 0, v12
	s_and_saveexec_b64 s[2:3], vcc
	s_cbranch_execz .LBB555_755
; %bb.750:
	s_movk_i32 s7, 0x80
	v_cmp_ne_u16_e32 vcc, s7, v12
	v_bfrev_b32_e32 v3, 1
	s_and_saveexec_b64 s[8:9], vcc
	s_cbranch_execz .LBB555_754
; %bb.751:
	v_bfe_u32 v12, v4, 16, 7
	s_movk_i32 s7, 0x7f
	v_cmp_ne_u32_e32 vcc, s7, v12
	v_mov_b32_e32 v3, 0x7f800001
	s_and_saveexec_b64 s[10:11], vcc
	s_cbranch_execz .LBB555_753
; %bb.752:
	v_and_b32_e32 v13, 7, v2
	v_ffbh_u32_e32 v3, v13
	v_min_u32_e32 v15, 32, v3
	v_subrev_u32_e32 v3, 28, v15
	v_lshlrev_b64 v[2:3], v3, v[2:3]
	v_lshrrev_b32_e32 v14, 3, v12
	v_sub_u32_e32 v3, 29, v15
	v_and_b32_e32 v2, 7, v2
	v_cmp_gt_u32_e32 vcc, 8, v12
	v_mov_b32_e32 v12, 24
	v_cndmask_b32_e32 v3, v14, v3, vcc
	v_cndmask_b32_e32 v2, v13, v2, vcc
	v_lshlrev_b32_sdwa v12, v12, v4 dst_sel:DWORD dst_unused:UNUSED_PAD src0_sel:DWORD src1_sel:WORD_1
	v_bfrev_b32_e32 v13, 60
	v_lshlrev_b32_e32 v2, 20, v2
	v_and_b32_e32 v12, 0x80000000, v12
	v_lshl_add_u32 v3, v3, 23, v13
	v_or3_b32 v3, v12, v3, v2
.LBB555_753:
	s_or_b64 exec, exec, s[10:11]
.LBB555_754:
	s_or_b64 exec, exec, s[8:9]
.LBB555_755:
	s_or_b64 exec, exec, s[2:3]
	s_mov_b32 s2, 0xffffff
	v_cmp_lt_u32_e32 vcc, s2, v4
	v_mov_b32_e32 v12, 0
	v_mov_b32_e32 v13, 0
	s_and_saveexec_b64 s[2:3], vcc
	s_cbranch_execz .LBB555_761
; %bb.756:
	v_lshrrev_b32_e32 v2, 24, v4
	s_movk_i32 s7, 0x80
	v_cmp_ne_u32_e32 vcc, s7, v2
	v_bfrev_b32_e32 v13, 1
	s_and_saveexec_b64 s[8:9], vcc
	s_cbranch_execz .LBB555_760
; %bb.757:
	v_bfe_u32 v4, v4, 24, 7
	s_movk_i32 s7, 0x7f
	v_cmp_ne_u32_e32 vcc, s7, v4
	v_mov_b32_e32 v13, 0x7f800001
	s_and_saveexec_b64 s[10:11], vcc
	s_cbranch_execz .LBB555_759
; %bb.758:
	v_and_b32_e32 v13, 7, v2
	v_ffbh_u32_e32 v14, v13
	v_min_u32_e32 v17, 32, v14
	v_subrev_u32_e32 v14, 28, v17
	v_lshlrev_b64 v[14:15], v14, v[2:3]
	v_lshrrev_b32_e32 v16, 3, v4
	v_sub_u32_e32 v15, 29, v17
	v_and_b32_e32 v14, 7, v14
	v_cmp_gt_u32_e32 vcc, 8, v4
	v_cndmask_b32_e32 v4, v16, v15, vcc
	v_cndmask_b32_e32 v13, v13, v14, vcc
	v_lshlrev_b32_e32 v2, 24, v2
	v_bfrev_b32_e32 v14, 60
	v_lshlrev_b32_e32 v13, 20, v13
	v_and_b32_e32 v2, 0x80000000, v2
	v_lshl_add_u32 v4, v4, 23, v14
	v_or3_b32 v13, v2, v4, v13
.LBB555_759:
	s_or_b64 exec, exec, s[10:11]
.LBB555_760:
	s_or_b64 exec, exec, s[8:9]
.LBB555_761:
	s_or_b64 exec, exec, s[2:3]
	v_cmp_ne_u16_sdwa s[8:9], v5, v12 src0_sel:BYTE_0 src1_sel:DWORD
	s_and_saveexec_b64 s[2:3], s[8:9]
	s_cbranch_execz .LBB555_767
; %bb.762:
	s_movk_i32 s7, 0x80
	v_cmp_ne_u16_sdwa s[10:11], v5, s7 src0_sel:BYTE_0 src1_sel:DWORD
	v_bfrev_b32_e32 v12, 1
	s_and_saveexec_b64 s[8:9], s[10:11]
	s_cbranch_execz .LBB555_766
; %bb.763:
	s_movk_i32 s7, 0x7f
	v_and_b32_e32 v2, 0x7f, v5
	v_cmp_ne_u32_e32 vcc, s7, v2
	v_mov_b32_e32 v12, 0x7f800001
	s_and_saveexec_b64 s[10:11], vcc
	s_cbranch_execz .LBB555_765
; %bb.764:
	v_and_b32_e32 v12, 7, v5
	v_ffbh_u32_e32 v14, v12
	v_min_u32_e32 v17, 32, v14
	v_mov_b32_e32 v4, v5
	v_subrev_u32_e32 v14, 28, v17
	v_lshlrev_b64 v[14:15], v14, v[4:5]
	v_lshrrev_b32_e32 v16, 3, v2
	v_sub_u32_e32 v4, 29, v17
	v_and_b32_e32 v14, 7, v14
	v_cmp_gt_u32_e32 vcc, 8, v2
	v_cndmask_b32_e32 v2, v16, v4, vcc
	v_cndmask_b32_e32 v4, v12, v14, vcc
	v_lshlrev_b32_e32 v12, 24, v5
	v_bfrev_b32_e32 v14, 60
	v_lshlrev_b32_e32 v4, 20, v4
	v_and_b32_e32 v12, 0x80000000, v12
	v_lshl_add_u32 v2, v2, 23, v14
	v_or3_b32 v12, v12, v2, v4
.LBB555_765:
	s_or_b64 exec, exec, s[10:11]
.LBB555_766:
	s_or_b64 exec, exec, s[8:9]
.LBB555_767:
	s_or_b64 exec, exec, s[2:3]
	v_lshrrev_b16_e32 v2, 8, v5
	v_cmp_ne_u16_e32 vcc, 0, v2
	v_mov_b32_e32 v4, 0
	v_mov_b32_e32 v14, 0
	s_and_saveexec_b64 s[2:3], vcc
	s_cbranch_execz .LBB555_773
; %bb.768:
	s_movk_i32 s7, 0x80
	v_cmp_ne_u16_e32 vcc, s7, v2
	v_bfrev_b32_e32 v14, 1
	s_and_saveexec_b64 s[8:9], vcc
	s_cbranch_execz .LBB555_772
; %bb.769:
	s_movk_i32 s7, 0x7f
	v_and_b32_e32 v15, 0x7f, v2
	v_cmp_ne_u32_e32 vcc, s7, v15
	v_mov_b32_e32 v14, 0x7f800001
	s_and_saveexec_b64 s[10:11], vcc
	s_cbranch_execz .LBB555_771
; %bb.770:
	v_and_b32_e32 v14, 7, v2
	v_ffbh_u32_e32 v16, v14
	v_min_u32_e32 v19, 32, v16
	v_subrev_u32_e32 v16, 28, v19
	v_lshlrev_b64 v[16:17], v16, v[2:3]
	v_lshrrev_b32_e32 v18, 3, v15
	v_sub_u32_e32 v2, 29, v19
	v_and_b32_e32 v16, 7, v16
	v_cmp_gt_u32_e32 vcc, 8, v15
	v_cndmask_b32_e32 v2, v18, v2, vcc
	v_cndmask_b32_e32 v14, v14, v16, vcc
	v_lshlrev_b32_e32 v15, 16, v5
	v_bfrev_b32_e32 v16, 60
	v_lshlrev_b32_e32 v14, 20, v14
	v_and_b32_e32 v15, 0x80000000, v15
	v_lshl_add_u32 v2, v2, 23, v16
	v_or3_b32 v14, v15, v2, v14
.LBB555_771:
	s_or_b64 exec, exec, s[10:11]
.LBB555_772:
	s_or_b64 exec, exec, s[8:9]
.LBB555_773:
	s_or_b64 exec, exec, s[2:3]
	s_movk_i32 s2, 0xff
	v_and_b32_sdwa v15, v5, s2 dst_sel:DWORD dst_unused:UNUSED_PAD src0_sel:WORD_1 src1_sel:DWORD
	v_lshrrev_b32_e32 v2, 16, v5
	v_cmp_ne_u16_e32 vcc, 0, v15
	s_and_saveexec_b64 s[2:3], vcc
	s_cbranch_execz .LBB555_779
; %bb.774:
	s_movk_i32 s7, 0x80
	v_cmp_ne_u16_e32 vcc, s7, v15
	v_bfrev_b32_e32 v4, 1
	s_and_saveexec_b64 s[8:9], vcc
	s_cbranch_execz .LBB555_778
; %bb.775:
	v_bfe_u32 v15, v5, 16, 7
	s_movk_i32 s7, 0x7f
	v_cmp_ne_u32_e32 vcc, s7, v15
	v_mov_b32_e32 v4, 0x7f800001
	s_and_saveexec_b64 s[10:11], vcc
	s_cbranch_execz .LBB555_777
; %bb.776:
	v_and_b32_e32 v4, 7, v2
	v_ffbh_u32_e32 v16, v4
	v_min_u32_e32 v19, 32, v16
	v_subrev_u32_e32 v16, 28, v19
	v_lshlrev_b64 v[16:17], v16, v[2:3]
	v_lshrrev_b32_e32 v18, 3, v15
	v_sub_u32_e32 v2, 29, v19
	v_and_b32_e32 v16, 7, v16
	v_cmp_gt_u32_e32 vcc, 8, v15
	v_mov_b32_e32 v15, 24
	v_cndmask_b32_e32 v2, v18, v2, vcc
	v_cndmask_b32_e32 v4, v4, v16, vcc
	v_lshlrev_b32_sdwa v15, v15, v5 dst_sel:DWORD dst_unused:UNUSED_PAD src0_sel:DWORD src1_sel:WORD_1
	v_bfrev_b32_e32 v16, 60
	v_lshlrev_b32_e32 v4, 20, v4
	v_and_b32_e32 v15, 0x80000000, v15
	v_lshl_add_u32 v2, v2, 23, v16
	v_or3_b32 v4, v15, v2, v4
.LBB555_777:
	s_or_b64 exec, exec, s[10:11]
.LBB555_778:
	s_or_b64 exec, exec, s[8:9]
.LBB555_779:
	s_or_b64 exec, exec, s[2:3]
	s_mov_b32 s2, 0xffffff
	v_cmp_lt_u32_e32 vcc, s2, v5
	v_mov_b32_e32 v15, 0
	s_and_saveexec_b64 s[2:3], vcc
	s_cbranch_execz .LBB555_785
; %bb.780:
	v_lshrrev_b32_e32 v2, 24, v5
	s_movk_i32 s7, 0x80
	v_cmp_ne_u32_e32 vcc, s7, v2
	v_bfrev_b32_e32 v15, 1
	s_and_saveexec_b64 s[8:9], vcc
	s_cbranch_execz .LBB555_784
; %bb.781:
	v_bfe_u32 v5, v5, 24, 7
	s_movk_i32 s7, 0x7f
	v_cmp_ne_u32_e32 vcc, s7, v5
	v_mov_b32_e32 v15, 0x7f800001
	s_and_saveexec_b64 s[10:11], vcc
	s_cbranch_execz .LBB555_783
; %bb.782:
	v_and_b32_e32 v15, 7, v2
	v_ffbh_u32_e32 v16, v15
	v_min_u32_e32 v19, 32, v16
	v_subrev_u32_e32 v16, 28, v19
	v_lshlrev_b64 v[16:17], v16, v[2:3]
	v_lshrrev_b32_e32 v18, 3, v5
	v_sub_u32_e32 v17, 29, v19
	v_and_b32_e32 v16, 7, v16
	v_cmp_gt_u32_e32 vcc, 8, v5
	v_cndmask_b32_e32 v5, v18, v17, vcc
	v_cndmask_b32_e32 v15, v15, v16, vcc
	v_lshlrev_b32_e32 v2, 24, v2
	v_bfrev_b32_e32 v16, 60
	v_lshlrev_b32_e32 v15, 20, v15
	v_and_b32_e32 v2, 0x80000000, v2
	v_lshl_add_u32 v5, v5, 23, v16
	v_or3_b32 v15, v2, v5, v15
.LBB555_783:
	s_or_b64 exec, exec, s[10:11]
.LBB555_784:
	s_or_b64 exec, exec, s[8:9]
.LBB555_785:
	s_or_b64 exec, exec, s[2:3]
	v_cvt_pkrtz_f16_f32 v2, v10, v11
	v_cvt_pkrtz_f16_f32 v3, v3, v13
	ds_read_b128 v[16:19], v22 offset:6160
	s_load_dword s2, s[42:43], 0x0
	v_cmp_gt_u32_e32 vcc, 64, v0
	s_waitcnt lgkmcnt(0)
	v_mfma_f32_16x16x16f16 v[6:9], v[2:3], v[16:17], v[6:9]
	v_cvt_pkrtz_f16_f32 v2, v12, v14
	v_cvt_pkrtz_f16_f32 v3, v4, v15
	s_and_b64 s[0:1], vcc, s[0:1]
	s_barrier
	v_mfma_f32_16x16x16f16 v[2:5], v[2:3], v[18:19], v[6:9]
	s_nop 7
	s_nop 2
	v_pk_mul_f32 v[4:5], v[4:5], s[2:3] op_sel_hi:[1,0]
	v_pk_mul_f32 v[2:3], v[2:3], s[2:3] op_sel_hi:[1,0]
	v_cvt_f16_f32_e32 v2, v2
	v_cvt_f16_f32_e32 v3, v3
	;; [unrolled: 1-line block ×4, first 2 shown]
	v_pack_b32_f16 v2, v2, v3
	v_pack_b32_f16 v3, v4, v5
	ds_write_b64 v26, v[2:3]
	s_waitcnt lgkmcnt(0)
	s_barrier
	s_and_saveexec_b64 s[2:3], s[0:1]
	s_cbranch_execz .LBB555_788
; %bb.786:
	s_load_dwordx2 s[2:3], s[4:5], 0x68
	s_lshl_b32 s0, s44, 6
	s_mul_i32 s1, s12, s6
	s_mul_hi_u32 s7, s1, s0
	s_mul_i32 s6, s1, s0
	s_lshl_b64 s[6:7], s[6:7], 1
	s_waitcnt lgkmcnt(0)
	s_add_u32 s1, s2, s6
	v_lshlrev_b32_e32 v0, 10, v0
	s_mov_b32 s5, 0
	s_addc_u32 s6, s3, s7
	s_lshl_b32 s4, s24, 6
	v_and_b32_e32 v0, 0x1800, v0
	v_lshlrev_b32_e32 v2, 5, v1
	v_and_b32_e32 v3, 16, v47
	s_lshl_b64 s[2:3], s[4:5], 1
	v_or3_b32 v0, v0, v2, v3
	s_add_u32 s1, s1, s2
	ds_read_b128 v[6:9], v0 offset:256
	v_or_b32_e32 v2, 12, v1
	s_addc_u32 s2, s6, s3
	ds_read_b128 v[10:13], v0 offset:128
	ds_read_b128 v[14:17], v0
	v_add_u32_e32 v1, s25, v1
	v_mov_b32_e32 v4, s2
	v_add_co_u32_e32 v3, vcc, s1, v46
	v_mad_u64_u32 v[18:19], s[2:3], v1, s0, 0
	v_addc_co_u32_e32 v4, vcc, 0, v4, vcc
	v_lshlrev_b64 v[18:19], 1, v[18:19]
	v_add_co_u32_e32 v18, vcc, v3, v18
	v_addc_co_u32_e32 v19, vcc, v4, v19, vcc
	v_add_u32_e32 v5, 4, v1
	s_waitcnt lgkmcnt(0)
	global_store_dwordx4 v[18:19], v[14:17], off
	v_add_u32_e32 v1, 8, v1
	v_mad_u64_u32 v[14:15], s[2:3], v5, s0, 0
	v_lshlrev_b64 v[14:15], 1, v[14:15]
	v_add_co_u32_e32 v14, vcc, v3, v14
	v_addc_co_u32_e32 v15, vcc, v4, v15, vcc
	global_store_dwordx4 v[14:15], v[10:13], off
	s_nop 0
	v_mad_u64_u32 v[10:11], s[2:3], v1, s0, 0
	v_lshlrev_b64 v[10:11], 1, v[10:11]
	v_add_co_u32_e32 v10, vcc, v3, v10
	v_addc_co_u32_e32 v11, vcc, v4, v11, vcc
	v_cmp_gt_u32_e32 vcc, 14, v2
	global_store_dwordx4 v[10:11], v[6:9], off
	s_and_b64 exec, exec, vcc
	s_cbranch_execz .LBB555_788
; %bb.787:
	ds_read_b128 v[6:9], v0 offset:384
	v_add_u32_e32 v0, s25, v2
	v_mad_u64_u32 v[0:1], s[0:1], v0, s0, 0
	v_lshlrev_b64 v[0:1], 1, v[0:1]
	v_add_co_u32_e32 v0, vcc, v3, v0
	v_addc_co_u32_e32 v1, vcc, v4, v1, vcc
	s_waitcnt lgkmcnt(0)
	global_store_dwordx4 v[0:1], v[6:9], off
.LBB555_788:
	s_endpgm
	.section	.rodata,"a",@progbits
	.p2align	6, 0x0
	.amdhsa_kernel _Z39paged_attention_ll4mi_QKV_mfma16_kernelIDF16_hLN4vllm18Fp8KVCacheDataTypeE1EDF16_Li16ELi64ELi256ELb1ELi14EL8MFMAType0EEvPKT_PKT0_S8_ifPKiSA_SA_iPKfiiiPfSD_PS3_PT2_iSC_SC_
		.amdhsa_group_segment_fixed_size 8192
		.amdhsa_private_segment_fixed_size 0
		.amdhsa_kernarg_size 400
		.amdhsa_user_sgpr_count 6
		.amdhsa_user_sgpr_private_segment_buffer 1
		.amdhsa_user_sgpr_dispatch_ptr 0
		.amdhsa_user_sgpr_queue_ptr 0
		.amdhsa_user_sgpr_kernarg_segment_ptr 1
		.amdhsa_user_sgpr_dispatch_id 0
		.amdhsa_user_sgpr_flat_scratch_init 0
		.amdhsa_user_sgpr_kernarg_preload_length 0
		.amdhsa_user_sgpr_kernarg_preload_offset 0
		.amdhsa_user_sgpr_private_segment_size 0
		.amdhsa_uses_dynamic_stack 0
		.amdhsa_system_sgpr_private_segment_wavefront_offset 0
		.amdhsa_system_sgpr_workgroup_id_x 1
		.amdhsa_system_sgpr_workgroup_id_y 1
		.amdhsa_system_sgpr_workgroup_id_z 1
		.amdhsa_system_sgpr_workgroup_info 0
		.amdhsa_system_vgpr_workitem_id 0
		.amdhsa_next_free_vgpr 62
		.amdhsa_next_free_sgpr 47
		.amdhsa_accum_offset 64
		.amdhsa_reserve_vcc 1
		.amdhsa_reserve_flat_scratch 0
		.amdhsa_float_round_mode_32 0
		.amdhsa_float_round_mode_16_64 0
		.amdhsa_float_denorm_mode_32 3
		.amdhsa_float_denorm_mode_16_64 3
		.amdhsa_dx10_clamp 1
		.amdhsa_ieee_mode 1
		.amdhsa_fp16_overflow 0
		.amdhsa_tg_split 0
		.amdhsa_exception_fp_ieee_invalid_op 0
		.amdhsa_exception_fp_denorm_src 0
		.amdhsa_exception_fp_ieee_div_zero 0
		.amdhsa_exception_fp_ieee_overflow 0
		.amdhsa_exception_fp_ieee_underflow 0
		.amdhsa_exception_fp_ieee_inexact 0
		.amdhsa_exception_int_div_zero 0
	.end_amdhsa_kernel
	.section	.text._Z39paged_attention_ll4mi_QKV_mfma16_kernelIDF16_hLN4vllm18Fp8KVCacheDataTypeE1EDF16_Li16ELi64ELi256ELb1ELi14EL8MFMAType0EEvPKT_PKT0_S8_ifPKiSA_SA_iPKfiiiPfSD_PS3_PT2_iSC_SC_,"axG",@progbits,_Z39paged_attention_ll4mi_QKV_mfma16_kernelIDF16_hLN4vllm18Fp8KVCacheDataTypeE1EDF16_Li16ELi64ELi256ELb1ELi14EL8MFMAType0EEvPKT_PKT0_S8_ifPKiSA_SA_iPKfiiiPfSD_PS3_PT2_iSC_SC_,comdat
.Lfunc_end555:
	.size	_Z39paged_attention_ll4mi_QKV_mfma16_kernelIDF16_hLN4vllm18Fp8KVCacheDataTypeE1EDF16_Li16ELi64ELi256ELb1ELi14EL8MFMAType0EEvPKT_PKT0_S8_ifPKiSA_SA_iPKfiiiPfSD_PS3_PT2_iSC_SC_, .Lfunc_end555-_Z39paged_attention_ll4mi_QKV_mfma16_kernelIDF16_hLN4vllm18Fp8KVCacheDataTypeE1EDF16_Li16ELi64ELi256ELb1ELi14EL8MFMAType0EEvPKT_PKT0_S8_ifPKiSA_SA_iPKfiiiPfSD_PS3_PT2_iSC_SC_
                                        ; -- End function
	.section	.AMDGPU.csdata,"",@progbits
; Kernel info:
; codeLenInByte = 27328
; NumSgprs: 51
; NumVgprs: 62
; NumAgprs: 0
; TotalNumVgprs: 62
; ScratchSize: 0
; MemoryBound: 0
; FloatMode: 240
; IeeeMode: 1
; LDSByteSize: 8192 bytes/workgroup (compile time only)
; SGPRBlocks: 6
; VGPRBlocks: 7
; NumSGPRsForWavesPerEU: 51
; NumVGPRsForWavesPerEU: 62
; AccumOffset: 64
; Occupancy: 8
; WaveLimiterHint : 1
; COMPUTE_PGM_RSRC2:SCRATCH_EN: 0
; COMPUTE_PGM_RSRC2:USER_SGPR: 6
; COMPUTE_PGM_RSRC2:TRAP_HANDLER: 0
; COMPUTE_PGM_RSRC2:TGID_X_EN: 1
; COMPUTE_PGM_RSRC2:TGID_Y_EN: 1
; COMPUTE_PGM_RSRC2:TGID_Z_EN: 1
; COMPUTE_PGM_RSRC2:TIDIG_COMP_CNT: 0
; COMPUTE_PGM_RSRC3_GFX90A:ACCUM_OFFSET: 15
; COMPUTE_PGM_RSRC3_GFX90A:TG_SPLIT: 0
	.section	.text._Z39paged_attention_ll4mi_QKV_mfma16_kernelIDF16_hLN4vllm18Fp8KVCacheDataTypeE1EDF16_Li16ELi64ELi256ELb1ELi15EL8MFMAType0EEvPKT_PKT0_S8_ifPKiSA_SA_iPKfiiiPfSD_PS3_PT2_iSC_SC_,"axG",@progbits,_Z39paged_attention_ll4mi_QKV_mfma16_kernelIDF16_hLN4vllm18Fp8KVCacheDataTypeE1EDF16_Li16ELi64ELi256ELb1ELi15EL8MFMAType0EEvPKT_PKT0_S8_ifPKiSA_SA_iPKfiiiPfSD_PS3_PT2_iSC_SC_,comdat
	.protected	_Z39paged_attention_ll4mi_QKV_mfma16_kernelIDF16_hLN4vllm18Fp8KVCacheDataTypeE1EDF16_Li16ELi64ELi256ELb1ELi15EL8MFMAType0EEvPKT_PKT0_S8_ifPKiSA_SA_iPKfiiiPfSD_PS3_PT2_iSC_SC_ ; -- Begin function _Z39paged_attention_ll4mi_QKV_mfma16_kernelIDF16_hLN4vllm18Fp8KVCacheDataTypeE1EDF16_Li16ELi64ELi256ELb1ELi15EL8MFMAType0EEvPKT_PKT0_S8_ifPKiSA_SA_iPKfiiiPfSD_PS3_PT2_iSC_SC_
	.globl	_Z39paged_attention_ll4mi_QKV_mfma16_kernelIDF16_hLN4vllm18Fp8KVCacheDataTypeE1EDF16_Li16ELi64ELi256ELb1ELi15EL8MFMAType0EEvPKT_PKT0_S8_ifPKiSA_SA_iPKfiiiPfSD_PS3_PT2_iSC_SC_
	.p2align	8
	.type	_Z39paged_attention_ll4mi_QKV_mfma16_kernelIDF16_hLN4vllm18Fp8KVCacheDataTypeE1EDF16_Li16ELi64ELi256ELb1ELi15EL8MFMAType0EEvPKT_PKT0_S8_ifPKiSA_SA_iPKfiiiPfSD_PS3_PT2_iSC_SC_,@function
_Z39paged_attention_ll4mi_QKV_mfma16_kernelIDF16_hLN4vllm18Fp8KVCacheDataTypeE1EDF16_Li16ELi64ELi256ELb1ELi15EL8MFMAType0EEvPKT_PKT0_S8_ifPKiSA_SA_iPKfiiiPfSD_PS3_PT2_iSC_SC_: ; @_Z39paged_attention_ll4mi_QKV_mfma16_kernelIDF16_hLN4vllm18Fp8KVCacheDataTypeE1EDF16_Li16ELi64ELi256ELb1ELi15EL8MFMAType0EEvPKT_PKT0_S8_ifPKiSA_SA_iPKfiiiPfSD_PS3_PT2_iSC_SC_
; %bb.0:
	s_load_dwordx2 s[0:1], s[4:5], 0x30
	s_mov_b32 s24, s7
	s_mov_b64 s[10:11], 0
	s_waitcnt lgkmcnt(0)
	s_cmp_lg_u64 s[0:1], 0
	s_cselect_b64 s[2:3], -1, 0
	s_and_b64 vcc, exec, s[2:3]
	s_cbranch_vccz .LBB556_7
; %bb.1:
	s_add_i32 s12, s6, 1
	s_mov_b32 s13, 0
	s_lshl_b64 s[14:15], s[12:13], 2
	s_add_u32 s14, s0, s14
	s_mov_b32 s7, s13
	s_addc_u32 s15, s1, s15
	s_lshl_b64 s[12:13], s[6:7], 2
	s_add_u32 s12, s0, s12
	s_addc_u32 s13, s1, s13
	s_load_dword s9, s[14:15], 0x0
	s_load_dword s16, s[12:13], 0x0
	s_waitcnt lgkmcnt(0)
	s_sub_i32 s9, s9, s16
	s_cmp_eq_u32 s9, 1
	s_cselect_b64 s[12:13], -1, 0
	s_andn2_b64 vcc, exec, s[10:11]
	s_cbranch_vccnz .LBB556_3
.LBB556_2:
	s_mov_b32 s7, 0
	s_mov_b64 s[12:13], -1
.LBB556_3:
	s_andn2_b64 vcc, exec, s[12:13]
	s_cbranch_vccnz .LBB556_788
; %bb.4:
	s_load_dwordx2 s[12:13], s[4:5], 0x28
	s_lshl_b64 s[10:11], s[6:7], 2
	s_waitcnt lgkmcnt(0)
	s_add_u32 s12, s12, s10
	s_addc_u32 s13, s13, s11
	s_load_dword s33, s[12:13], 0x0
	s_lshl_b32 s18, s24, 8
	s_waitcnt lgkmcnt(0)
	s_cmp_ge_i32 s18, s33
	s_cbranch_scc1 .LBB556_788
; %bb.5:
	s_add_i32 s14, s33, 15
	s_load_dwordx2 s[12:13], s[4:5], 0x20
	s_load_dword s9, s[4:5], 0x38
	s_ashr_i32 s15, s14, 31
	v_and_b32_e32 v1, 0xcf, v0
	s_lshr_b32 s15, s15, 28
	v_add_u32_e32 v1, s18, v1
	s_add_i32 s14, s14, s15
	v_ashrrev_i32_e32 v2, 31, v1
	s_ashr_i32 s21, s14, 4
	v_lshrrev_b32_e32 v4, 28, v2
	s_add_i32 s21, s21, -1
	v_add_u32_e32 v2, v1, v4
	s_waitcnt lgkmcnt(0)
	s_mul_i32 s14, s6, s9
	s_mov_b32 s15, 0
	v_ashrrev_i32_e32 v2, 4, v2
	v_mov_b32_e32 v5, s21
	v_cmp_gt_i32_e32 vcc, s33, v1
	s_lshl_b64 s[14:15], s[14:15], 2
	v_cndmask_b32_e32 v2, v5, v2, vcc
	s_add_u32 s19, s12, s14
	v_ashrrev_i32_e32 v3, 31, v2
	s_addc_u32 s20, s13, s15
	v_lshlrev_b64 v[2:3], 2, v[2:3]
	v_mov_b32_e32 v7, s20
	v_add_co_u32_e32 v6, vcc, s19, v2
	v_or_b32_e32 v2, 16, v1
	v_addc_co_u32_e32 v7, vcc, v7, v3, vcc
	v_add_u32_e32 v3, v2, v4
	v_ashrrev_i32_e32 v3, 4, v3
	v_cmp_gt_i32_e32 vcc, s33, v2
	v_cndmask_b32_e32 v2, v5, v3, vcc
	v_ashrrev_i32_e32 v3, 31, v2
	v_lshlrev_b64 v[2:3], 2, v[2:3]
	v_mov_b32_e32 v9, s20
	v_add_co_u32_e32 v8, vcc, s19, v2
	v_or_b32_e32 v2, 32, v1
	v_addc_co_u32_e32 v9, vcc, v9, v3, vcc
	v_add_u32_e32 v3, v2, v4
	v_ashrrev_i32_e32 v3, 4, v3
	v_cmp_gt_i32_e32 vcc, s33, v2
	v_cndmask_b32_e32 v2, v5, v3, vcc
	v_ashrrev_i32_e32 v3, 31, v2
	;; [unrolled: 10-line block ×3, first 2 shown]
	v_lshlrev_b64 v[2:3], 2, v[2:3]
	v_mov_b32_e32 v1, s20
	v_add_co_u32_e32 v12, vcc, s19, v2
	v_addc_co_u32_e32 v13, vcc, v1, v3, vcc
	global_load_dword v5, v[6:7], off
	global_load_dword v4, v[8:9], off
	;; [unrolled: 1-line block ×4, first 2 shown]
	s_load_dwordx2 s[16:17], s[4:5], 0x8
	s_andn2_b64 vcc, exec, s[2:3]
	s_cbranch_vccnz .LBB556_8
; %bb.6:
	s_add_u32 s0, s0, s10
	s_addc_u32 s1, s1, s11
	s_load_dword s9, s[0:1], 0x0
	s_branch .LBB556_9
.LBB556_7:
	s_mov_b64 s[12:13], 0
	s_branch .LBB556_2
.LBB556_8:
	s_mov_b32 s9, s6
.LBB556_9:
	s_load_dwordx2 s[2:3], s[4:5], 0x10
	s_load_dwordx4 s[12:15], s[4:5], 0x48
	v_lshrrev_b32_e32 v49, 6, v0
	v_bfe_u32 v1, v0, 4, 2
	v_lshl_or_b32 v6, v49, 2, v1
	v_and_b32_e32 v48, 15, v0
	v_lshlrev_b32_e32 v7, 3, v48
	v_cmp_gt_u32_e32 vcc, 15, v6
	v_cmp_gt_u32_e64 s[0:1], 8, v48
	s_mul_i32 s25, s8, 15
	s_and_b64 s[22:23], s[0:1], vcc
	v_lshlrev_b32_e32 v46, 1, v7
	v_lshlrev_b32_e32 v47, 4, v0
	s_and_saveexec_b64 s[10:11], s[22:23]
	s_cbranch_execz .LBB556_11
; %bb.10:
	s_load_dwordx2 s[22:23], s[4:5], 0x0
	s_waitcnt lgkmcnt(0)
	s_ashr_i32 s15, s12, 31
	s_mul_hi_u32 s26, s9, s12
	s_mul_i32 s15, s9, s15
	s_add_i32 s27, s26, s15
	s_mul_i32 s26, s9, s12
	s_lshl_b64 s[26:27], s[26:27], 1
	v_add_lshl_u32 v8, v6, s25, 6
	s_add_u32 s9, s22, s26
	v_ashrrev_i32_e32 v9, 31, v8
	s_addc_u32 s12, s23, s27
	v_lshlrev_b64 v[8:9], 1, v[8:9]
	v_mov_b32_e32 v7, s12
	v_add_co_u32_e32 v8, vcc, s9, v8
	v_addc_co_u32_e32 v7, vcc, v7, v9, vcc
	v_add_co_u32_e32 v8, vcc, v8, v46
	v_addc_co_u32_e32 v9, vcc, 0, v7, vcc
	global_load_dwordx4 v[8:11], v[8:9], off
	v_lshlrev_b32_e32 v12, 8, v48
	v_lshlrev_b32_e32 v6, 5, v6
	v_and_b32_e32 v7, 16, v47
	v_and_b32_e32 v12, 0xe00, v12
	v_or3_b32 v6, v12, v6, v7
	s_waitcnt vmcnt(0)
	ds_write_b128 v6, v[8:11]
.LBB556_11:
	s_or_b64 exec, exec, s[10:11]
	s_waitcnt lgkmcnt(0)
	s_mul_i32 s10, s8, s14
	s_add_u32 s8, s16, s10
	s_addc_u32 s9, s17, 0
	v_and_b32_e32 v7, 0xf0, v47
	v_and_b32_e32 v6, 48, v0
	v_mov_b32_e32 v8, s9
	v_add_co_u32_e32 v7, vcc, s8, v7
	v_addc_co_u32_e32 v9, vcc, 0, v8, vcc
	v_lshlrev_b32_e32 v8, 4, v6
	v_add_co_u32_e32 v8, vcc, v7, v8
	v_addc_co_u32_e32 v9, vcc, 0, v9, vcc
	s_waitcnt vmcnt(3)
	v_mad_i64_i32 v[10:11], s[8:9], v5, s13, v[8:9]
	s_waitcnt vmcnt(2)
	v_mad_i64_i32 v[4:5], s[8:9], v4, s13, v[8:9]
	s_barrier
	global_load_dwordx4 v[34:37], v[10:11], off
	global_load_dwordx4 v[38:41], v[4:5], off
	s_waitcnt vmcnt(3)
	v_mad_i64_i32 v[4:5], s[8:9], v2, s13, v[8:9]
	s_waitcnt vmcnt(2)
	v_mad_i64_i32 v[2:3], s[8:9], v3, s13, v[8:9]
	global_load_dwordx4 v[30:33], v[4:5], off
	global_load_dwordx4 v[22:25], v[2:3], off
	v_cmp_ne_u32_e32 vcc, 15, v48
	v_cndmask_b32_e32 v2, 0, v48, vcc
	v_lshlrev_b32_e32 v2, 5, v2
	v_lshl_or_b32 v2, v1, 9, v2
	ds_read_b128 v[26:29], v2
	ds_read_b128 v[18:21], v2 offset:16
	v_mov_b32_e32 v43, 0
	v_mov_b32_e32 v50, 0
	s_and_saveexec_b64 s[8:9], vcc
	s_cbranch_execz .LBB556_13
; %bb.12:
	s_load_dwordx2 s[14:15], s[4:5], 0x40
	v_add_u32_e32 v2, s25, v48
	v_ashrrev_i32_e32 v3, 31, v2
	v_lshlrev_b64 v[2:3], 2, v[2:3]
	s_waitcnt lgkmcnt(0)
	v_mov_b32_e32 v4, s15
	v_add_co_u32_e32 v2, vcc, s14, v2
	v_addc_co_u32_e32 v3, vcc, v4, v3, vcc
	global_load_dword v50, v[2:3], off
.LBB556_13:
	s_or_b64 exec, exec, s[8:9]
	v_or_b32_e32 v8, s18, v6
	v_ashrrev_i32_e32 v2, 4, v8
	v_mov_b32_e32 v9, s21
	v_cmp_gt_i32_e32 vcc, s33, v8
	v_cndmask_b32_e32 v2, v9, v2, vcc
	v_ashrrev_i32_e32 v3, 31, v2
	v_lshlrev_b64 v[2:3], 2, v[2:3]
	v_mov_b32_e32 v4, s20
	v_add_co_u32_e32 v2, vcc, s19, v2
	v_addc_co_u32_e32 v3, vcc, v4, v3, vcc
	v_or_b32_e32 v4, 64, v8
	v_ashrrev_i32_e32 v5, 4, v4
	v_cmp_gt_i32_e32 vcc, s33, v4
	v_cndmask_b32_e32 v4, v9, v5, vcc
	v_ashrrev_i32_e32 v5, 31, v4
	v_lshlrev_b64 v[4:5], 2, v[4:5]
	v_mov_b32_e32 v6, s20
	v_add_co_u32_e32 v4, vcc, s19, v4
	v_addc_co_u32_e32 v5, vcc, v6, v5, vcc
	v_or_b32_e32 v6, 0x80, v8
	v_ashrrev_i32_e32 v7, 4, v6
	v_cmp_gt_i32_e32 vcc, s33, v6
	v_cndmask_b32_e32 v6, v9, v7, vcc
	v_ashrrev_i32_e32 v7, 31, v6
	v_lshlrev_b64 v[6:7], 2, v[6:7]
	v_mov_b32_e32 v10, s20
	v_add_co_u32_e32 v6, vcc, s19, v6
	v_addc_co_u32_e32 v7, vcc, v10, v7, vcc
	global_load_dword v10, v[2:3], off
	global_load_dword v11, v[4:5], off
	;; [unrolled: 1-line block ×3, first 2 shown]
	v_or_b32_e32 v2, 0xc0, v8
	v_ashrrev_i32_e32 v3, 4, v2
	v_cmp_gt_i32_e32 vcc, s33, v2
	v_cndmask_b32_e32 v2, v9, v3, vcc
	v_ashrrev_i32_e32 v3, 31, v2
	v_lshlrev_b64 v[2:3], 2, v[2:3]
	v_mov_b32_e32 v4, s20
	v_add_co_u32_e32 v2, vcc, s19, v2
	v_addc_co_u32_e32 v3, vcc, v4, v3, vcc
	global_load_dword v13, v[2:3], off
	s_add_u32 s2, s2, s10
	v_lshlrev_b32_e32 v2, 4, v48
	s_addc_u32 s3, s3, 0
	v_lshl_or_b32 v2, v49, 8, v2
	v_mov_b32_e32 v3, s3
	v_add_co_u32_e32 v2, vcc, s2, v2
	v_addc_co_u32_e32 v3, vcc, 0, v3, vcc
	s_movk_i32 s8, 0x80
	s_waitcnt vmcnt(7)
	v_cmp_ne_u16_sdwa s[10:11], v34, v43 src0_sel:BYTE_0 src1_sel:DWORD
	s_waitcnt vmcnt(3)
	v_mad_i64_i32 v[4:5], s[2:3], v10, s13, v[2:3]
	s_waitcnt vmcnt(2)
	v_mad_i64_i32 v[6:7], s[2:3], v11, s13, v[2:3]
	;; [unrolled: 2-line block ×4, first 2 shown]
	global_load_dwordx4 v[14:17], v[4:5], off
	global_load_dwordx4 v[10:13], v[6:7], off
                                        ; kill: killed $vgpr6_vgpr7
                                        ; kill: killed $vgpr4_vgpr5
	s_nop 0
	global_load_dwordx4 v[6:9], v[8:9], off
	s_nop 0
	global_load_dwordx4 v[2:5], v[2:3], off
	s_load_dwordx4 s[40:43], s[4:5], 0x80
	s_load_dwordx2 s[44:45], s[4:5], 0x94
                                        ; kill: killed $sgpr40_sgpr41
	s_waitcnt lgkmcnt(0)
	s_load_dword s12, s[40:41], 0x0
	s_and_saveexec_b64 s[2:3], s[10:11]
	s_cbranch_execz .LBB556_19
; %bb.14:
	v_cmp_ne_u16_sdwa s[10:11], v34, s8 src0_sel:BYTE_0 src1_sel:DWORD
	v_bfrev_b32_e32 v43, 1
	s_and_saveexec_b64 s[8:9], s[10:11]
	s_cbranch_execz .LBB556_18
; %bb.15:
	s_movk_i32 s10, 0x7f
	v_and_b32_e32 v42, 0x7f, v34
	v_cmp_ne_u32_e32 vcc, s10, v42
	v_mov_b32_e32 v43, 0x7f800001
	s_and_saveexec_b64 s[10:11], vcc
	s_cbranch_execz .LBB556_17
; %bb.16:
	v_and_b32_e32 v43, 7, v34
	v_ffbh_u32_e32 v44, v43
	v_min_u32_e32 v52, 32, v44
	v_subrev_u32_e32 v44, 28, v52
	v_lshlrev_b64 v[44:45], v44, v[34:35]
	v_lshrrev_b32_e32 v51, 3, v42
	v_sub_u32_e32 v45, 29, v52
	v_and_b32_e32 v44, 7, v44
	v_cmp_gt_u32_e32 vcc, 8, v42
	v_cndmask_b32_e32 v42, v51, v45, vcc
	v_cndmask_b32_e32 v43, v43, v44, vcc
	v_lshlrev_b32_e32 v44, 24, v34
	v_bfrev_b32_e32 v45, 60
	v_lshlrev_b32_e32 v43, 20, v43
	v_and_b32_e32 v44, 0x80000000, v44
	v_lshl_add_u32 v42, v42, 23, v45
	v_or3_b32 v43, v44, v42, v43
.LBB556_17:
	s_or_b64 exec, exec, s[10:11]
.LBB556_18:
	s_or_b64 exec, exec, s[8:9]
.LBB556_19:
	s_or_b64 exec, exec, s[2:3]
	v_lshrrev_b16_e32 v42, 8, v34
	v_cmp_ne_u16_e32 vcc, 0, v42
	v_mov_b32_e32 v44, 0
	v_mov_b32_e32 v45, 0
	s_and_saveexec_b64 s[2:3], vcc
	s_cbranch_execz .LBB556_25
; %bb.20:
	s_movk_i32 s8, 0x80
	v_cmp_ne_u16_sdwa s[10:11], v34, s8 src0_sel:BYTE_1 src1_sel:DWORD
	v_bfrev_b32_e32 v45, 1
	s_and_saveexec_b64 s[8:9], s[10:11]
	s_cbranch_execz .LBB556_24
; %bb.21:
	s_movk_i32 s10, 0x7f
	v_and_b32_e32 v51, 0x7f, v42
	v_cmp_ne_u32_e32 vcc, s10, v51
	v_mov_b32_e32 v45, 0x7f800001
	s_and_saveexec_b64 s[10:11], vcc
	s_cbranch_execz .LBB556_23
; %bb.22:
	v_and_b32_e32 v45, 7, v42
	v_ffbh_u32_e32 v52, v45
	v_min_u32_e32 v55, 32, v52
	v_subrev_u32_e32 v52, 28, v55
	v_lshlrev_b64 v[52:53], v52, v[42:43]
	v_lshrrev_b32_e32 v54, 3, v51
	v_sub_u32_e32 v42, 29, v55
	v_and_b32_e32 v52, 7, v52
	v_cmp_gt_u32_e32 vcc, 8, v51
	v_cndmask_b32_e32 v42, v54, v42, vcc
	v_cndmask_b32_e32 v45, v45, v52, vcc
	v_lshlrev_b32_e32 v51, 16, v34
	v_bfrev_b32_e32 v52, 60
	v_lshlrev_b32_e32 v45, 20, v45
	v_and_b32_e32 v51, 0x80000000, v51
	v_lshl_add_u32 v42, v42, 23, v52
	v_or3_b32 v45, v51, v42, v45
.LBB556_23:
	s_or_b64 exec, exec, s[10:11]
.LBB556_24:
	s_or_b64 exec, exec, s[8:9]
.LBB556_25:
	s_or_b64 exec, exec, s[2:3]
	s_movk_i32 s2, 0xff
	v_and_b32_sdwa v51, v34, s2 dst_sel:DWORD dst_unused:UNUSED_PAD src0_sel:WORD_1 src1_sel:DWORD
	v_lshrrev_b32_e32 v42, 16, v34
	v_cmp_ne_u16_e32 vcc, 0, v51
	s_and_saveexec_b64 s[2:3], vcc
	s_cbranch_execz .LBB556_31
; %bb.26:
	s_movk_i32 s8, 0x80
	v_cmp_ne_u16_e32 vcc, s8, v51
	v_bfrev_b32_e32 v44, 1
	s_and_saveexec_b64 s[8:9], vcc
	s_cbranch_execz .LBB556_30
; %bb.27:
	v_bfe_u32 v51, v34, 16, 7
	s_movk_i32 s10, 0x7f
	v_cmp_ne_u32_e32 vcc, s10, v51
	v_mov_b32_e32 v44, 0x7f800001
	s_and_saveexec_b64 s[10:11], vcc
	s_cbranch_execz .LBB556_29
; %bb.28:
	v_and_b32_e32 v44, 7, v42
	v_ffbh_u32_e32 v52, v44
	v_min_u32_e32 v55, 32, v52
	v_subrev_u32_e32 v52, 28, v55
	v_lshlrev_b64 v[52:53], v52, v[42:43]
	v_lshrrev_b32_e32 v54, 3, v51
	v_sub_u32_e32 v42, 29, v55
	v_and_b32_e32 v52, 7, v52
	v_cmp_gt_u32_e32 vcc, 8, v51
	v_mov_b32_e32 v51, 24
	v_cndmask_b32_e32 v42, v54, v42, vcc
	v_cndmask_b32_e32 v44, v44, v52, vcc
	v_lshlrev_b32_sdwa v51, v51, v34 dst_sel:DWORD dst_unused:UNUSED_PAD src0_sel:DWORD src1_sel:WORD_1
	v_bfrev_b32_e32 v52, 60
	v_lshlrev_b32_e32 v44, 20, v44
	v_and_b32_e32 v51, 0x80000000, v51
	v_lshl_add_u32 v42, v42, 23, v52
	v_or3_b32 v44, v51, v42, v44
.LBB556_29:
	s_or_b64 exec, exec, s[10:11]
.LBB556_30:
	s_or_b64 exec, exec, s[8:9]
.LBB556_31:
	s_or_b64 exec, exec, s[2:3]
	s_mov_b32 s2, 0xffffff
	v_cmp_lt_u32_e32 vcc, s2, v34
	v_mov_b32_e32 v52, 0
	v_mov_b32_e32 v53, 0
	s_and_saveexec_b64 s[2:3], vcc
	s_cbranch_execz .LBB556_37
; %bb.32:
	v_lshrrev_b32_e32 v42, 24, v34
	s_movk_i32 s8, 0x80
	v_cmp_ne_u32_e32 vcc, s8, v42
	v_bfrev_b32_e32 v53, 1
	s_and_saveexec_b64 s[8:9], vcc
	s_cbranch_execz .LBB556_36
; %bb.33:
	v_bfe_u32 v34, v34, 24, 7
	s_movk_i32 s10, 0x7f
	v_cmp_ne_u32_e32 vcc, s10, v34
	v_mov_b32_e32 v53, 0x7f800001
	s_and_saveexec_b64 s[10:11], vcc
	s_cbranch_execz .LBB556_35
; %bb.34:
	v_and_b32_e32 v51, 7, v42
	v_ffbh_u32_e32 v54, v51
	v_min_u32_e32 v56, 32, v54
	v_subrev_u32_e32 v54, 28, v56
	v_lshlrev_b64 v[54:55], v54, v[42:43]
	v_lshrrev_b32_e32 v53, 3, v34
	v_sub_u32_e32 v55, 29, v56
	v_and_b32_e32 v54, 7, v54
	v_cmp_gt_u32_e32 vcc, 8, v34
	v_cndmask_b32_e32 v34, v53, v55, vcc
	v_cndmask_b32_e32 v51, v51, v54, vcc
	v_lshlrev_b32_e32 v42, 24, v42
	v_bfrev_b32_e32 v53, 60
	v_lshlrev_b32_e32 v51, 20, v51
	v_and_b32_e32 v42, 0x80000000, v42
	v_lshl_add_u32 v34, v34, 23, v53
	v_or3_b32 v53, v42, v34, v51
.LBB556_35:
	s_or_b64 exec, exec, s[10:11]
.LBB556_36:
	s_or_b64 exec, exec, s[8:9]
.LBB556_37:
	s_or_b64 exec, exec, s[2:3]
	v_cmp_ne_u16_sdwa s[8:9], v35, v52 src0_sel:BYTE_0 src1_sel:DWORD
	s_and_saveexec_b64 s[2:3], s[8:9]
	s_cbranch_execz .LBB556_43
; %bb.38:
	s_movk_i32 s8, 0x80
	v_cmp_ne_u16_sdwa s[10:11], v35, s8 src0_sel:BYTE_0 src1_sel:DWORD
	v_bfrev_b32_e32 v52, 1
	s_and_saveexec_b64 s[8:9], s[10:11]
	s_cbranch_execz .LBB556_42
; %bb.39:
	s_movk_i32 s10, 0x7f
	v_and_b32_e32 v34, 0x7f, v35
	v_cmp_ne_u32_e32 vcc, s10, v34
	v_mov_b32_e32 v52, 0x7f800001
	s_and_saveexec_b64 s[10:11], vcc
	s_cbranch_execz .LBB556_41
; %bb.40:
	v_and_b32_e32 v51, 7, v35
	v_ffbh_u32_e32 v54, v51
	v_min_u32_e32 v56, 32, v54
	v_mov_b32_e32 v42, v35
	v_subrev_u32_e32 v54, 28, v56
	v_lshlrev_b64 v[54:55], v54, v[42:43]
	v_lshrrev_b32_e32 v52, 3, v34
	v_sub_u32_e32 v42, 29, v56
	v_and_b32_e32 v54, 7, v54
	v_cmp_gt_u32_e32 vcc, 8, v34
	v_cndmask_b32_e32 v34, v52, v42, vcc
	v_cndmask_b32_e32 v42, v51, v54, vcc
	v_lshlrev_b32_e32 v51, 24, v35
	v_bfrev_b32_e32 v52, 60
	v_lshlrev_b32_e32 v42, 20, v42
	v_and_b32_e32 v51, 0x80000000, v51
	v_lshl_add_u32 v34, v34, 23, v52
	v_or3_b32 v52, v51, v34, v42
.LBB556_41:
	s_or_b64 exec, exec, s[10:11]
.LBB556_42:
	s_or_b64 exec, exec, s[8:9]
.LBB556_43:
	s_or_b64 exec, exec, s[2:3]
	v_lshrrev_b16_e32 v34, 8, v35
	v_cmp_ne_u16_e32 vcc, 0, v34
	v_mov_b32_e32 v42, 0
	v_mov_b32_e32 v54, 0
	s_and_saveexec_b64 s[2:3], vcc
	s_cbranch_execz .LBB556_49
; %bb.44:
	s_movk_i32 s8, 0x80
	v_cmp_ne_u16_e32 vcc, s8, v34
	v_bfrev_b32_e32 v54, 1
	s_and_saveexec_b64 s[8:9], vcc
	s_cbranch_execz .LBB556_48
; %bb.45:
	s_movk_i32 s10, 0x7f
	v_and_b32_e32 v51, 0x7f, v34
	v_cmp_ne_u32_e32 vcc, s10, v51
	v_mov_b32_e32 v54, 0x7f800001
	s_and_saveexec_b64 s[10:11], vcc
	s_cbranch_execz .LBB556_47
; %bb.46:
	v_and_b32_e32 v56, 7, v34
	v_ffbh_u32_e32 v54, v56
	v_min_u32_e32 v58, 32, v54
	v_subrev_u32_e32 v54, 28, v58
	v_lshlrev_b64 v[54:55], v54, v[34:35]
	v_lshrrev_b32_e32 v57, 3, v51
	v_sub_u32_e32 v34, 29, v58
	v_and_b32_e32 v54, 7, v54
	v_cmp_gt_u32_e32 vcc, 8, v51
	v_cndmask_b32_e32 v34, v57, v34, vcc
	v_cndmask_b32_e32 v51, v56, v54, vcc
	v_lshlrev_b32_e32 v54, 16, v35
	v_bfrev_b32_e32 v55, 60
	v_lshlrev_b32_e32 v51, 20, v51
	v_and_b32_e32 v54, 0x80000000, v54
	v_lshl_add_u32 v34, v34, 23, v55
	v_or3_b32 v54, v54, v34, v51
.LBB556_47:
	s_or_b64 exec, exec, s[10:11]
.LBB556_48:
	s_or_b64 exec, exec, s[8:9]
.LBB556_49:
	s_or_b64 exec, exec, s[2:3]
	s_movk_i32 s2, 0xff
	v_and_b32_sdwa v51, v35, s2 dst_sel:DWORD dst_unused:UNUSED_PAD src0_sel:WORD_1 src1_sel:DWORD
	v_lshrrev_b32_e32 v34, 16, v35
	v_cmp_ne_u16_e32 vcc, 0, v51
	s_and_saveexec_b64 s[2:3], vcc
	s_cbranch_execz .LBB556_55
; %bb.50:
	s_movk_i32 s8, 0x80
	v_cmp_ne_u16_e32 vcc, s8, v51
	v_bfrev_b32_e32 v42, 1
	s_and_saveexec_b64 s[8:9], vcc
	s_cbranch_execz .LBB556_54
; %bb.51:
	v_bfe_u32 v51, v35, 16, 7
	s_movk_i32 s10, 0x7f
	v_cmp_ne_u32_e32 vcc, s10, v51
	v_mov_b32_e32 v42, 0x7f800001
	s_and_saveexec_b64 s[10:11], vcc
	s_cbranch_execz .LBB556_53
; %bb.52:
	v_and_b32_e32 v42, 7, v34
	v_ffbh_u32_e32 v56, v42
	v_min_u32_e32 v58, 32, v56
	v_subrev_u32_e32 v56, 28, v58
	v_lshlrev_b64 v[56:57], v56, v[34:35]
	v_lshrrev_b32_e32 v55, 3, v51
	v_sub_u32_e32 v34, 29, v58
	v_and_b32_e32 v56, 7, v56
	v_cmp_gt_u32_e32 vcc, 8, v51
	v_mov_b32_e32 v51, 24
	v_cndmask_b32_e32 v34, v55, v34, vcc
	v_cndmask_b32_e32 v42, v42, v56, vcc
	v_lshlrev_b32_sdwa v51, v51, v35 dst_sel:DWORD dst_unused:UNUSED_PAD src0_sel:DWORD src1_sel:WORD_1
	v_bfrev_b32_e32 v55, 60
	v_lshlrev_b32_e32 v42, 20, v42
	v_and_b32_e32 v51, 0x80000000, v51
	v_lshl_add_u32 v34, v34, 23, v55
	v_or3_b32 v42, v51, v34, v42
.LBB556_53:
	s_or_b64 exec, exec, s[10:11]
.LBB556_54:
	s_or_b64 exec, exec, s[8:9]
.LBB556_55:
	s_or_b64 exec, exec, s[2:3]
	s_mov_b32 s2, 0xffffff
	v_cmp_lt_u32_e32 vcc, s2, v35
	v_mov_b32_e32 v51, 0
	v_mov_b32_e32 v55, 0
	s_and_saveexec_b64 s[2:3], vcc
	s_cbranch_execz .LBB556_61
; %bb.56:
	v_lshrrev_b32_e32 v34, 24, v35
	s_movk_i32 s8, 0x80
	v_cmp_ne_u32_e32 vcc, s8, v34
	v_bfrev_b32_e32 v55, 1
	s_and_saveexec_b64 s[8:9], vcc
	s_cbranch_execz .LBB556_60
; %bb.57:
	v_bfe_u32 v35, v35, 24, 7
	s_movk_i32 s10, 0x7f
	v_cmp_ne_u32_e32 vcc, s10, v35
	v_mov_b32_e32 v55, 0x7f800001
	s_and_saveexec_b64 s[10:11], vcc
	s_cbranch_execz .LBB556_59
; %bb.58:
	v_and_b32_e32 v55, 7, v34
	v_ffbh_u32_e32 v56, v55
	v_min_u32_e32 v59, 32, v56
	v_subrev_u32_e32 v56, 28, v59
	v_lshlrev_b64 v[56:57], v56, v[34:35]
	v_lshrrev_b32_e32 v58, 3, v35
	v_sub_u32_e32 v57, 29, v59
	v_and_b32_e32 v56, 7, v56
	v_cmp_gt_u32_e32 vcc, 8, v35
	v_cndmask_b32_e32 v35, v58, v57, vcc
	v_cndmask_b32_e32 v55, v55, v56, vcc
	v_lshlrev_b32_e32 v34, 24, v34
	v_bfrev_b32_e32 v56, 60
	v_lshlrev_b32_e32 v55, 20, v55
	v_and_b32_e32 v34, 0x80000000, v34
	v_lshl_add_u32 v35, v35, 23, v56
	v_or3_b32 v55, v34, v35, v55
.LBB556_59:
	s_or_b64 exec, exec, s[10:11]
.LBB556_60:
	s_or_b64 exec, exec, s[8:9]
.LBB556_61:
	s_or_b64 exec, exec, s[2:3]
	v_cvt_pkrtz_f16_f32 v34, v43, v45
	v_cvt_pkrtz_f16_f32 v35, v44, v53
	v_cmp_ne_u16_sdwa s[8:9], v36, v51 src0_sel:BYTE_0 src1_sel:DWORD
	s_nop 0
	v_mfma_f32_16x16x16f16 v[56:59], v[34:35], v[26:27], 0
	v_cvt_pkrtz_f16_f32 v34, v52, v54
	v_cvt_pkrtz_f16_f32 v35, v42, v55
	s_nop 1
	v_mfma_f32_16x16x16f16 v[42:45], v[34:35], v[28:29], v[56:59]
	s_and_saveexec_b64 s[2:3], s[8:9]
	s_cbranch_execz .LBB556_67
; %bb.62:
	s_movk_i32 s8, 0x80
	v_cmp_ne_u16_sdwa s[10:11], v36, s8 src0_sel:BYTE_0 src1_sel:DWORD
	v_bfrev_b32_e32 v51, 1
	s_and_saveexec_b64 s[8:9], s[10:11]
	s_cbranch_execz .LBB556_66
; %bb.63:
	s_movk_i32 s10, 0x7f
	v_and_b32_e32 v34, 0x7f, v36
	v_cmp_ne_u32_e32 vcc, s10, v34
	v_mov_b32_e32 v51, 0x7f800001
	s_and_saveexec_b64 s[10:11], vcc
	s_cbranch_execz .LBB556_65
; %bb.64:
	v_and_b32_e32 v35, 7, v36
	v_ffbh_u32_e32 v52, v35
	v_min_u32_e32 v54, 32, v52
	v_subrev_u32_e32 v52, 28, v54
	v_lshlrev_b64 v[52:53], v52, v[36:37]
	v_lshrrev_b32_e32 v51, 3, v34
	v_sub_u32_e32 v53, 29, v54
	v_and_b32_e32 v52, 7, v52
	v_cmp_gt_u32_e32 vcc, 8, v34
	v_cndmask_b32_e32 v34, v51, v53, vcc
	v_cndmask_b32_e32 v35, v35, v52, vcc
	v_lshlrev_b32_e32 v51, 24, v36
	v_bfrev_b32_e32 v52, 60
	v_lshlrev_b32_e32 v35, 20, v35
	v_and_b32_e32 v51, 0x80000000, v51
	v_lshl_add_u32 v34, v34, 23, v52
	v_or3_b32 v51, v51, v34, v35
.LBB556_65:
	s_or_b64 exec, exec, s[10:11]
.LBB556_66:
	s_or_b64 exec, exec, s[8:9]
.LBB556_67:
	s_or_b64 exec, exec, s[2:3]
	v_lshrrev_b16_e32 v34, 8, v36
	v_cmp_ne_u16_e32 vcc, 0, v34
	v_mov_b32_e32 v35, 0
	v_mov_b32_e32 v53, 0
	s_and_saveexec_b64 s[2:3], vcc
	s_cbranch_execz .LBB556_73
; %bb.68:
	s_movk_i32 s8, 0x80
	v_cmp_ne_u16_e32 vcc, s8, v34
	v_bfrev_b32_e32 v53, 1
	s_and_saveexec_b64 s[8:9], vcc
	s_cbranch_execz .LBB556_72
; %bb.69:
	s_movk_i32 s10, 0x7f
	v_and_b32_e32 v52, 0x7f, v34
	v_cmp_ne_u32_e32 vcc, s10, v52
	v_mov_b32_e32 v53, 0x7f800001
	s_and_saveexec_b64 s[10:11], vcc
	s_cbranch_execz .LBB556_71
; %bb.70:
	v_and_b32_e32 v53, 7, v34
	v_ffbh_u32_e32 v54, v53
	v_min_u32_e32 v57, 32, v54
	v_subrev_u32_e32 v54, 28, v57
	v_lshlrev_b64 v[54:55], v54, v[34:35]
	v_lshrrev_b32_e32 v56, 3, v52
	v_sub_u32_e32 v34, 29, v57
	v_and_b32_e32 v54, 7, v54
	v_cmp_gt_u32_e32 vcc, 8, v52
	v_cndmask_b32_e32 v34, v56, v34, vcc
	v_cndmask_b32_e32 v52, v53, v54, vcc
	v_lshlrev_b32_e32 v53, 16, v36
	v_bfrev_b32_e32 v54, 60
	v_lshlrev_b32_e32 v52, 20, v52
	v_and_b32_e32 v53, 0x80000000, v53
	v_lshl_add_u32 v34, v34, 23, v54
	v_or3_b32 v53, v53, v34, v52
.LBB556_71:
	s_or_b64 exec, exec, s[10:11]
.LBB556_72:
	s_or_b64 exec, exec, s[8:9]
.LBB556_73:
	s_or_b64 exec, exec, s[2:3]
	s_movk_i32 s2, 0xff
	v_and_b32_sdwa v52, v36, s2 dst_sel:DWORD dst_unused:UNUSED_PAD src0_sel:WORD_1 src1_sel:DWORD
	v_lshrrev_b32_e32 v34, 16, v36
	v_cmp_ne_u16_e32 vcc, 0, v52
	s_and_saveexec_b64 s[2:3], vcc
	s_cbranch_execz .LBB556_79
; %bb.74:
	s_movk_i32 s8, 0x80
	v_cmp_ne_u16_e32 vcc, s8, v52
	v_bfrev_b32_e32 v35, 1
	s_and_saveexec_b64 s[8:9], vcc
	s_cbranch_execz .LBB556_78
; %bb.75:
	v_bfe_u32 v52, v36, 16, 7
	s_movk_i32 s10, 0x7f
	v_cmp_ne_u32_e32 vcc, s10, v52
	v_mov_b32_e32 v35, 0x7f800001
	s_and_saveexec_b64 s[10:11], vcc
	s_cbranch_execz .LBB556_77
; %bb.76:
	v_and_b32_e32 v54, 7, v34
	v_ffbh_u32_e32 v35, v54
	v_min_u32_e32 v56, 32, v35
	v_subrev_u32_e32 v35, 28, v56
	v_lshlrev_b64 v[34:35], v35, v[34:35]
	v_lshrrev_b32_e32 v55, 3, v52
	v_sub_u32_e32 v35, 29, v56
	v_and_b32_e32 v34, 7, v34
	v_cmp_gt_u32_e32 vcc, 8, v52
	v_mov_b32_e32 v52, 24
	v_cndmask_b32_e32 v35, v55, v35, vcc
	v_cndmask_b32_e32 v34, v54, v34, vcc
	v_lshlrev_b32_sdwa v52, v52, v36 dst_sel:DWORD dst_unused:UNUSED_PAD src0_sel:DWORD src1_sel:WORD_1
	v_bfrev_b32_e32 v54, 60
	v_lshlrev_b32_e32 v34, 20, v34
	v_and_b32_e32 v52, 0x80000000, v52
	v_lshl_add_u32 v35, v35, 23, v54
	v_or3_b32 v35, v52, v35, v34
.LBB556_77:
	s_or_b64 exec, exec, s[10:11]
.LBB556_78:
	s_or_b64 exec, exec, s[8:9]
.LBB556_79:
	s_or_b64 exec, exec, s[2:3]
	s_mov_b32 s2, 0xffffff
	v_cmp_lt_u32_e32 vcc, s2, v36
	v_mov_b32_e32 v54, 0
	v_mov_b32_e32 v55, 0
	s_and_saveexec_b64 s[2:3], vcc
	s_cbranch_execz .LBB556_85
; %bb.80:
	v_lshrrev_b32_e32 v34, 24, v36
	s_movk_i32 s8, 0x80
	v_cmp_ne_u32_e32 vcc, s8, v34
	v_bfrev_b32_e32 v55, 1
	s_and_saveexec_b64 s[8:9], vcc
	s_cbranch_execz .LBB556_84
; %bb.81:
	v_bfe_u32 v36, v36, 24, 7
	s_movk_i32 s10, 0x7f
	v_cmp_ne_u32_e32 vcc, s10, v36
	v_mov_b32_e32 v55, 0x7f800001
	s_and_saveexec_b64 s[10:11], vcc
	s_cbranch_execz .LBB556_83
; %bb.82:
	v_and_b32_e32 v52, 7, v34
	v_ffbh_u32_e32 v56, v52
	v_min_u32_e32 v58, 32, v56
	v_subrev_u32_e32 v56, 28, v58
	v_lshlrev_b64 v[56:57], v56, v[34:35]
	v_lshrrev_b32_e32 v55, 3, v36
	v_sub_u32_e32 v57, 29, v58
	v_and_b32_e32 v56, 7, v56
	v_cmp_gt_u32_e32 vcc, 8, v36
	v_cndmask_b32_e32 v36, v55, v57, vcc
	v_cndmask_b32_e32 v52, v52, v56, vcc
	v_lshlrev_b32_e32 v34, 24, v34
	v_bfrev_b32_e32 v55, 60
	v_lshlrev_b32_e32 v52, 20, v52
	v_and_b32_e32 v34, 0x80000000, v34
	v_lshl_add_u32 v36, v36, 23, v55
	v_or3_b32 v55, v34, v36, v52
.LBB556_83:
	s_or_b64 exec, exec, s[10:11]
.LBB556_84:
	s_or_b64 exec, exec, s[8:9]
.LBB556_85:
	s_or_b64 exec, exec, s[2:3]
	v_cmp_ne_u16_sdwa s[8:9], v37, v54 src0_sel:BYTE_0 src1_sel:DWORD
	s_and_saveexec_b64 s[2:3], s[8:9]
	s_cbranch_execz .LBB556_91
; %bb.86:
	s_movk_i32 s8, 0x80
	v_cmp_ne_u16_sdwa s[10:11], v37, s8 src0_sel:BYTE_0 src1_sel:DWORD
	v_bfrev_b32_e32 v54, 1
	s_and_saveexec_b64 s[8:9], s[10:11]
	s_cbranch_execz .LBB556_90
; %bb.87:
	s_movk_i32 s10, 0x7f
	v_and_b32_e32 v34, 0x7f, v37
	v_cmp_ne_u32_e32 vcc, s10, v34
	v_mov_b32_e32 v54, 0x7f800001
	s_and_saveexec_b64 s[10:11], vcc
	s_cbranch_execz .LBB556_89
; %bb.88:
	v_and_b32_e32 v52, 7, v37
	v_ffbh_u32_e32 v56, v52
	v_min_u32_e32 v58, 32, v56
	v_mov_b32_e32 v36, v37
	v_subrev_u32_e32 v56, 28, v58
	v_lshlrev_b64 v[56:57], v56, v[36:37]
	v_lshrrev_b32_e32 v54, 3, v34
	v_sub_u32_e32 v36, 29, v58
	v_and_b32_e32 v56, 7, v56
	v_cmp_gt_u32_e32 vcc, 8, v34
	v_cndmask_b32_e32 v34, v54, v36, vcc
	v_cndmask_b32_e32 v36, v52, v56, vcc
	v_lshlrev_b32_e32 v52, 24, v37
	v_bfrev_b32_e32 v54, 60
	v_lshlrev_b32_e32 v36, 20, v36
	v_and_b32_e32 v52, 0x80000000, v52
	v_lshl_add_u32 v34, v34, 23, v54
	v_or3_b32 v54, v52, v34, v36
.LBB556_89:
	s_or_b64 exec, exec, s[10:11]
.LBB556_90:
	s_or_b64 exec, exec, s[8:9]
.LBB556_91:
	s_or_b64 exec, exec, s[2:3]
	v_lshrrev_b16_e32 v34, 8, v37
	v_cmp_ne_u16_e32 vcc, 0, v34
	v_mov_b32_e32 v36, 0
	v_mov_b32_e32 v56, 0
	s_and_saveexec_b64 s[2:3], vcc
	s_cbranch_execz .LBB556_97
; %bb.92:
	s_movk_i32 s8, 0x80
	v_cmp_ne_u16_e32 vcc, s8, v34
	v_bfrev_b32_e32 v56, 1
	s_and_saveexec_b64 s[8:9], vcc
	s_cbranch_execz .LBB556_96
; %bb.93:
	s_movk_i32 s10, 0x7f
	v_and_b32_e32 v52, 0x7f, v34
	v_cmp_ne_u32_e32 vcc, s10, v52
	v_mov_b32_e32 v56, 0x7f800001
	s_and_saveexec_b64 s[10:11], vcc
	s_cbranch_execz .LBB556_95
; %bb.94:
	v_and_b32_e32 v58, 7, v34
	v_ffbh_u32_e32 v56, v58
	v_min_u32_e32 v60, 32, v56
	v_subrev_u32_e32 v56, 28, v60
	v_lshlrev_b64 v[56:57], v56, v[34:35]
	v_lshrrev_b32_e32 v59, 3, v52
	v_sub_u32_e32 v34, 29, v60
	v_and_b32_e32 v56, 7, v56
	v_cmp_gt_u32_e32 vcc, 8, v52
	v_cndmask_b32_e32 v34, v59, v34, vcc
	v_cndmask_b32_e32 v52, v58, v56, vcc
	v_lshlrev_b32_e32 v56, 16, v37
	v_bfrev_b32_e32 v57, 60
	v_lshlrev_b32_e32 v52, 20, v52
	v_and_b32_e32 v56, 0x80000000, v56
	v_lshl_add_u32 v34, v34, 23, v57
	v_or3_b32 v56, v56, v34, v52
.LBB556_95:
	s_or_b64 exec, exec, s[10:11]
.LBB556_96:
	s_or_b64 exec, exec, s[8:9]
.LBB556_97:
	s_or_b64 exec, exec, s[2:3]
	s_movk_i32 s2, 0xff
	v_and_b32_sdwa v52, v37, s2 dst_sel:DWORD dst_unused:UNUSED_PAD src0_sel:WORD_1 src1_sel:DWORD
	v_lshrrev_b32_e32 v34, 16, v37
	v_cmp_ne_u16_e32 vcc, 0, v52
	s_and_saveexec_b64 s[2:3], vcc
	s_cbranch_execz .LBB556_103
; %bb.98:
	s_movk_i32 s8, 0x80
	v_cmp_ne_u16_e32 vcc, s8, v52
	v_bfrev_b32_e32 v36, 1
	s_and_saveexec_b64 s[8:9], vcc
	s_cbranch_execz .LBB556_102
; %bb.99:
	v_bfe_u32 v52, v37, 16, 7
	s_movk_i32 s10, 0x7f
	v_cmp_ne_u32_e32 vcc, s10, v52
	v_mov_b32_e32 v36, 0x7f800001
	s_and_saveexec_b64 s[10:11], vcc
	s_cbranch_execz .LBB556_101
; %bb.100:
	v_and_b32_e32 v36, 7, v34
	v_ffbh_u32_e32 v58, v36
	v_min_u32_e32 v60, 32, v58
	v_subrev_u32_e32 v58, 28, v60
	v_lshlrev_b64 v[58:59], v58, v[34:35]
	v_lshrrev_b32_e32 v57, 3, v52
	v_sub_u32_e32 v34, 29, v60
	v_and_b32_e32 v58, 7, v58
	v_cmp_gt_u32_e32 vcc, 8, v52
	v_mov_b32_e32 v52, 24
	v_cndmask_b32_e32 v34, v57, v34, vcc
	v_cndmask_b32_e32 v36, v36, v58, vcc
	v_lshlrev_b32_sdwa v52, v52, v37 dst_sel:DWORD dst_unused:UNUSED_PAD src0_sel:DWORD src1_sel:WORD_1
	v_bfrev_b32_e32 v57, 60
	v_lshlrev_b32_e32 v36, 20, v36
	v_and_b32_e32 v52, 0x80000000, v52
	v_lshl_add_u32 v34, v34, 23, v57
	v_or3_b32 v36, v52, v34, v36
.LBB556_101:
	s_or_b64 exec, exec, s[10:11]
.LBB556_102:
	s_or_b64 exec, exec, s[8:9]
.LBB556_103:
	s_or_b64 exec, exec, s[2:3]
	s_mov_b32 s2, 0xffffff
	v_cmp_lt_u32_e32 vcc, s2, v37
	v_mov_b32_e32 v52, 0
	v_mov_b32_e32 v57, 0
	s_and_saveexec_b64 s[2:3], vcc
	s_cbranch_execz .LBB556_109
; %bb.104:
	v_lshrrev_b32_e32 v34, 24, v37
	s_movk_i32 s8, 0x80
	v_cmp_ne_u32_e32 vcc, s8, v34
	v_bfrev_b32_e32 v57, 1
	s_and_saveexec_b64 s[8:9], vcc
	s_cbranch_execz .LBB556_108
; %bb.105:
	v_bfe_u32 v37, v37, 24, 7
	s_movk_i32 s10, 0x7f
	v_cmp_ne_u32_e32 vcc, s10, v37
	v_mov_b32_e32 v57, 0x7f800001
	s_and_saveexec_b64 s[10:11], vcc
	s_cbranch_execz .LBB556_107
; %bb.106:
	v_and_b32_e32 v57, 7, v34
	v_ffbh_u32_e32 v58, v57
	v_min_u32_e32 v61, 32, v58
	v_subrev_u32_e32 v58, 28, v61
	v_lshlrev_b64 v[58:59], v58, v[34:35]
	v_lshrrev_b32_e32 v60, 3, v37
	v_sub_u32_e32 v59, 29, v61
	v_and_b32_e32 v58, 7, v58
	v_cmp_gt_u32_e32 vcc, 8, v37
	v_cndmask_b32_e32 v37, v60, v59, vcc
	v_cndmask_b32_e32 v57, v57, v58, vcc
	v_lshlrev_b32_e32 v34, 24, v34
	v_bfrev_b32_e32 v58, 60
	v_lshlrev_b32_e32 v57, 20, v57
	v_and_b32_e32 v34, 0x80000000, v34
	v_lshl_add_u32 v37, v37, 23, v58
	v_or3_b32 v57, v34, v37, v57
.LBB556_107:
	s_or_b64 exec, exec, s[10:11]
.LBB556_108:
	s_or_b64 exec, exec, s[8:9]
.LBB556_109:
	s_or_b64 exec, exec, s[2:3]
	v_cvt_pkrtz_f16_f32 v34, v51, v53
	v_cvt_pkrtz_f16_f32 v35, v35, v55
	v_cmp_ne_u16_sdwa s[8:9], v38, v52 src0_sel:BYTE_0 src1_sel:DWORD
	s_nop 0
	v_mfma_f32_16x16x16f16 v[42:45], v[34:35], v[18:19], v[42:45]
	v_cvt_pkrtz_f16_f32 v34, v54, v56
	v_cvt_pkrtz_f16_f32 v35, v36, v57
	s_nop 1
	v_mfma_f32_16x16x16f16 v[34:37], v[34:35], v[20:21], v[42:45]
	s_and_saveexec_b64 s[2:3], s[8:9]
	s_cbranch_execz .LBB556_115
; %bb.110:
	s_movk_i32 s8, 0x80
	v_cmp_ne_u16_sdwa s[10:11], v38, s8 src0_sel:BYTE_0 src1_sel:DWORD
	v_bfrev_b32_e32 v52, 1
	s_and_saveexec_b64 s[8:9], s[10:11]
	s_cbranch_execz .LBB556_114
; %bb.111:
	s_movk_i32 s10, 0x7f
	v_and_b32_e32 v42, 0x7f, v38
	v_cmp_ne_u32_e32 vcc, s10, v42
	v_mov_b32_e32 v52, 0x7f800001
	s_and_saveexec_b64 s[10:11], vcc
	s_cbranch_execz .LBB556_113
; %bb.112:
	v_and_b32_e32 v43, 7, v38
	v_ffbh_u32_e32 v44, v43
	v_min_u32_e32 v52, 32, v44
	v_subrev_u32_e32 v44, 28, v52
	v_lshlrev_b64 v[44:45], v44, v[38:39]
	v_lshrrev_b32_e32 v51, 3, v42
	v_sub_u32_e32 v45, 29, v52
	v_and_b32_e32 v44, 7, v44
	v_cmp_gt_u32_e32 vcc, 8, v42
	v_cndmask_b32_e32 v42, v51, v45, vcc
	v_cndmask_b32_e32 v43, v43, v44, vcc
	v_lshlrev_b32_e32 v44, 24, v38
	v_bfrev_b32_e32 v45, 60
	v_lshlrev_b32_e32 v43, 20, v43
	v_and_b32_e32 v44, 0x80000000, v44
	v_lshl_add_u32 v42, v42, 23, v45
	v_or3_b32 v52, v44, v42, v43
.LBB556_113:
	s_or_b64 exec, exec, s[10:11]
.LBB556_114:
	s_or_b64 exec, exec, s[8:9]
.LBB556_115:
	s_or_b64 exec, exec, s[2:3]
	s_nop 3
	v_lshrrev_b16_e32 v42, 8, v38
	v_cmp_ne_u16_e32 vcc, 0, v42
	v_mov_b32_e32 v43, 0
	v_mov_b32_e32 v44, 0
	s_and_saveexec_b64 s[2:3], vcc
	s_cbranch_execz .LBB556_121
; %bb.116:
	s_movk_i32 s8, 0x80
	v_cmp_ne_u16_e32 vcc, s8, v42
	v_bfrev_b32_e32 v44, 1
	s_and_saveexec_b64 s[8:9], vcc
	s_cbranch_execz .LBB556_120
; %bb.117:
	s_movk_i32 s10, 0x7f
	v_and_b32_e32 v45, 0x7f, v42
	v_cmp_ne_u32_e32 vcc, s10, v45
	v_mov_b32_e32 v44, 0x7f800001
	s_and_saveexec_b64 s[10:11], vcc
	s_cbranch_execz .LBB556_119
; %bb.118:
	v_and_b32_e32 v44, 7, v42
	v_ffbh_u32_e32 v53, v44
	v_min_u32_e32 v53, 32, v53
	v_subrev_u32_e32 v54, 28, v53
	v_lshlrev_b64 v[54:55], v54, v[42:43]
	v_lshrrev_b32_e32 v51, 3, v45
	v_sub_u32_e32 v42, 29, v53
	v_and_b32_e32 v53, 7, v54
	v_cmp_gt_u32_e32 vcc, 8, v45
	v_cndmask_b32_e32 v42, v51, v42, vcc
	v_cndmask_b32_e32 v44, v44, v53, vcc
	v_lshlrev_b32_e32 v45, 16, v38
	v_bfrev_b32_e32 v51, 60
	v_lshlrev_b32_e32 v44, 20, v44
	v_and_b32_e32 v45, 0x80000000, v45
	v_lshl_add_u32 v42, v42, 23, v51
	v_or3_b32 v44, v45, v42, v44
.LBB556_119:
	s_or_b64 exec, exec, s[10:11]
.LBB556_120:
	s_or_b64 exec, exec, s[8:9]
.LBB556_121:
	s_or_b64 exec, exec, s[2:3]
	s_movk_i32 s2, 0xff
	v_and_b32_sdwa v45, v38, s2 dst_sel:DWORD dst_unused:UNUSED_PAD src0_sel:WORD_1 src1_sel:DWORD
	v_lshrrev_b32_e32 v42, 16, v38
	v_cmp_ne_u16_e32 vcc, 0, v45
	s_and_saveexec_b64 s[2:3], vcc
	s_cbranch_execz .LBB556_127
; %bb.122:
	s_movk_i32 s8, 0x80
	v_cmp_ne_u16_e32 vcc, s8, v45
	v_bfrev_b32_e32 v43, 1
	s_and_saveexec_b64 s[8:9], vcc
	s_cbranch_execz .LBB556_126
; %bb.123:
	v_bfe_u32 v45, v38, 16, 7
	s_movk_i32 s10, 0x7f
	v_cmp_ne_u32_e32 vcc, s10, v45
	v_mov_b32_e32 v43, 0x7f800001
	s_and_saveexec_b64 s[10:11], vcc
	s_cbranch_execz .LBB556_125
; %bb.124:
	v_and_b32_e32 v51, 7, v42
	v_ffbh_u32_e32 v43, v51
	v_min_u32_e32 v54, 32, v43
	v_subrev_u32_e32 v43, 28, v54
	v_lshlrev_b64 v[42:43], v43, v[42:43]
	v_lshrrev_b32_e32 v53, 3, v45
	v_sub_u32_e32 v43, 29, v54
	v_and_b32_e32 v42, 7, v42
	v_cmp_gt_u32_e32 vcc, 8, v45
	v_mov_b32_e32 v45, 24
	v_cndmask_b32_e32 v43, v53, v43, vcc
	v_cndmask_b32_e32 v42, v51, v42, vcc
	v_lshlrev_b32_sdwa v45, v45, v38 dst_sel:DWORD dst_unused:UNUSED_PAD src0_sel:DWORD src1_sel:WORD_1
	v_bfrev_b32_e32 v51, 60
	v_lshlrev_b32_e32 v42, 20, v42
	v_and_b32_e32 v45, 0x80000000, v45
	v_lshl_add_u32 v43, v43, 23, v51
	v_or3_b32 v43, v45, v43, v42
.LBB556_125:
	s_or_b64 exec, exec, s[10:11]
.LBB556_126:
	s_or_b64 exec, exec, s[8:9]
.LBB556_127:
	s_or_b64 exec, exec, s[2:3]
	s_mov_b32 s2, 0xffffff
	v_cmp_lt_u32_e32 vcc, s2, v38
	v_mov_b32_e32 v45, 0
	v_mov_b32_e32 v53, 0
	s_and_saveexec_b64 s[2:3], vcc
	s_cbranch_execz .LBB556_133
; %bb.128:
	v_lshrrev_b32_e32 v42, 24, v38
	s_movk_i32 s8, 0x80
	v_cmp_ne_u32_e32 vcc, s8, v42
	v_bfrev_b32_e32 v53, 1
	s_and_saveexec_b64 s[8:9], vcc
	s_cbranch_execz .LBB556_132
; %bb.129:
	v_bfe_u32 v38, v38, 24, 7
	s_movk_i32 s10, 0x7f
	v_cmp_ne_u32_e32 vcc, s10, v38
	v_mov_b32_e32 v53, 0x7f800001
	s_and_saveexec_b64 s[10:11], vcc
	s_cbranch_execz .LBB556_131
; %bb.130:
	v_and_b32_e32 v51, 7, v42
	v_ffbh_u32_e32 v54, v51
	v_min_u32_e32 v56, 32, v54
	v_subrev_u32_e32 v54, 28, v56
	v_lshlrev_b64 v[54:55], v54, v[42:43]
	v_lshrrev_b32_e32 v53, 3, v38
	v_sub_u32_e32 v55, 29, v56
	v_and_b32_e32 v54, 7, v54
	v_cmp_gt_u32_e32 vcc, 8, v38
	v_cndmask_b32_e32 v38, v53, v55, vcc
	v_cndmask_b32_e32 v51, v51, v54, vcc
	v_lshlrev_b32_e32 v42, 24, v42
	v_bfrev_b32_e32 v53, 60
	v_lshlrev_b32_e32 v51, 20, v51
	v_and_b32_e32 v42, 0x80000000, v42
	v_lshl_add_u32 v38, v38, 23, v53
	v_or3_b32 v53, v42, v38, v51
.LBB556_131:
	s_or_b64 exec, exec, s[10:11]
.LBB556_132:
	s_or_b64 exec, exec, s[8:9]
.LBB556_133:
	s_or_b64 exec, exec, s[2:3]
	v_cmp_ne_u16_sdwa s[8:9], v39, v45 src0_sel:BYTE_0 src1_sel:DWORD
	s_and_saveexec_b64 s[2:3], s[8:9]
	s_cbranch_execz .LBB556_139
; %bb.134:
	s_movk_i32 s8, 0x80
	v_cmp_ne_u16_sdwa s[10:11], v39, s8 src0_sel:BYTE_0 src1_sel:DWORD
	v_bfrev_b32_e32 v45, 1
	s_and_saveexec_b64 s[8:9], s[10:11]
	s_cbranch_execz .LBB556_138
; %bb.135:
	s_movk_i32 s10, 0x7f
	v_and_b32_e32 v38, 0x7f, v39
	v_cmp_ne_u32_e32 vcc, s10, v38
	v_mov_b32_e32 v45, 0x7f800001
	s_and_saveexec_b64 s[10:11], vcc
	s_cbranch_execz .LBB556_137
; %bb.136:
	v_and_b32_e32 v45, 7, v39
	v_ffbh_u32_e32 v54, v45
	v_min_u32_e32 v56, 32, v54
	v_mov_b32_e32 v42, v39
	v_subrev_u32_e32 v54, 28, v56
	v_lshlrev_b64 v[54:55], v54, v[42:43]
	v_lshrrev_b32_e32 v51, 3, v38
	v_sub_u32_e32 v42, 29, v56
	v_and_b32_e32 v54, 7, v54
	v_cmp_gt_u32_e32 vcc, 8, v38
	v_cndmask_b32_e32 v38, v51, v42, vcc
	v_cndmask_b32_e32 v42, v45, v54, vcc
	v_lshlrev_b32_e32 v45, 24, v39
	v_bfrev_b32_e32 v51, 60
	v_lshlrev_b32_e32 v42, 20, v42
	v_and_b32_e32 v45, 0x80000000, v45
	v_lshl_add_u32 v38, v38, 23, v51
	v_or3_b32 v45, v45, v38, v42
.LBB556_137:
	s_or_b64 exec, exec, s[10:11]
.LBB556_138:
	s_or_b64 exec, exec, s[8:9]
.LBB556_139:
	s_or_b64 exec, exec, s[2:3]
	v_lshrrev_b16_e32 v38, 8, v39
	v_cmp_ne_u16_e32 vcc, 0, v38
	v_mov_b32_e32 v42, 0
	v_mov_b32_e32 v54, 0
	s_and_saveexec_b64 s[2:3], vcc
	s_cbranch_execz .LBB556_145
; %bb.140:
	s_movk_i32 s8, 0x80
	v_cmp_ne_u16_e32 vcc, s8, v38
	v_bfrev_b32_e32 v54, 1
	s_and_saveexec_b64 s[8:9], vcc
	s_cbranch_execz .LBB556_144
; %bb.141:
	s_movk_i32 s10, 0x7f
	v_and_b32_e32 v51, 0x7f, v38
	v_cmp_ne_u32_e32 vcc, s10, v51
	v_mov_b32_e32 v54, 0x7f800001
	s_and_saveexec_b64 s[10:11], vcc
	s_cbranch_execz .LBB556_143
; %bb.142:
	v_and_b32_e32 v56, 7, v38
	v_ffbh_u32_e32 v54, v56
	v_min_u32_e32 v58, 32, v54
	v_subrev_u32_e32 v54, 28, v58
	v_lshlrev_b64 v[54:55], v54, v[38:39]
	v_lshrrev_b32_e32 v57, 3, v51
	v_sub_u32_e32 v38, 29, v58
	v_and_b32_e32 v54, 7, v54
	v_cmp_gt_u32_e32 vcc, 8, v51
	v_cndmask_b32_e32 v38, v57, v38, vcc
	v_cndmask_b32_e32 v51, v56, v54, vcc
	v_lshlrev_b32_e32 v54, 16, v39
	v_bfrev_b32_e32 v55, 60
	v_lshlrev_b32_e32 v51, 20, v51
	v_and_b32_e32 v54, 0x80000000, v54
	v_lshl_add_u32 v38, v38, 23, v55
	v_or3_b32 v54, v54, v38, v51
.LBB556_143:
	s_or_b64 exec, exec, s[10:11]
.LBB556_144:
	s_or_b64 exec, exec, s[8:9]
.LBB556_145:
	s_or_b64 exec, exec, s[2:3]
	s_movk_i32 s2, 0xff
	v_and_b32_sdwa v51, v39, s2 dst_sel:DWORD dst_unused:UNUSED_PAD src0_sel:WORD_1 src1_sel:DWORD
	v_lshrrev_b32_e32 v38, 16, v39
	v_cmp_ne_u16_e32 vcc, 0, v51
	s_and_saveexec_b64 s[2:3], vcc
	s_cbranch_execz .LBB556_151
; %bb.146:
	s_movk_i32 s8, 0x80
	v_cmp_ne_u16_e32 vcc, s8, v51
	v_bfrev_b32_e32 v42, 1
	s_and_saveexec_b64 s[8:9], vcc
	s_cbranch_execz .LBB556_150
; %bb.147:
	v_bfe_u32 v51, v39, 16, 7
	s_movk_i32 s10, 0x7f
	v_cmp_ne_u32_e32 vcc, s10, v51
	v_mov_b32_e32 v42, 0x7f800001
	s_and_saveexec_b64 s[10:11], vcc
	s_cbranch_execz .LBB556_149
; %bb.148:
	v_and_b32_e32 v42, 7, v38
	v_ffbh_u32_e32 v56, v42
	v_min_u32_e32 v58, 32, v56
	v_subrev_u32_e32 v56, 28, v58
	v_lshlrev_b64 v[56:57], v56, v[38:39]
	v_lshrrev_b32_e32 v55, 3, v51
	v_sub_u32_e32 v38, 29, v58
	v_and_b32_e32 v56, 7, v56
	v_cmp_gt_u32_e32 vcc, 8, v51
	v_mov_b32_e32 v51, 24
	v_cndmask_b32_e32 v38, v55, v38, vcc
	v_cndmask_b32_e32 v42, v42, v56, vcc
	v_lshlrev_b32_sdwa v51, v51, v39 dst_sel:DWORD dst_unused:UNUSED_PAD src0_sel:DWORD src1_sel:WORD_1
	v_bfrev_b32_e32 v55, 60
	v_lshlrev_b32_e32 v42, 20, v42
	v_and_b32_e32 v51, 0x80000000, v51
	v_lshl_add_u32 v38, v38, 23, v55
	v_or3_b32 v42, v51, v38, v42
.LBB556_149:
	s_or_b64 exec, exec, s[10:11]
.LBB556_150:
	s_or_b64 exec, exec, s[8:9]
.LBB556_151:
	s_or_b64 exec, exec, s[2:3]
	s_mov_b32 s2, 0xffffff
	v_cmp_lt_u32_e32 vcc, s2, v39
	v_mov_b32_e32 v51, 0
	v_mov_b32_e32 v55, 0
	s_and_saveexec_b64 s[2:3], vcc
	s_cbranch_execz .LBB556_157
; %bb.152:
	v_lshrrev_b32_e32 v38, 24, v39
	s_movk_i32 s8, 0x80
	v_cmp_ne_u32_e32 vcc, s8, v38
	v_bfrev_b32_e32 v55, 1
	s_and_saveexec_b64 s[8:9], vcc
	s_cbranch_execz .LBB556_156
; %bb.153:
	v_bfe_u32 v39, v39, 24, 7
	s_movk_i32 s10, 0x7f
	v_cmp_ne_u32_e32 vcc, s10, v39
	v_mov_b32_e32 v55, 0x7f800001
	s_and_saveexec_b64 s[10:11], vcc
	s_cbranch_execz .LBB556_155
; %bb.154:
	v_and_b32_e32 v55, 7, v38
	v_ffbh_u32_e32 v56, v55
	v_min_u32_e32 v59, 32, v56
	v_subrev_u32_e32 v56, 28, v59
	v_lshlrev_b64 v[56:57], v56, v[38:39]
	v_lshrrev_b32_e32 v58, 3, v39
	v_sub_u32_e32 v57, 29, v59
	v_and_b32_e32 v56, 7, v56
	v_cmp_gt_u32_e32 vcc, 8, v39
	v_cndmask_b32_e32 v39, v58, v57, vcc
	v_cndmask_b32_e32 v55, v55, v56, vcc
	v_lshlrev_b32_e32 v38, 24, v38
	v_bfrev_b32_e32 v56, 60
	v_lshlrev_b32_e32 v55, 20, v55
	v_and_b32_e32 v38, 0x80000000, v38
	v_lshl_add_u32 v39, v39, 23, v56
	v_or3_b32 v55, v38, v39, v55
.LBB556_155:
	s_or_b64 exec, exec, s[10:11]
.LBB556_156:
	s_or_b64 exec, exec, s[8:9]
.LBB556_157:
	s_or_b64 exec, exec, s[2:3]
	v_cvt_pkrtz_f16_f32 v38, v52, v44
	v_cvt_pkrtz_f16_f32 v39, v43, v53
	v_cmp_ne_u16_sdwa s[8:9], v40, v51 src0_sel:BYTE_0 src1_sel:DWORD
	s_nop 0
	v_mfma_f32_16x16x16f16 v[56:59], v[38:39], v[26:27], 0
	v_cvt_pkrtz_f16_f32 v38, v45, v54
	v_cvt_pkrtz_f16_f32 v39, v42, v55
	s_nop 1
	v_mfma_f32_16x16x16f16 v[42:45], v[38:39], v[28:29], v[56:59]
	s_and_saveexec_b64 s[2:3], s[8:9]
	s_cbranch_execz .LBB556_163
; %bb.158:
	s_movk_i32 s8, 0x80
	v_cmp_ne_u16_sdwa s[10:11], v40, s8 src0_sel:BYTE_0 src1_sel:DWORD
	v_bfrev_b32_e32 v51, 1
	s_and_saveexec_b64 s[8:9], s[10:11]
	s_cbranch_execz .LBB556_162
; %bb.159:
	s_movk_i32 s10, 0x7f
	v_and_b32_e32 v38, 0x7f, v40
	v_cmp_ne_u32_e32 vcc, s10, v38
	v_mov_b32_e32 v51, 0x7f800001
	s_and_saveexec_b64 s[10:11], vcc
	s_cbranch_execz .LBB556_161
; %bb.160:
	v_and_b32_e32 v39, 7, v40
	v_ffbh_u32_e32 v52, v39
	v_min_u32_e32 v54, 32, v52
	v_subrev_u32_e32 v52, 28, v54
	v_lshlrev_b64 v[52:53], v52, v[40:41]
	v_lshrrev_b32_e32 v51, 3, v38
	v_sub_u32_e32 v53, 29, v54
	v_and_b32_e32 v52, 7, v52
	v_cmp_gt_u32_e32 vcc, 8, v38
	v_cndmask_b32_e32 v38, v51, v53, vcc
	v_cndmask_b32_e32 v39, v39, v52, vcc
	v_lshlrev_b32_e32 v51, 24, v40
	v_bfrev_b32_e32 v52, 60
	v_lshlrev_b32_e32 v39, 20, v39
	v_and_b32_e32 v51, 0x80000000, v51
	v_lshl_add_u32 v38, v38, 23, v52
	v_or3_b32 v51, v51, v38, v39
.LBB556_161:
	s_or_b64 exec, exec, s[10:11]
.LBB556_162:
	s_or_b64 exec, exec, s[8:9]
.LBB556_163:
	s_or_b64 exec, exec, s[2:3]
	v_lshrrev_b16_e32 v38, 8, v40
	v_cmp_ne_u16_e32 vcc, 0, v38
	v_mov_b32_e32 v39, 0
	v_mov_b32_e32 v53, 0
	s_and_saveexec_b64 s[2:3], vcc
	s_cbranch_execz .LBB556_169
; %bb.164:
	s_movk_i32 s8, 0x80
	v_cmp_ne_u16_e32 vcc, s8, v38
	v_bfrev_b32_e32 v53, 1
	s_and_saveexec_b64 s[8:9], vcc
	s_cbranch_execz .LBB556_168
; %bb.165:
	s_movk_i32 s10, 0x7f
	v_and_b32_e32 v52, 0x7f, v38
	v_cmp_ne_u32_e32 vcc, s10, v52
	v_mov_b32_e32 v53, 0x7f800001
	s_and_saveexec_b64 s[10:11], vcc
	s_cbranch_execz .LBB556_167
; %bb.166:
	v_and_b32_e32 v53, 7, v38
	v_ffbh_u32_e32 v54, v53
	v_min_u32_e32 v57, 32, v54
	v_subrev_u32_e32 v54, 28, v57
	v_lshlrev_b64 v[54:55], v54, v[38:39]
	v_lshrrev_b32_e32 v56, 3, v52
	v_sub_u32_e32 v38, 29, v57
	v_and_b32_e32 v54, 7, v54
	v_cmp_gt_u32_e32 vcc, 8, v52
	v_cndmask_b32_e32 v38, v56, v38, vcc
	v_cndmask_b32_e32 v52, v53, v54, vcc
	v_lshlrev_b32_e32 v53, 16, v40
	v_bfrev_b32_e32 v54, 60
	v_lshlrev_b32_e32 v52, 20, v52
	v_and_b32_e32 v53, 0x80000000, v53
	v_lshl_add_u32 v38, v38, 23, v54
	v_or3_b32 v53, v53, v38, v52
.LBB556_167:
	s_or_b64 exec, exec, s[10:11]
.LBB556_168:
	s_or_b64 exec, exec, s[8:9]
.LBB556_169:
	s_or_b64 exec, exec, s[2:3]
	s_movk_i32 s2, 0xff
	v_and_b32_sdwa v52, v40, s2 dst_sel:DWORD dst_unused:UNUSED_PAD src0_sel:WORD_1 src1_sel:DWORD
	v_lshrrev_b32_e32 v38, 16, v40
	v_cmp_ne_u16_e32 vcc, 0, v52
	s_and_saveexec_b64 s[2:3], vcc
	s_cbranch_execz .LBB556_175
; %bb.170:
	s_movk_i32 s8, 0x80
	v_cmp_ne_u16_e32 vcc, s8, v52
	v_bfrev_b32_e32 v39, 1
	s_and_saveexec_b64 s[8:9], vcc
	s_cbranch_execz .LBB556_174
; %bb.171:
	v_bfe_u32 v52, v40, 16, 7
	s_movk_i32 s10, 0x7f
	v_cmp_ne_u32_e32 vcc, s10, v52
	v_mov_b32_e32 v39, 0x7f800001
	s_and_saveexec_b64 s[10:11], vcc
	s_cbranch_execz .LBB556_173
; %bb.172:
	v_and_b32_e32 v54, 7, v38
	v_ffbh_u32_e32 v39, v54
	v_min_u32_e32 v56, 32, v39
	v_subrev_u32_e32 v39, 28, v56
	v_lshlrev_b64 v[38:39], v39, v[38:39]
	v_lshrrev_b32_e32 v55, 3, v52
	v_sub_u32_e32 v39, 29, v56
	v_and_b32_e32 v38, 7, v38
	v_cmp_gt_u32_e32 vcc, 8, v52
	v_mov_b32_e32 v52, 24
	v_cndmask_b32_e32 v39, v55, v39, vcc
	v_cndmask_b32_e32 v38, v54, v38, vcc
	v_lshlrev_b32_sdwa v52, v52, v40 dst_sel:DWORD dst_unused:UNUSED_PAD src0_sel:DWORD src1_sel:WORD_1
	v_bfrev_b32_e32 v54, 60
	v_lshlrev_b32_e32 v38, 20, v38
	v_and_b32_e32 v52, 0x80000000, v52
	v_lshl_add_u32 v39, v39, 23, v54
	v_or3_b32 v39, v52, v39, v38
.LBB556_173:
	s_or_b64 exec, exec, s[10:11]
.LBB556_174:
	s_or_b64 exec, exec, s[8:9]
.LBB556_175:
	s_or_b64 exec, exec, s[2:3]
	s_mov_b32 s2, 0xffffff
	v_cmp_lt_u32_e32 vcc, s2, v40
	v_mov_b32_e32 v54, 0
	v_mov_b32_e32 v55, 0
	s_and_saveexec_b64 s[2:3], vcc
	s_cbranch_execz .LBB556_181
; %bb.176:
	v_lshrrev_b32_e32 v38, 24, v40
	s_movk_i32 s8, 0x80
	v_cmp_ne_u32_e32 vcc, s8, v38
	v_bfrev_b32_e32 v55, 1
	s_and_saveexec_b64 s[8:9], vcc
	s_cbranch_execz .LBB556_180
; %bb.177:
	v_bfe_u32 v40, v40, 24, 7
	s_movk_i32 s10, 0x7f
	v_cmp_ne_u32_e32 vcc, s10, v40
	v_mov_b32_e32 v55, 0x7f800001
	s_and_saveexec_b64 s[10:11], vcc
	s_cbranch_execz .LBB556_179
; %bb.178:
	v_and_b32_e32 v52, 7, v38
	v_ffbh_u32_e32 v56, v52
	v_min_u32_e32 v58, 32, v56
	v_subrev_u32_e32 v56, 28, v58
	v_lshlrev_b64 v[56:57], v56, v[38:39]
	v_lshrrev_b32_e32 v55, 3, v40
	v_sub_u32_e32 v57, 29, v58
	v_and_b32_e32 v56, 7, v56
	v_cmp_gt_u32_e32 vcc, 8, v40
	v_cndmask_b32_e32 v40, v55, v57, vcc
	v_cndmask_b32_e32 v52, v52, v56, vcc
	v_lshlrev_b32_e32 v38, 24, v38
	v_bfrev_b32_e32 v55, 60
	v_lshlrev_b32_e32 v52, 20, v52
	v_and_b32_e32 v38, 0x80000000, v38
	v_lshl_add_u32 v40, v40, 23, v55
	v_or3_b32 v55, v38, v40, v52
.LBB556_179:
	s_or_b64 exec, exec, s[10:11]
.LBB556_180:
	s_or_b64 exec, exec, s[8:9]
.LBB556_181:
	s_or_b64 exec, exec, s[2:3]
	v_cmp_ne_u16_sdwa s[8:9], v41, v54 src0_sel:BYTE_0 src1_sel:DWORD
	s_and_saveexec_b64 s[2:3], s[8:9]
	s_cbranch_execz .LBB556_187
; %bb.182:
	s_movk_i32 s8, 0x80
	v_cmp_ne_u16_sdwa s[10:11], v41, s8 src0_sel:BYTE_0 src1_sel:DWORD
	v_bfrev_b32_e32 v54, 1
	s_and_saveexec_b64 s[8:9], s[10:11]
	s_cbranch_execz .LBB556_186
; %bb.183:
	s_movk_i32 s10, 0x7f
	v_and_b32_e32 v38, 0x7f, v41
	v_cmp_ne_u32_e32 vcc, s10, v38
	v_mov_b32_e32 v54, 0x7f800001
	s_and_saveexec_b64 s[10:11], vcc
	s_cbranch_execz .LBB556_185
; %bb.184:
	v_and_b32_e32 v52, 7, v41
	v_ffbh_u32_e32 v56, v52
	v_min_u32_e32 v58, 32, v56
	v_mov_b32_e32 v40, v41
	v_subrev_u32_e32 v56, 28, v58
	v_lshlrev_b64 v[56:57], v56, v[40:41]
	v_lshrrev_b32_e32 v54, 3, v38
	v_sub_u32_e32 v40, 29, v58
	v_and_b32_e32 v56, 7, v56
	v_cmp_gt_u32_e32 vcc, 8, v38
	v_cndmask_b32_e32 v38, v54, v40, vcc
	v_cndmask_b32_e32 v40, v52, v56, vcc
	v_lshlrev_b32_e32 v52, 24, v41
	v_bfrev_b32_e32 v54, 60
	v_lshlrev_b32_e32 v40, 20, v40
	v_and_b32_e32 v52, 0x80000000, v52
	v_lshl_add_u32 v38, v38, 23, v54
	v_or3_b32 v54, v52, v38, v40
.LBB556_185:
	s_or_b64 exec, exec, s[10:11]
.LBB556_186:
	s_or_b64 exec, exec, s[8:9]
.LBB556_187:
	s_or_b64 exec, exec, s[2:3]
	v_lshrrev_b16_e32 v38, 8, v41
	v_cmp_ne_u16_e32 vcc, 0, v38
	v_mov_b32_e32 v40, 0
	v_mov_b32_e32 v56, 0
	s_and_saveexec_b64 s[2:3], vcc
	s_cbranch_execz .LBB556_193
; %bb.188:
	s_movk_i32 s8, 0x80
	v_cmp_ne_u16_e32 vcc, s8, v38
	v_bfrev_b32_e32 v56, 1
	s_and_saveexec_b64 s[8:9], vcc
	s_cbranch_execz .LBB556_192
; %bb.189:
	s_movk_i32 s10, 0x7f
	v_and_b32_e32 v52, 0x7f, v38
	v_cmp_ne_u32_e32 vcc, s10, v52
	v_mov_b32_e32 v56, 0x7f800001
	s_and_saveexec_b64 s[10:11], vcc
	s_cbranch_execz .LBB556_191
; %bb.190:
	v_and_b32_e32 v58, 7, v38
	v_ffbh_u32_e32 v56, v58
	v_min_u32_e32 v60, 32, v56
	v_subrev_u32_e32 v56, 28, v60
	v_lshlrev_b64 v[56:57], v56, v[38:39]
	v_lshrrev_b32_e32 v59, 3, v52
	v_sub_u32_e32 v38, 29, v60
	v_and_b32_e32 v56, 7, v56
	v_cmp_gt_u32_e32 vcc, 8, v52
	v_cndmask_b32_e32 v38, v59, v38, vcc
	v_cndmask_b32_e32 v52, v58, v56, vcc
	v_lshlrev_b32_e32 v56, 16, v41
	v_bfrev_b32_e32 v57, 60
	v_lshlrev_b32_e32 v52, 20, v52
	v_and_b32_e32 v56, 0x80000000, v56
	v_lshl_add_u32 v38, v38, 23, v57
	v_or3_b32 v56, v56, v38, v52
.LBB556_191:
	s_or_b64 exec, exec, s[10:11]
.LBB556_192:
	s_or_b64 exec, exec, s[8:9]
.LBB556_193:
	s_or_b64 exec, exec, s[2:3]
	s_movk_i32 s2, 0xff
	v_and_b32_sdwa v52, v41, s2 dst_sel:DWORD dst_unused:UNUSED_PAD src0_sel:WORD_1 src1_sel:DWORD
	v_lshrrev_b32_e32 v38, 16, v41
	v_cmp_ne_u16_e32 vcc, 0, v52
	s_and_saveexec_b64 s[2:3], vcc
	s_cbranch_execz .LBB556_199
; %bb.194:
	s_movk_i32 s8, 0x80
	v_cmp_ne_u16_e32 vcc, s8, v52
	v_bfrev_b32_e32 v40, 1
	s_and_saveexec_b64 s[8:9], vcc
	s_cbranch_execz .LBB556_198
; %bb.195:
	v_bfe_u32 v52, v41, 16, 7
	s_movk_i32 s10, 0x7f
	v_cmp_ne_u32_e32 vcc, s10, v52
	v_mov_b32_e32 v40, 0x7f800001
	s_and_saveexec_b64 s[10:11], vcc
	s_cbranch_execz .LBB556_197
; %bb.196:
	v_and_b32_e32 v40, 7, v38
	v_ffbh_u32_e32 v58, v40
	v_min_u32_e32 v60, 32, v58
	v_subrev_u32_e32 v58, 28, v60
	v_lshlrev_b64 v[58:59], v58, v[38:39]
	v_lshrrev_b32_e32 v57, 3, v52
	v_sub_u32_e32 v38, 29, v60
	v_and_b32_e32 v58, 7, v58
	v_cmp_gt_u32_e32 vcc, 8, v52
	v_mov_b32_e32 v52, 24
	v_cndmask_b32_e32 v38, v57, v38, vcc
	v_cndmask_b32_e32 v40, v40, v58, vcc
	v_lshlrev_b32_sdwa v52, v52, v41 dst_sel:DWORD dst_unused:UNUSED_PAD src0_sel:DWORD src1_sel:WORD_1
	v_bfrev_b32_e32 v57, 60
	v_lshlrev_b32_e32 v40, 20, v40
	v_and_b32_e32 v52, 0x80000000, v52
	v_lshl_add_u32 v38, v38, 23, v57
	v_or3_b32 v40, v52, v38, v40
.LBB556_197:
	s_or_b64 exec, exec, s[10:11]
.LBB556_198:
	s_or_b64 exec, exec, s[8:9]
.LBB556_199:
	s_or_b64 exec, exec, s[2:3]
	s_mov_b32 s2, 0xffffff
	v_cmp_lt_u32_e32 vcc, s2, v41
	v_mov_b32_e32 v52, 0
	v_mov_b32_e32 v57, 0
	s_and_saveexec_b64 s[2:3], vcc
	s_cbranch_execz .LBB556_205
; %bb.200:
	v_lshrrev_b32_e32 v38, 24, v41
	s_movk_i32 s8, 0x80
	v_cmp_ne_u32_e32 vcc, s8, v38
	v_bfrev_b32_e32 v57, 1
	s_and_saveexec_b64 s[8:9], vcc
	s_cbranch_execz .LBB556_204
; %bb.201:
	v_bfe_u32 v41, v41, 24, 7
	s_movk_i32 s10, 0x7f
	v_cmp_ne_u32_e32 vcc, s10, v41
	v_mov_b32_e32 v57, 0x7f800001
	s_and_saveexec_b64 s[10:11], vcc
	s_cbranch_execz .LBB556_203
; %bb.202:
	v_and_b32_e32 v57, 7, v38
	v_ffbh_u32_e32 v58, v57
	v_min_u32_e32 v61, 32, v58
	v_subrev_u32_e32 v58, 28, v61
	v_lshlrev_b64 v[58:59], v58, v[38:39]
	v_lshrrev_b32_e32 v60, 3, v41
	v_sub_u32_e32 v59, 29, v61
	v_and_b32_e32 v58, 7, v58
	v_cmp_gt_u32_e32 vcc, 8, v41
	v_cndmask_b32_e32 v41, v60, v59, vcc
	v_cndmask_b32_e32 v57, v57, v58, vcc
	v_lshlrev_b32_e32 v38, 24, v38
	v_bfrev_b32_e32 v58, 60
	v_lshlrev_b32_e32 v57, 20, v57
	v_and_b32_e32 v38, 0x80000000, v38
	v_lshl_add_u32 v41, v41, 23, v58
	v_or3_b32 v57, v38, v41, v57
.LBB556_203:
	s_or_b64 exec, exec, s[10:11]
.LBB556_204:
	s_or_b64 exec, exec, s[8:9]
.LBB556_205:
	s_or_b64 exec, exec, s[2:3]
	v_cvt_pkrtz_f16_f32 v38, v51, v53
	v_cvt_pkrtz_f16_f32 v39, v39, v55
	v_cmp_ne_u16_sdwa s[8:9], v30, v52 src0_sel:BYTE_0 src1_sel:DWORD
	s_nop 0
	v_mfma_f32_16x16x16f16 v[42:45], v[38:39], v[18:19], v[42:45]
	v_cvt_pkrtz_f16_f32 v38, v54, v56
	v_cvt_pkrtz_f16_f32 v39, v40, v57
	s_nop 1
	v_mfma_f32_16x16x16f16 v[38:41], v[38:39], v[20:21], v[42:45]
	s_and_saveexec_b64 s[2:3], s[8:9]
	s_cbranch_execz .LBB556_211
; %bb.206:
	s_movk_i32 s8, 0x80
	v_cmp_ne_u16_sdwa s[10:11], v30, s8 src0_sel:BYTE_0 src1_sel:DWORD
	v_bfrev_b32_e32 v52, 1
	s_and_saveexec_b64 s[8:9], s[10:11]
	s_cbranch_execz .LBB556_210
; %bb.207:
	s_movk_i32 s10, 0x7f
	v_and_b32_e32 v42, 0x7f, v30
	v_cmp_ne_u32_e32 vcc, s10, v42
	v_mov_b32_e32 v52, 0x7f800001
	s_and_saveexec_b64 s[10:11], vcc
	s_cbranch_execz .LBB556_209
; %bb.208:
	v_and_b32_e32 v43, 7, v30
	v_ffbh_u32_e32 v44, v43
	v_min_u32_e32 v52, 32, v44
	v_subrev_u32_e32 v44, 28, v52
	v_lshlrev_b64 v[44:45], v44, v[30:31]
	v_lshrrev_b32_e32 v51, 3, v42
	v_sub_u32_e32 v45, 29, v52
	v_and_b32_e32 v44, 7, v44
	v_cmp_gt_u32_e32 vcc, 8, v42
	v_cndmask_b32_e32 v42, v51, v45, vcc
	v_cndmask_b32_e32 v43, v43, v44, vcc
	v_lshlrev_b32_e32 v44, 24, v30
	v_bfrev_b32_e32 v45, 60
	v_lshlrev_b32_e32 v43, 20, v43
	v_and_b32_e32 v44, 0x80000000, v44
	v_lshl_add_u32 v42, v42, 23, v45
	v_or3_b32 v52, v44, v42, v43
.LBB556_209:
	s_or_b64 exec, exec, s[10:11]
.LBB556_210:
	s_or_b64 exec, exec, s[8:9]
.LBB556_211:
	s_or_b64 exec, exec, s[2:3]
	s_nop 3
	v_lshrrev_b16_e32 v42, 8, v30
	v_cmp_ne_u16_e32 vcc, 0, v42
	v_mov_b32_e32 v43, 0
	v_mov_b32_e32 v44, 0
	s_and_saveexec_b64 s[2:3], vcc
	s_cbranch_execz .LBB556_217
; %bb.212:
	s_movk_i32 s8, 0x80
	v_cmp_ne_u16_e32 vcc, s8, v42
	v_bfrev_b32_e32 v44, 1
	s_and_saveexec_b64 s[8:9], vcc
	s_cbranch_execz .LBB556_216
; %bb.213:
	s_movk_i32 s10, 0x7f
	v_and_b32_e32 v45, 0x7f, v42
	v_cmp_ne_u32_e32 vcc, s10, v45
	v_mov_b32_e32 v44, 0x7f800001
	s_and_saveexec_b64 s[10:11], vcc
	s_cbranch_execz .LBB556_215
; %bb.214:
	v_and_b32_e32 v44, 7, v42
	v_ffbh_u32_e32 v53, v44
	v_min_u32_e32 v53, 32, v53
	v_subrev_u32_e32 v54, 28, v53
	v_lshlrev_b64 v[54:55], v54, v[42:43]
	v_lshrrev_b32_e32 v51, 3, v45
	v_sub_u32_e32 v42, 29, v53
	v_and_b32_e32 v53, 7, v54
	v_cmp_gt_u32_e32 vcc, 8, v45
	v_cndmask_b32_e32 v42, v51, v42, vcc
	v_cndmask_b32_e32 v44, v44, v53, vcc
	v_lshlrev_b32_e32 v45, 16, v30
	v_bfrev_b32_e32 v51, 60
	v_lshlrev_b32_e32 v44, 20, v44
	v_and_b32_e32 v45, 0x80000000, v45
	v_lshl_add_u32 v42, v42, 23, v51
	v_or3_b32 v44, v45, v42, v44
.LBB556_215:
	s_or_b64 exec, exec, s[10:11]
.LBB556_216:
	s_or_b64 exec, exec, s[8:9]
.LBB556_217:
	s_or_b64 exec, exec, s[2:3]
	s_movk_i32 s2, 0xff
	v_and_b32_sdwa v45, v30, s2 dst_sel:DWORD dst_unused:UNUSED_PAD src0_sel:WORD_1 src1_sel:DWORD
	v_lshrrev_b32_e32 v42, 16, v30
	v_cmp_ne_u16_e32 vcc, 0, v45
	s_and_saveexec_b64 s[2:3], vcc
	s_cbranch_execz .LBB556_223
; %bb.218:
	s_movk_i32 s8, 0x80
	v_cmp_ne_u16_e32 vcc, s8, v45
	v_bfrev_b32_e32 v43, 1
	s_and_saveexec_b64 s[8:9], vcc
	s_cbranch_execz .LBB556_222
; %bb.219:
	v_bfe_u32 v45, v30, 16, 7
	s_movk_i32 s10, 0x7f
	v_cmp_ne_u32_e32 vcc, s10, v45
	v_mov_b32_e32 v43, 0x7f800001
	s_and_saveexec_b64 s[10:11], vcc
	s_cbranch_execz .LBB556_221
; %bb.220:
	v_and_b32_e32 v51, 7, v42
	v_ffbh_u32_e32 v43, v51
	v_min_u32_e32 v54, 32, v43
	v_subrev_u32_e32 v43, 28, v54
	v_lshlrev_b64 v[42:43], v43, v[42:43]
	v_lshrrev_b32_e32 v53, 3, v45
	v_sub_u32_e32 v43, 29, v54
	v_and_b32_e32 v42, 7, v42
	v_cmp_gt_u32_e32 vcc, 8, v45
	v_mov_b32_e32 v45, 24
	v_cndmask_b32_e32 v43, v53, v43, vcc
	v_cndmask_b32_e32 v42, v51, v42, vcc
	v_lshlrev_b32_sdwa v45, v45, v30 dst_sel:DWORD dst_unused:UNUSED_PAD src0_sel:DWORD src1_sel:WORD_1
	v_bfrev_b32_e32 v51, 60
	v_lshlrev_b32_e32 v42, 20, v42
	v_and_b32_e32 v45, 0x80000000, v45
	v_lshl_add_u32 v43, v43, 23, v51
	v_or3_b32 v43, v45, v43, v42
.LBB556_221:
	s_or_b64 exec, exec, s[10:11]
.LBB556_222:
	s_or_b64 exec, exec, s[8:9]
.LBB556_223:
	s_or_b64 exec, exec, s[2:3]
	s_mov_b32 s2, 0xffffff
	v_cmp_lt_u32_e32 vcc, s2, v30
	v_mov_b32_e32 v45, 0
	v_mov_b32_e32 v53, 0
	s_and_saveexec_b64 s[2:3], vcc
	s_cbranch_execz .LBB556_229
; %bb.224:
	v_lshrrev_b32_e32 v42, 24, v30
	s_movk_i32 s8, 0x80
	v_cmp_ne_u32_e32 vcc, s8, v42
	v_bfrev_b32_e32 v53, 1
	s_and_saveexec_b64 s[8:9], vcc
	s_cbranch_execz .LBB556_228
; %bb.225:
	v_bfe_u32 v30, v30, 24, 7
	s_movk_i32 s10, 0x7f
	v_cmp_ne_u32_e32 vcc, s10, v30
	v_mov_b32_e32 v53, 0x7f800001
	s_and_saveexec_b64 s[10:11], vcc
	s_cbranch_execz .LBB556_227
; %bb.226:
	v_and_b32_e32 v51, 7, v42
	v_ffbh_u32_e32 v54, v51
	v_min_u32_e32 v56, 32, v54
	v_subrev_u32_e32 v54, 28, v56
	v_lshlrev_b64 v[54:55], v54, v[42:43]
	v_lshrrev_b32_e32 v53, 3, v30
	v_sub_u32_e32 v55, 29, v56
	v_and_b32_e32 v54, 7, v54
	v_cmp_gt_u32_e32 vcc, 8, v30
	v_cndmask_b32_e32 v30, v53, v55, vcc
	v_cndmask_b32_e32 v51, v51, v54, vcc
	v_lshlrev_b32_e32 v42, 24, v42
	v_bfrev_b32_e32 v53, 60
	v_lshlrev_b32_e32 v51, 20, v51
	v_and_b32_e32 v42, 0x80000000, v42
	v_lshl_add_u32 v30, v30, 23, v53
	v_or3_b32 v53, v42, v30, v51
.LBB556_227:
	s_or_b64 exec, exec, s[10:11]
.LBB556_228:
	s_or_b64 exec, exec, s[8:9]
.LBB556_229:
	s_or_b64 exec, exec, s[2:3]
	v_cmp_ne_u16_sdwa s[8:9], v31, v45 src0_sel:BYTE_0 src1_sel:DWORD
	s_and_saveexec_b64 s[2:3], s[8:9]
	s_cbranch_execz .LBB556_235
; %bb.230:
	s_movk_i32 s8, 0x80
	v_cmp_ne_u16_sdwa s[10:11], v31, s8 src0_sel:BYTE_0 src1_sel:DWORD
	v_bfrev_b32_e32 v45, 1
	s_and_saveexec_b64 s[8:9], s[10:11]
	s_cbranch_execz .LBB556_234
; %bb.231:
	s_movk_i32 s10, 0x7f
	v_and_b32_e32 v30, 0x7f, v31
	v_cmp_ne_u32_e32 vcc, s10, v30
	v_mov_b32_e32 v45, 0x7f800001
	s_and_saveexec_b64 s[10:11], vcc
	s_cbranch_execz .LBB556_233
; %bb.232:
	v_and_b32_e32 v45, 7, v31
	v_ffbh_u32_e32 v54, v45
	v_min_u32_e32 v56, 32, v54
	v_mov_b32_e32 v42, v31
	v_subrev_u32_e32 v54, 28, v56
	v_lshlrev_b64 v[54:55], v54, v[42:43]
	v_lshrrev_b32_e32 v51, 3, v30
	v_sub_u32_e32 v42, 29, v56
	v_and_b32_e32 v54, 7, v54
	v_cmp_gt_u32_e32 vcc, 8, v30
	v_cndmask_b32_e32 v30, v51, v42, vcc
	v_cndmask_b32_e32 v42, v45, v54, vcc
	v_lshlrev_b32_e32 v45, 24, v31
	v_bfrev_b32_e32 v51, 60
	v_lshlrev_b32_e32 v42, 20, v42
	v_and_b32_e32 v45, 0x80000000, v45
	v_lshl_add_u32 v30, v30, 23, v51
	v_or3_b32 v45, v45, v30, v42
.LBB556_233:
	s_or_b64 exec, exec, s[10:11]
.LBB556_234:
	s_or_b64 exec, exec, s[8:9]
.LBB556_235:
	s_or_b64 exec, exec, s[2:3]
	v_lshrrev_b16_e32 v30, 8, v31
	v_cmp_ne_u16_e32 vcc, 0, v30
	v_mov_b32_e32 v42, 0
	v_mov_b32_e32 v54, 0
	s_and_saveexec_b64 s[2:3], vcc
	s_cbranch_execz .LBB556_241
; %bb.236:
	s_movk_i32 s8, 0x80
	v_cmp_ne_u16_e32 vcc, s8, v30
	v_bfrev_b32_e32 v54, 1
	s_and_saveexec_b64 s[8:9], vcc
	s_cbranch_execz .LBB556_240
; %bb.237:
	s_movk_i32 s10, 0x7f
	v_and_b32_e32 v51, 0x7f, v30
	v_cmp_ne_u32_e32 vcc, s10, v51
	v_mov_b32_e32 v54, 0x7f800001
	s_and_saveexec_b64 s[10:11], vcc
	s_cbranch_execz .LBB556_239
; %bb.238:
	v_and_b32_e32 v56, 7, v30
	v_ffbh_u32_e32 v54, v56
	v_min_u32_e32 v58, 32, v54
	v_subrev_u32_e32 v54, 28, v58
	v_lshlrev_b64 v[54:55], v54, v[30:31]
	v_lshrrev_b32_e32 v57, 3, v51
	v_sub_u32_e32 v30, 29, v58
	v_and_b32_e32 v54, 7, v54
	v_cmp_gt_u32_e32 vcc, 8, v51
	v_cndmask_b32_e32 v30, v57, v30, vcc
	v_cndmask_b32_e32 v51, v56, v54, vcc
	v_lshlrev_b32_e32 v54, 16, v31
	v_bfrev_b32_e32 v55, 60
	v_lshlrev_b32_e32 v51, 20, v51
	v_and_b32_e32 v54, 0x80000000, v54
	v_lshl_add_u32 v30, v30, 23, v55
	v_or3_b32 v54, v54, v30, v51
.LBB556_239:
	s_or_b64 exec, exec, s[10:11]
.LBB556_240:
	s_or_b64 exec, exec, s[8:9]
.LBB556_241:
	s_or_b64 exec, exec, s[2:3]
	s_movk_i32 s2, 0xff
	v_and_b32_sdwa v51, v31, s2 dst_sel:DWORD dst_unused:UNUSED_PAD src0_sel:WORD_1 src1_sel:DWORD
	v_lshrrev_b32_e32 v30, 16, v31
	v_cmp_ne_u16_e32 vcc, 0, v51
	s_and_saveexec_b64 s[2:3], vcc
	s_cbranch_execz .LBB556_247
; %bb.242:
	s_movk_i32 s8, 0x80
	v_cmp_ne_u16_e32 vcc, s8, v51
	v_bfrev_b32_e32 v42, 1
	s_and_saveexec_b64 s[8:9], vcc
	s_cbranch_execz .LBB556_246
; %bb.243:
	v_bfe_u32 v51, v31, 16, 7
	s_movk_i32 s10, 0x7f
	v_cmp_ne_u32_e32 vcc, s10, v51
	v_mov_b32_e32 v42, 0x7f800001
	s_and_saveexec_b64 s[10:11], vcc
	s_cbranch_execz .LBB556_245
; %bb.244:
	v_and_b32_e32 v42, 7, v30
	v_ffbh_u32_e32 v56, v42
	v_min_u32_e32 v58, 32, v56
	v_subrev_u32_e32 v56, 28, v58
	v_lshlrev_b64 v[56:57], v56, v[30:31]
	v_lshrrev_b32_e32 v55, 3, v51
	v_sub_u32_e32 v30, 29, v58
	v_and_b32_e32 v56, 7, v56
	v_cmp_gt_u32_e32 vcc, 8, v51
	v_mov_b32_e32 v51, 24
	v_cndmask_b32_e32 v30, v55, v30, vcc
	v_cndmask_b32_e32 v42, v42, v56, vcc
	v_lshlrev_b32_sdwa v51, v51, v31 dst_sel:DWORD dst_unused:UNUSED_PAD src0_sel:DWORD src1_sel:WORD_1
	v_bfrev_b32_e32 v55, 60
	v_lshlrev_b32_e32 v42, 20, v42
	v_and_b32_e32 v51, 0x80000000, v51
	v_lshl_add_u32 v30, v30, 23, v55
	v_or3_b32 v42, v51, v30, v42
.LBB556_245:
	s_or_b64 exec, exec, s[10:11]
.LBB556_246:
	s_or_b64 exec, exec, s[8:9]
.LBB556_247:
	s_or_b64 exec, exec, s[2:3]
	s_mov_b32 s2, 0xffffff
	v_cmp_lt_u32_e32 vcc, s2, v31
	v_mov_b32_e32 v51, 0
	v_mov_b32_e32 v55, 0
	s_and_saveexec_b64 s[2:3], vcc
	s_cbranch_execz .LBB556_253
; %bb.248:
	v_lshrrev_b32_e32 v30, 24, v31
	s_movk_i32 s8, 0x80
	v_cmp_ne_u32_e32 vcc, s8, v30
	v_bfrev_b32_e32 v55, 1
	s_and_saveexec_b64 s[8:9], vcc
	s_cbranch_execz .LBB556_252
; %bb.249:
	v_bfe_u32 v31, v31, 24, 7
	s_movk_i32 s10, 0x7f
	v_cmp_ne_u32_e32 vcc, s10, v31
	v_mov_b32_e32 v55, 0x7f800001
	s_and_saveexec_b64 s[10:11], vcc
	s_cbranch_execz .LBB556_251
; %bb.250:
	v_and_b32_e32 v55, 7, v30
	v_ffbh_u32_e32 v56, v55
	v_min_u32_e32 v59, 32, v56
	v_subrev_u32_e32 v56, 28, v59
	v_lshlrev_b64 v[56:57], v56, v[30:31]
	v_lshrrev_b32_e32 v58, 3, v31
	v_sub_u32_e32 v57, 29, v59
	v_and_b32_e32 v56, 7, v56
	v_cmp_gt_u32_e32 vcc, 8, v31
	v_cndmask_b32_e32 v31, v58, v57, vcc
	v_cndmask_b32_e32 v55, v55, v56, vcc
	v_lshlrev_b32_e32 v30, 24, v30
	v_bfrev_b32_e32 v56, 60
	v_lshlrev_b32_e32 v55, 20, v55
	v_and_b32_e32 v30, 0x80000000, v30
	v_lshl_add_u32 v31, v31, 23, v56
	v_or3_b32 v55, v30, v31, v55
.LBB556_251:
	s_or_b64 exec, exec, s[10:11]
.LBB556_252:
	s_or_b64 exec, exec, s[8:9]
.LBB556_253:
	s_or_b64 exec, exec, s[2:3]
	v_cvt_pkrtz_f16_f32 v30, v52, v44
	v_cvt_pkrtz_f16_f32 v31, v43, v53
	v_cmp_ne_u16_sdwa s[8:9], v32, v51 src0_sel:BYTE_0 src1_sel:DWORD
	s_nop 0
	v_mfma_f32_16x16x16f16 v[56:59], v[30:31], v[26:27], 0
	v_cvt_pkrtz_f16_f32 v30, v45, v54
	v_cvt_pkrtz_f16_f32 v31, v42, v55
	s_nop 1
	v_mfma_f32_16x16x16f16 v[42:45], v[30:31], v[28:29], v[56:59]
	s_and_saveexec_b64 s[2:3], s[8:9]
	s_cbranch_execz .LBB556_259
; %bb.254:
	s_movk_i32 s8, 0x80
	v_cmp_ne_u16_sdwa s[10:11], v32, s8 src0_sel:BYTE_0 src1_sel:DWORD
	v_bfrev_b32_e32 v51, 1
	s_and_saveexec_b64 s[8:9], s[10:11]
	s_cbranch_execz .LBB556_258
; %bb.255:
	s_movk_i32 s10, 0x7f
	v_and_b32_e32 v30, 0x7f, v32
	v_cmp_ne_u32_e32 vcc, s10, v30
	v_mov_b32_e32 v51, 0x7f800001
	s_and_saveexec_b64 s[10:11], vcc
	s_cbranch_execz .LBB556_257
; %bb.256:
	v_and_b32_e32 v31, 7, v32
	v_ffbh_u32_e32 v52, v31
	v_min_u32_e32 v54, 32, v52
	v_subrev_u32_e32 v52, 28, v54
	v_lshlrev_b64 v[52:53], v52, v[32:33]
	v_lshrrev_b32_e32 v51, 3, v30
	v_sub_u32_e32 v53, 29, v54
	v_and_b32_e32 v52, 7, v52
	v_cmp_gt_u32_e32 vcc, 8, v30
	v_cndmask_b32_e32 v30, v51, v53, vcc
	v_cndmask_b32_e32 v31, v31, v52, vcc
	v_lshlrev_b32_e32 v51, 24, v32
	v_bfrev_b32_e32 v52, 60
	v_lshlrev_b32_e32 v31, 20, v31
	v_and_b32_e32 v51, 0x80000000, v51
	v_lshl_add_u32 v30, v30, 23, v52
	v_or3_b32 v51, v51, v30, v31
.LBB556_257:
	s_or_b64 exec, exec, s[10:11]
.LBB556_258:
	s_or_b64 exec, exec, s[8:9]
.LBB556_259:
	s_or_b64 exec, exec, s[2:3]
	v_lshrrev_b16_e32 v30, 8, v32
	v_cmp_ne_u16_e32 vcc, 0, v30
	v_mov_b32_e32 v31, 0
	v_mov_b32_e32 v53, 0
	s_and_saveexec_b64 s[2:3], vcc
	s_cbranch_execz .LBB556_265
; %bb.260:
	s_movk_i32 s8, 0x80
	v_cmp_ne_u16_e32 vcc, s8, v30
	v_bfrev_b32_e32 v53, 1
	s_and_saveexec_b64 s[8:9], vcc
	s_cbranch_execz .LBB556_264
; %bb.261:
	s_movk_i32 s10, 0x7f
	v_and_b32_e32 v52, 0x7f, v30
	v_cmp_ne_u32_e32 vcc, s10, v52
	v_mov_b32_e32 v53, 0x7f800001
	s_and_saveexec_b64 s[10:11], vcc
	s_cbranch_execz .LBB556_263
; %bb.262:
	v_and_b32_e32 v53, 7, v30
	v_ffbh_u32_e32 v54, v53
	v_min_u32_e32 v57, 32, v54
	v_subrev_u32_e32 v54, 28, v57
	v_lshlrev_b64 v[54:55], v54, v[30:31]
	v_lshrrev_b32_e32 v56, 3, v52
	v_sub_u32_e32 v30, 29, v57
	v_and_b32_e32 v54, 7, v54
	v_cmp_gt_u32_e32 vcc, 8, v52
	v_cndmask_b32_e32 v30, v56, v30, vcc
	v_cndmask_b32_e32 v52, v53, v54, vcc
	v_lshlrev_b32_e32 v53, 16, v32
	v_bfrev_b32_e32 v54, 60
	v_lshlrev_b32_e32 v52, 20, v52
	v_and_b32_e32 v53, 0x80000000, v53
	v_lshl_add_u32 v30, v30, 23, v54
	v_or3_b32 v53, v53, v30, v52
.LBB556_263:
	s_or_b64 exec, exec, s[10:11]
.LBB556_264:
	s_or_b64 exec, exec, s[8:9]
.LBB556_265:
	s_or_b64 exec, exec, s[2:3]
	s_movk_i32 s2, 0xff
	v_and_b32_sdwa v52, v32, s2 dst_sel:DWORD dst_unused:UNUSED_PAD src0_sel:WORD_1 src1_sel:DWORD
	v_lshrrev_b32_e32 v30, 16, v32
	v_cmp_ne_u16_e32 vcc, 0, v52
	s_and_saveexec_b64 s[2:3], vcc
	s_cbranch_execz .LBB556_271
; %bb.266:
	s_movk_i32 s8, 0x80
	v_cmp_ne_u16_e32 vcc, s8, v52
	v_bfrev_b32_e32 v31, 1
	s_and_saveexec_b64 s[8:9], vcc
	s_cbranch_execz .LBB556_270
; %bb.267:
	v_bfe_u32 v52, v32, 16, 7
	s_movk_i32 s10, 0x7f
	v_cmp_ne_u32_e32 vcc, s10, v52
	v_mov_b32_e32 v31, 0x7f800001
	s_and_saveexec_b64 s[10:11], vcc
	s_cbranch_execz .LBB556_269
; %bb.268:
	v_and_b32_e32 v54, 7, v30
	v_ffbh_u32_e32 v31, v54
	v_min_u32_e32 v56, 32, v31
	v_subrev_u32_e32 v31, 28, v56
	v_lshlrev_b64 v[30:31], v31, v[30:31]
	v_lshrrev_b32_e32 v55, 3, v52
	v_sub_u32_e32 v31, 29, v56
	v_and_b32_e32 v30, 7, v30
	v_cmp_gt_u32_e32 vcc, 8, v52
	v_mov_b32_e32 v52, 24
	v_cndmask_b32_e32 v31, v55, v31, vcc
	v_cndmask_b32_e32 v30, v54, v30, vcc
	v_lshlrev_b32_sdwa v52, v52, v32 dst_sel:DWORD dst_unused:UNUSED_PAD src0_sel:DWORD src1_sel:WORD_1
	v_bfrev_b32_e32 v54, 60
	v_lshlrev_b32_e32 v30, 20, v30
	v_and_b32_e32 v52, 0x80000000, v52
	v_lshl_add_u32 v31, v31, 23, v54
	v_or3_b32 v31, v52, v31, v30
.LBB556_269:
	s_or_b64 exec, exec, s[10:11]
.LBB556_270:
	s_or_b64 exec, exec, s[8:9]
.LBB556_271:
	s_or_b64 exec, exec, s[2:3]
	s_mov_b32 s2, 0xffffff
	v_cmp_lt_u32_e32 vcc, s2, v32
	v_mov_b32_e32 v54, 0
	v_mov_b32_e32 v55, 0
	s_and_saveexec_b64 s[2:3], vcc
	s_cbranch_execz .LBB556_277
; %bb.272:
	v_lshrrev_b32_e32 v30, 24, v32
	s_movk_i32 s8, 0x80
	v_cmp_ne_u32_e32 vcc, s8, v30
	v_bfrev_b32_e32 v55, 1
	s_and_saveexec_b64 s[8:9], vcc
	s_cbranch_execz .LBB556_276
; %bb.273:
	v_bfe_u32 v32, v32, 24, 7
	s_movk_i32 s10, 0x7f
	v_cmp_ne_u32_e32 vcc, s10, v32
	v_mov_b32_e32 v55, 0x7f800001
	s_and_saveexec_b64 s[10:11], vcc
	s_cbranch_execz .LBB556_275
; %bb.274:
	v_and_b32_e32 v52, 7, v30
	v_ffbh_u32_e32 v56, v52
	v_min_u32_e32 v58, 32, v56
	v_subrev_u32_e32 v56, 28, v58
	v_lshlrev_b64 v[56:57], v56, v[30:31]
	v_lshrrev_b32_e32 v55, 3, v32
	v_sub_u32_e32 v57, 29, v58
	v_and_b32_e32 v56, 7, v56
	v_cmp_gt_u32_e32 vcc, 8, v32
	v_cndmask_b32_e32 v32, v55, v57, vcc
	v_cndmask_b32_e32 v52, v52, v56, vcc
	v_lshlrev_b32_e32 v30, 24, v30
	v_bfrev_b32_e32 v55, 60
	v_lshlrev_b32_e32 v52, 20, v52
	v_and_b32_e32 v30, 0x80000000, v30
	v_lshl_add_u32 v32, v32, 23, v55
	v_or3_b32 v55, v30, v32, v52
.LBB556_275:
	s_or_b64 exec, exec, s[10:11]
.LBB556_276:
	s_or_b64 exec, exec, s[8:9]
.LBB556_277:
	s_or_b64 exec, exec, s[2:3]
	v_cmp_ne_u16_sdwa s[8:9], v33, v54 src0_sel:BYTE_0 src1_sel:DWORD
	s_and_saveexec_b64 s[2:3], s[8:9]
	s_cbranch_execz .LBB556_283
; %bb.278:
	s_movk_i32 s8, 0x80
	v_cmp_ne_u16_sdwa s[10:11], v33, s8 src0_sel:BYTE_0 src1_sel:DWORD
	v_bfrev_b32_e32 v54, 1
	s_and_saveexec_b64 s[8:9], s[10:11]
	s_cbranch_execz .LBB556_282
; %bb.279:
	s_movk_i32 s10, 0x7f
	v_and_b32_e32 v30, 0x7f, v33
	v_cmp_ne_u32_e32 vcc, s10, v30
	v_mov_b32_e32 v54, 0x7f800001
	s_and_saveexec_b64 s[10:11], vcc
	s_cbranch_execz .LBB556_281
; %bb.280:
	v_and_b32_e32 v52, 7, v33
	v_ffbh_u32_e32 v56, v52
	v_min_u32_e32 v58, 32, v56
	v_mov_b32_e32 v32, v33
	v_subrev_u32_e32 v56, 28, v58
	v_lshlrev_b64 v[56:57], v56, v[32:33]
	v_lshrrev_b32_e32 v54, 3, v30
	v_sub_u32_e32 v32, 29, v58
	v_and_b32_e32 v56, 7, v56
	v_cmp_gt_u32_e32 vcc, 8, v30
	v_cndmask_b32_e32 v30, v54, v32, vcc
	v_cndmask_b32_e32 v32, v52, v56, vcc
	v_lshlrev_b32_e32 v52, 24, v33
	v_bfrev_b32_e32 v54, 60
	v_lshlrev_b32_e32 v32, 20, v32
	v_and_b32_e32 v52, 0x80000000, v52
	v_lshl_add_u32 v30, v30, 23, v54
	v_or3_b32 v54, v52, v30, v32
.LBB556_281:
	s_or_b64 exec, exec, s[10:11]
.LBB556_282:
	s_or_b64 exec, exec, s[8:9]
.LBB556_283:
	s_or_b64 exec, exec, s[2:3]
	v_lshrrev_b16_e32 v30, 8, v33
	v_cmp_ne_u16_e32 vcc, 0, v30
	v_mov_b32_e32 v32, 0
	v_mov_b32_e32 v56, 0
	s_and_saveexec_b64 s[2:3], vcc
	s_cbranch_execz .LBB556_289
; %bb.284:
	s_movk_i32 s8, 0x80
	v_cmp_ne_u16_e32 vcc, s8, v30
	v_bfrev_b32_e32 v56, 1
	s_and_saveexec_b64 s[8:9], vcc
	s_cbranch_execz .LBB556_288
; %bb.285:
	s_movk_i32 s10, 0x7f
	v_and_b32_e32 v52, 0x7f, v30
	v_cmp_ne_u32_e32 vcc, s10, v52
	v_mov_b32_e32 v56, 0x7f800001
	s_and_saveexec_b64 s[10:11], vcc
	s_cbranch_execz .LBB556_287
; %bb.286:
	v_and_b32_e32 v58, 7, v30
	v_ffbh_u32_e32 v56, v58
	v_min_u32_e32 v60, 32, v56
	v_subrev_u32_e32 v56, 28, v60
	v_lshlrev_b64 v[56:57], v56, v[30:31]
	v_lshrrev_b32_e32 v59, 3, v52
	v_sub_u32_e32 v30, 29, v60
	v_and_b32_e32 v56, 7, v56
	v_cmp_gt_u32_e32 vcc, 8, v52
	v_cndmask_b32_e32 v30, v59, v30, vcc
	v_cndmask_b32_e32 v52, v58, v56, vcc
	v_lshlrev_b32_e32 v56, 16, v33
	v_bfrev_b32_e32 v57, 60
	v_lshlrev_b32_e32 v52, 20, v52
	v_and_b32_e32 v56, 0x80000000, v56
	v_lshl_add_u32 v30, v30, 23, v57
	v_or3_b32 v56, v56, v30, v52
.LBB556_287:
	s_or_b64 exec, exec, s[10:11]
.LBB556_288:
	s_or_b64 exec, exec, s[8:9]
.LBB556_289:
	s_or_b64 exec, exec, s[2:3]
	s_movk_i32 s2, 0xff
	v_and_b32_sdwa v52, v33, s2 dst_sel:DWORD dst_unused:UNUSED_PAD src0_sel:WORD_1 src1_sel:DWORD
	v_lshrrev_b32_e32 v30, 16, v33
	v_cmp_ne_u16_e32 vcc, 0, v52
	s_and_saveexec_b64 s[2:3], vcc
	s_cbranch_execz .LBB556_295
; %bb.290:
	s_movk_i32 s8, 0x80
	v_cmp_ne_u16_e32 vcc, s8, v52
	v_bfrev_b32_e32 v32, 1
	s_and_saveexec_b64 s[8:9], vcc
	s_cbranch_execz .LBB556_294
; %bb.291:
	v_bfe_u32 v52, v33, 16, 7
	s_movk_i32 s10, 0x7f
	v_cmp_ne_u32_e32 vcc, s10, v52
	v_mov_b32_e32 v32, 0x7f800001
	s_and_saveexec_b64 s[10:11], vcc
	s_cbranch_execz .LBB556_293
; %bb.292:
	v_and_b32_e32 v32, 7, v30
	v_ffbh_u32_e32 v58, v32
	v_min_u32_e32 v60, 32, v58
	v_subrev_u32_e32 v58, 28, v60
	v_lshlrev_b64 v[58:59], v58, v[30:31]
	v_lshrrev_b32_e32 v57, 3, v52
	v_sub_u32_e32 v30, 29, v60
	v_and_b32_e32 v58, 7, v58
	v_cmp_gt_u32_e32 vcc, 8, v52
	v_mov_b32_e32 v52, 24
	v_cndmask_b32_e32 v30, v57, v30, vcc
	v_cndmask_b32_e32 v32, v32, v58, vcc
	v_lshlrev_b32_sdwa v52, v52, v33 dst_sel:DWORD dst_unused:UNUSED_PAD src0_sel:DWORD src1_sel:WORD_1
	v_bfrev_b32_e32 v57, 60
	v_lshlrev_b32_e32 v32, 20, v32
	v_and_b32_e32 v52, 0x80000000, v52
	v_lshl_add_u32 v30, v30, 23, v57
	v_or3_b32 v32, v52, v30, v32
.LBB556_293:
	s_or_b64 exec, exec, s[10:11]
.LBB556_294:
	s_or_b64 exec, exec, s[8:9]
.LBB556_295:
	s_or_b64 exec, exec, s[2:3]
	s_mov_b32 s2, 0xffffff
	v_cmp_lt_u32_e32 vcc, s2, v33
	v_mov_b32_e32 v52, 0
	v_mov_b32_e32 v57, 0
	s_and_saveexec_b64 s[2:3], vcc
	s_cbranch_execz .LBB556_301
; %bb.296:
	v_lshrrev_b32_e32 v30, 24, v33
	s_movk_i32 s8, 0x80
	v_cmp_ne_u32_e32 vcc, s8, v30
	v_bfrev_b32_e32 v57, 1
	s_and_saveexec_b64 s[8:9], vcc
	s_cbranch_execz .LBB556_300
; %bb.297:
	v_bfe_u32 v33, v33, 24, 7
	s_movk_i32 s10, 0x7f
	v_cmp_ne_u32_e32 vcc, s10, v33
	v_mov_b32_e32 v57, 0x7f800001
	s_and_saveexec_b64 s[10:11], vcc
	s_cbranch_execz .LBB556_299
; %bb.298:
	v_and_b32_e32 v57, 7, v30
	v_ffbh_u32_e32 v58, v57
	v_min_u32_e32 v61, 32, v58
	v_subrev_u32_e32 v58, 28, v61
	v_lshlrev_b64 v[58:59], v58, v[30:31]
	v_lshrrev_b32_e32 v60, 3, v33
	v_sub_u32_e32 v59, 29, v61
	v_and_b32_e32 v58, 7, v58
	v_cmp_gt_u32_e32 vcc, 8, v33
	v_cndmask_b32_e32 v33, v60, v59, vcc
	v_cndmask_b32_e32 v57, v57, v58, vcc
	v_lshlrev_b32_e32 v30, 24, v30
	v_bfrev_b32_e32 v58, 60
	v_lshlrev_b32_e32 v57, 20, v57
	v_and_b32_e32 v30, 0x80000000, v30
	v_lshl_add_u32 v33, v33, 23, v58
	v_or3_b32 v57, v30, v33, v57
.LBB556_299:
	s_or_b64 exec, exec, s[10:11]
.LBB556_300:
	s_or_b64 exec, exec, s[8:9]
.LBB556_301:
	s_or_b64 exec, exec, s[2:3]
	v_cvt_pkrtz_f16_f32 v30, v51, v53
	v_cvt_pkrtz_f16_f32 v31, v31, v55
	v_cmp_ne_u16_sdwa s[8:9], v22, v52 src0_sel:BYTE_0 src1_sel:DWORD
	s_nop 0
	v_mfma_f32_16x16x16f16 v[42:45], v[30:31], v[18:19], v[42:45]
	v_cvt_pkrtz_f16_f32 v30, v54, v56
	v_cvt_pkrtz_f16_f32 v31, v32, v57
	s_nop 1
	v_mfma_f32_16x16x16f16 v[30:33], v[30:31], v[20:21], v[42:45]
	s_and_saveexec_b64 s[2:3], s[8:9]
	s_cbranch_execz .LBB556_307
; %bb.302:
	s_movk_i32 s8, 0x80
	v_cmp_ne_u16_sdwa s[10:11], v22, s8 src0_sel:BYTE_0 src1_sel:DWORD
	v_bfrev_b32_e32 v52, 1
	s_and_saveexec_b64 s[8:9], s[10:11]
	s_cbranch_execz .LBB556_306
; %bb.303:
	s_movk_i32 s10, 0x7f
	v_and_b32_e32 v42, 0x7f, v22
	v_cmp_ne_u32_e32 vcc, s10, v42
	v_mov_b32_e32 v52, 0x7f800001
	s_and_saveexec_b64 s[10:11], vcc
	s_cbranch_execz .LBB556_305
; %bb.304:
	v_and_b32_e32 v43, 7, v22
	v_ffbh_u32_e32 v44, v43
	v_min_u32_e32 v52, 32, v44
	v_subrev_u32_e32 v44, 28, v52
	v_lshlrev_b64 v[44:45], v44, v[22:23]
	v_lshrrev_b32_e32 v51, 3, v42
	v_sub_u32_e32 v45, 29, v52
	v_and_b32_e32 v44, 7, v44
	v_cmp_gt_u32_e32 vcc, 8, v42
	v_cndmask_b32_e32 v42, v51, v45, vcc
	v_cndmask_b32_e32 v43, v43, v44, vcc
	v_lshlrev_b32_e32 v44, 24, v22
	v_bfrev_b32_e32 v45, 60
	v_lshlrev_b32_e32 v43, 20, v43
	v_and_b32_e32 v44, 0x80000000, v44
	v_lshl_add_u32 v42, v42, 23, v45
	v_or3_b32 v52, v44, v42, v43
.LBB556_305:
	s_or_b64 exec, exec, s[10:11]
.LBB556_306:
	s_or_b64 exec, exec, s[8:9]
.LBB556_307:
	s_or_b64 exec, exec, s[2:3]
	s_nop 3
	v_lshrrev_b16_e32 v42, 8, v22
	v_cmp_ne_u16_e32 vcc, 0, v42
	v_mov_b32_e32 v43, 0
	v_mov_b32_e32 v44, 0
	s_and_saveexec_b64 s[2:3], vcc
	s_cbranch_execz .LBB556_313
; %bb.308:
	s_movk_i32 s8, 0x80
	v_cmp_ne_u16_e32 vcc, s8, v42
	v_bfrev_b32_e32 v44, 1
	s_and_saveexec_b64 s[8:9], vcc
	s_cbranch_execz .LBB556_312
; %bb.309:
	s_movk_i32 s10, 0x7f
	v_and_b32_e32 v45, 0x7f, v42
	v_cmp_ne_u32_e32 vcc, s10, v45
	v_mov_b32_e32 v44, 0x7f800001
	s_and_saveexec_b64 s[10:11], vcc
	s_cbranch_execz .LBB556_311
; %bb.310:
	v_and_b32_e32 v44, 7, v42
	v_ffbh_u32_e32 v53, v44
	v_min_u32_e32 v53, 32, v53
	v_subrev_u32_e32 v54, 28, v53
	v_lshlrev_b64 v[54:55], v54, v[42:43]
	v_lshrrev_b32_e32 v51, 3, v45
	v_sub_u32_e32 v42, 29, v53
	v_and_b32_e32 v53, 7, v54
	v_cmp_gt_u32_e32 vcc, 8, v45
	v_cndmask_b32_e32 v42, v51, v42, vcc
	v_cndmask_b32_e32 v44, v44, v53, vcc
	v_lshlrev_b32_e32 v45, 16, v22
	v_bfrev_b32_e32 v51, 60
	v_lshlrev_b32_e32 v44, 20, v44
	v_and_b32_e32 v45, 0x80000000, v45
	v_lshl_add_u32 v42, v42, 23, v51
	v_or3_b32 v44, v45, v42, v44
.LBB556_311:
	s_or_b64 exec, exec, s[10:11]
.LBB556_312:
	s_or_b64 exec, exec, s[8:9]
.LBB556_313:
	s_or_b64 exec, exec, s[2:3]
	s_movk_i32 s2, 0xff
	v_and_b32_sdwa v45, v22, s2 dst_sel:DWORD dst_unused:UNUSED_PAD src0_sel:WORD_1 src1_sel:DWORD
	v_lshrrev_b32_e32 v42, 16, v22
	v_cmp_ne_u16_e32 vcc, 0, v45
	s_and_saveexec_b64 s[2:3], vcc
	s_cbranch_execz .LBB556_319
; %bb.314:
	s_movk_i32 s8, 0x80
	v_cmp_ne_u16_e32 vcc, s8, v45
	v_bfrev_b32_e32 v43, 1
	s_and_saveexec_b64 s[8:9], vcc
	s_cbranch_execz .LBB556_318
; %bb.315:
	v_bfe_u32 v45, v22, 16, 7
	s_movk_i32 s10, 0x7f
	v_cmp_ne_u32_e32 vcc, s10, v45
	v_mov_b32_e32 v43, 0x7f800001
	s_and_saveexec_b64 s[10:11], vcc
	s_cbranch_execz .LBB556_317
; %bb.316:
	v_and_b32_e32 v51, 7, v42
	v_ffbh_u32_e32 v43, v51
	v_min_u32_e32 v54, 32, v43
	v_subrev_u32_e32 v43, 28, v54
	v_lshlrev_b64 v[42:43], v43, v[42:43]
	v_lshrrev_b32_e32 v53, 3, v45
	v_sub_u32_e32 v43, 29, v54
	v_and_b32_e32 v42, 7, v42
	v_cmp_gt_u32_e32 vcc, 8, v45
	v_mov_b32_e32 v45, 24
	v_cndmask_b32_e32 v43, v53, v43, vcc
	v_cndmask_b32_e32 v42, v51, v42, vcc
	v_lshlrev_b32_sdwa v45, v45, v22 dst_sel:DWORD dst_unused:UNUSED_PAD src0_sel:DWORD src1_sel:WORD_1
	v_bfrev_b32_e32 v51, 60
	v_lshlrev_b32_e32 v42, 20, v42
	v_and_b32_e32 v45, 0x80000000, v45
	v_lshl_add_u32 v43, v43, 23, v51
	v_or3_b32 v43, v45, v43, v42
.LBB556_317:
	s_or_b64 exec, exec, s[10:11]
.LBB556_318:
	s_or_b64 exec, exec, s[8:9]
.LBB556_319:
	s_or_b64 exec, exec, s[2:3]
	s_mov_b32 s2, 0xffffff
	v_cmp_lt_u32_e32 vcc, s2, v22
	v_mov_b32_e32 v45, 0
	v_mov_b32_e32 v51, 0
	s_and_saveexec_b64 s[2:3], vcc
	s_cbranch_execz .LBB556_325
; %bb.320:
	v_lshrrev_b32_e32 v42, 24, v22
	s_movk_i32 s8, 0x80
	v_cmp_ne_u32_e32 vcc, s8, v42
	v_bfrev_b32_e32 v51, 1
	s_and_saveexec_b64 s[8:9], vcc
	s_cbranch_execz .LBB556_324
; %bb.321:
	v_bfe_u32 v22, v22, 24, 7
	s_movk_i32 s10, 0x7f
	v_cmp_ne_u32_e32 vcc, s10, v22
	v_mov_b32_e32 v51, 0x7f800001
	s_and_saveexec_b64 s[10:11], vcc
	s_cbranch_execz .LBB556_323
; %bb.322:
	v_and_b32_e32 v51, 7, v42
	v_ffbh_u32_e32 v54, v51
	v_min_u32_e32 v56, 32, v54
	v_subrev_u32_e32 v54, 28, v56
	v_lshlrev_b64 v[54:55], v54, v[42:43]
	v_lshrrev_b32_e32 v53, 3, v22
	v_sub_u32_e32 v55, 29, v56
	v_and_b32_e32 v54, 7, v54
	v_cmp_gt_u32_e32 vcc, 8, v22
	v_cndmask_b32_e32 v22, v53, v55, vcc
	v_cndmask_b32_e32 v51, v51, v54, vcc
	v_lshlrev_b32_e32 v42, 24, v42
	v_bfrev_b32_e32 v53, 60
	v_lshlrev_b32_e32 v51, 20, v51
	v_and_b32_e32 v42, 0x80000000, v42
	v_lshl_add_u32 v22, v22, 23, v53
	v_or3_b32 v51, v42, v22, v51
.LBB556_323:
	s_or_b64 exec, exec, s[10:11]
.LBB556_324:
	s_or_b64 exec, exec, s[8:9]
.LBB556_325:
	s_or_b64 exec, exec, s[2:3]
	v_cmp_ne_u16_sdwa s[8:9], v23, v45 src0_sel:BYTE_0 src1_sel:DWORD
	s_and_saveexec_b64 s[2:3], s[8:9]
	s_cbranch_execz .LBB556_331
; %bb.326:
	s_movk_i32 s8, 0x80
	v_cmp_ne_u16_sdwa s[10:11], v23, s8 src0_sel:BYTE_0 src1_sel:DWORD
	v_bfrev_b32_e32 v45, 1
	s_and_saveexec_b64 s[8:9], s[10:11]
	s_cbranch_execz .LBB556_330
; %bb.327:
	s_movk_i32 s10, 0x7f
	v_and_b32_e32 v22, 0x7f, v23
	v_cmp_ne_u32_e32 vcc, s10, v22
	v_mov_b32_e32 v45, 0x7f800001
	s_and_saveexec_b64 s[10:11], vcc
	s_cbranch_execz .LBB556_329
; %bb.328:
	v_and_b32_e32 v45, 7, v23
	v_ffbh_u32_e32 v54, v45
	v_min_u32_e32 v56, 32, v54
	v_mov_b32_e32 v42, v23
	v_subrev_u32_e32 v54, 28, v56
	v_lshlrev_b64 v[54:55], v54, v[42:43]
	v_lshrrev_b32_e32 v53, 3, v22
	v_sub_u32_e32 v42, 29, v56
	v_and_b32_e32 v54, 7, v54
	v_cmp_gt_u32_e32 vcc, 8, v22
	v_cndmask_b32_e32 v22, v53, v42, vcc
	v_cndmask_b32_e32 v42, v45, v54, vcc
	v_lshlrev_b32_e32 v45, 24, v23
	v_bfrev_b32_e32 v53, 60
	v_lshlrev_b32_e32 v42, 20, v42
	v_and_b32_e32 v45, 0x80000000, v45
	v_lshl_add_u32 v22, v22, 23, v53
	v_or3_b32 v45, v45, v22, v42
.LBB556_329:
	s_or_b64 exec, exec, s[10:11]
.LBB556_330:
	s_or_b64 exec, exec, s[8:9]
.LBB556_331:
	s_or_b64 exec, exec, s[2:3]
	v_lshrrev_b16_e32 v22, 8, v23
	v_cmp_ne_u16_e32 vcc, 0, v22
	v_mov_b32_e32 v53, 0
	v_mov_b32_e32 v54, 0
	s_and_saveexec_b64 s[2:3], vcc
	s_cbranch_execz .LBB556_337
; %bb.332:
	s_movk_i32 s8, 0x80
	v_cmp_ne_u16_e32 vcc, s8, v22
	v_bfrev_b32_e32 v54, 1
	s_and_saveexec_b64 s[8:9], vcc
	s_cbranch_execz .LBB556_336
; %bb.333:
	s_movk_i32 s10, 0x7f
	v_and_b32_e32 v42, 0x7f, v22
	v_cmp_ne_u32_e32 vcc, s10, v42
	v_mov_b32_e32 v54, 0x7f800001
	s_and_saveexec_b64 s[10:11], vcc
	s_cbranch_execz .LBB556_335
; %bb.334:
	v_and_b32_e32 v56, 7, v22
	v_ffbh_u32_e32 v54, v56
	v_min_u32_e32 v58, 32, v54
	v_subrev_u32_e32 v54, 28, v58
	v_lshlrev_b64 v[54:55], v54, v[22:23]
	v_lshrrev_b32_e32 v57, 3, v42
	v_sub_u32_e32 v22, 29, v58
	v_and_b32_e32 v54, 7, v54
	v_cmp_gt_u32_e32 vcc, 8, v42
	v_cndmask_b32_e32 v22, v57, v22, vcc
	v_cndmask_b32_e32 v42, v56, v54, vcc
	v_lshlrev_b32_e32 v54, 16, v23
	v_bfrev_b32_e32 v55, 60
	v_lshlrev_b32_e32 v42, 20, v42
	v_and_b32_e32 v54, 0x80000000, v54
	v_lshl_add_u32 v22, v22, 23, v55
	v_or3_b32 v54, v54, v22, v42
.LBB556_335:
	s_or_b64 exec, exec, s[10:11]
.LBB556_336:
	s_or_b64 exec, exec, s[8:9]
.LBB556_337:
	s_or_b64 exec, exec, s[2:3]
	s_movk_i32 s2, 0xff
	v_and_b32_sdwa v42, v23, s2 dst_sel:DWORD dst_unused:UNUSED_PAD src0_sel:WORD_1 src1_sel:DWORD
	v_lshrrev_b32_e32 v22, 16, v23
	v_cmp_ne_u16_e32 vcc, 0, v42
	s_and_saveexec_b64 s[2:3], vcc
	s_cbranch_execz .LBB556_343
; %bb.338:
	s_movk_i32 s8, 0x80
	v_cmp_ne_u16_e32 vcc, s8, v42
	v_bfrev_b32_e32 v53, 1
	s_and_saveexec_b64 s[8:9], vcc
	s_cbranch_execz .LBB556_342
; %bb.339:
	v_bfe_u32 v42, v23, 16, 7
	s_movk_i32 s10, 0x7f
	v_cmp_ne_u32_e32 vcc, s10, v42
	v_mov_b32_e32 v53, 0x7f800001
	s_and_saveexec_b64 s[10:11], vcc
	s_cbranch_execz .LBB556_341
; %bb.340:
	v_and_b32_e32 v53, 7, v22
	v_ffbh_u32_e32 v56, v53
	v_min_u32_e32 v58, 32, v56
	v_subrev_u32_e32 v56, 28, v58
	v_lshlrev_b64 v[56:57], v56, v[22:23]
	v_and_b32_e32 v56, 7, v56
	v_cmp_gt_u32_e32 vcc, 8, v42
	v_lshrrev_b32_e32 v55, 3, v42
	v_sub_u32_e32 v22, 29, v58
	v_cndmask_b32_e32 v42, v53, v56, vcc
	v_mov_b32_e32 v53, 24
	v_cndmask_b32_e32 v22, v55, v22, vcc
	v_lshlrev_b32_sdwa v53, v53, v23 dst_sel:DWORD dst_unused:UNUSED_PAD src0_sel:DWORD src1_sel:WORD_1
	v_bfrev_b32_e32 v55, 60
	v_lshlrev_b32_e32 v42, 20, v42
	v_and_b32_e32 v53, 0x80000000, v53
	v_lshl_add_u32 v22, v22, 23, v55
	v_or3_b32 v53, v53, v22, v42
.LBB556_341:
	s_or_b64 exec, exec, s[10:11]
.LBB556_342:
	s_or_b64 exec, exec, s[8:9]
.LBB556_343:
	s_or_b64 exec, exec, s[2:3]
	s_mov_b32 s2, 0xffffff
	v_cmp_lt_u32_e32 vcc, s2, v23
	v_mov_b32_e32 v42, 0
	v_mov_b32_e32 v55, 0
	s_and_saveexec_b64 s[2:3], vcc
	s_cbranch_execz .LBB556_349
; %bb.344:
	v_lshrrev_b32_e32 v22, 24, v23
	s_movk_i32 s8, 0x80
	v_cmp_ne_u32_e32 vcc, s8, v22
	v_bfrev_b32_e32 v55, 1
	s_and_saveexec_b64 s[8:9], vcc
	s_cbranch_execz .LBB556_348
; %bb.345:
	v_bfe_u32 v23, v23, 24, 7
	s_movk_i32 s10, 0x7f
	v_cmp_ne_u32_e32 vcc, s10, v23
	v_mov_b32_e32 v55, 0x7f800001
	s_and_saveexec_b64 s[10:11], vcc
	s_cbranch_execz .LBB556_347
; %bb.346:
	v_and_b32_e32 v55, 7, v22
	v_ffbh_u32_e32 v56, v55
	v_min_u32_e32 v59, 32, v56
	v_subrev_u32_e32 v56, 28, v59
	v_lshlrev_b64 v[56:57], v56, v[22:23]
	v_lshrrev_b32_e32 v58, 3, v23
	v_sub_u32_e32 v57, 29, v59
	v_and_b32_e32 v56, 7, v56
	v_cmp_gt_u32_e32 vcc, 8, v23
	v_cndmask_b32_e32 v23, v58, v57, vcc
	v_cndmask_b32_e32 v55, v55, v56, vcc
	v_lshlrev_b32_e32 v22, 24, v22
	v_bfrev_b32_e32 v56, 60
	v_lshlrev_b32_e32 v55, 20, v55
	v_and_b32_e32 v22, 0x80000000, v22
	v_lshl_add_u32 v23, v23, 23, v56
	v_or3_b32 v55, v22, v23, v55
.LBB556_347:
	s_or_b64 exec, exec, s[10:11]
.LBB556_348:
	s_or_b64 exec, exec, s[8:9]
.LBB556_349:
	s_or_b64 exec, exec, s[2:3]
	v_cvt_pkrtz_f16_f32 v22, v52, v44
	v_cvt_pkrtz_f16_f32 v23, v43, v51
	v_cmp_ne_u16_sdwa s[8:9], v24, v42 src0_sel:BYTE_0 src1_sel:DWORD
	s_nop 0
	v_mfma_f32_16x16x16f16 v[56:59], v[22:23], v[26:27], 0
	v_cvt_pkrtz_f16_f32 v22, v45, v54
	v_cvt_pkrtz_f16_f32 v23, v53, v55
	s_nop 1
	v_mfma_f32_16x16x16f16 v[26:29], v[22:23], v[28:29], v[56:59]
	s_and_saveexec_b64 s[2:3], s[8:9]
	s_cbranch_execz .LBB556_355
; %bb.350:
	s_movk_i32 s8, 0x80
	v_cmp_ne_u16_sdwa s[10:11], v24, s8 src0_sel:BYTE_0 src1_sel:DWORD
	v_bfrev_b32_e32 v42, 1
	s_and_saveexec_b64 s[8:9], s[10:11]
	s_cbranch_execz .LBB556_354
; %bb.351:
	s_movk_i32 s10, 0x7f
	v_and_b32_e32 v22, 0x7f, v24
	v_cmp_ne_u32_e32 vcc, s10, v22
	v_mov_b32_e32 v42, 0x7f800001
	s_and_saveexec_b64 s[10:11], vcc
	s_cbranch_execz .LBB556_353
; %bb.352:
	v_and_b32_e32 v23, 7, v24
	v_ffbh_u32_e32 v42, v23
	v_min_u32_e32 v45, 32, v42
	v_subrev_u32_e32 v42, 28, v45
	v_lshlrev_b64 v[42:43], v42, v[24:25]
	v_lshrrev_b32_e32 v44, 3, v22
	v_sub_u32_e32 v43, 29, v45
	v_and_b32_e32 v42, 7, v42
	v_cmp_gt_u32_e32 vcc, 8, v22
	v_cndmask_b32_e32 v22, v44, v43, vcc
	v_cndmask_b32_e32 v23, v23, v42, vcc
	v_lshlrev_b32_e32 v42, 24, v24
	v_bfrev_b32_e32 v43, 60
	v_lshlrev_b32_e32 v23, 20, v23
	v_and_b32_e32 v42, 0x80000000, v42
	v_lshl_add_u32 v22, v22, 23, v43
	v_or3_b32 v42, v42, v22, v23
.LBB556_353:
	s_or_b64 exec, exec, s[10:11]
.LBB556_354:
	s_or_b64 exec, exec, s[8:9]
.LBB556_355:
	s_or_b64 exec, exec, s[2:3]
	v_lshrrev_b16_e32 v22, 8, v24
	v_cmp_ne_u16_e32 vcc, 0, v22
	v_mov_b32_e32 v23, 0
	v_mov_b32_e32 v43, 0
	s_and_saveexec_b64 s[2:3], vcc
	s_cbranch_execz .LBB556_361
; %bb.356:
	s_movk_i32 s8, 0x80
	v_cmp_ne_u16_e32 vcc, s8, v22
	v_bfrev_b32_e32 v43, 1
	s_and_saveexec_b64 s[8:9], vcc
	s_cbranch_execz .LBB556_360
; %bb.357:
	s_movk_i32 s10, 0x7f
	v_and_b32_e32 v44, 0x7f, v22
	v_cmp_ne_u32_e32 vcc, s10, v44
	v_mov_b32_e32 v43, 0x7f800001
	s_and_saveexec_b64 s[10:11], vcc
	s_cbranch_execz .LBB556_359
; %bb.358:
	v_and_b32_e32 v43, 7, v22
	v_ffbh_u32_e32 v51, v43
	v_min_u32_e32 v51, 32, v51
	v_subrev_u32_e32 v52, 28, v51
	v_lshlrev_b64 v[52:53], v52, v[22:23]
	v_lshrrev_b32_e32 v45, 3, v44
	v_sub_u32_e32 v22, 29, v51
	v_and_b32_e32 v51, 7, v52
	v_cmp_gt_u32_e32 vcc, 8, v44
	v_cndmask_b32_e32 v22, v45, v22, vcc
	v_cndmask_b32_e32 v43, v43, v51, vcc
	v_lshlrev_b32_e32 v44, 16, v24
	v_bfrev_b32_e32 v45, 60
	v_lshlrev_b32_e32 v43, 20, v43
	v_and_b32_e32 v44, 0x80000000, v44
	v_lshl_add_u32 v22, v22, 23, v45
	v_or3_b32 v43, v44, v22, v43
.LBB556_359:
	s_or_b64 exec, exec, s[10:11]
.LBB556_360:
	s_or_b64 exec, exec, s[8:9]
.LBB556_361:
	s_or_b64 exec, exec, s[2:3]
	s_movk_i32 s2, 0xff
	v_and_b32_sdwa v44, v24, s2 dst_sel:DWORD dst_unused:UNUSED_PAD src0_sel:WORD_1 src1_sel:DWORD
	v_lshrrev_b32_e32 v22, 16, v24
	v_cmp_ne_u16_e32 vcc, 0, v44
	s_and_saveexec_b64 s[2:3], vcc
	s_cbranch_execz .LBB556_367
; %bb.362:
	s_movk_i32 s8, 0x80
	v_cmp_ne_u16_e32 vcc, s8, v44
	v_bfrev_b32_e32 v23, 1
	s_and_saveexec_b64 s[8:9], vcc
	s_cbranch_execz .LBB556_366
; %bb.363:
	v_bfe_u32 v44, v24, 16, 7
	s_movk_i32 s10, 0x7f
	v_cmp_ne_u32_e32 vcc, s10, v44
	v_mov_b32_e32 v23, 0x7f800001
	s_and_saveexec_b64 s[10:11], vcc
	s_cbranch_execz .LBB556_365
; %bb.364:
	v_and_b32_e32 v45, 7, v22
	v_ffbh_u32_e32 v23, v45
	v_min_u32_e32 v52, 32, v23
	v_subrev_u32_e32 v23, 28, v52
	v_lshlrev_b64 v[22:23], v23, v[22:23]
	v_lshrrev_b32_e32 v51, 3, v44
	v_sub_u32_e32 v23, 29, v52
	v_and_b32_e32 v22, 7, v22
	v_cmp_gt_u32_e32 vcc, 8, v44
	v_mov_b32_e32 v44, 24
	v_cndmask_b32_e32 v23, v51, v23, vcc
	v_cndmask_b32_e32 v22, v45, v22, vcc
	v_lshlrev_b32_sdwa v44, v44, v24 dst_sel:DWORD dst_unused:UNUSED_PAD src0_sel:DWORD src1_sel:WORD_1
	v_bfrev_b32_e32 v45, 60
	v_lshlrev_b32_e32 v22, 20, v22
	v_and_b32_e32 v44, 0x80000000, v44
	v_lshl_add_u32 v23, v23, 23, v45
	v_or3_b32 v23, v44, v23, v22
.LBB556_365:
	s_or_b64 exec, exec, s[10:11]
.LBB556_366:
	s_or_b64 exec, exec, s[8:9]
.LBB556_367:
	s_or_b64 exec, exec, s[2:3]
	s_mov_b32 s2, 0xffffff
	v_cmp_lt_u32_e32 vcc, s2, v24
	v_mov_b32_e32 v45, 0
	v_mov_b32_e32 v51, 0
	s_and_saveexec_b64 s[2:3], vcc
	s_cbranch_execz .LBB556_373
; %bb.368:
	v_lshrrev_b32_e32 v22, 24, v24
	s_movk_i32 s8, 0x80
	v_cmp_ne_u32_e32 vcc, s8, v22
	v_bfrev_b32_e32 v51, 1
	s_and_saveexec_b64 s[8:9], vcc
	s_cbranch_execz .LBB556_372
; %bb.369:
	v_bfe_u32 v24, v24, 24, 7
	s_movk_i32 s10, 0x7f
	v_cmp_ne_u32_e32 vcc, s10, v24
	v_mov_b32_e32 v51, 0x7f800001
	s_and_saveexec_b64 s[10:11], vcc
	s_cbranch_execz .LBB556_371
; %bb.370:
	v_and_b32_e32 v44, 7, v22
	v_ffbh_u32_e32 v52, v44
	v_min_u32_e32 v54, 32, v52
	v_subrev_u32_e32 v52, 28, v54
	v_lshlrev_b64 v[52:53], v52, v[22:23]
	v_lshrrev_b32_e32 v51, 3, v24
	v_sub_u32_e32 v53, 29, v54
	v_and_b32_e32 v52, 7, v52
	v_cmp_gt_u32_e32 vcc, 8, v24
	v_cndmask_b32_e32 v24, v51, v53, vcc
	v_cndmask_b32_e32 v44, v44, v52, vcc
	v_lshlrev_b32_e32 v22, 24, v22
	v_bfrev_b32_e32 v51, 60
	v_lshlrev_b32_e32 v44, 20, v44
	v_and_b32_e32 v22, 0x80000000, v22
	v_lshl_add_u32 v24, v24, 23, v51
	v_or3_b32 v51, v22, v24, v44
.LBB556_371:
	s_or_b64 exec, exec, s[10:11]
.LBB556_372:
	s_or_b64 exec, exec, s[8:9]
.LBB556_373:
	s_or_b64 exec, exec, s[2:3]
	v_cmp_ne_u16_sdwa s[8:9], v25, v45 src0_sel:BYTE_0 src1_sel:DWORD
	s_and_saveexec_b64 s[2:3], s[8:9]
	s_cbranch_execz .LBB556_379
; %bb.374:
	s_movk_i32 s8, 0x80
	v_cmp_ne_u16_sdwa s[10:11], v25, s8 src0_sel:BYTE_0 src1_sel:DWORD
	v_bfrev_b32_e32 v45, 1
	s_and_saveexec_b64 s[8:9], s[10:11]
	s_cbranch_execz .LBB556_378
; %bb.375:
	s_movk_i32 s10, 0x7f
	v_and_b32_e32 v22, 0x7f, v25
	v_cmp_ne_u32_e32 vcc, s10, v22
	v_mov_b32_e32 v45, 0x7f800001
	s_and_saveexec_b64 s[10:11], vcc
	s_cbranch_execz .LBB556_377
; %bb.376:
	v_and_b32_e32 v52, 7, v25
	v_ffbh_u32_e32 v44, v52
	v_min_u32_e32 v54, 32, v44
	v_mov_b32_e32 v24, v25
	v_subrev_u32_e32 v44, 28, v54
	v_lshlrev_b64 v[44:45], v44, v[24:25]
	v_lshrrev_b32_e32 v53, 3, v22
	v_sub_u32_e32 v24, 29, v54
	v_and_b32_e32 v44, 7, v44
	v_cmp_gt_u32_e32 vcc, 8, v22
	v_cndmask_b32_e32 v22, v53, v24, vcc
	v_cndmask_b32_e32 v24, v52, v44, vcc
	v_lshlrev_b32_e32 v44, 24, v25
	v_bfrev_b32_e32 v45, 60
	v_lshlrev_b32_e32 v24, 20, v24
	v_and_b32_e32 v44, 0x80000000, v44
	v_lshl_add_u32 v22, v22, 23, v45
	v_or3_b32 v45, v44, v22, v24
.LBB556_377:
	s_or_b64 exec, exec, s[10:11]
.LBB556_378:
	s_or_b64 exec, exec, s[8:9]
.LBB556_379:
	s_or_b64 exec, exec, s[2:3]
	v_lshrrev_b16_e32 v22, 8, v25
	v_cmp_ne_u16_e32 vcc, 0, v22
	v_mov_b32_e32 v52, 0
	v_mov_b32_e32 v53, 0
	s_and_saveexec_b64 s[2:3], vcc
	s_cbranch_execz .LBB556_385
; %bb.380:
	s_movk_i32 s8, 0x80
	v_cmp_ne_u16_e32 vcc, s8, v22
	v_bfrev_b32_e32 v53, 1
	s_and_saveexec_b64 s[8:9], vcc
	s_cbranch_execz .LBB556_384
; %bb.381:
	s_movk_i32 s10, 0x7f
	v_and_b32_e32 v24, 0x7f, v22
	v_cmp_ne_u32_e32 vcc, s10, v24
	v_mov_b32_e32 v53, 0x7f800001
	s_and_saveexec_b64 s[10:11], vcc
	s_cbranch_execz .LBB556_383
; %bb.382:
	v_and_b32_e32 v44, 7, v22
	v_ffbh_u32_e32 v54, v44
	v_min_u32_e32 v56, 32, v54
	v_subrev_u32_e32 v54, 28, v56
	v_lshlrev_b64 v[54:55], v54, v[22:23]
	v_lshrrev_b32_e32 v53, 3, v24
	v_sub_u32_e32 v22, 29, v56
	v_and_b32_e32 v54, 7, v54
	v_cmp_gt_u32_e32 vcc, 8, v24
	v_cndmask_b32_e32 v22, v53, v22, vcc
	v_cndmask_b32_e32 v24, v44, v54, vcc
	v_lshlrev_b32_e32 v44, 16, v25
	v_bfrev_b32_e32 v53, 60
	v_lshlrev_b32_e32 v24, 20, v24
	v_and_b32_e32 v44, 0x80000000, v44
	v_lshl_add_u32 v22, v22, 23, v53
	v_or3_b32 v53, v44, v22, v24
.LBB556_383:
	s_or_b64 exec, exec, s[10:11]
.LBB556_384:
	s_or_b64 exec, exec, s[8:9]
.LBB556_385:
	s_or_b64 exec, exec, s[2:3]
	s_movk_i32 s2, 0xff
	v_and_b32_sdwa v24, v25, s2 dst_sel:DWORD dst_unused:UNUSED_PAD src0_sel:WORD_1 src1_sel:DWORD
	v_lshrrev_b32_e32 v22, 16, v25
	v_cmp_ne_u16_e32 vcc, 0, v24
	s_and_saveexec_b64 s[2:3], vcc
	s_cbranch_execz .LBB556_391
; %bb.386:
	s_movk_i32 s8, 0x80
	v_cmp_ne_u16_e32 vcc, s8, v24
	v_bfrev_b32_e32 v52, 1
	s_and_saveexec_b64 s[8:9], vcc
	s_cbranch_execz .LBB556_390
; %bb.387:
	v_bfe_u32 v24, v25, 16, 7
	s_movk_i32 s10, 0x7f
	v_cmp_ne_u32_e32 vcc, s10, v24
	v_mov_b32_e32 v52, 0x7f800001
	s_and_saveexec_b64 s[10:11], vcc
	s_cbranch_execz .LBB556_389
; %bb.388:
	v_and_b32_e32 v44, 7, v22
	v_ffbh_u32_e32 v54, v44
	v_min_u32_e32 v56, 32, v54
	v_subrev_u32_e32 v54, 28, v56
	v_lshlrev_b64 v[54:55], v54, v[22:23]
	v_and_b32_e32 v54, 7, v54
	v_cmp_gt_u32_e32 vcc, 8, v24
	v_lshrrev_b32_e32 v52, 3, v24
	v_sub_u32_e32 v22, 29, v56
	v_cndmask_b32_e32 v24, v44, v54, vcc
	v_mov_b32_e32 v44, 24
	v_cndmask_b32_e32 v22, v52, v22, vcc
	v_lshlrev_b32_sdwa v44, v44, v25 dst_sel:DWORD dst_unused:UNUSED_PAD src0_sel:DWORD src1_sel:WORD_1
	v_bfrev_b32_e32 v52, 60
	v_lshlrev_b32_e32 v24, 20, v24
	v_and_b32_e32 v44, 0x80000000, v44
	v_lshl_add_u32 v22, v22, 23, v52
	v_or3_b32 v52, v44, v22, v24
.LBB556_389:
	s_or_b64 exec, exec, s[10:11]
.LBB556_390:
	s_or_b64 exec, exec, s[8:9]
.LBB556_391:
	s_or_b64 exec, exec, s[2:3]
	s_mov_b32 s2, 0xffffff
	v_and_b32_e32 v44, 63, v0
	v_cmp_lt_u32_e32 vcc, s2, v25
	v_mov_b32_e32 v54, 0
	s_and_saveexec_b64 s[2:3], vcc
	s_cbranch_execz .LBB556_397
; %bb.392:
	v_lshrrev_b32_e32 v22, 24, v25
	s_movk_i32 s8, 0x80
	v_cmp_ne_u32_e32 vcc, s8, v22
	v_bfrev_b32_e32 v54, 1
	s_and_saveexec_b64 s[8:9], vcc
	s_cbranch_execz .LBB556_396
; %bb.393:
	v_bfe_u32 v24, v25, 24, 7
	s_movk_i32 s10, 0x7f
	v_cmp_ne_u32_e32 vcc, s10, v24
	v_mov_b32_e32 v54, 0x7f800001
	s_and_saveexec_b64 s[10:11], vcc
	s_cbranch_execz .LBB556_395
; %bb.394:
	v_and_b32_e32 v25, 7, v22
	v_ffbh_u32_e32 v54, v25
	v_min_u32_e32 v57, 32, v54
	v_subrev_u32_e32 v54, 28, v57
	v_lshlrev_b64 v[54:55], v54, v[22:23]
	v_lshrrev_b32_e32 v56, 3, v24
	v_sub_u32_e32 v55, 29, v57
	v_and_b32_e32 v54, 7, v54
	v_cmp_gt_u32_e32 vcc, 8, v24
	v_cndmask_b32_e32 v24, v56, v55, vcc
	v_cndmask_b32_e32 v25, v25, v54, vcc
	v_lshlrev_b32_e32 v22, 24, v22
	v_bfrev_b32_e32 v54, 60
	v_lshlrev_b32_e32 v25, 20, v25
	v_and_b32_e32 v22, 0x80000000, v22
	v_lshl_add_u32 v24, v24, 23, v54
	v_or3_b32 v54, v22, v24, v25
.LBB556_395:
	s_or_b64 exec, exec, s[10:11]
.LBB556_396:
	s_or_b64 exec, exec, s[8:9]
.LBB556_397:
	s_or_b64 exec, exec, s[2:3]
	v_cvt_pkrtz_f16_f32 v42, v42, v43
	v_cvt_pkrtz_f16_f32 v43, v23, v51
	s_load_dword s2, s[4:5], 0x1c
	s_mov_b32 s46, 0xff7fffff
	s_waitcnt lgkmcnt(0)
	v_mfma_f32_16x16x16f16 v[26:29], v[42:43], v[18:19], v[26:29]
	v_cvt_pkrtz_f16_f32 v18, v45, v53
	v_cvt_pkrtz_f16_f32 v19, v52, v54
	v_mov_b32_e32 v22, s2
	v_mul_f32_e32 v56, s12, v22
	v_pk_mul_f32 v[22:23], v[56:57], v[32:33] op_sel_hi:[0,1]
	v_pk_mul_f32 v[32:33], v[56:57], v[38:39] op_sel_hi:[0,1]
	v_and_b32_e32 v38, 0xc0, v0
	v_mfma_f32_16x16x16f16 v[26:29], v[18:19], v[20:21], v[26:29]
	v_add_u32_e32 v38, s18, v38
	v_lshl_or_b32 v38, v1, 2, v38
	v_or_b32_e32 v39, 1, v38
	v_pk_mul_f32 v[24:25], v[56:57], v[30:31] op_sel_hi:[0,1]
	v_pk_mul_f32 v[30:31], v[56:57], v[40:41] op_sel_hi:[0,1]
	v_subrev_u32_e32 v40, s33, v39
	v_pk_mul_f32 v[34:35], v[56:57], v[34:35] op_sel_hi:[0,1]
	s_nop 3
	v_pk_mul_f32 v[20:21], v[56:57], v[26:27] op_sel_hi:[0,1]
	v_add_u32_e32 v27, 1, v40
	v_pk_mul_f32 v[18:19], v[56:57], v[28:29] op_sel_hi:[0,1]
	v_cvt_f32_i32_e32 v27, v27
	v_add_u32_e32 v29, 3, v40
	v_cvt_f32_i32_e32 v29, v29
	v_cvt_f32_i32_e32 v26, v40
	v_pk_mul_f32 v[36:37], v[56:57], v[36:37] op_sel_hi:[0,1]
	v_fmac_f32_e32 v35, v50, v27
	v_add_u32_e32 v27, 16, v40
	v_fmac_f32_e32 v37, v50, v29
	v_cvt_f32_i32_e32 v27, v27
	v_add_u32_e32 v29, 17, v40
	v_fma_f32 v26, v50, v26, v34
	v_cvt_f32_i32_e32 v29, v29
	v_add_u32_e32 v34, 18, v40
	v_cvt_f32_i32_e32 v34, v34
	v_fma_f32 v41, v50, v27, v32
	v_add_u32_e32 v27, 32, v40
	v_fmac_f32_e32 v33, v50, v29
	v_cvt_f32_i32_e32 v27, v27
	v_add_u32_e32 v29, 33, v40
	v_add_u32_e32 v32, 34, v40
	v_fma_f32 v30, v50, v34, v30
	v_cvt_f32_i32_e32 v29, v29
	v_cvt_f32_i32_e32 v32, v32
	v_add_u32_e32 v34, 35, v40
	v_cvt_f32_i32_e32 v34, v34
	v_fma_f32 v24, v50, v27, v24
	v_add_u32_e32 v27, 48, v40
	v_fmac_f32_e32 v25, v50, v29
	v_fma_f32 v22, v50, v32, v22
	v_cvt_f32_i32_e32 v27, v27
	v_add_u32_e32 v29, 49, v40
	v_add_u32_e32 v32, 50, v40
	v_fmac_f32_e32 v23, v50, v34
	v_cvt_f32_i32_e32 v29, v29
	v_cvt_f32_i32_e32 v32, v32
	v_add_u32_e32 v34, 51, v40
	v_add_u32_e32 v28, 2, v40
	v_cvt_f32_i32_e32 v34, v34
	v_cvt_f32_i32_e32 v28, v28
	v_fma_f32 v20, v50, v27, v20
	v_mov_b32_e32 v27, 0xff7fffff
	v_cmp_gt_i32_e64 s[26:27], s33, v38
	v_cmp_gt_i32_e64 s[28:29], s33, v39
	v_fmac_f32_e32 v21, v50, v29
	v_fma_f32 v18, v50, v32, v18
	v_cndmask_b32_e64 v29, v27, v26, s[26:27]
	v_cndmask_b32_e64 v32, v27, v35, s[28:29]
	v_fmac_f32_e32 v19, v50, v34
	v_max3_f32 v29, v29, s46, v32
	v_or_b32_e32 v32, 2, v38
	v_or_b32_e32 v34, 3, v38
	v_fma_f32 v28, v50, v28, v36
	v_cmp_gt_i32_e64 s[30:31], s33, v32
	v_cmp_gt_i32_e64 s[34:35], s33, v34
	v_add_u32_e32 v36, 19, v40
	v_cndmask_b32_e64 v32, v27, v28, s[30:31]
	v_cndmask_b32_e64 v34, v27, v37, s[34:35]
	v_cvt_f32_i32_e32 v36, v36
	v_max3_f32 v29, v29, v32, v34
	v_or_b32_e32 v32, 16, v38
	v_or_b32_e32 v34, 17, v38
	v_cmp_gt_i32_e64 s[36:37], s33, v32
	v_cmp_gt_i32_e64 s[38:39], s33, v34
	v_cndmask_b32_e64 v32, v27, v41, s[36:37]
	v_cndmask_b32_e64 v34, v27, v33, s[38:39]
	v_max3_f32 v29, v29, v32, v34
	v_or_b32_e32 v32, 18, v38
	v_or_b32_e32 v34, 19, v38
	v_fmac_f32_e32 v31, v50, v36
	v_cmp_gt_i32_e64 s[20:21], s33, v32
	v_cmp_gt_i32_e64 s[22:23], s33, v34
	v_cndmask_b32_e64 v32, v27, v30, s[20:21]
	v_cndmask_b32_e64 v34, v27, v31, s[22:23]
	v_max3_f32 v29, v29, v32, v34
	v_or_b32_e32 v32, 32, v38
	v_or_b32_e32 v34, 33, v38
	v_cmp_gt_i32_e64 s[16:17], s33, v32
	v_cmp_gt_i32_e64 s[18:19], s33, v34
	v_cndmask_b32_e64 v32, v27, v24, s[16:17]
	v_cndmask_b32_e64 v34, v27, v25, s[18:19]
	v_max3_f32 v29, v29, v32, v34
	v_or_b32_e32 v32, 34, v38
	v_or_b32_e32 v34, 35, v38
	;; [unrolled: 7-line block ×4, first 2 shown]
	v_cmp_gt_i32_e32 vcc, s33, v32
	v_cmp_gt_i32_e64 s[2:3], s33, v34
	v_cndmask_b32_e32 v32, v27, v18, vcc
	v_cndmask_b32_e64 v27, v27, v19, s[2:3]
	v_max3_f32 v27, v29, v32, v27
	v_mbcnt_lo_u32_b32 v29, -1, 0
	v_mbcnt_hi_u32_b32 v29, -1, v29
	v_and_b32_e32 v32, 64, v29
	v_add_u32_e32 v32, 64, v32
	v_xor_b32_e32 v34, 32, v29
	v_cmp_lt_i32_e64 s[40:41], v34, v32
	v_cndmask_b32_e64 v34, v29, v34, s[40:41]
	v_lshlrev_b32_e32 v36, 2, v34
	ds_bpermute_b32 v34, v36, v27
	s_barrier
	s_waitcnt lgkmcnt(0)
	v_max_f32_e32 v34, v34, v34
	v_max_f32_e32 v27, v27, v34
	v_xor_b32_e32 v34, 16, v29
	v_cmp_lt_i32_e64 s[40:41], v34, v32
	v_cndmask_b32_e64 v29, v29, v34, s[40:41]
	v_lshlrev_b32_e32 v38, 2, v29
	ds_bpermute_b32 v29, v38, v27
	s_waitcnt lgkmcnt(0)
	v_max_f32_e32 v29, v29, v29
	v_max_f32_e32 v32, v27, v29
	v_sub_f32_e32 v26, v26, v32
	v_mul_f32_e32 v26, 0x3fb8aa3b, v26
	v_sub_f32_e32 v27, v35, v32
	v_exp_f32_e32 v26, v26
	v_mul_f32_e32 v27, 0x3fb8aa3b, v27
	v_sub_f32_e32 v28, v28, v32
	v_exp_f32_e32 v27, v27
	v_mul_f32_e32 v28, 0x3fb8aa3b, v28
	v_exp_f32_e32 v28, v28
	v_cndmask_b32_e64 v26, 0, v26, s[26:27]
	v_sub_f32_e32 v34, v37, v32
	v_add_f32_e32 v29, 0, v26
	v_cndmask_b32_e64 v27, 0, v27, s[28:29]
	v_mul_f32_e32 v34, 0x3fb8aa3b, v34
	v_exp_f32_e32 v35, v34
	v_add_f32_e32 v29, v29, v27
	v_cndmask_b32_e64 v34, 0, v28, s[30:31]
	v_add_f32_e32 v28, v29, v34
	v_sub_f32_e32 v29, v41, v32
	v_mul_f32_e32 v29, 0x3fb8aa3b, v29
	v_sub_f32_e32 v33, v33, v32
	v_exp_f32_e32 v29, v29
	v_mul_f32_e32 v33, 0x3fb8aa3b, v33
	v_sub_f32_e32 v30, v30, v32
	v_exp_f32_e32 v33, v33
	;; [unrolled: 3-line block ×3, first 2 shown]
	v_mul_f32_e32 v31, 0x3fb8aa3b, v31
	v_sub_f32_e32 v24, v24, v32
	v_cndmask_b32_e64 v35, 0, v35, s[34:35]
	v_exp_f32_e32 v31, v31
	v_mul_f32_e32 v24, 0x3fb8aa3b, v24
	v_sub_f32_e32 v25, v25, v32
	v_add_f32_e32 v37, v28, v35
	v_cndmask_b32_e64 v28, 0, v29, s[36:37]
	v_exp_f32_e32 v24, v24
	v_mul_f32_e32 v25, 0x3fb8aa3b, v25
	v_sub_f32_e32 v22, v22, v32
	v_add_f32_e32 v37, v37, v28
	;; [unrolled: 5-line block ×7, first 2 shown]
	v_cndmask_b32_e64 v22, 0, v22, s[12:13]
	v_exp_f32_e32 v18, v18
	v_mul_f32_e32 v19, 0x3fb8aa3b, v19
	v_add_f32_e32 v33, v33, v22
	v_cndmask_b32_e64 v23, 0, v23, s[14:15]
	v_exp_f32_e32 v19, v19
	v_add_f32_e32 v33, v33, v23
	v_cndmask_b32_e64 v20, 0, v20, s[8:9]
	v_add_f32_e32 v33, v33, v20
	v_cndmask_b32_e64 v21, 0, v21, s[10:11]
	v_add_f32_e32 v33, v33, v21
	v_cndmask_b32_e32 v18, 0, v18, vcc
	v_add_f32_e32 v33, v33, v18
	v_cndmask_b32_e64 v19, 0, v19, s[2:3]
	v_add_f32_e32 v33, v33, v19
	ds_bpermute_b32 v36, v36, v33
	v_cmp_gt_u32_e32 vcc, 16, v44
	s_waitcnt lgkmcnt(0)
	v_add_f32_e32 v33, v33, v36
	ds_bpermute_b32 v37, v38, v33
	v_lshlrev_b32_e32 v36, 2, v48
	s_and_saveexec_b64 s[2:3], vcc
	s_cbranch_execz .LBB556_399
; %bb.398:
	s_waitcnt lgkmcnt(0)
	v_add_f32_e32 v33, v33, v37
	v_lshl_or_b32 v37, v49, 6, v36
	ds_write2st64_b32 v37, v32, v33 offset1:1
.LBB556_399:
	s_or_b64 exec, exec, s[2:3]
	s_waitcnt lgkmcnt(0)
	s_barrier
	ds_read2_b32 v[38:39], v36 offset1:16
	ds_read2_b32 v[40:41], v36 offset0:32 offset1:48
	ds_read2_b32 v[42:43], v36 offset0:64 offset1:80
	s_mul_i32 s12, s45, 15
	s_waitcnt lgkmcnt(2)
	v_max3_f32 v32, v38, s46, v39
	s_waitcnt lgkmcnt(1)
	v_max3_f32 v33, v32, v40, v41
	v_sub_f32_e32 v32, v38, v33
	v_mul_f32_e32 v32, 0x3fb8aa3b, v32
	v_exp_f32_e32 v37, v32
	v_sub_f32_e32 v32, v39, v33
	v_mul_f32_e32 v32, 0x3fb8aa3b, v32
	v_exp_f32_e32 v44, v32
	v_sub_f32_e32 v32, v40, v33
	v_mul_f32_e32 v32, 0x3fb8aa3b, v32
	v_exp_f32_e32 v40, v32
	ds_read2_b32 v[38:39], v36 offset0:96 offset1:112
	v_sub_f32_e32 v32, v41, v33
	v_mul_f32_e32 v32, 0x3fb8aa3b, v32
	v_exp_f32_e32 v41, v32
	s_waitcnt lgkmcnt(1)
	v_fma_f32 v36, v37, v42, 0
	v_fmac_f32_e32 v36, v44, v43
	s_waitcnt lgkmcnt(0)
	v_fmac_f32_e32 v36, v40, v38
	v_fmac_f32_e32 v36, v41, v39
	v_add_f32_e32 v38, 0x358637bd, v36
	v_div_scale_f32 v39, s[2:3], v38, v38, 1.0
	v_rcp_f32_e32 v42, v39
	s_barrier
	v_fma_f32 v43, -v39, v42, 1.0
	v_fmac_f32_e32 v42, v43, v42
	v_div_scale_f32 v43, vcc, 1.0, v38, 1.0
	v_mul_f32_e32 v45, v43, v42
	v_fma_f32 v50, -v39, v45, v43
	v_fmac_f32_e32 v45, v50, v42
	v_fma_f32 v39, -v39, v45, v43
	v_div_fmas_f32 v39, v39, v42, v45
	v_cmp_eq_u32_e32 vcc, 1, v49
	v_cndmask_b32_e32 v37, v37, v44, vcc
	v_cmp_eq_u32_e32 vcc, 2, v49
	v_cndmask_b32_e32 v37, v37, v40, vcc
	v_cmp_eq_u32_e32 vcc, 3, v49
	v_div_fixup_f32 v38, v39, v38, 1.0
	v_cndmask_b32_e32 v37, v37, v41, vcc
	v_mul_f32_e32 v38, v37, v38
	v_pk_mul_f32 v[34:35], v[38:39], v[34:35] op_sel_hi:[0,1]
	v_pk_mul_f32 v[26:27], v[38:39], v[26:27] op_sel_hi:[0,1]
	v_cvt_f16_f32_e32 v26, v26
	v_cvt_f16_f32_e32 v27, v27
	;; [unrolled: 1-line block ×4, first 2 shown]
	v_pk_mul_f32 v[30:31], v[38:39], v[30:31] op_sel_hi:[0,1]
	v_pk_mul_f32 v[28:29], v[38:39], v[28:29] op_sel_hi:[0,1]
	v_cvt_f16_f32_e32 v28, v28
	v_cvt_f16_f32_e32 v29, v29
	;; [unrolled: 1-line block ×4, first 2 shown]
	v_pack_b32_f16 v34, v26, v27
	v_pack_b32_f16 v35, v37, v35
	v_lshlrev_b32_e32 v26, 3, v1
	v_lshlrev_b32_e32 v27, 5, v48
	;; [unrolled: 1-line block ×3, first 2 shown]
	v_or3_b32 v26, v37, v27, v26
	v_pack_b32_f16 v28, v28, v29
	v_pack_b32_f16 v29, v30, v31
	v_pk_mul_f32 v[22:23], v[38:39], v[22:23] op_sel_hi:[0,1]
	v_pk_mul_f32 v[24:25], v[38:39], v[24:25] op_sel_hi:[0,1]
	;; [unrolled: 1-line block ×4, first 2 shown]
	ds_write2st64_b64 v26, v[34:35], v[28:29] offset1:1
	v_cvt_f16_f32_e32 v24, v24
	v_cvt_f16_f32_e32 v25, v25
	;; [unrolled: 1-line block ×8, first 2 shown]
	v_mov_b32_e32 v32, 0
	v_pack_b32_f16 v18, v24, v25
	v_pack_b32_f16 v19, v22, v23
	;; [unrolled: 1-line block ×4, first 2 shown]
	v_cmp_gt_u32_e32 vcc, 15, v0
	ds_write2st64_b64 v26, v[18:19], v[20:21] offset0:2 offset1:3
	s_and_saveexec_b64 s[2:3], vcc
	s_cbranch_execz .LBB556_401
; %bb.400:
	v_add_co_u32_e32 v20, vcc, s25, v48
	v_addc_co_u32_e64 v21, s[14:15], 0, 0, vcc
	v_mov_b32_e32 v18, s12
	v_mov_b32_e32 v19, 0
	v_mad_u64_u32 v[20:21], s[14:15], s6, v18, v[20:21]
	v_mov_b32_e32 v18, s24
	s_load_dwordx4 s[8:11], s[4:5], 0x58
	s_mul_i32 s7, s7, s12
	v_mad_u64_u32 v[18:19], s[14:15], v20, s44, v[18:19]
	v_add_u32_e32 v21, s7, v21
	v_mov_b32_e32 v20, v19
	v_mad_u64_u32 v[20:21], s[14:15], v21, s44, v[20:21]
	v_mov_b32_e32 v19, v20
	v_lshlrev_b64 v[18:19], 2, v[18:19]
	s_waitcnt lgkmcnt(0)
	v_mov_b32_e32 v21, s11
	v_add_co_u32_e32 v20, vcc, s10, v18
	v_addc_co_u32_e32 v21, vcc, v21, v19, vcc
	global_store_dword v[20:21], v33, off
	v_mov_b32_e32 v20, s9
	v_add_co_u32_e32 v18, vcc, s8, v18
	v_addc_co_u32_e32 v19, vcc, v20, v19, vcc
	global_store_dword v[18:19], v36, off
.LBB556_401:
	s_or_b64 exec, exec, s[2:3]
	v_mov_b32_e32 v19, 0
	s_waitcnt vmcnt(3)
	v_cmp_ne_u16_sdwa s[8:9], v14, v19 src0_sel:BYTE_0 src1_sel:DWORD
	s_waitcnt lgkmcnt(0)
	s_barrier
	s_and_saveexec_b64 s[2:3], s[8:9]
	s_cbranch_execz .LBB556_407
; %bb.402:
	s_movk_i32 s7, 0x80
	v_cmp_ne_u16_sdwa s[10:11], v14, s7 src0_sel:BYTE_0 src1_sel:DWORD
	v_bfrev_b32_e32 v32, 1
	s_and_saveexec_b64 s[8:9], s[10:11]
	s_cbranch_execz .LBB556_406
; %bb.403:
	s_movk_i32 s7, 0x7f
	v_and_b32_e32 v18, 0x7f, v14
	v_cmp_ne_u32_e32 vcc, s7, v18
	v_mov_b32_e32 v32, 0x7f800001
	s_and_saveexec_b64 s[10:11], vcc
	s_cbranch_execz .LBB556_405
; %bb.404:
	v_and_b32_e32 v22, 7, v14
	v_ffbh_u32_e32 v20, v22
	v_min_u32_e32 v24, 32, v20
	v_subrev_u32_e32 v20, 28, v24
	v_lshlrev_b64 v[20:21], v20, v[14:15]
	v_lshrrev_b32_e32 v23, 3, v18
	v_sub_u32_e32 v21, 29, v24
	v_and_b32_e32 v20, 7, v20
	v_cmp_gt_u32_e32 vcc, 8, v18
	v_cndmask_b32_e32 v18, v23, v21, vcc
	v_cndmask_b32_e32 v20, v22, v20, vcc
	v_lshlrev_b32_e32 v21, 24, v14
	v_bfrev_b32_e32 v22, 60
	v_lshlrev_b32_e32 v20, 20, v20
	v_and_b32_e32 v21, 0x80000000, v21
	v_lshl_add_u32 v18, v18, 23, v22
	v_or3_b32 v32, v21, v18, v20
.LBB556_405:
	s_or_b64 exec, exec, s[10:11]
.LBB556_406:
	s_or_b64 exec, exec, s[8:9]
.LBB556_407:
	s_or_b64 exec, exec, s[2:3]
	v_lshrrev_b16_e32 v18, 8, v14
	v_cmp_ne_u16_e32 vcc, 0, v18
	v_mov_b32_e32 v20, 0
	s_and_saveexec_b64 s[2:3], vcc
	s_cbranch_execz .LBB556_413
; %bb.408:
	s_movk_i32 s7, 0x80
	v_cmp_ne_u16_e32 vcc, s7, v18
	v_bfrev_b32_e32 v20, 1
	s_and_saveexec_b64 s[8:9], vcc
	s_cbranch_execz .LBB556_412
; %bb.409:
	s_movk_i32 s7, 0x7f
	v_and_b32_e32 v21, 0x7f, v18
	v_cmp_ne_u32_e32 vcc, s7, v21
	v_mov_b32_e32 v20, 0x7f800001
	s_and_saveexec_b64 s[10:11], vcc
	s_cbranch_execz .LBB556_411
; %bb.410:
	v_and_b32_e32 v20, 7, v18
	v_ffbh_u32_e32 v22, v20
	v_min_u32_e32 v25, 32, v22
	v_subrev_u32_e32 v22, 28, v25
	v_lshlrev_b64 v[22:23], v22, v[18:19]
	v_lshrrev_b32_e32 v24, 3, v21
	v_sub_u32_e32 v18, 29, v25
	v_and_b32_e32 v22, 7, v22
	v_cmp_gt_u32_e32 vcc, 8, v21
	v_cndmask_b32_e32 v18, v24, v18, vcc
	v_cndmask_b32_e32 v20, v20, v22, vcc
	v_lshlrev_b32_e32 v21, 16, v14
	v_bfrev_b32_e32 v22, 60
	v_lshlrev_b32_e32 v20, 20, v20
	v_and_b32_e32 v21, 0x80000000, v21
	v_lshl_add_u32 v18, v18, 23, v22
	v_or3_b32 v20, v21, v18, v20
.LBB556_411:
	s_or_b64 exec, exec, s[10:11]
.LBB556_412:
	s_or_b64 exec, exec, s[8:9]
.LBB556_413:
	s_or_b64 exec, exec, s[2:3]
	s_movk_i32 s2, 0xff
	v_and_b32_sdwa v21, v14, s2 dst_sel:DWORD dst_unused:UNUSED_PAD src0_sel:WORD_1 src1_sel:DWORD
	v_lshrrev_b32_e32 v18, 16, v14
	v_cmp_ne_u16_e32 vcc, 0, v21
	s_and_saveexec_b64 s[2:3], vcc
	s_cbranch_execz .LBB556_419
; %bb.414:
	s_movk_i32 s7, 0x80
	v_cmp_ne_u16_e32 vcc, s7, v21
	v_bfrev_b32_e32 v19, 1
	s_and_saveexec_b64 s[8:9], vcc
	s_cbranch_execz .LBB556_418
; %bb.415:
	v_bfe_u32 v21, v14, 16, 7
	s_movk_i32 s7, 0x7f
	v_cmp_ne_u32_e32 vcc, s7, v21
	v_mov_b32_e32 v19, 0x7f800001
	s_and_saveexec_b64 s[10:11], vcc
	s_cbranch_execz .LBB556_417
; %bb.416:
	v_and_b32_e32 v22, 7, v18
	v_ffbh_u32_e32 v19, v22
	v_min_u32_e32 v24, 32, v19
	v_subrev_u32_e32 v19, 28, v24
	v_lshlrev_b64 v[18:19], v19, v[18:19]
	v_lshrrev_b32_e32 v23, 3, v21
	v_sub_u32_e32 v19, 29, v24
	v_and_b32_e32 v18, 7, v18
	v_cmp_gt_u32_e32 vcc, 8, v21
	v_mov_b32_e32 v21, 24
	v_cndmask_b32_e32 v19, v23, v19, vcc
	v_cndmask_b32_e32 v18, v22, v18, vcc
	v_lshlrev_b32_sdwa v21, v21, v14 dst_sel:DWORD dst_unused:UNUSED_PAD src0_sel:DWORD src1_sel:WORD_1
	v_bfrev_b32_e32 v22, 60
	v_lshlrev_b32_e32 v18, 20, v18
	v_and_b32_e32 v21, 0x80000000, v21
	v_lshl_add_u32 v19, v19, 23, v22
	v_or3_b32 v19, v21, v19, v18
.LBB556_417:
	s_or_b64 exec, exec, s[10:11]
.LBB556_418:
	s_or_b64 exec, exec, s[8:9]
.LBB556_419:
	s_or_b64 exec, exec, s[2:3]
	s_mov_b32 s2, 0xffffff
	v_cmp_lt_u32_e32 vcc, s2, v14
	v_mov_b32_e32 v21, 0
	v_mov_b32_e32 v22, 0
	s_and_saveexec_b64 s[2:3], vcc
	s_cbranch_execz .LBB556_425
; %bb.420:
	v_lshrrev_b32_e32 v18, 24, v14
	s_movk_i32 s7, 0x80
	v_cmp_ne_u32_e32 vcc, s7, v18
	v_bfrev_b32_e32 v22, 1
	s_and_saveexec_b64 s[8:9], vcc
	s_cbranch_execz .LBB556_424
; %bb.421:
	v_bfe_u32 v14, v14, 24, 7
	s_movk_i32 s7, 0x7f
	v_cmp_ne_u32_e32 vcc, s7, v14
	v_mov_b32_e32 v22, 0x7f800001
	s_and_saveexec_b64 s[10:11], vcc
	s_cbranch_execz .LBB556_423
; %bb.422:
	v_and_b32_e32 v24, 7, v18
	v_ffbh_u32_e32 v22, v24
	v_min_u32_e32 v28, 32, v22
	v_subrev_u32_e32 v22, 28, v28
	v_lshlrev_b64 v[22:23], v22, v[18:19]
	v_lshrrev_b32_e32 v25, 3, v14
	v_sub_u32_e32 v23, 29, v28
	v_and_b32_e32 v22, 7, v22
	v_cmp_gt_u32_e32 vcc, 8, v14
	v_cndmask_b32_e32 v14, v25, v23, vcc
	v_cndmask_b32_e32 v22, v24, v22, vcc
	v_lshlrev_b32_e32 v18, 24, v18
	v_bfrev_b32_e32 v23, 60
	v_lshlrev_b32_e32 v22, 20, v22
	v_and_b32_e32 v18, 0x80000000, v18
	v_lshl_add_u32 v14, v14, 23, v23
	v_or3_b32 v22, v18, v14, v22
.LBB556_423:
	s_or_b64 exec, exec, s[10:11]
.LBB556_424:
	s_or_b64 exec, exec, s[8:9]
.LBB556_425:
	s_or_b64 exec, exec, s[2:3]
	v_cmp_ne_u16_sdwa s[8:9], v15, v21 src0_sel:BYTE_0 src1_sel:DWORD
	s_and_saveexec_b64 s[2:3], s[8:9]
	s_cbranch_execz .LBB556_431
; %bb.426:
	s_movk_i32 s7, 0x80
	v_cmp_ne_u16_sdwa s[10:11], v15, s7 src0_sel:BYTE_0 src1_sel:DWORD
	v_bfrev_b32_e32 v21, 1
	s_and_saveexec_b64 s[8:9], s[10:11]
	s_cbranch_execz .LBB556_430
; %bb.427:
	s_movk_i32 s7, 0x7f
	v_and_b32_e32 v14, 0x7f, v15
	v_cmp_ne_u32_e32 vcc, s7, v14
	v_mov_b32_e32 v21, 0x7f800001
	s_and_saveexec_b64 s[10:11], vcc
	s_cbranch_execz .LBB556_429
; %bb.428:
	v_and_b32_e32 v21, 7, v15
	v_ffbh_u32_e32 v24, v21
	v_min_u32_e32 v28, 32, v24
	v_mov_b32_e32 v18, v15
	v_subrev_u32_e32 v24, 28, v28
	v_lshlrev_b64 v[24:25], v24, v[18:19]
	v_lshrrev_b32_e32 v23, 3, v14
	v_sub_u32_e32 v18, 29, v28
	v_and_b32_e32 v24, 7, v24
	v_cmp_gt_u32_e32 vcc, 8, v14
	v_cndmask_b32_e32 v14, v23, v18, vcc
	v_cndmask_b32_e32 v18, v21, v24, vcc
	v_lshlrev_b32_e32 v21, 24, v15
	v_bfrev_b32_e32 v23, 60
	v_lshlrev_b32_e32 v18, 20, v18
	v_and_b32_e32 v21, 0x80000000, v21
	v_lshl_add_u32 v14, v14, 23, v23
	v_or3_b32 v21, v21, v14, v18
.LBB556_429:
	s_or_b64 exec, exec, s[10:11]
.LBB556_430:
	s_or_b64 exec, exec, s[8:9]
.LBB556_431:
	s_or_b64 exec, exec, s[2:3]
	v_lshrrev_b16_e32 v14, 8, v15
	v_cmp_ne_u16_e32 vcc, 0, v14
	v_mov_b32_e32 v18, 0
	v_mov_b32_e32 v24, 0
	s_and_saveexec_b64 s[2:3], vcc
	s_cbranch_execz .LBB556_437
; %bb.432:
	s_movk_i32 s7, 0x80
	v_cmp_ne_u16_e32 vcc, s7, v14
	v_bfrev_b32_e32 v24, 1
	s_and_saveexec_b64 s[8:9], vcc
	s_cbranch_execz .LBB556_436
; %bb.433:
	s_movk_i32 s7, 0x7f
	v_and_b32_e32 v23, 0x7f, v14
	v_cmp_ne_u32_e32 vcc, s7, v23
	v_mov_b32_e32 v24, 0x7f800001
	s_and_saveexec_b64 s[10:11], vcc
	s_cbranch_execz .LBB556_435
; %bb.434:
	v_and_b32_e32 v28, 7, v14
	v_ffbh_u32_e32 v24, v28
	v_min_u32_e32 v30, 32, v24
	v_subrev_u32_e32 v24, 28, v30
	v_lshlrev_b64 v[24:25], v24, v[14:15]
	v_lshrrev_b32_e32 v29, 3, v23
	v_sub_u32_e32 v14, 29, v30
	v_and_b32_e32 v24, 7, v24
	v_cmp_gt_u32_e32 vcc, 8, v23
	v_cndmask_b32_e32 v14, v29, v14, vcc
	v_cndmask_b32_e32 v23, v28, v24, vcc
	v_lshlrev_b32_e32 v24, 16, v15
	v_bfrev_b32_e32 v25, 60
	v_lshlrev_b32_e32 v23, 20, v23
	v_and_b32_e32 v24, 0x80000000, v24
	v_lshl_add_u32 v14, v14, 23, v25
	v_or3_b32 v24, v24, v14, v23
.LBB556_435:
	s_or_b64 exec, exec, s[10:11]
.LBB556_436:
	s_or_b64 exec, exec, s[8:9]
.LBB556_437:
	s_or_b64 exec, exec, s[2:3]
	s_movk_i32 s2, 0xff
	v_and_b32_sdwa v23, v15, s2 dst_sel:DWORD dst_unused:UNUSED_PAD src0_sel:WORD_1 src1_sel:DWORD
	v_lshrrev_b32_e32 v14, 16, v15
	v_cmp_ne_u16_e32 vcc, 0, v23
	s_and_saveexec_b64 s[2:3], vcc
	s_cbranch_execz .LBB556_443
; %bb.438:
	s_movk_i32 s7, 0x80
	v_cmp_ne_u16_e32 vcc, s7, v23
	v_bfrev_b32_e32 v18, 1
	s_and_saveexec_b64 s[8:9], vcc
	s_cbranch_execz .LBB556_442
; %bb.439:
	v_bfe_u32 v23, v15, 16, 7
	s_movk_i32 s7, 0x7f
	v_cmp_ne_u32_e32 vcc, s7, v23
	v_mov_b32_e32 v18, 0x7f800001
	s_and_saveexec_b64 s[10:11], vcc
	s_cbranch_execz .LBB556_441
; %bb.440:
	v_and_b32_e32 v18, 7, v14
	v_ffbh_u32_e32 v28, v18
	v_min_u32_e32 v30, 32, v28
	v_subrev_u32_e32 v28, 28, v30
	v_lshlrev_b64 v[28:29], v28, v[14:15]
	v_lshrrev_b32_e32 v25, 3, v23
	v_sub_u32_e32 v14, 29, v30
	v_and_b32_e32 v28, 7, v28
	v_cmp_gt_u32_e32 vcc, 8, v23
	v_mov_b32_e32 v23, 24
	v_cndmask_b32_e32 v14, v25, v14, vcc
	v_cndmask_b32_e32 v18, v18, v28, vcc
	v_lshlrev_b32_sdwa v23, v23, v15 dst_sel:DWORD dst_unused:UNUSED_PAD src0_sel:DWORD src1_sel:WORD_1
	v_bfrev_b32_e32 v25, 60
	v_lshlrev_b32_e32 v18, 20, v18
	v_and_b32_e32 v23, 0x80000000, v23
	v_lshl_add_u32 v14, v14, 23, v25
	v_or3_b32 v18, v23, v14, v18
.LBB556_441:
	s_or_b64 exec, exec, s[10:11]
.LBB556_442:
	s_or_b64 exec, exec, s[8:9]
.LBB556_443:
	s_or_b64 exec, exec, s[2:3]
	s_mov_b32 s2, 0xffffff
	v_cmp_lt_u32_e32 vcc, s2, v15
	v_mov_b32_e32 v23, 0
	v_mov_b32_e32 v25, 0
	s_and_saveexec_b64 s[2:3], vcc
	s_cbranch_execz .LBB556_449
; %bb.444:
	v_lshrrev_b32_e32 v14, 24, v15
	s_movk_i32 s7, 0x80
	v_cmp_ne_u32_e32 vcc, s7, v14
	v_bfrev_b32_e32 v25, 1
	s_and_saveexec_b64 s[8:9], vcc
	s_cbranch_execz .LBB556_448
; %bb.445:
	v_bfe_u32 v15, v15, 24, 7
	s_movk_i32 s7, 0x7f
	v_cmp_ne_u32_e32 vcc, s7, v15
	v_mov_b32_e32 v25, 0x7f800001
	s_and_saveexec_b64 s[10:11], vcc
	s_cbranch_execz .LBB556_447
; %bb.446:
	v_and_b32_e32 v25, 7, v14
	v_ffbh_u32_e32 v28, v25
	v_min_u32_e32 v31, 32, v28
	v_subrev_u32_e32 v28, 28, v31
	v_lshlrev_b64 v[28:29], v28, v[14:15]
	v_lshrrev_b32_e32 v30, 3, v15
	v_sub_u32_e32 v29, 29, v31
	v_and_b32_e32 v28, 7, v28
	v_cmp_gt_u32_e32 vcc, 8, v15
	v_cndmask_b32_e32 v15, v30, v29, vcc
	v_cndmask_b32_e32 v25, v25, v28, vcc
	v_lshlrev_b32_e32 v14, 24, v14
	v_bfrev_b32_e32 v28, 60
	v_lshlrev_b32_e32 v25, 20, v25
	v_and_b32_e32 v14, 0x80000000, v14
	v_lshl_add_u32 v15, v15, 23, v28
	v_or3_b32 v25, v14, v15, v25
.LBB556_447:
	s_or_b64 exec, exec, s[10:11]
.LBB556_448:
	s_or_b64 exec, exec, s[8:9]
.LBB556_449:
	s_or_b64 exec, exec, s[2:3]
	v_cvt_pkrtz_f16_f32 v15, v19, v22
	v_lshl_or_b32 v22, v1, 9, v27
	v_cvt_pkrtz_f16_f32 v14, v32, v20
	ds_read_b128 v[28:31], v22
	v_cmp_ne_u16_sdwa s[8:9], v16, v23 src0_sel:BYTE_0 src1_sel:DWORD
	s_waitcnt lgkmcnt(0)
	v_mfma_f32_16x16x16f16 v[32:35], v[14:15], v[28:29], 0
	v_cvt_pkrtz_f16_f32 v14, v21, v24
	v_cvt_pkrtz_f16_f32 v15, v18, v25
	s_nop 1
	v_mfma_f32_16x16x16f16 v[18:21], v[14:15], v[30:31], v[32:35]
	s_and_saveexec_b64 s[2:3], s[8:9]
	s_cbranch_execz .LBB556_455
; %bb.450:
	s_movk_i32 s7, 0x80
	v_cmp_ne_u16_sdwa s[10:11], v16, s7 src0_sel:BYTE_0 src1_sel:DWORD
	v_bfrev_b32_e32 v23, 1
	s_and_saveexec_b64 s[8:9], s[10:11]
	s_cbranch_execz .LBB556_454
; %bb.451:
	s_movk_i32 s7, 0x7f
	v_and_b32_e32 v14, 0x7f, v16
	v_cmp_ne_u32_e32 vcc, s7, v14
	v_mov_b32_e32 v23, 0x7f800001
	s_and_saveexec_b64 s[10:11], vcc
	s_cbranch_execz .LBB556_453
; %bb.452:
	v_and_b32_e32 v15, 7, v16
	v_ffbh_u32_e32 v24, v15
	v_min_u32_e32 v27, 32, v24
	v_subrev_u32_e32 v24, 28, v27
	v_lshlrev_b64 v[24:25], v24, v[16:17]
	v_lshrrev_b32_e32 v23, 3, v14
	v_sub_u32_e32 v25, 29, v27
	v_and_b32_e32 v24, 7, v24
	v_cmp_gt_u32_e32 vcc, 8, v14
	v_cndmask_b32_e32 v14, v23, v25, vcc
	v_cndmask_b32_e32 v15, v15, v24, vcc
	v_lshlrev_b32_e32 v23, 24, v16
	v_bfrev_b32_e32 v24, 60
	v_lshlrev_b32_e32 v15, 20, v15
	v_and_b32_e32 v23, 0x80000000, v23
	v_lshl_add_u32 v14, v14, 23, v24
	v_or3_b32 v23, v23, v14, v15
.LBB556_453:
	s_or_b64 exec, exec, s[10:11]
.LBB556_454:
	s_or_b64 exec, exec, s[8:9]
.LBB556_455:
	s_or_b64 exec, exec, s[2:3]
	v_lshrrev_b16_e32 v14, 8, v16
	v_cmp_ne_u16_e32 vcc, 0, v14
	v_mov_b32_e32 v15, 0
	v_mov_b32_e32 v25, 0
	s_and_saveexec_b64 s[2:3], vcc
	s_cbranch_execz .LBB556_461
; %bb.456:
	s_movk_i32 s7, 0x80
	v_cmp_ne_u16_e32 vcc, s7, v14
	v_bfrev_b32_e32 v25, 1
	s_and_saveexec_b64 s[8:9], vcc
	s_cbranch_execz .LBB556_460
; %bb.457:
	s_movk_i32 s7, 0x7f
	v_and_b32_e32 v24, 0x7f, v14
	v_cmp_ne_u32_e32 vcc, s7, v24
	v_mov_b32_e32 v25, 0x7f800001
	s_and_saveexec_b64 s[10:11], vcc
	s_cbranch_execz .LBB556_459
; %bb.458:
	v_and_b32_e32 v25, 7, v14
	v_ffbh_u32_e32 v28, v25
	v_min_u32_e32 v30, 32, v28
	v_subrev_u32_e32 v28, 28, v30
	v_lshlrev_b64 v[28:29], v28, v[14:15]
	v_lshrrev_b32_e32 v27, 3, v24
	v_sub_u32_e32 v14, 29, v30
	v_and_b32_e32 v28, 7, v28
	v_cmp_gt_u32_e32 vcc, 8, v24
	v_cndmask_b32_e32 v14, v27, v14, vcc
	v_cndmask_b32_e32 v24, v25, v28, vcc
	v_lshlrev_b32_e32 v25, 16, v16
	v_bfrev_b32_e32 v27, 60
	v_lshlrev_b32_e32 v24, 20, v24
	v_and_b32_e32 v25, 0x80000000, v25
	v_lshl_add_u32 v14, v14, 23, v27
	v_or3_b32 v25, v25, v14, v24
.LBB556_459:
	s_or_b64 exec, exec, s[10:11]
.LBB556_460:
	s_or_b64 exec, exec, s[8:9]
.LBB556_461:
	s_or_b64 exec, exec, s[2:3]
	s_movk_i32 s2, 0xff
	v_and_b32_sdwa v24, v16, s2 dst_sel:DWORD dst_unused:UNUSED_PAD src0_sel:WORD_1 src1_sel:DWORD
	v_lshrrev_b32_e32 v14, 16, v16
	v_cmp_ne_u16_e32 vcc, 0, v24
	s_and_saveexec_b64 s[2:3], vcc
	s_cbranch_execz .LBB556_467
; %bb.462:
	s_movk_i32 s7, 0x80
	v_cmp_ne_u16_e32 vcc, s7, v24
	v_bfrev_b32_e32 v15, 1
	s_and_saveexec_b64 s[8:9], vcc
	s_cbranch_execz .LBB556_466
; %bb.463:
	v_bfe_u32 v24, v16, 16, 7
	s_movk_i32 s7, 0x7f
	v_cmp_ne_u32_e32 vcc, s7, v24
	v_mov_b32_e32 v15, 0x7f800001
	s_and_saveexec_b64 s[10:11], vcc
	s_cbranch_execz .LBB556_465
; %bb.464:
	v_and_b32_e32 v27, 7, v14
	v_ffbh_u32_e32 v15, v27
	v_min_u32_e32 v29, 32, v15
	v_subrev_u32_e32 v15, 28, v29
	v_lshlrev_b64 v[14:15], v15, v[14:15]
	v_lshrrev_b32_e32 v28, 3, v24
	v_sub_u32_e32 v15, 29, v29
	v_and_b32_e32 v14, 7, v14
	v_cmp_gt_u32_e32 vcc, 8, v24
	v_mov_b32_e32 v24, 24
	v_cndmask_b32_e32 v15, v28, v15, vcc
	v_cndmask_b32_e32 v14, v27, v14, vcc
	v_lshlrev_b32_sdwa v24, v24, v16 dst_sel:DWORD dst_unused:UNUSED_PAD src0_sel:DWORD src1_sel:WORD_1
	v_bfrev_b32_e32 v27, 60
	v_lshlrev_b32_e32 v14, 20, v14
	v_and_b32_e32 v24, 0x80000000, v24
	v_lshl_add_u32 v15, v15, 23, v27
	v_or3_b32 v15, v24, v15, v14
.LBB556_465:
	s_or_b64 exec, exec, s[10:11]
.LBB556_466:
	s_or_b64 exec, exec, s[8:9]
.LBB556_467:
	s_or_b64 exec, exec, s[2:3]
	s_mov_b32 s2, 0xffffff
	v_cmp_lt_u32_e32 vcc, s2, v16
	v_mov_b32_e32 v27, 0
	v_mov_b32_e32 v28, 0
	s_and_saveexec_b64 s[2:3], vcc
	s_cbranch_execz .LBB556_473
; %bb.468:
	v_lshrrev_b32_e32 v14, 24, v16
	s_movk_i32 s7, 0x80
	v_cmp_ne_u32_e32 vcc, s7, v14
	v_bfrev_b32_e32 v28, 1
	s_and_saveexec_b64 s[8:9], vcc
	s_cbranch_execz .LBB556_472
; %bb.469:
	v_bfe_u32 v16, v16, 24, 7
	s_movk_i32 s7, 0x7f
	v_cmp_ne_u32_e32 vcc, s7, v16
	v_mov_b32_e32 v28, 0x7f800001
	s_and_saveexec_b64 s[10:11], vcc
	s_cbranch_execz .LBB556_471
; %bb.470:
	v_and_b32_e32 v24, 7, v14
	v_ffbh_u32_e32 v28, v24
	v_min_u32_e32 v31, 32, v28
	v_subrev_u32_e32 v28, 28, v31
	v_lshlrev_b64 v[28:29], v28, v[14:15]
	v_lshrrev_b32_e32 v30, 3, v16
	v_sub_u32_e32 v29, 29, v31
	v_and_b32_e32 v28, 7, v28
	v_cmp_gt_u32_e32 vcc, 8, v16
	v_cndmask_b32_e32 v16, v30, v29, vcc
	v_cndmask_b32_e32 v24, v24, v28, vcc
	v_lshlrev_b32_e32 v14, 24, v14
	v_bfrev_b32_e32 v28, 60
	v_lshlrev_b32_e32 v24, 20, v24
	v_and_b32_e32 v14, 0x80000000, v14
	v_lshl_add_u32 v16, v16, 23, v28
	v_or3_b32 v28, v14, v16, v24
.LBB556_471:
	s_or_b64 exec, exec, s[10:11]
.LBB556_472:
	s_or_b64 exec, exec, s[8:9]
.LBB556_473:
	s_or_b64 exec, exec, s[2:3]
	v_cmp_ne_u16_sdwa s[8:9], v17, v27 src0_sel:BYTE_0 src1_sel:DWORD
	s_and_saveexec_b64 s[2:3], s[8:9]
	s_cbranch_execz .LBB556_479
; %bb.474:
	s_movk_i32 s7, 0x80
	v_cmp_ne_u16_sdwa s[10:11], v17, s7 src0_sel:BYTE_0 src1_sel:DWORD
	v_bfrev_b32_e32 v27, 1
	s_and_saveexec_b64 s[8:9], s[10:11]
	s_cbranch_execz .LBB556_478
; %bb.475:
	s_movk_i32 s7, 0x7f
	v_and_b32_e32 v14, 0x7f, v17
	v_cmp_ne_u32_e32 vcc, s7, v14
	v_mov_b32_e32 v27, 0x7f800001
	s_and_saveexec_b64 s[10:11], vcc
	s_cbranch_execz .LBB556_477
; %bb.476:
	v_and_b32_e32 v24, 7, v17
	v_ffbh_u32_e32 v29, v24
	v_min_u32_e32 v29, 32, v29
	v_mov_b32_e32 v16, v17
	v_subrev_u32_e32 v30, 28, v29
	v_lshlrev_b64 v[30:31], v30, v[16:17]
	v_lshrrev_b32_e32 v27, 3, v14
	v_sub_u32_e32 v16, 29, v29
	v_and_b32_e32 v29, 7, v30
	v_cmp_gt_u32_e32 vcc, 8, v14
	v_cndmask_b32_e32 v14, v27, v16, vcc
	v_cndmask_b32_e32 v16, v24, v29, vcc
	v_lshlrev_b32_e32 v24, 24, v17
	v_bfrev_b32_e32 v27, 60
	v_lshlrev_b32_e32 v16, 20, v16
	v_and_b32_e32 v24, 0x80000000, v24
	v_lshl_add_u32 v14, v14, 23, v27
	v_or3_b32 v27, v24, v14, v16
.LBB556_477:
	s_or_b64 exec, exec, s[10:11]
.LBB556_478:
	s_or_b64 exec, exec, s[8:9]
.LBB556_479:
	s_or_b64 exec, exec, s[2:3]
	v_lshrrev_b16_e32 v14, 8, v17
	v_cmp_ne_u16_e32 vcc, 0, v14
	v_mov_b32_e32 v16, 0
	v_mov_b32_e32 v29, 0
	s_and_saveexec_b64 s[2:3], vcc
	s_cbranch_execz .LBB556_485
; %bb.480:
	s_movk_i32 s7, 0x80
	v_cmp_ne_u16_e32 vcc, s7, v14
	v_bfrev_b32_e32 v29, 1
	s_and_saveexec_b64 s[8:9], vcc
	s_cbranch_execz .LBB556_484
; %bb.481:
	s_movk_i32 s7, 0x7f
	v_and_b32_e32 v24, 0x7f, v14
	v_cmp_ne_u32_e32 vcc, s7, v24
	v_mov_b32_e32 v29, 0x7f800001
	s_and_saveexec_b64 s[10:11], vcc
	s_cbranch_execz .LBB556_483
; %bb.482:
	v_and_b32_e32 v29, 7, v14
	v_ffbh_u32_e32 v30, v29
	v_min_u32_e32 v33, 32, v30
	v_subrev_u32_e32 v30, 28, v33
	v_lshlrev_b64 v[30:31], v30, v[14:15]
	v_lshrrev_b32_e32 v32, 3, v24
	v_sub_u32_e32 v14, 29, v33
	v_and_b32_e32 v30, 7, v30
	v_cmp_gt_u32_e32 vcc, 8, v24
	v_cndmask_b32_e32 v14, v32, v14, vcc
	v_cndmask_b32_e32 v24, v29, v30, vcc
	v_lshlrev_b32_e32 v29, 16, v17
	v_bfrev_b32_e32 v30, 60
	v_lshlrev_b32_e32 v24, 20, v24
	v_and_b32_e32 v29, 0x80000000, v29
	v_lshl_add_u32 v14, v14, 23, v30
	v_or3_b32 v29, v29, v14, v24
.LBB556_483:
	s_or_b64 exec, exec, s[10:11]
.LBB556_484:
	s_or_b64 exec, exec, s[8:9]
.LBB556_485:
	s_or_b64 exec, exec, s[2:3]
	s_movk_i32 s2, 0xff
	v_and_b32_sdwa v24, v17, s2 dst_sel:DWORD dst_unused:UNUSED_PAD src0_sel:WORD_1 src1_sel:DWORD
	v_lshrrev_b32_e32 v14, 16, v17
	v_cmp_ne_u16_e32 vcc, 0, v24
	s_and_saveexec_b64 s[2:3], vcc
	s_cbranch_execz .LBB556_491
; %bb.486:
	s_movk_i32 s7, 0x80
	v_cmp_ne_u16_e32 vcc, s7, v24
	v_bfrev_b32_e32 v16, 1
	s_and_saveexec_b64 s[8:9], vcc
	s_cbranch_execz .LBB556_490
; %bb.487:
	v_bfe_u32 v24, v17, 16, 7
	s_movk_i32 s7, 0x7f
	v_cmp_ne_u32_e32 vcc, s7, v24
	v_mov_b32_e32 v16, 0x7f800001
	s_and_saveexec_b64 s[10:11], vcc
	s_cbranch_execz .LBB556_489
; %bb.488:
	v_and_b32_e32 v16, 7, v14
	v_ffbh_u32_e32 v30, v16
	v_min_u32_e32 v33, 32, v30
	v_subrev_u32_e32 v30, 28, v33
	v_lshlrev_b64 v[30:31], v30, v[14:15]
	v_lshrrev_b32_e32 v32, 3, v24
	v_sub_u32_e32 v14, 29, v33
	v_and_b32_e32 v30, 7, v30
	v_cmp_gt_u32_e32 vcc, 8, v24
	v_mov_b32_e32 v24, 24
	v_cndmask_b32_e32 v14, v32, v14, vcc
	v_cndmask_b32_e32 v16, v16, v30, vcc
	v_lshlrev_b32_sdwa v24, v24, v17 dst_sel:DWORD dst_unused:UNUSED_PAD src0_sel:DWORD src1_sel:WORD_1
	v_bfrev_b32_e32 v30, 60
	v_lshlrev_b32_e32 v16, 20, v16
	v_and_b32_e32 v24, 0x80000000, v24
	v_lshl_add_u32 v14, v14, 23, v30
	v_or3_b32 v16, v24, v14, v16
.LBB556_489:
	s_or_b64 exec, exec, s[10:11]
.LBB556_490:
	s_or_b64 exec, exec, s[8:9]
.LBB556_491:
	s_or_b64 exec, exec, s[2:3]
	s_mov_b32 s2, 0xffffff
	v_cmp_lt_u32_e32 vcc, s2, v17
	v_mov_b32_e32 v24, 0
	v_mov_b32_e32 v30, 0
	s_and_saveexec_b64 s[2:3], vcc
	s_cbranch_execz .LBB556_497
; %bb.492:
	v_lshrrev_b32_e32 v14, 24, v17
	s_movk_i32 s7, 0x80
	v_cmp_ne_u32_e32 vcc, s7, v14
	v_bfrev_b32_e32 v30, 1
	s_and_saveexec_b64 s[8:9], vcc
	s_cbranch_execz .LBB556_496
; %bb.493:
	v_bfe_u32 v17, v17, 24, 7
	s_movk_i32 s7, 0x7f
	v_cmp_ne_u32_e32 vcc, s7, v17
	v_mov_b32_e32 v30, 0x7f800001
	s_and_saveexec_b64 s[10:11], vcc
	s_cbranch_execz .LBB556_495
; %bb.494:
	v_and_b32_e32 v32, 7, v14
	v_ffbh_u32_e32 v30, v32
	v_min_u32_e32 v34, 32, v30
	v_subrev_u32_e32 v30, 28, v34
	v_lshlrev_b64 v[30:31], v30, v[14:15]
	v_lshrrev_b32_e32 v33, 3, v17
	v_sub_u32_e32 v31, 29, v34
	v_and_b32_e32 v30, 7, v30
	v_cmp_gt_u32_e32 vcc, 8, v17
	v_cndmask_b32_e32 v17, v33, v31, vcc
	v_cndmask_b32_e32 v30, v32, v30, vcc
	v_lshlrev_b32_e32 v14, 24, v14
	v_bfrev_b32_e32 v31, 60
	v_lshlrev_b32_e32 v30, 20, v30
	v_and_b32_e32 v14, 0x80000000, v14
	v_lshl_add_u32 v17, v17, 23, v31
	v_or3_b32 v30, v14, v17, v30
.LBB556_495:
	s_or_b64 exec, exec, s[10:11]
.LBB556_496:
	s_or_b64 exec, exec, s[8:9]
.LBB556_497:
	s_or_b64 exec, exec, s[2:3]
	v_cvt_pkrtz_f16_f32 v14, v23, v25
	v_cvt_pkrtz_f16_f32 v15, v15, v28
	ds_read_b128 v[32:35], v22 offset:16
	s_waitcnt vmcnt(2)
	v_cmp_ne_u16_sdwa s[8:9], v10, v24 src0_sel:BYTE_0 src1_sel:DWORD
	s_waitcnt lgkmcnt(0)
	v_mfma_f32_16x16x16f16 v[18:21], v[14:15], v[32:33], v[18:21]
	v_cvt_pkrtz_f16_f32 v14, v27, v29
	v_cvt_pkrtz_f16_f32 v15, v16, v30
	s_nop 1
	v_mfma_f32_16x16x16f16 v[14:17], v[14:15], v[34:35], v[18:21]
	s_and_saveexec_b64 s[2:3], s[8:9]
	s_cbranch_execz .LBB556_503
; %bb.498:
	s_movk_i32 s7, 0x80
	v_cmp_ne_u16_sdwa s[10:11], v10, s7 src0_sel:BYTE_0 src1_sel:DWORD
	v_bfrev_b32_e32 v24, 1
	s_and_saveexec_b64 s[8:9], s[10:11]
	s_cbranch_execz .LBB556_502
; %bb.499:
	s_movk_i32 s7, 0x7f
	v_and_b32_e32 v18, 0x7f, v10
	v_cmp_ne_u32_e32 vcc, s7, v18
	v_mov_b32_e32 v24, 0x7f800001
	s_and_saveexec_b64 s[10:11], vcc
	s_cbranch_execz .LBB556_501
; %bb.500:
	v_and_b32_e32 v19, 7, v10
	v_ffbh_u32_e32 v20, v19
	v_min_u32_e32 v24, 32, v20
	v_subrev_u32_e32 v20, 28, v24
	v_lshlrev_b64 v[20:21], v20, v[10:11]
	v_lshrrev_b32_e32 v23, 3, v18
	v_sub_u32_e32 v21, 29, v24
	v_and_b32_e32 v20, 7, v20
	v_cmp_gt_u32_e32 vcc, 8, v18
	v_cndmask_b32_e32 v18, v23, v21, vcc
	v_cndmask_b32_e32 v19, v19, v20, vcc
	v_lshlrev_b32_e32 v20, 24, v10
	v_bfrev_b32_e32 v21, 60
	v_lshlrev_b32_e32 v19, 20, v19
	v_and_b32_e32 v20, 0x80000000, v20
	v_lshl_add_u32 v18, v18, 23, v21
	v_or3_b32 v24, v20, v18, v19
.LBB556_501:
	s_or_b64 exec, exec, s[10:11]
.LBB556_502:
	s_or_b64 exec, exec, s[8:9]
.LBB556_503:
	s_or_b64 exec, exec, s[2:3]
	s_nop 3
	v_lshrrev_b16_e32 v18, 8, v10
	v_cmp_ne_u16_e32 vcc, 0, v18
	v_mov_b32_e32 v19, 0
	v_mov_b32_e32 v20, 0
	s_and_saveexec_b64 s[2:3], vcc
	s_cbranch_execz .LBB556_509
; %bb.504:
	s_movk_i32 s7, 0x80
	v_cmp_ne_u16_e32 vcc, s7, v18
	v_bfrev_b32_e32 v20, 1
	s_and_saveexec_b64 s[8:9], vcc
	s_cbranch_execz .LBB556_508
; %bb.505:
	s_movk_i32 s7, 0x7f
	v_and_b32_e32 v21, 0x7f, v18
	v_cmp_ne_u32_e32 vcc, s7, v21
	v_mov_b32_e32 v20, 0x7f800001
	s_and_saveexec_b64 s[10:11], vcc
	s_cbranch_execz .LBB556_507
; %bb.506:
	v_and_b32_e32 v20, 7, v18
	v_ffbh_u32_e32 v25, v20
	v_min_u32_e32 v25, 32, v25
	v_subrev_u32_e32 v27, 28, v25
	v_lshlrev_b64 v[28:29], v27, v[18:19]
	v_lshrrev_b32_e32 v23, 3, v21
	v_sub_u32_e32 v18, 29, v25
	v_and_b32_e32 v25, 7, v28
	v_cmp_gt_u32_e32 vcc, 8, v21
	v_cndmask_b32_e32 v18, v23, v18, vcc
	v_cndmask_b32_e32 v20, v20, v25, vcc
	v_lshlrev_b32_e32 v21, 16, v10
	v_bfrev_b32_e32 v23, 60
	v_lshlrev_b32_e32 v20, 20, v20
	v_and_b32_e32 v21, 0x80000000, v21
	v_lshl_add_u32 v18, v18, 23, v23
	v_or3_b32 v20, v21, v18, v20
.LBB556_507:
	s_or_b64 exec, exec, s[10:11]
.LBB556_508:
	s_or_b64 exec, exec, s[8:9]
.LBB556_509:
	s_or_b64 exec, exec, s[2:3]
	s_movk_i32 s2, 0xff
	v_and_b32_sdwa v21, v10, s2 dst_sel:DWORD dst_unused:UNUSED_PAD src0_sel:WORD_1 src1_sel:DWORD
	v_lshrrev_b32_e32 v18, 16, v10
	v_cmp_ne_u16_e32 vcc, 0, v21
	s_and_saveexec_b64 s[2:3], vcc
	s_cbranch_execz .LBB556_515
; %bb.510:
	s_movk_i32 s7, 0x80
	v_cmp_ne_u16_e32 vcc, s7, v21
	v_bfrev_b32_e32 v19, 1
	s_and_saveexec_b64 s[8:9], vcc
	s_cbranch_execz .LBB556_514
; %bb.511:
	v_bfe_u32 v21, v10, 16, 7
	s_movk_i32 s7, 0x7f
	v_cmp_ne_u32_e32 vcc, s7, v21
	v_mov_b32_e32 v19, 0x7f800001
	s_and_saveexec_b64 s[10:11], vcc
	s_cbranch_execz .LBB556_513
; %bb.512:
	v_and_b32_e32 v23, 7, v18
	v_ffbh_u32_e32 v19, v23
	v_min_u32_e32 v27, 32, v19
	v_subrev_u32_e32 v19, 28, v27
	v_lshlrev_b64 v[18:19], v19, v[18:19]
	v_lshrrev_b32_e32 v25, 3, v21
	v_sub_u32_e32 v19, 29, v27
	v_and_b32_e32 v18, 7, v18
	v_cmp_gt_u32_e32 vcc, 8, v21
	v_mov_b32_e32 v21, 24
	v_cndmask_b32_e32 v19, v25, v19, vcc
	v_cndmask_b32_e32 v18, v23, v18, vcc
	v_lshlrev_b32_sdwa v21, v21, v10 dst_sel:DWORD dst_unused:UNUSED_PAD src0_sel:DWORD src1_sel:WORD_1
	v_bfrev_b32_e32 v23, 60
	v_lshlrev_b32_e32 v18, 20, v18
	v_and_b32_e32 v21, 0x80000000, v21
	v_lshl_add_u32 v19, v19, 23, v23
	v_or3_b32 v19, v21, v19, v18
.LBB556_513:
	s_or_b64 exec, exec, s[10:11]
.LBB556_514:
	s_or_b64 exec, exec, s[8:9]
.LBB556_515:
	s_or_b64 exec, exec, s[2:3]
	s_mov_b32 s2, 0xffffff
	v_cmp_lt_u32_e32 vcc, s2, v10
	v_mov_b32_e32 v21, 0
	v_mov_b32_e32 v23, 0
	s_and_saveexec_b64 s[2:3], vcc
	s_cbranch_execz .LBB556_521
; %bb.516:
	v_lshrrev_b32_e32 v18, 24, v10
	s_movk_i32 s7, 0x80
	v_cmp_ne_u32_e32 vcc, s7, v18
	v_bfrev_b32_e32 v23, 1
	s_and_saveexec_b64 s[8:9], vcc
	s_cbranch_execz .LBB556_520
; %bb.517:
	v_bfe_u32 v10, v10, 24, 7
	s_movk_i32 s7, 0x7f
	v_cmp_ne_u32_e32 vcc, s7, v10
	v_mov_b32_e32 v23, 0x7f800001
	s_and_saveexec_b64 s[10:11], vcc
	s_cbranch_execz .LBB556_519
; %bb.518:
	v_and_b32_e32 v23, 7, v18
	v_ffbh_u32_e32 v27, v23
	v_min_u32_e32 v27, 32, v27
	v_subrev_u32_e32 v28, 28, v27
	v_lshlrev_b64 v[28:29], v28, v[18:19]
	v_lshrrev_b32_e32 v25, 3, v10
	v_sub_u32_e32 v27, 29, v27
	v_and_b32_e32 v28, 7, v28
	v_cmp_gt_u32_e32 vcc, 8, v10
	v_cndmask_b32_e32 v10, v25, v27, vcc
	v_cndmask_b32_e32 v23, v23, v28, vcc
	v_lshlrev_b32_e32 v18, 24, v18
	v_bfrev_b32_e32 v25, 60
	v_lshlrev_b32_e32 v23, 20, v23
	v_and_b32_e32 v18, 0x80000000, v18
	v_lshl_add_u32 v10, v10, 23, v25
	v_or3_b32 v23, v18, v10, v23
.LBB556_519:
	s_or_b64 exec, exec, s[10:11]
.LBB556_520:
	s_or_b64 exec, exec, s[8:9]
.LBB556_521:
	s_or_b64 exec, exec, s[2:3]
	v_cmp_ne_u16_sdwa s[8:9], v11, v21 src0_sel:BYTE_0 src1_sel:DWORD
	s_and_saveexec_b64 s[2:3], s[8:9]
	s_cbranch_execz .LBB556_527
; %bb.522:
	s_movk_i32 s7, 0x80
	v_cmp_ne_u16_sdwa s[10:11], v11, s7 src0_sel:BYTE_0 src1_sel:DWORD
	v_bfrev_b32_e32 v21, 1
	s_and_saveexec_b64 s[8:9], s[10:11]
	s_cbranch_execz .LBB556_526
; %bb.523:
	s_movk_i32 s7, 0x7f
	v_and_b32_e32 v10, 0x7f, v11
	v_cmp_ne_u32_e32 vcc, s7, v10
	v_mov_b32_e32 v21, 0x7f800001
	s_and_saveexec_b64 s[10:11], vcc
	s_cbranch_execz .LBB556_525
; %bb.524:
	v_and_b32_e32 v21, 7, v11
	v_ffbh_u32_e32 v27, v21
	v_min_u32_e32 v27, 32, v27
	v_mov_b32_e32 v18, v11
	v_subrev_u32_e32 v28, 28, v27
	v_lshlrev_b64 v[28:29], v28, v[18:19]
	v_lshrrev_b32_e32 v25, 3, v10
	v_sub_u32_e32 v18, 29, v27
	v_and_b32_e32 v27, 7, v28
	v_cmp_gt_u32_e32 vcc, 8, v10
	v_cndmask_b32_e32 v10, v25, v18, vcc
	v_cndmask_b32_e32 v18, v21, v27, vcc
	v_lshlrev_b32_e32 v21, 24, v11
	v_bfrev_b32_e32 v25, 60
	v_lshlrev_b32_e32 v18, 20, v18
	v_and_b32_e32 v21, 0x80000000, v21
	v_lshl_add_u32 v10, v10, 23, v25
	v_or3_b32 v21, v21, v10, v18
.LBB556_525:
	s_or_b64 exec, exec, s[10:11]
.LBB556_526:
	s_or_b64 exec, exec, s[8:9]
.LBB556_527:
	s_or_b64 exec, exec, s[2:3]
	v_lshrrev_b16_e32 v10, 8, v11
	v_cmp_ne_u16_e32 vcc, 0, v10
	v_mov_b32_e32 v25, 0
	v_mov_b32_e32 v27, 0
	s_and_saveexec_b64 s[2:3], vcc
	s_cbranch_execz .LBB556_533
; %bb.528:
	s_movk_i32 s7, 0x80
	v_cmp_ne_u16_e32 vcc, s7, v10
	v_bfrev_b32_e32 v27, 1
	s_and_saveexec_b64 s[8:9], vcc
	s_cbranch_execz .LBB556_532
; %bb.529:
	s_movk_i32 s7, 0x7f
	v_and_b32_e32 v18, 0x7f, v10
	v_cmp_ne_u32_e32 vcc, s7, v18
	v_mov_b32_e32 v27, 0x7f800001
	s_and_saveexec_b64 s[10:11], vcc
	s_cbranch_execz .LBB556_531
; %bb.530:
	v_and_b32_e32 v27, 7, v10
	v_ffbh_u32_e32 v28, v27
	v_min_u32_e32 v31, 32, v28
	v_subrev_u32_e32 v28, 28, v31
	v_lshlrev_b64 v[28:29], v28, v[10:11]
	v_lshrrev_b32_e32 v30, 3, v18
	v_sub_u32_e32 v10, 29, v31
	v_and_b32_e32 v28, 7, v28
	v_cmp_gt_u32_e32 vcc, 8, v18
	v_cndmask_b32_e32 v10, v30, v10, vcc
	v_cndmask_b32_e32 v18, v27, v28, vcc
	v_lshlrev_b32_e32 v27, 16, v11
	v_bfrev_b32_e32 v28, 60
	v_lshlrev_b32_e32 v18, 20, v18
	v_and_b32_e32 v27, 0x80000000, v27
	v_lshl_add_u32 v10, v10, 23, v28
	v_or3_b32 v27, v27, v10, v18
.LBB556_531:
	s_or_b64 exec, exec, s[10:11]
.LBB556_532:
	s_or_b64 exec, exec, s[8:9]
.LBB556_533:
	s_or_b64 exec, exec, s[2:3]
	s_movk_i32 s2, 0xff
	v_and_b32_sdwa v18, v11, s2 dst_sel:DWORD dst_unused:UNUSED_PAD src0_sel:WORD_1 src1_sel:DWORD
	v_lshrrev_b32_e32 v10, 16, v11
	v_cmp_ne_u16_e32 vcc, 0, v18
	s_and_saveexec_b64 s[2:3], vcc
	s_cbranch_execz .LBB556_539
; %bb.534:
	s_movk_i32 s7, 0x80
	v_cmp_ne_u16_e32 vcc, s7, v18
	v_bfrev_b32_e32 v25, 1
	s_and_saveexec_b64 s[8:9], vcc
	s_cbranch_execz .LBB556_538
; %bb.535:
	v_bfe_u32 v18, v11, 16, 7
	s_movk_i32 s7, 0x7f
	v_cmp_ne_u32_e32 vcc, s7, v18
	v_mov_b32_e32 v25, 0x7f800001
	s_and_saveexec_b64 s[10:11], vcc
	s_cbranch_execz .LBB556_537
; %bb.536:
	v_and_b32_e32 v25, 7, v10
	v_ffbh_u32_e32 v28, v25
	v_min_u32_e32 v31, 32, v28
	v_subrev_u32_e32 v28, 28, v31
	v_lshlrev_b64 v[28:29], v28, v[10:11]
	v_and_b32_e32 v28, 7, v28
	v_cmp_gt_u32_e32 vcc, 8, v18
	v_lshrrev_b32_e32 v30, 3, v18
	v_sub_u32_e32 v10, 29, v31
	v_cndmask_b32_e32 v18, v25, v28, vcc
	v_mov_b32_e32 v25, 24
	v_cndmask_b32_e32 v10, v30, v10, vcc
	v_lshlrev_b32_sdwa v25, v25, v11 dst_sel:DWORD dst_unused:UNUSED_PAD src0_sel:DWORD src1_sel:WORD_1
	v_bfrev_b32_e32 v28, 60
	v_lshlrev_b32_e32 v18, 20, v18
	v_and_b32_e32 v25, 0x80000000, v25
	v_lshl_add_u32 v10, v10, 23, v28
	v_or3_b32 v25, v25, v10, v18
.LBB556_537:
	s_or_b64 exec, exec, s[10:11]
.LBB556_538:
	s_or_b64 exec, exec, s[8:9]
.LBB556_539:
	s_or_b64 exec, exec, s[2:3]
	s_mov_b32 s2, 0xffffff
	v_cmp_lt_u32_e32 vcc, s2, v11
	v_mov_b32_e32 v18, 0
	v_mov_b32_e32 v28, 0
	s_and_saveexec_b64 s[2:3], vcc
	s_cbranch_execz .LBB556_545
; %bb.540:
	v_lshrrev_b32_e32 v10, 24, v11
	s_movk_i32 s7, 0x80
	v_cmp_ne_u32_e32 vcc, s7, v10
	v_bfrev_b32_e32 v28, 1
	s_and_saveexec_b64 s[8:9], vcc
	s_cbranch_execz .LBB556_544
; %bb.541:
	v_bfe_u32 v11, v11, 24, 7
	s_movk_i32 s7, 0x7f
	v_cmp_ne_u32_e32 vcc, s7, v11
	v_mov_b32_e32 v28, 0x7f800001
	s_and_saveexec_b64 s[10:11], vcc
	s_cbranch_execz .LBB556_543
; %bb.542:
	v_and_b32_e32 v30, 7, v10
	v_ffbh_u32_e32 v28, v30
	v_min_u32_e32 v32, 32, v28
	v_subrev_u32_e32 v28, 28, v32
	v_lshlrev_b64 v[28:29], v28, v[10:11]
	v_lshrrev_b32_e32 v31, 3, v11
	v_sub_u32_e32 v29, 29, v32
	v_and_b32_e32 v28, 7, v28
	v_cmp_gt_u32_e32 vcc, 8, v11
	v_cndmask_b32_e32 v11, v31, v29, vcc
	v_cndmask_b32_e32 v28, v30, v28, vcc
	v_lshlrev_b32_e32 v10, 24, v10
	v_bfrev_b32_e32 v29, 60
	v_lshlrev_b32_e32 v28, 20, v28
	v_and_b32_e32 v10, 0x80000000, v10
	v_lshl_add_u32 v11, v11, 23, v29
	v_or3_b32 v28, v10, v11, v28
.LBB556_543:
	s_or_b64 exec, exec, s[10:11]
.LBB556_544:
	s_or_b64 exec, exec, s[8:9]
.LBB556_545:
	s_or_b64 exec, exec, s[2:3]
	v_cvt_pkrtz_f16_f32 v10, v24, v20
	v_cvt_pkrtz_f16_f32 v11, v19, v23
	ds_read_b128 v[30:33], v22 offset:2048
	v_cmp_ne_u16_sdwa s[8:9], v12, v18 src0_sel:BYTE_0 src1_sel:DWORD
	s_waitcnt lgkmcnt(0)
	v_mfma_f32_16x16x16f16 v[14:17], v[10:11], v[30:31], v[14:17]
	v_cvt_pkrtz_f16_f32 v10, v21, v27
	v_cvt_pkrtz_f16_f32 v11, v25, v28
	s_nop 1
	v_mfma_f32_16x16x16f16 v[14:17], v[10:11], v[32:33], v[14:17]
	s_and_saveexec_b64 s[2:3], s[8:9]
	s_cbranch_execz .LBB556_551
; %bb.546:
	s_movk_i32 s7, 0x80
	v_cmp_ne_u16_sdwa s[10:11], v12, s7 src0_sel:BYTE_0 src1_sel:DWORD
	v_bfrev_b32_e32 v18, 1
	s_and_saveexec_b64 s[8:9], s[10:11]
	s_cbranch_execz .LBB556_550
; %bb.547:
	s_movk_i32 s7, 0x7f
	v_and_b32_e32 v10, 0x7f, v12
	v_cmp_ne_u32_e32 vcc, s7, v10
	v_mov_b32_e32 v18, 0x7f800001
	s_and_saveexec_b64 s[10:11], vcc
	s_cbranch_execz .LBB556_549
; %bb.548:
	v_and_b32_e32 v11, 7, v12
	v_ffbh_u32_e32 v18, v11
	v_min_u32_e32 v21, 32, v18
	v_subrev_u32_e32 v18, 28, v21
	v_lshlrev_b64 v[18:19], v18, v[12:13]
	v_lshrrev_b32_e32 v20, 3, v10
	v_sub_u32_e32 v19, 29, v21
	v_and_b32_e32 v18, 7, v18
	v_cmp_gt_u32_e32 vcc, 8, v10
	v_cndmask_b32_e32 v10, v20, v19, vcc
	v_cndmask_b32_e32 v11, v11, v18, vcc
	v_lshlrev_b32_e32 v18, 24, v12
	v_bfrev_b32_e32 v19, 60
	v_lshlrev_b32_e32 v11, 20, v11
	v_and_b32_e32 v18, 0x80000000, v18
	v_lshl_add_u32 v10, v10, 23, v19
	v_or3_b32 v18, v18, v10, v11
.LBB556_549:
	s_or_b64 exec, exec, s[10:11]
.LBB556_550:
	s_or_b64 exec, exec, s[8:9]
.LBB556_551:
	s_or_b64 exec, exec, s[2:3]
	v_lshrrev_b16_e32 v10, 8, v12
	v_cmp_ne_u16_e32 vcc, 0, v10
	v_mov_b32_e32 v11, 0
	v_mov_b32_e32 v20, 0
	s_and_saveexec_b64 s[2:3], vcc
	s_cbranch_execz .LBB556_557
; %bb.552:
	s_movk_i32 s7, 0x80
	v_cmp_ne_u16_e32 vcc, s7, v10
	v_bfrev_b32_e32 v20, 1
	s_and_saveexec_b64 s[8:9], vcc
	s_cbranch_execz .LBB556_556
; %bb.553:
	s_movk_i32 s7, 0x7f
	v_and_b32_e32 v19, 0x7f, v10
	v_cmp_ne_u32_e32 vcc, s7, v19
	v_mov_b32_e32 v20, 0x7f800001
	s_and_saveexec_b64 s[10:11], vcc
	s_cbranch_execz .LBB556_555
; %bb.554:
	v_and_b32_e32 v23, 7, v10
	v_ffbh_u32_e32 v20, v23
	v_min_u32_e32 v25, 32, v20
	v_subrev_u32_e32 v20, 28, v25
	v_lshlrev_b64 v[20:21], v20, v[10:11]
	v_lshrrev_b32_e32 v24, 3, v19
	v_sub_u32_e32 v10, 29, v25
	v_and_b32_e32 v20, 7, v20
	v_cmp_gt_u32_e32 vcc, 8, v19
	v_cndmask_b32_e32 v10, v24, v10, vcc
	v_cndmask_b32_e32 v19, v23, v20, vcc
	v_lshlrev_b32_e32 v20, 16, v12
	v_bfrev_b32_e32 v21, 60
	v_lshlrev_b32_e32 v19, 20, v19
	v_and_b32_e32 v20, 0x80000000, v20
	v_lshl_add_u32 v10, v10, 23, v21
	v_or3_b32 v20, v20, v10, v19
.LBB556_555:
	s_or_b64 exec, exec, s[10:11]
.LBB556_556:
	s_or_b64 exec, exec, s[8:9]
.LBB556_557:
	s_or_b64 exec, exec, s[2:3]
	s_movk_i32 s2, 0xff
	v_and_b32_sdwa v19, v12, s2 dst_sel:DWORD dst_unused:UNUSED_PAD src0_sel:WORD_1 src1_sel:DWORD
	v_lshrrev_b32_e32 v10, 16, v12
	v_cmp_ne_u16_e32 vcc, 0, v19
	s_and_saveexec_b64 s[2:3], vcc
	s_cbranch_execz .LBB556_563
; %bb.558:
	s_movk_i32 s7, 0x80
	v_cmp_ne_u16_e32 vcc, s7, v19
	v_bfrev_b32_e32 v11, 1
	s_and_saveexec_b64 s[8:9], vcc
	s_cbranch_execz .LBB556_562
; %bb.559:
	v_bfe_u32 v19, v12, 16, 7
	s_movk_i32 s7, 0x7f
	v_cmp_ne_u32_e32 vcc, s7, v19
	v_mov_b32_e32 v11, 0x7f800001
	s_and_saveexec_b64 s[10:11], vcc
	s_cbranch_execz .LBB556_561
; %bb.560:
	v_and_b32_e32 v21, 7, v10
	v_ffbh_u32_e32 v11, v21
	v_min_u32_e32 v24, 32, v11
	v_subrev_u32_e32 v11, 28, v24
	v_lshlrev_b64 v[10:11], v11, v[10:11]
	v_lshrrev_b32_e32 v23, 3, v19
	v_sub_u32_e32 v11, 29, v24
	v_and_b32_e32 v10, 7, v10
	v_cmp_gt_u32_e32 vcc, 8, v19
	v_mov_b32_e32 v19, 24
	v_cndmask_b32_e32 v11, v23, v11, vcc
	v_cndmask_b32_e32 v10, v21, v10, vcc
	v_lshlrev_b32_sdwa v19, v19, v12 dst_sel:DWORD dst_unused:UNUSED_PAD src0_sel:DWORD src1_sel:WORD_1
	v_bfrev_b32_e32 v21, 60
	v_lshlrev_b32_e32 v10, 20, v10
	v_and_b32_e32 v19, 0x80000000, v19
	v_lshl_add_u32 v11, v11, 23, v21
	v_or3_b32 v11, v19, v11, v10
.LBB556_561:
	s_or_b64 exec, exec, s[10:11]
.LBB556_562:
	s_or_b64 exec, exec, s[8:9]
.LBB556_563:
	s_or_b64 exec, exec, s[2:3]
	s_mov_b32 s2, 0xffffff
	v_cmp_lt_u32_e32 vcc, s2, v12
	v_mov_b32_e32 v21, 0
	v_mov_b32_e32 v23, 0
	s_and_saveexec_b64 s[2:3], vcc
	s_cbranch_execz .LBB556_569
; %bb.564:
	v_lshrrev_b32_e32 v10, 24, v12
	s_movk_i32 s7, 0x80
	v_cmp_ne_u32_e32 vcc, s7, v10
	v_bfrev_b32_e32 v23, 1
	s_and_saveexec_b64 s[8:9], vcc
	s_cbranch_execz .LBB556_568
; %bb.565:
	v_bfe_u32 v12, v12, 24, 7
	s_movk_i32 s7, 0x7f
	v_cmp_ne_u32_e32 vcc, s7, v12
	v_mov_b32_e32 v23, 0x7f800001
	s_and_saveexec_b64 s[10:11], vcc
	s_cbranch_execz .LBB556_567
; %bb.566:
	v_and_b32_e32 v19, 7, v10
	v_ffbh_u32_e32 v24, v19
	v_min_u32_e32 v27, 32, v24
	v_subrev_u32_e32 v24, 28, v27
	v_lshlrev_b64 v[24:25], v24, v[10:11]
	v_lshrrev_b32_e32 v23, 3, v12
	v_sub_u32_e32 v25, 29, v27
	v_and_b32_e32 v24, 7, v24
	v_cmp_gt_u32_e32 vcc, 8, v12
	v_cndmask_b32_e32 v12, v23, v25, vcc
	v_cndmask_b32_e32 v19, v19, v24, vcc
	v_lshlrev_b32_e32 v10, 24, v10
	v_bfrev_b32_e32 v23, 60
	v_lshlrev_b32_e32 v19, 20, v19
	v_and_b32_e32 v10, 0x80000000, v10
	v_lshl_add_u32 v12, v12, 23, v23
	v_or3_b32 v23, v10, v12, v19
.LBB556_567:
	s_or_b64 exec, exec, s[10:11]
.LBB556_568:
	s_or_b64 exec, exec, s[8:9]
.LBB556_569:
	s_or_b64 exec, exec, s[2:3]
	v_cmp_ne_u16_sdwa s[8:9], v13, v21 src0_sel:BYTE_0 src1_sel:DWORD
	s_and_saveexec_b64 s[2:3], s[8:9]
	s_cbranch_execz .LBB556_575
; %bb.570:
	s_movk_i32 s7, 0x80
	v_cmp_ne_u16_sdwa s[10:11], v13, s7 src0_sel:BYTE_0 src1_sel:DWORD
	v_bfrev_b32_e32 v21, 1
	s_and_saveexec_b64 s[8:9], s[10:11]
	s_cbranch_execz .LBB556_574
; %bb.571:
	s_movk_i32 s7, 0x7f
	v_and_b32_e32 v10, 0x7f, v13
	v_cmp_ne_u32_e32 vcc, s7, v10
	v_mov_b32_e32 v21, 0x7f800001
	s_and_saveexec_b64 s[10:11], vcc
	s_cbranch_execz .LBB556_573
; %bb.572:
	v_and_b32_e32 v19, 7, v13
	v_ffbh_u32_e32 v24, v19
	v_min_u32_e32 v27, 32, v24
	v_mov_b32_e32 v12, v13
	v_subrev_u32_e32 v24, 28, v27
	v_lshlrev_b64 v[24:25], v24, v[12:13]
	v_lshrrev_b32_e32 v21, 3, v10
	v_sub_u32_e32 v12, 29, v27
	v_and_b32_e32 v24, 7, v24
	v_cmp_gt_u32_e32 vcc, 8, v10
	v_cndmask_b32_e32 v10, v21, v12, vcc
	v_cndmask_b32_e32 v12, v19, v24, vcc
	v_lshlrev_b32_e32 v19, 24, v13
	v_bfrev_b32_e32 v21, 60
	v_lshlrev_b32_e32 v12, 20, v12
	v_and_b32_e32 v19, 0x80000000, v19
	v_lshl_add_u32 v10, v10, 23, v21
	v_or3_b32 v21, v19, v10, v12
.LBB556_573:
	s_or_b64 exec, exec, s[10:11]
.LBB556_574:
	s_or_b64 exec, exec, s[8:9]
.LBB556_575:
	s_or_b64 exec, exec, s[2:3]
	v_lshrrev_b16_e32 v10, 8, v13
	v_cmp_ne_u16_e32 vcc, 0, v10
	v_mov_b32_e32 v12, 0
	v_mov_b32_e32 v24, 0
	s_and_saveexec_b64 s[2:3], vcc
	s_cbranch_execz .LBB556_581
; %bb.576:
	s_movk_i32 s7, 0x80
	v_cmp_ne_u16_e32 vcc, s7, v10
	v_bfrev_b32_e32 v24, 1
	s_and_saveexec_b64 s[8:9], vcc
	s_cbranch_execz .LBB556_580
; %bb.577:
	s_movk_i32 s7, 0x7f
	v_and_b32_e32 v19, 0x7f, v10
	v_cmp_ne_u32_e32 vcc, s7, v19
	v_mov_b32_e32 v24, 0x7f800001
	s_and_saveexec_b64 s[10:11], vcc
	s_cbranch_execz .LBB556_579
; %bb.578:
	v_and_b32_e32 v27, 7, v10
	v_ffbh_u32_e32 v24, v27
	v_min_u32_e32 v29, 32, v24
	v_subrev_u32_e32 v24, 28, v29
	v_lshlrev_b64 v[24:25], v24, v[10:11]
	v_lshrrev_b32_e32 v28, 3, v19
	v_sub_u32_e32 v10, 29, v29
	v_and_b32_e32 v24, 7, v24
	v_cmp_gt_u32_e32 vcc, 8, v19
	v_cndmask_b32_e32 v10, v28, v10, vcc
	v_cndmask_b32_e32 v19, v27, v24, vcc
	v_lshlrev_b32_e32 v24, 16, v13
	v_bfrev_b32_e32 v25, 60
	v_lshlrev_b32_e32 v19, 20, v19
	v_and_b32_e32 v24, 0x80000000, v24
	v_lshl_add_u32 v10, v10, 23, v25
	v_or3_b32 v24, v24, v10, v19
.LBB556_579:
	s_or_b64 exec, exec, s[10:11]
.LBB556_580:
	s_or_b64 exec, exec, s[8:9]
.LBB556_581:
	s_or_b64 exec, exec, s[2:3]
	s_movk_i32 s2, 0xff
	v_and_b32_sdwa v19, v13, s2 dst_sel:DWORD dst_unused:UNUSED_PAD src0_sel:WORD_1 src1_sel:DWORD
	v_lshrrev_b32_e32 v10, 16, v13
	v_cmp_ne_u16_e32 vcc, 0, v19
	s_and_saveexec_b64 s[2:3], vcc
	s_cbranch_execz .LBB556_587
; %bb.582:
	s_movk_i32 s7, 0x80
	v_cmp_ne_u16_e32 vcc, s7, v19
	v_bfrev_b32_e32 v12, 1
	s_and_saveexec_b64 s[8:9], vcc
	s_cbranch_execz .LBB556_586
; %bb.583:
	v_bfe_u32 v19, v13, 16, 7
	s_movk_i32 s7, 0x7f
	v_cmp_ne_u32_e32 vcc, s7, v19
	v_mov_b32_e32 v12, 0x7f800001
	s_and_saveexec_b64 s[10:11], vcc
	s_cbranch_execz .LBB556_585
; %bb.584:
	v_and_b32_e32 v12, 7, v10
	v_ffbh_u32_e32 v27, v12
	v_min_u32_e32 v27, 32, v27
	v_subrev_u32_e32 v28, 28, v27
	v_lshlrev_b64 v[28:29], v28, v[10:11]
	v_lshrrev_b32_e32 v25, 3, v19
	v_sub_u32_e32 v10, 29, v27
	v_and_b32_e32 v27, 7, v28
	v_cmp_gt_u32_e32 vcc, 8, v19
	v_mov_b32_e32 v19, 24
	v_cndmask_b32_e32 v10, v25, v10, vcc
	v_cndmask_b32_e32 v12, v12, v27, vcc
	v_lshlrev_b32_sdwa v19, v19, v13 dst_sel:DWORD dst_unused:UNUSED_PAD src0_sel:DWORD src1_sel:WORD_1
	v_bfrev_b32_e32 v25, 60
	v_lshlrev_b32_e32 v12, 20, v12
	v_and_b32_e32 v19, 0x80000000, v19
	v_lshl_add_u32 v10, v10, 23, v25
	v_or3_b32 v12, v19, v10, v12
.LBB556_585:
	s_or_b64 exec, exec, s[10:11]
.LBB556_586:
	s_or_b64 exec, exec, s[8:9]
.LBB556_587:
	s_or_b64 exec, exec, s[2:3]
	s_mov_b32 s2, 0xffffff
	v_cmp_lt_u32_e32 vcc, s2, v13
	v_mov_b32_e32 v19, 0
	v_mov_b32_e32 v25, 0
	s_and_saveexec_b64 s[2:3], vcc
	s_cbranch_execz .LBB556_593
; %bb.588:
	v_lshrrev_b32_e32 v10, 24, v13
	s_movk_i32 s7, 0x80
	v_cmp_ne_u32_e32 vcc, s7, v10
	v_bfrev_b32_e32 v25, 1
	s_and_saveexec_b64 s[8:9], vcc
	s_cbranch_execz .LBB556_592
; %bb.589:
	v_bfe_u32 v13, v13, 24, 7
	s_movk_i32 s7, 0x7f
	v_cmp_ne_u32_e32 vcc, s7, v13
	v_mov_b32_e32 v25, 0x7f800001
	s_and_saveexec_b64 s[10:11], vcc
	s_cbranch_execz .LBB556_591
; %bb.590:
	v_and_b32_e32 v25, 7, v10
	v_ffbh_u32_e32 v28, v25
	v_min_u32_e32 v30, 32, v28
	v_subrev_u32_e32 v28, 28, v30
	v_lshlrev_b64 v[28:29], v28, v[10:11]
	v_lshrrev_b32_e32 v27, 3, v13
	v_sub_u32_e32 v29, 29, v30
	v_and_b32_e32 v28, 7, v28
	v_cmp_gt_u32_e32 vcc, 8, v13
	v_cndmask_b32_e32 v13, v27, v29, vcc
	v_cndmask_b32_e32 v25, v25, v28, vcc
	v_lshlrev_b32_e32 v10, 24, v10
	v_bfrev_b32_e32 v27, 60
	v_lshlrev_b32_e32 v25, 20, v25
	v_and_b32_e32 v10, 0x80000000, v10
	v_lshl_add_u32 v13, v13, 23, v27
	v_or3_b32 v25, v10, v13, v25
.LBB556_591:
	s_or_b64 exec, exec, s[10:11]
.LBB556_592:
	s_or_b64 exec, exec, s[8:9]
.LBB556_593:
	s_or_b64 exec, exec, s[2:3]
	v_cvt_pkrtz_f16_f32 v10, v18, v20
	v_cvt_pkrtz_f16_f32 v11, v11, v23
	ds_read_b128 v[28:31], v22 offset:2064
	s_waitcnt vmcnt(1)
	v_cmp_ne_u16_sdwa s[8:9], v6, v19 src0_sel:BYTE_0 src1_sel:DWORD
	s_waitcnt lgkmcnt(0)
	v_mfma_f32_16x16x16f16 v[14:17], v[10:11], v[28:29], v[14:17]
	v_cvt_pkrtz_f16_f32 v10, v21, v24
	v_cvt_pkrtz_f16_f32 v11, v12, v25
	s_nop 1
	v_mfma_f32_16x16x16f16 v[10:13], v[10:11], v[30:31], v[14:17]
	s_and_saveexec_b64 s[2:3], s[8:9]
	s_cbranch_execz .LBB556_599
; %bb.594:
	s_movk_i32 s7, 0x80
	v_cmp_ne_u16_sdwa s[10:11], v6, s7 src0_sel:BYTE_0 src1_sel:DWORD
	v_bfrev_b32_e32 v19, 1
	s_and_saveexec_b64 s[8:9], s[10:11]
	s_cbranch_execz .LBB556_598
; %bb.595:
	s_movk_i32 s7, 0x7f
	v_and_b32_e32 v14, 0x7f, v6
	v_cmp_ne_u32_e32 vcc, s7, v14
	v_mov_b32_e32 v19, 0x7f800001
	s_and_saveexec_b64 s[10:11], vcc
	s_cbranch_execz .LBB556_597
; %bb.596:
	v_and_b32_e32 v15, 7, v6
	v_ffbh_u32_e32 v16, v15
	v_min_u32_e32 v19, 32, v16
	v_subrev_u32_e32 v16, 28, v19
	v_lshlrev_b64 v[16:17], v16, v[6:7]
	v_lshrrev_b32_e32 v18, 3, v14
	v_sub_u32_e32 v17, 29, v19
	v_and_b32_e32 v16, 7, v16
	v_cmp_gt_u32_e32 vcc, 8, v14
	v_cndmask_b32_e32 v14, v18, v17, vcc
	v_cndmask_b32_e32 v15, v15, v16, vcc
	v_lshlrev_b32_e32 v16, 24, v6
	v_bfrev_b32_e32 v17, 60
	v_lshlrev_b32_e32 v15, 20, v15
	v_and_b32_e32 v16, 0x80000000, v16
	v_lshl_add_u32 v14, v14, 23, v17
	v_or3_b32 v19, v16, v14, v15
.LBB556_597:
	s_or_b64 exec, exec, s[10:11]
.LBB556_598:
	s_or_b64 exec, exec, s[8:9]
.LBB556_599:
	s_or_b64 exec, exec, s[2:3]
	s_nop 3
	v_lshrrev_b16_e32 v14, 8, v6
	v_cmp_ne_u16_e32 vcc, 0, v14
	v_mov_b32_e32 v15, 0
	v_mov_b32_e32 v16, 0
	s_and_saveexec_b64 s[2:3], vcc
	s_cbranch_execz .LBB556_605
; %bb.600:
	s_movk_i32 s7, 0x80
	v_cmp_ne_u16_e32 vcc, s7, v14
	v_bfrev_b32_e32 v16, 1
	s_and_saveexec_b64 s[8:9], vcc
	s_cbranch_execz .LBB556_604
; %bb.601:
	s_movk_i32 s7, 0x7f
	v_and_b32_e32 v17, 0x7f, v14
	v_cmp_ne_u32_e32 vcc, s7, v17
	v_mov_b32_e32 v16, 0x7f800001
	s_and_saveexec_b64 s[10:11], vcc
	s_cbranch_execz .LBB556_603
; %bb.602:
	v_and_b32_e32 v16, 7, v14
	v_ffbh_u32_e32 v20, v16
	v_min_u32_e32 v23, 32, v20
	v_subrev_u32_e32 v20, 28, v23
	v_lshlrev_b64 v[20:21], v20, v[14:15]
	v_lshrrev_b32_e32 v18, 3, v17
	v_sub_u32_e32 v14, 29, v23
	v_and_b32_e32 v20, 7, v20
	v_cmp_gt_u32_e32 vcc, 8, v17
	v_cndmask_b32_e32 v14, v18, v14, vcc
	v_cndmask_b32_e32 v16, v16, v20, vcc
	v_lshlrev_b32_e32 v17, 16, v6
	v_bfrev_b32_e32 v18, 60
	v_lshlrev_b32_e32 v16, 20, v16
	v_and_b32_e32 v17, 0x80000000, v17
	v_lshl_add_u32 v14, v14, 23, v18
	v_or3_b32 v16, v17, v14, v16
.LBB556_603:
	s_or_b64 exec, exec, s[10:11]
.LBB556_604:
	s_or_b64 exec, exec, s[8:9]
.LBB556_605:
	s_or_b64 exec, exec, s[2:3]
	s_movk_i32 s2, 0xff
	v_and_b32_sdwa v17, v6, s2 dst_sel:DWORD dst_unused:UNUSED_PAD src0_sel:WORD_1 src1_sel:DWORD
	v_lshrrev_b32_e32 v14, 16, v6
	v_cmp_ne_u16_e32 vcc, 0, v17
	s_and_saveexec_b64 s[2:3], vcc
	s_cbranch_execz .LBB556_611
; %bb.606:
	s_movk_i32 s7, 0x80
	v_cmp_ne_u16_e32 vcc, s7, v17
	v_bfrev_b32_e32 v15, 1
	s_and_saveexec_b64 s[8:9], vcc
	s_cbranch_execz .LBB556_610
; %bb.607:
	v_bfe_u32 v17, v6, 16, 7
	s_movk_i32 s7, 0x7f
	v_cmp_ne_u32_e32 vcc, s7, v17
	v_mov_b32_e32 v15, 0x7f800001
	s_and_saveexec_b64 s[10:11], vcc
	s_cbranch_execz .LBB556_609
; %bb.608:
	v_and_b32_e32 v18, 7, v14
	v_ffbh_u32_e32 v15, v18
	v_min_u32_e32 v21, 32, v15
	v_subrev_u32_e32 v15, 28, v21
	v_lshlrev_b64 v[14:15], v15, v[14:15]
	v_lshrrev_b32_e32 v20, 3, v17
	v_sub_u32_e32 v15, 29, v21
	v_and_b32_e32 v14, 7, v14
	v_cmp_gt_u32_e32 vcc, 8, v17
	v_mov_b32_e32 v17, 24
	v_cndmask_b32_e32 v15, v20, v15, vcc
	v_cndmask_b32_e32 v14, v18, v14, vcc
	v_lshlrev_b32_sdwa v17, v17, v6 dst_sel:DWORD dst_unused:UNUSED_PAD src0_sel:DWORD src1_sel:WORD_1
	v_bfrev_b32_e32 v18, 60
	v_lshlrev_b32_e32 v14, 20, v14
	v_and_b32_e32 v17, 0x80000000, v17
	v_lshl_add_u32 v15, v15, 23, v18
	v_or3_b32 v15, v17, v15, v14
.LBB556_609:
	s_or_b64 exec, exec, s[10:11]
.LBB556_610:
	s_or_b64 exec, exec, s[8:9]
.LBB556_611:
	s_or_b64 exec, exec, s[2:3]
	s_mov_b32 s2, 0xffffff
	v_cmp_lt_u32_e32 vcc, s2, v6
	v_mov_b32_e32 v17, 0
	v_mov_b32_e32 v18, 0
	s_and_saveexec_b64 s[2:3], vcc
	s_cbranch_execz .LBB556_617
; %bb.612:
	v_lshrrev_b32_e32 v14, 24, v6
	s_movk_i32 s7, 0x80
	v_cmp_ne_u32_e32 vcc, s7, v14
	v_bfrev_b32_e32 v18, 1
	s_and_saveexec_b64 s[8:9], vcc
	s_cbranch_execz .LBB556_616
; %bb.613:
	v_bfe_u32 v6, v6, 24, 7
	s_movk_i32 s7, 0x7f
	v_cmp_ne_u32_e32 vcc, s7, v6
	v_mov_b32_e32 v18, 0x7f800001
	s_and_saveexec_b64 s[10:11], vcc
	s_cbranch_execz .LBB556_615
; %bb.614:
	v_and_b32_e32 v18, 7, v14
	v_ffbh_u32_e32 v20, v18
	v_min_u32_e32 v24, 32, v20
	v_subrev_u32_e32 v20, 28, v24
	v_lshlrev_b64 v[20:21], v20, v[14:15]
	v_lshrrev_b32_e32 v23, 3, v6
	v_sub_u32_e32 v21, 29, v24
	v_and_b32_e32 v20, 7, v20
	v_cmp_gt_u32_e32 vcc, 8, v6
	v_cndmask_b32_e32 v6, v23, v21, vcc
	v_cndmask_b32_e32 v18, v18, v20, vcc
	v_lshlrev_b32_e32 v14, 24, v14
	v_bfrev_b32_e32 v20, 60
	v_lshlrev_b32_e32 v18, 20, v18
	v_and_b32_e32 v14, 0x80000000, v14
	v_lshl_add_u32 v6, v6, 23, v20
	v_or3_b32 v18, v14, v6, v18
.LBB556_615:
	s_or_b64 exec, exec, s[10:11]
.LBB556_616:
	s_or_b64 exec, exec, s[8:9]
.LBB556_617:
	s_or_b64 exec, exec, s[2:3]
	v_cmp_ne_u16_sdwa s[8:9], v7, v17 src0_sel:BYTE_0 src1_sel:DWORD
	s_and_saveexec_b64 s[2:3], s[8:9]
	s_cbranch_execz .LBB556_623
; %bb.618:
	s_movk_i32 s7, 0x80
	v_cmp_ne_u16_sdwa s[10:11], v7, s7 src0_sel:BYTE_0 src1_sel:DWORD
	v_bfrev_b32_e32 v17, 1
	s_and_saveexec_b64 s[8:9], s[10:11]
	s_cbranch_execz .LBB556_622
; %bb.619:
	s_movk_i32 s7, 0x7f
	v_and_b32_e32 v6, 0x7f, v7
	v_cmp_ne_u32_e32 vcc, s7, v6
	v_mov_b32_e32 v17, 0x7f800001
	s_and_saveexec_b64 s[10:11], vcc
	s_cbranch_execz .LBB556_621
; %bb.620:
	v_and_b32_e32 v17, 7, v7
	v_ffbh_u32_e32 v20, v17
	v_min_u32_e32 v24, 32, v20
	v_mov_b32_e32 v14, v7
	v_subrev_u32_e32 v20, 28, v24
	v_lshlrev_b64 v[20:21], v20, v[14:15]
	v_lshrrev_b32_e32 v23, 3, v6
	v_sub_u32_e32 v14, 29, v24
	v_and_b32_e32 v20, 7, v20
	v_cmp_gt_u32_e32 vcc, 8, v6
	v_cndmask_b32_e32 v6, v23, v14, vcc
	v_cndmask_b32_e32 v14, v17, v20, vcc
	v_lshlrev_b32_e32 v17, 24, v7
	v_bfrev_b32_e32 v20, 60
	v_lshlrev_b32_e32 v14, 20, v14
	v_and_b32_e32 v17, 0x80000000, v17
	v_lshl_add_u32 v6, v6, 23, v20
	v_or3_b32 v17, v17, v6, v14
.LBB556_621:
	s_or_b64 exec, exec, s[10:11]
.LBB556_622:
	s_or_b64 exec, exec, s[8:9]
.LBB556_623:
	s_or_b64 exec, exec, s[2:3]
	v_lshrrev_b16_e32 v6, 8, v7
	v_cmp_ne_u16_e32 vcc, 0, v6
	v_mov_b32_e32 v20, 0
	v_mov_b32_e32 v21, 0
	s_and_saveexec_b64 s[2:3], vcc
	s_cbranch_execz .LBB556_629
; %bb.624:
	s_movk_i32 s7, 0x80
	v_cmp_ne_u16_e32 vcc, s7, v6
	v_bfrev_b32_e32 v21, 1
	s_and_saveexec_b64 s[8:9], vcc
	s_cbranch_execz .LBB556_628
; %bb.625:
	s_movk_i32 s7, 0x7f
	v_and_b32_e32 v14, 0x7f, v6
	v_cmp_ne_u32_e32 vcc, s7, v14
	v_mov_b32_e32 v21, 0x7f800001
	s_and_saveexec_b64 s[10:11], vcc
	s_cbranch_execz .LBB556_627
; %bb.626:
	v_and_b32_e32 v21, 7, v6
	v_ffbh_u32_e32 v24, v21
	v_min_u32_e32 v27, 32, v24
	v_subrev_u32_e32 v24, 28, v27
	v_lshlrev_b64 v[24:25], v24, v[6:7]
	v_lshrrev_b32_e32 v23, 3, v14
	v_sub_u32_e32 v6, 29, v27
	v_and_b32_e32 v24, 7, v24
	v_cmp_gt_u32_e32 vcc, 8, v14
	v_cndmask_b32_e32 v6, v23, v6, vcc
	v_cndmask_b32_e32 v14, v21, v24, vcc
	v_lshlrev_b32_e32 v21, 16, v7
	v_bfrev_b32_e32 v23, 60
	v_lshlrev_b32_e32 v14, 20, v14
	v_and_b32_e32 v21, 0x80000000, v21
	v_lshl_add_u32 v6, v6, 23, v23
	v_or3_b32 v21, v21, v6, v14
.LBB556_627:
	s_or_b64 exec, exec, s[10:11]
.LBB556_628:
	s_or_b64 exec, exec, s[8:9]
.LBB556_629:
	s_or_b64 exec, exec, s[2:3]
	s_movk_i32 s2, 0xff
	v_and_b32_sdwa v14, v7, s2 dst_sel:DWORD dst_unused:UNUSED_PAD src0_sel:WORD_1 src1_sel:DWORD
	v_lshrrev_b32_e32 v6, 16, v7
	v_cmp_ne_u16_e32 vcc, 0, v14
	s_and_saveexec_b64 s[2:3], vcc
	s_cbranch_execz .LBB556_635
; %bb.630:
	s_movk_i32 s7, 0x80
	v_cmp_ne_u16_e32 vcc, s7, v14
	v_bfrev_b32_e32 v20, 1
	s_and_saveexec_b64 s[8:9], vcc
	s_cbranch_execz .LBB556_634
; %bb.631:
	v_bfe_u32 v14, v7, 16, 7
	s_movk_i32 s7, 0x7f
	v_cmp_ne_u32_e32 vcc, s7, v14
	v_mov_b32_e32 v20, 0x7f800001
	s_and_saveexec_b64 s[10:11], vcc
	s_cbranch_execz .LBB556_633
; %bb.632:
	v_and_b32_e32 v20, 7, v6
	v_ffbh_u32_e32 v24, v20
	v_min_u32_e32 v27, 32, v24
	v_subrev_u32_e32 v24, 28, v27
	v_lshlrev_b64 v[24:25], v24, v[6:7]
	v_and_b32_e32 v24, 7, v24
	v_cmp_gt_u32_e32 vcc, 8, v14
	v_lshrrev_b32_e32 v23, 3, v14
	v_sub_u32_e32 v6, 29, v27
	v_cndmask_b32_e32 v14, v20, v24, vcc
	v_mov_b32_e32 v20, 24
	v_cndmask_b32_e32 v6, v23, v6, vcc
	v_lshlrev_b32_sdwa v20, v20, v7 dst_sel:DWORD dst_unused:UNUSED_PAD src0_sel:DWORD src1_sel:WORD_1
	v_bfrev_b32_e32 v23, 60
	v_lshlrev_b32_e32 v14, 20, v14
	v_and_b32_e32 v20, 0x80000000, v20
	v_lshl_add_u32 v6, v6, 23, v23
	v_or3_b32 v20, v20, v6, v14
.LBB556_633:
	s_or_b64 exec, exec, s[10:11]
.LBB556_634:
	s_or_b64 exec, exec, s[8:9]
.LBB556_635:
	s_or_b64 exec, exec, s[2:3]
	s_mov_b32 s2, 0xffffff
	v_cmp_lt_u32_e32 vcc, s2, v7
	v_mov_b32_e32 v14, 0
	v_mov_b32_e32 v23, 0
	s_and_saveexec_b64 s[2:3], vcc
	s_cbranch_execz .LBB556_641
; %bb.636:
	v_lshrrev_b32_e32 v6, 24, v7
	s_movk_i32 s7, 0x80
	v_cmp_ne_u32_e32 vcc, s7, v6
	v_bfrev_b32_e32 v23, 1
	s_and_saveexec_b64 s[8:9], vcc
	s_cbranch_execz .LBB556_640
; %bb.637:
	v_bfe_u32 v7, v7, 24, 7
	s_movk_i32 s7, 0x7f
	v_cmp_ne_u32_e32 vcc, s7, v7
	v_mov_b32_e32 v23, 0x7f800001
	s_and_saveexec_b64 s[10:11], vcc
	s_cbranch_execz .LBB556_639
; %bb.638:
	v_and_b32_e32 v23, 7, v6
	v_ffbh_u32_e32 v24, v23
	v_min_u32_e32 v28, 32, v24
	v_subrev_u32_e32 v24, 28, v28
	v_lshlrev_b64 v[24:25], v24, v[6:7]
	v_lshrrev_b32_e32 v27, 3, v7
	v_sub_u32_e32 v25, 29, v28
	v_and_b32_e32 v24, 7, v24
	v_cmp_gt_u32_e32 vcc, 8, v7
	v_cndmask_b32_e32 v7, v27, v25, vcc
	v_cndmask_b32_e32 v23, v23, v24, vcc
	v_lshlrev_b32_e32 v6, 24, v6
	v_bfrev_b32_e32 v24, 60
	v_lshlrev_b32_e32 v23, 20, v23
	v_and_b32_e32 v6, 0x80000000, v6
	v_lshl_add_u32 v7, v7, 23, v24
	v_or3_b32 v23, v6, v7, v23
.LBB556_639:
	s_or_b64 exec, exec, s[10:11]
.LBB556_640:
	s_or_b64 exec, exec, s[8:9]
.LBB556_641:
	s_or_b64 exec, exec, s[2:3]
	v_cvt_pkrtz_f16_f32 v6, v19, v16
	v_cvt_pkrtz_f16_f32 v7, v15, v18
	ds_read_b128 v[28:31], v22 offset:4096
	v_cmp_ne_u16_sdwa s[8:9], v8, v14 src0_sel:BYTE_0 src1_sel:DWORD
	s_waitcnt lgkmcnt(0)
	v_mfma_f32_16x16x16f16 v[10:13], v[6:7], v[28:29], v[10:13]
	v_cvt_pkrtz_f16_f32 v6, v17, v21
	v_cvt_pkrtz_f16_f32 v7, v20, v23
	s_nop 1
	v_mfma_f32_16x16x16f16 v[10:13], v[6:7], v[30:31], v[10:13]
	s_and_saveexec_b64 s[2:3], s[8:9]
	s_cbranch_execz .LBB556_647
; %bb.642:
	s_movk_i32 s7, 0x80
	v_cmp_ne_u16_sdwa s[10:11], v8, s7 src0_sel:BYTE_0 src1_sel:DWORD
	v_bfrev_b32_e32 v14, 1
	s_and_saveexec_b64 s[8:9], s[10:11]
	s_cbranch_execz .LBB556_646
; %bb.643:
	s_movk_i32 s7, 0x7f
	v_and_b32_e32 v6, 0x7f, v8
	v_cmp_ne_u32_e32 vcc, s7, v6
	v_mov_b32_e32 v14, 0x7f800001
	s_and_saveexec_b64 s[10:11], vcc
	s_cbranch_execz .LBB556_645
; %bb.644:
	v_and_b32_e32 v7, 7, v8
	v_ffbh_u32_e32 v14, v7
	v_min_u32_e32 v17, 32, v14
	v_subrev_u32_e32 v14, 28, v17
	v_lshlrev_b64 v[14:15], v14, v[8:9]
	v_lshrrev_b32_e32 v16, 3, v6
	v_sub_u32_e32 v15, 29, v17
	v_and_b32_e32 v14, 7, v14
	v_cmp_gt_u32_e32 vcc, 8, v6
	v_cndmask_b32_e32 v6, v16, v15, vcc
	v_cndmask_b32_e32 v7, v7, v14, vcc
	v_lshlrev_b32_e32 v14, 24, v8
	v_bfrev_b32_e32 v15, 60
	v_lshlrev_b32_e32 v7, 20, v7
	v_and_b32_e32 v14, 0x80000000, v14
	v_lshl_add_u32 v6, v6, 23, v15
	v_or3_b32 v14, v14, v6, v7
.LBB556_645:
	s_or_b64 exec, exec, s[10:11]
.LBB556_646:
	s_or_b64 exec, exec, s[8:9]
.LBB556_647:
	s_or_b64 exec, exec, s[2:3]
	v_lshrrev_b16_e32 v6, 8, v8
	v_cmp_ne_u16_e32 vcc, 0, v6
	v_mov_b32_e32 v7, 0
	v_mov_b32_e32 v16, 0
	s_and_saveexec_b64 s[2:3], vcc
	s_cbranch_execz .LBB556_653
; %bb.648:
	s_movk_i32 s7, 0x80
	v_cmp_ne_u16_e32 vcc, s7, v6
	v_bfrev_b32_e32 v16, 1
	s_and_saveexec_b64 s[8:9], vcc
	s_cbranch_execz .LBB556_652
; %bb.649:
	s_movk_i32 s7, 0x7f
	v_and_b32_e32 v15, 0x7f, v6
	v_cmp_ne_u32_e32 vcc, s7, v15
	v_mov_b32_e32 v16, 0x7f800001
	s_and_saveexec_b64 s[10:11], vcc
	s_cbranch_execz .LBB556_651
; %bb.650:
	v_and_b32_e32 v18, 7, v6
	v_ffbh_u32_e32 v16, v18
	v_min_u32_e32 v20, 32, v16
	v_subrev_u32_e32 v16, 28, v20
	v_lshlrev_b64 v[16:17], v16, v[6:7]
	v_lshrrev_b32_e32 v19, 3, v15
	v_sub_u32_e32 v6, 29, v20
	v_and_b32_e32 v16, 7, v16
	v_cmp_gt_u32_e32 vcc, 8, v15
	v_cndmask_b32_e32 v6, v19, v6, vcc
	v_cndmask_b32_e32 v15, v18, v16, vcc
	v_lshlrev_b32_e32 v16, 16, v8
	v_bfrev_b32_e32 v17, 60
	v_lshlrev_b32_e32 v15, 20, v15
	v_and_b32_e32 v16, 0x80000000, v16
	v_lshl_add_u32 v6, v6, 23, v17
	v_or3_b32 v16, v16, v6, v15
.LBB556_651:
	s_or_b64 exec, exec, s[10:11]
.LBB556_652:
	s_or_b64 exec, exec, s[8:9]
.LBB556_653:
	s_or_b64 exec, exec, s[2:3]
	s_movk_i32 s2, 0xff
	v_and_b32_sdwa v15, v8, s2 dst_sel:DWORD dst_unused:UNUSED_PAD src0_sel:WORD_1 src1_sel:DWORD
	v_lshrrev_b32_e32 v6, 16, v8
	v_cmp_ne_u16_e32 vcc, 0, v15
	s_and_saveexec_b64 s[2:3], vcc
	s_cbranch_execz .LBB556_659
; %bb.654:
	s_movk_i32 s7, 0x80
	v_cmp_ne_u16_e32 vcc, s7, v15
	v_bfrev_b32_e32 v7, 1
	s_and_saveexec_b64 s[8:9], vcc
	s_cbranch_execz .LBB556_658
; %bb.655:
	v_bfe_u32 v15, v8, 16, 7
	s_movk_i32 s7, 0x7f
	v_cmp_ne_u32_e32 vcc, s7, v15
	v_mov_b32_e32 v7, 0x7f800001
	s_and_saveexec_b64 s[10:11], vcc
	s_cbranch_execz .LBB556_657
; %bb.656:
	v_and_b32_e32 v17, 7, v6
	v_ffbh_u32_e32 v7, v17
	v_min_u32_e32 v19, 32, v7
	v_subrev_u32_e32 v7, 28, v19
	v_lshlrev_b64 v[6:7], v7, v[6:7]
	v_lshrrev_b32_e32 v18, 3, v15
	v_sub_u32_e32 v7, 29, v19
	v_and_b32_e32 v6, 7, v6
	v_cmp_gt_u32_e32 vcc, 8, v15
	v_mov_b32_e32 v15, 24
	v_cndmask_b32_e32 v7, v18, v7, vcc
	v_cndmask_b32_e32 v6, v17, v6, vcc
	v_lshlrev_b32_sdwa v15, v15, v8 dst_sel:DWORD dst_unused:UNUSED_PAD src0_sel:DWORD src1_sel:WORD_1
	v_bfrev_b32_e32 v17, 60
	v_lshlrev_b32_e32 v6, 20, v6
	v_and_b32_e32 v15, 0x80000000, v15
	v_lshl_add_u32 v7, v7, 23, v17
	v_or3_b32 v7, v15, v7, v6
.LBB556_657:
	s_or_b64 exec, exec, s[10:11]
.LBB556_658:
	s_or_b64 exec, exec, s[8:9]
.LBB556_659:
	s_or_b64 exec, exec, s[2:3]
	s_mov_b32 s2, 0xffffff
	v_cmp_lt_u32_e32 vcc, s2, v8
	v_mov_b32_e32 v17, 0
	v_mov_b32_e32 v18, 0
	s_and_saveexec_b64 s[2:3], vcc
	s_cbranch_execz .LBB556_665
; %bb.660:
	v_lshrrev_b32_e32 v6, 24, v8
	s_movk_i32 s7, 0x80
	v_cmp_ne_u32_e32 vcc, s7, v6
	v_bfrev_b32_e32 v18, 1
	s_and_saveexec_b64 s[8:9], vcc
	s_cbranch_execz .LBB556_664
; %bb.661:
	v_bfe_u32 v8, v8, 24, 7
	s_movk_i32 s7, 0x7f
	v_cmp_ne_u32_e32 vcc, s7, v8
	v_mov_b32_e32 v18, 0x7f800001
	s_and_saveexec_b64 s[10:11], vcc
	s_cbranch_execz .LBB556_663
; %bb.662:
	v_and_b32_e32 v15, 7, v6
	v_ffbh_u32_e32 v18, v15
	v_min_u32_e32 v21, 32, v18
	v_subrev_u32_e32 v18, 28, v21
	v_lshlrev_b64 v[18:19], v18, v[6:7]
	v_lshrrev_b32_e32 v20, 3, v8
	v_sub_u32_e32 v19, 29, v21
	v_and_b32_e32 v18, 7, v18
	v_cmp_gt_u32_e32 vcc, 8, v8
	v_cndmask_b32_e32 v8, v20, v19, vcc
	v_cndmask_b32_e32 v15, v15, v18, vcc
	v_lshlrev_b32_e32 v6, 24, v6
	v_bfrev_b32_e32 v18, 60
	v_lshlrev_b32_e32 v15, 20, v15
	v_and_b32_e32 v6, 0x80000000, v6
	v_lshl_add_u32 v8, v8, 23, v18
	v_or3_b32 v18, v6, v8, v15
.LBB556_663:
	s_or_b64 exec, exec, s[10:11]
.LBB556_664:
	s_or_b64 exec, exec, s[8:9]
.LBB556_665:
	s_or_b64 exec, exec, s[2:3]
	v_cmp_ne_u16_sdwa s[8:9], v9, v17 src0_sel:BYTE_0 src1_sel:DWORD
	s_and_saveexec_b64 s[2:3], s[8:9]
	s_cbranch_execz .LBB556_671
; %bb.666:
	s_movk_i32 s7, 0x80
	v_cmp_ne_u16_sdwa s[10:11], v9, s7 src0_sel:BYTE_0 src1_sel:DWORD
	v_bfrev_b32_e32 v17, 1
	s_and_saveexec_b64 s[8:9], s[10:11]
	s_cbranch_execz .LBB556_670
; %bb.667:
	s_movk_i32 s7, 0x7f
	v_and_b32_e32 v6, 0x7f, v9
	v_cmp_ne_u32_e32 vcc, s7, v6
	v_mov_b32_e32 v17, 0x7f800001
	s_and_saveexec_b64 s[10:11], vcc
	s_cbranch_execz .LBB556_669
; %bb.668:
	v_and_b32_e32 v15, 7, v9
	v_ffbh_u32_e32 v19, v15
	v_min_u32_e32 v19, 32, v19
	v_mov_b32_e32 v8, v9
	v_subrev_u32_e32 v20, 28, v19
	v_lshlrev_b64 v[20:21], v20, v[8:9]
	v_lshrrev_b32_e32 v17, 3, v6
	v_sub_u32_e32 v8, 29, v19
	v_and_b32_e32 v19, 7, v20
	v_cmp_gt_u32_e32 vcc, 8, v6
	v_cndmask_b32_e32 v6, v17, v8, vcc
	v_cndmask_b32_e32 v8, v15, v19, vcc
	v_lshlrev_b32_e32 v15, 24, v9
	v_bfrev_b32_e32 v17, 60
	v_lshlrev_b32_e32 v8, 20, v8
	v_and_b32_e32 v15, 0x80000000, v15
	v_lshl_add_u32 v6, v6, 23, v17
	v_or3_b32 v17, v15, v6, v8
.LBB556_669:
	s_or_b64 exec, exec, s[10:11]
.LBB556_670:
	s_or_b64 exec, exec, s[8:9]
.LBB556_671:
	s_or_b64 exec, exec, s[2:3]
	v_lshrrev_b16_e32 v6, 8, v9
	v_cmp_ne_u16_e32 vcc, 0, v6
	v_mov_b32_e32 v8, 0
	v_mov_b32_e32 v19, 0
	s_and_saveexec_b64 s[2:3], vcc
	s_cbranch_execz .LBB556_677
; %bb.672:
	s_movk_i32 s7, 0x80
	v_cmp_ne_u16_e32 vcc, s7, v6
	v_bfrev_b32_e32 v19, 1
	s_and_saveexec_b64 s[8:9], vcc
	s_cbranch_execz .LBB556_676
; %bb.673:
	s_movk_i32 s7, 0x7f
	v_and_b32_e32 v15, 0x7f, v6
	v_cmp_ne_u32_e32 vcc, s7, v15
	v_mov_b32_e32 v19, 0x7f800001
	s_and_saveexec_b64 s[10:11], vcc
	s_cbranch_execz .LBB556_675
; %bb.674:
	v_and_b32_e32 v19, 7, v6
	v_ffbh_u32_e32 v20, v19
	v_min_u32_e32 v24, 32, v20
	v_subrev_u32_e32 v20, 28, v24
	v_lshlrev_b64 v[20:21], v20, v[6:7]
	v_lshrrev_b32_e32 v23, 3, v15
	v_sub_u32_e32 v6, 29, v24
	v_and_b32_e32 v20, 7, v20
	v_cmp_gt_u32_e32 vcc, 8, v15
	v_cndmask_b32_e32 v6, v23, v6, vcc
	v_cndmask_b32_e32 v15, v19, v20, vcc
	v_lshlrev_b32_e32 v19, 16, v9
	v_bfrev_b32_e32 v20, 60
	v_lshlrev_b32_e32 v15, 20, v15
	v_and_b32_e32 v19, 0x80000000, v19
	v_lshl_add_u32 v6, v6, 23, v20
	v_or3_b32 v19, v19, v6, v15
.LBB556_675:
	s_or_b64 exec, exec, s[10:11]
.LBB556_676:
	s_or_b64 exec, exec, s[8:9]
.LBB556_677:
	s_or_b64 exec, exec, s[2:3]
	s_movk_i32 s2, 0xff
	v_and_b32_sdwa v15, v9, s2 dst_sel:DWORD dst_unused:UNUSED_PAD src0_sel:WORD_1 src1_sel:DWORD
	v_lshrrev_b32_e32 v6, 16, v9
	v_cmp_ne_u16_e32 vcc, 0, v15
	s_and_saveexec_b64 s[2:3], vcc
	s_cbranch_execz .LBB556_683
; %bb.678:
	s_movk_i32 s7, 0x80
	v_cmp_ne_u16_e32 vcc, s7, v15
	v_bfrev_b32_e32 v8, 1
	s_and_saveexec_b64 s[8:9], vcc
	s_cbranch_execz .LBB556_682
; %bb.679:
	v_bfe_u32 v15, v9, 16, 7
	s_movk_i32 s7, 0x7f
	v_cmp_ne_u32_e32 vcc, s7, v15
	v_mov_b32_e32 v8, 0x7f800001
	s_and_saveexec_b64 s[10:11], vcc
	s_cbranch_execz .LBB556_681
; %bb.680:
	v_and_b32_e32 v8, 7, v6
	v_ffbh_u32_e32 v20, v8
	v_min_u32_e32 v24, 32, v20
	v_subrev_u32_e32 v20, 28, v24
	v_lshlrev_b64 v[20:21], v20, v[6:7]
	v_lshrrev_b32_e32 v23, 3, v15
	v_sub_u32_e32 v6, 29, v24
	v_and_b32_e32 v20, 7, v20
	v_cmp_gt_u32_e32 vcc, 8, v15
	v_mov_b32_e32 v15, 24
	v_cndmask_b32_e32 v6, v23, v6, vcc
	v_cndmask_b32_e32 v8, v8, v20, vcc
	v_lshlrev_b32_sdwa v15, v15, v9 dst_sel:DWORD dst_unused:UNUSED_PAD src0_sel:DWORD src1_sel:WORD_1
	v_bfrev_b32_e32 v20, 60
	v_lshlrev_b32_e32 v8, 20, v8
	v_and_b32_e32 v15, 0x80000000, v15
	v_lshl_add_u32 v6, v6, 23, v20
	v_or3_b32 v8, v15, v6, v8
.LBB556_681:
	s_or_b64 exec, exec, s[10:11]
.LBB556_682:
	s_or_b64 exec, exec, s[8:9]
.LBB556_683:
	s_or_b64 exec, exec, s[2:3]
	s_mov_b32 s2, 0xffffff
	v_cmp_lt_u32_e32 vcc, s2, v9
	v_mov_b32_e32 v15, 0
	v_mov_b32_e32 v20, 0
	s_and_saveexec_b64 s[2:3], vcc
	s_cbranch_execz .LBB556_689
; %bb.684:
	v_lshrrev_b32_e32 v6, 24, v9
	s_movk_i32 s7, 0x80
	v_cmp_ne_u32_e32 vcc, s7, v6
	v_bfrev_b32_e32 v20, 1
	s_and_saveexec_b64 s[8:9], vcc
	s_cbranch_execz .LBB556_688
; %bb.685:
	v_bfe_u32 v9, v9, 24, 7
	s_movk_i32 s7, 0x7f
	v_cmp_ne_u32_e32 vcc, s7, v9
	v_mov_b32_e32 v20, 0x7f800001
	s_and_saveexec_b64 s[10:11], vcc
	s_cbranch_execz .LBB556_687
; %bb.686:
	v_and_b32_e32 v23, 7, v6
	v_ffbh_u32_e32 v20, v23
	v_min_u32_e32 v25, 32, v20
	v_subrev_u32_e32 v20, 28, v25
	v_lshlrev_b64 v[20:21], v20, v[6:7]
	v_lshrrev_b32_e32 v24, 3, v9
	v_sub_u32_e32 v21, 29, v25
	v_and_b32_e32 v20, 7, v20
	v_cmp_gt_u32_e32 vcc, 8, v9
	v_cndmask_b32_e32 v9, v24, v21, vcc
	v_cndmask_b32_e32 v20, v23, v20, vcc
	v_lshlrev_b32_e32 v6, 24, v6
	v_bfrev_b32_e32 v21, 60
	v_lshlrev_b32_e32 v20, 20, v20
	v_and_b32_e32 v6, 0x80000000, v6
	v_lshl_add_u32 v9, v9, 23, v21
	v_or3_b32 v20, v6, v9, v20
.LBB556_687:
	s_or_b64 exec, exec, s[10:11]
.LBB556_688:
	s_or_b64 exec, exec, s[8:9]
.LBB556_689:
	s_or_b64 exec, exec, s[2:3]
	v_cvt_pkrtz_f16_f32 v6, v14, v16
	v_cvt_pkrtz_f16_f32 v7, v7, v18
	ds_read_b128 v[28:31], v22 offset:4112
	s_waitcnt vmcnt(0)
	v_cmp_ne_u16_sdwa s[8:9], v2, v15 src0_sel:BYTE_0 src1_sel:DWORD
	s_waitcnt lgkmcnt(0)
	v_mfma_f32_16x16x16f16 v[10:13], v[6:7], v[28:29], v[10:13]
	v_cvt_pkrtz_f16_f32 v6, v17, v19
	v_cvt_pkrtz_f16_f32 v7, v8, v20
	s_nop 1
	v_mfma_f32_16x16x16f16 v[6:9], v[6:7], v[30:31], v[10:13]
	s_and_saveexec_b64 s[2:3], s[8:9]
	s_cbranch_execz .LBB556_695
; %bb.690:
	s_movk_i32 s7, 0x80
	v_cmp_ne_u16_sdwa s[10:11], v2, s7 src0_sel:BYTE_0 src1_sel:DWORD
	v_bfrev_b32_e32 v15, 1
	s_and_saveexec_b64 s[8:9], s[10:11]
	s_cbranch_execz .LBB556_694
; %bb.691:
	s_movk_i32 s7, 0x7f
	v_and_b32_e32 v10, 0x7f, v2
	v_cmp_ne_u32_e32 vcc, s7, v10
	v_mov_b32_e32 v15, 0x7f800001
	s_and_saveexec_b64 s[10:11], vcc
	s_cbranch_execz .LBB556_693
; %bb.692:
	v_and_b32_e32 v11, 7, v2
	v_ffbh_u32_e32 v12, v11
	v_min_u32_e32 v15, 32, v12
	v_subrev_u32_e32 v12, 28, v15
	v_lshlrev_b64 v[12:13], v12, v[2:3]
	v_lshrrev_b32_e32 v14, 3, v10
	v_sub_u32_e32 v13, 29, v15
	v_and_b32_e32 v12, 7, v12
	v_cmp_gt_u32_e32 vcc, 8, v10
	v_cndmask_b32_e32 v10, v14, v13, vcc
	v_cndmask_b32_e32 v11, v11, v12, vcc
	v_lshlrev_b32_e32 v12, 24, v2
	v_bfrev_b32_e32 v13, 60
	v_lshlrev_b32_e32 v11, 20, v11
	v_and_b32_e32 v12, 0x80000000, v12
	v_lshl_add_u32 v10, v10, 23, v13
	v_or3_b32 v15, v12, v10, v11
.LBB556_693:
	s_or_b64 exec, exec, s[10:11]
.LBB556_694:
	s_or_b64 exec, exec, s[8:9]
.LBB556_695:
	s_or_b64 exec, exec, s[2:3]
	s_nop 3
	v_lshrrev_b16_e32 v10, 8, v2
	v_cmp_ne_u16_e32 vcc, 0, v10
	v_mov_b32_e32 v11, 0
	v_mov_b32_e32 v12, 0
	s_and_saveexec_b64 s[2:3], vcc
	s_cbranch_execz .LBB556_701
; %bb.696:
	s_movk_i32 s7, 0x80
	v_cmp_ne_u16_e32 vcc, s7, v10
	v_bfrev_b32_e32 v12, 1
	s_and_saveexec_b64 s[8:9], vcc
	s_cbranch_execz .LBB556_700
; %bb.697:
	s_movk_i32 s7, 0x7f
	v_and_b32_e32 v13, 0x7f, v10
	v_cmp_ne_u32_e32 vcc, s7, v13
	v_mov_b32_e32 v12, 0x7f800001
	s_and_saveexec_b64 s[10:11], vcc
	s_cbranch_execz .LBB556_699
; %bb.698:
	v_and_b32_e32 v12, 7, v10
	v_ffbh_u32_e32 v16, v12
	v_min_u32_e32 v18, 32, v16
	v_subrev_u32_e32 v16, 28, v18
	v_lshlrev_b64 v[16:17], v16, v[10:11]
	v_lshrrev_b32_e32 v14, 3, v13
	v_sub_u32_e32 v10, 29, v18
	v_and_b32_e32 v16, 7, v16
	v_cmp_gt_u32_e32 vcc, 8, v13
	v_cndmask_b32_e32 v10, v14, v10, vcc
	v_cndmask_b32_e32 v12, v12, v16, vcc
	v_lshlrev_b32_e32 v13, 16, v2
	v_bfrev_b32_e32 v14, 60
	v_lshlrev_b32_e32 v12, 20, v12
	v_and_b32_e32 v13, 0x80000000, v13
	v_lshl_add_u32 v10, v10, 23, v14
	v_or3_b32 v12, v13, v10, v12
.LBB556_699:
	s_or_b64 exec, exec, s[10:11]
.LBB556_700:
	s_or_b64 exec, exec, s[8:9]
.LBB556_701:
	s_or_b64 exec, exec, s[2:3]
	s_movk_i32 s2, 0xff
	v_and_b32_sdwa v13, v2, s2 dst_sel:DWORD dst_unused:UNUSED_PAD src0_sel:WORD_1 src1_sel:DWORD
	v_lshrrev_b32_e32 v10, 16, v2
	v_cmp_ne_u16_e32 vcc, 0, v13
	s_and_saveexec_b64 s[2:3], vcc
	s_cbranch_execz .LBB556_707
; %bb.702:
	s_movk_i32 s7, 0x80
	v_cmp_ne_u16_e32 vcc, s7, v13
	v_bfrev_b32_e32 v11, 1
	s_and_saveexec_b64 s[8:9], vcc
	s_cbranch_execz .LBB556_706
; %bb.703:
	v_bfe_u32 v13, v2, 16, 7
	s_movk_i32 s7, 0x7f
	v_cmp_ne_u32_e32 vcc, s7, v13
	v_mov_b32_e32 v11, 0x7f800001
	s_and_saveexec_b64 s[10:11], vcc
	s_cbranch_execz .LBB556_705
; %bb.704:
	v_and_b32_e32 v14, 7, v10
	v_ffbh_u32_e32 v11, v14
	v_min_u32_e32 v17, 32, v11
	v_subrev_u32_e32 v11, 28, v17
	v_lshlrev_b64 v[10:11], v11, v[10:11]
	v_lshrrev_b32_e32 v16, 3, v13
	v_sub_u32_e32 v11, 29, v17
	v_and_b32_e32 v10, 7, v10
	v_cmp_gt_u32_e32 vcc, 8, v13
	v_mov_b32_e32 v13, 24
	v_cndmask_b32_e32 v11, v16, v11, vcc
	v_cndmask_b32_e32 v10, v14, v10, vcc
	v_lshlrev_b32_sdwa v13, v13, v2 dst_sel:DWORD dst_unused:UNUSED_PAD src0_sel:DWORD src1_sel:WORD_1
	v_bfrev_b32_e32 v14, 60
	v_lshlrev_b32_e32 v10, 20, v10
	v_and_b32_e32 v13, 0x80000000, v13
	v_lshl_add_u32 v11, v11, 23, v14
	v_or3_b32 v11, v13, v11, v10
.LBB556_705:
	s_or_b64 exec, exec, s[10:11]
.LBB556_706:
	s_or_b64 exec, exec, s[8:9]
.LBB556_707:
	s_or_b64 exec, exec, s[2:3]
	s_mov_b32 s2, 0xffffff
	v_cmp_lt_u32_e32 vcc, s2, v2
	v_mov_b32_e32 v13, 0
	v_mov_b32_e32 v14, 0
	s_and_saveexec_b64 s[2:3], vcc
	s_cbranch_execz .LBB556_713
; %bb.708:
	v_lshrrev_b32_e32 v10, 24, v2
	s_movk_i32 s7, 0x80
	v_cmp_ne_u32_e32 vcc, s7, v10
	v_bfrev_b32_e32 v14, 1
	s_and_saveexec_b64 s[8:9], vcc
	s_cbranch_execz .LBB556_712
; %bb.709:
	v_bfe_u32 v2, v2, 24, 7
	s_movk_i32 s7, 0x7f
	v_cmp_ne_u32_e32 vcc, s7, v2
	v_mov_b32_e32 v14, 0x7f800001
	s_and_saveexec_b64 s[10:11], vcc
	s_cbranch_execz .LBB556_711
; %bb.710:
	v_and_b32_e32 v14, 7, v10
	v_ffbh_u32_e32 v16, v14
	v_min_u32_e32 v19, 32, v16
	v_subrev_u32_e32 v16, 28, v19
	v_lshlrev_b64 v[16:17], v16, v[10:11]
	v_lshrrev_b32_e32 v18, 3, v2
	v_sub_u32_e32 v17, 29, v19
	v_and_b32_e32 v16, 7, v16
	v_cmp_gt_u32_e32 vcc, 8, v2
	v_cndmask_b32_e32 v2, v18, v17, vcc
	v_cndmask_b32_e32 v14, v14, v16, vcc
	v_lshlrev_b32_e32 v10, 24, v10
	v_bfrev_b32_e32 v16, 60
	v_lshlrev_b32_e32 v14, 20, v14
	v_and_b32_e32 v10, 0x80000000, v10
	v_lshl_add_u32 v2, v2, 23, v16
	v_or3_b32 v14, v10, v2, v14
.LBB556_711:
	s_or_b64 exec, exec, s[10:11]
.LBB556_712:
	s_or_b64 exec, exec, s[8:9]
.LBB556_713:
	s_or_b64 exec, exec, s[2:3]
	v_cmp_ne_u16_sdwa s[8:9], v3, v13 src0_sel:BYTE_0 src1_sel:DWORD
	s_and_saveexec_b64 s[2:3], s[8:9]
	s_cbranch_execz .LBB556_719
; %bb.714:
	s_movk_i32 s7, 0x80
	v_cmp_ne_u16_sdwa s[10:11], v3, s7 src0_sel:BYTE_0 src1_sel:DWORD
	v_bfrev_b32_e32 v13, 1
	s_and_saveexec_b64 s[8:9], s[10:11]
	s_cbranch_execz .LBB556_718
; %bb.715:
	s_movk_i32 s7, 0x7f
	v_and_b32_e32 v2, 0x7f, v3
	v_cmp_ne_u32_e32 vcc, s7, v2
	v_mov_b32_e32 v13, 0x7f800001
	s_and_saveexec_b64 s[10:11], vcc
	s_cbranch_execz .LBB556_717
; %bb.716:
	v_and_b32_e32 v13, 7, v3
	v_ffbh_u32_e32 v16, v13
	v_min_u32_e32 v19, 32, v16
	v_mov_b32_e32 v10, v3
	v_subrev_u32_e32 v16, 28, v19
	v_lshlrev_b64 v[16:17], v16, v[10:11]
	v_lshrrev_b32_e32 v18, 3, v2
	v_sub_u32_e32 v10, 29, v19
	v_and_b32_e32 v16, 7, v16
	v_cmp_gt_u32_e32 vcc, 8, v2
	v_cndmask_b32_e32 v2, v18, v10, vcc
	v_cndmask_b32_e32 v10, v13, v16, vcc
	v_lshlrev_b32_e32 v13, 24, v3
	v_bfrev_b32_e32 v16, 60
	v_lshlrev_b32_e32 v10, 20, v10
	v_and_b32_e32 v13, 0x80000000, v13
	v_lshl_add_u32 v2, v2, 23, v16
	v_or3_b32 v13, v13, v2, v10
.LBB556_717:
	s_or_b64 exec, exec, s[10:11]
.LBB556_718:
	s_or_b64 exec, exec, s[8:9]
.LBB556_719:
	s_or_b64 exec, exec, s[2:3]
	v_lshrrev_b16_e32 v2, 8, v3
	v_cmp_ne_u16_e32 vcc, 0, v2
	v_mov_b32_e32 v16, 0
	v_mov_b32_e32 v17, 0
	s_and_saveexec_b64 s[2:3], vcc
	s_cbranch_execz .LBB556_725
; %bb.720:
	s_movk_i32 s7, 0x80
	v_cmp_ne_u16_e32 vcc, s7, v2
	v_bfrev_b32_e32 v17, 1
	s_and_saveexec_b64 s[8:9], vcc
	s_cbranch_execz .LBB556_724
; %bb.721:
	s_movk_i32 s7, 0x7f
	v_and_b32_e32 v10, 0x7f, v2
	v_cmp_ne_u32_e32 vcc, s7, v10
	v_mov_b32_e32 v17, 0x7f800001
	s_and_saveexec_b64 s[10:11], vcc
	s_cbranch_execz .LBB556_723
; %bb.722:
	v_and_b32_e32 v17, 7, v2
	v_ffbh_u32_e32 v18, v17
	v_min_u32_e32 v21, 32, v18
	v_subrev_u32_e32 v18, 28, v21
	v_lshlrev_b64 v[18:19], v18, v[2:3]
	v_lshrrev_b32_e32 v20, 3, v10
	v_sub_u32_e32 v2, 29, v21
	v_and_b32_e32 v18, 7, v18
	v_cmp_gt_u32_e32 vcc, 8, v10
	v_cndmask_b32_e32 v2, v20, v2, vcc
	v_cndmask_b32_e32 v10, v17, v18, vcc
	v_lshlrev_b32_e32 v17, 16, v3
	v_bfrev_b32_e32 v18, 60
	v_lshlrev_b32_e32 v10, 20, v10
	v_and_b32_e32 v17, 0x80000000, v17
	v_lshl_add_u32 v2, v2, 23, v18
	v_or3_b32 v17, v17, v2, v10
.LBB556_723:
	s_or_b64 exec, exec, s[10:11]
.LBB556_724:
	s_or_b64 exec, exec, s[8:9]
.LBB556_725:
	s_or_b64 exec, exec, s[2:3]
	s_movk_i32 s2, 0xff
	v_and_b32_sdwa v10, v3, s2 dst_sel:DWORD dst_unused:UNUSED_PAD src0_sel:WORD_1 src1_sel:DWORD
	v_lshrrev_b32_e32 v2, 16, v3
	v_cmp_ne_u16_e32 vcc, 0, v10
	s_and_saveexec_b64 s[2:3], vcc
	s_cbranch_execz .LBB556_731
; %bb.726:
	s_movk_i32 s7, 0x80
	v_cmp_ne_u16_e32 vcc, s7, v10
	v_bfrev_b32_e32 v16, 1
	s_and_saveexec_b64 s[8:9], vcc
	s_cbranch_execz .LBB556_730
; %bb.727:
	v_bfe_u32 v10, v3, 16, 7
	s_movk_i32 s7, 0x7f
	v_cmp_ne_u32_e32 vcc, s7, v10
	v_mov_b32_e32 v16, 0x7f800001
	s_and_saveexec_b64 s[10:11], vcc
	s_cbranch_execz .LBB556_729
; %bb.728:
	v_and_b32_e32 v16, 7, v2
	v_ffbh_u32_e32 v18, v16
	v_min_u32_e32 v21, 32, v18
	v_subrev_u32_e32 v18, 28, v21
	v_lshlrev_b64 v[18:19], v18, v[2:3]
	v_and_b32_e32 v18, 7, v18
	v_cmp_gt_u32_e32 vcc, 8, v10
	v_lshrrev_b32_e32 v20, 3, v10
	v_sub_u32_e32 v2, 29, v21
	v_cndmask_b32_e32 v10, v16, v18, vcc
	v_mov_b32_e32 v16, 24
	v_cndmask_b32_e32 v2, v20, v2, vcc
	v_lshlrev_b32_sdwa v16, v16, v3 dst_sel:DWORD dst_unused:UNUSED_PAD src0_sel:DWORD src1_sel:WORD_1
	v_bfrev_b32_e32 v18, 60
	v_lshlrev_b32_e32 v10, 20, v10
	v_and_b32_e32 v16, 0x80000000, v16
	v_lshl_add_u32 v2, v2, 23, v18
	v_or3_b32 v16, v16, v2, v10
.LBB556_729:
	s_or_b64 exec, exec, s[10:11]
.LBB556_730:
	s_or_b64 exec, exec, s[8:9]
.LBB556_731:
	s_or_b64 exec, exec, s[2:3]
	s_mov_b32 s2, 0xffffff
	v_cmp_lt_u32_e32 vcc, s2, v3
	v_mov_b32_e32 v10, 0
	v_mov_b32_e32 v18, 0
	s_and_saveexec_b64 s[2:3], vcc
	s_cbranch_execz .LBB556_737
; %bb.732:
	v_lshrrev_b32_e32 v2, 24, v3
	s_movk_i32 s7, 0x80
	v_cmp_ne_u32_e32 vcc, s7, v2
	v_bfrev_b32_e32 v18, 1
	s_and_saveexec_b64 s[8:9], vcc
	s_cbranch_execz .LBB556_736
; %bb.733:
	v_bfe_u32 v3, v3, 24, 7
	s_movk_i32 s7, 0x7f
	v_cmp_ne_u32_e32 vcc, s7, v3
	v_mov_b32_e32 v18, 0x7f800001
	s_and_saveexec_b64 s[10:11], vcc
	s_cbranch_execz .LBB556_735
; %bb.734:
	v_and_b32_e32 v20, 7, v2
	v_ffbh_u32_e32 v18, v20
	v_min_u32_e32 v23, 32, v18
	v_subrev_u32_e32 v18, 28, v23
	v_lshlrev_b64 v[18:19], v18, v[2:3]
	v_lshrrev_b32_e32 v21, 3, v3
	v_sub_u32_e32 v19, 29, v23
	v_and_b32_e32 v18, 7, v18
	v_cmp_gt_u32_e32 vcc, 8, v3
	v_cndmask_b32_e32 v3, v21, v19, vcc
	v_cndmask_b32_e32 v18, v20, v18, vcc
	v_lshlrev_b32_e32 v2, 24, v2
	v_bfrev_b32_e32 v19, 60
	v_lshlrev_b32_e32 v18, 20, v18
	v_and_b32_e32 v2, 0x80000000, v2
	v_lshl_add_u32 v3, v3, 23, v19
	v_or3_b32 v18, v2, v3, v18
.LBB556_735:
	s_or_b64 exec, exec, s[10:11]
.LBB556_736:
	s_or_b64 exec, exec, s[8:9]
.LBB556_737:
	s_or_b64 exec, exec, s[2:3]
	v_cvt_pkrtz_f16_f32 v2, v15, v12
	v_cvt_pkrtz_f16_f32 v3, v11, v14
	ds_read_b128 v[28:31], v22 offset:6144
	v_cmp_ne_u16_sdwa s[8:9], v4, v10 src0_sel:BYTE_0 src1_sel:DWORD
	s_waitcnt lgkmcnt(0)
	v_mfma_f32_16x16x16f16 v[6:9], v[2:3], v[28:29], v[6:9]
	v_cvt_pkrtz_f16_f32 v2, v13, v17
	v_cvt_pkrtz_f16_f32 v3, v16, v18
	s_nop 1
	v_mfma_f32_16x16x16f16 v[6:9], v[2:3], v[30:31], v[6:9]
	s_and_saveexec_b64 s[2:3], s[8:9]
	s_cbranch_execz .LBB556_743
; %bb.738:
	s_movk_i32 s7, 0x80
	v_cmp_ne_u16_sdwa s[10:11], v4, s7 src0_sel:BYTE_0 src1_sel:DWORD
	v_bfrev_b32_e32 v10, 1
	s_and_saveexec_b64 s[8:9], s[10:11]
	s_cbranch_execz .LBB556_742
; %bb.739:
	s_movk_i32 s7, 0x7f
	v_and_b32_e32 v2, 0x7f, v4
	v_cmp_ne_u32_e32 vcc, s7, v2
	v_mov_b32_e32 v10, 0x7f800001
	s_and_saveexec_b64 s[10:11], vcc
	s_cbranch_execz .LBB556_741
; %bb.740:
	v_and_b32_e32 v3, 7, v4
	v_ffbh_u32_e32 v10, v3
	v_min_u32_e32 v13, 32, v10
	v_subrev_u32_e32 v10, 28, v13
	v_lshlrev_b64 v[10:11], v10, v[4:5]
	v_lshrrev_b32_e32 v12, 3, v2
	v_sub_u32_e32 v11, 29, v13
	v_and_b32_e32 v10, 7, v10
	v_cmp_gt_u32_e32 vcc, 8, v2
	v_cndmask_b32_e32 v2, v12, v11, vcc
	v_cndmask_b32_e32 v3, v3, v10, vcc
	v_lshlrev_b32_e32 v10, 24, v4
	v_bfrev_b32_e32 v11, 60
	v_lshlrev_b32_e32 v3, 20, v3
	v_and_b32_e32 v10, 0x80000000, v10
	v_lshl_add_u32 v2, v2, 23, v11
	v_or3_b32 v10, v10, v2, v3
.LBB556_741:
	s_or_b64 exec, exec, s[10:11]
.LBB556_742:
	s_or_b64 exec, exec, s[8:9]
.LBB556_743:
	s_or_b64 exec, exec, s[2:3]
	v_lshrrev_b16_e32 v2, 8, v4
	v_cmp_ne_u16_e32 vcc, 0, v2
	v_mov_b32_e32 v3, 0
	v_mov_b32_e32 v11, 0
	s_and_saveexec_b64 s[2:3], vcc
	s_cbranch_execz .LBB556_749
; %bb.744:
	s_movk_i32 s7, 0x80
	v_cmp_ne_u16_e32 vcc, s7, v2
	v_bfrev_b32_e32 v11, 1
	s_and_saveexec_b64 s[8:9], vcc
	s_cbranch_execz .LBB556_748
; %bb.745:
	s_movk_i32 s7, 0x7f
	v_and_b32_e32 v12, 0x7f, v2
	v_cmp_ne_u32_e32 vcc, s7, v12
	v_mov_b32_e32 v11, 0x7f800001
	s_and_saveexec_b64 s[10:11], vcc
	s_cbranch_execz .LBB556_747
; %bb.746:
	v_and_b32_e32 v11, 7, v2
	v_ffbh_u32_e32 v14, v11
	v_min_u32_e32 v16, 32, v14
	v_subrev_u32_e32 v14, 28, v16
	v_lshlrev_b64 v[14:15], v14, v[2:3]
	v_lshrrev_b32_e32 v13, 3, v12
	v_sub_u32_e32 v2, 29, v16
	v_and_b32_e32 v14, 7, v14
	v_cmp_gt_u32_e32 vcc, 8, v12
	v_cndmask_b32_e32 v2, v13, v2, vcc
	v_cndmask_b32_e32 v11, v11, v14, vcc
	v_lshlrev_b32_e32 v12, 16, v4
	v_bfrev_b32_e32 v13, 60
	v_lshlrev_b32_e32 v11, 20, v11
	v_and_b32_e32 v12, 0x80000000, v12
	v_lshl_add_u32 v2, v2, 23, v13
	v_or3_b32 v11, v12, v2, v11
.LBB556_747:
	s_or_b64 exec, exec, s[10:11]
.LBB556_748:
	s_or_b64 exec, exec, s[8:9]
.LBB556_749:
	s_or_b64 exec, exec, s[2:3]
	s_movk_i32 s2, 0xff
	v_and_b32_sdwa v12, v4, s2 dst_sel:DWORD dst_unused:UNUSED_PAD src0_sel:WORD_1 src1_sel:DWORD
	v_lshrrev_b32_e32 v2, 16, v4
	v_cmp_ne_u16_e32 vcc, 0, v12
	s_and_saveexec_b64 s[2:3], vcc
	s_cbranch_execz .LBB556_755
; %bb.750:
	s_movk_i32 s7, 0x80
	v_cmp_ne_u16_e32 vcc, s7, v12
	v_bfrev_b32_e32 v3, 1
	s_and_saveexec_b64 s[8:9], vcc
	s_cbranch_execz .LBB556_754
; %bb.751:
	v_bfe_u32 v12, v4, 16, 7
	s_movk_i32 s7, 0x7f
	v_cmp_ne_u32_e32 vcc, s7, v12
	v_mov_b32_e32 v3, 0x7f800001
	s_and_saveexec_b64 s[10:11], vcc
	s_cbranch_execz .LBB556_753
; %bb.752:
	v_and_b32_e32 v13, 7, v2
	v_ffbh_u32_e32 v3, v13
	v_min_u32_e32 v15, 32, v3
	v_subrev_u32_e32 v3, 28, v15
	v_lshlrev_b64 v[2:3], v3, v[2:3]
	v_lshrrev_b32_e32 v14, 3, v12
	v_sub_u32_e32 v3, 29, v15
	v_and_b32_e32 v2, 7, v2
	v_cmp_gt_u32_e32 vcc, 8, v12
	v_mov_b32_e32 v12, 24
	v_cndmask_b32_e32 v3, v14, v3, vcc
	v_cndmask_b32_e32 v2, v13, v2, vcc
	v_lshlrev_b32_sdwa v12, v12, v4 dst_sel:DWORD dst_unused:UNUSED_PAD src0_sel:DWORD src1_sel:WORD_1
	v_bfrev_b32_e32 v13, 60
	v_lshlrev_b32_e32 v2, 20, v2
	v_and_b32_e32 v12, 0x80000000, v12
	v_lshl_add_u32 v3, v3, 23, v13
	v_or3_b32 v3, v12, v3, v2
.LBB556_753:
	s_or_b64 exec, exec, s[10:11]
.LBB556_754:
	s_or_b64 exec, exec, s[8:9]
.LBB556_755:
	s_or_b64 exec, exec, s[2:3]
	s_mov_b32 s2, 0xffffff
	v_cmp_lt_u32_e32 vcc, s2, v4
	v_mov_b32_e32 v12, 0
	v_mov_b32_e32 v13, 0
	s_and_saveexec_b64 s[2:3], vcc
	s_cbranch_execz .LBB556_761
; %bb.756:
	v_lshrrev_b32_e32 v2, 24, v4
	s_movk_i32 s7, 0x80
	v_cmp_ne_u32_e32 vcc, s7, v2
	v_bfrev_b32_e32 v13, 1
	s_and_saveexec_b64 s[8:9], vcc
	s_cbranch_execz .LBB556_760
; %bb.757:
	v_bfe_u32 v4, v4, 24, 7
	s_movk_i32 s7, 0x7f
	v_cmp_ne_u32_e32 vcc, s7, v4
	v_mov_b32_e32 v13, 0x7f800001
	s_and_saveexec_b64 s[10:11], vcc
	s_cbranch_execz .LBB556_759
; %bb.758:
	v_and_b32_e32 v13, 7, v2
	v_ffbh_u32_e32 v14, v13
	v_min_u32_e32 v17, 32, v14
	v_subrev_u32_e32 v14, 28, v17
	v_lshlrev_b64 v[14:15], v14, v[2:3]
	v_lshrrev_b32_e32 v16, 3, v4
	v_sub_u32_e32 v15, 29, v17
	v_and_b32_e32 v14, 7, v14
	v_cmp_gt_u32_e32 vcc, 8, v4
	v_cndmask_b32_e32 v4, v16, v15, vcc
	v_cndmask_b32_e32 v13, v13, v14, vcc
	v_lshlrev_b32_e32 v2, 24, v2
	v_bfrev_b32_e32 v14, 60
	v_lshlrev_b32_e32 v13, 20, v13
	v_and_b32_e32 v2, 0x80000000, v2
	v_lshl_add_u32 v4, v4, 23, v14
	v_or3_b32 v13, v2, v4, v13
.LBB556_759:
	s_or_b64 exec, exec, s[10:11]
.LBB556_760:
	s_or_b64 exec, exec, s[8:9]
.LBB556_761:
	s_or_b64 exec, exec, s[2:3]
	v_cmp_ne_u16_sdwa s[8:9], v5, v12 src0_sel:BYTE_0 src1_sel:DWORD
	s_and_saveexec_b64 s[2:3], s[8:9]
	s_cbranch_execz .LBB556_767
; %bb.762:
	s_movk_i32 s7, 0x80
	v_cmp_ne_u16_sdwa s[10:11], v5, s7 src0_sel:BYTE_0 src1_sel:DWORD
	v_bfrev_b32_e32 v12, 1
	s_and_saveexec_b64 s[8:9], s[10:11]
	s_cbranch_execz .LBB556_766
; %bb.763:
	s_movk_i32 s7, 0x7f
	v_and_b32_e32 v2, 0x7f, v5
	v_cmp_ne_u32_e32 vcc, s7, v2
	v_mov_b32_e32 v12, 0x7f800001
	s_and_saveexec_b64 s[10:11], vcc
	s_cbranch_execz .LBB556_765
; %bb.764:
	v_and_b32_e32 v12, 7, v5
	v_ffbh_u32_e32 v14, v12
	v_min_u32_e32 v17, 32, v14
	v_mov_b32_e32 v4, v5
	v_subrev_u32_e32 v14, 28, v17
	v_lshlrev_b64 v[14:15], v14, v[4:5]
	v_lshrrev_b32_e32 v16, 3, v2
	v_sub_u32_e32 v4, 29, v17
	v_and_b32_e32 v14, 7, v14
	v_cmp_gt_u32_e32 vcc, 8, v2
	v_cndmask_b32_e32 v2, v16, v4, vcc
	v_cndmask_b32_e32 v4, v12, v14, vcc
	v_lshlrev_b32_e32 v12, 24, v5
	v_bfrev_b32_e32 v14, 60
	v_lshlrev_b32_e32 v4, 20, v4
	v_and_b32_e32 v12, 0x80000000, v12
	v_lshl_add_u32 v2, v2, 23, v14
	v_or3_b32 v12, v12, v2, v4
.LBB556_765:
	s_or_b64 exec, exec, s[10:11]
.LBB556_766:
	s_or_b64 exec, exec, s[8:9]
.LBB556_767:
	s_or_b64 exec, exec, s[2:3]
	v_lshrrev_b16_e32 v2, 8, v5
	v_cmp_ne_u16_e32 vcc, 0, v2
	v_mov_b32_e32 v4, 0
	v_mov_b32_e32 v14, 0
	s_and_saveexec_b64 s[2:3], vcc
	s_cbranch_execz .LBB556_773
; %bb.768:
	s_movk_i32 s7, 0x80
	v_cmp_ne_u16_e32 vcc, s7, v2
	v_bfrev_b32_e32 v14, 1
	s_and_saveexec_b64 s[8:9], vcc
	s_cbranch_execz .LBB556_772
; %bb.769:
	s_movk_i32 s7, 0x7f
	v_and_b32_e32 v15, 0x7f, v2
	v_cmp_ne_u32_e32 vcc, s7, v15
	v_mov_b32_e32 v14, 0x7f800001
	s_and_saveexec_b64 s[10:11], vcc
	s_cbranch_execz .LBB556_771
; %bb.770:
	v_and_b32_e32 v14, 7, v2
	v_ffbh_u32_e32 v16, v14
	v_min_u32_e32 v19, 32, v16
	v_subrev_u32_e32 v16, 28, v19
	v_lshlrev_b64 v[16:17], v16, v[2:3]
	v_lshrrev_b32_e32 v18, 3, v15
	v_sub_u32_e32 v2, 29, v19
	v_and_b32_e32 v16, 7, v16
	v_cmp_gt_u32_e32 vcc, 8, v15
	v_cndmask_b32_e32 v2, v18, v2, vcc
	v_cndmask_b32_e32 v14, v14, v16, vcc
	v_lshlrev_b32_e32 v15, 16, v5
	v_bfrev_b32_e32 v16, 60
	v_lshlrev_b32_e32 v14, 20, v14
	v_and_b32_e32 v15, 0x80000000, v15
	v_lshl_add_u32 v2, v2, 23, v16
	v_or3_b32 v14, v15, v2, v14
.LBB556_771:
	s_or_b64 exec, exec, s[10:11]
.LBB556_772:
	s_or_b64 exec, exec, s[8:9]
.LBB556_773:
	s_or_b64 exec, exec, s[2:3]
	s_movk_i32 s2, 0xff
	v_and_b32_sdwa v15, v5, s2 dst_sel:DWORD dst_unused:UNUSED_PAD src0_sel:WORD_1 src1_sel:DWORD
	v_lshrrev_b32_e32 v2, 16, v5
	v_cmp_ne_u16_e32 vcc, 0, v15
	s_and_saveexec_b64 s[2:3], vcc
	s_cbranch_execz .LBB556_779
; %bb.774:
	s_movk_i32 s7, 0x80
	v_cmp_ne_u16_e32 vcc, s7, v15
	v_bfrev_b32_e32 v4, 1
	s_and_saveexec_b64 s[8:9], vcc
	s_cbranch_execz .LBB556_778
; %bb.775:
	v_bfe_u32 v15, v5, 16, 7
	s_movk_i32 s7, 0x7f
	v_cmp_ne_u32_e32 vcc, s7, v15
	v_mov_b32_e32 v4, 0x7f800001
	s_and_saveexec_b64 s[10:11], vcc
	s_cbranch_execz .LBB556_777
; %bb.776:
	v_and_b32_e32 v4, 7, v2
	v_ffbh_u32_e32 v16, v4
	v_min_u32_e32 v19, 32, v16
	v_subrev_u32_e32 v16, 28, v19
	v_lshlrev_b64 v[16:17], v16, v[2:3]
	v_lshrrev_b32_e32 v18, 3, v15
	v_sub_u32_e32 v2, 29, v19
	v_and_b32_e32 v16, 7, v16
	v_cmp_gt_u32_e32 vcc, 8, v15
	v_mov_b32_e32 v15, 24
	v_cndmask_b32_e32 v2, v18, v2, vcc
	v_cndmask_b32_e32 v4, v4, v16, vcc
	v_lshlrev_b32_sdwa v15, v15, v5 dst_sel:DWORD dst_unused:UNUSED_PAD src0_sel:DWORD src1_sel:WORD_1
	v_bfrev_b32_e32 v16, 60
	v_lshlrev_b32_e32 v4, 20, v4
	v_and_b32_e32 v15, 0x80000000, v15
	v_lshl_add_u32 v2, v2, 23, v16
	v_or3_b32 v4, v15, v2, v4
.LBB556_777:
	s_or_b64 exec, exec, s[10:11]
.LBB556_778:
	s_or_b64 exec, exec, s[8:9]
.LBB556_779:
	s_or_b64 exec, exec, s[2:3]
	s_mov_b32 s2, 0xffffff
	v_cmp_lt_u32_e32 vcc, s2, v5
	v_mov_b32_e32 v15, 0
	s_and_saveexec_b64 s[2:3], vcc
	s_cbranch_execz .LBB556_785
; %bb.780:
	v_lshrrev_b32_e32 v2, 24, v5
	s_movk_i32 s7, 0x80
	v_cmp_ne_u32_e32 vcc, s7, v2
	v_bfrev_b32_e32 v15, 1
	s_and_saveexec_b64 s[8:9], vcc
	s_cbranch_execz .LBB556_784
; %bb.781:
	v_bfe_u32 v5, v5, 24, 7
	s_movk_i32 s7, 0x7f
	v_cmp_ne_u32_e32 vcc, s7, v5
	v_mov_b32_e32 v15, 0x7f800001
	s_and_saveexec_b64 s[10:11], vcc
	s_cbranch_execz .LBB556_783
; %bb.782:
	v_and_b32_e32 v15, 7, v2
	v_ffbh_u32_e32 v16, v15
	v_min_u32_e32 v19, 32, v16
	v_subrev_u32_e32 v16, 28, v19
	v_lshlrev_b64 v[16:17], v16, v[2:3]
	v_lshrrev_b32_e32 v18, 3, v5
	v_sub_u32_e32 v17, 29, v19
	v_and_b32_e32 v16, 7, v16
	v_cmp_gt_u32_e32 vcc, 8, v5
	v_cndmask_b32_e32 v5, v18, v17, vcc
	v_cndmask_b32_e32 v15, v15, v16, vcc
	v_lshlrev_b32_e32 v2, 24, v2
	v_bfrev_b32_e32 v16, 60
	v_lshlrev_b32_e32 v15, 20, v15
	v_and_b32_e32 v2, 0x80000000, v2
	v_lshl_add_u32 v5, v5, 23, v16
	v_or3_b32 v15, v2, v5, v15
.LBB556_783:
	s_or_b64 exec, exec, s[10:11]
.LBB556_784:
	s_or_b64 exec, exec, s[8:9]
.LBB556_785:
	s_or_b64 exec, exec, s[2:3]
	v_cvt_pkrtz_f16_f32 v2, v10, v11
	v_cvt_pkrtz_f16_f32 v3, v3, v13
	ds_read_b128 v[16:19], v22 offset:6160
	s_load_dword s2, s[42:43], 0x0
	v_cmp_gt_u32_e32 vcc, 64, v0
	s_waitcnt lgkmcnt(0)
	v_mfma_f32_16x16x16f16 v[6:9], v[2:3], v[16:17], v[6:9]
	v_cvt_pkrtz_f16_f32 v2, v12, v14
	v_cvt_pkrtz_f16_f32 v3, v4, v15
	s_and_b64 s[0:1], vcc, s[0:1]
	s_barrier
	v_mfma_f32_16x16x16f16 v[2:5], v[2:3], v[18:19], v[6:9]
	s_nop 7
	s_nop 2
	v_pk_mul_f32 v[4:5], v[4:5], s[2:3] op_sel_hi:[1,0]
	v_pk_mul_f32 v[2:3], v[2:3], s[2:3] op_sel_hi:[1,0]
	v_cvt_f16_f32_e32 v2, v2
	v_cvt_f16_f32_e32 v3, v3
	;; [unrolled: 1-line block ×4, first 2 shown]
	v_pack_b32_f16 v2, v2, v3
	v_pack_b32_f16 v3, v4, v5
	ds_write_b64 v26, v[2:3]
	s_waitcnt lgkmcnt(0)
	s_barrier
	s_and_saveexec_b64 s[2:3], s[0:1]
	s_cbranch_execz .LBB556_788
; %bb.786:
	s_load_dwordx2 s[2:3], s[4:5], 0x68
	s_lshl_b32 s0, s44, 6
	s_mul_i32 s1, s12, s6
	s_mul_hi_u32 s7, s1, s0
	s_mul_i32 s6, s1, s0
	s_lshl_b64 s[6:7], s[6:7], 1
	s_waitcnt lgkmcnt(0)
	s_add_u32 s1, s2, s6
	v_lshlrev_b32_e32 v0, 10, v0
	s_mov_b32 s5, 0
	s_addc_u32 s6, s3, s7
	s_lshl_b32 s4, s24, 6
	v_and_b32_e32 v0, 0x1800, v0
	v_lshlrev_b32_e32 v2, 5, v1
	v_and_b32_e32 v3, 16, v47
	s_lshl_b64 s[2:3], s[4:5], 1
	v_or3_b32 v0, v0, v2, v3
	s_add_u32 s1, s1, s2
	ds_read_b128 v[4:7], v0 offset:256
	s_addc_u32 s2, s6, s3
	ds_read_b128 v[8:11], v0 offset:128
	ds_read_b128 v[12:15], v0
	v_add_u32_e32 v18, s25, v1
	v_mov_b32_e32 v3, s2
	v_add_co_u32_e32 v2, vcc, s1, v46
	v_mad_u64_u32 v[16:17], s[2:3], v18, s0, 0
	v_addc_co_u32_e32 v3, vcc, 0, v3, vcc
	v_lshlrev_b64 v[16:17], 1, v[16:17]
	v_add_co_u32_e32 v16, vcc, v2, v16
	v_addc_co_u32_e32 v17, vcc, v3, v17, vcc
	s_waitcnt lgkmcnt(0)
	global_store_dwordx4 v[16:17], v[12:15], off
	s_nop 0
	v_add_u32_e32 v12, 4, v18
	v_mad_u64_u32 v[12:13], s[2:3], v12, s0, 0
	v_lshlrev_b64 v[12:13], 1, v[12:13]
	v_add_co_u32_e32 v12, vcc, v2, v12
	v_addc_co_u32_e32 v13, vcc, v3, v13, vcc
	global_store_dwordx4 v[12:13], v[8:11], off
	s_nop 0
	v_add_u32_e32 v8, 8, v18
	v_mad_u64_u32 v[8:9], s[2:3], v8, s0, 0
	v_lshlrev_b64 v[8:9], 1, v[8:9]
	v_add_co_u32_e32 v8, vcc, v2, v8
	v_addc_co_u32_e32 v9, vcc, v3, v9, vcc
	v_cmp_ne_u32_e32 vcc, 3, v1
	global_store_dwordx4 v[8:9], v[4:7], off
	s_and_b64 exec, exec, vcc
	s_cbranch_execz .LBB556_788
; %bb.787:
	ds_read_b128 v[4:7], v0 offset:384
	v_add3_u32 v0, s25, v1, 12
	v_mad_u64_u32 v[0:1], s[0:1], v0, s0, 0
	v_lshlrev_b64 v[0:1], 1, v[0:1]
	v_add_co_u32_e32 v0, vcc, v2, v0
	v_addc_co_u32_e32 v1, vcc, v3, v1, vcc
	s_waitcnt lgkmcnt(0)
	global_store_dwordx4 v[0:1], v[4:7], off
.LBB556_788:
	s_endpgm
	.section	.rodata,"a",@progbits
	.p2align	6, 0x0
	.amdhsa_kernel _Z39paged_attention_ll4mi_QKV_mfma16_kernelIDF16_hLN4vllm18Fp8KVCacheDataTypeE1EDF16_Li16ELi64ELi256ELb1ELi15EL8MFMAType0EEvPKT_PKT0_S8_ifPKiSA_SA_iPKfiiiPfSD_PS3_PT2_iSC_SC_
		.amdhsa_group_segment_fixed_size 8192
		.amdhsa_private_segment_fixed_size 0
		.amdhsa_kernarg_size 400
		.amdhsa_user_sgpr_count 6
		.amdhsa_user_sgpr_private_segment_buffer 1
		.amdhsa_user_sgpr_dispatch_ptr 0
		.amdhsa_user_sgpr_queue_ptr 0
		.amdhsa_user_sgpr_kernarg_segment_ptr 1
		.amdhsa_user_sgpr_dispatch_id 0
		.amdhsa_user_sgpr_flat_scratch_init 0
		.amdhsa_user_sgpr_kernarg_preload_length 0
		.amdhsa_user_sgpr_kernarg_preload_offset 0
		.amdhsa_user_sgpr_private_segment_size 0
		.amdhsa_uses_dynamic_stack 0
		.amdhsa_system_sgpr_private_segment_wavefront_offset 0
		.amdhsa_system_sgpr_workgroup_id_x 1
		.amdhsa_system_sgpr_workgroup_id_y 1
		.amdhsa_system_sgpr_workgroup_id_z 1
		.amdhsa_system_sgpr_workgroup_info 0
		.amdhsa_system_vgpr_workitem_id 0
		.amdhsa_next_free_vgpr 62
		.amdhsa_next_free_sgpr 47
		.amdhsa_accum_offset 64
		.amdhsa_reserve_vcc 1
		.amdhsa_reserve_flat_scratch 0
		.amdhsa_float_round_mode_32 0
		.amdhsa_float_round_mode_16_64 0
		.amdhsa_float_denorm_mode_32 3
		.amdhsa_float_denorm_mode_16_64 3
		.amdhsa_dx10_clamp 1
		.amdhsa_ieee_mode 1
		.amdhsa_fp16_overflow 0
		.amdhsa_tg_split 0
		.amdhsa_exception_fp_ieee_invalid_op 0
		.amdhsa_exception_fp_denorm_src 0
		.amdhsa_exception_fp_ieee_div_zero 0
		.amdhsa_exception_fp_ieee_overflow 0
		.amdhsa_exception_fp_ieee_underflow 0
		.amdhsa_exception_fp_ieee_inexact 0
		.amdhsa_exception_int_div_zero 0
	.end_amdhsa_kernel
	.section	.text._Z39paged_attention_ll4mi_QKV_mfma16_kernelIDF16_hLN4vllm18Fp8KVCacheDataTypeE1EDF16_Li16ELi64ELi256ELb1ELi15EL8MFMAType0EEvPKT_PKT0_S8_ifPKiSA_SA_iPKfiiiPfSD_PS3_PT2_iSC_SC_,"axG",@progbits,_Z39paged_attention_ll4mi_QKV_mfma16_kernelIDF16_hLN4vllm18Fp8KVCacheDataTypeE1EDF16_Li16ELi64ELi256ELb1ELi15EL8MFMAType0EEvPKT_PKT0_S8_ifPKiSA_SA_iPKfiiiPfSD_PS3_PT2_iSC_SC_,comdat
.Lfunc_end556:
	.size	_Z39paged_attention_ll4mi_QKV_mfma16_kernelIDF16_hLN4vllm18Fp8KVCacheDataTypeE1EDF16_Li16ELi64ELi256ELb1ELi15EL8MFMAType0EEvPKT_PKT0_S8_ifPKiSA_SA_iPKfiiiPfSD_PS3_PT2_iSC_SC_, .Lfunc_end556-_Z39paged_attention_ll4mi_QKV_mfma16_kernelIDF16_hLN4vllm18Fp8KVCacheDataTypeE1EDF16_Li16ELi64ELi256ELb1ELi15EL8MFMAType0EEvPKT_PKT0_S8_ifPKiSA_SA_iPKfiiiPfSD_PS3_PT2_iSC_SC_
                                        ; -- End function
	.section	.AMDGPU.csdata,"",@progbits
; Kernel info:
; codeLenInByte = 27328
; NumSgprs: 51
; NumVgprs: 62
; NumAgprs: 0
; TotalNumVgprs: 62
; ScratchSize: 0
; MemoryBound: 0
; FloatMode: 240
; IeeeMode: 1
; LDSByteSize: 8192 bytes/workgroup (compile time only)
; SGPRBlocks: 6
; VGPRBlocks: 7
; NumSGPRsForWavesPerEU: 51
; NumVGPRsForWavesPerEU: 62
; AccumOffset: 64
; Occupancy: 8
; WaveLimiterHint : 1
; COMPUTE_PGM_RSRC2:SCRATCH_EN: 0
; COMPUTE_PGM_RSRC2:USER_SGPR: 6
; COMPUTE_PGM_RSRC2:TRAP_HANDLER: 0
; COMPUTE_PGM_RSRC2:TGID_X_EN: 1
; COMPUTE_PGM_RSRC2:TGID_Y_EN: 1
; COMPUTE_PGM_RSRC2:TGID_Z_EN: 1
; COMPUTE_PGM_RSRC2:TIDIG_COMP_CNT: 0
; COMPUTE_PGM_RSRC3_GFX90A:ACCUM_OFFSET: 15
; COMPUTE_PGM_RSRC3_GFX90A:TG_SPLIT: 0
	.section	.text._Z39paged_attention_ll4mi_QKV_mfma16_kernelIDF16_hLN4vllm18Fp8KVCacheDataTypeE1EDF16_Li16ELi64ELi256ELb1ELi16EL8MFMAType0EEvPKT_PKT0_S8_ifPKiSA_SA_iPKfiiiPfSD_PS3_PT2_iSC_SC_,"axG",@progbits,_Z39paged_attention_ll4mi_QKV_mfma16_kernelIDF16_hLN4vllm18Fp8KVCacheDataTypeE1EDF16_Li16ELi64ELi256ELb1ELi16EL8MFMAType0EEvPKT_PKT0_S8_ifPKiSA_SA_iPKfiiiPfSD_PS3_PT2_iSC_SC_,comdat
	.protected	_Z39paged_attention_ll4mi_QKV_mfma16_kernelIDF16_hLN4vllm18Fp8KVCacheDataTypeE1EDF16_Li16ELi64ELi256ELb1ELi16EL8MFMAType0EEvPKT_PKT0_S8_ifPKiSA_SA_iPKfiiiPfSD_PS3_PT2_iSC_SC_ ; -- Begin function _Z39paged_attention_ll4mi_QKV_mfma16_kernelIDF16_hLN4vllm18Fp8KVCacheDataTypeE1EDF16_Li16ELi64ELi256ELb1ELi16EL8MFMAType0EEvPKT_PKT0_S8_ifPKiSA_SA_iPKfiiiPfSD_PS3_PT2_iSC_SC_
	.globl	_Z39paged_attention_ll4mi_QKV_mfma16_kernelIDF16_hLN4vllm18Fp8KVCacheDataTypeE1EDF16_Li16ELi64ELi256ELb1ELi16EL8MFMAType0EEvPKT_PKT0_S8_ifPKiSA_SA_iPKfiiiPfSD_PS3_PT2_iSC_SC_
	.p2align	8
	.type	_Z39paged_attention_ll4mi_QKV_mfma16_kernelIDF16_hLN4vllm18Fp8KVCacheDataTypeE1EDF16_Li16ELi64ELi256ELb1ELi16EL8MFMAType0EEvPKT_PKT0_S8_ifPKiSA_SA_iPKfiiiPfSD_PS3_PT2_iSC_SC_,@function
_Z39paged_attention_ll4mi_QKV_mfma16_kernelIDF16_hLN4vllm18Fp8KVCacheDataTypeE1EDF16_Li16ELi64ELi256ELb1ELi16EL8MFMAType0EEvPKT_PKT0_S8_ifPKiSA_SA_iPKfiiiPfSD_PS3_PT2_iSC_SC_: ; @_Z39paged_attention_ll4mi_QKV_mfma16_kernelIDF16_hLN4vllm18Fp8KVCacheDataTypeE1EDF16_Li16ELi64ELi256ELb1ELi16EL8MFMAType0EEvPKT_PKT0_S8_ifPKiSA_SA_iPKfiiiPfSD_PS3_PT2_iSC_SC_
; %bb.0:
	s_load_dwordx2 s[0:1], s[4:5], 0x30
	s_mov_b32 s24, s7
	s_mov_b64 s[2:3], 0
	s_waitcnt lgkmcnt(0)
	s_cmp_lg_u64 s[0:1], 0
	s_cselect_b64 s[10:11], -1, 0
	s_and_b64 vcc, exec, s[10:11]
	s_cbranch_vccz .LBB557_7
; %bb.1:
	s_add_i32 s12, s6, 1
	s_mov_b32 s13, 0
	s_lshl_b64 s[14:15], s[12:13], 2
	s_add_u32 s14, s0, s14
	s_mov_b32 s7, s13
	s_addc_u32 s15, s1, s15
	s_lshl_b64 s[12:13], s[6:7], 2
	s_add_u32 s12, s0, s12
	s_addc_u32 s13, s1, s13
	s_load_dword s9, s[14:15], 0x0
	s_load_dword s16, s[12:13], 0x0
	s_waitcnt lgkmcnt(0)
	s_sub_i32 s9, s9, s16
	s_cmp_eq_u32 s9, 1
	s_cselect_b64 s[12:13], -1, 0
	s_andn2_b64 vcc, exec, s[2:3]
	s_cbranch_vccnz .LBB557_3
.LBB557_2:
	s_mov_b32 s7, 0
	s_mov_b64 s[12:13], -1
.LBB557_3:
	s_andn2_b64 vcc, exec, s[12:13]
	s_cbranch_vccnz .LBB557_785
; %bb.4:
	s_load_dwordx2 s[2:3], s[4:5], 0x28
	s_lshl_b64 s[16:17], s[6:7], 2
	s_waitcnt lgkmcnt(0)
	s_add_u32 s2, s2, s16
	s_addc_u32 s3, s3, s17
	s_load_dword s33, s[2:3], 0x0
	s_lshl_b32 s20, s24, 8
	s_waitcnt lgkmcnt(0)
	s_cmp_ge_i32 s20, s33
	s_cbranch_scc1 .LBB557_785
; %bb.5:
	s_add_i32 s12, s33, 15
	s_load_dwordx2 s[2:3], s[4:5], 0x20
	s_load_dword s9, s[4:5], 0x38
	s_ashr_i32 s13, s12, 31
	v_and_b32_e32 v1, 0xcf, v0
	s_lshr_b32 s13, s13, 28
	v_add_u32_e32 v1, s20, v1
	s_add_i32 s12, s12, s13
	v_ashrrev_i32_e32 v2, 31, v1
	s_ashr_i32 s22, s12, 4
	v_lshrrev_b32_e32 v4, 28, v2
	s_add_i32 s22, s22, -1
	v_add_u32_e32 v2, v1, v4
	s_waitcnt lgkmcnt(0)
	s_mul_i32 s12, s6, s9
	s_mov_b32 s13, 0
	v_ashrrev_i32_e32 v2, 4, v2
	v_mov_b32_e32 v5, s22
	v_cmp_gt_i32_e32 vcc, s33, v1
	s_lshl_b64 s[12:13], s[12:13], 2
	v_cndmask_b32_e32 v2, v5, v2, vcc
	s_add_u32 s9, s2, s12
	v_ashrrev_i32_e32 v3, 31, v2
	s_addc_u32 s21, s3, s13
	v_lshlrev_b64 v[2:3], 2, v[2:3]
	v_mov_b32_e32 v7, s21
	v_add_co_u32_e32 v6, vcc, s9, v2
	v_or_b32_e32 v2, 16, v1
	v_addc_co_u32_e32 v7, vcc, v7, v3, vcc
	v_add_u32_e32 v3, v2, v4
	v_ashrrev_i32_e32 v3, 4, v3
	v_cmp_gt_i32_e32 vcc, s33, v2
	v_cndmask_b32_e32 v2, v5, v3, vcc
	v_ashrrev_i32_e32 v3, 31, v2
	v_lshlrev_b64 v[2:3], 2, v[2:3]
	v_mov_b32_e32 v9, s21
	v_add_co_u32_e32 v8, vcc, s9, v2
	v_or_b32_e32 v2, 32, v1
	v_addc_co_u32_e32 v9, vcc, v9, v3, vcc
	v_add_u32_e32 v3, v2, v4
	v_ashrrev_i32_e32 v3, 4, v3
	v_cmp_gt_i32_e32 vcc, s33, v2
	v_cndmask_b32_e32 v2, v5, v3, vcc
	v_ashrrev_i32_e32 v3, 31, v2
	;; [unrolled: 10-line block ×3, first 2 shown]
	v_lshlrev_b64 v[2:3], 2, v[2:3]
	v_mov_b32_e32 v1, s21
	v_add_co_u32_e32 v12, vcc, s9, v2
	v_addc_co_u32_e32 v13, vcc, v1, v3, vcc
	global_load_dword v4, v[6:7], off
	global_load_dword v5, v[8:9], off
	;; [unrolled: 1-line block ×4, first 2 shown]
	s_load_dwordx2 s[2:3], s[4:5], 0x40
	s_load_dwordx4 s[12:15], s[4:5], 0x8
	s_andn2_b64 vcc, exec, s[10:11]
	s_cbranch_vccnz .LBB557_8
; %bb.6:
	s_add_u32 s0, s0, s16
	s_addc_u32 s1, s1, s17
	s_load_dword s23, s[0:1], 0x0
	s_branch .LBB557_9
.LBB557_7:
	s_mov_b64 s[12:13], 0
	s_branch .LBB557_2
.LBB557_8:
	s_mov_b32 s23, s6
.LBB557_9:
	s_load_dwordx4 s[16:19], s[4:5], 0x48
	v_and_b32_e32 v52, 15, v0
	s_movk_i32 s0, 0x100
	v_lshlrev_b32_e32 v6, 3, v52
	v_cmp_gt_u32_e32 vcc, s0, v0
	v_cmp_gt_u32_e64 s[0:1], 8, v52
	v_lshrrev_b32_e32 v51, 6, v0
	v_bfe_u32 v1, v0, 4, 2
	s_lshl_b32 s25, s8, 4
	s_and_b64 s[26:27], vcc, s[0:1]
	v_lshlrev_b32_e32 v48, 1, v6
	v_lshlrev_b32_e32 v49, 4, v0
	s_and_saveexec_b64 s[10:11], s[26:27]
	s_cbranch_execz .LBB557_11
; %bb.10:
	s_load_dwordx2 s[26:27], s[4:5], 0x0
	s_waitcnt lgkmcnt(0)
	s_ashr_i32 s19, s16, 31
	s_mul_hi_u32 s28, s23, s16
	s_mul_i32 s19, s23, s19
	v_lshl_or_b32 v10, v51, 2, v1
	s_add_i32 s29, s28, s19
	s_mul_i32 s28, s23, s16
	s_lshl_b64 s[28:29], s[28:29], 1
	v_add_lshl_u32 v6, v10, s25, 6
	s_add_u32 s16, s26, s28
	v_ashrrev_i32_e32 v7, 31, v6
	s_addc_u32 s19, s27, s29
	v_lshlrev_b64 v[6:7], 1, v[6:7]
	v_mov_b32_e32 v8, s19
	v_add_co_u32_e32 v6, vcc, s16, v6
	v_addc_co_u32_e32 v7, vcc, v8, v7, vcc
	v_add_co_u32_e32 v6, vcc, v6, v48
	v_addc_co_u32_e32 v7, vcc, 0, v7, vcc
	global_load_dwordx4 v[6:9], v[6:7], off
	v_lshlrev_b32_e32 v12, 8, v52
	v_lshlrev_b32_e32 v10, 5, v10
	v_and_b32_e32 v11, 16, v49
	v_and_b32_e32 v12, 0xe00, v12
	v_or3_b32 v10, v12, v10, v11
	s_waitcnt vmcnt(0)
	ds_write_b128 v10, v[6:9]
.LBB557_11:
	s_or_b64 exec, exec, s[10:11]
	v_and_b32_e32 v12, 48, v0
	v_or_b32_e32 v13, s20, v12
	v_ashrrev_i32_e32 v6, 4, v13
	v_mov_b32_e32 v14, s22
	v_cmp_gt_i32_e32 vcc, s33, v13
	v_cndmask_b32_e32 v6, v14, v6, vcc
	v_ashrrev_i32_e32 v7, 31, v6
	v_lshlrev_b64 v[6:7], 2, v[6:7]
	v_mov_b32_e32 v8, s21
	v_add_co_u32_e32 v6, vcc, s9, v6
	v_addc_co_u32_e32 v7, vcc, v8, v7, vcc
	v_or_b32_e32 v8, 64, v13
	v_ashrrev_i32_e32 v9, 4, v8
	v_cmp_gt_i32_e32 vcc, s33, v8
	v_cndmask_b32_e32 v8, v14, v9, vcc
	v_ashrrev_i32_e32 v9, 31, v8
	v_lshlrev_b64 v[8:9], 2, v[8:9]
	v_mov_b32_e32 v10, s21
	v_add_co_u32_e32 v8, vcc, s9, v8
	v_addc_co_u32_e32 v9, vcc, v10, v9, vcc
	v_or_b32_e32 v10, 0x80, v13
	v_ashrrev_i32_e32 v11, 4, v10
	v_cmp_gt_i32_e32 vcc, s33, v10
	v_cndmask_b32_e32 v10, v14, v11, vcc
	v_ashrrev_i32_e32 v11, 31, v10
	v_lshlrev_b64 v[10:11], 2, v[10:11]
	v_mov_b32_e32 v15, s21
	v_add_co_u32_e32 v10, vcc, s9, v10
	s_load_dwordx2 s[44:45], s[4:5], 0x94
	s_load_dwordx4 s[40:43], s[4:5], 0x80
	s_waitcnt lgkmcnt(0)
	s_barrier
	v_addc_co_u32_e32 v11, vcc, v15, v11, vcc
	global_load_dword v15, v[6:7], off
	global_load_dword v16, v[8:9], off
	;; [unrolled: 1-line block ×3, first 2 shown]
	v_or_b32_e32 v6, 0xc0, v13
	v_ashrrev_i32_e32 v7, 4, v6
	v_cmp_gt_i32_e32 vcc, s33, v6
	v_cndmask_b32_e32 v6, v14, v7, vcc
	v_ashrrev_i32_e32 v7, 31, v6
	v_lshlrev_b64 v[6:7], 2, v[6:7]
	v_mov_b32_e32 v8, s21
	v_add_co_u32_e32 v6, vcc, s9, v6
	v_addc_co_u32_e32 v7, vcc, v8, v7, vcc
	global_load_dword v20, v[6:7], off
	s_mul_i32 s10, s8, s18
	s_add_u32 s8, s12, s10
	s_addc_u32 s9, s13, 0
	v_and_b32_e32 v6, 0xf0, v49
	v_mov_b32_e32 v7, s9
	v_add_co_u32_e32 v6, vcc, s8, v6
	v_addc_co_u32_e32 v7, vcc, 0, v7, vcc
	v_lshlrev_b32_e32 v8, 4, v12
	v_add_co_u32_e32 v6, vcc, v6, v8
	v_addc_co_u32_e32 v7, vcc, 0, v7, vcc
	s_waitcnt vmcnt(7)
	v_mad_i64_i32 v[8:9], s[8:9], v4, s17, v[6:7]
	s_waitcnt vmcnt(6)
	v_mad_i64_i32 v[4:5], s[8:9], v5, s17, v[6:7]
	v_or_b32_e32 v46, s25, v52
	global_load_dwordx4 v[30:33], v[8:9], off
	global_load_dwordx4 v[38:41], v[4:5], off
	s_waitcnt vmcnt(7)
	v_mad_i64_i32 v[4:5], s[8:9], v2, s17, v[6:7]
	s_waitcnt vmcnt(6)
	v_mad_i64_i32 v[2:3], s[8:9], v3, s17, v[6:7]
	v_ashrrev_i32_e32 v47, 31, v46
	global_load_dwordx4 v[34:37], v[4:5], off
	global_load_dwordx4 v[22:25], v[2:3], off
	v_lshlrev_b64 v[2:3], 2, v[46:47]
	v_mov_b32_e32 v4, s3
	v_add_co_u32_e32 v2, vcc, s2, v2
	v_addc_co_u32_e32 v3, vcc, v4, v3, vcc
	global_load_dword v53, v[2:3], off
	s_add_u32 s2, s14, s10
	v_lshlrev_b32_e32 v2, 4, v52
	s_addc_u32 s3, s15, 0
	v_lshl_or_b32 v2, v51, 8, v2
	v_mov_b32_e32 v3, s3
	v_add_co_u32_e32 v2, vcc, s2, v2
	v_addc_co_u32_e32 v3, vcc, 0, v3, vcc
	v_lshlrev_b32_e32 v47, 5, v52
	v_lshl_or_b32 v50, v1, 9, v47
	v_mov_b32_e32 v43, 0
	s_movk_i32 s8, 0x80
	v_mov_b32_e32 v44, 0
	s_waitcnt vmcnt(8)
	v_mad_i64_i32 v[4:5], s[2:3], v15, s17, v[2:3]
	s_waitcnt vmcnt(7)
	v_mad_i64_i32 v[6:7], s[2:3], v16, s17, v[2:3]
	;; [unrolled: 2-line block ×3, first 2 shown]
	global_load_dwordx4 v[14:17], v[4:5], off
	global_load_dwordx4 v[10:13], v[6:7], off
	s_waitcnt vmcnt(7)
	v_mad_i64_i32 v[20:21], s[2:3], v20, s17, v[2:3]
	global_load_dwordx4 v[6:9], v[18:19], off
	global_load_dwordx4 v[2:5], v[20:21], off
	ds_read_b128 v[26:29], v50
	ds_read_b128 v[18:21], v50 offset:16
	s_load_dword s12, s[40:41], 0x0
	s_waitcnt vmcnt(8)
	v_cmp_ne_u16_sdwa s[10:11], v30, v43 src0_sel:BYTE_0 src1_sel:DWORD
	s_and_saveexec_b64 s[2:3], s[10:11]
	s_cbranch_execz .LBB557_17
; %bb.12:
	v_cmp_ne_u16_sdwa s[10:11], v30, s8 src0_sel:BYTE_0 src1_sel:DWORD
	v_bfrev_b32_e32 v44, 1
	s_and_saveexec_b64 s[8:9], s[10:11]
	s_cbranch_execz .LBB557_16
; %bb.13:
	s_movk_i32 s10, 0x7f
	v_and_b32_e32 v42, 0x7f, v30
	v_cmp_ne_u32_e32 vcc, s10, v42
	v_mov_b32_e32 v44, 0x7f800001
	s_and_saveexec_b64 s[10:11], vcc
	s_cbranch_execz .LBB557_15
; %bb.14:
	v_and_b32_e32 v54, 7, v30
	v_ffbh_u32_e32 v44, v54
	v_min_u32_e32 v56, 32, v44
	v_subrev_u32_e32 v44, 28, v56
	v_lshlrev_b64 v[44:45], v44, v[30:31]
	v_lshrrev_b32_e32 v55, 3, v42
	v_sub_u32_e32 v45, 29, v56
	v_and_b32_e32 v44, 7, v44
	v_cmp_gt_u32_e32 vcc, 8, v42
	v_cndmask_b32_e32 v42, v55, v45, vcc
	v_cndmask_b32_e32 v44, v54, v44, vcc
	v_lshlrev_b32_e32 v45, 24, v30
	v_bfrev_b32_e32 v54, 60
	v_lshlrev_b32_e32 v44, 20, v44
	v_and_b32_e32 v45, 0x80000000, v45
	v_lshl_add_u32 v42, v42, 23, v54
	v_or3_b32 v44, v45, v42, v44
.LBB557_15:
	s_or_b64 exec, exec, s[10:11]
.LBB557_16:
	s_or_b64 exec, exec, s[8:9]
.LBB557_17:
	s_or_b64 exec, exec, s[2:3]
	v_lshrrev_b16_e32 v42, 8, v30
	v_cmp_ne_u16_e32 vcc, 0, v42
	s_and_saveexec_b64 s[2:3], vcc
	s_cbranch_execz .LBB557_23
; %bb.18:
	s_movk_i32 s8, 0x80
	v_cmp_ne_u16_e32 vcc, s8, v42
	v_bfrev_b32_e32 v43, 1
	s_and_saveexec_b64 s[8:9], vcc
	s_cbranch_execz .LBB557_22
; %bb.19:
	s_movk_i32 s10, 0x7f
	v_and_b32_e32 v45, 0x7f, v42
	v_cmp_ne_u32_e32 vcc, s10, v45
	v_mov_b32_e32 v43, 0x7f800001
	s_and_saveexec_b64 s[10:11], vcc
	s_cbranch_execz .LBB557_21
; %bb.20:
	v_and_b32_e32 v54, 7, v42
	v_ffbh_u32_e32 v43, v54
	v_min_u32_e32 v56, 32, v43
	v_subrev_u32_e32 v43, 28, v56
	v_lshlrev_b64 v[42:43], v43, v[42:43]
	v_lshrrev_b32_e32 v55, 3, v45
	v_sub_u32_e32 v43, 29, v56
	v_and_b32_e32 v42, 7, v42
	v_cmp_gt_u32_e32 vcc, 8, v45
	v_cndmask_b32_e32 v43, v55, v43, vcc
	v_cndmask_b32_e32 v42, v54, v42, vcc
	v_lshlrev_b32_e32 v45, 16, v30
	v_bfrev_b32_e32 v54, 60
	v_lshlrev_b32_e32 v42, 20, v42
	v_and_b32_e32 v45, 0x80000000, v45
	v_lshl_add_u32 v43, v43, 23, v54
	v_or3_b32 v43, v45, v43, v42
.LBB557_21:
	s_or_b64 exec, exec, s[10:11]
.LBB557_22:
	s_or_b64 exec, exec, s[8:9]
.LBB557_23:
	s_or_b64 exec, exec, s[2:3]
	s_movk_i32 s2, 0xff
	v_and_b32_sdwa v55, v30, s2 dst_sel:DWORD dst_unused:UNUSED_PAD src0_sel:WORD_1 src1_sel:DWORD
	v_lshrrev_b32_e32 v42, 16, v30
	v_cmp_ne_u16_e32 vcc, 0, v55
	v_mov_b32_e32 v45, 0
	v_mov_b32_e32 v54, 0
	s_and_saveexec_b64 s[2:3], vcc
	s_cbranch_execz .LBB557_29
; %bb.24:
	s_movk_i32 s8, 0x80
	v_cmp_ne_u16_e32 vcc, s8, v55
	v_bfrev_b32_e32 v54, 1
	s_and_saveexec_b64 s[8:9], vcc
	s_cbranch_execz .LBB557_28
; %bb.25:
	v_bfe_u32 v55, v30, 16, 7
	s_movk_i32 s10, 0x7f
	v_cmp_ne_u32_e32 vcc, s10, v55
	v_mov_b32_e32 v54, 0x7f800001
	s_and_saveexec_b64 s[10:11], vcc
	s_cbranch_execz .LBB557_27
; %bb.26:
	v_and_b32_e32 v54, 7, v42
	v_ffbh_u32_e32 v56, v54
	v_min_u32_e32 v59, 32, v56
	v_subrev_u32_e32 v56, 28, v59
	v_lshlrev_b64 v[56:57], v56, v[42:43]
	v_lshrrev_b32_e32 v58, 3, v55
	v_sub_u32_e32 v42, 29, v59
	v_and_b32_e32 v56, 7, v56
	v_cmp_gt_u32_e32 vcc, 8, v55
	v_mov_b32_e32 v55, 24
	v_cndmask_b32_e32 v42, v58, v42, vcc
	v_cndmask_b32_e32 v54, v54, v56, vcc
	v_lshlrev_b32_sdwa v55, v55, v30 dst_sel:DWORD dst_unused:UNUSED_PAD src0_sel:DWORD src1_sel:WORD_1
	v_bfrev_b32_e32 v56, 60
	v_lshlrev_b32_e32 v54, 20, v54
	v_and_b32_e32 v55, 0x80000000, v55
	v_lshl_add_u32 v42, v42, 23, v56
	v_or3_b32 v54, v55, v42, v54
.LBB557_27:
	s_or_b64 exec, exec, s[10:11]
.LBB557_28:
	s_or_b64 exec, exec, s[8:9]
.LBB557_29:
	s_or_b64 exec, exec, s[2:3]
	s_mov_b32 s2, 0xffffff
	v_cmp_lt_u32_e32 vcc, s2, v30
	s_and_saveexec_b64 s[2:3], vcc
	s_cbranch_execz .LBB557_35
; %bb.30:
	v_lshrrev_b32_e32 v42, 24, v30
	s_movk_i32 s8, 0x80
	v_cmp_ne_u32_e32 vcc, s8, v42
	v_bfrev_b32_e32 v45, 1
	s_and_saveexec_b64 s[8:9], vcc
	s_cbranch_execz .LBB557_34
; %bb.31:
	v_bfe_u32 v30, v30, 24, 7
	s_movk_i32 s10, 0x7f
	v_cmp_ne_u32_e32 vcc, s10, v30
	v_mov_b32_e32 v45, 0x7f800001
	s_and_saveexec_b64 s[10:11], vcc
	s_cbranch_execz .LBB557_33
; %bb.32:
	v_and_b32_e32 v45, 7, v42
	v_ffbh_u32_e32 v56, v45
	v_min_u32_e32 v58, 32, v56
	v_subrev_u32_e32 v56, 28, v58
	v_lshlrev_b64 v[56:57], v56, v[42:43]
	v_lshrrev_b32_e32 v55, 3, v30
	v_sub_u32_e32 v57, 29, v58
	v_and_b32_e32 v56, 7, v56
	v_cmp_gt_u32_e32 vcc, 8, v30
	v_cndmask_b32_e32 v30, v55, v57, vcc
	v_cndmask_b32_e32 v45, v45, v56, vcc
	v_lshlrev_b32_e32 v42, 24, v42
	v_bfrev_b32_e32 v55, 60
	v_lshlrev_b32_e32 v45, 20, v45
	v_and_b32_e32 v42, 0x80000000, v42
	v_lshl_add_u32 v30, v30, 23, v55
	v_or3_b32 v45, v42, v30, v45
.LBB557_33:
	s_or_b64 exec, exec, s[10:11]
.LBB557_34:
	s_or_b64 exec, exec, s[8:9]
.LBB557_35:
	s_or_b64 exec, exec, s[2:3]
	v_mov_b32_e32 v42, 0
	v_cmp_ne_u16_sdwa s[8:9], v31, v42 src0_sel:BYTE_0 src1_sel:DWORD
	v_mov_b32_e32 v55, 0
	s_and_saveexec_b64 s[2:3], s[8:9]
	s_cbranch_execz .LBB557_41
; %bb.36:
	s_movk_i32 s8, 0x80
	v_cmp_ne_u16_sdwa s[10:11], v31, s8 src0_sel:BYTE_0 src1_sel:DWORD
	v_bfrev_b32_e32 v55, 1
	s_and_saveexec_b64 s[8:9], s[10:11]
	s_cbranch_execz .LBB557_40
; %bb.37:
	s_movk_i32 s10, 0x7f
	v_and_b32_e32 v30, 0x7f, v31
	v_cmp_ne_u32_e32 vcc, s10, v30
	v_mov_b32_e32 v55, 0x7f800001
	s_and_saveexec_b64 s[10:11], vcc
	s_cbranch_execz .LBB557_39
; %bb.38:
	v_and_b32_e32 v55, 7, v31
	v_ffbh_u32_e32 v57, v55
	v_min_u32_e32 v59, 32, v57
	v_mov_b32_e32 v56, v31
	v_subrev_u32_e32 v57, 28, v59
	v_lshlrev_b64 v[56:57], v57, v[56:57]
	v_lshrrev_b32_e32 v58, 3, v30
	v_sub_u32_e32 v57, 29, v59
	v_and_b32_e32 v56, 7, v56
	v_cmp_gt_u32_e32 vcc, 8, v30
	v_cndmask_b32_e32 v30, v58, v57, vcc
	v_cndmask_b32_e32 v55, v55, v56, vcc
	v_lshlrev_b32_e32 v56, 24, v31
	v_bfrev_b32_e32 v57, 60
	v_lshlrev_b32_e32 v55, 20, v55
	v_and_b32_e32 v56, 0x80000000, v56
	v_lshl_add_u32 v30, v30, 23, v57
	v_or3_b32 v55, v56, v30, v55
.LBB557_39:
	s_or_b64 exec, exec, s[10:11]
.LBB557_40:
	s_or_b64 exec, exec, s[8:9]
.LBB557_41:
	s_or_b64 exec, exec, s[2:3]
	v_lshrrev_b16_e32 v30, 8, v31
	v_cmp_ne_u16_e32 vcc, 0, v30
	s_and_saveexec_b64 s[2:3], vcc
	s_cbranch_execz .LBB557_47
; %bb.42:
	s_movk_i32 s8, 0x80
	v_cmp_ne_u16_e32 vcc, s8, v30
	v_bfrev_b32_e32 v42, 1
	s_and_saveexec_b64 s[8:9], vcc
	s_cbranch_execz .LBB557_46
; %bb.43:
	s_movk_i32 s10, 0x7f
	v_and_b32_e32 v56, 0x7f, v30
	v_cmp_ne_u32_e32 vcc, s10, v56
	v_mov_b32_e32 v42, 0x7f800001
	s_and_saveexec_b64 s[10:11], vcc
	s_cbranch_execz .LBB557_45
; %bb.44:
	v_and_b32_e32 v42, 7, v30
	v_ffbh_u32_e32 v58, v42
	v_min_u32_e32 v60, 32, v58
	v_subrev_u32_e32 v58, 28, v60
	v_lshlrev_b64 v[58:59], v58, v[30:31]
	v_lshrrev_b32_e32 v57, 3, v56
	v_sub_u32_e32 v30, 29, v60
	v_and_b32_e32 v58, 7, v58
	v_cmp_gt_u32_e32 vcc, 8, v56
	v_cndmask_b32_e32 v30, v57, v30, vcc
	v_cndmask_b32_e32 v42, v42, v58, vcc
	v_lshlrev_b32_e32 v56, 16, v31
	v_bfrev_b32_e32 v57, 60
	v_lshlrev_b32_e32 v42, 20, v42
	v_and_b32_e32 v56, 0x80000000, v56
	v_lshl_add_u32 v30, v30, 23, v57
	v_or3_b32 v42, v56, v30, v42
.LBB557_45:
	s_or_b64 exec, exec, s[10:11]
.LBB557_46:
	s_or_b64 exec, exec, s[8:9]
.LBB557_47:
	s_or_b64 exec, exec, s[2:3]
	s_movk_i32 s2, 0xff
	v_and_b32_sdwa v58, v31, s2 dst_sel:DWORD dst_unused:UNUSED_PAD src0_sel:WORD_1 src1_sel:DWORD
	v_lshrrev_b32_e32 v30, 16, v31
	v_cmp_ne_u16_e32 vcc, 0, v58
	v_mov_b32_e32 v56, 0
	v_mov_b32_e32 v57, 0
	s_and_saveexec_b64 s[2:3], vcc
	s_cbranch_execz .LBB557_53
; %bb.48:
	s_movk_i32 s8, 0x80
	v_cmp_ne_u16_e32 vcc, s8, v58
	v_bfrev_b32_e32 v57, 1
	s_and_saveexec_b64 s[8:9], vcc
	s_cbranch_execz .LBB557_52
; %bb.49:
	v_bfe_u32 v58, v31, 16, 7
	s_movk_i32 s10, 0x7f
	v_cmp_ne_u32_e32 vcc, s10, v58
	v_mov_b32_e32 v57, 0x7f800001
	s_and_saveexec_b64 s[10:11], vcc
	s_cbranch_execz .LBB557_51
; %bb.50:
	v_and_b32_e32 v57, 7, v30
	v_ffbh_u32_e32 v60, v57
	v_min_u32_e32 v62, 32, v60
	v_subrev_u32_e32 v60, 28, v62
	v_lshlrev_b64 v[60:61], v60, v[30:31]
	v_lshrrev_b32_e32 v59, 3, v58
	v_sub_u32_e32 v30, 29, v62
	v_and_b32_e32 v60, 7, v60
	v_cmp_gt_u32_e32 vcc, 8, v58
	v_mov_b32_e32 v58, 24
	v_cndmask_b32_e32 v30, v59, v30, vcc
	v_cndmask_b32_e32 v57, v57, v60, vcc
	v_lshlrev_b32_sdwa v58, v58, v31 dst_sel:DWORD dst_unused:UNUSED_PAD src0_sel:DWORD src1_sel:WORD_1
	v_bfrev_b32_e32 v59, 60
	v_lshlrev_b32_e32 v57, 20, v57
	v_and_b32_e32 v58, 0x80000000, v58
	v_lshl_add_u32 v30, v30, 23, v59
	v_or3_b32 v57, v58, v30, v57
.LBB557_51:
	s_or_b64 exec, exec, s[10:11]
.LBB557_52:
	s_or_b64 exec, exec, s[8:9]
.LBB557_53:
	s_or_b64 exec, exec, s[2:3]
	s_mov_b32 s2, 0xffffff
	v_cmp_lt_u32_e32 vcc, s2, v31
	s_and_saveexec_b64 s[2:3], vcc
	s_cbranch_execz .LBB557_59
; %bb.54:
	v_lshrrev_b32_e32 v30, 24, v31
	s_movk_i32 s8, 0x80
	v_cmp_ne_u32_e32 vcc, s8, v30
	v_bfrev_b32_e32 v56, 1
	s_and_saveexec_b64 s[8:9], vcc
	s_cbranch_execz .LBB557_58
; %bb.55:
	v_bfe_u32 v31, v31, 24, 7
	s_movk_i32 s10, 0x7f
	v_cmp_ne_u32_e32 vcc, s10, v31
	v_mov_b32_e32 v56, 0x7f800001
	s_and_saveexec_b64 s[10:11], vcc
	s_cbranch_execz .LBB557_57
; %bb.56:
	v_and_b32_e32 v56, 7, v30
	v_ffbh_u32_e32 v58, v56
	v_min_u32_e32 v61, 32, v58
	v_subrev_u32_e32 v58, 28, v61
	v_lshlrev_b64 v[58:59], v58, v[30:31]
	v_lshrrev_b32_e32 v60, 3, v31
	v_sub_u32_e32 v59, 29, v61
	v_and_b32_e32 v58, 7, v58
	v_cmp_gt_u32_e32 vcc, 8, v31
	v_cndmask_b32_e32 v31, v60, v59, vcc
	v_cndmask_b32_e32 v56, v56, v58, vcc
	v_lshlrev_b32_e32 v30, 24, v30
	v_bfrev_b32_e32 v58, 60
	v_lshlrev_b32_e32 v56, 20, v56
	v_and_b32_e32 v30, 0x80000000, v30
	v_lshl_add_u32 v31, v31, 23, v58
	v_or3_b32 v56, v30, v31, v56
.LBB557_57:
	s_or_b64 exec, exec, s[10:11]
.LBB557_58:
	s_or_b64 exec, exec, s[8:9]
.LBB557_59:
	s_or_b64 exec, exec, s[2:3]
	v_cvt_pkrtz_f16_f32 v30, v44, v43
	v_cvt_pkrtz_f16_f32 v31, v54, v45
	;; [unrolled: 1-line block ×4, first 2 shown]
	v_mov_b32_e32 v55, 0
	s_waitcnt lgkmcnt(0)
	v_mfma_f32_16x16x16f16 v[58:61], v[30:31], v[26:27], 0
	v_mov_b32_e32 v31, 0
	v_cmp_ne_u16_sdwa s[8:9], v32, v31 src0_sel:BYTE_0 src1_sel:DWORD
	v_mfma_f32_16x16x16f16 v[42:45], v[42:43], v[28:29], v[58:61]
	s_and_saveexec_b64 s[2:3], s[8:9]
	s_cbranch_execz .LBB557_65
; %bb.60:
	s_movk_i32 s8, 0x80
	v_cmp_ne_u16_sdwa s[10:11], v32, s8 src0_sel:BYTE_0 src1_sel:DWORD
	v_bfrev_b32_e32 v55, 1
	s_and_saveexec_b64 s[8:9], s[10:11]
	s_cbranch_execz .LBB557_64
; %bb.61:
	s_movk_i32 s10, 0x7f
	v_and_b32_e32 v30, 0x7f, v32
	v_cmp_ne_u32_e32 vcc, s10, v30
	v_mov_b32_e32 v55, 0x7f800001
	s_and_saveexec_b64 s[10:11], vcc
	s_cbranch_execz .LBB557_63
; %bb.62:
	v_and_b32_e32 v56, 7, v32
	v_ffbh_u32_e32 v54, v56
	v_min_u32_e32 v58, 32, v54
	v_subrev_u32_e32 v54, 28, v58
	v_lshlrev_b64 v[54:55], v54, v[32:33]
	v_lshrrev_b32_e32 v57, 3, v30
	v_sub_u32_e32 v55, 29, v58
	v_and_b32_e32 v54, 7, v54
	v_cmp_gt_u32_e32 vcc, 8, v30
	v_cndmask_b32_e32 v30, v57, v55, vcc
	v_cndmask_b32_e32 v54, v56, v54, vcc
	v_lshlrev_b32_e32 v55, 24, v32
	v_bfrev_b32_e32 v56, 60
	v_lshlrev_b32_e32 v54, 20, v54
	v_and_b32_e32 v55, 0x80000000, v55
	v_lshl_add_u32 v30, v30, 23, v56
	v_or3_b32 v55, v55, v30, v54
.LBB557_63:
	s_or_b64 exec, exec, s[10:11]
.LBB557_64:
	s_or_b64 exec, exec, s[8:9]
.LBB557_65:
	s_or_b64 exec, exec, s[2:3]
	v_lshrrev_b16_e32 v30, 8, v32
	v_cmp_ne_u16_e32 vcc, 0, v30
	v_mov_b32_e32 v56, 0
	s_and_saveexec_b64 s[2:3], vcc
	s_cbranch_execz .LBB557_71
; %bb.66:
	s_movk_i32 s8, 0x80
	v_cmp_ne_u16_e32 vcc, s8, v30
	v_bfrev_b32_e32 v56, 1
	s_and_saveexec_b64 s[8:9], vcc
	s_cbranch_execz .LBB557_70
; %bb.67:
	s_movk_i32 s10, 0x7f
	v_and_b32_e32 v54, 0x7f, v30
	v_cmp_ne_u32_e32 vcc, s10, v54
	v_mov_b32_e32 v56, 0x7f800001
	s_and_saveexec_b64 s[10:11], vcc
	s_cbranch_execz .LBB557_69
; %bb.68:
	v_and_b32_e32 v58, 7, v30
	v_ffbh_u32_e32 v56, v58
	v_min_u32_e32 v60, 32, v56
	v_subrev_u32_e32 v56, 28, v60
	v_lshlrev_b64 v[56:57], v56, v[30:31]
	v_lshrrev_b32_e32 v59, 3, v54
	v_sub_u32_e32 v30, 29, v60
	v_and_b32_e32 v56, 7, v56
	v_cmp_gt_u32_e32 vcc, 8, v54
	v_cndmask_b32_e32 v30, v59, v30, vcc
	v_cndmask_b32_e32 v54, v58, v56, vcc
	v_lshlrev_b32_e32 v56, 16, v32
	v_bfrev_b32_e32 v57, 60
	v_lshlrev_b32_e32 v54, 20, v54
	v_and_b32_e32 v56, 0x80000000, v56
	v_lshl_add_u32 v30, v30, 23, v57
	v_or3_b32 v56, v56, v30, v54
.LBB557_69:
	s_or_b64 exec, exec, s[10:11]
.LBB557_70:
	s_or_b64 exec, exec, s[8:9]
.LBB557_71:
	s_or_b64 exec, exec, s[2:3]
	s_movk_i32 s2, 0xff
	v_and_b32_sdwa v54, v32, s2 dst_sel:DWORD dst_unused:UNUSED_PAD src0_sel:WORD_1 src1_sel:DWORD
	v_lshrrev_b32_e32 v30, 16, v32
	v_cmp_ne_u16_e32 vcc, 0, v54
	s_and_saveexec_b64 s[2:3], vcc
	s_cbranch_execz .LBB557_77
; %bb.72:
	s_movk_i32 s8, 0x80
	v_cmp_ne_u16_e32 vcc, s8, v54
	v_bfrev_b32_e32 v31, 1
	s_and_saveexec_b64 s[8:9], vcc
	s_cbranch_execz .LBB557_76
; %bb.73:
	v_bfe_u32 v54, v32, 16, 7
	s_movk_i32 s10, 0x7f
	v_cmp_ne_u32_e32 vcc, s10, v54
	v_mov_b32_e32 v31, 0x7f800001
	s_and_saveexec_b64 s[10:11], vcc
	s_cbranch_execz .LBB557_75
; %bb.74:
	v_and_b32_e32 v57, 7, v30
	v_ffbh_u32_e32 v31, v57
	v_min_u32_e32 v59, 32, v31
	v_subrev_u32_e32 v31, 28, v59
	v_lshlrev_b64 v[30:31], v31, v[30:31]
	v_lshrrev_b32_e32 v58, 3, v54
	v_sub_u32_e32 v31, 29, v59
	v_and_b32_e32 v30, 7, v30
	v_cmp_gt_u32_e32 vcc, 8, v54
	v_mov_b32_e32 v54, 24
	v_cndmask_b32_e32 v31, v58, v31, vcc
	v_cndmask_b32_e32 v30, v57, v30, vcc
	v_lshlrev_b32_sdwa v54, v54, v32 dst_sel:DWORD dst_unused:UNUSED_PAD src0_sel:DWORD src1_sel:WORD_1
	v_bfrev_b32_e32 v57, 60
	v_lshlrev_b32_e32 v30, 20, v30
	v_and_b32_e32 v54, 0x80000000, v54
	v_lshl_add_u32 v31, v31, 23, v57
	v_or3_b32 v31, v54, v31, v30
.LBB557_75:
	s_or_b64 exec, exec, s[10:11]
.LBB557_76:
	s_or_b64 exec, exec, s[8:9]
.LBB557_77:
	s_or_b64 exec, exec, s[2:3]
	s_mov_b32 s2, 0xffffff
	v_cmp_lt_u32_e32 vcc, s2, v32
	v_mov_b32_e32 v57, 0
	v_mov_b32_e32 v58, 0
	s_and_saveexec_b64 s[2:3], vcc
	s_cbranch_execz .LBB557_83
; %bb.78:
	v_lshrrev_b32_e32 v30, 24, v32
	s_movk_i32 s8, 0x80
	v_cmp_ne_u32_e32 vcc, s8, v30
	v_bfrev_b32_e32 v58, 1
	s_and_saveexec_b64 s[8:9], vcc
	s_cbranch_execz .LBB557_82
; %bb.79:
	v_bfe_u32 v32, v32, 24, 7
	s_movk_i32 s10, 0x7f
	v_cmp_ne_u32_e32 vcc, s10, v32
	v_mov_b32_e32 v58, 0x7f800001
	s_and_saveexec_b64 s[10:11], vcc
	s_cbranch_execz .LBB557_81
; %bb.80:
	v_and_b32_e32 v54, 7, v30
	v_ffbh_u32_e32 v58, v54
	v_min_u32_e32 v61, 32, v58
	v_subrev_u32_e32 v58, 28, v61
	v_lshlrev_b64 v[58:59], v58, v[30:31]
	v_lshrrev_b32_e32 v60, 3, v32
	v_sub_u32_e32 v59, 29, v61
	v_and_b32_e32 v58, 7, v58
	v_cmp_gt_u32_e32 vcc, 8, v32
	v_cndmask_b32_e32 v32, v60, v59, vcc
	v_cndmask_b32_e32 v54, v54, v58, vcc
	v_lshlrev_b32_e32 v30, 24, v30
	v_bfrev_b32_e32 v58, 60
	v_lshlrev_b32_e32 v54, 20, v54
	v_and_b32_e32 v30, 0x80000000, v30
	v_lshl_add_u32 v32, v32, 23, v58
	v_or3_b32 v58, v30, v32, v54
.LBB557_81:
	s_or_b64 exec, exec, s[10:11]
.LBB557_82:
	s_or_b64 exec, exec, s[8:9]
.LBB557_83:
	s_or_b64 exec, exec, s[2:3]
	v_cmp_ne_u16_sdwa s[8:9], v33, v57 src0_sel:BYTE_0 src1_sel:DWORD
	s_and_saveexec_b64 s[2:3], s[8:9]
	s_cbranch_execz .LBB557_89
; %bb.84:
	s_movk_i32 s8, 0x80
	v_cmp_ne_u16_sdwa s[10:11], v33, s8 src0_sel:BYTE_0 src1_sel:DWORD
	v_bfrev_b32_e32 v57, 1
	s_and_saveexec_b64 s[8:9], s[10:11]
	s_cbranch_execz .LBB557_88
; %bb.85:
	s_movk_i32 s10, 0x7f
	v_and_b32_e32 v30, 0x7f, v33
	v_cmp_ne_u32_e32 vcc, s10, v30
	v_mov_b32_e32 v57, 0x7f800001
	s_and_saveexec_b64 s[10:11], vcc
	s_cbranch_execz .LBB557_87
; %bb.86:
	v_and_b32_e32 v54, 7, v33
	v_ffbh_u32_e32 v59, v54
	v_min_u32_e32 v59, 32, v59
	v_mov_b32_e32 v32, v33
	v_subrev_u32_e32 v60, 28, v59
	v_lshlrev_b64 v[60:61], v60, v[32:33]
	v_lshrrev_b32_e32 v57, 3, v30
	v_sub_u32_e32 v32, 29, v59
	v_and_b32_e32 v59, 7, v60
	v_cmp_gt_u32_e32 vcc, 8, v30
	v_cndmask_b32_e32 v30, v57, v32, vcc
	v_cndmask_b32_e32 v32, v54, v59, vcc
	v_lshlrev_b32_e32 v54, 24, v33
	v_bfrev_b32_e32 v57, 60
	v_lshlrev_b32_e32 v32, 20, v32
	v_and_b32_e32 v54, 0x80000000, v54
	v_lshl_add_u32 v30, v30, 23, v57
	v_or3_b32 v57, v54, v30, v32
.LBB557_87:
	s_or_b64 exec, exec, s[10:11]
.LBB557_88:
	s_or_b64 exec, exec, s[8:9]
.LBB557_89:
	s_or_b64 exec, exec, s[2:3]
	v_lshrrev_b16_e32 v30, 8, v33
	v_cmp_ne_u16_e32 vcc, 0, v30
	v_mov_b32_e32 v32, 0
	v_mov_b32_e32 v59, 0
	s_and_saveexec_b64 s[2:3], vcc
	s_cbranch_execz .LBB557_95
; %bb.90:
	s_movk_i32 s8, 0x80
	v_cmp_ne_u16_e32 vcc, s8, v30
	v_bfrev_b32_e32 v59, 1
	s_and_saveexec_b64 s[8:9], vcc
	s_cbranch_execz .LBB557_94
; %bb.91:
	s_movk_i32 s10, 0x7f
	v_and_b32_e32 v54, 0x7f, v30
	v_cmp_ne_u32_e32 vcc, s10, v54
	v_mov_b32_e32 v59, 0x7f800001
	s_and_saveexec_b64 s[10:11], vcc
	s_cbranch_execz .LBB557_93
; %bb.92:
	v_and_b32_e32 v59, 7, v30
	v_ffbh_u32_e32 v60, v59
	v_min_u32_e32 v63, 32, v60
	v_subrev_u32_e32 v60, 28, v63
	v_lshlrev_b64 v[60:61], v60, v[30:31]
	v_lshrrev_b32_e32 v62, 3, v54
	v_sub_u32_e32 v30, 29, v63
	v_and_b32_e32 v60, 7, v60
	v_cmp_gt_u32_e32 vcc, 8, v54
	v_cndmask_b32_e32 v30, v62, v30, vcc
	v_cndmask_b32_e32 v54, v59, v60, vcc
	v_lshlrev_b32_e32 v59, 16, v33
	v_bfrev_b32_e32 v60, 60
	v_lshlrev_b32_e32 v54, 20, v54
	v_and_b32_e32 v59, 0x80000000, v59
	v_lshl_add_u32 v30, v30, 23, v60
	v_or3_b32 v59, v59, v30, v54
.LBB557_93:
	s_or_b64 exec, exec, s[10:11]
.LBB557_94:
	s_or_b64 exec, exec, s[8:9]
.LBB557_95:
	s_or_b64 exec, exec, s[2:3]
	s_movk_i32 s2, 0xff
	v_and_b32_sdwa v54, v33, s2 dst_sel:DWORD dst_unused:UNUSED_PAD src0_sel:WORD_1 src1_sel:DWORD
	v_lshrrev_b32_e32 v30, 16, v33
	v_cmp_ne_u16_e32 vcc, 0, v54
	s_and_saveexec_b64 s[2:3], vcc
	s_cbranch_execz .LBB557_101
; %bb.96:
	s_movk_i32 s8, 0x80
	v_cmp_ne_u16_e32 vcc, s8, v54
	v_bfrev_b32_e32 v32, 1
	s_and_saveexec_b64 s[8:9], vcc
	s_cbranch_execz .LBB557_100
; %bb.97:
	v_bfe_u32 v54, v33, 16, 7
	s_movk_i32 s10, 0x7f
	v_cmp_ne_u32_e32 vcc, s10, v54
	v_mov_b32_e32 v32, 0x7f800001
	s_and_saveexec_b64 s[10:11], vcc
	s_cbranch_execz .LBB557_99
; %bb.98:
	v_and_b32_e32 v32, 7, v30
	v_ffbh_u32_e32 v60, v32
	v_min_u32_e32 v63, 32, v60
	v_subrev_u32_e32 v60, 28, v63
	v_lshlrev_b64 v[60:61], v60, v[30:31]
	v_lshrrev_b32_e32 v62, 3, v54
	v_sub_u32_e32 v30, 29, v63
	v_and_b32_e32 v60, 7, v60
	v_cmp_gt_u32_e32 vcc, 8, v54
	v_mov_b32_e32 v54, 24
	v_cndmask_b32_e32 v30, v62, v30, vcc
	v_cndmask_b32_e32 v32, v32, v60, vcc
	v_lshlrev_b32_sdwa v54, v54, v33 dst_sel:DWORD dst_unused:UNUSED_PAD src0_sel:DWORD src1_sel:WORD_1
	v_bfrev_b32_e32 v60, 60
	v_lshlrev_b32_e32 v32, 20, v32
	v_and_b32_e32 v54, 0x80000000, v54
	v_lshl_add_u32 v30, v30, 23, v60
	v_or3_b32 v32, v54, v30, v32
.LBB557_99:
	s_or_b64 exec, exec, s[10:11]
.LBB557_100:
	s_or_b64 exec, exec, s[8:9]
.LBB557_101:
	s_or_b64 exec, exec, s[2:3]
	s_mov_b32 s2, 0xffffff
	v_cmp_lt_u32_e32 vcc, s2, v33
	v_mov_b32_e32 v54, 0
	v_mov_b32_e32 v60, 0
	s_and_saveexec_b64 s[2:3], vcc
	s_cbranch_execz .LBB557_107
; %bb.102:
	v_lshrrev_b32_e32 v30, 24, v33
	s_movk_i32 s8, 0x80
	v_cmp_ne_u32_e32 vcc, s8, v30
	v_bfrev_b32_e32 v60, 1
	s_and_saveexec_b64 s[8:9], vcc
	s_cbranch_execz .LBB557_106
; %bb.103:
	v_bfe_u32 v33, v33, 24, 7
	s_movk_i32 s10, 0x7f
	v_cmp_ne_u32_e32 vcc, s10, v33
	v_mov_b32_e32 v60, 0x7f800001
	s_and_saveexec_b64 s[10:11], vcc
	s_cbranch_execz .LBB557_105
; %bb.104:
	v_and_b32_e32 v62, 7, v30
	v_ffbh_u32_e32 v60, v62
	v_min_u32_e32 v64, 32, v60
	v_subrev_u32_e32 v60, 28, v64
	v_lshlrev_b64 v[60:61], v60, v[30:31]
	v_lshrrev_b32_e32 v63, 3, v33
	v_sub_u32_e32 v61, 29, v64
	v_and_b32_e32 v60, 7, v60
	v_cmp_gt_u32_e32 vcc, 8, v33
	v_cndmask_b32_e32 v33, v63, v61, vcc
	v_cndmask_b32_e32 v60, v62, v60, vcc
	v_lshlrev_b32_e32 v30, 24, v30
	v_bfrev_b32_e32 v61, 60
	v_lshlrev_b32_e32 v60, 20, v60
	v_and_b32_e32 v30, 0x80000000, v30
	v_lshl_add_u32 v33, v33, 23, v61
	v_or3_b32 v60, v30, v33, v60
.LBB557_105:
	s_or_b64 exec, exec, s[10:11]
.LBB557_106:
	s_or_b64 exec, exec, s[8:9]
.LBB557_107:
	s_or_b64 exec, exec, s[2:3]
	v_cvt_pkrtz_f16_f32 v30, v55, v56
	v_cvt_pkrtz_f16_f32 v31, v31, v58
	s_waitcnt vmcnt(7)
	v_cmp_ne_u16_sdwa s[8:9], v38, v54 src0_sel:BYTE_0 src1_sel:DWORD
	v_mfma_f32_16x16x16f16 v[42:45], v[30:31], v[18:19], v[42:45]
	v_cvt_pkrtz_f16_f32 v30, v57, v59
	v_cvt_pkrtz_f16_f32 v31, v32, v60
	s_nop 1
	v_mfma_f32_16x16x16f16 v[30:33], v[30:31], v[20:21], v[42:45]
	s_and_saveexec_b64 s[2:3], s[8:9]
	s_cbranch_execz .LBB557_113
; %bb.108:
	s_movk_i32 s8, 0x80
	v_cmp_ne_u16_sdwa s[10:11], v38, s8 src0_sel:BYTE_0 src1_sel:DWORD
	v_bfrev_b32_e32 v54, 1
	s_and_saveexec_b64 s[8:9], s[10:11]
	s_cbranch_execz .LBB557_112
; %bb.109:
	s_movk_i32 s10, 0x7f
	v_and_b32_e32 v42, 0x7f, v38
	v_cmp_ne_u32_e32 vcc, s10, v42
	v_mov_b32_e32 v54, 0x7f800001
	s_and_saveexec_b64 s[10:11], vcc
	s_cbranch_execz .LBB557_111
; %bb.110:
	v_and_b32_e32 v43, 7, v38
	v_ffbh_u32_e32 v44, v43
	v_min_u32_e32 v55, 32, v44
	v_subrev_u32_e32 v44, 28, v55
	v_lshlrev_b64 v[44:45], v44, v[38:39]
	v_lshrrev_b32_e32 v54, 3, v42
	v_sub_u32_e32 v45, 29, v55
	v_and_b32_e32 v44, 7, v44
	v_cmp_gt_u32_e32 vcc, 8, v42
	v_cndmask_b32_e32 v42, v54, v45, vcc
	v_cndmask_b32_e32 v43, v43, v44, vcc
	v_lshlrev_b32_e32 v44, 24, v38
	v_bfrev_b32_e32 v45, 60
	v_lshlrev_b32_e32 v43, 20, v43
	v_and_b32_e32 v44, 0x80000000, v44
	v_lshl_add_u32 v42, v42, 23, v45
	v_or3_b32 v54, v44, v42, v43
.LBB557_111:
	s_or_b64 exec, exec, s[10:11]
.LBB557_112:
	s_or_b64 exec, exec, s[8:9]
.LBB557_113:
	s_or_b64 exec, exec, s[2:3]
	s_nop 3
	v_lshrrev_b16_e32 v42, 8, v38
	v_cmp_ne_u16_e32 vcc, 0, v42
	v_mov_b32_e32 v43, 0
	v_mov_b32_e32 v44, 0
	s_and_saveexec_b64 s[2:3], vcc
	s_cbranch_execz .LBB557_119
; %bb.114:
	s_movk_i32 s8, 0x80
	v_cmp_ne_u16_e32 vcc, s8, v42
	v_bfrev_b32_e32 v44, 1
	s_and_saveexec_b64 s[8:9], vcc
	s_cbranch_execz .LBB557_118
; %bb.115:
	s_movk_i32 s10, 0x7f
	v_and_b32_e32 v45, 0x7f, v42
	v_cmp_ne_u32_e32 vcc, s10, v45
	v_mov_b32_e32 v44, 0x7f800001
	s_and_saveexec_b64 s[10:11], vcc
	s_cbranch_execz .LBB557_117
; %bb.116:
	v_and_b32_e32 v44, 7, v42
	v_ffbh_u32_e32 v56, v44
	v_min_u32_e32 v58, 32, v56
	v_subrev_u32_e32 v56, 28, v58
	v_lshlrev_b64 v[56:57], v56, v[42:43]
	v_lshrrev_b32_e32 v55, 3, v45
	v_sub_u32_e32 v42, 29, v58
	v_and_b32_e32 v56, 7, v56
	v_cmp_gt_u32_e32 vcc, 8, v45
	v_cndmask_b32_e32 v42, v55, v42, vcc
	v_cndmask_b32_e32 v44, v44, v56, vcc
	v_lshlrev_b32_e32 v45, 16, v38
	v_bfrev_b32_e32 v55, 60
	v_lshlrev_b32_e32 v44, 20, v44
	v_and_b32_e32 v45, 0x80000000, v45
	v_lshl_add_u32 v42, v42, 23, v55
	v_or3_b32 v44, v45, v42, v44
.LBB557_117:
	s_or_b64 exec, exec, s[10:11]
.LBB557_118:
	s_or_b64 exec, exec, s[8:9]
.LBB557_119:
	s_or_b64 exec, exec, s[2:3]
	s_movk_i32 s2, 0xff
	v_and_b32_sdwa v45, v38, s2 dst_sel:DWORD dst_unused:UNUSED_PAD src0_sel:WORD_1 src1_sel:DWORD
	v_lshrrev_b32_e32 v42, 16, v38
	v_cmp_ne_u16_e32 vcc, 0, v45
	s_and_saveexec_b64 s[2:3], vcc
	s_cbranch_execz .LBB557_125
; %bb.120:
	s_movk_i32 s8, 0x80
	v_cmp_ne_u16_e32 vcc, s8, v45
	v_bfrev_b32_e32 v43, 1
	s_and_saveexec_b64 s[8:9], vcc
	s_cbranch_execz .LBB557_124
; %bb.121:
	v_bfe_u32 v45, v38, 16, 7
	s_movk_i32 s10, 0x7f
	v_cmp_ne_u32_e32 vcc, s10, v45
	v_mov_b32_e32 v43, 0x7f800001
	s_and_saveexec_b64 s[10:11], vcc
	s_cbranch_execz .LBB557_123
; %bb.122:
	v_and_b32_e32 v55, 7, v42
	v_ffbh_u32_e32 v43, v55
	v_min_u32_e32 v57, 32, v43
	v_subrev_u32_e32 v43, 28, v57
	v_lshlrev_b64 v[42:43], v43, v[42:43]
	v_lshrrev_b32_e32 v56, 3, v45
	v_sub_u32_e32 v43, 29, v57
	v_and_b32_e32 v42, 7, v42
	v_cmp_gt_u32_e32 vcc, 8, v45
	v_mov_b32_e32 v45, 24
	v_cndmask_b32_e32 v43, v56, v43, vcc
	v_cndmask_b32_e32 v42, v55, v42, vcc
	v_lshlrev_b32_sdwa v45, v45, v38 dst_sel:DWORD dst_unused:UNUSED_PAD src0_sel:DWORD src1_sel:WORD_1
	v_bfrev_b32_e32 v55, 60
	v_lshlrev_b32_e32 v42, 20, v42
	v_and_b32_e32 v45, 0x80000000, v45
	v_lshl_add_u32 v43, v43, 23, v55
	v_or3_b32 v43, v45, v43, v42
.LBB557_123:
	s_or_b64 exec, exec, s[10:11]
.LBB557_124:
	s_or_b64 exec, exec, s[8:9]
.LBB557_125:
	s_or_b64 exec, exec, s[2:3]
	s_mov_b32 s2, 0xffffff
	v_cmp_lt_u32_e32 vcc, s2, v38
	v_mov_b32_e32 v45, 0
	v_mov_b32_e32 v56, 0
	s_and_saveexec_b64 s[2:3], vcc
	s_cbranch_execz .LBB557_131
; %bb.126:
	v_lshrrev_b32_e32 v42, 24, v38
	s_movk_i32 s8, 0x80
	v_cmp_ne_u32_e32 vcc, s8, v42
	v_bfrev_b32_e32 v56, 1
	s_and_saveexec_b64 s[8:9], vcc
	s_cbranch_execz .LBB557_130
; %bb.127:
	v_bfe_u32 v38, v38, 24, 7
	s_movk_i32 s10, 0x7f
	v_cmp_ne_u32_e32 vcc, s10, v38
	v_mov_b32_e32 v56, 0x7f800001
	s_and_saveexec_b64 s[10:11], vcc
	s_cbranch_execz .LBB557_129
; %bb.128:
	v_and_b32_e32 v55, 7, v42
	v_ffbh_u32_e32 v56, v55
	v_min_u32_e32 v59, 32, v56
	v_subrev_u32_e32 v56, 28, v59
	v_lshlrev_b64 v[56:57], v56, v[42:43]
	v_lshrrev_b32_e32 v58, 3, v38
	v_sub_u32_e32 v57, 29, v59
	v_and_b32_e32 v56, 7, v56
	v_cmp_gt_u32_e32 vcc, 8, v38
	v_cndmask_b32_e32 v38, v58, v57, vcc
	v_cndmask_b32_e32 v55, v55, v56, vcc
	v_lshlrev_b32_e32 v42, 24, v42
	v_bfrev_b32_e32 v56, 60
	v_lshlrev_b32_e32 v55, 20, v55
	v_and_b32_e32 v42, 0x80000000, v42
	v_lshl_add_u32 v38, v38, 23, v56
	v_or3_b32 v56, v42, v38, v55
.LBB557_129:
	s_or_b64 exec, exec, s[10:11]
.LBB557_130:
	s_or_b64 exec, exec, s[8:9]
.LBB557_131:
	s_or_b64 exec, exec, s[2:3]
	v_cmp_ne_u16_sdwa s[8:9], v39, v45 src0_sel:BYTE_0 src1_sel:DWORD
	s_and_saveexec_b64 s[2:3], s[8:9]
	s_cbranch_execz .LBB557_137
; %bb.132:
	s_movk_i32 s8, 0x80
	v_cmp_ne_u16_sdwa s[10:11], v39, s8 src0_sel:BYTE_0 src1_sel:DWORD
	v_bfrev_b32_e32 v45, 1
	s_and_saveexec_b64 s[8:9], s[10:11]
	s_cbranch_execz .LBB557_136
; %bb.133:
	s_movk_i32 s10, 0x7f
	v_and_b32_e32 v38, 0x7f, v39
	v_cmp_ne_u32_e32 vcc, s10, v38
	v_mov_b32_e32 v45, 0x7f800001
	s_and_saveexec_b64 s[10:11], vcc
	s_cbranch_execz .LBB557_135
; %bb.134:
	v_and_b32_e32 v45, 7, v39
	v_ffbh_u32_e32 v57, v45
	v_min_u32_e32 v57, 32, v57
	v_mov_b32_e32 v42, v39
	v_subrev_u32_e32 v58, 28, v57
	v_lshlrev_b64 v[58:59], v58, v[42:43]
	v_lshrrev_b32_e32 v55, 3, v38
	v_sub_u32_e32 v42, 29, v57
	v_and_b32_e32 v57, 7, v58
	v_cmp_gt_u32_e32 vcc, 8, v38
	v_cndmask_b32_e32 v38, v55, v42, vcc
	v_cndmask_b32_e32 v42, v45, v57, vcc
	v_lshlrev_b32_e32 v45, 24, v39
	v_bfrev_b32_e32 v55, 60
	v_lshlrev_b32_e32 v42, 20, v42
	v_and_b32_e32 v45, 0x80000000, v45
	v_lshl_add_u32 v38, v38, 23, v55
	v_or3_b32 v45, v45, v38, v42
.LBB557_135:
	s_or_b64 exec, exec, s[10:11]
.LBB557_136:
	s_or_b64 exec, exec, s[8:9]
.LBB557_137:
	s_or_b64 exec, exec, s[2:3]
	v_lshrrev_b16_e32 v38, 8, v39
	v_cmp_ne_u16_e32 vcc, 0, v38
	v_mov_b32_e32 v42, 0
	v_mov_b32_e32 v57, 0
	s_and_saveexec_b64 s[2:3], vcc
	s_cbranch_execz .LBB557_143
; %bb.138:
	s_movk_i32 s8, 0x80
	v_cmp_ne_u16_e32 vcc, s8, v38
	v_bfrev_b32_e32 v57, 1
	s_and_saveexec_b64 s[8:9], vcc
	s_cbranch_execz .LBB557_142
; %bb.139:
	s_movk_i32 s10, 0x7f
	v_and_b32_e32 v55, 0x7f, v38
	v_cmp_ne_u32_e32 vcc, s10, v55
	v_mov_b32_e32 v57, 0x7f800001
	s_and_saveexec_b64 s[10:11], vcc
	s_cbranch_execz .LBB557_141
; %bb.140:
	v_and_b32_e32 v57, 7, v38
	v_ffbh_u32_e32 v58, v57
	v_min_u32_e32 v61, 32, v58
	v_subrev_u32_e32 v58, 28, v61
	v_lshlrev_b64 v[58:59], v58, v[38:39]
	v_lshrrev_b32_e32 v60, 3, v55
	v_sub_u32_e32 v38, 29, v61
	v_and_b32_e32 v58, 7, v58
	v_cmp_gt_u32_e32 vcc, 8, v55
	v_cndmask_b32_e32 v38, v60, v38, vcc
	v_cndmask_b32_e32 v55, v57, v58, vcc
	v_lshlrev_b32_e32 v57, 16, v39
	v_bfrev_b32_e32 v58, 60
	v_lshlrev_b32_e32 v55, 20, v55
	v_and_b32_e32 v57, 0x80000000, v57
	v_lshl_add_u32 v38, v38, 23, v58
	v_or3_b32 v57, v57, v38, v55
.LBB557_141:
	s_or_b64 exec, exec, s[10:11]
.LBB557_142:
	s_or_b64 exec, exec, s[8:9]
.LBB557_143:
	s_or_b64 exec, exec, s[2:3]
	s_movk_i32 s2, 0xff
	v_and_b32_sdwa v55, v39, s2 dst_sel:DWORD dst_unused:UNUSED_PAD src0_sel:WORD_1 src1_sel:DWORD
	v_lshrrev_b32_e32 v38, 16, v39
	v_cmp_ne_u16_e32 vcc, 0, v55
	s_and_saveexec_b64 s[2:3], vcc
	s_cbranch_execz .LBB557_149
; %bb.144:
	s_movk_i32 s8, 0x80
	v_cmp_ne_u16_e32 vcc, s8, v55
	v_bfrev_b32_e32 v42, 1
	s_and_saveexec_b64 s[8:9], vcc
	s_cbranch_execz .LBB557_148
; %bb.145:
	v_bfe_u32 v55, v39, 16, 7
	s_movk_i32 s10, 0x7f
	v_cmp_ne_u32_e32 vcc, s10, v55
	v_mov_b32_e32 v42, 0x7f800001
	s_and_saveexec_b64 s[10:11], vcc
	s_cbranch_execz .LBB557_147
; %bb.146:
	v_and_b32_e32 v42, 7, v38
	v_ffbh_u32_e32 v58, v42
	v_min_u32_e32 v61, 32, v58
	v_subrev_u32_e32 v58, 28, v61
	v_lshlrev_b64 v[58:59], v58, v[38:39]
	v_lshrrev_b32_e32 v60, 3, v55
	v_sub_u32_e32 v38, 29, v61
	v_and_b32_e32 v58, 7, v58
	v_cmp_gt_u32_e32 vcc, 8, v55
	v_mov_b32_e32 v55, 24
	v_cndmask_b32_e32 v38, v60, v38, vcc
	v_cndmask_b32_e32 v42, v42, v58, vcc
	v_lshlrev_b32_sdwa v55, v55, v39 dst_sel:DWORD dst_unused:UNUSED_PAD src0_sel:DWORD src1_sel:WORD_1
	v_bfrev_b32_e32 v58, 60
	v_lshlrev_b32_e32 v42, 20, v42
	v_and_b32_e32 v55, 0x80000000, v55
	v_lshl_add_u32 v38, v38, 23, v58
	v_or3_b32 v42, v55, v38, v42
.LBB557_147:
	s_or_b64 exec, exec, s[10:11]
.LBB557_148:
	s_or_b64 exec, exec, s[8:9]
.LBB557_149:
	s_or_b64 exec, exec, s[2:3]
	s_mov_b32 s2, 0xffffff
	v_cmp_lt_u32_e32 vcc, s2, v39
	v_mov_b32_e32 v55, 0
	v_mov_b32_e32 v58, 0
	s_and_saveexec_b64 s[2:3], vcc
	s_cbranch_execz .LBB557_155
; %bb.150:
	v_lshrrev_b32_e32 v38, 24, v39
	s_movk_i32 s8, 0x80
	v_cmp_ne_u32_e32 vcc, s8, v38
	v_bfrev_b32_e32 v58, 1
	s_and_saveexec_b64 s[8:9], vcc
	s_cbranch_execz .LBB557_154
; %bb.151:
	v_bfe_u32 v39, v39, 24, 7
	s_movk_i32 s10, 0x7f
	v_cmp_ne_u32_e32 vcc, s10, v39
	v_mov_b32_e32 v58, 0x7f800001
	s_and_saveexec_b64 s[10:11], vcc
	s_cbranch_execz .LBB557_153
; %bb.152:
	v_and_b32_e32 v60, 7, v38
	v_ffbh_u32_e32 v58, v60
	v_min_u32_e32 v62, 32, v58
	v_subrev_u32_e32 v58, 28, v62
	v_lshlrev_b64 v[58:59], v58, v[38:39]
	v_lshrrev_b32_e32 v61, 3, v39
	v_sub_u32_e32 v59, 29, v62
	v_and_b32_e32 v58, 7, v58
	v_cmp_gt_u32_e32 vcc, 8, v39
	v_cndmask_b32_e32 v39, v61, v59, vcc
	v_cndmask_b32_e32 v58, v60, v58, vcc
	v_lshlrev_b32_e32 v38, 24, v38
	v_bfrev_b32_e32 v59, 60
	v_lshlrev_b32_e32 v58, 20, v58
	v_and_b32_e32 v38, 0x80000000, v38
	v_lshl_add_u32 v39, v39, 23, v59
	v_or3_b32 v58, v38, v39, v58
.LBB557_153:
	s_or_b64 exec, exec, s[10:11]
.LBB557_154:
	s_or_b64 exec, exec, s[8:9]
.LBB557_155:
	s_or_b64 exec, exec, s[2:3]
	v_cvt_pkrtz_f16_f32 v38, v54, v44
	v_cvt_pkrtz_f16_f32 v39, v43, v56
	v_cmp_ne_u16_sdwa s[8:9], v40, v55 src0_sel:BYTE_0 src1_sel:DWORD
	s_nop 0
	v_mfma_f32_16x16x16f16 v[60:63], v[38:39], v[26:27], 0
	v_cvt_pkrtz_f16_f32 v38, v45, v57
	v_cvt_pkrtz_f16_f32 v39, v42, v58
	s_nop 1
	v_mfma_f32_16x16x16f16 v[42:45], v[38:39], v[28:29], v[60:63]
	s_and_saveexec_b64 s[2:3], s[8:9]
	s_cbranch_execz .LBB557_161
; %bb.156:
	s_movk_i32 s8, 0x80
	v_cmp_ne_u16_sdwa s[10:11], v40, s8 src0_sel:BYTE_0 src1_sel:DWORD
	v_bfrev_b32_e32 v55, 1
	s_and_saveexec_b64 s[8:9], s[10:11]
	s_cbranch_execz .LBB557_160
; %bb.157:
	s_movk_i32 s10, 0x7f
	v_and_b32_e32 v38, 0x7f, v40
	v_cmp_ne_u32_e32 vcc, s10, v38
	v_mov_b32_e32 v55, 0x7f800001
	s_and_saveexec_b64 s[10:11], vcc
	s_cbranch_execz .LBB557_159
; %bb.158:
	v_and_b32_e32 v39, 7, v40
	v_ffbh_u32_e32 v54, v39
	v_min_u32_e32 v57, 32, v54
	v_subrev_u32_e32 v54, 28, v57
	v_lshlrev_b64 v[54:55], v54, v[40:41]
	v_lshrrev_b32_e32 v56, 3, v38
	v_sub_u32_e32 v55, 29, v57
	v_and_b32_e32 v54, 7, v54
	v_cmp_gt_u32_e32 vcc, 8, v38
	v_cndmask_b32_e32 v38, v56, v55, vcc
	v_cndmask_b32_e32 v39, v39, v54, vcc
	v_lshlrev_b32_e32 v54, 24, v40
	v_bfrev_b32_e32 v55, 60
	v_lshlrev_b32_e32 v39, 20, v39
	v_and_b32_e32 v54, 0x80000000, v54
	v_lshl_add_u32 v38, v38, 23, v55
	v_or3_b32 v55, v54, v38, v39
.LBB557_159:
	s_or_b64 exec, exec, s[10:11]
.LBB557_160:
	s_or_b64 exec, exec, s[8:9]
.LBB557_161:
	s_or_b64 exec, exec, s[2:3]
	v_lshrrev_b16_e32 v38, 8, v40
	v_cmp_ne_u16_e32 vcc, 0, v38
	v_mov_b32_e32 v39, 0
	v_mov_b32_e32 v56, 0
	s_and_saveexec_b64 s[2:3], vcc
	s_cbranch_execz .LBB557_167
; %bb.162:
	s_movk_i32 s8, 0x80
	v_cmp_ne_u16_e32 vcc, s8, v38
	v_bfrev_b32_e32 v56, 1
	s_and_saveexec_b64 s[8:9], vcc
	s_cbranch_execz .LBB557_166
; %bb.163:
	s_movk_i32 s10, 0x7f
	v_and_b32_e32 v54, 0x7f, v38
	v_cmp_ne_u32_e32 vcc, s10, v54
	v_mov_b32_e32 v56, 0x7f800001
	s_and_saveexec_b64 s[10:11], vcc
	s_cbranch_execz .LBB557_165
; %bb.164:
	v_and_b32_e32 v58, 7, v38
	v_ffbh_u32_e32 v56, v58
	v_min_u32_e32 v60, 32, v56
	v_subrev_u32_e32 v56, 28, v60
	v_lshlrev_b64 v[56:57], v56, v[38:39]
	v_lshrrev_b32_e32 v59, 3, v54
	v_sub_u32_e32 v38, 29, v60
	v_and_b32_e32 v56, 7, v56
	v_cmp_gt_u32_e32 vcc, 8, v54
	v_cndmask_b32_e32 v38, v59, v38, vcc
	v_cndmask_b32_e32 v54, v58, v56, vcc
	v_lshlrev_b32_e32 v56, 16, v40
	v_bfrev_b32_e32 v57, 60
	v_lshlrev_b32_e32 v54, 20, v54
	v_and_b32_e32 v56, 0x80000000, v56
	v_lshl_add_u32 v38, v38, 23, v57
	v_or3_b32 v56, v56, v38, v54
.LBB557_165:
	s_or_b64 exec, exec, s[10:11]
.LBB557_166:
	s_or_b64 exec, exec, s[8:9]
.LBB557_167:
	s_or_b64 exec, exec, s[2:3]
	s_movk_i32 s2, 0xff
	v_and_b32_sdwa v54, v40, s2 dst_sel:DWORD dst_unused:UNUSED_PAD src0_sel:WORD_1 src1_sel:DWORD
	v_lshrrev_b32_e32 v38, 16, v40
	v_cmp_ne_u16_e32 vcc, 0, v54
	s_and_saveexec_b64 s[2:3], vcc
	s_cbranch_execz .LBB557_173
; %bb.168:
	s_movk_i32 s8, 0x80
	v_cmp_ne_u16_e32 vcc, s8, v54
	v_bfrev_b32_e32 v39, 1
	s_and_saveexec_b64 s[8:9], vcc
	s_cbranch_execz .LBB557_172
; %bb.169:
	v_bfe_u32 v54, v40, 16, 7
	s_movk_i32 s10, 0x7f
	v_cmp_ne_u32_e32 vcc, s10, v54
	v_mov_b32_e32 v39, 0x7f800001
	s_and_saveexec_b64 s[10:11], vcc
	s_cbranch_execz .LBB557_171
; %bb.170:
	v_and_b32_e32 v57, 7, v38
	v_ffbh_u32_e32 v39, v57
	v_min_u32_e32 v59, 32, v39
	v_subrev_u32_e32 v39, 28, v59
	v_lshlrev_b64 v[38:39], v39, v[38:39]
	v_lshrrev_b32_e32 v58, 3, v54
	v_sub_u32_e32 v39, 29, v59
	v_and_b32_e32 v38, 7, v38
	v_cmp_gt_u32_e32 vcc, 8, v54
	v_mov_b32_e32 v54, 24
	v_cndmask_b32_e32 v39, v58, v39, vcc
	v_cndmask_b32_e32 v38, v57, v38, vcc
	v_lshlrev_b32_sdwa v54, v54, v40 dst_sel:DWORD dst_unused:UNUSED_PAD src0_sel:DWORD src1_sel:WORD_1
	v_bfrev_b32_e32 v57, 60
	v_lshlrev_b32_e32 v38, 20, v38
	v_and_b32_e32 v54, 0x80000000, v54
	v_lshl_add_u32 v39, v39, 23, v57
	v_or3_b32 v39, v54, v39, v38
.LBB557_171:
	s_or_b64 exec, exec, s[10:11]
.LBB557_172:
	s_or_b64 exec, exec, s[8:9]
.LBB557_173:
	s_or_b64 exec, exec, s[2:3]
	s_mov_b32 s2, 0xffffff
	v_cmp_lt_u32_e32 vcc, s2, v40
	v_mov_b32_e32 v57, 0
	v_mov_b32_e32 v58, 0
	s_and_saveexec_b64 s[2:3], vcc
	s_cbranch_execz .LBB557_179
; %bb.174:
	v_lshrrev_b32_e32 v38, 24, v40
	s_movk_i32 s8, 0x80
	v_cmp_ne_u32_e32 vcc, s8, v38
	v_bfrev_b32_e32 v58, 1
	s_and_saveexec_b64 s[8:9], vcc
	s_cbranch_execz .LBB557_178
; %bb.175:
	v_bfe_u32 v40, v40, 24, 7
	s_movk_i32 s10, 0x7f
	v_cmp_ne_u32_e32 vcc, s10, v40
	v_mov_b32_e32 v58, 0x7f800001
	s_and_saveexec_b64 s[10:11], vcc
	s_cbranch_execz .LBB557_177
; %bb.176:
	v_and_b32_e32 v54, 7, v38
	v_ffbh_u32_e32 v58, v54
	v_min_u32_e32 v61, 32, v58
	v_subrev_u32_e32 v58, 28, v61
	v_lshlrev_b64 v[58:59], v58, v[38:39]
	v_lshrrev_b32_e32 v60, 3, v40
	v_sub_u32_e32 v59, 29, v61
	v_and_b32_e32 v58, 7, v58
	v_cmp_gt_u32_e32 vcc, 8, v40
	v_cndmask_b32_e32 v40, v60, v59, vcc
	v_cndmask_b32_e32 v54, v54, v58, vcc
	v_lshlrev_b32_e32 v38, 24, v38
	v_bfrev_b32_e32 v58, 60
	v_lshlrev_b32_e32 v54, 20, v54
	v_and_b32_e32 v38, 0x80000000, v38
	v_lshl_add_u32 v40, v40, 23, v58
	v_or3_b32 v58, v38, v40, v54
.LBB557_177:
	s_or_b64 exec, exec, s[10:11]
.LBB557_178:
	s_or_b64 exec, exec, s[8:9]
.LBB557_179:
	s_or_b64 exec, exec, s[2:3]
	v_cmp_ne_u16_sdwa s[8:9], v41, v57 src0_sel:BYTE_0 src1_sel:DWORD
	s_and_saveexec_b64 s[2:3], s[8:9]
	s_cbranch_execz .LBB557_185
; %bb.180:
	s_movk_i32 s8, 0x80
	v_cmp_ne_u16_sdwa s[10:11], v41, s8 src0_sel:BYTE_0 src1_sel:DWORD
	v_bfrev_b32_e32 v57, 1
	s_and_saveexec_b64 s[8:9], s[10:11]
	s_cbranch_execz .LBB557_184
; %bb.181:
	s_movk_i32 s10, 0x7f
	v_and_b32_e32 v38, 0x7f, v41
	v_cmp_ne_u32_e32 vcc, s10, v38
	v_mov_b32_e32 v57, 0x7f800001
	s_and_saveexec_b64 s[10:11], vcc
	s_cbranch_execz .LBB557_183
; %bb.182:
	v_and_b32_e32 v54, 7, v41
	v_ffbh_u32_e32 v59, v54
	v_min_u32_e32 v59, 32, v59
	v_mov_b32_e32 v40, v41
	v_subrev_u32_e32 v60, 28, v59
	v_lshlrev_b64 v[60:61], v60, v[40:41]
	v_lshrrev_b32_e32 v57, 3, v38
	v_sub_u32_e32 v40, 29, v59
	v_and_b32_e32 v59, 7, v60
	v_cmp_gt_u32_e32 vcc, 8, v38
	v_cndmask_b32_e32 v38, v57, v40, vcc
	v_cndmask_b32_e32 v40, v54, v59, vcc
	v_lshlrev_b32_e32 v54, 24, v41
	v_bfrev_b32_e32 v57, 60
	v_lshlrev_b32_e32 v40, 20, v40
	v_and_b32_e32 v54, 0x80000000, v54
	v_lshl_add_u32 v38, v38, 23, v57
	v_or3_b32 v57, v54, v38, v40
.LBB557_183:
	s_or_b64 exec, exec, s[10:11]
.LBB557_184:
	s_or_b64 exec, exec, s[8:9]
.LBB557_185:
	s_or_b64 exec, exec, s[2:3]
	v_lshrrev_b16_e32 v38, 8, v41
	v_cmp_ne_u16_e32 vcc, 0, v38
	v_mov_b32_e32 v40, 0
	v_mov_b32_e32 v59, 0
	s_and_saveexec_b64 s[2:3], vcc
	s_cbranch_execz .LBB557_191
; %bb.186:
	s_movk_i32 s8, 0x80
	v_cmp_ne_u16_e32 vcc, s8, v38
	v_bfrev_b32_e32 v59, 1
	s_and_saveexec_b64 s[8:9], vcc
	s_cbranch_execz .LBB557_190
; %bb.187:
	s_movk_i32 s10, 0x7f
	v_and_b32_e32 v54, 0x7f, v38
	v_cmp_ne_u32_e32 vcc, s10, v54
	v_mov_b32_e32 v59, 0x7f800001
	s_and_saveexec_b64 s[10:11], vcc
	s_cbranch_execz .LBB557_189
; %bb.188:
	v_and_b32_e32 v59, 7, v38
	v_ffbh_u32_e32 v60, v59
	v_min_u32_e32 v63, 32, v60
	v_subrev_u32_e32 v60, 28, v63
	v_lshlrev_b64 v[60:61], v60, v[38:39]
	v_lshrrev_b32_e32 v62, 3, v54
	v_sub_u32_e32 v38, 29, v63
	v_and_b32_e32 v60, 7, v60
	v_cmp_gt_u32_e32 vcc, 8, v54
	v_cndmask_b32_e32 v38, v62, v38, vcc
	v_cndmask_b32_e32 v54, v59, v60, vcc
	v_lshlrev_b32_e32 v59, 16, v41
	v_bfrev_b32_e32 v60, 60
	v_lshlrev_b32_e32 v54, 20, v54
	v_and_b32_e32 v59, 0x80000000, v59
	v_lshl_add_u32 v38, v38, 23, v60
	v_or3_b32 v59, v59, v38, v54
.LBB557_189:
	s_or_b64 exec, exec, s[10:11]
.LBB557_190:
	s_or_b64 exec, exec, s[8:9]
.LBB557_191:
	s_or_b64 exec, exec, s[2:3]
	s_movk_i32 s2, 0xff
	v_and_b32_sdwa v54, v41, s2 dst_sel:DWORD dst_unused:UNUSED_PAD src0_sel:WORD_1 src1_sel:DWORD
	v_lshrrev_b32_e32 v38, 16, v41
	v_cmp_ne_u16_e32 vcc, 0, v54
	s_and_saveexec_b64 s[2:3], vcc
	s_cbranch_execz .LBB557_197
; %bb.192:
	s_movk_i32 s8, 0x80
	v_cmp_ne_u16_e32 vcc, s8, v54
	v_bfrev_b32_e32 v40, 1
	s_and_saveexec_b64 s[8:9], vcc
	s_cbranch_execz .LBB557_196
; %bb.193:
	v_bfe_u32 v54, v41, 16, 7
	s_movk_i32 s10, 0x7f
	v_cmp_ne_u32_e32 vcc, s10, v54
	v_mov_b32_e32 v40, 0x7f800001
	s_and_saveexec_b64 s[10:11], vcc
	s_cbranch_execz .LBB557_195
; %bb.194:
	v_and_b32_e32 v40, 7, v38
	v_ffbh_u32_e32 v60, v40
	v_min_u32_e32 v63, 32, v60
	v_subrev_u32_e32 v60, 28, v63
	v_lshlrev_b64 v[60:61], v60, v[38:39]
	v_lshrrev_b32_e32 v62, 3, v54
	v_sub_u32_e32 v38, 29, v63
	v_and_b32_e32 v60, 7, v60
	v_cmp_gt_u32_e32 vcc, 8, v54
	v_mov_b32_e32 v54, 24
	v_cndmask_b32_e32 v38, v62, v38, vcc
	v_cndmask_b32_e32 v40, v40, v60, vcc
	v_lshlrev_b32_sdwa v54, v54, v41 dst_sel:DWORD dst_unused:UNUSED_PAD src0_sel:DWORD src1_sel:WORD_1
	v_bfrev_b32_e32 v60, 60
	v_lshlrev_b32_e32 v40, 20, v40
	v_and_b32_e32 v54, 0x80000000, v54
	v_lshl_add_u32 v38, v38, 23, v60
	v_or3_b32 v40, v54, v38, v40
.LBB557_195:
	s_or_b64 exec, exec, s[10:11]
.LBB557_196:
	s_or_b64 exec, exec, s[8:9]
.LBB557_197:
	s_or_b64 exec, exec, s[2:3]
	s_mov_b32 s2, 0xffffff
	v_cmp_lt_u32_e32 vcc, s2, v41
	v_mov_b32_e32 v54, 0
	v_mov_b32_e32 v60, 0
	s_and_saveexec_b64 s[2:3], vcc
	s_cbranch_execz .LBB557_203
; %bb.198:
	v_lshrrev_b32_e32 v38, 24, v41
	s_movk_i32 s8, 0x80
	v_cmp_ne_u32_e32 vcc, s8, v38
	v_bfrev_b32_e32 v60, 1
	s_and_saveexec_b64 s[8:9], vcc
	s_cbranch_execz .LBB557_202
; %bb.199:
	v_bfe_u32 v41, v41, 24, 7
	s_movk_i32 s10, 0x7f
	v_cmp_ne_u32_e32 vcc, s10, v41
	v_mov_b32_e32 v60, 0x7f800001
	s_and_saveexec_b64 s[10:11], vcc
	s_cbranch_execz .LBB557_201
; %bb.200:
	v_and_b32_e32 v62, 7, v38
	v_ffbh_u32_e32 v60, v62
	v_min_u32_e32 v64, 32, v60
	v_subrev_u32_e32 v60, 28, v64
	v_lshlrev_b64 v[60:61], v60, v[38:39]
	v_lshrrev_b32_e32 v63, 3, v41
	v_sub_u32_e32 v61, 29, v64
	v_and_b32_e32 v60, 7, v60
	v_cmp_gt_u32_e32 vcc, 8, v41
	v_cndmask_b32_e32 v41, v63, v61, vcc
	v_cndmask_b32_e32 v60, v62, v60, vcc
	v_lshlrev_b32_e32 v38, 24, v38
	v_bfrev_b32_e32 v61, 60
	v_lshlrev_b32_e32 v60, 20, v60
	v_and_b32_e32 v38, 0x80000000, v38
	v_lshl_add_u32 v41, v41, 23, v61
	v_or3_b32 v60, v38, v41, v60
.LBB557_201:
	s_or_b64 exec, exec, s[10:11]
.LBB557_202:
	s_or_b64 exec, exec, s[8:9]
.LBB557_203:
	s_or_b64 exec, exec, s[2:3]
	v_cvt_pkrtz_f16_f32 v38, v55, v56
	v_cvt_pkrtz_f16_f32 v39, v39, v58
	s_waitcnt vmcnt(6)
	v_cmp_ne_u16_sdwa s[8:9], v34, v54 src0_sel:BYTE_0 src1_sel:DWORD
	v_mfma_f32_16x16x16f16 v[42:45], v[38:39], v[18:19], v[42:45]
	v_cvt_pkrtz_f16_f32 v38, v57, v59
	v_cvt_pkrtz_f16_f32 v39, v40, v60
	s_nop 1
	v_mfma_f32_16x16x16f16 v[38:41], v[38:39], v[20:21], v[42:45]
	s_and_saveexec_b64 s[2:3], s[8:9]
	s_cbranch_execz .LBB557_209
; %bb.204:
	s_movk_i32 s8, 0x80
	v_cmp_ne_u16_sdwa s[10:11], v34, s8 src0_sel:BYTE_0 src1_sel:DWORD
	v_bfrev_b32_e32 v54, 1
	s_and_saveexec_b64 s[8:9], s[10:11]
	s_cbranch_execz .LBB557_208
; %bb.205:
	s_movk_i32 s10, 0x7f
	v_and_b32_e32 v42, 0x7f, v34
	v_cmp_ne_u32_e32 vcc, s10, v42
	v_mov_b32_e32 v54, 0x7f800001
	s_and_saveexec_b64 s[10:11], vcc
	s_cbranch_execz .LBB557_207
; %bb.206:
	v_and_b32_e32 v43, 7, v34
	v_ffbh_u32_e32 v44, v43
	v_min_u32_e32 v55, 32, v44
	v_subrev_u32_e32 v44, 28, v55
	v_lshlrev_b64 v[44:45], v44, v[34:35]
	v_lshrrev_b32_e32 v54, 3, v42
	v_sub_u32_e32 v45, 29, v55
	v_and_b32_e32 v44, 7, v44
	v_cmp_gt_u32_e32 vcc, 8, v42
	v_cndmask_b32_e32 v42, v54, v45, vcc
	v_cndmask_b32_e32 v43, v43, v44, vcc
	v_lshlrev_b32_e32 v44, 24, v34
	v_bfrev_b32_e32 v45, 60
	v_lshlrev_b32_e32 v43, 20, v43
	v_and_b32_e32 v44, 0x80000000, v44
	v_lshl_add_u32 v42, v42, 23, v45
	v_or3_b32 v54, v44, v42, v43
.LBB557_207:
	s_or_b64 exec, exec, s[10:11]
.LBB557_208:
	s_or_b64 exec, exec, s[8:9]
.LBB557_209:
	s_or_b64 exec, exec, s[2:3]
	s_nop 3
	v_lshrrev_b16_e32 v42, 8, v34
	v_cmp_ne_u16_e32 vcc, 0, v42
	v_mov_b32_e32 v43, 0
	v_mov_b32_e32 v44, 0
	s_and_saveexec_b64 s[2:3], vcc
	s_cbranch_execz .LBB557_215
; %bb.210:
	s_movk_i32 s8, 0x80
	v_cmp_ne_u16_e32 vcc, s8, v42
	v_bfrev_b32_e32 v44, 1
	s_and_saveexec_b64 s[8:9], vcc
	s_cbranch_execz .LBB557_214
; %bb.211:
	s_movk_i32 s10, 0x7f
	v_and_b32_e32 v45, 0x7f, v42
	v_cmp_ne_u32_e32 vcc, s10, v45
	v_mov_b32_e32 v44, 0x7f800001
	s_and_saveexec_b64 s[10:11], vcc
	s_cbranch_execz .LBB557_213
; %bb.212:
	v_and_b32_e32 v44, 7, v42
	v_ffbh_u32_e32 v56, v44
	v_min_u32_e32 v58, 32, v56
	v_subrev_u32_e32 v56, 28, v58
	v_lshlrev_b64 v[56:57], v56, v[42:43]
	v_lshrrev_b32_e32 v55, 3, v45
	v_sub_u32_e32 v42, 29, v58
	v_and_b32_e32 v56, 7, v56
	v_cmp_gt_u32_e32 vcc, 8, v45
	v_cndmask_b32_e32 v42, v55, v42, vcc
	v_cndmask_b32_e32 v44, v44, v56, vcc
	v_lshlrev_b32_e32 v45, 16, v34
	v_bfrev_b32_e32 v55, 60
	v_lshlrev_b32_e32 v44, 20, v44
	v_and_b32_e32 v45, 0x80000000, v45
	v_lshl_add_u32 v42, v42, 23, v55
	v_or3_b32 v44, v45, v42, v44
.LBB557_213:
	s_or_b64 exec, exec, s[10:11]
.LBB557_214:
	s_or_b64 exec, exec, s[8:9]
.LBB557_215:
	s_or_b64 exec, exec, s[2:3]
	s_movk_i32 s2, 0xff
	v_and_b32_sdwa v45, v34, s2 dst_sel:DWORD dst_unused:UNUSED_PAD src0_sel:WORD_1 src1_sel:DWORD
	v_lshrrev_b32_e32 v42, 16, v34
	v_cmp_ne_u16_e32 vcc, 0, v45
	s_and_saveexec_b64 s[2:3], vcc
	s_cbranch_execz .LBB557_221
; %bb.216:
	s_movk_i32 s8, 0x80
	v_cmp_ne_u16_e32 vcc, s8, v45
	v_bfrev_b32_e32 v43, 1
	s_and_saveexec_b64 s[8:9], vcc
	s_cbranch_execz .LBB557_220
; %bb.217:
	v_bfe_u32 v45, v34, 16, 7
	s_movk_i32 s10, 0x7f
	v_cmp_ne_u32_e32 vcc, s10, v45
	v_mov_b32_e32 v43, 0x7f800001
	s_and_saveexec_b64 s[10:11], vcc
	s_cbranch_execz .LBB557_219
; %bb.218:
	v_and_b32_e32 v55, 7, v42
	v_ffbh_u32_e32 v43, v55
	v_min_u32_e32 v57, 32, v43
	v_subrev_u32_e32 v43, 28, v57
	v_lshlrev_b64 v[42:43], v43, v[42:43]
	v_lshrrev_b32_e32 v56, 3, v45
	v_sub_u32_e32 v43, 29, v57
	v_and_b32_e32 v42, 7, v42
	v_cmp_gt_u32_e32 vcc, 8, v45
	v_mov_b32_e32 v45, 24
	v_cndmask_b32_e32 v43, v56, v43, vcc
	v_cndmask_b32_e32 v42, v55, v42, vcc
	v_lshlrev_b32_sdwa v45, v45, v34 dst_sel:DWORD dst_unused:UNUSED_PAD src0_sel:DWORD src1_sel:WORD_1
	v_bfrev_b32_e32 v55, 60
	v_lshlrev_b32_e32 v42, 20, v42
	v_and_b32_e32 v45, 0x80000000, v45
	v_lshl_add_u32 v43, v43, 23, v55
	v_or3_b32 v43, v45, v43, v42
.LBB557_219:
	s_or_b64 exec, exec, s[10:11]
.LBB557_220:
	s_or_b64 exec, exec, s[8:9]
.LBB557_221:
	s_or_b64 exec, exec, s[2:3]
	s_mov_b32 s2, 0xffffff
	v_cmp_lt_u32_e32 vcc, s2, v34
	v_mov_b32_e32 v45, 0
	v_mov_b32_e32 v56, 0
	s_and_saveexec_b64 s[2:3], vcc
	s_cbranch_execz .LBB557_227
; %bb.222:
	v_lshrrev_b32_e32 v42, 24, v34
	s_movk_i32 s8, 0x80
	v_cmp_ne_u32_e32 vcc, s8, v42
	v_bfrev_b32_e32 v56, 1
	s_and_saveexec_b64 s[8:9], vcc
	s_cbranch_execz .LBB557_226
; %bb.223:
	v_bfe_u32 v34, v34, 24, 7
	s_movk_i32 s10, 0x7f
	v_cmp_ne_u32_e32 vcc, s10, v34
	v_mov_b32_e32 v56, 0x7f800001
	s_and_saveexec_b64 s[10:11], vcc
	s_cbranch_execz .LBB557_225
; %bb.224:
	v_and_b32_e32 v55, 7, v42
	v_ffbh_u32_e32 v56, v55
	v_min_u32_e32 v59, 32, v56
	v_subrev_u32_e32 v56, 28, v59
	v_lshlrev_b64 v[56:57], v56, v[42:43]
	v_lshrrev_b32_e32 v58, 3, v34
	v_sub_u32_e32 v57, 29, v59
	v_and_b32_e32 v56, 7, v56
	v_cmp_gt_u32_e32 vcc, 8, v34
	v_cndmask_b32_e32 v34, v58, v57, vcc
	v_cndmask_b32_e32 v55, v55, v56, vcc
	v_lshlrev_b32_e32 v42, 24, v42
	v_bfrev_b32_e32 v56, 60
	v_lshlrev_b32_e32 v55, 20, v55
	v_and_b32_e32 v42, 0x80000000, v42
	v_lshl_add_u32 v34, v34, 23, v56
	v_or3_b32 v56, v42, v34, v55
.LBB557_225:
	s_or_b64 exec, exec, s[10:11]
.LBB557_226:
	s_or_b64 exec, exec, s[8:9]
.LBB557_227:
	s_or_b64 exec, exec, s[2:3]
	v_cmp_ne_u16_sdwa s[8:9], v35, v45 src0_sel:BYTE_0 src1_sel:DWORD
	s_and_saveexec_b64 s[2:3], s[8:9]
	s_cbranch_execz .LBB557_233
; %bb.228:
	s_movk_i32 s8, 0x80
	v_cmp_ne_u16_sdwa s[10:11], v35, s8 src0_sel:BYTE_0 src1_sel:DWORD
	v_bfrev_b32_e32 v45, 1
	s_and_saveexec_b64 s[8:9], s[10:11]
	s_cbranch_execz .LBB557_232
; %bb.229:
	s_movk_i32 s10, 0x7f
	v_and_b32_e32 v34, 0x7f, v35
	v_cmp_ne_u32_e32 vcc, s10, v34
	v_mov_b32_e32 v45, 0x7f800001
	s_and_saveexec_b64 s[10:11], vcc
	s_cbranch_execz .LBB557_231
; %bb.230:
	v_and_b32_e32 v45, 7, v35
	v_ffbh_u32_e32 v57, v45
	v_min_u32_e32 v57, 32, v57
	v_mov_b32_e32 v42, v35
	v_subrev_u32_e32 v58, 28, v57
	v_lshlrev_b64 v[58:59], v58, v[42:43]
	v_lshrrev_b32_e32 v55, 3, v34
	v_sub_u32_e32 v42, 29, v57
	v_and_b32_e32 v57, 7, v58
	v_cmp_gt_u32_e32 vcc, 8, v34
	v_cndmask_b32_e32 v34, v55, v42, vcc
	v_cndmask_b32_e32 v42, v45, v57, vcc
	v_lshlrev_b32_e32 v45, 24, v35
	v_bfrev_b32_e32 v55, 60
	v_lshlrev_b32_e32 v42, 20, v42
	v_and_b32_e32 v45, 0x80000000, v45
	v_lshl_add_u32 v34, v34, 23, v55
	v_or3_b32 v45, v45, v34, v42
.LBB557_231:
	s_or_b64 exec, exec, s[10:11]
.LBB557_232:
	s_or_b64 exec, exec, s[8:9]
.LBB557_233:
	s_or_b64 exec, exec, s[2:3]
	v_lshrrev_b16_e32 v34, 8, v35
	v_cmp_ne_u16_e32 vcc, 0, v34
	v_mov_b32_e32 v42, 0
	v_mov_b32_e32 v57, 0
	s_and_saveexec_b64 s[2:3], vcc
	s_cbranch_execz .LBB557_239
; %bb.234:
	s_movk_i32 s8, 0x80
	v_cmp_ne_u16_e32 vcc, s8, v34
	v_bfrev_b32_e32 v57, 1
	s_and_saveexec_b64 s[8:9], vcc
	s_cbranch_execz .LBB557_238
; %bb.235:
	s_movk_i32 s10, 0x7f
	v_and_b32_e32 v55, 0x7f, v34
	v_cmp_ne_u32_e32 vcc, s10, v55
	v_mov_b32_e32 v57, 0x7f800001
	s_and_saveexec_b64 s[10:11], vcc
	s_cbranch_execz .LBB557_237
; %bb.236:
	v_and_b32_e32 v57, 7, v34
	v_ffbh_u32_e32 v58, v57
	v_min_u32_e32 v61, 32, v58
	v_subrev_u32_e32 v58, 28, v61
	v_lshlrev_b64 v[58:59], v58, v[34:35]
	v_lshrrev_b32_e32 v60, 3, v55
	v_sub_u32_e32 v34, 29, v61
	v_and_b32_e32 v58, 7, v58
	v_cmp_gt_u32_e32 vcc, 8, v55
	v_cndmask_b32_e32 v34, v60, v34, vcc
	v_cndmask_b32_e32 v55, v57, v58, vcc
	v_lshlrev_b32_e32 v57, 16, v35
	v_bfrev_b32_e32 v58, 60
	v_lshlrev_b32_e32 v55, 20, v55
	v_and_b32_e32 v57, 0x80000000, v57
	v_lshl_add_u32 v34, v34, 23, v58
	v_or3_b32 v57, v57, v34, v55
.LBB557_237:
	s_or_b64 exec, exec, s[10:11]
.LBB557_238:
	s_or_b64 exec, exec, s[8:9]
.LBB557_239:
	s_or_b64 exec, exec, s[2:3]
	s_movk_i32 s2, 0xff
	v_and_b32_sdwa v55, v35, s2 dst_sel:DWORD dst_unused:UNUSED_PAD src0_sel:WORD_1 src1_sel:DWORD
	v_lshrrev_b32_e32 v34, 16, v35
	v_cmp_ne_u16_e32 vcc, 0, v55
	s_and_saveexec_b64 s[2:3], vcc
	s_cbranch_execz .LBB557_245
; %bb.240:
	s_movk_i32 s8, 0x80
	v_cmp_ne_u16_e32 vcc, s8, v55
	v_bfrev_b32_e32 v42, 1
	s_and_saveexec_b64 s[8:9], vcc
	s_cbranch_execz .LBB557_244
; %bb.241:
	v_bfe_u32 v55, v35, 16, 7
	s_movk_i32 s10, 0x7f
	v_cmp_ne_u32_e32 vcc, s10, v55
	v_mov_b32_e32 v42, 0x7f800001
	s_and_saveexec_b64 s[10:11], vcc
	s_cbranch_execz .LBB557_243
; %bb.242:
	v_and_b32_e32 v42, 7, v34
	v_ffbh_u32_e32 v58, v42
	v_min_u32_e32 v61, 32, v58
	v_subrev_u32_e32 v58, 28, v61
	v_lshlrev_b64 v[58:59], v58, v[34:35]
	v_lshrrev_b32_e32 v60, 3, v55
	v_sub_u32_e32 v34, 29, v61
	v_and_b32_e32 v58, 7, v58
	v_cmp_gt_u32_e32 vcc, 8, v55
	v_mov_b32_e32 v55, 24
	v_cndmask_b32_e32 v34, v60, v34, vcc
	v_cndmask_b32_e32 v42, v42, v58, vcc
	v_lshlrev_b32_sdwa v55, v55, v35 dst_sel:DWORD dst_unused:UNUSED_PAD src0_sel:DWORD src1_sel:WORD_1
	v_bfrev_b32_e32 v58, 60
	v_lshlrev_b32_e32 v42, 20, v42
	v_and_b32_e32 v55, 0x80000000, v55
	v_lshl_add_u32 v34, v34, 23, v58
	v_or3_b32 v42, v55, v34, v42
.LBB557_243:
	s_or_b64 exec, exec, s[10:11]
.LBB557_244:
	s_or_b64 exec, exec, s[8:9]
.LBB557_245:
	s_or_b64 exec, exec, s[2:3]
	s_mov_b32 s2, 0xffffff
	v_cmp_lt_u32_e32 vcc, s2, v35
	v_mov_b32_e32 v55, 0
	v_mov_b32_e32 v58, 0
	s_and_saveexec_b64 s[2:3], vcc
	s_cbranch_execz .LBB557_251
; %bb.246:
	v_lshrrev_b32_e32 v34, 24, v35
	s_movk_i32 s8, 0x80
	v_cmp_ne_u32_e32 vcc, s8, v34
	v_bfrev_b32_e32 v58, 1
	s_and_saveexec_b64 s[8:9], vcc
	s_cbranch_execz .LBB557_250
; %bb.247:
	v_bfe_u32 v35, v35, 24, 7
	s_movk_i32 s10, 0x7f
	v_cmp_ne_u32_e32 vcc, s10, v35
	v_mov_b32_e32 v58, 0x7f800001
	s_and_saveexec_b64 s[10:11], vcc
	s_cbranch_execz .LBB557_249
; %bb.248:
	v_and_b32_e32 v60, 7, v34
	v_ffbh_u32_e32 v58, v60
	v_min_u32_e32 v62, 32, v58
	v_subrev_u32_e32 v58, 28, v62
	v_lshlrev_b64 v[58:59], v58, v[34:35]
	v_lshrrev_b32_e32 v61, 3, v35
	v_sub_u32_e32 v59, 29, v62
	v_and_b32_e32 v58, 7, v58
	v_cmp_gt_u32_e32 vcc, 8, v35
	v_cndmask_b32_e32 v35, v61, v59, vcc
	v_cndmask_b32_e32 v58, v60, v58, vcc
	v_lshlrev_b32_e32 v34, 24, v34
	v_bfrev_b32_e32 v59, 60
	v_lshlrev_b32_e32 v58, 20, v58
	v_and_b32_e32 v34, 0x80000000, v34
	v_lshl_add_u32 v35, v35, 23, v59
	v_or3_b32 v58, v34, v35, v58
.LBB557_249:
	s_or_b64 exec, exec, s[10:11]
.LBB557_250:
	s_or_b64 exec, exec, s[8:9]
.LBB557_251:
	s_or_b64 exec, exec, s[2:3]
	v_cvt_pkrtz_f16_f32 v34, v54, v44
	v_cvt_pkrtz_f16_f32 v35, v43, v56
	v_cmp_ne_u16_sdwa s[8:9], v36, v55 src0_sel:BYTE_0 src1_sel:DWORD
	s_nop 0
	v_mfma_f32_16x16x16f16 v[60:63], v[34:35], v[26:27], 0
	v_cvt_pkrtz_f16_f32 v34, v45, v57
	v_cvt_pkrtz_f16_f32 v35, v42, v58
	s_nop 1
	v_mfma_f32_16x16x16f16 v[42:45], v[34:35], v[28:29], v[60:63]
	s_and_saveexec_b64 s[2:3], s[8:9]
	s_cbranch_execz .LBB557_257
; %bb.252:
	s_movk_i32 s8, 0x80
	v_cmp_ne_u16_sdwa s[10:11], v36, s8 src0_sel:BYTE_0 src1_sel:DWORD
	v_bfrev_b32_e32 v55, 1
	s_and_saveexec_b64 s[8:9], s[10:11]
	s_cbranch_execz .LBB557_256
; %bb.253:
	s_movk_i32 s10, 0x7f
	v_and_b32_e32 v34, 0x7f, v36
	v_cmp_ne_u32_e32 vcc, s10, v34
	v_mov_b32_e32 v55, 0x7f800001
	s_and_saveexec_b64 s[10:11], vcc
	s_cbranch_execz .LBB557_255
; %bb.254:
	v_and_b32_e32 v35, 7, v36
	v_ffbh_u32_e32 v54, v35
	v_min_u32_e32 v57, 32, v54
	v_subrev_u32_e32 v54, 28, v57
	v_lshlrev_b64 v[54:55], v54, v[36:37]
	v_lshrrev_b32_e32 v56, 3, v34
	v_sub_u32_e32 v55, 29, v57
	v_and_b32_e32 v54, 7, v54
	v_cmp_gt_u32_e32 vcc, 8, v34
	v_cndmask_b32_e32 v34, v56, v55, vcc
	v_cndmask_b32_e32 v35, v35, v54, vcc
	v_lshlrev_b32_e32 v54, 24, v36
	v_bfrev_b32_e32 v55, 60
	v_lshlrev_b32_e32 v35, 20, v35
	v_and_b32_e32 v54, 0x80000000, v54
	v_lshl_add_u32 v34, v34, 23, v55
	v_or3_b32 v55, v54, v34, v35
.LBB557_255:
	s_or_b64 exec, exec, s[10:11]
.LBB557_256:
	s_or_b64 exec, exec, s[8:9]
.LBB557_257:
	s_or_b64 exec, exec, s[2:3]
	v_lshrrev_b16_e32 v34, 8, v36
	v_cmp_ne_u16_e32 vcc, 0, v34
	v_mov_b32_e32 v35, 0
	v_mov_b32_e32 v56, 0
	s_and_saveexec_b64 s[2:3], vcc
	s_cbranch_execz .LBB557_263
; %bb.258:
	s_movk_i32 s8, 0x80
	v_cmp_ne_u16_e32 vcc, s8, v34
	v_bfrev_b32_e32 v56, 1
	s_and_saveexec_b64 s[8:9], vcc
	s_cbranch_execz .LBB557_262
; %bb.259:
	s_movk_i32 s10, 0x7f
	v_and_b32_e32 v54, 0x7f, v34
	v_cmp_ne_u32_e32 vcc, s10, v54
	v_mov_b32_e32 v56, 0x7f800001
	s_and_saveexec_b64 s[10:11], vcc
	s_cbranch_execz .LBB557_261
; %bb.260:
	v_and_b32_e32 v58, 7, v34
	v_ffbh_u32_e32 v56, v58
	v_min_u32_e32 v60, 32, v56
	v_subrev_u32_e32 v56, 28, v60
	v_lshlrev_b64 v[56:57], v56, v[34:35]
	v_lshrrev_b32_e32 v59, 3, v54
	v_sub_u32_e32 v34, 29, v60
	v_and_b32_e32 v56, 7, v56
	v_cmp_gt_u32_e32 vcc, 8, v54
	v_cndmask_b32_e32 v34, v59, v34, vcc
	v_cndmask_b32_e32 v54, v58, v56, vcc
	v_lshlrev_b32_e32 v56, 16, v36
	v_bfrev_b32_e32 v57, 60
	v_lshlrev_b32_e32 v54, 20, v54
	v_and_b32_e32 v56, 0x80000000, v56
	v_lshl_add_u32 v34, v34, 23, v57
	v_or3_b32 v56, v56, v34, v54
.LBB557_261:
	s_or_b64 exec, exec, s[10:11]
.LBB557_262:
	s_or_b64 exec, exec, s[8:9]
.LBB557_263:
	s_or_b64 exec, exec, s[2:3]
	s_movk_i32 s2, 0xff
	v_and_b32_sdwa v54, v36, s2 dst_sel:DWORD dst_unused:UNUSED_PAD src0_sel:WORD_1 src1_sel:DWORD
	v_lshrrev_b32_e32 v34, 16, v36
	v_cmp_ne_u16_e32 vcc, 0, v54
	s_and_saveexec_b64 s[2:3], vcc
	s_cbranch_execz .LBB557_269
; %bb.264:
	s_movk_i32 s8, 0x80
	v_cmp_ne_u16_e32 vcc, s8, v54
	v_bfrev_b32_e32 v35, 1
	s_and_saveexec_b64 s[8:9], vcc
	s_cbranch_execz .LBB557_268
; %bb.265:
	v_bfe_u32 v54, v36, 16, 7
	s_movk_i32 s10, 0x7f
	v_cmp_ne_u32_e32 vcc, s10, v54
	v_mov_b32_e32 v35, 0x7f800001
	s_and_saveexec_b64 s[10:11], vcc
	s_cbranch_execz .LBB557_267
; %bb.266:
	v_and_b32_e32 v57, 7, v34
	v_ffbh_u32_e32 v35, v57
	v_min_u32_e32 v59, 32, v35
	v_subrev_u32_e32 v35, 28, v59
	v_lshlrev_b64 v[34:35], v35, v[34:35]
	v_lshrrev_b32_e32 v58, 3, v54
	v_sub_u32_e32 v35, 29, v59
	v_and_b32_e32 v34, 7, v34
	v_cmp_gt_u32_e32 vcc, 8, v54
	v_mov_b32_e32 v54, 24
	v_cndmask_b32_e32 v35, v58, v35, vcc
	v_cndmask_b32_e32 v34, v57, v34, vcc
	v_lshlrev_b32_sdwa v54, v54, v36 dst_sel:DWORD dst_unused:UNUSED_PAD src0_sel:DWORD src1_sel:WORD_1
	v_bfrev_b32_e32 v57, 60
	v_lshlrev_b32_e32 v34, 20, v34
	v_and_b32_e32 v54, 0x80000000, v54
	v_lshl_add_u32 v35, v35, 23, v57
	v_or3_b32 v35, v54, v35, v34
.LBB557_267:
	s_or_b64 exec, exec, s[10:11]
.LBB557_268:
	s_or_b64 exec, exec, s[8:9]
.LBB557_269:
	s_or_b64 exec, exec, s[2:3]
	s_mov_b32 s2, 0xffffff
	v_cmp_lt_u32_e32 vcc, s2, v36
	v_mov_b32_e32 v57, 0
	v_mov_b32_e32 v58, 0
	s_and_saveexec_b64 s[2:3], vcc
	s_cbranch_execz .LBB557_275
; %bb.270:
	v_lshrrev_b32_e32 v34, 24, v36
	s_movk_i32 s8, 0x80
	v_cmp_ne_u32_e32 vcc, s8, v34
	v_bfrev_b32_e32 v58, 1
	s_and_saveexec_b64 s[8:9], vcc
	s_cbranch_execz .LBB557_274
; %bb.271:
	v_bfe_u32 v36, v36, 24, 7
	s_movk_i32 s10, 0x7f
	v_cmp_ne_u32_e32 vcc, s10, v36
	v_mov_b32_e32 v58, 0x7f800001
	s_and_saveexec_b64 s[10:11], vcc
	s_cbranch_execz .LBB557_273
; %bb.272:
	v_and_b32_e32 v54, 7, v34
	v_ffbh_u32_e32 v58, v54
	v_min_u32_e32 v61, 32, v58
	v_subrev_u32_e32 v58, 28, v61
	v_lshlrev_b64 v[58:59], v58, v[34:35]
	v_lshrrev_b32_e32 v60, 3, v36
	v_sub_u32_e32 v59, 29, v61
	v_and_b32_e32 v58, 7, v58
	v_cmp_gt_u32_e32 vcc, 8, v36
	v_cndmask_b32_e32 v36, v60, v59, vcc
	v_cndmask_b32_e32 v54, v54, v58, vcc
	v_lshlrev_b32_e32 v34, 24, v34
	v_bfrev_b32_e32 v58, 60
	v_lshlrev_b32_e32 v54, 20, v54
	v_and_b32_e32 v34, 0x80000000, v34
	v_lshl_add_u32 v36, v36, 23, v58
	v_or3_b32 v58, v34, v36, v54
.LBB557_273:
	s_or_b64 exec, exec, s[10:11]
.LBB557_274:
	s_or_b64 exec, exec, s[8:9]
.LBB557_275:
	s_or_b64 exec, exec, s[2:3]
	v_cmp_ne_u16_sdwa s[8:9], v37, v57 src0_sel:BYTE_0 src1_sel:DWORD
	s_and_saveexec_b64 s[2:3], s[8:9]
	s_cbranch_execz .LBB557_281
; %bb.276:
	s_movk_i32 s8, 0x80
	v_cmp_ne_u16_sdwa s[10:11], v37, s8 src0_sel:BYTE_0 src1_sel:DWORD
	v_bfrev_b32_e32 v57, 1
	s_and_saveexec_b64 s[8:9], s[10:11]
	s_cbranch_execz .LBB557_280
; %bb.277:
	s_movk_i32 s10, 0x7f
	v_and_b32_e32 v34, 0x7f, v37
	v_cmp_ne_u32_e32 vcc, s10, v34
	v_mov_b32_e32 v57, 0x7f800001
	s_and_saveexec_b64 s[10:11], vcc
	s_cbranch_execz .LBB557_279
; %bb.278:
	v_and_b32_e32 v54, 7, v37
	v_ffbh_u32_e32 v59, v54
	v_min_u32_e32 v59, 32, v59
	v_mov_b32_e32 v36, v37
	v_subrev_u32_e32 v60, 28, v59
	v_lshlrev_b64 v[60:61], v60, v[36:37]
	v_lshrrev_b32_e32 v57, 3, v34
	v_sub_u32_e32 v36, 29, v59
	v_and_b32_e32 v59, 7, v60
	v_cmp_gt_u32_e32 vcc, 8, v34
	v_cndmask_b32_e32 v34, v57, v36, vcc
	v_cndmask_b32_e32 v36, v54, v59, vcc
	v_lshlrev_b32_e32 v54, 24, v37
	v_bfrev_b32_e32 v57, 60
	v_lshlrev_b32_e32 v36, 20, v36
	v_and_b32_e32 v54, 0x80000000, v54
	v_lshl_add_u32 v34, v34, 23, v57
	v_or3_b32 v57, v54, v34, v36
.LBB557_279:
	s_or_b64 exec, exec, s[10:11]
.LBB557_280:
	s_or_b64 exec, exec, s[8:9]
.LBB557_281:
	s_or_b64 exec, exec, s[2:3]
	v_lshrrev_b16_e32 v34, 8, v37
	v_cmp_ne_u16_e32 vcc, 0, v34
	v_mov_b32_e32 v36, 0
	v_mov_b32_e32 v59, 0
	s_and_saveexec_b64 s[2:3], vcc
	s_cbranch_execz .LBB557_287
; %bb.282:
	s_movk_i32 s8, 0x80
	v_cmp_ne_u16_e32 vcc, s8, v34
	v_bfrev_b32_e32 v59, 1
	s_and_saveexec_b64 s[8:9], vcc
	s_cbranch_execz .LBB557_286
; %bb.283:
	s_movk_i32 s10, 0x7f
	v_and_b32_e32 v54, 0x7f, v34
	v_cmp_ne_u32_e32 vcc, s10, v54
	v_mov_b32_e32 v59, 0x7f800001
	s_and_saveexec_b64 s[10:11], vcc
	s_cbranch_execz .LBB557_285
; %bb.284:
	v_and_b32_e32 v59, 7, v34
	v_ffbh_u32_e32 v60, v59
	v_min_u32_e32 v63, 32, v60
	v_subrev_u32_e32 v60, 28, v63
	v_lshlrev_b64 v[60:61], v60, v[34:35]
	v_lshrrev_b32_e32 v62, 3, v54
	v_sub_u32_e32 v34, 29, v63
	v_and_b32_e32 v60, 7, v60
	v_cmp_gt_u32_e32 vcc, 8, v54
	v_cndmask_b32_e32 v34, v62, v34, vcc
	v_cndmask_b32_e32 v54, v59, v60, vcc
	v_lshlrev_b32_e32 v59, 16, v37
	v_bfrev_b32_e32 v60, 60
	v_lshlrev_b32_e32 v54, 20, v54
	v_and_b32_e32 v59, 0x80000000, v59
	v_lshl_add_u32 v34, v34, 23, v60
	v_or3_b32 v59, v59, v34, v54
.LBB557_285:
	s_or_b64 exec, exec, s[10:11]
.LBB557_286:
	s_or_b64 exec, exec, s[8:9]
.LBB557_287:
	s_or_b64 exec, exec, s[2:3]
	s_movk_i32 s2, 0xff
	v_and_b32_sdwa v54, v37, s2 dst_sel:DWORD dst_unused:UNUSED_PAD src0_sel:WORD_1 src1_sel:DWORD
	v_lshrrev_b32_e32 v34, 16, v37
	v_cmp_ne_u16_e32 vcc, 0, v54
	s_and_saveexec_b64 s[2:3], vcc
	s_cbranch_execz .LBB557_293
; %bb.288:
	s_movk_i32 s8, 0x80
	v_cmp_ne_u16_e32 vcc, s8, v54
	v_bfrev_b32_e32 v36, 1
	s_and_saveexec_b64 s[8:9], vcc
	s_cbranch_execz .LBB557_292
; %bb.289:
	v_bfe_u32 v54, v37, 16, 7
	s_movk_i32 s10, 0x7f
	v_cmp_ne_u32_e32 vcc, s10, v54
	v_mov_b32_e32 v36, 0x7f800001
	s_and_saveexec_b64 s[10:11], vcc
	s_cbranch_execz .LBB557_291
; %bb.290:
	v_and_b32_e32 v36, 7, v34
	v_ffbh_u32_e32 v60, v36
	v_min_u32_e32 v63, 32, v60
	v_subrev_u32_e32 v60, 28, v63
	v_lshlrev_b64 v[60:61], v60, v[34:35]
	v_lshrrev_b32_e32 v62, 3, v54
	v_sub_u32_e32 v34, 29, v63
	v_and_b32_e32 v60, 7, v60
	v_cmp_gt_u32_e32 vcc, 8, v54
	v_mov_b32_e32 v54, 24
	v_cndmask_b32_e32 v34, v62, v34, vcc
	v_cndmask_b32_e32 v36, v36, v60, vcc
	v_lshlrev_b32_sdwa v54, v54, v37 dst_sel:DWORD dst_unused:UNUSED_PAD src0_sel:DWORD src1_sel:WORD_1
	v_bfrev_b32_e32 v60, 60
	v_lshlrev_b32_e32 v36, 20, v36
	v_and_b32_e32 v54, 0x80000000, v54
	v_lshl_add_u32 v34, v34, 23, v60
	v_or3_b32 v36, v54, v34, v36
.LBB557_291:
	s_or_b64 exec, exec, s[10:11]
.LBB557_292:
	s_or_b64 exec, exec, s[8:9]
.LBB557_293:
	s_or_b64 exec, exec, s[2:3]
	s_mov_b32 s2, 0xffffff
	v_cmp_lt_u32_e32 vcc, s2, v37
	v_mov_b32_e32 v54, 0
	v_mov_b32_e32 v60, 0
	s_and_saveexec_b64 s[2:3], vcc
	s_cbranch_execz .LBB557_299
; %bb.294:
	v_lshrrev_b32_e32 v34, 24, v37
	s_movk_i32 s8, 0x80
	v_cmp_ne_u32_e32 vcc, s8, v34
	v_bfrev_b32_e32 v60, 1
	s_and_saveexec_b64 s[8:9], vcc
	s_cbranch_execz .LBB557_298
; %bb.295:
	v_bfe_u32 v37, v37, 24, 7
	s_movk_i32 s10, 0x7f
	v_cmp_ne_u32_e32 vcc, s10, v37
	v_mov_b32_e32 v60, 0x7f800001
	s_and_saveexec_b64 s[10:11], vcc
	s_cbranch_execz .LBB557_297
; %bb.296:
	v_and_b32_e32 v62, 7, v34
	v_ffbh_u32_e32 v60, v62
	v_min_u32_e32 v64, 32, v60
	v_subrev_u32_e32 v60, 28, v64
	v_lshlrev_b64 v[60:61], v60, v[34:35]
	v_lshrrev_b32_e32 v63, 3, v37
	v_sub_u32_e32 v61, 29, v64
	v_and_b32_e32 v60, 7, v60
	v_cmp_gt_u32_e32 vcc, 8, v37
	v_cndmask_b32_e32 v37, v63, v61, vcc
	v_cndmask_b32_e32 v60, v62, v60, vcc
	v_lshlrev_b32_e32 v34, 24, v34
	v_bfrev_b32_e32 v61, 60
	v_lshlrev_b32_e32 v60, 20, v60
	v_and_b32_e32 v34, 0x80000000, v34
	v_lshl_add_u32 v37, v37, 23, v61
	v_or3_b32 v60, v34, v37, v60
.LBB557_297:
	s_or_b64 exec, exec, s[10:11]
.LBB557_298:
	s_or_b64 exec, exec, s[8:9]
.LBB557_299:
	s_or_b64 exec, exec, s[2:3]
	v_cvt_pkrtz_f16_f32 v34, v55, v56
	v_cvt_pkrtz_f16_f32 v35, v35, v58
	s_waitcnt vmcnt(5)
	v_cmp_ne_u16_sdwa s[8:9], v22, v54 src0_sel:BYTE_0 src1_sel:DWORD
	v_mfma_f32_16x16x16f16 v[42:45], v[34:35], v[18:19], v[42:45]
	v_cvt_pkrtz_f16_f32 v34, v57, v59
	v_cvt_pkrtz_f16_f32 v35, v36, v60
	s_nop 1
	v_mfma_f32_16x16x16f16 v[34:37], v[34:35], v[20:21], v[42:45]
	s_and_saveexec_b64 s[2:3], s[8:9]
	s_cbranch_execz .LBB557_305
; %bb.300:
	s_movk_i32 s8, 0x80
	v_cmp_ne_u16_sdwa s[10:11], v22, s8 src0_sel:BYTE_0 src1_sel:DWORD
	v_bfrev_b32_e32 v54, 1
	s_and_saveexec_b64 s[8:9], s[10:11]
	s_cbranch_execz .LBB557_304
; %bb.301:
	s_movk_i32 s10, 0x7f
	v_and_b32_e32 v42, 0x7f, v22
	v_cmp_ne_u32_e32 vcc, s10, v42
	v_mov_b32_e32 v54, 0x7f800001
	s_and_saveexec_b64 s[10:11], vcc
	s_cbranch_execz .LBB557_303
; %bb.302:
	v_and_b32_e32 v43, 7, v22
	v_ffbh_u32_e32 v44, v43
	v_min_u32_e32 v55, 32, v44
	v_subrev_u32_e32 v44, 28, v55
	v_lshlrev_b64 v[44:45], v44, v[22:23]
	v_lshrrev_b32_e32 v54, 3, v42
	v_sub_u32_e32 v45, 29, v55
	v_and_b32_e32 v44, 7, v44
	v_cmp_gt_u32_e32 vcc, 8, v42
	v_cndmask_b32_e32 v42, v54, v45, vcc
	v_cndmask_b32_e32 v43, v43, v44, vcc
	v_lshlrev_b32_e32 v44, 24, v22
	v_bfrev_b32_e32 v45, 60
	v_lshlrev_b32_e32 v43, 20, v43
	v_and_b32_e32 v44, 0x80000000, v44
	v_lshl_add_u32 v42, v42, 23, v45
	v_or3_b32 v54, v44, v42, v43
.LBB557_303:
	s_or_b64 exec, exec, s[10:11]
.LBB557_304:
	s_or_b64 exec, exec, s[8:9]
.LBB557_305:
	s_or_b64 exec, exec, s[2:3]
	s_nop 3
	v_lshrrev_b16_e32 v42, 8, v22
	v_cmp_ne_u16_e32 vcc, 0, v42
	v_mov_b32_e32 v43, 0
	v_mov_b32_e32 v44, 0
	s_and_saveexec_b64 s[2:3], vcc
	s_cbranch_execz .LBB557_311
; %bb.306:
	s_movk_i32 s8, 0x80
	v_cmp_ne_u16_e32 vcc, s8, v42
	v_bfrev_b32_e32 v44, 1
	s_and_saveexec_b64 s[8:9], vcc
	s_cbranch_execz .LBB557_310
; %bb.307:
	s_movk_i32 s10, 0x7f
	v_and_b32_e32 v45, 0x7f, v42
	v_cmp_ne_u32_e32 vcc, s10, v45
	v_mov_b32_e32 v44, 0x7f800001
	s_and_saveexec_b64 s[10:11], vcc
	s_cbranch_execz .LBB557_309
; %bb.308:
	v_and_b32_e32 v44, 7, v42
	v_ffbh_u32_e32 v56, v44
	v_min_u32_e32 v58, 32, v56
	v_subrev_u32_e32 v56, 28, v58
	v_lshlrev_b64 v[56:57], v56, v[42:43]
	v_lshrrev_b32_e32 v55, 3, v45
	v_sub_u32_e32 v42, 29, v58
	v_and_b32_e32 v56, 7, v56
	v_cmp_gt_u32_e32 vcc, 8, v45
	v_cndmask_b32_e32 v42, v55, v42, vcc
	v_cndmask_b32_e32 v44, v44, v56, vcc
	v_lshlrev_b32_e32 v45, 16, v22
	v_bfrev_b32_e32 v55, 60
	v_lshlrev_b32_e32 v44, 20, v44
	v_and_b32_e32 v45, 0x80000000, v45
	v_lshl_add_u32 v42, v42, 23, v55
	v_or3_b32 v44, v45, v42, v44
.LBB557_309:
	s_or_b64 exec, exec, s[10:11]
.LBB557_310:
	s_or_b64 exec, exec, s[8:9]
.LBB557_311:
	s_or_b64 exec, exec, s[2:3]
	s_movk_i32 s2, 0xff
	v_and_b32_sdwa v45, v22, s2 dst_sel:DWORD dst_unused:UNUSED_PAD src0_sel:WORD_1 src1_sel:DWORD
	v_lshrrev_b32_e32 v42, 16, v22
	v_cmp_ne_u16_e32 vcc, 0, v45
	s_and_saveexec_b64 s[2:3], vcc
	s_cbranch_execz .LBB557_317
; %bb.312:
	s_movk_i32 s8, 0x80
	v_cmp_ne_u16_e32 vcc, s8, v45
	v_bfrev_b32_e32 v43, 1
	s_and_saveexec_b64 s[8:9], vcc
	s_cbranch_execz .LBB557_316
; %bb.313:
	v_bfe_u32 v45, v22, 16, 7
	s_movk_i32 s10, 0x7f
	v_cmp_ne_u32_e32 vcc, s10, v45
	v_mov_b32_e32 v43, 0x7f800001
	s_and_saveexec_b64 s[10:11], vcc
	s_cbranch_execz .LBB557_315
; %bb.314:
	v_and_b32_e32 v55, 7, v42
	v_ffbh_u32_e32 v43, v55
	v_min_u32_e32 v57, 32, v43
	v_subrev_u32_e32 v43, 28, v57
	v_lshlrev_b64 v[42:43], v43, v[42:43]
	v_lshrrev_b32_e32 v56, 3, v45
	v_sub_u32_e32 v43, 29, v57
	v_and_b32_e32 v42, 7, v42
	v_cmp_gt_u32_e32 vcc, 8, v45
	v_mov_b32_e32 v45, 24
	v_cndmask_b32_e32 v43, v56, v43, vcc
	v_cndmask_b32_e32 v42, v55, v42, vcc
	v_lshlrev_b32_sdwa v45, v45, v22 dst_sel:DWORD dst_unused:UNUSED_PAD src0_sel:DWORD src1_sel:WORD_1
	v_bfrev_b32_e32 v55, 60
	v_lshlrev_b32_e32 v42, 20, v42
	v_and_b32_e32 v45, 0x80000000, v45
	v_lshl_add_u32 v43, v43, 23, v55
	v_or3_b32 v43, v45, v43, v42
.LBB557_315:
	s_or_b64 exec, exec, s[10:11]
.LBB557_316:
	s_or_b64 exec, exec, s[8:9]
.LBB557_317:
	s_or_b64 exec, exec, s[2:3]
	s_mov_b32 s2, 0xffffff
	v_cmp_lt_u32_e32 vcc, s2, v22
	v_mov_b32_e32 v45, 0
	v_mov_b32_e32 v55, 0
	s_and_saveexec_b64 s[2:3], vcc
	s_cbranch_execz .LBB557_323
; %bb.318:
	v_lshrrev_b32_e32 v42, 24, v22
	s_movk_i32 s8, 0x80
	v_cmp_ne_u32_e32 vcc, s8, v42
	v_bfrev_b32_e32 v55, 1
	s_and_saveexec_b64 s[8:9], vcc
	s_cbranch_execz .LBB557_322
; %bb.319:
	v_bfe_u32 v22, v22, 24, 7
	s_movk_i32 s10, 0x7f
	v_cmp_ne_u32_e32 vcc, s10, v22
	v_mov_b32_e32 v55, 0x7f800001
	s_and_saveexec_b64 s[10:11], vcc
	s_cbranch_execz .LBB557_321
; %bb.320:
	v_and_b32_e32 v55, 7, v42
	v_ffbh_u32_e32 v56, v55
	v_min_u32_e32 v59, 32, v56
	v_subrev_u32_e32 v56, 28, v59
	v_lshlrev_b64 v[56:57], v56, v[42:43]
	v_lshrrev_b32_e32 v58, 3, v22
	v_sub_u32_e32 v57, 29, v59
	v_and_b32_e32 v56, 7, v56
	v_cmp_gt_u32_e32 vcc, 8, v22
	v_cndmask_b32_e32 v22, v58, v57, vcc
	v_cndmask_b32_e32 v55, v55, v56, vcc
	v_lshlrev_b32_e32 v42, 24, v42
	v_bfrev_b32_e32 v56, 60
	v_lshlrev_b32_e32 v55, 20, v55
	v_and_b32_e32 v42, 0x80000000, v42
	v_lshl_add_u32 v22, v22, 23, v56
	v_or3_b32 v55, v42, v22, v55
.LBB557_321:
	s_or_b64 exec, exec, s[10:11]
.LBB557_322:
	s_or_b64 exec, exec, s[8:9]
.LBB557_323:
	s_or_b64 exec, exec, s[2:3]
	v_cmp_ne_u16_sdwa s[8:9], v23, v45 src0_sel:BYTE_0 src1_sel:DWORD
	s_and_saveexec_b64 s[2:3], s[8:9]
	s_cbranch_execz .LBB557_329
; %bb.324:
	s_movk_i32 s8, 0x80
	v_cmp_ne_u16_sdwa s[10:11], v23, s8 src0_sel:BYTE_0 src1_sel:DWORD
	v_bfrev_b32_e32 v45, 1
	s_and_saveexec_b64 s[8:9], s[10:11]
	s_cbranch_execz .LBB557_328
; %bb.325:
	s_movk_i32 s10, 0x7f
	v_and_b32_e32 v22, 0x7f, v23
	v_cmp_ne_u32_e32 vcc, s10, v22
	v_mov_b32_e32 v45, 0x7f800001
	s_and_saveexec_b64 s[10:11], vcc
	s_cbranch_execz .LBB557_327
; %bb.326:
	v_and_b32_e32 v45, 7, v23
	v_ffbh_u32_e32 v56, v45
	v_min_u32_e32 v59, 32, v56
	v_mov_b32_e32 v42, v23
	v_subrev_u32_e32 v56, 28, v59
	v_lshlrev_b64 v[56:57], v56, v[42:43]
	v_lshrrev_b32_e32 v58, 3, v22
	v_sub_u32_e32 v42, 29, v59
	v_and_b32_e32 v56, 7, v56
	v_cmp_gt_u32_e32 vcc, 8, v22
	v_cndmask_b32_e32 v22, v58, v42, vcc
	v_cndmask_b32_e32 v42, v45, v56, vcc
	v_lshlrev_b32_e32 v45, 24, v23
	v_bfrev_b32_e32 v56, 60
	v_lshlrev_b32_e32 v42, 20, v42
	v_and_b32_e32 v45, 0x80000000, v45
	v_lshl_add_u32 v22, v22, 23, v56
	v_or3_b32 v45, v45, v22, v42
.LBB557_327:
	s_or_b64 exec, exec, s[10:11]
.LBB557_328:
	s_or_b64 exec, exec, s[8:9]
.LBB557_329:
	s_or_b64 exec, exec, s[2:3]
	v_lshrrev_b16_e32 v22, 8, v23
	v_cmp_ne_u16_e32 vcc, 0, v22
	v_mov_b32_e32 v56, 0
	v_mov_b32_e32 v57, 0
	s_and_saveexec_b64 s[2:3], vcc
	s_cbranch_execz .LBB557_335
; %bb.330:
	s_movk_i32 s8, 0x80
	v_cmp_ne_u16_e32 vcc, s8, v22
	v_bfrev_b32_e32 v57, 1
	s_and_saveexec_b64 s[8:9], vcc
	s_cbranch_execz .LBB557_334
; %bb.331:
	s_movk_i32 s10, 0x7f
	v_and_b32_e32 v42, 0x7f, v22
	v_cmp_ne_u32_e32 vcc, s10, v42
	v_mov_b32_e32 v57, 0x7f800001
	s_and_saveexec_b64 s[10:11], vcc
	s_cbranch_execz .LBB557_333
; %bb.332:
	v_and_b32_e32 v57, 7, v22
	v_ffbh_u32_e32 v58, v57
	v_min_u32_e32 v61, 32, v58
	v_subrev_u32_e32 v58, 28, v61
	v_lshlrev_b64 v[58:59], v58, v[22:23]
	v_lshrrev_b32_e32 v60, 3, v42
	v_sub_u32_e32 v22, 29, v61
	v_and_b32_e32 v58, 7, v58
	v_cmp_gt_u32_e32 vcc, 8, v42
	v_cndmask_b32_e32 v22, v60, v22, vcc
	v_cndmask_b32_e32 v42, v57, v58, vcc
	v_lshlrev_b32_e32 v57, 16, v23
	v_bfrev_b32_e32 v58, 60
	v_lshlrev_b32_e32 v42, 20, v42
	v_and_b32_e32 v57, 0x80000000, v57
	v_lshl_add_u32 v22, v22, 23, v58
	v_or3_b32 v57, v57, v22, v42
.LBB557_333:
	s_or_b64 exec, exec, s[10:11]
.LBB557_334:
	s_or_b64 exec, exec, s[8:9]
.LBB557_335:
	s_or_b64 exec, exec, s[2:3]
	s_movk_i32 s2, 0xff
	v_and_b32_sdwa v42, v23, s2 dst_sel:DWORD dst_unused:UNUSED_PAD src0_sel:WORD_1 src1_sel:DWORD
	v_lshrrev_b32_e32 v22, 16, v23
	v_cmp_ne_u16_e32 vcc, 0, v42
	s_and_saveexec_b64 s[2:3], vcc
	s_cbranch_execz .LBB557_341
; %bb.336:
	s_movk_i32 s8, 0x80
	v_cmp_ne_u16_e32 vcc, s8, v42
	v_bfrev_b32_e32 v56, 1
	s_and_saveexec_b64 s[8:9], vcc
	s_cbranch_execz .LBB557_340
; %bb.337:
	v_bfe_u32 v42, v23, 16, 7
	s_movk_i32 s10, 0x7f
	v_cmp_ne_u32_e32 vcc, s10, v42
	v_mov_b32_e32 v56, 0x7f800001
	s_and_saveexec_b64 s[10:11], vcc
	s_cbranch_execz .LBB557_339
; %bb.338:
	v_and_b32_e32 v56, 7, v22
	v_ffbh_u32_e32 v58, v56
	v_min_u32_e32 v61, 32, v58
	v_subrev_u32_e32 v58, 28, v61
	v_lshlrev_b64 v[58:59], v58, v[22:23]
	v_and_b32_e32 v58, 7, v58
	v_cmp_gt_u32_e32 vcc, 8, v42
	v_lshrrev_b32_e32 v60, 3, v42
	v_sub_u32_e32 v22, 29, v61
	v_cndmask_b32_e32 v42, v56, v58, vcc
	v_mov_b32_e32 v56, 24
	v_cndmask_b32_e32 v22, v60, v22, vcc
	v_lshlrev_b32_sdwa v56, v56, v23 dst_sel:DWORD dst_unused:UNUSED_PAD src0_sel:DWORD src1_sel:WORD_1
	v_bfrev_b32_e32 v58, 60
	v_lshlrev_b32_e32 v42, 20, v42
	v_and_b32_e32 v56, 0x80000000, v56
	v_lshl_add_u32 v22, v22, 23, v58
	v_or3_b32 v56, v56, v22, v42
.LBB557_339:
	s_or_b64 exec, exec, s[10:11]
.LBB557_340:
	s_or_b64 exec, exec, s[8:9]
.LBB557_341:
	s_or_b64 exec, exec, s[2:3]
	s_mov_b32 s2, 0xffffff
	v_cmp_lt_u32_e32 vcc, s2, v23
	v_mov_b32_e32 v42, 0
	v_mov_b32_e32 v58, 0
	s_and_saveexec_b64 s[2:3], vcc
	s_cbranch_execz .LBB557_347
; %bb.342:
	v_lshrrev_b32_e32 v22, 24, v23
	s_movk_i32 s8, 0x80
	v_cmp_ne_u32_e32 vcc, s8, v22
	v_bfrev_b32_e32 v58, 1
	s_and_saveexec_b64 s[8:9], vcc
	s_cbranch_execz .LBB557_346
; %bb.343:
	v_bfe_u32 v23, v23, 24, 7
	s_movk_i32 s10, 0x7f
	v_cmp_ne_u32_e32 vcc, s10, v23
	v_mov_b32_e32 v58, 0x7f800001
	s_and_saveexec_b64 s[10:11], vcc
	s_cbranch_execz .LBB557_345
; %bb.344:
	v_and_b32_e32 v60, 7, v22
	v_ffbh_u32_e32 v58, v60
	v_min_u32_e32 v62, 32, v58
	v_subrev_u32_e32 v58, 28, v62
	v_lshlrev_b64 v[58:59], v58, v[22:23]
	v_lshrrev_b32_e32 v61, 3, v23
	v_sub_u32_e32 v59, 29, v62
	v_and_b32_e32 v58, 7, v58
	v_cmp_gt_u32_e32 vcc, 8, v23
	v_cndmask_b32_e32 v23, v61, v59, vcc
	v_cndmask_b32_e32 v58, v60, v58, vcc
	v_lshlrev_b32_e32 v22, 24, v22
	v_bfrev_b32_e32 v59, 60
	v_lshlrev_b32_e32 v58, 20, v58
	v_and_b32_e32 v22, 0x80000000, v22
	v_lshl_add_u32 v23, v23, 23, v59
	v_or3_b32 v58, v22, v23, v58
.LBB557_345:
	s_or_b64 exec, exec, s[10:11]
.LBB557_346:
	s_or_b64 exec, exec, s[8:9]
.LBB557_347:
	s_or_b64 exec, exec, s[2:3]
	v_cvt_pkrtz_f16_f32 v22, v54, v44
	v_cvt_pkrtz_f16_f32 v23, v43, v55
	v_cmp_ne_u16_sdwa s[8:9], v24, v42 src0_sel:BYTE_0 src1_sel:DWORD
	s_nop 0
	v_mfma_f32_16x16x16f16 v[60:63], v[22:23], v[26:27], 0
	v_cvt_pkrtz_f16_f32 v22, v45, v57
	v_cvt_pkrtz_f16_f32 v23, v56, v58
	s_nop 1
	v_mfma_f32_16x16x16f16 v[26:29], v[22:23], v[28:29], v[60:63]
	s_and_saveexec_b64 s[2:3], s[8:9]
	s_cbranch_execz .LBB557_353
; %bb.348:
	s_movk_i32 s8, 0x80
	v_cmp_ne_u16_sdwa s[10:11], v24, s8 src0_sel:BYTE_0 src1_sel:DWORD
	v_bfrev_b32_e32 v42, 1
	s_and_saveexec_b64 s[8:9], s[10:11]
	s_cbranch_execz .LBB557_352
; %bb.349:
	s_movk_i32 s10, 0x7f
	v_and_b32_e32 v22, 0x7f, v24
	v_cmp_ne_u32_e32 vcc, s10, v22
	v_mov_b32_e32 v42, 0x7f800001
	s_and_saveexec_b64 s[10:11], vcc
	s_cbranch_execz .LBB557_351
; %bb.350:
	v_and_b32_e32 v23, 7, v24
	v_ffbh_u32_e32 v42, v23
	v_min_u32_e32 v45, 32, v42
	v_subrev_u32_e32 v42, 28, v45
	v_lshlrev_b64 v[42:43], v42, v[24:25]
	v_lshrrev_b32_e32 v44, 3, v22
	v_sub_u32_e32 v43, 29, v45
	v_and_b32_e32 v42, 7, v42
	v_cmp_gt_u32_e32 vcc, 8, v22
	v_cndmask_b32_e32 v22, v44, v43, vcc
	v_cndmask_b32_e32 v23, v23, v42, vcc
	v_lshlrev_b32_e32 v42, 24, v24
	v_bfrev_b32_e32 v43, 60
	v_lshlrev_b32_e32 v23, 20, v23
	v_and_b32_e32 v42, 0x80000000, v42
	v_lshl_add_u32 v22, v22, 23, v43
	v_or3_b32 v42, v42, v22, v23
.LBB557_351:
	s_or_b64 exec, exec, s[10:11]
.LBB557_352:
	s_or_b64 exec, exec, s[8:9]
.LBB557_353:
	s_or_b64 exec, exec, s[2:3]
	v_lshrrev_b16_e32 v22, 8, v24
	v_cmp_ne_u16_e32 vcc, 0, v22
	v_mov_b32_e32 v23, 0
	v_mov_b32_e32 v43, 0
	s_and_saveexec_b64 s[2:3], vcc
	s_cbranch_execz .LBB557_359
; %bb.354:
	s_movk_i32 s8, 0x80
	v_cmp_ne_u16_e32 vcc, s8, v22
	v_bfrev_b32_e32 v43, 1
	s_and_saveexec_b64 s[8:9], vcc
	s_cbranch_execz .LBB557_358
; %bb.355:
	s_movk_i32 s10, 0x7f
	v_and_b32_e32 v44, 0x7f, v22
	v_cmp_ne_u32_e32 vcc, s10, v44
	v_mov_b32_e32 v43, 0x7f800001
	s_and_saveexec_b64 s[10:11], vcc
	s_cbranch_execz .LBB557_357
; %bb.356:
	v_and_b32_e32 v43, 7, v22
	v_ffbh_u32_e32 v54, v43
	v_min_u32_e32 v56, 32, v54
	v_subrev_u32_e32 v54, 28, v56
	v_lshlrev_b64 v[54:55], v54, v[22:23]
	v_lshrrev_b32_e32 v45, 3, v44
	v_sub_u32_e32 v22, 29, v56
	v_and_b32_e32 v54, 7, v54
	v_cmp_gt_u32_e32 vcc, 8, v44
	v_cndmask_b32_e32 v22, v45, v22, vcc
	v_cndmask_b32_e32 v43, v43, v54, vcc
	v_lshlrev_b32_e32 v44, 16, v24
	v_bfrev_b32_e32 v45, 60
	v_lshlrev_b32_e32 v43, 20, v43
	v_and_b32_e32 v44, 0x80000000, v44
	v_lshl_add_u32 v22, v22, 23, v45
	v_or3_b32 v43, v44, v22, v43
.LBB557_357:
	s_or_b64 exec, exec, s[10:11]
.LBB557_358:
	s_or_b64 exec, exec, s[8:9]
.LBB557_359:
	s_or_b64 exec, exec, s[2:3]
	s_movk_i32 s2, 0xff
	v_and_b32_sdwa v44, v24, s2 dst_sel:DWORD dst_unused:UNUSED_PAD src0_sel:WORD_1 src1_sel:DWORD
	v_lshrrev_b32_e32 v22, 16, v24
	v_cmp_ne_u16_e32 vcc, 0, v44
	s_and_saveexec_b64 s[2:3], vcc
	s_cbranch_execz .LBB557_365
; %bb.360:
	s_movk_i32 s8, 0x80
	v_cmp_ne_u16_e32 vcc, s8, v44
	v_bfrev_b32_e32 v23, 1
	s_and_saveexec_b64 s[8:9], vcc
	s_cbranch_execz .LBB557_364
; %bb.361:
	v_bfe_u32 v44, v24, 16, 7
	s_movk_i32 s10, 0x7f
	v_cmp_ne_u32_e32 vcc, s10, v44
	v_mov_b32_e32 v23, 0x7f800001
	s_and_saveexec_b64 s[10:11], vcc
	s_cbranch_execz .LBB557_363
; %bb.362:
	v_and_b32_e32 v45, 7, v22
	v_ffbh_u32_e32 v23, v45
	v_min_u32_e32 v55, 32, v23
	v_subrev_u32_e32 v23, 28, v55
	v_lshlrev_b64 v[22:23], v23, v[22:23]
	v_lshrrev_b32_e32 v54, 3, v44
	v_sub_u32_e32 v23, 29, v55
	v_and_b32_e32 v22, 7, v22
	v_cmp_gt_u32_e32 vcc, 8, v44
	v_mov_b32_e32 v44, 24
	v_cndmask_b32_e32 v23, v54, v23, vcc
	v_cndmask_b32_e32 v22, v45, v22, vcc
	v_lshlrev_b32_sdwa v44, v44, v24 dst_sel:DWORD dst_unused:UNUSED_PAD src0_sel:DWORD src1_sel:WORD_1
	v_bfrev_b32_e32 v45, 60
	v_lshlrev_b32_e32 v22, 20, v22
	v_and_b32_e32 v44, 0x80000000, v44
	v_lshl_add_u32 v23, v23, 23, v45
	v_or3_b32 v23, v44, v23, v22
.LBB557_363:
	s_or_b64 exec, exec, s[10:11]
.LBB557_364:
	s_or_b64 exec, exec, s[8:9]
.LBB557_365:
	s_or_b64 exec, exec, s[2:3]
	s_mov_b32 s2, 0xffffff
	v_cmp_lt_u32_e32 vcc, s2, v24
	v_mov_b32_e32 v45, 0
	v_mov_b32_e32 v54, 0
	s_and_saveexec_b64 s[2:3], vcc
	s_cbranch_execz .LBB557_371
; %bb.366:
	v_lshrrev_b32_e32 v22, 24, v24
	s_movk_i32 s8, 0x80
	v_cmp_ne_u32_e32 vcc, s8, v22
	v_bfrev_b32_e32 v54, 1
	s_and_saveexec_b64 s[8:9], vcc
	s_cbranch_execz .LBB557_370
; %bb.367:
	v_bfe_u32 v24, v24, 24, 7
	s_movk_i32 s10, 0x7f
	v_cmp_ne_u32_e32 vcc, s10, v24
	v_mov_b32_e32 v54, 0x7f800001
	s_and_saveexec_b64 s[10:11], vcc
	s_cbranch_execz .LBB557_369
; %bb.368:
	v_and_b32_e32 v44, 7, v22
	v_ffbh_u32_e32 v54, v44
	v_min_u32_e32 v57, 32, v54
	v_subrev_u32_e32 v54, 28, v57
	v_lshlrev_b64 v[54:55], v54, v[22:23]
	v_lshrrev_b32_e32 v56, 3, v24
	v_sub_u32_e32 v55, 29, v57
	v_and_b32_e32 v54, 7, v54
	v_cmp_gt_u32_e32 vcc, 8, v24
	v_cndmask_b32_e32 v24, v56, v55, vcc
	v_cndmask_b32_e32 v44, v44, v54, vcc
	v_lshlrev_b32_e32 v22, 24, v22
	v_bfrev_b32_e32 v54, 60
	v_lshlrev_b32_e32 v44, 20, v44
	v_and_b32_e32 v22, 0x80000000, v22
	v_lshl_add_u32 v24, v24, 23, v54
	v_or3_b32 v54, v22, v24, v44
.LBB557_369:
	s_or_b64 exec, exec, s[10:11]
.LBB557_370:
	s_or_b64 exec, exec, s[8:9]
.LBB557_371:
	s_or_b64 exec, exec, s[2:3]
	v_cmp_ne_u16_sdwa s[8:9], v25, v45 src0_sel:BYTE_0 src1_sel:DWORD
	s_and_saveexec_b64 s[2:3], s[8:9]
	s_cbranch_execz .LBB557_377
; %bb.372:
	s_movk_i32 s8, 0x80
	v_cmp_ne_u16_sdwa s[10:11], v25, s8 src0_sel:BYTE_0 src1_sel:DWORD
	v_bfrev_b32_e32 v45, 1
	s_and_saveexec_b64 s[8:9], s[10:11]
	s_cbranch_execz .LBB557_376
; %bb.373:
	s_movk_i32 s10, 0x7f
	v_and_b32_e32 v22, 0x7f, v25
	v_cmp_ne_u32_e32 vcc, s10, v22
	v_mov_b32_e32 v45, 0x7f800001
	s_and_saveexec_b64 s[10:11], vcc
	s_cbranch_execz .LBB557_375
; %bb.374:
	v_and_b32_e32 v55, 7, v25
	v_ffbh_u32_e32 v44, v55
	v_min_u32_e32 v57, 32, v44
	v_mov_b32_e32 v24, v25
	v_subrev_u32_e32 v44, 28, v57
	v_lshlrev_b64 v[44:45], v44, v[24:25]
	v_lshrrev_b32_e32 v56, 3, v22
	v_sub_u32_e32 v24, 29, v57
	v_and_b32_e32 v44, 7, v44
	v_cmp_gt_u32_e32 vcc, 8, v22
	v_cndmask_b32_e32 v22, v56, v24, vcc
	v_cndmask_b32_e32 v24, v55, v44, vcc
	v_lshlrev_b32_e32 v44, 24, v25
	v_bfrev_b32_e32 v45, 60
	v_lshlrev_b32_e32 v24, 20, v24
	v_and_b32_e32 v44, 0x80000000, v44
	v_lshl_add_u32 v22, v22, 23, v45
	v_or3_b32 v45, v44, v22, v24
.LBB557_375:
	s_or_b64 exec, exec, s[10:11]
.LBB557_376:
	s_or_b64 exec, exec, s[8:9]
.LBB557_377:
	s_or_b64 exec, exec, s[2:3]
	v_lshrrev_b16_e32 v22, 8, v25
	v_cmp_ne_u16_e32 vcc, 0, v22
	v_mov_b32_e32 v55, 0
	v_mov_b32_e32 v56, 0
	s_and_saveexec_b64 s[2:3], vcc
	s_cbranch_execz .LBB557_383
; %bb.378:
	s_movk_i32 s8, 0x80
	v_cmp_ne_u16_e32 vcc, s8, v22
	v_bfrev_b32_e32 v56, 1
	s_and_saveexec_b64 s[8:9], vcc
	s_cbranch_execz .LBB557_382
; %bb.379:
	s_movk_i32 s10, 0x7f
	v_and_b32_e32 v24, 0x7f, v22
	v_cmp_ne_u32_e32 vcc, s10, v24
	v_mov_b32_e32 v56, 0x7f800001
	s_and_saveexec_b64 s[10:11], vcc
	s_cbranch_execz .LBB557_381
; %bb.380:
	v_and_b32_e32 v44, 7, v22
	v_ffbh_u32_e32 v56, v44
	v_min_u32_e32 v59, 32, v56
	v_subrev_u32_e32 v56, 28, v59
	v_lshlrev_b64 v[56:57], v56, v[22:23]
	v_lshrrev_b32_e32 v58, 3, v24
	v_sub_u32_e32 v22, 29, v59
	v_and_b32_e32 v56, 7, v56
	v_cmp_gt_u32_e32 vcc, 8, v24
	v_cndmask_b32_e32 v22, v58, v22, vcc
	v_cndmask_b32_e32 v24, v44, v56, vcc
	v_lshlrev_b32_e32 v44, 16, v25
	v_bfrev_b32_e32 v56, 60
	v_lshlrev_b32_e32 v24, 20, v24
	v_and_b32_e32 v44, 0x80000000, v44
	v_lshl_add_u32 v22, v22, 23, v56
	v_or3_b32 v56, v44, v22, v24
.LBB557_381:
	s_or_b64 exec, exec, s[10:11]
.LBB557_382:
	s_or_b64 exec, exec, s[8:9]
.LBB557_383:
	s_or_b64 exec, exec, s[2:3]
	s_movk_i32 s2, 0xff
	v_and_b32_sdwa v24, v25, s2 dst_sel:DWORD dst_unused:UNUSED_PAD src0_sel:WORD_1 src1_sel:DWORD
	v_lshrrev_b32_e32 v22, 16, v25
	v_cmp_ne_u16_e32 vcc, 0, v24
	s_and_saveexec_b64 s[2:3], vcc
	s_cbranch_execz .LBB557_389
; %bb.384:
	s_movk_i32 s8, 0x80
	v_cmp_ne_u16_e32 vcc, s8, v24
	v_bfrev_b32_e32 v55, 1
	s_and_saveexec_b64 s[8:9], vcc
	s_cbranch_execz .LBB557_388
; %bb.385:
	v_bfe_u32 v24, v25, 16, 7
	s_movk_i32 s10, 0x7f
	v_cmp_ne_u32_e32 vcc, s10, v24
	v_mov_b32_e32 v55, 0x7f800001
	s_and_saveexec_b64 s[10:11], vcc
	s_cbranch_execz .LBB557_387
; %bb.386:
	v_and_b32_e32 v44, 7, v22
	v_ffbh_u32_e32 v57, v44
	v_min_u32_e32 v57, 32, v57
	v_subrev_u32_e32 v58, 28, v57
	v_lshlrev_b64 v[58:59], v58, v[22:23]
	v_sub_u32_e32 v22, 29, v57
	v_and_b32_e32 v57, 7, v58
	v_cmp_gt_u32_e32 vcc, 8, v24
	v_lshrrev_b32_e32 v55, 3, v24
	v_cndmask_b32_e32 v24, v44, v57, vcc
	v_mov_b32_e32 v44, 24
	v_cndmask_b32_e32 v22, v55, v22, vcc
	v_lshlrev_b32_sdwa v44, v44, v25 dst_sel:DWORD dst_unused:UNUSED_PAD src0_sel:DWORD src1_sel:WORD_1
	v_bfrev_b32_e32 v55, 60
	v_lshlrev_b32_e32 v24, 20, v24
	v_and_b32_e32 v44, 0x80000000, v44
	v_lshl_add_u32 v22, v22, 23, v55
	v_or3_b32 v55, v44, v22, v24
.LBB557_387:
	s_or_b64 exec, exec, s[10:11]
.LBB557_388:
	s_or_b64 exec, exec, s[8:9]
.LBB557_389:
	s_or_b64 exec, exec, s[2:3]
	s_mov_b32 s2, 0xffffff
	v_and_b32_e32 v44, 63, v0
	v_cmp_lt_u32_e32 vcc, s2, v25
	v_mov_b32_e32 v57, 0
	s_and_saveexec_b64 s[2:3], vcc
	s_cbranch_execz .LBB557_395
; %bb.390:
	v_lshrrev_b32_e32 v22, 24, v25
	s_movk_i32 s8, 0x80
	v_cmp_ne_u32_e32 vcc, s8, v22
	v_bfrev_b32_e32 v57, 1
	s_and_saveexec_b64 s[8:9], vcc
	s_cbranch_execz .LBB557_394
; %bb.391:
	v_bfe_u32 v24, v25, 24, 7
	s_movk_i32 s10, 0x7f
	v_cmp_ne_u32_e32 vcc, s10, v24
	v_mov_b32_e32 v57, 0x7f800001
	s_and_saveexec_b64 s[10:11], vcc
	s_cbranch_execz .LBB557_393
; %bb.392:
	v_and_b32_e32 v25, 7, v22
	v_ffbh_u32_e32 v58, v25
	v_min_u32_e32 v60, 32, v58
	v_subrev_u32_e32 v58, 28, v60
	v_lshlrev_b64 v[58:59], v58, v[22:23]
	v_lshrrev_b32_e32 v57, 3, v24
	v_sub_u32_e32 v59, 29, v60
	v_and_b32_e32 v58, 7, v58
	v_cmp_gt_u32_e32 vcc, 8, v24
	v_cndmask_b32_e32 v24, v57, v59, vcc
	v_cndmask_b32_e32 v25, v25, v58, vcc
	v_lshlrev_b32_e32 v22, 24, v22
	v_bfrev_b32_e32 v57, 60
	v_lshlrev_b32_e32 v25, 20, v25
	v_and_b32_e32 v22, 0x80000000, v22
	v_lshl_add_u32 v24, v24, 23, v57
	v_or3_b32 v57, v22, v24, v25
.LBB557_393:
	s_or_b64 exec, exec, s[10:11]
.LBB557_394:
	s_or_b64 exec, exec, s[8:9]
.LBB557_395:
	s_or_b64 exec, exec, s[2:3]
	v_cvt_pkrtz_f16_f32 v42, v42, v43
	v_cvt_pkrtz_f16_f32 v43, v23, v54
	s_load_dword s2, s[4:5], 0x1c
	s_mov_b32 s46, 0xff7fffff
	s_waitcnt lgkmcnt(0)
	v_mfma_f32_16x16x16f16 v[26:29], v[42:43], v[18:19], v[26:29]
	v_cvt_pkrtz_f16_f32 v18, v45, v56
	v_cvt_pkrtz_f16_f32 v19, v55, v57
	v_mov_b32_e32 v22, s2
	v_mul_f32_e32 v54, s12, v22
	v_pk_mul_f32 v[22:23], v[54:55], v[36:37] op_sel_hi:[0,1]
	v_pk_mul_f32 v[36:37], v[54:55], v[38:39] op_sel_hi:[0,1]
	v_and_b32_e32 v38, 0xc0, v0
	v_mfma_f32_16x16x16f16 v[26:29], v[18:19], v[20:21], v[26:29]
	v_add_u32_e32 v38, s20, v38
	v_lshl_or_b32 v38, v1, 2, v38
	v_or_b32_e32 v39, 1, v38
	v_pk_mul_f32 v[24:25], v[54:55], v[34:35] op_sel_hi:[0,1]
	v_pk_mul_f32 v[34:35], v[54:55], v[40:41] op_sel_hi:[0,1]
	v_subrev_u32_e32 v40, s33, v39
	v_pk_mul_f32 v[30:31], v[54:55], v[30:31] op_sel_hi:[0,1]
	s_nop 3
	v_pk_mul_f32 v[20:21], v[54:55], v[26:27] op_sel_hi:[0,1]
	v_add_u32_e32 v27, 1, v40
	v_pk_mul_f32 v[18:19], v[54:55], v[28:29] op_sel_hi:[0,1]
	v_cvt_f32_i32_e32 v27, v27
	v_add_u32_e32 v29, 3, v40
	v_cvt_f32_i32_e32 v26, v40
	v_add_u32_e32 v28, 2, v40
	v_cvt_f32_i32_e32 v29, v29
	v_cvt_f32_i32_e32 v28, v28
	v_pk_mul_f32 v[32:33], v[54:55], v[32:33] op_sel_hi:[0,1]
	s_waitcnt vmcnt(4)
	v_fmac_f32_e32 v31, v53, v27
	v_add_u32_e32 v27, 16, v40
	v_fma_f32 v26, v53, v26, v30
	v_fmac_f32_e32 v33, v53, v29
	v_cvt_f32_i32_e32 v27, v27
	v_add_u32_e32 v29, 17, v40
	v_add_u32_e32 v30, 18, v40
	v_fma_f32 v28, v53, v28, v32
	v_cvt_f32_i32_e32 v29, v29
	v_cvt_f32_i32_e32 v30, v30
	v_add_u32_e32 v32, 19, v40
	v_cvt_f32_i32_e32 v32, v32
	v_fma_f32 v36, v53, v27, v36
	v_add_u32_e32 v27, 32, v40
	v_fmac_f32_e32 v37, v53, v29
	v_fma_f32 v41, v53, v30, v34
	v_cvt_f32_i32_e32 v27, v27
	v_add_u32_e32 v29, 33, v40
	v_add_u32_e32 v30, 34, v40
	v_fmac_f32_e32 v35, v53, v32
	v_cvt_f32_i32_e32 v29, v29
	v_cvt_f32_i32_e32 v30, v30
	v_add_u32_e32 v32, 35, v40
	v_cvt_f32_i32_e32 v32, v32
	v_fma_f32 v24, v53, v27, v24
	v_add_u32_e32 v27, 48, v40
	v_fmac_f32_e32 v25, v53, v29
	v_fma_f32 v22, v53, v30, v22
	v_cvt_f32_i32_e32 v27, v27
	v_add_u32_e32 v29, 49, v40
	v_add_u32_e32 v30, 50, v40
	v_fmac_f32_e32 v23, v53, v32
	v_cvt_f32_i32_e32 v29, v29
	v_cvt_f32_i32_e32 v30, v30
	v_add_u32_e32 v32, 51, v40
	v_cvt_f32_i32_e32 v32, v32
	v_fma_f32 v20, v53, v27, v20
	v_mov_b32_e32 v27, 0xff7fffff
	v_cmp_gt_i32_e64 s[26:27], s33, v38
	v_cmp_gt_i32_e64 s[28:29], s33, v39
	v_fmac_f32_e32 v21, v53, v29
	v_fma_f32 v18, v53, v30, v18
	v_cndmask_b32_e64 v29, v27, v26, s[26:27]
	v_cndmask_b32_e64 v30, v27, v31, s[28:29]
	v_fmac_f32_e32 v19, v53, v32
	v_max3_f32 v29, v29, s46, v30
	v_or_b32_e32 v30, 2, v38
	v_or_b32_e32 v32, 3, v38
	v_cmp_gt_i32_e64 s[30:31], s33, v30
	v_cmp_gt_i32_e64 s[34:35], s33, v32
	v_cndmask_b32_e64 v30, v27, v28, s[30:31]
	v_cndmask_b32_e64 v32, v27, v33, s[34:35]
	v_max3_f32 v29, v29, v30, v32
	v_or_b32_e32 v30, 16, v38
	v_or_b32_e32 v32, 17, v38
	v_cmp_gt_i32_e64 s[36:37], s33, v30
	v_cmp_gt_i32_e64 s[38:39], s33, v32
	v_cndmask_b32_e64 v30, v27, v36, s[36:37]
	v_cndmask_b32_e64 v32, v27, v37, s[38:39]
	;; [unrolled: 7-line block ×6, first 2 shown]
	v_max3_f32 v29, v29, v30, v32
	v_or_b32_e32 v30, 50, v38
	v_or_b32_e32 v32, 51, v38
	v_cmp_gt_i32_e32 vcc, s33, v30
	v_cmp_gt_i32_e64 s[2:3], s33, v32
	v_cndmask_b32_e32 v30, v27, v18, vcc
	v_cndmask_b32_e64 v27, v27, v19, s[2:3]
	v_max3_f32 v27, v29, v30, v27
	v_mbcnt_lo_u32_b32 v29, -1, 0
	v_mbcnt_hi_u32_b32 v29, -1, v29
	v_and_b32_e32 v30, 64, v29
	v_add_u32_e32 v30, 64, v30
	v_xor_b32_e32 v32, 32, v29
	v_cmp_lt_i32_e64 s[40:41], v32, v30
	v_cndmask_b32_e64 v32, v29, v32, s[40:41]
	v_lshlrev_b32_e32 v38, 2, v32
	ds_bpermute_b32 v32, v38, v27
	s_barrier
	s_waitcnt lgkmcnt(0)
	v_max_f32_e32 v32, v32, v32
	v_max_f32_e32 v27, v27, v32
	v_xor_b32_e32 v32, 16, v29
	v_cmp_lt_i32_e64 s[40:41], v32, v30
	v_cndmask_b32_e64 v29, v29, v32, s[40:41]
	v_lshlrev_b32_e32 v39, 2, v29
	ds_bpermute_b32 v29, v39, v27
	s_waitcnt lgkmcnt(0)
	v_max_f32_e32 v29, v29, v29
	v_max_f32_e32 v34, v27, v29
	v_sub_f32_e32 v26, v26, v34
	v_mul_f32_e32 v26, 0x3fb8aa3b, v26
	v_sub_f32_e32 v27, v31, v34
	v_exp_f32_e32 v26, v26
	v_mul_f32_e32 v27, 0x3fb8aa3b, v27
	v_sub_f32_e32 v28, v28, v34
	v_exp_f32_e32 v27, v27
	v_mul_f32_e32 v28, 0x3fb8aa3b, v28
	v_exp_f32_e32 v28, v28
	v_cndmask_b32_e64 v26, 0, v26, s[26:27]
	v_sub_f32_e32 v30, v33, v34
	v_add_f32_e32 v29, 0, v26
	v_cndmask_b32_e64 v27, 0, v27, s[28:29]
	v_mul_f32_e32 v30, 0x3fb8aa3b, v30
	v_exp_f32_e32 v31, v30
	v_add_f32_e32 v29, v29, v27
	v_cndmask_b32_e64 v30, 0, v28, s[30:31]
	v_add_f32_e32 v28, v29, v30
	v_sub_f32_e32 v29, v36, v34
	v_sub_f32_e32 v32, v37, v34
	v_mul_f32_e32 v29, 0x3fb8aa3b, v29
	v_mul_f32_e32 v32, 0x3fb8aa3b, v32
	v_exp_f32_e32 v29, v29
	v_exp_f32_e32 v32, v32
	v_cndmask_b32_e64 v31, 0, v31, s[34:35]
	v_add_f32_e32 v33, v28, v31
	v_cndmask_b32_e64 v28, 0, v29, s[36:37]
	v_cndmask_b32_e64 v29, 0, v32, s[38:39]
	v_sub_f32_e32 v32, v41, v34
	v_mul_f32_e32 v32, 0x3fb8aa3b, v32
	v_sub_f32_e32 v35, v35, v34
	v_exp_f32_e32 v32, v32
	v_mul_f32_e32 v35, 0x3fb8aa3b, v35
	v_sub_f32_e32 v24, v24, v34
	v_exp_f32_e32 v35, v35
	v_mul_f32_e32 v24, 0x3fb8aa3b, v24
	v_sub_f32_e32 v25, v25, v34
	v_exp_f32_e32 v24, v24
	v_mul_f32_e32 v25, 0x3fb8aa3b, v25
	v_sub_f32_e32 v22, v22, v34
	v_add_f32_e32 v33, v33, v28
	v_exp_f32_e32 v25, v25
	v_mul_f32_e32 v22, 0x3fb8aa3b, v22
	v_sub_f32_e32 v23, v23, v34
	v_add_f32_e32 v33, v33, v29
	v_cndmask_b32_e64 v32, 0, v32, s[20:21]
	v_exp_f32_e32 v22, v22
	v_mul_f32_e32 v23, 0x3fb8aa3b, v23
	v_sub_f32_e32 v20, v20, v34
	v_add_f32_e32 v36, v33, v32
	v_cndmask_b32_e64 v33, 0, v35, s[22:23]
	;; [unrolled: 5-line block ×5, first 2 shown]
	v_exp_f32_e32 v18, v18
	v_mul_f32_e32 v19, 0x3fb8aa3b, v19
	v_add_f32_e32 v35, v35, v22
	v_cndmask_b32_e64 v23, 0, v23, s[14:15]
	v_exp_f32_e32 v19, v19
	v_add_f32_e32 v35, v35, v23
	v_cndmask_b32_e64 v20, 0, v20, s[8:9]
	v_add_f32_e32 v35, v35, v20
	v_cndmask_b32_e64 v21, 0, v21, s[10:11]
	v_add_f32_e32 v35, v35, v21
	v_cndmask_b32_e32 v18, 0, v18, vcc
	v_add_f32_e32 v35, v35, v18
	v_cndmask_b32_e64 v19, 0, v19, s[2:3]
	v_add_f32_e32 v35, v35, v19
	ds_bpermute_b32 v36, v38, v35
	v_cmp_gt_u32_e32 vcc, 16, v44
	s_waitcnt lgkmcnt(0)
	v_add_f32_e32 v35, v35, v36
	ds_bpermute_b32 v37, v39, v35
	v_lshlrev_b32_e32 v36, 2, v52
	s_and_saveexec_b64 s[2:3], vcc
	s_cbranch_execz .LBB557_397
; %bb.396:
	s_waitcnt lgkmcnt(0)
	v_add_f32_e32 v35, v35, v37
	v_lshl_or_b32 v37, v51, 6, v36
	ds_write2st64_b32 v37, v34, v35 offset1:1
.LBB557_397:
	s_or_b64 exec, exec, s[2:3]
	s_waitcnt lgkmcnt(0)
	s_barrier
	ds_read2_b32 v[38:39], v36 offset1:16
	ds_read2_b32 v[40:41], v36 offset0:32 offset1:48
	ds_read2_b32 v[42:43], v36 offset0:64 offset1:80
	s_lshl_b32 s12, s45, 4
	s_waitcnt lgkmcnt(2)
	v_max3_f32 v34, v38, s46, v39
	s_waitcnt lgkmcnt(1)
	v_max3_f32 v35, v34, v40, v41
	v_sub_f32_e32 v34, v38, v35
	v_mul_f32_e32 v34, 0x3fb8aa3b, v34
	v_exp_f32_e32 v37, v34
	v_sub_f32_e32 v34, v39, v35
	v_mul_f32_e32 v34, 0x3fb8aa3b, v34
	v_exp_f32_e32 v44, v34
	;; [unrolled: 3-line block ×3, first 2 shown]
	ds_read2_b32 v[38:39], v36 offset0:96 offset1:112
	v_sub_f32_e32 v34, v41, v35
	v_mul_f32_e32 v34, 0x3fb8aa3b, v34
	v_exp_f32_e32 v41, v34
	s_waitcnt lgkmcnt(1)
	v_fma_f32 v36, v37, v42, 0
	v_fmac_f32_e32 v36, v44, v43
	s_waitcnt lgkmcnt(0)
	v_fmac_f32_e32 v36, v40, v38
	v_fmac_f32_e32 v36, v41, v39
	v_add_f32_e32 v38, 0x358637bd, v36
	v_div_scale_f32 v39, s[2:3], v38, v38, 1.0
	v_rcp_f32_e32 v42, v39
	s_barrier
	v_fma_f32 v43, -v39, v42, 1.0
	v_fmac_f32_e32 v42, v43, v42
	v_div_scale_f32 v43, vcc, 1.0, v38, 1.0
	v_mul_f32_e32 v45, v43, v42
	v_fma_f32 v52, -v39, v45, v43
	v_fmac_f32_e32 v45, v52, v42
	v_fma_f32 v39, -v39, v45, v43
	v_div_fmas_f32 v39, v39, v42, v45
	v_cmp_eq_u32_e32 vcc, 1, v51
	v_cndmask_b32_e32 v37, v37, v44, vcc
	v_cmp_eq_u32_e32 vcc, 2, v51
	v_cndmask_b32_e32 v37, v37, v40, vcc
	v_cmp_eq_u32_e32 vcc, 3, v51
	v_div_fixup_f32 v38, v39, v38, 1.0
	v_cndmask_b32_e32 v37, v37, v41, vcc
	v_mul_f32_e32 v38, v37, v38
	v_pk_mul_f32 v[26:27], v[38:39], v[26:27] op_sel_hi:[0,1]
	v_cvt_f16_f32_e32 v26, v26
	v_cvt_f16_f32_e32 v27, v27
	v_pk_mul_f32 v[30:31], v[38:39], v[30:31] op_sel_hi:[0,1]
	v_cvt_f16_f32_e32 v37, v30
	v_cvt_f16_f32_e32 v31, v31
	v_pack_b32_f16 v30, v26, v27
	v_pk_mul_f32 v[26:27], v[38:39], v[32:33] op_sel_hi:[0,1]
	v_pk_mul_f32 v[28:29], v[38:39], v[28:29] op_sel_hi:[0,1]
	v_cvt_f16_f32_e32 v28, v28
	v_cvt_f16_f32_e32 v29, v29
	;; [unrolled: 1-line block ×4, first 2 shown]
	v_pack_b32_f16 v31, v37, v31
	v_lshlrev_b32_e32 v37, 3, v1
	v_lshlrev_b32_e32 v26, 11, v51
	v_or3_b32 v26, v26, v47, v37
	v_pack_b32_f16 v28, v28, v29
	v_pack_b32_f16 v29, v32, v27
	v_pk_mul_f32 v[22:23], v[38:39], v[22:23] op_sel_hi:[0,1]
	v_pk_mul_f32 v[24:25], v[38:39], v[24:25] op_sel_hi:[0,1]
	;; [unrolled: 1-line block ×4, first 2 shown]
	ds_write2st64_b64 v26, v[30:31], v[28:29] offset1:1
	v_cvt_f16_f32_e32 v24, v24
	v_cvt_f16_f32_e32 v25, v25
	;; [unrolled: 1-line block ×8, first 2 shown]
	v_mov_b32_e32 v34, 0
	v_pack_b32_f16 v18, v24, v25
	v_pack_b32_f16 v19, v22, v23
	;; [unrolled: 1-line block ×4, first 2 shown]
	v_cmp_gt_u32_e32 vcc, 16, v0
	ds_write2st64_b64 v26, v[18:19], v[20:21] offset0:2 offset1:3
	s_and_saveexec_b64 s[2:3], vcc
	s_cbranch_execz .LBB557_399
; %bb.398:
	v_mov_b32_e32 v47, 0
	v_mov_b32_e32 v18, s12
	s_mul_i32 s7, s7, s12
	v_mad_u64_u32 v[18:19], s[14:15], s6, v18, v[46:47]
	v_mov_b32_e32 v46, s24
	s_load_dwordx4 s[8:11], s[4:5], 0x58
	v_add_u32_e32 v21, s7, v19
	v_mad_u64_u32 v[18:19], s[14:15], v18, s44, v[46:47]
	v_mov_b32_e32 v20, v19
	v_mad_u64_u32 v[20:21], s[14:15], v21, s44, v[20:21]
	v_mov_b32_e32 v19, v20
	v_lshlrev_b64 v[18:19], 2, v[18:19]
	s_waitcnt lgkmcnt(0)
	v_mov_b32_e32 v21, s11
	v_add_co_u32_e32 v20, vcc, s10, v18
	v_addc_co_u32_e32 v21, vcc, v21, v19, vcc
	global_store_dword v[20:21], v35, off
	v_mov_b32_e32 v20, s9
	v_add_co_u32_e32 v18, vcc, s8, v18
	v_addc_co_u32_e32 v19, vcc, v20, v19, vcc
	global_store_dword v[18:19], v36, off
.LBB557_399:
	s_or_b64 exec, exec, s[2:3]
	v_mov_b32_e32 v19, 0
	s_waitcnt vmcnt(3)
	v_cmp_ne_u16_sdwa s[8:9], v14, v19 src0_sel:BYTE_0 src1_sel:DWORD
	s_waitcnt lgkmcnt(0)
	s_barrier
	s_and_saveexec_b64 s[2:3], s[8:9]
	s_cbranch_execz .LBB557_405
; %bb.400:
	s_movk_i32 s7, 0x80
	v_cmp_ne_u16_sdwa s[10:11], v14, s7 src0_sel:BYTE_0 src1_sel:DWORD
	v_bfrev_b32_e32 v34, 1
	s_and_saveexec_b64 s[8:9], s[10:11]
	s_cbranch_execz .LBB557_404
; %bb.401:
	s_movk_i32 s7, 0x7f
	v_and_b32_e32 v18, 0x7f, v14
	v_cmp_ne_u32_e32 vcc, s7, v18
	v_mov_b32_e32 v34, 0x7f800001
	s_and_saveexec_b64 s[10:11], vcc
	s_cbranch_execz .LBB557_403
; %bb.402:
	v_and_b32_e32 v22, 7, v14
	v_ffbh_u32_e32 v20, v22
	v_min_u32_e32 v24, 32, v20
	v_subrev_u32_e32 v20, 28, v24
	v_lshlrev_b64 v[20:21], v20, v[14:15]
	v_lshrrev_b32_e32 v23, 3, v18
	v_sub_u32_e32 v21, 29, v24
	v_and_b32_e32 v20, 7, v20
	v_cmp_gt_u32_e32 vcc, 8, v18
	v_cndmask_b32_e32 v18, v23, v21, vcc
	v_cndmask_b32_e32 v20, v22, v20, vcc
	v_lshlrev_b32_e32 v21, 24, v14
	v_bfrev_b32_e32 v22, 60
	v_lshlrev_b32_e32 v20, 20, v20
	v_and_b32_e32 v21, 0x80000000, v21
	v_lshl_add_u32 v18, v18, 23, v22
	v_or3_b32 v34, v21, v18, v20
.LBB557_403:
	s_or_b64 exec, exec, s[10:11]
.LBB557_404:
	s_or_b64 exec, exec, s[8:9]
.LBB557_405:
	s_or_b64 exec, exec, s[2:3]
	v_lshrrev_b16_e32 v18, 8, v14
	v_cmp_ne_u16_e32 vcc, 0, v18
	v_mov_b32_e32 v20, 0
	s_and_saveexec_b64 s[2:3], vcc
	s_cbranch_execz .LBB557_411
; %bb.406:
	s_movk_i32 s7, 0x80
	v_cmp_ne_u16_e32 vcc, s7, v18
	v_bfrev_b32_e32 v20, 1
	s_and_saveexec_b64 s[8:9], vcc
	s_cbranch_execz .LBB557_410
; %bb.407:
	s_movk_i32 s7, 0x7f
	v_and_b32_e32 v21, 0x7f, v18
	v_cmp_ne_u32_e32 vcc, s7, v21
	v_mov_b32_e32 v20, 0x7f800001
	s_and_saveexec_b64 s[10:11], vcc
	s_cbranch_execz .LBB557_409
; %bb.408:
	v_and_b32_e32 v20, 7, v18
	v_ffbh_u32_e32 v22, v20
	v_min_u32_e32 v25, 32, v22
	v_subrev_u32_e32 v22, 28, v25
	v_lshlrev_b64 v[22:23], v22, v[18:19]
	v_lshrrev_b32_e32 v24, 3, v21
	v_sub_u32_e32 v18, 29, v25
	v_and_b32_e32 v22, 7, v22
	v_cmp_gt_u32_e32 vcc, 8, v21
	v_cndmask_b32_e32 v18, v24, v18, vcc
	v_cndmask_b32_e32 v20, v20, v22, vcc
	v_lshlrev_b32_e32 v21, 16, v14
	v_bfrev_b32_e32 v22, 60
	v_lshlrev_b32_e32 v20, 20, v20
	v_and_b32_e32 v21, 0x80000000, v21
	v_lshl_add_u32 v18, v18, 23, v22
	v_or3_b32 v20, v21, v18, v20
.LBB557_409:
	s_or_b64 exec, exec, s[10:11]
.LBB557_410:
	s_or_b64 exec, exec, s[8:9]
.LBB557_411:
	s_or_b64 exec, exec, s[2:3]
	s_movk_i32 s2, 0xff
	v_and_b32_sdwa v21, v14, s2 dst_sel:DWORD dst_unused:UNUSED_PAD src0_sel:WORD_1 src1_sel:DWORD
	v_lshrrev_b32_e32 v18, 16, v14
	v_cmp_ne_u16_e32 vcc, 0, v21
	s_and_saveexec_b64 s[2:3], vcc
	s_cbranch_execz .LBB557_417
; %bb.412:
	s_movk_i32 s7, 0x80
	v_cmp_ne_u16_e32 vcc, s7, v21
	v_bfrev_b32_e32 v19, 1
	s_and_saveexec_b64 s[8:9], vcc
	s_cbranch_execz .LBB557_416
; %bb.413:
	v_bfe_u32 v21, v14, 16, 7
	s_movk_i32 s7, 0x7f
	v_cmp_ne_u32_e32 vcc, s7, v21
	v_mov_b32_e32 v19, 0x7f800001
	s_and_saveexec_b64 s[10:11], vcc
	s_cbranch_execz .LBB557_415
; %bb.414:
	v_and_b32_e32 v22, 7, v18
	v_ffbh_u32_e32 v19, v22
	v_min_u32_e32 v24, 32, v19
	v_subrev_u32_e32 v19, 28, v24
	v_lshlrev_b64 v[18:19], v19, v[18:19]
	v_lshrrev_b32_e32 v23, 3, v21
	v_sub_u32_e32 v19, 29, v24
	v_and_b32_e32 v18, 7, v18
	v_cmp_gt_u32_e32 vcc, 8, v21
	v_mov_b32_e32 v21, 24
	v_cndmask_b32_e32 v19, v23, v19, vcc
	v_cndmask_b32_e32 v18, v22, v18, vcc
	v_lshlrev_b32_sdwa v21, v21, v14 dst_sel:DWORD dst_unused:UNUSED_PAD src0_sel:DWORD src1_sel:WORD_1
	v_bfrev_b32_e32 v22, 60
	v_lshlrev_b32_e32 v18, 20, v18
	v_and_b32_e32 v21, 0x80000000, v21
	v_lshl_add_u32 v19, v19, 23, v22
	v_or3_b32 v19, v21, v19, v18
.LBB557_415:
	s_or_b64 exec, exec, s[10:11]
.LBB557_416:
	s_or_b64 exec, exec, s[8:9]
.LBB557_417:
	s_or_b64 exec, exec, s[2:3]
	s_mov_b32 s2, 0xffffff
	v_cmp_lt_u32_e32 vcc, s2, v14
	v_mov_b32_e32 v21, 0
	v_mov_b32_e32 v23, 0
	s_and_saveexec_b64 s[2:3], vcc
	s_cbranch_execz .LBB557_423
; %bb.418:
	v_lshrrev_b32_e32 v18, 24, v14
	s_movk_i32 s7, 0x80
	v_cmp_ne_u32_e32 vcc, s7, v18
	v_bfrev_b32_e32 v23, 1
	s_and_saveexec_b64 s[8:9], vcc
	s_cbranch_execz .LBB557_422
; %bb.419:
	v_bfe_u32 v14, v14, 24, 7
	s_movk_i32 s7, 0x7f
	v_cmp_ne_u32_e32 vcc, s7, v14
	v_mov_b32_e32 v23, 0x7f800001
	s_and_saveexec_b64 s[10:11], vcc
	s_cbranch_execz .LBB557_421
; %bb.420:
	v_and_b32_e32 v24, 7, v18
	v_ffbh_u32_e32 v22, v24
	v_min_u32_e32 v27, 32, v22
	v_subrev_u32_e32 v22, 28, v27
	v_lshlrev_b64 v[22:23], v22, v[18:19]
	v_lshrrev_b32_e32 v25, 3, v14
	v_sub_u32_e32 v23, 29, v27
	v_and_b32_e32 v22, 7, v22
	v_cmp_gt_u32_e32 vcc, 8, v14
	v_cndmask_b32_e32 v14, v25, v23, vcc
	v_cndmask_b32_e32 v22, v24, v22, vcc
	v_lshlrev_b32_e32 v18, 24, v18
	v_bfrev_b32_e32 v23, 60
	v_lshlrev_b32_e32 v22, 20, v22
	v_and_b32_e32 v18, 0x80000000, v18
	v_lshl_add_u32 v14, v14, 23, v23
	v_or3_b32 v23, v18, v14, v22
.LBB557_421:
	s_or_b64 exec, exec, s[10:11]
.LBB557_422:
	s_or_b64 exec, exec, s[8:9]
.LBB557_423:
	s_or_b64 exec, exec, s[2:3]
	v_cmp_ne_u16_sdwa s[8:9], v15, v21 src0_sel:BYTE_0 src1_sel:DWORD
	s_and_saveexec_b64 s[2:3], s[8:9]
	s_cbranch_execz .LBB557_429
; %bb.424:
	s_movk_i32 s7, 0x80
	v_cmp_ne_u16_sdwa s[10:11], v15, s7 src0_sel:BYTE_0 src1_sel:DWORD
	v_bfrev_b32_e32 v21, 1
	s_and_saveexec_b64 s[8:9], s[10:11]
	s_cbranch_execz .LBB557_428
; %bb.425:
	s_movk_i32 s7, 0x7f
	v_and_b32_e32 v14, 0x7f, v15
	v_cmp_ne_u32_e32 vcc, s7, v14
	v_mov_b32_e32 v21, 0x7f800001
	s_and_saveexec_b64 s[10:11], vcc
	s_cbranch_execz .LBB557_427
; %bb.426:
	v_and_b32_e32 v21, 7, v15
	v_ffbh_u32_e32 v24, v21
	v_min_u32_e32 v27, 32, v24
	v_mov_b32_e32 v18, v15
	v_subrev_u32_e32 v24, 28, v27
	v_lshlrev_b64 v[24:25], v24, v[18:19]
	v_lshrrev_b32_e32 v22, 3, v14
	v_sub_u32_e32 v18, 29, v27
	v_and_b32_e32 v24, 7, v24
	v_cmp_gt_u32_e32 vcc, 8, v14
	v_cndmask_b32_e32 v14, v22, v18, vcc
	v_cndmask_b32_e32 v18, v21, v24, vcc
	v_lshlrev_b32_e32 v21, 24, v15
	v_bfrev_b32_e32 v22, 60
	v_lshlrev_b32_e32 v18, 20, v18
	v_and_b32_e32 v21, 0x80000000, v21
	v_lshl_add_u32 v14, v14, 23, v22
	v_or3_b32 v21, v21, v14, v18
.LBB557_427:
	s_or_b64 exec, exec, s[10:11]
.LBB557_428:
	s_or_b64 exec, exec, s[8:9]
.LBB557_429:
	s_or_b64 exec, exec, s[2:3]
	v_lshrrev_b16_e32 v14, 8, v15
	v_cmp_ne_u16_e32 vcc, 0, v14
	v_mov_b32_e32 v18, 0
	v_mov_b32_e32 v24, 0
	s_and_saveexec_b64 s[2:3], vcc
	s_cbranch_execz .LBB557_435
; %bb.430:
	s_movk_i32 s7, 0x80
	v_cmp_ne_u16_e32 vcc, s7, v14
	v_bfrev_b32_e32 v24, 1
	s_and_saveexec_b64 s[8:9], vcc
	s_cbranch_execz .LBB557_434
; %bb.431:
	s_movk_i32 s7, 0x7f
	v_and_b32_e32 v22, 0x7f, v14
	v_cmp_ne_u32_e32 vcc, s7, v22
	v_mov_b32_e32 v24, 0x7f800001
	s_and_saveexec_b64 s[10:11], vcc
	s_cbranch_execz .LBB557_433
; %bb.432:
	v_and_b32_e32 v27, 7, v14
	v_ffbh_u32_e32 v24, v27
	v_min_u32_e32 v29, 32, v24
	v_subrev_u32_e32 v24, 28, v29
	v_lshlrev_b64 v[24:25], v24, v[14:15]
	v_lshrrev_b32_e32 v28, 3, v22
	v_sub_u32_e32 v14, 29, v29
	v_and_b32_e32 v24, 7, v24
	v_cmp_gt_u32_e32 vcc, 8, v22
	v_cndmask_b32_e32 v14, v28, v14, vcc
	v_cndmask_b32_e32 v22, v27, v24, vcc
	v_lshlrev_b32_e32 v24, 16, v15
	v_bfrev_b32_e32 v25, 60
	v_lshlrev_b32_e32 v22, 20, v22
	v_and_b32_e32 v24, 0x80000000, v24
	v_lshl_add_u32 v14, v14, 23, v25
	v_or3_b32 v24, v24, v14, v22
.LBB557_433:
	s_or_b64 exec, exec, s[10:11]
.LBB557_434:
	s_or_b64 exec, exec, s[8:9]
.LBB557_435:
	s_or_b64 exec, exec, s[2:3]
	s_movk_i32 s2, 0xff
	v_and_b32_sdwa v22, v15, s2 dst_sel:DWORD dst_unused:UNUSED_PAD src0_sel:WORD_1 src1_sel:DWORD
	v_lshrrev_b32_e32 v14, 16, v15
	v_cmp_ne_u16_e32 vcc, 0, v22
	s_and_saveexec_b64 s[2:3], vcc
	s_cbranch_execz .LBB557_441
; %bb.436:
	s_movk_i32 s7, 0x80
	v_cmp_ne_u16_e32 vcc, s7, v22
	v_bfrev_b32_e32 v18, 1
	s_and_saveexec_b64 s[8:9], vcc
	s_cbranch_execz .LBB557_440
; %bb.437:
	v_bfe_u32 v22, v15, 16, 7
	s_movk_i32 s7, 0x7f
	v_cmp_ne_u32_e32 vcc, s7, v22
	v_mov_b32_e32 v18, 0x7f800001
	s_and_saveexec_b64 s[10:11], vcc
	s_cbranch_execz .LBB557_439
; %bb.438:
	v_and_b32_e32 v18, 7, v14
	v_ffbh_u32_e32 v27, v18
	v_min_u32_e32 v27, 32, v27
	v_subrev_u32_e32 v28, 28, v27
	v_lshlrev_b64 v[28:29], v28, v[14:15]
	v_lshrrev_b32_e32 v25, 3, v22
	v_sub_u32_e32 v14, 29, v27
	v_and_b32_e32 v27, 7, v28
	v_cmp_gt_u32_e32 vcc, 8, v22
	v_mov_b32_e32 v22, 24
	v_cndmask_b32_e32 v14, v25, v14, vcc
	v_cndmask_b32_e32 v18, v18, v27, vcc
	v_lshlrev_b32_sdwa v22, v22, v15 dst_sel:DWORD dst_unused:UNUSED_PAD src0_sel:DWORD src1_sel:WORD_1
	v_bfrev_b32_e32 v25, 60
	v_lshlrev_b32_e32 v18, 20, v18
	v_and_b32_e32 v22, 0x80000000, v22
	v_lshl_add_u32 v14, v14, 23, v25
	v_or3_b32 v18, v22, v14, v18
.LBB557_439:
	s_or_b64 exec, exec, s[10:11]
.LBB557_440:
	s_or_b64 exec, exec, s[8:9]
.LBB557_441:
	s_or_b64 exec, exec, s[2:3]
	s_mov_b32 s2, 0xffffff
	v_cmp_lt_u32_e32 vcc, s2, v15
	v_mov_b32_e32 v22, 0
	v_mov_b32_e32 v25, 0
	s_and_saveexec_b64 s[2:3], vcc
	s_cbranch_execz .LBB557_447
; %bb.442:
	v_lshrrev_b32_e32 v14, 24, v15
	s_movk_i32 s7, 0x80
	v_cmp_ne_u32_e32 vcc, s7, v14
	v_bfrev_b32_e32 v25, 1
	s_and_saveexec_b64 s[8:9], vcc
	s_cbranch_execz .LBB557_446
; %bb.443:
	v_bfe_u32 v15, v15, 24, 7
	s_movk_i32 s7, 0x7f
	v_cmp_ne_u32_e32 vcc, s7, v15
	v_mov_b32_e32 v25, 0x7f800001
	s_and_saveexec_b64 s[10:11], vcc
	s_cbranch_execz .LBB557_445
; %bb.444:
	v_and_b32_e32 v25, 7, v14
	v_ffbh_u32_e32 v28, v25
	v_min_u32_e32 v30, 32, v28
	v_subrev_u32_e32 v28, 28, v30
	v_lshlrev_b64 v[28:29], v28, v[14:15]
	v_lshrrev_b32_e32 v27, 3, v15
	v_sub_u32_e32 v29, 29, v30
	v_and_b32_e32 v28, 7, v28
	v_cmp_gt_u32_e32 vcc, 8, v15
	v_cndmask_b32_e32 v15, v27, v29, vcc
	v_cndmask_b32_e32 v25, v25, v28, vcc
	v_lshlrev_b32_e32 v14, 24, v14
	v_bfrev_b32_e32 v27, 60
	v_lshlrev_b32_e32 v25, 20, v25
	v_and_b32_e32 v14, 0x80000000, v14
	v_lshl_add_u32 v15, v15, 23, v27
	v_or3_b32 v25, v14, v15, v25
.LBB557_445:
	s_or_b64 exec, exec, s[10:11]
.LBB557_446:
	s_or_b64 exec, exec, s[8:9]
.LBB557_447:
	s_or_b64 exec, exec, s[2:3]
	v_cvt_pkrtz_f16_f32 v14, v34, v20
	v_cvt_pkrtz_f16_f32 v15, v19, v23
	ds_read_b128 v[28:31], v50
	v_cmp_ne_u16_sdwa s[8:9], v16, v22 src0_sel:BYTE_0 src1_sel:DWORD
	s_waitcnt lgkmcnt(0)
	v_mfma_f32_16x16x16f16 v[32:35], v[14:15], v[28:29], 0
	v_cvt_pkrtz_f16_f32 v14, v21, v24
	v_cvt_pkrtz_f16_f32 v15, v18, v25
	s_nop 1
	v_mfma_f32_16x16x16f16 v[18:21], v[14:15], v[30:31], v[32:35]
	s_and_saveexec_b64 s[2:3], s[8:9]
	s_cbranch_execz .LBB557_453
; %bb.448:
	s_movk_i32 s7, 0x80
	v_cmp_ne_u16_sdwa s[10:11], v16, s7 src0_sel:BYTE_0 src1_sel:DWORD
	v_bfrev_b32_e32 v22, 1
	s_and_saveexec_b64 s[8:9], s[10:11]
	s_cbranch_execz .LBB557_452
; %bb.449:
	s_movk_i32 s7, 0x7f
	v_and_b32_e32 v14, 0x7f, v16
	v_cmp_ne_u32_e32 vcc, s7, v14
	v_mov_b32_e32 v22, 0x7f800001
	s_and_saveexec_b64 s[10:11], vcc
	s_cbranch_execz .LBB557_451
; %bb.450:
	v_and_b32_e32 v15, 7, v16
	v_ffbh_u32_e32 v22, v15
	v_min_u32_e32 v25, 32, v22
	v_subrev_u32_e32 v22, 28, v25
	v_lshlrev_b64 v[22:23], v22, v[16:17]
	v_lshrrev_b32_e32 v24, 3, v14
	v_sub_u32_e32 v23, 29, v25
	v_and_b32_e32 v22, 7, v22
	v_cmp_gt_u32_e32 vcc, 8, v14
	v_cndmask_b32_e32 v14, v24, v23, vcc
	v_cndmask_b32_e32 v15, v15, v22, vcc
	v_lshlrev_b32_e32 v22, 24, v16
	v_bfrev_b32_e32 v23, 60
	v_lshlrev_b32_e32 v15, 20, v15
	v_and_b32_e32 v22, 0x80000000, v22
	v_lshl_add_u32 v14, v14, 23, v23
	v_or3_b32 v22, v22, v14, v15
.LBB557_451:
	s_or_b64 exec, exec, s[10:11]
.LBB557_452:
	s_or_b64 exec, exec, s[8:9]
.LBB557_453:
	s_or_b64 exec, exec, s[2:3]
	v_lshrrev_b16_e32 v14, 8, v16
	v_cmp_ne_u16_e32 vcc, 0, v14
	v_mov_b32_e32 v15, 0
	v_mov_b32_e32 v24, 0
	s_and_saveexec_b64 s[2:3], vcc
	s_cbranch_execz .LBB557_459
; %bb.454:
	s_movk_i32 s7, 0x80
	v_cmp_ne_u16_e32 vcc, s7, v14
	v_bfrev_b32_e32 v24, 1
	s_and_saveexec_b64 s[8:9], vcc
	s_cbranch_execz .LBB557_458
; %bb.455:
	s_movk_i32 s7, 0x7f
	v_and_b32_e32 v23, 0x7f, v14
	v_cmp_ne_u32_e32 vcc, s7, v23
	v_mov_b32_e32 v24, 0x7f800001
	s_and_saveexec_b64 s[10:11], vcc
	s_cbranch_execz .LBB557_457
; %bb.456:
	v_and_b32_e32 v27, 7, v14
	v_ffbh_u32_e32 v24, v27
	v_min_u32_e32 v29, 32, v24
	v_subrev_u32_e32 v24, 28, v29
	v_lshlrev_b64 v[24:25], v24, v[14:15]
	v_lshrrev_b32_e32 v28, 3, v23
	v_sub_u32_e32 v14, 29, v29
	v_and_b32_e32 v24, 7, v24
	v_cmp_gt_u32_e32 vcc, 8, v23
	v_cndmask_b32_e32 v14, v28, v14, vcc
	v_cndmask_b32_e32 v23, v27, v24, vcc
	v_lshlrev_b32_e32 v24, 16, v16
	v_bfrev_b32_e32 v25, 60
	v_lshlrev_b32_e32 v23, 20, v23
	v_and_b32_e32 v24, 0x80000000, v24
	v_lshl_add_u32 v14, v14, 23, v25
	v_or3_b32 v24, v24, v14, v23
.LBB557_457:
	s_or_b64 exec, exec, s[10:11]
.LBB557_458:
	s_or_b64 exec, exec, s[8:9]
.LBB557_459:
	s_or_b64 exec, exec, s[2:3]
	s_movk_i32 s2, 0xff
	v_and_b32_sdwa v23, v16, s2 dst_sel:DWORD dst_unused:UNUSED_PAD src0_sel:WORD_1 src1_sel:DWORD
	v_lshrrev_b32_e32 v14, 16, v16
	v_cmp_ne_u16_e32 vcc, 0, v23
	s_and_saveexec_b64 s[2:3], vcc
	s_cbranch_execz .LBB557_465
; %bb.460:
	s_movk_i32 s7, 0x80
	v_cmp_ne_u16_e32 vcc, s7, v23
	v_bfrev_b32_e32 v15, 1
	s_and_saveexec_b64 s[8:9], vcc
	s_cbranch_execz .LBB557_464
; %bb.461:
	v_bfe_u32 v23, v16, 16, 7
	s_movk_i32 s7, 0x7f
	v_cmp_ne_u32_e32 vcc, s7, v23
	v_mov_b32_e32 v15, 0x7f800001
	s_and_saveexec_b64 s[10:11], vcc
	s_cbranch_execz .LBB557_463
; %bb.462:
	v_and_b32_e32 v25, 7, v14
	v_ffbh_u32_e32 v15, v25
	v_min_u32_e32 v28, 32, v15
	v_subrev_u32_e32 v15, 28, v28
	v_lshlrev_b64 v[14:15], v15, v[14:15]
	v_lshrrev_b32_e32 v27, 3, v23
	v_sub_u32_e32 v15, 29, v28
	v_and_b32_e32 v14, 7, v14
	v_cmp_gt_u32_e32 vcc, 8, v23
	v_mov_b32_e32 v23, 24
	v_cndmask_b32_e32 v15, v27, v15, vcc
	v_cndmask_b32_e32 v14, v25, v14, vcc
	v_lshlrev_b32_sdwa v23, v23, v16 dst_sel:DWORD dst_unused:UNUSED_PAD src0_sel:DWORD src1_sel:WORD_1
	v_bfrev_b32_e32 v25, 60
	v_lshlrev_b32_e32 v14, 20, v14
	v_and_b32_e32 v23, 0x80000000, v23
	v_lshl_add_u32 v15, v15, 23, v25
	v_or3_b32 v15, v23, v15, v14
.LBB557_463:
	s_or_b64 exec, exec, s[10:11]
.LBB557_464:
	s_or_b64 exec, exec, s[8:9]
.LBB557_465:
	s_or_b64 exec, exec, s[2:3]
	s_mov_b32 s2, 0xffffff
	v_cmp_lt_u32_e32 vcc, s2, v16
	v_mov_b32_e32 v25, 0
	v_mov_b32_e32 v27, 0
	s_and_saveexec_b64 s[2:3], vcc
	s_cbranch_execz .LBB557_471
; %bb.466:
	v_lshrrev_b32_e32 v14, 24, v16
	s_movk_i32 s7, 0x80
	v_cmp_ne_u32_e32 vcc, s7, v14
	v_bfrev_b32_e32 v27, 1
	s_and_saveexec_b64 s[8:9], vcc
	s_cbranch_execz .LBB557_470
; %bb.467:
	v_bfe_u32 v16, v16, 24, 7
	s_movk_i32 s7, 0x7f
	v_cmp_ne_u32_e32 vcc, s7, v16
	v_mov_b32_e32 v27, 0x7f800001
	s_and_saveexec_b64 s[10:11], vcc
	s_cbranch_execz .LBB557_469
; %bb.468:
	v_and_b32_e32 v23, 7, v14
	v_ffbh_u32_e32 v28, v23
	v_min_u32_e32 v30, 32, v28
	v_subrev_u32_e32 v28, 28, v30
	v_lshlrev_b64 v[28:29], v28, v[14:15]
	v_lshrrev_b32_e32 v27, 3, v16
	v_sub_u32_e32 v29, 29, v30
	v_and_b32_e32 v28, 7, v28
	v_cmp_gt_u32_e32 vcc, 8, v16
	v_cndmask_b32_e32 v16, v27, v29, vcc
	v_cndmask_b32_e32 v23, v23, v28, vcc
	v_lshlrev_b32_e32 v14, 24, v14
	v_bfrev_b32_e32 v27, 60
	v_lshlrev_b32_e32 v23, 20, v23
	v_and_b32_e32 v14, 0x80000000, v14
	v_lshl_add_u32 v16, v16, 23, v27
	v_or3_b32 v27, v14, v16, v23
.LBB557_469:
	s_or_b64 exec, exec, s[10:11]
.LBB557_470:
	s_or_b64 exec, exec, s[8:9]
.LBB557_471:
	s_or_b64 exec, exec, s[2:3]
	v_cmp_ne_u16_sdwa s[8:9], v17, v25 src0_sel:BYTE_0 src1_sel:DWORD
	s_and_saveexec_b64 s[2:3], s[8:9]
	s_cbranch_execz .LBB557_477
; %bb.472:
	s_movk_i32 s7, 0x80
	v_cmp_ne_u16_sdwa s[10:11], v17, s7 src0_sel:BYTE_0 src1_sel:DWORD
	v_bfrev_b32_e32 v25, 1
	s_and_saveexec_b64 s[8:9], s[10:11]
	s_cbranch_execz .LBB557_476
; %bb.473:
	s_movk_i32 s7, 0x7f
	v_and_b32_e32 v14, 0x7f, v17
	v_cmp_ne_u32_e32 vcc, s7, v14
	v_mov_b32_e32 v25, 0x7f800001
	s_and_saveexec_b64 s[10:11], vcc
	s_cbranch_execz .LBB557_475
; %bb.474:
	v_and_b32_e32 v23, 7, v17
	v_ffbh_u32_e32 v28, v23
	v_min_u32_e32 v30, 32, v28
	v_mov_b32_e32 v16, v17
	v_subrev_u32_e32 v28, 28, v30
	v_lshlrev_b64 v[28:29], v28, v[16:17]
	v_lshrrev_b32_e32 v25, 3, v14
	v_sub_u32_e32 v16, 29, v30
	v_and_b32_e32 v28, 7, v28
	v_cmp_gt_u32_e32 vcc, 8, v14
	v_cndmask_b32_e32 v14, v25, v16, vcc
	v_cndmask_b32_e32 v16, v23, v28, vcc
	v_lshlrev_b32_e32 v23, 24, v17
	v_bfrev_b32_e32 v25, 60
	v_lshlrev_b32_e32 v16, 20, v16
	v_and_b32_e32 v23, 0x80000000, v23
	v_lshl_add_u32 v14, v14, 23, v25
	v_or3_b32 v25, v23, v14, v16
.LBB557_475:
	s_or_b64 exec, exec, s[10:11]
.LBB557_476:
	s_or_b64 exec, exec, s[8:9]
.LBB557_477:
	s_or_b64 exec, exec, s[2:3]
	v_lshrrev_b16_e32 v14, 8, v17
	v_cmp_ne_u16_e32 vcc, 0, v14
	v_mov_b32_e32 v16, 0
	v_mov_b32_e32 v28, 0
	s_and_saveexec_b64 s[2:3], vcc
	s_cbranch_execz .LBB557_483
; %bb.478:
	s_movk_i32 s7, 0x80
	v_cmp_ne_u16_e32 vcc, s7, v14
	v_bfrev_b32_e32 v28, 1
	s_and_saveexec_b64 s[8:9], vcc
	s_cbranch_execz .LBB557_482
; %bb.479:
	s_movk_i32 s7, 0x7f
	v_and_b32_e32 v23, 0x7f, v14
	v_cmp_ne_u32_e32 vcc, s7, v23
	v_mov_b32_e32 v28, 0x7f800001
	s_and_saveexec_b64 s[10:11], vcc
	s_cbranch_execz .LBB557_481
; %bb.480:
	v_and_b32_e32 v30, 7, v14
	v_ffbh_u32_e32 v28, v30
	v_min_u32_e32 v32, 32, v28
	v_subrev_u32_e32 v28, 28, v32
	v_lshlrev_b64 v[28:29], v28, v[14:15]
	v_lshrrev_b32_e32 v31, 3, v23
	v_sub_u32_e32 v14, 29, v32
	v_and_b32_e32 v28, 7, v28
	v_cmp_gt_u32_e32 vcc, 8, v23
	v_cndmask_b32_e32 v14, v31, v14, vcc
	v_cndmask_b32_e32 v23, v30, v28, vcc
	v_lshlrev_b32_e32 v28, 16, v17
	v_bfrev_b32_e32 v29, 60
	v_lshlrev_b32_e32 v23, 20, v23
	v_and_b32_e32 v28, 0x80000000, v28
	v_lshl_add_u32 v14, v14, 23, v29
	v_or3_b32 v28, v28, v14, v23
.LBB557_481:
	s_or_b64 exec, exec, s[10:11]
.LBB557_482:
	s_or_b64 exec, exec, s[8:9]
.LBB557_483:
	s_or_b64 exec, exec, s[2:3]
	s_movk_i32 s2, 0xff
	v_and_b32_sdwa v23, v17, s2 dst_sel:DWORD dst_unused:UNUSED_PAD src0_sel:WORD_1 src1_sel:DWORD
	v_lshrrev_b32_e32 v14, 16, v17
	v_cmp_ne_u16_e32 vcc, 0, v23
	s_and_saveexec_b64 s[2:3], vcc
	s_cbranch_execz .LBB557_489
; %bb.484:
	s_movk_i32 s7, 0x80
	v_cmp_ne_u16_e32 vcc, s7, v23
	v_bfrev_b32_e32 v16, 1
	s_and_saveexec_b64 s[8:9], vcc
	s_cbranch_execz .LBB557_488
; %bb.485:
	v_bfe_u32 v23, v17, 16, 7
	s_movk_i32 s7, 0x7f
	v_cmp_ne_u32_e32 vcc, s7, v23
	v_mov_b32_e32 v16, 0x7f800001
	s_and_saveexec_b64 s[10:11], vcc
	s_cbranch_execz .LBB557_487
; %bb.486:
	v_and_b32_e32 v16, 7, v14
	v_ffbh_u32_e32 v30, v16
	v_min_u32_e32 v32, 32, v30
	v_subrev_u32_e32 v30, 28, v32
	v_lshlrev_b64 v[30:31], v30, v[14:15]
	v_lshrrev_b32_e32 v29, 3, v23
	v_sub_u32_e32 v14, 29, v32
	v_and_b32_e32 v30, 7, v30
	v_cmp_gt_u32_e32 vcc, 8, v23
	v_mov_b32_e32 v23, 24
	v_cndmask_b32_e32 v14, v29, v14, vcc
	v_cndmask_b32_e32 v16, v16, v30, vcc
	v_lshlrev_b32_sdwa v23, v23, v17 dst_sel:DWORD dst_unused:UNUSED_PAD src0_sel:DWORD src1_sel:WORD_1
	v_bfrev_b32_e32 v29, 60
	v_lshlrev_b32_e32 v16, 20, v16
	v_and_b32_e32 v23, 0x80000000, v23
	v_lshl_add_u32 v14, v14, 23, v29
	v_or3_b32 v16, v23, v14, v16
.LBB557_487:
	s_or_b64 exec, exec, s[10:11]
.LBB557_488:
	s_or_b64 exec, exec, s[8:9]
.LBB557_489:
	s_or_b64 exec, exec, s[2:3]
	s_mov_b32 s2, 0xffffff
	v_cmp_lt_u32_e32 vcc, s2, v17
	v_mov_b32_e32 v23, 0
	v_mov_b32_e32 v29, 0
	s_and_saveexec_b64 s[2:3], vcc
	s_cbranch_execz .LBB557_495
; %bb.490:
	v_lshrrev_b32_e32 v14, 24, v17
	s_movk_i32 s7, 0x80
	v_cmp_ne_u32_e32 vcc, s7, v14
	v_bfrev_b32_e32 v29, 1
	s_and_saveexec_b64 s[8:9], vcc
	s_cbranch_execz .LBB557_494
; %bb.491:
	v_bfe_u32 v17, v17, 24, 7
	s_movk_i32 s7, 0x7f
	v_cmp_ne_u32_e32 vcc, s7, v17
	v_mov_b32_e32 v29, 0x7f800001
	s_and_saveexec_b64 s[10:11], vcc
	s_cbranch_execz .LBB557_493
; %bb.492:
	v_and_b32_e32 v29, 7, v14
	v_ffbh_u32_e32 v30, v29
	v_min_u32_e32 v33, 32, v30
	v_subrev_u32_e32 v30, 28, v33
	v_lshlrev_b64 v[30:31], v30, v[14:15]
	v_lshrrev_b32_e32 v32, 3, v17
	v_sub_u32_e32 v31, 29, v33
	v_and_b32_e32 v30, 7, v30
	v_cmp_gt_u32_e32 vcc, 8, v17
	v_cndmask_b32_e32 v17, v32, v31, vcc
	v_cndmask_b32_e32 v29, v29, v30, vcc
	v_lshlrev_b32_e32 v14, 24, v14
	v_bfrev_b32_e32 v30, 60
	v_lshlrev_b32_e32 v29, 20, v29
	v_and_b32_e32 v14, 0x80000000, v14
	v_lshl_add_u32 v17, v17, 23, v30
	v_or3_b32 v29, v14, v17, v29
.LBB557_493:
	s_or_b64 exec, exec, s[10:11]
.LBB557_494:
	s_or_b64 exec, exec, s[8:9]
.LBB557_495:
	s_or_b64 exec, exec, s[2:3]
	v_cvt_pkrtz_f16_f32 v14, v22, v24
	v_cvt_pkrtz_f16_f32 v15, v15, v27
	ds_read_b128 v[30:33], v50 offset:16
	s_waitcnt vmcnt(2)
	v_cmp_ne_u16_sdwa s[8:9], v10, v23 src0_sel:BYTE_0 src1_sel:DWORD
	s_waitcnt lgkmcnt(0)
	v_mfma_f32_16x16x16f16 v[18:21], v[14:15], v[30:31], v[18:21]
	v_cvt_pkrtz_f16_f32 v14, v25, v28
	v_cvt_pkrtz_f16_f32 v15, v16, v29
	s_nop 1
	v_mfma_f32_16x16x16f16 v[14:17], v[14:15], v[32:33], v[18:21]
	s_and_saveexec_b64 s[2:3], s[8:9]
	s_cbranch_execz .LBB557_501
; %bb.496:
	s_movk_i32 s7, 0x80
	v_cmp_ne_u16_sdwa s[10:11], v10, s7 src0_sel:BYTE_0 src1_sel:DWORD
	v_bfrev_b32_e32 v23, 1
	s_and_saveexec_b64 s[8:9], s[10:11]
	s_cbranch_execz .LBB557_500
; %bb.497:
	s_movk_i32 s7, 0x7f
	v_and_b32_e32 v18, 0x7f, v10
	v_cmp_ne_u32_e32 vcc, s7, v18
	v_mov_b32_e32 v23, 0x7f800001
	s_and_saveexec_b64 s[10:11], vcc
	s_cbranch_execz .LBB557_499
; %bb.498:
	v_and_b32_e32 v19, 7, v10
	v_ffbh_u32_e32 v20, v19
	v_min_u32_e32 v23, 32, v20
	v_subrev_u32_e32 v20, 28, v23
	v_lshlrev_b64 v[20:21], v20, v[10:11]
	v_lshrrev_b32_e32 v22, 3, v18
	v_sub_u32_e32 v21, 29, v23
	v_and_b32_e32 v20, 7, v20
	v_cmp_gt_u32_e32 vcc, 8, v18
	v_cndmask_b32_e32 v18, v22, v21, vcc
	v_cndmask_b32_e32 v19, v19, v20, vcc
	v_lshlrev_b32_e32 v20, 24, v10
	v_bfrev_b32_e32 v21, 60
	v_lshlrev_b32_e32 v19, 20, v19
	v_and_b32_e32 v20, 0x80000000, v20
	v_lshl_add_u32 v18, v18, 23, v21
	v_or3_b32 v23, v20, v18, v19
.LBB557_499:
	s_or_b64 exec, exec, s[10:11]
.LBB557_500:
	s_or_b64 exec, exec, s[8:9]
.LBB557_501:
	s_or_b64 exec, exec, s[2:3]
	s_nop 3
	v_lshrrev_b16_e32 v18, 8, v10
	v_cmp_ne_u16_e32 vcc, 0, v18
	v_mov_b32_e32 v19, 0
	v_mov_b32_e32 v20, 0
	s_and_saveexec_b64 s[2:3], vcc
	s_cbranch_execz .LBB557_507
; %bb.502:
	s_movk_i32 s7, 0x80
	v_cmp_ne_u16_e32 vcc, s7, v18
	v_bfrev_b32_e32 v20, 1
	s_and_saveexec_b64 s[8:9], vcc
	s_cbranch_execz .LBB557_506
; %bb.503:
	s_movk_i32 s7, 0x7f
	v_and_b32_e32 v21, 0x7f, v18
	v_cmp_ne_u32_e32 vcc, s7, v21
	v_mov_b32_e32 v20, 0x7f800001
	s_and_saveexec_b64 s[10:11], vcc
	s_cbranch_execz .LBB557_505
; %bb.504:
	v_and_b32_e32 v20, 7, v18
	v_ffbh_u32_e32 v24, v20
	v_min_u32_e32 v27, 32, v24
	v_subrev_u32_e32 v24, 28, v27
	v_lshlrev_b64 v[24:25], v24, v[18:19]
	v_lshrrev_b32_e32 v22, 3, v21
	v_sub_u32_e32 v18, 29, v27
	v_and_b32_e32 v24, 7, v24
	v_cmp_gt_u32_e32 vcc, 8, v21
	v_cndmask_b32_e32 v18, v22, v18, vcc
	v_cndmask_b32_e32 v20, v20, v24, vcc
	v_lshlrev_b32_e32 v21, 16, v10
	v_bfrev_b32_e32 v22, 60
	v_lshlrev_b32_e32 v20, 20, v20
	v_and_b32_e32 v21, 0x80000000, v21
	v_lshl_add_u32 v18, v18, 23, v22
	v_or3_b32 v20, v21, v18, v20
.LBB557_505:
	s_or_b64 exec, exec, s[10:11]
.LBB557_506:
	s_or_b64 exec, exec, s[8:9]
.LBB557_507:
	s_or_b64 exec, exec, s[2:3]
	s_movk_i32 s2, 0xff
	v_and_b32_sdwa v21, v10, s2 dst_sel:DWORD dst_unused:UNUSED_PAD src0_sel:WORD_1 src1_sel:DWORD
	v_lshrrev_b32_e32 v18, 16, v10
	v_cmp_ne_u16_e32 vcc, 0, v21
	s_and_saveexec_b64 s[2:3], vcc
	s_cbranch_execz .LBB557_513
; %bb.508:
	s_movk_i32 s7, 0x80
	v_cmp_ne_u16_e32 vcc, s7, v21
	v_bfrev_b32_e32 v19, 1
	s_and_saveexec_b64 s[8:9], vcc
	s_cbranch_execz .LBB557_512
; %bb.509:
	v_bfe_u32 v21, v10, 16, 7
	s_movk_i32 s7, 0x7f
	v_cmp_ne_u32_e32 vcc, s7, v21
	v_mov_b32_e32 v19, 0x7f800001
	s_and_saveexec_b64 s[10:11], vcc
	s_cbranch_execz .LBB557_511
; %bb.510:
	v_and_b32_e32 v22, 7, v18
	v_ffbh_u32_e32 v19, v22
	v_min_u32_e32 v25, 32, v19
	v_subrev_u32_e32 v19, 28, v25
	v_lshlrev_b64 v[18:19], v19, v[18:19]
	v_lshrrev_b32_e32 v24, 3, v21
	v_sub_u32_e32 v19, 29, v25
	v_and_b32_e32 v18, 7, v18
	v_cmp_gt_u32_e32 vcc, 8, v21
	v_mov_b32_e32 v21, 24
	v_cndmask_b32_e32 v19, v24, v19, vcc
	v_cndmask_b32_e32 v18, v22, v18, vcc
	v_lshlrev_b32_sdwa v21, v21, v10 dst_sel:DWORD dst_unused:UNUSED_PAD src0_sel:DWORD src1_sel:WORD_1
	v_bfrev_b32_e32 v22, 60
	v_lshlrev_b32_e32 v18, 20, v18
	v_and_b32_e32 v21, 0x80000000, v21
	v_lshl_add_u32 v19, v19, 23, v22
	v_or3_b32 v19, v21, v19, v18
.LBB557_511:
	s_or_b64 exec, exec, s[10:11]
.LBB557_512:
	s_or_b64 exec, exec, s[8:9]
.LBB557_513:
	s_or_b64 exec, exec, s[2:3]
	s_mov_b32 s2, 0xffffff
	v_cmp_lt_u32_e32 vcc, s2, v10
	v_mov_b32_e32 v21, 0
	v_mov_b32_e32 v22, 0
	s_and_saveexec_b64 s[2:3], vcc
	s_cbranch_execz .LBB557_519
; %bb.514:
	v_lshrrev_b32_e32 v18, 24, v10
	s_movk_i32 s7, 0x80
	v_cmp_ne_u32_e32 vcc, s7, v18
	v_bfrev_b32_e32 v22, 1
	s_and_saveexec_b64 s[8:9], vcc
	s_cbranch_execz .LBB557_518
; %bb.515:
	v_bfe_u32 v10, v10, 24, 7
	s_movk_i32 s7, 0x7f
	v_cmp_ne_u32_e32 vcc, s7, v10
	v_mov_b32_e32 v22, 0x7f800001
	s_and_saveexec_b64 s[10:11], vcc
	s_cbranch_execz .LBB557_517
; %bb.516:
	v_and_b32_e32 v22, 7, v18
	v_ffbh_u32_e32 v24, v22
	v_min_u32_e32 v28, 32, v24
	v_subrev_u32_e32 v24, 28, v28
	v_lshlrev_b64 v[24:25], v24, v[18:19]
	v_lshrrev_b32_e32 v27, 3, v10
	v_sub_u32_e32 v25, 29, v28
	v_and_b32_e32 v24, 7, v24
	v_cmp_gt_u32_e32 vcc, 8, v10
	v_cndmask_b32_e32 v10, v27, v25, vcc
	v_cndmask_b32_e32 v22, v22, v24, vcc
	v_lshlrev_b32_e32 v18, 24, v18
	v_bfrev_b32_e32 v24, 60
	v_lshlrev_b32_e32 v22, 20, v22
	v_and_b32_e32 v18, 0x80000000, v18
	v_lshl_add_u32 v10, v10, 23, v24
	v_or3_b32 v22, v18, v10, v22
.LBB557_517:
	s_or_b64 exec, exec, s[10:11]
.LBB557_518:
	s_or_b64 exec, exec, s[8:9]
.LBB557_519:
	s_or_b64 exec, exec, s[2:3]
	v_cmp_ne_u16_sdwa s[8:9], v11, v21 src0_sel:BYTE_0 src1_sel:DWORD
	s_and_saveexec_b64 s[2:3], s[8:9]
	s_cbranch_execz .LBB557_525
; %bb.520:
	s_movk_i32 s7, 0x80
	v_cmp_ne_u16_sdwa s[10:11], v11, s7 src0_sel:BYTE_0 src1_sel:DWORD
	v_bfrev_b32_e32 v21, 1
	s_and_saveexec_b64 s[8:9], s[10:11]
	s_cbranch_execz .LBB557_524
; %bb.521:
	s_movk_i32 s7, 0x7f
	v_and_b32_e32 v10, 0x7f, v11
	v_cmp_ne_u32_e32 vcc, s7, v10
	v_mov_b32_e32 v21, 0x7f800001
	s_and_saveexec_b64 s[10:11], vcc
	s_cbranch_execz .LBB557_523
; %bb.522:
	v_and_b32_e32 v21, 7, v11
	v_ffbh_u32_e32 v24, v21
	v_min_u32_e32 v28, 32, v24
	v_mov_b32_e32 v18, v11
	v_subrev_u32_e32 v24, 28, v28
	v_lshlrev_b64 v[24:25], v24, v[18:19]
	v_lshrrev_b32_e32 v27, 3, v10
	v_sub_u32_e32 v18, 29, v28
	v_and_b32_e32 v24, 7, v24
	v_cmp_gt_u32_e32 vcc, 8, v10
	v_cndmask_b32_e32 v10, v27, v18, vcc
	v_cndmask_b32_e32 v18, v21, v24, vcc
	v_lshlrev_b32_e32 v21, 24, v11
	v_bfrev_b32_e32 v24, 60
	v_lshlrev_b32_e32 v18, 20, v18
	v_and_b32_e32 v21, 0x80000000, v21
	v_lshl_add_u32 v10, v10, 23, v24
	v_or3_b32 v21, v21, v10, v18
.LBB557_523:
	s_or_b64 exec, exec, s[10:11]
.LBB557_524:
	s_or_b64 exec, exec, s[8:9]
.LBB557_525:
	s_or_b64 exec, exec, s[2:3]
	v_lshrrev_b16_e32 v10, 8, v11
	v_cmp_ne_u16_e32 vcc, 0, v10
	v_mov_b32_e32 v24, 0
	v_mov_b32_e32 v25, 0
	s_and_saveexec_b64 s[2:3], vcc
	s_cbranch_execz .LBB557_531
; %bb.526:
	s_movk_i32 s7, 0x80
	v_cmp_ne_u16_e32 vcc, s7, v10
	v_bfrev_b32_e32 v25, 1
	s_and_saveexec_b64 s[8:9], vcc
	s_cbranch_execz .LBB557_530
; %bb.527:
	s_movk_i32 s7, 0x7f
	v_and_b32_e32 v18, 0x7f, v10
	v_cmp_ne_u32_e32 vcc, s7, v18
	v_mov_b32_e32 v25, 0x7f800001
	s_and_saveexec_b64 s[10:11], vcc
	s_cbranch_execz .LBB557_529
; %bb.528:
	v_and_b32_e32 v25, 7, v10
	v_ffbh_u32_e32 v28, v25
	v_min_u32_e32 v30, 32, v28
	v_subrev_u32_e32 v28, 28, v30
	v_lshlrev_b64 v[28:29], v28, v[10:11]
	v_lshrrev_b32_e32 v27, 3, v18
	v_sub_u32_e32 v10, 29, v30
	v_and_b32_e32 v28, 7, v28
	v_cmp_gt_u32_e32 vcc, 8, v18
	v_cndmask_b32_e32 v10, v27, v10, vcc
	v_cndmask_b32_e32 v18, v25, v28, vcc
	v_lshlrev_b32_e32 v25, 16, v11
	v_bfrev_b32_e32 v27, 60
	v_lshlrev_b32_e32 v18, 20, v18
	v_and_b32_e32 v25, 0x80000000, v25
	v_lshl_add_u32 v10, v10, 23, v27
	v_or3_b32 v25, v25, v10, v18
.LBB557_529:
	s_or_b64 exec, exec, s[10:11]
.LBB557_530:
	s_or_b64 exec, exec, s[8:9]
.LBB557_531:
	s_or_b64 exec, exec, s[2:3]
	s_movk_i32 s2, 0xff
	v_and_b32_sdwa v18, v11, s2 dst_sel:DWORD dst_unused:UNUSED_PAD src0_sel:WORD_1 src1_sel:DWORD
	v_lshrrev_b32_e32 v10, 16, v11
	v_cmp_ne_u16_e32 vcc, 0, v18
	s_and_saveexec_b64 s[2:3], vcc
	s_cbranch_execz .LBB557_537
; %bb.532:
	s_movk_i32 s7, 0x80
	v_cmp_ne_u16_e32 vcc, s7, v18
	v_bfrev_b32_e32 v24, 1
	s_and_saveexec_b64 s[8:9], vcc
	s_cbranch_execz .LBB557_536
; %bb.533:
	v_bfe_u32 v18, v11, 16, 7
	s_movk_i32 s7, 0x7f
	v_cmp_ne_u32_e32 vcc, s7, v18
	v_mov_b32_e32 v24, 0x7f800001
	s_and_saveexec_b64 s[10:11], vcc
	s_cbranch_execz .LBB557_535
; %bb.534:
	v_and_b32_e32 v24, 7, v10
	v_ffbh_u32_e32 v28, v24
	v_min_u32_e32 v30, 32, v28
	v_subrev_u32_e32 v28, 28, v30
	v_lshlrev_b64 v[28:29], v28, v[10:11]
	v_and_b32_e32 v28, 7, v28
	v_cmp_gt_u32_e32 vcc, 8, v18
	v_lshrrev_b32_e32 v27, 3, v18
	v_sub_u32_e32 v10, 29, v30
	v_cndmask_b32_e32 v18, v24, v28, vcc
	v_mov_b32_e32 v24, 24
	v_cndmask_b32_e32 v10, v27, v10, vcc
	v_lshlrev_b32_sdwa v24, v24, v11 dst_sel:DWORD dst_unused:UNUSED_PAD src0_sel:DWORD src1_sel:WORD_1
	v_bfrev_b32_e32 v27, 60
	v_lshlrev_b32_e32 v18, 20, v18
	v_and_b32_e32 v24, 0x80000000, v24
	v_lshl_add_u32 v10, v10, 23, v27
	v_or3_b32 v24, v24, v10, v18
.LBB557_535:
	s_or_b64 exec, exec, s[10:11]
.LBB557_536:
	s_or_b64 exec, exec, s[8:9]
.LBB557_537:
	s_or_b64 exec, exec, s[2:3]
	s_mov_b32 s2, 0xffffff
	v_cmp_lt_u32_e32 vcc, s2, v11
	v_mov_b32_e32 v18, 0
	v_mov_b32_e32 v27, 0
	s_and_saveexec_b64 s[2:3], vcc
	s_cbranch_execz .LBB557_543
; %bb.538:
	v_lshrrev_b32_e32 v10, 24, v11
	s_movk_i32 s7, 0x80
	v_cmp_ne_u32_e32 vcc, s7, v10
	v_bfrev_b32_e32 v27, 1
	s_and_saveexec_b64 s[8:9], vcc
	s_cbranch_execz .LBB557_542
; %bb.539:
	v_bfe_u32 v11, v11, 24, 7
	s_movk_i32 s7, 0x7f
	v_cmp_ne_u32_e32 vcc, s7, v11
	v_mov_b32_e32 v27, 0x7f800001
	s_and_saveexec_b64 s[10:11], vcc
	s_cbranch_execz .LBB557_541
; %bb.540:
	v_and_b32_e32 v27, 7, v10
	v_ffbh_u32_e32 v28, v27
	v_min_u32_e32 v31, 32, v28
	v_subrev_u32_e32 v28, 28, v31
	v_lshlrev_b64 v[28:29], v28, v[10:11]
	v_lshrrev_b32_e32 v30, 3, v11
	v_sub_u32_e32 v29, 29, v31
	v_and_b32_e32 v28, 7, v28
	v_cmp_gt_u32_e32 vcc, 8, v11
	v_cndmask_b32_e32 v11, v30, v29, vcc
	v_cndmask_b32_e32 v27, v27, v28, vcc
	v_lshlrev_b32_e32 v10, 24, v10
	v_bfrev_b32_e32 v28, 60
	v_lshlrev_b32_e32 v27, 20, v27
	v_and_b32_e32 v10, 0x80000000, v10
	v_lshl_add_u32 v11, v11, 23, v28
	v_or3_b32 v27, v10, v11, v27
.LBB557_541:
	s_or_b64 exec, exec, s[10:11]
.LBB557_542:
	s_or_b64 exec, exec, s[8:9]
.LBB557_543:
	s_or_b64 exec, exec, s[2:3]
	v_cvt_pkrtz_f16_f32 v10, v23, v20
	v_cvt_pkrtz_f16_f32 v11, v19, v22
	ds_read_b128 v[28:31], v50 offset:2048
	v_cmp_ne_u16_sdwa s[8:9], v12, v18 src0_sel:BYTE_0 src1_sel:DWORD
	s_waitcnt lgkmcnt(0)
	v_mfma_f32_16x16x16f16 v[14:17], v[10:11], v[28:29], v[14:17]
	v_cvt_pkrtz_f16_f32 v10, v21, v25
	v_cvt_pkrtz_f16_f32 v11, v24, v27
	s_nop 1
	v_mfma_f32_16x16x16f16 v[14:17], v[10:11], v[30:31], v[14:17]
	s_and_saveexec_b64 s[2:3], s[8:9]
	s_cbranch_execz .LBB557_549
; %bb.544:
	s_movk_i32 s7, 0x80
	v_cmp_ne_u16_sdwa s[10:11], v12, s7 src0_sel:BYTE_0 src1_sel:DWORD
	v_bfrev_b32_e32 v18, 1
	s_and_saveexec_b64 s[8:9], s[10:11]
	s_cbranch_execz .LBB557_548
; %bb.545:
	s_movk_i32 s7, 0x7f
	v_and_b32_e32 v10, 0x7f, v12
	v_cmp_ne_u32_e32 vcc, s7, v10
	v_mov_b32_e32 v18, 0x7f800001
	s_and_saveexec_b64 s[10:11], vcc
	s_cbranch_execz .LBB557_547
; %bb.546:
	v_and_b32_e32 v11, 7, v12
	v_ffbh_u32_e32 v18, v11
	v_min_u32_e32 v21, 32, v18
	v_subrev_u32_e32 v18, 28, v21
	v_lshlrev_b64 v[18:19], v18, v[12:13]
	v_lshrrev_b32_e32 v20, 3, v10
	v_sub_u32_e32 v19, 29, v21
	v_and_b32_e32 v18, 7, v18
	v_cmp_gt_u32_e32 vcc, 8, v10
	v_cndmask_b32_e32 v10, v20, v19, vcc
	v_cndmask_b32_e32 v11, v11, v18, vcc
	v_lshlrev_b32_e32 v18, 24, v12
	v_bfrev_b32_e32 v19, 60
	v_lshlrev_b32_e32 v11, 20, v11
	v_and_b32_e32 v18, 0x80000000, v18
	v_lshl_add_u32 v10, v10, 23, v19
	v_or3_b32 v18, v18, v10, v11
.LBB557_547:
	s_or_b64 exec, exec, s[10:11]
.LBB557_548:
	s_or_b64 exec, exec, s[8:9]
.LBB557_549:
	s_or_b64 exec, exec, s[2:3]
	v_lshrrev_b16_e32 v10, 8, v12
	v_cmp_ne_u16_e32 vcc, 0, v10
	v_mov_b32_e32 v11, 0
	v_mov_b32_e32 v20, 0
	s_and_saveexec_b64 s[2:3], vcc
	s_cbranch_execz .LBB557_555
; %bb.550:
	s_movk_i32 s7, 0x80
	v_cmp_ne_u16_e32 vcc, s7, v10
	v_bfrev_b32_e32 v20, 1
	s_and_saveexec_b64 s[8:9], vcc
	s_cbranch_execz .LBB557_554
; %bb.551:
	s_movk_i32 s7, 0x7f
	v_and_b32_e32 v19, 0x7f, v10
	v_cmp_ne_u32_e32 vcc, s7, v19
	v_mov_b32_e32 v20, 0x7f800001
	s_and_saveexec_b64 s[10:11], vcc
	s_cbranch_execz .LBB557_553
; %bb.552:
	v_and_b32_e32 v22, 7, v10
	v_ffbh_u32_e32 v20, v22
	v_min_u32_e32 v24, 32, v20
	v_subrev_u32_e32 v20, 28, v24
	v_lshlrev_b64 v[20:21], v20, v[10:11]
	v_lshrrev_b32_e32 v23, 3, v19
	v_sub_u32_e32 v10, 29, v24
	v_and_b32_e32 v20, 7, v20
	v_cmp_gt_u32_e32 vcc, 8, v19
	v_cndmask_b32_e32 v10, v23, v10, vcc
	v_cndmask_b32_e32 v19, v22, v20, vcc
	v_lshlrev_b32_e32 v20, 16, v12
	v_bfrev_b32_e32 v21, 60
	v_lshlrev_b32_e32 v19, 20, v19
	v_and_b32_e32 v20, 0x80000000, v20
	v_lshl_add_u32 v10, v10, 23, v21
	v_or3_b32 v20, v20, v10, v19
.LBB557_553:
	s_or_b64 exec, exec, s[10:11]
.LBB557_554:
	s_or_b64 exec, exec, s[8:9]
.LBB557_555:
	s_or_b64 exec, exec, s[2:3]
	s_movk_i32 s2, 0xff
	v_and_b32_sdwa v19, v12, s2 dst_sel:DWORD dst_unused:UNUSED_PAD src0_sel:WORD_1 src1_sel:DWORD
	v_lshrrev_b32_e32 v10, 16, v12
	v_cmp_ne_u16_e32 vcc, 0, v19
	s_and_saveexec_b64 s[2:3], vcc
	s_cbranch_execz .LBB557_561
; %bb.556:
	s_movk_i32 s7, 0x80
	v_cmp_ne_u16_e32 vcc, s7, v19
	v_bfrev_b32_e32 v11, 1
	s_and_saveexec_b64 s[8:9], vcc
	s_cbranch_execz .LBB557_560
; %bb.557:
	v_bfe_u32 v19, v12, 16, 7
	s_movk_i32 s7, 0x7f
	v_cmp_ne_u32_e32 vcc, s7, v19
	v_mov_b32_e32 v11, 0x7f800001
	s_and_saveexec_b64 s[10:11], vcc
	s_cbranch_execz .LBB557_559
; %bb.558:
	v_and_b32_e32 v21, 7, v10
	v_ffbh_u32_e32 v11, v21
	v_min_u32_e32 v23, 32, v11
	v_subrev_u32_e32 v11, 28, v23
	v_lshlrev_b64 v[10:11], v11, v[10:11]
	v_lshrrev_b32_e32 v22, 3, v19
	v_sub_u32_e32 v11, 29, v23
	v_and_b32_e32 v10, 7, v10
	v_cmp_gt_u32_e32 vcc, 8, v19
	v_mov_b32_e32 v19, 24
	v_cndmask_b32_e32 v11, v22, v11, vcc
	v_cndmask_b32_e32 v10, v21, v10, vcc
	v_lshlrev_b32_sdwa v19, v19, v12 dst_sel:DWORD dst_unused:UNUSED_PAD src0_sel:DWORD src1_sel:WORD_1
	v_bfrev_b32_e32 v21, 60
	v_lshlrev_b32_e32 v10, 20, v10
	v_and_b32_e32 v19, 0x80000000, v19
	v_lshl_add_u32 v11, v11, 23, v21
	v_or3_b32 v11, v19, v11, v10
.LBB557_559:
	s_or_b64 exec, exec, s[10:11]
.LBB557_560:
	s_or_b64 exec, exec, s[8:9]
.LBB557_561:
	s_or_b64 exec, exec, s[2:3]
	s_mov_b32 s2, 0xffffff
	v_cmp_lt_u32_e32 vcc, s2, v12
	v_mov_b32_e32 v21, 0
	v_mov_b32_e32 v22, 0
	s_and_saveexec_b64 s[2:3], vcc
	s_cbranch_execz .LBB557_567
; %bb.562:
	v_lshrrev_b32_e32 v10, 24, v12
	s_movk_i32 s7, 0x80
	v_cmp_ne_u32_e32 vcc, s7, v10
	v_bfrev_b32_e32 v22, 1
	s_and_saveexec_b64 s[8:9], vcc
	s_cbranch_execz .LBB557_566
; %bb.563:
	v_bfe_u32 v12, v12, 24, 7
	s_movk_i32 s7, 0x7f
	v_cmp_ne_u32_e32 vcc, s7, v12
	v_mov_b32_e32 v22, 0x7f800001
	s_and_saveexec_b64 s[10:11], vcc
	s_cbranch_execz .LBB557_565
; %bb.564:
	v_and_b32_e32 v19, 7, v10
	v_ffbh_u32_e32 v22, v19
	v_min_u32_e32 v25, 32, v22
	v_subrev_u32_e32 v22, 28, v25
	v_lshlrev_b64 v[22:23], v22, v[10:11]
	v_lshrrev_b32_e32 v24, 3, v12
	v_sub_u32_e32 v23, 29, v25
	v_and_b32_e32 v22, 7, v22
	v_cmp_gt_u32_e32 vcc, 8, v12
	v_cndmask_b32_e32 v12, v24, v23, vcc
	v_cndmask_b32_e32 v19, v19, v22, vcc
	v_lshlrev_b32_e32 v10, 24, v10
	v_bfrev_b32_e32 v22, 60
	v_lshlrev_b32_e32 v19, 20, v19
	v_and_b32_e32 v10, 0x80000000, v10
	v_lshl_add_u32 v12, v12, 23, v22
	v_or3_b32 v22, v10, v12, v19
.LBB557_565:
	s_or_b64 exec, exec, s[10:11]
.LBB557_566:
	s_or_b64 exec, exec, s[8:9]
.LBB557_567:
	s_or_b64 exec, exec, s[2:3]
	v_cmp_ne_u16_sdwa s[8:9], v13, v21 src0_sel:BYTE_0 src1_sel:DWORD
	s_and_saveexec_b64 s[2:3], s[8:9]
	s_cbranch_execz .LBB557_573
; %bb.568:
	s_movk_i32 s7, 0x80
	v_cmp_ne_u16_sdwa s[10:11], v13, s7 src0_sel:BYTE_0 src1_sel:DWORD
	v_bfrev_b32_e32 v21, 1
	s_and_saveexec_b64 s[8:9], s[10:11]
	s_cbranch_execz .LBB557_572
; %bb.569:
	s_movk_i32 s7, 0x7f
	v_and_b32_e32 v10, 0x7f, v13
	v_cmp_ne_u32_e32 vcc, s7, v10
	v_mov_b32_e32 v21, 0x7f800001
	s_and_saveexec_b64 s[10:11], vcc
	s_cbranch_execz .LBB557_571
; %bb.570:
	v_and_b32_e32 v19, 7, v13
	v_ffbh_u32_e32 v23, v19
	v_min_u32_e32 v23, 32, v23
	v_mov_b32_e32 v12, v13
	v_subrev_u32_e32 v24, 28, v23
	v_lshlrev_b64 v[24:25], v24, v[12:13]
	v_lshrrev_b32_e32 v21, 3, v10
	v_sub_u32_e32 v12, 29, v23
	v_and_b32_e32 v23, 7, v24
	v_cmp_gt_u32_e32 vcc, 8, v10
	v_cndmask_b32_e32 v10, v21, v12, vcc
	v_cndmask_b32_e32 v12, v19, v23, vcc
	v_lshlrev_b32_e32 v19, 24, v13
	v_bfrev_b32_e32 v21, 60
	v_lshlrev_b32_e32 v12, 20, v12
	v_and_b32_e32 v19, 0x80000000, v19
	v_lshl_add_u32 v10, v10, 23, v21
	v_or3_b32 v21, v19, v10, v12
.LBB557_571:
	s_or_b64 exec, exec, s[10:11]
.LBB557_572:
	s_or_b64 exec, exec, s[8:9]
.LBB557_573:
	s_or_b64 exec, exec, s[2:3]
	v_lshrrev_b16_e32 v10, 8, v13
	v_cmp_ne_u16_e32 vcc, 0, v10
	v_mov_b32_e32 v12, 0
	v_mov_b32_e32 v23, 0
	s_and_saveexec_b64 s[2:3], vcc
	s_cbranch_execz .LBB557_579
; %bb.574:
	s_movk_i32 s7, 0x80
	v_cmp_ne_u16_e32 vcc, s7, v10
	v_bfrev_b32_e32 v23, 1
	s_and_saveexec_b64 s[8:9], vcc
	s_cbranch_execz .LBB557_578
; %bb.575:
	s_movk_i32 s7, 0x7f
	v_and_b32_e32 v19, 0x7f, v10
	v_cmp_ne_u32_e32 vcc, s7, v19
	v_mov_b32_e32 v23, 0x7f800001
	s_and_saveexec_b64 s[10:11], vcc
	s_cbranch_execz .LBB557_577
; %bb.576:
	v_and_b32_e32 v23, 7, v10
	v_ffbh_u32_e32 v24, v23
	v_min_u32_e32 v28, 32, v24
	v_subrev_u32_e32 v24, 28, v28
	v_lshlrev_b64 v[24:25], v24, v[10:11]
	v_lshrrev_b32_e32 v27, 3, v19
	v_sub_u32_e32 v10, 29, v28
	v_and_b32_e32 v24, 7, v24
	v_cmp_gt_u32_e32 vcc, 8, v19
	v_cndmask_b32_e32 v10, v27, v10, vcc
	v_cndmask_b32_e32 v19, v23, v24, vcc
	v_lshlrev_b32_e32 v23, 16, v13
	v_bfrev_b32_e32 v24, 60
	v_lshlrev_b32_e32 v19, 20, v19
	v_and_b32_e32 v23, 0x80000000, v23
	v_lshl_add_u32 v10, v10, 23, v24
	v_or3_b32 v23, v23, v10, v19
.LBB557_577:
	s_or_b64 exec, exec, s[10:11]
.LBB557_578:
	s_or_b64 exec, exec, s[8:9]
.LBB557_579:
	s_or_b64 exec, exec, s[2:3]
	s_movk_i32 s2, 0xff
	v_and_b32_sdwa v19, v13, s2 dst_sel:DWORD dst_unused:UNUSED_PAD src0_sel:WORD_1 src1_sel:DWORD
	v_lshrrev_b32_e32 v10, 16, v13
	v_cmp_ne_u16_e32 vcc, 0, v19
	s_and_saveexec_b64 s[2:3], vcc
	s_cbranch_execz .LBB557_585
; %bb.580:
	s_movk_i32 s7, 0x80
	v_cmp_ne_u16_e32 vcc, s7, v19
	v_bfrev_b32_e32 v12, 1
	s_and_saveexec_b64 s[8:9], vcc
	s_cbranch_execz .LBB557_584
; %bb.581:
	v_bfe_u32 v19, v13, 16, 7
	s_movk_i32 s7, 0x7f
	v_cmp_ne_u32_e32 vcc, s7, v19
	v_mov_b32_e32 v12, 0x7f800001
	s_and_saveexec_b64 s[10:11], vcc
	s_cbranch_execz .LBB557_583
; %bb.582:
	v_and_b32_e32 v12, 7, v10
	v_ffbh_u32_e32 v24, v12
	v_min_u32_e32 v28, 32, v24
	v_subrev_u32_e32 v24, 28, v28
	v_lshlrev_b64 v[24:25], v24, v[10:11]
	v_lshrrev_b32_e32 v27, 3, v19
	v_sub_u32_e32 v10, 29, v28
	v_and_b32_e32 v24, 7, v24
	v_cmp_gt_u32_e32 vcc, 8, v19
	v_mov_b32_e32 v19, 24
	v_cndmask_b32_e32 v10, v27, v10, vcc
	v_cndmask_b32_e32 v12, v12, v24, vcc
	v_lshlrev_b32_sdwa v19, v19, v13 dst_sel:DWORD dst_unused:UNUSED_PAD src0_sel:DWORD src1_sel:WORD_1
	v_bfrev_b32_e32 v24, 60
	v_lshlrev_b32_e32 v12, 20, v12
	v_and_b32_e32 v19, 0x80000000, v19
	v_lshl_add_u32 v10, v10, 23, v24
	v_or3_b32 v12, v19, v10, v12
.LBB557_583:
	s_or_b64 exec, exec, s[10:11]
.LBB557_584:
	s_or_b64 exec, exec, s[8:9]
.LBB557_585:
	s_or_b64 exec, exec, s[2:3]
	s_mov_b32 s2, 0xffffff
	v_cmp_lt_u32_e32 vcc, s2, v13
	v_mov_b32_e32 v19, 0
	v_mov_b32_e32 v24, 0
	s_and_saveexec_b64 s[2:3], vcc
	s_cbranch_execz .LBB557_591
; %bb.586:
	v_lshrrev_b32_e32 v10, 24, v13
	s_movk_i32 s7, 0x80
	v_cmp_ne_u32_e32 vcc, s7, v10
	v_bfrev_b32_e32 v24, 1
	s_and_saveexec_b64 s[8:9], vcc
	s_cbranch_execz .LBB557_590
; %bb.587:
	v_bfe_u32 v13, v13, 24, 7
	s_movk_i32 s7, 0x7f
	v_cmp_ne_u32_e32 vcc, s7, v13
	v_mov_b32_e32 v24, 0x7f800001
	s_and_saveexec_b64 s[10:11], vcc
	s_cbranch_execz .LBB557_589
; %bb.588:
	v_and_b32_e32 v27, 7, v10
	v_ffbh_u32_e32 v24, v27
	v_min_u32_e32 v29, 32, v24
	v_subrev_u32_e32 v24, 28, v29
	v_lshlrev_b64 v[24:25], v24, v[10:11]
	v_lshrrev_b32_e32 v28, 3, v13
	v_sub_u32_e32 v25, 29, v29
	v_and_b32_e32 v24, 7, v24
	v_cmp_gt_u32_e32 vcc, 8, v13
	v_cndmask_b32_e32 v13, v28, v25, vcc
	v_cndmask_b32_e32 v24, v27, v24, vcc
	v_lshlrev_b32_e32 v10, 24, v10
	v_bfrev_b32_e32 v25, 60
	v_lshlrev_b32_e32 v24, 20, v24
	v_and_b32_e32 v10, 0x80000000, v10
	v_lshl_add_u32 v13, v13, 23, v25
	v_or3_b32 v24, v10, v13, v24
.LBB557_589:
	s_or_b64 exec, exec, s[10:11]
.LBB557_590:
	s_or_b64 exec, exec, s[8:9]
.LBB557_591:
	s_or_b64 exec, exec, s[2:3]
	v_cvt_pkrtz_f16_f32 v10, v18, v20
	v_cvt_pkrtz_f16_f32 v11, v11, v22
	ds_read_b128 v[28:31], v50 offset:2064
	s_waitcnt vmcnt(1)
	v_cmp_ne_u16_sdwa s[8:9], v6, v19 src0_sel:BYTE_0 src1_sel:DWORD
	s_waitcnt lgkmcnt(0)
	v_mfma_f32_16x16x16f16 v[14:17], v[10:11], v[28:29], v[14:17]
	v_cvt_pkrtz_f16_f32 v10, v21, v23
	v_cvt_pkrtz_f16_f32 v11, v12, v24
	s_nop 1
	v_mfma_f32_16x16x16f16 v[10:13], v[10:11], v[30:31], v[14:17]
	s_and_saveexec_b64 s[2:3], s[8:9]
	s_cbranch_execz .LBB557_597
; %bb.592:
	s_movk_i32 s7, 0x80
	v_cmp_ne_u16_sdwa s[10:11], v6, s7 src0_sel:BYTE_0 src1_sel:DWORD
	v_bfrev_b32_e32 v19, 1
	s_and_saveexec_b64 s[8:9], s[10:11]
	s_cbranch_execz .LBB557_596
; %bb.593:
	s_movk_i32 s7, 0x7f
	v_and_b32_e32 v14, 0x7f, v6
	v_cmp_ne_u32_e32 vcc, s7, v14
	v_mov_b32_e32 v19, 0x7f800001
	s_and_saveexec_b64 s[10:11], vcc
	s_cbranch_execz .LBB557_595
; %bb.594:
	v_and_b32_e32 v15, 7, v6
	v_ffbh_u32_e32 v16, v15
	v_min_u32_e32 v19, 32, v16
	v_subrev_u32_e32 v16, 28, v19
	v_lshlrev_b64 v[16:17], v16, v[6:7]
	v_lshrrev_b32_e32 v18, 3, v14
	v_sub_u32_e32 v17, 29, v19
	v_and_b32_e32 v16, 7, v16
	v_cmp_gt_u32_e32 vcc, 8, v14
	v_cndmask_b32_e32 v14, v18, v17, vcc
	v_cndmask_b32_e32 v15, v15, v16, vcc
	v_lshlrev_b32_e32 v16, 24, v6
	v_bfrev_b32_e32 v17, 60
	v_lshlrev_b32_e32 v15, 20, v15
	v_and_b32_e32 v16, 0x80000000, v16
	v_lshl_add_u32 v14, v14, 23, v17
	v_or3_b32 v19, v16, v14, v15
.LBB557_595:
	s_or_b64 exec, exec, s[10:11]
.LBB557_596:
	s_or_b64 exec, exec, s[8:9]
.LBB557_597:
	s_or_b64 exec, exec, s[2:3]
	s_nop 3
	v_lshrrev_b16_e32 v14, 8, v6
	v_cmp_ne_u16_e32 vcc, 0, v14
	v_mov_b32_e32 v15, 0
	v_mov_b32_e32 v16, 0
	s_and_saveexec_b64 s[2:3], vcc
	s_cbranch_execz .LBB557_603
; %bb.598:
	s_movk_i32 s7, 0x80
	v_cmp_ne_u16_e32 vcc, s7, v14
	v_bfrev_b32_e32 v16, 1
	s_and_saveexec_b64 s[8:9], vcc
	s_cbranch_execz .LBB557_602
; %bb.599:
	s_movk_i32 s7, 0x7f
	v_and_b32_e32 v17, 0x7f, v14
	v_cmp_ne_u32_e32 vcc, s7, v17
	v_mov_b32_e32 v16, 0x7f800001
	s_and_saveexec_b64 s[10:11], vcc
	s_cbranch_execz .LBB557_601
; %bb.600:
	v_and_b32_e32 v16, 7, v14
	v_ffbh_u32_e32 v20, v16
	v_min_u32_e32 v22, 32, v20
	v_subrev_u32_e32 v20, 28, v22
	v_lshlrev_b64 v[20:21], v20, v[14:15]
	v_lshrrev_b32_e32 v18, 3, v17
	v_sub_u32_e32 v14, 29, v22
	v_and_b32_e32 v20, 7, v20
	v_cmp_gt_u32_e32 vcc, 8, v17
	v_cndmask_b32_e32 v14, v18, v14, vcc
	v_cndmask_b32_e32 v16, v16, v20, vcc
	v_lshlrev_b32_e32 v17, 16, v6
	v_bfrev_b32_e32 v18, 60
	v_lshlrev_b32_e32 v16, 20, v16
	v_and_b32_e32 v17, 0x80000000, v17
	v_lshl_add_u32 v14, v14, 23, v18
	v_or3_b32 v16, v17, v14, v16
.LBB557_601:
	s_or_b64 exec, exec, s[10:11]
.LBB557_602:
	s_or_b64 exec, exec, s[8:9]
.LBB557_603:
	s_or_b64 exec, exec, s[2:3]
	s_movk_i32 s2, 0xff
	v_and_b32_sdwa v17, v6, s2 dst_sel:DWORD dst_unused:UNUSED_PAD src0_sel:WORD_1 src1_sel:DWORD
	v_lshrrev_b32_e32 v14, 16, v6
	v_cmp_ne_u16_e32 vcc, 0, v17
	s_and_saveexec_b64 s[2:3], vcc
	s_cbranch_execz .LBB557_609
; %bb.604:
	s_movk_i32 s7, 0x80
	v_cmp_ne_u16_e32 vcc, s7, v17
	v_bfrev_b32_e32 v15, 1
	s_and_saveexec_b64 s[8:9], vcc
	s_cbranch_execz .LBB557_608
; %bb.605:
	v_bfe_u32 v17, v6, 16, 7
	s_movk_i32 s7, 0x7f
	v_cmp_ne_u32_e32 vcc, s7, v17
	v_mov_b32_e32 v15, 0x7f800001
	s_and_saveexec_b64 s[10:11], vcc
	s_cbranch_execz .LBB557_607
; %bb.606:
	v_and_b32_e32 v18, 7, v14
	v_ffbh_u32_e32 v15, v18
	v_min_u32_e32 v21, 32, v15
	v_subrev_u32_e32 v15, 28, v21
	v_lshlrev_b64 v[14:15], v15, v[14:15]
	v_lshrrev_b32_e32 v20, 3, v17
	v_sub_u32_e32 v15, 29, v21
	v_and_b32_e32 v14, 7, v14
	v_cmp_gt_u32_e32 vcc, 8, v17
	v_mov_b32_e32 v17, 24
	v_cndmask_b32_e32 v15, v20, v15, vcc
	v_cndmask_b32_e32 v14, v18, v14, vcc
	v_lshlrev_b32_sdwa v17, v17, v6 dst_sel:DWORD dst_unused:UNUSED_PAD src0_sel:DWORD src1_sel:WORD_1
	v_bfrev_b32_e32 v18, 60
	v_lshlrev_b32_e32 v14, 20, v14
	v_and_b32_e32 v17, 0x80000000, v17
	v_lshl_add_u32 v15, v15, 23, v18
	v_or3_b32 v15, v17, v15, v14
.LBB557_607:
	s_or_b64 exec, exec, s[10:11]
.LBB557_608:
	s_or_b64 exec, exec, s[8:9]
.LBB557_609:
	s_or_b64 exec, exec, s[2:3]
	s_mov_b32 s2, 0xffffff
	v_cmp_lt_u32_e32 vcc, s2, v6
	v_mov_b32_e32 v17, 0
	v_mov_b32_e32 v18, 0
	s_and_saveexec_b64 s[2:3], vcc
	s_cbranch_execz .LBB557_615
; %bb.610:
	v_lshrrev_b32_e32 v14, 24, v6
	s_movk_i32 s7, 0x80
	v_cmp_ne_u32_e32 vcc, s7, v14
	v_bfrev_b32_e32 v18, 1
	s_and_saveexec_b64 s[8:9], vcc
	s_cbranch_execz .LBB557_614
; %bb.611:
	v_bfe_u32 v6, v6, 24, 7
	s_movk_i32 s7, 0x7f
	v_cmp_ne_u32_e32 vcc, s7, v6
	v_mov_b32_e32 v18, 0x7f800001
	s_and_saveexec_b64 s[10:11], vcc
	s_cbranch_execz .LBB557_613
; %bb.612:
	v_and_b32_e32 v18, 7, v14
	v_ffbh_u32_e32 v20, v18
	v_min_u32_e32 v23, 32, v20
	v_subrev_u32_e32 v20, 28, v23
	v_lshlrev_b64 v[20:21], v20, v[14:15]
	v_lshrrev_b32_e32 v22, 3, v6
	v_sub_u32_e32 v21, 29, v23
	v_and_b32_e32 v20, 7, v20
	v_cmp_gt_u32_e32 vcc, 8, v6
	v_cndmask_b32_e32 v6, v22, v21, vcc
	v_cndmask_b32_e32 v18, v18, v20, vcc
	v_lshlrev_b32_e32 v14, 24, v14
	v_bfrev_b32_e32 v20, 60
	v_lshlrev_b32_e32 v18, 20, v18
	v_and_b32_e32 v14, 0x80000000, v14
	v_lshl_add_u32 v6, v6, 23, v20
	v_or3_b32 v18, v14, v6, v18
.LBB557_613:
	s_or_b64 exec, exec, s[10:11]
.LBB557_614:
	s_or_b64 exec, exec, s[8:9]
.LBB557_615:
	s_or_b64 exec, exec, s[2:3]
	v_cmp_ne_u16_sdwa s[8:9], v7, v17 src0_sel:BYTE_0 src1_sel:DWORD
	s_and_saveexec_b64 s[2:3], s[8:9]
	s_cbranch_execz .LBB557_621
; %bb.616:
	s_movk_i32 s7, 0x80
	v_cmp_ne_u16_sdwa s[10:11], v7, s7 src0_sel:BYTE_0 src1_sel:DWORD
	v_bfrev_b32_e32 v17, 1
	s_and_saveexec_b64 s[8:9], s[10:11]
	s_cbranch_execz .LBB557_620
; %bb.617:
	s_movk_i32 s7, 0x7f
	v_and_b32_e32 v6, 0x7f, v7
	v_cmp_ne_u32_e32 vcc, s7, v6
	v_mov_b32_e32 v17, 0x7f800001
	s_and_saveexec_b64 s[10:11], vcc
	s_cbranch_execz .LBB557_619
; %bb.618:
	v_and_b32_e32 v17, 7, v7
	v_ffbh_u32_e32 v20, v17
	v_min_u32_e32 v23, 32, v20
	v_mov_b32_e32 v14, v7
	v_subrev_u32_e32 v20, 28, v23
	v_lshlrev_b64 v[20:21], v20, v[14:15]
	v_lshrrev_b32_e32 v22, 3, v6
	v_sub_u32_e32 v14, 29, v23
	v_and_b32_e32 v20, 7, v20
	v_cmp_gt_u32_e32 vcc, 8, v6
	v_cndmask_b32_e32 v6, v22, v14, vcc
	v_cndmask_b32_e32 v14, v17, v20, vcc
	v_lshlrev_b32_e32 v17, 24, v7
	v_bfrev_b32_e32 v20, 60
	v_lshlrev_b32_e32 v14, 20, v14
	v_and_b32_e32 v17, 0x80000000, v17
	v_lshl_add_u32 v6, v6, 23, v20
	v_or3_b32 v17, v17, v6, v14
.LBB557_619:
	s_or_b64 exec, exec, s[10:11]
.LBB557_620:
	s_or_b64 exec, exec, s[8:9]
.LBB557_621:
	s_or_b64 exec, exec, s[2:3]
	v_lshrrev_b16_e32 v6, 8, v7
	v_cmp_ne_u16_e32 vcc, 0, v6
	v_mov_b32_e32 v20, 0
	v_mov_b32_e32 v21, 0
	s_and_saveexec_b64 s[2:3], vcc
	s_cbranch_execz .LBB557_627
; %bb.622:
	s_movk_i32 s7, 0x80
	v_cmp_ne_u16_e32 vcc, s7, v6
	v_bfrev_b32_e32 v21, 1
	s_and_saveexec_b64 s[8:9], vcc
	s_cbranch_execz .LBB557_626
; %bb.623:
	s_movk_i32 s7, 0x7f
	v_and_b32_e32 v14, 0x7f, v6
	v_cmp_ne_u32_e32 vcc, s7, v14
	v_mov_b32_e32 v21, 0x7f800001
	s_and_saveexec_b64 s[10:11], vcc
	s_cbranch_execz .LBB557_625
; %bb.624:
	v_and_b32_e32 v21, 7, v6
	v_ffbh_u32_e32 v22, v21
	v_min_u32_e32 v25, 32, v22
	v_subrev_u32_e32 v22, 28, v25
	v_lshlrev_b64 v[22:23], v22, v[6:7]
	v_lshrrev_b32_e32 v24, 3, v14
	v_sub_u32_e32 v6, 29, v25
	v_and_b32_e32 v22, 7, v22
	v_cmp_gt_u32_e32 vcc, 8, v14
	v_cndmask_b32_e32 v6, v24, v6, vcc
	v_cndmask_b32_e32 v14, v21, v22, vcc
	v_lshlrev_b32_e32 v21, 16, v7
	v_bfrev_b32_e32 v22, 60
	v_lshlrev_b32_e32 v14, 20, v14
	v_and_b32_e32 v21, 0x80000000, v21
	v_lshl_add_u32 v6, v6, 23, v22
	v_or3_b32 v21, v21, v6, v14
.LBB557_625:
	s_or_b64 exec, exec, s[10:11]
.LBB557_626:
	s_or_b64 exec, exec, s[8:9]
.LBB557_627:
	s_or_b64 exec, exec, s[2:3]
	s_movk_i32 s2, 0xff
	v_and_b32_sdwa v14, v7, s2 dst_sel:DWORD dst_unused:UNUSED_PAD src0_sel:WORD_1 src1_sel:DWORD
	v_lshrrev_b32_e32 v6, 16, v7
	v_cmp_ne_u16_e32 vcc, 0, v14
	s_and_saveexec_b64 s[2:3], vcc
	s_cbranch_execz .LBB557_633
; %bb.628:
	s_movk_i32 s7, 0x80
	v_cmp_ne_u16_e32 vcc, s7, v14
	v_bfrev_b32_e32 v20, 1
	s_and_saveexec_b64 s[8:9], vcc
	s_cbranch_execz .LBB557_632
; %bb.629:
	v_bfe_u32 v14, v7, 16, 7
	s_movk_i32 s7, 0x7f
	v_cmp_ne_u32_e32 vcc, s7, v14
	v_mov_b32_e32 v20, 0x7f800001
	s_and_saveexec_b64 s[10:11], vcc
	s_cbranch_execz .LBB557_631
; %bb.630:
	v_and_b32_e32 v20, 7, v6
	v_ffbh_u32_e32 v22, v20
	v_min_u32_e32 v25, 32, v22
	v_subrev_u32_e32 v22, 28, v25
	v_lshlrev_b64 v[22:23], v22, v[6:7]
	v_and_b32_e32 v22, 7, v22
	v_cmp_gt_u32_e32 vcc, 8, v14
	v_lshrrev_b32_e32 v24, 3, v14
	v_sub_u32_e32 v6, 29, v25
	v_cndmask_b32_e32 v14, v20, v22, vcc
	v_mov_b32_e32 v20, 24
	v_cndmask_b32_e32 v6, v24, v6, vcc
	v_lshlrev_b32_sdwa v20, v20, v7 dst_sel:DWORD dst_unused:UNUSED_PAD src0_sel:DWORD src1_sel:WORD_1
	v_bfrev_b32_e32 v22, 60
	v_lshlrev_b32_e32 v14, 20, v14
	v_and_b32_e32 v20, 0x80000000, v20
	v_lshl_add_u32 v6, v6, 23, v22
	v_or3_b32 v20, v20, v6, v14
.LBB557_631:
	s_or_b64 exec, exec, s[10:11]
.LBB557_632:
	s_or_b64 exec, exec, s[8:9]
.LBB557_633:
	s_or_b64 exec, exec, s[2:3]
	s_mov_b32 s2, 0xffffff
	v_cmp_lt_u32_e32 vcc, s2, v7
	v_mov_b32_e32 v14, 0
	v_mov_b32_e32 v22, 0
	s_and_saveexec_b64 s[2:3], vcc
	s_cbranch_execz .LBB557_639
; %bb.634:
	v_lshrrev_b32_e32 v6, 24, v7
	s_movk_i32 s7, 0x80
	v_cmp_ne_u32_e32 vcc, s7, v6
	v_bfrev_b32_e32 v22, 1
	s_and_saveexec_b64 s[8:9], vcc
	s_cbranch_execz .LBB557_638
; %bb.635:
	v_bfe_u32 v7, v7, 24, 7
	s_movk_i32 s7, 0x7f
	v_cmp_ne_u32_e32 vcc, s7, v7
	v_mov_b32_e32 v22, 0x7f800001
	s_and_saveexec_b64 s[10:11], vcc
	s_cbranch_execz .LBB557_637
; %bb.636:
	v_and_b32_e32 v24, 7, v6
	v_ffbh_u32_e32 v22, v24
	v_min_u32_e32 v27, 32, v22
	v_subrev_u32_e32 v22, 28, v27
	v_lshlrev_b64 v[22:23], v22, v[6:7]
	v_lshrrev_b32_e32 v25, 3, v7
	v_sub_u32_e32 v23, 29, v27
	v_and_b32_e32 v22, 7, v22
	v_cmp_gt_u32_e32 vcc, 8, v7
	v_cndmask_b32_e32 v7, v25, v23, vcc
	v_cndmask_b32_e32 v22, v24, v22, vcc
	v_lshlrev_b32_e32 v6, 24, v6
	v_bfrev_b32_e32 v23, 60
	v_lshlrev_b32_e32 v22, 20, v22
	v_and_b32_e32 v6, 0x80000000, v6
	v_lshl_add_u32 v7, v7, 23, v23
	v_or3_b32 v22, v6, v7, v22
.LBB557_637:
	s_or_b64 exec, exec, s[10:11]
.LBB557_638:
	s_or_b64 exec, exec, s[8:9]
.LBB557_639:
	s_or_b64 exec, exec, s[2:3]
	v_cvt_pkrtz_f16_f32 v6, v19, v16
	v_cvt_pkrtz_f16_f32 v7, v15, v18
	ds_read_b128 v[28:31], v50 offset:4096
	v_cmp_ne_u16_sdwa s[8:9], v8, v14 src0_sel:BYTE_0 src1_sel:DWORD
	s_waitcnt lgkmcnt(0)
	v_mfma_f32_16x16x16f16 v[10:13], v[6:7], v[28:29], v[10:13]
	v_cvt_pkrtz_f16_f32 v6, v17, v21
	v_cvt_pkrtz_f16_f32 v7, v20, v22
	s_nop 1
	v_mfma_f32_16x16x16f16 v[10:13], v[6:7], v[30:31], v[10:13]
	s_and_saveexec_b64 s[2:3], s[8:9]
	s_cbranch_execz .LBB557_645
; %bb.640:
	s_movk_i32 s7, 0x80
	v_cmp_ne_u16_sdwa s[10:11], v8, s7 src0_sel:BYTE_0 src1_sel:DWORD
	v_bfrev_b32_e32 v14, 1
	s_and_saveexec_b64 s[8:9], s[10:11]
	s_cbranch_execz .LBB557_644
; %bb.641:
	s_movk_i32 s7, 0x7f
	v_and_b32_e32 v6, 0x7f, v8
	v_cmp_ne_u32_e32 vcc, s7, v6
	v_mov_b32_e32 v14, 0x7f800001
	s_and_saveexec_b64 s[10:11], vcc
	s_cbranch_execz .LBB557_643
; %bb.642:
	v_and_b32_e32 v7, 7, v8
	v_ffbh_u32_e32 v14, v7
	v_min_u32_e32 v17, 32, v14
	v_subrev_u32_e32 v14, 28, v17
	v_lshlrev_b64 v[14:15], v14, v[8:9]
	v_lshrrev_b32_e32 v16, 3, v6
	v_sub_u32_e32 v15, 29, v17
	v_and_b32_e32 v14, 7, v14
	v_cmp_gt_u32_e32 vcc, 8, v6
	v_cndmask_b32_e32 v6, v16, v15, vcc
	v_cndmask_b32_e32 v7, v7, v14, vcc
	v_lshlrev_b32_e32 v14, 24, v8
	v_bfrev_b32_e32 v15, 60
	v_lshlrev_b32_e32 v7, 20, v7
	v_and_b32_e32 v14, 0x80000000, v14
	v_lshl_add_u32 v6, v6, 23, v15
	v_or3_b32 v14, v14, v6, v7
.LBB557_643:
	s_or_b64 exec, exec, s[10:11]
.LBB557_644:
	s_or_b64 exec, exec, s[8:9]
.LBB557_645:
	s_or_b64 exec, exec, s[2:3]
	v_lshrrev_b16_e32 v6, 8, v8
	v_cmp_ne_u16_e32 vcc, 0, v6
	v_mov_b32_e32 v7, 0
	v_mov_b32_e32 v16, 0
	s_and_saveexec_b64 s[2:3], vcc
	s_cbranch_execz .LBB557_651
; %bb.646:
	s_movk_i32 s7, 0x80
	v_cmp_ne_u16_e32 vcc, s7, v6
	v_bfrev_b32_e32 v16, 1
	s_and_saveexec_b64 s[8:9], vcc
	s_cbranch_execz .LBB557_650
; %bb.647:
	s_movk_i32 s7, 0x7f
	v_and_b32_e32 v15, 0x7f, v6
	v_cmp_ne_u32_e32 vcc, s7, v15
	v_mov_b32_e32 v16, 0x7f800001
	s_and_saveexec_b64 s[10:11], vcc
	s_cbranch_execz .LBB557_649
; %bb.648:
	v_and_b32_e32 v18, 7, v6
	v_ffbh_u32_e32 v16, v18
	v_min_u32_e32 v20, 32, v16
	v_subrev_u32_e32 v16, 28, v20
	v_lshlrev_b64 v[16:17], v16, v[6:7]
	v_lshrrev_b32_e32 v19, 3, v15
	v_sub_u32_e32 v6, 29, v20
	v_and_b32_e32 v16, 7, v16
	v_cmp_gt_u32_e32 vcc, 8, v15
	v_cndmask_b32_e32 v6, v19, v6, vcc
	v_cndmask_b32_e32 v15, v18, v16, vcc
	v_lshlrev_b32_e32 v16, 16, v8
	v_bfrev_b32_e32 v17, 60
	v_lshlrev_b32_e32 v15, 20, v15
	v_and_b32_e32 v16, 0x80000000, v16
	v_lshl_add_u32 v6, v6, 23, v17
	v_or3_b32 v16, v16, v6, v15
.LBB557_649:
	s_or_b64 exec, exec, s[10:11]
.LBB557_650:
	s_or_b64 exec, exec, s[8:9]
.LBB557_651:
	s_or_b64 exec, exec, s[2:3]
	s_movk_i32 s2, 0xff
	v_and_b32_sdwa v15, v8, s2 dst_sel:DWORD dst_unused:UNUSED_PAD src0_sel:WORD_1 src1_sel:DWORD
	v_lshrrev_b32_e32 v6, 16, v8
	v_cmp_ne_u16_e32 vcc, 0, v15
	s_and_saveexec_b64 s[2:3], vcc
	s_cbranch_execz .LBB557_657
; %bb.652:
	s_movk_i32 s7, 0x80
	v_cmp_ne_u16_e32 vcc, s7, v15
	v_bfrev_b32_e32 v7, 1
	s_and_saveexec_b64 s[8:9], vcc
	s_cbranch_execz .LBB557_656
; %bb.653:
	v_bfe_u32 v15, v8, 16, 7
	s_movk_i32 s7, 0x7f
	v_cmp_ne_u32_e32 vcc, s7, v15
	v_mov_b32_e32 v7, 0x7f800001
	s_and_saveexec_b64 s[10:11], vcc
	s_cbranch_execz .LBB557_655
; %bb.654:
	v_and_b32_e32 v17, 7, v6
	v_ffbh_u32_e32 v7, v17
	v_min_u32_e32 v19, 32, v7
	v_subrev_u32_e32 v7, 28, v19
	v_lshlrev_b64 v[6:7], v7, v[6:7]
	v_lshrrev_b32_e32 v18, 3, v15
	v_sub_u32_e32 v7, 29, v19
	v_and_b32_e32 v6, 7, v6
	v_cmp_gt_u32_e32 vcc, 8, v15
	v_mov_b32_e32 v15, 24
	v_cndmask_b32_e32 v7, v18, v7, vcc
	v_cndmask_b32_e32 v6, v17, v6, vcc
	v_lshlrev_b32_sdwa v15, v15, v8 dst_sel:DWORD dst_unused:UNUSED_PAD src0_sel:DWORD src1_sel:WORD_1
	v_bfrev_b32_e32 v17, 60
	v_lshlrev_b32_e32 v6, 20, v6
	v_and_b32_e32 v15, 0x80000000, v15
	v_lshl_add_u32 v7, v7, 23, v17
	v_or3_b32 v7, v15, v7, v6
.LBB557_655:
	s_or_b64 exec, exec, s[10:11]
.LBB557_656:
	s_or_b64 exec, exec, s[8:9]
.LBB557_657:
	s_or_b64 exec, exec, s[2:3]
	s_mov_b32 s2, 0xffffff
	v_cmp_lt_u32_e32 vcc, s2, v8
	v_mov_b32_e32 v17, 0
	v_mov_b32_e32 v18, 0
	s_and_saveexec_b64 s[2:3], vcc
	s_cbranch_execz .LBB557_663
; %bb.658:
	v_lshrrev_b32_e32 v6, 24, v8
	s_movk_i32 s7, 0x80
	v_cmp_ne_u32_e32 vcc, s7, v6
	v_bfrev_b32_e32 v18, 1
	s_and_saveexec_b64 s[8:9], vcc
	s_cbranch_execz .LBB557_662
; %bb.659:
	v_bfe_u32 v8, v8, 24, 7
	s_movk_i32 s7, 0x7f
	v_cmp_ne_u32_e32 vcc, s7, v8
	v_mov_b32_e32 v18, 0x7f800001
	s_and_saveexec_b64 s[10:11], vcc
	s_cbranch_execz .LBB557_661
; %bb.660:
	v_and_b32_e32 v15, 7, v6
	v_ffbh_u32_e32 v18, v15
	v_min_u32_e32 v21, 32, v18
	v_subrev_u32_e32 v18, 28, v21
	v_lshlrev_b64 v[18:19], v18, v[6:7]
	v_lshrrev_b32_e32 v20, 3, v8
	v_sub_u32_e32 v19, 29, v21
	v_and_b32_e32 v18, 7, v18
	v_cmp_gt_u32_e32 vcc, 8, v8
	v_cndmask_b32_e32 v8, v20, v19, vcc
	v_cndmask_b32_e32 v15, v15, v18, vcc
	v_lshlrev_b32_e32 v6, 24, v6
	v_bfrev_b32_e32 v18, 60
	v_lshlrev_b32_e32 v15, 20, v15
	v_and_b32_e32 v6, 0x80000000, v6
	v_lshl_add_u32 v8, v8, 23, v18
	v_or3_b32 v18, v6, v8, v15
.LBB557_661:
	s_or_b64 exec, exec, s[10:11]
.LBB557_662:
	s_or_b64 exec, exec, s[8:9]
.LBB557_663:
	s_or_b64 exec, exec, s[2:3]
	v_cmp_ne_u16_sdwa s[8:9], v9, v17 src0_sel:BYTE_0 src1_sel:DWORD
	s_and_saveexec_b64 s[2:3], s[8:9]
	s_cbranch_execz .LBB557_669
; %bb.664:
	s_movk_i32 s7, 0x80
	v_cmp_ne_u16_sdwa s[10:11], v9, s7 src0_sel:BYTE_0 src1_sel:DWORD
	v_bfrev_b32_e32 v17, 1
	s_and_saveexec_b64 s[8:9], s[10:11]
	s_cbranch_execz .LBB557_668
; %bb.665:
	s_movk_i32 s7, 0x7f
	v_and_b32_e32 v6, 0x7f, v9
	v_cmp_ne_u32_e32 vcc, s7, v6
	v_mov_b32_e32 v17, 0x7f800001
	s_and_saveexec_b64 s[10:11], vcc
	s_cbranch_execz .LBB557_667
; %bb.666:
	v_and_b32_e32 v15, 7, v9
	v_ffbh_u32_e32 v19, v15
	v_min_u32_e32 v19, 32, v19
	v_mov_b32_e32 v8, v9
	v_subrev_u32_e32 v20, 28, v19
	v_lshlrev_b64 v[20:21], v20, v[8:9]
	v_lshrrev_b32_e32 v17, 3, v6
	v_sub_u32_e32 v8, 29, v19
	v_and_b32_e32 v19, 7, v20
	v_cmp_gt_u32_e32 vcc, 8, v6
	v_cndmask_b32_e32 v6, v17, v8, vcc
	v_cndmask_b32_e32 v8, v15, v19, vcc
	v_lshlrev_b32_e32 v15, 24, v9
	v_bfrev_b32_e32 v17, 60
	v_lshlrev_b32_e32 v8, 20, v8
	v_and_b32_e32 v15, 0x80000000, v15
	v_lshl_add_u32 v6, v6, 23, v17
	v_or3_b32 v17, v15, v6, v8
.LBB557_667:
	s_or_b64 exec, exec, s[10:11]
.LBB557_668:
	s_or_b64 exec, exec, s[8:9]
.LBB557_669:
	s_or_b64 exec, exec, s[2:3]
	v_lshrrev_b16_e32 v6, 8, v9
	v_cmp_ne_u16_e32 vcc, 0, v6
	v_mov_b32_e32 v8, 0
	v_mov_b32_e32 v19, 0
	s_and_saveexec_b64 s[2:3], vcc
	s_cbranch_execz .LBB557_675
; %bb.670:
	s_movk_i32 s7, 0x80
	v_cmp_ne_u16_e32 vcc, s7, v6
	v_bfrev_b32_e32 v19, 1
	s_and_saveexec_b64 s[8:9], vcc
	s_cbranch_execz .LBB557_674
; %bb.671:
	s_movk_i32 s7, 0x7f
	v_and_b32_e32 v15, 0x7f, v6
	v_cmp_ne_u32_e32 vcc, s7, v15
	v_mov_b32_e32 v19, 0x7f800001
	s_and_saveexec_b64 s[10:11], vcc
	s_cbranch_execz .LBB557_673
; %bb.672:
	v_and_b32_e32 v19, 7, v6
	v_ffbh_u32_e32 v20, v19
	v_min_u32_e32 v23, 32, v20
	v_subrev_u32_e32 v20, 28, v23
	v_lshlrev_b64 v[20:21], v20, v[6:7]
	v_lshrrev_b32_e32 v22, 3, v15
	v_sub_u32_e32 v6, 29, v23
	v_and_b32_e32 v20, 7, v20
	v_cmp_gt_u32_e32 vcc, 8, v15
	v_cndmask_b32_e32 v6, v22, v6, vcc
	v_cndmask_b32_e32 v15, v19, v20, vcc
	v_lshlrev_b32_e32 v19, 16, v9
	v_bfrev_b32_e32 v20, 60
	v_lshlrev_b32_e32 v15, 20, v15
	v_and_b32_e32 v19, 0x80000000, v19
	v_lshl_add_u32 v6, v6, 23, v20
	v_or3_b32 v19, v19, v6, v15
.LBB557_673:
	s_or_b64 exec, exec, s[10:11]
.LBB557_674:
	s_or_b64 exec, exec, s[8:9]
.LBB557_675:
	s_or_b64 exec, exec, s[2:3]
	s_movk_i32 s2, 0xff
	v_and_b32_sdwa v15, v9, s2 dst_sel:DWORD dst_unused:UNUSED_PAD src0_sel:WORD_1 src1_sel:DWORD
	v_lshrrev_b32_e32 v6, 16, v9
	v_cmp_ne_u16_e32 vcc, 0, v15
	s_and_saveexec_b64 s[2:3], vcc
	s_cbranch_execz .LBB557_681
; %bb.676:
	s_movk_i32 s7, 0x80
	v_cmp_ne_u16_e32 vcc, s7, v15
	v_bfrev_b32_e32 v8, 1
	s_and_saveexec_b64 s[8:9], vcc
	s_cbranch_execz .LBB557_680
; %bb.677:
	v_bfe_u32 v15, v9, 16, 7
	s_movk_i32 s7, 0x7f
	v_cmp_ne_u32_e32 vcc, s7, v15
	v_mov_b32_e32 v8, 0x7f800001
	s_and_saveexec_b64 s[10:11], vcc
	s_cbranch_execz .LBB557_679
; %bb.678:
	v_and_b32_e32 v8, 7, v6
	v_ffbh_u32_e32 v20, v8
	v_min_u32_e32 v23, 32, v20
	v_subrev_u32_e32 v20, 28, v23
	v_lshlrev_b64 v[20:21], v20, v[6:7]
	v_lshrrev_b32_e32 v22, 3, v15
	v_sub_u32_e32 v6, 29, v23
	v_and_b32_e32 v20, 7, v20
	v_cmp_gt_u32_e32 vcc, 8, v15
	v_mov_b32_e32 v15, 24
	v_cndmask_b32_e32 v6, v22, v6, vcc
	v_cndmask_b32_e32 v8, v8, v20, vcc
	v_lshlrev_b32_sdwa v15, v15, v9 dst_sel:DWORD dst_unused:UNUSED_PAD src0_sel:DWORD src1_sel:WORD_1
	v_bfrev_b32_e32 v20, 60
	v_lshlrev_b32_e32 v8, 20, v8
	v_and_b32_e32 v15, 0x80000000, v15
	v_lshl_add_u32 v6, v6, 23, v20
	v_or3_b32 v8, v15, v6, v8
.LBB557_679:
	s_or_b64 exec, exec, s[10:11]
.LBB557_680:
	s_or_b64 exec, exec, s[8:9]
.LBB557_681:
	s_or_b64 exec, exec, s[2:3]
	s_mov_b32 s2, 0xffffff
	v_cmp_lt_u32_e32 vcc, s2, v9
	v_mov_b32_e32 v15, 0
	v_mov_b32_e32 v20, 0
	s_and_saveexec_b64 s[2:3], vcc
	s_cbranch_execz .LBB557_687
; %bb.682:
	v_lshrrev_b32_e32 v6, 24, v9
	s_movk_i32 s7, 0x80
	v_cmp_ne_u32_e32 vcc, s7, v6
	v_bfrev_b32_e32 v20, 1
	s_and_saveexec_b64 s[8:9], vcc
	s_cbranch_execz .LBB557_686
; %bb.683:
	v_bfe_u32 v9, v9, 24, 7
	s_movk_i32 s7, 0x7f
	v_cmp_ne_u32_e32 vcc, s7, v9
	v_mov_b32_e32 v20, 0x7f800001
	s_and_saveexec_b64 s[10:11], vcc
	s_cbranch_execz .LBB557_685
; %bb.684:
	v_and_b32_e32 v22, 7, v6
	v_ffbh_u32_e32 v20, v22
	v_min_u32_e32 v24, 32, v20
	v_subrev_u32_e32 v20, 28, v24
	v_lshlrev_b64 v[20:21], v20, v[6:7]
	v_lshrrev_b32_e32 v23, 3, v9
	v_sub_u32_e32 v21, 29, v24
	v_and_b32_e32 v20, 7, v20
	v_cmp_gt_u32_e32 vcc, 8, v9
	v_cndmask_b32_e32 v9, v23, v21, vcc
	v_cndmask_b32_e32 v20, v22, v20, vcc
	v_lshlrev_b32_e32 v6, 24, v6
	v_bfrev_b32_e32 v21, 60
	v_lshlrev_b32_e32 v20, 20, v20
	v_and_b32_e32 v6, 0x80000000, v6
	v_lshl_add_u32 v9, v9, 23, v21
	v_or3_b32 v20, v6, v9, v20
.LBB557_685:
	s_or_b64 exec, exec, s[10:11]
.LBB557_686:
	s_or_b64 exec, exec, s[8:9]
.LBB557_687:
	s_or_b64 exec, exec, s[2:3]
	v_cvt_pkrtz_f16_f32 v6, v14, v16
	v_cvt_pkrtz_f16_f32 v7, v7, v18
	ds_read_b128 v[22:25], v50 offset:4112
	s_waitcnt vmcnt(0)
	v_cmp_ne_u16_sdwa s[8:9], v2, v15 src0_sel:BYTE_0 src1_sel:DWORD
	s_waitcnt lgkmcnt(0)
	v_mfma_f32_16x16x16f16 v[10:13], v[6:7], v[22:23], v[10:13]
	v_cvt_pkrtz_f16_f32 v6, v17, v19
	v_cvt_pkrtz_f16_f32 v7, v8, v20
	s_nop 1
	v_mfma_f32_16x16x16f16 v[6:9], v[6:7], v[24:25], v[10:13]
	s_and_saveexec_b64 s[2:3], s[8:9]
	s_cbranch_execz .LBB557_693
; %bb.688:
	s_movk_i32 s7, 0x80
	v_cmp_ne_u16_sdwa s[10:11], v2, s7 src0_sel:BYTE_0 src1_sel:DWORD
	v_bfrev_b32_e32 v15, 1
	s_and_saveexec_b64 s[8:9], s[10:11]
	s_cbranch_execz .LBB557_692
; %bb.689:
	s_movk_i32 s7, 0x7f
	v_and_b32_e32 v10, 0x7f, v2
	v_cmp_ne_u32_e32 vcc, s7, v10
	v_mov_b32_e32 v15, 0x7f800001
	s_and_saveexec_b64 s[10:11], vcc
	s_cbranch_execz .LBB557_691
; %bb.690:
	v_and_b32_e32 v11, 7, v2
	v_ffbh_u32_e32 v12, v11
	v_min_u32_e32 v15, 32, v12
	v_subrev_u32_e32 v12, 28, v15
	v_lshlrev_b64 v[12:13], v12, v[2:3]
	v_lshrrev_b32_e32 v14, 3, v10
	v_sub_u32_e32 v13, 29, v15
	v_and_b32_e32 v12, 7, v12
	v_cmp_gt_u32_e32 vcc, 8, v10
	v_cndmask_b32_e32 v10, v14, v13, vcc
	v_cndmask_b32_e32 v11, v11, v12, vcc
	v_lshlrev_b32_e32 v12, 24, v2
	v_bfrev_b32_e32 v13, 60
	v_lshlrev_b32_e32 v11, 20, v11
	v_and_b32_e32 v12, 0x80000000, v12
	v_lshl_add_u32 v10, v10, 23, v13
	v_or3_b32 v15, v12, v10, v11
.LBB557_691:
	s_or_b64 exec, exec, s[10:11]
.LBB557_692:
	s_or_b64 exec, exec, s[8:9]
.LBB557_693:
	s_or_b64 exec, exec, s[2:3]
	s_nop 3
	v_lshrrev_b16_e32 v10, 8, v2
	v_cmp_ne_u16_e32 vcc, 0, v10
	v_mov_b32_e32 v11, 0
	v_mov_b32_e32 v12, 0
	s_and_saveexec_b64 s[2:3], vcc
	s_cbranch_execz .LBB557_699
; %bb.694:
	s_movk_i32 s7, 0x80
	v_cmp_ne_u16_e32 vcc, s7, v10
	v_bfrev_b32_e32 v12, 1
	s_and_saveexec_b64 s[8:9], vcc
	s_cbranch_execz .LBB557_698
; %bb.695:
	s_movk_i32 s7, 0x7f
	v_and_b32_e32 v13, 0x7f, v10
	v_cmp_ne_u32_e32 vcc, s7, v13
	v_mov_b32_e32 v12, 0x7f800001
	s_and_saveexec_b64 s[10:11], vcc
	s_cbranch_execz .LBB557_697
; %bb.696:
	v_and_b32_e32 v12, 7, v10
	v_ffbh_u32_e32 v16, v12
	v_min_u32_e32 v18, 32, v16
	v_subrev_u32_e32 v16, 28, v18
	v_lshlrev_b64 v[16:17], v16, v[10:11]
	v_lshrrev_b32_e32 v14, 3, v13
	v_sub_u32_e32 v10, 29, v18
	v_and_b32_e32 v16, 7, v16
	v_cmp_gt_u32_e32 vcc, 8, v13
	v_cndmask_b32_e32 v10, v14, v10, vcc
	v_cndmask_b32_e32 v12, v12, v16, vcc
	v_lshlrev_b32_e32 v13, 16, v2
	v_bfrev_b32_e32 v14, 60
	v_lshlrev_b32_e32 v12, 20, v12
	v_and_b32_e32 v13, 0x80000000, v13
	v_lshl_add_u32 v10, v10, 23, v14
	v_or3_b32 v12, v13, v10, v12
.LBB557_697:
	s_or_b64 exec, exec, s[10:11]
.LBB557_698:
	s_or_b64 exec, exec, s[8:9]
.LBB557_699:
	s_or_b64 exec, exec, s[2:3]
	s_movk_i32 s2, 0xff
	v_and_b32_sdwa v13, v2, s2 dst_sel:DWORD dst_unused:UNUSED_PAD src0_sel:WORD_1 src1_sel:DWORD
	v_lshrrev_b32_e32 v10, 16, v2
	v_cmp_ne_u16_e32 vcc, 0, v13
	s_and_saveexec_b64 s[2:3], vcc
	s_cbranch_execz .LBB557_705
; %bb.700:
	s_movk_i32 s7, 0x80
	v_cmp_ne_u16_e32 vcc, s7, v13
	v_bfrev_b32_e32 v11, 1
	s_and_saveexec_b64 s[8:9], vcc
	s_cbranch_execz .LBB557_704
; %bb.701:
	v_bfe_u32 v13, v2, 16, 7
	s_movk_i32 s7, 0x7f
	v_cmp_ne_u32_e32 vcc, s7, v13
	v_mov_b32_e32 v11, 0x7f800001
	s_and_saveexec_b64 s[10:11], vcc
	s_cbranch_execz .LBB557_703
; %bb.702:
	v_and_b32_e32 v14, 7, v10
	v_ffbh_u32_e32 v11, v14
	v_min_u32_e32 v17, 32, v11
	v_subrev_u32_e32 v11, 28, v17
	v_lshlrev_b64 v[10:11], v11, v[10:11]
	v_lshrrev_b32_e32 v16, 3, v13
	v_sub_u32_e32 v11, 29, v17
	v_and_b32_e32 v10, 7, v10
	v_cmp_gt_u32_e32 vcc, 8, v13
	v_mov_b32_e32 v13, 24
	v_cndmask_b32_e32 v11, v16, v11, vcc
	v_cndmask_b32_e32 v10, v14, v10, vcc
	v_lshlrev_b32_sdwa v13, v13, v2 dst_sel:DWORD dst_unused:UNUSED_PAD src0_sel:DWORD src1_sel:WORD_1
	v_bfrev_b32_e32 v14, 60
	v_lshlrev_b32_e32 v10, 20, v10
	v_and_b32_e32 v13, 0x80000000, v13
	v_lshl_add_u32 v11, v11, 23, v14
	v_or3_b32 v11, v13, v11, v10
.LBB557_703:
	s_or_b64 exec, exec, s[10:11]
.LBB557_704:
	s_or_b64 exec, exec, s[8:9]
.LBB557_705:
	s_or_b64 exec, exec, s[2:3]
	s_mov_b32 s2, 0xffffff
	v_cmp_lt_u32_e32 vcc, s2, v2
	v_mov_b32_e32 v13, 0
	v_mov_b32_e32 v14, 0
	s_and_saveexec_b64 s[2:3], vcc
	s_cbranch_execz .LBB557_711
; %bb.706:
	v_lshrrev_b32_e32 v10, 24, v2
	s_movk_i32 s7, 0x80
	v_cmp_ne_u32_e32 vcc, s7, v10
	v_bfrev_b32_e32 v14, 1
	s_and_saveexec_b64 s[8:9], vcc
	s_cbranch_execz .LBB557_710
; %bb.707:
	v_bfe_u32 v2, v2, 24, 7
	s_movk_i32 s7, 0x7f
	v_cmp_ne_u32_e32 vcc, s7, v2
	v_mov_b32_e32 v14, 0x7f800001
	s_and_saveexec_b64 s[10:11], vcc
	s_cbranch_execz .LBB557_709
; %bb.708:
	v_and_b32_e32 v14, 7, v10
	v_ffbh_u32_e32 v16, v14
	v_min_u32_e32 v19, 32, v16
	v_subrev_u32_e32 v16, 28, v19
	v_lshlrev_b64 v[16:17], v16, v[10:11]
	v_lshrrev_b32_e32 v18, 3, v2
	v_sub_u32_e32 v17, 29, v19
	v_and_b32_e32 v16, 7, v16
	v_cmp_gt_u32_e32 vcc, 8, v2
	v_cndmask_b32_e32 v2, v18, v17, vcc
	v_cndmask_b32_e32 v14, v14, v16, vcc
	v_lshlrev_b32_e32 v10, 24, v10
	v_bfrev_b32_e32 v16, 60
	v_lshlrev_b32_e32 v14, 20, v14
	v_and_b32_e32 v10, 0x80000000, v10
	v_lshl_add_u32 v2, v2, 23, v16
	v_or3_b32 v14, v10, v2, v14
.LBB557_709:
	s_or_b64 exec, exec, s[10:11]
.LBB557_710:
	s_or_b64 exec, exec, s[8:9]
.LBB557_711:
	s_or_b64 exec, exec, s[2:3]
	v_cmp_ne_u16_sdwa s[8:9], v3, v13 src0_sel:BYTE_0 src1_sel:DWORD
	s_and_saveexec_b64 s[2:3], s[8:9]
	s_cbranch_execz .LBB557_717
; %bb.712:
	s_movk_i32 s7, 0x80
	v_cmp_ne_u16_sdwa s[10:11], v3, s7 src0_sel:BYTE_0 src1_sel:DWORD
	v_bfrev_b32_e32 v13, 1
	s_and_saveexec_b64 s[8:9], s[10:11]
	s_cbranch_execz .LBB557_716
; %bb.713:
	s_movk_i32 s7, 0x7f
	v_and_b32_e32 v2, 0x7f, v3
	v_cmp_ne_u32_e32 vcc, s7, v2
	v_mov_b32_e32 v13, 0x7f800001
	s_and_saveexec_b64 s[10:11], vcc
	s_cbranch_execz .LBB557_715
; %bb.714:
	v_and_b32_e32 v13, 7, v3
	v_ffbh_u32_e32 v16, v13
	v_min_u32_e32 v19, 32, v16
	v_mov_b32_e32 v10, v3
	v_subrev_u32_e32 v16, 28, v19
	v_lshlrev_b64 v[16:17], v16, v[10:11]
	v_lshrrev_b32_e32 v18, 3, v2
	v_sub_u32_e32 v10, 29, v19
	v_and_b32_e32 v16, 7, v16
	v_cmp_gt_u32_e32 vcc, 8, v2
	v_cndmask_b32_e32 v2, v18, v10, vcc
	v_cndmask_b32_e32 v10, v13, v16, vcc
	v_lshlrev_b32_e32 v13, 24, v3
	v_bfrev_b32_e32 v16, 60
	v_lshlrev_b32_e32 v10, 20, v10
	v_and_b32_e32 v13, 0x80000000, v13
	v_lshl_add_u32 v2, v2, 23, v16
	v_or3_b32 v13, v13, v2, v10
.LBB557_715:
	s_or_b64 exec, exec, s[10:11]
.LBB557_716:
	s_or_b64 exec, exec, s[8:9]
.LBB557_717:
	s_or_b64 exec, exec, s[2:3]
	v_lshrrev_b16_e32 v2, 8, v3
	v_cmp_ne_u16_e32 vcc, 0, v2
	v_mov_b32_e32 v16, 0
	v_mov_b32_e32 v17, 0
	s_and_saveexec_b64 s[2:3], vcc
	s_cbranch_execz .LBB557_723
; %bb.718:
	s_movk_i32 s7, 0x80
	v_cmp_ne_u16_e32 vcc, s7, v2
	v_bfrev_b32_e32 v17, 1
	s_and_saveexec_b64 s[8:9], vcc
	s_cbranch_execz .LBB557_722
; %bb.719:
	s_movk_i32 s7, 0x7f
	v_and_b32_e32 v10, 0x7f, v2
	v_cmp_ne_u32_e32 vcc, s7, v10
	v_mov_b32_e32 v17, 0x7f800001
	s_and_saveexec_b64 s[10:11], vcc
	s_cbranch_execz .LBB557_721
; %bb.720:
	v_and_b32_e32 v17, 7, v2
	v_ffbh_u32_e32 v18, v17
	v_min_u32_e32 v21, 32, v18
	v_subrev_u32_e32 v18, 28, v21
	v_lshlrev_b64 v[18:19], v18, v[2:3]
	v_lshrrev_b32_e32 v20, 3, v10
	v_sub_u32_e32 v2, 29, v21
	v_and_b32_e32 v18, 7, v18
	v_cmp_gt_u32_e32 vcc, 8, v10
	v_cndmask_b32_e32 v2, v20, v2, vcc
	v_cndmask_b32_e32 v10, v17, v18, vcc
	v_lshlrev_b32_e32 v17, 16, v3
	v_bfrev_b32_e32 v18, 60
	v_lshlrev_b32_e32 v10, 20, v10
	v_and_b32_e32 v17, 0x80000000, v17
	v_lshl_add_u32 v2, v2, 23, v18
	v_or3_b32 v17, v17, v2, v10
.LBB557_721:
	s_or_b64 exec, exec, s[10:11]
.LBB557_722:
	s_or_b64 exec, exec, s[8:9]
.LBB557_723:
	s_or_b64 exec, exec, s[2:3]
	s_movk_i32 s2, 0xff
	v_and_b32_sdwa v10, v3, s2 dst_sel:DWORD dst_unused:UNUSED_PAD src0_sel:WORD_1 src1_sel:DWORD
	v_lshrrev_b32_e32 v2, 16, v3
	v_cmp_ne_u16_e32 vcc, 0, v10
	s_and_saveexec_b64 s[2:3], vcc
	s_cbranch_execz .LBB557_729
; %bb.724:
	s_movk_i32 s7, 0x80
	v_cmp_ne_u16_e32 vcc, s7, v10
	v_bfrev_b32_e32 v16, 1
	s_and_saveexec_b64 s[8:9], vcc
	s_cbranch_execz .LBB557_728
; %bb.725:
	v_bfe_u32 v10, v3, 16, 7
	s_movk_i32 s7, 0x7f
	v_cmp_ne_u32_e32 vcc, s7, v10
	v_mov_b32_e32 v16, 0x7f800001
	s_and_saveexec_b64 s[10:11], vcc
	s_cbranch_execz .LBB557_727
; %bb.726:
	v_and_b32_e32 v16, 7, v2
	v_ffbh_u32_e32 v18, v16
	v_min_u32_e32 v21, 32, v18
	v_subrev_u32_e32 v18, 28, v21
	v_lshlrev_b64 v[18:19], v18, v[2:3]
	v_and_b32_e32 v18, 7, v18
	v_cmp_gt_u32_e32 vcc, 8, v10
	v_lshrrev_b32_e32 v20, 3, v10
	v_sub_u32_e32 v2, 29, v21
	v_cndmask_b32_e32 v10, v16, v18, vcc
	v_mov_b32_e32 v16, 24
	v_cndmask_b32_e32 v2, v20, v2, vcc
	v_lshlrev_b32_sdwa v16, v16, v3 dst_sel:DWORD dst_unused:UNUSED_PAD src0_sel:DWORD src1_sel:WORD_1
	v_bfrev_b32_e32 v18, 60
	v_lshlrev_b32_e32 v10, 20, v10
	v_and_b32_e32 v16, 0x80000000, v16
	v_lshl_add_u32 v2, v2, 23, v18
	v_or3_b32 v16, v16, v2, v10
.LBB557_727:
	s_or_b64 exec, exec, s[10:11]
.LBB557_728:
	s_or_b64 exec, exec, s[8:9]
.LBB557_729:
	s_or_b64 exec, exec, s[2:3]
	s_mov_b32 s2, 0xffffff
	v_cmp_lt_u32_e32 vcc, s2, v3
	v_mov_b32_e32 v10, 0
	v_mov_b32_e32 v18, 0
	s_and_saveexec_b64 s[2:3], vcc
	s_cbranch_execz .LBB557_735
; %bb.730:
	v_lshrrev_b32_e32 v2, 24, v3
	s_movk_i32 s7, 0x80
	v_cmp_ne_u32_e32 vcc, s7, v2
	v_bfrev_b32_e32 v18, 1
	s_and_saveexec_b64 s[8:9], vcc
	s_cbranch_execz .LBB557_734
; %bb.731:
	v_bfe_u32 v3, v3, 24, 7
	s_movk_i32 s7, 0x7f
	v_cmp_ne_u32_e32 vcc, s7, v3
	v_mov_b32_e32 v18, 0x7f800001
	s_and_saveexec_b64 s[10:11], vcc
	s_cbranch_execz .LBB557_733
; %bb.732:
	v_and_b32_e32 v20, 7, v2
	v_ffbh_u32_e32 v18, v20
	v_min_u32_e32 v22, 32, v18
	v_subrev_u32_e32 v18, 28, v22
	v_lshlrev_b64 v[18:19], v18, v[2:3]
	v_lshrrev_b32_e32 v21, 3, v3
	v_sub_u32_e32 v19, 29, v22
	v_and_b32_e32 v18, 7, v18
	v_cmp_gt_u32_e32 vcc, 8, v3
	v_cndmask_b32_e32 v3, v21, v19, vcc
	v_cndmask_b32_e32 v18, v20, v18, vcc
	v_lshlrev_b32_e32 v2, 24, v2
	v_bfrev_b32_e32 v19, 60
	v_lshlrev_b32_e32 v18, 20, v18
	v_and_b32_e32 v2, 0x80000000, v2
	v_lshl_add_u32 v3, v3, 23, v19
	v_or3_b32 v18, v2, v3, v18
.LBB557_733:
	s_or_b64 exec, exec, s[10:11]
.LBB557_734:
	s_or_b64 exec, exec, s[8:9]
.LBB557_735:
	s_or_b64 exec, exec, s[2:3]
	v_cvt_pkrtz_f16_f32 v2, v15, v12
	v_cvt_pkrtz_f16_f32 v3, v11, v14
	ds_read_b128 v[20:23], v50 offset:6144
	v_cmp_ne_u16_sdwa s[8:9], v4, v10 src0_sel:BYTE_0 src1_sel:DWORD
	s_waitcnt lgkmcnt(0)
	v_mfma_f32_16x16x16f16 v[6:9], v[2:3], v[20:21], v[6:9]
	v_cvt_pkrtz_f16_f32 v2, v13, v17
	v_cvt_pkrtz_f16_f32 v3, v16, v18
	s_nop 1
	v_mfma_f32_16x16x16f16 v[6:9], v[2:3], v[22:23], v[6:9]
	s_and_saveexec_b64 s[2:3], s[8:9]
	s_cbranch_execz .LBB557_741
; %bb.736:
	s_movk_i32 s7, 0x80
	v_cmp_ne_u16_sdwa s[10:11], v4, s7 src0_sel:BYTE_0 src1_sel:DWORD
	v_bfrev_b32_e32 v10, 1
	s_and_saveexec_b64 s[8:9], s[10:11]
	s_cbranch_execz .LBB557_740
; %bb.737:
	s_movk_i32 s7, 0x7f
	v_and_b32_e32 v2, 0x7f, v4
	v_cmp_ne_u32_e32 vcc, s7, v2
	v_mov_b32_e32 v10, 0x7f800001
	s_and_saveexec_b64 s[10:11], vcc
	s_cbranch_execz .LBB557_739
; %bb.738:
	v_and_b32_e32 v3, 7, v4
	v_ffbh_u32_e32 v10, v3
	v_min_u32_e32 v13, 32, v10
	v_subrev_u32_e32 v10, 28, v13
	v_lshlrev_b64 v[10:11], v10, v[4:5]
	v_lshrrev_b32_e32 v12, 3, v2
	v_sub_u32_e32 v11, 29, v13
	v_and_b32_e32 v10, 7, v10
	v_cmp_gt_u32_e32 vcc, 8, v2
	v_cndmask_b32_e32 v2, v12, v11, vcc
	v_cndmask_b32_e32 v3, v3, v10, vcc
	v_lshlrev_b32_e32 v10, 24, v4
	v_bfrev_b32_e32 v11, 60
	v_lshlrev_b32_e32 v3, 20, v3
	v_and_b32_e32 v10, 0x80000000, v10
	v_lshl_add_u32 v2, v2, 23, v11
	v_or3_b32 v10, v10, v2, v3
.LBB557_739:
	s_or_b64 exec, exec, s[10:11]
.LBB557_740:
	s_or_b64 exec, exec, s[8:9]
.LBB557_741:
	s_or_b64 exec, exec, s[2:3]
	v_lshrrev_b16_e32 v2, 8, v4
	v_cmp_ne_u16_e32 vcc, 0, v2
	v_mov_b32_e32 v3, 0
	v_mov_b32_e32 v11, 0
	s_and_saveexec_b64 s[2:3], vcc
	s_cbranch_execz .LBB557_747
; %bb.742:
	s_movk_i32 s7, 0x80
	v_cmp_ne_u16_e32 vcc, s7, v2
	v_bfrev_b32_e32 v11, 1
	s_and_saveexec_b64 s[8:9], vcc
	s_cbranch_execz .LBB557_746
; %bb.743:
	s_movk_i32 s7, 0x7f
	v_and_b32_e32 v12, 0x7f, v2
	v_cmp_ne_u32_e32 vcc, s7, v12
	v_mov_b32_e32 v11, 0x7f800001
	s_and_saveexec_b64 s[10:11], vcc
	s_cbranch_execz .LBB557_745
; %bb.744:
	v_and_b32_e32 v11, 7, v2
	v_ffbh_u32_e32 v14, v11
	v_min_u32_e32 v16, 32, v14
	v_subrev_u32_e32 v14, 28, v16
	v_lshlrev_b64 v[14:15], v14, v[2:3]
	v_lshrrev_b32_e32 v13, 3, v12
	v_sub_u32_e32 v2, 29, v16
	v_and_b32_e32 v14, 7, v14
	v_cmp_gt_u32_e32 vcc, 8, v12
	v_cndmask_b32_e32 v2, v13, v2, vcc
	v_cndmask_b32_e32 v11, v11, v14, vcc
	v_lshlrev_b32_e32 v12, 16, v4
	v_bfrev_b32_e32 v13, 60
	v_lshlrev_b32_e32 v11, 20, v11
	v_and_b32_e32 v12, 0x80000000, v12
	v_lshl_add_u32 v2, v2, 23, v13
	v_or3_b32 v11, v12, v2, v11
.LBB557_745:
	s_or_b64 exec, exec, s[10:11]
.LBB557_746:
	s_or_b64 exec, exec, s[8:9]
.LBB557_747:
	s_or_b64 exec, exec, s[2:3]
	s_movk_i32 s2, 0xff
	v_and_b32_sdwa v12, v4, s2 dst_sel:DWORD dst_unused:UNUSED_PAD src0_sel:WORD_1 src1_sel:DWORD
	v_lshrrev_b32_e32 v2, 16, v4
	v_cmp_ne_u16_e32 vcc, 0, v12
	s_and_saveexec_b64 s[2:3], vcc
	s_cbranch_execz .LBB557_753
; %bb.748:
	s_movk_i32 s7, 0x80
	v_cmp_ne_u16_e32 vcc, s7, v12
	v_bfrev_b32_e32 v3, 1
	s_and_saveexec_b64 s[8:9], vcc
	s_cbranch_execz .LBB557_752
; %bb.749:
	v_bfe_u32 v12, v4, 16, 7
	s_movk_i32 s7, 0x7f
	v_cmp_ne_u32_e32 vcc, s7, v12
	v_mov_b32_e32 v3, 0x7f800001
	s_and_saveexec_b64 s[10:11], vcc
	s_cbranch_execz .LBB557_751
; %bb.750:
	v_and_b32_e32 v13, 7, v2
	v_ffbh_u32_e32 v3, v13
	v_min_u32_e32 v15, 32, v3
	v_subrev_u32_e32 v3, 28, v15
	v_lshlrev_b64 v[2:3], v3, v[2:3]
	v_lshrrev_b32_e32 v14, 3, v12
	v_sub_u32_e32 v3, 29, v15
	v_and_b32_e32 v2, 7, v2
	v_cmp_gt_u32_e32 vcc, 8, v12
	v_mov_b32_e32 v12, 24
	v_cndmask_b32_e32 v3, v14, v3, vcc
	v_cndmask_b32_e32 v2, v13, v2, vcc
	v_lshlrev_b32_sdwa v12, v12, v4 dst_sel:DWORD dst_unused:UNUSED_PAD src0_sel:DWORD src1_sel:WORD_1
	v_bfrev_b32_e32 v13, 60
	v_lshlrev_b32_e32 v2, 20, v2
	v_and_b32_e32 v12, 0x80000000, v12
	v_lshl_add_u32 v3, v3, 23, v13
	v_or3_b32 v3, v12, v3, v2
.LBB557_751:
	s_or_b64 exec, exec, s[10:11]
.LBB557_752:
	s_or_b64 exec, exec, s[8:9]
.LBB557_753:
	s_or_b64 exec, exec, s[2:3]
	s_mov_b32 s2, 0xffffff
	v_cmp_lt_u32_e32 vcc, s2, v4
	v_mov_b32_e32 v12, 0
	v_mov_b32_e32 v13, 0
	s_and_saveexec_b64 s[2:3], vcc
	s_cbranch_execz .LBB557_759
; %bb.754:
	v_lshrrev_b32_e32 v2, 24, v4
	s_movk_i32 s7, 0x80
	v_cmp_ne_u32_e32 vcc, s7, v2
	v_bfrev_b32_e32 v13, 1
	s_and_saveexec_b64 s[8:9], vcc
	s_cbranch_execz .LBB557_758
; %bb.755:
	v_bfe_u32 v4, v4, 24, 7
	s_movk_i32 s7, 0x7f
	v_cmp_ne_u32_e32 vcc, s7, v4
	v_mov_b32_e32 v13, 0x7f800001
	s_and_saveexec_b64 s[10:11], vcc
	s_cbranch_execz .LBB557_757
; %bb.756:
	v_and_b32_e32 v13, 7, v2
	v_ffbh_u32_e32 v14, v13
	v_min_u32_e32 v17, 32, v14
	v_subrev_u32_e32 v14, 28, v17
	v_lshlrev_b64 v[14:15], v14, v[2:3]
	v_lshrrev_b32_e32 v16, 3, v4
	v_sub_u32_e32 v15, 29, v17
	v_and_b32_e32 v14, 7, v14
	v_cmp_gt_u32_e32 vcc, 8, v4
	v_cndmask_b32_e32 v4, v16, v15, vcc
	v_cndmask_b32_e32 v13, v13, v14, vcc
	v_lshlrev_b32_e32 v2, 24, v2
	v_bfrev_b32_e32 v14, 60
	v_lshlrev_b32_e32 v13, 20, v13
	v_and_b32_e32 v2, 0x80000000, v2
	v_lshl_add_u32 v4, v4, 23, v14
	v_or3_b32 v13, v2, v4, v13
.LBB557_757:
	s_or_b64 exec, exec, s[10:11]
.LBB557_758:
	s_or_b64 exec, exec, s[8:9]
.LBB557_759:
	s_or_b64 exec, exec, s[2:3]
	v_cmp_ne_u16_sdwa s[8:9], v5, v12 src0_sel:BYTE_0 src1_sel:DWORD
	s_and_saveexec_b64 s[2:3], s[8:9]
	s_cbranch_execz .LBB557_765
; %bb.760:
	s_movk_i32 s7, 0x80
	v_cmp_ne_u16_sdwa s[10:11], v5, s7 src0_sel:BYTE_0 src1_sel:DWORD
	v_bfrev_b32_e32 v12, 1
	s_and_saveexec_b64 s[8:9], s[10:11]
	s_cbranch_execz .LBB557_764
; %bb.761:
	s_movk_i32 s7, 0x7f
	v_and_b32_e32 v2, 0x7f, v5
	v_cmp_ne_u32_e32 vcc, s7, v2
	v_mov_b32_e32 v12, 0x7f800001
	s_and_saveexec_b64 s[10:11], vcc
	s_cbranch_execz .LBB557_763
; %bb.762:
	v_and_b32_e32 v12, 7, v5
	v_ffbh_u32_e32 v14, v12
	v_min_u32_e32 v17, 32, v14
	v_mov_b32_e32 v4, v5
	v_subrev_u32_e32 v14, 28, v17
	v_lshlrev_b64 v[14:15], v14, v[4:5]
	v_lshrrev_b32_e32 v16, 3, v2
	v_sub_u32_e32 v4, 29, v17
	v_and_b32_e32 v14, 7, v14
	v_cmp_gt_u32_e32 vcc, 8, v2
	v_cndmask_b32_e32 v2, v16, v4, vcc
	v_cndmask_b32_e32 v4, v12, v14, vcc
	v_lshlrev_b32_e32 v12, 24, v5
	v_bfrev_b32_e32 v14, 60
	v_lshlrev_b32_e32 v4, 20, v4
	v_and_b32_e32 v12, 0x80000000, v12
	v_lshl_add_u32 v2, v2, 23, v14
	v_or3_b32 v12, v12, v2, v4
.LBB557_763:
	s_or_b64 exec, exec, s[10:11]
.LBB557_764:
	s_or_b64 exec, exec, s[8:9]
.LBB557_765:
	s_or_b64 exec, exec, s[2:3]
	v_lshrrev_b16_e32 v2, 8, v5
	v_cmp_ne_u16_e32 vcc, 0, v2
	v_mov_b32_e32 v4, 0
	v_mov_b32_e32 v14, 0
	s_and_saveexec_b64 s[2:3], vcc
	s_cbranch_execz .LBB557_771
; %bb.766:
	s_movk_i32 s7, 0x80
	v_cmp_ne_u16_e32 vcc, s7, v2
	v_bfrev_b32_e32 v14, 1
	s_and_saveexec_b64 s[8:9], vcc
	s_cbranch_execz .LBB557_770
; %bb.767:
	s_movk_i32 s7, 0x7f
	v_and_b32_e32 v15, 0x7f, v2
	v_cmp_ne_u32_e32 vcc, s7, v15
	v_mov_b32_e32 v14, 0x7f800001
	s_and_saveexec_b64 s[10:11], vcc
	s_cbranch_execz .LBB557_769
; %bb.768:
	v_and_b32_e32 v14, 7, v2
	v_ffbh_u32_e32 v16, v14
	v_min_u32_e32 v19, 32, v16
	v_subrev_u32_e32 v16, 28, v19
	v_lshlrev_b64 v[16:17], v16, v[2:3]
	v_lshrrev_b32_e32 v18, 3, v15
	v_sub_u32_e32 v2, 29, v19
	v_and_b32_e32 v16, 7, v16
	v_cmp_gt_u32_e32 vcc, 8, v15
	v_cndmask_b32_e32 v2, v18, v2, vcc
	v_cndmask_b32_e32 v14, v14, v16, vcc
	v_lshlrev_b32_e32 v15, 16, v5
	v_bfrev_b32_e32 v16, 60
	v_lshlrev_b32_e32 v14, 20, v14
	v_and_b32_e32 v15, 0x80000000, v15
	v_lshl_add_u32 v2, v2, 23, v16
	v_or3_b32 v14, v15, v2, v14
.LBB557_769:
	s_or_b64 exec, exec, s[10:11]
.LBB557_770:
	s_or_b64 exec, exec, s[8:9]
.LBB557_771:
	s_or_b64 exec, exec, s[2:3]
	s_movk_i32 s2, 0xff
	v_and_b32_sdwa v15, v5, s2 dst_sel:DWORD dst_unused:UNUSED_PAD src0_sel:WORD_1 src1_sel:DWORD
	v_lshrrev_b32_e32 v2, 16, v5
	v_cmp_ne_u16_e32 vcc, 0, v15
	s_and_saveexec_b64 s[2:3], vcc
	s_cbranch_execz .LBB557_777
; %bb.772:
	s_movk_i32 s7, 0x80
	v_cmp_ne_u16_e32 vcc, s7, v15
	v_bfrev_b32_e32 v4, 1
	s_and_saveexec_b64 s[8:9], vcc
	s_cbranch_execz .LBB557_776
; %bb.773:
	v_bfe_u32 v15, v5, 16, 7
	s_movk_i32 s7, 0x7f
	v_cmp_ne_u32_e32 vcc, s7, v15
	v_mov_b32_e32 v4, 0x7f800001
	s_and_saveexec_b64 s[10:11], vcc
	s_cbranch_execz .LBB557_775
; %bb.774:
	v_and_b32_e32 v4, 7, v2
	v_ffbh_u32_e32 v16, v4
	v_min_u32_e32 v19, 32, v16
	v_subrev_u32_e32 v16, 28, v19
	v_lshlrev_b64 v[16:17], v16, v[2:3]
	v_lshrrev_b32_e32 v18, 3, v15
	v_sub_u32_e32 v2, 29, v19
	v_and_b32_e32 v16, 7, v16
	v_cmp_gt_u32_e32 vcc, 8, v15
	v_mov_b32_e32 v15, 24
	v_cndmask_b32_e32 v2, v18, v2, vcc
	v_cndmask_b32_e32 v4, v4, v16, vcc
	v_lshlrev_b32_sdwa v15, v15, v5 dst_sel:DWORD dst_unused:UNUSED_PAD src0_sel:DWORD src1_sel:WORD_1
	v_bfrev_b32_e32 v16, 60
	v_lshlrev_b32_e32 v4, 20, v4
	v_and_b32_e32 v15, 0x80000000, v15
	v_lshl_add_u32 v2, v2, 23, v16
	v_or3_b32 v4, v15, v2, v4
.LBB557_775:
	s_or_b64 exec, exec, s[10:11]
.LBB557_776:
	s_or_b64 exec, exec, s[8:9]
.LBB557_777:
	s_or_b64 exec, exec, s[2:3]
	s_mov_b32 s2, 0xffffff
	v_cmp_lt_u32_e32 vcc, s2, v5
	v_mov_b32_e32 v15, 0
	s_and_saveexec_b64 s[2:3], vcc
	s_cbranch_execz .LBB557_783
; %bb.778:
	v_lshrrev_b32_e32 v2, 24, v5
	s_movk_i32 s7, 0x80
	v_cmp_ne_u32_e32 vcc, s7, v2
	v_bfrev_b32_e32 v15, 1
	s_and_saveexec_b64 s[8:9], vcc
	s_cbranch_execz .LBB557_782
; %bb.779:
	v_bfe_u32 v5, v5, 24, 7
	s_movk_i32 s7, 0x7f
	v_cmp_ne_u32_e32 vcc, s7, v5
	v_mov_b32_e32 v15, 0x7f800001
	s_and_saveexec_b64 s[10:11], vcc
	s_cbranch_execz .LBB557_781
; %bb.780:
	v_and_b32_e32 v15, 7, v2
	v_ffbh_u32_e32 v16, v15
	v_min_u32_e32 v19, 32, v16
	v_subrev_u32_e32 v16, 28, v19
	v_lshlrev_b64 v[16:17], v16, v[2:3]
	v_lshrrev_b32_e32 v18, 3, v5
	v_sub_u32_e32 v17, 29, v19
	v_and_b32_e32 v16, 7, v16
	v_cmp_gt_u32_e32 vcc, 8, v5
	v_cndmask_b32_e32 v5, v18, v17, vcc
	v_cndmask_b32_e32 v15, v15, v16, vcc
	v_lshlrev_b32_e32 v2, 24, v2
	v_bfrev_b32_e32 v16, 60
	v_lshlrev_b32_e32 v15, 20, v15
	v_and_b32_e32 v2, 0x80000000, v2
	v_lshl_add_u32 v5, v5, 23, v16
	v_or3_b32 v15, v2, v5, v15
.LBB557_781:
	s_or_b64 exec, exec, s[10:11]
.LBB557_782:
	s_or_b64 exec, exec, s[8:9]
.LBB557_783:
	s_or_b64 exec, exec, s[2:3]
	v_cvt_pkrtz_f16_f32 v2, v10, v11
	v_cvt_pkrtz_f16_f32 v3, v3, v13
	ds_read_b128 v[16:19], v50 offset:6160
	s_load_dword s2, s[42:43], 0x0
	v_cmp_gt_u32_e32 vcc, 64, v0
	s_waitcnt lgkmcnt(0)
	v_mfma_f32_16x16x16f16 v[6:9], v[2:3], v[16:17], v[6:9]
	v_cvt_pkrtz_f16_f32 v2, v12, v14
	v_cvt_pkrtz_f16_f32 v3, v4, v15
	s_and_b64 s[0:1], vcc, s[0:1]
	s_barrier
	v_mfma_f32_16x16x16f16 v[2:5], v[2:3], v[18:19], v[6:9]
	s_nop 7
	s_nop 2
	v_pk_mul_f32 v[4:5], v[4:5], s[2:3] op_sel_hi:[1,0]
	v_pk_mul_f32 v[2:3], v[2:3], s[2:3] op_sel_hi:[1,0]
	v_cvt_f16_f32_e32 v2, v2
	v_cvt_f16_f32_e32 v3, v3
	;; [unrolled: 1-line block ×4, first 2 shown]
	v_pack_b32_f16 v2, v2, v3
	v_pack_b32_f16 v3, v4, v5
	ds_write_b64 v26, v[2:3]
	s_waitcnt lgkmcnt(0)
	s_barrier
	s_and_saveexec_b64 s[2:3], s[0:1]
	s_cbranch_execz .LBB557_785
; %bb.784:
	s_load_dwordx2 s[0:1], s[4:5], 0x68
	s_lshl_b32 s4, s44, 6
	s_mul_i32 s2, s12, s6
	s_mul_hi_u32 s3, s2, s4
	s_mul_i32 s2, s2, s4
	s_lshl_b64 s[2:3], s[2:3], 1
	s_waitcnt lgkmcnt(0)
	s_add_u32 s2, s0, s2
	s_addc_u32 s3, s1, s3
	s_lshl_b32 s0, s24, 6
	s_mov_b32 s1, 0
	v_lshlrev_b32_e32 v0, 10, v0
	s_lshl_b64 s[0:1], s[0:1], 1
	v_and_b32_e32 v0, 0x1800, v0
	v_lshlrev_b32_e32 v2, 5, v1
	v_and_b32_e32 v3, 16, v49
	s_add_u32 s0, s2, s0
	v_or3_b32 v0, v0, v2, v3
	s_addc_u32 s1, s3, s1
	ds_read_b128 v[2:5], v0
	ds_read_b128 v[6:9], v0 offset:128
	ds_read_b128 v[10:13], v0 offset:256
	;; [unrolled: 1-line block ×3, first 2 shown]
	v_mov_b32_e32 v0, s1
	v_add_co_u32_e32 v18, vcc, s0, v48
	v_or_b32_e32 v20, s25, v1
	v_addc_co_u32_e32 v19, vcc, 0, v0, vcc
	v_mad_u64_u32 v[0:1], s[0:1], v20, s4, 0
	v_lshlrev_b64 v[0:1], 1, v[0:1]
	v_add_co_u32_e32 v0, vcc, v18, v0
	v_addc_co_u32_e32 v1, vcc, v19, v1, vcc
	s_waitcnt lgkmcnt(3)
	global_store_dwordx4 v[0:1], v[2:5], off
	v_or_b32_e32 v0, 4, v20
	v_mad_u64_u32 v[0:1], s[0:1], v0, s4, 0
	v_lshlrev_b64 v[0:1], 1, v[0:1]
	v_add_co_u32_e32 v0, vcc, v18, v0
	v_addc_co_u32_e32 v1, vcc, v19, v1, vcc
	s_waitcnt lgkmcnt(2)
	global_store_dwordx4 v[0:1], v[6:9], off
	v_or_b32_e32 v0, 8, v20
	;; [unrolled: 7-line block ×3, first 2 shown]
	v_mad_u64_u32 v[0:1], s[0:1], v0, s4, 0
	v_lshlrev_b64 v[0:1], 1, v[0:1]
	v_add_co_u32_e32 v0, vcc, v18, v0
	v_addc_co_u32_e32 v1, vcc, v19, v1, vcc
	s_waitcnt lgkmcnt(0)
	global_store_dwordx4 v[0:1], v[14:17], off
.LBB557_785:
	s_endpgm
	.section	.rodata,"a",@progbits
	.p2align	6, 0x0
	.amdhsa_kernel _Z39paged_attention_ll4mi_QKV_mfma16_kernelIDF16_hLN4vllm18Fp8KVCacheDataTypeE1EDF16_Li16ELi64ELi256ELb1ELi16EL8MFMAType0EEvPKT_PKT0_S8_ifPKiSA_SA_iPKfiiiPfSD_PS3_PT2_iSC_SC_
		.amdhsa_group_segment_fixed_size 8192
		.amdhsa_private_segment_fixed_size 0
		.amdhsa_kernarg_size 400
		.amdhsa_user_sgpr_count 6
		.amdhsa_user_sgpr_private_segment_buffer 1
		.amdhsa_user_sgpr_dispatch_ptr 0
		.amdhsa_user_sgpr_queue_ptr 0
		.amdhsa_user_sgpr_kernarg_segment_ptr 1
		.amdhsa_user_sgpr_dispatch_id 0
		.amdhsa_user_sgpr_flat_scratch_init 0
		.amdhsa_user_sgpr_kernarg_preload_length 0
		.amdhsa_user_sgpr_kernarg_preload_offset 0
		.amdhsa_user_sgpr_private_segment_size 0
		.amdhsa_uses_dynamic_stack 0
		.amdhsa_system_sgpr_private_segment_wavefront_offset 0
		.amdhsa_system_sgpr_workgroup_id_x 1
		.amdhsa_system_sgpr_workgroup_id_y 1
		.amdhsa_system_sgpr_workgroup_id_z 1
		.amdhsa_system_sgpr_workgroup_info 0
		.amdhsa_system_vgpr_workitem_id 0
		.amdhsa_next_free_vgpr 65
		.amdhsa_next_free_sgpr 47
		.amdhsa_accum_offset 68
		.amdhsa_reserve_vcc 1
		.amdhsa_reserve_flat_scratch 0
		.amdhsa_float_round_mode_32 0
		.amdhsa_float_round_mode_16_64 0
		.amdhsa_float_denorm_mode_32 3
		.amdhsa_float_denorm_mode_16_64 3
		.amdhsa_dx10_clamp 1
		.amdhsa_ieee_mode 1
		.amdhsa_fp16_overflow 0
		.amdhsa_tg_split 0
		.amdhsa_exception_fp_ieee_invalid_op 0
		.amdhsa_exception_fp_denorm_src 0
		.amdhsa_exception_fp_ieee_div_zero 0
		.amdhsa_exception_fp_ieee_overflow 0
		.amdhsa_exception_fp_ieee_underflow 0
		.amdhsa_exception_fp_ieee_inexact 0
		.amdhsa_exception_int_div_zero 0
	.end_amdhsa_kernel
	.section	.text._Z39paged_attention_ll4mi_QKV_mfma16_kernelIDF16_hLN4vllm18Fp8KVCacheDataTypeE1EDF16_Li16ELi64ELi256ELb1ELi16EL8MFMAType0EEvPKT_PKT0_S8_ifPKiSA_SA_iPKfiiiPfSD_PS3_PT2_iSC_SC_,"axG",@progbits,_Z39paged_attention_ll4mi_QKV_mfma16_kernelIDF16_hLN4vllm18Fp8KVCacheDataTypeE1EDF16_Li16ELi64ELi256ELb1ELi16EL8MFMAType0EEvPKT_PKT0_S8_ifPKiSA_SA_iPKfiiiPfSD_PS3_PT2_iSC_SC_,comdat
.Lfunc_end557:
	.size	_Z39paged_attention_ll4mi_QKV_mfma16_kernelIDF16_hLN4vllm18Fp8KVCacheDataTypeE1EDF16_Li16ELi64ELi256ELb1ELi16EL8MFMAType0EEvPKT_PKT0_S8_ifPKiSA_SA_iPKfiiiPfSD_PS3_PT2_iSC_SC_, .Lfunc_end557-_Z39paged_attention_ll4mi_QKV_mfma16_kernelIDF16_hLN4vllm18Fp8KVCacheDataTypeE1EDF16_Li16ELi64ELi256ELb1ELi16EL8MFMAType0EEvPKT_PKT0_S8_ifPKiSA_SA_iPKfiiiPfSD_PS3_PT2_iSC_SC_
                                        ; -- End function
	.section	.AMDGPU.csdata,"",@progbits
; Kernel info:
; codeLenInByte = 27240
; NumSgprs: 51
; NumVgprs: 65
; NumAgprs: 0
; TotalNumVgprs: 65
; ScratchSize: 0
; MemoryBound: 0
; FloatMode: 240
; IeeeMode: 1
; LDSByteSize: 8192 bytes/workgroup (compile time only)
; SGPRBlocks: 6
; VGPRBlocks: 8
; NumSGPRsForWavesPerEU: 51
; NumVGPRsForWavesPerEU: 65
; AccumOffset: 68
; Occupancy: 7
; WaveLimiterHint : 1
; COMPUTE_PGM_RSRC2:SCRATCH_EN: 0
; COMPUTE_PGM_RSRC2:USER_SGPR: 6
; COMPUTE_PGM_RSRC2:TRAP_HANDLER: 0
; COMPUTE_PGM_RSRC2:TGID_X_EN: 1
; COMPUTE_PGM_RSRC2:TGID_Y_EN: 1
; COMPUTE_PGM_RSRC2:TGID_Z_EN: 1
; COMPUTE_PGM_RSRC2:TIDIG_COMP_CNT: 0
; COMPUTE_PGM_RSRC3_GFX90A:ACCUM_OFFSET: 16
; COMPUTE_PGM_RSRC3_GFX90A:TG_SPLIT: 0
	.section	.text._Z39paged_attention_ll4mi_QKV_mfma16_kernelIDF16_hLN4vllm18Fp8KVCacheDataTypeE1EDF16_Li16ELi64ELi256ELb1ELi1EL8MFMAType0EEvPKT_PKT0_S8_ifPKiSA_SA_iPKfiiiPfSD_PS3_PT2_iSC_SC_,"axG",@progbits,_Z39paged_attention_ll4mi_QKV_mfma16_kernelIDF16_hLN4vllm18Fp8KVCacheDataTypeE1EDF16_Li16ELi64ELi256ELb1ELi1EL8MFMAType0EEvPKT_PKT0_S8_ifPKiSA_SA_iPKfiiiPfSD_PS3_PT2_iSC_SC_,comdat
	.protected	_Z39paged_attention_ll4mi_QKV_mfma16_kernelIDF16_hLN4vllm18Fp8KVCacheDataTypeE1EDF16_Li16ELi64ELi256ELb1ELi1EL8MFMAType0EEvPKT_PKT0_S8_ifPKiSA_SA_iPKfiiiPfSD_PS3_PT2_iSC_SC_ ; -- Begin function _Z39paged_attention_ll4mi_QKV_mfma16_kernelIDF16_hLN4vllm18Fp8KVCacheDataTypeE1EDF16_Li16ELi64ELi256ELb1ELi1EL8MFMAType0EEvPKT_PKT0_S8_ifPKiSA_SA_iPKfiiiPfSD_PS3_PT2_iSC_SC_
	.globl	_Z39paged_attention_ll4mi_QKV_mfma16_kernelIDF16_hLN4vllm18Fp8KVCacheDataTypeE1EDF16_Li16ELi64ELi256ELb1ELi1EL8MFMAType0EEvPKT_PKT0_S8_ifPKiSA_SA_iPKfiiiPfSD_PS3_PT2_iSC_SC_
	.p2align	8
	.type	_Z39paged_attention_ll4mi_QKV_mfma16_kernelIDF16_hLN4vllm18Fp8KVCacheDataTypeE1EDF16_Li16ELi64ELi256ELb1ELi1EL8MFMAType0EEvPKT_PKT0_S8_ifPKiSA_SA_iPKfiiiPfSD_PS3_PT2_iSC_SC_,@function
_Z39paged_attention_ll4mi_QKV_mfma16_kernelIDF16_hLN4vllm18Fp8KVCacheDataTypeE1EDF16_Li16ELi64ELi256ELb1ELi1EL8MFMAType0EEvPKT_PKT0_S8_ifPKiSA_SA_iPKfiiiPfSD_PS3_PT2_iSC_SC_: ; @_Z39paged_attention_ll4mi_QKV_mfma16_kernelIDF16_hLN4vllm18Fp8KVCacheDataTypeE1EDF16_Li16ELi64ELi256ELb1ELi1EL8MFMAType0EEvPKT_PKT0_S8_ifPKiSA_SA_iPKfiiiPfSD_PS3_PT2_iSC_SC_
; %bb.0:
	s_load_dwordx2 s[0:1], s[4:5], 0x30
	s_mov_b32 s26, s7
	s_mov_b64 s[10:11], 0
	s_waitcnt lgkmcnt(0)
	s_cmp_lg_u64 s[0:1], 0
	s_cselect_b64 s[2:3], -1, 0
	s_and_b64 vcc, exec, s[2:3]
	s_cbranch_vccz .LBB558_7
; %bb.1:
	s_add_i32 s12, s6, 1
	s_mov_b32 s13, 0
	s_lshl_b64 s[14:15], s[12:13], 2
	s_add_u32 s14, s0, s14
	s_mov_b32 s7, s13
	s_addc_u32 s15, s1, s15
	s_lshl_b64 s[12:13], s[6:7], 2
	s_add_u32 s12, s0, s12
	s_addc_u32 s13, s1, s13
	s_load_dword s9, s[14:15], 0x0
	s_load_dword s16, s[12:13], 0x0
	s_waitcnt lgkmcnt(0)
	s_sub_i32 s9, s9, s16
	s_cmp_eq_u32 s9, 1
	s_cselect_b64 s[12:13], -1, 0
	s_andn2_b64 vcc, exec, s[10:11]
	s_cbranch_vccnz .LBB558_3
.LBB558_2:
	s_mov_b32 s7, 0
	s_mov_b64 s[12:13], -1
.LBB558_3:
	s_andn2_b64 vcc, exec, s[12:13]
	s_cbranch_vccnz .LBB558_787
; %bb.4:
	s_load_dwordx2 s[12:13], s[4:5], 0x28
	s_lshl_b64 s[10:11], s[6:7], 2
	s_waitcnt lgkmcnt(0)
	s_add_u32 s12, s12, s10
	s_addc_u32 s13, s13, s11
	s_load_dword s27, s[12:13], 0x0
	s_lshl_b32 s18, s26, 8
	s_waitcnt lgkmcnt(0)
	s_cmp_ge_i32 s18, s27
	s_cbranch_scc1 .LBB558_787
; %bb.5:
	s_add_i32 s14, s27, 15
	s_load_dwordx2 s[12:13], s[4:5], 0x20
	s_load_dword s9, s[4:5], 0x38
	s_ashr_i32 s15, s14, 31
	v_and_b32_e32 v1, 0xcf, v0
	s_lshr_b32 s15, s15, 28
	v_add_u32_e32 v1, s18, v1
	s_add_i32 s14, s14, s15
	v_ashrrev_i32_e32 v2, 31, v1
	s_ashr_i32 s21, s14, 4
	v_lshrrev_b32_e32 v4, 28, v2
	s_add_i32 s21, s21, -1
	v_add_u32_e32 v2, v1, v4
	s_waitcnt lgkmcnt(0)
	s_mul_i32 s14, s6, s9
	s_mov_b32 s15, 0
	v_ashrrev_i32_e32 v2, 4, v2
	v_mov_b32_e32 v5, s21
	v_cmp_gt_i32_e32 vcc, s27, v1
	s_lshl_b64 s[14:15], s[14:15], 2
	v_cndmask_b32_e32 v2, v5, v2, vcc
	s_add_u32 s19, s12, s14
	v_ashrrev_i32_e32 v3, 31, v2
	s_addc_u32 s20, s13, s15
	v_lshlrev_b64 v[2:3], 2, v[2:3]
	v_mov_b32_e32 v7, s20
	v_add_co_u32_e32 v6, vcc, s19, v2
	v_or_b32_e32 v2, 16, v1
	v_addc_co_u32_e32 v7, vcc, v7, v3, vcc
	v_add_u32_e32 v3, v2, v4
	v_ashrrev_i32_e32 v3, 4, v3
	v_cmp_gt_i32_e32 vcc, s27, v2
	v_cndmask_b32_e32 v2, v5, v3, vcc
	v_ashrrev_i32_e32 v3, 31, v2
	v_lshlrev_b64 v[2:3], 2, v[2:3]
	v_mov_b32_e32 v9, s20
	v_add_co_u32_e32 v8, vcc, s19, v2
	v_or_b32_e32 v2, 32, v1
	v_addc_co_u32_e32 v9, vcc, v9, v3, vcc
	v_add_u32_e32 v3, v2, v4
	v_ashrrev_i32_e32 v3, 4, v3
	v_cmp_gt_i32_e32 vcc, s27, v2
	v_cndmask_b32_e32 v2, v5, v3, vcc
	v_ashrrev_i32_e32 v3, 31, v2
	;; [unrolled: 10-line block ×3, first 2 shown]
	v_lshlrev_b64 v[2:3], 2, v[2:3]
	v_mov_b32_e32 v1, s20
	v_add_co_u32_e32 v12, vcc, s19, v2
	v_addc_co_u32_e32 v13, vcc, v1, v3, vcc
	global_load_dword v5, v[6:7], off
	global_load_dword v4, v[8:9], off
	;; [unrolled: 1-line block ×4, first 2 shown]
	s_load_dwordx2 s[16:17], s[4:5], 0x8
	s_andn2_b64 vcc, exec, s[2:3]
	s_cbranch_vccnz .LBB558_8
; %bb.6:
	s_add_u32 s0, s0, s10
	s_addc_u32 s1, s1, s11
	s_load_dword s9, s[0:1], 0x0
	s_branch .LBB558_9
.LBB558_7:
	s_mov_b64 s[12:13], 0
	s_branch .LBB558_2
.LBB558_8:
	s_mov_b32 s9, s6
.LBB558_9:
	s_load_dwordx2 s[2:3], s[4:5], 0x10
	s_load_dwordx4 s[12:15], s[4:5], 0x48
	v_lshrrev_b32_e32 v48, 6, v0
	v_bfe_u32 v46, v0, 4, 2
	v_lshl_or_b32 v1, v48, 2, v46
	v_and_b32_e32 v49, 15, v0
	v_lshlrev_b32_e32 v6, 3, v49
	v_cmp_eq_u32_e32 vcc, 0, v1
	v_cmp_gt_u32_e64 s[0:1], 8, v49
	s_and_b64 s[22:23], s[0:1], vcc
	v_lshlrev_b32_e32 v1, 1, v6
	v_lshlrev_b32_e32 v47, 4, v0
	s_and_saveexec_b64 s[10:11], s[22:23]
	s_cbranch_execz .LBB558_11
; %bb.10:
	s_load_dwordx2 s[22:23], s[4:5], 0x0
	s_waitcnt lgkmcnt(0)
	s_ashr_i32 s15, s12, 31
	s_mul_hi_u32 s24, s9, s12
	s_mul_i32 s15, s9, s15
	s_add_i32 s25, s24, s15
	s_mul_i32 s24, s9, s12
	s_lshl_b64 s[24:25], s[24:25], 1
	s_add_u32 s9, s22, s24
	s_addc_u32 s12, s23, s25
	s_lshl_b32 s22, s8, 6
	s_ashr_i32 s23, s22, 31
	s_lshl_b64 s[22:23], s[22:23], 1
	s_add_u32 s22, s9, s22
	s_addc_u32 s23, s12, s23
	global_load_dwordx4 v[6:9], v1, s[22:23]
	v_lshlrev_b32_e32 v10, 8, v49
	v_and_b32_e32 v11, 16, v47
	s_movk_i32 s9, 0xe00
	v_and_or_b32 v10, v10, s9, v11
	s_waitcnt vmcnt(0)
	ds_write_b128 v10, v[6:9]
.LBB558_11:
	s_or_b64 exec, exec, s[10:11]
	s_waitcnt lgkmcnt(0)
	s_mul_i32 s12, s8, s14
	s_add_u32 s9, s16, s12
	s_addc_u32 s10, s17, 0
	v_and_b32_e32 v7, 0xf0, v47
	v_and_b32_e32 v6, 48, v0
	v_mov_b32_e32 v8, s10
	v_add_co_u32_e32 v7, vcc, s9, v7
	v_addc_co_u32_e32 v9, vcc, 0, v8, vcc
	v_lshlrev_b32_e32 v8, 4, v6
	v_add_co_u32_e32 v8, vcc, v7, v8
	v_addc_co_u32_e32 v9, vcc, 0, v9, vcc
	s_waitcnt vmcnt(3)
	v_mad_i64_i32 v[10:11], s[10:11], v5, s13, v[8:9]
	s_waitcnt vmcnt(2)
	v_mad_i64_i32 v[4:5], s[10:11], v4, s13, v[8:9]
	s_barrier
	global_load_dwordx4 v[34:37], v[10:11], off
	global_load_dwordx4 v[38:41], v[4:5], off
	s_waitcnt vmcnt(3)
	v_mad_i64_i32 v[4:5], s[10:11], v2, s13, v[8:9]
	s_waitcnt vmcnt(2)
	v_mad_i64_i32 v[2:3], s[10:11], v3, s13, v[8:9]
	global_load_dwordx4 v[30:33], v[4:5], off
	global_load_dwordx4 v[22:25], v[2:3], off
	v_lshlrev_b32_e32 v2, 9, v46
	ds_read_b128 v[26:29], v2
	ds_read_b128 v[18:21], v2 offset:16
	v_cmp_eq_u32_e32 vcc, 0, v49
	v_mov_b32_e32 v43, 0
	v_mov_b32_e32 v50, 0
	s_and_saveexec_b64 s[10:11], vcc
	s_cbranch_execz .LBB558_13
; %bb.12:
	s_load_dwordx2 s[14:15], s[4:5], 0x40
	s_ashr_i32 s9, s8, 31
	s_lshl_b64 s[16:17], s[8:9], 2
	s_waitcnt lgkmcnt(0)
	s_add_u32 s14, s14, s16
	s_addc_u32 s15, s15, s17
	s_load_dword s9, s[14:15], 0x0
	s_waitcnt lgkmcnt(0)
	v_mov_b32_e32 v50, s9
.LBB558_13:
	s_or_b64 exec, exec, s[10:11]
	v_or_b32_e32 v8, s18, v6
	v_ashrrev_i32_e32 v2, 4, v8
	v_mov_b32_e32 v9, s21
	v_cmp_gt_i32_e32 vcc, s27, v8
	v_cndmask_b32_e32 v2, v9, v2, vcc
	v_ashrrev_i32_e32 v3, 31, v2
	v_lshlrev_b64 v[2:3], 2, v[2:3]
	v_mov_b32_e32 v4, s20
	v_add_co_u32_e32 v2, vcc, s19, v2
	v_addc_co_u32_e32 v3, vcc, v4, v3, vcc
	v_or_b32_e32 v4, 64, v8
	v_ashrrev_i32_e32 v5, 4, v4
	v_cmp_gt_i32_e32 vcc, s27, v4
	v_cndmask_b32_e32 v4, v9, v5, vcc
	v_ashrrev_i32_e32 v5, 31, v4
	v_lshlrev_b64 v[4:5], 2, v[4:5]
	v_mov_b32_e32 v6, s20
	v_add_co_u32_e32 v4, vcc, s19, v4
	v_addc_co_u32_e32 v5, vcc, v6, v5, vcc
	v_or_b32_e32 v6, 0x80, v8
	v_ashrrev_i32_e32 v7, 4, v6
	v_cmp_gt_i32_e32 vcc, s27, v6
	v_cndmask_b32_e32 v6, v9, v7, vcc
	v_ashrrev_i32_e32 v7, 31, v6
	v_lshlrev_b64 v[6:7], 2, v[6:7]
	v_mov_b32_e32 v10, s20
	v_add_co_u32_e32 v6, vcc, s19, v6
	v_addc_co_u32_e32 v7, vcc, v10, v7, vcc
	global_load_dword v10, v[2:3], off
	global_load_dword v11, v[4:5], off
	;; [unrolled: 1-line block ×3, first 2 shown]
	v_or_b32_e32 v2, 0xc0, v8
	v_ashrrev_i32_e32 v3, 4, v2
	v_cmp_gt_i32_e32 vcc, s27, v2
	v_cndmask_b32_e32 v2, v9, v3, vcc
	v_ashrrev_i32_e32 v3, 31, v2
	v_lshlrev_b64 v[2:3], 2, v[2:3]
	v_mov_b32_e32 v4, s20
	v_add_co_u32_e32 v2, vcc, s19, v2
	v_addc_co_u32_e32 v3, vcc, v4, v3, vcc
	global_load_dword v13, v[2:3], off
	s_add_u32 s2, s2, s12
	v_lshlrev_b32_e32 v2, 4, v49
	s_addc_u32 s3, s3, 0
	v_lshl_or_b32 v2, v48, 8, v2
	v_mov_b32_e32 v3, s3
	v_add_co_u32_e32 v2, vcc, s2, v2
	v_addc_co_u32_e32 v3, vcc, 0, v3, vcc
	s_movk_i32 s10, 0x80
	s_waitcnt vmcnt(3)
	v_mad_i64_i32 v[4:5], s[2:3], v10, s13, v[2:3]
	s_waitcnt vmcnt(2)
	v_mad_i64_i32 v[6:7], s[2:3], v11, s13, v[2:3]
	;; [unrolled: 2-line block ×4, first 2 shown]
	global_load_dwordx4 v[14:17], v[4:5], off
	global_load_dwordx4 v[10:13], v[6:7], off
                                        ; kill: killed $vgpr6_vgpr7
                                        ; kill: killed $vgpr4_vgpr5
	s_nop 0
	global_load_dwordx4 v[6:9], v[8:9], off
	s_nop 0
	global_load_dwordx4 v[2:5], v[2:3], off
	s_load_dwordx4 s[44:47], s[4:5], 0x80
	s_load_dwordx2 s[48:49], s[4:5], 0x94
	v_cmp_ne_u16_sdwa s[12:13], v34, v43 src0_sel:BYTE_0 src1_sel:DWORD
                                        ; kill: killed $sgpr44_sgpr45
	s_waitcnt lgkmcnt(0)
	s_load_dword s9, s[44:45], 0x0
	s_and_saveexec_b64 s[2:3], s[12:13]
	s_cbranch_execz .LBB558_19
; %bb.14:
	v_cmp_ne_u16_sdwa s[12:13], v34, s10 src0_sel:BYTE_0 src1_sel:DWORD
	v_bfrev_b32_e32 v43, 1
	s_and_saveexec_b64 s[10:11], s[12:13]
	s_cbranch_execz .LBB558_18
; %bb.15:
	s_movk_i32 s12, 0x7f
	v_and_b32_e32 v42, 0x7f, v34
	v_cmp_ne_u32_e32 vcc, s12, v42
	v_mov_b32_e32 v43, 0x7f800001
	s_and_saveexec_b64 s[12:13], vcc
	s_cbranch_execz .LBB558_17
; %bb.16:
	v_and_b32_e32 v43, 7, v34
	v_ffbh_u32_e32 v44, v43
	v_min_u32_e32 v52, 32, v44
	v_subrev_u32_e32 v44, 28, v52
	v_lshlrev_b64 v[44:45], v44, v[34:35]
	v_lshrrev_b32_e32 v51, 3, v42
	v_sub_u32_e32 v45, 29, v52
	v_and_b32_e32 v44, 7, v44
	v_cmp_gt_u32_e32 vcc, 8, v42
	v_cndmask_b32_e32 v42, v51, v45, vcc
	v_cndmask_b32_e32 v43, v43, v44, vcc
	v_lshlrev_b32_e32 v44, 24, v34
	v_bfrev_b32_e32 v45, 60
	v_lshlrev_b32_e32 v43, 20, v43
	v_and_b32_e32 v44, 0x80000000, v44
	v_lshl_add_u32 v42, v42, 23, v45
	v_or3_b32 v43, v44, v42, v43
.LBB558_17:
	s_or_b64 exec, exec, s[12:13]
.LBB558_18:
	s_or_b64 exec, exec, s[10:11]
.LBB558_19:
	s_or_b64 exec, exec, s[2:3]
	v_lshrrev_b16_e32 v42, 8, v34
	v_cmp_ne_u16_e32 vcc, 0, v42
	v_mov_b32_e32 v44, 0
	v_mov_b32_e32 v45, 0
	s_and_saveexec_b64 s[2:3], vcc
	s_cbranch_execz .LBB558_25
; %bb.20:
	s_movk_i32 s10, 0x80
	v_cmp_ne_u16_sdwa s[12:13], v34, s10 src0_sel:BYTE_1 src1_sel:DWORD
	v_bfrev_b32_e32 v45, 1
	s_and_saveexec_b64 s[10:11], s[12:13]
	s_cbranch_execz .LBB558_24
; %bb.21:
	s_movk_i32 s12, 0x7f
	v_and_b32_e32 v51, 0x7f, v42
	v_cmp_ne_u32_e32 vcc, s12, v51
	v_mov_b32_e32 v45, 0x7f800001
	s_and_saveexec_b64 s[12:13], vcc
	s_cbranch_execz .LBB558_23
; %bb.22:
	v_and_b32_e32 v45, 7, v42
	v_ffbh_u32_e32 v52, v45
	v_min_u32_e32 v55, 32, v52
	v_subrev_u32_e32 v52, 28, v55
	v_lshlrev_b64 v[52:53], v52, v[42:43]
	v_lshrrev_b32_e32 v54, 3, v51
	v_sub_u32_e32 v42, 29, v55
	v_and_b32_e32 v52, 7, v52
	v_cmp_gt_u32_e32 vcc, 8, v51
	v_cndmask_b32_e32 v42, v54, v42, vcc
	v_cndmask_b32_e32 v45, v45, v52, vcc
	v_lshlrev_b32_e32 v51, 16, v34
	v_bfrev_b32_e32 v52, 60
	v_lshlrev_b32_e32 v45, 20, v45
	v_and_b32_e32 v51, 0x80000000, v51
	v_lshl_add_u32 v42, v42, 23, v52
	v_or3_b32 v45, v51, v42, v45
.LBB558_23:
	s_or_b64 exec, exec, s[12:13]
.LBB558_24:
	s_or_b64 exec, exec, s[10:11]
.LBB558_25:
	s_or_b64 exec, exec, s[2:3]
	s_movk_i32 s2, 0xff
	v_and_b32_sdwa v51, v34, s2 dst_sel:DWORD dst_unused:UNUSED_PAD src0_sel:WORD_1 src1_sel:DWORD
	v_lshrrev_b32_e32 v42, 16, v34
	v_cmp_ne_u16_e32 vcc, 0, v51
	s_and_saveexec_b64 s[2:3], vcc
	s_cbranch_execz .LBB558_31
; %bb.26:
	s_movk_i32 s10, 0x80
	v_cmp_ne_u16_e32 vcc, s10, v51
	v_bfrev_b32_e32 v44, 1
	s_and_saveexec_b64 s[10:11], vcc
	s_cbranch_execz .LBB558_30
; %bb.27:
	v_bfe_u32 v51, v34, 16, 7
	s_movk_i32 s12, 0x7f
	v_cmp_ne_u32_e32 vcc, s12, v51
	v_mov_b32_e32 v44, 0x7f800001
	s_and_saveexec_b64 s[12:13], vcc
	s_cbranch_execz .LBB558_29
; %bb.28:
	v_and_b32_e32 v44, 7, v42
	v_ffbh_u32_e32 v52, v44
	v_min_u32_e32 v55, 32, v52
	v_subrev_u32_e32 v52, 28, v55
	v_lshlrev_b64 v[52:53], v52, v[42:43]
	v_lshrrev_b32_e32 v54, 3, v51
	v_sub_u32_e32 v42, 29, v55
	v_and_b32_e32 v52, 7, v52
	v_cmp_gt_u32_e32 vcc, 8, v51
	v_mov_b32_e32 v51, 24
	v_cndmask_b32_e32 v42, v54, v42, vcc
	v_cndmask_b32_e32 v44, v44, v52, vcc
	v_lshlrev_b32_sdwa v51, v51, v34 dst_sel:DWORD dst_unused:UNUSED_PAD src0_sel:DWORD src1_sel:WORD_1
	v_bfrev_b32_e32 v52, 60
	v_lshlrev_b32_e32 v44, 20, v44
	v_and_b32_e32 v51, 0x80000000, v51
	v_lshl_add_u32 v42, v42, 23, v52
	v_or3_b32 v44, v51, v42, v44
.LBB558_29:
	s_or_b64 exec, exec, s[12:13]
.LBB558_30:
	s_or_b64 exec, exec, s[10:11]
.LBB558_31:
	s_or_b64 exec, exec, s[2:3]
	s_mov_b32 s2, 0xffffff
	v_cmp_lt_u32_e32 vcc, s2, v34
	v_mov_b32_e32 v52, 0
	v_mov_b32_e32 v53, 0
	s_and_saveexec_b64 s[2:3], vcc
	s_cbranch_execz .LBB558_37
; %bb.32:
	v_lshrrev_b32_e32 v42, 24, v34
	s_movk_i32 s10, 0x80
	v_cmp_ne_u32_e32 vcc, s10, v42
	v_bfrev_b32_e32 v53, 1
	s_and_saveexec_b64 s[10:11], vcc
	s_cbranch_execz .LBB558_36
; %bb.33:
	v_bfe_u32 v34, v34, 24, 7
	s_movk_i32 s12, 0x7f
	v_cmp_ne_u32_e32 vcc, s12, v34
	v_mov_b32_e32 v53, 0x7f800001
	s_and_saveexec_b64 s[12:13], vcc
	s_cbranch_execz .LBB558_35
; %bb.34:
	v_and_b32_e32 v51, 7, v42
	v_ffbh_u32_e32 v54, v51
	v_min_u32_e32 v56, 32, v54
	v_subrev_u32_e32 v54, 28, v56
	v_lshlrev_b64 v[54:55], v54, v[42:43]
	v_lshrrev_b32_e32 v53, 3, v34
	v_sub_u32_e32 v55, 29, v56
	v_and_b32_e32 v54, 7, v54
	v_cmp_gt_u32_e32 vcc, 8, v34
	v_cndmask_b32_e32 v34, v53, v55, vcc
	v_cndmask_b32_e32 v51, v51, v54, vcc
	v_lshlrev_b32_e32 v42, 24, v42
	v_bfrev_b32_e32 v53, 60
	v_lshlrev_b32_e32 v51, 20, v51
	v_and_b32_e32 v42, 0x80000000, v42
	v_lshl_add_u32 v34, v34, 23, v53
	v_or3_b32 v53, v42, v34, v51
.LBB558_35:
	s_or_b64 exec, exec, s[12:13]
.LBB558_36:
	s_or_b64 exec, exec, s[10:11]
.LBB558_37:
	s_or_b64 exec, exec, s[2:3]
	v_cmp_ne_u16_sdwa s[10:11], v35, v52 src0_sel:BYTE_0 src1_sel:DWORD
	s_and_saveexec_b64 s[2:3], s[10:11]
	s_cbranch_execz .LBB558_43
; %bb.38:
	s_movk_i32 s10, 0x80
	v_cmp_ne_u16_sdwa s[12:13], v35, s10 src0_sel:BYTE_0 src1_sel:DWORD
	v_bfrev_b32_e32 v52, 1
	s_and_saveexec_b64 s[10:11], s[12:13]
	s_cbranch_execz .LBB558_42
; %bb.39:
	s_movk_i32 s12, 0x7f
	v_and_b32_e32 v34, 0x7f, v35
	v_cmp_ne_u32_e32 vcc, s12, v34
	v_mov_b32_e32 v52, 0x7f800001
	s_and_saveexec_b64 s[12:13], vcc
	s_cbranch_execz .LBB558_41
; %bb.40:
	v_and_b32_e32 v51, 7, v35
	v_ffbh_u32_e32 v54, v51
	v_min_u32_e32 v56, 32, v54
	v_mov_b32_e32 v42, v35
	v_subrev_u32_e32 v54, 28, v56
	v_lshlrev_b64 v[54:55], v54, v[42:43]
	v_lshrrev_b32_e32 v52, 3, v34
	v_sub_u32_e32 v42, 29, v56
	v_and_b32_e32 v54, 7, v54
	v_cmp_gt_u32_e32 vcc, 8, v34
	v_cndmask_b32_e32 v34, v52, v42, vcc
	v_cndmask_b32_e32 v42, v51, v54, vcc
	v_lshlrev_b32_e32 v51, 24, v35
	v_bfrev_b32_e32 v52, 60
	v_lshlrev_b32_e32 v42, 20, v42
	v_and_b32_e32 v51, 0x80000000, v51
	v_lshl_add_u32 v34, v34, 23, v52
	v_or3_b32 v52, v51, v34, v42
.LBB558_41:
	s_or_b64 exec, exec, s[12:13]
.LBB558_42:
	s_or_b64 exec, exec, s[10:11]
.LBB558_43:
	s_or_b64 exec, exec, s[2:3]
	v_lshrrev_b16_e32 v34, 8, v35
	v_cmp_ne_u16_e32 vcc, 0, v34
	v_mov_b32_e32 v42, 0
	v_mov_b32_e32 v54, 0
	s_and_saveexec_b64 s[2:3], vcc
	s_cbranch_execz .LBB558_49
; %bb.44:
	s_movk_i32 s10, 0x80
	v_cmp_ne_u16_e32 vcc, s10, v34
	v_bfrev_b32_e32 v54, 1
	s_and_saveexec_b64 s[10:11], vcc
	s_cbranch_execz .LBB558_48
; %bb.45:
	s_movk_i32 s12, 0x7f
	v_and_b32_e32 v51, 0x7f, v34
	v_cmp_ne_u32_e32 vcc, s12, v51
	v_mov_b32_e32 v54, 0x7f800001
	s_and_saveexec_b64 s[12:13], vcc
	s_cbranch_execz .LBB558_47
; %bb.46:
	v_and_b32_e32 v56, 7, v34
	v_ffbh_u32_e32 v54, v56
	v_min_u32_e32 v58, 32, v54
	v_subrev_u32_e32 v54, 28, v58
	v_lshlrev_b64 v[54:55], v54, v[34:35]
	v_lshrrev_b32_e32 v57, 3, v51
	v_sub_u32_e32 v34, 29, v58
	v_and_b32_e32 v54, 7, v54
	v_cmp_gt_u32_e32 vcc, 8, v51
	v_cndmask_b32_e32 v34, v57, v34, vcc
	v_cndmask_b32_e32 v51, v56, v54, vcc
	v_lshlrev_b32_e32 v54, 16, v35
	v_bfrev_b32_e32 v55, 60
	v_lshlrev_b32_e32 v51, 20, v51
	v_and_b32_e32 v54, 0x80000000, v54
	v_lshl_add_u32 v34, v34, 23, v55
	v_or3_b32 v54, v54, v34, v51
.LBB558_47:
	s_or_b64 exec, exec, s[12:13]
.LBB558_48:
	s_or_b64 exec, exec, s[10:11]
.LBB558_49:
	s_or_b64 exec, exec, s[2:3]
	s_movk_i32 s2, 0xff
	v_and_b32_sdwa v51, v35, s2 dst_sel:DWORD dst_unused:UNUSED_PAD src0_sel:WORD_1 src1_sel:DWORD
	v_lshrrev_b32_e32 v34, 16, v35
	v_cmp_ne_u16_e32 vcc, 0, v51
	s_and_saveexec_b64 s[2:3], vcc
	s_cbranch_execz .LBB558_55
; %bb.50:
	s_movk_i32 s10, 0x80
	v_cmp_ne_u16_e32 vcc, s10, v51
	v_bfrev_b32_e32 v42, 1
	s_and_saveexec_b64 s[10:11], vcc
	s_cbranch_execz .LBB558_54
; %bb.51:
	v_bfe_u32 v51, v35, 16, 7
	s_movk_i32 s12, 0x7f
	v_cmp_ne_u32_e32 vcc, s12, v51
	v_mov_b32_e32 v42, 0x7f800001
	s_and_saveexec_b64 s[12:13], vcc
	s_cbranch_execz .LBB558_53
; %bb.52:
	v_and_b32_e32 v42, 7, v34
	v_ffbh_u32_e32 v56, v42
	v_min_u32_e32 v58, 32, v56
	v_subrev_u32_e32 v56, 28, v58
	v_lshlrev_b64 v[56:57], v56, v[34:35]
	v_lshrrev_b32_e32 v55, 3, v51
	v_sub_u32_e32 v34, 29, v58
	v_and_b32_e32 v56, 7, v56
	v_cmp_gt_u32_e32 vcc, 8, v51
	v_mov_b32_e32 v51, 24
	v_cndmask_b32_e32 v34, v55, v34, vcc
	v_cndmask_b32_e32 v42, v42, v56, vcc
	v_lshlrev_b32_sdwa v51, v51, v35 dst_sel:DWORD dst_unused:UNUSED_PAD src0_sel:DWORD src1_sel:WORD_1
	v_bfrev_b32_e32 v55, 60
	v_lshlrev_b32_e32 v42, 20, v42
	v_and_b32_e32 v51, 0x80000000, v51
	v_lshl_add_u32 v34, v34, 23, v55
	v_or3_b32 v42, v51, v34, v42
.LBB558_53:
	s_or_b64 exec, exec, s[12:13]
.LBB558_54:
	s_or_b64 exec, exec, s[10:11]
.LBB558_55:
	s_or_b64 exec, exec, s[2:3]
	s_mov_b32 s2, 0xffffff
	v_cmp_lt_u32_e32 vcc, s2, v35
	v_mov_b32_e32 v51, 0
	v_mov_b32_e32 v55, 0
	s_and_saveexec_b64 s[2:3], vcc
	s_cbranch_execz .LBB558_61
; %bb.56:
	v_lshrrev_b32_e32 v34, 24, v35
	s_movk_i32 s10, 0x80
	v_cmp_ne_u32_e32 vcc, s10, v34
	v_bfrev_b32_e32 v55, 1
	s_and_saveexec_b64 s[10:11], vcc
	s_cbranch_execz .LBB558_60
; %bb.57:
	v_bfe_u32 v35, v35, 24, 7
	s_movk_i32 s12, 0x7f
	v_cmp_ne_u32_e32 vcc, s12, v35
	v_mov_b32_e32 v55, 0x7f800001
	s_and_saveexec_b64 s[12:13], vcc
	s_cbranch_execz .LBB558_59
; %bb.58:
	v_and_b32_e32 v55, 7, v34
	v_ffbh_u32_e32 v56, v55
	v_min_u32_e32 v59, 32, v56
	v_subrev_u32_e32 v56, 28, v59
	v_lshlrev_b64 v[56:57], v56, v[34:35]
	v_lshrrev_b32_e32 v58, 3, v35
	v_sub_u32_e32 v57, 29, v59
	v_and_b32_e32 v56, 7, v56
	v_cmp_gt_u32_e32 vcc, 8, v35
	v_cndmask_b32_e32 v35, v58, v57, vcc
	v_cndmask_b32_e32 v55, v55, v56, vcc
	v_lshlrev_b32_e32 v34, 24, v34
	v_bfrev_b32_e32 v56, 60
	v_lshlrev_b32_e32 v55, 20, v55
	v_and_b32_e32 v34, 0x80000000, v34
	v_lshl_add_u32 v35, v35, 23, v56
	v_or3_b32 v55, v34, v35, v55
.LBB558_59:
	s_or_b64 exec, exec, s[12:13]
.LBB558_60:
	s_or_b64 exec, exec, s[10:11]
.LBB558_61:
	s_or_b64 exec, exec, s[2:3]
	v_cvt_pkrtz_f16_f32 v34, v43, v45
	v_cvt_pkrtz_f16_f32 v35, v44, v53
	v_cmp_ne_u16_sdwa s[10:11], v36, v51 src0_sel:BYTE_0 src1_sel:DWORD
	s_nop 0
	v_mfma_f32_16x16x16f16 v[56:59], v[34:35], v[26:27], 0
	v_cvt_pkrtz_f16_f32 v34, v52, v54
	v_cvt_pkrtz_f16_f32 v35, v42, v55
	s_nop 1
	v_mfma_f32_16x16x16f16 v[42:45], v[34:35], v[28:29], v[56:59]
	s_and_saveexec_b64 s[2:3], s[10:11]
	s_cbranch_execz .LBB558_67
; %bb.62:
	s_movk_i32 s10, 0x80
	v_cmp_ne_u16_sdwa s[12:13], v36, s10 src0_sel:BYTE_0 src1_sel:DWORD
	v_bfrev_b32_e32 v51, 1
	s_and_saveexec_b64 s[10:11], s[12:13]
	s_cbranch_execz .LBB558_66
; %bb.63:
	s_movk_i32 s12, 0x7f
	v_and_b32_e32 v34, 0x7f, v36
	v_cmp_ne_u32_e32 vcc, s12, v34
	v_mov_b32_e32 v51, 0x7f800001
	s_and_saveexec_b64 s[12:13], vcc
	s_cbranch_execz .LBB558_65
; %bb.64:
	v_and_b32_e32 v35, 7, v36
	v_ffbh_u32_e32 v52, v35
	v_min_u32_e32 v54, 32, v52
	v_subrev_u32_e32 v52, 28, v54
	v_lshlrev_b64 v[52:53], v52, v[36:37]
	v_lshrrev_b32_e32 v51, 3, v34
	v_sub_u32_e32 v53, 29, v54
	v_and_b32_e32 v52, 7, v52
	v_cmp_gt_u32_e32 vcc, 8, v34
	v_cndmask_b32_e32 v34, v51, v53, vcc
	v_cndmask_b32_e32 v35, v35, v52, vcc
	v_lshlrev_b32_e32 v51, 24, v36
	v_bfrev_b32_e32 v52, 60
	v_lshlrev_b32_e32 v35, 20, v35
	v_and_b32_e32 v51, 0x80000000, v51
	v_lshl_add_u32 v34, v34, 23, v52
	v_or3_b32 v51, v51, v34, v35
.LBB558_65:
	s_or_b64 exec, exec, s[12:13]
.LBB558_66:
	s_or_b64 exec, exec, s[10:11]
.LBB558_67:
	s_or_b64 exec, exec, s[2:3]
	v_lshrrev_b16_e32 v34, 8, v36
	v_cmp_ne_u16_e32 vcc, 0, v34
	v_mov_b32_e32 v35, 0
	v_mov_b32_e32 v53, 0
	s_and_saveexec_b64 s[2:3], vcc
	s_cbranch_execz .LBB558_73
; %bb.68:
	s_movk_i32 s10, 0x80
	v_cmp_ne_u16_e32 vcc, s10, v34
	v_bfrev_b32_e32 v53, 1
	s_and_saveexec_b64 s[10:11], vcc
	s_cbranch_execz .LBB558_72
; %bb.69:
	s_movk_i32 s12, 0x7f
	v_and_b32_e32 v52, 0x7f, v34
	v_cmp_ne_u32_e32 vcc, s12, v52
	v_mov_b32_e32 v53, 0x7f800001
	s_and_saveexec_b64 s[12:13], vcc
	s_cbranch_execz .LBB558_71
; %bb.70:
	v_and_b32_e32 v53, 7, v34
	v_ffbh_u32_e32 v54, v53
	v_min_u32_e32 v57, 32, v54
	v_subrev_u32_e32 v54, 28, v57
	v_lshlrev_b64 v[54:55], v54, v[34:35]
	v_lshrrev_b32_e32 v56, 3, v52
	v_sub_u32_e32 v34, 29, v57
	v_and_b32_e32 v54, 7, v54
	v_cmp_gt_u32_e32 vcc, 8, v52
	v_cndmask_b32_e32 v34, v56, v34, vcc
	v_cndmask_b32_e32 v52, v53, v54, vcc
	v_lshlrev_b32_e32 v53, 16, v36
	v_bfrev_b32_e32 v54, 60
	v_lshlrev_b32_e32 v52, 20, v52
	v_and_b32_e32 v53, 0x80000000, v53
	v_lshl_add_u32 v34, v34, 23, v54
	v_or3_b32 v53, v53, v34, v52
.LBB558_71:
	s_or_b64 exec, exec, s[12:13]
.LBB558_72:
	s_or_b64 exec, exec, s[10:11]
.LBB558_73:
	s_or_b64 exec, exec, s[2:3]
	s_movk_i32 s2, 0xff
	v_and_b32_sdwa v52, v36, s2 dst_sel:DWORD dst_unused:UNUSED_PAD src0_sel:WORD_1 src1_sel:DWORD
	v_lshrrev_b32_e32 v34, 16, v36
	v_cmp_ne_u16_e32 vcc, 0, v52
	s_and_saveexec_b64 s[2:3], vcc
	s_cbranch_execz .LBB558_79
; %bb.74:
	s_movk_i32 s10, 0x80
	v_cmp_ne_u16_e32 vcc, s10, v52
	v_bfrev_b32_e32 v35, 1
	s_and_saveexec_b64 s[10:11], vcc
	s_cbranch_execz .LBB558_78
; %bb.75:
	v_bfe_u32 v52, v36, 16, 7
	s_movk_i32 s12, 0x7f
	v_cmp_ne_u32_e32 vcc, s12, v52
	v_mov_b32_e32 v35, 0x7f800001
	s_and_saveexec_b64 s[12:13], vcc
	s_cbranch_execz .LBB558_77
; %bb.76:
	v_and_b32_e32 v54, 7, v34
	v_ffbh_u32_e32 v35, v54
	v_min_u32_e32 v56, 32, v35
	v_subrev_u32_e32 v35, 28, v56
	v_lshlrev_b64 v[34:35], v35, v[34:35]
	v_lshrrev_b32_e32 v55, 3, v52
	v_sub_u32_e32 v35, 29, v56
	v_and_b32_e32 v34, 7, v34
	v_cmp_gt_u32_e32 vcc, 8, v52
	v_mov_b32_e32 v52, 24
	v_cndmask_b32_e32 v35, v55, v35, vcc
	v_cndmask_b32_e32 v34, v54, v34, vcc
	v_lshlrev_b32_sdwa v52, v52, v36 dst_sel:DWORD dst_unused:UNUSED_PAD src0_sel:DWORD src1_sel:WORD_1
	v_bfrev_b32_e32 v54, 60
	v_lshlrev_b32_e32 v34, 20, v34
	v_and_b32_e32 v52, 0x80000000, v52
	v_lshl_add_u32 v35, v35, 23, v54
	v_or3_b32 v35, v52, v35, v34
.LBB558_77:
	s_or_b64 exec, exec, s[12:13]
.LBB558_78:
	s_or_b64 exec, exec, s[10:11]
.LBB558_79:
	s_or_b64 exec, exec, s[2:3]
	s_mov_b32 s2, 0xffffff
	v_cmp_lt_u32_e32 vcc, s2, v36
	v_mov_b32_e32 v54, 0
	v_mov_b32_e32 v55, 0
	s_and_saveexec_b64 s[2:3], vcc
	s_cbranch_execz .LBB558_85
; %bb.80:
	v_lshrrev_b32_e32 v34, 24, v36
	s_movk_i32 s10, 0x80
	v_cmp_ne_u32_e32 vcc, s10, v34
	v_bfrev_b32_e32 v55, 1
	s_and_saveexec_b64 s[10:11], vcc
	s_cbranch_execz .LBB558_84
; %bb.81:
	v_bfe_u32 v36, v36, 24, 7
	s_movk_i32 s12, 0x7f
	v_cmp_ne_u32_e32 vcc, s12, v36
	v_mov_b32_e32 v55, 0x7f800001
	s_and_saveexec_b64 s[12:13], vcc
	s_cbranch_execz .LBB558_83
; %bb.82:
	v_and_b32_e32 v52, 7, v34
	v_ffbh_u32_e32 v56, v52
	v_min_u32_e32 v58, 32, v56
	v_subrev_u32_e32 v56, 28, v58
	v_lshlrev_b64 v[56:57], v56, v[34:35]
	v_lshrrev_b32_e32 v55, 3, v36
	v_sub_u32_e32 v57, 29, v58
	v_and_b32_e32 v56, 7, v56
	v_cmp_gt_u32_e32 vcc, 8, v36
	v_cndmask_b32_e32 v36, v55, v57, vcc
	v_cndmask_b32_e32 v52, v52, v56, vcc
	v_lshlrev_b32_e32 v34, 24, v34
	v_bfrev_b32_e32 v55, 60
	v_lshlrev_b32_e32 v52, 20, v52
	v_and_b32_e32 v34, 0x80000000, v34
	v_lshl_add_u32 v36, v36, 23, v55
	v_or3_b32 v55, v34, v36, v52
.LBB558_83:
	s_or_b64 exec, exec, s[12:13]
.LBB558_84:
	s_or_b64 exec, exec, s[10:11]
.LBB558_85:
	s_or_b64 exec, exec, s[2:3]
	v_cmp_ne_u16_sdwa s[10:11], v37, v54 src0_sel:BYTE_0 src1_sel:DWORD
	s_and_saveexec_b64 s[2:3], s[10:11]
	s_cbranch_execz .LBB558_91
; %bb.86:
	s_movk_i32 s10, 0x80
	v_cmp_ne_u16_sdwa s[12:13], v37, s10 src0_sel:BYTE_0 src1_sel:DWORD
	v_bfrev_b32_e32 v54, 1
	s_and_saveexec_b64 s[10:11], s[12:13]
	s_cbranch_execz .LBB558_90
; %bb.87:
	s_movk_i32 s12, 0x7f
	v_and_b32_e32 v34, 0x7f, v37
	v_cmp_ne_u32_e32 vcc, s12, v34
	v_mov_b32_e32 v54, 0x7f800001
	s_and_saveexec_b64 s[12:13], vcc
	s_cbranch_execz .LBB558_89
; %bb.88:
	v_and_b32_e32 v52, 7, v37
	v_ffbh_u32_e32 v56, v52
	v_min_u32_e32 v58, 32, v56
	v_mov_b32_e32 v36, v37
	v_subrev_u32_e32 v56, 28, v58
	v_lshlrev_b64 v[56:57], v56, v[36:37]
	v_lshrrev_b32_e32 v54, 3, v34
	v_sub_u32_e32 v36, 29, v58
	v_and_b32_e32 v56, 7, v56
	v_cmp_gt_u32_e32 vcc, 8, v34
	v_cndmask_b32_e32 v34, v54, v36, vcc
	v_cndmask_b32_e32 v36, v52, v56, vcc
	v_lshlrev_b32_e32 v52, 24, v37
	v_bfrev_b32_e32 v54, 60
	v_lshlrev_b32_e32 v36, 20, v36
	v_and_b32_e32 v52, 0x80000000, v52
	v_lshl_add_u32 v34, v34, 23, v54
	v_or3_b32 v54, v52, v34, v36
.LBB558_89:
	s_or_b64 exec, exec, s[12:13]
.LBB558_90:
	s_or_b64 exec, exec, s[10:11]
.LBB558_91:
	s_or_b64 exec, exec, s[2:3]
	v_lshrrev_b16_e32 v34, 8, v37
	v_cmp_ne_u16_e32 vcc, 0, v34
	v_mov_b32_e32 v36, 0
	v_mov_b32_e32 v56, 0
	s_and_saveexec_b64 s[2:3], vcc
	s_cbranch_execz .LBB558_97
; %bb.92:
	s_movk_i32 s10, 0x80
	v_cmp_ne_u16_e32 vcc, s10, v34
	v_bfrev_b32_e32 v56, 1
	s_and_saveexec_b64 s[10:11], vcc
	s_cbranch_execz .LBB558_96
; %bb.93:
	s_movk_i32 s12, 0x7f
	v_and_b32_e32 v52, 0x7f, v34
	v_cmp_ne_u32_e32 vcc, s12, v52
	v_mov_b32_e32 v56, 0x7f800001
	s_and_saveexec_b64 s[12:13], vcc
	s_cbranch_execz .LBB558_95
; %bb.94:
	v_and_b32_e32 v58, 7, v34
	v_ffbh_u32_e32 v56, v58
	v_min_u32_e32 v60, 32, v56
	v_subrev_u32_e32 v56, 28, v60
	v_lshlrev_b64 v[56:57], v56, v[34:35]
	v_lshrrev_b32_e32 v59, 3, v52
	v_sub_u32_e32 v34, 29, v60
	v_and_b32_e32 v56, 7, v56
	v_cmp_gt_u32_e32 vcc, 8, v52
	v_cndmask_b32_e32 v34, v59, v34, vcc
	v_cndmask_b32_e32 v52, v58, v56, vcc
	v_lshlrev_b32_e32 v56, 16, v37
	v_bfrev_b32_e32 v57, 60
	v_lshlrev_b32_e32 v52, 20, v52
	v_and_b32_e32 v56, 0x80000000, v56
	v_lshl_add_u32 v34, v34, 23, v57
	v_or3_b32 v56, v56, v34, v52
.LBB558_95:
	s_or_b64 exec, exec, s[12:13]
.LBB558_96:
	s_or_b64 exec, exec, s[10:11]
.LBB558_97:
	s_or_b64 exec, exec, s[2:3]
	s_movk_i32 s2, 0xff
	v_and_b32_sdwa v52, v37, s2 dst_sel:DWORD dst_unused:UNUSED_PAD src0_sel:WORD_1 src1_sel:DWORD
	v_lshrrev_b32_e32 v34, 16, v37
	v_cmp_ne_u16_e32 vcc, 0, v52
	s_and_saveexec_b64 s[2:3], vcc
	s_cbranch_execz .LBB558_103
; %bb.98:
	s_movk_i32 s10, 0x80
	v_cmp_ne_u16_e32 vcc, s10, v52
	v_bfrev_b32_e32 v36, 1
	s_and_saveexec_b64 s[10:11], vcc
	s_cbranch_execz .LBB558_102
; %bb.99:
	v_bfe_u32 v52, v37, 16, 7
	s_movk_i32 s12, 0x7f
	v_cmp_ne_u32_e32 vcc, s12, v52
	v_mov_b32_e32 v36, 0x7f800001
	s_and_saveexec_b64 s[12:13], vcc
	s_cbranch_execz .LBB558_101
; %bb.100:
	v_and_b32_e32 v36, 7, v34
	v_ffbh_u32_e32 v58, v36
	v_min_u32_e32 v60, 32, v58
	v_subrev_u32_e32 v58, 28, v60
	v_lshlrev_b64 v[58:59], v58, v[34:35]
	v_lshrrev_b32_e32 v57, 3, v52
	v_sub_u32_e32 v34, 29, v60
	v_and_b32_e32 v58, 7, v58
	v_cmp_gt_u32_e32 vcc, 8, v52
	v_mov_b32_e32 v52, 24
	v_cndmask_b32_e32 v34, v57, v34, vcc
	v_cndmask_b32_e32 v36, v36, v58, vcc
	v_lshlrev_b32_sdwa v52, v52, v37 dst_sel:DWORD dst_unused:UNUSED_PAD src0_sel:DWORD src1_sel:WORD_1
	v_bfrev_b32_e32 v57, 60
	v_lshlrev_b32_e32 v36, 20, v36
	v_and_b32_e32 v52, 0x80000000, v52
	v_lshl_add_u32 v34, v34, 23, v57
	v_or3_b32 v36, v52, v34, v36
.LBB558_101:
	s_or_b64 exec, exec, s[12:13]
.LBB558_102:
	s_or_b64 exec, exec, s[10:11]
.LBB558_103:
	s_or_b64 exec, exec, s[2:3]
	s_mov_b32 s2, 0xffffff
	v_cmp_lt_u32_e32 vcc, s2, v37
	v_mov_b32_e32 v52, 0
	v_mov_b32_e32 v57, 0
	s_and_saveexec_b64 s[2:3], vcc
	s_cbranch_execz .LBB558_109
; %bb.104:
	v_lshrrev_b32_e32 v34, 24, v37
	s_movk_i32 s10, 0x80
	v_cmp_ne_u32_e32 vcc, s10, v34
	v_bfrev_b32_e32 v57, 1
	s_and_saveexec_b64 s[10:11], vcc
	s_cbranch_execz .LBB558_108
; %bb.105:
	v_bfe_u32 v37, v37, 24, 7
	s_movk_i32 s12, 0x7f
	v_cmp_ne_u32_e32 vcc, s12, v37
	v_mov_b32_e32 v57, 0x7f800001
	s_and_saveexec_b64 s[12:13], vcc
	s_cbranch_execz .LBB558_107
; %bb.106:
	v_and_b32_e32 v57, 7, v34
	v_ffbh_u32_e32 v58, v57
	v_min_u32_e32 v61, 32, v58
	v_subrev_u32_e32 v58, 28, v61
	v_lshlrev_b64 v[58:59], v58, v[34:35]
	v_lshrrev_b32_e32 v60, 3, v37
	v_sub_u32_e32 v59, 29, v61
	v_and_b32_e32 v58, 7, v58
	v_cmp_gt_u32_e32 vcc, 8, v37
	v_cndmask_b32_e32 v37, v60, v59, vcc
	v_cndmask_b32_e32 v57, v57, v58, vcc
	v_lshlrev_b32_e32 v34, 24, v34
	v_bfrev_b32_e32 v58, 60
	v_lshlrev_b32_e32 v57, 20, v57
	v_and_b32_e32 v34, 0x80000000, v34
	v_lshl_add_u32 v37, v37, 23, v58
	v_or3_b32 v57, v34, v37, v57
.LBB558_107:
	s_or_b64 exec, exec, s[12:13]
.LBB558_108:
	s_or_b64 exec, exec, s[10:11]
.LBB558_109:
	s_or_b64 exec, exec, s[2:3]
	v_cvt_pkrtz_f16_f32 v34, v51, v53
	v_cvt_pkrtz_f16_f32 v35, v35, v55
	v_cmp_ne_u16_sdwa s[10:11], v38, v52 src0_sel:BYTE_0 src1_sel:DWORD
	s_nop 0
	v_mfma_f32_16x16x16f16 v[42:45], v[34:35], v[18:19], v[42:45]
	v_cvt_pkrtz_f16_f32 v34, v54, v56
	v_cvt_pkrtz_f16_f32 v35, v36, v57
	s_nop 1
	v_mfma_f32_16x16x16f16 v[34:37], v[34:35], v[20:21], v[42:45]
	s_and_saveexec_b64 s[2:3], s[10:11]
	s_cbranch_execz .LBB558_115
; %bb.110:
	s_movk_i32 s10, 0x80
	v_cmp_ne_u16_sdwa s[12:13], v38, s10 src0_sel:BYTE_0 src1_sel:DWORD
	v_bfrev_b32_e32 v52, 1
	s_and_saveexec_b64 s[10:11], s[12:13]
	s_cbranch_execz .LBB558_114
; %bb.111:
	s_movk_i32 s12, 0x7f
	v_and_b32_e32 v42, 0x7f, v38
	v_cmp_ne_u32_e32 vcc, s12, v42
	v_mov_b32_e32 v52, 0x7f800001
	s_and_saveexec_b64 s[12:13], vcc
	s_cbranch_execz .LBB558_113
; %bb.112:
	v_and_b32_e32 v43, 7, v38
	v_ffbh_u32_e32 v44, v43
	v_min_u32_e32 v52, 32, v44
	v_subrev_u32_e32 v44, 28, v52
	v_lshlrev_b64 v[44:45], v44, v[38:39]
	v_lshrrev_b32_e32 v51, 3, v42
	v_sub_u32_e32 v45, 29, v52
	v_and_b32_e32 v44, 7, v44
	v_cmp_gt_u32_e32 vcc, 8, v42
	v_cndmask_b32_e32 v42, v51, v45, vcc
	v_cndmask_b32_e32 v43, v43, v44, vcc
	v_lshlrev_b32_e32 v44, 24, v38
	v_bfrev_b32_e32 v45, 60
	v_lshlrev_b32_e32 v43, 20, v43
	v_and_b32_e32 v44, 0x80000000, v44
	v_lshl_add_u32 v42, v42, 23, v45
	v_or3_b32 v52, v44, v42, v43
.LBB558_113:
	s_or_b64 exec, exec, s[12:13]
.LBB558_114:
	s_or_b64 exec, exec, s[10:11]
.LBB558_115:
	s_or_b64 exec, exec, s[2:3]
	s_nop 3
	v_lshrrev_b16_e32 v42, 8, v38
	v_cmp_ne_u16_e32 vcc, 0, v42
	v_mov_b32_e32 v43, 0
	v_mov_b32_e32 v44, 0
	s_and_saveexec_b64 s[2:3], vcc
	s_cbranch_execz .LBB558_121
; %bb.116:
	s_movk_i32 s10, 0x80
	v_cmp_ne_u16_e32 vcc, s10, v42
	v_bfrev_b32_e32 v44, 1
	s_and_saveexec_b64 s[10:11], vcc
	s_cbranch_execz .LBB558_120
; %bb.117:
	s_movk_i32 s12, 0x7f
	v_and_b32_e32 v45, 0x7f, v42
	v_cmp_ne_u32_e32 vcc, s12, v45
	v_mov_b32_e32 v44, 0x7f800001
	s_and_saveexec_b64 s[12:13], vcc
	s_cbranch_execz .LBB558_119
; %bb.118:
	v_and_b32_e32 v44, 7, v42
	v_ffbh_u32_e32 v53, v44
	v_min_u32_e32 v53, 32, v53
	v_subrev_u32_e32 v54, 28, v53
	v_lshlrev_b64 v[54:55], v54, v[42:43]
	v_lshrrev_b32_e32 v51, 3, v45
	v_sub_u32_e32 v42, 29, v53
	v_and_b32_e32 v53, 7, v54
	v_cmp_gt_u32_e32 vcc, 8, v45
	v_cndmask_b32_e32 v42, v51, v42, vcc
	v_cndmask_b32_e32 v44, v44, v53, vcc
	v_lshlrev_b32_e32 v45, 16, v38
	v_bfrev_b32_e32 v51, 60
	v_lshlrev_b32_e32 v44, 20, v44
	v_and_b32_e32 v45, 0x80000000, v45
	v_lshl_add_u32 v42, v42, 23, v51
	v_or3_b32 v44, v45, v42, v44
.LBB558_119:
	s_or_b64 exec, exec, s[12:13]
.LBB558_120:
	s_or_b64 exec, exec, s[10:11]
.LBB558_121:
	s_or_b64 exec, exec, s[2:3]
	s_movk_i32 s2, 0xff
	v_and_b32_sdwa v45, v38, s2 dst_sel:DWORD dst_unused:UNUSED_PAD src0_sel:WORD_1 src1_sel:DWORD
	v_lshrrev_b32_e32 v42, 16, v38
	v_cmp_ne_u16_e32 vcc, 0, v45
	s_and_saveexec_b64 s[2:3], vcc
	s_cbranch_execz .LBB558_127
; %bb.122:
	s_movk_i32 s10, 0x80
	v_cmp_ne_u16_e32 vcc, s10, v45
	v_bfrev_b32_e32 v43, 1
	s_and_saveexec_b64 s[10:11], vcc
	s_cbranch_execz .LBB558_126
; %bb.123:
	v_bfe_u32 v45, v38, 16, 7
	s_movk_i32 s12, 0x7f
	v_cmp_ne_u32_e32 vcc, s12, v45
	v_mov_b32_e32 v43, 0x7f800001
	s_and_saveexec_b64 s[12:13], vcc
	s_cbranch_execz .LBB558_125
; %bb.124:
	v_and_b32_e32 v51, 7, v42
	v_ffbh_u32_e32 v43, v51
	v_min_u32_e32 v54, 32, v43
	v_subrev_u32_e32 v43, 28, v54
	v_lshlrev_b64 v[42:43], v43, v[42:43]
	v_lshrrev_b32_e32 v53, 3, v45
	v_sub_u32_e32 v43, 29, v54
	v_and_b32_e32 v42, 7, v42
	v_cmp_gt_u32_e32 vcc, 8, v45
	v_mov_b32_e32 v45, 24
	v_cndmask_b32_e32 v43, v53, v43, vcc
	v_cndmask_b32_e32 v42, v51, v42, vcc
	v_lshlrev_b32_sdwa v45, v45, v38 dst_sel:DWORD dst_unused:UNUSED_PAD src0_sel:DWORD src1_sel:WORD_1
	v_bfrev_b32_e32 v51, 60
	v_lshlrev_b32_e32 v42, 20, v42
	v_and_b32_e32 v45, 0x80000000, v45
	v_lshl_add_u32 v43, v43, 23, v51
	v_or3_b32 v43, v45, v43, v42
.LBB558_125:
	s_or_b64 exec, exec, s[12:13]
.LBB558_126:
	s_or_b64 exec, exec, s[10:11]
.LBB558_127:
	s_or_b64 exec, exec, s[2:3]
	s_mov_b32 s2, 0xffffff
	v_cmp_lt_u32_e32 vcc, s2, v38
	v_mov_b32_e32 v45, 0
	v_mov_b32_e32 v53, 0
	s_and_saveexec_b64 s[2:3], vcc
	s_cbranch_execz .LBB558_133
; %bb.128:
	v_lshrrev_b32_e32 v42, 24, v38
	s_movk_i32 s10, 0x80
	v_cmp_ne_u32_e32 vcc, s10, v42
	v_bfrev_b32_e32 v53, 1
	s_and_saveexec_b64 s[10:11], vcc
	s_cbranch_execz .LBB558_132
; %bb.129:
	v_bfe_u32 v38, v38, 24, 7
	s_movk_i32 s12, 0x7f
	v_cmp_ne_u32_e32 vcc, s12, v38
	v_mov_b32_e32 v53, 0x7f800001
	s_and_saveexec_b64 s[12:13], vcc
	s_cbranch_execz .LBB558_131
; %bb.130:
	v_and_b32_e32 v51, 7, v42
	v_ffbh_u32_e32 v54, v51
	v_min_u32_e32 v56, 32, v54
	v_subrev_u32_e32 v54, 28, v56
	v_lshlrev_b64 v[54:55], v54, v[42:43]
	v_lshrrev_b32_e32 v53, 3, v38
	v_sub_u32_e32 v55, 29, v56
	v_and_b32_e32 v54, 7, v54
	v_cmp_gt_u32_e32 vcc, 8, v38
	v_cndmask_b32_e32 v38, v53, v55, vcc
	v_cndmask_b32_e32 v51, v51, v54, vcc
	v_lshlrev_b32_e32 v42, 24, v42
	v_bfrev_b32_e32 v53, 60
	v_lshlrev_b32_e32 v51, 20, v51
	v_and_b32_e32 v42, 0x80000000, v42
	v_lshl_add_u32 v38, v38, 23, v53
	v_or3_b32 v53, v42, v38, v51
.LBB558_131:
	s_or_b64 exec, exec, s[12:13]
.LBB558_132:
	s_or_b64 exec, exec, s[10:11]
.LBB558_133:
	s_or_b64 exec, exec, s[2:3]
	v_cmp_ne_u16_sdwa s[10:11], v39, v45 src0_sel:BYTE_0 src1_sel:DWORD
	s_and_saveexec_b64 s[2:3], s[10:11]
	s_cbranch_execz .LBB558_139
; %bb.134:
	s_movk_i32 s10, 0x80
	v_cmp_ne_u16_sdwa s[12:13], v39, s10 src0_sel:BYTE_0 src1_sel:DWORD
	v_bfrev_b32_e32 v45, 1
	s_and_saveexec_b64 s[10:11], s[12:13]
	s_cbranch_execz .LBB558_138
; %bb.135:
	s_movk_i32 s12, 0x7f
	v_and_b32_e32 v38, 0x7f, v39
	v_cmp_ne_u32_e32 vcc, s12, v38
	v_mov_b32_e32 v45, 0x7f800001
	s_and_saveexec_b64 s[12:13], vcc
	s_cbranch_execz .LBB558_137
; %bb.136:
	v_and_b32_e32 v45, 7, v39
	v_ffbh_u32_e32 v54, v45
	v_min_u32_e32 v56, 32, v54
	v_mov_b32_e32 v42, v39
	v_subrev_u32_e32 v54, 28, v56
	v_lshlrev_b64 v[54:55], v54, v[42:43]
	v_lshrrev_b32_e32 v51, 3, v38
	v_sub_u32_e32 v42, 29, v56
	v_and_b32_e32 v54, 7, v54
	v_cmp_gt_u32_e32 vcc, 8, v38
	v_cndmask_b32_e32 v38, v51, v42, vcc
	v_cndmask_b32_e32 v42, v45, v54, vcc
	v_lshlrev_b32_e32 v45, 24, v39
	v_bfrev_b32_e32 v51, 60
	v_lshlrev_b32_e32 v42, 20, v42
	v_and_b32_e32 v45, 0x80000000, v45
	v_lshl_add_u32 v38, v38, 23, v51
	v_or3_b32 v45, v45, v38, v42
.LBB558_137:
	s_or_b64 exec, exec, s[12:13]
.LBB558_138:
	s_or_b64 exec, exec, s[10:11]
.LBB558_139:
	s_or_b64 exec, exec, s[2:3]
	v_lshrrev_b16_e32 v38, 8, v39
	v_cmp_ne_u16_e32 vcc, 0, v38
	v_mov_b32_e32 v42, 0
	v_mov_b32_e32 v54, 0
	s_and_saveexec_b64 s[2:3], vcc
	s_cbranch_execz .LBB558_145
; %bb.140:
	s_movk_i32 s10, 0x80
	v_cmp_ne_u16_e32 vcc, s10, v38
	v_bfrev_b32_e32 v54, 1
	s_and_saveexec_b64 s[10:11], vcc
	s_cbranch_execz .LBB558_144
; %bb.141:
	s_movk_i32 s12, 0x7f
	v_and_b32_e32 v51, 0x7f, v38
	v_cmp_ne_u32_e32 vcc, s12, v51
	v_mov_b32_e32 v54, 0x7f800001
	s_and_saveexec_b64 s[12:13], vcc
	s_cbranch_execz .LBB558_143
; %bb.142:
	v_and_b32_e32 v56, 7, v38
	v_ffbh_u32_e32 v54, v56
	v_min_u32_e32 v58, 32, v54
	v_subrev_u32_e32 v54, 28, v58
	v_lshlrev_b64 v[54:55], v54, v[38:39]
	v_lshrrev_b32_e32 v57, 3, v51
	v_sub_u32_e32 v38, 29, v58
	v_and_b32_e32 v54, 7, v54
	v_cmp_gt_u32_e32 vcc, 8, v51
	v_cndmask_b32_e32 v38, v57, v38, vcc
	v_cndmask_b32_e32 v51, v56, v54, vcc
	v_lshlrev_b32_e32 v54, 16, v39
	v_bfrev_b32_e32 v55, 60
	v_lshlrev_b32_e32 v51, 20, v51
	v_and_b32_e32 v54, 0x80000000, v54
	v_lshl_add_u32 v38, v38, 23, v55
	v_or3_b32 v54, v54, v38, v51
.LBB558_143:
	s_or_b64 exec, exec, s[12:13]
.LBB558_144:
	s_or_b64 exec, exec, s[10:11]
.LBB558_145:
	s_or_b64 exec, exec, s[2:3]
	s_movk_i32 s2, 0xff
	v_and_b32_sdwa v51, v39, s2 dst_sel:DWORD dst_unused:UNUSED_PAD src0_sel:WORD_1 src1_sel:DWORD
	v_lshrrev_b32_e32 v38, 16, v39
	v_cmp_ne_u16_e32 vcc, 0, v51
	s_and_saveexec_b64 s[2:3], vcc
	s_cbranch_execz .LBB558_151
; %bb.146:
	s_movk_i32 s10, 0x80
	v_cmp_ne_u16_e32 vcc, s10, v51
	v_bfrev_b32_e32 v42, 1
	s_and_saveexec_b64 s[10:11], vcc
	s_cbranch_execz .LBB558_150
; %bb.147:
	v_bfe_u32 v51, v39, 16, 7
	s_movk_i32 s12, 0x7f
	v_cmp_ne_u32_e32 vcc, s12, v51
	v_mov_b32_e32 v42, 0x7f800001
	s_and_saveexec_b64 s[12:13], vcc
	s_cbranch_execz .LBB558_149
; %bb.148:
	v_and_b32_e32 v42, 7, v38
	v_ffbh_u32_e32 v56, v42
	v_min_u32_e32 v58, 32, v56
	v_subrev_u32_e32 v56, 28, v58
	v_lshlrev_b64 v[56:57], v56, v[38:39]
	v_lshrrev_b32_e32 v55, 3, v51
	v_sub_u32_e32 v38, 29, v58
	v_and_b32_e32 v56, 7, v56
	v_cmp_gt_u32_e32 vcc, 8, v51
	v_mov_b32_e32 v51, 24
	v_cndmask_b32_e32 v38, v55, v38, vcc
	v_cndmask_b32_e32 v42, v42, v56, vcc
	v_lshlrev_b32_sdwa v51, v51, v39 dst_sel:DWORD dst_unused:UNUSED_PAD src0_sel:DWORD src1_sel:WORD_1
	v_bfrev_b32_e32 v55, 60
	v_lshlrev_b32_e32 v42, 20, v42
	v_and_b32_e32 v51, 0x80000000, v51
	v_lshl_add_u32 v38, v38, 23, v55
	v_or3_b32 v42, v51, v38, v42
.LBB558_149:
	s_or_b64 exec, exec, s[12:13]
.LBB558_150:
	s_or_b64 exec, exec, s[10:11]
.LBB558_151:
	s_or_b64 exec, exec, s[2:3]
	s_mov_b32 s2, 0xffffff
	v_cmp_lt_u32_e32 vcc, s2, v39
	v_mov_b32_e32 v51, 0
	v_mov_b32_e32 v55, 0
	s_and_saveexec_b64 s[2:3], vcc
	s_cbranch_execz .LBB558_157
; %bb.152:
	v_lshrrev_b32_e32 v38, 24, v39
	s_movk_i32 s10, 0x80
	v_cmp_ne_u32_e32 vcc, s10, v38
	v_bfrev_b32_e32 v55, 1
	s_and_saveexec_b64 s[10:11], vcc
	s_cbranch_execz .LBB558_156
; %bb.153:
	v_bfe_u32 v39, v39, 24, 7
	s_movk_i32 s12, 0x7f
	v_cmp_ne_u32_e32 vcc, s12, v39
	v_mov_b32_e32 v55, 0x7f800001
	s_and_saveexec_b64 s[12:13], vcc
	s_cbranch_execz .LBB558_155
; %bb.154:
	v_and_b32_e32 v55, 7, v38
	v_ffbh_u32_e32 v56, v55
	v_min_u32_e32 v59, 32, v56
	v_subrev_u32_e32 v56, 28, v59
	v_lshlrev_b64 v[56:57], v56, v[38:39]
	v_lshrrev_b32_e32 v58, 3, v39
	v_sub_u32_e32 v57, 29, v59
	v_and_b32_e32 v56, 7, v56
	v_cmp_gt_u32_e32 vcc, 8, v39
	v_cndmask_b32_e32 v39, v58, v57, vcc
	v_cndmask_b32_e32 v55, v55, v56, vcc
	v_lshlrev_b32_e32 v38, 24, v38
	v_bfrev_b32_e32 v56, 60
	v_lshlrev_b32_e32 v55, 20, v55
	v_and_b32_e32 v38, 0x80000000, v38
	v_lshl_add_u32 v39, v39, 23, v56
	v_or3_b32 v55, v38, v39, v55
.LBB558_155:
	s_or_b64 exec, exec, s[12:13]
.LBB558_156:
	s_or_b64 exec, exec, s[10:11]
.LBB558_157:
	s_or_b64 exec, exec, s[2:3]
	v_cvt_pkrtz_f16_f32 v38, v52, v44
	v_cvt_pkrtz_f16_f32 v39, v43, v53
	v_cmp_ne_u16_sdwa s[10:11], v40, v51 src0_sel:BYTE_0 src1_sel:DWORD
	s_nop 0
	v_mfma_f32_16x16x16f16 v[56:59], v[38:39], v[26:27], 0
	v_cvt_pkrtz_f16_f32 v38, v45, v54
	v_cvt_pkrtz_f16_f32 v39, v42, v55
	s_nop 1
	v_mfma_f32_16x16x16f16 v[42:45], v[38:39], v[28:29], v[56:59]
	s_and_saveexec_b64 s[2:3], s[10:11]
	s_cbranch_execz .LBB558_163
; %bb.158:
	s_movk_i32 s10, 0x80
	v_cmp_ne_u16_sdwa s[12:13], v40, s10 src0_sel:BYTE_0 src1_sel:DWORD
	v_bfrev_b32_e32 v51, 1
	s_and_saveexec_b64 s[10:11], s[12:13]
	s_cbranch_execz .LBB558_162
; %bb.159:
	s_movk_i32 s12, 0x7f
	v_and_b32_e32 v38, 0x7f, v40
	v_cmp_ne_u32_e32 vcc, s12, v38
	v_mov_b32_e32 v51, 0x7f800001
	s_and_saveexec_b64 s[12:13], vcc
	s_cbranch_execz .LBB558_161
; %bb.160:
	v_and_b32_e32 v39, 7, v40
	v_ffbh_u32_e32 v52, v39
	v_min_u32_e32 v54, 32, v52
	v_subrev_u32_e32 v52, 28, v54
	v_lshlrev_b64 v[52:53], v52, v[40:41]
	v_lshrrev_b32_e32 v51, 3, v38
	v_sub_u32_e32 v53, 29, v54
	v_and_b32_e32 v52, 7, v52
	v_cmp_gt_u32_e32 vcc, 8, v38
	v_cndmask_b32_e32 v38, v51, v53, vcc
	v_cndmask_b32_e32 v39, v39, v52, vcc
	v_lshlrev_b32_e32 v51, 24, v40
	v_bfrev_b32_e32 v52, 60
	v_lshlrev_b32_e32 v39, 20, v39
	v_and_b32_e32 v51, 0x80000000, v51
	v_lshl_add_u32 v38, v38, 23, v52
	v_or3_b32 v51, v51, v38, v39
.LBB558_161:
	s_or_b64 exec, exec, s[12:13]
.LBB558_162:
	s_or_b64 exec, exec, s[10:11]
.LBB558_163:
	s_or_b64 exec, exec, s[2:3]
	v_lshrrev_b16_e32 v38, 8, v40
	v_cmp_ne_u16_e32 vcc, 0, v38
	v_mov_b32_e32 v39, 0
	v_mov_b32_e32 v53, 0
	s_and_saveexec_b64 s[2:3], vcc
	s_cbranch_execz .LBB558_169
; %bb.164:
	s_movk_i32 s10, 0x80
	v_cmp_ne_u16_e32 vcc, s10, v38
	v_bfrev_b32_e32 v53, 1
	s_and_saveexec_b64 s[10:11], vcc
	s_cbranch_execz .LBB558_168
; %bb.165:
	s_movk_i32 s12, 0x7f
	v_and_b32_e32 v52, 0x7f, v38
	v_cmp_ne_u32_e32 vcc, s12, v52
	v_mov_b32_e32 v53, 0x7f800001
	s_and_saveexec_b64 s[12:13], vcc
	s_cbranch_execz .LBB558_167
; %bb.166:
	v_and_b32_e32 v53, 7, v38
	v_ffbh_u32_e32 v54, v53
	v_min_u32_e32 v57, 32, v54
	v_subrev_u32_e32 v54, 28, v57
	v_lshlrev_b64 v[54:55], v54, v[38:39]
	v_lshrrev_b32_e32 v56, 3, v52
	v_sub_u32_e32 v38, 29, v57
	v_and_b32_e32 v54, 7, v54
	v_cmp_gt_u32_e32 vcc, 8, v52
	v_cndmask_b32_e32 v38, v56, v38, vcc
	v_cndmask_b32_e32 v52, v53, v54, vcc
	v_lshlrev_b32_e32 v53, 16, v40
	v_bfrev_b32_e32 v54, 60
	v_lshlrev_b32_e32 v52, 20, v52
	v_and_b32_e32 v53, 0x80000000, v53
	v_lshl_add_u32 v38, v38, 23, v54
	v_or3_b32 v53, v53, v38, v52
.LBB558_167:
	s_or_b64 exec, exec, s[12:13]
.LBB558_168:
	s_or_b64 exec, exec, s[10:11]
.LBB558_169:
	s_or_b64 exec, exec, s[2:3]
	s_movk_i32 s2, 0xff
	v_and_b32_sdwa v52, v40, s2 dst_sel:DWORD dst_unused:UNUSED_PAD src0_sel:WORD_1 src1_sel:DWORD
	v_lshrrev_b32_e32 v38, 16, v40
	v_cmp_ne_u16_e32 vcc, 0, v52
	s_and_saveexec_b64 s[2:3], vcc
	s_cbranch_execz .LBB558_175
; %bb.170:
	s_movk_i32 s10, 0x80
	v_cmp_ne_u16_e32 vcc, s10, v52
	v_bfrev_b32_e32 v39, 1
	s_and_saveexec_b64 s[10:11], vcc
	s_cbranch_execz .LBB558_174
; %bb.171:
	v_bfe_u32 v52, v40, 16, 7
	s_movk_i32 s12, 0x7f
	v_cmp_ne_u32_e32 vcc, s12, v52
	v_mov_b32_e32 v39, 0x7f800001
	s_and_saveexec_b64 s[12:13], vcc
	s_cbranch_execz .LBB558_173
; %bb.172:
	v_and_b32_e32 v54, 7, v38
	v_ffbh_u32_e32 v39, v54
	v_min_u32_e32 v56, 32, v39
	v_subrev_u32_e32 v39, 28, v56
	v_lshlrev_b64 v[38:39], v39, v[38:39]
	v_lshrrev_b32_e32 v55, 3, v52
	v_sub_u32_e32 v39, 29, v56
	v_and_b32_e32 v38, 7, v38
	v_cmp_gt_u32_e32 vcc, 8, v52
	v_mov_b32_e32 v52, 24
	v_cndmask_b32_e32 v39, v55, v39, vcc
	v_cndmask_b32_e32 v38, v54, v38, vcc
	v_lshlrev_b32_sdwa v52, v52, v40 dst_sel:DWORD dst_unused:UNUSED_PAD src0_sel:DWORD src1_sel:WORD_1
	v_bfrev_b32_e32 v54, 60
	v_lshlrev_b32_e32 v38, 20, v38
	v_and_b32_e32 v52, 0x80000000, v52
	v_lshl_add_u32 v39, v39, 23, v54
	v_or3_b32 v39, v52, v39, v38
.LBB558_173:
	s_or_b64 exec, exec, s[12:13]
.LBB558_174:
	s_or_b64 exec, exec, s[10:11]
.LBB558_175:
	s_or_b64 exec, exec, s[2:3]
	s_mov_b32 s2, 0xffffff
	v_cmp_lt_u32_e32 vcc, s2, v40
	v_mov_b32_e32 v54, 0
	v_mov_b32_e32 v55, 0
	s_and_saveexec_b64 s[2:3], vcc
	s_cbranch_execz .LBB558_181
; %bb.176:
	v_lshrrev_b32_e32 v38, 24, v40
	s_movk_i32 s10, 0x80
	v_cmp_ne_u32_e32 vcc, s10, v38
	v_bfrev_b32_e32 v55, 1
	s_and_saveexec_b64 s[10:11], vcc
	s_cbranch_execz .LBB558_180
; %bb.177:
	v_bfe_u32 v40, v40, 24, 7
	s_movk_i32 s12, 0x7f
	v_cmp_ne_u32_e32 vcc, s12, v40
	v_mov_b32_e32 v55, 0x7f800001
	s_and_saveexec_b64 s[12:13], vcc
	s_cbranch_execz .LBB558_179
; %bb.178:
	v_and_b32_e32 v52, 7, v38
	v_ffbh_u32_e32 v56, v52
	v_min_u32_e32 v58, 32, v56
	v_subrev_u32_e32 v56, 28, v58
	v_lshlrev_b64 v[56:57], v56, v[38:39]
	v_lshrrev_b32_e32 v55, 3, v40
	v_sub_u32_e32 v57, 29, v58
	v_and_b32_e32 v56, 7, v56
	v_cmp_gt_u32_e32 vcc, 8, v40
	v_cndmask_b32_e32 v40, v55, v57, vcc
	v_cndmask_b32_e32 v52, v52, v56, vcc
	v_lshlrev_b32_e32 v38, 24, v38
	v_bfrev_b32_e32 v55, 60
	v_lshlrev_b32_e32 v52, 20, v52
	v_and_b32_e32 v38, 0x80000000, v38
	v_lshl_add_u32 v40, v40, 23, v55
	v_or3_b32 v55, v38, v40, v52
.LBB558_179:
	s_or_b64 exec, exec, s[12:13]
.LBB558_180:
	s_or_b64 exec, exec, s[10:11]
.LBB558_181:
	s_or_b64 exec, exec, s[2:3]
	v_cmp_ne_u16_sdwa s[10:11], v41, v54 src0_sel:BYTE_0 src1_sel:DWORD
	s_and_saveexec_b64 s[2:3], s[10:11]
	s_cbranch_execz .LBB558_187
; %bb.182:
	s_movk_i32 s10, 0x80
	v_cmp_ne_u16_sdwa s[12:13], v41, s10 src0_sel:BYTE_0 src1_sel:DWORD
	v_bfrev_b32_e32 v54, 1
	s_and_saveexec_b64 s[10:11], s[12:13]
	s_cbranch_execz .LBB558_186
; %bb.183:
	s_movk_i32 s12, 0x7f
	v_and_b32_e32 v38, 0x7f, v41
	v_cmp_ne_u32_e32 vcc, s12, v38
	v_mov_b32_e32 v54, 0x7f800001
	s_and_saveexec_b64 s[12:13], vcc
	s_cbranch_execz .LBB558_185
; %bb.184:
	v_and_b32_e32 v52, 7, v41
	v_ffbh_u32_e32 v56, v52
	v_min_u32_e32 v58, 32, v56
	v_mov_b32_e32 v40, v41
	v_subrev_u32_e32 v56, 28, v58
	v_lshlrev_b64 v[56:57], v56, v[40:41]
	v_lshrrev_b32_e32 v54, 3, v38
	v_sub_u32_e32 v40, 29, v58
	v_and_b32_e32 v56, 7, v56
	v_cmp_gt_u32_e32 vcc, 8, v38
	v_cndmask_b32_e32 v38, v54, v40, vcc
	v_cndmask_b32_e32 v40, v52, v56, vcc
	v_lshlrev_b32_e32 v52, 24, v41
	v_bfrev_b32_e32 v54, 60
	v_lshlrev_b32_e32 v40, 20, v40
	v_and_b32_e32 v52, 0x80000000, v52
	v_lshl_add_u32 v38, v38, 23, v54
	v_or3_b32 v54, v52, v38, v40
.LBB558_185:
	s_or_b64 exec, exec, s[12:13]
.LBB558_186:
	s_or_b64 exec, exec, s[10:11]
.LBB558_187:
	s_or_b64 exec, exec, s[2:3]
	v_lshrrev_b16_e32 v38, 8, v41
	v_cmp_ne_u16_e32 vcc, 0, v38
	v_mov_b32_e32 v40, 0
	v_mov_b32_e32 v56, 0
	s_and_saveexec_b64 s[2:3], vcc
	s_cbranch_execz .LBB558_193
; %bb.188:
	s_movk_i32 s10, 0x80
	v_cmp_ne_u16_e32 vcc, s10, v38
	v_bfrev_b32_e32 v56, 1
	s_and_saveexec_b64 s[10:11], vcc
	s_cbranch_execz .LBB558_192
; %bb.189:
	s_movk_i32 s12, 0x7f
	v_and_b32_e32 v52, 0x7f, v38
	v_cmp_ne_u32_e32 vcc, s12, v52
	v_mov_b32_e32 v56, 0x7f800001
	s_and_saveexec_b64 s[12:13], vcc
	s_cbranch_execz .LBB558_191
; %bb.190:
	v_and_b32_e32 v58, 7, v38
	v_ffbh_u32_e32 v56, v58
	v_min_u32_e32 v60, 32, v56
	v_subrev_u32_e32 v56, 28, v60
	v_lshlrev_b64 v[56:57], v56, v[38:39]
	v_lshrrev_b32_e32 v59, 3, v52
	v_sub_u32_e32 v38, 29, v60
	v_and_b32_e32 v56, 7, v56
	v_cmp_gt_u32_e32 vcc, 8, v52
	v_cndmask_b32_e32 v38, v59, v38, vcc
	v_cndmask_b32_e32 v52, v58, v56, vcc
	v_lshlrev_b32_e32 v56, 16, v41
	v_bfrev_b32_e32 v57, 60
	v_lshlrev_b32_e32 v52, 20, v52
	v_and_b32_e32 v56, 0x80000000, v56
	v_lshl_add_u32 v38, v38, 23, v57
	v_or3_b32 v56, v56, v38, v52
.LBB558_191:
	s_or_b64 exec, exec, s[12:13]
.LBB558_192:
	s_or_b64 exec, exec, s[10:11]
.LBB558_193:
	s_or_b64 exec, exec, s[2:3]
	s_movk_i32 s2, 0xff
	v_and_b32_sdwa v52, v41, s2 dst_sel:DWORD dst_unused:UNUSED_PAD src0_sel:WORD_1 src1_sel:DWORD
	v_lshrrev_b32_e32 v38, 16, v41
	v_cmp_ne_u16_e32 vcc, 0, v52
	s_and_saveexec_b64 s[2:3], vcc
	s_cbranch_execz .LBB558_199
; %bb.194:
	s_movk_i32 s10, 0x80
	v_cmp_ne_u16_e32 vcc, s10, v52
	v_bfrev_b32_e32 v40, 1
	s_and_saveexec_b64 s[10:11], vcc
	s_cbranch_execz .LBB558_198
; %bb.195:
	v_bfe_u32 v52, v41, 16, 7
	s_movk_i32 s12, 0x7f
	v_cmp_ne_u32_e32 vcc, s12, v52
	v_mov_b32_e32 v40, 0x7f800001
	s_and_saveexec_b64 s[12:13], vcc
	s_cbranch_execz .LBB558_197
; %bb.196:
	v_and_b32_e32 v40, 7, v38
	v_ffbh_u32_e32 v58, v40
	v_min_u32_e32 v60, 32, v58
	v_subrev_u32_e32 v58, 28, v60
	v_lshlrev_b64 v[58:59], v58, v[38:39]
	v_lshrrev_b32_e32 v57, 3, v52
	v_sub_u32_e32 v38, 29, v60
	v_and_b32_e32 v58, 7, v58
	v_cmp_gt_u32_e32 vcc, 8, v52
	v_mov_b32_e32 v52, 24
	v_cndmask_b32_e32 v38, v57, v38, vcc
	v_cndmask_b32_e32 v40, v40, v58, vcc
	v_lshlrev_b32_sdwa v52, v52, v41 dst_sel:DWORD dst_unused:UNUSED_PAD src0_sel:DWORD src1_sel:WORD_1
	v_bfrev_b32_e32 v57, 60
	v_lshlrev_b32_e32 v40, 20, v40
	v_and_b32_e32 v52, 0x80000000, v52
	v_lshl_add_u32 v38, v38, 23, v57
	v_or3_b32 v40, v52, v38, v40
.LBB558_197:
	s_or_b64 exec, exec, s[12:13]
.LBB558_198:
	s_or_b64 exec, exec, s[10:11]
.LBB558_199:
	s_or_b64 exec, exec, s[2:3]
	s_mov_b32 s2, 0xffffff
	v_cmp_lt_u32_e32 vcc, s2, v41
	v_mov_b32_e32 v52, 0
	v_mov_b32_e32 v57, 0
	s_and_saveexec_b64 s[2:3], vcc
	s_cbranch_execz .LBB558_205
; %bb.200:
	v_lshrrev_b32_e32 v38, 24, v41
	s_movk_i32 s10, 0x80
	v_cmp_ne_u32_e32 vcc, s10, v38
	v_bfrev_b32_e32 v57, 1
	s_and_saveexec_b64 s[10:11], vcc
	s_cbranch_execz .LBB558_204
; %bb.201:
	v_bfe_u32 v41, v41, 24, 7
	s_movk_i32 s12, 0x7f
	v_cmp_ne_u32_e32 vcc, s12, v41
	v_mov_b32_e32 v57, 0x7f800001
	s_and_saveexec_b64 s[12:13], vcc
	s_cbranch_execz .LBB558_203
; %bb.202:
	v_and_b32_e32 v57, 7, v38
	v_ffbh_u32_e32 v58, v57
	v_min_u32_e32 v61, 32, v58
	v_subrev_u32_e32 v58, 28, v61
	v_lshlrev_b64 v[58:59], v58, v[38:39]
	v_lshrrev_b32_e32 v60, 3, v41
	v_sub_u32_e32 v59, 29, v61
	v_and_b32_e32 v58, 7, v58
	v_cmp_gt_u32_e32 vcc, 8, v41
	v_cndmask_b32_e32 v41, v60, v59, vcc
	v_cndmask_b32_e32 v57, v57, v58, vcc
	v_lshlrev_b32_e32 v38, 24, v38
	v_bfrev_b32_e32 v58, 60
	v_lshlrev_b32_e32 v57, 20, v57
	v_and_b32_e32 v38, 0x80000000, v38
	v_lshl_add_u32 v41, v41, 23, v58
	v_or3_b32 v57, v38, v41, v57
.LBB558_203:
	s_or_b64 exec, exec, s[12:13]
.LBB558_204:
	s_or_b64 exec, exec, s[10:11]
.LBB558_205:
	s_or_b64 exec, exec, s[2:3]
	v_cvt_pkrtz_f16_f32 v38, v51, v53
	v_cvt_pkrtz_f16_f32 v39, v39, v55
	v_cmp_ne_u16_sdwa s[10:11], v30, v52 src0_sel:BYTE_0 src1_sel:DWORD
	s_nop 0
	v_mfma_f32_16x16x16f16 v[42:45], v[38:39], v[18:19], v[42:45]
	v_cvt_pkrtz_f16_f32 v38, v54, v56
	v_cvt_pkrtz_f16_f32 v39, v40, v57
	s_nop 1
	v_mfma_f32_16x16x16f16 v[38:41], v[38:39], v[20:21], v[42:45]
	s_and_saveexec_b64 s[2:3], s[10:11]
	s_cbranch_execz .LBB558_211
; %bb.206:
	s_movk_i32 s10, 0x80
	v_cmp_ne_u16_sdwa s[12:13], v30, s10 src0_sel:BYTE_0 src1_sel:DWORD
	v_bfrev_b32_e32 v52, 1
	s_and_saveexec_b64 s[10:11], s[12:13]
	s_cbranch_execz .LBB558_210
; %bb.207:
	s_movk_i32 s12, 0x7f
	v_and_b32_e32 v42, 0x7f, v30
	v_cmp_ne_u32_e32 vcc, s12, v42
	v_mov_b32_e32 v52, 0x7f800001
	s_and_saveexec_b64 s[12:13], vcc
	s_cbranch_execz .LBB558_209
; %bb.208:
	v_and_b32_e32 v43, 7, v30
	v_ffbh_u32_e32 v44, v43
	v_min_u32_e32 v52, 32, v44
	v_subrev_u32_e32 v44, 28, v52
	v_lshlrev_b64 v[44:45], v44, v[30:31]
	v_lshrrev_b32_e32 v51, 3, v42
	v_sub_u32_e32 v45, 29, v52
	v_and_b32_e32 v44, 7, v44
	v_cmp_gt_u32_e32 vcc, 8, v42
	v_cndmask_b32_e32 v42, v51, v45, vcc
	v_cndmask_b32_e32 v43, v43, v44, vcc
	v_lshlrev_b32_e32 v44, 24, v30
	v_bfrev_b32_e32 v45, 60
	v_lshlrev_b32_e32 v43, 20, v43
	v_and_b32_e32 v44, 0x80000000, v44
	v_lshl_add_u32 v42, v42, 23, v45
	v_or3_b32 v52, v44, v42, v43
.LBB558_209:
	s_or_b64 exec, exec, s[12:13]
.LBB558_210:
	s_or_b64 exec, exec, s[10:11]
.LBB558_211:
	s_or_b64 exec, exec, s[2:3]
	s_nop 3
	v_lshrrev_b16_e32 v42, 8, v30
	v_cmp_ne_u16_e32 vcc, 0, v42
	v_mov_b32_e32 v43, 0
	v_mov_b32_e32 v44, 0
	s_and_saveexec_b64 s[2:3], vcc
	s_cbranch_execz .LBB558_217
; %bb.212:
	s_movk_i32 s10, 0x80
	v_cmp_ne_u16_e32 vcc, s10, v42
	v_bfrev_b32_e32 v44, 1
	s_and_saveexec_b64 s[10:11], vcc
	s_cbranch_execz .LBB558_216
; %bb.213:
	s_movk_i32 s12, 0x7f
	v_and_b32_e32 v45, 0x7f, v42
	v_cmp_ne_u32_e32 vcc, s12, v45
	v_mov_b32_e32 v44, 0x7f800001
	s_and_saveexec_b64 s[12:13], vcc
	s_cbranch_execz .LBB558_215
; %bb.214:
	v_and_b32_e32 v44, 7, v42
	v_ffbh_u32_e32 v53, v44
	v_min_u32_e32 v53, 32, v53
	v_subrev_u32_e32 v54, 28, v53
	v_lshlrev_b64 v[54:55], v54, v[42:43]
	v_lshrrev_b32_e32 v51, 3, v45
	v_sub_u32_e32 v42, 29, v53
	v_and_b32_e32 v53, 7, v54
	v_cmp_gt_u32_e32 vcc, 8, v45
	v_cndmask_b32_e32 v42, v51, v42, vcc
	v_cndmask_b32_e32 v44, v44, v53, vcc
	v_lshlrev_b32_e32 v45, 16, v30
	v_bfrev_b32_e32 v51, 60
	v_lshlrev_b32_e32 v44, 20, v44
	v_and_b32_e32 v45, 0x80000000, v45
	v_lshl_add_u32 v42, v42, 23, v51
	v_or3_b32 v44, v45, v42, v44
.LBB558_215:
	s_or_b64 exec, exec, s[12:13]
.LBB558_216:
	s_or_b64 exec, exec, s[10:11]
.LBB558_217:
	s_or_b64 exec, exec, s[2:3]
	s_movk_i32 s2, 0xff
	v_and_b32_sdwa v45, v30, s2 dst_sel:DWORD dst_unused:UNUSED_PAD src0_sel:WORD_1 src1_sel:DWORD
	v_lshrrev_b32_e32 v42, 16, v30
	v_cmp_ne_u16_e32 vcc, 0, v45
	s_and_saveexec_b64 s[2:3], vcc
	s_cbranch_execz .LBB558_223
; %bb.218:
	s_movk_i32 s10, 0x80
	v_cmp_ne_u16_e32 vcc, s10, v45
	v_bfrev_b32_e32 v43, 1
	s_and_saveexec_b64 s[10:11], vcc
	s_cbranch_execz .LBB558_222
; %bb.219:
	v_bfe_u32 v45, v30, 16, 7
	s_movk_i32 s12, 0x7f
	v_cmp_ne_u32_e32 vcc, s12, v45
	v_mov_b32_e32 v43, 0x7f800001
	s_and_saveexec_b64 s[12:13], vcc
	s_cbranch_execz .LBB558_221
; %bb.220:
	v_and_b32_e32 v51, 7, v42
	v_ffbh_u32_e32 v43, v51
	v_min_u32_e32 v54, 32, v43
	v_subrev_u32_e32 v43, 28, v54
	v_lshlrev_b64 v[42:43], v43, v[42:43]
	v_lshrrev_b32_e32 v53, 3, v45
	v_sub_u32_e32 v43, 29, v54
	v_and_b32_e32 v42, 7, v42
	v_cmp_gt_u32_e32 vcc, 8, v45
	v_mov_b32_e32 v45, 24
	v_cndmask_b32_e32 v43, v53, v43, vcc
	v_cndmask_b32_e32 v42, v51, v42, vcc
	v_lshlrev_b32_sdwa v45, v45, v30 dst_sel:DWORD dst_unused:UNUSED_PAD src0_sel:DWORD src1_sel:WORD_1
	v_bfrev_b32_e32 v51, 60
	v_lshlrev_b32_e32 v42, 20, v42
	v_and_b32_e32 v45, 0x80000000, v45
	v_lshl_add_u32 v43, v43, 23, v51
	v_or3_b32 v43, v45, v43, v42
.LBB558_221:
	s_or_b64 exec, exec, s[12:13]
.LBB558_222:
	s_or_b64 exec, exec, s[10:11]
.LBB558_223:
	s_or_b64 exec, exec, s[2:3]
	s_mov_b32 s2, 0xffffff
	v_cmp_lt_u32_e32 vcc, s2, v30
	v_mov_b32_e32 v45, 0
	v_mov_b32_e32 v53, 0
	s_and_saveexec_b64 s[2:3], vcc
	s_cbranch_execz .LBB558_229
; %bb.224:
	v_lshrrev_b32_e32 v42, 24, v30
	s_movk_i32 s10, 0x80
	v_cmp_ne_u32_e32 vcc, s10, v42
	v_bfrev_b32_e32 v53, 1
	s_and_saveexec_b64 s[10:11], vcc
	s_cbranch_execz .LBB558_228
; %bb.225:
	v_bfe_u32 v30, v30, 24, 7
	s_movk_i32 s12, 0x7f
	v_cmp_ne_u32_e32 vcc, s12, v30
	v_mov_b32_e32 v53, 0x7f800001
	s_and_saveexec_b64 s[12:13], vcc
	s_cbranch_execz .LBB558_227
; %bb.226:
	v_and_b32_e32 v51, 7, v42
	v_ffbh_u32_e32 v54, v51
	v_min_u32_e32 v56, 32, v54
	v_subrev_u32_e32 v54, 28, v56
	v_lshlrev_b64 v[54:55], v54, v[42:43]
	v_lshrrev_b32_e32 v53, 3, v30
	v_sub_u32_e32 v55, 29, v56
	v_and_b32_e32 v54, 7, v54
	v_cmp_gt_u32_e32 vcc, 8, v30
	v_cndmask_b32_e32 v30, v53, v55, vcc
	v_cndmask_b32_e32 v51, v51, v54, vcc
	v_lshlrev_b32_e32 v42, 24, v42
	v_bfrev_b32_e32 v53, 60
	v_lshlrev_b32_e32 v51, 20, v51
	v_and_b32_e32 v42, 0x80000000, v42
	v_lshl_add_u32 v30, v30, 23, v53
	v_or3_b32 v53, v42, v30, v51
.LBB558_227:
	s_or_b64 exec, exec, s[12:13]
.LBB558_228:
	s_or_b64 exec, exec, s[10:11]
.LBB558_229:
	s_or_b64 exec, exec, s[2:3]
	v_cmp_ne_u16_sdwa s[10:11], v31, v45 src0_sel:BYTE_0 src1_sel:DWORD
	s_and_saveexec_b64 s[2:3], s[10:11]
	s_cbranch_execz .LBB558_235
; %bb.230:
	s_movk_i32 s10, 0x80
	v_cmp_ne_u16_sdwa s[12:13], v31, s10 src0_sel:BYTE_0 src1_sel:DWORD
	v_bfrev_b32_e32 v45, 1
	s_and_saveexec_b64 s[10:11], s[12:13]
	s_cbranch_execz .LBB558_234
; %bb.231:
	s_movk_i32 s12, 0x7f
	v_and_b32_e32 v30, 0x7f, v31
	v_cmp_ne_u32_e32 vcc, s12, v30
	v_mov_b32_e32 v45, 0x7f800001
	s_and_saveexec_b64 s[12:13], vcc
	s_cbranch_execz .LBB558_233
; %bb.232:
	v_and_b32_e32 v45, 7, v31
	v_ffbh_u32_e32 v54, v45
	v_min_u32_e32 v56, 32, v54
	v_mov_b32_e32 v42, v31
	v_subrev_u32_e32 v54, 28, v56
	v_lshlrev_b64 v[54:55], v54, v[42:43]
	v_lshrrev_b32_e32 v51, 3, v30
	v_sub_u32_e32 v42, 29, v56
	v_and_b32_e32 v54, 7, v54
	v_cmp_gt_u32_e32 vcc, 8, v30
	v_cndmask_b32_e32 v30, v51, v42, vcc
	v_cndmask_b32_e32 v42, v45, v54, vcc
	v_lshlrev_b32_e32 v45, 24, v31
	v_bfrev_b32_e32 v51, 60
	v_lshlrev_b32_e32 v42, 20, v42
	v_and_b32_e32 v45, 0x80000000, v45
	v_lshl_add_u32 v30, v30, 23, v51
	v_or3_b32 v45, v45, v30, v42
.LBB558_233:
	s_or_b64 exec, exec, s[12:13]
.LBB558_234:
	s_or_b64 exec, exec, s[10:11]
.LBB558_235:
	s_or_b64 exec, exec, s[2:3]
	v_lshrrev_b16_e32 v30, 8, v31
	v_cmp_ne_u16_e32 vcc, 0, v30
	v_mov_b32_e32 v42, 0
	v_mov_b32_e32 v54, 0
	s_and_saveexec_b64 s[2:3], vcc
	s_cbranch_execz .LBB558_241
; %bb.236:
	s_movk_i32 s10, 0x80
	v_cmp_ne_u16_e32 vcc, s10, v30
	v_bfrev_b32_e32 v54, 1
	s_and_saveexec_b64 s[10:11], vcc
	s_cbranch_execz .LBB558_240
; %bb.237:
	s_movk_i32 s12, 0x7f
	v_and_b32_e32 v51, 0x7f, v30
	v_cmp_ne_u32_e32 vcc, s12, v51
	v_mov_b32_e32 v54, 0x7f800001
	s_and_saveexec_b64 s[12:13], vcc
	s_cbranch_execz .LBB558_239
; %bb.238:
	v_and_b32_e32 v56, 7, v30
	v_ffbh_u32_e32 v54, v56
	v_min_u32_e32 v58, 32, v54
	v_subrev_u32_e32 v54, 28, v58
	v_lshlrev_b64 v[54:55], v54, v[30:31]
	v_lshrrev_b32_e32 v57, 3, v51
	v_sub_u32_e32 v30, 29, v58
	v_and_b32_e32 v54, 7, v54
	v_cmp_gt_u32_e32 vcc, 8, v51
	v_cndmask_b32_e32 v30, v57, v30, vcc
	v_cndmask_b32_e32 v51, v56, v54, vcc
	v_lshlrev_b32_e32 v54, 16, v31
	v_bfrev_b32_e32 v55, 60
	v_lshlrev_b32_e32 v51, 20, v51
	v_and_b32_e32 v54, 0x80000000, v54
	v_lshl_add_u32 v30, v30, 23, v55
	v_or3_b32 v54, v54, v30, v51
.LBB558_239:
	s_or_b64 exec, exec, s[12:13]
.LBB558_240:
	s_or_b64 exec, exec, s[10:11]
.LBB558_241:
	s_or_b64 exec, exec, s[2:3]
	s_movk_i32 s2, 0xff
	v_and_b32_sdwa v51, v31, s2 dst_sel:DWORD dst_unused:UNUSED_PAD src0_sel:WORD_1 src1_sel:DWORD
	v_lshrrev_b32_e32 v30, 16, v31
	v_cmp_ne_u16_e32 vcc, 0, v51
	s_and_saveexec_b64 s[2:3], vcc
	s_cbranch_execz .LBB558_247
; %bb.242:
	s_movk_i32 s10, 0x80
	v_cmp_ne_u16_e32 vcc, s10, v51
	v_bfrev_b32_e32 v42, 1
	s_and_saveexec_b64 s[10:11], vcc
	s_cbranch_execz .LBB558_246
; %bb.243:
	v_bfe_u32 v51, v31, 16, 7
	s_movk_i32 s12, 0x7f
	v_cmp_ne_u32_e32 vcc, s12, v51
	v_mov_b32_e32 v42, 0x7f800001
	s_and_saveexec_b64 s[12:13], vcc
	s_cbranch_execz .LBB558_245
; %bb.244:
	v_and_b32_e32 v42, 7, v30
	v_ffbh_u32_e32 v56, v42
	v_min_u32_e32 v58, 32, v56
	v_subrev_u32_e32 v56, 28, v58
	v_lshlrev_b64 v[56:57], v56, v[30:31]
	v_lshrrev_b32_e32 v55, 3, v51
	v_sub_u32_e32 v30, 29, v58
	v_and_b32_e32 v56, 7, v56
	v_cmp_gt_u32_e32 vcc, 8, v51
	v_mov_b32_e32 v51, 24
	v_cndmask_b32_e32 v30, v55, v30, vcc
	v_cndmask_b32_e32 v42, v42, v56, vcc
	v_lshlrev_b32_sdwa v51, v51, v31 dst_sel:DWORD dst_unused:UNUSED_PAD src0_sel:DWORD src1_sel:WORD_1
	v_bfrev_b32_e32 v55, 60
	v_lshlrev_b32_e32 v42, 20, v42
	v_and_b32_e32 v51, 0x80000000, v51
	v_lshl_add_u32 v30, v30, 23, v55
	v_or3_b32 v42, v51, v30, v42
.LBB558_245:
	s_or_b64 exec, exec, s[12:13]
.LBB558_246:
	s_or_b64 exec, exec, s[10:11]
.LBB558_247:
	s_or_b64 exec, exec, s[2:3]
	s_mov_b32 s2, 0xffffff
	v_cmp_lt_u32_e32 vcc, s2, v31
	v_mov_b32_e32 v51, 0
	v_mov_b32_e32 v55, 0
	s_and_saveexec_b64 s[2:3], vcc
	s_cbranch_execz .LBB558_253
; %bb.248:
	v_lshrrev_b32_e32 v30, 24, v31
	s_movk_i32 s10, 0x80
	v_cmp_ne_u32_e32 vcc, s10, v30
	v_bfrev_b32_e32 v55, 1
	s_and_saveexec_b64 s[10:11], vcc
	s_cbranch_execz .LBB558_252
; %bb.249:
	v_bfe_u32 v31, v31, 24, 7
	s_movk_i32 s12, 0x7f
	v_cmp_ne_u32_e32 vcc, s12, v31
	v_mov_b32_e32 v55, 0x7f800001
	s_and_saveexec_b64 s[12:13], vcc
	s_cbranch_execz .LBB558_251
; %bb.250:
	v_and_b32_e32 v55, 7, v30
	v_ffbh_u32_e32 v56, v55
	v_min_u32_e32 v59, 32, v56
	v_subrev_u32_e32 v56, 28, v59
	v_lshlrev_b64 v[56:57], v56, v[30:31]
	v_lshrrev_b32_e32 v58, 3, v31
	v_sub_u32_e32 v57, 29, v59
	v_and_b32_e32 v56, 7, v56
	v_cmp_gt_u32_e32 vcc, 8, v31
	v_cndmask_b32_e32 v31, v58, v57, vcc
	v_cndmask_b32_e32 v55, v55, v56, vcc
	v_lshlrev_b32_e32 v30, 24, v30
	v_bfrev_b32_e32 v56, 60
	v_lshlrev_b32_e32 v55, 20, v55
	v_and_b32_e32 v30, 0x80000000, v30
	v_lshl_add_u32 v31, v31, 23, v56
	v_or3_b32 v55, v30, v31, v55
.LBB558_251:
	s_or_b64 exec, exec, s[12:13]
.LBB558_252:
	s_or_b64 exec, exec, s[10:11]
.LBB558_253:
	s_or_b64 exec, exec, s[2:3]
	v_cvt_pkrtz_f16_f32 v30, v52, v44
	v_cvt_pkrtz_f16_f32 v31, v43, v53
	v_cmp_ne_u16_sdwa s[10:11], v32, v51 src0_sel:BYTE_0 src1_sel:DWORD
	s_nop 0
	v_mfma_f32_16x16x16f16 v[56:59], v[30:31], v[26:27], 0
	v_cvt_pkrtz_f16_f32 v30, v45, v54
	v_cvt_pkrtz_f16_f32 v31, v42, v55
	s_nop 1
	v_mfma_f32_16x16x16f16 v[42:45], v[30:31], v[28:29], v[56:59]
	s_and_saveexec_b64 s[2:3], s[10:11]
	s_cbranch_execz .LBB558_259
; %bb.254:
	s_movk_i32 s10, 0x80
	v_cmp_ne_u16_sdwa s[12:13], v32, s10 src0_sel:BYTE_0 src1_sel:DWORD
	v_bfrev_b32_e32 v51, 1
	s_and_saveexec_b64 s[10:11], s[12:13]
	s_cbranch_execz .LBB558_258
; %bb.255:
	s_movk_i32 s12, 0x7f
	v_and_b32_e32 v30, 0x7f, v32
	v_cmp_ne_u32_e32 vcc, s12, v30
	v_mov_b32_e32 v51, 0x7f800001
	s_and_saveexec_b64 s[12:13], vcc
	s_cbranch_execz .LBB558_257
; %bb.256:
	v_and_b32_e32 v31, 7, v32
	v_ffbh_u32_e32 v52, v31
	v_min_u32_e32 v54, 32, v52
	v_subrev_u32_e32 v52, 28, v54
	v_lshlrev_b64 v[52:53], v52, v[32:33]
	v_lshrrev_b32_e32 v51, 3, v30
	v_sub_u32_e32 v53, 29, v54
	v_and_b32_e32 v52, 7, v52
	v_cmp_gt_u32_e32 vcc, 8, v30
	v_cndmask_b32_e32 v30, v51, v53, vcc
	v_cndmask_b32_e32 v31, v31, v52, vcc
	v_lshlrev_b32_e32 v51, 24, v32
	v_bfrev_b32_e32 v52, 60
	v_lshlrev_b32_e32 v31, 20, v31
	v_and_b32_e32 v51, 0x80000000, v51
	v_lshl_add_u32 v30, v30, 23, v52
	v_or3_b32 v51, v51, v30, v31
.LBB558_257:
	s_or_b64 exec, exec, s[12:13]
.LBB558_258:
	s_or_b64 exec, exec, s[10:11]
.LBB558_259:
	s_or_b64 exec, exec, s[2:3]
	v_lshrrev_b16_e32 v30, 8, v32
	v_cmp_ne_u16_e32 vcc, 0, v30
	v_mov_b32_e32 v31, 0
	v_mov_b32_e32 v53, 0
	s_and_saveexec_b64 s[2:3], vcc
	s_cbranch_execz .LBB558_265
; %bb.260:
	s_movk_i32 s10, 0x80
	v_cmp_ne_u16_e32 vcc, s10, v30
	v_bfrev_b32_e32 v53, 1
	s_and_saveexec_b64 s[10:11], vcc
	s_cbranch_execz .LBB558_264
; %bb.261:
	s_movk_i32 s12, 0x7f
	v_and_b32_e32 v52, 0x7f, v30
	v_cmp_ne_u32_e32 vcc, s12, v52
	v_mov_b32_e32 v53, 0x7f800001
	s_and_saveexec_b64 s[12:13], vcc
	s_cbranch_execz .LBB558_263
; %bb.262:
	v_and_b32_e32 v53, 7, v30
	v_ffbh_u32_e32 v54, v53
	v_min_u32_e32 v57, 32, v54
	v_subrev_u32_e32 v54, 28, v57
	v_lshlrev_b64 v[54:55], v54, v[30:31]
	v_lshrrev_b32_e32 v56, 3, v52
	v_sub_u32_e32 v30, 29, v57
	v_and_b32_e32 v54, 7, v54
	v_cmp_gt_u32_e32 vcc, 8, v52
	v_cndmask_b32_e32 v30, v56, v30, vcc
	v_cndmask_b32_e32 v52, v53, v54, vcc
	v_lshlrev_b32_e32 v53, 16, v32
	v_bfrev_b32_e32 v54, 60
	v_lshlrev_b32_e32 v52, 20, v52
	v_and_b32_e32 v53, 0x80000000, v53
	v_lshl_add_u32 v30, v30, 23, v54
	v_or3_b32 v53, v53, v30, v52
.LBB558_263:
	s_or_b64 exec, exec, s[12:13]
.LBB558_264:
	s_or_b64 exec, exec, s[10:11]
.LBB558_265:
	s_or_b64 exec, exec, s[2:3]
	s_movk_i32 s2, 0xff
	v_and_b32_sdwa v52, v32, s2 dst_sel:DWORD dst_unused:UNUSED_PAD src0_sel:WORD_1 src1_sel:DWORD
	v_lshrrev_b32_e32 v30, 16, v32
	v_cmp_ne_u16_e32 vcc, 0, v52
	s_and_saveexec_b64 s[2:3], vcc
	s_cbranch_execz .LBB558_271
; %bb.266:
	s_movk_i32 s10, 0x80
	v_cmp_ne_u16_e32 vcc, s10, v52
	v_bfrev_b32_e32 v31, 1
	s_and_saveexec_b64 s[10:11], vcc
	s_cbranch_execz .LBB558_270
; %bb.267:
	v_bfe_u32 v52, v32, 16, 7
	s_movk_i32 s12, 0x7f
	v_cmp_ne_u32_e32 vcc, s12, v52
	v_mov_b32_e32 v31, 0x7f800001
	s_and_saveexec_b64 s[12:13], vcc
	s_cbranch_execz .LBB558_269
; %bb.268:
	v_and_b32_e32 v54, 7, v30
	v_ffbh_u32_e32 v31, v54
	v_min_u32_e32 v56, 32, v31
	v_subrev_u32_e32 v31, 28, v56
	v_lshlrev_b64 v[30:31], v31, v[30:31]
	v_lshrrev_b32_e32 v55, 3, v52
	v_sub_u32_e32 v31, 29, v56
	v_and_b32_e32 v30, 7, v30
	v_cmp_gt_u32_e32 vcc, 8, v52
	v_mov_b32_e32 v52, 24
	v_cndmask_b32_e32 v31, v55, v31, vcc
	v_cndmask_b32_e32 v30, v54, v30, vcc
	v_lshlrev_b32_sdwa v52, v52, v32 dst_sel:DWORD dst_unused:UNUSED_PAD src0_sel:DWORD src1_sel:WORD_1
	v_bfrev_b32_e32 v54, 60
	v_lshlrev_b32_e32 v30, 20, v30
	v_and_b32_e32 v52, 0x80000000, v52
	v_lshl_add_u32 v31, v31, 23, v54
	v_or3_b32 v31, v52, v31, v30
.LBB558_269:
	s_or_b64 exec, exec, s[12:13]
.LBB558_270:
	s_or_b64 exec, exec, s[10:11]
.LBB558_271:
	s_or_b64 exec, exec, s[2:3]
	s_mov_b32 s2, 0xffffff
	v_cmp_lt_u32_e32 vcc, s2, v32
	v_mov_b32_e32 v54, 0
	v_mov_b32_e32 v55, 0
	s_and_saveexec_b64 s[2:3], vcc
	s_cbranch_execz .LBB558_277
; %bb.272:
	v_lshrrev_b32_e32 v30, 24, v32
	s_movk_i32 s10, 0x80
	v_cmp_ne_u32_e32 vcc, s10, v30
	v_bfrev_b32_e32 v55, 1
	s_and_saveexec_b64 s[10:11], vcc
	s_cbranch_execz .LBB558_276
; %bb.273:
	v_bfe_u32 v32, v32, 24, 7
	s_movk_i32 s12, 0x7f
	v_cmp_ne_u32_e32 vcc, s12, v32
	v_mov_b32_e32 v55, 0x7f800001
	s_and_saveexec_b64 s[12:13], vcc
	s_cbranch_execz .LBB558_275
; %bb.274:
	v_and_b32_e32 v52, 7, v30
	v_ffbh_u32_e32 v56, v52
	v_min_u32_e32 v58, 32, v56
	v_subrev_u32_e32 v56, 28, v58
	v_lshlrev_b64 v[56:57], v56, v[30:31]
	v_lshrrev_b32_e32 v55, 3, v32
	v_sub_u32_e32 v57, 29, v58
	v_and_b32_e32 v56, 7, v56
	v_cmp_gt_u32_e32 vcc, 8, v32
	v_cndmask_b32_e32 v32, v55, v57, vcc
	v_cndmask_b32_e32 v52, v52, v56, vcc
	v_lshlrev_b32_e32 v30, 24, v30
	v_bfrev_b32_e32 v55, 60
	v_lshlrev_b32_e32 v52, 20, v52
	v_and_b32_e32 v30, 0x80000000, v30
	v_lshl_add_u32 v32, v32, 23, v55
	v_or3_b32 v55, v30, v32, v52
.LBB558_275:
	s_or_b64 exec, exec, s[12:13]
.LBB558_276:
	s_or_b64 exec, exec, s[10:11]
.LBB558_277:
	s_or_b64 exec, exec, s[2:3]
	v_cmp_ne_u16_sdwa s[10:11], v33, v54 src0_sel:BYTE_0 src1_sel:DWORD
	s_and_saveexec_b64 s[2:3], s[10:11]
	s_cbranch_execz .LBB558_283
; %bb.278:
	s_movk_i32 s10, 0x80
	v_cmp_ne_u16_sdwa s[12:13], v33, s10 src0_sel:BYTE_0 src1_sel:DWORD
	v_bfrev_b32_e32 v54, 1
	s_and_saveexec_b64 s[10:11], s[12:13]
	s_cbranch_execz .LBB558_282
; %bb.279:
	s_movk_i32 s12, 0x7f
	v_and_b32_e32 v30, 0x7f, v33
	v_cmp_ne_u32_e32 vcc, s12, v30
	v_mov_b32_e32 v54, 0x7f800001
	s_and_saveexec_b64 s[12:13], vcc
	s_cbranch_execz .LBB558_281
; %bb.280:
	v_and_b32_e32 v52, 7, v33
	v_ffbh_u32_e32 v56, v52
	v_min_u32_e32 v58, 32, v56
	v_mov_b32_e32 v32, v33
	v_subrev_u32_e32 v56, 28, v58
	v_lshlrev_b64 v[56:57], v56, v[32:33]
	v_lshrrev_b32_e32 v54, 3, v30
	v_sub_u32_e32 v32, 29, v58
	v_and_b32_e32 v56, 7, v56
	v_cmp_gt_u32_e32 vcc, 8, v30
	v_cndmask_b32_e32 v30, v54, v32, vcc
	v_cndmask_b32_e32 v32, v52, v56, vcc
	v_lshlrev_b32_e32 v52, 24, v33
	v_bfrev_b32_e32 v54, 60
	v_lshlrev_b32_e32 v32, 20, v32
	v_and_b32_e32 v52, 0x80000000, v52
	v_lshl_add_u32 v30, v30, 23, v54
	v_or3_b32 v54, v52, v30, v32
.LBB558_281:
	s_or_b64 exec, exec, s[12:13]
.LBB558_282:
	s_or_b64 exec, exec, s[10:11]
.LBB558_283:
	s_or_b64 exec, exec, s[2:3]
	v_lshrrev_b16_e32 v30, 8, v33
	v_cmp_ne_u16_e32 vcc, 0, v30
	v_mov_b32_e32 v32, 0
	v_mov_b32_e32 v56, 0
	s_and_saveexec_b64 s[2:3], vcc
	s_cbranch_execz .LBB558_289
; %bb.284:
	s_movk_i32 s10, 0x80
	v_cmp_ne_u16_e32 vcc, s10, v30
	v_bfrev_b32_e32 v56, 1
	s_and_saveexec_b64 s[10:11], vcc
	s_cbranch_execz .LBB558_288
; %bb.285:
	s_movk_i32 s12, 0x7f
	v_and_b32_e32 v52, 0x7f, v30
	v_cmp_ne_u32_e32 vcc, s12, v52
	v_mov_b32_e32 v56, 0x7f800001
	s_and_saveexec_b64 s[12:13], vcc
	s_cbranch_execz .LBB558_287
; %bb.286:
	v_and_b32_e32 v58, 7, v30
	v_ffbh_u32_e32 v56, v58
	v_min_u32_e32 v60, 32, v56
	v_subrev_u32_e32 v56, 28, v60
	v_lshlrev_b64 v[56:57], v56, v[30:31]
	v_lshrrev_b32_e32 v59, 3, v52
	v_sub_u32_e32 v30, 29, v60
	v_and_b32_e32 v56, 7, v56
	v_cmp_gt_u32_e32 vcc, 8, v52
	v_cndmask_b32_e32 v30, v59, v30, vcc
	v_cndmask_b32_e32 v52, v58, v56, vcc
	v_lshlrev_b32_e32 v56, 16, v33
	v_bfrev_b32_e32 v57, 60
	v_lshlrev_b32_e32 v52, 20, v52
	v_and_b32_e32 v56, 0x80000000, v56
	v_lshl_add_u32 v30, v30, 23, v57
	v_or3_b32 v56, v56, v30, v52
.LBB558_287:
	s_or_b64 exec, exec, s[12:13]
.LBB558_288:
	s_or_b64 exec, exec, s[10:11]
.LBB558_289:
	s_or_b64 exec, exec, s[2:3]
	s_movk_i32 s2, 0xff
	v_and_b32_sdwa v52, v33, s2 dst_sel:DWORD dst_unused:UNUSED_PAD src0_sel:WORD_1 src1_sel:DWORD
	v_lshrrev_b32_e32 v30, 16, v33
	v_cmp_ne_u16_e32 vcc, 0, v52
	s_and_saveexec_b64 s[2:3], vcc
	s_cbranch_execz .LBB558_295
; %bb.290:
	s_movk_i32 s10, 0x80
	v_cmp_ne_u16_e32 vcc, s10, v52
	v_bfrev_b32_e32 v32, 1
	s_and_saveexec_b64 s[10:11], vcc
	s_cbranch_execz .LBB558_294
; %bb.291:
	v_bfe_u32 v52, v33, 16, 7
	s_movk_i32 s12, 0x7f
	v_cmp_ne_u32_e32 vcc, s12, v52
	v_mov_b32_e32 v32, 0x7f800001
	s_and_saveexec_b64 s[12:13], vcc
	s_cbranch_execz .LBB558_293
; %bb.292:
	v_and_b32_e32 v32, 7, v30
	v_ffbh_u32_e32 v58, v32
	v_min_u32_e32 v60, 32, v58
	v_subrev_u32_e32 v58, 28, v60
	v_lshlrev_b64 v[58:59], v58, v[30:31]
	v_lshrrev_b32_e32 v57, 3, v52
	v_sub_u32_e32 v30, 29, v60
	v_and_b32_e32 v58, 7, v58
	v_cmp_gt_u32_e32 vcc, 8, v52
	v_mov_b32_e32 v52, 24
	v_cndmask_b32_e32 v30, v57, v30, vcc
	v_cndmask_b32_e32 v32, v32, v58, vcc
	v_lshlrev_b32_sdwa v52, v52, v33 dst_sel:DWORD dst_unused:UNUSED_PAD src0_sel:DWORD src1_sel:WORD_1
	v_bfrev_b32_e32 v57, 60
	v_lshlrev_b32_e32 v32, 20, v32
	v_and_b32_e32 v52, 0x80000000, v52
	v_lshl_add_u32 v30, v30, 23, v57
	v_or3_b32 v32, v52, v30, v32
.LBB558_293:
	s_or_b64 exec, exec, s[12:13]
.LBB558_294:
	s_or_b64 exec, exec, s[10:11]
.LBB558_295:
	s_or_b64 exec, exec, s[2:3]
	s_mov_b32 s2, 0xffffff
	v_cmp_lt_u32_e32 vcc, s2, v33
	v_mov_b32_e32 v52, 0
	v_mov_b32_e32 v57, 0
	s_and_saveexec_b64 s[2:3], vcc
	s_cbranch_execz .LBB558_301
; %bb.296:
	v_lshrrev_b32_e32 v30, 24, v33
	s_movk_i32 s10, 0x80
	v_cmp_ne_u32_e32 vcc, s10, v30
	v_bfrev_b32_e32 v57, 1
	s_and_saveexec_b64 s[10:11], vcc
	s_cbranch_execz .LBB558_300
; %bb.297:
	v_bfe_u32 v33, v33, 24, 7
	s_movk_i32 s12, 0x7f
	v_cmp_ne_u32_e32 vcc, s12, v33
	v_mov_b32_e32 v57, 0x7f800001
	s_and_saveexec_b64 s[12:13], vcc
	s_cbranch_execz .LBB558_299
; %bb.298:
	v_and_b32_e32 v57, 7, v30
	v_ffbh_u32_e32 v58, v57
	v_min_u32_e32 v61, 32, v58
	v_subrev_u32_e32 v58, 28, v61
	v_lshlrev_b64 v[58:59], v58, v[30:31]
	v_lshrrev_b32_e32 v60, 3, v33
	v_sub_u32_e32 v59, 29, v61
	v_and_b32_e32 v58, 7, v58
	v_cmp_gt_u32_e32 vcc, 8, v33
	v_cndmask_b32_e32 v33, v60, v59, vcc
	v_cndmask_b32_e32 v57, v57, v58, vcc
	v_lshlrev_b32_e32 v30, 24, v30
	v_bfrev_b32_e32 v58, 60
	v_lshlrev_b32_e32 v57, 20, v57
	v_and_b32_e32 v30, 0x80000000, v30
	v_lshl_add_u32 v33, v33, 23, v58
	v_or3_b32 v57, v30, v33, v57
.LBB558_299:
	s_or_b64 exec, exec, s[12:13]
.LBB558_300:
	s_or_b64 exec, exec, s[10:11]
.LBB558_301:
	s_or_b64 exec, exec, s[2:3]
	v_cvt_pkrtz_f16_f32 v30, v51, v53
	v_cvt_pkrtz_f16_f32 v31, v31, v55
	v_cmp_ne_u16_sdwa s[10:11], v22, v52 src0_sel:BYTE_0 src1_sel:DWORD
	s_nop 0
	v_mfma_f32_16x16x16f16 v[42:45], v[30:31], v[18:19], v[42:45]
	v_cvt_pkrtz_f16_f32 v30, v54, v56
	v_cvt_pkrtz_f16_f32 v31, v32, v57
	s_nop 1
	v_mfma_f32_16x16x16f16 v[30:33], v[30:31], v[20:21], v[42:45]
	s_and_saveexec_b64 s[2:3], s[10:11]
	s_cbranch_execz .LBB558_307
; %bb.302:
	s_movk_i32 s10, 0x80
	v_cmp_ne_u16_sdwa s[12:13], v22, s10 src0_sel:BYTE_0 src1_sel:DWORD
	v_bfrev_b32_e32 v52, 1
	s_and_saveexec_b64 s[10:11], s[12:13]
	s_cbranch_execz .LBB558_306
; %bb.303:
	s_movk_i32 s12, 0x7f
	v_and_b32_e32 v42, 0x7f, v22
	v_cmp_ne_u32_e32 vcc, s12, v42
	v_mov_b32_e32 v52, 0x7f800001
	s_and_saveexec_b64 s[12:13], vcc
	s_cbranch_execz .LBB558_305
; %bb.304:
	v_and_b32_e32 v43, 7, v22
	v_ffbh_u32_e32 v44, v43
	v_min_u32_e32 v52, 32, v44
	v_subrev_u32_e32 v44, 28, v52
	v_lshlrev_b64 v[44:45], v44, v[22:23]
	v_lshrrev_b32_e32 v51, 3, v42
	v_sub_u32_e32 v45, 29, v52
	v_and_b32_e32 v44, 7, v44
	v_cmp_gt_u32_e32 vcc, 8, v42
	v_cndmask_b32_e32 v42, v51, v45, vcc
	v_cndmask_b32_e32 v43, v43, v44, vcc
	v_lshlrev_b32_e32 v44, 24, v22
	v_bfrev_b32_e32 v45, 60
	v_lshlrev_b32_e32 v43, 20, v43
	v_and_b32_e32 v44, 0x80000000, v44
	v_lshl_add_u32 v42, v42, 23, v45
	v_or3_b32 v52, v44, v42, v43
.LBB558_305:
	s_or_b64 exec, exec, s[12:13]
.LBB558_306:
	s_or_b64 exec, exec, s[10:11]
.LBB558_307:
	s_or_b64 exec, exec, s[2:3]
	s_nop 3
	v_lshrrev_b16_e32 v42, 8, v22
	v_cmp_ne_u16_e32 vcc, 0, v42
	v_mov_b32_e32 v43, 0
	v_mov_b32_e32 v44, 0
	s_and_saveexec_b64 s[2:3], vcc
	s_cbranch_execz .LBB558_313
; %bb.308:
	s_movk_i32 s10, 0x80
	v_cmp_ne_u16_e32 vcc, s10, v42
	v_bfrev_b32_e32 v44, 1
	s_and_saveexec_b64 s[10:11], vcc
	s_cbranch_execz .LBB558_312
; %bb.309:
	s_movk_i32 s12, 0x7f
	v_and_b32_e32 v45, 0x7f, v42
	v_cmp_ne_u32_e32 vcc, s12, v45
	v_mov_b32_e32 v44, 0x7f800001
	s_and_saveexec_b64 s[12:13], vcc
	s_cbranch_execz .LBB558_311
; %bb.310:
	v_and_b32_e32 v44, 7, v42
	v_ffbh_u32_e32 v53, v44
	v_min_u32_e32 v53, 32, v53
	v_subrev_u32_e32 v54, 28, v53
	v_lshlrev_b64 v[54:55], v54, v[42:43]
	v_lshrrev_b32_e32 v51, 3, v45
	v_sub_u32_e32 v42, 29, v53
	v_and_b32_e32 v53, 7, v54
	v_cmp_gt_u32_e32 vcc, 8, v45
	v_cndmask_b32_e32 v42, v51, v42, vcc
	v_cndmask_b32_e32 v44, v44, v53, vcc
	v_lshlrev_b32_e32 v45, 16, v22
	v_bfrev_b32_e32 v51, 60
	v_lshlrev_b32_e32 v44, 20, v44
	v_and_b32_e32 v45, 0x80000000, v45
	v_lshl_add_u32 v42, v42, 23, v51
	v_or3_b32 v44, v45, v42, v44
.LBB558_311:
	s_or_b64 exec, exec, s[12:13]
.LBB558_312:
	s_or_b64 exec, exec, s[10:11]
.LBB558_313:
	s_or_b64 exec, exec, s[2:3]
	s_movk_i32 s2, 0xff
	v_and_b32_sdwa v45, v22, s2 dst_sel:DWORD dst_unused:UNUSED_PAD src0_sel:WORD_1 src1_sel:DWORD
	v_lshrrev_b32_e32 v42, 16, v22
	v_cmp_ne_u16_e32 vcc, 0, v45
	s_and_saveexec_b64 s[2:3], vcc
	s_cbranch_execz .LBB558_319
; %bb.314:
	s_movk_i32 s10, 0x80
	v_cmp_ne_u16_e32 vcc, s10, v45
	v_bfrev_b32_e32 v43, 1
	s_and_saveexec_b64 s[10:11], vcc
	s_cbranch_execz .LBB558_318
; %bb.315:
	v_bfe_u32 v45, v22, 16, 7
	s_movk_i32 s12, 0x7f
	v_cmp_ne_u32_e32 vcc, s12, v45
	v_mov_b32_e32 v43, 0x7f800001
	s_and_saveexec_b64 s[12:13], vcc
	s_cbranch_execz .LBB558_317
; %bb.316:
	v_and_b32_e32 v51, 7, v42
	v_ffbh_u32_e32 v43, v51
	v_min_u32_e32 v54, 32, v43
	v_subrev_u32_e32 v43, 28, v54
	v_lshlrev_b64 v[42:43], v43, v[42:43]
	v_lshrrev_b32_e32 v53, 3, v45
	v_sub_u32_e32 v43, 29, v54
	v_and_b32_e32 v42, 7, v42
	v_cmp_gt_u32_e32 vcc, 8, v45
	v_mov_b32_e32 v45, 24
	v_cndmask_b32_e32 v43, v53, v43, vcc
	v_cndmask_b32_e32 v42, v51, v42, vcc
	v_lshlrev_b32_sdwa v45, v45, v22 dst_sel:DWORD dst_unused:UNUSED_PAD src0_sel:DWORD src1_sel:WORD_1
	v_bfrev_b32_e32 v51, 60
	v_lshlrev_b32_e32 v42, 20, v42
	v_and_b32_e32 v45, 0x80000000, v45
	v_lshl_add_u32 v43, v43, 23, v51
	v_or3_b32 v43, v45, v43, v42
.LBB558_317:
	s_or_b64 exec, exec, s[12:13]
.LBB558_318:
	s_or_b64 exec, exec, s[10:11]
.LBB558_319:
	s_or_b64 exec, exec, s[2:3]
	s_mov_b32 s2, 0xffffff
	v_cmp_lt_u32_e32 vcc, s2, v22
	v_mov_b32_e32 v45, 0
	v_mov_b32_e32 v51, 0
	s_and_saveexec_b64 s[2:3], vcc
	s_cbranch_execz .LBB558_325
; %bb.320:
	v_lshrrev_b32_e32 v42, 24, v22
	s_movk_i32 s10, 0x80
	v_cmp_ne_u32_e32 vcc, s10, v42
	v_bfrev_b32_e32 v51, 1
	s_and_saveexec_b64 s[10:11], vcc
	s_cbranch_execz .LBB558_324
; %bb.321:
	v_bfe_u32 v22, v22, 24, 7
	s_movk_i32 s12, 0x7f
	v_cmp_ne_u32_e32 vcc, s12, v22
	v_mov_b32_e32 v51, 0x7f800001
	s_and_saveexec_b64 s[12:13], vcc
	s_cbranch_execz .LBB558_323
; %bb.322:
	v_and_b32_e32 v51, 7, v42
	v_ffbh_u32_e32 v54, v51
	v_min_u32_e32 v56, 32, v54
	v_subrev_u32_e32 v54, 28, v56
	v_lshlrev_b64 v[54:55], v54, v[42:43]
	v_lshrrev_b32_e32 v53, 3, v22
	v_sub_u32_e32 v55, 29, v56
	v_and_b32_e32 v54, 7, v54
	v_cmp_gt_u32_e32 vcc, 8, v22
	v_cndmask_b32_e32 v22, v53, v55, vcc
	v_cndmask_b32_e32 v51, v51, v54, vcc
	v_lshlrev_b32_e32 v42, 24, v42
	v_bfrev_b32_e32 v53, 60
	v_lshlrev_b32_e32 v51, 20, v51
	v_and_b32_e32 v42, 0x80000000, v42
	v_lshl_add_u32 v22, v22, 23, v53
	v_or3_b32 v51, v42, v22, v51
.LBB558_323:
	s_or_b64 exec, exec, s[12:13]
.LBB558_324:
	s_or_b64 exec, exec, s[10:11]
.LBB558_325:
	s_or_b64 exec, exec, s[2:3]
	v_cmp_ne_u16_sdwa s[10:11], v23, v45 src0_sel:BYTE_0 src1_sel:DWORD
	s_and_saveexec_b64 s[2:3], s[10:11]
	s_cbranch_execz .LBB558_331
; %bb.326:
	s_movk_i32 s10, 0x80
	v_cmp_ne_u16_sdwa s[12:13], v23, s10 src0_sel:BYTE_0 src1_sel:DWORD
	v_bfrev_b32_e32 v45, 1
	s_and_saveexec_b64 s[10:11], s[12:13]
	s_cbranch_execz .LBB558_330
; %bb.327:
	s_movk_i32 s12, 0x7f
	v_and_b32_e32 v22, 0x7f, v23
	v_cmp_ne_u32_e32 vcc, s12, v22
	v_mov_b32_e32 v45, 0x7f800001
	s_and_saveexec_b64 s[12:13], vcc
	s_cbranch_execz .LBB558_329
; %bb.328:
	v_and_b32_e32 v45, 7, v23
	v_ffbh_u32_e32 v54, v45
	v_min_u32_e32 v56, 32, v54
	v_mov_b32_e32 v42, v23
	v_subrev_u32_e32 v54, 28, v56
	v_lshlrev_b64 v[54:55], v54, v[42:43]
	v_lshrrev_b32_e32 v53, 3, v22
	v_sub_u32_e32 v42, 29, v56
	v_and_b32_e32 v54, 7, v54
	v_cmp_gt_u32_e32 vcc, 8, v22
	v_cndmask_b32_e32 v22, v53, v42, vcc
	v_cndmask_b32_e32 v42, v45, v54, vcc
	v_lshlrev_b32_e32 v45, 24, v23
	v_bfrev_b32_e32 v53, 60
	v_lshlrev_b32_e32 v42, 20, v42
	v_and_b32_e32 v45, 0x80000000, v45
	v_lshl_add_u32 v22, v22, 23, v53
	v_or3_b32 v45, v45, v22, v42
.LBB558_329:
	s_or_b64 exec, exec, s[12:13]
.LBB558_330:
	s_or_b64 exec, exec, s[10:11]
.LBB558_331:
	s_or_b64 exec, exec, s[2:3]
	v_lshrrev_b16_e32 v22, 8, v23
	v_cmp_ne_u16_e32 vcc, 0, v22
	v_mov_b32_e32 v53, 0
	v_mov_b32_e32 v54, 0
	s_and_saveexec_b64 s[2:3], vcc
	s_cbranch_execz .LBB558_337
; %bb.332:
	s_movk_i32 s10, 0x80
	v_cmp_ne_u16_e32 vcc, s10, v22
	v_bfrev_b32_e32 v54, 1
	s_and_saveexec_b64 s[10:11], vcc
	s_cbranch_execz .LBB558_336
; %bb.333:
	s_movk_i32 s12, 0x7f
	v_and_b32_e32 v42, 0x7f, v22
	v_cmp_ne_u32_e32 vcc, s12, v42
	v_mov_b32_e32 v54, 0x7f800001
	s_and_saveexec_b64 s[12:13], vcc
	s_cbranch_execz .LBB558_335
; %bb.334:
	v_and_b32_e32 v56, 7, v22
	v_ffbh_u32_e32 v54, v56
	v_min_u32_e32 v58, 32, v54
	v_subrev_u32_e32 v54, 28, v58
	v_lshlrev_b64 v[54:55], v54, v[22:23]
	v_lshrrev_b32_e32 v57, 3, v42
	v_sub_u32_e32 v22, 29, v58
	v_and_b32_e32 v54, 7, v54
	v_cmp_gt_u32_e32 vcc, 8, v42
	v_cndmask_b32_e32 v22, v57, v22, vcc
	v_cndmask_b32_e32 v42, v56, v54, vcc
	v_lshlrev_b32_e32 v54, 16, v23
	v_bfrev_b32_e32 v55, 60
	v_lshlrev_b32_e32 v42, 20, v42
	v_and_b32_e32 v54, 0x80000000, v54
	v_lshl_add_u32 v22, v22, 23, v55
	v_or3_b32 v54, v54, v22, v42
.LBB558_335:
	s_or_b64 exec, exec, s[12:13]
.LBB558_336:
	s_or_b64 exec, exec, s[10:11]
.LBB558_337:
	s_or_b64 exec, exec, s[2:3]
	s_movk_i32 s2, 0xff
	v_and_b32_sdwa v42, v23, s2 dst_sel:DWORD dst_unused:UNUSED_PAD src0_sel:WORD_1 src1_sel:DWORD
	v_lshrrev_b32_e32 v22, 16, v23
	v_cmp_ne_u16_e32 vcc, 0, v42
	s_and_saveexec_b64 s[2:3], vcc
	s_cbranch_execz .LBB558_343
; %bb.338:
	s_movk_i32 s10, 0x80
	v_cmp_ne_u16_e32 vcc, s10, v42
	v_bfrev_b32_e32 v53, 1
	s_and_saveexec_b64 s[10:11], vcc
	s_cbranch_execz .LBB558_342
; %bb.339:
	v_bfe_u32 v42, v23, 16, 7
	s_movk_i32 s12, 0x7f
	v_cmp_ne_u32_e32 vcc, s12, v42
	v_mov_b32_e32 v53, 0x7f800001
	s_and_saveexec_b64 s[12:13], vcc
	s_cbranch_execz .LBB558_341
; %bb.340:
	v_and_b32_e32 v53, 7, v22
	v_ffbh_u32_e32 v56, v53
	v_min_u32_e32 v58, 32, v56
	v_subrev_u32_e32 v56, 28, v58
	v_lshlrev_b64 v[56:57], v56, v[22:23]
	v_and_b32_e32 v56, 7, v56
	v_cmp_gt_u32_e32 vcc, 8, v42
	v_lshrrev_b32_e32 v55, 3, v42
	v_sub_u32_e32 v22, 29, v58
	v_cndmask_b32_e32 v42, v53, v56, vcc
	v_mov_b32_e32 v53, 24
	v_cndmask_b32_e32 v22, v55, v22, vcc
	v_lshlrev_b32_sdwa v53, v53, v23 dst_sel:DWORD dst_unused:UNUSED_PAD src0_sel:DWORD src1_sel:WORD_1
	v_bfrev_b32_e32 v55, 60
	v_lshlrev_b32_e32 v42, 20, v42
	v_and_b32_e32 v53, 0x80000000, v53
	v_lshl_add_u32 v22, v22, 23, v55
	v_or3_b32 v53, v53, v22, v42
.LBB558_341:
	s_or_b64 exec, exec, s[12:13]
.LBB558_342:
	s_or_b64 exec, exec, s[10:11]
.LBB558_343:
	s_or_b64 exec, exec, s[2:3]
	s_mov_b32 s2, 0xffffff
	v_cmp_lt_u32_e32 vcc, s2, v23
	v_mov_b32_e32 v42, 0
	v_mov_b32_e32 v55, 0
	s_and_saveexec_b64 s[2:3], vcc
	s_cbranch_execz .LBB558_349
; %bb.344:
	v_lshrrev_b32_e32 v22, 24, v23
	s_movk_i32 s10, 0x80
	v_cmp_ne_u32_e32 vcc, s10, v22
	v_bfrev_b32_e32 v55, 1
	s_and_saveexec_b64 s[10:11], vcc
	s_cbranch_execz .LBB558_348
; %bb.345:
	v_bfe_u32 v23, v23, 24, 7
	s_movk_i32 s12, 0x7f
	v_cmp_ne_u32_e32 vcc, s12, v23
	v_mov_b32_e32 v55, 0x7f800001
	s_and_saveexec_b64 s[12:13], vcc
	s_cbranch_execz .LBB558_347
; %bb.346:
	v_and_b32_e32 v55, 7, v22
	v_ffbh_u32_e32 v56, v55
	v_min_u32_e32 v59, 32, v56
	v_subrev_u32_e32 v56, 28, v59
	v_lshlrev_b64 v[56:57], v56, v[22:23]
	v_lshrrev_b32_e32 v58, 3, v23
	v_sub_u32_e32 v57, 29, v59
	v_and_b32_e32 v56, 7, v56
	v_cmp_gt_u32_e32 vcc, 8, v23
	v_cndmask_b32_e32 v23, v58, v57, vcc
	v_cndmask_b32_e32 v55, v55, v56, vcc
	v_lshlrev_b32_e32 v22, 24, v22
	v_bfrev_b32_e32 v56, 60
	v_lshlrev_b32_e32 v55, 20, v55
	v_and_b32_e32 v22, 0x80000000, v22
	v_lshl_add_u32 v23, v23, 23, v56
	v_or3_b32 v55, v22, v23, v55
.LBB558_347:
	s_or_b64 exec, exec, s[12:13]
.LBB558_348:
	s_or_b64 exec, exec, s[10:11]
.LBB558_349:
	s_or_b64 exec, exec, s[2:3]
	v_cvt_pkrtz_f16_f32 v22, v52, v44
	v_cvt_pkrtz_f16_f32 v23, v43, v51
	v_cmp_ne_u16_sdwa s[10:11], v24, v42 src0_sel:BYTE_0 src1_sel:DWORD
	s_nop 0
	v_mfma_f32_16x16x16f16 v[56:59], v[22:23], v[26:27], 0
	v_cvt_pkrtz_f16_f32 v22, v45, v54
	v_cvt_pkrtz_f16_f32 v23, v53, v55
	s_nop 1
	v_mfma_f32_16x16x16f16 v[26:29], v[22:23], v[28:29], v[56:59]
	s_and_saveexec_b64 s[2:3], s[10:11]
	s_cbranch_execz .LBB558_355
; %bb.350:
	s_movk_i32 s10, 0x80
	v_cmp_ne_u16_sdwa s[12:13], v24, s10 src0_sel:BYTE_0 src1_sel:DWORD
	v_bfrev_b32_e32 v42, 1
	s_and_saveexec_b64 s[10:11], s[12:13]
	s_cbranch_execz .LBB558_354
; %bb.351:
	s_movk_i32 s12, 0x7f
	v_and_b32_e32 v22, 0x7f, v24
	v_cmp_ne_u32_e32 vcc, s12, v22
	v_mov_b32_e32 v42, 0x7f800001
	s_and_saveexec_b64 s[12:13], vcc
	s_cbranch_execz .LBB558_353
; %bb.352:
	v_and_b32_e32 v23, 7, v24
	v_ffbh_u32_e32 v42, v23
	v_min_u32_e32 v45, 32, v42
	v_subrev_u32_e32 v42, 28, v45
	v_lshlrev_b64 v[42:43], v42, v[24:25]
	v_lshrrev_b32_e32 v44, 3, v22
	v_sub_u32_e32 v43, 29, v45
	v_and_b32_e32 v42, 7, v42
	v_cmp_gt_u32_e32 vcc, 8, v22
	v_cndmask_b32_e32 v22, v44, v43, vcc
	v_cndmask_b32_e32 v23, v23, v42, vcc
	v_lshlrev_b32_e32 v42, 24, v24
	v_bfrev_b32_e32 v43, 60
	v_lshlrev_b32_e32 v23, 20, v23
	v_and_b32_e32 v42, 0x80000000, v42
	v_lshl_add_u32 v22, v22, 23, v43
	v_or3_b32 v42, v42, v22, v23
.LBB558_353:
	s_or_b64 exec, exec, s[12:13]
.LBB558_354:
	s_or_b64 exec, exec, s[10:11]
.LBB558_355:
	s_or_b64 exec, exec, s[2:3]
	v_lshrrev_b16_e32 v22, 8, v24
	v_cmp_ne_u16_e32 vcc, 0, v22
	v_mov_b32_e32 v23, 0
	v_mov_b32_e32 v43, 0
	s_and_saveexec_b64 s[2:3], vcc
	s_cbranch_execz .LBB558_361
; %bb.356:
	s_movk_i32 s10, 0x80
	v_cmp_ne_u16_e32 vcc, s10, v22
	v_bfrev_b32_e32 v43, 1
	s_and_saveexec_b64 s[10:11], vcc
	s_cbranch_execz .LBB558_360
; %bb.357:
	s_movk_i32 s12, 0x7f
	v_and_b32_e32 v44, 0x7f, v22
	v_cmp_ne_u32_e32 vcc, s12, v44
	v_mov_b32_e32 v43, 0x7f800001
	s_and_saveexec_b64 s[12:13], vcc
	s_cbranch_execz .LBB558_359
; %bb.358:
	v_and_b32_e32 v43, 7, v22
	v_ffbh_u32_e32 v51, v43
	v_min_u32_e32 v51, 32, v51
	v_subrev_u32_e32 v52, 28, v51
	v_lshlrev_b64 v[52:53], v52, v[22:23]
	v_lshrrev_b32_e32 v45, 3, v44
	v_sub_u32_e32 v22, 29, v51
	v_and_b32_e32 v51, 7, v52
	v_cmp_gt_u32_e32 vcc, 8, v44
	v_cndmask_b32_e32 v22, v45, v22, vcc
	v_cndmask_b32_e32 v43, v43, v51, vcc
	v_lshlrev_b32_e32 v44, 16, v24
	v_bfrev_b32_e32 v45, 60
	v_lshlrev_b32_e32 v43, 20, v43
	v_and_b32_e32 v44, 0x80000000, v44
	v_lshl_add_u32 v22, v22, 23, v45
	v_or3_b32 v43, v44, v22, v43
.LBB558_359:
	s_or_b64 exec, exec, s[12:13]
.LBB558_360:
	s_or_b64 exec, exec, s[10:11]
.LBB558_361:
	s_or_b64 exec, exec, s[2:3]
	s_movk_i32 s2, 0xff
	v_and_b32_sdwa v44, v24, s2 dst_sel:DWORD dst_unused:UNUSED_PAD src0_sel:WORD_1 src1_sel:DWORD
	v_lshrrev_b32_e32 v22, 16, v24
	v_cmp_ne_u16_e32 vcc, 0, v44
	s_and_saveexec_b64 s[2:3], vcc
	s_cbranch_execz .LBB558_367
; %bb.362:
	s_movk_i32 s10, 0x80
	v_cmp_ne_u16_e32 vcc, s10, v44
	v_bfrev_b32_e32 v23, 1
	s_and_saveexec_b64 s[10:11], vcc
	s_cbranch_execz .LBB558_366
; %bb.363:
	v_bfe_u32 v44, v24, 16, 7
	s_movk_i32 s12, 0x7f
	v_cmp_ne_u32_e32 vcc, s12, v44
	v_mov_b32_e32 v23, 0x7f800001
	s_and_saveexec_b64 s[12:13], vcc
	s_cbranch_execz .LBB558_365
; %bb.364:
	v_and_b32_e32 v45, 7, v22
	v_ffbh_u32_e32 v23, v45
	v_min_u32_e32 v52, 32, v23
	v_subrev_u32_e32 v23, 28, v52
	v_lshlrev_b64 v[22:23], v23, v[22:23]
	v_lshrrev_b32_e32 v51, 3, v44
	v_sub_u32_e32 v23, 29, v52
	v_and_b32_e32 v22, 7, v22
	v_cmp_gt_u32_e32 vcc, 8, v44
	v_mov_b32_e32 v44, 24
	v_cndmask_b32_e32 v23, v51, v23, vcc
	v_cndmask_b32_e32 v22, v45, v22, vcc
	v_lshlrev_b32_sdwa v44, v44, v24 dst_sel:DWORD dst_unused:UNUSED_PAD src0_sel:DWORD src1_sel:WORD_1
	v_bfrev_b32_e32 v45, 60
	v_lshlrev_b32_e32 v22, 20, v22
	v_and_b32_e32 v44, 0x80000000, v44
	v_lshl_add_u32 v23, v23, 23, v45
	v_or3_b32 v23, v44, v23, v22
.LBB558_365:
	s_or_b64 exec, exec, s[12:13]
.LBB558_366:
	s_or_b64 exec, exec, s[10:11]
.LBB558_367:
	s_or_b64 exec, exec, s[2:3]
	s_mov_b32 s2, 0xffffff
	v_cmp_lt_u32_e32 vcc, s2, v24
	v_mov_b32_e32 v45, 0
	v_mov_b32_e32 v51, 0
	s_and_saveexec_b64 s[2:3], vcc
	s_cbranch_execz .LBB558_373
; %bb.368:
	v_lshrrev_b32_e32 v22, 24, v24
	s_movk_i32 s10, 0x80
	v_cmp_ne_u32_e32 vcc, s10, v22
	v_bfrev_b32_e32 v51, 1
	s_and_saveexec_b64 s[10:11], vcc
	s_cbranch_execz .LBB558_372
; %bb.369:
	v_bfe_u32 v24, v24, 24, 7
	s_movk_i32 s12, 0x7f
	v_cmp_ne_u32_e32 vcc, s12, v24
	v_mov_b32_e32 v51, 0x7f800001
	s_and_saveexec_b64 s[12:13], vcc
	s_cbranch_execz .LBB558_371
; %bb.370:
	v_and_b32_e32 v44, 7, v22
	v_ffbh_u32_e32 v52, v44
	v_min_u32_e32 v54, 32, v52
	v_subrev_u32_e32 v52, 28, v54
	v_lshlrev_b64 v[52:53], v52, v[22:23]
	v_lshrrev_b32_e32 v51, 3, v24
	v_sub_u32_e32 v53, 29, v54
	v_and_b32_e32 v52, 7, v52
	v_cmp_gt_u32_e32 vcc, 8, v24
	v_cndmask_b32_e32 v24, v51, v53, vcc
	v_cndmask_b32_e32 v44, v44, v52, vcc
	v_lshlrev_b32_e32 v22, 24, v22
	v_bfrev_b32_e32 v51, 60
	v_lshlrev_b32_e32 v44, 20, v44
	v_and_b32_e32 v22, 0x80000000, v22
	v_lshl_add_u32 v24, v24, 23, v51
	v_or3_b32 v51, v22, v24, v44
.LBB558_371:
	s_or_b64 exec, exec, s[12:13]
.LBB558_372:
	s_or_b64 exec, exec, s[10:11]
.LBB558_373:
	s_or_b64 exec, exec, s[2:3]
	v_cmp_ne_u16_sdwa s[10:11], v25, v45 src0_sel:BYTE_0 src1_sel:DWORD
	s_and_saveexec_b64 s[2:3], s[10:11]
	s_cbranch_execz .LBB558_379
; %bb.374:
	s_movk_i32 s10, 0x80
	v_cmp_ne_u16_sdwa s[12:13], v25, s10 src0_sel:BYTE_0 src1_sel:DWORD
	v_bfrev_b32_e32 v45, 1
	s_and_saveexec_b64 s[10:11], s[12:13]
	s_cbranch_execz .LBB558_378
; %bb.375:
	s_movk_i32 s12, 0x7f
	v_and_b32_e32 v22, 0x7f, v25
	v_cmp_ne_u32_e32 vcc, s12, v22
	v_mov_b32_e32 v45, 0x7f800001
	s_and_saveexec_b64 s[12:13], vcc
	s_cbranch_execz .LBB558_377
; %bb.376:
	v_and_b32_e32 v52, 7, v25
	v_ffbh_u32_e32 v44, v52
	v_min_u32_e32 v54, 32, v44
	v_mov_b32_e32 v24, v25
	v_subrev_u32_e32 v44, 28, v54
	v_lshlrev_b64 v[44:45], v44, v[24:25]
	v_lshrrev_b32_e32 v53, 3, v22
	v_sub_u32_e32 v24, 29, v54
	v_and_b32_e32 v44, 7, v44
	v_cmp_gt_u32_e32 vcc, 8, v22
	v_cndmask_b32_e32 v22, v53, v24, vcc
	v_cndmask_b32_e32 v24, v52, v44, vcc
	v_lshlrev_b32_e32 v44, 24, v25
	v_bfrev_b32_e32 v45, 60
	v_lshlrev_b32_e32 v24, 20, v24
	v_and_b32_e32 v44, 0x80000000, v44
	v_lshl_add_u32 v22, v22, 23, v45
	v_or3_b32 v45, v44, v22, v24
.LBB558_377:
	s_or_b64 exec, exec, s[12:13]
.LBB558_378:
	s_or_b64 exec, exec, s[10:11]
.LBB558_379:
	s_or_b64 exec, exec, s[2:3]
	v_lshrrev_b16_e32 v22, 8, v25
	v_cmp_ne_u16_e32 vcc, 0, v22
	v_mov_b32_e32 v52, 0
	v_mov_b32_e32 v53, 0
	s_and_saveexec_b64 s[2:3], vcc
	s_cbranch_execz .LBB558_385
; %bb.380:
	s_movk_i32 s10, 0x80
	v_cmp_ne_u16_e32 vcc, s10, v22
	v_bfrev_b32_e32 v53, 1
	s_and_saveexec_b64 s[10:11], vcc
	s_cbranch_execz .LBB558_384
; %bb.381:
	s_movk_i32 s12, 0x7f
	v_and_b32_e32 v24, 0x7f, v22
	v_cmp_ne_u32_e32 vcc, s12, v24
	v_mov_b32_e32 v53, 0x7f800001
	s_and_saveexec_b64 s[12:13], vcc
	s_cbranch_execz .LBB558_383
; %bb.382:
	v_and_b32_e32 v44, 7, v22
	v_ffbh_u32_e32 v54, v44
	v_min_u32_e32 v56, 32, v54
	v_subrev_u32_e32 v54, 28, v56
	v_lshlrev_b64 v[54:55], v54, v[22:23]
	v_lshrrev_b32_e32 v53, 3, v24
	v_sub_u32_e32 v22, 29, v56
	v_and_b32_e32 v54, 7, v54
	v_cmp_gt_u32_e32 vcc, 8, v24
	v_cndmask_b32_e32 v22, v53, v22, vcc
	v_cndmask_b32_e32 v24, v44, v54, vcc
	v_lshlrev_b32_e32 v44, 16, v25
	v_bfrev_b32_e32 v53, 60
	v_lshlrev_b32_e32 v24, 20, v24
	v_and_b32_e32 v44, 0x80000000, v44
	v_lshl_add_u32 v22, v22, 23, v53
	v_or3_b32 v53, v44, v22, v24
.LBB558_383:
	s_or_b64 exec, exec, s[12:13]
.LBB558_384:
	s_or_b64 exec, exec, s[10:11]
.LBB558_385:
	s_or_b64 exec, exec, s[2:3]
	s_movk_i32 s2, 0xff
	v_and_b32_sdwa v24, v25, s2 dst_sel:DWORD dst_unused:UNUSED_PAD src0_sel:WORD_1 src1_sel:DWORD
	v_lshrrev_b32_e32 v22, 16, v25
	v_cmp_ne_u16_e32 vcc, 0, v24
	s_and_saveexec_b64 s[2:3], vcc
	s_cbranch_execz .LBB558_391
; %bb.386:
	s_movk_i32 s10, 0x80
	v_cmp_ne_u16_e32 vcc, s10, v24
	v_bfrev_b32_e32 v52, 1
	s_and_saveexec_b64 s[10:11], vcc
	s_cbranch_execz .LBB558_390
; %bb.387:
	v_bfe_u32 v24, v25, 16, 7
	s_movk_i32 s12, 0x7f
	v_cmp_ne_u32_e32 vcc, s12, v24
	v_mov_b32_e32 v52, 0x7f800001
	s_and_saveexec_b64 s[12:13], vcc
	s_cbranch_execz .LBB558_389
; %bb.388:
	v_and_b32_e32 v44, 7, v22
	v_ffbh_u32_e32 v54, v44
	v_min_u32_e32 v56, 32, v54
	v_subrev_u32_e32 v54, 28, v56
	v_lshlrev_b64 v[54:55], v54, v[22:23]
	v_and_b32_e32 v54, 7, v54
	v_cmp_gt_u32_e32 vcc, 8, v24
	v_lshrrev_b32_e32 v52, 3, v24
	v_sub_u32_e32 v22, 29, v56
	v_cndmask_b32_e32 v24, v44, v54, vcc
	v_mov_b32_e32 v44, 24
	v_cndmask_b32_e32 v22, v52, v22, vcc
	v_lshlrev_b32_sdwa v44, v44, v25 dst_sel:DWORD dst_unused:UNUSED_PAD src0_sel:DWORD src1_sel:WORD_1
	v_bfrev_b32_e32 v52, 60
	v_lshlrev_b32_e32 v24, 20, v24
	v_and_b32_e32 v44, 0x80000000, v44
	v_lshl_add_u32 v22, v22, 23, v52
	v_or3_b32 v52, v44, v22, v24
.LBB558_389:
	s_or_b64 exec, exec, s[12:13]
.LBB558_390:
	s_or_b64 exec, exec, s[10:11]
.LBB558_391:
	s_or_b64 exec, exec, s[2:3]
	s_mov_b32 s2, 0xffffff
	v_and_b32_e32 v44, 63, v0
	v_cmp_lt_u32_e32 vcc, s2, v25
	v_mov_b32_e32 v54, 0
	s_and_saveexec_b64 s[2:3], vcc
	s_cbranch_execz .LBB558_397
; %bb.392:
	v_lshrrev_b32_e32 v22, 24, v25
	s_movk_i32 s10, 0x80
	v_cmp_ne_u32_e32 vcc, s10, v22
	v_bfrev_b32_e32 v54, 1
	s_and_saveexec_b64 s[10:11], vcc
	s_cbranch_execz .LBB558_396
; %bb.393:
	v_bfe_u32 v24, v25, 24, 7
	s_movk_i32 s12, 0x7f
	v_cmp_ne_u32_e32 vcc, s12, v24
	v_mov_b32_e32 v54, 0x7f800001
	s_and_saveexec_b64 s[12:13], vcc
	s_cbranch_execz .LBB558_395
; %bb.394:
	v_and_b32_e32 v25, 7, v22
	v_ffbh_u32_e32 v54, v25
	v_min_u32_e32 v57, 32, v54
	v_subrev_u32_e32 v54, 28, v57
	v_lshlrev_b64 v[54:55], v54, v[22:23]
	v_lshrrev_b32_e32 v56, 3, v24
	v_sub_u32_e32 v55, 29, v57
	v_and_b32_e32 v54, 7, v54
	v_cmp_gt_u32_e32 vcc, 8, v24
	v_cndmask_b32_e32 v24, v56, v55, vcc
	v_cndmask_b32_e32 v25, v25, v54, vcc
	v_lshlrev_b32_e32 v22, 24, v22
	v_bfrev_b32_e32 v54, 60
	v_lshlrev_b32_e32 v25, 20, v25
	v_and_b32_e32 v22, 0x80000000, v22
	v_lshl_add_u32 v24, v24, 23, v54
	v_or3_b32 v54, v22, v24, v25
.LBB558_395:
	s_or_b64 exec, exec, s[12:13]
.LBB558_396:
	s_or_b64 exec, exec, s[10:11]
.LBB558_397:
	s_or_b64 exec, exec, s[2:3]
	v_cvt_pkrtz_f16_f32 v42, v42, v43
	v_cvt_pkrtz_f16_f32 v43, v23, v51
	s_load_dword s2, s[4:5], 0x1c
	s_waitcnt lgkmcnt(0)
	s_barrier
	v_mfma_f32_16x16x16f16 v[26:29], v[42:43], v[18:19], v[26:29]
	v_cvt_pkrtz_f16_f32 v18, v45, v53
	v_cvt_pkrtz_f16_f32 v19, v52, v54
	v_mov_b32_e32 v22, s2
	v_mul_f32_e32 v56, s9, v22
	v_pk_mul_f32 v[22:23], v[56:57], v[32:33] op_sel_hi:[0,1]
	v_pk_mul_f32 v[32:33], v[56:57], v[38:39] op_sel_hi:[0,1]
	v_and_b32_e32 v38, 0xc0, v0
	v_mfma_f32_16x16x16f16 v[26:29], v[18:19], v[20:21], v[26:29]
	v_add_u32_e32 v38, s18, v38
	v_lshl_or_b32 v38, v46, 2, v38
	v_or_b32_e32 v39, 1, v38
	v_pk_mul_f32 v[24:25], v[56:57], v[30:31] op_sel_hi:[0,1]
	v_pk_mul_f32 v[30:31], v[56:57], v[40:41] op_sel_hi:[0,1]
	v_subrev_u32_e32 v40, s27, v39
	v_pk_mul_f32 v[34:35], v[56:57], v[34:35] op_sel_hi:[0,1]
	s_nop 3
	v_pk_mul_f32 v[20:21], v[56:57], v[26:27] op_sel_hi:[0,1]
	v_add_u32_e32 v27, 1, v40
	v_pk_mul_f32 v[18:19], v[56:57], v[28:29] op_sel_hi:[0,1]
	v_cvt_f32_i32_e32 v27, v27
	v_add_u32_e32 v29, 3, v40
	v_cvt_f32_i32_e32 v29, v29
	v_cvt_f32_i32_e32 v26, v40
	v_pk_mul_f32 v[36:37], v[56:57], v[36:37] op_sel_hi:[0,1]
	v_fmac_f32_e32 v35, v50, v27
	v_add_u32_e32 v27, 16, v40
	v_fmac_f32_e32 v37, v50, v29
	v_cvt_f32_i32_e32 v27, v27
	v_add_u32_e32 v29, 17, v40
	v_fma_f32 v26, v50, v26, v34
	v_cvt_f32_i32_e32 v29, v29
	v_add_u32_e32 v34, 18, v40
	v_cvt_f32_i32_e32 v34, v34
	v_fma_f32 v41, v50, v27, v32
	v_add_u32_e32 v27, 32, v40
	v_fmac_f32_e32 v33, v50, v29
	v_cvt_f32_i32_e32 v27, v27
	v_add_u32_e32 v29, 33, v40
	v_add_u32_e32 v32, 34, v40
	v_fma_f32 v30, v50, v34, v30
	v_cvt_f32_i32_e32 v29, v29
	v_cvt_f32_i32_e32 v32, v32
	v_add_u32_e32 v34, 35, v40
	v_cvt_f32_i32_e32 v34, v34
	v_fma_f32 v24, v50, v27, v24
	v_add_u32_e32 v27, 48, v40
	v_fmac_f32_e32 v25, v50, v29
	v_fma_f32 v22, v50, v32, v22
	v_cvt_f32_i32_e32 v27, v27
	v_add_u32_e32 v29, 49, v40
	v_add_u32_e32 v32, 50, v40
	v_fmac_f32_e32 v23, v50, v34
	v_cvt_f32_i32_e32 v29, v29
	v_cvt_f32_i32_e32 v32, v32
	v_add_u32_e32 v34, 51, v40
	v_add_u32_e32 v28, 2, v40
	v_cvt_f32_i32_e32 v34, v34
	v_cvt_f32_i32_e32 v28, v28
	v_fma_f32 v20, v50, v27, v20
	v_mov_b32_e32 v27, 0xff7fffff
	v_cmp_gt_i32_e64 s[28:29], s27, v38
	v_cmp_gt_i32_e64 s[30:31], s27, v39
	v_fmac_f32_e32 v21, v50, v29
	v_fma_f32 v18, v50, v32, v18
	s_mov_b32 s9, 0xff7fffff
	v_cndmask_b32_e64 v29, v27, v26, s[28:29]
	v_cndmask_b32_e64 v32, v27, v35, s[30:31]
	v_fmac_f32_e32 v19, v50, v34
	v_max3_f32 v29, v29, s9, v32
	v_or_b32_e32 v32, 2, v38
	v_or_b32_e32 v34, 3, v38
	v_fma_f32 v28, v50, v28, v36
	v_cmp_gt_i32_e64 s[34:35], s27, v32
	v_cmp_gt_i32_e64 s[36:37], s27, v34
	v_add_u32_e32 v36, 19, v40
	v_cndmask_b32_e64 v32, v27, v28, s[34:35]
	v_cndmask_b32_e64 v34, v27, v37, s[36:37]
	v_cvt_f32_i32_e32 v36, v36
	v_max3_f32 v29, v29, v32, v34
	v_or_b32_e32 v32, 16, v38
	v_or_b32_e32 v34, 17, v38
	v_cmp_gt_i32_e64 s[38:39], s27, v32
	v_cmp_gt_i32_e64 s[40:41], s27, v34
	v_cndmask_b32_e64 v32, v27, v41, s[38:39]
	v_cndmask_b32_e64 v34, v27, v33, s[40:41]
	v_max3_f32 v29, v29, v32, v34
	v_or_b32_e32 v32, 18, v38
	v_or_b32_e32 v34, 19, v38
	v_fmac_f32_e32 v31, v50, v36
	v_cmp_gt_i32_e64 s[22:23], s27, v32
	v_cmp_gt_i32_e64 s[24:25], s27, v34
	v_cndmask_b32_e64 v32, v27, v30, s[22:23]
	v_cndmask_b32_e64 v34, v27, v31, s[24:25]
	v_max3_f32 v29, v29, v32, v34
	v_or_b32_e32 v32, 32, v38
	v_or_b32_e32 v34, 33, v38
	v_cmp_gt_i32_e64 s[18:19], s27, v32
	v_cmp_gt_i32_e64 s[20:21], s27, v34
	v_cndmask_b32_e64 v32, v27, v24, s[18:19]
	v_cndmask_b32_e64 v34, v27, v25, s[20:21]
	v_max3_f32 v29, v29, v32, v34
	v_or_b32_e32 v32, 34, v38
	v_or_b32_e32 v34, 35, v38
	;; [unrolled: 7-line block ×4, first 2 shown]
	v_cmp_gt_i32_e32 vcc, s27, v32
	v_cmp_gt_i32_e64 s[2:3], s27, v34
	v_cndmask_b32_e32 v32, v27, v18, vcc
	v_cndmask_b32_e64 v27, v27, v19, s[2:3]
	v_max3_f32 v27, v29, v32, v27
	v_mbcnt_lo_u32_b32 v29, -1, 0
	v_mbcnt_hi_u32_b32 v29, -1, v29
	v_and_b32_e32 v32, 64, v29
	v_add_u32_e32 v32, 64, v32
	v_xor_b32_e32 v34, 32, v29
	v_cmp_lt_i32_e64 s[42:43], v34, v32
	v_cndmask_b32_e64 v34, v29, v34, s[42:43]
	v_lshlrev_b32_e32 v36, 2, v34
	ds_bpermute_b32 v34, v36, v27
	s_waitcnt lgkmcnt(0)
	v_max_f32_e32 v34, v34, v34
	v_max_f32_e32 v27, v27, v34
	v_xor_b32_e32 v34, 16, v29
	v_cmp_lt_i32_e64 s[42:43], v34, v32
	v_cndmask_b32_e64 v29, v29, v34, s[42:43]
	v_lshlrev_b32_e32 v38, 2, v29
	ds_bpermute_b32 v29, v38, v27
	s_waitcnt lgkmcnt(0)
	v_max_f32_e32 v29, v29, v29
	v_max_f32_e32 v32, v27, v29
	v_sub_f32_e32 v26, v26, v32
	v_mul_f32_e32 v26, 0x3fb8aa3b, v26
	v_sub_f32_e32 v27, v35, v32
	v_exp_f32_e32 v26, v26
	v_mul_f32_e32 v27, 0x3fb8aa3b, v27
	v_sub_f32_e32 v28, v28, v32
	v_exp_f32_e32 v27, v27
	v_mul_f32_e32 v28, 0x3fb8aa3b, v28
	v_exp_f32_e32 v28, v28
	v_cndmask_b32_e64 v26, 0, v26, s[28:29]
	v_sub_f32_e32 v34, v37, v32
	v_add_f32_e32 v29, 0, v26
	v_cndmask_b32_e64 v27, 0, v27, s[30:31]
	v_mul_f32_e32 v34, 0x3fb8aa3b, v34
	v_exp_f32_e32 v35, v34
	v_add_f32_e32 v29, v29, v27
	v_cndmask_b32_e64 v34, 0, v28, s[34:35]
	v_add_f32_e32 v28, v29, v34
	v_sub_f32_e32 v29, v41, v32
	v_mul_f32_e32 v29, 0x3fb8aa3b, v29
	v_sub_f32_e32 v33, v33, v32
	v_exp_f32_e32 v29, v29
	v_mul_f32_e32 v33, 0x3fb8aa3b, v33
	v_sub_f32_e32 v30, v30, v32
	v_exp_f32_e32 v33, v33
	;; [unrolled: 3-line block ×3, first 2 shown]
	v_mul_f32_e32 v31, 0x3fb8aa3b, v31
	v_sub_f32_e32 v24, v24, v32
	v_cndmask_b32_e64 v35, 0, v35, s[36:37]
	v_exp_f32_e32 v31, v31
	v_mul_f32_e32 v24, 0x3fb8aa3b, v24
	v_sub_f32_e32 v25, v25, v32
	v_add_f32_e32 v37, v28, v35
	v_cndmask_b32_e64 v28, 0, v29, s[38:39]
	v_exp_f32_e32 v24, v24
	v_mul_f32_e32 v25, 0x3fb8aa3b, v25
	v_sub_f32_e32 v22, v22, v32
	v_add_f32_e32 v37, v37, v28
	;; [unrolled: 5-line block ×7, first 2 shown]
	v_cndmask_b32_e64 v22, 0, v22, s[14:15]
	v_exp_f32_e32 v18, v18
	v_mul_f32_e32 v19, 0x3fb8aa3b, v19
	v_add_f32_e32 v33, v33, v22
	v_cndmask_b32_e64 v23, 0, v23, s[16:17]
	v_exp_f32_e32 v19, v19
	v_add_f32_e32 v33, v33, v23
	v_cndmask_b32_e64 v20, 0, v20, s[10:11]
	v_add_f32_e32 v33, v33, v20
	v_cndmask_b32_e64 v21, 0, v21, s[12:13]
	v_add_f32_e32 v33, v33, v21
	v_cndmask_b32_e32 v18, 0, v18, vcc
	v_add_f32_e32 v33, v33, v18
	v_cndmask_b32_e64 v19, 0, v19, s[2:3]
	v_add_f32_e32 v33, v33, v19
	ds_bpermute_b32 v36, v36, v33
	v_cmp_gt_u32_e64 s[2:3], 16, v44
	s_waitcnt lgkmcnt(0)
	v_add_f32_e32 v33, v33, v36
	ds_bpermute_b32 v37, v38, v33
	v_lshlrev_b32_e32 v36, 2, v49
	s_and_saveexec_b64 s[10:11], s[2:3]
	s_cbranch_execz .LBB558_399
; %bb.398:
	s_waitcnt lgkmcnt(0)
	v_add_f32_e32 v33, v33, v37
	v_lshl_or_b32 v37, v48, 6, v36
	ds_write2st64_b32 v37, v32, v33 offset1:1
.LBB558_399:
	s_or_b64 exec, exec, s[10:11]
	s_waitcnt lgkmcnt(0)
	s_barrier
	ds_read2_b32 v[38:39], v36 offset1:16
	ds_read2_b32 v[40:41], v36 offset0:32 offset1:48
	ds_read2_b32 v[42:43], v36 offset0:64 offset1:80
	s_waitcnt lgkmcnt(2)
	v_max3_f32 v32, v38, s9, v39
	s_waitcnt lgkmcnt(1)
	v_max3_f32 v33, v32, v40, v41
	v_sub_f32_e32 v32, v38, v33
	v_mul_f32_e32 v32, 0x3fb8aa3b, v32
	v_exp_f32_e32 v37, v32
	v_sub_f32_e32 v32, v39, v33
	v_mul_f32_e32 v32, 0x3fb8aa3b, v32
	v_exp_f32_e32 v44, v32
	;; [unrolled: 3-line block ×3, first 2 shown]
	ds_read2_b32 v[38:39], v36 offset0:96 offset1:112
	v_sub_f32_e32 v32, v41, v33
	v_mul_f32_e32 v32, 0x3fb8aa3b, v32
	v_exp_f32_e32 v41, v32
	s_waitcnt lgkmcnt(1)
	v_fma_f32 v36, v37, v42, 0
	v_fmac_f32_e32 v36, v44, v43
	s_waitcnt lgkmcnt(0)
	v_fmac_f32_e32 v36, v40, v38
	v_fmac_f32_e32 v36, v41, v39
	v_add_f32_e32 v38, 0x358637bd, v36
	v_div_scale_f32 v39, s[10:11], v38, v38, 1.0
	v_rcp_f32_e32 v42, v39
	s_barrier
	v_fma_f32 v43, -v39, v42, 1.0
	v_fmac_f32_e32 v42, v43, v42
	v_div_scale_f32 v43, vcc, 1.0, v38, 1.0
	v_mul_f32_e32 v45, v43, v42
	v_fma_f32 v50, -v39, v45, v43
	v_fmac_f32_e32 v45, v50, v42
	v_fma_f32 v39, -v39, v45, v43
	v_div_fmas_f32 v39, v39, v42, v45
	v_cmp_eq_u32_e32 vcc, 1, v48
	v_cndmask_b32_e32 v37, v37, v44, vcc
	v_cmp_eq_u32_e32 vcc, 2, v48
	v_cndmask_b32_e32 v37, v37, v40, vcc
	v_cmp_eq_u32_e32 vcc, 3, v48
	v_div_fixup_f32 v38, v39, v38, 1.0
	v_cndmask_b32_e32 v37, v37, v41, vcc
	v_mul_f32_e32 v38, v37, v38
	v_pk_mul_f32 v[34:35], v[38:39], v[34:35] op_sel_hi:[0,1]
	v_pk_mul_f32 v[26:27], v[38:39], v[26:27] op_sel_hi:[0,1]
	v_cvt_f16_f32_e32 v26, v26
	v_cvt_f16_f32_e32 v27, v27
	;; [unrolled: 1-line block ×4, first 2 shown]
	v_pk_mul_f32 v[30:31], v[38:39], v[30:31] op_sel_hi:[0,1]
	v_pk_mul_f32 v[28:29], v[38:39], v[28:29] op_sel_hi:[0,1]
	v_cvt_f16_f32_e32 v28, v28
	v_cvt_f16_f32_e32 v29, v29
	;; [unrolled: 1-line block ×4, first 2 shown]
	v_pack_b32_f16 v34, v26, v27
	v_pack_b32_f16 v35, v37, v35
	v_lshlrev_b32_e32 v26, 3, v46
	v_lshlrev_b32_e32 v27, 5, v49
	;; [unrolled: 1-line block ×3, first 2 shown]
	v_or3_b32 v26, v37, v27, v26
	v_pack_b32_f16 v28, v28, v29
	v_pack_b32_f16 v29, v30, v31
	v_pk_mul_f32 v[22:23], v[38:39], v[22:23] op_sel_hi:[0,1]
	v_pk_mul_f32 v[24:25], v[38:39], v[24:25] op_sel_hi:[0,1]
	;; [unrolled: 1-line block ×4, first 2 shown]
	ds_write2st64_b64 v26, v[34:35], v[28:29] offset1:1
	v_cvt_f16_f32_e32 v24, v24
	v_cvt_f16_f32_e32 v25, v25
	;; [unrolled: 1-line block ×8, first 2 shown]
	v_mov_b32_e32 v32, 0
	v_pack_b32_f16 v18, v24, v25
	v_pack_b32_f16 v19, v22, v23
	;; [unrolled: 1-line block ×4, first 2 shown]
	v_cmp_eq_u32_e32 vcc, 0, v0
	ds_write2st64_b64 v26, v[18:19], v[20:21] offset0:2 offset1:3
	s_and_saveexec_b64 s[10:11], vcc
	s_cbranch_execz .LBB558_401
; %bb.400:
	s_mul_i32 s7, s7, s49
	s_mul_hi_u32 s9, s6, s49
	s_add_i32 s9, s9, s7
	s_mul_i32 s7, s6, s49
	s_add_u32 s7, s7, s8
	s_addc_u32 s9, s9, 0
	s_load_dwordx4 s[12:15], s[4:5], 0x58
	s_mul_i32 s9, s9, s48
	s_mul_hi_u32 s16, s7, s48
	s_add_i32 s9, s16, s9
	s_mul_i32 s7, s7, s48
	s_add_u32 s16, s7, s26
	s_addc_u32 s17, s9, 0
	s_lshl_b64 s[16:17], s[16:17], 2
	s_waitcnt lgkmcnt(0)
	s_add_u32 s14, s14, s16
	s_addc_u32 s15, s15, s17
	s_add_u32 s12, s12, s16
	v_mov_b32_e32 v18, 0
	s_addc_u32 s13, s13, s17
	global_store_dword v18, v33, s[14:15]
	global_store_dword v18, v36, s[12:13]
.LBB558_401:
	s_or_b64 exec, exec, s[10:11]
	v_mov_b32_e32 v19, 0
	s_waitcnt vmcnt(3)
	v_cmp_ne_u16_sdwa s[12:13], v14, v19 src0_sel:BYTE_0 src1_sel:DWORD
	s_waitcnt lgkmcnt(0)
	s_barrier
	s_and_saveexec_b64 s[10:11], s[12:13]
	s_cbranch_execz .LBB558_407
; %bb.402:
	s_movk_i32 s7, 0x80
	v_cmp_ne_u16_sdwa s[14:15], v14, s7 src0_sel:BYTE_0 src1_sel:DWORD
	v_bfrev_b32_e32 v32, 1
	s_and_saveexec_b64 s[12:13], s[14:15]
	s_cbranch_execz .LBB558_406
; %bb.403:
	s_movk_i32 s7, 0x7f
	v_and_b32_e32 v18, 0x7f, v14
	v_cmp_ne_u32_e32 vcc, s7, v18
	v_mov_b32_e32 v32, 0x7f800001
	s_and_saveexec_b64 s[14:15], vcc
	s_cbranch_execz .LBB558_405
; %bb.404:
	v_and_b32_e32 v22, 7, v14
	v_ffbh_u32_e32 v20, v22
	v_min_u32_e32 v24, 32, v20
	v_subrev_u32_e32 v20, 28, v24
	v_lshlrev_b64 v[20:21], v20, v[14:15]
	v_lshrrev_b32_e32 v23, 3, v18
	v_sub_u32_e32 v21, 29, v24
	v_and_b32_e32 v20, 7, v20
	v_cmp_gt_u32_e32 vcc, 8, v18
	v_cndmask_b32_e32 v18, v23, v21, vcc
	v_cndmask_b32_e32 v20, v22, v20, vcc
	v_lshlrev_b32_e32 v21, 24, v14
	v_bfrev_b32_e32 v22, 60
	v_lshlrev_b32_e32 v20, 20, v20
	v_and_b32_e32 v21, 0x80000000, v21
	v_lshl_add_u32 v18, v18, 23, v22
	v_or3_b32 v32, v21, v18, v20
.LBB558_405:
	s_or_b64 exec, exec, s[14:15]
.LBB558_406:
	s_or_b64 exec, exec, s[12:13]
.LBB558_407:
	s_or_b64 exec, exec, s[10:11]
	v_lshrrev_b16_e32 v18, 8, v14
	v_cmp_ne_u16_e32 vcc, 0, v18
	v_mov_b32_e32 v20, 0
	s_and_saveexec_b64 s[10:11], vcc
	s_cbranch_execz .LBB558_413
; %bb.408:
	s_movk_i32 s7, 0x80
	v_cmp_ne_u16_e32 vcc, s7, v18
	v_bfrev_b32_e32 v20, 1
	s_and_saveexec_b64 s[12:13], vcc
	s_cbranch_execz .LBB558_412
; %bb.409:
	s_movk_i32 s7, 0x7f
	v_and_b32_e32 v21, 0x7f, v18
	v_cmp_ne_u32_e32 vcc, s7, v21
	v_mov_b32_e32 v20, 0x7f800001
	s_and_saveexec_b64 s[14:15], vcc
	s_cbranch_execz .LBB558_411
; %bb.410:
	v_and_b32_e32 v20, 7, v18
	v_ffbh_u32_e32 v22, v20
	v_min_u32_e32 v25, 32, v22
	v_subrev_u32_e32 v22, 28, v25
	v_lshlrev_b64 v[22:23], v22, v[18:19]
	v_lshrrev_b32_e32 v24, 3, v21
	v_sub_u32_e32 v18, 29, v25
	v_and_b32_e32 v22, 7, v22
	v_cmp_gt_u32_e32 vcc, 8, v21
	v_cndmask_b32_e32 v18, v24, v18, vcc
	v_cndmask_b32_e32 v20, v20, v22, vcc
	v_lshlrev_b32_e32 v21, 16, v14
	v_bfrev_b32_e32 v22, 60
	v_lshlrev_b32_e32 v20, 20, v20
	v_and_b32_e32 v21, 0x80000000, v21
	v_lshl_add_u32 v18, v18, 23, v22
	v_or3_b32 v20, v21, v18, v20
.LBB558_411:
	s_or_b64 exec, exec, s[14:15]
.LBB558_412:
	s_or_b64 exec, exec, s[12:13]
.LBB558_413:
	s_or_b64 exec, exec, s[10:11]
	s_movk_i32 s7, 0xff
	v_and_b32_sdwa v21, v14, s7 dst_sel:DWORD dst_unused:UNUSED_PAD src0_sel:WORD_1 src1_sel:DWORD
	v_lshrrev_b32_e32 v18, 16, v14
	v_cmp_ne_u16_e32 vcc, 0, v21
	s_and_saveexec_b64 s[10:11], vcc
	s_cbranch_execz .LBB558_419
; %bb.414:
	s_movk_i32 s7, 0x80
	v_cmp_ne_u16_e32 vcc, s7, v21
	v_bfrev_b32_e32 v19, 1
	s_and_saveexec_b64 s[12:13], vcc
	s_cbranch_execz .LBB558_418
; %bb.415:
	v_bfe_u32 v21, v14, 16, 7
	s_movk_i32 s7, 0x7f
	v_cmp_ne_u32_e32 vcc, s7, v21
	v_mov_b32_e32 v19, 0x7f800001
	s_and_saveexec_b64 s[14:15], vcc
	s_cbranch_execz .LBB558_417
; %bb.416:
	v_and_b32_e32 v22, 7, v18
	v_ffbh_u32_e32 v19, v22
	v_min_u32_e32 v24, 32, v19
	v_subrev_u32_e32 v19, 28, v24
	v_lshlrev_b64 v[18:19], v19, v[18:19]
	v_lshrrev_b32_e32 v23, 3, v21
	v_sub_u32_e32 v19, 29, v24
	v_and_b32_e32 v18, 7, v18
	v_cmp_gt_u32_e32 vcc, 8, v21
	v_mov_b32_e32 v21, 24
	v_cndmask_b32_e32 v19, v23, v19, vcc
	v_cndmask_b32_e32 v18, v22, v18, vcc
	v_lshlrev_b32_sdwa v21, v21, v14 dst_sel:DWORD dst_unused:UNUSED_PAD src0_sel:DWORD src1_sel:WORD_1
	v_bfrev_b32_e32 v22, 60
	v_lshlrev_b32_e32 v18, 20, v18
	v_and_b32_e32 v21, 0x80000000, v21
	v_lshl_add_u32 v19, v19, 23, v22
	v_or3_b32 v19, v21, v19, v18
.LBB558_417:
	s_or_b64 exec, exec, s[14:15]
.LBB558_418:
	s_or_b64 exec, exec, s[12:13]
.LBB558_419:
	s_or_b64 exec, exec, s[10:11]
	s_mov_b32 s7, 0xffffff
	v_cmp_lt_u32_e32 vcc, s7, v14
	v_mov_b32_e32 v21, 0
	v_mov_b32_e32 v22, 0
	s_and_saveexec_b64 s[10:11], vcc
	s_cbranch_execz .LBB558_425
; %bb.420:
	v_lshrrev_b32_e32 v18, 24, v14
	s_movk_i32 s7, 0x80
	v_cmp_ne_u32_e32 vcc, s7, v18
	v_bfrev_b32_e32 v22, 1
	s_and_saveexec_b64 s[12:13], vcc
	s_cbranch_execz .LBB558_424
; %bb.421:
	v_bfe_u32 v14, v14, 24, 7
	s_movk_i32 s7, 0x7f
	v_cmp_ne_u32_e32 vcc, s7, v14
	v_mov_b32_e32 v22, 0x7f800001
	s_and_saveexec_b64 s[14:15], vcc
	s_cbranch_execz .LBB558_423
; %bb.422:
	v_and_b32_e32 v24, 7, v18
	v_ffbh_u32_e32 v22, v24
	v_min_u32_e32 v28, 32, v22
	v_subrev_u32_e32 v22, 28, v28
	v_lshlrev_b64 v[22:23], v22, v[18:19]
	v_lshrrev_b32_e32 v25, 3, v14
	v_sub_u32_e32 v23, 29, v28
	v_and_b32_e32 v22, 7, v22
	v_cmp_gt_u32_e32 vcc, 8, v14
	v_cndmask_b32_e32 v14, v25, v23, vcc
	v_cndmask_b32_e32 v22, v24, v22, vcc
	v_lshlrev_b32_e32 v18, 24, v18
	v_bfrev_b32_e32 v23, 60
	v_lshlrev_b32_e32 v22, 20, v22
	v_and_b32_e32 v18, 0x80000000, v18
	v_lshl_add_u32 v14, v14, 23, v23
	v_or3_b32 v22, v18, v14, v22
.LBB558_423:
	s_or_b64 exec, exec, s[14:15]
.LBB558_424:
	s_or_b64 exec, exec, s[12:13]
.LBB558_425:
	s_or_b64 exec, exec, s[10:11]
	v_cmp_ne_u16_sdwa s[12:13], v15, v21 src0_sel:BYTE_0 src1_sel:DWORD
	s_and_saveexec_b64 s[10:11], s[12:13]
	s_cbranch_execz .LBB558_431
; %bb.426:
	s_movk_i32 s7, 0x80
	v_cmp_ne_u16_sdwa s[14:15], v15, s7 src0_sel:BYTE_0 src1_sel:DWORD
	v_bfrev_b32_e32 v21, 1
	s_and_saveexec_b64 s[12:13], s[14:15]
	s_cbranch_execz .LBB558_430
; %bb.427:
	s_movk_i32 s7, 0x7f
	v_and_b32_e32 v14, 0x7f, v15
	v_cmp_ne_u32_e32 vcc, s7, v14
	v_mov_b32_e32 v21, 0x7f800001
	s_and_saveexec_b64 s[14:15], vcc
	s_cbranch_execz .LBB558_429
; %bb.428:
	v_and_b32_e32 v21, 7, v15
	v_ffbh_u32_e32 v24, v21
	v_min_u32_e32 v28, 32, v24
	v_mov_b32_e32 v18, v15
	v_subrev_u32_e32 v24, 28, v28
	v_lshlrev_b64 v[24:25], v24, v[18:19]
	v_lshrrev_b32_e32 v23, 3, v14
	v_sub_u32_e32 v18, 29, v28
	v_and_b32_e32 v24, 7, v24
	v_cmp_gt_u32_e32 vcc, 8, v14
	v_cndmask_b32_e32 v14, v23, v18, vcc
	v_cndmask_b32_e32 v18, v21, v24, vcc
	v_lshlrev_b32_e32 v21, 24, v15
	v_bfrev_b32_e32 v23, 60
	v_lshlrev_b32_e32 v18, 20, v18
	v_and_b32_e32 v21, 0x80000000, v21
	v_lshl_add_u32 v14, v14, 23, v23
	v_or3_b32 v21, v21, v14, v18
.LBB558_429:
	s_or_b64 exec, exec, s[14:15]
.LBB558_430:
	s_or_b64 exec, exec, s[12:13]
.LBB558_431:
	s_or_b64 exec, exec, s[10:11]
	v_lshrrev_b16_e32 v14, 8, v15
	v_cmp_ne_u16_e32 vcc, 0, v14
	v_mov_b32_e32 v18, 0
	v_mov_b32_e32 v24, 0
	s_and_saveexec_b64 s[10:11], vcc
	s_cbranch_execz .LBB558_437
; %bb.432:
	s_movk_i32 s7, 0x80
	v_cmp_ne_u16_e32 vcc, s7, v14
	v_bfrev_b32_e32 v24, 1
	s_and_saveexec_b64 s[12:13], vcc
	s_cbranch_execz .LBB558_436
; %bb.433:
	s_movk_i32 s7, 0x7f
	v_and_b32_e32 v23, 0x7f, v14
	v_cmp_ne_u32_e32 vcc, s7, v23
	v_mov_b32_e32 v24, 0x7f800001
	s_and_saveexec_b64 s[14:15], vcc
	s_cbranch_execz .LBB558_435
; %bb.434:
	v_and_b32_e32 v28, 7, v14
	v_ffbh_u32_e32 v24, v28
	v_min_u32_e32 v30, 32, v24
	v_subrev_u32_e32 v24, 28, v30
	v_lshlrev_b64 v[24:25], v24, v[14:15]
	v_lshrrev_b32_e32 v29, 3, v23
	v_sub_u32_e32 v14, 29, v30
	v_and_b32_e32 v24, 7, v24
	v_cmp_gt_u32_e32 vcc, 8, v23
	v_cndmask_b32_e32 v14, v29, v14, vcc
	v_cndmask_b32_e32 v23, v28, v24, vcc
	v_lshlrev_b32_e32 v24, 16, v15
	v_bfrev_b32_e32 v25, 60
	v_lshlrev_b32_e32 v23, 20, v23
	v_and_b32_e32 v24, 0x80000000, v24
	v_lshl_add_u32 v14, v14, 23, v25
	v_or3_b32 v24, v24, v14, v23
.LBB558_435:
	s_or_b64 exec, exec, s[14:15]
.LBB558_436:
	s_or_b64 exec, exec, s[12:13]
.LBB558_437:
	s_or_b64 exec, exec, s[10:11]
	s_movk_i32 s7, 0xff
	v_and_b32_sdwa v23, v15, s7 dst_sel:DWORD dst_unused:UNUSED_PAD src0_sel:WORD_1 src1_sel:DWORD
	v_lshrrev_b32_e32 v14, 16, v15
	v_cmp_ne_u16_e32 vcc, 0, v23
	s_and_saveexec_b64 s[10:11], vcc
	s_cbranch_execz .LBB558_443
; %bb.438:
	s_movk_i32 s7, 0x80
	v_cmp_ne_u16_e32 vcc, s7, v23
	v_bfrev_b32_e32 v18, 1
	s_and_saveexec_b64 s[12:13], vcc
	s_cbranch_execz .LBB558_442
; %bb.439:
	v_bfe_u32 v23, v15, 16, 7
	s_movk_i32 s7, 0x7f
	v_cmp_ne_u32_e32 vcc, s7, v23
	v_mov_b32_e32 v18, 0x7f800001
	s_and_saveexec_b64 s[14:15], vcc
	s_cbranch_execz .LBB558_441
; %bb.440:
	v_and_b32_e32 v18, 7, v14
	v_ffbh_u32_e32 v28, v18
	v_min_u32_e32 v30, 32, v28
	v_subrev_u32_e32 v28, 28, v30
	v_lshlrev_b64 v[28:29], v28, v[14:15]
	v_lshrrev_b32_e32 v25, 3, v23
	v_sub_u32_e32 v14, 29, v30
	v_and_b32_e32 v28, 7, v28
	v_cmp_gt_u32_e32 vcc, 8, v23
	v_mov_b32_e32 v23, 24
	v_cndmask_b32_e32 v14, v25, v14, vcc
	v_cndmask_b32_e32 v18, v18, v28, vcc
	v_lshlrev_b32_sdwa v23, v23, v15 dst_sel:DWORD dst_unused:UNUSED_PAD src0_sel:DWORD src1_sel:WORD_1
	v_bfrev_b32_e32 v25, 60
	v_lshlrev_b32_e32 v18, 20, v18
	v_and_b32_e32 v23, 0x80000000, v23
	v_lshl_add_u32 v14, v14, 23, v25
	v_or3_b32 v18, v23, v14, v18
.LBB558_441:
	s_or_b64 exec, exec, s[14:15]
.LBB558_442:
	s_or_b64 exec, exec, s[12:13]
.LBB558_443:
	s_or_b64 exec, exec, s[10:11]
	s_mov_b32 s7, 0xffffff
	v_cmp_lt_u32_e32 vcc, s7, v15
	v_mov_b32_e32 v23, 0
	v_mov_b32_e32 v25, 0
	s_and_saveexec_b64 s[10:11], vcc
	s_cbranch_execz .LBB558_449
; %bb.444:
	v_lshrrev_b32_e32 v14, 24, v15
	s_movk_i32 s7, 0x80
	v_cmp_ne_u32_e32 vcc, s7, v14
	v_bfrev_b32_e32 v25, 1
	s_and_saveexec_b64 s[12:13], vcc
	s_cbranch_execz .LBB558_448
; %bb.445:
	v_bfe_u32 v15, v15, 24, 7
	s_movk_i32 s7, 0x7f
	v_cmp_ne_u32_e32 vcc, s7, v15
	v_mov_b32_e32 v25, 0x7f800001
	s_and_saveexec_b64 s[14:15], vcc
	s_cbranch_execz .LBB558_447
; %bb.446:
	v_and_b32_e32 v25, 7, v14
	v_ffbh_u32_e32 v28, v25
	v_min_u32_e32 v31, 32, v28
	v_subrev_u32_e32 v28, 28, v31
	v_lshlrev_b64 v[28:29], v28, v[14:15]
	v_lshrrev_b32_e32 v30, 3, v15
	v_sub_u32_e32 v29, 29, v31
	v_and_b32_e32 v28, 7, v28
	v_cmp_gt_u32_e32 vcc, 8, v15
	v_cndmask_b32_e32 v15, v30, v29, vcc
	v_cndmask_b32_e32 v25, v25, v28, vcc
	v_lshlrev_b32_e32 v14, 24, v14
	v_bfrev_b32_e32 v28, 60
	v_lshlrev_b32_e32 v25, 20, v25
	v_and_b32_e32 v14, 0x80000000, v14
	v_lshl_add_u32 v15, v15, 23, v28
	v_or3_b32 v25, v14, v15, v25
.LBB558_447:
	s_or_b64 exec, exec, s[14:15]
.LBB558_448:
	s_or_b64 exec, exec, s[12:13]
.LBB558_449:
	s_or_b64 exec, exec, s[10:11]
	v_cvt_pkrtz_f16_f32 v15, v19, v22
	v_lshl_or_b32 v22, v46, 9, v27
	v_cvt_pkrtz_f16_f32 v14, v32, v20
	ds_read_b128 v[28:31], v22
	v_cmp_ne_u16_sdwa s[12:13], v16, v23 src0_sel:BYTE_0 src1_sel:DWORD
	s_waitcnt lgkmcnt(0)
	v_mfma_f32_16x16x16f16 v[32:35], v[14:15], v[28:29], 0
	v_cvt_pkrtz_f16_f32 v14, v21, v24
	v_cvt_pkrtz_f16_f32 v15, v18, v25
	s_nop 1
	v_mfma_f32_16x16x16f16 v[18:21], v[14:15], v[30:31], v[32:35]
	s_and_saveexec_b64 s[10:11], s[12:13]
	s_cbranch_execz .LBB558_455
; %bb.450:
	s_movk_i32 s7, 0x80
	v_cmp_ne_u16_sdwa s[14:15], v16, s7 src0_sel:BYTE_0 src1_sel:DWORD
	v_bfrev_b32_e32 v23, 1
	s_and_saveexec_b64 s[12:13], s[14:15]
	s_cbranch_execz .LBB558_454
; %bb.451:
	s_movk_i32 s7, 0x7f
	v_and_b32_e32 v14, 0x7f, v16
	v_cmp_ne_u32_e32 vcc, s7, v14
	v_mov_b32_e32 v23, 0x7f800001
	s_and_saveexec_b64 s[14:15], vcc
	s_cbranch_execz .LBB558_453
; %bb.452:
	v_and_b32_e32 v15, 7, v16
	v_ffbh_u32_e32 v24, v15
	v_min_u32_e32 v27, 32, v24
	v_subrev_u32_e32 v24, 28, v27
	v_lshlrev_b64 v[24:25], v24, v[16:17]
	v_lshrrev_b32_e32 v23, 3, v14
	v_sub_u32_e32 v25, 29, v27
	v_and_b32_e32 v24, 7, v24
	v_cmp_gt_u32_e32 vcc, 8, v14
	v_cndmask_b32_e32 v14, v23, v25, vcc
	v_cndmask_b32_e32 v15, v15, v24, vcc
	v_lshlrev_b32_e32 v23, 24, v16
	v_bfrev_b32_e32 v24, 60
	v_lshlrev_b32_e32 v15, 20, v15
	v_and_b32_e32 v23, 0x80000000, v23
	v_lshl_add_u32 v14, v14, 23, v24
	v_or3_b32 v23, v23, v14, v15
.LBB558_453:
	s_or_b64 exec, exec, s[14:15]
.LBB558_454:
	s_or_b64 exec, exec, s[12:13]
.LBB558_455:
	s_or_b64 exec, exec, s[10:11]
	v_lshrrev_b16_e32 v14, 8, v16
	v_cmp_ne_u16_e32 vcc, 0, v14
	v_mov_b32_e32 v15, 0
	v_mov_b32_e32 v25, 0
	s_and_saveexec_b64 s[10:11], vcc
	s_cbranch_execz .LBB558_461
; %bb.456:
	s_movk_i32 s7, 0x80
	v_cmp_ne_u16_e32 vcc, s7, v14
	v_bfrev_b32_e32 v25, 1
	s_and_saveexec_b64 s[12:13], vcc
	s_cbranch_execz .LBB558_460
; %bb.457:
	s_movk_i32 s7, 0x7f
	v_and_b32_e32 v24, 0x7f, v14
	v_cmp_ne_u32_e32 vcc, s7, v24
	v_mov_b32_e32 v25, 0x7f800001
	s_and_saveexec_b64 s[14:15], vcc
	s_cbranch_execz .LBB558_459
; %bb.458:
	v_and_b32_e32 v25, 7, v14
	v_ffbh_u32_e32 v28, v25
	v_min_u32_e32 v30, 32, v28
	v_subrev_u32_e32 v28, 28, v30
	v_lshlrev_b64 v[28:29], v28, v[14:15]
	v_lshrrev_b32_e32 v27, 3, v24
	v_sub_u32_e32 v14, 29, v30
	v_and_b32_e32 v28, 7, v28
	v_cmp_gt_u32_e32 vcc, 8, v24
	v_cndmask_b32_e32 v14, v27, v14, vcc
	v_cndmask_b32_e32 v24, v25, v28, vcc
	v_lshlrev_b32_e32 v25, 16, v16
	v_bfrev_b32_e32 v27, 60
	v_lshlrev_b32_e32 v24, 20, v24
	v_and_b32_e32 v25, 0x80000000, v25
	v_lshl_add_u32 v14, v14, 23, v27
	v_or3_b32 v25, v25, v14, v24
.LBB558_459:
	s_or_b64 exec, exec, s[14:15]
.LBB558_460:
	s_or_b64 exec, exec, s[12:13]
.LBB558_461:
	s_or_b64 exec, exec, s[10:11]
	s_movk_i32 s7, 0xff
	v_and_b32_sdwa v24, v16, s7 dst_sel:DWORD dst_unused:UNUSED_PAD src0_sel:WORD_1 src1_sel:DWORD
	v_lshrrev_b32_e32 v14, 16, v16
	v_cmp_ne_u16_e32 vcc, 0, v24
	s_and_saveexec_b64 s[10:11], vcc
	s_cbranch_execz .LBB558_467
; %bb.462:
	s_movk_i32 s7, 0x80
	v_cmp_ne_u16_e32 vcc, s7, v24
	v_bfrev_b32_e32 v15, 1
	s_and_saveexec_b64 s[12:13], vcc
	s_cbranch_execz .LBB558_466
; %bb.463:
	v_bfe_u32 v24, v16, 16, 7
	s_movk_i32 s7, 0x7f
	v_cmp_ne_u32_e32 vcc, s7, v24
	v_mov_b32_e32 v15, 0x7f800001
	s_and_saveexec_b64 s[14:15], vcc
	s_cbranch_execz .LBB558_465
; %bb.464:
	v_and_b32_e32 v27, 7, v14
	v_ffbh_u32_e32 v15, v27
	v_min_u32_e32 v29, 32, v15
	v_subrev_u32_e32 v15, 28, v29
	v_lshlrev_b64 v[14:15], v15, v[14:15]
	v_lshrrev_b32_e32 v28, 3, v24
	v_sub_u32_e32 v15, 29, v29
	v_and_b32_e32 v14, 7, v14
	v_cmp_gt_u32_e32 vcc, 8, v24
	v_mov_b32_e32 v24, 24
	v_cndmask_b32_e32 v15, v28, v15, vcc
	v_cndmask_b32_e32 v14, v27, v14, vcc
	v_lshlrev_b32_sdwa v24, v24, v16 dst_sel:DWORD dst_unused:UNUSED_PAD src0_sel:DWORD src1_sel:WORD_1
	v_bfrev_b32_e32 v27, 60
	v_lshlrev_b32_e32 v14, 20, v14
	v_and_b32_e32 v24, 0x80000000, v24
	v_lshl_add_u32 v15, v15, 23, v27
	v_or3_b32 v15, v24, v15, v14
.LBB558_465:
	s_or_b64 exec, exec, s[14:15]
.LBB558_466:
	s_or_b64 exec, exec, s[12:13]
.LBB558_467:
	s_or_b64 exec, exec, s[10:11]
	s_mov_b32 s7, 0xffffff
	v_cmp_lt_u32_e32 vcc, s7, v16
	v_mov_b32_e32 v27, 0
	v_mov_b32_e32 v28, 0
	s_and_saveexec_b64 s[10:11], vcc
	s_cbranch_execz .LBB558_473
; %bb.468:
	v_lshrrev_b32_e32 v14, 24, v16
	s_movk_i32 s7, 0x80
	v_cmp_ne_u32_e32 vcc, s7, v14
	v_bfrev_b32_e32 v28, 1
	s_and_saveexec_b64 s[12:13], vcc
	s_cbranch_execz .LBB558_472
; %bb.469:
	v_bfe_u32 v16, v16, 24, 7
	s_movk_i32 s7, 0x7f
	v_cmp_ne_u32_e32 vcc, s7, v16
	v_mov_b32_e32 v28, 0x7f800001
	s_and_saveexec_b64 s[14:15], vcc
	s_cbranch_execz .LBB558_471
; %bb.470:
	v_and_b32_e32 v24, 7, v14
	v_ffbh_u32_e32 v28, v24
	v_min_u32_e32 v31, 32, v28
	v_subrev_u32_e32 v28, 28, v31
	v_lshlrev_b64 v[28:29], v28, v[14:15]
	v_lshrrev_b32_e32 v30, 3, v16
	v_sub_u32_e32 v29, 29, v31
	v_and_b32_e32 v28, 7, v28
	v_cmp_gt_u32_e32 vcc, 8, v16
	v_cndmask_b32_e32 v16, v30, v29, vcc
	v_cndmask_b32_e32 v24, v24, v28, vcc
	v_lshlrev_b32_e32 v14, 24, v14
	v_bfrev_b32_e32 v28, 60
	v_lshlrev_b32_e32 v24, 20, v24
	v_and_b32_e32 v14, 0x80000000, v14
	v_lshl_add_u32 v16, v16, 23, v28
	v_or3_b32 v28, v14, v16, v24
.LBB558_471:
	s_or_b64 exec, exec, s[14:15]
.LBB558_472:
	s_or_b64 exec, exec, s[12:13]
.LBB558_473:
	s_or_b64 exec, exec, s[10:11]
	v_cmp_ne_u16_sdwa s[12:13], v17, v27 src0_sel:BYTE_0 src1_sel:DWORD
	s_and_saveexec_b64 s[10:11], s[12:13]
	s_cbranch_execz .LBB558_479
; %bb.474:
	s_movk_i32 s7, 0x80
	v_cmp_ne_u16_sdwa s[14:15], v17, s7 src0_sel:BYTE_0 src1_sel:DWORD
	v_bfrev_b32_e32 v27, 1
	s_and_saveexec_b64 s[12:13], s[14:15]
	s_cbranch_execz .LBB558_478
; %bb.475:
	s_movk_i32 s7, 0x7f
	v_and_b32_e32 v14, 0x7f, v17
	v_cmp_ne_u32_e32 vcc, s7, v14
	v_mov_b32_e32 v27, 0x7f800001
	s_and_saveexec_b64 s[14:15], vcc
	s_cbranch_execz .LBB558_477
; %bb.476:
	v_and_b32_e32 v24, 7, v17
	v_ffbh_u32_e32 v29, v24
	v_min_u32_e32 v29, 32, v29
	v_mov_b32_e32 v16, v17
	v_subrev_u32_e32 v30, 28, v29
	v_lshlrev_b64 v[30:31], v30, v[16:17]
	v_lshrrev_b32_e32 v27, 3, v14
	v_sub_u32_e32 v16, 29, v29
	v_and_b32_e32 v29, 7, v30
	v_cmp_gt_u32_e32 vcc, 8, v14
	v_cndmask_b32_e32 v14, v27, v16, vcc
	v_cndmask_b32_e32 v16, v24, v29, vcc
	v_lshlrev_b32_e32 v24, 24, v17
	v_bfrev_b32_e32 v27, 60
	v_lshlrev_b32_e32 v16, 20, v16
	v_and_b32_e32 v24, 0x80000000, v24
	v_lshl_add_u32 v14, v14, 23, v27
	v_or3_b32 v27, v24, v14, v16
.LBB558_477:
	s_or_b64 exec, exec, s[14:15]
.LBB558_478:
	s_or_b64 exec, exec, s[12:13]
.LBB558_479:
	s_or_b64 exec, exec, s[10:11]
	v_lshrrev_b16_e32 v14, 8, v17
	v_cmp_ne_u16_e32 vcc, 0, v14
	v_mov_b32_e32 v16, 0
	v_mov_b32_e32 v29, 0
	s_and_saveexec_b64 s[10:11], vcc
	s_cbranch_execz .LBB558_485
; %bb.480:
	s_movk_i32 s7, 0x80
	v_cmp_ne_u16_e32 vcc, s7, v14
	v_bfrev_b32_e32 v29, 1
	s_and_saveexec_b64 s[12:13], vcc
	s_cbranch_execz .LBB558_484
; %bb.481:
	s_movk_i32 s7, 0x7f
	v_and_b32_e32 v24, 0x7f, v14
	v_cmp_ne_u32_e32 vcc, s7, v24
	v_mov_b32_e32 v29, 0x7f800001
	s_and_saveexec_b64 s[14:15], vcc
	s_cbranch_execz .LBB558_483
; %bb.482:
	v_and_b32_e32 v29, 7, v14
	v_ffbh_u32_e32 v30, v29
	v_min_u32_e32 v33, 32, v30
	v_subrev_u32_e32 v30, 28, v33
	v_lshlrev_b64 v[30:31], v30, v[14:15]
	v_lshrrev_b32_e32 v32, 3, v24
	v_sub_u32_e32 v14, 29, v33
	v_and_b32_e32 v30, 7, v30
	v_cmp_gt_u32_e32 vcc, 8, v24
	v_cndmask_b32_e32 v14, v32, v14, vcc
	v_cndmask_b32_e32 v24, v29, v30, vcc
	v_lshlrev_b32_e32 v29, 16, v17
	v_bfrev_b32_e32 v30, 60
	v_lshlrev_b32_e32 v24, 20, v24
	v_and_b32_e32 v29, 0x80000000, v29
	v_lshl_add_u32 v14, v14, 23, v30
	v_or3_b32 v29, v29, v14, v24
.LBB558_483:
	s_or_b64 exec, exec, s[14:15]
.LBB558_484:
	s_or_b64 exec, exec, s[12:13]
.LBB558_485:
	s_or_b64 exec, exec, s[10:11]
	s_movk_i32 s7, 0xff
	v_and_b32_sdwa v24, v17, s7 dst_sel:DWORD dst_unused:UNUSED_PAD src0_sel:WORD_1 src1_sel:DWORD
	v_lshrrev_b32_e32 v14, 16, v17
	v_cmp_ne_u16_e32 vcc, 0, v24
	s_and_saveexec_b64 s[10:11], vcc
	s_cbranch_execz .LBB558_491
; %bb.486:
	s_movk_i32 s7, 0x80
	v_cmp_ne_u16_e32 vcc, s7, v24
	v_bfrev_b32_e32 v16, 1
	s_and_saveexec_b64 s[12:13], vcc
	s_cbranch_execz .LBB558_490
; %bb.487:
	v_bfe_u32 v24, v17, 16, 7
	s_movk_i32 s7, 0x7f
	v_cmp_ne_u32_e32 vcc, s7, v24
	v_mov_b32_e32 v16, 0x7f800001
	s_and_saveexec_b64 s[14:15], vcc
	s_cbranch_execz .LBB558_489
; %bb.488:
	v_and_b32_e32 v16, 7, v14
	v_ffbh_u32_e32 v30, v16
	v_min_u32_e32 v33, 32, v30
	v_subrev_u32_e32 v30, 28, v33
	v_lshlrev_b64 v[30:31], v30, v[14:15]
	v_lshrrev_b32_e32 v32, 3, v24
	v_sub_u32_e32 v14, 29, v33
	v_and_b32_e32 v30, 7, v30
	v_cmp_gt_u32_e32 vcc, 8, v24
	v_mov_b32_e32 v24, 24
	v_cndmask_b32_e32 v14, v32, v14, vcc
	v_cndmask_b32_e32 v16, v16, v30, vcc
	v_lshlrev_b32_sdwa v24, v24, v17 dst_sel:DWORD dst_unused:UNUSED_PAD src0_sel:DWORD src1_sel:WORD_1
	v_bfrev_b32_e32 v30, 60
	v_lshlrev_b32_e32 v16, 20, v16
	v_and_b32_e32 v24, 0x80000000, v24
	v_lshl_add_u32 v14, v14, 23, v30
	v_or3_b32 v16, v24, v14, v16
.LBB558_489:
	s_or_b64 exec, exec, s[14:15]
.LBB558_490:
	s_or_b64 exec, exec, s[12:13]
.LBB558_491:
	s_or_b64 exec, exec, s[10:11]
	s_mov_b32 s7, 0xffffff
	v_cmp_lt_u32_e32 vcc, s7, v17
	v_mov_b32_e32 v24, 0
	v_mov_b32_e32 v30, 0
	s_and_saveexec_b64 s[10:11], vcc
	s_cbranch_execz .LBB558_497
; %bb.492:
	v_lshrrev_b32_e32 v14, 24, v17
	s_movk_i32 s7, 0x80
	v_cmp_ne_u32_e32 vcc, s7, v14
	v_bfrev_b32_e32 v30, 1
	s_and_saveexec_b64 s[12:13], vcc
	s_cbranch_execz .LBB558_496
; %bb.493:
	v_bfe_u32 v17, v17, 24, 7
	s_movk_i32 s7, 0x7f
	v_cmp_ne_u32_e32 vcc, s7, v17
	v_mov_b32_e32 v30, 0x7f800001
	s_and_saveexec_b64 s[14:15], vcc
	s_cbranch_execz .LBB558_495
; %bb.494:
	v_and_b32_e32 v32, 7, v14
	v_ffbh_u32_e32 v30, v32
	v_min_u32_e32 v34, 32, v30
	v_subrev_u32_e32 v30, 28, v34
	v_lshlrev_b64 v[30:31], v30, v[14:15]
	v_lshrrev_b32_e32 v33, 3, v17
	v_sub_u32_e32 v31, 29, v34
	v_and_b32_e32 v30, 7, v30
	v_cmp_gt_u32_e32 vcc, 8, v17
	v_cndmask_b32_e32 v17, v33, v31, vcc
	v_cndmask_b32_e32 v30, v32, v30, vcc
	v_lshlrev_b32_e32 v14, 24, v14
	v_bfrev_b32_e32 v31, 60
	v_lshlrev_b32_e32 v30, 20, v30
	v_and_b32_e32 v14, 0x80000000, v14
	v_lshl_add_u32 v17, v17, 23, v31
	v_or3_b32 v30, v14, v17, v30
.LBB558_495:
	s_or_b64 exec, exec, s[14:15]
.LBB558_496:
	s_or_b64 exec, exec, s[12:13]
.LBB558_497:
	s_or_b64 exec, exec, s[10:11]
	v_cvt_pkrtz_f16_f32 v14, v23, v25
	v_cvt_pkrtz_f16_f32 v15, v15, v28
	ds_read_b128 v[32:35], v22 offset:16
	s_waitcnt vmcnt(2)
	v_cmp_ne_u16_sdwa s[12:13], v10, v24 src0_sel:BYTE_0 src1_sel:DWORD
	s_waitcnt lgkmcnt(0)
	v_mfma_f32_16x16x16f16 v[18:21], v[14:15], v[32:33], v[18:21]
	v_cvt_pkrtz_f16_f32 v14, v27, v29
	v_cvt_pkrtz_f16_f32 v15, v16, v30
	s_nop 1
	v_mfma_f32_16x16x16f16 v[14:17], v[14:15], v[34:35], v[18:21]
	s_and_saveexec_b64 s[10:11], s[12:13]
	s_cbranch_execz .LBB558_503
; %bb.498:
	s_movk_i32 s7, 0x80
	v_cmp_ne_u16_sdwa s[14:15], v10, s7 src0_sel:BYTE_0 src1_sel:DWORD
	v_bfrev_b32_e32 v24, 1
	s_and_saveexec_b64 s[12:13], s[14:15]
	s_cbranch_execz .LBB558_502
; %bb.499:
	s_movk_i32 s7, 0x7f
	v_and_b32_e32 v18, 0x7f, v10
	v_cmp_ne_u32_e32 vcc, s7, v18
	v_mov_b32_e32 v24, 0x7f800001
	s_and_saveexec_b64 s[14:15], vcc
	s_cbranch_execz .LBB558_501
; %bb.500:
	v_and_b32_e32 v19, 7, v10
	v_ffbh_u32_e32 v20, v19
	v_min_u32_e32 v24, 32, v20
	v_subrev_u32_e32 v20, 28, v24
	v_lshlrev_b64 v[20:21], v20, v[10:11]
	v_lshrrev_b32_e32 v23, 3, v18
	v_sub_u32_e32 v21, 29, v24
	v_and_b32_e32 v20, 7, v20
	v_cmp_gt_u32_e32 vcc, 8, v18
	v_cndmask_b32_e32 v18, v23, v21, vcc
	v_cndmask_b32_e32 v19, v19, v20, vcc
	v_lshlrev_b32_e32 v20, 24, v10
	v_bfrev_b32_e32 v21, 60
	v_lshlrev_b32_e32 v19, 20, v19
	v_and_b32_e32 v20, 0x80000000, v20
	v_lshl_add_u32 v18, v18, 23, v21
	v_or3_b32 v24, v20, v18, v19
.LBB558_501:
	s_or_b64 exec, exec, s[14:15]
.LBB558_502:
	s_or_b64 exec, exec, s[12:13]
.LBB558_503:
	s_or_b64 exec, exec, s[10:11]
	s_nop 3
	v_lshrrev_b16_e32 v18, 8, v10
	v_cmp_ne_u16_e32 vcc, 0, v18
	v_mov_b32_e32 v19, 0
	v_mov_b32_e32 v20, 0
	s_and_saveexec_b64 s[10:11], vcc
	s_cbranch_execz .LBB558_509
; %bb.504:
	s_movk_i32 s7, 0x80
	v_cmp_ne_u16_e32 vcc, s7, v18
	v_bfrev_b32_e32 v20, 1
	s_and_saveexec_b64 s[12:13], vcc
	s_cbranch_execz .LBB558_508
; %bb.505:
	s_movk_i32 s7, 0x7f
	v_and_b32_e32 v21, 0x7f, v18
	v_cmp_ne_u32_e32 vcc, s7, v21
	v_mov_b32_e32 v20, 0x7f800001
	s_and_saveexec_b64 s[14:15], vcc
	s_cbranch_execz .LBB558_507
; %bb.506:
	v_and_b32_e32 v20, 7, v18
	v_ffbh_u32_e32 v25, v20
	v_min_u32_e32 v25, 32, v25
	v_subrev_u32_e32 v27, 28, v25
	v_lshlrev_b64 v[28:29], v27, v[18:19]
	v_lshrrev_b32_e32 v23, 3, v21
	v_sub_u32_e32 v18, 29, v25
	v_and_b32_e32 v25, 7, v28
	v_cmp_gt_u32_e32 vcc, 8, v21
	v_cndmask_b32_e32 v18, v23, v18, vcc
	v_cndmask_b32_e32 v20, v20, v25, vcc
	v_lshlrev_b32_e32 v21, 16, v10
	v_bfrev_b32_e32 v23, 60
	v_lshlrev_b32_e32 v20, 20, v20
	v_and_b32_e32 v21, 0x80000000, v21
	v_lshl_add_u32 v18, v18, 23, v23
	v_or3_b32 v20, v21, v18, v20
.LBB558_507:
	s_or_b64 exec, exec, s[14:15]
.LBB558_508:
	s_or_b64 exec, exec, s[12:13]
.LBB558_509:
	s_or_b64 exec, exec, s[10:11]
	s_movk_i32 s7, 0xff
	v_and_b32_sdwa v21, v10, s7 dst_sel:DWORD dst_unused:UNUSED_PAD src0_sel:WORD_1 src1_sel:DWORD
	v_lshrrev_b32_e32 v18, 16, v10
	v_cmp_ne_u16_e32 vcc, 0, v21
	s_and_saveexec_b64 s[10:11], vcc
	s_cbranch_execz .LBB558_515
; %bb.510:
	s_movk_i32 s7, 0x80
	v_cmp_ne_u16_e32 vcc, s7, v21
	v_bfrev_b32_e32 v19, 1
	s_and_saveexec_b64 s[12:13], vcc
	s_cbranch_execz .LBB558_514
; %bb.511:
	v_bfe_u32 v21, v10, 16, 7
	s_movk_i32 s7, 0x7f
	v_cmp_ne_u32_e32 vcc, s7, v21
	v_mov_b32_e32 v19, 0x7f800001
	s_and_saveexec_b64 s[14:15], vcc
	s_cbranch_execz .LBB558_513
; %bb.512:
	v_and_b32_e32 v23, 7, v18
	v_ffbh_u32_e32 v19, v23
	v_min_u32_e32 v27, 32, v19
	v_subrev_u32_e32 v19, 28, v27
	v_lshlrev_b64 v[18:19], v19, v[18:19]
	v_lshrrev_b32_e32 v25, 3, v21
	v_sub_u32_e32 v19, 29, v27
	v_and_b32_e32 v18, 7, v18
	v_cmp_gt_u32_e32 vcc, 8, v21
	v_mov_b32_e32 v21, 24
	v_cndmask_b32_e32 v19, v25, v19, vcc
	v_cndmask_b32_e32 v18, v23, v18, vcc
	v_lshlrev_b32_sdwa v21, v21, v10 dst_sel:DWORD dst_unused:UNUSED_PAD src0_sel:DWORD src1_sel:WORD_1
	v_bfrev_b32_e32 v23, 60
	v_lshlrev_b32_e32 v18, 20, v18
	v_and_b32_e32 v21, 0x80000000, v21
	v_lshl_add_u32 v19, v19, 23, v23
	v_or3_b32 v19, v21, v19, v18
.LBB558_513:
	s_or_b64 exec, exec, s[14:15]
.LBB558_514:
	s_or_b64 exec, exec, s[12:13]
.LBB558_515:
	s_or_b64 exec, exec, s[10:11]
	s_mov_b32 s7, 0xffffff
	v_cmp_lt_u32_e32 vcc, s7, v10
	v_mov_b32_e32 v21, 0
	v_mov_b32_e32 v23, 0
	s_and_saveexec_b64 s[10:11], vcc
	s_cbranch_execz .LBB558_521
; %bb.516:
	v_lshrrev_b32_e32 v18, 24, v10
	s_movk_i32 s7, 0x80
	v_cmp_ne_u32_e32 vcc, s7, v18
	v_bfrev_b32_e32 v23, 1
	s_and_saveexec_b64 s[12:13], vcc
	s_cbranch_execz .LBB558_520
; %bb.517:
	v_bfe_u32 v10, v10, 24, 7
	s_movk_i32 s7, 0x7f
	v_cmp_ne_u32_e32 vcc, s7, v10
	v_mov_b32_e32 v23, 0x7f800001
	s_and_saveexec_b64 s[14:15], vcc
	s_cbranch_execz .LBB558_519
; %bb.518:
	v_and_b32_e32 v23, 7, v18
	v_ffbh_u32_e32 v27, v23
	v_min_u32_e32 v27, 32, v27
	v_subrev_u32_e32 v28, 28, v27
	v_lshlrev_b64 v[28:29], v28, v[18:19]
	v_lshrrev_b32_e32 v25, 3, v10
	v_sub_u32_e32 v27, 29, v27
	v_and_b32_e32 v28, 7, v28
	v_cmp_gt_u32_e32 vcc, 8, v10
	v_cndmask_b32_e32 v10, v25, v27, vcc
	v_cndmask_b32_e32 v23, v23, v28, vcc
	v_lshlrev_b32_e32 v18, 24, v18
	v_bfrev_b32_e32 v25, 60
	v_lshlrev_b32_e32 v23, 20, v23
	v_and_b32_e32 v18, 0x80000000, v18
	v_lshl_add_u32 v10, v10, 23, v25
	v_or3_b32 v23, v18, v10, v23
.LBB558_519:
	s_or_b64 exec, exec, s[14:15]
.LBB558_520:
	s_or_b64 exec, exec, s[12:13]
.LBB558_521:
	s_or_b64 exec, exec, s[10:11]
	v_cmp_ne_u16_sdwa s[12:13], v11, v21 src0_sel:BYTE_0 src1_sel:DWORD
	s_and_saveexec_b64 s[10:11], s[12:13]
	s_cbranch_execz .LBB558_527
; %bb.522:
	s_movk_i32 s7, 0x80
	v_cmp_ne_u16_sdwa s[14:15], v11, s7 src0_sel:BYTE_0 src1_sel:DWORD
	v_bfrev_b32_e32 v21, 1
	s_and_saveexec_b64 s[12:13], s[14:15]
	s_cbranch_execz .LBB558_526
; %bb.523:
	s_movk_i32 s7, 0x7f
	v_and_b32_e32 v10, 0x7f, v11
	v_cmp_ne_u32_e32 vcc, s7, v10
	v_mov_b32_e32 v21, 0x7f800001
	s_and_saveexec_b64 s[14:15], vcc
	s_cbranch_execz .LBB558_525
; %bb.524:
	v_and_b32_e32 v21, 7, v11
	v_ffbh_u32_e32 v27, v21
	v_min_u32_e32 v27, 32, v27
	v_mov_b32_e32 v18, v11
	v_subrev_u32_e32 v28, 28, v27
	v_lshlrev_b64 v[28:29], v28, v[18:19]
	v_lshrrev_b32_e32 v25, 3, v10
	v_sub_u32_e32 v18, 29, v27
	v_and_b32_e32 v27, 7, v28
	v_cmp_gt_u32_e32 vcc, 8, v10
	v_cndmask_b32_e32 v10, v25, v18, vcc
	v_cndmask_b32_e32 v18, v21, v27, vcc
	v_lshlrev_b32_e32 v21, 24, v11
	v_bfrev_b32_e32 v25, 60
	v_lshlrev_b32_e32 v18, 20, v18
	v_and_b32_e32 v21, 0x80000000, v21
	v_lshl_add_u32 v10, v10, 23, v25
	v_or3_b32 v21, v21, v10, v18
.LBB558_525:
	s_or_b64 exec, exec, s[14:15]
.LBB558_526:
	s_or_b64 exec, exec, s[12:13]
.LBB558_527:
	s_or_b64 exec, exec, s[10:11]
	v_lshrrev_b16_e32 v10, 8, v11
	v_cmp_ne_u16_e32 vcc, 0, v10
	v_mov_b32_e32 v25, 0
	v_mov_b32_e32 v27, 0
	s_and_saveexec_b64 s[10:11], vcc
	s_cbranch_execz .LBB558_533
; %bb.528:
	s_movk_i32 s7, 0x80
	v_cmp_ne_u16_e32 vcc, s7, v10
	v_bfrev_b32_e32 v27, 1
	s_and_saveexec_b64 s[12:13], vcc
	s_cbranch_execz .LBB558_532
; %bb.529:
	s_movk_i32 s7, 0x7f
	v_and_b32_e32 v18, 0x7f, v10
	v_cmp_ne_u32_e32 vcc, s7, v18
	v_mov_b32_e32 v27, 0x7f800001
	s_and_saveexec_b64 s[14:15], vcc
	s_cbranch_execz .LBB558_531
; %bb.530:
	v_and_b32_e32 v27, 7, v10
	v_ffbh_u32_e32 v28, v27
	v_min_u32_e32 v31, 32, v28
	v_subrev_u32_e32 v28, 28, v31
	v_lshlrev_b64 v[28:29], v28, v[10:11]
	v_lshrrev_b32_e32 v30, 3, v18
	v_sub_u32_e32 v10, 29, v31
	v_and_b32_e32 v28, 7, v28
	v_cmp_gt_u32_e32 vcc, 8, v18
	v_cndmask_b32_e32 v10, v30, v10, vcc
	v_cndmask_b32_e32 v18, v27, v28, vcc
	v_lshlrev_b32_e32 v27, 16, v11
	v_bfrev_b32_e32 v28, 60
	v_lshlrev_b32_e32 v18, 20, v18
	v_and_b32_e32 v27, 0x80000000, v27
	v_lshl_add_u32 v10, v10, 23, v28
	v_or3_b32 v27, v27, v10, v18
.LBB558_531:
	s_or_b64 exec, exec, s[14:15]
.LBB558_532:
	s_or_b64 exec, exec, s[12:13]
.LBB558_533:
	s_or_b64 exec, exec, s[10:11]
	s_movk_i32 s7, 0xff
	v_and_b32_sdwa v18, v11, s7 dst_sel:DWORD dst_unused:UNUSED_PAD src0_sel:WORD_1 src1_sel:DWORD
	v_lshrrev_b32_e32 v10, 16, v11
	v_cmp_ne_u16_e32 vcc, 0, v18
	s_and_saveexec_b64 s[10:11], vcc
	s_cbranch_execz .LBB558_539
; %bb.534:
	s_movk_i32 s7, 0x80
	v_cmp_ne_u16_e32 vcc, s7, v18
	v_bfrev_b32_e32 v25, 1
	s_and_saveexec_b64 s[12:13], vcc
	s_cbranch_execz .LBB558_538
; %bb.535:
	v_bfe_u32 v18, v11, 16, 7
	s_movk_i32 s7, 0x7f
	v_cmp_ne_u32_e32 vcc, s7, v18
	v_mov_b32_e32 v25, 0x7f800001
	s_and_saveexec_b64 s[14:15], vcc
	s_cbranch_execz .LBB558_537
; %bb.536:
	v_and_b32_e32 v25, 7, v10
	v_ffbh_u32_e32 v28, v25
	v_min_u32_e32 v31, 32, v28
	v_subrev_u32_e32 v28, 28, v31
	v_lshlrev_b64 v[28:29], v28, v[10:11]
	v_and_b32_e32 v28, 7, v28
	v_cmp_gt_u32_e32 vcc, 8, v18
	v_lshrrev_b32_e32 v30, 3, v18
	v_sub_u32_e32 v10, 29, v31
	v_cndmask_b32_e32 v18, v25, v28, vcc
	v_mov_b32_e32 v25, 24
	v_cndmask_b32_e32 v10, v30, v10, vcc
	v_lshlrev_b32_sdwa v25, v25, v11 dst_sel:DWORD dst_unused:UNUSED_PAD src0_sel:DWORD src1_sel:WORD_1
	v_bfrev_b32_e32 v28, 60
	v_lshlrev_b32_e32 v18, 20, v18
	v_and_b32_e32 v25, 0x80000000, v25
	v_lshl_add_u32 v10, v10, 23, v28
	v_or3_b32 v25, v25, v10, v18
.LBB558_537:
	s_or_b64 exec, exec, s[14:15]
.LBB558_538:
	s_or_b64 exec, exec, s[12:13]
.LBB558_539:
	s_or_b64 exec, exec, s[10:11]
	s_mov_b32 s7, 0xffffff
	v_cmp_lt_u32_e32 vcc, s7, v11
	v_mov_b32_e32 v18, 0
	v_mov_b32_e32 v28, 0
	s_and_saveexec_b64 s[10:11], vcc
	s_cbranch_execz .LBB558_545
; %bb.540:
	v_lshrrev_b32_e32 v10, 24, v11
	s_movk_i32 s7, 0x80
	v_cmp_ne_u32_e32 vcc, s7, v10
	v_bfrev_b32_e32 v28, 1
	s_and_saveexec_b64 s[12:13], vcc
	s_cbranch_execz .LBB558_544
; %bb.541:
	v_bfe_u32 v11, v11, 24, 7
	s_movk_i32 s7, 0x7f
	v_cmp_ne_u32_e32 vcc, s7, v11
	v_mov_b32_e32 v28, 0x7f800001
	s_and_saveexec_b64 s[14:15], vcc
	s_cbranch_execz .LBB558_543
; %bb.542:
	v_and_b32_e32 v30, 7, v10
	v_ffbh_u32_e32 v28, v30
	v_min_u32_e32 v32, 32, v28
	v_subrev_u32_e32 v28, 28, v32
	v_lshlrev_b64 v[28:29], v28, v[10:11]
	v_lshrrev_b32_e32 v31, 3, v11
	v_sub_u32_e32 v29, 29, v32
	v_and_b32_e32 v28, 7, v28
	v_cmp_gt_u32_e32 vcc, 8, v11
	v_cndmask_b32_e32 v11, v31, v29, vcc
	v_cndmask_b32_e32 v28, v30, v28, vcc
	v_lshlrev_b32_e32 v10, 24, v10
	v_bfrev_b32_e32 v29, 60
	v_lshlrev_b32_e32 v28, 20, v28
	v_and_b32_e32 v10, 0x80000000, v10
	v_lshl_add_u32 v11, v11, 23, v29
	v_or3_b32 v28, v10, v11, v28
.LBB558_543:
	s_or_b64 exec, exec, s[14:15]
.LBB558_544:
	s_or_b64 exec, exec, s[12:13]
.LBB558_545:
	s_or_b64 exec, exec, s[10:11]
	v_cvt_pkrtz_f16_f32 v10, v24, v20
	v_cvt_pkrtz_f16_f32 v11, v19, v23
	ds_read_b128 v[30:33], v22 offset:2048
	v_cmp_ne_u16_sdwa s[12:13], v12, v18 src0_sel:BYTE_0 src1_sel:DWORD
	s_waitcnt lgkmcnt(0)
	v_mfma_f32_16x16x16f16 v[14:17], v[10:11], v[30:31], v[14:17]
	v_cvt_pkrtz_f16_f32 v10, v21, v27
	v_cvt_pkrtz_f16_f32 v11, v25, v28
	s_nop 1
	v_mfma_f32_16x16x16f16 v[14:17], v[10:11], v[32:33], v[14:17]
	s_and_saveexec_b64 s[10:11], s[12:13]
	s_cbranch_execz .LBB558_551
; %bb.546:
	s_movk_i32 s7, 0x80
	v_cmp_ne_u16_sdwa s[14:15], v12, s7 src0_sel:BYTE_0 src1_sel:DWORD
	v_bfrev_b32_e32 v18, 1
	s_and_saveexec_b64 s[12:13], s[14:15]
	s_cbranch_execz .LBB558_550
; %bb.547:
	s_movk_i32 s7, 0x7f
	v_and_b32_e32 v10, 0x7f, v12
	v_cmp_ne_u32_e32 vcc, s7, v10
	v_mov_b32_e32 v18, 0x7f800001
	s_and_saveexec_b64 s[14:15], vcc
	s_cbranch_execz .LBB558_549
; %bb.548:
	v_and_b32_e32 v11, 7, v12
	v_ffbh_u32_e32 v18, v11
	v_min_u32_e32 v21, 32, v18
	v_subrev_u32_e32 v18, 28, v21
	v_lshlrev_b64 v[18:19], v18, v[12:13]
	v_lshrrev_b32_e32 v20, 3, v10
	v_sub_u32_e32 v19, 29, v21
	v_and_b32_e32 v18, 7, v18
	v_cmp_gt_u32_e32 vcc, 8, v10
	v_cndmask_b32_e32 v10, v20, v19, vcc
	v_cndmask_b32_e32 v11, v11, v18, vcc
	v_lshlrev_b32_e32 v18, 24, v12
	v_bfrev_b32_e32 v19, 60
	v_lshlrev_b32_e32 v11, 20, v11
	v_and_b32_e32 v18, 0x80000000, v18
	v_lshl_add_u32 v10, v10, 23, v19
	v_or3_b32 v18, v18, v10, v11
.LBB558_549:
	s_or_b64 exec, exec, s[14:15]
.LBB558_550:
	s_or_b64 exec, exec, s[12:13]
.LBB558_551:
	s_or_b64 exec, exec, s[10:11]
	v_lshrrev_b16_e32 v10, 8, v12
	v_cmp_ne_u16_e32 vcc, 0, v10
	v_mov_b32_e32 v11, 0
	v_mov_b32_e32 v20, 0
	s_and_saveexec_b64 s[10:11], vcc
	s_cbranch_execz .LBB558_557
; %bb.552:
	s_movk_i32 s7, 0x80
	v_cmp_ne_u16_e32 vcc, s7, v10
	v_bfrev_b32_e32 v20, 1
	s_and_saveexec_b64 s[12:13], vcc
	s_cbranch_execz .LBB558_556
; %bb.553:
	s_movk_i32 s7, 0x7f
	v_and_b32_e32 v19, 0x7f, v10
	v_cmp_ne_u32_e32 vcc, s7, v19
	v_mov_b32_e32 v20, 0x7f800001
	s_and_saveexec_b64 s[14:15], vcc
	s_cbranch_execz .LBB558_555
; %bb.554:
	v_and_b32_e32 v23, 7, v10
	v_ffbh_u32_e32 v20, v23
	v_min_u32_e32 v25, 32, v20
	v_subrev_u32_e32 v20, 28, v25
	v_lshlrev_b64 v[20:21], v20, v[10:11]
	v_lshrrev_b32_e32 v24, 3, v19
	v_sub_u32_e32 v10, 29, v25
	v_and_b32_e32 v20, 7, v20
	v_cmp_gt_u32_e32 vcc, 8, v19
	v_cndmask_b32_e32 v10, v24, v10, vcc
	v_cndmask_b32_e32 v19, v23, v20, vcc
	v_lshlrev_b32_e32 v20, 16, v12
	v_bfrev_b32_e32 v21, 60
	v_lshlrev_b32_e32 v19, 20, v19
	v_and_b32_e32 v20, 0x80000000, v20
	v_lshl_add_u32 v10, v10, 23, v21
	v_or3_b32 v20, v20, v10, v19
.LBB558_555:
	s_or_b64 exec, exec, s[14:15]
.LBB558_556:
	s_or_b64 exec, exec, s[12:13]
.LBB558_557:
	s_or_b64 exec, exec, s[10:11]
	s_movk_i32 s7, 0xff
	v_and_b32_sdwa v19, v12, s7 dst_sel:DWORD dst_unused:UNUSED_PAD src0_sel:WORD_1 src1_sel:DWORD
	v_lshrrev_b32_e32 v10, 16, v12
	v_cmp_ne_u16_e32 vcc, 0, v19
	s_and_saveexec_b64 s[10:11], vcc
	s_cbranch_execz .LBB558_563
; %bb.558:
	s_movk_i32 s7, 0x80
	v_cmp_ne_u16_e32 vcc, s7, v19
	v_bfrev_b32_e32 v11, 1
	s_and_saveexec_b64 s[12:13], vcc
	s_cbranch_execz .LBB558_562
; %bb.559:
	v_bfe_u32 v19, v12, 16, 7
	s_movk_i32 s7, 0x7f
	v_cmp_ne_u32_e32 vcc, s7, v19
	v_mov_b32_e32 v11, 0x7f800001
	s_and_saveexec_b64 s[14:15], vcc
	s_cbranch_execz .LBB558_561
; %bb.560:
	v_and_b32_e32 v21, 7, v10
	v_ffbh_u32_e32 v11, v21
	v_min_u32_e32 v24, 32, v11
	v_subrev_u32_e32 v11, 28, v24
	v_lshlrev_b64 v[10:11], v11, v[10:11]
	v_lshrrev_b32_e32 v23, 3, v19
	v_sub_u32_e32 v11, 29, v24
	v_and_b32_e32 v10, 7, v10
	v_cmp_gt_u32_e32 vcc, 8, v19
	v_mov_b32_e32 v19, 24
	v_cndmask_b32_e32 v11, v23, v11, vcc
	v_cndmask_b32_e32 v10, v21, v10, vcc
	v_lshlrev_b32_sdwa v19, v19, v12 dst_sel:DWORD dst_unused:UNUSED_PAD src0_sel:DWORD src1_sel:WORD_1
	v_bfrev_b32_e32 v21, 60
	v_lshlrev_b32_e32 v10, 20, v10
	v_and_b32_e32 v19, 0x80000000, v19
	v_lshl_add_u32 v11, v11, 23, v21
	v_or3_b32 v11, v19, v11, v10
.LBB558_561:
	s_or_b64 exec, exec, s[14:15]
.LBB558_562:
	s_or_b64 exec, exec, s[12:13]
.LBB558_563:
	s_or_b64 exec, exec, s[10:11]
	s_mov_b32 s7, 0xffffff
	v_cmp_lt_u32_e32 vcc, s7, v12
	v_mov_b32_e32 v21, 0
	v_mov_b32_e32 v23, 0
	s_and_saveexec_b64 s[10:11], vcc
	s_cbranch_execz .LBB558_569
; %bb.564:
	v_lshrrev_b32_e32 v10, 24, v12
	s_movk_i32 s7, 0x80
	v_cmp_ne_u32_e32 vcc, s7, v10
	v_bfrev_b32_e32 v23, 1
	s_and_saveexec_b64 s[12:13], vcc
	s_cbranch_execz .LBB558_568
; %bb.565:
	v_bfe_u32 v12, v12, 24, 7
	s_movk_i32 s7, 0x7f
	v_cmp_ne_u32_e32 vcc, s7, v12
	v_mov_b32_e32 v23, 0x7f800001
	s_and_saveexec_b64 s[14:15], vcc
	s_cbranch_execz .LBB558_567
; %bb.566:
	v_and_b32_e32 v19, 7, v10
	v_ffbh_u32_e32 v24, v19
	v_min_u32_e32 v27, 32, v24
	v_subrev_u32_e32 v24, 28, v27
	v_lshlrev_b64 v[24:25], v24, v[10:11]
	v_lshrrev_b32_e32 v23, 3, v12
	v_sub_u32_e32 v25, 29, v27
	v_and_b32_e32 v24, 7, v24
	v_cmp_gt_u32_e32 vcc, 8, v12
	v_cndmask_b32_e32 v12, v23, v25, vcc
	v_cndmask_b32_e32 v19, v19, v24, vcc
	v_lshlrev_b32_e32 v10, 24, v10
	v_bfrev_b32_e32 v23, 60
	v_lshlrev_b32_e32 v19, 20, v19
	v_and_b32_e32 v10, 0x80000000, v10
	v_lshl_add_u32 v12, v12, 23, v23
	v_or3_b32 v23, v10, v12, v19
.LBB558_567:
	s_or_b64 exec, exec, s[14:15]
.LBB558_568:
	s_or_b64 exec, exec, s[12:13]
.LBB558_569:
	s_or_b64 exec, exec, s[10:11]
	v_cmp_ne_u16_sdwa s[12:13], v13, v21 src0_sel:BYTE_0 src1_sel:DWORD
	s_and_saveexec_b64 s[10:11], s[12:13]
	s_cbranch_execz .LBB558_575
; %bb.570:
	s_movk_i32 s7, 0x80
	v_cmp_ne_u16_sdwa s[14:15], v13, s7 src0_sel:BYTE_0 src1_sel:DWORD
	v_bfrev_b32_e32 v21, 1
	s_and_saveexec_b64 s[12:13], s[14:15]
	s_cbranch_execz .LBB558_574
; %bb.571:
	s_movk_i32 s7, 0x7f
	v_and_b32_e32 v10, 0x7f, v13
	v_cmp_ne_u32_e32 vcc, s7, v10
	v_mov_b32_e32 v21, 0x7f800001
	s_and_saveexec_b64 s[14:15], vcc
	s_cbranch_execz .LBB558_573
; %bb.572:
	v_and_b32_e32 v19, 7, v13
	v_ffbh_u32_e32 v24, v19
	v_min_u32_e32 v27, 32, v24
	v_mov_b32_e32 v12, v13
	v_subrev_u32_e32 v24, 28, v27
	v_lshlrev_b64 v[24:25], v24, v[12:13]
	v_lshrrev_b32_e32 v21, 3, v10
	v_sub_u32_e32 v12, 29, v27
	v_and_b32_e32 v24, 7, v24
	v_cmp_gt_u32_e32 vcc, 8, v10
	v_cndmask_b32_e32 v10, v21, v12, vcc
	v_cndmask_b32_e32 v12, v19, v24, vcc
	v_lshlrev_b32_e32 v19, 24, v13
	v_bfrev_b32_e32 v21, 60
	v_lshlrev_b32_e32 v12, 20, v12
	v_and_b32_e32 v19, 0x80000000, v19
	v_lshl_add_u32 v10, v10, 23, v21
	v_or3_b32 v21, v19, v10, v12
.LBB558_573:
	s_or_b64 exec, exec, s[14:15]
.LBB558_574:
	s_or_b64 exec, exec, s[12:13]
.LBB558_575:
	s_or_b64 exec, exec, s[10:11]
	v_lshrrev_b16_e32 v10, 8, v13
	v_cmp_ne_u16_e32 vcc, 0, v10
	v_mov_b32_e32 v12, 0
	v_mov_b32_e32 v24, 0
	s_and_saveexec_b64 s[10:11], vcc
	s_cbranch_execz .LBB558_581
; %bb.576:
	s_movk_i32 s7, 0x80
	v_cmp_ne_u16_e32 vcc, s7, v10
	v_bfrev_b32_e32 v24, 1
	s_and_saveexec_b64 s[12:13], vcc
	s_cbranch_execz .LBB558_580
; %bb.577:
	s_movk_i32 s7, 0x7f
	v_and_b32_e32 v19, 0x7f, v10
	v_cmp_ne_u32_e32 vcc, s7, v19
	v_mov_b32_e32 v24, 0x7f800001
	s_and_saveexec_b64 s[14:15], vcc
	s_cbranch_execz .LBB558_579
; %bb.578:
	v_and_b32_e32 v27, 7, v10
	v_ffbh_u32_e32 v24, v27
	v_min_u32_e32 v29, 32, v24
	v_subrev_u32_e32 v24, 28, v29
	v_lshlrev_b64 v[24:25], v24, v[10:11]
	v_lshrrev_b32_e32 v28, 3, v19
	v_sub_u32_e32 v10, 29, v29
	v_and_b32_e32 v24, 7, v24
	v_cmp_gt_u32_e32 vcc, 8, v19
	v_cndmask_b32_e32 v10, v28, v10, vcc
	v_cndmask_b32_e32 v19, v27, v24, vcc
	v_lshlrev_b32_e32 v24, 16, v13
	v_bfrev_b32_e32 v25, 60
	v_lshlrev_b32_e32 v19, 20, v19
	v_and_b32_e32 v24, 0x80000000, v24
	v_lshl_add_u32 v10, v10, 23, v25
	v_or3_b32 v24, v24, v10, v19
.LBB558_579:
	s_or_b64 exec, exec, s[14:15]
.LBB558_580:
	s_or_b64 exec, exec, s[12:13]
.LBB558_581:
	s_or_b64 exec, exec, s[10:11]
	s_movk_i32 s7, 0xff
	v_and_b32_sdwa v19, v13, s7 dst_sel:DWORD dst_unused:UNUSED_PAD src0_sel:WORD_1 src1_sel:DWORD
	v_lshrrev_b32_e32 v10, 16, v13
	v_cmp_ne_u16_e32 vcc, 0, v19
	s_and_saveexec_b64 s[10:11], vcc
	s_cbranch_execz .LBB558_587
; %bb.582:
	s_movk_i32 s7, 0x80
	v_cmp_ne_u16_e32 vcc, s7, v19
	v_bfrev_b32_e32 v12, 1
	s_and_saveexec_b64 s[12:13], vcc
	s_cbranch_execz .LBB558_586
; %bb.583:
	v_bfe_u32 v19, v13, 16, 7
	s_movk_i32 s7, 0x7f
	v_cmp_ne_u32_e32 vcc, s7, v19
	v_mov_b32_e32 v12, 0x7f800001
	s_and_saveexec_b64 s[14:15], vcc
	s_cbranch_execz .LBB558_585
; %bb.584:
	v_and_b32_e32 v12, 7, v10
	v_ffbh_u32_e32 v27, v12
	v_min_u32_e32 v27, 32, v27
	v_subrev_u32_e32 v28, 28, v27
	v_lshlrev_b64 v[28:29], v28, v[10:11]
	v_lshrrev_b32_e32 v25, 3, v19
	v_sub_u32_e32 v10, 29, v27
	v_and_b32_e32 v27, 7, v28
	v_cmp_gt_u32_e32 vcc, 8, v19
	v_mov_b32_e32 v19, 24
	v_cndmask_b32_e32 v10, v25, v10, vcc
	v_cndmask_b32_e32 v12, v12, v27, vcc
	v_lshlrev_b32_sdwa v19, v19, v13 dst_sel:DWORD dst_unused:UNUSED_PAD src0_sel:DWORD src1_sel:WORD_1
	v_bfrev_b32_e32 v25, 60
	v_lshlrev_b32_e32 v12, 20, v12
	v_and_b32_e32 v19, 0x80000000, v19
	v_lshl_add_u32 v10, v10, 23, v25
	v_or3_b32 v12, v19, v10, v12
.LBB558_585:
	s_or_b64 exec, exec, s[14:15]
.LBB558_586:
	s_or_b64 exec, exec, s[12:13]
.LBB558_587:
	s_or_b64 exec, exec, s[10:11]
	s_mov_b32 s7, 0xffffff
	v_cmp_lt_u32_e32 vcc, s7, v13
	v_mov_b32_e32 v19, 0
	v_mov_b32_e32 v25, 0
	s_and_saveexec_b64 s[10:11], vcc
	s_cbranch_execz .LBB558_593
; %bb.588:
	v_lshrrev_b32_e32 v10, 24, v13
	s_movk_i32 s7, 0x80
	v_cmp_ne_u32_e32 vcc, s7, v10
	v_bfrev_b32_e32 v25, 1
	s_and_saveexec_b64 s[12:13], vcc
	s_cbranch_execz .LBB558_592
; %bb.589:
	v_bfe_u32 v13, v13, 24, 7
	s_movk_i32 s7, 0x7f
	v_cmp_ne_u32_e32 vcc, s7, v13
	v_mov_b32_e32 v25, 0x7f800001
	s_and_saveexec_b64 s[14:15], vcc
	s_cbranch_execz .LBB558_591
; %bb.590:
	v_and_b32_e32 v25, 7, v10
	v_ffbh_u32_e32 v28, v25
	v_min_u32_e32 v30, 32, v28
	v_subrev_u32_e32 v28, 28, v30
	v_lshlrev_b64 v[28:29], v28, v[10:11]
	v_lshrrev_b32_e32 v27, 3, v13
	v_sub_u32_e32 v29, 29, v30
	v_and_b32_e32 v28, 7, v28
	v_cmp_gt_u32_e32 vcc, 8, v13
	v_cndmask_b32_e32 v13, v27, v29, vcc
	v_cndmask_b32_e32 v25, v25, v28, vcc
	v_lshlrev_b32_e32 v10, 24, v10
	v_bfrev_b32_e32 v27, 60
	v_lshlrev_b32_e32 v25, 20, v25
	v_and_b32_e32 v10, 0x80000000, v10
	v_lshl_add_u32 v13, v13, 23, v27
	v_or3_b32 v25, v10, v13, v25
.LBB558_591:
	s_or_b64 exec, exec, s[14:15]
.LBB558_592:
	s_or_b64 exec, exec, s[12:13]
.LBB558_593:
	s_or_b64 exec, exec, s[10:11]
	v_cvt_pkrtz_f16_f32 v10, v18, v20
	v_cvt_pkrtz_f16_f32 v11, v11, v23
	ds_read_b128 v[28:31], v22 offset:2064
	s_waitcnt vmcnt(1)
	v_cmp_ne_u16_sdwa s[12:13], v6, v19 src0_sel:BYTE_0 src1_sel:DWORD
	s_waitcnt lgkmcnt(0)
	v_mfma_f32_16x16x16f16 v[14:17], v[10:11], v[28:29], v[14:17]
	v_cvt_pkrtz_f16_f32 v10, v21, v24
	v_cvt_pkrtz_f16_f32 v11, v12, v25
	s_nop 1
	v_mfma_f32_16x16x16f16 v[10:13], v[10:11], v[30:31], v[14:17]
	s_and_saveexec_b64 s[10:11], s[12:13]
	s_cbranch_execz .LBB558_599
; %bb.594:
	s_movk_i32 s7, 0x80
	v_cmp_ne_u16_sdwa s[14:15], v6, s7 src0_sel:BYTE_0 src1_sel:DWORD
	v_bfrev_b32_e32 v19, 1
	s_and_saveexec_b64 s[12:13], s[14:15]
	s_cbranch_execz .LBB558_598
; %bb.595:
	s_movk_i32 s7, 0x7f
	v_and_b32_e32 v14, 0x7f, v6
	v_cmp_ne_u32_e32 vcc, s7, v14
	v_mov_b32_e32 v19, 0x7f800001
	s_and_saveexec_b64 s[14:15], vcc
	s_cbranch_execz .LBB558_597
; %bb.596:
	v_and_b32_e32 v15, 7, v6
	v_ffbh_u32_e32 v16, v15
	v_min_u32_e32 v19, 32, v16
	v_subrev_u32_e32 v16, 28, v19
	v_lshlrev_b64 v[16:17], v16, v[6:7]
	v_lshrrev_b32_e32 v18, 3, v14
	v_sub_u32_e32 v17, 29, v19
	v_and_b32_e32 v16, 7, v16
	v_cmp_gt_u32_e32 vcc, 8, v14
	v_cndmask_b32_e32 v14, v18, v17, vcc
	v_cndmask_b32_e32 v15, v15, v16, vcc
	v_lshlrev_b32_e32 v16, 24, v6
	v_bfrev_b32_e32 v17, 60
	v_lshlrev_b32_e32 v15, 20, v15
	v_and_b32_e32 v16, 0x80000000, v16
	v_lshl_add_u32 v14, v14, 23, v17
	v_or3_b32 v19, v16, v14, v15
.LBB558_597:
	s_or_b64 exec, exec, s[14:15]
.LBB558_598:
	s_or_b64 exec, exec, s[12:13]
.LBB558_599:
	s_or_b64 exec, exec, s[10:11]
	s_nop 3
	v_lshrrev_b16_e32 v14, 8, v6
	v_cmp_ne_u16_e32 vcc, 0, v14
	v_mov_b32_e32 v15, 0
	v_mov_b32_e32 v16, 0
	s_and_saveexec_b64 s[10:11], vcc
	s_cbranch_execz .LBB558_605
; %bb.600:
	s_movk_i32 s7, 0x80
	v_cmp_ne_u16_e32 vcc, s7, v14
	v_bfrev_b32_e32 v16, 1
	s_and_saveexec_b64 s[12:13], vcc
	s_cbranch_execz .LBB558_604
; %bb.601:
	s_movk_i32 s7, 0x7f
	v_and_b32_e32 v17, 0x7f, v14
	v_cmp_ne_u32_e32 vcc, s7, v17
	v_mov_b32_e32 v16, 0x7f800001
	s_and_saveexec_b64 s[14:15], vcc
	s_cbranch_execz .LBB558_603
; %bb.602:
	v_and_b32_e32 v16, 7, v14
	v_ffbh_u32_e32 v20, v16
	v_min_u32_e32 v23, 32, v20
	v_subrev_u32_e32 v20, 28, v23
	v_lshlrev_b64 v[20:21], v20, v[14:15]
	v_lshrrev_b32_e32 v18, 3, v17
	v_sub_u32_e32 v14, 29, v23
	v_and_b32_e32 v20, 7, v20
	v_cmp_gt_u32_e32 vcc, 8, v17
	v_cndmask_b32_e32 v14, v18, v14, vcc
	v_cndmask_b32_e32 v16, v16, v20, vcc
	v_lshlrev_b32_e32 v17, 16, v6
	v_bfrev_b32_e32 v18, 60
	v_lshlrev_b32_e32 v16, 20, v16
	v_and_b32_e32 v17, 0x80000000, v17
	v_lshl_add_u32 v14, v14, 23, v18
	v_or3_b32 v16, v17, v14, v16
.LBB558_603:
	s_or_b64 exec, exec, s[14:15]
.LBB558_604:
	s_or_b64 exec, exec, s[12:13]
.LBB558_605:
	s_or_b64 exec, exec, s[10:11]
	s_movk_i32 s7, 0xff
	v_and_b32_sdwa v17, v6, s7 dst_sel:DWORD dst_unused:UNUSED_PAD src0_sel:WORD_1 src1_sel:DWORD
	v_lshrrev_b32_e32 v14, 16, v6
	v_cmp_ne_u16_e32 vcc, 0, v17
	s_and_saveexec_b64 s[10:11], vcc
	s_cbranch_execz .LBB558_611
; %bb.606:
	s_movk_i32 s7, 0x80
	v_cmp_ne_u16_e32 vcc, s7, v17
	v_bfrev_b32_e32 v15, 1
	s_and_saveexec_b64 s[12:13], vcc
	s_cbranch_execz .LBB558_610
; %bb.607:
	v_bfe_u32 v17, v6, 16, 7
	s_movk_i32 s7, 0x7f
	v_cmp_ne_u32_e32 vcc, s7, v17
	v_mov_b32_e32 v15, 0x7f800001
	s_and_saveexec_b64 s[14:15], vcc
	s_cbranch_execz .LBB558_609
; %bb.608:
	v_and_b32_e32 v18, 7, v14
	v_ffbh_u32_e32 v15, v18
	v_min_u32_e32 v21, 32, v15
	v_subrev_u32_e32 v15, 28, v21
	v_lshlrev_b64 v[14:15], v15, v[14:15]
	v_lshrrev_b32_e32 v20, 3, v17
	v_sub_u32_e32 v15, 29, v21
	v_and_b32_e32 v14, 7, v14
	v_cmp_gt_u32_e32 vcc, 8, v17
	v_mov_b32_e32 v17, 24
	v_cndmask_b32_e32 v15, v20, v15, vcc
	v_cndmask_b32_e32 v14, v18, v14, vcc
	v_lshlrev_b32_sdwa v17, v17, v6 dst_sel:DWORD dst_unused:UNUSED_PAD src0_sel:DWORD src1_sel:WORD_1
	v_bfrev_b32_e32 v18, 60
	v_lshlrev_b32_e32 v14, 20, v14
	v_and_b32_e32 v17, 0x80000000, v17
	v_lshl_add_u32 v15, v15, 23, v18
	v_or3_b32 v15, v17, v15, v14
.LBB558_609:
	s_or_b64 exec, exec, s[14:15]
.LBB558_610:
	s_or_b64 exec, exec, s[12:13]
.LBB558_611:
	s_or_b64 exec, exec, s[10:11]
	s_mov_b32 s7, 0xffffff
	v_cmp_lt_u32_e32 vcc, s7, v6
	v_mov_b32_e32 v17, 0
	v_mov_b32_e32 v18, 0
	s_and_saveexec_b64 s[10:11], vcc
	s_cbranch_execz .LBB558_617
; %bb.612:
	v_lshrrev_b32_e32 v14, 24, v6
	s_movk_i32 s7, 0x80
	v_cmp_ne_u32_e32 vcc, s7, v14
	v_bfrev_b32_e32 v18, 1
	s_and_saveexec_b64 s[12:13], vcc
	s_cbranch_execz .LBB558_616
; %bb.613:
	v_bfe_u32 v6, v6, 24, 7
	s_movk_i32 s7, 0x7f
	v_cmp_ne_u32_e32 vcc, s7, v6
	v_mov_b32_e32 v18, 0x7f800001
	s_and_saveexec_b64 s[14:15], vcc
	s_cbranch_execz .LBB558_615
; %bb.614:
	v_and_b32_e32 v18, 7, v14
	v_ffbh_u32_e32 v20, v18
	v_min_u32_e32 v24, 32, v20
	v_subrev_u32_e32 v20, 28, v24
	v_lshlrev_b64 v[20:21], v20, v[14:15]
	v_lshrrev_b32_e32 v23, 3, v6
	v_sub_u32_e32 v21, 29, v24
	v_and_b32_e32 v20, 7, v20
	v_cmp_gt_u32_e32 vcc, 8, v6
	v_cndmask_b32_e32 v6, v23, v21, vcc
	v_cndmask_b32_e32 v18, v18, v20, vcc
	v_lshlrev_b32_e32 v14, 24, v14
	v_bfrev_b32_e32 v20, 60
	v_lshlrev_b32_e32 v18, 20, v18
	v_and_b32_e32 v14, 0x80000000, v14
	v_lshl_add_u32 v6, v6, 23, v20
	v_or3_b32 v18, v14, v6, v18
.LBB558_615:
	s_or_b64 exec, exec, s[14:15]
.LBB558_616:
	s_or_b64 exec, exec, s[12:13]
.LBB558_617:
	s_or_b64 exec, exec, s[10:11]
	v_cmp_ne_u16_sdwa s[12:13], v7, v17 src0_sel:BYTE_0 src1_sel:DWORD
	s_and_saveexec_b64 s[10:11], s[12:13]
	s_cbranch_execz .LBB558_623
; %bb.618:
	s_movk_i32 s7, 0x80
	v_cmp_ne_u16_sdwa s[14:15], v7, s7 src0_sel:BYTE_0 src1_sel:DWORD
	v_bfrev_b32_e32 v17, 1
	s_and_saveexec_b64 s[12:13], s[14:15]
	s_cbranch_execz .LBB558_622
; %bb.619:
	s_movk_i32 s7, 0x7f
	v_and_b32_e32 v6, 0x7f, v7
	v_cmp_ne_u32_e32 vcc, s7, v6
	v_mov_b32_e32 v17, 0x7f800001
	s_and_saveexec_b64 s[14:15], vcc
	s_cbranch_execz .LBB558_621
; %bb.620:
	v_and_b32_e32 v17, 7, v7
	v_ffbh_u32_e32 v20, v17
	v_min_u32_e32 v24, 32, v20
	v_mov_b32_e32 v14, v7
	v_subrev_u32_e32 v20, 28, v24
	v_lshlrev_b64 v[20:21], v20, v[14:15]
	v_lshrrev_b32_e32 v23, 3, v6
	v_sub_u32_e32 v14, 29, v24
	v_and_b32_e32 v20, 7, v20
	v_cmp_gt_u32_e32 vcc, 8, v6
	v_cndmask_b32_e32 v6, v23, v14, vcc
	v_cndmask_b32_e32 v14, v17, v20, vcc
	v_lshlrev_b32_e32 v17, 24, v7
	v_bfrev_b32_e32 v20, 60
	v_lshlrev_b32_e32 v14, 20, v14
	v_and_b32_e32 v17, 0x80000000, v17
	v_lshl_add_u32 v6, v6, 23, v20
	v_or3_b32 v17, v17, v6, v14
.LBB558_621:
	s_or_b64 exec, exec, s[14:15]
.LBB558_622:
	s_or_b64 exec, exec, s[12:13]
.LBB558_623:
	s_or_b64 exec, exec, s[10:11]
	v_lshrrev_b16_e32 v6, 8, v7
	v_cmp_ne_u16_e32 vcc, 0, v6
	v_mov_b32_e32 v20, 0
	v_mov_b32_e32 v21, 0
	s_and_saveexec_b64 s[10:11], vcc
	s_cbranch_execz .LBB558_629
; %bb.624:
	s_movk_i32 s7, 0x80
	v_cmp_ne_u16_e32 vcc, s7, v6
	v_bfrev_b32_e32 v21, 1
	s_and_saveexec_b64 s[12:13], vcc
	s_cbranch_execz .LBB558_628
; %bb.625:
	s_movk_i32 s7, 0x7f
	v_and_b32_e32 v14, 0x7f, v6
	v_cmp_ne_u32_e32 vcc, s7, v14
	v_mov_b32_e32 v21, 0x7f800001
	s_and_saveexec_b64 s[14:15], vcc
	s_cbranch_execz .LBB558_627
; %bb.626:
	v_and_b32_e32 v21, 7, v6
	v_ffbh_u32_e32 v24, v21
	v_min_u32_e32 v27, 32, v24
	v_subrev_u32_e32 v24, 28, v27
	v_lshlrev_b64 v[24:25], v24, v[6:7]
	v_lshrrev_b32_e32 v23, 3, v14
	v_sub_u32_e32 v6, 29, v27
	v_and_b32_e32 v24, 7, v24
	v_cmp_gt_u32_e32 vcc, 8, v14
	v_cndmask_b32_e32 v6, v23, v6, vcc
	v_cndmask_b32_e32 v14, v21, v24, vcc
	v_lshlrev_b32_e32 v21, 16, v7
	v_bfrev_b32_e32 v23, 60
	v_lshlrev_b32_e32 v14, 20, v14
	v_and_b32_e32 v21, 0x80000000, v21
	v_lshl_add_u32 v6, v6, 23, v23
	v_or3_b32 v21, v21, v6, v14
.LBB558_627:
	s_or_b64 exec, exec, s[14:15]
.LBB558_628:
	s_or_b64 exec, exec, s[12:13]
.LBB558_629:
	s_or_b64 exec, exec, s[10:11]
	s_movk_i32 s7, 0xff
	v_and_b32_sdwa v14, v7, s7 dst_sel:DWORD dst_unused:UNUSED_PAD src0_sel:WORD_1 src1_sel:DWORD
	v_lshrrev_b32_e32 v6, 16, v7
	v_cmp_ne_u16_e32 vcc, 0, v14
	s_and_saveexec_b64 s[10:11], vcc
	s_cbranch_execz .LBB558_635
; %bb.630:
	s_movk_i32 s7, 0x80
	v_cmp_ne_u16_e32 vcc, s7, v14
	v_bfrev_b32_e32 v20, 1
	s_and_saveexec_b64 s[12:13], vcc
	s_cbranch_execz .LBB558_634
; %bb.631:
	v_bfe_u32 v14, v7, 16, 7
	s_movk_i32 s7, 0x7f
	v_cmp_ne_u32_e32 vcc, s7, v14
	v_mov_b32_e32 v20, 0x7f800001
	s_and_saveexec_b64 s[14:15], vcc
	s_cbranch_execz .LBB558_633
; %bb.632:
	v_and_b32_e32 v20, 7, v6
	v_ffbh_u32_e32 v24, v20
	v_min_u32_e32 v27, 32, v24
	v_subrev_u32_e32 v24, 28, v27
	v_lshlrev_b64 v[24:25], v24, v[6:7]
	v_and_b32_e32 v24, 7, v24
	v_cmp_gt_u32_e32 vcc, 8, v14
	v_lshrrev_b32_e32 v23, 3, v14
	v_sub_u32_e32 v6, 29, v27
	v_cndmask_b32_e32 v14, v20, v24, vcc
	v_mov_b32_e32 v20, 24
	v_cndmask_b32_e32 v6, v23, v6, vcc
	v_lshlrev_b32_sdwa v20, v20, v7 dst_sel:DWORD dst_unused:UNUSED_PAD src0_sel:DWORD src1_sel:WORD_1
	v_bfrev_b32_e32 v23, 60
	v_lshlrev_b32_e32 v14, 20, v14
	v_and_b32_e32 v20, 0x80000000, v20
	v_lshl_add_u32 v6, v6, 23, v23
	v_or3_b32 v20, v20, v6, v14
.LBB558_633:
	s_or_b64 exec, exec, s[14:15]
.LBB558_634:
	s_or_b64 exec, exec, s[12:13]
.LBB558_635:
	s_or_b64 exec, exec, s[10:11]
	s_mov_b32 s7, 0xffffff
	v_cmp_lt_u32_e32 vcc, s7, v7
	v_mov_b32_e32 v14, 0
	v_mov_b32_e32 v23, 0
	s_and_saveexec_b64 s[10:11], vcc
	s_cbranch_execz .LBB558_641
; %bb.636:
	v_lshrrev_b32_e32 v6, 24, v7
	s_movk_i32 s7, 0x80
	v_cmp_ne_u32_e32 vcc, s7, v6
	v_bfrev_b32_e32 v23, 1
	s_and_saveexec_b64 s[12:13], vcc
	s_cbranch_execz .LBB558_640
; %bb.637:
	v_bfe_u32 v7, v7, 24, 7
	s_movk_i32 s7, 0x7f
	v_cmp_ne_u32_e32 vcc, s7, v7
	v_mov_b32_e32 v23, 0x7f800001
	s_and_saveexec_b64 s[14:15], vcc
	s_cbranch_execz .LBB558_639
; %bb.638:
	v_and_b32_e32 v23, 7, v6
	v_ffbh_u32_e32 v24, v23
	v_min_u32_e32 v28, 32, v24
	v_subrev_u32_e32 v24, 28, v28
	v_lshlrev_b64 v[24:25], v24, v[6:7]
	v_lshrrev_b32_e32 v27, 3, v7
	v_sub_u32_e32 v25, 29, v28
	v_and_b32_e32 v24, 7, v24
	v_cmp_gt_u32_e32 vcc, 8, v7
	v_cndmask_b32_e32 v7, v27, v25, vcc
	v_cndmask_b32_e32 v23, v23, v24, vcc
	v_lshlrev_b32_e32 v6, 24, v6
	v_bfrev_b32_e32 v24, 60
	v_lshlrev_b32_e32 v23, 20, v23
	v_and_b32_e32 v6, 0x80000000, v6
	v_lshl_add_u32 v7, v7, 23, v24
	v_or3_b32 v23, v6, v7, v23
.LBB558_639:
	s_or_b64 exec, exec, s[14:15]
.LBB558_640:
	s_or_b64 exec, exec, s[12:13]
.LBB558_641:
	s_or_b64 exec, exec, s[10:11]
	v_cvt_pkrtz_f16_f32 v6, v19, v16
	v_cvt_pkrtz_f16_f32 v7, v15, v18
	ds_read_b128 v[28:31], v22 offset:4096
	v_cmp_ne_u16_sdwa s[12:13], v8, v14 src0_sel:BYTE_0 src1_sel:DWORD
	s_waitcnt lgkmcnt(0)
	v_mfma_f32_16x16x16f16 v[10:13], v[6:7], v[28:29], v[10:13]
	v_cvt_pkrtz_f16_f32 v6, v17, v21
	v_cvt_pkrtz_f16_f32 v7, v20, v23
	s_nop 1
	v_mfma_f32_16x16x16f16 v[10:13], v[6:7], v[30:31], v[10:13]
	s_and_saveexec_b64 s[10:11], s[12:13]
	s_cbranch_execz .LBB558_647
; %bb.642:
	s_movk_i32 s7, 0x80
	v_cmp_ne_u16_sdwa s[14:15], v8, s7 src0_sel:BYTE_0 src1_sel:DWORD
	v_bfrev_b32_e32 v14, 1
	s_and_saveexec_b64 s[12:13], s[14:15]
	s_cbranch_execz .LBB558_646
; %bb.643:
	s_movk_i32 s7, 0x7f
	v_and_b32_e32 v6, 0x7f, v8
	v_cmp_ne_u32_e32 vcc, s7, v6
	v_mov_b32_e32 v14, 0x7f800001
	s_and_saveexec_b64 s[14:15], vcc
	s_cbranch_execz .LBB558_645
; %bb.644:
	v_and_b32_e32 v7, 7, v8
	v_ffbh_u32_e32 v14, v7
	v_min_u32_e32 v17, 32, v14
	v_subrev_u32_e32 v14, 28, v17
	v_lshlrev_b64 v[14:15], v14, v[8:9]
	v_lshrrev_b32_e32 v16, 3, v6
	v_sub_u32_e32 v15, 29, v17
	v_and_b32_e32 v14, 7, v14
	v_cmp_gt_u32_e32 vcc, 8, v6
	v_cndmask_b32_e32 v6, v16, v15, vcc
	v_cndmask_b32_e32 v7, v7, v14, vcc
	v_lshlrev_b32_e32 v14, 24, v8
	v_bfrev_b32_e32 v15, 60
	v_lshlrev_b32_e32 v7, 20, v7
	v_and_b32_e32 v14, 0x80000000, v14
	v_lshl_add_u32 v6, v6, 23, v15
	v_or3_b32 v14, v14, v6, v7
.LBB558_645:
	s_or_b64 exec, exec, s[14:15]
.LBB558_646:
	s_or_b64 exec, exec, s[12:13]
.LBB558_647:
	s_or_b64 exec, exec, s[10:11]
	v_lshrrev_b16_e32 v6, 8, v8
	v_cmp_ne_u16_e32 vcc, 0, v6
	v_mov_b32_e32 v7, 0
	v_mov_b32_e32 v16, 0
	s_and_saveexec_b64 s[10:11], vcc
	s_cbranch_execz .LBB558_653
; %bb.648:
	s_movk_i32 s7, 0x80
	v_cmp_ne_u16_e32 vcc, s7, v6
	v_bfrev_b32_e32 v16, 1
	s_and_saveexec_b64 s[12:13], vcc
	s_cbranch_execz .LBB558_652
; %bb.649:
	s_movk_i32 s7, 0x7f
	v_and_b32_e32 v15, 0x7f, v6
	v_cmp_ne_u32_e32 vcc, s7, v15
	v_mov_b32_e32 v16, 0x7f800001
	s_and_saveexec_b64 s[14:15], vcc
	s_cbranch_execz .LBB558_651
; %bb.650:
	v_and_b32_e32 v18, 7, v6
	v_ffbh_u32_e32 v16, v18
	v_min_u32_e32 v20, 32, v16
	v_subrev_u32_e32 v16, 28, v20
	v_lshlrev_b64 v[16:17], v16, v[6:7]
	v_lshrrev_b32_e32 v19, 3, v15
	v_sub_u32_e32 v6, 29, v20
	v_and_b32_e32 v16, 7, v16
	v_cmp_gt_u32_e32 vcc, 8, v15
	v_cndmask_b32_e32 v6, v19, v6, vcc
	v_cndmask_b32_e32 v15, v18, v16, vcc
	v_lshlrev_b32_e32 v16, 16, v8
	v_bfrev_b32_e32 v17, 60
	v_lshlrev_b32_e32 v15, 20, v15
	v_and_b32_e32 v16, 0x80000000, v16
	v_lshl_add_u32 v6, v6, 23, v17
	v_or3_b32 v16, v16, v6, v15
.LBB558_651:
	s_or_b64 exec, exec, s[14:15]
.LBB558_652:
	s_or_b64 exec, exec, s[12:13]
.LBB558_653:
	s_or_b64 exec, exec, s[10:11]
	s_movk_i32 s7, 0xff
	v_and_b32_sdwa v15, v8, s7 dst_sel:DWORD dst_unused:UNUSED_PAD src0_sel:WORD_1 src1_sel:DWORD
	v_lshrrev_b32_e32 v6, 16, v8
	v_cmp_ne_u16_e32 vcc, 0, v15
	s_and_saveexec_b64 s[10:11], vcc
	s_cbranch_execz .LBB558_659
; %bb.654:
	s_movk_i32 s7, 0x80
	v_cmp_ne_u16_e32 vcc, s7, v15
	v_bfrev_b32_e32 v7, 1
	s_and_saveexec_b64 s[12:13], vcc
	s_cbranch_execz .LBB558_658
; %bb.655:
	v_bfe_u32 v15, v8, 16, 7
	s_movk_i32 s7, 0x7f
	v_cmp_ne_u32_e32 vcc, s7, v15
	v_mov_b32_e32 v7, 0x7f800001
	s_and_saveexec_b64 s[14:15], vcc
	s_cbranch_execz .LBB558_657
; %bb.656:
	v_and_b32_e32 v17, 7, v6
	v_ffbh_u32_e32 v7, v17
	v_min_u32_e32 v19, 32, v7
	v_subrev_u32_e32 v7, 28, v19
	v_lshlrev_b64 v[6:7], v7, v[6:7]
	v_lshrrev_b32_e32 v18, 3, v15
	v_sub_u32_e32 v7, 29, v19
	v_and_b32_e32 v6, 7, v6
	v_cmp_gt_u32_e32 vcc, 8, v15
	v_mov_b32_e32 v15, 24
	v_cndmask_b32_e32 v7, v18, v7, vcc
	v_cndmask_b32_e32 v6, v17, v6, vcc
	v_lshlrev_b32_sdwa v15, v15, v8 dst_sel:DWORD dst_unused:UNUSED_PAD src0_sel:DWORD src1_sel:WORD_1
	v_bfrev_b32_e32 v17, 60
	v_lshlrev_b32_e32 v6, 20, v6
	v_and_b32_e32 v15, 0x80000000, v15
	v_lshl_add_u32 v7, v7, 23, v17
	v_or3_b32 v7, v15, v7, v6
.LBB558_657:
	s_or_b64 exec, exec, s[14:15]
.LBB558_658:
	s_or_b64 exec, exec, s[12:13]
.LBB558_659:
	s_or_b64 exec, exec, s[10:11]
	s_mov_b32 s7, 0xffffff
	v_cmp_lt_u32_e32 vcc, s7, v8
	v_mov_b32_e32 v17, 0
	v_mov_b32_e32 v18, 0
	s_and_saveexec_b64 s[10:11], vcc
	s_cbranch_execz .LBB558_665
; %bb.660:
	v_lshrrev_b32_e32 v6, 24, v8
	s_movk_i32 s7, 0x80
	v_cmp_ne_u32_e32 vcc, s7, v6
	v_bfrev_b32_e32 v18, 1
	s_and_saveexec_b64 s[12:13], vcc
	s_cbranch_execz .LBB558_664
; %bb.661:
	v_bfe_u32 v8, v8, 24, 7
	s_movk_i32 s7, 0x7f
	v_cmp_ne_u32_e32 vcc, s7, v8
	v_mov_b32_e32 v18, 0x7f800001
	s_and_saveexec_b64 s[14:15], vcc
	s_cbranch_execz .LBB558_663
; %bb.662:
	v_and_b32_e32 v15, 7, v6
	v_ffbh_u32_e32 v18, v15
	v_min_u32_e32 v21, 32, v18
	v_subrev_u32_e32 v18, 28, v21
	v_lshlrev_b64 v[18:19], v18, v[6:7]
	v_lshrrev_b32_e32 v20, 3, v8
	v_sub_u32_e32 v19, 29, v21
	v_and_b32_e32 v18, 7, v18
	v_cmp_gt_u32_e32 vcc, 8, v8
	v_cndmask_b32_e32 v8, v20, v19, vcc
	v_cndmask_b32_e32 v15, v15, v18, vcc
	v_lshlrev_b32_e32 v6, 24, v6
	v_bfrev_b32_e32 v18, 60
	v_lshlrev_b32_e32 v15, 20, v15
	v_and_b32_e32 v6, 0x80000000, v6
	v_lshl_add_u32 v8, v8, 23, v18
	v_or3_b32 v18, v6, v8, v15
.LBB558_663:
	s_or_b64 exec, exec, s[14:15]
.LBB558_664:
	s_or_b64 exec, exec, s[12:13]
.LBB558_665:
	s_or_b64 exec, exec, s[10:11]
	v_cmp_ne_u16_sdwa s[12:13], v9, v17 src0_sel:BYTE_0 src1_sel:DWORD
	s_and_saveexec_b64 s[10:11], s[12:13]
	s_cbranch_execz .LBB558_671
; %bb.666:
	s_movk_i32 s7, 0x80
	v_cmp_ne_u16_sdwa s[14:15], v9, s7 src0_sel:BYTE_0 src1_sel:DWORD
	v_bfrev_b32_e32 v17, 1
	s_and_saveexec_b64 s[12:13], s[14:15]
	s_cbranch_execz .LBB558_670
; %bb.667:
	s_movk_i32 s7, 0x7f
	v_and_b32_e32 v6, 0x7f, v9
	v_cmp_ne_u32_e32 vcc, s7, v6
	v_mov_b32_e32 v17, 0x7f800001
	s_and_saveexec_b64 s[14:15], vcc
	s_cbranch_execz .LBB558_669
; %bb.668:
	v_and_b32_e32 v15, 7, v9
	v_ffbh_u32_e32 v19, v15
	v_min_u32_e32 v19, 32, v19
	v_mov_b32_e32 v8, v9
	v_subrev_u32_e32 v20, 28, v19
	v_lshlrev_b64 v[20:21], v20, v[8:9]
	v_lshrrev_b32_e32 v17, 3, v6
	v_sub_u32_e32 v8, 29, v19
	v_and_b32_e32 v19, 7, v20
	v_cmp_gt_u32_e32 vcc, 8, v6
	v_cndmask_b32_e32 v6, v17, v8, vcc
	v_cndmask_b32_e32 v8, v15, v19, vcc
	v_lshlrev_b32_e32 v15, 24, v9
	v_bfrev_b32_e32 v17, 60
	v_lshlrev_b32_e32 v8, 20, v8
	v_and_b32_e32 v15, 0x80000000, v15
	v_lshl_add_u32 v6, v6, 23, v17
	v_or3_b32 v17, v15, v6, v8
.LBB558_669:
	s_or_b64 exec, exec, s[14:15]
.LBB558_670:
	s_or_b64 exec, exec, s[12:13]
.LBB558_671:
	s_or_b64 exec, exec, s[10:11]
	v_lshrrev_b16_e32 v6, 8, v9
	v_cmp_ne_u16_e32 vcc, 0, v6
	v_mov_b32_e32 v8, 0
	v_mov_b32_e32 v19, 0
	s_and_saveexec_b64 s[10:11], vcc
	s_cbranch_execz .LBB558_677
; %bb.672:
	s_movk_i32 s7, 0x80
	v_cmp_ne_u16_e32 vcc, s7, v6
	v_bfrev_b32_e32 v19, 1
	s_and_saveexec_b64 s[12:13], vcc
	s_cbranch_execz .LBB558_676
; %bb.673:
	s_movk_i32 s7, 0x7f
	v_and_b32_e32 v15, 0x7f, v6
	v_cmp_ne_u32_e32 vcc, s7, v15
	v_mov_b32_e32 v19, 0x7f800001
	s_and_saveexec_b64 s[14:15], vcc
	s_cbranch_execz .LBB558_675
; %bb.674:
	v_and_b32_e32 v19, 7, v6
	v_ffbh_u32_e32 v20, v19
	v_min_u32_e32 v24, 32, v20
	v_subrev_u32_e32 v20, 28, v24
	v_lshlrev_b64 v[20:21], v20, v[6:7]
	v_lshrrev_b32_e32 v23, 3, v15
	v_sub_u32_e32 v6, 29, v24
	v_and_b32_e32 v20, 7, v20
	v_cmp_gt_u32_e32 vcc, 8, v15
	v_cndmask_b32_e32 v6, v23, v6, vcc
	v_cndmask_b32_e32 v15, v19, v20, vcc
	v_lshlrev_b32_e32 v19, 16, v9
	v_bfrev_b32_e32 v20, 60
	v_lshlrev_b32_e32 v15, 20, v15
	v_and_b32_e32 v19, 0x80000000, v19
	v_lshl_add_u32 v6, v6, 23, v20
	v_or3_b32 v19, v19, v6, v15
.LBB558_675:
	s_or_b64 exec, exec, s[14:15]
.LBB558_676:
	s_or_b64 exec, exec, s[12:13]
.LBB558_677:
	s_or_b64 exec, exec, s[10:11]
	s_movk_i32 s7, 0xff
	v_and_b32_sdwa v15, v9, s7 dst_sel:DWORD dst_unused:UNUSED_PAD src0_sel:WORD_1 src1_sel:DWORD
	v_lshrrev_b32_e32 v6, 16, v9
	v_cmp_ne_u16_e32 vcc, 0, v15
	s_and_saveexec_b64 s[10:11], vcc
	s_cbranch_execz .LBB558_683
; %bb.678:
	s_movk_i32 s7, 0x80
	v_cmp_ne_u16_e32 vcc, s7, v15
	v_bfrev_b32_e32 v8, 1
	s_and_saveexec_b64 s[12:13], vcc
	s_cbranch_execz .LBB558_682
; %bb.679:
	v_bfe_u32 v15, v9, 16, 7
	s_movk_i32 s7, 0x7f
	v_cmp_ne_u32_e32 vcc, s7, v15
	v_mov_b32_e32 v8, 0x7f800001
	s_and_saveexec_b64 s[14:15], vcc
	s_cbranch_execz .LBB558_681
; %bb.680:
	v_and_b32_e32 v8, 7, v6
	v_ffbh_u32_e32 v20, v8
	v_min_u32_e32 v24, 32, v20
	v_subrev_u32_e32 v20, 28, v24
	v_lshlrev_b64 v[20:21], v20, v[6:7]
	v_lshrrev_b32_e32 v23, 3, v15
	v_sub_u32_e32 v6, 29, v24
	v_and_b32_e32 v20, 7, v20
	v_cmp_gt_u32_e32 vcc, 8, v15
	v_mov_b32_e32 v15, 24
	v_cndmask_b32_e32 v6, v23, v6, vcc
	v_cndmask_b32_e32 v8, v8, v20, vcc
	v_lshlrev_b32_sdwa v15, v15, v9 dst_sel:DWORD dst_unused:UNUSED_PAD src0_sel:DWORD src1_sel:WORD_1
	v_bfrev_b32_e32 v20, 60
	v_lshlrev_b32_e32 v8, 20, v8
	v_and_b32_e32 v15, 0x80000000, v15
	v_lshl_add_u32 v6, v6, 23, v20
	v_or3_b32 v8, v15, v6, v8
.LBB558_681:
	s_or_b64 exec, exec, s[14:15]
.LBB558_682:
	s_or_b64 exec, exec, s[12:13]
.LBB558_683:
	s_or_b64 exec, exec, s[10:11]
	s_mov_b32 s7, 0xffffff
	v_cmp_lt_u32_e32 vcc, s7, v9
	v_mov_b32_e32 v15, 0
	v_mov_b32_e32 v20, 0
	s_and_saveexec_b64 s[10:11], vcc
	s_cbranch_execz .LBB558_689
; %bb.684:
	v_lshrrev_b32_e32 v6, 24, v9
	s_movk_i32 s7, 0x80
	v_cmp_ne_u32_e32 vcc, s7, v6
	v_bfrev_b32_e32 v20, 1
	s_and_saveexec_b64 s[12:13], vcc
	s_cbranch_execz .LBB558_688
; %bb.685:
	v_bfe_u32 v9, v9, 24, 7
	s_movk_i32 s7, 0x7f
	v_cmp_ne_u32_e32 vcc, s7, v9
	v_mov_b32_e32 v20, 0x7f800001
	s_and_saveexec_b64 s[14:15], vcc
	s_cbranch_execz .LBB558_687
; %bb.686:
	v_and_b32_e32 v23, 7, v6
	v_ffbh_u32_e32 v20, v23
	v_min_u32_e32 v25, 32, v20
	v_subrev_u32_e32 v20, 28, v25
	v_lshlrev_b64 v[20:21], v20, v[6:7]
	v_lshrrev_b32_e32 v24, 3, v9
	v_sub_u32_e32 v21, 29, v25
	v_and_b32_e32 v20, 7, v20
	v_cmp_gt_u32_e32 vcc, 8, v9
	v_cndmask_b32_e32 v9, v24, v21, vcc
	v_cndmask_b32_e32 v20, v23, v20, vcc
	v_lshlrev_b32_e32 v6, 24, v6
	v_bfrev_b32_e32 v21, 60
	v_lshlrev_b32_e32 v20, 20, v20
	v_and_b32_e32 v6, 0x80000000, v6
	v_lshl_add_u32 v9, v9, 23, v21
	v_or3_b32 v20, v6, v9, v20
.LBB558_687:
	s_or_b64 exec, exec, s[14:15]
.LBB558_688:
	s_or_b64 exec, exec, s[12:13]
.LBB558_689:
	s_or_b64 exec, exec, s[10:11]
	v_cvt_pkrtz_f16_f32 v6, v14, v16
	v_cvt_pkrtz_f16_f32 v7, v7, v18
	ds_read_b128 v[28:31], v22 offset:4112
	s_waitcnt vmcnt(0)
	v_cmp_ne_u16_sdwa s[12:13], v2, v15 src0_sel:BYTE_0 src1_sel:DWORD
	s_waitcnt lgkmcnt(0)
	v_mfma_f32_16x16x16f16 v[10:13], v[6:7], v[28:29], v[10:13]
	v_cvt_pkrtz_f16_f32 v6, v17, v19
	v_cvt_pkrtz_f16_f32 v7, v8, v20
	s_nop 1
	v_mfma_f32_16x16x16f16 v[6:9], v[6:7], v[30:31], v[10:13]
	s_and_saveexec_b64 s[10:11], s[12:13]
	s_cbranch_execz .LBB558_695
; %bb.690:
	s_movk_i32 s7, 0x80
	v_cmp_ne_u16_sdwa s[14:15], v2, s7 src0_sel:BYTE_0 src1_sel:DWORD
	v_bfrev_b32_e32 v15, 1
	s_and_saveexec_b64 s[12:13], s[14:15]
	s_cbranch_execz .LBB558_694
; %bb.691:
	s_movk_i32 s7, 0x7f
	v_and_b32_e32 v10, 0x7f, v2
	v_cmp_ne_u32_e32 vcc, s7, v10
	v_mov_b32_e32 v15, 0x7f800001
	s_and_saveexec_b64 s[14:15], vcc
	s_cbranch_execz .LBB558_693
; %bb.692:
	v_and_b32_e32 v11, 7, v2
	v_ffbh_u32_e32 v12, v11
	v_min_u32_e32 v15, 32, v12
	v_subrev_u32_e32 v12, 28, v15
	v_lshlrev_b64 v[12:13], v12, v[2:3]
	v_lshrrev_b32_e32 v14, 3, v10
	v_sub_u32_e32 v13, 29, v15
	v_and_b32_e32 v12, 7, v12
	v_cmp_gt_u32_e32 vcc, 8, v10
	v_cndmask_b32_e32 v10, v14, v13, vcc
	v_cndmask_b32_e32 v11, v11, v12, vcc
	v_lshlrev_b32_e32 v12, 24, v2
	v_bfrev_b32_e32 v13, 60
	v_lshlrev_b32_e32 v11, 20, v11
	v_and_b32_e32 v12, 0x80000000, v12
	v_lshl_add_u32 v10, v10, 23, v13
	v_or3_b32 v15, v12, v10, v11
.LBB558_693:
	s_or_b64 exec, exec, s[14:15]
.LBB558_694:
	s_or_b64 exec, exec, s[12:13]
.LBB558_695:
	s_or_b64 exec, exec, s[10:11]
	s_nop 3
	v_lshrrev_b16_e32 v10, 8, v2
	v_cmp_ne_u16_e32 vcc, 0, v10
	v_mov_b32_e32 v11, 0
	v_mov_b32_e32 v12, 0
	s_and_saveexec_b64 s[10:11], vcc
	s_cbranch_execz .LBB558_701
; %bb.696:
	s_movk_i32 s7, 0x80
	v_cmp_ne_u16_e32 vcc, s7, v10
	v_bfrev_b32_e32 v12, 1
	s_and_saveexec_b64 s[12:13], vcc
	s_cbranch_execz .LBB558_700
; %bb.697:
	s_movk_i32 s7, 0x7f
	v_and_b32_e32 v13, 0x7f, v10
	v_cmp_ne_u32_e32 vcc, s7, v13
	v_mov_b32_e32 v12, 0x7f800001
	s_and_saveexec_b64 s[14:15], vcc
	s_cbranch_execz .LBB558_699
; %bb.698:
	v_and_b32_e32 v12, 7, v10
	v_ffbh_u32_e32 v16, v12
	v_min_u32_e32 v18, 32, v16
	v_subrev_u32_e32 v16, 28, v18
	v_lshlrev_b64 v[16:17], v16, v[10:11]
	v_lshrrev_b32_e32 v14, 3, v13
	v_sub_u32_e32 v10, 29, v18
	v_and_b32_e32 v16, 7, v16
	v_cmp_gt_u32_e32 vcc, 8, v13
	v_cndmask_b32_e32 v10, v14, v10, vcc
	v_cndmask_b32_e32 v12, v12, v16, vcc
	v_lshlrev_b32_e32 v13, 16, v2
	v_bfrev_b32_e32 v14, 60
	v_lshlrev_b32_e32 v12, 20, v12
	v_and_b32_e32 v13, 0x80000000, v13
	v_lshl_add_u32 v10, v10, 23, v14
	v_or3_b32 v12, v13, v10, v12
.LBB558_699:
	s_or_b64 exec, exec, s[14:15]
.LBB558_700:
	s_or_b64 exec, exec, s[12:13]
.LBB558_701:
	s_or_b64 exec, exec, s[10:11]
	s_movk_i32 s7, 0xff
	v_and_b32_sdwa v13, v2, s7 dst_sel:DWORD dst_unused:UNUSED_PAD src0_sel:WORD_1 src1_sel:DWORD
	v_lshrrev_b32_e32 v10, 16, v2
	v_cmp_ne_u16_e32 vcc, 0, v13
	s_and_saveexec_b64 s[10:11], vcc
	s_cbranch_execz .LBB558_707
; %bb.702:
	s_movk_i32 s7, 0x80
	v_cmp_ne_u16_e32 vcc, s7, v13
	v_bfrev_b32_e32 v11, 1
	s_and_saveexec_b64 s[12:13], vcc
	s_cbranch_execz .LBB558_706
; %bb.703:
	v_bfe_u32 v13, v2, 16, 7
	s_movk_i32 s7, 0x7f
	v_cmp_ne_u32_e32 vcc, s7, v13
	v_mov_b32_e32 v11, 0x7f800001
	s_and_saveexec_b64 s[14:15], vcc
	s_cbranch_execz .LBB558_705
; %bb.704:
	v_and_b32_e32 v14, 7, v10
	v_ffbh_u32_e32 v11, v14
	v_min_u32_e32 v17, 32, v11
	v_subrev_u32_e32 v11, 28, v17
	v_lshlrev_b64 v[10:11], v11, v[10:11]
	v_lshrrev_b32_e32 v16, 3, v13
	v_sub_u32_e32 v11, 29, v17
	v_and_b32_e32 v10, 7, v10
	v_cmp_gt_u32_e32 vcc, 8, v13
	v_mov_b32_e32 v13, 24
	v_cndmask_b32_e32 v11, v16, v11, vcc
	v_cndmask_b32_e32 v10, v14, v10, vcc
	v_lshlrev_b32_sdwa v13, v13, v2 dst_sel:DWORD dst_unused:UNUSED_PAD src0_sel:DWORD src1_sel:WORD_1
	v_bfrev_b32_e32 v14, 60
	v_lshlrev_b32_e32 v10, 20, v10
	v_and_b32_e32 v13, 0x80000000, v13
	v_lshl_add_u32 v11, v11, 23, v14
	v_or3_b32 v11, v13, v11, v10
.LBB558_705:
	s_or_b64 exec, exec, s[14:15]
.LBB558_706:
	s_or_b64 exec, exec, s[12:13]
.LBB558_707:
	s_or_b64 exec, exec, s[10:11]
	s_mov_b32 s7, 0xffffff
	v_cmp_lt_u32_e32 vcc, s7, v2
	v_mov_b32_e32 v13, 0
	v_mov_b32_e32 v14, 0
	s_and_saveexec_b64 s[10:11], vcc
	s_cbranch_execz .LBB558_713
; %bb.708:
	v_lshrrev_b32_e32 v10, 24, v2
	s_movk_i32 s7, 0x80
	v_cmp_ne_u32_e32 vcc, s7, v10
	v_bfrev_b32_e32 v14, 1
	s_and_saveexec_b64 s[12:13], vcc
	s_cbranch_execz .LBB558_712
; %bb.709:
	v_bfe_u32 v2, v2, 24, 7
	s_movk_i32 s7, 0x7f
	v_cmp_ne_u32_e32 vcc, s7, v2
	v_mov_b32_e32 v14, 0x7f800001
	s_and_saveexec_b64 s[14:15], vcc
	s_cbranch_execz .LBB558_711
; %bb.710:
	v_and_b32_e32 v14, 7, v10
	v_ffbh_u32_e32 v16, v14
	v_min_u32_e32 v19, 32, v16
	v_subrev_u32_e32 v16, 28, v19
	v_lshlrev_b64 v[16:17], v16, v[10:11]
	v_lshrrev_b32_e32 v18, 3, v2
	v_sub_u32_e32 v17, 29, v19
	v_and_b32_e32 v16, 7, v16
	v_cmp_gt_u32_e32 vcc, 8, v2
	v_cndmask_b32_e32 v2, v18, v17, vcc
	v_cndmask_b32_e32 v14, v14, v16, vcc
	v_lshlrev_b32_e32 v10, 24, v10
	v_bfrev_b32_e32 v16, 60
	v_lshlrev_b32_e32 v14, 20, v14
	v_and_b32_e32 v10, 0x80000000, v10
	v_lshl_add_u32 v2, v2, 23, v16
	v_or3_b32 v14, v10, v2, v14
.LBB558_711:
	s_or_b64 exec, exec, s[14:15]
.LBB558_712:
	s_or_b64 exec, exec, s[12:13]
.LBB558_713:
	s_or_b64 exec, exec, s[10:11]
	v_cmp_ne_u16_sdwa s[12:13], v3, v13 src0_sel:BYTE_0 src1_sel:DWORD
	s_and_saveexec_b64 s[10:11], s[12:13]
	s_cbranch_execz .LBB558_719
; %bb.714:
	s_movk_i32 s7, 0x80
	v_cmp_ne_u16_sdwa s[14:15], v3, s7 src0_sel:BYTE_0 src1_sel:DWORD
	v_bfrev_b32_e32 v13, 1
	s_and_saveexec_b64 s[12:13], s[14:15]
	s_cbranch_execz .LBB558_718
; %bb.715:
	s_movk_i32 s7, 0x7f
	v_and_b32_e32 v2, 0x7f, v3
	v_cmp_ne_u32_e32 vcc, s7, v2
	v_mov_b32_e32 v13, 0x7f800001
	s_and_saveexec_b64 s[14:15], vcc
	s_cbranch_execz .LBB558_717
; %bb.716:
	v_and_b32_e32 v13, 7, v3
	v_ffbh_u32_e32 v16, v13
	v_min_u32_e32 v19, 32, v16
	v_mov_b32_e32 v10, v3
	v_subrev_u32_e32 v16, 28, v19
	v_lshlrev_b64 v[16:17], v16, v[10:11]
	v_lshrrev_b32_e32 v18, 3, v2
	v_sub_u32_e32 v10, 29, v19
	v_and_b32_e32 v16, 7, v16
	v_cmp_gt_u32_e32 vcc, 8, v2
	v_cndmask_b32_e32 v2, v18, v10, vcc
	v_cndmask_b32_e32 v10, v13, v16, vcc
	v_lshlrev_b32_e32 v13, 24, v3
	v_bfrev_b32_e32 v16, 60
	v_lshlrev_b32_e32 v10, 20, v10
	v_and_b32_e32 v13, 0x80000000, v13
	v_lshl_add_u32 v2, v2, 23, v16
	v_or3_b32 v13, v13, v2, v10
.LBB558_717:
	s_or_b64 exec, exec, s[14:15]
.LBB558_718:
	s_or_b64 exec, exec, s[12:13]
.LBB558_719:
	s_or_b64 exec, exec, s[10:11]
	v_lshrrev_b16_e32 v2, 8, v3
	v_cmp_ne_u16_e32 vcc, 0, v2
	v_mov_b32_e32 v16, 0
	v_mov_b32_e32 v17, 0
	s_and_saveexec_b64 s[10:11], vcc
	s_cbranch_execz .LBB558_725
; %bb.720:
	s_movk_i32 s7, 0x80
	v_cmp_ne_u16_e32 vcc, s7, v2
	v_bfrev_b32_e32 v17, 1
	s_and_saveexec_b64 s[12:13], vcc
	s_cbranch_execz .LBB558_724
; %bb.721:
	s_movk_i32 s7, 0x7f
	v_and_b32_e32 v10, 0x7f, v2
	v_cmp_ne_u32_e32 vcc, s7, v10
	v_mov_b32_e32 v17, 0x7f800001
	s_and_saveexec_b64 s[14:15], vcc
	s_cbranch_execz .LBB558_723
; %bb.722:
	v_and_b32_e32 v17, 7, v2
	v_ffbh_u32_e32 v18, v17
	v_min_u32_e32 v21, 32, v18
	v_subrev_u32_e32 v18, 28, v21
	v_lshlrev_b64 v[18:19], v18, v[2:3]
	v_lshrrev_b32_e32 v20, 3, v10
	v_sub_u32_e32 v2, 29, v21
	v_and_b32_e32 v18, 7, v18
	v_cmp_gt_u32_e32 vcc, 8, v10
	v_cndmask_b32_e32 v2, v20, v2, vcc
	v_cndmask_b32_e32 v10, v17, v18, vcc
	v_lshlrev_b32_e32 v17, 16, v3
	v_bfrev_b32_e32 v18, 60
	v_lshlrev_b32_e32 v10, 20, v10
	v_and_b32_e32 v17, 0x80000000, v17
	v_lshl_add_u32 v2, v2, 23, v18
	v_or3_b32 v17, v17, v2, v10
.LBB558_723:
	s_or_b64 exec, exec, s[14:15]
.LBB558_724:
	s_or_b64 exec, exec, s[12:13]
.LBB558_725:
	s_or_b64 exec, exec, s[10:11]
	s_movk_i32 s7, 0xff
	v_and_b32_sdwa v10, v3, s7 dst_sel:DWORD dst_unused:UNUSED_PAD src0_sel:WORD_1 src1_sel:DWORD
	v_lshrrev_b32_e32 v2, 16, v3
	v_cmp_ne_u16_e32 vcc, 0, v10
	s_and_saveexec_b64 s[10:11], vcc
	s_cbranch_execz .LBB558_731
; %bb.726:
	s_movk_i32 s7, 0x80
	v_cmp_ne_u16_e32 vcc, s7, v10
	v_bfrev_b32_e32 v16, 1
	s_and_saveexec_b64 s[12:13], vcc
	s_cbranch_execz .LBB558_730
; %bb.727:
	v_bfe_u32 v10, v3, 16, 7
	s_movk_i32 s7, 0x7f
	v_cmp_ne_u32_e32 vcc, s7, v10
	v_mov_b32_e32 v16, 0x7f800001
	s_and_saveexec_b64 s[14:15], vcc
	s_cbranch_execz .LBB558_729
; %bb.728:
	v_and_b32_e32 v16, 7, v2
	v_ffbh_u32_e32 v18, v16
	v_min_u32_e32 v21, 32, v18
	v_subrev_u32_e32 v18, 28, v21
	v_lshlrev_b64 v[18:19], v18, v[2:3]
	v_and_b32_e32 v18, 7, v18
	v_cmp_gt_u32_e32 vcc, 8, v10
	v_lshrrev_b32_e32 v20, 3, v10
	v_sub_u32_e32 v2, 29, v21
	v_cndmask_b32_e32 v10, v16, v18, vcc
	v_mov_b32_e32 v16, 24
	v_cndmask_b32_e32 v2, v20, v2, vcc
	v_lshlrev_b32_sdwa v16, v16, v3 dst_sel:DWORD dst_unused:UNUSED_PAD src0_sel:DWORD src1_sel:WORD_1
	v_bfrev_b32_e32 v18, 60
	v_lshlrev_b32_e32 v10, 20, v10
	v_and_b32_e32 v16, 0x80000000, v16
	v_lshl_add_u32 v2, v2, 23, v18
	v_or3_b32 v16, v16, v2, v10
.LBB558_729:
	s_or_b64 exec, exec, s[14:15]
.LBB558_730:
	s_or_b64 exec, exec, s[12:13]
.LBB558_731:
	s_or_b64 exec, exec, s[10:11]
	s_mov_b32 s7, 0xffffff
	v_cmp_lt_u32_e32 vcc, s7, v3
	v_mov_b32_e32 v10, 0
	v_mov_b32_e32 v18, 0
	s_and_saveexec_b64 s[10:11], vcc
	s_cbranch_execz .LBB558_737
; %bb.732:
	v_lshrrev_b32_e32 v2, 24, v3
	s_movk_i32 s7, 0x80
	v_cmp_ne_u32_e32 vcc, s7, v2
	v_bfrev_b32_e32 v18, 1
	s_and_saveexec_b64 s[12:13], vcc
	s_cbranch_execz .LBB558_736
; %bb.733:
	v_bfe_u32 v3, v3, 24, 7
	s_movk_i32 s7, 0x7f
	v_cmp_ne_u32_e32 vcc, s7, v3
	v_mov_b32_e32 v18, 0x7f800001
	s_and_saveexec_b64 s[14:15], vcc
	s_cbranch_execz .LBB558_735
; %bb.734:
	v_and_b32_e32 v20, 7, v2
	v_ffbh_u32_e32 v18, v20
	v_min_u32_e32 v23, 32, v18
	v_subrev_u32_e32 v18, 28, v23
	v_lshlrev_b64 v[18:19], v18, v[2:3]
	v_lshrrev_b32_e32 v21, 3, v3
	v_sub_u32_e32 v19, 29, v23
	v_and_b32_e32 v18, 7, v18
	v_cmp_gt_u32_e32 vcc, 8, v3
	v_cndmask_b32_e32 v3, v21, v19, vcc
	v_cndmask_b32_e32 v18, v20, v18, vcc
	v_lshlrev_b32_e32 v2, 24, v2
	v_bfrev_b32_e32 v19, 60
	v_lshlrev_b32_e32 v18, 20, v18
	v_and_b32_e32 v2, 0x80000000, v2
	v_lshl_add_u32 v3, v3, 23, v19
	v_or3_b32 v18, v2, v3, v18
.LBB558_735:
	s_or_b64 exec, exec, s[14:15]
.LBB558_736:
	s_or_b64 exec, exec, s[12:13]
.LBB558_737:
	s_or_b64 exec, exec, s[10:11]
	v_cvt_pkrtz_f16_f32 v2, v15, v12
	v_cvt_pkrtz_f16_f32 v3, v11, v14
	ds_read_b128 v[28:31], v22 offset:6144
	v_cmp_ne_u16_sdwa s[12:13], v4, v10 src0_sel:BYTE_0 src1_sel:DWORD
	s_waitcnt lgkmcnt(0)
	v_mfma_f32_16x16x16f16 v[6:9], v[2:3], v[28:29], v[6:9]
	v_cvt_pkrtz_f16_f32 v2, v13, v17
	v_cvt_pkrtz_f16_f32 v3, v16, v18
	s_nop 1
	v_mfma_f32_16x16x16f16 v[6:9], v[2:3], v[30:31], v[6:9]
	s_and_saveexec_b64 s[10:11], s[12:13]
	s_cbranch_execz .LBB558_743
; %bb.738:
	s_movk_i32 s7, 0x80
	v_cmp_ne_u16_sdwa s[14:15], v4, s7 src0_sel:BYTE_0 src1_sel:DWORD
	v_bfrev_b32_e32 v10, 1
	s_and_saveexec_b64 s[12:13], s[14:15]
	s_cbranch_execz .LBB558_742
; %bb.739:
	s_movk_i32 s7, 0x7f
	v_and_b32_e32 v2, 0x7f, v4
	v_cmp_ne_u32_e32 vcc, s7, v2
	v_mov_b32_e32 v10, 0x7f800001
	s_and_saveexec_b64 s[14:15], vcc
	s_cbranch_execz .LBB558_741
; %bb.740:
	v_and_b32_e32 v3, 7, v4
	v_ffbh_u32_e32 v10, v3
	v_min_u32_e32 v13, 32, v10
	v_subrev_u32_e32 v10, 28, v13
	v_lshlrev_b64 v[10:11], v10, v[4:5]
	v_lshrrev_b32_e32 v12, 3, v2
	v_sub_u32_e32 v11, 29, v13
	v_and_b32_e32 v10, 7, v10
	v_cmp_gt_u32_e32 vcc, 8, v2
	v_cndmask_b32_e32 v2, v12, v11, vcc
	v_cndmask_b32_e32 v3, v3, v10, vcc
	v_lshlrev_b32_e32 v10, 24, v4
	v_bfrev_b32_e32 v11, 60
	v_lshlrev_b32_e32 v3, 20, v3
	v_and_b32_e32 v10, 0x80000000, v10
	v_lshl_add_u32 v2, v2, 23, v11
	v_or3_b32 v10, v10, v2, v3
.LBB558_741:
	s_or_b64 exec, exec, s[14:15]
.LBB558_742:
	s_or_b64 exec, exec, s[12:13]
.LBB558_743:
	s_or_b64 exec, exec, s[10:11]
	v_lshrrev_b16_e32 v2, 8, v4
	v_cmp_ne_u16_e32 vcc, 0, v2
	v_mov_b32_e32 v3, 0
	v_mov_b32_e32 v11, 0
	s_and_saveexec_b64 s[10:11], vcc
	s_cbranch_execz .LBB558_749
; %bb.744:
	s_movk_i32 s7, 0x80
	v_cmp_ne_u16_e32 vcc, s7, v2
	v_bfrev_b32_e32 v11, 1
	s_and_saveexec_b64 s[12:13], vcc
	s_cbranch_execz .LBB558_748
; %bb.745:
	s_movk_i32 s7, 0x7f
	v_and_b32_e32 v12, 0x7f, v2
	v_cmp_ne_u32_e32 vcc, s7, v12
	v_mov_b32_e32 v11, 0x7f800001
	s_and_saveexec_b64 s[14:15], vcc
	s_cbranch_execz .LBB558_747
; %bb.746:
	v_and_b32_e32 v11, 7, v2
	v_ffbh_u32_e32 v14, v11
	v_min_u32_e32 v16, 32, v14
	v_subrev_u32_e32 v14, 28, v16
	v_lshlrev_b64 v[14:15], v14, v[2:3]
	v_lshrrev_b32_e32 v13, 3, v12
	v_sub_u32_e32 v2, 29, v16
	v_and_b32_e32 v14, 7, v14
	v_cmp_gt_u32_e32 vcc, 8, v12
	v_cndmask_b32_e32 v2, v13, v2, vcc
	v_cndmask_b32_e32 v11, v11, v14, vcc
	v_lshlrev_b32_e32 v12, 16, v4
	v_bfrev_b32_e32 v13, 60
	v_lshlrev_b32_e32 v11, 20, v11
	v_and_b32_e32 v12, 0x80000000, v12
	v_lshl_add_u32 v2, v2, 23, v13
	v_or3_b32 v11, v12, v2, v11
.LBB558_747:
	s_or_b64 exec, exec, s[14:15]
.LBB558_748:
	s_or_b64 exec, exec, s[12:13]
.LBB558_749:
	s_or_b64 exec, exec, s[10:11]
	s_movk_i32 s7, 0xff
	v_and_b32_sdwa v12, v4, s7 dst_sel:DWORD dst_unused:UNUSED_PAD src0_sel:WORD_1 src1_sel:DWORD
	v_lshrrev_b32_e32 v2, 16, v4
	v_cmp_ne_u16_e32 vcc, 0, v12
	s_and_saveexec_b64 s[10:11], vcc
	s_cbranch_execz .LBB558_755
; %bb.750:
	s_movk_i32 s7, 0x80
	v_cmp_ne_u16_e32 vcc, s7, v12
	v_bfrev_b32_e32 v3, 1
	s_and_saveexec_b64 s[12:13], vcc
	s_cbranch_execz .LBB558_754
; %bb.751:
	v_bfe_u32 v12, v4, 16, 7
	s_movk_i32 s7, 0x7f
	v_cmp_ne_u32_e32 vcc, s7, v12
	v_mov_b32_e32 v3, 0x7f800001
	s_and_saveexec_b64 s[14:15], vcc
	s_cbranch_execz .LBB558_753
; %bb.752:
	v_and_b32_e32 v13, 7, v2
	v_ffbh_u32_e32 v3, v13
	v_min_u32_e32 v15, 32, v3
	v_subrev_u32_e32 v3, 28, v15
	v_lshlrev_b64 v[2:3], v3, v[2:3]
	v_lshrrev_b32_e32 v14, 3, v12
	v_sub_u32_e32 v3, 29, v15
	v_and_b32_e32 v2, 7, v2
	v_cmp_gt_u32_e32 vcc, 8, v12
	v_mov_b32_e32 v12, 24
	v_cndmask_b32_e32 v3, v14, v3, vcc
	v_cndmask_b32_e32 v2, v13, v2, vcc
	v_lshlrev_b32_sdwa v12, v12, v4 dst_sel:DWORD dst_unused:UNUSED_PAD src0_sel:DWORD src1_sel:WORD_1
	v_bfrev_b32_e32 v13, 60
	v_lshlrev_b32_e32 v2, 20, v2
	v_and_b32_e32 v12, 0x80000000, v12
	v_lshl_add_u32 v3, v3, 23, v13
	v_or3_b32 v3, v12, v3, v2
.LBB558_753:
	s_or_b64 exec, exec, s[14:15]
.LBB558_754:
	s_or_b64 exec, exec, s[12:13]
.LBB558_755:
	s_or_b64 exec, exec, s[10:11]
	s_mov_b32 s7, 0xffffff
	v_cmp_lt_u32_e32 vcc, s7, v4
	v_mov_b32_e32 v12, 0
	v_mov_b32_e32 v13, 0
	s_and_saveexec_b64 s[10:11], vcc
	s_cbranch_execz .LBB558_761
; %bb.756:
	v_lshrrev_b32_e32 v2, 24, v4
	s_movk_i32 s7, 0x80
	v_cmp_ne_u32_e32 vcc, s7, v2
	v_bfrev_b32_e32 v13, 1
	s_and_saveexec_b64 s[12:13], vcc
	s_cbranch_execz .LBB558_760
; %bb.757:
	v_bfe_u32 v4, v4, 24, 7
	s_movk_i32 s7, 0x7f
	v_cmp_ne_u32_e32 vcc, s7, v4
	v_mov_b32_e32 v13, 0x7f800001
	s_and_saveexec_b64 s[14:15], vcc
	s_cbranch_execz .LBB558_759
; %bb.758:
	v_and_b32_e32 v13, 7, v2
	v_ffbh_u32_e32 v14, v13
	v_min_u32_e32 v17, 32, v14
	v_subrev_u32_e32 v14, 28, v17
	v_lshlrev_b64 v[14:15], v14, v[2:3]
	v_lshrrev_b32_e32 v16, 3, v4
	v_sub_u32_e32 v15, 29, v17
	v_and_b32_e32 v14, 7, v14
	v_cmp_gt_u32_e32 vcc, 8, v4
	v_cndmask_b32_e32 v4, v16, v15, vcc
	v_cndmask_b32_e32 v13, v13, v14, vcc
	v_lshlrev_b32_e32 v2, 24, v2
	v_bfrev_b32_e32 v14, 60
	v_lshlrev_b32_e32 v13, 20, v13
	v_and_b32_e32 v2, 0x80000000, v2
	v_lshl_add_u32 v4, v4, 23, v14
	v_or3_b32 v13, v2, v4, v13
.LBB558_759:
	s_or_b64 exec, exec, s[14:15]
.LBB558_760:
	s_or_b64 exec, exec, s[12:13]
.LBB558_761:
	s_or_b64 exec, exec, s[10:11]
	v_cmp_ne_u16_sdwa s[12:13], v5, v12 src0_sel:BYTE_0 src1_sel:DWORD
	s_and_saveexec_b64 s[10:11], s[12:13]
	s_cbranch_execz .LBB558_767
; %bb.762:
	s_movk_i32 s7, 0x80
	v_cmp_ne_u16_sdwa s[14:15], v5, s7 src0_sel:BYTE_0 src1_sel:DWORD
	v_bfrev_b32_e32 v12, 1
	s_and_saveexec_b64 s[12:13], s[14:15]
	s_cbranch_execz .LBB558_766
; %bb.763:
	s_movk_i32 s7, 0x7f
	v_and_b32_e32 v2, 0x7f, v5
	v_cmp_ne_u32_e32 vcc, s7, v2
	v_mov_b32_e32 v12, 0x7f800001
	s_and_saveexec_b64 s[14:15], vcc
	s_cbranch_execz .LBB558_765
; %bb.764:
	v_and_b32_e32 v12, 7, v5
	v_ffbh_u32_e32 v14, v12
	v_min_u32_e32 v17, 32, v14
	v_mov_b32_e32 v4, v5
	v_subrev_u32_e32 v14, 28, v17
	v_lshlrev_b64 v[14:15], v14, v[4:5]
	v_lshrrev_b32_e32 v16, 3, v2
	v_sub_u32_e32 v4, 29, v17
	v_and_b32_e32 v14, 7, v14
	v_cmp_gt_u32_e32 vcc, 8, v2
	v_cndmask_b32_e32 v2, v16, v4, vcc
	v_cndmask_b32_e32 v4, v12, v14, vcc
	v_lshlrev_b32_e32 v12, 24, v5
	v_bfrev_b32_e32 v14, 60
	v_lshlrev_b32_e32 v4, 20, v4
	v_and_b32_e32 v12, 0x80000000, v12
	v_lshl_add_u32 v2, v2, 23, v14
	v_or3_b32 v12, v12, v2, v4
.LBB558_765:
	s_or_b64 exec, exec, s[14:15]
.LBB558_766:
	s_or_b64 exec, exec, s[12:13]
.LBB558_767:
	s_or_b64 exec, exec, s[10:11]
	v_lshrrev_b16_e32 v2, 8, v5
	v_cmp_ne_u16_e32 vcc, 0, v2
	v_mov_b32_e32 v4, 0
	v_mov_b32_e32 v14, 0
	s_and_saveexec_b64 s[10:11], vcc
	s_cbranch_execz .LBB558_773
; %bb.768:
	s_movk_i32 s7, 0x80
	v_cmp_ne_u16_e32 vcc, s7, v2
	v_bfrev_b32_e32 v14, 1
	s_and_saveexec_b64 s[12:13], vcc
	s_cbranch_execz .LBB558_772
; %bb.769:
	s_movk_i32 s7, 0x7f
	v_and_b32_e32 v15, 0x7f, v2
	v_cmp_ne_u32_e32 vcc, s7, v15
	v_mov_b32_e32 v14, 0x7f800001
	s_and_saveexec_b64 s[14:15], vcc
	s_cbranch_execz .LBB558_771
; %bb.770:
	v_and_b32_e32 v14, 7, v2
	v_ffbh_u32_e32 v16, v14
	v_min_u32_e32 v19, 32, v16
	v_subrev_u32_e32 v16, 28, v19
	v_lshlrev_b64 v[16:17], v16, v[2:3]
	v_lshrrev_b32_e32 v18, 3, v15
	v_sub_u32_e32 v2, 29, v19
	v_and_b32_e32 v16, 7, v16
	v_cmp_gt_u32_e32 vcc, 8, v15
	v_cndmask_b32_e32 v2, v18, v2, vcc
	v_cndmask_b32_e32 v14, v14, v16, vcc
	v_lshlrev_b32_e32 v15, 16, v5
	v_bfrev_b32_e32 v16, 60
	v_lshlrev_b32_e32 v14, 20, v14
	v_and_b32_e32 v15, 0x80000000, v15
	v_lshl_add_u32 v2, v2, 23, v16
	v_or3_b32 v14, v15, v2, v14
.LBB558_771:
	s_or_b64 exec, exec, s[14:15]
.LBB558_772:
	s_or_b64 exec, exec, s[12:13]
.LBB558_773:
	s_or_b64 exec, exec, s[10:11]
	s_movk_i32 s7, 0xff
	v_and_b32_sdwa v15, v5, s7 dst_sel:DWORD dst_unused:UNUSED_PAD src0_sel:WORD_1 src1_sel:DWORD
	v_lshrrev_b32_e32 v2, 16, v5
	v_cmp_ne_u16_e32 vcc, 0, v15
	s_and_saveexec_b64 s[10:11], vcc
	s_cbranch_execz .LBB558_779
; %bb.774:
	s_movk_i32 s7, 0x80
	v_cmp_ne_u16_e32 vcc, s7, v15
	v_bfrev_b32_e32 v4, 1
	s_and_saveexec_b64 s[12:13], vcc
	s_cbranch_execz .LBB558_778
; %bb.775:
	v_bfe_u32 v15, v5, 16, 7
	s_movk_i32 s7, 0x7f
	v_cmp_ne_u32_e32 vcc, s7, v15
	v_mov_b32_e32 v4, 0x7f800001
	s_and_saveexec_b64 s[14:15], vcc
	s_cbranch_execz .LBB558_777
; %bb.776:
	v_and_b32_e32 v4, 7, v2
	v_ffbh_u32_e32 v16, v4
	v_min_u32_e32 v19, 32, v16
	v_subrev_u32_e32 v16, 28, v19
	v_lshlrev_b64 v[16:17], v16, v[2:3]
	v_lshrrev_b32_e32 v18, 3, v15
	v_sub_u32_e32 v2, 29, v19
	v_and_b32_e32 v16, 7, v16
	v_cmp_gt_u32_e32 vcc, 8, v15
	v_mov_b32_e32 v15, 24
	v_cndmask_b32_e32 v2, v18, v2, vcc
	v_cndmask_b32_e32 v4, v4, v16, vcc
	v_lshlrev_b32_sdwa v15, v15, v5 dst_sel:DWORD dst_unused:UNUSED_PAD src0_sel:DWORD src1_sel:WORD_1
	v_bfrev_b32_e32 v16, 60
	v_lshlrev_b32_e32 v4, 20, v4
	v_and_b32_e32 v15, 0x80000000, v15
	v_lshl_add_u32 v2, v2, 23, v16
	v_or3_b32 v4, v15, v2, v4
.LBB558_777:
	s_or_b64 exec, exec, s[14:15]
.LBB558_778:
	s_or_b64 exec, exec, s[12:13]
.LBB558_779:
	s_or_b64 exec, exec, s[10:11]
	s_mov_b32 s7, 0xffffff
	v_cmp_lt_u32_e32 vcc, s7, v5
	v_mov_b32_e32 v15, 0
	s_and_saveexec_b64 s[10:11], vcc
	s_cbranch_execz .LBB558_785
; %bb.780:
	v_lshrrev_b32_e32 v2, 24, v5
	s_movk_i32 s7, 0x80
	v_cmp_ne_u32_e32 vcc, s7, v2
	v_bfrev_b32_e32 v15, 1
	s_and_saveexec_b64 s[12:13], vcc
	s_cbranch_execz .LBB558_784
; %bb.781:
	v_bfe_u32 v5, v5, 24, 7
	s_movk_i32 s7, 0x7f
	v_cmp_ne_u32_e32 vcc, s7, v5
	v_mov_b32_e32 v15, 0x7f800001
	s_and_saveexec_b64 s[14:15], vcc
	s_cbranch_execz .LBB558_783
; %bb.782:
	v_and_b32_e32 v15, 7, v2
	v_ffbh_u32_e32 v16, v15
	v_min_u32_e32 v19, 32, v16
	v_subrev_u32_e32 v16, 28, v19
	v_lshlrev_b64 v[16:17], v16, v[2:3]
	v_lshrrev_b32_e32 v18, 3, v5
	v_sub_u32_e32 v17, 29, v19
	v_and_b32_e32 v16, 7, v16
	v_cmp_gt_u32_e32 vcc, 8, v5
	v_cndmask_b32_e32 v5, v18, v17, vcc
	v_cndmask_b32_e32 v15, v15, v16, vcc
	v_lshlrev_b32_e32 v2, 24, v2
	v_bfrev_b32_e32 v16, 60
	v_lshlrev_b32_e32 v15, 20, v15
	v_and_b32_e32 v2, 0x80000000, v2
	v_lshl_add_u32 v5, v5, 23, v16
	v_or3_b32 v15, v2, v5, v15
.LBB558_783:
	s_or_b64 exec, exec, s[14:15]
.LBB558_784:
	s_or_b64 exec, exec, s[12:13]
.LBB558_785:
	s_or_b64 exec, exec, s[10:11]
	v_cvt_pkrtz_f16_f32 v2, v10, v11
	v_cvt_pkrtz_f16_f32 v3, v3, v13
	ds_read_b128 v[16:19], v22 offset:6160
	s_load_dword s10, s[46:47], 0x0
	v_cmp_gt_u32_e32 vcc, 64, v0
	s_waitcnt lgkmcnt(0)
	v_mfma_f32_16x16x16f16 v[6:9], v[2:3], v[16:17], v[6:9]
	v_cvt_pkrtz_f16_f32 v2, v12, v14
	v_cvt_pkrtz_f16_f32 v3, v4, v15
	s_and_b64 s[0:1], s[0:1], vcc
	s_and_b64 s[0:1], s[0:1], s[2:3]
	s_barrier
	v_mfma_f32_16x16x16f16 v[2:5], v[2:3], v[18:19], v[6:9]
	s_nop 7
	s_nop 2
	v_pk_mul_f32 v[4:5], v[4:5], s[10:11] op_sel_hi:[1,0]
	v_pk_mul_f32 v[2:3], v[2:3], s[10:11] op_sel_hi:[1,0]
	v_cvt_f16_f32_e32 v2, v2
	v_cvt_f16_f32_e32 v3, v3
	;; [unrolled: 1-line block ×4, first 2 shown]
	v_pack_b32_f16 v2, v2, v3
	v_pack_b32_f16 v3, v4, v5
	ds_write_b64 v26, v[2:3]
	s_waitcnt lgkmcnt(0)
	s_barrier
	s_and_saveexec_b64 s[2:3], s[0:1]
	s_cbranch_execz .LBB558_787
; %bb.786:
	s_load_dwordx2 s[0:1], s[4:5], 0x68
	s_mul_i32 s2, s49, s6
	s_lshl_b32 s4, s48, 6
	s_mul_hi_u32 s3, s2, s4
	s_mul_i32 s2, s2, s4
	s_lshl_b64 s[2:3], s[2:3], 1
	v_lshlrev_b32_e32 v0, 10, v0
	s_waitcnt lgkmcnt(0)
	s_add_u32 s2, s0, s2
	v_and_b32_e32 v0, 0x1800, v0
	v_lshlrev_b32_e32 v2, 5, v46
	v_and_b32_e32 v3, 16, v47
	s_addc_u32 s3, s1, s3
	s_lshl_b32 s0, s26, 6
	s_mov_b32 s1, 0
	v_or3_b32 v0, v0, v2, v3
	s_lshl_b64 s[0:1], s[0:1], 1
	ds_read_b128 v[2:5], v0
	s_add_u32 s2, s2, s0
	s_addc_u32 s3, s3, s1
	s_mul_hi_u32 s1, s4, s8
	s_mul_i32 s0, s4, s8
	s_lshl_b64 s[0:1], s[0:1], 1
	s_add_u32 s0, s2, s0
	s_addc_u32 s1, s3, s1
	s_waitcnt lgkmcnt(0)
	global_store_dwordx4 v1, v[2:5], s[0:1]
.LBB558_787:
	s_endpgm
	.section	.rodata,"a",@progbits
	.p2align	6, 0x0
	.amdhsa_kernel _Z39paged_attention_ll4mi_QKV_mfma16_kernelIDF16_hLN4vllm18Fp8KVCacheDataTypeE1EDF16_Li16ELi64ELi256ELb1ELi1EL8MFMAType0EEvPKT_PKT0_S8_ifPKiSA_SA_iPKfiiiPfSD_PS3_PT2_iSC_SC_
		.amdhsa_group_segment_fixed_size 8192
		.amdhsa_private_segment_fixed_size 0
		.amdhsa_kernarg_size 400
		.amdhsa_user_sgpr_count 6
		.amdhsa_user_sgpr_private_segment_buffer 1
		.amdhsa_user_sgpr_dispatch_ptr 0
		.amdhsa_user_sgpr_queue_ptr 0
		.amdhsa_user_sgpr_kernarg_segment_ptr 1
		.amdhsa_user_sgpr_dispatch_id 0
		.amdhsa_user_sgpr_flat_scratch_init 0
		.amdhsa_user_sgpr_kernarg_preload_length 0
		.amdhsa_user_sgpr_kernarg_preload_offset 0
		.amdhsa_user_sgpr_private_segment_size 0
		.amdhsa_uses_dynamic_stack 0
		.amdhsa_system_sgpr_private_segment_wavefront_offset 0
		.amdhsa_system_sgpr_workgroup_id_x 1
		.amdhsa_system_sgpr_workgroup_id_y 1
		.amdhsa_system_sgpr_workgroup_id_z 1
		.amdhsa_system_sgpr_workgroup_info 0
		.amdhsa_system_vgpr_workitem_id 0
		.amdhsa_next_free_vgpr 62
		.amdhsa_next_free_sgpr 50
		.amdhsa_accum_offset 64
		.amdhsa_reserve_vcc 1
		.amdhsa_reserve_flat_scratch 0
		.amdhsa_float_round_mode_32 0
		.amdhsa_float_round_mode_16_64 0
		.amdhsa_float_denorm_mode_32 3
		.amdhsa_float_denorm_mode_16_64 3
		.amdhsa_dx10_clamp 1
		.amdhsa_ieee_mode 1
		.amdhsa_fp16_overflow 0
		.amdhsa_tg_split 0
		.amdhsa_exception_fp_ieee_invalid_op 0
		.amdhsa_exception_fp_denorm_src 0
		.amdhsa_exception_fp_ieee_div_zero 0
		.amdhsa_exception_fp_ieee_overflow 0
		.amdhsa_exception_fp_ieee_underflow 0
		.amdhsa_exception_fp_ieee_inexact 0
		.amdhsa_exception_int_div_zero 0
	.end_amdhsa_kernel
	.section	.text._Z39paged_attention_ll4mi_QKV_mfma16_kernelIDF16_hLN4vllm18Fp8KVCacheDataTypeE1EDF16_Li16ELi64ELi256ELb1ELi1EL8MFMAType0EEvPKT_PKT0_S8_ifPKiSA_SA_iPKfiiiPfSD_PS3_PT2_iSC_SC_,"axG",@progbits,_Z39paged_attention_ll4mi_QKV_mfma16_kernelIDF16_hLN4vllm18Fp8KVCacheDataTypeE1EDF16_Li16ELi64ELi256ELb1ELi1EL8MFMAType0EEvPKT_PKT0_S8_ifPKiSA_SA_iPKfiiiPfSD_PS3_PT2_iSC_SC_,comdat
.Lfunc_end558:
	.size	_Z39paged_attention_ll4mi_QKV_mfma16_kernelIDF16_hLN4vllm18Fp8KVCacheDataTypeE1EDF16_Li16ELi64ELi256ELb1ELi1EL8MFMAType0EEvPKT_PKT0_S8_ifPKiSA_SA_iPKfiiiPfSD_PS3_PT2_iSC_SC_, .Lfunc_end558-_Z39paged_attention_ll4mi_QKV_mfma16_kernelIDF16_hLN4vllm18Fp8KVCacheDataTypeE1EDF16_Li16ELi64ELi256ELb1ELi1EL8MFMAType0EEvPKT_PKT0_S8_ifPKiSA_SA_iPKfiiiPfSD_PS3_PT2_iSC_SC_
                                        ; -- End function
	.section	.AMDGPU.csdata,"",@progbits
; Kernel info:
; codeLenInByte = 27076
; NumSgprs: 54
; NumVgprs: 62
; NumAgprs: 0
; TotalNumVgprs: 62
; ScratchSize: 0
; MemoryBound: 0
; FloatMode: 240
; IeeeMode: 1
; LDSByteSize: 8192 bytes/workgroup (compile time only)
; SGPRBlocks: 6
; VGPRBlocks: 7
; NumSGPRsForWavesPerEU: 54
; NumVGPRsForWavesPerEU: 62
; AccumOffset: 64
; Occupancy: 8
; WaveLimiterHint : 1
; COMPUTE_PGM_RSRC2:SCRATCH_EN: 0
; COMPUTE_PGM_RSRC2:USER_SGPR: 6
; COMPUTE_PGM_RSRC2:TRAP_HANDLER: 0
; COMPUTE_PGM_RSRC2:TGID_X_EN: 1
; COMPUTE_PGM_RSRC2:TGID_Y_EN: 1
; COMPUTE_PGM_RSRC2:TGID_Z_EN: 1
; COMPUTE_PGM_RSRC2:TIDIG_COMP_CNT: 0
; COMPUTE_PGM_RSRC3_GFX90A:ACCUM_OFFSET: 15
; COMPUTE_PGM_RSRC3_GFX90A:TG_SPLIT: 0
	.section	.text._Z39paged_attention_ll4mi_QKV_mfma16_kernelIDF16_hLN4vllm18Fp8KVCacheDataTypeE1EDF16_Li16ELi64ELi256ELb1ELi2EL8MFMAType0EEvPKT_PKT0_S8_ifPKiSA_SA_iPKfiiiPfSD_PS3_PT2_iSC_SC_,"axG",@progbits,_Z39paged_attention_ll4mi_QKV_mfma16_kernelIDF16_hLN4vllm18Fp8KVCacheDataTypeE1EDF16_Li16ELi64ELi256ELb1ELi2EL8MFMAType0EEvPKT_PKT0_S8_ifPKiSA_SA_iPKfiiiPfSD_PS3_PT2_iSC_SC_,comdat
	.protected	_Z39paged_attention_ll4mi_QKV_mfma16_kernelIDF16_hLN4vllm18Fp8KVCacheDataTypeE1EDF16_Li16ELi64ELi256ELb1ELi2EL8MFMAType0EEvPKT_PKT0_S8_ifPKiSA_SA_iPKfiiiPfSD_PS3_PT2_iSC_SC_ ; -- Begin function _Z39paged_attention_ll4mi_QKV_mfma16_kernelIDF16_hLN4vllm18Fp8KVCacheDataTypeE1EDF16_Li16ELi64ELi256ELb1ELi2EL8MFMAType0EEvPKT_PKT0_S8_ifPKiSA_SA_iPKfiiiPfSD_PS3_PT2_iSC_SC_
	.globl	_Z39paged_attention_ll4mi_QKV_mfma16_kernelIDF16_hLN4vllm18Fp8KVCacheDataTypeE1EDF16_Li16ELi64ELi256ELb1ELi2EL8MFMAType0EEvPKT_PKT0_S8_ifPKiSA_SA_iPKfiiiPfSD_PS3_PT2_iSC_SC_
	.p2align	8
	.type	_Z39paged_attention_ll4mi_QKV_mfma16_kernelIDF16_hLN4vllm18Fp8KVCacheDataTypeE1EDF16_Li16ELi64ELi256ELb1ELi2EL8MFMAType0EEvPKT_PKT0_S8_ifPKiSA_SA_iPKfiiiPfSD_PS3_PT2_iSC_SC_,@function
_Z39paged_attention_ll4mi_QKV_mfma16_kernelIDF16_hLN4vllm18Fp8KVCacheDataTypeE1EDF16_Li16ELi64ELi256ELb1ELi2EL8MFMAType0EEvPKT_PKT0_S8_ifPKiSA_SA_iPKfiiiPfSD_PS3_PT2_iSC_SC_: ; @_Z39paged_attention_ll4mi_QKV_mfma16_kernelIDF16_hLN4vllm18Fp8KVCacheDataTypeE1EDF16_Li16ELi64ELi256ELb1ELi2EL8MFMAType0EEvPKT_PKT0_S8_ifPKiSA_SA_iPKfiiiPfSD_PS3_PT2_iSC_SC_
; %bb.0:
	s_load_dwordx2 s[0:1], s[4:5], 0x30
	s_mov_b32 s24, s7
	s_mov_b64 s[10:11], 0
	s_waitcnt lgkmcnt(0)
	s_cmp_lg_u64 s[0:1], 0
	s_cselect_b64 s[2:3], -1, 0
	s_and_b64 vcc, exec, s[2:3]
	s_cbranch_vccz .LBB559_7
; %bb.1:
	s_add_i32 s12, s6, 1
	s_mov_b32 s13, 0
	s_lshl_b64 s[14:15], s[12:13], 2
	s_add_u32 s14, s0, s14
	s_mov_b32 s7, s13
	s_addc_u32 s15, s1, s15
	s_lshl_b64 s[12:13], s[6:7], 2
	s_add_u32 s12, s0, s12
	s_addc_u32 s13, s1, s13
	s_load_dword s9, s[14:15], 0x0
	s_load_dword s16, s[12:13], 0x0
	s_waitcnt lgkmcnt(0)
	s_sub_i32 s9, s9, s16
	s_cmp_eq_u32 s9, 1
	s_cselect_b64 s[12:13], -1, 0
	s_andn2_b64 vcc, exec, s[10:11]
	s_cbranch_vccnz .LBB559_3
.LBB559_2:
	s_mov_b32 s7, 0
	s_mov_b64 s[12:13], -1
.LBB559_3:
	s_andn2_b64 vcc, exec, s[12:13]
	s_cbranch_vccnz .LBB559_787
; %bb.4:
	s_load_dwordx2 s[12:13], s[4:5], 0x28
	s_lshl_b64 s[10:11], s[6:7], 2
	s_waitcnt lgkmcnt(0)
	s_add_u32 s12, s12, s10
	s_addc_u32 s13, s13, s11
	s_load_dword s33, s[12:13], 0x0
	s_lshl_b32 s18, s24, 8
	s_waitcnt lgkmcnt(0)
	s_cmp_ge_i32 s18, s33
	s_cbranch_scc1 .LBB559_787
; %bb.5:
	s_add_i32 s14, s33, 15
	s_load_dwordx2 s[12:13], s[4:5], 0x20
	s_load_dword s9, s[4:5], 0x38
	s_ashr_i32 s15, s14, 31
	v_and_b32_e32 v1, 0xcf, v0
	s_lshr_b32 s15, s15, 28
	v_add_u32_e32 v1, s18, v1
	s_add_i32 s14, s14, s15
	v_ashrrev_i32_e32 v2, 31, v1
	s_ashr_i32 s21, s14, 4
	v_lshrrev_b32_e32 v4, 28, v2
	s_add_i32 s21, s21, -1
	v_add_u32_e32 v2, v1, v4
	s_waitcnt lgkmcnt(0)
	s_mul_i32 s14, s6, s9
	s_mov_b32 s15, 0
	v_ashrrev_i32_e32 v2, 4, v2
	v_mov_b32_e32 v5, s21
	v_cmp_gt_i32_e32 vcc, s33, v1
	s_lshl_b64 s[14:15], s[14:15], 2
	v_cndmask_b32_e32 v2, v5, v2, vcc
	s_add_u32 s19, s12, s14
	v_ashrrev_i32_e32 v3, 31, v2
	s_addc_u32 s20, s13, s15
	v_lshlrev_b64 v[2:3], 2, v[2:3]
	v_mov_b32_e32 v7, s20
	v_add_co_u32_e32 v6, vcc, s19, v2
	v_or_b32_e32 v2, 16, v1
	v_addc_co_u32_e32 v7, vcc, v7, v3, vcc
	v_add_u32_e32 v3, v2, v4
	v_ashrrev_i32_e32 v3, 4, v3
	v_cmp_gt_i32_e32 vcc, s33, v2
	v_cndmask_b32_e32 v2, v5, v3, vcc
	v_ashrrev_i32_e32 v3, 31, v2
	v_lshlrev_b64 v[2:3], 2, v[2:3]
	v_mov_b32_e32 v9, s20
	v_add_co_u32_e32 v8, vcc, s19, v2
	v_or_b32_e32 v2, 32, v1
	v_addc_co_u32_e32 v9, vcc, v9, v3, vcc
	v_add_u32_e32 v3, v2, v4
	v_ashrrev_i32_e32 v3, 4, v3
	v_cmp_gt_i32_e32 vcc, s33, v2
	v_cndmask_b32_e32 v2, v5, v3, vcc
	v_ashrrev_i32_e32 v3, 31, v2
	;; [unrolled: 10-line block ×3, first 2 shown]
	v_lshlrev_b64 v[2:3], 2, v[2:3]
	v_mov_b32_e32 v1, s20
	v_add_co_u32_e32 v12, vcc, s19, v2
	v_addc_co_u32_e32 v13, vcc, v1, v3, vcc
	global_load_dword v5, v[6:7], off
	global_load_dword v4, v[8:9], off
	;; [unrolled: 1-line block ×4, first 2 shown]
	s_load_dwordx2 s[16:17], s[4:5], 0x8
	s_andn2_b64 vcc, exec, s[2:3]
	s_cbranch_vccnz .LBB559_8
; %bb.6:
	s_add_u32 s0, s0, s10
	s_addc_u32 s1, s1, s11
	s_load_dword s9, s[0:1], 0x0
	s_branch .LBB559_9
.LBB559_7:
	s_mov_b64 s[12:13], 0
	s_branch .LBB559_2
.LBB559_8:
	s_mov_b32 s9, s6
.LBB559_9:
	s_load_dwordx2 s[2:3], s[4:5], 0x10
	s_load_dwordx4 s[12:15], s[4:5], 0x48
	v_lshrrev_b32_e32 v48, 6, v0
	v_bfe_u32 v1, v0, 4, 2
	v_lshl_or_b32 v6, v48, 2, v1
	v_and_b32_e32 v49, 15, v0
	v_lshlrev_b32_e32 v7, 3, v49
	v_cmp_gt_u32_e32 vcc, 2, v6
	v_cmp_gt_u32_e64 s[0:1], 8, v49
	s_lshl_b32 s25, s8, 1
	s_and_b64 s[22:23], s[0:1], vcc
	v_lshlrev_b32_e32 v46, 1, v7
	v_lshlrev_b32_e32 v47, 4, v0
	s_and_saveexec_b64 s[10:11], s[22:23]
	s_cbranch_execz .LBB559_11
; %bb.10:
	s_load_dwordx2 s[22:23], s[4:5], 0x0
	s_waitcnt lgkmcnt(0)
	s_ashr_i32 s15, s12, 31
	s_mul_hi_u32 s26, s9, s12
	s_mul_i32 s15, s9, s15
	s_add_i32 s27, s26, s15
	s_mul_i32 s26, s9, s12
	s_lshl_b64 s[26:27], s[26:27], 1
	v_add_lshl_u32 v8, v1, s25, 6
	s_add_u32 s9, s22, s26
	v_ashrrev_i32_e32 v9, 31, v8
	s_addc_u32 s12, s23, s27
	v_lshlrev_b64 v[8:9], 1, v[8:9]
	v_mov_b32_e32 v7, s12
	v_add_co_u32_e32 v8, vcc, s9, v8
	v_addc_co_u32_e32 v7, vcc, v7, v9, vcc
	v_add_co_u32_e32 v8, vcc, v8, v46
	v_addc_co_u32_e32 v9, vcc, 0, v7, vcc
	global_load_dwordx4 v[8:11], v[8:9], off
	v_lshlrev_b32_e32 v12, 8, v49
	v_lshlrev_b32_e32 v6, 5, v6
	v_and_b32_e32 v7, 16, v47
	v_and_b32_e32 v12, 0xe00, v12
	v_or3_b32 v6, v12, v6, v7
	s_waitcnt vmcnt(0)
	ds_write_b128 v6, v[8:11]
.LBB559_11:
	s_or_b64 exec, exec, s[10:11]
	s_waitcnt lgkmcnt(0)
	s_mul_i32 s10, s8, s14
	s_add_u32 s8, s16, s10
	s_addc_u32 s9, s17, 0
	v_and_b32_e32 v7, 0xf0, v47
	v_and_b32_e32 v6, 48, v0
	v_mov_b32_e32 v8, s9
	v_add_co_u32_e32 v7, vcc, s8, v7
	v_addc_co_u32_e32 v9, vcc, 0, v8, vcc
	v_lshlrev_b32_e32 v8, 4, v6
	v_add_co_u32_e32 v8, vcc, v7, v8
	v_addc_co_u32_e32 v9, vcc, 0, v9, vcc
	s_waitcnt vmcnt(3)
	v_mad_i64_i32 v[10:11], s[8:9], v5, s13, v[8:9]
	s_waitcnt vmcnt(2)
	v_mad_i64_i32 v[4:5], s[8:9], v4, s13, v[8:9]
	s_barrier
	global_load_dwordx4 v[34:37], v[10:11], off
	global_load_dwordx4 v[38:41], v[4:5], off
	s_waitcnt vmcnt(3)
	v_mad_i64_i32 v[4:5], s[8:9], v2, s13, v[8:9]
	s_waitcnt vmcnt(2)
	v_mad_i64_i32 v[2:3], s[8:9], v3, s13, v[8:9]
	global_load_dwordx4 v[30:33], v[4:5], off
	global_load_dwordx4 v[22:25], v[2:3], off
	v_and_b32_e32 v2, 1, v0
	v_lshlrev_b32_e32 v2, 5, v2
	v_lshl_or_b32 v2, v1, 9, v2
	ds_read_b128 v[26:29], v2
	ds_read_b128 v[18:21], v2 offset:16
	v_cmp_gt_u32_e32 vcc, 2, v49
	v_mov_b32_e32 v43, 0
	v_mov_b32_e32 v50, 0
	s_and_saveexec_b64 s[8:9], vcc
	s_cbranch_execz .LBB559_13
; %bb.12:
	s_load_dwordx2 s[14:15], s[4:5], 0x40
	v_or_b32_e32 v2, s25, v49
	v_ashrrev_i32_e32 v3, 31, v2
	v_lshlrev_b64 v[2:3], 2, v[2:3]
	s_waitcnt lgkmcnt(0)
	v_mov_b32_e32 v4, s15
	v_add_co_u32_e32 v2, vcc, s14, v2
	v_addc_co_u32_e32 v3, vcc, v4, v3, vcc
	global_load_dword v50, v[2:3], off
.LBB559_13:
	s_or_b64 exec, exec, s[8:9]
	v_or_b32_e32 v8, s18, v6
	v_ashrrev_i32_e32 v2, 4, v8
	v_mov_b32_e32 v9, s21
	v_cmp_gt_i32_e32 vcc, s33, v8
	v_cndmask_b32_e32 v2, v9, v2, vcc
	v_ashrrev_i32_e32 v3, 31, v2
	v_lshlrev_b64 v[2:3], 2, v[2:3]
	v_mov_b32_e32 v4, s20
	v_add_co_u32_e32 v2, vcc, s19, v2
	v_addc_co_u32_e32 v3, vcc, v4, v3, vcc
	v_or_b32_e32 v4, 64, v8
	v_ashrrev_i32_e32 v5, 4, v4
	v_cmp_gt_i32_e32 vcc, s33, v4
	v_cndmask_b32_e32 v4, v9, v5, vcc
	v_ashrrev_i32_e32 v5, 31, v4
	v_lshlrev_b64 v[4:5], 2, v[4:5]
	v_mov_b32_e32 v6, s20
	v_add_co_u32_e32 v4, vcc, s19, v4
	v_addc_co_u32_e32 v5, vcc, v6, v5, vcc
	v_or_b32_e32 v6, 0x80, v8
	v_ashrrev_i32_e32 v7, 4, v6
	v_cmp_gt_i32_e32 vcc, s33, v6
	v_cndmask_b32_e32 v6, v9, v7, vcc
	v_ashrrev_i32_e32 v7, 31, v6
	v_lshlrev_b64 v[6:7], 2, v[6:7]
	v_mov_b32_e32 v10, s20
	v_add_co_u32_e32 v6, vcc, s19, v6
	v_addc_co_u32_e32 v7, vcc, v10, v7, vcc
	global_load_dword v10, v[2:3], off
	global_load_dword v11, v[4:5], off
	;; [unrolled: 1-line block ×3, first 2 shown]
	v_or_b32_e32 v2, 0xc0, v8
	v_ashrrev_i32_e32 v3, 4, v2
	v_cmp_gt_i32_e32 vcc, s33, v2
	v_cndmask_b32_e32 v2, v9, v3, vcc
	v_ashrrev_i32_e32 v3, 31, v2
	v_lshlrev_b64 v[2:3], 2, v[2:3]
	v_mov_b32_e32 v4, s20
	v_add_co_u32_e32 v2, vcc, s19, v2
	v_addc_co_u32_e32 v3, vcc, v4, v3, vcc
	global_load_dword v13, v[2:3], off
	s_add_u32 s2, s2, s10
	v_lshlrev_b32_e32 v2, 4, v49
	s_addc_u32 s3, s3, 0
	v_lshl_or_b32 v2, v48, 8, v2
	v_mov_b32_e32 v3, s3
	v_add_co_u32_e32 v2, vcc, s2, v2
	v_addc_co_u32_e32 v3, vcc, 0, v3, vcc
	s_movk_i32 s8, 0x80
	s_waitcnt vmcnt(7)
	v_cmp_ne_u16_sdwa s[10:11], v34, v43 src0_sel:BYTE_0 src1_sel:DWORD
	s_waitcnt vmcnt(3)
	v_mad_i64_i32 v[4:5], s[2:3], v10, s13, v[2:3]
	s_waitcnt vmcnt(2)
	v_mad_i64_i32 v[6:7], s[2:3], v11, s13, v[2:3]
	;; [unrolled: 2-line block ×4, first 2 shown]
	global_load_dwordx4 v[14:17], v[4:5], off
	global_load_dwordx4 v[10:13], v[6:7], off
                                        ; kill: killed $vgpr6_vgpr7
                                        ; kill: killed $vgpr4_vgpr5
	s_nop 0
	global_load_dwordx4 v[6:9], v[8:9], off
	s_nop 0
	global_load_dwordx4 v[2:5], v[2:3], off
	s_load_dwordx4 s[40:43], s[4:5], 0x80
	s_load_dwordx2 s[44:45], s[4:5], 0x94
                                        ; kill: killed $sgpr40_sgpr41
	s_waitcnt lgkmcnt(0)
	s_load_dword s12, s[40:41], 0x0
	s_and_saveexec_b64 s[2:3], s[10:11]
	s_cbranch_execz .LBB559_19
; %bb.14:
	v_cmp_ne_u16_sdwa s[10:11], v34, s8 src0_sel:BYTE_0 src1_sel:DWORD
	v_bfrev_b32_e32 v43, 1
	s_and_saveexec_b64 s[8:9], s[10:11]
	s_cbranch_execz .LBB559_18
; %bb.15:
	s_movk_i32 s10, 0x7f
	v_and_b32_e32 v42, 0x7f, v34
	v_cmp_ne_u32_e32 vcc, s10, v42
	v_mov_b32_e32 v43, 0x7f800001
	s_and_saveexec_b64 s[10:11], vcc
	s_cbranch_execz .LBB559_17
; %bb.16:
	v_and_b32_e32 v43, 7, v34
	v_ffbh_u32_e32 v44, v43
	v_min_u32_e32 v52, 32, v44
	v_subrev_u32_e32 v44, 28, v52
	v_lshlrev_b64 v[44:45], v44, v[34:35]
	v_lshrrev_b32_e32 v51, 3, v42
	v_sub_u32_e32 v45, 29, v52
	v_and_b32_e32 v44, 7, v44
	v_cmp_gt_u32_e32 vcc, 8, v42
	v_cndmask_b32_e32 v42, v51, v45, vcc
	v_cndmask_b32_e32 v43, v43, v44, vcc
	v_lshlrev_b32_e32 v44, 24, v34
	v_bfrev_b32_e32 v45, 60
	v_lshlrev_b32_e32 v43, 20, v43
	v_and_b32_e32 v44, 0x80000000, v44
	v_lshl_add_u32 v42, v42, 23, v45
	v_or3_b32 v43, v44, v42, v43
.LBB559_17:
	s_or_b64 exec, exec, s[10:11]
.LBB559_18:
	s_or_b64 exec, exec, s[8:9]
.LBB559_19:
	s_or_b64 exec, exec, s[2:3]
	v_lshrrev_b16_e32 v42, 8, v34
	v_cmp_ne_u16_e32 vcc, 0, v42
	v_mov_b32_e32 v44, 0
	v_mov_b32_e32 v45, 0
	s_and_saveexec_b64 s[2:3], vcc
	s_cbranch_execz .LBB559_25
; %bb.20:
	s_movk_i32 s8, 0x80
	v_cmp_ne_u16_sdwa s[10:11], v34, s8 src0_sel:BYTE_1 src1_sel:DWORD
	v_bfrev_b32_e32 v45, 1
	s_and_saveexec_b64 s[8:9], s[10:11]
	s_cbranch_execz .LBB559_24
; %bb.21:
	s_movk_i32 s10, 0x7f
	v_and_b32_e32 v51, 0x7f, v42
	v_cmp_ne_u32_e32 vcc, s10, v51
	v_mov_b32_e32 v45, 0x7f800001
	s_and_saveexec_b64 s[10:11], vcc
	s_cbranch_execz .LBB559_23
; %bb.22:
	v_and_b32_e32 v45, 7, v42
	v_ffbh_u32_e32 v52, v45
	v_min_u32_e32 v55, 32, v52
	v_subrev_u32_e32 v52, 28, v55
	v_lshlrev_b64 v[52:53], v52, v[42:43]
	v_lshrrev_b32_e32 v54, 3, v51
	v_sub_u32_e32 v42, 29, v55
	v_and_b32_e32 v52, 7, v52
	v_cmp_gt_u32_e32 vcc, 8, v51
	v_cndmask_b32_e32 v42, v54, v42, vcc
	v_cndmask_b32_e32 v45, v45, v52, vcc
	v_lshlrev_b32_e32 v51, 16, v34
	v_bfrev_b32_e32 v52, 60
	v_lshlrev_b32_e32 v45, 20, v45
	v_and_b32_e32 v51, 0x80000000, v51
	v_lshl_add_u32 v42, v42, 23, v52
	v_or3_b32 v45, v51, v42, v45
.LBB559_23:
	s_or_b64 exec, exec, s[10:11]
.LBB559_24:
	s_or_b64 exec, exec, s[8:9]
.LBB559_25:
	s_or_b64 exec, exec, s[2:3]
	s_movk_i32 s2, 0xff
	v_and_b32_sdwa v51, v34, s2 dst_sel:DWORD dst_unused:UNUSED_PAD src0_sel:WORD_1 src1_sel:DWORD
	v_lshrrev_b32_e32 v42, 16, v34
	v_cmp_ne_u16_e32 vcc, 0, v51
	s_and_saveexec_b64 s[2:3], vcc
	s_cbranch_execz .LBB559_31
; %bb.26:
	s_movk_i32 s8, 0x80
	v_cmp_ne_u16_e32 vcc, s8, v51
	v_bfrev_b32_e32 v44, 1
	s_and_saveexec_b64 s[8:9], vcc
	s_cbranch_execz .LBB559_30
; %bb.27:
	v_bfe_u32 v51, v34, 16, 7
	s_movk_i32 s10, 0x7f
	v_cmp_ne_u32_e32 vcc, s10, v51
	v_mov_b32_e32 v44, 0x7f800001
	s_and_saveexec_b64 s[10:11], vcc
	s_cbranch_execz .LBB559_29
; %bb.28:
	v_and_b32_e32 v44, 7, v42
	v_ffbh_u32_e32 v52, v44
	v_min_u32_e32 v55, 32, v52
	v_subrev_u32_e32 v52, 28, v55
	v_lshlrev_b64 v[52:53], v52, v[42:43]
	v_lshrrev_b32_e32 v54, 3, v51
	v_sub_u32_e32 v42, 29, v55
	v_and_b32_e32 v52, 7, v52
	v_cmp_gt_u32_e32 vcc, 8, v51
	v_mov_b32_e32 v51, 24
	v_cndmask_b32_e32 v42, v54, v42, vcc
	v_cndmask_b32_e32 v44, v44, v52, vcc
	v_lshlrev_b32_sdwa v51, v51, v34 dst_sel:DWORD dst_unused:UNUSED_PAD src0_sel:DWORD src1_sel:WORD_1
	v_bfrev_b32_e32 v52, 60
	v_lshlrev_b32_e32 v44, 20, v44
	v_and_b32_e32 v51, 0x80000000, v51
	v_lshl_add_u32 v42, v42, 23, v52
	v_or3_b32 v44, v51, v42, v44
.LBB559_29:
	s_or_b64 exec, exec, s[10:11]
.LBB559_30:
	s_or_b64 exec, exec, s[8:9]
.LBB559_31:
	s_or_b64 exec, exec, s[2:3]
	s_mov_b32 s2, 0xffffff
	v_cmp_lt_u32_e32 vcc, s2, v34
	v_mov_b32_e32 v52, 0
	v_mov_b32_e32 v53, 0
	s_and_saveexec_b64 s[2:3], vcc
	s_cbranch_execz .LBB559_37
; %bb.32:
	v_lshrrev_b32_e32 v42, 24, v34
	s_movk_i32 s8, 0x80
	v_cmp_ne_u32_e32 vcc, s8, v42
	v_bfrev_b32_e32 v53, 1
	s_and_saveexec_b64 s[8:9], vcc
	s_cbranch_execz .LBB559_36
; %bb.33:
	v_bfe_u32 v34, v34, 24, 7
	s_movk_i32 s10, 0x7f
	v_cmp_ne_u32_e32 vcc, s10, v34
	v_mov_b32_e32 v53, 0x7f800001
	s_and_saveexec_b64 s[10:11], vcc
	s_cbranch_execz .LBB559_35
; %bb.34:
	v_and_b32_e32 v51, 7, v42
	v_ffbh_u32_e32 v54, v51
	v_min_u32_e32 v56, 32, v54
	v_subrev_u32_e32 v54, 28, v56
	v_lshlrev_b64 v[54:55], v54, v[42:43]
	v_lshrrev_b32_e32 v53, 3, v34
	v_sub_u32_e32 v55, 29, v56
	v_and_b32_e32 v54, 7, v54
	v_cmp_gt_u32_e32 vcc, 8, v34
	v_cndmask_b32_e32 v34, v53, v55, vcc
	v_cndmask_b32_e32 v51, v51, v54, vcc
	v_lshlrev_b32_e32 v42, 24, v42
	v_bfrev_b32_e32 v53, 60
	v_lshlrev_b32_e32 v51, 20, v51
	v_and_b32_e32 v42, 0x80000000, v42
	v_lshl_add_u32 v34, v34, 23, v53
	v_or3_b32 v53, v42, v34, v51
.LBB559_35:
	s_or_b64 exec, exec, s[10:11]
.LBB559_36:
	s_or_b64 exec, exec, s[8:9]
.LBB559_37:
	s_or_b64 exec, exec, s[2:3]
	v_cmp_ne_u16_sdwa s[8:9], v35, v52 src0_sel:BYTE_0 src1_sel:DWORD
	s_and_saveexec_b64 s[2:3], s[8:9]
	s_cbranch_execz .LBB559_43
; %bb.38:
	s_movk_i32 s8, 0x80
	v_cmp_ne_u16_sdwa s[10:11], v35, s8 src0_sel:BYTE_0 src1_sel:DWORD
	v_bfrev_b32_e32 v52, 1
	s_and_saveexec_b64 s[8:9], s[10:11]
	s_cbranch_execz .LBB559_42
; %bb.39:
	s_movk_i32 s10, 0x7f
	v_and_b32_e32 v34, 0x7f, v35
	v_cmp_ne_u32_e32 vcc, s10, v34
	v_mov_b32_e32 v52, 0x7f800001
	s_and_saveexec_b64 s[10:11], vcc
	s_cbranch_execz .LBB559_41
; %bb.40:
	v_and_b32_e32 v51, 7, v35
	v_ffbh_u32_e32 v54, v51
	v_min_u32_e32 v56, 32, v54
	v_mov_b32_e32 v42, v35
	v_subrev_u32_e32 v54, 28, v56
	v_lshlrev_b64 v[54:55], v54, v[42:43]
	v_lshrrev_b32_e32 v52, 3, v34
	v_sub_u32_e32 v42, 29, v56
	v_and_b32_e32 v54, 7, v54
	v_cmp_gt_u32_e32 vcc, 8, v34
	v_cndmask_b32_e32 v34, v52, v42, vcc
	v_cndmask_b32_e32 v42, v51, v54, vcc
	v_lshlrev_b32_e32 v51, 24, v35
	v_bfrev_b32_e32 v52, 60
	v_lshlrev_b32_e32 v42, 20, v42
	v_and_b32_e32 v51, 0x80000000, v51
	v_lshl_add_u32 v34, v34, 23, v52
	v_or3_b32 v52, v51, v34, v42
.LBB559_41:
	s_or_b64 exec, exec, s[10:11]
.LBB559_42:
	s_or_b64 exec, exec, s[8:9]
.LBB559_43:
	s_or_b64 exec, exec, s[2:3]
	v_lshrrev_b16_e32 v34, 8, v35
	v_cmp_ne_u16_e32 vcc, 0, v34
	v_mov_b32_e32 v42, 0
	v_mov_b32_e32 v54, 0
	s_and_saveexec_b64 s[2:3], vcc
	s_cbranch_execz .LBB559_49
; %bb.44:
	s_movk_i32 s8, 0x80
	v_cmp_ne_u16_e32 vcc, s8, v34
	v_bfrev_b32_e32 v54, 1
	s_and_saveexec_b64 s[8:9], vcc
	s_cbranch_execz .LBB559_48
; %bb.45:
	s_movk_i32 s10, 0x7f
	v_and_b32_e32 v51, 0x7f, v34
	v_cmp_ne_u32_e32 vcc, s10, v51
	v_mov_b32_e32 v54, 0x7f800001
	s_and_saveexec_b64 s[10:11], vcc
	s_cbranch_execz .LBB559_47
; %bb.46:
	v_and_b32_e32 v56, 7, v34
	v_ffbh_u32_e32 v54, v56
	v_min_u32_e32 v58, 32, v54
	v_subrev_u32_e32 v54, 28, v58
	v_lshlrev_b64 v[54:55], v54, v[34:35]
	v_lshrrev_b32_e32 v57, 3, v51
	v_sub_u32_e32 v34, 29, v58
	v_and_b32_e32 v54, 7, v54
	v_cmp_gt_u32_e32 vcc, 8, v51
	v_cndmask_b32_e32 v34, v57, v34, vcc
	v_cndmask_b32_e32 v51, v56, v54, vcc
	v_lshlrev_b32_e32 v54, 16, v35
	v_bfrev_b32_e32 v55, 60
	v_lshlrev_b32_e32 v51, 20, v51
	v_and_b32_e32 v54, 0x80000000, v54
	v_lshl_add_u32 v34, v34, 23, v55
	v_or3_b32 v54, v54, v34, v51
.LBB559_47:
	s_or_b64 exec, exec, s[10:11]
.LBB559_48:
	s_or_b64 exec, exec, s[8:9]
.LBB559_49:
	s_or_b64 exec, exec, s[2:3]
	s_movk_i32 s2, 0xff
	v_and_b32_sdwa v51, v35, s2 dst_sel:DWORD dst_unused:UNUSED_PAD src0_sel:WORD_1 src1_sel:DWORD
	v_lshrrev_b32_e32 v34, 16, v35
	v_cmp_ne_u16_e32 vcc, 0, v51
	s_and_saveexec_b64 s[2:3], vcc
	s_cbranch_execz .LBB559_55
; %bb.50:
	s_movk_i32 s8, 0x80
	v_cmp_ne_u16_e32 vcc, s8, v51
	v_bfrev_b32_e32 v42, 1
	s_and_saveexec_b64 s[8:9], vcc
	s_cbranch_execz .LBB559_54
; %bb.51:
	v_bfe_u32 v51, v35, 16, 7
	s_movk_i32 s10, 0x7f
	v_cmp_ne_u32_e32 vcc, s10, v51
	v_mov_b32_e32 v42, 0x7f800001
	s_and_saveexec_b64 s[10:11], vcc
	s_cbranch_execz .LBB559_53
; %bb.52:
	v_and_b32_e32 v42, 7, v34
	v_ffbh_u32_e32 v56, v42
	v_min_u32_e32 v58, 32, v56
	v_subrev_u32_e32 v56, 28, v58
	v_lshlrev_b64 v[56:57], v56, v[34:35]
	v_lshrrev_b32_e32 v55, 3, v51
	v_sub_u32_e32 v34, 29, v58
	v_and_b32_e32 v56, 7, v56
	v_cmp_gt_u32_e32 vcc, 8, v51
	v_mov_b32_e32 v51, 24
	v_cndmask_b32_e32 v34, v55, v34, vcc
	v_cndmask_b32_e32 v42, v42, v56, vcc
	v_lshlrev_b32_sdwa v51, v51, v35 dst_sel:DWORD dst_unused:UNUSED_PAD src0_sel:DWORD src1_sel:WORD_1
	v_bfrev_b32_e32 v55, 60
	v_lshlrev_b32_e32 v42, 20, v42
	v_and_b32_e32 v51, 0x80000000, v51
	v_lshl_add_u32 v34, v34, 23, v55
	v_or3_b32 v42, v51, v34, v42
.LBB559_53:
	s_or_b64 exec, exec, s[10:11]
.LBB559_54:
	s_or_b64 exec, exec, s[8:9]
.LBB559_55:
	s_or_b64 exec, exec, s[2:3]
	s_mov_b32 s2, 0xffffff
	v_cmp_lt_u32_e32 vcc, s2, v35
	v_mov_b32_e32 v51, 0
	v_mov_b32_e32 v55, 0
	s_and_saveexec_b64 s[2:3], vcc
	s_cbranch_execz .LBB559_61
; %bb.56:
	v_lshrrev_b32_e32 v34, 24, v35
	s_movk_i32 s8, 0x80
	v_cmp_ne_u32_e32 vcc, s8, v34
	v_bfrev_b32_e32 v55, 1
	s_and_saveexec_b64 s[8:9], vcc
	s_cbranch_execz .LBB559_60
; %bb.57:
	v_bfe_u32 v35, v35, 24, 7
	s_movk_i32 s10, 0x7f
	v_cmp_ne_u32_e32 vcc, s10, v35
	v_mov_b32_e32 v55, 0x7f800001
	s_and_saveexec_b64 s[10:11], vcc
	s_cbranch_execz .LBB559_59
; %bb.58:
	v_and_b32_e32 v55, 7, v34
	v_ffbh_u32_e32 v56, v55
	v_min_u32_e32 v59, 32, v56
	v_subrev_u32_e32 v56, 28, v59
	v_lshlrev_b64 v[56:57], v56, v[34:35]
	v_lshrrev_b32_e32 v58, 3, v35
	v_sub_u32_e32 v57, 29, v59
	v_and_b32_e32 v56, 7, v56
	v_cmp_gt_u32_e32 vcc, 8, v35
	v_cndmask_b32_e32 v35, v58, v57, vcc
	v_cndmask_b32_e32 v55, v55, v56, vcc
	v_lshlrev_b32_e32 v34, 24, v34
	v_bfrev_b32_e32 v56, 60
	v_lshlrev_b32_e32 v55, 20, v55
	v_and_b32_e32 v34, 0x80000000, v34
	v_lshl_add_u32 v35, v35, 23, v56
	v_or3_b32 v55, v34, v35, v55
.LBB559_59:
	s_or_b64 exec, exec, s[10:11]
.LBB559_60:
	s_or_b64 exec, exec, s[8:9]
.LBB559_61:
	s_or_b64 exec, exec, s[2:3]
	v_cvt_pkrtz_f16_f32 v34, v43, v45
	v_cvt_pkrtz_f16_f32 v35, v44, v53
	v_cmp_ne_u16_sdwa s[8:9], v36, v51 src0_sel:BYTE_0 src1_sel:DWORD
	s_nop 0
	v_mfma_f32_16x16x16f16 v[56:59], v[34:35], v[26:27], 0
	v_cvt_pkrtz_f16_f32 v34, v52, v54
	v_cvt_pkrtz_f16_f32 v35, v42, v55
	s_nop 1
	v_mfma_f32_16x16x16f16 v[42:45], v[34:35], v[28:29], v[56:59]
	s_and_saveexec_b64 s[2:3], s[8:9]
	s_cbranch_execz .LBB559_67
; %bb.62:
	s_movk_i32 s8, 0x80
	v_cmp_ne_u16_sdwa s[10:11], v36, s8 src0_sel:BYTE_0 src1_sel:DWORD
	v_bfrev_b32_e32 v51, 1
	s_and_saveexec_b64 s[8:9], s[10:11]
	s_cbranch_execz .LBB559_66
; %bb.63:
	s_movk_i32 s10, 0x7f
	v_and_b32_e32 v34, 0x7f, v36
	v_cmp_ne_u32_e32 vcc, s10, v34
	v_mov_b32_e32 v51, 0x7f800001
	s_and_saveexec_b64 s[10:11], vcc
	s_cbranch_execz .LBB559_65
; %bb.64:
	v_and_b32_e32 v35, 7, v36
	v_ffbh_u32_e32 v52, v35
	v_min_u32_e32 v54, 32, v52
	v_subrev_u32_e32 v52, 28, v54
	v_lshlrev_b64 v[52:53], v52, v[36:37]
	v_lshrrev_b32_e32 v51, 3, v34
	v_sub_u32_e32 v53, 29, v54
	v_and_b32_e32 v52, 7, v52
	v_cmp_gt_u32_e32 vcc, 8, v34
	v_cndmask_b32_e32 v34, v51, v53, vcc
	v_cndmask_b32_e32 v35, v35, v52, vcc
	v_lshlrev_b32_e32 v51, 24, v36
	v_bfrev_b32_e32 v52, 60
	v_lshlrev_b32_e32 v35, 20, v35
	v_and_b32_e32 v51, 0x80000000, v51
	v_lshl_add_u32 v34, v34, 23, v52
	v_or3_b32 v51, v51, v34, v35
.LBB559_65:
	s_or_b64 exec, exec, s[10:11]
.LBB559_66:
	s_or_b64 exec, exec, s[8:9]
.LBB559_67:
	s_or_b64 exec, exec, s[2:3]
	v_lshrrev_b16_e32 v34, 8, v36
	v_cmp_ne_u16_e32 vcc, 0, v34
	v_mov_b32_e32 v35, 0
	v_mov_b32_e32 v53, 0
	s_and_saveexec_b64 s[2:3], vcc
	s_cbranch_execz .LBB559_73
; %bb.68:
	s_movk_i32 s8, 0x80
	v_cmp_ne_u16_e32 vcc, s8, v34
	v_bfrev_b32_e32 v53, 1
	s_and_saveexec_b64 s[8:9], vcc
	s_cbranch_execz .LBB559_72
; %bb.69:
	s_movk_i32 s10, 0x7f
	v_and_b32_e32 v52, 0x7f, v34
	v_cmp_ne_u32_e32 vcc, s10, v52
	v_mov_b32_e32 v53, 0x7f800001
	s_and_saveexec_b64 s[10:11], vcc
	s_cbranch_execz .LBB559_71
; %bb.70:
	v_and_b32_e32 v53, 7, v34
	v_ffbh_u32_e32 v54, v53
	v_min_u32_e32 v57, 32, v54
	v_subrev_u32_e32 v54, 28, v57
	v_lshlrev_b64 v[54:55], v54, v[34:35]
	v_lshrrev_b32_e32 v56, 3, v52
	v_sub_u32_e32 v34, 29, v57
	v_and_b32_e32 v54, 7, v54
	v_cmp_gt_u32_e32 vcc, 8, v52
	v_cndmask_b32_e32 v34, v56, v34, vcc
	v_cndmask_b32_e32 v52, v53, v54, vcc
	v_lshlrev_b32_e32 v53, 16, v36
	v_bfrev_b32_e32 v54, 60
	v_lshlrev_b32_e32 v52, 20, v52
	v_and_b32_e32 v53, 0x80000000, v53
	v_lshl_add_u32 v34, v34, 23, v54
	v_or3_b32 v53, v53, v34, v52
.LBB559_71:
	s_or_b64 exec, exec, s[10:11]
.LBB559_72:
	s_or_b64 exec, exec, s[8:9]
.LBB559_73:
	s_or_b64 exec, exec, s[2:3]
	s_movk_i32 s2, 0xff
	v_and_b32_sdwa v52, v36, s2 dst_sel:DWORD dst_unused:UNUSED_PAD src0_sel:WORD_1 src1_sel:DWORD
	v_lshrrev_b32_e32 v34, 16, v36
	v_cmp_ne_u16_e32 vcc, 0, v52
	s_and_saveexec_b64 s[2:3], vcc
	s_cbranch_execz .LBB559_79
; %bb.74:
	s_movk_i32 s8, 0x80
	v_cmp_ne_u16_e32 vcc, s8, v52
	v_bfrev_b32_e32 v35, 1
	s_and_saveexec_b64 s[8:9], vcc
	s_cbranch_execz .LBB559_78
; %bb.75:
	v_bfe_u32 v52, v36, 16, 7
	s_movk_i32 s10, 0x7f
	v_cmp_ne_u32_e32 vcc, s10, v52
	v_mov_b32_e32 v35, 0x7f800001
	s_and_saveexec_b64 s[10:11], vcc
	s_cbranch_execz .LBB559_77
; %bb.76:
	v_and_b32_e32 v54, 7, v34
	v_ffbh_u32_e32 v35, v54
	v_min_u32_e32 v56, 32, v35
	v_subrev_u32_e32 v35, 28, v56
	v_lshlrev_b64 v[34:35], v35, v[34:35]
	v_lshrrev_b32_e32 v55, 3, v52
	v_sub_u32_e32 v35, 29, v56
	v_and_b32_e32 v34, 7, v34
	v_cmp_gt_u32_e32 vcc, 8, v52
	v_mov_b32_e32 v52, 24
	v_cndmask_b32_e32 v35, v55, v35, vcc
	v_cndmask_b32_e32 v34, v54, v34, vcc
	v_lshlrev_b32_sdwa v52, v52, v36 dst_sel:DWORD dst_unused:UNUSED_PAD src0_sel:DWORD src1_sel:WORD_1
	v_bfrev_b32_e32 v54, 60
	v_lshlrev_b32_e32 v34, 20, v34
	v_and_b32_e32 v52, 0x80000000, v52
	v_lshl_add_u32 v35, v35, 23, v54
	v_or3_b32 v35, v52, v35, v34
.LBB559_77:
	s_or_b64 exec, exec, s[10:11]
.LBB559_78:
	s_or_b64 exec, exec, s[8:9]
.LBB559_79:
	s_or_b64 exec, exec, s[2:3]
	s_mov_b32 s2, 0xffffff
	v_cmp_lt_u32_e32 vcc, s2, v36
	v_mov_b32_e32 v54, 0
	v_mov_b32_e32 v55, 0
	s_and_saveexec_b64 s[2:3], vcc
	s_cbranch_execz .LBB559_85
; %bb.80:
	v_lshrrev_b32_e32 v34, 24, v36
	s_movk_i32 s8, 0x80
	v_cmp_ne_u32_e32 vcc, s8, v34
	v_bfrev_b32_e32 v55, 1
	s_and_saveexec_b64 s[8:9], vcc
	s_cbranch_execz .LBB559_84
; %bb.81:
	v_bfe_u32 v36, v36, 24, 7
	s_movk_i32 s10, 0x7f
	v_cmp_ne_u32_e32 vcc, s10, v36
	v_mov_b32_e32 v55, 0x7f800001
	s_and_saveexec_b64 s[10:11], vcc
	s_cbranch_execz .LBB559_83
; %bb.82:
	v_and_b32_e32 v52, 7, v34
	v_ffbh_u32_e32 v56, v52
	v_min_u32_e32 v58, 32, v56
	v_subrev_u32_e32 v56, 28, v58
	v_lshlrev_b64 v[56:57], v56, v[34:35]
	v_lshrrev_b32_e32 v55, 3, v36
	v_sub_u32_e32 v57, 29, v58
	v_and_b32_e32 v56, 7, v56
	v_cmp_gt_u32_e32 vcc, 8, v36
	v_cndmask_b32_e32 v36, v55, v57, vcc
	v_cndmask_b32_e32 v52, v52, v56, vcc
	v_lshlrev_b32_e32 v34, 24, v34
	v_bfrev_b32_e32 v55, 60
	v_lshlrev_b32_e32 v52, 20, v52
	v_and_b32_e32 v34, 0x80000000, v34
	v_lshl_add_u32 v36, v36, 23, v55
	v_or3_b32 v55, v34, v36, v52
.LBB559_83:
	s_or_b64 exec, exec, s[10:11]
.LBB559_84:
	s_or_b64 exec, exec, s[8:9]
.LBB559_85:
	s_or_b64 exec, exec, s[2:3]
	v_cmp_ne_u16_sdwa s[8:9], v37, v54 src0_sel:BYTE_0 src1_sel:DWORD
	s_and_saveexec_b64 s[2:3], s[8:9]
	s_cbranch_execz .LBB559_91
; %bb.86:
	s_movk_i32 s8, 0x80
	v_cmp_ne_u16_sdwa s[10:11], v37, s8 src0_sel:BYTE_0 src1_sel:DWORD
	v_bfrev_b32_e32 v54, 1
	s_and_saveexec_b64 s[8:9], s[10:11]
	s_cbranch_execz .LBB559_90
; %bb.87:
	s_movk_i32 s10, 0x7f
	v_and_b32_e32 v34, 0x7f, v37
	v_cmp_ne_u32_e32 vcc, s10, v34
	v_mov_b32_e32 v54, 0x7f800001
	s_and_saveexec_b64 s[10:11], vcc
	s_cbranch_execz .LBB559_89
; %bb.88:
	v_and_b32_e32 v52, 7, v37
	v_ffbh_u32_e32 v56, v52
	v_min_u32_e32 v58, 32, v56
	v_mov_b32_e32 v36, v37
	v_subrev_u32_e32 v56, 28, v58
	v_lshlrev_b64 v[56:57], v56, v[36:37]
	v_lshrrev_b32_e32 v54, 3, v34
	v_sub_u32_e32 v36, 29, v58
	v_and_b32_e32 v56, 7, v56
	v_cmp_gt_u32_e32 vcc, 8, v34
	v_cndmask_b32_e32 v34, v54, v36, vcc
	v_cndmask_b32_e32 v36, v52, v56, vcc
	v_lshlrev_b32_e32 v52, 24, v37
	v_bfrev_b32_e32 v54, 60
	v_lshlrev_b32_e32 v36, 20, v36
	v_and_b32_e32 v52, 0x80000000, v52
	v_lshl_add_u32 v34, v34, 23, v54
	v_or3_b32 v54, v52, v34, v36
.LBB559_89:
	s_or_b64 exec, exec, s[10:11]
.LBB559_90:
	s_or_b64 exec, exec, s[8:9]
.LBB559_91:
	s_or_b64 exec, exec, s[2:3]
	v_lshrrev_b16_e32 v34, 8, v37
	v_cmp_ne_u16_e32 vcc, 0, v34
	v_mov_b32_e32 v36, 0
	v_mov_b32_e32 v56, 0
	s_and_saveexec_b64 s[2:3], vcc
	s_cbranch_execz .LBB559_97
; %bb.92:
	s_movk_i32 s8, 0x80
	v_cmp_ne_u16_e32 vcc, s8, v34
	v_bfrev_b32_e32 v56, 1
	s_and_saveexec_b64 s[8:9], vcc
	s_cbranch_execz .LBB559_96
; %bb.93:
	s_movk_i32 s10, 0x7f
	v_and_b32_e32 v52, 0x7f, v34
	v_cmp_ne_u32_e32 vcc, s10, v52
	v_mov_b32_e32 v56, 0x7f800001
	s_and_saveexec_b64 s[10:11], vcc
	s_cbranch_execz .LBB559_95
; %bb.94:
	v_and_b32_e32 v58, 7, v34
	v_ffbh_u32_e32 v56, v58
	v_min_u32_e32 v60, 32, v56
	v_subrev_u32_e32 v56, 28, v60
	v_lshlrev_b64 v[56:57], v56, v[34:35]
	v_lshrrev_b32_e32 v59, 3, v52
	v_sub_u32_e32 v34, 29, v60
	v_and_b32_e32 v56, 7, v56
	v_cmp_gt_u32_e32 vcc, 8, v52
	v_cndmask_b32_e32 v34, v59, v34, vcc
	v_cndmask_b32_e32 v52, v58, v56, vcc
	v_lshlrev_b32_e32 v56, 16, v37
	v_bfrev_b32_e32 v57, 60
	v_lshlrev_b32_e32 v52, 20, v52
	v_and_b32_e32 v56, 0x80000000, v56
	v_lshl_add_u32 v34, v34, 23, v57
	v_or3_b32 v56, v56, v34, v52
.LBB559_95:
	s_or_b64 exec, exec, s[10:11]
.LBB559_96:
	s_or_b64 exec, exec, s[8:9]
.LBB559_97:
	s_or_b64 exec, exec, s[2:3]
	s_movk_i32 s2, 0xff
	v_and_b32_sdwa v52, v37, s2 dst_sel:DWORD dst_unused:UNUSED_PAD src0_sel:WORD_1 src1_sel:DWORD
	v_lshrrev_b32_e32 v34, 16, v37
	v_cmp_ne_u16_e32 vcc, 0, v52
	s_and_saveexec_b64 s[2:3], vcc
	s_cbranch_execz .LBB559_103
; %bb.98:
	s_movk_i32 s8, 0x80
	v_cmp_ne_u16_e32 vcc, s8, v52
	v_bfrev_b32_e32 v36, 1
	s_and_saveexec_b64 s[8:9], vcc
	s_cbranch_execz .LBB559_102
; %bb.99:
	v_bfe_u32 v52, v37, 16, 7
	s_movk_i32 s10, 0x7f
	v_cmp_ne_u32_e32 vcc, s10, v52
	v_mov_b32_e32 v36, 0x7f800001
	s_and_saveexec_b64 s[10:11], vcc
	s_cbranch_execz .LBB559_101
; %bb.100:
	v_and_b32_e32 v36, 7, v34
	v_ffbh_u32_e32 v58, v36
	v_min_u32_e32 v60, 32, v58
	v_subrev_u32_e32 v58, 28, v60
	v_lshlrev_b64 v[58:59], v58, v[34:35]
	v_lshrrev_b32_e32 v57, 3, v52
	v_sub_u32_e32 v34, 29, v60
	v_and_b32_e32 v58, 7, v58
	v_cmp_gt_u32_e32 vcc, 8, v52
	v_mov_b32_e32 v52, 24
	v_cndmask_b32_e32 v34, v57, v34, vcc
	v_cndmask_b32_e32 v36, v36, v58, vcc
	v_lshlrev_b32_sdwa v52, v52, v37 dst_sel:DWORD dst_unused:UNUSED_PAD src0_sel:DWORD src1_sel:WORD_1
	v_bfrev_b32_e32 v57, 60
	v_lshlrev_b32_e32 v36, 20, v36
	v_and_b32_e32 v52, 0x80000000, v52
	v_lshl_add_u32 v34, v34, 23, v57
	v_or3_b32 v36, v52, v34, v36
.LBB559_101:
	s_or_b64 exec, exec, s[10:11]
.LBB559_102:
	s_or_b64 exec, exec, s[8:9]
.LBB559_103:
	s_or_b64 exec, exec, s[2:3]
	s_mov_b32 s2, 0xffffff
	v_cmp_lt_u32_e32 vcc, s2, v37
	v_mov_b32_e32 v52, 0
	v_mov_b32_e32 v57, 0
	s_and_saveexec_b64 s[2:3], vcc
	s_cbranch_execz .LBB559_109
; %bb.104:
	v_lshrrev_b32_e32 v34, 24, v37
	s_movk_i32 s8, 0x80
	v_cmp_ne_u32_e32 vcc, s8, v34
	v_bfrev_b32_e32 v57, 1
	s_and_saveexec_b64 s[8:9], vcc
	s_cbranch_execz .LBB559_108
; %bb.105:
	v_bfe_u32 v37, v37, 24, 7
	s_movk_i32 s10, 0x7f
	v_cmp_ne_u32_e32 vcc, s10, v37
	v_mov_b32_e32 v57, 0x7f800001
	s_and_saveexec_b64 s[10:11], vcc
	s_cbranch_execz .LBB559_107
; %bb.106:
	v_and_b32_e32 v57, 7, v34
	v_ffbh_u32_e32 v58, v57
	v_min_u32_e32 v61, 32, v58
	v_subrev_u32_e32 v58, 28, v61
	v_lshlrev_b64 v[58:59], v58, v[34:35]
	v_lshrrev_b32_e32 v60, 3, v37
	v_sub_u32_e32 v59, 29, v61
	v_and_b32_e32 v58, 7, v58
	v_cmp_gt_u32_e32 vcc, 8, v37
	v_cndmask_b32_e32 v37, v60, v59, vcc
	v_cndmask_b32_e32 v57, v57, v58, vcc
	v_lshlrev_b32_e32 v34, 24, v34
	v_bfrev_b32_e32 v58, 60
	v_lshlrev_b32_e32 v57, 20, v57
	v_and_b32_e32 v34, 0x80000000, v34
	v_lshl_add_u32 v37, v37, 23, v58
	v_or3_b32 v57, v34, v37, v57
.LBB559_107:
	s_or_b64 exec, exec, s[10:11]
.LBB559_108:
	s_or_b64 exec, exec, s[8:9]
.LBB559_109:
	s_or_b64 exec, exec, s[2:3]
	v_cvt_pkrtz_f16_f32 v34, v51, v53
	v_cvt_pkrtz_f16_f32 v35, v35, v55
	v_cmp_ne_u16_sdwa s[8:9], v38, v52 src0_sel:BYTE_0 src1_sel:DWORD
	s_nop 0
	v_mfma_f32_16x16x16f16 v[42:45], v[34:35], v[18:19], v[42:45]
	v_cvt_pkrtz_f16_f32 v34, v54, v56
	v_cvt_pkrtz_f16_f32 v35, v36, v57
	s_nop 1
	v_mfma_f32_16x16x16f16 v[34:37], v[34:35], v[20:21], v[42:45]
	s_and_saveexec_b64 s[2:3], s[8:9]
	s_cbranch_execz .LBB559_115
; %bb.110:
	s_movk_i32 s8, 0x80
	v_cmp_ne_u16_sdwa s[10:11], v38, s8 src0_sel:BYTE_0 src1_sel:DWORD
	v_bfrev_b32_e32 v52, 1
	s_and_saveexec_b64 s[8:9], s[10:11]
	s_cbranch_execz .LBB559_114
; %bb.111:
	s_movk_i32 s10, 0x7f
	v_and_b32_e32 v42, 0x7f, v38
	v_cmp_ne_u32_e32 vcc, s10, v42
	v_mov_b32_e32 v52, 0x7f800001
	s_and_saveexec_b64 s[10:11], vcc
	s_cbranch_execz .LBB559_113
; %bb.112:
	v_and_b32_e32 v43, 7, v38
	v_ffbh_u32_e32 v44, v43
	v_min_u32_e32 v52, 32, v44
	v_subrev_u32_e32 v44, 28, v52
	v_lshlrev_b64 v[44:45], v44, v[38:39]
	v_lshrrev_b32_e32 v51, 3, v42
	v_sub_u32_e32 v45, 29, v52
	v_and_b32_e32 v44, 7, v44
	v_cmp_gt_u32_e32 vcc, 8, v42
	v_cndmask_b32_e32 v42, v51, v45, vcc
	v_cndmask_b32_e32 v43, v43, v44, vcc
	v_lshlrev_b32_e32 v44, 24, v38
	v_bfrev_b32_e32 v45, 60
	v_lshlrev_b32_e32 v43, 20, v43
	v_and_b32_e32 v44, 0x80000000, v44
	v_lshl_add_u32 v42, v42, 23, v45
	v_or3_b32 v52, v44, v42, v43
.LBB559_113:
	s_or_b64 exec, exec, s[10:11]
.LBB559_114:
	s_or_b64 exec, exec, s[8:9]
.LBB559_115:
	s_or_b64 exec, exec, s[2:3]
	s_nop 3
	v_lshrrev_b16_e32 v42, 8, v38
	v_cmp_ne_u16_e32 vcc, 0, v42
	v_mov_b32_e32 v43, 0
	v_mov_b32_e32 v44, 0
	s_and_saveexec_b64 s[2:3], vcc
	s_cbranch_execz .LBB559_121
; %bb.116:
	s_movk_i32 s8, 0x80
	v_cmp_ne_u16_e32 vcc, s8, v42
	v_bfrev_b32_e32 v44, 1
	s_and_saveexec_b64 s[8:9], vcc
	s_cbranch_execz .LBB559_120
; %bb.117:
	s_movk_i32 s10, 0x7f
	v_and_b32_e32 v45, 0x7f, v42
	v_cmp_ne_u32_e32 vcc, s10, v45
	v_mov_b32_e32 v44, 0x7f800001
	s_and_saveexec_b64 s[10:11], vcc
	s_cbranch_execz .LBB559_119
; %bb.118:
	v_and_b32_e32 v44, 7, v42
	v_ffbh_u32_e32 v53, v44
	v_min_u32_e32 v53, 32, v53
	v_subrev_u32_e32 v54, 28, v53
	v_lshlrev_b64 v[54:55], v54, v[42:43]
	v_lshrrev_b32_e32 v51, 3, v45
	v_sub_u32_e32 v42, 29, v53
	v_and_b32_e32 v53, 7, v54
	v_cmp_gt_u32_e32 vcc, 8, v45
	v_cndmask_b32_e32 v42, v51, v42, vcc
	v_cndmask_b32_e32 v44, v44, v53, vcc
	v_lshlrev_b32_e32 v45, 16, v38
	v_bfrev_b32_e32 v51, 60
	v_lshlrev_b32_e32 v44, 20, v44
	v_and_b32_e32 v45, 0x80000000, v45
	v_lshl_add_u32 v42, v42, 23, v51
	v_or3_b32 v44, v45, v42, v44
.LBB559_119:
	s_or_b64 exec, exec, s[10:11]
.LBB559_120:
	s_or_b64 exec, exec, s[8:9]
.LBB559_121:
	s_or_b64 exec, exec, s[2:3]
	s_movk_i32 s2, 0xff
	v_and_b32_sdwa v45, v38, s2 dst_sel:DWORD dst_unused:UNUSED_PAD src0_sel:WORD_1 src1_sel:DWORD
	v_lshrrev_b32_e32 v42, 16, v38
	v_cmp_ne_u16_e32 vcc, 0, v45
	s_and_saveexec_b64 s[2:3], vcc
	s_cbranch_execz .LBB559_127
; %bb.122:
	s_movk_i32 s8, 0x80
	v_cmp_ne_u16_e32 vcc, s8, v45
	v_bfrev_b32_e32 v43, 1
	s_and_saveexec_b64 s[8:9], vcc
	s_cbranch_execz .LBB559_126
; %bb.123:
	v_bfe_u32 v45, v38, 16, 7
	s_movk_i32 s10, 0x7f
	v_cmp_ne_u32_e32 vcc, s10, v45
	v_mov_b32_e32 v43, 0x7f800001
	s_and_saveexec_b64 s[10:11], vcc
	s_cbranch_execz .LBB559_125
; %bb.124:
	v_and_b32_e32 v51, 7, v42
	v_ffbh_u32_e32 v43, v51
	v_min_u32_e32 v54, 32, v43
	v_subrev_u32_e32 v43, 28, v54
	v_lshlrev_b64 v[42:43], v43, v[42:43]
	v_lshrrev_b32_e32 v53, 3, v45
	v_sub_u32_e32 v43, 29, v54
	v_and_b32_e32 v42, 7, v42
	v_cmp_gt_u32_e32 vcc, 8, v45
	v_mov_b32_e32 v45, 24
	v_cndmask_b32_e32 v43, v53, v43, vcc
	v_cndmask_b32_e32 v42, v51, v42, vcc
	v_lshlrev_b32_sdwa v45, v45, v38 dst_sel:DWORD dst_unused:UNUSED_PAD src0_sel:DWORD src1_sel:WORD_1
	v_bfrev_b32_e32 v51, 60
	v_lshlrev_b32_e32 v42, 20, v42
	v_and_b32_e32 v45, 0x80000000, v45
	v_lshl_add_u32 v43, v43, 23, v51
	v_or3_b32 v43, v45, v43, v42
.LBB559_125:
	s_or_b64 exec, exec, s[10:11]
.LBB559_126:
	s_or_b64 exec, exec, s[8:9]
.LBB559_127:
	s_or_b64 exec, exec, s[2:3]
	s_mov_b32 s2, 0xffffff
	v_cmp_lt_u32_e32 vcc, s2, v38
	v_mov_b32_e32 v45, 0
	v_mov_b32_e32 v53, 0
	s_and_saveexec_b64 s[2:3], vcc
	s_cbranch_execz .LBB559_133
; %bb.128:
	v_lshrrev_b32_e32 v42, 24, v38
	s_movk_i32 s8, 0x80
	v_cmp_ne_u32_e32 vcc, s8, v42
	v_bfrev_b32_e32 v53, 1
	s_and_saveexec_b64 s[8:9], vcc
	s_cbranch_execz .LBB559_132
; %bb.129:
	v_bfe_u32 v38, v38, 24, 7
	s_movk_i32 s10, 0x7f
	v_cmp_ne_u32_e32 vcc, s10, v38
	v_mov_b32_e32 v53, 0x7f800001
	s_and_saveexec_b64 s[10:11], vcc
	s_cbranch_execz .LBB559_131
; %bb.130:
	v_and_b32_e32 v51, 7, v42
	v_ffbh_u32_e32 v54, v51
	v_min_u32_e32 v56, 32, v54
	v_subrev_u32_e32 v54, 28, v56
	v_lshlrev_b64 v[54:55], v54, v[42:43]
	v_lshrrev_b32_e32 v53, 3, v38
	v_sub_u32_e32 v55, 29, v56
	v_and_b32_e32 v54, 7, v54
	v_cmp_gt_u32_e32 vcc, 8, v38
	v_cndmask_b32_e32 v38, v53, v55, vcc
	v_cndmask_b32_e32 v51, v51, v54, vcc
	v_lshlrev_b32_e32 v42, 24, v42
	v_bfrev_b32_e32 v53, 60
	v_lshlrev_b32_e32 v51, 20, v51
	v_and_b32_e32 v42, 0x80000000, v42
	v_lshl_add_u32 v38, v38, 23, v53
	v_or3_b32 v53, v42, v38, v51
.LBB559_131:
	s_or_b64 exec, exec, s[10:11]
.LBB559_132:
	s_or_b64 exec, exec, s[8:9]
.LBB559_133:
	s_or_b64 exec, exec, s[2:3]
	v_cmp_ne_u16_sdwa s[8:9], v39, v45 src0_sel:BYTE_0 src1_sel:DWORD
	s_and_saveexec_b64 s[2:3], s[8:9]
	s_cbranch_execz .LBB559_139
; %bb.134:
	s_movk_i32 s8, 0x80
	v_cmp_ne_u16_sdwa s[10:11], v39, s8 src0_sel:BYTE_0 src1_sel:DWORD
	v_bfrev_b32_e32 v45, 1
	s_and_saveexec_b64 s[8:9], s[10:11]
	s_cbranch_execz .LBB559_138
; %bb.135:
	s_movk_i32 s10, 0x7f
	v_and_b32_e32 v38, 0x7f, v39
	v_cmp_ne_u32_e32 vcc, s10, v38
	v_mov_b32_e32 v45, 0x7f800001
	s_and_saveexec_b64 s[10:11], vcc
	s_cbranch_execz .LBB559_137
; %bb.136:
	v_and_b32_e32 v45, 7, v39
	v_ffbh_u32_e32 v54, v45
	v_min_u32_e32 v56, 32, v54
	v_mov_b32_e32 v42, v39
	v_subrev_u32_e32 v54, 28, v56
	v_lshlrev_b64 v[54:55], v54, v[42:43]
	v_lshrrev_b32_e32 v51, 3, v38
	v_sub_u32_e32 v42, 29, v56
	v_and_b32_e32 v54, 7, v54
	v_cmp_gt_u32_e32 vcc, 8, v38
	v_cndmask_b32_e32 v38, v51, v42, vcc
	v_cndmask_b32_e32 v42, v45, v54, vcc
	v_lshlrev_b32_e32 v45, 24, v39
	v_bfrev_b32_e32 v51, 60
	v_lshlrev_b32_e32 v42, 20, v42
	v_and_b32_e32 v45, 0x80000000, v45
	v_lshl_add_u32 v38, v38, 23, v51
	v_or3_b32 v45, v45, v38, v42
.LBB559_137:
	s_or_b64 exec, exec, s[10:11]
.LBB559_138:
	s_or_b64 exec, exec, s[8:9]
.LBB559_139:
	s_or_b64 exec, exec, s[2:3]
	v_lshrrev_b16_e32 v38, 8, v39
	v_cmp_ne_u16_e32 vcc, 0, v38
	v_mov_b32_e32 v42, 0
	v_mov_b32_e32 v54, 0
	s_and_saveexec_b64 s[2:3], vcc
	s_cbranch_execz .LBB559_145
; %bb.140:
	s_movk_i32 s8, 0x80
	v_cmp_ne_u16_e32 vcc, s8, v38
	v_bfrev_b32_e32 v54, 1
	s_and_saveexec_b64 s[8:9], vcc
	s_cbranch_execz .LBB559_144
; %bb.141:
	s_movk_i32 s10, 0x7f
	v_and_b32_e32 v51, 0x7f, v38
	v_cmp_ne_u32_e32 vcc, s10, v51
	v_mov_b32_e32 v54, 0x7f800001
	s_and_saveexec_b64 s[10:11], vcc
	s_cbranch_execz .LBB559_143
; %bb.142:
	v_and_b32_e32 v56, 7, v38
	v_ffbh_u32_e32 v54, v56
	v_min_u32_e32 v58, 32, v54
	v_subrev_u32_e32 v54, 28, v58
	v_lshlrev_b64 v[54:55], v54, v[38:39]
	v_lshrrev_b32_e32 v57, 3, v51
	v_sub_u32_e32 v38, 29, v58
	v_and_b32_e32 v54, 7, v54
	v_cmp_gt_u32_e32 vcc, 8, v51
	v_cndmask_b32_e32 v38, v57, v38, vcc
	v_cndmask_b32_e32 v51, v56, v54, vcc
	v_lshlrev_b32_e32 v54, 16, v39
	v_bfrev_b32_e32 v55, 60
	v_lshlrev_b32_e32 v51, 20, v51
	v_and_b32_e32 v54, 0x80000000, v54
	v_lshl_add_u32 v38, v38, 23, v55
	v_or3_b32 v54, v54, v38, v51
.LBB559_143:
	s_or_b64 exec, exec, s[10:11]
.LBB559_144:
	s_or_b64 exec, exec, s[8:9]
.LBB559_145:
	s_or_b64 exec, exec, s[2:3]
	s_movk_i32 s2, 0xff
	v_and_b32_sdwa v51, v39, s2 dst_sel:DWORD dst_unused:UNUSED_PAD src0_sel:WORD_1 src1_sel:DWORD
	v_lshrrev_b32_e32 v38, 16, v39
	v_cmp_ne_u16_e32 vcc, 0, v51
	s_and_saveexec_b64 s[2:3], vcc
	s_cbranch_execz .LBB559_151
; %bb.146:
	s_movk_i32 s8, 0x80
	v_cmp_ne_u16_e32 vcc, s8, v51
	v_bfrev_b32_e32 v42, 1
	s_and_saveexec_b64 s[8:9], vcc
	s_cbranch_execz .LBB559_150
; %bb.147:
	v_bfe_u32 v51, v39, 16, 7
	s_movk_i32 s10, 0x7f
	v_cmp_ne_u32_e32 vcc, s10, v51
	v_mov_b32_e32 v42, 0x7f800001
	s_and_saveexec_b64 s[10:11], vcc
	s_cbranch_execz .LBB559_149
; %bb.148:
	v_and_b32_e32 v42, 7, v38
	v_ffbh_u32_e32 v56, v42
	v_min_u32_e32 v58, 32, v56
	v_subrev_u32_e32 v56, 28, v58
	v_lshlrev_b64 v[56:57], v56, v[38:39]
	v_lshrrev_b32_e32 v55, 3, v51
	v_sub_u32_e32 v38, 29, v58
	v_and_b32_e32 v56, 7, v56
	v_cmp_gt_u32_e32 vcc, 8, v51
	v_mov_b32_e32 v51, 24
	v_cndmask_b32_e32 v38, v55, v38, vcc
	v_cndmask_b32_e32 v42, v42, v56, vcc
	v_lshlrev_b32_sdwa v51, v51, v39 dst_sel:DWORD dst_unused:UNUSED_PAD src0_sel:DWORD src1_sel:WORD_1
	v_bfrev_b32_e32 v55, 60
	v_lshlrev_b32_e32 v42, 20, v42
	v_and_b32_e32 v51, 0x80000000, v51
	v_lshl_add_u32 v38, v38, 23, v55
	v_or3_b32 v42, v51, v38, v42
.LBB559_149:
	s_or_b64 exec, exec, s[10:11]
.LBB559_150:
	s_or_b64 exec, exec, s[8:9]
.LBB559_151:
	s_or_b64 exec, exec, s[2:3]
	s_mov_b32 s2, 0xffffff
	v_cmp_lt_u32_e32 vcc, s2, v39
	v_mov_b32_e32 v51, 0
	v_mov_b32_e32 v55, 0
	s_and_saveexec_b64 s[2:3], vcc
	s_cbranch_execz .LBB559_157
; %bb.152:
	v_lshrrev_b32_e32 v38, 24, v39
	s_movk_i32 s8, 0x80
	v_cmp_ne_u32_e32 vcc, s8, v38
	v_bfrev_b32_e32 v55, 1
	s_and_saveexec_b64 s[8:9], vcc
	s_cbranch_execz .LBB559_156
; %bb.153:
	v_bfe_u32 v39, v39, 24, 7
	s_movk_i32 s10, 0x7f
	v_cmp_ne_u32_e32 vcc, s10, v39
	v_mov_b32_e32 v55, 0x7f800001
	s_and_saveexec_b64 s[10:11], vcc
	s_cbranch_execz .LBB559_155
; %bb.154:
	v_and_b32_e32 v55, 7, v38
	v_ffbh_u32_e32 v56, v55
	v_min_u32_e32 v59, 32, v56
	v_subrev_u32_e32 v56, 28, v59
	v_lshlrev_b64 v[56:57], v56, v[38:39]
	v_lshrrev_b32_e32 v58, 3, v39
	v_sub_u32_e32 v57, 29, v59
	v_and_b32_e32 v56, 7, v56
	v_cmp_gt_u32_e32 vcc, 8, v39
	v_cndmask_b32_e32 v39, v58, v57, vcc
	v_cndmask_b32_e32 v55, v55, v56, vcc
	v_lshlrev_b32_e32 v38, 24, v38
	v_bfrev_b32_e32 v56, 60
	v_lshlrev_b32_e32 v55, 20, v55
	v_and_b32_e32 v38, 0x80000000, v38
	v_lshl_add_u32 v39, v39, 23, v56
	v_or3_b32 v55, v38, v39, v55
.LBB559_155:
	s_or_b64 exec, exec, s[10:11]
.LBB559_156:
	s_or_b64 exec, exec, s[8:9]
.LBB559_157:
	s_or_b64 exec, exec, s[2:3]
	v_cvt_pkrtz_f16_f32 v38, v52, v44
	v_cvt_pkrtz_f16_f32 v39, v43, v53
	v_cmp_ne_u16_sdwa s[8:9], v40, v51 src0_sel:BYTE_0 src1_sel:DWORD
	s_nop 0
	v_mfma_f32_16x16x16f16 v[56:59], v[38:39], v[26:27], 0
	v_cvt_pkrtz_f16_f32 v38, v45, v54
	v_cvt_pkrtz_f16_f32 v39, v42, v55
	s_nop 1
	v_mfma_f32_16x16x16f16 v[42:45], v[38:39], v[28:29], v[56:59]
	s_and_saveexec_b64 s[2:3], s[8:9]
	s_cbranch_execz .LBB559_163
; %bb.158:
	s_movk_i32 s8, 0x80
	v_cmp_ne_u16_sdwa s[10:11], v40, s8 src0_sel:BYTE_0 src1_sel:DWORD
	v_bfrev_b32_e32 v51, 1
	s_and_saveexec_b64 s[8:9], s[10:11]
	s_cbranch_execz .LBB559_162
; %bb.159:
	s_movk_i32 s10, 0x7f
	v_and_b32_e32 v38, 0x7f, v40
	v_cmp_ne_u32_e32 vcc, s10, v38
	v_mov_b32_e32 v51, 0x7f800001
	s_and_saveexec_b64 s[10:11], vcc
	s_cbranch_execz .LBB559_161
; %bb.160:
	v_and_b32_e32 v39, 7, v40
	v_ffbh_u32_e32 v52, v39
	v_min_u32_e32 v54, 32, v52
	v_subrev_u32_e32 v52, 28, v54
	v_lshlrev_b64 v[52:53], v52, v[40:41]
	v_lshrrev_b32_e32 v51, 3, v38
	v_sub_u32_e32 v53, 29, v54
	v_and_b32_e32 v52, 7, v52
	v_cmp_gt_u32_e32 vcc, 8, v38
	v_cndmask_b32_e32 v38, v51, v53, vcc
	v_cndmask_b32_e32 v39, v39, v52, vcc
	v_lshlrev_b32_e32 v51, 24, v40
	v_bfrev_b32_e32 v52, 60
	v_lshlrev_b32_e32 v39, 20, v39
	v_and_b32_e32 v51, 0x80000000, v51
	v_lshl_add_u32 v38, v38, 23, v52
	v_or3_b32 v51, v51, v38, v39
.LBB559_161:
	s_or_b64 exec, exec, s[10:11]
.LBB559_162:
	s_or_b64 exec, exec, s[8:9]
.LBB559_163:
	s_or_b64 exec, exec, s[2:3]
	v_lshrrev_b16_e32 v38, 8, v40
	v_cmp_ne_u16_e32 vcc, 0, v38
	v_mov_b32_e32 v39, 0
	v_mov_b32_e32 v53, 0
	s_and_saveexec_b64 s[2:3], vcc
	s_cbranch_execz .LBB559_169
; %bb.164:
	s_movk_i32 s8, 0x80
	v_cmp_ne_u16_e32 vcc, s8, v38
	v_bfrev_b32_e32 v53, 1
	s_and_saveexec_b64 s[8:9], vcc
	s_cbranch_execz .LBB559_168
; %bb.165:
	s_movk_i32 s10, 0x7f
	v_and_b32_e32 v52, 0x7f, v38
	v_cmp_ne_u32_e32 vcc, s10, v52
	v_mov_b32_e32 v53, 0x7f800001
	s_and_saveexec_b64 s[10:11], vcc
	s_cbranch_execz .LBB559_167
; %bb.166:
	v_and_b32_e32 v53, 7, v38
	v_ffbh_u32_e32 v54, v53
	v_min_u32_e32 v57, 32, v54
	v_subrev_u32_e32 v54, 28, v57
	v_lshlrev_b64 v[54:55], v54, v[38:39]
	v_lshrrev_b32_e32 v56, 3, v52
	v_sub_u32_e32 v38, 29, v57
	v_and_b32_e32 v54, 7, v54
	v_cmp_gt_u32_e32 vcc, 8, v52
	v_cndmask_b32_e32 v38, v56, v38, vcc
	v_cndmask_b32_e32 v52, v53, v54, vcc
	v_lshlrev_b32_e32 v53, 16, v40
	v_bfrev_b32_e32 v54, 60
	v_lshlrev_b32_e32 v52, 20, v52
	v_and_b32_e32 v53, 0x80000000, v53
	v_lshl_add_u32 v38, v38, 23, v54
	v_or3_b32 v53, v53, v38, v52
.LBB559_167:
	s_or_b64 exec, exec, s[10:11]
.LBB559_168:
	s_or_b64 exec, exec, s[8:9]
.LBB559_169:
	s_or_b64 exec, exec, s[2:3]
	s_movk_i32 s2, 0xff
	v_and_b32_sdwa v52, v40, s2 dst_sel:DWORD dst_unused:UNUSED_PAD src0_sel:WORD_1 src1_sel:DWORD
	v_lshrrev_b32_e32 v38, 16, v40
	v_cmp_ne_u16_e32 vcc, 0, v52
	s_and_saveexec_b64 s[2:3], vcc
	s_cbranch_execz .LBB559_175
; %bb.170:
	s_movk_i32 s8, 0x80
	v_cmp_ne_u16_e32 vcc, s8, v52
	v_bfrev_b32_e32 v39, 1
	s_and_saveexec_b64 s[8:9], vcc
	s_cbranch_execz .LBB559_174
; %bb.171:
	v_bfe_u32 v52, v40, 16, 7
	s_movk_i32 s10, 0x7f
	v_cmp_ne_u32_e32 vcc, s10, v52
	v_mov_b32_e32 v39, 0x7f800001
	s_and_saveexec_b64 s[10:11], vcc
	s_cbranch_execz .LBB559_173
; %bb.172:
	v_and_b32_e32 v54, 7, v38
	v_ffbh_u32_e32 v39, v54
	v_min_u32_e32 v56, 32, v39
	v_subrev_u32_e32 v39, 28, v56
	v_lshlrev_b64 v[38:39], v39, v[38:39]
	v_lshrrev_b32_e32 v55, 3, v52
	v_sub_u32_e32 v39, 29, v56
	v_and_b32_e32 v38, 7, v38
	v_cmp_gt_u32_e32 vcc, 8, v52
	v_mov_b32_e32 v52, 24
	v_cndmask_b32_e32 v39, v55, v39, vcc
	v_cndmask_b32_e32 v38, v54, v38, vcc
	v_lshlrev_b32_sdwa v52, v52, v40 dst_sel:DWORD dst_unused:UNUSED_PAD src0_sel:DWORD src1_sel:WORD_1
	v_bfrev_b32_e32 v54, 60
	v_lshlrev_b32_e32 v38, 20, v38
	v_and_b32_e32 v52, 0x80000000, v52
	v_lshl_add_u32 v39, v39, 23, v54
	v_or3_b32 v39, v52, v39, v38
.LBB559_173:
	s_or_b64 exec, exec, s[10:11]
.LBB559_174:
	s_or_b64 exec, exec, s[8:9]
.LBB559_175:
	s_or_b64 exec, exec, s[2:3]
	s_mov_b32 s2, 0xffffff
	v_cmp_lt_u32_e32 vcc, s2, v40
	v_mov_b32_e32 v54, 0
	v_mov_b32_e32 v55, 0
	s_and_saveexec_b64 s[2:3], vcc
	s_cbranch_execz .LBB559_181
; %bb.176:
	v_lshrrev_b32_e32 v38, 24, v40
	s_movk_i32 s8, 0x80
	v_cmp_ne_u32_e32 vcc, s8, v38
	v_bfrev_b32_e32 v55, 1
	s_and_saveexec_b64 s[8:9], vcc
	s_cbranch_execz .LBB559_180
; %bb.177:
	v_bfe_u32 v40, v40, 24, 7
	s_movk_i32 s10, 0x7f
	v_cmp_ne_u32_e32 vcc, s10, v40
	v_mov_b32_e32 v55, 0x7f800001
	s_and_saveexec_b64 s[10:11], vcc
	s_cbranch_execz .LBB559_179
; %bb.178:
	v_and_b32_e32 v52, 7, v38
	v_ffbh_u32_e32 v56, v52
	v_min_u32_e32 v58, 32, v56
	v_subrev_u32_e32 v56, 28, v58
	v_lshlrev_b64 v[56:57], v56, v[38:39]
	v_lshrrev_b32_e32 v55, 3, v40
	v_sub_u32_e32 v57, 29, v58
	v_and_b32_e32 v56, 7, v56
	v_cmp_gt_u32_e32 vcc, 8, v40
	v_cndmask_b32_e32 v40, v55, v57, vcc
	v_cndmask_b32_e32 v52, v52, v56, vcc
	v_lshlrev_b32_e32 v38, 24, v38
	v_bfrev_b32_e32 v55, 60
	v_lshlrev_b32_e32 v52, 20, v52
	v_and_b32_e32 v38, 0x80000000, v38
	v_lshl_add_u32 v40, v40, 23, v55
	v_or3_b32 v55, v38, v40, v52
.LBB559_179:
	s_or_b64 exec, exec, s[10:11]
.LBB559_180:
	s_or_b64 exec, exec, s[8:9]
.LBB559_181:
	s_or_b64 exec, exec, s[2:3]
	v_cmp_ne_u16_sdwa s[8:9], v41, v54 src0_sel:BYTE_0 src1_sel:DWORD
	s_and_saveexec_b64 s[2:3], s[8:9]
	s_cbranch_execz .LBB559_187
; %bb.182:
	s_movk_i32 s8, 0x80
	v_cmp_ne_u16_sdwa s[10:11], v41, s8 src0_sel:BYTE_0 src1_sel:DWORD
	v_bfrev_b32_e32 v54, 1
	s_and_saveexec_b64 s[8:9], s[10:11]
	s_cbranch_execz .LBB559_186
; %bb.183:
	s_movk_i32 s10, 0x7f
	v_and_b32_e32 v38, 0x7f, v41
	v_cmp_ne_u32_e32 vcc, s10, v38
	v_mov_b32_e32 v54, 0x7f800001
	s_and_saveexec_b64 s[10:11], vcc
	s_cbranch_execz .LBB559_185
; %bb.184:
	v_and_b32_e32 v52, 7, v41
	v_ffbh_u32_e32 v56, v52
	v_min_u32_e32 v58, 32, v56
	v_mov_b32_e32 v40, v41
	v_subrev_u32_e32 v56, 28, v58
	v_lshlrev_b64 v[56:57], v56, v[40:41]
	v_lshrrev_b32_e32 v54, 3, v38
	v_sub_u32_e32 v40, 29, v58
	v_and_b32_e32 v56, 7, v56
	v_cmp_gt_u32_e32 vcc, 8, v38
	v_cndmask_b32_e32 v38, v54, v40, vcc
	v_cndmask_b32_e32 v40, v52, v56, vcc
	v_lshlrev_b32_e32 v52, 24, v41
	v_bfrev_b32_e32 v54, 60
	v_lshlrev_b32_e32 v40, 20, v40
	v_and_b32_e32 v52, 0x80000000, v52
	v_lshl_add_u32 v38, v38, 23, v54
	v_or3_b32 v54, v52, v38, v40
.LBB559_185:
	s_or_b64 exec, exec, s[10:11]
.LBB559_186:
	s_or_b64 exec, exec, s[8:9]
.LBB559_187:
	s_or_b64 exec, exec, s[2:3]
	v_lshrrev_b16_e32 v38, 8, v41
	v_cmp_ne_u16_e32 vcc, 0, v38
	v_mov_b32_e32 v40, 0
	v_mov_b32_e32 v56, 0
	s_and_saveexec_b64 s[2:3], vcc
	s_cbranch_execz .LBB559_193
; %bb.188:
	s_movk_i32 s8, 0x80
	v_cmp_ne_u16_e32 vcc, s8, v38
	v_bfrev_b32_e32 v56, 1
	s_and_saveexec_b64 s[8:9], vcc
	s_cbranch_execz .LBB559_192
; %bb.189:
	s_movk_i32 s10, 0x7f
	v_and_b32_e32 v52, 0x7f, v38
	v_cmp_ne_u32_e32 vcc, s10, v52
	v_mov_b32_e32 v56, 0x7f800001
	s_and_saveexec_b64 s[10:11], vcc
	s_cbranch_execz .LBB559_191
; %bb.190:
	v_and_b32_e32 v58, 7, v38
	v_ffbh_u32_e32 v56, v58
	v_min_u32_e32 v60, 32, v56
	v_subrev_u32_e32 v56, 28, v60
	v_lshlrev_b64 v[56:57], v56, v[38:39]
	v_lshrrev_b32_e32 v59, 3, v52
	v_sub_u32_e32 v38, 29, v60
	v_and_b32_e32 v56, 7, v56
	v_cmp_gt_u32_e32 vcc, 8, v52
	v_cndmask_b32_e32 v38, v59, v38, vcc
	v_cndmask_b32_e32 v52, v58, v56, vcc
	v_lshlrev_b32_e32 v56, 16, v41
	v_bfrev_b32_e32 v57, 60
	v_lshlrev_b32_e32 v52, 20, v52
	v_and_b32_e32 v56, 0x80000000, v56
	v_lshl_add_u32 v38, v38, 23, v57
	v_or3_b32 v56, v56, v38, v52
.LBB559_191:
	s_or_b64 exec, exec, s[10:11]
.LBB559_192:
	s_or_b64 exec, exec, s[8:9]
.LBB559_193:
	s_or_b64 exec, exec, s[2:3]
	s_movk_i32 s2, 0xff
	v_and_b32_sdwa v52, v41, s2 dst_sel:DWORD dst_unused:UNUSED_PAD src0_sel:WORD_1 src1_sel:DWORD
	v_lshrrev_b32_e32 v38, 16, v41
	v_cmp_ne_u16_e32 vcc, 0, v52
	s_and_saveexec_b64 s[2:3], vcc
	s_cbranch_execz .LBB559_199
; %bb.194:
	s_movk_i32 s8, 0x80
	v_cmp_ne_u16_e32 vcc, s8, v52
	v_bfrev_b32_e32 v40, 1
	s_and_saveexec_b64 s[8:9], vcc
	s_cbranch_execz .LBB559_198
; %bb.195:
	v_bfe_u32 v52, v41, 16, 7
	s_movk_i32 s10, 0x7f
	v_cmp_ne_u32_e32 vcc, s10, v52
	v_mov_b32_e32 v40, 0x7f800001
	s_and_saveexec_b64 s[10:11], vcc
	s_cbranch_execz .LBB559_197
; %bb.196:
	v_and_b32_e32 v40, 7, v38
	v_ffbh_u32_e32 v58, v40
	v_min_u32_e32 v60, 32, v58
	v_subrev_u32_e32 v58, 28, v60
	v_lshlrev_b64 v[58:59], v58, v[38:39]
	v_lshrrev_b32_e32 v57, 3, v52
	v_sub_u32_e32 v38, 29, v60
	v_and_b32_e32 v58, 7, v58
	v_cmp_gt_u32_e32 vcc, 8, v52
	v_mov_b32_e32 v52, 24
	v_cndmask_b32_e32 v38, v57, v38, vcc
	v_cndmask_b32_e32 v40, v40, v58, vcc
	v_lshlrev_b32_sdwa v52, v52, v41 dst_sel:DWORD dst_unused:UNUSED_PAD src0_sel:DWORD src1_sel:WORD_1
	v_bfrev_b32_e32 v57, 60
	v_lshlrev_b32_e32 v40, 20, v40
	v_and_b32_e32 v52, 0x80000000, v52
	v_lshl_add_u32 v38, v38, 23, v57
	v_or3_b32 v40, v52, v38, v40
.LBB559_197:
	s_or_b64 exec, exec, s[10:11]
.LBB559_198:
	s_or_b64 exec, exec, s[8:9]
.LBB559_199:
	s_or_b64 exec, exec, s[2:3]
	s_mov_b32 s2, 0xffffff
	v_cmp_lt_u32_e32 vcc, s2, v41
	v_mov_b32_e32 v52, 0
	v_mov_b32_e32 v57, 0
	s_and_saveexec_b64 s[2:3], vcc
	s_cbranch_execz .LBB559_205
; %bb.200:
	v_lshrrev_b32_e32 v38, 24, v41
	s_movk_i32 s8, 0x80
	v_cmp_ne_u32_e32 vcc, s8, v38
	v_bfrev_b32_e32 v57, 1
	s_and_saveexec_b64 s[8:9], vcc
	s_cbranch_execz .LBB559_204
; %bb.201:
	v_bfe_u32 v41, v41, 24, 7
	s_movk_i32 s10, 0x7f
	v_cmp_ne_u32_e32 vcc, s10, v41
	v_mov_b32_e32 v57, 0x7f800001
	s_and_saveexec_b64 s[10:11], vcc
	s_cbranch_execz .LBB559_203
; %bb.202:
	v_and_b32_e32 v57, 7, v38
	v_ffbh_u32_e32 v58, v57
	v_min_u32_e32 v61, 32, v58
	v_subrev_u32_e32 v58, 28, v61
	v_lshlrev_b64 v[58:59], v58, v[38:39]
	v_lshrrev_b32_e32 v60, 3, v41
	v_sub_u32_e32 v59, 29, v61
	v_and_b32_e32 v58, 7, v58
	v_cmp_gt_u32_e32 vcc, 8, v41
	v_cndmask_b32_e32 v41, v60, v59, vcc
	v_cndmask_b32_e32 v57, v57, v58, vcc
	v_lshlrev_b32_e32 v38, 24, v38
	v_bfrev_b32_e32 v58, 60
	v_lshlrev_b32_e32 v57, 20, v57
	v_and_b32_e32 v38, 0x80000000, v38
	v_lshl_add_u32 v41, v41, 23, v58
	v_or3_b32 v57, v38, v41, v57
.LBB559_203:
	s_or_b64 exec, exec, s[10:11]
.LBB559_204:
	s_or_b64 exec, exec, s[8:9]
.LBB559_205:
	s_or_b64 exec, exec, s[2:3]
	v_cvt_pkrtz_f16_f32 v38, v51, v53
	v_cvt_pkrtz_f16_f32 v39, v39, v55
	v_cmp_ne_u16_sdwa s[8:9], v30, v52 src0_sel:BYTE_0 src1_sel:DWORD
	s_nop 0
	v_mfma_f32_16x16x16f16 v[42:45], v[38:39], v[18:19], v[42:45]
	v_cvt_pkrtz_f16_f32 v38, v54, v56
	v_cvt_pkrtz_f16_f32 v39, v40, v57
	s_nop 1
	v_mfma_f32_16x16x16f16 v[38:41], v[38:39], v[20:21], v[42:45]
	s_and_saveexec_b64 s[2:3], s[8:9]
	s_cbranch_execz .LBB559_211
; %bb.206:
	s_movk_i32 s8, 0x80
	v_cmp_ne_u16_sdwa s[10:11], v30, s8 src0_sel:BYTE_0 src1_sel:DWORD
	v_bfrev_b32_e32 v52, 1
	s_and_saveexec_b64 s[8:9], s[10:11]
	s_cbranch_execz .LBB559_210
; %bb.207:
	s_movk_i32 s10, 0x7f
	v_and_b32_e32 v42, 0x7f, v30
	v_cmp_ne_u32_e32 vcc, s10, v42
	v_mov_b32_e32 v52, 0x7f800001
	s_and_saveexec_b64 s[10:11], vcc
	s_cbranch_execz .LBB559_209
; %bb.208:
	v_and_b32_e32 v43, 7, v30
	v_ffbh_u32_e32 v44, v43
	v_min_u32_e32 v52, 32, v44
	v_subrev_u32_e32 v44, 28, v52
	v_lshlrev_b64 v[44:45], v44, v[30:31]
	v_lshrrev_b32_e32 v51, 3, v42
	v_sub_u32_e32 v45, 29, v52
	v_and_b32_e32 v44, 7, v44
	v_cmp_gt_u32_e32 vcc, 8, v42
	v_cndmask_b32_e32 v42, v51, v45, vcc
	v_cndmask_b32_e32 v43, v43, v44, vcc
	v_lshlrev_b32_e32 v44, 24, v30
	v_bfrev_b32_e32 v45, 60
	v_lshlrev_b32_e32 v43, 20, v43
	v_and_b32_e32 v44, 0x80000000, v44
	v_lshl_add_u32 v42, v42, 23, v45
	v_or3_b32 v52, v44, v42, v43
.LBB559_209:
	s_or_b64 exec, exec, s[10:11]
.LBB559_210:
	s_or_b64 exec, exec, s[8:9]
.LBB559_211:
	s_or_b64 exec, exec, s[2:3]
	s_nop 3
	v_lshrrev_b16_e32 v42, 8, v30
	v_cmp_ne_u16_e32 vcc, 0, v42
	v_mov_b32_e32 v43, 0
	v_mov_b32_e32 v44, 0
	s_and_saveexec_b64 s[2:3], vcc
	s_cbranch_execz .LBB559_217
; %bb.212:
	s_movk_i32 s8, 0x80
	v_cmp_ne_u16_e32 vcc, s8, v42
	v_bfrev_b32_e32 v44, 1
	s_and_saveexec_b64 s[8:9], vcc
	s_cbranch_execz .LBB559_216
; %bb.213:
	s_movk_i32 s10, 0x7f
	v_and_b32_e32 v45, 0x7f, v42
	v_cmp_ne_u32_e32 vcc, s10, v45
	v_mov_b32_e32 v44, 0x7f800001
	s_and_saveexec_b64 s[10:11], vcc
	s_cbranch_execz .LBB559_215
; %bb.214:
	v_and_b32_e32 v44, 7, v42
	v_ffbh_u32_e32 v53, v44
	v_min_u32_e32 v53, 32, v53
	v_subrev_u32_e32 v54, 28, v53
	v_lshlrev_b64 v[54:55], v54, v[42:43]
	v_lshrrev_b32_e32 v51, 3, v45
	v_sub_u32_e32 v42, 29, v53
	v_and_b32_e32 v53, 7, v54
	v_cmp_gt_u32_e32 vcc, 8, v45
	v_cndmask_b32_e32 v42, v51, v42, vcc
	v_cndmask_b32_e32 v44, v44, v53, vcc
	v_lshlrev_b32_e32 v45, 16, v30
	v_bfrev_b32_e32 v51, 60
	v_lshlrev_b32_e32 v44, 20, v44
	v_and_b32_e32 v45, 0x80000000, v45
	v_lshl_add_u32 v42, v42, 23, v51
	v_or3_b32 v44, v45, v42, v44
.LBB559_215:
	s_or_b64 exec, exec, s[10:11]
.LBB559_216:
	s_or_b64 exec, exec, s[8:9]
.LBB559_217:
	s_or_b64 exec, exec, s[2:3]
	s_movk_i32 s2, 0xff
	v_and_b32_sdwa v45, v30, s2 dst_sel:DWORD dst_unused:UNUSED_PAD src0_sel:WORD_1 src1_sel:DWORD
	v_lshrrev_b32_e32 v42, 16, v30
	v_cmp_ne_u16_e32 vcc, 0, v45
	s_and_saveexec_b64 s[2:3], vcc
	s_cbranch_execz .LBB559_223
; %bb.218:
	s_movk_i32 s8, 0x80
	v_cmp_ne_u16_e32 vcc, s8, v45
	v_bfrev_b32_e32 v43, 1
	s_and_saveexec_b64 s[8:9], vcc
	s_cbranch_execz .LBB559_222
; %bb.219:
	v_bfe_u32 v45, v30, 16, 7
	s_movk_i32 s10, 0x7f
	v_cmp_ne_u32_e32 vcc, s10, v45
	v_mov_b32_e32 v43, 0x7f800001
	s_and_saveexec_b64 s[10:11], vcc
	s_cbranch_execz .LBB559_221
; %bb.220:
	v_and_b32_e32 v51, 7, v42
	v_ffbh_u32_e32 v43, v51
	v_min_u32_e32 v54, 32, v43
	v_subrev_u32_e32 v43, 28, v54
	v_lshlrev_b64 v[42:43], v43, v[42:43]
	v_lshrrev_b32_e32 v53, 3, v45
	v_sub_u32_e32 v43, 29, v54
	v_and_b32_e32 v42, 7, v42
	v_cmp_gt_u32_e32 vcc, 8, v45
	v_mov_b32_e32 v45, 24
	v_cndmask_b32_e32 v43, v53, v43, vcc
	v_cndmask_b32_e32 v42, v51, v42, vcc
	v_lshlrev_b32_sdwa v45, v45, v30 dst_sel:DWORD dst_unused:UNUSED_PAD src0_sel:DWORD src1_sel:WORD_1
	v_bfrev_b32_e32 v51, 60
	v_lshlrev_b32_e32 v42, 20, v42
	v_and_b32_e32 v45, 0x80000000, v45
	v_lshl_add_u32 v43, v43, 23, v51
	v_or3_b32 v43, v45, v43, v42
.LBB559_221:
	s_or_b64 exec, exec, s[10:11]
.LBB559_222:
	s_or_b64 exec, exec, s[8:9]
.LBB559_223:
	s_or_b64 exec, exec, s[2:3]
	s_mov_b32 s2, 0xffffff
	v_cmp_lt_u32_e32 vcc, s2, v30
	v_mov_b32_e32 v45, 0
	v_mov_b32_e32 v53, 0
	s_and_saveexec_b64 s[2:3], vcc
	s_cbranch_execz .LBB559_229
; %bb.224:
	v_lshrrev_b32_e32 v42, 24, v30
	s_movk_i32 s8, 0x80
	v_cmp_ne_u32_e32 vcc, s8, v42
	v_bfrev_b32_e32 v53, 1
	s_and_saveexec_b64 s[8:9], vcc
	s_cbranch_execz .LBB559_228
; %bb.225:
	v_bfe_u32 v30, v30, 24, 7
	s_movk_i32 s10, 0x7f
	v_cmp_ne_u32_e32 vcc, s10, v30
	v_mov_b32_e32 v53, 0x7f800001
	s_and_saveexec_b64 s[10:11], vcc
	s_cbranch_execz .LBB559_227
; %bb.226:
	v_and_b32_e32 v51, 7, v42
	v_ffbh_u32_e32 v54, v51
	v_min_u32_e32 v56, 32, v54
	v_subrev_u32_e32 v54, 28, v56
	v_lshlrev_b64 v[54:55], v54, v[42:43]
	v_lshrrev_b32_e32 v53, 3, v30
	v_sub_u32_e32 v55, 29, v56
	v_and_b32_e32 v54, 7, v54
	v_cmp_gt_u32_e32 vcc, 8, v30
	v_cndmask_b32_e32 v30, v53, v55, vcc
	v_cndmask_b32_e32 v51, v51, v54, vcc
	v_lshlrev_b32_e32 v42, 24, v42
	v_bfrev_b32_e32 v53, 60
	v_lshlrev_b32_e32 v51, 20, v51
	v_and_b32_e32 v42, 0x80000000, v42
	v_lshl_add_u32 v30, v30, 23, v53
	v_or3_b32 v53, v42, v30, v51
.LBB559_227:
	s_or_b64 exec, exec, s[10:11]
.LBB559_228:
	s_or_b64 exec, exec, s[8:9]
.LBB559_229:
	s_or_b64 exec, exec, s[2:3]
	v_cmp_ne_u16_sdwa s[8:9], v31, v45 src0_sel:BYTE_0 src1_sel:DWORD
	s_and_saveexec_b64 s[2:3], s[8:9]
	s_cbranch_execz .LBB559_235
; %bb.230:
	s_movk_i32 s8, 0x80
	v_cmp_ne_u16_sdwa s[10:11], v31, s8 src0_sel:BYTE_0 src1_sel:DWORD
	v_bfrev_b32_e32 v45, 1
	s_and_saveexec_b64 s[8:9], s[10:11]
	s_cbranch_execz .LBB559_234
; %bb.231:
	s_movk_i32 s10, 0x7f
	v_and_b32_e32 v30, 0x7f, v31
	v_cmp_ne_u32_e32 vcc, s10, v30
	v_mov_b32_e32 v45, 0x7f800001
	s_and_saveexec_b64 s[10:11], vcc
	s_cbranch_execz .LBB559_233
; %bb.232:
	v_and_b32_e32 v45, 7, v31
	v_ffbh_u32_e32 v54, v45
	v_min_u32_e32 v56, 32, v54
	v_mov_b32_e32 v42, v31
	v_subrev_u32_e32 v54, 28, v56
	v_lshlrev_b64 v[54:55], v54, v[42:43]
	v_lshrrev_b32_e32 v51, 3, v30
	v_sub_u32_e32 v42, 29, v56
	v_and_b32_e32 v54, 7, v54
	v_cmp_gt_u32_e32 vcc, 8, v30
	v_cndmask_b32_e32 v30, v51, v42, vcc
	v_cndmask_b32_e32 v42, v45, v54, vcc
	v_lshlrev_b32_e32 v45, 24, v31
	v_bfrev_b32_e32 v51, 60
	v_lshlrev_b32_e32 v42, 20, v42
	v_and_b32_e32 v45, 0x80000000, v45
	v_lshl_add_u32 v30, v30, 23, v51
	v_or3_b32 v45, v45, v30, v42
.LBB559_233:
	s_or_b64 exec, exec, s[10:11]
.LBB559_234:
	s_or_b64 exec, exec, s[8:9]
.LBB559_235:
	s_or_b64 exec, exec, s[2:3]
	v_lshrrev_b16_e32 v30, 8, v31
	v_cmp_ne_u16_e32 vcc, 0, v30
	v_mov_b32_e32 v42, 0
	v_mov_b32_e32 v54, 0
	s_and_saveexec_b64 s[2:3], vcc
	s_cbranch_execz .LBB559_241
; %bb.236:
	s_movk_i32 s8, 0x80
	v_cmp_ne_u16_e32 vcc, s8, v30
	v_bfrev_b32_e32 v54, 1
	s_and_saveexec_b64 s[8:9], vcc
	s_cbranch_execz .LBB559_240
; %bb.237:
	s_movk_i32 s10, 0x7f
	v_and_b32_e32 v51, 0x7f, v30
	v_cmp_ne_u32_e32 vcc, s10, v51
	v_mov_b32_e32 v54, 0x7f800001
	s_and_saveexec_b64 s[10:11], vcc
	s_cbranch_execz .LBB559_239
; %bb.238:
	v_and_b32_e32 v56, 7, v30
	v_ffbh_u32_e32 v54, v56
	v_min_u32_e32 v58, 32, v54
	v_subrev_u32_e32 v54, 28, v58
	v_lshlrev_b64 v[54:55], v54, v[30:31]
	v_lshrrev_b32_e32 v57, 3, v51
	v_sub_u32_e32 v30, 29, v58
	v_and_b32_e32 v54, 7, v54
	v_cmp_gt_u32_e32 vcc, 8, v51
	v_cndmask_b32_e32 v30, v57, v30, vcc
	v_cndmask_b32_e32 v51, v56, v54, vcc
	v_lshlrev_b32_e32 v54, 16, v31
	v_bfrev_b32_e32 v55, 60
	v_lshlrev_b32_e32 v51, 20, v51
	v_and_b32_e32 v54, 0x80000000, v54
	v_lshl_add_u32 v30, v30, 23, v55
	v_or3_b32 v54, v54, v30, v51
.LBB559_239:
	s_or_b64 exec, exec, s[10:11]
.LBB559_240:
	s_or_b64 exec, exec, s[8:9]
.LBB559_241:
	s_or_b64 exec, exec, s[2:3]
	s_movk_i32 s2, 0xff
	v_and_b32_sdwa v51, v31, s2 dst_sel:DWORD dst_unused:UNUSED_PAD src0_sel:WORD_1 src1_sel:DWORD
	v_lshrrev_b32_e32 v30, 16, v31
	v_cmp_ne_u16_e32 vcc, 0, v51
	s_and_saveexec_b64 s[2:3], vcc
	s_cbranch_execz .LBB559_247
; %bb.242:
	s_movk_i32 s8, 0x80
	v_cmp_ne_u16_e32 vcc, s8, v51
	v_bfrev_b32_e32 v42, 1
	s_and_saveexec_b64 s[8:9], vcc
	s_cbranch_execz .LBB559_246
; %bb.243:
	v_bfe_u32 v51, v31, 16, 7
	s_movk_i32 s10, 0x7f
	v_cmp_ne_u32_e32 vcc, s10, v51
	v_mov_b32_e32 v42, 0x7f800001
	s_and_saveexec_b64 s[10:11], vcc
	s_cbranch_execz .LBB559_245
; %bb.244:
	v_and_b32_e32 v42, 7, v30
	v_ffbh_u32_e32 v56, v42
	v_min_u32_e32 v58, 32, v56
	v_subrev_u32_e32 v56, 28, v58
	v_lshlrev_b64 v[56:57], v56, v[30:31]
	v_lshrrev_b32_e32 v55, 3, v51
	v_sub_u32_e32 v30, 29, v58
	v_and_b32_e32 v56, 7, v56
	v_cmp_gt_u32_e32 vcc, 8, v51
	v_mov_b32_e32 v51, 24
	v_cndmask_b32_e32 v30, v55, v30, vcc
	v_cndmask_b32_e32 v42, v42, v56, vcc
	v_lshlrev_b32_sdwa v51, v51, v31 dst_sel:DWORD dst_unused:UNUSED_PAD src0_sel:DWORD src1_sel:WORD_1
	v_bfrev_b32_e32 v55, 60
	v_lshlrev_b32_e32 v42, 20, v42
	v_and_b32_e32 v51, 0x80000000, v51
	v_lshl_add_u32 v30, v30, 23, v55
	v_or3_b32 v42, v51, v30, v42
.LBB559_245:
	s_or_b64 exec, exec, s[10:11]
.LBB559_246:
	s_or_b64 exec, exec, s[8:9]
.LBB559_247:
	s_or_b64 exec, exec, s[2:3]
	s_mov_b32 s2, 0xffffff
	v_cmp_lt_u32_e32 vcc, s2, v31
	v_mov_b32_e32 v51, 0
	v_mov_b32_e32 v55, 0
	s_and_saveexec_b64 s[2:3], vcc
	s_cbranch_execz .LBB559_253
; %bb.248:
	v_lshrrev_b32_e32 v30, 24, v31
	s_movk_i32 s8, 0x80
	v_cmp_ne_u32_e32 vcc, s8, v30
	v_bfrev_b32_e32 v55, 1
	s_and_saveexec_b64 s[8:9], vcc
	s_cbranch_execz .LBB559_252
; %bb.249:
	v_bfe_u32 v31, v31, 24, 7
	s_movk_i32 s10, 0x7f
	v_cmp_ne_u32_e32 vcc, s10, v31
	v_mov_b32_e32 v55, 0x7f800001
	s_and_saveexec_b64 s[10:11], vcc
	s_cbranch_execz .LBB559_251
; %bb.250:
	v_and_b32_e32 v55, 7, v30
	v_ffbh_u32_e32 v56, v55
	v_min_u32_e32 v59, 32, v56
	v_subrev_u32_e32 v56, 28, v59
	v_lshlrev_b64 v[56:57], v56, v[30:31]
	v_lshrrev_b32_e32 v58, 3, v31
	v_sub_u32_e32 v57, 29, v59
	v_and_b32_e32 v56, 7, v56
	v_cmp_gt_u32_e32 vcc, 8, v31
	v_cndmask_b32_e32 v31, v58, v57, vcc
	v_cndmask_b32_e32 v55, v55, v56, vcc
	v_lshlrev_b32_e32 v30, 24, v30
	v_bfrev_b32_e32 v56, 60
	v_lshlrev_b32_e32 v55, 20, v55
	v_and_b32_e32 v30, 0x80000000, v30
	v_lshl_add_u32 v31, v31, 23, v56
	v_or3_b32 v55, v30, v31, v55
.LBB559_251:
	s_or_b64 exec, exec, s[10:11]
.LBB559_252:
	s_or_b64 exec, exec, s[8:9]
.LBB559_253:
	s_or_b64 exec, exec, s[2:3]
	v_cvt_pkrtz_f16_f32 v30, v52, v44
	v_cvt_pkrtz_f16_f32 v31, v43, v53
	v_cmp_ne_u16_sdwa s[8:9], v32, v51 src0_sel:BYTE_0 src1_sel:DWORD
	s_nop 0
	v_mfma_f32_16x16x16f16 v[56:59], v[30:31], v[26:27], 0
	v_cvt_pkrtz_f16_f32 v30, v45, v54
	v_cvt_pkrtz_f16_f32 v31, v42, v55
	s_nop 1
	v_mfma_f32_16x16x16f16 v[42:45], v[30:31], v[28:29], v[56:59]
	s_and_saveexec_b64 s[2:3], s[8:9]
	s_cbranch_execz .LBB559_259
; %bb.254:
	s_movk_i32 s8, 0x80
	v_cmp_ne_u16_sdwa s[10:11], v32, s8 src0_sel:BYTE_0 src1_sel:DWORD
	v_bfrev_b32_e32 v51, 1
	s_and_saveexec_b64 s[8:9], s[10:11]
	s_cbranch_execz .LBB559_258
; %bb.255:
	s_movk_i32 s10, 0x7f
	v_and_b32_e32 v30, 0x7f, v32
	v_cmp_ne_u32_e32 vcc, s10, v30
	v_mov_b32_e32 v51, 0x7f800001
	s_and_saveexec_b64 s[10:11], vcc
	s_cbranch_execz .LBB559_257
; %bb.256:
	v_and_b32_e32 v31, 7, v32
	v_ffbh_u32_e32 v52, v31
	v_min_u32_e32 v54, 32, v52
	v_subrev_u32_e32 v52, 28, v54
	v_lshlrev_b64 v[52:53], v52, v[32:33]
	v_lshrrev_b32_e32 v51, 3, v30
	v_sub_u32_e32 v53, 29, v54
	v_and_b32_e32 v52, 7, v52
	v_cmp_gt_u32_e32 vcc, 8, v30
	v_cndmask_b32_e32 v30, v51, v53, vcc
	v_cndmask_b32_e32 v31, v31, v52, vcc
	v_lshlrev_b32_e32 v51, 24, v32
	v_bfrev_b32_e32 v52, 60
	v_lshlrev_b32_e32 v31, 20, v31
	v_and_b32_e32 v51, 0x80000000, v51
	v_lshl_add_u32 v30, v30, 23, v52
	v_or3_b32 v51, v51, v30, v31
.LBB559_257:
	s_or_b64 exec, exec, s[10:11]
.LBB559_258:
	s_or_b64 exec, exec, s[8:9]
.LBB559_259:
	s_or_b64 exec, exec, s[2:3]
	v_lshrrev_b16_e32 v30, 8, v32
	v_cmp_ne_u16_e32 vcc, 0, v30
	v_mov_b32_e32 v31, 0
	v_mov_b32_e32 v53, 0
	s_and_saveexec_b64 s[2:3], vcc
	s_cbranch_execz .LBB559_265
; %bb.260:
	s_movk_i32 s8, 0x80
	v_cmp_ne_u16_e32 vcc, s8, v30
	v_bfrev_b32_e32 v53, 1
	s_and_saveexec_b64 s[8:9], vcc
	s_cbranch_execz .LBB559_264
; %bb.261:
	s_movk_i32 s10, 0x7f
	v_and_b32_e32 v52, 0x7f, v30
	v_cmp_ne_u32_e32 vcc, s10, v52
	v_mov_b32_e32 v53, 0x7f800001
	s_and_saveexec_b64 s[10:11], vcc
	s_cbranch_execz .LBB559_263
; %bb.262:
	v_and_b32_e32 v53, 7, v30
	v_ffbh_u32_e32 v54, v53
	v_min_u32_e32 v57, 32, v54
	v_subrev_u32_e32 v54, 28, v57
	v_lshlrev_b64 v[54:55], v54, v[30:31]
	v_lshrrev_b32_e32 v56, 3, v52
	v_sub_u32_e32 v30, 29, v57
	v_and_b32_e32 v54, 7, v54
	v_cmp_gt_u32_e32 vcc, 8, v52
	v_cndmask_b32_e32 v30, v56, v30, vcc
	v_cndmask_b32_e32 v52, v53, v54, vcc
	v_lshlrev_b32_e32 v53, 16, v32
	v_bfrev_b32_e32 v54, 60
	v_lshlrev_b32_e32 v52, 20, v52
	v_and_b32_e32 v53, 0x80000000, v53
	v_lshl_add_u32 v30, v30, 23, v54
	v_or3_b32 v53, v53, v30, v52
.LBB559_263:
	s_or_b64 exec, exec, s[10:11]
.LBB559_264:
	s_or_b64 exec, exec, s[8:9]
.LBB559_265:
	s_or_b64 exec, exec, s[2:3]
	s_movk_i32 s2, 0xff
	v_and_b32_sdwa v52, v32, s2 dst_sel:DWORD dst_unused:UNUSED_PAD src0_sel:WORD_1 src1_sel:DWORD
	v_lshrrev_b32_e32 v30, 16, v32
	v_cmp_ne_u16_e32 vcc, 0, v52
	s_and_saveexec_b64 s[2:3], vcc
	s_cbranch_execz .LBB559_271
; %bb.266:
	s_movk_i32 s8, 0x80
	v_cmp_ne_u16_e32 vcc, s8, v52
	v_bfrev_b32_e32 v31, 1
	s_and_saveexec_b64 s[8:9], vcc
	s_cbranch_execz .LBB559_270
; %bb.267:
	v_bfe_u32 v52, v32, 16, 7
	s_movk_i32 s10, 0x7f
	v_cmp_ne_u32_e32 vcc, s10, v52
	v_mov_b32_e32 v31, 0x7f800001
	s_and_saveexec_b64 s[10:11], vcc
	s_cbranch_execz .LBB559_269
; %bb.268:
	v_and_b32_e32 v54, 7, v30
	v_ffbh_u32_e32 v31, v54
	v_min_u32_e32 v56, 32, v31
	v_subrev_u32_e32 v31, 28, v56
	v_lshlrev_b64 v[30:31], v31, v[30:31]
	v_lshrrev_b32_e32 v55, 3, v52
	v_sub_u32_e32 v31, 29, v56
	v_and_b32_e32 v30, 7, v30
	v_cmp_gt_u32_e32 vcc, 8, v52
	v_mov_b32_e32 v52, 24
	v_cndmask_b32_e32 v31, v55, v31, vcc
	v_cndmask_b32_e32 v30, v54, v30, vcc
	v_lshlrev_b32_sdwa v52, v52, v32 dst_sel:DWORD dst_unused:UNUSED_PAD src0_sel:DWORD src1_sel:WORD_1
	v_bfrev_b32_e32 v54, 60
	v_lshlrev_b32_e32 v30, 20, v30
	v_and_b32_e32 v52, 0x80000000, v52
	v_lshl_add_u32 v31, v31, 23, v54
	v_or3_b32 v31, v52, v31, v30
.LBB559_269:
	s_or_b64 exec, exec, s[10:11]
.LBB559_270:
	s_or_b64 exec, exec, s[8:9]
.LBB559_271:
	s_or_b64 exec, exec, s[2:3]
	s_mov_b32 s2, 0xffffff
	v_cmp_lt_u32_e32 vcc, s2, v32
	v_mov_b32_e32 v54, 0
	v_mov_b32_e32 v55, 0
	s_and_saveexec_b64 s[2:3], vcc
	s_cbranch_execz .LBB559_277
; %bb.272:
	v_lshrrev_b32_e32 v30, 24, v32
	s_movk_i32 s8, 0x80
	v_cmp_ne_u32_e32 vcc, s8, v30
	v_bfrev_b32_e32 v55, 1
	s_and_saveexec_b64 s[8:9], vcc
	s_cbranch_execz .LBB559_276
; %bb.273:
	v_bfe_u32 v32, v32, 24, 7
	s_movk_i32 s10, 0x7f
	v_cmp_ne_u32_e32 vcc, s10, v32
	v_mov_b32_e32 v55, 0x7f800001
	s_and_saveexec_b64 s[10:11], vcc
	s_cbranch_execz .LBB559_275
; %bb.274:
	v_and_b32_e32 v52, 7, v30
	v_ffbh_u32_e32 v56, v52
	v_min_u32_e32 v58, 32, v56
	v_subrev_u32_e32 v56, 28, v58
	v_lshlrev_b64 v[56:57], v56, v[30:31]
	v_lshrrev_b32_e32 v55, 3, v32
	v_sub_u32_e32 v57, 29, v58
	v_and_b32_e32 v56, 7, v56
	v_cmp_gt_u32_e32 vcc, 8, v32
	v_cndmask_b32_e32 v32, v55, v57, vcc
	v_cndmask_b32_e32 v52, v52, v56, vcc
	v_lshlrev_b32_e32 v30, 24, v30
	v_bfrev_b32_e32 v55, 60
	v_lshlrev_b32_e32 v52, 20, v52
	v_and_b32_e32 v30, 0x80000000, v30
	v_lshl_add_u32 v32, v32, 23, v55
	v_or3_b32 v55, v30, v32, v52
.LBB559_275:
	s_or_b64 exec, exec, s[10:11]
.LBB559_276:
	s_or_b64 exec, exec, s[8:9]
.LBB559_277:
	s_or_b64 exec, exec, s[2:3]
	v_cmp_ne_u16_sdwa s[8:9], v33, v54 src0_sel:BYTE_0 src1_sel:DWORD
	s_and_saveexec_b64 s[2:3], s[8:9]
	s_cbranch_execz .LBB559_283
; %bb.278:
	s_movk_i32 s8, 0x80
	v_cmp_ne_u16_sdwa s[10:11], v33, s8 src0_sel:BYTE_0 src1_sel:DWORD
	v_bfrev_b32_e32 v54, 1
	s_and_saveexec_b64 s[8:9], s[10:11]
	s_cbranch_execz .LBB559_282
; %bb.279:
	s_movk_i32 s10, 0x7f
	v_and_b32_e32 v30, 0x7f, v33
	v_cmp_ne_u32_e32 vcc, s10, v30
	v_mov_b32_e32 v54, 0x7f800001
	s_and_saveexec_b64 s[10:11], vcc
	s_cbranch_execz .LBB559_281
; %bb.280:
	v_and_b32_e32 v52, 7, v33
	v_ffbh_u32_e32 v56, v52
	v_min_u32_e32 v58, 32, v56
	v_mov_b32_e32 v32, v33
	v_subrev_u32_e32 v56, 28, v58
	v_lshlrev_b64 v[56:57], v56, v[32:33]
	v_lshrrev_b32_e32 v54, 3, v30
	v_sub_u32_e32 v32, 29, v58
	v_and_b32_e32 v56, 7, v56
	v_cmp_gt_u32_e32 vcc, 8, v30
	v_cndmask_b32_e32 v30, v54, v32, vcc
	v_cndmask_b32_e32 v32, v52, v56, vcc
	v_lshlrev_b32_e32 v52, 24, v33
	v_bfrev_b32_e32 v54, 60
	v_lshlrev_b32_e32 v32, 20, v32
	v_and_b32_e32 v52, 0x80000000, v52
	v_lshl_add_u32 v30, v30, 23, v54
	v_or3_b32 v54, v52, v30, v32
.LBB559_281:
	s_or_b64 exec, exec, s[10:11]
.LBB559_282:
	s_or_b64 exec, exec, s[8:9]
.LBB559_283:
	s_or_b64 exec, exec, s[2:3]
	v_lshrrev_b16_e32 v30, 8, v33
	v_cmp_ne_u16_e32 vcc, 0, v30
	v_mov_b32_e32 v32, 0
	v_mov_b32_e32 v56, 0
	s_and_saveexec_b64 s[2:3], vcc
	s_cbranch_execz .LBB559_289
; %bb.284:
	s_movk_i32 s8, 0x80
	v_cmp_ne_u16_e32 vcc, s8, v30
	v_bfrev_b32_e32 v56, 1
	s_and_saveexec_b64 s[8:9], vcc
	s_cbranch_execz .LBB559_288
; %bb.285:
	s_movk_i32 s10, 0x7f
	v_and_b32_e32 v52, 0x7f, v30
	v_cmp_ne_u32_e32 vcc, s10, v52
	v_mov_b32_e32 v56, 0x7f800001
	s_and_saveexec_b64 s[10:11], vcc
	s_cbranch_execz .LBB559_287
; %bb.286:
	v_and_b32_e32 v58, 7, v30
	v_ffbh_u32_e32 v56, v58
	v_min_u32_e32 v60, 32, v56
	v_subrev_u32_e32 v56, 28, v60
	v_lshlrev_b64 v[56:57], v56, v[30:31]
	v_lshrrev_b32_e32 v59, 3, v52
	v_sub_u32_e32 v30, 29, v60
	v_and_b32_e32 v56, 7, v56
	v_cmp_gt_u32_e32 vcc, 8, v52
	v_cndmask_b32_e32 v30, v59, v30, vcc
	v_cndmask_b32_e32 v52, v58, v56, vcc
	v_lshlrev_b32_e32 v56, 16, v33
	v_bfrev_b32_e32 v57, 60
	v_lshlrev_b32_e32 v52, 20, v52
	v_and_b32_e32 v56, 0x80000000, v56
	v_lshl_add_u32 v30, v30, 23, v57
	v_or3_b32 v56, v56, v30, v52
.LBB559_287:
	s_or_b64 exec, exec, s[10:11]
.LBB559_288:
	s_or_b64 exec, exec, s[8:9]
.LBB559_289:
	s_or_b64 exec, exec, s[2:3]
	s_movk_i32 s2, 0xff
	v_and_b32_sdwa v52, v33, s2 dst_sel:DWORD dst_unused:UNUSED_PAD src0_sel:WORD_1 src1_sel:DWORD
	v_lshrrev_b32_e32 v30, 16, v33
	v_cmp_ne_u16_e32 vcc, 0, v52
	s_and_saveexec_b64 s[2:3], vcc
	s_cbranch_execz .LBB559_295
; %bb.290:
	s_movk_i32 s8, 0x80
	v_cmp_ne_u16_e32 vcc, s8, v52
	v_bfrev_b32_e32 v32, 1
	s_and_saveexec_b64 s[8:9], vcc
	s_cbranch_execz .LBB559_294
; %bb.291:
	v_bfe_u32 v52, v33, 16, 7
	s_movk_i32 s10, 0x7f
	v_cmp_ne_u32_e32 vcc, s10, v52
	v_mov_b32_e32 v32, 0x7f800001
	s_and_saveexec_b64 s[10:11], vcc
	s_cbranch_execz .LBB559_293
; %bb.292:
	v_and_b32_e32 v32, 7, v30
	v_ffbh_u32_e32 v58, v32
	v_min_u32_e32 v60, 32, v58
	v_subrev_u32_e32 v58, 28, v60
	v_lshlrev_b64 v[58:59], v58, v[30:31]
	v_lshrrev_b32_e32 v57, 3, v52
	v_sub_u32_e32 v30, 29, v60
	v_and_b32_e32 v58, 7, v58
	v_cmp_gt_u32_e32 vcc, 8, v52
	v_mov_b32_e32 v52, 24
	v_cndmask_b32_e32 v30, v57, v30, vcc
	v_cndmask_b32_e32 v32, v32, v58, vcc
	v_lshlrev_b32_sdwa v52, v52, v33 dst_sel:DWORD dst_unused:UNUSED_PAD src0_sel:DWORD src1_sel:WORD_1
	v_bfrev_b32_e32 v57, 60
	v_lshlrev_b32_e32 v32, 20, v32
	v_and_b32_e32 v52, 0x80000000, v52
	v_lshl_add_u32 v30, v30, 23, v57
	v_or3_b32 v32, v52, v30, v32
.LBB559_293:
	s_or_b64 exec, exec, s[10:11]
.LBB559_294:
	s_or_b64 exec, exec, s[8:9]
.LBB559_295:
	s_or_b64 exec, exec, s[2:3]
	s_mov_b32 s2, 0xffffff
	v_cmp_lt_u32_e32 vcc, s2, v33
	v_mov_b32_e32 v52, 0
	v_mov_b32_e32 v57, 0
	s_and_saveexec_b64 s[2:3], vcc
	s_cbranch_execz .LBB559_301
; %bb.296:
	v_lshrrev_b32_e32 v30, 24, v33
	s_movk_i32 s8, 0x80
	v_cmp_ne_u32_e32 vcc, s8, v30
	v_bfrev_b32_e32 v57, 1
	s_and_saveexec_b64 s[8:9], vcc
	s_cbranch_execz .LBB559_300
; %bb.297:
	v_bfe_u32 v33, v33, 24, 7
	s_movk_i32 s10, 0x7f
	v_cmp_ne_u32_e32 vcc, s10, v33
	v_mov_b32_e32 v57, 0x7f800001
	s_and_saveexec_b64 s[10:11], vcc
	s_cbranch_execz .LBB559_299
; %bb.298:
	v_and_b32_e32 v57, 7, v30
	v_ffbh_u32_e32 v58, v57
	v_min_u32_e32 v61, 32, v58
	v_subrev_u32_e32 v58, 28, v61
	v_lshlrev_b64 v[58:59], v58, v[30:31]
	v_lshrrev_b32_e32 v60, 3, v33
	v_sub_u32_e32 v59, 29, v61
	v_and_b32_e32 v58, 7, v58
	v_cmp_gt_u32_e32 vcc, 8, v33
	v_cndmask_b32_e32 v33, v60, v59, vcc
	v_cndmask_b32_e32 v57, v57, v58, vcc
	v_lshlrev_b32_e32 v30, 24, v30
	v_bfrev_b32_e32 v58, 60
	v_lshlrev_b32_e32 v57, 20, v57
	v_and_b32_e32 v30, 0x80000000, v30
	v_lshl_add_u32 v33, v33, 23, v58
	v_or3_b32 v57, v30, v33, v57
.LBB559_299:
	s_or_b64 exec, exec, s[10:11]
.LBB559_300:
	s_or_b64 exec, exec, s[8:9]
.LBB559_301:
	s_or_b64 exec, exec, s[2:3]
	v_cvt_pkrtz_f16_f32 v30, v51, v53
	v_cvt_pkrtz_f16_f32 v31, v31, v55
	v_cmp_ne_u16_sdwa s[8:9], v22, v52 src0_sel:BYTE_0 src1_sel:DWORD
	s_nop 0
	v_mfma_f32_16x16x16f16 v[42:45], v[30:31], v[18:19], v[42:45]
	v_cvt_pkrtz_f16_f32 v30, v54, v56
	v_cvt_pkrtz_f16_f32 v31, v32, v57
	s_nop 1
	v_mfma_f32_16x16x16f16 v[30:33], v[30:31], v[20:21], v[42:45]
	s_and_saveexec_b64 s[2:3], s[8:9]
	s_cbranch_execz .LBB559_307
; %bb.302:
	s_movk_i32 s8, 0x80
	v_cmp_ne_u16_sdwa s[10:11], v22, s8 src0_sel:BYTE_0 src1_sel:DWORD
	v_bfrev_b32_e32 v52, 1
	s_and_saveexec_b64 s[8:9], s[10:11]
	s_cbranch_execz .LBB559_306
; %bb.303:
	s_movk_i32 s10, 0x7f
	v_and_b32_e32 v42, 0x7f, v22
	v_cmp_ne_u32_e32 vcc, s10, v42
	v_mov_b32_e32 v52, 0x7f800001
	s_and_saveexec_b64 s[10:11], vcc
	s_cbranch_execz .LBB559_305
; %bb.304:
	v_and_b32_e32 v43, 7, v22
	v_ffbh_u32_e32 v44, v43
	v_min_u32_e32 v52, 32, v44
	v_subrev_u32_e32 v44, 28, v52
	v_lshlrev_b64 v[44:45], v44, v[22:23]
	v_lshrrev_b32_e32 v51, 3, v42
	v_sub_u32_e32 v45, 29, v52
	v_and_b32_e32 v44, 7, v44
	v_cmp_gt_u32_e32 vcc, 8, v42
	v_cndmask_b32_e32 v42, v51, v45, vcc
	v_cndmask_b32_e32 v43, v43, v44, vcc
	v_lshlrev_b32_e32 v44, 24, v22
	v_bfrev_b32_e32 v45, 60
	v_lshlrev_b32_e32 v43, 20, v43
	v_and_b32_e32 v44, 0x80000000, v44
	v_lshl_add_u32 v42, v42, 23, v45
	v_or3_b32 v52, v44, v42, v43
.LBB559_305:
	s_or_b64 exec, exec, s[10:11]
.LBB559_306:
	s_or_b64 exec, exec, s[8:9]
.LBB559_307:
	s_or_b64 exec, exec, s[2:3]
	s_nop 3
	v_lshrrev_b16_e32 v42, 8, v22
	v_cmp_ne_u16_e32 vcc, 0, v42
	v_mov_b32_e32 v44, 0
	v_mov_b32_e32 v45, 0
	s_and_saveexec_b64 s[2:3], vcc
	s_cbranch_execz .LBB559_313
; %bb.308:
	s_movk_i32 s8, 0x80
	v_cmp_ne_u16_e32 vcc, s8, v42
	v_bfrev_b32_e32 v45, 1
	s_and_saveexec_b64 s[8:9], vcc
	s_cbranch_execz .LBB559_312
; %bb.309:
	s_movk_i32 s10, 0x7f
	v_and_b32_e32 v43, 0x7f, v42
	v_cmp_ne_u32_e32 vcc, s10, v43
	v_mov_b32_e32 v45, 0x7f800001
	s_and_saveexec_b64 s[10:11], vcc
	s_cbranch_execz .LBB559_311
; %bb.310:
	v_and_b32_e32 v45, 7, v42
	v_ffbh_u32_e32 v53, v45
	v_min_u32_e32 v53, 32, v53
	v_subrev_u32_e32 v54, 28, v53
	v_lshlrev_b64 v[54:55], v54, v[42:43]
	v_lshrrev_b32_e32 v51, 3, v43
	v_sub_u32_e32 v42, 29, v53
	v_and_b32_e32 v53, 7, v54
	v_cmp_gt_u32_e32 vcc, 8, v43
	v_cndmask_b32_e32 v42, v51, v42, vcc
	v_cndmask_b32_e32 v43, v45, v53, vcc
	v_lshlrev_b32_e32 v45, 16, v22
	v_bfrev_b32_e32 v51, 60
	v_lshlrev_b32_e32 v43, 20, v43
	v_and_b32_e32 v45, 0x80000000, v45
	v_lshl_add_u32 v42, v42, 23, v51
	v_or3_b32 v45, v45, v42, v43
.LBB559_311:
	s_or_b64 exec, exec, s[10:11]
.LBB559_312:
	s_or_b64 exec, exec, s[8:9]
.LBB559_313:
	s_or_b64 exec, exec, s[2:3]
	s_movk_i32 s2, 0xff
	v_and_b32_sdwa v43, v22, s2 dst_sel:DWORD dst_unused:UNUSED_PAD src0_sel:WORD_1 src1_sel:DWORD
	v_lshrrev_b32_e32 v42, 16, v22
	v_cmp_ne_u16_e32 vcc, 0, v43
	s_and_saveexec_b64 s[2:3], vcc
	s_cbranch_execz .LBB559_319
; %bb.314:
	s_movk_i32 s8, 0x80
	v_cmp_ne_u16_e32 vcc, s8, v43
	v_bfrev_b32_e32 v44, 1
	s_and_saveexec_b64 s[8:9], vcc
	s_cbranch_execz .LBB559_318
; %bb.315:
	v_bfe_u32 v43, v22, 16, 7
	s_movk_i32 s10, 0x7f
	v_cmp_ne_u32_e32 vcc, s10, v43
	v_mov_b32_e32 v44, 0x7f800001
	s_and_saveexec_b64 s[10:11], vcc
	s_cbranch_execz .LBB559_317
; %bb.316:
	v_and_b32_e32 v44, 7, v42
	v_ffbh_u32_e32 v53, v44
	v_min_u32_e32 v53, 32, v53
	v_subrev_u32_e32 v54, 28, v53
	v_lshlrev_b64 v[54:55], v54, v[42:43]
	v_sub_u32_e32 v42, 29, v53
	v_and_b32_e32 v53, 7, v54
	v_cmp_gt_u32_e32 vcc, 8, v43
	v_lshrrev_b32_e32 v51, 3, v43
	v_cndmask_b32_e32 v43, v44, v53, vcc
	v_mov_b32_e32 v44, 24
	v_cndmask_b32_e32 v42, v51, v42, vcc
	v_lshlrev_b32_sdwa v44, v44, v22 dst_sel:DWORD dst_unused:UNUSED_PAD src0_sel:DWORD src1_sel:WORD_1
	v_bfrev_b32_e32 v51, 60
	v_lshlrev_b32_e32 v43, 20, v43
	v_and_b32_e32 v44, 0x80000000, v44
	v_lshl_add_u32 v42, v42, 23, v51
	v_or3_b32 v44, v44, v42, v43
.LBB559_317:
	s_or_b64 exec, exec, s[10:11]
.LBB559_318:
	s_or_b64 exec, exec, s[8:9]
.LBB559_319:
	s_or_b64 exec, exec, s[2:3]
	s_mov_b32 s2, 0xffffff
	v_cmp_lt_u32_e32 vcc, s2, v22
	v_mov_b32_e32 v51, 0
	v_mov_b32_e32 v53, 0
	s_and_saveexec_b64 s[2:3], vcc
	s_cbranch_execz .LBB559_325
; %bb.320:
	v_lshrrev_b32_e32 v42, 24, v22
	s_movk_i32 s8, 0x80
	v_cmp_ne_u32_e32 vcc, s8, v42
	v_bfrev_b32_e32 v53, 1
	s_and_saveexec_b64 s[8:9], vcc
	s_cbranch_execz .LBB559_324
; %bb.321:
	v_bfe_u32 v22, v22, 24, 7
	s_movk_i32 s10, 0x7f
	v_cmp_ne_u32_e32 vcc, s10, v22
	v_mov_b32_e32 v53, 0x7f800001
	s_and_saveexec_b64 s[10:11], vcc
	s_cbranch_execz .LBB559_323
; %bb.322:
	v_and_b32_e32 v43, 7, v42
	v_ffbh_u32_e32 v54, v43
	v_min_u32_e32 v56, 32, v54
	v_subrev_u32_e32 v54, 28, v56
	v_lshlrev_b64 v[54:55], v54, v[42:43]
	v_lshrrev_b32_e32 v53, 3, v22
	v_sub_u32_e32 v55, 29, v56
	v_and_b32_e32 v54, 7, v54
	v_cmp_gt_u32_e32 vcc, 8, v22
	v_cndmask_b32_e32 v22, v53, v55, vcc
	v_cndmask_b32_e32 v43, v43, v54, vcc
	v_lshlrev_b32_e32 v42, 24, v42
	v_bfrev_b32_e32 v53, 60
	v_lshlrev_b32_e32 v43, 20, v43
	v_and_b32_e32 v42, 0x80000000, v42
	v_lshl_add_u32 v22, v22, 23, v53
	v_or3_b32 v53, v42, v22, v43
.LBB559_323:
	s_or_b64 exec, exec, s[10:11]
.LBB559_324:
	s_or_b64 exec, exec, s[8:9]
.LBB559_325:
	s_or_b64 exec, exec, s[2:3]
	v_cmp_ne_u16_sdwa s[8:9], v23, v51 src0_sel:BYTE_0 src1_sel:DWORD
	s_and_saveexec_b64 s[2:3], s[8:9]
	s_cbranch_execz .LBB559_331
; %bb.326:
	s_movk_i32 s8, 0x80
	v_cmp_ne_u16_sdwa s[10:11], v23, s8 src0_sel:BYTE_0 src1_sel:DWORD
	v_bfrev_b32_e32 v51, 1
	s_and_saveexec_b64 s[8:9], s[10:11]
	s_cbranch_execz .LBB559_330
; %bb.327:
	s_movk_i32 s10, 0x7f
	v_and_b32_e32 v22, 0x7f, v23
	v_cmp_ne_u32_e32 vcc, s10, v22
	v_mov_b32_e32 v51, 0x7f800001
	s_and_saveexec_b64 s[10:11], vcc
	s_cbranch_execz .LBB559_329
; %bb.328:
	v_and_b32_e32 v51, 7, v23
	v_ffbh_u32_e32 v43, v51
	v_min_u32_e32 v55, 32, v43
	v_mov_b32_e32 v42, v23
	v_subrev_u32_e32 v43, 28, v55
	v_lshlrev_b64 v[42:43], v43, v[42:43]
	v_lshrrev_b32_e32 v54, 3, v22
	v_sub_u32_e32 v43, 29, v55
	v_and_b32_e32 v42, 7, v42
	v_cmp_gt_u32_e32 vcc, 8, v22
	v_cndmask_b32_e32 v22, v54, v43, vcc
	v_cndmask_b32_e32 v42, v51, v42, vcc
	v_lshlrev_b32_e32 v43, 24, v23
	v_bfrev_b32_e32 v51, 60
	v_lshlrev_b32_e32 v42, 20, v42
	v_and_b32_e32 v43, 0x80000000, v43
	v_lshl_add_u32 v22, v22, 23, v51
	v_or3_b32 v51, v43, v22, v42
.LBB559_329:
	s_or_b64 exec, exec, s[10:11]
.LBB559_330:
	s_or_b64 exec, exec, s[8:9]
.LBB559_331:
	s_or_b64 exec, exec, s[2:3]
	v_lshrrev_b16_e32 v22, 8, v23
	v_cmp_ne_u16_e32 vcc, 0, v22
	v_mov_b32_e32 v42, 0
	v_mov_b32_e32 v54, 0
	s_and_saveexec_b64 s[2:3], vcc
	s_cbranch_execz .LBB559_337
; %bb.332:
	s_movk_i32 s8, 0x80
	v_cmp_ne_u16_e32 vcc, s8, v22
	v_bfrev_b32_e32 v54, 1
	s_and_saveexec_b64 s[8:9], vcc
	s_cbranch_execz .LBB559_336
; %bb.333:
	s_movk_i32 s10, 0x7f
	v_and_b32_e32 v43, 0x7f, v22
	v_cmp_ne_u32_e32 vcc, s10, v43
	v_mov_b32_e32 v54, 0x7f800001
	s_and_saveexec_b64 s[10:11], vcc
	s_cbranch_execz .LBB559_335
; %bb.334:
	v_and_b32_e32 v56, 7, v22
	v_ffbh_u32_e32 v54, v56
	v_min_u32_e32 v58, 32, v54
	v_subrev_u32_e32 v54, 28, v58
	v_lshlrev_b64 v[54:55], v54, v[22:23]
	v_lshrrev_b32_e32 v57, 3, v43
	v_sub_u32_e32 v22, 29, v58
	v_and_b32_e32 v54, 7, v54
	v_cmp_gt_u32_e32 vcc, 8, v43
	v_cndmask_b32_e32 v22, v57, v22, vcc
	v_cndmask_b32_e32 v43, v56, v54, vcc
	v_lshlrev_b32_e32 v54, 16, v23
	v_bfrev_b32_e32 v55, 60
	v_lshlrev_b32_e32 v43, 20, v43
	v_and_b32_e32 v54, 0x80000000, v54
	v_lshl_add_u32 v22, v22, 23, v55
	v_or3_b32 v54, v54, v22, v43
.LBB559_335:
	s_or_b64 exec, exec, s[10:11]
.LBB559_336:
	s_or_b64 exec, exec, s[8:9]
.LBB559_337:
	s_or_b64 exec, exec, s[2:3]
	s_movk_i32 s2, 0xff
	v_and_b32_sdwa v43, v23, s2 dst_sel:DWORD dst_unused:UNUSED_PAD src0_sel:WORD_1 src1_sel:DWORD
	v_lshrrev_b32_e32 v22, 16, v23
	v_cmp_ne_u16_e32 vcc, 0, v43
	s_and_saveexec_b64 s[2:3], vcc
	s_cbranch_execz .LBB559_343
; %bb.338:
	s_movk_i32 s8, 0x80
	v_cmp_ne_u16_e32 vcc, s8, v43
	v_bfrev_b32_e32 v42, 1
	s_and_saveexec_b64 s[8:9], vcc
	s_cbranch_execz .LBB559_342
; %bb.339:
	v_bfe_u32 v43, v23, 16, 7
	s_movk_i32 s10, 0x7f
	v_cmp_ne_u32_e32 vcc, s10, v43
	v_mov_b32_e32 v42, 0x7f800001
	s_and_saveexec_b64 s[10:11], vcc
	s_cbranch_execz .LBB559_341
; %bb.340:
	v_and_b32_e32 v42, 7, v22
	v_ffbh_u32_e32 v56, v42
	v_min_u32_e32 v58, 32, v56
	v_subrev_u32_e32 v56, 28, v58
	v_lshlrev_b64 v[56:57], v56, v[22:23]
	v_lshrrev_b32_e32 v55, 3, v43
	v_sub_u32_e32 v22, 29, v58
	v_and_b32_e32 v56, 7, v56
	v_cmp_gt_u32_e32 vcc, 8, v43
	v_mov_b32_e32 v43, 24
	v_cndmask_b32_e32 v22, v55, v22, vcc
	v_cndmask_b32_e32 v42, v42, v56, vcc
	v_lshlrev_b32_sdwa v43, v43, v23 dst_sel:DWORD dst_unused:UNUSED_PAD src0_sel:DWORD src1_sel:WORD_1
	v_bfrev_b32_e32 v55, 60
	v_lshlrev_b32_e32 v42, 20, v42
	v_and_b32_e32 v43, 0x80000000, v43
	v_lshl_add_u32 v22, v22, 23, v55
	v_or3_b32 v42, v43, v22, v42
.LBB559_341:
	s_or_b64 exec, exec, s[10:11]
.LBB559_342:
	s_or_b64 exec, exec, s[8:9]
.LBB559_343:
	s_or_b64 exec, exec, s[2:3]
	s_mov_b32 s2, 0xffffff
	v_cmp_lt_u32_e32 vcc, s2, v23
	v_mov_b32_e32 v43, 0
	v_mov_b32_e32 v55, 0
	s_and_saveexec_b64 s[2:3], vcc
	s_cbranch_execz .LBB559_349
; %bb.344:
	v_lshrrev_b32_e32 v22, 24, v23
	s_movk_i32 s8, 0x80
	v_cmp_ne_u32_e32 vcc, s8, v22
	v_bfrev_b32_e32 v55, 1
	s_and_saveexec_b64 s[8:9], vcc
	s_cbranch_execz .LBB559_348
; %bb.345:
	v_bfe_u32 v23, v23, 24, 7
	s_movk_i32 s10, 0x7f
	v_cmp_ne_u32_e32 vcc, s10, v23
	v_mov_b32_e32 v55, 0x7f800001
	s_and_saveexec_b64 s[10:11], vcc
	s_cbranch_execz .LBB559_347
; %bb.346:
	v_and_b32_e32 v55, 7, v22
	v_ffbh_u32_e32 v56, v55
	v_min_u32_e32 v59, 32, v56
	v_subrev_u32_e32 v56, 28, v59
	v_lshlrev_b64 v[56:57], v56, v[22:23]
	v_lshrrev_b32_e32 v58, 3, v23
	v_sub_u32_e32 v57, 29, v59
	v_and_b32_e32 v56, 7, v56
	v_cmp_gt_u32_e32 vcc, 8, v23
	v_cndmask_b32_e32 v23, v58, v57, vcc
	v_cndmask_b32_e32 v55, v55, v56, vcc
	v_lshlrev_b32_e32 v22, 24, v22
	v_bfrev_b32_e32 v56, 60
	v_lshlrev_b32_e32 v55, 20, v55
	v_and_b32_e32 v22, 0x80000000, v22
	v_lshl_add_u32 v23, v23, 23, v56
	v_or3_b32 v55, v22, v23, v55
.LBB559_347:
	s_or_b64 exec, exec, s[10:11]
.LBB559_348:
	s_or_b64 exec, exec, s[8:9]
.LBB559_349:
	s_or_b64 exec, exec, s[2:3]
	v_cvt_pkrtz_f16_f32 v22, v52, v45
	v_cvt_pkrtz_f16_f32 v23, v44, v53
	v_cmp_ne_u16_sdwa s[8:9], v24, v43 src0_sel:BYTE_0 src1_sel:DWORD
	s_nop 0
	v_mfma_f32_16x16x16f16 v[56:59], v[22:23], v[26:27], 0
	v_cvt_pkrtz_f16_f32 v22, v51, v54
	v_cvt_pkrtz_f16_f32 v23, v42, v55
	s_nop 1
	v_mfma_f32_16x16x16f16 v[26:29], v[22:23], v[28:29], v[56:59]
	s_and_saveexec_b64 s[2:3], s[8:9]
	s_cbranch_execz .LBB559_355
; %bb.350:
	s_movk_i32 s8, 0x80
	v_cmp_ne_u16_sdwa s[10:11], v24, s8 src0_sel:BYTE_0 src1_sel:DWORD
	v_bfrev_b32_e32 v43, 1
	s_and_saveexec_b64 s[8:9], s[10:11]
	s_cbranch_execz .LBB559_354
; %bb.351:
	s_movk_i32 s10, 0x7f
	v_and_b32_e32 v22, 0x7f, v24
	v_cmp_ne_u32_e32 vcc, s10, v22
	v_mov_b32_e32 v43, 0x7f800001
	s_and_saveexec_b64 s[10:11], vcc
	s_cbranch_execz .LBB559_353
; %bb.352:
	v_and_b32_e32 v23, 7, v24
	v_ffbh_u32_e32 v42, v23
	v_min_u32_e32 v45, 32, v42
	v_subrev_u32_e32 v42, 28, v45
	v_lshlrev_b64 v[42:43], v42, v[24:25]
	v_lshrrev_b32_e32 v44, 3, v22
	v_sub_u32_e32 v43, 29, v45
	v_and_b32_e32 v42, 7, v42
	v_cmp_gt_u32_e32 vcc, 8, v22
	v_cndmask_b32_e32 v22, v44, v43, vcc
	v_cndmask_b32_e32 v23, v23, v42, vcc
	v_lshlrev_b32_e32 v42, 24, v24
	v_bfrev_b32_e32 v43, 60
	v_lshlrev_b32_e32 v23, 20, v23
	v_and_b32_e32 v42, 0x80000000, v42
	v_lshl_add_u32 v22, v22, 23, v43
	v_or3_b32 v43, v42, v22, v23
.LBB559_353:
	s_or_b64 exec, exec, s[10:11]
.LBB559_354:
	s_or_b64 exec, exec, s[8:9]
.LBB559_355:
	s_or_b64 exec, exec, s[2:3]
	v_lshrrev_b16_e32 v22, 8, v24
	v_cmp_ne_u16_e32 vcc, 0, v22
	v_mov_b32_e32 v23, 0
	v_mov_b32_e32 v44, 0
	s_and_saveexec_b64 s[2:3], vcc
	s_cbranch_execz .LBB559_361
; %bb.356:
	s_movk_i32 s8, 0x80
	v_cmp_ne_u16_e32 vcc, s8, v22
	v_bfrev_b32_e32 v44, 1
	s_and_saveexec_b64 s[8:9], vcc
	s_cbranch_execz .LBB559_360
; %bb.357:
	s_movk_i32 s10, 0x7f
	v_and_b32_e32 v42, 0x7f, v22
	v_cmp_ne_u32_e32 vcc, s10, v42
	v_mov_b32_e32 v44, 0x7f800001
	s_and_saveexec_b64 s[10:11], vcc
	s_cbranch_execz .LBB559_359
; %bb.358:
	v_and_b32_e32 v51, 7, v22
	v_ffbh_u32_e32 v44, v51
	v_min_u32_e32 v53, 32, v44
	v_subrev_u32_e32 v44, 28, v53
	v_lshlrev_b64 v[44:45], v44, v[22:23]
	v_lshrrev_b32_e32 v52, 3, v42
	v_sub_u32_e32 v22, 29, v53
	v_and_b32_e32 v44, 7, v44
	v_cmp_gt_u32_e32 vcc, 8, v42
	v_cndmask_b32_e32 v22, v52, v22, vcc
	v_cndmask_b32_e32 v42, v51, v44, vcc
	v_lshlrev_b32_e32 v44, 16, v24
	v_bfrev_b32_e32 v45, 60
	v_lshlrev_b32_e32 v42, 20, v42
	v_and_b32_e32 v44, 0x80000000, v44
	v_lshl_add_u32 v22, v22, 23, v45
	v_or3_b32 v44, v44, v22, v42
.LBB559_359:
	s_or_b64 exec, exec, s[10:11]
.LBB559_360:
	s_or_b64 exec, exec, s[8:9]
.LBB559_361:
	s_or_b64 exec, exec, s[2:3]
	s_movk_i32 s2, 0xff
	v_and_b32_sdwa v42, v24, s2 dst_sel:DWORD dst_unused:UNUSED_PAD src0_sel:WORD_1 src1_sel:DWORD
	v_lshrrev_b32_e32 v22, 16, v24
	v_cmp_ne_u16_e32 vcc, 0, v42
	s_and_saveexec_b64 s[2:3], vcc
	s_cbranch_execz .LBB559_367
; %bb.362:
	s_movk_i32 s8, 0x80
	v_cmp_ne_u16_e32 vcc, s8, v42
	v_bfrev_b32_e32 v23, 1
	s_and_saveexec_b64 s[8:9], vcc
	s_cbranch_execz .LBB559_366
; %bb.363:
	v_bfe_u32 v42, v24, 16, 7
	s_movk_i32 s10, 0x7f
	v_cmp_ne_u32_e32 vcc, s10, v42
	v_mov_b32_e32 v23, 0x7f800001
	s_and_saveexec_b64 s[10:11], vcc
	s_cbranch_execz .LBB559_365
; %bb.364:
	v_and_b32_e32 v45, 7, v22
	v_ffbh_u32_e32 v23, v45
	v_min_u32_e32 v52, 32, v23
	v_subrev_u32_e32 v23, 28, v52
	v_lshlrev_b64 v[22:23], v23, v[22:23]
	v_lshrrev_b32_e32 v51, 3, v42
	v_sub_u32_e32 v23, 29, v52
	v_and_b32_e32 v22, 7, v22
	v_cmp_gt_u32_e32 vcc, 8, v42
	v_mov_b32_e32 v42, 24
	v_cndmask_b32_e32 v23, v51, v23, vcc
	v_cndmask_b32_e32 v22, v45, v22, vcc
	v_lshlrev_b32_sdwa v42, v42, v24 dst_sel:DWORD dst_unused:UNUSED_PAD src0_sel:DWORD src1_sel:WORD_1
	v_bfrev_b32_e32 v45, 60
	v_lshlrev_b32_e32 v22, 20, v22
	v_and_b32_e32 v42, 0x80000000, v42
	v_lshl_add_u32 v23, v23, 23, v45
	v_or3_b32 v23, v42, v23, v22
.LBB559_365:
	s_or_b64 exec, exec, s[10:11]
.LBB559_366:
	s_or_b64 exec, exec, s[8:9]
.LBB559_367:
	s_or_b64 exec, exec, s[2:3]
	s_mov_b32 s2, 0xffffff
	v_cmp_lt_u32_e32 vcc, s2, v24
	v_mov_b32_e32 v45, 0
	v_mov_b32_e32 v51, 0
	s_and_saveexec_b64 s[2:3], vcc
	s_cbranch_execz .LBB559_373
; %bb.368:
	v_lshrrev_b32_e32 v22, 24, v24
	s_movk_i32 s8, 0x80
	v_cmp_ne_u32_e32 vcc, s8, v22
	v_bfrev_b32_e32 v51, 1
	s_and_saveexec_b64 s[8:9], vcc
	s_cbranch_execz .LBB559_372
; %bb.369:
	v_bfe_u32 v24, v24, 24, 7
	s_movk_i32 s10, 0x7f
	v_cmp_ne_u32_e32 vcc, s10, v24
	v_mov_b32_e32 v51, 0x7f800001
	s_and_saveexec_b64 s[10:11], vcc
	s_cbranch_execz .LBB559_371
; %bb.370:
	v_and_b32_e32 v42, 7, v22
	v_ffbh_u32_e32 v52, v42
	v_min_u32_e32 v54, 32, v52
	v_subrev_u32_e32 v52, 28, v54
	v_lshlrev_b64 v[52:53], v52, v[22:23]
	v_lshrrev_b32_e32 v51, 3, v24
	v_sub_u32_e32 v53, 29, v54
	v_and_b32_e32 v52, 7, v52
	v_cmp_gt_u32_e32 vcc, 8, v24
	v_cndmask_b32_e32 v24, v51, v53, vcc
	v_cndmask_b32_e32 v42, v42, v52, vcc
	v_lshlrev_b32_e32 v22, 24, v22
	v_bfrev_b32_e32 v51, 60
	v_lshlrev_b32_e32 v42, 20, v42
	v_and_b32_e32 v22, 0x80000000, v22
	v_lshl_add_u32 v24, v24, 23, v51
	v_or3_b32 v51, v22, v24, v42
.LBB559_371:
	s_or_b64 exec, exec, s[10:11]
.LBB559_372:
	s_or_b64 exec, exec, s[8:9]
.LBB559_373:
	s_or_b64 exec, exec, s[2:3]
	v_cmp_ne_u16_sdwa s[8:9], v25, v45 src0_sel:BYTE_0 src1_sel:DWORD
	s_and_saveexec_b64 s[2:3], s[8:9]
	s_cbranch_execz .LBB559_379
; %bb.374:
	s_movk_i32 s8, 0x80
	v_cmp_ne_u16_sdwa s[10:11], v25, s8 src0_sel:BYTE_0 src1_sel:DWORD
	v_bfrev_b32_e32 v45, 1
	s_and_saveexec_b64 s[8:9], s[10:11]
	s_cbranch_execz .LBB559_378
; %bb.375:
	s_movk_i32 s10, 0x7f
	v_and_b32_e32 v22, 0x7f, v25
	v_cmp_ne_u32_e32 vcc, s10, v22
	v_mov_b32_e32 v45, 0x7f800001
	s_and_saveexec_b64 s[10:11], vcc
	s_cbranch_execz .LBB559_377
; %bb.376:
	v_and_b32_e32 v42, 7, v25
	v_ffbh_u32_e32 v52, v42
	v_min_u32_e32 v54, 32, v52
	v_mov_b32_e32 v24, v25
	v_subrev_u32_e32 v52, 28, v54
	v_lshlrev_b64 v[52:53], v52, v[24:25]
	v_lshrrev_b32_e32 v45, 3, v22
	v_sub_u32_e32 v24, 29, v54
	v_and_b32_e32 v52, 7, v52
	v_cmp_gt_u32_e32 vcc, 8, v22
	v_cndmask_b32_e32 v22, v45, v24, vcc
	v_cndmask_b32_e32 v24, v42, v52, vcc
	v_lshlrev_b32_e32 v42, 24, v25
	v_bfrev_b32_e32 v45, 60
	v_lshlrev_b32_e32 v24, 20, v24
	v_and_b32_e32 v42, 0x80000000, v42
	v_lshl_add_u32 v22, v22, 23, v45
	v_or3_b32 v45, v42, v22, v24
.LBB559_377:
	s_or_b64 exec, exec, s[10:11]
.LBB559_378:
	s_or_b64 exec, exec, s[8:9]
.LBB559_379:
	s_or_b64 exec, exec, s[2:3]
	v_lshrrev_b16_e32 v22, 8, v25
	v_cmp_ne_u16_e32 vcc, 0, v22
	v_mov_b32_e32 v52, 0
	v_mov_b32_e32 v53, 0
	s_and_saveexec_b64 s[2:3], vcc
	s_cbranch_execz .LBB559_385
; %bb.380:
	s_movk_i32 s8, 0x80
	v_cmp_ne_u16_e32 vcc, s8, v22
	v_bfrev_b32_e32 v53, 1
	s_and_saveexec_b64 s[8:9], vcc
	s_cbranch_execz .LBB559_384
; %bb.381:
	s_movk_i32 s10, 0x7f
	v_and_b32_e32 v24, 0x7f, v22
	v_cmp_ne_u32_e32 vcc, s10, v24
	v_mov_b32_e32 v53, 0x7f800001
	s_and_saveexec_b64 s[10:11], vcc
	s_cbranch_execz .LBB559_383
; %bb.382:
	v_and_b32_e32 v42, 7, v22
	v_ffbh_u32_e32 v54, v42
	v_min_u32_e32 v56, 32, v54
	v_subrev_u32_e32 v54, 28, v56
	v_lshlrev_b64 v[54:55], v54, v[22:23]
	v_lshrrev_b32_e32 v53, 3, v24
	v_sub_u32_e32 v22, 29, v56
	v_and_b32_e32 v54, 7, v54
	v_cmp_gt_u32_e32 vcc, 8, v24
	v_cndmask_b32_e32 v22, v53, v22, vcc
	v_cndmask_b32_e32 v24, v42, v54, vcc
	v_lshlrev_b32_e32 v42, 16, v25
	v_bfrev_b32_e32 v53, 60
	v_lshlrev_b32_e32 v24, 20, v24
	v_and_b32_e32 v42, 0x80000000, v42
	v_lshl_add_u32 v22, v22, 23, v53
	v_or3_b32 v53, v42, v22, v24
.LBB559_383:
	s_or_b64 exec, exec, s[10:11]
.LBB559_384:
	s_or_b64 exec, exec, s[8:9]
.LBB559_385:
	s_or_b64 exec, exec, s[2:3]
	s_movk_i32 s2, 0xff
	v_and_b32_sdwa v24, v25, s2 dst_sel:DWORD dst_unused:UNUSED_PAD src0_sel:WORD_1 src1_sel:DWORD
	v_lshrrev_b32_e32 v22, 16, v25
	v_cmp_ne_u16_e32 vcc, 0, v24
	s_and_saveexec_b64 s[2:3], vcc
	s_cbranch_execz .LBB559_391
; %bb.386:
	s_movk_i32 s8, 0x80
	v_cmp_ne_u16_e32 vcc, s8, v24
	v_bfrev_b32_e32 v52, 1
	s_and_saveexec_b64 s[8:9], vcc
	s_cbranch_execz .LBB559_390
; %bb.387:
	v_bfe_u32 v24, v25, 16, 7
	s_movk_i32 s10, 0x7f
	v_cmp_ne_u32_e32 vcc, s10, v24
	v_mov_b32_e32 v52, 0x7f800001
	s_and_saveexec_b64 s[10:11], vcc
	s_cbranch_execz .LBB559_389
; %bb.388:
	v_and_b32_e32 v42, 7, v22
	v_ffbh_u32_e32 v54, v42
	v_min_u32_e32 v56, 32, v54
	v_subrev_u32_e32 v54, 28, v56
	v_lshlrev_b64 v[54:55], v54, v[22:23]
	v_and_b32_e32 v54, 7, v54
	v_cmp_gt_u32_e32 vcc, 8, v24
	v_lshrrev_b32_e32 v52, 3, v24
	v_sub_u32_e32 v22, 29, v56
	v_cndmask_b32_e32 v24, v42, v54, vcc
	v_mov_b32_e32 v42, 24
	v_cndmask_b32_e32 v22, v52, v22, vcc
	v_lshlrev_b32_sdwa v42, v42, v25 dst_sel:DWORD dst_unused:UNUSED_PAD src0_sel:DWORD src1_sel:WORD_1
	v_bfrev_b32_e32 v52, 60
	v_lshlrev_b32_e32 v24, 20, v24
	v_and_b32_e32 v42, 0x80000000, v42
	v_lshl_add_u32 v22, v22, 23, v52
	v_or3_b32 v52, v42, v22, v24
.LBB559_389:
	s_or_b64 exec, exec, s[10:11]
.LBB559_390:
	s_or_b64 exec, exec, s[8:9]
.LBB559_391:
	s_or_b64 exec, exec, s[2:3]
	s_mov_b32 s2, 0xffffff
	v_and_b32_e32 v42, 63, v0
	v_cmp_lt_u32_e32 vcc, s2, v25
	v_mov_b32_e32 v54, 0
	s_and_saveexec_b64 s[2:3], vcc
	s_cbranch_execz .LBB559_397
; %bb.392:
	v_lshrrev_b32_e32 v22, 24, v25
	s_movk_i32 s8, 0x80
	v_cmp_ne_u32_e32 vcc, s8, v22
	v_bfrev_b32_e32 v54, 1
	s_and_saveexec_b64 s[8:9], vcc
	s_cbranch_execz .LBB559_396
; %bb.393:
	v_bfe_u32 v24, v25, 24, 7
	s_movk_i32 s10, 0x7f
	v_cmp_ne_u32_e32 vcc, s10, v24
	v_mov_b32_e32 v54, 0x7f800001
	s_and_saveexec_b64 s[10:11], vcc
	s_cbranch_execz .LBB559_395
; %bb.394:
	v_and_b32_e32 v25, 7, v22
	v_ffbh_u32_e32 v54, v25
	v_min_u32_e32 v57, 32, v54
	v_subrev_u32_e32 v54, 28, v57
	v_lshlrev_b64 v[54:55], v54, v[22:23]
	v_lshrrev_b32_e32 v56, 3, v24
	v_sub_u32_e32 v55, 29, v57
	v_and_b32_e32 v54, 7, v54
	v_cmp_gt_u32_e32 vcc, 8, v24
	v_cndmask_b32_e32 v24, v56, v55, vcc
	v_cndmask_b32_e32 v25, v25, v54, vcc
	v_lshlrev_b32_e32 v22, 24, v22
	v_bfrev_b32_e32 v54, 60
	v_lshlrev_b32_e32 v25, 20, v25
	v_and_b32_e32 v22, 0x80000000, v22
	v_lshl_add_u32 v24, v24, 23, v54
	v_or3_b32 v54, v22, v24, v25
.LBB559_395:
	s_or_b64 exec, exec, s[10:11]
.LBB559_396:
	s_or_b64 exec, exec, s[8:9]
.LBB559_397:
	s_or_b64 exec, exec, s[2:3]
	v_cvt_pkrtz_f16_f32 v56, v43, v44
	v_cvt_pkrtz_f16_f32 v57, v23, v51
	s_load_dword s2, s[4:5], 0x1c
	s_mov_b32 s46, 0xff7fffff
	s_waitcnt lgkmcnt(0)
	v_mfma_f32_16x16x16f16 v[26:29], v[56:57], v[18:19], v[26:29]
	v_cvt_pkrtz_f16_f32 v18, v45, v53
	v_cvt_pkrtz_f16_f32 v19, v52, v54
	v_mov_b32_e32 v22, s2
	v_mul_f32_e32 v44, s12, v22
	v_pk_mul_f32 v[22:23], v[44:45], v[32:33] op_sel_hi:[0,1]
	v_pk_mul_f32 v[32:33], v[44:45], v[38:39] op_sel_hi:[0,1]
	v_and_b32_e32 v38, 0xc0, v0
	v_mfma_f32_16x16x16f16 v[26:29], v[18:19], v[20:21], v[26:29]
	v_add_u32_e32 v38, s18, v38
	v_lshl_or_b32 v38, v1, 2, v38
	v_or_b32_e32 v39, 1, v38
	v_pk_mul_f32 v[24:25], v[44:45], v[30:31] op_sel_hi:[0,1]
	v_pk_mul_f32 v[30:31], v[44:45], v[40:41] op_sel_hi:[0,1]
	v_subrev_u32_e32 v40, s33, v39
	v_pk_mul_f32 v[34:35], v[44:45], v[34:35] op_sel_hi:[0,1]
	s_nop 3
	v_pk_mul_f32 v[20:21], v[44:45], v[26:27] op_sel_hi:[0,1]
	v_add_u32_e32 v27, 1, v40
	v_pk_mul_f32 v[18:19], v[44:45], v[28:29] op_sel_hi:[0,1]
	v_cvt_f32_i32_e32 v27, v27
	v_add_u32_e32 v29, 3, v40
	v_cvt_f32_i32_e32 v29, v29
	v_cvt_f32_i32_e32 v26, v40
	v_pk_mul_f32 v[36:37], v[44:45], v[36:37] op_sel_hi:[0,1]
	v_fmac_f32_e32 v35, v50, v27
	v_add_u32_e32 v27, 16, v40
	v_fmac_f32_e32 v37, v50, v29
	v_cvt_f32_i32_e32 v27, v27
	v_add_u32_e32 v29, 17, v40
	v_fma_f32 v26, v50, v26, v34
	v_cvt_f32_i32_e32 v29, v29
	v_add_u32_e32 v34, 18, v40
	v_cvt_f32_i32_e32 v34, v34
	v_fma_f32 v41, v50, v27, v32
	v_add_u32_e32 v27, 32, v40
	v_fmac_f32_e32 v33, v50, v29
	v_cvt_f32_i32_e32 v27, v27
	v_add_u32_e32 v29, 33, v40
	v_add_u32_e32 v32, 34, v40
	v_fma_f32 v30, v50, v34, v30
	v_cvt_f32_i32_e32 v29, v29
	v_cvt_f32_i32_e32 v32, v32
	v_add_u32_e32 v34, 35, v40
	v_cvt_f32_i32_e32 v34, v34
	v_fma_f32 v24, v50, v27, v24
	v_add_u32_e32 v27, 48, v40
	v_fmac_f32_e32 v25, v50, v29
	v_fma_f32 v22, v50, v32, v22
	v_cvt_f32_i32_e32 v27, v27
	v_add_u32_e32 v29, 49, v40
	v_add_u32_e32 v32, 50, v40
	v_fmac_f32_e32 v23, v50, v34
	v_cvt_f32_i32_e32 v29, v29
	v_cvt_f32_i32_e32 v32, v32
	v_add_u32_e32 v34, 51, v40
	v_add_u32_e32 v28, 2, v40
	v_cvt_f32_i32_e32 v34, v34
	v_cvt_f32_i32_e32 v28, v28
	v_fma_f32 v20, v50, v27, v20
	v_mov_b32_e32 v27, 0xff7fffff
	v_cmp_gt_i32_e64 s[26:27], s33, v38
	v_cmp_gt_i32_e64 s[28:29], s33, v39
	v_fmac_f32_e32 v21, v50, v29
	v_fma_f32 v18, v50, v32, v18
	v_cndmask_b32_e64 v29, v27, v26, s[26:27]
	v_cndmask_b32_e64 v32, v27, v35, s[28:29]
	v_fmac_f32_e32 v19, v50, v34
	v_max3_f32 v29, v29, s46, v32
	v_or_b32_e32 v32, 2, v38
	v_or_b32_e32 v34, 3, v38
	v_fma_f32 v28, v50, v28, v36
	v_cmp_gt_i32_e64 s[30:31], s33, v32
	v_cmp_gt_i32_e64 s[34:35], s33, v34
	v_add_u32_e32 v36, 19, v40
	v_cndmask_b32_e64 v32, v27, v28, s[30:31]
	v_cndmask_b32_e64 v34, v27, v37, s[34:35]
	v_cvt_f32_i32_e32 v36, v36
	v_max3_f32 v29, v29, v32, v34
	v_or_b32_e32 v32, 16, v38
	v_or_b32_e32 v34, 17, v38
	v_cmp_gt_i32_e64 s[36:37], s33, v32
	v_cmp_gt_i32_e64 s[38:39], s33, v34
	v_cndmask_b32_e64 v32, v27, v41, s[36:37]
	v_cndmask_b32_e64 v34, v27, v33, s[38:39]
	v_max3_f32 v29, v29, v32, v34
	v_or_b32_e32 v32, 18, v38
	v_or_b32_e32 v34, 19, v38
	v_fmac_f32_e32 v31, v50, v36
	v_cmp_gt_i32_e64 s[20:21], s33, v32
	v_cmp_gt_i32_e64 s[22:23], s33, v34
	v_cndmask_b32_e64 v32, v27, v30, s[20:21]
	v_cndmask_b32_e64 v34, v27, v31, s[22:23]
	v_max3_f32 v29, v29, v32, v34
	v_or_b32_e32 v32, 32, v38
	v_or_b32_e32 v34, 33, v38
	v_cmp_gt_i32_e64 s[16:17], s33, v32
	v_cmp_gt_i32_e64 s[18:19], s33, v34
	v_cndmask_b32_e64 v32, v27, v24, s[16:17]
	v_cndmask_b32_e64 v34, v27, v25, s[18:19]
	v_max3_f32 v29, v29, v32, v34
	v_or_b32_e32 v32, 34, v38
	v_or_b32_e32 v34, 35, v38
	;; [unrolled: 7-line block ×4, first 2 shown]
	v_cmp_gt_i32_e32 vcc, s33, v32
	v_cmp_gt_i32_e64 s[2:3], s33, v34
	v_cndmask_b32_e32 v32, v27, v18, vcc
	v_cndmask_b32_e64 v27, v27, v19, s[2:3]
	v_max3_f32 v27, v29, v32, v27
	v_mbcnt_lo_u32_b32 v29, -1, 0
	v_mbcnt_hi_u32_b32 v29, -1, v29
	v_and_b32_e32 v32, 64, v29
	v_add_u32_e32 v32, 64, v32
	v_xor_b32_e32 v34, 32, v29
	v_cmp_lt_i32_e64 s[40:41], v34, v32
	v_cndmask_b32_e64 v34, v29, v34, s[40:41]
	v_lshlrev_b32_e32 v36, 2, v34
	ds_bpermute_b32 v34, v36, v27
	s_barrier
	s_waitcnt lgkmcnt(0)
	v_max_f32_e32 v34, v34, v34
	v_max_f32_e32 v27, v27, v34
	v_xor_b32_e32 v34, 16, v29
	v_cmp_lt_i32_e64 s[40:41], v34, v32
	v_cndmask_b32_e64 v29, v29, v34, s[40:41]
	v_lshlrev_b32_e32 v38, 2, v29
	ds_bpermute_b32 v29, v38, v27
	s_waitcnt lgkmcnt(0)
	v_max_f32_e32 v29, v29, v29
	v_max_f32_e32 v32, v27, v29
	v_sub_f32_e32 v26, v26, v32
	v_mul_f32_e32 v26, 0x3fb8aa3b, v26
	v_sub_f32_e32 v27, v35, v32
	v_exp_f32_e32 v26, v26
	v_mul_f32_e32 v27, 0x3fb8aa3b, v27
	v_sub_f32_e32 v28, v28, v32
	v_exp_f32_e32 v27, v27
	v_mul_f32_e32 v28, 0x3fb8aa3b, v28
	v_exp_f32_e32 v28, v28
	v_cndmask_b32_e64 v26, 0, v26, s[26:27]
	v_sub_f32_e32 v34, v37, v32
	v_add_f32_e32 v29, 0, v26
	v_cndmask_b32_e64 v27, 0, v27, s[28:29]
	v_mul_f32_e32 v34, 0x3fb8aa3b, v34
	v_exp_f32_e32 v35, v34
	v_add_f32_e32 v29, v29, v27
	v_cndmask_b32_e64 v34, 0, v28, s[30:31]
	v_add_f32_e32 v28, v29, v34
	v_sub_f32_e32 v29, v41, v32
	v_mul_f32_e32 v29, 0x3fb8aa3b, v29
	v_sub_f32_e32 v33, v33, v32
	v_exp_f32_e32 v29, v29
	v_mul_f32_e32 v33, 0x3fb8aa3b, v33
	v_sub_f32_e32 v30, v30, v32
	v_exp_f32_e32 v33, v33
	;; [unrolled: 3-line block ×3, first 2 shown]
	v_mul_f32_e32 v31, 0x3fb8aa3b, v31
	v_sub_f32_e32 v24, v24, v32
	v_cndmask_b32_e64 v35, 0, v35, s[34:35]
	v_exp_f32_e32 v31, v31
	v_mul_f32_e32 v24, 0x3fb8aa3b, v24
	v_sub_f32_e32 v25, v25, v32
	v_add_f32_e32 v37, v28, v35
	v_cndmask_b32_e64 v28, 0, v29, s[36:37]
	v_exp_f32_e32 v24, v24
	v_mul_f32_e32 v25, 0x3fb8aa3b, v25
	v_sub_f32_e32 v22, v22, v32
	v_add_f32_e32 v37, v37, v28
	;; [unrolled: 5-line block ×7, first 2 shown]
	v_cndmask_b32_e64 v22, 0, v22, s[12:13]
	v_exp_f32_e32 v18, v18
	v_mul_f32_e32 v19, 0x3fb8aa3b, v19
	v_add_f32_e32 v33, v33, v22
	v_cndmask_b32_e64 v23, 0, v23, s[14:15]
	v_exp_f32_e32 v19, v19
	v_add_f32_e32 v33, v33, v23
	v_cndmask_b32_e64 v20, 0, v20, s[8:9]
	v_add_f32_e32 v33, v33, v20
	v_cndmask_b32_e64 v21, 0, v21, s[10:11]
	v_add_f32_e32 v33, v33, v21
	v_cndmask_b32_e32 v18, 0, v18, vcc
	v_add_f32_e32 v33, v33, v18
	v_cndmask_b32_e64 v19, 0, v19, s[2:3]
	v_add_f32_e32 v33, v33, v19
	ds_bpermute_b32 v36, v36, v33
	v_cmp_gt_u32_e32 vcc, 16, v42
	s_waitcnt lgkmcnt(0)
	v_add_f32_e32 v33, v33, v36
	ds_bpermute_b32 v37, v38, v33
	v_lshlrev_b32_e32 v36, 2, v49
	s_and_saveexec_b64 s[2:3], vcc
	s_cbranch_execz .LBB559_399
; %bb.398:
	s_waitcnt lgkmcnt(0)
	v_add_f32_e32 v33, v33, v37
	v_lshl_or_b32 v37, v48, 6, v36
	ds_write2st64_b32 v37, v32, v33 offset1:1
.LBB559_399:
	s_or_b64 exec, exec, s[2:3]
	s_waitcnt lgkmcnt(0)
	s_barrier
	ds_read2_b32 v[38:39], v36 offset1:16
	ds_read2_b32 v[40:41], v36 offset0:32 offset1:48
	ds_read2_b32 v[44:45], v36 offset0:64 offset1:80
	s_lshl_b32 s12, s45, 1
	s_waitcnt lgkmcnt(2)
	v_max3_f32 v32, v38, s46, v39
	s_waitcnt lgkmcnt(1)
	v_max3_f32 v33, v32, v40, v41
	v_sub_f32_e32 v32, v38, v33
	v_mul_f32_e32 v32, 0x3fb8aa3b, v32
	v_exp_f32_e32 v37, v32
	v_sub_f32_e32 v32, v39, v33
	v_mul_f32_e32 v32, 0x3fb8aa3b, v32
	v_exp_f32_e32 v43, v32
	;; [unrolled: 3-line block ×3, first 2 shown]
	ds_read2_b32 v[38:39], v36 offset0:96 offset1:112
	v_sub_f32_e32 v32, v41, v33
	v_mul_f32_e32 v32, 0x3fb8aa3b, v32
	v_exp_f32_e32 v41, v32
	s_waitcnt lgkmcnt(1)
	v_fma_f32 v36, v37, v44, 0
	v_fmac_f32_e32 v36, v43, v45
	s_waitcnt lgkmcnt(0)
	v_fmac_f32_e32 v36, v40, v38
	v_fmac_f32_e32 v36, v41, v39
	v_add_f32_e32 v38, 0x358637bd, v36
	v_div_scale_f32 v39, s[2:3], v38, v38, 1.0
	v_rcp_f32_e32 v44, v39
	s_barrier
	v_fma_f32 v45, -v39, v44, 1.0
	v_fmac_f32_e32 v44, v45, v44
	v_div_scale_f32 v45, vcc, 1.0, v38, 1.0
	v_mul_f32_e32 v50, v45, v44
	v_fma_f32 v51, -v39, v50, v45
	v_fmac_f32_e32 v50, v51, v44
	v_fma_f32 v39, -v39, v50, v45
	v_div_fmas_f32 v39, v39, v44, v50
	v_cmp_eq_u32_e32 vcc, 1, v48
	v_cndmask_b32_e32 v37, v37, v43, vcc
	v_cmp_eq_u32_e32 vcc, 2, v48
	v_cndmask_b32_e32 v37, v37, v40, vcc
	v_cmp_eq_u32_e32 vcc, 3, v48
	v_div_fixup_f32 v38, v39, v38, 1.0
	v_cndmask_b32_e32 v37, v37, v41, vcc
	v_mul_f32_e32 v38, v37, v38
	v_pk_mul_f32 v[34:35], v[38:39], v[34:35] op_sel_hi:[0,1]
	v_pk_mul_f32 v[26:27], v[38:39], v[26:27] op_sel_hi:[0,1]
	v_cvt_f16_f32_e32 v26, v26
	v_cvt_f16_f32_e32 v27, v27
	;; [unrolled: 1-line block ×4, first 2 shown]
	v_pk_mul_f32 v[30:31], v[38:39], v[30:31] op_sel_hi:[0,1]
	v_pk_mul_f32 v[28:29], v[38:39], v[28:29] op_sel_hi:[0,1]
	v_cvt_f16_f32_e32 v28, v28
	v_cvt_f16_f32_e32 v29, v29
	;; [unrolled: 1-line block ×4, first 2 shown]
	v_pack_b32_f16 v34, v26, v27
	v_pack_b32_f16 v35, v37, v35
	v_lshlrev_b32_e32 v26, 3, v1
	v_lshlrev_b32_e32 v27, 5, v49
	v_lshlrev_b32_e32 v37, 11, v48
	v_or3_b32 v26, v37, v27, v26
	v_pack_b32_f16 v28, v28, v29
	v_pack_b32_f16 v29, v30, v31
	v_pk_mul_f32 v[22:23], v[38:39], v[22:23] op_sel_hi:[0,1]
	v_pk_mul_f32 v[24:25], v[38:39], v[24:25] op_sel_hi:[0,1]
	;; [unrolled: 1-line block ×4, first 2 shown]
	ds_write2st64_b64 v26, v[34:35], v[28:29] offset1:1
	v_cvt_f16_f32_e32 v24, v24
	v_cvt_f16_f32_e32 v25, v25
	;; [unrolled: 1-line block ×8, first 2 shown]
	v_mov_b32_e32 v32, 0
	v_pack_b32_f16 v18, v24, v25
	v_pack_b32_f16 v19, v22, v23
	;; [unrolled: 1-line block ×4, first 2 shown]
	v_cmp_gt_u32_e32 vcc, 2, v0
	ds_write2st64_b64 v26, v[18:19], v[20:21] offset0:2 offset1:3
	s_and_saveexec_b64 s[2:3], vcc
	s_cbranch_execz .LBB559_401
; %bb.400:
	v_or_b32_e32 v18, s25, v0
	v_mov_b32_e32 v19, 0
	v_mov_b32_e32 v20, s12
	v_mad_u64_u32 v[20:21], s[14:15], s6, v20, v[18:19]
	v_mov_b32_e32 v18, s24
	s_load_dwordx4 s[8:11], s[4:5], 0x58
	s_mul_i32 s7, s7, s12
	v_mad_u64_u32 v[18:19], s[14:15], v20, s44, v[18:19]
	v_add_u32_e32 v21, s7, v21
	v_mov_b32_e32 v20, v19
	v_mad_u64_u32 v[20:21], s[14:15], v21, s44, v[20:21]
	v_mov_b32_e32 v19, v20
	v_lshlrev_b64 v[18:19], 2, v[18:19]
	s_waitcnt lgkmcnt(0)
	v_mov_b32_e32 v21, s11
	v_add_co_u32_e32 v20, vcc, s10, v18
	v_addc_co_u32_e32 v21, vcc, v21, v19, vcc
	global_store_dword v[20:21], v33, off
	v_mov_b32_e32 v20, s9
	v_add_co_u32_e32 v18, vcc, s8, v18
	v_addc_co_u32_e32 v19, vcc, v20, v19, vcc
	global_store_dword v[18:19], v36, off
.LBB559_401:
	s_or_b64 exec, exec, s[2:3]
	v_mov_b32_e32 v19, 0
	s_waitcnt vmcnt(3)
	v_cmp_ne_u16_sdwa s[8:9], v14, v19 src0_sel:BYTE_0 src1_sel:DWORD
	s_waitcnt lgkmcnt(0)
	s_barrier
	s_and_saveexec_b64 s[2:3], s[8:9]
	s_cbranch_execz .LBB559_407
; %bb.402:
	s_movk_i32 s7, 0x80
	v_cmp_ne_u16_sdwa s[10:11], v14, s7 src0_sel:BYTE_0 src1_sel:DWORD
	v_bfrev_b32_e32 v32, 1
	s_and_saveexec_b64 s[8:9], s[10:11]
	s_cbranch_execz .LBB559_406
; %bb.403:
	s_movk_i32 s7, 0x7f
	v_and_b32_e32 v18, 0x7f, v14
	v_cmp_ne_u32_e32 vcc, s7, v18
	v_mov_b32_e32 v32, 0x7f800001
	s_and_saveexec_b64 s[10:11], vcc
	s_cbranch_execz .LBB559_405
; %bb.404:
	v_and_b32_e32 v22, 7, v14
	v_ffbh_u32_e32 v20, v22
	v_min_u32_e32 v24, 32, v20
	v_subrev_u32_e32 v20, 28, v24
	v_lshlrev_b64 v[20:21], v20, v[14:15]
	v_lshrrev_b32_e32 v23, 3, v18
	v_sub_u32_e32 v21, 29, v24
	v_and_b32_e32 v20, 7, v20
	v_cmp_gt_u32_e32 vcc, 8, v18
	v_cndmask_b32_e32 v18, v23, v21, vcc
	v_cndmask_b32_e32 v20, v22, v20, vcc
	v_lshlrev_b32_e32 v21, 24, v14
	v_bfrev_b32_e32 v22, 60
	v_lshlrev_b32_e32 v20, 20, v20
	v_and_b32_e32 v21, 0x80000000, v21
	v_lshl_add_u32 v18, v18, 23, v22
	v_or3_b32 v32, v21, v18, v20
.LBB559_405:
	s_or_b64 exec, exec, s[10:11]
.LBB559_406:
	s_or_b64 exec, exec, s[8:9]
.LBB559_407:
	s_or_b64 exec, exec, s[2:3]
	v_lshrrev_b16_e32 v18, 8, v14
	v_cmp_ne_u16_e32 vcc, 0, v18
	v_mov_b32_e32 v20, 0
	s_and_saveexec_b64 s[2:3], vcc
	s_cbranch_execz .LBB559_413
; %bb.408:
	s_movk_i32 s7, 0x80
	v_cmp_ne_u16_e32 vcc, s7, v18
	v_bfrev_b32_e32 v20, 1
	s_and_saveexec_b64 s[8:9], vcc
	s_cbranch_execz .LBB559_412
; %bb.409:
	s_movk_i32 s7, 0x7f
	v_and_b32_e32 v21, 0x7f, v18
	v_cmp_ne_u32_e32 vcc, s7, v21
	v_mov_b32_e32 v20, 0x7f800001
	s_and_saveexec_b64 s[10:11], vcc
	s_cbranch_execz .LBB559_411
; %bb.410:
	v_and_b32_e32 v20, 7, v18
	v_ffbh_u32_e32 v22, v20
	v_min_u32_e32 v25, 32, v22
	v_subrev_u32_e32 v22, 28, v25
	v_lshlrev_b64 v[22:23], v22, v[18:19]
	v_lshrrev_b32_e32 v24, 3, v21
	v_sub_u32_e32 v18, 29, v25
	v_and_b32_e32 v22, 7, v22
	v_cmp_gt_u32_e32 vcc, 8, v21
	v_cndmask_b32_e32 v18, v24, v18, vcc
	v_cndmask_b32_e32 v20, v20, v22, vcc
	v_lshlrev_b32_e32 v21, 16, v14
	v_bfrev_b32_e32 v22, 60
	v_lshlrev_b32_e32 v20, 20, v20
	v_and_b32_e32 v21, 0x80000000, v21
	v_lshl_add_u32 v18, v18, 23, v22
	v_or3_b32 v20, v21, v18, v20
.LBB559_411:
	s_or_b64 exec, exec, s[10:11]
.LBB559_412:
	s_or_b64 exec, exec, s[8:9]
.LBB559_413:
	s_or_b64 exec, exec, s[2:3]
	s_movk_i32 s2, 0xff
	v_and_b32_sdwa v21, v14, s2 dst_sel:DWORD dst_unused:UNUSED_PAD src0_sel:WORD_1 src1_sel:DWORD
	v_lshrrev_b32_e32 v18, 16, v14
	v_cmp_ne_u16_e32 vcc, 0, v21
	s_and_saveexec_b64 s[2:3], vcc
	s_cbranch_execz .LBB559_419
; %bb.414:
	s_movk_i32 s7, 0x80
	v_cmp_ne_u16_e32 vcc, s7, v21
	v_bfrev_b32_e32 v19, 1
	s_and_saveexec_b64 s[8:9], vcc
	s_cbranch_execz .LBB559_418
; %bb.415:
	v_bfe_u32 v21, v14, 16, 7
	s_movk_i32 s7, 0x7f
	v_cmp_ne_u32_e32 vcc, s7, v21
	v_mov_b32_e32 v19, 0x7f800001
	s_and_saveexec_b64 s[10:11], vcc
	s_cbranch_execz .LBB559_417
; %bb.416:
	v_and_b32_e32 v22, 7, v18
	v_ffbh_u32_e32 v19, v22
	v_min_u32_e32 v24, 32, v19
	v_subrev_u32_e32 v19, 28, v24
	v_lshlrev_b64 v[18:19], v19, v[18:19]
	v_lshrrev_b32_e32 v23, 3, v21
	v_sub_u32_e32 v19, 29, v24
	v_and_b32_e32 v18, 7, v18
	v_cmp_gt_u32_e32 vcc, 8, v21
	v_mov_b32_e32 v21, 24
	v_cndmask_b32_e32 v19, v23, v19, vcc
	v_cndmask_b32_e32 v18, v22, v18, vcc
	v_lshlrev_b32_sdwa v21, v21, v14 dst_sel:DWORD dst_unused:UNUSED_PAD src0_sel:DWORD src1_sel:WORD_1
	v_bfrev_b32_e32 v22, 60
	v_lshlrev_b32_e32 v18, 20, v18
	v_and_b32_e32 v21, 0x80000000, v21
	v_lshl_add_u32 v19, v19, 23, v22
	v_or3_b32 v19, v21, v19, v18
.LBB559_417:
	s_or_b64 exec, exec, s[10:11]
.LBB559_418:
	s_or_b64 exec, exec, s[8:9]
.LBB559_419:
	s_or_b64 exec, exec, s[2:3]
	s_mov_b32 s2, 0xffffff
	v_cmp_lt_u32_e32 vcc, s2, v14
	v_mov_b32_e32 v21, 0
	v_mov_b32_e32 v22, 0
	s_and_saveexec_b64 s[2:3], vcc
	s_cbranch_execz .LBB559_425
; %bb.420:
	v_lshrrev_b32_e32 v18, 24, v14
	s_movk_i32 s7, 0x80
	v_cmp_ne_u32_e32 vcc, s7, v18
	v_bfrev_b32_e32 v22, 1
	s_and_saveexec_b64 s[8:9], vcc
	s_cbranch_execz .LBB559_424
; %bb.421:
	v_bfe_u32 v14, v14, 24, 7
	s_movk_i32 s7, 0x7f
	v_cmp_ne_u32_e32 vcc, s7, v14
	v_mov_b32_e32 v22, 0x7f800001
	s_and_saveexec_b64 s[10:11], vcc
	s_cbranch_execz .LBB559_423
; %bb.422:
	v_and_b32_e32 v24, 7, v18
	v_ffbh_u32_e32 v22, v24
	v_min_u32_e32 v28, 32, v22
	v_subrev_u32_e32 v22, 28, v28
	v_lshlrev_b64 v[22:23], v22, v[18:19]
	v_lshrrev_b32_e32 v25, 3, v14
	v_sub_u32_e32 v23, 29, v28
	v_and_b32_e32 v22, 7, v22
	v_cmp_gt_u32_e32 vcc, 8, v14
	v_cndmask_b32_e32 v14, v25, v23, vcc
	v_cndmask_b32_e32 v22, v24, v22, vcc
	v_lshlrev_b32_e32 v18, 24, v18
	v_bfrev_b32_e32 v23, 60
	v_lshlrev_b32_e32 v22, 20, v22
	v_and_b32_e32 v18, 0x80000000, v18
	v_lshl_add_u32 v14, v14, 23, v23
	v_or3_b32 v22, v18, v14, v22
.LBB559_423:
	s_or_b64 exec, exec, s[10:11]
.LBB559_424:
	s_or_b64 exec, exec, s[8:9]
.LBB559_425:
	s_or_b64 exec, exec, s[2:3]
	v_cmp_ne_u16_sdwa s[8:9], v15, v21 src0_sel:BYTE_0 src1_sel:DWORD
	s_and_saveexec_b64 s[2:3], s[8:9]
	s_cbranch_execz .LBB559_431
; %bb.426:
	s_movk_i32 s7, 0x80
	v_cmp_ne_u16_sdwa s[10:11], v15, s7 src0_sel:BYTE_0 src1_sel:DWORD
	v_bfrev_b32_e32 v21, 1
	s_and_saveexec_b64 s[8:9], s[10:11]
	s_cbranch_execz .LBB559_430
; %bb.427:
	s_movk_i32 s7, 0x7f
	v_and_b32_e32 v14, 0x7f, v15
	v_cmp_ne_u32_e32 vcc, s7, v14
	v_mov_b32_e32 v21, 0x7f800001
	s_and_saveexec_b64 s[10:11], vcc
	s_cbranch_execz .LBB559_429
; %bb.428:
	v_and_b32_e32 v21, 7, v15
	v_ffbh_u32_e32 v24, v21
	v_min_u32_e32 v28, 32, v24
	v_mov_b32_e32 v18, v15
	v_subrev_u32_e32 v24, 28, v28
	v_lshlrev_b64 v[24:25], v24, v[18:19]
	v_lshrrev_b32_e32 v23, 3, v14
	v_sub_u32_e32 v18, 29, v28
	v_and_b32_e32 v24, 7, v24
	v_cmp_gt_u32_e32 vcc, 8, v14
	v_cndmask_b32_e32 v14, v23, v18, vcc
	v_cndmask_b32_e32 v18, v21, v24, vcc
	v_lshlrev_b32_e32 v21, 24, v15
	v_bfrev_b32_e32 v23, 60
	v_lshlrev_b32_e32 v18, 20, v18
	v_and_b32_e32 v21, 0x80000000, v21
	v_lshl_add_u32 v14, v14, 23, v23
	v_or3_b32 v21, v21, v14, v18
.LBB559_429:
	s_or_b64 exec, exec, s[10:11]
.LBB559_430:
	s_or_b64 exec, exec, s[8:9]
.LBB559_431:
	s_or_b64 exec, exec, s[2:3]
	v_lshrrev_b16_e32 v14, 8, v15
	v_cmp_ne_u16_e32 vcc, 0, v14
	v_mov_b32_e32 v18, 0
	v_mov_b32_e32 v24, 0
	s_and_saveexec_b64 s[2:3], vcc
	s_cbranch_execz .LBB559_437
; %bb.432:
	s_movk_i32 s7, 0x80
	v_cmp_ne_u16_e32 vcc, s7, v14
	v_bfrev_b32_e32 v24, 1
	s_and_saveexec_b64 s[8:9], vcc
	s_cbranch_execz .LBB559_436
; %bb.433:
	s_movk_i32 s7, 0x7f
	v_and_b32_e32 v23, 0x7f, v14
	v_cmp_ne_u32_e32 vcc, s7, v23
	v_mov_b32_e32 v24, 0x7f800001
	s_and_saveexec_b64 s[10:11], vcc
	s_cbranch_execz .LBB559_435
; %bb.434:
	v_and_b32_e32 v28, 7, v14
	v_ffbh_u32_e32 v24, v28
	v_min_u32_e32 v30, 32, v24
	v_subrev_u32_e32 v24, 28, v30
	v_lshlrev_b64 v[24:25], v24, v[14:15]
	v_lshrrev_b32_e32 v29, 3, v23
	v_sub_u32_e32 v14, 29, v30
	v_and_b32_e32 v24, 7, v24
	v_cmp_gt_u32_e32 vcc, 8, v23
	v_cndmask_b32_e32 v14, v29, v14, vcc
	v_cndmask_b32_e32 v23, v28, v24, vcc
	v_lshlrev_b32_e32 v24, 16, v15
	v_bfrev_b32_e32 v25, 60
	v_lshlrev_b32_e32 v23, 20, v23
	v_and_b32_e32 v24, 0x80000000, v24
	v_lshl_add_u32 v14, v14, 23, v25
	v_or3_b32 v24, v24, v14, v23
.LBB559_435:
	s_or_b64 exec, exec, s[10:11]
.LBB559_436:
	s_or_b64 exec, exec, s[8:9]
.LBB559_437:
	s_or_b64 exec, exec, s[2:3]
	s_movk_i32 s2, 0xff
	v_and_b32_sdwa v23, v15, s2 dst_sel:DWORD dst_unused:UNUSED_PAD src0_sel:WORD_1 src1_sel:DWORD
	v_lshrrev_b32_e32 v14, 16, v15
	v_cmp_ne_u16_e32 vcc, 0, v23
	s_and_saveexec_b64 s[2:3], vcc
	s_cbranch_execz .LBB559_443
; %bb.438:
	s_movk_i32 s7, 0x80
	v_cmp_ne_u16_e32 vcc, s7, v23
	v_bfrev_b32_e32 v18, 1
	s_and_saveexec_b64 s[8:9], vcc
	s_cbranch_execz .LBB559_442
; %bb.439:
	v_bfe_u32 v23, v15, 16, 7
	s_movk_i32 s7, 0x7f
	v_cmp_ne_u32_e32 vcc, s7, v23
	v_mov_b32_e32 v18, 0x7f800001
	s_and_saveexec_b64 s[10:11], vcc
	s_cbranch_execz .LBB559_441
; %bb.440:
	v_and_b32_e32 v18, 7, v14
	v_ffbh_u32_e32 v28, v18
	v_min_u32_e32 v30, 32, v28
	v_subrev_u32_e32 v28, 28, v30
	v_lshlrev_b64 v[28:29], v28, v[14:15]
	v_lshrrev_b32_e32 v25, 3, v23
	v_sub_u32_e32 v14, 29, v30
	v_and_b32_e32 v28, 7, v28
	v_cmp_gt_u32_e32 vcc, 8, v23
	v_mov_b32_e32 v23, 24
	v_cndmask_b32_e32 v14, v25, v14, vcc
	v_cndmask_b32_e32 v18, v18, v28, vcc
	v_lshlrev_b32_sdwa v23, v23, v15 dst_sel:DWORD dst_unused:UNUSED_PAD src0_sel:DWORD src1_sel:WORD_1
	v_bfrev_b32_e32 v25, 60
	v_lshlrev_b32_e32 v18, 20, v18
	v_and_b32_e32 v23, 0x80000000, v23
	v_lshl_add_u32 v14, v14, 23, v25
	v_or3_b32 v18, v23, v14, v18
.LBB559_441:
	s_or_b64 exec, exec, s[10:11]
.LBB559_442:
	s_or_b64 exec, exec, s[8:9]
.LBB559_443:
	s_or_b64 exec, exec, s[2:3]
	s_mov_b32 s2, 0xffffff
	v_cmp_lt_u32_e32 vcc, s2, v15
	v_mov_b32_e32 v23, 0
	v_mov_b32_e32 v25, 0
	s_and_saveexec_b64 s[2:3], vcc
	s_cbranch_execz .LBB559_449
; %bb.444:
	v_lshrrev_b32_e32 v14, 24, v15
	s_movk_i32 s7, 0x80
	v_cmp_ne_u32_e32 vcc, s7, v14
	v_bfrev_b32_e32 v25, 1
	s_and_saveexec_b64 s[8:9], vcc
	s_cbranch_execz .LBB559_448
; %bb.445:
	v_bfe_u32 v15, v15, 24, 7
	s_movk_i32 s7, 0x7f
	v_cmp_ne_u32_e32 vcc, s7, v15
	v_mov_b32_e32 v25, 0x7f800001
	s_and_saveexec_b64 s[10:11], vcc
	s_cbranch_execz .LBB559_447
; %bb.446:
	v_and_b32_e32 v25, 7, v14
	v_ffbh_u32_e32 v28, v25
	v_min_u32_e32 v31, 32, v28
	v_subrev_u32_e32 v28, 28, v31
	v_lshlrev_b64 v[28:29], v28, v[14:15]
	v_lshrrev_b32_e32 v30, 3, v15
	v_sub_u32_e32 v29, 29, v31
	v_and_b32_e32 v28, 7, v28
	v_cmp_gt_u32_e32 vcc, 8, v15
	v_cndmask_b32_e32 v15, v30, v29, vcc
	v_cndmask_b32_e32 v25, v25, v28, vcc
	v_lshlrev_b32_e32 v14, 24, v14
	v_bfrev_b32_e32 v28, 60
	v_lshlrev_b32_e32 v25, 20, v25
	v_and_b32_e32 v14, 0x80000000, v14
	v_lshl_add_u32 v15, v15, 23, v28
	v_or3_b32 v25, v14, v15, v25
.LBB559_447:
	s_or_b64 exec, exec, s[10:11]
.LBB559_448:
	s_or_b64 exec, exec, s[8:9]
.LBB559_449:
	s_or_b64 exec, exec, s[2:3]
	v_cvt_pkrtz_f16_f32 v15, v19, v22
	v_lshl_or_b32 v22, v1, 9, v27
	v_cvt_pkrtz_f16_f32 v14, v32, v20
	ds_read_b128 v[28:31], v22
	v_cmp_ne_u16_sdwa s[8:9], v16, v23 src0_sel:BYTE_0 src1_sel:DWORD
	s_waitcnt lgkmcnt(0)
	v_mfma_f32_16x16x16f16 v[32:35], v[14:15], v[28:29], 0
	v_cvt_pkrtz_f16_f32 v14, v21, v24
	v_cvt_pkrtz_f16_f32 v15, v18, v25
	s_nop 1
	v_mfma_f32_16x16x16f16 v[18:21], v[14:15], v[30:31], v[32:35]
	s_and_saveexec_b64 s[2:3], s[8:9]
	s_cbranch_execz .LBB559_455
; %bb.450:
	s_movk_i32 s7, 0x80
	v_cmp_ne_u16_sdwa s[10:11], v16, s7 src0_sel:BYTE_0 src1_sel:DWORD
	v_bfrev_b32_e32 v23, 1
	s_and_saveexec_b64 s[8:9], s[10:11]
	s_cbranch_execz .LBB559_454
; %bb.451:
	s_movk_i32 s7, 0x7f
	v_and_b32_e32 v14, 0x7f, v16
	v_cmp_ne_u32_e32 vcc, s7, v14
	v_mov_b32_e32 v23, 0x7f800001
	s_and_saveexec_b64 s[10:11], vcc
	s_cbranch_execz .LBB559_453
; %bb.452:
	v_and_b32_e32 v15, 7, v16
	v_ffbh_u32_e32 v24, v15
	v_min_u32_e32 v27, 32, v24
	v_subrev_u32_e32 v24, 28, v27
	v_lshlrev_b64 v[24:25], v24, v[16:17]
	v_lshrrev_b32_e32 v23, 3, v14
	v_sub_u32_e32 v25, 29, v27
	v_and_b32_e32 v24, 7, v24
	v_cmp_gt_u32_e32 vcc, 8, v14
	v_cndmask_b32_e32 v14, v23, v25, vcc
	v_cndmask_b32_e32 v15, v15, v24, vcc
	v_lshlrev_b32_e32 v23, 24, v16
	v_bfrev_b32_e32 v24, 60
	v_lshlrev_b32_e32 v15, 20, v15
	v_and_b32_e32 v23, 0x80000000, v23
	v_lshl_add_u32 v14, v14, 23, v24
	v_or3_b32 v23, v23, v14, v15
.LBB559_453:
	s_or_b64 exec, exec, s[10:11]
.LBB559_454:
	s_or_b64 exec, exec, s[8:9]
.LBB559_455:
	s_or_b64 exec, exec, s[2:3]
	v_lshrrev_b16_e32 v14, 8, v16
	v_cmp_ne_u16_e32 vcc, 0, v14
	v_mov_b32_e32 v15, 0
	v_mov_b32_e32 v25, 0
	s_and_saveexec_b64 s[2:3], vcc
	s_cbranch_execz .LBB559_461
; %bb.456:
	s_movk_i32 s7, 0x80
	v_cmp_ne_u16_e32 vcc, s7, v14
	v_bfrev_b32_e32 v25, 1
	s_and_saveexec_b64 s[8:9], vcc
	s_cbranch_execz .LBB559_460
; %bb.457:
	s_movk_i32 s7, 0x7f
	v_and_b32_e32 v24, 0x7f, v14
	v_cmp_ne_u32_e32 vcc, s7, v24
	v_mov_b32_e32 v25, 0x7f800001
	s_and_saveexec_b64 s[10:11], vcc
	s_cbranch_execz .LBB559_459
; %bb.458:
	v_and_b32_e32 v25, 7, v14
	v_ffbh_u32_e32 v28, v25
	v_min_u32_e32 v30, 32, v28
	v_subrev_u32_e32 v28, 28, v30
	v_lshlrev_b64 v[28:29], v28, v[14:15]
	v_lshrrev_b32_e32 v27, 3, v24
	v_sub_u32_e32 v14, 29, v30
	v_and_b32_e32 v28, 7, v28
	v_cmp_gt_u32_e32 vcc, 8, v24
	v_cndmask_b32_e32 v14, v27, v14, vcc
	v_cndmask_b32_e32 v24, v25, v28, vcc
	v_lshlrev_b32_e32 v25, 16, v16
	v_bfrev_b32_e32 v27, 60
	v_lshlrev_b32_e32 v24, 20, v24
	v_and_b32_e32 v25, 0x80000000, v25
	v_lshl_add_u32 v14, v14, 23, v27
	v_or3_b32 v25, v25, v14, v24
.LBB559_459:
	s_or_b64 exec, exec, s[10:11]
.LBB559_460:
	s_or_b64 exec, exec, s[8:9]
.LBB559_461:
	s_or_b64 exec, exec, s[2:3]
	s_movk_i32 s2, 0xff
	v_and_b32_sdwa v24, v16, s2 dst_sel:DWORD dst_unused:UNUSED_PAD src0_sel:WORD_1 src1_sel:DWORD
	v_lshrrev_b32_e32 v14, 16, v16
	v_cmp_ne_u16_e32 vcc, 0, v24
	s_and_saveexec_b64 s[2:3], vcc
	s_cbranch_execz .LBB559_467
; %bb.462:
	s_movk_i32 s7, 0x80
	v_cmp_ne_u16_e32 vcc, s7, v24
	v_bfrev_b32_e32 v15, 1
	s_and_saveexec_b64 s[8:9], vcc
	s_cbranch_execz .LBB559_466
; %bb.463:
	v_bfe_u32 v24, v16, 16, 7
	s_movk_i32 s7, 0x7f
	v_cmp_ne_u32_e32 vcc, s7, v24
	v_mov_b32_e32 v15, 0x7f800001
	s_and_saveexec_b64 s[10:11], vcc
	s_cbranch_execz .LBB559_465
; %bb.464:
	v_and_b32_e32 v27, 7, v14
	v_ffbh_u32_e32 v15, v27
	v_min_u32_e32 v29, 32, v15
	v_subrev_u32_e32 v15, 28, v29
	v_lshlrev_b64 v[14:15], v15, v[14:15]
	v_lshrrev_b32_e32 v28, 3, v24
	v_sub_u32_e32 v15, 29, v29
	v_and_b32_e32 v14, 7, v14
	v_cmp_gt_u32_e32 vcc, 8, v24
	v_mov_b32_e32 v24, 24
	v_cndmask_b32_e32 v15, v28, v15, vcc
	v_cndmask_b32_e32 v14, v27, v14, vcc
	v_lshlrev_b32_sdwa v24, v24, v16 dst_sel:DWORD dst_unused:UNUSED_PAD src0_sel:DWORD src1_sel:WORD_1
	v_bfrev_b32_e32 v27, 60
	v_lshlrev_b32_e32 v14, 20, v14
	v_and_b32_e32 v24, 0x80000000, v24
	v_lshl_add_u32 v15, v15, 23, v27
	v_or3_b32 v15, v24, v15, v14
.LBB559_465:
	s_or_b64 exec, exec, s[10:11]
.LBB559_466:
	s_or_b64 exec, exec, s[8:9]
.LBB559_467:
	s_or_b64 exec, exec, s[2:3]
	s_mov_b32 s2, 0xffffff
	v_cmp_lt_u32_e32 vcc, s2, v16
	v_mov_b32_e32 v27, 0
	v_mov_b32_e32 v28, 0
	s_and_saveexec_b64 s[2:3], vcc
	s_cbranch_execz .LBB559_473
; %bb.468:
	v_lshrrev_b32_e32 v14, 24, v16
	s_movk_i32 s7, 0x80
	v_cmp_ne_u32_e32 vcc, s7, v14
	v_bfrev_b32_e32 v28, 1
	s_and_saveexec_b64 s[8:9], vcc
	s_cbranch_execz .LBB559_472
; %bb.469:
	v_bfe_u32 v16, v16, 24, 7
	s_movk_i32 s7, 0x7f
	v_cmp_ne_u32_e32 vcc, s7, v16
	v_mov_b32_e32 v28, 0x7f800001
	s_and_saveexec_b64 s[10:11], vcc
	s_cbranch_execz .LBB559_471
; %bb.470:
	v_and_b32_e32 v24, 7, v14
	v_ffbh_u32_e32 v28, v24
	v_min_u32_e32 v31, 32, v28
	v_subrev_u32_e32 v28, 28, v31
	v_lshlrev_b64 v[28:29], v28, v[14:15]
	v_lshrrev_b32_e32 v30, 3, v16
	v_sub_u32_e32 v29, 29, v31
	v_and_b32_e32 v28, 7, v28
	v_cmp_gt_u32_e32 vcc, 8, v16
	v_cndmask_b32_e32 v16, v30, v29, vcc
	v_cndmask_b32_e32 v24, v24, v28, vcc
	v_lshlrev_b32_e32 v14, 24, v14
	v_bfrev_b32_e32 v28, 60
	v_lshlrev_b32_e32 v24, 20, v24
	v_and_b32_e32 v14, 0x80000000, v14
	v_lshl_add_u32 v16, v16, 23, v28
	v_or3_b32 v28, v14, v16, v24
.LBB559_471:
	s_or_b64 exec, exec, s[10:11]
.LBB559_472:
	s_or_b64 exec, exec, s[8:9]
.LBB559_473:
	s_or_b64 exec, exec, s[2:3]
	v_cmp_ne_u16_sdwa s[8:9], v17, v27 src0_sel:BYTE_0 src1_sel:DWORD
	s_and_saveexec_b64 s[2:3], s[8:9]
	s_cbranch_execz .LBB559_479
; %bb.474:
	s_movk_i32 s7, 0x80
	v_cmp_ne_u16_sdwa s[10:11], v17, s7 src0_sel:BYTE_0 src1_sel:DWORD
	v_bfrev_b32_e32 v27, 1
	s_and_saveexec_b64 s[8:9], s[10:11]
	s_cbranch_execz .LBB559_478
; %bb.475:
	s_movk_i32 s7, 0x7f
	v_and_b32_e32 v14, 0x7f, v17
	v_cmp_ne_u32_e32 vcc, s7, v14
	v_mov_b32_e32 v27, 0x7f800001
	s_and_saveexec_b64 s[10:11], vcc
	s_cbranch_execz .LBB559_477
; %bb.476:
	v_and_b32_e32 v24, 7, v17
	v_ffbh_u32_e32 v29, v24
	v_min_u32_e32 v29, 32, v29
	v_mov_b32_e32 v16, v17
	v_subrev_u32_e32 v30, 28, v29
	v_lshlrev_b64 v[30:31], v30, v[16:17]
	v_lshrrev_b32_e32 v27, 3, v14
	v_sub_u32_e32 v16, 29, v29
	v_and_b32_e32 v29, 7, v30
	v_cmp_gt_u32_e32 vcc, 8, v14
	v_cndmask_b32_e32 v14, v27, v16, vcc
	v_cndmask_b32_e32 v16, v24, v29, vcc
	v_lshlrev_b32_e32 v24, 24, v17
	v_bfrev_b32_e32 v27, 60
	v_lshlrev_b32_e32 v16, 20, v16
	v_and_b32_e32 v24, 0x80000000, v24
	v_lshl_add_u32 v14, v14, 23, v27
	v_or3_b32 v27, v24, v14, v16
.LBB559_477:
	s_or_b64 exec, exec, s[10:11]
.LBB559_478:
	s_or_b64 exec, exec, s[8:9]
.LBB559_479:
	s_or_b64 exec, exec, s[2:3]
	v_lshrrev_b16_e32 v14, 8, v17
	v_cmp_ne_u16_e32 vcc, 0, v14
	v_mov_b32_e32 v16, 0
	v_mov_b32_e32 v29, 0
	s_and_saveexec_b64 s[2:3], vcc
	s_cbranch_execz .LBB559_485
; %bb.480:
	s_movk_i32 s7, 0x80
	v_cmp_ne_u16_e32 vcc, s7, v14
	v_bfrev_b32_e32 v29, 1
	s_and_saveexec_b64 s[8:9], vcc
	s_cbranch_execz .LBB559_484
; %bb.481:
	s_movk_i32 s7, 0x7f
	v_and_b32_e32 v24, 0x7f, v14
	v_cmp_ne_u32_e32 vcc, s7, v24
	v_mov_b32_e32 v29, 0x7f800001
	s_and_saveexec_b64 s[10:11], vcc
	s_cbranch_execz .LBB559_483
; %bb.482:
	v_and_b32_e32 v29, 7, v14
	v_ffbh_u32_e32 v30, v29
	v_min_u32_e32 v33, 32, v30
	v_subrev_u32_e32 v30, 28, v33
	v_lshlrev_b64 v[30:31], v30, v[14:15]
	v_lshrrev_b32_e32 v32, 3, v24
	v_sub_u32_e32 v14, 29, v33
	v_and_b32_e32 v30, 7, v30
	v_cmp_gt_u32_e32 vcc, 8, v24
	v_cndmask_b32_e32 v14, v32, v14, vcc
	v_cndmask_b32_e32 v24, v29, v30, vcc
	v_lshlrev_b32_e32 v29, 16, v17
	v_bfrev_b32_e32 v30, 60
	v_lshlrev_b32_e32 v24, 20, v24
	v_and_b32_e32 v29, 0x80000000, v29
	v_lshl_add_u32 v14, v14, 23, v30
	v_or3_b32 v29, v29, v14, v24
.LBB559_483:
	s_or_b64 exec, exec, s[10:11]
.LBB559_484:
	s_or_b64 exec, exec, s[8:9]
.LBB559_485:
	s_or_b64 exec, exec, s[2:3]
	s_movk_i32 s2, 0xff
	v_and_b32_sdwa v24, v17, s2 dst_sel:DWORD dst_unused:UNUSED_PAD src0_sel:WORD_1 src1_sel:DWORD
	v_lshrrev_b32_e32 v14, 16, v17
	v_cmp_ne_u16_e32 vcc, 0, v24
	s_and_saveexec_b64 s[2:3], vcc
	s_cbranch_execz .LBB559_491
; %bb.486:
	s_movk_i32 s7, 0x80
	v_cmp_ne_u16_e32 vcc, s7, v24
	v_bfrev_b32_e32 v16, 1
	s_and_saveexec_b64 s[8:9], vcc
	s_cbranch_execz .LBB559_490
; %bb.487:
	v_bfe_u32 v24, v17, 16, 7
	s_movk_i32 s7, 0x7f
	v_cmp_ne_u32_e32 vcc, s7, v24
	v_mov_b32_e32 v16, 0x7f800001
	s_and_saveexec_b64 s[10:11], vcc
	s_cbranch_execz .LBB559_489
; %bb.488:
	v_and_b32_e32 v16, 7, v14
	v_ffbh_u32_e32 v30, v16
	v_min_u32_e32 v33, 32, v30
	v_subrev_u32_e32 v30, 28, v33
	v_lshlrev_b64 v[30:31], v30, v[14:15]
	v_lshrrev_b32_e32 v32, 3, v24
	v_sub_u32_e32 v14, 29, v33
	v_and_b32_e32 v30, 7, v30
	v_cmp_gt_u32_e32 vcc, 8, v24
	v_mov_b32_e32 v24, 24
	v_cndmask_b32_e32 v14, v32, v14, vcc
	v_cndmask_b32_e32 v16, v16, v30, vcc
	v_lshlrev_b32_sdwa v24, v24, v17 dst_sel:DWORD dst_unused:UNUSED_PAD src0_sel:DWORD src1_sel:WORD_1
	v_bfrev_b32_e32 v30, 60
	v_lshlrev_b32_e32 v16, 20, v16
	v_and_b32_e32 v24, 0x80000000, v24
	v_lshl_add_u32 v14, v14, 23, v30
	v_or3_b32 v16, v24, v14, v16
.LBB559_489:
	s_or_b64 exec, exec, s[10:11]
.LBB559_490:
	s_or_b64 exec, exec, s[8:9]
.LBB559_491:
	s_or_b64 exec, exec, s[2:3]
	s_mov_b32 s2, 0xffffff
	v_cmp_lt_u32_e32 vcc, s2, v17
	v_mov_b32_e32 v24, 0
	v_mov_b32_e32 v30, 0
	s_and_saveexec_b64 s[2:3], vcc
	s_cbranch_execz .LBB559_497
; %bb.492:
	v_lshrrev_b32_e32 v14, 24, v17
	s_movk_i32 s7, 0x80
	v_cmp_ne_u32_e32 vcc, s7, v14
	v_bfrev_b32_e32 v30, 1
	s_and_saveexec_b64 s[8:9], vcc
	s_cbranch_execz .LBB559_496
; %bb.493:
	v_bfe_u32 v17, v17, 24, 7
	s_movk_i32 s7, 0x7f
	v_cmp_ne_u32_e32 vcc, s7, v17
	v_mov_b32_e32 v30, 0x7f800001
	s_and_saveexec_b64 s[10:11], vcc
	s_cbranch_execz .LBB559_495
; %bb.494:
	v_and_b32_e32 v32, 7, v14
	v_ffbh_u32_e32 v30, v32
	v_min_u32_e32 v34, 32, v30
	v_subrev_u32_e32 v30, 28, v34
	v_lshlrev_b64 v[30:31], v30, v[14:15]
	v_lshrrev_b32_e32 v33, 3, v17
	v_sub_u32_e32 v31, 29, v34
	v_and_b32_e32 v30, 7, v30
	v_cmp_gt_u32_e32 vcc, 8, v17
	v_cndmask_b32_e32 v17, v33, v31, vcc
	v_cndmask_b32_e32 v30, v32, v30, vcc
	v_lshlrev_b32_e32 v14, 24, v14
	v_bfrev_b32_e32 v31, 60
	v_lshlrev_b32_e32 v30, 20, v30
	v_and_b32_e32 v14, 0x80000000, v14
	v_lshl_add_u32 v17, v17, 23, v31
	v_or3_b32 v30, v14, v17, v30
.LBB559_495:
	s_or_b64 exec, exec, s[10:11]
.LBB559_496:
	s_or_b64 exec, exec, s[8:9]
.LBB559_497:
	s_or_b64 exec, exec, s[2:3]
	v_cvt_pkrtz_f16_f32 v14, v23, v25
	v_cvt_pkrtz_f16_f32 v15, v15, v28
	ds_read_b128 v[32:35], v22 offset:16
	s_waitcnt vmcnt(2)
	v_cmp_ne_u16_sdwa s[8:9], v10, v24 src0_sel:BYTE_0 src1_sel:DWORD
	s_waitcnt lgkmcnt(0)
	v_mfma_f32_16x16x16f16 v[18:21], v[14:15], v[32:33], v[18:21]
	v_cvt_pkrtz_f16_f32 v14, v27, v29
	v_cvt_pkrtz_f16_f32 v15, v16, v30
	s_nop 1
	v_mfma_f32_16x16x16f16 v[14:17], v[14:15], v[34:35], v[18:21]
	s_and_saveexec_b64 s[2:3], s[8:9]
	s_cbranch_execz .LBB559_503
; %bb.498:
	s_movk_i32 s7, 0x80
	v_cmp_ne_u16_sdwa s[10:11], v10, s7 src0_sel:BYTE_0 src1_sel:DWORD
	v_bfrev_b32_e32 v24, 1
	s_and_saveexec_b64 s[8:9], s[10:11]
	s_cbranch_execz .LBB559_502
; %bb.499:
	s_movk_i32 s7, 0x7f
	v_and_b32_e32 v18, 0x7f, v10
	v_cmp_ne_u32_e32 vcc, s7, v18
	v_mov_b32_e32 v24, 0x7f800001
	s_and_saveexec_b64 s[10:11], vcc
	s_cbranch_execz .LBB559_501
; %bb.500:
	v_and_b32_e32 v19, 7, v10
	v_ffbh_u32_e32 v20, v19
	v_min_u32_e32 v24, 32, v20
	v_subrev_u32_e32 v20, 28, v24
	v_lshlrev_b64 v[20:21], v20, v[10:11]
	v_lshrrev_b32_e32 v23, 3, v18
	v_sub_u32_e32 v21, 29, v24
	v_and_b32_e32 v20, 7, v20
	v_cmp_gt_u32_e32 vcc, 8, v18
	v_cndmask_b32_e32 v18, v23, v21, vcc
	v_cndmask_b32_e32 v19, v19, v20, vcc
	v_lshlrev_b32_e32 v20, 24, v10
	v_bfrev_b32_e32 v21, 60
	v_lshlrev_b32_e32 v19, 20, v19
	v_and_b32_e32 v20, 0x80000000, v20
	v_lshl_add_u32 v18, v18, 23, v21
	v_or3_b32 v24, v20, v18, v19
.LBB559_501:
	s_or_b64 exec, exec, s[10:11]
.LBB559_502:
	s_or_b64 exec, exec, s[8:9]
.LBB559_503:
	s_or_b64 exec, exec, s[2:3]
	s_nop 3
	v_lshrrev_b16_e32 v18, 8, v10
	v_cmp_ne_u16_e32 vcc, 0, v18
	v_mov_b32_e32 v19, 0
	v_mov_b32_e32 v20, 0
	s_and_saveexec_b64 s[2:3], vcc
	s_cbranch_execz .LBB559_509
; %bb.504:
	s_movk_i32 s7, 0x80
	v_cmp_ne_u16_e32 vcc, s7, v18
	v_bfrev_b32_e32 v20, 1
	s_and_saveexec_b64 s[8:9], vcc
	s_cbranch_execz .LBB559_508
; %bb.505:
	s_movk_i32 s7, 0x7f
	v_and_b32_e32 v21, 0x7f, v18
	v_cmp_ne_u32_e32 vcc, s7, v21
	v_mov_b32_e32 v20, 0x7f800001
	s_and_saveexec_b64 s[10:11], vcc
	s_cbranch_execz .LBB559_507
; %bb.506:
	v_and_b32_e32 v20, 7, v18
	v_ffbh_u32_e32 v25, v20
	v_min_u32_e32 v25, 32, v25
	v_subrev_u32_e32 v27, 28, v25
	v_lshlrev_b64 v[28:29], v27, v[18:19]
	v_lshrrev_b32_e32 v23, 3, v21
	v_sub_u32_e32 v18, 29, v25
	v_and_b32_e32 v25, 7, v28
	v_cmp_gt_u32_e32 vcc, 8, v21
	v_cndmask_b32_e32 v18, v23, v18, vcc
	v_cndmask_b32_e32 v20, v20, v25, vcc
	v_lshlrev_b32_e32 v21, 16, v10
	v_bfrev_b32_e32 v23, 60
	v_lshlrev_b32_e32 v20, 20, v20
	v_and_b32_e32 v21, 0x80000000, v21
	v_lshl_add_u32 v18, v18, 23, v23
	v_or3_b32 v20, v21, v18, v20
.LBB559_507:
	s_or_b64 exec, exec, s[10:11]
.LBB559_508:
	s_or_b64 exec, exec, s[8:9]
.LBB559_509:
	s_or_b64 exec, exec, s[2:3]
	s_movk_i32 s2, 0xff
	v_and_b32_sdwa v21, v10, s2 dst_sel:DWORD dst_unused:UNUSED_PAD src0_sel:WORD_1 src1_sel:DWORD
	v_lshrrev_b32_e32 v18, 16, v10
	v_cmp_ne_u16_e32 vcc, 0, v21
	s_and_saveexec_b64 s[2:3], vcc
	s_cbranch_execz .LBB559_515
; %bb.510:
	s_movk_i32 s7, 0x80
	v_cmp_ne_u16_e32 vcc, s7, v21
	v_bfrev_b32_e32 v19, 1
	s_and_saveexec_b64 s[8:9], vcc
	s_cbranch_execz .LBB559_514
; %bb.511:
	v_bfe_u32 v21, v10, 16, 7
	s_movk_i32 s7, 0x7f
	v_cmp_ne_u32_e32 vcc, s7, v21
	v_mov_b32_e32 v19, 0x7f800001
	s_and_saveexec_b64 s[10:11], vcc
	s_cbranch_execz .LBB559_513
; %bb.512:
	v_and_b32_e32 v23, 7, v18
	v_ffbh_u32_e32 v19, v23
	v_min_u32_e32 v27, 32, v19
	v_subrev_u32_e32 v19, 28, v27
	v_lshlrev_b64 v[18:19], v19, v[18:19]
	v_lshrrev_b32_e32 v25, 3, v21
	v_sub_u32_e32 v19, 29, v27
	v_and_b32_e32 v18, 7, v18
	v_cmp_gt_u32_e32 vcc, 8, v21
	v_mov_b32_e32 v21, 24
	v_cndmask_b32_e32 v19, v25, v19, vcc
	v_cndmask_b32_e32 v18, v23, v18, vcc
	v_lshlrev_b32_sdwa v21, v21, v10 dst_sel:DWORD dst_unused:UNUSED_PAD src0_sel:DWORD src1_sel:WORD_1
	v_bfrev_b32_e32 v23, 60
	v_lshlrev_b32_e32 v18, 20, v18
	v_and_b32_e32 v21, 0x80000000, v21
	v_lshl_add_u32 v19, v19, 23, v23
	v_or3_b32 v19, v21, v19, v18
.LBB559_513:
	s_or_b64 exec, exec, s[10:11]
.LBB559_514:
	s_or_b64 exec, exec, s[8:9]
.LBB559_515:
	s_or_b64 exec, exec, s[2:3]
	s_mov_b32 s2, 0xffffff
	v_cmp_lt_u32_e32 vcc, s2, v10
	v_mov_b32_e32 v21, 0
	v_mov_b32_e32 v23, 0
	s_and_saveexec_b64 s[2:3], vcc
	s_cbranch_execz .LBB559_521
; %bb.516:
	v_lshrrev_b32_e32 v18, 24, v10
	s_movk_i32 s7, 0x80
	v_cmp_ne_u32_e32 vcc, s7, v18
	v_bfrev_b32_e32 v23, 1
	s_and_saveexec_b64 s[8:9], vcc
	s_cbranch_execz .LBB559_520
; %bb.517:
	v_bfe_u32 v10, v10, 24, 7
	s_movk_i32 s7, 0x7f
	v_cmp_ne_u32_e32 vcc, s7, v10
	v_mov_b32_e32 v23, 0x7f800001
	s_and_saveexec_b64 s[10:11], vcc
	s_cbranch_execz .LBB559_519
; %bb.518:
	v_and_b32_e32 v23, 7, v18
	v_ffbh_u32_e32 v27, v23
	v_min_u32_e32 v27, 32, v27
	v_subrev_u32_e32 v28, 28, v27
	v_lshlrev_b64 v[28:29], v28, v[18:19]
	v_lshrrev_b32_e32 v25, 3, v10
	v_sub_u32_e32 v27, 29, v27
	v_and_b32_e32 v28, 7, v28
	v_cmp_gt_u32_e32 vcc, 8, v10
	v_cndmask_b32_e32 v10, v25, v27, vcc
	v_cndmask_b32_e32 v23, v23, v28, vcc
	v_lshlrev_b32_e32 v18, 24, v18
	v_bfrev_b32_e32 v25, 60
	v_lshlrev_b32_e32 v23, 20, v23
	v_and_b32_e32 v18, 0x80000000, v18
	v_lshl_add_u32 v10, v10, 23, v25
	v_or3_b32 v23, v18, v10, v23
.LBB559_519:
	s_or_b64 exec, exec, s[10:11]
.LBB559_520:
	s_or_b64 exec, exec, s[8:9]
.LBB559_521:
	s_or_b64 exec, exec, s[2:3]
	v_cmp_ne_u16_sdwa s[8:9], v11, v21 src0_sel:BYTE_0 src1_sel:DWORD
	s_and_saveexec_b64 s[2:3], s[8:9]
	s_cbranch_execz .LBB559_527
; %bb.522:
	s_movk_i32 s7, 0x80
	v_cmp_ne_u16_sdwa s[10:11], v11, s7 src0_sel:BYTE_0 src1_sel:DWORD
	v_bfrev_b32_e32 v21, 1
	s_and_saveexec_b64 s[8:9], s[10:11]
	s_cbranch_execz .LBB559_526
; %bb.523:
	s_movk_i32 s7, 0x7f
	v_and_b32_e32 v10, 0x7f, v11
	v_cmp_ne_u32_e32 vcc, s7, v10
	v_mov_b32_e32 v21, 0x7f800001
	s_and_saveexec_b64 s[10:11], vcc
	s_cbranch_execz .LBB559_525
; %bb.524:
	v_and_b32_e32 v21, 7, v11
	v_ffbh_u32_e32 v27, v21
	v_min_u32_e32 v27, 32, v27
	v_mov_b32_e32 v18, v11
	v_subrev_u32_e32 v28, 28, v27
	v_lshlrev_b64 v[28:29], v28, v[18:19]
	v_lshrrev_b32_e32 v25, 3, v10
	v_sub_u32_e32 v18, 29, v27
	v_and_b32_e32 v27, 7, v28
	v_cmp_gt_u32_e32 vcc, 8, v10
	v_cndmask_b32_e32 v10, v25, v18, vcc
	v_cndmask_b32_e32 v18, v21, v27, vcc
	v_lshlrev_b32_e32 v21, 24, v11
	v_bfrev_b32_e32 v25, 60
	v_lshlrev_b32_e32 v18, 20, v18
	v_and_b32_e32 v21, 0x80000000, v21
	v_lshl_add_u32 v10, v10, 23, v25
	v_or3_b32 v21, v21, v10, v18
.LBB559_525:
	s_or_b64 exec, exec, s[10:11]
.LBB559_526:
	s_or_b64 exec, exec, s[8:9]
.LBB559_527:
	s_or_b64 exec, exec, s[2:3]
	v_lshrrev_b16_e32 v10, 8, v11
	v_cmp_ne_u16_e32 vcc, 0, v10
	v_mov_b32_e32 v25, 0
	v_mov_b32_e32 v27, 0
	s_and_saveexec_b64 s[2:3], vcc
	s_cbranch_execz .LBB559_533
; %bb.528:
	s_movk_i32 s7, 0x80
	v_cmp_ne_u16_e32 vcc, s7, v10
	v_bfrev_b32_e32 v27, 1
	s_and_saveexec_b64 s[8:9], vcc
	s_cbranch_execz .LBB559_532
; %bb.529:
	s_movk_i32 s7, 0x7f
	v_and_b32_e32 v18, 0x7f, v10
	v_cmp_ne_u32_e32 vcc, s7, v18
	v_mov_b32_e32 v27, 0x7f800001
	s_and_saveexec_b64 s[10:11], vcc
	s_cbranch_execz .LBB559_531
; %bb.530:
	v_and_b32_e32 v27, 7, v10
	v_ffbh_u32_e32 v28, v27
	v_min_u32_e32 v31, 32, v28
	v_subrev_u32_e32 v28, 28, v31
	v_lshlrev_b64 v[28:29], v28, v[10:11]
	v_lshrrev_b32_e32 v30, 3, v18
	v_sub_u32_e32 v10, 29, v31
	v_and_b32_e32 v28, 7, v28
	v_cmp_gt_u32_e32 vcc, 8, v18
	v_cndmask_b32_e32 v10, v30, v10, vcc
	v_cndmask_b32_e32 v18, v27, v28, vcc
	v_lshlrev_b32_e32 v27, 16, v11
	v_bfrev_b32_e32 v28, 60
	v_lshlrev_b32_e32 v18, 20, v18
	v_and_b32_e32 v27, 0x80000000, v27
	v_lshl_add_u32 v10, v10, 23, v28
	v_or3_b32 v27, v27, v10, v18
.LBB559_531:
	s_or_b64 exec, exec, s[10:11]
.LBB559_532:
	s_or_b64 exec, exec, s[8:9]
.LBB559_533:
	s_or_b64 exec, exec, s[2:3]
	s_movk_i32 s2, 0xff
	v_and_b32_sdwa v18, v11, s2 dst_sel:DWORD dst_unused:UNUSED_PAD src0_sel:WORD_1 src1_sel:DWORD
	v_lshrrev_b32_e32 v10, 16, v11
	v_cmp_ne_u16_e32 vcc, 0, v18
	s_and_saveexec_b64 s[2:3], vcc
	s_cbranch_execz .LBB559_539
; %bb.534:
	s_movk_i32 s7, 0x80
	v_cmp_ne_u16_e32 vcc, s7, v18
	v_bfrev_b32_e32 v25, 1
	s_and_saveexec_b64 s[8:9], vcc
	s_cbranch_execz .LBB559_538
; %bb.535:
	v_bfe_u32 v18, v11, 16, 7
	s_movk_i32 s7, 0x7f
	v_cmp_ne_u32_e32 vcc, s7, v18
	v_mov_b32_e32 v25, 0x7f800001
	s_and_saveexec_b64 s[10:11], vcc
	s_cbranch_execz .LBB559_537
; %bb.536:
	v_and_b32_e32 v25, 7, v10
	v_ffbh_u32_e32 v28, v25
	v_min_u32_e32 v31, 32, v28
	v_subrev_u32_e32 v28, 28, v31
	v_lshlrev_b64 v[28:29], v28, v[10:11]
	v_and_b32_e32 v28, 7, v28
	v_cmp_gt_u32_e32 vcc, 8, v18
	v_lshrrev_b32_e32 v30, 3, v18
	v_sub_u32_e32 v10, 29, v31
	v_cndmask_b32_e32 v18, v25, v28, vcc
	v_mov_b32_e32 v25, 24
	v_cndmask_b32_e32 v10, v30, v10, vcc
	v_lshlrev_b32_sdwa v25, v25, v11 dst_sel:DWORD dst_unused:UNUSED_PAD src0_sel:DWORD src1_sel:WORD_1
	v_bfrev_b32_e32 v28, 60
	v_lshlrev_b32_e32 v18, 20, v18
	v_and_b32_e32 v25, 0x80000000, v25
	v_lshl_add_u32 v10, v10, 23, v28
	v_or3_b32 v25, v25, v10, v18
.LBB559_537:
	s_or_b64 exec, exec, s[10:11]
.LBB559_538:
	s_or_b64 exec, exec, s[8:9]
.LBB559_539:
	s_or_b64 exec, exec, s[2:3]
	s_mov_b32 s2, 0xffffff
	v_cmp_lt_u32_e32 vcc, s2, v11
	v_mov_b32_e32 v18, 0
	v_mov_b32_e32 v28, 0
	s_and_saveexec_b64 s[2:3], vcc
	s_cbranch_execz .LBB559_545
; %bb.540:
	v_lshrrev_b32_e32 v10, 24, v11
	s_movk_i32 s7, 0x80
	v_cmp_ne_u32_e32 vcc, s7, v10
	v_bfrev_b32_e32 v28, 1
	s_and_saveexec_b64 s[8:9], vcc
	s_cbranch_execz .LBB559_544
; %bb.541:
	v_bfe_u32 v11, v11, 24, 7
	s_movk_i32 s7, 0x7f
	v_cmp_ne_u32_e32 vcc, s7, v11
	v_mov_b32_e32 v28, 0x7f800001
	s_and_saveexec_b64 s[10:11], vcc
	s_cbranch_execz .LBB559_543
; %bb.542:
	v_and_b32_e32 v30, 7, v10
	v_ffbh_u32_e32 v28, v30
	v_min_u32_e32 v32, 32, v28
	v_subrev_u32_e32 v28, 28, v32
	v_lshlrev_b64 v[28:29], v28, v[10:11]
	v_lshrrev_b32_e32 v31, 3, v11
	v_sub_u32_e32 v29, 29, v32
	v_and_b32_e32 v28, 7, v28
	v_cmp_gt_u32_e32 vcc, 8, v11
	v_cndmask_b32_e32 v11, v31, v29, vcc
	v_cndmask_b32_e32 v28, v30, v28, vcc
	v_lshlrev_b32_e32 v10, 24, v10
	v_bfrev_b32_e32 v29, 60
	v_lshlrev_b32_e32 v28, 20, v28
	v_and_b32_e32 v10, 0x80000000, v10
	v_lshl_add_u32 v11, v11, 23, v29
	v_or3_b32 v28, v10, v11, v28
.LBB559_543:
	s_or_b64 exec, exec, s[10:11]
.LBB559_544:
	s_or_b64 exec, exec, s[8:9]
.LBB559_545:
	s_or_b64 exec, exec, s[2:3]
	v_cvt_pkrtz_f16_f32 v10, v24, v20
	v_cvt_pkrtz_f16_f32 v11, v19, v23
	ds_read_b128 v[30:33], v22 offset:2048
	v_cmp_ne_u16_sdwa s[8:9], v12, v18 src0_sel:BYTE_0 src1_sel:DWORD
	s_waitcnt lgkmcnt(0)
	v_mfma_f32_16x16x16f16 v[14:17], v[10:11], v[30:31], v[14:17]
	v_cvt_pkrtz_f16_f32 v10, v21, v27
	v_cvt_pkrtz_f16_f32 v11, v25, v28
	s_nop 1
	v_mfma_f32_16x16x16f16 v[14:17], v[10:11], v[32:33], v[14:17]
	s_and_saveexec_b64 s[2:3], s[8:9]
	s_cbranch_execz .LBB559_551
; %bb.546:
	s_movk_i32 s7, 0x80
	v_cmp_ne_u16_sdwa s[10:11], v12, s7 src0_sel:BYTE_0 src1_sel:DWORD
	v_bfrev_b32_e32 v18, 1
	s_and_saveexec_b64 s[8:9], s[10:11]
	s_cbranch_execz .LBB559_550
; %bb.547:
	s_movk_i32 s7, 0x7f
	v_and_b32_e32 v10, 0x7f, v12
	v_cmp_ne_u32_e32 vcc, s7, v10
	v_mov_b32_e32 v18, 0x7f800001
	s_and_saveexec_b64 s[10:11], vcc
	s_cbranch_execz .LBB559_549
; %bb.548:
	v_and_b32_e32 v11, 7, v12
	v_ffbh_u32_e32 v18, v11
	v_min_u32_e32 v21, 32, v18
	v_subrev_u32_e32 v18, 28, v21
	v_lshlrev_b64 v[18:19], v18, v[12:13]
	v_lshrrev_b32_e32 v20, 3, v10
	v_sub_u32_e32 v19, 29, v21
	v_and_b32_e32 v18, 7, v18
	v_cmp_gt_u32_e32 vcc, 8, v10
	v_cndmask_b32_e32 v10, v20, v19, vcc
	v_cndmask_b32_e32 v11, v11, v18, vcc
	v_lshlrev_b32_e32 v18, 24, v12
	v_bfrev_b32_e32 v19, 60
	v_lshlrev_b32_e32 v11, 20, v11
	v_and_b32_e32 v18, 0x80000000, v18
	v_lshl_add_u32 v10, v10, 23, v19
	v_or3_b32 v18, v18, v10, v11
.LBB559_549:
	s_or_b64 exec, exec, s[10:11]
.LBB559_550:
	s_or_b64 exec, exec, s[8:9]
.LBB559_551:
	s_or_b64 exec, exec, s[2:3]
	v_lshrrev_b16_e32 v10, 8, v12
	v_cmp_ne_u16_e32 vcc, 0, v10
	v_mov_b32_e32 v11, 0
	v_mov_b32_e32 v20, 0
	s_and_saveexec_b64 s[2:3], vcc
	s_cbranch_execz .LBB559_557
; %bb.552:
	s_movk_i32 s7, 0x80
	v_cmp_ne_u16_e32 vcc, s7, v10
	v_bfrev_b32_e32 v20, 1
	s_and_saveexec_b64 s[8:9], vcc
	s_cbranch_execz .LBB559_556
; %bb.553:
	s_movk_i32 s7, 0x7f
	v_and_b32_e32 v19, 0x7f, v10
	v_cmp_ne_u32_e32 vcc, s7, v19
	v_mov_b32_e32 v20, 0x7f800001
	s_and_saveexec_b64 s[10:11], vcc
	s_cbranch_execz .LBB559_555
; %bb.554:
	v_and_b32_e32 v23, 7, v10
	v_ffbh_u32_e32 v20, v23
	v_min_u32_e32 v25, 32, v20
	v_subrev_u32_e32 v20, 28, v25
	v_lshlrev_b64 v[20:21], v20, v[10:11]
	v_lshrrev_b32_e32 v24, 3, v19
	v_sub_u32_e32 v10, 29, v25
	v_and_b32_e32 v20, 7, v20
	v_cmp_gt_u32_e32 vcc, 8, v19
	v_cndmask_b32_e32 v10, v24, v10, vcc
	v_cndmask_b32_e32 v19, v23, v20, vcc
	v_lshlrev_b32_e32 v20, 16, v12
	v_bfrev_b32_e32 v21, 60
	v_lshlrev_b32_e32 v19, 20, v19
	v_and_b32_e32 v20, 0x80000000, v20
	v_lshl_add_u32 v10, v10, 23, v21
	v_or3_b32 v20, v20, v10, v19
.LBB559_555:
	s_or_b64 exec, exec, s[10:11]
.LBB559_556:
	s_or_b64 exec, exec, s[8:9]
.LBB559_557:
	s_or_b64 exec, exec, s[2:3]
	s_movk_i32 s2, 0xff
	v_and_b32_sdwa v19, v12, s2 dst_sel:DWORD dst_unused:UNUSED_PAD src0_sel:WORD_1 src1_sel:DWORD
	v_lshrrev_b32_e32 v10, 16, v12
	v_cmp_ne_u16_e32 vcc, 0, v19
	s_and_saveexec_b64 s[2:3], vcc
	s_cbranch_execz .LBB559_563
; %bb.558:
	s_movk_i32 s7, 0x80
	v_cmp_ne_u16_e32 vcc, s7, v19
	v_bfrev_b32_e32 v11, 1
	s_and_saveexec_b64 s[8:9], vcc
	s_cbranch_execz .LBB559_562
; %bb.559:
	v_bfe_u32 v19, v12, 16, 7
	s_movk_i32 s7, 0x7f
	v_cmp_ne_u32_e32 vcc, s7, v19
	v_mov_b32_e32 v11, 0x7f800001
	s_and_saveexec_b64 s[10:11], vcc
	s_cbranch_execz .LBB559_561
; %bb.560:
	v_and_b32_e32 v21, 7, v10
	v_ffbh_u32_e32 v11, v21
	v_min_u32_e32 v24, 32, v11
	v_subrev_u32_e32 v11, 28, v24
	v_lshlrev_b64 v[10:11], v11, v[10:11]
	v_lshrrev_b32_e32 v23, 3, v19
	v_sub_u32_e32 v11, 29, v24
	v_and_b32_e32 v10, 7, v10
	v_cmp_gt_u32_e32 vcc, 8, v19
	v_mov_b32_e32 v19, 24
	v_cndmask_b32_e32 v11, v23, v11, vcc
	v_cndmask_b32_e32 v10, v21, v10, vcc
	v_lshlrev_b32_sdwa v19, v19, v12 dst_sel:DWORD dst_unused:UNUSED_PAD src0_sel:DWORD src1_sel:WORD_1
	v_bfrev_b32_e32 v21, 60
	v_lshlrev_b32_e32 v10, 20, v10
	v_and_b32_e32 v19, 0x80000000, v19
	v_lshl_add_u32 v11, v11, 23, v21
	v_or3_b32 v11, v19, v11, v10
.LBB559_561:
	s_or_b64 exec, exec, s[10:11]
.LBB559_562:
	s_or_b64 exec, exec, s[8:9]
.LBB559_563:
	s_or_b64 exec, exec, s[2:3]
	s_mov_b32 s2, 0xffffff
	v_cmp_lt_u32_e32 vcc, s2, v12
	v_mov_b32_e32 v21, 0
	v_mov_b32_e32 v23, 0
	s_and_saveexec_b64 s[2:3], vcc
	s_cbranch_execz .LBB559_569
; %bb.564:
	v_lshrrev_b32_e32 v10, 24, v12
	s_movk_i32 s7, 0x80
	v_cmp_ne_u32_e32 vcc, s7, v10
	v_bfrev_b32_e32 v23, 1
	s_and_saveexec_b64 s[8:9], vcc
	s_cbranch_execz .LBB559_568
; %bb.565:
	v_bfe_u32 v12, v12, 24, 7
	s_movk_i32 s7, 0x7f
	v_cmp_ne_u32_e32 vcc, s7, v12
	v_mov_b32_e32 v23, 0x7f800001
	s_and_saveexec_b64 s[10:11], vcc
	s_cbranch_execz .LBB559_567
; %bb.566:
	v_and_b32_e32 v19, 7, v10
	v_ffbh_u32_e32 v24, v19
	v_min_u32_e32 v27, 32, v24
	v_subrev_u32_e32 v24, 28, v27
	v_lshlrev_b64 v[24:25], v24, v[10:11]
	v_lshrrev_b32_e32 v23, 3, v12
	v_sub_u32_e32 v25, 29, v27
	v_and_b32_e32 v24, 7, v24
	v_cmp_gt_u32_e32 vcc, 8, v12
	v_cndmask_b32_e32 v12, v23, v25, vcc
	v_cndmask_b32_e32 v19, v19, v24, vcc
	v_lshlrev_b32_e32 v10, 24, v10
	v_bfrev_b32_e32 v23, 60
	v_lshlrev_b32_e32 v19, 20, v19
	v_and_b32_e32 v10, 0x80000000, v10
	v_lshl_add_u32 v12, v12, 23, v23
	v_or3_b32 v23, v10, v12, v19
.LBB559_567:
	s_or_b64 exec, exec, s[10:11]
.LBB559_568:
	s_or_b64 exec, exec, s[8:9]
.LBB559_569:
	s_or_b64 exec, exec, s[2:3]
	v_cmp_ne_u16_sdwa s[8:9], v13, v21 src0_sel:BYTE_0 src1_sel:DWORD
	s_and_saveexec_b64 s[2:3], s[8:9]
	s_cbranch_execz .LBB559_575
; %bb.570:
	s_movk_i32 s7, 0x80
	v_cmp_ne_u16_sdwa s[10:11], v13, s7 src0_sel:BYTE_0 src1_sel:DWORD
	v_bfrev_b32_e32 v21, 1
	s_and_saveexec_b64 s[8:9], s[10:11]
	s_cbranch_execz .LBB559_574
; %bb.571:
	s_movk_i32 s7, 0x7f
	v_and_b32_e32 v10, 0x7f, v13
	v_cmp_ne_u32_e32 vcc, s7, v10
	v_mov_b32_e32 v21, 0x7f800001
	s_and_saveexec_b64 s[10:11], vcc
	s_cbranch_execz .LBB559_573
; %bb.572:
	v_and_b32_e32 v19, 7, v13
	v_ffbh_u32_e32 v24, v19
	v_min_u32_e32 v27, 32, v24
	v_mov_b32_e32 v12, v13
	v_subrev_u32_e32 v24, 28, v27
	v_lshlrev_b64 v[24:25], v24, v[12:13]
	v_lshrrev_b32_e32 v21, 3, v10
	v_sub_u32_e32 v12, 29, v27
	v_and_b32_e32 v24, 7, v24
	v_cmp_gt_u32_e32 vcc, 8, v10
	v_cndmask_b32_e32 v10, v21, v12, vcc
	v_cndmask_b32_e32 v12, v19, v24, vcc
	v_lshlrev_b32_e32 v19, 24, v13
	v_bfrev_b32_e32 v21, 60
	v_lshlrev_b32_e32 v12, 20, v12
	v_and_b32_e32 v19, 0x80000000, v19
	v_lshl_add_u32 v10, v10, 23, v21
	v_or3_b32 v21, v19, v10, v12
.LBB559_573:
	s_or_b64 exec, exec, s[10:11]
.LBB559_574:
	s_or_b64 exec, exec, s[8:9]
.LBB559_575:
	s_or_b64 exec, exec, s[2:3]
	v_lshrrev_b16_e32 v10, 8, v13
	v_cmp_ne_u16_e32 vcc, 0, v10
	v_mov_b32_e32 v12, 0
	v_mov_b32_e32 v24, 0
	s_and_saveexec_b64 s[2:3], vcc
	s_cbranch_execz .LBB559_581
; %bb.576:
	s_movk_i32 s7, 0x80
	v_cmp_ne_u16_e32 vcc, s7, v10
	v_bfrev_b32_e32 v24, 1
	s_and_saveexec_b64 s[8:9], vcc
	s_cbranch_execz .LBB559_580
; %bb.577:
	s_movk_i32 s7, 0x7f
	v_and_b32_e32 v19, 0x7f, v10
	v_cmp_ne_u32_e32 vcc, s7, v19
	v_mov_b32_e32 v24, 0x7f800001
	s_and_saveexec_b64 s[10:11], vcc
	s_cbranch_execz .LBB559_579
; %bb.578:
	v_and_b32_e32 v27, 7, v10
	v_ffbh_u32_e32 v24, v27
	v_min_u32_e32 v29, 32, v24
	v_subrev_u32_e32 v24, 28, v29
	v_lshlrev_b64 v[24:25], v24, v[10:11]
	v_lshrrev_b32_e32 v28, 3, v19
	v_sub_u32_e32 v10, 29, v29
	v_and_b32_e32 v24, 7, v24
	v_cmp_gt_u32_e32 vcc, 8, v19
	v_cndmask_b32_e32 v10, v28, v10, vcc
	v_cndmask_b32_e32 v19, v27, v24, vcc
	v_lshlrev_b32_e32 v24, 16, v13
	v_bfrev_b32_e32 v25, 60
	v_lshlrev_b32_e32 v19, 20, v19
	v_and_b32_e32 v24, 0x80000000, v24
	v_lshl_add_u32 v10, v10, 23, v25
	v_or3_b32 v24, v24, v10, v19
.LBB559_579:
	s_or_b64 exec, exec, s[10:11]
.LBB559_580:
	s_or_b64 exec, exec, s[8:9]
.LBB559_581:
	s_or_b64 exec, exec, s[2:3]
	s_movk_i32 s2, 0xff
	v_and_b32_sdwa v19, v13, s2 dst_sel:DWORD dst_unused:UNUSED_PAD src0_sel:WORD_1 src1_sel:DWORD
	v_lshrrev_b32_e32 v10, 16, v13
	v_cmp_ne_u16_e32 vcc, 0, v19
	s_and_saveexec_b64 s[2:3], vcc
	s_cbranch_execz .LBB559_587
; %bb.582:
	s_movk_i32 s7, 0x80
	v_cmp_ne_u16_e32 vcc, s7, v19
	v_bfrev_b32_e32 v12, 1
	s_and_saveexec_b64 s[8:9], vcc
	s_cbranch_execz .LBB559_586
; %bb.583:
	v_bfe_u32 v19, v13, 16, 7
	s_movk_i32 s7, 0x7f
	v_cmp_ne_u32_e32 vcc, s7, v19
	v_mov_b32_e32 v12, 0x7f800001
	s_and_saveexec_b64 s[10:11], vcc
	s_cbranch_execz .LBB559_585
; %bb.584:
	v_and_b32_e32 v12, 7, v10
	v_ffbh_u32_e32 v27, v12
	v_min_u32_e32 v27, 32, v27
	v_subrev_u32_e32 v28, 28, v27
	v_lshlrev_b64 v[28:29], v28, v[10:11]
	v_lshrrev_b32_e32 v25, 3, v19
	v_sub_u32_e32 v10, 29, v27
	v_and_b32_e32 v27, 7, v28
	v_cmp_gt_u32_e32 vcc, 8, v19
	v_mov_b32_e32 v19, 24
	v_cndmask_b32_e32 v10, v25, v10, vcc
	v_cndmask_b32_e32 v12, v12, v27, vcc
	v_lshlrev_b32_sdwa v19, v19, v13 dst_sel:DWORD dst_unused:UNUSED_PAD src0_sel:DWORD src1_sel:WORD_1
	v_bfrev_b32_e32 v25, 60
	v_lshlrev_b32_e32 v12, 20, v12
	v_and_b32_e32 v19, 0x80000000, v19
	v_lshl_add_u32 v10, v10, 23, v25
	v_or3_b32 v12, v19, v10, v12
.LBB559_585:
	s_or_b64 exec, exec, s[10:11]
.LBB559_586:
	s_or_b64 exec, exec, s[8:9]
.LBB559_587:
	s_or_b64 exec, exec, s[2:3]
	s_mov_b32 s2, 0xffffff
	v_cmp_lt_u32_e32 vcc, s2, v13
	v_mov_b32_e32 v19, 0
	v_mov_b32_e32 v25, 0
	s_and_saveexec_b64 s[2:3], vcc
	s_cbranch_execz .LBB559_593
; %bb.588:
	v_lshrrev_b32_e32 v10, 24, v13
	s_movk_i32 s7, 0x80
	v_cmp_ne_u32_e32 vcc, s7, v10
	v_bfrev_b32_e32 v25, 1
	s_and_saveexec_b64 s[8:9], vcc
	s_cbranch_execz .LBB559_592
; %bb.589:
	v_bfe_u32 v13, v13, 24, 7
	s_movk_i32 s7, 0x7f
	v_cmp_ne_u32_e32 vcc, s7, v13
	v_mov_b32_e32 v25, 0x7f800001
	s_and_saveexec_b64 s[10:11], vcc
	s_cbranch_execz .LBB559_591
; %bb.590:
	v_and_b32_e32 v25, 7, v10
	v_ffbh_u32_e32 v28, v25
	v_min_u32_e32 v30, 32, v28
	v_subrev_u32_e32 v28, 28, v30
	v_lshlrev_b64 v[28:29], v28, v[10:11]
	v_lshrrev_b32_e32 v27, 3, v13
	v_sub_u32_e32 v29, 29, v30
	v_and_b32_e32 v28, 7, v28
	v_cmp_gt_u32_e32 vcc, 8, v13
	v_cndmask_b32_e32 v13, v27, v29, vcc
	v_cndmask_b32_e32 v25, v25, v28, vcc
	v_lshlrev_b32_e32 v10, 24, v10
	v_bfrev_b32_e32 v27, 60
	v_lshlrev_b32_e32 v25, 20, v25
	v_and_b32_e32 v10, 0x80000000, v10
	v_lshl_add_u32 v13, v13, 23, v27
	v_or3_b32 v25, v10, v13, v25
.LBB559_591:
	s_or_b64 exec, exec, s[10:11]
.LBB559_592:
	s_or_b64 exec, exec, s[8:9]
.LBB559_593:
	s_or_b64 exec, exec, s[2:3]
	v_cvt_pkrtz_f16_f32 v10, v18, v20
	v_cvt_pkrtz_f16_f32 v11, v11, v23
	ds_read_b128 v[28:31], v22 offset:2064
	s_waitcnt vmcnt(1)
	v_cmp_ne_u16_sdwa s[8:9], v6, v19 src0_sel:BYTE_0 src1_sel:DWORD
	s_waitcnt lgkmcnt(0)
	v_mfma_f32_16x16x16f16 v[14:17], v[10:11], v[28:29], v[14:17]
	v_cvt_pkrtz_f16_f32 v10, v21, v24
	v_cvt_pkrtz_f16_f32 v11, v12, v25
	s_nop 1
	v_mfma_f32_16x16x16f16 v[10:13], v[10:11], v[30:31], v[14:17]
	s_and_saveexec_b64 s[2:3], s[8:9]
	s_cbranch_execz .LBB559_599
; %bb.594:
	s_movk_i32 s7, 0x80
	v_cmp_ne_u16_sdwa s[10:11], v6, s7 src0_sel:BYTE_0 src1_sel:DWORD
	v_bfrev_b32_e32 v19, 1
	s_and_saveexec_b64 s[8:9], s[10:11]
	s_cbranch_execz .LBB559_598
; %bb.595:
	s_movk_i32 s7, 0x7f
	v_and_b32_e32 v14, 0x7f, v6
	v_cmp_ne_u32_e32 vcc, s7, v14
	v_mov_b32_e32 v19, 0x7f800001
	s_and_saveexec_b64 s[10:11], vcc
	s_cbranch_execz .LBB559_597
; %bb.596:
	v_and_b32_e32 v15, 7, v6
	v_ffbh_u32_e32 v16, v15
	v_min_u32_e32 v19, 32, v16
	v_subrev_u32_e32 v16, 28, v19
	v_lshlrev_b64 v[16:17], v16, v[6:7]
	v_lshrrev_b32_e32 v18, 3, v14
	v_sub_u32_e32 v17, 29, v19
	v_and_b32_e32 v16, 7, v16
	v_cmp_gt_u32_e32 vcc, 8, v14
	v_cndmask_b32_e32 v14, v18, v17, vcc
	v_cndmask_b32_e32 v15, v15, v16, vcc
	v_lshlrev_b32_e32 v16, 24, v6
	v_bfrev_b32_e32 v17, 60
	v_lshlrev_b32_e32 v15, 20, v15
	v_and_b32_e32 v16, 0x80000000, v16
	v_lshl_add_u32 v14, v14, 23, v17
	v_or3_b32 v19, v16, v14, v15
.LBB559_597:
	s_or_b64 exec, exec, s[10:11]
.LBB559_598:
	s_or_b64 exec, exec, s[8:9]
.LBB559_599:
	s_or_b64 exec, exec, s[2:3]
	s_nop 3
	v_lshrrev_b16_e32 v14, 8, v6
	v_cmp_ne_u16_e32 vcc, 0, v14
	v_mov_b32_e32 v15, 0
	v_mov_b32_e32 v16, 0
	s_and_saveexec_b64 s[2:3], vcc
	s_cbranch_execz .LBB559_605
; %bb.600:
	s_movk_i32 s7, 0x80
	v_cmp_ne_u16_e32 vcc, s7, v14
	v_bfrev_b32_e32 v16, 1
	s_and_saveexec_b64 s[8:9], vcc
	s_cbranch_execz .LBB559_604
; %bb.601:
	s_movk_i32 s7, 0x7f
	v_and_b32_e32 v17, 0x7f, v14
	v_cmp_ne_u32_e32 vcc, s7, v17
	v_mov_b32_e32 v16, 0x7f800001
	s_and_saveexec_b64 s[10:11], vcc
	s_cbranch_execz .LBB559_603
; %bb.602:
	v_and_b32_e32 v16, 7, v14
	v_ffbh_u32_e32 v20, v16
	v_min_u32_e32 v23, 32, v20
	v_subrev_u32_e32 v20, 28, v23
	v_lshlrev_b64 v[20:21], v20, v[14:15]
	v_lshrrev_b32_e32 v18, 3, v17
	v_sub_u32_e32 v14, 29, v23
	v_and_b32_e32 v20, 7, v20
	v_cmp_gt_u32_e32 vcc, 8, v17
	v_cndmask_b32_e32 v14, v18, v14, vcc
	v_cndmask_b32_e32 v16, v16, v20, vcc
	v_lshlrev_b32_e32 v17, 16, v6
	v_bfrev_b32_e32 v18, 60
	v_lshlrev_b32_e32 v16, 20, v16
	v_and_b32_e32 v17, 0x80000000, v17
	v_lshl_add_u32 v14, v14, 23, v18
	v_or3_b32 v16, v17, v14, v16
.LBB559_603:
	s_or_b64 exec, exec, s[10:11]
.LBB559_604:
	s_or_b64 exec, exec, s[8:9]
.LBB559_605:
	s_or_b64 exec, exec, s[2:3]
	s_movk_i32 s2, 0xff
	v_and_b32_sdwa v17, v6, s2 dst_sel:DWORD dst_unused:UNUSED_PAD src0_sel:WORD_1 src1_sel:DWORD
	v_lshrrev_b32_e32 v14, 16, v6
	v_cmp_ne_u16_e32 vcc, 0, v17
	s_and_saveexec_b64 s[2:3], vcc
	s_cbranch_execz .LBB559_611
; %bb.606:
	s_movk_i32 s7, 0x80
	v_cmp_ne_u16_e32 vcc, s7, v17
	v_bfrev_b32_e32 v15, 1
	s_and_saveexec_b64 s[8:9], vcc
	s_cbranch_execz .LBB559_610
; %bb.607:
	v_bfe_u32 v17, v6, 16, 7
	s_movk_i32 s7, 0x7f
	v_cmp_ne_u32_e32 vcc, s7, v17
	v_mov_b32_e32 v15, 0x7f800001
	s_and_saveexec_b64 s[10:11], vcc
	s_cbranch_execz .LBB559_609
; %bb.608:
	v_and_b32_e32 v18, 7, v14
	v_ffbh_u32_e32 v15, v18
	v_min_u32_e32 v21, 32, v15
	v_subrev_u32_e32 v15, 28, v21
	v_lshlrev_b64 v[14:15], v15, v[14:15]
	v_lshrrev_b32_e32 v20, 3, v17
	v_sub_u32_e32 v15, 29, v21
	v_and_b32_e32 v14, 7, v14
	v_cmp_gt_u32_e32 vcc, 8, v17
	v_mov_b32_e32 v17, 24
	v_cndmask_b32_e32 v15, v20, v15, vcc
	v_cndmask_b32_e32 v14, v18, v14, vcc
	v_lshlrev_b32_sdwa v17, v17, v6 dst_sel:DWORD dst_unused:UNUSED_PAD src0_sel:DWORD src1_sel:WORD_1
	v_bfrev_b32_e32 v18, 60
	v_lshlrev_b32_e32 v14, 20, v14
	v_and_b32_e32 v17, 0x80000000, v17
	v_lshl_add_u32 v15, v15, 23, v18
	v_or3_b32 v15, v17, v15, v14
.LBB559_609:
	s_or_b64 exec, exec, s[10:11]
.LBB559_610:
	s_or_b64 exec, exec, s[8:9]
.LBB559_611:
	s_or_b64 exec, exec, s[2:3]
	s_mov_b32 s2, 0xffffff
	v_cmp_lt_u32_e32 vcc, s2, v6
	v_mov_b32_e32 v17, 0
	v_mov_b32_e32 v18, 0
	s_and_saveexec_b64 s[2:3], vcc
	s_cbranch_execz .LBB559_617
; %bb.612:
	v_lshrrev_b32_e32 v14, 24, v6
	s_movk_i32 s7, 0x80
	v_cmp_ne_u32_e32 vcc, s7, v14
	v_bfrev_b32_e32 v18, 1
	s_and_saveexec_b64 s[8:9], vcc
	s_cbranch_execz .LBB559_616
; %bb.613:
	v_bfe_u32 v6, v6, 24, 7
	s_movk_i32 s7, 0x7f
	v_cmp_ne_u32_e32 vcc, s7, v6
	v_mov_b32_e32 v18, 0x7f800001
	s_and_saveexec_b64 s[10:11], vcc
	s_cbranch_execz .LBB559_615
; %bb.614:
	v_and_b32_e32 v18, 7, v14
	v_ffbh_u32_e32 v20, v18
	v_min_u32_e32 v24, 32, v20
	v_subrev_u32_e32 v20, 28, v24
	v_lshlrev_b64 v[20:21], v20, v[14:15]
	v_lshrrev_b32_e32 v23, 3, v6
	v_sub_u32_e32 v21, 29, v24
	v_and_b32_e32 v20, 7, v20
	v_cmp_gt_u32_e32 vcc, 8, v6
	v_cndmask_b32_e32 v6, v23, v21, vcc
	v_cndmask_b32_e32 v18, v18, v20, vcc
	v_lshlrev_b32_e32 v14, 24, v14
	v_bfrev_b32_e32 v20, 60
	v_lshlrev_b32_e32 v18, 20, v18
	v_and_b32_e32 v14, 0x80000000, v14
	v_lshl_add_u32 v6, v6, 23, v20
	v_or3_b32 v18, v14, v6, v18
.LBB559_615:
	s_or_b64 exec, exec, s[10:11]
.LBB559_616:
	s_or_b64 exec, exec, s[8:9]
.LBB559_617:
	s_or_b64 exec, exec, s[2:3]
	v_cmp_ne_u16_sdwa s[8:9], v7, v17 src0_sel:BYTE_0 src1_sel:DWORD
	s_and_saveexec_b64 s[2:3], s[8:9]
	s_cbranch_execz .LBB559_623
; %bb.618:
	s_movk_i32 s7, 0x80
	v_cmp_ne_u16_sdwa s[10:11], v7, s7 src0_sel:BYTE_0 src1_sel:DWORD
	v_bfrev_b32_e32 v17, 1
	s_and_saveexec_b64 s[8:9], s[10:11]
	s_cbranch_execz .LBB559_622
; %bb.619:
	s_movk_i32 s7, 0x7f
	v_and_b32_e32 v6, 0x7f, v7
	v_cmp_ne_u32_e32 vcc, s7, v6
	v_mov_b32_e32 v17, 0x7f800001
	s_and_saveexec_b64 s[10:11], vcc
	s_cbranch_execz .LBB559_621
; %bb.620:
	v_and_b32_e32 v17, 7, v7
	v_ffbh_u32_e32 v20, v17
	v_min_u32_e32 v24, 32, v20
	v_mov_b32_e32 v14, v7
	v_subrev_u32_e32 v20, 28, v24
	v_lshlrev_b64 v[20:21], v20, v[14:15]
	v_lshrrev_b32_e32 v23, 3, v6
	v_sub_u32_e32 v14, 29, v24
	v_and_b32_e32 v20, 7, v20
	v_cmp_gt_u32_e32 vcc, 8, v6
	v_cndmask_b32_e32 v6, v23, v14, vcc
	v_cndmask_b32_e32 v14, v17, v20, vcc
	v_lshlrev_b32_e32 v17, 24, v7
	v_bfrev_b32_e32 v20, 60
	v_lshlrev_b32_e32 v14, 20, v14
	v_and_b32_e32 v17, 0x80000000, v17
	v_lshl_add_u32 v6, v6, 23, v20
	v_or3_b32 v17, v17, v6, v14
.LBB559_621:
	s_or_b64 exec, exec, s[10:11]
.LBB559_622:
	s_or_b64 exec, exec, s[8:9]
.LBB559_623:
	s_or_b64 exec, exec, s[2:3]
	v_lshrrev_b16_e32 v6, 8, v7
	v_cmp_ne_u16_e32 vcc, 0, v6
	v_mov_b32_e32 v20, 0
	v_mov_b32_e32 v21, 0
	s_and_saveexec_b64 s[2:3], vcc
	s_cbranch_execz .LBB559_629
; %bb.624:
	s_movk_i32 s7, 0x80
	v_cmp_ne_u16_e32 vcc, s7, v6
	v_bfrev_b32_e32 v21, 1
	s_and_saveexec_b64 s[8:9], vcc
	s_cbranch_execz .LBB559_628
; %bb.625:
	s_movk_i32 s7, 0x7f
	v_and_b32_e32 v14, 0x7f, v6
	v_cmp_ne_u32_e32 vcc, s7, v14
	v_mov_b32_e32 v21, 0x7f800001
	s_and_saveexec_b64 s[10:11], vcc
	s_cbranch_execz .LBB559_627
; %bb.626:
	v_and_b32_e32 v21, 7, v6
	v_ffbh_u32_e32 v24, v21
	v_min_u32_e32 v27, 32, v24
	v_subrev_u32_e32 v24, 28, v27
	v_lshlrev_b64 v[24:25], v24, v[6:7]
	v_lshrrev_b32_e32 v23, 3, v14
	v_sub_u32_e32 v6, 29, v27
	v_and_b32_e32 v24, 7, v24
	v_cmp_gt_u32_e32 vcc, 8, v14
	v_cndmask_b32_e32 v6, v23, v6, vcc
	v_cndmask_b32_e32 v14, v21, v24, vcc
	v_lshlrev_b32_e32 v21, 16, v7
	v_bfrev_b32_e32 v23, 60
	v_lshlrev_b32_e32 v14, 20, v14
	v_and_b32_e32 v21, 0x80000000, v21
	v_lshl_add_u32 v6, v6, 23, v23
	v_or3_b32 v21, v21, v6, v14
.LBB559_627:
	s_or_b64 exec, exec, s[10:11]
.LBB559_628:
	s_or_b64 exec, exec, s[8:9]
.LBB559_629:
	s_or_b64 exec, exec, s[2:3]
	s_movk_i32 s2, 0xff
	v_and_b32_sdwa v14, v7, s2 dst_sel:DWORD dst_unused:UNUSED_PAD src0_sel:WORD_1 src1_sel:DWORD
	v_lshrrev_b32_e32 v6, 16, v7
	v_cmp_ne_u16_e32 vcc, 0, v14
	s_and_saveexec_b64 s[2:3], vcc
	s_cbranch_execz .LBB559_635
; %bb.630:
	s_movk_i32 s7, 0x80
	v_cmp_ne_u16_e32 vcc, s7, v14
	v_bfrev_b32_e32 v20, 1
	s_and_saveexec_b64 s[8:9], vcc
	s_cbranch_execz .LBB559_634
; %bb.631:
	v_bfe_u32 v14, v7, 16, 7
	s_movk_i32 s7, 0x7f
	v_cmp_ne_u32_e32 vcc, s7, v14
	v_mov_b32_e32 v20, 0x7f800001
	s_and_saveexec_b64 s[10:11], vcc
	s_cbranch_execz .LBB559_633
; %bb.632:
	v_and_b32_e32 v20, 7, v6
	v_ffbh_u32_e32 v24, v20
	v_min_u32_e32 v27, 32, v24
	v_subrev_u32_e32 v24, 28, v27
	v_lshlrev_b64 v[24:25], v24, v[6:7]
	v_and_b32_e32 v24, 7, v24
	v_cmp_gt_u32_e32 vcc, 8, v14
	v_lshrrev_b32_e32 v23, 3, v14
	v_sub_u32_e32 v6, 29, v27
	v_cndmask_b32_e32 v14, v20, v24, vcc
	v_mov_b32_e32 v20, 24
	v_cndmask_b32_e32 v6, v23, v6, vcc
	v_lshlrev_b32_sdwa v20, v20, v7 dst_sel:DWORD dst_unused:UNUSED_PAD src0_sel:DWORD src1_sel:WORD_1
	v_bfrev_b32_e32 v23, 60
	v_lshlrev_b32_e32 v14, 20, v14
	v_and_b32_e32 v20, 0x80000000, v20
	v_lshl_add_u32 v6, v6, 23, v23
	v_or3_b32 v20, v20, v6, v14
.LBB559_633:
	s_or_b64 exec, exec, s[10:11]
.LBB559_634:
	s_or_b64 exec, exec, s[8:9]
.LBB559_635:
	s_or_b64 exec, exec, s[2:3]
	s_mov_b32 s2, 0xffffff
	v_cmp_lt_u32_e32 vcc, s2, v7
	v_mov_b32_e32 v14, 0
	v_mov_b32_e32 v23, 0
	s_and_saveexec_b64 s[2:3], vcc
	s_cbranch_execz .LBB559_641
; %bb.636:
	v_lshrrev_b32_e32 v6, 24, v7
	s_movk_i32 s7, 0x80
	v_cmp_ne_u32_e32 vcc, s7, v6
	v_bfrev_b32_e32 v23, 1
	s_and_saveexec_b64 s[8:9], vcc
	s_cbranch_execz .LBB559_640
; %bb.637:
	v_bfe_u32 v7, v7, 24, 7
	s_movk_i32 s7, 0x7f
	v_cmp_ne_u32_e32 vcc, s7, v7
	v_mov_b32_e32 v23, 0x7f800001
	s_and_saveexec_b64 s[10:11], vcc
	s_cbranch_execz .LBB559_639
; %bb.638:
	v_and_b32_e32 v23, 7, v6
	v_ffbh_u32_e32 v24, v23
	v_min_u32_e32 v28, 32, v24
	v_subrev_u32_e32 v24, 28, v28
	v_lshlrev_b64 v[24:25], v24, v[6:7]
	v_lshrrev_b32_e32 v27, 3, v7
	v_sub_u32_e32 v25, 29, v28
	v_and_b32_e32 v24, 7, v24
	v_cmp_gt_u32_e32 vcc, 8, v7
	v_cndmask_b32_e32 v7, v27, v25, vcc
	v_cndmask_b32_e32 v23, v23, v24, vcc
	v_lshlrev_b32_e32 v6, 24, v6
	v_bfrev_b32_e32 v24, 60
	v_lshlrev_b32_e32 v23, 20, v23
	v_and_b32_e32 v6, 0x80000000, v6
	v_lshl_add_u32 v7, v7, 23, v24
	v_or3_b32 v23, v6, v7, v23
.LBB559_639:
	s_or_b64 exec, exec, s[10:11]
.LBB559_640:
	s_or_b64 exec, exec, s[8:9]
.LBB559_641:
	s_or_b64 exec, exec, s[2:3]
	v_cvt_pkrtz_f16_f32 v6, v19, v16
	v_cvt_pkrtz_f16_f32 v7, v15, v18
	ds_read_b128 v[28:31], v22 offset:4096
	v_cmp_ne_u16_sdwa s[8:9], v8, v14 src0_sel:BYTE_0 src1_sel:DWORD
	s_waitcnt lgkmcnt(0)
	v_mfma_f32_16x16x16f16 v[10:13], v[6:7], v[28:29], v[10:13]
	v_cvt_pkrtz_f16_f32 v6, v17, v21
	v_cvt_pkrtz_f16_f32 v7, v20, v23
	s_nop 1
	v_mfma_f32_16x16x16f16 v[10:13], v[6:7], v[30:31], v[10:13]
	s_and_saveexec_b64 s[2:3], s[8:9]
	s_cbranch_execz .LBB559_647
; %bb.642:
	s_movk_i32 s7, 0x80
	v_cmp_ne_u16_sdwa s[10:11], v8, s7 src0_sel:BYTE_0 src1_sel:DWORD
	v_bfrev_b32_e32 v14, 1
	s_and_saveexec_b64 s[8:9], s[10:11]
	s_cbranch_execz .LBB559_646
; %bb.643:
	s_movk_i32 s7, 0x7f
	v_and_b32_e32 v6, 0x7f, v8
	v_cmp_ne_u32_e32 vcc, s7, v6
	v_mov_b32_e32 v14, 0x7f800001
	s_and_saveexec_b64 s[10:11], vcc
	s_cbranch_execz .LBB559_645
; %bb.644:
	v_and_b32_e32 v7, 7, v8
	v_ffbh_u32_e32 v14, v7
	v_min_u32_e32 v17, 32, v14
	v_subrev_u32_e32 v14, 28, v17
	v_lshlrev_b64 v[14:15], v14, v[8:9]
	v_lshrrev_b32_e32 v16, 3, v6
	v_sub_u32_e32 v15, 29, v17
	v_and_b32_e32 v14, 7, v14
	v_cmp_gt_u32_e32 vcc, 8, v6
	v_cndmask_b32_e32 v6, v16, v15, vcc
	v_cndmask_b32_e32 v7, v7, v14, vcc
	v_lshlrev_b32_e32 v14, 24, v8
	v_bfrev_b32_e32 v15, 60
	v_lshlrev_b32_e32 v7, 20, v7
	v_and_b32_e32 v14, 0x80000000, v14
	v_lshl_add_u32 v6, v6, 23, v15
	v_or3_b32 v14, v14, v6, v7
.LBB559_645:
	s_or_b64 exec, exec, s[10:11]
.LBB559_646:
	s_or_b64 exec, exec, s[8:9]
.LBB559_647:
	s_or_b64 exec, exec, s[2:3]
	v_lshrrev_b16_e32 v6, 8, v8
	v_cmp_ne_u16_e32 vcc, 0, v6
	v_mov_b32_e32 v7, 0
	v_mov_b32_e32 v16, 0
	s_and_saveexec_b64 s[2:3], vcc
	s_cbranch_execz .LBB559_653
; %bb.648:
	s_movk_i32 s7, 0x80
	v_cmp_ne_u16_e32 vcc, s7, v6
	v_bfrev_b32_e32 v16, 1
	s_and_saveexec_b64 s[8:9], vcc
	s_cbranch_execz .LBB559_652
; %bb.649:
	s_movk_i32 s7, 0x7f
	v_and_b32_e32 v15, 0x7f, v6
	v_cmp_ne_u32_e32 vcc, s7, v15
	v_mov_b32_e32 v16, 0x7f800001
	s_and_saveexec_b64 s[10:11], vcc
	s_cbranch_execz .LBB559_651
; %bb.650:
	v_and_b32_e32 v18, 7, v6
	v_ffbh_u32_e32 v16, v18
	v_min_u32_e32 v20, 32, v16
	v_subrev_u32_e32 v16, 28, v20
	v_lshlrev_b64 v[16:17], v16, v[6:7]
	v_lshrrev_b32_e32 v19, 3, v15
	v_sub_u32_e32 v6, 29, v20
	v_and_b32_e32 v16, 7, v16
	v_cmp_gt_u32_e32 vcc, 8, v15
	v_cndmask_b32_e32 v6, v19, v6, vcc
	v_cndmask_b32_e32 v15, v18, v16, vcc
	v_lshlrev_b32_e32 v16, 16, v8
	v_bfrev_b32_e32 v17, 60
	v_lshlrev_b32_e32 v15, 20, v15
	v_and_b32_e32 v16, 0x80000000, v16
	v_lshl_add_u32 v6, v6, 23, v17
	v_or3_b32 v16, v16, v6, v15
.LBB559_651:
	s_or_b64 exec, exec, s[10:11]
.LBB559_652:
	s_or_b64 exec, exec, s[8:9]
.LBB559_653:
	s_or_b64 exec, exec, s[2:3]
	s_movk_i32 s2, 0xff
	v_and_b32_sdwa v15, v8, s2 dst_sel:DWORD dst_unused:UNUSED_PAD src0_sel:WORD_1 src1_sel:DWORD
	v_lshrrev_b32_e32 v6, 16, v8
	v_cmp_ne_u16_e32 vcc, 0, v15
	s_and_saveexec_b64 s[2:3], vcc
	s_cbranch_execz .LBB559_659
; %bb.654:
	s_movk_i32 s7, 0x80
	v_cmp_ne_u16_e32 vcc, s7, v15
	v_bfrev_b32_e32 v7, 1
	s_and_saveexec_b64 s[8:9], vcc
	s_cbranch_execz .LBB559_658
; %bb.655:
	v_bfe_u32 v15, v8, 16, 7
	s_movk_i32 s7, 0x7f
	v_cmp_ne_u32_e32 vcc, s7, v15
	v_mov_b32_e32 v7, 0x7f800001
	s_and_saveexec_b64 s[10:11], vcc
	s_cbranch_execz .LBB559_657
; %bb.656:
	v_and_b32_e32 v17, 7, v6
	v_ffbh_u32_e32 v7, v17
	v_min_u32_e32 v19, 32, v7
	v_subrev_u32_e32 v7, 28, v19
	v_lshlrev_b64 v[6:7], v7, v[6:7]
	v_lshrrev_b32_e32 v18, 3, v15
	v_sub_u32_e32 v7, 29, v19
	v_and_b32_e32 v6, 7, v6
	v_cmp_gt_u32_e32 vcc, 8, v15
	v_mov_b32_e32 v15, 24
	v_cndmask_b32_e32 v7, v18, v7, vcc
	v_cndmask_b32_e32 v6, v17, v6, vcc
	v_lshlrev_b32_sdwa v15, v15, v8 dst_sel:DWORD dst_unused:UNUSED_PAD src0_sel:DWORD src1_sel:WORD_1
	v_bfrev_b32_e32 v17, 60
	v_lshlrev_b32_e32 v6, 20, v6
	v_and_b32_e32 v15, 0x80000000, v15
	v_lshl_add_u32 v7, v7, 23, v17
	v_or3_b32 v7, v15, v7, v6
.LBB559_657:
	s_or_b64 exec, exec, s[10:11]
.LBB559_658:
	s_or_b64 exec, exec, s[8:9]
.LBB559_659:
	s_or_b64 exec, exec, s[2:3]
	s_mov_b32 s2, 0xffffff
	v_cmp_lt_u32_e32 vcc, s2, v8
	v_mov_b32_e32 v17, 0
	v_mov_b32_e32 v18, 0
	s_and_saveexec_b64 s[2:3], vcc
	s_cbranch_execz .LBB559_665
; %bb.660:
	v_lshrrev_b32_e32 v6, 24, v8
	s_movk_i32 s7, 0x80
	v_cmp_ne_u32_e32 vcc, s7, v6
	v_bfrev_b32_e32 v18, 1
	s_and_saveexec_b64 s[8:9], vcc
	s_cbranch_execz .LBB559_664
; %bb.661:
	v_bfe_u32 v8, v8, 24, 7
	s_movk_i32 s7, 0x7f
	v_cmp_ne_u32_e32 vcc, s7, v8
	v_mov_b32_e32 v18, 0x7f800001
	s_and_saveexec_b64 s[10:11], vcc
	s_cbranch_execz .LBB559_663
; %bb.662:
	v_and_b32_e32 v15, 7, v6
	v_ffbh_u32_e32 v18, v15
	v_min_u32_e32 v21, 32, v18
	v_subrev_u32_e32 v18, 28, v21
	v_lshlrev_b64 v[18:19], v18, v[6:7]
	v_lshrrev_b32_e32 v20, 3, v8
	v_sub_u32_e32 v19, 29, v21
	v_and_b32_e32 v18, 7, v18
	v_cmp_gt_u32_e32 vcc, 8, v8
	v_cndmask_b32_e32 v8, v20, v19, vcc
	v_cndmask_b32_e32 v15, v15, v18, vcc
	v_lshlrev_b32_e32 v6, 24, v6
	v_bfrev_b32_e32 v18, 60
	v_lshlrev_b32_e32 v15, 20, v15
	v_and_b32_e32 v6, 0x80000000, v6
	v_lshl_add_u32 v8, v8, 23, v18
	v_or3_b32 v18, v6, v8, v15
.LBB559_663:
	s_or_b64 exec, exec, s[10:11]
.LBB559_664:
	s_or_b64 exec, exec, s[8:9]
.LBB559_665:
	s_or_b64 exec, exec, s[2:3]
	v_cmp_ne_u16_sdwa s[8:9], v9, v17 src0_sel:BYTE_0 src1_sel:DWORD
	s_and_saveexec_b64 s[2:3], s[8:9]
	s_cbranch_execz .LBB559_671
; %bb.666:
	s_movk_i32 s7, 0x80
	v_cmp_ne_u16_sdwa s[10:11], v9, s7 src0_sel:BYTE_0 src1_sel:DWORD
	v_bfrev_b32_e32 v17, 1
	s_and_saveexec_b64 s[8:9], s[10:11]
	s_cbranch_execz .LBB559_670
; %bb.667:
	s_movk_i32 s7, 0x7f
	v_and_b32_e32 v6, 0x7f, v9
	v_cmp_ne_u32_e32 vcc, s7, v6
	v_mov_b32_e32 v17, 0x7f800001
	s_and_saveexec_b64 s[10:11], vcc
	s_cbranch_execz .LBB559_669
; %bb.668:
	v_and_b32_e32 v15, 7, v9
	v_ffbh_u32_e32 v19, v15
	v_min_u32_e32 v19, 32, v19
	v_mov_b32_e32 v8, v9
	v_subrev_u32_e32 v20, 28, v19
	v_lshlrev_b64 v[20:21], v20, v[8:9]
	v_lshrrev_b32_e32 v17, 3, v6
	v_sub_u32_e32 v8, 29, v19
	v_and_b32_e32 v19, 7, v20
	v_cmp_gt_u32_e32 vcc, 8, v6
	v_cndmask_b32_e32 v6, v17, v8, vcc
	v_cndmask_b32_e32 v8, v15, v19, vcc
	v_lshlrev_b32_e32 v15, 24, v9
	v_bfrev_b32_e32 v17, 60
	v_lshlrev_b32_e32 v8, 20, v8
	v_and_b32_e32 v15, 0x80000000, v15
	v_lshl_add_u32 v6, v6, 23, v17
	v_or3_b32 v17, v15, v6, v8
.LBB559_669:
	s_or_b64 exec, exec, s[10:11]
.LBB559_670:
	s_or_b64 exec, exec, s[8:9]
.LBB559_671:
	s_or_b64 exec, exec, s[2:3]
	v_lshrrev_b16_e32 v6, 8, v9
	v_cmp_ne_u16_e32 vcc, 0, v6
	v_mov_b32_e32 v8, 0
	v_mov_b32_e32 v19, 0
	s_and_saveexec_b64 s[2:3], vcc
	s_cbranch_execz .LBB559_677
; %bb.672:
	s_movk_i32 s7, 0x80
	v_cmp_ne_u16_e32 vcc, s7, v6
	v_bfrev_b32_e32 v19, 1
	s_and_saveexec_b64 s[8:9], vcc
	s_cbranch_execz .LBB559_676
; %bb.673:
	s_movk_i32 s7, 0x7f
	v_and_b32_e32 v15, 0x7f, v6
	v_cmp_ne_u32_e32 vcc, s7, v15
	v_mov_b32_e32 v19, 0x7f800001
	s_and_saveexec_b64 s[10:11], vcc
	s_cbranch_execz .LBB559_675
; %bb.674:
	v_and_b32_e32 v19, 7, v6
	v_ffbh_u32_e32 v20, v19
	v_min_u32_e32 v24, 32, v20
	v_subrev_u32_e32 v20, 28, v24
	v_lshlrev_b64 v[20:21], v20, v[6:7]
	v_lshrrev_b32_e32 v23, 3, v15
	v_sub_u32_e32 v6, 29, v24
	v_and_b32_e32 v20, 7, v20
	v_cmp_gt_u32_e32 vcc, 8, v15
	v_cndmask_b32_e32 v6, v23, v6, vcc
	v_cndmask_b32_e32 v15, v19, v20, vcc
	v_lshlrev_b32_e32 v19, 16, v9
	v_bfrev_b32_e32 v20, 60
	v_lshlrev_b32_e32 v15, 20, v15
	v_and_b32_e32 v19, 0x80000000, v19
	v_lshl_add_u32 v6, v6, 23, v20
	v_or3_b32 v19, v19, v6, v15
.LBB559_675:
	s_or_b64 exec, exec, s[10:11]
.LBB559_676:
	s_or_b64 exec, exec, s[8:9]
.LBB559_677:
	s_or_b64 exec, exec, s[2:3]
	s_movk_i32 s2, 0xff
	v_and_b32_sdwa v15, v9, s2 dst_sel:DWORD dst_unused:UNUSED_PAD src0_sel:WORD_1 src1_sel:DWORD
	v_lshrrev_b32_e32 v6, 16, v9
	v_cmp_ne_u16_e32 vcc, 0, v15
	s_and_saveexec_b64 s[2:3], vcc
	s_cbranch_execz .LBB559_683
; %bb.678:
	s_movk_i32 s7, 0x80
	v_cmp_ne_u16_e32 vcc, s7, v15
	v_bfrev_b32_e32 v8, 1
	s_and_saveexec_b64 s[8:9], vcc
	s_cbranch_execz .LBB559_682
; %bb.679:
	v_bfe_u32 v15, v9, 16, 7
	s_movk_i32 s7, 0x7f
	v_cmp_ne_u32_e32 vcc, s7, v15
	v_mov_b32_e32 v8, 0x7f800001
	s_and_saveexec_b64 s[10:11], vcc
	s_cbranch_execz .LBB559_681
; %bb.680:
	v_and_b32_e32 v8, 7, v6
	v_ffbh_u32_e32 v20, v8
	v_min_u32_e32 v24, 32, v20
	v_subrev_u32_e32 v20, 28, v24
	v_lshlrev_b64 v[20:21], v20, v[6:7]
	v_lshrrev_b32_e32 v23, 3, v15
	v_sub_u32_e32 v6, 29, v24
	v_and_b32_e32 v20, 7, v20
	v_cmp_gt_u32_e32 vcc, 8, v15
	v_mov_b32_e32 v15, 24
	v_cndmask_b32_e32 v6, v23, v6, vcc
	v_cndmask_b32_e32 v8, v8, v20, vcc
	v_lshlrev_b32_sdwa v15, v15, v9 dst_sel:DWORD dst_unused:UNUSED_PAD src0_sel:DWORD src1_sel:WORD_1
	v_bfrev_b32_e32 v20, 60
	v_lshlrev_b32_e32 v8, 20, v8
	v_and_b32_e32 v15, 0x80000000, v15
	v_lshl_add_u32 v6, v6, 23, v20
	v_or3_b32 v8, v15, v6, v8
.LBB559_681:
	s_or_b64 exec, exec, s[10:11]
.LBB559_682:
	s_or_b64 exec, exec, s[8:9]
.LBB559_683:
	s_or_b64 exec, exec, s[2:3]
	s_mov_b32 s2, 0xffffff
	v_cmp_lt_u32_e32 vcc, s2, v9
	v_mov_b32_e32 v15, 0
	v_mov_b32_e32 v20, 0
	s_and_saveexec_b64 s[2:3], vcc
	s_cbranch_execz .LBB559_689
; %bb.684:
	v_lshrrev_b32_e32 v6, 24, v9
	s_movk_i32 s7, 0x80
	v_cmp_ne_u32_e32 vcc, s7, v6
	v_bfrev_b32_e32 v20, 1
	s_and_saveexec_b64 s[8:9], vcc
	s_cbranch_execz .LBB559_688
; %bb.685:
	v_bfe_u32 v9, v9, 24, 7
	s_movk_i32 s7, 0x7f
	v_cmp_ne_u32_e32 vcc, s7, v9
	v_mov_b32_e32 v20, 0x7f800001
	s_and_saveexec_b64 s[10:11], vcc
	s_cbranch_execz .LBB559_687
; %bb.686:
	v_and_b32_e32 v23, 7, v6
	v_ffbh_u32_e32 v20, v23
	v_min_u32_e32 v25, 32, v20
	v_subrev_u32_e32 v20, 28, v25
	v_lshlrev_b64 v[20:21], v20, v[6:7]
	v_lshrrev_b32_e32 v24, 3, v9
	v_sub_u32_e32 v21, 29, v25
	v_and_b32_e32 v20, 7, v20
	v_cmp_gt_u32_e32 vcc, 8, v9
	v_cndmask_b32_e32 v9, v24, v21, vcc
	v_cndmask_b32_e32 v20, v23, v20, vcc
	v_lshlrev_b32_e32 v6, 24, v6
	v_bfrev_b32_e32 v21, 60
	v_lshlrev_b32_e32 v20, 20, v20
	v_and_b32_e32 v6, 0x80000000, v6
	v_lshl_add_u32 v9, v9, 23, v21
	v_or3_b32 v20, v6, v9, v20
.LBB559_687:
	s_or_b64 exec, exec, s[10:11]
.LBB559_688:
	s_or_b64 exec, exec, s[8:9]
.LBB559_689:
	s_or_b64 exec, exec, s[2:3]
	v_cvt_pkrtz_f16_f32 v6, v14, v16
	v_cvt_pkrtz_f16_f32 v7, v7, v18
	ds_read_b128 v[28:31], v22 offset:4112
	s_waitcnt vmcnt(0)
	v_cmp_ne_u16_sdwa s[8:9], v2, v15 src0_sel:BYTE_0 src1_sel:DWORD
	s_waitcnt lgkmcnt(0)
	v_mfma_f32_16x16x16f16 v[10:13], v[6:7], v[28:29], v[10:13]
	v_cvt_pkrtz_f16_f32 v6, v17, v19
	v_cvt_pkrtz_f16_f32 v7, v8, v20
	s_nop 1
	v_mfma_f32_16x16x16f16 v[6:9], v[6:7], v[30:31], v[10:13]
	s_and_saveexec_b64 s[2:3], s[8:9]
	s_cbranch_execz .LBB559_695
; %bb.690:
	s_movk_i32 s7, 0x80
	v_cmp_ne_u16_sdwa s[10:11], v2, s7 src0_sel:BYTE_0 src1_sel:DWORD
	v_bfrev_b32_e32 v15, 1
	s_and_saveexec_b64 s[8:9], s[10:11]
	s_cbranch_execz .LBB559_694
; %bb.691:
	s_movk_i32 s7, 0x7f
	v_and_b32_e32 v10, 0x7f, v2
	v_cmp_ne_u32_e32 vcc, s7, v10
	v_mov_b32_e32 v15, 0x7f800001
	s_and_saveexec_b64 s[10:11], vcc
	s_cbranch_execz .LBB559_693
; %bb.692:
	v_and_b32_e32 v11, 7, v2
	v_ffbh_u32_e32 v12, v11
	v_min_u32_e32 v15, 32, v12
	v_subrev_u32_e32 v12, 28, v15
	v_lshlrev_b64 v[12:13], v12, v[2:3]
	v_lshrrev_b32_e32 v14, 3, v10
	v_sub_u32_e32 v13, 29, v15
	v_and_b32_e32 v12, 7, v12
	v_cmp_gt_u32_e32 vcc, 8, v10
	v_cndmask_b32_e32 v10, v14, v13, vcc
	v_cndmask_b32_e32 v11, v11, v12, vcc
	v_lshlrev_b32_e32 v12, 24, v2
	v_bfrev_b32_e32 v13, 60
	v_lshlrev_b32_e32 v11, 20, v11
	v_and_b32_e32 v12, 0x80000000, v12
	v_lshl_add_u32 v10, v10, 23, v13
	v_or3_b32 v15, v12, v10, v11
.LBB559_693:
	s_or_b64 exec, exec, s[10:11]
.LBB559_694:
	s_or_b64 exec, exec, s[8:9]
.LBB559_695:
	s_or_b64 exec, exec, s[2:3]
	s_nop 3
	v_lshrrev_b16_e32 v10, 8, v2
	v_cmp_ne_u16_e32 vcc, 0, v10
	v_mov_b32_e32 v11, 0
	v_mov_b32_e32 v12, 0
	s_and_saveexec_b64 s[2:3], vcc
	s_cbranch_execz .LBB559_701
; %bb.696:
	s_movk_i32 s7, 0x80
	v_cmp_ne_u16_e32 vcc, s7, v10
	v_bfrev_b32_e32 v12, 1
	s_and_saveexec_b64 s[8:9], vcc
	s_cbranch_execz .LBB559_700
; %bb.697:
	s_movk_i32 s7, 0x7f
	v_and_b32_e32 v13, 0x7f, v10
	v_cmp_ne_u32_e32 vcc, s7, v13
	v_mov_b32_e32 v12, 0x7f800001
	s_and_saveexec_b64 s[10:11], vcc
	s_cbranch_execz .LBB559_699
; %bb.698:
	v_and_b32_e32 v12, 7, v10
	v_ffbh_u32_e32 v16, v12
	v_min_u32_e32 v18, 32, v16
	v_subrev_u32_e32 v16, 28, v18
	v_lshlrev_b64 v[16:17], v16, v[10:11]
	v_lshrrev_b32_e32 v14, 3, v13
	v_sub_u32_e32 v10, 29, v18
	v_and_b32_e32 v16, 7, v16
	v_cmp_gt_u32_e32 vcc, 8, v13
	v_cndmask_b32_e32 v10, v14, v10, vcc
	v_cndmask_b32_e32 v12, v12, v16, vcc
	v_lshlrev_b32_e32 v13, 16, v2
	v_bfrev_b32_e32 v14, 60
	v_lshlrev_b32_e32 v12, 20, v12
	v_and_b32_e32 v13, 0x80000000, v13
	v_lshl_add_u32 v10, v10, 23, v14
	v_or3_b32 v12, v13, v10, v12
.LBB559_699:
	s_or_b64 exec, exec, s[10:11]
.LBB559_700:
	s_or_b64 exec, exec, s[8:9]
.LBB559_701:
	s_or_b64 exec, exec, s[2:3]
	s_movk_i32 s2, 0xff
	v_and_b32_sdwa v13, v2, s2 dst_sel:DWORD dst_unused:UNUSED_PAD src0_sel:WORD_1 src1_sel:DWORD
	v_lshrrev_b32_e32 v10, 16, v2
	v_cmp_ne_u16_e32 vcc, 0, v13
	s_and_saveexec_b64 s[2:3], vcc
	s_cbranch_execz .LBB559_707
; %bb.702:
	s_movk_i32 s7, 0x80
	v_cmp_ne_u16_e32 vcc, s7, v13
	v_bfrev_b32_e32 v11, 1
	s_and_saveexec_b64 s[8:9], vcc
	s_cbranch_execz .LBB559_706
; %bb.703:
	v_bfe_u32 v13, v2, 16, 7
	s_movk_i32 s7, 0x7f
	v_cmp_ne_u32_e32 vcc, s7, v13
	v_mov_b32_e32 v11, 0x7f800001
	s_and_saveexec_b64 s[10:11], vcc
	s_cbranch_execz .LBB559_705
; %bb.704:
	v_and_b32_e32 v14, 7, v10
	v_ffbh_u32_e32 v11, v14
	v_min_u32_e32 v17, 32, v11
	v_subrev_u32_e32 v11, 28, v17
	v_lshlrev_b64 v[10:11], v11, v[10:11]
	v_lshrrev_b32_e32 v16, 3, v13
	v_sub_u32_e32 v11, 29, v17
	v_and_b32_e32 v10, 7, v10
	v_cmp_gt_u32_e32 vcc, 8, v13
	v_mov_b32_e32 v13, 24
	v_cndmask_b32_e32 v11, v16, v11, vcc
	v_cndmask_b32_e32 v10, v14, v10, vcc
	v_lshlrev_b32_sdwa v13, v13, v2 dst_sel:DWORD dst_unused:UNUSED_PAD src0_sel:DWORD src1_sel:WORD_1
	v_bfrev_b32_e32 v14, 60
	v_lshlrev_b32_e32 v10, 20, v10
	v_and_b32_e32 v13, 0x80000000, v13
	v_lshl_add_u32 v11, v11, 23, v14
	v_or3_b32 v11, v13, v11, v10
.LBB559_705:
	s_or_b64 exec, exec, s[10:11]
.LBB559_706:
	s_or_b64 exec, exec, s[8:9]
.LBB559_707:
	s_or_b64 exec, exec, s[2:3]
	s_mov_b32 s2, 0xffffff
	v_cmp_lt_u32_e32 vcc, s2, v2
	v_mov_b32_e32 v13, 0
	v_mov_b32_e32 v14, 0
	s_and_saveexec_b64 s[2:3], vcc
	s_cbranch_execz .LBB559_713
; %bb.708:
	v_lshrrev_b32_e32 v10, 24, v2
	s_movk_i32 s7, 0x80
	v_cmp_ne_u32_e32 vcc, s7, v10
	v_bfrev_b32_e32 v14, 1
	s_and_saveexec_b64 s[8:9], vcc
	s_cbranch_execz .LBB559_712
; %bb.709:
	v_bfe_u32 v2, v2, 24, 7
	s_movk_i32 s7, 0x7f
	v_cmp_ne_u32_e32 vcc, s7, v2
	v_mov_b32_e32 v14, 0x7f800001
	s_and_saveexec_b64 s[10:11], vcc
	s_cbranch_execz .LBB559_711
; %bb.710:
	v_and_b32_e32 v14, 7, v10
	v_ffbh_u32_e32 v16, v14
	v_min_u32_e32 v19, 32, v16
	v_subrev_u32_e32 v16, 28, v19
	v_lshlrev_b64 v[16:17], v16, v[10:11]
	v_lshrrev_b32_e32 v18, 3, v2
	v_sub_u32_e32 v17, 29, v19
	v_and_b32_e32 v16, 7, v16
	v_cmp_gt_u32_e32 vcc, 8, v2
	v_cndmask_b32_e32 v2, v18, v17, vcc
	v_cndmask_b32_e32 v14, v14, v16, vcc
	v_lshlrev_b32_e32 v10, 24, v10
	v_bfrev_b32_e32 v16, 60
	v_lshlrev_b32_e32 v14, 20, v14
	v_and_b32_e32 v10, 0x80000000, v10
	v_lshl_add_u32 v2, v2, 23, v16
	v_or3_b32 v14, v10, v2, v14
.LBB559_711:
	s_or_b64 exec, exec, s[10:11]
.LBB559_712:
	s_or_b64 exec, exec, s[8:9]
.LBB559_713:
	s_or_b64 exec, exec, s[2:3]
	v_cmp_ne_u16_sdwa s[8:9], v3, v13 src0_sel:BYTE_0 src1_sel:DWORD
	s_and_saveexec_b64 s[2:3], s[8:9]
	s_cbranch_execz .LBB559_719
; %bb.714:
	s_movk_i32 s7, 0x80
	v_cmp_ne_u16_sdwa s[10:11], v3, s7 src0_sel:BYTE_0 src1_sel:DWORD
	v_bfrev_b32_e32 v13, 1
	s_and_saveexec_b64 s[8:9], s[10:11]
	s_cbranch_execz .LBB559_718
; %bb.715:
	s_movk_i32 s7, 0x7f
	v_and_b32_e32 v2, 0x7f, v3
	v_cmp_ne_u32_e32 vcc, s7, v2
	v_mov_b32_e32 v13, 0x7f800001
	s_and_saveexec_b64 s[10:11], vcc
	s_cbranch_execz .LBB559_717
; %bb.716:
	v_and_b32_e32 v13, 7, v3
	v_ffbh_u32_e32 v16, v13
	v_min_u32_e32 v19, 32, v16
	v_mov_b32_e32 v10, v3
	v_subrev_u32_e32 v16, 28, v19
	v_lshlrev_b64 v[16:17], v16, v[10:11]
	v_lshrrev_b32_e32 v18, 3, v2
	v_sub_u32_e32 v10, 29, v19
	v_and_b32_e32 v16, 7, v16
	v_cmp_gt_u32_e32 vcc, 8, v2
	v_cndmask_b32_e32 v2, v18, v10, vcc
	v_cndmask_b32_e32 v10, v13, v16, vcc
	v_lshlrev_b32_e32 v13, 24, v3
	v_bfrev_b32_e32 v16, 60
	v_lshlrev_b32_e32 v10, 20, v10
	v_and_b32_e32 v13, 0x80000000, v13
	v_lshl_add_u32 v2, v2, 23, v16
	v_or3_b32 v13, v13, v2, v10
.LBB559_717:
	s_or_b64 exec, exec, s[10:11]
.LBB559_718:
	s_or_b64 exec, exec, s[8:9]
.LBB559_719:
	s_or_b64 exec, exec, s[2:3]
	v_lshrrev_b16_e32 v2, 8, v3
	v_cmp_ne_u16_e32 vcc, 0, v2
	v_mov_b32_e32 v16, 0
	v_mov_b32_e32 v17, 0
	s_and_saveexec_b64 s[2:3], vcc
	s_cbranch_execz .LBB559_725
; %bb.720:
	s_movk_i32 s7, 0x80
	v_cmp_ne_u16_e32 vcc, s7, v2
	v_bfrev_b32_e32 v17, 1
	s_and_saveexec_b64 s[8:9], vcc
	s_cbranch_execz .LBB559_724
; %bb.721:
	s_movk_i32 s7, 0x7f
	v_and_b32_e32 v10, 0x7f, v2
	v_cmp_ne_u32_e32 vcc, s7, v10
	v_mov_b32_e32 v17, 0x7f800001
	s_and_saveexec_b64 s[10:11], vcc
	s_cbranch_execz .LBB559_723
; %bb.722:
	v_and_b32_e32 v17, 7, v2
	v_ffbh_u32_e32 v18, v17
	v_min_u32_e32 v21, 32, v18
	v_subrev_u32_e32 v18, 28, v21
	v_lshlrev_b64 v[18:19], v18, v[2:3]
	v_lshrrev_b32_e32 v20, 3, v10
	v_sub_u32_e32 v2, 29, v21
	v_and_b32_e32 v18, 7, v18
	v_cmp_gt_u32_e32 vcc, 8, v10
	v_cndmask_b32_e32 v2, v20, v2, vcc
	v_cndmask_b32_e32 v10, v17, v18, vcc
	v_lshlrev_b32_e32 v17, 16, v3
	v_bfrev_b32_e32 v18, 60
	v_lshlrev_b32_e32 v10, 20, v10
	v_and_b32_e32 v17, 0x80000000, v17
	v_lshl_add_u32 v2, v2, 23, v18
	v_or3_b32 v17, v17, v2, v10
.LBB559_723:
	s_or_b64 exec, exec, s[10:11]
.LBB559_724:
	s_or_b64 exec, exec, s[8:9]
.LBB559_725:
	s_or_b64 exec, exec, s[2:3]
	s_movk_i32 s2, 0xff
	v_and_b32_sdwa v10, v3, s2 dst_sel:DWORD dst_unused:UNUSED_PAD src0_sel:WORD_1 src1_sel:DWORD
	v_lshrrev_b32_e32 v2, 16, v3
	v_cmp_ne_u16_e32 vcc, 0, v10
	s_and_saveexec_b64 s[2:3], vcc
	s_cbranch_execz .LBB559_731
; %bb.726:
	s_movk_i32 s7, 0x80
	v_cmp_ne_u16_e32 vcc, s7, v10
	v_bfrev_b32_e32 v16, 1
	s_and_saveexec_b64 s[8:9], vcc
	s_cbranch_execz .LBB559_730
; %bb.727:
	v_bfe_u32 v10, v3, 16, 7
	s_movk_i32 s7, 0x7f
	v_cmp_ne_u32_e32 vcc, s7, v10
	v_mov_b32_e32 v16, 0x7f800001
	s_and_saveexec_b64 s[10:11], vcc
	s_cbranch_execz .LBB559_729
; %bb.728:
	v_and_b32_e32 v16, 7, v2
	v_ffbh_u32_e32 v18, v16
	v_min_u32_e32 v21, 32, v18
	v_subrev_u32_e32 v18, 28, v21
	v_lshlrev_b64 v[18:19], v18, v[2:3]
	v_and_b32_e32 v18, 7, v18
	v_cmp_gt_u32_e32 vcc, 8, v10
	v_lshrrev_b32_e32 v20, 3, v10
	v_sub_u32_e32 v2, 29, v21
	v_cndmask_b32_e32 v10, v16, v18, vcc
	v_mov_b32_e32 v16, 24
	v_cndmask_b32_e32 v2, v20, v2, vcc
	v_lshlrev_b32_sdwa v16, v16, v3 dst_sel:DWORD dst_unused:UNUSED_PAD src0_sel:DWORD src1_sel:WORD_1
	v_bfrev_b32_e32 v18, 60
	v_lshlrev_b32_e32 v10, 20, v10
	v_and_b32_e32 v16, 0x80000000, v16
	v_lshl_add_u32 v2, v2, 23, v18
	v_or3_b32 v16, v16, v2, v10
.LBB559_729:
	s_or_b64 exec, exec, s[10:11]
.LBB559_730:
	s_or_b64 exec, exec, s[8:9]
.LBB559_731:
	s_or_b64 exec, exec, s[2:3]
	s_mov_b32 s2, 0xffffff
	v_cmp_lt_u32_e32 vcc, s2, v3
	v_mov_b32_e32 v10, 0
	v_mov_b32_e32 v18, 0
	s_and_saveexec_b64 s[2:3], vcc
	s_cbranch_execz .LBB559_737
; %bb.732:
	v_lshrrev_b32_e32 v2, 24, v3
	s_movk_i32 s7, 0x80
	v_cmp_ne_u32_e32 vcc, s7, v2
	v_bfrev_b32_e32 v18, 1
	s_and_saveexec_b64 s[8:9], vcc
	s_cbranch_execz .LBB559_736
; %bb.733:
	v_bfe_u32 v3, v3, 24, 7
	s_movk_i32 s7, 0x7f
	v_cmp_ne_u32_e32 vcc, s7, v3
	v_mov_b32_e32 v18, 0x7f800001
	s_and_saveexec_b64 s[10:11], vcc
	s_cbranch_execz .LBB559_735
; %bb.734:
	v_and_b32_e32 v20, 7, v2
	v_ffbh_u32_e32 v18, v20
	v_min_u32_e32 v23, 32, v18
	v_subrev_u32_e32 v18, 28, v23
	v_lshlrev_b64 v[18:19], v18, v[2:3]
	v_lshrrev_b32_e32 v21, 3, v3
	v_sub_u32_e32 v19, 29, v23
	v_and_b32_e32 v18, 7, v18
	v_cmp_gt_u32_e32 vcc, 8, v3
	v_cndmask_b32_e32 v3, v21, v19, vcc
	v_cndmask_b32_e32 v18, v20, v18, vcc
	v_lshlrev_b32_e32 v2, 24, v2
	v_bfrev_b32_e32 v19, 60
	v_lshlrev_b32_e32 v18, 20, v18
	v_and_b32_e32 v2, 0x80000000, v2
	v_lshl_add_u32 v3, v3, 23, v19
	v_or3_b32 v18, v2, v3, v18
.LBB559_735:
	s_or_b64 exec, exec, s[10:11]
.LBB559_736:
	s_or_b64 exec, exec, s[8:9]
.LBB559_737:
	s_or_b64 exec, exec, s[2:3]
	v_cvt_pkrtz_f16_f32 v2, v15, v12
	v_cvt_pkrtz_f16_f32 v3, v11, v14
	ds_read_b128 v[28:31], v22 offset:6144
	v_cmp_ne_u16_sdwa s[8:9], v4, v10 src0_sel:BYTE_0 src1_sel:DWORD
	s_waitcnt lgkmcnt(0)
	v_mfma_f32_16x16x16f16 v[6:9], v[2:3], v[28:29], v[6:9]
	v_cvt_pkrtz_f16_f32 v2, v13, v17
	v_cvt_pkrtz_f16_f32 v3, v16, v18
	s_nop 1
	v_mfma_f32_16x16x16f16 v[6:9], v[2:3], v[30:31], v[6:9]
	s_and_saveexec_b64 s[2:3], s[8:9]
	s_cbranch_execz .LBB559_743
; %bb.738:
	s_movk_i32 s7, 0x80
	v_cmp_ne_u16_sdwa s[10:11], v4, s7 src0_sel:BYTE_0 src1_sel:DWORD
	v_bfrev_b32_e32 v10, 1
	s_and_saveexec_b64 s[8:9], s[10:11]
	s_cbranch_execz .LBB559_742
; %bb.739:
	s_movk_i32 s7, 0x7f
	v_and_b32_e32 v2, 0x7f, v4
	v_cmp_ne_u32_e32 vcc, s7, v2
	v_mov_b32_e32 v10, 0x7f800001
	s_and_saveexec_b64 s[10:11], vcc
	s_cbranch_execz .LBB559_741
; %bb.740:
	v_and_b32_e32 v3, 7, v4
	v_ffbh_u32_e32 v10, v3
	v_min_u32_e32 v13, 32, v10
	v_subrev_u32_e32 v10, 28, v13
	v_lshlrev_b64 v[10:11], v10, v[4:5]
	v_lshrrev_b32_e32 v12, 3, v2
	v_sub_u32_e32 v11, 29, v13
	v_and_b32_e32 v10, 7, v10
	v_cmp_gt_u32_e32 vcc, 8, v2
	v_cndmask_b32_e32 v2, v12, v11, vcc
	v_cndmask_b32_e32 v3, v3, v10, vcc
	v_lshlrev_b32_e32 v10, 24, v4
	v_bfrev_b32_e32 v11, 60
	v_lshlrev_b32_e32 v3, 20, v3
	v_and_b32_e32 v10, 0x80000000, v10
	v_lshl_add_u32 v2, v2, 23, v11
	v_or3_b32 v10, v10, v2, v3
.LBB559_741:
	s_or_b64 exec, exec, s[10:11]
.LBB559_742:
	s_or_b64 exec, exec, s[8:9]
.LBB559_743:
	s_or_b64 exec, exec, s[2:3]
	v_lshrrev_b16_e32 v2, 8, v4
	v_cmp_ne_u16_e32 vcc, 0, v2
	v_mov_b32_e32 v3, 0
	v_mov_b32_e32 v11, 0
	s_and_saveexec_b64 s[2:3], vcc
	s_cbranch_execz .LBB559_749
; %bb.744:
	s_movk_i32 s7, 0x80
	v_cmp_ne_u16_e32 vcc, s7, v2
	v_bfrev_b32_e32 v11, 1
	s_and_saveexec_b64 s[8:9], vcc
	s_cbranch_execz .LBB559_748
; %bb.745:
	s_movk_i32 s7, 0x7f
	v_and_b32_e32 v12, 0x7f, v2
	v_cmp_ne_u32_e32 vcc, s7, v12
	v_mov_b32_e32 v11, 0x7f800001
	s_and_saveexec_b64 s[10:11], vcc
	s_cbranch_execz .LBB559_747
; %bb.746:
	v_and_b32_e32 v11, 7, v2
	v_ffbh_u32_e32 v14, v11
	v_min_u32_e32 v16, 32, v14
	v_subrev_u32_e32 v14, 28, v16
	v_lshlrev_b64 v[14:15], v14, v[2:3]
	v_lshrrev_b32_e32 v13, 3, v12
	v_sub_u32_e32 v2, 29, v16
	v_and_b32_e32 v14, 7, v14
	v_cmp_gt_u32_e32 vcc, 8, v12
	v_cndmask_b32_e32 v2, v13, v2, vcc
	v_cndmask_b32_e32 v11, v11, v14, vcc
	v_lshlrev_b32_e32 v12, 16, v4
	v_bfrev_b32_e32 v13, 60
	v_lshlrev_b32_e32 v11, 20, v11
	v_and_b32_e32 v12, 0x80000000, v12
	v_lshl_add_u32 v2, v2, 23, v13
	v_or3_b32 v11, v12, v2, v11
.LBB559_747:
	s_or_b64 exec, exec, s[10:11]
.LBB559_748:
	s_or_b64 exec, exec, s[8:9]
.LBB559_749:
	s_or_b64 exec, exec, s[2:3]
	s_movk_i32 s2, 0xff
	v_and_b32_sdwa v12, v4, s2 dst_sel:DWORD dst_unused:UNUSED_PAD src0_sel:WORD_1 src1_sel:DWORD
	v_lshrrev_b32_e32 v2, 16, v4
	v_cmp_ne_u16_e32 vcc, 0, v12
	s_and_saveexec_b64 s[2:3], vcc
	s_cbranch_execz .LBB559_755
; %bb.750:
	s_movk_i32 s7, 0x80
	v_cmp_ne_u16_e32 vcc, s7, v12
	v_bfrev_b32_e32 v3, 1
	s_and_saveexec_b64 s[8:9], vcc
	s_cbranch_execz .LBB559_754
; %bb.751:
	v_bfe_u32 v12, v4, 16, 7
	s_movk_i32 s7, 0x7f
	v_cmp_ne_u32_e32 vcc, s7, v12
	v_mov_b32_e32 v3, 0x7f800001
	s_and_saveexec_b64 s[10:11], vcc
	s_cbranch_execz .LBB559_753
; %bb.752:
	v_and_b32_e32 v13, 7, v2
	v_ffbh_u32_e32 v3, v13
	v_min_u32_e32 v15, 32, v3
	v_subrev_u32_e32 v3, 28, v15
	v_lshlrev_b64 v[2:3], v3, v[2:3]
	v_lshrrev_b32_e32 v14, 3, v12
	v_sub_u32_e32 v3, 29, v15
	v_and_b32_e32 v2, 7, v2
	v_cmp_gt_u32_e32 vcc, 8, v12
	v_mov_b32_e32 v12, 24
	v_cndmask_b32_e32 v3, v14, v3, vcc
	v_cndmask_b32_e32 v2, v13, v2, vcc
	v_lshlrev_b32_sdwa v12, v12, v4 dst_sel:DWORD dst_unused:UNUSED_PAD src0_sel:DWORD src1_sel:WORD_1
	v_bfrev_b32_e32 v13, 60
	v_lshlrev_b32_e32 v2, 20, v2
	v_and_b32_e32 v12, 0x80000000, v12
	v_lshl_add_u32 v3, v3, 23, v13
	v_or3_b32 v3, v12, v3, v2
.LBB559_753:
	s_or_b64 exec, exec, s[10:11]
.LBB559_754:
	s_or_b64 exec, exec, s[8:9]
.LBB559_755:
	s_or_b64 exec, exec, s[2:3]
	s_mov_b32 s2, 0xffffff
	v_cmp_lt_u32_e32 vcc, s2, v4
	v_mov_b32_e32 v12, 0
	v_mov_b32_e32 v13, 0
	s_and_saveexec_b64 s[2:3], vcc
	s_cbranch_execz .LBB559_761
; %bb.756:
	v_lshrrev_b32_e32 v2, 24, v4
	s_movk_i32 s7, 0x80
	v_cmp_ne_u32_e32 vcc, s7, v2
	v_bfrev_b32_e32 v13, 1
	s_and_saveexec_b64 s[8:9], vcc
	s_cbranch_execz .LBB559_760
; %bb.757:
	v_bfe_u32 v4, v4, 24, 7
	s_movk_i32 s7, 0x7f
	v_cmp_ne_u32_e32 vcc, s7, v4
	v_mov_b32_e32 v13, 0x7f800001
	s_and_saveexec_b64 s[10:11], vcc
	s_cbranch_execz .LBB559_759
; %bb.758:
	v_and_b32_e32 v13, 7, v2
	v_ffbh_u32_e32 v14, v13
	v_min_u32_e32 v17, 32, v14
	v_subrev_u32_e32 v14, 28, v17
	v_lshlrev_b64 v[14:15], v14, v[2:3]
	v_lshrrev_b32_e32 v16, 3, v4
	v_sub_u32_e32 v15, 29, v17
	v_and_b32_e32 v14, 7, v14
	v_cmp_gt_u32_e32 vcc, 8, v4
	v_cndmask_b32_e32 v4, v16, v15, vcc
	v_cndmask_b32_e32 v13, v13, v14, vcc
	v_lshlrev_b32_e32 v2, 24, v2
	v_bfrev_b32_e32 v14, 60
	v_lshlrev_b32_e32 v13, 20, v13
	v_and_b32_e32 v2, 0x80000000, v2
	v_lshl_add_u32 v4, v4, 23, v14
	v_or3_b32 v13, v2, v4, v13
.LBB559_759:
	s_or_b64 exec, exec, s[10:11]
.LBB559_760:
	s_or_b64 exec, exec, s[8:9]
.LBB559_761:
	s_or_b64 exec, exec, s[2:3]
	v_cmp_ne_u16_sdwa s[8:9], v5, v12 src0_sel:BYTE_0 src1_sel:DWORD
	s_and_saveexec_b64 s[2:3], s[8:9]
	s_cbranch_execz .LBB559_767
; %bb.762:
	s_movk_i32 s7, 0x80
	v_cmp_ne_u16_sdwa s[10:11], v5, s7 src0_sel:BYTE_0 src1_sel:DWORD
	v_bfrev_b32_e32 v12, 1
	s_and_saveexec_b64 s[8:9], s[10:11]
	s_cbranch_execz .LBB559_766
; %bb.763:
	s_movk_i32 s7, 0x7f
	v_and_b32_e32 v2, 0x7f, v5
	v_cmp_ne_u32_e32 vcc, s7, v2
	v_mov_b32_e32 v12, 0x7f800001
	s_and_saveexec_b64 s[10:11], vcc
	s_cbranch_execz .LBB559_765
; %bb.764:
	v_and_b32_e32 v12, 7, v5
	v_ffbh_u32_e32 v14, v12
	v_min_u32_e32 v17, 32, v14
	v_mov_b32_e32 v4, v5
	v_subrev_u32_e32 v14, 28, v17
	v_lshlrev_b64 v[14:15], v14, v[4:5]
	v_lshrrev_b32_e32 v16, 3, v2
	v_sub_u32_e32 v4, 29, v17
	v_and_b32_e32 v14, 7, v14
	v_cmp_gt_u32_e32 vcc, 8, v2
	v_cndmask_b32_e32 v2, v16, v4, vcc
	v_cndmask_b32_e32 v4, v12, v14, vcc
	v_lshlrev_b32_e32 v12, 24, v5
	v_bfrev_b32_e32 v14, 60
	v_lshlrev_b32_e32 v4, 20, v4
	v_and_b32_e32 v12, 0x80000000, v12
	v_lshl_add_u32 v2, v2, 23, v14
	v_or3_b32 v12, v12, v2, v4
.LBB559_765:
	s_or_b64 exec, exec, s[10:11]
.LBB559_766:
	s_or_b64 exec, exec, s[8:9]
.LBB559_767:
	s_or_b64 exec, exec, s[2:3]
	v_lshrrev_b16_e32 v2, 8, v5
	v_cmp_ne_u16_e32 vcc, 0, v2
	v_mov_b32_e32 v4, 0
	v_mov_b32_e32 v14, 0
	s_and_saveexec_b64 s[2:3], vcc
	s_cbranch_execz .LBB559_773
; %bb.768:
	s_movk_i32 s7, 0x80
	v_cmp_ne_u16_e32 vcc, s7, v2
	v_bfrev_b32_e32 v14, 1
	s_and_saveexec_b64 s[8:9], vcc
	s_cbranch_execz .LBB559_772
; %bb.769:
	s_movk_i32 s7, 0x7f
	v_and_b32_e32 v15, 0x7f, v2
	v_cmp_ne_u32_e32 vcc, s7, v15
	v_mov_b32_e32 v14, 0x7f800001
	s_and_saveexec_b64 s[10:11], vcc
	s_cbranch_execz .LBB559_771
; %bb.770:
	v_and_b32_e32 v14, 7, v2
	v_ffbh_u32_e32 v16, v14
	v_min_u32_e32 v19, 32, v16
	v_subrev_u32_e32 v16, 28, v19
	v_lshlrev_b64 v[16:17], v16, v[2:3]
	v_lshrrev_b32_e32 v18, 3, v15
	v_sub_u32_e32 v2, 29, v19
	v_and_b32_e32 v16, 7, v16
	v_cmp_gt_u32_e32 vcc, 8, v15
	v_cndmask_b32_e32 v2, v18, v2, vcc
	v_cndmask_b32_e32 v14, v14, v16, vcc
	v_lshlrev_b32_e32 v15, 16, v5
	v_bfrev_b32_e32 v16, 60
	v_lshlrev_b32_e32 v14, 20, v14
	v_and_b32_e32 v15, 0x80000000, v15
	v_lshl_add_u32 v2, v2, 23, v16
	v_or3_b32 v14, v15, v2, v14
.LBB559_771:
	s_or_b64 exec, exec, s[10:11]
.LBB559_772:
	s_or_b64 exec, exec, s[8:9]
.LBB559_773:
	s_or_b64 exec, exec, s[2:3]
	s_movk_i32 s2, 0xff
	v_and_b32_sdwa v15, v5, s2 dst_sel:DWORD dst_unused:UNUSED_PAD src0_sel:WORD_1 src1_sel:DWORD
	v_lshrrev_b32_e32 v2, 16, v5
	v_cmp_ne_u16_e32 vcc, 0, v15
	s_and_saveexec_b64 s[2:3], vcc
	s_cbranch_execz .LBB559_779
; %bb.774:
	s_movk_i32 s7, 0x80
	v_cmp_ne_u16_e32 vcc, s7, v15
	v_bfrev_b32_e32 v4, 1
	s_and_saveexec_b64 s[8:9], vcc
	s_cbranch_execz .LBB559_778
; %bb.775:
	v_bfe_u32 v15, v5, 16, 7
	s_movk_i32 s7, 0x7f
	v_cmp_ne_u32_e32 vcc, s7, v15
	v_mov_b32_e32 v4, 0x7f800001
	s_and_saveexec_b64 s[10:11], vcc
	s_cbranch_execz .LBB559_777
; %bb.776:
	v_and_b32_e32 v4, 7, v2
	v_ffbh_u32_e32 v16, v4
	v_min_u32_e32 v19, 32, v16
	v_subrev_u32_e32 v16, 28, v19
	v_lshlrev_b64 v[16:17], v16, v[2:3]
	v_lshrrev_b32_e32 v18, 3, v15
	v_sub_u32_e32 v2, 29, v19
	v_and_b32_e32 v16, 7, v16
	v_cmp_gt_u32_e32 vcc, 8, v15
	v_mov_b32_e32 v15, 24
	v_cndmask_b32_e32 v2, v18, v2, vcc
	v_cndmask_b32_e32 v4, v4, v16, vcc
	v_lshlrev_b32_sdwa v15, v15, v5 dst_sel:DWORD dst_unused:UNUSED_PAD src0_sel:DWORD src1_sel:WORD_1
	v_bfrev_b32_e32 v16, 60
	v_lshlrev_b32_e32 v4, 20, v4
	v_and_b32_e32 v15, 0x80000000, v15
	v_lshl_add_u32 v2, v2, 23, v16
	v_or3_b32 v4, v15, v2, v4
.LBB559_777:
	s_or_b64 exec, exec, s[10:11]
.LBB559_778:
	s_or_b64 exec, exec, s[8:9]
.LBB559_779:
	s_or_b64 exec, exec, s[2:3]
	s_mov_b32 s2, 0xffffff
	v_cmp_lt_u32_e32 vcc, s2, v5
	v_mov_b32_e32 v15, 0
	s_and_saveexec_b64 s[2:3], vcc
	s_cbranch_execz .LBB559_785
; %bb.780:
	v_lshrrev_b32_e32 v2, 24, v5
	s_movk_i32 s7, 0x80
	v_cmp_ne_u32_e32 vcc, s7, v2
	v_bfrev_b32_e32 v15, 1
	s_and_saveexec_b64 s[8:9], vcc
	s_cbranch_execz .LBB559_784
; %bb.781:
	v_bfe_u32 v5, v5, 24, 7
	s_movk_i32 s7, 0x7f
	v_cmp_ne_u32_e32 vcc, s7, v5
	v_mov_b32_e32 v15, 0x7f800001
	s_and_saveexec_b64 s[10:11], vcc
	s_cbranch_execz .LBB559_783
; %bb.782:
	v_and_b32_e32 v15, 7, v2
	v_ffbh_u32_e32 v16, v15
	v_min_u32_e32 v19, 32, v16
	v_subrev_u32_e32 v16, 28, v19
	v_lshlrev_b64 v[16:17], v16, v[2:3]
	v_lshrrev_b32_e32 v18, 3, v5
	v_sub_u32_e32 v17, 29, v19
	v_and_b32_e32 v16, 7, v16
	v_cmp_gt_u32_e32 vcc, 8, v5
	v_cndmask_b32_e32 v5, v18, v17, vcc
	v_cndmask_b32_e32 v15, v15, v16, vcc
	v_lshlrev_b32_e32 v2, 24, v2
	v_bfrev_b32_e32 v16, 60
	v_lshlrev_b32_e32 v15, 20, v15
	v_and_b32_e32 v2, 0x80000000, v2
	v_lshl_add_u32 v5, v5, 23, v16
	v_or3_b32 v15, v2, v5, v15
.LBB559_783:
	s_or_b64 exec, exec, s[10:11]
.LBB559_784:
	s_or_b64 exec, exec, s[8:9]
.LBB559_785:
	s_or_b64 exec, exec, s[2:3]
	v_cvt_pkrtz_f16_f32 v2, v10, v11
	v_cvt_pkrtz_f16_f32 v3, v3, v13
	ds_read_b128 v[16:19], v22 offset:6160
	s_load_dword s2, s[42:43], 0x0
	v_cmp_gt_u32_e32 vcc, 64, v0
	s_waitcnt lgkmcnt(0)
	v_mfma_f32_16x16x16f16 v[6:9], v[2:3], v[16:17], v[6:9]
	v_cvt_pkrtz_f16_f32 v2, v12, v14
	v_cvt_pkrtz_f16_f32 v3, v4, v15
	s_barrier
	s_nop 0
	v_mfma_f32_16x16x16f16 v[2:5], v[2:3], v[18:19], v[6:9]
	s_nop 7
	s_nop 2
	v_pk_mul_f32 v[4:5], v[4:5], s[2:3] op_sel_hi:[1,0]
	v_pk_mul_f32 v[2:3], v[2:3], s[2:3] op_sel_hi:[1,0]
	v_cvt_f16_f32_e32 v2, v2
	v_cvt_f16_f32_e32 v3, v3
	v_cvt_f16_f32_e32 v4, v4
	v_cvt_f16_f32_e32 v5, v5
	v_cmp_gt_u32_e64 s[2:3], 32, v42
	s_and_b64 s[2:3], s[2:3], vcc
	v_pack_b32_f16 v2, v2, v3
	v_pack_b32_f16 v3, v4, v5
	s_and_b64 s[0:1], s[2:3], s[0:1]
	ds_write_b64 v26, v[2:3]
	s_waitcnt lgkmcnt(0)
	s_barrier
	s_and_saveexec_b64 s[2:3], s[0:1]
	s_cbranch_execz .LBB559_787
; %bb.786:
	s_load_dwordx2 s[0:1], s[4:5], 0x68
	s_mul_i32 s2, s12, s6
	s_lshl_b32 s4, s44, 6
	s_mul_hi_u32 s3, s2, s4
	s_mul_i32 s2, s2, s4
	s_lshl_b64 s[2:3], s[2:3], 1
	v_lshlrev_b32_e32 v0, 10, v0
	s_waitcnt lgkmcnt(0)
	s_add_u32 s2, s0, s2
	v_and_b32_e32 v0, 0x1800, v0
	v_lshlrev_b32_e32 v2, 5, v1
	v_and_b32_e32 v3, 16, v47
	s_addc_u32 s3, s1, s3
	s_lshl_b32 s0, s24, 6
	s_mov_b32 s1, 0
	v_or3_b32 v0, v0, v2, v3
	s_lshl_b64 s[0:1], s[0:1], 1
	ds_read_b128 v[2:5], v0
	s_add_u32 s2, s2, s0
	v_or_b32_e32 v0, s25, v1
	s_addc_u32 s3, s3, s1
	v_mad_u64_u32 v[0:1], s[0:1], s4, v0, 0
	v_lshlrev_b64 v[0:1], 1, v[0:1]
	v_mov_b32_e32 v6, s3
	v_add_co_u32_e32 v0, vcc, s2, v0
	v_addc_co_u32_e32 v1, vcc, v6, v1, vcc
	v_add_co_u32_e32 v0, vcc, v0, v46
	v_addc_co_u32_e32 v1, vcc, 0, v1, vcc
	s_waitcnt lgkmcnt(0)
	global_store_dwordx4 v[0:1], v[2:5], off
.LBB559_787:
	s_endpgm
	.section	.rodata,"a",@progbits
	.p2align	6, 0x0
	.amdhsa_kernel _Z39paged_attention_ll4mi_QKV_mfma16_kernelIDF16_hLN4vllm18Fp8KVCacheDataTypeE1EDF16_Li16ELi64ELi256ELb1ELi2EL8MFMAType0EEvPKT_PKT0_S8_ifPKiSA_SA_iPKfiiiPfSD_PS3_PT2_iSC_SC_
		.amdhsa_group_segment_fixed_size 8192
		.amdhsa_private_segment_fixed_size 0
		.amdhsa_kernarg_size 400
		.amdhsa_user_sgpr_count 6
		.amdhsa_user_sgpr_private_segment_buffer 1
		.amdhsa_user_sgpr_dispatch_ptr 0
		.amdhsa_user_sgpr_queue_ptr 0
		.amdhsa_user_sgpr_kernarg_segment_ptr 1
		.amdhsa_user_sgpr_dispatch_id 0
		.amdhsa_user_sgpr_flat_scratch_init 0
		.amdhsa_user_sgpr_kernarg_preload_length 0
		.amdhsa_user_sgpr_kernarg_preload_offset 0
		.amdhsa_user_sgpr_private_segment_size 0
		.amdhsa_uses_dynamic_stack 0
		.amdhsa_system_sgpr_private_segment_wavefront_offset 0
		.amdhsa_system_sgpr_workgroup_id_x 1
		.amdhsa_system_sgpr_workgroup_id_y 1
		.amdhsa_system_sgpr_workgroup_id_z 1
		.amdhsa_system_sgpr_workgroup_info 0
		.amdhsa_system_vgpr_workitem_id 0
		.amdhsa_next_free_vgpr 62
		.amdhsa_next_free_sgpr 47
		.amdhsa_accum_offset 64
		.amdhsa_reserve_vcc 1
		.amdhsa_reserve_flat_scratch 0
		.amdhsa_float_round_mode_32 0
		.amdhsa_float_round_mode_16_64 0
		.amdhsa_float_denorm_mode_32 3
		.amdhsa_float_denorm_mode_16_64 3
		.amdhsa_dx10_clamp 1
		.amdhsa_ieee_mode 1
		.amdhsa_fp16_overflow 0
		.amdhsa_tg_split 0
		.amdhsa_exception_fp_ieee_invalid_op 0
		.amdhsa_exception_fp_denorm_src 0
		.amdhsa_exception_fp_ieee_div_zero 0
		.amdhsa_exception_fp_ieee_overflow 0
		.amdhsa_exception_fp_ieee_underflow 0
		.amdhsa_exception_fp_ieee_inexact 0
		.amdhsa_exception_int_div_zero 0
	.end_amdhsa_kernel
	.section	.text._Z39paged_attention_ll4mi_QKV_mfma16_kernelIDF16_hLN4vllm18Fp8KVCacheDataTypeE1EDF16_Li16ELi64ELi256ELb1ELi2EL8MFMAType0EEvPKT_PKT0_S8_ifPKiSA_SA_iPKfiiiPfSD_PS3_PT2_iSC_SC_,"axG",@progbits,_Z39paged_attention_ll4mi_QKV_mfma16_kernelIDF16_hLN4vllm18Fp8KVCacheDataTypeE1EDF16_Li16ELi64ELi256ELb1ELi2EL8MFMAType0EEvPKT_PKT0_S8_ifPKiSA_SA_iPKfiiiPfSD_PS3_PT2_iSC_SC_,comdat
.Lfunc_end559:
	.size	_Z39paged_attention_ll4mi_QKV_mfma16_kernelIDF16_hLN4vllm18Fp8KVCacheDataTypeE1EDF16_Li16ELi64ELi256ELb1ELi2EL8MFMAType0EEvPKT_PKT0_S8_ifPKiSA_SA_iPKfiiiPfSD_PS3_PT2_iSC_SC_, .Lfunc_end559-_Z39paged_attention_ll4mi_QKV_mfma16_kernelIDF16_hLN4vllm18Fp8KVCacheDataTypeE1EDF16_Li16ELi64ELi256ELb1ELi2EL8MFMAType0EEvPKT_PKT0_S8_ifPKiSA_SA_iPKfiiiPfSD_PS3_PT2_iSC_SC_
                                        ; -- End function
	.section	.AMDGPU.csdata,"",@progbits
; Kernel info:
; codeLenInByte = 27176
; NumSgprs: 51
; NumVgprs: 62
; NumAgprs: 0
; TotalNumVgprs: 62
; ScratchSize: 0
; MemoryBound: 0
; FloatMode: 240
; IeeeMode: 1
; LDSByteSize: 8192 bytes/workgroup (compile time only)
; SGPRBlocks: 6
; VGPRBlocks: 7
; NumSGPRsForWavesPerEU: 51
; NumVGPRsForWavesPerEU: 62
; AccumOffset: 64
; Occupancy: 8
; WaveLimiterHint : 1
; COMPUTE_PGM_RSRC2:SCRATCH_EN: 0
; COMPUTE_PGM_RSRC2:USER_SGPR: 6
; COMPUTE_PGM_RSRC2:TRAP_HANDLER: 0
; COMPUTE_PGM_RSRC2:TGID_X_EN: 1
; COMPUTE_PGM_RSRC2:TGID_Y_EN: 1
; COMPUTE_PGM_RSRC2:TGID_Z_EN: 1
; COMPUTE_PGM_RSRC2:TIDIG_COMP_CNT: 0
; COMPUTE_PGM_RSRC3_GFX90A:ACCUM_OFFSET: 15
; COMPUTE_PGM_RSRC3_GFX90A:TG_SPLIT: 0
	.section	.text._Z39paged_attention_ll4mi_QKV_mfma16_kernelIDF16_hLN4vllm18Fp8KVCacheDataTypeE1EDF16_Li16ELi64ELi256ELb1ELi3EL8MFMAType0EEvPKT_PKT0_S8_ifPKiSA_SA_iPKfiiiPfSD_PS3_PT2_iSC_SC_,"axG",@progbits,_Z39paged_attention_ll4mi_QKV_mfma16_kernelIDF16_hLN4vllm18Fp8KVCacheDataTypeE1EDF16_Li16ELi64ELi256ELb1ELi3EL8MFMAType0EEvPKT_PKT0_S8_ifPKiSA_SA_iPKfiiiPfSD_PS3_PT2_iSC_SC_,comdat
	.protected	_Z39paged_attention_ll4mi_QKV_mfma16_kernelIDF16_hLN4vllm18Fp8KVCacheDataTypeE1EDF16_Li16ELi64ELi256ELb1ELi3EL8MFMAType0EEvPKT_PKT0_S8_ifPKiSA_SA_iPKfiiiPfSD_PS3_PT2_iSC_SC_ ; -- Begin function _Z39paged_attention_ll4mi_QKV_mfma16_kernelIDF16_hLN4vllm18Fp8KVCacheDataTypeE1EDF16_Li16ELi64ELi256ELb1ELi3EL8MFMAType0EEvPKT_PKT0_S8_ifPKiSA_SA_iPKfiiiPfSD_PS3_PT2_iSC_SC_
	.globl	_Z39paged_attention_ll4mi_QKV_mfma16_kernelIDF16_hLN4vllm18Fp8KVCacheDataTypeE1EDF16_Li16ELi64ELi256ELb1ELi3EL8MFMAType0EEvPKT_PKT0_S8_ifPKiSA_SA_iPKfiiiPfSD_PS3_PT2_iSC_SC_
	.p2align	8
	.type	_Z39paged_attention_ll4mi_QKV_mfma16_kernelIDF16_hLN4vllm18Fp8KVCacheDataTypeE1EDF16_Li16ELi64ELi256ELb1ELi3EL8MFMAType0EEvPKT_PKT0_S8_ifPKiSA_SA_iPKfiiiPfSD_PS3_PT2_iSC_SC_,@function
_Z39paged_attention_ll4mi_QKV_mfma16_kernelIDF16_hLN4vllm18Fp8KVCacheDataTypeE1EDF16_Li16ELi64ELi256ELb1ELi3EL8MFMAType0EEvPKT_PKT0_S8_ifPKiSA_SA_iPKfiiiPfSD_PS3_PT2_iSC_SC_: ; @_Z39paged_attention_ll4mi_QKV_mfma16_kernelIDF16_hLN4vllm18Fp8KVCacheDataTypeE1EDF16_Li16ELi64ELi256ELb1ELi3EL8MFMAType0EEvPKT_PKT0_S8_ifPKiSA_SA_iPKfiiiPfSD_PS3_PT2_iSC_SC_
; %bb.0:
	s_load_dwordx2 s[0:1], s[4:5], 0x30
	s_mov_b32 s24, s7
	s_mov_b64 s[10:11], 0
	s_waitcnt lgkmcnt(0)
	s_cmp_lg_u64 s[0:1], 0
	s_cselect_b64 s[2:3], -1, 0
	s_and_b64 vcc, exec, s[2:3]
	s_cbranch_vccz .LBB560_7
; %bb.1:
	s_add_i32 s12, s6, 1
	s_mov_b32 s13, 0
	s_lshl_b64 s[14:15], s[12:13], 2
	s_add_u32 s14, s0, s14
	s_mov_b32 s7, s13
	s_addc_u32 s15, s1, s15
	s_lshl_b64 s[12:13], s[6:7], 2
	s_add_u32 s12, s0, s12
	s_addc_u32 s13, s1, s13
	s_load_dword s9, s[14:15], 0x0
	s_load_dword s16, s[12:13], 0x0
	s_waitcnt lgkmcnt(0)
	s_sub_i32 s9, s9, s16
	s_cmp_eq_u32 s9, 1
	s_cselect_b64 s[12:13], -1, 0
	s_andn2_b64 vcc, exec, s[10:11]
	s_cbranch_vccnz .LBB560_3
.LBB560_2:
	s_mov_b32 s7, 0
	s_mov_b64 s[12:13], -1
.LBB560_3:
	s_andn2_b64 vcc, exec, s[12:13]
	s_cbranch_vccnz .LBB560_787
; %bb.4:
	s_load_dwordx2 s[12:13], s[4:5], 0x28
	s_lshl_b64 s[10:11], s[6:7], 2
	s_waitcnt lgkmcnt(0)
	s_add_u32 s12, s12, s10
	s_addc_u32 s13, s13, s11
	s_load_dword s33, s[12:13], 0x0
	s_lshl_b32 s18, s24, 8
	s_waitcnt lgkmcnt(0)
	s_cmp_ge_i32 s18, s33
	s_cbranch_scc1 .LBB560_787
; %bb.5:
	s_add_i32 s14, s33, 15
	s_load_dwordx2 s[12:13], s[4:5], 0x20
	s_load_dword s9, s[4:5], 0x38
	s_ashr_i32 s15, s14, 31
	v_and_b32_e32 v1, 0xcf, v0
	s_lshr_b32 s15, s15, 28
	v_add_u32_e32 v1, s18, v1
	s_add_i32 s14, s14, s15
	v_ashrrev_i32_e32 v2, 31, v1
	s_ashr_i32 s21, s14, 4
	v_lshrrev_b32_e32 v4, 28, v2
	s_add_i32 s21, s21, -1
	v_add_u32_e32 v2, v1, v4
	s_waitcnt lgkmcnt(0)
	s_mul_i32 s14, s6, s9
	s_mov_b32 s15, 0
	v_ashrrev_i32_e32 v2, 4, v2
	v_mov_b32_e32 v5, s21
	v_cmp_gt_i32_e32 vcc, s33, v1
	s_lshl_b64 s[14:15], s[14:15], 2
	v_cndmask_b32_e32 v2, v5, v2, vcc
	s_add_u32 s19, s12, s14
	v_ashrrev_i32_e32 v3, 31, v2
	s_addc_u32 s20, s13, s15
	v_lshlrev_b64 v[2:3], 2, v[2:3]
	v_mov_b32_e32 v7, s20
	v_add_co_u32_e32 v6, vcc, s19, v2
	v_or_b32_e32 v2, 16, v1
	v_addc_co_u32_e32 v7, vcc, v7, v3, vcc
	v_add_u32_e32 v3, v2, v4
	v_ashrrev_i32_e32 v3, 4, v3
	v_cmp_gt_i32_e32 vcc, s33, v2
	v_cndmask_b32_e32 v2, v5, v3, vcc
	v_ashrrev_i32_e32 v3, 31, v2
	v_lshlrev_b64 v[2:3], 2, v[2:3]
	v_mov_b32_e32 v9, s20
	v_add_co_u32_e32 v8, vcc, s19, v2
	v_or_b32_e32 v2, 32, v1
	v_addc_co_u32_e32 v9, vcc, v9, v3, vcc
	v_add_u32_e32 v3, v2, v4
	v_ashrrev_i32_e32 v3, 4, v3
	v_cmp_gt_i32_e32 vcc, s33, v2
	v_cndmask_b32_e32 v2, v5, v3, vcc
	v_ashrrev_i32_e32 v3, 31, v2
	;; [unrolled: 10-line block ×3, first 2 shown]
	v_lshlrev_b64 v[2:3], 2, v[2:3]
	v_mov_b32_e32 v1, s20
	v_add_co_u32_e32 v12, vcc, s19, v2
	v_addc_co_u32_e32 v13, vcc, v1, v3, vcc
	global_load_dword v5, v[6:7], off
	global_load_dword v4, v[8:9], off
	;; [unrolled: 1-line block ×4, first 2 shown]
	s_load_dwordx2 s[16:17], s[4:5], 0x8
	s_andn2_b64 vcc, exec, s[2:3]
	s_cbranch_vccnz .LBB560_8
; %bb.6:
	s_add_u32 s0, s0, s10
	s_addc_u32 s1, s1, s11
	s_load_dword s9, s[0:1], 0x0
	s_branch .LBB560_9
.LBB560_7:
	s_mov_b64 s[12:13], 0
	s_branch .LBB560_2
.LBB560_8:
	s_mov_b32 s9, s6
.LBB560_9:
	s_load_dwordx2 s[2:3], s[4:5], 0x10
	s_load_dwordx4 s[12:15], s[4:5], 0x48
	v_lshrrev_b32_e32 v50, 6, v0
	v_bfe_u32 v47, v0, 4, 2
	v_lshl_or_b32 v6, v50, 2, v47
	v_and_b32_e32 v49, 15, v0
	s_mul_i32 s25, s8, 3
	v_lshlrev_b32_e32 v7, 3, v49
	v_cmp_gt_u32_e32 vcc, 3, v6
	v_cmp_gt_u32_e64 s[0:1], 8, v49
	v_add_u32_e32 v1, s25, v47
	s_and_b64 s[22:23], s[0:1], vcc
	v_lshlrev_b32_e32 v46, 1, v7
	v_lshlrev_b32_e32 v48, 4, v0
	s_and_saveexec_b64 s[10:11], s[22:23]
	s_cbranch_execz .LBB560_11
; %bb.10:
	s_load_dwordx2 s[22:23], s[4:5], 0x0
	s_waitcnt lgkmcnt(0)
	s_ashr_i32 s15, s12, 31
	s_mul_hi_u32 s26, s9, s12
	s_mul_i32 s15, s9, s15
	s_add_i32 s27, s26, s15
	s_mul_i32 s26, s9, s12
	s_lshl_b64 s[26:27], s[26:27], 1
	v_lshlrev_b32_e32 v8, 6, v1
	s_add_u32 s9, s22, s26
	v_ashrrev_i32_e32 v9, 31, v8
	s_addc_u32 s12, s23, s27
	v_lshlrev_b64 v[8:9], 1, v[8:9]
	v_mov_b32_e32 v7, s12
	v_add_co_u32_e32 v8, vcc, s9, v8
	v_addc_co_u32_e32 v7, vcc, v7, v9, vcc
	v_add_co_u32_e32 v8, vcc, v8, v46
	v_addc_co_u32_e32 v9, vcc, 0, v7, vcc
	global_load_dwordx4 v[8:11], v[8:9], off
	v_lshlrev_b32_e32 v12, 8, v49
	v_lshlrev_b32_e32 v6, 5, v6
	v_and_b32_e32 v7, 16, v48
	v_and_b32_e32 v12, 0xe00, v12
	v_or3_b32 v6, v12, v6, v7
	s_waitcnt vmcnt(0)
	ds_write_b128 v6, v[8:11]
.LBB560_11:
	s_or_b64 exec, exec, s[10:11]
	s_waitcnt lgkmcnt(0)
	s_mul_i32 s10, s8, s14
	s_add_u32 s8, s16, s10
	s_addc_u32 s9, s17, 0
	v_and_b32_e32 v7, 0xf0, v48
	v_and_b32_e32 v6, 48, v0
	v_mov_b32_e32 v8, s9
	v_add_co_u32_e32 v7, vcc, s8, v7
	v_addc_co_u32_e32 v9, vcc, 0, v8, vcc
	v_lshlrev_b32_e32 v8, 4, v6
	v_add_co_u32_e32 v8, vcc, v7, v8
	v_addc_co_u32_e32 v9, vcc, 0, v9, vcc
	s_waitcnt vmcnt(3)
	v_mad_i64_i32 v[10:11], s[8:9], v5, s13, v[8:9]
	s_waitcnt vmcnt(2)
	v_mad_i64_i32 v[4:5], s[8:9], v4, s13, v[8:9]
	s_barrier
	global_load_dwordx4 v[34:37], v[10:11], off
	global_load_dwordx4 v[38:41], v[4:5], off
	s_waitcnt vmcnt(3)
	v_mad_i64_i32 v[4:5], s[8:9], v2, s13, v[8:9]
	s_waitcnt vmcnt(2)
	v_mad_i64_i32 v[2:3], s[8:9], v3, s13, v[8:9]
	global_load_dwordx4 v[30:33], v[4:5], off
	global_load_dwordx4 v[22:25], v[2:3], off
	v_mul_lo_u16_e32 v2, 0x56, v49
	v_mov_b32_e32 v3, 3
	v_mul_lo_u16_sdwa v2, v2, v3 dst_sel:DWORD dst_unused:UNUSED_PAD src0_sel:BYTE_1 src1_sel:DWORD
	v_sub_u16_e32 v2, v49, v2
	v_mov_b32_e32 v3, 5
	v_lshlrev_b32_sdwa v2, v3, v2 dst_sel:DWORD dst_unused:UNUSED_PAD src0_sel:DWORD src1_sel:BYTE_0
	v_lshl_add_u32 v2, v47, 9, v2
	ds_read_b128 v[26:29], v2
	ds_read_b128 v[18:21], v2 offset:16
	v_cmp_gt_u32_e32 vcc, 3, v49
	v_mov_b32_e32 v43, 0
	v_mov_b32_e32 v51, 0
	s_and_saveexec_b64 s[8:9], vcc
	s_cbranch_execz .LBB560_13
; %bb.12:
	s_load_dwordx2 s[14:15], s[4:5], 0x40
	v_add_u32_e32 v2, s25, v49
	v_ashrrev_i32_e32 v3, 31, v2
	v_lshlrev_b64 v[2:3], 2, v[2:3]
	s_waitcnt lgkmcnt(0)
	v_mov_b32_e32 v4, s15
	v_add_co_u32_e32 v2, vcc, s14, v2
	v_addc_co_u32_e32 v3, vcc, v4, v3, vcc
	global_load_dword v51, v[2:3], off
.LBB560_13:
	s_or_b64 exec, exec, s[8:9]
	v_or_b32_e32 v8, s18, v6
	v_ashrrev_i32_e32 v2, 4, v8
	v_mov_b32_e32 v9, s21
	v_cmp_gt_i32_e32 vcc, s33, v8
	v_cndmask_b32_e32 v2, v9, v2, vcc
	v_ashrrev_i32_e32 v3, 31, v2
	v_lshlrev_b64 v[2:3], 2, v[2:3]
	v_mov_b32_e32 v4, s20
	v_add_co_u32_e32 v2, vcc, s19, v2
	v_addc_co_u32_e32 v3, vcc, v4, v3, vcc
	v_or_b32_e32 v4, 64, v8
	v_ashrrev_i32_e32 v5, 4, v4
	v_cmp_gt_i32_e32 vcc, s33, v4
	v_cndmask_b32_e32 v4, v9, v5, vcc
	v_ashrrev_i32_e32 v5, 31, v4
	v_lshlrev_b64 v[4:5], 2, v[4:5]
	v_mov_b32_e32 v6, s20
	v_add_co_u32_e32 v4, vcc, s19, v4
	v_addc_co_u32_e32 v5, vcc, v6, v5, vcc
	v_or_b32_e32 v6, 0x80, v8
	v_ashrrev_i32_e32 v7, 4, v6
	v_cmp_gt_i32_e32 vcc, s33, v6
	v_cndmask_b32_e32 v6, v9, v7, vcc
	v_ashrrev_i32_e32 v7, 31, v6
	v_lshlrev_b64 v[6:7], 2, v[6:7]
	v_mov_b32_e32 v10, s20
	v_add_co_u32_e32 v6, vcc, s19, v6
	v_addc_co_u32_e32 v7, vcc, v10, v7, vcc
	global_load_dword v10, v[2:3], off
	global_load_dword v11, v[4:5], off
	;; [unrolled: 1-line block ×3, first 2 shown]
	v_or_b32_e32 v2, 0xc0, v8
	v_ashrrev_i32_e32 v3, 4, v2
	v_cmp_gt_i32_e32 vcc, s33, v2
	v_cndmask_b32_e32 v2, v9, v3, vcc
	v_ashrrev_i32_e32 v3, 31, v2
	v_lshlrev_b64 v[2:3], 2, v[2:3]
	v_mov_b32_e32 v4, s20
	v_add_co_u32_e32 v2, vcc, s19, v2
	v_addc_co_u32_e32 v3, vcc, v4, v3, vcc
	global_load_dword v13, v[2:3], off
	s_add_u32 s2, s2, s10
	v_lshlrev_b32_e32 v2, 4, v49
	s_addc_u32 s3, s3, 0
	v_lshl_or_b32 v2, v50, 8, v2
	v_mov_b32_e32 v3, s3
	v_add_co_u32_e32 v2, vcc, s2, v2
	v_addc_co_u32_e32 v3, vcc, 0, v3, vcc
	s_movk_i32 s8, 0x80
	s_waitcnt vmcnt(7)
	v_cmp_ne_u16_sdwa s[10:11], v34, v43 src0_sel:BYTE_0 src1_sel:DWORD
	s_waitcnt vmcnt(3)
	v_mad_i64_i32 v[4:5], s[2:3], v10, s13, v[2:3]
	s_waitcnt vmcnt(2)
	v_mad_i64_i32 v[6:7], s[2:3], v11, s13, v[2:3]
	;; [unrolled: 2-line block ×4, first 2 shown]
	global_load_dwordx4 v[14:17], v[4:5], off
	global_load_dwordx4 v[10:13], v[6:7], off
	s_nop 0
	global_load_dwordx4 v[6:9], v[8:9], off
	s_nop 0
	global_load_dwordx4 v[2:5], v[2:3], off
	s_load_dwordx4 s[40:43], s[4:5], 0x80
	s_load_dwordx2 s[44:45], s[4:5], 0x94
	s_waitcnt lgkmcnt(0)
	s_load_dword s12, s[40:41], 0x0
	s_and_saveexec_b64 s[2:3], s[10:11]
	s_cbranch_execz .LBB560_19
; %bb.14:
	v_cmp_ne_u16_sdwa s[10:11], v34, s8 src0_sel:BYTE_0 src1_sel:DWORD
	v_bfrev_b32_e32 v43, 1
	s_and_saveexec_b64 s[8:9], s[10:11]
	s_cbranch_execz .LBB560_18
; %bb.15:
	s_movk_i32 s10, 0x7f
	v_and_b32_e32 v42, 0x7f, v34
	v_cmp_ne_u32_e32 vcc, s10, v42
	v_mov_b32_e32 v43, 0x7f800001
	s_and_saveexec_b64 s[10:11], vcc
	s_cbranch_execz .LBB560_17
; %bb.16:
	v_and_b32_e32 v43, 7, v34
	v_ffbh_u32_e32 v44, v43
	v_min_u32_e32 v53, 32, v44
	v_subrev_u32_e32 v44, 28, v53
	v_lshlrev_b64 v[44:45], v44, v[34:35]
	v_lshrrev_b32_e32 v52, 3, v42
	v_sub_u32_e32 v45, 29, v53
	v_and_b32_e32 v44, 7, v44
	v_cmp_gt_u32_e32 vcc, 8, v42
	v_cndmask_b32_e32 v42, v52, v45, vcc
	v_cndmask_b32_e32 v43, v43, v44, vcc
	v_lshlrev_b32_e32 v44, 24, v34
	v_bfrev_b32_e32 v45, 60
	v_lshlrev_b32_e32 v43, 20, v43
	v_and_b32_e32 v44, 0x80000000, v44
	v_lshl_add_u32 v42, v42, 23, v45
	v_or3_b32 v43, v44, v42, v43
.LBB560_17:
	s_or_b64 exec, exec, s[10:11]
.LBB560_18:
	s_or_b64 exec, exec, s[8:9]
.LBB560_19:
	s_or_b64 exec, exec, s[2:3]
	v_lshrrev_b16_e32 v42, 8, v34
	v_cmp_ne_u16_e32 vcc, 0, v42
	v_mov_b32_e32 v44, 0
	v_mov_b32_e32 v45, 0
	s_and_saveexec_b64 s[2:3], vcc
	s_cbranch_execz .LBB560_25
; %bb.20:
	s_movk_i32 s8, 0x80
	v_cmp_ne_u16_sdwa s[10:11], v34, s8 src0_sel:BYTE_1 src1_sel:DWORD
	v_bfrev_b32_e32 v45, 1
	s_and_saveexec_b64 s[8:9], s[10:11]
	s_cbranch_execz .LBB560_24
; %bb.21:
	s_movk_i32 s10, 0x7f
	v_and_b32_e32 v52, 0x7f, v42
	v_cmp_ne_u32_e32 vcc, s10, v52
	v_mov_b32_e32 v45, 0x7f800001
	s_and_saveexec_b64 s[10:11], vcc
	s_cbranch_execz .LBB560_23
; %bb.22:
	v_and_b32_e32 v45, 7, v42
	v_ffbh_u32_e32 v54, v45
	v_min_u32_e32 v56, 32, v54
	v_subrev_u32_e32 v54, 28, v56
	v_lshlrev_b64 v[54:55], v54, v[42:43]
	v_lshrrev_b32_e32 v53, 3, v52
	v_sub_u32_e32 v42, 29, v56
	v_and_b32_e32 v54, 7, v54
	v_cmp_gt_u32_e32 vcc, 8, v52
	v_cndmask_b32_e32 v42, v53, v42, vcc
	v_cndmask_b32_e32 v45, v45, v54, vcc
	v_lshlrev_b32_e32 v52, 16, v34
	v_bfrev_b32_e32 v53, 60
	v_lshlrev_b32_e32 v45, 20, v45
	v_and_b32_e32 v52, 0x80000000, v52
	v_lshl_add_u32 v42, v42, 23, v53
	v_or3_b32 v45, v52, v42, v45
.LBB560_23:
	s_or_b64 exec, exec, s[10:11]
.LBB560_24:
	s_or_b64 exec, exec, s[8:9]
.LBB560_25:
	s_or_b64 exec, exec, s[2:3]
	s_movk_i32 s2, 0xff
	v_and_b32_sdwa v52, v34, s2 dst_sel:DWORD dst_unused:UNUSED_PAD src0_sel:WORD_1 src1_sel:DWORD
	v_lshrrev_b32_e32 v42, 16, v34
	v_cmp_ne_u16_e32 vcc, 0, v52
	s_and_saveexec_b64 s[2:3], vcc
	s_cbranch_execz .LBB560_31
; %bb.26:
	s_movk_i32 s8, 0x80
	v_cmp_ne_u16_e32 vcc, s8, v52
	v_bfrev_b32_e32 v44, 1
	s_and_saveexec_b64 s[8:9], vcc
	s_cbranch_execz .LBB560_30
; %bb.27:
	v_bfe_u32 v52, v34, 16, 7
	s_movk_i32 s10, 0x7f
	v_cmp_ne_u32_e32 vcc, s10, v52
	v_mov_b32_e32 v44, 0x7f800001
	s_and_saveexec_b64 s[10:11], vcc
	s_cbranch_execz .LBB560_29
; %bb.28:
	v_and_b32_e32 v44, 7, v42
	v_ffbh_u32_e32 v54, v44
	v_min_u32_e32 v56, 32, v54
	v_subrev_u32_e32 v54, 28, v56
	v_lshlrev_b64 v[54:55], v54, v[42:43]
	v_lshrrev_b32_e32 v53, 3, v52
	v_sub_u32_e32 v42, 29, v56
	v_and_b32_e32 v54, 7, v54
	v_cmp_gt_u32_e32 vcc, 8, v52
	v_mov_b32_e32 v52, 24
	v_cndmask_b32_e32 v42, v53, v42, vcc
	v_cndmask_b32_e32 v44, v44, v54, vcc
	v_lshlrev_b32_sdwa v52, v52, v34 dst_sel:DWORD dst_unused:UNUSED_PAD src0_sel:DWORD src1_sel:WORD_1
	v_bfrev_b32_e32 v53, 60
	v_lshlrev_b32_e32 v44, 20, v44
	v_and_b32_e32 v52, 0x80000000, v52
	v_lshl_add_u32 v42, v42, 23, v53
	v_or3_b32 v44, v52, v42, v44
.LBB560_29:
	s_or_b64 exec, exec, s[10:11]
.LBB560_30:
	s_or_b64 exec, exec, s[8:9]
.LBB560_31:
	s_or_b64 exec, exec, s[2:3]
	s_mov_b32 s2, 0xffffff
	v_cmp_lt_u32_e32 vcc, s2, v34
	v_mov_b32_e32 v53, 0
	v_mov_b32_e32 v54, 0
	s_and_saveexec_b64 s[2:3], vcc
	s_cbranch_execz .LBB560_37
; %bb.32:
	v_lshrrev_b32_e32 v42, 24, v34
	s_movk_i32 s8, 0x80
	v_cmp_ne_u32_e32 vcc, s8, v42
	v_bfrev_b32_e32 v54, 1
	s_and_saveexec_b64 s[8:9], vcc
	s_cbranch_execz .LBB560_36
; %bb.33:
	v_bfe_u32 v34, v34, 24, 7
	s_movk_i32 s10, 0x7f
	v_cmp_ne_u32_e32 vcc, s10, v34
	v_mov_b32_e32 v54, 0x7f800001
	s_and_saveexec_b64 s[10:11], vcc
	s_cbranch_execz .LBB560_35
; %bb.34:
	v_and_b32_e32 v52, 7, v42
	v_ffbh_u32_e32 v54, v52
	v_min_u32_e32 v57, 32, v54
	v_subrev_u32_e32 v54, 28, v57
	v_lshlrev_b64 v[54:55], v54, v[42:43]
	v_lshrrev_b32_e32 v56, 3, v34
	v_sub_u32_e32 v55, 29, v57
	v_and_b32_e32 v54, 7, v54
	v_cmp_gt_u32_e32 vcc, 8, v34
	v_cndmask_b32_e32 v34, v56, v55, vcc
	v_cndmask_b32_e32 v52, v52, v54, vcc
	v_lshlrev_b32_e32 v42, 24, v42
	v_bfrev_b32_e32 v54, 60
	v_lshlrev_b32_e32 v52, 20, v52
	v_and_b32_e32 v42, 0x80000000, v42
	v_lshl_add_u32 v34, v34, 23, v54
	v_or3_b32 v54, v42, v34, v52
.LBB560_35:
	s_or_b64 exec, exec, s[10:11]
.LBB560_36:
	s_or_b64 exec, exec, s[8:9]
.LBB560_37:
	s_or_b64 exec, exec, s[2:3]
	v_cmp_ne_u16_sdwa s[8:9], v35, v53 src0_sel:BYTE_0 src1_sel:DWORD
	s_and_saveexec_b64 s[2:3], s[8:9]
	s_cbranch_execz .LBB560_43
; %bb.38:
	s_movk_i32 s8, 0x80
	v_cmp_ne_u16_sdwa s[10:11], v35, s8 src0_sel:BYTE_0 src1_sel:DWORD
	v_bfrev_b32_e32 v53, 1
	s_and_saveexec_b64 s[8:9], s[10:11]
	s_cbranch_execz .LBB560_42
; %bb.39:
	s_movk_i32 s10, 0x7f
	v_and_b32_e32 v34, 0x7f, v35
	v_cmp_ne_u32_e32 vcc, s10, v34
	v_mov_b32_e32 v53, 0x7f800001
	s_and_saveexec_b64 s[10:11], vcc
	s_cbranch_execz .LBB560_41
; %bb.40:
	v_and_b32_e32 v55, 7, v35
	v_ffbh_u32_e32 v52, v55
	v_min_u32_e32 v57, 32, v52
	v_mov_b32_e32 v42, v35
	v_subrev_u32_e32 v52, 28, v57
	v_lshlrev_b64 v[52:53], v52, v[42:43]
	v_lshrrev_b32_e32 v56, 3, v34
	v_sub_u32_e32 v42, 29, v57
	v_and_b32_e32 v52, 7, v52
	v_cmp_gt_u32_e32 vcc, 8, v34
	v_cndmask_b32_e32 v34, v56, v42, vcc
	v_cndmask_b32_e32 v42, v55, v52, vcc
	v_lshlrev_b32_e32 v52, 24, v35
	v_bfrev_b32_e32 v53, 60
	v_lshlrev_b32_e32 v42, 20, v42
	v_and_b32_e32 v52, 0x80000000, v52
	v_lshl_add_u32 v34, v34, 23, v53
	v_or3_b32 v53, v52, v34, v42
.LBB560_41:
	s_or_b64 exec, exec, s[10:11]
.LBB560_42:
	s_or_b64 exec, exec, s[8:9]
.LBB560_43:
	s_or_b64 exec, exec, s[2:3]
	v_lshrrev_b16_e32 v34, 8, v35
	v_cmp_ne_u16_e32 vcc, 0, v34
	v_mov_b32_e32 v42, 0
	v_mov_b32_e32 v55, 0
	s_and_saveexec_b64 s[2:3], vcc
	s_cbranch_execz .LBB560_49
; %bb.44:
	s_movk_i32 s8, 0x80
	v_cmp_ne_u16_e32 vcc, s8, v34
	v_bfrev_b32_e32 v55, 1
	s_and_saveexec_b64 s[8:9], vcc
	s_cbranch_execz .LBB560_48
; %bb.45:
	s_movk_i32 s10, 0x7f
	v_and_b32_e32 v52, 0x7f, v34
	v_cmp_ne_u32_e32 vcc, s10, v52
	v_mov_b32_e32 v55, 0x7f800001
	s_and_saveexec_b64 s[10:11], vcc
	s_cbranch_execz .LBB560_47
; %bb.46:
	v_and_b32_e32 v55, 7, v34
	v_ffbh_u32_e32 v56, v55
	v_min_u32_e32 v59, 32, v56
	v_subrev_u32_e32 v56, 28, v59
	v_lshlrev_b64 v[56:57], v56, v[34:35]
	v_lshrrev_b32_e32 v58, 3, v52
	v_sub_u32_e32 v34, 29, v59
	v_and_b32_e32 v56, 7, v56
	v_cmp_gt_u32_e32 vcc, 8, v52
	v_cndmask_b32_e32 v34, v58, v34, vcc
	v_cndmask_b32_e32 v52, v55, v56, vcc
	v_lshlrev_b32_e32 v55, 16, v35
	v_bfrev_b32_e32 v56, 60
	v_lshlrev_b32_e32 v52, 20, v52
	v_and_b32_e32 v55, 0x80000000, v55
	v_lshl_add_u32 v34, v34, 23, v56
	v_or3_b32 v55, v55, v34, v52
.LBB560_47:
	s_or_b64 exec, exec, s[10:11]
.LBB560_48:
	s_or_b64 exec, exec, s[8:9]
.LBB560_49:
	s_or_b64 exec, exec, s[2:3]
	s_movk_i32 s2, 0xff
	v_and_b32_sdwa v52, v35, s2 dst_sel:DWORD dst_unused:UNUSED_PAD src0_sel:WORD_1 src1_sel:DWORD
	v_lshrrev_b32_e32 v34, 16, v35
	v_cmp_ne_u16_e32 vcc, 0, v52
	s_and_saveexec_b64 s[2:3], vcc
	s_cbranch_execz .LBB560_55
; %bb.50:
	s_movk_i32 s8, 0x80
	v_cmp_ne_u16_e32 vcc, s8, v52
	v_bfrev_b32_e32 v42, 1
	s_and_saveexec_b64 s[8:9], vcc
	s_cbranch_execz .LBB560_54
; %bb.51:
	v_bfe_u32 v52, v35, 16, 7
	s_movk_i32 s10, 0x7f
	v_cmp_ne_u32_e32 vcc, s10, v52
	v_mov_b32_e32 v42, 0x7f800001
	s_and_saveexec_b64 s[10:11], vcc
	s_cbranch_execz .LBB560_53
; %bb.52:
	v_and_b32_e32 v42, 7, v34
	v_ffbh_u32_e32 v56, v42
	v_min_u32_e32 v59, 32, v56
	v_subrev_u32_e32 v56, 28, v59
	v_lshlrev_b64 v[56:57], v56, v[34:35]
	v_lshrrev_b32_e32 v58, 3, v52
	v_sub_u32_e32 v34, 29, v59
	v_and_b32_e32 v56, 7, v56
	v_cmp_gt_u32_e32 vcc, 8, v52
	v_mov_b32_e32 v52, 24
	v_cndmask_b32_e32 v34, v58, v34, vcc
	v_cndmask_b32_e32 v42, v42, v56, vcc
	v_lshlrev_b32_sdwa v52, v52, v35 dst_sel:DWORD dst_unused:UNUSED_PAD src0_sel:DWORD src1_sel:WORD_1
	v_bfrev_b32_e32 v56, 60
	v_lshlrev_b32_e32 v42, 20, v42
	v_and_b32_e32 v52, 0x80000000, v52
	v_lshl_add_u32 v34, v34, 23, v56
	v_or3_b32 v42, v52, v34, v42
.LBB560_53:
	s_or_b64 exec, exec, s[10:11]
.LBB560_54:
	s_or_b64 exec, exec, s[8:9]
.LBB560_55:
	s_or_b64 exec, exec, s[2:3]
	s_mov_b32 s2, 0xffffff
	v_cmp_lt_u32_e32 vcc, s2, v35
	v_mov_b32_e32 v52, 0
	v_mov_b32_e32 v56, 0
	s_and_saveexec_b64 s[2:3], vcc
	s_cbranch_execz .LBB560_61
; %bb.56:
	v_lshrrev_b32_e32 v34, 24, v35
	s_movk_i32 s8, 0x80
	v_cmp_ne_u32_e32 vcc, s8, v34
	v_bfrev_b32_e32 v56, 1
	s_and_saveexec_b64 s[8:9], vcc
	s_cbranch_execz .LBB560_60
; %bb.57:
	v_bfe_u32 v35, v35, 24, 7
	s_movk_i32 s10, 0x7f
	v_cmp_ne_u32_e32 vcc, s10, v35
	v_mov_b32_e32 v56, 0x7f800001
	s_and_saveexec_b64 s[10:11], vcc
	s_cbranch_execz .LBB560_59
; %bb.58:
	v_and_b32_e32 v58, 7, v34
	v_ffbh_u32_e32 v56, v58
	v_min_u32_e32 v60, 32, v56
	v_subrev_u32_e32 v56, 28, v60
	v_lshlrev_b64 v[56:57], v56, v[34:35]
	v_lshrrev_b32_e32 v59, 3, v35
	v_sub_u32_e32 v57, 29, v60
	v_and_b32_e32 v56, 7, v56
	v_cmp_gt_u32_e32 vcc, 8, v35
	v_cndmask_b32_e32 v35, v59, v57, vcc
	v_cndmask_b32_e32 v56, v58, v56, vcc
	v_lshlrev_b32_e32 v34, 24, v34
	v_bfrev_b32_e32 v57, 60
	v_lshlrev_b32_e32 v56, 20, v56
	v_and_b32_e32 v34, 0x80000000, v34
	v_lshl_add_u32 v35, v35, 23, v57
	v_or3_b32 v56, v34, v35, v56
.LBB560_59:
	s_or_b64 exec, exec, s[10:11]
.LBB560_60:
	s_or_b64 exec, exec, s[8:9]
.LBB560_61:
	s_or_b64 exec, exec, s[2:3]
	v_cvt_pkrtz_f16_f32 v34, v43, v45
	v_cvt_pkrtz_f16_f32 v35, v44, v54
	v_cmp_ne_u16_sdwa s[8:9], v36, v52 src0_sel:BYTE_0 src1_sel:DWORD
	s_nop 0
	v_mfma_f32_16x16x16f16 v[58:61], v[34:35], v[26:27], 0
	v_cvt_pkrtz_f16_f32 v34, v53, v55
	v_cvt_pkrtz_f16_f32 v35, v42, v56
	s_nop 1
	v_mfma_f32_16x16x16f16 v[42:45], v[34:35], v[28:29], v[58:61]
	s_and_saveexec_b64 s[2:3], s[8:9]
	s_cbranch_execz .LBB560_67
; %bb.62:
	s_movk_i32 s8, 0x80
	v_cmp_ne_u16_sdwa s[10:11], v36, s8 src0_sel:BYTE_0 src1_sel:DWORD
	v_bfrev_b32_e32 v52, 1
	s_and_saveexec_b64 s[8:9], s[10:11]
	s_cbranch_execz .LBB560_66
; %bb.63:
	s_movk_i32 s10, 0x7f
	v_and_b32_e32 v34, 0x7f, v36
	v_cmp_ne_u32_e32 vcc, s10, v34
	v_mov_b32_e32 v52, 0x7f800001
	s_and_saveexec_b64 s[10:11], vcc
	s_cbranch_execz .LBB560_65
; %bb.64:
	v_and_b32_e32 v35, 7, v36
	v_ffbh_u32_e32 v52, v35
	v_min_u32_e32 v55, 32, v52
	v_subrev_u32_e32 v52, 28, v55
	v_lshlrev_b64 v[52:53], v52, v[36:37]
	v_lshrrev_b32_e32 v54, 3, v34
	v_sub_u32_e32 v53, 29, v55
	v_and_b32_e32 v52, 7, v52
	v_cmp_gt_u32_e32 vcc, 8, v34
	v_cndmask_b32_e32 v34, v54, v53, vcc
	v_cndmask_b32_e32 v35, v35, v52, vcc
	v_lshlrev_b32_e32 v52, 24, v36
	v_bfrev_b32_e32 v53, 60
	v_lshlrev_b32_e32 v35, 20, v35
	v_and_b32_e32 v52, 0x80000000, v52
	v_lshl_add_u32 v34, v34, 23, v53
	v_or3_b32 v52, v52, v34, v35
.LBB560_65:
	s_or_b64 exec, exec, s[10:11]
.LBB560_66:
	s_or_b64 exec, exec, s[8:9]
.LBB560_67:
	s_or_b64 exec, exec, s[2:3]
	v_lshrrev_b16_e32 v34, 8, v36
	v_cmp_ne_u16_e32 vcc, 0, v34
	v_mov_b32_e32 v35, 0
	v_mov_b32_e32 v54, 0
	s_and_saveexec_b64 s[2:3], vcc
	s_cbranch_execz .LBB560_73
; %bb.68:
	s_movk_i32 s8, 0x80
	v_cmp_ne_u16_e32 vcc, s8, v34
	v_bfrev_b32_e32 v54, 1
	s_and_saveexec_b64 s[8:9], vcc
	s_cbranch_execz .LBB560_72
; %bb.69:
	s_movk_i32 s10, 0x7f
	v_and_b32_e32 v53, 0x7f, v34
	v_cmp_ne_u32_e32 vcc, s10, v53
	v_mov_b32_e32 v54, 0x7f800001
	s_and_saveexec_b64 s[10:11], vcc
	s_cbranch_execz .LBB560_71
; %bb.70:
	v_and_b32_e32 v56, 7, v34
	v_ffbh_u32_e32 v54, v56
	v_min_u32_e32 v58, 32, v54
	v_subrev_u32_e32 v54, 28, v58
	v_lshlrev_b64 v[54:55], v54, v[34:35]
	v_lshrrev_b32_e32 v57, 3, v53
	v_sub_u32_e32 v34, 29, v58
	v_and_b32_e32 v54, 7, v54
	v_cmp_gt_u32_e32 vcc, 8, v53
	v_cndmask_b32_e32 v34, v57, v34, vcc
	v_cndmask_b32_e32 v53, v56, v54, vcc
	v_lshlrev_b32_e32 v54, 16, v36
	v_bfrev_b32_e32 v55, 60
	v_lshlrev_b32_e32 v53, 20, v53
	v_and_b32_e32 v54, 0x80000000, v54
	v_lshl_add_u32 v34, v34, 23, v55
	v_or3_b32 v54, v54, v34, v53
.LBB560_71:
	s_or_b64 exec, exec, s[10:11]
.LBB560_72:
	s_or_b64 exec, exec, s[8:9]
.LBB560_73:
	s_or_b64 exec, exec, s[2:3]
	s_movk_i32 s2, 0xff
	v_and_b32_sdwa v53, v36, s2 dst_sel:DWORD dst_unused:UNUSED_PAD src0_sel:WORD_1 src1_sel:DWORD
	v_lshrrev_b32_e32 v34, 16, v36
	v_cmp_ne_u16_e32 vcc, 0, v53
	s_and_saveexec_b64 s[2:3], vcc
	s_cbranch_execz .LBB560_79
; %bb.74:
	s_movk_i32 s8, 0x80
	v_cmp_ne_u16_e32 vcc, s8, v53
	v_bfrev_b32_e32 v35, 1
	s_and_saveexec_b64 s[8:9], vcc
	s_cbranch_execz .LBB560_78
; %bb.75:
	v_bfe_u32 v53, v36, 16, 7
	s_movk_i32 s10, 0x7f
	v_cmp_ne_u32_e32 vcc, s10, v53
	v_mov_b32_e32 v35, 0x7f800001
	s_and_saveexec_b64 s[10:11], vcc
	s_cbranch_execz .LBB560_77
; %bb.76:
	v_and_b32_e32 v55, 7, v34
	v_ffbh_u32_e32 v35, v55
	v_min_u32_e32 v57, 32, v35
	v_subrev_u32_e32 v35, 28, v57
	v_lshlrev_b64 v[34:35], v35, v[34:35]
	v_lshrrev_b32_e32 v56, 3, v53
	v_sub_u32_e32 v35, 29, v57
	v_and_b32_e32 v34, 7, v34
	v_cmp_gt_u32_e32 vcc, 8, v53
	v_mov_b32_e32 v53, 24
	v_cndmask_b32_e32 v35, v56, v35, vcc
	v_cndmask_b32_e32 v34, v55, v34, vcc
	v_lshlrev_b32_sdwa v53, v53, v36 dst_sel:DWORD dst_unused:UNUSED_PAD src0_sel:DWORD src1_sel:WORD_1
	v_bfrev_b32_e32 v55, 60
	v_lshlrev_b32_e32 v34, 20, v34
	v_and_b32_e32 v53, 0x80000000, v53
	v_lshl_add_u32 v35, v35, 23, v55
	v_or3_b32 v35, v53, v35, v34
.LBB560_77:
	s_or_b64 exec, exec, s[10:11]
.LBB560_78:
	s_or_b64 exec, exec, s[8:9]
.LBB560_79:
	s_or_b64 exec, exec, s[2:3]
	s_mov_b32 s2, 0xffffff
	v_cmp_lt_u32_e32 vcc, s2, v36
	v_mov_b32_e32 v55, 0
	v_mov_b32_e32 v56, 0
	s_and_saveexec_b64 s[2:3], vcc
	s_cbranch_execz .LBB560_85
; %bb.80:
	v_lshrrev_b32_e32 v34, 24, v36
	s_movk_i32 s8, 0x80
	v_cmp_ne_u32_e32 vcc, s8, v34
	v_bfrev_b32_e32 v56, 1
	s_and_saveexec_b64 s[8:9], vcc
	s_cbranch_execz .LBB560_84
; %bb.81:
	v_bfe_u32 v36, v36, 24, 7
	s_movk_i32 s10, 0x7f
	v_cmp_ne_u32_e32 vcc, s10, v36
	v_mov_b32_e32 v56, 0x7f800001
	s_and_saveexec_b64 s[10:11], vcc
	s_cbranch_execz .LBB560_83
; %bb.82:
	v_and_b32_e32 v53, 7, v34
	v_ffbh_u32_e32 v56, v53
	v_min_u32_e32 v59, 32, v56
	v_subrev_u32_e32 v56, 28, v59
	v_lshlrev_b64 v[56:57], v56, v[34:35]
	v_lshrrev_b32_e32 v58, 3, v36
	v_sub_u32_e32 v57, 29, v59
	v_and_b32_e32 v56, 7, v56
	v_cmp_gt_u32_e32 vcc, 8, v36
	v_cndmask_b32_e32 v36, v58, v57, vcc
	v_cndmask_b32_e32 v53, v53, v56, vcc
	v_lshlrev_b32_e32 v34, 24, v34
	v_bfrev_b32_e32 v56, 60
	v_lshlrev_b32_e32 v53, 20, v53
	v_and_b32_e32 v34, 0x80000000, v34
	v_lshl_add_u32 v36, v36, 23, v56
	v_or3_b32 v56, v34, v36, v53
.LBB560_83:
	s_or_b64 exec, exec, s[10:11]
.LBB560_84:
	s_or_b64 exec, exec, s[8:9]
.LBB560_85:
	s_or_b64 exec, exec, s[2:3]
	v_cmp_ne_u16_sdwa s[8:9], v37, v55 src0_sel:BYTE_0 src1_sel:DWORD
	s_and_saveexec_b64 s[2:3], s[8:9]
	s_cbranch_execz .LBB560_91
; %bb.86:
	s_movk_i32 s8, 0x80
	v_cmp_ne_u16_sdwa s[10:11], v37, s8 src0_sel:BYTE_0 src1_sel:DWORD
	v_bfrev_b32_e32 v55, 1
	s_and_saveexec_b64 s[8:9], s[10:11]
	s_cbranch_execz .LBB560_90
; %bb.87:
	s_movk_i32 s10, 0x7f
	v_and_b32_e32 v34, 0x7f, v37
	v_cmp_ne_u32_e32 vcc, s10, v34
	v_mov_b32_e32 v55, 0x7f800001
	s_and_saveexec_b64 s[10:11], vcc
	s_cbranch_execz .LBB560_89
; %bb.88:
	v_and_b32_e32 v53, 7, v37
	v_ffbh_u32_e32 v57, v53
	v_min_u32_e32 v57, 32, v57
	v_mov_b32_e32 v36, v37
	v_subrev_u32_e32 v58, 28, v57
	v_lshlrev_b64 v[58:59], v58, v[36:37]
	v_lshrrev_b32_e32 v55, 3, v34
	v_sub_u32_e32 v36, 29, v57
	v_and_b32_e32 v57, 7, v58
	v_cmp_gt_u32_e32 vcc, 8, v34
	v_cndmask_b32_e32 v34, v55, v36, vcc
	v_cndmask_b32_e32 v36, v53, v57, vcc
	v_lshlrev_b32_e32 v53, 24, v37
	v_bfrev_b32_e32 v55, 60
	v_lshlrev_b32_e32 v36, 20, v36
	v_and_b32_e32 v53, 0x80000000, v53
	v_lshl_add_u32 v34, v34, 23, v55
	v_or3_b32 v55, v53, v34, v36
.LBB560_89:
	s_or_b64 exec, exec, s[10:11]
.LBB560_90:
	s_or_b64 exec, exec, s[8:9]
.LBB560_91:
	s_or_b64 exec, exec, s[2:3]
	v_lshrrev_b16_e32 v34, 8, v37
	v_cmp_ne_u16_e32 vcc, 0, v34
	v_mov_b32_e32 v36, 0
	v_mov_b32_e32 v57, 0
	s_and_saveexec_b64 s[2:3], vcc
	s_cbranch_execz .LBB560_97
; %bb.92:
	s_movk_i32 s8, 0x80
	v_cmp_ne_u16_e32 vcc, s8, v34
	v_bfrev_b32_e32 v57, 1
	s_and_saveexec_b64 s[8:9], vcc
	s_cbranch_execz .LBB560_96
; %bb.93:
	s_movk_i32 s10, 0x7f
	v_and_b32_e32 v53, 0x7f, v34
	v_cmp_ne_u32_e32 vcc, s10, v53
	v_mov_b32_e32 v57, 0x7f800001
	s_and_saveexec_b64 s[10:11], vcc
	s_cbranch_execz .LBB560_95
; %bb.94:
	v_and_b32_e32 v57, 7, v34
	v_ffbh_u32_e32 v58, v57
	v_min_u32_e32 v61, 32, v58
	v_subrev_u32_e32 v58, 28, v61
	v_lshlrev_b64 v[58:59], v58, v[34:35]
	v_lshrrev_b32_e32 v60, 3, v53
	v_sub_u32_e32 v34, 29, v61
	v_and_b32_e32 v58, 7, v58
	v_cmp_gt_u32_e32 vcc, 8, v53
	v_cndmask_b32_e32 v34, v60, v34, vcc
	v_cndmask_b32_e32 v53, v57, v58, vcc
	v_lshlrev_b32_e32 v57, 16, v37
	v_bfrev_b32_e32 v58, 60
	v_lshlrev_b32_e32 v53, 20, v53
	v_and_b32_e32 v57, 0x80000000, v57
	v_lshl_add_u32 v34, v34, 23, v58
	v_or3_b32 v57, v57, v34, v53
.LBB560_95:
	s_or_b64 exec, exec, s[10:11]
.LBB560_96:
	s_or_b64 exec, exec, s[8:9]
.LBB560_97:
	s_or_b64 exec, exec, s[2:3]
	s_movk_i32 s2, 0xff
	v_and_b32_sdwa v53, v37, s2 dst_sel:DWORD dst_unused:UNUSED_PAD src0_sel:WORD_1 src1_sel:DWORD
	v_lshrrev_b32_e32 v34, 16, v37
	v_cmp_ne_u16_e32 vcc, 0, v53
	s_and_saveexec_b64 s[2:3], vcc
	s_cbranch_execz .LBB560_103
; %bb.98:
	s_movk_i32 s8, 0x80
	v_cmp_ne_u16_e32 vcc, s8, v53
	v_bfrev_b32_e32 v36, 1
	s_and_saveexec_b64 s[8:9], vcc
	s_cbranch_execz .LBB560_102
; %bb.99:
	v_bfe_u32 v53, v37, 16, 7
	s_movk_i32 s10, 0x7f
	v_cmp_ne_u32_e32 vcc, s10, v53
	v_mov_b32_e32 v36, 0x7f800001
	s_and_saveexec_b64 s[10:11], vcc
	s_cbranch_execz .LBB560_101
; %bb.100:
	v_and_b32_e32 v36, 7, v34
	v_ffbh_u32_e32 v58, v36
	v_min_u32_e32 v61, 32, v58
	v_subrev_u32_e32 v58, 28, v61
	v_lshlrev_b64 v[58:59], v58, v[34:35]
	v_lshrrev_b32_e32 v60, 3, v53
	v_sub_u32_e32 v34, 29, v61
	v_and_b32_e32 v58, 7, v58
	v_cmp_gt_u32_e32 vcc, 8, v53
	v_mov_b32_e32 v53, 24
	v_cndmask_b32_e32 v34, v60, v34, vcc
	v_cndmask_b32_e32 v36, v36, v58, vcc
	v_lshlrev_b32_sdwa v53, v53, v37 dst_sel:DWORD dst_unused:UNUSED_PAD src0_sel:DWORD src1_sel:WORD_1
	v_bfrev_b32_e32 v58, 60
	v_lshlrev_b32_e32 v36, 20, v36
	v_and_b32_e32 v53, 0x80000000, v53
	v_lshl_add_u32 v34, v34, 23, v58
	v_or3_b32 v36, v53, v34, v36
.LBB560_101:
	s_or_b64 exec, exec, s[10:11]
.LBB560_102:
	s_or_b64 exec, exec, s[8:9]
.LBB560_103:
	s_or_b64 exec, exec, s[2:3]
	s_mov_b32 s2, 0xffffff
	v_cmp_lt_u32_e32 vcc, s2, v37
	v_mov_b32_e32 v53, 0
	v_mov_b32_e32 v58, 0
	s_and_saveexec_b64 s[2:3], vcc
	s_cbranch_execz .LBB560_109
; %bb.104:
	v_lshrrev_b32_e32 v34, 24, v37
	s_movk_i32 s8, 0x80
	v_cmp_ne_u32_e32 vcc, s8, v34
	v_bfrev_b32_e32 v58, 1
	s_and_saveexec_b64 s[8:9], vcc
	s_cbranch_execz .LBB560_108
; %bb.105:
	v_bfe_u32 v37, v37, 24, 7
	s_movk_i32 s10, 0x7f
	v_cmp_ne_u32_e32 vcc, s10, v37
	v_mov_b32_e32 v58, 0x7f800001
	s_and_saveexec_b64 s[10:11], vcc
	s_cbranch_execz .LBB560_107
; %bb.106:
	v_and_b32_e32 v60, 7, v34
	v_ffbh_u32_e32 v58, v60
	v_min_u32_e32 v62, 32, v58
	v_subrev_u32_e32 v58, 28, v62
	v_lshlrev_b64 v[58:59], v58, v[34:35]
	v_lshrrev_b32_e32 v61, 3, v37
	v_sub_u32_e32 v59, 29, v62
	v_and_b32_e32 v58, 7, v58
	v_cmp_gt_u32_e32 vcc, 8, v37
	v_cndmask_b32_e32 v37, v61, v59, vcc
	v_cndmask_b32_e32 v58, v60, v58, vcc
	v_lshlrev_b32_e32 v34, 24, v34
	v_bfrev_b32_e32 v59, 60
	v_lshlrev_b32_e32 v58, 20, v58
	v_and_b32_e32 v34, 0x80000000, v34
	v_lshl_add_u32 v37, v37, 23, v59
	v_or3_b32 v58, v34, v37, v58
.LBB560_107:
	s_or_b64 exec, exec, s[10:11]
.LBB560_108:
	s_or_b64 exec, exec, s[8:9]
.LBB560_109:
	s_or_b64 exec, exec, s[2:3]
	v_cvt_pkrtz_f16_f32 v34, v52, v54
	v_cvt_pkrtz_f16_f32 v35, v35, v56
	v_cmp_ne_u16_sdwa s[8:9], v38, v53 src0_sel:BYTE_0 src1_sel:DWORD
	s_nop 0
	v_mfma_f32_16x16x16f16 v[42:45], v[34:35], v[18:19], v[42:45]
	v_cvt_pkrtz_f16_f32 v34, v55, v57
	v_cvt_pkrtz_f16_f32 v35, v36, v58
	s_nop 1
	v_mfma_f32_16x16x16f16 v[34:37], v[34:35], v[20:21], v[42:45]
	s_and_saveexec_b64 s[2:3], s[8:9]
	s_cbranch_execz .LBB560_115
; %bb.110:
	s_movk_i32 s8, 0x80
	v_cmp_ne_u16_sdwa s[10:11], v38, s8 src0_sel:BYTE_0 src1_sel:DWORD
	v_bfrev_b32_e32 v53, 1
	s_and_saveexec_b64 s[8:9], s[10:11]
	s_cbranch_execz .LBB560_114
; %bb.111:
	s_movk_i32 s10, 0x7f
	v_and_b32_e32 v42, 0x7f, v38
	v_cmp_ne_u32_e32 vcc, s10, v42
	v_mov_b32_e32 v53, 0x7f800001
	s_and_saveexec_b64 s[10:11], vcc
	s_cbranch_execz .LBB560_113
; %bb.112:
	v_and_b32_e32 v43, 7, v38
	v_ffbh_u32_e32 v44, v43
	v_min_u32_e32 v53, 32, v44
	v_subrev_u32_e32 v44, 28, v53
	v_lshlrev_b64 v[44:45], v44, v[38:39]
	v_lshrrev_b32_e32 v52, 3, v42
	v_sub_u32_e32 v45, 29, v53
	v_and_b32_e32 v44, 7, v44
	v_cmp_gt_u32_e32 vcc, 8, v42
	v_cndmask_b32_e32 v42, v52, v45, vcc
	v_cndmask_b32_e32 v43, v43, v44, vcc
	v_lshlrev_b32_e32 v44, 24, v38
	v_bfrev_b32_e32 v45, 60
	v_lshlrev_b32_e32 v43, 20, v43
	v_and_b32_e32 v44, 0x80000000, v44
	v_lshl_add_u32 v42, v42, 23, v45
	v_or3_b32 v53, v44, v42, v43
.LBB560_113:
	s_or_b64 exec, exec, s[10:11]
.LBB560_114:
	s_or_b64 exec, exec, s[8:9]
.LBB560_115:
	s_or_b64 exec, exec, s[2:3]
	s_nop 3
	v_lshrrev_b16_e32 v42, 8, v38
	v_cmp_ne_u16_e32 vcc, 0, v42
	v_mov_b32_e32 v43, 0
	v_mov_b32_e32 v44, 0
	s_and_saveexec_b64 s[2:3], vcc
	s_cbranch_execz .LBB560_121
; %bb.116:
	s_movk_i32 s8, 0x80
	v_cmp_ne_u16_e32 vcc, s8, v42
	v_bfrev_b32_e32 v44, 1
	s_and_saveexec_b64 s[8:9], vcc
	s_cbranch_execz .LBB560_120
; %bb.117:
	s_movk_i32 s10, 0x7f
	v_and_b32_e32 v45, 0x7f, v42
	v_cmp_ne_u32_e32 vcc, s10, v45
	v_mov_b32_e32 v44, 0x7f800001
	s_and_saveexec_b64 s[10:11], vcc
	s_cbranch_execz .LBB560_119
; %bb.118:
	v_and_b32_e32 v44, 7, v42
	v_ffbh_u32_e32 v54, v44
	v_min_u32_e32 v56, 32, v54
	v_subrev_u32_e32 v54, 28, v56
	v_lshlrev_b64 v[54:55], v54, v[42:43]
	v_lshrrev_b32_e32 v52, 3, v45
	v_sub_u32_e32 v42, 29, v56
	v_and_b32_e32 v54, 7, v54
	v_cmp_gt_u32_e32 vcc, 8, v45
	v_cndmask_b32_e32 v42, v52, v42, vcc
	v_cndmask_b32_e32 v44, v44, v54, vcc
	v_lshlrev_b32_e32 v45, 16, v38
	v_bfrev_b32_e32 v52, 60
	v_lshlrev_b32_e32 v44, 20, v44
	v_and_b32_e32 v45, 0x80000000, v45
	v_lshl_add_u32 v42, v42, 23, v52
	v_or3_b32 v44, v45, v42, v44
.LBB560_119:
	s_or_b64 exec, exec, s[10:11]
.LBB560_120:
	s_or_b64 exec, exec, s[8:9]
.LBB560_121:
	s_or_b64 exec, exec, s[2:3]
	s_movk_i32 s2, 0xff
	v_and_b32_sdwa v45, v38, s2 dst_sel:DWORD dst_unused:UNUSED_PAD src0_sel:WORD_1 src1_sel:DWORD
	v_lshrrev_b32_e32 v42, 16, v38
	v_cmp_ne_u16_e32 vcc, 0, v45
	s_and_saveexec_b64 s[2:3], vcc
	s_cbranch_execz .LBB560_127
; %bb.122:
	s_movk_i32 s8, 0x80
	v_cmp_ne_u16_e32 vcc, s8, v45
	v_bfrev_b32_e32 v43, 1
	s_and_saveexec_b64 s[8:9], vcc
	s_cbranch_execz .LBB560_126
; %bb.123:
	v_bfe_u32 v45, v38, 16, 7
	s_movk_i32 s10, 0x7f
	v_cmp_ne_u32_e32 vcc, s10, v45
	v_mov_b32_e32 v43, 0x7f800001
	s_and_saveexec_b64 s[10:11], vcc
	s_cbranch_execz .LBB560_125
; %bb.124:
	v_and_b32_e32 v52, 7, v42
	v_ffbh_u32_e32 v43, v52
	v_min_u32_e32 v55, 32, v43
	v_subrev_u32_e32 v43, 28, v55
	v_lshlrev_b64 v[42:43], v43, v[42:43]
	v_lshrrev_b32_e32 v54, 3, v45
	v_sub_u32_e32 v43, 29, v55
	v_and_b32_e32 v42, 7, v42
	v_cmp_gt_u32_e32 vcc, 8, v45
	v_mov_b32_e32 v45, 24
	v_cndmask_b32_e32 v43, v54, v43, vcc
	v_cndmask_b32_e32 v42, v52, v42, vcc
	v_lshlrev_b32_sdwa v45, v45, v38 dst_sel:DWORD dst_unused:UNUSED_PAD src0_sel:DWORD src1_sel:WORD_1
	v_bfrev_b32_e32 v52, 60
	v_lshlrev_b32_e32 v42, 20, v42
	v_and_b32_e32 v45, 0x80000000, v45
	v_lshl_add_u32 v43, v43, 23, v52
	v_or3_b32 v43, v45, v43, v42
.LBB560_125:
	s_or_b64 exec, exec, s[10:11]
.LBB560_126:
	s_or_b64 exec, exec, s[8:9]
.LBB560_127:
	s_or_b64 exec, exec, s[2:3]
	s_mov_b32 s2, 0xffffff
	v_cmp_lt_u32_e32 vcc, s2, v38
	v_mov_b32_e32 v45, 0
	v_mov_b32_e32 v54, 0
	s_and_saveexec_b64 s[2:3], vcc
	s_cbranch_execz .LBB560_133
; %bb.128:
	v_lshrrev_b32_e32 v42, 24, v38
	s_movk_i32 s8, 0x80
	v_cmp_ne_u32_e32 vcc, s8, v42
	v_bfrev_b32_e32 v54, 1
	s_and_saveexec_b64 s[8:9], vcc
	s_cbranch_execz .LBB560_132
; %bb.129:
	v_bfe_u32 v38, v38, 24, 7
	s_movk_i32 s10, 0x7f
	v_cmp_ne_u32_e32 vcc, s10, v38
	v_mov_b32_e32 v54, 0x7f800001
	s_and_saveexec_b64 s[10:11], vcc
	s_cbranch_execz .LBB560_131
; %bb.130:
	v_and_b32_e32 v52, 7, v42
	v_ffbh_u32_e32 v54, v52
	v_min_u32_e32 v57, 32, v54
	v_subrev_u32_e32 v54, 28, v57
	v_lshlrev_b64 v[54:55], v54, v[42:43]
	v_lshrrev_b32_e32 v56, 3, v38
	v_sub_u32_e32 v55, 29, v57
	v_and_b32_e32 v54, 7, v54
	v_cmp_gt_u32_e32 vcc, 8, v38
	v_cndmask_b32_e32 v38, v56, v55, vcc
	v_cndmask_b32_e32 v52, v52, v54, vcc
	v_lshlrev_b32_e32 v42, 24, v42
	v_bfrev_b32_e32 v54, 60
	v_lshlrev_b32_e32 v52, 20, v52
	v_and_b32_e32 v42, 0x80000000, v42
	v_lshl_add_u32 v38, v38, 23, v54
	v_or3_b32 v54, v42, v38, v52
.LBB560_131:
	s_or_b64 exec, exec, s[10:11]
.LBB560_132:
	s_or_b64 exec, exec, s[8:9]
.LBB560_133:
	s_or_b64 exec, exec, s[2:3]
	v_cmp_ne_u16_sdwa s[8:9], v39, v45 src0_sel:BYTE_0 src1_sel:DWORD
	s_and_saveexec_b64 s[2:3], s[8:9]
	s_cbranch_execz .LBB560_139
; %bb.134:
	s_movk_i32 s8, 0x80
	v_cmp_ne_u16_sdwa s[10:11], v39, s8 src0_sel:BYTE_0 src1_sel:DWORD
	v_bfrev_b32_e32 v45, 1
	s_and_saveexec_b64 s[8:9], s[10:11]
	s_cbranch_execz .LBB560_138
; %bb.135:
	s_movk_i32 s10, 0x7f
	v_and_b32_e32 v38, 0x7f, v39
	v_cmp_ne_u32_e32 vcc, s10, v38
	v_mov_b32_e32 v45, 0x7f800001
	s_and_saveexec_b64 s[10:11], vcc
	s_cbranch_execz .LBB560_137
; %bb.136:
	v_and_b32_e32 v45, 7, v39
	v_ffbh_u32_e32 v55, v45
	v_min_u32_e32 v55, 32, v55
	v_mov_b32_e32 v42, v39
	v_subrev_u32_e32 v56, 28, v55
	v_lshlrev_b64 v[56:57], v56, v[42:43]
	v_lshrrev_b32_e32 v52, 3, v38
	v_sub_u32_e32 v42, 29, v55
	v_and_b32_e32 v55, 7, v56
	v_cmp_gt_u32_e32 vcc, 8, v38
	v_cndmask_b32_e32 v38, v52, v42, vcc
	v_cndmask_b32_e32 v42, v45, v55, vcc
	v_lshlrev_b32_e32 v45, 24, v39
	v_bfrev_b32_e32 v52, 60
	v_lshlrev_b32_e32 v42, 20, v42
	v_and_b32_e32 v45, 0x80000000, v45
	v_lshl_add_u32 v38, v38, 23, v52
	v_or3_b32 v45, v45, v38, v42
.LBB560_137:
	s_or_b64 exec, exec, s[10:11]
.LBB560_138:
	s_or_b64 exec, exec, s[8:9]
.LBB560_139:
	s_or_b64 exec, exec, s[2:3]
	v_lshrrev_b16_e32 v38, 8, v39
	v_cmp_ne_u16_e32 vcc, 0, v38
	v_mov_b32_e32 v42, 0
	v_mov_b32_e32 v55, 0
	s_and_saveexec_b64 s[2:3], vcc
	s_cbranch_execz .LBB560_145
; %bb.140:
	s_movk_i32 s8, 0x80
	v_cmp_ne_u16_e32 vcc, s8, v38
	v_bfrev_b32_e32 v55, 1
	s_and_saveexec_b64 s[8:9], vcc
	s_cbranch_execz .LBB560_144
; %bb.141:
	s_movk_i32 s10, 0x7f
	v_and_b32_e32 v52, 0x7f, v38
	v_cmp_ne_u32_e32 vcc, s10, v52
	v_mov_b32_e32 v55, 0x7f800001
	s_and_saveexec_b64 s[10:11], vcc
	s_cbranch_execz .LBB560_143
; %bb.142:
	v_and_b32_e32 v55, 7, v38
	v_ffbh_u32_e32 v56, v55
	v_min_u32_e32 v59, 32, v56
	v_subrev_u32_e32 v56, 28, v59
	v_lshlrev_b64 v[56:57], v56, v[38:39]
	v_lshrrev_b32_e32 v58, 3, v52
	v_sub_u32_e32 v38, 29, v59
	v_and_b32_e32 v56, 7, v56
	v_cmp_gt_u32_e32 vcc, 8, v52
	v_cndmask_b32_e32 v38, v58, v38, vcc
	v_cndmask_b32_e32 v52, v55, v56, vcc
	v_lshlrev_b32_e32 v55, 16, v39
	v_bfrev_b32_e32 v56, 60
	v_lshlrev_b32_e32 v52, 20, v52
	v_and_b32_e32 v55, 0x80000000, v55
	v_lshl_add_u32 v38, v38, 23, v56
	v_or3_b32 v55, v55, v38, v52
.LBB560_143:
	s_or_b64 exec, exec, s[10:11]
.LBB560_144:
	s_or_b64 exec, exec, s[8:9]
.LBB560_145:
	s_or_b64 exec, exec, s[2:3]
	s_movk_i32 s2, 0xff
	v_and_b32_sdwa v52, v39, s2 dst_sel:DWORD dst_unused:UNUSED_PAD src0_sel:WORD_1 src1_sel:DWORD
	v_lshrrev_b32_e32 v38, 16, v39
	v_cmp_ne_u16_e32 vcc, 0, v52
	s_and_saveexec_b64 s[2:3], vcc
	s_cbranch_execz .LBB560_151
; %bb.146:
	s_movk_i32 s8, 0x80
	v_cmp_ne_u16_e32 vcc, s8, v52
	v_bfrev_b32_e32 v42, 1
	s_and_saveexec_b64 s[8:9], vcc
	s_cbranch_execz .LBB560_150
; %bb.147:
	v_bfe_u32 v52, v39, 16, 7
	s_movk_i32 s10, 0x7f
	v_cmp_ne_u32_e32 vcc, s10, v52
	v_mov_b32_e32 v42, 0x7f800001
	s_and_saveexec_b64 s[10:11], vcc
	s_cbranch_execz .LBB560_149
; %bb.148:
	v_and_b32_e32 v42, 7, v38
	v_ffbh_u32_e32 v56, v42
	v_min_u32_e32 v59, 32, v56
	v_subrev_u32_e32 v56, 28, v59
	v_lshlrev_b64 v[56:57], v56, v[38:39]
	v_lshrrev_b32_e32 v58, 3, v52
	v_sub_u32_e32 v38, 29, v59
	v_and_b32_e32 v56, 7, v56
	v_cmp_gt_u32_e32 vcc, 8, v52
	v_mov_b32_e32 v52, 24
	v_cndmask_b32_e32 v38, v58, v38, vcc
	v_cndmask_b32_e32 v42, v42, v56, vcc
	v_lshlrev_b32_sdwa v52, v52, v39 dst_sel:DWORD dst_unused:UNUSED_PAD src0_sel:DWORD src1_sel:WORD_1
	v_bfrev_b32_e32 v56, 60
	v_lshlrev_b32_e32 v42, 20, v42
	v_and_b32_e32 v52, 0x80000000, v52
	v_lshl_add_u32 v38, v38, 23, v56
	v_or3_b32 v42, v52, v38, v42
.LBB560_149:
	s_or_b64 exec, exec, s[10:11]
.LBB560_150:
	s_or_b64 exec, exec, s[8:9]
.LBB560_151:
	s_or_b64 exec, exec, s[2:3]
	s_mov_b32 s2, 0xffffff
	v_cmp_lt_u32_e32 vcc, s2, v39
	v_mov_b32_e32 v52, 0
	v_mov_b32_e32 v56, 0
	s_and_saveexec_b64 s[2:3], vcc
	s_cbranch_execz .LBB560_157
; %bb.152:
	v_lshrrev_b32_e32 v38, 24, v39
	s_movk_i32 s8, 0x80
	v_cmp_ne_u32_e32 vcc, s8, v38
	v_bfrev_b32_e32 v56, 1
	s_and_saveexec_b64 s[8:9], vcc
	s_cbranch_execz .LBB560_156
; %bb.153:
	v_bfe_u32 v39, v39, 24, 7
	s_movk_i32 s10, 0x7f
	v_cmp_ne_u32_e32 vcc, s10, v39
	v_mov_b32_e32 v56, 0x7f800001
	s_and_saveexec_b64 s[10:11], vcc
	s_cbranch_execz .LBB560_155
; %bb.154:
	v_and_b32_e32 v58, 7, v38
	v_ffbh_u32_e32 v56, v58
	v_min_u32_e32 v60, 32, v56
	v_subrev_u32_e32 v56, 28, v60
	v_lshlrev_b64 v[56:57], v56, v[38:39]
	v_lshrrev_b32_e32 v59, 3, v39
	v_sub_u32_e32 v57, 29, v60
	v_and_b32_e32 v56, 7, v56
	v_cmp_gt_u32_e32 vcc, 8, v39
	v_cndmask_b32_e32 v39, v59, v57, vcc
	v_cndmask_b32_e32 v56, v58, v56, vcc
	v_lshlrev_b32_e32 v38, 24, v38
	v_bfrev_b32_e32 v57, 60
	v_lshlrev_b32_e32 v56, 20, v56
	v_and_b32_e32 v38, 0x80000000, v38
	v_lshl_add_u32 v39, v39, 23, v57
	v_or3_b32 v56, v38, v39, v56
.LBB560_155:
	s_or_b64 exec, exec, s[10:11]
.LBB560_156:
	s_or_b64 exec, exec, s[8:9]
.LBB560_157:
	s_or_b64 exec, exec, s[2:3]
	v_cvt_pkrtz_f16_f32 v38, v53, v44
	v_cvt_pkrtz_f16_f32 v39, v43, v54
	v_cmp_ne_u16_sdwa s[8:9], v40, v52 src0_sel:BYTE_0 src1_sel:DWORD
	s_nop 0
	v_mfma_f32_16x16x16f16 v[58:61], v[38:39], v[26:27], 0
	v_cvt_pkrtz_f16_f32 v38, v45, v55
	v_cvt_pkrtz_f16_f32 v39, v42, v56
	s_nop 1
	v_mfma_f32_16x16x16f16 v[42:45], v[38:39], v[28:29], v[58:61]
	s_and_saveexec_b64 s[2:3], s[8:9]
	s_cbranch_execz .LBB560_163
; %bb.158:
	s_movk_i32 s8, 0x80
	v_cmp_ne_u16_sdwa s[10:11], v40, s8 src0_sel:BYTE_0 src1_sel:DWORD
	v_bfrev_b32_e32 v52, 1
	s_and_saveexec_b64 s[8:9], s[10:11]
	s_cbranch_execz .LBB560_162
; %bb.159:
	s_movk_i32 s10, 0x7f
	v_and_b32_e32 v38, 0x7f, v40
	v_cmp_ne_u32_e32 vcc, s10, v38
	v_mov_b32_e32 v52, 0x7f800001
	s_and_saveexec_b64 s[10:11], vcc
	s_cbranch_execz .LBB560_161
; %bb.160:
	v_and_b32_e32 v39, 7, v40
	v_ffbh_u32_e32 v52, v39
	v_min_u32_e32 v55, 32, v52
	v_subrev_u32_e32 v52, 28, v55
	v_lshlrev_b64 v[52:53], v52, v[40:41]
	v_lshrrev_b32_e32 v54, 3, v38
	v_sub_u32_e32 v53, 29, v55
	v_and_b32_e32 v52, 7, v52
	v_cmp_gt_u32_e32 vcc, 8, v38
	v_cndmask_b32_e32 v38, v54, v53, vcc
	v_cndmask_b32_e32 v39, v39, v52, vcc
	v_lshlrev_b32_e32 v52, 24, v40
	v_bfrev_b32_e32 v53, 60
	v_lshlrev_b32_e32 v39, 20, v39
	v_and_b32_e32 v52, 0x80000000, v52
	v_lshl_add_u32 v38, v38, 23, v53
	v_or3_b32 v52, v52, v38, v39
.LBB560_161:
	s_or_b64 exec, exec, s[10:11]
.LBB560_162:
	s_or_b64 exec, exec, s[8:9]
.LBB560_163:
	s_or_b64 exec, exec, s[2:3]
	v_lshrrev_b16_e32 v38, 8, v40
	v_cmp_ne_u16_e32 vcc, 0, v38
	v_mov_b32_e32 v39, 0
	v_mov_b32_e32 v54, 0
	s_and_saveexec_b64 s[2:3], vcc
	s_cbranch_execz .LBB560_169
; %bb.164:
	s_movk_i32 s8, 0x80
	v_cmp_ne_u16_e32 vcc, s8, v38
	v_bfrev_b32_e32 v54, 1
	s_and_saveexec_b64 s[8:9], vcc
	s_cbranch_execz .LBB560_168
; %bb.165:
	s_movk_i32 s10, 0x7f
	v_and_b32_e32 v53, 0x7f, v38
	v_cmp_ne_u32_e32 vcc, s10, v53
	v_mov_b32_e32 v54, 0x7f800001
	s_and_saveexec_b64 s[10:11], vcc
	s_cbranch_execz .LBB560_167
; %bb.166:
	v_and_b32_e32 v56, 7, v38
	v_ffbh_u32_e32 v54, v56
	v_min_u32_e32 v58, 32, v54
	v_subrev_u32_e32 v54, 28, v58
	v_lshlrev_b64 v[54:55], v54, v[38:39]
	v_lshrrev_b32_e32 v57, 3, v53
	v_sub_u32_e32 v38, 29, v58
	v_and_b32_e32 v54, 7, v54
	v_cmp_gt_u32_e32 vcc, 8, v53
	v_cndmask_b32_e32 v38, v57, v38, vcc
	v_cndmask_b32_e32 v53, v56, v54, vcc
	v_lshlrev_b32_e32 v54, 16, v40
	v_bfrev_b32_e32 v55, 60
	v_lshlrev_b32_e32 v53, 20, v53
	v_and_b32_e32 v54, 0x80000000, v54
	v_lshl_add_u32 v38, v38, 23, v55
	v_or3_b32 v54, v54, v38, v53
.LBB560_167:
	s_or_b64 exec, exec, s[10:11]
.LBB560_168:
	s_or_b64 exec, exec, s[8:9]
.LBB560_169:
	s_or_b64 exec, exec, s[2:3]
	s_movk_i32 s2, 0xff
	v_and_b32_sdwa v53, v40, s2 dst_sel:DWORD dst_unused:UNUSED_PAD src0_sel:WORD_1 src1_sel:DWORD
	v_lshrrev_b32_e32 v38, 16, v40
	v_cmp_ne_u16_e32 vcc, 0, v53
	s_and_saveexec_b64 s[2:3], vcc
	s_cbranch_execz .LBB560_175
; %bb.170:
	s_movk_i32 s8, 0x80
	v_cmp_ne_u16_e32 vcc, s8, v53
	v_bfrev_b32_e32 v39, 1
	s_and_saveexec_b64 s[8:9], vcc
	s_cbranch_execz .LBB560_174
; %bb.171:
	v_bfe_u32 v53, v40, 16, 7
	s_movk_i32 s10, 0x7f
	v_cmp_ne_u32_e32 vcc, s10, v53
	v_mov_b32_e32 v39, 0x7f800001
	s_and_saveexec_b64 s[10:11], vcc
	s_cbranch_execz .LBB560_173
; %bb.172:
	v_and_b32_e32 v55, 7, v38
	v_ffbh_u32_e32 v39, v55
	v_min_u32_e32 v57, 32, v39
	v_subrev_u32_e32 v39, 28, v57
	v_lshlrev_b64 v[38:39], v39, v[38:39]
	v_lshrrev_b32_e32 v56, 3, v53
	v_sub_u32_e32 v39, 29, v57
	v_and_b32_e32 v38, 7, v38
	v_cmp_gt_u32_e32 vcc, 8, v53
	v_mov_b32_e32 v53, 24
	v_cndmask_b32_e32 v39, v56, v39, vcc
	v_cndmask_b32_e32 v38, v55, v38, vcc
	v_lshlrev_b32_sdwa v53, v53, v40 dst_sel:DWORD dst_unused:UNUSED_PAD src0_sel:DWORD src1_sel:WORD_1
	v_bfrev_b32_e32 v55, 60
	v_lshlrev_b32_e32 v38, 20, v38
	v_and_b32_e32 v53, 0x80000000, v53
	v_lshl_add_u32 v39, v39, 23, v55
	v_or3_b32 v39, v53, v39, v38
.LBB560_173:
	s_or_b64 exec, exec, s[10:11]
.LBB560_174:
	s_or_b64 exec, exec, s[8:9]
.LBB560_175:
	s_or_b64 exec, exec, s[2:3]
	s_mov_b32 s2, 0xffffff
	v_cmp_lt_u32_e32 vcc, s2, v40
	v_mov_b32_e32 v55, 0
	v_mov_b32_e32 v56, 0
	s_and_saveexec_b64 s[2:3], vcc
	s_cbranch_execz .LBB560_181
; %bb.176:
	v_lshrrev_b32_e32 v38, 24, v40
	s_movk_i32 s8, 0x80
	v_cmp_ne_u32_e32 vcc, s8, v38
	v_bfrev_b32_e32 v56, 1
	s_and_saveexec_b64 s[8:9], vcc
	s_cbranch_execz .LBB560_180
; %bb.177:
	v_bfe_u32 v40, v40, 24, 7
	s_movk_i32 s10, 0x7f
	v_cmp_ne_u32_e32 vcc, s10, v40
	v_mov_b32_e32 v56, 0x7f800001
	s_and_saveexec_b64 s[10:11], vcc
	s_cbranch_execz .LBB560_179
; %bb.178:
	v_and_b32_e32 v53, 7, v38
	v_ffbh_u32_e32 v56, v53
	v_min_u32_e32 v59, 32, v56
	v_subrev_u32_e32 v56, 28, v59
	v_lshlrev_b64 v[56:57], v56, v[38:39]
	v_lshrrev_b32_e32 v58, 3, v40
	v_sub_u32_e32 v57, 29, v59
	v_and_b32_e32 v56, 7, v56
	v_cmp_gt_u32_e32 vcc, 8, v40
	v_cndmask_b32_e32 v40, v58, v57, vcc
	v_cndmask_b32_e32 v53, v53, v56, vcc
	v_lshlrev_b32_e32 v38, 24, v38
	v_bfrev_b32_e32 v56, 60
	v_lshlrev_b32_e32 v53, 20, v53
	v_and_b32_e32 v38, 0x80000000, v38
	v_lshl_add_u32 v40, v40, 23, v56
	v_or3_b32 v56, v38, v40, v53
.LBB560_179:
	s_or_b64 exec, exec, s[10:11]
.LBB560_180:
	s_or_b64 exec, exec, s[8:9]
.LBB560_181:
	s_or_b64 exec, exec, s[2:3]
	v_cmp_ne_u16_sdwa s[8:9], v41, v55 src0_sel:BYTE_0 src1_sel:DWORD
	s_and_saveexec_b64 s[2:3], s[8:9]
	s_cbranch_execz .LBB560_187
; %bb.182:
	s_movk_i32 s8, 0x80
	v_cmp_ne_u16_sdwa s[10:11], v41, s8 src0_sel:BYTE_0 src1_sel:DWORD
	v_bfrev_b32_e32 v55, 1
	s_and_saveexec_b64 s[8:9], s[10:11]
	s_cbranch_execz .LBB560_186
; %bb.183:
	s_movk_i32 s10, 0x7f
	v_and_b32_e32 v38, 0x7f, v41
	v_cmp_ne_u32_e32 vcc, s10, v38
	v_mov_b32_e32 v55, 0x7f800001
	s_and_saveexec_b64 s[10:11], vcc
	s_cbranch_execz .LBB560_185
; %bb.184:
	v_and_b32_e32 v53, 7, v41
	v_ffbh_u32_e32 v57, v53
	v_min_u32_e32 v57, 32, v57
	v_mov_b32_e32 v40, v41
	v_subrev_u32_e32 v58, 28, v57
	v_lshlrev_b64 v[58:59], v58, v[40:41]
	v_lshrrev_b32_e32 v55, 3, v38
	v_sub_u32_e32 v40, 29, v57
	v_and_b32_e32 v57, 7, v58
	v_cmp_gt_u32_e32 vcc, 8, v38
	v_cndmask_b32_e32 v38, v55, v40, vcc
	v_cndmask_b32_e32 v40, v53, v57, vcc
	v_lshlrev_b32_e32 v53, 24, v41
	v_bfrev_b32_e32 v55, 60
	v_lshlrev_b32_e32 v40, 20, v40
	v_and_b32_e32 v53, 0x80000000, v53
	v_lshl_add_u32 v38, v38, 23, v55
	v_or3_b32 v55, v53, v38, v40
.LBB560_185:
	s_or_b64 exec, exec, s[10:11]
.LBB560_186:
	s_or_b64 exec, exec, s[8:9]
.LBB560_187:
	s_or_b64 exec, exec, s[2:3]
	v_lshrrev_b16_e32 v38, 8, v41
	v_cmp_ne_u16_e32 vcc, 0, v38
	v_mov_b32_e32 v40, 0
	v_mov_b32_e32 v57, 0
	s_and_saveexec_b64 s[2:3], vcc
	s_cbranch_execz .LBB560_193
; %bb.188:
	s_movk_i32 s8, 0x80
	v_cmp_ne_u16_e32 vcc, s8, v38
	v_bfrev_b32_e32 v57, 1
	s_and_saveexec_b64 s[8:9], vcc
	s_cbranch_execz .LBB560_192
; %bb.189:
	s_movk_i32 s10, 0x7f
	v_and_b32_e32 v53, 0x7f, v38
	v_cmp_ne_u32_e32 vcc, s10, v53
	v_mov_b32_e32 v57, 0x7f800001
	s_and_saveexec_b64 s[10:11], vcc
	s_cbranch_execz .LBB560_191
; %bb.190:
	v_and_b32_e32 v57, 7, v38
	v_ffbh_u32_e32 v58, v57
	v_min_u32_e32 v61, 32, v58
	v_subrev_u32_e32 v58, 28, v61
	v_lshlrev_b64 v[58:59], v58, v[38:39]
	v_lshrrev_b32_e32 v60, 3, v53
	v_sub_u32_e32 v38, 29, v61
	v_and_b32_e32 v58, 7, v58
	v_cmp_gt_u32_e32 vcc, 8, v53
	v_cndmask_b32_e32 v38, v60, v38, vcc
	v_cndmask_b32_e32 v53, v57, v58, vcc
	v_lshlrev_b32_e32 v57, 16, v41
	v_bfrev_b32_e32 v58, 60
	v_lshlrev_b32_e32 v53, 20, v53
	v_and_b32_e32 v57, 0x80000000, v57
	v_lshl_add_u32 v38, v38, 23, v58
	v_or3_b32 v57, v57, v38, v53
.LBB560_191:
	s_or_b64 exec, exec, s[10:11]
.LBB560_192:
	s_or_b64 exec, exec, s[8:9]
.LBB560_193:
	s_or_b64 exec, exec, s[2:3]
	s_movk_i32 s2, 0xff
	v_and_b32_sdwa v53, v41, s2 dst_sel:DWORD dst_unused:UNUSED_PAD src0_sel:WORD_1 src1_sel:DWORD
	v_lshrrev_b32_e32 v38, 16, v41
	v_cmp_ne_u16_e32 vcc, 0, v53
	s_and_saveexec_b64 s[2:3], vcc
	s_cbranch_execz .LBB560_199
; %bb.194:
	s_movk_i32 s8, 0x80
	v_cmp_ne_u16_e32 vcc, s8, v53
	v_bfrev_b32_e32 v40, 1
	s_and_saveexec_b64 s[8:9], vcc
	s_cbranch_execz .LBB560_198
; %bb.195:
	v_bfe_u32 v53, v41, 16, 7
	s_movk_i32 s10, 0x7f
	v_cmp_ne_u32_e32 vcc, s10, v53
	v_mov_b32_e32 v40, 0x7f800001
	s_and_saveexec_b64 s[10:11], vcc
	s_cbranch_execz .LBB560_197
; %bb.196:
	v_and_b32_e32 v40, 7, v38
	v_ffbh_u32_e32 v58, v40
	v_min_u32_e32 v61, 32, v58
	v_subrev_u32_e32 v58, 28, v61
	v_lshlrev_b64 v[58:59], v58, v[38:39]
	v_lshrrev_b32_e32 v60, 3, v53
	v_sub_u32_e32 v38, 29, v61
	v_and_b32_e32 v58, 7, v58
	v_cmp_gt_u32_e32 vcc, 8, v53
	v_mov_b32_e32 v53, 24
	v_cndmask_b32_e32 v38, v60, v38, vcc
	v_cndmask_b32_e32 v40, v40, v58, vcc
	v_lshlrev_b32_sdwa v53, v53, v41 dst_sel:DWORD dst_unused:UNUSED_PAD src0_sel:DWORD src1_sel:WORD_1
	v_bfrev_b32_e32 v58, 60
	v_lshlrev_b32_e32 v40, 20, v40
	v_and_b32_e32 v53, 0x80000000, v53
	v_lshl_add_u32 v38, v38, 23, v58
	v_or3_b32 v40, v53, v38, v40
.LBB560_197:
	s_or_b64 exec, exec, s[10:11]
.LBB560_198:
	s_or_b64 exec, exec, s[8:9]
.LBB560_199:
	s_or_b64 exec, exec, s[2:3]
	s_mov_b32 s2, 0xffffff
	v_cmp_lt_u32_e32 vcc, s2, v41
	v_mov_b32_e32 v53, 0
	v_mov_b32_e32 v58, 0
	s_and_saveexec_b64 s[2:3], vcc
	s_cbranch_execz .LBB560_205
; %bb.200:
	v_lshrrev_b32_e32 v38, 24, v41
	s_movk_i32 s8, 0x80
	v_cmp_ne_u32_e32 vcc, s8, v38
	v_bfrev_b32_e32 v58, 1
	s_and_saveexec_b64 s[8:9], vcc
	s_cbranch_execz .LBB560_204
; %bb.201:
	v_bfe_u32 v41, v41, 24, 7
	s_movk_i32 s10, 0x7f
	v_cmp_ne_u32_e32 vcc, s10, v41
	v_mov_b32_e32 v58, 0x7f800001
	s_and_saveexec_b64 s[10:11], vcc
	s_cbranch_execz .LBB560_203
; %bb.202:
	v_and_b32_e32 v60, 7, v38
	v_ffbh_u32_e32 v58, v60
	v_min_u32_e32 v62, 32, v58
	v_subrev_u32_e32 v58, 28, v62
	v_lshlrev_b64 v[58:59], v58, v[38:39]
	v_lshrrev_b32_e32 v61, 3, v41
	v_sub_u32_e32 v59, 29, v62
	v_and_b32_e32 v58, 7, v58
	v_cmp_gt_u32_e32 vcc, 8, v41
	v_cndmask_b32_e32 v41, v61, v59, vcc
	v_cndmask_b32_e32 v58, v60, v58, vcc
	v_lshlrev_b32_e32 v38, 24, v38
	v_bfrev_b32_e32 v59, 60
	v_lshlrev_b32_e32 v58, 20, v58
	v_and_b32_e32 v38, 0x80000000, v38
	v_lshl_add_u32 v41, v41, 23, v59
	v_or3_b32 v58, v38, v41, v58
.LBB560_203:
	s_or_b64 exec, exec, s[10:11]
.LBB560_204:
	s_or_b64 exec, exec, s[8:9]
.LBB560_205:
	s_or_b64 exec, exec, s[2:3]
	v_cvt_pkrtz_f16_f32 v38, v52, v54
	v_cvt_pkrtz_f16_f32 v39, v39, v56
	v_cmp_ne_u16_sdwa s[8:9], v30, v53 src0_sel:BYTE_0 src1_sel:DWORD
	s_nop 0
	v_mfma_f32_16x16x16f16 v[42:45], v[38:39], v[18:19], v[42:45]
	v_cvt_pkrtz_f16_f32 v38, v55, v57
	v_cvt_pkrtz_f16_f32 v39, v40, v58
	s_nop 1
	v_mfma_f32_16x16x16f16 v[38:41], v[38:39], v[20:21], v[42:45]
	s_and_saveexec_b64 s[2:3], s[8:9]
	s_cbranch_execz .LBB560_211
; %bb.206:
	s_movk_i32 s8, 0x80
	v_cmp_ne_u16_sdwa s[10:11], v30, s8 src0_sel:BYTE_0 src1_sel:DWORD
	v_bfrev_b32_e32 v53, 1
	s_and_saveexec_b64 s[8:9], s[10:11]
	s_cbranch_execz .LBB560_210
; %bb.207:
	s_movk_i32 s10, 0x7f
	v_and_b32_e32 v42, 0x7f, v30
	v_cmp_ne_u32_e32 vcc, s10, v42
	v_mov_b32_e32 v53, 0x7f800001
	s_and_saveexec_b64 s[10:11], vcc
	s_cbranch_execz .LBB560_209
; %bb.208:
	v_and_b32_e32 v43, 7, v30
	v_ffbh_u32_e32 v44, v43
	v_min_u32_e32 v53, 32, v44
	v_subrev_u32_e32 v44, 28, v53
	v_lshlrev_b64 v[44:45], v44, v[30:31]
	v_lshrrev_b32_e32 v52, 3, v42
	v_sub_u32_e32 v45, 29, v53
	v_and_b32_e32 v44, 7, v44
	v_cmp_gt_u32_e32 vcc, 8, v42
	v_cndmask_b32_e32 v42, v52, v45, vcc
	v_cndmask_b32_e32 v43, v43, v44, vcc
	v_lshlrev_b32_e32 v44, 24, v30
	v_bfrev_b32_e32 v45, 60
	v_lshlrev_b32_e32 v43, 20, v43
	v_and_b32_e32 v44, 0x80000000, v44
	v_lshl_add_u32 v42, v42, 23, v45
	v_or3_b32 v53, v44, v42, v43
.LBB560_209:
	s_or_b64 exec, exec, s[10:11]
.LBB560_210:
	s_or_b64 exec, exec, s[8:9]
.LBB560_211:
	s_or_b64 exec, exec, s[2:3]
	s_nop 3
	v_lshrrev_b16_e32 v42, 8, v30
	v_cmp_ne_u16_e32 vcc, 0, v42
	v_mov_b32_e32 v43, 0
	v_mov_b32_e32 v44, 0
	s_and_saveexec_b64 s[2:3], vcc
	s_cbranch_execz .LBB560_217
; %bb.212:
	s_movk_i32 s8, 0x80
	v_cmp_ne_u16_e32 vcc, s8, v42
	v_bfrev_b32_e32 v44, 1
	s_and_saveexec_b64 s[8:9], vcc
	s_cbranch_execz .LBB560_216
; %bb.213:
	s_movk_i32 s10, 0x7f
	v_and_b32_e32 v45, 0x7f, v42
	v_cmp_ne_u32_e32 vcc, s10, v45
	v_mov_b32_e32 v44, 0x7f800001
	s_and_saveexec_b64 s[10:11], vcc
	s_cbranch_execz .LBB560_215
; %bb.214:
	v_and_b32_e32 v44, 7, v42
	v_ffbh_u32_e32 v54, v44
	v_min_u32_e32 v56, 32, v54
	v_subrev_u32_e32 v54, 28, v56
	v_lshlrev_b64 v[54:55], v54, v[42:43]
	v_lshrrev_b32_e32 v52, 3, v45
	v_sub_u32_e32 v42, 29, v56
	v_and_b32_e32 v54, 7, v54
	v_cmp_gt_u32_e32 vcc, 8, v45
	v_cndmask_b32_e32 v42, v52, v42, vcc
	v_cndmask_b32_e32 v44, v44, v54, vcc
	v_lshlrev_b32_e32 v45, 16, v30
	v_bfrev_b32_e32 v52, 60
	v_lshlrev_b32_e32 v44, 20, v44
	v_and_b32_e32 v45, 0x80000000, v45
	v_lshl_add_u32 v42, v42, 23, v52
	v_or3_b32 v44, v45, v42, v44
.LBB560_215:
	s_or_b64 exec, exec, s[10:11]
.LBB560_216:
	s_or_b64 exec, exec, s[8:9]
.LBB560_217:
	s_or_b64 exec, exec, s[2:3]
	s_movk_i32 s2, 0xff
	v_and_b32_sdwa v45, v30, s2 dst_sel:DWORD dst_unused:UNUSED_PAD src0_sel:WORD_1 src1_sel:DWORD
	v_lshrrev_b32_e32 v42, 16, v30
	v_cmp_ne_u16_e32 vcc, 0, v45
	s_and_saveexec_b64 s[2:3], vcc
	s_cbranch_execz .LBB560_223
; %bb.218:
	s_movk_i32 s8, 0x80
	v_cmp_ne_u16_e32 vcc, s8, v45
	v_bfrev_b32_e32 v43, 1
	s_and_saveexec_b64 s[8:9], vcc
	s_cbranch_execz .LBB560_222
; %bb.219:
	v_bfe_u32 v45, v30, 16, 7
	s_movk_i32 s10, 0x7f
	v_cmp_ne_u32_e32 vcc, s10, v45
	v_mov_b32_e32 v43, 0x7f800001
	s_and_saveexec_b64 s[10:11], vcc
	s_cbranch_execz .LBB560_221
; %bb.220:
	v_and_b32_e32 v52, 7, v42
	v_ffbh_u32_e32 v43, v52
	v_min_u32_e32 v55, 32, v43
	v_subrev_u32_e32 v43, 28, v55
	v_lshlrev_b64 v[42:43], v43, v[42:43]
	v_lshrrev_b32_e32 v54, 3, v45
	v_sub_u32_e32 v43, 29, v55
	v_and_b32_e32 v42, 7, v42
	v_cmp_gt_u32_e32 vcc, 8, v45
	v_mov_b32_e32 v45, 24
	v_cndmask_b32_e32 v43, v54, v43, vcc
	v_cndmask_b32_e32 v42, v52, v42, vcc
	v_lshlrev_b32_sdwa v45, v45, v30 dst_sel:DWORD dst_unused:UNUSED_PAD src0_sel:DWORD src1_sel:WORD_1
	v_bfrev_b32_e32 v52, 60
	v_lshlrev_b32_e32 v42, 20, v42
	v_and_b32_e32 v45, 0x80000000, v45
	v_lshl_add_u32 v43, v43, 23, v52
	v_or3_b32 v43, v45, v43, v42
.LBB560_221:
	s_or_b64 exec, exec, s[10:11]
.LBB560_222:
	s_or_b64 exec, exec, s[8:9]
.LBB560_223:
	s_or_b64 exec, exec, s[2:3]
	s_mov_b32 s2, 0xffffff
	v_cmp_lt_u32_e32 vcc, s2, v30
	v_mov_b32_e32 v45, 0
	v_mov_b32_e32 v54, 0
	s_and_saveexec_b64 s[2:3], vcc
	s_cbranch_execz .LBB560_229
; %bb.224:
	v_lshrrev_b32_e32 v42, 24, v30
	s_movk_i32 s8, 0x80
	v_cmp_ne_u32_e32 vcc, s8, v42
	v_bfrev_b32_e32 v54, 1
	s_and_saveexec_b64 s[8:9], vcc
	s_cbranch_execz .LBB560_228
; %bb.225:
	v_bfe_u32 v30, v30, 24, 7
	s_movk_i32 s10, 0x7f
	v_cmp_ne_u32_e32 vcc, s10, v30
	v_mov_b32_e32 v54, 0x7f800001
	s_and_saveexec_b64 s[10:11], vcc
	s_cbranch_execz .LBB560_227
; %bb.226:
	v_and_b32_e32 v52, 7, v42
	v_ffbh_u32_e32 v54, v52
	v_min_u32_e32 v57, 32, v54
	v_subrev_u32_e32 v54, 28, v57
	v_lshlrev_b64 v[54:55], v54, v[42:43]
	v_lshrrev_b32_e32 v56, 3, v30
	v_sub_u32_e32 v55, 29, v57
	v_and_b32_e32 v54, 7, v54
	v_cmp_gt_u32_e32 vcc, 8, v30
	v_cndmask_b32_e32 v30, v56, v55, vcc
	v_cndmask_b32_e32 v52, v52, v54, vcc
	v_lshlrev_b32_e32 v42, 24, v42
	v_bfrev_b32_e32 v54, 60
	v_lshlrev_b32_e32 v52, 20, v52
	v_and_b32_e32 v42, 0x80000000, v42
	v_lshl_add_u32 v30, v30, 23, v54
	v_or3_b32 v54, v42, v30, v52
.LBB560_227:
	s_or_b64 exec, exec, s[10:11]
.LBB560_228:
	s_or_b64 exec, exec, s[8:9]
.LBB560_229:
	s_or_b64 exec, exec, s[2:3]
	v_cmp_ne_u16_sdwa s[8:9], v31, v45 src0_sel:BYTE_0 src1_sel:DWORD
	s_and_saveexec_b64 s[2:3], s[8:9]
	s_cbranch_execz .LBB560_235
; %bb.230:
	s_movk_i32 s8, 0x80
	v_cmp_ne_u16_sdwa s[10:11], v31, s8 src0_sel:BYTE_0 src1_sel:DWORD
	v_bfrev_b32_e32 v45, 1
	s_and_saveexec_b64 s[8:9], s[10:11]
	s_cbranch_execz .LBB560_234
; %bb.231:
	s_movk_i32 s10, 0x7f
	v_and_b32_e32 v30, 0x7f, v31
	v_cmp_ne_u32_e32 vcc, s10, v30
	v_mov_b32_e32 v45, 0x7f800001
	s_and_saveexec_b64 s[10:11], vcc
	s_cbranch_execz .LBB560_233
; %bb.232:
	v_and_b32_e32 v45, 7, v31
	v_ffbh_u32_e32 v55, v45
	v_min_u32_e32 v55, 32, v55
	v_mov_b32_e32 v42, v31
	v_subrev_u32_e32 v56, 28, v55
	v_lshlrev_b64 v[56:57], v56, v[42:43]
	v_lshrrev_b32_e32 v52, 3, v30
	v_sub_u32_e32 v42, 29, v55
	v_and_b32_e32 v55, 7, v56
	v_cmp_gt_u32_e32 vcc, 8, v30
	v_cndmask_b32_e32 v30, v52, v42, vcc
	v_cndmask_b32_e32 v42, v45, v55, vcc
	v_lshlrev_b32_e32 v45, 24, v31
	v_bfrev_b32_e32 v52, 60
	v_lshlrev_b32_e32 v42, 20, v42
	v_and_b32_e32 v45, 0x80000000, v45
	v_lshl_add_u32 v30, v30, 23, v52
	v_or3_b32 v45, v45, v30, v42
.LBB560_233:
	s_or_b64 exec, exec, s[10:11]
.LBB560_234:
	s_or_b64 exec, exec, s[8:9]
.LBB560_235:
	s_or_b64 exec, exec, s[2:3]
	v_lshrrev_b16_e32 v30, 8, v31
	v_cmp_ne_u16_e32 vcc, 0, v30
	v_mov_b32_e32 v42, 0
	v_mov_b32_e32 v55, 0
	s_and_saveexec_b64 s[2:3], vcc
	s_cbranch_execz .LBB560_241
; %bb.236:
	s_movk_i32 s8, 0x80
	v_cmp_ne_u16_e32 vcc, s8, v30
	v_bfrev_b32_e32 v55, 1
	s_and_saveexec_b64 s[8:9], vcc
	s_cbranch_execz .LBB560_240
; %bb.237:
	s_movk_i32 s10, 0x7f
	v_and_b32_e32 v52, 0x7f, v30
	v_cmp_ne_u32_e32 vcc, s10, v52
	v_mov_b32_e32 v55, 0x7f800001
	s_and_saveexec_b64 s[10:11], vcc
	s_cbranch_execz .LBB560_239
; %bb.238:
	v_and_b32_e32 v55, 7, v30
	v_ffbh_u32_e32 v56, v55
	v_min_u32_e32 v59, 32, v56
	v_subrev_u32_e32 v56, 28, v59
	v_lshlrev_b64 v[56:57], v56, v[30:31]
	v_lshrrev_b32_e32 v58, 3, v52
	v_sub_u32_e32 v30, 29, v59
	v_and_b32_e32 v56, 7, v56
	v_cmp_gt_u32_e32 vcc, 8, v52
	v_cndmask_b32_e32 v30, v58, v30, vcc
	v_cndmask_b32_e32 v52, v55, v56, vcc
	v_lshlrev_b32_e32 v55, 16, v31
	v_bfrev_b32_e32 v56, 60
	v_lshlrev_b32_e32 v52, 20, v52
	v_and_b32_e32 v55, 0x80000000, v55
	v_lshl_add_u32 v30, v30, 23, v56
	v_or3_b32 v55, v55, v30, v52
.LBB560_239:
	s_or_b64 exec, exec, s[10:11]
.LBB560_240:
	s_or_b64 exec, exec, s[8:9]
.LBB560_241:
	s_or_b64 exec, exec, s[2:3]
	s_movk_i32 s2, 0xff
	v_and_b32_sdwa v52, v31, s2 dst_sel:DWORD dst_unused:UNUSED_PAD src0_sel:WORD_1 src1_sel:DWORD
	v_lshrrev_b32_e32 v30, 16, v31
	v_cmp_ne_u16_e32 vcc, 0, v52
	s_and_saveexec_b64 s[2:3], vcc
	s_cbranch_execz .LBB560_247
; %bb.242:
	s_movk_i32 s8, 0x80
	v_cmp_ne_u16_e32 vcc, s8, v52
	v_bfrev_b32_e32 v42, 1
	s_and_saveexec_b64 s[8:9], vcc
	s_cbranch_execz .LBB560_246
; %bb.243:
	v_bfe_u32 v52, v31, 16, 7
	s_movk_i32 s10, 0x7f
	v_cmp_ne_u32_e32 vcc, s10, v52
	v_mov_b32_e32 v42, 0x7f800001
	s_and_saveexec_b64 s[10:11], vcc
	s_cbranch_execz .LBB560_245
; %bb.244:
	v_and_b32_e32 v42, 7, v30
	v_ffbh_u32_e32 v56, v42
	v_min_u32_e32 v59, 32, v56
	v_subrev_u32_e32 v56, 28, v59
	v_lshlrev_b64 v[56:57], v56, v[30:31]
	v_lshrrev_b32_e32 v58, 3, v52
	v_sub_u32_e32 v30, 29, v59
	v_and_b32_e32 v56, 7, v56
	v_cmp_gt_u32_e32 vcc, 8, v52
	v_mov_b32_e32 v52, 24
	v_cndmask_b32_e32 v30, v58, v30, vcc
	v_cndmask_b32_e32 v42, v42, v56, vcc
	v_lshlrev_b32_sdwa v52, v52, v31 dst_sel:DWORD dst_unused:UNUSED_PAD src0_sel:DWORD src1_sel:WORD_1
	v_bfrev_b32_e32 v56, 60
	v_lshlrev_b32_e32 v42, 20, v42
	v_and_b32_e32 v52, 0x80000000, v52
	v_lshl_add_u32 v30, v30, 23, v56
	v_or3_b32 v42, v52, v30, v42
.LBB560_245:
	s_or_b64 exec, exec, s[10:11]
.LBB560_246:
	s_or_b64 exec, exec, s[8:9]
.LBB560_247:
	s_or_b64 exec, exec, s[2:3]
	s_mov_b32 s2, 0xffffff
	v_cmp_lt_u32_e32 vcc, s2, v31
	v_mov_b32_e32 v52, 0
	v_mov_b32_e32 v56, 0
	s_and_saveexec_b64 s[2:3], vcc
	s_cbranch_execz .LBB560_253
; %bb.248:
	v_lshrrev_b32_e32 v30, 24, v31
	s_movk_i32 s8, 0x80
	v_cmp_ne_u32_e32 vcc, s8, v30
	v_bfrev_b32_e32 v56, 1
	s_and_saveexec_b64 s[8:9], vcc
	s_cbranch_execz .LBB560_252
; %bb.249:
	v_bfe_u32 v31, v31, 24, 7
	s_movk_i32 s10, 0x7f
	v_cmp_ne_u32_e32 vcc, s10, v31
	v_mov_b32_e32 v56, 0x7f800001
	s_and_saveexec_b64 s[10:11], vcc
	s_cbranch_execz .LBB560_251
; %bb.250:
	v_and_b32_e32 v58, 7, v30
	v_ffbh_u32_e32 v56, v58
	v_min_u32_e32 v60, 32, v56
	v_subrev_u32_e32 v56, 28, v60
	v_lshlrev_b64 v[56:57], v56, v[30:31]
	v_lshrrev_b32_e32 v59, 3, v31
	v_sub_u32_e32 v57, 29, v60
	v_and_b32_e32 v56, 7, v56
	v_cmp_gt_u32_e32 vcc, 8, v31
	v_cndmask_b32_e32 v31, v59, v57, vcc
	v_cndmask_b32_e32 v56, v58, v56, vcc
	v_lshlrev_b32_e32 v30, 24, v30
	v_bfrev_b32_e32 v57, 60
	v_lshlrev_b32_e32 v56, 20, v56
	v_and_b32_e32 v30, 0x80000000, v30
	v_lshl_add_u32 v31, v31, 23, v57
	v_or3_b32 v56, v30, v31, v56
.LBB560_251:
	s_or_b64 exec, exec, s[10:11]
.LBB560_252:
	s_or_b64 exec, exec, s[8:9]
.LBB560_253:
	s_or_b64 exec, exec, s[2:3]
	v_cvt_pkrtz_f16_f32 v30, v53, v44
	v_cvt_pkrtz_f16_f32 v31, v43, v54
	v_cmp_ne_u16_sdwa s[8:9], v32, v52 src0_sel:BYTE_0 src1_sel:DWORD
	s_nop 0
	v_mfma_f32_16x16x16f16 v[58:61], v[30:31], v[26:27], 0
	v_cvt_pkrtz_f16_f32 v30, v45, v55
	v_cvt_pkrtz_f16_f32 v31, v42, v56
	s_nop 1
	v_mfma_f32_16x16x16f16 v[42:45], v[30:31], v[28:29], v[58:61]
	s_and_saveexec_b64 s[2:3], s[8:9]
	s_cbranch_execz .LBB560_259
; %bb.254:
	s_movk_i32 s8, 0x80
	v_cmp_ne_u16_sdwa s[10:11], v32, s8 src0_sel:BYTE_0 src1_sel:DWORD
	v_bfrev_b32_e32 v52, 1
	s_and_saveexec_b64 s[8:9], s[10:11]
	s_cbranch_execz .LBB560_258
; %bb.255:
	s_movk_i32 s10, 0x7f
	v_and_b32_e32 v30, 0x7f, v32
	v_cmp_ne_u32_e32 vcc, s10, v30
	v_mov_b32_e32 v52, 0x7f800001
	s_and_saveexec_b64 s[10:11], vcc
	s_cbranch_execz .LBB560_257
; %bb.256:
	v_and_b32_e32 v31, 7, v32
	v_ffbh_u32_e32 v52, v31
	v_min_u32_e32 v55, 32, v52
	v_subrev_u32_e32 v52, 28, v55
	v_lshlrev_b64 v[52:53], v52, v[32:33]
	v_lshrrev_b32_e32 v54, 3, v30
	v_sub_u32_e32 v53, 29, v55
	v_and_b32_e32 v52, 7, v52
	v_cmp_gt_u32_e32 vcc, 8, v30
	v_cndmask_b32_e32 v30, v54, v53, vcc
	v_cndmask_b32_e32 v31, v31, v52, vcc
	v_lshlrev_b32_e32 v52, 24, v32
	v_bfrev_b32_e32 v53, 60
	v_lshlrev_b32_e32 v31, 20, v31
	v_and_b32_e32 v52, 0x80000000, v52
	v_lshl_add_u32 v30, v30, 23, v53
	v_or3_b32 v52, v52, v30, v31
.LBB560_257:
	s_or_b64 exec, exec, s[10:11]
.LBB560_258:
	s_or_b64 exec, exec, s[8:9]
.LBB560_259:
	s_or_b64 exec, exec, s[2:3]
	v_lshrrev_b16_e32 v30, 8, v32
	v_cmp_ne_u16_e32 vcc, 0, v30
	v_mov_b32_e32 v31, 0
	v_mov_b32_e32 v54, 0
	s_and_saveexec_b64 s[2:3], vcc
	s_cbranch_execz .LBB560_265
; %bb.260:
	s_movk_i32 s8, 0x80
	v_cmp_ne_u16_e32 vcc, s8, v30
	v_bfrev_b32_e32 v54, 1
	s_and_saveexec_b64 s[8:9], vcc
	s_cbranch_execz .LBB560_264
; %bb.261:
	s_movk_i32 s10, 0x7f
	v_and_b32_e32 v53, 0x7f, v30
	v_cmp_ne_u32_e32 vcc, s10, v53
	v_mov_b32_e32 v54, 0x7f800001
	s_and_saveexec_b64 s[10:11], vcc
	s_cbranch_execz .LBB560_263
; %bb.262:
	v_and_b32_e32 v56, 7, v30
	v_ffbh_u32_e32 v54, v56
	v_min_u32_e32 v58, 32, v54
	v_subrev_u32_e32 v54, 28, v58
	v_lshlrev_b64 v[54:55], v54, v[30:31]
	v_lshrrev_b32_e32 v57, 3, v53
	v_sub_u32_e32 v30, 29, v58
	v_and_b32_e32 v54, 7, v54
	v_cmp_gt_u32_e32 vcc, 8, v53
	v_cndmask_b32_e32 v30, v57, v30, vcc
	v_cndmask_b32_e32 v53, v56, v54, vcc
	v_lshlrev_b32_e32 v54, 16, v32
	v_bfrev_b32_e32 v55, 60
	v_lshlrev_b32_e32 v53, 20, v53
	v_and_b32_e32 v54, 0x80000000, v54
	v_lshl_add_u32 v30, v30, 23, v55
	v_or3_b32 v54, v54, v30, v53
.LBB560_263:
	s_or_b64 exec, exec, s[10:11]
.LBB560_264:
	s_or_b64 exec, exec, s[8:9]
.LBB560_265:
	s_or_b64 exec, exec, s[2:3]
	s_movk_i32 s2, 0xff
	v_and_b32_sdwa v53, v32, s2 dst_sel:DWORD dst_unused:UNUSED_PAD src0_sel:WORD_1 src1_sel:DWORD
	v_lshrrev_b32_e32 v30, 16, v32
	v_cmp_ne_u16_e32 vcc, 0, v53
	s_and_saveexec_b64 s[2:3], vcc
	s_cbranch_execz .LBB560_271
; %bb.266:
	s_movk_i32 s8, 0x80
	v_cmp_ne_u16_e32 vcc, s8, v53
	v_bfrev_b32_e32 v31, 1
	s_and_saveexec_b64 s[8:9], vcc
	s_cbranch_execz .LBB560_270
; %bb.267:
	v_bfe_u32 v53, v32, 16, 7
	s_movk_i32 s10, 0x7f
	v_cmp_ne_u32_e32 vcc, s10, v53
	v_mov_b32_e32 v31, 0x7f800001
	s_and_saveexec_b64 s[10:11], vcc
	s_cbranch_execz .LBB560_269
; %bb.268:
	v_and_b32_e32 v55, 7, v30
	v_ffbh_u32_e32 v31, v55
	v_min_u32_e32 v57, 32, v31
	v_subrev_u32_e32 v31, 28, v57
	v_lshlrev_b64 v[30:31], v31, v[30:31]
	v_lshrrev_b32_e32 v56, 3, v53
	v_sub_u32_e32 v31, 29, v57
	v_and_b32_e32 v30, 7, v30
	v_cmp_gt_u32_e32 vcc, 8, v53
	v_mov_b32_e32 v53, 24
	v_cndmask_b32_e32 v31, v56, v31, vcc
	v_cndmask_b32_e32 v30, v55, v30, vcc
	v_lshlrev_b32_sdwa v53, v53, v32 dst_sel:DWORD dst_unused:UNUSED_PAD src0_sel:DWORD src1_sel:WORD_1
	v_bfrev_b32_e32 v55, 60
	v_lshlrev_b32_e32 v30, 20, v30
	v_and_b32_e32 v53, 0x80000000, v53
	v_lshl_add_u32 v31, v31, 23, v55
	v_or3_b32 v31, v53, v31, v30
.LBB560_269:
	s_or_b64 exec, exec, s[10:11]
.LBB560_270:
	s_or_b64 exec, exec, s[8:9]
.LBB560_271:
	s_or_b64 exec, exec, s[2:3]
	s_mov_b32 s2, 0xffffff
	v_cmp_lt_u32_e32 vcc, s2, v32
	v_mov_b32_e32 v55, 0
	v_mov_b32_e32 v56, 0
	s_and_saveexec_b64 s[2:3], vcc
	s_cbranch_execz .LBB560_277
; %bb.272:
	v_lshrrev_b32_e32 v30, 24, v32
	s_movk_i32 s8, 0x80
	v_cmp_ne_u32_e32 vcc, s8, v30
	v_bfrev_b32_e32 v56, 1
	s_and_saveexec_b64 s[8:9], vcc
	s_cbranch_execz .LBB560_276
; %bb.273:
	v_bfe_u32 v32, v32, 24, 7
	s_movk_i32 s10, 0x7f
	v_cmp_ne_u32_e32 vcc, s10, v32
	v_mov_b32_e32 v56, 0x7f800001
	s_and_saveexec_b64 s[10:11], vcc
	s_cbranch_execz .LBB560_275
; %bb.274:
	v_and_b32_e32 v53, 7, v30
	v_ffbh_u32_e32 v56, v53
	v_min_u32_e32 v59, 32, v56
	v_subrev_u32_e32 v56, 28, v59
	v_lshlrev_b64 v[56:57], v56, v[30:31]
	v_lshrrev_b32_e32 v58, 3, v32
	v_sub_u32_e32 v57, 29, v59
	v_and_b32_e32 v56, 7, v56
	v_cmp_gt_u32_e32 vcc, 8, v32
	v_cndmask_b32_e32 v32, v58, v57, vcc
	v_cndmask_b32_e32 v53, v53, v56, vcc
	v_lshlrev_b32_e32 v30, 24, v30
	v_bfrev_b32_e32 v56, 60
	v_lshlrev_b32_e32 v53, 20, v53
	v_and_b32_e32 v30, 0x80000000, v30
	v_lshl_add_u32 v32, v32, 23, v56
	v_or3_b32 v56, v30, v32, v53
.LBB560_275:
	s_or_b64 exec, exec, s[10:11]
.LBB560_276:
	s_or_b64 exec, exec, s[8:9]
.LBB560_277:
	s_or_b64 exec, exec, s[2:3]
	v_cmp_ne_u16_sdwa s[8:9], v33, v55 src0_sel:BYTE_0 src1_sel:DWORD
	s_and_saveexec_b64 s[2:3], s[8:9]
	s_cbranch_execz .LBB560_283
; %bb.278:
	s_movk_i32 s8, 0x80
	v_cmp_ne_u16_sdwa s[10:11], v33, s8 src0_sel:BYTE_0 src1_sel:DWORD
	v_bfrev_b32_e32 v55, 1
	s_and_saveexec_b64 s[8:9], s[10:11]
	s_cbranch_execz .LBB560_282
; %bb.279:
	s_movk_i32 s10, 0x7f
	v_and_b32_e32 v30, 0x7f, v33
	v_cmp_ne_u32_e32 vcc, s10, v30
	v_mov_b32_e32 v55, 0x7f800001
	s_and_saveexec_b64 s[10:11], vcc
	s_cbranch_execz .LBB560_281
; %bb.280:
	v_and_b32_e32 v53, 7, v33
	v_ffbh_u32_e32 v57, v53
	v_min_u32_e32 v57, 32, v57
	v_mov_b32_e32 v32, v33
	v_subrev_u32_e32 v58, 28, v57
	v_lshlrev_b64 v[58:59], v58, v[32:33]
	v_lshrrev_b32_e32 v55, 3, v30
	v_sub_u32_e32 v32, 29, v57
	v_and_b32_e32 v57, 7, v58
	v_cmp_gt_u32_e32 vcc, 8, v30
	v_cndmask_b32_e32 v30, v55, v32, vcc
	v_cndmask_b32_e32 v32, v53, v57, vcc
	v_lshlrev_b32_e32 v53, 24, v33
	v_bfrev_b32_e32 v55, 60
	v_lshlrev_b32_e32 v32, 20, v32
	v_and_b32_e32 v53, 0x80000000, v53
	v_lshl_add_u32 v30, v30, 23, v55
	v_or3_b32 v55, v53, v30, v32
.LBB560_281:
	s_or_b64 exec, exec, s[10:11]
.LBB560_282:
	s_or_b64 exec, exec, s[8:9]
.LBB560_283:
	s_or_b64 exec, exec, s[2:3]
	v_lshrrev_b16_e32 v30, 8, v33
	v_cmp_ne_u16_e32 vcc, 0, v30
	v_mov_b32_e32 v32, 0
	v_mov_b32_e32 v57, 0
	s_and_saveexec_b64 s[2:3], vcc
	s_cbranch_execz .LBB560_289
; %bb.284:
	s_movk_i32 s8, 0x80
	v_cmp_ne_u16_e32 vcc, s8, v30
	v_bfrev_b32_e32 v57, 1
	s_and_saveexec_b64 s[8:9], vcc
	s_cbranch_execz .LBB560_288
; %bb.285:
	s_movk_i32 s10, 0x7f
	v_and_b32_e32 v53, 0x7f, v30
	v_cmp_ne_u32_e32 vcc, s10, v53
	v_mov_b32_e32 v57, 0x7f800001
	s_and_saveexec_b64 s[10:11], vcc
	s_cbranch_execz .LBB560_287
; %bb.286:
	v_and_b32_e32 v57, 7, v30
	v_ffbh_u32_e32 v58, v57
	v_min_u32_e32 v61, 32, v58
	v_subrev_u32_e32 v58, 28, v61
	v_lshlrev_b64 v[58:59], v58, v[30:31]
	v_lshrrev_b32_e32 v60, 3, v53
	v_sub_u32_e32 v30, 29, v61
	v_and_b32_e32 v58, 7, v58
	v_cmp_gt_u32_e32 vcc, 8, v53
	v_cndmask_b32_e32 v30, v60, v30, vcc
	v_cndmask_b32_e32 v53, v57, v58, vcc
	v_lshlrev_b32_e32 v57, 16, v33
	v_bfrev_b32_e32 v58, 60
	v_lshlrev_b32_e32 v53, 20, v53
	v_and_b32_e32 v57, 0x80000000, v57
	v_lshl_add_u32 v30, v30, 23, v58
	v_or3_b32 v57, v57, v30, v53
.LBB560_287:
	s_or_b64 exec, exec, s[10:11]
.LBB560_288:
	s_or_b64 exec, exec, s[8:9]
.LBB560_289:
	s_or_b64 exec, exec, s[2:3]
	s_movk_i32 s2, 0xff
	v_and_b32_sdwa v53, v33, s2 dst_sel:DWORD dst_unused:UNUSED_PAD src0_sel:WORD_1 src1_sel:DWORD
	v_lshrrev_b32_e32 v30, 16, v33
	v_cmp_ne_u16_e32 vcc, 0, v53
	s_and_saveexec_b64 s[2:3], vcc
	s_cbranch_execz .LBB560_295
; %bb.290:
	s_movk_i32 s8, 0x80
	v_cmp_ne_u16_e32 vcc, s8, v53
	v_bfrev_b32_e32 v32, 1
	s_and_saveexec_b64 s[8:9], vcc
	s_cbranch_execz .LBB560_294
; %bb.291:
	v_bfe_u32 v53, v33, 16, 7
	s_movk_i32 s10, 0x7f
	v_cmp_ne_u32_e32 vcc, s10, v53
	v_mov_b32_e32 v32, 0x7f800001
	s_and_saveexec_b64 s[10:11], vcc
	s_cbranch_execz .LBB560_293
; %bb.292:
	v_and_b32_e32 v32, 7, v30
	v_ffbh_u32_e32 v58, v32
	v_min_u32_e32 v61, 32, v58
	v_subrev_u32_e32 v58, 28, v61
	v_lshlrev_b64 v[58:59], v58, v[30:31]
	v_lshrrev_b32_e32 v60, 3, v53
	v_sub_u32_e32 v30, 29, v61
	v_and_b32_e32 v58, 7, v58
	v_cmp_gt_u32_e32 vcc, 8, v53
	v_mov_b32_e32 v53, 24
	v_cndmask_b32_e32 v30, v60, v30, vcc
	v_cndmask_b32_e32 v32, v32, v58, vcc
	v_lshlrev_b32_sdwa v53, v53, v33 dst_sel:DWORD dst_unused:UNUSED_PAD src0_sel:DWORD src1_sel:WORD_1
	v_bfrev_b32_e32 v58, 60
	v_lshlrev_b32_e32 v32, 20, v32
	v_and_b32_e32 v53, 0x80000000, v53
	v_lshl_add_u32 v30, v30, 23, v58
	v_or3_b32 v32, v53, v30, v32
.LBB560_293:
	s_or_b64 exec, exec, s[10:11]
.LBB560_294:
	s_or_b64 exec, exec, s[8:9]
.LBB560_295:
	s_or_b64 exec, exec, s[2:3]
	s_mov_b32 s2, 0xffffff
	v_cmp_lt_u32_e32 vcc, s2, v33
	v_mov_b32_e32 v53, 0
	v_mov_b32_e32 v58, 0
	s_and_saveexec_b64 s[2:3], vcc
	s_cbranch_execz .LBB560_301
; %bb.296:
	v_lshrrev_b32_e32 v30, 24, v33
	s_movk_i32 s8, 0x80
	v_cmp_ne_u32_e32 vcc, s8, v30
	v_bfrev_b32_e32 v58, 1
	s_and_saveexec_b64 s[8:9], vcc
	s_cbranch_execz .LBB560_300
; %bb.297:
	v_bfe_u32 v33, v33, 24, 7
	s_movk_i32 s10, 0x7f
	v_cmp_ne_u32_e32 vcc, s10, v33
	v_mov_b32_e32 v58, 0x7f800001
	s_and_saveexec_b64 s[10:11], vcc
	s_cbranch_execz .LBB560_299
; %bb.298:
	v_and_b32_e32 v60, 7, v30
	v_ffbh_u32_e32 v58, v60
	v_min_u32_e32 v62, 32, v58
	v_subrev_u32_e32 v58, 28, v62
	v_lshlrev_b64 v[58:59], v58, v[30:31]
	v_lshrrev_b32_e32 v61, 3, v33
	v_sub_u32_e32 v59, 29, v62
	v_and_b32_e32 v58, 7, v58
	v_cmp_gt_u32_e32 vcc, 8, v33
	v_cndmask_b32_e32 v33, v61, v59, vcc
	v_cndmask_b32_e32 v58, v60, v58, vcc
	v_lshlrev_b32_e32 v30, 24, v30
	v_bfrev_b32_e32 v59, 60
	v_lshlrev_b32_e32 v58, 20, v58
	v_and_b32_e32 v30, 0x80000000, v30
	v_lshl_add_u32 v33, v33, 23, v59
	v_or3_b32 v58, v30, v33, v58
.LBB560_299:
	s_or_b64 exec, exec, s[10:11]
.LBB560_300:
	s_or_b64 exec, exec, s[8:9]
.LBB560_301:
	s_or_b64 exec, exec, s[2:3]
	v_cvt_pkrtz_f16_f32 v30, v52, v54
	v_cvt_pkrtz_f16_f32 v31, v31, v56
	v_cmp_ne_u16_sdwa s[8:9], v22, v53 src0_sel:BYTE_0 src1_sel:DWORD
	s_nop 0
	v_mfma_f32_16x16x16f16 v[42:45], v[30:31], v[18:19], v[42:45]
	v_cvt_pkrtz_f16_f32 v30, v55, v57
	v_cvt_pkrtz_f16_f32 v31, v32, v58
	s_nop 1
	v_mfma_f32_16x16x16f16 v[30:33], v[30:31], v[20:21], v[42:45]
	s_and_saveexec_b64 s[2:3], s[8:9]
	s_cbranch_execz .LBB560_307
; %bb.302:
	s_movk_i32 s8, 0x80
	v_cmp_ne_u16_sdwa s[10:11], v22, s8 src0_sel:BYTE_0 src1_sel:DWORD
	v_bfrev_b32_e32 v53, 1
	s_and_saveexec_b64 s[8:9], s[10:11]
	s_cbranch_execz .LBB560_306
; %bb.303:
	s_movk_i32 s10, 0x7f
	v_and_b32_e32 v42, 0x7f, v22
	v_cmp_ne_u32_e32 vcc, s10, v42
	v_mov_b32_e32 v53, 0x7f800001
	s_and_saveexec_b64 s[10:11], vcc
	s_cbranch_execz .LBB560_305
; %bb.304:
	v_and_b32_e32 v43, 7, v22
	v_ffbh_u32_e32 v44, v43
	v_min_u32_e32 v53, 32, v44
	v_subrev_u32_e32 v44, 28, v53
	v_lshlrev_b64 v[44:45], v44, v[22:23]
	v_lshrrev_b32_e32 v52, 3, v42
	v_sub_u32_e32 v45, 29, v53
	v_and_b32_e32 v44, 7, v44
	v_cmp_gt_u32_e32 vcc, 8, v42
	v_cndmask_b32_e32 v42, v52, v45, vcc
	v_cndmask_b32_e32 v43, v43, v44, vcc
	v_lshlrev_b32_e32 v44, 24, v22
	v_bfrev_b32_e32 v45, 60
	v_lshlrev_b32_e32 v43, 20, v43
	v_and_b32_e32 v44, 0x80000000, v44
	v_lshl_add_u32 v42, v42, 23, v45
	v_or3_b32 v53, v44, v42, v43
.LBB560_305:
	s_or_b64 exec, exec, s[10:11]
.LBB560_306:
	s_or_b64 exec, exec, s[8:9]
.LBB560_307:
	s_or_b64 exec, exec, s[2:3]
	s_nop 3
	v_lshrrev_b16_e32 v42, 8, v22
	v_cmp_ne_u16_e32 vcc, 0, v42
	v_mov_b32_e32 v43, 0
	v_mov_b32_e32 v44, 0
	s_and_saveexec_b64 s[2:3], vcc
	s_cbranch_execz .LBB560_313
; %bb.308:
	s_movk_i32 s8, 0x80
	v_cmp_ne_u16_e32 vcc, s8, v42
	v_bfrev_b32_e32 v44, 1
	s_and_saveexec_b64 s[8:9], vcc
	s_cbranch_execz .LBB560_312
; %bb.309:
	s_movk_i32 s10, 0x7f
	v_and_b32_e32 v45, 0x7f, v42
	v_cmp_ne_u32_e32 vcc, s10, v45
	v_mov_b32_e32 v44, 0x7f800001
	s_and_saveexec_b64 s[10:11], vcc
	s_cbranch_execz .LBB560_311
; %bb.310:
	v_and_b32_e32 v44, 7, v42
	v_ffbh_u32_e32 v54, v44
	v_min_u32_e32 v56, 32, v54
	v_subrev_u32_e32 v54, 28, v56
	v_lshlrev_b64 v[54:55], v54, v[42:43]
	v_lshrrev_b32_e32 v52, 3, v45
	v_sub_u32_e32 v42, 29, v56
	v_and_b32_e32 v54, 7, v54
	v_cmp_gt_u32_e32 vcc, 8, v45
	v_cndmask_b32_e32 v42, v52, v42, vcc
	v_cndmask_b32_e32 v44, v44, v54, vcc
	v_lshlrev_b32_e32 v45, 16, v22
	v_bfrev_b32_e32 v52, 60
	v_lshlrev_b32_e32 v44, 20, v44
	v_and_b32_e32 v45, 0x80000000, v45
	v_lshl_add_u32 v42, v42, 23, v52
	v_or3_b32 v44, v45, v42, v44
.LBB560_311:
	s_or_b64 exec, exec, s[10:11]
.LBB560_312:
	s_or_b64 exec, exec, s[8:9]
.LBB560_313:
	s_or_b64 exec, exec, s[2:3]
	s_movk_i32 s2, 0xff
	v_and_b32_sdwa v45, v22, s2 dst_sel:DWORD dst_unused:UNUSED_PAD src0_sel:WORD_1 src1_sel:DWORD
	v_lshrrev_b32_e32 v42, 16, v22
	v_cmp_ne_u16_e32 vcc, 0, v45
	s_and_saveexec_b64 s[2:3], vcc
	s_cbranch_execz .LBB560_319
; %bb.314:
	s_movk_i32 s8, 0x80
	v_cmp_ne_u16_e32 vcc, s8, v45
	v_bfrev_b32_e32 v43, 1
	s_and_saveexec_b64 s[8:9], vcc
	s_cbranch_execz .LBB560_318
; %bb.315:
	v_bfe_u32 v45, v22, 16, 7
	s_movk_i32 s10, 0x7f
	v_cmp_ne_u32_e32 vcc, s10, v45
	v_mov_b32_e32 v43, 0x7f800001
	s_and_saveexec_b64 s[10:11], vcc
	s_cbranch_execz .LBB560_317
; %bb.316:
	v_and_b32_e32 v52, 7, v42
	v_ffbh_u32_e32 v43, v52
	v_min_u32_e32 v55, 32, v43
	v_subrev_u32_e32 v43, 28, v55
	v_lshlrev_b64 v[42:43], v43, v[42:43]
	v_lshrrev_b32_e32 v54, 3, v45
	v_sub_u32_e32 v43, 29, v55
	v_and_b32_e32 v42, 7, v42
	v_cmp_gt_u32_e32 vcc, 8, v45
	v_mov_b32_e32 v45, 24
	v_cndmask_b32_e32 v43, v54, v43, vcc
	v_cndmask_b32_e32 v42, v52, v42, vcc
	v_lshlrev_b32_sdwa v45, v45, v22 dst_sel:DWORD dst_unused:UNUSED_PAD src0_sel:DWORD src1_sel:WORD_1
	v_bfrev_b32_e32 v52, 60
	v_lshlrev_b32_e32 v42, 20, v42
	v_and_b32_e32 v45, 0x80000000, v45
	v_lshl_add_u32 v43, v43, 23, v52
	v_or3_b32 v43, v45, v43, v42
.LBB560_317:
	s_or_b64 exec, exec, s[10:11]
.LBB560_318:
	s_or_b64 exec, exec, s[8:9]
.LBB560_319:
	s_or_b64 exec, exec, s[2:3]
	s_mov_b32 s2, 0xffffff
	v_cmp_lt_u32_e32 vcc, s2, v22
	v_mov_b32_e32 v45, 0
	v_mov_b32_e32 v52, 0
	s_and_saveexec_b64 s[2:3], vcc
	s_cbranch_execz .LBB560_325
; %bb.320:
	v_lshrrev_b32_e32 v42, 24, v22
	s_movk_i32 s8, 0x80
	v_cmp_ne_u32_e32 vcc, s8, v42
	v_bfrev_b32_e32 v52, 1
	s_and_saveexec_b64 s[8:9], vcc
	s_cbranch_execz .LBB560_324
; %bb.321:
	v_bfe_u32 v22, v22, 24, 7
	s_movk_i32 s10, 0x7f
	v_cmp_ne_u32_e32 vcc, s10, v22
	v_mov_b32_e32 v52, 0x7f800001
	s_and_saveexec_b64 s[10:11], vcc
	s_cbranch_execz .LBB560_323
; %bb.322:
	v_and_b32_e32 v52, 7, v42
	v_ffbh_u32_e32 v54, v52
	v_min_u32_e32 v57, 32, v54
	v_subrev_u32_e32 v54, 28, v57
	v_lshlrev_b64 v[54:55], v54, v[42:43]
	v_lshrrev_b32_e32 v56, 3, v22
	v_sub_u32_e32 v55, 29, v57
	v_and_b32_e32 v54, 7, v54
	v_cmp_gt_u32_e32 vcc, 8, v22
	v_cndmask_b32_e32 v22, v56, v55, vcc
	v_cndmask_b32_e32 v52, v52, v54, vcc
	v_lshlrev_b32_e32 v42, 24, v42
	v_bfrev_b32_e32 v54, 60
	v_lshlrev_b32_e32 v52, 20, v52
	v_and_b32_e32 v42, 0x80000000, v42
	v_lshl_add_u32 v22, v22, 23, v54
	v_or3_b32 v52, v42, v22, v52
.LBB560_323:
	s_or_b64 exec, exec, s[10:11]
.LBB560_324:
	s_or_b64 exec, exec, s[8:9]
.LBB560_325:
	s_or_b64 exec, exec, s[2:3]
	v_cmp_ne_u16_sdwa s[8:9], v23, v45 src0_sel:BYTE_0 src1_sel:DWORD
	s_and_saveexec_b64 s[2:3], s[8:9]
	s_cbranch_execz .LBB560_331
; %bb.326:
	s_movk_i32 s8, 0x80
	v_cmp_ne_u16_sdwa s[10:11], v23, s8 src0_sel:BYTE_0 src1_sel:DWORD
	v_bfrev_b32_e32 v45, 1
	s_and_saveexec_b64 s[8:9], s[10:11]
	s_cbranch_execz .LBB560_330
; %bb.327:
	s_movk_i32 s10, 0x7f
	v_and_b32_e32 v22, 0x7f, v23
	v_cmp_ne_u32_e32 vcc, s10, v22
	v_mov_b32_e32 v45, 0x7f800001
	s_and_saveexec_b64 s[10:11], vcc
	s_cbranch_execz .LBB560_329
; %bb.328:
	v_and_b32_e32 v45, 7, v23
	v_ffbh_u32_e32 v54, v45
	v_min_u32_e32 v57, 32, v54
	v_mov_b32_e32 v42, v23
	v_subrev_u32_e32 v54, 28, v57
	v_lshlrev_b64 v[54:55], v54, v[42:43]
	v_lshrrev_b32_e32 v56, 3, v22
	v_sub_u32_e32 v42, 29, v57
	v_and_b32_e32 v54, 7, v54
	v_cmp_gt_u32_e32 vcc, 8, v22
	v_cndmask_b32_e32 v22, v56, v42, vcc
	v_cndmask_b32_e32 v42, v45, v54, vcc
	v_lshlrev_b32_e32 v45, 24, v23
	v_bfrev_b32_e32 v54, 60
	v_lshlrev_b32_e32 v42, 20, v42
	v_and_b32_e32 v45, 0x80000000, v45
	v_lshl_add_u32 v22, v22, 23, v54
	v_or3_b32 v45, v45, v22, v42
.LBB560_329:
	s_or_b64 exec, exec, s[10:11]
.LBB560_330:
	s_or_b64 exec, exec, s[8:9]
.LBB560_331:
	s_or_b64 exec, exec, s[2:3]
	v_lshrrev_b16_e32 v22, 8, v23
	v_cmp_ne_u16_e32 vcc, 0, v22
	v_mov_b32_e32 v54, 0
	v_mov_b32_e32 v55, 0
	s_and_saveexec_b64 s[2:3], vcc
	s_cbranch_execz .LBB560_337
; %bb.332:
	s_movk_i32 s8, 0x80
	v_cmp_ne_u16_e32 vcc, s8, v22
	v_bfrev_b32_e32 v55, 1
	s_and_saveexec_b64 s[8:9], vcc
	s_cbranch_execz .LBB560_336
; %bb.333:
	s_movk_i32 s10, 0x7f
	v_and_b32_e32 v42, 0x7f, v22
	v_cmp_ne_u32_e32 vcc, s10, v42
	v_mov_b32_e32 v55, 0x7f800001
	s_and_saveexec_b64 s[10:11], vcc
	s_cbranch_execz .LBB560_335
; %bb.334:
	v_and_b32_e32 v55, 7, v22
	v_ffbh_u32_e32 v56, v55
	v_min_u32_e32 v59, 32, v56
	v_subrev_u32_e32 v56, 28, v59
	v_lshlrev_b64 v[56:57], v56, v[22:23]
	v_lshrrev_b32_e32 v58, 3, v42
	v_sub_u32_e32 v22, 29, v59
	v_and_b32_e32 v56, 7, v56
	v_cmp_gt_u32_e32 vcc, 8, v42
	v_cndmask_b32_e32 v22, v58, v22, vcc
	v_cndmask_b32_e32 v42, v55, v56, vcc
	v_lshlrev_b32_e32 v55, 16, v23
	v_bfrev_b32_e32 v56, 60
	v_lshlrev_b32_e32 v42, 20, v42
	v_and_b32_e32 v55, 0x80000000, v55
	v_lshl_add_u32 v22, v22, 23, v56
	v_or3_b32 v55, v55, v22, v42
.LBB560_335:
	s_or_b64 exec, exec, s[10:11]
.LBB560_336:
	s_or_b64 exec, exec, s[8:9]
.LBB560_337:
	s_or_b64 exec, exec, s[2:3]
	s_movk_i32 s2, 0xff
	v_and_b32_sdwa v42, v23, s2 dst_sel:DWORD dst_unused:UNUSED_PAD src0_sel:WORD_1 src1_sel:DWORD
	v_lshrrev_b32_e32 v22, 16, v23
	v_cmp_ne_u16_e32 vcc, 0, v42
	s_and_saveexec_b64 s[2:3], vcc
	s_cbranch_execz .LBB560_343
; %bb.338:
	s_movk_i32 s8, 0x80
	v_cmp_ne_u16_e32 vcc, s8, v42
	v_bfrev_b32_e32 v54, 1
	s_and_saveexec_b64 s[8:9], vcc
	s_cbranch_execz .LBB560_342
; %bb.339:
	v_bfe_u32 v42, v23, 16, 7
	s_movk_i32 s10, 0x7f
	v_cmp_ne_u32_e32 vcc, s10, v42
	v_mov_b32_e32 v54, 0x7f800001
	s_and_saveexec_b64 s[10:11], vcc
	s_cbranch_execz .LBB560_341
; %bb.340:
	v_and_b32_e32 v54, 7, v22
	v_ffbh_u32_e32 v56, v54
	v_min_u32_e32 v59, 32, v56
	v_subrev_u32_e32 v56, 28, v59
	v_lshlrev_b64 v[56:57], v56, v[22:23]
	v_and_b32_e32 v56, 7, v56
	v_cmp_gt_u32_e32 vcc, 8, v42
	v_lshrrev_b32_e32 v58, 3, v42
	v_sub_u32_e32 v22, 29, v59
	v_cndmask_b32_e32 v42, v54, v56, vcc
	v_mov_b32_e32 v54, 24
	v_cndmask_b32_e32 v22, v58, v22, vcc
	v_lshlrev_b32_sdwa v54, v54, v23 dst_sel:DWORD dst_unused:UNUSED_PAD src0_sel:DWORD src1_sel:WORD_1
	v_bfrev_b32_e32 v56, 60
	v_lshlrev_b32_e32 v42, 20, v42
	v_and_b32_e32 v54, 0x80000000, v54
	v_lshl_add_u32 v22, v22, 23, v56
	v_or3_b32 v54, v54, v22, v42
.LBB560_341:
	s_or_b64 exec, exec, s[10:11]
.LBB560_342:
	s_or_b64 exec, exec, s[8:9]
.LBB560_343:
	s_or_b64 exec, exec, s[2:3]
	s_mov_b32 s2, 0xffffff
	v_cmp_lt_u32_e32 vcc, s2, v23
	v_mov_b32_e32 v42, 0
	v_mov_b32_e32 v56, 0
	s_and_saveexec_b64 s[2:3], vcc
	s_cbranch_execz .LBB560_349
; %bb.344:
	v_lshrrev_b32_e32 v22, 24, v23
	s_movk_i32 s8, 0x80
	v_cmp_ne_u32_e32 vcc, s8, v22
	v_bfrev_b32_e32 v56, 1
	s_and_saveexec_b64 s[8:9], vcc
	s_cbranch_execz .LBB560_348
; %bb.345:
	v_bfe_u32 v23, v23, 24, 7
	s_movk_i32 s10, 0x7f
	v_cmp_ne_u32_e32 vcc, s10, v23
	v_mov_b32_e32 v56, 0x7f800001
	s_and_saveexec_b64 s[10:11], vcc
	s_cbranch_execz .LBB560_347
; %bb.346:
	v_and_b32_e32 v58, 7, v22
	v_ffbh_u32_e32 v56, v58
	v_min_u32_e32 v60, 32, v56
	v_subrev_u32_e32 v56, 28, v60
	v_lshlrev_b64 v[56:57], v56, v[22:23]
	v_lshrrev_b32_e32 v59, 3, v23
	v_sub_u32_e32 v57, 29, v60
	v_and_b32_e32 v56, 7, v56
	v_cmp_gt_u32_e32 vcc, 8, v23
	v_cndmask_b32_e32 v23, v59, v57, vcc
	v_cndmask_b32_e32 v56, v58, v56, vcc
	v_lshlrev_b32_e32 v22, 24, v22
	v_bfrev_b32_e32 v57, 60
	v_lshlrev_b32_e32 v56, 20, v56
	v_and_b32_e32 v22, 0x80000000, v22
	v_lshl_add_u32 v23, v23, 23, v57
	v_or3_b32 v56, v22, v23, v56
.LBB560_347:
	s_or_b64 exec, exec, s[10:11]
.LBB560_348:
	s_or_b64 exec, exec, s[8:9]
.LBB560_349:
	s_or_b64 exec, exec, s[2:3]
	v_cvt_pkrtz_f16_f32 v22, v53, v44
	v_cvt_pkrtz_f16_f32 v23, v43, v52
	v_cmp_ne_u16_sdwa s[8:9], v24, v42 src0_sel:BYTE_0 src1_sel:DWORD
	s_nop 0
	v_mfma_f32_16x16x16f16 v[58:61], v[22:23], v[26:27], 0
	v_cvt_pkrtz_f16_f32 v22, v45, v55
	v_cvt_pkrtz_f16_f32 v23, v54, v56
	s_nop 1
	v_mfma_f32_16x16x16f16 v[26:29], v[22:23], v[28:29], v[58:61]
	s_and_saveexec_b64 s[2:3], s[8:9]
	s_cbranch_execz .LBB560_355
; %bb.350:
	s_movk_i32 s8, 0x80
	v_cmp_ne_u16_sdwa s[10:11], v24, s8 src0_sel:BYTE_0 src1_sel:DWORD
	v_bfrev_b32_e32 v42, 1
	s_and_saveexec_b64 s[8:9], s[10:11]
	s_cbranch_execz .LBB560_354
; %bb.351:
	s_movk_i32 s10, 0x7f
	v_and_b32_e32 v22, 0x7f, v24
	v_cmp_ne_u32_e32 vcc, s10, v22
	v_mov_b32_e32 v42, 0x7f800001
	s_and_saveexec_b64 s[10:11], vcc
	s_cbranch_execz .LBB560_353
; %bb.352:
	v_and_b32_e32 v23, 7, v24
	v_ffbh_u32_e32 v42, v23
	v_min_u32_e32 v45, 32, v42
	v_subrev_u32_e32 v42, 28, v45
	v_lshlrev_b64 v[42:43], v42, v[24:25]
	v_lshrrev_b32_e32 v44, 3, v22
	v_sub_u32_e32 v43, 29, v45
	v_and_b32_e32 v42, 7, v42
	v_cmp_gt_u32_e32 vcc, 8, v22
	v_cndmask_b32_e32 v22, v44, v43, vcc
	v_cndmask_b32_e32 v23, v23, v42, vcc
	v_lshlrev_b32_e32 v42, 24, v24
	v_bfrev_b32_e32 v43, 60
	v_lshlrev_b32_e32 v23, 20, v23
	v_and_b32_e32 v42, 0x80000000, v42
	v_lshl_add_u32 v22, v22, 23, v43
	v_or3_b32 v42, v42, v22, v23
.LBB560_353:
	s_or_b64 exec, exec, s[10:11]
.LBB560_354:
	s_or_b64 exec, exec, s[8:9]
.LBB560_355:
	s_or_b64 exec, exec, s[2:3]
	v_lshrrev_b16_e32 v22, 8, v24
	v_cmp_ne_u16_e32 vcc, 0, v22
	v_mov_b32_e32 v23, 0
	v_mov_b32_e32 v43, 0
	s_and_saveexec_b64 s[2:3], vcc
	s_cbranch_execz .LBB560_361
; %bb.356:
	s_movk_i32 s8, 0x80
	v_cmp_ne_u16_e32 vcc, s8, v22
	v_bfrev_b32_e32 v43, 1
	s_and_saveexec_b64 s[8:9], vcc
	s_cbranch_execz .LBB560_360
; %bb.357:
	s_movk_i32 s10, 0x7f
	v_and_b32_e32 v44, 0x7f, v22
	v_cmp_ne_u32_e32 vcc, s10, v44
	v_mov_b32_e32 v43, 0x7f800001
	s_and_saveexec_b64 s[10:11], vcc
	s_cbranch_execz .LBB560_359
; %bb.358:
	v_and_b32_e32 v43, 7, v22
	v_ffbh_u32_e32 v52, v43
	v_min_u32_e32 v54, 32, v52
	v_subrev_u32_e32 v52, 28, v54
	v_lshlrev_b64 v[52:53], v52, v[22:23]
	v_lshrrev_b32_e32 v45, 3, v44
	v_sub_u32_e32 v22, 29, v54
	v_and_b32_e32 v52, 7, v52
	v_cmp_gt_u32_e32 vcc, 8, v44
	v_cndmask_b32_e32 v22, v45, v22, vcc
	v_cndmask_b32_e32 v43, v43, v52, vcc
	v_lshlrev_b32_e32 v44, 16, v24
	v_bfrev_b32_e32 v45, 60
	v_lshlrev_b32_e32 v43, 20, v43
	v_and_b32_e32 v44, 0x80000000, v44
	v_lshl_add_u32 v22, v22, 23, v45
	v_or3_b32 v43, v44, v22, v43
.LBB560_359:
	s_or_b64 exec, exec, s[10:11]
.LBB560_360:
	s_or_b64 exec, exec, s[8:9]
.LBB560_361:
	s_or_b64 exec, exec, s[2:3]
	s_movk_i32 s2, 0xff
	v_and_b32_sdwa v44, v24, s2 dst_sel:DWORD dst_unused:UNUSED_PAD src0_sel:WORD_1 src1_sel:DWORD
	v_lshrrev_b32_e32 v22, 16, v24
	v_cmp_ne_u16_e32 vcc, 0, v44
	s_and_saveexec_b64 s[2:3], vcc
	s_cbranch_execz .LBB560_367
; %bb.362:
	s_movk_i32 s8, 0x80
	v_cmp_ne_u16_e32 vcc, s8, v44
	v_bfrev_b32_e32 v23, 1
	s_and_saveexec_b64 s[8:9], vcc
	s_cbranch_execz .LBB560_366
; %bb.363:
	v_bfe_u32 v44, v24, 16, 7
	s_movk_i32 s10, 0x7f
	v_cmp_ne_u32_e32 vcc, s10, v44
	v_mov_b32_e32 v23, 0x7f800001
	s_and_saveexec_b64 s[10:11], vcc
	s_cbranch_execz .LBB560_365
; %bb.364:
	v_and_b32_e32 v45, 7, v22
	v_ffbh_u32_e32 v23, v45
	v_min_u32_e32 v53, 32, v23
	v_subrev_u32_e32 v23, 28, v53
	v_lshlrev_b64 v[22:23], v23, v[22:23]
	v_lshrrev_b32_e32 v52, 3, v44
	v_sub_u32_e32 v23, 29, v53
	v_and_b32_e32 v22, 7, v22
	v_cmp_gt_u32_e32 vcc, 8, v44
	v_mov_b32_e32 v44, 24
	v_cndmask_b32_e32 v23, v52, v23, vcc
	v_cndmask_b32_e32 v22, v45, v22, vcc
	v_lshlrev_b32_sdwa v44, v44, v24 dst_sel:DWORD dst_unused:UNUSED_PAD src0_sel:DWORD src1_sel:WORD_1
	v_bfrev_b32_e32 v45, 60
	v_lshlrev_b32_e32 v22, 20, v22
	v_and_b32_e32 v44, 0x80000000, v44
	v_lshl_add_u32 v23, v23, 23, v45
	v_or3_b32 v23, v44, v23, v22
.LBB560_365:
	s_or_b64 exec, exec, s[10:11]
.LBB560_366:
	s_or_b64 exec, exec, s[8:9]
.LBB560_367:
	s_or_b64 exec, exec, s[2:3]
	s_mov_b32 s2, 0xffffff
	v_cmp_lt_u32_e32 vcc, s2, v24
	v_mov_b32_e32 v45, 0
	v_mov_b32_e32 v52, 0
	s_and_saveexec_b64 s[2:3], vcc
	s_cbranch_execz .LBB560_373
; %bb.368:
	v_lshrrev_b32_e32 v22, 24, v24
	s_movk_i32 s8, 0x80
	v_cmp_ne_u32_e32 vcc, s8, v22
	v_bfrev_b32_e32 v52, 1
	s_and_saveexec_b64 s[8:9], vcc
	s_cbranch_execz .LBB560_372
; %bb.369:
	v_bfe_u32 v24, v24, 24, 7
	s_movk_i32 s10, 0x7f
	v_cmp_ne_u32_e32 vcc, s10, v24
	v_mov_b32_e32 v52, 0x7f800001
	s_and_saveexec_b64 s[10:11], vcc
	s_cbranch_execz .LBB560_371
; %bb.370:
	v_and_b32_e32 v44, 7, v22
	v_ffbh_u32_e32 v52, v44
	v_min_u32_e32 v55, 32, v52
	v_subrev_u32_e32 v52, 28, v55
	v_lshlrev_b64 v[52:53], v52, v[22:23]
	v_lshrrev_b32_e32 v54, 3, v24
	v_sub_u32_e32 v53, 29, v55
	v_and_b32_e32 v52, 7, v52
	v_cmp_gt_u32_e32 vcc, 8, v24
	v_cndmask_b32_e32 v24, v54, v53, vcc
	v_cndmask_b32_e32 v44, v44, v52, vcc
	v_lshlrev_b32_e32 v22, 24, v22
	v_bfrev_b32_e32 v52, 60
	v_lshlrev_b32_e32 v44, 20, v44
	v_and_b32_e32 v22, 0x80000000, v22
	v_lshl_add_u32 v24, v24, 23, v52
	v_or3_b32 v52, v22, v24, v44
.LBB560_371:
	s_or_b64 exec, exec, s[10:11]
.LBB560_372:
	s_or_b64 exec, exec, s[8:9]
.LBB560_373:
	s_or_b64 exec, exec, s[2:3]
	v_cmp_ne_u16_sdwa s[8:9], v25, v45 src0_sel:BYTE_0 src1_sel:DWORD
	s_and_saveexec_b64 s[2:3], s[8:9]
	s_cbranch_execz .LBB560_379
; %bb.374:
	s_movk_i32 s8, 0x80
	v_cmp_ne_u16_sdwa s[10:11], v25, s8 src0_sel:BYTE_0 src1_sel:DWORD
	v_bfrev_b32_e32 v45, 1
	s_and_saveexec_b64 s[8:9], s[10:11]
	s_cbranch_execz .LBB560_378
; %bb.375:
	s_movk_i32 s10, 0x7f
	v_and_b32_e32 v22, 0x7f, v25
	v_cmp_ne_u32_e32 vcc, s10, v22
	v_mov_b32_e32 v45, 0x7f800001
	s_and_saveexec_b64 s[10:11], vcc
	s_cbranch_execz .LBB560_377
; %bb.376:
	v_and_b32_e32 v53, 7, v25
	v_ffbh_u32_e32 v44, v53
	v_min_u32_e32 v55, 32, v44
	v_mov_b32_e32 v24, v25
	v_subrev_u32_e32 v44, 28, v55
	v_lshlrev_b64 v[44:45], v44, v[24:25]
	v_lshrrev_b32_e32 v54, 3, v22
	v_sub_u32_e32 v24, 29, v55
	v_and_b32_e32 v44, 7, v44
	v_cmp_gt_u32_e32 vcc, 8, v22
	v_cndmask_b32_e32 v22, v54, v24, vcc
	v_cndmask_b32_e32 v24, v53, v44, vcc
	v_lshlrev_b32_e32 v44, 24, v25
	v_bfrev_b32_e32 v45, 60
	v_lshlrev_b32_e32 v24, 20, v24
	v_and_b32_e32 v44, 0x80000000, v44
	v_lshl_add_u32 v22, v22, 23, v45
	v_or3_b32 v45, v44, v22, v24
.LBB560_377:
	s_or_b64 exec, exec, s[10:11]
.LBB560_378:
	s_or_b64 exec, exec, s[8:9]
.LBB560_379:
	s_or_b64 exec, exec, s[2:3]
	v_lshrrev_b16_e32 v22, 8, v25
	v_cmp_ne_u16_e32 vcc, 0, v22
	v_mov_b32_e32 v53, 0
	v_mov_b32_e32 v54, 0
	s_and_saveexec_b64 s[2:3], vcc
	s_cbranch_execz .LBB560_385
; %bb.380:
	s_movk_i32 s8, 0x80
	v_cmp_ne_u16_e32 vcc, s8, v22
	v_bfrev_b32_e32 v54, 1
	s_and_saveexec_b64 s[8:9], vcc
	s_cbranch_execz .LBB560_384
; %bb.381:
	s_movk_i32 s10, 0x7f
	v_and_b32_e32 v24, 0x7f, v22
	v_cmp_ne_u32_e32 vcc, s10, v24
	v_mov_b32_e32 v54, 0x7f800001
	s_and_saveexec_b64 s[10:11], vcc
	s_cbranch_execz .LBB560_383
; %bb.382:
	v_and_b32_e32 v44, 7, v22
	v_ffbh_u32_e32 v54, v44
	v_min_u32_e32 v57, 32, v54
	v_subrev_u32_e32 v54, 28, v57
	v_lshlrev_b64 v[54:55], v54, v[22:23]
	v_lshrrev_b32_e32 v56, 3, v24
	v_sub_u32_e32 v22, 29, v57
	v_and_b32_e32 v54, 7, v54
	v_cmp_gt_u32_e32 vcc, 8, v24
	v_cndmask_b32_e32 v22, v56, v22, vcc
	v_cndmask_b32_e32 v24, v44, v54, vcc
	v_lshlrev_b32_e32 v44, 16, v25
	v_bfrev_b32_e32 v54, 60
	v_lshlrev_b32_e32 v24, 20, v24
	v_and_b32_e32 v44, 0x80000000, v44
	v_lshl_add_u32 v22, v22, 23, v54
	v_or3_b32 v54, v44, v22, v24
.LBB560_383:
	s_or_b64 exec, exec, s[10:11]
.LBB560_384:
	s_or_b64 exec, exec, s[8:9]
.LBB560_385:
	s_or_b64 exec, exec, s[2:3]
	s_movk_i32 s2, 0xff
	v_and_b32_sdwa v24, v25, s2 dst_sel:DWORD dst_unused:UNUSED_PAD src0_sel:WORD_1 src1_sel:DWORD
	v_lshrrev_b32_e32 v22, 16, v25
	v_cmp_ne_u16_e32 vcc, 0, v24
	s_and_saveexec_b64 s[2:3], vcc
	s_cbranch_execz .LBB560_391
; %bb.386:
	s_movk_i32 s8, 0x80
	v_cmp_ne_u16_e32 vcc, s8, v24
	v_bfrev_b32_e32 v53, 1
	s_and_saveexec_b64 s[8:9], vcc
	s_cbranch_execz .LBB560_390
; %bb.387:
	v_bfe_u32 v24, v25, 16, 7
	s_movk_i32 s10, 0x7f
	v_cmp_ne_u32_e32 vcc, s10, v24
	v_mov_b32_e32 v53, 0x7f800001
	s_and_saveexec_b64 s[10:11], vcc
	s_cbranch_execz .LBB560_389
; %bb.388:
	v_and_b32_e32 v44, 7, v22
	v_ffbh_u32_e32 v55, v44
	v_min_u32_e32 v55, 32, v55
	v_subrev_u32_e32 v56, 28, v55
	v_lshlrev_b64 v[56:57], v56, v[22:23]
	v_sub_u32_e32 v22, 29, v55
	v_and_b32_e32 v55, 7, v56
	v_cmp_gt_u32_e32 vcc, 8, v24
	v_lshrrev_b32_e32 v53, 3, v24
	v_cndmask_b32_e32 v24, v44, v55, vcc
	v_mov_b32_e32 v44, 24
	v_cndmask_b32_e32 v22, v53, v22, vcc
	v_lshlrev_b32_sdwa v44, v44, v25 dst_sel:DWORD dst_unused:UNUSED_PAD src0_sel:DWORD src1_sel:WORD_1
	v_bfrev_b32_e32 v53, 60
	v_lshlrev_b32_e32 v24, 20, v24
	v_and_b32_e32 v44, 0x80000000, v44
	v_lshl_add_u32 v22, v22, 23, v53
	v_or3_b32 v53, v44, v22, v24
.LBB560_389:
	s_or_b64 exec, exec, s[10:11]
.LBB560_390:
	s_or_b64 exec, exec, s[8:9]
.LBB560_391:
	s_or_b64 exec, exec, s[2:3]
	s_mov_b32 s2, 0xffffff
	v_and_b32_e32 v44, 63, v0
	v_cmp_lt_u32_e32 vcc, s2, v25
	v_mov_b32_e32 v55, 0
	s_and_saveexec_b64 s[2:3], vcc
	s_cbranch_execz .LBB560_397
; %bb.392:
	v_lshrrev_b32_e32 v22, 24, v25
	s_movk_i32 s8, 0x80
	v_cmp_ne_u32_e32 vcc, s8, v22
	v_bfrev_b32_e32 v55, 1
	s_and_saveexec_b64 s[8:9], vcc
	s_cbranch_execz .LBB560_396
; %bb.393:
	v_bfe_u32 v24, v25, 24, 7
	s_movk_i32 s10, 0x7f
	v_cmp_ne_u32_e32 vcc, s10, v24
	v_mov_b32_e32 v55, 0x7f800001
	s_and_saveexec_b64 s[10:11], vcc
	s_cbranch_execz .LBB560_395
; %bb.394:
	v_and_b32_e32 v25, 7, v22
	v_ffbh_u32_e32 v56, v25
	v_min_u32_e32 v58, 32, v56
	v_subrev_u32_e32 v56, 28, v58
	v_lshlrev_b64 v[56:57], v56, v[22:23]
	v_lshrrev_b32_e32 v55, 3, v24
	v_sub_u32_e32 v57, 29, v58
	v_and_b32_e32 v56, 7, v56
	v_cmp_gt_u32_e32 vcc, 8, v24
	v_cndmask_b32_e32 v24, v55, v57, vcc
	v_cndmask_b32_e32 v25, v25, v56, vcc
	v_lshlrev_b32_e32 v22, 24, v22
	v_bfrev_b32_e32 v55, 60
	v_lshlrev_b32_e32 v25, 20, v25
	v_and_b32_e32 v22, 0x80000000, v22
	v_lshl_add_u32 v24, v24, 23, v55
	v_or3_b32 v55, v22, v24, v25
.LBB560_395:
	s_or_b64 exec, exec, s[10:11]
.LBB560_396:
	s_or_b64 exec, exec, s[8:9]
.LBB560_397:
	s_or_b64 exec, exec, s[2:3]
	v_cvt_pkrtz_f16_f32 v42, v42, v43
	v_cvt_pkrtz_f16_f32 v43, v23, v52
	s_load_dword s2, s[4:5], 0x1c
	s_mov_b32 s46, 0xff7fffff
	s_waitcnt lgkmcnt(0)
	v_mfma_f32_16x16x16f16 v[26:29], v[42:43], v[18:19], v[26:29]
	v_cvt_pkrtz_f16_f32 v18, v45, v54
	v_cvt_pkrtz_f16_f32 v19, v53, v55
	v_mov_b32_e32 v22, s2
	v_mul_f32_e32 v52, s12, v22
	v_pk_mul_f32 v[22:23], v[52:53], v[32:33] op_sel_hi:[0,1]
	v_pk_mul_f32 v[32:33], v[52:53], v[38:39] op_sel_hi:[0,1]
	v_and_b32_e32 v38, 0xc0, v0
	v_mfma_f32_16x16x16f16 v[26:29], v[18:19], v[20:21], v[26:29]
	v_add_u32_e32 v38, s18, v38
	v_lshl_or_b32 v38, v47, 2, v38
	v_or_b32_e32 v39, 1, v38
	v_pk_mul_f32 v[24:25], v[52:53], v[30:31] op_sel_hi:[0,1]
	v_pk_mul_f32 v[30:31], v[52:53], v[40:41] op_sel_hi:[0,1]
	v_subrev_u32_e32 v40, s33, v39
	v_pk_mul_f32 v[34:35], v[52:53], v[34:35] op_sel_hi:[0,1]
	s_nop 3
	v_pk_mul_f32 v[20:21], v[52:53], v[26:27] op_sel_hi:[0,1]
	v_add_u32_e32 v27, 1, v40
	v_pk_mul_f32 v[18:19], v[52:53], v[28:29] op_sel_hi:[0,1]
	v_cvt_f32_i32_e32 v27, v27
	v_add_u32_e32 v29, 3, v40
	v_cvt_f32_i32_e32 v29, v29
	v_cvt_f32_i32_e32 v26, v40
	v_pk_mul_f32 v[36:37], v[52:53], v[36:37] op_sel_hi:[0,1]
	v_fmac_f32_e32 v35, v51, v27
	v_add_u32_e32 v27, 16, v40
	v_fmac_f32_e32 v37, v51, v29
	v_cvt_f32_i32_e32 v27, v27
	v_add_u32_e32 v29, 17, v40
	v_fma_f32 v26, v51, v26, v34
	v_cvt_f32_i32_e32 v29, v29
	v_add_u32_e32 v34, 18, v40
	v_cvt_f32_i32_e32 v34, v34
	v_fma_f32 v41, v51, v27, v32
	v_add_u32_e32 v27, 32, v40
	v_fmac_f32_e32 v33, v51, v29
	v_cvt_f32_i32_e32 v27, v27
	v_add_u32_e32 v29, 33, v40
	v_add_u32_e32 v32, 34, v40
	v_fma_f32 v30, v51, v34, v30
	v_cvt_f32_i32_e32 v29, v29
	v_cvt_f32_i32_e32 v32, v32
	v_add_u32_e32 v34, 35, v40
	v_cvt_f32_i32_e32 v34, v34
	v_fma_f32 v24, v51, v27, v24
	v_add_u32_e32 v27, 48, v40
	v_fmac_f32_e32 v25, v51, v29
	v_fma_f32 v22, v51, v32, v22
	v_cvt_f32_i32_e32 v27, v27
	v_add_u32_e32 v29, 49, v40
	v_add_u32_e32 v32, 50, v40
	v_fmac_f32_e32 v23, v51, v34
	v_cvt_f32_i32_e32 v29, v29
	v_cvt_f32_i32_e32 v32, v32
	v_add_u32_e32 v34, 51, v40
	v_add_u32_e32 v28, 2, v40
	v_cvt_f32_i32_e32 v34, v34
	v_cvt_f32_i32_e32 v28, v28
	v_fma_f32 v20, v51, v27, v20
	v_mov_b32_e32 v27, 0xff7fffff
	v_cmp_gt_i32_e64 s[26:27], s33, v38
	v_cmp_gt_i32_e64 s[28:29], s33, v39
	v_fmac_f32_e32 v21, v51, v29
	v_fma_f32 v18, v51, v32, v18
	v_cndmask_b32_e64 v29, v27, v26, s[26:27]
	v_cndmask_b32_e64 v32, v27, v35, s[28:29]
	v_fmac_f32_e32 v19, v51, v34
	v_max3_f32 v29, v29, s46, v32
	v_or_b32_e32 v32, 2, v38
	v_or_b32_e32 v34, 3, v38
	v_fma_f32 v28, v51, v28, v36
	v_cmp_gt_i32_e64 s[30:31], s33, v32
	v_cmp_gt_i32_e64 s[34:35], s33, v34
	v_add_u32_e32 v36, 19, v40
	v_cndmask_b32_e64 v32, v27, v28, s[30:31]
	v_cndmask_b32_e64 v34, v27, v37, s[34:35]
	v_cvt_f32_i32_e32 v36, v36
	v_max3_f32 v29, v29, v32, v34
	v_or_b32_e32 v32, 16, v38
	v_or_b32_e32 v34, 17, v38
	v_cmp_gt_i32_e64 s[36:37], s33, v32
	v_cmp_gt_i32_e64 s[38:39], s33, v34
	v_cndmask_b32_e64 v32, v27, v41, s[36:37]
	v_cndmask_b32_e64 v34, v27, v33, s[38:39]
	v_max3_f32 v29, v29, v32, v34
	v_or_b32_e32 v32, 18, v38
	v_or_b32_e32 v34, 19, v38
	v_fmac_f32_e32 v31, v51, v36
	v_cmp_gt_i32_e64 s[20:21], s33, v32
	v_cmp_gt_i32_e64 s[22:23], s33, v34
	v_cndmask_b32_e64 v32, v27, v30, s[20:21]
	v_cndmask_b32_e64 v34, v27, v31, s[22:23]
	v_max3_f32 v29, v29, v32, v34
	v_or_b32_e32 v32, 32, v38
	v_or_b32_e32 v34, 33, v38
	v_cmp_gt_i32_e64 s[16:17], s33, v32
	v_cmp_gt_i32_e64 s[18:19], s33, v34
	v_cndmask_b32_e64 v32, v27, v24, s[16:17]
	v_cndmask_b32_e64 v34, v27, v25, s[18:19]
	v_max3_f32 v29, v29, v32, v34
	v_or_b32_e32 v32, 34, v38
	v_or_b32_e32 v34, 35, v38
	;; [unrolled: 7-line block ×4, first 2 shown]
	v_cmp_gt_i32_e32 vcc, s33, v32
	v_cmp_gt_i32_e64 s[2:3], s33, v34
	v_cndmask_b32_e32 v32, v27, v18, vcc
	v_cndmask_b32_e64 v27, v27, v19, s[2:3]
	v_max3_f32 v27, v29, v32, v27
	v_mbcnt_lo_u32_b32 v29, -1, 0
	v_mbcnt_hi_u32_b32 v29, -1, v29
	v_and_b32_e32 v32, 64, v29
	v_add_u32_e32 v32, 64, v32
	v_xor_b32_e32 v34, 32, v29
	v_cmp_lt_i32_e64 s[40:41], v34, v32
	v_cndmask_b32_e64 v34, v29, v34, s[40:41]
	v_lshlrev_b32_e32 v36, 2, v34
	ds_bpermute_b32 v34, v36, v27
	s_barrier
	s_waitcnt lgkmcnt(0)
	v_max_f32_e32 v34, v34, v34
	v_max_f32_e32 v27, v27, v34
	v_xor_b32_e32 v34, 16, v29
	v_cmp_lt_i32_e64 s[40:41], v34, v32
	v_cndmask_b32_e64 v29, v29, v34, s[40:41]
	v_lshlrev_b32_e32 v38, 2, v29
	ds_bpermute_b32 v29, v38, v27
	s_waitcnt lgkmcnt(0)
	v_max_f32_e32 v29, v29, v29
	v_max_f32_e32 v32, v27, v29
	v_sub_f32_e32 v26, v26, v32
	v_mul_f32_e32 v26, 0x3fb8aa3b, v26
	v_sub_f32_e32 v27, v35, v32
	v_exp_f32_e32 v26, v26
	v_mul_f32_e32 v27, 0x3fb8aa3b, v27
	v_sub_f32_e32 v28, v28, v32
	v_exp_f32_e32 v27, v27
	v_mul_f32_e32 v28, 0x3fb8aa3b, v28
	v_exp_f32_e32 v28, v28
	v_cndmask_b32_e64 v26, 0, v26, s[26:27]
	v_sub_f32_e32 v34, v37, v32
	v_add_f32_e32 v29, 0, v26
	v_cndmask_b32_e64 v27, 0, v27, s[28:29]
	v_mul_f32_e32 v34, 0x3fb8aa3b, v34
	v_exp_f32_e32 v35, v34
	v_add_f32_e32 v29, v29, v27
	v_cndmask_b32_e64 v34, 0, v28, s[30:31]
	v_add_f32_e32 v28, v29, v34
	v_sub_f32_e32 v29, v41, v32
	v_mul_f32_e32 v29, 0x3fb8aa3b, v29
	v_sub_f32_e32 v33, v33, v32
	v_exp_f32_e32 v29, v29
	v_mul_f32_e32 v33, 0x3fb8aa3b, v33
	v_sub_f32_e32 v30, v30, v32
	v_exp_f32_e32 v33, v33
	;; [unrolled: 3-line block ×3, first 2 shown]
	v_mul_f32_e32 v31, 0x3fb8aa3b, v31
	v_sub_f32_e32 v24, v24, v32
	v_cndmask_b32_e64 v35, 0, v35, s[34:35]
	v_exp_f32_e32 v31, v31
	v_mul_f32_e32 v24, 0x3fb8aa3b, v24
	v_sub_f32_e32 v25, v25, v32
	v_add_f32_e32 v37, v28, v35
	v_cndmask_b32_e64 v28, 0, v29, s[36:37]
	v_exp_f32_e32 v24, v24
	v_mul_f32_e32 v25, 0x3fb8aa3b, v25
	v_sub_f32_e32 v22, v22, v32
	v_add_f32_e32 v37, v37, v28
	;; [unrolled: 5-line block ×7, first 2 shown]
	v_cndmask_b32_e64 v22, 0, v22, s[12:13]
	v_exp_f32_e32 v18, v18
	v_mul_f32_e32 v19, 0x3fb8aa3b, v19
	v_add_f32_e32 v33, v33, v22
	v_cndmask_b32_e64 v23, 0, v23, s[14:15]
	v_exp_f32_e32 v19, v19
	v_add_f32_e32 v33, v33, v23
	v_cndmask_b32_e64 v20, 0, v20, s[8:9]
	v_add_f32_e32 v33, v33, v20
	v_cndmask_b32_e64 v21, 0, v21, s[10:11]
	v_add_f32_e32 v33, v33, v21
	v_cndmask_b32_e32 v18, 0, v18, vcc
	v_add_f32_e32 v33, v33, v18
	v_cndmask_b32_e64 v19, 0, v19, s[2:3]
	v_add_f32_e32 v33, v33, v19
	ds_bpermute_b32 v36, v36, v33
	v_cmp_gt_u32_e32 vcc, 16, v44
	s_waitcnt lgkmcnt(0)
	v_add_f32_e32 v33, v33, v36
	ds_bpermute_b32 v37, v38, v33
	v_lshlrev_b32_e32 v36, 2, v49
	s_and_saveexec_b64 s[2:3], vcc
	s_cbranch_execz .LBB560_399
; %bb.398:
	s_waitcnt lgkmcnt(0)
	v_add_f32_e32 v33, v33, v37
	v_lshl_or_b32 v37, v50, 6, v36
	ds_write2st64_b32 v37, v32, v33 offset1:1
.LBB560_399:
	s_or_b64 exec, exec, s[2:3]
	s_waitcnt lgkmcnt(0)
	s_barrier
	ds_read2_b32 v[38:39], v36 offset1:16
	ds_read2_b32 v[40:41], v36 offset0:32 offset1:48
	ds_read2_b32 v[42:43], v36 offset0:64 offset1:80
	s_mul_i32 s12, s45, 3
	s_waitcnt lgkmcnt(2)
	v_max3_f32 v32, v38, s46, v39
	s_waitcnt lgkmcnt(1)
	v_max3_f32 v33, v32, v40, v41
	v_sub_f32_e32 v32, v38, v33
	v_mul_f32_e32 v32, 0x3fb8aa3b, v32
	v_exp_f32_e32 v37, v32
	v_sub_f32_e32 v32, v39, v33
	v_mul_f32_e32 v32, 0x3fb8aa3b, v32
	v_exp_f32_e32 v44, v32
	;; [unrolled: 3-line block ×3, first 2 shown]
	ds_read2_b32 v[38:39], v36 offset0:96 offset1:112
	v_sub_f32_e32 v32, v41, v33
	v_mul_f32_e32 v32, 0x3fb8aa3b, v32
	v_exp_f32_e32 v41, v32
	s_waitcnt lgkmcnt(1)
	v_fma_f32 v36, v37, v42, 0
	v_fmac_f32_e32 v36, v44, v43
	s_waitcnt lgkmcnt(0)
	v_fmac_f32_e32 v36, v40, v38
	v_fmac_f32_e32 v36, v41, v39
	v_add_f32_e32 v38, 0x358637bd, v36
	v_div_scale_f32 v39, s[2:3], v38, v38, 1.0
	v_rcp_f32_e32 v42, v39
	s_barrier
	v_fma_f32 v43, -v39, v42, 1.0
	v_fmac_f32_e32 v42, v43, v42
	v_div_scale_f32 v43, vcc, 1.0, v38, 1.0
	v_mul_f32_e32 v45, v43, v42
	v_fma_f32 v51, -v39, v45, v43
	v_fmac_f32_e32 v45, v51, v42
	v_fma_f32 v39, -v39, v45, v43
	v_div_fmas_f32 v39, v39, v42, v45
	v_cmp_eq_u32_e32 vcc, 1, v50
	v_cndmask_b32_e32 v37, v37, v44, vcc
	v_cmp_eq_u32_e32 vcc, 2, v50
	v_cndmask_b32_e32 v37, v37, v40, vcc
	v_cmp_eq_u32_e32 vcc, 3, v50
	v_div_fixup_f32 v38, v39, v38, 1.0
	v_cndmask_b32_e32 v37, v37, v41, vcc
	v_mul_f32_e32 v38, v37, v38
	v_pk_mul_f32 v[34:35], v[38:39], v[34:35] op_sel_hi:[0,1]
	v_pk_mul_f32 v[26:27], v[38:39], v[26:27] op_sel_hi:[0,1]
	v_cvt_f16_f32_e32 v26, v26
	v_cvt_f16_f32_e32 v27, v27
	;; [unrolled: 1-line block ×4, first 2 shown]
	v_pk_mul_f32 v[30:31], v[38:39], v[30:31] op_sel_hi:[0,1]
	v_pk_mul_f32 v[28:29], v[38:39], v[28:29] op_sel_hi:[0,1]
	v_cvt_f16_f32_e32 v28, v28
	v_cvt_f16_f32_e32 v29, v29
	;; [unrolled: 1-line block ×4, first 2 shown]
	v_pack_b32_f16 v34, v26, v27
	v_pack_b32_f16 v35, v37, v35
	v_lshlrev_b32_e32 v26, 3, v47
	v_lshlrev_b32_e32 v27, 5, v49
	;; [unrolled: 1-line block ×3, first 2 shown]
	v_or3_b32 v26, v37, v27, v26
	v_pack_b32_f16 v28, v28, v29
	v_pack_b32_f16 v29, v30, v31
	v_pk_mul_f32 v[22:23], v[38:39], v[22:23] op_sel_hi:[0,1]
	v_pk_mul_f32 v[24:25], v[38:39], v[24:25] op_sel_hi:[0,1]
	;; [unrolled: 1-line block ×4, first 2 shown]
	ds_write2st64_b64 v26, v[34:35], v[28:29] offset1:1
	v_cvt_f16_f32_e32 v24, v24
	v_cvt_f16_f32_e32 v25, v25
	;; [unrolled: 1-line block ×8, first 2 shown]
	v_mov_b32_e32 v32, 0
	v_pack_b32_f16 v18, v24, v25
	v_pack_b32_f16 v19, v22, v23
	v_pack_b32_f16 v20, v20, v21
	v_pack_b32_f16 v21, v28, v29
	v_cmp_gt_u32_e32 vcc, 3, v0
	ds_write2st64_b64 v26, v[18:19], v[20:21] offset0:2 offset1:3
	s_and_saveexec_b64 s[2:3], vcc
	s_cbranch_execz .LBB560_401
; %bb.400:
	v_add_co_u32_e32 v20, vcc, s25, v49
	v_addc_co_u32_e64 v21, s[14:15], 0, 0, vcc
	v_mov_b32_e32 v18, s12
	v_mov_b32_e32 v19, 0
	v_mad_u64_u32 v[20:21], s[14:15], s6, v18, v[20:21]
	v_mov_b32_e32 v18, s24
	s_load_dwordx4 s[8:11], s[4:5], 0x58
	s_mul_i32 s7, s7, s12
	v_mad_u64_u32 v[18:19], s[14:15], v20, s44, v[18:19]
	v_add_u32_e32 v21, s7, v21
	v_mov_b32_e32 v20, v19
	v_mad_u64_u32 v[20:21], s[14:15], v21, s44, v[20:21]
	v_mov_b32_e32 v19, v20
	v_lshlrev_b64 v[18:19], 2, v[18:19]
	s_waitcnt lgkmcnt(0)
	v_mov_b32_e32 v21, s11
	v_add_co_u32_e32 v20, vcc, s10, v18
	v_addc_co_u32_e32 v21, vcc, v21, v19, vcc
	global_store_dword v[20:21], v33, off
	v_mov_b32_e32 v20, s9
	v_add_co_u32_e32 v18, vcc, s8, v18
	v_addc_co_u32_e32 v19, vcc, v20, v19, vcc
	global_store_dword v[18:19], v36, off
.LBB560_401:
	s_or_b64 exec, exec, s[2:3]
	v_mov_b32_e32 v19, 0
	s_waitcnt vmcnt(3)
	v_cmp_ne_u16_sdwa s[8:9], v14, v19 src0_sel:BYTE_0 src1_sel:DWORD
	s_waitcnt lgkmcnt(0)
	s_barrier
	s_and_saveexec_b64 s[2:3], s[8:9]
	s_cbranch_execz .LBB560_407
; %bb.402:
	s_movk_i32 s7, 0x80
	v_cmp_ne_u16_sdwa s[10:11], v14, s7 src0_sel:BYTE_0 src1_sel:DWORD
	v_bfrev_b32_e32 v32, 1
	s_and_saveexec_b64 s[8:9], s[10:11]
	s_cbranch_execz .LBB560_406
; %bb.403:
	s_movk_i32 s7, 0x7f
	v_and_b32_e32 v18, 0x7f, v14
	v_cmp_ne_u32_e32 vcc, s7, v18
	v_mov_b32_e32 v32, 0x7f800001
	s_and_saveexec_b64 s[10:11], vcc
	s_cbranch_execz .LBB560_405
; %bb.404:
	v_and_b32_e32 v22, 7, v14
	v_ffbh_u32_e32 v20, v22
	v_min_u32_e32 v24, 32, v20
	v_subrev_u32_e32 v20, 28, v24
	v_lshlrev_b64 v[20:21], v20, v[14:15]
	v_lshrrev_b32_e32 v23, 3, v18
	v_sub_u32_e32 v21, 29, v24
	v_and_b32_e32 v20, 7, v20
	v_cmp_gt_u32_e32 vcc, 8, v18
	v_cndmask_b32_e32 v18, v23, v21, vcc
	v_cndmask_b32_e32 v20, v22, v20, vcc
	v_lshlrev_b32_e32 v21, 24, v14
	v_bfrev_b32_e32 v22, 60
	v_lshlrev_b32_e32 v20, 20, v20
	v_and_b32_e32 v21, 0x80000000, v21
	v_lshl_add_u32 v18, v18, 23, v22
	v_or3_b32 v32, v21, v18, v20
.LBB560_405:
	s_or_b64 exec, exec, s[10:11]
.LBB560_406:
	s_or_b64 exec, exec, s[8:9]
.LBB560_407:
	s_or_b64 exec, exec, s[2:3]
	v_lshrrev_b16_e32 v18, 8, v14
	v_cmp_ne_u16_e32 vcc, 0, v18
	v_mov_b32_e32 v20, 0
	s_and_saveexec_b64 s[2:3], vcc
	s_cbranch_execz .LBB560_413
; %bb.408:
	s_movk_i32 s7, 0x80
	v_cmp_ne_u16_e32 vcc, s7, v18
	v_bfrev_b32_e32 v20, 1
	s_and_saveexec_b64 s[8:9], vcc
	s_cbranch_execz .LBB560_412
; %bb.409:
	s_movk_i32 s7, 0x7f
	v_and_b32_e32 v21, 0x7f, v18
	v_cmp_ne_u32_e32 vcc, s7, v21
	v_mov_b32_e32 v20, 0x7f800001
	s_and_saveexec_b64 s[10:11], vcc
	s_cbranch_execz .LBB560_411
; %bb.410:
	v_and_b32_e32 v20, 7, v18
	v_ffbh_u32_e32 v22, v20
	v_min_u32_e32 v25, 32, v22
	v_subrev_u32_e32 v22, 28, v25
	v_lshlrev_b64 v[22:23], v22, v[18:19]
	v_lshrrev_b32_e32 v24, 3, v21
	v_sub_u32_e32 v18, 29, v25
	v_and_b32_e32 v22, 7, v22
	v_cmp_gt_u32_e32 vcc, 8, v21
	v_cndmask_b32_e32 v18, v24, v18, vcc
	v_cndmask_b32_e32 v20, v20, v22, vcc
	v_lshlrev_b32_e32 v21, 16, v14
	v_bfrev_b32_e32 v22, 60
	v_lshlrev_b32_e32 v20, 20, v20
	v_and_b32_e32 v21, 0x80000000, v21
	v_lshl_add_u32 v18, v18, 23, v22
	v_or3_b32 v20, v21, v18, v20
.LBB560_411:
	s_or_b64 exec, exec, s[10:11]
.LBB560_412:
	s_or_b64 exec, exec, s[8:9]
.LBB560_413:
	s_or_b64 exec, exec, s[2:3]
	s_movk_i32 s2, 0xff
	v_and_b32_sdwa v21, v14, s2 dst_sel:DWORD dst_unused:UNUSED_PAD src0_sel:WORD_1 src1_sel:DWORD
	v_lshrrev_b32_e32 v18, 16, v14
	v_cmp_ne_u16_e32 vcc, 0, v21
	s_and_saveexec_b64 s[2:3], vcc
	s_cbranch_execz .LBB560_419
; %bb.414:
	s_movk_i32 s7, 0x80
	v_cmp_ne_u16_e32 vcc, s7, v21
	v_bfrev_b32_e32 v19, 1
	s_and_saveexec_b64 s[8:9], vcc
	s_cbranch_execz .LBB560_418
; %bb.415:
	v_bfe_u32 v21, v14, 16, 7
	s_movk_i32 s7, 0x7f
	v_cmp_ne_u32_e32 vcc, s7, v21
	v_mov_b32_e32 v19, 0x7f800001
	s_and_saveexec_b64 s[10:11], vcc
	s_cbranch_execz .LBB560_417
; %bb.416:
	v_and_b32_e32 v22, 7, v18
	v_ffbh_u32_e32 v19, v22
	v_min_u32_e32 v24, 32, v19
	v_subrev_u32_e32 v19, 28, v24
	v_lshlrev_b64 v[18:19], v19, v[18:19]
	v_lshrrev_b32_e32 v23, 3, v21
	v_sub_u32_e32 v19, 29, v24
	v_and_b32_e32 v18, 7, v18
	v_cmp_gt_u32_e32 vcc, 8, v21
	v_mov_b32_e32 v21, 24
	v_cndmask_b32_e32 v19, v23, v19, vcc
	v_cndmask_b32_e32 v18, v22, v18, vcc
	v_lshlrev_b32_sdwa v21, v21, v14 dst_sel:DWORD dst_unused:UNUSED_PAD src0_sel:DWORD src1_sel:WORD_1
	v_bfrev_b32_e32 v22, 60
	v_lshlrev_b32_e32 v18, 20, v18
	v_and_b32_e32 v21, 0x80000000, v21
	v_lshl_add_u32 v19, v19, 23, v22
	v_or3_b32 v19, v21, v19, v18
.LBB560_417:
	s_or_b64 exec, exec, s[10:11]
.LBB560_418:
	s_or_b64 exec, exec, s[8:9]
.LBB560_419:
	s_or_b64 exec, exec, s[2:3]
	s_mov_b32 s2, 0xffffff
	v_cmp_lt_u32_e32 vcc, s2, v14
	v_mov_b32_e32 v21, 0
	v_mov_b32_e32 v22, 0
	s_and_saveexec_b64 s[2:3], vcc
	s_cbranch_execz .LBB560_425
; %bb.420:
	v_lshrrev_b32_e32 v18, 24, v14
	s_movk_i32 s7, 0x80
	v_cmp_ne_u32_e32 vcc, s7, v18
	v_bfrev_b32_e32 v22, 1
	s_and_saveexec_b64 s[8:9], vcc
	s_cbranch_execz .LBB560_424
; %bb.421:
	v_bfe_u32 v14, v14, 24, 7
	s_movk_i32 s7, 0x7f
	v_cmp_ne_u32_e32 vcc, s7, v14
	v_mov_b32_e32 v22, 0x7f800001
	s_and_saveexec_b64 s[10:11], vcc
	s_cbranch_execz .LBB560_423
; %bb.422:
	v_and_b32_e32 v24, 7, v18
	v_ffbh_u32_e32 v22, v24
	v_min_u32_e32 v28, 32, v22
	v_subrev_u32_e32 v22, 28, v28
	v_lshlrev_b64 v[22:23], v22, v[18:19]
	v_lshrrev_b32_e32 v25, 3, v14
	v_sub_u32_e32 v23, 29, v28
	v_and_b32_e32 v22, 7, v22
	v_cmp_gt_u32_e32 vcc, 8, v14
	v_cndmask_b32_e32 v14, v25, v23, vcc
	v_cndmask_b32_e32 v22, v24, v22, vcc
	v_lshlrev_b32_e32 v18, 24, v18
	v_bfrev_b32_e32 v23, 60
	v_lshlrev_b32_e32 v22, 20, v22
	v_and_b32_e32 v18, 0x80000000, v18
	v_lshl_add_u32 v14, v14, 23, v23
	v_or3_b32 v22, v18, v14, v22
.LBB560_423:
	s_or_b64 exec, exec, s[10:11]
.LBB560_424:
	s_or_b64 exec, exec, s[8:9]
.LBB560_425:
	s_or_b64 exec, exec, s[2:3]
	v_cmp_ne_u16_sdwa s[8:9], v15, v21 src0_sel:BYTE_0 src1_sel:DWORD
	s_and_saveexec_b64 s[2:3], s[8:9]
	s_cbranch_execz .LBB560_431
; %bb.426:
	s_movk_i32 s7, 0x80
	v_cmp_ne_u16_sdwa s[10:11], v15, s7 src0_sel:BYTE_0 src1_sel:DWORD
	v_bfrev_b32_e32 v21, 1
	s_and_saveexec_b64 s[8:9], s[10:11]
	s_cbranch_execz .LBB560_430
; %bb.427:
	s_movk_i32 s7, 0x7f
	v_and_b32_e32 v14, 0x7f, v15
	v_cmp_ne_u32_e32 vcc, s7, v14
	v_mov_b32_e32 v21, 0x7f800001
	s_and_saveexec_b64 s[10:11], vcc
	s_cbranch_execz .LBB560_429
; %bb.428:
	v_and_b32_e32 v21, 7, v15
	v_ffbh_u32_e32 v24, v21
	v_min_u32_e32 v28, 32, v24
	v_mov_b32_e32 v18, v15
	v_subrev_u32_e32 v24, 28, v28
	v_lshlrev_b64 v[24:25], v24, v[18:19]
	v_lshrrev_b32_e32 v23, 3, v14
	v_sub_u32_e32 v18, 29, v28
	v_and_b32_e32 v24, 7, v24
	v_cmp_gt_u32_e32 vcc, 8, v14
	v_cndmask_b32_e32 v14, v23, v18, vcc
	v_cndmask_b32_e32 v18, v21, v24, vcc
	v_lshlrev_b32_e32 v21, 24, v15
	v_bfrev_b32_e32 v23, 60
	v_lshlrev_b32_e32 v18, 20, v18
	v_and_b32_e32 v21, 0x80000000, v21
	v_lshl_add_u32 v14, v14, 23, v23
	v_or3_b32 v21, v21, v14, v18
.LBB560_429:
	s_or_b64 exec, exec, s[10:11]
.LBB560_430:
	s_or_b64 exec, exec, s[8:9]
.LBB560_431:
	s_or_b64 exec, exec, s[2:3]
	v_lshrrev_b16_e32 v14, 8, v15
	v_cmp_ne_u16_e32 vcc, 0, v14
	v_mov_b32_e32 v18, 0
	v_mov_b32_e32 v24, 0
	s_and_saveexec_b64 s[2:3], vcc
	s_cbranch_execz .LBB560_437
; %bb.432:
	s_movk_i32 s7, 0x80
	v_cmp_ne_u16_e32 vcc, s7, v14
	v_bfrev_b32_e32 v24, 1
	s_and_saveexec_b64 s[8:9], vcc
	s_cbranch_execz .LBB560_436
; %bb.433:
	s_movk_i32 s7, 0x7f
	v_and_b32_e32 v23, 0x7f, v14
	v_cmp_ne_u32_e32 vcc, s7, v23
	v_mov_b32_e32 v24, 0x7f800001
	s_and_saveexec_b64 s[10:11], vcc
	s_cbranch_execz .LBB560_435
; %bb.434:
	v_and_b32_e32 v28, 7, v14
	v_ffbh_u32_e32 v24, v28
	v_min_u32_e32 v30, 32, v24
	v_subrev_u32_e32 v24, 28, v30
	v_lshlrev_b64 v[24:25], v24, v[14:15]
	v_lshrrev_b32_e32 v29, 3, v23
	v_sub_u32_e32 v14, 29, v30
	v_and_b32_e32 v24, 7, v24
	v_cmp_gt_u32_e32 vcc, 8, v23
	v_cndmask_b32_e32 v14, v29, v14, vcc
	v_cndmask_b32_e32 v23, v28, v24, vcc
	v_lshlrev_b32_e32 v24, 16, v15
	v_bfrev_b32_e32 v25, 60
	v_lshlrev_b32_e32 v23, 20, v23
	v_and_b32_e32 v24, 0x80000000, v24
	v_lshl_add_u32 v14, v14, 23, v25
	v_or3_b32 v24, v24, v14, v23
.LBB560_435:
	s_or_b64 exec, exec, s[10:11]
.LBB560_436:
	s_or_b64 exec, exec, s[8:9]
.LBB560_437:
	s_or_b64 exec, exec, s[2:3]
	s_movk_i32 s2, 0xff
	v_and_b32_sdwa v23, v15, s2 dst_sel:DWORD dst_unused:UNUSED_PAD src0_sel:WORD_1 src1_sel:DWORD
	v_lshrrev_b32_e32 v14, 16, v15
	v_cmp_ne_u16_e32 vcc, 0, v23
	s_and_saveexec_b64 s[2:3], vcc
	s_cbranch_execz .LBB560_443
; %bb.438:
	s_movk_i32 s7, 0x80
	v_cmp_ne_u16_e32 vcc, s7, v23
	v_bfrev_b32_e32 v18, 1
	s_and_saveexec_b64 s[8:9], vcc
	s_cbranch_execz .LBB560_442
; %bb.439:
	v_bfe_u32 v23, v15, 16, 7
	s_movk_i32 s7, 0x7f
	v_cmp_ne_u32_e32 vcc, s7, v23
	v_mov_b32_e32 v18, 0x7f800001
	s_and_saveexec_b64 s[10:11], vcc
	s_cbranch_execz .LBB560_441
; %bb.440:
	v_and_b32_e32 v18, 7, v14
	v_ffbh_u32_e32 v28, v18
	v_min_u32_e32 v30, 32, v28
	v_subrev_u32_e32 v28, 28, v30
	v_lshlrev_b64 v[28:29], v28, v[14:15]
	v_lshrrev_b32_e32 v25, 3, v23
	v_sub_u32_e32 v14, 29, v30
	v_and_b32_e32 v28, 7, v28
	v_cmp_gt_u32_e32 vcc, 8, v23
	v_mov_b32_e32 v23, 24
	v_cndmask_b32_e32 v14, v25, v14, vcc
	v_cndmask_b32_e32 v18, v18, v28, vcc
	v_lshlrev_b32_sdwa v23, v23, v15 dst_sel:DWORD dst_unused:UNUSED_PAD src0_sel:DWORD src1_sel:WORD_1
	v_bfrev_b32_e32 v25, 60
	v_lshlrev_b32_e32 v18, 20, v18
	v_and_b32_e32 v23, 0x80000000, v23
	v_lshl_add_u32 v14, v14, 23, v25
	v_or3_b32 v18, v23, v14, v18
.LBB560_441:
	s_or_b64 exec, exec, s[10:11]
.LBB560_442:
	s_or_b64 exec, exec, s[8:9]
.LBB560_443:
	s_or_b64 exec, exec, s[2:3]
	s_mov_b32 s2, 0xffffff
	v_cmp_lt_u32_e32 vcc, s2, v15
	v_mov_b32_e32 v23, 0
	v_mov_b32_e32 v25, 0
	s_and_saveexec_b64 s[2:3], vcc
	s_cbranch_execz .LBB560_449
; %bb.444:
	v_lshrrev_b32_e32 v14, 24, v15
	s_movk_i32 s7, 0x80
	v_cmp_ne_u32_e32 vcc, s7, v14
	v_bfrev_b32_e32 v25, 1
	s_and_saveexec_b64 s[8:9], vcc
	s_cbranch_execz .LBB560_448
; %bb.445:
	v_bfe_u32 v15, v15, 24, 7
	s_movk_i32 s7, 0x7f
	v_cmp_ne_u32_e32 vcc, s7, v15
	v_mov_b32_e32 v25, 0x7f800001
	s_and_saveexec_b64 s[10:11], vcc
	s_cbranch_execz .LBB560_447
; %bb.446:
	v_and_b32_e32 v25, 7, v14
	v_ffbh_u32_e32 v28, v25
	v_min_u32_e32 v31, 32, v28
	v_subrev_u32_e32 v28, 28, v31
	v_lshlrev_b64 v[28:29], v28, v[14:15]
	v_lshrrev_b32_e32 v30, 3, v15
	v_sub_u32_e32 v29, 29, v31
	v_and_b32_e32 v28, 7, v28
	v_cmp_gt_u32_e32 vcc, 8, v15
	v_cndmask_b32_e32 v15, v30, v29, vcc
	v_cndmask_b32_e32 v25, v25, v28, vcc
	v_lshlrev_b32_e32 v14, 24, v14
	v_bfrev_b32_e32 v28, 60
	v_lshlrev_b32_e32 v25, 20, v25
	v_and_b32_e32 v14, 0x80000000, v14
	v_lshl_add_u32 v15, v15, 23, v28
	v_or3_b32 v25, v14, v15, v25
.LBB560_447:
	s_or_b64 exec, exec, s[10:11]
.LBB560_448:
	s_or_b64 exec, exec, s[8:9]
.LBB560_449:
	s_or_b64 exec, exec, s[2:3]
	v_cvt_pkrtz_f16_f32 v15, v19, v22
	v_lshl_or_b32 v22, v47, 9, v27
	v_cvt_pkrtz_f16_f32 v14, v32, v20
	ds_read_b128 v[28:31], v22
	v_cmp_ne_u16_sdwa s[8:9], v16, v23 src0_sel:BYTE_0 src1_sel:DWORD
	s_waitcnt lgkmcnt(0)
	v_mfma_f32_16x16x16f16 v[32:35], v[14:15], v[28:29], 0
	v_cvt_pkrtz_f16_f32 v14, v21, v24
	v_cvt_pkrtz_f16_f32 v15, v18, v25
	s_nop 1
	v_mfma_f32_16x16x16f16 v[18:21], v[14:15], v[30:31], v[32:35]
	s_and_saveexec_b64 s[2:3], s[8:9]
	s_cbranch_execz .LBB560_455
; %bb.450:
	s_movk_i32 s7, 0x80
	v_cmp_ne_u16_sdwa s[10:11], v16, s7 src0_sel:BYTE_0 src1_sel:DWORD
	v_bfrev_b32_e32 v23, 1
	s_and_saveexec_b64 s[8:9], s[10:11]
	s_cbranch_execz .LBB560_454
; %bb.451:
	s_movk_i32 s7, 0x7f
	v_and_b32_e32 v14, 0x7f, v16
	v_cmp_ne_u32_e32 vcc, s7, v14
	v_mov_b32_e32 v23, 0x7f800001
	s_and_saveexec_b64 s[10:11], vcc
	s_cbranch_execz .LBB560_453
; %bb.452:
	v_and_b32_e32 v15, 7, v16
	v_ffbh_u32_e32 v24, v15
	v_min_u32_e32 v27, 32, v24
	v_subrev_u32_e32 v24, 28, v27
	v_lshlrev_b64 v[24:25], v24, v[16:17]
	v_lshrrev_b32_e32 v23, 3, v14
	v_sub_u32_e32 v25, 29, v27
	v_and_b32_e32 v24, 7, v24
	v_cmp_gt_u32_e32 vcc, 8, v14
	v_cndmask_b32_e32 v14, v23, v25, vcc
	v_cndmask_b32_e32 v15, v15, v24, vcc
	v_lshlrev_b32_e32 v23, 24, v16
	v_bfrev_b32_e32 v24, 60
	v_lshlrev_b32_e32 v15, 20, v15
	v_and_b32_e32 v23, 0x80000000, v23
	v_lshl_add_u32 v14, v14, 23, v24
	v_or3_b32 v23, v23, v14, v15
.LBB560_453:
	s_or_b64 exec, exec, s[10:11]
.LBB560_454:
	s_or_b64 exec, exec, s[8:9]
.LBB560_455:
	s_or_b64 exec, exec, s[2:3]
	v_lshrrev_b16_e32 v14, 8, v16
	v_cmp_ne_u16_e32 vcc, 0, v14
	v_mov_b32_e32 v15, 0
	v_mov_b32_e32 v25, 0
	s_and_saveexec_b64 s[2:3], vcc
	s_cbranch_execz .LBB560_461
; %bb.456:
	s_movk_i32 s7, 0x80
	v_cmp_ne_u16_e32 vcc, s7, v14
	v_bfrev_b32_e32 v25, 1
	s_and_saveexec_b64 s[8:9], vcc
	s_cbranch_execz .LBB560_460
; %bb.457:
	s_movk_i32 s7, 0x7f
	v_and_b32_e32 v24, 0x7f, v14
	v_cmp_ne_u32_e32 vcc, s7, v24
	v_mov_b32_e32 v25, 0x7f800001
	s_and_saveexec_b64 s[10:11], vcc
	s_cbranch_execz .LBB560_459
; %bb.458:
	v_and_b32_e32 v25, 7, v14
	v_ffbh_u32_e32 v28, v25
	v_min_u32_e32 v30, 32, v28
	v_subrev_u32_e32 v28, 28, v30
	v_lshlrev_b64 v[28:29], v28, v[14:15]
	v_lshrrev_b32_e32 v27, 3, v24
	v_sub_u32_e32 v14, 29, v30
	v_and_b32_e32 v28, 7, v28
	v_cmp_gt_u32_e32 vcc, 8, v24
	v_cndmask_b32_e32 v14, v27, v14, vcc
	v_cndmask_b32_e32 v24, v25, v28, vcc
	v_lshlrev_b32_e32 v25, 16, v16
	v_bfrev_b32_e32 v27, 60
	v_lshlrev_b32_e32 v24, 20, v24
	v_and_b32_e32 v25, 0x80000000, v25
	v_lshl_add_u32 v14, v14, 23, v27
	v_or3_b32 v25, v25, v14, v24
.LBB560_459:
	s_or_b64 exec, exec, s[10:11]
.LBB560_460:
	s_or_b64 exec, exec, s[8:9]
.LBB560_461:
	s_or_b64 exec, exec, s[2:3]
	s_movk_i32 s2, 0xff
	v_and_b32_sdwa v24, v16, s2 dst_sel:DWORD dst_unused:UNUSED_PAD src0_sel:WORD_1 src1_sel:DWORD
	v_lshrrev_b32_e32 v14, 16, v16
	v_cmp_ne_u16_e32 vcc, 0, v24
	s_and_saveexec_b64 s[2:3], vcc
	s_cbranch_execz .LBB560_467
; %bb.462:
	s_movk_i32 s7, 0x80
	v_cmp_ne_u16_e32 vcc, s7, v24
	v_bfrev_b32_e32 v15, 1
	s_and_saveexec_b64 s[8:9], vcc
	s_cbranch_execz .LBB560_466
; %bb.463:
	v_bfe_u32 v24, v16, 16, 7
	s_movk_i32 s7, 0x7f
	v_cmp_ne_u32_e32 vcc, s7, v24
	v_mov_b32_e32 v15, 0x7f800001
	s_and_saveexec_b64 s[10:11], vcc
	s_cbranch_execz .LBB560_465
; %bb.464:
	v_and_b32_e32 v27, 7, v14
	v_ffbh_u32_e32 v15, v27
	v_min_u32_e32 v29, 32, v15
	v_subrev_u32_e32 v15, 28, v29
	v_lshlrev_b64 v[14:15], v15, v[14:15]
	v_lshrrev_b32_e32 v28, 3, v24
	v_sub_u32_e32 v15, 29, v29
	v_and_b32_e32 v14, 7, v14
	v_cmp_gt_u32_e32 vcc, 8, v24
	v_mov_b32_e32 v24, 24
	v_cndmask_b32_e32 v15, v28, v15, vcc
	v_cndmask_b32_e32 v14, v27, v14, vcc
	v_lshlrev_b32_sdwa v24, v24, v16 dst_sel:DWORD dst_unused:UNUSED_PAD src0_sel:DWORD src1_sel:WORD_1
	v_bfrev_b32_e32 v27, 60
	v_lshlrev_b32_e32 v14, 20, v14
	v_and_b32_e32 v24, 0x80000000, v24
	v_lshl_add_u32 v15, v15, 23, v27
	v_or3_b32 v15, v24, v15, v14
.LBB560_465:
	s_or_b64 exec, exec, s[10:11]
.LBB560_466:
	s_or_b64 exec, exec, s[8:9]
.LBB560_467:
	s_or_b64 exec, exec, s[2:3]
	s_mov_b32 s2, 0xffffff
	v_cmp_lt_u32_e32 vcc, s2, v16
	v_mov_b32_e32 v27, 0
	v_mov_b32_e32 v28, 0
	s_and_saveexec_b64 s[2:3], vcc
	s_cbranch_execz .LBB560_473
; %bb.468:
	v_lshrrev_b32_e32 v14, 24, v16
	s_movk_i32 s7, 0x80
	v_cmp_ne_u32_e32 vcc, s7, v14
	v_bfrev_b32_e32 v28, 1
	s_and_saveexec_b64 s[8:9], vcc
	s_cbranch_execz .LBB560_472
; %bb.469:
	v_bfe_u32 v16, v16, 24, 7
	s_movk_i32 s7, 0x7f
	v_cmp_ne_u32_e32 vcc, s7, v16
	v_mov_b32_e32 v28, 0x7f800001
	s_and_saveexec_b64 s[10:11], vcc
	s_cbranch_execz .LBB560_471
; %bb.470:
	v_and_b32_e32 v24, 7, v14
	v_ffbh_u32_e32 v28, v24
	v_min_u32_e32 v31, 32, v28
	v_subrev_u32_e32 v28, 28, v31
	v_lshlrev_b64 v[28:29], v28, v[14:15]
	v_lshrrev_b32_e32 v30, 3, v16
	v_sub_u32_e32 v29, 29, v31
	v_and_b32_e32 v28, 7, v28
	v_cmp_gt_u32_e32 vcc, 8, v16
	v_cndmask_b32_e32 v16, v30, v29, vcc
	v_cndmask_b32_e32 v24, v24, v28, vcc
	v_lshlrev_b32_e32 v14, 24, v14
	v_bfrev_b32_e32 v28, 60
	v_lshlrev_b32_e32 v24, 20, v24
	v_and_b32_e32 v14, 0x80000000, v14
	v_lshl_add_u32 v16, v16, 23, v28
	v_or3_b32 v28, v14, v16, v24
.LBB560_471:
	s_or_b64 exec, exec, s[10:11]
.LBB560_472:
	s_or_b64 exec, exec, s[8:9]
.LBB560_473:
	s_or_b64 exec, exec, s[2:3]
	v_cmp_ne_u16_sdwa s[8:9], v17, v27 src0_sel:BYTE_0 src1_sel:DWORD
	s_and_saveexec_b64 s[2:3], s[8:9]
	s_cbranch_execz .LBB560_479
; %bb.474:
	s_movk_i32 s7, 0x80
	v_cmp_ne_u16_sdwa s[10:11], v17, s7 src0_sel:BYTE_0 src1_sel:DWORD
	v_bfrev_b32_e32 v27, 1
	s_and_saveexec_b64 s[8:9], s[10:11]
	s_cbranch_execz .LBB560_478
; %bb.475:
	s_movk_i32 s7, 0x7f
	v_and_b32_e32 v14, 0x7f, v17
	v_cmp_ne_u32_e32 vcc, s7, v14
	v_mov_b32_e32 v27, 0x7f800001
	s_and_saveexec_b64 s[10:11], vcc
	s_cbranch_execz .LBB560_477
; %bb.476:
	v_and_b32_e32 v24, 7, v17
	v_ffbh_u32_e32 v29, v24
	v_min_u32_e32 v29, 32, v29
	v_mov_b32_e32 v16, v17
	v_subrev_u32_e32 v30, 28, v29
	v_lshlrev_b64 v[30:31], v30, v[16:17]
	v_lshrrev_b32_e32 v27, 3, v14
	v_sub_u32_e32 v16, 29, v29
	v_and_b32_e32 v29, 7, v30
	v_cmp_gt_u32_e32 vcc, 8, v14
	v_cndmask_b32_e32 v14, v27, v16, vcc
	v_cndmask_b32_e32 v16, v24, v29, vcc
	v_lshlrev_b32_e32 v24, 24, v17
	v_bfrev_b32_e32 v27, 60
	v_lshlrev_b32_e32 v16, 20, v16
	v_and_b32_e32 v24, 0x80000000, v24
	v_lshl_add_u32 v14, v14, 23, v27
	v_or3_b32 v27, v24, v14, v16
.LBB560_477:
	s_or_b64 exec, exec, s[10:11]
.LBB560_478:
	s_or_b64 exec, exec, s[8:9]
.LBB560_479:
	s_or_b64 exec, exec, s[2:3]
	v_lshrrev_b16_e32 v14, 8, v17
	v_cmp_ne_u16_e32 vcc, 0, v14
	v_mov_b32_e32 v16, 0
	v_mov_b32_e32 v29, 0
	s_and_saveexec_b64 s[2:3], vcc
	s_cbranch_execz .LBB560_485
; %bb.480:
	s_movk_i32 s7, 0x80
	v_cmp_ne_u16_e32 vcc, s7, v14
	v_bfrev_b32_e32 v29, 1
	s_and_saveexec_b64 s[8:9], vcc
	s_cbranch_execz .LBB560_484
; %bb.481:
	s_movk_i32 s7, 0x7f
	v_and_b32_e32 v24, 0x7f, v14
	v_cmp_ne_u32_e32 vcc, s7, v24
	v_mov_b32_e32 v29, 0x7f800001
	s_and_saveexec_b64 s[10:11], vcc
	s_cbranch_execz .LBB560_483
; %bb.482:
	v_and_b32_e32 v29, 7, v14
	v_ffbh_u32_e32 v30, v29
	v_min_u32_e32 v33, 32, v30
	v_subrev_u32_e32 v30, 28, v33
	v_lshlrev_b64 v[30:31], v30, v[14:15]
	v_lshrrev_b32_e32 v32, 3, v24
	v_sub_u32_e32 v14, 29, v33
	v_and_b32_e32 v30, 7, v30
	v_cmp_gt_u32_e32 vcc, 8, v24
	v_cndmask_b32_e32 v14, v32, v14, vcc
	v_cndmask_b32_e32 v24, v29, v30, vcc
	v_lshlrev_b32_e32 v29, 16, v17
	v_bfrev_b32_e32 v30, 60
	v_lshlrev_b32_e32 v24, 20, v24
	v_and_b32_e32 v29, 0x80000000, v29
	v_lshl_add_u32 v14, v14, 23, v30
	v_or3_b32 v29, v29, v14, v24
.LBB560_483:
	s_or_b64 exec, exec, s[10:11]
.LBB560_484:
	s_or_b64 exec, exec, s[8:9]
.LBB560_485:
	s_or_b64 exec, exec, s[2:3]
	s_movk_i32 s2, 0xff
	v_and_b32_sdwa v24, v17, s2 dst_sel:DWORD dst_unused:UNUSED_PAD src0_sel:WORD_1 src1_sel:DWORD
	v_lshrrev_b32_e32 v14, 16, v17
	v_cmp_ne_u16_e32 vcc, 0, v24
	s_and_saveexec_b64 s[2:3], vcc
	s_cbranch_execz .LBB560_491
; %bb.486:
	s_movk_i32 s7, 0x80
	v_cmp_ne_u16_e32 vcc, s7, v24
	v_bfrev_b32_e32 v16, 1
	s_and_saveexec_b64 s[8:9], vcc
	s_cbranch_execz .LBB560_490
; %bb.487:
	v_bfe_u32 v24, v17, 16, 7
	s_movk_i32 s7, 0x7f
	v_cmp_ne_u32_e32 vcc, s7, v24
	v_mov_b32_e32 v16, 0x7f800001
	s_and_saveexec_b64 s[10:11], vcc
	s_cbranch_execz .LBB560_489
; %bb.488:
	v_and_b32_e32 v16, 7, v14
	v_ffbh_u32_e32 v30, v16
	v_min_u32_e32 v33, 32, v30
	v_subrev_u32_e32 v30, 28, v33
	v_lshlrev_b64 v[30:31], v30, v[14:15]
	v_lshrrev_b32_e32 v32, 3, v24
	v_sub_u32_e32 v14, 29, v33
	v_and_b32_e32 v30, 7, v30
	v_cmp_gt_u32_e32 vcc, 8, v24
	v_mov_b32_e32 v24, 24
	v_cndmask_b32_e32 v14, v32, v14, vcc
	v_cndmask_b32_e32 v16, v16, v30, vcc
	v_lshlrev_b32_sdwa v24, v24, v17 dst_sel:DWORD dst_unused:UNUSED_PAD src0_sel:DWORD src1_sel:WORD_1
	v_bfrev_b32_e32 v30, 60
	v_lshlrev_b32_e32 v16, 20, v16
	v_and_b32_e32 v24, 0x80000000, v24
	v_lshl_add_u32 v14, v14, 23, v30
	v_or3_b32 v16, v24, v14, v16
.LBB560_489:
	s_or_b64 exec, exec, s[10:11]
.LBB560_490:
	s_or_b64 exec, exec, s[8:9]
.LBB560_491:
	s_or_b64 exec, exec, s[2:3]
	s_mov_b32 s2, 0xffffff
	v_cmp_lt_u32_e32 vcc, s2, v17
	v_mov_b32_e32 v24, 0
	v_mov_b32_e32 v30, 0
	s_and_saveexec_b64 s[2:3], vcc
	s_cbranch_execz .LBB560_497
; %bb.492:
	v_lshrrev_b32_e32 v14, 24, v17
	s_movk_i32 s7, 0x80
	v_cmp_ne_u32_e32 vcc, s7, v14
	v_bfrev_b32_e32 v30, 1
	s_and_saveexec_b64 s[8:9], vcc
	s_cbranch_execz .LBB560_496
; %bb.493:
	v_bfe_u32 v17, v17, 24, 7
	s_movk_i32 s7, 0x7f
	v_cmp_ne_u32_e32 vcc, s7, v17
	v_mov_b32_e32 v30, 0x7f800001
	s_and_saveexec_b64 s[10:11], vcc
	s_cbranch_execz .LBB560_495
; %bb.494:
	v_and_b32_e32 v32, 7, v14
	v_ffbh_u32_e32 v30, v32
	v_min_u32_e32 v34, 32, v30
	v_subrev_u32_e32 v30, 28, v34
	v_lshlrev_b64 v[30:31], v30, v[14:15]
	v_lshrrev_b32_e32 v33, 3, v17
	v_sub_u32_e32 v31, 29, v34
	v_and_b32_e32 v30, 7, v30
	v_cmp_gt_u32_e32 vcc, 8, v17
	v_cndmask_b32_e32 v17, v33, v31, vcc
	v_cndmask_b32_e32 v30, v32, v30, vcc
	v_lshlrev_b32_e32 v14, 24, v14
	v_bfrev_b32_e32 v31, 60
	v_lshlrev_b32_e32 v30, 20, v30
	v_and_b32_e32 v14, 0x80000000, v14
	v_lshl_add_u32 v17, v17, 23, v31
	v_or3_b32 v30, v14, v17, v30
.LBB560_495:
	s_or_b64 exec, exec, s[10:11]
.LBB560_496:
	s_or_b64 exec, exec, s[8:9]
.LBB560_497:
	s_or_b64 exec, exec, s[2:3]
	v_cvt_pkrtz_f16_f32 v14, v23, v25
	v_cvt_pkrtz_f16_f32 v15, v15, v28
	ds_read_b128 v[32:35], v22 offset:16
	s_waitcnt vmcnt(2)
	v_cmp_ne_u16_sdwa s[8:9], v10, v24 src0_sel:BYTE_0 src1_sel:DWORD
	s_waitcnt lgkmcnt(0)
	v_mfma_f32_16x16x16f16 v[18:21], v[14:15], v[32:33], v[18:21]
	v_cvt_pkrtz_f16_f32 v14, v27, v29
	v_cvt_pkrtz_f16_f32 v15, v16, v30
	s_nop 1
	v_mfma_f32_16x16x16f16 v[14:17], v[14:15], v[34:35], v[18:21]
	s_and_saveexec_b64 s[2:3], s[8:9]
	s_cbranch_execz .LBB560_503
; %bb.498:
	s_movk_i32 s7, 0x80
	v_cmp_ne_u16_sdwa s[10:11], v10, s7 src0_sel:BYTE_0 src1_sel:DWORD
	v_bfrev_b32_e32 v24, 1
	s_and_saveexec_b64 s[8:9], s[10:11]
	s_cbranch_execz .LBB560_502
; %bb.499:
	s_movk_i32 s7, 0x7f
	v_and_b32_e32 v18, 0x7f, v10
	v_cmp_ne_u32_e32 vcc, s7, v18
	v_mov_b32_e32 v24, 0x7f800001
	s_and_saveexec_b64 s[10:11], vcc
	s_cbranch_execz .LBB560_501
; %bb.500:
	v_and_b32_e32 v19, 7, v10
	v_ffbh_u32_e32 v20, v19
	v_min_u32_e32 v24, 32, v20
	v_subrev_u32_e32 v20, 28, v24
	v_lshlrev_b64 v[20:21], v20, v[10:11]
	v_lshrrev_b32_e32 v23, 3, v18
	v_sub_u32_e32 v21, 29, v24
	v_and_b32_e32 v20, 7, v20
	v_cmp_gt_u32_e32 vcc, 8, v18
	v_cndmask_b32_e32 v18, v23, v21, vcc
	v_cndmask_b32_e32 v19, v19, v20, vcc
	v_lshlrev_b32_e32 v20, 24, v10
	v_bfrev_b32_e32 v21, 60
	v_lshlrev_b32_e32 v19, 20, v19
	v_and_b32_e32 v20, 0x80000000, v20
	v_lshl_add_u32 v18, v18, 23, v21
	v_or3_b32 v24, v20, v18, v19
.LBB560_501:
	s_or_b64 exec, exec, s[10:11]
.LBB560_502:
	s_or_b64 exec, exec, s[8:9]
.LBB560_503:
	s_or_b64 exec, exec, s[2:3]
	s_nop 3
	v_lshrrev_b16_e32 v18, 8, v10
	v_cmp_ne_u16_e32 vcc, 0, v18
	v_mov_b32_e32 v19, 0
	v_mov_b32_e32 v20, 0
	s_and_saveexec_b64 s[2:3], vcc
	s_cbranch_execz .LBB560_509
; %bb.504:
	s_movk_i32 s7, 0x80
	v_cmp_ne_u16_e32 vcc, s7, v18
	v_bfrev_b32_e32 v20, 1
	s_and_saveexec_b64 s[8:9], vcc
	s_cbranch_execz .LBB560_508
; %bb.505:
	s_movk_i32 s7, 0x7f
	v_and_b32_e32 v21, 0x7f, v18
	v_cmp_ne_u32_e32 vcc, s7, v21
	v_mov_b32_e32 v20, 0x7f800001
	s_and_saveexec_b64 s[10:11], vcc
	s_cbranch_execz .LBB560_507
; %bb.506:
	v_and_b32_e32 v20, 7, v18
	v_ffbh_u32_e32 v25, v20
	v_min_u32_e32 v25, 32, v25
	v_subrev_u32_e32 v27, 28, v25
	v_lshlrev_b64 v[28:29], v27, v[18:19]
	v_lshrrev_b32_e32 v23, 3, v21
	v_sub_u32_e32 v18, 29, v25
	v_and_b32_e32 v25, 7, v28
	v_cmp_gt_u32_e32 vcc, 8, v21
	v_cndmask_b32_e32 v18, v23, v18, vcc
	v_cndmask_b32_e32 v20, v20, v25, vcc
	v_lshlrev_b32_e32 v21, 16, v10
	v_bfrev_b32_e32 v23, 60
	v_lshlrev_b32_e32 v20, 20, v20
	v_and_b32_e32 v21, 0x80000000, v21
	v_lshl_add_u32 v18, v18, 23, v23
	v_or3_b32 v20, v21, v18, v20
.LBB560_507:
	s_or_b64 exec, exec, s[10:11]
.LBB560_508:
	s_or_b64 exec, exec, s[8:9]
.LBB560_509:
	s_or_b64 exec, exec, s[2:3]
	s_movk_i32 s2, 0xff
	v_and_b32_sdwa v21, v10, s2 dst_sel:DWORD dst_unused:UNUSED_PAD src0_sel:WORD_1 src1_sel:DWORD
	v_lshrrev_b32_e32 v18, 16, v10
	v_cmp_ne_u16_e32 vcc, 0, v21
	s_and_saveexec_b64 s[2:3], vcc
	s_cbranch_execz .LBB560_515
; %bb.510:
	s_movk_i32 s7, 0x80
	v_cmp_ne_u16_e32 vcc, s7, v21
	v_bfrev_b32_e32 v19, 1
	s_and_saveexec_b64 s[8:9], vcc
	s_cbranch_execz .LBB560_514
; %bb.511:
	v_bfe_u32 v21, v10, 16, 7
	s_movk_i32 s7, 0x7f
	v_cmp_ne_u32_e32 vcc, s7, v21
	v_mov_b32_e32 v19, 0x7f800001
	s_and_saveexec_b64 s[10:11], vcc
	s_cbranch_execz .LBB560_513
; %bb.512:
	v_and_b32_e32 v23, 7, v18
	v_ffbh_u32_e32 v19, v23
	v_min_u32_e32 v27, 32, v19
	v_subrev_u32_e32 v19, 28, v27
	v_lshlrev_b64 v[18:19], v19, v[18:19]
	v_lshrrev_b32_e32 v25, 3, v21
	v_sub_u32_e32 v19, 29, v27
	v_and_b32_e32 v18, 7, v18
	v_cmp_gt_u32_e32 vcc, 8, v21
	v_mov_b32_e32 v21, 24
	v_cndmask_b32_e32 v19, v25, v19, vcc
	v_cndmask_b32_e32 v18, v23, v18, vcc
	v_lshlrev_b32_sdwa v21, v21, v10 dst_sel:DWORD dst_unused:UNUSED_PAD src0_sel:DWORD src1_sel:WORD_1
	v_bfrev_b32_e32 v23, 60
	v_lshlrev_b32_e32 v18, 20, v18
	v_and_b32_e32 v21, 0x80000000, v21
	v_lshl_add_u32 v19, v19, 23, v23
	v_or3_b32 v19, v21, v19, v18
.LBB560_513:
	s_or_b64 exec, exec, s[10:11]
.LBB560_514:
	s_or_b64 exec, exec, s[8:9]
.LBB560_515:
	s_or_b64 exec, exec, s[2:3]
	s_mov_b32 s2, 0xffffff
	v_cmp_lt_u32_e32 vcc, s2, v10
	v_mov_b32_e32 v21, 0
	v_mov_b32_e32 v23, 0
	s_and_saveexec_b64 s[2:3], vcc
	s_cbranch_execz .LBB560_521
; %bb.516:
	v_lshrrev_b32_e32 v18, 24, v10
	s_movk_i32 s7, 0x80
	v_cmp_ne_u32_e32 vcc, s7, v18
	v_bfrev_b32_e32 v23, 1
	s_and_saveexec_b64 s[8:9], vcc
	s_cbranch_execz .LBB560_520
; %bb.517:
	v_bfe_u32 v10, v10, 24, 7
	s_movk_i32 s7, 0x7f
	v_cmp_ne_u32_e32 vcc, s7, v10
	v_mov_b32_e32 v23, 0x7f800001
	s_and_saveexec_b64 s[10:11], vcc
	s_cbranch_execz .LBB560_519
; %bb.518:
	v_and_b32_e32 v23, 7, v18
	v_ffbh_u32_e32 v27, v23
	v_min_u32_e32 v27, 32, v27
	v_subrev_u32_e32 v28, 28, v27
	v_lshlrev_b64 v[28:29], v28, v[18:19]
	v_lshrrev_b32_e32 v25, 3, v10
	v_sub_u32_e32 v27, 29, v27
	v_and_b32_e32 v28, 7, v28
	v_cmp_gt_u32_e32 vcc, 8, v10
	v_cndmask_b32_e32 v10, v25, v27, vcc
	v_cndmask_b32_e32 v23, v23, v28, vcc
	v_lshlrev_b32_e32 v18, 24, v18
	v_bfrev_b32_e32 v25, 60
	v_lshlrev_b32_e32 v23, 20, v23
	v_and_b32_e32 v18, 0x80000000, v18
	v_lshl_add_u32 v10, v10, 23, v25
	v_or3_b32 v23, v18, v10, v23
.LBB560_519:
	s_or_b64 exec, exec, s[10:11]
.LBB560_520:
	s_or_b64 exec, exec, s[8:9]
.LBB560_521:
	s_or_b64 exec, exec, s[2:3]
	v_cmp_ne_u16_sdwa s[8:9], v11, v21 src0_sel:BYTE_0 src1_sel:DWORD
	s_and_saveexec_b64 s[2:3], s[8:9]
	s_cbranch_execz .LBB560_527
; %bb.522:
	s_movk_i32 s7, 0x80
	v_cmp_ne_u16_sdwa s[10:11], v11, s7 src0_sel:BYTE_0 src1_sel:DWORD
	v_bfrev_b32_e32 v21, 1
	s_and_saveexec_b64 s[8:9], s[10:11]
	s_cbranch_execz .LBB560_526
; %bb.523:
	s_movk_i32 s7, 0x7f
	v_and_b32_e32 v10, 0x7f, v11
	v_cmp_ne_u32_e32 vcc, s7, v10
	v_mov_b32_e32 v21, 0x7f800001
	s_and_saveexec_b64 s[10:11], vcc
	s_cbranch_execz .LBB560_525
; %bb.524:
	v_and_b32_e32 v21, 7, v11
	v_ffbh_u32_e32 v27, v21
	v_min_u32_e32 v27, 32, v27
	v_mov_b32_e32 v18, v11
	v_subrev_u32_e32 v28, 28, v27
	v_lshlrev_b64 v[28:29], v28, v[18:19]
	v_lshrrev_b32_e32 v25, 3, v10
	v_sub_u32_e32 v18, 29, v27
	v_and_b32_e32 v27, 7, v28
	v_cmp_gt_u32_e32 vcc, 8, v10
	v_cndmask_b32_e32 v10, v25, v18, vcc
	v_cndmask_b32_e32 v18, v21, v27, vcc
	v_lshlrev_b32_e32 v21, 24, v11
	v_bfrev_b32_e32 v25, 60
	v_lshlrev_b32_e32 v18, 20, v18
	v_and_b32_e32 v21, 0x80000000, v21
	v_lshl_add_u32 v10, v10, 23, v25
	v_or3_b32 v21, v21, v10, v18
.LBB560_525:
	s_or_b64 exec, exec, s[10:11]
.LBB560_526:
	s_or_b64 exec, exec, s[8:9]
.LBB560_527:
	s_or_b64 exec, exec, s[2:3]
	v_lshrrev_b16_e32 v10, 8, v11
	v_cmp_ne_u16_e32 vcc, 0, v10
	v_mov_b32_e32 v25, 0
	v_mov_b32_e32 v27, 0
	s_and_saveexec_b64 s[2:3], vcc
	s_cbranch_execz .LBB560_533
; %bb.528:
	s_movk_i32 s7, 0x80
	v_cmp_ne_u16_e32 vcc, s7, v10
	v_bfrev_b32_e32 v27, 1
	s_and_saveexec_b64 s[8:9], vcc
	s_cbranch_execz .LBB560_532
; %bb.529:
	s_movk_i32 s7, 0x7f
	v_and_b32_e32 v18, 0x7f, v10
	v_cmp_ne_u32_e32 vcc, s7, v18
	v_mov_b32_e32 v27, 0x7f800001
	s_and_saveexec_b64 s[10:11], vcc
	s_cbranch_execz .LBB560_531
; %bb.530:
	v_and_b32_e32 v27, 7, v10
	v_ffbh_u32_e32 v28, v27
	v_min_u32_e32 v31, 32, v28
	v_subrev_u32_e32 v28, 28, v31
	v_lshlrev_b64 v[28:29], v28, v[10:11]
	v_lshrrev_b32_e32 v30, 3, v18
	v_sub_u32_e32 v10, 29, v31
	v_and_b32_e32 v28, 7, v28
	v_cmp_gt_u32_e32 vcc, 8, v18
	v_cndmask_b32_e32 v10, v30, v10, vcc
	v_cndmask_b32_e32 v18, v27, v28, vcc
	v_lshlrev_b32_e32 v27, 16, v11
	v_bfrev_b32_e32 v28, 60
	v_lshlrev_b32_e32 v18, 20, v18
	v_and_b32_e32 v27, 0x80000000, v27
	v_lshl_add_u32 v10, v10, 23, v28
	v_or3_b32 v27, v27, v10, v18
.LBB560_531:
	s_or_b64 exec, exec, s[10:11]
.LBB560_532:
	s_or_b64 exec, exec, s[8:9]
.LBB560_533:
	s_or_b64 exec, exec, s[2:3]
	s_movk_i32 s2, 0xff
	v_and_b32_sdwa v18, v11, s2 dst_sel:DWORD dst_unused:UNUSED_PAD src0_sel:WORD_1 src1_sel:DWORD
	v_lshrrev_b32_e32 v10, 16, v11
	v_cmp_ne_u16_e32 vcc, 0, v18
	s_and_saveexec_b64 s[2:3], vcc
	s_cbranch_execz .LBB560_539
; %bb.534:
	s_movk_i32 s7, 0x80
	v_cmp_ne_u16_e32 vcc, s7, v18
	v_bfrev_b32_e32 v25, 1
	s_and_saveexec_b64 s[8:9], vcc
	s_cbranch_execz .LBB560_538
; %bb.535:
	v_bfe_u32 v18, v11, 16, 7
	s_movk_i32 s7, 0x7f
	v_cmp_ne_u32_e32 vcc, s7, v18
	v_mov_b32_e32 v25, 0x7f800001
	s_and_saveexec_b64 s[10:11], vcc
	s_cbranch_execz .LBB560_537
; %bb.536:
	v_and_b32_e32 v25, 7, v10
	v_ffbh_u32_e32 v28, v25
	v_min_u32_e32 v31, 32, v28
	v_subrev_u32_e32 v28, 28, v31
	v_lshlrev_b64 v[28:29], v28, v[10:11]
	v_and_b32_e32 v28, 7, v28
	v_cmp_gt_u32_e32 vcc, 8, v18
	v_lshrrev_b32_e32 v30, 3, v18
	v_sub_u32_e32 v10, 29, v31
	v_cndmask_b32_e32 v18, v25, v28, vcc
	v_mov_b32_e32 v25, 24
	v_cndmask_b32_e32 v10, v30, v10, vcc
	v_lshlrev_b32_sdwa v25, v25, v11 dst_sel:DWORD dst_unused:UNUSED_PAD src0_sel:DWORD src1_sel:WORD_1
	v_bfrev_b32_e32 v28, 60
	v_lshlrev_b32_e32 v18, 20, v18
	v_and_b32_e32 v25, 0x80000000, v25
	v_lshl_add_u32 v10, v10, 23, v28
	v_or3_b32 v25, v25, v10, v18
.LBB560_537:
	s_or_b64 exec, exec, s[10:11]
.LBB560_538:
	s_or_b64 exec, exec, s[8:9]
.LBB560_539:
	s_or_b64 exec, exec, s[2:3]
	s_mov_b32 s2, 0xffffff
	v_cmp_lt_u32_e32 vcc, s2, v11
	v_mov_b32_e32 v18, 0
	v_mov_b32_e32 v28, 0
	s_and_saveexec_b64 s[2:3], vcc
	s_cbranch_execz .LBB560_545
; %bb.540:
	v_lshrrev_b32_e32 v10, 24, v11
	s_movk_i32 s7, 0x80
	v_cmp_ne_u32_e32 vcc, s7, v10
	v_bfrev_b32_e32 v28, 1
	s_and_saveexec_b64 s[8:9], vcc
	s_cbranch_execz .LBB560_544
; %bb.541:
	v_bfe_u32 v11, v11, 24, 7
	s_movk_i32 s7, 0x7f
	v_cmp_ne_u32_e32 vcc, s7, v11
	v_mov_b32_e32 v28, 0x7f800001
	s_and_saveexec_b64 s[10:11], vcc
	s_cbranch_execz .LBB560_543
; %bb.542:
	v_and_b32_e32 v30, 7, v10
	v_ffbh_u32_e32 v28, v30
	v_min_u32_e32 v32, 32, v28
	v_subrev_u32_e32 v28, 28, v32
	v_lshlrev_b64 v[28:29], v28, v[10:11]
	v_lshrrev_b32_e32 v31, 3, v11
	v_sub_u32_e32 v29, 29, v32
	v_and_b32_e32 v28, 7, v28
	v_cmp_gt_u32_e32 vcc, 8, v11
	v_cndmask_b32_e32 v11, v31, v29, vcc
	v_cndmask_b32_e32 v28, v30, v28, vcc
	v_lshlrev_b32_e32 v10, 24, v10
	v_bfrev_b32_e32 v29, 60
	v_lshlrev_b32_e32 v28, 20, v28
	v_and_b32_e32 v10, 0x80000000, v10
	v_lshl_add_u32 v11, v11, 23, v29
	v_or3_b32 v28, v10, v11, v28
.LBB560_543:
	s_or_b64 exec, exec, s[10:11]
.LBB560_544:
	s_or_b64 exec, exec, s[8:9]
.LBB560_545:
	s_or_b64 exec, exec, s[2:3]
	v_cvt_pkrtz_f16_f32 v10, v24, v20
	v_cvt_pkrtz_f16_f32 v11, v19, v23
	ds_read_b128 v[30:33], v22 offset:2048
	v_cmp_ne_u16_sdwa s[8:9], v12, v18 src0_sel:BYTE_0 src1_sel:DWORD
	s_waitcnt lgkmcnt(0)
	v_mfma_f32_16x16x16f16 v[14:17], v[10:11], v[30:31], v[14:17]
	v_cvt_pkrtz_f16_f32 v10, v21, v27
	v_cvt_pkrtz_f16_f32 v11, v25, v28
	s_nop 1
	v_mfma_f32_16x16x16f16 v[14:17], v[10:11], v[32:33], v[14:17]
	s_and_saveexec_b64 s[2:3], s[8:9]
	s_cbranch_execz .LBB560_551
; %bb.546:
	s_movk_i32 s7, 0x80
	v_cmp_ne_u16_sdwa s[10:11], v12, s7 src0_sel:BYTE_0 src1_sel:DWORD
	v_bfrev_b32_e32 v18, 1
	s_and_saveexec_b64 s[8:9], s[10:11]
	s_cbranch_execz .LBB560_550
; %bb.547:
	s_movk_i32 s7, 0x7f
	v_and_b32_e32 v10, 0x7f, v12
	v_cmp_ne_u32_e32 vcc, s7, v10
	v_mov_b32_e32 v18, 0x7f800001
	s_and_saveexec_b64 s[10:11], vcc
	s_cbranch_execz .LBB560_549
; %bb.548:
	v_and_b32_e32 v11, 7, v12
	v_ffbh_u32_e32 v18, v11
	v_min_u32_e32 v21, 32, v18
	v_subrev_u32_e32 v18, 28, v21
	v_lshlrev_b64 v[18:19], v18, v[12:13]
	v_lshrrev_b32_e32 v20, 3, v10
	v_sub_u32_e32 v19, 29, v21
	v_and_b32_e32 v18, 7, v18
	v_cmp_gt_u32_e32 vcc, 8, v10
	v_cndmask_b32_e32 v10, v20, v19, vcc
	v_cndmask_b32_e32 v11, v11, v18, vcc
	v_lshlrev_b32_e32 v18, 24, v12
	v_bfrev_b32_e32 v19, 60
	v_lshlrev_b32_e32 v11, 20, v11
	v_and_b32_e32 v18, 0x80000000, v18
	v_lshl_add_u32 v10, v10, 23, v19
	v_or3_b32 v18, v18, v10, v11
.LBB560_549:
	s_or_b64 exec, exec, s[10:11]
.LBB560_550:
	s_or_b64 exec, exec, s[8:9]
.LBB560_551:
	s_or_b64 exec, exec, s[2:3]
	v_lshrrev_b16_e32 v10, 8, v12
	v_cmp_ne_u16_e32 vcc, 0, v10
	v_mov_b32_e32 v11, 0
	v_mov_b32_e32 v20, 0
	s_and_saveexec_b64 s[2:3], vcc
	s_cbranch_execz .LBB560_557
; %bb.552:
	s_movk_i32 s7, 0x80
	v_cmp_ne_u16_e32 vcc, s7, v10
	v_bfrev_b32_e32 v20, 1
	s_and_saveexec_b64 s[8:9], vcc
	s_cbranch_execz .LBB560_556
; %bb.553:
	s_movk_i32 s7, 0x7f
	v_and_b32_e32 v19, 0x7f, v10
	v_cmp_ne_u32_e32 vcc, s7, v19
	v_mov_b32_e32 v20, 0x7f800001
	s_and_saveexec_b64 s[10:11], vcc
	s_cbranch_execz .LBB560_555
; %bb.554:
	v_and_b32_e32 v23, 7, v10
	v_ffbh_u32_e32 v20, v23
	v_min_u32_e32 v25, 32, v20
	v_subrev_u32_e32 v20, 28, v25
	v_lshlrev_b64 v[20:21], v20, v[10:11]
	v_lshrrev_b32_e32 v24, 3, v19
	v_sub_u32_e32 v10, 29, v25
	v_and_b32_e32 v20, 7, v20
	v_cmp_gt_u32_e32 vcc, 8, v19
	v_cndmask_b32_e32 v10, v24, v10, vcc
	v_cndmask_b32_e32 v19, v23, v20, vcc
	v_lshlrev_b32_e32 v20, 16, v12
	v_bfrev_b32_e32 v21, 60
	v_lshlrev_b32_e32 v19, 20, v19
	v_and_b32_e32 v20, 0x80000000, v20
	v_lshl_add_u32 v10, v10, 23, v21
	v_or3_b32 v20, v20, v10, v19
.LBB560_555:
	s_or_b64 exec, exec, s[10:11]
.LBB560_556:
	s_or_b64 exec, exec, s[8:9]
.LBB560_557:
	s_or_b64 exec, exec, s[2:3]
	s_movk_i32 s2, 0xff
	v_and_b32_sdwa v19, v12, s2 dst_sel:DWORD dst_unused:UNUSED_PAD src0_sel:WORD_1 src1_sel:DWORD
	v_lshrrev_b32_e32 v10, 16, v12
	v_cmp_ne_u16_e32 vcc, 0, v19
	s_and_saveexec_b64 s[2:3], vcc
	s_cbranch_execz .LBB560_563
; %bb.558:
	s_movk_i32 s7, 0x80
	v_cmp_ne_u16_e32 vcc, s7, v19
	v_bfrev_b32_e32 v11, 1
	s_and_saveexec_b64 s[8:9], vcc
	s_cbranch_execz .LBB560_562
; %bb.559:
	v_bfe_u32 v19, v12, 16, 7
	s_movk_i32 s7, 0x7f
	v_cmp_ne_u32_e32 vcc, s7, v19
	v_mov_b32_e32 v11, 0x7f800001
	s_and_saveexec_b64 s[10:11], vcc
	s_cbranch_execz .LBB560_561
; %bb.560:
	v_and_b32_e32 v21, 7, v10
	v_ffbh_u32_e32 v11, v21
	v_min_u32_e32 v24, 32, v11
	v_subrev_u32_e32 v11, 28, v24
	v_lshlrev_b64 v[10:11], v11, v[10:11]
	v_lshrrev_b32_e32 v23, 3, v19
	v_sub_u32_e32 v11, 29, v24
	v_and_b32_e32 v10, 7, v10
	v_cmp_gt_u32_e32 vcc, 8, v19
	v_mov_b32_e32 v19, 24
	v_cndmask_b32_e32 v11, v23, v11, vcc
	v_cndmask_b32_e32 v10, v21, v10, vcc
	v_lshlrev_b32_sdwa v19, v19, v12 dst_sel:DWORD dst_unused:UNUSED_PAD src0_sel:DWORD src1_sel:WORD_1
	v_bfrev_b32_e32 v21, 60
	v_lshlrev_b32_e32 v10, 20, v10
	v_and_b32_e32 v19, 0x80000000, v19
	v_lshl_add_u32 v11, v11, 23, v21
	v_or3_b32 v11, v19, v11, v10
.LBB560_561:
	s_or_b64 exec, exec, s[10:11]
.LBB560_562:
	s_or_b64 exec, exec, s[8:9]
.LBB560_563:
	s_or_b64 exec, exec, s[2:3]
	s_mov_b32 s2, 0xffffff
	v_cmp_lt_u32_e32 vcc, s2, v12
	v_mov_b32_e32 v21, 0
	v_mov_b32_e32 v23, 0
	s_and_saveexec_b64 s[2:3], vcc
	s_cbranch_execz .LBB560_569
; %bb.564:
	v_lshrrev_b32_e32 v10, 24, v12
	s_movk_i32 s7, 0x80
	v_cmp_ne_u32_e32 vcc, s7, v10
	v_bfrev_b32_e32 v23, 1
	s_and_saveexec_b64 s[8:9], vcc
	s_cbranch_execz .LBB560_568
; %bb.565:
	v_bfe_u32 v12, v12, 24, 7
	s_movk_i32 s7, 0x7f
	v_cmp_ne_u32_e32 vcc, s7, v12
	v_mov_b32_e32 v23, 0x7f800001
	s_and_saveexec_b64 s[10:11], vcc
	s_cbranch_execz .LBB560_567
; %bb.566:
	v_and_b32_e32 v19, 7, v10
	v_ffbh_u32_e32 v24, v19
	v_min_u32_e32 v27, 32, v24
	v_subrev_u32_e32 v24, 28, v27
	v_lshlrev_b64 v[24:25], v24, v[10:11]
	v_lshrrev_b32_e32 v23, 3, v12
	v_sub_u32_e32 v25, 29, v27
	v_and_b32_e32 v24, 7, v24
	v_cmp_gt_u32_e32 vcc, 8, v12
	v_cndmask_b32_e32 v12, v23, v25, vcc
	v_cndmask_b32_e32 v19, v19, v24, vcc
	v_lshlrev_b32_e32 v10, 24, v10
	v_bfrev_b32_e32 v23, 60
	v_lshlrev_b32_e32 v19, 20, v19
	v_and_b32_e32 v10, 0x80000000, v10
	v_lshl_add_u32 v12, v12, 23, v23
	v_or3_b32 v23, v10, v12, v19
.LBB560_567:
	s_or_b64 exec, exec, s[10:11]
.LBB560_568:
	s_or_b64 exec, exec, s[8:9]
.LBB560_569:
	s_or_b64 exec, exec, s[2:3]
	v_cmp_ne_u16_sdwa s[8:9], v13, v21 src0_sel:BYTE_0 src1_sel:DWORD
	s_and_saveexec_b64 s[2:3], s[8:9]
	s_cbranch_execz .LBB560_575
; %bb.570:
	s_movk_i32 s7, 0x80
	v_cmp_ne_u16_sdwa s[10:11], v13, s7 src0_sel:BYTE_0 src1_sel:DWORD
	v_bfrev_b32_e32 v21, 1
	s_and_saveexec_b64 s[8:9], s[10:11]
	s_cbranch_execz .LBB560_574
; %bb.571:
	s_movk_i32 s7, 0x7f
	v_and_b32_e32 v10, 0x7f, v13
	v_cmp_ne_u32_e32 vcc, s7, v10
	v_mov_b32_e32 v21, 0x7f800001
	s_and_saveexec_b64 s[10:11], vcc
	s_cbranch_execz .LBB560_573
; %bb.572:
	v_and_b32_e32 v19, 7, v13
	v_ffbh_u32_e32 v24, v19
	v_min_u32_e32 v27, 32, v24
	v_mov_b32_e32 v12, v13
	v_subrev_u32_e32 v24, 28, v27
	v_lshlrev_b64 v[24:25], v24, v[12:13]
	v_lshrrev_b32_e32 v21, 3, v10
	v_sub_u32_e32 v12, 29, v27
	v_and_b32_e32 v24, 7, v24
	v_cmp_gt_u32_e32 vcc, 8, v10
	v_cndmask_b32_e32 v10, v21, v12, vcc
	v_cndmask_b32_e32 v12, v19, v24, vcc
	v_lshlrev_b32_e32 v19, 24, v13
	v_bfrev_b32_e32 v21, 60
	v_lshlrev_b32_e32 v12, 20, v12
	v_and_b32_e32 v19, 0x80000000, v19
	v_lshl_add_u32 v10, v10, 23, v21
	v_or3_b32 v21, v19, v10, v12
.LBB560_573:
	s_or_b64 exec, exec, s[10:11]
.LBB560_574:
	s_or_b64 exec, exec, s[8:9]
.LBB560_575:
	s_or_b64 exec, exec, s[2:3]
	v_lshrrev_b16_e32 v10, 8, v13
	v_cmp_ne_u16_e32 vcc, 0, v10
	v_mov_b32_e32 v12, 0
	v_mov_b32_e32 v24, 0
	s_and_saveexec_b64 s[2:3], vcc
	s_cbranch_execz .LBB560_581
; %bb.576:
	s_movk_i32 s7, 0x80
	v_cmp_ne_u16_e32 vcc, s7, v10
	v_bfrev_b32_e32 v24, 1
	s_and_saveexec_b64 s[8:9], vcc
	s_cbranch_execz .LBB560_580
; %bb.577:
	s_movk_i32 s7, 0x7f
	v_and_b32_e32 v19, 0x7f, v10
	v_cmp_ne_u32_e32 vcc, s7, v19
	v_mov_b32_e32 v24, 0x7f800001
	s_and_saveexec_b64 s[10:11], vcc
	s_cbranch_execz .LBB560_579
; %bb.578:
	v_and_b32_e32 v27, 7, v10
	v_ffbh_u32_e32 v24, v27
	v_min_u32_e32 v29, 32, v24
	v_subrev_u32_e32 v24, 28, v29
	v_lshlrev_b64 v[24:25], v24, v[10:11]
	v_lshrrev_b32_e32 v28, 3, v19
	v_sub_u32_e32 v10, 29, v29
	v_and_b32_e32 v24, 7, v24
	v_cmp_gt_u32_e32 vcc, 8, v19
	v_cndmask_b32_e32 v10, v28, v10, vcc
	v_cndmask_b32_e32 v19, v27, v24, vcc
	v_lshlrev_b32_e32 v24, 16, v13
	v_bfrev_b32_e32 v25, 60
	v_lshlrev_b32_e32 v19, 20, v19
	v_and_b32_e32 v24, 0x80000000, v24
	v_lshl_add_u32 v10, v10, 23, v25
	v_or3_b32 v24, v24, v10, v19
.LBB560_579:
	s_or_b64 exec, exec, s[10:11]
.LBB560_580:
	s_or_b64 exec, exec, s[8:9]
.LBB560_581:
	s_or_b64 exec, exec, s[2:3]
	s_movk_i32 s2, 0xff
	v_and_b32_sdwa v19, v13, s2 dst_sel:DWORD dst_unused:UNUSED_PAD src0_sel:WORD_1 src1_sel:DWORD
	v_lshrrev_b32_e32 v10, 16, v13
	v_cmp_ne_u16_e32 vcc, 0, v19
	s_and_saveexec_b64 s[2:3], vcc
	s_cbranch_execz .LBB560_587
; %bb.582:
	s_movk_i32 s7, 0x80
	v_cmp_ne_u16_e32 vcc, s7, v19
	v_bfrev_b32_e32 v12, 1
	s_and_saveexec_b64 s[8:9], vcc
	s_cbranch_execz .LBB560_586
; %bb.583:
	v_bfe_u32 v19, v13, 16, 7
	s_movk_i32 s7, 0x7f
	v_cmp_ne_u32_e32 vcc, s7, v19
	v_mov_b32_e32 v12, 0x7f800001
	s_and_saveexec_b64 s[10:11], vcc
	s_cbranch_execz .LBB560_585
; %bb.584:
	v_and_b32_e32 v12, 7, v10
	v_ffbh_u32_e32 v27, v12
	v_min_u32_e32 v27, 32, v27
	v_subrev_u32_e32 v28, 28, v27
	v_lshlrev_b64 v[28:29], v28, v[10:11]
	v_lshrrev_b32_e32 v25, 3, v19
	v_sub_u32_e32 v10, 29, v27
	v_and_b32_e32 v27, 7, v28
	v_cmp_gt_u32_e32 vcc, 8, v19
	v_mov_b32_e32 v19, 24
	v_cndmask_b32_e32 v10, v25, v10, vcc
	v_cndmask_b32_e32 v12, v12, v27, vcc
	v_lshlrev_b32_sdwa v19, v19, v13 dst_sel:DWORD dst_unused:UNUSED_PAD src0_sel:DWORD src1_sel:WORD_1
	v_bfrev_b32_e32 v25, 60
	v_lshlrev_b32_e32 v12, 20, v12
	v_and_b32_e32 v19, 0x80000000, v19
	v_lshl_add_u32 v10, v10, 23, v25
	v_or3_b32 v12, v19, v10, v12
.LBB560_585:
	s_or_b64 exec, exec, s[10:11]
.LBB560_586:
	s_or_b64 exec, exec, s[8:9]
.LBB560_587:
	s_or_b64 exec, exec, s[2:3]
	s_mov_b32 s2, 0xffffff
	v_cmp_lt_u32_e32 vcc, s2, v13
	v_mov_b32_e32 v19, 0
	v_mov_b32_e32 v25, 0
	s_and_saveexec_b64 s[2:3], vcc
	s_cbranch_execz .LBB560_593
; %bb.588:
	v_lshrrev_b32_e32 v10, 24, v13
	s_movk_i32 s7, 0x80
	v_cmp_ne_u32_e32 vcc, s7, v10
	v_bfrev_b32_e32 v25, 1
	s_and_saveexec_b64 s[8:9], vcc
	s_cbranch_execz .LBB560_592
; %bb.589:
	v_bfe_u32 v13, v13, 24, 7
	s_movk_i32 s7, 0x7f
	v_cmp_ne_u32_e32 vcc, s7, v13
	v_mov_b32_e32 v25, 0x7f800001
	s_and_saveexec_b64 s[10:11], vcc
	s_cbranch_execz .LBB560_591
; %bb.590:
	v_and_b32_e32 v25, 7, v10
	v_ffbh_u32_e32 v28, v25
	v_min_u32_e32 v30, 32, v28
	v_subrev_u32_e32 v28, 28, v30
	v_lshlrev_b64 v[28:29], v28, v[10:11]
	v_lshrrev_b32_e32 v27, 3, v13
	v_sub_u32_e32 v29, 29, v30
	v_and_b32_e32 v28, 7, v28
	v_cmp_gt_u32_e32 vcc, 8, v13
	v_cndmask_b32_e32 v13, v27, v29, vcc
	v_cndmask_b32_e32 v25, v25, v28, vcc
	v_lshlrev_b32_e32 v10, 24, v10
	v_bfrev_b32_e32 v27, 60
	v_lshlrev_b32_e32 v25, 20, v25
	v_and_b32_e32 v10, 0x80000000, v10
	v_lshl_add_u32 v13, v13, 23, v27
	v_or3_b32 v25, v10, v13, v25
.LBB560_591:
	s_or_b64 exec, exec, s[10:11]
.LBB560_592:
	s_or_b64 exec, exec, s[8:9]
.LBB560_593:
	s_or_b64 exec, exec, s[2:3]
	v_cvt_pkrtz_f16_f32 v10, v18, v20
	v_cvt_pkrtz_f16_f32 v11, v11, v23
	ds_read_b128 v[28:31], v22 offset:2064
	s_waitcnt vmcnt(1)
	v_cmp_ne_u16_sdwa s[8:9], v6, v19 src0_sel:BYTE_0 src1_sel:DWORD
	s_waitcnt lgkmcnt(0)
	v_mfma_f32_16x16x16f16 v[14:17], v[10:11], v[28:29], v[14:17]
	v_cvt_pkrtz_f16_f32 v10, v21, v24
	v_cvt_pkrtz_f16_f32 v11, v12, v25
	s_nop 1
	v_mfma_f32_16x16x16f16 v[10:13], v[10:11], v[30:31], v[14:17]
	s_and_saveexec_b64 s[2:3], s[8:9]
	s_cbranch_execz .LBB560_599
; %bb.594:
	s_movk_i32 s7, 0x80
	v_cmp_ne_u16_sdwa s[10:11], v6, s7 src0_sel:BYTE_0 src1_sel:DWORD
	v_bfrev_b32_e32 v19, 1
	s_and_saveexec_b64 s[8:9], s[10:11]
	s_cbranch_execz .LBB560_598
; %bb.595:
	s_movk_i32 s7, 0x7f
	v_and_b32_e32 v14, 0x7f, v6
	v_cmp_ne_u32_e32 vcc, s7, v14
	v_mov_b32_e32 v19, 0x7f800001
	s_and_saveexec_b64 s[10:11], vcc
	s_cbranch_execz .LBB560_597
; %bb.596:
	v_and_b32_e32 v15, 7, v6
	v_ffbh_u32_e32 v16, v15
	v_min_u32_e32 v19, 32, v16
	v_subrev_u32_e32 v16, 28, v19
	v_lshlrev_b64 v[16:17], v16, v[6:7]
	v_lshrrev_b32_e32 v18, 3, v14
	v_sub_u32_e32 v17, 29, v19
	v_and_b32_e32 v16, 7, v16
	v_cmp_gt_u32_e32 vcc, 8, v14
	v_cndmask_b32_e32 v14, v18, v17, vcc
	v_cndmask_b32_e32 v15, v15, v16, vcc
	v_lshlrev_b32_e32 v16, 24, v6
	v_bfrev_b32_e32 v17, 60
	v_lshlrev_b32_e32 v15, 20, v15
	v_and_b32_e32 v16, 0x80000000, v16
	v_lshl_add_u32 v14, v14, 23, v17
	v_or3_b32 v19, v16, v14, v15
.LBB560_597:
	s_or_b64 exec, exec, s[10:11]
.LBB560_598:
	s_or_b64 exec, exec, s[8:9]
.LBB560_599:
	s_or_b64 exec, exec, s[2:3]
	s_nop 3
	v_lshrrev_b16_e32 v14, 8, v6
	v_cmp_ne_u16_e32 vcc, 0, v14
	v_mov_b32_e32 v15, 0
	v_mov_b32_e32 v16, 0
	s_and_saveexec_b64 s[2:3], vcc
	s_cbranch_execz .LBB560_605
; %bb.600:
	s_movk_i32 s7, 0x80
	v_cmp_ne_u16_e32 vcc, s7, v14
	v_bfrev_b32_e32 v16, 1
	s_and_saveexec_b64 s[8:9], vcc
	s_cbranch_execz .LBB560_604
; %bb.601:
	s_movk_i32 s7, 0x7f
	v_and_b32_e32 v17, 0x7f, v14
	v_cmp_ne_u32_e32 vcc, s7, v17
	v_mov_b32_e32 v16, 0x7f800001
	s_and_saveexec_b64 s[10:11], vcc
	s_cbranch_execz .LBB560_603
; %bb.602:
	v_and_b32_e32 v16, 7, v14
	v_ffbh_u32_e32 v20, v16
	v_min_u32_e32 v23, 32, v20
	v_subrev_u32_e32 v20, 28, v23
	v_lshlrev_b64 v[20:21], v20, v[14:15]
	v_lshrrev_b32_e32 v18, 3, v17
	v_sub_u32_e32 v14, 29, v23
	v_and_b32_e32 v20, 7, v20
	v_cmp_gt_u32_e32 vcc, 8, v17
	v_cndmask_b32_e32 v14, v18, v14, vcc
	v_cndmask_b32_e32 v16, v16, v20, vcc
	v_lshlrev_b32_e32 v17, 16, v6
	v_bfrev_b32_e32 v18, 60
	v_lshlrev_b32_e32 v16, 20, v16
	v_and_b32_e32 v17, 0x80000000, v17
	v_lshl_add_u32 v14, v14, 23, v18
	v_or3_b32 v16, v17, v14, v16
.LBB560_603:
	s_or_b64 exec, exec, s[10:11]
.LBB560_604:
	s_or_b64 exec, exec, s[8:9]
.LBB560_605:
	s_or_b64 exec, exec, s[2:3]
	s_movk_i32 s2, 0xff
	v_and_b32_sdwa v17, v6, s2 dst_sel:DWORD dst_unused:UNUSED_PAD src0_sel:WORD_1 src1_sel:DWORD
	v_lshrrev_b32_e32 v14, 16, v6
	v_cmp_ne_u16_e32 vcc, 0, v17
	s_and_saveexec_b64 s[2:3], vcc
	s_cbranch_execz .LBB560_611
; %bb.606:
	s_movk_i32 s7, 0x80
	v_cmp_ne_u16_e32 vcc, s7, v17
	v_bfrev_b32_e32 v15, 1
	s_and_saveexec_b64 s[8:9], vcc
	s_cbranch_execz .LBB560_610
; %bb.607:
	v_bfe_u32 v17, v6, 16, 7
	s_movk_i32 s7, 0x7f
	v_cmp_ne_u32_e32 vcc, s7, v17
	v_mov_b32_e32 v15, 0x7f800001
	s_and_saveexec_b64 s[10:11], vcc
	s_cbranch_execz .LBB560_609
; %bb.608:
	v_and_b32_e32 v18, 7, v14
	v_ffbh_u32_e32 v15, v18
	v_min_u32_e32 v21, 32, v15
	v_subrev_u32_e32 v15, 28, v21
	v_lshlrev_b64 v[14:15], v15, v[14:15]
	v_lshrrev_b32_e32 v20, 3, v17
	v_sub_u32_e32 v15, 29, v21
	v_and_b32_e32 v14, 7, v14
	v_cmp_gt_u32_e32 vcc, 8, v17
	v_mov_b32_e32 v17, 24
	v_cndmask_b32_e32 v15, v20, v15, vcc
	v_cndmask_b32_e32 v14, v18, v14, vcc
	v_lshlrev_b32_sdwa v17, v17, v6 dst_sel:DWORD dst_unused:UNUSED_PAD src0_sel:DWORD src1_sel:WORD_1
	v_bfrev_b32_e32 v18, 60
	v_lshlrev_b32_e32 v14, 20, v14
	v_and_b32_e32 v17, 0x80000000, v17
	v_lshl_add_u32 v15, v15, 23, v18
	v_or3_b32 v15, v17, v15, v14
.LBB560_609:
	s_or_b64 exec, exec, s[10:11]
.LBB560_610:
	s_or_b64 exec, exec, s[8:9]
.LBB560_611:
	s_or_b64 exec, exec, s[2:3]
	s_mov_b32 s2, 0xffffff
	v_cmp_lt_u32_e32 vcc, s2, v6
	v_mov_b32_e32 v17, 0
	v_mov_b32_e32 v18, 0
	s_and_saveexec_b64 s[2:3], vcc
	s_cbranch_execz .LBB560_617
; %bb.612:
	v_lshrrev_b32_e32 v14, 24, v6
	s_movk_i32 s7, 0x80
	v_cmp_ne_u32_e32 vcc, s7, v14
	v_bfrev_b32_e32 v18, 1
	s_and_saveexec_b64 s[8:9], vcc
	s_cbranch_execz .LBB560_616
; %bb.613:
	v_bfe_u32 v6, v6, 24, 7
	s_movk_i32 s7, 0x7f
	v_cmp_ne_u32_e32 vcc, s7, v6
	v_mov_b32_e32 v18, 0x7f800001
	s_and_saveexec_b64 s[10:11], vcc
	s_cbranch_execz .LBB560_615
; %bb.614:
	v_and_b32_e32 v18, 7, v14
	v_ffbh_u32_e32 v20, v18
	v_min_u32_e32 v24, 32, v20
	v_subrev_u32_e32 v20, 28, v24
	v_lshlrev_b64 v[20:21], v20, v[14:15]
	v_lshrrev_b32_e32 v23, 3, v6
	v_sub_u32_e32 v21, 29, v24
	v_and_b32_e32 v20, 7, v20
	v_cmp_gt_u32_e32 vcc, 8, v6
	v_cndmask_b32_e32 v6, v23, v21, vcc
	v_cndmask_b32_e32 v18, v18, v20, vcc
	v_lshlrev_b32_e32 v14, 24, v14
	v_bfrev_b32_e32 v20, 60
	v_lshlrev_b32_e32 v18, 20, v18
	v_and_b32_e32 v14, 0x80000000, v14
	v_lshl_add_u32 v6, v6, 23, v20
	v_or3_b32 v18, v14, v6, v18
.LBB560_615:
	s_or_b64 exec, exec, s[10:11]
.LBB560_616:
	s_or_b64 exec, exec, s[8:9]
.LBB560_617:
	s_or_b64 exec, exec, s[2:3]
	v_cmp_ne_u16_sdwa s[8:9], v7, v17 src0_sel:BYTE_0 src1_sel:DWORD
	s_and_saveexec_b64 s[2:3], s[8:9]
	s_cbranch_execz .LBB560_623
; %bb.618:
	s_movk_i32 s7, 0x80
	v_cmp_ne_u16_sdwa s[10:11], v7, s7 src0_sel:BYTE_0 src1_sel:DWORD
	v_bfrev_b32_e32 v17, 1
	s_and_saveexec_b64 s[8:9], s[10:11]
	s_cbranch_execz .LBB560_622
; %bb.619:
	s_movk_i32 s7, 0x7f
	v_and_b32_e32 v6, 0x7f, v7
	v_cmp_ne_u32_e32 vcc, s7, v6
	v_mov_b32_e32 v17, 0x7f800001
	s_and_saveexec_b64 s[10:11], vcc
	s_cbranch_execz .LBB560_621
; %bb.620:
	v_and_b32_e32 v17, 7, v7
	v_ffbh_u32_e32 v20, v17
	v_min_u32_e32 v24, 32, v20
	v_mov_b32_e32 v14, v7
	v_subrev_u32_e32 v20, 28, v24
	v_lshlrev_b64 v[20:21], v20, v[14:15]
	v_lshrrev_b32_e32 v23, 3, v6
	v_sub_u32_e32 v14, 29, v24
	v_and_b32_e32 v20, 7, v20
	v_cmp_gt_u32_e32 vcc, 8, v6
	v_cndmask_b32_e32 v6, v23, v14, vcc
	v_cndmask_b32_e32 v14, v17, v20, vcc
	v_lshlrev_b32_e32 v17, 24, v7
	v_bfrev_b32_e32 v20, 60
	v_lshlrev_b32_e32 v14, 20, v14
	v_and_b32_e32 v17, 0x80000000, v17
	v_lshl_add_u32 v6, v6, 23, v20
	v_or3_b32 v17, v17, v6, v14
.LBB560_621:
	s_or_b64 exec, exec, s[10:11]
.LBB560_622:
	s_or_b64 exec, exec, s[8:9]
.LBB560_623:
	s_or_b64 exec, exec, s[2:3]
	v_lshrrev_b16_e32 v6, 8, v7
	v_cmp_ne_u16_e32 vcc, 0, v6
	v_mov_b32_e32 v20, 0
	v_mov_b32_e32 v21, 0
	s_and_saveexec_b64 s[2:3], vcc
	s_cbranch_execz .LBB560_629
; %bb.624:
	s_movk_i32 s7, 0x80
	v_cmp_ne_u16_e32 vcc, s7, v6
	v_bfrev_b32_e32 v21, 1
	s_and_saveexec_b64 s[8:9], vcc
	s_cbranch_execz .LBB560_628
; %bb.625:
	s_movk_i32 s7, 0x7f
	v_and_b32_e32 v14, 0x7f, v6
	v_cmp_ne_u32_e32 vcc, s7, v14
	v_mov_b32_e32 v21, 0x7f800001
	s_and_saveexec_b64 s[10:11], vcc
	s_cbranch_execz .LBB560_627
; %bb.626:
	v_and_b32_e32 v21, 7, v6
	v_ffbh_u32_e32 v24, v21
	v_min_u32_e32 v27, 32, v24
	v_subrev_u32_e32 v24, 28, v27
	v_lshlrev_b64 v[24:25], v24, v[6:7]
	v_lshrrev_b32_e32 v23, 3, v14
	v_sub_u32_e32 v6, 29, v27
	v_and_b32_e32 v24, 7, v24
	v_cmp_gt_u32_e32 vcc, 8, v14
	v_cndmask_b32_e32 v6, v23, v6, vcc
	v_cndmask_b32_e32 v14, v21, v24, vcc
	v_lshlrev_b32_e32 v21, 16, v7
	v_bfrev_b32_e32 v23, 60
	v_lshlrev_b32_e32 v14, 20, v14
	v_and_b32_e32 v21, 0x80000000, v21
	v_lshl_add_u32 v6, v6, 23, v23
	v_or3_b32 v21, v21, v6, v14
.LBB560_627:
	s_or_b64 exec, exec, s[10:11]
.LBB560_628:
	s_or_b64 exec, exec, s[8:9]
.LBB560_629:
	s_or_b64 exec, exec, s[2:3]
	s_movk_i32 s2, 0xff
	v_and_b32_sdwa v14, v7, s2 dst_sel:DWORD dst_unused:UNUSED_PAD src0_sel:WORD_1 src1_sel:DWORD
	v_lshrrev_b32_e32 v6, 16, v7
	v_cmp_ne_u16_e32 vcc, 0, v14
	s_and_saveexec_b64 s[2:3], vcc
	s_cbranch_execz .LBB560_635
; %bb.630:
	s_movk_i32 s7, 0x80
	v_cmp_ne_u16_e32 vcc, s7, v14
	v_bfrev_b32_e32 v20, 1
	s_and_saveexec_b64 s[8:9], vcc
	s_cbranch_execz .LBB560_634
; %bb.631:
	v_bfe_u32 v14, v7, 16, 7
	s_movk_i32 s7, 0x7f
	v_cmp_ne_u32_e32 vcc, s7, v14
	v_mov_b32_e32 v20, 0x7f800001
	s_and_saveexec_b64 s[10:11], vcc
	s_cbranch_execz .LBB560_633
; %bb.632:
	v_and_b32_e32 v20, 7, v6
	v_ffbh_u32_e32 v24, v20
	v_min_u32_e32 v27, 32, v24
	v_subrev_u32_e32 v24, 28, v27
	v_lshlrev_b64 v[24:25], v24, v[6:7]
	v_and_b32_e32 v24, 7, v24
	v_cmp_gt_u32_e32 vcc, 8, v14
	v_lshrrev_b32_e32 v23, 3, v14
	v_sub_u32_e32 v6, 29, v27
	v_cndmask_b32_e32 v14, v20, v24, vcc
	v_mov_b32_e32 v20, 24
	v_cndmask_b32_e32 v6, v23, v6, vcc
	v_lshlrev_b32_sdwa v20, v20, v7 dst_sel:DWORD dst_unused:UNUSED_PAD src0_sel:DWORD src1_sel:WORD_1
	v_bfrev_b32_e32 v23, 60
	v_lshlrev_b32_e32 v14, 20, v14
	v_and_b32_e32 v20, 0x80000000, v20
	v_lshl_add_u32 v6, v6, 23, v23
	v_or3_b32 v20, v20, v6, v14
.LBB560_633:
	s_or_b64 exec, exec, s[10:11]
.LBB560_634:
	s_or_b64 exec, exec, s[8:9]
.LBB560_635:
	s_or_b64 exec, exec, s[2:3]
	s_mov_b32 s2, 0xffffff
	v_cmp_lt_u32_e32 vcc, s2, v7
	v_mov_b32_e32 v14, 0
	v_mov_b32_e32 v23, 0
	s_and_saveexec_b64 s[2:3], vcc
	s_cbranch_execz .LBB560_641
; %bb.636:
	v_lshrrev_b32_e32 v6, 24, v7
	s_movk_i32 s7, 0x80
	v_cmp_ne_u32_e32 vcc, s7, v6
	v_bfrev_b32_e32 v23, 1
	s_and_saveexec_b64 s[8:9], vcc
	s_cbranch_execz .LBB560_640
; %bb.637:
	v_bfe_u32 v7, v7, 24, 7
	s_movk_i32 s7, 0x7f
	v_cmp_ne_u32_e32 vcc, s7, v7
	v_mov_b32_e32 v23, 0x7f800001
	s_and_saveexec_b64 s[10:11], vcc
	s_cbranch_execz .LBB560_639
; %bb.638:
	v_and_b32_e32 v23, 7, v6
	v_ffbh_u32_e32 v24, v23
	v_min_u32_e32 v28, 32, v24
	v_subrev_u32_e32 v24, 28, v28
	v_lshlrev_b64 v[24:25], v24, v[6:7]
	v_lshrrev_b32_e32 v27, 3, v7
	v_sub_u32_e32 v25, 29, v28
	v_and_b32_e32 v24, 7, v24
	v_cmp_gt_u32_e32 vcc, 8, v7
	v_cndmask_b32_e32 v7, v27, v25, vcc
	v_cndmask_b32_e32 v23, v23, v24, vcc
	v_lshlrev_b32_e32 v6, 24, v6
	v_bfrev_b32_e32 v24, 60
	v_lshlrev_b32_e32 v23, 20, v23
	v_and_b32_e32 v6, 0x80000000, v6
	v_lshl_add_u32 v7, v7, 23, v24
	v_or3_b32 v23, v6, v7, v23
.LBB560_639:
	s_or_b64 exec, exec, s[10:11]
.LBB560_640:
	s_or_b64 exec, exec, s[8:9]
.LBB560_641:
	s_or_b64 exec, exec, s[2:3]
	v_cvt_pkrtz_f16_f32 v6, v19, v16
	v_cvt_pkrtz_f16_f32 v7, v15, v18
	ds_read_b128 v[28:31], v22 offset:4096
	v_cmp_ne_u16_sdwa s[8:9], v8, v14 src0_sel:BYTE_0 src1_sel:DWORD
	s_waitcnt lgkmcnt(0)
	v_mfma_f32_16x16x16f16 v[10:13], v[6:7], v[28:29], v[10:13]
	v_cvt_pkrtz_f16_f32 v6, v17, v21
	v_cvt_pkrtz_f16_f32 v7, v20, v23
	s_nop 1
	v_mfma_f32_16x16x16f16 v[10:13], v[6:7], v[30:31], v[10:13]
	s_and_saveexec_b64 s[2:3], s[8:9]
	s_cbranch_execz .LBB560_647
; %bb.642:
	s_movk_i32 s7, 0x80
	v_cmp_ne_u16_sdwa s[10:11], v8, s7 src0_sel:BYTE_0 src1_sel:DWORD
	v_bfrev_b32_e32 v14, 1
	s_and_saveexec_b64 s[8:9], s[10:11]
	s_cbranch_execz .LBB560_646
; %bb.643:
	s_movk_i32 s7, 0x7f
	v_and_b32_e32 v6, 0x7f, v8
	v_cmp_ne_u32_e32 vcc, s7, v6
	v_mov_b32_e32 v14, 0x7f800001
	s_and_saveexec_b64 s[10:11], vcc
	s_cbranch_execz .LBB560_645
; %bb.644:
	v_and_b32_e32 v7, 7, v8
	v_ffbh_u32_e32 v14, v7
	v_min_u32_e32 v17, 32, v14
	v_subrev_u32_e32 v14, 28, v17
	v_lshlrev_b64 v[14:15], v14, v[8:9]
	v_lshrrev_b32_e32 v16, 3, v6
	v_sub_u32_e32 v15, 29, v17
	v_and_b32_e32 v14, 7, v14
	v_cmp_gt_u32_e32 vcc, 8, v6
	v_cndmask_b32_e32 v6, v16, v15, vcc
	v_cndmask_b32_e32 v7, v7, v14, vcc
	v_lshlrev_b32_e32 v14, 24, v8
	v_bfrev_b32_e32 v15, 60
	v_lshlrev_b32_e32 v7, 20, v7
	v_and_b32_e32 v14, 0x80000000, v14
	v_lshl_add_u32 v6, v6, 23, v15
	v_or3_b32 v14, v14, v6, v7
.LBB560_645:
	s_or_b64 exec, exec, s[10:11]
.LBB560_646:
	s_or_b64 exec, exec, s[8:9]
.LBB560_647:
	s_or_b64 exec, exec, s[2:3]
	v_lshrrev_b16_e32 v6, 8, v8
	v_cmp_ne_u16_e32 vcc, 0, v6
	v_mov_b32_e32 v7, 0
	v_mov_b32_e32 v16, 0
	s_and_saveexec_b64 s[2:3], vcc
	s_cbranch_execz .LBB560_653
; %bb.648:
	s_movk_i32 s7, 0x80
	v_cmp_ne_u16_e32 vcc, s7, v6
	v_bfrev_b32_e32 v16, 1
	s_and_saveexec_b64 s[8:9], vcc
	s_cbranch_execz .LBB560_652
; %bb.649:
	s_movk_i32 s7, 0x7f
	v_and_b32_e32 v15, 0x7f, v6
	v_cmp_ne_u32_e32 vcc, s7, v15
	v_mov_b32_e32 v16, 0x7f800001
	s_and_saveexec_b64 s[10:11], vcc
	s_cbranch_execz .LBB560_651
; %bb.650:
	v_and_b32_e32 v18, 7, v6
	v_ffbh_u32_e32 v16, v18
	v_min_u32_e32 v20, 32, v16
	v_subrev_u32_e32 v16, 28, v20
	v_lshlrev_b64 v[16:17], v16, v[6:7]
	v_lshrrev_b32_e32 v19, 3, v15
	v_sub_u32_e32 v6, 29, v20
	v_and_b32_e32 v16, 7, v16
	v_cmp_gt_u32_e32 vcc, 8, v15
	v_cndmask_b32_e32 v6, v19, v6, vcc
	v_cndmask_b32_e32 v15, v18, v16, vcc
	v_lshlrev_b32_e32 v16, 16, v8
	v_bfrev_b32_e32 v17, 60
	v_lshlrev_b32_e32 v15, 20, v15
	v_and_b32_e32 v16, 0x80000000, v16
	v_lshl_add_u32 v6, v6, 23, v17
	v_or3_b32 v16, v16, v6, v15
.LBB560_651:
	s_or_b64 exec, exec, s[10:11]
.LBB560_652:
	s_or_b64 exec, exec, s[8:9]
.LBB560_653:
	s_or_b64 exec, exec, s[2:3]
	s_movk_i32 s2, 0xff
	v_and_b32_sdwa v15, v8, s2 dst_sel:DWORD dst_unused:UNUSED_PAD src0_sel:WORD_1 src1_sel:DWORD
	v_lshrrev_b32_e32 v6, 16, v8
	v_cmp_ne_u16_e32 vcc, 0, v15
	s_and_saveexec_b64 s[2:3], vcc
	s_cbranch_execz .LBB560_659
; %bb.654:
	s_movk_i32 s7, 0x80
	v_cmp_ne_u16_e32 vcc, s7, v15
	v_bfrev_b32_e32 v7, 1
	s_and_saveexec_b64 s[8:9], vcc
	s_cbranch_execz .LBB560_658
; %bb.655:
	v_bfe_u32 v15, v8, 16, 7
	s_movk_i32 s7, 0x7f
	v_cmp_ne_u32_e32 vcc, s7, v15
	v_mov_b32_e32 v7, 0x7f800001
	s_and_saveexec_b64 s[10:11], vcc
	s_cbranch_execz .LBB560_657
; %bb.656:
	v_and_b32_e32 v17, 7, v6
	v_ffbh_u32_e32 v7, v17
	v_min_u32_e32 v19, 32, v7
	v_subrev_u32_e32 v7, 28, v19
	v_lshlrev_b64 v[6:7], v7, v[6:7]
	v_lshrrev_b32_e32 v18, 3, v15
	v_sub_u32_e32 v7, 29, v19
	v_and_b32_e32 v6, 7, v6
	v_cmp_gt_u32_e32 vcc, 8, v15
	v_mov_b32_e32 v15, 24
	v_cndmask_b32_e32 v7, v18, v7, vcc
	v_cndmask_b32_e32 v6, v17, v6, vcc
	v_lshlrev_b32_sdwa v15, v15, v8 dst_sel:DWORD dst_unused:UNUSED_PAD src0_sel:DWORD src1_sel:WORD_1
	v_bfrev_b32_e32 v17, 60
	v_lshlrev_b32_e32 v6, 20, v6
	v_and_b32_e32 v15, 0x80000000, v15
	v_lshl_add_u32 v7, v7, 23, v17
	v_or3_b32 v7, v15, v7, v6
.LBB560_657:
	s_or_b64 exec, exec, s[10:11]
.LBB560_658:
	s_or_b64 exec, exec, s[8:9]
.LBB560_659:
	s_or_b64 exec, exec, s[2:3]
	s_mov_b32 s2, 0xffffff
	v_cmp_lt_u32_e32 vcc, s2, v8
	v_mov_b32_e32 v17, 0
	v_mov_b32_e32 v18, 0
	s_and_saveexec_b64 s[2:3], vcc
	s_cbranch_execz .LBB560_665
; %bb.660:
	v_lshrrev_b32_e32 v6, 24, v8
	s_movk_i32 s7, 0x80
	v_cmp_ne_u32_e32 vcc, s7, v6
	v_bfrev_b32_e32 v18, 1
	s_and_saveexec_b64 s[8:9], vcc
	s_cbranch_execz .LBB560_664
; %bb.661:
	v_bfe_u32 v8, v8, 24, 7
	s_movk_i32 s7, 0x7f
	v_cmp_ne_u32_e32 vcc, s7, v8
	v_mov_b32_e32 v18, 0x7f800001
	s_and_saveexec_b64 s[10:11], vcc
	s_cbranch_execz .LBB560_663
; %bb.662:
	v_and_b32_e32 v15, 7, v6
	v_ffbh_u32_e32 v18, v15
	v_min_u32_e32 v21, 32, v18
	v_subrev_u32_e32 v18, 28, v21
	v_lshlrev_b64 v[18:19], v18, v[6:7]
	v_lshrrev_b32_e32 v20, 3, v8
	v_sub_u32_e32 v19, 29, v21
	v_and_b32_e32 v18, 7, v18
	v_cmp_gt_u32_e32 vcc, 8, v8
	v_cndmask_b32_e32 v8, v20, v19, vcc
	v_cndmask_b32_e32 v15, v15, v18, vcc
	v_lshlrev_b32_e32 v6, 24, v6
	v_bfrev_b32_e32 v18, 60
	v_lshlrev_b32_e32 v15, 20, v15
	v_and_b32_e32 v6, 0x80000000, v6
	v_lshl_add_u32 v8, v8, 23, v18
	v_or3_b32 v18, v6, v8, v15
.LBB560_663:
	s_or_b64 exec, exec, s[10:11]
.LBB560_664:
	s_or_b64 exec, exec, s[8:9]
.LBB560_665:
	s_or_b64 exec, exec, s[2:3]
	v_cmp_ne_u16_sdwa s[8:9], v9, v17 src0_sel:BYTE_0 src1_sel:DWORD
	s_and_saveexec_b64 s[2:3], s[8:9]
	s_cbranch_execz .LBB560_671
; %bb.666:
	s_movk_i32 s7, 0x80
	v_cmp_ne_u16_sdwa s[10:11], v9, s7 src0_sel:BYTE_0 src1_sel:DWORD
	v_bfrev_b32_e32 v17, 1
	s_and_saveexec_b64 s[8:9], s[10:11]
	s_cbranch_execz .LBB560_670
; %bb.667:
	s_movk_i32 s7, 0x7f
	v_and_b32_e32 v6, 0x7f, v9
	v_cmp_ne_u32_e32 vcc, s7, v6
	v_mov_b32_e32 v17, 0x7f800001
	s_and_saveexec_b64 s[10:11], vcc
	s_cbranch_execz .LBB560_669
; %bb.668:
	v_and_b32_e32 v15, 7, v9
	v_ffbh_u32_e32 v19, v15
	v_min_u32_e32 v19, 32, v19
	v_mov_b32_e32 v8, v9
	v_subrev_u32_e32 v20, 28, v19
	v_lshlrev_b64 v[20:21], v20, v[8:9]
	v_lshrrev_b32_e32 v17, 3, v6
	v_sub_u32_e32 v8, 29, v19
	v_and_b32_e32 v19, 7, v20
	v_cmp_gt_u32_e32 vcc, 8, v6
	v_cndmask_b32_e32 v6, v17, v8, vcc
	v_cndmask_b32_e32 v8, v15, v19, vcc
	v_lshlrev_b32_e32 v15, 24, v9
	v_bfrev_b32_e32 v17, 60
	v_lshlrev_b32_e32 v8, 20, v8
	v_and_b32_e32 v15, 0x80000000, v15
	v_lshl_add_u32 v6, v6, 23, v17
	v_or3_b32 v17, v15, v6, v8
.LBB560_669:
	s_or_b64 exec, exec, s[10:11]
.LBB560_670:
	s_or_b64 exec, exec, s[8:9]
.LBB560_671:
	s_or_b64 exec, exec, s[2:3]
	v_lshrrev_b16_e32 v6, 8, v9
	v_cmp_ne_u16_e32 vcc, 0, v6
	v_mov_b32_e32 v8, 0
	v_mov_b32_e32 v19, 0
	s_and_saveexec_b64 s[2:3], vcc
	s_cbranch_execz .LBB560_677
; %bb.672:
	s_movk_i32 s7, 0x80
	v_cmp_ne_u16_e32 vcc, s7, v6
	v_bfrev_b32_e32 v19, 1
	s_and_saveexec_b64 s[8:9], vcc
	s_cbranch_execz .LBB560_676
; %bb.673:
	s_movk_i32 s7, 0x7f
	v_and_b32_e32 v15, 0x7f, v6
	v_cmp_ne_u32_e32 vcc, s7, v15
	v_mov_b32_e32 v19, 0x7f800001
	s_and_saveexec_b64 s[10:11], vcc
	s_cbranch_execz .LBB560_675
; %bb.674:
	v_and_b32_e32 v19, 7, v6
	v_ffbh_u32_e32 v20, v19
	v_min_u32_e32 v24, 32, v20
	v_subrev_u32_e32 v20, 28, v24
	v_lshlrev_b64 v[20:21], v20, v[6:7]
	v_lshrrev_b32_e32 v23, 3, v15
	v_sub_u32_e32 v6, 29, v24
	v_and_b32_e32 v20, 7, v20
	v_cmp_gt_u32_e32 vcc, 8, v15
	v_cndmask_b32_e32 v6, v23, v6, vcc
	v_cndmask_b32_e32 v15, v19, v20, vcc
	v_lshlrev_b32_e32 v19, 16, v9
	v_bfrev_b32_e32 v20, 60
	v_lshlrev_b32_e32 v15, 20, v15
	v_and_b32_e32 v19, 0x80000000, v19
	v_lshl_add_u32 v6, v6, 23, v20
	v_or3_b32 v19, v19, v6, v15
.LBB560_675:
	s_or_b64 exec, exec, s[10:11]
.LBB560_676:
	s_or_b64 exec, exec, s[8:9]
.LBB560_677:
	s_or_b64 exec, exec, s[2:3]
	s_movk_i32 s2, 0xff
	v_and_b32_sdwa v15, v9, s2 dst_sel:DWORD dst_unused:UNUSED_PAD src0_sel:WORD_1 src1_sel:DWORD
	v_lshrrev_b32_e32 v6, 16, v9
	v_cmp_ne_u16_e32 vcc, 0, v15
	s_and_saveexec_b64 s[2:3], vcc
	s_cbranch_execz .LBB560_683
; %bb.678:
	s_movk_i32 s7, 0x80
	v_cmp_ne_u16_e32 vcc, s7, v15
	v_bfrev_b32_e32 v8, 1
	s_and_saveexec_b64 s[8:9], vcc
	s_cbranch_execz .LBB560_682
; %bb.679:
	v_bfe_u32 v15, v9, 16, 7
	s_movk_i32 s7, 0x7f
	v_cmp_ne_u32_e32 vcc, s7, v15
	v_mov_b32_e32 v8, 0x7f800001
	s_and_saveexec_b64 s[10:11], vcc
	s_cbranch_execz .LBB560_681
; %bb.680:
	v_and_b32_e32 v8, 7, v6
	v_ffbh_u32_e32 v20, v8
	v_min_u32_e32 v24, 32, v20
	v_subrev_u32_e32 v20, 28, v24
	v_lshlrev_b64 v[20:21], v20, v[6:7]
	v_lshrrev_b32_e32 v23, 3, v15
	v_sub_u32_e32 v6, 29, v24
	v_and_b32_e32 v20, 7, v20
	v_cmp_gt_u32_e32 vcc, 8, v15
	v_mov_b32_e32 v15, 24
	v_cndmask_b32_e32 v6, v23, v6, vcc
	v_cndmask_b32_e32 v8, v8, v20, vcc
	v_lshlrev_b32_sdwa v15, v15, v9 dst_sel:DWORD dst_unused:UNUSED_PAD src0_sel:DWORD src1_sel:WORD_1
	v_bfrev_b32_e32 v20, 60
	v_lshlrev_b32_e32 v8, 20, v8
	v_and_b32_e32 v15, 0x80000000, v15
	v_lshl_add_u32 v6, v6, 23, v20
	v_or3_b32 v8, v15, v6, v8
.LBB560_681:
	s_or_b64 exec, exec, s[10:11]
.LBB560_682:
	s_or_b64 exec, exec, s[8:9]
.LBB560_683:
	s_or_b64 exec, exec, s[2:3]
	s_mov_b32 s2, 0xffffff
	v_cmp_lt_u32_e32 vcc, s2, v9
	v_mov_b32_e32 v15, 0
	v_mov_b32_e32 v20, 0
	s_and_saveexec_b64 s[2:3], vcc
	s_cbranch_execz .LBB560_689
; %bb.684:
	v_lshrrev_b32_e32 v6, 24, v9
	s_movk_i32 s7, 0x80
	v_cmp_ne_u32_e32 vcc, s7, v6
	v_bfrev_b32_e32 v20, 1
	s_and_saveexec_b64 s[8:9], vcc
	s_cbranch_execz .LBB560_688
; %bb.685:
	v_bfe_u32 v9, v9, 24, 7
	s_movk_i32 s7, 0x7f
	v_cmp_ne_u32_e32 vcc, s7, v9
	v_mov_b32_e32 v20, 0x7f800001
	s_and_saveexec_b64 s[10:11], vcc
	s_cbranch_execz .LBB560_687
; %bb.686:
	v_and_b32_e32 v23, 7, v6
	v_ffbh_u32_e32 v20, v23
	v_min_u32_e32 v25, 32, v20
	v_subrev_u32_e32 v20, 28, v25
	v_lshlrev_b64 v[20:21], v20, v[6:7]
	v_lshrrev_b32_e32 v24, 3, v9
	v_sub_u32_e32 v21, 29, v25
	v_and_b32_e32 v20, 7, v20
	v_cmp_gt_u32_e32 vcc, 8, v9
	v_cndmask_b32_e32 v9, v24, v21, vcc
	v_cndmask_b32_e32 v20, v23, v20, vcc
	v_lshlrev_b32_e32 v6, 24, v6
	v_bfrev_b32_e32 v21, 60
	v_lshlrev_b32_e32 v20, 20, v20
	v_and_b32_e32 v6, 0x80000000, v6
	v_lshl_add_u32 v9, v9, 23, v21
	v_or3_b32 v20, v6, v9, v20
.LBB560_687:
	s_or_b64 exec, exec, s[10:11]
.LBB560_688:
	s_or_b64 exec, exec, s[8:9]
.LBB560_689:
	s_or_b64 exec, exec, s[2:3]
	v_cvt_pkrtz_f16_f32 v6, v14, v16
	v_cvt_pkrtz_f16_f32 v7, v7, v18
	ds_read_b128 v[28:31], v22 offset:4112
	s_waitcnt vmcnt(0)
	v_cmp_ne_u16_sdwa s[8:9], v2, v15 src0_sel:BYTE_0 src1_sel:DWORD
	s_waitcnt lgkmcnt(0)
	v_mfma_f32_16x16x16f16 v[10:13], v[6:7], v[28:29], v[10:13]
	v_cvt_pkrtz_f16_f32 v6, v17, v19
	v_cvt_pkrtz_f16_f32 v7, v8, v20
	s_nop 1
	v_mfma_f32_16x16x16f16 v[6:9], v[6:7], v[30:31], v[10:13]
	s_and_saveexec_b64 s[2:3], s[8:9]
	s_cbranch_execz .LBB560_695
; %bb.690:
	s_movk_i32 s7, 0x80
	v_cmp_ne_u16_sdwa s[10:11], v2, s7 src0_sel:BYTE_0 src1_sel:DWORD
	v_bfrev_b32_e32 v15, 1
	s_and_saveexec_b64 s[8:9], s[10:11]
	s_cbranch_execz .LBB560_694
; %bb.691:
	s_movk_i32 s7, 0x7f
	v_and_b32_e32 v10, 0x7f, v2
	v_cmp_ne_u32_e32 vcc, s7, v10
	v_mov_b32_e32 v15, 0x7f800001
	s_and_saveexec_b64 s[10:11], vcc
	s_cbranch_execz .LBB560_693
; %bb.692:
	v_and_b32_e32 v11, 7, v2
	v_ffbh_u32_e32 v12, v11
	v_min_u32_e32 v15, 32, v12
	v_subrev_u32_e32 v12, 28, v15
	v_lshlrev_b64 v[12:13], v12, v[2:3]
	v_lshrrev_b32_e32 v14, 3, v10
	v_sub_u32_e32 v13, 29, v15
	v_and_b32_e32 v12, 7, v12
	v_cmp_gt_u32_e32 vcc, 8, v10
	v_cndmask_b32_e32 v10, v14, v13, vcc
	v_cndmask_b32_e32 v11, v11, v12, vcc
	v_lshlrev_b32_e32 v12, 24, v2
	v_bfrev_b32_e32 v13, 60
	v_lshlrev_b32_e32 v11, 20, v11
	v_and_b32_e32 v12, 0x80000000, v12
	v_lshl_add_u32 v10, v10, 23, v13
	v_or3_b32 v15, v12, v10, v11
.LBB560_693:
	s_or_b64 exec, exec, s[10:11]
.LBB560_694:
	s_or_b64 exec, exec, s[8:9]
.LBB560_695:
	s_or_b64 exec, exec, s[2:3]
	s_nop 3
	v_lshrrev_b16_e32 v10, 8, v2
	v_cmp_ne_u16_e32 vcc, 0, v10
	v_mov_b32_e32 v11, 0
	v_mov_b32_e32 v12, 0
	s_and_saveexec_b64 s[2:3], vcc
	s_cbranch_execz .LBB560_701
; %bb.696:
	s_movk_i32 s7, 0x80
	v_cmp_ne_u16_e32 vcc, s7, v10
	v_bfrev_b32_e32 v12, 1
	s_and_saveexec_b64 s[8:9], vcc
	s_cbranch_execz .LBB560_700
; %bb.697:
	s_movk_i32 s7, 0x7f
	v_and_b32_e32 v13, 0x7f, v10
	v_cmp_ne_u32_e32 vcc, s7, v13
	v_mov_b32_e32 v12, 0x7f800001
	s_and_saveexec_b64 s[10:11], vcc
	s_cbranch_execz .LBB560_699
; %bb.698:
	v_and_b32_e32 v12, 7, v10
	v_ffbh_u32_e32 v16, v12
	v_min_u32_e32 v18, 32, v16
	v_subrev_u32_e32 v16, 28, v18
	v_lshlrev_b64 v[16:17], v16, v[10:11]
	v_lshrrev_b32_e32 v14, 3, v13
	v_sub_u32_e32 v10, 29, v18
	v_and_b32_e32 v16, 7, v16
	v_cmp_gt_u32_e32 vcc, 8, v13
	v_cndmask_b32_e32 v10, v14, v10, vcc
	v_cndmask_b32_e32 v12, v12, v16, vcc
	v_lshlrev_b32_e32 v13, 16, v2
	v_bfrev_b32_e32 v14, 60
	v_lshlrev_b32_e32 v12, 20, v12
	v_and_b32_e32 v13, 0x80000000, v13
	v_lshl_add_u32 v10, v10, 23, v14
	v_or3_b32 v12, v13, v10, v12
.LBB560_699:
	s_or_b64 exec, exec, s[10:11]
.LBB560_700:
	s_or_b64 exec, exec, s[8:9]
.LBB560_701:
	s_or_b64 exec, exec, s[2:3]
	s_movk_i32 s2, 0xff
	v_and_b32_sdwa v13, v2, s2 dst_sel:DWORD dst_unused:UNUSED_PAD src0_sel:WORD_1 src1_sel:DWORD
	v_lshrrev_b32_e32 v10, 16, v2
	v_cmp_ne_u16_e32 vcc, 0, v13
	s_and_saveexec_b64 s[2:3], vcc
	s_cbranch_execz .LBB560_707
; %bb.702:
	s_movk_i32 s7, 0x80
	v_cmp_ne_u16_e32 vcc, s7, v13
	v_bfrev_b32_e32 v11, 1
	s_and_saveexec_b64 s[8:9], vcc
	s_cbranch_execz .LBB560_706
; %bb.703:
	v_bfe_u32 v13, v2, 16, 7
	s_movk_i32 s7, 0x7f
	v_cmp_ne_u32_e32 vcc, s7, v13
	v_mov_b32_e32 v11, 0x7f800001
	s_and_saveexec_b64 s[10:11], vcc
	s_cbranch_execz .LBB560_705
; %bb.704:
	v_and_b32_e32 v14, 7, v10
	v_ffbh_u32_e32 v11, v14
	v_min_u32_e32 v17, 32, v11
	v_subrev_u32_e32 v11, 28, v17
	v_lshlrev_b64 v[10:11], v11, v[10:11]
	v_lshrrev_b32_e32 v16, 3, v13
	v_sub_u32_e32 v11, 29, v17
	v_and_b32_e32 v10, 7, v10
	v_cmp_gt_u32_e32 vcc, 8, v13
	v_mov_b32_e32 v13, 24
	v_cndmask_b32_e32 v11, v16, v11, vcc
	v_cndmask_b32_e32 v10, v14, v10, vcc
	v_lshlrev_b32_sdwa v13, v13, v2 dst_sel:DWORD dst_unused:UNUSED_PAD src0_sel:DWORD src1_sel:WORD_1
	v_bfrev_b32_e32 v14, 60
	v_lshlrev_b32_e32 v10, 20, v10
	v_and_b32_e32 v13, 0x80000000, v13
	v_lshl_add_u32 v11, v11, 23, v14
	v_or3_b32 v11, v13, v11, v10
.LBB560_705:
	s_or_b64 exec, exec, s[10:11]
.LBB560_706:
	s_or_b64 exec, exec, s[8:9]
.LBB560_707:
	s_or_b64 exec, exec, s[2:3]
	s_mov_b32 s2, 0xffffff
	v_cmp_lt_u32_e32 vcc, s2, v2
	v_mov_b32_e32 v13, 0
	v_mov_b32_e32 v14, 0
	s_and_saveexec_b64 s[2:3], vcc
	s_cbranch_execz .LBB560_713
; %bb.708:
	v_lshrrev_b32_e32 v10, 24, v2
	s_movk_i32 s7, 0x80
	v_cmp_ne_u32_e32 vcc, s7, v10
	v_bfrev_b32_e32 v14, 1
	s_and_saveexec_b64 s[8:9], vcc
	s_cbranch_execz .LBB560_712
; %bb.709:
	v_bfe_u32 v2, v2, 24, 7
	s_movk_i32 s7, 0x7f
	v_cmp_ne_u32_e32 vcc, s7, v2
	v_mov_b32_e32 v14, 0x7f800001
	s_and_saveexec_b64 s[10:11], vcc
	s_cbranch_execz .LBB560_711
; %bb.710:
	v_and_b32_e32 v14, 7, v10
	v_ffbh_u32_e32 v16, v14
	v_min_u32_e32 v19, 32, v16
	v_subrev_u32_e32 v16, 28, v19
	v_lshlrev_b64 v[16:17], v16, v[10:11]
	v_lshrrev_b32_e32 v18, 3, v2
	v_sub_u32_e32 v17, 29, v19
	v_and_b32_e32 v16, 7, v16
	v_cmp_gt_u32_e32 vcc, 8, v2
	v_cndmask_b32_e32 v2, v18, v17, vcc
	v_cndmask_b32_e32 v14, v14, v16, vcc
	v_lshlrev_b32_e32 v10, 24, v10
	v_bfrev_b32_e32 v16, 60
	v_lshlrev_b32_e32 v14, 20, v14
	v_and_b32_e32 v10, 0x80000000, v10
	v_lshl_add_u32 v2, v2, 23, v16
	v_or3_b32 v14, v10, v2, v14
.LBB560_711:
	s_or_b64 exec, exec, s[10:11]
.LBB560_712:
	s_or_b64 exec, exec, s[8:9]
.LBB560_713:
	s_or_b64 exec, exec, s[2:3]
	v_cmp_ne_u16_sdwa s[8:9], v3, v13 src0_sel:BYTE_0 src1_sel:DWORD
	s_and_saveexec_b64 s[2:3], s[8:9]
	s_cbranch_execz .LBB560_719
; %bb.714:
	s_movk_i32 s7, 0x80
	v_cmp_ne_u16_sdwa s[10:11], v3, s7 src0_sel:BYTE_0 src1_sel:DWORD
	v_bfrev_b32_e32 v13, 1
	s_and_saveexec_b64 s[8:9], s[10:11]
	s_cbranch_execz .LBB560_718
; %bb.715:
	s_movk_i32 s7, 0x7f
	v_and_b32_e32 v2, 0x7f, v3
	v_cmp_ne_u32_e32 vcc, s7, v2
	v_mov_b32_e32 v13, 0x7f800001
	s_and_saveexec_b64 s[10:11], vcc
	s_cbranch_execz .LBB560_717
; %bb.716:
	v_and_b32_e32 v13, 7, v3
	v_ffbh_u32_e32 v16, v13
	v_min_u32_e32 v19, 32, v16
	v_mov_b32_e32 v10, v3
	v_subrev_u32_e32 v16, 28, v19
	v_lshlrev_b64 v[16:17], v16, v[10:11]
	v_lshrrev_b32_e32 v18, 3, v2
	v_sub_u32_e32 v10, 29, v19
	v_and_b32_e32 v16, 7, v16
	v_cmp_gt_u32_e32 vcc, 8, v2
	v_cndmask_b32_e32 v2, v18, v10, vcc
	v_cndmask_b32_e32 v10, v13, v16, vcc
	v_lshlrev_b32_e32 v13, 24, v3
	v_bfrev_b32_e32 v16, 60
	v_lshlrev_b32_e32 v10, 20, v10
	v_and_b32_e32 v13, 0x80000000, v13
	v_lshl_add_u32 v2, v2, 23, v16
	v_or3_b32 v13, v13, v2, v10
.LBB560_717:
	s_or_b64 exec, exec, s[10:11]
.LBB560_718:
	s_or_b64 exec, exec, s[8:9]
.LBB560_719:
	s_or_b64 exec, exec, s[2:3]
	v_lshrrev_b16_e32 v2, 8, v3
	v_cmp_ne_u16_e32 vcc, 0, v2
	v_mov_b32_e32 v16, 0
	v_mov_b32_e32 v17, 0
	s_and_saveexec_b64 s[2:3], vcc
	s_cbranch_execz .LBB560_725
; %bb.720:
	s_movk_i32 s7, 0x80
	v_cmp_ne_u16_e32 vcc, s7, v2
	v_bfrev_b32_e32 v17, 1
	s_and_saveexec_b64 s[8:9], vcc
	s_cbranch_execz .LBB560_724
; %bb.721:
	s_movk_i32 s7, 0x7f
	v_and_b32_e32 v10, 0x7f, v2
	v_cmp_ne_u32_e32 vcc, s7, v10
	v_mov_b32_e32 v17, 0x7f800001
	s_and_saveexec_b64 s[10:11], vcc
	s_cbranch_execz .LBB560_723
; %bb.722:
	v_and_b32_e32 v17, 7, v2
	v_ffbh_u32_e32 v18, v17
	v_min_u32_e32 v21, 32, v18
	v_subrev_u32_e32 v18, 28, v21
	v_lshlrev_b64 v[18:19], v18, v[2:3]
	v_lshrrev_b32_e32 v20, 3, v10
	v_sub_u32_e32 v2, 29, v21
	v_and_b32_e32 v18, 7, v18
	v_cmp_gt_u32_e32 vcc, 8, v10
	v_cndmask_b32_e32 v2, v20, v2, vcc
	v_cndmask_b32_e32 v10, v17, v18, vcc
	v_lshlrev_b32_e32 v17, 16, v3
	v_bfrev_b32_e32 v18, 60
	v_lshlrev_b32_e32 v10, 20, v10
	v_and_b32_e32 v17, 0x80000000, v17
	v_lshl_add_u32 v2, v2, 23, v18
	v_or3_b32 v17, v17, v2, v10
.LBB560_723:
	s_or_b64 exec, exec, s[10:11]
.LBB560_724:
	s_or_b64 exec, exec, s[8:9]
.LBB560_725:
	s_or_b64 exec, exec, s[2:3]
	s_movk_i32 s2, 0xff
	v_and_b32_sdwa v10, v3, s2 dst_sel:DWORD dst_unused:UNUSED_PAD src0_sel:WORD_1 src1_sel:DWORD
	v_lshrrev_b32_e32 v2, 16, v3
	v_cmp_ne_u16_e32 vcc, 0, v10
	s_and_saveexec_b64 s[2:3], vcc
	s_cbranch_execz .LBB560_731
; %bb.726:
	s_movk_i32 s7, 0x80
	v_cmp_ne_u16_e32 vcc, s7, v10
	v_bfrev_b32_e32 v16, 1
	s_and_saveexec_b64 s[8:9], vcc
	s_cbranch_execz .LBB560_730
; %bb.727:
	v_bfe_u32 v10, v3, 16, 7
	s_movk_i32 s7, 0x7f
	v_cmp_ne_u32_e32 vcc, s7, v10
	v_mov_b32_e32 v16, 0x7f800001
	s_and_saveexec_b64 s[10:11], vcc
	s_cbranch_execz .LBB560_729
; %bb.728:
	v_and_b32_e32 v16, 7, v2
	v_ffbh_u32_e32 v18, v16
	v_min_u32_e32 v21, 32, v18
	v_subrev_u32_e32 v18, 28, v21
	v_lshlrev_b64 v[18:19], v18, v[2:3]
	v_and_b32_e32 v18, 7, v18
	v_cmp_gt_u32_e32 vcc, 8, v10
	v_lshrrev_b32_e32 v20, 3, v10
	v_sub_u32_e32 v2, 29, v21
	v_cndmask_b32_e32 v10, v16, v18, vcc
	v_mov_b32_e32 v16, 24
	v_cndmask_b32_e32 v2, v20, v2, vcc
	v_lshlrev_b32_sdwa v16, v16, v3 dst_sel:DWORD dst_unused:UNUSED_PAD src0_sel:DWORD src1_sel:WORD_1
	v_bfrev_b32_e32 v18, 60
	v_lshlrev_b32_e32 v10, 20, v10
	v_and_b32_e32 v16, 0x80000000, v16
	v_lshl_add_u32 v2, v2, 23, v18
	v_or3_b32 v16, v16, v2, v10
.LBB560_729:
	s_or_b64 exec, exec, s[10:11]
.LBB560_730:
	s_or_b64 exec, exec, s[8:9]
.LBB560_731:
	s_or_b64 exec, exec, s[2:3]
	s_mov_b32 s2, 0xffffff
	v_cmp_lt_u32_e32 vcc, s2, v3
	v_mov_b32_e32 v10, 0
	v_mov_b32_e32 v18, 0
	s_and_saveexec_b64 s[2:3], vcc
	s_cbranch_execz .LBB560_737
; %bb.732:
	v_lshrrev_b32_e32 v2, 24, v3
	s_movk_i32 s7, 0x80
	v_cmp_ne_u32_e32 vcc, s7, v2
	v_bfrev_b32_e32 v18, 1
	s_and_saveexec_b64 s[8:9], vcc
	s_cbranch_execz .LBB560_736
; %bb.733:
	v_bfe_u32 v3, v3, 24, 7
	s_movk_i32 s7, 0x7f
	v_cmp_ne_u32_e32 vcc, s7, v3
	v_mov_b32_e32 v18, 0x7f800001
	s_and_saveexec_b64 s[10:11], vcc
	s_cbranch_execz .LBB560_735
; %bb.734:
	v_and_b32_e32 v20, 7, v2
	v_ffbh_u32_e32 v18, v20
	v_min_u32_e32 v23, 32, v18
	v_subrev_u32_e32 v18, 28, v23
	v_lshlrev_b64 v[18:19], v18, v[2:3]
	v_lshrrev_b32_e32 v21, 3, v3
	v_sub_u32_e32 v19, 29, v23
	v_and_b32_e32 v18, 7, v18
	v_cmp_gt_u32_e32 vcc, 8, v3
	v_cndmask_b32_e32 v3, v21, v19, vcc
	v_cndmask_b32_e32 v18, v20, v18, vcc
	v_lshlrev_b32_e32 v2, 24, v2
	v_bfrev_b32_e32 v19, 60
	v_lshlrev_b32_e32 v18, 20, v18
	v_and_b32_e32 v2, 0x80000000, v2
	v_lshl_add_u32 v3, v3, 23, v19
	v_or3_b32 v18, v2, v3, v18
.LBB560_735:
	s_or_b64 exec, exec, s[10:11]
.LBB560_736:
	s_or_b64 exec, exec, s[8:9]
.LBB560_737:
	s_or_b64 exec, exec, s[2:3]
	v_cvt_pkrtz_f16_f32 v2, v15, v12
	v_cvt_pkrtz_f16_f32 v3, v11, v14
	ds_read_b128 v[28:31], v22 offset:6144
	v_cmp_ne_u16_sdwa s[8:9], v4, v10 src0_sel:BYTE_0 src1_sel:DWORD
	s_waitcnt lgkmcnt(0)
	v_mfma_f32_16x16x16f16 v[6:9], v[2:3], v[28:29], v[6:9]
	v_cvt_pkrtz_f16_f32 v2, v13, v17
	v_cvt_pkrtz_f16_f32 v3, v16, v18
	s_nop 1
	v_mfma_f32_16x16x16f16 v[6:9], v[2:3], v[30:31], v[6:9]
	s_and_saveexec_b64 s[2:3], s[8:9]
	s_cbranch_execz .LBB560_743
; %bb.738:
	s_movk_i32 s7, 0x80
	v_cmp_ne_u16_sdwa s[10:11], v4, s7 src0_sel:BYTE_0 src1_sel:DWORD
	v_bfrev_b32_e32 v10, 1
	s_and_saveexec_b64 s[8:9], s[10:11]
	s_cbranch_execz .LBB560_742
; %bb.739:
	s_movk_i32 s7, 0x7f
	v_and_b32_e32 v2, 0x7f, v4
	v_cmp_ne_u32_e32 vcc, s7, v2
	v_mov_b32_e32 v10, 0x7f800001
	s_and_saveexec_b64 s[10:11], vcc
	s_cbranch_execz .LBB560_741
; %bb.740:
	v_and_b32_e32 v3, 7, v4
	v_ffbh_u32_e32 v10, v3
	v_min_u32_e32 v13, 32, v10
	v_subrev_u32_e32 v10, 28, v13
	v_lshlrev_b64 v[10:11], v10, v[4:5]
	v_lshrrev_b32_e32 v12, 3, v2
	v_sub_u32_e32 v11, 29, v13
	v_and_b32_e32 v10, 7, v10
	v_cmp_gt_u32_e32 vcc, 8, v2
	v_cndmask_b32_e32 v2, v12, v11, vcc
	v_cndmask_b32_e32 v3, v3, v10, vcc
	v_lshlrev_b32_e32 v10, 24, v4
	v_bfrev_b32_e32 v11, 60
	v_lshlrev_b32_e32 v3, 20, v3
	v_and_b32_e32 v10, 0x80000000, v10
	v_lshl_add_u32 v2, v2, 23, v11
	v_or3_b32 v10, v10, v2, v3
.LBB560_741:
	s_or_b64 exec, exec, s[10:11]
.LBB560_742:
	s_or_b64 exec, exec, s[8:9]
.LBB560_743:
	s_or_b64 exec, exec, s[2:3]
	v_lshrrev_b16_e32 v2, 8, v4
	v_cmp_ne_u16_e32 vcc, 0, v2
	v_mov_b32_e32 v3, 0
	v_mov_b32_e32 v11, 0
	s_and_saveexec_b64 s[2:3], vcc
	s_cbranch_execz .LBB560_749
; %bb.744:
	s_movk_i32 s7, 0x80
	v_cmp_ne_u16_e32 vcc, s7, v2
	v_bfrev_b32_e32 v11, 1
	s_and_saveexec_b64 s[8:9], vcc
	s_cbranch_execz .LBB560_748
; %bb.745:
	s_movk_i32 s7, 0x7f
	v_and_b32_e32 v12, 0x7f, v2
	v_cmp_ne_u32_e32 vcc, s7, v12
	v_mov_b32_e32 v11, 0x7f800001
	s_and_saveexec_b64 s[10:11], vcc
	s_cbranch_execz .LBB560_747
; %bb.746:
	v_and_b32_e32 v11, 7, v2
	v_ffbh_u32_e32 v14, v11
	v_min_u32_e32 v16, 32, v14
	v_subrev_u32_e32 v14, 28, v16
	v_lshlrev_b64 v[14:15], v14, v[2:3]
	v_lshrrev_b32_e32 v13, 3, v12
	v_sub_u32_e32 v2, 29, v16
	v_and_b32_e32 v14, 7, v14
	v_cmp_gt_u32_e32 vcc, 8, v12
	v_cndmask_b32_e32 v2, v13, v2, vcc
	v_cndmask_b32_e32 v11, v11, v14, vcc
	v_lshlrev_b32_e32 v12, 16, v4
	v_bfrev_b32_e32 v13, 60
	v_lshlrev_b32_e32 v11, 20, v11
	v_and_b32_e32 v12, 0x80000000, v12
	v_lshl_add_u32 v2, v2, 23, v13
	v_or3_b32 v11, v12, v2, v11
.LBB560_747:
	s_or_b64 exec, exec, s[10:11]
.LBB560_748:
	s_or_b64 exec, exec, s[8:9]
.LBB560_749:
	s_or_b64 exec, exec, s[2:3]
	s_movk_i32 s2, 0xff
	v_and_b32_sdwa v12, v4, s2 dst_sel:DWORD dst_unused:UNUSED_PAD src0_sel:WORD_1 src1_sel:DWORD
	v_lshrrev_b32_e32 v2, 16, v4
	v_cmp_ne_u16_e32 vcc, 0, v12
	s_and_saveexec_b64 s[2:3], vcc
	s_cbranch_execz .LBB560_755
; %bb.750:
	s_movk_i32 s7, 0x80
	v_cmp_ne_u16_e32 vcc, s7, v12
	v_bfrev_b32_e32 v3, 1
	s_and_saveexec_b64 s[8:9], vcc
	s_cbranch_execz .LBB560_754
; %bb.751:
	v_bfe_u32 v12, v4, 16, 7
	s_movk_i32 s7, 0x7f
	v_cmp_ne_u32_e32 vcc, s7, v12
	v_mov_b32_e32 v3, 0x7f800001
	s_and_saveexec_b64 s[10:11], vcc
	s_cbranch_execz .LBB560_753
; %bb.752:
	v_and_b32_e32 v13, 7, v2
	v_ffbh_u32_e32 v3, v13
	v_min_u32_e32 v15, 32, v3
	v_subrev_u32_e32 v3, 28, v15
	v_lshlrev_b64 v[2:3], v3, v[2:3]
	v_lshrrev_b32_e32 v14, 3, v12
	v_sub_u32_e32 v3, 29, v15
	v_and_b32_e32 v2, 7, v2
	v_cmp_gt_u32_e32 vcc, 8, v12
	v_mov_b32_e32 v12, 24
	v_cndmask_b32_e32 v3, v14, v3, vcc
	v_cndmask_b32_e32 v2, v13, v2, vcc
	v_lshlrev_b32_sdwa v12, v12, v4 dst_sel:DWORD dst_unused:UNUSED_PAD src0_sel:DWORD src1_sel:WORD_1
	v_bfrev_b32_e32 v13, 60
	v_lshlrev_b32_e32 v2, 20, v2
	v_and_b32_e32 v12, 0x80000000, v12
	v_lshl_add_u32 v3, v3, 23, v13
	v_or3_b32 v3, v12, v3, v2
.LBB560_753:
	s_or_b64 exec, exec, s[10:11]
.LBB560_754:
	s_or_b64 exec, exec, s[8:9]
.LBB560_755:
	s_or_b64 exec, exec, s[2:3]
	s_mov_b32 s2, 0xffffff
	v_cmp_lt_u32_e32 vcc, s2, v4
	v_mov_b32_e32 v12, 0
	v_mov_b32_e32 v13, 0
	s_and_saveexec_b64 s[2:3], vcc
	s_cbranch_execz .LBB560_761
; %bb.756:
	v_lshrrev_b32_e32 v2, 24, v4
	s_movk_i32 s7, 0x80
	v_cmp_ne_u32_e32 vcc, s7, v2
	v_bfrev_b32_e32 v13, 1
	s_and_saveexec_b64 s[8:9], vcc
	s_cbranch_execz .LBB560_760
; %bb.757:
	v_bfe_u32 v4, v4, 24, 7
	s_movk_i32 s7, 0x7f
	v_cmp_ne_u32_e32 vcc, s7, v4
	v_mov_b32_e32 v13, 0x7f800001
	s_and_saveexec_b64 s[10:11], vcc
	s_cbranch_execz .LBB560_759
; %bb.758:
	v_and_b32_e32 v13, 7, v2
	v_ffbh_u32_e32 v14, v13
	v_min_u32_e32 v17, 32, v14
	v_subrev_u32_e32 v14, 28, v17
	v_lshlrev_b64 v[14:15], v14, v[2:3]
	v_lshrrev_b32_e32 v16, 3, v4
	v_sub_u32_e32 v15, 29, v17
	v_and_b32_e32 v14, 7, v14
	v_cmp_gt_u32_e32 vcc, 8, v4
	v_cndmask_b32_e32 v4, v16, v15, vcc
	v_cndmask_b32_e32 v13, v13, v14, vcc
	v_lshlrev_b32_e32 v2, 24, v2
	v_bfrev_b32_e32 v14, 60
	v_lshlrev_b32_e32 v13, 20, v13
	v_and_b32_e32 v2, 0x80000000, v2
	v_lshl_add_u32 v4, v4, 23, v14
	v_or3_b32 v13, v2, v4, v13
.LBB560_759:
	s_or_b64 exec, exec, s[10:11]
.LBB560_760:
	s_or_b64 exec, exec, s[8:9]
.LBB560_761:
	s_or_b64 exec, exec, s[2:3]
	v_cmp_ne_u16_sdwa s[8:9], v5, v12 src0_sel:BYTE_0 src1_sel:DWORD
	s_and_saveexec_b64 s[2:3], s[8:9]
	s_cbranch_execz .LBB560_767
; %bb.762:
	s_movk_i32 s7, 0x80
	v_cmp_ne_u16_sdwa s[10:11], v5, s7 src0_sel:BYTE_0 src1_sel:DWORD
	v_bfrev_b32_e32 v12, 1
	s_and_saveexec_b64 s[8:9], s[10:11]
	s_cbranch_execz .LBB560_766
; %bb.763:
	s_movk_i32 s7, 0x7f
	v_and_b32_e32 v2, 0x7f, v5
	v_cmp_ne_u32_e32 vcc, s7, v2
	v_mov_b32_e32 v12, 0x7f800001
	s_and_saveexec_b64 s[10:11], vcc
	s_cbranch_execz .LBB560_765
; %bb.764:
	v_and_b32_e32 v12, 7, v5
	v_ffbh_u32_e32 v14, v12
	v_min_u32_e32 v17, 32, v14
	v_mov_b32_e32 v4, v5
	v_subrev_u32_e32 v14, 28, v17
	v_lshlrev_b64 v[14:15], v14, v[4:5]
	v_lshrrev_b32_e32 v16, 3, v2
	v_sub_u32_e32 v4, 29, v17
	v_and_b32_e32 v14, 7, v14
	v_cmp_gt_u32_e32 vcc, 8, v2
	v_cndmask_b32_e32 v2, v16, v4, vcc
	v_cndmask_b32_e32 v4, v12, v14, vcc
	v_lshlrev_b32_e32 v12, 24, v5
	v_bfrev_b32_e32 v14, 60
	v_lshlrev_b32_e32 v4, 20, v4
	v_and_b32_e32 v12, 0x80000000, v12
	v_lshl_add_u32 v2, v2, 23, v14
	v_or3_b32 v12, v12, v2, v4
.LBB560_765:
	s_or_b64 exec, exec, s[10:11]
.LBB560_766:
	s_or_b64 exec, exec, s[8:9]
.LBB560_767:
	s_or_b64 exec, exec, s[2:3]
	v_lshrrev_b16_e32 v2, 8, v5
	v_cmp_ne_u16_e32 vcc, 0, v2
	v_mov_b32_e32 v4, 0
	v_mov_b32_e32 v14, 0
	s_and_saveexec_b64 s[2:3], vcc
	s_cbranch_execz .LBB560_773
; %bb.768:
	s_movk_i32 s7, 0x80
	v_cmp_ne_u16_e32 vcc, s7, v2
	v_bfrev_b32_e32 v14, 1
	s_and_saveexec_b64 s[8:9], vcc
	s_cbranch_execz .LBB560_772
; %bb.769:
	s_movk_i32 s7, 0x7f
	v_and_b32_e32 v15, 0x7f, v2
	v_cmp_ne_u32_e32 vcc, s7, v15
	v_mov_b32_e32 v14, 0x7f800001
	s_and_saveexec_b64 s[10:11], vcc
	s_cbranch_execz .LBB560_771
; %bb.770:
	v_and_b32_e32 v14, 7, v2
	v_ffbh_u32_e32 v16, v14
	v_min_u32_e32 v19, 32, v16
	v_subrev_u32_e32 v16, 28, v19
	v_lshlrev_b64 v[16:17], v16, v[2:3]
	v_lshrrev_b32_e32 v18, 3, v15
	v_sub_u32_e32 v2, 29, v19
	v_and_b32_e32 v16, 7, v16
	v_cmp_gt_u32_e32 vcc, 8, v15
	v_cndmask_b32_e32 v2, v18, v2, vcc
	v_cndmask_b32_e32 v14, v14, v16, vcc
	v_lshlrev_b32_e32 v15, 16, v5
	v_bfrev_b32_e32 v16, 60
	v_lshlrev_b32_e32 v14, 20, v14
	v_and_b32_e32 v15, 0x80000000, v15
	v_lshl_add_u32 v2, v2, 23, v16
	v_or3_b32 v14, v15, v2, v14
.LBB560_771:
	s_or_b64 exec, exec, s[10:11]
.LBB560_772:
	s_or_b64 exec, exec, s[8:9]
.LBB560_773:
	s_or_b64 exec, exec, s[2:3]
	s_movk_i32 s2, 0xff
	v_and_b32_sdwa v15, v5, s2 dst_sel:DWORD dst_unused:UNUSED_PAD src0_sel:WORD_1 src1_sel:DWORD
	v_lshrrev_b32_e32 v2, 16, v5
	v_cmp_ne_u16_e32 vcc, 0, v15
	s_and_saveexec_b64 s[2:3], vcc
	s_cbranch_execz .LBB560_779
; %bb.774:
	s_movk_i32 s7, 0x80
	v_cmp_ne_u16_e32 vcc, s7, v15
	v_bfrev_b32_e32 v4, 1
	s_and_saveexec_b64 s[8:9], vcc
	s_cbranch_execz .LBB560_778
; %bb.775:
	v_bfe_u32 v15, v5, 16, 7
	s_movk_i32 s7, 0x7f
	v_cmp_ne_u32_e32 vcc, s7, v15
	v_mov_b32_e32 v4, 0x7f800001
	s_and_saveexec_b64 s[10:11], vcc
	s_cbranch_execz .LBB560_777
; %bb.776:
	v_and_b32_e32 v4, 7, v2
	v_ffbh_u32_e32 v16, v4
	v_min_u32_e32 v19, 32, v16
	v_subrev_u32_e32 v16, 28, v19
	v_lshlrev_b64 v[16:17], v16, v[2:3]
	v_lshrrev_b32_e32 v18, 3, v15
	v_sub_u32_e32 v2, 29, v19
	v_and_b32_e32 v16, 7, v16
	v_cmp_gt_u32_e32 vcc, 8, v15
	v_mov_b32_e32 v15, 24
	v_cndmask_b32_e32 v2, v18, v2, vcc
	v_cndmask_b32_e32 v4, v4, v16, vcc
	v_lshlrev_b32_sdwa v15, v15, v5 dst_sel:DWORD dst_unused:UNUSED_PAD src0_sel:DWORD src1_sel:WORD_1
	v_bfrev_b32_e32 v16, 60
	v_lshlrev_b32_e32 v4, 20, v4
	v_and_b32_e32 v15, 0x80000000, v15
	v_lshl_add_u32 v2, v2, 23, v16
	v_or3_b32 v4, v15, v2, v4
.LBB560_777:
	s_or_b64 exec, exec, s[10:11]
.LBB560_778:
	s_or_b64 exec, exec, s[8:9]
.LBB560_779:
	s_or_b64 exec, exec, s[2:3]
	s_mov_b32 s2, 0xffffff
	v_cmp_lt_u32_e32 vcc, s2, v5
	v_mov_b32_e32 v15, 0
	s_and_saveexec_b64 s[2:3], vcc
	s_cbranch_execz .LBB560_785
; %bb.780:
	v_lshrrev_b32_e32 v2, 24, v5
	s_movk_i32 s7, 0x80
	v_cmp_ne_u32_e32 vcc, s7, v2
	v_bfrev_b32_e32 v15, 1
	s_and_saveexec_b64 s[8:9], vcc
	s_cbranch_execz .LBB560_784
; %bb.781:
	v_bfe_u32 v5, v5, 24, 7
	s_movk_i32 s7, 0x7f
	v_cmp_ne_u32_e32 vcc, s7, v5
	v_mov_b32_e32 v15, 0x7f800001
	s_and_saveexec_b64 s[10:11], vcc
	s_cbranch_execz .LBB560_783
; %bb.782:
	v_and_b32_e32 v15, 7, v2
	v_ffbh_u32_e32 v16, v15
	v_min_u32_e32 v19, 32, v16
	v_subrev_u32_e32 v16, 28, v19
	v_lshlrev_b64 v[16:17], v16, v[2:3]
	v_lshrrev_b32_e32 v18, 3, v5
	v_sub_u32_e32 v17, 29, v19
	v_and_b32_e32 v16, 7, v16
	v_cmp_gt_u32_e32 vcc, 8, v5
	v_cndmask_b32_e32 v5, v18, v17, vcc
	v_cndmask_b32_e32 v15, v15, v16, vcc
	v_lshlrev_b32_e32 v2, 24, v2
	v_bfrev_b32_e32 v16, 60
	v_lshlrev_b32_e32 v15, 20, v15
	v_and_b32_e32 v2, 0x80000000, v2
	v_lshl_add_u32 v5, v5, 23, v16
	v_or3_b32 v15, v2, v5, v15
.LBB560_783:
	s_or_b64 exec, exec, s[10:11]
.LBB560_784:
	s_or_b64 exec, exec, s[8:9]
.LBB560_785:
	s_or_b64 exec, exec, s[2:3]
	v_cvt_pkrtz_f16_f32 v2, v10, v11
	v_cvt_pkrtz_f16_f32 v3, v3, v13
	ds_read_b128 v[16:19], v22 offset:6160
	s_load_dword s2, s[42:43], 0x0
	v_cmp_gt_u32_e32 vcc, 64, v0
	s_waitcnt lgkmcnt(0)
	v_mfma_f32_16x16x16f16 v[6:9], v[2:3], v[16:17], v[6:9]
	v_cvt_pkrtz_f16_f32 v2, v12, v14
	v_cvt_pkrtz_f16_f32 v3, v4, v15
	s_barrier
	s_nop 0
	v_mfma_f32_16x16x16f16 v[2:5], v[2:3], v[18:19], v[6:9]
	s_nop 7
	s_nop 2
	v_pk_mul_f32 v[4:5], v[4:5], s[2:3] op_sel_hi:[1,0]
	v_pk_mul_f32 v[2:3], v[2:3], s[2:3] op_sel_hi:[1,0]
	v_cvt_f16_f32_e32 v2, v2
	v_cvt_f16_f32_e32 v3, v3
	v_cvt_f16_f32_e32 v4, v4
	v_cvt_f16_f32_e32 v5, v5
	v_cmp_ne_u32_e64 s[2:3], 3, v47
	s_and_b64 s[2:3], s[2:3], vcc
	v_pack_b32_f16 v2, v2, v3
	v_pack_b32_f16 v3, v4, v5
	s_and_b64 s[0:1], s[2:3], s[0:1]
	ds_write_b64 v26, v[2:3]
	s_waitcnt lgkmcnt(0)
	s_barrier
	s_and_saveexec_b64 s[2:3], s[0:1]
	s_cbranch_execz .LBB560_787
; %bb.786:
	s_load_dwordx2 s[0:1], s[4:5], 0x68
	s_mul_i32 s2, s12, s6
	s_lshl_b32 s4, s44, 6
	s_mul_hi_u32 s3, s2, s4
	s_mul_i32 s2, s2, s4
	s_lshl_b64 s[2:3], s[2:3], 1
	s_waitcnt lgkmcnt(0)
	s_add_u32 s2, s0, s2
	v_lshlrev_b32_e32 v0, 10, v0
	s_addc_u32 s3, s1, s3
	s_lshl_b32 s0, s24, 6
	s_mov_b32 s1, 0
	v_and_b32_e32 v0, 0x1800, v0
	v_lshlrev_b32_e32 v2, 5, v47
	v_and_b32_e32 v3, 16, v48
	s_lshl_b64 s[0:1], s[0:1], 1
	v_or3_b32 v0, v0, v2, v3
	s_add_u32 s2, s2, s0
	ds_read_b128 v[2:5], v0
	s_addc_u32 s3, s3, s1
	v_mad_u64_u32 v[0:1], s[0:1], s4, v1, 0
	v_lshlrev_b64 v[0:1], 1, v[0:1]
	v_mov_b32_e32 v6, s3
	v_add_co_u32_e32 v0, vcc, s2, v0
	v_addc_co_u32_e32 v1, vcc, v6, v1, vcc
	v_add_co_u32_e32 v0, vcc, v0, v46
	v_addc_co_u32_e32 v1, vcc, 0, v1, vcc
	s_waitcnt lgkmcnt(0)
	global_store_dwordx4 v[0:1], v[2:5], off
.LBB560_787:
	s_endpgm
	.section	.rodata,"a",@progbits
	.p2align	6, 0x0
	.amdhsa_kernel _Z39paged_attention_ll4mi_QKV_mfma16_kernelIDF16_hLN4vllm18Fp8KVCacheDataTypeE1EDF16_Li16ELi64ELi256ELb1ELi3EL8MFMAType0EEvPKT_PKT0_S8_ifPKiSA_SA_iPKfiiiPfSD_PS3_PT2_iSC_SC_
		.amdhsa_group_segment_fixed_size 8192
		.amdhsa_private_segment_fixed_size 0
		.amdhsa_kernarg_size 400
		.amdhsa_user_sgpr_count 6
		.amdhsa_user_sgpr_private_segment_buffer 1
		.amdhsa_user_sgpr_dispatch_ptr 0
		.amdhsa_user_sgpr_queue_ptr 0
		.amdhsa_user_sgpr_kernarg_segment_ptr 1
		.amdhsa_user_sgpr_dispatch_id 0
		.amdhsa_user_sgpr_flat_scratch_init 0
		.amdhsa_user_sgpr_kernarg_preload_length 0
		.amdhsa_user_sgpr_kernarg_preload_offset 0
		.amdhsa_user_sgpr_private_segment_size 0
		.amdhsa_uses_dynamic_stack 0
		.amdhsa_system_sgpr_private_segment_wavefront_offset 0
		.amdhsa_system_sgpr_workgroup_id_x 1
		.amdhsa_system_sgpr_workgroup_id_y 1
		.amdhsa_system_sgpr_workgroup_id_z 1
		.amdhsa_system_sgpr_workgroup_info 0
		.amdhsa_system_vgpr_workitem_id 0
		.amdhsa_next_free_vgpr 63
		.amdhsa_next_free_sgpr 47
		.amdhsa_accum_offset 64
		.amdhsa_reserve_vcc 1
		.amdhsa_reserve_flat_scratch 0
		.amdhsa_float_round_mode_32 0
		.amdhsa_float_round_mode_16_64 0
		.amdhsa_float_denorm_mode_32 3
		.amdhsa_float_denorm_mode_16_64 3
		.amdhsa_dx10_clamp 1
		.amdhsa_ieee_mode 1
		.amdhsa_fp16_overflow 0
		.amdhsa_tg_split 0
		.amdhsa_exception_fp_ieee_invalid_op 0
		.amdhsa_exception_fp_denorm_src 0
		.amdhsa_exception_fp_ieee_div_zero 0
		.amdhsa_exception_fp_ieee_overflow 0
		.amdhsa_exception_fp_ieee_underflow 0
		.amdhsa_exception_fp_ieee_inexact 0
		.amdhsa_exception_int_div_zero 0
	.end_amdhsa_kernel
	.section	.text._Z39paged_attention_ll4mi_QKV_mfma16_kernelIDF16_hLN4vllm18Fp8KVCacheDataTypeE1EDF16_Li16ELi64ELi256ELb1ELi3EL8MFMAType0EEvPKT_PKT0_S8_ifPKiSA_SA_iPKfiiiPfSD_PS3_PT2_iSC_SC_,"axG",@progbits,_Z39paged_attention_ll4mi_QKV_mfma16_kernelIDF16_hLN4vllm18Fp8KVCacheDataTypeE1EDF16_Li16ELi64ELi256ELb1ELi3EL8MFMAType0EEvPKT_PKT0_S8_ifPKiSA_SA_iPKfiiiPfSD_PS3_PT2_iSC_SC_,comdat
.Lfunc_end560:
	.size	_Z39paged_attention_ll4mi_QKV_mfma16_kernelIDF16_hLN4vllm18Fp8KVCacheDataTypeE1EDF16_Li16ELi64ELi256ELb1ELi3EL8MFMAType0EEvPKT_PKT0_S8_ifPKiSA_SA_iPKfiiiPfSD_PS3_PT2_iSC_SC_, .Lfunc_end560-_Z39paged_attention_ll4mi_QKV_mfma16_kernelIDF16_hLN4vllm18Fp8KVCacheDataTypeE1EDF16_Li16ELi64ELi256ELb1ELi3EL8MFMAType0EEvPKT_PKT0_S8_ifPKiSA_SA_iPKfiiiPfSD_PS3_PT2_iSC_SC_
                                        ; -- End function
	.section	.AMDGPU.csdata,"",@progbits
; Kernel info:
; codeLenInByte = 27208
; NumSgprs: 51
; NumVgprs: 63
; NumAgprs: 0
; TotalNumVgprs: 63
; ScratchSize: 0
; MemoryBound: 0
; FloatMode: 240
; IeeeMode: 1
; LDSByteSize: 8192 bytes/workgroup (compile time only)
; SGPRBlocks: 6
; VGPRBlocks: 7
; NumSGPRsForWavesPerEU: 51
; NumVGPRsForWavesPerEU: 63
; AccumOffset: 64
; Occupancy: 8
; WaveLimiterHint : 1
; COMPUTE_PGM_RSRC2:SCRATCH_EN: 0
; COMPUTE_PGM_RSRC2:USER_SGPR: 6
; COMPUTE_PGM_RSRC2:TRAP_HANDLER: 0
; COMPUTE_PGM_RSRC2:TGID_X_EN: 1
; COMPUTE_PGM_RSRC2:TGID_Y_EN: 1
; COMPUTE_PGM_RSRC2:TGID_Z_EN: 1
; COMPUTE_PGM_RSRC2:TIDIG_COMP_CNT: 0
; COMPUTE_PGM_RSRC3_GFX90A:ACCUM_OFFSET: 15
; COMPUTE_PGM_RSRC3_GFX90A:TG_SPLIT: 0
	.section	.text._Z39paged_attention_ll4mi_QKV_mfma16_kernelIDF16_hLN4vllm18Fp8KVCacheDataTypeE1EDF16_Li16ELi64ELi256ELb1ELi4EL8MFMAType0EEvPKT_PKT0_S8_ifPKiSA_SA_iPKfiiiPfSD_PS3_PT2_iSC_SC_,"axG",@progbits,_Z39paged_attention_ll4mi_QKV_mfma16_kernelIDF16_hLN4vllm18Fp8KVCacheDataTypeE1EDF16_Li16ELi64ELi256ELb1ELi4EL8MFMAType0EEvPKT_PKT0_S8_ifPKiSA_SA_iPKfiiiPfSD_PS3_PT2_iSC_SC_,comdat
	.protected	_Z39paged_attention_ll4mi_QKV_mfma16_kernelIDF16_hLN4vllm18Fp8KVCacheDataTypeE1EDF16_Li16ELi64ELi256ELb1ELi4EL8MFMAType0EEvPKT_PKT0_S8_ifPKiSA_SA_iPKfiiiPfSD_PS3_PT2_iSC_SC_ ; -- Begin function _Z39paged_attention_ll4mi_QKV_mfma16_kernelIDF16_hLN4vllm18Fp8KVCacheDataTypeE1EDF16_Li16ELi64ELi256ELb1ELi4EL8MFMAType0EEvPKT_PKT0_S8_ifPKiSA_SA_iPKfiiiPfSD_PS3_PT2_iSC_SC_
	.globl	_Z39paged_attention_ll4mi_QKV_mfma16_kernelIDF16_hLN4vllm18Fp8KVCacheDataTypeE1EDF16_Li16ELi64ELi256ELb1ELi4EL8MFMAType0EEvPKT_PKT0_S8_ifPKiSA_SA_iPKfiiiPfSD_PS3_PT2_iSC_SC_
	.p2align	8
	.type	_Z39paged_attention_ll4mi_QKV_mfma16_kernelIDF16_hLN4vllm18Fp8KVCacheDataTypeE1EDF16_Li16ELi64ELi256ELb1ELi4EL8MFMAType0EEvPKT_PKT0_S8_ifPKiSA_SA_iPKfiiiPfSD_PS3_PT2_iSC_SC_,@function
_Z39paged_attention_ll4mi_QKV_mfma16_kernelIDF16_hLN4vllm18Fp8KVCacheDataTypeE1EDF16_Li16ELi64ELi256ELb1ELi4EL8MFMAType0EEvPKT_PKT0_S8_ifPKiSA_SA_iPKfiiiPfSD_PS3_PT2_iSC_SC_: ; @_Z39paged_attention_ll4mi_QKV_mfma16_kernelIDF16_hLN4vllm18Fp8KVCacheDataTypeE1EDF16_Li16ELi64ELi256ELb1ELi4EL8MFMAType0EEvPKT_PKT0_S8_ifPKiSA_SA_iPKfiiiPfSD_PS3_PT2_iSC_SC_
; %bb.0:
	s_load_dwordx2 s[0:1], s[4:5], 0x30
	s_mov_b32 s22, s7
	s_mov_b64 s[10:11], 0
	s_waitcnt lgkmcnt(0)
	s_cmp_lg_u64 s[0:1], 0
	s_cselect_b64 s[2:3], -1, 0
	s_and_b64 vcc, exec, s[2:3]
	s_cbranch_vccz .LBB561_7
; %bb.1:
	s_add_i32 s12, s6, 1
	s_mov_b32 s13, 0
	s_lshl_b64 s[14:15], s[12:13], 2
	s_add_u32 s14, s0, s14
	s_mov_b32 s7, s13
	s_addc_u32 s15, s1, s15
	s_lshl_b64 s[12:13], s[6:7], 2
	s_add_u32 s12, s0, s12
	s_addc_u32 s13, s1, s13
	s_load_dword s9, s[14:15], 0x0
	s_load_dword s16, s[12:13], 0x0
	s_waitcnt lgkmcnt(0)
	s_sub_i32 s9, s9, s16
	s_cmp_eq_u32 s9, 1
	s_cselect_b64 s[12:13], -1, 0
	s_andn2_b64 vcc, exec, s[10:11]
	s_cbranch_vccnz .LBB561_3
.LBB561_2:
	s_mov_b32 s7, 0
	s_mov_b64 s[12:13], -1
.LBB561_3:
	s_andn2_b64 vcc, exec, s[12:13]
	s_cbranch_vccnz .LBB561_787
; %bb.4:
	s_load_dwordx2 s[12:13], s[4:5], 0x28
	s_lshl_b64 s[10:11], s[6:7], 2
	s_waitcnt lgkmcnt(0)
	s_add_u32 s12, s12, s10
	s_addc_u32 s13, s13, s11
	s_load_dword s33, s[12:13], 0x0
	s_lshl_b32 s18, s22, 8
	s_waitcnt lgkmcnt(0)
	s_cmp_ge_i32 s18, s33
	s_cbranch_scc1 .LBB561_787
; %bb.5:
	s_add_i32 s14, s33, 15
	s_load_dwordx2 s[12:13], s[4:5], 0x20
	s_load_dword s9, s[4:5], 0x38
	s_ashr_i32 s15, s14, 31
	v_and_b32_e32 v1, 0xcf, v0
	s_lshr_b32 s15, s15, 28
	v_add_u32_e32 v1, s18, v1
	s_add_i32 s14, s14, s15
	v_ashrrev_i32_e32 v2, 31, v1
	s_ashr_i32 s20, s14, 4
	v_lshrrev_b32_e32 v4, 28, v2
	s_add_i32 s20, s20, -1
	v_add_u32_e32 v2, v1, v4
	s_waitcnt lgkmcnt(0)
	s_mul_i32 s14, s6, s9
	s_mov_b32 s15, 0
	v_ashrrev_i32_e32 v2, 4, v2
	v_mov_b32_e32 v5, s20
	v_cmp_gt_i32_e32 vcc, s33, v1
	s_lshl_b64 s[14:15], s[14:15], 2
	v_cndmask_b32_e32 v2, v5, v2, vcc
	s_add_u32 s9, s12, s14
	v_ashrrev_i32_e32 v3, 31, v2
	s_addc_u32 s19, s13, s15
	v_lshlrev_b64 v[2:3], 2, v[2:3]
	v_mov_b32_e32 v7, s19
	v_add_co_u32_e32 v6, vcc, s9, v2
	v_or_b32_e32 v2, 16, v1
	v_addc_co_u32_e32 v7, vcc, v7, v3, vcc
	v_add_u32_e32 v3, v2, v4
	v_ashrrev_i32_e32 v3, 4, v3
	v_cmp_gt_i32_e32 vcc, s33, v2
	v_cndmask_b32_e32 v2, v5, v3, vcc
	v_ashrrev_i32_e32 v3, 31, v2
	v_lshlrev_b64 v[2:3], 2, v[2:3]
	v_mov_b32_e32 v9, s19
	v_add_co_u32_e32 v8, vcc, s9, v2
	v_or_b32_e32 v2, 32, v1
	v_addc_co_u32_e32 v9, vcc, v9, v3, vcc
	v_add_u32_e32 v3, v2, v4
	v_ashrrev_i32_e32 v3, 4, v3
	v_cmp_gt_i32_e32 vcc, s33, v2
	v_cndmask_b32_e32 v2, v5, v3, vcc
	v_ashrrev_i32_e32 v3, 31, v2
	;; [unrolled: 10-line block ×3, first 2 shown]
	v_lshlrev_b64 v[2:3], 2, v[2:3]
	v_mov_b32_e32 v1, s19
	v_add_co_u32_e32 v12, vcc, s9, v2
	v_addc_co_u32_e32 v13, vcc, v1, v3, vcc
	global_load_dword v5, v[6:7], off
	global_load_dword v4, v[8:9], off
	;; [unrolled: 1-line block ×4, first 2 shown]
	s_load_dwordx2 s[16:17], s[4:5], 0x8
	s_andn2_b64 vcc, exec, s[2:3]
	s_cbranch_vccnz .LBB561_8
; %bb.6:
	s_add_u32 s0, s0, s10
	s_addc_u32 s1, s1, s11
	s_load_dword s10, s[0:1], 0x0
	s_branch .LBB561_9
.LBB561_7:
	s_mov_b64 s[12:13], 0
	s_branch .LBB561_2
.LBB561_8:
	s_mov_b32 s10, s6
.LBB561_9:
	s_load_dwordx2 s[2:3], s[4:5], 0x10
	s_load_dwordx4 s[12:15], s[4:5], 0x48
	v_and_b32_e32 v51, 15, v0
	v_bfe_u32 v49, v0, 4, 2
	s_lshl_b32 s23, s8, 2
	v_lshlrev_b32_e32 v6, 3, v51
	v_cmp_gt_u32_e32 vcc, 64, v0
	v_cmp_gt_u32_e64 s[0:1], 8, v51
	v_lshrrev_b32_e32 v50, 6, v0
	v_or_b32_e32 v1, s23, v49
	s_and_b64 s[44:45], vcc, s[0:1]
	v_lshlrev_b32_e32 v46, 1, v6
	v_lshlrev_b32_e32 v47, 5, v49
	;; [unrolled: 1-line block ×3, first 2 shown]
	s_and_saveexec_b64 s[0:1], s[44:45]
	s_cbranch_execz .LBB561_11
; %bb.10:
	s_load_dwordx2 s[24:25], s[4:5], 0x0
	s_waitcnt lgkmcnt(0)
	s_ashr_i32 s11, s12, 31
	s_mul_hi_u32 s15, s10, s12
	s_mul_i32 s11, s10, s11
	s_add_i32 s11, s15, s11
	s_mul_i32 s10, s10, s12
	s_lshl_b64 s[10:11], s[10:11], 1
	v_lshlrev_b32_e32 v6, 6, v1
	s_add_u32 s10, s24, s10
	v_ashrrev_i32_e32 v7, 31, v6
	s_addc_u32 s11, s25, s11
	v_lshlrev_b64 v[6:7], 1, v[6:7]
	v_mov_b32_e32 v8, s11
	v_add_co_u32_e32 v6, vcc, s10, v6
	v_addc_co_u32_e32 v7, vcc, v8, v7, vcc
	v_add_co_u32_e32 v6, vcc, v6, v46
	v_addc_co_u32_e32 v7, vcc, 0, v7, vcc
	global_load_dwordx4 v[6:9], v[6:7], off
	v_lshlrev_b32_e32 v12, 8, v51
	v_lshl_or_b32 v10, v50, 7, v47
	v_and_b32_e32 v11, 16, v48
	v_and_b32_e32 v12, 0xe00, v12
	v_or3_b32 v10, v12, v10, v11
	s_waitcnt vmcnt(0)
	ds_write_b128 v10, v[6:9]
.LBB561_11:
	s_or_b64 exec, exec, s[0:1]
	s_waitcnt lgkmcnt(0)
	s_mul_i32 s8, s8, s14
	s_add_u32 s0, s16, s8
	s_addc_u32 s1, s17, 0
	v_and_b32_e32 v7, 0xf0, v48
	v_and_b32_e32 v6, 48, v0
	v_mov_b32_e32 v8, s1
	v_add_co_u32_e32 v7, vcc, s0, v7
	v_addc_co_u32_e32 v9, vcc, 0, v8, vcc
	v_lshlrev_b32_e32 v8, 4, v6
	v_add_co_u32_e32 v8, vcc, v7, v8
	v_addc_co_u32_e32 v9, vcc, 0, v9, vcc
	s_waitcnt vmcnt(3)
	v_mad_i64_i32 v[10:11], s[0:1], v5, s13, v[8:9]
	s_waitcnt vmcnt(2)
	v_mad_i64_i32 v[4:5], s[0:1], v4, s13, v[8:9]
	s_barrier
	global_load_dwordx4 v[34:37], v[10:11], off
	global_load_dwordx4 v[38:41], v[4:5], off
	s_waitcnt vmcnt(3)
	v_mad_i64_i32 v[4:5], s[0:1], v2, s13, v[8:9]
	s_waitcnt vmcnt(2)
	v_mad_i64_i32 v[2:3], s[0:1], v3, s13, v[8:9]
	global_load_dwordx4 v[30:33], v[4:5], off
	global_load_dwordx4 v[22:25], v[2:3], off
	v_and_b32_e32 v2, 3, v0
	v_lshlrev_b32_e32 v2, 5, v2
	v_lshl_or_b32 v2, v49, 9, v2
	ds_read_b128 v[26:29], v2
	ds_read_b128 v[18:21], v2 offset:16
	v_cmp_gt_u32_e32 vcc, 4, v51
	v_mov_b32_e32 v43, 0
	v_mov_b32_e32 v52, 0
	s_and_saveexec_b64 s[0:1], vcc
	s_cbranch_execz .LBB561_13
; %bb.12:
	s_load_dwordx2 s[10:11], s[4:5], 0x40
	v_or_b32_e32 v2, s23, v51
	v_ashrrev_i32_e32 v3, 31, v2
	v_lshlrev_b64 v[2:3], 2, v[2:3]
	s_waitcnt lgkmcnt(0)
	v_mov_b32_e32 v4, s11
	v_add_co_u32_e32 v2, vcc, s10, v2
	v_addc_co_u32_e32 v3, vcc, v4, v3, vcc
	global_load_dword v52, v[2:3], off
.LBB561_13:
	s_or_b64 exec, exec, s[0:1]
	v_or_b32_e32 v8, s18, v6
	v_ashrrev_i32_e32 v2, 4, v8
	v_mov_b32_e32 v9, s20
	v_cmp_gt_i32_e32 vcc, s33, v8
	v_cndmask_b32_e32 v2, v9, v2, vcc
	v_ashrrev_i32_e32 v3, 31, v2
	v_lshlrev_b64 v[2:3], 2, v[2:3]
	v_mov_b32_e32 v4, s19
	v_add_co_u32_e32 v2, vcc, s9, v2
	v_addc_co_u32_e32 v3, vcc, v4, v3, vcc
	v_or_b32_e32 v4, 64, v8
	v_ashrrev_i32_e32 v5, 4, v4
	v_cmp_gt_i32_e32 vcc, s33, v4
	v_cndmask_b32_e32 v4, v9, v5, vcc
	v_ashrrev_i32_e32 v5, 31, v4
	v_lshlrev_b64 v[4:5], 2, v[4:5]
	v_mov_b32_e32 v6, s19
	v_add_co_u32_e32 v4, vcc, s9, v4
	v_addc_co_u32_e32 v5, vcc, v6, v5, vcc
	v_or_b32_e32 v6, 0x80, v8
	v_ashrrev_i32_e32 v7, 4, v6
	v_cmp_gt_i32_e32 vcc, s33, v6
	v_cndmask_b32_e32 v6, v9, v7, vcc
	v_ashrrev_i32_e32 v7, 31, v6
	v_lshlrev_b64 v[6:7], 2, v[6:7]
	v_mov_b32_e32 v10, s19
	v_add_co_u32_e32 v6, vcc, s9, v6
	v_addc_co_u32_e32 v7, vcc, v10, v7, vcc
	global_load_dword v10, v[2:3], off
	global_load_dword v11, v[4:5], off
	;; [unrolled: 1-line block ×3, first 2 shown]
	v_or_b32_e32 v2, 0xc0, v8
	v_ashrrev_i32_e32 v3, 4, v2
	v_cmp_gt_i32_e32 vcc, s33, v2
	v_cndmask_b32_e32 v2, v9, v3, vcc
	v_ashrrev_i32_e32 v3, 31, v2
	v_lshlrev_b64 v[2:3], 2, v[2:3]
	v_mov_b32_e32 v4, s19
	v_add_co_u32_e32 v2, vcc, s9, v2
	v_addc_co_u32_e32 v3, vcc, v4, v3, vcc
	global_load_dword v13, v[2:3], off
	s_add_u32 s0, s2, s8
	v_lshlrev_b32_e32 v2, 4, v51
	s_addc_u32 s1, s3, 0
	v_lshl_or_b32 v2, v50, 8, v2
	v_mov_b32_e32 v3, s1
	v_add_co_u32_e32 v2, vcc, s0, v2
	v_addc_co_u32_e32 v3, vcc, 0, v3, vcc
	s_movk_i32 s2, 0x80
	s_waitcnt vmcnt(7)
	v_cmp_ne_u16_sdwa s[8:9], v34, v43 src0_sel:BYTE_0 src1_sel:DWORD
	s_waitcnt vmcnt(3)
	v_mad_i64_i32 v[4:5], s[0:1], v10, s13, v[2:3]
	s_waitcnt vmcnt(2)
	v_mad_i64_i32 v[6:7], s[0:1], v11, s13, v[2:3]
	s_waitcnt vmcnt(1)
	v_mad_i64_i32 v[8:9], s[0:1], v12, s13, v[2:3]
	s_waitcnt vmcnt(0)
	v_mad_i64_i32 v[2:3], s[0:1], v13, s13, v[2:3]
	global_load_dwordx4 v[14:17], v[4:5], off
	global_load_dwordx4 v[10:13], v[6:7], off
	s_nop 0
	global_load_dwordx4 v[6:9], v[8:9], off
	s_nop 0
	global_load_dwordx4 v[2:5], v[2:3], off
	s_load_dwordx4 s[40:43], s[4:5], 0x80
	s_load_dwordx2 s[46:47], s[4:5], 0x94
	s_waitcnt lgkmcnt(0)
	s_load_dword s10, s[40:41], 0x0
	s_and_saveexec_b64 s[0:1], s[8:9]
	s_cbranch_execz .LBB561_19
; %bb.14:
	v_cmp_ne_u16_sdwa s[8:9], v34, s2 src0_sel:BYTE_0 src1_sel:DWORD
	v_bfrev_b32_e32 v43, 1
	s_and_saveexec_b64 s[2:3], s[8:9]
	s_cbranch_execz .LBB561_18
; %bb.15:
	s_movk_i32 s8, 0x7f
	v_and_b32_e32 v42, 0x7f, v34
	v_cmp_ne_u32_e32 vcc, s8, v42
	v_mov_b32_e32 v43, 0x7f800001
	s_and_saveexec_b64 s[8:9], vcc
	s_cbranch_execz .LBB561_17
; %bb.16:
	v_and_b32_e32 v43, 7, v34
	v_ffbh_u32_e32 v44, v43
	v_min_u32_e32 v54, 32, v44
	v_subrev_u32_e32 v44, 28, v54
	v_lshlrev_b64 v[44:45], v44, v[34:35]
	v_lshrrev_b32_e32 v53, 3, v42
	v_sub_u32_e32 v45, 29, v54
	v_and_b32_e32 v44, 7, v44
	v_cmp_gt_u32_e32 vcc, 8, v42
	v_cndmask_b32_e32 v42, v53, v45, vcc
	v_cndmask_b32_e32 v43, v43, v44, vcc
	v_lshlrev_b32_e32 v44, 24, v34
	v_bfrev_b32_e32 v45, 60
	v_lshlrev_b32_e32 v43, 20, v43
	v_and_b32_e32 v44, 0x80000000, v44
	v_lshl_add_u32 v42, v42, 23, v45
	v_or3_b32 v43, v44, v42, v43
.LBB561_17:
	s_or_b64 exec, exec, s[8:9]
.LBB561_18:
	s_or_b64 exec, exec, s[2:3]
.LBB561_19:
	s_or_b64 exec, exec, s[0:1]
	v_lshrrev_b16_e32 v42, 8, v34
	v_cmp_ne_u16_e32 vcc, 0, v42
	v_mov_b32_e32 v44, 0
	v_mov_b32_e32 v45, 0
	s_and_saveexec_b64 s[0:1], vcc
	s_cbranch_execz .LBB561_25
; %bb.20:
	s_movk_i32 s2, 0x80
	v_cmp_ne_u16_sdwa s[8:9], v34, s2 src0_sel:BYTE_1 src1_sel:DWORD
	v_bfrev_b32_e32 v45, 1
	s_and_saveexec_b64 s[2:3], s[8:9]
	s_cbranch_execz .LBB561_24
; %bb.21:
	s_movk_i32 s8, 0x7f
	v_and_b32_e32 v53, 0x7f, v42
	v_cmp_ne_u32_e32 vcc, s8, v53
	v_mov_b32_e32 v45, 0x7f800001
	s_and_saveexec_b64 s[8:9], vcc
	s_cbranch_execz .LBB561_23
; %bb.22:
	v_and_b32_e32 v45, 7, v42
	v_ffbh_u32_e32 v54, v45
	v_min_u32_e32 v57, 32, v54
	v_subrev_u32_e32 v54, 28, v57
	v_lshlrev_b64 v[54:55], v54, v[42:43]
	v_lshrrev_b32_e32 v56, 3, v53
	v_sub_u32_e32 v42, 29, v57
	v_and_b32_e32 v54, 7, v54
	v_cmp_gt_u32_e32 vcc, 8, v53
	v_cndmask_b32_e32 v42, v56, v42, vcc
	v_cndmask_b32_e32 v45, v45, v54, vcc
	v_lshlrev_b32_e32 v53, 16, v34
	v_bfrev_b32_e32 v54, 60
	v_lshlrev_b32_e32 v45, 20, v45
	v_and_b32_e32 v53, 0x80000000, v53
	v_lshl_add_u32 v42, v42, 23, v54
	v_or3_b32 v45, v53, v42, v45
.LBB561_23:
	s_or_b64 exec, exec, s[8:9]
.LBB561_24:
	s_or_b64 exec, exec, s[2:3]
.LBB561_25:
	s_or_b64 exec, exec, s[0:1]
	s_movk_i32 s0, 0xff
	v_and_b32_sdwa v53, v34, s0 dst_sel:DWORD dst_unused:UNUSED_PAD src0_sel:WORD_1 src1_sel:DWORD
	v_lshrrev_b32_e32 v42, 16, v34
	v_cmp_ne_u16_e32 vcc, 0, v53
	s_and_saveexec_b64 s[0:1], vcc
	s_cbranch_execz .LBB561_31
; %bb.26:
	s_movk_i32 s2, 0x80
	v_cmp_ne_u16_e32 vcc, s2, v53
	v_bfrev_b32_e32 v44, 1
	s_and_saveexec_b64 s[2:3], vcc
	s_cbranch_execz .LBB561_30
; %bb.27:
	v_bfe_u32 v53, v34, 16, 7
	s_movk_i32 s8, 0x7f
	v_cmp_ne_u32_e32 vcc, s8, v53
	v_mov_b32_e32 v44, 0x7f800001
	s_and_saveexec_b64 s[8:9], vcc
	s_cbranch_execz .LBB561_29
; %bb.28:
	v_and_b32_e32 v44, 7, v42
	v_ffbh_u32_e32 v54, v44
	v_min_u32_e32 v57, 32, v54
	v_subrev_u32_e32 v54, 28, v57
	v_lshlrev_b64 v[54:55], v54, v[42:43]
	v_lshrrev_b32_e32 v56, 3, v53
	v_sub_u32_e32 v42, 29, v57
	v_and_b32_e32 v54, 7, v54
	v_cmp_gt_u32_e32 vcc, 8, v53
	v_mov_b32_e32 v53, 24
	v_cndmask_b32_e32 v42, v56, v42, vcc
	v_cndmask_b32_e32 v44, v44, v54, vcc
	v_lshlrev_b32_sdwa v53, v53, v34 dst_sel:DWORD dst_unused:UNUSED_PAD src0_sel:DWORD src1_sel:WORD_1
	v_bfrev_b32_e32 v54, 60
	v_lshlrev_b32_e32 v44, 20, v44
	v_and_b32_e32 v53, 0x80000000, v53
	v_lshl_add_u32 v42, v42, 23, v54
	v_or3_b32 v44, v53, v42, v44
.LBB561_29:
	s_or_b64 exec, exec, s[8:9]
.LBB561_30:
	s_or_b64 exec, exec, s[2:3]
.LBB561_31:
	s_or_b64 exec, exec, s[0:1]
	s_mov_b32 s0, 0xffffff
	v_cmp_lt_u32_e32 vcc, s0, v34
	v_mov_b32_e32 v54, 0
	v_mov_b32_e32 v55, 0
	s_and_saveexec_b64 s[0:1], vcc
	s_cbranch_execz .LBB561_37
; %bb.32:
	v_lshrrev_b32_e32 v42, 24, v34
	s_movk_i32 s2, 0x80
	v_cmp_ne_u32_e32 vcc, s2, v42
	v_bfrev_b32_e32 v55, 1
	s_and_saveexec_b64 s[2:3], vcc
	s_cbranch_execz .LBB561_36
; %bb.33:
	v_bfe_u32 v34, v34, 24, 7
	s_movk_i32 s8, 0x7f
	v_cmp_ne_u32_e32 vcc, s8, v34
	v_mov_b32_e32 v55, 0x7f800001
	s_and_saveexec_b64 s[8:9], vcc
	s_cbranch_execz .LBB561_35
; %bb.34:
	v_and_b32_e32 v53, 7, v42
	v_ffbh_u32_e32 v56, v53
	v_min_u32_e32 v58, 32, v56
	v_subrev_u32_e32 v56, 28, v58
	v_lshlrev_b64 v[56:57], v56, v[42:43]
	v_lshrrev_b32_e32 v55, 3, v34
	v_sub_u32_e32 v57, 29, v58
	v_and_b32_e32 v56, 7, v56
	v_cmp_gt_u32_e32 vcc, 8, v34
	v_cndmask_b32_e32 v34, v55, v57, vcc
	v_cndmask_b32_e32 v53, v53, v56, vcc
	v_lshlrev_b32_e32 v42, 24, v42
	v_bfrev_b32_e32 v55, 60
	v_lshlrev_b32_e32 v53, 20, v53
	v_and_b32_e32 v42, 0x80000000, v42
	v_lshl_add_u32 v34, v34, 23, v55
	v_or3_b32 v55, v42, v34, v53
.LBB561_35:
	s_or_b64 exec, exec, s[8:9]
.LBB561_36:
	s_or_b64 exec, exec, s[2:3]
.LBB561_37:
	s_or_b64 exec, exec, s[0:1]
	v_cmp_ne_u16_sdwa s[2:3], v35, v54 src0_sel:BYTE_0 src1_sel:DWORD
	s_and_saveexec_b64 s[0:1], s[2:3]
	s_cbranch_execz .LBB561_43
; %bb.38:
	s_movk_i32 s2, 0x80
	v_cmp_ne_u16_sdwa s[8:9], v35, s2 src0_sel:BYTE_0 src1_sel:DWORD
	v_bfrev_b32_e32 v54, 1
	s_and_saveexec_b64 s[2:3], s[8:9]
	s_cbranch_execz .LBB561_42
; %bb.39:
	s_movk_i32 s8, 0x7f
	v_and_b32_e32 v34, 0x7f, v35
	v_cmp_ne_u32_e32 vcc, s8, v34
	v_mov_b32_e32 v54, 0x7f800001
	s_and_saveexec_b64 s[8:9], vcc
	s_cbranch_execz .LBB561_41
; %bb.40:
	v_and_b32_e32 v53, 7, v35
	v_ffbh_u32_e32 v56, v53
	v_min_u32_e32 v58, 32, v56
	v_mov_b32_e32 v42, v35
	v_subrev_u32_e32 v56, 28, v58
	v_lshlrev_b64 v[56:57], v56, v[42:43]
	v_lshrrev_b32_e32 v54, 3, v34
	v_sub_u32_e32 v42, 29, v58
	v_and_b32_e32 v56, 7, v56
	v_cmp_gt_u32_e32 vcc, 8, v34
	v_cndmask_b32_e32 v34, v54, v42, vcc
	v_cndmask_b32_e32 v42, v53, v56, vcc
	v_lshlrev_b32_e32 v53, 24, v35
	v_bfrev_b32_e32 v54, 60
	v_lshlrev_b32_e32 v42, 20, v42
	v_and_b32_e32 v53, 0x80000000, v53
	v_lshl_add_u32 v34, v34, 23, v54
	v_or3_b32 v54, v53, v34, v42
.LBB561_41:
	s_or_b64 exec, exec, s[8:9]
.LBB561_42:
	s_or_b64 exec, exec, s[2:3]
.LBB561_43:
	s_or_b64 exec, exec, s[0:1]
	v_lshrrev_b16_e32 v34, 8, v35
	v_cmp_ne_u16_e32 vcc, 0, v34
	v_mov_b32_e32 v42, 0
	v_mov_b32_e32 v56, 0
	s_and_saveexec_b64 s[0:1], vcc
	s_cbranch_execz .LBB561_49
; %bb.44:
	s_movk_i32 s2, 0x80
	v_cmp_ne_u16_e32 vcc, s2, v34
	v_bfrev_b32_e32 v56, 1
	s_and_saveexec_b64 s[2:3], vcc
	s_cbranch_execz .LBB561_48
; %bb.45:
	s_movk_i32 s8, 0x7f
	v_and_b32_e32 v53, 0x7f, v34
	v_cmp_ne_u32_e32 vcc, s8, v53
	v_mov_b32_e32 v56, 0x7f800001
	s_and_saveexec_b64 s[8:9], vcc
	s_cbranch_execz .LBB561_47
; %bb.46:
	v_and_b32_e32 v58, 7, v34
	v_ffbh_u32_e32 v56, v58
	v_min_u32_e32 v60, 32, v56
	v_subrev_u32_e32 v56, 28, v60
	v_lshlrev_b64 v[56:57], v56, v[34:35]
	v_lshrrev_b32_e32 v59, 3, v53
	v_sub_u32_e32 v34, 29, v60
	v_and_b32_e32 v56, 7, v56
	v_cmp_gt_u32_e32 vcc, 8, v53
	v_cndmask_b32_e32 v34, v59, v34, vcc
	v_cndmask_b32_e32 v53, v58, v56, vcc
	v_lshlrev_b32_e32 v56, 16, v35
	v_bfrev_b32_e32 v57, 60
	v_lshlrev_b32_e32 v53, 20, v53
	v_and_b32_e32 v56, 0x80000000, v56
	v_lshl_add_u32 v34, v34, 23, v57
	v_or3_b32 v56, v56, v34, v53
.LBB561_47:
	s_or_b64 exec, exec, s[8:9]
.LBB561_48:
	s_or_b64 exec, exec, s[2:3]
.LBB561_49:
	s_or_b64 exec, exec, s[0:1]
	s_movk_i32 s0, 0xff
	v_and_b32_sdwa v53, v35, s0 dst_sel:DWORD dst_unused:UNUSED_PAD src0_sel:WORD_1 src1_sel:DWORD
	v_lshrrev_b32_e32 v34, 16, v35
	v_cmp_ne_u16_e32 vcc, 0, v53
	s_and_saveexec_b64 s[0:1], vcc
	s_cbranch_execz .LBB561_55
; %bb.50:
	s_movk_i32 s2, 0x80
	v_cmp_ne_u16_e32 vcc, s2, v53
	v_bfrev_b32_e32 v42, 1
	s_and_saveexec_b64 s[2:3], vcc
	s_cbranch_execz .LBB561_54
; %bb.51:
	v_bfe_u32 v53, v35, 16, 7
	s_movk_i32 s8, 0x7f
	v_cmp_ne_u32_e32 vcc, s8, v53
	v_mov_b32_e32 v42, 0x7f800001
	s_and_saveexec_b64 s[8:9], vcc
	s_cbranch_execz .LBB561_53
; %bb.52:
	v_and_b32_e32 v42, 7, v34
	v_ffbh_u32_e32 v58, v42
	v_min_u32_e32 v60, 32, v58
	v_subrev_u32_e32 v58, 28, v60
	v_lshlrev_b64 v[58:59], v58, v[34:35]
	v_lshrrev_b32_e32 v57, 3, v53
	v_sub_u32_e32 v34, 29, v60
	v_and_b32_e32 v58, 7, v58
	v_cmp_gt_u32_e32 vcc, 8, v53
	v_mov_b32_e32 v53, 24
	v_cndmask_b32_e32 v34, v57, v34, vcc
	v_cndmask_b32_e32 v42, v42, v58, vcc
	v_lshlrev_b32_sdwa v53, v53, v35 dst_sel:DWORD dst_unused:UNUSED_PAD src0_sel:DWORD src1_sel:WORD_1
	v_bfrev_b32_e32 v57, 60
	v_lshlrev_b32_e32 v42, 20, v42
	v_and_b32_e32 v53, 0x80000000, v53
	v_lshl_add_u32 v34, v34, 23, v57
	v_or3_b32 v42, v53, v34, v42
.LBB561_53:
	s_or_b64 exec, exec, s[8:9]
.LBB561_54:
	s_or_b64 exec, exec, s[2:3]
.LBB561_55:
	s_or_b64 exec, exec, s[0:1]
	s_mov_b32 s0, 0xffffff
	v_cmp_lt_u32_e32 vcc, s0, v35
	v_mov_b32_e32 v53, 0
	v_mov_b32_e32 v57, 0
	s_and_saveexec_b64 s[0:1], vcc
	s_cbranch_execz .LBB561_61
; %bb.56:
	v_lshrrev_b32_e32 v34, 24, v35
	s_movk_i32 s2, 0x80
	v_cmp_ne_u32_e32 vcc, s2, v34
	v_bfrev_b32_e32 v57, 1
	s_and_saveexec_b64 s[2:3], vcc
	s_cbranch_execz .LBB561_60
; %bb.57:
	v_bfe_u32 v35, v35, 24, 7
	s_movk_i32 s8, 0x7f
	v_cmp_ne_u32_e32 vcc, s8, v35
	v_mov_b32_e32 v57, 0x7f800001
	s_and_saveexec_b64 s[8:9], vcc
	s_cbranch_execz .LBB561_59
; %bb.58:
	v_and_b32_e32 v57, 7, v34
	v_ffbh_u32_e32 v58, v57
	v_min_u32_e32 v61, 32, v58
	v_subrev_u32_e32 v58, 28, v61
	v_lshlrev_b64 v[58:59], v58, v[34:35]
	v_lshrrev_b32_e32 v60, 3, v35
	v_sub_u32_e32 v59, 29, v61
	v_and_b32_e32 v58, 7, v58
	v_cmp_gt_u32_e32 vcc, 8, v35
	v_cndmask_b32_e32 v35, v60, v59, vcc
	v_cndmask_b32_e32 v57, v57, v58, vcc
	v_lshlrev_b32_e32 v34, 24, v34
	v_bfrev_b32_e32 v58, 60
	v_lshlrev_b32_e32 v57, 20, v57
	v_and_b32_e32 v34, 0x80000000, v34
	v_lshl_add_u32 v35, v35, 23, v58
	v_or3_b32 v57, v34, v35, v57
.LBB561_59:
	s_or_b64 exec, exec, s[8:9]
.LBB561_60:
	s_or_b64 exec, exec, s[2:3]
.LBB561_61:
	s_or_b64 exec, exec, s[0:1]
	v_cvt_pkrtz_f16_f32 v34, v43, v45
	v_cvt_pkrtz_f16_f32 v35, v44, v55
	v_cmp_ne_u16_sdwa s[2:3], v36, v53 src0_sel:BYTE_0 src1_sel:DWORD
	s_nop 0
	v_mfma_f32_16x16x16f16 v[58:61], v[34:35], v[26:27], 0
	v_cvt_pkrtz_f16_f32 v34, v54, v56
	v_cvt_pkrtz_f16_f32 v35, v42, v57
	s_nop 1
	v_mfma_f32_16x16x16f16 v[42:45], v[34:35], v[28:29], v[58:61]
	s_and_saveexec_b64 s[0:1], s[2:3]
	s_cbranch_execz .LBB561_67
; %bb.62:
	s_movk_i32 s2, 0x80
	v_cmp_ne_u16_sdwa s[8:9], v36, s2 src0_sel:BYTE_0 src1_sel:DWORD
	v_bfrev_b32_e32 v53, 1
	s_and_saveexec_b64 s[2:3], s[8:9]
	s_cbranch_execz .LBB561_66
; %bb.63:
	s_movk_i32 s8, 0x7f
	v_and_b32_e32 v34, 0x7f, v36
	v_cmp_ne_u32_e32 vcc, s8, v34
	v_mov_b32_e32 v53, 0x7f800001
	s_and_saveexec_b64 s[8:9], vcc
	s_cbranch_execz .LBB561_65
; %bb.64:
	v_and_b32_e32 v35, 7, v36
	v_ffbh_u32_e32 v54, v35
	v_min_u32_e32 v56, 32, v54
	v_subrev_u32_e32 v54, 28, v56
	v_lshlrev_b64 v[54:55], v54, v[36:37]
	v_lshrrev_b32_e32 v53, 3, v34
	v_sub_u32_e32 v55, 29, v56
	v_and_b32_e32 v54, 7, v54
	v_cmp_gt_u32_e32 vcc, 8, v34
	v_cndmask_b32_e32 v34, v53, v55, vcc
	v_cndmask_b32_e32 v35, v35, v54, vcc
	v_lshlrev_b32_e32 v53, 24, v36
	v_bfrev_b32_e32 v54, 60
	v_lshlrev_b32_e32 v35, 20, v35
	v_and_b32_e32 v53, 0x80000000, v53
	v_lshl_add_u32 v34, v34, 23, v54
	v_or3_b32 v53, v53, v34, v35
.LBB561_65:
	s_or_b64 exec, exec, s[8:9]
.LBB561_66:
	s_or_b64 exec, exec, s[2:3]
.LBB561_67:
	s_or_b64 exec, exec, s[0:1]
	v_lshrrev_b16_e32 v34, 8, v36
	v_cmp_ne_u16_e32 vcc, 0, v34
	v_mov_b32_e32 v35, 0
	v_mov_b32_e32 v55, 0
	s_and_saveexec_b64 s[0:1], vcc
	s_cbranch_execz .LBB561_73
; %bb.68:
	s_movk_i32 s2, 0x80
	v_cmp_ne_u16_e32 vcc, s2, v34
	v_bfrev_b32_e32 v55, 1
	s_and_saveexec_b64 s[2:3], vcc
	s_cbranch_execz .LBB561_72
; %bb.69:
	s_movk_i32 s8, 0x7f
	v_and_b32_e32 v54, 0x7f, v34
	v_cmp_ne_u32_e32 vcc, s8, v54
	v_mov_b32_e32 v55, 0x7f800001
	s_and_saveexec_b64 s[8:9], vcc
	s_cbranch_execz .LBB561_71
; %bb.70:
	v_and_b32_e32 v55, 7, v34
	v_ffbh_u32_e32 v56, v55
	v_min_u32_e32 v59, 32, v56
	v_subrev_u32_e32 v56, 28, v59
	v_lshlrev_b64 v[56:57], v56, v[34:35]
	v_lshrrev_b32_e32 v58, 3, v54
	v_sub_u32_e32 v34, 29, v59
	v_and_b32_e32 v56, 7, v56
	v_cmp_gt_u32_e32 vcc, 8, v54
	v_cndmask_b32_e32 v34, v58, v34, vcc
	v_cndmask_b32_e32 v54, v55, v56, vcc
	v_lshlrev_b32_e32 v55, 16, v36
	v_bfrev_b32_e32 v56, 60
	v_lshlrev_b32_e32 v54, 20, v54
	v_and_b32_e32 v55, 0x80000000, v55
	v_lshl_add_u32 v34, v34, 23, v56
	v_or3_b32 v55, v55, v34, v54
.LBB561_71:
	s_or_b64 exec, exec, s[8:9]
.LBB561_72:
	s_or_b64 exec, exec, s[2:3]
.LBB561_73:
	s_or_b64 exec, exec, s[0:1]
	s_movk_i32 s0, 0xff
	v_and_b32_sdwa v54, v36, s0 dst_sel:DWORD dst_unused:UNUSED_PAD src0_sel:WORD_1 src1_sel:DWORD
	v_lshrrev_b32_e32 v34, 16, v36
	v_cmp_ne_u16_e32 vcc, 0, v54
	s_and_saveexec_b64 s[0:1], vcc
	s_cbranch_execz .LBB561_79
; %bb.74:
	s_movk_i32 s2, 0x80
	v_cmp_ne_u16_e32 vcc, s2, v54
	v_bfrev_b32_e32 v35, 1
	s_and_saveexec_b64 s[2:3], vcc
	s_cbranch_execz .LBB561_78
; %bb.75:
	v_bfe_u32 v54, v36, 16, 7
	s_movk_i32 s8, 0x7f
	v_cmp_ne_u32_e32 vcc, s8, v54
	v_mov_b32_e32 v35, 0x7f800001
	s_and_saveexec_b64 s[8:9], vcc
	s_cbranch_execz .LBB561_77
; %bb.76:
	v_and_b32_e32 v56, 7, v34
	v_ffbh_u32_e32 v35, v56
	v_min_u32_e32 v58, 32, v35
	v_subrev_u32_e32 v35, 28, v58
	v_lshlrev_b64 v[34:35], v35, v[34:35]
	v_lshrrev_b32_e32 v57, 3, v54
	v_sub_u32_e32 v35, 29, v58
	v_and_b32_e32 v34, 7, v34
	v_cmp_gt_u32_e32 vcc, 8, v54
	v_mov_b32_e32 v54, 24
	v_cndmask_b32_e32 v35, v57, v35, vcc
	v_cndmask_b32_e32 v34, v56, v34, vcc
	v_lshlrev_b32_sdwa v54, v54, v36 dst_sel:DWORD dst_unused:UNUSED_PAD src0_sel:DWORD src1_sel:WORD_1
	v_bfrev_b32_e32 v56, 60
	v_lshlrev_b32_e32 v34, 20, v34
	v_and_b32_e32 v54, 0x80000000, v54
	v_lshl_add_u32 v35, v35, 23, v56
	v_or3_b32 v35, v54, v35, v34
.LBB561_77:
	s_or_b64 exec, exec, s[8:9]
.LBB561_78:
	s_or_b64 exec, exec, s[2:3]
.LBB561_79:
	s_or_b64 exec, exec, s[0:1]
	s_mov_b32 s0, 0xffffff
	v_cmp_lt_u32_e32 vcc, s0, v36
	v_mov_b32_e32 v56, 0
	v_mov_b32_e32 v57, 0
	s_and_saveexec_b64 s[0:1], vcc
	s_cbranch_execz .LBB561_85
; %bb.80:
	v_lshrrev_b32_e32 v34, 24, v36
	s_movk_i32 s2, 0x80
	v_cmp_ne_u32_e32 vcc, s2, v34
	v_bfrev_b32_e32 v57, 1
	s_and_saveexec_b64 s[2:3], vcc
	s_cbranch_execz .LBB561_84
; %bb.81:
	v_bfe_u32 v36, v36, 24, 7
	s_movk_i32 s8, 0x7f
	v_cmp_ne_u32_e32 vcc, s8, v36
	v_mov_b32_e32 v57, 0x7f800001
	s_and_saveexec_b64 s[8:9], vcc
	s_cbranch_execz .LBB561_83
; %bb.82:
	v_and_b32_e32 v54, 7, v34
	v_ffbh_u32_e32 v58, v54
	v_min_u32_e32 v60, 32, v58
	v_subrev_u32_e32 v58, 28, v60
	v_lshlrev_b64 v[58:59], v58, v[34:35]
	v_lshrrev_b32_e32 v57, 3, v36
	v_sub_u32_e32 v59, 29, v60
	v_and_b32_e32 v58, 7, v58
	v_cmp_gt_u32_e32 vcc, 8, v36
	v_cndmask_b32_e32 v36, v57, v59, vcc
	v_cndmask_b32_e32 v54, v54, v58, vcc
	v_lshlrev_b32_e32 v34, 24, v34
	v_bfrev_b32_e32 v57, 60
	v_lshlrev_b32_e32 v54, 20, v54
	v_and_b32_e32 v34, 0x80000000, v34
	v_lshl_add_u32 v36, v36, 23, v57
	v_or3_b32 v57, v34, v36, v54
.LBB561_83:
	s_or_b64 exec, exec, s[8:9]
.LBB561_84:
	s_or_b64 exec, exec, s[2:3]
.LBB561_85:
	s_or_b64 exec, exec, s[0:1]
	v_cmp_ne_u16_sdwa s[2:3], v37, v56 src0_sel:BYTE_0 src1_sel:DWORD
	s_and_saveexec_b64 s[0:1], s[2:3]
	s_cbranch_execz .LBB561_91
; %bb.86:
	s_movk_i32 s2, 0x80
	v_cmp_ne_u16_sdwa s[8:9], v37, s2 src0_sel:BYTE_0 src1_sel:DWORD
	v_bfrev_b32_e32 v56, 1
	s_and_saveexec_b64 s[2:3], s[8:9]
	s_cbranch_execz .LBB561_90
; %bb.87:
	s_movk_i32 s8, 0x7f
	v_and_b32_e32 v34, 0x7f, v37
	v_cmp_ne_u32_e32 vcc, s8, v34
	v_mov_b32_e32 v56, 0x7f800001
	s_and_saveexec_b64 s[8:9], vcc
	s_cbranch_execz .LBB561_89
; %bb.88:
	v_and_b32_e32 v54, 7, v37
	v_ffbh_u32_e32 v58, v54
	v_min_u32_e32 v60, 32, v58
	v_mov_b32_e32 v36, v37
	v_subrev_u32_e32 v58, 28, v60
	v_lshlrev_b64 v[58:59], v58, v[36:37]
	v_lshrrev_b32_e32 v56, 3, v34
	v_sub_u32_e32 v36, 29, v60
	v_and_b32_e32 v58, 7, v58
	v_cmp_gt_u32_e32 vcc, 8, v34
	v_cndmask_b32_e32 v34, v56, v36, vcc
	v_cndmask_b32_e32 v36, v54, v58, vcc
	v_lshlrev_b32_e32 v54, 24, v37
	v_bfrev_b32_e32 v56, 60
	v_lshlrev_b32_e32 v36, 20, v36
	v_and_b32_e32 v54, 0x80000000, v54
	v_lshl_add_u32 v34, v34, 23, v56
	v_or3_b32 v56, v54, v34, v36
.LBB561_89:
	s_or_b64 exec, exec, s[8:9]
.LBB561_90:
	s_or_b64 exec, exec, s[2:3]
.LBB561_91:
	s_or_b64 exec, exec, s[0:1]
	v_lshrrev_b16_e32 v34, 8, v37
	v_cmp_ne_u16_e32 vcc, 0, v34
	v_mov_b32_e32 v36, 0
	v_mov_b32_e32 v58, 0
	s_and_saveexec_b64 s[0:1], vcc
	s_cbranch_execz .LBB561_97
; %bb.92:
	s_movk_i32 s2, 0x80
	v_cmp_ne_u16_e32 vcc, s2, v34
	v_bfrev_b32_e32 v58, 1
	s_and_saveexec_b64 s[2:3], vcc
	s_cbranch_execz .LBB561_96
; %bb.93:
	s_movk_i32 s8, 0x7f
	v_and_b32_e32 v54, 0x7f, v34
	v_cmp_ne_u32_e32 vcc, s8, v54
	v_mov_b32_e32 v58, 0x7f800001
	s_and_saveexec_b64 s[8:9], vcc
	s_cbranch_execz .LBB561_95
; %bb.94:
	v_and_b32_e32 v60, 7, v34
	v_ffbh_u32_e32 v58, v60
	v_min_u32_e32 v62, 32, v58
	v_subrev_u32_e32 v58, 28, v62
	v_lshlrev_b64 v[58:59], v58, v[34:35]
	v_lshrrev_b32_e32 v61, 3, v54
	v_sub_u32_e32 v34, 29, v62
	v_and_b32_e32 v58, 7, v58
	v_cmp_gt_u32_e32 vcc, 8, v54
	v_cndmask_b32_e32 v34, v61, v34, vcc
	v_cndmask_b32_e32 v54, v60, v58, vcc
	v_lshlrev_b32_e32 v58, 16, v37
	v_bfrev_b32_e32 v59, 60
	v_lshlrev_b32_e32 v54, 20, v54
	v_and_b32_e32 v58, 0x80000000, v58
	v_lshl_add_u32 v34, v34, 23, v59
	v_or3_b32 v58, v58, v34, v54
.LBB561_95:
	s_or_b64 exec, exec, s[8:9]
.LBB561_96:
	s_or_b64 exec, exec, s[2:3]
.LBB561_97:
	s_or_b64 exec, exec, s[0:1]
	s_movk_i32 s0, 0xff
	v_and_b32_sdwa v54, v37, s0 dst_sel:DWORD dst_unused:UNUSED_PAD src0_sel:WORD_1 src1_sel:DWORD
	v_lshrrev_b32_e32 v34, 16, v37
	v_cmp_ne_u16_e32 vcc, 0, v54
	s_and_saveexec_b64 s[0:1], vcc
	s_cbranch_execz .LBB561_103
; %bb.98:
	s_movk_i32 s2, 0x80
	v_cmp_ne_u16_e32 vcc, s2, v54
	v_bfrev_b32_e32 v36, 1
	s_and_saveexec_b64 s[2:3], vcc
	s_cbranch_execz .LBB561_102
; %bb.99:
	v_bfe_u32 v54, v37, 16, 7
	s_movk_i32 s8, 0x7f
	v_cmp_ne_u32_e32 vcc, s8, v54
	v_mov_b32_e32 v36, 0x7f800001
	s_and_saveexec_b64 s[8:9], vcc
	s_cbranch_execz .LBB561_101
; %bb.100:
	v_and_b32_e32 v36, 7, v34
	v_ffbh_u32_e32 v60, v36
	v_min_u32_e32 v62, 32, v60
	v_subrev_u32_e32 v60, 28, v62
	v_lshlrev_b64 v[60:61], v60, v[34:35]
	v_lshrrev_b32_e32 v59, 3, v54
	v_sub_u32_e32 v34, 29, v62
	v_and_b32_e32 v60, 7, v60
	v_cmp_gt_u32_e32 vcc, 8, v54
	v_mov_b32_e32 v54, 24
	v_cndmask_b32_e32 v34, v59, v34, vcc
	v_cndmask_b32_e32 v36, v36, v60, vcc
	v_lshlrev_b32_sdwa v54, v54, v37 dst_sel:DWORD dst_unused:UNUSED_PAD src0_sel:DWORD src1_sel:WORD_1
	v_bfrev_b32_e32 v59, 60
	v_lshlrev_b32_e32 v36, 20, v36
	v_and_b32_e32 v54, 0x80000000, v54
	v_lshl_add_u32 v34, v34, 23, v59
	v_or3_b32 v36, v54, v34, v36
.LBB561_101:
	s_or_b64 exec, exec, s[8:9]
.LBB561_102:
	s_or_b64 exec, exec, s[2:3]
.LBB561_103:
	s_or_b64 exec, exec, s[0:1]
	s_mov_b32 s0, 0xffffff
	v_cmp_lt_u32_e32 vcc, s0, v37
	v_mov_b32_e32 v54, 0
	v_mov_b32_e32 v59, 0
	s_and_saveexec_b64 s[0:1], vcc
	s_cbranch_execz .LBB561_109
; %bb.104:
	v_lshrrev_b32_e32 v34, 24, v37
	s_movk_i32 s2, 0x80
	v_cmp_ne_u32_e32 vcc, s2, v34
	v_bfrev_b32_e32 v59, 1
	s_and_saveexec_b64 s[2:3], vcc
	s_cbranch_execz .LBB561_108
; %bb.105:
	v_bfe_u32 v37, v37, 24, 7
	s_movk_i32 s8, 0x7f
	v_cmp_ne_u32_e32 vcc, s8, v37
	v_mov_b32_e32 v59, 0x7f800001
	s_and_saveexec_b64 s[8:9], vcc
	s_cbranch_execz .LBB561_107
; %bb.106:
	v_and_b32_e32 v59, 7, v34
	v_ffbh_u32_e32 v60, v59
	v_min_u32_e32 v63, 32, v60
	v_subrev_u32_e32 v60, 28, v63
	v_lshlrev_b64 v[60:61], v60, v[34:35]
	v_lshrrev_b32_e32 v62, 3, v37
	v_sub_u32_e32 v61, 29, v63
	v_and_b32_e32 v60, 7, v60
	v_cmp_gt_u32_e32 vcc, 8, v37
	v_cndmask_b32_e32 v37, v62, v61, vcc
	v_cndmask_b32_e32 v59, v59, v60, vcc
	v_lshlrev_b32_e32 v34, 24, v34
	v_bfrev_b32_e32 v60, 60
	v_lshlrev_b32_e32 v59, 20, v59
	v_and_b32_e32 v34, 0x80000000, v34
	v_lshl_add_u32 v37, v37, 23, v60
	v_or3_b32 v59, v34, v37, v59
.LBB561_107:
	s_or_b64 exec, exec, s[8:9]
.LBB561_108:
	s_or_b64 exec, exec, s[2:3]
.LBB561_109:
	s_or_b64 exec, exec, s[0:1]
	v_cvt_pkrtz_f16_f32 v34, v53, v55
	v_cvt_pkrtz_f16_f32 v35, v35, v57
	v_cmp_ne_u16_sdwa s[2:3], v38, v54 src0_sel:BYTE_0 src1_sel:DWORD
	s_nop 0
	v_mfma_f32_16x16x16f16 v[42:45], v[34:35], v[18:19], v[42:45]
	v_cvt_pkrtz_f16_f32 v34, v56, v58
	v_cvt_pkrtz_f16_f32 v35, v36, v59
	s_nop 1
	v_mfma_f32_16x16x16f16 v[34:37], v[34:35], v[20:21], v[42:45]
	s_and_saveexec_b64 s[0:1], s[2:3]
	s_cbranch_execz .LBB561_115
; %bb.110:
	s_movk_i32 s2, 0x80
	v_cmp_ne_u16_sdwa s[8:9], v38, s2 src0_sel:BYTE_0 src1_sel:DWORD
	v_bfrev_b32_e32 v54, 1
	s_and_saveexec_b64 s[2:3], s[8:9]
	s_cbranch_execz .LBB561_114
; %bb.111:
	s_movk_i32 s8, 0x7f
	v_and_b32_e32 v42, 0x7f, v38
	v_cmp_ne_u32_e32 vcc, s8, v42
	v_mov_b32_e32 v54, 0x7f800001
	s_and_saveexec_b64 s[8:9], vcc
	s_cbranch_execz .LBB561_113
; %bb.112:
	v_and_b32_e32 v43, 7, v38
	v_ffbh_u32_e32 v44, v43
	v_min_u32_e32 v54, 32, v44
	v_subrev_u32_e32 v44, 28, v54
	v_lshlrev_b64 v[44:45], v44, v[38:39]
	v_lshrrev_b32_e32 v53, 3, v42
	v_sub_u32_e32 v45, 29, v54
	v_and_b32_e32 v44, 7, v44
	v_cmp_gt_u32_e32 vcc, 8, v42
	v_cndmask_b32_e32 v42, v53, v45, vcc
	v_cndmask_b32_e32 v43, v43, v44, vcc
	v_lshlrev_b32_e32 v44, 24, v38
	v_bfrev_b32_e32 v45, 60
	v_lshlrev_b32_e32 v43, 20, v43
	v_and_b32_e32 v44, 0x80000000, v44
	v_lshl_add_u32 v42, v42, 23, v45
	v_or3_b32 v54, v44, v42, v43
.LBB561_113:
	s_or_b64 exec, exec, s[8:9]
.LBB561_114:
	s_or_b64 exec, exec, s[2:3]
.LBB561_115:
	s_or_b64 exec, exec, s[0:1]
	s_nop 3
	v_lshrrev_b16_e32 v42, 8, v38
	v_cmp_ne_u16_e32 vcc, 0, v42
	v_mov_b32_e32 v43, 0
	v_mov_b32_e32 v44, 0
	s_and_saveexec_b64 s[0:1], vcc
	s_cbranch_execz .LBB561_121
; %bb.116:
	s_movk_i32 s2, 0x80
	v_cmp_ne_u16_e32 vcc, s2, v42
	v_bfrev_b32_e32 v44, 1
	s_and_saveexec_b64 s[2:3], vcc
	s_cbranch_execz .LBB561_120
; %bb.117:
	s_movk_i32 s8, 0x7f
	v_and_b32_e32 v45, 0x7f, v42
	v_cmp_ne_u32_e32 vcc, s8, v45
	v_mov_b32_e32 v44, 0x7f800001
	s_and_saveexec_b64 s[8:9], vcc
	s_cbranch_execz .LBB561_119
; %bb.118:
	v_and_b32_e32 v44, 7, v42
	v_ffbh_u32_e32 v55, v44
	v_min_u32_e32 v55, 32, v55
	v_subrev_u32_e32 v56, 28, v55
	v_lshlrev_b64 v[56:57], v56, v[42:43]
	v_lshrrev_b32_e32 v53, 3, v45
	v_sub_u32_e32 v42, 29, v55
	v_and_b32_e32 v55, 7, v56
	v_cmp_gt_u32_e32 vcc, 8, v45
	v_cndmask_b32_e32 v42, v53, v42, vcc
	v_cndmask_b32_e32 v44, v44, v55, vcc
	v_lshlrev_b32_e32 v45, 16, v38
	v_bfrev_b32_e32 v53, 60
	v_lshlrev_b32_e32 v44, 20, v44
	v_and_b32_e32 v45, 0x80000000, v45
	v_lshl_add_u32 v42, v42, 23, v53
	v_or3_b32 v44, v45, v42, v44
.LBB561_119:
	s_or_b64 exec, exec, s[8:9]
.LBB561_120:
	s_or_b64 exec, exec, s[2:3]
.LBB561_121:
	s_or_b64 exec, exec, s[0:1]
	s_movk_i32 s0, 0xff
	v_and_b32_sdwa v45, v38, s0 dst_sel:DWORD dst_unused:UNUSED_PAD src0_sel:WORD_1 src1_sel:DWORD
	v_lshrrev_b32_e32 v42, 16, v38
	v_cmp_ne_u16_e32 vcc, 0, v45
	s_and_saveexec_b64 s[0:1], vcc
	s_cbranch_execz .LBB561_127
; %bb.122:
	s_movk_i32 s2, 0x80
	v_cmp_ne_u16_e32 vcc, s2, v45
	v_bfrev_b32_e32 v43, 1
	s_and_saveexec_b64 s[2:3], vcc
	s_cbranch_execz .LBB561_126
; %bb.123:
	v_bfe_u32 v45, v38, 16, 7
	s_movk_i32 s8, 0x7f
	v_cmp_ne_u32_e32 vcc, s8, v45
	v_mov_b32_e32 v43, 0x7f800001
	s_and_saveexec_b64 s[8:9], vcc
	s_cbranch_execz .LBB561_125
; %bb.124:
	v_and_b32_e32 v53, 7, v42
	v_ffbh_u32_e32 v43, v53
	v_min_u32_e32 v56, 32, v43
	v_subrev_u32_e32 v43, 28, v56
	v_lshlrev_b64 v[42:43], v43, v[42:43]
	v_lshrrev_b32_e32 v55, 3, v45
	v_sub_u32_e32 v43, 29, v56
	v_and_b32_e32 v42, 7, v42
	v_cmp_gt_u32_e32 vcc, 8, v45
	v_mov_b32_e32 v45, 24
	v_cndmask_b32_e32 v43, v55, v43, vcc
	v_cndmask_b32_e32 v42, v53, v42, vcc
	v_lshlrev_b32_sdwa v45, v45, v38 dst_sel:DWORD dst_unused:UNUSED_PAD src0_sel:DWORD src1_sel:WORD_1
	v_bfrev_b32_e32 v53, 60
	v_lshlrev_b32_e32 v42, 20, v42
	v_and_b32_e32 v45, 0x80000000, v45
	v_lshl_add_u32 v43, v43, 23, v53
	v_or3_b32 v43, v45, v43, v42
.LBB561_125:
	s_or_b64 exec, exec, s[8:9]
.LBB561_126:
	s_or_b64 exec, exec, s[2:3]
.LBB561_127:
	s_or_b64 exec, exec, s[0:1]
	s_mov_b32 s0, 0xffffff
	v_cmp_lt_u32_e32 vcc, s0, v38
	v_mov_b32_e32 v45, 0
	v_mov_b32_e32 v55, 0
	s_and_saveexec_b64 s[0:1], vcc
	s_cbranch_execz .LBB561_133
; %bb.128:
	v_lshrrev_b32_e32 v42, 24, v38
	s_movk_i32 s2, 0x80
	v_cmp_ne_u32_e32 vcc, s2, v42
	v_bfrev_b32_e32 v55, 1
	s_and_saveexec_b64 s[2:3], vcc
	s_cbranch_execz .LBB561_132
; %bb.129:
	v_bfe_u32 v38, v38, 24, 7
	s_movk_i32 s8, 0x7f
	v_cmp_ne_u32_e32 vcc, s8, v38
	v_mov_b32_e32 v55, 0x7f800001
	s_and_saveexec_b64 s[8:9], vcc
	s_cbranch_execz .LBB561_131
; %bb.130:
	v_and_b32_e32 v53, 7, v42
	v_ffbh_u32_e32 v56, v53
	v_min_u32_e32 v58, 32, v56
	v_subrev_u32_e32 v56, 28, v58
	v_lshlrev_b64 v[56:57], v56, v[42:43]
	v_lshrrev_b32_e32 v55, 3, v38
	v_sub_u32_e32 v57, 29, v58
	v_and_b32_e32 v56, 7, v56
	v_cmp_gt_u32_e32 vcc, 8, v38
	v_cndmask_b32_e32 v38, v55, v57, vcc
	v_cndmask_b32_e32 v53, v53, v56, vcc
	v_lshlrev_b32_e32 v42, 24, v42
	v_bfrev_b32_e32 v55, 60
	v_lshlrev_b32_e32 v53, 20, v53
	v_and_b32_e32 v42, 0x80000000, v42
	v_lshl_add_u32 v38, v38, 23, v55
	v_or3_b32 v55, v42, v38, v53
.LBB561_131:
	s_or_b64 exec, exec, s[8:9]
.LBB561_132:
	s_or_b64 exec, exec, s[2:3]
.LBB561_133:
	s_or_b64 exec, exec, s[0:1]
	v_cmp_ne_u16_sdwa s[2:3], v39, v45 src0_sel:BYTE_0 src1_sel:DWORD
	s_and_saveexec_b64 s[0:1], s[2:3]
	s_cbranch_execz .LBB561_139
; %bb.134:
	s_movk_i32 s2, 0x80
	v_cmp_ne_u16_sdwa s[8:9], v39, s2 src0_sel:BYTE_0 src1_sel:DWORD
	v_bfrev_b32_e32 v45, 1
	s_and_saveexec_b64 s[2:3], s[8:9]
	s_cbranch_execz .LBB561_138
; %bb.135:
	s_movk_i32 s8, 0x7f
	v_and_b32_e32 v38, 0x7f, v39
	v_cmp_ne_u32_e32 vcc, s8, v38
	v_mov_b32_e32 v45, 0x7f800001
	s_and_saveexec_b64 s[8:9], vcc
	s_cbranch_execz .LBB561_137
; %bb.136:
	v_and_b32_e32 v45, 7, v39
	v_ffbh_u32_e32 v56, v45
	v_min_u32_e32 v58, 32, v56
	v_mov_b32_e32 v42, v39
	v_subrev_u32_e32 v56, 28, v58
	v_lshlrev_b64 v[56:57], v56, v[42:43]
	v_lshrrev_b32_e32 v53, 3, v38
	v_sub_u32_e32 v42, 29, v58
	v_and_b32_e32 v56, 7, v56
	v_cmp_gt_u32_e32 vcc, 8, v38
	v_cndmask_b32_e32 v38, v53, v42, vcc
	v_cndmask_b32_e32 v42, v45, v56, vcc
	v_lshlrev_b32_e32 v45, 24, v39
	v_bfrev_b32_e32 v53, 60
	v_lshlrev_b32_e32 v42, 20, v42
	v_and_b32_e32 v45, 0x80000000, v45
	v_lshl_add_u32 v38, v38, 23, v53
	v_or3_b32 v45, v45, v38, v42
.LBB561_137:
	s_or_b64 exec, exec, s[8:9]
.LBB561_138:
	s_or_b64 exec, exec, s[2:3]
.LBB561_139:
	s_or_b64 exec, exec, s[0:1]
	v_lshrrev_b16_e32 v38, 8, v39
	v_cmp_ne_u16_e32 vcc, 0, v38
	v_mov_b32_e32 v42, 0
	v_mov_b32_e32 v56, 0
	s_and_saveexec_b64 s[0:1], vcc
	s_cbranch_execz .LBB561_145
; %bb.140:
	s_movk_i32 s2, 0x80
	v_cmp_ne_u16_e32 vcc, s2, v38
	v_bfrev_b32_e32 v56, 1
	s_and_saveexec_b64 s[2:3], vcc
	s_cbranch_execz .LBB561_144
; %bb.141:
	s_movk_i32 s8, 0x7f
	v_and_b32_e32 v53, 0x7f, v38
	v_cmp_ne_u32_e32 vcc, s8, v53
	v_mov_b32_e32 v56, 0x7f800001
	s_and_saveexec_b64 s[8:9], vcc
	s_cbranch_execz .LBB561_143
; %bb.142:
	v_and_b32_e32 v58, 7, v38
	v_ffbh_u32_e32 v56, v58
	v_min_u32_e32 v60, 32, v56
	v_subrev_u32_e32 v56, 28, v60
	v_lshlrev_b64 v[56:57], v56, v[38:39]
	v_lshrrev_b32_e32 v59, 3, v53
	v_sub_u32_e32 v38, 29, v60
	v_and_b32_e32 v56, 7, v56
	v_cmp_gt_u32_e32 vcc, 8, v53
	v_cndmask_b32_e32 v38, v59, v38, vcc
	v_cndmask_b32_e32 v53, v58, v56, vcc
	v_lshlrev_b32_e32 v56, 16, v39
	v_bfrev_b32_e32 v57, 60
	v_lshlrev_b32_e32 v53, 20, v53
	v_and_b32_e32 v56, 0x80000000, v56
	v_lshl_add_u32 v38, v38, 23, v57
	v_or3_b32 v56, v56, v38, v53
.LBB561_143:
	s_or_b64 exec, exec, s[8:9]
.LBB561_144:
	s_or_b64 exec, exec, s[2:3]
.LBB561_145:
	s_or_b64 exec, exec, s[0:1]
	s_movk_i32 s0, 0xff
	v_and_b32_sdwa v53, v39, s0 dst_sel:DWORD dst_unused:UNUSED_PAD src0_sel:WORD_1 src1_sel:DWORD
	v_lshrrev_b32_e32 v38, 16, v39
	v_cmp_ne_u16_e32 vcc, 0, v53
	s_and_saveexec_b64 s[0:1], vcc
	s_cbranch_execz .LBB561_151
; %bb.146:
	s_movk_i32 s2, 0x80
	v_cmp_ne_u16_e32 vcc, s2, v53
	v_bfrev_b32_e32 v42, 1
	s_and_saveexec_b64 s[2:3], vcc
	s_cbranch_execz .LBB561_150
; %bb.147:
	v_bfe_u32 v53, v39, 16, 7
	s_movk_i32 s8, 0x7f
	v_cmp_ne_u32_e32 vcc, s8, v53
	v_mov_b32_e32 v42, 0x7f800001
	s_and_saveexec_b64 s[8:9], vcc
	s_cbranch_execz .LBB561_149
; %bb.148:
	v_and_b32_e32 v42, 7, v38
	v_ffbh_u32_e32 v58, v42
	v_min_u32_e32 v60, 32, v58
	v_subrev_u32_e32 v58, 28, v60
	v_lshlrev_b64 v[58:59], v58, v[38:39]
	v_lshrrev_b32_e32 v57, 3, v53
	v_sub_u32_e32 v38, 29, v60
	v_and_b32_e32 v58, 7, v58
	v_cmp_gt_u32_e32 vcc, 8, v53
	v_mov_b32_e32 v53, 24
	v_cndmask_b32_e32 v38, v57, v38, vcc
	v_cndmask_b32_e32 v42, v42, v58, vcc
	v_lshlrev_b32_sdwa v53, v53, v39 dst_sel:DWORD dst_unused:UNUSED_PAD src0_sel:DWORD src1_sel:WORD_1
	v_bfrev_b32_e32 v57, 60
	v_lshlrev_b32_e32 v42, 20, v42
	v_and_b32_e32 v53, 0x80000000, v53
	v_lshl_add_u32 v38, v38, 23, v57
	v_or3_b32 v42, v53, v38, v42
.LBB561_149:
	s_or_b64 exec, exec, s[8:9]
.LBB561_150:
	s_or_b64 exec, exec, s[2:3]
.LBB561_151:
	s_or_b64 exec, exec, s[0:1]
	s_mov_b32 s0, 0xffffff
	v_cmp_lt_u32_e32 vcc, s0, v39
	v_mov_b32_e32 v53, 0
	v_mov_b32_e32 v57, 0
	s_and_saveexec_b64 s[0:1], vcc
	s_cbranch_execz .LBB561_157
; %bb.152:
	v_lshrrev_b32_e32 v38, 24, v39
	s_movk_i32 s2, 0x80
	v_cmp_ne_u32_e32 vcc, s2, v38
	v_bfrev_b32_e32 v57, 1
	s_and_saveexec_b64 s[2:3], vcc
	s_cbranch_execz .LBB561_156
; %bb.153:
	v_bfe_u32 v39, v39, 24, 7
	s_movk_i32 s8, 0x7f
	v_cmp_ne_u32_e32 vcc, s8, v39
	v_mov_b32_e32 v57, 0x7f800001
	s_and_saveexec_b64 s[8:9], vcc
	s_cbranch_execz .LBB561_155
; %bb.154:
	v_and_b32_e32 v57, 7, v38
	v_ffbh_u32_e32 v58, v57
	v_min_u32_e32 v61, 32, v58
	v_subrev_u32_e32 v58, 28, v61
	v_lshlrev_b64 v[58:59], v58, v[38:39]
	v_lshrrev_b32_e32 v60, 3, v39
	v_sub_u32_e32 v59, 29, v61
	v_and_b32_e32 v58, 7, v58
	v_cmp_gt_u32_e32 vcc, 8, v39
	v_cndmask_b32_e32 v39, v60, v59, vcc
	v_cndmask_b32_e32 v57, v57, v58, vcc
	v_lshlrev_b32_e32 v38, 24, v38
	v_bfrev_b32_e32 v58, 60
	v_lshlrev_b32_e32 v57, 20, v57
	v_and_b32_e32 v38, 0x80000000, v38
	v_lshl_add_u32 v39, v39, 23, v58
	v_or3_b32 v57, v38, v39, v57
.LBB561_155:
	s_or_b64 exec, exec, s[8:9]
.LBB561_156:
	s_or_b64 exec, exec, s[2:3]
.LBB561_157:
	s_or_b64 exec, exec, s[0:1]
	v_cvt_pkrtz_f16_f32 v38, v54, v44
	v_cvt_pkrtz_f16_f32 v39, v43, v55
	v_cmp_ne_u16_sdwa s[2:3], v40, v53 src0_sel:BYTE_0 src1_sel:DWORD
	s_nop 0
	v_mfma_f32_16x16x16f16 v[58:61], v[38:39], v[26:27], 0
	v_cvt_pkrtz_f16_f32 v38, v45, v56
	v_cvt_pkrtz_f16_f32 v39, v42, v57
	s_nop 1
	v_mfma_f32_16x16x16f16 v[42:45], v[38:39], v[28:29], v[58:61]
	s_and_saveexec_b64 s[0:1], s[2:3]
	s_cbranch_execz .LBB561_163
; %bb.158:
	s_movk_i32 s2, 0x80
	v_cmp_ne_u16_sdwa s[8:9], v40, s2 src0_sel:BYTE_0 src1_sel:DWORD
	v_bfrev_b32_e32 v53, 1
	s_and_saveexec_b64 s[2:3], s[8:9]
	s_cbranch_execz .LBB561_162
; %bb.159:
	s_movk_i32 s8, 0x7f
	v_and_b32_e32 v38, 0x7f, v40
	v_cmp_ne_u32_e32 vcc, s8, v38
	v_mov_b32_e32 v53, 0x7f800001
	s_and_saveexec_b64 s[8:9], vcc
	s_cbranch_execz .LBB561_161
; %bb.160:
	v_and_b32_e32 v39, 7, v40
	v_ffbh_u32_e32 v54, v39
	v_min_u32_e32 v56, 32, v54
	v_subrev_u32_e32 v54, 28, v56
	v_lshlrev_b64 v[54:55], v54, v[40:41]
	v_lshrrev_b32_e32 v53, 3, v38
	v_sub_u32_e32 v55, 29, v56
	v_and_b32_e32 v54, 7, v54
	v_cmp_gt_u32_e32 vcc, 8, v38
	v_cndmask_b32_e32 v38, v53, v55, vcc
	v_cndmask_b32_e32 v39, v39, v54, vcc
	v_lshlrev_b32_e32 v53, 24, v40
	v_bfrev_b32_e32 v54, 60
	v_lshlrev_b32_e32 v39, 20, v39
	v_and_b32_e32 v53, 0x80000000, v53
	v_lshl_add_u32 v38, v38, 23, v54
	v_or3_b32 v53, v53, v38, v39
.LBB561_161:
	s_or_b64 exec, exec, s[8:9]
.LBB561_162:
	s_or_b64 exec, exec, s[2:3]
.LBB561_163:
	s_or_b64 exec, exec, s[0:1]
	v_lshrrev_b16_e32 v38, 8, v40
	v_cmp_ne_u16_e32 vcc, 0, v38
	v_mov_b32_e32 v39, 0
	v_mov_b32_e32 v55, 0
	s_and_saveexec_b64 s[0:1], vcc
	s_cbranch_execz .LBB561_169
; %bb.164:
	s_movk_i32 s2, 0x80
	v_cmp_ne_u16_e32 vcc, s2, v38
	v_bfrev_b32_e32 v55, 1
	s_and_saveexec_b64 s[2:3], vcc
	s_cbranch_execz .LBB561_168
; %bb.165:
	s_movk_i32 s8, 0x7f
	v_and_b32_e32 v54, 0x7f, v38
	v_cmp_ne_u32_e32 vcc, s8, v54
	v_mov_b32_e32 v55, 0x7f800001
	s_and_saveexec_b64 s[8:9], vcc
	s_cbranch_execz .LBB561_167
; %bb.166:
	v_and_b32_e32 v55, 7, v38
	v_ffbh_u32_e32 v56, v55
	v_min_u32_e32 v59, 32, v56
	v_subrev_u32_e32 v56, 28, v59
	v_lshlrev_b64 v[56:57], v56, v[38:39]
	v_lshrrev_b32_e32 v58, 3, v54
	v_sub_u32_e32 v38, 29, v59
	v_and_b32_e32 v56, 7, v56
	v_cmp_gt_u32_e32 vcc, 8, v54
	v_cndmask_b32_e32 v38, v58, v38, vcc
	v_cndmask_b32_e32 v54, v55, v56, vcc
	v_lshlrev_b32_e32 v55, 16, v40
	v_bfrev_b32_e32 v56, 60
	v_lshlrev_b32_e32 v54, 20, v54
	v_and_b32_e32 v55, 0x80000000, v55
	v_lshl_add_u32 v38, v38, 23, v56
	v_or3_b32 v55, v55, v38, v54
.LBB561_167:
	s_or_b64 exec, exec, s[8:9]
.LBB561_168:
	s_or_b64 exec, exec, s[2:3]
.LBB561_169:
	s_or_b64 exec, exec, s[0:1]
	s_movk_i32 s0, 0xff
	v_and_b32_sdwa v54, v40, s0 dst_sel:DWORD dst_unused:UNUSED_PAD src0_sel:WORD_1 src1_sel:DWORD
	v_lshrrev_b32_e32 v38, 16, v40
	v_cmp_ne_u16_e32 vcc, 0, v54
	s_and_saveexec_b64 s[0:1], vcc
	s_cbranch_execz .LBB561_175
; %bb.170:
	s_movk_i32 s2, 0x80
	v_cmp_ne_u16_e32 vcc, s2, v54
	v_bfrev_b32_e32 v39, 1
	s_and_saveexec_b64 s[2:3], vcc
	s_cbranch_execz .LBB561_174
; %bb.171:
	v_bfe_u32 v54, v40, 16, 7
	s_movk_i32 s8, 0x7f
	v_cmp_ne_u32_e32 vcc, s8, v54
	v_mov_b32_e32 v39, 0x7f800001
	s_and_saveexec_b64 s[8:9], vcc
	s_cbranch_execz .LBB561_173
; %bb.172:
	v_and_b32_e32 v56, 7, v38
	v_ffbh_u32_e32 v39, v56
	v_min_u32_e32 v58, 32, v39
	v_subrev_u32_e32 v39, 28, v58
	v_lshlrev_b64 v[38:39], v39, v[38:39]
	v_lshrrev_b32_e32 v57, 3, v54
	v_sub_u32_e32 v39, 29, v58
	v_and_b32_e32 v38, 7, v38
	v_cmp_gt_u32_e32 vcc, 8, v54
	v_mov_b32_e32 v54, 24
	v_cndmask_b32_e32 v39, v57, v39, vcc
	v_cndmask_b32_e32 v38, v56, v38, vcc
	v_lshlrev_b32_sdwa v54, v54, v40 dst_sel:DWORD dst_unused:UNUSED_PAD src0_sel:DWORD src1_sel:WORD_1
	v_bfrev_b32_e32 v56, 60
	v_lshlrev_b32_e32 v38, 20, v38
	v_and_b32_e32 v54, 0x80000000, v54
	v_lshl_add_u32 v39, v39, 23, v56
	v_or3_b32 v39, v54, v39, v38
.LBB561_173:
	s_or_b64 exec, exec, s[8:9]
.LBB561_174:
	s_or_b64 exec, exec, s[2:3]
.LBB561_175:
	s_or_b64 exec, exec, s[0:1]
	s_mov_b32 s0, 0xffffff
	v_cmp_lt_u32_e32 vcc, s0, v40
	v_mov_b32_e32 v56, 0
	v_mov_b32_e32 v57, 0
	s_and_saveexec_b64 s[0:1], vcc
	s_cbranch_execz .LBB561_181
; %bb.176:
	v_lshrrev_b32_e32 v38, 24, v40
	s_movk_i32 s2, 0x80
	v_cmp_ne_u32_e32 vcc, s2, v38
	v_bfrev_b32_e32 v57, 1
	s_and_saveexec_b64 s[2:3], vcc
	s_cbranch_execz .LBB561_180
; %bb.177:
	v_bfe_u32 v40, v40, 24, 7
	s_movk_i32 s8, 0x7f
	v_cmp_ne_u32_e32 vcc, s8, v40
	v_mov_b32_e32 v57, 0x7f800001
	s_and_saveexec_b64 s[8:9], vcc
	s_cbranch_execz .LBB561_179
; %bb.178:
	v_and_b32_e32 v54, 7, v38
	v_ffbh_u32_e32 v58, v54
	v_min_u32_e32 v60, 32, v58
	v_subrev_u32_e32 v58, 28, v60
	v_lshlrev_b64 v[58:59], v58, v[38:39]
	v_lshrrev_b32_e32 v57, 3, v40
	v_sub_u32_e32 v59, 29, v60
	v_and_b32_e32 v58, 7, v58
	v_cmp_gt_u32_e32 vcc, 8, v40
	v_cndmask_b32_e32 v40, v57, v59, vcc
	v_cndmask_b32_e32 v54, v54, v58, vcc
	v_lshlrev_b32_e32 v38, 24, v38
	v_bfrev_b32_e32 v57, 60
	v_lshlrev_b32_e32 v54, 20, v54
	v_and_b32_e32 v38, 0x80000000, v38
	v_lshl_add_u32 v40, v40, 23, v57
	v_or3_b32 v57, v38, v40, v54
.LBB561_179:
	s_or_b64 exec, exec, s[8:9]
.LBB561_180:
	s_or_b64 exec, exec, s[2:3]
.LBB561_181:
	s_or_b64 exec, exec, s[0:1]
	v_cmp_ne_u16_sdwa s[2:3], v41, v56 src0_sel:BYTE_0 src1_sel:DWORD
	s_and_saveexec_b64 s[0:1], s[2:3]
	s_cbranch_execz .LBB561_187
; %bb.182:
	s_movk_i32 s2, 0x80
	v_cmp_ne_u16_sdwa s[8:9], v41, s2 src0_sel:BYTE_0 src1_sel:DWORD
	v_bfrev_b32_e32 v56, 1
	s_and_saveexec_b64 s[2:3], s[8:9]
	s_cbranch_execz .LBB561_186
; %bb.183:
	s_movk_i32 s8, 0x7f
	v_and_b32_e32 v38, 0x7f, v41
	v_cmp_ne_u32_e32 vcc, s8, v38
	v_mov_b32_e32 v56, 0x7f800001
	s_and_saveexec_b64 s[8:9], vcc
	s_cbranch_execz .LBB561_185
; %bb.184:
	v_and_b32_e32 v54, 7, v41
	v_ffbh_u32_e32 v58, v54
	v_min_u32_e32 v60, 32, v58
	v_mov_b32_e32 v40, v41
	v_subrev_u32_e32 v58, 28, v60
	v_lshlrev_b64 v[58:59], v58, v[40:41]
	v_lshrrev_b32_e32 v56, 3, v38
	v_sub_u32_e32 v40, 29, v60
	v_and_b32_e32 v58, 7, v58
	v_cmp_gt_u32_e32 vcc, 8, v38
	v_cndmask_b32_e32 v38, v56, v40, vcc
	v_cndmask_b32_e32 v40, v54, v58, vcc
	v_lshlrev_b32_e32 v54, 24, v41
	v_bfrev_b32_e32 v56, 60
	v_lshlrev_b32_e32 v40, 20, v40
	v_and_b32_e32 v54, 0x80000000, v54
	v_lshl_add_u32 v38, v38, 23, v56
	v_or3_b32 v56, v54, v38, v40
.LBB561_185:
	s_or_b64 exec, exec, s[8:9]
.LBB561_186:
	s_or_b64 exec, exec, s[2:3]
.LBB561_187:
	s_or_b64 exec, exec, s[0:1]
	v_lshrrev_b16_e32 v38, 8, v41
	v_cmp_ne_u16_e32 vcc, 0, v38
	v_mov_b32_e32 v40, 0
	v_mov_b32_e32 v58, 0
	s_and_saveexec_b64 s[0:1], vcc
	s_cbranch_execz .LBB561_193
; %bb.188:
	s_movk_i32 s2, 0x80
	v_cmp_ne_u16_e32 vcc, s2, v38
	v_bfrev_b32_e32 v58, 1
	s_and_saveexec_b64 s[2:3], vcc
	s_cbranch_execz .LBB561_192
; %bb.189:
	s_movk_i32 s8, 0x7f
	v_and_b32_e32 v54, 0x7f, v38
	v_cmp_ne_u32_e32 vcc, s8, v54
	v_mov_b32_e32 v58, 0x7f800001
	s_and_saveexec_b64 s[8:9], vcc
	s_cbranch_execz .LBB561_191
; %bb.190:
	v_and_b32_e32 v60, 7, v38
	v_ffbh_u32_e32 v58, v60
	v_min_u32_e32 v62, 32, v58
	v_subrev_u32_e32 v58, 28, v62
	v_lshlrev_b64 v[58:59], v58, v[38:39]
	v_lshrrev_b32_e32 v61, 3, v54
	v_sub_u32_e32 v38, 29, v62
	v_and_b32_e32 v58, 7, v58
	v_cmp_gt_u32_e32 vcc, 8, v54
	v_cndmask_b32_e32 v38, v61, v38, vcc
	v_cndmask_b32_e32 v54, v60, v58, vcc
	v_lshlrev_b32_e32 v58, 16, v41
	v_bfrev_b32_e32 v59, 60
	v_lshlrev_b32_e32 v54, 20, v54
	v_and_b32_e32 v58, 0x80000000, v58
	v_lshl_add_u32 v38, v38, 23, v59
	v_or3_b32 v58, v58, v38, v54
.LBB561_191:
	s_or_b64 exec, exec, s[8:9]
.LBB561_192:
	s_or_b64 exec, exec, s[2:3]
.LBB561_193:
	s_or_b64 exec, exec, s[0:1]
	s_movk_i32 s0, 0xff
	v_and_b32_sdwa v54, v41, s0 dst_sel:DWORD dst_unused:UNUSED_PAD src0_sel:WORD_1 src1_sel:DWORD
	v_lshrrev_b32_e32 v38, 16, v41
	v_cmp_ne_u16_e32 vcc, 0, v54
	s_and_saveexec_b64 s[0:1], vcc
	s_cbranch_execz .LBB561_199
; %bb.194:
	s_movk_i32 s2, 0x80
	v_cmp_ne_u16_e32 vcc, s2, v54
	v_bfrev_b32_e32 v40, 1
	s_and_saveexec_b64 s[2:3], vcc
	s_cbranch_execz .LBB561_198
; %bb.195:
	v_bfe_u32 v54, v41, 16, 7
	s_movk_i32 s8, 0x7f
	v_cmp_ne_u32_e32 vcc, s8, v54
	v_mov_b32_e32 v40, 0x7f800001
	s_and_saveexec_b64 s[8:9], vcc
	s_cbranch_execz .LBB561_197
; %bb.196:
	v_and_b32_e32 v40, 7, v38
	v_ffbh_u32_e32 v60, v40
	v_min_u32_e32 v62, 32, v60
	v_subrev_u32_e32 v60, 28, v62
	v_lshlrev_b64 v[60:61], v60, v[38:39]
	v_lshrrev_b32_e32 v59, 3, v54
	v_sub_u32_e32 v38, 29, v62
	v_and_b32_e32 v60, 7, v60
	v_cmp_gt_u32_e32 vcc, 8, v54
	v_mov_b32_e32 v54, 24
	v_cndmask_b32_e32 v38, v59, v38, vcc
	v_cndmask_b32_e32 v40, v40, v60, vcc
	v_lshlrev_b32_sdwa v54, v54, v41 dst_sel:DWORD dst_unused:UNUSED_PAD src0_sel:DWORD src1_sel:WORD_1
	v_bfrev_b32_e32 v59, 60
	v_lshlrev_b32_e32 v40, 20, v40
	v_and_b32_e32 v54, 0x80000000, v54
	v_lshl_add_u32 v38, v38, 23, v59
	v_or3_b32 v40, v54, v38, v40
.LBB561_197:
	s_or_b64 exec, exec, s[8:9]
.LBB561_198:
	s_or_b64 exec, exec, s[2:3]
.LBB561_199:
	s_or_b64 exec, exec, s[0:1]
	s_mov_b32 s0, 0xffffff
	v_cmp_lt_u32_e32 vcc, s0, v41
	v_mov_b32_e32 v54, 0
	v_mov_b32_e32 v59, 0
	s_and_saveexec_b64 s[0:1], vcc
	s_cbranch_execz .LBB561_205
; %bb.200:
	v_lshrrev_b32_e32 v38, 24, v41
	s_movk_i32 s2, 0x80
	v_cmp_ne_u32_e32 vcc, s2, v38
	v_bfrev_b32_e32 v59, 1
	s_and_saveexec_b64 s[2:3], vcc
	s_cbranch_execz .LBB561_204
; %bb.201:
	v_bfe_u32 v41, v41, 24, 7
	s_movk_i32 s8, 0x7f
	v_cmp_ne_u32_e32 vcc, s8, v41
	v_mov_b32_e32 v59, 0x7f800001
	s_and_saveexec_b64 s[8:9], vcc
	s_cbranch_execz .LBB561_203
; %bb.202:
	v_and_b32_e32 v59, 7, v38
	v_ffbh_u32_e32 v60, v59
	v_min_u32_e32 v63, 32, v60
	v_subrev_u32_e32 v60, 28, v63
	v_lshlrev_b64 v[60:61], v60, v[38:39]
	v_lshrrev_b32_e32 v62, 3, v41
	v_sub_u32_e32 v61, 29, v63
	v_and_b32_e32 v60, 7, v60
	v_cmp_gt_u32_e32 vcc, 8, v41
	v_cndmask_b32_e32 v41, v62, v61, vcc
	v_cndmask_b32_e32 v59, v59, v60, vcc
	v_lshlrev_b32_e32 v38, 24, v38
	v_bfrev_b32_e32 v60, 60
	v_lshlrev_b32_e32 v59, 20, v59
	v_and_b32_e32 v38, 0x80000000, v38
	v_lshl_add_u32 v41, v41, 23, v60
	v_or3_b32 v59, v38, v41, v59
.LBB561_203:
	s_or_b64 exec, exec, s[8:9]
.LBB561_204:
	s_or_b64 exec, exec, s[2:3]
.LBB561_205:
	s_or_b64 exec, exec, s[0:1]
	v_cvt_pkrtz_f16_f32 v38, v53, v55
	v_cvt_pkrtz_f16_f32 v39, v39, v57
	v_cmp_ne_u16_sdwa s[2:3], v30, v54 src0_sel:BYTE_0 src1_sel:DWORD
	s_nop 0
	v_mfma_f32_16x16x16f16 v[42:45], v[38:39], v[18:19], v[42:45]
	v_cvt_pkrtz_f16_f32 v38, v56, v58
	v_cvt_pkrtz_f16_f32 v39, v40, v59
	s_nop 1
	v_mfma_f32_16x16x16f16 v[38:41], v[38:39], v[20:21], v[42:45]
	s_and_saveexec_b64 s[0:1], s[2:3]
	s_cbranch_execz .LBB561_211
; %bb.206:
	s_movk_i32 s2, 0x80
	v_cmp_ne_u16_sdwa s[8:9], v30, s2 src0_sel:BYTE_0 src1_sel:DWORD
	v_bfrev_b32_e32 v54, 1
	s_and_saveexec_b64 s[2:3], s[8:9]
	s_cbranch_execz .LBB561_210
; %bb.207:
	s_movk_i32 s8, 0x7f
	v_and_b32_e32 v42, 0x7f, v30
	v_cmp_ne_u32_e32 vcc, s8, v42
	v_mov_b32_e32 v54, 0x7f800001
	s_and_saveexec_b64 s[8:9], vcc
	s_cbranch_execz .LBB561_209
; %bb.208:
	v_and_b32_e32 v43, 7, v30
	v_ffbh_u32_e32 v44, v43
	v_min_u32_e32 v54, 32, v44
	v_subrev_u32_e32 v44, 28, v54
	v_lshlrev_b64 v[44:45], v44, v[30:31]
	v_lshrrev_b32_e32 v53, 3, v42
	v_sub_u32_e32 v45, 29, v54
	v_and_b32_e32 v44, 7, v44
	v_cmp_gt_u32_e32 vcc, 8, v42
	v_cndmask_b32_e32 v42, v53, v45, vcc
	v_cndmask_b32_e32 v43, v43, v44, vcc
	v_lshlrev_b32_e32 v44, 24, v30
	v_bfrev_b32_e32 v45, 60
	v_lshlrev_b32_e32 v43, 20, v43
	v_and_b32_e32 v44, 0x80000000, v44
	v_lshl_add_u32 v42, v42, 23, v45
	v_or3_b32 v54, v44, v42, v43
.LBB561_209:
	s_or_b64 exec, exec, s[8:9]
.LBB561_210:
	s_or_b64 exec, exec, s[2:3]
.LBB561_211:
	s_or_b64 exec, exec, s[0:1]
	s_nop 3
	v_lshrrev_b16_e32 v42, 8, v30
	v_cmp_ne_u16_e32 vcc, 0, v42
	v_mov_b32_e32 v43, 0
	v_mov_b32_e32 v44, 0
	s_and_saveexec_b64 s[0:1], vcc
	s_cbranch_execz .LBB561_217
; %bb.212:
	s_movk_i32 s2, 0x80
	v_cmp_ne_u16_e32 vcc, s2, v42
	v_bfrev_b32_e32 v44, 1
	s_and_saveexec_b64 s[2:3], vcc
	s_cbranch_execz .LBB561_216
; %bb.213:
	s_movk_i32 s8, 0x7f
	v_and_b32_e32 v45, 0x7f, v42
	v_cmp_ne_u32_e32 vcc, s8, v45
	v_mov_b32_e32 v44, 0x7f800001
	s_and_saveexec_b64 s[8:9], vcc
	s_cbranch_execz .LBB561_215
; %bb.214:
	v_and_b32_e32 v44, 7, v42
	v_ffbh_u32_e32 v55, v44
	v_min_u32_e32 v55, 32, v55
	v_subrev_u32_e32 v56, 28, v55
	v_lshlrev_b64 v[56:57], v56, v[42:43]
	v_lshrrev_b32_e32 v53, 3, v45
	v_sub_u32_e32 v42, 29, v55
	v_and_b32_e32 v55, 7, v56
	v_cmp_gt_u32_e32 vcc, 8, v45
	v_cndmask_b32_e32 v42, v53, v42, vcc
	v_cndmask_b32_e32 v44, v44, v55, vcc
	v_lshlrev_b32_e32 v45, 16, v30
	v_bfrev_b32_e32 v53, 60
	v_lshlrev_b32_e32 v44, 20, v44
	v_and_b32_e32 v45, 0x80000000, v45
	v_lshl_add_u32 v42, v42, 23, v53
	v_or3_b32 v44, v45, v42, v44
.LBB561_215:
	s_or_b64 exec, exec, s[8:9]
.LBB561_216:
	s_or_b64 exec, exec, s[2:3]
.LBB561_217:
	s_or_b64 exec, exec, s[0:1]
	s_movk_i32 s0, 0xff
	v_and_b32_sdwa v45, v30, s0 dst_sel:DWORD dst_unused:UNUSED_PAD src0_sel:WORD_1 src1_sel:DWORD
	v_lshrrev_b32_e32 v42, 16, v30
	v_cmp_ne_u16_e32 vcc, 0, v45
	s_and_saveexec_b64 s[0:1], vcc
	s_cbranch_execz .LBB561_223
; %bb.218:
	s_movk_i32 s2, 0x80
	v_cmp_ne_u16_e32 vcc, s2, v45
	v_bfrev_b32_e32 v43, 1
	s_and_saveexec_b64 s[2:3], vcc
	s_cbranch_execz .LBB561_222
; %bb.219:
	v_bfe_u32 v45, v30, 16, 7
	s_movk_i32 s8, 0x7f
	v_cmp_ne_u32_e32 vcc, s8, v45
	v_mov_b32_e32 v43, 0x7f800001
	s_and_saveexec_b64 s[8:9], vcc
	s_cbranch_execz .LBB561_221
; %bb.220:
	v_and_b32_e32 v53, 7, v42
	v_ffbh_u32_e32 v43, v53
	v_min_u32_e32 v56, 32, v43
	v_subrev_u32_e32 v43, 28, v56
	v_lshlrev_b64 v[42:43], v43, v[42:43]
	v_lshrrev_b32_e32 v55, 3, v45
	v_sub_u32_e32 v43, 29, v56
	v_and_b32_e32 v42, 7, v42
	v_cmp_gt_u32_e32 vcc, 8, v45
	v_mov_b32_e32 v45, 24
	v_cndmask_b32_e32 v43, v55, v43, vcc
	v_cndmask_b32_e32 v42, v53, v42, vcc
	v_lshlrev_b32_sdwa v45, v45, v30 dst_sel:DWORD dst_unused:UNUSED_PAD src0_sel:DWORD src1_sel:WORD_1
	v_bfrev_b32_e32 v53, 60
	v_lshlrev_b32_e32 v42, 20, v42
	v_and_b32_e32 v45, 0x80000000, v45
	v_lshl_add_u32 v43, v43, 23, v53
	v_or3_b32 v43, v45, v43, v42
.LBB561_221:
	s_or_b64 exec, exec, s[8:9]
.LBB561_222:
	s_or_b64 exec, exec, s[2:3]
.LBB561_223:
	s_or_b64 exec, exec, s[0:1]
	s_mov_b32 s0, 0xffffff
	v_cmp_lt_u32_e32 vcc, s0, v30
	v_mov_b32_e32 v45, 0
	v_mov_b32_e32 v55, 0
	s_and_saveexec_b64 s[0:1], vcc
	s_cbranch_execz .LBB561_229
; %bb.224:
	v_lshrrev_b32_e32 v42, 24, v30
	s_movk_i32 s2, 0x80
	v_cmp_ne_u32_e32 vcc, s2, v42
	v_bfrev_b32_e32 v55, 1
	s_and_saveexec_b64 s[2:3], vcc
	s_cbranch_execz .LBB561_228
; %bb.225:
	v_bfe_u32 v30, v30, 24, 7
	s_movk_i32 s8, 0x7f
	v_cmp_ne_u32_e32 vcc, s8, v30
	v_mov_b32_e32 v55, 0x7f800001
	s_and_saveexec_b64 s[8:9], vcc
	s_cbranch_execz .LBB561_227
; %bb.226:
	v_and_b32_e32 v53, 7, v42
	v_ffbh_u32_e32 v56, v53
	v_min_u32_e32 v58, 32, v56
	v_subrev_u32_e32 v56, 28, v58
	v_lshlrev_b64 v[56:57], v56, v[42:43]
	v_lshrrev_b32_e32 v55, 3, v30
	v_sub_u32_e32 v57, 29, v58
	v_and_b32_e32 v56, 7, v56
	v_cmp_gt_u32_e32 vcc, 8, v30
	v_cndmask_b32_e32 v30, v55, v57, vcc
	v_cndmask_b32_e32 v53, v53, v56, vcc
	v_lshlrev_b32_e32 v42, 24, v42
	v_bfrev_b32_e32 v55, 60
	v_lshlrev_b32_e32 v53, 20, v53
	v_and_b32_e32 v42, 0x80000000, v42
	v_lshl_add_u32 v30, v30, 23, v55
	v_or3_b32 v55, v42, v30, v53
.LBB561_227:
	s_or_b64 exec, exec, s[8:9]
.LBB561_228:
	s_or_b64 exec, exec, s[2:3]
.LBB561_229:
	s_or_b64 exec, exec, s[0:1]
	v_cmp_ne_u16_sdwa s[2:3], v31, v45 src0_sel:BYTE_0 src1_sel:DWORD
	s_and_saveexec_b64 s[0:1], s[2:3]
	s_cbranch_execz .LBB561_235
; %bb.230:
	s_movk_i32 s2, 0x80
	v_cmp_ne_u16_sdwa s[8:9], v31, s2 src0_sel:BYTE_0 src1_sel:DWORD
	v_bfrev_b32_e32 v45, 1
	s_and_saveexec_b64 s[2:3], s[8:9]
	s_cbranch_execz .LBB561_234
; %bb.231:
	s_movk_i32 s8, 0x7f
	v_and_b32_e32 v30, 0x7f, v31
	v_cmp_ne_u32_e32 vcc, s8, v30
	v_mov_b32_e32 v45, 0x7f800001
	s_and_saveexec_b64 s[8:9], vcc
	s_cbranch_execz .LBB561_233
; %bb.232:
	v_and_b32_e32 v45, 7, v31
	v_ffbh_u32_e32 v56, v45
	v_min_u32_e32 v58, 32, v56
	v_mov_b32_e32 v42, v31
	v_subrev_u32_e32 v56, 28, v58
	v_lshlrev_b64 v[56:57], v56, v[42:43]
	v_lshrrev_b32_e32 v53, 3, v30
	v_sub_u32_e32 v42, 29, v58
	v_and_b32_e32 v56, 7, v56
	v_cmp_gt_u32_e32 vcc, 8, v30
	v_cndmask_b32_e32 v30, v53, v42, vcc
	v_cndmask_b32_e32 v42, v45, v56, vcc
	v_lshlrev_b32_e32 v45, 24, v31
	v_bfrev_b32_e32 v53, 60
	v_lshlrev_b32_e32 v42, 20, v42
	v_and_b32_e32 v45, 0x80000000, v45
	v_lshl_add_u32 v30, v30, 23, v53
	v_or3_b32 v45, v45, v30, v42
.LBB561_233:
	s_or_b64 exec, exec, s[8:9]
.LBB561_234:
	s_or_b64 exec, exec, s[2:3]
.LBB561_235:
	s_or_b64 exec, exec, s[0:1]
	v_lshrrev_b16_e32 v30, 8, v31
	v_cmp_ne_u16_e32 vcc, 0, v30
	v_mov_b32_e32 v42, 0
	v_mov_b32_e32 v56, 0
	s_and_saveexec_b64 s[0:1], vcc
	s_cbranch_execz .LBB561_241
; %bb.236:
	s_movk_i32 s2, 0x80
	v_cmp_ne_u16_e32 vcc, s2, v30
	v_bfrev_b32_e32 v56, 1
	s_and_saveexec_b64 s[2:3], vcc
	s_cbranch_execz .LBB561_240
; %bb.237:
	s_movk_i32 s8, 0x7f
	v_and_b32_e32 v53, 0x7f, v30
	v_cmp_ne_u32_e32 vcc, s8, v53
	v_mov_b32_e32 v56, 0x7f800001
	s_and_saveexec_b64 s[8:9], vcc
	s_cbranch_execz .LBB561_239
; %bb.238:
	v_and_b32_e32 v58, 7, v30
	v_ffbh_u32_e32 v56, v58
	v_min_u32_e32 v60, 32, v56
	v_subrev_u32_e32 v56, 28, v60
	v_lshlrev_b64 v[56:57], v56, v[30:31]
	v_lshrrev_b32_e32 v59, 3, v53
	v_sub_u32_e32 v30, 29, v60
	v_and_b32_e32 v56, 7, v56
	v_cmp_gt_u32_e32 vcc, 8, v53
	v_cndmask_b32_e32 v30, v59, v30, vcc
	v_cndmask_b32_e32 v53, v58, v56, vcc
	v_lshlrev_b32_e32 v56, 16, v31
	v_bfrev_b32_e32 v57, 60
	v_lshlrev_b32_e32 v53, 20, v53
	v_and_b32_e32 v56, 0x80000000, v56
	v_lshl_add_u32 v30, v30, 23, v57
	v_or3_b32 v56, v56, v30, v53
.LBB561_239:
	s_or_b64 exec, exec, s[8:9]
.LBB561_240:
	s_or_b64 exec, exec, s[2:3]
.LBB561_241:
	s_or_b64 exec, exec, s[0:1]
	s_movk_i32 s0, 0xff
	v_and_b32_sdwa v53, v31, s0 dst_sel:DWORD dst_unused:UNUSED_PAD src0_sel:WORD_1 src1_sel:DWORD
	v_lshrrev_b32_e32 v30, 16, v31
	v_cmp_ne_u16_e32 vcc, 0, v53
	s_and_saveexec_b64 s[0:1], vcc
	s_cbranch_execz .LBB561_247
; %bb.242:
	s_movk_i32 s2, 0x80
	v_cmp_ne_u16_e32 vcc, s2, v53
	v_bfrev_b32_e32 v42, 1
	s_and_saveexec_b64 s[2:3], vcc
	s_cbranch_execz .LBB561_246
; %bb.243:
	v_bfe_u32 v53, v31, 16, 7
	s_movk_i32 s8, 0x7f
	v_cmp_ne_u32_e32 vcc, s8, v53
	v_mov_b32_e32 v42, 0x7f800001
	s_and_saveexec_b64 s[8:9], vcc
	s_cbranch_execz .LBB561_245
; %bb.244:
	v_and_b32_e32 v42, 7, v30
	v_ffbh_u32_e32 v58, v42
	v_min_u32_e32 v60, 32, v58
	v_subrev_u32_e32 v58, 28, v60
	v_lshlrev_b64 v[58:59], v58, v[30:31]
	v_lshrrev_b32_e32 v57, 3, v53
	v_sub_u32_e32 v30, 29, v60
	v_and_b32_e32 v58, 7, v58
	v_cmp_gt_u32_e32 vcc, 8, v53
	v_mov_b32_e32 v53, 24
	v_cndmask_b32_e32 v30, v57, v30, vcc
	v_cndmask_b32_e32 v42, v42, v58, vcc
	v_lshlrev_b32_sdwa v53, v53, v31 dst_sel:DWORD dst_unused:UNUSED_PAD src0_sel:DWORD src1_sel:WORD_1
	v_bfrev_b32_e32 v57, 60
	v_lshlrev_b32_e32 v42, 20, v42
	v_and_b32_e32 v53, 0x80000000, v53
	v_lshl_add_u32 v30, v30, 23, v57
	v_or3_b32 v42, v53, v30, v42
.LBB561_245:
	s_or_b64 exec, exec, s[8:9]
.LBB561_246:
	s_or_b64 exec, exec, s[2:3]
.LBB561_247:
	s_or_b64 exec, exec, s[0:1]
	s_mov_b32 s0, 0xffffff
	v_cmp_lt_u32_e32 vcc, s0, v31
	v_mov_b32_e32 v53, 0
	v_mov_b32_e32 v57, 0
	s_and_saveexec_b64 s[0:1], vcc
	s_cbranch_execz .LBB561_253
; %bb.248:
	v_lshrrev_b32_e32 v30, 24, v31
	s_movk_i32 s2, 0x80
	v_cmp_ne_u32_e32 vcc, s2, v30
	v_bfrev_b32_e32 v57, 1
	s_and_saveexec_b64 s[2:3], vcc
	s_cbranch_execz .LBB561_252
; %bb.249:
	v_bfe_u32 v31, v31, 24, 7
	s_movk_i32 s8, 0x7f
	v_cmp_ne_u32_e32 vcc, s8, v31
	v_mov_b32_e32 v57, 0x7f800001
	s_and_saveexec_b64 s[8:9], vcc
	s_cbranch_execz .LBB561_251
; %bb.250:
	v_and_b32_e32 v57, 7, v30
	v_ffbh_u32_e32 v58, v57
	v_min_u32_e32 v61, 32, v58
	v_subrev_u32_e32 v58, 28, v61
	v_lshlrev_b64 v[58:59], v58, v[30:31]
	v_lshrrev_b32_e32 v60, 3, v31
	v_sub_u32_e32 v59, 29, v61
	v_and_b32_e32 v58, 7, v58
	v_cmp_gt_u32_e32 vcc, 8, v31
	v_cndmask_b32_e32 v31, v60, v59, vcc
	v_cndmask_b32_e32 v57, v57, v58, vcc
	v_lshlrev_b32_e32 v30, 24, v30
	v_bfrev_b32_e32 v58, 60
	v_lshlrev_b32_e32 v57, 20, v57
	v_and_b32_e32 v30, 0x80000000, v30
	v_lshl_add_u32 v31, v31, 23, v58
	v_or3_b32 v57, v30, v31, v57
.LBB561_251:
	s_or_b64 exec, exec, s[8:9]
.LBB561_252:
	s_or_b64 exec, exec, s[2:3]
.LBB561_253:
	s_or_b64 exec, exec, s[0:1]
	v_cvt_pkrtz_f16_f32 v30, v54, v44
	v_cvt_pkrtz_f16_f32 v31, v43, v55
	v_cmp_ne_u16_sdwa s[2:3], v32, v53 src0_sel:BYTE_0 src1_sel:DWORD
	s_nop 0
	v_mfma_f32_16x16x16f16 v[58:61], v[30:31], v[26:27], 0
	v_cvt_pkrtz_f16_f32 v30, v45, v56
	v_cvt_pkrtz_f16_f32 v31, v42, v57
	s_nop 1
	v_mfma_f32_16x16x16f16 v[42:45], v[30:31], v[28:29], v[58:61]
	s_and_saveexec_b64 s[0:1], s[2:3]
	s_cbranch_execz .LBB561_259
; %bb.254:
	s_movk_i32 s2, 0x80
	v_cmp_ne_u16_sdwa s[8:9], v32, s2 src0_sel:BYTE_0 src1_sel:DWORD
	v_bfrev_b32_e32 v53, 1
	s_and_saveexec_b64 s[2:3], s[8:9]
	s_cbranch_execz .LBB561_258
; %bb.255:
	s_movk_i32 s8, 0x7f
	v_and_b32_e32 v30, 0x7f, v32
	v_cmp_ne_u32_e32 vcc, s8, v30
	v_mov_b32_e32 v53, 0x7f800001
	s_and_saveexec_b64 s[8:9], vcc
	s_cbranch_execz .LBB561_257
; %bb.256:
	v_and_b32_e32 v31, 7, v32
	v_ffbh_u32_e32 v54, v31
	v_min_u32_e32 v56, 32, v54
	v_subrev_u32_e32 v54, 28, v56
	v_lshlrev_b64 v[54:55], v54, v[32:33]
	v_lshrrev_b32_e32 v53, 3, v30
	v_sub_u32_e32 v55, 29, v56
	v_and_b32_e32 v54, 7, v54
	v_cmp_gt_u32_e32 vcc, 8, v30
	v_cndmask_b32_e32 v30, v53, v55, vcc
	v_cndmask_b32_e32 v31, v31, v54, vcc
	v_lshlrev_b32_e32 v53, 24, v32
	v_bfrev_b32_e32 v54, 60
	v_lshlrev_b32_e32 v31, 20, v31
	v_and_b32_e32 v53, 0x80000000, v53
	v_lshl_add_u32 v30, v30, 23, v54
	v_or3_b32 v53, v53, v30, v31
.LBB561_257:
	s_or_b64 exec, exec, s[8:9]
.LBB561_258:
	s_or_b64 exec, exec, s[2:3]
.LBB561_259:
	s_or_b64 exec, exec, s[0:1]
	v_lshrrev_b16_e32 v30, 8, v32
	v_cmp_ne_u16_e32 vcc, 0, v30
	v_mov_b32_e32 v31, 0
	v_mov_b32_e32 v55, 0
	s_and_saveexec_b64 s[0:1], vcc
	s_cbranch_execz .LBB561_265
; %bb.260:
	s_movk_i32 s2, 0x80
	v_cmp_ne_u16_e32 vcc, s2, v30
	v_bfrev_b32_e32 v55, 1
	s_and_saveexec_b64 s[2:3], vcc
	s_cbranch_execz .LBB561_264
; %bb.261:
	s_movk_i32 s8, 0x7f
	v_and_b32_e32 v54, 0x7f, v30
	v_cmp_ne_u32_e32 vcc, s8, v54
	v_mov_b32_e32 v55, 0x7f800001
	s_and_saveexec_b64 s[8:9], vcc
	s_cbranch_execz .LBB561_263
; %bb.262:
	v_and_b32_e32 v55, 7, v30
	v_ffbh_u32_e32 v56, v55
	v_min_u32_e32 v59, 32, v56
	v_subrev_u32_e32 v56, 28, v59
	v_lshlrev_b64 v[56:57], v56, v[30:31]
	v_lshrrev_b32_e32 v58, 3, v54
	v_sub_u32_e32 v30, 29, v59
	v_and_b32_e32 v56, 7, v56
	v_cmp_gt_u32_e32 vcc, 8, v54
	v_cndmask_b32_e32 v30, v58, v30, vcc
	v_cndmask_b32_e32 v54, v55, v56, vcc
	v_lshlrev_b32_e32 v55, 16, v32
	v_bfrev_b32_e32 v56, 60
	v_lshlrev_b32_e32 v54, 20, v54
	v_and_b32_e32 v55, 0x80000000, v55
	v_lshl_add_u32 v30, v30, 23, v56
	v_or3_b32 v55, v55, v30, v54
.LBB561_263:
	s_or_b64 exec, exec, s[8:9]
.LBB561_264:
	s_or_b64 exec, exec, s[2:3]
.LBB561_265:
	s_or_b64 exec, exec, s[0:1]
	s_movk_i32 s0, 0xff
	v_and_b32_sdwa v54, v32, s0 dst_sel:DWORD dst_unused:UNUSED_PAD src0_sel:WORD_1 src1_sel:DWORD
	v_lshrrev_b32_e32 v30, 16, v32
	v_cmp_ne_u16_e32 vcc, 0, v54
	s_and_saveexec_b64 s[0:1], vcc
	s_cbranch_execz .LBB561_271
; %bb.266:
	s_movk_i32 s2, 0x80
	v_cmp_ne_u16_e32 vcc, s2, v54
	v_bfrev_b32_e32 v31, 1
	s_and_saveexec_b64 s[2:3], vcc
	s_cbranch_execz .LBB561_270
; %bb.267:
	v_bfe_u32 v54, v32, 16, 7
	s_movk_i32 s8, 0x7f
	v_cmp_ne_u32_e32 vcc, s8, v54
	v_mov_b32_e32 v31, 0x7f800001
	s_and_saveexec_b64 s[8:9], vcc
	s_cbranch_execz .LBB561_269
; %bb.268:
	v_and_b32_e32 v56, 7, v30
	v_ffbh_u32_e32 v31, v56
	v_min_u32_e32 v58, 32, v31
	v_subrev_u32_e32 v31, 28, v58
	v_lshlrev_b64 v[30:31], v31, v[30:31]
	v_lshrrev_b32_e32 v57, 3, v54
	v_sub_u32_e32 v31, 29, v58
	v_and_b32_e32 v30, 7, v30
	v_cmp_gt_u32_e32 vcc, 8, v54
	v_mov_b32_e32 v54, 24
	v_cndmask_b32_e32 v31, v57, v31, vcc
	v_cndmask_b32_e32 v30, v56, v30, vcc
	v_lshlrev_b32_sdwa v54, v54, v32 dst_sel:DWORD dst_unused:UNUSED_PAD src0_sel:DWORD src1_sel:WORD_1
	v_bfrev_b32_e32 v56, 60
	v_lshlrev_b32_e32 v30, 20, v30
	v_and_b32_e32 v54, 0x80000000, v54
	v_lshl_add_u32 v31, v31, 23, v56
	v_or3_b32 v31, v54, v31, v30
.LBB561_269:
	s_or_b64 exec, exec, s[8:9]
.LBB561_270:
	s_or_b64 exec, exec, s[2:3]
.LBB561_271:
	s_or_b64 exec, exec, s[0:1]
	s_mov_b32 s0, 0xffffff
	v_cmp_lt_u32_e32 vcc, s0, v32
	v_mov_b32_e32 v56, 0
	v_mov_b32_e32 v57, 0
	s_and_saveexec_b64 s[0:1], vcc
	s_cbranch_execz .LBB561_277
; %bb.272:
	v_lshrrev_b32_e32 v30, 24, v32
	s_movk_i32 s2, 0x80
	v_cmp_ne_u32_e32 vcc, s2, v30
	v_bfrev_b32_e32 v57, 1
	s_and_saveexec_b64 s[2:3], vcc
	s_cbranch_execz .LBB561_276
; %bb.273:
	v_bfe_u32 v32, v32, 24, 7
	s_movk_i32 s8, 0x7f
	v_cmp_ne_u32_e32 vcc, s8, v32
	v_mov_b32_e32 v57, 0x7f800001
	s_and_saveexec_b64 s[8:9], vcc
	s_cbranch_execz .LBB561_275
; %bb.274:
	v_and_b32_e32 v54, 7, v30
	v_ffbh_u32_e32 v58, v54
	v_min_u32_e32 v60, 32, v58
	v_subrev_u32_e32 v58, 28, v60
	v_lshlrev_b64 v[58:59], v58, v[30:31]
	v_lshrrev_b32_e32 v57, 3, v32
	v_sub_u32_e32 v59, 29, v60
	v_and_b32_e32 v58, 7, v58
	v_cmp_gt_u32_e32 vcc, 8, v32
	v_cndmask_b32_e32 v32, v57, v59, vcc
	v_cndmask_b32_e32 v54, v54, v58, vcc
	v_lshlrev_b32_e32 v30, 24, v30
	v_bfrev_b32_e32 v57, 60
	v_lshlrev_b32_e32 v54, 20, v54
	v_and_b32_e32 v30, 0x80000000, v30
	v_lshl_add_u32 v32, v32, 23, v57
	v_or3_b32 v57, v30, v32, v54
.LBB561_275:
	s_or_b64 exec, exec, s[8:9]
.LBB561_276:
	s_or_b64 exec, exec, s[2:3]
.LBB561_277:
	s_or_b64 exec, exec, s[0:1]
	v_cmp_ne_u16_sdwa s[2:3], v33, v56 src0_sel:BYTE_0 src1_sel:DWORD
	s_and_saveexec_b64 s[0:1], s[2:3]
	s_cbranch_execz .LBB561_283
; %bb.278:
	s_movk_i32 s2, 0x80
	v_cmp_ne_u16_sdwa s[8:9], v33, s2 src0_sel:BYTE_0 src1_sel:DWORD
	v_bfrev_b32_e32 v56, 1
	s_and_saveexec_b64 s[2:3], s[8:9]
	s_cbranch_execz .LBB561_282
; %bb.279:
	s_movk_i32 s8, 0x7f
	v_and_b32_e32 v30, 0x7f, v33
	v_cmp_ne_u32_e32 vcc, s8, v30
	v_mov_b32_e32 v56, 0x7f800001
	s_and_saveexec_b64 s[8:9], vcc
	s_cbranch_execz .LBB561_281
; %bb.280:
	v_and_b32_e32 v54, 7, v33
	v_ffbh_u32_e32 v58, v54
	v_min_u32_e32 v60, 32, v58
	v_mov_b32_e32 v32, v33
	v_subrev_u32_e32 v58, 28, v60
	v_lshlrev_b64 v[58:59], v58, v[32:33]
	v_lshrrev_b32_e32 v56, 3, v30
	v_sub_u32_e32 v32, 29, v60
	v_and_b32_e32 v58, 7, v58
	v_cmp_gt_u32_e32 vcc, 8, v30
	v_cndmask_b32_e32 v30, v56, v32, vcc
	v_cndmask_b32_e32 v32, v54, v58, vcc
	v_lshlrev_b32_e32 v54, 24, v33
	v_bfrev_b32_e32 v56, 60
	v_lshlrev_b32_e32 v32, 20, v32
	v_and_b32_e32 v54, 0x80000000, v54
	v_lshl_add_u32 v30, v30, 23, v56
	v_or3_b32 v56, v54, v30, v32
.LBB561_281:
	s_or_b64 exec, exec, s[8:9]
.LBB561_282:
	s_or_b64 exec, exec, s[2:3]
.LBB561_283:
	s_or_b64 exec, exec, s[0:1]
	v_lshrrev_b16_e32 v30, 8, v33
	v_cmp_ne_u16_e32 vcc, 0, v30
	v_mov_b32_e32 v32, 0
	v_mov_b32_e32 v58, 0
	s_and_saveexec_b64 s[0:1], vcc
	s_cbranch_execz .LBB561_289
; %bb.284:
	s_movk_i32 s2, 0x80
	v_cmp_ne_u16_e32 vcc, s2, v30
	v_bfrev_b32_e32 v58, 1
	s_and_saveexec_b64 s[2:3], vcc
	s_cbranch_execz .LBB561_288
; %bb.285:
	s_movk_i32 s8, 0x7f
	v_and_b32_e32 v54, 0x7f, v30
	v_cmp_ne_u32_e32 vcc, s8, v54
	v_mov_b32_e32 v58, 0x7f800001
	s_and_saveexec_b64 s[8:9], vcc
	s_cbranch_execz .LBB561_287
; %bb.286:
	v_and_b32_e32 v60, 7, v30
	v_ffbh_u32_e32 v58, v60
	v_min_u32_e32 v62, 32, v58
	v_subrev_u32_e32 v58, 28, v62
	v_lshlrev_b64 v[58:59], v58, v[30:31]
	v_lshrrev_b32_e32 v61, 3, v54
	v_sub_u32_e32 v30, 29, v62
	v_and_b32_e32 v58, 7, v58
	v_cmp_gt_u32_e32 vcc, 8, v54
	v_cndmask_b32_e32 v30, v61, v30, vcc
	v_cndmask_b32_e32 v54, v60, v58, vcc
	v_lshlrev_b32_e32 v58, 16, v33
	v_bfrev_b32_e32 v59, 60
	v_lshlrev_b32_e32 v54, 20, v54
	v_and_b32_e32 v58, 0x80000000, v58
	v_lshl_add_u32 v30, v30, 23, v59
	v_or3_b32 v58, v58, v30, v54
.LBB561_287:
	s_or_b64 exec, exec, s[8:9]
.LBB561_288:
	s_or_b64 exec, exec, s[2:3]
.LBB561_289:
	s_or_b64 exec, exec, s[0:1]
	s_movk_i32 s0, 0xff
	v_and_b32_sdwa v54, v33, s0 dst_sel:DWORD dst_unused:UNUSED_PAD src0_sel:WORD_1 src1_sel:DWORD
	v_lshrrev_b32_e32 v30, 16, v33
	v_cmp_ne_u16_e32 vcc, 0, v54
	s_and_saveexec_b64 s[0:1], vcc
	s_cbranch_execz .LBB561_295
; %bb.290:
	s_movk_i32 s2, 0x80
	v_cmp_ne_u16_e32 vcc, s2, v54
	v_bfrev_b32_e32 v32, 1
	s_and_saveexec_b64 s[2:3], vcc
	s_cbranch_execz .LBB561_294
; %bb.291:
	v_bfe_u32 v54, v33, 16, 7
	s_movk_i32 s8, 0x7f
	v_cmp_ne_u32_e32 vcc, s8, v54
	v_mov_b32_e32 v32, 0x7f800001
	s_and_saveexec_b64 s[8:9], vcc
	s_cbranch_execz .LBB561_293
; %bb.292:
	v_and_b32_e32 v32, 7, v30
	v_ffbh_u32_e32 v60, v32
	v_min_u32_e32 v62, 32, v60
	v_subrev_u32_e32 v60, 28, v62
	v_lshlrev_b64 v[60:61], v60, v[30:31]
	v_lshrrev_b32_e32 v59, 3, v54
	v_sub_u32_e32 v30, 29, v62
	v_and_b32_e32 v60, 7, v60
	v_cmp_gt_u32_e32 vcc, 8, v54
	v_mov_b32_e32 v54, 24
	v_cndmask_b32_e32 v30, v59, v30, vcc
	v_cndmask_b32_e32 v32, v32, v60, vcc
	v_lshlrev_b32_sdwa v54, v54, v33 dst_sel:DWORD dst_unused:UNUSED_PAD src0_sel:DWORD src1_sel:WORD_1
	v_bfrev_b32_e32 v59, 60
	v_lshlrev_b32_e32 v32, 20, v32
	v_and_b32_e32 v54, 0x80000000, v54
	v_lshl_add_u32 v30, v30, 23, v59
	v_or3_b32 v32, v54, v30, v32
.LBB561_293:
	s_or_b64 exec, exec, s[8:9]
.LBB561_294:
	s_or_b64 exec, exec, s[2:3]
.LBB561_295:
	s_or_b64 exec, exec, s[0:1]
	s_mov_b32 s0, 0xffffff
	v_cmp_lt_u32_e32 vcc, s0, v33
	v_mov_b32_e32 v54, 0
	v_mov_b32_e32 v59, 0
	s_and_saveexec_b64 s[0:1], vcc
	s_cbranch_execz .LBB561_301
; %bb.296:
	v_lshrrev_b32_e32 v30, 24, v33
	s_movk_i32 s2, 0x80
	v_cmp_ne_u32_e32 vcc, s2, v30
	v_bfrev_b32_e32 v59, 1
	s_and_saveexec_b64 s[2:3], vcc
	s_cbranch_execz .LBB561_300
; %bb.297:
	v_bfe_u32 v33, v33, 24, 7
	s_movk_i32 s8, 0x7f
	v_cmp_ne_u32_e32 vcc, s8, v33
	v_mov_b32_e32 v59, 0x7f800001
	s_and_saveexec_b64 s[8:9], vcc
	s_cbranch_execz .LBB561_299
; %bb.298:
	v_and_b32_e32 v59, 7, v30
	v_ffbh_u32_e32 v60, v59
	v_min_u32_e32 v63, 32, v60
	v_subrev_u32_e32 v60, 28, v63
	v_lshlrev_b64 v[60:61], v60, v[30:31]
	v_lshrrev_b32_e32 v62, 3, v33
	v_sub_u32_e32 v61, 29, v63
	v_and_b32_e32 v60, 7, v60
	v_cmp_gt_u32_e32 vcc, 8, v33
	v_cndmask_b32_e32 v33, v62, v61, vcc
	v_cndmask_b32_e32 v59, v59, v60, vcc
	v_lshlrev_b32_e32 v30, 24, v30
	v_bfrev_b32_e32 v60, 60
	v_lshlrev_b32_e32 v59, 20, v59
	v_and_b32_e32 v30, 0x80000000, v30
	v_lshl_add_u32 v33, v33, 23, v60
	v_or3_b32 v59, v30, v33, v59
.LBB561_299:
	s_or_b64 exec, exec, s[8:9]
.LBB561_300:
	s_or_b64 exec, exec, s[2:3]
.LBB561_301:
	s_or_b64 exec, exec, s[0:1]
	v_cvt_pkrtz_f16_f32 v30, v53, v55
	v_cvt_pkrtz_f16_f32 v31, v31, v57
	v_cmp_ne_u16_sdwa s[2:3], v22, v54 src0_sel:BYTE_0 src1_sel:DWORD
	s_nop 0
	v_mfma_f32_16x16x16f16 v[42:45], v[30:31], v[18:19], v[42:45]
	v_cvt_pkrtz_f16_f32 v30, v56, v58
	v_cvt_pkrtz_f16_f32 v31, v32, v59
	s_nop 1
	v_mfma_f32_16x16x16f16 v[30:33], v[30:31], v[20:21], v[42:45]
	s_and_saveexec_b64 s[0:1], s[2:3]
	s_cbranch_execz .LBB561_307
; %bb.302:
	s_movk_i32 s2, 0x80
	v_cmp_ne_u16_sdwa s[8:9], v22, s2 src0_sel:BYTE_0 src1_sel:DWORD
	v_bfrev_b32_e32 v54, 1
	s_and_saveexec_b64 s[2:3], s[8:9]
	s_cbranch_execz .LBB561_306
; %bb.303:
	s_movk_i32 s8, 0x7f
	v_and_b32_e32 v42, 0x7f, v22
	v_cmp_ne_u32_e32 vcc, s8, v42
	v_mov_b32_e32 v54, 0x7f800001
	s_and_saveexec_b64 s[8:9], vcc
	s_cbranch_execz .LBB561_305
; %bb.304:
	v_and_b32_e32 v43, 7, v22
	v_ffbh_u32_e32 v44, v43
	v_min_u32_e32 v54, 32, v44
	v_subrev_u32_e32 v44, 28, v54
	v_lshlrev_b64 v[44:45], v44, v[22:23]
	v_lshrrev_b32_e32 v53, 3, v42
	v_sub_u32_e32 v45, 29, v54
	v_and_b32_e32 v44, 7, v44
	v_cmp_gt_u32_e32 vcc, 8, v42
	v_cndmask_b32_e32 v42, v53, v45, vcc
	v_cndmask_b32_e32 v43, v43, v44, vcc
	v_lshlrev_b32_e32 v44, 24, v22
	v_bfrev_b32_e32 v45, 60
	v_lshlrev_b32_e32 v43, 20, v43
	v_and_b32_e32 v44, 0x80000000, v44
	v_lshl_add_u32 v42, v42, 23, v45
	v_or3_b32 v54, v44, v42, v43
.LBB561_305:
	s_or_b64 exec, exec, s[8:9]
.LBB561_306:
	s_or_b64 exec, exec, s[2:3]
.LBB561_307:
	s_or_b64 exec, exec, s[0:1]
	s_nop 3
	v_lshrrev_b16_e32 v42, 8, v22
	v_cmp_ne_u16_e32 vcc, 0, v42
	v_mov_b32_e32 v43, 0
	v_mov_b32_e32 v44, 0
	s_and_saveexec_b64 s[0:1], vcc
	s_cbranch_execz .LBB561_313
; %bb.308:
	s_movk_i32 s2, 0x80
	v_cmp_ne_u16_e32 vcc, s2, v42
	v_bfrev_b32_e32 v44, 1
	s_and_saveexec_b64 s[2:3], vcc
	s_cbranch_execz .LBB561_312
; %bb.309:
	s_movk_i32 s8, 0x7f
	v_and_b32_e32 v45, 0x7f, v42
	v_cmp_ne_u32_e32 vcc, s8, v45
	v_mov_b32_e32 v44, 0x7f800001
	s_and_saveexec_b64 s[8:9], vcc
	s_cbranch_execz .LBB561_311
; %bb.310:
	v_and_b32_e32 v44, 7, v42
	v_ffbh_u32_e32 v55, v44
	v_min_u32_e32 v55, 32, v55
	v_subrev_u32_e32 v56, 28, v55
	v_lshlrev_b64 v[56:57], v56, v[42:43]
	v_lshrrev_b32_e32 v53, 3, v45
	v_sub_u32_e32 v42, 29, v55
	v_and_b32_e32 v55, 7, v56
	v_cmp_gt_u32_e32 vcc, 8, v45
	v_cndmask_b32_e32 v42, v53, v42, vcc
	v_cndmask_b32_e32 v44, v44, v55, vcc
	v_lshlrev_b32_e32 v45, 16, v22
	v_bfrev_b32_e32 v53, 60
	v_lshlrev_b32_e32 v44, 20, v44
	v_and_b32_e32 v45, 0x80000000, v45
	v_lshl_add_u32 v42, v42, 23, v53
	v_or3_b32 v44, v45, v42, v44
.LBB561_311:
	s_or_b64 exec, exec, s[8:9]
.LBB561_312:
	s_or_b64 exec, exec, s[2:3]
.LBB561_313:
	s_or_b64 exec, exec, s[0:1]
	s_movk_i32 s0, 0xff
	v_and_b32_sdwa v45, v22, s0 dst_sel:DWORD dst_unused:UNUSED_PAD src0_sel:WORD_1 src1_sel:DWORD
	v_lshrrev_b32_e32 v42, 16, v22
	v_cmp_ne_u16_e32 vcc, 0, v45
	s_and_saveexec_b64 s[0:1], vcc
	s_cbranch_execz .LBB561_319
; %bb.314:
	s_movk_i32 s2, 0x80
	v_cmp_ne_u16_e32 vcc, s2, v45
	v_bfrev_b32_e32 v43, 1
	s_and_saveexec_b64 s[2:3], vcc
	s_cbranch_execz .LBB561_318
; %bb.315:
	v_bfe_u32 v45, v22, 16, 7
	s_movk_i32 s8, 0x7f
	v_cmp_ne_u32_e32 vcc, s8, v45
	v_mov_b32_e32 v43, 0x7f800001
	s_and_saveexec_b64 s[8:9], vcc
	s_cbranch_execz .LBB561_317
; %bb.316:
	v_and_b32_e32 v53, 7, v42
	v_ffbh_u32_e32 v43, v53
	v_min_u32_e32 v56, 32, v43
	v_subrev_u32_e32 v43, 28, v56
	v_lshlrev_b64 v[42:43], v43, v[42:43]
	v_lshrrev_b32_e32 v55, 3, v45
	v_sub_u32_e32 v43, 29, v56
	v_and_b32_e32 v42, 7, v42
	v_cmp_gt_u32_e32 vcc, 8, v45
	v_mov_b32_e32 v45, 24
	v_cndmask_b32_e32 v43, v55, v43, vcc
	v_cndmask_b32_e32 v42, v53, v42, vcc
	v_lshlrev_b32_sdwa v45, v45, v22 dst_sel:DWORD dst_unused:UNUSED_PAD src0_sel:DWORD src1_sel:WORD_1
	v_bfrev_b32_e32 v53, 60
	v_lshlrev_b32_e32 v42, 20, v42
	v_and_b32_e32 v45, 0x80000000, v45
	v_lshl_add_u32 v43, v43, 23, v53
	v_or3_b32 v43, v45, v43, v42
.LBB561_317:
	s_or_b64 exec, exec, s[8:9]
.LBB561_318:
	s_or_b64 exec, exec, s[2:3]
.LBB561_319:
	s_or_b64 exec, exec, s[0:1]
	s_mov_b32 s0, 0xffffff
	v_cmp_lt_u32_e32 vcc, s0, v22
	v_mov_b32_e32 v45, 0
	v_mov_b32_e32 v53, 0
	s_and_saveexec_b64 s[0:1], vcc
	s_cbranch_execz .LBB561_325
; %bb.320:
	v_lshrrev_b32_e32 v42, 24, v22
	s_movk_i32 s2, 0x80
	v_cmp_ne_u32_e32 vcc, s2, v42
	v_bfrev_b32_e32 v53, 1
	s_and_saveexec_b64 s[2:3], vcc
	s_cbranch_execz .LBB561_324
; %bb.321:
	v_bfe_u32 v22, v22, 24, 7
	s_movk_i32 s8, 0x7f
	v_cmp_ne_u32_e32 vcc, s8, v22
	v_mov_b32_e32 v53, 0x7f800001
	s_and_saveexec_b64 s[8:9], vcc
	s_cbranch_execz .LBB561_323
; %bb.322:
	v_and_b32_e32 v53, 7, v42
	v_ffbh_u32_e32 v56, v53
	v_min_u32_e32 v58, 32, v56
	v_subrev_u32_e32 v56, 28, v58
	v_lshlrev_b64 v[56:57], v56, v[42:43]
	v_lshrrev_b32_e32 v55, 3, v22
	v_sub_u32_e32 v57, 29, v58
	v_and_b32_e32 v56, 7, v56
	v_cmp_gt_u32_e32 vcc, 8, v22
	v_cndmask_b32_e32 v22, v55, v57, vcc
	v_cndmask_b32_e32 v53, v53, v56, vcc
	v_lshlrev_b32_e32 v42, 24, v42
	v_bfrev_b32_e32 v55, 60
	v_lshlrev_b32_e32 v53, 20, v53
	v_and_b32_e32 v42, 0x80000000, v42
	v_lshl_add_u32 v22, v22, 23, v55
	v_or3_b32 v53, v42, v22, v53
.LBB561_323:
	s_or_b64 exec, exec, s[8:9]
.LBB561_324:
	s_or_b64 exec, exec, s[2:3]
.LBB561_325:
	s_or_b64 exec, exec, s[0:1]
	v_cmp_ne_u16_sdwa s[2:3], v23, v45 src0_sel:BYTE_0 src1_sel:DWORD
	s_and_saveexec_b64 s[0:1], s[2:3]
	s_cbranch_execz .LBB561_331
; %bb.326:
	s_movk_i32 s2, 0x80
	v_cmp_ne_u16_sdwa s[8:9], v23, s2 src0_sel:BYTE_0 src1_sel:DWORD
	v_bfrev_b32_e32 v45, 1
	s_and_saveexec_b64 s[2:3], s[8:9]
	s_cbranch_execz .LBB561_330
; %bb.327:
	s_movk_i32 s8, 0x7f
	v_and_b32_e32 v22, 0x7f, v23
	v_cmp_ne_u32_e32 vcc, s8, v22
	v_mov_b32_e32 v45, 0x7f800001
	s_and_saveexec_b64 s[8:9], vcc
	s_cbranch_execz .LBB561_329
; %bb.328:
	v_and_b32_e32 v45, 7, v23
	v_ffbh_u32_e32 v56, v45
	v_min_u32_e32 v58, 32, v56
	v_mov_b32_e32 v42, v23
	v_subrev_u32_e32 v56, 28, v58
	v_lshlrev_b64 v[56:57], v56, v[42:43]
	v_lshrrev_b32_e32 v55, 3, v22
	v_sub_u32_e32 v42, 29, v58
	v_and_b32_e32 v56, 7, v56
	v_cmp_gt_u32_e32 vcc, 8, v22
	v_cndmask_b32_e32 v22, v55, v42, vcc
	v_cndmask_b32_e32 v42, v45, v56, vcc
	v_lshlrev_b32_e32 v45, 24, v23
	v_bfrev_b32_e32 v55, 60
	v_lshlrev_b32_e32 v42, 20, v42
	v_and_b32_e32 v45, 0x80000000, v45
	v_lshl_add_u32 v22, v22, 23, v55
	v_or3_b32 v45, v45, v22, v42
.LBB561_329:
	s_or_b64 exec, exec, s[8:9]
.LBB561_330:
	s_or_b64 exec, exec, s[2:3]
.LBB561_331:
	s_or_b64 exec, exec, s[0:1]
	v_lshrrev_b16_e32 v22, 8, v23
	v_cmp_ne_u16_e32 vcc, 0, v22
	v_mov_b32_e32 v55, 0
	v_mov_b32_e32 v56, 0
	s_and_saveexec_b64 s[0:1], vcc
	s_cbranch_execz .LBB561_337
; %bb.332:
	s_movk_i32 s2, 0x80
	v_cmp_ne_u16_e32 vcc, s2, v22
	v_bfrev_b32_e32 v56, 1
	s_and_saveexec_b64 s[2:3], vcc
	s_cbranch_execz .LBB561_336
; %bb.333:
	s_movk_i32 s8, 0x7f
	v_and_b32_e32 v42, 0x7f, v22
	v_cmp_ne_u32_e32 vcc, s8, v42
	v_mov_b32_e32 v56, 0x7f800001
	s_and_saveexec_b64 s[8:9], vcc
	s_cbranch_execz .LBB561_335
; %bb.334:
	v_and_b32_e32 v58, 7, v22
	v_ffbh_u32_e32 v56, v58
	v_min_u32_e32 v60, 32, v56
	v_subrev_u32_e32 v56, 28, v60
	v_lshlrev_b64 v[56:57], v56, v[22:23]
	v_lshrrev_b32_e32 v59, 3, v42
	v_sub_u32_e32 v22, 29, v60
	v_and_b32_e32 v56, 7, v56
	v_cmp_gt_u32_e32 vcc, 8, v42
	v_cndmask_b32_e32 v22, v59, v22, vcc
	v_cndmask_b32_e32 v42, v58, v56, vcc
	v_lshlrev_b32_e32 v56, 16, v23
	v_bfrev_b32_e32 v57, 60
	v_lshlrev_b32_e32 v42, 20, v42
	v_and_b32_e32 v56, 0x80000000, v56
	v_lshl_add_u32 v22, v22, 23, v57
	v_or3_b32 v56, v56, v22, v42
.LBB561_335:
	s_or_b64 exec, exec, s[8:9]
.LBB561_336:
	s_or_b64 exec, exec, s[2:3]
.LBB561_337:
	s_or_b64 exec, exec, s[0:1]
	s_movk_i32 s0, 0xff
	v_and_b32_sdwa v42, v23, s0 dst_sel:DWORD dst_unused:UNUSED_PAD src0_sel:WORD_1 src1_sel:DWORD
	v_lshrrev_b32_e32 v22, 16, v23
	v_cmp_ne_u16_e32 vcc, 0, v42
	s_and_saveexec_b64 s[0:1], vcc
	s_cbranch_execz .LBB561_343
; %bb.338:
	s_movk_i32 s2, 0x80
	v_cmp_ne_u16_e32 vcc, s2, v42
	v_bfrev_b32_e32 v55, 1
	s_and_saveexec_b64 s[2:3], vcc
	s_cbranch_execz .LBB561_342
; %bb.339:
	v_bfe_u32 v42, v23, 16, 7
	s_movk_i32 s8, 0x7f
	v_cmp_ne_u32_e32 vcc, s8, v42
	v_mov_b32_e32 v55, 0x7f800001
	s_and_saveexec_b64 s[8:9], vcc
	s_cbranch_execz .LBB561_341
; %bb.340:
	v_and_b32_e32 v55, 7, v22
	v_ffbh_u32_e32 v58, v55
	v_min_u32_e32 v60, 32, v58
	v_subrev_u32_e32 v58, 28, v60
	v_lshlrev_b64 v[58:59], v58, v[22:23]
	v_and_b32_e32 v58, 7, v58
	v_cmp_gt_u32_e32 vcc, 8, v42
	v_lshrrev_b32_e32 v57, 3, v42
	v_sub_u32_e32 v22, 29, v60
	v_cndmask_b32_e32 v42, v55, v58, vcc
	v_mov_b32_e32 v55, 24
	v_cndmask_b32_e32 v22, v57, v22, vcc
	v_lshlrev_b32_sdwa v55, v55, v23 dst_sel:DWORD dst_unused:UNUSED_PAD src0_sel:DWORD src1_sel:WORD_1
	v_bfrev_b32_e32 v57, 60
	v_lshlrev_b32_e32 v42, 20, v42
	v_and_b32_e32 v55, 0x80000000, v55
	v_lshl_add_u32 v22, v22, 23, v57
	v_or3_b32 v55, v55, v22, v42
.LBB561_341:
	s_or_b64 exec, exec, s[8:9]
.LBB561_342:
	s_or_b64 exec, exec, s[2:3]
.LBB561_343:
	s_or_b64 exec, exec, s[0:1]
	s_mov_b32 s0, 0xffffff
	v_cmp_lt_u32_e32 vcc, s0, v23
	v_mov_b32_e32 v42, 0
	v_mov_b32_e32 v57, 0
	s_and_saveexec_b64 s[0:1], vcc
	s_cbranch_execz .LBB561_349
; %bb.344:
	v_lshrrev_b32_e32 v22, 24, v23
	s_movk_i32 s2, 0x80
	v_cmp_ne_u32_e32 vcc, s2, v22
	v_bfrev_b32_e32 v57, 1
	s_and_saveexec_b64 s[2:3], vcc
	s_cbranch_execz .LBB561_348
; %bb.345:
	v_bfe_u32 v23, v23, 24, 7
	s_movk_i32 s8, 0x7f
	v_cmp_ne_u32_e32 vcc, s8, v23
	v_mov_b32_e32 v57, 0x7f800001
	s_and_saveexec_b64 s[8:9], vcc
	s_cbranch_execz .LBB561_347
; %bb.346:
	v_and_b32_e32 v57, 7, v22
	v_ffbh_u32_e32 v58, v57
	v_min_u32_e32 v61, 32, v58
	v_subrev_u32_e32 v58, 28, v61
	v_lshlrev_b64 v[58:59], v58, v[22:23]
	v_lshrrev_b32_e32 v60, 3, v23
	v_sub_u32_e32 v59, 29, v61
	v_and_b32_e32 v58, 7, v58
	v_cmp_gt_u32_e32 vcc, 8, v23
	v_cndmask_b32_e32 v23, v60, v59, vcc
	v_cndmask_b32_e32 v57, v57, v58, vcc
	v_lshlrev_b32_e32 v22, 24, v22
	v_bfrev_b32_e32 v58, 60
	v_lshlrev_b32_e32 v57, 20, v57
	v_and_b32_e32 v22, 0x80000000, v22
	v_lshl_add_u32 v23, v23, 23, v58
	v_or3_b32 v57, v22, v23, v57
.LBB561_347:
	s_or_b64 exec, exec, s[8:9]
.LBB561_348:
	s_or_b64 exec, exec, s[2:3]
.LBB561_349:
	s_or_b64 exec, exec, s[0:1]
	v_cvt_pkrtz_f16_f32 v22, v54, v44
	v_cvt_pkrtz_f16_f32 v23, v43, v53
	v_cmp_ne_u16_sdwa s[2:3], v24, v42 src0_sel:BYTE_0 src1_sel:DWORD
	s_nop 0
	v_mfma_f32_16x16x16f16 v[58:61], v[22:23], v[26:27], 0
	v_cvt_pkrtz_f16_f32 v22, v45, v56
	v_cvt_pkrtz_f16_f32 v23, v55, v57
	s_nop 1
	v_mfma_f32_16x16x16f16 v[26:29], v[22:23], v[28:29], v[58:61]
	s_and_saveexec_b64 s[0:1], s[2:3]
	s_cbranch_execz .LBB561_355
; %bb.350:
	s_movk_i32 s2, 0x80
	v_cmp_ne_u16_sdwa s[8:9], v24, s2 src0_sel:BYTE_0 src1_sel:DWORD
	v_bfrev_b32_e32 v42, 1
	s_and_saveexec_b64 s[2:3], s[8:9]
	s_cbranch_execz .LBB561_354
; %bb.351:
	s_movk_i32 s8, 0x7f
	v_and_b32_e32 v22, 0x7f, v24
	v_cmp_ne_u32_e32 vcc, s8, v22
	v_mov_b32_e32 v42, 0x7f800001
	s_and_saveexec_b64 s[8:9], vcc
	s_cbranch_execz .LBB561_353
; %bb.352:
	v_and_b32_e32 v23, 7, v24
	v_ffbh_u32_e32 v42, v23
	v_min_u32_e32 v45, 32, v42
	v_subrev_u32_e32 v42, 28, v45
	v_lshlrev_b64 v[42:43], v42, v[24:25]
	v_lshrrev_b32_e32 v44, 3, v22
	v_sub_u32_e32 v43, 29, v45
	v_and_b32_e32 v42, 7, v42
	v_cmp_gt_u32_e32 vcc, 8, v22
	v_cndmask_b32_e32 v22, v44, v43, vcc
	v_cndmask_b32_e32 v23, v23, v42, vcc
	v_lshlrev_b32_e32 v42, 24, v24
	v_bfrev_b32_e32 v43, 60
	v_lshlrev_b32_e32 v23, 20, v23
	v_and_b32_e32 v42, 0x80000000, v42
	v_lshl_add_u32 v22, v22, 23, v43
	v_or3_b32 v42, v42, v22, v23
.LBB561_353:
	s_or_b64 exec, exec, s[8:9]
.LBB561_354:
	s_or_b64 exec, exec, s[2:3]
.LBB561_355:
	s_or_b64 exec, exec, s[0:1]
	v_lshrrev_b16_e32 v22, 8, v24
	v_cmp_ne_u16_e32 vcc, 0, v22
	v_mov_b32_e32 v23, 0
	v_mov_b32_e32 v43, 0
	s_and_saveexec_b64 s[0:1], vcc
	s_cbranch_execz .LBB561_361
; %bb.356:
	s_movk_i32 s2, 0x80
	v_cmp_ne_u16_e32 vcc, s2, v22
	v_bfrev_b32_e32 v43, 1
	s_and_saveexec_b64 s[2:3], vcc
	s_cbranch_execz .LBB561_360
; %bb.357:
	s_movk_i32 s8, 0x7f
	v_and_b32_e32 v44, 0x7f, v22
	v_cmp_ne_u32_e32 vcc, s8, v44
	v_mov_b32_e32 v43, 0x7f800001
	s_and_saveexec_b64 s[8:9], vcc
	s_cbranch_execz .LBB561_359
; %bb.358:
	v_and_b32_e32 v43, 7, v22
	v_ffbh_u32_e32 v53, v43
	v_min_u32_e32 v53, 32, v53
	v_subrev_u32_e32 v54, 28, v53
	v_lshlrev_b64 v[54:55], v54, v[22:23]
	v_lshrrev_b32_e32 v45, 3, v44
	v_sub_u32_e32 v22, 29, v53
	v_and_b32_e32 v53, 7, v54
	v_cmp_gt_u32_e32 vcc, 8, v44
	v_cndmask_b32_e32 v22, v45, v22, vcc
	v_cndmask_b32_e32 v43, v43, v53, vcc
	v_lshlrev_b32_e32 v44, 16, v24
	v_bfrev_b32_e32 v45, 60
	v_lshlrev_b32_e32 v43, 20, v43
	v_and_b32_e32 v44, 0x80000000, v44
	v_lshl_add_u32 v22, v22, 23, v45
	v_or3_b32 v43, v44, v22, v43
.LBB561_359:
	s_or_b64 exec, exec, s[8:9]
.LBB561_360:
	s_or_b64 exec, exec, s[2:3]
.LBB561_361:
	s_or_b64 exec, exec, s[0:1]
	s_movk_i32 s0, 0xff
	v_and_b32_sdwa v44, v24, s0 dst_sel:DWORD dst_unused:UNUSED_PAD src0_sel:WORD_1 src1_sel:DWORD
	v_lshrrev_b32_e32 v22, 16, v24
	v_cmp_ne_u16_e32 vcc, 0, v44
	s_and_saveexec_b64 s[0:1], vcc
	s_cbranch_execz .LBB561_367
; %bb.362:
	s_movk_i32 s2, 0x80
	v_cmp_ne_u16_e32 vcc, s2, v44
	v_bfrev_b32_e32 v23, 1
	s_and_saveexec_b64 s[2:3], vcc
	s_cbranch_execz .LBB561_366
; %bb.363:
	v_bfe_u32 v44, v24, 16, 7
	s_movk_i32 s8, 0x7f
	v_cmp_ne_u32_e32 vcc, s8, v44
	v_mov_b32_e32 v23, 0x7f800001
	s_and_saveexec_b64 s[8:9], vcc
	s_cbranch_execz .LBB561_365
; %bb.364:
	v_and_b32_e32 v45, 7, v22
	v_ffbh_u32_e32 v23, v45
	v_min_u32_e32 v54, 32, v23
	v_subrev_u32_e32 v23, 28, v54
	v_lshlrev_b64 v[22:23], v23, v[22:23]
	v_lshrrev_b32_e32 v53, 3, v44
	v_sub_u32_e32 v23, 29, v54
	v_and_b32_e32 v22, 7, v22
	v_cmp_gt_u32_e32 vcc, 8, v44
	v_mov_b32_e32 v44, 24
	v_cndmask_b32_e32 v23, v53, v23, vcc
	v_cndmask_b32_e32 v22, v45, v22, vcc
	v_lshlrev_b32_sdwa v44, v44, v24 dst_sel:DWORD dst_unused:UNUSED_PAD src0_sel:DWORD src1_sel:WORD_1
	v_bfrev_b32_e32 v45, 60
	v_lshlrev_b32_e32 v22, 20, v22
	v_and_b32_e32 v44, 0x80000000, v44
	v_lshl_add_u32 v23, v23, 23, v45
	v_or3_b32 v23, v44, v23, v22
.LBB561_365:
	s_or_b64 exec, exec, s[8:9]
.LBB561_366:
	s_or_b64 exec, exec, s[2:3]
.LBB561_367:
	s_or_b64 exec, exec, s[0:1]
	s_mov_b32 s0, 0xffffff
	v_cmp_lt_u32_e32 vcc, s0, v24
	v_mov_b32_e32 v45, 0
	v_mov_b32_e32 v53, 0
	s_and_saveexec_b64 s[0:1], vcc
	s_cbranch_execz .LBB561_373
; %bb.368:
	v_lshrrev_b32_e32 v22, 24, v24
	s_movk_i32 s2, 0x80
	v_cmp_ne_u32_e32 vcc, s2, v22
	v_bfrev_b32_e32 v53, 1
	s_and_saveexec_b64 s[2:3], vcc
	s_cbranch_execz .LBB561_372
; %bb.369:
	v_bfe_u32 v24, v24, 24, 7
	s_movk_i32 s8, 0x7f
	v_cmp_ne_u32_e32 vcc, s8, v24
	v_mov_b32_e32 v53, 0x7f800001
	s_and_saveexec_b64 s[8:9], vcc
	s_cbranch_execz .LBB561_371
; %bb.370:
	v_and_b32_e32 v44, 7, v22
	v_ffbh_u32_e32 v54, v44
	v_min_u32_e32 v56, 32, v54
	v_subrev_u32_e32 v54, 28, v56
	v_lshlrev_b64 v[54:55], v54, v[22:23]
	v_lshrrev_b32_e32 v53, 3, v24
	v_sub_u32_e32 v55, 29, v56
	v_and_b32_e32 v54, 7, v54
	v_cmp_gt_u32_e32 vcc, 8, v24
	v_cndmask_b32_e32 v24, v53, v55, vcc
	v_cndmask_b32_e32 v44, v44, v54, vcc
	v_lshlrev_b32_e32 v22, 24, v22
	v_bfrev_b32_e32 v53, 60
	v_lshlrev_b32_e32 v44, 20, v44
	v_and_b32_e32 v22, 0x80000000, v22
	v_lshl_add_u32 v24, v24, 23, v53
	v_or3_b32 v53, v22, v24, v44
.LBB561_371:
	s_or_b64 exec, exec, s[8:9]
.LBB561_372:
	s_or_b64 exec, exec, s[2:3]
.LBB561_373:
	s_or_b64 exec, exec, s[0:1]
	v_cmp_ne_u16_sdwa s[2:3], v25, v45 src0_sel:BYTE_0 src1_sel:DWORD
	s_and_saveexec_b64 s[0:1], s[2:3]
	s_cbranch_execz .LBB561_379
; %bb.374:
	s_movk_i32 s2, 0x80
	v_cmp_ne_u16_sdwa s[8:9], v25, s2 src0_sel:BYTE_0 src1_sel:DWORD
	v_bfrev_b32_e32 v45, 1
	s_and_saveexec_b64 s[2:3], s[8:9]
	s_cbranch_execz .LBB561_378
; %bb.375:
	s_movk_i32 s8, 0x7f
	v_and_b32_e32 v22, 0x7f, v25
	v_cmp_ne_u32_e32 vcc, s8, v22
	v_mov_b32_e32 v45, 0x7f800001
	s_and_saveexec_b64 s[8:9], vcc
	s_cbranch_execz .LBB561_377
; %bb.376:
	v_and_b32_e32 v54, 7, v25
	v_ffbh_u32_e32 v44, v54
	v_min_u32_e32 v56, 32, v44
	v_mov_b32_e32 v24, v25
	v_subrev_u32_e32 v44, 28, v56
	v_lshlrev_b64 v[44:45], v44, v[24:25]
	v_lshrrev_b32_e32 v55, 3, v22
	v_sub_u32_e32 v24, 29, v56
	v_and_b32_e32 v44, 7, v44
	v_cmp_gt_u32_e32 vcc, 8, v22
	v_cndmask_b32_e32 v22, v55, v24, vcc
	v_cndmask_b32_e32 v24, v54, v44, vcc
	v_lshlrev_b32_e32 v44, 24, v25
	v_bfrev_b32_e32 v45, 60
	v_lshlrev_b32_e32 v24, 20, v24
	v_and_b32_e32 v44, 0x80000000, v44
	v_lshl_add_u32 v22, v22, 23, v45
	v_or3_b32 v45, v44, v22, v24
.LBB561_377:
	s_or_b64 exec, exec, s[8:9]
.LBB561_378:
	s_or_b64 exec, exec, s[2:3]
.LBB561_379:
	s_or_b64 exec, exec, s[0:1]
	v_lshrrev_b16_e32 v22, 8, v25
	v_cmp_ne_u16_e32 vcc, 0, v22
	v_mov_b32_e32 v54, 0
	v_mov_b32_e32 v55, 0
	s_and_saveexec_b64 s[0:1], vcc
	s_cbranch_execz .LBB561_385
; %bb.380:
	s_movk_i32 s2, 0x80
	v_cmp_ne_u16_e32 vcc, s2, v22
	v_bfrev_b32_e32 v55, 1
	s_and_saveexec_b64 s[2:3], vcc
	s_cbranch_execz .LBB561_384
; %bb.381:
	s_movk_i32 s8, 0x7f
	v_and_b32_e32 v24, 0x7f, v22
	v_cmp_ne_u32_e32 vcc, s8, v24
	v_mov_b32_e32 v55, 0x7f800001
	s_and_saveexec_b64 s[8:9], vcc
	s_cbranch_execz .LBB561_383
; %bb.382:
	v_and_b32_e32 v44, 7, v22
	v_ffbh_u32_e32 v56, v44
	v_min_u32_e32 v58, 32, v56
	v_subrev_u32_e32 v56, 28, v58
	v_lshlrev_b64 v[56:57], v56, v[22:23]
	v_lshrrev_b32_e32 v55, 3, v24
	v_sub_u32_e32 v22, 29, v58
	v_and_b32_e32 v56, 7, v56
	v_cmp_gt_u32_e32 vcc, 8, v24
	v_cndmask_b32_e32 v22, v55, v22, vcc
	v_cndmask_b32_e32 v24, v44, v56, vcc
	v_lshlrev_b32_e32 v44, 16, v25
	v_bfrev_b32_e32 v55, 60
	v_lshlrev_b32_e32 v24, 20, v24
	v_and_b32_e32 v44, 0x80000000, v44
	v_lshl_add_u32 v22, v22, 23, v55
	v_or3_b32 v55, v44, v22, v24
.LBB561_383:
	s_or_b64 exec, exec, s[8:9]
.LBB561_384:
	s_or_b64 exec, exec, s[2:3]
.LBB561_385:
	s_or_b64 exec, exec, s[0:1]
	s_movk_i32 s0, 0xff
	v_and_b32_sdwa v24, v25, s0 dst_sel:DWORD dst_unused:UNUSED_PAD src0_sel:WORD_1 src1_sel:DWORD
	v_lshrrev_b32_e32 v22, 16, v25
	v_cmp_ne_u16_e32 vcc, 0, v24
	s_and_saveexec_b64 s[0:1], vcc
	s_cbranch_execz .LBB561_391
; %bb.386:
	s_movk_i32 s2, 0x80
	v_cmp_ne_u16_e32 vcc, s2, v24
	v_bfrev_b32_e32 v54, 1
	s_and_saveexec_b64 s[2:3], vcc
	s_cbranch_execz .LBB561_390
; %bb.387:
	v_bfe_u32 v24, v25, 16, 7
	s_movk_i32 s8, 0x7f
	v_cmp_ne_u32_e32 vcc, s8, v24
	v_mov_b32_e32 v54, 0x7f800001
	s_and_saveexec_b64 s[8:9], vcc
	s_cbranch_execz .LBB561_389
; %bb.388:
	v_and_b32_e32 v44, 7, v22
	v_ffbh_u32_e32 v56, v44
	v_min_u32_e32 v58, 32, v56
	v_subrev_u32_e32 v56, 28, v58
	v_lshlrev_b64 v[56:57], v56, v[22:23]
	v_and_b32_e32 v56, 7, v56
	v_cmp_gt_u32_e32 vcc, 8, v24
	v_lshrrev_b32_e32 v54, 3, v24
	v_sub_u32_e32 v22, 29, v58
	v_cndmask_b32_e32 v24, v44, v56, vcc
	v_mov_b32_e32 v44, 24
	v_cndmask_b32_e32 v22, v54, v22, vcc
	v_lshlrev_b32_sdwa v44, v44, v25 dst_sel:DWORD dst_unused:UNUSED_PAD src0_sel:DWORD src1_sel:WORD_1
	v_bfrev_b32_e32 v54, 60
	v_lshlrev_b32_e32 v24, 20, v24
	v_and_b32_e32 v44, 0x80000000, v44
	v_lshl_add_u32 v22, v22, 23, v54
	v_or3_b32 v54, v44, v22, v24
.LBB561_389:
	s_or_b64 exec, exec, s[8:9]
.LBB561_390:
	s_or_b64 exec, exec, s[2:3]
.LBB561_391:
	s_or_b64 exec, exec, s[0:1]
	s_mov_b32 s0, 0xffffff
	v_and_b32_e32 v44, 63, v0
	v_cmp_lt_u32_e32 vcc, s0, v25
	v_mov_b32_e32 v56, 0
	s_and_saveexec_b64 s[0:1], vcc
	s_cbranch_execz .LBB561_397
; %bb.392:
	v_lshrrev_b32_e32 v22, 24, v25
	s_movk_i32 s2, 0x80
	v_cmp_ne_u32_e32 vcc, s2, v22
	v_bfrev_b32_e32 v56, 1
	s_and_saveexec_b64 s[2:3], vcc
	s_cbranch_execz .LBB561_396
; %bb.393:
	v_bfe_u32 v24, v25, 24, 7
	s_movk_i32 s8, 0x7f
	v_cmp_ne_u32_e32 vcc, s8, v24
	v_mov_b32_e32 v56, 0x7f800001
	s_and_saveexec_b64 s[8:9], vcc
	s_cbranch_execz .LBB561_395
; %bb.394:
	v_and_b32_e32 v25, 7, v22
	v_ffbh_u32_e32 v56, v25
	v_min_u32_e32 v59, 32, v56
	v_subrev_u32_e32 v56, 28, v59
	v_lshlrev_b64 v[56:57], v56, v[22:23]
	v_lshrrev_b32_e32 v58, 3, v24
	v_sub_u32_e32 v57, 29, v59
	v_and_b32_e32 v56, 7, v56
	v_cmp_gt_u32_e32 vcc, 8, v24
	v_cndmask_b32_e32 v24, v58, v57, vcc
	v_cndmask_b32_e32 v25, v25, v56, vcc
	v_lshlrev_b32_e32 v22, 24, v22
	v_bfrev_b32_e32 v56, 60
	v_lshlrev_b32_e32 v25, 20, v25
	v_and_b32_e32 v22, 0x80000000, v22
	v_lshl_add_u32 v24, v24, 23, v56
	v_or3_b32 v56, v22, v24, v25
.LBB561_395:
	s_or_b64 exec, exec, s[8:9]
.LBB561_396:
	s_or_b64 exec, exec, s[2:3]
.LBB561_397:
	s_or_b64 exec, exec, s[0:1]
	v_cvt_pkrtz_f16_f32 v42, v42, v43
	v_cvt_pkrtz_f16_f32 v43, v23, v53
	s_load_dword s0, s[4:5], 0x1c
	s_mov_b32 s40, 0xff7fffff
	s_waitcnt lgkmcnt(0)
	v_mfma_f32_16x16x16f16 v[26:29], v[42:43], v[18:19], v[26:29]
	v_cvt_pkrtz_f16_f32 v18, v45, v55
	v_cvt_pkrtz_f16_f32 v19, v54, v56
	v_mov_b32_e32 v22, s0
	v_mul_f32_e32 v58, s10, v22
	v_pk_mul_f32 v[22:23], v[58:59], v[32:33] op_sel_hi:[0,1]
	v_pk_mul_f32 v[32:33], v[58:59], v[38:39] op_sel_hi:[0,1]
	v_and_b32_e32 v38, 0xc0, v0
	v_mfma_f32_16x16x16f16 v[26:29], v[18:19], v[20:21], v[26:29]
	v_add_u32_e32 v38, s18, v38
	v_lshl_or_b32 v38, v49, 2, v38
	v_or_b32_e32 v39, 1, v38
	v_pk_mul_f32 v[24:25], v[58:59], v[30:31] op_sel_hi:[0,1]
	v_pk_mul_f32 v[30:31], v[58:59], v[40:41] op_sel_hi:[0,1]
	v_subrev_u32_e32 v40, s33, v39
	v_pk_mul_f32 v[34:35], v[58:59], v[34:35] op_sel_hi:[0,1]
	s_nop 3
	v_pk_mul_f32 v[20:21], v[58:59], v[26:27] op_sel_hi:[0,1]
	v_add_u32_e32 v27, 1, v40
	v_pk_mul_f32 v[18:19], v[58:59], v[28:29] op_sel_hi:[0,1]
	v_cvt_f32_i32_e32 v27, v27
	v_add_u32_e32 v29, 3, v40
	v_cvt_f32_i32_e32 v29, v29
	v_cvt_f32_i32_e32 v26, v40
	v_pk_mul_f32 v[36:37], v[58:59], v[36:37] op_sel_hi:[0,1]
	v_fmac_f32_e32 v35, v52, v27
	v_add_u32_e32 v27, 16, v40
	v_fmac_f32_e32 v37, v52, v29
	v_cvt_f32_i32_e32 v27, v27
	v_add_u32_e32 v29, 17, v40
	v_fma_f32 v26, v52, v26, v34
	v_cvt_f32_i32_e32 v29, v29
	v_add_u32_e32 v34, 18, v40
	v_cvt_f32_i32_e32 v34, v34
	v_fma_f32 v41, v52, v27, v32
	v_add_u32_e32 v27, 32, v40
	v_fmac_f32_e32 v33, v52, v29
	v_cvt_f32_i32_e32 v27, v27
	v_add_u32_e32 v29, 33, v40
	v_add_u32_e32 v32, 34, v40
	v_fma_f32 v30, v52, v34, v30
	v_cvt_f32_i32_e32 v29, v29
	v_cvt_f32_i32_e32 v32, v32
	v_add_u32_e32 v34, 35, v40
	v_cvt_f32_i32_e32 v34, v34
	v_fma_f32 v24, v52, v27, v24
	v_add_u32_e32 v27, 48, v40
	v_fmac_f32_e32 v25, v52, v29
	v_fma_f32 v22, v52, v32, v22
	v_cvt_f32_i32_e32 v27, v27
	v_add_u32_e32 v29, 49, v40
	v_add_u32_e32 v32, 50, v40
	v_fmac_f32_e32 v23, v52, v34
	v_cvt_f32_i32_e32 v29, v29
	v_cvt_f32_i32_e32 v32, v32
	v_add_u32_e32 v34, 51, v40
	v_add_u32_e32 v28, 2, v40
	v_cvt_f32_i32_e32 v34, v34
	v_cvt_f32_i32_e32 v28, v28
	v_fma_f32 v20, v52, v27, v20
	v_mov_b32_e32 v27, 0xff7fffff
	v_cmp_gt_i32_e64 s[24:25], s33, v38
	v_cmp_gt_i32_e64 s[26:27], s33, v39
	v_fmac_f32_e32 v21, v52, v29
	v_fma_f32 v18, v52, v32, v18
	v_cndmask_b32_e64 v29, v27, v26, s[24:25]
	v_cndmask_b32_e64 v32, v27, v35, s[26:27]
	v_fmac_f32_e32 v19, v52, v34
	v_max3_f32 v29, v29, s40, v32
	v_or_b32_e32 v32, 2, v38
	v_or_b32_e32 v34, 3, v38
	v_fma_f32 v28, v52, v28, v36
	v_cmp_gt_i32_e64 s[28:29], s33, v32
	v_cmp_gt_i32_e64 s[30:31], s33, v34
	v_add_u32_e32 v36, 19, v40
	v_cndmask_b32_e64 v32, v27, v28, s[28:29]
	v_cndmask_b32_e64 v34, v27, v37, s[30:31]
	v_cvt_f32_i32_e32 v36, v36
	v_max3_f32 v29, v29, v32, v34
	v_or_b32_e32 v32, 16, v38
	v_or_b32_e32 v34, 17, v38
	v_cmp_gt_i32_e64 s[34:35], s33, v32
	v_cmp_gt_i32_e64 s[36:37], s33, v34
	v_cndmask_b32_e64 v32, v27, v41, s[34:35]
	v_cndmask_b32_e64 v34, v27, v33, s[36:37]
	v_max3_f32 v29, v29, v32, v34
	v_or_b32_e32 v32, 18, v38
	v_or_b32_e32 v34, 19, v38
	v_fmac_f32_e32 v31, v52, v36
	v_cmp_gt_i32_e64 s[18:19], s33, v32
	v_cmp_gt_i32_e64 s[20:21], s33, v34
	v_cndmask_b32_e64 v32, v27, v30, s[18:19]
	v_cndmask_b32_e64 v34, v27, v31, s[20:21]
	v_max3_f32 v29, v29, v32, v34
	v_or_b32_e32 v32, 32, v38
	v_or_b32_e32 v34, 33, v38
	v_cmp_gt_i32_e64 s[14:15], s33, v32
	v_cmp_gt_i32_e64 s[16:17], s33, v34
	v_cndmask_b32_e64 v32, v27, v24, s[14:15]
	v_cndmask_b32_e64 v34, v27, v25, s[16:17]
	v_max3_f32 v29, v29, v32, v34
	v_or_b32_e32 v32, 34, v38
	v_or_b32_e32 v34, 35, v38
	;; [unrolled: 7-line block ×4, first 2 shown]
	v_cmp_gt_i32_e32 vcc, s33, v32
	v_cmp_gt_i32_e64 s[0:1], s33, v34
	v_cndmask_b32_e32 v32, v27, v18, vcc
	v_cndmask_b32_e64 v27, v27, v19, s[0:1]
	v_max3_f32 v27, v29, v32, v27
	v_mbcnt_lo_u32_b32 v29, -1, 0
	v_mbcnt_hi_u32_b32 v29, -1, v29
	v_and_b32_e32 v32, 64, v29
	v_add_u32_e32 v32, 64, v32
	v_xor_b32_e32 v34, 32, v29
	v_cmp_lt_i32_e64 s[38:39], v34, v32
	v_cndmask_b32_e64 v34, v29, v34, s[38:39]
	v_lshlrev_b32_e32 v36, 2, v34
	ds_bpermute_b32 v34, v36, v27
	s_barrier
	s_waitcnt lgkmcnt(0)
	v_max_f32_e32 v34, v34, v34
	v_max_f32_e32 v27, v27, v34
	v_xor_b32_e32 v34, 16, v29
	v_cmp_lt_i32_e64 s[38:39], v34, v32
	v_cndmask_b32_e64 v29, v29, v34, s[38:39]
	v_lshlrev_b32_e32 v38, 2, v29
	ds_bpermute_b32 v29, v38, v27
	s_waitcnt lgkmcnt(0)
	v_max_f32_e32 v29, v29, v29
	v_max_f32_e32 v32, v27, v29
	v_sub_f32_e32 v26, v26, v32
	v_mul_f32_e32 v26, 0x3fb8aa3b, v26
	v_sub_f32_e32 v27, v35, v32
	v_exp_f32_e32 v26, v26
	v_mul_f32_e32 v27, 0x3fb8aa3b, v27
	v_sub_f32_e32 v28, v28, v32
	v_exp_f32_e32 v27, v27
	v_mul_f32_e32 v28, 0x3fb8aa3b, v28
	v_exp_f32_e32 v28, v28
	v_cndmask_b32_e64 v26, 0, v26, s[24:25]
	v_sub_f32_e32 v34, v37, v32
	v_add_f32_e32 v29, 0, v26
	v_cndmask_b32_e64 v27, 0, v27, s[26:27]
	v_mul_f32_e32 v34, 0x3fb8aa3b, v34
	v_exp_f32_e32 v35, v34
	v_add_f32_e32 v29, v29, v27
	v_cndmask_b32_e64 v34, 0, v28, s[28:29]
	v_add_f32_e32 v28, v29, v34
	v_sub_f32_e32 v29, v41, v32
	v_mul_f32_e32 v29, 0x3fb8aa3b, v29
	v_sub_f32_e32 v33, v33, v32
	v_exp_f32_e32 v29, v29
	v_mul_f32_e32 v33, 0x3fb8aa3b, v33
	v_sub_f32_e32 v30, v30, v32
	v_exp_f32_e32 v33, v33
	;; [unrolled: 3-line block ×3, first 2 shown]
	v_mul_f32_e32 v31, 0x3fb8aa3b, v31
	v_sub_f32_e32 v24, v24, v32
	v_cndmask_b32_e64 v35, 0, v35, s[30:31]
	v_exp_f32_e32 v31, v31
	v_mul_f32_e32 v24, 0x3fb8aa3b, v24
	v_sub_f32_e32 v25, v25, v32
	v_add_f32_e32 v37, v28, v35
	v_cndmask_b32_e64 v28, 0, v29, s[34:35]
	v_exp_f32_e32 v24, v24
	v_mul_f32_e32 v25, 0x3fb8aa3b, v25
	v_sub_f32_e32 v22, v22, v32
	v_add_f32_e32 v37, v37, v28
	;; [unrolled: 5-line block ×7, first 2 shown]
	v_cndmask_b32_e64 v22, 0, v22, s[10:11]
	v_exp_f32_e32 v18, v18
	v_mul_f32_e32 v19, 0x3fb8aa3b, v19
	v_add_f32_e32 v33, v33, v22
	v_cndmask_b32_e64 v23, 0, v23, s[12:13]
	v_exp_f32_e32 v19, v19
	v_add_f32_e32 v33, v33, v23
	v_cndmask_b32_e64 v20, 0, v20, s[2:3]
	v_add_f32_e32 v33, v33, v20
	v_cndmask_b32_e64 v21, 0, v21, s[8:9]
	v_add_f32_e32 v33, v33, v21
	v_cndmask_b32_e32 v18, 0, v18, vcc
	v_add_f32_e32 v33, v33, v18
	v_cndmask_b32_e64 v19, 0, v19, s[0:1]
	v_add_f32_e32 v33, v33, v19
	ds_bpermute_b32 v36, v36, v33
	v_cmp_gt_u32_e32 vcc, 16, v44
	s_waitcnt lgkmcnt(0)
	v_add_f32_e32 v33, v33, v36
	ds_bpermute_b32 v37, v38, v33
	v_lshlrev_b32_e32 v36, 2, v51
	s_and_saveexec_b64 s[0:1], vcc
	s_cbranch_execz .LBB561_399
; %bb.398:
	s_waitcnt lgkmcnt(0)
	v_add_f32_e32 v33, v33, v37
	v_lshl_or_b32 v37, v50, 6, v36
	ds_write2st64_b32 v37, v32, v33 offset1:1
.LBB561_399:
	s_or_b64 exec, exec, s[0:1]
	s_waitcnt lgkmcnt(0)
	s_barrier
	ds_read2_b32 v[38:39], v36 offset1:16
	ds_read2_b32 v[40:41], v36 offset0:32 offset1:48
	ds_read2_b32 v[42:43], v36 offset0:64 offset1:80
	s_lshl_b32 s10, s47, 2
	s_waitcnt lgkmcnt(2)
	v_max3_f32 v32, v38, s40, v39
	s_waitcnt lgkmcnt(1)
	v_max3_f32 v33, v32, v40, v41
	v_sub_f32_e32 v32, v38, v33
	v_mul_f32_e32 v32, 0x3fb8aa3b, v32
	v_exp_f32_e32 v37, v32
	v_sub_f32_e32 v32, v39, v33
	v_mul_f32_e32 v32, 0x3fb8aa3b, v32
	v_exp_f32_e32 v44, v32
	;; [unrolled: 3-line block ×3, first 2 shown]
	ds_read2_b32 v[38:39], v36 offset0:96 offset1:112
	v_sub_f32_e32 v32, v41, v33
	v_mul_f32_e32 v32, 0x3fb8aa3b, v32
	v_exp_f32_e32 v41, v32
	s_waitcnt lgkmcnt(1)
	v_fma_f32 v36, v37, v42, 0
	v_fmac_f32_e32 v36, v44, v43
	s_waitcnt lgkmcnt(0)
	v_fmac_f32_e32 v36, v40, v38
	v_fmac_f32_e32 v36, v41, v39
	v_add_f32_e32 v38, 0x358637bd, v36
	v_div_scale_f32 v39, s[0:1], v38, v38, 1.0
	v_rcp_f32_e32 v42, v39
	s_barrier
	v_fma_f32 v43, -v39, v42, 1.0
	v_fmac_f32_e32 v42, v43, v42
	v_div_scale_f32 v43, vcc, 1.0, v38, 1.0
	v_mul_f32_e32 v45, v43, v42
	v_fma_f32 v52, -v39, v45, v43
	v_fmac_f32_e32 v45, v52, v42
	v_fma_f32 v39, -v39, v45, v43
	v_div_fmas_f32 v39, v39, v42, v45
	v_cmp_eq_u32_e32 vcc, 1, v50
	v_cndmask_b32_e32 v37, v37, v44, vcc
	v_cmp_eq_u32_e32 vcc, 2, v50
	v_cndmask_b32_e32 v37, v37, v40, vcc
	v_cmp_eq_u32_e32 vcc, 3, v50
	v_div_fixup_f32 v38, v39, v38, 1.0
	v_cndmask_b32_e32 v37, v37, v41, vcc
	v_mul_f32_e32 v38, v37, v38
	v_pk_mul_f32 v[34:35], v[38:39], v[34:35] op_sel_hi:[0,1]
	v_pk_mul_f32 v[26:27], v[38:39], v[26:27] op_sel_hi:[0,1]
	v_cvt_f16_f32_e32 v26, v26
	v_cvt_f16_f32_e32 v27, v27
	;; [unrolled: 1-line block ×4, first 2 shown]
	v_pk_mul_f32 v[30:31], v[38:39], v[30:31] op_sel_hi:[0,1]
	v_pk_mul_f32 v[28:29], v[38:39], v[28:29] op_sel_hi:[0,1]
	v_cvt_f16_f32_e32 v28, v28
	v_cvt_f16_f32_e32 v29, v29
	;; [unrolled: 1-line block ×4, first 2 shown]
	v_pack_b32_f16 v34, v26, v27
	v_pack_b32_f16 v35, v37, v35
	v_lshlrev_b32_e32 v26, 3, v49
	v_lshlrev_b32_e32 v27, 5, v51
	;; [unrolled: 1-line block ×3, first 2 shown]
	v_or3_b32 v26, v37, v27, v26
	v_pack_b32_f16 v28, v28, v29
	v_pack_b32_f16 v29, v30, v31
	v_pk_mul_f32 v[22:23], v[38:39], v[22:23] op_sel_hi:[0,1]
	v_pk_mul_f32 v[24:25], v[38:39], v[24:25] op_sel_hi:[0,1]
	;; [unrolled: 1-line block ×4, first 2 shown]
	ds_write2st64_b64 v26, v[34:35], v[28:29] offset1:1
	v_cvt_f16_f32_e32 v24, v24
	v_cvt_f16_f32_e32 v25, v25
	v_cvt_f16_f32_e32 v22, v22
	v_cvt_f16_f32_e32 v23, v23
	v_cvt_f16_f32_e32 v20, v20
	v_cvt_f16_f32_e32 v21, v21
	v_cvt_f16_f32_e32 v28, v18
	v_cvt_f16_f32_e32 v29, v19
	v_mov_b32_e32 v32, 0
	v_pack_b32_f16 v18, v24, v25
	v_pack_b32_f16 v19, v22, v23
	v_pack_b32_f16 v20, v20, v21
	v_pack_b32_f16 v21, v28, v29
	v_cmp_gt_u32_e32 vcc, 4, v0
	ds_write2st64_b64 v26, v[18:19], v[20:21] offset0:2 offset1:3
	s_and_saveexec_b64 s[0:1], vcc
	s_cbranch_execz .LBB561_401
; %bb.400:
	v_or_b32_e32 v18, s23, v0
	v_mov_b32_e32 v19, 0
	v_mov_b32_e32 v20, s10
	v_mad_u64_u32 v[20:21], s[2:3], s6, v20, v[18:19]
	v_mov_b32_e32 v18, s22
	s_load_dwordx4 s[12:15], s[4:5], 0x58
	s_mul_i32 s7, s7, s10
	v_mad_u64_u32 v[18:19], s[2:3], v20, s46, v[18:19]
	v_add_u32_e32 v21, s7, v21
	v_mov_b32_e32 v20, v19
	v_mad_u64_u32 v[20:21], s[2:3], v21, s46, v[20:21]
	v_mov_b32_e32 v19, v20
	v_lshlrev_b64 v[18:19], 2, v[18:19]
	s_waitcnt lgkmcnt(0)
	v_mov_b32_e32 v21, s15
	v_add_co_u32_e32 v20, vcc, s14, v18
	v_addc_co_u32_e32 v21, vcc, v21, v19, vcc
	global_store_dword v[20:21], v33, off
	v_mov_b32_e32 v20, s13
	v_add_co_u32_e32 v18, vcc, s12, v18
	v_addc_co_u32_e32 v19, vcc, v20, v19, vcc
	global_store_dword v[18:19], v36, off
.LBB561_401:
	s_or_b64 exec, exec, s[0:1]
	v_mov_b32_e32 v19, 0
	s_waitcnt vmcnt(3)
	v_cmp_ne_u16_sdwa s[2:3], v14, v19 src0_sel:BYTE_0 src1_sel:DWORD
	s_waitcnt lgkmcnt(0)
	s_barrier
	s_and_saveexec_b64 s[0:1], s[2:3]
	s_cbranch_execz .LBB561_407
; %bb.402:
	s_movk_i32 s2, 0x80
	v_cmp_ne_u16_sdwa s[8:9], v14, s2 src0_sel:BYTE_0 src1_sel:DWORD
	v_bfrev_b32_e32 v32, 1
	s_and_saveexec_b64 s[2:3], s[8:9]
	s_cbranch_execz .LBB561_406
; %bb.403:
	s_movk_i32 s7, 0x7f
	v_and_b32_e32 v18, 0x7f, v14
	v_cmp_ne_u32_e32 vcc, s7, v18
	v_mov_b32_e32 v32, 0x7f800001
	s_and_saveexec_b64 s[8:9], vcc
	s_cbranch_execz .LBB561_405
; %bb.404:
	v_and_b32_e32 v22, 7, v14
	v_ffbh_u32_e32 v20, v22
	v_min_u32_e32 v24, 32, v20
	v_subrev_u32_e32 v20, 28, v24
	v_lshlrev_b64 v[20:21], v20, v[14:15]
	v_lshrrev_b32_e32 v23, 3, v18
	v_sub_u32_e32 v21, 29, v24
	v_and_b32_e32 v20, 7, v20
	v_cmp_gt_u32_e32 vcc, 8, v18
	v_cndmask_b32_e32 v18, v23, v21, vcc
	v_cndmask_b32_e32 v20, v22, v20, vcc
	v_lshlrev_b32_e32 v21, 24, v14
	v_bfrev_b32_e32 v22, 60
	v_lshlrev_b32_e32 v20, 20, v20
	v_and_b32_e32 v21, 0x80000000, v21
	v_lshl_add_u32 v18, v18, 23, v22
	v_or3_b32 v32, v21, v18, v20
.LBB561_405:
	s_or_b64 exec, exec, s[8:9]
.LBB561_406:
	s_or_b64 exec, exec, s[2:3]
.LBB561_407:
	s_or_b64 exec, exec, s[0:1]
	v_lshrrev_b16_e32 v18, 8, v14
	v_cmp_ne_u16_e32 vcc, 0, v18
	v_mov_b32_e32 v20, 0
	s_and_saveexec_b64 s[0:1], vcc
	s_cbranch_execz .LBB561_413
; %bb.408:
	s_movk_i32 s2, 0x80
	v_cmp_ne_u16_e32 vcc, s2, v18
	v_bfrev_b32_e32 v20, 1
	s_and_saveexec_b64 s[2:3], vcc
	s_cbranch_execz .LBB561_412
; %bb.409:
	s_movk_i32 s7, 0x7f
	v_and_b32_e32 v21, 0x7f, v18
	v_cmp_ne_u32_e32 vcc, s7, v21
	v_mov_b32_e32 v20, 0x7f800001
	s_and_saveexec_b64 s[8:9], vcc
	s_cbranch_execz .LBB561_411
; %bb.410:
	v_and_b32_e32 v20, 7, v18
	v_ffbh_u32_e32 v22, v20
	v_min_u32_e32 v25, 32, v22
	v_subrev_u32_e32 v22, 28, v25
	v_lshlrev_b64 v[22:23], v22, v[18:19]
	v_lshrrev_b32_e32 v24, 3, v21
	v_sub_u32_e32 v18, 29, v25
	v_and_b32_e32 v22, 7, v22
	v_cmp_gt_u32_e32 vcc, 8, v21
	v_cndmask_b32_e32 v18, v24, v18, vcc
	v_cndmask_b32_e32 v20, v20, v22, vcc
	v_lshlrev_b32_e32 v21, 16, v14
	v_bfrev_b32_e32 v22, 60
	v_lshlrev_b32_e32 v20, 20, v20
	v_and_b32_e32 v21, 0x80000000, v21
	v_lshl_add_u32 v18, v18, 23, v22
	v_or3_b32 v20, v21, v18, v20
.LBB561_411:
	s_or_b64 exec, exec, s[8:9]
.LBB561_412:
	s_or_b64 exec, exec, s[2:3]
.LBB561_413:
	s_or_b64 exec, exec, s[0:1]
	s_movk_i32 s0, 0xff
	v_and_b32_sdwa v21, v14, s0 dst_sel:DWORD dst_unused:UNUSED_PAD src0_sel:WORD_1 src1_sel:DWORD
	v_lshrrev_b32_e32 v18, 16, v14
	v_cmp_ne_u16_e32 vcc, 0, v21
	s_and_saveexec_b64 s[0:1], vcc
	s_cbranch_execz .LBB561_419
; %bb.414:
	s_movk_i32 s2, 0x80
	v_cmp_ne_u16_e32 vcc, s2, v21
	v_bfrev_b32_e32 v19, 1
	s_and_saveexec_b64 s[2:3], vcc
	s_cbranch_execz .LBB561_418
; %bb.415:
	v_bfe_u32 v21, v14, 16, 7
	s_movk_i32 s7, 0x7f
	v_cmp_ne_u32_e32 vcc, s7, v21
	v_mov_b32_e32 v19, 0x7f800001
	s_and_saveexec_b64 s[8:9], vcc
	s_cbranch_execz .LBB561_417
; %bb.416:
	v_and_b32_e32 v22, 7, v18
	v_ffbh_u32_e32 v19, v22
	v_min_u32_e32 v24, 32, v19
	v_subrev_u32_e32 v19, 28, v24
	v_lshlrev_b64 v[18:19], v19, v[18:19]
	v_lshrrev_b32_e32 v23, 3, v21
	v_sub_u32_e32 v19, 29, v24
	v_and_b32_e32 v18, 7, v18
	v_cmp_gt_u32_e32 vcc, 8, v21
	v_mov_b32_e32 v21, 24
	v_cndmask_b32_e32 v19, v23, v19, vcc
	v_cndmask_b32_e32 v18, v22, v18, vcc
	v_lshlrev_b32_sdwa v21, v21, v14 dst_sel:DWORD dst_unused:UNUSED_PAD src0_sel:DWORD src1_sel:WORD_1
	v_bfrev_b32_e32 v22, 60
	v_lshlrev_b32_e32 v18, 20, v18
	v_and_b32_e32 v21, 0x80000000, v21
	v_lshl_add_u32 v19, v19, 23, v22
	v_or3_b32 v19, v21, v19, v18
.LBB561_417:
	s_or_b64 exec, exec, s[8:9]
.LBB561_418:
	s_or_b64 exec, exec, s[2:3]
.LBB561_419:
	s_or_b64 exec, exec, s[0:1]
	s_mov_b32 s0, 0xffffff
	v_cmp_lt_u32_e32 vcc, s0, v14
	v_mov_b32_e32 v21, 0
	v_mov_b32_e32 v22, 0
	s_and_saveexec_b64 s[0:1], vcc
	s_cbranch_execz .LBB561_425
; %bb.420:
	v_lshrrev_b32_e32 v18, 24, v14
	s_movk_i32 s2, 0x80
	v_cmp_ne_u32_e32 vcc, s2, v18
	v_bfrev_b32_e32 v22, 1
	s_and_saveexec_b64 s[2:3], vcc
	s_cbranch_execz .LBB561_424
; %bb.421:
	v_bfe_u32 v14, v14, 24, 7
	s_movk_i32 s7, 0x7f
	v_cmp_ne_u32_e32 vcc, s7, v14
	v_mov_b32_e32 v22, 0x7f800001
	s_and_saveexec_b64 s[8:9], vcc
	s_cbranch_execz .LBB561_423
; %bb.422:
	v_and_b32_e32 v24, 7, v18
	v_ffbh_u32_e32 v22, v24
	v_min_u32_e32 v28, 32, v22
	v_subrev_u32_e32 v22, 28, v28
	v_lshlrev_b64 v[22:23], v22, v[18:19]
	v_lshrrev_b32_e32 v25, 3, v14
	v_sub_u32_e32 v23, 29, v28
	v_and_b32_e32 v22, 7, v22
	v_cmp_gt_u32_e32 vcc, 8, v14
	v_cndmask_b32_e32 v14, v25, v23, vcc
	v_cndmask_b32_e32 v22, v24, v22, vcc
	v_lshlrev_b32_e32 v18, 24, v18
	v_bfrev_b32_e32 v23, 60
	v_lshlrev_b32_e32 v22, 20, v22
	v_and_b32_e32 v18, 0x80000000, v18
	v_lshl_add_u32 v14, v14, 23, v23
	v_or3_b32 v22, v18, v14, v22
.LBB561_423:
	s_or_b64 exec, exec, s[8:9]
.LBB561_424:
	s_or_b64 exec, exec, s[2:3]
.LBB561_425:
	s_or_b64 exec, exec, s[0:1]
	v_cmp_ne_u16_sdwa s[2:3], v15, v21 src0_sel:BYTE_0 src1_sel:DWORD
	s_and_saveexec_b64 s[0:1], s[2:3]
	s_cbranch_execz .LBB561_431
; %bb.426:
	s_movk_i32 s2, 0x80
	v_cmp_ne_u16_sdwa s[8:9], v15, s2 src0_sel:BYTE_0 src1_sel:DWORD
	v_bfrev_b32_e32 v21, 1
	s_and_saveexec_b64 s[2:3], s[8:9]
	s_cbranch_execz .LBB561_430
; %bb.427:
	s_movk_i32 s7, 0x7f
	v_and_b32_e32 v14, 0x7f, v15
	v_cmp_ne_u32_e32 vcc, s7, v14
	v_mov_b32_e32 v21, 0x7f800001
	s_and_saveexec_b64 s[8:9], vcc
	s_cbranch_execz .LBB561_429
; %bb.428:
	v_and_b32_e32 v21, 7, v15
	v_ffbh_u32_e32 v24, v21
	v_min_u32_e32 v28, 32, v24
	v_mov_b32_e32 v18, v15
	v_subrev_u32_e32 v24, 28, v28
	v_lshlrev_b64 v[24:25], v24, v[18:19]
	v_lshrrev_b32_e32 v23, 3, v14
	v_sub_u32_e32 v18, 29, v28
	v_and_b32_e32 v24, 7, v24
	v_cmp_gt_u32_e32 vcc, 8, v14
	v_cndmask_b32_e32 v14, v23, v18, vcc
	v_cndmask_b32_e32 v18, v21, v24, vcc
	v_lshlrev_b32_e32 v21, 24, v15
	v_bfrev_b32_e32 v23, 60
	v_lshlrev_b32_e32 v18, 20, v18
	v_and_b32_e32 v21, 0x80000000, v21
	v_lshl_add_u32 v14, v14, 23, v23
	v_or3_b32 v21, v21, v14, v18
.LBB561_429:
	s_or_b64 exec, exec, s[8:9]
.LBB561_430:
	s_or_b64 exec, exec, s[2:3]
.LBB561_431:
	s_or_b64 exec, exec, s[0:1]
	v_lshrrev_b16_e32 v14, 8, v15
	v_cmp_ne_u16_e32 vcc, 0, v14
	v_mov_b32_e32 v18, 0
	v_mov_b32_e32 v24, 0
	s_and_saveexec_b64 s[0:1], vcc
	s_cbranch_execz .LBB561_437
; %bb.432:
	s_movk_i32 s2, 0x80
	v_cmp_ne_u16_e32 vcc, s2, v14
	v_bfrev_b32_e32 v24, 1
	s_and_saveexec_b64 s[2:3], vcc
	s_cbranch_execz .LBB561_436
; %bb.433:
	s_movk_i32 s7, 0x7f
	v_and_b32_e32 v23, 0x7f, v14
	v_cmp_ne_u32_e32 vcc, s7, v23
	v_mov_b32_e32 v24, 0x7f800001
	s_and_saveexec_b64 s[8:9], vcc
	s_cbranch_execz .LBB561_435
; %bb.434:
	v_and_b32_e32 v28, 7, v14
	v_ffbh_u32_e32 v24, v28
	v_min_u32_e32 v30, 32, v24
	v_subrev_u32_e32 v24, 28, v30
	v_lshlrev_b64 v[24:25], v24, v[14:15]
	v_lshrrev_b32_e32 v29, 3, v23
	v_sub_u32_e32 v14, 29, v30
	v_and_b32_e32 v24, 7, v24
	v_cmp_gt_u32_e32 vcc, 8, v23
	v_cndmask_b32_e32 v14, v29, v14, vcc
	v_cndmask_b32_e32 v23, v28, v24, vcc
	v_lshlrev_b32_e32 v24, 16, v15
	v_bfrev_b32_e32 v25, 60
	v_lshlrev_b32_e32 v23, 20, v23
	v_and_b32_e32 v24, 0x80000000, v24
	v_lshl_add_u32 v14, v14, 23, v25
	v_or3_b32 v24, v24, v14, v23
.LBB561_435:
	s_or_b64 exec, exec, s[8:9]
.LBB561_436:
	s_or_b64 exec, exec, s[2:3]
.LBB561_437:
	s_or_b64 exec, exec, s[0:1]
	s_movk_i32 s0, 0xff
	v_and_b32_sdwa v23, v15, s0 dst_sel:DWORD dst_unused:UNUSED_PAD src0_sel:WORD_1 src1_sel:DWORD
	v_lshrrev_b32_e32 v14, 16, v15
	v_cmp_ne_u16_e32 vcc, 0, v23
	s_and_saveexec_b64 s[0:1], vcc
	s_cbranch_execz .LBB561_443
; %bb.438:
	s_movk_i32 s2, 0x80
	v_cmp_ne_u16_e32 vcc, s2, v23
	v_bfrev_b32_e32 v18, 1
	s_and_saveexec_b64 s[2:3], vcc
	s_cbranch_execz .LBB561_442
; %bb.439:
	v_bfe_u32 v23, v15, 16, 7
	s_movk_i32 s7, 0x7f
	v_cmp_ne_u32_e32 vcc, s7, v23
	v_mov_b32_e32 v18, 0x7f800001
	s_and_saveexec_b64 s[8:9], vcc
	s_cbranch_execz .LBB561_441
; %bb.440:
	v_and_b32_e32 v18, 7, v14
	v_ffbh_u32_e32 v28, v18
	v_min_u32_e32 v30, 32, v28
	v_subrev_u32_e32 v28, 28, v30
	v_lshlrev_b64 v[28:29], v28, v[14:15]
	v_lshrrev_b32_e32 v25, 3, v23
	v_sub_u32_e32 v14, 29, v30
	v_and_b32_e32 v28, 7, v28
	v_cmp_gt_u32_e32 vcc, 8, v23
	v_mov_b32_e32 v23, 24
	v_cndmask_b32_e32 v14, v25, v14, vcc
	v_cndmask_b32_e32 v18, v18, v28, vcc
	v_lshlrev_b32_sdwa v23, v23, v15 dst_sel:DWORD dst_unused:UNUSED_PAD src0_sel:DWORD src1_sel:WORD_1
	v_bfrev_b32_e32 v25, 60
	v_lshlrev_b32_e32 v18, 20, v18
	v_and_b32_e32 v23, 0x80000000, v23
	v_lshl_add_u32 v14, v14, 23, v25
	v_or3_b32 v18, v23, v14, v18
.LBB561_441:
	s_or_b64 exec, exec, s[8:9]
.LBB561_442:
	s_or_b64 exec, exec, s[2:3]
.LBB561_443:
	s_or_b64 exec, exec, s[0:1]
	s_mov_b32 s0, 0xffffff
	v_cmp_lt_u32_e32 vcc, s0, v15
	v_mov_b32_e32 v23, 0
	v_mov_b32_e32 v25, 0
	s_and_saveexec_b64 s[0:1], vcc
	s_cbranch_execz .LBB561_449
; %bb.444:
	v_lshrrev_b32_e32 v14, 24, v15
	s_movk_i32 s2, 0x80
	v_cmp_ne_u32_e32 vcc, s2, v14
	v_bfrev_b32_e32 v25, 1
	s_and_saveexec_b64 s[2:3], vcc
	s_cbranch_execz .LBB561_448
; %bb.445:
	v_bfe_u32 v15, v15, 24, 7
	s_movk_i32 s7, 0x7f
	v_cmp_ne_u32_e32 vcc, s7, v15
	v_mov_b32_e32 v25, 0x7f800001
	s_and_saveexec_b64 s[8:9], vcc
	s_cbranch_execz .LBB561_447
; %bb.446:
	v_and_b32_e32 v25, 7, v14
	v_ffbh_u32_e32 v28, v25
	v_min_u32_e32 v31, 32, v28
	v_subrev_u32_e32 v28, 28, v31
	v_lshlrev_b64 v[28:29], v28, v[14:15]
	v_lshrrev_b32_e32 v30, 3, v15
	v_sub_u32_e32 v29, 29, v31
	v_and_b32_e32 v28, 7, v28
	v_cmp_gt_u32_e32 vcc, 8, v15
	v_cndmask_b32_e32 v15, v30, v29, vcc
	v_cndmask_b32_e32 v25, v25, v28, vcc
	v_lshlrev_b32_e32 v14, 24, v14
	v_bfrev_b32_e32 v28, 60
	v_lshlrev_b32_e32 v25, 20, v25
	v_and_b32_e32 v14, 0x80000000, v14
	v_lshl_add_u32 v15, v15, 23, v28
	v_or3_b32 v25, v14, v15, v25
.LBB561_447:
	s_or_b64 exec, exec, s[8:9]
.LBB561_448:
	s_or_b64 exec, exec, s[2:3]
.LBB561_449:
	s_or_b64 exec, exec, s[0:1]
	v_cvt_pkrtz_f16_f32 v15, v19, v22
	v_lshl_or_b32 v22, v49, 9, v27
	v_cvt_pkrtz_f16_f32 v14, v32, v20
	ds_read_b128 v[28:31], v22
	v_cmp_ne_u16_sdwa s[2:3], v16, v23 src0_sel:BYTE_0 src1_sel:DWORD
	s_waitcnt lgkmcnt(0)
	v_mfma_f32_16x16x16f16 v[32:35], v[14:15], v[28:29], 0
	v_cvt_pkrtz_f16_f32 v14, v21, v24
	v_cvt_pkrtz_f16_f32 v15, v18, v25
	s_nop 1
	v_mfma_f32_16x16x16f16 v[18:21], v[14:15], v[30:31], v[32:35]
	s_and_saveexec_b64 s[0:1], s[2:3]
	s_cbranch_execz .LBB561_455
; %bb.450:
	s_movk_i32 s2, 0x80
	v_cmp_ne_u16_sdwa s[8:9], v16, s2 src0_sel:BYTE_0 src1_sel:DWORD
	v_bfrev_b32_e32 v23, 1
	s_and_saveexec_b64 s[2:3], s[8:9]
	s_cbranch_execz .LBB561_454
; %bb.451:
	s_movk_i32 s7, 0x7f
	v_and_b32_e32 v14, 0x7f, v16
	v_cmp_ne_u32_e32 vcc, s7, v14
	v_mov_b32_e32 v23, 0x7f800001
	s_and_saveexec_b64 s[8:9], vcc
	s_cbranch_execz .LBB561_453
; %bb.452:
	v_and_b32_e32 v15, 7, v16
	v_ffbh_u32_e32 v24, v15
	v_min_u32_e32 v27, 32, v24
	v_subrev_u32_e32 v24, 28, v27
	v_lshlrev_b64 v[24:25], v24, v[16:17]
	v_lshrrev_b32_e32 v23, 3, v14
	v_sub_u32_e32 v25, 29, v27
	v_and_b32_e32 v24, 7, v24
	v_cmp_gt_u32_e32 vcc, 8, v14
	v_cndmask_b32_e32 v14, v23, v25, vcc
	v_cndmask_b32_e32 v15, v15, v24, vcc
	v_lshlrev_b32_e32 v23, 24, v16
	v_bfrev_b32_e32 v24, 60
	v_lshlrev_b32_e32 v15, 20, v15
	v_and_b32_e32 v23, 0x80000000, v23
	v_lshl_add_u32 v14, v14, 23, v24
	v_or3_b32 v23, v23, v14, v15
.LBB561_453:
	s_or_b64 exec, exec, s[8:9]
.LBB561_454:
	s_or_b64 exec, exec, s[2:3]
.LBB561_455:
	s_or_b64 exec, exec, s[0:1]
	v_lshrrev_b16_e32 v14, 8, v16
	v_cmp_ne_u16_e32 vcc, 0, v14
	v_mov_b32_e32 v15, 0
	v_mov_b32_e32 v25, 0
	s_and_saveexec_b64 s[0:1], vcc
	s_cbranch_execz .LBB561_461
; %bb.456:
	s_movk_i32 s2, 0x80
	v_cmp_ne_u16_e32 vcc, s2, v14
	v_bfrev_b32_e32 v25, 1
	s_and_saveexec_b64 s[2:3], vcc
	s_cbranch_execz .LBB561_460
; %bb.457:
	s_movk_i32 s7, 0x7f
	v_and_b32_e32 v24, 0x7f, v14
	v_cmp_ne_u32_e32 vcc, s7, v24
	v_mov_b32_e32 v25, 0x7f800001
	s_and_saveexec_b64 s[8:9], vcc
	s_cbranch_execz .LBB561_459
; %bb.458:
	v_and_b32_e32 v25, 7, v14
	v_ffbh_u32_e32 v28, v25
	v_min_u32_e32 v30, 32, v28
	v_subrev_u32_e32 v28, 28, v30
	v_lshlrev_b64 v[28:29], v28, v[14:15]
	v_lshrrev_b32_e32 v27, 3, v24
	v_sub_u32_e32 v14, 29, v30
	v_and_b32_e32 v28, 7, v28
	v_cmp_gt_u32_e32 vcc, 8, v24
	v_cndmask_b32_e32 v14, v27, v14, vcc
	v_cndmask_b32_e32 v24, v25, v28, vcc
	v_lshlrev_b32_e32 v25, 16, v16
	v_bfrev_b32_e32 v27, 60
	v_lshlrev_b32_e32 v24, 20, v24
	v_and_b32_e32 v25, 0x80000000, v25
	v_lshl_add_u32 v14, v14, 23, v27
	v_or3_b32 v25, v25, v14, v24
.LBB561_459:
	s_or_b64 exec, exec, s[8:9]
.LBB561_460:
	s_or_b64 exec, exec, s[2:3]
.LBB561_461:
	s_or_b64 exec, exec, s[0:1]
	s_movk_i32 s0, 0xff
	v_and_b32_sdwa v24, v16, s0 dst_sel:DWORD dst_unused:UNUSED_PAD src0_sel:WORD_1 src1_sel:DWORD
	v_lshrrev_b32_e32 v14, 16, v16
	v_cmp_ne_u16_e32 vcc, 0, v24
	s_and_saveexec_b64 s[0:1], vcc
	s_cbranch_execz .LBB561_467
; %bb.462:
	s_movk_i32 s2, 0x80
	v_cmp_ne_u16_e32 vcc, s2, v24
	v_bfrev_b32_e32 v15, 1
	s_and_saveexec_b64 s[2:3], vcc
	s_cbranch_execz .LBB561_466
; %bb.463:
	v_bfe_u32 v24, v16, 16, 7
	s_movk_i32 s7, 0x7f
	v_cmp_ne_u32_e32 vcc, s7, v24
	v_mov_b32_e32 v15, 0x7f800001
	s_and_saveexec_b64 s[8:9], vcc
	s_cbranch_execz .LBB561_465
; %bb.464:
	v_and_b32_e32 v27, 7, v14
	v_ffbh_u32_e32 v15, v27
	v_min_u32_e32 v29, 32, v15
	v_subrev_u32_e32 v15, 28, v29
	v_lshlrev_b64 v[14:15], v15, v[14:15]
	v_lshrrev_b32_e32 v28, 3, v24
	v_sub_u32_e32 v15, 29, v29
	v_and_b32_e32 v14, 7, v14
	v_cmp_gt_u32_e32 vcc, 8, v24
	v_mov_b32_e32 v24, 24
	v_cndmask_b32_e32 v15, v28, v15, vcc
	v_cndmask_b32_e32 v14, v27, v14, vcc
	v_lshlrev_b32_sdwa v24, v24, v16 dst_sel:DWORD dst_unused:UNUSED_PAD src0_sel:DWORD src1_sel:WORD_1
	v_bfrev_b32_e32 v27, 60
	v_lshlrev_b32_e32 v14, 20, v14
	v_and_b32_e32 v24, 0x80000000, v24
	v_lshl_add_u32 v15, v15, 23, v27
	v_or3_b32 v15, v24, v15, v14
.LBB561_465:
	s_or_b64 exec, exec, s[8:9]
.LBB561_466:
	s_or_b64 exec, exec, s[2:3]
.LBB561_467:
	s_or_b64 exec, exec, s[0:1]
	s_mov_b32 s0, 0xffffff
	v_cmp_lt_u32_e32 vcc, s0, v16
	v_mov_b32_e32 v27, 0
	v_mov_b32_e32 v28, 0
	s_and_saveexec_b64 s[0:1], vcc
	s_cbranch_execz .LBB561_473
; %bb.468:
	v_lshrrev_b32_e32 v14, 24, v16
	s_movk_i32 s2, 0x80
	v_cmp_ne_u32_e32 vcc, s2, v14
	v_bfrev_b32_e32 v28, 1
	s_and_saveexec_b64 s[2:3], vcc
	s_cbranch_execz .LBB561_472
; %bb.469:
	v_bfe_u32 v16, v16, 24, 7
	s_movk_i32 s7, 0x7f
	v_cmp_ne_u32_e32 vcc, s7, v16
	v_mov_b32_e32 v28, 0x7f800001
	s_and_saveexec_b64 s[8:9], vcc
	s_cbranch_execz .LBB561_471
; %bb.470:
	v_and_b32_e32 v24, 7, v14
	v_ffbh_u32_e32 v28, v24
	v_min_u32_e32 v31, 32, v28
	v_subrev_u32_e32 v28, 28, v31
	v_lshlrev_b64 v[28:29], v28, v[14:15]
	v_lshrrev_b32_e32 v30, 3, v16
	v_sub_u32_e32 v29, 29, v31
	v_and_b32_e32 v28, 7, v28
	v_cmp_gt_u32_e32 vcc, 8, v16
	v_cndmask_b32_e32 v16, v30, v29, vcc
	v_cndmask_b32_e32 v24, v24, v28, vcc
	v_lshlrev_b32_e32 v14, 24, v14
	v_bfrev_b32_e32 v28, 60
	v_lshlrev_b32_e32 v24, 20, v24
	v_and_b32_e32 v14, 0x80000000, v14
	v_lshl_add_u32 v16, v16, 23, v28
	v_or3_b32 v28, v14, v16, v24
.LBB561_471:
	s_or_b64 exec, exec, s[8:9]
.LBB561_472:
	s_or_b64 exec, exec, s[2:3]
.LBB561_473:
	s_or_b64 exec, exec, s[0:1]
	v_cmp_ne_u16_sdwa s[2:3], v17, v27 src0_sel:BYTE_0 src1_sel:DWORD
	s_and_saveexec_b64 s[0:1], s[2:3]
	s_cbranch_execz .LBB561_479
; %bb.474:
	s_movk_i32 s2, 0x80
	v_cmp_ne_u16_sdwa s[8:9], v17, s2 src0_sel:BYTE_0 src1_sel:DWORD
	v_bfrev_b32_e32 v27, 1
	s_and_saveexec_b64 s[2:3], s[8:9]
	s_cbranch_execz .LBB561_478
; %bb.475:
	s_movk_i32 s7, 0x7f
	v_and_b32_e32 v14, 0x7f, v17
	v_cmp_ne_u32_e32 vcc, s7, v14
	v_mov_b32_e32 v27, 0x7f800001
	s_and_saveexec_b64 s[8:9], vcc
	s_cbranch_execz .LBB561_477
; %bb.476:
	v_and_b32_e32 v24, 7, v17
	v_ffbh_u32_e32 v29, v24
	v_min_u32_e32 v29, 32, v29
	v_mov_b32_e32 v16, v17
	v_subrev_u32_e32 v30, 28, v29
	v_lshlrev_b64 v[30:31], v30, v[16:17]
	v_lshrrev_b32_e32 v27, 3, v14
	v_sub_u32_e32 v16, 29, v29
	v_and_b32_e32 v29, 7, v30
	v_cmp_gt_u32_e32 vcc, 8, v14
	v_cndmask_b32_e32 v14, v27, v16, vcc
	v_cndmask_b32_e32 v16, v24, v29, vcc
	v_lshlrev_b32_e32 v24, 24, v17
	v_bfrev_b32_e32 v27, 60
	v_lshlrev_b32_e32 v16, 20, v16
	v_and_b32_e32 v24, 0x80000000, v24
	v_lshl_add_u32 v14, v14, 23, v27
	v_or3_b32 v27, v24, v14, v16
.LBB561_477:
	s_or_b64 exec, exec, s[8:9]
.LBB561_478:
	s_or_b64 exec, exec, s[2:3]
.LBB561_479:
	s_or_b64 exec, exec, s[0:1]
	v_lshrrev_b16_e32 v14, 8, v17
	v_cmp_ne_u16_e32 vcc, 0, v14
	v_mov_b32_e32 v16, 0
	v_mov_b32_e32 v29, 0
	s_and_saveexec_b64 s[0:1], vcc
	s_cbranch_execz .LBB561_485
; %bb.480:
	s_movk_i32 s2, 0x80
	v_cmp_ne_u16_e32 vcc, s2, v14
	v_bfrev_b32_e32 v29, 1
	s_and_saveexec_b64 s[2:3], vcc
	s_cbranch_execz .LBB561_484
; %bb.481:
	s_movk_i32 s7, 0x7f
	v_and_b32_e32 v24, 0x7f, v14
	v_cmp_ne_u32_e32 vcc, s7, v24
	v_mov_b32_e32 v29, 0x7f800001
	s_and_saveexec_b64 s[8:9], vcc
	s_cbranch_execz .LBB561_483
; %bb.482:
	v_and_b32_e32 v29, 7, v14
	v_ffbh_u32_e32 v30, v29
	v_min_u32_e32 v33, 32, v30
	v_subrev_u32_e32 v30, 28, v33
	v_lshlrev_b64 v[30:31], v30, v[14:15]
	v_lshrrev_b32_e32 v32, 3, v24
	v_sub_u32_e32 v14, 29, v33
	v_and_b32_e32 v30, 7, v30
	v_cmp_gt_u32_e32 vcc, 8, v24
	v_cndmask_b32_e32 v14, v32, v14, vcc
	v_cndmask_b32_e32 v24, v29, v30, vcc
	v_lshlrev_b32_e32 v29, 16, v17
	v_bfrev_b32_e32 v30, 60
	v_lshlrev_b32_e32 v24, 20, v24
	v_and_b32_e32 v29, 0x80000000, v29
	v_lshl_add_u32 v14, v14, 23, v30
	v_or3_b32 v29, v29, v14, v24
.LBB561_483:
	s_or_b64 exec, exec, s[8:9]
.LBB561_484:
	s_or_b64 exec, exec, s[2:3]
.LBB561_485:
	s_or_b64 exec, exec, s[0:1]
	s_movk_i32 s0, 0xff
	v_and_b32_sdwa v24, v17, s0 dst_sel:DWORD dst_unused:UNUSED_PAD src0_sel:WORD_1 src1_sel:DWORD
	v_lshrrev_b32_e32 v14, 16, v17
	v_cmp_ne_u16_e32 vcc, 0, v24
	s_and_saveexec_b64 s[0:1], vcc
	s_cbranch_execz .LBB561_491
; %bb.486:
	s_movk_i32 s2, 0x80
	v_cmp_ne_u16_e32 vcc, s2, v24
	v_bfrev_b32_e32 v16, 1
	s_and_saveexec_b64 s[2:3], vcc
	s_cbranch_execz .LBB561_490
; %bb.487:
	v_bfe_u32 v24, v17, 16, 7
	s_movk_i32 s7, 0x7f
	v_cmp_ne_u32_e32 vcc, s7, v24
	v_mov_b32_e32 v16, 0x7f800001
	s_and_saveexec_b64 s[8:9], vcc
	s_cbranch_execz .LBB561_489
; %bb.488:
	v_and_b32_e32 v16, 7, v14
	v_ffbh_u32_e32 v30, v16
	v_min_u32_e32 v33, 32, v30
	v_subrev_u32_e32 v30, 28, v33
	v_lshlrev_b64 v[30:31], v30, v[14:15]
	v_lshrrev_b32_e32 v32, 3, v24
	v_sub_u32_e32 v14, 29, v33
	v_and_b32_e32 v30, 7, v30
	v_cmp_gt_u32_e32 vcc, 8, v24
	v_mov_b32_e32 v24, 24
	v_cndmask_b32_e32 v14, v32, v14, vcc
	v_cndmask_b32_e32 v16, v16, v30, vcc
	v_lshlrev_b32_sdwa v24, v24, v17 dst_sel:DWORD dst_unused:UNUSED_PAD src0_sel:DWORD src1_sel:WORD_1
	v_bfrev_b32_e32 v30, 60
	v_lshlrev_b32_e32 v16, 20, v16
	v_and_b32_e32 v24, 0x80000000, v24
	v_lshl_add_u32 v14, v14, 23, v30
	v_or3_b32 v16, v24, v14, v16
.LBB561_489:
	s_or_b64 exec, exec, s[8:9]
.LBB561_490:
	s_or_b64 exec, exec, s[2:3]
.LBB561_491:
	s_or_b64 exec, exec, s[0:1]
	s_mov_b32 s0, 0xffffff
	v_cmp_lt_u32_e32 vcc, s0, v17
	v_mov_b32_e32 v24, 0
	v_mov_b32_e32 v30, 0
	s_and_saveexec_b64 s[0:1], vcc
	s_cbranch_execz .LBB561_497
; %bb.492:
	v_lshrrev_b32_e32 v14, 24, v17
	s_movk_i32 s2, 0x80
	v_cmp_ne_u32_e32 vcc, s2, v14
	v_bfrev_b32_e32 v30, 1
	s_and_saveexec_b64 s[2:3], vcc
	s_cbranch_execz .LBB561_496
; %bb.493:
	v_bfe_u32 v17, v17, 24, 7
	s_movk_i32 s7, 0x7f
	v_cmp_ne_u32_e32 vcc, s7, v17
	v_mov_b32_e32 v30, 0x7f800001
	s_and_saveexec_b64 s[8:9], vcc
	s_cbranch_execz .LBB561_495
; %bb.494:
	v_and_b32_e32 v32, 7, v14
	v_ffbh_u32_e32 v30, v32
	v_min_u32_e32 v34, 32, v30
	v_subrev_u32_e32 v30, 28, v34
	v_lshlrev_b64 v[30:31], v30, v[14:15]
	v_lshrrev_b32_e32 v33, 3, v17
	v_sub_u32_e32 v31, 29, v34
	v_and_b32_e32 v30, 7, v30
	v_cmp_gt_u32_e32 vcc, 8, v17
	v_cndmask_b32_e32 v17, v33, v31, vcc
	v_cndmask_b32_e32 v30, v32, v30, vcc
	v_lshlrev_b32_e32 v14, 24, v14
	v_bfrev_b32_e32 v31, 60
	v_lshlrev_b32_e32 v30, 20, v30
	v_and_b32_e32 v14, 0x80000000, v14
	v_lshl_add_u32 v17, v17, 23, v31
	v_or3_b32 v30, v14, v17, v30
.LBB561_495:
	s_or_b64 exec, exec, s[8:9]
.LBB561_496:
	s_or_b64 exec, exec, s[2:3]
.LBB561_497:
	s_or_b64 exec, exec, s[0:1]
	v_cvt_pkrtz_f16_f32 v14, v23, v25
	v_cvt_pkrtz_f16_f32 v15, v15, v28
	ds_read_b128 v[32:35], v22 offset:16
	s_waitcnt vmcnt(2)
	v_cmp_ne_u16_sdwa s[2:3], v10, v24 src0_sel:BYTE_0 src1_sel:DWORD
	s_waitcnt lgkmcnt(0)
	v_mfma_f32_16x16x16f16 v[18:21], v[14:15], v[32:33], v[18:21]
	v_cvt_pkrtz_f16_f32 v14, v27, v29
	v_cvt_pkrtz_f16_f32 v15, v16, v30
	s_nop 1
	v_mfma_f32_16x16x16f16 v[14:17], v[14:15], v[34:35], v[18:21]
	s_and_saveexec_b64 s[0:1], s[2:3]
	s_cbranch_execz .LBB561_503
; %bb.498:
	s_movk_i32 s2, 0x80
	v_cmp_ne_u16_sdwa s[8:9], v10, s2 src0_sel:BYTE_0 src1_sel:DWORD
	v_bfrev_b32_e32 v24, 1
	s_and_saveexec_b64 s[2:3], s[8:9]
	s_cbranch_execz .LBB561_502
; %bb.499:
	s_movk_i32 s7, 0x7f
	v_and_b32_e32 v18, 0x7f, v10
	v_cmp_ne_u32_e32 vcc, s7, v18
	v_mov_b32_e32 v24, 0x7f800001
	s_and_saveexec_b64 s[8:9], vcc
	s_cbranch_execz .LBB561_501
; %bb.500:
	v_and_b32_e32 v19, 7, v10
	v_ffbh_u32_e32 v20, v19
	v_min_u32_e32 v24, 32, v20
	v_subrev_u32_e32 v20, 28, v24
	v_lshlrev_b64 v[20:21], v20, v[10:11]
	v_lshrrev_b32_e32 v23, 3, v18
	v_sub_u32_e32 v21, 29, v24
	v_and_b32_e32 v20, 7, v20
	v_cmp_gt_u32_e32 vcc, 8, v18
	v_cndmask_b32_e32 v18, v23, v21, vcc
	v_cndmask_b32_e32 v19, v19, v20, vcc
	v_lshlrev_b32_e32 v20, 24, v10
	v_bfrev_b32_e32 v21, 60
	v_lshlrev_b32_e32 v19, 20, v19
	v_and_b32_e32 v20, 0x80000000, v20
	v_lshl_add_u32 v18, v18, 23, v21
	v_or3_b32 v24, v20, v18, v19
.LBB561_501:
	s_or_b64 exec, exec, s[8:9]
.LBB561_502:
	s_or_b64 exec, exec, s[2:3]
.LBB561_503:
	s_or_b64 exec, exec, s[0:1]
	s_nop 3
	v_lshrrev_b16_e32 v18, 8, v10
	v_cmp_ne_u16_e32 vcc, 0, v18
	v_mov_b32_e32 v19, 0
	v_mov_b32_e32 v20, 0
	s_and_saveexec_b64 s[0:1], vcc
	s_cbranch_execz .LBB561_509
; %bb.504:
	s_movk_i32 s2, 0x80
	v_cmp_ne_u16_e32 vcc, s2, v18
	v_bfrev_b32_e32 v20, 1
	s_and_saveexec_b64 s[2:3], vcc
	s_cbranch_execz .LBB561_508
; %bb.505:
	s_movk_i32 s7, 0x7f
	v_and_b32_e32 v21, 0x7f, v18
	v_cmp_ne_u32_e32 vcc, s7, v21
	v_mov_b32_e32 v20, 0x7f800001
	s_and_saveexec_b64 s[8:9], vcc
	s_cbranch_execz .LBB561_507
; %bb.506:
	v_and_b32_e32 v20, 7, v18
	v_ffbh_u32_e32 v25, v20
	v_min_u32_e32 v25, 32, v25
	v_subrev_u32_e32 v27, 28, v25
	v_lshlrev_b64 v[28:29], v27, v[18:19]
	v_lshrrev_b32_e32 v23, 3, v21
	v_sub_u32_e32 v18, 29, v25
	v_and_b32_e32 v25, 7, v28
	v_cmp_gt_u32_e32 vcc, 8, v21
	v_cndmask_b32_e32 v18, v23, v18, vcc
	v_cndmask_b32_e32 v20, v20, v25, vcc
	v_lshlrev_b32_e32 v21, 16, v10
	v_bfrev_b32_e32 v23, 60
	v_lshlrev_b32_e32 v20, 20, v20
	v_and_b32_e32 v21, 0x80000000, v21
	v_lshl_add_u32 v18, v18, 23, v23
	v_or3_b32 v20, v21, v18, v20
.LBB561_507:
	s_or_b64 exec, exec, s[8:9]
.LBB561_508:
	s_or_b64 exec, exec, s[2:3]
.LBB561_509:
	s_or_b64 exec, exec, s[0:1]
	s_movk_i32 s0, 0xff
	v_and_b32_sdwa v21, v10, s0 dst_sel:DWORD dst_unused:UNUSED_PAD src0_sel:WORD_1 src1_sel:DWORD
	v_lshrrev_b32_e32 v18, 16, v10
	v_cmp_ne_u16_e32 vcc, 0, v21
	s_and_saveexec_b64 s[0:1], vcc
	s_cbranch_execz .LBB561_515
; %bb.510:
	s_movk_i32 s2, 0x80
	v_cmp_ne_u16_e32 vcc, s2, v21
	v_bfrev_b32_e32 v19, 1
	s_and_saveexec_b64 s[2:3], vcc
	s_cbranch_execz .LBB561_514
; %bb.511:
	v_bfe_u32 v21, v10, 16, 7
	s_movk_i32 s7, 0x7f
	v_cmp_ne_u32_e32 vcc, s7, v21
	v_mov_b32_e32 v19, 0x7f800001
	s_and_saveexec_b64 s[8:9], vcc
	s_cbranch_execz .LBB561_513
; %bb.512:
	v_and_b32_e32 v23, 7, v18
	v_ffbh_u32_e32 v19, v23
	v_min_u32_e32 v27, 32, v19
	v_subrev_u32_e32 v19, 28, v27
	v_lshlrev_b64 v[18:19], v19, v[18:19]
	v_lshrrev_b32_e32 v25, 3, v21
	v_sub_u32_e32 v19, 29, v27
	v_and_b32_e32 v18, 7, v18
	v_cmp_gt_u32_e32 vcc, 8, v21
	v_mov_b32_e32 v21, 24
	v_cndmask_b32_e32 v19, v25, v19, vcc
	v_cndmask_b32_e32 v18, v23, v18, vcc
	v_lshlrev_b32_sdwa v21, v21, v10 dst_sel:DWORD dst_unused:UNUSED_PAD src0_sel:DWORD src1_sel:WORD_1
	v_bfrev_b32_e32 v23, 60
	v_lshlrev_b32_e32 v18, 20, v18
	v_and_b32_e32 v21, 0x80000000, v21
	v_lshl_add_u32 v19, v19, 23, v23
	v_or3_b32 v19, v21, v19, v18
.LBB561_513:
	s_or_b64 exec, exec, s[8:9]
.LBB561_514:
	s_or_b64 exec, exec, s[2:3]
.LBB561_515:
	s_or_b64 exec, exec, s[0:1]
	s_mov_b32 s0, 0xffffff
	v_cmp_lt_u32_e32 vcc, s0, v10
	v_mov_b32_e32 v21, 0
	v_mov_b32_e32 v23, 0
	s_and_saveexec_b64 s[0:1], vcc
	s_cbranch_execz .LBB561_521
; %bb.516:
	v_lshrrev_b32_e32 v18, 24, v10
	s_movk_i32 s2, 0x80
	v_cmp_ne_u32_e32 vcc, s2, v18
	v_bfrev_b32_e32 v23, 1
	s_and_saveexec_b64 s[2:3], vcc
	s_cbranch_execz .LBB561_520
; %bb.517:
	v_bfe_u32 v10, v10, 24, 7
	s_movk_i32 s7, 0x7f
	v_cmp_ne_u32_e32 vcc, s7, v10
	v_mov_b32_e32 v23, 0x7f800001
	s_and_saveexec_b64 s[8:9], vcc
	s_cbranch_execz .LBB561_519
; %bb.518:
	v_and_b32_e32 v23, 7, v18
	v_ffbh_u32_e32 v27, v23
	v_min_u32_e32 v27, 32, v27
	v_subrev_u32_e32 v28, 28, v27
	v_lshlrev_b64 v[28:29], v28, v[18:19]
	v_lshrrev_b32_e32 v25, 3, v10
	v_sub_u32_e32 v27, 29, v27
	v_and_b32_e32 v28, 7, v28
	v_cmp_gt_u32_e32 vcc, 8, v10
	v_cndmask_b32_e32 v10, v25, v27, vcc
	v_cndmask_b32_e32 v23, v23, v28, vcc
	v_lshlrev_b32_e32 v18, 24, v18
	v_bfrev_b32_e32 v25, 60
	v_lshlrev_b32_e32 v23, 20, v23
	v_and_b32_e32 v18, 0x80000000, v18
	v_lshl_add_u32 v10, v10, 23, v25
	v_or3_b32 v23, v18, v10, v23
.LBB561_519:
	s_or_b64 exec, exec, s[8:9]
.LBB561_520:
	s_or_b64 exec, exec, s[2:3]
.LBB561_521:
	s_or_b64 exec, exec, s[0:1]
	v_cmp_ne_u16_sdwa s[2:3], v11, v21 src0_sel:BYTE_0 src1_sel:DWORD
	s_and_saveexec_b64 s[0:1], s[2:3]
	s_cbranch_execz .LBB561_527
; %bb.522:
	s_movk_i32 s2, 0x80
	v_cmp_ne_u16_sdwa s[8:9], v11, s2 src0_sel:BYTE_0 src1_sel:DWORD
	v_bfrev_b32_e32 v21, 1
	s_and_saveexec_b64 s[2:3], s[8:9]
	s_cbranch_execz .LBB561_526
; %bb.523:
	s_movk_i32 s7, 0x7f
	v_and_b32_e32 v10, 0x7f, v11
	v_cmp_ne_u32_e32 vcc, s7, v10
	v_mov_b32_e32 v21, 0x7f800001
	s_and_saveexec_b64 s[8:9], vcc
	s_cbranch_execz .LBB561_525
; %bb.524:
	v_and_b32_e32 v21, 7, v11
	v_ffbh_u32_e32 v27, v21
	v_min_u32_e32 v27, 32, v27
	v_mov_b32_e32 v18, v11
	v_subrev_u32_e32 v28, 28, v27
	v_lshlrev_b64 v[28:29], v28, v[18:19]
	v_lshrrev_b32_e32 v25, 3, v10
	v_sub_u32_e32 v18, 29, v27
	v_and_b32_e32 v27, 7, v28
	v_cmp_gt_u32_e32 vcc, 8, v10
	v_cndmask_b32_e32 v10, v25, v18, vcc
	v_cndmask_b32_e32 v18, v21, v27, vcc
	v_lshlrev_b32_e32 v21, 24, v11
	v_bfrev_b32_e32 v25, 60
	v_lshlrev_b32_e32 v18, 20, v18
	v_and_b32_e32 v21, 0x80000000, v21
	v_lshl_add_u32 v10, v10, 23, v25
	v_or3_b32 v21, v21, v10, v18
.LBB561_525:
	s_or_b64 exec, exec, s[8:9]
.LBB561_526:
	s_or_b64 exec, exec, s[2:3]
.LBB561_527:
	s_or_b64 exec, exec, s[0:1]
	v_lshrrev_b16_e32 v10, 8, v11
	v_cmp_ne_u16_e32 vcc, 0, v10
	v_mov_b32_e32 v25, 0
	v_mov_b32_e32 v27, 0
	s_and_saveexec_b64 s[0:1], vcc
	s_cbranch_execz .LBB561_533
; %bb.528:
	s_movk_i32 s2, 0x80
	v_cmp_ne_u16_e32 vcc, s2, v10
	v_bfrev_b32_e32 v27, 1
	s_and_saveexec_b64 s[2:3], vcc
	s_cbranch_execz .LBB561_532
; %bb.529:
	s_movk_i32 s7, 0x7f
	v_and_b32_e32 v18, 0x7f, v10
	v_cmp_ne_u32_e32 vcc, s7, v18
	v_mov_b32_e32 v27, 0x7f800001
	s_and_saveexec_b64 s[8:9], vcc
	s_cbranch_execz .LBB561_531
; %bb.530:
	v_and_b32_e32 v27, 7, v10
	v_ffbh_u32_e32 v28, v27
	v_min_u32_e32 v31, 32, v28
	v_subrev_u32_e32 v28, 28, v31
	v_lshlrev_b64 v[28:29], v28, v[10:11]
	v_lshrrev_b32_e32 v30, 3, v18
	v_sub_u32_e32 v10, 29, v31
	v_and_b32_e32 v28, 7, v28
	v_cmp_gt_u32_e32 vcc, 8, v18
	v_cndmask_b32_e32 v10, v30, v10, vcc
	v_cndmask_b32_e32 v18, v27, v28, vcc
	v_lshlrev_b32_e32 v27, 16, v11
	v_bfrev_b32_e32 v28, 60
	v_lshlrev_b32_e32 v18, 20, v18
	v_and_b32_e32 v27, 0x80000000, v27
	v_lshl_add_u32 v10, v10, 23, v28
	v_or3_b32 v27, v27, v10, v18
.LBB561_531:
	s_or_b64 exec, exec, s[8:9]
.LBB561_532:
	s_or_b64 exec, exec, s[2:3]
.LBB561_533:
	s_or_b64 exec, exec, s[0:1]
	s_movk_i32 s0, 0xff
	v_and_b32_sdwa v18, v11, s0 dst_sel:DWORD dst_unused:UNUSED_PAD src0_sel:WORD_1 src1_sel:DWORD
	v_lshrrev_b32_e32 v10, 16, v11
	v_cmp_ne_u16_e32 vcc, 0, v18
	s_and_saveexec_b64 s[0:1], vcc
	s_cbranch_execz .LBB561_539
; %bb.534:
	s_movk_i32 s2, 0x80
	v_cmp_ne_u16_e32 vcc, s2, v18
	v_bfrev_b32_e32 v25, 1
	s_and_saveexec_b64 s[2:3], vcc
	s_cbranch_execz .LBB561_538
; %bb.535:
	v_bfe_u32 v18, v11, 16, 7
	s_movk_i32 s7, 0x7f
	v_cmp_ne_u32_e32 vcc, s7, v18
	v_mov_b32_e32 v25, 0x7f800001
	s_and_saveexec_b64 s[8:9], vcc
	s_cbranch_execz .LBB561_537
; %bb.536:
	v_and_b32_e32 v25, 7, v10
	v_ffbh_u32_e32 v28, v25
	v_min_u32_e32 v31, 32, v28
	v_subrev_u32_e32 v28, 28, v31
	v_lshlrev_b64 v[28:29], v28, v[10:11]
	v_and_b32_e32 v28, 7, v28
	v_cmp_gt_u32_e32 vcc, 8, v18
	v_lshrrev_b32_e32 v30, 3, v18
	v_sub_u32_e32 v10, 29, v31
	v_cndmask_b32_e32 v18, v25, v28, vcc
	v_mov_b32_e32 v25, 24
	v_cndmask_b32_e32 v10, v30, v10, vcc
	v_lshlrev_b32_sdwa v25, v25, v11 dst_sel:DWORD dst_unused:UNUSED_PAD src0_sel:DWORD src1_sel:WORD_1
	v_bfrev_b32_e32 v28, 60
	v_lshlrev_b32_e32 v18, 20, v18
	v_and_b32_e32 v25, 0x80000000, v25
	v_lshl_add_u32 v10, v10, 23, v28
	v_or3_b32 v25, v25, v10, v18
.LBB561_537:
	s_or_b64 exec, exec, s[8:9]
.LBB561_538:
	s_or_b64 exec, exec, s[2:3]
.LBB561_539:
	s_or_b64 exec, exec, s[0:1]
	s_mov_b32 s0, 0xffffff
	v_cmp_lt_u32_e32 vcc, s0, v11
	v_mov_b32_e32 v18, 0
	v_mov_b32_e32 v28, 0
	s_and_saveexec_b64 s[0:1], vcc
	s_cbranch_execz .LBB561_545
; %bb.540:
	v_lshrrev_b32_e32 v10, 24, v11
	s_movk_i32 s2, 0x80
	v_cmp_ne_u32_e32 vcc, s2, v10
	v_bfrev_b32_e32 v28, 1
	s_and_saveexec_b64 s[2:3], vcc
	s_cbranch_execz .LBB561_544
; %bb.541:
	v_bfe_u32 v11, v11, 24, 7
	s_movk_i32 s7, 0x7f
	v_cmp_ne_u32_e32 vcc, s7, v11
	v_mov_b32_e32 v28, 0x7f800001
	s_and_saveexec_b64 s[8:9], vcc
	s_cbranch_execz .LBB561_543
; %bb.542:
	v_and_b32_e32 v30, 7, v10
	v_ffbh_u32_e32 v28, v30
	v_min_u32_e32 v32, 32, v28
	v_subrev_u32_e32 v28, 28, v32
	v_lshlrev_b64 v[28:29], v28, v[10:11]
	v_lshrrev_b32_e32 v31, 3, v11
	v_sub_u32_e32 v29, 29, v32
	v_and_b32_e32 v28, 7, v28
	v_cmp_gt_u32_e32 vcc, 8, v11
	v_cndmask_b32_e32 v11, v31, v29, vcc
	v_cndmask_b32_e32 v28, v30, v28, vcc
	v_lshlrev_b32_e32 v10, 24, v10
	v_bfrev_b32_e32 v29, 60
	v_lshlrev_b32_e32 v28, 20, v28
	v_and_b32_e32 v10, 0x80000000, v10
	v_lshl_add_u32 v11, v11, 23, v29
	v_or3_b32 v28, v10, v11, v28
.LBB561_543:
	s_or_b64 exec, exec, s[8:9]
.LBB561_544:
	s_or_b64 exec, exec, s[2:3]
.LBB561_545:
	s_or_b64 exec, exec, s[0:1]
	v_cvt_pkrtz_f16_f32 v10, v24, v20
	v_cvt_pkrtz_f16_f32 v11, v19, v23
	ds_read_b128 v[30:33], v22 offset:2048
	v_cmp_ne_u16_sdwa s[2:3], v12, v18 src0_sel:BYTE_0 src1_sel:DWORD
	s_waitcnt lgkmcnt(0)
	v_mfma_f32_16x16x16f16 v[14:17], v[10:11], v[30:31], v[14:17]
	v_cvt_pkrtz_f16_f32 v10, v21, v27
	v_cvt_pkrtz_f16_f32 v11, v25, v28
	s_nop 1
	v_mfma_f32_16x16x16f16 v[14:17], v[10:11], v[32:33], v[14:17]
	s_and_saveexec_b64 s[0:1], s[2:3]
	s_cbranch_execz .LBB561_551
; %bb.546:
	s_movk_i32 s2, 0x80
	v_cmp_ne_u16_sdwa s[8:9], v12, s2 src0_sel:BYTE_0 src1_sel:DWORD
	v_bfrev_b32_e32 v18, 1
	s_and_saveexec_b64 s[2:3], s[8:9]
	s_cbranch_execz .LBB561_550
; %bb.547:
	s_movk_i32 s7, 0x7f
	v_and_b32_e32 v10, 0x7f, v12
	v_cmp_ne_u32_e32 vcc, s7, v10
	v_mov_b32_e32 v18, 0x7f800001
	s_and_saveexec_b64 s[8:9], vcc
	s_cbranch_execz .LBB561_549
; %bb.548:
	v_and_b32_e32 v11, 7, v12
	v_ffbh_u32_e32 v18, v11
	v_min_u32_e32 v21, 32, v18
	v_subrev_u32_e32 v18, 28, v21
	v_lshlrev_b64 v[18:19], v18, v[12:13]
	v_lshrrev_b32_e32 v20, 3, v10
	v_sub_u32_e32 v19, 29, v21
	v_and_b32_e32 v18, 7, v18
	v_cmp_gt_u32_e32 vcc, 8, v10
	v_cndmask_b32_e32 v10, v20, v19, vcc
	v_cndmask_b32_e32 v11, v11, v18, vcc
	v_lshlrev_b32_e32 v18, 24, v12
	v_bfrev_b32_e32 v19, 60
	v_lshlrev_b32_e32 v11, 20, v11
	v_and_b32_e32 v18, 0x80000000, v18
	v_lshl_add_u32 v10, v10, 23, v19
	v_or3_b32 v18, v18, v10, v11
.LBB561_549:
	s_or_b64 exec, exec, s[8:9]
.LBB561_550:
	s_or_b64 exec, exec, s[2:3]
.LBB561_551:
	s_or_b64 exec, exec, s[0:1]
	v_lshrrev_b16_e32 v10, 8, v12
	v_cmp_ne_u16_e32 vcc, 0, v10
	v_mov_b32_e32 v11, 0
	v_mov_b32_e32 v20, 0
	s_and_saveexec_b64 s[0:1], vcc
	s_cbranch_execz .LBB561_557
; %bb.552:
	s_movk_i32 s2, 0x80
	v_cmp_ne_u16_e32 vcc, s2, v10
	v_bfrev_b32_e32 v20, 1
	s_and_saveexec_b64 s[2:3], vcc
	s_cbranch_execz .LBB561_556
; %bb.553:
	s_movk_i32 s7, 0x7f
	v_and_b32_e32 v19, 0x7f, v10
	v_cmp_ne_u32_e32 vcc, s7, v19
	v_mov_b32_e32 v20, 0x7f800001
	s_and_saveexec_b64 s[8:9], vcc
	s_cbranch_execz .LBB561_555
; %bb.554:
	v_and_b32_e32 v23, 7, v10
	v_ffbh_u32_e32 v20, v23
	v_min_u32_e32 v25, 32, v20
	v_subrev_u32_e32 v20, 28, v25
	v_lshlrev_b64 v[20:21], v20, v[10:11]
	v_lshrrev_b32_e32 v24, 3, v19
	v_sub_u32_e32 v10, 29, v25
	v_and_b32_e32 v20, 7, v20
	v_cmp_gt_u32_e32 vcc, 8, v19
	v_cndmask_b32_e32 v10, v24, v10, vcc
	v_cndmask_b32_e32 v19, v23, v20, vcc
	v_lshlrev_b32_e32 v20, 16, v12
	v_bfrev_b32_e32 v21, 60
	v_lshlrev_b32_e32 v19, 20, v19
	v_and_b32_e32 v20, 0x80000000, v20
	v_lshl_add_u32 v10, v10, 23, v21
	v_or3_b32 v20, v20, v10, v19
.LBB561_555:
	s_or_b64 exec, exec, s[8:9]
.LBB561_556:
	s_or_b64 exec, exec, s[2:3]
.LBB561_557:
	s_or_b64 exec, exec, s[0:1]
	s_movk_i32 s0, 0xff
	v_and_b32_sdwa v19, v12, s0 dst_sel:DWORD dst_unused:UNUSED_PAD src0_sel:WORD_1 src1_sel:DWORD
	v_lshrrev_b32_e32 v10, 16, v12
	v_cmp_ne_u16_e32 vcc, 0, v19
	s_and_saveexec_b64 s[0:1], vcc
	s_cbranch_execz .LBB561_563
; %bb.558:
	s_movk_i32 s2, 0x80
	v_cmp_ne_u16_e32 vcc, s2, v19
	v_bfrev_b32_e32 v11, 1
	s_and_saveexec_b64 s[2:3], vcc
	s_cbranch_execz .LBB561_562
; %bb.559:
	v_bfe_u32 v19, v12, 16, 7
	s_movk_i32 s7, 0x7f
	v_cmp_ne_u32_e32 vcc, s7, v19
	v_mov_b32_e32 v11, 0x7f800001
	s_and_saveexec_b64 s[8:9], vcc
	s_cbranch_execz .LBB561_561
; %bb.560:
	v_and_b32_e32 v21, 7, v10
	v_ffbh_u32_e32 v11, v21
	v_min_u32_e32 v24, 32, v11
	v_subrev_u32_e32 v11, 28, v24
	v_lshlrev_b64 v[10:11], v11, v[10:11]
	v_lshrrev_b32_e32 v23, 3, v19
	v_sub_u32_e32 v11, 29, v24
	v_and_b32_e32 v10, 7, v10
	v_cmp_gt_u32_e32 vcc, 8, v19
	v_mov_b32_e32 v19, 24
	v_cndmask_b32_e32 v11, v23, v11, vcc
	v_cndmask_b32_e32 v10, v21, v10, vcc
	v_lshlrev_b32_sdwa v19, v19, v12 dst_sel:DWORD dst_unused:UNUSED_PAD src0_sel:DWORD src1_sel:WORD_1
	v_bfrev_b32_e32 v21, 60
	v_lshlrev_b32_e32 v10, 20, v10
	v_and_b32_e32 v19, 0x80000000, v19
	v_lshl_add_u32 v11, v11, 23, v21
	v_or3_b32 v11, v19, v11, v10
.LBB561_561:
	s_or_b64 exec, exec, s[8:9]
.LBB561_562:
	s_or_b64 exec, exec, s[2:3]
.LBB561_563:
	s_or_b64 exec, exec, s[0:1]
	s_mov_b32 s0, 0xffffff
	v_cmp_lt_u32_e32 vcc, s0, v12
	v_mov_b32_e32 v21, 0
	v_mov_b32_e32 v23, 0
	s_and_saveexec_b64 s[0:1], vcc
	s_cbranch_execz .LBB561_569
; %bb.564:
	v_lshrrev_b32_e32 v10, 24, v12
	s_movk_i32 s2, 0x80
	v_cmp_ne_u32_e32 vcc, s2, v10
	v_bfrev_b32_e32 v23, 1
	s_and_saveexec_b64 s[2:3], vcc
	s_cbranch_execz .LBB561_568
; %bb.565:
	v_bfe_u32 v12, v12, 24, 7
	s_movk_i32 s7, 0x7f
	v_cmp_ne_u32_e32 vcc, s7, v12
	v_mov_b32_e32 v23, 0x7f800001
	s_and_saveexec_b64 s[8:9], vcc
	s_cbranch_execz .LBB561_567
; %bb.566:
	v_and_b32_e32 v19, 7, v10
	v_ffbh_u32_e32 v24, v19
	v_min_u32_e32 v27, 32, v24
	v_subrev_u32_e32 v24, 28, v27
	v_lshlrev_b64 v[24:25], v24, v[10:11]
	v_lshrrev_b32_e32 v23, 3, v12
	v_sub_u32_e32 v25, 29, v27
	v_and_b32_e32 v24, 7, v24
	v_cmp_gt_u32_e32 vcc, 8, v12
	v_cndmask_b32_e32 v12, v23, v25, vcc
	v_cndmask_b32_e32 v19, v19, v24, vcc
	v_lshlrev_b32_e32 v10, 24, v10
	v_bfrev_b32_e32 v23, 60
	v_lshlrev_b32_e32 v19, 20, v19
	v_and_b32_e32 v10, 0x80000000, v10
	v_lshl_add_u32 v12, v12, 23, v23
	v_or3_b32 v23, v10, v12, v19
.LBB561_567:
	s_or_b64 exec, exec, s[8:9]
.LBB561_568:
	s_or_b64 exec, exec, s[2:3]
.LBB561_569:
	s_or_b64 exec, exec, s[0:1]
	v_cmp_ne_u16_sdwa s[2:3], v13, v21 src0_sel:BYTE_0 src1_sel:DWORD
	s_and_saveexec_b64 s[0:1], s[2:3]
	s_cbranch_execz .LBB561_575
; %bb.570:
	s_movk_i32 s2, 0x80
	v_cmp_ne_u16_sdwa s[8:9], v13, s2 src0_sel:BYTE_0 src1_sel:DWORD
	v_bfrev_b32_e32 v21, 1
	s_and_saveexec_b64 s[2:3], s[8:9]
	s_cbranch_execz .LBB561_574
; %bb.571:
	s_movk_i32 s7, 0x7f
	v_and_b32_e32 v10, 0x7f, v13
	v_cmp_ne_u32_e32 vcc, s7, v10
	v_mov_b32_e32 v21, 0x7f800001
	s_and_saveexec_b64 s[8:9], vcc
	s_cbranch_execz .LBB561_573
; %bb.572:
	v_and_b32_e32 v19, 7, v13
	v_ffbh_u32_e32 v24, v19
	v_min_u32_e32 v27, 32, v24
	v_mov_b32_e32 v12, v13
	v_subrev_u32_e32 v24, 28, v27
	v_lshlrev_b64 v[24:25], v24, v[12:13]
	v_lshrrev_b32_e32 v21, 3, v10
	v_sub_u32_e32 v12, 29, v27
	v_and_b32_e32 v24, 7, v24
	v_cmp_gt_u32_e32 vcc, 8, v10
	v_cndmask_b32_e32 v10, v21, v12, vcc
	v_cndmask_b32_e32 v12, v19, v24, vcc
	v_lshlrev_b32_e32 v19, 24, v13
	v_bfrev_b32_e32 v21, 60
	v_lshlrev_b32_e32 v12, 20, v12
	v_and_b32_e32 v19, 0x80000000, v19
	v_lshl_add_u32 v10, v10, 23, v21
	v_or3_b32 v21, v19, v10, v12
.LBB561_573:
	s_or_b64 exec, exec, s[8:9]
.LBB561_574:
	s_or_b64 exec, exec, s[2:3]
.LBB561_575:
	s_or_b64 exec, exec, s[0:1]
	v_lshrrev_b16_e32 v10, 8, v13
	v_cmp_ne_u16_e32 vcc, 0, v10
	v_mov_b32_e32 v12, 0
	v_mov_b32_e32 v24, 0
	s_and_saveexec_b64 s[0:1], vcc
	s_cbranch_execz .LBB561_581
; %bb.576:
	s_movk_i32 s2, 0x80
	v_cmp_ne_u16_e32 vcc, s2, v10
	v_bfrev_b32_e32 v24, 1
	s_and_saveexec_b64 s[2:3], vcc
	s_cbranch_execz .LBB561_580
; %bb.577:
	s_movk_i32 s7, 0x7f
	v_and_b32_e32 v19, 0x7f, v10
	v_cmp_ne_u32_e32 vcc, s7, v19
	v_mov_b32_e32 v24, 0x7f800001
	s_and_saveexec_b64 s[8:9], vcc
	s_cbranch_execz .LBB561_579
; %bb.578:
	v_and_b32_e32 v27, 7, v10
	v_ffbh_u32_e32 v24, v27
	v_min_u32_e32 v29, 32, v24
	v_subrev_u32_e32 v24, 28, v29
	v_lshlrev_b64 v[24:25], v24, v[10:11]
	v_lshrrev_b32_e32 v28, 3, v19
	v_sub_u32_e32 v10, 29, v29
	v_and_b32_e32 v24, 7, v24
	v_cmp_gt_u32_e32 vcc, 8, v19
	v_cndmask_b32_e32 v10, v28, v10, vcc
	v_cndmask_b32_e32 v19, v27, v24, vcc
	v_lshlrev_b32_e32 v24, 16, v13
	v_bfrev_b32_e32 v25, 60
	v_lshlrev_b32_e32 v19, 20, v19
	v_and_b32_e32 v24, 0x80000000, v24
	v_lshl_add_u32 v10, v10, 23, v25
	v_or3_b32 v24, v24, v10, v19
.LBB561_579:
	s_or_b64 exec, exec, s[8:9]
.LBB561_580:
	s_or_b64 exec, exec, s[2:3]
.LBB561_581:
	s_or_b64 exec, exec, s[0:1]
	s_movk_i32 s0, 0xff
	v_and_b32_sdwa v19, v13, s0 dst_sel:DWORD dst_unused:UNUSED_PAD src0_sel:WORD_1 src1_sel:DWORD
	v_lshrrev_b32_e32 v10, 16, v13
	v_cmp_ne_u16_e32 vcc, 0, v19
	s_and_saveexec_b64 s[0:1], vcc
	s_cbranch_execz .LBB561_587
; %bb.582:
	s_movk_i32 s2, 0x80
	v_cmp_ne_u16_e32 vcc, s2, v19
	v_bfrev_b32_e32 v12, 1
	s_and_saveexec_b64 s[2:3], vcc
	s_cbranch_execz .LBB561_586
; %bb.583:
	v_bfe_u32 v19, v13, 16, 7
	s_movk_i32 s7, 0x7f
	v_cmp_ne_u32_e32 vcc, s7, v19
	v_mov_b32_e32 v12, 0x7f800001
	s_and_saveexec_b64 s[8:9], vcc
	s_cbranch_execz .LBB561_585
; %bb.584:
	v_and_b32_e32 v12, 7, v10
	v_ffbh_u32_e32 v27, v12
	v_min_u32_e32 v27, 32, v27
	v_subrev_u32_e32 v28, 28, v27
	v_lshlrev_b64 v[28:29], v28, v[10:11]
	v_lshrrev_b32_e32 v25, 3, v19
	v_sub_u32_e32 v10, 29, v27
	v_and_b32_e32 v27, 7, v28
	v_cmp_gt_u32_e32 vcc, 8, v19
	v_mov_b32_e32 v19, 24
	v_cndmask_b32_e32 v10, v25, v10, vcc
	v_cndmask_b32_e32 v12, v12, v27, vcc
	v_lshlrev_b32_sdwa v19, v19, v13 dst_sel:DWORD dst_unused:UNUSED_PAD src0_sel:DWORD src1_sel:WORD_1
	v_bfrev_b32_e32 v25, 60
	v_lshlrev_b32_e32 v12, 20, v12
	v_and_b32_e32 v19, 0x80000000, v19
	v_lshl_add_u32 v10, v10, 23, v25
	v_or3_b32 v12, v19, v10, v12
.LBB561_585:
	s_or_b64 exec, exec, s[8:9]
.LBB561_586:
	s_or_b64 exec, exec, s[2:3]
.LBB561_587:
	s_or_b64 exec, exec, s[0:1]
	s_mov_b32 s0, 0xffffff
	v_cmp_lt_u32_e32 vcc, s0, v13
	v_mov_b32_e32 v19, 0
	v_mov_b32_e32 v25, 0
	s_and_saveexec_b64 s[0:1], vcc
	s_cbranch_execz .LBB561_593
; %bb.588:
	v_lshrrev_b32_e32 v10, 24, v13
	s_movk_i32 s2, 0x80
	v_cmp_ne_u32_e32 vcc, s2, v10
	v_bfrev_b32_e32 v25, 1
	s_and_saveexec_b64 s[2:3], vcc
	s_cbranch_execz .LBB561_592
; %bb.589:
	v_bfe_u32 v13, v13, 24, 7
	s_movk_i32 s7, 0x7f
	v_cmp_ne_u32_e32 vcc, s7, v13
	v_mov_b32_e32 v25, 0x7f800001
	s_and_saveexec_b64 s[8:9], vcc
	s_cbranch_execz .LBB561_591
; %bb.590:
	v_and_b32_e32 v25, 7, v10
	v_ffbh_u32_e32 v28, v25
	v_min_u32_e32 v30, 32, v28
	v_subrev_u32_e32 v28, 28, v30
	v_lshlrev_b64 v[28:29], v28, v[10:11]
	v_lshrrev_b32_e32 v27, 3, v13
	v_sub_u32_e32 v29, 29, v30
	v_and_b32_e32 v28, 7, v28
	v_cmp_gt_u32_e32 vcc, 8, v13
	v_cndmask_b32_e32 v13, v27, v29, vcc
	v_cndmask_b32_e32 v25, v25, v28, vcc
	v_lshlrev_b32_e32 v10, 24, v10
	v_bfrev_b32_e32 v27, 60
	v_lshlrev_b32_e32 v25, 20, v25
	v_and_b32_e32 v10, 0x80000000, v10
	v_lshl_add_u32 v13, v13, 23, v27
	v_or3_b32 v25, v10, v13, v25
.LBB561_591:
	s_or_b64 exec, exec, s[8:9]
.LBB561_592:
	s_or_b64 exec, exec, s[2:3]
.LBB561_593:
	s_or_b64 exec, exec, s[0:1]
	v_cvt_pkrtz_f16_f32 v10, v18, v20
	v_cvt_pkrtz_f16_f32 v11, v11, v23
	ds_read_b128 v[28:31], v22 offset:2064
	s_waitcnt vmcnt(1)
	v_cmp_ne_u16_sdwa s[2:3], v6, v19 src0_sel:BYTE_0 src1_sel:DWORD
	s_waitcnt lgkmcnt(0)
	v_mfma_f32_16x16x16f16 v[14:17], v[10:11], v[28:29], v[14:17]
	v_cvt_pkrtz_f16_f32 v10, v21, v24
	v_cvt_pkrtz_f16_f32 v11, v12, v25
	s_nop 1
	v_mfma_f32_16x16x16f16 v[10:13], v[10:11], v[30:31], v[14:17]
	s_and_saveexec_b64 s[0:1], s[2:3]
	s_cbranch_execz .LBB561_599
; %bb.594:
	s_movk_i32 s2, 0x80
	v_cmp_ne_u16_sdwa s[8:9], v6, s2 src0_sel:BYTE_0 src1_sel:DWORD
	v_bfrev_b32_e32 v19, 1
	s_and_saveexec_b64 s[2:3], s[8:9]
	s_cbranch_execz .LBB561_598
; %bb.595:
	s_movk_i32 s7, 0x7f
	v_and_b32_e32 v14, 0x7f, v6
	v_cmp_ne_u32_e32 vcc, s7, v14
	v_mov_b32_e32 v19, 0x7f800001
	s_and_saveexec_b64 s[8:9], vcc
	s_cbranch_execz .LBB561_597
; %bb.596:
	v_and_b32_e32 v15, 7, v6
	v_ffbh_u32_e32 v16, v15
	v_min_u32_e32 v19, 32, v16
	v_subrev_u32_e32 v16, 28, v19
	v_lshlrev_b64 v[16:17], v16, v[6:7]
	v_lshrrev_b32_e32 v18, 3, v14
	v_sub_u32_e32 v17, 29, v19
	v_and_b32_e32 v16, 7, v16
	v_cmp_gt_u32_e32 vcc, 8, v14
	v_cndmask_b32_e32 v14, v18, v17, vcc
	v_cndmask_b32_e32 v15, v15, v16, vcc
	v_lshlrev_b32_e32 v16, 24, v6
	v_bfrev_b32_e32 v17, 60
	v_lshlrev_b32_e32 v15, 20, v15
	v_and_b32_e32 v16, 0x80000000, v16
	v_lshl_add_u32 v14, v14, 23, v17
	v_or3_b32 v19, v16, v14, v15
.LBB561_597:
	s_or_b64 exec, exec, s[8:9]
.LBB561_598:
	s_or_b64 exec, exec, s[2:3]
.LBB561_599:
	s_or_b64 exec, exec, s[0:1]
	s_nop 3
	v_lshrrev_b16_e32 v14, 8, v6
	v_cmp_ne_u16_e32 vcc, 0, v14
	v_mov_b32_e32 v15, 0
	v_mov_b32_e32 v16, 0
	s_and_saveexec_b64 s[0:1], vcc
	s_cbranch_execz .LBB561_605
; %bb.600:
	s_movk_i32 s2, 0x80
	v_cmp_ne_u16_e32 vcc, s2, v14
	v_bfrev_b32_e32 v16, 1
	s_and_saveexec_b64 s[2:3], vcc
	s_cbranch_execz .LBB561_604
; %bb.601:
	s_movk_i32 s7, 0x7f
	v_and_b32_e32 v17, 0x7f, v14
	v_cmp_ne_u32_e32 vcc, s7, v17
	v_mov_b32_e32 v16, 0x7f800001
	s_and_saveexec_b64 s[8:9], vcc
	s_cbranch_execz .LBB561_603
; %bb.602:
	v_and_b32_e32 v16, 7, v14
	v_ffbh_u32_e32 v20, v16
	v_min_u32_e32 v23, 32, v20
	v_subrev_u32_e32 v20, 28, v23
	v_lshlrev_b64 v[20:21], v20, v[14:15]
	v_lshrrev_b32_e32 v18, 3, v17
	v_sub_u32_e32 v14, 29, v23
	v_and_b32_e32 v20, 7, v20
	v_cmp_gt_u32_e32 vcc, 8, v17
	v_cndmask_b32_e32 v14, v18, v14, vcc
	v_cndmask_b32_e32 v16, v16, v20, vcc
	v_lshlrev_b32_e32 v17, 16, v6
	v_bfrev_b32_e32 v18, 60
	v_lshlrev_b32_e32 v16, 20, v16
	v_and_b32_e32 v17, 0x80000000, v17
	v_lshl_add_u32 v14, v14, 23, v18
	v_or3_b32 v16, v17, v14, v16
.LBB561_603:
	s_or_b64 exec, exec, s[8:9]
.LBB561_604:
	s_or_b64 exec, exec, s[2:3]
.LBB561_605:
	s_or_b64 exec, exec, s[0:1]
	s_movk_i32 s0, 0xff
	v_and_b32_sdwa v17, v6, s0 dst_sel:DWORD dst_unused:UNUSED_PAD src0_sel:WORD_1 src1_sel:DWORD
	v_lshrrev_b32_e32 v14, 16, v6
	v_cmp_ne_u16_e32 vcc, 0, v17
	s_and_saveexec_b64 s[0:1], vcc
	s_cbranch_execz .LBB561_611
; %bb.606:
	s_movk_i32 s2, 0x80
	v_cmp_ne_u16_e32 vcc, s2, v17
	v_bfrev_b32_e32 v15, 1
	s_and_saveexec_b64 s[2:3], vcc
	s_cbranch_execz .LBB561_610
; %bb.607:
	v_bfe_u32 v17, v6, 16, 7
	s_movk_i32 s7, 0x7f
	v_cmp_ne_u32_e32 vcc, s7, v17
	v_mov_b32_e32 v15, 0x7f800001
	s_and_saveexec_b64 s[8:9], vcc
	s_cbranch_execz .LBB561_609
; %bb.608:
	v_and_b32_e32 v18, 7, v14
	v_ffbh_u32_e32 v15, v18
	v_min_u32_e32 v21, 32, v15
	v_subrev_u32_e32 v15, 28, v21
	v_lshlrev_b64 v[14:15], v15, v[14:15]
	v_lshrrev_b32_e32 v20, 3, v17
	v_sub_u32_e32 v15, 29, v21
	v_and_b32_e32 v14, 7, v14
	v_cmp_gt_u32_e32 vcc, 8, v17
	v_mov_b32_e32 v17, 24
	v_cndmask_b32_e32 v15, v20, v15, vcc
	v_cndmask_b32_e32 v14, v18, v14, vcc
	v_lshlrev_b32_sdwa v17, v17, v6 dst_sel:DWORD dst_unused:UNUSED_PAD src0_sel:DWORD src1_sel:WORD_1
	v_bfrev_b32_e32 v18, 60
	v_lshlrev_b32_e32 v14, 20, v14
	v_and_b32_e32 v17, 0x80000000, v17
	v_lshl_add_u32 v15, v15, 23, v18
	v_or3_b32 v15, v17, v15, v14
.LBB561_609:
	s_or_b64 exec, exec, s[8:9]
.LBB561_610:
	s_or_b64 exec, exec, s[2:3]
.LBB561_611:
	s_or_b64 exec, exec, s[0:1]
	s_mov_b32 s0, 0xffffff
	v_cmp_lt_u32_e32 vcc, s0, v6
	v_mov_b32_e32 v17, 0
	v_mov_b32_e32 v18, 0
	s_and_saveexec_b64 s[0:1], vcc
	s_cbranch_execz .LBB561_617
; %bb.612:
	v_lshrrev_b32_e32 v14, 24, v6
	s_movk_i32 s2, 0x80
	v_cmp_ne_u32_e32 vcc, s2, v14
	v_bfrev_b32_e32 v18, 1
	s_and_saveexec_b64 s[2:3], vcc
	s_cbranch_execz .LBB561_616
; %bb.613:
	v_bfe_u32 v6, v6, 24, 7
	s_movk_i32 s7, 0x7f
	v_cmp_ne_u32_e32 vcc, s7, v6
	v_mov_b32_e32 v18, 0x7f800001
	s_and_saveexec_b64 s[8:9], vcc
	s_cbranch_execz .LBB561_615
; %bb.614:
	v_and_b32_e32 v18, 7, v14
	v_ffbh_u32_e32 v20, v18
	v_min_u32_e32 v24, 32, v20
	v_subrev_u32_e32 v20, 28, v24
	v_lshlrev_b64 v[20:21], v20, v[14:15]
	v_lshrrev_b32_e32 v23, 3, v6
	v_sub_u32_e32 v21, 29, v24
	v_and_b32_e32 v20, 7, v20
	v_cmp_gt_u32_e32 vcc, 8, v6
	v_cndmask_b32_e32 v6, v23, v21, vcc
	v_cndmask_b32_e32 v18, v18, v20, vcc
	v_lshlrev_b32_e32 v14, 24, v14
	v_bfrev_b32_e32 v20, 60
	v_lshlrev_b32_e32 v18, 20, v18
	v_and_b32_e32 v14, 0x80000000, v14
	v_lshl_add_u32 v6, v6, 23, v20
	v_or3_b32 v18, v14, v6, v18
.LBB561_615:
	s_or_b64 exec, exec, s[8:9]
.LBB561_616:
	s_or_b64 exec, exec, s[2:3]
.LBB561_617:
	s_or_b64 exec, exec, s[0:1]
	v_cmp_ne_u16_sdwa s[2:3], v7, v17 src0_sel:BYTE_0 src1_sel:DWORD
	s_and_saveexec_b64 s[0:1], s[2:3]
	s_cbranch_execz .LBB561_623
; %bb.618:
	s_movk_i32 s2, 0x80
	v_cmp_ne_u16_sdwa s[8:9], v7, s2 src0_sel:BYTE_0 src1_sel:DWORD
	v_bfrev_b32_e32 v17, 1
	s_and_saveexec_b64 s[2:3], s[8:9]
	s_cbranch_execz .LBB561_622
; %bb.619:
	s_movk_i32 s7, 0x7f
	v_and_b32_e32 v6, 0x7f, v7
	v_cmp_ne_u32_e32 vcc, s7, v6
	v_mov_b32_e32 v17, 0x7f800001
	s_and_saveexec_b64 s[8:9], vcc
	s_cbranch_execz .LBB561_621
; %bb.620:
	v_and_b32_e32 v17, 7, v7
	v_ffbh_u32_e32 v20, v17
	v_min_u32_e32 v24, 32, v20
	v_mov_b32_e32 v14, v7
	v_subrev_u32_e32 v20, 28, v24
	v_lshlrev_b64 v[20:21], v20, v[14:15]
	v_lshrrev_b32_e32 v23, 3, v6
	v_sub_u32_e32 v14, 29, v24
	v_and_b32_e32 v20, 7, v20
	v_cmp_gt_u32_e32 vcc, 8, v6
	v_cndmask_b32_e32 v6, v23, v14, vcc
	v_cndmask_b32_e32 v14, v17, v20, vcc
	v_lshlrev_b32_e32 v17, 24, v7
	v_bfrev_b32_e32 v20, 60
	v_lshlrev_b32_e32 v14, 20, v14
	v_and_b32_e32 v17, 0x80000000, v17
	v_lshl_add_u32 v6, v6, 23, v20
	v_or3_b32 v17, v17, v6, v14
.LBB561_621:
	s_or_b64 exec, exec, s[8:9]
.LBB561_622:
	s_or_b64 exec, exec, s[2:3]
.LBB561_623:
	s_or_b64 exec, exec, s[0:1]
	v_lshrrev_b16_e32 v6, 8, v7
	v_cmp_ne_u16_e32 vcc, 0, v6
	v_mov_b32_e32 v20, 0
	v_mov_b32_e32 v21, 0
	s_and_saveexec_b64 s[0:1], vcc
	s_cbranch_execz .LBB561_629
; %bb.624:
	s_movk_i32 s2, 0x80
	v_cmp_ne_u16_e32 vcc, s2, v6
	v_bfrev_b32_e32 v21, 1
	s_and_saveexec_b64 s[2:3], vcc
	s_cbranch_execz .LBB561_628
; %bb.625:
	s_movk_i32 s7, 0x7f
	v_and_b32_e32 v14, 0x7f, v6
	v_cmp_ne_u32_e32 vcc, s7, v14
	v_mov_b32_e32 v21, 0x7f800001
	s_and_saveexec_b64 s[8:9], vcc
	s_cbranch_execz .LBB561_627
; %bb.626:
	v_and_b32_e32 v21, 7, v6
	v_ffbh_u32_e32 v24, v21
	v_min_u32_e32 v27, 32, v24
	v_subrev_u32_e32 v24, 28, v27
	v_lshlrev_b64 v[24:25], v24, v[6:7]
	v_lshrrev_b32_e32 v23, 3, v14
	v_sub_u32_e32 v6, 29, v27
	v_and_b32_e32 v24, 7, v24
	v_cmp_gt_u32_e32 vcc, 8, v14
	v_cndmask_b32_e32 v6, v23, v6, vcc
	v_cndmask_b32_e32 v14, v21, v24, vcc
	v_lshlrev_b32_e32 v21, 16, v7
	v_bfrev_b32_e32 v23, 60
	v_lshlrev_b32_e32 v14, 20, v14
	v_and_b32_e32 v21, 0x80000000, v21
	v_lshl_add_u32 v6, v6, 23, v23
	v_or3_b32 v21, v21, v6, v14
.LBB561_627:
	s_or_b64 exec, exec, s[8:9]
.LBB561_628:
	s_or_b64 exec, exec, s[2:3]
.LBB561_629:
	s_or_b64 exec, exec, s[0:1]
	s_movk_i32 s0, 0xff
	v_and_b32_sdwa v14, v7, s0 dst_sel:DWORD dst_unused:UNUSED_PAD src0_sel:WORD_1 src1_sel:DWORD
	v_lshrrev_b32_e32 v6, 16, v7
	v_cmp_ne_u16_e32 vcc, 0, v14
	s_and_saveexec_b64 s[0:1], vcc
	s_cbranch_execz .LBB561_635
; %bb.630:
	s_movk_i32 s2, 0x80
	v_cmp_ne_u16_e32 vcc, s2, v14
	v_bfrev_b32_e32 v20, 1
	s_and_saveexec_b64 s[2:3], vcc
	s_cbranch_execz .LBB561_634
; %bb.631:
	v_bfe_u32 v14, v7, 16, 7
	s_movk_i32 s7, 0x7f
	v_cmp_ne_u32_e32 vcc, s7, v14
	v_mov_b32_e32 v20, 0x7f800001
	s_and_saveexec_b64 s[8:9], vcc
	s_cbranch_execz .LBB561_633
; %bb.632:
	v_and_b32_e32 v20, 7, v6
	v_ffbh_u32_e32 v24, v20
	v_min_u32_e32 v27, 32, v24
	v_subrev_u32_e32 v24, 28, v27
	v_lshlrev_b64 v[24:25], v24, v[6:7]
	v_and_b32_e32 v24, 7, v24
	v_cmp_gt_u32_e32 vcc, 8, v14
	v_lshrrev_b32_e32 v23, 3, v14
	v_sub_u32_e32 v6, 29, v27
	v_cndmask_b32_e32 v14, v20, v24, vcc
	v_mov_b32_e32 v20, 24
	v_cndmask_b32_e32 v6, v23, v6, vcc
	v_lshlrev_b32_sdwa v20, v20, v7 dst_sel:DWORD dst_unused:UNUSED_PAD src0_sel:DWORD src1_sel:WORD_1
	v_bfrev_b32_e32 v23, 60
	v_lshlrev_b32_e32 v14, 20, v14
	v_and_b32_e32 v20, 0x80000000, v20
	v_lshl_add_u32 v6, v6, 23, v23
	v_or3_b32 v20, v20, v6, v14
.LBB561_633:
	s_or_b64 exec, exec, s[8:9]
.LBB561_634:
	s_or_b64 exec, exec, s[2:3]
.LBB561_635:
	s_or_b64 exec, exec, s[0:1]
	s_mov_b32 s0, 0xffffff
	v_cmp_lt_u32_e32 vcc, s0, v7
	v_mov_b32_e32 v14, 0
	v_mov_b32_e32 v23, 0
	s_and_saveexec_b64 s[0:1], vcc
	s_cbranch_execz .LBB561_641
; %bb.636:
	v_lshrrev_b32_e32 v6, 24, v7
	s_movk_i32 s2, 0x80
	v_cmp_ne_u32_e32 vcc, s2, v6
	v_bfrev_b32_e32 v23, 1
	s_and_saveexec_b64 s[2:3], vcc
	s_cbranch_execz .LBB561_640
; %bb.637:
	v_bfe_u32 v7, v7, 24, 7
	s_movk_i32 s7, 0x7f
	v_cmp_ne_u32_e32 vcc, s7, v7
	v_mov_b32_e32 v23, 0x7f800001
	s_and_saveexec_b64 s[8:9], vcc
	s_cbranch_execz .LBB561_639
; %bb.638:
	v_and_b32_e32 v23, 7, v6
	v_ffbh_u32_e32 v24, v23
	v_min_u32_e32 v28, 32, v24
	v_subrev_u32_e32 v24, 28, v28
	v_lshlrev_b64 v[24:25], v24, v[6:7]
	v_lshrrev_b32_e32 v27, 3, v7
	v_sub_u32_e32 v25, 29, v28
	v_and_b32_e32 v24, 7, v24
	v_cmp_gt_u32_e32 vcc, 8, v7
	v_cndmask_b32_e32 v7, v27, v25, vcc
	v_cndmask_b32_e32 v23, v23, v24, vcc
	v_lshlrev_b32_e32 v6, 24, v6
	v_bfrev_b32_e32 v24, 60
	v_lshlrev_b32_e32 v23, 20, v23
	v_and_b32_e32 v6, 0x80000000, v6
	v_lshl_add_u32 v7, v7, 23, v24
	v_or3_b32 v23, v6, v7, v23
.LBB561_639:
	s_or_b64 exec, exec, s[8:9]
.LBB561_640:
	s_or_b64 exec, exec, s[2:3]
.LBB561_641:
	s_or_b64 exec, exec, s[0:1]
	v_cvt_pkrtz_f16_f32 v6, v19, v16
	v_cvt_pkrtz_f16_f32 v7, v15, v18
	ds_read_b128 v[28:31], v22 offset:4096
	v_cmp_ne_u16_sdwa s[2:3], v8, v14 src0_sel:BYTE_0 src1_sel:DWORD
	s_waitcnt lgkmcnt(0)
	v_mfma_f32_16x16x16f16 v[10:13], v[6:7], v[28:29], v[10:13]
	v_cvt_pkrtz_f16_f32 v6, v17, v21
	v_cvt_pkrtz_f16_f32 v7, v20, v23
	s_nop 1
	v_mfma_f32_16x16x16f16 v[10:13], v[6:7], v[30:31], v[10:13]
	s_and_saveexec_b64 s[0:1], s[2:3]
	s_cbranch_execz .LBB561_647
; %bb.642:
	s_movk_i32 s2, 0x80
	v_cmp_ne_u16_sdwa s[8:9], v8, s2 src0_sel:BYTE_0 src1_sel:DWORD
	v_bfrev_b32_e32 v14, 1
	s_and_saveexec_b64 s[2:3], s[8:9]
	s_cbranch_execz .LBB561_646
; %bb.643:
	s_movk_i32 s7, 0x7f
	v_and_b32_e32 v6, 0x7f, v8
	v_cmp_ne_u32_e32 vcc, s7, v6
	v_mov_b32_e32 v14, 0x7f800001
	s_and_saveexec_b64 s[8:9], vcc
	s_cbranch_execz .LBB561_645
; %bb.644:
	v_and_b32_e32 v7, 7, v8
	v_ffbh_u32_e32 v14, v7
	v_min_u32_e32 v17, 32, v14
	v_subrev_u32_e32 v14, 28, v17
	v_lshlrev_b64 v[14:15], v14, v[8:9]
	v_lshrrev_b32_e32 v16, 3, v6
	v_sub_u32_e32 v15, 29, v17
	v_and_b32_e32 v14, 7, v14
	v_cmp_gt_u32_e32 vcc, 8, v6
	v_cndmask_b32_e32 v6, v16, v15, vcc
	v_cndmask_b32_e32 v7, v7, v14, vcc
	v_lshlrev_b32_e32 v14, 24, v8
	v_bfrev_b32_e32 v15, 60
	v_lshlrev_b32_e32 v7, 20, v7
	v_and_b32_e32 v14, 0x80000000, v14
	v_lshl_add_u32 v6, v6, 23, v15
	v_or3_b32 v14, v14, v6, v7
.LBB561_645:
	s_or_b64 exec, exec, s[8:9]
.LBB561_646:
	s_or_b64 exec, exec, s[2:3]
.LBB561_647:
	s_or_b64 exec, exec, s[0:1]
	v_lshrrev_b16_e32 v6, 8, v8
	v_cmp_ne_u16_e32 vcc, 0, v6
	v_mov_b32_e32 v7, 0
	v_mov_b32_e32 v16, 0
	s_and_saveexec_b64 s[0:1], vcc
	s_cbranch_execz .LBB561_653
; %bb.648:
	s_movk_i32 s2, 0x80
	v_cmp_ne_u16_e32 vcc, s2, v6
	v_bfrev_b32_e32 v16, 1
	s_and_saveexec_b64 s[2:3], vcc
	s_cbranch_execz .LBB561_652
; %bb.649:
	s_movk_i32 s7, 0x7f
	v_and_b32_e32 v15, 0x7f, v6
	v_cmp_ne_u32_e32 vcc, s7, v15
	v_mov_b32_e32 v16, 0x7f800001
	s_and_saveexec_b64 s[8:9], vcc
	s_cbranch_execz .LBB561_651
; %bb.650:
	v_and_b32_e32 v18, 7, v6
	v_ffbh_u32_e32 v16, v18
	v_min_u32_e32 v20, 32, v16
	v_subrev_u32_e32 v16, 28, v20
	v_lshlrev_b64 v[16:17], v16, v[6:7]
	v_lshrrev_b32_e32 v19, 3, v15
	v_sub_u32_e32 v6, 29, v20
	v_and_b32_e32 v16, 7, v16
	v_cmp_gt_u32_e32 vcc, 8, v15
	v_cndmask_b32_e32 v6, v19, v6, vcc
	v_cndmask_b32_e32 v15, v18, v16, vcc
	v_lshlrev_b32_e32 v16, 16, v8
	v_bfrev_b32_e32 v17, 60
	v_lshlrev_b32_e32 v15, 20, v15
	v_and_b32_e32 v16, 0x80000000, v16
	v_lshl_add_u32 v6, v6, 23, v17
	v_or3_b32 v16, v16, v6, v15
.LBB561_651:
	s_or_b64 exec, exec, s[8:9]
.LBB561_652:
	s_or_b64 exec, exec, s[2:3]
.LBB561_653:
	s_or_b64 exec, exec, s[0:1]
	s_movk_i32 s0, 0xff
	v_and_b32_sdwa v15, v8, s0 dst_sel:DWORD dst_unused:UNUSED_PAD src0_sel:WORD_1 src1_sel:DWORD
	v_lshrrev_b32_e32 v6, 16, v8
	v_cmp_ne_u16_e32 vcc, 0, v15
	s_and_saveexec_b64 s[0:1], vcc
	s_cbranch_execz .LBB561_659
; %bb.654:
	s_movk_i32 s2, 0x80
	v_cmp_ne_u16_e32 vcc, s2, v15
	v_bfrev_b32_e32 v7, 1
	s_and_saveexec_b64 s[2:3], vcc
	s_cbranch_execz .LBB561_658
; %bb.655:
	v_bfe_u32 v15, v8, 16, 7
	s_movk_i32 s7, 0x7f
	v_cmp_ne_u32_e32 vcc, s7, v15
	v_mov_b32_e32 v7, 0x7f800001
	s_and_saveexec_b64 s[8:9], vcc
	s_cbranch_execz .LBB561_657
; %bb.656:
	v_and_b32_e32 v17, 7, v6
	v_ffbh_u32_e32 v7, v17
	v_min_u32_e32 v19, 32, v7
	v_subrev_u32_e32 v7, 28, v19
	v_lshlrev_b64 v[6:7], v7, v[6:7]
	v_lshrrev_b32_e32 v18, 3, v15
	v_sub_u32_e32 v7, 29, v19
	v_and_b32_e32 v6, 7, v6
	v_cmp_gt_u32_e32 vcc, 8, v15
	v_mov_b32_e32 v15, 24
	v_cndmask_b32_e32 v7, v18, v7, vcc
	v_cndmask_b32_e32 v6, v17, v6, vcc
	v_lshlrev_b32_sdwa v15, v15, v8 dst_sel:DWORD dst_unused:UNUSED_PAD src0_sel:DWORD src1_sel:WORD_1
	v_bfrev_b32_e32 v17, 60
	v_lshlrev_b32_e32 v6, 20, v6
	v_and_b32_e32 v15, 0x80000000, v15
	v_lshl_add_u32 v7, v7, 23, v17
	v_or3_b32 v7, v15, v7, v6
.LBB561_657:
	s_or_b64 exec, exec, s[8:9]
.LBB561_658:
	s_or_b64 exec, exec, s[2:3]
.LBB561_659:
	s_or_b64 exec, exec, s[0:1]
	s_mov_b32 s0, 0xffffff
	v_cmp_lt_u32_e32 vcc, s0, v8
	v_mov_b32_e32 v17, 0
	v_mov_b32_e32 v18, 0
	s_and_saveexec_b64 s[0:1], vcc
	s_cbranch_execz .LBB561_665
; %bb.660:
	v_lshrrev_b32_e32 v6, 24, v8
	s_movk_i32 s2, 0x80
	v_cmp_ne_u32_e32 vcc, s2, v6
	v_bfrev_b32_e32 v18, 1
	s_and_saveexec_b64 s[2:3], vcc
	s_cbranch_execz .LBB561_664
; %bb.661:
	v_bfe_u32 v8, v8, 24, 7
	s_movk_i32 s7, 0x7f
	v_cmp_ne_u32_e32 vcc, s7, v8
	v_mov_b32_e32 v18, 0x7f800001
	s_and_saveexec_b64 s[8:9], vcc
	s_cbranch_execz .LBB561_663
; %bb.662:
	v_and_b32_e32 v15, 7, v6
	v_ffbh_u32_e32 v18, v15
	v_min_u32_e32 v21, 32, v18
	v_subrev_u32_e32 v18, 28, v21
	v_lshlrev_b64 v[18:19], v18, v[6:7]
	v_lshrrev_b32_e32 v20, 3, v8
	v_sub_u32_e32 v19, 29, v21
	v_and_b32_e32 v18, 7, v18
	v_cmp_gt_u32_e32 vcc, 8, v8
	v_cndmask_b32_e32 v8, v20, v19, vcc
	v_cndmask_b32_e32 v15, v15, v18, vcc
	v_lshlrev_b32_e32 v6, 24, v6
	v_bfrev_b32_e32 v18, 60
	v_lshlrev_b32_e32 v15, 20, v15
	v_and_b32_e32 v6, 0x80000000, v6
	v_lshl_add_u32 v8, v8, 23, v18
	v_or3_b32 v18, v6, v8, v15
.LBB561_663:
	s_or_b64 exec, exec, s[8:9]
.LBB561_664:
	s_or_b64 exec, exec, s[2:3]
.LBB561_665:
	s_or_b64 exec, exec, s[0:1]
	v_cmp_ne_u16_sdwa s[2:3], v9, v17 src0_sel:BYTE_0 src1_sel:DWORD
	s_and_saveexec_b64 s[0:1], s[2:3]
	s_cbranch_execz .LBB561_671
; %bb.666:
	s_movk_i32 s2, 0x80
	v_cmp_ne_u16_sdwa s[8:9], v9, s2 src0_sel:BYTE_0 src1_sel:DWORD
	v_bfrev_b32_e32 v17, 1
	s_and_saveexec_b64 s[2:3], s[8:9]
	s_cbranch_execz .LBB561_670
; %bb.667:
	s_movk_i32 s7, 0x7f
	v_and_b32_e32 v6, 0x7f, v9
	v_cmp_ne_u32_e32 vcc, s7, v6
	v_mov_b32_e32 v17, 0x7f800001
	s_and_saveexec_b64 s[8:9], vcc
	s_cbranch_execz .LBB561_669
; %bb.668:
	v_and_b32_e32 v15, 7, v9
	v_ffbh_u32_e32 v19, v15
	v_min_u32_e32 v19, 32, v19
	v_mov_b32_e32 v8, v9
	v_subrev_u32_e32 v20, 28, v19
	v_lshlrev_b64 v[20:21], v20, v[8:9]
	v_lshrrev_b32_e32 v17, 3, v6
	v_sub_u32_e32 v8, 29, v19
	v_and_b32_e32 v19, 7, v20
	v_cmp_gt_u32_e32 vcc, 8, v6
	v_cndmask_b32_e32 v6, v17, v8, vcc
	v_cndmask_b32_e32 v8, v15, v19, vcc
	v_lshlrev_b32_e32 v15, 24, v9
	v_bfrev_b32_e32 v17, 60
	v_lshlrev_b32_e32 v8, 20, v8
	v_and_b32_e32 v15, 0x80000000, v15
	v_lshl_add_u32 v6, v6, 23, v17
	v_or3_b32 v17, v15, v6, v8
.LBB561_669:
	s_or_b64 exec, exec, s[8:9]
.LBB561_670:
	s_or_b64 exec, exec, s[2:3]
.LBB561_671:
	s_or_b64 exec, exec, s[0:1]
	v_lshrrev_b16_e32 v6, 8, v9
	v_cmp_ne_u16_e32 vcc, 0, v6
	v_mov_b32_e32 v8, 0
	v_mov_b32_e32 v19, 0
	s_and_saveexec_b64 s[0:1], vcc
	s_cbranch_execz .LBB561_677
; %bb.672:
	s_movk_i32 s2, 0x80
	v_cmp_ne_u16_e32 vcc, s2, v6
	v_bfrev_b32_e32 v19, 1
	s_and_saveexec_b64 s[2:3], vcc
	s_cbranch_execz .LBB561_676
; %bb.673:
	s_movk_i32 s7, 0x7f
	v_and_b32_e32 v15, 0x7f, v6
	v_cmp_ne_u32_e32 vcc, s7, v15
	v_mov_b32_e32 v19, 0x7f800001
	s_and_saveexec_b64 s[8:9], vcc
	s_cbranch_execz .LBB561_675
; %bb.674:
	v_and_b32_e32 v19, 7, v6
	v_ffbh_u32_e32 v20, v19
	v_min_u32_e32 v24, 32, v20
	v_subrev_u32_e32 v20, 28, v24
	v_lshlrev_b64 v[20:21], v20, v[6:7]
	v_lshrrev_b32_e32 v23, 3, v15
	v_sub_u32_e32 v6, 29, v24
	v_and_b32_e32 v20, 7, v20
	v_cmp_gt_u32_e32 vcc, 8, v15
	v_cndmask_b32_e32 v6, v23, v6, vcc
	v_cndmask_b32_e32 v15, v19, v20, vcc
	v_lshlrev_b32_e32 v19, 16, v9
	v_bfrev_b32_e32 v20, 60
	v_lshlrev_b32_e32 v15, 20, v15
	v_and_b32_e32 v19, 0x80000000, v19
	v_lshl_add_u32 v6, v6, 23, v20
	v_or3_b32 v19, v19, v6, v15
.LBB561_675:
	s_or_b64 exec, exec, s[8:9]
.LBB561_676:
	s_or_b64 exec, exec, s[2:3]
.LBB561_677:
	s_or_b64 exec, exec, s[0:1]
	s_movk_i32 s0, 0xff
	v_and_b32_sdwa v15, v9, s0 dst_sel:DWORD dst_unused:UNUSED_PAD src0_sel:WORD_1 src1_sel:DWORD
	v_lshrrev_b32_e32 v6, 16, v9
	v_cmp_ne_u16_e32 vcc, 0, v15
	s_and_saveexec_b64 s[0:1], vcc
	s_cbranch_execz .LBB561_683
; %bb.678:
	s_movk_i32 s2, 0x80
	v_cmp_ne_u16_e32 vcc, s2, v15
	v_bfrev_b32_e32 v8, 1
	s_and_saveexec_b64 s[2:3], vcc
	s_cbranch_execz .LBB561_682
; %bb.679:
	v_bfe_u32 v15, v9, 16, 7
	s_movk_i32 s7, 0x7f
	v_cmp_ne_u32_e32 vcc, s7, v15
	v_mov_b32_e32 v8, 0x7f800001
	s_and_saveexec_b64 s[8:9], vcc
	s_cbranch_execz .LBB561_681
; %bb.680:
	v_and_b32_e32 v8, 7, v6
	v_ffbh_u32_e32 v20, v8
	v_min_u32_e32 v24, 32, v20
	v_subrev_u32_e32 v20, 28, v24
	v_lshlrev_b64 v[20:21], v20, v[6:7]
	v_lshrrev_b32_e32 v23, 3, v15
	v_sub_u32_e32 v6, 29, v24
	v_and_b32_e32 v20, 7, v20
	v_cmp_gt_u32_e32 vcc, 8, v15
	v_mov_b32_e32 v15, 24
	v_cndmask_b32_e32 v6, v23, v6, vcc
	v_cndmask_b32_e32 v8, v8, v20, vcc
	v_lshlrev_b32_sdwa v15, v15, v9 dst_sel:DWORD dst_unused:UNUSED_PAD src0_sel:DWORD src1_sel:WORD_1
	v_bfrev_b32_e32 v20, 60
	v_lshlrev_b32_e32 v8, 20, v8
	v_and_b32_e32 v15, 0x80000000, v15
	v_lshl_add_u32 v6, v6, 23, v20
	v_or3_b32 v8, v15, v6, v8
.LBB561_681:
	s_or_b64 exec, exec, s[8:9]
.LBB561_682:
	s_or_b64 exec, exec, s[2:3]
.LBB561_683:
	s_or_b64 exec, exec, s[0:1]
	s_mov_b32 s0, 0xffffff
	v_cmp_lt_u32_e32 vcc, s0, v9
	v_mov_b32_e32 v15, 0
	v_mov_b32_e32 v20, 0
	s_and_saveexec_b64 s[0:1], vcc
	s_cbranch_execz .LBB561_689
; %bb.684:
	v_lshrrev_b32_e32 v6, 24, v9
	s_movk_i32 s2, 0x80
	v_cmp_ne_u32_e32 vcc, s2, v6
	v_bfrev_b32_e32 v20, 1
	s_and_saveexec_b64 s[2:3], vcc
	s_cbranch_execz .LBB561_688
; %bb.685:
	v_bfe_u32 v9, v9, 24, 7
	s_movk_i32 s7, 0x7f
	v_cmp_ne_u32_e32 vcc, s7, v9
	v_mov_b32_e32 v20, 0x7f800001
	s_and_saveexec_b64 s[8:9], vcc
	s_cbranch_execz .LBB561_687
; %bb.686:
	v_and_b32_e32 v23, 7, v6
	v_ffbh_u32_e32 v20, v23
	v_min_u32_e32 v25, 32, v20
	v_subrev_u32_e32 v20, 28, v25
	v_lshlrev_b64 v[20:21], v20, v[6:7]
	v_lshrrev_b32_e32 v24, 3, v9
	v_sub_u32_e32 v21, 29, v25
	v_and_b32_e32 v20, 7, v20
	v_cmp_gt_u32_e32 vcc, 8, v9
	v_cndmask_b32_e32 v9, v24, v21, vcc
	v_cndmask_b32_e32 v20, v23, v20, vcc
	v_lshlrev_b32_e32 v6, 24, v6
	v_bfrev_b32_e32 v21, 60
	v_lshlrev_b32_e32 v20, 20, v20
	v_and_b32_e32 v6, 0x80000000, v6
	v_lshl_add_u32 v9, v9, 23, v21
	v_or3_b32 v20, v6, v9, v20
.LBB561_687:
	s_or_b64 exec, exec, s[8:9]
.LBB561_688:
	s_or_b64 exec, exec, s[2:3]
.LBB561_689:
	s_or_b64 exec, exec, s[0:1]
	v_cvt_pkrtz_f16_f32 v6, v14, v16
	v_cvt_pkrtz_f16_f32 v7, v7, v18
	ds_read_b128 v[28:31], v22 offset:4112
	s_waitcnt vmcnt(0)
	v_cmp_ne_u16_sdwa s[2:3], v2, v15 src0_sel:BYTE_0 src1_sel:DWORD
	s_waitcnt lgkmcnt(0)
	v_mfma_f32_16x16x16f16 v[10:13], v[6:7], v[28:29], v[10:13]
	v_cvt_pkrtz_f16_f32 v6, v17, v19
	v_cvt_pkrtz_f16_f32 v7, v8, v20
	s_nop 1
	v_mfma_f32_16x16x16f16 v[6:9], v[6:7], v[30:31], v[10:13]
	s_and_saveexec_b64 s[0:1], s[2:3]
	s_cbranch_execz .LBB561_695
; %bb.690:
	s_movk_i32 s2, 0x80
	v_cmp_ne_u16_sdwa s[8:9], v2, s2 src0_sel:BYTE_0 src1_sel:DWORD
	v_bfrev_b32_e32 v15, 1
	s_and_saveexec_b64 s[2:3], s[8:9]
	s_cbranch_execz .LBB561_694
; %bb.691:
	s_movk_i32 s7, 0x7f
	v_and_b32_e32 v10, 0x7f, v2
	v_cmp_ne_u32_e32 vcc, s7, v10
	v_mov_b32_e32 v15, 0x7f800001
	s_and_saveexec_b64 s[8:9], vcc
	s_cbranch_execz .LBB561_693
; %bb.692:
	v_and_b32_e32 v11, 7, v2
	v_ffbh_u32_e32 v12, v11
	v_min_u32_e32 v15, 32, v12
	v_subrev_u32_e32 v12, 28, v15
	v_lshlrev_b64 v[12:13], v12, v[2:3]
	v_lshrrev_b32_e32 v14, 3, v10
	v_sub_u32_e32 v13, 29, v15
	v_and_b32_e32 v12, 7, v12
	v_cmp_gt_u32_e32 vcc, 8, v10
	v_cndmask_b32_e32 v10, v14, v13, vcc
	v_cndmask_b32_e32 v11, v11, v12, vcc
	v_lshlrev_b32_e32 v12, 24, v2
	v_bfrev_b32_e32 v13, 60
	v_lshlrev_b32_e32 v11, 20, v11
	v_and_b32_e32 v12, 0x80000000, v12
	v_lshl_add_u32 v10, v10, 23, v13
	v_or3_b32 v15, v12, v10, v11
.LBB561_693:
	s_or_b64 exec, exec, s[8:9]
.LBB561_694:
	s_or_b64 exec, exec, s[2:3]
.LBB561_695:
	s_or_b64 exec, exec, s[0:1]
	s_nop 3
	v_lshrrev_b16_e32 v10, 8, v2
	v_cmp_ne_u16_e32 vcc, 0, v10
	v_mov_b32_e32 v11, 0
	v_mov_b32_e32 v12, 0
	s_and_saveexec_b64 s[0:1], vcc
	s_cbranch_execz .LBB561_701
; %bb.696:
	s_movk_i32 s2, 0x80
	v_cmp_ne_u16_e32 vcc, s2, v10
	v_bfrev_b32_e32 v12, 1
	s_and_saveexec_b64 s[2:3], vcc
	s_cbranch_execz .LBB561_700
; %bb.697:
	s_movk_i32 s7, 0x7f
	v_and_b32_e32 v13, 0x7f, v10
	v_cmp_ne_u32_e32 vcc, s7, v13
	v_mov_b32_e32 v12, 0x7f800001
	s_and_saveexec_b64 s[8:9], vcc
	s_cbranch_execz .LBB561_699
; %bb.698:
	v_and_b32_e32 v12, 7, v10
	v_ffbh_u32_e32 v16, v12
	v_min_u32_e32 v18, 32, v16
	v_subrev_u32_e32 v16, 28, v18
	v_lshlrev_b64 v[16:17], v16, v[10:11]
	v_lshrrev_b32_e32 v14, 3, v13
	v_sub_u32_e32 v10, 29, v18
	v_and_b32_e32 v16, 7, v16
	v_cmp_gt_u32_e32 vcc, 8, v13
	v_cndmask_b32_e32 v10, v14, v10, vcc
	v_cndmask_b32_e32 v12, v12, v16, vcc
	v_lshlrev_b32_e32 v13, 16, v2
	v_bfrev_b32_e32 v14, 60
	v_lshlrev_b32_e32 v12, 20, v12
	v_and_b32_e32 v13, 0x80000000, v13
	v_lshl_add_u32 v10, v10, 23, v14
	v_or3_b32 v12, v13, v10, v12
.LBB561_699:
	s_or_b64 exec, exec, s[8:9]
.LBB561_700:
	s_or_b64 exec, exec, s[2:3]
.LBB561_701:
	s_or_b64 exec, exec, s[0:1]
	s_movk_i32 s0, 0xff
	v_and_b32_sdwa v13, v2, s0 dst_sel:DWORD dst_unused:UNUSED_PAD src0_sel:WORD_1 src1_sel:DWORD
	v_lshrrev_b32_e32 v10, 16, v2
	v_cmp_ne_u16_e32 vcc, 0, v13
	s_and_saveexec_b64 s[0:1], vcc
	s_cbranch_execz .LBB561_707
; %bb.702:
	s_movk_i32 s2, 0x80
	v_cmp_ne_u16_e32 vcc, s2, v13
	v_bfrev_b32_e32 v11, 1
	s_and_saveexec_b64 s[2:3], vcc
	s_cbranch_execz .LBB561_706
; %bb.703:
	v_bfe_u32 v13, v2, 16, 7
	s_movk_i32 s7, 0x7f
	v_cmp_ne_u32_e32 vcc, s7, v13
	v_mov_b32_e32 v11, 0x7f800001
	s_and_saveexec_b64 s[8:9], vcc
	s_cbranch_execz .LBB561_705
; %bb.704:
	v_and_b32_e32 v14, 7, v10
	v_ffbh_u32_e32 v11, v14
	v_min_u32_e32 v17, 32, v11
	v_subrev_u32_e32 v11, 28, v17
	v_lshlrev_b64 v[10:11], v11, v[10:11]
	v_lshrrev_b32_e32 v16, 3, v13
	v_sub_u32_e32 v11, 29, v17
	v_and_b32_e32 v10, 7, v10
	v_cmp_gt_u32_e32 vcc, 8, v13
	v_mov_b32_e32 v13, 24
	v_cndmask_b32_e32 v11, v16, v11, vcc
	v_cndmask_b32_e32 v10, v14, v10, vcc
	v_lshlrev_b32_sdwa v13, v13, v2 dst_sel:DWORD dst_unused:UNUSED_PAD src0_sel:DWORD src1_sel:WORD_1
	v_bfrev_b32_e32 v14, 60
	v_lshlrev_b32_e32 v10, 20, v10
	v_and_b32_e32 v13, 0x80000000, v13
	v_lshl_add_u32 v11, v11, 23, v14
	v_or3_b32 v11, v13, v11, v10
.LBB561_705:
	s_or_b64 exec, exec, s[8:9]
.LBB561_706:
	s_or_b64 exec, exec, s[2:3]
.LBB561_707:
	s_or_b64 exec, exec, s[0:1]
	s_mov_b32 s0, 0xffffff
	v_cmp_lt_u32_e32 vcc, s0, v2
	v_mov_b32_e32 v13, 0
	v_mov_b32_e32 v14, 0
	s_and_saveexec_b64 s[0:1], vcc
	s_cbranch_execz .LBB561_713
; %bb.708:
	v_lshrrev_b32_e32 v10, 24, v2
	s_movk_i32 s2, 0x80
	v_cmp_ne_u32_e32 vcc, s2, v10
	v_bfrev_b32_e32 v14, 1
	s_and_saveexec_b64 s[2:3], vcc
	s_cbranch_execz .LBB561_712
; %bb.709:
	v_bfe_u32 v2, v2, 24, 7
	s_movk_i32 s7, 0x7f
	v_cmp_ne_u32_e32 vcc, s7, v2
	v_mov_b32_e32 v14, 0x7f800001
	s_and_saveexec_b64 s[8:9], vcc
	s_cbranch_execz .LBB561_711
; %bb.710:
	v_and_b32_e32 v14, 7, v10
	v_ffbh_u32_e32 v16, v14
	v_min_u32_e32 v19, 32, v16
	v_subrev_u32_e32 v16, 28, v19
	v_lshlrev_b64 v[16:17], v16, v[10:11]
	v_lshrrev_b32_e32 v18, 3, v2
	v_sub_u32_e32 v17, 29, v19
	v_and_b32_e32 v16, 7, v16
	v_cmp_gt_u32_e32 vcc, 8, v2
	v_cndmask_b32_e32 v2, v18, v17, vcc
	v_cndmask_b32_e32 v14, v14, v16, vcc
	v_lshlrev_b32_e32 v10, 24, v10
	v_bfrev_b32_e32 v16, 60
	v_lshlrev_b32_e32 v14, 20, v14
	v_and_b32_e32 v10, 0x80000000, v10
	v_lshl_add_u32 v2, v2, 23, v16
	v_or3_b32 v14, v10, v2, v14
.LBB561_711:
	s_or_b64 exec, exec, s[8:9]
.LBB561_712:
	s_or_b64 exec, exec, s[2:3]
.LBB561_713:
	s_or_b64 exec, exec, s[0:1]
	v_cmp_ne_u16_sdwa s[2:3], v3, v13 src0_sel:BYTE_0 src1_sel:DWORD
	s_and_saveexec_b64 s[0:1], s[2:3]
	s_cbranch_execz .LBB561_719
; %bb.714:
	s_movk_i32 s2, 0x80
	v_cmp_ne_u16_sdwa s[8:9], v3, s2 src0_sel:BYTE_0 src1_sel:DWORD
	v_bfrev_b32_e32 v13, 1
	s_and_saveexec_b64 s[2:3], s[8:9]
	s_cbranch_execz .LBB561_718
; %bb.715:
	s_movk_i32 s7, 0x7f
	v_and_b32_e32 v2, 0x7f, v3
	v_cmp_ne_u32_e32 vcc, s7, v2
	v_mov_b32_e32 v13, 0x7f800001
	s_and_saveexec_b64 s[8:9], vcc
	s_cbranch_execz .LBB561_717
; %bb.716:
	v_and_b32_e32 v13, 7, v3
	v_ffbh_u32_e32 v16, v13
	v_min_u32_e32 v19, 32, v16
	v_mov_b32_e32 v10, v3
	v_subrev_u32_e32 v16, 28, v19
	v_lshlrev_b64 v[16:17], v16, v[10:11]
	v_lshrrev_b32_e32 v18, 3, v2
	v_sub_u32_e32 v10, 29, v19
	v_and_b32_e32 v16, 7, v16
	v_cmp_gt_u32_e32 vcc, 8, v2
	v_cndmask_b32_e32 v2, v18, v10, vcc
	v_cndmask_b32_e32 v10, v13, v16, vcc
	v_lshlrev_b32_e32 v13, 24, v3
	v_bfrev_b32_e32 v16, 60
	v_lshlrev_b32_e32 v10, 20, v10
	v_and_b32_e32 v13, 0x80000000, v13
	v_lshl_add_u32 v2, v2, 23, v16
	v_or3_b32 v13, v13, v2, v10
.LBB561_717:
	s_or_b64 exec, exec, s[8:9]
.LBB561_718:
	s_or_b64 exec, exec, s[2:3]
.LBB561_719:
	s_or_b64 exec, exec, s[0:1]
	v_lshrrev_b16_e32 v2, 8, v3
	v_cmp_ne_u16_e32 vcc, 0, v2
	v_mov_b32_e32 v16, 0
	v_mov_b32_e32 v17, 0
	s_and_saveexec_b64 s[0:1], vcc
	s_cbranch_execz .LBB561_725
; %bb.720:
	s_movk_i32 s2, 0x80
	v_cmp_ne_u16_e32 vcc, s2, v2
	v_bfrev_b32_e32 v17, 1
	s_and_saveexec_b64 s[2:3], vcc
	s_cbranch_execz .LBB561_724
; %bb.721:
	s_movk_i32 s7, 0x7f
	v_and_b32_e32 v10, 0x7f, v2
	v_cmp_ne_u32_e32 vcc, s7, v10
	v_mov_b32_e32 v17, 0x7f800001
	s_and_saveexec_b64 s[8:9], vcc
	s_cbranch_execz .LBB561_723
; %bb.722:
	v_and_b32_e32 v17, 7, v2
	v_ffbh_u32_e32 v18, v17
	v_min_u32_e32 v21, 32, v18
	v_subrev_u32_e32 v18, 28, v21
	v_lshlrev_b64 v[18:19], v18, v[2:3]
	v_lshrrev_b32_e32 v20, 3, v10
	v_sub_u32_e32 v2, 29, v21
	v_and_b32_e32 v18, 7, v18
	v_cmp_gt_u32_e32 vcc, 8, v10
	v_cndmask_b32_e32 v2, v20, v2, vcc
	v_cndmask_b32_e32 v10, v17, v18, vcc
	v_lshlrev_b32_e32 v17, 16, v3
	v_bfrev_b32_e32 v18, 60
	v_lshlrev_b32_e32 v10, 20, v10
	v_and_b32_e32 v17, 0x80000000, v17
	v_lshl_add_u32 v2, v2, 23, v18
	v_or3_b32 v17, v17, v2, v10
.LBB561_723:
	s_or_b64 exec, exec, s[8:9]
.LBB561_724:
	s_or_b64 exec, exec, s[2:3]
.LBB561_725:
	s_or_b64 exec, exec, s[0:1]
	s_movk_i32 s0, 0xff
	v_and_b32_sdwa v10, v3, s0 dst_sel:DWORD dst_unused:UNUSED_PAD src0_sel:WORD_1 src1_sel:DWORD
	v_lshrrev_b32_e32 v2, 16, v3
	v_cmp_ne_u16_e32 vcc, 0, v10
	s_and_saveexec_b64 s[0:1], vcc
	s_cbranch_execz .LBB561_731
; %bb.726:
	s_movk_i32 s2, 0x80
	v_cmp_ne_u16_e32 vcc, s2, v10
	v_bfrev_b32_e32 v16, 1
	s_and_saveexec_b64 s[2:3], vcc
	s_cbranch_execz .LBB561_730
; %bb.727:
	v_bfe_u32 v10, v3, 16, 7
	s_movk_i32 s7, 0x7f
	v_cmp_ne_u32_e32 vcc, s7, v10
	v_mov_b32_e32 v16, 0x7f800001
	s_and_saveexec_b64 s[8:9], vcc
	s_cbranch_execz .LBB561_729
; %bb.728:
	v_and_b32_e32 v16, 7, v2
	v_ffbh_u32_e32 v18, v16
	v_min_u32_e32 v21, 32, v18
	v_subrev_u32_e32 v18, 28, v21
	v_lshlrev_b64 v[18:19], v18, v[2:3]
	v_and_b32_e32 v18, 7, v18
	v_cmp_gt_u32_e32 vcc, 8, v10
	v_lshrrev_b32_e32 v20, 3, v10
	v_sub_u32_e32 v2, 29, v21
	v_cndmask_b32_e32 v10, v16, v18, vcc
	v_mov_b32_e32 v16, 24
	v_cndmask_b32_e32 v2, v20, v2, vcc
	v_lshlrev_b32_sdwa v16, v16, v3 dst_sel:DWORD dst_unused:UNUSED_PAD src0_sel:DWORD src1_sel:WORD_1
	v_bfrev_b32_e32 v18, 60
	v_lshlrev_b32_e32 v10, 20, v10
	v_and_b32_e32 v16, 0x80000000, v16
	v_lshl_add_u32 v2, v2, 23, v18
	v_or3_b32 v16, v16, v2, v10
.LBB561_729:
	s_or_b64 exec, exec, s[8:9]
.LBB561_730:
	s_or_b64 exec, exec, s[2:3]
.LBB561_731:
	s_or_b64 exec, exec, s[0:1]
	s_mov_b32 s0, 0xffffff
	v_cmp_lt_u32_e32 vcc, s0, v3
	v_mov_b32_e32 v10, 0
	v_mov_b32_e32 v18, 0
	s_and_saveexec_b64 s[0:1], vcc
	s_cbranch_execz .LBB561_737
; %bb.732:
	v_lshrrev_b32_e32 v2, 24, v3
	s_movk_i32 s2, 0x80
	v_cmp_ne_u32_e32 vcc, s2, v2
	v_bfrev_b32_e32 v18, 1
	s_and_saveexec_b64 s[2:3], vcc
	s_cbranch_execz .LBB561_736
; %bb.733:
	v_bfe_u32 v3, v3, 24, 7
	s_movk_i32 s7, 0x7f
	v_cmp_ne_u32_e32 vcc, s7, v3
	v_mov_b32_e32 v18, 0x7f800001
	s_and_saveexec_b64 s[8:9], vcc
	s_cbranch_execz .LBB561_735
; %bb.734:
	v_and_b32_e32 v20, 7, v2
	v_ffbh_u32_e32 v18, v20
	v_min_u32_e32 v23, 32, v18
	v_subrev_u32_e32 v18, 28, v23
	v_lshlrev_b64 v[18:19], v18, v[2:3]
	v_lshrrev_b32_e32 v21, 3, v3
	v_sub_u32_e32 v19, 29, v23
	v_and_b32_e32 v18, 7, v18
	v_cmp_gt_u32_e32 vcc, 8, v3
	v_cndmask_b32_e32 v3, v21, v19, vcc
	v_cndmask_b32_e32 v18, v20, v18, vcc
	v_lshlrev_b32_e32 v2, 24, v2
	v_bfrev_b32_e32 v19, 60
	v_lshlrev_b32_e32 v18, 20, v18
	v_and_b32_e32 v2, 0x80000000, v2
	v_lshl_add_u32 v3, v3, 23, v19
	v_or3_b32 v18, v2, v3, v18
.LBB561_735:
	s_or_b64 exec, exec, s[8:9]
.LBB561_736:
	s_or_b64 exec, exec, s[2:3]
.LBB561_737:
	s_or_b64 exec, exec, s[0:1]
	v_cvt_pkrtz_f16_f32 v2, v15, v12
	v_cvt_pkrtz_f16_f32 v3, v11, v14
	ds_read_b128 v[28:31], v22 offset:6144
	v_cmp_ne_u16_sdwa s[2:3], v4, v10 src0_sel:BYTE_0 src1_sel:DWORD
	s_waitcnt lgkmcnt(0)
	v_mfma_f32_16x16x16f16 v[6:9], v[2:3], v[28:29], v[6:9]
	v_cvt_pkrtz_f16_f32 v2, v13, v17
	v_cvt_pkrtz_f16_f32 v3, v16, v18
	s_nop 1
	v_mfma_f32_16x16x16f16 v[6:9], v[2:3], v[30:31], v[6:9]
	s_and_saveexec_b64 s[0:1], s[2:3]
	s_cbranch_execz .LBB561_743
; %bb.738:
	s_movk_i32 s2, 0x80
	v_cmp_ne_u16_sdwa s[8:9], v4, s2 src0_sel:BYTE_0 src1_sel:DWORD
	v_bfrev_b32_e32 v10, 1
	s_and_saveexec_b64 s[2:3], s[8:9]
	s_cbranch_execz .LBB561_742
; %bb.739:
	s_movk_i32 s7, 0x7f
	v_and_b32_e32 v2, 0x7f, v4
	v_cmp_ne_u32_e32 vcc, s7, v2
	v_mov_b32_e32 v10, 0x7f800001
	s_and_saveexec_b64 s[8:9], vcc
	s_cbranch_execz .LBB561_741
; %bb.740:
	v_and_b32_e32 v3, 7, v4
	v_ffbh_u32_e32 v10, v3
	v_min_u32_e32 v13, 32, v10
	v_subrev_u32_e32 v10, 28, v13
	v_lshlrev_b64 v[10:11], v10, v[4:5]
	v_lshrrev_b32_e32 v12, 3, v2
	v_sub_u32_e32 v11, 29, v13
	v_and_b32_e32 v10, 7, v10
	v_cmp_gt_u32_e32 vcc, 8, v2
	v_cndmask_b32_e32 v2, v12, v11, vcc
	v_cndmask_b32_e32 v3, v3, v10, vcc
	v_lshlrev_b32_e32 v10, 24, v4
	v_bfrev_b32_e32 v11, 60
	v_lshlrev_b32_e32 v3, 20, v3
	v_and_b32_e32 v10, 0x80000000, v10
	v_lshl_add_u32 v2, v2, 23, v11
	v_or3_b32 v10, v10, v2, v3
.LBB561_741:
	s_or_b64 exec, exec, s[8:9]
.LBB561_742:
	s_or_b64 exec, exec, s[2:3]
.LBB561_743:
	s_or_b64 exec, exec, s[0:1]
	v_lshrrev_b16_e32 v2, 8, v4
	v_cmp_ne_u16_e32 vcc, 0, v2
	v_mov_b32_e32 v3, 0
	v_mov_b32_e32 v11, 0
	s_and_saveexec_b64 s[0:1], vcc
	s_cbranch_execz .LBB561_749
; %bb.744:
	s_movk_i32 s2, 0x80
	v_cmp_ne_u16_e32 vcc, s2, v2
	v_bfrev_b32_e32 v11, 1
	s_and_saveexec_b64 s[2:3], vcc
	s_cbranch_execz .LBB561_748
; %bb.745:
	s_movk_i32 s7, 0x7f
	v_and_b32_e32 v12, 0x7f, v2
	v_cmp_ne_u32_e32 vcc, s7, v12
	v_mov_b32_e32 v11, 0x7f800001
	s_and_saveexec_b64 s[8:9], vcc
	s_cbranch_execz .LBB561_747
; %bb.746:
	v_and_b32_e32 v11, 7, v2
	v_ffbh_u32_e32 v14, v11
	v_min_u32_e32 v16, 32, v14
	v_subrev_u32_e32 v14, 28, v16
	v_lshlrev_b64 v[14:15], v14, v[2:3]
	v_lshrrev_b32_e32 v13, 3, v12
	v_sub_u32_e32 v2, 29, v16
	v_and_b32_e32 v14, 7, v14
	v_cmp_gt_u32_e32 vcc, 8, v12
	v_cndmask_b32_e32 v2, v13, v2, vcc
	v_cndmask_b32_e32 v11, v11, v14, vcc
	v_lshlrev_b32_e32 v12, 16, v4
	v_bfrev_b32_e32 v13, 60
	v_lshlrev_b32_e32 v11, 20, v11
	v_and_b32_e32 v12, 0x80000000, v12
	v_lshl_add_u32 v2, v2, 23, v13
	v_or3_b32 v11, v12, v2, v11
.LBB561_747:
	s_or_b64 exec, exec, s[8:9]
.LBB561_748:
	s_or_b64 exec, exec, s[2:3]
.LBB561_749:
	s_or_b64 exec, exec, s[0:1]
	s_movk_i32 s0, 0xff
	v_and_b32_sdwa v12, v4, s0 dst_sel:DWORD dst_unused:UNUSED_PAD src0_sel:WORD_1 src1_sel:DWORD
	v_lshrrev_b32_e32 v2, 16, v4
	v_cmp_ne_u16_e32 vcc, 0, v12
	s_and_saveexec_b64 s[0:1], vcc
	s_cbranch_execz .LBB561_755
; %bb.750:
	s_movk_i32 s2, 0x80
	v_cmp_ne_u16_e32 vcc, s2, v12
	v_bfrev_b32_e32 v3, 1
	s_and_saveexec_b64 s[2:3], vcc
	s_cbranch_execz .LBB561_754
; %bb.751:
	v_bfe_u32 v12, v4, 16, 7
	s_movk_i32 s7, 0x7f
	v_cmp_ne_u32_e32 vcc, s7, v12
	v_mov_b32_e32 v3, 0x7f800001
	s_and_saveexec_b64 s[8:9], vcc
	s_cbranch_execz .LBB561_753
; %bb.752:
	v_and_b32_e32 v13, 7, v2
	v_ffbh_u32_e32 v3, v13
	v_min_u32_e32 v15, 32, v3
	v_subrev_u32_e32 v3, 28, v15
	v_lshlrev_b64 v[2:3], v3, v[2:3]
	v_lshrrev_b32_e32 v14, 3, v12
	v_sub_u32_e32 v3, 29, v15
	v_and_b32_e32 v2, 7, v2
	v_cmp_gt_u32_e32 vcc, 8, v12
	v_mov_b32_e32 v12, 24
	v_cndmask_b32_e32 v3, v14, v3, vcc
	v_cndmask_b32_e32 v2, v13, v2, vcc
	v_lshlrev_b32_sdwa v12, v12, v4 dst_sel:DWORD dst_unused:UNUSED_PAD src0_sel:DWORD src1_sel:WORD_1
	v_bfrev_b32_e32 v13, 60
	v_lshlrev_b32_e32 v2, 20, v2
	v_and_b32_e32 v12, 0x80000000, v12
	v_lshl_add_u32 v3, v3, 23, v13
	v_or3_b32 v3, v12, v3, v2
.LBB561_753:
	s_or_b64 exec, exec, s[8:9]
.LBB561_754:
	s_or_b64 exec, exec, s[2:3]
.LBB561_755:
	s_or_b64 exec, exec, s[0:1]
	s_mov_b32 s0, 0xffffff
	v_cmp_lt_u32_e32 vcc, s0, v4
	v_mov_b32_e32 v12, 0
	v_mov_b32_e32 v13, 0
	s_and_saveexec_b64 s[0:1], vcc
	s_cbranch_execz .LBB561_761
; %bb.756:
	v_lshrrev_b32_e32 v2, 24, v4
	s_movk_i32 s2, 0x80
	v_cmp_ne_u32_e32 vcc, s2, v2
	v_bfrev_b32_e32 v13, 1
	s_and_saveexec_b64 s[2:3], vcc
	s_cbranch_execz .LBB561_760
; %bb.757:
	v_bfe_u32 v4, v4, 24, 7
	s_movk_i32 s7, 0x7f
	v_cmp_ne_u32_e32 vcc, s7, v4
	v_mov_b32_e32 v13, 0x7f800001
	s_and_saveexec_b64 s[8:9], vcc
	s_cbranch_execz .LBB561_759
; %bb.758:
	v_and_b32_e32 v13, 7, v2
	v_ffbh_u32_e32 v14, v13
	v_min_u32_e32 v17, 32, v14
	v_subrev_u32_e32 v14, 28, v17
	v_lshlrev_b64 v[14:15], v14, v[2:3]
	v_lshrrev_b32_e32 v16, 3, v4
	v_sub_u32_e32 v15, 29, v17
	v_and_b32_e32 v14, 7, v14
	v_cmp_gt_u32_e32 vcc, 8, v4
	v_cndmask_b32_e32 v4, v16, v15, vcc
	v_cndmask_b32_e32 v13, v13, v14, vcc
	v_lshlrev_b32_e32 v2, 24, v2
	v_bfrev_b32_e32 v14, 60
	v_lshlrev_b32_e32 v13, 20, v13
	v_and_b32_e32 v2, 0x80000000, v2
	v_lshl_add_u32 v4, v4, 23, v14
	v_or3_b32 v13, v2, v4, v13
.LBB561_759:
	s_or_b64 exec, exec, s[8:9]
.LBB561_760:
	s_or_b64 exec, exec, s[2:3]
.LBB561_761:
	s_or_b64 exec, exec, s[0:1]
	v_cmp_ne_u16_sdwa s[2:3], v5, v12 src0_sel:BYTE_0 src1_sel:DWORD
	s_and_saveexec_b64 s[0:1], s[2:3]
	s_cbranch_execz .LBB561_767
; %bb.762:
	s_movk_i32 s2, 0x80
	v_cmp_ne_u16_sdwa s[8:9], v5, s2 src0_sel:BYTE_0 src1_sel:DWORD
	v_bfrev_b32_e32 v12, 1
	s_and_saveexec_b64 s[2:3], s[8:9]
	s_cbranch_execz .LBB561_766
; %bb.763:
	s_movk_i32 s7, 0x7f
	v_and_b32_e32 v2, 0x7f, v5
	v_cmp_ne_u32_e32 vcc, s7, v2
	v_mov_b32_e32 v12, 0x7f800001
	s_and_saveexec_b64 s[8:9], vcc
	s_cbranch_execz .LBB561_765
; %bb.764:
	v_and_b32_e32 v12, 7, v5
	v_ffbh_u32_e32 v14, v12
	v_min_u32_e32 v17, 32, v14
	v_mov_b32_e32 v4, v5
	v_subrev_u32_e32 v14, 28, v17
	v_lshlrev_b64 v[14:15], v14, v[4:5]
	v_lshrrev_b32_e32 v16, 3, v2
	v_sub_u32_e32 v4, 29, v17
	v_and_b32_e32 v14, 7, v14
	v_cmp_gt_u32_e32 vcc, 8, v2
	v_cndmask_b32_e32 v2, v16, v4, vcc
	v_cndmask_b32_e32 v4, v12, v14, vcc
	v_lshlrev_b32_e32 v12, 24, v5
	v_bfrev_b32_e32 v14, 60
	v_lshlrev_b32_e32 v4, 20, v4
	v_and_b32_e32 v12, 0x80000000, v12
	v_lshl_add_u32 v2, v2, 23, v14
	v_or3_b32 v12, v12, v2, v4
.LBB561_765:
	s_or_b64 exec, exec, s[8:9]
.LBB561_766:
	s_or_b64 exec, exec, s[2:3]
.LBB561_767:
	s_or_b64 exec, exec, s[0:1]
	v_lshrrev_b16_e32 v2, 8, v5
	v_cmp_ne_u16_e32 vcc, 0, v2
	v_mov_b32_e32 v4, 0
	v_mov_b32_e32 v14, 0
	s_and_saveexec_b64 s[0:1], vcc
	s_cbranch_execz .LBB561_773
; %bb.768:
	s_movk_i32 s2, 0x80
	v_cmp_ne_u16_e32 vcc, s2, v2
	v_bfrev_b32_e32 v14, 1
	s_and_saveexec_b64 s[2:3], vcc
	s_cbranch_execz .LBB561_772
; %bb.769:
	s_movk_i32 s7, 0x7f
	v_and_b32_e32 v15, 0x7f, v2
	v_cmp_ne_u32_e32 vcc, s7, v15
	v_mov_b32_e32 v14, 0x7f800001
	s_and_saveexec_b64 s[8:9], vcc
	s_cbranch_execz .LBB561_771
; %bb.770:
	v_and_b32_e32 v14, 7, v2
	v_ffbh_u32_e32 v16, v14
	v_min_u32_e32 v19, 32, v16
	v_subrev_u32_e32 v16, 28, v19
	v_lshlrev_b64 v[16:17], v16, v[2:3]
	v_lshrrev_b32_e32 v18, 3, v15
	v_sub_u32_e32 v2, 29, v19
	v_and_b32_e32 v16, 7, v16
	v_cmp_gt_u32_e32 vcc, 8, v15
	v_cndmask_b32_e32 v2, v18, v2, vcc
	v_cndmask_b32_e32 v14, v14, v16, vcc
	v_lshlrev_b32_e32 v15, 16, v5
	v_bfrev_b32_e32 v16, 60
	v_lshlrev_b32_e32 v14, 20, v14
	v_and_b32_e32 v15, 0x80000000, v15
	v_lshl_add_u32 v2, v2, 23, v16
	v_or3_b32 v14, v15, v2, v14
.LBB561_771:
	s_or_b64 exec, exec, s[8:9]
.LBB561_772:
	s_or_b64 exec, exec, s[2:3]
.LBB561_773:
	s_or_b64 exec, exec, s[0:1]
	s_movk_i32 s0, 0xff
	v_and_b32_sdwa v15, v5, s0 dst_sel:DWORD dst_unused:UNUSED_PAD src0_sel:WORD_1 src1_sel:DWORD
	v_lshrrev_b32_e32 v2, 16, v5
	v_cmp_ne_u16_e32 vcc, 0, v15
	s_and_saveexec_b64 s[0:1], vcc
	s_cbranch_execz .LBB561_779
; %bb.774:
	s_movk_i32 s2, 0x80
	v_cmp_ne_u16_e32 vcc, s2, v15
	v_bfrev_b32_e32 v4, 1
	s_and_saveexec_b64 s[2:3], vcc
	s_cbranch_execz .LBB561_778
; %bb.775:
	v_bfe_u32 v15, v5, 16, 7
	s_movk_i32 s7, 0x7f
	v_cmp_ne_u32_e32 vcc, s7, v15
	v_mov_b32_e32 v4, 0x7f800001
	s_and_saveexec_b64 s[8:9], vcc
	s_cbranch_execz .LBB561_777
; %bb.776:
	v_and_b32_e32 v4, 7, v2
	v_ffbh_u32_e32 v16, v4
	v_min_u32_e32 v19, 32, v16
	v_subrev_u32_e32 v16, 28, v19
	v_lshlrev_b64 v[16:17], v16, v[2:3]
	v_lshrrev_b32_e32 v18, 3, v15
	v_sub_u32_e32 v2, 29, v19
	v_and_b32_e32 v16, 7, v16
	v_cmp_gt_u32_e32 vcc, 8, v15
	v_mov_b32_e32 v15, 24
	v_cndmask_b32_e32 v2, v18, v2, vcc
	v_cndmask_b32_e32 v4, v4, v16, vcc
	v_lshlrev_b32_sdwa v15, v15, v5 dst_sel:DWORD dst_unused:UNUSED_PAD src0_sel:DWORD src1_sel:WORD_1
	v_bfrev_b32_e32 v16, 60
	v_lshlrev_b32_e32 v4, 20, v4
	v_and_b32_e32 v15, 0x80000000, v15
	v_lshl_add_u32 v2, v2, 23, v16
	v_or3_b32 v4, v15, v2, v4
.LBB561_777:
	s_or_b64 exec, exec, s[8:9]
.LBB561_778:
	s_or_b64 exec, exec, s[2:3]
.LBB561_779:
	s_or_b64 exec, exec, s[0:1]
	s_mov_b32 s0, 0xffffff
	v_cmp_lt_u32_e32 vcc, s0, v5
	v_mov_b32_e32 v15, 0
	s_and_saveexec_b64 s[0:1], vcc
	s_cbranch_execz .LBB561_785
; %bb.780:
	v_lshrrev_b32_e32 v2, 24, v5
	s_movk_i32 s2, 0x80
	v_cmp_ne_u32_e32 vcc, s2, v2
	v_bfrev_b32_e32 v15, 1
	s_and_saveexec_b64 s[2:3], vcc
	s_cbranch_execz .LBB561_784
; %bb.781:
	v_bfe_u32 v5, v5, 24, 7
	s_movk_i32 s7, 0x7f
	v_cmp_ne_u32_e32 vcc, s7, v5
	v_mov_b32_e32 v15, 0x7f800001
	s_and_saveexec_b64 s[8:9], vcc
	s_cbranch_execz .LBB561_783
; %bb.782:
	v_and_b32_e32 v15, 7, v2
	v_ffbh_u32_e32 v16, v15
	v_min_u32_e32 v19, 32, v16
	v_subrev_u32_e32 v16, 28, v19
	v_lshlrev_b64 v[16:17], v16, v[2:3]
	v_lshrrev_b32_e32 v18, 3, v5
	v_sub_u32_e32 v17, 29, v19
	v_and_b32_e32 v16, 7, v16
	v_cmp_gt_u32_e32 vcc, 8, v5
	v_cndmask_b32_e32 v5, v18, v17, vcc
	v_cndmask_b32_e32 v15, v15, v16, vcc
	v_lshlrev_b32_e32 v2, 24, v2
	v_bfrev_b32_e32 v16, 60
	v_lshlrev_b32_e32 v15, 20, v15
	v_and_b32_e32 v2, 0x80000000, v2
	v_lshl_add_u32 v5, v5, 23, v16
	v_or3_b32 v15, v2, v5, v15
.LBB561_783:
	s_or_b64 exec, exec, s[8:9]
.LBB561_784:
	s_or_b64 exec, exec, s[2:3]
.LBB561_785:
	s_or_b64 exec, exec, s[0:1]
	v_cvt_pkrtz_f16_f32 v2, v10, v11
	v_cvt_pkrtz_f16_f32 v3, v3, v13
	ds_read_b128 v[16:19], v22 offset:6160
	s_load_dword s0, s[42:43], 0x0
	s_waitcnt lgkmcnt(0)
	v_mfma_f32_16x16x16f16 v[6:9], v[2:3], v[16:17], v[6:9]
	v_cvt_pkrtz_f16_f32 v2, v12, v14
	v_cvt_pkrtz_f16_f32 v3, v4, v15
	s_barrier
	s_nop 0
	v_mfma_f32_16x16x16f16 v[2:5], v[2:3], v[18:19], v[6:9]
	s_nop 7
	s_nop 2
	v_pk_mul_f32 v[4:5], v[4:5], s[0:1] op_sel_hi:[1,0]
	v_pk_mul_f32 v[2:3], v[2:3], s[0:1] op_sel_hi:[1,0]
	v_cvt_f16_f32_e32 v2, v2
	v_cvt_f16_f32_e32 v3, v3
	;; [unrolled: 1-line block ×4, first 2 shown]
	v_pack_b32_f16 v2, v2, v3
	v_pack_b32_f16 v3, v4, v5
	ds_write_b64 v26, v[2:3]
	s_waitcnt lgkmcnt(0)
	s_barrier
	s_and_saveexec_b64 s[0:1], s[44:45]
	s_cbranch_execz .LBB561_787
; %bb.786:
	s_load_dwordx2 s[0:1], s[4:5], 0x68
	s_lshl_b32 s4, s46, 6
	s_mul_i32 s2, s10, s6
	s_mul_hi_u32 s3, s2, s4
	s_mul_i32 s2, s2, s4
	s_lshl_b64 s[2:3], s[2:3], 1
	s_waitcnt lgkmcnt(0)
	s_add_u32 s2, s0, s2
	v_lshlrev_b32_e32 v0, 10, v0
	s_addc_u32 s3, s1, s3
	s_lshl_b32 s0, s22, 6
	s_mov_b32 s1, 0
	v_and_b32_e32 v0, 0x1800, v0
	v_and_b32_e32 v2, 16, v48
	s_lshl_b64 s[0:1], s[0:1], 1
	v_or3_b32 v0, v0, v47, v2
	s_add_u32 s2, s2, s0
	ds_read_b128 v[2:5], v0
	s_addc_u32 s3, s3, s1
	v_mad_u64_u32 v[0:1], s[0:1], s4, v1, 0
	v_lshlrev_b64 v[0:1], 1, v[0:1]
	v_mov_b32_e32 v6, s3
	v_add_co_u32_e32 v0, vcc, s2, v0
	v_addc_co_u32_e32 v1, vcc, v6, v1, vcc
	v_add_co_u32_e32 v0, vcc, v0, v46
	v_addc_co_u32_e32 v1, vcc, 0, v1, vcc
	s_waitcnt lgkmcnt(0)
	global_store_dwordx4 v[0:1], v[2:5], off
.LBB561_787:
	s_endpgm
	.section	.rodata,"a",@progbits
	.p2align	6, 0x0
	.amdhsa_kernel _Z39paged_attention_ll4mi_QKV_mfma16_kernelIDF16_hLN4vllm18Fp8KVCacheDataTypeE1EDF16_Li16ELi64ELi256ELb1ELi4EL8MFMAType0EEvPKT_PKT0_S8_ifPKiSA_SA_iPKfiiiPfSD_PS3_PT2_iSC_SC_
		.amdhsa_group_segment_fixed_size 8192
		.amdhsa_private_segment_fixed_size 0
		.amdhsa_kernarg_size 400
		.amdhsa_user_sgpr_count 6
		.amdhsa_user_sgpr_private_segment_buffer 1
		.amdhsa_user_sgpr_dispatch_ptr 0
		.amdhsa_user_sgpr_queue_ptr 0
		.amdhsa_user_sgpr_kernarg_segment_ptr 1
		.amdhsa_user_sgpr_dispatch_id 0
		.amdhsa_user_sgpr_flat_scratch_init 0
		.amdhsa_user_sgpr_kernarg_preload_length 0
		.amdhsa_user_sgpr_kernarg_preload_offset 0
		.amdhsa_user_sgpr_private_segment_size 0
		.amdhsa_uses_dynamic_stack 0
		.amdhsa_system_sgpr_private_segment_wavefront_offset 0
		.amdhsa_system_sgpr_workgroup_id_x 1
		.amdhsa_system_sgpr_workgroup_id_y 1
		.amdhsa_system_sgpr_workgroup_id_z 1
		.amdhsa_system_sgpr_workgroup_info 0
		.amdhsa_system_vgpr_workitem_id 0
		.amdhsa_next_free_vgpr 64
		.amdhsa_next_free_sgpr 48
		.amdhsa_accum_offset 64
		.amdhsa_reserve_vcc 1
		.amdhsa_reserve_flat_scratch 0
		.amdhsa_float_round_mode_32 0
		.amdhsa_float_round_mode_16_64 0
		.amdhsa_float_denorm_mode_32 3
		.amdhsa_float_denorm_mode_16_64 3
		.amdhsa_dx10_clamp 1
		.amdhsa_ieee_mode 1
		.amdhsa_fp16_overflow 0
		.amdhsa_tg_split 0
		.amdhsa_exception_fp_ieee_invalid_op 0
		.amdhsa_exception_fp_denorm_src 0
		.amdhsa_exception_fp_ieee_div_zero 0
		.amdhsa_exception_fp_ieee_overflow 0
		.amdhsa_exception_fp_ieee_underflow 0
		.amdhsa_exception_fp_ieee_inexact 0
		.amdhsa_exception_int_div_zero 0
	.end_amdhsa_kernel
	.section	.text._Z39paged_attention_ll4mi_QKV_mfma16_kernelIDF16_hLN4vllm18Fp8KVCacheDataTypeE1EDF16_Li16ELi64ELi256ELb1ELi4EL8MFMAType0EEvPKT_PKT0_S8_ifPKiSA_SA_iPKfiiiPfSD_PS3_PT2_iSC_SC_,"axG",@progbits,_Z39paged_attention_ll4mi_QKV_mfma16_kernelIDF16_hLN4vllm18Fp8KVCacheDataTypeE1EDF16_Li16ELi64ELi256ELb1ELi4EL8MFMAType0EEvPKT_PKT0_S8_ifPKiSA_SA_iPKfiiiPfSD_PS3_PT2_iSC_SC_,comdat
.Lfunc_end561:
	.size	_Z39paged_attention_ll4mi_QKV_mfma16_kernelIDF16_hLN4vllm18Fp8KVCacheDataTypeE1EDF16_Li16ELi64ELi256ELb1ELi4EL8MFMAType0EEvPKT_PKT0_S8_ifPKiSA_SA_iPKfiiiPfSD_PS3_PT2_iSC_SC_, .Lfunc_end561-_Z39paged_attention_ll4mi_QKV_mfma16_kernelIDF16_hLN4vllm18Fp8KVCacheDataTypeE1EDF16_Li16ELi64ELi256ELb1ELi4EL8MFMAType0EEvPKT_PKT0_S8_ifPKiSA_SA_iPKfiiiPfSD_PS3_PT2_iSC_SC_
                                        ; -- End function
	.section	.AMDGPU.csdata,"",@progbits
; Kernel info:
; codeLenInByte = 27148
; NumSgprs: 52
; NumVgprs: 64
; NumAgprs: 0
; TotalNumVgprs: 64
; ScratchSize: 0
; MemoryBound: 0
; FloatMode: 240
; IeeeMode: 1
; LDSByteSize: 8192 bytes/workgroup (compile time only)
; SGPRBlocks: 6
; VGPRBlocks: 7
; NumSGPRsForWavesPerEU: 52
; NumVGPRsForWavesPerEU: 64
; AccumOffset: 64
; Occupancy: 8
; WaveLimiterHint : 1
; COMPUTE_PGM_RSRC2:SCRATCH_EN: 0
; COMPUTE_PGM_RSRC2:USER_SGPR: 6
; COMPUTE_PGM_RSRC2:TRAP_HANDLER: 0
; COMPUTE_PGM_RSRC2:TGID_X_EN: 1
; COMPUTE_PGM_RSRC2:TGID_Y_EN: 1
; COMPUTE_PGM_RSRC2:TGID_Z_EN: 1
; COMPUTE_PGM_RSRC2:TIDIG_COMP_CNT: 0
; COMPUTE_PGM_RSRC3_GFX90A:ACCUM_OFFSET: 15
; COMPUTE_PGM_RSRC3_GFX90A:TG_SPLIT: 0
	.section	.text._Z39paged_attention_ll4mi_QKV_mfma16_kernelIDF16_hLN4vllm18Fp8KVCacheDataTypeE1EDF16_Li16ELi64ELi256ELb0ELi5EL8MFMAType0EEvPKT_PKT0_S8_ifPKiSA_SA_iPKfiiiPfSD_PS3_PT2_iSC_SC_,"axG",@progbits,_Z39paged_attention_ll4mi_QKV_mfma16_kernelIDF16_hLN4vllm18Fp8KVCacheDataTypeE1EDF16_Li16ELi64ELi256ELb0ELi5EL8MFMAType0EEvPKT_PKT0_S8_ifPKiSA_SA_iPKfiiiPfSD_PS3_PT2_iSC_SC_,comdat
	.protected	_Z39paged_attention_ll4mi_QKV_mfma16_kernelIDF16_hLN4vllm18Fp8KVCacheDataTypeE1EDF16_Li16ELi64ELi256ELb0ELi5EL8MFMAType0EEvPKT_PKT0_S8_ifPKiSA_SA_iPKfiiiPfSD_PS3_PT2_iSC_SC_ ; -- Begin function _Z39paged_attention_ll4mi_QKV_mfma16_kernelIDF16_hLN4vllm18Fp8KVCacheDataTypeE1EDF16_Li16ELi64ELi256ELb0ELi5EL8MFMAType0EEvPKT_PKT0_S8_ifPKiSA_SA_iPKfiiiPfSD_PS3_PT2_iSC_SC_
	.globl	_Z39paged_attention_ll4mi_QKV_mfma16_kernelIDF16_hLN4vllm18Fp8KVCacheDataTypeE1EDF16_Li16ELi64ELi256ELb0ELi5EL8MFMAType0EEvPKT_PKT0_S8_ifPKiSA_SA_iPKfiiiPfSD_PS3_PT2_iSC_SC_
	.p2align	8
	.type	_Z39paged_attention_ll4mi_QKV_mfma16_kernelIDF16_hLN4vllm18Fp8KVCacheDataTypeE1EDF16_Li16ELi64ELi256ELb0ELi5EL8MFMAType0EEvPKT_PKT0_S8_ifPKiSA_SA_iPKfiiiPfSD_PS3_PT2_iSC_SC_,@function
_Z39paged_attention_ll4mi_QKV_mfma16_kernelIDF16_hLN4vllm18Fp8KVCacheDataTypeE1EDF16_Li16ELi64ELi256ELb0ELi5EL8MFMAType0EEvPKT_PKT0_S8_ifPKiSA_SA_iPKfiiiPfSD_PS3_PT2_iSC_SC_: ; @_Z39paged_attention_ll4mi_QKV_mfma16_kernelIDF16_hLN4vllm18Fp8KVCacheDataTypeE1EDF16_Li16ELi64ELi256ELb0ELi5EL8MFMAType0EEvPKT_PKT0_S8_ifPKiSA_SA_iPKfiiiPfSD_PS3_PT2_iSC_SC_
; %bb.0:
	s_load_dwordx2 s[0:1], s[4:5], 0x30
	s_mov_b32 s24, s7
	s_mov_b64 s[10:11], 0
	s_waitcnt lgkmcnt(0)
	s_cmp_lg_u64 s[0:1], 0
	s_cselect_b64 s[2:3], -1, 0
	s_and_b64 vcc, exec, s[2:3]
	s_cbranch_vccz .LBB562_7
; %bb.1:
	s_add_i32 s12, s6, 1
	s_mov_b32 s13, 0
	s_lshl_b64 s[14:15], s[12:13], 2
	s_add_u32 s14, s0, s14
	s_mov_b32 s7, s13
	s_addc_u32 s15, s1, s15
	s_lshl_b64 s[12:13], s[6:7], 2
	s_add_u32 s12, s0, s12
	s_addc_u32 s13, s1, s13
	s_load_dword s9, s[14:15], 0x0
	s_load_dword s16, s[12:13], 0x0
	s_waitcnt lgkmcnt(0)
	s_sub_i32 s9, s9, s16
	s_cmp_eq_u32 s9, 1
	s_cselect_b64 s[12:13], -1, 0
	s_andn2_b64 vcc, exec, s[10:11]
	s_cbranch_vccnz .LBB562_3
.LBB562_2:
	s_mov_b32 s7, 0
	s_mov_b64 s[12:13], -1
.LBB562_3:
	s_andn2_b64 vcc, exec, s[12:13]
	s_cbranch_vccnz .LBB562_786
; %bb.4:
	s_load_dwordx2 s[12:13], s[4:5], 0x28
	s_lshl_b64 s[10:11], s[6:7], 2
	s_waitcnt lgkmcnt(0)
	s_add_u32 s12, s12, s10
	s_addc_u32 s13, s13, s11
	s_load_dword s33, s[12:13], 0x0
	s_lshl_b32 s20, s24, 8
	s_waitcnt lgkmcnt(0)
	s_cmp_ge_i32 s20, s33
	s_cbranch_scc1 .LBB562_786
; %bb.5:
	s_add_i32 s14, s33, 15
	s_load_dwordx2 s[12:13], s[4:5], 0x20
	s_load_dword s9, s[4:5], 0x38
	s_ashr_i32 s15, s14, 31
	v_and_b32_e32 v1, 0xcf, v0
	s_lshr_b32 s15, s15, 28
	v_add_u32_e32 v1, s20, v1
	s_add_i32 s14, s14, s15
	v_ashrrev_i32_e32 v2, 31, v1
	s_ashr_i32 s22, s14, 4
	v_lshrrev_b32_e32 v4, 28, v2
	s_add_i32 s22, s22, -1
	v_add_u32_e32 v2, v1, v4
	s_waitcnt lgkmcnt(0)
	s_mul_i32 s14, s6, s9
	s_mov_b32 s15, 0
	v_ashrrev_i32_e32 v2, 4, v2
	v_mov_b32_e32 v5, s22
	v_cmp_gt_i32_e32 vcc, s33, v1
	s_lshl_b64 s[14:15], s[14:15], 2
	v_cndmask_b32_e32 v2, v5, v2, vcc
	s_add_u32 s9, s12, s14
	v_ashrrev_i32_e32 v3, 31, v2
	s_addc_u32 s21, s13, s15
	v_lshlrev_b64 v[2:3], 2, v[2:3]
	v_mov_b32_e32 v7, s21
	v_add_co_u32_e32 v6, vcc, s9, v2
	v_or_b32_e32 v2, 16, v1
	v_addc_co_u32_e32 v7, vcc, v7, v3, vcc
	v_add_u32_e32 v3, v2, v4
	v_ashrrev_i32_e32 v3, 4, v3
	v_cmp_gt_i32_e32 vcc, s33, v2
	v_cndmask_b32_e32 v2, v5, v3, vcc
	v_ashrrev_i32_e32 v3, 31, v2
	v_lshlrev_b64 v[2:3], 2, v[2:3]
	v_mov_b32_e32 v9, s21
	v_add_co_u32_e32 v8, vcc, s9, v2
	v_or_b32_e32 v2, 32, v1
	v_addc_co_u32_e32 v9, vcc, v9, v3, vcc
	v_add_u32_e32 v3, v2, v4
	v_ashrrev_i32_e32 v3, 4, v3
	v_cmp_gt_i32_e32 vcc, s33, v2
	v_cndmask_b32_e32 v2, v5, v3, vcc
	v_ashrrev_i32_e32 v3, 31, v2
	;; [unrolled: 10-line block ×3, first 2 shown]
	v_lshlrev_b64 v[2:3], 2, v[2:3]
	v_mov_b32_e32 v1, s21
	v_add_co_u32_e32 v12, vcc, s9, v2
	v_addc_co_u32_e32 v13, vcc, v1, v3, vcc
	global_load_dword v4, v[6:7], off
	global_load_dword v5, v[8:9], off
	;; [unrolled: 1-line block ×4, first 2 shown]
	s_load_dwordx4 s[12:15], s[4:5], 0x8
	s_andn2_b64 vcc, exec, s[2:3]
	s_cbranch_vccnz .LBB562_8
; %bb.6:
	s_add_u32 s0, s0, s10
	s_addc_u32 s1, s1, s11
	s_load_dword s10, s[0:1], 0x0
	s_branch .LBB562_9
.LBB562_7:
	s_mov_b64 s[12:13], 0
	s_branch .LBB562_2
.LBB562_8:
	s_mov_b32 s10, s6
.LBB562_9:
	s_load_dwordx4 s[16:19], s[4:5], 0x48
	v_lshrrev_b32_e32 v49, 6, v0
	v_bfe_u32 v1, v0, 4, 2
	v_lshl_or_b32 v6, v49, 2, v1
	v_and_b32_e32 v48, 15, v0
	v_lshlrev_b32_e32 v7, 3, v48
	v_cmp_gt_u32_e32 vcc, 5, v6
	v_cmp_gt_u32_e64 s[0:1], 8, v48
	s_mul_i32 s25, s8, 5
	s_and_b64 s[26:27], s[0:1], vcc
	v_lshlrev_b32_e32 v46, 1, v7
	v_lshlrev_b32_e32 v47, 4, v0
	s_and_saveexec_b64 s[2:3], s[26:27]
	s_cbranch_execz .LBB562_11
; %bb.10:
	s_load_dwordx2 s[26:27], s[4:5], 0x0
	s_waitcnt lgkmcnt(0)
	s_ashr_i32 s11, s16, 31
	s_mul_hi_u32 s19, s10, s16
	s_mul_i32 s11, s10, s11
	s_add_i32 s11, s19, s11
	s_mul_i32 s10, s10, s16
	s_lshl_b64 s[10:11], s[10:11], 1
	v_add_lshl_u32 v8, v6, s25, 6
	s_add_u32 s10, s26, s10
	v_ashrrev_i32_e32 v9, 31, v8
	s_addc_u32 s11, s27, s11
	v_lshlrev_b64 v[8:9], 1, v[8:9]
	v_mov_b32_e32 v7, s11
	v_add_co_u32_e32 v8, vcc, s10, v8
	v_addc_co_u32_e32 v7, vcc, v7, v9, vcc
	v_add_co_u32_e32 v8, vcc, v8, v46
	v_addc_co_u32_e32 v9, vcc, 0, v7, vcc
	global_load_dwordx4 v[8:11], v[8:9], off
	v_lshlrev_b32_e32 v12, 8, v48
	v_lshlrev_b32_e32 v6, 5, v6
	v_and_b32_e32 v7, 16, v47
	v_and_b32_e32 v12, 0xe00, v12
	v_or3_b32 v6, v12, v6, v7
	s_waitcnt vmcnt(0)
	ds_write_b128 v6, v[8:11]
.LBB562_11:
	s_or_b64 exec, exec, s[2:3]
	v_and_b32_e32 v12, 48, v0
	v_or_b32_e32 v13, s20, v12
	v_ashrrev_i32_e32 v6, 4, v13
	v_mov_b32_e32 v14, s22
	v_cmp_gt_i32_e32 vcc, s33, v13
	v_cndmask_b32_e32 v6, v14, v6, vcc
	v_ashrrev_i32_e32 v7, 31, v6
	v_lshlrev_b64 v[6:7], 2, v[6:7]
	v_mov_b32_e32 v8, s21
	v_add_co_u32_e32 v6, vcc, s9, v6
	v_addc_co_u32_e32 v7, vcc, v8, v7, vcc
	v_or_b32_e32 v8, 64, v13
	v_ashrrev_i32_e32 v9, 4, v8
	v_cmp_gt_i32_e32 vcc, s33, v8
	v_cndmask_b32_e32 v8, v14, v9, vcc
	v_ashrrev_i32_e32 v9, 31, v8
	v_lshlrev_b64 v[8:9], 2, v[8:9]
	v_mov_b32_e32 v10, s21
	v_add_co_u32_e32 v8, vcc, s9, v8
	v_addc_co_u32_e32 v9, vcc, v10, v9, vcc
	v_or_b32_e32 v10, 0x80, v13
	v_ashrrev_i32_e32 v11, 4, v10
	v_cmp_gt_i32_e32 vcc, s33, v10
	v_cndmask_b32_e32 v10, v14, v11, vcc
	v_ashrrev_i32_e32 v11, 31, v10
	v_lshlrev_b64 v[10:11], 2, v[10:11]
	v_mov_b32_e32 v15, s21
	v_add_co_u32_e32 v10, vcc, s9, v10
	s_load_dwordx2 s[44:45], s[4:5], 0x94
	s_load_dwordx4 s[40:43], s[4:5], 0x80
	s_waitcnt lgkmcnt(0)
	s_barrier
	v_addc_co_u32_e32 v11, vcc, v15, v11, vcc
	global_load_dword v15, v[6:7], off
	global_load_dword v16, v[8:9], off
	global_load_dword v18, v[10:11], off
	v_or_b32_e32 v6, 0xc0, v13
	v_ashrrev_i32_e32 v7, 4, v6
	v_cmp_gt_i32_e32 vcc, s33, v6
	v_cndmask_b32_e32 v6, v14, v7, vcc
	v_ashrrev_i32_e32 v7, 31, v6
	v_lshlrev_b64 v[6:7], 2, v[6:7]
	v_mov_b32_e32 v8, s21
	v_add_co_u32_e32 v6, vcc, s9, v6
	v_addc_co_u32_e32 v7, vcc, v8, v7, vcc
	global_load_dword v20, v[6:7], off
	s_mul_i32 s8, s8, s18
	s_add_u32 s2, s12, s8
	s_addc_u32 s3, s13, 0
	v_and_b32_e32 v6, 0xf0, v47
	v_mov_b32_e32 v7, s3
	v_add_co_u32_e32 v6, vcc, s2, v6
	v_addc_co_u32_e32 v7, vcc, 0, v7, vcc
	v_lshlrev_b32_e32 v8, 4, v12
	v_add_co_u32_e32 v6, vcc, v6, v8
	v_addc_co_u32_e32 v7, vcc, 0, v7, vcc
	s_waitcnt vmcnt(7)
	v_mad_i64_i32 v[8:9], s[2:3], v4, s17, v[6:7]
	s_waitcnt vmcnt(6)
	v_mad_i64_i32 v[4:5], s[2:3], v5, s17, v[6:7]
	global_load_dwordx4 v[30:33], v[8:9], off
	global_load_dwordx4 v[38:41], v[4:5], off
	s_waitcnt vmcnt(7)
	v_mad_i64_i32 v[4:5], s[2:3], v2, s17, v[6:7]
	s_waitcnt vmcnt(6)
	v_mad_i64_i32 v[2:3], s[2:3], v3, s17, v[6:7]
	global_load_dwordx4 v[34:37], v[4:5], off
	global_load_dwordx4 v[22:25], v[2:3], off
	s_add_u32 s2, s14, s8
	v_lshlrev_b32_e32 v2, 4, v48
	s_addc_u32 s3, s15, 0
	v_lshl_or_b32 v2, v49, 8, v2
	v_mov_b32_e32 v3, s3
	v_add_co_u32_e32 v2, vcc, s2, v2
	v_addc_co_u32_e32 v3, vcc, 0, v3, vcc
	v_mov_b32_e32 v43, 0
	s_movk_i32 s8, 0x80
	v_mov_b32_e32 v44, 0
	s_waitcnt vmcnt(7)
	v_mad_i64_i32 v[4:5], s[2:3], v15, s17, v[2:3]
	s_waitcnt vmcnt(6)
	v_mad_i64_i32 v[6:7], s[2:3], v16, s17, v[2:3]
	;; [unrolled: 2-line block ×3, first 2 shown]
	global_load_dwordx4 v[14:17], v[4:5], off
	global_load_dwordx4 v[10:13], v[6:7], off
	s_waitcnt vmcnt(6)
	v_mad_i64_i32 v[20:21], s[2:3], v20, s17, v[2:3]
	global_load_dwordx4 v[6:9], v[18:19], off
	global_load_dwordx4 v[2:5], v[20:21], off
	v_mul_lo_u16_e32 v18, 52, v48
	v_mov_b32_e32 v19, 5
	v_mul_lo_u16_sdwa v18, v18, v19 dst_sel:DWORD dst_unused:UNUSED_PAD src0_sel:BYTE_1 src1_sel:DWORD
	v_sub_u16_e32 v18, v48, v18
	v_lshlrev_b32_sdwa v18, v19, v18 dst_sel:DWORD dst_unused:UNUSED_PAD src0_sel:DWORD src1_sel:BYTE_0
	v_lshl_add_u32 v18, v1, 9, v18
	ds_read_b128 v[26:29], v18
	ds_read_b128 v[18:21], v18 offset:16
	s_load_dword s12, s[40:41], 0x0
	s_waitcnt vmcnt(7)
	v_cmp_ne_u16_sdwa s[10:11], v30, v43 src0_sel:BYTE_0 src1_sel:DWORD
	s_and_saveexec_b64 s[2:3], s[10:11]
	s_cbranch_execz .LBB562_17
; %bb.12:
	v_cmp_ne_u16_sdwa s[10:11], v30, s8 src0_sel:BYTE_0 src1_sel:DWORD
	v_bfrev_b32_e32 v44, 1
	s_and_saveexec_b64 s[8:9], s[10:11]
	s_cbranch_execz .LBB562_16
; %bb.13:
	s_movk_i32 s10, 0x7f
	v_and_b32_e32 v42, 0x7f, v30
	v_cmp_ne_u32_e32 vcc, s10, v42
	v_mov_b32_e32 v44, 0x7f800001
	s_and_saveexec_b64 s[10:11], vcc
	s_cbranch_execz .LBB562_15
; %bb.14:
	v_and_b32_e32 v50, 7, v30
	v_ffbh_u32_e32 v44, v50
	v_min_u32_e32 v52, 32, v44
	v_subrev_u32_e32 v44, 28, v52
	v_lshlrev_b64 v[44:45], v44, v[30:31]
	v_lshrrev_b32_e32 v51, 3, v42
	v_sub_u32_e32 v45, 29, v52
	v_and_b32_e32 v44, 7, v44
	v_cmp_gt_u32_e32 vcc, 8, v42
	v_cndmask_b32_e32 v42, v51, v45, vcc
	v_cndmask_b32_e32 v44, v50, v44, vcc
	v_lshlrev_b32_e32 v45, 24, v30
	v_bfrev_b32_e32 v50, 60
	v_lshlrev_b32_e32 v44, 20, v44
	v_and_b32_e32 v45, 0x80000000, v45
	v_lshl_add_u32 v42, v42, 23, v50
	v_or3_b32 v44, v45, v42, v44
.LBB562_15:
	s_or_b64 exec, exec, s[10:11]
.LBB562_16:
	s_or_b64 exec, exec, s[8:9]
.LBB562_17:
	s_or_b64 exec, exec, s[2:3]
	v_lshrrev_b16_e32 v42, 8, v30
	v_cmp_ne_u16_e32 vcc, 0, v42
	s_and_saveexec_b64 s[2:3], vcc
	s_cbranch_execz .LBB562_23
; %bb.18:
	s_movk_i32 s8, 0x80
	v_cmp_ne_u16_e32 vcc, s8, v42
	v_bfrev_b32_e32 v43, 1
	s_and_saveexec_b64 s[8:9], vcc
	s_cbranch_execz .LBB562_22
; %bb.19:
	s_movk_i32 s10, 0x7f
	v_and_b32_e32 v45, 0x7f, v42
	v_cmp_ne_u32_e32 vcc, s10, v45
	v_mov_b32_e32 v43, 0x7f800001
	s_and_saveexec_b64 s[10:11], vcc
	s_cbranch_execz .LBB562_21
; %bb.20:
	v_and_b32_e32 v50, 7, v42
	v_ffbh_u32_e32 v43, v50
	v_min_u32_e32 v52, 32, v43
	v_subrev_u32_e32 v43, 28, v52
	v_lshlrev_b64 v[42:43], v43, v[42:43]
	v_lshrrev_b32_e32 v51, 3, v45
	v_sub_u32_e32 v43, 29, v52
	v_and_b32_e32 v42, 7, v42
	v_cmp_gt_u32_e32 vcc, 8, v45
	v_cndmask_b32_e32 v43, v51, v43, vcc
	v_cndmask_b32_e32 v42, v50, v42, vcc
	v_lshlrev_b32_e32 v45, 16, v30
	v_bfrev_b32_e32 v50, 60
	v_lshlrev_b32_e32 v42, 20, v42
	v_and_b32_e32 v45, 0x80000000, v45
	v_lshl_add_u32 v43, v43, 23, v50
	v_or3_b32 v43, v45, v43, v42
.LBB562_21:
	s_or_b64 exec, exec, s[10:11]
.LBB562_22:
	s_or_b64 exec, exec, s[8:9]
.LBB562_23:
	s_or_b64 exec, exec, s[2:3]
	s_movk_i32 s2, 0xff
	v_and_b32_sdwa v51, v30, s2 dst_sel:DWORD dst_unused:UNUSED_PAD src0_sel:WORD_1 src1_sel:DWORD
	v_lshrrev_b32_e32 v42, 16, v30
	v_cmp_ne_u16_e32 vcc, 0, v51
	v_mov_b32_e32 v45, 0
	v_mov_b32_e32 v50, 0
	s_and_saveexec_b64 s[2:3], vcc
	s_cbranch_execz .LBB562_29
; %bb.24:
	s_movk_i32 s8, 0x80
	v_cmp_ne_u16_e32 vcc, s8, v51
	v_bfrev_b32_e32 v50, 1
	s_and_saveexec_b64 s[8:9], vcc
	s_cbranch_execz .LBB562_28
; %bb.25:
	v_bfe_u32 v51, v30, 16, 7
	s_movk_i32 s10, 0x7f
	v_cmp_ne_u32_e32 vcc, s10, v51
	v_mov_b32_e32 v50, 0x7f800001
	s_and_saveexec_b64 s[10:11], vcc
	s_cbranch_execz .LBB562_27
; %bb.26:
	v_and_b32_e32 v50, 7, v42
	v_ffbh_u32_e32 v52, v50
	v_min_u32_e32 v55, 32, v52
	v_subrev_u32_e32 v52, 28, v55
	v_lshlrev_b64 v[52:53], v52, v[42:43]
	v_lshrrev_b32_e32 v54, 3, v51
	v_sub_u32_e32 v42, 29, v55
	v_and_b32_e32 v52, 7, v52
	v_cmp_gt_u32_e32 vcc, 8, v51
	v_mov_b32_e32 v51, 24
	v_cndmask_b32_e32 v42, v54, v42, vcc
	v_cndmask_b32_e32 v50, v50, v52, vcc
	v_lshlrev_b32_sdwa v51, v51, v30 dst_sel:DWORD dst_unused:UNUSED_PAD src0_sel:DWORD src1_sel:WORD_1
	v_bfrev_b32_e32 v52, 60
	v_lshlrev_b32_e32 v50, 20, v50
	v_and_b32_e32 v51, 0x80000000, v51
	v_lshl_add_u32 v42, v42, 23, v52
	v_or3_b32 v50, v51, v42, v50
.LBB562_27:
	s_or_b64 exec, exec, s[10:11]
.LBB562_28:
	s_or_b64 exec, exec, s[8:9]
.LBB562_29:
	s_or_b64 exec, exec, s[2:3]
	s_mov_b32 s2, 0xffffff
	v_cmp_lt_u32_e32 vcc, s2, v30
	s_and_saveexec_b64 s[2:3], vcc
	s_cbranch_execz .LBB562_35
; %bb.30:
	v_lshrrev_b32_e32 v42, 24, v30
	s_movk_i32 s8, 0x80
	v_cmp_ne_u32_e32 vcc, s8, v42
	v_bfrev_b32_e32 v45, 1
	s_and_saveexec_b64 s[8:9], vcc
	s_cbranch_execz .LBB562_34
; %bb.31:
	v_bfe_u32 v30, v30, 24, 7
	s_movk_i32 s10, 0x7f
	v_cmp_ne_u32_e32 vcc, s10, v30
	v_mov_b32_e32 v45, 0x7f800001
	s_and_saveexec_b64 s[10:11], vcc
	s_cbranch_execz .LBB562_33
; %bb.32:
	v_and_b32_e32 v45, 7, v42
	v_ffbh_u32_e32 v52, v45
	v_min_u32_e32 v54, 32, v52
	v_subrev_u32_e32 v52, 28, v54
	v_lshlrev_b64 v[52:53], v52, v[42:43]
	v_lshrrev_b32_e32 v51, 3, v30
	v_sub_u32_e32 v53, 29, v54
	v_and_b32_e32 v52, 7, v52
	v_cmp_gt_u32_e32 vcc, 8, v30
	v_cndmask_b32_e32 v30, v51, v53, vcc
	v_cndmask_b32_e32 v45, v45, v52, vcc
	v_lshlrev_b32_e32 v42, 24, v42
	v_bfrev_b32_e32 v51, 60
	v_lshlrev_b32_e32 v45, 20, v45
	v_and_b32_e32 v42, 0x80000000, v42
	v_lshl_add_u32 v30, v30, 23, v51
	v_or3_b32 v45, v42, v30, v45
.LBB562_33:
	s_or_b64 exec, exec, s[10:11]
.LBB562_34:
	s_or_b64 exec, exec, s[8:9]
.LBB562_35:
	s_or_b64 exec, exec, s[2:3]
	v_mov_b32_e32 v42, 0
	v_cmp_ne_u16_sdwa s[8:9], v31, v42 src0_sel:BYTE_0 src1_sel:DWORD
	v_mov_b32_e32 v51, 0
	s_and_saveexec_b64 s[2:3], s[8:9]
	s_cbranch_execz .LBB562_41
; %bb.36:
	s_movk_i32 s8, 0x80
	v_cmp_ne_u16_sdwa s[10:11], v31, s8 src0_sel:BYTE_0 src1_sel:DWORD
	v_bfrev_b32_e32 v51, 1
	s_and_saveexec_b64 s[8:9], s[10:11]
	s_cbranch_execz .LBB562_40
; %bb.37:
	s_movk_i32 s10, 0x7f
	v_and_b32_e32 v30, 0x7f, v31
	v_cmp_ne_u32_e32 vcc, s10, v30
	v_mov_b32_e32 v51, 0x7f800001
	s_and_saveexec_b64 s[10:11], vcc
	s_cbranch_execz .LBB562_39
; %bb.38:
	v_and_b32_e32 v51, 7, v31
	v_ffbh_u32_e32 v53, v51
	v_min_u32_e32 v55, 32, v53
	v_mov_b32_e32 v52, v31
	v_subrev_u32_e32 v53, 28, v55
	v_lshlrev_b64 v[52:53], v53, v[52:53]
	v_lshrrev_b32_e32 v54, 3, v30
	v_sub_u32_e32 v53, 29, v55
	v_and_b32_e32 v52, 7, v52
	v_cmp_gt_u32_e32 vcc, 8, v30
	v_cndmask_b32_e32 v30, v54, v53, vcc
	v_cndmask_b32_e32 v51, v51, v52, vcc
	v_lshlrev_b32_e32 v52, 24, v31
	v_bfrev_b32_e32 v53, 60
	v_lshlrev_b32_e32 v51, 20, v51
	v_and_b32_e32 v52, 0x80000000, v52
	v_lshl_add_u32 v30, v30, 23, v53
	v_or3_b32 v51, v52, v30, v51
.LBB562_39:
	s_or_b64 exec, exec, s[10:11]
.LBB562_40:
	s_or_b64 exec, exec, s[8:9]
.LBB562_41:
	s_or_b64 exec, exec, s[2:3]
	v_lshrrev_b16_e32 v30, 8, v31
	v_cmp_ne_u16_e32 vcc, 0, v30
	s_and_saveexec_b64 s[2:3], vcc
	s_cbranch_execz .LBB562_47
; %bb.42:
	s_movk_i32 s8, 0x80
	v_cmp_ne_u16_e32 vcc, s8, v30
	v_bfrev_b32_e32 v42, 1
	s_and_saveexec_b64 s[8:9], vcc
	s_cbranch_execz .LBB562_46
; %bb.43:
	s_movk_i32 s10, 0x7f
	v_and_b32_e32 v52, 0x7f, v30
	v_cmp_ne_u32_e32 vcc, s10, v52
	v_mov_b32_e32 v42, 0x7f800001
	s_and_saveexec_b64 s[10:11], vcc
	s_cbranch_execz .LBB562_45
; %bb.44:
	v_and_b32_e32 v42, 7, v30
	v_ffbh_u32_e32 v54, v42
	v_min_u32_e32 v56, 32, v54
	v_subrev_u32_e32 v54, 28, v56
	v_lshlrev_b64 v[54:55], v54, v[30:31]
	v_lshrrev_b32_e32 v53, 3, v52
	v_sub_u32_e32 v30, 29, v56
	v_and_b32_e32 v54, 7, v54
	v_cmp_gt_u32_e32 vcc, 8, v52
	v_cndmask_b32_e32 v30, v53, v30, vcc
	v_cndmask_b32_e32 v42, v42, v54, vcc
	v_lshlrev_b32_e32 v52, 16, v31
	v_bfrev_b32_e32 v53, 60
	v_lshlrev_b32_e32 v42, 20, v42
	v_and_b32_e32 v52, 0x80000000, v52
	v_lshl_add_u32 v30, v30, 23, v53
	v_or3_b32 v42, v52, v30, v42
.LBB562_45:
	s_or_b64 exec, exec, s[10:11]
.LBB562_46:
	s_or_b64 exec, exec, s[8:9]
.LBB562_47:
	s_or_b64 exec, exec, s[2:3]
	s_movk_i32 s2, 0xff
	v_and_b32_sdwa v54, v31, s2 dst_sel:DWORD dst_unused:UNUSED_PAD src0_sel:WORD_1 src1_sel:DWORD
	v_lshrrev_b32_e32 v30, 16, v31
	v_cmp_ne_u16_e32 vcc, 0, v54
	v_mov_b32_e32 v52, 0
	v_mov_b32_e32 v53, 0
	s_and_saveexec_b64 s[2:3], vcc
	s_cbranch_execz .LBB562_53
; %bb.48:
	s_movk_i32 s8, 0x80
	v_cmp_ne_u16_e32 vcc, s8, v54
	v_bfrev_b32_e32 v53, 1
	s_and_saveexec_b64 s[8:9], vcc
	s_cbranch_execz .LBB562_52
; %bb.49:
	v_bfe_u32 v54, v31, 16, 7
	s_movk_i32 s10, 0x7f
	v_cmp_ne_u32_e32 vcc, s10, v54
	v_mov_b32_e32 v53, 0x7f800001
	s_and_saveexec_b64 s[10:11], vcc
	s_cbranch_execz .LBB562_51
; %bb.50:
	v_and_b32_e32 v53, 7, v30
	v_ffbh_u32_e32 v56, v53
	v_min_u32_e32 v58, 32, v56
	v_subrev_u32_e32 v56, 28, v58
	v_lshlrev_b64 v[56:57], v56, v[30:31]
	v_lshrrev_b32_e32 v55, 3, v54
	v_sub_u32_e32 v30, 29, v58
	v_and_b32_e32 v56, 7, v56
	v_cmp_gt_u32_e32 vcc, 8, v54
	v_mov_b32_e32 v54, 24
	v_cndmask_b32_e32 v30, v55, v30, vcc
	v_cndmask_b32_e32 v53, v53, v56, vcc
	v_lshlrev_b32_sdwa v54, v54, v31 dst_sel:DWORD dst_unused:UNUSED_PAD src0_sel:DWORD src1_sel:WORD_1
	v_bfrev_b32_e32 v55, 60
	v_lshlrev_b32_e32 v53, 20, v53
	v_and_b32_e32 v54, 0x80000000, v54
	v_lshl_add_u32 v30, v30, 23, v55
	v_or3_b32 v53, v54, v30, v53
.LBB562_51:
	s_or_b64 exec, exec, s[10:11]
.LBB562_52:
	s_or_b64 exec, exec, s[8:9]
.LBB562_53:
	s_or_b64 exec, exec, s[2:3]
	s_mov_b32 s2, 0xffffff
	v_cmp_lt_u32_e32 vcc, s2, v31
	s_and_saveexec_b64 s[2:3], vcc
	s_cbranch_execz .LBB562_59
; %bb.54:
	v_lshrrev_b32_e32 v30, 24, v31
	s_movk_i32 s8, 0x80
	v_cmp_ne_u32_e32 vcc, s8, v30
	v_bfrev_b32_e32 v52, 1
	s_and_saveexec_b64 s[8:9], vcc
	s_cbranch_execz .LBB562_58
; %bb.55:
	v_bfe_u32 v31, v31, 24, 7
	s_movk_i32 s10, 0x7f
	v_cmp_ne_u32_e32 vcc, s10, v31
	v_mov_b32_e32 v52, 0x7f800001
	s_and_saveexec_b64 s[10:11], vcc
	s_cbranch_execz .LBB562_57
; %bb.56:
	v_and_b32_e32 v52, 7, v30
	v_ffbh_u32_e32 v54, v52
	v_min_u32_e32 v57, 32, v54
	v_subrev_u32_e32 v54, 28, v57
	v_lshlrev_b64 v[54:55], v54, v[30:31]
	v_lshrrev_b32_e32 v56, 3, v31
	v_sub_u32_e32 v55, 29, v57
	v_and_b32_e32 v54, 7, v54
	v_cmp_gt_u32_e32 vcc, 8, v31
	v_cndmask_b32_e32 v31, v56, v55, vcc
	v_cndmask_b32_e32 v52, v52, v54, vcc
	v_lshlrev_b32_e32 v30, 24, v30
	v_bfrev_b32_e32 v54, 60
	v_lshlrev_b32_e32 v52, 20, v52
	v_and_b32_e32 v30, 0x80000000, v30
	v_lshl_add_u32 v31, v31, 23, v54
	v_or3_b32 v52, v30, v31, v52
.LBB562_57:
	s_or_b64 exec, exec, s[10:11]
.LBB562_58:
	s_or_b64 exec, exec, s[8:9]
.LBB562_59:
	s_or_b64 exec, exec, s[2:3]
	v_cvt_pkrtz_f16_f32 v30, v44, v43
	v_cvt_pkrtz_f16_f32 v31, v50, v45
	v_cvt_pkrtz_f16_f32 v42, v51, v42
	v_cvt_pkrtz_f16_f32 v43, v53, v52
	v_mov_b32_e32 v51, 0
	s_waitcnt lgkmcnt(0)
	v_mfma_f32_16x16x16f16 v[54:57], v[30:31], v[26:27], 0
	v_mov_b32_e32 v31, 0
	v_cmp_ne_u16_sdwa s[8:9], v32, v31 src0_sel:BYTE_0 src1_sel:DWORD
	v_mfma_f32_16x16x16f16 v[42:45], v[42:43], v[28:29], v[54:57]
	s_and_saveexec_b64 s[2:3], s[8:9]
	s_cbranch_execz .LBB562_65
; %bb.60:
	s_movk_i32 s8, 0x80
	v_cmp_ne_u16_sdwa s[10:11], v32, s8 src0_sel:BYTE_0 src1_sel:DWORD
	v_bfrev_b32_e32 v51, 1
	s_and_saveexec_b64 s[8:9], s[10:11]
	s_cbranch_execz .LBB562_64
; %bb.61:
	s_movk_i32 s10, 0x7f
	v_and_b32_e32 v30, 0x7f, v32
	v_cmp_ne_u32_e32 vcc, s10, v30
	v_mov_b32_e32 v51, 0x7f800001
	s_and_saveexec_b64 s[10:11], vcc
	s_cbranch_execz .LBB562_63
; %bb.62:
	v_and_b32_e32 v52, 7, v32
	v_ffbh_u32_e32 v50, v52
	v_min_u32_e32 v54, 32, v50
	v_subrev_u32_e32 v50, 28, v54
	v_lshlrev_b64 v[50:51], v50, v[32:33]
	v_lshrrev_b32_e32 v53, 3, v30
	v_sub_u32_e32 v51, 29, v54
	v_and_b32_e32 v50, 7, v50
	v_cmp_gt_u32_e32 vcc, 8, v30
	v_cndmask_b32_e32 v30, v53, v51, vcc
	v_cndmask_b32_e32 v50, v52, v50, vcc
	v_lshlrev_b32_e32 v51, 24, v32
	v_bfrev_b32_e32 v52, 60
	v_lshlrev_b32_e32 v50, 20, v50
	v_and_b32_e32 v51, 0x80000000, v51
	v_lshl_add_u32 v30, v30, 23, v52
	v_or3_b32 v51, v51, v30, v50
.LBB562_63:
	s_or_b64 exec, exec, s[10:11]
.LBB562_64:
	s_or_b64 exec, exec, s[8:9]
.LBB562_65:
	s_or_b64 exec, exec, s[2:3]
	v_lshrrev_b16_e32 v30, 8, v32
	v_cmp_ne_u16_e32 vcc, 0, v30
	v_mov_b32_e32 v52, 0
	s_and_saveexec_b64 s[2:3], vcc
	s_cbranch_execz .LBB562_71
; %bb.66:
	s_movk_i32 s8, 0x80
	v_cmp_ne_u16_e32 vcc, s8, v30
	v_bfrev_b32_e32 v52, 1
	s_and_saveexec_b64 s[8:9], vcc
	s_cbranch_execz .LBB562_70
; %bb.67:
	s_movk_i32 s10, 0x7f
	v_and_b32_e32 v50, 0x7f, v30
	v_cmp_ne_u32_e32 vcc, s10, v50
	v_mov_b32_e32 v52, 0x7f800001
	s_and_saveexec_b64 s[10:11], vcc
	s_cbranch_execz .LBB562_69
; %bb.68:
	v_and_b32_e32 v54, 7, v30
	v_ffbh_u32_e32 v52, v54
	v_min_u32_e32 v56, 32, v52
	v_subrev_u32_e32 v52, 28, v56
	v_lshlrev_b64 v[52:53], v52, v[30:31]
	v_lshrrev_b32_e32 v55, 3, v50
	v_sub_u32_e32 v30, 29, v56
	v_and_b32_e32 v52, 7, v52
	v_cmp_gt_u32_e32 vcc, 8, v50
	v_cndmask_b32_e32 v30, v55, v30, vcc
	v_cndmask_b32_e32 v50, v54, v52, vcc
	v_lshlrev_b32_e32 v52, 16, v32
	v_bfrev_b32_e32 v53, 60
	v_lshlrev_b32_e32 v50, 20, v50
	v_and_b32_e32 v52, 0x80000000, v52
	v_lshl_add_u32 v30, v30, 23, v53
	v_or3_b32 v52, v52, v30, v50
.LBB562_69:
	s_or_b64 exec, exec, s[10:11]
.LBB562_70:
	s_or_b64 exec, exec, s[8:9]
.LBB562_71:
	s_or_b64 exec, exec, s[2:3]
	s_movk_i32 s2, 0xff
	v_and_b32_sdwa v50, v32, s2 dst_sel:DWORD dst_unused:UNUSED_PAD src0_sel:WORD_1 src1_sel:DWORD
	v_lshrrev_b32_e32 v30, 16, v32
	v_cmp_ne_u16_e32 vcc, 0, v50
	s_and_saveexec_b64 s[2:3], vcc
	s_cbranch_execz .LBB562_77
; %bb.72:
	s_movk_i32 s8, 0x80
	v_cmp_ne_u16_e32 vcc, s8, v50
	v_bfrev_b32_e32 v31, 1
	s_and_saveexec_b64 s[8:9], vcc
	s_cbranch_execz .LBB562_76
; %bb.73:
	v_bfe_u32 v50, v32, 16, 7
	s_movk_i32 s10, 0x7f
	v_cmp_ne_u32_e32 vcc, s10, v50
	v_mov_b32_e32 v31, 0x7f800001
	s_and_saveexec_b64 s[10:11], vcc
	s_cbranch_execz .LBB562_75
; %bb.74:
	v_and_b32_e32 v53, 7, v30
	v_ffbh_u32_e32 v31, v53
	v_min_u32_e32 v55, 32, v31
	v_subrev_u32_e32 v31, 28, v55
	v_lshlrev_b64 v[30:31], v31, v[30:31]
	v_lshrrev_b32_e32 v54, 3, v50
	v_sub_u32_e32 v31, 29, v55
	v_and_b32_e32 v30, 7, v30
	v_cmp_gt_u32_e32 vcc, 8, v50
	v_mov_b32_e32 v50, 24
	v_cndmask_b32_e32 v31, v54, v31, vcc
	v_cndmask_b32_e32 v30, v53, v30, vcc
	v_lshlrev_b32_sdwa v50, v50, v32 dst_sel:DWORD dst_unused:UNUSED_PAD src0_sel:DWORD src1_sel:WORD_1
	v_bfrev_b32_e32 v53, 60
	v_lshlrev_b32_e32 v30, 20, v30
	v_and_b32_e32 v50, 0x80000000, v50
	v_lshl_add_u32 v31, v31, 23, v53
	v_or3_b32 v31, v50, v31, v30
.LBB562_75:
	s_or_b64 exec, exec, s[10:11]
.LBB562_76:
	s_or_b64 exec, exec, s[8:9]
.LBB562_77:
	s_or_b64 exec, exec, s[2:3]
	s_mov_b32 s2, 0xffffff
	v_cmp_lt_u32_e32 vcc, s2, v32
	v_mov_b32_e32 v53, 0
	v_mov_b32_e32 v54, 0
	s_and_saveexec_b64 s[2:3], vcc
	s_cbranch_execz .LBB562_83
; %bb.78:
	v_lshrrev_b32_e32 v30, 24, v32
	s_movk_i32 s8, 0x80
	v_cmp_ne_u32_e32 vcc, s8, v30
	v_bfrev_b32_e32 v54, 1
	s_and_saveexec_b64 s[8:9], vcc
	s_cbranch_execz .LBB562_82
; %bb.79:
	v_bfe_u32 v32, v32, 24, 7
	s_movk_i32 s10, 0x7f
	v_cmp_ne_u32_e32 vcc, s10, v32
	v_mov_b32_e32 v54, 0x7f800001
	s_and_saveexec_b64 s[10:11], vcc
	s_cbranch_execz .LBB562_81
; %bb.80:
	v_and_b32_e32 v50, 7, v30
	v_ffbh_u32_e32 v54, v50
	v_min_u32_e32 v57, 32, v54
	v_subrev_u32_e32 v54, 28, v57
	v_lshlrev_b64 v[54:55], v54, v[30:31]
	v_lshrrev_b32_e32 v56, 3, v32
	v_sub_u32_e32 v55, 29, v57
	v_and_b32_e32 v54, 7, v54
	v_cmp_gt_u32_e32 vcc, 8, v32
	v_cndmask_b32_e32 v32, v56, v55, vcc
	v_cndmask_b32_e32 v50, v50, v54, vcc
	v_lshlrev_b32_e32 v30, 24, v30
	v_bfrev_b32_e32 v54, 60
	v_lshlrev_b32_e32 v50, 20, v50
	v_and_b32_e32 v30, 0x80000000, v30
	v_lshl_add_u32 v32, v32, 23, v54
	v_or3_b32 v54, v30, v32, v50
.LBB562_81:
	s_or_b64 exec, exec, s[10:11]
.LBB562_82:
	s_or_b64 exec, exec, s[8:9]
.LBB562_83:
	s_or_b64 exec, exec, s[2:3]
	v_cmp_ne_u16_sdwa s[8:9], v33, v53 src0_sel:BYTE_0 src1_sel:DWORD
	s_and_saveexec_b64 s[2:3], s[8:9]
	s_cbranch_execz .LBB562_89
; %bb.84:
	s_movk_i32 s8, 0x80
	v_cmp_ne_u16_sdwa s[10:11], v33, s8 src0_sel:BYTE_0 src1_sel:DWORD
	v_bfrev_b32_e32 v53, 1
	s_and_saveexec_b64 s[8:9], s[10:11]
	s_cbranch_execz .LBB562_88
; %bb.85:
	s_movk_i32 s10, 0x7f
	v_and_b32_e32 v30, 0x7f, v33
	v_cmp_ne_u32_e32 vcc, s10, v30
	v_mov_b32_e32 v53, 0x7f800001
	s_and_saveexec_b64 s[10:11], vcc
	s_cbranch_execz .LBB562_87
; %bb.86:
	v_and_b32_e32 v50, 7, v33
	v_ffbh_u32_e32 v55, v50
	v_min_u32_e32 v55, 32, v55
	v_mov_b32_e32 v32, v33
	v_subrev_u32_e32 v56, 28, v55
	v_lshlrev_b64 v[56:57], v56, v[32:33]
	v_lshrrev_b32_e32 v53, 3, v30
	v_sub_u32_e32 v32, 29, v55
	v_and_b32_e32 v55, 7, v56
	v_cmp_gt_u32_e32 vcc, 8, v30
	v_cndmask_b32_e32 v30, v53, v32, vcc
	v_cndmask_b32_e32 v32, v50, v55, vcc
	v_lshlrev_b32_e32 v50, 24, v33
	v_bfrev_b32_e32 v53, 60
	v_lshlrev_b32_e32 v32, 20, v32
	v_and_b32_e32 v50, 0x80000000, v50
	v_lshl_add_u32 v30, v30, 23, v53
	v_or3_b32 v53, v50, v30, v32
.LBB562_87:
	s_or_b64 exec, exec, s[10:11]
.LBB562_88:
	s_or_b64 exec, exec, s[8:9]
.LBB562_89:
	s_or_b64 exec, exec, s[2:3]
	v_lshrrev_b16_e32 v30, 8, v33
	v_cmp_ne_u16_e32 vcc, 0, v30
	v_mov_b32_e32 v32, 0
	v_mov_b32_e32 v55, 0
	s_and_saveexec_b64 s[2:3], vcc
	s_cbranch_execz .LBB562_95
; %bb.90:
	s_movk_i32 s8, 0x80
	v_cmp_ne_u16_e32 vcc, s8, v30
	v_bfrev_b32_e32 v55, 1
	s_and_saveexec_b64 s[8:9], vcc
	s_cbranch_execz .LBB562_94
; %bb.91:
	s_movk_i32 s10, 0x7f
	v_and_b32_e32 v50, 0x7f, v30
	v_cmp_ne_u32_e32 vcc, s10, v50
	v_mov_b32_e32 v55, 0x7f800001
	s_and_saveexec_b64 s[10:11], vcc
	s_cbranch_execz .LBB562_93
; %bb.92:
	v_and_b32_e32 v55, 7, v30
	v_ffbh_u32_e32 v56, v55
	v_min_u32_e32 v59, 32, v56
	v_subrev_u32_e32 v56, 28, v59
	v_lshlrev_b64 v[56:57], v56, v[30:31]
	v_lshrrev_b32_e32 v58, 3, v50
	v_sub_u32_e32 v30, 29, v59
	v_and_b32_e32 v56, 7, v56
	v_cmp_gt_u32_e32 vcc, 8, v50
	v_cndmask_b32_e32 v30, v58, v30, vcc
	v_cndmask_b32_e32 v50, v55, v56, vcc
	v_lshlrev_b32_e32 v55, 16, v33
	v_bfrev_b32_e32 v56, 60
	v_lshlrev_b32_e32 v50, 20, v50
	v_and_b32_e32 v55, 0x80000000, v55
	v_lshl_add_u32 v30, v30, 23, v56
	v_or3_b32 v55, v55, v30, v50
.LBB562_93:
	s_or_b64 exec, exec, s[10:11]
.LBB562_94:
	s_or_b64 exec, exec, s[8:9]
.LBB562_95:
	s_or_b64 exec, exec, s[2:3]
	s_movk_i32 s2, 0xff
	v_and_b32_sdwa v50, v33, s2 dst_sel:DWORD dst_unused:UNUSED_PAD src0_sel:WORD_1 src1_sel:DWORD
	v_lshrrev_b32_e32 v30, 16, v33
	v_cmp_ne_u16_e32 vcc, 0, v50
	s_and_saveexec_b64 s[2:3], vcc
	s_cbranch_execz .LBB562_101
; %bb.96:
	s_movk_i32 s8, 0x80
	v_cmp_ne_u16_e32 vcc, s8, v50
	v_bfrev_b32_e32 v32, 1
	s_and_saveexec_b64 s[8:9], vcc
	s_cbranch_execz .LBB562_100
; %bb.97:
	v_bfe_u32 v50, v33, 16, 7
	s_movk_i32 s10, 0x7f
	v_cmp_ne_u32_e32 vcc, s10, v50
	v_mov_b32_e32 v32, 0x7f800001
	s_and_saveexec_b64 s[10:11], vcc
	s_cbranch_execz .LBB562_99
; %bb.98:
	v_and_b32_e32 v32, 7, v30
	v_ffbh_u32_e32 v56, v32
	v_min_u32_e32 v59, 32, v56
	v_subrev_u32_e32 v56, 28, v59
	v_lshlrev_b64 v[56:57], v56, v[30:31]
	v_lshrrev_b32_e32 v58, 3, v50
	v_sub_u32_e32 v30, 29, v59
	v_and_b32_e32 v56, 7, v56
	v_cmp_gt_u32_e32 vcc, 8, v50
	v_mov_b32_e32 v50, 24
	v_cndmask_b32_e32 v30, v58, v30, vcc
	v_cndmask_b32_e32 v32, v32, v56, vcc
	v_lshlrev_b32_sdwa v50, v50, v33 dst_sel:DWORD dst_unused:UNUSED_PAD src0_sel:DWORD src1_sel:WORD_1
	v_bfrev_b32_e32 v56, 60
	v_lshlrev_b32_e32 v32, 20, v32
	v_and_b32_e32 v50, 0x80000000, v50
	v_lshl_add_u32 v30, v30, 23, v56
	v_or3_b32 v32, v50, v30, v32
.LBB562_99:
	s_or_b64 exec, exec, s[10:11]
.LBB562_100:
	s_or_b64 exec, exec, s[8:9]
.LBB562_101:
	s_or_b64 exec, exec, s[2:3]
	s_mov_b32 s2, 0xffffff
	v_cmp_lt_u32_e32 vcc, s2, v33
	v_mov_b32_e32 v50, 0
	v_mov_b32_e32 v56, 0
	s_and_saveexec_b64 s[2:3], vcc
	s_cbranch_execz .LBB562_107
; %bb.102:
	v_lshrrev_b32_e32 v30, 24, v33
	s_movk_i32 s8, 0x80
	v_cmp_ne_u32_e32 vcc, s8, v30
	v_bfrev_b32_e32 v56, 1
	s_and_saveexec_b64 s[8:9], vcc
	s_cbranch_execz .LBB562_106
; %bb.103:
	v_bfe_u32 v33, v33, 24, 7
	s_movk_i32 s10, 0x7f
	v_cmp_ne_u32_e32 vcc, s10, v33
	v_mov_b32_e32 v56, 0x7f800001
	s_and_saveexec_b64 s[10:11], vcc
	s_cbranch_execz .LBB562_105
; %bb.104:
	v_and_b32_e32 v58, 7, v30
	v_ffbh_u32_e32 v56, v58
	v_min_u32_e32 v60, 32, v56
	v_subrev_u32_e32 v56, 28, v60
	v_lshlrev_b64 v[56:57], v56, v[30:31]
	v_lshrrev_b32_e32 v59, 3, v33
	v_sub_u32_e32 v57, 29, v60
	v_and_b32_e32 v56, 7, v56
	v_cmp_gt_u32_e32 vcc, 8, v33
	v_cndmask_b32_e32 v33, v59, v57, vcc
	v_cndmask_b32_e32 v56, v58, v56, vcc
	v_lshlrev_b32_e32 v30, 24, v30
	v_bfrev_b32_e32 v57, 60
	v_lshlrev_b32_e32 v56, 20, v56
	v_and_b32_e32 v30, 0x80000000, v30
	v_lshl_add_u32 v33, v33, 23, v57
	v_or3_b32 v56, v30, v33, v56
.LBB562_105:
	s_or_b64 exec, exec, s[10:11]
.LBB562_106:
	s_or_b64 exec, exec, s[8:9]
.LBB562_107:
	s_or_b64 exec, exec, s[2:3]
	v_cvt_pkrtz_f16_f32 v30, v51, v52
	v_cvt_pkrtz_f16_f32 v31, v31, v54
	s_waitcnt vmcnt(6)
	v_cmp_ne_u16_sdwa s[8:9], v38, v50 src0_sel:BYTE_0 src1_sel:DWORD
	v_mfma_f32_16x16x16f16 v[42:45], v[30:31], v[18:19], v[42:45]
	v_cvt_pkrtz_f16_f32 v30, v53, v55
	v_cvt_pkrtz_f16_f32 v31, v32, v56
	s_nop 1
	v_mfma_f32_16x16x16f16 v[30:33], v[30:31], v[20:21], v[42:45]
	s_and_saveexec_b64 s[2:3], s[8:9]
	s_cbranch_execz .LBB562_113
; %bb.108:
	s_movk_i32 s8, 0x80
	v_cmp_ne_u16_sdwa s[10:11], v38, s8 src0_sel:BYTE_0 src1_sel:DWORD
	v_bfrev_b32_e32 v50, 1
	s_and_saveexec_b64 s[8:9], s[10:11]
	s_cbranch_execz .LBB562_112
; %bb.109:
	s_movk_i32 s10, 0x7f
	v_and_b32_e32 v42, 0x7f, v38
	v_cmp_ne_u32_e32 vcc, s10, v42
	v_mov_b32_e32 v50, 0x7f800001
	s_and_saveexec_b64 s[10:11], vcc
	s_cbranch_execz .LBB562_111
; %bb.110:
	v_and_b32_e32 v43, 7, v38
	v_ffbh_u32_e32 v44, v43
	v_min_u32_e32 v51, 32, v44
	v_subrev_u32_e32 v44, 28, v51
	v_lshlrev_b64 v[44:45], v44, v[38:39]
	v_lshrrev_b32_e32 v50, 3, v42
	v_sub_u32_e32 v45, 29, v51
	v_and_b32_e32 v44, 7, v44
	v_cmp_gt_u32_e32 vcc, 8, v42
	v_cndmask_b32_e32 v42, v50, v45, vcc
	v_cndmask_b32_e32 v43, v43, v44, vcc
	v_lshlrev_b32_e32 v44, 24, v38
	v_bfrev_b32_e32 v45, 60
	v_lshlrev_b32_e32 v43, 20, v43
	v_and_b32_e32 v44, 0x80000000, v44
	v_lshl_add_u32 v42, v42, 23, v45
	v_or3_b32 v50, v44, v42, v43
.LBB562_111:
	s_or_b64 exec, exec, s[10:11]
.LBB562_112:
	s_or_b64 exec, exec, s[8:9]
.LBB562_113:
	s_or_b64 exec, exec, s[2:3]
	s_nop 3
	v_lshrrev_b16_e32 v42, 8, v38
	v_cmp_ne_u16_e32 vcc, 0, v42
	v_mov_b32_e32 v43, 0
	v_mov_b32_e32 v44, 0
	s_and_saveexec_b64 s[2:3], vcc
	s_cbranch_execz .LBB562_119
; %bb.114:
	s_movk_i32 s8, 0x80
	v_cmp_ne_u16_e32 vcc, s8, v42
	v_bfrev_b32_e32 v44, 1
	s_and_saveexec_b64 s[8:9], vcc
	s_cbranch_execz .LBB562_118
; %bb.115:
	s_movk_i32 s10, 0x7f
	v_and_b32_e32 v45, 0x7f, v42
	v_cmp_ne_u32_e32 vcc, s10, v45
	v_mov_b32_e32 v44, 0x7f800001
	s_and_saveexec_b64 s[10:11], vcc
	s_cbranch_execz .LBB562_117
; %bb.116:
	v_and_b32_e32 v44, 7, v42
	v_ffbh_u32_e32 v52, v44
	v_min_u32_e32 v54, 32, v52
	v_subrev_u32_e32 v52, 28, v54
	v_lshlrev_b64 v[52:53], v52, v[42:43]
	v_lshrrev_b32_e32 v51, 3, v45
	v_sub_u32_e32 v42, 29, v54
	v_and_b32_e32 v52, 7, v52
	v_cmp_gt_u32_e32 vcc, 8, v45
	v_cndmask_b32_e32 v42, v51, v42, vcc
	v_cndmask_b32_e32 v44, v44, v52, vcc
	v_lshlrev_b32_e32 v45, 16, v38
	v_bfrev_b32_e32 v51, 60
	v_lshlrev_b32_e32 v44, 20, v44
	v_and_b32_e32 v45, 0x80000000, v45
	v_lshl_add_u32 v42, v42, 23, v51
	v_or3_b32 v44, v45, v42, v44
.LBB562_117:
	s_or_b64 exec, exec, s[10:11]
.LBB562_118:
	s_or_b64 exec, exec, s[8:9]
.LBB562_119:
	s_or_b64 exec, exec, s[2:3]
	s_movk_i32 s2, 0xff
	v_and_b32_sdwa v45, v38, s2 dst_sel:DWORD dst_unused:UNUSED_PAD src0_sel:WORD_1 src1_sel:DWORD
	v_lshrrev_b32_e32 v42, 16, v38
	v_cmp_ne_u16_e32 vcc, 0, v45
	s_and_saveexec_b64 s[2:3], vcc
	s_cbranch_execz .LBB562_125
; %bb.120:
	s_movk_i32 s8, 0x80
	v_cmp_ne_u16_e32 vcc, s8, v45
	v_bfrev_b32_e32 v43, 1
	s_and_saveexec_b64 s[8:9], vcc
	s_cbranch_execz .LBB562_124
; %bb.121:
	v_bfe_u32 v45, v38, 16, 7
	s_movk_i32 s10, 0x7f
	v_cmp_ne_u32_e32 vcc, s10, v45
	v_mov_b32_e32 v43, 0x7f800001
	s_and_saveexec_b64 s[10:11], vcc
	s_cbranch_execz .LBB562_123
; %bb.122:
	v_and_b32_e32 v51, 7, v42
	v_ffbh_u32_e32 v43, v51
	v_min_u32_e32 v53, 32, v43
	v_subrev_u32_e32 v43, 28, v53
	v_lshlrev_b64 v[42:43], v43, v[42:43]
	v_lshrrev_b32_e32 v52, 3, v45
	v_sub_u32_e32 v43, 29, v53
	v_and_b32_e32 v42, 7, v42
	v_cmp_gt_u32_e32 vcc, 8, v45
	v_mov_b32_e32 v45, 24
	v_cndmask_b32_e32 v43, v52, v43, vcc
	v_cndmask_b32_e32 v42, v51, v42, vcc
	v_lshlrev_b32_sdwa v45, v45, v38 dst_sel:DWORD dst_unused:UNUSED_PAD src0_sel:DWORD src1_sel:WORD_1
	v_bfrev_b32_e32 v51, 60
	v_lshlrev_b32_e32 v42, 20, v42
	v_and_b32_e32 v45, 0x80000000, v45
	v_lshl_add_u32 v43, v43, 23, v51
	v_or3_b32 v43, v45, v43, v42
.LBB562_123:
	s_or_b64 exec, exec, s[10:11]
.LBB562_124:
	s_or_b64 exec, exec, s[8:9]
.LBB562_125:
	s_or_b64 exec, exec, s[2:3]
	s_mov_b32 s2, 0xffffff
	v_cmp_lt_u32_e32 vcc, s2, v38
	v_mov_b32_e32 v45, 0
	v_mov_b32_e32 v52, 0
	s_and_saveexec_b64 s[2:3], vcc
	s_cbranch_execz .LBB562_131
; %bb.126:
	v_lshrrev_b32_e32 v42, 24, v38
	s_movk_i32 s8, 0x80
	v_cmp_ne_u32_e32 vcc, s8, v42
	v_bfrev_b32_e32 v52, 1
	s_and_saveexec_b64 s[8:9], vcc
	s_cbranch_execz .LBB562_130
; %bb.127:
	v_bfe_u32 v38, v38, 24, 7
	s_movk_i32 s10, 0x7f
	v_cmp_ne_u32_e32 vcc, s10, v38
	v_mov_b32_e32 v52, 0x7f800001
	s_and_saveexec_b64 s[10:11], vcc
	s_cbranch_execz .LBB562_129
; %bb.128:
	v_and_b32_e32 v51, 7, v42
	v_ffbh_u32_e32 v52, v51
	v_min_u32_e32 v55, 32, v52
	v_subrev_u32_e32 v52, 28, v55
	v_lshlrev_b64 v[52:53], v52, v[42:43]
	v_lshrrev_b32_e32 v54, 3, v38
	v_sub_u32_e32 v53, 29, v55
	v_and_b32_e32 v52, 7, v52
	v_cmp_gt_u32_e32 vcc, 8, v38
	v_cndmask_b32_e32 v38, v54, v53, vcc
	v_cndmask_b32_e32 v51, v51, v52, vcc
	v_lshlrev_b32_e32 v42, 24, v42
	v_bfrev_b32_e32 v52, 60
	v_lshlrev_b32_e32 v51, 20, v51
	v_and_b32_e32 v42, 0x80000000, v42
	v_lshl_add_u32 v38, v38, 23, v52
	v_or3_b32 v52, v42, v38, v51
.LBB562_129:
	s_or_b64 exec, exec, s[10:11]
.LBB562_130:
	s_or_b64 exec, exec, s[8:9]
.LBB562_131:
	s_or_b64 exec, exec, s[2:3]
	v_cmp_ne_u16_sdwa s[8:9], v39, v45 src0_sel:BYTE_0 src1_sel:DWORD
	s_and_saveexec_b64 s[2:3], s[8:9]
	s_cbranch_execz .LBB562_137
; %bb.132:
	s_movk_i32 s8, 0x80
	v_cmp_ne_u16_sdwa s[10:11], v39, s8 src0_sel:BYTE_0 src1_sel:DWORD
	v_bfrev_b32_e32 v45, 1
	s_and_saveexec_b64 s[8:9], s[10:11]
	s_cbranch_execz .LBB562_136
; %bb.133:
	s_movk_i32 s10, 0x7f
	v_and_b32_e32 v38, 0x7f, v39
	v_cmp_ne_u32_e32 vcc, s10, v38
	v_mov_b32_e32 v45, 0x7f800001
	s_and_saveexec_b64 s[10:11], vcc
	s_cbranch_execz .LBB562_135
; %bb.134:
	v_and_b32_e32 v45, 7, v39
	v_ffbh_u32_e32 v53, v45
	v_min_u32_e32 v53, 32, v53
	v_mov_b32_e32 v42, v39
	v_subrev_u32_e32 v54, 28, v53
	v_lshlrev_b64 v[54:55], v54, v[42:43]
	v_lshrrev_b32_e32 v51, 3, v38
	v_sub_u32_e32 v42, 29, v53
	v_and_b32_e32 v53, 7, v54
	v_cmp_gt_u32_e32 vcc, 8, v38
	v_cndmask_b32_e32 v38, v51, v42, vcc
	v_cndmask_b32_e32 v42, v45, v53, vcc
	v_lshlrev_b32_e32 v45, 24, v39
	v_bfrev_b32_e32 v51, 60
	v_lshlrev_b32_e32 v42, 20, v42
	v_and_b32_e32 v45, 0x80000000, v45
	v_lshl_add_u32 v38, v38, 23, v51
	v_or3_b32 v45, v45, v38, v42
.LBB562_135:
	s_or_b64 exec, exec, s[10:11]
.LBB562_136:
	s_or_b64 exec, exec, s[8:9]
.LBB562_137:
	s_or_b64 exec, exec, s[2:3]
	v_lshrrev_b16_e32 v38, 8, v39
	v_cmp_ne_u16_e32 vcc, 0, v38
	v_mov_b32_e32 v42, 0
	v_mov_b32_e32 v53, 0
	s_and_saveexec_b64 s[2:3], vcc
	s_cbranch_execz .LBB562_143
; %bb.138:
	s_movk_i32 s8, 0x80
	v_cmp_ne_u16_e32 vcc, s8, v38
	v_bfrev_b32_e32 v53, 1
	s_and_saveexec_b64 s[8:9], vcc
	s_cbranch_execz .LBB562_142
; %bb.139:
	s_movk_i32 s10, 0x7f
	v_and_b32_e32 v51, 0x7f, v38
	v_cmp_ne_u32_e32 vcc, s10, v51
	v_mov_b32_e32 v53, 0x7f800001
	s_and_saveexec_b64 s[10:11], vcc
	s_cbranch_execz .LBB562_141
; %bb.140:
	v_and_b32_e32 v53, 7, v38
	v_ffbh_u32_e32 v54, v53
	v_min_u32_e32 v57, 32, v54
	v_subrev_u32_e32 v54, 28, v57
	v_lshlrev_b64 v[54:55], v54, v[38:39]
	v_lshrrev_b32_e32 v56, 3, v51
	v_sub_u32_e32 v38, 29, v57
	v_and_b32_e32 v54, 7, v54
	v_cmp_gt_u32_e32 vcc, 8, v51
	v_cndmask_b32_e32 v38, v56, v38, vcc
	v_cndmask_b32_e32 v51, v53, v54, vcc
	v_lshlrev_b32_e32 v53, 16, v39
	v_bfrev_b32_e32 v54, 60
	v_lshlrev_b32_e32 v51, 20, v51
	v_and_b32_e32 v53, 0x80000000, v53
	v_lshl_add_u32 v38, v38, 23, v54
	v_or3_b32 v53, v53, v38, v51
.LBB562_141:
	s_or_b64 exec, exec, s[10:11]
.LBB562_142:
	s_or_b64 exec, exec, s[8:9]
.LBB562_143:
	s_or_b64 exec, exec, s[2:3]
	s_movk_i32 s2, 0xff
	v_and_b32_sdwa v51, v39, s2 dst_sel:DWORD dst_unused:UNUSED_PAD src0_sel:WORD_1 src1_sel:DWORD
	v_lshrrev_b32_e32 v38, 16, v39
	v_cmp_ne_u16_e32 vcc, 0, v51
	s_and_saveexec_b64 s[2:3], vcc
	s_cbranch_execz .LBB562_149
; %bb.144:
	s_movk_i32 s8, 0x80
	v_cmp_ne_u16_e32 vcc, s8, v51
	v_bfrev_b32_e32 v42, 1
	s_and_saveexec_b64 s[8:9], vcc
	s_cbranch_execz .LBB562_148
; %bb.145:
	v_bfe_u32 v51, v39, 16, 7
	s_movk_i32 s10, 0x7f
	v_cmp_ne_u32_e32 vcc, s10, v51
	v_mov_b32_e32 v42, 0x7f800001
	s_and_saveexec_b64 s[10:11], vcc
	s_cbranch_execz .LBB562_147
; %bb.146:
	v_and_b32_e32 v42, 7, v38
	v_ffbh_u32_e32 v54, v42
	v_min_u32_e32 v57, 32, v54
	v_subrev_u32_e32 v54, 28, v57
	v_lshlrev_b64 v[54:55], v54, v[38:39]
	v_lshrrev_b32_e32 v56, 3, v51
	v_sub_u32_e32 v38, 29, v57
	v_and_b32_e32 v54, 7, v54
	v_cmp_gt_u32_e32 vcc, 8, v51
	v_mov_b32_e32 v51, 24
	v_cndmask_b32_e32 v38, v56, v38, vcc
	v_cndmask_b32_e32 v42, v42, v54, vcc
	v_lshlrev_b32_sdwa v51, v51, v39 dst_sel:DWORD dst_unused:UNUSED_PAD src0_sel:DWORD src1_sel:WORD_1
	v_bfrev_b32_e32 v54, 60
	v_lshlrev_b32_e32 v42, 20, v42
	v_and_b32_e32 v51, 0x80000000, v51
	v_lshl_add_u32 v38, v38, 23, v54
	v_or3_b32 v42, v51, v38, v42
.LBB562_147:
	s_or_b64 exec, exec, s[10:11]
.LBB562_148:
	s_or_b64 exec, exec, s[8:9]
.LBB562_149:
	s_or_b64 exec, exec, s[2:3]
	s_mov_b32 s2, 0xffffff
	v_cmp_lt_u32_e32 vcc, s2, v39
	v_mov_b32_e32 v51, 0
	v_mov_b32_e32 v54, 0
	s_and_saveexec_b64 s[2:3], vcc
	s_cbranch_execz .LBB562_155
; %bb.150:
	v_lshrrev_b32_e32 v38, 24, v39
	s_movk_i32 s8, 0x80
	v_cmp_ne_u32_e32 vcc, s8, v38
	v_bfrev_b32_e32 v54, 1
	s_and_saveexec_b64 s[8:9], vcc
	s_cbranch_execz .LBB562_154
; %bb.151:
	v_bfe_u32 v39, v39, 24, 7
	s_movk_i32 s10, 0x7f
	v_cmp_ne_u32_e32 vcc, s10, v39
	v_mov_b32_e32 v54, 0x7f800001
	s_and_saveexec_b64 s[10:11], vcc
	s_cbranch_execz .LBB562_153
; %bb.152:
	v_and_b32_e32 v56, 7, v38
	v_ffbh_u32_e32 v54, v56
	v_min_u32_e32 v58, 32, v54
	v_subrev_u32_e32 v54, 28, v58
	v_lshlrev_b64 v[54:55], v54, v[38:39]
	v_lshrrev_b32_e32 v57, 3, v39
	v_sub_u32_e32 v55, 29, v58
	v_and_b32_e32 v54, 7, v54
	v_cmp_gt_u32_e32 vcc, 8, v39
	v_cndmask_b32_e32 v39, v57, v55, vcc
	v_cndmask_b32_e32 v54, v56, v54, vcc
	v_lshlrev_b32_e32 v38, 24, v38
	v_bfrev_b32_e32 v55, 60
	v_lshlrev_b32_e32 v54, 20, v54
	v_and_b32_e32 v38, 0x80000000, v38
	v_lshl_add_u32 v39, v39, 23, v55
	v_or3_b32 v54, v38, v39, v54
.LBB562_153:
	s_or_b64 exec, exec, s[10:11]
.LBB562_154:
	s_or_b64 exec, exec, s[8:9]
.LBB562_155:
	s_or_b64 exec, exec, s[2:3]
	v_cvt_pkrtz_f16_f32 v38, v50, v44
	v_cvt_pkrtz_f16_f32 v39, v43, v52
	v_cmp_ne_u16_sdwa s[8:9], v40, v51 src0_sel:BYTE_0 src1_sel:DWORD
	s_nop 0
	v_mfma_f32_16x16x16f16 v[56:59], v[38:39], v[26:27], 0
	v_cvt_pkrtz_f16_f32 v38, v45, v53
	v_cvt_pkrtz_f16_f32 v39, v42, v54
	s_nop 1
	v_mfma_f32_16x16x16f16 v[42:45], v[38:39], v[28:29], v[56:59]
	s_and_saveexec_b64 s[2:3], s[8:9]
	s_cbranch_execz .LBB562_161
; %bb.156:
	s_movk_i32 s8, 0x80
	v_cmp_ne_u16_sdwa s[10:11], v40, s8 src0_sel:BYTE_0 src1_sel:DWORD
	v_bfrev_b32_e32 v51, 1
	s_and_saveexec_b64 s[8:9], s[10:11]
	s_cbranch_execz .LBB562_160
; %bb.157:
	s_movk_i32 s10, 0x7f
	v_and_b32_e32 v38, 0x7f, v40
	v_cmp_ne_u32_e32 vcc, s10, v38
	v_mov_b32_e32 v51, 0x7f800001
	s_and_saveexec_b64 s[10:11], vcc
	s_cbranch_execz .LBB562_159
; %bb.158:
	v_and_b32_e32 v39, 7, v40
	v_ffbh_u32_e32 v50, v39
	v_min_u32_e32 v53, 32, v50
	v_subrev_u32_e32 v50, 28, v53
	v_lshlrev_b64 v[50:51], v50, v[40:41]
	v_lshrrev_b32_e32 v52, 3, v38
	v_sub_u32_e32 v51, 29, v53
	v_and_b32_e32 v50, 7, v50
	v_cmp_gt_u32_e32 vcc, 8, v38
	v_cndmask_b32_e32 v38, v52, v51, vcc
	v_cndmask_b32_e32 v39, v39, v50, vcc
	v_lshlrev_b32_e32 v50, 24, v40
	v_bfrev_b32_e32 v51, 60
	v_lshlrev_b32_e32 v39, 20, v39
	v_and_b32_e32 v50, 0x80000000, v50
	v_lshl_add_u32 v38, v38, 23, v51
	v_or3_b32 v51, v50, v38, v39
.LBB562_159:
	s_or_b64 exec, exec, s[10:11]
.LBB562_160:
	s_or_b64 exec, exec, s[8:9]
.LBB562_161:
	s_or_b64 exec, exec, s[2:3]
	v_lshrrev_b16_e32 v38, 8, v40
	v_cmp_ne_u16_e32 vcc, 0, v38
	v_mov_b32_e32 v39, 0
	v_mov_b32_e32 v52, 0
	s_and_saveexec_b64 s[2:3], vcc
	s_cbranch_execz .LBB562_167
; %bb.162:
	s_movk_i32 s8, 0x80
	v_cmp_ne_u16_e32 vcc, s8, v38
	v_bfrev_b32_e32 v52, 1
	s_and_saveexec_b64 s[8:9], vcc
	s_cbranch_execz .LBB562_166
; %bb.163:
	s_movk_i32 s10, 0x7f
	v_and_b32_e32 v50, 0x7f, v38
	v_cmp_ne_u32_e32 vcc, s10, v50
	v_mov_b32_e32 v52, 0x7f800001
	s_and_saveexec_b64 s[10:11], vcc
	s_cbranch_execz .LBB562_165
; %bb.164:
	v_and_b32_e32 v54, 7, v38
	v_ffbh_u32_e32 v52, v54
	v_min_u32_e32 v56, 32, v52
	v_subrev_u32_e32 v52, 28, v56
	v_lshlrev_b64 v[52:53], v52, v[38:39]
	v_lshrrev_b32_e32 v55, 3, v50
	v_sub_u32_e32 v38, 29, v56
	v_and_b32_e32 v52, 7, v52
	v_cmp_gt_u32_e32 vcc, 8, v50
	v_cndmask_b32_e32 v38, v55, v38, vcc
	v_cndmask_b32_e32 v50, v54, v52, vcc
	v_lshlrev_b32_e32 v52, 16, v40
	v_bfrev_b32_e32 v53, 60
	v_lshlrev_b32_e32 v50, 20, v50
	v_and_b32_e32 v52, 0x80000000, v52
	v_lshl_add_u32 v38, v38, 23, v53
	v_or3_b32 v52, v52, v38, v50
.LBB562_165:
	s_or_b64 exec, exec, s[10:11]
.LBB562_166:
	s_or_b64 exec, exec, s[8:9]
.LBB562_167:
	s_or_b64 exec, exec, s[2:3]
	s_movk_i32 s2, 0xff
	v_and_b32_sdwa v50, v40, s2 dst_sel:DWORD dst_unused:UNUSED_PAD src0_sel:WORD_1 src1_sel:DWORD
	v_lshrrev_b32_e32 v38, 16, v40
	v_cmp_ne_u16_e32 vcc, 0, v50
	s_and_saveexec_b64 s[2:3], vcc
	s_cbranch_execz .LBB562_173
; %bb.168:
	s_movk_i32 s8, 0x80
	v_cmp_ne_u16_e32 vcc, s8, v50
	v_bfrev_b32_e32 v39, 1
	s_and_saveexec_b64 s[8:9], vcc
	s_cbranch_execz .LBB562_172
; %bb.169:
	v_bfe_u32 v50, v40, 16, 7
	s_movk_i32 s10, 0x7f
	v_cmp_ne_u32_e32 vcc, s10, v50
	v_mov_b32_e32 v39, 0x7f800001
	s_and_saveexec_b64 s[10:11], vcc
	s_cbranch_execz .LBB562_171
; %bb.170:
	v_and_b32_e32 v53, 7, v38
	v_ffbh_u32_e32 v39, v53
	v_min_u32_e32 v55, 32, v39
	v_subrev_u32_e32 v39, 28, v55
	v_lshlrev_b64 v[38:39], v39, v[38:39]
	v_lshrrev_b32_e32 v54, 3, v50
	v_sub_u32_e32 v39, 29, v55
	v_and_b32_e32 v38, 7, v38
	v_cmp_gt_u32_e32 vcc, 8, v50
	v_mov_b32_e32 v50, 24
	v_cndmask_b32_e32 v39, v54, v39, vcc
	v_cndmask_b32_e32 v38, v53, v38, vcc
	v_lshlrev_b32_sdwa v50, v50, v40 dst_sel:DWORD dst_unused:UNUSED_PAD src0_sel:DWORD src1_sel:WORD_1
	v_bfrev_b32_e32 v53, 60
	v_lshlrev_b32_e32 v38, 20, v38
	v_and_b32_e32 v50, 0x80000000, v50
	v_lshl_add_u32 v39, v39, 23, v53
	v_or3_b32 v39, v50, v39, v38
.LBB562_171:
	s_or_b64 exec, exec, s[10:11]
.LBB562_172:
	s_or_b64 exec, exec, s[8:9]
.LBB562_173:
	s_or_b64 exec, exec, s[2:3]
	s_mov_b32 s2, 0xffffff
	v_cmp_lt_u32_e32 vcc, s2, v40
	v_mov_b32_e32 v53, 0
	v_mov_b32_e32 v54, 0
	s_and_saveexec_b64 s[2:3], vcc
	s_cbranch_execz .LBB562_179
; %bb.174:
	v_lshrrev_b32_e32 v38, 24, v40
	s_movk_i32 s8, 0x80
	v_cmp_ne_u32_e32 vcc, s8, v38
	v_bfrev_b32_e32 v54, 1
	s_and_saveexec_b64 s[8:9], vcc
	s_cbranch_execz .LBB562_178
; %bb.175:
	v_bfe_u32 v40, v40, 24, 7
	s_movk_i32 s10, 0x7f
	v_cmp_ne_u32_e32 vcc, s10, v40
	v_mov_b32_e32 v54, 0x7f800001
	s_and_saveexec_b64 s[10:11], vcc
	s_cbranch_execz .LBB562_177
; %bb.176:
	v_and_b32_e32 v50, 7, v38
	v_ffbh_u32_e32 v54, v50
	v_min_u32_e32 v57, 32, v54
	v_subrev_u32_e32 v54, 28, v57
	v_lshlrev_b64 v[54:55], v54, v[38:39]
	v_lshrrev_b32_e32 v56, 3, v40
	v_sub_u32_e32 v55, 29, v57
	v_and_b32_e32 v54, 7, v54
	v_cmp_gt_u32_e32 vcc, 8, v40
	v_cndmask_b32_e32 v40, v56, v55, vcc
	v_cndmask_b32_e32 v50, v50, v54, vcc
	v_lshlrev_b32_e32 v38, 24, v38
	v_bfrev_b32_e32 v54, 60
	v_lshlrev_b32_e32 v50, 20, v50
	v_and_b32_e32 v38, 0x80000000, v38
	v_lshl_add_u32 v40, v40, 23, v54
	v_or3_b32 v54, v38, v40, v50
.LBB562_177:
	s_or_b64 exec, exec, s[10:11]
.LBB562_178:
	s_or_b64 exec, exec, s[8:9]
.LBB562_179:
	s_or_b64 exec, exec, s[2:3]
	v_cmp_ne_u16_sdwa s[8:9], v41, v53 src0_sel:BYTE_0 src1_sel:DWORD
	s_and_saveexec_b64 s[2:3], s[8:9]
	s_cbranch_execz .LBB562_185
; %bb.180:
	s_movk_i32 s8, 0x80
	v_cmp_ne_u16_sdwa s[10:11], v41, s8 src0_sel:BYTE_0 src1_sel:DWORD
	v_bfrev_b32_e32 v53, 1
	s_and_saveexec_b64 s[8:9], s[10:11]
	s_cbranch_execz .LBB562_184
; %bb.181:
	s_movk_i32 s10, 0x7f
	v_and_b32_e32 v38, 0x7f, v41
	v_cmp_ne_u32_e32 vcc, s10, v38
	v_mov_b32_e32 v53, 0x7f800001
	s_and_saveexec_b64 s[10:11], vcc
	s_cbranch_execz .LBB562_183
; %bb.182:
	v_and_b32_e32 v50, 7, v41
	v_ffbh_u32_e32 v55, v50
	v_min_u32_e32 v55, 32, v55
	v_mov_b32_e32 v40, v41
	v_subrev_u32_e32 v56, 28, v55
	v_lshlrev_b64 v[56:57], v56, v[40:41]
	v_lshrrev_b32_e32 v53, 3, v38
	v_sub_u32_e32 v40, 29, v55
	v_and_b32_e32 v55, 7, v56
	v_cmp_gt_u32_e32 vcc, 8, v38
	v_cndmask_b32_e32 v38, v53, v40, vcc
	v_cndmask_b32_e32 v40, v50, v55, vcc
	v_lshlrev_b32_e32 v50, 24, v41
	v_bfrev_b32_e32 v53, 60
	v_lshlrev_b32_e32 v40, 20, v40
	v_and_b32_e32 v50, 0x80000000, v50
	v_lshl_add_u32 v38, v38, 23, v53
	v_or3_b32 v53, v50, v38, v40
.LBB562_183:
	s_or_b64 exec, exec, s[10:11]
.LBB562_184:
	s_or_b64 exec, exec, s[8:9]
.LBB562_185:
	s_or_b64 exec, exec, s[2:3]
	v_lshrrev_b16_e32 v38, 8, v41
	v_cmp_ne_u16_e32 vcc, 0, v38
	v_mov_b32_e32 v40, 0
	v_mov_b32_e32 v55, 0
	s_and_saveexec_b64 s[2:3], vcc
	s_cbranch_execz .LBB562_191
; %bb.186:
	s_movk_i32 s8, 0x80
	v_cmp_ne_u16_e32 vcc, s8, v38
	v_bfrev_b32_e32 v55, 1
	s_and_saveexec_b64 s[8:9], vcc
	s_cbranch_execz .LBB562_190
; %bb.187:
	s_movk_i32 s10, 0x7f
	v_and_b32_e32 v50, 0x7f, v38
	v_cmp_ne_u32_e32 vcc, s10, v50
	v_mov_b32_e32 v55, 0x7f800001
	s_and_saveexec_b64 s[10:11], vcc
	s_cbranch_execz .LBB562_189
; %bb.188:
	v_and_b32_e32 v55, 7, v38
	v_ffbh_u32_e32 v56, v55
	v_min_u32_e32 v59, 32, v56
	v_subrev_u32_e32 v56, 28, v59
	v_lshlrev_b64 v[56:57], v56, v[38:39]
	v_lshrrev_b32_e32 v58, 3, v50
	v_sub_u32_e32 v38, 29, v59
	v_and_b32_e32 v56, 7, v56
	v_cmp_gt_u32_e32 vcc, 8, v50
	v_cndmask_b32_e32 v38, v58, v38, vcc
	v_cndmask_b32_e32 v50, v55, v56, vcc
	v_lshlrev_b32_e32 v55, 16, v41
	v_bfrev_b32_e32 v56, 60
	v_lshlrev_b32_e32 v50, 20, v50
	v_and_b32_e32 v55, 0x80000000, v55
	v_lshl_add_u32 v38, v38, 23, v56
	v_or3_b32 v55, v55, v38, v50
.LBB562_189:
	s_or_b64 exec, exec, s[10:11]
.LBB562_190:
	s_or_b64 exec, exec, s[8:9]
.LBB562_191:
	s_or_b64 exec, exec, s[2:3]
	s_movk_i32 s2, 0xff
	v_and_b32_sdwa v50, v41, s2 dst_sel:DWORD dst_unused:UNUSED_PAD src0_sel:WORD_1 src1_sel:DWORD
	v_lshrrev_b32_e32 v38, 16, v41
	v_cmp_ne_u16_e32 vcc, 0, v50
	s_and_saveexec_b64 s[2:3], vcc
	s_cbranch_execz .LBB562_197
; %bb.192:
	s_movk_i32 s8, 0x80
	v_cmp_ne_u16_e32 vcc, s8, v50
	v_bfrev_b32_e32 v40, 1
	s_and_saveexec_b64 s[8:9], vcc
	s_cbranch_execz .LBB562_196
; %bb.193:
	v_bfe_u32 v50, v41, 16, 7
	s_movk_i32 s10, 0x7f
	v_cmp_ne_u32_e32 vcc, s10, v50
	v_mov_b32_e32 v40, 0x7f800001
	s_and_saveexec_b64 s[10:11], vcc
	s_cbranch_execz .LBB562_195
; %bb.194:
	v_and_b32_e32 v40, 7, v38
	v_ffbh_u32_e32 v56, v40
	v_min_u32_e32 v59, 32, v56
	v_subrev_u32_e32 v56, 28, v59
	v_lshlrev_b64 v[56:57], v56, v[38:39]
	v_lshrrev_b32_e32 v58, 3, v50
	v_sub_u32_e32 v38, 29, v59
	v_and_b32_e32 v56, 7, v56
	v_cmp_gt_u32_e32 vcc, 8, v50
	v_mov_b32_e32 v50, 24
	v_cndmask_b32_e32 v38, v58, v38, vcc
	v_cndmask_b32_e32 v40, v40, v56, vcc
	v_lshlrev_b32_sdwa v50, v50, v41 dst_sel:DWORD dst_unused:UNUSED_PAD src0_sel:DWORD src1_sel:WORD_1
	v_bfrev_b32_e32 v56, 60
	v_lshlrev_b32_e32 v40, 20, v40
	v_and_b32_e32 v50, 0x80000000, v50
	v_lshl_add_u32 v38, v38, 23, v56
	v_or3_b32 v40, v50, v38, v40
.LBB562_195:
	s_or_b64 exec, exec, s[10:11]
.LBB562_196:
	s_or_b64 exec, exec, s[8:9]
.LBB562_197:
	s_or_b64 exec, exec, s[2:3]
	s_mov_b32 s2, 0xffffff
	v_cmp_lt_u32_e32 vcc, s2, v41
	v_mov_b32_e32 v50, 0
	v_mov_b32_e32 v56, 0
	s_and_saveexec_b64 s[2:3], vcc
	s_cbranch_execz .LBB562_203
; %bb.198:
	v_lshrrev_b32_e32 v38, 24, v41
	s_movk_i32 s8, 0x80
	v_cmp_ne_u32_e32 vcc, s8, v38
	v_bfrev_b32_e32 v56, 1
	s_and_saveexec_b64 s[8:9], vcc
	s_cbranch_execz .LBB562_202
; %bb.199:
	v_bfe_u32 v41, v41, 24, 7
	s_movk_i32 s10, 0x7f
	v_cmp_ne_u32_e32 vcc, s10, v41
	v_mov_b32_e32 v56, 0x7f800001
	s_and_saveexec_b64 s[10:11], vcc
	s_cbranch_execz .LBB562_201
; %bb.200:
	v_and_b32_e32 v58, 7, v38
	v_ffbh_u32_e32 v56, v58
	v_min_u32_e32 v60, 32, v56
	v_subrev_u32_e32 v56, 28, v60
	v_lshlrev_b64 v[56:57], v56, v[38:39]
	v_lshrrev_b32_e32 v59, 3, v41
	v_sub_u32_e32 v57, 29, v60
	v_and_b32_e32 v56, 7, v56
	v_cmp_gt_u32_e32 vcc, 8, v41
	v_cndmask_b32_e32 v41, v59, v57, vcc
	v_cndmask_b32_e32 v56, v58, v56, vcc
	v_lshlrev_b32_e32 v38, 24, v38
	v_bfrev_b32_e32 v57, 60
	v_lshlrev_b32_e32 v56, 20, v56
	v_and_b32_e32 v38, 0x80000000, v38
	v_lshl_add_u32 v41, v41, 23, v57
	v_or3_b32 v56, v38, v41, v56
.LBB562_201:
	s_or_b64 exec, exec, s[10:11]
.LBB562_202:
	s_or_b64 exec, exec, s[8:9]
.LBB562_203:
	s_or_b64 exec, exec, s[2:3]
	v_cvt_pkrtz_f16_f32 v38, v51, v52
	v_cvt_pkrtz_f16_f32 v39, v39, v54
	s_waitcnt vmcnt(5)
	v_cmp_ne_u16_sdwa s[8:9], v34, v50 src0_sel:BYTE_0 src1_sel:DWORD
	v_mfma_f32_16x16x16f16 v[42:45], v[38:39], v[18:19], v[42:45]
	v_cvt_pkrtz_f16_f32 v38, v53, v55
	v_cvt_pkrtz_f16_f32 v39, v40, v56
	s_nop 1
	v_mfma_f32_16x16x16f16 v[38:41], v[38:39], v[20:21], v[42:45]
	s_and_saveexec_b64 s[2:3], s[8:9]
	s_cbranch_execz .LBB562_209
; %bb.204:
	s_movk_i32 s8, 0x80
	v_cmp_ne_u16_sdwa s[10:11], v34, s8 src0_sel:BYTE_0 src1_sel:DWORD
	v_bfrev_b32_e32 v50, 1
	s_and_saveexec_b64 s[8:9], s[10:11]
	s_cbranch_execz .LBB562_208
; %bb.205:
	s_movk_i32 s10, 0x7f
	v_and_b32_e32 v42, 0x7f, v34
	v_cmp_ne_u32_e32 vcc, s10, v42
	v_mov_b32_e32 v50, 0x7f800001
	s_and_saveexec_b64 s[10:11], vcc
	s_cbranch_execz .LBB562_207
; %bb.206:
	v_and_b32_e32 v43, 7, v34
	v_ffbh_u32_e32 v44, v43
	v_min_u32_e32 v51, 32, v44
	v_subrev_u32_e32 v44, 28, v51
	v_lshlrev_b64 v[44:45], v44, v[34:35]
	v_lshrrev_b32_e32 v50, 3, v42
	v_sub_u32_e32 v45, 29, v51
	v_and_b32_e32 v44, 7, v44
	v_cmp_gt_u32_e32 vcc, 8, v42
	v_cndmask_b32_e32 v42, v50, v45, vcc
	v_cndmask_b32_e32 v43, v43, v44, vcc
	v_lshlrev_b32_e32 v44, 24, v34
	v_bfrev_b32_e32 v45, 60
	v_lshlrev_b32_e32 v43, 20, v43
	v_and_b32_e32 v44, 0x80000000, v44
	v_lshl_add_u32 v42, v42, 23, v45
	v_or3_b32 v50, v44, v42, v43
.LBB562_207:
	s_or_b64 exec, exec, s[10:11]
.LBB562_208:
	s_or_b64 exec, exec, s[8:9]
.LBB562_209:
	s_or_b64 exec, exec, s[2:3]
	s_nop 3
	v_lshrrev_b16_e32 v42, 8, v34
	v_cmp_ne_u16_e32 vcc, 0, v42
	v_mov_b32_e32 v43, 0
	v_mov_b32_e32 v44, 0
	s_and_saveexec_b64 s[2:3], vcc
	s_cbranch_execz .LBB562_215
; %bb.210:
	s_movk_i32 s8, 0x80
	v_cmp_ne_u16_e32 vcc, s8, v42
	v_bfrev_b32_e32 v44, 1
	s_and_saveexec_b64 s[8:9], vcc
	s_cbranch_execz .LBB562_214
; %bb.211:
	s_movk_i32 s10, 0x7f
	v_and_b32_e32 v45, 0x7f, v42
	v_cmp_ne_u32_e32 vcc, s10, v45
	v_mov_b32_e32 v44, 0x7f800001
	s_and_saveexec_b64 s[10:11], vcc
	s_cbranch_execz .LBB562_213
; %bb.212:
	v_and_b32_e32 v44, 7, v42
	v_ffbh_u32_e32 v52, v44
	v_min_u32_e32 v54, 32, v52
	v_subrev_u32_e32 v52, 28, v54
	v_lshlrev_b64 v[52:53], v52, v[42:43]
	v_lshrrev_b32_e32 v51, 3, v45
	v_sub_u32_e32 v42, 29, v54
	v_and_b32_e32 v52, 7, v52
	v_cmp_gt_u32_e32 vcc, 8, v45
	v_cndmask_b32_e32 v42, v51, v42, vcc
	v_cndmask_b32_e32 v44, v44, v52, vcc
	v_lshlrev_b32_e32 v45, 16, v34
	v_bfrev_b32_e32 v51, 60
	v_lshlrev_b32_e32 v44, 20, v44
	v_and_b32_e32 v45, 0x80000000, v45
	v_lshl_add_u32 v42, v42, 23, v51
	v_or3_b32 v44, v45, v42, v44
.LBB562_213:
	s_or_b64 exec, exec, s[10:11]
.LBB562_214:
	s_or_b64 exec, exec, s[8:9]
.LBB562_215:
	s_or_b64 exec, exec, s[2:3]
	s_movk_i32 s2, 0xff
	v_and_b32_sdwa v45, v34, s2 dst_sel:DWORD dst_unused:UNUSED_PAD src0_sel:WORD_1 src1_sel:DWORD
	v_lshrrev_b32_e32 v42, 16, v34
	v_cmp_ne_u16_e32 vcc, 0, v45
	s_and_saveexec_b64 s[2:3], vcc
	s_cbranch_execz .LBB562_221
; %bb.216:
	s_movk_i32 s8, 0x80
	v_cmp_ne_u16_e32 vcc, s8, v45
	v_bfrev_b32_e32 v43, 1
	s_and_saveexec_b64 s[8:9], vcc
	s_cbranch_execz .LBB562_220
; %bb.217:
	v_bfe_u32 v45, v34, 16, 7
	s_movk_i32 s10, 0x7f
	v_cmp_ne_u32_e32 vcc, s10, v45
	v_mov_b32_e32 v43, 0x7f800001
	s_and_saveexec_b64 s[10:11], vcc
	s_cbranch_execz .LBB562_219
; %bb.218:
	v_and_b32_e32 v51, 7, v42
	v_ffbh_u32_e32 v43, v51
	v_min_u32_e32 v53, 32, v43
	v_subrev_u32_e32 v43, 28, v53
	v_lshlrev_b64 v[42:43], v43, v[42:43]
	v_lshrrev_b32_e32 v52, 3, v45
	v_sub_u32_e32 v43, 29, v53
	v_and_b32_e32 v42, 7, v42
	v_cmp_gt_u32_e32 vcc, 8, v45
	v_mov_b32_e32 v45, 24
	v_cndmask_b32_e32 v43, v52, v43, vcc
	v_cndmask_b32_e32 v42, v51, v42, vcc
	v_lshlrev_b32_sdwa v45, v45, v34 dst_sel:DWORD dst_unused:UNUSED_PAD src0_sel:DWORD src1_sel:WORD_1
	v_bfrev_b32_e32 v51, 60
	v_lshlrev_b32_e32 v42, 20, v42
	v_and_b32_e32 v45, 0x80000000, v45
	v_lshl_add_u32 v43, v43, 23, v51
	v_or3_b32 v43, v45, v43, v42
.LBB562_219:
	s_or_b64 exec, exec, s[10:11]
.LBB562_220:
	s_or_b64 exec, exec, s[8:9]
.LBB562_221:
	s_or_b64 exec, exec, s[2:3]
	s_mov_b32 s2, 0xffffff
	v_cmp_lt_u32_e32 vcc, s2, v34
	v_mov_b32_e32 v45, 0
	v_mov_b32_e32 v52, 0
	s_and_saveexec_b64 s[2:3], vcc
	s_cbranch_execz .LBB562_227
; %bb.222:
	v_lshrrev_b32_e32 v42, 24, v34
	s_movk_i32 s8, 0x80
	v_cmp_ne_u32_e32 vcc, s8, v42
	v_bfrev_b32_e32 v52, 1
	s_and_saveexec_b64 s[8:9], vcc
	s_cbranch_execz .LBB562_226
; %bb.223:
	v_bfe_u32 v34, v34, 24, 7
	s_movk_i32 s10, 0x7f
	v_cmp_ne_u32_e32 vcc, s10, v34
	v_mov_b32_e32 v52, 0x7f800001
	s_and_saveexec_b64 s[10:11], vcc
	s_cbranch_execz .LBB562_225
; %bb.224:
	v_and_b32_e32 v51, 7, v42
	v_ffbh_u32_e32 v52, v51
	v_min_u32_e32 v55, 32, v52
	v_subrev_u32_e32 v52, 28, v55
	v_lshlrev_b64 v[52:53], v52, v[42:43]
	v_lshrrev_b32_e32 v54, 3, v34
	v_sub_u32_e32 v53, 29, v55
	v_and_b32_e32 v52, 7, v52
	v_cmp_gt_u32_e32 vcc, 8, v34
	v_cndmask_b32_e32 v34, v54, v53, vcc
	v_cndmask_b32_e32 v51, v51, v52, vcc
	v_lshlrev_b32_e32 v42, 24, v42
	v_bfrev_b32_e32 v52, 60
	v_lshlrev_b32_e32 v51, 20, v51
	v_and_b32_e32 v42, 0x80000000, v42
	v_lshl_add_u32 v34, v34, 23, v52
	v_or3_b32 v52, v42, v34, v51
.LBB562_225:
	s_or_b64 exec, exec, s[10:11]
.LBB562_226:
	s_or_b64 exec, exec, s[8:9]
.LBB562_227:
	s_or_b64 exec, exec, s[2:3]
	v_cmp_ne_u16_sdwa s[8:9], v35, v45 src0_sel:BYTE_0 src1_sel:DWORD
	s_and_saveexec_b64 s[2:3], s[8:9]
	s_cbranch_execz .LBB562_233
; %bb.228:
	s_movk_i32 s8, 0x80
	v_cmp_ne_u16_sdwa s[10:11], v35, s8 src0_sel:BYTE_0 src1_sel:DWORD
	v_bfrev_b32_e32 v45, 1
	s_and_saveexec_b64 s[8:9], s[10:11]
	s_cbranch_execz .LBB562_232
; %bb.229:
	s_movk_i32 s10, 0x7f
	v_and_b32_e32 v34, 0x7f, v35
	v_cmp_ne_u32_e32 vcc, s10, v34
	v_mov_b32_e32 v45, 0x7f800001
	s_and_saveexec_b64 s[10:11], vcc
	s_cbranch_execz .LBB562_231
; %bb.230:
	v_and_b32_e32 v45, 7, v35
	v_ffbh_u32_e32 v53, v45
	v_min_u32_e32 v53, 32, v53
	v_mov_b32_e32 v42, v35
	v_subrev_u32_e32 v54, 28, v53
	v_lshlrev_b64 v[54:55], v54, v[42:43]
	v_lshrrev_b32_e32 v51, 3, v34
	v_sub_u32_e32 v42, 29, v53
	v_and_b32_e32 v53, 7, v54
	v_cmp_gt_u32_e32 vcc, 8, v34
	v_cndmask_b32_e32 v34, v51, v42, vcc
	v_cndmask_b32_e32 v42, v45, v53, vcc
	v_lshlrev_b32_e32 v45, 24, v35
	v_bfrev_b32_e32 v51, 60
	v_lshlrev_b32_e32 v42, 20, v42
	v_and_b32_e32 v45, 0x80000000, v45
	v_lshl_add_u32 v34, v34, 23, v51
	v_or3_b32 v45, v45, v34, v42
.LBB562_231:
	s_or_b64 exec, exec, s[10:11]
.LBB562_232:
	s_or_b64 exec, exec, s[8:9]
.LBB562_233:
	s_or_b64 exec, exec, s[2:3]
	v_lshrrev_b16_e32 v34, 8, v35
	v_cmp_ne_u16_e32 vcc, 0, v34
	v_mov_b32_e32 v42, 0
	v_mov_b32_e32 v53, 0
	s_and_saveexec_b64 s[2:3], vcc
	s_cbranch_execz .LBB562_239
; %bb.234:
	s_movk_i32 s8, 0x80
	v_cmp_ne_u16_e32 vcc, s8, v34
	v_bfrev_b32_e32 v53, 1
	s_and_saveexec_b64 s[8:9], vcc
	s_cbranch_execz .LBB562_238
; %bb.235:
	s_movk_i32 s10, 0x7f
	v_and_b32_e32 v51, 0x7f, v34
	v_cmp_ne_u32_e32 vcc, s10, v51
	v_mov_b32_e32 v53, 0x7f800001
	s_and_saveexec_b64 s[10:11], vcc
	s_cbranch_execz .LBB562_237
; %bb.236:
	v_and_b32_e32 v53, 7, v34
	v_ffbh_u32_e32 v54, v53
	v_min_u32_e32 v57, 32, v54
	v_subrev_u32_e32 v54, 28, v57
	v_lshlrev_b64 v[54:55], v54, v[34:35]
	v_lshrrev_b32_e32 v56, 3, v51
	v_sub_u32_e32 v34, 29, v57
	v_and_b32_e32 v54, 7, v54
	v_cmp_gt_u32_e32 vcc, 8, v51
	v_cndmask_b32_e32 v34, v56, v34, vcc
	v_cndmask_b32_e32 v51, v53, v54, vcc
	v_lshlrev_b32_e32 v53, 16, v35
	v_bfrev_b32_e32 v54, 60
	v_lshlrev_b32_e32 v51, 20, v51
	v_and_b32_e32 v53, 0x80000000, v53
	v_lshl_add_u32 v34, v34, 23, v54
	v_or3_b32 v53, v53, v34, v51
.LBB562_237:
	s_or_b64 exec, exec, s[10:11]
.LBB562_238:
	s_or_b64 exec, exec, s[8:9]
.LBB562_239:
	s_or_b64 exec, exec, s[2:3]
	s_movk_i32 s2, 0xff
	v_and_b32_sdwa v51, v35, s2 dst_sel:DWORD dst_unused:UNUSED_PAD src0_sel:WORD_1 src1_sel:DWORD
	v_lshrrev_b32_e32 v34, 16, v35
	v_cmp_ne_u16_e32 vcc, 0, v51
	s_and_saveexec_b64 s[2:3], vcc
	s_cbranch_execz .LBB562_245
; %bb.240:
	s_movk_i32 s8, 0x80
	v_cmp_ne_u16_e32 vcc, s8, v51
	v_bfrev_b32_e32 v42, 1
	s_and_saveexec_b64 s[8:9], vcc
	s_cbranch_execz .LBB562_244
; %bb.241:
	v_bfe_u32 v51, v35, 16, 7
	s_movk_i32 s10, 0x7f
	v_cmp_ne_u32_e32 vcc, s10, v51
	v_mov_b32_e32 v42, 0x7f800001
	s_and_saveexec_b64 s[10:11], vcc
	s_cbranch_execz .LBB562_243
; %bb.242:
	v_and_b32_e32 v42, 7, v34
	v_ffbh_u32_e32 v54, v42
	v_min_u32_e32 v57, 32, v54
	v_subrev_u32_e32 v54, 28, v57
	v_lshlrev_b64 v[54:55], v54, v[34:35]
	v_lshrrev_b32_e32 v56, 3, v51
	v_sub_u32_e32 v34, 29, v57
	v_and_b32_e32 v54, 7, v54
	v_cmp_gt_u32_e32 vcc, 8, v51
	v_mov_b32_e32 v51, 24
	v_cndmask_b32_e32 v34, v56, v34, vcc
	v_cndmask_b32_e32 v42, v42, v54, vcc
	v_lshlrev_b32_sdwa v51, v51, v35 dst_sel:DWORD dst_unused:UNUSED_PAD src0_sel:DWORD src1_sel:WORD_1
	v_bfrev_b32_e32 v54, 60
	v_lshlrev_b32_e32 v42, 20, v42
	v_and_b32_e32 v51, 0x80000000, v51
	v_lshl_add_u32 v34, v34, 23, v54
	v_or3_b32 v42, v51, v34, v42
.LBB562_243:
	s_or_b64 exec, exec, s[10:11]
.LBB562_244:
	s_or_b64 exec, exec, s[8:9]
.LBB562_245:
	s_or_b64 exec, exec, s[2:3]
	s_mov_b32 s2, 0xffffff
	v_cmp_lt_u32_e32 vcc, s2, v35
	v_mov_b32_e32 v51, 0
	v_mov_b32_e32 v54, 0
	s_and_saveexec_b64 s[2:3], vcc
	s_cbranch_execz .LBB562_251
; %bb.246:
	v_lshrrev_b32_e32 v34, 24, v35
	s_movk_i32 s8, 0x80
	v_cmp_ne_u32_e32 vcc, s8, v34
	v_bfrev_b32_e32 v54, 1
	s_and_saveexec_b64 s[8:9], vcc
	s_cbranch_execz .LBB562_250
; %bb.247:
	v_bfe_u32 v35, v35, 24, 7
	s_movk_i32 s10, 0x7f
	v_cmp_ne_u32_e32 vcc, s10, v35
	v_mov_b32_e32 v54, 0x7f800001
	s_and_saveexec_b64 s[10:11], vcc
	s_cbranch_execz .LBB562_249
; %bb.248:
	v_and_b32_e32 v56, 7, v34
	v_ffbh_u32_e32 v54, v56
	v_min_u32_e32 v58, 32, v54
	v_subrev_u32_e32 v54, 28, v58
	v_lshlrev_b64 v[54:55], v54, v[34:35]
	v_lshrrev_b32_e32 v57, 3, v35
	v_sub_u32_e32 v55, 29, v58
	v_and_b32_e32 v54, 7, v54
	v_cmp_gt_u32_e32 vcc, 8, v35
	v_cndmask_b32_e32 v35, v57, v55, vcc
	v_cndmask_b32_e32 v54, v56, v54, vcc
	v_lshlrev_b32_e32 v34, 24, v34
	v_bfrev_b32_e32 v55, 60
	v_lshlrev_b32_e32 v54, 20, v54
	v_and_b32_e32 v34, 0x80000000, v34
	v_lshl_add_u32 v35, v35, 23, v55
	v_or3_b32 v54, v34, v35, v54
.LBB562_249:
	s_or_b64 exec, exec, s[10:11]
.LBB562_250:
	s_or_b64 exec, exec, s[8:9]
.LBB562_251:
	s_or_b64 exec, exec, s[2:3]
	v_cvt_pkrtz_f16_f32 v34, v50, v44
	v_cvt_pkrtz_f16_f32 v35, v43, v52
	v_cmp_ne_u16_sdwa s[8:9], v36, v51 src0_sel:BYTE_0 src1_sel:DWORD
	s_nop 0
	v_mfma_f32_16x16x16f16 v[56:59], v[34:35], v[26:27], 0
	v_cvt_pkrtz_f16_f32 v34, v45, v53
	v_cvt_pkrtz_f16_f32 v35, v42, v54
	s_nop 1
	v_mfma_f32_16x16x16f16 v[42:45], v[34:35], v[28:29], v[56:59]
	s_and_saveexec_b64 s[2:3], s[8:9]
	s_cbranch_execz .LBB562_257
; %bb.252:
	s_movk_i32 s8, 0x80
	v_cmp_ne_u16_sdwa s[10:11], v36, s8 src0_sel:BYTE_0 src1_sel:DWORD
	v_bfrev_b32_e32 v51, 1
	s_and_saveexec_b64 s[8:9], s[10:11]
	s_cbranch_execz .LBB562_256
; %bb.253:
	s_movk_i32 s10, 0x7f
	v_and_b32_e32 v34, 0x7f, v36
	v_cmp_ne_u32_e32 vcc, s10, v34
	v_mov_b32_e32 v51, 0x7f800001
	s_and_saveexec_b64 s[10:11], vcc
	s_cbranch_execz .LBB562_255
; %bb.254:
	v_and_b32_e32 v35, 7, v36
	v_ffbh_u32_e32 v50, v35
	v_min_u32_e32 v53, 32, v50
	v_subrev_u32_e32 v50, 28, v53
	v_lshlrev_b64 v[50:51], v50, v[36:37]
	v_lshrrev_b32_e32 v52, 3, v34
	v_sub_u32_e32 v51, 29, v53
	v_and_b32_e32 v50, 7, v50
	v_cmp_gt_u32_e32 vcc, 8, v34
	v_cndmask_b32_e32 v34, v52, v51, vcc
	v_cndmask_b32_e32 v35, v35, v50, vcc
	v_lshlrev_b32_e32 v50, 24, v36
	v_bfrev_b32_e32 v51, 60
	v_lshlrev_b32_e32 v35, 20, v35
	v_and_b32_e32 v50, 0x80000000, v50
	v_lshl_add_u32 v34, v34, 23, v51
	v_or3_b32 v51, v50, v34, v35
.LBB562_255:
	s_or_b64 exec, exec, s[10:11]
.LBB562_256:
	s_or_b64 exec, exec, s[8:9]
.LBB562_257:
	s_or_b64 exec, exec, s[2:3]
	v_lshrrev_b16_e32 v34, 8, v36
	v_cmp_ne_u16_e32 vcc, 0, v34
	v_mov_b32_e32 v35, 0
	v_mov_b32_e32 v52, 0
	s_and_saveexec_b64 s[2:3], vcc
	s_cbranch_execz .LBB562_263
; %bb.258:
	s_movk_i32 s8, 0x80
	v_cmp_ne_u16_e32 vcc, s8, v34
	v_bfrev_b32_e32 v52, 1
	s_and_saveexec_b64 s[8:9], vcc
	s_cbranch_execz .LBB562_262
; %bb.259:
	s_movk_i32 s10, 0x7f
	v_and_b32_e32 v50, 0x7f, v34
	v_cmp_ne_u32_e32 vcc, s10, v50
	v_mov_b32_e32 v52, 0x7f800001
	s_and_saveexec_b64 s[10:11], vcc
	s_cbranch_execz .LBB562_261
; %bb.260:
	v_and_b32_e32 v54, 7, v34
	v_ffbh_u32_e32 v52, v54
	v_min_u32_e32 v56, 32, v52
	v_subrev_u32_e32 v52, 28, v56
	v_lshlrev_b64 v[52:53], v52, v[34:35]
	v_lshrrev_b32_e32 v55, 3, v50
	v_sub_u32_e32 v34, 29, v56
	v_and_b32_e32 v52, 7, v52
	v_cmp_gt_u32_e32 vcc, 8, v50
	v_cndmask_b32_e32 v34, v55, v34, vcc
	v_cndmask_b32_e32 v50, v54, v52, vcc
	v_lshlrev_b32_e32 v52, 16, v36
	v_bfrev_b32_e32 v53, 60
	v_lshlrev_b32_e32 v50, 20, v50
	v_and_b32_e32 v52, 0x80000000, v52
	v_lshl_add_u32 v34, v34, 23, v53
	v_or3_b32 v52, v52, v34, v50
.LBB562_261:
	s_or_b64 exec, exec, s[10:11]
.LBB562_262:
	s_or_b64 exec, exec, s[8:9]
.LBB562_263:
	s_or_b64 exec, exec, s[2:3]
	s_movk_i32 s2, 0xff
	v_and_b32_sdwa v50, v36, s2 dst_sel:DWORD dst_unused:UNUSED_PAD src0_sel:WORD_1 src1_sel:DWORD
	v_lshrrev_b32_e32 v34, 16, v36
	v_cmp_ne_u16_e32 vcc, 0, v50
	s_and_saveexec_b64 s[2:3], vcc
	s_cbranch_execz .LBB562_269
; %bb.264:
	s_movk_i32 s8, 0x80
	v_cmp_ne_u16_e32 vcc, s8, v50
	v_bfrev_b32_e32 v35, 1
	s_and_saveexec_b64 s[8:9], vcc
	s_cbranch_execz .LBB562_268
; %bb.265:
	v_bfe_u32 v50, v36, 16, 7
	s_movk_i32 s10, 0x7f
	v_cmp_ne_u32_e32 vcc, s10, v50
	v_mov_b32_e32 v35, 0x7f800001
	s_and_saveexec_b64 s[10:11], vcc
	s_cbranch_execz .LBB562_267
; %bb.266:
	v_and_b32_e32 v53, 7, v34
	v_ffbh_u32_e32 v35, v53
	v_min_u32_e32 v55, 32, v35
	v_subrev_u32_e32 v35, 28, v55
	v_lshlrev_b64 v[34:35], v35, v[34:35]
	v_lshrrev_b32_e32 v54, 3, v50
	v_sub_u32_e32 v35, 29, v55
	v_and_b32_e32 v34, 7, v34
	v_cmp_gt_u32_e32 vcc, 8, v50
	v_mov_b32_e32 v50, 24
	v_cndmask_b32_e32 v35, v54, v35, vcc
	v_cndmask_b32_e32 v34, v53, v34, vcc
	v_lshlrev_b32_sdwa v50, v50, v36 dst_sel:DWORD dst_unused:UNUSED_PAD src0_sel:DWORD src1_sel:WORD_1
	v_bfrev_b32_e32 v53, 60
	v_lshlrev_b32_e32 v34, 20, v34
	v_and_b32_e32 v50, 0x80000000, v50
	v_lshl_add_u32 v35, v35, 23, v53
	v_or3_b32 v35, v50, v35, v34
.LBB562_267:
	s_or_b64 exec, exec, s[10:11]
.LBB562_268:
	s_or_b64 exec, exec, s[8:9]
.LBB562_269:
	s_or_b64 exec, exec, s[2:3]
	s_mov_b32 s2, 0xffffff
	v_cmp_lt_u32_e32 vcc, s2, v36
	v_mov_b32_e32 v53, 0
	v_mov_b32_e32 v54, 0
	s_and_saveexec_b64 s[2:3], vcc
	s_cbranch_execz .LBB562_275
; %bb.270:
	v_lshrrev_b32_e32 v34, 24, v36
	s_movk_i32 s8, 0x80
	v_cmp_ne_u32_e32 vcc, s8, v34
	v_bfrev_b32_e32 v54, 1
	s_and_saveexec_b64 s[8:9], vcc
	s_cbranch_execz .LBB562_274
; %bb.271:
	v_bfe_u32 v36, v36, 24, 7
	s_movk_i32 s10, 0x7f
	v_cmp_ne_u32_e32 vcc, s10, v36
	v_mov_b32_e32 v54, 0x7f800001
	s_and_saveexec_b64 s[10:11], vcc
	s_cbranch_execz .LBB562_273
; %bb.272:
	v_and_b32_e32 v50, 7, v34
	v_ffbh_u32_e32 v54, v50
	v_min_u32_e32 v57, 32, v54
	v_subrev_u32_e32 v54, 28, v57
	v_lshlrev_b64 v[54:55], v54, v[34:35]
	v_lshrrev_b32_e32 v56, 3, v36
	v_sub_u32_e32 v55, 29, v57
	v_and_b32_e32 v54, 7, v54
	v_cmp_gt_u32_e32 vcc, 8, v36
	v_cndmask_b32_e32 v36, v56, v55, vcc
	v_cndmask_b32_e32 v50, v50, v54, vcc
	v_lshlrev_b32_e32 v34, 24, v34
	v_bfrev_b32_e32 v54, 60
	v_lshlrev_b32_e32 v50, 20, v50
	v_and_b32_e32 v34, 0x80000000, v34
	v_lshl_add_u32 v36, v36, 23, v54
	v_or3_b32 v54, v34, v36, v50
.LBB562_273:
	s_or_b64 exec, exec, s[10:11]
.LBB562_274:
	s_or_b64 exec, exec, s[8:9]
.LBB562_275:
	s_or_b64 exec, exec, s[2:3]
	v_cmp_ne_u16_sdwa s[8:9], v37, v53 src0_sel:BYTE_0 src1_sel:DWORD
	s_and_saveexec_b64 s[2:3], s[8:9]
	s_cbranch_execz .LBB562_281
; %bb.276:
	s_movk_i32 s8, 0x80
	v_cmp_ne_u16_sdwa s[10:11], v37, s8 src0_sel:BYTE_0 src1_sel:DWORD
	v_bfrev_b32_e32 v53, 1
	s_and_saveexec_b64 s[8:9], s[10:11]
	s_cbranch_execz .LBB562_280
; %bb.277:
	s_movk_i32 s10, 0x7f
	v_and_b32_e32 v34, 0x7f, v37
	v_cmp_ne_u32_e32 vcc, s10, v34
	v_mov_b32_e32 v53, 0x7f800001
	s_and_saveexec_b64 s[10:11], vcc
	s_cbranch_execz .LBB562_279
; %bb.278:
	v_and_b32_e32 v50, 7, v37
	v_ffbh_u32_e32 v55, v50
	v_min_u32_e32 v55, 32, v55
	v_mov_b32_e32 v36, v37
	v_subrev_u32_e32 v56, 28, v55
	v_lshlrev_b64 v[56:57], v56, v[36:37]
	v_lshrrev_b32_e32 v53, 3, v34
	v_sub_u32_e32 v36, 29, v55
	v_and_b32_e32 v55, 7, v56
	v_cmp_gt_u32_e32 vcc, 8, v34
	v_cndmask_b32_e32 v34, v53, v36, vcc
	v_cndmask_b32_e32 v36, v50, v55, vcc
	v_lshlrev_b32_e32 v50, 24, v37
	v_bfrev_b32_e32 v53, 60
	v_lshlrev_b32_e32 v36, 20, v36
	v_and_b32_e32 v50, 0x80000000, v50
	v_lshl_add_u32 v34, v34, 23, v53
	v_or3_b32 v53, v50, v34, v36
.LBB562_279:
	s_or_b64 exec, exec, s[10:11]
.LBB562_280:
	s_or_b64 exec, exec, s[8:9]
.LBB562_281:
	s_or_b64 exec, exec, s[2:3]
	v_lshrrev_b16_e32 v34, 8, v37
	v_cmp_ne_u16_e32 vcc, 0, v34
	v_mov_b32_e32 v36, 0
	v_mov_b32_e32 v55, 0
	s_and_saveexec_b64 s[2:3], vcc
	s_cbranch_execz .LBB562_287
; %bb.282:
	s_movk_i32 s8, 0x80
	v_cmp_ne_u16_e32 vcc, s8, v34
	v_bfrev_b32_e32 v55, 1
	s_and_saveexec_b64 s[8:9], vcc
	s_cbranch_execz .LBB562_286
; %bb.283:
	s_movk_i32 s10, 0x7f
	v_and_b32_e32 v50, 0x7f, v34
	v_cmp_ne_u32_e32 vcc, s10, v50
	v_mov_b32_e32 v55, 0x7f800001
	s_and_saveexec_b64 s[10:11], vcc
	s_cbranch_execz .LBB562_285
; %bb.284:
	v_and_b32_e32 v55, 7, v34
	v_ffbh_u32_e32 v56, v55
	v_min_u32_e32 v59, 32, v56
	v_subrev_u32_e32 v56, 28, v59
	v_lshlrev_b64 v[56:57], v56, v[34:35]
	v_lshrrev_b32_e32 v58, 3, v50
	v_sub_u32_e32 v34, 29, v59
	v_and_b32_e32 v56, 7, v56
	v_cmp_gt_u32_e32 vcc, 8, v50
	v_cndmask_b32_e32 v34, v58, v34, vcc
	v_cndmask_b32_e32 v50, v55, v56, vcc
	v_lshlrev_b32_e32 v55, 16, v37
	v_bfrev_b32_e32 v56, 60
	v_lshlrev_b32_e32 v50, 20, v50
	v_and_b32_e32 v55, 0x80000000, v55
	v_lshl_add_u32 v34, v34, 23, v56
	v_or3_b32 v55, v55, v34, v50
.LBB562_285:
	s_or_b64 exec, exec, s[10:11]
.LBB562_286:
	s_or_b64 exec, exec, s[8:9]
.LBB562_287:
	s_or_b64 exec, exec, s[2:3]
	s_movk_i32 s2, 0xff
	v_and_b32_sdwa v50, v37, s2 dst_sel:DWORD dst_unused:UNUSED_PAD src0_sel:WORD_1 src1_sel:DWORD
	v_lshrrev_b32_e32 v34, 16, v37
	v_cmp_ne_u16_e32 vcc, 0, v50
	s_and_saveexec_b64 s[2:3], vcc
	s_cbranch_execz .LBB562_293
; %bb.288:
	s_movk_i32 s8, 0x80
	v_cmp_ne_u16_e32 vcc, s8, v50
	v_bfrev_b32_e32 v36, 1
	s_and_saveexec_b64 s[8:9], vcc
	s_cbranch_execz .LBB562_292
; %bb.289:
	v_bfe_u32 v50, v37, 16, 7
	s_movk_i32 s10, 0x7f
	v_cmp_ne_u32_e32 vcc, s10, v50
	v_mov_b32_e32 v36, 0x7f800001
	s_and_saveexec_b64 s[10:11], vcc
	s_cbranch_execz .LBB562_291
; %bb.290:
	v_and_b32_e32 v36, 7, v34
	v_ffbh_u32_e32 v56, v36
	v_min_u32_e32 v59, 32, v56
	v_subrev_u32_e32 v56, 28, v59
	v_lshlrev_b64 v[56:57], v56, v[34:35]
	v_lshrrev_b32_e32 v58, 3, v50
	v_sub_u32_e32 v34, 29, v59
	v_and_b32_e32 v56, 7, v56
	v_cmp_gt_u32_e32 vcc, 8, v50
	v_mov_b32_e32 v50, 24
	v_cndmask_b32_e32 v34, v58, v34, vcc
	v_cndmask_b32_e32 v36, v36, v56, vcc
	v_lshlrev_b32_sdwa v50, v50, v37 dst_sel:DWORD dst_unused:UNUSED_PAD src0_sel:DWORD src1_sel:WORD_1
	v_bfrev_b32_e32 v56, 60
	v_lshlrev_b32_e32 v36, 20, v36
	v_and_b32_e32 v50, 0x80000000, v50
	v_lshl_add_u32 v34, v34, 23, v56
	v_or3_b32 v36, v50, v34, v36
.LBB562_291:
	s_or_b64 exec, exec, s[10:11]
.LBB562_292:
	s_or_b64 exec, exec, s[8:9]
.LBB562_293:
	s_or_b64 exec, exec, s[2:3]
	s_mov_b32 s2, 0xffffff
	v_cmp_lt_u32_e32 vcc, s2, v37
	v_mov_b32_e32 v50, 0
	v_mov_b32_e32 v56, 0
	s_and_saveexec_b64 s[2:3], vcc
	s_cbranch_execz .LBB562_299
; %bb.294:
	v_lshrrev_b32_e32 v34, 24, v37
	s_movk_i32 s8, 0x80
	v_cmp_ne_u32_e32 vcc, s8, v34
	v_bfrev_b32_e32 v56, 1
	s_and_saveexec_b64 s[8:9], vcc
	s_cbranch_execz .LBB562_298
; %bb.295:
	v_bfe_u32 v37, v37, 24, 7
	s_movk_i32 s10, 0x7f
	v_cmp_ne_u32_e32 vcc, s10, v37
	v_mov_b32_e32 v56, 0x7f800001
	s_and_saveexec_b64 s[10:11], vcc
	s_cbranch_execz .LBB562_297
; %bb.296:
	v_and_b32_e32 v58, 7, v34
	v_ffbh_u32_e32 v56, v58
	v_min_u32_e32 v60, 32, v56
	v_subrev_u32_e32 v56, 28, v60
	v_lshlrev_b64 v[56:57], v56, v[34:35]
	v_lshrrev_b32_e32 v59, 3, v37
	v_sub_u32_e32 v57, 29, v60
	v_and_b32_e32 v56, 7, v56
	v_cmp_gt_u32_e32 vcc, 8, v37
	v_cndmask_b32_e32 v37, v59, v57, vcc
	v_cndmask_b32_e32 v56, v58, v56, vcc
	v_lshlrev_b32_e32 v34, 24, v34
	v_bfrev_b32_e32 v57, 60
	v_lshlrev_b32_e32 v56, 20, v56
	v_and_b32_e32 v34, 0x80000000, v34
	v_lshl_add_u32 v37, v37, 23, v57
	v_or3_b32 v56, v34, v37, v56
.LBB562_297:
	s_or_b64 exec, exec, s[10:11]
.LBB562_298:
	s_or_b64 exec, exec, s[8:9]
.LBB562_299:
	s_or_b64 exec, exec, s[2:3]
	v_cvt_pkrtz_f16_f32 v34, v51, v52
	v_cvt_pkrtz_f16_f32 v35, v35, v54
	s_waitcnt vmcnt(4)
	v_cmp_ne_u16_sdwa s[8:9], v22, v50 src0_sel:BYTE_0 src1_sel:DWORD
	v_mfma_f32_16x16x16f16 v[42:45], v[34:35], v[18:19], v[42:45]
	v_cvt_pkrtz_f16_f32 v34, v53, v55
	v_cvt_pkrtz_f16_f32 v35, v36, v56
	s_nop 1
	v_mfma_f32_16x16x16f16 v[34:37], v[34:35], v[20:21], v[42:45]
	s_and_saveexec_b64 s[2:3], s[8:9]
	s_cbranch_execz .LBB562_305
; %bb.300:
	s_movk_i32 s8, 0x80
	v_cmp_ne_u16_sdwa s[10:11], v22, s8 src0_sel:BYTE_0 src1_sel:DWORD
	v_bfrev_b32_e32 v50, 1
	s_and_saveexec_b64 s[8:9], s[10:11]
	s_cbranch_execz .LBB562_304
; %bb.301:
	s_movk_i32 s10, 0x7f
	v_and_b32_e32 v42, 0x7f, v22
	v_cmp_ne_u32_e32 vcc, s10, v42
	v_mov_b32_e32 v50, 0x7f800001
	s_and_saveexec_b64 s[10:11], vcc
	s_cbranch_execz .LBB562_303
; %bb.302:
	v_and_b32_e32 v43, 7, v22
	v_ffbh_u32_e32 v44, v43
	v_min_u32_e32 v51, 32, v44
	v_subrev_u32_e32 v44, 28, v51
	v_lshlrev_b64 v[44:45], v44, v[22:23]
	v_lshrrev_b32_e32 v50, 3, v42
	v_sub_u32_e32 v45, 29, v51
	v_and_b32_e32 v44, 7, v44
	v_cmp_gt_u32_e32 vcc, 8, v42
	v_cndmask_b32_e32 v42, v50, v45, vcc
	v_cndmask_b32_e32 v43, v43, v44, vcc
	v_lshlrev_b32_e32 v44, 24, v22
	v_bfrev_b32_e32 v45, 60
	v_lshlrev_b32_e32 v43, 20, v43
	v_and_b32_e32 v44, 0x80000000, v44
	v_lshl_add_u32 v42, v42, 23, v45
	v_or3_b32 v50, v44, v42, v43
.LBB562_303:
	s_or_b64 exec, exec, s[10:11]
.LBB562_304:
	s_or_b64 exec, exec, s[8:9]
.LBB562_305:
	s_or_b64 exec, exec, s[2:3]
	s_nop 3
	v_lshrrev_b16_e32 v42, 8, v22
	v_cmp_ne_u16_e32 vcc, 0, v42
	v_mov_b32_e32 v43, 0
	v_mov_b32_e32 v44, 0
	s_and_saveexec_b64 s[2:3], vcc
	s_cbranch_execz .LBB562_311
; %bb.306:
	s_movk_i32 s8, 0x80
	v_cmp_ne_u16_e32 vcc, s8, v42
	v_bfrev_b32_e32 v44, 1
	s_and_saveexec_b64 s[8:9], vcc
	s_cbranch_execz .LBB562_310
; %bb.307:
	s_movk_i32 s10, 0x7f
	v_and_b32_e32 v45, 0x7f, v42
	v_cmp_ne_u32_e32 vcc, s10, v45
	v_mov_b32_e32 v44, 0x7f800001
	s_and_saveexec_b64 s[10:11], vcc
	s_cbranch_execz .LBB562_309
; %bb.308:
	v_and_b32_e32 v44, 7, v42
	v_ffbh_u32_e32 v52, v44
	v_min_u32_e32 v54, 32, v52
	v_subrev_u32_e32 v52, 28, v54
	v_lshlrev_b64 v[52:53], v52, v[42:43]
	v_lshrrev_b32_e32 v51, 3, v45
	v_sub_u32_e32 v42, 29, v54
	v_and_b32_e32 v52, 7, v52
	v_cmp_gt_u32_e32 vcc, 8, v45
	v_cndmask_b32_e32 v42, v51, v42, vcc
	v_cndmask_b32_e32 v44, v44, v52, vcc
	v_lshlrev_b32_e32 v45, 16, v22
	v_bfrev_b32_e32 v51, 60
	v_lshlrev_b32_e32 v44, 20, v44
	v_and_b32_e32 v45, 0x80000000, v45
	v_lshl_add_u32 v42, v42, 23, v51
	v_or3_b32 v44, v45, v42, v44
.LBB562_309:
	s_or_b64 exec, exec, s[10:11]
.LBB562_310:
	s_or_b64 exec, exec, s[8:9]
.LBB562_311:
	s_or_b64 exec, exec, s[2:3]
	s_movk_i32 s2, 0xff
	v_and_b32_sdwa v45, v22, s2 dst_sel:DWORD dst_unused:UNUSED_PAD src0_sel:WORD_1 src1_sel:DWORD
	v_lshrrev_b32_e32 v42, 16, v22
	v_cmp_ne_u16_e32 vcc, 0, v45
	s_and_saveexec_b64 s[2:3], vcc
	s_cbranch_execz .LBB562_317
; %bb.312:
	s_movk_i32 s8, 0x80
	v_cmp_ne_u16_e32 vcc, s8, v45
	v_bfrev_b32_e32 v43, 1
	s_and_saveexec_b64 s[8:9], vcc
	s_cbranch_execz .LBB562_316
; %bb.313:
	v_bfe_u32 v45, v22, 16, 7
	s_movk_i32 s10, 0x7f
	v_cmp_ne_u32_e32 vcc, s10, v45
	v_mov_b32_e32 v43, 0x7f800001
	s_and_saveexec_b64 s[10:11], vcc
	s_cbranch_execz .LBB562_315
; %bb.314:
	v_and_b32_e32 v51, 7, v42
	v_ffbh_u32_e32 v43, v51
	v_min_u32_e32 v53, 32, v43
	v_subrev_u32_e32 v43, 28, v53
	v_lshlrev_b64 v[42:43], v43, v[42:43]
	v_lshrrev_b32_e32 v52, 3, v45
	v_sub_u32_e32 v43, 29, v53
	v_and_b32_e32 v42, 7, v42
	v_cmp_gt_u32_e32 vcc, 8, v45
	v_mov_b32_e32 v45, 24
	v_cndmask_b32_e32 v43, v52, v43, vcc
	v_cndmask_b32_e32 v42, v51, v42, vcc
	v_lshlrev_b32_sdwa v45, v45, v22 dst_sel:DWORD dst_unused:UNUSED_PAD src0_sel:DWORD src1_sel:WORD_1
	v_bfrev_b32_e32 v51, 60
	v_lshlrev_b32_e32 v42, 20, v42
	v_and_b32_e32 v45, 0x80000000, v45
	v_lshl_add_u32 v43, v43, 23, v51
	v_or3_b32 v43, v45, v43, v42
.LBB562_315:
	s_or_b64 exec, exec, s[10:11]
.LBB562_316:
	s_or_b64 exec, exec, s[8:9]
.LBB562_317:
	s_or_b64 exec, exec, s[2:3]
	s_mov_b32 s2, 0xffffff
	v_cmp_lt_u32_e32 vcc, s2, v22
	v_mov_b32_e32 v45, 0
	v_mov_b32_e32 v51, 0
	s_and_saveexec_b64 s[2:3], vcc
	s_cbranch_execz .LBB562_323
; %bb.318:
	v_lshrrev_b32_e32 v42, 24, v22
	s_movk_i32 s8, 0x80
	v_cmp_ne_u32_e32 vcc, s8, v42
	v_bfrev_b32_e32 v51, 1
	s_and_saveexec_b64 s[8:9], vcc
	s_cbranch_execz .LBB562_322
; %bb.319:
	v_bfe_u32 v22, v22, 24, 7
	s_movk_i32 s10, 0x7f
	v_cmp_ne_u32_e32 vcc, s10, v22
	v_mov_b32_e32 v51, 0x7f800001
	s_and_saveexec_b64 s[10:11], vcc
	s_cbranch_execz .LBB562_321
; %bb.320:
	v_and_b32_e32 v51, 7, v42
	v_ffbh_u32_e32 v52, v51
	v_min_u32_e32 v55, 32, v52
	v_subrev_u32_e32 v52, 28, v55
	v_lshlrev_b64 v[52:53], v52, v[42:43]
	v_lshrrev_b32_e32 v54, 3, v22
	v_sub_u32_e32 v53, 29, v55
	v_and_b32_e32 v52, 7, v52
	v_cmp_gt_u32_e32 vcc, 8, v22
	v_cndmask_b32_e32 v22, v54, v53, vcc
	v_cndmask_b32_e32 v51, v51, v52, vcc
	v_lshlrev_b32_e32 v42, 24, v42
	v_bfrev_b32_e32 v52, 60
	v_lshlrev_b32_e32 v51, 20, v51
	v_and_b32_e32 v42, 0x80000000, v42
	v_lshl_add_u32 v22, v22, 23, v52
	v_or3_b32 v51, v42, v22, v51
.LBB562_321:
	s_or_b64 exec, exec, s[10:11]
.LBB562_322:
	s_or_b64 exec, exec, s[8:9]
.LBB562_323:
	s_or_b64 exec, exec, s[2:3]
	v_cmp_ne_u16_sdwa s[8:9], v23, v45 src0_sel:BYTE_0 src1_sel:DWORD
	s_and_saveexec_b64 s[2:3], s[8:9]
	s_cbranch_execz .LBB562_329
; %bb.324:
	s_movk_i32 s8, 0x80
	v_cmp_ne_u16_sdwa s[10:11], v23, s8 src0_sel:BYTE_0 src1_sel:DWORD
	v_bfrev_b32_e32 v45, 1
	s_and_saveexec_b64 s[8:9], s[10:11]
	s_cbranch_execz .LBB562_328
; %bb.325:
	s_movk_i32 s10, 0x7f
	v_and_b32_e32 v22, 0x7f, v23
	v_cmp_ne_u32_e32 vcc, s10, v22
	v_mov_b32_e32 v45, 0x7f800001
	s_and_saveexec_b64 s[10:11], vcc
	s_cbranch_execz .LBB562_327
; %bb.326:
	v_and_b32_e32 v45, 7, v23
	v_ffbh_u32_e32 v52, v45
	v_min_u32_e32 v55, 32, v52
	v_mov_b32_e32 v42, v23
	v_subrev_u32_e32 v52, 28, v55
	v_lshlrev_b64 v[52:53], v52, v[42:43]
	v_lshrrev_b32_e32 v54, 3, v22
	v_sub_u32_e32 v42, 29, v55
	v_and_b32_e32 v52, 7, v52
	v_cmp_gt_u32_e32 vcc, 8, v22
	v_cndmask_b32_e32 v22, v54, v42, vcc
	v_cndmask_b32_e32 v42, v45, v52, vcc
	v_lshlrev_b32_e32 v45, 24, v23
	v_bfrev_b32_e32 v52, 60
	v_lshlrev_b32_e32 v42, 20, v42
	v_and_b32_e32 v45, 0x80000000, v45
	v_lshl_add_u32 v22, v22, 23, v52
	v_or3_b32 v45, v45, v22, v42
.LBB562_327:
	s_or_b64 exec, exec, s[10:11]
.LBB562_328:
	s_or_b64 exec, exec, s[8:9]
.LBB562_329:
	s_or_b64 exec, exec, s[2:3]
	v_lshrrev_b16_e32 v22, 8, v23
	v_cmp_ne_u16_e32 vcc, 0, v22
	v_mov_b32_e32 v52, 0
	v_mov_b32_e32 v53, 0
	s_and_saveexec_b64 s[2:3], vcc
	s_cbranch_execz .LBB562_335
; %bb.330:
	s_movk_i32 s8, 0x80
	v_cmp_ne_u16_e32 vcc, s8, v22
	v_bfrev_b32_e32 v53, 1
	s_and_saveexec_b64 s[8:9], vcc
	s_cbranch_execz .LBB562_334
; %bb.331:
	s_movk_i32 s10, 0x7f
	v_and_b32_e32 v42, 0x7f, v22
	v_cmp_ne_u32_e32 vcc, s10, v42
	v_mov_b32_e32 v53, 0x7f800001
	s_and_saveexec_b64 s[10:11], vcc
	s_cbranch_execz .LBB562_333
; %bb.332:
	v_and_b32_e32 v53, 7, v22
	v_ffbh_u32_e32 v54, v53
	v_min_u32_e32 v57, 32, v54
	v_subrev_u32_e32 v54, 28, v57
	v_lshlrev_b64 v[54:55], v54, v[22:23]
	v_lshrrev_b32_e32 v56, 3, v42
	v_sub_u32_e32 v22, 29, v57
	v_and_b32_e32 v54, 7, v54
	v_cmp_gt_u32_e32 vcc, 8, v42
	v_cndmask_b32_e32 v22, v56, v22, vcc
	v_cndmask_b32_e32 v42, v53, v54, vcc
	v_lshlrev_b32_e32 v53, 16, v23
	v_bfrev_b32_e32 v54, 60
	v_lshlrev_b32_e32 v42, 20, v42
	v_and_b32_e32 v53, 0x80000000, v53
	v_lshl_add_u32 v22, v22, 23, v54
	v_or3_b32 v53, v53, v22, v42
.LBB562_333:
	s_or_b64 exec, exec, s[10:11]
.LBB562_334:
	s_or_b64 exec, exec, s[8:9]
.LBB562_335:
	s_or_b64 exec, exec, s[2:3]
	s_movk_i32 s2, 0xff
	v_and_b32_sdwa v42, v23, s2 dst_sel:DWORD dst_unused:UNUSED_PAD src0_sel:WORD_1 src1_sel:DWORD
	v_lshrrev_b32_e32 v22, 16, v23
	v_cmp_ne_u16_e32 vcc, 0, v42
	s_and_saveexec_b64 s[2:3], vcc
	s_cbranch_execz .LBB562_341
; %bb.336:
	s_movk_i32 s8, 0x80
	v_cmp_ne_u16_e32 vcc, s8, v42
	v_bfrev_b32_e32 v52, 1
	s_and_saveexec_b64 s[8:9], vcc
	s_cbranch_execz .LBB562_340
; %bb.337:
	v_bfe_u32 v42, v23, 16, 7
	s_movk_i32 s10, 0x7f
	v_cmp_ne_u32_e32 vcc, s10, v42
	v_mov_b32_e32 v52, 0x7f800001
	s_and_saveexec_b64 s[10:11], vcc
	s_cbranch_execz .LBB562_339
; %bb.338:
	v_and_b32_e32 v52, 7, v22
	v_ffbh_u32_e32 v54, v52
	v_min_u32_e32 v57, 32, v54
	v_subrev_u32_e32 v54, 28, v57
	v_lshlrev_b64 v[54:55], v54, v[22:23]
	v_and_b32_e32 v54, 7, v54
	v_cmp_gt_u32_e32 vcc, 8, v42
	v_lshrrev_b32_e32 v56, 3, v42
	v_sub_u32_e32 v22, 29, v57
	v_cndmask_b32_e32 v42, v52, v54, vcc
	v_mov_b32_e32 v52, 24
	v_cndmask_b32_e32 v22, v56, v22, vcc
	v_lshlrev_b32_sdwa v52, v52, v23 dst_sel:DWORD dst_unused:UNUSED_PAD src0_sel:DWORD src1_sel:WORD_1
	v_bfrev_b32_e32 v54, 60
	v_lshlrev_b32_e32 v42, 20, v42
	v_and_b32_e32 v52, 0x80000000, v52
	v_lshl_add_u32 v22, v22, 23, v54
	v_or3_b32 v52, v52, v22, v42
.LBB562_339:
	s_or_b64 exec, exec, s[10:11]
.LBB562_340:
	s_or_b64 exec, exec, s[8:9]
.LBB562_341:
	s_or_b64 exec, exec, s[2:3]
	s_mov_b32 s2, 0xffffff
	v_cmp_lt_u32_e32 vcc, s2, v23
	v_mov_b32_e32 v42, 0
	v_mov_b32_e32 v54, 0
	s_and_saveexec_b64 s[2:3], vcc
	s_cbranch_execz .LBB562_347
; %bb.342:
	v_lshrrev_b32_e32 v22, 24, v23
	s_movk_i32 s8, 0x80
	v_cmp_ne_u32_e32 vcc, s8, v22
	v_bfrev_b32_e32 v54, 1
	s_and_saveexec_b64 s[8:9], vcc
	s_cbranch_execz .LBB562_346
; %bb.343:
	v_bfe_u32 v23, v23, 24, 7
	s_movk_i32 s10, 0x7f
	v_cmp_ne_u32_e32 vcc, s10, v23
	v_mov_b32_e32 v54, 0x7f800001
	s_and_saveexec_b64 s[10:11], vcc
	s_cbranch_execz .LBB562_345
; %bb.344:
	v_and_b32_e32 v56, 7, v22
	v_ffbh_u32_e32 v54, v56
	v_min_u32_e32 v58, 32, v54
	v_subrev_u32_e32 v54, 28, v58
	v_lshlrev_b64 v[54:55], v54, v[22:23]
	v_lshrrev_b32_e32 v57, 3, v23
	v_sub_u32_e32 v55, 29, v58
	v_and_b32_e32 v54, 7, v54
	v_cmp_gt_u32_e32 vcc, 8, v23
	v_cndmask_b32_e32 v23, v57, v55, vcc
	v_cndmask_b32_e32 v54, v56, v54, vcc
	v_lshlrev_b32_e32 v22, 24, v22
	v_bfrev_b32_e32 v55, 60
	v_lshlrev_b32_e32 v54, 20, v54
	v_and_b32_e32 v22, 0x80000000, v22
	v_lshl_add_u32 v23, v23, 23, v55
	v_or3_b32 v54, v22, v23, v54
.LBB562_345:
	s_or_b64 exec, exec, s[10:11]
.LBB562_346:
	s_or_b64 exec, exec, s[8:9]
.LBB562_347:
	s_or_b64 exec, exec, s[2:3]
	v_cvt_pkrtz_f16_f32 v22, v50, v44
	v_cvt_pkrtz_f16_f32 v23, v43, v51
	v_cmp_ne_u16_sdwa s[8:9], v24, v42 src0_sel:BYTE_0 src1_sel:DWORD
	s_nop 0
	v_mfma_f32_16x16x16f16 v[56:59], v[22:23], v[26:27], 0
	v_cvt_pkrtz_f16_f32 v22, v45, v53
	v_cvt_pkrtz_f16_f32 v23, v52, v54
	s_nop 1
	v_mfma_f32_16x16x16f16 v[26:29], v[22:23], v[28:29], v[56:59]
	s_and_saveexec_b64 s[2:3], s[8:9]
	s_cbranch_execz .LBB562_353
; %bb.348:
	s_movk_i32 s8, 0x80
	v_cmp_ne_u16_sdwa s[10:11], v24, s8 src0_sel:BYTE_0 src1_sel:DWORD
	v_bfrev_b32_e32 v42, 1
	s_and_saveexec_b64 s[8:9], s[10:11]
	s_cbranch_execz .LBB562_352
; %bb.349:
	s_movk_i32 s10, 0x7f
	v_and_b32_e32 v22, 0x7f, v24
	v_cmp_ne_u32_e32 vcc, s10, v22
	v_mov_b32_e32 v42, 0x7f800001
	s_and_saveexec_b64 s[10:11], vcc
	s_cbranch_execz .LBB562_351
; %bb.350:
	v_and_b32_e32 v23, 7, v24
	v_ffbh_u32_e32 v42, v23
	v_min_u32_e32 v45, 32, v42
	v_subrev_u32_e32 v42, 28, v45
	v_lshlrev_b64 v[42:43], v42, v[24:25]
	v_lshrrev_b32_e32 v44, 3, v22
	v_sub_u32_e32 v43, 29, v45
	v_and_b32_e32 v42, 7, v42
	v_cmp_gt_u32_e32 vcc, 8, v22
	v_cndmask_b32_e32 v22, v44, v43, vcc
	v_cndmask_b32_e32 v23, v23, v42, vcc
	v_lshlrev_b32_e32 v42, 24, v24
	v_bfrev_b32_e32 v43, 60
	v_lshlrev_b32_e32 v23, 20, v23
	v_and_b32_e32 v42, 0x80000000, v42
	v_lshl_add_u32 v22, v22, 23, v43
	v_or3_b32 v42, v42, v22, v23
.LBB562_351:
	s_or_b64 exec, exec, s[10:11]
.LBB562_352:
	s_or_b64 exec, exec, s[8:9]
.LBB562_353:
	s_or_b64 exec, exec, s[2:3]
	v_lshrrev_b16_e32 v22, 8, v24
	v_cmp_ne_u16_e32 vcc, 0, v22
	v_mov_b32_e32 v23, 0
	v_mov_b32_e32 v43, 0
	s_and_saveexec_b64 s[2:3], vcc
	s_cbranch_execz .LBB562_359
; %bb.354:
	s_movk_i32 s8, 0x80
	v_cmp_ne_u16_e32 vcc, s8, v22
	v_bfrev_b32_e32 v43, 1
	s_and_saveexec_b64 s[8:9], vcc
	s_cbranch_execz .LBB562_358
; %bb.355:
	s_movk_i32 s10, 0x7f
	v_and_b32_e32 v44, 0x7f, v22
	v_cmp_ne_u32_e32 vcc, s10, v44
	v_mov_b32_e32 v43, 0x7f800001
	s_and_saveexec_b64 s[10:11], vcc
	s_cbranch_execz .LBB562_357
; %bb.356:
	v_and_b32_e32 v43, 7, v22
	v_ffbh_u32_e32 v50, v43
	v_min_u32_e32 v52, 32, v50
	v_subrev_u32_e32 v50, 28, v52
	v_lshlrev_b64 v[50:51], v50, v[22:23]
	v_lshrrev_b32_e32 v45, 3, v44
	v_sub_u32_e32 v22, 29, v52
	v_and_b32_e32 v50, 7, v50
	v_cmp_gt_u32_e32 vcc, 8, v44
	v_cndmask_b32_e32 v22, v45, v22, vcc
	v_cndmask_b32_e32 v43, v43, v50, vcc
	v_lshlrev_b32_e32 v44, 16, v24
	v_bfrev_b32_e32 v45, 60
	v_lshlrev_b32_e32 v43, 20, v43
	v_and_b32_e32 v44, 0x80000000, v44
	v_lshl_add_u32 v22, v22, 23, v45
	v_or3_b32 v43, v44, v22, v43
.LBB562_357:
	s_or_b64 exec, exec, s[10:11]
.LBB562_358:
	s_or_b64 exec, exec, s[8:9]
.LBB562_359:
	s_or_b64 exec, exec, s[2:3]
	s_movk_i32 s2, 0xff
	v_and_b32_sdwa v44, v24, s2 dst_sel:DWORD dst_unused:UNUSED_PAD src0_sel:WORD_1 src1_sel:DWORD
	v_lshrrev_b32_e32 v22, 16, v24
	v_cmp_ne_u16_e32 vcc, 0, v44
	s_and_saveexec_b64 s[2:3], vcc
	s_cbranch_execz .LBB562_365
; %bb.360:
	s_movk_i32 s8, 0x80
	v_cmp_ne_u16_e32 vcc, s8, v44
	v_bfrev_b32_e32 v23, 1
	s_and_saveexec_b64 s[8:9], vcc
	s_cbranch_execz .LBB562_364
; %bb.361:
	v_bfe_u32 v44, v24, 16, 7
	s_movk_i32 s10, 0x7f
	v_cmp_ne_u32_e32 vcc, s10, v44
	v_mov_b32_e32 v23, 0x7f800001
	s_and_saveexec_b64 s[10:11], vcc
	s_cbranch_execz .LBB562_363
; %bb.362:
	v_and_b32_e32 v45, 7, v22
	v_ffbh_u32_e32 v23, v45
	v_min_u32_e32 v51, 32, v23
	v_subrev_u32_e32 v23, 28, v51
	v_lshlrev_b64 v[22:23], v23, v[22:23]
	v_lshrrev_b32_e32 v50, 3, v44
	v_sub_u32_e32 v23, 29, v51
	v_and_b32_e32 v22, 7, v22
	v_cmp_gt_u32_e32 vcc, 8, v44
	v_mov_b32_e32 v44, 24
	v_cndmask_b32_e32 v23, v50, v23, vcc
	v_cndmask_b32_e32 v22, v45, v22, vcc
	v_lshlrev_b32_sdwa v44, v44, v24 dst_sel:DWORD dst_unused:UNUSED_PAD src0_sel:DWORD src1_sel:WORD_1
	v_bfrev_b32_e32 v45, 60
	v_lshlrev_b32_e32 v22, 20, v22
	v_and_b32_e32 v44, 0x80000000, v44
	v_lshl_add_u32 v23, v23, 23, v45
	v_or3_b32 v23, v44, v23, v22
.LBB562_363:
	s_or_b64 exec, exec, s[10:11]
.LBB562_364:
	s_or_b64 exec, exec, s[8:9]
.LBB562_365:
	s_or_b64 exec, exec, s[2:3]
	s_mov_b32 s2, 0xffffff
	v_cmp_lt_u32_e32 vcc, s2, v24
	v_mov_b32_e32 v44, 0
	v_mov_b32_e32 v45, 0
	s_and_saveexec_b64 s[2:3], vcc
	s_cbranch_execz .LBB562_371
; %bb.366:
	v_lshrrev_b32_e32 v22, 24, v24
	s_movk_i32 s8, 0x80
	v_cmp_ne_u32_e32 vcc, s8, v22
	v_bfrev_b32_e32 v45, 1
	s_and_saveexec_b64 s[8:9], vcc
	s_cbranch_execz .LBB562_370
; %bb.367:
	v_bfe_u32 v24, v24, 24, 7
	s_movk_i32 s10, 0x7f
	v_cmp_ne_u32_e32 vcc, s10, v24
	v_mov_b32_e32 v45, 0x7f800001
	s_and_saveexec_b64 s[10:11], vcc
	s_cbranch_execz .LBB562_369
; %bb.368:
	v_and_b32_e32 v45, 7, v22
	v_ffbh_u32_e32 v50, v45
	v_min_u32_e32 v53, 32, v50
	v_subrev_u32_e32 v50, 28, v53
	v_lshlrev_b64 v[50:51], v50, v[22:23]
	v_lshrrev_b32_e32 v52, 3, v24
	v_sub_u32_e32 v51, 29, v53
	v_and_b32_e32 v50, 7, v50
	v_cmp_gt_u32_e32 vcc, 8, v24
	v_cndmask_b32_e32 v24, v52, v51, vcc
	v_cndmask_b32_e32 v45, v45, v50, vcc
	v_lshlrev_b32_e32 v22, 24, v22
	v_bfrev_b32_e32 v50, 60
	v_lshlrev_b32_e32 v45, 20, v45
	v_and_b32_e32 v22, 0x80000000, v22
	v_lshl_add_u32 v24, v24, 23, v50
	v_or3_b32 v45, v22, v24, v45
.LBB562_369:
	s_or_b64 exec, exec, s[10:11]
.LBB562_370:
	s_or_b64 exec, exec, s[8:9]
.LBB562_371:
	s_or_b64 exec, exec, s[2:3]
	v_cmp_ne_u16_sdwa s[8:9], v25, v44 src0_sel:BYTE_0 src1_sel:DWORD
	s_and_saveexec_b64 s[2:3], s[8:9]
	s_cbranch_execz .LBB562_377
; %bb.372:
	s_movk_i32 s8, 0x80
	v_cmp_ne_u16_sdwa s[10:11], v25, s8 src0_sel:BYTE_0 src1_sel:DWORD
	v_bfrev_b32_e32 v44, 1
	s_and_saveexec_b64 s[8:9], s[10:11]
	s_cbranch_execz .LBB562_376
; %bb.373:
	s_movk_i32 s10, 0x7f
	v_and_b32_e32 v22, 0x7f, v25
	v_cmp_ne_u32_e32 vcc, s10, v22
	v_mov_b32_e32 v44, 0x7f800001
	s_and_saveexec_b64 s[10:11], vcc
	s_cbranch_execz .LBB562_375
; %bb.374:
	v_and_b32_e32 v44, 7, v25
	v_ffbh_u32_e32 v50, v44
	v_min_u32_e32 v53, 32, v50
	v_mov_b32_e32 v24, v25
	v_subrev_u32_e32 v50, 28, v53
	v_lshlrev_b64 v[50:51], v50, v[24:25]
	v_lshrrev_b32_e32 v52, 3, v22
	v_sub_u32_e32 v24, 29, v53
	v_and_b32_e32 v50, 7, v50
	v_cmp_gt_u32_e32 vcc, 8, v22
	v_cndmask_b32_e32 v22, v52, v24, vcc
	v_cndmask_b32_e32 v24, v44, v50, vcc
	v_lshlrev_b32_e32 v44, 24, v25
	v_bfrev_b32_e32 v50, 60
	v_lshlrev_b32_e32 v24, 20, v24
	v_and_b32_e32 v44, 0x80000000, v44
	v_lshl_add_u32 v22, v22, 23, v50
	v_or3_b32 v44, v44, v22, v24
.LBB562_375:
	s_or_b64 exec, exec, s[10:11]
.LBB562_376:
	s_or_b64 exec, exec, s[8:9]
.LBB562_377:
	s_or_b64 exec, exec, s[2:3]
	v_lshrrev_b16_e32 v22, 8, v25
	v_cmp_ne_u16_e32 vcc, 0, v22
	v_mov_b32_e32 v24, 0
	v_mov_b32_e32 v51, 0
	s_and_saveexec_b64 s[2:3], vcc
	s_cbranch_execz .LBB562_383
; %bb.378:
	s_movk_i32 s8, 0x80
	v_cmp_ne_u16_e32 vcc, s8, v22
	v_bfrev_b32_e32 v51, 1
	s_and_saveexec_b64 s[8:9], vcc
	s_cbranch_execz .LBB562_382
; %bb.379:
	s_movk_i32 s10, 0x7f
	v_and_b32_e32 v50, 0x7f, v22
	v_cmp_ne_u32_e32 vcc, s10, v50
	v_mov_b32_e32 v51, 0x7f800001
	s_and_saveexec_b64 s[10:11], vcc
	s_cbranch_execz .LBB562_381
; %bb.380:
	v_and_b32_e32 v51, 7, v22
	v_ffbh_u32_e32 v52, v51
	v_min_u32_e32 v55, 32, v52
	v_subrev_u32_e32 v52, 28, v55
	v_lshlrev_b64 v[52:53], v52, v[22:23]
	v_lshrrev_b32_e32 v54, 3, v50
	v_sub_u32_e32 v22, 29, v55
	v_and_b32_e32 v52, 7, v52
	v_cmp_gt_u32_e32 vcc, 8, v50
	v_cndmask_b32_e32 v22, v54, v22, vcc
	v_cndmask_b32_e32 v50, v51, v52, vcc
	v_lshlrev_b32_e32 v51, 16, v25
	v_bfrev_b32_e32 v52, 60
	v_lshlrev_b32_e32 v50, 20, v50
	v_and_b32_e32 v51, 0x80000000, v51
	v_lshl_add_u32 v22, v22, 23, v52
	v_or3_b32 v51, v51, v22, v50
.LBB562_381:
	s_or_b64 exec, exec, s[10:11]
.LBB562_382:
	s_or_b64 exec, exec, s[8:9]
.LBB562_383:
	s_or_b64 exec, exec, s[2:3]
	s_movk_i32 s2, 0xff
	v_and_b32_sdwa v50, v25, s2 dst_sel:DWORD dst_unused:UNUSED_PAD src0_sel:WORD_1 src1_sel:DWORD
	v_lshrrev_b32_e32 v22, 16, v25
	v_cmp_ne_u16_e32 vcc, 0, v50
	s_and_saveexec_b64 s[2:3], vcc
	s_cbranch_execz .LBB562_389
; %bb.384:
	s_movk_i32 s8, 0x80
	v_cmp_ne_u16_e32 vcc, s8, v50
	v_bfrev_b32_e32 v24, 1
	s_and_saveexec_b64 s[8:9], vcc
	s_cbranch_execz .LBB562_388
; %bb.385:
	v_bfe_u32 v50, v25, 16, 7
	s_movk_i32 s10, 0x7f
	v_cmp_ne_u32_e32 vcc, s10, v50
	v_mov_b32_e32 v24, 0x7f800001
	s_and_saveexec_b64 s[10:11], vcc
	s_cbranch_execz .LBB562_387
; %bb.386:
	v_and_b32_e32 v24, 7, v22
	v_ffbh_u32_e32 v52, v24
	v_min_u32_e32 v55, 32, v52
	v_subrev_u32_e32 v52, 28, v55
	v_lshlrev_b64 v[52:53], v52, v[22:23]
	v_lshrrev_b32_e32 v54, 3, v50
	v_sub_u32_e32 v22, 29, v55
	v_and_b32_e32 v52, 7, v52
	v_cmp_gt_u32_e32 vcc, 8, v50
	v_mov_b32_e32 v50, 24
	v_cndmask_b32_e32 v22, v54, v22, vcc
	v_cndmask_b32_e32 v24, v24, v52, vcc
	v_lshlrev_b32_sdwa v50, v50, v25 dst_sel:DWORD dst_unused:UNUSED_PAD src0_sel:DWORD src1_sel:WORD_1
	v_bfrev_b32_e32 v52, 60
	v_lshlrev_b32_e32 v24, 20, v24
	v_and_b32_e32 v50, 0x80000000, v50
	v_lshl_add_u32 v22, v22, 23, v52
	v_or3_b32 v24, v50, v22, v24
.LBB562_387:
	s_or_b64 exec, exec, s[10:11]
.LBB562_388:
	s_or_b64 exec, exec, s[8:9]
.LBB562_389:
	s_or_b64 exec, exec, s[2:3]
	s_mov_b32 s2, 0xffffff
	v_and_b32_e32 v50, 63, v0
	v_cmp_lt_u32_e32 vcc, s2, v25
	v_mov_b32_e32 v52, 0
	s_and_saveexec_b64 s[2:3], vcc
	s_cbranch_execz .LBB562_395
; %bb.390:
	v_lshrrev_b32_e32 v22, 24, v25
	s_movk_i32 s8, 0x80
	v_cmp_ne_u32_e32 vcc, s8, v22
	v_bfrev_b32_e32 v52, 1
	s_and_saveexec_b64 s[8:9], vcc
	s_cbranch_execz .LBB562_394
; %bb.391:
	v_bfe_u32 v25, v25, 24, 7
	s_movk_i32 s10, 0x7f
	v_cmp_ne_u32_e32 vcc, s10, v25
	v_mov_b32_e32 v52, 0x7f800001
	s_and_saveexec_b64 s[10:11], vcc
	s_cbranch_execz .LBB562_393
; %bb.392:
	v_and_b32_e32 v54, 7, v22
	v_ffbh_u32_e32 v52, v54
	v_min_u32_e32 v56, 32, v52
	v_subrev_u32_e32 v52, 28, v56
	v_lshlrev_b64 v[52:53], v52, v[22:23]
	v_lshrrev_b32_e32 v55, 3, v25
	v_sub_u32_e32 v53, 29, v56
	v_and_b32_e32 v52, 7, v52
	v_cmp_gt_u32_e32 vcc, 8, v25
	v_cndmask_b32_e32 v25, v55, v53, vcc
	v_cndmask_b32_e32 v52, v54, v52, vcc
	v_lshlrev_b32_e32 v22, 24, v22
	v_bfrev_b32_e32 v53, 60
	v_lshlrev_b32_e32 v52, 20, v52
	v_and_b32_e32 v22, 0x80000000, v22
	v_lshl_add_u32 v25, v25, 23, v53
	v_or3_b32 v52, v22, v25, v52
.LBB562_393:
	s_or_b64 exec, exec, s[10:11]
.LBB562_394:
	s_or_b64 exec, exec, s[8:9]
.LBB562_395:
	s_or_b64 exec, exec, s[2:3]
	v_cvt_pkrtz_f16_f32 v42, v42, v43
	v_cvt_pkrtz_f16_f32 v43, v23, v45
	s_load_dword s2, s[4:5], 0x1c
	s_mov_b32 s46, 0xff7fffff
	s_waitcnt lgkmcnt(0)
	v_mfma_f32_16x16x16f16 v[26:29], v[42:43], v[18:19], v[26:29]
	v_cvt_pkrtz_f16_f32 v18, v44, v51
	v_cvt_pkrtz_f16_f32 v19, v24, v52
	v_and_b32_e32 v24, 0xc0, v0
	v_mov_b32_e32 v22, s2
	v_add_u32_e32 v24, s20, v24
	v_mul_f32_e32 v54, s12, v22
	v_lshl_or_b32 v42, v1, 2, v24
	v_mfma_f32_16x16x16f16 v[18:21], v[18:19], v[20:21], v[26:29]
	v_pk_mul_f32 v[22:23], v[54:55], v[36:37] op_sel_hi:[0,1]
	v_pk_mul_f32 v[36:37], v[54:55], v[40:41] op_sel_hi:[0,1]
	v_pk_mul_f32 v[40:41], v[54:55], v[32:33] op_sel_hi:[0,1]
	v_pk_mul_f32 v[30:31], v[54:55], v[30:31] op_sel_hi:[0,1]
	v_mov_b32_e32 v43, 0xff7fffff
	v_cmp_gt_i32_e64 s[26:27], s33, v42
	v_pk_mul_f32 v[38:39], v[54:55], v[38:39] op_sel_hi:[0,1]
	s_nop 3
	v_pk_mul_f32 v[32:33], v[54:55], v[18:19] op_sel_hi:[0,1]
	v_or_b32_e32 v19, 1, v42
	v_cmp_gt_i32_e64 s[28:29], s33, v19
	v_cndmask_b32_e64 v18, v43, v30, s[26:27]
	v_cndmask_b32_e64 v19, v43, v31, s[28:29]
	v_pk_mul_f32 v[24:25], v[54:55], v[20:21] op_sel_hi:[0,1]
	v_max3_f32 v18, v18, s46, v19
	v_or_b32_e32 v19, 2, v42
	v_or_b32_e32 v20, 3, v42
	v_cmp_gt_i32_e64 s[30:31], s33, v19
	v_cmp_gt_i32_e64 s[34:35], s33, v20
	v_cndmask_b32_e64 v19, v43, v40, s[30:31]
	v_cndmask_b32_e64 v20, v43, v41, s[34:35]
	v_max3_f32 v18, v18, v19, v20
	v_or_b32_e32 v19, 16, v42
	v_or_b32_e32 v20, 17, v42
	v_cmp_gt_i32_e64 s[36:37], s33, v19
	v_cmp_gt_i32_e64 s[38:39], s33, v20
	v_cndmask_b32_e64 v19, v43, v38, s[36:37]
	v_cndmask_b32_e64 v20, v43, v39, s[38:39]
	;; [unrolled: 7-line block ×3, first 2 shown]
	v_max3_f32 v18, v18, v19, v20
	v_or_b32_e32 v19, 32, v42
	v_or_b32_e32 v20, 33, v42
	v_pk_mul_f32 v[34:35], v[54:55], v[34:35] op_sel_hi:[0,1]
	v_cmp_gt_i32_e64 s[16:17], s33, v19
	v_cmp_gt_i32_e64 s[18:19], s33, v20
	v_cndmask_b32_e64 v19, v43, v34, s[16:17]
	v_cndmask_b32_e64 v20, v43, v35, s[18:19]
	v_max3_f32 v18, v18, v19, v20
	v_or_b32_e32 v19, 34, v42
	v_or_b32_e32 v20, 35, v42
	v_cmp_gt_i32_e64 s[12:13], s33, v19
	v_cmp_gt_i32_e64 s[14:15], s33, v20
	v_cndmask_b32_e64 v19, v43, v22, s[12:13]
	v_cndmask_b32_e64 v20, v43, v23, s[14:15]
	v_max3_f32 v18, v18, v19, v20
	v_or_b32_e32 v19, 48, v42
	v_or_b32_e32 v20, 49, v42
	;; [unrolled: 7-line block ×3, first 2 shown]
	v_cmp_gt_i32_e32 vcc, s33, v19
	v_cmp_gt_i32_e64 s[2:3], s33, v20
	v_cndmask_b32_e32 v19, v43, v24, vcc
	v_cndmask_b32_e64 v20, v43, v25, s[2:3]
	v_max3_f32 v18, v18, v19, v20
	v_mbcnt_lo_u32_b32 v19, -1, 0
	v_mbcnt_hi_u32_b32 v19, -1, v19
	v_and_b32_e32 v20, 64, v19
	v_add_u32_e32 v20, 64, v20
	v_xor_b32_e32 v21, 32, v19
	v_cmp_lt_i32_e64 s[40:41], v21, v20
	v_cndmask_b32_e64 v21, v19, v21, s[40:41]
	v_lshlrev_b32_e32 v43, 2, v21
	ds_bpermute_b32 v21, v43, v18
	s_barrier
	s_waitcnt lgkmcnt(0)
	v_max_f32_e32 v21, v21, v21
	v_max_f32_e32 v18, v18, v21
	v_xor_b32_e32 v21, 16, v19
	v_cmp_lt_i32_e64 s[40:41], v21, v20
	v_cndmask_b32_e64 v19, v19, v21, s[40:41]
	v_lshlrev_b32_e32 v44, 2, v19
	ds_bpermute_b32 v19, v44, v18
	s_waitcnt lgkmcnt(0)
	v_max_f32_e32 v19, v19, v19
	v_max_f32_e32 v42, v18, v19
	v_sub_f32_e32 v21, v40, v42
	v_sub_f32_e32 v26, v41, v42
	v_mul_f32_e32 v21, 0x3fb8aa3b, v21
	v_mul_f32_e32 v26, 0x3fb8aa3b, v26
	v_sub_f32_e32 v18, v30, v42
	v_exp_f32_e32 v21, v21
	v_exp_f32_e32 v26, v26
	v_mul_f32_e32 v18, 0x3fb8aa3b, v18
	v_sub_f32_e32 v19, v31, v42
	v_exp_f32_e32 v18, v18
	v_mul_f32_e32 v19, 0x3fb8aa3b, v19
	v_exp_f32_e32 v19, v19
	v_cndmask_b32_e64 v28, 0, v21, s[30:31]
	v_cndmask_b32_e64 v29, 0, v26, s[34:35]
	v_sub_f32_e32 v21, v38, v42
	v_sub_f32_e32 v26, v39, v42
	v_mul_f32_e32 v21, 0x3fb8aa3b, v21
	v_mul_f32_e32 v26, 0x3fb8aa3b, v26
	v_cndmask_b32_e64 v18, 0, v18, s[26:27]
	v_exp_f32_e32 v21, v21
	v_exp_f32_e32 v26, v26
	v_add_f32_e32 v20, 0, v18
	v_cndmask_b32_e64 v19, 0, v19, s[28:29]
	v_add_f32_e32 v20, v20, v19
	v_add_f32_e32 v20, v20, v28
	;; [unrolled: 1-line block ×3, first 2 shown]
	v_cndmask_b32_e64 v20, 0, v21, s[36:37]
	v_cndmask_b32_e64 v21, 0, v26, s[38:39]
	v_sub_f32_e32 v26, v36, v42
	v_mul_f32_e32 v26, 0x3fb8aa3b, v26
	v_exp_f32_e32 v26, v26
	v_sub_f32_e32 v30, v37, v42
	v_add_f32_e32 v27, v27, v20
	v_mul_f32_e32 v30, 0x3fb8aa3b, v30
	v_exp_f32_e32 v31, v30
	v_add_f32_e32 v27, v27, v21
	v_cndmask_b32_e64 v30, 0, v26, s[20:21]
	v_add_f32_e32 v26, v27, v30
	v_sub_f32_e32 v27, v34, v42
	v_mul_f32_e32 v27, 0x3fb8aa3b, v27
	v_sub_f32_e32 v34, v35, v42
	v_exp_f32_e32 v27, v27
	v_mul_f32_e32 v34, 0x3fb8aa3b, v34
	v_sub_f32_e32 v22, v22, v42
	v_exp_f32_e32 v34, v34
	v_mul_f32_e32 v22, 0x3fb8aa3b, v22
	v_sub_f32_e32 v23, v23, v42
	v_exp_f32_e32 v22, v22
	v_mul_f32_e32 v23, 0x3fb8aa3b, v23
	v_cndmask_b32_e64 v31, 0, v31, s[22:23]
	v_exp_f32_e32 v23, v23
	v_add_f32_e32 v35, v26, v31
	v_cndmask_b32_e64 v26, 0, v27, s[16:17]
	v_add_f32_e32 v35, v35, v26
	v_cndmask_b32_e64 v27, 0, v34, s[18:19]
	;; [unrolled: 2-line block ×4, first 2 shown]
	v_sub_f32_e32 v23, v32, v42
	v_mul_f32_e32 v23, 0x3fb8aa3b, v23
	v_sub_f32_e32 v32, v33, v42
	v_exp_f32_e32 v23, v23
	v_mul_f32_e32 v32, 0x3fb8aa3b, v32
	v_sub_f32_e32 v24, v24, v42
	v_exp_f32_e32 v32, v32
	;; [unrolled: 3-line block ×3, first 2 shown]
	v_mul_f32_e32 v25, 0x3fb8aa3b, v25
	v_exp_f32_e32 v25, v25
	v_add_f32_e32 v33, v22, v35
	v_cndmask_b32_e64 v22, 0, v23, s[8:9]
	v_add_f32_e32 v33, v33, v22
	v_cndmask_b32_e64 v23, 0, v32, s[10:11]
	v_add_f32_e32 v32, v33, v23
	v_cndmask_b32_e32 v24, 0, v24, vcc
	v_add_f32_e32 v32, v32, v24
	v_cndmask_b32_e64 v25, 0, v25, s[2:3]
	v_add_f32_e32 v32, v32, v25
	ds_bpermute_b32 v33, v43, v32
	v_cmp_gt_u32_e64 s[2:3], 16, v50
	s_waitcnt lgkmcnt(0)
	v_add_f32_e32 v33, v32, v33
	ds_bpermute_b32 v36, v44, v33
	v_lshlrev_b32_e32 v32, 2, v48
	s_and_saveexec_b64 s[8:9], s[2:3]
	s_cbranch_execz .LBB562_397
; %bb.396:
	s_waitcnt lgkmcnt(0)
	v_add_f32_e32 v33, v33, v36
	v_lshl_or_b32 v36, v49, 6, v32
	ds_write2st64_b32 v36, v42, v33 offset1:1
.LBB562_397:
	s_or_b64 exec, exec, s[8:9]
	s_waitcnt lgkmcnt(0)
	s_barrier
	ds_read2_b32 v[36:37], v32 offset1:16
	ds_read2_b32 v[38:39], v32 offset0:32 offset1:48
	ds_read2_b32 v[40:41], v32 offset0:64 offset1:80
	;; [unrolled: 1-line block ×3, first 2 shown]
	s_waitcnt lgkmcnt(0)
	v_max3_f32 v33, v36, s46, v37
	v_max3_f32 v33, v33, v38, v39
	v_sub_f32_e32 v36, v36, v33
	v_mul_f32_e32 v36, 0x3fb8aa3b, v36
	v_exp_f32_e32 v44, v36
	v_sub_f32_e32 v36, v37, v33
	v_mul_f32_e32 v36, 0x3fb8aa3b, v36
	v_exp_f32_e32 v37, v36
	v_sub_f32_e32 v36, v38, v33
	v_mul_f32_e32 v36, 0x3fb8aa3b, v36
	v_sub_f32_e32 v32, v39, v33
	v_exp_f32_e32 v38, v36
	v_mul_f32_e32 v32, 0x3fb8aa3b, v32
	v_exp_f32_e32 v39, v32
	v_fma_f32 v36, v44, v40, 0
	v_fmac_f32_e32 v36, v37, v41
	v_fmac_f32_e32 v36, v38, v42
	;; [unrolled: 1-line block ×3, first 2 shown]
	v_add_f32_e32 v40, 0x358637bd, v36
	v_div_scale_f32 v41, s[8:9], v40, v40, 1.0
	v_rcp_f32_e32 v42, v41
	s_barrier
	s_mul_i32 s14, s45, 5
	v_fma_f32 v43, -v41, v42, 1.0
	v_fmac_f32_e32 v42, v43, v42
	v_div_scale_f32 v43, vcc, 1.0, v40, 1.0
	v_mul_f32_e32 v45, v43, v42
	v_fma_f32 v50, -v41, v45, v43
	v_fmac_f32_e32 v45, v50, v42
	v_fma_f32 v41, -v41, v45, v43
	v_div_fmas_f32 v41, v41, v42, v45
	v_cmp_eq_u32_e32 vcc, 1, v49
	v_cndmask_b32_e32 v37, v44, v37, vcc
	v_cmp_eq_u32_e32 vcc, 2, v49
	v_cndmask_b32_e32 v37, v37, v38, vcc
	v_cmp_eq_u32_e32 vcc, 3, v49
	v_div_fixup_f32 v40, v41, v40, 1.0
	v_cndmask_b32_e32 v37, v37, v39, vcc
	v_mul_f32_e32 v38, v37, v40
	v_pk_mul_f32 v[28:29], v[38:39], v[28:29] op_sel_hi:[0,1]
	v_cvt_f16_f32_e32 v28, v28
	v_cvt_f16_f32_e32 v29, v29
	v_pk_mul_f32 v[18:19], v[38:39], v[18:19] op_sel_hi:[0,1]
	v_cvt_f16_f32_e32 v18, v18
	v_cvt_f16_f32_e32 v19, v19
	v_pack_b32_f16 v41, v28, v29
	v_pk_mul_f32 v[28:29], v[38:39], v[30:31] op_sel_hi:[0,1]
	v_pk_mul_f32 v[20:21], v[38:39], v[20:21] op_sel_hi:[0,1]
	v_cvt_f16_f32_e32 v20, v20
	v_cvt_f16_f32_e32 v21, v21
	;; [unrolled: 1-line block ×4, first 2 shown]
	v_pack_b32_f16 v40, v18, v19
	v_lshlrev_b32_e32 v18, 3, v1
	v_lshlrev_b32_e32 v19, 5, v48
	;; [unrolled: 1-line block ×3, first 2 shown]
	v_or3_b32 v28, v28, v19, v18
	v_pack_b32_f16 v20, v20, v21
	v_pack_b32_f16 v21, v30, v29
	ds_write2st64_b64 v28, v[40:41], v[20:21] offset1:1
	v_pk_mul_f32 v[20:21], v[38:39], v[34:35] op_sel_hi:[0,1]
	v_pk_mul_f32 v[26:27], v[38:39], v[26:27] op_sel_hi:[0,1]
	v_cvt_f16_f32_e32 v18, v26
	v_cvt_f16_f32_e32 v26, v27
	;; [unrolled: 1-line block ×4, first 2 shown]
	v_pk_mul_f32 v[20:21], v[38:39], v[24:25] op_sel_hi:[0,1]
	v_pk_mul_f32 v[22:23], v[38:39], v[22:23] op_sel_hi:[0,1]
	v_cvt_f16_f32_e32 v22, v22
	v_cvt_f16_f32_e32 v23, v23
	;; [unrolled: 1-line block ×4, first 2 shown]
	v_mov_b32_e32 v32, 0
	v_pack_b32_f16 v20, v18, v26
	v_pack_b32_f16 v21, v27, v29
	;; [unrolled: 1-line block ×4, first 2 shown]
	v_cmp_gt_u32_e32 vcc, 5, v0
	ds_write2st64_b64 v28, v[20:21], v[22:23] offset0:2 offset1:3
	s_and_saveexec_b64 s[8:9], vcc
	s_cbranch_execz .LBB562_399
; %bb.398:
	v_add_co_u32_e32 v22, vcc, s25, v48
	v_addc_co_u32_e64 v23, s[10:11], 0, 0, vcc
	v_mov_b32_e32 v18, s14
	v_mov_b32_e32 v21, 0
	v_mad_u64_u32 v[22:23], s[10:11], s6, v18, v[22:23]
	v_mov_b32_e32 v20, s24
	s_load_dwordx4 s[16:19], s[4:5], 0x58
	s_mul_i32 s7, s7, s14
	v_mad_u64_u32 v[20:21], s[10:11], v22, s44, v[20:21]
	v_add_u32_e32 v23, s7, v23
	v_mov_b32_e32 v18, v21
	v_mad_u64_u32 v[22:23], s[10:11], v23, s44, v[18:19]
	v_mov_b32_e32 v21, v22
	v_lshlrev_b64 v[20:21], 2, v[20:21]
	s_waitcnt lgkmcnt(0)
	v_mov_b32_e32 v18, s19
	v_add_co_u32_e32 v22, vcc, s18, v20
	v_addc_co_u32_e32 v23, vcc, v18, v21, vcc
	v_mov_b32_e32 v18, s17
	v_add_co_u32_e32 v20, vcc, s16, v20
	v_addc_co_u32_e32 v21, vcc, v18, v21, vcc
	global_store_dword v[22:23], v33, off
	global_store_dword v[20:21], v36, off
.LBB562_399:
	s_or_b64 exec, exec, s[8:9]
	v_mov_b32_e32 v20, 0
	s_waitcnt vmcnt(3)
	v_cmp_ne_u16_sdwa s[10:11], v14, v20 src0_sel:BYTE_0 src1_sel:DWORD
	s_waitcnt lgkmcnt(0)
	s_barrier
	s_and_saveexec_b64 s[8:9], s[10:11]
	s_cbranch_execz .LBB562_405
; %bb.400:
	s_movk_i32 s7, 0x80
	v_cmp_ne_u16_sdwa s[12:13], v14, s7 src0_sel:BYTE_0 src1_sel:DWORD
	v_bfrev_b32_e32 v32, 1
	s_and_saveexec_b64 s[10:11], s[12:13]
	s_cbranch_execz .LBB562_404
; %bb.401:
	s_movk_i32 s7, 0x7f
	v_and_b32_e32 v18, 0x7f, v14
	v_cmp_ne_u32_e32 vcc, s7, v18
	v_mov_b32_e32 v32, 0x7f800001
	s_and_saveexec_b64 s[12:13], vcc
	s_cbranch_execz .LBB562_403
; %bb.402:
	v_and_b32_e32 v21, 7, v14
	v_ffbh_u32_e32 v22, v21
	v_min_u32_e32 v25, 32, v22
	v_subrev_u32_e32 v22, 28, v25
	v_lshlrev_b64 v[22:23], v22, v[14:15]
	v_lshrrev_b32_e32 v24, 3, v18
	v_sub_u32_e32 v23, 29, v25
	v_and_b32_e32 v22, 7, v22
	v_cmp_gt_u32_e32 vcc, 8, v18
	v_cndmask_b32_e32 v18, v24, v23, vcc
	v_cndmask_b32_e32 v21, v21, v22, vcc
	v_lshlrev_b32_e32 v22, 24, v14
	v_bfrev_b32_e32 v23, 60
	v_lshlrev_b32_e32 v21, 20, v21
	v_and_b32_e32 v22, 0x80000000, v22
	v_lshl_add_u32 v18, v18, 23, v23
	v_or3_b32 v32, v22, v18, v21
.LBB562_403:
	s_or_b64 exec, exec, s[12:13]
.LBB562_404:
	s_or_b64 exec, exec, s[10:11]
.LBB562_405:
	s_or_b64 exec, exec, s[8:9]
	v_lshrrev_b16_e32 v18, 8, v14
	v_cmp_ne_u16_e32 vcc, 0, v18
	v_mov_b32_e32 v21, 0
	s_and_saveexec_b64 s[8:9], vcc
	s_cbranch_execz .LBB562_411
; %bb.406:
	s_movk_i32 s7, 0x80
	v_cmp_ne_u16_e32 vcc, s7, v18
	v_bfrev_b32_e32 v21, 1
	s_and_saveexec_b64 s[10:11], vcc
	s_cbranch_execz .LBB562_410
; %bb.407:
	s_movk_i32 s7, 0x7f
	v_and_b32_e32 v22, 0x7f, v18
	v_cmp_ne_u32_e32 vcc, s7, v22
	v_mov_b32_e32 v21, 0x7f800001
	s_and_saveexec_b64 s[12:13], vcc
	s_cbranch_execz .LBB562_409
; %bb.408:
	v_and_b32_e32 v21, 7, v18
	v_ffbh_u32_e32 v24, v21
	v_min_u32_e32 v26, 32, v24
	v_subrev_u32_e32 v24, 28, v26
	v_lshlrev_b64 v[24:25], v24, v[18:19]
	v_lshrrev_b32_e32 v23, 3, v22
	v_sub_u32_e32 v18, 29, v26
	v_and_b32_e32 v24, 7, v24
	v_cmp_gt_u32_e32 vcc, 8, v22
	v_cndmask_b32_e32 v18, v23, v18, vcc
	v_cndmask_b32_e32 v21, v21, v24, vcc
	v_lshlrev_b32_e32 v22, 16, v14
	v_bfrev_b32_e32 v23, 60
	v_lshlrev_b32_e32 v21, 20, v21
	v_and_b32_e32 v22, 0x80000000, v22
	v_lshl_add_u32 v18, v18, 23, v23
	v_or3_b32 v21, v22, v18, v21
.LBB562_409:
	s_or_b64 exec, exec, s[12:13]
.LBB562_410:
	s_or_b64 exec, exec, s[10:11]
.LBB562_411:
	s_or_b64 exec, exec, s[8:9]
	s_movk_i32 s7, 0xff
	v_and_b32_sdwa v22, v14, s7 dst_sel:DWORD dst_unused:UNUSED_PAD src0_sel:WORD_1 src1_sel:DWORD
	v_lshrrev_b32_e32 v18, 16, v14
	v_cmp_ne_u16_e32 vcc, 0, v22
	s_and_saveexec_b64 s[8:9], vcc
	s_cbranch_execz .LBB562_417
; %bb.412:
	s_movk_i32 s7, 0x80
	v_cmp_ne_u16_e32 vcc, s7, v22
	v_bfrev_b32_e32 v20, 1
	s_and_saveexec_b64 s[10:11], vcc
	s_cbranch_execz .LBB562_416
; %bb.413:
	v_bfe_u32 v22, v14, 16, 7
	s_movk_i32 s7, 0x7f
	v_cmp_ne_u32_e32 vcc, s7, v22
	v_mov_b32_e32 v20, 0x7f800001
	s_and_saveexec_b64 s[12:13], vcc
	s_cbranch_execz .LBB562_415
; %bb.414:
	v_and_b32_e32 v20, 7, v18
	v_ffbh_u32_e32 v24, v20
	v_min_u32_e32 v26, 32, v24
	v_subrev_u32_e32 v24, 28, v26
	v_lshlrev_b64 v[24:25], v24, v[18:19]
	v_lshrrev_b32_e32 v23, 3, v22
	v_sub_u32_e32 v18, 29, v26
	v_and_b32_e32 v24, 7, v24
	v_cmp_gt_u32_e32 vcc, 8, v22
	v_mov_b32_e32 v22, 24
	v_cndmask_b32_e32 v18, v23, v18, vcc
	v_cndmask_b32_e32 v20, v20, v24, vcc
	v_lshlrev_b32_sdwa v22, v22, v14 dst_sel:DWORD dst_unused:UNUSED_PAD src0_sel:DWORD src1_sel:WORD_1
	v_bfrev_b32_e32 v23, 60
	v_lshlrev_b32_e32 v20, 20, v20
	v_and_b32_e32 v22, 0x80000000, v22
	v_lshl_add_u32 v18, v18, 23, v23
	v_or3_b32 v20, v22, v18, v20
.LBB562_415:
	s_or_b64 exec, exec, s[12:13]
.LBB562_416:
	s_or_b64 exec, exec, s[10:11]
.LBB562_417:
	s_or_b64 exec, exec, s[8:9]
	s_mov_b32 s7, 0xffffff
	v_cmp_lt_u32_e32 vcc, s7, v14
	v_mov_b32_e32 v24, 0
	v_mov_b32_e32 v22, 0
	s_and_saveexec_b64 s[8:9], vcc
	s_cbranch_execz .LBB562_423
; %bb.418:
	v_lshrrev_b32_e32 v18, 24, v14
	s_movk_i32 s7, 0x80
	v_cmp_ne_u32_e32 vcc, s7, v18
	v_bfrev_b32_e32 v22, 1
	s_and_saveexec_b64 s[10:11], vcc
	s_cbranch_execz .LBB562_422
; %bb.419:
	v_bfe_u32 v14, v14, 24, 7
	s_movk_i32 s7, 0x7f
	v_cmp_ne_u32_e32 vcc, s7, v14
	v_mov_b32_e32 v22, 0x7f800001
	s_and_saveexec_b64 s[12:13], vcc
	s_cbranch_execz .LBB562_421
; %bb.420:
	v_and_b32_e32 v25, 7, v18
	v_ffbh_u32_e32 v22, v25
	v_min_u32_e32 v27, 32, v22
	v_subrev_u32_e32 v22, 28, v27
	v_lshlrev_b64 v[22:23], v22, v[18:19]
	v_lshrrev_b32_e32 v26, 3, v14
	v_sub_u32_e32 v23, 29, v27
	v_and_b32_e32 v22, 7, v22
	v_cmp_gt_u32_e32 vcc, 8, v14
	v_cndmask_b32_e32 v14, v26, v23, vcc
	v_cndmask_b32_e32 v22, v25, v22, vcc
	v_lshlrev_b32_e32 v18, 24, v18
	v_bfrev_b32_e32 v23, 60
	v_lshlrev_b32_e32 v22, 20, v22
	v_and_b32_e32 v18, 0x80000000, v18
	v_lshl_add_u32 v14, v14, 23, v23
	v_or3_b32 v22, v18, v14, v22
.LBB562_421:
	s_or_b64 exec, exec, s[12:13]
.LBB562_422:
	s_or_b64 exec, exec, s[10:11]
.LBB562_423:
	s_or_b64 exec, exec, s[8:9]
	v_cmp_ne_u16_sdwa s[10:11], v15, v24 src0_sel:BYTE_0 src1_sel:DWORD
	s_and_saveexec_b64 s[8:9], s[10:11]
	s_cbranch_execz .LBB562_429
; %bb.424:
	s_movk_i32 s7, 0x80
	v_cmp_ne_u16_sdwa s[12:13], v15, s7 src0_sel:BYTE_0 src1_sel:DWORD
	v_bfrev_b32_e32 v24, 1
	s_and_saveexec_b64 s[10:11], s[12:13]
	s_cbranch_execz .LBB562_428
; %bb.425:
	s_movk_i32 s7, 0x7f
	v_and_b32_e32 v14, 0x7f, v15
	v_cmp_ne_u32_e32 vcc, s7, v14
	v_mov_b32_e32 v24, 0x7f800001
	s_and_saveexec_b64 s[12:13], vcc
	s_cbranch_execz .LBB562_427
; %bb.426:
	v_and_b32_e32 v23, 7, v15
	v_ffbh_u32_e32 v24, v23
	v_min_u32_e32 v27, 32, v24
	v_mov_b32_e32 v18, v15
	v_subrev_u32_e32 v24, 28, v27
	v_lshlrev_b64 v[24:25], v24, v[18:19]
	v_lshrrev_b32_e32 v26, 3, v14
	v_sub_u32_e32 v18, 29, v27
	v_and_b32_e32 v24, 7, v24
	v_cmp_gt_u32_e32 vcc, 8, v14
	v_cndmask_b32_e32 v14, v26, v18, vcc
	v_cndmask_b32_e32 v18, v23, v24, vcc
	v_lshlrev_b32_e32 v23, 24, v15
	v_bfrev_b32_e32 v24, 60
	v_lshlrev_b32_e32 v18, 20, v18
	v_and_b32_e32 v23, 0x80000000, v23
	v_lshl_add_u32 v14, v14, 23, v24
	v_or3_b32 v24, v23, v14, v18
.LBB562_427:
	s_or_b64 exec, exec, s[12:13]
.LBB562_428:
	s_or_b64 exec, exec, s[10:11]
.LBB562_429:
	s_or_b64 exec, exec, s[8:9]
	v_lshrrev_b16_e32 v14, 8, v15
	v_cmp_ne_u16_e32 vcc, 0, v14
	v_mov_b32_e32 v18, 0
	v_mov_b32_e32 v25, 0
	s_and_saveexec_b64 s[8:9], vcc
	s_cbranch_execz .LBB562_435
; %bb.430:
	s_movk_i32 s7, 0x80
	v_cmp_ne_u16_e32 vcc, s7, v14
	v_bfrev_b32_e32 v25, 1
	s_and_saveexec_b64 s[10:11], vcc
	s_cbranch_execz .LBB562_434
; %bb.431:
	s_movk_i32 s7, 0x7f
	v_and_b32_e32 v23, 0x7f, v14
	v_cmp_ne_u32_e32 vcc, s7, v23
	v_mov_b32_e32 v25, 0x7f800001
	s_and_saveexec_b64 s[12:13], vcc
	s_cbranch_execz .LBB562_433
; %bb.432:
	v_and_b32_e32 v25, 7, v14
	v_ffbh_u32_e32 v26, v25
	v_min_u32_e32 v30, 32, v26
	v_subrev_u32_e32 v26, 28, v30
	v_lshlrev_b64 v[26:27], v26, v[14:15]
	v_lshrrev_b32_e32 v29, 3, v23
	v_sub_u32_e32 v14, 29, v30
	v_and_b32_e32 v26, 7, v26
	v_cmp_gt_u32_e32 vcc, 8, v23
	v_cndmask_b32_e32 v14, v29, v14, vcc
	v_cndmask_b32_e32 v23, v25, v26, vcc
	v_lshlrev_b32_e32 v25, 16, v15
	v_bfrev_b32_e32 v26, 60
	v_lshlrev_b32_e32 v23, 20, v23
	v_and_b32_e32 v25, 0x80000000, v25
	v_lshl_add_u32 v14, v14, 23, v26
	v_or3_b32 v25, v25, v14, v23
.LBB562_433:
	s_or_b64 exec, exec, s[12:13]
.LBB562_434:
	s_or_b64 exec, exec, s[10:11]
.LBB562_435:
	s_or_b64 exec, exec, s[8:9]
	s_movk_i32 s7, 0xff
	v_and_b32_sdwa v23, v15, s7 dst_sel:DWORD dst_unused:UNUSED_PAD src0_sel:WORD_1 src1_sel:DWORD
	v_lshrrev_b32_e32 v14, 16, v15
	v_cmp_ne_u16_e32 vcc, 0, v23
	s_and_saveexec_b64 s[8:9], vcc
	s_cbranch_execz .LBB562_441
; %bb.436:
	s_movk_i32 s7, 0x80
	v_cmp_ne_u16_e32 vcc, s7, v23
	v_bfrev_b32_e32 v18, 1
	s_and_saveexec_b64 s[10:11], vcc
	s_cbranch_execz .LBB562_440
; %bb.437:
	v_bfe_u32 v23, v15, 16, 7
	s_movk_i32 s7, 0x7f
	v_cmp_ne_u32_e32 vcc, s7, v23
	v_mov_b32_e32 v18, 0x7f800001
	s_and_saveexec_b64 s[12:13], vcc
	s_cbranch_execz .LBB562_439
; %bb.438:
	v_and_b32_e32 v18, 7, v14
	v_ffbh_u32_e32 v26, v18
	v_min_u32_e32 v30, 32, v26
	v_subrev_u32_e32 v26, 28, v30
	v_lshlrev_b64 v[26:27], v26, v[14:15]
	v_lshrrev_b32_e32 v29, 3, v23
	v_sub_u32_e32 v14, 29, v30
	v_and_b32_e32 v26, 7, v26
	v_cmp_gt_u32_e32 vcc, 8, v23
	v_mov_b32_e32 v23, 24
	v_cndmask_b32_e32 v14, v29, v14, vcc
	v_cndmask_b32_e32 v18, v18, v26, vcc
	v_lshlrev_b32_sdwa v23, v23, v15 dst_sel:DWORD dst_unused:UNUSED_PAD src0_sel:DWORD src1_sel:WORD_1
	v_bfrev_b32_e32 v26, 60
	v_lshlrev_b32_e32 v18, 20, v18
	v_and_b32_e32 v23, 0x80000000, v23
	v_lshl_add_u32 v14, v14, 23, v26
	v_or3_b32 v18, v23, v14, v18
.LBB562_439:
	s_or_b64 exec, exec, s[12:13]
.LBB562_440:
	s_or_b64 exec, exec, s[10:11]
.LBB562_441:
	s_or_b64 exec, exec, s[8:9]
	s_mov_b32 s7, 0xffffff
	v_cmp_lt_u32_e32 vcc, s7, v15
	v_mov_b32_e32 v23, 0
	v_mov_b32_e32 v26, 0
	s_and_saveexec_b64 s[8:9], vcc
	s_cbranch_execz .LBB562_447
; %bb.442:
	v_lshrrev_b32_e32 v14, 24, v15
	s_movk_i32 s7, 0x80
	v_cmp_ne_u32_e32 vcc, s7, v14
	v_bfrev_b32_e32 v26, 1
	s_and_saveexec_b64 s[10:11], vcc
	s_cbranch_execz .LBB562_446
; %bb.443:
	v_bfe_u32 v15, v15, 24, 7
	s_movk_i32 s7, 0x7f
	v_cmp_ne_u32_e32 vcc, s7, v15
	v_mov_b32_e32 v26, 0x7f800001
	s_and_saveexec_b64 s[12:13], vcc
	s_cbranch_execz .LBB562_445
; %bb.444:
	v_and_b32_e32 v29, 7, v14
	v_ffbh_u32_e32 v26, v29
	v_min_u32_e32 v31, 32, v26
	v_subrev_u32_e32 v26, 28, v31
	v_lshlrev_b64 v[26:27], v26, v[14:15]
	v_lshrrev_b32_e32 v30, 3, v15
	v_sub_u32_e32 v27, 29, v31
	v_and_b32_e32 v26, 7, v26
	v_cmp_gt_u32_e32 vcc, 8, v15
	v_cndmask_b32_e32 v15, v30, v27, vcc
	v_cndmask_b32_e32 v26, v29, v26, vcc
	v_lshlrev_b32_e32 v14, 24, v14
	v_bfrev_b32_e32 v27, 60
	v_lshlrev_b32_e32 v26, 20, v26
	v_and_b32_e32 v14, 0x80000000, v14
	v_lshl_add_u32 v15, v15, 23, v27
	v_or3_b32 v26, v14, v15, v26
.LBB562_445:
	s_or_b64 exec, exec, s[12:13]
.LBB562_446:
	s_or_b64 exec, exec, s[10:11]
.LBB562_447:
	s_or_b64 exec, exec, s[8:9]
	v_cvt_pkrtz_f16_f32 v15, v20, v22
	v_lshl_or_b32 v22, v1, 9, v19
	v_cvt_pkrtz_f16_f32 v14, v32, v21
	ds_read_b128 v[30:33], v22
	v_cmp_ne_u16_sdwa s[10:11], v16, v23 src0_sel:BYTE_0 src1_sel:DWORD
	s_waitcnt lgkmcnt(0)
	v_mfma_f32_16x16x16f16 v[34:37], v[14:15], v[30:31], 0
	v_cvt_pkrtz_f16_f32 v14, v24, v25
	v_cvt_pkrtz_f16_f32 v15, v18, v26
	s_nop 1
	v_mfma_f32_16x16x16f16 v[18:21], v[14:15], v[32:33], v[34:37]
	s_and_saveexec_b64 s[8:9], s[10:11]
	s_cbranch_execz .LBB562_453
; %bb.448:
	s_movk_i32 s7, 0x80
	v_cmp_ne_u16_sdwa s[12:13], v16, s7 src0_sel:BYTE_0 src1_sel:DWORD
	v_bfrev_b32_e32 v23, 1
	s_and_saveexec_b64 s[10:11], s[12:13]
	s_cbranch_execz .LBB562_452
; %bb.449:
	s_movk_i32 s7, 0x7f
	v_and_b32_e32 v14, 0x7f, v16
	v_cmp_ne_u32_e32 vcc, s7, v14
	v_mov_b32_e32 v23, 0x7f800001
	s_and_saveexec_b64 s[12:13], vcc
	s_cbranch_execz .LBB562_451
; %bb.450:
	v_and_b32_e32 v15, 7, v16
	v_ffbh_u32_e32 v24, v15
	v_min_u32_e32 v26, 32, v24
	v_subrev_u32_e32 v24, 28, v26
	v_lshlrev_b64 v[24:25], v24, v[16:17]
	v_lshrrev_b32_e32 v23, 3, v14
	v_sub_u32_e32 v25, 29, v26
	v_and_b32_e32 v24, 7, v24
	v_cmp_gt_u32_e32 vcc, 8, v14
	v_cndmask_b32_e32 v14, v23, v25, vcc
	v_cndmask_b32_e32 v15, v15, v24, vcc
	v_lshlrev_b32_e32 v23, 24, v16
	v_bfrev_b32_e32 v24, 60
	v_lshlrev_b32_e32 v15, 20, v15
	v_and_b32_e32 v23, 0x80000000, v23
	v_lshl_add_u32 v14, v14, 23, v24
	v_or3_b32 v23, v23, v14, v15
.LBB562_451:
	s_or_b64 exec, exec, s[12:13]
.LBB562_452:
	s_or_b64 exec, exec, s[10:11]
.LBB562_453:
	s_or_b64 exec, exec, s[8:9]
	v_lshrrev_b16_e32 v14, 8, v16
	v_cmp_ne_u16_e32 vcc, 0, v14
	v_mov_b32_e32 v15, 0
	v_mov_b32_e32 v25, 0
	s_and_saveexec_b64 s[8:9], vcc
	s_cbranch_execz .LBB562_459
; %bb.454:
	s_movk_i32 s7, 0x80
	v_cmp_ne_u16_e32 vcc, s7, v14
	v_bfrev_b32_e32 v25, 1
	s_and_saveexec_b64 s[10:11], vcc
	s_cbranch_execz .LBB562_458
; %bb.455:
	s_movk_i32 s7, 0x7f
	v_and_b32_e32 v24, 0x7f, v14
	v_cmp_ne_u32_e32 vcc, s7, v24
	v_mov_b32_e32 v25, 0x7f800001
	s_and_saveexec_b64 s[12:13], vcc
	s_cbranch_execz .LBB562_457
; %bb.456:
	v_and_b32_e32 v25, 7, v14
	v_ffbh_u32_e32 v26, v25
	v_min_u32_e32 v30, 32, v26
	v_subrev_u32_e32 v26, 28, v30
	v_lshlrev_b64 v[26:27], v26, v[14:15]
	v_lshrrev_b32_e32 v29, 3, v24
	v_sub_u32_e32 v14, 29, v30
	v_and_b32_e32 v26, 7, v26
	v_cmp_gt_u32_e32 vcc, 8, v24
	v_cndmask_b32_e32 v14, v29, v14, vcc
	v_cndmask_b32_e32 v24, v25, v26, vcc
	v_lshlrev_b32_e32 v25, 16, v16
	v_bfrev_b32_e32 v26, 60
	v_lshlrev_b32_e32 v24, 20, v24
	v_and_b32_e32 v25, 0x80000000, v25
	v_lshl_add_u32 v14, v14, 23, v26
	v_or3_b32 v25, v25, v14, v24
.LBB562_457:
	s_or_b64 exec, exec, s[12:13]
.LBB562_458:
	s_or_b64 exec, exec, s[10:11]
.LBB562_459:
	s_or_b64 exec, exec, s[8:9]
	s_movk_i32 s7, 0xff
	v_and_b32_sdwa v24, v16, s7 dst_sel:DWORD dst_unused:UNUSED_PAD src0_sel:WORD_1 src1_sel:DWORD
	v_lshrrev_b32_e32 v14, 16, v16
	v_cmp_ne_u16_e32 vcc, 0, v24
	s_and_saveexec_b64 s[8:9], vcc
	s_cbranch_execz .LBB562_465
; %bb.460:
	s_movk_i32 s7, 0x80
	v_cmp_ne_u16_e32 vcc, s7, v24
	v_bfrev_b32_e32 v15, 1
	s_and_saveexec_b64 s[10:11], vcc
	s_cbranch_execz .LBB562_464
; %bb.461:
	v_bfe_u32 v24, v16, 16, 7
	s_movk_i32 s7, 0x7f
	v_cmp_ne_u32_e32 vcc, s7, v24
	v_mov_b32_e32 v15, 0x7f800001
	s_and_saveexec_b64 s[12:13], vcc
	s_cbranch_execz .LBB562_463
; %bb.462:
	v_and_b32_e32 v26, 7, v14
	v_ffbh_u32_e32 v15, v26
	v_min_u32_e32 v29, 32, v15
	v_subrev_u32_e32 v15, 28, v29
	v_lshlrev_b64 v[14:15], v15, v[14:15]
	v_lshrrev_b32_e32 v27, 3, v24
	v_sub_u32_e32 v15, 29, v29
	v_and_b32_e32 v14, 7, v14
	v_cmp_gt_u32_e32 vcc, 8, v24
	v_mov_b32_e32 v24, 24
	v_cndmask_b32_e32 v15, v27, v15, vcc
	v_cndmask_b32_e32 v14, v26, v14, vcc
	v_lshlrev_b32_sdwa v24, v24, v16 dst_sel:DWORD dst_unused:UNUSED_PAD src0_sel:DWORD src1_sel:WORD_1
	v_bfrev_b32_e32 v26, 60
	v_lshlrev_b32_e32 v14, 20, v14
	v_and_b32_e32 v24, 0x80000000, v24
	v_lshl_add_u32 v15, v15, 23, v26
	v_or3_b32 v15, v24, v15, v14
.LBB562_463:
	s_or_b64 exec, exec, s[12:13]
.LBB562_464:
	s_or_b64 exec, exec, s[10:11]
.LBB562_465:
	s_or_b64 exec, exec, s[8:9]
	s_mov_b32 s7, 0xffffff
	v_cmp_lt_u32_e32 vcc, s7, v16
	v_mov_b32_e32 v26, 0
	v_mov_b32_e32 v27, 0
	s_and_saveexec_b64 s[8:9], vcc
	s_cbranch_execz .LBB562_471
; %bb.466:
	v_lshrrev_b32_e32 v14, 24, v16
	s_movk_i32 s7, 0x80
	v_cmp_ne_u32_e32 vcc, s7, v14
	v_bfrev_b32_e32 v27, 1
	s_and_saveexec_b64 s[10:11], vcc
	s_cbranch_execz .LBB562_470
; %bb.467:
	v_bfe_u32 v16, v16, 24, 7
	s_movk_i32 s7, 0x7f
	v_cmp_ne_u32_e32 vcc, s7, v16
	v_mov_b32_e32 v27, 0x7f800001
	s_and_saveexec_b64 s[12:13], vcc
	s_cbranch_execz .LBB562_469
; %bb.468:
	v_and_b32_e32 v24, 7, v14
	v_ffbh_u32_e32 v29, v24
	v_min_u32_e32 v29, 32, v29
	v_subrev_u32_e32 v30, 28, v29
	v_lshlrev_b64 v[30:31], v30, v[14:15]
	v_lshrrev_b32_e32 v27, 3, v16
	v_sub_u32_e32 v29, 29, v29
	v_and_b32_e32 v30, 7, v30
	v_cmp_gt_u32_e32 vcc, 8, v16
	v_cndmask_b32_e32 v16, v27, v29, vcc
	v_cndmask_b32_e32 v24, v24, v30, vcc
	v_lshlrev_b32_e32 v14, 24, v14
	v_bfrev_b32_e32 v27, 60
	v_lshlrev_b32_e32 v24, 20, v24
	v_and_b32_e32 v14, 0x80000000, v14
	v_lshl_add_u32 v16, v16, 23, v27
	v_or3_b32 v27, v14, v16, v24
.LBB562_469:
	s_or_b64 exec, exec, s[12:13]
.LBB562_470:
	s_or_b64 exec, exec, s[10:11]
.LBB562_471:
	s_or_b64 exec, exec, s[8:9]
	v_cmp_ne_u16_sdwa s[10:11], v17, v26 src0_sel:BYTE_0 src1_sel:DWORD
	s_and_saveexec_b64 s[8:9], s[10:11]
	s_cbranch_execz .LBB562_477
; %bb.472:
	s_movk_i32 s7, 0x80
	v_cmp_ne_u16_sdwa s[12:13], v17, s7 src0_sel:BYTE_0 src1_sel:DWORD
	v_bfrev_b32_e32 v26, 1
	s_and_saveexec_b64 s[10:11], s[12:13]
	s_cbranch_execz .LBB562_476
; %bb.473:
	s_movk_i32 s7, 0x7f
	v_and_b32_e32 v14, 0x7f, v17
	v_cmp_ne_u32_e32 vcc, s7, v14
	v_mov_b32_e32 v26, 0x7f800001
	s_and_saveexec_b64 s[12:13], vcc
	s_cbranch_execz .LBB562_475
; %bb.474:
	v_and_b32_e32 v24, 7, v17
	v_ffbh_u32_e32 v29, v24
	v_min_u32_e32 v29, 32, v29
	v_mov_b32_e32 v16, v17
	v_subrev_u32_e32 v30, 28, v29
	v_lshlrev_b64 v[30:31], v30, v[16:17]
	v_lshrrev_b32_e32 v26, 3, v14
	v_sub_u32_e32 v16, 29, v29
	v_and_b32_e32 v29, 7, v30
	v_cmp_gt_u32_e32 vcc, 8, v14
	v_cndmask_b32_e32 v14, v26, v16, vcc
	v_cndmask_b32_e32 v16, v24, v29, vcc
	v_lshlrev_b32_e32 v24, 24, v17
	v_bfrev_b32_e32 v26, 60
	v_lshlrev_b32_e32 v16, 20, v16
	v_and_b32_e32 v24, 0x80000000, v24
	v_lshl_add_u32 v14, v14, 23, v26
	v_or3_b32 v26, v24, v14, v16
.LBB562_475:
	s_or_b64 exec, exec, s[12:13]
.LBB562_476:
	s_or_b64 exec, exec, s[10:11]
.LBB562_477:
	s_or_b64 exec, exec, s[8:9]
	v_lshrrev_b16_e32 v14, 8, v17
	v_cmp_ne_u16_e32 vcc, 0, v14
	v_mov_b32_e32 v16, 0
	v_mov_b32_e32 v29, 0
	s_and_saveexec_b64 s[8:9], vcc
	s_cbranch_execz .LBB562_483
; %bb.478:
	s_movk_i32 s7, 0x80
	v_cmp_ne_u16_e32 vcc, s7, v14
	v_bfrev_b32_e32 v29, 1
	s_and_saveexec_b64 s[10:11], vcc
	s_cbranch_execz .LBB562_482
; %bb.479:
	s_movk_i32 s7, 0x7f
	v_and_b32_e32 v24, 0x7f, v14
	v_cmp_ne_u32_e32 vcc, s7, v24
	v_mov_b32_e32 v29, 0x7f800001
	s_and_saveexec_b64 s[12:13], vcc
	s_cbranch_execz .LBB562_481
; %bb.480:
	v_and_b32_e32 v29, 7, v14
	v_ffbh_u32_e32 v30, v29
	v_min_u32_e32 v33, 32, v30
	v_subrev_u32_e32 v30, 28, v33
	v_lshlrev_b64 v[30:31], v30, v[14:15]
	v_lshrrev_b32_e32 v32, 3, v24
	v_sub_u32_e32 v14, 29, v33
	v_and_b32_e32 v30, 7, v30
	v_cmp_gt_u32_e32 vcc, 8, v24
	v_cndmask_b32_e32 v14, v32, v14, vcc
	v_cndmask_b32_e32 v24, v29, v30, vcc
	v_lshlrev_b32_e32 v29, 16, v17
	v_bfrev_b32_e32 v30, 60
	v_lshlrev_b32_e32 v24, 20, v24
	v_and_b32_e32 v29, 0x80000000, v29
	v_lshl_add_u32 v14, v14, 23, v30
	v_or3_b32 v29, v29, v14, v24
.LBB562_481:
	s_or_b64 exec, exec, s[12:13]
.LBB562_482:
	s_or_b64 exec, exec, s[10:11]
.LBB562_483:
	s_or_b64 exec, exec, s[8:9]
	s_movk_i32 s7, 0xff
	v_and_b32_sdwa v24, v17, s7 dst_sel:DWORD dst_unused:UNUSED_PAD src0_sel:WORD_1 src1_sel:DWORD
	v_lshrrev_b32_e32 v14, 16, v17
	v_cmp_ne_u16_e32 vcc, 0, v24
	s_and_saveexec_b64 s[8:9], vcc
	s_cbranch_execz .LBB562_489
; %bb.484:
	s_movk_i32 s7, 0x80
	v_cmp_ne_u16_e32 vcc, s7, v24
	v_bfrev_b32_e32 v16, 1
	s_and_saveexec_b64 s[10:11], vcc
	s_cbranch_execz .LBB562_488
; %bb.485:
	v_bfe_u32 v24, v17, 16, 7
	s_movk_i32 s7, 0x7f
	v_cmp_ne_u32_e32 vcc, s7, v24
	v_mov_b32_e32 v16, 0x7f800001
	s_and_saveexec_b64 s[12:13], vcc
	s_cbranch_execz .LBB562_487
; %bb.486:
	v_and_b32_e32 v16, 7, v14
	v_ffbh_u32_e32 v30, v16
	v_min_u32_e32 v33, 32, v30
	v_subrev_u32_e32 v30, 28, v33
	v_lshlrev_b64 v[30:31], v30, v[14:15]
	v_lshrrev_b32_e32 v32, 3, v24
	v_sub_u32_e32 v14, 29, v33
	v_and_b32_e32 v30, 7, v30
	v_cmp_gt_u32_e32 vcc, 8, v24
	v_mov_b32_e32 v24, 24
	v_cndmask_b32_e32 v14, v32, v14, vcc
	v_cndmask_b32_e32 v16, v16, v30, vcc
	v_lshlrev_b32_sdwa v24, v24, v17 dst_sel:DWORD dst_unused:UNUSED_PAD src0_sel:DWORD src1_sel:WORD_1
	v_bfrev_b32_e32 v30, 60
	v_lshlrev_b32_e32 v16, 20, v16
	v_and_b32_e32 v24, 0x80000000, v24
	v_lshl_add_u32 v14, v14, 23, v30
	v_or3_b32 v16, v24, v14, v16
.LBB562_487:
	s_or_b64 exec, exec, s[12:13]
.LBB562_488:
	s_or_b64 exec, exec, s[10:11]
.LBB562_489:
	s_or_b64 exec, exec, s[8:9]
	s_mov_b32 s7, 0xffffff
	v_cmp_lt_u32_e32 vcc, s7, v17
	v_mov_b32_e32 v24, 0
	v_mov_b32_e32 v30, 0
	s_and_saveexec_b64 s[8:9], vcc
	s_cbranch_execz .LBB562_495
; %bb.490:
	v_lshrrev_b32_e32 v14, 24, v17
	s_movk_i32 s7, 0x80
	v_cmp_ne_u32_e32 vcc, s7, v14
	v_bfrev_b32_e32 v30, 1
	s_and_saveexec_b64 s[10:11], vcc
	s_cbranch_execz .LBB562_494
; %bb.491:
	v_bfe_u32 v17, v17, 24, 7
	s_movk_i32 s7, 0x7f
	v_cmp_ne_u32_e32 vcc, s7, v17
	v_mov_b32_e32 v30, 0x7f800001
	s_and_saveexec_b64 s[12:13], vcc
	s_cbranch_execz .LBB562_493
; %bb.492:
	v_and_b32_e32 v32, 7, v14
	v_ffbh_u32_e32 v30, v32
	v_min_u32_e32 v34, 32, v30
	v_subrev_u32_e32 v30, 28, v34
	v_lshlrev_b64 v[30:31], v30, v[14:15]
	v_lshrrev_b32_e32 v33, 3, v17
	v_sub_u32_e32 v31, 29, v34
	v_and_b32_e32 v30, 7, v30
	v_cmp_gt_u32_e32 vcc, 8, v17
	v_cndmask_b32_e32 v17, v33, v31, vcc
	v_cndmask_b32_e32 v30, v32, v30, vcc
	v_lshlrev_b32_e32 v14, 24, v14
	v_bfrev_b32_e32 v31, 60
	v_lshlrev_b32_e32 v30, 20, v30
	v_and_b32_e32 v14, 0x80000000, v14
	v_lshl_add_u32 v17, v17, 23, v31
	v_or3_b32 v30, v14, v17, v30
.LBB562_493:
	s_or_b64 exec, exec, s[12:13]
.LBB562_494:
	s_or_b64 exec, exec, s[10:11]
.LBB562_495:
	s_or_b64 exec, exec, s[8:9]
	v_cvt_pkrtz_f16_f32 v14, v23, v25
	v_cvt_pkrtz_f16_f32 v15, v15, v27
	ds_read_b128 v[32:35], v22 offset:16
	s_waitcnt vmcnt(2)
	v_cmp_ne_u16_sdwa s[10:11], v10, v24 src0_sel:BYTE_0 src1_sel:DWORD
	s_waitcnt lgkmcnt(0)
	v_mfma_f32_16x16x16f16 v[18:21], v[14:15], v[32:33], v[18:21]
	v_cvt_pkrtz_f16_f32 v14, v26, v29
	v_cvt_pkrtz_f16_f32 v15, v16, v30
	s_nop 1
	v_mfma_f32_16x16x16f16 v[14:17], v[14:15], v[34:35], v[18:21]
	s_and_saveexec_b64 s[8:9], s[10:11]
	s_cbranch_execz .LBB562_501
; %bb.496:
	s_movk_i32 s7, 0x80
	v_cmp_ne_u16_sdwa s[12:13], v10, s7 src0_sel:BYTE_0 src1_sel:DWORD
	v_bfrev_b32_e32 v24, 1
	s_and_saveexec_b64 s[10:11], s[12:13]
	s_cbranch_execz .LBB562_500
; %bb.497:
	s_movk_i32 s7, 0x7f
	v_and_b32_e32 v18, 0x7f, v10
	v_cmp_ne_u32_e32 vcc, s7, v18
	v_mov_b32_e32 v24, 0x7f800001
	s_and_saveexec_b64 s[12:13], vcc
	s_cbranch_execz .LBB562_499
; %bb.498:
	v_and_b32_e32 v19, 7, v10
	v_ffbh_u32_e32 v20, v19
	v_min_u32_e32 v24, 32, v20
	v_subrev_u32_e32 v20, 28, v24
	v_lshlrev_b64 v[20:21], v20, v[10:11]
	v_lshrrev_b32_e32 v23, 3, v18
	v_sub_u32_e32 v21, 29, v24
	v_and_b32_e32 v20, 7, v20
	v_cmp_gt_u32_e32 vcc, 8, v18
	v_cndmask_b32_e32 v18, v23, v21, vcc
	v_cndmask_b32_e32 v19, v19, v20, vcc
	v_lshlrev_b32_e32 v20, 24, v10
	v_bfrev_b32_e32 v21, 60
	v_lshlrev_b32_e32 v19, 20, v19
	v_and_b32_e32 v20, 0x80000000, v20
	v_lshl_add_u32 v18, v18, 23, v21
	v_or3_b32 v24, v20, v18, v19
.LBB562_499:
	s_or_b64 exec, exec, s[12:13]
.LBB562_500:
	s_or_b64 exec, exec, s[10:11]
.LBB562_501:
	s_or_b64 exec, exec, s[8:9]
	s_nop 3
	v_lshrrev_b16_e32 v18, 8, v10
	v_cmp_ne_u16_e32 vcc, 0, v18
	v_mov_b32_e32 v19, 0
	v_mov_b32_e32 v20, 0
	s_and_saveexec_b64 s[8:9], vcc
	s_cbranch_execz .LBB562_507
; %bb.502:
	s_movk_i32 s7, 0x80
	v_cmp_ne_u16_e32 vcc, s7, v18
	v_bfrev_b32_e32 v20, 1
	s_and_saveexec_b64 s[10:11], vcc
	s_cbranch_execz .LBB562_506
; %bb.503:
	s_movk_i32 s7, 0x7f
	v_and_b32_e32 v21, 0x7f, v18
	v_cmp_ne_u32_e32 vcc, s7, v21
	v_mov_b32_e32 v20, 0x7f800001
	s_and_saveexec_b64 s[12:13], vcc
	s_cbranch_execz .LBB562_505
; %bb.504:
	v_and_b32_e32 v20, 7, v18
	v_ffbh_u32_e32 v25, v20
	v_min_u32_e32 v25, 32, v25
	v_subrev_u32_e32 v26, 28, v25
	v_lshlrev_b64 v[26:27], v26, v[18:19]
	v_lshrrev_b32_e32 v23, 3, v21
	v_sub_u32_e32 v18, 29, v25
	v_and_b32_e32 v25, 7, v26
	v_cmp_gt_u32_e32 vcc, 8, v21
	v_cndmask_b32_e32 v18, v23, v18, vcc
	v_cndmask_b32_e32 v20, v20, v25, vcc
	v_lshlrev_b32_e32 v21, 16, v10
	v_bfrev_b32_e32 v23, 60
	v_lshlrev_b32_e32 v20, 20, v20
	v_and_b32_e32 v21, 0x80000000, v21
	v_lshl_add_u32 v18, v18, 23, v23
	v_or3_b32 v20, v21, v18, v20
.LBB562_505:
	s_or_b64 exec, exec, s[12:13]
.LBB562_506:
	s_or_b64 exec, exec, s[10:11]
.LBB562_507:
	s_or_b64 exec, exec, s[8:9]
	s_movk_i32 s7, 0xff
	v_and_b32_sdwa v21, v10, s7 dst_sel:DWORD dst_unused:UNUSED_PAD src0_sel:WORD_1 src1_sel:DWORD
	v_lshrrev_b32_e32 v18, 16, v10
	v_cmp_ne_u16_e32 vcc, 0, v21
	s_and_saveexec_b64 s[8:9], vcc
	s_cbranch_execz .LBB562_513
; %bb.508:
	s_movk_i32 s7, 0x80
	v_cmp_ne_u16_e32 vcc, s7, v21
	v_bfrev_b32_e32 v19, 1
	s_and_saveexec_b64 s[10:11], vcc
	s_cbranch_execz .LBB562_512
; %bb.509:
	v_bfe_u32 v21, v10, 16, 7
	s_movk_i32 s7, 0x7f
	v_cmp_ne_u32_e32 vcc, s7, v21
	v_mov_b32_e32 v19, 0x7f800001
	s_and_saveexec_b64 s[12:13], vcc
	s_cbranch_execz .LBB562_511
; %bb.510:
	v_and_b32_e32 v23, 7, v18
	v_ffbh_u32_e32 v19, v23
	v_min_u32_e32 v26, 32, v19
	v_subrev_u32_e32 v19, 28, v26
	v_lshlrev_b64 v[18:19], v19, v[18:19]
	v_lshrrev_b32_e32 v25, 3, v21
	v_sub_u32_e32 v19, 29, v26
	v_and_b32_e32 v18, 7, v18
	v_cmp_gt_u32_e32 vcc, 8, v21
	v_mov_b32_e32 v21, 24
	v_cndmask_b32_e32 v19, v25, v19, vcc
	v_cndmask_b32_e32 v18, v23, v18, vcc
	v_lshlrev_b32_sdwa v21, v21, v10 dst_sel:DWORD dst_unused:UNUSED_PAD src0_sel:DWORD src1_sel:WORD_1
	v_bfrev_b32_e32 v23, 60
	v_lshlrev_b32_e32 v18, 20, v18
	v_and_b32_e32 v21, 0x80000000, v21
	v_lshl_add_u32 v19, v19, 23, v23
	v_or3_b32 v19, v21, v19, v18
.LBB562_511:
	s_or_b64 exec, exec, s[12:13]
.LBB562_512:
	s_or_b64 exec, exec, s[10:11]
.LBB562_513:
	s_or_b64 exec, exec, s[8:9]
	s_mov_b32 s7, 0xffffff
	v_cmp_lt_u32_e32 vcc, s7, v10
	v_mov_b32_e32 v21, 0
	v_mov_b32_e32 v23, 0
	s_and_saveexec_b64 s[8:9], vcc
	s_cbranch_execz .LBB562_519
; %bb.514:
	v_lshrrev_b32_e32 v18, 24, v10
	s_movk_i32 s7, 0x80
	v_cmp_ne_u32_e32 vcc, s7, v18
	v_bfrev_b32_e32 v23, 1
	s_and_saveexec_b64 s[10:11], vcc
	s_cbranch_execz .LBB562_518
; %bb.515:
	v_bfe_u32 v10, v10, 24, 7
	s_movk_i32 s7, 0x7f
	v_cmp_ne_u32_e32 vcc, s7, v10
	v_mov_b32_e32 v23, 0x7f800001
	s_and_saveexec_b64 s[12:13], vcc
	s_cbranch_execz .LBB562_517
; %bb.516:
	v_and_b32_e32 v23, 7, v18
	v_ffbh_u32_e32 v26, v23
	v_min_u32_e32 v29, 32, v26
	v_subrev_u32_e32 v26, 28, v29
	v_lshlrev_b64 v[26:27], v26, v[18:19]
	v_lshrrev_b32_e32 v25, 3, v10
	v_sub_u32_e32 v27, 29, v29
	v_and_b32_e32 v26, 7, v26
	v_cmp_gt_u32_e32 vcc, 8, v10
	v_cndmask_b32_e32 v10, v25, v27, vcc
	v_cndmask_b32_e32 v23, v23, v26, vcc
	v_lshlrev_b32_e32 v18, 24, v18
	v_bfrev_b32_e32 v25, 60
	v_lshlrev_b32_e32 v23, 20, v23
	v_and_b32_e32 v18, 0x80000000, v18
	v_lshl_add_u32 v10, v10, 23, v25
	v_or3_b32 v23, v18, v10, v23
.LBB562_517:
	s_or_b64 exec, exec, s[12:13]
.LBB562_518:
	s_or_b64 exec, exec, s[10:11]
.LBB562_519:
	s_or_b64 exec, exec, s[8:9]
	v_cmp_ne_u16_sdwa s[10:11], v11, v21 src0_sel:BYTE_0 src1_sel:DWORD
	s_and_saveexec_b64 s[8:9], s[10:11]
	s_cbranch_execz .LBB562_525
; %bb.520:
	s_movk_i32 s7, 0x80
	v_cmp_ne_u16_sdwa s[12:13], v11, s7 src0_sel:BYTE_0 src1_sel:DWORD
	v_bfrev_b32_e32 v21, 1
	s_and_saveexec_b64 s[10:11], s[12:13]
	s_cbranch_execz .LBB562_524
; %bb.521:
	s_movk_i32 s7, 0x7f
	v_and_b32_e32 v10, 0x7f, v11
	v_cmp_ne_u32_e32 vcc, s7, v10
	v_mov_b32_e32 v21, 0x7f800001
	s_and_saveexec_b64 s[12:13], vcc
	s_cbranch_execz .LBB562_523
; %bb.522:
	v_and_b32_e32 v21, 7, v11
	v_ffbh_u32_e32 v26, v21
	v_min_u32_e32 v29, 32, v26
	v_mov_b32_e32 v18, v11
	v_subrev_u32_e32 v26, 28, v29
	v_lshlrev_b64 v[26:27], v26, v[18:19]
	v_lshrrev_b32_e32 v25, 3, v10
	v_sub_u32_e32 v18, 29, v29
	v_and_b32_e32 v26, 7, v26
	v_cmp_gt_u32_e32 vcc, 8, v10
	v_cndmask_b32_e32 v10, v25, v18, vcc
	v_cndmask_b32_e32 v18, v21, v26, vcc
	v_lshlrev_b32_e32 v21, 24, v11
	v_bfrev_b32_e32 v25, 60
	v_lshlrev_b32_e32 v18, 20, v18
	v_and_b32_e32 v21, 0x80000000, v21
	v_lshl_add_u32 v10, v10, 23, v25
	v_or3_b32 v21, v21, v10, v18
.LBB562_523:
	s_or_b64 exec, exec, s[12:13]
.LBB562_524:
	s_or_b64 exec, exec, s[10:11]
.LBB562_525:
	s_or_b64 exec, exec, s[8:9]
	v_lshrrev_b16_e32 v10, 8, v11
	v_cmp_ne_u16_e32 vcc, 0, v10
	v_mov_b32_e32 v25, 0
	v_mov_b32_e32 v26, 0
	s_and_saveexec_b64 s[8:9], vcc
	s_cbranch_execz .LBB562_531
; %bb.526:
	s_movk_i32 s7, 0x80
	v_cmp_ne_u16_e32 vcc, s7, v10
	v_bfrev_b32_e32 v26, 1
	s_and_saveexec_b64 s[10:11], vcc
	s_cbranch_execz .LBB562_530
; %bb.527:
	s_movk_i32 s7, 0x7f
	v_and_b32_e32 v18, 0x7f, v10
	v_cmp_ne_u32_e32 vcc, s7, v18
	v_mov_b32_e32 v26, 0x7f800001
	s_and_saveexec_b64 s[12:13], vcc
	s_cbranch_execz .LBB562_529
; %bb.528:
	v_and_b32_e32 v29, 7, v10
	v_ffbh_u32_e32 v26, v29
	v_min_u32_e32 v31, 32, v26
	v_subrev_u32_e32 v26, 28, v31
	v_lshlrev_b64 v[26:27], v26, v[10:11]
	v_lshrrev_b32_e32 v30, 3, v18
	v_sub_u32_e32 v10, 29, v31
	v_and_b32_e32 v26, 7, v26
	v_cmp_gt_u32_e32 vcc, 8, v18
	v_cndmask_b32_e32 v10, v30, v10, vcc
	v_cndmask_b32_e32 v18, v29, v26, vcc
	v_lshlrev_b32_e32 v26, 16, v11
	v_bfrev_b32_e32 v27, 60
	v_lshlrev_b32_e32 v18, 20, v18
	v_and_b32_e32 v26, 0x80000000, v26
	v_lshl_add_u32 v10, v10, 23, v27
	v_or3_b32 v26, v26, v10, v18
.LBB562_529:
	s_or_b64 exec, exec, s[12:13]
.LBB562_530:
	s_or_b64 exec, exec, s[10:11]
.LBB562_531:
	s_or_b64 exec, exec, s[8:9]
	s_movk_i32 s7, 0xff
	v_and_b32_sdwa v18, v11, s7 dst_sel:DWORD dst_unused:UNUSED_PAD src0_sel:WORD_1 src1_sel:DWORD
	v_lshrrev_b32_e32 v10, 16, v11
	v_cmp_ne_u16_e32 vcc, 0, v18
	s_and_saveexec_b64 s[8:9], vcc
	s_cbranch_execz .LBB562_537
; %bb.532:
	s_movk_i32 s7, 0x80
	v_cmp_ne_u16_e32 vcc, s7, v18
	v_bfrev_b32_e32 v25, 1
	s_and_saveexec_b64 s[10:11], vcc
	s_cbranch_execz .LBB562_536
; %bb.533:
	v_bfe_u32 v18, v11, 16, 7
	s_movk_i32 s7, 0x7f
	v_cmp_ne_u32_e32 vcc, s7, v18
	v_mov_b32_e32 v25, 0x7f800001
	s_and_saveexec_b64 s[12:13], vcc
	s_cbranch_execz .LBB562_535
; %bb.534:
	v_and_b32_e32 v25, 7, v10
	v_ffbh_u32_e32 v29, v25
	v_min_u32_e32 v29, 32, v29
	v_subrev_u32_e32 v30, 28, v29
	v_lshlrev_b64 v[30:31], v30, v[10:11]
	v_sub_u32_e32 v10, 29, v29
	v_and_b32_e32 v29, 7, v30
	v_cmp_gt_u32_e32 vcc, 8, v18
	v_lshrrev_b32_e32 v27, 3, v18
	v_cndmask_b32_e32 v18, v25, v29, vcc
	v_mov_b32_e32 v25, 24
	v_cndmask_b32_e32 v10, v27, v10, vcc
	v_lshlrev_b32_sdwa v25, v25, v11 dst_sel:DWORD dst_unused:UNUSED_PAD src0_sel:DWORD src1_sel:WORD_1
	v_bfrev_b32_e32 v27, 60
	v_lshlrev_b32_e32 v18, 20, v18
	v_and_b32_e32 v25, 0x80000000, v25
	v_lshl_add_u32 v10, v10, 23, v27
	v_or3_b32 v25, v25, v10, v18
.LBB562_535:
	s_or_b64 exec, exec, s[12:13]
.LBB562_536:
	s_or_b64 exec, exec, s[10:11]
.LBB562_537:
	s_or_b64 exec, exec, s[8:9]
	s_mov_b32 s7, 0xffffff
	v_cmp_lt_u32_e32 vcc, s7, v11
	v_mov_b32_e32 v18, 0
	v_mov_b32_e32 v27, 0
	s_and_saveexec_b64 s[8:9], vcc
	s_cbranch_execz .LBB562_543
; %bb.538:
	v_lshrrev_b32_e32 v10, 24, v11
	s_movk_i32 s7, 0x80
	v_cmp_ne_u32_e32 vcc, s7, v10
	v_bfrev_b32_e32 v27, 1
	s_and_saveexec_b64 s[10:11], vcc
	s_cbranch_execz .LBB562_542
; %bb.539:
	v_bfe_u32 v11, v11, 24, 7
	s_movk_i32 s7, 0x7f
	v_cmp_ne_u32_e32 vcc, s7, v11
	v_mov_b32_e32 v27, 0x7f800001
	s_and_saveexec_b64 s[12:13], vcc
	s_cbranch_execz .LBB562_541
; %bb.540:
	v_and_b32_e32 v27, 7, v10
	v_ffbh_u32_e32 v30, v27
	v_min_u32_e32 v32, 32, v30
	v_subrev_u32_e32 v30, 28, v32
	v_lshlrev_b64 v[30:31], v30, v[10:11]
	v_lshrrev_b32_e32 v29, 3, v11
	v_sub_u32_e32 v31, 29, v32
	v_and_b32_e32 v30, 7, v30
	v_cmp_gt_u32_e32 vcc, 8, v11
	v_cndmask_b32_e32 v11, v29, v31, vcc
	v_cndmask_b32_e32 v27, v27, v30, vcc
	v_lshlrev_b32_e32 v10, 24, v10
	v_bfrev_b32_e32 v29, 60
	v_lshlrev_b32_e32 v27, 20, v27
	v_and_b32_e32 v10, 0x80000000, v10
	v_lshl_add_u32 v11, v11, 23, v29
	v_or3_b32 v27, v10, v11, v27
.LBB562_541:
	s_or_b64 exec, exec, s[12:13]
.LBB562_542:
	s_or_b64 exec, exec, s[10:11]
.LBB562_543:
	s_or_b64 exec, exec, s[8:9]
	v_cvt_pkrtz_f16_f32 v10, v24, v20
	v_cvt_pkrtz_f16_f32 v11, v19, v23
	ds_read_b128 v[30:33], v22 offset:2048
	v_cmp_ne_u16_sdwa s[10:11], v12, v18 src0_sel:BYTE_0 src1_sel:DWORD
	s_waitcnt lgkmcnt(0)
	v_mfma_f32_16x16x16f16 v[14:17], v[10:11], v[30:31], v[14:17]
	v_cvt_pkrtz_f16_f32 v10, v21, v26
	v_cvt_pkrtz_f16_f32 v11, v25, v27
	s_nop 1
	v_mfma_f32_16x16x16f16 v[14:17], v[10:11], v[32:33], v[14:17]
	s_and_saveexec_b64 s[8:9], s[10:11]
	s_cbranch_execz .LBB562_549
; %bb.544:
	s_movk_i32 s7, 0x80
	v_cmp_ne_u16_sdwa s[12:13], v12, s7 src0_sel:BYTE_0 src1_sel:DWORD
	v_bfrev_b32_e32 v18, 1
	s_and_saveexec_b64 s[10:11], s[12:13]
	s_cbranch_execz .LBB562_548
; %bb.545:
	s_movk_i32 s7, 0x7f
	v_and_b32_e32 v10, 0x7f, v12
	v_cmp_ne_u32_e32 vcc, s7, v10
	v_mov_b32_e32 v18, 0x7f800001
	s_and_saveexec_b64 s[12:13], vcc
	s_cbranch_execz .LBB562_547
; %bb.546:
	v_and_b32_e32 v11, 7, v12
	v_ffbh_u32_e32 v18, v11
	v_min_u32_e32 v21, 32, v18
	v_subrev_u32_e32 v18, 28, v21
	v_lshlrev_b64 v[18:19], v18, v[12:13]
	v_lshrrev_b32_e32 v20, 3, v10
	v_sub_u32_e32 v19, 29, v21
	v_and_b32_e32 v18, 7, v18
	v_cmp_gt_u32_e32 vcc, 8, v10
	v_cndmask_b32_e32 v10, v20, v19, vcc
	v_cndmask_b32_e32 v11, v11, v18, vcc
	v_lshlrev_b32_e32 v18, 24, v12
	v_bfrev_b32_e32 v19, 60
	v_lshlrev_b32_e32 v11, 20, v11
	v_and_b32_e32 v18, 0x80000000, v18
	v_lshl_add_u32 v10, v10, 23, v19
	v_or3_b32 v18, v18, v10, v11
.LBB562_547:
	s_or_b64 exec, exec, s[12:13]
.LBB562_548:
	s_or_b64 exec, exec, s[10:11]
.LBB562_549:
	s_or_b64 exec, exec, s[8:9]
	v_lshrrev_b16_e32 v10, 8, v12
	v_cmp_ne_u16_e32 vcc, 0, v10
	v_mov_b32_e32 v11, 0
	v_mov_b32_e32 v20, 0
	s_and_saveexec_b64 s[8:9], vcc
	s_cbranch_execz .LBB562_555
; %bb.550:
	s_movk_i32 s7, 0x80
	v_cmp_ne_u16_e32 vcc, s7, v10
	v_bfrev_b32_e32 v20, 1
	s_and_saveexec_b64 s[10:11], vcc
	s_cbranch_execz .LBB562_554
; %bb.551:
	s_movk_i32 s7, 0x7f
	v_and_b32_e32 v19, 0x7f, v10
	v_cmp_ne_u32_e32 vcc, s7, v19
	v_mov_b32_e32 v20, 0x7f800001
	s_and_saveexec_b64 s[12:13], vcc
	s_cbranch_execz .LBB562_553
; %bb.552:
	v_and_b32_e32 v23, 7, v10
	v_ffbh_u32_e32 v20, v23
	v_min_u32_e32 v25, 32, v20
	v_subrev_u32_e32 v20, 28, v25
	v_lshlrev_b64 v[20:21], v20, v[10:11]
	v_lshrrev_b32_e32 v24, 3, v19
	v_sub_u32_e32 v10, 29, v25
	v_and_b32_e32 v20, 7, v20
	v_cmp_gt_u32_e32 vcc, 8, v19
	v_cndmask_b32_e32 v10, v24, v10, vcc
	v_cndmask_b32_e32 v19, v23, v20, vcc
	v_lshlrev_b32_e32 v20, 16, v12
	v_bfrev_b32_e32 v21, 60
	v_lshlrev_b32_e32 v19, 20, v19
	v_and_b32_e32 v20, 0x80000000, v20
	v_lshl_add_u32 v10, v10, 23, v21
	v_or3_b32 v20, v20, v10, v19
.LBB562_553:
	s_or_b64 exec, exec, s[12:13]
.LBB562_554:
	s_or_b64 exec, exec, s[10:11]
.LBB562_555:
	s_or_b64 exec, exec, s[8:9]
	s_movk_i32 s7, 0xff
	v_and_b32_sdwa v19, v12, s7 dst_sel:DWORD dst_unused:UNUSED_PAD src0_sel:WORD_1 src1_sel:DWORD
	v_lshrrev_b32_e32 v10, 16, v12
	v_cmp_ne_u16_e32 vcc, 0, v19
	s_and_saveexec_b64 s[8:9], vcc
	s_cbranch_execz .LBB562_561
; %bb.556:
	s_movk_i32 s7, 0x80
	v_cmp_ne_u16_e32 vcc, s7, v19
	v_bfrev_b32_e32 v11, 1
	s_and_saveexec_b64 s[10:11], vcc
	s_cbranch_execz .LBB562_560
; %bb.557:
	v_bfe_u32 v19, v12, 16, 7
	s_movk_i32 s7, 0x7f
	v_cmp_ne_u32_e32 vcc, s7, v19
	v_mov_b32_e32 v11, 0x7f800001
	s_and_saveexec_b64 s[12:13], vcc
	s_cbranch_execz .LBB562_559
; %bb.558:
	v_and_b32_e32 v21, 7, v10
	v_ffbh_u32_e32 v11, v21
	v_min_u32_e32 v24, 32, v11
	v_subrev_u32_e32 v11, 28, v24
	v_lshlrev_b64 v[10:11], v11, v[10:11]
	v_lshrrev_b32_e32 v23, 3, v19
	v_sub_u32_e32 v11, 29, v24
	v_and_b32_e32 v10, 7, v10
	v_cmp_gt_u32_e32 vcc, 8, v19
	v_mov_b32_e32 v19, 24
	v_cndmask_b32_e32 v11, v23, v11, vcc
	v_cndmask_b32_e32 v10, v21, v10, vcc
	v_lshlrev_b32_sdwa v19, v19, v12 dst_sel:DWORD dst_unused:UNUSED_PAD src0_sel:DWORD src1_sel:WORD_1
	v_bfrev_b32_e32 v21, 60
	v_lshlrev_b32_e32 v10, 20, v10
	v_and_b32_e32 v19, 0x80000000, v19
	v_lshl_add_u32 v11, v11, 23, v21
	v_or3_b32 v11, v19, v11, v10
.LBB562_559:
	s_or_b64 exec, exec, s[12:13]
.LBB562_560:
	s_or_b64 exec, exec, s[10:11]
.LBB562_561:
	s_or_b64 exec, exec, s[8:9]
	s_mov_b32 s7, 0xffffff
	v_cmp_lt_u32_e32 vcc, s7, v12
	v_mov_b32_e32 v21, 0
	v_mov_b32_e32 v23, 0
	s_and_saveexec_b64 s[8:9], vcc
	s_cbranch_execz .LBB562_567
; %bb.562:
	v_lshrrev_b32_e32 v10, 24, v12
	s_movk_i32 s7, 0x80
	v_cmp_ne_u32_e32 vcc, s7, v10
	v_bfrev_b32_e32 v23, 1
	s_and_saveexec_b64 s[10:11], vcc
	s_cbranch_execz .LBB562_566
; %bb.563:
	v_bfe_u32 v12, v12, 24, 7
	s_movk_i32 s7, 0x7f
	v_cmp_ne_u32_e32 vcc, s7, v12
	v_mov_b32_e32 v23, 0x7f800001
	s_and_saveexec_b64 s[12:13], vcc
	s_cbranch_execz .LBB562_565
; %bb.564:
	v_and_b32_e32 v19, 7, v10
	v_ffbh_u32_e32 v24, v19
	v_min_u32_e32 v26, 32, v24
	v_subrev_u32_e32 v24, 28, v26
	v_lshlrev_b64 v[24:25], v24, v[10:11]
	v_lshrrev_b32_e32 v23, 3, v12
	v_sub_u32_e32 v25, 29, v26
	v_and_b32_e32 v24, 7, v24
	v_cmp_gt_u32_e32 vcc, 8, v12
	v_cndmask_b32_e32 v12, v23, v25, vcc
	v_cndmask_b32_e32 v19, v19, v24, vcc
	v_lshlrev_b32_e32 v10, 24, v10
	v_bfrev_b32_e32 v23, 60
	v_lshlrev_b32_e32 v19, 20, v19
	v_and_b32_e32 v10, 0x80000000, v10
	v_lshl_add_u32 v12, v12, 23, v23
	v_or3_b32 v23, v10, v12, v19
.LBB562_565:
	s_or_b64 exec, exec, s[12:13]
.LBB562_566:
	s_or_b64 exec, exec, s[10:11]
.LBB562_567:
	s_or_b64 exec, exec, s[8:9]
	v_cmp_ne_u16_sdwa s[10:11], v13, v21 src0_sel:BYTE_0 src1_sel:DWORD
	s_and_saveexec_b64 s[8:9], s[10:11]
	s_cbranch_execz .LBB562_573
; %bb.568:
	s_movk_i32 s7, 0x80
	v_cmp_ne_u16_sdwa s[12:13], v13, s7 src0_sel:BYTE_0 src1_sel:DWORD
	v_bfrev_b32_e32 v21, 1
	s_and_saveexec_b64 s[10:11], s[12:13]
	s_cbranch_execz .LBB562_572
; %bb.569:
	s_movk_i32 s7, 0x7f
	v_and_b32_e32 v10, 0x7f, v13
	v_cmp_ne_u32_e32 vcc, s7, v10
	v_mov_b32_e32 v21, 0x7f800001
	s_and_saveexec_b64 s[12:13], vcc
	s_cbranch_execz .LBB562_571
; %bb.570:
	v_and_b32_e32 v19, 7, v13
	v_ffbh_u32_e32 v24, v19
	v_min_u32_e32 v26, 32, v24
	v_mov_b32_e32 v12, v13
	v_subrev_u32_e32 v24, 28, v26
	v_lshlrev_b64 v[24:25], v24, v[12:13]
	v_lshrrev_b32_e32 v21, 3, v10
	v_sub_u32_e32 v12, 29, v26
	v_and_b32_e32 v24, 7, v24
	v_cmp_gt_u32_e32 vcc, 8, v10
	v_cndmask_b32_e32 v10, v21, v12, vcc
	v_cndmask_b32_e32 v12, v19, v24, vcc
	v_lshlrev_b32_e32 v19, 24, v13
	v_bfrev_b32_e32 v21, 60
	v_lshlrev_b32_e32 v12, 20, v12
	v_and_b32_e32 v19, 0x80000000, v19
	v_lshl_add_u32 v10, v10, 23, v21
	v_or3_b32 v21, v19, v10, v12
.LBB562_571:
	s_or_b64 exec, exec, s[12:13]
.LBB562_572:
	s_or_b64 exec, exec, s[10:11]
.LBB562_573:
	s_or_b64 exec, exec, s[8:9]
	v_lshrrev_b16_e32 v10, 8, v13
	v_cmp_ne_u16_e32 vcc, 0, v10
	v_mov_b32_e32 v12, 0
	v_mov_b32_e32 v24, 0
	s_and_saveexec_b64 s[8:9], vcc
	s_cbranch_execz .LBB562_579
; %bb.574:
	s_movk_i32 s7, 0x80
	v_cmp_ne_u16_e32 vcc, s7, v10
	v_bfrev_b32_e32 v24, 1
	s_and_saveexec_b64 s[10:11], vcc
	s_cbranch_execz .LBB562_578
; %bb.575:
	s_movk_i32 s7, 0x7f
	v_and_b32_e32 v19, 0x7f, v10
	v_cmp_ne_u32_e32 vcc, s7, v19
	v_mov_b32_e32 v24, 0x7f800001
	s_and_saveexec_b64 s[12:13], vcc
	s_cbranch_execz .LBB562_577
; %bb.576:
	v_and_b32_e32 v26, 7, v10
	v_ffbh_u32_e32 v24, v26
	v_min_u32_e32 v29, 32, v24
	v_subrev_u32_e32 v24, 28, v29
	v_lshlrev_b64 v[24:25], v24, v[10:11]
	v_lshrrev_b32_e32 v27, 3, v19
	v_sub_u32_e32 v10, 29, v29
	v_and_b32_e32 v24, 7, v24
	v_cmp_gt_u32_e32 vcc, 8, v19
	v_cndmask_b32_e32 v10, v27, v10, vcc
	v_cndmask_b32_e32 v19, v26, v24, vcc
	v_lshlrev_b32_e32 v24, 16, v13
	v_bfrev_b32_e32 v25, 60
	v_lshlrev_b32_e32 v19, 20, v19
	v_and_b32_e32 v24, 0x80000000, v24
	v_lshl_add_u32 v10, v10, 23, v25
	v_or3_b32 v24, v24, v10, v19
.LBB562_577:
	s_or_b64 exec, exec, s[12:13]
.LBB562_578:
	s_or_b64 exec, exec, s[10:11]
.LBB562_579:
	s_or_b64 exec, exec, s[8:9]
	s_movk_i32 s7, 0xff
	v_and_b32_sdwa v19, v13, s7 dst_sel:DWORD dst_unused:UNUSED_PAD src0_sel:WORD_1 src1_sel:DWORD
	v_lshrrev_b32_e32 v10, 16, v13
	v_cmp_ne_u16_e32 vcc, 0, v19
	s_and_saveexec_b64 s[8:9], vcc
	s_cbranch_execz .LBB562_585
; %bb.580:
	s_movk_i32 s7, 0x80
	v_cmp_ne_u16_e32 vcc, s7, v19
	v_bfrev_b32_e32 v12, 1
	s_and_saveexec_b64 s[10:11], vcc
	s_cbranch_execz .LBB562_584
; %bb.581:
	v_bfe_u32 v19, v13, 16, 7
	s_movk_i32 s7, 0x7f
	v_cmp_ne_u32_e32 vcc, s7, v19
	v_mov_b32_e32 v12, 0x7f800001
	s_and_saveexec_b64 s[12:13], vcc
	s_cbranch_execz .LBB562_583
; %bb.582:
	v_and_b32_e32 v12, 7, v10
	v_ffbh_u32_e32 v26, v12
	v_min_u32_e32 v29, 32, v26
	v_subrev_u32_e32 v26, 28, v29
	v_lshlrev_b64 v[26:27], v26, v[10:11]
	v_lshrrev_b32_e32 v25, 3, v19
	v_sub_u32_e32 v10, 29, v29
	v_and_b32_e32 v26, 7, v26
	v_cmp_gt_u32_e32 vcc, 8, v19
	v_mov_b32_e32 v19, 24
	v_cndmask_b32_e32 v10, v25, v10, vcc
	v_cndmask_b32_e32 v12, v12, v26, vcc
	v_lshlrev_b32_sdwa v19, v19, v13 dst_sel:DWORD dst_unused:UNUSED_PAD src0_sel:DWORD src1_sel:WORD_1
	v_bfrev_b32_e32 v25, 60
	v_lshlrev_b32_e32 v12, 20, v12
	v_and_b32_e32 v19, 0x80000000, v19
	v_lshl_add_u32 v10, v10, 23, v25
	v_or3_b32 v12, v19, v10, v12
.LBB562_583:
	s_or_b64 exec, exec, s[12:13]
.LBB562_584:
	s_or_b64 exec, exec, s[10:11]
.LBB562_585:
	s_or_b64 exec, exec, s[8:9]
	s_mov_b32 s7, 0xffffff
	v_cmp_lt_u32_e32 vcc, s7, v13
	v_mov_b32_e32 v19, 0
	v_mov_b32_e32 v25, 0
	s_and_saveexec_b64 s[8:9], vcc
	s_cbranch_execz .LBB562_591
; %bb.586:
	v_lshrrev_b32_e32 v10, 24, v13
	s_movk_i32 s7, 0x80
	v_cmp_ne_u32_e32 vcc, s7, v10
	v_bfrev_b32_e32 v25, 1
	s_and_saveexec_b64 s[10:11], vcc
	s_cbranch_execz .LBB562_590
; %bb.587:
	v_bfe_u32 v13, v13, 24, 7
	s_movk_i32 s7, 0x7f
	v_cmp_ne_u32_e32 vcc, s7, v13
	v_mov_b32_e32 v25, 0x7f800001
	s_and_saveexec_b64 s[12:13], vcc
	s_cbranch_execz .LBB562_589
; %bb.588:
	v_and_b32_e32 v25, 7, v10
	v_ffbh_u32_e32 v26, v25
	v_min_u32_e32 v30, 32, v26
	v_subrev_u32_e32 v26, 28, v30
	v_lshlrev_b64 v[26:27], v26, v[10:11]
	v_lshrrev_b32_e32 v29, 3, v13
	v_sub_u32_e32 v27, 29, v30
	v_and_b32_e32 v26, 7, v26
	v_cmp_gt_u32_e32 vcc, 8, v13
	v_cndmask_b32_e32 v13, v29, v27, vcc
	v_cndmask_b32_e32 v25, v25, v26, vcc
	v_lshlrev_b32_e32 v10, 24, v10
	v_bfrev_b32_e32 v26, 60
	v_lshlrev_b32_e32 v25, 20, v25
	v_and_b32_e32 v10, 0x80000000, v10
	v_lshl_add_u32 v13, v13, 23, v26
	v_or3_b32 v25, v10, v13, v25
.LBB562_589:
	s_or_b64 exec, exec, s[12:13]
.LBB562_590:
	s_or_b64 exec, exec, s[10:11]
.LBB562_591:
	s_or_b64 exec, exec, s[8:9]
	v_cvt_pkrtz_f16_f32 v10, v18, v20
	v_cvt_pkrtz_f16_f32 v11, v11, v23
	ds_read_b128 v[30:33], v22 offset:2064
	s_waitcnt vmcnt(1)
	v_cmp_ne_u16_sdwa s[10:11], v6, v19 src0_sel:BYTE_0 src1_sel:DWORD
	s_waitcnt lgkmcnt(0)
	v_mfma_f32_16x16x16f16 v[14:17], v[10:11], v[30:31], v[14:17]
	v_cvt_pkrtz_f16_f32 v10, v21, v24
	v_cvt_pkrtz_f16_f32 v11, v12, v25
	s_nop 1
	v_mfma_f32_16x16x16f16 v[10:13], v[10:11], v[32:33], v[14:17]
	s_and_saveexec_b64 s[8:9], s[10:11]
	s_cbranch_execz .LBB562_597
; %bb.592:
	s_movk_i32 s7, 0x80
	v_cmp_ne_u16_sdwa s[12:13], v6, s7 src0_sel:BYTE_0 src1_sel:DWORD
	v_bfrev_b32_e32 v19, 1
	s_and_saveexec_b64 s[10:11], s[12:13]
	s_cbranch_execz .LBB562_596
; %bb.593:
	s_movk_i32 s7, 0x7f
	v_and_b32_e32 v14, 0x7f, v6
	v_cmp_ne_u32_e32 vcc, s7, v14
	v_mov_b32_e32 v19, 0x7f800001
	s_and_saveexec_b64 s[12:13], vcc
	s_cbranch_execz .LBB562_595
; %bb.594:
	v_and_b32_e32 v15, 7, v6
	v_ffbh_u32_e32 v16, v15
	v_min_u32_e32 v19, 32, v16
	v_subrev_u32_e32 v16, 28, v19
	v_lshlrev_b64 v[16:17], v16, v[6:7]
	v_lshrrev_b32_e32 v18, 3, v14
	v_sub_u32_e32 v17, 29, v19
	v_and_b32_e32 v16, 7, v16
	v_cmp_gt_u32_e32 vcc, 8, v14
	v_cndmask_b32_e32 v14, v18, v17, vcc
	v_cndmask_b32_e32 v15, v15, v16, vcc
	v_lshlrev_b32_e32 v16, 24, v6
	v_bfrev_b32_e32 v17, 60
	v_lshlrev_b32_e32 v15, 20, v15
	v_and_b32_e32 v16, 0x80000000, v16
	v_lshl_add_u32 v14, v14, 23, v17
	v_or3_b32 v19, v16, v14, v15
.LBB562_595:
	s_or_b64 exec, exec, s[12:13]
.LBB562_596:
	s_or_b64 exec, exec, s[10:11]
.LBB562_597:
	s_or_b64 exec, exec, s[8:9]
	s_nop 3
	v_lshrrev_b16_e32 v14, 8, v6
	v_cmp_ne_u16_e32 vcc, 0, v14
	v_mov_b32_e32 v15, 0
	v_mov_b32_e32 v16, 0
	s_and_saveexec_b64 s[8:9], vcc
	s_cbranch_execz .LBB562_603
; %bb.598:
	s_movk_i32 s7, 0x80
	v_cmp_ne_u16_e32 vcc, s7, v14
	v_bfrev_b32_e32 v16, 1
	s_and_saveexec_b64 s[10:11], vcc
	s_cbranch_execz .LBB562_602
; %bb.599:
	s_movk_i32 s7, 0x7f
	v_and_b32_e32 v17, 0x7f, v14
	v_cmp_ne_u32_e32 vcc, s7, v17
	v_mov_b32_e32 v16, 0x7f800001
	s_and_saveexec_b64 s[12:13], vcc
	s_cbranch_execz .LBB562_601
; %bb.600:
	v_and_b32_e32 v16, 7, v14
	v_ffbh_u32_e32 v20, v16
	v_min_u32_e32 v23, 32, v20
	v_subrev_u32_e32 v20, 28, v23
	v_lshlrev_b64 v[20:21], v20, v[14:15]
	v_lshrrev_b32_e32 v18, 3, v17
	v_sub_u32_e32 v14, 29, v23
	v_and_b32_e32 v20, 7, v20
	v_cmp_gt_u32_e32 vcc, 8, v17
	v_cndmask_b32_e32 v14, v18, v14, vcc
	v_cndmask_b32_e32 v16, v16, v20, vcc
	v_lshlrev_b32_e32 v17, 16, v6
	v_bfrev_b32_e32 v18, 60
	v_lshlrev_b32_e32 v16, 20, v16
	v_and_b32_e32 v17, 0x80000000, v17
	v_lshl_add_u32 v14, v14, 23, v18
	v_or3_b32 v16, v17, v14, v16
.LBB562_601:
	s_or_b64 exec, exec, s[12:13]
.LBB562_602:
	s_or_b64 exec, exec, s[10:11]
.LBB562_603:
	s_or_b64 exec, exec, s[8:9]
	s_movk_i32 s7, 0xff
	v_and_b32_sdwa v17, v6, s7 dst_sel:DWORD dst_unused:UNUSED_PAD src0_sel:WORD_1 src1_sel:DWORD
	v_lshrrev_b32_e32 v14, 16, v6
	v_cmp_ne_u16_e32 vcc, 0, v17
	s_and_saveexec_b64 s[8:9], vcc
	s_cbranch_execz .LBB562_609
; %bb.604:
	s_movk_i32 s7, 0x80
	v_cmp_ne_u16_e32 vcc, s7, v17
	v_bfrev_b32_e32 v15, 1
	s_and_saveexec_b64 s[10:11], vcc
	s_cbranch_execz .LBB562_608
; %bb.605:
	v_bfe_u32 v17, v6, 16, 7
	s_movk_i32 s7, 0x7f
	v_cmp_ne_u32_e32 vcc, s7, v17
	v_mov_b32_e32 v15, 0x7f800001
	s_and_saveexec_b64 s[12:13], vcc
	s_cbranch_execz .LBB562_607
; %bb.606:
	v_and_b32_e32 v18, 7, v14
	v_ffbh_u32_e32 v15, v18
	v_min_u32_e32 v21, 32, v15
	v_subrev_u32_e32 v15, 28, v21
	v_lshlrev_b64 v[14:15], v15, v[14:15]
	v_lshrrev_b32_e32 v20, 3, v17
	v_sub_u32_e32 v15, 29, v21
	v_and_b32_e32 v14, 7, v14
	v_cmp_gt_u32_e32 vcc, 8, v17
	v_mov_b32_e32 v17, 24
	v_cndmask_b32_e32 v15, v20, v15, vcc
	v_cndmask_b32_e32 v14, v18, v14, vcc
	v_lshlrev_b32_sdwa v17, v17, v6 dst_sel:DWORD dst_unused:UNUSED_PAD src0_sel:DWORD src1_sel:WORD_1
	v_bfrev_b32_e32 v18, 60
	v_lshlrev_b32_e32 v14, 20, v14
	v_and_b32_e32 v17, 0x80000000, v17
	v_lshl_add_u32 v15, v15, 23, v18
	v_or3_b32 v15, v17, v15, v14
.LBB562_607:
	s_or_b64 exec, exec, s[12:13]
.LBB562_608:
	s_or_b64 exec, exec, s[10:11]
.LBB562_609:
	s_or_b64 exec, exec, s[8:9]
	s_mov_b32 s7, 0xffffff
	v_cmp_lt_u32_e32 vcc, s7, v6
	v_mov_b32_e32 v17, 0
	v_mov_b32_e32 v18, 0
	s_and_saveexec_b64 s[8:9], vcc
	s_cbranch_execz .LBB562_615
; %bb.610:
	v_lshrrev_b32_e32 v14, 24, v6
	s_movk_i32 s7, 0x80
	v_cmp_ne_u32_e32 vcc, s7, v14
	v_bfrev_b32_e32 v18, 1
	s_and_saveexec_b64 s[10:11], vcc
	s_cbranch_execz .LBB562_614
; %bb.611:
	v_bfe_u32 v6, v6, 24, 7
	s_movk_i32 s7, 0x7f
	v_cmp_ne_u32_e32 vcc, s7, v6
	v_mov_b32_e32 v18, 0x7f800001
	s_and_saveexec_b64 s[12:13], vcc
	s_cbranch_execz .LBB562_613
; %bb.612:
	v_and_b32_e32 v18, 7, v14
	v_ffbh_u32_e32 v20, v18
	v_min_u32_e32 v24, 32, v20
	v_subrev_u32_e32 v20, 28, v24
	v_lshlrev_b64 v[20:21], v20, v[14:15]
	v_lshrrev_b32_e32 v23, 3, v6
	v_sub_u32_e32 v21, 29, v24
	v_and_b32_e32 v20, 7, v20
	v_cmp_gt_u32_e32 vcc, 8, v6
	v_cndmask_b32_e32 v6, v23, v21, vcc
	v_cndmask_b32_e32 v18, v18, v20, vcc
	v_lshlrev_b32_e32 v14, 24, v14
	v_bfrev_b32_e32 v20, 60
	v_lshlrev_b32_e32 v18, 20, v18
	v_and_b32_e32 v14, 0x80000000, v14
	v_lshl_add_u32 v6, v6, 23, v20
	v_or3_b32 v18, v14, v6, v18
.LBB562_613:
	s_or_b64 exec, exec, s[12:13]
.LBB562_614:
	s_or_b64 exec, exec, s[10:11]
.LBB562_615:
	s_or_b64 exec, exec, s[8:9]
	v_cmp_ne_u16_sdwa s[10:11], v7, v17 src0_sel:BYTE_0 src1_sel:DWORD
	s_and_saveexec_b64 s[8:9], s[10:11]
	s_cbranch_execz .LBB562_621
; %bb.616:
	s_movk_i32 s7, 0x80
	v_cmp_ne_u16_sdwa s[12:13], v7, s7 src0_sel:BYTE_0 src1_sel:DWORD
	v_bfrev_b32_e32 v17, 1
	s_and_saveexec_b64 s[10:11], s[12:13]
	s_cbranch_execz .LBB562_620
; %bb.617:
	s_movk_i32 s7, 0x7f
	v_and_b32_e32 v6, 0x7f, v7
	v_cmp_ne_u32_e32 vcc, s7, v6
	v_mov_b32_e32 v17, 0x7f800001
	s_and_saveexec_b64 s[12:13], vcc
	s_cbranch_execz .LBB562_619
; %bb.618:
	v_and_b32_e32 v17, 7, v7
	v_ffbh_u32_e32 v20, v17
	v_min_u32_e32 v24, 32, v20
	v_mov_b32_e32 v14, v7
	v_subrev_u32_e32 v20, 28, v24
	v_lshlrev_b64 v[20:21], v20, v[14:15]
	v_lshrrev_b32_e32 v23, 3, v6
	v_sub_u32_e32 v14, 29, v24
	v_and_b32_e32 v20, 7, v20
	v_cmp_gt_u32_e32 vcc, 8, v6
	v_cndmask_b32_e32 v6, v23, v14, vcc
	v_cndmask_b32_e32 v14, v17, v20, vcc
	v_lshlrev_b32_e32 v17, 24, v7
	v_bfrev_b32_e32 v20, 60
	v_lshlrev_b32_e32 v14, 20, v14
	v_and_b32_e32 v17, 0x80000000, v17
	v_lshl_add_u32 v6, v6, 23, v20
	v_or3_b32 v17, v17, v6, v14
.LBB562_619:
	s_or_b64 exec, exec, s[12:13]
.LBB562_620:
	s_or_b64 exec, exec, s[10:11]
.LBB562_621:
	s_or_b64 exec, exec, s[8:9]
	v_lshrrev_b16_e32 v6, 8, v7
	v_cmp_ne_u16_e32 vcc, 0, v6
	v_mov_b32_e32 v20, 0
	v_mov_b32_e32 v21, 0
	s_and_saveexec_b64 s[8:9], vcc
	s_cbranch_execz .LBB562_627
; %bb.622:
	s_movk_i32 s7, 0x80
	v_cmp_ne_u16_e32 vcc, s7, v6
	v_bfrev_b32_e32 v21, 1
	s_and_saveexec_b64 s[10:11], vcc
	s_cbranch_execz .LBB562_626
; %bb.623:
	s_movk_i32 s7, 0x7f
	v_and_b32_e32 v14, 0x7f, v6
	v_cmp_ne_u32_e32 vcc, s7, v14
	v_mov_b32_e32 v21, 0x7f800001
	s_and_saveexec_b64 s[12:13], vcc
	s_cbranch_execz .LBB562_625
; %bb.624:
	v_and_b32_e32 v21, 7, v6
	v_ffbh_u32_e32 v24, v21
	v_min_u32_e32 v26, 32, v24
	v_subrev_u32_e32 v24, 28, v26
	v_lshlrev_b64 v[24:25], v24, v[6:7]
	v_lshrrev_b32_e32 v23, 3, v14
	v_sub_u32_e32 v6, 29, v26
	v_and_b32_e32 v24, 7, v24
	v_cmp_gt_u32_e32 vcc, 8, v14
	v_cndmask_b32_e32 v6, v23, v6, vcc
	v_cndmask_b32_e32 v14, v21, v24, vcc
	v_lshlrev_b32_e32 v21, 16, v7
	v_bfrev_b32_e32 v23, 60
	v_lshlrev_b32_e32 v14, 20, v14
	v_and_b32_e32 v21, 0x80000000, v21
	v_lshl_add_u32 v6, v6, 23, v23
	v_or3_b32 v21, v21, v6, v14
.LBB562_625:
	s_or_b64 exec, exec, s[12:13]
.LBB562_626:
	s_or_b64 exec, exec, s[10:11]
.LBB562_627:
	s_or_b64 exec, exec, s[8:9]
	s_movk_i32 s7, 0xff
	v_and_b32_sdwa v14, v7, s7 dst_sel:DWORD dst_unused:UNUSED_PAD src0_sel:WORD_1 src1_sel:DWORD
	v_lshrrev_b32_e32 v6, 16, v7
	v_cmp_ne_u16_e32 vcc, 0, v14
	s_and_saveexec_b64 s[8:9], vcc
	s_cbranch_execz .LBB562_633
; %bb.628:
	s_movk_i32 s7, 0x80
	v_cmp_ne_u16_e32 vcc, s7, v14
	v_bfrev_b32_e32 v20, 1
	s_and_saveexec_b64 s[10:11], vcc
	s_cbranch_execz .LBB562_632
; %bb.629:
	v_bfe_u32 v14, v7, 16, 7
	s_movk_i32 s7, 0x7f
	v_cmp_ne_u32_e32 vcc, s7, v14
	v_mov_b32_e32 v20, 0x7f800001
	s_and_saveexec_b64 s[12:13], vcc
	s_cbranch_execz .LBB562_631
; %bb.630:
	v_and_b32_e32 v20, 7, v6
	v_ffbh_u32_e32 v24, v20
	v_min_u32_e32 v26, 32, v24
	v_subrev_u32_e32 v24, 28, v26
	v_lshlrev_b64 v[24:25], v24, v[6:7]
	v_and_b32_e32 v24, 7, v24
	v_cmp_gt_u32_e32 vcc, 8, v14
	v_lshrrev_b32_e32 v23, 3, v14
	v_sub_u32_e32 v6, 29, v26
	v_cndmask_b32_e32 v14, v20, v24, vcc
	v_mov_b32_e32 v20, 24
	v_cndmask_b32_e32 v6, v23, v6, vcc
	v_lshlrev_b32_sdwa v20, v20, v7 dst_sel:DWORD dst_unused:UNUSED_PAD src0_sel:DWORD src1_sel:WORD_1
	v_bfrev_b32_e32 v23, 60
	v_lshlrev_b32_e32 v14, 20, v14
	v_and_b32_e32 v20, 0x80000000, v20
	v_lshl_add_u32 v6, v6, 23, v23
	v_or3_b32 v20, v20, v6, v14
.LBB562_631:
	s_or_b64 exec, exec, s[12:13]
.LBB562_632:
	s_or_b64 exec, exec, s[10:11]
.LBB562_633:
	s_or_b64 exec, exec, s[8:9]
	s_mov_b32 s7, 0xffffff
	v_cmp_lt_u32_e32 vcc, s7, v7
	v_mov_b32_e32 v14, 0
	v_mov_b32_e32 v23, 0
	s_and_saveexec_b64 s[8:9], vcc
	s_cbranch_execz .LBB562_639
; %bb.634:
	v_lshrrev_b32_e32 v6, 24, v7
	s_movk_i32 s7, 0x80
	v_cmp_ne_u32_e32 vcc, s7, v6
	v_bfrev_b32_e32 v23, 1
	s_and_saveexec_b64 s[10:11], vcc
	s_cbranch_execz .LBB562_638
; %bb.635:
	v_bfe_u32 v7, v7, 24, 7
	s_movk_i32 s7, 0x7f
	v_cmp_ne_u32_e32 vcc, s7, v7
	v_mov_b32_e32 v23, 0x7f800001
	s_and_saveexec_b64 s[12:13], vcc
	s_cbranch_execz .LBB562_637
; %bb.636:
	v_and_b32_e32 v23, 7, v6
	v_ffbh_u32_e32 v24, v23
	v_min_u32_e32 v27, 32, v24
	v_subrev_u32_e32 v24, 28, v27
	v_lshlrev_b64 v[24:25], v24, v[6:7]
	v_lshrrev_b32_e32 v26, 3, v7
	v_sub_u32_e32 v25, 29, v27
	v_and_b32_e32 v24, 7, v24
	v_cmp_gt_u32_e32 vcc, 8, v7
	v_cndmask_b32_e32 v7, v26, v25, vcc
	v_cndmask_b32_e32 v23, v23, v24, vcc
	v_lshlrev_b32_e32 v6, 24, v6
	v_bfrev_b32_e32 v24, 60
	v_lshlrev_b32_e32 v23, 20, v23
	v_and_b32_e32 v6, 0x80000000, v6
	v_lshl_add_u32 v7, v7, 23, v24
	v_or3_b32 v23, v6, v7, v23
.LBB562_637:
	s_or_b64 exec, exec, s[12:13]
.LBB562_638:
	s_or_b64 exec, exec, s[10:11]
.LBB562_639:
	s_or_b64 exec, exec, s[8:9]
	v_cvt_pkrtz_f16_f32 v6, v19, v16
	v_cvt_pkrtz_f16_f32 v7, v15, v18
	ds_read_b128 v[24:27], v22 offset:4096
	v_cmp_ne_u16_sdwa s[10:11], v8, v14 src0_sel:BYTE_0 src1_sel:DWORD
	s_waitcnt lgkmcnt(0)
	v_mfma_f32_16x16x16f16 v[10:13], v[6:7], v[24:25], v[10:13]
	v_cvt_pkrtz_f16_f32 v6, v17, v21
	v_cvt_pkrtz_f16_f32 v7, v20, v23
	s_nop 1
	v_mfma_f32_16x16x16f16 v[10:13], v[6:7], v[26:27], v[10:13]
	s_and_saveexec_b64 s[8:9], s[10:11]
	s_cbranch_execz .LBB562_645
; %bb.640:
	s_movk_i32 s7, 0x80
	v_cmp_ne_u16_sdwa s[12:13], v8, s7 src0_sel:BYTE_0 src1_sel:DWORD
	v_bfrev_b32_e32 v14, 1
	s_and_saveexec_b64 s[10:11], s[12:13]
	s_cbranch_execz .LBB562_644
; %bb.641:
	s_movk_i32 s7, 0x7f
	v_and_b32_e32 v6, 0x7f, v8
	v_cmp_ne_u32_e32 vcc, s7, v6
	v_mov_b32_e32 v14, 0x7f800001
	s_and_saveexec_b64 s[12:13], vcc
	s_cbranch_execz .LBB562_643
; %bb.642:
	v_and_b32_e32 v7, 7, v8
	v_ffbh_u32_e32 v14, v7
	v_min_u32_e32 v17, 32, v14
	v_subrev_u32_e32 v14, 28, v17
	v_lshlrev_b64 v[14:15], v14, v[8:9]
	v_lshrrev_b32_e32 v16, 3, v6
	v_sub_u32_e32 v15, 29, v17
	v_and_b32_e32 v14, 7, v14
	v_cmp_gt_u32_e32 vcc, 8, v6
	v_cndmask_b32_e32 v6, v16, v15, vcc
	v_cndmask_b32_e32 v7, v7, v14, vcc
	v_lshlrev_b32_e32 v14, 24, v8
	v_bfrev_b32_e32 v15, 60
	v_lshlrev_b32_e32 v7, 20, v7
	v_and_b32_e32 v14, 0x80000000, v14
	v_lshl_add_u32 v6, v6, 23, v15
	v_or3_b32 v14, v14, v6, v7
.LBB562_643:
	s_or_b64 exec, exec, s[12:13]
.LBB562_644:
	s_or_b64 exec, exec, s[10:11]
.LBB562_645:
	s_or_b64 exec, exec, s[8:9]
	v_lshrrev_b16_e32 v6, 8, v8
	v_cmp_ne_u16_e32 vcc, 0, v6
	v_mov_b32_e32 v7, 0
	v_mov_b32_e32 v16, 0
	s_and_saveexec_b64 s[8:9], vcc
	s_cbranch_execz .LBB562_651
; %bb.646:
	s_movk_i32 s7, 0x80
	v_cmp_ne_u16_e32 vcc, s7, v6
	v_bfrev_b32_e32 v16, 1
	s_and_saveexec_b64 s[10:11], vcc
	s_cbranch_execz .LBB562_650
; %bb.647:
	s_movk_i32 s7, 0x7f
	v_and_b32_e32 v15, 0x7f, v6
	v_cmp_ne_u32_e32 vcc, s7, v15
	v_mov_b32_e32 v16, 0x7f800001
	s_and_saveexec_b64 s[12:13], vcc
	s_cbranch_execz .LBB562_649
; %bb.648:
	v_and_b32_e32 v18, 7, v6
	v_ffbh_u32_e32 v16, v18
	v_min_u32_e32 v20, 32, v16
	v_subrev_u32_e32 v16, 28, v20
	v_lshlrev_b64 v[16:17], v16, v[6:7]
	v_lshrrev_b32_e32 v19, 3, v15
	v_sub_u32_e32 v6, 29, v20
	v_and_b32_e32 v16, 7, v16
	v_cmp_gt_u32_e32 vcc, 8, v15
	v_cndmask_b32_e32 v6, v19, v6, vcc
	v_cndmask_b32_e32 v15, v18, v16, vcc
	v_lshlrev_b32_e32 v16, 16, v8
	v_bfrev_b32_e32 v17, 60
	v_lshlrev_b32_e32 v15, 20, v15
	v_and_b32_e32 v16, 0x80000000, v16
	v_lshl_add_u32 v6, v6, 23, v17
	v_or3_b32 v16, v16, v6, v15
.LBB562_649:
	s_or_b64 exec, exec, s[12:13]
.LBB562_650:
	s_or_b64 exec, exec, s[10:11]
.LBB562_651:
	s_or_b64 exec, exec, s[8:9]
	s_movk_i32 s7, 0xff
	v_and_b32_sdwa v15, v8, s7 dst_sel:DWORD dst_unused:UNUSED_PAD src0_sel:WORD_1 src1_sel:DWORD
	v_lshrrev_b32_e32 v6, 16, v8
	v_cmp_ne_u16_e32 vcc, 0, v15
	s_and_saveexec_b64 s[8:9], vcc
	s_cbranch_execz .LBB562_657
; %bb.652:
	s_movk_i32 s7, 0x80
	v_cmp_ne_u16_e32 vcc, s7, v15
	v_bfrev_b32_e32 v7, 1
	s_and_saveexec_b64 s[10:11], vcc
	s_cbranch_execz .LBB562_656
; %bb.653:
	v_bfe_u32 v15, v8, 16, 7
	s_movk_i32 s7, 0x7f
	v_cmp_ne_u32_e32 vcc, s7, v15
	v_mov_b32_e32 v7, 0x7f800001
	s_and_saveexec_b64 s[12:13], vcc
	s_cbranch_execz .LBB562_655
; %bb.654:
	v_and_b32_e32 v17, 7, v6
	v_ffbh_u32_e32 v7, v17
	v_min_u32_e32 v19, 32, v7
	v_subrev_u32_e32 v7, 28, v19
	v_lshlrev_b64 v[6:7], v7, v[6:7]
	v_lshrrev_b32_e32 v18, 3, v15
	v_sub_u32_e32 v7, 29, v19
	v_and_b32_e32 v6, 7, v6
	v_cmp_gt_u32_e32 vcc, 8, v15
	v_mov_b32_e32 v15, 24
	v_cndmask_b32_e32 v7, v18, v7, vcc
	v_cndmask_b32_e32 v6, v17, v6, vcc
	v_lshlrev_b32_sdwa v15, v15, v8 dst_sel:DWORD dst_unused:UNUSED_PAD src0_sel:DWORD src1_sel:WORD_1
	v_bfrev_b32_e32 v17, 60
	v_lshlrev_b32_e32 v6, 20, v6
	v_and_b32_e32 v15, 0x80000000, v15
	v_lshl_add_u32 v7, v7, 23, v17
	v_or3_b32 v7, v15, v7, v6
.LBB562_655:
	s_or_b64 exec, exec, s[12:13]
.LBB562_656:
	s_or_b64 exec, exec, s[10:11]
.LBB562_657:
	s_or_b64 exec, exec, s[8:9]
	s_mov_b32 s7, 0xffffff
	v_cmp_lt_u32_e32 vcc, s7, v8
	v_mov_b32_e32 v17, 0
	v_mov_b32_e32 v18, 0
	s_and_saveexec_b64 s[8:9], vcc
	s_cbranch_execz .LBB562_663
; %bb.658:
	v_lshrrev_b32_e32 v6, 24, v8
	s_movk_i32 s7, 0x80
	v_cmp_ne_u32_e32 vcc, s7, v6
	v_bfrev_b32_e32 v18, 1
	s_and_saveexec_b64 s[10:11], vcc
	s_cbranch_execz .LBB562_662
; %bb.659:
	v_bfe_u32 v8, v8, 24, 7
	s_movk_i32 s7, 0x7f
	v_cmp_ne_u32_e32 vcc, s7, v8
	v_mov_b32_e32 v18, 0x7f800001
	s_and_saveexec_b64 s[12:13], vcc
	s_cbranch_execz .LBB562_661
; %bb.660:
	v_and_b32_e32 v15, 7, v6
	v_ffbh_u32_e32 v18, v15
	v_min_u32_e32 v21, 32, v18
	v_subrev_u32_e32 v18, 28, v21
	v_lshlrev_b64 v[18:19], v18, v[6:7]
	v_lshrrev_b32_e32 v20, 3, v8
	v_sub_u32_e32 v19, 29, v21
	v_and_b32_e32 v18, 7, v18
	v_cmp_gt_u32_e32 vcc, 8, v8
	v_cndmask_b32_e32 v8, v20, v19, vcc
	v_cndmask_b32_e32 v15, v15, v18, vcc
	v_lshlrev_b32_e32 v6, 24, v6
	v_bfrev_b32_e32 v18, 60
	v_lshlrev_b32_e32 v15, 20, v15
	v_and_b32_e32 v6, 0x80000000, v6
	v_lshl_add_u32 v8, v8, 23, v18
	v_or3_b32 v18, v6, v8, v15
.LBB562_661:
	s_or_b64 exec, exec, s[12:13]
.LBB562_662:
	s_or_b64 exec, exec, s[10:11]
.LBB562_663:
	s_or_b64 exec, exec, s[8:9]
	v_cmp_ne_u16_sdwa s[10:11], v9, v17 src0_sel:BYTE_0 src1_sel:DWORD
	s_and_saveexec_b64 s[8:9], s[10:11]
	s_cbranch_execz .LBB562_669
; %bb.664:
	s_movk_i32 s7, 0x80
	v_cmp_ne_u16_sdwa s[12:13], v9, s7 src0_sel:BYTE_0 src1_sel:DWORD
	v_bfrev_b32_e32 v17, 1
	s_and_saveexec_b64 s[10:11], s[12:13]
	s_cbranch_execz .LBB562_668
; %bb.665:
	s_movk_i32 s7, 0x7f
	v_and_b32_e32 v6, 0x7f, v9
	v_cmp_ne_u32_e32 vcc, s7, v6
	v_mov_b32_e32 v17, 0x7f800001
	s_and_saveexec_b64 s[12:13], vcc
	s_cbranch_execz .LBB562_667
; %bb.666:
	v_and_b32_e32 v15, 7, v9
	v_ffbh_u32_e32 v19, v15
	v_min_u32_e32 v19, 32, v19
	v_mov_b32_e32 v8, v9
	v_subrev_u32_e32 v20, 28, v19
	v_lshlrev_b64 v[20:21], v20, v[8:9]
	v_lshrrev_b32_e32 v17, 3, v6
	v_sub_u32_e32 v8, 29, v19
	v_and_b32_e32 v19, 7, v20
	v_cmp_gt_u32_e32 vcc, 8, v6
	v_cndmask_b32_e32 v6, v17, v8, vcc
	v_cndmask_b32_e32 v8, v15, v19, vcc
	v_lshlrev_b32_e32 v15, 24, v9
	v_bfrev_b32_e32 v17, 60
	v_lshlrev_b32_e32 v8, 20, v8
	v_and_b32_e32 v15, 0x80000000, v15
	v_lshl_add_u32 v6, v6, 23, v17
	v_or3_b32 v17, v15, v6, v8
.LBB562_667:
	s_or_b64 exec, exec, s[12:13]
.LBB562_668:
	s_or_b64 exec, exec, s[10:11]
.LBB562_669:
	s_or_b64 exec, exec, s[8:9]
	v_lshrrev_b16_e32 v6, 8, v9
	v_cmp_ne_u16_e32 vcc, 0, v6
	v_mov_b32_e32 v8, 0
	v_mov_b32_e32 v19, 0
	s_and_saveexec_b64 s[8:9], vcc
	s_cbranch_execz .LBB562_675
; %bb.670:
	s_movk_i32 s7, 0x80
	v_cmp_ne_u16_e32 vcc, s7, v6
	v_bfrev_b32_e32 v19, 1
	s_and_saveexec_b64 s[10:11], vcc
	s_cbranch_execz .LBB562_674
; %bb.671:
	s_movk_i32 s7, 0x7f
	v_and_b32_e32 v15, 0x7f, v6
	v_cmp_ne_u32_e32 vcc, s7, v15
	v_mov_b32_e32 v19, 0x7f800001
	s_and_saveexec_b64 s[12:13], vcc
	s_cbranch_execz .LBB562_673
; %bb.672:
	v_and_b32_e32 v19, 7, v6
	v_ffbh_u32_e32 v20, v19
	v_min_u32_e32 v24, 32, v20
	v_subrev_u32_e32 v20, 28, v24
	v_lshlrev_b64 v[20:21], v20, v[6:7]
	v_lshrrev_b32_e32 v23, 3, v15
	v_sub_u32_e32 v6, 29, v24
	v_and_b32_e32 v20, 7, v20
	v_cmp_gt_u32_e32 vcc, 8, v15
	v_cndmask_b32_e32 v6, v23, v6, vcc
	v_cndmask_b32_e32 v15, v19, v20, vcc
	v_lshlrev_b32_e32 v19, 16, v9
	v_bfrev_b32_e32 v20, 60
	v_lshlrev_b32_e32 v15, 20, v15
	v_and_b32_e32 v19, 0x80000000, v19
	v_lshl_add_u32 v6, v6, 23, v20
	v_or3_b32 v19, v19, v6, v15
.LBB562_673:
	s_or_b64 exec, exec, s[12:13]
.LBB562_674:
	s_or_b64 exec, exec, s[10:11]
.LBB562_675:
	s_or_b64 exec, exec, s[8:9]
	s_movk_i32 s7, 0xff
	v_and_b32_sdwa v15, v9, s7 dst_sel:DWORD dst_unused:UNUSED_PAD src0_sel:WORD_1 src1_sel:DWORD
	v_lshrrev_b32_e32 v6, 16, v9
	v_cmp_ne_u16_e32 vcc, 0, v15
	s_and_saveexec_b64 s[8:9], vcc
	s_cbranch_execz .LBB562_681
; %bb.676:
	s_movk_i32 s7, 0x80
	v_cmp_ne_u16_e32 vcc, s7, v15
	v_bfrev_b32_e32 v8, 1
	s_and_saveexec_b64 s[10:11], vcc
	s_cbranch_execz .LBB562_680
; %bb.677:
	v_bfe_u32 v15, v9, 16, 7
	s_movk_i32 s7, 0x7f
	v_cmp_ne_u32_e32 vcc, s7, v15
	v_mov_b32_e32 v8, 0x7f800001
	s_and_saveexec_b64 s[12:13], vcc
	s_cbranch_execz .LBB562_679
; %bb.678:
	v_and_b32_e32 v8, 7, v6
	v_ffbh_u32_e32 v20, v8
	v_min_u32_e32 v24, 32, v20
	v_subrev_u32_e32 v20, 28, v24
	v_lshlrev_b64 v[20:21], v20, v[6:7]
	v_lshrrev_b32_e32 v23, 3, v15
	v_sub_u32_e32 v6, 29, v24
	v_and_b32_e32 v20, 7, v20
	v_cmp_gt_u32_e32 vcc, 8, v15
	v_mov_b32_e32 v15, 24
	v_cndmask_b32_e32 v6, v23, v6, vcc
	v_cndmask_b32_e32 v8, v8, v20, vcc
	v_lshlrev_b32_sdwa v15, v15, v9 dst_sel:DWORD dst_unused:UNUSED_PAD src0_sel:DWORD src1_sel:WORD_1
	v_bfrev_b32_e32 v20, 60
	v_lshlrev_b32_e32 v8, 20, v8
	v_and_b32_e32 v15, 0x80000000, v15
	v_lshl_add_u32 v6, v6, 23, v20
	v_or3_b32 v8, v15, v6, v8
.LBB562_679:
	s_or_b64 exec, exec, s[12:13]
.LBB562_680:
	s_or_b64 exec, exec, s[10:11]
.LBB562_681:
	s_or_b64 exec, exec, s[8:9]
	s_mov_b32 s7, 0xffffff
	v_cmp_lt_u32_e32 vcc, s7, v9
	v_mov_b32_e32 v15, 0
	v_mov_b32_e32 v20, 0
	s_and_saveexec_b64 s[8:9], vcc
	s_cbranch_execz .LBB562_687
; %bb.682:
	v_lshrrev_b32_e32 v6, 24, v9
	s_movk_i32 s7, 0x80
	v_cmp_ne_u32_e32 vcc, s7, v6
	v_bfrev_b32_e32 v20, 1
	s_and_saveexec_b64 s[10:11], vcc
	s_cbranch_execz .LBB562_686
; %bb.683:
	v_bfe_u32 v9, v9, 24, 7
	s_movk_i32 s7, 0x7f
	v_cmp_ne_u32_e32 vcc, s7, v9
	v_mov_b32_e32 v20, 0x7f800001
	s_and_saveexec_b64 s[12:13], vcc
	s_cbranch_execz .LBB562_685
; %bb.684:
	v_and_b32_e32 v23, 7, v6
	v_ffbh_u32_e32 v20, v23
	v_min_u32_e32 v25, 32, v20
	v_subrev_u32_e32 v20, 28, v25
	v_lshlrev_b64 v[20:21], v20, v[6:7]
	v_lshrrev_b32_e32 v24, 3, v9
	v_sub_u32_e32 v21, 29, v25
	v_and_b32_e32 v20, 7, v20
	v_cmp_gt_u32_e32 vcc, 8, v9
	v_cndmask_b32_e32 v9, v24, v21, vcc
	v_cndmask_b32_e32 v20, v23, v20, vcc
	v_lshlrev_b32_e32 v6, 24, v6
	v_bfrev_b32_e32 v21, 60
	v_lshlrev_b32_e32 v20, 20, v20
	v_and_b32_e32 v6, 0x80000000, v6
	v_lshl_add_u32 v9, v9, 23, v21
	v_or3_b32 v20, v6, v9, v20
.LBB562_685:
	s_or_b64 exec, exec, s[12:13]
.LBB562_686:
	s_or_b64 exec, exec, s[10:11]
.LBB562_687:
	s_or_b64 exec, exec, s[8:9]
	v_cvt_pkrtz_f16_f32 v6, v14, v16
	v_cvt_pkrtz_f16_f32 v7, v7, v18
	ds_read_b128 v[24:27], v22 offset:4112
	s_waitcnt vmcnt(0)
	v_cmp_ne_u16_sdwa s[10:11], v2, v15 src0_sel:BYTE_0 src1_sel:DWORD
	s_waitcnt lgkmcnt(0)
	v_mfma_f32_16x16x16f16 v[10:13], v[6:7], v[24:25], v[10:13]
	v_cvt_pkrtz_f16_f32 v6, v17, v19
	v_cvt_pkrtz_f16_f32 v7, v8, v20
	s_nop 1
	v_mfma_f32_16x16x16f16 v[6:9], v[6:7], v[26:27], v[10:13]
	s_and_saveexec_b64 s[8:9], s[10:11]
	s_cbranch_execz .LBB562_693
; %bb.688:
	s_movk_i32 s7, 0x80
	v_cmp_ne_u16_sdwa s[12:13], v2, s7 src0_sel:BYTE_0 src1_sel:DWORD
	v_bfrev_b32_e32 v15, 1
	s_and_saveexec_b64 s[10:11], s[12:13]
	s_cbranch_execz .LBB562_692
; %bb.689:
	s_movk_i32 s7, 0x7f
	v_and_b32_e32 v10, 0x7f, v2
	v_cmp_ne_u32_e32 vcc, s7, v10
	v_mov_b32_e32 v15, 0x7f800001
	s_and_saveexec_b64 s[12:13], vcc
	s_cbranch_execz .LBB562_691
; %bb.690:
	v_and_b32_e32 v11, 7, v2
	v_ffbh_u32_e32 v12, v11
	v_min_u32_e32 v15, 32, v12
	v_subrev_u32_e32 v12, 28, v15
	v_lshlrev_b64 v[12:13], v12, v[2:3]
	v_lshrrev_b32_e32 v14, 3, v10
	v_sub_u32_e32 v13, 29, v15
	v_and_b32_e32 v12, 7, v12
	v_cmp_gt_u32_e32 vcc, 8, v10
	v_cndmask_b32_e32 v10, v14, v13, vcc
	v_cndmask_b32_e32 v11, v11, v12, vcc
	v_lshlrev_b32_e32 v12, 24, v2
	v_bfrev_b32_e32 v13, 60
	v_lshlrev_b32_e32 v11, 20, v11
	v_and_b32_e32 v12, 0x80000000, v12
	v_lshl_add_u32 v10, v10, 23, v13
	v_or3_b32 v15, v12, v10, v11
.LBB562_691:
	s_or_b64 exec, exec, s[12:13]
.LBB562_692:
	s_or_b64 exec, exec, s[10:11]
.LBB562_693:
	s_or_b64 exec, exec, s[8:9]
	s_nop 3
	v_lshrrev_b16_e32 v10, 8, v2
	v_cmp_ne_u16_e32 vcc, 0, v10
	v_mov_b32_e32 v11, 0
	v_mov_b32_e32 v12, 0
	s_and_saveexec_b64 s[8:9], vcc
	s_cbranch_execz .LBB562_699
; %bb.694:
	s_movk_i32 s7, 0x80
	v_cmp_ne_u16_e32 vcc, s7, v10
	v_bfrev_b32_e32 v12, 1
	s_and_saveexec_b64 s[10:11], vcc
	s_cbranch_execz .LBB562_698
; %bb.695:
	s_movk_i32 s7, 0x7f
	v_and_b32_e32 v13, 0x7f, v10
	v_cmp_ne_u32_e32 vcc, s7, v13
	v_mov_b32_e32 v12, 0x7f800001
	s_and_saveexec_b64 s[12:13], vcc
	s_cbranch_execz .LBB562_697
; %bb.696:
	v_and_b32_e32 v12, 7, v10
	v_ffbh_u32_e32 v16, v12
	v_min_u32_e32 v18, 32, v16
	v_subrev_u32_e32 v16, 28, v18
	v_lshlrev_b64 v[16:17], v16, v[10:11]
	v_lshrrev_b32_e32 v14, 3, v13
	v_sub_u32_e32 v10, 29, v18
	v_and_b32_e32 v16, 7, v16
	v_cmp_gt_u32_e32 vcc, 8, v13
	v_cndmask_b32_e32 v10, v14, v10, vcc
	v_cndmask_b32_e32 v12, v12, v16, vcc
	v_lshlrev_b32_e32 v13, 16, v2
	v_bfrev_b32_e32 v14, 60
	v_lshlrev_b32_e32 v12, 20, v12
	v_and_b32_e32 v13, 0x80000000, v13
	v_lshl_add_u32 v10, v10, 23, v14
	v_or3_b32 v12, v13, v10, v12
.LBB562_697:
	s_or_b64 exec, exec, s[12:13]
.LBB562_698:
	s_or_b64 exec, exec, s[10:11]
.LBB562_699:
	s_or_b64 exec, exec, s[8:9]
	s_movk_i32 s7, 0xff
	v_and_b32_sdwa v13, v2, s7 dst_sel:DWORD dst_unused:UNUSED_PAD src0_sel:WORD_1 src1_sel:DWORD
	v_lshrrev_b32_e32 v10, 16, v2
	v_cmp_ne_u16_e32 vcc, 0, v13
	s_and_saveexec_b64 s[8:9], vcc
	s_cbranch_execz .LBB562_705
; %bb.700:
	s_movk_i32 s7, 0x80
	v_cmp_ne_u16_e32 vcc, s7, v13
	v_bfrev_b32_e32 v11, 1
	s_and_saveexec_b64 s[10:11], vcc
	s_cbranch_execz .LBB562_704
; %bb.701:
	v_bfe_u32 v13, v2, 16, 7
	s_movk_i32 s7, 0x7f
	v_cmp_ne_u32_e32 vcc, s7, v13
	v_mov_b32_e32 v11, 0x7f800001
	s_and_saveexec_b64 s[12:13], vcc
	s_cbranch_execz .LBB562_703
; %bb.702:
	v_and_b32_e32 v14, 7, v10
	v_ffbh_u32_e32 v11, v14
	v_min_u32_e32 v17, 32, v11
	v_subrev_u32_e32 v11, 28, v17
	v_lshlrev_b64 v[10:11], v11, v[10:11]
	v_lshrrev_b32_e32 v16, 3, v13
	v_sub_u32_e32 v11, 29, v17
	v_and_b32_e32 v10, 7, v10
	v_cmp_gt_u32_e32 vcc, 8, v13
	v_mov_b32_e32 v13, 24
	v_cndmask_b32_e32 v11, v16, v11, vcc
	v_cndmask_b32_e32 v10, v14, v10, vcc
	v_lshlrev_b32_sdwa v13, v13, v2 dst_sel:DWORD dst_unused:UNUSED_PAD src0_sel:DWORD src1_sel:WORD_1
	v_bfrev_b32_e32 v14, 60
	v_lshlrev_b32_e32 v10, 20, v10
	v_and_b32_e32 v13, 0x80000000, v13
	v_lshl_add_u32 v11, v11, 23, v14
	v_or3_b32 v11, v13, v11, v10
.LBB562_703:
	s_or_b64 exec, exec, s[12:13]
.LBB562_704:
	s_or_b64 exec, exec, s[10:11]
.LBB562_705:
	s_or_b64 exec, exec, s[8:9]
	s_mov_b32 s7, 0xffffff
	v_cmp_lt_u32_e32 vcc, s7, v2
	v_mov_b32_e32 v13, 0
	v_mov_b32_e32 v14, 0
	s_and_saveexec_b64 s[8:9], vcc
	s_cbranch_execz .LBB562_711
; %bb.706:
	v_lshrrev_b32_e32 v10, 24, v2
	s_movk_i32 s7, 0x80
	v_cmp_ne_u32_e32 vcc, s7, v10
	v_bfrev_b32_e32 v14, 1
	s_and_saveexec_b64 s[10:11], vcc
	s_cbranch_execz .LBB562_710
; %bb.707:
	v_bfe_u32 v2, v2, 24, 7
	s_movk_i32 s7, 0x7f
	v_cmp_ne_u32_e32 vcc, s7, v2
	v_mov_b32_e32 v14, 0x7f800001
	s_and_saveexec_b64 s[12:13], vcc
	s_cbranch_execz .LBB562_709
; %bb.708:
	v_and_b32_e32 v14, 7, v10
	v_ffbh_u32_e32 v16, v14
	v_min_u32_e32 v19, 32, v16
	v_subrev_u32_e32 v16, 28, v19
	v_lshlrev_b64 v[16:17], v16, v[10:11]
	v_lshrrev_b32_e32 v18, 3, v2
	v_sub_u32_e32 v17, 29, v19
	v_and_b32_e32 v16, 7, v16
	v_cmp_gt_u32_e32 vcc, 8, v2
	v_cndmask_b32_e32 v2, v18, v17, vcc
	v_cndmask_b32_e32 v14, v14, v16, vcc
	v_lshlrev_b32_e32 v10, 24, v10
	v_bfrev_b32_e32 v16, 60
	v_lshlrev_b32_e32 v14, 20, v14
	v_and_b32_e32 v10, 0x80000000, v10
	v_lshl_add_u32 v2, v2, 23, v16
	v_or3_b32 v14, v10, v2, v14
.LBB562_709:
	s_or_b64 exec, exec, s[12:13]
.LBB562_710:
	s_or_b64 exec, exec, s[10:11]
.LBB562_711:
	s_or_b64 exec, exec, s[8:9]
	v_cmp_ne_u16_sdwa s[10:11], v3, v13 src0_sel:BYTE_0 src1_sel:DWORD
	s_and_saveexec_b64 s[8:9], s[10:11]
	s_cbranch_execz .LBB562_717
; %bb.712:
	s_movk_i32 s7, 0x80
	v_cmp_ne_u16_sdwa s[12:13], v3, s7 src0_sel:BYTE_0 src1_sel:DWORD
	v_bfrev_b32_e32 v13, 1
	s_and_saveexec_b64 s[10:11], s[12:13]
	s_cbranch_execz .LBB562_716
; %bb.713:
	s_movk_i32 s7, 0x7f
	v_and_b32_e32 v2, 0x7f, v3
	v_cmp_ne_u32_e32 vcc, s7, v2
	v_mov_b32_e32 v13, 0x7f800001
	s_and_saveexec_b64 s[12:13], vcc
	s_cbranch_execz .LBB562_715
; %bb.714:
	v_and_b32_e32 v13, 7, v3
	v_ffbh_u32_e32 v16, v13
	v_min_u32_e32 v19, 32, v16
	v_mov_b32_e32 v10, v3
	v_subrev_u32_e32 v16, 28, v19
	v_lshlrev_b64 v[16:17], v16, v[10:11]
	v_lshrrev_b32_e32 v18, 3, v2
	v_sub_u32_e32 v10, 29, v19
	v_and_b32_e32 v16, 7, v16
	v_cmp_gt_u32_e32 vcc, 8, v2
	v_cndmask_b32_e32 v2, v18, v10, vcc
	v_cndmask_b32_e32 v10, v13, v16, vcc
	v_lshlrev_b32_e32 v13, 24, v3
	v_bfrev_b32_e32 v16, 60
	v_lshlrev_b32_e32 v10, 20, v10
	v_and_b32_e32 v13, 0x80000000, v13
	v_lshl_add_u32 v2, v2, 23, v16
	v_or3_b32 v13, v13, v2, v10
.LBB562_715:
	s_or_b64 exec, exec, s[12:13]
.LBB562_716:
	s_or_b64 exec, exec, s[10:11]
.LBB562_717:
	s_or_b64 exec, exec, s[8:9]
	v_lshrrev_b16_e32 v2, 8, v3
	v_cmp_ne_u16_e32 vcc, 0, v2
	v_mov_b32_e32 v16, 0
	v_mov_b32_e32 v17, 0
	s_and_saveexec_b64 s[8:9], vcc
	s_cbranch_execz .LBB562_723
; %bb.718:
	s_movk_i32 s7, 0x80
	v_cmp_ne_u16_e32 vcc, s7, v2
	v_bfrev_b32_e32 v17, 1
	s_and_saveexec_b64 s[10:11], vcc
	s_cbranch_execz .LBB562_722
; %bb.719:
	s_movk_i32 s7, 0x7f
	v_and_b32_e32 v10, 0x7f, v2
	v_cmp_ne_u32_e32 vcc, s7, v10
	v_mov_b32_e32 v17, 0x7f800001
	s_and_saveexec_b64 s[12:13], vcc
	s_cbranch_execz .LBB562_721
; %bb.720:
	v_and_b32_e32 v17, 7, v2
	v_ffbh_u32_e32 v18, v17
	v_min_u32_e32 v21, 32, v18
	v_subrev_u32_e32 v18, 28, v21
	v_lshlrev_b64 v[18:19], v18, v[2:3]
	v_lshrrev_b32_e32 v20, 3, v10
	v_sub_u32_e32 v2, 29, v21
	v_and_b32_e32 v18, 7, v18
	v_cmp_gt_u32_e32 vcc, 8, v10
	v_cndmask_b32_e32 v2, v20, v2, vcc
	v_cndmask_b32_e32 v10, v17, v18, vcc
	v_lshlrev_b32_e32 v17, 16, v3
	v_bfrev_b32_e32 v18, 60
	v_lshlrev_b32_e32 v10, 20, v10
	v_and_b32_e32 v17, 0x80000000, v17
	v_lshl_add_u32 v2, v2, 23, v18
	v_or3_b32 v17, v17, v2, v10
.LBB562_721:
	s_or_b64 exec, exec, s[12:13]
.LBB562_722:
	s_or_b64 exec, exec, s[10:11]
.LBB562_723:
	s_or_b64 exec, exec, s[8:9]
	s_movk_i32 s7, 0xff
	v_and_b32_sdwa v10, v3, s7 dst_sel:DWORD dst_unused:UNUSED_PAD src0_sel:WORD_1 src1_sel:DWORD
	v_lshrrev_b32_e32 v2, 16, v3
	v_cmp_ne_u16_e32 vcc, 0, v10
	s_and_saveexec_b64 s[8:9], vcc
	s_cbranch_execz .LBB562_729
; %bb.724:
	s_movk_i32 s7, 0x80
	v_cmp_ne_u16_e32 vcc, s7, v10
	v_bfrev_b32_e32 v16, 1
	s_and_saveexec_b64 s[10:11], vcc
	s_cbranch_execz .LBB562_728
; %bb.725:
	v_bfe_u32 v10, v3, 16, 7
	s_movk_i32 s7, 0x7f
	v_cmp_ne_u32_e32 vcc, s7, v10
	v_mov_b32_e32 v16, 0x7f800001
	s_and_saveexec_b64 s[12:13], vcc
	s_cbranch_execz .LBB562_727
; %bb.726:
	v_and_b32_e32 v16, 7, v2
	v_ffbh_u32_e32 v18, v16
	v_min_u32_e32 v21, 32, v18
	v_subrev_u32_e32 v18, 28, v21
	v_lshlrev_b64 v[18:19], v18, v[2:3]
	v_and_b32_e32 v18, 7, v18
	v_cmp_gt_u32_e32 vcc, 8, v10
	v_lshrrev_b32_e32 v20, 3, v10
	v_sub_u32_e32 v2, 29, v21
	v_cndmask_b32_e32 v10, v16, v18, vcc
	v_mov_b32_e32 v16, 24
	v_cndmask_b32_e32 v2, v20, v2, vcc
	v_lshlrev_b32_sdwa v16, v16, v3 dst_sel:DWORD dst_unused:UNUSED_PAD src0_sel:DWORD src1_sel:WORD_1
	v_bfrev_b32_e32 v18, 60
	v_lshlrev_b32_e32 v10, 20, v10
	v_and_b32_e32 v16, 0x80000000, v16
	v_lshl_add_u32 v2, v2, 23, v18
	v_or3_b32 v16, v16, v2, v10
.LBB562_727:
	s_or_b64 exec, exec, s[12:13]
.LBB562_728:
	s_or_b64 exec, exec, s[10:11]
.LBB562_729:
	s_or_b64 exec, exec, s[8:9]
	s_mov_b32 s7, 0xffffff
	v_cmp_lt_u32_e32 vcc, s7, v3
	v_mov_b32_e32 v10, 0
	v_mov_b32_e32 v18, 0
	s_and_saveexec_b64 s[8:9], vcc
	s_cbranch_execz .LBB562_735
; %bb.730:
	v_lshrrev_b32_e32 v2, 24, v3
	s_movk_i32 s7, 0x80
	v_cmp_ne_u32_e32 vcc, s7, v2
	v_bfrev_b32_e32 v18, 1
	s_and_saveexec_b64 s[10:11], vcc
	s_cbranch_execz .LBB562_734
; %bb.731:
	v_bfe_u32 v3, v3, 24, 7
	s_movk_i32 s7, 0x7f
	v_cmp_ne_u32_e32 vcc, s7, v3
	v_mov_b32_e32 v18, 0x7f800001
	s_and_saveexec_b64 s[12:13], vcc
	s_cbranch_execz .LBB562_733
; %bb.732:
	v_and_b32_e32 v20, 7, v2
	v_ffbh_u32_e32 v18, v20
	v_min_u32_e32 v23, 32, v18
	v_subrev_u32_e32 v18, 28, v23
	v_lshlrev_b64 v[18:19], v18, v[2:3]
	v_lshrrev_b32_e32 v21, 3, v3
	v_sub_u32_e32 v19, 29, v23
	v_and_b32_e32 v18, 7, v18
	v_cmp_gt_u32_e32 vcc, 8, v3
	v_cndmask_b32_e32 v3, v21, v19, vcc
	v_cndmask_b32_e32 v18, v20, v18, vcc
	v_lshlrev_b32_e32 v2, 24, v2
	v_bfrev_b32_e32 v19, 60
	v_lshlrev_b32_e32 v18, 20, v18
	v_and_b32_e32 v2, 0x80000000, v2
	v_lshl_add_u32 v3, v3, 23, v19
	v_or3_b32 v18, v2, v3, v18
.LBB562_733:
	s_or_b64 exec, exec, s[12:13]
.LBB562_734:
	s_or_b64 exec, exec, s[10:11]
.LBB562_735:
	s_or_b64 exec, exec, s[8:9]
	v_cvt_pkrtz_f16_f32 v2, v15, v12
	v_cvt_pkrtz_f16_f32 v3, v11, v14
	ds_read_b128 v[24:27], v22 offset:6144
	v_cmp_ne_u16_sdwa s[10:11], v4, v10 src0_sel:BYTE_0 src1_sel:DWORD
	s_waitcnt lgkmcnt(0)
	v_mfma_f32_16x16x16f16 v[6:9], v[2:3], v[24:25], v[6:9]
	v_cvt_pkrtz_f16_f32 v2, v13, v17
	v_cvt_pkrtz_f16_f32 v3, v16, v18
	s_nop 1
	v_mfma_f32_16x16x16f16 v[6:9], v[2:3], v[26:27], v[6:9]
	s_and_saveexec_b64 s[8:9], s[10:11]
	s_cbranch_execz .LBB562_741
; %bb.736:
	s_movk_i32 s7, 0x80
	v_cmp_ne_u16_sdwa s[12:13], v4, s7 src0_sel:BYTE_0 src1_sel:DWORD
	v_bfrev_b32_e32 v10, 1
	s_and_saveexec_b64 s[10:11], s[12:13]
	s_cbranch_execz .LBB562_740
; %bb.737:
	s_movk_i32 s7, 0x7f
	v_and_b32_e32 v2, 0x7f, v4
	v_cmp_ne_u32_e32 vcc, s7, v2
	v_mov_b32_e32 v10, 0x7f800001
	s_and_saveexec_b64 s[12:13], vcc
	s_cbranch_execz .LBB562_739
; %bb.738:
	v_and_b32_e32 v3, 7, v4
	v_ffbh_u32_e32 v10, v3
	v_min_u32_e32 v13, 32, v10
	v_subrev_u32_e32 v10, 28, v13
	v_lshlrev_b64 v[10:11], v10, v[4:5]
	v_lshrrev_b32_e32 v12, 3, v2
	v_sub_u32_e32 v11, 29, v13
	v_and_b32_e32 v10, 7, v10
	v_cmp_gt_u32_e32 vcc, 8, v2
	v_cndmask_b32_e32 v2, v12, v11, vcc
	v_cndmask_b32_e32 v3, v3, v10, vcc
	v_lshlrev_b32_e32 v10, 24, v4
	v_bfrev_b32_e32 v11, 60
	v_lshlrev_b32_e32 v3, 20, v3
	v_and_b32_e32 v10, 0x80000000, v10
	v_lshl_add_u32 v2, v2, 23, v11
	v_or3_b32 v10, v10, v2, v3
.LBB562_739:
	s_or_b64 exec, exec, s[12:13]
.LBB562_740:
	s_or_b64 exec, exec, s[10:11]
.LBB562_741:
	s_or_b64 exec, exec, s[8:9]
	v_lshrrev_b16_e32 v2, 8, v4
	v_cmp_ne_u16_e32 vcc, 0, v2
	v_mov_b32_e32 v3, 0
	v_mov_b32_e32 v11, 0
	s_and_saveexec_b64 s[8:9], vcc
	s_cbranch_execz .LBB562_747
; %bb.742:
	s_movk_i32 s7, 0x80
	v_cmp_ne_u16_e32 vcc, s7, v2
	v_bfrev_b32_e32 v11, 1
	s_and_saveexec_b64 s[10:11], vcc
	s_cbranch_execz .LBB562_746
; %bb.743:
	s_movk_i32 s7, 0x7f
	v_and_b32_e32 v12, 0x7f, v2
	v_cmp_ne_u32_e32 vcc, s7, v12
	v_mov_b32_e32 v11, 0x7f800001
	s_and_saveexec_b64 s[12:13], vcc
	s_cbranch_execz .LBB562_745
; %bb.744:
	v_and_b32_e32 v11, 7, v2
	v_ffbh_u32_e32 v14, v11
	v_min_u32_e32 v16, 32, v14
	v_subrev_u32_e32 v14, 28, v16
	v_lshlrev_b64 v[14:15], v14, v[2:3]
	v_lshrrev_b32_e32 v13, 3, v12
	v_sub_u32_e32 v2, 29, v16
	v_and_b32_e32 v14, 7, v14
	v_cmp_gt_u32_e32 vcc, 8, v12
	v_cndmask_b32_e32 v2, v13, v2, vcc
	v_cndmask_b32_e32 v11, v11, v14, vcc
	v_lshlrev_b32_e32 v12, 16, v4
	v_bfrev_b32_e32 v13, 60
	v_lshlrev_b32_e32 v11, 20, v11
	v_and_b32_e32 v12, 0x80000000, v12
	v_lshl_add_u32 v2, v2, 23, v13
	v_or3_b32 v11, v12, v2, v11
.LBB562_745:
	s_or_b64 exec, exec, s[12:13]
.LBB562_746:
	s_or_b64 exec, exec, s[10:11]
.LBB562_747:
	s_or_b64 exec, exec, s[8:9]
	s_movk_i32 s7, 0xff
	v_and_b32_sdwa v12, v4, s7 dst_sel:DWORD dst_unused:UNUSED_PAD src0_sel:WORD_1 src1_sel:DWORD
	v_lshrrev_b32_e32 v2, 16, v4
	v_cmp_ne_u16_e32 vcc, 0, v12
	s_and_saveexec_b64 s[8:9], vcc
	s_cbranch_execz .LBB562_753
; %bb.748:
	s_movk_i32 s7, 0x80
	v_cmp_ne_u16_e32 vcc, s7, v12
	v_bfrev_b32_e32 v3, 1
	s_and_saveexec_b64 s[10:11], vcc
	s_cbranch_execz .LBB562_752
; %bb.749:
	v_bfe_u32 v12, v4, 16, 7
	s_movk_i32 s7, 0x7f
	v_cmp_ne_u32_e32 vcc, s7, v12
	v_mov_b32_e32 v3, 0x7f800001
	s_and_saveexec_b64 s[12:13], vcc
	s_cbranch_execz .LBB562_751
; %bb.750:
	v_and_b32_e32 v13, 7, v2
	v_ffbh_u32_e32 v3, v13
	v_min_u32_e32 v15, 32, v3
	v_subrev_u32_e32 v3, 28, v15
	v_lshlrev_b64 v[2:3], v3, v[2:3]
	v_lshrrev_b32_e32 v14, 3, v12
	v_sub_u32_e32 v3, 29, v15
	v_and_b32_e32 v2, 7, v2
	v_cmp_gt_u32_e32 vcc, 8, v12
	v_mov_b32_e32 v12, 24
	v_cndmask_b32_e32 v3, v14, v3, vcc
	v_cndmask_b32_e32 v2, v13, v2, vcc
	v_lshlrev_b32_sdwa v12, v12, v4 dst_sel:DWORD dst_unused:UNUSED_PAD src0_sel:DWORD src1_sel:WORD_1
	v_bfrev_b32_e32 v13, 60
	v_lshlrev_b32_e32 v2, 20, v2
	v_and_b32_e32 v12, 0x80000000, v12
	v_lshl_add_u32 v3, v3, 23, v13
	v_or3_b32 v3, v12, v3, v2
.LBB562_751:
	s_or_b64 exec, exec, s[12:13]
.LBB562_752:
	s_or_b64 exec, exec, s[10:11]
.LBB562_753:
	s_or_b64 exec, exec, s[8:9]
	s_mov_b32 s7, 0xffffff
	v_cmp_lt_u32_e32 vcc, s7, v4
	v_mov_b32_e32 v12, 0
	v_mov_b32_e32 v13, 0
	s_and_saveexec_b64 s[8:9], vcc
	s_cbranch_execz .LBB562_759
; %bb.754:
	v_lshrrev_b32_e32 v2, 24, v4
	s_movk_i32 s7, 0x80
	v_cmp_ne_u32_e32 vcc, s7, v2
	v_bfrev_b32_e32 v13, 1
	s_and_saveexec_b64 s[10:11], vcc
	s_cbranch_execz .LBB562_758
; %bb.755:
	v_bfe_u32 v4, v4, 24, 7
	s_movk_i32 s7, 0x7f
	v_cmp_ne_u32_e32 vcc, s7, v4
	v_mov_b32_e32 v13, 0x7f800001
	s_and_saveexec_b64 s[12:13], vcc
	s_cbranch_execz .LBB562_757
; %bb.756:
	v_and_b32_e32 v13, 7, v2
	v_ffbh_u32_e32 v14, v13
	v_min_u32_e32 v17, 32, v14
	v_subrev_u32_e32 v14, 28, v17
	v_lshlrev_b64 v[14:15], v14, v[2:3]
	v_lshrrev_b32_e32 v16, 3, v4
	v_sub_u32_e32 v15, 29, v17
	v_and_b32_e32 v14, 7, v14
	v_cmp_gt_u32_e32 vcc, 8, v4
	v_cndmask_b32_e32 v4, v16, v15, vcc
	v_cndmask_b32_e32 v13, v13, v14, vcc
	v_lshlrev_b32_e32 v2, 24, v2
	v_bfrev_b32_e32 v14, 60
	v_lshlrev_b32_e32 v13, 20, v13
	v_and_b32_e32 v2, 0x80000000, v2
	v_lshl_add_u32 v4, v4, 23, v14
	v_or3_b32 v13, v2, v4, v13
.LBB562_757:
	s_or_b64 exec, exec, s[12:13]
.LBB562_758:
	s_or_b64 exec, exec, s[10:11]
.LBB562_759:
	s_or_b64 exec, exec, s[8:9]
	v_cmp_ne_u16_sdwa s[10:11], v5, v12 src0_sel:BYTE_0 src1_sel:DWORD
	s_and_saveexec_b64 s[8:9], s[10:11]
	s_cbranch_execz .LBB562_765
; %bb.760:
	s_movk_i32 s7, 0x80
	v_cmp_ne_u16_sdwa s[12:13], v5, s7 src0_sel:BYTE_0 src1_sel:DWORD
	v_bfrev_b32_e32 v12, 1
	s_and_saveexec_b64 s[10:11], s[12:13]
	s_cbranch_execz .LBB562_764
; %bb.761:
	s_movk_i32 s7, 0x7f
	v_and_b32_e32 v2, 0x7f, v5
	v_cmp_ne_u32_e32 vcc, s7, v2
	v_mov_b32_e32 v12, 0x7f800001
	s_and_saveexec_b64 s[12:13], vcc
	s_cbranch_execz .LBB562_763
; %bb.762:
	v_and_b32_e32 v12, 7, v5
	v_ffbh_u32_e32 v14, v12
	v_min_u32_e32 v17, 32, v14
	v_mov_b32_e32 v4, v5
	v_subrev_u32_e32 v14, 28, v17
	v_lshlrev_b64 v[14:15], v14, v[4:5]
	v_lshrrev_b32_e32 v16, 3, v2
	v_sub_u32_e32 v4, 29, v17
	v_and_b32_e32 v14, 7, v14
	v_cmp_gt_u32_e32 vcc, 8, v2
	v_cndmask_b32_e32 v2, v16, v4, vcc
	v_cndmask_b32_e32 v4, v12, v14, vcc
	v_lshlrev_b32_e32 v12, 24, v5
	v_bfrev_b32_e32 v14, 60
	v_lshlrev_b32_e32 v4, 20, v4
	v_and_b32_e32 v12, 0x80000000, v12
	v_lshl_add_u32 v2, v2, 23, v14
	v_or3_b32 v12, v12, v2, v4
.LBB562_763:
	s_or_b64 exec, exec, s[12:13]
.LBB562_764:
	s_or_b64 exec, exec, s[10:11]
.LBB562_765:
	s_or_b64 exec, exec, s[8:9]
	v_lshrrev_b16_e32 v2, 8, v5
	v_cmp_ne_u16_e32 vcc, 0, v2
	v_mov_b32_e32 v4, 0
	v_mov_b32_e32 v14, 0
	s_and_saveexec_b64 s[8:9], vcc
	s_cbranch_execz .LBB562_771
; %bb.766:
	s_movk_i32 s7, 0x80
	v_cmp_ne_u16_e32 vcc, s7, v2
	v_bfrev_b32_e32 v14, 1
	s_and_saveexec_b64 s[10:11], vcc
	s_cbranch_execz .LBB562_770
; %bb.767:
	s_movk_i32 s7, 0x7f
	v_and_b32_e32 v15, 0x7f, v2
	v_cmp_ne_u32_e32 vcc, s7, v15
	v_mov_b32_e32 v14, 0x7f800001
	s_and_saveexec_b64 s[12:13], vcc
	s_cbranch_execz .LBB562_769
; %bb.768:
	v_and_b32_e32 v14, 7, v2
	v_ffbh_u32_e32 v16, v14
	v_min_u32_e32 v19, 32, v16
	v_subrev_u32_e32 v16, 28, v19
	v_lshlrev_b64 v[16:17], v16, v[2:3]
	v_lshrrev_b32_e32 v18, 3, v15
	v_sub_u32_e32 v2, 29, v19
	v_and_b32_e32 v16, 7, v16
	v_cmp_gt_u32_e32 vcc, 8, v15
	v_cndmask_b32_e32 v2, v18, v2, vcc
	v_cndmask_b32_e32 v14, v14, v16, vcc
	v_lshlrev_b32_e32 v15, 16, v5
	v_bfrev_b32_e32 v16, 60
	v_lshlrev_b32_e32 v14, 20, v14
	v_and_b32_e32 v15, 0x80000000, v15
	v_lshl_add_u32 v2, v2, 23, v16
	v_or3_b32 v14, v15, v2, v14
.LBB562_769:
	s_or_b64 exec, exec, s[12:13]
.LBB562_770:
	s_or_b64 exec, exec, s[10:11]
.LBB562_771:
	s_or_b64 exec, exec, s[8:9]
	s_movk_i32 s7, 0xff
	v_and_b32_sdwa v15, v5, s7 dst_sel:DWORD dst_unused:UNUSED_PAD src0_sel:WORD_1 src1_sel:DWORD
	v_lshrrev_b32_e32 v2, 16, v5
	v_cmp_ne_u16_e32 vcc, 0, v15
	s_and_saveexec_b64 s[8:9], vcc
	s_cbranch_execz .LBB562_777
; %bb.772:
	s_movk_i32 s7, 0x80
	v_cmp_ne_u16_e32 vcc, s7, v15
	v_bfrev_b32_e32 v4, 1
	s_and_saveexec_b64 s[10:11], vcc
	s_cbranch_execz .LBB562_776
; %bb.773:
	v_bfe_u32 v15, v5, 16, 7
	s_movk_i32 s7, 0x7f
	v_cmp_ne_u32_e32 vcc, s7, v15
	v_mov_b32_e32 v4, 0x7f800001
	s_and_saveexec_b64 s[12:13], vcc
	s_cbranch_execz .LBB562_775
; %bb.774:
	v_and_b32_e32 v4, 7, v2
	v_ffbh_u32_e32 v16, v4
	v_min_u32_e32 v19, 32, v16
	v_subrev_u32_e32 v16, 28, v19
	v_lshlrev_b64 v[16:17], v16, v[2:3]
	v_lshrrev_b32_e32 v18, 3, v15
	v_sub_u32_e32 v2, 29, v19
	v_and_b32_e32 v16, 7, v16
	v_cmp_gt_u32_e32 vcc, 8, v15
	v_mov_b32_e32 v15, 24
	v_cndmask_b32_e32 v2, v18, v2, vcc
	v_cndmask_b32_e32 v4, v4, v16, vcc
	v_lshlrev_b32_sdwa v15, v15, v5 dst_sel:DWORD dst_unused:UNUSED_PAD src0_sel:DWORD src1_sel:WORD_1
	v_bfrev_b32_e32 v16, 60
	v_lshlrev_b32_e32 v4, 20, v4
	v_and_b32_e32 v15, 0x80000000, v15
	v_lshl_add_u32 v2, v2, 23, v16
	v_or3_b32 v4, v15, v2, v4
.LBB562_775:
	s_or_b64 exec, exec, s[12:13]
.LBB562_776:
	s_or_b64 exec, exec, s[10:11]
.LBB562_777:
	s_or_b64 exec, exec, s[8:9]
	s_mov_b32 s7, 0xffffff
	v_cmp_lt_u32_e32 vcc, s7, v5
	v_mov_b32_e32 v15, 0
	s_and_saveexec_b64 s[8:9], vcc
	s_cbranch_execz .LBB562_783
; %bb.778:
	v_lshrrev_b32_e32 v2, 24, v5
	s_movk_i32 s7, 0x80
	v_cmp_ne_u32_e32 vcc, s7, v2
	v_bfrev_b32_e32 v15, 1
	s_and_saveexec_b64 s[10:11], vcc
	s_cbranch_execz .LBB562_782
; %bb.779:
	v_bfe_u32 v5, v5, 24, 7
	s_movk_i32 s7, 0x7f
	v_cmp_ne_u32_e32 vcc, s7, v5
	v_mov_b32_e32 v15, 0x7f800001
	s_and_saveexec_b64 s[12:13], vcc
	s_cbranch_execz .LBB562_781
; %bb.780:
	v_and_b32_e32 v15, 7, v2
	v_ffbh_u32_e32 v16, v15
	v_min_u32_e32 v19, 32, v16
	v_subrev_u32_e32 v16, 28, v19
	v_lshlrev_b64 v[16:17], v16, v[2:3]
	v_lshrrev_b32_e32 v18, 3, v5
	v_sub_u32_e32 v17, 29, v19
	v_and_b32_e32 v16, 7, v16
	v_cmp_gt_u32_e32 vcc, 8, v5
	v_cndmask_b32_e32 v5, v18, v17, vcc
	v_cndmask_b32_e32 v15, v15, v16, vcc
	v_lshlrev_b32_e32 v2, 24, v2
	v_bfrev_b32_e32 v16, 60
	v_lshlrev_b32_e32 v15, 20, v15
	v_and_b32_e32 v2, 0x80000000, v2
	v_lshl_add_u32 v5, v5, 23, v16
	v_or3_b32 v15, v2, v5, v15
.LBB562_781:
	s_or_b64 exec, exec, s[12:13]
.LBB562_782:
	s_or_b64 exec, exec, s[10:11]
.LBB562_783:
	s_or_b64 exec, exec, s[8:9]
	v_cvt_pkrtz_f16_f32 v2, v10, v11
	v_cvt_pkrtz_f16_f32 v3, v3, v13
	ds_read_b128 v[16:19], v22 offset:6160
	s_load_dword s8, s[42:43], 0x0
	v_cmp_gt_u32_e32 vcc, 64, v0
	s_waitcnt lgkmcnt(0)
	v_mfma_f32_16x16x16f16 v[6:9], v[2:3], v[16:17], v[6:9]
	v_cvt_pkrtz_f16_f32 v2, v12, v14
	v_cvt_pkrtz_f16_f32 v3, v4, v15
	s_and_b64 s[0:1], vcc, s[0:1]
	s_barrier
	v_mfma_f32_16x16x16f16 v[2:5], v[2:3], v[18:19], v[6:9]
	s_nop 7
	s_nop 2
	v_pk_mul_f32 v[4:5], v[4:5], s[8:9] op_sel_hi:[1,0]
	v_pk_mul_f32 v[2:3], v[2:3], s[8:9] op_sel_hi:[1,0]
	v_cvt_f16_f32_e32 v2, v2
	v_cvt_f16_f32_e32 v3, v3
	;; [unrolled: 1-line block ×4, first 2 shown]
	v_pack_b32_f16 v2, v2, v3
	v_pack_b32_f16 v3, v4, v5
	ds_write_b64 v28, v[2:3]
	s_waitcnt lgkmcnt(0)
	s_barrier
	s_and_saveexec_b64 s[8:9], s[0:1]
	s_cbranch_execz .LBB562_786
; %bb.784:
	s_load_dwordx2 s[4:5], s[4:5], 0x68
	s_lshl_b32 s0, s44, 6
	s_mul_i32 s1, s14, s6
	s_mul_hi_u32 s9, s1, s0
	s_mul_i32 s8, s1, s0
	s_lshl_b64 s[8:9], s[8:9], 1
	s_waitcnt lgkmcnt(0)
	s_add_u32 s1, s4, s8
	v_lshlrev_b32_e32 v0, 10, v0
	s_mov_b32 s7, 0
	s_addc_u32 s8, s5, s9
	s_lshl_b32 s6, s24, 6
	v_and_b32_e32 v0, 0x1800, v0
	v_lshlrev_b32_e32 v2, 5, v1
	v_and_b32_e32 v3, 16, v47
	s_lshl_b64 s[4:5], s[6:7], 1
	v_or3_b32 v0, v0, v2, v3
	s_add_u32 s1, s1, s4
	s_addc_u32 s4, s8, s5
	ds_read_b128 v[4:7], v0
	v_add_u32_e32 v8, s25, v1
	v_mov_b32_e32 v3, s4
	v_add_co_u32_e32 v2, vcc, s1, v46
	v_mad_u64_u32 v[8:9], s[4:5], v8, s0, 0
	v_addc_co_u32_e32 v3, vcc, 0, v3, vcc
	v_lshlrev_b64 v[8:9], 1, v[8:9]
	v_add_co_u32_e32 v8, vcc, v2, v8
	v_addc_co_u32_e32 v9, vcc, v3, v9, vcc
	s_waitcnt lgkmcnt(0)
	global_store_dwordx4 v[8:9], v[4:7], off
	s_and_b64 exec, exec, s[2:3]
	s_cbranch_execz .LBB562_786
; %bb.785:
	ds_read_b128 v[4:7], v0 offset:128
	v_add3_u32 v0, s25, v1, 4
	v_mad_u64_u32 v[0:1], s[0:1], v0, s0, 0
	v_lshlrev_b64 v[0:1], 1, v[0:1]
	v_add_co_u32_e32 v0, vcc, v2, v0
	v_addc_co_u32_e32 v1, vcc, v3, v1, vcc
	s_waitcnt lgkmcnt(0)
	global_store_dwordx4 v[0:1], v[4:7], off
.LBB562_786:
	s_endpgm
	.section	.rodata,"a",@progbits
	.p2align	6, 0x0
	.amdhsa_kernel _Z39paged_attention_ll4mi_QKV_mfma16_kernelIDF16_hLN4vllm18Fp8KVCacheDataTypeE1EDF16_Li16ELi64ELi256ELb0ELi5EL8MFMAType0EEvPKT_PKT0_S8_ifPKiSA_SA_iPKfiiiPfSD_PS3_PT2_iSC_SC_
		.amdhsa_group_segment_fixed_size 8192
		.amdhsa_private_segment_fixed_size 0
		.amdhsa_kernarg_size 400
		.amdhsa_user_sgpr_count 6
		.amdhsa_user_sgpr_private_segment_buffer 1
		.amdhsa_user_sgpr_dispatch_ptr 0
		.amdhsa_user_sgpr_queue_ptr 0
		.amdhsa_user_sgpr_kernarg_segment_ptr 1
		.amdhsa_user_sgpr_dispatch_id 0
		.amdhsa_user_sgpr_flat_scratch_init 0
		.amdhsa_user_sgpr_kernarg_preload_length 0
		.amdhsa_user_sgpr_kernarg_preload_offset 0
		.amdhsa_user_sgpr_private_segment_size 0
		.amdhsa_uses_dynamic_stack 0
		.amdhsa_system_sgpr_private_segment_wavefront_offset 0
		.amdhsa_system_sgpr_workgroup_id_x 1
		.amdhsa_system_sgpr_workgroup_id_y 1
		.amdhsa_system_sgpr_workgroup_id_z 1
		.amdhsa_system_sgpr_workgroup_info 0
		.amdhsa_system_vgpr_workitem_id 0
		.amdhsa_next_free_vgpr 61
		.amdhsa_next_free_sgpr 47
		.amdhsa_accum_offset 64
		.amdhsa_reserve_vcc 1
		.amdhsa_reserve_flat_scratch 0
		.amdhsa_float_round_mode_32 0
		.amdhsa_float_round_mode_16_64 0
		.amdhsa_float_denorm_mode_32 3
		.amdhsa_float_denorm_mode_16_64 3
		.amdhsa_dx10_clamp 1
		.amdhsa_ieee_mode 1
		.amdhsa_fp16_overflow 0
		.amdhsa_tg_split 0
		.amdhsa_exception_fp_ieee_invalid_op 0
		.amdhsa_exception_fp_denorm_src 0
		.amdhsa_exception_fp_ieee_div_zero 0
		.amdhsa_exception_fp_ieee_overflow 0
		.amdhsa_exception_fp_ieee_underflow 0
		.amdhsa_exception_fp_ieee_inexact 0
		.amdhsa_exception_int_div_zero 0
	.end_amdhsa_kernel
	.section	.text._Z39paged_attention_ll4mi_QKV_mfma16_kernelIDF16_hLN4vllm18Fp8KVCacheDataTypeE1EDF16_Li16ELi64ELi256ELb0ELi5EL8MFMAType0EEvPKT_PKT0_S8_ifPKiSA_SA_iPKfiiiPfSD_PS3_PT2_iSC_SC_,"axG",@progbits,_Z39paged_attention_ll4mi_QKV_mfma16_kernelIDF16_hLN4vllm18Fp8KVCacheDataTypeE1EDF16_Li16ELi64ELi256ELb0ELi5EL8MFMAType0EEvPKT_PKT0_S8_ifPKiSA_SA_iPKfiiiPfSD_PS3_PT2_iSC_SC_,comdat
.Lfunc_end562:
	.size	_Z39paged_attention_ll4mi_QKV_mfma16_kernelIDF16_hLN4vllm18Fp8KVCacheDataTypeE1EDF16_Li16ELi64ELi256ELb0ELi5EL8MFMAType0EEvPKT_PKT0_S8_ifPKiSA_SA_iPKfiiiPfSD_PS3_PT2_iSC_SC_, .Lfunc_end562-_Z39paged_attention_ll4mi_QKV_mfma16_kernelIDF16_hLN4vllm18Fp8KVCacheDataTypeE1EDF16_Li16ELi64ELi256ELb0ELi5EL8MFMAType0EEvPKT_PKT0_S8_ifPKiSA_SA_iPKfiiiPfSD_PS3_PT2_iSC_SC_
                                        ; -- End function
	.section	.AMDGPU.csdata,"",@progbits
; Kernel info:
; codeLenInByte = 26920
; NumSgprs: 51
; NumVgprs: 61
; NumAgprs: 0
; TotalNumVgprs: 61
; ScratchSize: 0
; MemoryBound: 0
; FloatMode: 240
; IeeeMode: 1
; LDSByteSize: 8192 bytes/workgroup (compile time only)
; SGPRBlocks: 6
; VGPRBlocks: 7
; NumSGPRsForWavesPerEU: 51
; NumVGPRsForWavesPerEU: 61
; AccumOffset: 64
; Occupancy: 8
; WaveLimiterHint : 1
; COMPUTE_PGM_RSRC2:SCRATCH_EN: 0
; COMPUTE_PGM_RSRC2:USER_SGPR: 6
; COMPUTE_PGM_RSRC2:TRAP_HANDLER: 0
; COMPUTE_PGM_RSRC2:TGID_X_EN: 1
; COMPUTE_PGM_RSRC2:TGID_Y_EN: 1
; COMPUTE_PGM_RSRC2:TGID_Z_EN: 1
; COMPUTE_PGM_RSRC2:TIDIG_COMP_CNT: 0
; COMPUTE_PGM_RSRC3_GFX90A:ACCUM_OFFSET: 15
; COMPUTE_PGM_RSRC3_GFX90A:TG_SPLIT: 0
	.section	.text._Z39paged_attention_ll4mi_QKV_mfma16_kernelIDF16_hLN4vllm18Fp8KVCacheDataTypeE1EDF16_Li16ELi64ELi256ELb0ELi6EL8MFMAType0EEvPKT_PKT0_S8_ifPKiSA_SA_iPKfiiiPfSD_PS3_PT2_iSC_SC_,"axG",@progbits,_Z39paged_attention_ll4mi_QKV_mfma16_kernelIDF16_hLN4vllm18Fp8KVCacheDataTypeE1EDF16_Li16ELi64ELi256ELb0ELi6EL8MFMAType0EEvPKT_PKT0_S8_ifPKiSA_SA_iPKfiiiPfSD_PS3_PT2_iSC_SC_,comdat
	.protected	_Z39paged_attention_ll4mi_QKV_mfma16_kernelIDF16_hLN4vllm18Fp8KVCacheDataTypeE1EDF16_Li16ELi64ELi256ELb0ELi6EL8MFMAType0EEvPKT_PKT0_S8_ifPKiSA_SA_iPKfiiiPfSD_PS3_PT2_iSC_SC_ ; -- Begin function _Z39paged_attention_ll4mi_QKV_mfma16_kernelIDF16_hLN4vllm18Fp8KVCacheDataTypeE1EDF16_Li16ELi64ELi256ELb0ELi6EL8MFMAType0EEvPKT_PKT0_S8_ifPKiSA_SA_iPKfiiiPfSD_PS3_PT2_iSC_SC_
	.globl	_Z39paged_attention_ll4mi_QKV_mfma16_kernelIDF16_hLN4vllm18Fp8KVCacheDataTypeE1EDF16_Li16ELi64ELi256ELb0ELi6EL8MFMAType0EEvPKT_PKT0_S8_ifPKiSA_SA_iPKfiiiPfSD_PS3_PT2_iSC_SC_
	.p2align	8
	.type	_Z39paged_attention_ll4mi_QKV_mfma16_kernelIDF16_hLN4vllm18Fp8KVCacheDataTypeE1EDF16_Li16ELi64ELi256ELb0ELi6EL8MFMAType0EEvPKT_PKT0_S8_ifPKiSA_SA_iPKfiiiPfSD_PS3_PT2_iSC_SC_,@function
_Z39paged_attention_ll4mi_QKV_mfma16_kernelIDF16_hLN4vllm18Fp8KVCacheDataTypeE1EDF16_Li16ELi64ELi256ELb0ELi6EL8MFMAType0EEvPKT_PKT0_S8_ifPKiSA_SA_iPKfiiiPfSD_PS3_PT2_iSC_SC_: ; @_Z39paged_attention_ll4mi_QKV_mfma16_kernelIDF16_hLN4vllm18Fp8KVCacheDataTypeE1EDF16_Li16ELi64ELi256ELb0ELi6EL8MFMAType0EEvPKT_PKT0_S8_ifPKiSA_SA_iPKfiiiPfSD_PS3_PT2_iSC_SC_
; %bb.0:
	s_load_dwordx2 s[0:1], s[4:5], 0x30
	s_mov_b32 s24, s7
	s_mov_b64 s[10:11], 0
	s_waitcnt lgkmcnt(0)
	s_cmp_lg_u64 s[0:1], 0
	s_cselect_b64 s[2:3], -1, 0
	s_and_b64 vcc, exec, s[2:3]
	s_cbranch_vccz .LBB563_7
; %bb.1:
	s_add_i32 s12, s6, 1
	s_mov_b32 s13, 0
	s_lshl_b64 s[14:15], s[12:13], 2
	s_add_u32 s14, s0, s14
	s_mov_b32 s7, s13
	s_addc_u32 s15, s1, s15
	s_lshl_b64 s[12:13], s[6:7], 2
	s_add_u32 s12, s0, s12
	s_addc_u32 s13, s1, s13
	s_load_dword s9, s[14:15], 0x0
	s_load_dword s16, s[12:13], 0x0
	s_waitcnt lgkmcnt(0)
	s_sub_i32 s9, s9, s16
	s_cmp_eq_u32 s9, 1
	s_cselect_b64 s[12:13], -1, 0
	s_andn2_b64 vcc, exec, s[10:11]
	s_cbranch_vccnz .LBB563_3
.LBB563_2:
	s_mov_b32 s7, 0
	s_mov_b64 s[12:13], -1
.LBB563_3:
	s_andn2_b64 vcc, exec, s[12:13]
	s_cbranch_vccnz .LBB563_786
; %bb.4:
	s_load_dwordx2 s[12:13], s[4:5], 0x28
	s_lshl_b64 s[10:11], s[6:7], 2
	s_waitcnt lgkmcnt(0)
	s_add_u32 s12, s12, s10
	s_addc_u32 s13, s13, s11
	s_load_dword s33, s[12:13], 0x0
	s_lshl_b32 s20, s24, 8
	s_waitcnt lgkmcnt(0)
	s_cmp_ge_i32 s20, s33
	s_cbranch_scc1 .LBB563_786
; %bb.5:
	s_add_i32 s14, s33, 15
	s_load_dwordx2 s[12:13], s[4:5], 0x20
	s_load_dword s9, s[4:5], 0x38
	s_ashr_i32 s15, s14, 31
	v_and_b32_e32 v1, 0xcf, v0
	s_lshr_b32 s15, s15, 28
	v_add_u32_e32 v1, s20, v1
	s_add_i32 s14, s14, s15
	v_ashrrev_i32_e32 v2, 31, v1
	s_ashr_i32 s22, s14, 4
	v_lshrrev_b32_e32 v4, 28, v2
	s_add_i32 s22, s22, -1
	v_add_u32_e32 v2, v1, v4
	s_waitcnt lgkmcnt(0)
	s_mul_i32 s14, s6, s9
	s_mov_b32 s15, 0
	v_ashrrev_i32_e32 v2, 4, v2
	v_mov_b32_e32 v5, s22
	v_cmp_gt_i32_e32 vcc, s33, v1
	s_lshl_b64 s[14:15], s[14:15], 2
	v_cndmask_b32_e32 v2, v5, v2, vcc
	s_add_u32 s9, s12, s14
	v_ashrrev_i32_e32 v3, 31, v2
	s_addc_u32 s21, s13, s15
	v_lshlrev_b64 v[2:3], 2, v[2:3]
	v_mov_b32_e32 v7, s21
	v_add_co_u32_e32 v6, vcc, s9, v2
	v_or_b32_e32 v2, 16, v1
	v_addc_co_u32_e32 v7, vcc, v7, v3, vcc
	v_add_u32_e32 v3, v2, v4
	v_ashrrev_i32_e32 v3, 4, v3
	v_cmp_gt_i32_e32 vcc, s33, v2
	v_cndmask_b32_e32 v2, v5, v3, vcc
	v_ashrrev_i32_e32 v3, 31, v2
	v_lshlrev_b64 v[2:3], 2, v[2:3]
	v_mov_b32_e32 v9, s21
	v_add_co_u32_e32 v8, vcc, s9, v2
	v_or_b32_e32 v2, 32, v1
	v_addc_co_u32_e32 v9, vcc, v9, v3, vcc
	v_add_u32_e32 v3, v2, v4
	v_ashrrev_i32_e32 v3, 4, v3
	v_cmp_gt_i32_e32 vcc, s33, v2
	v_cndmask_b32_e32 v2, v5, v3, vcc
	v_ashrrev_i32_e32 v3, 31, v2
	;; [unrolled: 10-line block ×3, first 2 shown]
	v_lshlrev_b64 v[2:3], 2, v[2:3]
	v_mov_b32_e32 v1, s21
	v_add_co_u32_e32 v12, vcc, s9, v2
	v_addc_co_u32_e32 v13, vcc, v1, v3, vcc
	global_load_dword v4, v[6:7], off
	global_load_dword v5, v[8:9], off
	;; [unrolled: 1-line block ×4, first 2 shown]
	s_load_dwordx4 s[12:15], s[4:5], 0x8
	s_andn2_b64 vcc, exec, s[2:3]
	s_cbranch_vccnz .LBB563_8
; %bb.6:
	s_add_u32 s0, s0, s10
	s_addc_u32 s1, s1, s11
	s_load_dword s10, s[0:1], 0x0
	s_branch .LBB563_9
.LBB563_7:
	s_mov_b64 s[12:13], 0
	s_branch .LBB563_2
.LBB563_8:
	s_mov_b32 s10, s6
.LBB563_9:
	s_load_dwordx4 s[16:19], s[4:5], 0x48
	v_lshrrev_b32_e32 v49, 6, v0
	v_bfe_u32 v1, v0, 4, 2
	v_lshl_or_b32 v6, v49, 2, v1
	v_and_b32_e32 v48, 15, v0
	v_lshlrev_b32_e32 v7, 3, v48
	v_cmp_gt_u32_e32 vcc, 6, v6
	v_cmp_gt_u32_e64 s[0:1], 8, v48
	s_mul_i32 s25, s8, 6
	s_and_b64 s[26:27], s[0:1], vcc
	v_lshlrev_b32_e32 v46, 1, v7
	v_lshlrev_b32_e32 v47, 4, v0
	s_and_saveexec_b64 s[2:3], s[26:27]
	s_cbranch_execz .LBB563_11
; %bb.10:
	s_load_dwordx2 s[26:27], s[4:5], 0x0
	s_waitcnt lgkmcnt(0)
	s_ashr_i32 s11, s16, 31
	s_mul_hi_u32 s19, s10, s16
	s_mul_i32 s11, s10, s11
	s_add_i32 s11, s19, s11
	s_mul_i32 s10, s10, s16
	s_lshl_b64 s[10:11], s[10:11], 1
	v_add_lshl_u32 v8, v6, s25, 6
	s_add_u32 s10, s26, s10
	v_ashrrev_i32_e32 v9, 31, v8
	s_addc_u32 s11, s27, s11
	v_lshlrev_b64 v[8:9], 1, v[8:9]
	v_mov_b32_e32 v7, s11
	v_add_co_u32_e32 v8, vcc, s10, v8
	v_addc_co_u32_e32 v7, vcc, v7, v9, vcc
	v_add_co_u32_e32 v8, vcc, v8, v46
	v_addc_co_u32_e32 v9, vcc, 0, v7, vcc
	global_load_dwordx4 v[8:11], v[8:9], off
	v_lshlrev_b32_e32 v12, 8, v48
	v_lshlrev_b32_e32 v6, 5, v6
	v_and_b32_e32 v7, 16, v47
	v_and_b32_e32 v12, 0xe00, v12
	v_or3_b32 v6, v12, v6, v7
	s_waitcnt vmcnt(0)
	ds_write_b128 v6, v[8:11]
.LBB563_11:
	s_or_b64 exec, exec, s[2:3]
	v_and_b32_e32 v12, 48, v0
	v_or_b32_e32 v13, s20, v12
	v_ashrrev_i32_e32 v6, 4, v13
	v_mov_b32_e32 v14, s22
	v_cmp_gt_i32_e32 vcc, s33, v13
	v_cndmask_b32_e32 v6, v14, v6, vcc
	v_ashrrev_i32_e32 v7, 31, v6
	v_lshlrev_b64 v[6:7], 2, v[6:7]
	v_mov_b32_e32 v8, s21
	v_add_co_u32_e32 v6, vcc, s9, v6
	v_addc_co_u32_e32 v7, vcc, v8, v7, vcc
	v_or_b32_e32 v8, 64, v13
	v_ashrrev_i32_e32 v9, 4, v8
	v_cmp_gt_i32_e32 vcc, s33, v8
	v_cndmask_b32_e32 v8, v14, v9, vcc
	v_ashrrev_i32_e32 v9, 31, v8
	v_lshlrev_b64 v[8:9], 2, v[8:9]
	v_mov_b32_e32 v10, s21
	v_add_co_u32_e32 v8, vcc, s9, v8
	v_addc_co_u32_e32 v9, vcc, v10, v9, vcc
	v_or_b32_e32 v10, 0x80, v13
	v_ashrrev_i32_e32 v11, 4, v10
	v_cmp_gt_i32_e32 vcc, s33, v10
	v_cndmask_b32_e32 v10, v14, v11, vcc
	v_ashrrev_i32_e32 v11, 31, v10
	v_lshlrev_b64 v[10:11], 2, v[10:11]
	v_mov_b32_e32 v15, s21
	v_add_co_u32_e32 v10, vcc, s9, v10
	s_load_dwordx2 s[44:45], s[4:5], 0x94
	s_load_dwordx4 s[40:43], s[4:5], 0x80
	s_waitcnt lgkmcnt(0)
	s_barrier
	v_addc_co_u32_e32 v11, vcc, v15, v11, vcc
	global_load_dword v15, v[6:7], off
	global_load_dword v16, v[8:9], off
	;; [unrolled: 1-line block ×3, first 2 shown]
	v_or_b32_e32 v6, 0xc0, v13
	v_ashrrev_i32_e32 v7, 4, v6
	v_cmp_gt_i32_e32 vcc, s33, v6
	v_cndmask_b32_e32 v6, v14, v7, vcc
	v_ashrrev_i32_e32 v7, 31, v6
	v_lshlrev_b64 v[6:7], 2, v[6:7]
	v_mov_b32_e32 v8, s21
	v_add_co_u32_e32 v6, vcc, s9, v6
	v_addc_co_u32_e32 v7, vcc, v8, v7, vcc
	global_load_dword v20, v[6:7], off
	s_mul_i32 s8, s8, s18
	s_add_u32 s2, s12, s8
	s_addc_u32 s3, s13, 0
	v_and_b32_e32 v6, 0xf0, v47
	v_mov_b32_e32 v7, s3
	v_add_co_u32_e32 v6, vcc, s2, v6
	v_addc_co_u32_e32 v7, vcc, 0, v7, vcc
	v_lshlrev_b32_e32 v8, 4, v12
	v_add_co_u32_e32 v6, vcc, v6, v8
	v_addc_co_u32_e32 v7, vcc, 0, v7, vcc
	s_waitcnt vmcnt(7)
	v_mad_i64_i32 v[8:9], s[2:3], v4, s17, v[6:7]
	s_waitcnt vmcnt(6)
	v_mad_i64_i32 v[4:5], s[2:3], v5, s17, v[6:7]
	global_load_dwordx4 v[30:33], v[8:9], off
	global_load_dwordx4 v[38:41], v[4:5], off
	s_waitcnt vmcnt(7)
	v_mad_i64_i32 v[4:5], s[2:3], v2, s17, v[6:7]
	s_waitcnt vmcnt(6)
	v_mad_i64_i32 v[2:3], s[2:3], v3, s17, v[6:7]
	global_load_dwordx4 v[34:37], v[4:5], off
	global_load_dwordx4 v[22:25], v[2:3], off
	s_add_u32 s2, s14, s8
	v_lshlrev_b32_e32 v2, 4, v48
	s_addc_u32 s3, s15, 0
	v_lshl_or_b32 v2, v49, 8, v2
	v_mov_b32_e32 v3, s3
	v_add_co_u32_e32 v2, vcc, s2, v2
	v_addc_co_u32_e32 v3, vcc, 0, v3, vcc
	v_mov_b32_e32 v43, 0
	s_movk_i32 s8, 0x80
	v_mov_b32_e32 v44, 0
	s_waitcnt vmcnt(7)
	v_mad_i64_i32 v[4:5], s[2:3], v15, s17, v[2:3]
	s_waitcnt vmcnt(6)
	v_mad_i64_i32 v[6:7], s[2:3], v16, s17, v[2:3]
	;; [unrolled: 2-line block ×3, first 2 shown]
	global_load_dwordx4 v[14:17], v[4:5], off
	global_load_dwordx4 v[10:13], v[6:7], off
	s_waitcnt vmcnt(6)
	v_mad_i64_i32 v[20:21], s[2:3], v20, s17, v[2:3]
	global_load_dwordx4 v[6:9], v[18:19], off
	global_load_dwordx4 v[2:5], v[20:21], off
	v_mul_lo_u16_e32 v18, 43, v48
	v_mov_b32_e32 v19, 6
	v_mul_lo_u16_sdwa v18, v18, v19 dst_sel:DWORD dst_unused:UNUSED_PAD src0_sel:BYTE_1 src1_sel:DWORD
	v_sub_u16_e32 v18, v48, v18
	v_mov_b32_e32 v19, 5
	v_lshlrev_b32_sdwa v18, v19, v18 dst_sel:DWORD dst_unused:UNUSED_PAD src0_sel:DWORD src1_sel:BYTE_0
	v_lshl_add_u32 v18, v1, 9, v18
	ds_read_b128 v[26:29], v18
	ds_read_b128 v[18:21], v18 offset:16
	s_load_dword s12, s[40:41], 0x0
	s_waitcnt vmcnt(7)
	v_cmp_ne_u16_sdwa s[10:11], v30, v43 src0_sel:BYTE_0 src1_sel:DWORD
	s_and_saveexec_b64 s[2:3], s[10:11]
	s_cbranch_execz .LBB563_17
; %bb.12:
	v_cmp_ne_u16_sdwa s[10:11], v30, s8 src0_sel:BYTE_0 src1_sel:DWORD
	v_bfrev_b32_e32 v44, 1
	s_and_saveexec_b64 s[8:9], s[10:11]
	s_cbranch_execz .LBB563_16
; %bb.13:
	s_movk_i32 s10, 0x7f
	v_and_b32_e32 v42, 0x7f, v30
	v_cmp_ne_u32_e32 vcc, s10, v42
	v_mov_b32_e32 v44, 0x7f800001
	s_and_saveexec_b64 s[10:11], vcc
	s_cbranch_execz .LBB563_15
; %bb.14:
	v_and_b32_e32 v50, 7, v30
	v_ffbh_u32_e32 v44, v50
	v_min_u32_e32 v52, 32, v44
	v_subrev_u32_e32 v44, 28, v52
	v_lshlrev_b64 v[44:45], v44, v[30:31]
	v_lshrrev_b32_e32 v51, 3, v42
	v_sub_u32_e32 v45, 29, v52
	v_and_b32_e32 v44, 7, v44
	v_cmp_gt_u32_e32 vcc, 8, v42
	v_cndmask_b32_e32 v42, v51, v45, vcc
	v_cndmask_b32_e32 v44, v50, v44, vcc
	v_lshlrev_b32_e32 v45, 24, v30
	v_bfrev_b32_e32 v50, 60
	v_lshlrev_b32_e32 v44, 20, v44
	v_and_b32_e32 v45, 0x80000000, v45
	v_lshl_add_u32 v42, v42, 23, v50
	v_or3_b32 v44, v45, v42, v44
.LBB563_15:
	s_or_b64 exec, exec, s[10:11]
.LBB563_16:
	s_or_b64 exec, exec, s[8:9]
.LBB563_17:
	s_or_b64 exec, exec, s[2:3]
	v_lshrrev_b16_e32 v42, 8, v30
	v_cmp_ne_u16_e32 vcc, 0, v42
	s_and_saveexec_b64 s[2:3], vcc
	s_cbranch_execz .LBB563_23
; %bb.18:
	s_movk_i32 s8, 0x80
	v_cmp_ne_u16_e32 vcc, s8, v42
	v_bfrev_b32_e32 v43, 1
	s_and_saveexec_b64 s[8:9], vcc
	s_cbranch_execz .LBB563_22
; %bb.19:
	s_movk_i32 s10, 0x7f
	v_and_b32_e32 v45, 0x7f, v42
	v_cmp_ne_u32_e32 vcc, s10, v45
	v_mov_b32_e32 v43, 0x7f800001
	s_and_saveexec_b64 s[10:11], vcc
	s_cbranch_execz .LBB563_21
; %bb.20:
	v_and_b32_e32 v50, 7, v42
	v_ffbh_u32_e32 v43, v50
	v_min_u32_e32 v52, 32, v43
	v_subrev_u32_e32 v43, 28, v52
	v_lshlrev_b64 v[42:43], v43, v[42:43]
	v_lshrrev_b32_e32 v51, 3, v45
	v_sub_u32_e32 v43, 29, v52
	v_and_b32_e32 v42, 7, v42
	v_cmp_gt_u32_e32 vcc, 8, v45
	v_cndmask_b32_e32 v43, v51, v43, vcc
	v_cndmask_b32_e32 v42, v50, v42, vcc
	v_lshlrev_b32_e32 v45, 16, v30
	v_bfrev_b32_e32 v50, 60
	v_lshlrev_b32_e32 v42, 20, v42
	v_and_b32_e32 v45, 0x80000000, v45
	v_lshl_add_u32 v43, v43, 23, v50
	v_or3_b32 v43, v45, v43, v42
.LBB563_21:
	s_or_b64 exec, exec, s[10:11]
.LBB563_22:
	s_or_b64 exec, exec, s[8:9]
.LBB563_23:
	s_or_b64 exec, exec, s[2:3]
	s_movk_i32 s2, 0xff
	v_and_b32_sdwa v51, v30, s2 dst_sel:DWORD dst_unused:UNUSED_PAD src0_sel:WORD_1 src1_sel:DWORD
	v_lshrrev_b32_e32 v42, 16, v30
	v_cmp_ne_u16_e32 vcc, 0, v51
	v_mov_b32_e32 v45, 0
	v_mov_b32_e32 v50, 0
	s_and_saveexec_b64 s[2:3], vcc
	s_cbranch_execz .LBB563_29
; %bb.24:
	s_movk_i32 s8, 0x80
	v_cmp_ne_u16_e32 vcc, s8, v51
	v_bfrev_b32_e32 v50, 1
	s_and_saveexec_b64 s[8:9], vcc
	s_cbranch_execz .LBB563_28
; %bb.25:
	v_bfe_u32 v51, v30, 16, 7
	s_movk_i32 s10, 0x7f
	v_cmp_ne_u32_e32 vcc, s10, v51
	v_mov_b32_e32 v50, 0x7f800001
	s_and_saveexec_b64 s[10:11], vcc
	s_cbranch_execz .LBB563_27
; %bb.26:
	v_and_b32_e32 v50, 7, v42
	v_ffbh_u32_e32 v52, v50
	v_min_u32_e32 v55, 32, v52
	v_subrev_u32_e32 v52, 28, v55
	v_lshlrev_b64 v[52:53], v52, v[42:43]
	v_lshrrev_b32_e32 v54, 3, v51
	v_sub_u32_e32 v42, 29, v55
	v_and_b32_e32 v52, 7, v52
	v_cmp_gt_u32_e32 vcc, 8, v51
	v_mov_b32_e32 v51, 24
	v_cndmask_b32_e32 v42, v54, v42, vcc
	v_cndmask_b32_e32 v50, v50, v52, vcc
	v_lshlrev_b32_sdwa v51, v51, v30 dst_sel:DWORD dst_unused:UNUSED_PAD src0_sel:DWORD src1_sel:WORD_1
	v_bfrev_b32_e32 v52, 60
	v_lshlrev_b32_e32 v50, 20, v50
	v_and_b32_e32 v51, 0x80000000, v51
	v_lshl_add_u32 v42, v42, 23, v52
	v_or3_b32 v50, v51, v42, v50
.LBB563_27:
	s_or_b64 exec, exec, s[10:11]
.LBB563_28:
	s_or_b64 exec, exec, s[8:9]
.LBB563_29:
	s_or_b64 exec, exec, s[2:3]
	s_mov_b32 s2, 0xffffff
	v_cmp_lt_u32_e32 vcc, s2, v30
	s_and_saveexec_b64 s[2:3], vcc
	s_cbranch_execz .LBB563_35
; %bb.30:
	v_lshrrev_b32_e32 v42, 24, v30
	s_movk_i32 s8, 0x80
	v_cmp_ne_u32_e32 vcc, s8, v42
	v_bfrev_b32_e32 v45, 1
	s_and_saveexec_b64 s[8:9], vcc
	s_cbranch_execz .LBB563_34
; %bb.31:
	v_bfe_u32 v30, v30, 24, 7
	s_movk_i32 s10, 0x7f
	v_cmp_ne_u32_e32 vcc, s10, v30
	v_mov_b32_e32 v45, 0x7f800001
	s_and_saveexec_b64 s[10:11], vcc
	s_cbranch_execz .LBB563_33
; %bb.32:
	v_and_b32_e32 v45, 7, v42
	v_ffbh_u32_e32 v52, v45
	v_min_u32_e32 v54, 32, v52
	v_subrev_u32_e32 v52, 28, v54
	v_lshlrev_b64 v[52:53], v52, v[42:43]
	v_lshrrev_b32_e32 v51, 3, v30
	v_sub_u32_e32 v53, 29, v54
	v_and_b32_e32 v52, 7, v52
	v_cmp_gt_u32_e32 vcc, 8, v30
	v_cndmask_b32_e32 v30, v51, v53, vcc
	v_cndmask_b32_e32 v45, v45, v52, vcc
	v_lshlrev_b32_e32 v42, 24, v42
	v_bfrev_b32_e32 v51, 60
	v_lshlrev_b32_e32 v45, 20, v45
	v_and_b32_e32 v42, 0x80000000, v42
	v_lshl_add_u32 v30, v30, 23, v51
	v_or3_b32 v45, v42, v30, v45
.LBB563_33:
	s_or_b64 exec, exec, s[10:11]
.LBB563_34:
	s_or_b64 exec, exec, s[8:9]
.LBB563_35:
	s_or_b64 exec, exec, s[2:3]
	v_mov_b32_e32 v42, 0
	v_cmp_ne_u16_sdwa s[8:9], v31, v42 src0_sel:BYTE_0 src1_sel:DWORD
	v_mov_b32_e32 v51, 0
	s_and_saveexec_b64 s[2:3], s[8:9]
	s_cbranch_execz .LBB563_41
; %bb.36:
	s_movk_i32 s8, 0x80
	v_cmp_ne_u16_sdwa s[10:11], v31, s8 src0_sel:BYTE_0 src1_sel:DWORD
	v_bfrev_b32_e32 v51, 1
	s_and_saveexec_b64 s[8:9], s[10:11]
	s_cbranch_execz .LBB563_40
; %bb.37:
	s_movk_i32 s10, 0x7f
	v_and_b32_e32 v30, 0x7f, v31
	v_cmp_ne_u32_e32 vcc, s10, v30
	v_mov_b32_e32 v51, 0x7f800001
	s_and_saveexec_b64 s[10:11], vcc
	s_cbranch_execz .LBB563_39
; %bb.38:
	v_and_b32_e32 v51, 7, v31
	v_ffbh_u32_e32 v53, v51
	v_min_u32_e32 v55, 32, v53
	v_mov_b32_e32 v52, v31
	v_subrev_u32_e32 v53, 28, v55
	v_lshlrev_b64 v[52:53], v53, v[52:53]
	v_lshrrev_b32_e32 v54, 3, v30
	v_sub_u32_e32 v53, 29, v55
	v_and_b32_e32 v52, 7, v52
	v_cmp_gt_u32_e32 vcc, 8, v30
	v_cndmask_b32_e32 v30, v54, v53, vcc
	v_cndmask_b32_e32 v51, v51, v52, vcc
	v_lshlrev_b32_e32 v52, 24, v31
	v_bfrev_b32_e32 v53, 60
	v_lshlrev_b32_e32 v51, 20, v51
	v_and_b32_e32 v52, 0x80000000, v52
	v_lshl_add_u32 v30, v30, 23, v53
	v_or3_b32 v51, v52, v30, v51
.LBB563_39:
	s_or_b64 exec, exec, s[10:11]
.LBB563_40:
	s_or_b64 exec, exec, s[8:9]
.LBB563_41:
	s_or_b64 exec, exec, s[2:3]
	v_lshrrev_b16_e32 v30, 8, v31
	v_cmp_ne_u16_e32 vcc, 0, v30
	s_and_saveexec_b64 s[2:3], vcc
	s_cbranch_execz .LBB563_47
; %bb.42:
	s_movk_i32 s8, 0x80
	v_cmp_ne_u16_e32 vcc, s8, v30
	v_bfrev_b32_e32 v42, 1
	s_and_saveexec_b64 s[8:9], vcc
	s_cbranch_execz .LBB563_46
; %bb.43:
	s_movk_i32 s10, 0x7f
	v_and_b32_e32 v52, 0x7f, v30
	v_cmp_ne_u32_e32 vcc, s10, v52
	v_mov_b32_e32 v42, 0x7f800001
	s_and_saveexec_b64 s[10:11], vcc
	s_cbranch_execz .LBB563_45
; %bb.44:
	v_and_b32_e32 v42, 7, v30
	v_ffbh_u32_e32 v54, v42
	v_min_u32_e32 v56, 32, v54
	v_subrev_u32_e32 v54, 28, v56
	v_lshlrev_b64 v[54:55], v54, v[30:31]
	v_lshrrev_b32_e32 v53, 3, v52
	v_sub_u32_e32 v30, 29, v56
	v_and_b32_e32 v54, 7, v54
	v_cmp_gt_u32_e32 vcc, 8, v52
	v_cndmask_b32_e32 v30, v53, v30, vcc
	v_cndmask_b32_e32 v42, v42, v54, vcc
	v_lshlrev_b32_e32 v52, 16, v31
	v_bfrev_b32_e32 v53, 60
	v_lshlrev_b32_e32 v42, 20, v42
	v_and_b32_e32 v52, 0x80000000, v52
	v_lshl_add_u32 v30, v30, 23, v53
	v_or3_b32 v42, v52, v30, v42
.LBB563_45:
	s_or_b64 exec, exec, s[10:11]
.LBB563_46:
	s_or_b64 exec, exec, s[8:9]
.LBB563_47:
	s_or_b64 exec, exec, s[2:3]
	s_movk_i32 s2, 0xff
	v_and_b32_sdwa v54, v31, s2 dst_sel:DWORD dst_unused:UNUSED_PAD src0_sel:WORD_1 src1_sel:DWORD
	v_lshrrev_b32_e32 v30, 16, v31
	v_cmp_ne_u16_e32 vcc, 0, v54
	v_mov_b32_e32 v52, 0
	v_mov_b32_e32 v53, 0
	s_and_saveexec_b64 s[2:3], vcc
	s_cbranch_execz .LBB563_53
; %bb.48:
	s_movk_i32 s8, 0x80
	v_cmp_ne_u16_e32 vcc, s8, v54
	v_bfrev_b32_e32 v53, 1
	s_and_saveexec_b64 s[8:9], vcc
	s_cbranch_execz .LBB563_52
; %bb.49:
	v_bfe_u32 v54, v31, 16, 7
	s_movk_i32 s10, 0x7f
	v_cmp_ne_u32_e32 vcc, s10, v54
	v_mov_b32_e32 v53, 0x7f800001
	s_and_saveexec_b64 s[10:11], vcc
	s_cbranch_execz .LBB563_51
; %bb.50:
	v_and_b32_e32 v53, 7, v30
	v_ffbh_u32_e32 v56, v53
	v_min_u32_e32 v58, 32, v56
	v_subrev_u32_e32 v56, 28, v58
	v_lshlrev_b64 v[56:57], v56, v[30:31]
	v_lshrrev_b32_e32 v55, 3, v54
	v_sub_u32_e32 v30, 29, v58
	v_and_b32_e32 v56, 7, v56
	v_cmp_gt_u32_e32 vcc, 8, v54
	v_mov_b32_e32 v54, 24
	v_cndmask_b32_e32 v30, v55, v30, vcc
	v_cndmask_b32_e32 v53, v53, v56, vcc
	v_lshlrev_b32_sdwa v54, v54, v31 dst_sel:DWORD dst_unused:UNUSED_PAD src0_sel:DWORD src1_sel:WORD_1
	v_bfrev_b32_e32 v55, 60
	v_lshlrev_b32_e32 v53, 20, v53
	v_and_b32_e32 v54, 0x80000000, v54
	v_lshl_add_u32 v30, v30, 23, v55
	v_or3_b32 v53, v54, v30, v53
.LBB563_51:
	s_or_b64 exec, exec, s[10:11]
.LBB563_52:
	s_or_b64 exec, exec, s[8:9]
.LBB563_53:
	s_or_b64 exec, exec, s[2:3]
	s_mov_b32 s2, 0xffffff
	v_cmp_lt_u32_e32 vcc, s2, v31
	s_and_saveexec_b64 s[2:3], vcc
	s_cbranch_execz .LBB563_59
; %bb.54:
	v_lshrrev_b32_e32 v30, 24, v31
	s_movk_i32 s8, 0x80
	v_cmp_ne_u32_e32 vcc, s8, v30
	v_bfrev_b32_e32 v52, 1
	s_and_saveexec_b64 s[8:9], vcc
	s_cbranch_execz .LBB563_58
; %bb.55:
	v_bfe_u32 v31, v31, 24, 7
	s_movk_i32 s10, 0x7f
	v_cmp_ne_u32_e32 vcc, s10, v31
	v_mov_b32_e32 v52, 0x7f800001
	s_and_saveexec_b64 s[10:11], vcc
	s_cbranch_execz .LBB563_57
; %bb.56:
	v_and_b32_e32 v52, 7, v30
	v_ffbh_u32_e32 v54, v52
	v_min_u32_e32 v57, 32, v54
	v_subrev_u32_e32 v54, 28, v57
	v_lshlrev_b64 v[54:55], v54, v[30:31]
	v_lshrrev_b32_e32 v56, 3, v31
	v_sub_u32_e32 v55, 29, v57
	v_and_b32_e32 v54, 7, v54
	v_cmp_gt_u32_e32 vcc, 8, v31
	v_cndmask_b32_e32 v31, v56, v55, vcc
	v_cndmask_b32_e32 v52, v52, v54, vcc
	v_lshlrev_b32_e32 v30, 24, v30
	v_bfrev_b32_e32 v54, 60
	v_lshlrev_b32_e32 v52, 20, v52
	v_and_b32_e32 v30, 0x80000000, v30
	v_lshl_add_u32 v31, v31, 23, v54
	v_or3_b32 v52, v30, v31, v52
.LBB563_57:
	s_or_b64 exec, exec, s[10:11]
.LBB563_58:
	s_or_b64 exec, exec, s[8:9]
.LBB563_59:
	s_or_b64 exec, exec, s[2:3]
	v_cvt_pkrtz_f16_f32 v30, v44, v43
	v_cvt_pkrtz_f16_f32 v31, v50, v45
	;; [unrolled: 1-line block ×4, first 2 shown]
	v_mov_b32_e32 v51, 0
	s_waitcnt lgkmcnt(0)
	v_mfma_f32_16x16x16f16 v[54:57], v[30:31], v[26:27], 0
	v_mov_b32_e32 v31, 0
	v_cmp_ne_u16_sdwa s[8:9], v32, v31 src0_sel:BYTE_0 src1_sel:DWORD
	v_mfma_f32_16x16x16f16 v[42:45], v[42:43], v[28:29], v[54:57]
	s_and_saveexec_b64 s[2:3], s[8:9]
	s_cbranch_execz .LBB563_65
; %bb.60:
	s_movk_i32 s8, 0x80
	v_cmp_ne_u16_sdwa s[10:11], v32, s8 src0_sel:BYTE_0 src1_sel:DWORD
	v_bfrev_b32_e32 v51, 1
	s_and_saveexec_b64 s[8:9], s[10:11]
	s_cbranch_execz .LBB563_64
; %bb.61:
	s_movk_i32 s10, 0x7f
	v_and_b32_e32 v30, 0x7f, v32
	v_cmp_ne_u32_e32 vcc, s10, v30
	v_mov_b32_e32 v51, 0x7f800001
	s_and_saveexec_b64 s[10:11], vcc
	s_cbranch_execz .LBB563_63
; %bb.62:
	v_and_b32_e32 v52, 7, v32
	v_ffbh_u32_e32 v50, v52
	v_min_u32_e32 v54, 32, v50
	v_subrev_u32_e32 v50, 28, v54
	v_lshlrev_b64 v[50:51], v50, v[32:33]
	v_lshrrev_b32_e32 v53, 3, v30
	v_sub_u32_e32 v51, 29, v54
	v_and_b32_e32 v50, 7, v50
	v_cmp_gt_u32_e32 vcc, 8, v30
	v_cndmask_b32_e32 v30, v53, v51, vcc
	v_cndmask_b32_e32 v50, v52, v50, vcc
	v_lshlrev_b32_e32 v51, 24, v32
	v_bfrev_b32_e32 v52, 60
	v_lshlrev_b32_e32 v50, 20, v50
	v_and_b32_e32 v51, 0x80000000, v51
	v_lshl_add_u32 v30, v30, 23, v52
	v_or3_b32 v51, v51, v30, v50
.LBB563_63:
	s_or_b64 exec, exec, s[10:11]
.LBB563_64:
	s_or_b64 exec, exec, s[8:9]
.LBB563_65:
	s_or_b64 exec, exec, s[2:3]
	v_lshrrev_b16_e32 v30, 8, v32
	v_cmp_ne_u16_e32 vcc, 0, v30
	v_mov_b32_e32 v52, 0
	s_and_saveexec_b64 s[2:3], vcc
	s_cbranch_execz .LBB563_71
; %bb.66:
	s_movk_i32 s8, 0x80
	v_cmp_ne_u16_e32 vcc, s8, v30
	v_bfrev_b32_e32 v52, 1
	s_and_saveexec_b64 s[8:9], vcc
	s_cbranch_execz .LBB563_70
; %bb.67:
	s_movk_i32 s10, 0x7f
	v_and_b32_e32 v50, 0x7f, v30
	v_cmp_ne_u32_e32 vcc, s10, v50
	v_mov_b32_e32 v52, 0x7f800001
	s_and_saveexec_b64 s[10:11], vcc
	s_cbranch_execz .LBB563_69
; %bb.68:
	v_and_b32_e32 v54, 7, v30
	v_ffbh_u32_e32 v52, v54
	v_min_u32_e32 v56, 32, v52
	v_subrev_u32_e32 v52, 28, v56
	v_lshlrev_b64 v[52:53], v52, v[30:31]
	v_lshrrev_b32_e32 v55, 3, v50
	v_sub_u32_e32 v30, 29, v56
	v_and_b32_e32 v52, 7, v52
	v_cmp_gt_u32_e32 vcc, 8, v50
	v_cndmask_b32_e32 v30, v55, v30, vcc
	v_cndmask_b32_e32 v50, v54, v52, vcc
	v_lshlrev_b32_e32 v52, 16, v32
	v_bfrev_b32_e32 v53, 60
	v_lshlrev_b32_e32 v50, 20, v50
	v_and_b32_e32 v52, 0x80000000, v52
	v_lshl_add_u32 v30, v30, 23, v53
	v_or3_b32 v52, v52, v30, v50
.LBB563_69:
	s_or_b64 exec, exec, s[10:11]
.LBB563_70:
	s_or_b64 exec, exec, s[8:9]
.LBB563_71:
	s_or_b64 exec, exec, s[2:3]
	s_movk_i32 s2, 0xff
	v_and_b32_sdwa v50, v32, s2 dst_sel:DWORD dst_unused:UNUSED_PAD src0_sel:WORD_1 src1_sel:DWORD
	v_lshrrev_b32_e32 v30, 16, v32
	v_cmp_ne_u16_e32 vcc, 0, v50
	s_and_saveexec_b64 s[2:3], vcc
	s_cbranch_execz .LBB563_77
; %bb.72:
	s_movk_i32 s8, 0x80
	v_cmp_ne_u16_e32 vcc, s8, v50
	v_bfrev_b32_e32 v31, 1
	s_and_saveexec_b64 s[8:9], vcc
	s_cbranch_execz .LBB563_76
; %bb.73:
	v_bfe_u32 v50, v32, 16, 7
	s_movk_i32 s10, 0x7f
	v_cmp_ne_u32_e32 vcc, s10, v50
	v_mov_b32_e32 v31, 0x7f800001
	s_and_saveexec_b64 s[10:11], vcc
	s_cbranch_execz .LBB563_75
; %bb.74:
	v_and_b32_e32 v53, 7, v30
	v_ffbh_u32_e32 v31, v53
	v_min_u32_e32 v55, 32, v31
	v_subrev_u32_e32 v31, 28, v55
	v_lshlrev_b64 v[30:31], v31, v[30:31]
	v_lshrrev_b32_e32 v54, 3, v50
	v_sub_u32_e32 v31, 29, v55
	v_and_b32_e32 v30, 7, v30
	v_cmp_gt_u32_e32 vcc, 8, v50
	v_mov_b32_e32 v50, 24
	v_cndmask_b32_e32 v31, v54, v31, vcc
	v_cndmask_b32_e32 v30, v53, v30, vcc
	v_lshlrev_b32_sdwa v50, v50, v32 dst_sel:DWORD dst_unused:UNUSED_PAD src0_sel:DWORD src1_sel:WORD_1
	v_bfrev_b32_e32 v53, 60
	v_lshlrev_b32_e32 v30, 20, v30
	v_and_b32_e32 v50, 0x80000000, v50
	v_lshl_add_u32 v31, v31, 23, v53
	v_or3_b32 v31, v50, v31, v30
.LBB563_75:
	s_or_b64 exec, exec, s[10:11]
.LBB563_76:
	s_or_b64 exec, exec, s[8:9]
.LBB563_77:
	s_or_b64 exec, exec, s[2:3]
	s_mov_b32 s2, 0xffffff
	v_cmp_lt_u32_e32 vcc, s2, v32
	v_mov_b32_e32 v53, 0
	v_mov_b32_e32 v54, 0
	s_and_saveexec_b64 s[2:3], vcc
	s_cbranch_execz .LBB563_83
; %bb.78:
	v_lshrrev_b32_e32 v30, 24, v32
	s_movk_i32 s8, 0x80
	v_cmp_ne_u32_e32 vcc, s8, v30
	v_bfrev_b32_e32 v54, 1
	s_and_saveexec_b64 s[8:9], vcc
	s_cbranch_execz .LBB563_82
; %bb.79:
	v_bfe_u32 v32, v32, 24, 7
	s_movk_i32 s10, 0x7f
	v_cmp_ne_u32_e32 vcc, s10, v32
	v_mov_b32_e32 v54, 0x7f800001
	s_and_saveexec_b64 s[10:11], vcc
	s_cbranch_execz .LBB563_81
; %bb.80:
	v_and_b32_e32 v50, 7, v30
	v_ffbh_u32_e32 v54, v50
	v_min_u32_e32 v57, 32, v54
	v_subrev_u32_e32 v54, 28, v57
	v_lshlrev_b64 v[54:55], v54, v[30:31]
	v_lshrrev_b32_e32 v56, 3, v32
	v_sub_u32_e32 v55, 29, v57
	v_and_b32_e32 v54, 7, v54
	v_cmp_gt_u32_e32 vcc, 8, v32
	v_cndmask_b32_e32 v32, v56, v55, vcc
	v_cndmask_b32_e32 v50, v50, v54, vcc
	v_lshlrev_b32_e32 v30, 24, v30
	v_bfrev_b32_e32 v54, 60
	v_lshlrev_b32_e32 v50, 20, v50
	v_and_b32_e32 v30, 0x80000000, v30
	v_lshl_add_u32 v32, v32, 23, v54
	v_or3_b32 v54, v30, v32, v50
.LBB563_81:
	s_or_b64 exec, exec, s[10:11]
.LBB563_82:
	s_or_b64 exec, exec, s[8:9]
.LBB563_83:
	s_or_b64 exec, exec, s[2:3]
	v_cmp_ne_u16_sdwa s[8:9], v33, v53 src0_sel:BYTE_0 src1_sel:DWORD
	s_and_saveexec_b64 s[2:3], s[8:9]
	s_cbranch_execz .LBB563_89
; %bb.84:
	s_movk_i32 s8, 0x80
	v_cmp_ne_u16_sdwa s[10:11], v33, s8 src0_sel:BYTE_0 src1_sel:DWORD
	v_bfrev_b32_e32 v53, 1
	s_and_saveexec_b64 s[8:9], s[10:11]
	s_cbranch_execz .LBB563_88
; %bb.85:
	s_movk_i32 s10, 0x7f
	v_and_b32_e32 v30, 0x7f, v33
	v_cmp_ne_u32_e32 vcc, s10, v30
	v_mov_b32_e32 v53, 0x7f800001
	s_and_saveexec_b64 s[10:11], vcc
	s_cbranch_execz .LBB563_87
; %bb.86:
	v_and_b32_e32 v50, 7, v33
	v_ffbh_u32_e32 v55, v50
	v_min_u32_e32 v55, 32, v55
	v_mov_b32_e32 v32, v33
	v_subrev_u32_e32 v56, 28, v55
	v_lshlrev_b64 v[56:57], v56, v[32:33]
	v_lshrrev_b32_e32 v53, 3, v30
	v_sub_u32_e32 v32, 29, v55
	v_and_b32_e32 v55, 7, v56
	v_cmp_gt_u32_e32 vcc, 8, v30
	v_cndmask_b32_e32 v30, v53, v32, vcc
	v_cndmask_b32_e32 v32, v50, v55, vcc
	v_lshlrev_b32_e32 v50, 24, v33
	v_bfrev_b32_e32 v53, 60
	v_lshlrev_b32_e32 v32, 20, v32
	v_and_b32_e32 v50, 0x80000000, v50
	v_lshl_add_u32 v30, v30, 23, v53
	v_or3_b32 v53, v50, v30, v32
.LBB563_87:
	s_or_b64 exec, exec, s[10:11]
.LBB563_88:
	s_or_b64 exec, exec, s[8:9]
.LBB563_89:
	s_or_b64 exec, exec, s[2:3]
	v_lshrrev_b16_e32 v30, 8, v33
	v_cmp_ne_u16_e32 vcc, 0, v30
	v_mov_b32_e32 v32, 0
	v_mov_b32_e32 v55, 0
	s_and_saveexec_b64 s[2:3], vcc
	s_cbranch_execz .LBB563_95
; %bb.90:
	s_movk_i32 s8, 0x80
	v_cmp_ne_u16_e32 vcc, s8, v30
	v_bfrev_b32_e32 v55, 1
	s_and_saveexec_b64 s[8:9], vcc
	s_cbranch_execz .LBB563_94
; %bb.91:
	s_movk_i32 s10, 0x7f
	v_and_b32_e32 v50, 0x7f, v30
	v_cmp_ne_u32_e32 vcc, s10, v50
	v_mov_b32_e32 v55, 0x7f800001
	s_and_saveexec_b64 s[10:11], vcc
	s_cbranch_execz .LBB563_93
; %bb.92:
	v_and_b32_e32 v55, 7, v30
	v_ffbh_u32_e32 v56, v55
	v_min_u32_e32 v59, 32, v56
	v_subrev_u32_e32 v56, 28, v59
	v_lshlrev_b64 v[56:57], v56, v[30:31]
	v_lshrrev_b32_e32 v58, 3, v50
	v_sub_u32_e32 v30, 29, v59
	v_and_b32_e32 v56, 7, v56
	v_cmp_gt_u32_e32 vcc, 8, v50
	v_cndmask_b32_e32 v30, v58, v30, vcc
	v_cndmask_b32_e32 v50, v55, v56, vcc
	v_lshlrev_b32_e32 v55, 16, v33
	v_bfrev_b32_e32 v56, 60
	v_lshlrev_b32_e32 v50, 20, v50
	v_and_b32_e32 v55, 0x80000000, v55
	v_lshl_add_u32 v30, v30, 23, v56
	v_or3_b32 v55, v55, v30, v50
.LBB563_93:
	s_or_b64 exec, exec, s[10:11]
.LBB563_94:
	s_or_b64 exec, exec, s[8:9]
.LBB563_95:
	s_or_b64 exec, exec, s[2:3]
	s_movk_i32 s2, 0xff
	v_and_b32_sdwa v50, v33, s2 dst_sel:DWORD dst_unused:UNUSED_PAD src0_sel:WORD_1 src1_sel:DWORD
	v_lshrrev_b32_e32 v30, 16, v33
	v_cmp_ne_u16_e32 vcc, 0, v50
	s_and_saveexec_b64 s[2:3], vcc
	s_cbranch_execz .LBB563_101
; %bb.96:
	s_movk_i32 s8, 0x80
	v_cmp_ne_u16_e32 vcc, s8, v50
	v_bfrev_b32_e32 v32, 1
	s_and_saveexec_b64 s[8:9], vcc
	s_cbranch_execz .LBB563_100
; %bb.97:
	v_bfe_u32 v50, v33, 16, 7
	s_movk_i32 s10, 0x7f
	v_cmp_ne_u32_e32 vcc, s10, v50
	v_mov_b32_e32 v32, 0x7f800001
	s_and_saveexec_b64 s[10:11], vcc
	s_cbranch_execz .LBB563_99
; %bb.98:
	v_and_b32_e32 v32, 7, v30
	v_ffbh_u32_e32 v56, v32
	v_min_u32_e32 v59, 32, v56
	v_subrev_u32_e32 v56, 28, v59
	v_lshlrev_b64 v[56:57], v56, v[30:31]
	v_lshrrev_b32_e32 v58, 3, v50
	v_sub_u32_e32 v30, 29, v59
	v_and_b32_e32 v56, 7, v56
	v_cmp_gt_u32_e32 vcc, 8, v50
	v_mov_b32_e32 v50, 24
	v_cndmask_b32_e32 v30, v58, v30, vcc
	v_cndmask_b32_e32 v32, v32, v56, vcc
	v_lshlrev_b32_sdwa v50, v50, v33 dst_sel:DWORD dst_unused:UNUSED_PAD src0_sel:DWORD src1_sel:WORD_1
	v_bfrev_b32_e32 v56, 60
	v_lshlrev_b32_e32 v32, 20, v32
	v_and_b32_e32 v50, 0x80000000, v50
	v_lshl_add_u32 v30, v30, 23, v56
	v_or3_b32 v32, v50, v30, v32
.LBB563_99:
	s_or_b64 exec, exec, s[10:11]
.LBB563_100:
	s_or_b64 exec, exec, s[8:9]
.LBB563_101:
	s_or_b64 exec, exec, s[2:3]
	s_mov_b32 s2, 0xffffff
	v_cmp_lt_u32_e32 vcc, s2, v33
	v_mov_b32_e32 v50, 0
	v_mov_b32_e32 v56, 0
	s_and_saveexec_b64 s[2:3], vcc
	s_cbranch_execz .LBB563_107
; %bb.102:
	v_lshrrev_b32_e32 v30, 24, v33
	s_movk_i32 s8, 0x80
	v_cmp_ne_u32_e32 vcc, s8, v30
	v_bfrev_b32_e32 v56, 1
	s_and_saveexec_b64 s[8:9], vcc
	s_cbranch_execz .LBB563_106
; %bb.103:
	v_bfe_u32 v33, v33, 24, 7
	s_movk_i32 s10, 0x7f
	v_cmp_ne_u32_e32 vcc, s10, v33
	v_mov_b32_e32 v56, 0x7f800001
	s_and_saveexec_b64 s[10:11], vcc
	s_cbranch_execz .LBB563_105
; %bb.104:
	v_and_b32_e32 v58, 7, v30
	v_ffbh_u32_e32 v56, v58
	v_min_u32_e32 v60, 32, v56
	v_subrev_u32_e32 v56, 28, v60
	v_lshlrev_b64 v[56:57], v56, v[30:31]
	v_lshrrev_b32_e32 v59, 3, v33
	v_sub_u32_e32 v57, 29, v60
	v_and_b32_e32 v56, 7, v56
	v_cmp_gt_u32_e32 vcc, 8, v33
	v_cndmask_b32_e32 v33, v59, v57, vcc
	v_cndmask_b32_e32 v56, v58, v56, vcc
	v_lshlrev_b32_e32 v30, 24, v30
	v_bfrev_b32_e32 v57, 60
	v_lshlrev_b32_e32 v56, 20, v56
	v_and_b32_e32 v30, 0x80000000, v30
	v_lshl_add_u32 v33, v33, 23, v57
	v_or3_b32 v56, v30, v33, v56
.LBB563_105:
	s_or_b64 exec, exec, s[10:11]
.LBB563_106:
	s_or_b64 exec, exec, s[8:9]
.LBB563_107:
	s_or_b64 exec, exec, s[2:3]
	v_cvt_pkrtz_f16_f32 v30, v51, v52
	v_cvt_pkrtz_f16_f32 v31, v31, v54
	s_waitcnt vmcnt(6)
	v_cmp_ne_u16_sdwa s[8:9], v38, v50 src0_sel:BYTE_0 src1_sel:DWORD
	v_mfma_f32_16x16x16f16 v[42:45], v[30:31], v[18:19], v[42:45]
	v_cvt_pkrtz_f16_f32 v30, v53, v55
	v_cvt_pkrtz_f16_f32 v31, v32, v56
	s_nop 1
	v_mfma_f32_16x16x16f16 v[30:33], v[30:31], v[20:21], v[42:45]
	s_and_saveexec_b64 s[2:3], s[8:9]
	s_cbranch_execz .LBB563_113
; %bb.108:
	s_movk_i32 s8, 0x80
	v_cmp_ne_u16_sdwa s[10:11], v38, s8 src0_sel:BYTE_0 src1_sel:DWORD
	v_bfrev_b32_e32 v50, 1
	s_and_saveexec_b64 s[8:9], s[10:11]
	s_cbranch_execz .LBB563_112
; %bb.109:
	s_movk_i32 s10, 0x7f
	v_and_b32_e32 v42, 0x7f, v38
	v_cmp_ne_u32_e32 vcc, s10, v42
	v_mov_b32_e32 v50, 0x7f800001
	s_and_saveexec_b64 s[10:11], vcc
	s_cbranch_execz .LBB563_111
; %bb.110:
	v_and_b32_e32 v43, 7, v38
	v_ffbh_u32_e32 v44, v43
	v_min_u32_e32 v51, 32, v44
	v_subrev_u32_e32 v44, 28, v51
	v_lshlrev_b64 v[44:45], v44, v[38:39]
	v_lshrrev_b32_e32 v50, 3, v42
	v_sub_u32_e32 v45, 29, v51
	v_and_b32_e32 v44, 7, v44
	v_cmp_gt_u32_e32 vcc, 8, v42
	v_cndmask_b32_e32 v42, v50, v45, vcc
	v_cndmask_b32_e32 v43, v43, v44, vcc
	v_lshlrev_b32_e32 v44, 24, v38
	v_bfrev_b32_e32 v45, 60
	v_lshlrev_b32_e32 v43, 20, v43
	v_and_b32_e32 v44, 0x80000000, v44
	v_lshl_add_u32 v42, v42, 23, v45
	v_or3_b32 v50, v44, v42, v43
.LBB563_111:
	s_or_b64 exec, exec, s[10:11]
.LBB563_112:
	s_or_b64 exec, exec, s[8:9]
.LBB563_113:
	s_or_b64 exec, exec, s[2:3]
	s_nop 3
	v_lshrrev_b16_e32 v42, 8, v38
	v_cmp_ne_u16_e32 vcc, 0, v42
	v_mov_b32_e32 v43, 0
	v_mov_b32_e32 v44, 0
	s_and_saveexec_b64 s[2:3], vcc
	s_cbranch_execz .LBB563_119
; %bb.114:
	s_movk_i32 s8, 0x80
	v_cmp_ne_u16_e32 vcc, s8, v42
	v_bfrev_b32_e32 v44, 1
	s_and_saveexec_b64 s[8:9], vcc
	s_cbranch_execz .LBB563_118
; %bb.115:
	s_movk_i32 s10, 0x7f
	v_and_b32_e32 v45, 0x7f, v42
	v_cmp_ne_u32_e32 vcc, s10, v45
	v_mov_b32_e32 v44, 0x7f800001
	s_and_saveexec_b64 s[10:11], vcc
	s_cbranch_execz .LBB563_117
; %bb.116:
	v_and_b32_e32 v44, 7, v42
	v_ffbh_u32_e32 v52, v44
	v_min_u32_e32 v54, 32, v52
	v_subrev_u32_e32 v52, 28, v54
	v_lshlrev_b64 v[52:53], v52, v[42:43]
	v_lshrrev_b32_e32 v51, 3, v45
	v_sub_u32_e32 v42, 29, v54
	v_and_b32_e32 v52, 7, v52
	v_cmp_gt_u32_e32 vcc, 8, v45
	v_cndmask_b32_e32 v42, v51, v42, vcc
	v_cndmask_b32_e32 v44, v44, v52, vcc
	v_lshlrev_b32_e32 v45, 16, v38
	v_bfrev_b32_e32 v51, 60
	v_lshlrev_b32_e32 v44, 20, v44
	v_and_b32_e32 v45, 0x80000000, v45
	v_lshl_add_u32 v42, v42, 23, v51
	v_or3_b32 v44, v45, v42, v44
.LBB563_117:
	s_or_b64 exec, exec, s[10:11]
.LBB563_118:
	s_or_b64 exec, exec, s[8:9]
.LBB563_119:
	s_or_b64 exec, exec, s[2:3]
	s_movk_i32 s2, 0xff
	v_and_b32_sdwa v45, v38, s2 dst_sel:DWORD dst_unused:UNUSED_PAD src0_sel:WORD_1 src1_sel:DWORD
	v_lshrrev_b32_e32 v42, 16, v38
	v_cmp_ne_u16_e32 vcc, 0, v45
	s_and_saveexec_b64 s[2:3], vcc
	s_cbranch_execz .LBB563_125
; %bb.120:
	s_movk_i32 s8, 0x80
	v_cmp_ne_u16_e32 vcc, s8, v45
	v_bfrev_b32_e32 v43, 1
	s_and_saveexec_b64 s[8:9], vcc
	s_cbranch_execz .LBB563_124
; %bb.121:
	v_bfe_u32 v45, v38, 16, 7
	s_movk_i32 s10, 0x7f
	v_cmp_ne_u32_e32 vcc, s10, v45
	v_mov_b32_e32 v43, 0x7f800001
	s_and_saveexec_b64 s[10:11], vcc
	s_cbranch_execz .LBB563_123
; %bb.122:
	v_and_b32_e32 v51, 7, v42
	v_ffbh_u32_e32 v43, v51
	v_min_u32_e32 v53, 32, v43
	v_subrev_u32_e32 v43, 28, v53
	v_lshlrev_b64 v[42:43], v43, v[42:43]
	v_lshrrev_b32_e32 v52, 3, v45
	v_sub_u32_e32 v43, 29, v53
	v_and_b32_e32 v42, 7, v42
	v_cmp_gt_u32_e32 vcc, 8, v45
	v_mov_b32_e32 v45, 24
	v_cndmask_b32_e32 v43, v52, v43, vcc
	v_cndmask_b32_e32 v42, v51, v42, vcc
	v_lshlrev_b32_sdwa v45, v45, v38 dst_sel:DWORD dst_unused:UNUSED_PAD src0_sel:DWORD src1_sel:WORD_1
	v_bfrev_b32_e32 v51, 60
	v_lshlrev_b32_e32 v42, 20, v42
	v_and_b32_e32 v45, 0x80000000, v45
	v_lshl_add_u32 v43, v43, 23, v51
	v_or3_b32 v43, v45, v43, v42
.LBB563_123:
	s_or_b64 exec, exec, s[10:11]
.LBB563_124:
	s_or_b64 exec, exec, s[8:9]
.LBB563_125:
	s_or_b64 exec, exec, s[2:3]
	s_mov_b32 s2, 0xffffff
	v_cmp_lt_u32_e32 vcc, s2, v38
	v_mov_b32_e32 v45, 0
	v_mov_b32_e32 v52, 0
	s_and_saveexec_b64 s[2:3], vcc
	s_cbranch_execz .LBB563_131
; %bb.126:
	v_lshrrev_b32_e32 v42, 24, v38
	s_movk_i32 s8, 0x80
	v_cmp_ne_u32_e32 vcc, s8, v42
	v_bfrev_b32_e32 v52, 1
	s_and_saveexec_b64 s[8:9], vcc
	s_cbranch_execz .LBB563_130
; %bb.127:
	v_bfe_u32 v38, v38, 24, 7
	s_movk_i32 s10, 0x7f
	v_cmp_ne_u32_e32 vcc, s10, v38
	v_mov_b32_e32 v52, 0x7f800001
	s_and_saveexec_b64 s[10:11], vcc
	s_cbranch_execz .LBB563_129
; %bb.128:
	v_and_b32_e32 v51, 7, v42
	v_ffbh_u32_e32 v52, v51
	v_min_u32_e32 v55, 32, v52
	v_subrev_u32_e32 v52, 28, v55
	v_lshlrev_b64 v[52:53], v52, v[42:43]
	v_lshrrev_b32_e32 v54, 3, v38
	v_sub_u32_e32 v53, 29, v55
	v_and_b32_e32 v52, 7, v52
	v_cmp_gt_u32_e32 vcc, 8, v38
	v_cndmask_b32_e32 v38, v54, v53, vcc
	v_cndmask_b32_e32 v51, v51, v52, vcc
	v_lshlrev_b32_e32 v42, 24, v42
	v_bfrev_b32_e32 v52, 60
	v_lshlrev_b32_e32 v51, 20, v51
	v_and_b32_e32 v42, 0x80000000, v42
	v_lshl_add_u32 v38, v38, 23, v52
	v_or3_b32 v52, v42, v38, v51
.LBB563_129:
	s_or_b64 exec, exec, s[10:11]
.LBB563_130:
	s_or_b64 exec, exec, s[8:9]
.LBB563_131:
	s_or_b64 exec, exec, s[2:3]
	v_cmp_ne_u16_sdwa s[8:9], v39, v45 src0_sel:BYTE_0 src1_sel:DWORD
	s_and_saveexec_b64 s[2:3], s[8:9]
	s_cbranch_execz .LBB563_137
; %bb.132:
	s_movk_i32 s8, 0x80
	v_cmp_ne_u16_sdwa s[10:11], v39, s8 src0_sel:BYTE_0 src1_sel:DWORD
	v_bfrev_b32_e32 v45, 1
	s_and_saveexec_b64 s[8:9], s[10:11]
	s_cbranch_execz .LBB563_136
; %bb.133:
	s_movk_i32 s10, 0x7f
	v_and_b32_e32 v38, 0x7f, v39
	v_cmp_ne_u32_e32 vcc, s10, v38
	v_mov_b32_e32 v45, 0x7f800001
	s_and_saveexec_b64 s[10:11], vcc
	s_cbranch_execz .LBB563_135
; %bb.134:
	v_and_b32_e32 v45, 7, v39
	v_ffbh_u32_e32 v53, v45
	v_min_u32_e32 v53, 32, v53
	v_mov_b32_e32 v42, v39
	v_subrev_u32_e32 v54, 28, v53
	v_lshlrev_b64 v[54:55], v54, v[42:43]
	v_lshrrev_b32_e32 v51, 3, v38
	v_sub_u32_e32 v42, 29, v53
	v_and_b32_e32 v53, 7, v54
	v_cmp_gt_u32_e32 vcc, 8, v38
	v_cndmask_b32_e32 v38, v51, v42, vcc
	v_cndmask_b32_e32 v42, v45, v53, vcc
	v_lshlrev_b32_e32 v45, 24, v39
	v_bfrev_b32_e32 v51, 60
	v_lshlrev_b32_e32 v42, 20, v42
	v_and_b32_e32 v45, 0x80000000, v45
	v_lshl_add_u32 v38, v38, 23, v51
	v_or3_b32 v45, v45, v38, v42
.LBB563_135:
	s_or_b64 exec, exec, s[10:11]
.LBB563_136:
	s_or_b64 exec, exec, s[8:9]
.LBB563_137:
	s_or_b64 exec, exec, s[2:3]
	v_lshrrev_b16_e32 v38, 8, v39
	v_cmp_ne_u16_e32 vcc, 0, v38
	v_mov_b32_e32 v42, 0
	v_mov_b32_e32 v53, 0
	s_and_saveexec_b64 s[2:3], vcc
	s_cbranch_execz .LBB563_143
; %bb.138:
	s_movk_i32 s8, 0x80
	v_cmp_ne_u16_e32 vcc, s8, v38
	v_bfrev_b32_e32 v53, 1
	s_and_saveexec_b64 s[8:9], vcc
	s_cbranch_execz .LBB563_142
; %bb.139:
	s_movk_i32 s10, 0x7f
	v_and_b32_e32 v51, 0x7f, v38
	v_cmp_ne_u32_e32 vcc, s10, v51
	v_mov_b32_e32 v53, 0x7f800001
	s_and_saveexec_b64 s[10:11], vcc
	s_cbranch_execz .LBB563_141
; %bb.140:
	v_and_b32_e32 v53, 7, v38
	v_ffbh_u32_e32 v54, v53
	v_min_u32_e32 v57, 32, v54
	v_subrev_u32_e32 v54, 28, v57
	v_lshlrev_b64 v[54:55], v54, v[38:39]
	v_lshrrev_b32_e32 v56, 3, v51
	v_sub_u32_e32 v38, 29, v57
	v_and_b32_e32 v54, 7, v54
	v_cmp_gt_u32_e32 vcc, 8, v51
	v_cndmask_b32_e32 v38, v56, v38, vcc
	v_cndmask_b32_e32 v51, v53, v54, vcc
	v_lshlrev_b32_e32 v53, 16, v39
	v_bfrev_b32_e32 v54, 60
	v_lshlrev_b32_e32 v51, 20, v51
	v_and_b32_e32 v53, 0x80000000, v53
	v_lshl_add_u32 v38, v38, 23, v54
	v_or3_b32 v53, v53, v38, v51
.LBB563_141:
	s_or_b64 exec, exec, s[10:11]
.LBB563_142:
	s_or_b64 exec, exec, s[8:9]
.LBB563_143:
	s_or_b64 exec, exec, s[2:3]
	s_movk_i32 s2, 0xff
	v_and_b32_sdwa v51, v39, s2 dst_sel:DWORD dst_unused:UNUSED_PAD src0_sel:WORD_1 src1_sel:DWORD
	v_lshrrev_b32_e32 v38, 16, v39
	v_cmp_ne_u16_e32 vcc, 0, v51
	s_and_saveexec_b64 s[2:3], vcc
	s_cbranch_execz .LBB563_149
; %bb.144:
	s_movk_i32 s8, 0x80
	v_cmp_ne_u16_e32 vcc, s8, v51
	v_bfrev_b32_e32 v42, 1
	s_and_saveexec_b64 s[8:9], vcc
	s_cbranch_execz .LBB563_148
; %bb.145:
	v_bfe_u32 v51, v39, 16, 7
	s_movk_i32 s10, 0x7f
	v_cmp_ne_u32_e32 vcc, s10, v51
	v_mov_b32_e32 v42, 0x7f800001
	s_and_saveexec_b64 s[10:11], vcc
	s_cbranch_execz .LBB563_147
; %bb.146:
	v_and_b32_e32 v42, 7, v38
	v_ffbh_u32_e32 v54, v42
	v_min_u32_e32 v57, 32, v54
	v_subrev_u32_e32 v54, 28, v57
	v_lshlrev_b64 v[54:55], v54, v[38:39]
	v_lshrrev_b32_e32 v56, 3, v51
	v_sub_u32_e32 v38, 29, v57
	v_and_b32_e32 v54, 7, v54
	v_cmp_gt_u32_e32 vcc, 8, v51
	v_mov_b32_e32 v51, 24
	v_cndmask_b32_e32 v38, v56, v38, vcc
	v_cndmask_b32_e32 v42, v42, v54, vcc
	v_lshlrev_b32_sdwa v51, v51, v39 dst_sel:DWORD dst_unused:UNUSED_PAD src0_sel:DWORD src1_sel:WORD_1
	v_bfrev_b32_e32 v54, 60
	v_lshlrev_b32_e32 v42, 20, v42
	v_and_b32_e32 v51, 0x80000000, v51
	v_lshl_add_u32 v38, v38, 23, v54
	v_or3_b32 v42, v51, v38, v42
.LBB563_147:
	s_or_b64 exec, exec, s[10:11]
.LBB563_148:
	s_or_b64 exec, exec, s[8:9]
.LBB563_149:
	s_or_b64 exec, exec, s[2:3]
	s_mov_b32 s2, 0xffffff
	v_cmp_lt_u32_e32 vcc, s2, v39
	v_mov_b32_e32 v51, 0
	v_mov_b32_e32 v54, 0
	s_and_saveexec_b64 s[2:3], vcc
	s_cbranch_execz .LBB563_155
; %bb.150:
	v_lshrrev_b32_e32 v38, 24, v39
	s_movk_i32 s8, 0x80
	v_cmp_ne_u32_e32 vcc, s8, v38
	v_bfrev_b32_e32 v54, 1
	s_and_saveexec_b64 s[8:9], vcc
	s_cbranch_execz .LBB563_154
; %bb.151:
	v_bfe_u32 v39, v39, 24, 7
	s_movk_i32 s10, 0x7f
	v_cmp_ne_u32_e32 vcc, s10, v39
	v_mov_b32_e32 v54, 0x7f800001
	s_and_saveexec_b64 s[10:11], vcc
	s_cbranch_execz .LBB563_153
; %bb.152:
	v_and_b32_e32 v56, 7, v38
	v_ffbh_u32_e32 v54, v56
	v_min_u32_e32 v58, 32, v54
	v_subrev_u32_e32 v54, 28, v58
	v_lshlrev_b64 v[54:55], v54, v[38:39]
	v_lshrrev_b32_e32 v57, 3, v39
	v_sub_u32_e32 v55, 29, v58
	v_and_b32_e32 v54, 7, v54
	v_cmp_gt_u32_e32 vcc, 8, v39
	v_cndmask_b32_e32 v39, v57, v55, vcc
	v_cndmask_b32_e32 v54, v56, v54, vcc
	v_lshlrev_b32_e32 v38, 24, v38
	v_bfrev_b32_e32 v55, 60
	v_lshlrev_b32_e32 v54, 20, v54
	v_and_b32_e32 v38, 0x80000000, v38
	v_lshl_add_u32 v39, v39, 23, v55
	v_or3_b32 v54, v38, v39, v54
.LBB563_153:
	s_or_b64 exec, exec, s[10:11]
.LBB563_154:
	s_or_b64 exec, exec, s[8:9]
.LBB563_155:
	s_or_b64 exec, exec, s[2:3]
	v_cvt_pkrtz_f16_f32 v38, v50, v44
	v_cvt_pkrtz_f16_f32 v39, v43, v52
	v_cmp_ne_u16_sdwa s[8:9], v40, v51 src0_sel:BYTE_0 src1_sel:DWORD
	s_nop 0
	v_mfma_f32_16x16x16f16 v[56:59], v[38:39], v[26:27], 0
	v_cvt_pkrtz_f16_f32 v38, v45, v53
	v_cvt_pkrtz_f16_f32 v39, v42, v54
	s_nop 1
	v_mfma_f32_16x16x16f16 v[42:45], v[38:39], v[28:29], v[56:59]
	s_and_saveexec_b64 s[2:3], s[8:9]
	s_cbranch_execz .LBB563_161
; %bb.156:
	s_movk_i32 s8, 0x80
	v_cmp_ne_u16_sdwa s[10:11], v40, s8 src0_sel:BYTE_0 src1_sel:DWORD
	v_bfrev_b32_e32 v51, 1
	s_and_saveexec_b64 s[8:9], s[10:11]
	s_cbranch_execz .LBB563_160
; %bb.157:
	s_movk_i32 s10, 0x7f
	v_and_b32_e32 v38, 0x7f, v40
	v_cmp_ne_u32_e32 vcc, s10, v38
	v_mov_b32_e32 v51, 0x7f800001
	s_and_saveexec_b64 s[10:11], vcc
	s_cbranch_execz .LBB563_159
; %bb.158:
	v_and_b32_e32 v39, 7, v40
	v_ffbh_u32_e32 v50, v39
	v_min_u32_e32 v53, 32, v50
	v_subrev_u32_e32 v50, 28, v53
	v_lshlrev_b64 v[50:51], v50, v[40:41]
	v_lshrrev_b32_e32 v52, 3, v38
	v_sub_u32_e32 v51, 29, v53
	v_and_b32_e32 v50, 7, v50
	v_cmp_gt_u32_e32 vcc, 8, v38
	v_cndmask_b32_e32 v38, v52, v51, vcc
	v_cndmask_b32_e32 v39, v39, v50, vcc
	v_lshlrev_b32_e32 v50, 24, v40
	v_bfrev_b32_e32 v51, 60
	v_lshlrev_b32_e32 v39, 20, v39
	v_and_b32_e32 v50, 0x80000000, v50
	v_lshl_add_u32 v38, v38, 23, v51
	v_or3_b32 v51, v50, v38, v39
.LBB563_159:
	s_or_b64 exec, exec, s[10:11]
.LBB563_160:
	s_or_b64 exec, exec, s[8:9]
.LBB563_161:
	s_or_b64 exec, exec, s[2:3]
	v_lshrrev_b16_e32 v38, 8, v40
	v_cmp_ne_u16_e32 vcc, 0, v38
	v_mov_b32_e32 v39, 0
	v_mov_b32_e32 v52, 0
	s_and_saveexec_b64 s[2:3], vcc
	s_cbranch_execz .LBB563_167
; %bb.162:
	s_movk_i32 s8, 0x80
	v_cmp_ne_u16_e32 vcc, s8, v38
	v_bfrev_b32_e32 v52, 1
	s_and_saveexec_b64 s[8:9], vcc
	s_cbranch_execz .LBB563_166
; %bb.163:
	s_movk_i32 s10, 0x7f
	v_and_b32_e32 v50, 0x7f, v38
	v_cmp_ne_u32_e32 vcc, s10, v50
	v_mov_b32_e32 v52, 0x7f800001
	s_and_saveexec_b64 s[10:11], vcc
	s_cbranch_execz .LBB563_165
; %bb.164:
	v_and_b32_e32 v54, 7, v38
	v_ffbh_u32_e32 v52, v54
	v_min_u32_e32 v56, 32, v52
	v_subrev_u32_e32 v52, 28, v56
	v_lshlrev_b64 v[52:53], v52, v[38:39]
	v_lshrrev_b32_e32 v55, 3, v50
	v_sub_u32_e32 v38, 29, v56
	v_and_b32_e32 v52, 7, v52
	v_cmp_gt_u32_e32 vcc, 8, v50
	v_cndmask_b32_e32 v38, v55, v38, vcc
	v_cndmask_b32_e32 v50, v54, v52, vcc
	v_lshlrev_b32_e32 v52, 16, v40
	v_bfrev_b32_e32 v53, 60
	v_lshlrev_b32_e32 v50, 20, v50
	v_and_b32_e32 v52, 0x80000000, v52
	v_lshl_add_u32 v38, v38, 23, v53
	v_or3_b32 v52, v52, v38, v50
.LBB563_165:
	s_or_b64 exec, exec, s[10:11]
.LBB563_166:
	s_or_b64 exec, exec, s[8:9]
.LBB563_167:
	s_or_b64 exec, exec, s[2:3]
	s_movk_i32 s2, 0xff
	v_and_b32_sdwa v50, v40, s2 dst_sel:DWORD dst_unused:UNUSED_PAD src0_sel:WORD_1 src1_sel:DWORD
	v_lshrrev_b32_e32 v38, 16, v40
	v_cmp_ne_u16_e32 vcc, 0, v50
	s_and_saveexec_b64 s[2:3], vcc
	s_cbranch_execz .LBB563_173
; %bb.168:
	s_movk_i32 s8, 0x80
	v_cmp_ne_u16_e32 vcc, s8, v50
	v_bfrev_b32_e32 v39, 1
	s_and_saveexec_b64 s[8:9], vcc
	s_cbranch_execz .LBB563_172
; %bb.169:
	v_bfe_u32 v50, v40, 16, 7
	s_movk_i32 s10, 0x7f
	v_cmp_ne_u32_e32 vcc, s10, v50
	v_mov_b32_e32 v39, 0x7f800001
	s_and_saveexec_b64 s[10:11], vcc
	s_cbranch_execz .LBB563_171
; %bb.170:
	v_and_b32_e32 v53, 7, v38
	v_ffbh_u32_e32 v39, v53
	v_min_u32_e32 v55, 32, v39
	v_subrev_u32_e32 v39, 28, v55
	v_lshlrev_b64 v[38:39], v39, v[38:39]
	v_lshrrev_b32_e32 v54, 3, v50
	v_sub_u32_e32 v39, 29, v55
	v_and_b32_e32 v38, 7, v38
	v_cmp_gt_u32_e32 vcc, 8, v50
	v_mov_b32_e32 v50, 24
	v_cndmask_b32_e32 v39, v54, v39, vcc
	v_cndmask_b32_e32 v38, v53, v38, vcc
	v_lshlrev_b32_sdwa v50, v50, v40 dst_sel:DWORD dst_unused:UNUSED_PAD src0_sel:DWORD src1_sel:WORD_1
	v_bfrev_b32_e32 v53, 60
	v_lshlrev_b32_e32 v38, 20, v38
	v_and_b32_e32 v50, 0x80000000, v50
	v_lshl_add_u32 v39, v39, 23, v53
	v_or3_b32 v39, v50, v39, v38
.LBB563_171:
	s_or_b64 exec, exec, s[10:11]
.LBB563_172:
	s_or_b64 exec, exec, s[8:9]
.LBB563_173:
	s_or_b64 exec, exec, s[2:3]
	s_mov_b32 s2, 0xffffff
	v_cmp_lt_u32_e32 vcc, s2, v40
	v_mov_b32_e32 v53, 0
	v_mov_b32_e32 v54, 0
	s_and_saveexec_b64 s[2:3], vcc
	s_cbranch_execz .LBB563_179
; %bb.174:
	v_lshrrev_b32_e32 v38, 24, v40
	s_movk_i32 s8, 0x80
	v_cmp_ne_u32_e32 vcc, s8, v38
	v_bfrev_b32_e32 v54, 1
	s_and_saveexec_b64 s[8:9], vcc
	s_cbranch_execz .LBB563_178
; %bb.175:
	v_bfe_u32 v40, v40, 24, 7
	s_movk_i32 s10, 0x7f
	v_cmp_ne_u32_e32 vcc, s10, v40
	v_mov_b32_e32 v54, 0x7f800001
	s_and_saveexec_b64 s[10:11], vcc
	s_cbranch_execz .LBB563_177
; %bb.176:
	v_and_b32_e32 v50, 7, v38
	v_ffbh_u32_e32 v54, v50
	v_min_u32_e32 v57, 32, v54
	v_subrev_u32_e32 v54, 28, v57
	v_lshlrev_b64 v[54:55], v54, v[38:39]
	v_lshrrev_b32_e32 v56, 3, v40
	v_sub_u32_e32 v55, 29, v57
	v_and_b32_e32 v54, 7, v54
	v_cmp_gt_u32_e32 vcc, 8, v40
	v_cndmask_b32_e32 v40, v56, v55, vcc
	v_cndmask_b32_e32 v50, v50, v54, vcc
	v_lshlrev_b32_e32 v38, 24, v38
	v_bfrev_b32_e32 v54, 60
	v_lshlrev_b32_e32 v50, 20, v50
	v_and_b32_e32 v38, 0x80000000, v38
	v_lshl_add_u32 v40, v40, 23, v54
	v_or3_b32 v54, v38, v40, v50
.LBB563_177:
	s_or_b64 exec, exec, s[10:11]
.LBB563_178:
	s_or_b64 exec, exec, s[8:9]
.LBB563_179:
	s_or_b64 exec, exec, s[2:3]
	v_cmp_ne_u16_sdwa s[8:9], v41, v53 src0_sel:BYTE_0 src1_sel:DWORD
	s_and_saveexec_b64 s[2:3], s[8:9]
	s_cbranch_execz .LBB563_185
; %bb.180:
	s_movk_i32 s8, 0x80
	v_cmp_ne_u16_sdwa s[10:11], v41, s8 src0_sel:BYTE_0 src1_sel:DWORD
	v_bfrev_b32_e32 v53, 1
	s_and_saveexec_b64 s[8:9], s[10:11]
	s_cbranch_execz .LBB563_184
; %bb.181:
	s_movk_i32 s10, 0x7f
	v_and_b32_e32 v38, 0x7f, v41
	v_cmp_ne_u32_e32 vcc, s10, v38
	v_mov_b32_e32 v53, 0x7f800001
	s_and_saveexec_b64 s[10:11], vcc
	s_cbranch_execz .LBB563_183
; %bb.182:
	v_and_b32_e32 v50, 7, v41
	v_ffbh_u32_e32 v55, v50
	v_min_u32_e32 v55, 32, v55
	v_mov_b32_e32 v40, v41
	v_subrev_u32_e32 v56, 28, v55
	v_lshlrev_b64 v[56:57], v56, v[40:41]
	v_lshrrev_b32_e32 v53, 3, v38
	v_sub_u32_e32 v40, 29, v55
	v_and_b32_e32 v55, 7, v56
	v_cmp_gt_u32_e32 vcc, 8, v38
	v_cndmask_b32_e32 v38, v53, v40, vcc
	v_cndmask_b32_e32 v40, v50, v55, vcc
	v_lshlrev_b32_e32 v50, 24, v41
	v_bfrev_b32_e32 v53, 60
	v_lshlrev_b32_e32 v40, 20, v40
	v_and_b32_e32 v50, 0x80000000, v50
	v_lshl_add_u32 v38, v38, 23, v53
	v_or3_b32 v53, v50, v38, v40
.LBB563_183:
	s_or_b64 exec, exec, s[10:11]
.LBB563_184:
	s_or_b64 exec, exec, s[8:9]
.LBB563_185:
	s_or_b64 exec, exec, s[2:3]
	v_lshrrev_b16_e32 v38, 8, v41
	v_cmp_ne_u16_e32 vcc, 0, v38
	v_mov_b32_e32 v40, 0
	v_mov_b32_e32 v55, 0
	s_and_saveexec_b64 s[2:3], vcc
	s_cbranch_execz .LBB563_191
; %bb.186:
	s_movk_i32 s8, 0x80
	v_cmp_ne_u16_e32 vcc, s8, v38
	v_bfrev_b32_e32 v55, 1
	s_and_saveexec_b64 s[8:9], vcc
	s_cbranch_execz .LBB563_190
; %bb.187:
	s_movk_i32 s10, 0x7f
	v_and_b32_e32 v50, 0x7f, v38
	v_cmp_ne_u32_e32 vcc, s10, v50
	v_mov_b32_e32 v55, 0x7f800001
	s_and_saveexec_b64 s[10:11], vcc
	s_cbranch_execz .LBB563_189
; %bb.188:
	v_and_b32_e32 v55, 7, v38
	v_ffbh_u32_e32 v56, v55
	v_min_u32_e32 v59, 32, v56
	v_subrev_u32_e32 v56, 28, v59
	v_lshlrev_b64 v[56:57], v56, v[38:39]
	v_lshrrev_b32_e32 v58, 3, v50
	v_sub_u32_e32 v38, 29, v59
	v_and_b32_e32 v56, 7, v56
	v_cmp_gt_u32_e32 vcc, 8, v50
	v_cndmask_b32_e32 v38, v58, v38, vcc
	v_cndmask_b32_e32 v50, v55, v56, vcc
	v_lshlrev_b32_e32 v55, 16, v41
	v_bfrev_b32_e32 v56, 60
	v_lshlrev_b32_e32 v50, 20, v50
	v_and_b32_e32 v55, 0x80000000, v55
	v_lshl_add_u32 v38, v38, 23, v56
	v_or3_b32 v55, v55, v38, v50
.LBB563_189:
	s_or_b64 exec, exec, s[10:11]
.LBB563_190:
	s_or_b64 exec, exec, s[8:9]
.LBB563_191:
	s_or_b64 exec, exec, s[2:3]
	s_movk_i32 s2, 0xff
	v_and_b32_sdwa v50, v41, s2 dst_sel:DWORD dst_unused:UNUSED_PAD src0_sel:WORD_1 src1_sel:DWORD
	v_lshrrev_b32_e32 v38, 16, v41
	v_cmp_ne_u16_e32 vcc, 0, v50
	s_and_saveexec_b64 s[2:3], vcc
	s_cbranch_execz .LBB563_197
; %bb.192:
	s_movk_i32 s8, 0x80
	v_cmp_ne_u16_e32 vcc, s8, v50
	v_bfrev_b32_e32 v40, 1
	s_and_saveexec_b64 s[8:9], vcc
	s_cbranch_execz .LBB563_196
; %bb.193:
	v_bfe_u32 v50, v41, 16, 7
	s_movk_i32 s10, 0x7f
	v_cmp_ne_u32_e32 vcc, s10, v50
	v_mov_b32_e32 v40, 0x7f800001
	s_and_saveexec_b64 s[10:11], vcc
	s_cbranch_execz .LBB563_195
; %bb.194:
	v_and_b32_e32 v40, 7, v38
	v_ffbh_u32_e32 v56, v40
	v_min_u32_e32 v59, 32, v56
	v_subrev_u32_e32 v56, 28, v59
	v_lshlrev_b64 v[56:57], v56, v[38:39]
	v_lshrrev_b32_e32 v58, 3, v50
	v_sub_u32_e32 v38, 29, v59
	v_and_b32_e32 v56, 7, v56
	v_cmp_gt_u32_e32 vcc, 8, v50
	v_mov_b32_e32 v50, 24
	v_cndmask_b32_e32 v38, v58, v38, vcc
	v_cndmask_b32_e32 v40, v40, v56, vcc
	v_lshlrev_b32_sdwa v50, v50, v41 dst_sel:DWORD dst_unused:UNUSED_PAD src0_sel:DWORD src1_sel:WORD_1
	v_bfrev_b32_e32 v56, 60
	v_lshlrev_b32_e32 v40, 20, v40
	v_and_b32_e32 v50, 0x80000000, v50
	v_lshl_add_u32 v38, v38, 23, v56
	v_or3_b32 v40, v50, v38, v40
.LBB563_195:
	s_or_b64 exec, exec, s[10:11]
.LBB563_196:
	s_or_b64 exec, exec, s[8:9]
.LBB563_197:
	s_or_b64 exec, exec, s[2:3]
	s_mov_b32 s2, 0xffffff
	v_cmp_lt_u32_e32 vcc, s2, v41
	v_mov_b32_e32 v50, 0
	v_mov_b32_e32 v56, 0
	s_and_saveexec_b64 s[2:3], vcc
	s_cbranch_execz .LBB563_203
; %bb.198:
	v_lshrrev_b32_e32 v38, 24, v41
	s_movk_i32 s8, 0x80
	v_cmp_ne_u32_e32 vcc, s8, v38
	v_bfrev_b32_e32 v56, 1
	s_and_saveexec_b64 s[8:9], vcc
	s_cbranch_execz .LBB563_202
; %bb.199:
	v_bfe_u32 v41, v41, 24, 7
	s_movk_i32 s10, 0x7f
	v_cmp_ne_u32_e32 vcc, s10, v41
	v_mov_b32_e32 v56, 0x7f800001
	s_and_saveexec_b64 s[10:11], vcc
	s_cbranch_execz .LBB563_201
; %bb.200:
	v_and_b32_e32 v58, 7, v38
	v_ffbh_u32_e32 v56, v58
	v_min_u32_e32 v60, 32, v56
	v_subrev_u32_e32 v56, 28, v60
	v_lshlrev_b64 v[56:57], v56, v[38:39]
	v_lshrrev_b32_e32 v59, 3, v41
	v_sub_u32_e32 v57, 29, v60
	v_and_b32_e32 v56, 7, v56
	v_cmp_gt_u32_e32 vcc, 8, v41
	v_cndmask_b32_e32 v41, v59, v57, vcc
	v_cndmask_b32_e32 v56, v58, v56, vcc
	v_lshlrev_b32_e32 v38, 24, v38
	v_bfrev_b32_e32 v57, 60
	v_lshlrev_b32_e32 v56, 20, v56
	v_and_b32_e32 v38, 0x80000000, v38
	v_lshl_add_u32 v41, v41, 23, v57
	v_or3_b32 v56, v38, v41, v56
.LBB563_201:
	s_or_b64 exec, exec, s[10:11]
.LBB563_202:
	s_or_b64 exec, exec, s[8:9]
.LBB563_203:
	s_or_b64 exec, exec, s[2:3]
	v_cvt_pkrtz_f16_f32 v38, v51, v52
	v_cvt_pkrtz_f16_f32 v39, v39, v54
	s_waitcnt vmcnt(5)
	v_cmp_ne_u16_sdwa s[8:9], v34, v50 src0_sel:BYTE_0 src1_sel:DWORD
	v_mfma_f32_16x16x16f16 v[42:45], v[38:39], v[18:19], v[42:45]
	v_cvt_pkrtz_f16_f32 v38, v53, v55
	v_cvt_pkrtz_f16_f32 v39, v40, v56
	s_nop 1
	v_mfma_f32_16x16x16f16 v[38:41], v[38:39], v[20:21], v[42:45]
	s_and_saveexec_b64 s[2:3], s[8:9]
	s_cbranch_execz .LBB563_209
; %bb.204:
	s_movk_i32 s8, 0x80
	v_cmp_ne_u16_sdwa s[10:11], v34, s8 src0_sel:BYTE_0 src1_sel:DWORD
	v_bfrev_b32_e32 v50, 1
	s_and_saveexec_b64 s[8:9], s[10:11]
	s_cbranch_execz .LBB563_208
; %bb.205:
	s_movk_i32 s10, 0x7f
	v_and_b32_e32 v42, 0x7f, v34
	v_cmp_ne_u32_e32 vcc, s10, v42
	v_mov_b32_e32 v50, 0x7f800001
	s_and_saveexec_b64 s[10:11], vcc
	s_cbranch_execz .LBB563_207
; %bb.206:
	v_and_b32_e32 v43, 7, v34
	v_ffbh_u32_e32 v44, v43
	v_min_u32_e32 v51, 32, v44
	v_subrev_u32_e32 v44, 28, v51
	v_lshlrev_b64 v[44:45], v44, v[34:35]
	v_lshrrev_b32_e32 v50, 3, v42
	v_sub_u32_e32 v45, 29, v51
	v_and_b32_e32 v44, 7, v44
	v_cmp_gt_u32_e32 vcc, 8, v42
	v_cndmask_b32_e32 v42, v50, v45, vcc
	v_cndmask_b32_e32 v43, v43, v44, vcc
	v_lshlrev_b32_e32 v44, 24, v34
	v_bfrev_b32_e32 v45, 60
	v_lshlrev_b32_e32 v43, 20, v43
	v_and_b32_e32 v44, 0x80000000, v44
	v_lshl_add_u32 v42, v42, 23, v45
	v_or3_b32 v50, v44, v42, v43
.LBB563_207:
	s_or_b64 exec, exec, s[10:11]
.LBB563_208:
	s_or_b64 exec, exec, s[8:9]
.LBB563_209:
	s_or_b64 exec, exec, s[2:3]
	s_nop 3
	v_lshrrev_b16_e32 v42, 8, v34
	v_cmp_ne_u16_e32 vcc, 0, v42
	v_mov_b32_e32 v43, 0
	v_mov_b32_e32 v44, 0
	s_and_saveexec_b64 s[2:3], vcc
	s_cbranch_execz .LBB563_215
; %bb.210:
	s_movk_i32 s8, 0x80
	v_cmp_ne_u16_e32 vcc, s8, v42
	v_bfrev_b32_e32 v44, 1
	s_and_saveexec_b64 s[8:9], vcc
	s_cbranch_execz .LBB563_214
; %bb.211:
	s_movk_i32 s10, 0x7f
	v_and_b32_e32 v45, 0x7f, v42
	v_cmp_ne_u32_e32 vcc, s10, v45
	v_mov_b32_e32 v44, 0x7f800001
	s_and_saveexec_b64 s[10:11], vcc
	s_cbranch_execz .LBB563_213
; %bb.212:
	v_and_b32_e32 v44, 7, v42
	v_ffbh_u32_e32 v52, v44
	v_min_u32_e32 v54, 32, v52
	v_subrev_u32_e32 v52, 28, v54
	v_lshlrev_b64 v[52:53], v52, v[42:43]
	v_lshrrev_b32_e32 v51, 3, v45
	v_sub_u32_e32 v42, 29, v54
	v_and_b32_e32 v52, 7, v52
	v_cmp_gt_u32_e32 vcc, 8, v45
	v_cndmask_b32_e32 v42, v51, v42, vcc
	v_cndmask_b32_e32 v44, v44, v52, vcc
	v_lshlrev_b32_e32 v45, 16, v34
	v_bfrev_b32_e32 v51, 60
	v_lshlrev_b32_e32 v44, 20, v44
	v_and_b32_e32 v45, 0x80000000, v45
	v_lshl_add_u32 v42, v42, 23, v51
	v_or3_b32 v44, v45, v42, v44
.LBB563_213:
	s_or_b64 exec, exec, s[10:11]
.LBB563_214:
	s_or_b64 exec, exec, s[8:9]
.LBB563_215:
	s_or_b64 exec, exec, s[2:3]
	s_movk_i32 s2, 0xff
	v_and_b32_sdwa v45, v34, s2 dst_sel:DWORD dst_unused:UNUSED_PAD src0_sel:WORD_1 src1_sel:DWORD
	v_lshrrev_b32_e32 v42, 16, v34
	v_cmp_ne_u16_e32 vcc, 0, v45
	s_and_saveexec_b64 s[2:3], vcc
	s_cbranch_execz .LBB563_221
; %bb.216:
	s_movk_i32 s8, 0x80
	v_cmp_ne_u16_e32 vcc, s8, v45
	v_bfrev_b32_e32 v43, 1
	s_and_saveexec_b64 s[8:9], vcc
	s_cbranch_execz .LBB563_220
; %bb.217:
	v_bfe_u32 v45, v34, 16, 7
	s_movk_i32 s10, 0x7f
	v_cmp_ne_u32_e32 vcc, s10, v45
	v_mov_b32_e32 v43, 0x7f800001
	s_and_saveexec_b64 s[10:11], vcc
	s_cbranch_execz .LBB563_219
; %bb.218:
	v_and_b32_e32 v51, 7, v42
	v_ffbh_u32_e32 v43, v51
	v_min_u32_e32 v53, 32, v43
	v_subrev_u32_e32 v43, 28, v53
	v_lshlrev_b64 v[42:43], v43, v[42:43]
	v_lshrrev_b32_e32 v52, 3, v45
	v_sub_u32_e32 v43, 29, v53
	v_and_b32_e32 v42, 7, v42
	v_cmp_gt_u32_e32 vcc, 8, v45
	v_mov_b32_e32 v45, 24
	v_cndmask_b32_e32 v43, v52, v43, vcc
	v_cndmask_b32_e32 v42, v51, v42, vcc
	v_lshlrev_b32_sdwa v45, v45, v34 dst_sel:DWORD dst_unused:UNUSED_PAD src0_sel:DWORD src1_sel:WORD_1
	v_bfrev_b32_e32 v51, 60
	v_lshlrev_b32_e32 v42, 20, v42
	v_and_b32_e32 v45, 0x80000000, v45
	v_lshl_add_u32 v43, v43, 23, v51
	v_or3_b32 v43, v45, v43, v42
.LBB563_219:
	s_or_b64 exec, exec, s[10:11]
.LBB563_220:
	s_or_b64 exec, exec, s[8:9]
.LBB563_221:
	s_or_b64 exec, exec, s[2:3]
	s_mov_b32 s2, 0xffffff
	v_cmp_lt_u32_e32 vcc, s2, v34
	v_mov_b32_e32 v45, 0
	v_mov_b32_e32 v52, 0
	s_and_saveexec_b64 s[2:3], vcc
	s_cbranch_execz .LBB563_227
; %bb.222:
	v_lshrrev_b32_e32 v42, 24, v34
	s_movk_i32 s8, 0x80
	v_cmp_ne_u32_e32 vcc, s8, v42
	v_bfrev_b32_e32 v52, 1
	s_and_saveexec_b64 s[8:9], vcc
	s_cbranch_execz .LBB563_226
; %bb.223:
	v_bfe_u32 v34, v34, 24, 7
	s_movk_i32 s10, 0x7f
	v_cmp_ne_u32_e32 vcc, s10, v34
	v_mov_b32_e32 v52, 0x7f800001
	s_and_saveexec_b64 s[10:11], vcc
	s_cbranch_execz .LBB563_225
; %bb.224:
	v_and_b32_e32 v51, 7, v42
	v_ffbh_u32_e32 v52, v51
	v_min_u32_e32 v55, 32, v52
	v_subrev_u32_e32 v52, 28, v55
	v_lshlrev_b64 v[52:53], v52, v[42:43]
	v_lshrrev_b32_e32 v54, 3, v34
	v_sub_u32_e32 v53, 29, v55
	v_and_b32_e32 v52, 7, v52
	v_cmp_gt_u32_e32 vcc, 8, v34
	v_cndmask_b32_e32 v34, v54, v53, vcc
	v_cndmask_b32_e32 v51, v51, v52, vcc
	v_lshlrev_b32_e32 v42, 24, v42
	v_bfrev_b32_e32 v52, 60
	v_lshlrev_b32_e32 v51, 20, v51
	v_and_b32_e32 v42, 0x80000000, v42
	v_lshl_add_u32 v34, v34, 23, v52
	v_or3_b32 v52, v42, v34, v51
.LBB563_225:
	s_or_b64 exec, exec, s[10:11]
.LBB563_226:
	s_or_b64 exec, exec, s[8:9]
.LBB563_227:
	s_or_b64 exec, exec, s[2:3]
	v_cmp_ne_u16_sdwa s[8:9], v35, v45 src0_sel:BYTE_0 src1_sel:DWORD
	s_and_saveexec_b64 s[2:3], s[8:9]
	s_cbranch_execz .LBB563_233
; %bb.228:
	s_movk_i32 s8, 0x80
	v_cmp_ne_u16_sdwa s[10:11], v35, s8 src0_sel:BYTE_0 src1_sel:DWORD
	v_bfrev_b32_e32 v45, 1
	s_and_saveexec_b64 s[8:9], s[10:11]
	s_cbranch_execz .LBB563_232
; %bb.229:
	s_movk_i32 s10, 0x7f
	v_and_b32_e32 v34, 0x7f, v35
	v_cmp_ne_u32_e32 vcc, s10, v34
	v_mov_b32_e32 v45, 0x7f800001
	s_and_saveexec_b64 s[10:11], vcc
	s_cbranch_execz .LBB563_231
; %bb.230:
	v_and_b32_e32 v45, 7, v35
	v_ffbh_u32_e32 v53, v45
	v_min_u32_e32 v53, 32, v53
	v_mov_b32_e32 v42, v35
	v_subrev_u32_e32 v54, 28, v53
	v_lshlrev_b64 v[54:55], v54, v[42:43]
	v_lshrrev_b32_e32 v51, 3, v34
	v_sub_u32_e32 v42, 29, v53
	v_and_b32_e32 v53, 7, v54
	v_cmp_gt_u32_e32 vcc, 8, v34
	v_cndmask_b32_e32 v34, v51, v42, vcc
	v_cndmask_b32_e32 v42, v45, v53, vcc
	v_lshlrev_b32_e32 v45, 24, v35
	v_bfrev_b32_e32 v51, 60
	v_lshlrev_b32_e32 v42, 20, v42
	v_and_b32_e32 v45, 0x80000000, v45
	v_lshl_add_u32 v34, v34, 23, v51
	v_or3_b32 v45, v45, v34, v42
.LBB563_231:
	s_or_b64 exec, exec, s[10:11]
.LBB563_232:
	s_or_b64 exec, exec, s[8:9]
.LBB563_233:
	s_or_b64 exec, exec, s[2:3]
	v_lshrrev_b16_e32 v34, 8, v35
	v_cmp_ne_u16_e32 vcc, 0, v34
	v_mov_b32_e32 v42, 0
	v_mov_b32_e32 v53, 0
	s_and_saveexec_b64 s[2:3], vcc
	s_cbranch_execz .LBB563_239
; %bb.234:
	s_movk_i32 s8, 0x80
	v_cmp_ne_u16_e32 vcc, s8, v34
	v_bfrev_b32_e32 v53, 1
	s_and_saveexec_b64 s[8:9], vcc
	s_cbranch_execz .LBB563_238
; %bb.235:
	s_movk_i32 s10, 0x7f
	v_and_b32_e32 v51, 0x7f, v34
	v_cmp_ne_u32_e32 vcc, s10, v51
	v_mov_b32_e32 v53, 0x7f800001
	s_and_saveexec_b64 s[10:11], vcc
	s_cbranch_execz .LBB563_237
; %bb.236:
	v_and_b32_e32 v53, 7, v34
	v_ffbh_u32_e32 v54, v53
	v_min_u32_e32 v57, 32, v54
	v_subrev_u32_e32 v54, 28, v57
	v_lshlrev_b64 v[54:55], v54, v[34:35]
	v_lshrrev_b32_e32 v56, 3, v51
	v_sub_u32_e32 v34, 29, v57
	v_and_b32_e32 v54, 7, v54
	v_cmp_gt_u32_e32 vcc, 8, v51
	v_cndmask_b32_e32 v34, v56, v34, vcc
	v_cndmask_b32_e32 v51, v53, v54, vcc
	v_lshlrev_b32_e32 v53, 16, v35
	v_bfrev_b32_e32 v54, 60
	v_lshlrev_b32_e32 v51, 20, v51
	v_and_b32_e32 v53, 0x80000000, v53
	v_lshl_add_u32 v34, v34, 23, v54
	v_or3_b32 v53, v53, v34, v51
.LBB563_237:
	s_or_b64 exec, exec, s[10:11]
.LBB563_238:
	s_or_b64 exec, exec, s[8:9]
.LBB563_239:
	s_or_b64 exec, exec, s[2:3]
	s_movk_i32 s2, 0xff
	v_and_b32_sdwa v51, v35, s2 dst_sel:DWORD dst_unused:UNUSED_PAD src0_sel:WORD_1 src1_sel:DWORD
	v_lshrrev_b32_e32 v34, 16, v35
	v_cmp_ne_u16_e32 vcc, 0, v51
	s_and_saveexec_b64 s[2:3], vcc
	s_cbranch_execz .LBB563_245
; %bb.240:
	s_movk_i32 s8, 0x80
	v_cmp_ne_u16_e32 vcc, s8, v51
	v_bfrev_b32_e32 v42, 1
	s_and_saveexec_b64 s[8:9], vcc
	s_cbranch_execz .LBB563_244
; %bb.241:
	v_bfe_u32 v51, v35, 16, 7
	s_movk_i32 s10, 0x7f
	v_cmp_ne_u32_e32 vcc, s10, v51
	v_mov_b32_e32 v42, 0x7f800001
	s_and_saveexec_b64 s[10:11], vcc
	s_cbranch_execz .LBB563_243
; %bb.242:
	v_and_b32_e32 v42, 7, v34
	v_ffbh_u32_e32 v54, v42
	v_min_u32_e32 v57, 32, v54
	v_subrev_u32_e32 v54, 28, v57
	v_lshlrev_b64 v[54:55], v54, v[34:35]
	v_lshrrev_b32_e32 v56, 3, v51
	v_sub_u32_e32 v34, 29, v57
	v_and_b32_e32 v54, 7, v54
	v_cmp_gt_u32_e32 vcc, 8, v51
	v_mov_b32_e32 v51, 24
	v_cndmask_b32_e32 v34, v56, v34, vcc
	v_cndmask_b32_e32 v42, v42, v54, vcc
	v_lshlrev_b32_sdwa v51, v51, v35 dst_sel:DWORD dst_unused:UNUSED_PAD src0_sel:DWORD src1_sel:WORD_1
	v_bfrev_b32_e32 v54, 60
	v_lshlrev_b32_e32 v42, 20, v42
	v_and_b32_e32 v51, 0x80000000, v51
	v_lshl_add_u32 v34, v34, 23, v54
	v_or3_b32 v42, v51, v34, v42
.LBB563_243:
	s_or_b64 exec, exec, s[10:11]
.LBB563_244:
	s_or_b64 exec, exec, s[8:9]
.LBB563_245:
	s_or_b64 exec, exec, s[2:3]
	s_mov_b32 s2, 0xffffff
	v_cmp_lt_u32_e32 vcc, s2, v35
	v_mov_b32_e32 v51, 0
	v_mov_b32_e32 v54, 0
	s_and_saveexec_b64 s[2:3], vcc
	s_cbranch_execz .LBB563_251
; %bb.246:
	v_lshrrev_b32_e32 v34, 24, v35
	s_movk_i32 s8, 0x80
	v_cmp_ne_u32_e32 vcc, s8, v34
	v_bfrev_b32_e32 v54, 1
	s_and_saveexec_b64 s[8:9], vcc
	s_cbranch_execz .LBB563_250
; %bb.247:
	v_bfe_u32 v35, v35, 24, 7
	s_movk_i32 s10, 0x7f
	v_cmp_ne_u32_e32 vcc, s10, v35
	v_mov_b32_e32 v54, 0x7f800001
	s_and_saveexec_b64 s[10:11], vcc
	s_cbranch_execz .LBB563_249
; %bb.248:
	v_and_b32_e32 v56, 7, v34
	v_ffbh_u32_e32 v54, v56
	v_min_u32_e32 v58, 32, v54
	v_subrev_u32_e32 v54, 28, v58
	v_lshlrev_b64 v[54:55], v54, v[34:35]
	v_lshrrev_b32_e32 v57, 3, v35
	v_sub_u32_e32 v55, 29, v58
	v_and_b32_e32 v54, 7, v54
	v_cmp_gt_u32_e32 vcc, 8, v35
	v_cndmask_b32_e32 v35, v57, v55, vcc
	v_cndmask_b32_e32 v54, v56, v54, vcc
	v_lshlrev_b32_e32 v34, 24, v34
	v_bfrev_b32_e32 v55, 60
	v_lshlrev_b32_e32 v54, 20, v54
	v_and_b32_e32 v34, 0x80000000, v34
	v_lshl_add_u32 v35, v35, 23, v55
	v_or3_b32 v54, v34, v35, v54
.LBB563_249:
	s_or_b64 exec, exec, s[10:11]
.LBB563_250:
	s_or_b64 exec, exec, s[8:9]
.LBB563_251:
	s_or_b64 exec, exec, s[2:3]
	v_cvt_pkrtz_f16_f32 v34, v50, v44
	v_cvt_pkrtz_f16_f32 v35, v43, v52
	v_cmp_ne_u16_sdwa s[8:9], v36, v51 src0_sel:BYTE_0 src1_sel:DWORD
	s_nop 0
	v_mfma_f32_16x16x16f16 v[56:59], v[34:35], v[26:27], 0
	v_cvt_pkrtz_f16_f32 v34, v45, v53
	v_cvt_pkrtz_f16_f32 v35, v42, v54
	s_nop 1
	v_mfma_f32_16x16x16f16 v[42:45], v[34:35], v[28:29], v[56:59]
	s_and_saveexec_b64 s[2:3], s[8:9]
	s_cbranch_execz .LBB563_257
; %bb.252:
	s_movk_i32 s8, 0x80
	v_cmp_ne_u16_sdwa s[10:11], v36, s8 src0_sel:BYTE_0 src1_sel:DWORD
	v_bfrev_b32_e32 v51, 1
	s_and_saveexec_b64 s[8:9], s[10:11]
	s_cbranch_execz .LBB563_256
; %bb.253:
	s_movk_i32 s10, 0x7f
	v_and_b32_e32 v34, 0x7f, v36
	v_cmp_ne_u32_e32 vcc, s10, v34
	v_mov_b32_e32 v51, 0x7f800001
	s_and_saveexec_b64 s[10:11], vcc
	s_cbranch_execz .LBB563_255
; %bb.254:
	v_and_b32_e32 v35, 7, v36
	v_ffbh_u32_e32 v50, v35
	v_min_u32_e32 v53, 32, v50
	v_subrev_u32_e32 v50, 28, v53
	v_lshlrev_b64 v[50:51], v50, v[36:37]
	v_lshrrev_b32_e32 v52, 3, v34
	v_sub_u32_e32 v51, 29, v53
	v_and_b32_e32 v50, 7, v50
	v_cmp_gt_u32_e32 vcc, 8, v34
	v_cndmask_b32_e32 v34, v52, v51, vcc
	v_cndmask_b32_e32 v35, v35, v50, vcc
	v_lshlrev_b32_e32 v50, 24, v36
	v_bfrev_b32_e32 v51, 60
	v_lshlrev_b32_e32 v35, 20, v35
	v_and_b32_e32 v50, 0x80000000, v50
	v_lshl_add_u32 v34, v34, 23, v51
	v_or3_b32 v51, v50, v34, v35
.LBB563_255:
	s_or_b64 exec, exec, s[10:11]
.LBB563_256:
	s_or_b64 exec, exec, s[8:9]
.LBB563_257:
	s_or_b64 exec, exec, s[2:3]
	v_lshrrev_b16_e32 v34, 8, v36
	v_cmp_ne_u16_e32 vcc, 0, v34
	v_mov_b32_e32 v35, 0
	v_mov_b32_e32 v52, 0
	s_and_saveexec_b64 s[2:3], vcc
	s_cbranch_execz .LBB563_263
; %bb.258:
	s_movk_i32 s8, 0x80
	v_cmp_ne_u16_e32 vcc, s8, v34
	v_bfrev_b32_e32 v52, 1
	s_and_saveexec_b64 s[8:9], vcc
	s_cbranch_execz .LBB563_262
; %bb.259:
	s_movk_i32 s10, 0x7f
	v_and_b32_e32 v50, 0x7f, v34
	v_cmp_ne_u32_e32 vcc, s10, v50
	v_mov_b32_e32 v52, 0x7f800001
	s_and_saveexec_b64 s[10:11], vcc
	s_cbranch_execz .LBB563_261
; %bb.260:
	v_and_b32_e32 v54, 7, v34
	v_ffbh_u32_e32 v52, v54
	v_min_u32_e32 v56, 32, v52
	v_subrev_u32_e32 v52, 28, v56
	v_lshlrev_b64 v[52:53], v52, v[34:35]
	v_lshrrev_b32_e32 v55, 3, v50
	v_sub_u32_e32 v34, 29, v56
	v_and_b32_e32 v52, 7, v52
	v_cmp_gt_u32_e32 vcc, 8, v50
	v_cndmask_b32_e32 v34, v55, v34, vcc
	v_cndmask_b32_e32 v50, v54, v52, vcc
	v_lshlrev_b32_e32 v52, 16, v36
	v_bfrev_b32_e32 v53, 60
	v_lshlrev_b32_e32 v50, 20, v50
	v_and_b32_e32 v52, 0x80000000, v52
	v_lshl_add_u32 v34, v34, 23, v53
	v_or3_b32 v52, v52, v34, v50
.LBB563_261:
	s_or_b64 exec, exec, s[10:11]
.LBB563_262:
	s_or_b64 exec, exec, s[8:9]
.LBB563_263:
	s_or_b64 exec, exec, s[2:3]
	s_movk_i32 s2, 0xff
	v_and_b32_sdwa v50, v36, s2 dst_sel:DWORD dst_unused:UNUSED_PAD src0_sel:WORD_1 src1_sel:DWORD
	v_lshrrev_b32_e32 v34, 16, v36
	v_cmp_ne_u16_e32 vcc, 0, v50
	s_and_saveexec_b64 s[2:3], vcc
	s_cbranch_execz .LBB563_269
; %bb.264:
	s_movk_i32 s8, 0x80
	v_cmp_ne_u16_e32 vcc, s8, v50
	v_bfrev_b32_e32 v35, 1
	s_and_saveexec_b64 s[8:9], vcc
	s_cbranch_execz .LBB563_268
; %bb.265:
	v_bfe_u32 v50, v36, 16, 7
	s_movk_i32 s10, 0x7f
	v_cmp_ne_u32_e32 vcc, s10, v50
	v_mov_b32_e32 v35, 0x7f800001
	s_and_saveexec_b64 s[10:11], vcc
	s_cbranch_execz .LBB563_267
; %bb.266:
	v_and_b32_e32 v53, 7, v34
	v_ffbh_u32_e32 v35, v53
	v_min_u32_e32 v55, 32, v35
	v_subrev_u32_e32 v35, 28, v55
	v_lshlrev_b64 v[34:35], v35, v[34:35]
	v_lshrrev_b32_e32 v54, 3, v50
	v_sub_u32_e32 v35, 29, v55
	v_and_b32_e32 v34, 7, v34
	v_cmp_gt_u32_e32 vcc, 8, v50
	v_mov_b32_e32 v50, 24
	v_cndmask_b32_e32 v35, v54, v35, vcc
	v_cndmask_b32_e32 v34, v53, v34, vcc
	v_lshlrev_b32_sdwa v50, v50, v36 dst_sel:DWORD dst_unused:UNUSED_PAD src0_sel:DWORD src1_sel:WORD_1
	v_bfrev_b32_e32 v53, 60
	v_lshlrev_b32_e32 v34, 20, v34
	v_and_b32_e32 v50, 0x80000000, v50
	v_lshl_add_u32 v35, v35, 23, v53
	v_or3_b32 v35, v50, v35, v34
.LBB563_267:
	s_or_b64 exec, exec, s[10:11]
.LBB563_268:
	s_or_b64 exec, exec, s[8:9]
.LBB563_269:
	s_or_b64 exec, exec, s[2:3]
	s_mov_b32 s2, 0xffffff
	v_cmp_lt_u32_e32 vcc, s2, v36
	v_mov_b32_e32 v53, 0
	v_mov_b32_e32 v54, 0
	s_and_saveexec_b64 s[2:3], vcc
	s_cbranch_execz .LBB563_275
; %bb.270:
	v_lshrrev_b32_e32 v34, 24, v36
	s_movk_i32 s8, 0x80
	v_cmp_ne_u32_e32 vcc, s8, v34
	v_bfrev_b32_e32 v54, 1
	s_and_saveexec_b64 s[8:9], vcc
	s_cbranch_execz .LBB563_274
; %bb.271:
	v_bfe_u32 v36, v36, 24, 7
	s_movk_i32 s10, 0x7f
	v_cmp_ne_u32_e32 vcc, s10, v36
	v_mov_b32_e32 v54, 0x7f800001
	s_and_saveexec_b64 s[10:11], vcc
	s_cbranch_execz .LBB563_273
; %bb.272:
	v_and_b32_e32 v50, 7, v34
	v_ffbh_u32_e32 v54, v50
	v_min_u32_e32 v57, 32, v54
	v_subrev_u32_e32 v54, 28, v57
	v_lshlrev_b64 v[54:55], v54, v[34:35]
	v_lshrrev_b32_e32 v56, 3, v36
	v_sub_u32_e32 v55, 29, v57
	v_and_b32_e32 v54, 7, v54
	v_cmp_gt_u32_e32 vcc, 8, v36
	v_cndmask_b32_e32 v36, v56, v55, vcc
	v_cndmask_b32_e32 v50, v50, v54, vcc
	v_lshlrev_b32_e32 v34, 24, v34
	v_bfrev_b32_e32 v54, 60
	v_lshlrev_b32_e32 v50, 20, v50
	v_and_b32_e32 v34, 0x80000000, v34
	v_lshl_add_u32 v36, v36, 23, v54
	v_or3_b32 v54, v34, v36, v50
.LBB563_273:
	s_or_b64 exec, exec, s[10:11]
.LBB563_274:
	s_or_b64 exec, exec, s[8:9]
.LBB563_275:
	s_or_b64 exec, exec, s[2:3]
	v_cmp_ne_u16_sdwa s[8:9], v37, v53 src0_sel:BYTE_0 src1_sel:DWORD
	s_and_saveexec_b64 s[2:3], s[8:9]
	s_cbranch_execz .LBB563_281
; %bb.276:
	s_movk_i32 s8, 0x80
	v_cmp_ne_u16_sdwa s[10:11], v37, s8 src0_sel:BYTE_0 src1_sel:DWORD
	v_bfrev_b32_e32 v53, 1
	s_and_saveexec_b64 s[8:9], s[10:11]
	s_cbranch_execz .LBB563_280
; %bb.277:
	s_movk_i32 s10, 0x7f
	v_and_b32_e32 v34, 0x7f, v37
	v_cmp_ne_u32_e32 vcc, s10, v34
	v_mov_b32_e32 v53, 0x7f800001
	s_and_saveexec_b64 s[10:11], vcc
	s_cbranch_execz .LBB563_279
; %bb.278:
	v_and_b32_e32 v50, 7, v37
	v_ffbh_u32_e32 v55, v50
	v_min_u32_e32 v55, 32, v55
	v_mov_b32_e32 v36, v37
	v_subrev_u32_e32 v56, 28, v55
	v_lshlrev_b64 v[56:57], v56, v[36:37]
	v_lshrrev_b32_e32 v53, 3, v34
	v_sub_u32_e32 v36, 29, v55
	v_and_b32_e32 v55, 7, v56
	v_cmp_gt_u32_e32 vcc, 8, v34
	v_cndmask_b32_e32 v34, v53, v36, vcc
	v_cndmask_b32_e32 v36, v50, v55, vcc
	v_lshlrev_b32_e32 v50, 24, v37
	v_bfrev_b32_e32 v53, 60
	v_lshlrev_b32_e32 v36, 20, v36
	v_and_b32_e32 v50, 0x80000000, v50
	v_lshl_add_u32 v34, v34, 23, v53
	v_or3_b32 v53, v50, v34, v36
.LBB563_279:
	s_or_b64 exec, exec, s[10:11]
.LBB563_280:
	s_or_b64 exec, exec, s[8:9]
.LBB563_281:
	s_or_b64 exec, exec, s[2:3]
	v_lshrrev_b16_e32 v34, 8, v37
	v_cmp_ne_u16_e32 vcc, 0, v34
	v_mov_b32_e32 v36, 0
	v_mov_b32_e32 v55, 0
	s_and_saveexec_b64 s[2:3], vcc
	s_cbranch_execz .LBB563_287
; %bb.282:
	s_movk_i32 s8, 0x80
	v_cmp_ne_u16_e32 vcc, s8, v34
	v_bfrev_b32_e32 v55, 1
	s_and_saveexec_b64 s[8:9], vcc
	s_cbranch_execz .LBB563_286
; %bb.283:
	s_movk_i32 s10, 0x7f
	v_and_b32_e32 v50, 0x7f, v34
	v_cmp_ne_u32_e32 vcc, s10, v50
	v_mov_b32_e32 v55, 0x7f800001
	s_and_saveexec_b64 s[10:11], vcc
	s_cbranch_execz .LBB563_285
; %bb.284:
	v_and_b32_e32 v55, 7, v34
	v_ffbh_u32_e32 v56, v55
	v_min_u32_e32 v59, 32, v56
	v_subrev_u32_e32 v56, 28, v59
	v_lshlrev_b64 v[56:57], v56, v[34:35]
	v_lshrrev_b32_e32 v58, 3, v50
	v_sub_u32_e32 v34, 29, v59
	v_and_b32_e32 v56, 7, v56
	v_cmp_gt_u32_e32 vcc, 8, v50
	v_cndmask_b32_e32 v34, v58, v34, vcc
	v_cndmask_b32_e32 v50, v55, v56, vcc
	v_lshlrev_b32_e32 v55, 16, v37
	v_bfrev_b32_e32 v56, 60
	v_lshlrev_b32_e32 v50, 20, v50
	v_and_b32_e32 v55, 0x80000000, v55
	v_lshl_add_u32 v34, v34, 23, v56
	v_or3_b32 v55, v55, v34, v50
.LBB563_285:
	s_or_b64 exec, exec, s[10:11]
.LBB563_286:
	s_or_b64 exec, exec, s[8:9]
.LBB563_287:
	s_or_b64 exec, exec, s[2:3]
	s_movk_i32 s2, 0xff
	v_and_b32_sdwa v50, v37, s2 dst_sel:DWORD dst_unused:UNUSED_PAD src0_sel:WORD_1 src1_sel:DWORD
	v_lshrrev_b32_e32 v34, 16, v37
	v_cmp_ne_u16_e32 vcc, 0, v50
	s_and_saveexec_b64 s[2:3], vcc
	s_cbranch_execz .LBB563_293
; %bb.288:
	s_movk_i32 s8, 0x80
	v_cmp_ne_u16_e32 vcc, s8, v50
	v_bfrev_b32_e32 v36, 1
	s_and_saveexec_b64 s[8:9], vcc
	s_cbranch_execz .LBB563_292
; %bb.289:
	v_bfe_u32 v50, v37, 16, 7
	s_movk_i32 s10, 0x7f
	v_cmp_ne_u32_e32 vcc, s10, v50
	v_mov_b32_e32 v36, 0x7f800001
	s_and_saveexec_b64 s[10:11], vcc
	s_cbranch_execz .LBB563_291
; %bb.290:
	v_and_b32_e32 v36, 7, v34
	v_ffbh_u32_e32 v56, v36
	v_min_u32_e32 v59, 32, v56
	v_subrev_u32_e32 v56, 28, v59
	v_lshlrev_b64 v[56:57], v56, v[34:35]
	v_lshrrev_b32_e32 v58, 3, v50
	v_sub_u32_e32 v34, 29, v59
	v_and_b32_e32 v56, 7, v56
	v_cmp_gt_u32_e32 vcc, 8, v50
	v_mov_b32_e32 v50, 24
	v_cndmask_b32_e32 v34, v58, v34, vcc
	v_cndmask_b32_e32 v36, v36, v56, vcc
	v_lshlrev_b32_sdwa v50, v50, v37 dst_sel:DWORD dst_unused:UNUSED_PAD src0_sel:DWORD src1_sel:WORD_1
	v_bfrev_b32_e32 v56, 60
	v_lshlrev_b32_e32 v36, 20, v36
	v_and_b32_e32 v50, 0x80000000, v50
	v_lshl_add_u32 v34, v34, 23, v56
	v_or3_b32 v36, v50, v34, v36
.LBB563_291:
	s_or_b64 exec, exec, s[10:11]
.LBB563_292:
	s_or_b64 exec, exec, s[8:9]
.LBB563_293:
	s_or_b64 exec, exec, s[2:3]
	s_mov_b32 s2, 0xffffff
	v_cmp_lt_u32_e32 vcc, s2, v37
	v_mov_b32_e32 v50, 0
	v_mov_b32_e32 v56, 0
	s_and_saveexec_b64 s[2:3], vcc
	s_cbranch_execz .LBB563_299
; %bb.294:
	v_lshrrev_b32_e32 v34, 24, v37
	s_movk_i32 s8, 0x80
	v_cmp_ne_u32_e32 vcc, s8, v34
	v_bfrev_b32_e32 v56, 1
	s_and_saveexec_b64 s[8:9], vcc
	s_cbranch_execz .LBB563_298
; %bb.295:
	v_bfe_u32 v37, v37, 24, 7
	s_movk_i32 s10, 0x7f
	v_cmp_ne_u32_e32 vcc, s10, v37
	v_mov_b32_e32 v56, 0x7f800001
	s_and_saveexec_b64 s[10:11], vcc
	s_cbranch_execz .LBB563_297
; %bb.296:
	v_and_b32_e32 v58, 7, v34
	v_ffbh_u32_e32 v56, v58
	v_min_u32_e32 v60, 32, v56
	v_subrev_u32_e32 v56, 28, v60
	v_lshlrev_b64 v[56:57], v56, v[34:35]
	v_lshrrev_b32_e32 v59, 3, v37
	v_sub_u32_e32 v57, 29, v60
	v_and_b32_e32 v56, 7, v56
	v_cmp_gt_u32_e32 vcc, 8, v37
	v_cndmask_b32_e32 v37, v59, v57, vcc
	v_cndmask_b32_e32 v56, v58, v56, vcc
	v_lshlrev_b32_e32 v34, 24, v34
	v_bfrev_b32_e32 v57, 60
	v_lshlrev_b32_e32 v56, 20, v56
	v_and_b32_e32 v34, 0x80000000, v34
	v_lshl_add_u32 v37, v37, 23, v57
	v_or3_b32 v56, v34, v37, v56
.LBB563_297:
	s_or_b64 exec, exec, s[10:11]
.LBB563_298:
	s_or_b64 exec, exec, s[8:9]
.LBB563_299:
	s_or_b64 exec, exec, s[2:3]
	v_cvt_pkrtz_f16_f32 v34, v51, v52
	v_cvt_pkrtz_f16_f32 v35, v35, v54
	s_waitcnt vmcnt(4)
	v_cmp_ne_u16_sdwa s[8:9], v22, v50 src0_sel:BYTE_0 src1_sel:DWORD
	v_mfma_f32_16x16x16f16 v[42:45], v[34:35], v[18:19], v[42:45]
	v_cvt_pkrtz_f16_f32 v34, v53, v55
	v_cvt_pkrtz_f16_f32 v35, v36, v56
	s_nop 1
	v_mfma_f32_16x16x16f16 v[34:37], v[34:35], v[20:21], v[42:45]
	s_and_saveexec_b64 s[2:3], s[8:9]
	s_cbranch_execz .LBB563_305
; %bb.300:
	s_movk_i32 s8, 0x80
	v_cmp_ne_u16_sdwa s[10:11], v22, s8 src0_sel:BYTE_0 src1_sel:DWORD
	v_bfrev_b32_e32 v50, 1
	s_and_saveexec_b64 s[8:9], s[10:11]
	s_cbranch_execz .LBB563_304
; %bb.301:
	s_movk_i32 s10, 0x7f
	v_and_b32_e32 v42, 0x7f, v22
	v_cmp_ne_u32_e32 vcc, s10, v42
	v_mov_b32_e32 v50, 0x7f800001
	s_and_saveexec_b64 s[10:11], vcc
	s_cbranch_execz .LBB563_303
; %bb.302:
	v_and_b32_e32 v43, 7, v22
	v_ffbh_u32_e32 v44, v43
	v_min_u32_e32 v51, 32, v44
	v_subrev_u32_e32 v44, 28, v51
	v_lshlrev_b64 v[44:45], v44, v[22:23]
	v_lshrrev_b32_e32 v50, 3, v42
	v_sub_u32_e32 v45, 29, v51
	v_and_b32_e32 v44, 7, v44
	v_cmp_gt_u32_e32 vcc, 8, v42
	v_cndmask_b32_e32 v42, v50, v45, vcc
	v_cndmask_b32_e32 v43, v43, v44, vcc
	v_lshlrev_b32_e32 v44, 24, v22
	v_bfrev_b32_e32 v45, 60
	v_lshlrev_b32_e32 v43, 20, v43
	v_and_b32_e32 v44, 0x80000000, v44
	v_lshl_add_u32 v42, v42, 23, v45
	v_or3_b32 v50, v44, v42, v43
.LBB563_303:
	s_or_b64 exec, exec, s[10:11]
.LBB563_304:
	s_or_b64 exec, exec, s[8:9]
.LBB563_305:
	s_or_b64 exec, exec, s[2:3]
	s_nop 3
	v_lshrrev_b16_e32 v42, 8, v22
	v_cmp_ne_u16_e32 vcc, 0, v42
	v_mov_b32_e32 v43, 0
	v_mov_b32_e32 v44, 0
	s_and_saveexec_b64 s[2:3], vcc
	s_cbranch_execz .LBB563_311
; %bb.306:
	s_movk_i32 s8, 0x80
	v_cmp_ne_u16_e32 vcc, s8, v42
	v_bfrev_b32_e32 v44, 1
	s_and_saveexec_b64 s[8:9], vcc
	s_cbranch_execz .LBB563_310
; %bb.307:
	s_movk_i32 s10, 0x7f
	v_and_b32_e32 v45, 0x7f, v42
	v_cmp_ne_u32_e32 vcc, s10, v45
	v_mov_b32_e32 v44, 0x7f800001
	s_and_saveexec_b64 s[10:11], vcc
	s_cbranch_execz .LBB563_309
; %bb.308:
	v_and_b32_e32 v44, 7, v42
	v_ffbh_u32_e32 v52, v44
	v_min_u32_e32 v54, 32, v52
	v_subrev_u32_e32 v52, 28, v54
	v_lshlrev_b64 v[52:53], v52, v[42:43]
	v_lshrrev_b32_e32 v51, 3, v45
	v_sub_u32_e32 v42, 29, v54
	v_and_b32_e32 v52, 7, v52
	v_cmp_gt_u32_e32 vcc, 8, v45
	v_cndmask_b32_e32 v42, v51, v42, vcc
	v_cndmask_b32_e32 v44, v44, v52, vcc
	v_lshlrev_b32_e32 v45, 16, v22
	v_bfrev_b32_e32 v51, 60
	v_lshlrev_b32_e32 v44, 20, v44
	v_and_b32_e32 v45, 0x80000000, v45
	v_lshl_add_u32 v42, v42, 23, v51
	v_or3_b32 v44, v45, v42, v44
.LBB563_309:
	s_or_b64 exec, exec, s[10:11]
.LBB563_310:
	s_or_b64 exec, exec, s[8:9]
.LBB563_311:
	s_or_b64 exec, exec, s[2:3]
	s_movk_i32 s2, 0xff
	v_and_b32_sdwa v45, v22, s2 dst_sel:DWORD dst_unused:UNUSED_PAD src0_sel:WORD_1 src1_sel:DWORD
	v_lshrrev_b32_e32 v42, 16, v22
	v_cmp_ne_u16_e32 vcc, 0, v45
	s_and_saveexec_b64 s[2:3], vcc
	s_cbranch_execz .LBB563_317
; %bb.312:
	s_movk_i32 s8, 0x80
	v_cmp_ne_u16_e32 vcc, s8, v45
	v_bfrev_b32_e32 v43, 1
	s_and_saveexec_b64 s[8:9], vcc
	s_cbranch_execz .LBB563_316
; %bb.313:
	v_bfe_u32 v45, v22, 16, 7
	s_movk_i32 s10, 0x7f
	v_cmp_ne_u32_e32 vcc, s10, v45
	v_mov_b32_e32 v43, 0x7f800001
	s_and_saveexec_b64 s[10:11], vcc
	s_cbranch_execz .LBB563_315
; %bb.314:
	v_and_b32_e32 v51, 7, v42
	v_ffbh_u32_e32 v43, v51
	v_min_u32_e32 v53, 32, v43
	v_subrev_u32_e32 v43, 28, v53
	v_lshlrev_b64 v[42:43], v43, v[42:43]
	v_lshrrev_b32_e32 v52, 3, v45
	v_sub_u32_e32 v43, 29, v53
	v_and_b32_e32 v42, 7, v42
	v_cmp_gt_u32_e32 vcc, 8, v45
	v_mov_b32_e32 v45, 24
	v_cndmask_b32_e32 v43, v52, v43, vcc
	v_cndmask_b32_e32 v42, v51, v42, vcc
	v_lshlrev_b32_sdwa v45, v45, v22 dst_sel:DWORD dst_unused:UNUSED_PAD src0_sel:DWORD src1_sel:WORD_1
	v_bfrev_b32_e32 v51, 60
	v_lshlrev_b32_e32 v42, 20, v42
	v_and_b32_e32 v45, 0x80000000, v45
	v_lshl_add_u32 v43, v43, 23, v51
	v_or3_b32 v43, v45, v43, v42
.LBB563_315:
	s_or_b64 exec, exec, s[10:11]
.LBB563_316:
	s_or_b64 exec, exec, s[8:9]
.LBB563_317:
	s_or_b64 exec, exec, s[2:3]
	s_mov_b32 s2, 0xffffff
	v_cmp_lt_u32_e32 vcc, s2, v22
	v_mov_b32_e32 v45, 0
	v_mov_b32_e32 v51, 0
	s_and_saveexec_b64 s[2:3], vcc
	s_cbranch_execz .LBB563_323
; %bb.318:
	v_lshrrev_b32_e32 v42, 24, v22
	s_movk_i32 s8, 0x80
	v_cmp_ne_u32_e32 vcc, s8, v42
	v_bfrev_b32_e32 v51, 1
	s_and_saveexec_b64 s[8:9], vcc
	s_cbranch_execz .LBB563_322
; %bb.319:
	v_bfe_u32 v22, v22, 24, 7
	s_movk_i32 s10, 0x7f
	v_cmp_ne_u32_e32 vcc, s10, v22
	v_mov_b32_e32 v51, 0x7f800001
	s_and_saveexec_b64 s[10:11], vcc
	s_cbranch_execz .LBB563_321
; %bb.320:
	v_and_b32_e32 v51, 7, v42
	v_ffbh_u32_e32 v52, v51
	v_min_u32_e32 v55, 32, v52
	v_subrev_u32_e32 v52, 28, v55
	v_lshlrev_b64 v[52:53], v52, v[42:43]
	v_lshrrev_b32_e32 v54, 3, v22
	v_sub_u32_e32 v53, 29, v55
	v_and_b32_e32 v52, 7, v52
	v_cmp_gt_u32_e32 vcc, 8, v22
	v_cndmask_b32_e32 v22, v54, v53, vcc
	v_cndmask_b32_e32 v51, v51, v52, vcc
	v_lshlrev_b32_e32 v42, 24, v42
	v_bfrev_b32_e32 v52, 60
	v_lshlrev_b32_e32 v51, 20, v51
	v_and_b32_e32 v42, 0x80000000, v42
	v_lshl_add_u32 v22, v22, 23, v52
	v_or3_b32 v51, v42, v22, v51
.LBB563_321:
	s_or_b64 exec, exec, s[10:11]
.LBB563_322:
	s_or_b64 exec, exec, s[8:9]
.LBB563_323:
	s_or_b64 exec, exec, s[2:3]
	v_cmp_ne_u16_sdwa s[8:9], v23, v45 src0_sel:BYTE_0 src1_sel:DWORD
	s_and_saveexec_b64 s[2:3], s[8:9]
	s_cbranch_execz .LBB563_329
; %bb.324:
	s_movk_i32 s8, 0x80
	v_cmp_ne_u16_sdwa s[10:11], v23, s8 src0_sel:BYTE_0 src1_sel:DWORD
	v_bfrev_b32_e32 v45, 1
	s_and_saveexec_b64 s[8:9], s[10:11]
	s_cbranch_execz .LBB563_328
; %bb.325:
	s_movk_i32 s10, 0x7f
	v_and_b32_e32 v22, 0x7f, v23
	v_cmp_ne_u32_e32 vcc, s10, v22
	v_mov_b32_e32 v45, 0x7f800001
	s_and_saveexec_b64 s[10:11], vcc
	s_cbranch_execz .LBB563_327
; %bb.326:
	v_and_b32_e32 v45, 7, v23
	v_ffbh_u32_e32 v52, v45
	v_min_u32_e32 v55, 32, v52
	v_mov_b32_e32 v42, v23
	v_subrev_u32_e32 v52, 28, v55
	v_lshlrev_b64 v[52:53], v52, v[42:43]
	v_lshrrev_b32_e32 v54, 3, v22
	v_sub_u32_e32 v42, 29, v55
	v_and_b32_e32 v52, 7, v52
	v_cmp_gt_u32_e32 vcc, 8, v22
	v_cndmask_b32_e32 v22, v54, v42, vcc
	v_cndmask_b32_e32 v42, v45, v52, vcc
	v_lshlrev_b32_e32 v45, 24, v23
	v_bfrev_b32_e32 v52, 60
	v_lshlrev_b32_e32 v42, 20, v42
	v_and_b32_e32 v45, 0x80000000, v45
	v_lshl_add_u32 v22, v22, 23, v52
	v_or3_b32 v45, v45, v22, v42
.LBB563_327:
	s_or_b64 exec, exec, s[10:11]
.LBB563_328:
	s_or_b64 exec, exec, s[8:9]
.LBB563_329:
	s_or_b64 exec, exec, s[2:3]
	v_lshrrev_b16_e32 v22, 8, v23
	v_cmp_ne_u16_e32 vcc, 0, v22
	v_mov_b32_e32 v52, 0
	v_mov_b32_e32 v53, 0
	s_and_saveexec_b64 s[2:3], vcc
	s_cbranch_execz .LBB563_335
; %bb.330:
	s_movk_i32 s8, 0x80
	v_cmp_ne_u16_e32 vcc, s8, v22
	v_bfrev_b32_e32 v53, 1
	s_and_saveexec_b64 s[8:9], vcc
	s_cbranch_execz .LBB563_334
; %bb.331:
	s_movk_i32 s10, 0x7f
	v_and_b32_e32 v42, 0x7f, v22
	v_cmp_ne_u32_e32 vcc, s10, v42
	v_mov_b32_e32 v53, 0x7f800001
	s_and_saveexec_b64 s[10:11], vcc
	s_cbranch_execz .LBB563_333
; %bb.332:
	v_and_b32_e32 v53, 7, v22
	v_ffbh_u32_e32 v54, v53
	v_min_u32_e32 v57, 32, v54
	v_subrev_u32_e32 v54, 28, v57
	v_lshlrev_b64 v[54:55], v54, v[22:23]
	v_lshrrev_b32_e32 v56, 3, v42
	v_sub_u32_e32 v22, 29, v57
	v_and_b32_e32 v54, 7, v54
	v_cmp_gt_u32_e32 vcc, 8, v42
	v_cndmask_b32_e32 v22, v56, v22, vcc
	v_cndmask_b32_e32 v42, v53, v54, vcc
	v_lshlrev_b32_e32 v53, 16, v23
	v_bfrev_b32_e32 v54, 60
	v_lshlrev_b32_e32 v42, 20, v42
	v_and_b32_e32 v53, 0x80000000, v53
	v_lshl_add_u32 v22, v22, 23, v54
	v_or3_b32 v53, v53, v22, v42
.LBB563_333:
	s_or_b64 exec, exec, s[10:11]
.LBB563_334:
	s_or_b64 exec, exec, s[8:9]
.LBB563_335:
	s_or_b64 exec, exec, s[2:3]
	s_movk_i32 s2, 0xff
	v_and_b32_sdwa v42, v23, s2 dst_sel:DWORD dst_unused:UNUSED_PAD src0_sel:WORD_1 src1_sel:DWORD
	v_lshrrev_b32_e32 v22, 16, v23
	v_cmp_ne_u16_e32 vcc, 0, v42
	s_and_saveexec_b64 s[2:3], vcc
	s_cbranch_execz .LBB563_341
; %bb.336:
	s_movk_i32 s8, 0x80
	v_cmp_ne_u16_e32 vcc, s8, v42
	v_bfrev_b32_e32 v52, 1
	s_and_saveexec_b64 s[8:9], vcc
	s_cbranch_execz .LBB563_340
; %bb.337:
	v_bfe_u32 v42, v23, 16, 7
	s_movk_i32 s10, 0x7f
	v_cmp_ne_u32_e32 vcc, s10, v42
	v_mov_b32_e32 v52, 0x7f800001
	s_and_saveexec_b64 s[10:11], vcc
	s_cbranch_execz .LBB563_339
; %bb.338:
	v_and_b32_e32 v52, 7, v22
	v_ffbh_u32_e32 v54, v52
	v_min_u32_e32 v57, 32, v54
	v_subrev_u32_e32 v54, 28, v57
	v_lshlrev_b64 v[54:55], v54, v[22:23]
	v_and_b32_e32 v54, 7, v54
	v_cmp_gt_u32_e32 vcc, 8, v42
	v_lshrrev_b32_e32 v56, 3, v42
	v_sub_u32_e32 v22, 29, v57
	v_cndmask_b32_e32 v42, v52, v54, vcc
	v_mov_b32_e32 v52, 24
	v_cndmask_b32_e32 v22, v56, v22, vcc
	v_lshlrev_b32_sdwa v52, v52, v23 dst_sel:DWORD dst_unused:UNUSED_PAD src0_sel:DWORD src1_sel:WORD_1
	v_bfrev_b32_e32 v54, 60
	v_lshlrev_b32_e32 v42, 20, v42
	v_and_b32_e32 v52, 0x80000000, v52
	v_lshl_add_u32 v22, v22, 23, v54
	v_or3_b32 v52, v52, v22, v42
.LBB563_339:
	s_or_b64 exec, exec, s[10:11]
.LBB563_340:
	s_or_b64 exec, exec, s[8:9]
.LBB563_341:
	s_or_b64 exec, exec, s[2:3]
	s_mov_b32 s2, 0xffffff
	v_cmp_lt_u32_e32 vcc, s2, v23
	v_mov_b32_e32 v42, 0
	v_mov_b32_e32 v54, 0
	s_and_saveexec_b64 s[2:3], vcc
	s_cbranch_execz .LBB563_347
; %bb.342:
	v_lshrrev_b32_e32 v22, 24, v23
	s_movk_i32 s8, 0x80
	v_cmp_ne_u32_e32 vcc, s8, v22
	v_bfrev_b32_e32 v54, 1
	s_and_saveexec_b64 s[8:9], vcc
	s_cbranch_execz .LBB563_346
; %bb.343:
	v_bfe_u32 v23, v23, 24, 7
	s_movk_i32 s10, 0x7f
	v_cmp_ne_u32_e32 vcc, s10, v23
	v_mov_b32_e32 v54, 0x7f800001
	s_and_saveexec_b64 s[10:11], vcc
	s_cbranch_execz .LBB563_345
; %bb.344:
	v_and_b32_e32 v56, 7, v22
	v_ffbh_u32_e32 v54, v56
	v_min_u32_e32 v58, 32, v54
	v_subrev_u32_e32 v54, 28, v58
	v_lshlrev_b64 v[54:55], v54, v[22:23]
	v_lshrrev_b32_e32 v57, 3, v23
	v_sub_u32_e32 v55, 29, v58
	v_and_b32_e32 v54, 7, v54
	v_cmp_gt_u32_e32 vcc, 8, v23
	v_cndmask_b32_e32 v23, v57, v55, vcc
	v_cndmask_b32_e32 v54, v56, v54, vcc
	v_lshlrev_b32_e32 v22, 24, v22
	v_bfrev_b32_e32 v55, 60
	v_lshlrev_b32_e32 v54, 20, v54
	v_and_b32_e32 v22, 0x80000000, v22
	v_lshl_add_u32 v23, v23, 23, v55
	v_or3_b32 v54, v22, v23, v54
.LBB563_345:
	s_or_b64 exec, exec, s[10:11]
.LBB563_346:
	s_or_b64 exec, exec, s[8:9]
.LBB563_347:
	s_or_b64 exec, exec, s[2:3]
	v_cvt_pkrtz_f16_f32 v22, v50, v44
	v_cvt_pkrtz_f16_f32 v23, v43, v51
	v_cmp_ne_u16_sdwa s[8:9], v24, v42 src0_sel:BYTE_0 src1_sel:DWORD
	s_nop 0
	v_mfma_f32_16x16x16f16 v[56:59], v[22:23], v[26:27], 0
	v_cvt_pkrtz_f16_f32 v22, v45, v53
	v_cvt_pkrtz_f16_f32 v23, v52, v54
	s_nop 1
	v_mfma_f32_16x16x16f16 v[26:29], v[22:23], v[28:29], v[56:59]
	s_and_saveexec_b64 s[2:3], s[8:9]
	s_cbranch_execz .LBB563_353
; %bb.348:
	s_movk_i32 s8, 0x80
	v_cmp_ne_u16_sdwa s[10:11], v24, s8 src0_sel:BYTE_0 src1_sel:DWORD
	v_bfrev_b32_e32 v42, 1
	s_and_saveexec_b64 s[8:9], s[10:11]
	s_cbranch_execz .LBB563_352
; %bb.349:
	s_movk_i32 s10, 0x7f
	v_and_b32_e32 v22, 0x7f, v24
	v_cmp_ne_u32_e32 vcc, s10, v22
	v_mov_b32_e32 v42, 0x7f800001
	s_and_saveexec_b64 s[10:11], vcc
	s_cbranch_execz .LBB563_351
; %bb.350:
	v_and_b32_e32 v23, 7, v24
	v_ffbh_u32_e32 v42, v23
	v_min_u32_e32 v45, 32, v42
	v_subrev_u32_e32 v42, 28, v45
	v_lshlrev_b64 v[42:43], v42, v[24:25]
	v_lshrrev_b32_e32 v44, 3, v22
	v_sub_u32_e32 v43, 29, v45
	v_and_b32_e32 v42, 7, v42
	v_cmp_gt_u32_e32 vcc, 8, v22
	v_cndmask_b32_e32 v22, v44, v43, vcc
	v_cndmask_b32_e32 v23, v23, v42, vcc
	v_lshlrev_b32_e32 v42, 24, v24
	v_bfrev_b32_e32 v43, 60
	v_lshlrev_b32_e32 v23, 20, v23
	v_and_b32_e32 v42, 0x80000000, v42
	v_lshl_add_u32 v22, v22, 23, v43
	v_or3_b32 v42, v42, v22, v23
.LBB563_351:
	s_or_b64 exec, exec, s[10:11]
.LBB563_352:
	s_or_b64 exec, exec, s[8:9]
.LBB563_353:
	s_or_b64 exec, exec, s[2:3]
	v_lshrrev_b16_e32 v22, 8, v24
	v_cmp_ne_u16_e32 vcc, 0, v22
	v_mov_b32_e32 v23, 0
	v_mov_b32_e32 v43, 0
	s_and_saveexec_b64 s[2:3], vcc
	s_cbranch_execz .LBB563_359
; %bb.354:
	s_movk_i32 s8, 0x80
	v_cmp_ne_u16_e32 vcc, s8, v22
	v_bfrev_b32_e32 v43, 1
	s_and_saveexec_b64 s[8:9], vcc
	s_cbranch_execz .LBB563_358
; %bb.355:
	s_movk_i32 s10, 0x7f
	v_and_b32_e32 v44, 0x7f, v22
	v_cmp_ne_u32_e32 vcc, s10, v44
	v_mov_b32_e32 v43, 0x7f800001
	s_and_saveexec_b64 s[10:11], vcc
	s_cbranch_execz .LBB563_357
; %bb.356:
	v_and_b32_e32 v43, 7, v22
	v_ffbh_u32_e32 v50, v43
	v_min_u32_e32 v52, 32, v50
	v_subrev_u32_e32 v50, 28, v52
	v_lshlrev_b64 v[50:51], v50, v[22:23]
	v_lshrrev_b32_e32 v45, 3, v44
	v_sub_u32_e32 v22, 29, v52
	v_and_b32_e32 v50, 7, v50
	v_cmp_gt_u32_e32 vcc, 8, v44
	v_cndmask_b32_e32 v22, v45, v22, vcc
	v_cndmask_b32_e32 v43, v43, v50, vcc
	v_lshlrev_b32_e32 v44, 16, v24
	v_bfrev_b32_e32 v45, 60
	v_lshlrev_b32_e32 v43, 20, v43
	v_and_b32_e32 v44, 0x80000000, v44
	v_lshl_add_u32 v22, v22, 23, v45
	v_or3_b32 v43, v44, v22, v43
.LBB563_357:
	s_or_b64 exec, exec, s[10:11]
.LBB563_358:
	s_or_b64 exec, exec, s[8:9]
.LBB563_359:
	s_or_b64 exec, exec, s[2:3]
	s_movk_i32 s2, 0xff
	v_and_b32_sdwa v44, v24, s2 dst_sel:DWORD dst_unused:UNUSED_PAD src0_sel:WORD_1 src1_sel:DWORD
	v_lshrrev_b32_e32 v22, 16, v24
	v_cmp_ne_u16_e32 vcc, 0, v44
	s_and_saveexec_b64 s[2:3], vcc
	s_cbranch_execz .LBB563_365
; %bb.360:
	s_movk_i32 s8, 0x80
	v_cmp_ne_u16_e32 vcc, s8, v44
	v_bfrev_b32_e32 v23, 1
	s_and_saveexec_b64 s[8:9], vcc
	s_cbranch_execz .LBB563_364
; %bb.361:
	v_bfe_u32 v44, v24, 16, 7
	s_movk_i32 s10, 0x7f
	v_cmp_ne_u32_e32 vcc, s10, v44
	v_mov_b32_e32 v23, 0x7f800001
	s_and_saveexec_b64 s[10:11], vcc
	s_cbranch_execz .LBB563_363
; %bb.362:
	v_and_b32_e32 v45, 7, v22
	v_ffbh_u32_e32 v23, v45
	v_min_u32_e32 v51, 32, v23
	v_subrev_u32_e32 v23, 28, v51
	v_lshlrev_b64 v[22:23], v23, v[22:23]
	v_lshrrev_b32_e32 v50, 3, v44
	v_sub_u32_e32 v23, 29, v51
	v_and_b32_e32 v22, 7, v22
	v_cmp_gt_u32_e32 vcc, 8, v44
	v_mov_b32_e32 v44, 24
	v_cndmask_b32_e32 v23, v50, v23, vcc
	v_cndmask_b32_e32 v22, v45, v22, vcc
	v_lshlrev_b32_sdwa v44, v44, v24 dst_sel:DWORD dst_unused:UNUSED_PAD src0_sel:DWORD src1_sel:WORD_1
	v_bfrev_b32_e32 v45, 60
	v_lshlrev_b32_e32 v22, 20, v22
	v_and_b32_e32 v44, 0x80000000, v44
	v_lshl_add_u32 v23, v23, 23, v45
	v_or3_b32 v23, v44, v23, v22
.LBB563_363:
	s_or_b64 exec, exec, s[10:11]
.LBB563_364:
	s_or_b64 exec, exec, s[8:9]
.LBB563_365:
	s_or_b64 exec, exec, s[2:3]
	s_mov_b32 s2, 0xffffff
	v_cmp_lt_u32_e32 vcc, s2, v24
	v_mov_b32_e32 v44, 0
	v_mov_b32_e32 v45, 0
	s_and_saveexec_b64 s[2:3], vcc
	s_cbranch_execz .LBB563_371
; %bb.366:
	v_lshrrev_b32_e32 v22, 24, v24
	s_movk_i32 s8, 0x80
	v_cmp_ne_u32_e32 vcc, s8, v22
	v_bfrev_b32_e32 v45, 1
	s_and_saveexec_b64 s[8:9], vcc
	s_cbranch_execz .LBB563_370
; %bb.367:
	v_bfe_u32 v24, v24, 24, 7
	s_movk_i32 s10, 0x7f
	v_cmp_ne_u32_e32 vcc, s10, v24
	v_mov_b32_e32 v45, 0x7f800001
	s_and_saveexec_b64 s[10:11], vcc
	s_cbranch_execz .LBB563_369
; %bb.368:
	v_and_b32_e32 v45, 7, v22
	v_ffbh_u32_e32 v50, v45
	v_min_u32_e32 v53, 32, v50
	v_subrev_u32_e32 v50, 28, v53
	v_lshlrev_b64 v[50:51], v50, v[22:23]
	v_lshrrev_b32_e32 v52, 3, v24
	v_sub_u32_e32 v51, 29, v53
	v_and_b32_e32 v50, 7, v50
	v_cmp_gt_u32_e32 vcc, 8, v24
	v_cndmask_b32_e32 v24, v52, v51, vcc
	v_cndmask_b32_e32 v45, v45, v50, vcc
	v_lshlrev_b32_e32 v22, 24, v22
	v_bfrev_b32_e32 v50, 60
	v_lshlrev_b32_e32 v45, 20, v45
	v_and_b32_e32 v22, 0x80000000, v22
	v_lshl_add_u32 v24, v24, 23, v50
	v_or3_b32 v45, v22, v24, v45
.LBB563_369:
	s_or_b64 exec, exec, s[10:11]
.LBB563_370:
	s_or_b64 exec, exec, s[8:9]
.LBB563_371:
	s_or_b64 exec, exec, s[2:3]
	v_cmp_ne_u16_sdwa s[8:9], v25, v44 src0_sel:BYTE_0 src1_sel:DWORD
	s_and_saveexec_b64 s[2:3], s[8:9]
	s_cbranch_execz .LBB563_377
; %bb.372:
	s_movk_i32 s8, 0x80
	v_cmp_ne_u16_sdwa s[10:11], v25, s8 src0_sel:BYTE_0 src1_sel:DWORD
	v_bfrev_b32_e32 v44, 1
	s_and_saveexec_b64 s[8:9], s[10:11]
	s_cbranch_execz .LBB563_376
; %bb.373:
	s_movk_i32 s10, 0x7f
	v_and_b32_e32 v22, 0x7f, v25
	v_cmp_ne_u32_e32 vcc, s10, v22
	v_mov_b32_e32 v44, 0x7f800001
	s_and_saveexec_b64 s[10:11], vcc
	s_cbranch_execz .LBB563_375
; %bb.374:
	v_and_b32_e32 v44, 7, v25
	v_ffbh_u32_e32 v50, v44
	v_min_u32_e32 v53, 32, v50
	v_mov_b32_e32 v24, v25
	v_subrev_u32_e32 v50, 28, v53
	v_lshlrev_b64 v[50:51], v50, v[24:25]
	v_lshrrev_b32_e32 v52, 3, v22
	v_sub_u32_e32 v24, 29, v53
	v_and_b32_e32 v50, 7, v50
	v_cmp_gt_u32_e32 vcc, 8, v22
	v_cndmask_b32_e32 v22, v52, v24, vcc
	v_cndmask_b32_e32 v24, v44, v50, vcc
	v_lshlrev_b32_e32 v44, 24, v25
	v_bfrev_b32_e32 v50, 60
	v_lshlrev_b32_e32 v24, 20, v24
	v_and_b32_e32 v44, 0x80000000, v44
	v_lshl_add_u32 v22, v22, 23, v50
	v_or3_b32 v44, v44, v22, v24
.LBB563_375:
	s_or_b64 exec, exec, s[10:11]
.LBB563_376:
	s_or_b64 exec, exec, s[8:9]
.LBB563_377:
	s_or_b64 exec, exec, s[2:3]
	v_lshrrev_b16_e32 v22, 8, v25
	v_cmp_ne_u16_e32 vcc, 0, v22
	v_mov_b32_e32 v24, 0
	v_mov_b32_e32 v51, 0
	s_and_saveexec_b64 s[2:3], vcc
	s_cbranch_execz .LBB563_383
; %bb.378:
	s_movk_i32 s8, 0x80
	v_cmp_ne_u16_e32 vcc, s8, v22
	v_bfrev_b32_e32 v51, 1
	s_and_saveexec_b64 s[8:9], vcc
	s_cbranch_execz .LBB563_382
; %bb.379:
	s_movk_i32 s10, 0x7f
	v_and_b32_e32 v50, 0x7f, v22
	v_cmp_ne_u32_e32 vcc, s10, v50
	v_mov_b32_e32 v51, 0x7f800001
	s_and_saveexec_b64 s[10:11], vcc
	s_cbranch_execz .LBB563_381
; %bb.380:
	v_and_b32_e32 v51, 7, v22
	v_ffbh_u32_e32 v52, v51
	v_min_u32_e32 v55, 32, v52
	v_subrev_u32_e32 v52, 28, v55
	v_lshlrev_b64 v[52:53], v52, v[22:23]
	v_lshrrev_b32_e32 v54, 3, v50
	v_sub_u32_e32 v22, 29, v55
	v_and_b32_e32 v52, 7, v52
	v_cmp_gt_u32_e32 vcc, 8, v50
	v_cndmask_b32_e32 v22, v54, v22, vcc
	v_cndmask_b32_e32 v50, v51, v52, vcc
	v_lshlrev_b32_e32 v51, 16, v25
	v_bfrev_b32_e32 v52, 60
	v_lshlrev_b32_e32 v50, 20, v50
	v_and_b32_e32 v51, 0x80000000, v51
	v_lshl_add_u32 v22, v22, 23, v52
	v_or3_b32 v51, v51, v22, v50
.LBB563_381:
	s_or_b64 exec, exec, s[10:11]
.LBB563_382:
	s_or_b64 exec, exec, s[8:9]
.LBB563_383:
	s_or_b64 exec, exec, s[2:3]
	s_movk_i32 s2, 0xff
	v_and_b32_sdwa v50, v25, s2 dst_sel:DWORD dst_unused:UNUSED_PAD src0_sel:WORD_1 src1_sel:DWORD
	v_lshrrev_b32_e32 v22, 16, v25
	v_cmp_ne_u16_e32 vcc, 0, v50
	s_and_saveexec_b64 s[2:3], vcc
	s_cbranch_execz .LBB563_389
; %bb.384:
	s_movk_i32 s8, 0x80
	v_cmp_ne_u16_e32 vcc, s8, v50
	v_bfrev_b32_e32 v24, 1
	s_and_saveexec_b64 s[8:9], vcc
	s_cbranch_execz .LBB563_388
; %bb.385:
	v_bfe_u32 v50, v25, 16, 7
	s_movk_i32 s10, 0x7f
	v_cmp_ne_u32_e32 vcc, s10, v50
	v_mov_b32_e32 v24, 0x7f800001
	s_and_saveexec_b64 s[10:11], vcc
	s_cbranch_execz .LBB563_387
; %bb.386:
	v_and_b32_e32 v24, 7, v22
	v_ffbh_u32_e32 v52, v24
	v_min_u32_e32 v55, 32, v52
	v_subrev_u32_e32 v52, 28, v55
	v_lshlrev_b64 v[52:53], v52, v[22:23]
	v_lshrrev_b32_e32 v54, 3, v50
	v_sub_u32_e32 v22, 29, v55
	v_and_b32_e32 v52, 7, v52
	v_cmp_gt_u32_e32 vcc, 8, v50
	v_mov_b32_e32 v50, 24
	v_cndmask_b32_e32 v22, v54, v22, vcc
	v_cndmask_b32_e32 v24, v24, v52, vcc
	v_lshlrev_b32_sdwa v50, v50, v25 dst_sel:DWORD dst_unused:UNUSED_PAD src0_sel:DWORD src1_sel:WORD_1
	v_bfrev_b32_e32 v52, 60
	v_lshlrev_b32_e32 v24, 20, v24
	v_and_b32_e32 v50, 0x80000000, v50
	v_lshl_add_u32 v22, v22, 23, v52
	v_or3_b32 v24, v50, v22, v24
.LBB563_387:
	s_or_b64 exec, exec, s[10:11]
.LBB563_388:
	s_or_b64 exec, exec, s[8:9]
.LBB563_389:
	s_or_b64 exec, exec, s[2:3]
	s_mov_b32 s2, 0xffffff
	v_and_b32_e32 v50, 63, v0
	v_cmp_lt_u32_e32 vcc, s2, v25
	v_mov_b32_e32 v52, 0
	s_and_saveexec_b64 s[2:3], vcc
	s_cbranch_execz .LBB563_395
; %bb.390:
	v_lshrrev_b32_e32 v22, 24, v25
	s_movk_i32 s8, 0x80
	v_cmp_ne_u32_e32 vcc, s8, v22
	v_bfrev_b32_e32 v52, 1
	s_and_saveexec_b64 s[8:9], vcc
	s_cbranch_execz .LBB563_394
; %bb.391:
	v_bfe_u32 v25, v25, 24, 7
	s_movk_i32 s10, 0x7f
	v_cmp_ne_u32_e32 vcc, s10, v25
	v_mov_b32_e32 v52, 0x7f800001
	s_and_saveexec_b64 s[10:11], vcc
	s_cbranch_execz .LBB563_393
; %bb.392:
	v_and_b32_e32 v54, 7, v22
	v_ffbh_u32_e32 v52, v54
	v_min_u32_e32 v56, 32, v52
	v_subrev_u32_e32 v52, 28, v56
	v_lshlrev_b64 v[52:53], v52, v[22:23]
	v_lshrrev_b32_e32 v55, 3, v25
	v_sub_u32_e32 v53, 29, v56
	v_and_b32_e32 v52, 7, v52
	v_cmp_gt_u32_e32 vcc, 8, v25
	v_cndmask_b32_e32 v25, v55, v53, vcc
	v_cndmask_b32_e32 v52, v54, v52, vcc
	v_lshlrev_b32_e32 v22, 24, v22
	v_bfrev_b32_e32 v53, 60
	v_lshlrev_b32_e32 v52, 20, v52
	v_and_b32_e32 v22, 0x80000000, v22
	v_lshl_add_u32 v25, v25, 23, v53
	v_or3_b32 v52, v22, v25, v52
.LBB563_393:
	s_or_b64 exec, exec, s[10:11]
.LBB563_394:
	s_or_b64 exec, exec, s[8:9]
.LBB563_395:
	s_or_b64 exec, exec, s[2:3]
	v_cvt_pkrtz_f16_f32 v42, v42, v43
	v_cvt_pkrtz_f16_f32 v43, v23, v45
	s_load_dword s2, s[4:5], 0x1c
	s_mov_b32 s46, 0xff7fffff
	s_waitcnt lgkmcnt(0)
	v_mfma_f32_16x16x16f16 v[26:29], v[42:43], v[18:19], v[26:29]
	v_cvt_pkrtz_f16_f32 v18, v44, v51
	v_cvt_pkrtz_f16_f32 v19, v24, v52
	v_and_b32_e32 v24, 0xc0, v0
	v_mov_b32_e32 v22, s2
	v_add_u32_e32 v24, s20, v24
	v_mul_f32_e32 v54, s12, v22
	v_lshl_or_b32 v42, v1, 2, v24
	v_mfma_f32_16x16x16f16 v[18:21], v[18:19], v[20:21], v[26:29]
	v_pk_mul_f32 v[22:23], v[54:55], v[36:37] op_sel_hi:[0,1]
	v_pk_mul_f32 v[36:37], v[54:55], v[40:41] op_sel_hi:[0,1]
	;; [unrolled: 1-line block ×4, first 2 shown]
	v_mov_b32_e32 v43, 0xff7fffff
	v_cmp_gt_i32_e64 s[26:27], s33, v42
	v_pk_mul_f32 v[38:39], v[54:55], v[38:39] op_sel_hi:[0,1]
	s_nop 3
	v_pk_mul_f32 v[32:33], v[54:55], v[18:19] op_sel_hi:[0,1]
	v_or_b32_e32 v19, 1, v42
	v_cmp_gt_i32_e64 s[28:29], s33, v19
	v_cndmask_b32_e64 v18, v43, v30, s[26:27]
	v_cndmask_b32_e64 v19, v43, v31, s[28:29]
	v_pk_mul_f32 v[24:25], v[54:55], v[20:21] op_sel_hi:[0,1]
	v_max3_f32 v18, v18, s46, v19
	v_or_b32_e32 v19, 2, v42
	v_or_b32_e32 v20, 3, v42
	v_cmp_gt_i32_e64 s[30:31], s33, v19
	v_cmp_gt_i32_e64 s[34:35], s33, v20
	v_cndmask_b32_e64 v19, v43, v40, s[30:31]
	v_cndmask_b32_e64 v20, v43, v41, s[34:35]
	v_max3_f32 v18, v18, v19, v20
	v_or_b32_e32 v19, 16, v42
	v_or_b32_e32 v20, 17, v42
	v_cmp_gt_i32_e64 s[36:37], s33, v19
	v_cmp_gt_i32_e64 s[38:39], s33, v20
	v_cndmask_b32_e64 v19, v43, v38, s[36:37]
	v_cndmask_b32_e64 v20, v43, v39, s[38:39]
	;; [unrolled: 7-line block ×3, first 2 shown]
	v_max3_f32 v18, v18, v19, v20
	v_or_b32_e32 v19, 32, v42
	v_or_b32_e32 v20, 33, v42
	v_pk_mul_f32 v[34:35], v[54:55], v[34:35] op_sel_hi:[0,1]
	v_cmp_gt_i32_e64 s[16:17], s33, v19
	v_cmp_gt_i32_e64 s[18:19], s33, v20
	v_cndmask_b32_e64 v19, v43, v34, s[16:17]
	v_cndmask_b32_e64 v20, v43, v35, s[18:19]
	v_max3_f32 v18, v18, v19, v20
	v_or_b32_e32 v19, 34, v42
	v_or_b32_e32 v20, 35, v42
	v_cmp_gt_i32_e64 s[12:13], s33, v19
	v_cmp_gt_i32_e64 s[14:15], s33, v20
	v_cndmask_b32_e64 v19, v43, v22, s[12:13]
	v_cndmask_b32_e64 v20, v43, v23, s[14:15]
	v_max3_f32 v18, v18, v19, v20
	v_or_b32_e32 v19, 48, v42
	v_or_b32_e32 v20, 49, v42
	;; [unrolled: 7-line block ×3, first 2 shown]
	v_cmp_gt_i32_e32 vcc, s33, v19
	v_cmp_gt_i32_e64 s[2:3], s33, v20
	v_cndmask_b32_e32 v19, v43, v24, vcc
	v_cndmask_b32_e64 v20, v43, v25, s[2:3]
	v_max3_f32 v18, v18, v19, v20
	v_mbcnt_lo_u32_b32 v19, -1, 0
	v_mbcnt_hi_u32_b32 v19, -1, v19
	v_and_b32_e32 v20, 64, v19
	v_add_u32_e32 v20, 64, v20
	v_xor_b32_e32 v21, 32, v19
	v_cmp_lt_i32_e64 s[40:41], v21, v20
	v_cndmask_b32_e64 v21, v19, v21, s[40:41]
	v_lshlrev_b32_e32 v43, 2, v21
	ds_bpermute_b32 v21, v43, v18
	s_barrier
	s_waitcnt lgkmcnt(0)
	v_max_f32_e32 v21, v21, v21
	v_max_f32_e32 v18, v18, v21
	v_xor_b32_e32 v21, 16, v19
	v_cmp_lt_i32_e64 s[40:41], v21, v20
	v_cndmask_b32_e64 v19, v19, v21, s[40:41]
	v_lshlrev_b32_e32 v44, 2, v19
	ds_bpermute_b32 v19, v44, v18
	s_waitcnt lgkmcnt(0)
	v_max_f32_e32 v19, v19, v19
	v_max_f32_e32 v42, v18, v19
	v_sub_f32_e32 v21, v40, v42
	v_sub_f32_e32 v26, v41, v42
	v_mul_f32_e32 v21, 0x3fb8aa3b, v21
	v_mul_f32_e32 v26, 0x3fb8aa3b, v26
	v_sub_f32_e32 v18, v30, v42
	v_exp_f32_e32 v21, v21
	v_exp_f32_e32 v26, v26
	v_mul_f32_e32 v18, 0x3fb8aa3b, v18
	v_sub_f32_e32 v19, v31, v42
	v_exp_f32_e32 v18, v18
	v_mul_f32_e32 v19, 0x3fb8aa3b, v19
	v_exp_f32_e32 v19, v19
	v_cndmask_b32_e64 v28, 0, v21, s[30:31]
	v_cndmask_b32_e64 v29, 0, v26, s[34:35]
	v_sub_f32_e32 v21, v38, v42
	v_sub_f32_e32 v26, v39, v42
	v_mul_f32_e32 v21, 0x3fb8aa3b, v21
	v_mul_f32_e32 v26, 0x3fb8aa3b, v26
	v_cndmask_b32_e64 v18, 0, v18, s[26:27]
	v_exp_f32_e32 v21, v21
	v_exp_f32_e32 v26, v26
	v_add_f32_e32 v20, 0, v18
	v_cndmask_b32_e64 v19, 0, v19, s[28:29]
	v_add_f32_e32 v20, v20, v19
	v_add_f32_e32 v20, v20, v28
	;; [unrolled: 1-line block ×3, first 2 shown]
	v_cndmask_b32_e64 v20, 0, v21, s[36:37]
	v_cndmask_b32_e64 v21, 0, v26, s[38:39]
	v_sub_f32_e32 v26, v36, v42
	v_mul_f32_e32 v26, 0x3fb8aa3b, v26
	v_exp_f32_e32 v26, v26
	v_sub_f32_e32 v30, v37, v42
	v_add_f32_e32 v27, v27, v20
	v_mul_f32_e32 v30, 0x3fb8aa3b, v30
	v_exp_f32_e32 v31, v30
	v_add_f32_e32 v27, v27, v21
	v_cndmask_b32_e64 v30, 0, v26, s[20:21]
	v_add_f32_e32 v26, v27, v30
	v_sub_f32_e32 v27, v34, v42
	v_mul_f32_e32 v27, 0x3fb8aa3b, v27
	v_sub_f32_e32 v34, v35, v42
	v_exp_f32_e32 v27, v27
	v_mul_f32_e32 v34, 0x3fb8aa3b, v34
	v_sub_f32_e32 v22, v22, v42
	v_exp_f32_e32 v34, v34
	;; [unrolled: 3-line block ×3, first 2 shown]
	v_mul_f32_e32 v23, 0x3fb8aa3b, v23
	v_cndmask_b32_e64 v31, 0, v31, s[22:23]
	v_exp_f32_e32 v23, v23
	v_add_f32_e32 v35, v26, v31
	v_cndmask_b32_e64 v26, 0, v27, s[16:17]
	v_add_f32_e32 v35, v35, v26
	v_cndmask_b32_e64 v27, 0, v34, s[18:19]
	;; [unrolled: 2-line block ×4, first 2 shown]
	v_sub_f32_e32 v23, v32, v42
	v_mul_f32_e32 v23, 0x3fb8aa3b, v23
	v_sub_f32_e32 v32, v33, v42
	v_exp_f32_e32 v23, v23
	v_mul_f32_e32 v32, 0x3fb8aa3b, v32
	v_sub_f32_e32 v24, v24, v42
	v_exp_f32_e32 v32, v32
	;; [unrolled: 3-line block ×3, first 2 shown]
	v_mul_f32_e32 v25, 0x3fb8aa3b, v25
	v_exp_f32_e32 v25, v25
	v_add_f32_e32 v33, v22, v35
	v_cndmask_b32_e64 v22, 0, v23, s[8:9]
	v_add_f32_e32 v33, v33, v22
	v_cndmask_b32_e64 v23, 0, v32, s[10:11]
	v_add_f32_e32 v32, v33, v23
	v_cndmask_b32_e32 v24, 0, v24, vcc
	v_add_f32_e32 v32, v32, v24
	v_cndmask_b32_e64 v25, 0, v25, s[2:3]
	v_add_f32_e32 v32, v32, v25
	ds_bpermute_b32 v33, v43, v32
	v_cmp_gt_u32_e32 vcc, 16, v50
	s_waitcnt lgkmcnt(0)
	v_add_f32_e32 v33, v32, v33
	ds_bpermute_b32 v36, v44, v33
	v_lshlrev_b32_e32 v32, 2, v48
	s_and_saveexec_b64 s[2:3], vcc
	s_cbranch_execz .LBB563_397
; %bb.396:
	s_waitcnt lgkmcnt(0)
	v_add_f32_e32 v33, v33, v36
	v_lshl_or_b32 v36, v49, 6, v32
	ds_write2st64_b32 v36, v42, v33 offset1:1
.LBB563_397:
	s_or_b64 exec, exec, s[2:3]
	s_waitcnt lgkmcnt(0)
	s_barrier
	ds_read2_b32 v[36:37], v32 offset1:16
	ds_read2_b32 v[38:39], v32 offset0:32 offset1:48
	ds_read2_b32 v[40:41], v32 offset0:64 offset1:80
	;; [unrolled: 1-line block ×3, first 2 shown]
	s_waitcnt lgkmcnt(0)
	v_max3_f32 v33, v36, s46, v37
	v_max3_f32 v33, v33, v38, v39
	v_sub_f32_e32 v36, v36, v33
	v_mul_f32_e32 v36, 0x3fb8aa3b, v36
	v_exp_f32_e32 v44, v36
	v_sub_f32_e32 v36, v37, v33
	v_mul_f32_e32 v36, 0x3fb8aa3b, v36
	v_exp_f32_e32 v37, v36
	v_sub_f32_e32 v36, v38, v33
	v_mul_f32_e32 v36, 0x3fb8aa3b, v36
	v_sub_f32_e32 v32, v39, v33
	v_exp_f32_e32 v38, v36
	v_mul_f32_e32 v32, 0x3fb8aa3b, v32
	v_exp_f32_e32 v39, v32
	v_fma_f32 v36, v44, v40, 0
	v_fmac_f32_e32 v36, v37, v41
	v_fmac_f32_e32 v36, v38, v42
	;; [unrolled: 1-line block ×3, first 2 shown]
	v_add_f32_e32 v40, 0x358637bd, v36
	v_div_scale_f32 v41, s[2:3], v40, v40, 1.0
	v_rcp_f32_e32 v42, v41
	s_barrier
	s_mul_i32 s12, s45, 6
	v_fma_f32 v43, -v41, v42, 1.0
	v_fmac_f32_e32 v42, v43, v42
	v_div_scale_f32 v43, vcc, 1.0, v40, 1.0
	v_mul_f32_e32 v45, v43, v42
	v_fma_f32 v50, -v41, v45, v43
	v_fmac_f32_e32 v45, v50, v42
	v_fma_f32 v41, -v41, v45, v43
	v_div_fmas_f32 v41, v41, v42, v45
	v_cmp_eq_u32_e32 vcc, 1, v49
	v_cndmask_b32_e32 v37, v44, v37, vcc
	v_cmp_eq_u32_e32 vcc, 2, v49
	v_cndmask_b32_e32 v37, v37, v38, vcc
	v_cmp_eq_u32_e32 vcc, 3, v49
	v_div_fixup_f32 v40, v41, v40, 1.0
	v_cndmask_b32_e32 v37, v37, v39, vcc
	v_mul_f32_e32 v38, v37, v40
	v_pk_mul_f32 v[28:29], v[38:39], v[28:29] op_sel_hi:[0,1]
	v_cvt_f16_f32_e32 v28, v28
	v_cvt_f16_f32_e32 v29, v29
	v_pk_mul_f32 v[18:19], v[38:39], v[18:19] op_sel_hi:[0,1]
	v_cvt_f16_f32_e32 v18, v18
	v_cvt_f16_f32_e32 v19, v19
	v_pack_b32_f16 v41, v28, v29
	v_pk_mul_f32 v[28:29], v[38:39], v[30:31] op_sel_hi:[0,1]
	v_pk_mul_f32 v[20:21], v[38:39], v[20:21] op_sel_hi:[0,1]
	v_cvt_f16_f32_e32 v20, v20
	v_cvt_f16_f32_e32 v21, v21
	;; [unrolled: 1-line block ×4, first 2 shown]
	v_pack_b32_f16 v40, v18, v19
	v_lshlrev_b32_e32 v18, 3, v1
	v_lshlrev_b32_e32 v19, 5, v48
	v_lshlrev_b32_e32 v28, 11, v49
	v_or3_b32 v28, v28, v19, v18
	v_pack_b32_f16 v20, v20, v21
	v_pack_b32_f16 v21, v30, v29
	ds_write2st64_b64 v28, v[40:41], v[20:21] offset1:1
	v_pk_mul_f32 v[20:21], v[38:39], v[34:35] op_sel_hi:[0,1]
	v_pk_mul_f32 v[26:27], v[38:39], v[26:27] op_sel_hi:[0,1]
	v_cvt_f16_f32_e32 v18, v26
	v_cvt_f16_f32_e32 v26, v27
	;; [unrolled: 1-line block ×4, first 2 shown]
	v_pk_mul_f32 v[20:21], v[38:39], v[24:25] op_sel_hi:[0,1]
	v_pk_mul_f32 v[22:23], v[38:39], v[22:23] op_sel_hi:[0,1]
	v_cvt_f16_f32_e32 v22, v22
	v_cvt_f16_f32_e32 v23, v23
	;; [unrolled: 1-line block ×4, first 2 shown]
	v_mov_b32_e32 v32, 0
	v_pack_b32_f16 v20, v18, v26
	v_pack_b32_f16 v21, v27, v29
	;; [unrolled: 1-line block ×4, first 2 shown]
	v_cmp_gt_u32_e32 vcc, 6, v0
	ds_write2st64_b64 v28, v[20:21], v[22:23] offset0:2 offset1:3
	s_and_saveexec_b64 s[2:3], vcc
	s_cbranch_execz .LBB563_399
; %bb.398:
	v_add_co_u32_e32 v22, vcc, s25, v48
	v_addc_co_u32_e64 v23, s[14:15], 0, 0, vcc
	v_mov_b32_e32 v18, s12
	v_mov_b32_e32 v21, 0
	v_mad_u64_u32 v[22:23], s[14:15], s6, v18, v[22:23]
	v_mov_b32_e32 v20, s24
	s_load_dwordx4 s[8:11], s[4:5], 0x58
	s_mul_i32 s7, s7, s12
	v_mad_u64_u32 v[20:21], s[14:15], v22, s44, v[20:21]
	v_add_u32_e32 v23, s7, v23
	v_mov_b32_e32 v18, v21
	v_mad_u64_u32 v[22:23], s[14:15], v23, s44, v[18:19]
	v_mov_b32_e32 v21, v22
	v_lshlrev_b64 v[20:21], 2, v[20:21]
	s_waitcnt lgkmcnt(0)
	v_mov_b32_e32 v18, s11
	v_add_co_u32_e32 v22, vcc, s10, v20
	v_addc_co_u32_e32 v23, vcc, v18, v21, vcc
	v_mov_b32_e32 v18, s9
	v_add_co_u32_e32 v20, vcc, s8, v20
	v_addc_co_u32_e32 v21, vcc, v18, v21, vcc
	global_store_dword v[22:23], v33, off
	global_store_dword v[20:21], v36, off
.LBB563_399:
	s_or_b64 exec, exec, s[2:3]
	v_mov_b32_e32 v20, 0
	s_waitcnt vmcnt(3)
	v_cmp_ne_u16_sdwa s[8:9], v14, v20 src0_sel:BYTE_0 src1_sel:DWORD
	s_waitcnt lgkmcnt(0)
	s_barrier
	s_and_saveexec_b64 s[2:3], s[8:9]
	s_cbranch_execz .LBB563_405
; %bb.400:
	s_movk_i32 s7, 0x80
	v_cmp_ne_u16_sdwa s[10:11], v14, s7 src0_sel:BYTE_0 src1_sel:DWORD
	v_bfrev_b32_e32 v32, 1
	s_and_saveexec_b64 s[8:9], s[10:11]
	s_cbranch_execz .LBB563_404
; %bb.401:
	s_movk_i32 s7, 0x7f
	v_and_b32_e32 v18, 0x7f, v14
	v_cmp_ne_u32_e32 vcc, s7, v18
	v_mov_b32_e32 v32, 0x7f800001
	s_and_saveexec_b64 s[10:11], vcc
	s_cbranch_execz .LBB563_403
; %bb.402:
	v_and_b32_e32 v21, 7, v14
	v_ffbh_u32_e32 v22, v21
	v_min_u32_e32 v25, 32, v22
	v_subrev_u32_e32 v22, 28, v25
	v_lshlrev_b64 v[22:23], v22, v[14:15]
	v_lshrrev_b32_e32 v24, 3, v18
	v_sub_u32_e32 v23, 29, v25
	v_and_b32_e32 v22, 7, v22
	v_cmp_gt_u32_e32 vcc, 8, v18
	v_cndmask_b32_e32 v18, v24, v23, vcc
	v_cndmask_b32_e32 v21, v21, v22, vcc
	v_lshlrev_b32_e32 v22, 24, v14
	v_bfrev_b32_e32 v23, 60
	v_lshlrev_b32_e32 v21, 20, v21
	v_and_b32_e32 v22, 0x80000000, v22
	v_lshl_add_u32 v18, v18, 23, v23
	v_or3_b32 v32, v22, v18, v21
.LBB563_403:
	s_or_b64 exec, exec, s[10:11]
.LBB563_404:
	s_or_b64 exec, exec, s[8:9]
.LBB563_405:
	s_or_b64 exec, exec, s[2:3]
	v_lshrrev_b16_e32 v18, 8, v14
	v_cmp_ne_u16_e32 vcc, 0, v18
	v_mov_b32_e32 v21, 0
	s_and_saveexec_b64 s[2:3], vcc
	s_cbranch_execz .LBB563_411
; %bb.406:
	s_movk_i32 s7, 0x80
	v_cmp_ne_u16_e32 vcc, s7, v18
	v_bfrev_b32_e32 v21, 1
	s_and_saveexec_b64 s[8:9], vcc
	s_cbranch_execz .LBB563_410
; %bb.407:
	s_movk_i32 s7, 0x7f
	v_and_b32_e32 v22, 0x7f, v18
	v_cmp_ne_u32_e32 vcc, s7, v22
	v_mov_b32_e32 v21, 0x7f800001
	s_and_saveexec_b64 s[10:11], vcc
	s_cbranch_execz .LBB563_409
; %bb.408:
	v_and_b32_e32 v21, 7, v18
	v_ffbh_u32_e32 v24, v21
	v_min_u32_e32 v26, 32, v24
	v_subrev_u32_e32 v24, 28, v26
	v_lshlrev_b64 v[24:25], v24, v[18:19]
	v_lshrrev_b32_e32 v23, 3, v22
	v_sub_u32_e32 v18, 29, v26
	v_and_b32_e32 v24, 7, v24
	v_cmp_gt_u32_e32 vcc, 8, v22
	v_cndmask_b32_e32 v18, v23, v18, vcc
	v_cndmask_b32_e32 v21, v21, v24, vcc
	v_lshlrev_b32_e32 v22, 16, v14
	v_bfrev_b32_e32 v23, 60
	v_lshlrev_b32_e32 v21, 20, v21
	v_and_b32_e32 v22, 0x80000000, v22
	v_lshl_add_u32 v18, v18, 23, v23
	v_or3_b32 v21, v22, v18, v21
.LBB563_409:
	s_or_b64 exec, exec, s[10:11]
.LBB563_410:
	s_or_b64 exec, exec, s[8:9]
.LBB563_411:
	s_or_b64 exec, exec, s[2:3]
	s_movk_i32 s2, 0xff
	v_and_b32_sdwa v22, v14, s2 dst_sel:DWORD dst_unused:UNUSED_PAD src0_sel:WORD_1 src1_sel:DWORD
	v_lshrrev_b32_e32 v18, 16, v14
	v_cmp_ne_u16_e32 vcc, 0, v22
	s_and_saveexec_b64 s[2:3], vcc
	s_cbranch_execz .LBB563_417
; %bb.412:
	s_movk_i32 s7, 0x80
	v_cmp_ne_u16_e32 vcc, s7, v22
	v_bfrev_b32_e32 v20, 1
	s_and_saveexec_b64 s[8:9], vcc
	s_cbranch_execz .LBB563_416
; %bb.413:
	v_bfe_u32 v22, v14, 16, 7
	s_movk_i32 s7, 0x7f
	v_cmp_ne_u32_e32 vcc, s7, v22
	v_mov_b32_e32 v20, 0x7f800001
	s_and_saveexec_b64 s[10:11], vcc
	s_cbranch_execz .LBB563_415
; %bb.414:
	v_and_b32_e32 v20, 7, v18
	v_ffbh_u32_e32 v24, v20
	v_min_u32_e32 v26, 32, v24
	v_subrev_u32_e32 v24, 28, v26
	v_lshlrev_b64 v[24:25], v24, v[18:19]
	v_lshrrev_b32_e32 v23, 3, v22
	v_sub_u32_e32 v18, 29, v26
	v_and_b32_e32 v24, 7, v24
	v_cmp_gt_u32_e32 vcc, 8, v22
	v_mov_b32_e32 v22, 24
	v_cndmask_b32_e32 v18, v23, v18, vcc
	v_cndmask_b32_e32 v20, v20, v24, vcc
	v_lshlrev_b32_sdwa v22, v22, v14 dst_sel:DWORD dst_unused:UNUSED_PAD src0_sel:DWORD src1_sel:WORD_1
	v_bfrev_b32_e32 v23, 60
	v_lshlrev_b32_e32 v20, 20, v20
	v_and_b32_e32 v22, 0x80000000, v22
	v_lshl_add_u32 v18, v18, 23, v23
	v_or3_b32 v20, v22, v18, v20
.LBB563_415:
	s_or_b64 exec, exec, s[10:11]
.LBB563_416:
	s_or_b64 exec, exec, s[8:9]
.LBB563_417:
	s_or_b64 exec, exec, s[2:3]
	s_mov_b32 s2, 0xffffff
	v_cmp_lt_u32_e32 vcc, s2, v14
	v_mov_b32_e32 v24, 0
	v_mov_b32_e32 v22, 0
	s_and_saveexec_b64 s[2:3], vcc
	s_cbranch_execz .LBB563_423
; %bb.418:
	v_lshrrev_b32_e32 v18, 24, v14
	s_movk_i32 s7, 0x80
	v_cmp_ne_u32_e32 vcc, s7, v18
	v_bfrev_b32_e32 v22, 1
	s_and_saveexec_b64 s[8:9], vcc
	s_cbranch_execz .LBB563_422
; %bb.419:
	v_bfe_u32 v14, v14, 24, 7
	s_movk_i32 s7, 0x7f
	v_cmp_ne_u32_e32 vcc, s7, v14
	v_mov_b32_e32 v22, 0x7f800001
	s_and_saveexec_b64 s[10:11], vcc
	s_cbranch_execz .LBB563_421
; %bb.420:
	v_and_b32_e32 v25, 7, v18
	v_ffbh_u32_e32 v22, v25
	v_min_u32_e32 v27, 32, v22
	v_subrev_u32_e32 v22, 28, v27
	v_lshlrev_b64 v[22:23], v22, v[18:19]
	v_lshrrev_b32_e32 v26, 3, v14
	v_sub_u32_e32 v23, 29, v27
	v_and_b32_e32 v22, 7, v22
	v_cmp_gt_u32_e32 vcc, 8, v14
	v_cndmask_b32_e32 v14, v26, v23, vcc
	v_cndmask_b32_e32 v22, v25, v22, vcc
	v_lshlrev_b32_e32 v18, 24, v18
	v_bfrev_b32_e32 v23, 60
	v_lshlrev_b32_e32 v22, 20, v22
	v_and_b32_e32 v18, 0x80000000, v18
	v_lshl_add_u32 v14, v14, 23, v23
	v_or3_b32 v22, v18, v14, v22
.LBB563_421:
	s_or_b64 exec, exec, s[10:11]
.LBB563_422:
	s_or_b64 exec, exec, s[8:9]
.LBB563_423:
	s_or_b64 exec, exec, s[2:3]
	v_cmp_ne_u16_sdwa s[8:9], v15, v24 src0_sel:BYTE_0 src1_sel:DWORD
	s_and_saveexec_b64 s[2:3], s[8:9]
	s_cbranch_execz .LBB563_429
; %bb.424:
	s_movk_i32 s7, 0x80
	v_cmp_ne_u16_sdwa s[10:11], v15, s7 src0_sel:BYTE_0 src1_sel:DWORD
	v_bfrev_b32_e32 v24, 1
	s_and_saveexec_b64 s[8:9], s[10:11]
	s_cbranch_execz .LBB563_428
; %bb.425:
	s_movk_i32 s7, 0x7f
	v_and_b32_e32 v14, 0x7f, v15
	v_cmp_ne_u32_e32 vcc, s7, v14
	v_mov_b32_e32 v24, 0x7f800001
	s_and_saveexec_b64 s[10:11], vcc
	s_cbranch_execz .LBB563_427
; %bb.426:
	v_and_b32_e32 v23, 7, v15
	v_ffbh_u32_e32 v24, v23
	v_min_u32_e32 v27, 32, v24
	v_mov_b32_e32 v18, v15
	v_subrev_u32_e32 v24, 28, v27
	v_lshlrev_b64 v[24:25], v24, v[18:19]
	v_lshrrev_b32_e32 v26, 3, v14
	v_sub_u32_e32 v18, 29, v27
	v_and_b32_e32 v24, 7, v24
	v_cmp_gt_u32_e32 vcc, 8, v14
	v_cndmask_b32_e32 v14, v26, v18, vcc
	v_cndmask_b32_e32 v18, v23, v24, vcc
	v_lshlrev_b32_e32 v23, 24, v15
	v_bfrev_b32_e32 v24, 60
	v_lshlrev_b32_e32 v18, 20, v18
	v_and_b32_e32 v23, 0x80000000, v23
	v_lshl_add_u32 v14, v14, 23, v24
	v_or3_b32 v24, v23, v14, v18
.LBB563_427:
	s_or_b64 exec, exec, s[10:11]
.LBB563_428:
	s_or_b64 exec, exec, s[8:9]
.LBB563_429:
	s_or_b64 exec, exec, s[2:3]
	v_lshrrev_b16_e32 v14, 8, v15
	v_cmp_ne_u16_e32 vcc, 0, v14
	v_mov_b32_e32 v18, 0
	v_mov_b32_e32 v25, 0
	s_and_saveexec_b64 s[2:3], vcc
	s_cbranch_execz .LBB563_435
; %bb.430:
	s_movk_i32 s7, 0x80
	v_cmp_ne_u16_e32 vcc, s7, v14
	v_bfrev_b32_e32 v25, 1
	s_and_saveexec_b64 s[8:9], vcc
	s_cbranch_execz .LBB563_434
; %bb.431:
	s_movk_i32 s7, 0x7f
	v_and_b32_e32 v23, 0x7f, v14
	v_cmp_ne_u32_e32 vcc, s7, v23
	v_mov_b32_e32 v25, 0x7f800001
	s_and_saveexec_b64 s[10:11], vcc
	s_cbranch_execz .LBB563_433
; %bb.432:
	v_and_b32_e32 v25, 7, v14
	v_ffbh_u32_e32 v26, v25
	v_min_u32_e32 v30, 32, v26
	v_subrev_u32_e32 v26, 28, v30
	v_lshlrev_b64 v[26:27], v26, v[14:15]
	v_lshrrev_b32_e32 v29, 3, v23
	v_sub_u32_e32 v14, 29, v30
	v_and_b32_e32 v26, 7, v26
	v_cmp_gt_u32_e32 vcc, 8, v23
	v_cndmask_b32_e32 v14, v29, v14, vcc
	v_cndmask_b32_e32 v23, v25, v26, vcc
	v_lshlrev_b32_e32 v25, 16, v15
	v_bfrev_b32_e32 v26, 60
	v_lshlrev_b32_e32 v23, 20, v23
	v_and_b32_e32 v25, 0x80000000, v25
	v_lshl_add_u32 v14, v14, 23, v26
	v_or3_b32 v25, v25, v14, v23
.LBB563_433:
	s_or_b64 exec, exec, s[10:11]
.LBB563_434:
	s_or_b64 exec, exec, s[8:9]
.LBB563_435:
	s_or_b64 exec, exec, s[2:3]
	s_movk_i32 s2, 0xff
	v_and_b32_sdwa v23, v15, s2 dst_sel:DWORD dst_unused:UNUSED_PAD src0_sel:WORD_1 src1_sel:DWORD
	v_lshrrev_b32_e32 v14, 16, v15
	v_cmp_ne_u16_e32 vcc, 0, v23
	s_and_saveexec_b64 s[2:3], vcc
	s_cbranch_execz .LBB563_441
; %bb.436:
	s_movk_i32 s7, 0x80
	v_cmp_ne_u16_e32 vcc, s7, v23
	v_bfrev_b32_e32 v18, 1
	s_and_saveexec_b64 s[8:9], vcc
	s_cbranch_execz .LBB563_440
; %bb.437:
	v_bfe_u32 v23, v15, 16, 7
	s_movk_i32 s7, 0x7f
	v_cmp_ne_u32_e32 vcc, s7, v23
	v_mov_b32_e32 v18, 0x7f800001
	s_and_saveexec_b64 s[10:11], vcc
	s_cbranch_execz .LBB563_439
; %bb.438:
	v_and_b32_e32 v18, 7, v14
	v_ffbh_u32_e32 v26, v18
	v_min_u32_e32 v30, 32, v26
	v_subrev_u32_e32 v26, 28, v30
	v_lshlrev_b64 v[26:27], v26, v[14:15]
	v_lshrrev_b32_e32 v29, 3, v23
	v_sub_u32_e32 v14, 29, v30
	v_and_b32_e32 v26, 7, v26
	v_cmp_gt_u32_e32 vcc, 8, v23
	v_mov_b32_e32 v23, 24
	v_cndmask_b32_e32 v14, v29, v14, vcc
	v_cndmask_b32_e32 v18, v18, v26, vcc
	v_lshlrev_b32_sdwa v23, v23, v15 dst_sel:DWORD dst_unused:UNUSED_PAD src0_sel:DWORD src1_sel:WORD_1
	v_bfrev_b32_e32 v26, 60
	v_lshlrev_b32_e32 v18, 20, v18
	v_and_b32_e32 v23, 0x80000000, v23
	v_lshl_add_u32 v14, v14, 23, v26
	v_or3_b32 v18, v23, v14, v18
.LBB563_439:
	s_or_b64 exec, exec, s[10:11]
.LBB563_440:
	s_or_b64 exec, exec, s[8:9]
.LBB563_441:
	s_or_b64 exec, exec, s[2:3]
	s_mov_b32 s2, 0xffffff
	v_cmp_lt_u32_e32 vcc, s2, v15
	v_mov_b32_e32 v23, 0
	v_mov_b32_e32 v26, 0
	s_and_saveexec_b64 s[2:3], vcc
	s_cbranch_execz .LBB563_447
; %bb.442:
	v_lshrrev_b32_e32 v14, 24, v15
	s_movk_i32 s7, 0x80
	v_cmp_ne_u32_e32 vcc, s7, v14
	v_bfrev_b32_e32 v26, 1
	s_and_saveexec_b64 s[8:9], vcc
	s_cbranch_execz .LBB563_446
; %bb.443:
	v_bfe_u32 v15, v15, 24, 7
	s_movk_i32 s7, 0x7f
	v_cmp_ne_u32_e32 vcc, s7, v15
	v_mov_b32_e32 v26, 0x7f800001
	s_and_saveexec_b64 s[10:11], vcc
	s_cbranch_execz .LBB563_445
; %bb.444:
	v_and_b32_e32 v29, 7, v14
	v_ffbh_u32_e32 v26, v29
	v_min_u32_e32 v31, 32, v26
	v_subrev_u32_e32 v26, 28, v31
	v_lshlrev_b64 v[26:27], v26, v[14:15]
	v_lshrrev_b32_e32 v30, 3, v15
	v_sub_u32_e32 v27, 29, v31
	v_and_b32_e32 v26, 7, v26
	v_cmp_gt_u32_e32 vcc, 8, v15
	v_cndmask_b32_e32 v15, v30, v27, vcc
	v_cndmask_b32_e32 v26, v29, v26, vcc
	v_lshlrev_b32_e32 v14, 24, v14
	v_bfrev_b32_e32 v27, 60
	v_lshlrev_b32_e32 v26, 20, v26
	v_and_b32_e32 v14, 0x80000000, v14
	v_lshl_add_u32 v15, v15, 23, v27
	v_or3_b32 v26, v14, v15, v26
.LBB563_445:
	s_or_b64 exec, exec, s[10:11]
.LBB563_446:
	s_or_b64 exec, exec, s[8:9]
.LBB563_447:
	s_or_b64 exec, exec, s[2:3]
	v_cvt_pkrtz_f16_f32 v15, v20, v22
	v_lshl_or_b32 v22, v1, 9, v19
	v_cvt_pkrtz_f16_f32 v14, v32, v21
	ds_read_b128 v[30:33], v22
	v_cmp_ne_u16_sdwa s[8:9], v16, v23 src0_sel:BYTE_0 src1_sel:DWORD
	s_waitcnt lgkmcnt(0)
	v_mfma_f32_16x16x16f16 v[34:37], v[14:15], v[30:31], 0
	v_cvt_pkrtz_f16_f32 v14, v24, v25
	v_cvt_pkrtz_f16_f32 v15, v18, v26
	s_nop 1
	v_mfma_f32_16x16x16f16 v[18:21], v[14:15], v[32:33], v[34:37]
	s_and_saveexec_b64 s[2:3], s[8:9]
	s_cbranch_execz .LBB563_453
; %bb.448:
	s_movk_i32 s7, 0x80
	v_cmp_ne_u16_sdwa s[10:11], v16, s7 src0_sel:BYTE_0 src1_sel:DWORD
	v_bfrev_b32_e32 v23, 1
	s_and_saveexec_b64 s[8:9], s[10:11]
	s_cbranch_execz .LBB563_452
; %bb.449:
	s_movk_i32 s7, 0x7f
	v_and_b32_e32 v14, 0x7f, v16
	v_cmp_ne_u32_e32 vcc, s7, v14
	v_mov_b32_e32 v23, 0x7f800001
	s_and_saveexec_b64 s[10:11], vcc
	s_cbranch_execz .LBB563_451
; %bb.450:
	v_and_b32_e32 v15, 7, v16
	v_ffbh_u32_e32 v24, v15
	v_min_u32_e32 v26, 32, v24
	v_subrev_u32_e32 v24, 28, v26
	v_lshlrev_b64 v[24:25], v24, v[16:17]
	v_lshrrev_b32_e32 v23, 3, v14
	v_sub_u32_e32 v25, 29, v26
	v_and_b32_e32 v24, 7, v24
	v_cmp_gt_u32_e32 vcc, 8, v14
	v_cndmask_b32_e32 v14, v23, v25, vcc
	v_cndmask_b32_e32 v15, v15, v24, vcc
	v_lshlrev_b32_e32 v23, 24, v16
	v_bfrev_b32_e32 v24, 60
	v_lshlrev_b32_e32 v15, 20, v15
	v_and_b32_e32 v23, 0x80000000, v23
	v_lshl_add_u32 v14, v14, 23, v24
	v_or3_b32 v23, v23, v14, v15
.LBB563_451:
	s_or_b64 exec, exec, s[10:11]
.LBB563_452:
	s_or_b64 exec, exec, s[8:9]
.LBB563_453:
	s_or_b64 exec, exec, s[2:3]
	v_lshrrev_b16_e32 v14, 8, v16
	v_cmp_ne_u16_e32 vcc, 0, v14
	v_mov_b32_e32 v15, 0
	v_mov_b32_e32 v25, 0
	s_and_saveexec_b64 s[2:3], vcc
	s_cbranch_execz .LBB563_459
; %bb.454:
	s_movk_i32 s7, 0x80
	v_cmp_ne_u16_e32 vcc, s7, v14
	v_bfrev_b32_e32 v25, 1
	s_and_saveexec_b64 s[8:9], vcc
	s_cbranch_execz .LBB563_458
; %bb.455:
	s_movk_i32 s7, 0x7f
	v_and_b32_e32 v24, 0x7f, v14
	v_cmp_ne_u32_e32 vcc, s7, v24
	v_mov_b32_e32 v25, 0x7f800001
	s_and_saveexec_b64 s[10:11], vcc
	s_cbranch_execz .LBB563_457
; %bb.456:
	v_and_b32_e32 v25, 7, v14
	v_ffbh_u32_e32 v26, v25
	v_min_u32_e32 v30, 32, v26
	v_subrev_u32_e32 v26, 28, v30
	v_lshlrev_b64 v[26:27], v26, v[14:15]
	v_lshrrev_b32_e32 v29, 3, v24
	v_sub_u32_e32 v14, 29, v30
	v_and_b32_e32 v26, 7, v26
	v_cmp_gt_u32_e32 vcc, 8, v24
	v_cndmask_b32_e32 v14, v29, v14, vcc
	v_cndmask_b32_e32 v24, v25, v26, vcc
	v_lshlrev_b32_e32 v25, 16, v16
	v_bfrev_b32_e32 v26, 60
	v_lshlrev_b32_e32 v24, 20, v24
	v_and_b32_e32 v25, 0x80000000, v25
	v_lshl_add_u32 v14, v14, 23, v26
	v_or3_b32 v25, v25, v14, v24
.LBB563_457:
	s_or_b64 exec, exec, s[10:11]
.LBB563_458:
	s_or_b64 exec, exec, s[8:9]
.LBB563_459:
	s_or_b64 exec, exec, s[2:3]
	s_movk_i32 s2, 0xff
	v_and_b32_sdwa v24, v16, s2 dst_sel:DWORD dst_unused:UNUSED_PAD src0_sel:WORD_1 src1_sel:DWORD
	v_lshrrev_b32_e32 v14, 16, v16
	v_cmp_ne_u16_e32 vcc, 0, v24
	s_and_saveexec_b64 s[2:3], vcc
	s_cbranch_execz .LBB563_465
; %bb.460:
	s_movk_i32 s7, 0x80
	v_cmp_ne_u16_e32 vcc, s7, v24
	v_bfrev_b32_e32 v15, 1
	s_and_saveexec_b64 s[8:9], vcc
	s_cbranch_execz .LBB563_464
; %bb.461:
	v_bfe_u32 v24, v16, 16, 7
	s_movk_i32 s7, 0x7f
	v_cmp_ne_u32_e32 vcc, s7, v24
	v_mov_b32_e32 v15, 0x7f800001
	s_and_saveexec_b64 s[10:11], vcc
	s_cbranch_execz .LBB563_463
; %bb.462:
	v_and_b32_e32 v26, 7, v14
	v_ffbh_u32_e32 v15, v26
	v_min_u32_e32 v29, 32, v15
	v_subrev_u32_e32 v15, 28, v29
	v_lshlrev_b64 v[14:15], v15, v[14:15]
	v_lshrrev_b32_e32 v27, 3, v24
	v_sub_u32_e32 v15, 29, v29
	v_and_b32_e32 v14, 7, v14
	v_cmp_gt_u32_e32 vcc, 8, v24
	v_mov_b32_e32 v24, 24
	v_cndmask_b32_e32 v15, v27, v15, vcc
	v_cndmask_b32_e32 v14, v26, v14, vcc
	v_lshlrev_b32_sdwa v24, v24, v16 dst_sel:DWORD dst_unused:UNUSED_PAD src0_sel:DWORD src1_sel:WORD_1
	v_bfrev_b32_e32 v26, 60
	v_lshlrev_b32_e32 v14, 20, v14
	v_and_b32_e32 v24, 0x80000000, v24
	v_lshl_add_u32 v15, v15, 23, v26
	v_or3_b32 v15, v24, v15, v14
.LBB563_463:
	s_or_b64 exec, exec, s[10:11]
.LBB563_464:
	s_or_b64 exec, exec, s[8:9]
.LBB563_465:
	s_or_b64 exec, exec, s[2:3]
	s_mov_b32 s2, 0xffffff
	v_cmp_lt_u32_e32 vcc, s2, v16
	v_mov_b32_e32 v26, 0
	v_mov_b32_e32 v27, 0
	s_and_saveexec_b64 s[2:3], vcc
	s_cbranch_execz .LBB563_471
; %bb.466:
	v_lshrrev_b32_e32 v14, 24, v16
	s_movk_i32 s7, 0x80
	v_cmp_ne_u32_e32 vcc, s7, v14
	v_bfrev_b32_e32 v27, 1
	s_and_saveexec_b64 s[8:9], vcc
	s_cbranch_execz .LBB563_470
; %bb.467:
	v_bfe_u32 v16, v16, 24, 7
	s_movk_i32 s7, 0x7f
	v_cmp_ne_u32_e32 vcc, s7, v16
	v_mov_b32_e32 v27, 0x7f800001
	s_and_saveexec_b64 s[10:11], vcc
	s_cbranch_execz .LBB563_469
; %bb.468:
	v_and_b32_e32 v24, 7, v14
	v_ffbh_u32_e32 v29, v24
	v_min_u32_e32 v29, 32, v29
	v_subrev_u32_e32 v30, 28, v29
	v_lshlrev_b64 v[30:31], v30, v[14:15]
	v_lshrrev_b32_e32 v27, 3, v16
	v_sub_u32_e32 v29, 29, v29
	v_and_b32_e32 v30, 7, v30
	v_cmp_gt_u32_e32 vcc, 8, v16
	v_cndmask_b32_e32 v16, v27, v29, vcc
	v_cndmask_b32_e32 v24, v24, v30, vcc
	v_lshlrev_b32_e32 v14, 24, v14
	v_bfrev_b32_e32 v27, 60
	v_lshlrev_b32_e32 v24, 20, v24
	v_and_b32_e32 v14, 0x80000000, v14
	v_lshl_add_u32 v16, v16, 23, v27
	v_or3_b32 v27, v14, v16, v24
.LBB563_469:
	s_or_b64 exec, exec, s[10:11]
.LBB563_470:
	s_or_b64 exec, exec, s[8:9]
.LBB563_471:
	s_or_b64 exec, exec, s[2:3]
	v_cmp_ne_u16_sdwa s[8:9], v17, v26 src0_sel:BYTE_0 src1_sel:DWORD
	s_and_saveexec_b64 s[2:3], s[8:9]
	s_cbranch_execz .LBB563_477
; %bb.472:
	s_movk_i32 s7, 0x80
	v_cmp_ne_u16_sdwa s[10:11], v17, s7 src0_sel:BYTE_0 src1_sel:DWORD
	v_bfrev_b32_e32 v26, 1
	s_and_saveexec_b64 s[8:9], s[10:11]
	s_cbranch_execz .LBB563_476
; %bb.473:
	s_movk_i32 s7, 0x7f
	v_and_b32_e32 v14, 0x7f, v17
	v_cmp_ne_u32_e32 vcc, s7, v14
	v_mov_b32_e32 v26, 0x7f800001
	s_and_saveexec_b64 s[10:11], vcc
	s_cbranch_execz .LBB563_475
; %bb.474:
	v_and_b32_e32 v24, 7, v17
	v_ffbh_u32_e32 v29, v24
	v_min_u32_e32 v29, 32, v29
	v_mov_b32_e32 v16, v17
	v_subrev_u32_e32 v30, 28, v29
	v_lshlrev_b64 v[30:31], v30, v[16:17]
	v_lshrrev_b32_e32 v26, 3, v14
	v_sub_u32_e32 v16, 29, v29
	v_and_b32_e32 v29, 7, v30
	v_cmp_gt_u32_e32 vcc, 8, v14
	v_cndmask_b32_e32 v14, v26, v16, vcc
	v_cndmask_b32_e32 v16, v24, v29, vcc
	v_lshlrev_b32_e32 v24, 24, v17
	v_bfrev_b32_e32 v26, 60
	v_lshlrev_b32_e32 v16, 20, v16
	v_and_b32_e32 v24, 0x80000000, v24
	v_lshl_add_u32 v14, v14, 23, v26
	v_or3_b32 v26, v24, v14, v16
.LBB563_475:
	s_or_b64 exec, exec, s[10:11]
.LBB563_476:
	s_or_b64 exec, exec, s[8:9]
.LBB563_477:
	s_or_b64 exec, exec, s[2:3]
	v_lshrrev_b16_e32 v14, 8, v17
	v_cmp_ne_u16_e32 vcc, 0, v14
	v_mov_b32_e32 v16, 0
	v_mov_b32_e32 v29, 0
	s_and_saveexec_b64 s[2:3], vcc
	s_cbranch_execz .LBB563_483
; %bb.478:
	s_movk_i32 s7, 0x80
	v_cmp_ne_u16_e32 vcc, s7, v14
	v_bfrev_b32_e32 v29, 1
	s_and_saveexec_b64 s[8:9], vcc
	s_cbranch_execz .LBB563_482
; %bb.479:
	s_movk_i32 s7, 0x7f
	v_and_b32_e32 v24, 0x7f, v14
	v_cmp_ne_u32_e32 vcc, s7, v24
	v_mov_b32_e32 v29, 0x7f800001
	s_and_saveexec_b64 s[10:11], vcc
	s_cbranch_execz .LBB563_481
; %bb.480:
	v_and_b32_e32 v29, 7, v14
	v_ffbh_u32_e32 v30, v29
	v_min_u32_e32 v33, 32, v30
	v_subrev_u32_e32 v30, 28, v33
	v_lshlrev_b64 v[30:31], v30, v[14:15]
	v_lshrrev_b32_e32 v32, 3, v24
	v_sub_u32_e32 v14, 29, v33
	v_and_b32_e32 v30, 7, v30
	v_cmp_gt_u32_e32 vcc, 8, v24
	v_cndmask_b32_e32 v14, v32, v14, vcc
	v_cndmask_b32_e32 v24, v29, v30, vcc
	v_lshlrev_b32_e32 v29, 16, v17
	v_bfrev_b32_e32 v30, 60
	v_lshlrev_b32_e32 v24, 20, v24
	v_and_b32_e32 v29, 0x80000000, v29
	v_lshl_add_u32 v14, v14, 23, v30
	v_or3_b32 v29, v29, v14, v24
.LBB563_481:
	s_or_b64 exec, exec, s[10:11]
.LBB563_482:
	s_or_b64 exec, exec, s[8:9]
.LBB563_483:
	s_or_b64 exec, exec, s[2:3]
	s_movk_i32 s2, 0xff
	v_and_b32_sdwa v24, v17, s2 dst_sel:DWORD dst_unused:UNUSED_PAD src0_sel:WORD_1 src1_sel:DWORD
	v_lshrrev_b32_e32 v14, 16, v17
	v_cmp_ne_u16_e32 vcc, 0, v24
	s_and_saveexec_b64 s[2:3], vcc
	s_cbranch_execz .LBB563_489
; %bb.484:
	s_movk_i32 s7, 0x80
	v_cmp_ne_u16_e32 vcc, s7, v24
	v_bfrev_b32_e32 v16, 1
	s_and_saveexec_b64 s[8:9], vcc
	s_cbranch_execz .LBB563_488
; %bb.485:
	v_bfe_u32 v24, v17, 16, 7
	s_movk_i32 s7, 0x7f
	v_cmp_ne_u32_e32 vcc, s7, v24
	v_mov_b32_e32 v16, 0x7f800001
	s_and_saveexec_b64 s[10:11], vcc
	s_cbranch_execz .LBB563_487
; %bb.486:
	v_and_b32_e32 v16, 7, v14
	v_ffbh_u32_e32 v30, v16
	v_min_u32_e32 v33, 32, v30
	v_subrev_u32_e32 v30, 28, v33
	v_lshlrev_b64 v[30:31], v30, v[14:15]
	v_lshrrev_b32_e32 v32, 3, v24
	v_sub_u32_e32 v14, 29, v33
	v_and_b32_e32 v30, 7, v30
	v_cmp_gt_u32_e32 vcc, 8, v24
	v_mov_b32_e32 v24, 24
	v_cndmask_b32_e32 v14, v32, v14, vcc
	v_cndmask_b32_e32 v16, v16, v30, vcc
	v_lshlrev_b32_sdwa v24, v24, v17 dst_sel:DWORD dst_unused:UNUSED_PAD src0_sel:DWORD src1_sel:WORD_1
	v_bfrev_b32_e32 v30, 60
	v_lshlrev_b32_e32 v16, 20, v16
	v_and_b32_e32 v24, 0x80000000, v24
	v_lshl_add_u32 v14, v14, 23, v30
	v_or3_b32 v16, v24, v14, v16
.LBB563_487:
	s_or_b64 exec, exec, s[10:11]
.LBB563_488:
	s_or_b64 exec, exec, s[8:9]
.LBB563_489:
	s_or_b64 exec, exec, s[2:3]
	s_mov_b32 s2, 0xffffff
	v_cmp_lt_u32_e32 vcc, s2, v17
	v_mov_b32_e32 v24, 0
	v_mov_b32_e32 v30, 0
	s_and_saveexec_b64 s[2:3], vcc
	s_cbranch_execz .LBB563_495
; %bb.490:
	v_lshrrev_b32_e32 v14, 24, v17
	s_movk_i32 s7, 0x80
	v_cmp_ne_u32_e32 vcc, s7, v14
	v_bfrev_b32_e32 v30, 1
	s_and_saveexec_b64 s[8:9], vcc
	s_cbranch_execz .LBB563_494
; %bb.491:
	v_bfe_u32 v17, v17, 24, 7
	s_movk_i32 s7, 0x7f
	v_cmp_ne_u32_e32 vcc, s7, v17
	v_mov_b32_e32 v30, 0x7f800001
	s_and_saveexec_b64 s[10:11], vcc
	s_cbranch_execz .LBB563_493
; %bb.492:
	v_and_b32_e32 v32, 7, v14
	v_ffbh_u32_e32 v30, v32
	v_min_u32_e32 v34, 32, v30
	v_subrev_u32_e32 v30, 28, v34
	v_lshlrev_b64 v[30:31], v30, v[14:15]
	v_lshrrev_b32_e32 v33, 3, v17
	v_sub_u32_e32 v31, 29, v34
	v_and_b32_e32 v30, 7, v30
	v_cmp_gt_u32_e32 vcc, 8, v17
	v_cndmask_b32_e32 v17, v33, v31, vcc
	v_cndmask_b32_e32 v30, v32, v30, vcc
	v_lshlrev_b32_e32 v14, 24, v14
	v_bfrev_b32_e32 v31, 60
	v_lshlrev_b32_e32 v30, 20, v30
	v_and_b32_e32 v14, 0x80000000, v14
	v_lshl_add_u32 v17, v17, 23, v31
	v_or3_b32 v30, v14, v17, v30
.LBB563_493:
	s_or_b64 exec, exec, s[10:11]
.LBB563_494:
	s_or_b64 exec, exec, s[8:9]
.LBB563_495:
	s_or_b64 exec, exec, s[2:3]
	v_cvt_pkrtz_f16_f32 v14, v23, v25
	v_cvt_pkrtz_f16_f32 v15, v15, v27
	ds_read_b128 v[32:35], v22 offset:16
	s_waitcnt vmcnt(2)
	v_cmp_ne_u16_sdwa s[8:9], v10, v24 src0_sel:BYTE_0 src1_sel:DWORD
	s_waitcnt lgkmcnt(0)
	v_mfma_f32_16x16x16f16 v[18:21], v[14:15], v[32:33], v[18:21]
	v_cvt_pkrtz_f16_f32 v14, v26, v29
	v_cvt_pkrtz_f16_f32 v15, v16, v30
	s_nop 1
	v_mfma_f32_16x16x16f16 v[14:17], v[14:15], v[34:35], v[18:21]
	s_and_saveexec_b64 s[2:3], s[8:9]
	s_cbranch_execz .LBB563_501
; %bb.496:
	s_movk_i32 s7, 0x80
	v_cmp_ne_u16_sdwa s[10:11], v10, s7 src0_sel:BYTE_0 src1_sel:DWORD
	v_bfrev_b32_e32 v24, 1
	s_and_saveexec_b64 s[8:9], s[10:11]
	s_cbranch_execz .LBB563_500
; %bb.497:
	s_movk_i32 s7, 0x7f
	v_and_b32_e32 v18, 0x7f, v10
	v_cmp_ne_u32_e32 vcc, s7, v18
	v_mov_b32_e32 v24, 0x7f800001
	s_and_saveexec_b64 s[10:11], vcc
	s_cbranch_execz .LBB563_499
; %bb.498:
	v_and_b32_e32 v19, 7, v10
	v_ffbh_u32_e32 v20, v19
	v_min_u32_e32 v24, 32, v20
	v_subrev_u32_e32 v20, 28, v24
	v_lshlrev_b64 v[20:21], v20, v[10:11]
	v_lshrrev_b32_e32 v23, 3, v18
	v_sub_u32_e32 v21, 29, v24
	v_and_b32_e32 v20, 7, v20
	v_cmp_gt_u32_e32 vcc, 8, v18
	v_cndmask_b32_e32 v18, v23, v21, vcc
	v_cndmask_b32_e32 v19, v19, v20, vcc
	v_lshlrev_b32_e32 v20, 24, v10
	v_bfrev_b32_e32 v21, 60
	v_lshlrev_b32_e32 v19, 20, v19
	v_and_b32_e32 v20, 0x80000000, v20
	v_lshl_add_u32 v18, v18, 23, v21
	v_or3_b32 v24, v20, v18, v19
.LBB563_499:
	s_or_b64 exec, exec, s[10:11]
.LBB563_500:
	s_or_b64 exec, exec, s[8:9]
.LBB563_501:
	s_or_b64 exec, exec, s[2:3]
	s_nop 3
	v_lshrrev_b16_e32 v18, 8, v10
	v_cmp_ne_u16_e32 vcc, 0, v18
	v_mov_b32_e32 v19, 0
	v_mov_b32_e32 v20, 0
	s_and_saveexec_b64 s[2:3], vcc
	s_cbranch_execz .LBB563_507
; %bb.502:
	s_movk_i32 s7, 0x80
	v_cmp_ne_u16_e32 vcc, s7, v18
	v_bfrev_b32_e32 v20, 1
	s_and_saveexec_b64 s[8:9], vcc
	s_cbranch_execz .LBB563_506
; %bb.503:
	s_movk_i32 s7, 0x7f
	v_and_b32_e32 v21, 0x7f, v18
	v_cmp_ne_u32_e32 vcc, s7, v21
	v_mov_b32_e32 v20, 0x7f800001
	s_and_saveexec_b64 s[10:11], vcc
	s_cbranch_execz .LBB563_505
; %bb.504:
	v_and_b32_e32 v20, 7, v18
	v_ffbh_u32_e32 v25, v20
	v_min_u32_e32 v25, 32, v25
	v_subrev_u32_e32 v26, 28, v25
	v_lshlrev_b64 v[26:27], v26, v[18:19]
	v_lshrrev_b32_e32 v23, 3, v21
	v_sub_u32_e32 v18, 29, v25
	v_and_b32_e32 v25, 7, v26
	v_cmp_gt_u32_e32 vcc, 8, v21
	v_cndmask_b32_e32 v18, v23, v18, vcc
	v_cndmask_b32_e32 v20, v20, v25, vcc
	v_lshlrev_b32_e32 v21, 16, v10
	v_bfrev_b32_e32 v23, 60
	v_lshlrev_b32_e32 v20, 20, v20
	v_and_b32_e32 v21, 0x80000000, v21
	v_lshl_add_u32 v18, v18, 23, v23
	v_or3_b32 v20, v21, v18, v20
.LBB563_505:
	s_or_b64 exec, exec, s[10:11]
.LBB563_506:
	s_or_b64 exec, exec, s[8:9]
.LBB563_507:
	s_or_b64 exec, exec, s[2:3]
	s_movk_i32 s2, 0xff
	v_and_b32_sdwa v21, v10, s2 dst_sel:DWORD dst_unused:UNUSED_PAD src0_sel:WORD_1 src1_sel:DWORD
	v_lshrrev_b32_e32 v18, 16, v10
	v_cmp_ne_u16_e32 vcc, 0, v21
	s_and_saveexec_b64 s[2:3], vcc
	s_cbranch_execz .LBB563_513
; %bb.508:
	s_movk_i32 s7, 0x80
	v_cmp_ne_u16_e32 vcc, s7, v21
	v_bfrev_b32_e32 v19, 1
	s_and_saveexec_b64 s[8:9], vcc
	s_cbranch_execz .LBB563_512
; %bb.509:
	v_bfe_u32 v21, v10, 16, 7
	s_movk_i32 s7, 0x7f
	v_cmp_ne_u32_e32 vcc, s7, v21
	v_mov_b32_e32 v19, 0x7f800001
	s_and_saveexec_b64 s[10:11], vcc
	s_cbranch_execz .LBB563_511
; %bb.510:
	v_and_b32_e32 v23, 7, v18
	v_ffbh_u32_e32 v19, v23
	v_min_u32_e32 v26, 32, v19
	v_subrev_u32_e32 v19, 28, v26
	v_lshlrev_b64 v[18:19], v19, v[18:19]
	v_lshrrev_b32_e32 v25, 3, v21
	v_sub_u32_e32 v19, 29, v26
	v_and_b32_e32 v18, 7, v18
	v_cmp_gt_u32_e32 vcc, 8, v21
	v_mov_b32_e32 v21, 24
	v_cndmask_b32_e32 v19, v25, v19, vcc
	v_cndmask_b32_e32 v18, v23, v18, vcc
	v_lshlrev_b32_sdwa v21, v21, v10 dst_sel:DWORD dst_unused:UNUSED_PAD src0_sel:DWORD src1_sel:WORD_1
	v_bfrev_b32_e32 v23, 60
	v_lshlrev_b32_e32 v18, 20, v18
	v_and_b32_e32 v21, 0x80000000, v21
	v_lshl_add_u32 v19, v19, 23, v23
	v_or3_b32 v19, v21, v19, v18
.LBB563_511:
	s_or_b64 exec, exec, s[10:11]
.LBB563_512:
	s_or_b64 exec, exec, s[8:9]
.LBB563_513:
	s_or_b64 exec, exec, s[2:3]
	s_mov_b32 s2, 0xffffff
	v_cmp_lt_u32_e32 vcc, s2, v10
	v_mov_b32_e32 v21, 0
	v_mov_b32_e32 v23, 0
	s_and_saveexec_b64 s[2:3], vcc
	s_cbranch_execz .LBB563_519
; %bb.514:
	v_lshrrev_b32_e32 v18, 24, v10
	s_movk_i32 s7, 0x80
	v_cmp_ne_u32_e32 vcc, s7, v18
	v_bfrev_b32_e32 v23, 1
	s_and_saveexec_b64 s[8:9], vcc
	s_cbranch_execz .LBB563_518
; %bb.515:
	v_bfe_u32 v10, v10, 24, 7
	s_movk_i32 s7, 0x7f
	v_cmp_ne_u32_e32 vcc, s7, v10
	v_mov_b32_e32 v23, 0x7f800001
	s_and_saveexec_b64 s[10:11], vcc
	s_cbranch_execz .LBB563_517
; %bb.516:
	v_and_b32_e32 v23, 7, v18
	v_ffbh_u32_e32 v26, v23
	v_min_u32_e32 v29, 32, v26
	v_subrev_u32_e32 v26, 28, v29
	v_lshlrev_b64 v[26:27], v26, v[18:19]
	v_lshrrev_b32_e32 v25, 3, v10
	v_sub_u32_e32 v27, 29, v29
	v_and_b32_e32 v26, 7, v26
	v_cmp_gt_u32_e32 vcc, 8, v10
	v_cndmask_b32_e32 v10, v25, v27, vcc
	v_cndmask_b32_e32 v23, v23, v26, vcc
	v_lshlrev_b32_e32 v18, 24, v18
	v_bfrev_b32_e32 v25, 60
	v_lshlrev_b32_e32 v23, 20, v23
	v_and_b32_e32 v18, 0x80000000, v18
	v_lshl_add_u32 v10, v10, 23, v25
	v_or3_b32 v23, v18, v10, v23
.LBB563_517:
	s_or_b64 exec, exec, s[10:11]
.LBB563_518:
	s_or_b64 exec, exec, s[8:9]
.LBB563_519:
	s_or_b64 exec, exec, s[2:3]
	v_cmp_ne_u16_sdwa s[8:9], v11, v21 src0_sel:BYTE_0 src1_sel:DWORD
	s_and_saveexec_b64 s[2:3], s[8:9]
	s_cbranch_execz .LBB563_525
; %bb.520:
	s_movk_i32 s7, 0x80
	v_cmp_ne_u16_sdwa s[10:11], v11, s7 src0_sel:BYTE_0 src1_sel:DWORD
	v_bfrev_b32_e32 v21, 1
	s_and_saveexec_b64 s[8:9], s[10:11]
	s_cbranch_execz .LBB563_524
; %bb.521:
	s_movk_i32 s7, 0x7f
	v_and_b32_e32 v10, 0x7f, v11
	v_cmp_ne_u32_e32 vcc, s7, v10
	v_mov_b32_e32 v21, 0x7f800001
	s_and_saveexec_b64 s[10:11], vcc
	s_cbranch_execz .LBB563_523
; %bb.522:
	v_and_b32_e32 v21, 7, v11
	v_ffbh_u32_e32 v26, v21
	v_min_u32_e32 v29, 32, v26
	v_mov_b32_e32 v18, v11
	v_subrev_u32_e32 v26, 28, v29
	v_lshlrev_b64 v[26:27], v26, v[18:19]
	v_lshrrev_b32_e32 v25, 3, v10
	v_sub_u32_e32 v18, 29, v29
	v_and_b32_e32 v26, 7, v26
	v_cmp_gt_u32_e32 vcc, 8, v10
	v_cndmask_b32_e32 v10, v25, v18, vcc
	v_cndmask_b32_e32 v18, v21, v26, vcc
	v_lshlrev_b32_e32 v21, 24, v11
	v_bfrev_b32_e32 v25, 60
	v_lshlrev_b32_e32 v18, 20, v18
	v_and_b32_e32 v21, 0x80000000, v21
	v_lshl_add_u32 v10, v10, 23, v25
	v_or3_b32 v21, v21, v10, v18
.LBB563_523:
	s_or_b64 exec, exec, s[10:11]
.LBB563_524:
	s_or_b64 exec, exec, s[8:9]
.LBB563_525:
	s_or_b64 exec, exec, s[2:3]
	v_lshrrev_b16_e32 v10, 8, v11
	v_cmp_ne_u16_e32 vcc, 0, v10
	v_mov_b32_e32 v25, 0
	v_mov_b32_e32 v26, 0
	s_and_saveexec_b64 s[2:3], vcc
	s_cbranch_execz .LBB563_531
; %bb.526:
	s_movk_i32 s7, 0x80
	v_cmp_ne_u16_e32 vcc, s7, v10
	v_bfrev_b32_e32 v26, 1
	s_and_saveexec_b64 s[8:9], vcc
	s_cbranch_execz .LBB563_530
; %bb.527:
	s_movk_i32 s7, 0x7f
	v_and_b32_e32 v18, 0x7f, v10
	v_cmp_ne_u32_e32 vcc, s7, v18
	v_mov_b32_e32 v26, 0x7f800001
	s_and_saveexec_b64 s[10:11], vcc
	s_cbranch_execz .LBB563_529
; %bb.528:
	v_and_b32_e32 v29, 7, v10
	v_ffbh_u32_e32 v26, v29
	v_min_u32_e32 v31, 32, v26
	v_subrev_u32_e32 v26, 28, v31
	v_lshlrev_b64 v[26:27], v26, v[10:11]
	v_lshrrev_b32_e32 v30, 3, v18
	v_sub_u32_e32 v10, 29, v31
	v_and_b32_e32 v26, 7, v26
	v_cmp_gt_u32_e32 vcc, 8, v18
	v_cndmask_b32_e32 v10, v30, v10, vcc
	v_cndmask_b32_e32 v18, v29, v26, vcc
	v_lshlrev_b32_e32 v26, 16, v11
	v_bfrev_b32_e32 v27, 60
	v_lshlrev_b32_e32 v18, 20, v18
	v_and_b32_e32 v26, 0x80000000, v26
	v_lshl_add_u32 v10, v10, 23, v27
	v_or3_b32 v26, v26, v10, v18
.LBB563_529:
	s_or_b64 exec, exec, s[10:11]
.LBB563_530:
	s_or_b64 exec, exec, s[8:9]
.LBB563_531:
	s_or_b64 exec, exec, s[2:3]
	s_movk_i32 s2, 0xff
	v_and_b32_sdwa v18, v11, s2 dst_sel:DWORD dst_unused:UNUSED_PAD src0_sel:WORD_1 src1_sel:DWORD
	v_lshrrev_b32_e32 v10, 16, v11
	v_cmp_ne_u16_e32 vcc, 0, v18
	s_and_saveexec_b64 s[2:3], vcc
	s_cbranch_execz .LBB563_537
; %bb.532:
	s_movk_i32 s7, 0x80
	v_cmp_ne_u16_e32 vcc, s7, v18
	v_bfrev_b32_e32 v25, 1
	s_and_saveexec_b64 s[8:9], vcc
	s_cbranch_execz .LBB563_536
; %bb.533:
	v_bfe_u32 v18, v11, 16, 7
	s_movk_i32 s7, 0x7f
	v_cmp_ne_u32_e32 vcc, s7, v18
	v_mov_b32_e32 v25, 0x7f800001
	s_and_saveexec_b64 s[10:11], vcc
	s_cbranch_execz .LBB563_535
; %bb.534:
	v_and_b32_e32 v25, 7, v10
	v_ffbh_u32_e32 v29, v25
	v_min_u32_e32 v29, 32, v29
	v_subrev_u32_e32 v30, 28, v29
	v_lshlrev_b64 v[30:31], v30, v[10:11]
	v_sub_u32_e32 v10, 29, v29
	v_and_b32_e32 v29, 7, v30
	v_cmp_gt_u32_e32 vcc, 8, v18
	v_lshrrev_b32_e32 v27, 3, v18
	v_cndmask_b32_e32 v18, v25, v29, vcc
	v_mov_b32_e32 v25, 24
	v_cndmask_b32_e32 v10, v27, v10, vcc
	v_lshlrev_b32_sdwa v25, v25, v11 dst_sel:DWORD dst_unused:UNUSED_PAD src0_sel:DWORD src1_sel:WORD_1
	v_bfrev_b32_e32 v27, 60
	v_lshlrev_b32_e32 v18, 20, v18
	v_and_b32_e32 v25, 0x80000000, v25
	v_lshl_add_u32 v10, v10, 23, v27
	v_or3_b32 v25, v25, v10, v18
.LBB563_535:
	s_or_b64 exec, exec, s[10:11]
.LBB563_536:
	s_or_b64 exec, exec, s[8:9]
.LBB563_537:
	s_or_b64 exec, exec, s[2:3]
	s_mov_b32 s2, 0xffffff
	v_cmp_lt_u32_e32 vcc, s2, v11
	v_mov_b32_e32 v18, 0
	v_mov_b32_e32 v27, 0
	s_and_saveexec_b64 s[2:3], vcc
	s_cbranch_execz .LBB563_543
; %bb.538:
	v_lshrrev_b32_e32 v10, 24, v11
	s_movk_i32 s7, 0x80
	v_cmp_ne_u32_e32 vcc, s7, v10
	v_bfrev_b32_e32 v27, 1
	s_and_saveexec_b64 s[8:9], vcc
	s_cbranch_execz .LBB563_542
; %bb.539:
	v_bfe_u32 v11, v11, 24, 7
	s_movk_i32 s7, 0x7f
	v_cmp_ne_u32_e32 vcc, s7, v11
	v_mov_b32_e32 v27, 0x7f800001
	s_and_saveexec_b64 s[10:11], vcc
	s_cbranch_execz .LBB563_541
; %bb.540:
	v_and_b32_e32 v27, 7, v10
	v_ffbh_u32_e32 v30, v27
	v_min_u32_e32 v32, 32, v30
	v_subrev_u32_e32 v30, 28, v32
	v_lshlrev_b64 v[30:31], v30, v[10:11]
	v_lshrrev_b32_e32 v29, 3, v11
	v_sub_u32_e32 v31, 29, v32
	v_and_b32_e32 v30, 7, v30
	v_cmp_gt_u32_e32 vcc, 8, v11
	v_cndmask_b32_e32 v11, v29, v31, vcc
	v_cndmask_b32_e32 v27, v27, v30, vcc
	v_lshlrev_b32_e32 v10, 24, v10
	v_bfrev_b32_e32 v29, 60
	v_lshlrev_b32_e32 v27, 20, v27
	v_and_b32_e32 v10, 0x80000000, v10
	v_lshl_add_u32 v11, v11, 23, v29
	v_or3_b32 v27, v10, v11, v27
.LBB563_541:
	s_or_b64 exec, exec, s[10:11]
.LBB563_542:
	s_or_b64 exec, exec, s[8:9]
.LBB563_543:
	s_or_b64 exec, exec, s[2:3]
	v_cvt_pkrtz_f16_f32 v10, v24, v20
	v_cvt_pkrtz_f16_f32 v11, v19, v23
	ds_read_b128 v[30:33], v22 offset:2048
	v_cmp_ne_u16_sdwa s[8:9], v12, v18 src0_sel:BYTE_0 src1_sel:DWORD
	s_waitcnt lgkmcnt(0)
	v_mfma_f32_16x16x16f16 v[14:17], v[10:11], v[30:31], v[14:17]
	v_cvt_pkrtz_f16_f32 v10, v21, v26
	v_cvt_pkrtz_f16_f32 v11, v25, v27
	s_nop 1
	v_mfma_f32_16x16x16f16 v[14:17], v[10:11], v[32:33], v[14:17]
	s_and_saveexec_b64 s[2:3], s[8:9]
	s_cbranch_execz .LBB563_549
; %bb.544:
	s_movk_i32 s7, 0x80
	v_cmp_ne_u16_sdwa s[10:11], v12, s7 src0_sel:BYTE_0 src1_sel:DWORD
	v_bfrev_b32_e32 v18, 1
	s_and_saveexec_b64 s[8:9], s[10:11]
	s_cbranch_execz .LBB563_548
; %bb.545:
	s_movk_i32 s7, 0x7f
	v_and_b32_e32 v10, 0x7f, v12
	v_cmp_ne_u32_e32 vcc, s7, v10
	v_mov_b32_e32 v18, 0x7f800001
	s_and_saveexec_b64 s[10:11], vcc
	s_cbranch_execz .LBB563_547
; %bb.546:
	v_and_b32_e32 v11, 7, v12
	v_ffbh_u32_e32 v18, v11
	v_min_u32_e32 v21, 32, v18
	v_subrev_u32_e32 v18, 28, v21
	v_lshlrev_b64 v[18:19], v18, v[12:13]
	v_lshrrev_b32_e32 v20, 3, v10
	v_sub_u32_e32 v19, 29, v21
	v_and_b32_e32 v18, 7, v18
	v_cmp_gt_u32_e32 vcc, 8, v10
	v_cndmask_b32_e32 v10, v20, v19, vcc
	v_cndmask_b32_e32 v11, v11, v18, vcc
	v_lshlrev_b32_e32 v18, 24, v12
	v_bfrev_b32_e32 v19, 60
	v_lshlrev_b32_e32 v11, 20, v11
	v_and_b32_e32 v18, 0x80000000, v18
	v_lshl_add_u32 v10, v10, 23, v19
	v_or3_b32 v18, v18, v10, v11
.LBB563_547:
	s_or_b64 exec, exec, s[10:11]
.LBB563_548:
	s_or_b64 exec, exec, s[8:9]
.LBB563_549:
	s_or_b64 exec, exec, s[2:3]
	v_lshrrev_b16_e32 v10, 8, v12
	v_cmp_ne_u16_e32 vcc, 0, v10
	v_mov_b32_e32 v11, 0
	v_mov_b32_e32 v20, 0
	s_and_saveexec_b64 s[2:3], vcc
	s_cbranch_execz .LBB563_555
; %bb.550:
	s_movk_i32 s7, 0x80
	v_cmp_ne_u16_e32 vcc, s7, v10
	v_bfrev_b32_e32 v20, 1
	s_and_saveexec_b64 s[8:9], vcc
	s_cbranch_execz .LBB563_554
; %bb.551:
	s_movk_i32 s7, 0x7f
	v_and_b32_e32 v19, 0x7f, v10
	v_cmp_ne_u32_e32 vcc, s7, v19
	v_mov_b32_e32 v20, 0x7f800001
	s_and_saveexec_b64 s[10:11], vcc
	s_cbranch_execz .LBB563_553
; %bb.552:
	v_and_b32_e32 v23, 7, v10
	v_ffbh_u32_e32 v20, v23
	v_min_u32_e32 v25, 32, v20
	v_subrev_u32_e32 v20, 28, v25
	v_lshlrev_b64 v[20:21], v20, v[10:11]
	v_lshrrev_b32_e32 v24, 3, v19
	v_sub_u32_e32 v10, 29, v25
	v_and_b32_e32 v20, 7, v20
	v_cmp_gt_u32_e32 vcc, 8, v19
	v_cndmask_b32_e32 v10, v24, v10, vcc
	v_cndmask_b32_e32 v19, v23, v20, vcc
	v_lshlrev_b32_e32 v20, 16, v12
	v_bfrev_b32_e32 v21, 60
	v_lshlrev_b32_e32 v19, 20, v19
	v_and_b32_e32 v20, 0x80000000, v20
	v_lshl_add_u32 v10, v10, 23, v21
	v_or3_b32 v20, v20, v10, v19
.LBB563_553:
	s_or_b64 exec, exec, s[10:11]
.LBB563_554:
	s_or_b64 exec, exec, s[8:9]
.LBB563_555:
	s_or_b64 exec, exec, s[2:3]
	s_movk_i32 s2, 0xff
	v_and_b32_sdwa v19, v12, s2 dst_sel:DWORD dst_unused:UNUSED_PAD src0_sel:WORD_1 src1_sel:DWORD
	v_lshrrev_b32_e32 v10, 16, v12
	v_cmp_ne_u16_e32 vcc, 0, v19
	s_and_saveexec_b64 s[2:3], vcc
	s_cbranch_execz .LBB563_561
; %bb.556:
	s_movk_i32 s7, 0x80
	v_cmp_ne_u16_e32 vcc, s7, v19
	v_bfrev_b32_e32 v11, 1
	s_and_saveexec_b64 s[8:9], vcc
	s_cbranch_execz .LBB563_560
; %bb.557:
	v_bfe_u32 v19, v12, 16, 7
	s_movk_i32 s7, 0x7f
	v_cmp_ne_u32_e32 vcc, s7, v19
	v_mov_b32_e32 v11, 0x7f800001
	s_and_saveexec_b64 s[10:11], vcc
	s_cbranch_execz .LBB563_559
; %bb.558:
	v_and_b32_e32 v21, 7, v10
	v_ffbh_u32_e32 v11, v21
	v_min_u32_e32 v24, 32, v11
	v_subrev_u32_e32 v11, 28, v24
	v_lshlrev_b64 v[10:11], v11, v[10:11]
	v_lshrrev_b32_e32 v23, 3, v19
	v_sub_u32_e32 v11, 29, v24
	v_and_b32_e32 v10, 7, v10
	v_cmp_gt_u32_e32 vcc, 8, v19
	v_mov_b32_e32 v19, 24
	v_cndmask_b32_e32 v11, v23, v11, vcc
	v_cndmask_b32_e32 v10, v21, v10, vcc
	v_lshlrev_b32_sdwa v19, v19, v12 dst_sel:DWORD dst_unused:UNUSED_PAD src0_sel:DWORD src1_sel:WORD_1
	v_bfrev_b32_e32 v21, 60
	v_lshlrev_b32_e32 v10, 20, v10
	v_and_b32_e32 v19, 0x80000000, v19
	v_lshl_add_u32 v11, v11, 23, v21
	v_or3_b32 v11, v19, v11, v10
.LBB563_559:
	s_or_b64 exec, exec, s[10:11]
.LBB563_560:
	s_or_b64 exec, exec, s[8:9]
.LBB563_561:
	s_or_b64 exec, exec, s[2:3]
	s_mov_b32 s2, 0xffffff
	v_cmp_lt_u32_e32 vcc, s2, v12
	v_mov_b32_e32 v21, 0
	v_mov_b32_e32 v23, 0
	s_and_saveexec_b64 s[2:3], vcc
	s_cbranch_execz .LBB563_567
; %bb.562:
	v_lshrrev_b32_e32 v10, 24, v12
	s_movk_i32 s7, 0x80
	v_cmp_ne_u32_e32 vcc, s7, v10
	v_bfrev_b32_e32 v23, 1
	s_and_saveexec_b64 s[8:9], vcc
	s_cbranch_execz .LBB563_566
; %bb.563:
	v_bfe_u32 v12, v12, 24, 7
	s_movk_i32 s7, 0x7f
	v_cmp_ne_u32_e32 vcc, s7, v12
	v_mov_b32_e32 v23, 0x7f800001
	s_and_saveexec_b64 s[10:11], vcc
	s_cbranch_execz .LBB563_565
; %bb.564:
	v_and_b32_e32 v19, 7, v10
	v_ffbh_u32_e32 v24, v19
	v_min_u32_e32 v26, 32, v24
	v_subrev_u32_e32 v24, 28, v26
	v_lshlrev_b64 v[24:25], v24, v[10:11]
	v_lshrrev_b32_e32 v23, 3, v12
	v_sub_u32_e32 v25, 29, v26
	v_and_b32_e32 v24, 7, v24
	v_cmp_gt_u32_e32 vcc, 8, v12
	v_cndmask_b32_e32 v12, v23, v25, vcc
	v_cndmask_b32_e32 v19, v19, v24, vcc
	v_lshlrev_b32_e32 v10, 24, v10
	v_bfrev_b32_e32 v23, 60
	v_lshlrev_b32_e32 v19, 20, v19
	v_and_b32_e32 v10, 0x80000000, v10
	v_lshl_add_u32 v12, v12, 23, v23
	v_or3_b32 v23, v10, v12, v19
.LBB563_565:
	s_or_b64 exec, exec, s[10:11]
.LBB563_566:
	s_or_b64 exec, exec, s[8:9]
.LBB563_567:
	s_or_b64 exec, exec, s[2:3]
	v_cmp_ne_u16_sdwa s[8:9], v13, v21 src0_sel:BYTE_0 src1_sel:DWORD
	s_and_saveexec_b64 s[2:3], s[8:9]
	s_cbranch_execz .LBB563_573
; %bb.568:
	s_movk_i32 s7, 0x80
	v_cmp_ne_u16_sdwa s[10:11], v13, s7 src0_sel:BYTE_0 src1_sel:DWORD
	v_bfrev_b32_e32 v21, 1
	s_and_saveexec_b64 s[8:9], s[10:11]
	s_cbranch_execz .LBB563_572
; %bb.569:
	s_movk_i32 s7, 0x7f
	v_and_b32_e32 v10, 0x7f, v13
	v_cmp_ne_u32_e32 vcc, s7, v10
	v_mov_b32_e32 v21, 0x7f800001
	s_and_saveexec_b64 s[10:11], vcc
	s_cbranch_execz .LBB563_571
; %bb.570:
	v_and_b32_e32 v19, 7, v13
	v_ffbh_u32_e32 v24, v19
	v_min_u32_e32 v26, 32, v24
	v_mov_b32_e32 v12, v13
	v_subrev_u32_e32 v24, 28, v26
	v_lshlrev_b64 v[24:25], v24, v[12:13]
	v_lshrrev_b32_e32 v21, 3, v10
	v_sub_u32_e32 v12, 29, v26
	v_and_b32_e32 v24, 7, v24
	v_cmp_gt_u32_e32 vcc, 8, v10
	v_cndmask_b32_e32 v10, v21, v12, vcc
	v_cndmask_b32_e32 v12, v19, v24, vcc
	v_lshlrev_b32_e32 v19, 24, v13
	v_bfrev_b32_e32 v21, 60
	v_lshlrev_b32_e32 v12, 20, v12
	v_and_b32_e32 v19, 0x80000000, v19
	v_lshl_add_u32 v10, v10, 23, v21
	v_or3_b32 v21, v19, v10, v12
.LBB563_571:
	s_or_b64 exec, exec, s[10:11]
.LBB563_572:
	s_or_b64 exec, exec, s[8:9]
.LBB563_573:
	s_or_b64 exec, exec, s[2:3]
	v_lshrrev_b16_e32 v10, 8, v13
	v_cmp_ne_u16_e32 vcc, 0, v10
	v_mov_b32_e32 v12, 0
	v_mov_b32_e32 v24, 0
	s_and_saveexec_b64 s[2:3], vcc
	s_cbranch_execz .LBB563_579
; %bb.574:
	s_movk_i32 s7, 0x80
	v_cmp_ne_u16_e32 vcc, s7, v10
	v_bfrev_b32_e32 v24, 1
	s_and_saveexec_b64 s[8:9], vcc
	s_cbranch_execz .LBB563_578
; %bb.575:
	s_movk_i32 s7, 0x7f
	v_and_b32_e32 v19, 0x7f, v10
	v_cmp_ne_u32_e32 vcc, s7, v19
	v_mov_b32_e32 v24, 0x7f800001
	s_and_saveexec_b64 s[10:11], vcc
	s_cbranch_execz .LBB563_577
; %bb.576:
	v_and_b32_e32 v26, 7, v10
	v_ffbh_u32_e32 v24, v26
	v_min_u32_e32 v29, 32, v24
	v_subrev_u32_e32 v24, 28, v29
	v_lshlrev_b64 v[24:25], v24, v[10:11]
	v_lshrrev_b32_e32 v27, 3, v19
	v_sub_u32_e32 v10, 29, v29
	v_and_b32_e32 v24, 7, v24
	v_cmp_gt_u32_e32 vcc, 8, v19
	v_cndmask_b32_e32 v10, v27, v10, vcc
	v_cndmask_b32_e32 v19, v26, v24, vcc
	v_lshlrev_b32_e32 v24, 16, v13
	v_bfrev_b32_e32 v25, 60
	v_lshlrev_b32_e32 v19, 20, v19
	v_and_b32_e32 v24, 0x80000000, v24
	v_lshl_add_u32 v10, v10, 23, v25
	v_or3_b32 v24, v24, v10, v19
.LBB563_577:
	s_or_b64 exec, exec, s[10:11]
.LBB563_578:
	s_or_b64 exec, exec, s[8:9]
.LBB563_579:
	s_or_b64 exec, exec, s[2:3]
	s_movk_i32 s2, 0xff
	v_and_b32_sdwa v19, v13, s2 dst_sel:DWORD dst_unused:UNUSED_PAD src0_sel:WORD_1 src1_sel:DWORD
	v_lshrrev_b32_e32 v10, 16, v13
	v_cmp_ne_u16_e32 vcc, 0, v19
	s_and_saveexec_b64 s[2:3], vcc
	s_cbranch_execz .LBB563_585
; %bb.580:
	s_movk_i32 s7, 0x80
	v_cmp_ne_u16_e32 vcc, s7, v19
	v_bfrev_b32_e32 v12, 1
	s_and_saveexec_b64 s[8:9], vcc
	s_cbranch_execz .LBB563_584
; %bb.581:
	v_bfe_u32 v19, v13, 16, 7
	s_movk_i32 s7, 0x7f
	v_cmp_ne_u32_e32 vcc, s7, v19
	v_mov_b32_e32 v12, 0x7f800001
	s_and_saveexec_b64 s[10:11], vcc
	s_cbranch_execz .LBB563_583
; %bb.582:
	v_and_b32_e32 v12, 7, v10
	v_ffbh_u32_e32 v26, v12
	v_min_u32_e32 v29, 32, v26
	v_subrev_u32_e32 v26, 28, v29
	v_lshlrev_b64 v[26:27], v26, v[10:11]
	v_lshrrev_b32_e32 v25, 3, v19
	v_sub_u32_e32 v10, 29, v29
	v_and_b32_e32 v26, 7, v26
	v_cmp_gt_u32_e32 vcc, 8, v19
	v_mov_b32_e32 v19, 24
	v_cndmask_b32_e32 v10, v25, v10, vcc
	v_cndmask_b32_e32 v12, v12, v26, vcc
	v_lshlrev_b32_sdwa v19, v19, v13 dst_sel:DWORD dst_unused:UNUSED_PAD src0_sel:DWORD src1_sel:WORD_1
	v_bfrev_b32_e32 v25, 60
	v_lshlrev_b32_e32 v12, 20, v12
	v_and_b32_e32 v19, 0x80000000, v19
	v_lshl_add_u32 v10, v10, 23, v25
	v_or3_b32 v12, v19, v10, v12
.LBB563_583:
	s_or_b64 exec, exec, s[10:11]
.LBB563_584:
	s_or_b64 exec, exec, s[8:9]
.LBB563_585:
	s_or_b64 exec, exec, s[2:3]
	s_mov_b32 s2, 0xffffff
	v_cmp_lt_u32_e32 vcc, s2, v13
	v_mov_b32_e32 v19, 0
	v_mov_b32_e32 v25, 0
	s_and_saveexec_b64 s[2:3], vcc
	s_cbranch_execz .LBB563_591
; %bb.586:
	v_lshrrev_b32_e32 v10, 24, v13
	s_movk_i32 s7, 0x80
	v_cmp_ne_u32_e32 vcc, s7, v10
	v_bfrev_b32_e32 v25, 1
	s_and_saveexec_b64 s[8:9], vcc
	s_cbranch_execz .LBB563_590
; %bb.587:
	v_bfe_u32 v13, v13, 24, 7
	s_movk_i32 s7, 0x7f
	v_cmp_ne_u32_e32 vcc, s7, v13
	v_mov_b32_e32 v25, 0x7f800001
	s_and_saveexec_b64 s[10:11], vcc
	s_cbranch_execz .LBB563_589
; %bb.588:
	v_and_b32_e32 v25, 7, v10
	v_ffbh_u32_e32 v26, v25
	v_min_u32_e32 v30, 32, v26
	v_subrev_u32_e32 v26, 28, v30
	v_lshlrev_b64 v[26:27], v26, v[10:11]
	v_lshrrev_b32_e32 v29, 3, v13
	v_sub_u32_e32 v27, 29, v30
	v_and_b32_e32 v26, 7, v26
	v_cmp_gt_u32_e32 vcc, 8, v13
	v_cndmask_b32_e32 v13, v29, v27, vcc
	v_cndmask_b32_e32 v25, v25, v26, vcc
	v_lshlrev_b32_e32 v10, 24, v10
	v_bfrev_b32_e32 v26, 60
	v_lshlrev_b32_e32 v25, 20, v25
	v_and_b32_e32 v10, 0x80000000, v10
	v_lshl_add_u32 v13, v13, 23, v26
	v_or3_b32 v25, v10, v13, v25
.LBB563_589:
	s_or_b64 exec, exec, s[10:11]
.LBB563_590:
	s_or_b64 exec, exec, s[8:9]
.LBB563_591:
	s_or_b64 exec, exec, s[2:3]
	v_cvt_pkrtz_f16_f32 v10, v18, v20
	v_cvt_pkrtz_f16_f32 v11, v11, v23
	ds_read_b128 v[30:33], v22 offset:2064
	s_waitcnt vmcnt(1)
	v_cmp_ne_u16_sdwa s[8:9], v6, v19 src0_sel:BYTE_0 src1_sel:DWORD
	s_waitcnt lgkmcnt(0)
	v_mfma_f32_16x16x16f16 v[14:17], v[10:11], v[30:31], v[14:17]
	v_cvt_pkrtz_f16_f32 v10, v21, v24
	v_cvt_pkrtz_f16_f32 v11, v12, v25
	s_nop 1
	v_mfma_f32_16x16x16f16 v[10:13], v[10:11], v[32:33], v[14:17]
	s_and_saveexec_b64 s[2:3], s[8:9]
	s_cbranch_execz .LBB563_597
; %bb.592:
	s_movk_i32 s7, 0x80
	v_cmp_ne_u16_sdwa s[10:11], v6, s7 src0_sel:BYTE_0 src1_sel:DWORD
	v_bfrev_b32_e32 v19, 1
	s_and_saveexec_b64 s[8:9], s[10:11]
	s_cbranch_execz .LBB563_596
; %bb.593:
	s_movk_i32 s7, 0x7f
	v_and_b32_e32 v14, 0x7f, v6
	v_cmp_ne_u32_e32 vcc, s7, v14
	v_mov_b32_e32 v19, 0x7f800001
	s_and_saveexec_b64 s[10:11], vcc
	s_cbranch_execz .LBB563_595
; %bb.594:
	v_and_b32_e32 v15, 7, v6
	v_ffbh_u32_e32 v16, v15
	v_min_u32_e32 v19, 32, v16
	v_subrev_u32_e32 v16, 28, v19
	v_lshlrev_b64 v[16:17], v16, v[6:7]
	v_lshrrev_b32_e32 v18, 3, v14
	v_sub_u32_e32 v17, 29, v19
	v_and_b32_e32 v16, 7, v16
	v_cmp_gt_u32_e32 vcc, 8, v14
	v_cndmask_b32_e32 v14, v18, v17, vcc
	v_cndmask_b32_e32 v15, v15, v16, vcc
	v_lshlrev_b32_e32 v16, 24, v6
	v_bfrev_b32_e32 v17, 60
	v_lshlrev_b32_e32 v15, 20, v15
	v_and_b32_e32 v16, 0x80000000, v16
	v_lshl_add_u32 v14, v14, 23, v17
	v_or3_b32 v19, v16, v14, v15
.LBB563_595:
	s_or_b64 exec, exec, s[10:11]
.LBB563_596:
	s_or_b64 exec, exec, s[8:9]
.LBB563_597:
	s_or_b64 exec, exec, s[2:3]
	s_nop 3
	v_lshrrev_b16_e32 v14, 8, v6
	v_cmp_ne_u16_e32 vcc, 0, v14
	v_mov_b32_e32 v15, 0
	v_mov_b32_e32 v16, 0
	s_and_saveexec_b64 s[2:3], vcc
	s_cbranch_execz .LBB563_603
; %bb.598:
	s_movk_i32 s7, 0x80
	v_cmp_ne_u16_e32 vcc, s7, v14
	v_bfrev_b32_e32 v16, 1
	s_and_saveexec_b64 s[8:9], vcc
	s_cbranch_execz .LBB563_602
; %bb.599:
	s_movk_i32 s7, 0x7f
	v_and_b32_e32 v17, 0x7f, v14
	v_cmp_ne_u32_e32 vcc, s7, v17
	v_mov_b32_e32 v16, 0x7f800001
	s_and_saveexec_b64 s[10:11], vcc
	s_cbranch_execz .LBB563_601
; %bb.600:
	v_and_b32_e32 v16, 7, v14
	v_ffbh_u32_e32 v20, v16
	v_min_u32_e32 v23, 32, v20
	v_subrev_u32_e32 v20, 28, v23
	v_lshlrev_b64 v[20:21], v20, v[14:15]
	v_lshrrev_b32_e32 v18, 3, v17
	v_sub_u32_e32 v14, 29, v23
	v_and_b32_e32 v20, 7, v20
	v_cmp_gt_u32_e32 vcc, 8, v17
	v_cndmask_b32_e32 v14, v18, v14, vcc
	v_cndmask_b32_e32 v16, v16, v20, vcc
	v_lshlrev_b32_e32 v17, 16, v6
	v_bfrev_b32_e32 v18, 60
	v_lshlrev_b32_e32 v16, 20, v16
	v_and_b32_e32 v17, 0x80000000, v17
	v_lshl_add_u32 v14, v14, 23, v18
	v_or3_b32 v16, v17, v14, v16
.LBB563_601:
	s_or_b64 exec, exec, s[10:11]
.LBB563_602:
	s_or_b64 exec, exec, s[8:9]
.LBB563_603:
	s_or_b64 exec, exec, s[2:3]
	s_movk_i32 s2, 0xff
	v_and_b32_sdwa v17, v6, s2 dst_sel:DWORD dst_unused:UNUSED_PAD src0_sel:WORD_1 src1_sel:DWORD
	v_lshrrev_b32_e32 v14, 16, v6
	v_cmp_ne_u16_e32 vcc, 0, v17
	s_and_saveexec_b64 s[2:3], vcc
	s_cbranch_execz .LBB563_609
; %bb.604:
	s_movk_i32 s7, 0x80
	v_cmp_ne_u16_e32 vcc, s7, v17
	v_bfrev_b32_e32 v15, 1
	s_and_saveexec_b64 s[8:9], vcc
	s_cbranch_execz .LBB563_608
; %bb.605:
	v_bfe_u32 v17, v6, 16, 7
	s_movk_i32 s7, 0x7f
	v_cmp_ne_u32_e32 vcc, s7, v17
	v_mov_b32_e32 v15, 0x7f800001
	s_and_saveexec_b64 s[10:11], vcc
	s_cbranch_execz .LBB563_607
; %bb.606:
	v_and_b32_e32 v18, 7, v14
	v_ffbh_u32_e32 v15, v18
	v_min_u32_e32 v21, 32, v15
	v_subrev_u32_e32 v15, 28, v21
	v_lshlrev_b64 v[14:15], v15, v[14:15]
	v_lshrrev_b32_e32 v20, 3, v17
	v_sub_u32_e32 v15, 29, v21
	v_and_b32_e32 v14, 7, v14
	v_cmp_gt_u32_e32 vcc, 8, v17
	v_mov_b32_e32 v17, 24
	v_cndmask_b32_e32 v15, v20, v15, vcc
	v_cndmask_b32_e32 v14, v18, v14, vcc
	v_lshlrev_b32_sdwa v17, v17, v6 dst_sel:DWORD dst_unused:UNUSED_PAD src0_sel:DWORD src1_sel:WORD_1
	v_bfrev_b32_e32 v18, 60
	v_lshlrev_b32_e32 v14, 20, v14
	v_and_b32_e32 v17, 0x80000000, v17
	v_lshl_add_u32 v15, v15, 23, v18
	v_or3_b32 v15, v17, v15, v14
.LBB563_607:
	s_or_b64 exec, exec, s[10:11]
.LBB563_608:
	s_or_b64 exec, exec, s[8:9]
.LBB563_609:
	s_or_b64 exec, exec, s[2:3]
	s_mov_b32 s2, 0xffffff
	v_cmp_lt_u32_e32 vcc, s2, v6
	v_mov_b32_e32 v17, 0
	v_mov_b32_e32 v18, 0
	s_and_saveexec_b64 s[2:3], vcc
	s_cbranch_execz .LBB563_615
; %bb.610:
	v_lshrrev_b32_e32 v14, 24, v6
	s_movk_i32 s7, 0x80
	v_cmp_ne_u32_e32 vcc, s7, v14
	v_bfrev_b32_e32 v18, 1
	s_and_saveexec_b64 s[8:9], vcc
	s_cbranch_execz .LBB563_614
; %bb.611:
	v_bfe_u32 v6, v6, 24, 7
	s_movk_i32 s7, 0x7f
	v_cmp_ne_u32_e32 vcc, s7, v6
	v_mov_b32_e32 v18, 0x7f800001
	s_and_saveexec_b64 s[10:11], vcc
	s_cbranch_execz .LBB563_613
; %bb.612:
	v_and_b32_e32 v18, 7, v14
	v_ffbh_u32_e32 v20, v18
	v_min_u32_e32 v24, 32, v20
	v_subrev_u32_e32 v20, 28, v24
	v_lshlrev_b64 v[20:21], v20, v[14:15]
	v_lshrrev_b32_e32 v23, 3, v6
	v_sub_u32_e32 v21, 29, v24
	v_and_b32_e32 v20, 7, v20
	v_cmp_gt_u32_e32 vcc, 8, v6
	v_cndmask_b32_e32 v6, v23, v21, vcc
	v_cndmask_b32_e32 v18, v18, v20, vcc
	v_lshlrev_b32_e32 v14, 24, v14
	v_bfrev_b32_e32 v20, 60
	v_lshlrev_b32_e32 v18, 20, v18
	v_and_b32_e32 v14, 0x80000000, v14
	v_lshl_add_u32 v6, v6, 23, v20
	v_or3_b32 v18, v14, v6, v18
.LBB563_613:
	s_or_b64 exec, exec, s[10:11]
.LBB563_614:
	s_or_b64 exec, exec, s[8:9]
.LBB563_615:
	s_or_b64 exec, exec, s[2:3]
	v_cmp_ne_u16_sdwa s[8:9], v7, v17 src0_sel:BYTE_0 src1_sel:DWORD
	s_and_saveexec_b64 s[2:3], s[8:9]
	s_cbranch_execz .LBB563_621
; %bb.616:
	s_movk_i32 s7, 0x80
	v_cmp_ne_u16_sdwa s[10:11], v7, s7 src0_sel:BYTE_0 src1_sel:DWORD
	v_bfrev_b32_e32 v17, 1
	s_and_saveexec_b64 s[8:9], s[10:11]
	s_cbranch_execz .LBB563_620
; %bb.617:
	s_movk_i32 s7, 0x7f
	v_and_b32_e32 v6, 0x7f, v7
	v_cmp_ne_u32_e32 vcc, s7, v6
	v_mov_b32_e32 v17, 0x7f800001
	s_and_saveexec_b64 s[10:11], vcc
	s_cbranch_execz .LBB563_619
; %bb.618:
	v_and_b32_e32 v17, 7, v7
	v_ffbh_u32_e32 v20, v17
	v_min_u32_e32 v24, 32, v20
	v_mov_b32_e32 v14, v7
	v_subrev_u32_e32 v20, 28, v24
	v_lshlrev_b64 v[20:21], v20, v[14:15]
	v_lshrrev_b32_e32 v23, 3, v6
	v_sub_u32_e32 v14, 29, v24
	v_and_b32_e32 v20, 7, v20
	v_cmp_gt_u32_e32 vcc, 8, v6
	v_cndmask_b32_e32 v6, v23, v14, vcc
	v_cndmask_b32_e32 v14, v17, v20, vcc
	v_lshlrev_b32_e32 v17, 24, v7
	v_bfrev_b32_e32 v20, 60
	v_lshlrev_b32_e32 v14, 20, v14
	v_and_b32_e32 v17, 0x80000000, v17
	v_lshl_add_u32 v6, v6, 23, v20
	v_or3_b32 v17, v17, v6, v14
.LBB563_619:
	s_or_b64 exec, exec, s[10:11]
.LBB563_620:
	s_or_b64 exec, exec, s[8:9]
.LBB563_621:
	s_or_b64 exec, exec, s[2:3]
	v_lshrrev_b16_e32 v6, 8, v7
	v_cmp_ne_u16_e32 vcc, 0, v6
	v_mov_b32_e32 v20, 0
	v_mov_b32_e32 v21, 0
	s_and_saveexec_b64 s[2:3], vcc
	s_cbranch_execz .LBB563_627
; %bb.622:
	s_movk_i32 s7, 0x80
	v_cmp_ne_u16_e32 vcc, s7, v6
	v_bfrev_b32_e32 v21, 1
	s_and_saveexec_b64 s[8:9], vcc
	s_cbranch_execz .LBB563_626
; %bb.623:
	s_movk_i32 s7, 0x7f
	v_and_b32_e32 v14, 0x7f, v6
	v_cmp_ne_u32_e32 vcc, s7, v14
	v_mov_b32_e32 v21, 0x7f800001
	s_and_saveexec_b64 s[10:11], vcc
	s_cbranch_execz .LBB563_625
; %bb.624:
	v_and_b32_e32 v21, 7, v6
	v_ffbh_u32_e32 v24, v21
	v_min_u32_e32 v26, 32, v24
	v_subrev_u32_e32 v24, 28, v26
	v_lshlrev_b64 v[24:25], v24, v[6:7]
	v_lshrrev_b32_e32 v23, 3, v14
	v_sub_u32_e32 v6, 29, v26
	v_and_b32_e32 v24, 7, v24
	v_cmp_gt_u32_e32 vcc, 8, v14
	v_cndmask_b32_e32 v6, v23, v6, vcc
	v_cndmask_b32_e32 v14, v21, v24, vcc
	v_lshlrev_b32_e32 v21, 16, v7
	v_bfrev_b32_e32 v23, 60
	v_lshlrev_b32_e32 v14, 20, v14
	v_and_b32_e32 v21, 0x80000000, v21
	v_lshl_add_u32 v6, v6, 23, v23
	v_or3_b32 v21, v21, v6, v14
.LBB563_625:
	s_or_b64 exec, exec, s[10:11]
.LBB563_626:
	s_or_b64 exec, exec, s[8:9]
.LBB563_627:
	s_or_b64 exec, exec, s[2:3]
	s_movk_i32 s2, 0xff
	v_and_b32_sdwa v14, v7, s2 dst_sel:DWORD dst_unused:UNUSED_PAD src0_sel:WORD_1 src1_sel:DWORD
	v_lshrrev_b32_e32 v6, 16, v7
	v_cmp_ne_u16_e32 vcc, 0, v14
	s_and_saveexec_b64 s[2:3], vcc
	s_cbranch_execz .LBB563_633
; %bb.628:
	s_movk_i32 s7, 0x80
	v_cmp_ne_u16_e32 vcc, s7, v14
	v_bfrev_b32_e32 v20, 1
	s_and_saveexec_b64 s[8:9], vcc
	s_cbranch_execz .LBB563_632
; %bb.629:
	v_bfe_u32 v14, v7, 16, 7
	s_movk_i32 s7, 0x7f
	v_cmp_ne_u32_e32 vcc, s7, v14
	v_mov_b32_e32 v20, 0x7f800001
	s_and_saveexec_b64 s[10:11], vcc
	s_cbranch_execz .LBB563_631
; %bb.630:
	v_and_b32_e32 v20, 7, v6
	v_ffbh_u32_e32 v24, v20
	v_min_u32_e32 v26, 32, v24
	v_subrev_u32_e32 v24, 28, v26
	v_lshlrev_b64 v[24:25], v24, v[6:7]
	v_and_b32_e32 v24, 7, v24
	v_cmp_gt_u32_e32 vcc, 8, v14
	v_lshrrev_b32_e32 v23, 3, v14
	v_sub_u32_e32 v6, 29, v26
	v_cndmask_b32_e32 v14, v20, v24, vcc
	v_mov_b32_e32 v20, 24
	v_cndmask_b32_e32 v6, v23, v6, vcc
	v_lshlrev_b32_sdwa v20, v20, v7 dst_sel:DWORD dst_unused:UNUSED_PAD src0_sel:DWORD src1_sel:WORD_1
	v_bfrev_b32_e32 v23, 60
	v_lshlrev_b32_e32 v14, 20, v14
	v_and_b32_e32 v20, 0x80000000, v20
	v_lshl_add_u32 v6, v6, 23, v23
	v_or3_b32 v20, v20, v6, v14
.LBB563_631:
	s_or_b64 exec, exec, s[10:11]
.LBB563_632:
	s_or_b64 exec, exec, s[8:9]
.LBB563_633:
	s_or_b64 exec, exec, s[2:3]
	s_mov_b32 s2, 0xffffff
	v_cmp_lt_u32_e32 vcc, s2, v7
	v_mov_b32_e32 v14, 0
	v_mov_b32_e32 v23, 0
	s_and_saveexec_b64 s[2:3], vcc
	s_cbranch_execz .LBB563_639
; %bb.634:
	v_lshrrev_b32_e32 v6, 24, v7
	s_movk_i32 s7, 0x80
	v_cmp_ne_u32_e32 vcc, s7, v6
	v_bfrev_b32_e32 v23, 1
	s_and_saveexec_b64 s[8:9], vcc
	s_cbranch_execz .LBB563_638
; %bb.635:
	v_bfe_u32 v7, v7, 24, 7
	s_movk_i32 s7, 0x7f
	v_cmp_ne_u32_e32 vcc, s7, v7
	v_mov_b32_e32 v23, 0x7f800001
	s_and_saveexec_b64 s[10:11], vcc
	s_cbranch_execz .LBB563_637
; %bb.636:
	v_and_b32_e32 v23, 7, v6
	v_ffbh_u32_e32 v24, v23
	v_min_u32_e32 v27, 32, v24
	v_subrev_u32_e32 v24, 28, v27
	v_lshlrev_b64 v[24:25], v24, v[6:7]
	v_lshrrev_b32_e32 v26, 3, v7
	v_sub_u32_e32 v25, 29, v27
	v_and_b32_e32 v24, 7, v24
	v_cmp_gt_u32_e32 vcc, 8, v7
	v_cndmask_b32_e32 v7, v26, v25, vcc
	v_cndmask_b32_e32 v23, v23, v24, vcc
	v_lshlrev_b32_e32 v6, 24, v6
	v_bfrev_b32_e32 v24, 60
	v_lshlrev_b32_e32 v23, 20, v23
	v_and_b32_e32 v6, 0x80000000, v6
	v_lshl_add_u32 v7, v7, 23, v24
	v_or3_b32 v23, v6, v7, v23
.LBB563_637:
	s_or_b64 exec, exec, s[10:11]
.LBB563_638:
	s_or_b64 exec, exec, s[8:9]
.LBB563_639:
	s_or_b64 exec, exec, s[2:3]
	v_cvt_pkrtz_f16_f32 v6, v19, v16
	v_cvt_pkrtz_f16_f32 v7, v15, v18
	ds_read_b128 v[24:27], v22 offset:4096
	v_cmp_ne_u16_sdwa s[8:9], v8, v14 src0_sel:BYTE_0 src1_sel:DWORD
	s_waitcnt lgkmcnt(0)
	v_mfma_f32_16x16x16f16 v[10:13], v[6:7], v[24:25], v[10:13]
	v_cvt_pkrtz_f16_f32 v6, v17, v21
	v_cvt_pkrtz_f16_f32 v7, v20, v23
	s_nop 1
	v_mfma_f32_16x16x16f16 v[10:13], v[6:7], v[26:27], v[10:13]
	s_and_saveexec_b64 s[2:3], s[8:9]
	s_cbranch_execz .LBB563_645
; %bb.640:
	s_movk_i32 s7, 0x80
	v_cmp_ne_u16_sdwa s[10:11], v8, s7 src0_sel:BYTE_0 src1_sel:DWORD
	v_bfrev_b32_e32 v14, 1
	s_and_saveexec_b64 s[8:9], s[10:11]
	s_cbranch_execz .LBB563_644
; %bb.641:
	s_movk_i32 s7, 0x7f
	v_and_b32_e32 v6, 0x7f, v8
	v_cmp_ne_u32_e32 vcc, s7, v6
	v_mov_b32_e32 v14, 0x7f800001
	s_and_saveexec_b64 s[10:11], vcc
	s_cbranch_execz .LBB563_643
; %bb.642:
	v_and_b32_e32 v7, 7, v8
	v_ffbh_u32_e32 v14, v7
	v_min_u32_e32 v17, 32, v14
	v_subrev_u32_e32 v14, 28, v17
	v_lshlrev_b64 v[14:15], v14, v[8:9]
	v_lshrrev_b32_e32 v16, 3, v6
	v_sub_u32_e32 v15, 29, v17
	v_and_b32_e32 v14, 7, v14
	v_cmp_gt_u32_e32 vcc, 8, v6
	v_cndmask_b32_e32 v6, v16, v15, vcc
	v_cndmask_b32_e32 v7, v7, v14, vcc
	v_lshlrev_b32_e32 v14, 24, v8
	v_bfrev_b32_e32 v15, 60
	v_lshlrev_b32_e32 v7, 20, v7
	v_and_b32_e32 v14, 0x80000000, v14
	v_lshl_add_u32 v6, v6, 23, v15
	v_or3_b32 v14, v14, v6, v7
.LBB563_643:
	s_or_b64 exec, exec, s[10:11]
.LBB563_644:
	s_or_b64 exec, exec, s[8:9]
.LBB563_645:
	s_or_b64 exec, exec, s[2:3]
	v_lshrrev_b16_e32 v6, 8, v8
	v_cmp_ne_u16_e32 vcc, 0, v6
	v_mov_b32_e32 v7, 0
	v_mov_b32_e32 v16, 0
	s_and_saveexec_b64 s[2:3], vcc
	s_cbranch_execz .LBB563_651
; %bb.646:
	s_movk_i32 s7, 0x80
	v_cmp_ne_u16_e32 vcc, s7, v6
	v_bfrev_b32_e32 v16, 1
	s_and_saveexec_b64 s[8:9], vcc
	s_cbranch_execz .LBB563_650
; %bb.647:
	s_movk_i32 s7, 0x7f
	v_and_b32_e32 v15, 0x7f, v6
	v_cmp_ne_u32_e32 vcc, s7, v15
	v_mov_b32_e32 v16, 0x7f800001
	s_and_saveexec_b64 s[10:11], vcc
	s_cbranch_execz .LBB563_649
; %bb.648:
	v_and_b32_e32 v18, 7, v6
	v_ffbh_u32_e32 v16, v18
	v_min_u32_e32 v20, 32, v16
	v_subrev_u32_e32 v16, 28, v20
	v_lshlrev_b64 v[16:17], v16, v[6:7]
	v_lshrrev_b32_e32 v19, 3, v15
	v_sub_u32_e32 v6, 29, v20
	v_and_b32_e32 v16, 7, v16
	v_cmp_gt_u32_e32 vcc, 8, v15
	v_cndmask_b32_e32 v6, v19, v6, vcc
	v_cndmask_b32_e32 v15, v18, v16, vcc
	v_lshlrev_b32_e32 v16, 16, v8
	v_bfrev_b32_e32 v17, 60
	v_lshlrev_b32_e32 v15, 20, v15
	v_and_b32_e32 v16, 0x80000000, v16
	v_lshl_add_u32 v6, v6, 23, v17
	v_or3_b32 v16, v16, v6, v15
.LBB563_649:
	s_or_b64 exec, exec, s[10:11]
.LBB563_650:
	s_or_b64 exec, exec, s[8:9]
.LBB563_651:
	s_or_b64 exec, exec, s[2:3]
	s_movk_i32 s2, 0xff
	v_and_b32_sdwa v15, v8, s2 dst_sel:DWORD dst_unused:UNUSED_PAD src0_sel:WORD_1 src1_sel:DWORD
	v_lshrrev_b32_e32 v6, 16, v8
	v_cmp_ne_u16_e32 vcc, 0, v15
	s_and_saveexec_b64 s[2:3], vcc
	s_cbranch_execz .LBB563_657
; %bb.652:
	s_movk_i32 s7, 0x80
	v_cmp_ne_u16_e32 vcc, s7, v15
	v_bfrev_b32_e32 v7, 1
	s_and_saveexec_b64 s[8:9], vcc
	s_cbranch_execz .LBB563_656
; %bb.653:
	v_bfe_u32 v15, v8, 16, 7
	s_movk_i32 s7, 0x7f
	v_cmp_ne_u32_e32 vcc, s7, v15
	v_mov_b32_e32 v7, 0x7f800001
	s_and_saveexec_b64 s[10:11], vcc
	s_cbranch_execz .LBB563_655
; %bb.654:
	v_and_b32_e32 v17, 7, v6
	v_ffbh_u32_e32 v7, v17
	v_min_u32_e32 v19, 32, v7
	v_subrev_u32_e32 v7, 28, v19
	v_lshlrev_b64 v[6:7], v7, v[6:7]
	v_lshrrev_b32_e32 v18, 3, v15
	v_sub_u32_e32 v7, 29, v19
	v_and_b32_e32 v6, 7, v6
	v_cmp_gt_u32_e32 vcc, 8, v15
	v_mov_b32_e32 v15, 24
	v_cndmask_b32_e32 v7, v18, v7, vcc
	v_cndmask_b32_e32 v6, v17, v6, vcc
	v_lshlrev_b32_sdwa v15, v15, v8 dst_sel:DWORD dst_unused:UNUSED_PAD src0_sel:DWORD src1_sel:WORD_1
	v_bfrev_b32_e32 v17, 60
	v_lshlrev_b32_e32 v6, 20, v6
	v_and_b32_e32 v15, 0x80000000, v15
	v_lshl_add_u32 v7, v7, 23, v17
	v_or3_b32 v7, v15, v7, v6
.LBB563_655:
	s_or_b64 exec, exec, s[10:11]
.LBB563_656:
	s_or_b64 exec, exec, s[8:9]
.LBB563_657:
	s_or_b64 exec, exec, s[2:3]
	s_mov_b32 s2, 0xffffff
	v_cmp_lt_u32_e32 vcc, s2, v8
	v_mov_b32_e32 v17, 0
	v_mov_b32_e32 v18, 0
	s_and_saveexec_b64 s[2:3], vcc
	s_cbranch_execz .LBB563_663
; %bb.658:
	v_lshrrev_b32_e32 v6, 24, v8
	s_movk_i32 s7, 0x80
	v_cmp_ne_u32_e32 vcc, s7, v6
	v_bfrev_b32_e32 v18, 1
	s_and_saveexec_b64 s[8:9], vcc
	s_cbranch_execz .LBB563_662
; %bb.659:
	v_bfe_u32 v8, v8, 24, 7
	s_movk_i32 s7, 0x7f
	v_cmp_ne_u32_e32 vcc, s7, v8
	v_mov_b32_e32 v18, 0x7f800001
	s_and_saveexec_b64 s[10:11], vcc
	s_cbranch_execz .LBB563_661
; %bb.660:
	v_and_b32_e32 v15, 7, v6
	v_ffbh_u32_e32 v18, v15
	v_min_u32_e32 v21, 32, v18
	v_subrev_u32_e32 v18, 28, v21
	v_lshlrev_b64 v[18:19], v18, v[6:7]
	v_lshrrev_b32_e32 v20, 3, v8
	v_sub_u32_e32 v19, 29, v21
	v_and_b32_e32 v18, 7, v18
	v_cmp_gt_u32_e32 vcc, 8, v8
	v_cndmask_b32_e32 v8, v20, v19, vcc
	v_cndmask_b32_e32 v15, v15, v18, vcc
	v_lshlrev_b32_e32 v6, 24, v6
	v_bfrev_b32_e32 v18, 60
	v_lshlrev_b32_e32 v15, 20, v15
	v_and_b32_e32 v6, 0x80000000, v6
	v_lshl_add_u32 v8, v8, 23, v18
	v_or3_b32 v18, v6, v8, v15
.LBB563_661:
	s_or_b64 exec, exec, s[10:11]
.LBB563_662:
	s_or_b64 exec, exec, s[8:9]
.LBB563_663:
	s_or_b64 exec, exec, s[2:3]
	v_cmp_ne_u16_sdwa s[8:9], v9, v17 src0_sel:BYTE_0 src1_sel:DWORD
	s_and_saveexec_b64 s[2:3], s[8:9]
	s_cbranch_execz .LBB563_669
; %bb.664:
	s_movk_i32 s7, 0x80
	v_cmp_ne_u16_sdwa s[10:11], v9, s7 src0_sel:BYTE_0 src1_sel:DWORD
	v_bfrev_b32_e32 v17, 1
	s_and_saveexec_b64 s[8:9], s[10:11]
	s_cbranch_execz .LBB563_668
; %bb.665:
	s_movk_i32 s7, 0x7f
	v_and_b32_e32 v6, 0x7f, v9
	v_cmp_ne_u32_e32 vcc, s7, v6
	v_mov_b32_e32 v17, 0x7f800001
	s_and_saveexec_b64 s[10:11], vcc
	s_cbranch_execz .LBB563_667
; %bb.666:
	v_and_b32_e32 v15, 7, v9
	v_ffbh_u32_e32 v19, v15
	v_min_u32_e32 v19, 32, v19
	v_mov_b32_e32 v8, v9
	v_subrev_u32_e32 v20, 28, v19
	v_lshlrev_b64 v[20:21], v20, v[8:9]
	v_lshrrev_b32_e32 v17, 3, v6
	v_sub_u32_e32 v8, 29, v19
	v_and_b32_e32 v19, 7, v20
	v_cmp_gt_u32_e32 vcc, 8, v6
	v_cndmask_b32_e32 v6, v17, v8, vcc
	v_cndmask_b32_e32 v8, v15, v19, vcc
	v_lshlrev_b32_e32 v15, 24, v9
	v_bfrev_b32_e32 v17, 60
	v_lshlrev_b32_e32 v8, 20, v8
	v_and_b32_e32 v15, 0x80000000, v15
	v_lshl_add_u32 v6, v6, 23, v17
	v_or3_b32 v17, v15, v6, v8
.LBB563_667:
	s_or_b64 exec, exec, s[10:11]
.LBB563_668:
	s_or_b64 exec, exec, s[8:9]
.LBB563_669:
	s_or_b64 exec, exec, s[2:3]
	v_lshrrev_b16_e32 v6, 8, v9
	v_cmp_ne_u16_e32 vcc, 0, v6
	v_mov_b32_e32 v8, 0
	v_mov_b32_e32 v19, 0
	s_and_saveexec_b64 s[2:3], vcc
	s_cbranch_execz .LBB563_675
; %bb.670:
	s_movk_i32 s7, 0x80
	v_cmp_ne_u16_e32 vcc, s7, v6
	v_bfrev_b32_e32 v19, 1
	s_and_saveexec_b64 s[8:9], vcc
	s_cbranch_execz .LBB563_674
; %bb.671:
	s_movk_i32 s7, 0x7f
	v_and_b32_e32 v15, 0x7f, v6
	v_cmp_ne_u32_e32 vcc, s7, v15
	v_mov_b32_e32 v19, 0x7f800001
	s_and_saveexec_b64 s[10:11], vcc
	s_cbranch_execz .LBB563_673
; %bb.672:
	v_and_b32_e32 v19, 7, v6
	v_ffbh_u32_e32 v20, v19
	v_min_u32_e32 v24, 32, v20
	v_subrev_u32_e32 v20, 28, v24
	v_lshlrev_b64 v[20:21], v20, v[6:7]
	v_lshrrev_b32_e32 v23, 3, v15
	v_sub_u32_e32 v6, 29, v24
	v_and_b32_e32 v20, 7, v20
	v_cmp_gt_u32_e32 vcc, 8, v15
	v_cndmask_b32_e32 v6, v23, v6, vcc
	v_cndmask_b32_e32 v15, v19, v20, vcc
	v_lshlrev_b32_e32 v19, 16, v9
	v_bfrev_b32_e32 v20, 60
	v_lshlrev_b32_e32 v15, 20, v15
	v_and_b32_e32 v19, 0x80000000, v19
	v_lshl_add_u32 v6, v6, 23, v20
	v_or3_b32 v19, v19, v6, v15
.LBB563_673:
	s_or_b64 exec, exec, s[10:11]
.LBB563_674:
	s_or_b64 exec, exec, s[8:9]
.LBB563_675:
	s_or_b64 exec, exec, s[2:3]
	s_movk_i32 s2, 0xff
	v_and_b32_sdwa v15, v9, s2 dst_sel:DWORD dst_unused:UNUSED_PAD src0_sel:WORD_1 src1_sel:DWORD
	v_lshrrev_b32_e32 v6, 16, v9
	v_cmp_ne_u16_e32 vcc, 0, v15
	s_and_saveexec_b64 s[2:3], vcc
	s_cbranch_execz .LBB563_681
; %bb.676:
	s_movk_i32 s7, 0x80
	v_cmp_ne_u16_e32 vcc, s7, v15
	v_bfrev_b32_e32 v8, 1
	s_and_saveexec_b64 s[8:9], vcc
	s_cbranch_execz .LBB563_680
; %bb.677:
	v_bfe_u32 v15, v9, 16, 7
	s_movk_i32 s7, 0x7f
	v_cmp_ne_u32_e32 vcc, s7, v15
	v_mov_b32_e32 v8, 0x7f800001
	s_and_saveexec_b64 s[10:11], vcc
	s_cbranch_execz .LBB563_679
; %bb.678:
	v_and_b32_e32 v8, 7, v6
	v_ffbh_u32_e32 v20, v8
	v_min_u32_e32 v24, 32, v20
	v_subrev_u32_e32 v20, 28, v24
	v_lshlrev_b64 v[20:21], v20, v[6:7]
	v_lshrrev_b32_e32 v23, 3, v15
	v_sub_u32_e32 v6, 29, v24
	v_and_b32_e32 v20, 7, v20
	v_cmp_gt_u32_e32 vcc, 8, v15
	v_mov_b32_e32 v15, 24
	v_cndmask_b32_e32 v6, v23, v6, vcc
	v_cndmask_b32_e32 v8, v8, v20, vcc
	v_lshlrev_b32_sdwa v15, v15, v9 dst_sel:DWORD dst_unused:UNUSED_PAD src0_sel:DWORD src1_sel:WORD_1
	v_bfrev_b32_e32 v20, 60
	v_lshlrev_b32_e32 v8, 20, v8
	v_and_b32_e32 v15, 0x80000000, v15
	v_lshl_add_u32 v6, v6, 23, v20
	v_or3_b32 v8, v15, v6, v8
.LBB563_679:
	s_or_b64 exec, exec, s[10:11]
.LBB563_680:
	s_or_b64 exec, exec, s[8:9]
.LBB563_681:
	s_or_b64 exec, exec, s[2:3]
	s_mov_b32 s2, 0xffffff
	v_cmp_lt_u32_e32 vcc, s2, v9
	v_mov_b32_e32 v15, 0
	v_mov_b32_e32 v20, 0
	s_and_saveexec_b64 s[2:3], vcc
	s_cbranch_execz .LBB563_687
; %bb.682:
	v_lshrrev_b32_e32 v6, 24, v9
	s_movk_i32 s7, 0x80
	v_cmp_ne_u32_e32 vcc, s7, v6
	v_bfrev_b32_e32 v20, 1
	s_and_saveexec_b64 s[8:9], vcc
	s_cbranch_execz .LBB563_686
; %bb.683:
	v_bfe_u32 v9, v9, 24, 7
	s_movk_i32 s7, 0x7f
	v_cmp_ne_u32_e32 vcc, s7, v9
	v_mov_b32_e32 v20, 0x7f800001
	s_and_saveexec_b64 s[10:11], vcc
	s_cbranch_execz .LBB563_685
; %bb.684:
	v_and_b32_e32 v23, 7, v6
	v_ffbh_u32_e32 v20, v23
	v_min_u32_e32 v25, 32, v20
	v_subrev_u32_e32 v20, 28, v25
	v_lshlrev_b64 v[20:21], v20, v[6:7]
	v_lshrrev_b32_e32 v24, 3, v9
	v_sub_u32_e32 v21, 29, v25
	v_and_b32_e32 v20, 7, v20
	v_cmp_gt_u32_e32 vcc, 8, v9
	v_cndmask_b32_e32 v9, v24, v21, vcc
	v_cndmask_b32_e32 v20, v23, v20, vcc
	v_lshlrev_b32_e32 v6, 24, v6
	v_bfrev_b32_e32 v21, 60
	v_lshlrev_b32_e32 v20, 20, v20
	v_and_b32_e32 v6, 0x80000000, v6
	v_lshl_add_u32 v9, v9, 23, v21
	v_or3_b32 v20, v6, v9, v20
.LBB563_685:
	s_or_b64 exec, exec, s[10:11]
.LBB563_686:
	s_or_b64 exec, exec, s[8:9]
.LBB563_687:
	s_or_b64 exec, exec, s[2:3]
	v_cvt_pkrtz_f16_f32 v6, v14, v16
	v_cvt_pkrtz_f16_f32 v7, v7, v18
	ds_read_b128 v[24:27], v22 offset:4112
	s_waitcnt vmcnt(0)
	v_cmp_ne_u16_sdwa s[8:9], v2, v15 src0_sel:BYTE_0 src1_sel:DWORD
	s_waitcnt lgkmcnt(0)
	v_mfma_f32_16x16x16f16 v[10:13], v[6:7], v[24:25], v[10:13]
	v_cvt_pkrtz_f16_f32 v6, v17, v19
	v_cvt_pkrtz_f16_f32 v7, v8, v20
	s_nop 1
	v_mfma_f32_16x16x16f16 v[6:9], v[6:7], v[26:27], v[10:13]
	s_and_saveexec_b64 s[2:3], s[8:9]
	s_cbranch_execz .LBB563_693
; %bb.688:
	s_movk_i32 s7, 0x80
	v_cmp_ne_u16_sdwa s[10:11], v2, s7 src0_sel:BYTE_0 src1_sel:DWORD
	v_bfrev_b32_e32 v15, 1
	s_and_saveexec_b64 s[8:9], s[10:11]
	s_cbranch_execz .LBB563_692
; %bb.689:
	s_movk_i32 s7, 0x7f
	v_and_b32_e32 v10, 0x7f, v2
	v_cmp_ne_u32_e32 vcc, s7, v10
	v_mov_b32_e32 v15, 0x7f800001
	s_and_saveexec_b64 s[10:11], vcc
	s_cbranch_execz .LBB563_691
; %bb.690:
	v_and_b32_e32 v11, 7, v2
	v_ffbh_u32_e32 v12, v11
	v_min_u32_e32 v15, 32, v12
	v_subrev_u32_e32 v12, 28, v15
	v_lshlrev_b64 v[12:13], v12, v[2:3]
	v_lshrrev_b32_e32 v14, 3, v10
	v_sub_u32_e32 v13, 29, v15
	v_and_b32_e32 v12, 7, v12
	v_cmp_gt_u32_e32 vcc, 8, v10
	v_cndmask_b32_e32 v10, v14, v13, vcc
	v_cndmask_b32_e32 v11, v11, v12, vcc
	v_lshlrev_b32_e32 v12, 24, v2
	v_bfrev_b32_e32 v13, 60
	v_lshlrev_b32_e32 v11, 20, v11
	v_and_b32_e32 v12, 0x80000000, v12
	v_lshl_add_u32 v10, v10, 23, v13
	v_or3_b32 v15, v12, v10, v11
.LBB563_691:
	s_or_b64 exec, exec, s[10:11]
.LBB563_692:
	s_or_b64 exec, exec, s[8:9]
.LBB563_693:
	s_or_b64 exec, exec, s[2:3]
	s_nop 3
	v_lshrrev_b16_e32 v10, 8, v2
	v_cmp_ne_u16_e32 vcc, 0, v10
	v_mov_b32_e32 v11, 0
	v_mov_b32_e32 v12, 0
	s_and_saveexec_b64 s[2:3], vcc
	s_cbranch_execz .LBB563_699
; %bb.694:
	s_movk_i32 s7, 0x80
	v_cmp_ne_u16_e32 vcc, s7, v10
	v_bfrev_b32_e32 v12, 1
	s_and_saveexec_b64 s[8:9], vcc
	s_cbranch_execz .LBB563_698
; %bb.695:
	s_movk_i32 s7, 0x7f
	v_and_b32_e32 v13, 0x7f, v10
	v_cmp_ne_u32_e32 vcc, s7, v13
	v_mov_b32_e32 v12, 0x7f800001
	s_and_saveexec_b64 s[10:11], vcc
	s_cbranch_execz .LBB563_697
; %bb.696:
	v_and_b32_e32 v12, 7, v10
	v_ffbh_u32_e32 v16, v12
	v_min_u32_e32 v18, 32, v16
	v_subrev_u32_e32 v16, 28, v18
	v_lshlrev_b64 v[16:17], v16, v[10:11]
	v_lshrrev_b32_e32 v14, 3, v13
	v_sub_u32_e32 v10, 29, v18
	v_and_b32_e32 v16, 7, v16
	v_cmp_gt_u32_e32 vcc, 8, v13
	v_cndmask_b32_e32 v10, v14, v10, vcc
	v_cndmask_b32_e32 v12, v12, v16, vcc
	v_lshlrev_b32_e32 v13, 16, v2
	v_bfrev_b32_e32 v14, 60
	v_lshlrev_b32_e32 v12, 20, v12
	v_and_b32_e32 v13, 0x80000000, v13
	v_lshl_add_u32 v10, v10, 23, v14
	v_or3_b32 v12, v13, v10, v12
.LBB563_697:
	s_or_b64 exec, exec, s[10:11]
.LBB563_698:
	s_or_b64 exec, exec, s[8:9]
.LBB563_699:
	s_or_b64 exec, exec, s[2:3]
	s_movk_i32 s2, 0xff
	v_and_b32_sdwa v13, v2, s2 dst_sel:DWORD dst_unused:UNUSED_PAD src0_sel:WORD_1 src1_sel:DWORD
	v_lshrrev_b32_e32 v10, 16, v2
	v_cmp_ne_u16_e32 vcc, 0, v13
	s_and_saveexec_b64 s[2:3], vcc
	s_cbranch_execz .LBB563_705
; %bb.700:
	s_movk_i32 s7, 0x80
	v_cmp_ne_u16_e32 vcc, s7, v13
	v_bfrev_b32_e32 v11, 1
	s_and_saveexec_b64 s[8:9], vcc
	s_cbranch_execz .LBB563_704
; %bb.701:
	v_bfe_u32 v13, v2, 16, 7
	s_movk_i32 s7, 0x7f
	v_cmp_ne_u32_e32 vcc, s7, v13
	v_mov_b32_e32 v11, 0x7f800001
	s_and_saveexec_b64 s[10:11], vcc
	s_cbranch_execz .LBB563_703
; %bb.702:
	v_and_b32_e32 v14, 7, v10
	v_ffbh_u32_e32 v11, v14
	v_min_u32_e32 v17, 32, v11
	v_subrev_u32_e32 v11, 28, v17
	v_lshlrev_b64 v[10:11], v11, v[10:11]
	v_lshrrev_b32_e32 v16, 3, v13
	v_sub_u32_e32 v11, 29, v17
	v_and_b32_e32 v10, 7, v10
	v_cmp_gt_u32_e32 vcc, 8, v13
	v_mov_b32_e32 v13, 24
	v_cndmask_b32_e32 v11, v16, v11, vcc
	v_cndmask_b32_e32 v10, v14, v10, vcc
	v_lshlrev_b32_sdwa v13, v13, v2 dst_sel:DWORD dst_unused:UNUSED_PAD src0_sel:DWORD src1_sel:WORD_1
	v_bfrev_b32_e32 v14, 60
	v_lshlrev_b32_e32 v10, 20, v10
	v_and_b32_e32 v13, 0x80000000, v13
	v_lshl_add_u32 v11, v11, 23, v14
	v_or3_b32 v11, v13, v11, v10
.LBB563_703:
	s_or_b64 exec, exec, s[10:11]
.LBB563_704:
	s_or_b64 exec, exec, s[8:9]
.LBB563_705:
	s_or_b64 exec, exec, s[2:3]
	s_mov_b32 s2, 0xffffff
	v_cmp_lt_u32_e32 vcc, s2, v2
	v_mov_b32_e32 v13, 0
	v_mov_b32_e32 v14, 0
	s_and_saveexec_b64 s[2:3], vcc
	s_cbranch_execz .LBB563_711
; %bb.706:
	v_lshrrev_b32_e32 v10, 24, v2
	s_movk_i32 s7, 0x80
	v_cmp_ne_u32_e32 vcc, s7, v10
	v_bfrev_b32_e32 v14, 1
	s_and_saveexec_b64 s[8:9], vcc
	s_cbranch_execz .LBB563_710
; %bb.707:
	v_bfe_u32 v2, v2, 24, 7
	s_movk_i32 s7, 0x7f
	v_cmp_ne_u32_e32 vcc, s7, v2
	v_mov_b32_e32 v14, 0x7f800001
	s_and_saveexec_b64 s[10:11], vcc
	s_cbranch_execz .LBB563_709
; %bb.708:
	v_and_b32_e32 v14, 7, v10
	v_ffbh_u32_e32 v16, v14
	v_min_u32_e32 v19, 32, v16
	v_subrev_u32_e32 v16, 28, v19
	v_lshlrev_b64 v[16:17], v16, v[10:11]
	v_lshrrev_b32_e32 v18, 3, v2
	v_sub_u32_e32 v17, 29, v19
	v_and_b32_e32 v16, 7, v16
	v_cmp_gt_u32_e32 vcc, 8, v2
	v_cndmask_b32_e32 v2, v18, v17, vcc
	v_cndmask_b32_e32 v14, v14, v16, vcc
	v_lshlrev_b32_e32 v10, 24, v10
	v_bfrev_b32_e32 v16, 60
	v_lshlrev_b32_e32 v14, 20, v14
	v_and_b32_e32 v10, 0x80000000, v10
	v_lshl_add_u32 v2, v2, 23, v16
	v_or3_b32 v14, v10, v2, v14
.LBB563_709:
	s_or_b64 exec, exec, s[10:11]
.LBB563_710:
	s_or_b64 exec, exec, s[8:9]
.LBB563_711:
	s_or_b64 exec, exec, s[2:3]
	v_cmp_ne_u16_sdwa s[8:9], v3, v13 src0_sel:BYTE_0 src1_sel:DWORD
	s_and_saveexec_b64 s[2:3], s[8:9]
	s_cbranch_execz .LBB563_717
; %bb.712:
	s_movk_i32 s7, 0x80
	v_cmp_ne_u16_sdwa s[10:11], v3, s7 src0_sel:BYTE_0 src1_sel:DWORD
	v_bfrev_b32_e32 v13, 1
	s_and_saveexec_b64 s[8:9], s[10:11]
	s_cbranch_execz .LBB563_716
; %bb.713:
	s_movk_i32 s7, 0x7f
	v_and_b32_e32 v2, 0x7f, v3
	v_cmp_ne_u32_e32 vcc, s7, v2
	v_mov_b32_e32 v13, 0x7f800001
	s_and_saveexec_b64 s[10:11], vcc
	s_cbranch_execz .LBB563_715
; %bb.714:
	v_and_b32_e32 v13, 7, v3
	v_ffbh_u32_e32 v16, v13
	v_min_u32_e32 v19, 32, v16
	v_mov_b32_e32 v10, v3
	v_subrev_u32_e32 v16, 28, v19
	v_lshlrev_b64 v[16:17], v16, v[10:11]
	v_lshrrev_b32_e32 v18, 3, v2
	v_sub_u32_e32 v10, 29, v19
	v_and_b32_e32 v16, 7, v16
	v_cmp_gt_u32_e32 vcc, 8, v2
	v_cndmask_b32_e32 v2, v18, v10, vcc
	v_cndmask_b32_e32 v10, v13, v16, vcc
	v_lshlrev_b32_e32 v13, 24, v3
	v_bfrev_b32_e32 v16, 60
	v_lshlrev_b32_e32 v10, 20, v10
	v_and_b32_e32 v13, 0x80000000, v13
	v_lshl_add_u32 v2, v2, 23, v16
	v_or3_b32 v13, v13, v2, v10
.LBB563_715:
	s_or_b64 exec, exec, s[10:11]
.LBB563_716:
	s_or_b64 exec, exec, s[8:9]
.LBB563_717:
	s_or_b64 exec, exec, s[2:3]
	v_lshrrev_b16_e32 v2, 8, v3
	v_cmp_ne_u16_e32 vcc, 0, v2
	v_mov_b32_e32 v16, 0
	v_mov_b32_e32 v17, 0
	s_and_saveexec_b64 s[2:3], vcc
	s_cbranch_execz .LBB563_723
; %bb.718:
	s_movk_i32 s7, 0x80
	v_cmp_ne_u16_e32 vcc, s7, v2
	v_bfrev_b32_e32 v17, 1
	s_and_saveexec_b64 s[8:9], vcc
	s_cbranch_execz .LBB563_722
; %bb.719:
	s_movk_i32 s7, 0x7f
	v_and_b32_e32 v10, 0x7f, v2
	v_cmp_ne_u32_e32 vcc, s7, v10
	v_mov_b32_e32 v17, 0x7f800001
	s_and_saveexec_b64 s[10:11], vcc
	s_cbranch_execz .LBB563_721
; %bb.720:
	v_and_b32_e32 v17, 7, v2
	v_ffbh_u32_e32 v18, v17
	v_min_u32_e32 v21, 32, v18
	v_subrev_u32_e32 v18, 28, v21
	v_lshlrev_b64 v[18:19], v18, v[2:3]
	v_lshrrev_b32_e32 v20, 3, v10
	v_sub_u32_e32 v2, 29, v21
	v_and_b32_e32 v18, 7, v18
	v_cmp_gt_u32_e32 vcc, 8, v10
	v_cndmask_b32_e32 v2, v20, v2, vcc
	v_cndmask_b32_e32 v10, v17, v18, vcc
	v_lshlrev_b32_e32 v17, 16, v3
	v_bfrev_b32_e32 v18, 60
	v_lshlrev_b32_e32 v10, 20, v10
	v_and_b32_e32 v17, 0x80000000, v17
	v_lshl_add_u32 v2, v2, 23, v18
	v_or3_b32 v17, v17, v2, v10
.LBB563_721:
	s_or_b64 exec, exec, s[10:11]
.LBB563_722:
	s_or_b64 exec, exec, s[8:9]
.LBB563_723:
	s_or_b64 exec, exec, s[2:3]
	s_movk_i32 s2, 0xff
	v_and_b32_sdwa v10, v3, s2 dst_sel:DWORD dst_unused:UNUSED_PAD src0_sel:WORD_1 src1_sel:DWORD
	v_lshrrev_b32_e32 v2, 16, v3
	v_cmp_ne_u16_e32 vcc, 0, v10
	s_and_saveexec_b64 s[2:3], vcc
	s_cbranch_execz .LBB563_729
; %bb.724:
	s_movk_i32 s7, 0x80
	v_cmp_ne_u16_e32 vcc, s7, v10
	v_bfrev_b32_e32 v16, 1
	s_and_saveexec_b64 s[8:9], vcc
	s_cbranch_execz .LBB563_728
; %bb.725:
	v_bfe_u32 v10, v3, 16, 7
	s_movk_i32 s7, 0x7f
	v_cmp_ne_u32_e32 vcc, s7, v10
	v_mov_b32_e32 v16, 0x7f800001
	s_and_saveexec_b64 s[10:11], vcc
	s_cbranch_execz .LBB563_727
; %bb.726:
	v_and_b32_e32 v16, 7, v2
	v_ffbh_u32_e32 v18, v16
	v_min_u32_e32 v21, 32, v18
	v_subrev_u32_e32 v18, 28, v21
	v_lshlrev_b64 v[18:19], v18, v[2:3]
	v_and_b32_e32 v18, 7, v18
	v_cmp_gt_u32_e32 vcc, 8, v10
	v_lshrrev_b32_e32 v20, 3, v10
	v_sub_u32_e32 v2, 29, v21
	v_cndmask_b32_e32 v10, v16, v18, vcc
	v_mov_b32_e32 v16, 24
	v_cndmask_b32_e32 v2, v20, v2, vcc
	v_lshlrev_b32_sdwa v16, v16, v3 dst_sel:DWORD dst_unused:UNUSED_PAD src0_sel:DWORD src1_sel:WORD_1
	v_bfrev_b32_e32 v18, 60
	v_lshlrev_b32_e32 v10, 20, v10
	v_and_b32_e32 v16, 0x80000000, v16
	v_lshl_add_u32 v2, v2, 23, v18
	v_or3_b32 v16, v16, v2, v10
.LBB563_727:
	s_or_b64 exec, exec, s[10:11]
.LBB563_728:
	s_or_b64 exec, exec, s[8:9]
.LBB563_729:
	s_or_b64 exec, exec, s[2:3]
	s_mov_b32 s2, 0xffffff
	v_cmp_lt_u32_e32 vcc, s2, v3
	v_mov_b32_e32 v10, 0
	v_mov_b32_e32 v18, 0
	s_and_saveexec_b64 s[2:3], vcc
	s_cbranch_execz .LBB563_735
; %bb.730:
	v_lshrrev_b32_e32 v2, 24, v3
	s_movk_i32 s7, 0x80
	v_cmp_ne_u32_e32 vcc, s7, v2
	v_bfrev_b32_e32 v18, 1
	s_and_saveexec_b64 s[8:9], vcc
	s_cbranch_execz .LBB563_734
; %bb.731:
	v_bfe_u32 v3, v3, 24, 7
	s_movk_i32 s7, 0x7f
	v_cmp_ne_u32_e32 vcc, s7, v3
	v_mov_b32_e32 v18, 0x7f800001
	s_and_saveexec_b64 s[10:11], vcc
	s_cbranch_execz .LBB563_733
; %bb.732:
	v_and_b32_e32 v20, 7, v2
	v_ffbh_u32_e32 v18, v20
	v_min_u32_e32 v23, 32, v18
	v_subrev_u32_e32 v18, 28, v23
	v_lshlrev_b64 v[18:19], v18, v[2:3]
	v_lshrrev_b32_e32 v21, 3, v3
	v_sub_u32_e32 v19, 29, v23
	v_and_b32_e32 v18, 7, v18
	v_cmp_gt_u32_e32 vcc, 8, v3
	v_cndmask_b32_e32 v3, v21, v19, vcc
	v_cndmask_b32_e32 v18, v20, v18, vcc
	v_lshlrev_b32_e32 v2, 24, v2
	v_bfrev_b32_e32 v19, 60
	v_lshlrev_b32_e32 v18, 20, v18
	v_and_b32_e32 v2, 0x80000000, v2
	v_lshl_add_u32 v3, v3, 23, v19
	v_or3_b32 v18, v2, v3, v18
.LBB563_733:
	s_or_b64 exec, exec, s[10:11]
.LBB563_734:
	s_or_b64 exec, exec, s[8:9]
.LBB563_735:
	s_or_b64 exec, exec, s[2:3]
	v_cvt_pkrtz_f16_f32 v2, v15, v12
	v_cvt_pkrtz_f16_f32 v3, v11, v14
	ds_read_b128 v[24:27], v22 offset:6144
	v_cmp_ne_u16_sdwa s[8:9], v4, v10 src0_sel:BYTE_0 src1_sel:DWORD
	s_waitcnt lgkmcnt(0)
	v_mfma_f32_16x16x16f16 v[6:9], v[2:3], v[24:25], v[6:9]
	v_cvt_pkrtz_f16_f32 v2, v13, v17
	v_cvt_pkrtz_f16_f32 v3, v16, v18
	s_nop 1
	v_mfma_f32_16x16x16f16 v[6:9], v[2:3], v[26:27], v[6:9]
	s_and_saveexec_b64 s[2:3], s[8:9]
	s_cbranch_execz .LBB563_741
; %bb.736:
	s_movk_i32 s7, 0x80
	v_cmp_ne_u16_sdwa s[10:11], v4, s7 src0_sel:BYTE_0 src1_sel:DWORD
	v_bfrev_b32_e32 v10, 1
	s_and_saveexec_b64 s[8:9], s[10:11]
	s_cbranch_execz .LBB563_740
; %bb.737:
	s_movk_i32 s7, 0x7f
	v_and_b32_e32 v2, 0x7f, v4
	v_cmp_ne_u32_e32 vcc, s7, v2
	v_mov_b32_e32 v10, 0x7f800001
	s_and_saveexec_b64 s[10:11], vcc
	s_cbranch_execz .LBB563_739
; %bb.738:
	v_and_b32_e32 v3, 7, v4
	v_ffbh_u32_e32 v10, v3
	v_min_u32_e32 v13, 32, v10
	v_subrev_u32_e32 v10, 28, v13
	v_lshlrev_b64 v[10:11], v10, v[4:5]
	v_lshrrev_b32_e32 v12, 3, v2
	v_sub_u32_e32 v11, 29, v13
	v_and_b32_e32 v10, 7, v10
	v_cmp_gt_u32_e32 vcc, 8, v2
	v_cndmask_b32_e32 v2, v12, v11, vcc
	v_cndmask_b32_e32 v3, v3, v10, vcc
	v_lshlrev_b32_e32 v10, 24, v4
	v_bfrev_b32_e32 v11, 60
	v_lshlrev_b32_e32 v3, 20, v3
	v_and_b32_e32 v10, 0x80000000, v10
	v_lshl_add_u32 v2, v2, 23, v11
	v_or3_b32 v10, v10, v2, v3
.LBB563_739:
	s_or_b64 exec, exec, s[10:11]
.LBB563_740:
	s_or_b64 exec, exec, s[8:9]
.LBB563_741:
	s_or_b64 exec, exec, s[2:3]
	v_lshrrev_b16_e32 v2, 8, v4
	v_cmp_ne_u16_e32 vcc, 0, v2
	v_mov_b32_e32 v3, 0
	v_mov_b32_e32 v11, 0
	s_and_saveexec_b64 s[2:3], vcc
	s_cbranch_execz .LBB563_747
; %bb.742:
	s_movk_i32 s7, 0x80
	v_cmp_ne_u16_e32 vcc, s7, v2
	v_bfrev_b32_e32 v11, 1
	s_and_saveexec_b64 s[8:9], vcc
	s_cbranch_execz .LBB563_746
; %bb.743:
	s_movk_i32 s7, 0x7f
	v_and_b32_e32 v12, 0x7f, v2
	v_cmp_ne_u32_e32 vcc, s7, v12
	v_mov_b32_e32 v11, 0x7f800001
	s_and_saveexec_b64 s[10:11], vcc
	s_cbranch_execz .LBB563_745
; %bb.744:
	v_and_b32_e32 v11, 7, v2
	v_ffbh_u32_e32 v14, v11
	v_min_u32_e32 v16, 32, v14
	v_subrev_u32_e32 v14, 28, v16
	v_lshlrev_b64 v[14:15], v14, v[2:3]
	v_lshrrev_b32_e32 v13, 3, v12
	v_sub_u32_e32 v2, 29, v16
	v_and_b32_e32 v14, 7, v14
	v_cmp_gt_u32_e32 vcc, 8, v12
	v_cndmask_b32_e32 v2, v13, v2, vcc
	v_cndmask_b32_e32 v11, v11, v14, vcc
	v_lshlrev_b32_e32 v12, 16, v4
	v_bfrev_b32_e32 v13, 60
	v_lshlrev_b32_e32 v11, 20, v11
	v_and_b32_e32 v12, 0x80000000, v12
	v_lshl_add_u32 v2, v2, 23, v13
	v_or3_b32 v11, v12, v2, v11
.LBB563_745:
	s_or_b64 exec, exec, s[10:11]
.LBB563_746:
	s_or_b64 exec, exec, s[8:9]
.LBB563_747:
	s_or_b64 exec, exec, s[2:3]
	s_movk_i32 s2, 0xff
	v_and_b32_sdwa v12, v4, s2 dst_sel:DWORD dst_unused:UNUSED_PAD src0_sel:WORD_1 src1_sel:DWORD
	v_lshrrev_b32_e32 v2, 16, v4
	v_cmp_ne_u16_e32 vcc, 0, v12
	s_and_saveexec_b64 s[2:3], vcc
	s_cbranch_execz .LBB563_753
; %bb.748:
	s_movk_i32 s7, 0x80
	v_cmp_ne_u16_e32 vcc, s7, v12
	v_bfrev_b32_e32 v3, 1
	s_and_saveexec_b64 s[8:9], vcc
	s_cbranch_execz .LBB563_752
; %bb.749:
	v_bfe_u32 v12, v4, 16, 7
	s_movk_i32 s7, 0x7f
	v_cmp_ne_u32_e32 vcc, s7, v12
	v_mov_b32_e32 v3, 0x7f800001
	s_and_saveexec_b64 s[10:11], vcc
	s_cbranch_execz .LBB563_751
; %bb.750:
	v_and_b32_e32 v13, 7, v2
	v_ffbh_u32_e32 v3, v13
	v_min_u32_e32 v15, 32, v3
	v_subrev_u32_e32 v3, 28, v15
	v_lshlrev_b64 v[2:3], v3, v[2:3]
	v_lshrrev_b32_e32 v14, 3, v12
	v_sub_u32_e32 v3, 29, v15
	v_and_b32_e32 v2, 7, v2
	v_cmp_gt_u32_e32 vcc, 8, v12
	v_mov_b32_e32 v12, 24
	v_cndmask_b32_e32 v3, v14, v3, vcc
	v_cndmask_b32_e32 v2, v13, v2, vcc
	v_lshlrev_b32_sdwa v12, v12, v4 dst_sel:DWORD dst_unused:UNUSED_PAD src0_sel:DWORD src1_sel:WORD_1
	v_bfrev_b32_e32 v13, 60
	v_lshlrev_b32_e32 v2, 20, v2
	v_and_b32_e32 v12, 0x80000000, v12
	v_lshl_add_u32 v3, v3, 23, v13
	v_or3_b32 v3, v12, v3, v2
.LBB563_751:
	s_or_b64 exec, exec, s[10:11]
.LBB563_752:
	s_or_b64 exec, exec, s[8:9]
.LBB563_753:
	s_or_b64 exec, exec, s[2:3]
	s_mov_b32 s2, 0xffffff
	v_cmp_lt_u32_e32 vcc, s2, v4
	v_mov_b32_e32 v12, 0
	v_mov_b32_e32 v13, 0
	s_and_saveexec_b64 s[2:3], vcc
	s_cbranch_execz .LBB563_759
; %bb.754:
	v_lshrrev_b32_e32 v2, 24, v4
	s_movk_i32 s7, 0x80
	v_cmp_ne_u32_e32 vcc, s7, v2
	v_bfrev_b32_e32 v13, 1
	s_and_saveexec_b64 s[8:9], vcc
	s_cbranch_execz .LBB563_758
; %bb.755:
	v_bfe_u32 v4, v4, 24, 7
	s_movk_i32 s7, 0x7f
	v_cmp_ne_u32_e32 vcc, s7, v4
	v_mov_b32_e32 v13, 0x7f800001
	s_and_saveexec_b64 s[10:11], vcc
	s_cbranch_execz .LBB563_757
; %bb.756:
	v_and_b32_e32 v13, 7, v2
	v_ffbh_u32_e32 v14, v13
	v_min_u32_e32 v17, 32, v14
	v_subrev_u32_e32 v14, 28, v17
	v_lshlrev_b64 v[14:15], v14, v[2:3]
	v_lshrrev_b32_e32 v16, 3, v4
	v_sub_u32_e32 v15, 29, v17
	v_and_b32_e32 v14, 7, v14
	v_cmp_gt_u32_e32 vcc, 8, v4
	v_cndmask_b32_e32 v4, v16, v15, vcc
	v_cndmask_b32_e32 v13, v13, v14, vcc
	v_lshlrev_b32_e32 v2, 24, v2
	v_bfrev_b32_e32 v14, 60
	v_lshlrev_b32_e32 v13, 20, v13
	v_and_b32_e32 v2, 0x80000000, v2
	v_lshl_add_u32 v4, v4, 23, v14
	v_or3_b32 v13, v2, v4, v13
.LBB563_757:
	s_or_b64 exec, exec, s[10:11]
.LBB563_758:
	s_or_b64 exec, exec, s[8:9]
.LBB563_759:
	s_or_b64 exec, exec, s[2:3]
	v_cmp_ne_u16_sdwa s[8:9], v5, v12 src0_sel:BYTE_0 src1_sel:DWORD
	s_and_saveexec_b64 s[2:3], s[8:9]
	s_cbranch_execz .LBB563_765
; %bb.760:
	s_movk_i32 s7, 0x80
	v_cmp_ne_u16_sdwa s[10:11], v5, s7 src0_sel:BYTE_0 src1_sel:DWORD
	v_bfrev_b32_e32 v12, 1
	s_and_saveexec_b64 s[8:9], s[10:11]
	s_cbranch_execz .LBB563_764
; %bb.761:
	s_movk_i32 s7, 0x7f
	v_and_b32_e32 v2, 0x7f, v5
	v_cmp_ne_u32_e32 vcc, s7, v2
	v_mov_b32_e32 v12, 0x7f800001
	s_and_saveexec_b64 s[10:11], vcc
	s_cbranch_execz .LBB563_763
; %bb.762:
	v_and_b32_e32 v12, 7, v5
	v_ffbh_u32_e32 v14, v12
	v_min_u32_e32 v17, 32, v14
	v_mov_b32_e32 v4, v5
	v_subrev_u32_e32 v14, 28, v17
	v_lshlrev_b64 v[14:15], v14, v[4:5]
	v_lshrrev_b32_e32 v16, 3, v2
	v_sub_u32_e32 v4, 29, v17
	v_and_b32_e32 v14, 7, v14
	v_cmp_gt_u32_e32 vcc, 8, v2
	v_cndmask_b32_e32 v2, v16, v4, vcc
	v_cndmask_b32_e32 v4, v12, v14, vcc
	v_lshlrev_b32_e32 v12, 24, v5
	v_bfrev_b32_e32 v14, 60
	v_lshlrev_b32_e32 v4, 20, v4
	v_and_b32_e32 v12, 0x80000000, v12
	v_lshl_add_u32 v2, v2, 23, v14
	v_or3_b32 v12, v12, v2, v4
.LBB563_763:
	s_or_b64 exec, exec, s[10:11]
.LBB563_764:
	s_or_b64 exec, exec, s[8:9]
.LBB563_765:
	s_or_b64 exec, exec, s[2:3]
	v_lshrrev_b16_e32 v2, 8, v5
	v_cmp_ne_u16_e32 vcc, 0, v2
	v_mov_b32_e32 v4, 0
	v_mov_b32_e32 v14, 0
	s_and_saveexec_b64 s[2:3], vcc
	s_cbranch_execz .LBB563_771
; %bb.766:
	s_movk_i32 s7, 0x80
	v_cmp_ne_u16_e32 vcc, s7, v2
	v_bfrev_b32_e32 v14, 1
	s_and_saveexec_b64 s[8:9], vcc
	s_cbranch_execz .LBB563_770
; %bb.767:
	s_movk_i32 s7, 0x7f
	v_and_b32_e32 v15, 0x7f, v2
	v_cmp_ne_u32_e32 vcc, s7, v15
	v_mov_b32_e32 v14, 0x7f800001
	s_and_saveexec_b64 s[10:11], vcc
	s_cbranch_execz .LBB563_769
; %bb.768:
	v_and_b32_e32 v14, 7, v2
	v_ffbh_u32_e32 v16, v14
	v_min_u32_e32 v19, 32, v16
	v_subrev_u32_e32 v16, 28, v19
	v_lshlrev_b64 v[16:17], v16, v[2:3]
	v_lshrrev_b32_e32 v18, 3, v15
	v_sub_u32_e32 v2, 29, v19
	v_and_b32_e32 v16, 7, v16
	v_cmp_gt_u32_e32 vcc, 8, v15
	v_cndmask_b32_e32 v2, v18, v2, vcc
	v_cndmask_b32_e32 v14, v14, v16, vcc
	v_lshlrev_b32_e32 v15, 16, v5
	v_bfrev_b32_e32 v16, 60
	v_lshlrev_b32_e32 v14, 20, v14
	v_and_b32_e32 v15, 0x80000000, v15
	v_lshl_add_u32 v2, v2, 23, v16
	v_or3_b32 v14, v15, v2, v14
.LBB563_769:
	s_or_b64 exec, exec, s[10:11]
.LBB563_770:
	s_or_b64 exec, exec, s[8:9]
.LBB563_771:
	s_or_b64 exec, exec, s[2:3]
	s_movk_i32 s2, 0xff
	v_and_b32_sdwa v15, v5, s2 dst_sel:DWORD dst_unused:UNUSED_PAD src0_sel:WORD_1 src1_sel:DWORD
	v_lshrrev_b32_e32 v2, 16, v5
	v_cmp_ne_u16_e32 vcc, 0, v15
	s_and_saveexec_b64 s[2:3], vcc
	s_cbranch_execz .LBB563_777
; %bb.772:
	s_movk_i32 s7, 0x80
	v_cmp_ne_u16_e32 vcc, s7, v15
	v_bfrev_b32_e32 v4, 1
	s_and_saveexec_b64 s[8:9], vcc
	s_cbranch_execz .LBB563_776
; %bb.773:
	v_bfe_u32 v15, v5, 16, 7
	s_movk_i32 s7, 0x7f
	v_cmp_ne_u32_e32 vcc, s7, v15
	v_mov_b32_e32 v4, 0x7f800001
	s_and_saveexec_b64 s[10:11], vcc
	s_cbranch_execz .LBB563_775
; %bb.774:
	v_and_b32_e32 v4, 7, v2
	v_ffbh_u32_e32 v16, v4
	v_min_u32_e32 v19, 32, v16
	v_subrev_u32_e32 v16, 28, v19
	v_lshlrev_b64 v[16:17], v16, v[2:3]
	v_lshrrev_b32_e32 v18, 3, v15
	v_sub_u32_e32 v2, 29, v19
	v_and_b32_e32 v16, 7, v16
	v_cmp_gt_u32_e32 vcc, 8, v15
	v_mov_b32_e32 v15, 24
	v_cndmask_b32_e32 v2, v18, v2, vcc
	v_cndmask_b32_e32 v4, v4, v16, vcc
	v_lshlrev_b32_sdwa v15, v15, v5 dst_sel:DWORD dst_unused:UNUSED_PAD src0_sel:DWORD src1_sel:WORD_1
	v_bfrev_b32_e32 v16, 60
	v_lshlrev_b32_e32 v4, 20, v4
	v_and_b32_e32 v15, 0x80000000, v15
	v_lshl_add_u32 v2, v2, 23, v16
	v_or3_b32 v4, v15, v2, v4
.LBB563_775:
	s_or_b64 exec, exec, s[10:11]
.LBB563_776:
	s_or_b64 exec, exec, s[8:9]
.LBB563_777:
	s_or_b64 exec, exec, s[2:3]
	s_mov_b32 s2, 0xffffff
	v_cmp_lt_u32_e32 vcc, s2, v5
	v_mov_b32_e32 v15, 0
	s_and_saveexec_b64 s[2:3], vcc
	s_cbranch_execz .LBB563_783
; %bb.778:
	v_lshrrev_b32_e32 v2, 24, v5
	s_movk_i32 s7, 0x80
	v_cmp_ne_u32_e32 vcc, s7, v2
	v_bfrev_b32_e32 v15, 1
	s_and_saveexec_b64 s[8:9], vcc
	s_cbranch_execz .LBB563_782
; %bb.779:
	v_bfe_u32 v5, v5, 24, 7
	s_movk_i32 s7, 0x7f
	v_cmp_ne_u32_e32 vcc, s7, v5
	v_mov_b32_e32 v15, 0x7f800001
	s_and_saveexec_b64 s[10:11], vcc
	s_cbranch_execz .LBB563_781
; %bb.780:
	v_and_b32_e32 v15, 7, v2
	v_ffbh_u32_e32 v16, v15
	v_min_u32_e32 v19, 32, v16
	v_subrev_u32_e32 v16, 28, v19
	v_lshlrev_b64 v[16:17], v16, v[2:3]
	v_lshrrev_b32_e32 v18, 3, v5
	v_sub_u32_e32 v17, 29, v19
	v_and_b32_e32 v16, 7, v16
	v_cmp_gt_u32_e32 vcc, 8, v5
	v_cndmask_b32_e32 v5, v18, v17, vcc
	v_cndmask_b32_e32 v15, v15, v16, vcc
	v_lshlrev_b32_e32 v2, 24, v2
	v_bfrev_b32_e32 v16, 60
	v_lshlrev_b32_e32 v15, 20, v15
	v_and_b32_e32 v2, 0x80000000, v2
	v_lshl_add_u32 v5, v5, 23, v16
	v_or3_b32 v15, v2, v5, v15
.LBB563_781:
	s_or_b64 exec, exec, s[10:11]
.LBB563_782:
	s_or_b64 exec, exec, s[8:9]
.LBB563_783:
	s_or_b64 exec, exec, s[2:3]
	v_cvt_pkrtz_f16_f32 v2, v10, v11
	v_cvt_pkrtz_f16_f32 v3, v3, v13
	ds_read_b128 v[16:19], v22 offset:6160
	s_load_dword s2, s[42:43], 0x0
	v_cmp_gt_u32_e32 vcc, 64, v0
	s_waitcnt lgkmcnt(0)
	v_mfma_f32_16x16x16f16 v[6:9], v[2:3], v[16:17], v[6:9]
	v_cvt_pkrtz_f16_f32 v2, v12, v14
	v_cvt_pkrtz_f16_f32 v3, v4, v15
	s_and_b64 s[0:1], vcc, s[0:1]
	s_barrier
	v_mfma_f32_16x16x16f16 v[2:5], v[2:3], v[18:19], v[6:9]
	s_nop 7
	s_nop 2
	v_pk_mul_f32 v[4:5], v[4:5], s[2:3] op_sel_hi:[1,0]
	v_pk_mul_f32 v[2:3], v[2:3], s[2:3] op_sel_hi:[1,0]
	v_cvt_f16_f32_e32 v2, v2
	v_cvt_f16_f32_e32 v3, v3
	;; [unrolled: 1-line block ×4, first 2 shown]
	v_pack_b32_f16 v2, v2, v3
	v_pack_b32_f16 v3, v4, v5
	ds_write_b64 v28, v[2:3]
	s_waitcnt lgkmcnt(0)
	s_barrier
	s_and_saveexec_b64 s[2:3], s[0:1]
	s_cbranch_execz .LBB563_786
; %bb.784:
	s_load_dwordx2 s[2:3], s[4:5], 0x68
	s_lshl_b32 s0, s44, 6
	s_mul_i32 s1, s12, s6
	s_mul_hi_u32 s7, s1, s0
	s_mul_i32 s6, s1, s0
	s_lshl_b64 s[6:7], s[6:7], 1
	s_waitcnt lgkmcnt(0)
	s_add_u32 s1, s2, s6
	s_mov_b32 s5, 0
	s_addc_u32 s6, s3, s7
	s_lshl_b32 s4, s24, 6
	v_lshlrev_b32_e32 v0, 10, v0
	s_lshl_b64 s[2:3], s[4:5], 1
	v_and_b32_e32 v2, 0x1800, v0
	v_lshlrev_b32_e32 v3, 5, v1
	v_and_b32_e32 v4, 16, v47
	s_add_u32 s1, s1, s2
	v_or_b32_e32 v0, 4, v1
	v_or3_b32 v2, v2, v3, v4
	s_addc_u32 s2, s6, s3
	v_add_u32_e32 v1, s25, v1
	v_mov_b32_e32 v4, s2
	v_add_co_u32_e32 v3, vcc, s1, v46
	ds_read_b128 v[6:9], v2
	v_mad_u64_u32 v[10:11], s[2:3], v1, s0, 0
	v_addc_co_u32_e32 v4, vcc, 0, v4, vcc
	v_lshlrev_b64 v[10:11], 1, v[10:11]
	v_add_co_u32_e32 v10, vcc, v3, v10
	v_addc_co_u32_e32 v11, vcc, v4, v11, vcc
	v_cmp_gt_u32_e32 vcc, 6, v0
	s_waitcnt lgkmcnt(0)
	global_store_dwordx4 v[10:11], v[6:9], off
	s_and_b64 exec, exec, vcc
	s_cbranch_execz .LBB563_786
; %bb.785:
	ds_read_b128 v[6:9], v2 offset:128
	v_add_u32_e32 v0, s25, v0
	v_mad_u64_u32 v[0:1], s[0:1], v0, s0, 0
	v_lshlrev_b64 v[0:1], 1, v[0:1]
	v_add_co_u32_e32 v0, vcc, v3, v0
	v_addc_co_u32_e32 v1, vcc, v4, v1, vcc
	s_waitcnt lgkmcnt(0)
	global_store_dwordx4 v[0:1], v[6:9], off
.LBB563_786:
	s_endpgm
	.section	.rodata,"a",@progbits
	.p2align	6, 0x0
	.amdhsa_kernel _Z39paged_attention_ll4mi_QKV_mfma16_kernelIDF16_hLN4vllm18Fp8KVCacheDataTypeE1EDF16_Li16ELi64ELi256ELb0ELi6EL8MFMAType0EEvPKT_PKT0_S8_ifPKiSA_SA_iPKfiiiPfSD_PS3_PT2_iSC_SC_
		.amdhsa_group_segment_fixed_size 8192
		.amdhsa_private_segment_fixed_size 0
		.amdhsa_kernarg_size 400
		.amdhsa_user_sgpr_count 6
		.amdhsa_user_sgpr_private_segment_buffer 1
		.amdhsa_user_sgpr_dispatch_ptr 0
		.amdhsa_user_sgpr_queue_ptr 0
		.amdhsa_user_sgpr_kernarg_segment_ptr 1
		.amdhsa_user_sgpr_dispatch_id 0
		.amdhsa_user_sgpr_flat_scratch_init 0
		.amdhsa_user_sgpr_kernarg_preload_length 0
		.amdhsa_user_sgpr_kernarg_preload_offset 0
		.amdhsa_user_sgpr_private_segment_size 0
		.amdhsa_uses_dynamic_stack 0
		.amdhsa_system_sgpr_private_segment_wavefront_offset 0
		.amdhsa_system_sgpr_workgroup_id_x 1
		.amdhsa_system_sgpr_workgroup_id_y 1
		.amdhsa_system_sgpr_workgroup_id_z 1
		.amdhsa_system_sgpr_workgroup_info 0
		.amdhsa_system_vgpr_workitem_id 0
		.amdhsa_next_free_vgpr 61
		.amdhsa_next_free_sgpr 47
		.amdhsa_accum_offset 64
		.amdhsa_reserve_vcc 1
		.amdhsa_reserve_flat_scratch 0
		.amdhsa_float_round_mode_32 0
		.amdhsa_float_round_mode_16_64 0
		.amdhsa_float_denorm_mode_32 3
		.amdhsa_float_denorm_mode_16_64 3
		.amdhsa_dx10_clamp 1
		.amdhsa_ieee_mode 1
		.amdhsa_fp16_overflow 0
		.amdhsa_tg_split 0
		.amdhsa_exception_fp_ieee_invalid_op 0
		.amdhsa_exception_fp_denorm_src 0
		.amdhsa_exception_fp_ieee_div_zero 0
		.amdhsa_exception_fp_ieee_overflow 0
		.amdhsa_exception_fp_ieee_underflow 0
		.amdhsa_exception_fp_ieee_inexact 0
		.amdhsa_exception_int_div_zero 0
	.end_amdhsa_kernel
	.section	.text._Z39paged_attention_ll4mi_QKV_mfma16_kernelIDF16_hLN4vllm18Fp8KVCacheDataTypeE1EDF16_Li16ELi64ELi256ELb0ELi6EL8MFMAType0EEvPKT_PKT0_S8_ifPKiSA_SA_iPKfiiiPfSD_PS3_PT2_iSC_SC_,"axG",@progbits,_Z39paged_attention_ll4mi_QKV_mfma16_kernelIDF16_hLN4vllm18Fp8KVCacheDataTypeE1EDF16_Li16ELi64ELi256ELb0ELi6EL8MFMAType0EEvPKT_PKT0_S8_ifPKiSA_SA_iPKfiiiPfSD_PS3_PT2_iSC_SC_,comdat
.Lfunc_end563:
	.size	_Z39paged_attention_ll4mi_QKV_mfma16_kernelIDF16_hLN4vllm18Fp8KVCacheDataTypeE1EDF16_Li16ELi64ELi256ELb0ELi6EL8MFMAType0EEvPKT_PKT0_S8_ifPKiSA_SA_iPKfiiiPfSD_PS3_PT2_iSC_SC_, .Lfunc_end563-_Z39paged_attention_ll4mi_QKV_mfma16_kernelIDF16_hLN4vllm18Fp8KVCacheDataTypeE1EDF16_Li16ELi64ELi256ELb0ELi6EL8MFMAType0EEvPKT_PKT0_S8_ifPKiSA_SA_iPKfiiiPfSD_PS3_PT2_iSC_SC_
                                        ; -- End function
	.section	.AMDGPU.csdata,"",@progbits
; Kernel info:
; codeLenInByte = 26924
; NumSgprs: 51
; NumVgprs: 61
; NumAgprs: 0
; TotalNumVgprs: 61
; ScratchSize: 0
; MemoryBound: 0
; FloatMode: 240
; IeeeMode: 1
; LDSByteSize: 8192 bytes/workgroup (compile time only)
; SGPRBlocks: 6
; VGPRBlocks: 7
; NumSGPRsForWavesPerEU: 51
; NumVGPRsForWavesPerEU: 61
; AccumOffset: 64
; Occupancy: 8
; WaveLimiterHint : 1
; COMPUTE_PGM_RSRC2:SCRATCH_EN: 0
; COMPUTE_PGM_RSRC2:USER_SGPR: 6
; COMPUTE_PGM_RSRC2:TRAP_HANDLER: 0
; COMPUTE_PGM_RSRC2:TGID_X_EN: 1
; COMPUTE_PGM_RSRC2:TGID_Y_EN: 1
; COMPUTE_PGM_RSRC2:TGID_Z_EN: 1
; COMPUTE_PGM_RSRC2:TIDIG_COMP_CNT: 0
; COMPUTE_PGM_RSRC3_GFX90A:ACCUM_OFFSET: 15
; COMPUTE_PGM_RSRC3_GFX90A:TG_SPLIT: 0
	.section	.text._Z39paged_attention_ll4mi_QKV_mfma16_kernelIDF16_hLN4vllm18Fp8KVCacheDataTypeE1EDF16_Li16ELi64ELi256ELb0ELi7EL8MFMAType0EEvPKT_PKT0_S8_ifPKiSA_SA_iPKfiiiPfSD_PS3_PT2_iSC_SC_,"axG",@progbits,_Z39paged_attention_ll4mi_QKV_mfma16_kernelIDF16_hLN4vllm18Fp8KVCacheDataTypeE1EDF16_Li16ELi64ELi256ELb0ELi7EL8MFMAType0EEvPKT_PKT0_S8_ifPKiSA_SA_iPKfiiiPfSD_PS3_PT2_iSC_SC_,comdat
	.protected	_Z39paged_attention_ll4mi_QKV_mfma16_kernelIDF16_hLN4vllm18Fp8KVCacheDataTypeE1EDF16_Li16ELi64ELi256ELb0ELi7EL8MFMAType0EEvPKT_PKT0_S8_ifPKiSA_SA_iPKfiiiPfSD_PS3_PT2_iSC_SC_ ; -- Begin function _Z39paged_attention_ll4mi_QKV_mfma16_kernelIDF16_hLN4vllm18Fp8KVCacheDataTypeE1EDF16_Li16ELi64ELi256ELb0ELi7EL8MFMAType0EEvPKT_PKT0_S8_ifPKiSA_SA_iPKfiiiPfSD_PS3_PT2_iSC_SC_
	.globl	_Z39paged_attention_ll4mi_QKV_mfma16_kernelIDF16_hLN4vllm18Fp8KVCacheDataTypeE1EDF16_Li16ELi64ELi256ELb0ELi7EL8MFMAType0EEvPKT_PKT0_S8_ifPKiSA_SA_iPKfiiiPfSD_PS3_PT2_iSC_SC_
	.p2align	8
	.type	_Z39paged_attention_ll4mi_QKV_mfma16_kernelIDF16_hLN4vllm18Fp8KVCacheDataTypeE1EDF16_Li16ELi64ELi256ELb0ELi7EL8MFMAType0EEvPKT_PKT0_S8_ifPKiSA_SA_iPKfiiiPfSD_PS3_PT2_iSC_SC_,@function
_Z39paged_attention_ll4mi_QKV_mfma16_kernelIDF16_hLN4vllm18Fp8KVCacheDataTypeE1EDF16_Li16ELi64ELi256ELb0ELi7EL8MFMAType0EEvPKT_PKT0_S8_ifPKiSA_SA_iPKfiiiPfSD_PS3_PT2_iSC_SC_: ; @_Z39paged_attention_ll4mi_QKV_mfma16_kernelIDF16_hLN4vllm18Fp8KVCacheDataTypeE1EDF16_Li16ELi64ELi256ELb0ELi7EL8MFMAType0EEvPKT_PKT0_S8_ifPKiSA_SA_iPKfiiiPfSD_PS3_PT2_iSC_SC_
; %bb.0:
	s_load_dwordx2 s[0:1], s[4:5], 0x30
	s_mov_b32 s24, s7
	s_mov_b64 s[10:11], 0
	s_waitcnt lgkmcnt(0)
	s_cmp_lg_u64 s[0:1], 0
	s_cselect_b64 s[2:3], -1, 0
	s_and_b64 vcc, exec, s[2:3]
	s_cbranch_vccz .LBB564_7
; %bb.1:
	s_add_i32 s12, s6, 1
	s_mov_b32 s13, 0
	s_lshl_b64 s[14:15], s[12:13], 2
	s_add_u32 s14, s0, s14
	s_mov_b32 s7, s13
	s_addc_u32 s15, s1, s15
	s_lshl_b64 s[12:13], s[6:7], 2
	s_add_u32 s12, s0, s12
	s_addc_u32 s13, s1, s13
	s_load_dword s9, s[14:15], 0x0
	s_load_dword s16, s[12:13], 0x0
	s_waitcnt lgkmcnt(0)
	s_sub_i32 s9, s9, s16
	s_cmp_eq_u32 s9, 1
	s_cselect_b64 s[12:13], -1, 0
	s_andn2_b64 vcc, exec, s[10:11]
	s_cbranch_vccnz .LBB564_3
.LBB564_2:
	s_mov_b32 s7, 0
	s_mov_b64 s[12:13], -1
.LBB564_3:
	s_andn2_b64 vcc, exec, s[12:13]
	s_cbranch_vccnz .LBB564_786
; %bb.4:
	s_load_dwordx2 s[12:13], s[4:5], 0x28
	s_lshl_b64 s[10:11], s[6:7], 2
	s_waitcnt lgkmcnt(0)
	s_add_u32 s12, s12, s10
	s_addc_u32 s13, s13, s11
	s_load_dword s33, s[12:13], 0x0
	s_lshl_b32 s20, s24, 8
	s_waitcnt lgkmcnt(0)
	s_cmp_ge_i32 s20, s33
	s_cbranch_scc1 .LBB564_786
; %bb.5:
	s_add_i32 s14, s33, 15
	s_load_dwordx2 s[12:13], s[4:5], 0x20
	s_load_dword s9, s[4:5], 0x38
	s_ashr_i32 s15, s14, 31
	v_and_b32_e32 v1, 0xcf, v0
	s_lshr_b32 s15, s15, 28
	v_add_u32_e32 v1, s20, v1
	s_add_i32 s14, s14, s15
	v_ashrrev_i32_e32 v2, 31, v1
	s_ashr_i32 s22, s14, 4
	v_lshrrev_b32_e32 v4, 28, v2
	s_add_i32 s22, s22, -1
	v_add_u32_e32 v2, v1, v4
	s_waitcnt lgkmcnt(0)
	s_mul_i32 s14, s6, s9
	s_mov_b32 s15, 0
	v_ashrrev_i32_e32 v2, 4, v2
	v_mov_b32_e32 v5, s22
	v_cmp_gt_i32_e32 vcc, s33, v1
	s_lshl_b64 s[14:15], s[14:15], 2
	v_cndmask_b32_e32 v2, v5, v2, vcc
	s_add_u32 s9, s12, s14
	v_ashrrev_i32_e32 v3, 31, v2
	s_addc_u32 s21, s13, s15
	v_lshlrev_b64 v[2:3], 2, v[2:3]
	v_mov_b32_e32 v7, s21
	v_add_co_u32_e32 v6, vcc, s9, v2
	v_or_b32_e32 v2, 16, v1
	v_addc_co_u32_e32 v7, vcc, v7, v3, vcc
	v_add_u32_e32 v3, v2, v4
	v_ashrrev_i32_e32 v3, 4, v3
	v_cmp_gt_i32_e32 vcc, s33, v2
	v_cndmask_b32_e32 v2, v5, v3, vcc
	v_ashrrev_i32_e32 v3, 31, v2
	v_lshlrev_b64 v[2:3], 2, v[2:3]
	v_mov_b32_e32 v9, s21
	v_add_co_u32_e32 v8, vcc, s9, v2
	v_or_b32_e32 v2, 32, v1
	v_addc_co_u32_e32 v9, vcc, v9, v3, vcc
	v_add_u32_e32 v3, v2, v4
	v_ashrrev_i32_e32 v3, 4, v3
	v_cmp_gt_i32_e32 vcc, s33, v2
	v_cndmask_b32_e32 v2, v5, v3, vcc
	v_ashrrev_i32_e32 v3, 31, v2
	v_lshlrev_b64 v[2:3], 2, v[2:3]
	v_mov_b32_e32 v11, s21
	v_add_co_u32_e32 v10, vcc, s9, v2
	v_or_b32_e32 v1, 48, v1
	v_addc_co_u32_e32 v11, vcc, v11, v3, vcc
	v_add_u32_e32 v2, v1, v4
	v_ashrrev_i32_e32 v2, 4, v2
	v_cmp_gt_i32_e32 vcc, s33, v1
	v_cndmask_b32_e32 v2, v5, v2, vcc
	v_ashrrev_i32_e32 v3, 31, v2
	v_lshlrev_b64 v[2:3], 2, v[2:3]
	v_mov_b32_e32 v1, s21
	v_add_co_u32_e32 v12, vcc, s9, v2
	v_addc_co_u32_e32 v13, vcc, v1, v3, vcc
	global_load_dword v4, v[6:7], off
	global_load_dword v5, v[8:9], off
	;; [unrolled: 1-line block ×4, first 2 shown]
	s_load_dwordx4 s[12:15], s[4:5], 0x8
	s_andn2_b64 vcc, exec, s[2:3]
	s_cbranch_vccnz .LBB564_8
; %bb.6:
	s_add_u32 s0, s0, s10
	s_addc_u32 s1, s1, s11
	s_load_dword s10, s[0:1], 0x0
	s_branch .LBB564_9
.LBB564_7:
	s_mov_b64 s[12:13], 0
	s_branch .LBB564_2
.LBB564_8:
	s_mov_b32 s10, s6
.LBB564_9:
	s_load_dwordx4 s[16:19], s[4:5], 0x48
	v_lshrrev_b32_e32 v49, 6, v0
	v_bfe_u32 v1, v0, 4, 2
	v_lshl_or_b32 v6, v49, 2, v1
	v_and_b32_e32 v48, 15, v0
	v_lshlrev_b32_e32 v7, 3, v48
	v_cmp_gt_u32_e32 vcc, 7, v6
	v_cmp_gt_u32_e64 s[0:1], 8, v48
	s_mul_i32 s25, s8, 7
	s_and_b64 s[26:27], s[0:1], vcc
	v_lshlrev_b32_e32 v46, 1, v7
	v_lshlrev_b32_e32 v47, 4, v0
	s_and_saveexec_b64 s[2:3], s[26:27]
	s_cbranch_execz .LBB564_11
; %bb.10:
	s_load_dwordx2 s[26:27], s[4:5], 0x0
	s_waitcnt lgkmcnt(0)
	s_ashr_i32 s11, s16, 31
	s_mul_hi_u32 s19, s10, s16
	s_mul_i32 s11, s10, s11
	s_add_i32 s11, s19, s11
	s_mul_i32 s10, s10, s16
	s_lshl_b64 s[10:11], s[10:11], 1
	v_add_lshl_u32 v8, v6, s25, 6
	s_add_u32 s10, s26, s10
	v_ashrrev_i32_e32 v9, 31, v8
	s_addc_u32 s11, s27, s11
	v_lshlrev_b64 v[8:9], 1, v[8:9]
	v_mov_b32_e32 v7, s11
	v_add_co_u32_e32 v8, vcc, s10, v8
	v_addc_co_u32_e32 v7, vcc, v7, v9, vcc
	v_add_co_u32_e32 v8, vcc, v8, v46
	v_addc_co_u32_e32 v9, vcc, 0, v7, vcc
	global_load_dwordx4 v[8:11], v[8:9], off
	v_lshlrev_b32_e32 v12, 8, v48
	v_lshlrev_b32_e32 v6, 5, v6
	v_and_b32_e32 v7, 16, v47
	v_and_b32_e32 v12, 0xe00, v12
	v_or3_b32 v6, v12, v6, v7
	s_waitcnt vmcnt(0)
	ds_write_b128 v6, v[8:11]
.LBB564_11:
	s_or_b64 exec, exec, s[2:3]
	v_and_b32_e32 v12, 48, v0
	v_or_b32_e32 v13, s20, v12
	v_ashrrev_i32_e32 v6, 4, v13
	v_mov_b32_e32 v14, s22
	v_cmp_gt_i32_e32 vcc, s33, v13
	v_cndmask_b32_e32 v6, v14, v6, vcc
	v_ashrrev_i32_e32 v7, 31, v6
	v_lshlrev_b64 v[6:7], 2, v[6:7]
	v_mov_b32_e32 v8, s21
	v_add_co_u32_e32 v6, vcc, s9, v6
	v_addc_co_u32_e32 v7, vcc, v8, v7, vcc
	v_or_b32_e32 v8, 64, v13
	v_ashrrev_i32_e32 v9, 4, v8
	v_cmp_gt_i32_e32 vcc, s33, v8
	v_cndmask_b32_e32 v8, v14, v9, vcc
	v_ashrrev_i32_e32 v9, 31, v8
	v_lshlrev_b64 v[8:9], 2, v[8:9]
	v_mov_b32_e32 v10, s21
	v_add_co_u32_e32 v8, vcc, s9, v8
	v_addc_co_u32_e32 v9, vcc, v10, v9, vcc
	v_or_b32_e32 v10, 0x80, v13
	v_ashrrev_i32_e32 v11, 4, v10
	v_cmp_gt_i32_e32 vcc, s33, v10
	v_cndmask_b32_e32 v10, v14, v11, vcc
	v_ashrrev_i32_e32 v11, 31, v10
	v_lshlrev_b64 v[10:11], 2, v[10:11]
	v_mov_b32_e32 v15, s21
	v_add_co_u32_e32 v10, vcc, s9, v10
	s_load_dwordx2 s[44:45], s[4:5], 0x94
	s_load_dwordx4 s[40:43], s[4:5], 0x80
	s_waitcnt lgkmcnt(0)
	s_barrier
	v_addc_co_u32_e32 v11, vcc, v15, v11, vcc
	global_load_dword v15, v[6:7], off
	global_load_dword v16, v[8:9], off
	;; [unrolled: 1-line block ×3, first 2 shown]
	v_or_b32_e32 v6, 0xc0, v13
	v_ashrrev_i32_e32 v7, 4, v6
	v_cmp_gt_i32_e32 vcc, s33, v6
	v_cndmask_b32_e32 v6, v14, v7, vcc
	v_ashrrev_i32_e32 v7, 31, v6
	v_lshlrev_b64 v[6:7], 2, v[6:7]
	v_mov_b32_e32 v8, s21
	v_add_co_u32_e32 v6, vcc, s9, v6
	v_addc_co_u32_e32 v7, vcc, v8, v7, vcc
	global_load_dword v20, v[6:7], off
	s_mul_i32 s8, s8, s18
	s_add_u32 s2, s12, s8
	s_addc_u32 s3, s13, 0
	v_and_b32_e32 v6, 0xf0, v47
	v_mov_b32_e32 v7, s3
	v_add_co_u32_e32 v6, vcc, s2, v6
	v_addc_co_u32_e32 v7, vcc, 0, v7, vcc
	v_lshlrev_b32_e32 v8, 4, v12
	v_add_co_u32_e32 v6, vcc, v6, v8
	v_addc_co_u32_e32 v7, vcc, 0, v7, vcc
	s_waitcnt vmcnt(7)
	v_mad_i64_i32 v[8:9], s[2:3], v4, s17, v[6:7]
	s_waitcnt vmcnt(6)
	v_mad_i64_i32 v[4:5], s[2:3], v5, s17, v[6:7]
	global_load_dwordx4 v[30:33], v[8:9], off
	global_load_dwordx4 v[38:41], v[4:5], off
	s_waitcnt vmcnt(7)
	v_mad_i64_i32 v[4:5], s[2:3], v2, s17, v[6:7]
	s_waitcnt vmcnt(6)
	v_mad_i64_i32 v[2:3], s[2:3], v3, s17, v[6:7]
	global_load_dwordx4 v[34:37], v[4:5], off
	global_load_dwordx4 v[22:25], v[2:3], off
	s_add_u32 s2, s14, s8
	v_lshlrev_b32_e32 v2, 4, v48
	s_addc_u32 s3, s15, 0
	v_lshl_or_b32 v2, v49, 8, v2
	v_mov_b32_e32 v3, s3
	v_add_co_u32_e32 v2, vcc, s2, v2
	v_addc_co_u32_e32 v3, vcc, 0, v3, vcc
	v_mov_b32_e32 v43, 0
	s_movk_i32 s8, 0x80
	v_mov_b32_e32 v44, 0
	s_waitcnt vmcnt(7)
	v_mad_i64_i32 v[4:5], s[2:3], v15, s17, v[2:3]
	s_waitcnt vmcnt(6)
	v_mad_i64_i32 v[6:7], s[2:3], v16, s17, v[2:3]
	;; [unrolled: 2-line block ×3, first 2 shown]
	global_load_dwordx4 v[14:17], v[4:5], off
	global_load_dwordx4 v[10:13], v[6:7], off
	s_waitcnt vmcnt(6)
	v_mad_i64_i32 v[20:21], s[2:3], v20, s17, v[2:3]
	global_load_dwordx4 v[6:9], v[18:19], off
	global_load_dwordx4 v[2:5], v[20:21], off
	v_mul_lo_u16_e32 v18, 37, v48
	v_mov_b32_e32 v19, 7
	v_mul_lo_u16_sdwa v18, v18, v19 dst_sel:DWORD dst_unused:UNUSED_PAD src0_sel:BYTE_1 src1_sel:DWORD
	v_sub_u16_e32 v18, v48, v18
	v_mov_b32_e32 v19, 5
	v_lshlrev_b32_sdwa v18, v19, v18 dst_sel:DWORD dst_unused:UNUSED_PAD src0_sel:DWORD src1_sel:BYTE_0
	v_lshl_add_u32 v18, v1, 9, v18
	ds_read_b128 v[26:29], v18
	ds_read_b128 v[18:21], v18 offset:16
	s_load_dword s12, s[40:41], 0x0
	s_waitcnt vmcnt(7)
	v_cmp_ne_u16_sdwa s[10:11], v30, v43 src0_sel:BYTE_0 src1_sel:DWORD
	s_and_saveexec_b64 s[2:3], s[10:11]
	s_cbranch_execz .LBB564_17
; %bb.12:
	v_cmp_ne_u16_sdwa s[10:11], v30, s8 src0_sel:BYTE_0 src1_sel:DWORD
	v_bfrev_b32_e32 v44, 1
	s_and_saveexec_b64 s[8:9], s[10:11]
	s_cbranch_execz .LBB564_16
; %bb.13:
	s_movk_i32 s10, 0x7f
	v_and_b32_e32 v42, 0x7f, v30
	v_cmp_ne_u32_e32 vcc, s10, v42
	v_mov_b32_e32 v44, 0x7f800001
	s_and_saveexec_b64 s[10:11], vcc
	s_cbranch_execz .LBB564_15
; %bb.14:
	v_and_b32_e32 v50, 7, v30
	v_ffbh_u32_e32 v44, v50
	v_min_u32_e32 v52, 32, v44
	v_subrev_u32_e32 v44, 28, v52
	v_lshlrev_b64 v[44:45], v44, v[30:31]
	v_lshrrev_b32_e32 v51, 3, v42
	v_sub_u32_e32 v45, 29, v52
	v_and_b32_e32 v44, 7, v44
	v_cmp_gt_u32_e32 vcc, 8, v42
	v_cndmask_b32_e32 v42, v51, v45, vcc
	v_cndmask_b32_e32 v44, v50, v44, vcc
	v_lshlrev_b32_e32 v45, 24, v30
	v_bfrev_b32_e32 v50, 60
	v_lshlrev_b32_e32 v44, 20, v44
	v_and_b32_e32 v45, 0x80000000, v45
	v_lshl_add_u32 v42, v42, 23, v50
	v_or3_b32 v44, v45, v42, v44
.LBB564_15:
	s_or_b64 exec, exec, s[10:11]
.LBB564_16:
	s_or_b64 exec, exec, s[8:9]
.LBB564_17:
	s_or_b64 exec, exec, s[2:3]
	v_lshrrev_b16_e32 v42, 8, v30
	v_cmp_ne_u16_e32 vcc, 0, v42
	s_and_saveexec_b64 s[2:3], vcc
	s_cbranch_execz .LBB564_23
; %bb.18:
	s_movk_i32 s8, 0x80
	v_cmp_ne_u16_e32 vcc, s8, v42
	v_bfrev_b32_e32 v43, 1
	s_and_saveexec_b64 s[8:9], vcc
	s_cbranch_execz .LBB564_22
; %bb.19:
	s_movk_i32 s10, 0x7f
	v_and_b32_e32 v45, 0x7f, v42
	v_cmp_ne_u32_e32 vcc, s10, v45
	v_mov_b32_e32 v43, 0x7f800001
	s_and_saveexec_b64 s[10:11], vcc
	s_cbranch_execz .LBB564_21
; %bb.20:
	v_and_b32_e32 v50, 7, v42
	v_ffbh_u32_e32 v43, v50
	v_min_u32_e32 v52, 32, v43
	v_subrev_u32_e32 v43, 28, v52
	v_lshlrev_b64 v[42:43], v43, v[42:43]
	v_lshrrev_b32_e32 v51, 3, v45
	v_sub_u32_e32 v43, 29, v52
	v_and_b32_e32 v42, 7, v42
	v_cmp_gt_u32_e32 vcc, 8, v45
	v_cndmask_b32_e32 v43, v51, v43, vcc
	v_cndmask_b32_e32 v42, v50, v42, vcc
	v_lshlrev_b32_e32 v45, 16, v30
	v_bfrev_b32_e32 v50, 60
	v_lshlrev_b32_e32 v42, 20, v42
	v_and_b32_e32 v45, 0x80000000, v45
	v_lshl_add_u32 v43, v43, 23, v50
	v_or3_b32 v43, v45, v43, v42
.LBB564_21:
	s_or_b64 exec, exec, s[10:11]
.LBB564_22:
	s_or_b64 exec, exec, s[8:9]
.LBB564_23:
	s_or_b64 exec, exec, s[2:3]
	s_movk_i32 s2, 0xff
	v_and_b32_sdwa v51, v30, s2 dst_sel:DWORD dst_unused:UNUSED_PAD src0_sel:WORD_1 src1_sel:DWORD
	v_lshrrev_b32_e32 v42, 16, v30
	v_cmp_ne_u16_e32 vcc, 0, v51
	v_mov_b32_e32 v45, 0
	v_mov_b32_e32 v50, 0
	s_and_saveexec_b64 s[2:3], vcc
	s_cbranch_execz .LBB564_29
; %bb.24:
	s_movk_i32 s8, 0x80
	v_cmp_ne_u16_e32 vcc, s8, v51
	v_bfrev_b32_e32 v50, 1
	s_and_saveexec_b64 s[8:9], vcc
	s_cbranch_execz .LBB564_28
; %bb.25:
	v_bfe_u32 v51, v30, 16, 7
	s_movk_i32 s10, 0x7f
	v_cmp_ne_u32_e32 vcc, s10, v51
	v_mov_b32_e32 v50, 0x7f800001
	s_and_saveexec_b64 s[10:11], vcc
	s_cbranch_execz .LBB564_27
; %bb.26:
	v_and_b32_e32 v50, 7, v42
	v_ffbh_u32_e32 v52, v50
	v_min_u32_e32 v55, 32, v52
	v_subrev_u32_e32 v52, 28, v55
	v_lshlrev_b64 v[52:53], v52, v[42:43]
	v_lshrrev_b32_e32 v54, 3, v51
	v_sub_u32_e32 v42, 29, v55
	v_and_b32_e32 v52, 7, v52
	v_cmp_gt_u32_e32 vcc, 8, v51
	v_mov_b32_e32 v51, 24
	v_cndmask_b32_e32 v42, v54, v42, vcc
	v_cndmask_b32_e32 v50, v50, v52, vcc
	v_lshlrev_b32_sdwa v51, v51, v30 dst_sel:DWORD dst_unused:UNUSED_PAD src0_sel:DWORD src1_sel:WORD_1
	v_bfrev_b32_e32 v52, 60
	v_lshlrev_b32_e32 v50, 20, v50
	v_and_b32_e32 v51, 0x80000000, v51
	v_lshl_add_u32 v42, v42, 23, v52
	v_or3_b32 v50, v51, v42, v50
.LBB564_27:
	s_or_b64 exec, exec, s[10:11]
.LBB564_28:
	s_or_b64 exec, exec, s[8:9]
.LBB564_29:
	s_or_b64 exec, exec, s[2:3]
	s_mov_b32 s2, 0xffffff
	v_cmp_lt_u32_e32 vcc, s2, v30
	s_and_saveexec_b64 s[2:3], vcc
	s_cbranch_execz .LBB564_35
; %bb.30:
	v_lshrrev_b32_e32 v42, 24, v30
	s_movk_i32 s8, 0x80
	v_cmp_ne_u32_e32 vcc, s8, v42
	v_bfrev_b32_e32 v45, 1
	s_and_saveexec_b64 s[8:9], vcc
	s_cbranch_execz .LBB564_34
; %bb.31:
	v_bfe_u32 v30, v30, 24, 7
	s_movk_i32 s10, 0x7f
	v_cmp_ne_u32_e32 vcc, s10, v30
	v_mov_b32_e32 v45, 0x7f800001
	s_and_saveexec_b64 s[10:11], vcc
	s_cbranch_execz .LBB564_33
; %bb.32:
	v_and_b32_e32 v45, 7, v42
	v_ffbh_u32_e32 v52, v45
	v_min_u32_e32 v54, 32, v52
	v_subrev_u32_e32 v52, 28, v54
	v_lshlrev_b64 v[52:53], v52, v[42:43]
	v_lshrrev_b32_e32 v51, 3, v30
	v_sub_u32_e32 v53, 29, v54
	v_and_b32_e32 v52, 7, v52
	v_cmp_gt_u32_e32 vcc, 8, v30
	v_cndmask_b32_e32 v30, v51, v53, vcc
	v_cndmask_b32_e32 v45, v45, v52, vcc
	v_lshlrev_b32_e32 v42, 24, v42
	v_bfrev_b32_e32 v51, 60
	v_lshlrev_b32_e32 v45, 20, v45
	v_and_b32_e32 v42, 0x80000000, v42
	v_lshl_add_u32 v30, v30, 23, v51
	v_or3_b32 v45, v42, v30, v45
.LBB564_33:
	s_or_b64 exec, exec, s[10:11]
.LBB564_34:
	s_or_b64 exec, exec, s[8:9]
.LBB564_35:
	s_or_b64 exec, exec, s[2:3]
	v_mov_b32_e32 v42, 0
	v_cmp_ne_u16_sdwa s[8:9], v31, v42 src0_sel:BYTE_0 src1_sel:DWORD
	v_mov_b32_e32 v51, 0
	s_and_saveexec_b64 s[2:3], s[8:9]
	s_cbranch_execz .LBB564_41
; %bb.36:
	s_movk_i32 s8, 0x80
	v_cmp_ne_u16_sdwa s[10:11], v31, s8 src0_sel:BYTE_0 src1_sel:DWORD
	v_bfrev_b32_e32 v51, 1
	s_and_saveexec_b64 s[8:9], s[10:11]
	s_cbranch_execz .LBB564_40
; %bb.37:
	s_movk_i32 s10, 0x7f
	v_and_b32_e32 v30, 0x7f, v31
	v_cmp_ne_u32_e32 vcc, s10, v30
	v_mov_b32_e32 v51, 0x7f800001
	s_and_saveexec_b64 s[10:11], vcc
	s_cbranch_execz .LBB564_39
; %bb.38:
	v_and_b32_e32 v51, 7, v31
	v_ffbh_u32_e32 v53, v51
	v_min_u32_e32 v55, 32, v53
	v_mov_b32_e32 v52, v31
	v_subrev_u32_e32 v53, 28, v55
	v_lshlrev_b64 v[52:53], v53, v[52:53]
	v_lshrrev_b32_e32 v54, 3, v30
	v_sub_u32_e32 v53, 29, v55
	v_and_b32_e32 v52, 7, v52
	v_cmp_gt_u32_e32 vcc, 8, v30
	v_cndmask_b32_e32 v30, v54, v53, vcc
	v_cndmask_b32_e32 v51, v51, v52, vcc
	v_lshlrev_b32_e32 v52, 24, v31
	v_bfrev_b32_e32 v53, 60
	v_lshlrev_b32_e32 v51, 20, v51
	v_and_b32_e32 v52, 0x80000000, v52
	v_lshl_add_u32 v30, v30, 23, v53
	v_or3_b32 v51, v52, v30, v51
.LBB564_39:
	s_or_b64 exec, exec, s[10:11]
.LBB564_40:
	s_or_b64 exec, exec, s[8:9]
.LBB564_41:
	s_or_b64 exec, exec, s[2:3]
	v_lshrrev_b16_e32 v30, 8, v31
	v_cmp_ne_u16_e32 vcc, 0, v30
	s_and_saveexec_b64 s[2:3], vcc
	s_cbranch_execz .LBB564_47
; %bb.42:
	s_movk_i32 s8, 0x80
	v_cmp_ne_u16_e32 vcc, s8, v30
	v_bfrev_b32_e32 v42, 1
	s_and_saveexec_b64 s[8:9], vcc
	s_cbranch_execz .LBB564_46
; %bb.43:
	s_movk_i32 s10, 0x7f
	v_and_b32_e32 v52, 0x7f, v30
	v_cmp_ne_u32_e32 vcc, s10, v52
	v_mov_b32_e32 v42, 0x7f800001
	s_and_saveexec_b64 s[10:11], vcc
	s_cbranch_execz .LBB564_45
; %bb.44:
	v_and_b32_e32 v42, 7, v30
	v_ffbh_u32_e32 v54, v42
	v_min_u32_e32 v56, 32, v54
	v_subrev_u32_e32 v54, 28, v56
	v_lshlrev_b64 v[54:55], v54, v[30:31]
	v_lshrrev_b32_e32 v53, 3, v52
	v_sub_u32_e32 v30, 29, v56
	v_and_b32_e32 v54, 7, v54
	v_cmp_gt_u32_e32 vcc, 8, v52
	v_cndmask_b32_e32 v30, v53, v30, vcc
	v_cndmask_b32_e32 v42, v42, v54, vcc
	v_lshlrev_b32_e32 v52, 16, v31
	v_bfrev_b32_e32 v53, 60
	v_lshlrev_b32_e32 v42, 20, v42
	v_and_b32_e32 v52, 0x80000000, v52
	v_lshl_add_u32 v30, v30, 23, v53
	v_or3_b32 v42, v52, v30, v42
.LBB564_45:
	s_or_b64 exec, exec, s[10:11]
.LBB564_46:
	s_or_b64 exec, exec, s[8:9]
.LBB564_47:
	s_or_b64 exec, exec, s[2:3]
	s_movk_i32 s2, 0xff
	v_and_b32_sdwa v54, v31, s2 dst_sel:DWORD dst_unused:UNUSED_PAD src0_sel:WORD_1 src1_sel:DWORD
	v_lshrrev_b32_e32 v30, 16, v31
	v_cmp_ne_u16_e32 vcc, 0, v54
	v_mov_b32_e32 v52, 0
	v_mov_b32_e32 v53, 0
	s_and_saveexec_b64 s[2:3], vcc
	s_cbranch_execz .LBB564_53
; %bb.48:
	s_movk_i32 s8, 0x80
	v_cmp_ne_u16_e32 vcc, s8, v54
	v_bfrev_b32_e32 v53, 1
	s_and_saveexec_b64 s[8:9], vcc
	s_cbranch_execz .LBB564_52
; %bb.49:
	v_bfe_u32 v54, v31, 16, 7
	s_movk_i32 s10, 0x7f
	v_cmp_ne_u32_e32 vcc, s10, v54
	v_mov_b32_e32 v53, 0x7f800001
	s_and_saveexec_b64 s[10:11], vcc
	s_cbranch_execz .LBB564_51
; %bb.50:
	v_and_b32_e32 v53, 7, v30
	v_ffbh_u32_e32 v56, v53
	v_min_u32_e32 v58, 32, v56
	v_subrev_u32_e32 v56, 28, v58
	v_lshlrev_b64 v[56:57], v56, v[30:31]
	v_lshrrev_b32_e32 v55, 3, v54
	v_sub_u32_e32 v30, 29, v58
	v_and_b32_e32 v56, 7, v56
	v_cmp_gt_u32_e32 vcc, 8, v54
	v_mov_b32_e32 v54, 24
	v_cndmask_b32_e32 v30, v55, v30, vcc
	v_cndmask_b32_e32 v53, v53, v56, vcc
	v_lshlrev_b32_sdwa v54, v54, v31 dst_sel:DWORD dst_unused:UNUSED_PAD src0_sel:DWORD src1_sel:WORD_1
	v_bfrev_b32_e32 v55, 60
	v_lshlrev_b32_e32 v53, 20, v53
	v_and_b32_e32 v54, 0x80000000, v54
	v_lshl_add_u32 v30, v30, 23, v55
	v_or3_b32 v53, v54, v30, v53
.LBB564_51:
	s_or_b64 exec, exec, s[10:11]
.LBB564_52:
	s_or_b64 exec, exec, s[8:9]
.LBB564_53:
	s_or_b64 exec, exec, s[2:3]
	s_mov_b32 s2, 0xffffff
	v_cmp_lt_u32_e32 vcc, s2, v31
	s_and_saveexec_b64 s[2:3], vcc
	s_cbranch_execz .LBB564_59
; %bb.54:
	v_lshrrev_b32_e32 v30, 24, v31
	s_movk_i32 s8, 0x80
	v_cmp_ne_u32_e32 vcc, s8, v30
	v_bfrev_b32_e32 v52, 1
	s_and_saveexec_b64 s[8:9], vcc
	s_cbranch_execz .LBB564_58
; %bb.55:
	v_bfe_u32 v31, v31, 24, 7
	s_movk_i32 s10, 0x7f
	v_cmp_ne_u32_e32 vcc, s10, v31
	v_mov_b32_e32 v52, 0x7f800001
	s_and_saveexec_b64 s[10:11], vcc
	s_cbranch_execz .LBB564_57
; %bb.56:
	v_and_b32_e32 v52, 7, v30
	v_ffbh_u32_e32 v54, v52
	v_min_u32_e32 v57, 32, v54
	v_subrev_u32_e32 v54, 28, v57
	v_lshlrev_b64 v[54:55], v54, v[30:31]
	v_lshrrev_b32_e32 v56, 3, v31
	v_sub_u32_e32 v55, 29, v57
	v_and_b32_e32 v54, 7, v54
	v_cmp_gt_u32_e32 vcc, 8, v31
	v_cndmask_b32_e32 v31, v56, v55, vcc
	v_cndmask_b32_e32 v52, v52, v54, vcc
	v_lshlrev_b32_e32 v30, 24, v30
	v_bfrev_b32_e32 v54, 60
	v_lshlrev_b32_e32 v52, 20, v52
	v_and_b32_e32 v30, 0x80000000, v30
	v_lshl_add_u32 v31, v31, 23, v54
	v_or3_b32 v52, v30, v31, v52
.LBB564_57:
	s_or_b64 exec, exec, s[10:11]
.LBB564_58:
	s_or_b64 exec, exec, s[8:9]
.LBB564_59:
	s_or_b64 exec, exec, s[2:3]
	v_cvt_pkrtz_f16_f32 v30, v44, v43
	v_cvt_pkrtz_f16_f32 v31, v50, v45
	;; [unrolled: 1-line block ×4, first 2 shown]
	v_mov_b32_e32 v51, 0
	s_waitcnt lgkmcnt(0)
	v_mfma_f32_16x16x16f16 v[54:57], v[30:31], v[26:27], 0
	v_mov_b32_e32 v31, 0
	v_cmp_ne_u16_sdwa s[8:9], v32, v31 src0_sel:BYTE_0 src1_sel:DWORD
	v_mfma_f32_16x16x16f16 v[42:45], v[42:43], v[28:29], v[54:57]
	s_and_saveexec_b64 s[2:3], s[8:9]
	s_cbranch_execz .LBB564_65
; %bb.60:
	s_movk_i32 s8, 0x80
	v_cmp_ne_u16_sdwa s[10:11], v32, s8 src0_sel:BYTE_0 src1_sel:DWORD
	v_bfrev_b32_e32 v51, 1
	s_and_saveexec_b64 s[8:9], s[10:11]
	s_cbranch_execz .LBB564_64
; %bb.61:
	s_movk_i32 s10, 0x7f
	v_and_b32_e32 v30, 0x7f, v32
	v_cmp_ne_u32_e32 vcc, s10, v30
	v_mov_b32_e32 v51, 0x7f800001
	s_and_saveexec_b64 s[10:11], vcc
	s_cbranch_execz .LBB564_63
; %bb.62:
	v_and_b32_e32 v52, 7, v32
	v_ffbh_u32_e32 v50, v52
	v_min_u32_e32 v54, 32, v50
	v_subrev_u32_e32 v50, 28, v54
	v_lshlrev_b64 v[50:51], v50, v[32:33]
	v_lshrrev_b32_e32 v53, 3, v30
	v_sub_u32_e32 v51, 29, v54
	v_and_b32_e32 v50, 7, v50
	v_cmp_gt_u32_e32 vcc, 8, v30
	v_cndmask_b32_e32 v30, v53, v51, vcc
	v_cndmask_b32_e32 v50, v52, v50, vcc
	v_lshlrev_b32_e32 v51, 24, v32
	v_bfrev_b32_e32 v52, 60
	v_lshlrev_b32_e32 v50, 20, v50
	v_and_b32_e32 v51, 0x80000000, v51
	v_lshl_add_u32 v30, v30, 23, v52
	v_or3_b32 v51, v51, v30, v50
.LBB564_63:
	s_or_b64 exec, exec, s[10:11]
.LBB564_64:
	s_or_b64 exec, exec, s[8:9]
.LBB564_65:
	s_or_b64 exec, exec, s[2:3]
	v_lshrrev_b16_e32 v30, 8, v32
	v_cmp_ne_u16_e32 vcc, 0, v30
	v_mov_b32_e32 v52, 0
	s_and_saveexec_b64 s[2:3], vcc
	s_cbranch_execz .LBB564_71
; %bb.66:
	s_movk_i32 s8, 0x80
	v_cmp_ne_u16_e32 vcc, s8, v30
	v_bfrev_b32_e32 v52, 1
	s_and_saveexec_b64 s[8:9], vcc
	s_cbranch_execz .LBB564_70
; %bb.67:
	s_movk_i32 s10, 0x7f
	v_and_b32_e32 v50, 0x7f, v30
	v_cmp_ne_u32_e32 vcc, s10, v50
	v_mov_b32_e32 v52, 0x7f800001
	s_and_saveexec_b64 s[10:11], vcc
	s_cbranch_execz .LBB564_69
; %bb.68:
	v_and_b32_e32 v54, 7, v30
	v_ffbh_u32_e32 v52, v54
	v_min_u32_e32 v56, 32, v52
	v_subrev_u32_e32 v52, 28, v56
	v_lshlrev_b64 v[52:53], v52, v[30:31]
	v_lshrrev_b32_e32 v55, 3, v50
	v_sub_u32_e32 v30, 29, v56
	v_and_b32_e32 v52, 7, v52
	v_cmp_gt_u32_e32 vcc, 8, v50
	v_cndmask_b32_e32 v30, v55, v30, vcc
	v_cndmask_b32_e32 v50, v54, v52, vcc
	v_lshlrev_b32_e32 v52, 16, v32
	v_bfrev_b32_e32 v53, 60
	v_lshlrev_b32_e32 v50, 20, v50
	v_and_b32_e32 v52, 0x80000000, v52
	v_lshl_add_u32 v30, v30, 23, v53
	v_or3_b32 v52, v52, v30, v50
.LBB564_69:
	s_or_b64 exec, exec, s[10:11]
.LBB564_70:
	s_or_b64 exec, exec, s[8:9]
.LBB564_71:
	s_or_b64 exec, exec, s[2:3]
	s_movk_i32 s2, 0xff
	v_and_b32_sdwa v50, v32, s2 dst_sel:DWORD dst_unused:UNUSED_PAD src0_sel:WORD_1 src1_sel:DWORD
	v_lshrrev_b32_e32 v30, 16, v32
	v_cmp_ne_u16_e32 vcc, 0, v50
	s_and_saveexec_b64 s[2:3], vcc
	s_cbranch_execz .LBB564_77
; %bb.72:
	s_movk_i32 s8, 0x80
	v_cmp_ne_u16_e32 vcc, s8, v50
	v_bfrev_b32_e32 v31, 1
	s_and_saveexec_b64 s[8:9], vcc
	s_cbranch_execz .LBB564_76
; %bb.73:
	v_bfe_u32 v50, v32, 16, 7
	s_movk_i32 s10, 0x7f
	v_cmp_ne_u32_e32 vcc, s10, v50
	v_mov_b32_e32 v31, 0x7f800001
	s_and_saveexec_b64 s[10:11], vcc
	s_cbranch_execz .LBB564_75
; %bb.74:
	v_and_b32_e32 v53, 7, v30
	v_ffbh_u32_e32 v31, v53
	v_min_u32_e32 v55, 32, v31
	v_subrev_u32_e32 v31, 28, v55
	v_lshlrev_b64 v[30:31], v31, v[30:31]
	v_lshrrev_b32_e32 v54, 3, v50
	v_sub_u32_e32 v31, 29, v55
	v_and_b32_e32 v30, 7, v30
	v_cmp_gt_u32_e32 vcc, 8, v50
	v_mov_b32_e32 v50, 24
	v_cndmask_b32_e32 v31, v54, v31, vcc
	v_cndmask_b32_e32 v30, v53, v30, vcc
	v_lshlrev_b32_sdwa v50, v50, v32 dst_sel:DWORD dst_unused:UNUSED_PAD src0_sel:DWORD src1_sel:WORD_1
	v_bfrev_b32_e32 v53, 60
	v_lshlrev_b32_e32 v30, 20, v30
	v_and_b32_e32 v50, 0x80000000, v50
	v_lshl_add_u32 v31, v31, 23, v53
	v_or3_b32 v31, v50, v31, v30
.LBB564_75:
	s_or_b64 exec, exec, s[10:11]
.LBB564_76:
	s_or_b64 exec, exec, s[8:9]
.LBB564_77:
	s_or_b64 exec, exec, s[2:3]
	s_mov_b32 s2, 0xffffff
	v_cmp_lt_u32_e32 vcc, s2, v32
	v_mov_b32_e32 v53, 0
	v_mov_b32_e32 v54, 0
	s_and_saveexec_b64 s[2:3], vcc
	s_cbranch_execz .LBB564_83
; %bb.78:
	v_lshrrev_b32_e32 v30, 24, v32
	s_movk_i32 s8, 0x80
	v_cmp_ne_u32_e32 vcc, s8, v30
	v_bfrev_b32_e32 v54, 1
	s_and_saveexec_b64 s[8:9], vcc
	s_cbranch_execz .LBB564_82
; %bb.79:
	v_bfe_u32 v32, v32, 24, 7
	s_movk_i32 s10, 0x7f
	v_cmp_ne_u32_e32 vcc, s10, v32
	v_mov_b32_e32 v54, 0x7f800001
	s_and_saveexec_b64 s[10:11], vcc
	s_cbranch_execz .LBB564_81
; %bb.80:
	v_and_b32_e32 v50, 7, v30
	v_ffbh_u32_e32 v54, v50
	v_min_u32_e32 v57, 32, v54
	v_subrev_u32_e32 v54, 28, v57
	v_lshlrev_b64 v[54:55], v54, v[30:31]
	v_lshrrev_b32_e32 v56, 3, v32
	v_sub_u32_e32 v55, 29, v57
	v_and_b32_e32 v54, 7, v54
	v_cmp_gt_u32_e32 vcc, 8, v32
	v_cndmask_b32_e32 v32, v56, v55, vcc
	v_cndmask_b32_e32 v50, v50, v54, vcc
	v_lshlrev_b32_e32 v30, 24, v30
	v_bfrev_b32_e32 v54, 60
	v_lshlrev_b32_e32 v50, 20, v50
	v_and_b32_e32 v30, 0x80000000, v30
	v_lshl_add_u32 v32, v32, 23, v54
	v_or3_b32 v54, v30, v32, v50
.LBB564_81:
	s_or_b64 exec, exec, s[10:11]
.LBB564_82:
	s_or_b64 exec, exec, s[8:9]
.LBB564_83:
	s_or_b64 exec, exec, s[2:3]
	v_cmp_ne_u16_sdwa s[8:9], v33, v53 src0_sel:BYTE_0 src1_sel:DWORD
	s_and_saveexec_b64 s[2:3], s[8:9]
	s_cbranch_execz .LBB564_89
; %bb.84:
	s_movk_i32 s8, 0x80
	v_cmp_ne_u16_sdwa s[10:11], v33, s8 src0_sel:BYTE_0 src1_sel:DWORD
	v_bfrev_b32_e32 v53, 1
	s_and_saveexec_b64 s[8:9], s[10:11]
	s_cbranch_execz .LBB564_88
; %bb.85:
	s_movk_i32 s10, 0x7f
	v_and_b32_e32 v30, 0x7f, v33
	v_cmp_ne_u32_e32 vcc, s10, v30
	v_mov_b32_e32 v53, 0x7f800001
	s_and_saveexec_b64 s[10:11], vcc
	s_cbranch_execz .LBB564_87
; %bb.86:
	v_and_b32_e32 v50, 7, v33
	v_ffbh_u32_e32 v55, v50
	v_min_u32_e32 v55, 32, v55
	v_mov_b32_e32 v32, v33
	v_subrev_u32_e32 v56, 28, v55
	v_lshlrev_b64 v[56:57], v56, v[32:33]
	v_lshrrev_b32_e32 v53, 3, v30
	v_sub_u32_e32 v32, 29, v55
	v_and_b32_e32 v55, 7, v56
	v_cmp_gt_u32_e32 vcc, 8, v30
	v_cndmask_b32_e32 v30, v53, v32, vcc
	v_cndmask_b32_e32 v32, v50, v55, vcc
	v_lshlrev_b32_e32 v50, 24, v33
	v_bfrev_b32_e32 v53, 60
	v_lshlrev_b32_e32 v32, 20, v32
	v_and_b32_e32 v50, 0x80000000, v50
	v_lshl_add_u32 v30, v30, 23, v53
	v_or3_b32 v53, v50, v30, v32
.LBB564_87:
	s_or_b64 exec, exec, s[10:11]
.LBB564_88:
	s_or_b64 exec, exec, s[8:9]
.LBB564_89:
	s_or_b64 exec, exec, s[2:3]
	v_lshrrev_b16_e32 v30, 8, v33
	v_cmp_ne_u16_e32 vcc, 0, v30
	v_mov_b32_e32 v32, 0
	v_mov_b32_e32 v55, 0
	s_and_saveexec_b64 s[2:3], vcc
	s_cbranch_execz .LBB564_95
; %bb.90:
	s_movk_i32 s8, 0x80
	v_cmp_ne_u16_e32 vcc, s8, v30
	v_bfrev_b32_e32 v55, 1
	s_and_saveexec_b64 s[8:9], vcc
	s_cbranch_execz .LBB564_94
; %bb.91:
	s_movk_i32 s10, 0x7f
	v_and_b32_e32 v50, 0x7f, v30
	v_cmp_ne_u32_e32 vcc, s10, v50
	v_mov_b32_e32 v55, 0x7f800001
	s_and_saveexec_b64 s[10:11], vcc
	s_cbranch_execz .LBB564_93
; %bb.92:
	v_and_b32_e32 v55, 7, v30
	v_ffbh_u32_e32 v56, v55
	v_min_u32_e32 v59, 32, v56
	v_subrev_u32_e32 v56, 28, v59
	v_lshlrev_b64 v[56:57], v56, v[30:31]
	v_lshrrev_b32_e32 v58, 3, v50
	v_sub_u32_e32 v30, 29, v59
	v_and_b32_e32 v56, 7, v56
	v_cmp_gt_u32_e32 vcc, 8, v50
	v_cndmask_b32_e32 v30, v58, v30, vcc
	v_cndmask_b32_e32 v50, v55, v56, vcc
	v_lshlrev_b32_e32 v55, 16, v33
	v_bfrev_b32_e32 v56, 60
	v_lshlrev_b32_e32 v50, 20, v50
	v_and_b32_e32 v55, 0x80000000, v55
	v_lshl_add_u32 v30, v30, 23, v56
	v_or3_b32 v55, v55, v30, v50
.LBB564_93:
	s_or_b64 exec, exec, s[10:11]
.LBB564_94:
	s_or_b64 exec, exec, s[8:9]
.LBB564_95:
	s_or_b64 exec, exec, s[2:3]
	s_movk_i32 s2, 0xff
	v_and_b32_sdwa v50, v33, s2 dst_sel:DWORD dst_unused:UNUSED_PAD src0_sel:WORD_1 src1_sel:DWORD
	v_lshrrev_b32_e32 v30, 16, v33
	v_cmp_ne_u16_e32 vcc, 0, v50
	s_and_saveexec_b64 s[2:3], vcc
	s_cbranch_execz .LBB564_101
; %bb.96:
	s_movk_i32 s8, 0x80
	v_cmp_ne_u16_e32 vcc, s8, v50
	v_bfrev_b32_e32 v32, 1
	s_and_saveexec_b64 s[8:9], vcc
	s_cbranch_execz .LBB564_100
; %bb.97:
	v_bfe_u32 v50, v33, 16, 7
	s_movk_i32 s10, 0x7f
	v_cmp_ne_u32_e32 vcc, s10, v50
	v_mov_b32_e32 v32, 0x7f800001
	s_and_saveexec_b64 s[10:11], vcc
	s_cbranch_execz .LBB564_99
; %bb.98:
	v_and_b32_e32 v32, 7, v30
	v_ffbh_u32_e32 v56, v32
	v_min_u32_e32 v59, 32, v56
	v_subrev_u32_e32 v56, 28, v59
	v_lshlrev_b64 v[56:57], v56, v[30:31]
	v_lshrrev_b32_e32 v58, 3, v50
	v_sub_u32_e32 v30, 29, v59
	v_and_b32_e32 v56, 7, v56
	v_cmp_gt_u32_e32 vcc, 8, v50
	v_mov_b32_e32 v50, 24
	v_cndmask_b32_e32 v30, v58, v30, vcc
	v_cndmask_b32_e32 v32, v32, v56, vcc
	v_lshlrev_b32_sdwa v50, v50, v33 dst_sel:DWORD dst_unused:UNUSED_PAD src0_sel:DWORD src1_sel:WORD_1
	v_bfrev_b32_e32 v56, 60
	v_lshlrev_b32_e32 v32, 20, v32
	v_and_b32_e32 v50, 0x80000000, v50
	v_lshl_add_u32 v30, v30, 23, v56
	v_or3_b32 v32, v50, v30, v32
.LBB564_99:
	s_or_b64 exec, exec, s[10:11]
.LBB564_100:
	s_or_b64 exec, exec, s[8:9]
.LBB564_101:
	s_or_b64 exec, exec, s[2:3]
	s_mov_b32 s2, 0xffffff
	v_cmp_lt_u32_e32 vcc, s2, v33
	v_mov_b32_e32 v50, 0
	v_mov_b32_e32 v56, 0
	s_and_saveexec_b64 s[2:3], vcc
	s_cbranch_execz .LBB564_107
; %bb.102:
	v_lshrrev_b32_e32 v30, 24, v33
	s_movk_i32 s8, 0x80
	v_cmp_ne_u32_e32 vcc, s8, v30
	v_bfrev_b32_e32 v56, 1
	s_and_saveexec_b64 s[8:9], vcc
	s_cbranch_execz .LBB564_106
; %bb.103:
	v_bfe_u32 v33, v33, 24, 7
	s_movk_i32 s10, 0x7f
	v_cmp_ne_u32_e32 vcc, s10, v33
	v_mov_b32_e32 v56, 0x7f800001
	s_and_saveexec_b64 s[10:11], vcc
	s_cbranch_execz .LBB564_105
; %bb.104:
	v_and_b32_e32 v58, 7, v30
	v_ffbh_u32_e32 v56, v58
	v_min_u32_e32 v60, 32, v56
	v_subrev_u32_e32 v56, 28, v60
	v_lshlrev_b64 v[56:57], v56, v[30:31]
	v_lshrrev_b32_e32 v59, 3, v33
	v_sub_u32_e32 v57, 29, v60
	v_and_b32_e32 v56, 7, v56
	v_cmp_gt_u32_e32 vcc, 8, v33
	v_cndmask_b32_e32 v33, v59, v57, vcc
	v_cndmask_b32_e32 v56, v58, v56, vcc
	v_lshlrev_b32_e32 v30, 24, v30
	v_bfrev_b32_e32 v57, 60
	v_lshlrev_b32_e32 v56, 20, v56
	v_and_b32_e32 v30, 0x80000000, v30
	v_lshl_add_u32 v33, v33, 23, v57
	v_or3_b32 v56, v30, v33, v56
.LBB564_105:
	s_or_b64 exec, exec, s[10:11]
.LBB564_106:
	s_or_b64 exec, exec, s[8:9]
.LBB564_107:
	s_or_b64 exec, exec, s[2:3]
	v_cvt_pkrtz_f16_f32 v30, v51, v52
	v_cvt_pkrtz_f16_f32 v31, v31, v54
	s_waitcnt vmcnt(6)
	v_cmp_ne_u16_sdwa s[8:9], v38, v50 src0_sel:BYTE_0 src1_sel:DWORD
	v_mfma_f32_16x16x16f16 v[42:45], v[30:31], v[18:19], v[42:45]
	v_cvt_pkrtz_f16_f32 v30, v53, v55
	v_cvt_pkrtz_f16_f32 v31, v32, v56
	s_nop 1
	v_mfma_f32_16x16x16f16 v[30:33], v[30:31], v[20:21], v[42:45]
	s_and_saveexec_b64 s[2:3], s[8:9]
	s_cbranch_execz .LBB564_113
; %bb.108:
	s_movk_i32 s8, 0x80
	v_cmp_ne_u16_sdwa s[10:11], v38, s8 src0_sel:BYTE_0 src1_sel:DWORD
	v_bfrev_b32_e32 v50, 1
	s_and_saveexec_b64 s[8:9], s[10:11]
	s_cbranch_execz .LBB564_112
; %bb.109:
	s_movk_i32 s10, 0x7f
	v_and_b32_e32 v42, 0x7f, v38
	v_cmp_ne_u32_e32 vcc, s10, v42
	v_mov_b32_e32 v50, 0x7f800001
	s_and_saveexec_b64 s[10:11], vcc
	s_cbranch_execz .LBB564_111
; %bb.110:
	v_and_b32_e32 v43, 7, v38
	v_ffbh_u32_e32 v44, v43
	v_min_u32_e32 v51, 32, v44
	v_subrev_u32_e32 v44, 28, v51
	v_lshlrev_b64 v[44:45], v44, v[38:39]
	v_lshrrev_b32_e32 v50, 3, v42
	v_sub_u32_e32 v45, 29, v51
	v_and_b32_e32 v44, 7, v44
	v_cmp_gt_u32_e32 vcc, 8, v42
	v_cndmask_b32_e32 v42, v50, v45, vcc
	v_cndmask_b32_e32 v43, v43, v44, vcc
	v_lshlrev_b32_e32 v44, 24, v38
	v_bfrev_b32_e32 v45, 60
	v_lshlrev_b32_e32 v43, 20, v43
	v_and_b32_e32 v44, 0x80000000, v44
	v_lshl_add_u32 v42, v42, 23, v45
	v_or3_b32 v50, v44, v42, v43
.LBB564_111:
	s_or_b64 exec, exec, s[10:11]
.LBB564_112:
	s_or_b64 exec, exec, s[8:9]
.LBB564_113:
	s_or_b64 exec, exec, s[2:3]
	s_nop 3
	v_lshrrev_b16_e32 v42, 8, v38
	v_cmp_ne_u16_e32 vcc, 0, v42
	v_mov_b32_e32 v43, 0
	v_mov_b32_e32 v44, 0
	s_and_saveexec_b64 s[2:3], vcc
	s_cbranch_execz .LBB564_119
; %bb.114:
	s_movk_i32 s8, 0x80
	v_cmp_ne_u16_e32 vcc, s8, v42
	v_bfrev_b32_e32 v44, 1
	s_and_saveexec_b64 s[8:9], vcc
	s_cbranch_execz .LBB564_118
; %bb.115:
	s_movk_i32 s10, 0x7f
	v_and_b32_e32 v45, 0x7f, v42
	v_cmp_ne_u32_e32 vcc, s10, v45
	v_mov_b32_e32 v44, 0x7f800001
	s_and_saveexec_b64 s[10:11], vcc
	s_cbranch_execz .LBB564_117
; %bb.116:
	v_and_b32_e32 v44, 7, v42
	v_ffbh_u32_e32 v52, v44
	v_min_u32_e32 v54, 32, v52
	v_subrev_u32_e32 v52, 28, v54
	v_lshlrev_b64 v[52:53], v52, v[42:43]
	v_lshrrev_b32_e32 v51, 3, v45
	v_sub_u32_e32 v42, 29, v54
	v_and_b32_e32 v52, 7, v52
	v_cmp_gt_u32_e32 vcc, 8, v45
	v_cndmask_b32_e32 v42, v51, v42, vcc
	v_cndmask_b32_e32 v44, v44, v52, vcc
	v_lshlrev_b32_e32 v45, 16, v38
	v_bfrev_b32_e32 v51, 60
	v_lshlrev_b32_e32 v44, 20, v44
	v_and_b32_e32 v45, 0x80000000, v45
	v_lshl_add_u32 v42, v42, 23, v51
	v_or3_b32 v44, v45, v42, v44
.LBB564_117:
	s_or_b64 exec, exec, s[10:11]
.LBB564_118:
	s_or_b64 exec, exec, s[8:9]
.LBB564_119:
	s_or_b64 exec, exec, s[2:3]
	s_movk_i32 s2, 0xff
	v_and_b32_sdwa v45, v38, s2 dst_sel:DWORD dst_unused:UNUSED_PAD src0_sel:WORD_1 src1_sel:DWORD
	v_lshrrev_b32_e32 v42, 16, v38
	v_cmp_ne_u16_e32 vcc, 0, v45
	s_and_saveexec_b64 s[2:3], vcc
	s_cbranch_execz .LBB564_125
; %bb.120:
	s_movk_i32 s8, 0x80
	v_cmp_ne_u16_e32 vcc, s8, v45
	v_bfrev_b32_e32 v43, 1
	s_and_saveexec_b64 s[8:9], vcc
	s_cbranch_execz .LBB564_124
; %bb.121:
	v_bfe_u32 v45, v38, 16, 7
	s_movk_i32 s10, 0x7f
	v_cmp_ne_u32_e32 vcc, s10, v45
	v_mov_b32_e32 v43, 0x7f800001
	s_and_saveexec_b64 s[10:11], vcc
	s_cbranch_execz .LBB564_123
; %bb.122:
	v_and_b32_e32 v51, 7, v42
	v_ffbh_u32_e32 v43, v51
	v_min_u32_e32 v53, 32, v43
	v_subrev_u32_e32 v43, 28, v53
	v_lshlrev_b64 v[42:43], v43, v[42:43]
	v_lshrrev_b32_e32 v52, 3, v45
	v_sub_u32_e32 v43, 29, v53
	v_and_b32_e32 v42, 7, v42
	v_cmp_gt_u32_e32 vcc, 8, v45
	v_mov_b32_e32 v45, 24
	v_cndmask_b32_e32 v43, v52, v43, vcc
	v_cndmask_b32_e32 v42, v51, v42, vcc
	v_lshlrev_b32_sdwa v45, v45, v38 dst_sel:DWORD dst_unused:UNUSED_PAD src0_sel:DWORD src1_sel:WORD_1
	v_bfrev_b32_e32 v51, 60
	v_lshlrev_b32_e32 v42, 20, v42
	v_and_b32_e32 v45, 0x80000000, v45
	v_lshl_add_u32 v43, v43, 23, v51
	v_or3_b32 v43, v45, v43, v42
.LBB564_123:
	s_or_b64 exec, exec, s[10:11]
.LBB564_124:
	s_or_b64 exec, exec, s[8:9]
.LBB564_125:
	s_or_b64 exec, exec, s[2:3]
	s_mov_b32 s2, 0xffffff
	v_cmp_lt_u32_e32 vcc, s2, v38
	v_mov_b32_e32 v45, 0
	v_mov_b32_e32 v52, 0
	s_and_saveexec_b64 s[2:3], vcc
	s_cbranch_execz .LBB564_131
; %bb.126:
	v_lshrrev_b32_e32 v42, 24, v38
	s_movk_i32 s8, 0x80
	v_cmp_ne_u32_e32 vcc, s8, v42
	v_bfrev_b32_e32 v52, 1
	s_and_saveexec_b64 s[8:9], vcc
	s_cbranch_execz .LBB564_130
; %bb.127:
	v_bfe_u32 v38, v38, 24, 7
	s_movk_i32 s10, 0x7f
	v_cmp_ne_u32_e32 vcc, s10, v38
	v_mov_b32_e32 v52, 0x7f800001
	s_and_saveexec_b64 s[10:11], vcc
	s_cbranch_execz .LBB564_129
; %bb.128:
	v_and_b32_e32 v51, 7, v42
	v_ffbh_u32_e32 v52, v51
	v_min_u32_e32 v55, 32, v52
	v_subrev_u32_e32 v52, 28, v55
	v_lshlrev_b64 v[52:53], v52, v[42:43]
	v_lshrrev_b32_e32 v54, 3, v38
	v_sub_u32_e32 v53, 29, v55
	v_and_b32_e32 v52, 7, v52
	v_cmp_gt_u32_e32 vcc, 8, v38
	v_cndmask_b32_e32 v38, v54, v53, vcc
	v_cndmask_b32_e32 v51, v51, v52, vcc
	v_lshlrev_b32_e32 v42, 24, v42
	v_bfrev_b32_e32 v52, 60
	v_lshlrev_b32_e32 v51, 20, v51
	v_and_b32_e32 v42, 0x80000000, v42
	v_lshl_add_u32 v38, v38, 23, v52
	v_or3_b32 v52, v42, v38, v51
.LBB564_129:
	s_or_b64 exec, exec, s[10:11]
.LBB564_130:
	s_or_b64 exec, exec, s[8:9]
.LBB564_131:
	s_or_b64 exec, exec, s[2:3]
	v_cmp_ne_u16_sdwa s[8:9], v39, v45 src0_sel:BYTE_0 src1_sel:DWORD
	s_and_saveexec_b64 s[2:3], s[8:9]
	s_cbranch_execz .LBB564_137
; %bb.132:
	s_movk_i32 s8, 0x80
	v_cmp_ne_u16_sdwa s[10:11], v39, s8 src0_sel:BYTE_0 src1_sel:DWORD
	v_bfrev_b32_e32 v45, 1
	s_and_saveexec_b64 s[8:9], s[10:11]
	s_cbranch_execz .LBB564_136
; %bb.133:
	s_movk_i32 s10, 0x7f
	v_and_b32_e32 v38, 0x7f, v39
	v_cmp_ne_u32_e32 vcc, s10, v38
	v_mov_b32_e32 v45, 0x7f800001
	s_and_saveexec_b64 s[10:11], vcc
	s_cbranch_execz .LBB564_135
; %bb.134:
	v_and_b32_e32 v45, 7, v39
	v_ffbh_u32_e32 v53, v45
	v_min_u32_e32 v53, 32, v53
	v_mov_b32_e32 v42, v39
	v_subrev_u32_e32 v54, 28, v53
	v_lshlrev_b64 v[54:55], v54, v[42:43]
	v_lshrrev_b32_e32 v51, 3, v38
	v_sub_u32_e32 v42, 29, v53
	v_and_b32_e32 v53, 7, v54
	v_cmp_gt_u32_e32 vcc, 8, v38
	v_cndmask_b32_e32 v38, v51, v42, vcc
	v_cndmask_b32_e32 v42, v45, v53, vcc
	v_lshlrev_b32_e32 v45, 24, v39
	v_bfrev_b32_e32 v51, 60
	v_lshlrev_b32_e32 v42, 20, v42
	v_and_b32_e32 v45, 0x80000000, v45
	v_lshl_add_u32 v38, v38, 23, v51
	v_or3_b32 v45, v45, v38, v42
.LBB564_135:
	s_or_b64 exec, exec, s[10:11]
.LBB564_136:
	s_or_b64 exec, exec, s[8:9]
.LBB564_137:
	s_or_b64 exec, exec, s[2:3]
	v_lshrrev_b16_e32 v38, 8, v39
	v_cmp_ne_u16_e32 vcc, 0, v38
	v_mov_b32_e32 v42, 0
	v_mov_b32_e32 v53, 0
	s_and_saveexec_b64 s[2:3], vcc
	s_cbranch_execz .LBB564_143
; %bb.138:
	s_movk_i32 s8, 0x80
	v_cmp_ne_u16_e32 vcc, s8, v38
	v_bfrev_b32_e32 v53, 1
	s_and_saveexec_b64 s[8:9], vcc
	s_cbranch_execz .LBB564_142
; %bb.139:
	s_movk_i32 s10, 0x7f
	v_and_b32_e32 v51, 0x7f, v38
	v_cmp_ne_u32_e32 vcc, s10, v51
	v_mov_b32_e32 v53, 0x7f800001
	s_and_saveexec_b64 s[10:11], vcc
	s_cbranch_execz .LBB564_141
; %bb.140:
	v_and_b32_e32 v53, 7, v38
	v_ffbh_u32_e32 v54, v53
	v_min_u32_e32 v57, 32, v54
	v_subrev_u32_e32 v54, 28, v57
	v_lshlrev_b64 v[54:55], v54, v[38:39]
	v_lshrrev_b32_e32 v56, 3, v51
	v_sub_u32_e32 v38, 29, v57
	v_and_b32_e32 v54, 7, v54
	v_cmp_gt_u32_e32 vcc, 8, v51
	v_cndmask_b32_e32 v38, v56, v38, vcc
	v_cndmask_b32_e32 v51, v53, v54, vcc
	v_lshlrev_b32_e32 v53, 16, v39
	v_bfrev_b32_e32 v54, 60
	v_lshlrev_b32_e32 v51, 20, v51
	v_and_b32_e32 v53, 0x80000000, v53
	v_lshl_add_u32 v38, v38, 23, v54
	v_or3_b32 v53, v53, v38, v51
.LBB564_141:
	s_or_b64 exec, exec, s[10:11]
.LBB564_142:
	s_or_b64 exec, exec, s[8:9]
.LBB564_143:
	s_or_b64 exec, exec, s[2:3]
	s_movk_i32 s2, 0xff
	v_and_b32_sdwa v51, v39, s2 dst_sel:DWORD dst_unused:UNUSED_PAD src0_sel:WORD_1 src1_sel:DWORD
	v_lshrrev_b32_e32 v38, 16, v39
	v_cmp_ne_u16_e32 vcc, 0, v51
	s_and_saveexec_b64 s[2:3], vcc
	s_cbranch_execz .LBB564_149
; %bb.144:
	s_movk_i32 s8, 0x80
	v_cmp_ne_u16_e32 vcc, s8, v51
	v_bfrev_b32_e32 v42, 1
	s_and_saveexec_b64 s[8:9], vcc
	s_cbranch_execz .LBB564_148
; %bb.145:
	v_bfe_u32 v51, v39, 16, 7
	s_movk_i32 s10, 0x7f
	v_cmp_ne_u32_e32 vcc, s10, v51
	v_mov_b32_e32 v42, 0x7f800001
	s_and_saveexec_b64 s[10:11], vcc
	s_cbranch_execz .LBB564_147
; %bb.146:
	v_and_b32_e32 v42, 7, v38
	v_ffbh_u32_e32 v54, v42
	v_min_u32_e32 v57, 32, v54
	v_subrev_u32_e32 v54, 28, v57
	v_lshlrev_b64 v[54:55], v54, v[38:39]
	v_lshrrev_b32_e32 v56, 3, v51
	v_sub_u32_e32 v38, 29, v57
	v_and_b32_e32 v54, 7, v54
	v_cmp_gt_u32_e32 vcc, 8, v51
	v_mov_b32_e32 v51, 24
	v_cndmask_b32_e32 v38, v56, v38, vcc
	v_cndmask_b32_e32 v42, v42, v54, vcc
	v_lshlrev_b32_sdwa v51, v51, v39 dst_sel:DWORD dst_unused:UNUSED_PAD src0_sel:DWORD src1_sel:WORD_1
	v_bfrev_b32_e32 v54, 60
	v_lshlrev_b32_e32 v42, 20, v42
	v_and_b32_e32 v51, 0x80000000, v51
	v_lshl_add_u32 v38, v38, 23, v54
	v_or3_b32 v42, v51, v38, v42
.LBB564_147:
	s_or_b64 exec, exec, s[10:11]
.LBB564_148:
	s_or_b64 exec, exec, s[8:9]
.LBB564_149:
	s_or_b64 exec, exec, s[2:3]
	s_mov_b32 s2, 0xffffff
	v_cmp_lt_u32_e32 vcc, s2, v39
	v_mov_b32_e32 v51, 0
	v_mov_b32_e32 v54, 0
	s_and_saveexec_b64 s[2:3], vcc
	s_cbranch_execz .LBB564_155
; %bb.150:
	v_lshrrev_b32_e32 v38, 24, v39
	s_movk_i32 s8, 0x80
	v_cmp_ne_u32_e32 vcc, s8, v38
	v_bfrev_b32_e32 v54, 1
	s_and_saveexec_b64 s[8:9], vcc
	s_cbranch_execz .LBB564_154
; %bb.151:
	v_bfe_u32 v39, v39, 24, 7
	s_movk_i32 s10, 0x7f
	v_cmp_ne_u32_e32 vcc, s10, v39
	v_mov_b32_e32 v54, 0x7f800001
	s_and_saveexec_b64 s[10:11], vcc
	s_cbranch_execz .LBB564_153
; %bb.152:
	v_and_b32_e32 v56, 7, v38
	v_ffbh_u32_e32 v54, v56
	v_min_u32_e32 v58, 32, v54
	v_subrev_u32_e32 v54, 28, v58
	v_lshlrev_b64 v[54:55], v54, v[38:39]
	v_lshrrev_b32_e32 v57, 3, v39
	v_sub_u32_e32 v55, 29, v58
	v_and_b32_e32 v54, 7, v54
	v_cmp_gt_u32_e32 vcc, 8, v39
	v_cndmask_b32_e32 v39, v57, v55, vcc
	v_cndmask_b32_e32 v54, v56, v54, vcc
	v_lshlrev_b32_e32 v38, 24, v38
	v_bfrev_b32_e32 v55, 60
	v_lshlrev_b32_e32 v54, 20, v54
	v_and_b32_e32 v38, 0x80000000, v38
	v_lshl_add_u32 v39, v39, 23, v55
	v_or3_b32 v54, v38, v39, v54
.LBB564_153:
	s_or_b64 exec, exec, s[10:11]
.LBB564_154:
	s_or_b64 exec, exec, s[8:9]
.LBB564_155:
	s_or_b64 exec, exec, s[2:3]
	v_cvt_pkrtz_f16_f32 v38, v50, v44
	v_cvt_pkrtz_f16_f32 v39, v43, v52
	v_cmp_ne_u16_sdwa s[8:9], v40, v51 src0_sel:BYTE_0 src1_sel:DWORD
	s_nop 0
	v_mfma_f32_16x16x16f16 v[56:59], v[38:39], v[26:27], 0
	v_cvt_pkrtz_f16_f32 v38, v45, v53
	v_cvt_pkrtz_f16_f32 v39, v42, v54
	s_nop 1
	v_mfma_f32_16x16x16f16 v[42:45], v[38:39], v[28:29], v[56:59]
	s_and_saveexec_b64 s[2:3], s[8:9]
	s_cbranch_execz .LBB564_161
; %bb.156:
	s_movk_i32 s8, 0x80
	v_cmp_ne_u16_sdwa s[10:11], v40, s8 src0_sel:BYTE_0 src1_sel:DWORD
	v_bfrev_b32_e32 v51, 1
	s_and_saveexec_b64 s[8:9], s[10:11]
	s_cbranch_execz .LBB564_160
; %bb.157:
	s_movk_i32 s10, 0x7f
	v_and_b32_e32 v38, 0x7f, v40
	v_cmp_ne_u32_e32 vcc, s10, v38
	v_mov_b32_e32 v51, 0x7f800001
	s_and_saveexec_b64 s[10:11], vcc
	s_cbranch_execz .LBB564_159
; %bb.158:
	v_and_b32_e32 v39, 7, v40
	v_ffbh_u32_e32 v50, v39
	v_min_u32_e32 v53, 32, v50
	v_subrev_u32_e32 v50, 28, v53
	v_lshlrev_b64 v[50:51], v50, v[40:41]
	v_lshrrev_b32_e32 v52, 3, v38
	v_sub_u32_e32 v51, 29, v53
	v_and_b32_e32 v50, 7, v50
	v_cmp_gt_u32_e32 vcc, 8, v38
	v_cndmask_b32_e32 v38, v52, v51, vcc
	v_cndmask_b32_e32 v39, v39, v50, vcc
	v_lshlrev_b32_e32 v50, 24, v40
	v_bfrev_b32_e32 v51, 60
	v_lshlrev_b32_e32 v39, 20, v39
	v_and_b32_e32 v50, 0x80000000, v50
	v_lshl_add_u32 v38, v38, 23, v51
	v_or3_b32 v51, v50, v38, v39
.LBB564_159:
	s_or_b64 exec, exec, s[10:11]
.LBB564_160:
	s_or_b64 exec, exec, s[8:9]
.LBB564_161:
	s_or_b64 exec, exec, s[2:3]
	v_lshrrev_b16_e32 v38, 8, v40
	v_cmp_ne_u16_e32 vcc, 0, v38
	v_mov_b32_e32 v39, 0
	v_mov_b32_e32 v52, 0
	s_and_saveexec_b64 s[2:3], vcc
	s_cbranch_execz .LBB564_167
; %bb.162:
	s_movk_i32 s8, 0x80
	v_cmp_ne_u16_e32 vcc, s8, v38
	v_bfrev_b32_e32 v52, 1
	s_and_saveexec_b64 s[8:9], vcc
	s_cbranch_execz .LBB564_166
; %bb.163:
	s_movk_i32 s10, 0x7f
	v_and_b32_e32 v50, 0x7f, v38
	v_cmp_ne_u32_e32 vcc, s10, v50
	v_mov_b32_e32 v52, 0x7f800001
	s_and_saveexec_b64 s[10:11], vcc
	s_cbranch_execz .LBB564_165
; %bb.164:
	v_and_b32_e32 v54, 7, v38
	v_ffbh_u32_e32 v52, v54
	v_min_u32_e32 v56, 32, v52
	v_subrev_u32_e32 v52, 28, v56
	v_lshlrev_b64 v[52:53], v52, v[38:39]
	v_lshrrev_b32_e32 v55, 3, v50
	v_sub_u32_e32 v38, 29, v56
	v_and_b32_e32 v52, 7, v52
	v_cmp_gt_u32_e32 vcc, 8, v50
	v_cndmask_b32_e32 v38, v55, v38, vcc
	v_cndmask_b32_e32 v50, v54, v52, vcc
	v_lshlrev_b32_e32 v52, 16, v40
	v_bfrev_b32_e32 v53, 60
	v_lshlrev_b32_e32 v50, 20, v50
	v_and_b32_e32 v52, 0x80000000, v52
	v_lshl_add_u32 v38, v38, 23, v53
	v_or3_b32 v52, v52, v38, v50
.LBB564_165:
	s_or_b64 exec, exec, s[10:11]
.LBB564_166:
	s_or_b64 exec, exec, s[8:9]
.LBB564_167:
	s_or_b64 exec, exec, s[2:3]
	s_movk_i32 s2, 0xff
	v_and_b32_sdwa v50, v40, s2 dst_sel:DWORD dst_unused:UNUSED_PAD src0_sel:WORD_1 src1_sel:DWORD
	v_lshrrev_b32_e32 v38, 16, v40
	v_cmp_ne_u16_e32 vcc, 0, v50
	s_and_saveexec_b64 s[2:3], vcc
	s_cbranch_execz .LBB564_173
; %bb.168:
	s_movk_i32 s8, 0x80
	v_cmp_ne_u16_e32 vcc, s8, v50
	v_bfrev_b32_e32 v39, 1
	s_and_saveexec_b64 s[8:9], vcc
	s_cbranch_execz .LBB564_172
; %bb.169:
	v_bfe_u32 v50, v40, 16, 7
	s_movk_i32 s10, 0x7f
	v_cmp_ne_u32_e32 vcc, s10, v50
	v_mov_b32_e32 v39, 0x7f800001
	s_and_saveexec_b64 s[10:11], vcc
	s_cbranch_execz .LBB564_171
; %bb.170:
	v_and_b32_e32 v53, 7, v38
	v_ffbh_u32_e32 v39, v53
	v_min_u32_e32 v55, 32, v39
	v_subrev_u32_e32 v39, 28, v55
	v_lshlrev_b64 v[38:39], v39, v[38:39]
	v_lshrrev_b32_e32 v54, 3, v50
	v_sub_u32_e32 v39, 29, v55
	v_and_b32_e32 v38, 7, v38
	v_cmp_gt_u32_e32 vcc, 8, v50
	v_mov_b32_e32 v50, 24
	v_cndmask_b32_e32 v39, v54, v39, vcc
	v_cndmask_b32_e32 v38, v53, v38, vcc
	v_lshlrev_b32_sdwa v50, v50, v40 dst_sel:DWORD dst_unused:UNUSED_PAD src0_sel:DWORD src1_sel:WORD_1
	v_bfrev_b32_e32 v53, 60
	v_lshlrev_b32_e32 v38, 20, v38
	v_and_b32_e32 v50, 0x80000000, v50
	v_lshl_add_u32 v39, v39, 23, v53
	v_or3_b32 v39, v50, v39, v38
.LBB564_171:
	s_or_b64 exec, exec, s[10:11]
.LBB564_172:
	s_or_b64 exec, exec, s[8:9]
.LBB564_173:
	s_or_b64 exec, exec, s[2:3]
	s_mov_b32 s2, 0xffffff
	v_cmp_lt_u32_e32 vcc, s2, v40
	v_mov_b32_e32 v53, 0
	v_mov_b32_e32 v54, 0
	s_and_saveexec_b64 s[2:3], vcc
	s_cbranch_execz .LBB564_179
; %bb.174:
	v_lshrrev_b32_e32 v38, 24, v40
	s_movk_i32 s8, 0x80
	v_cmp_ne_u32_e32 vcc, s8, v38
	v_bfrev_b32_e32 v54, 1
	s_and_saveexec_b64 s[8:9], vcc
	s_cbranch_execz .LBB564_178
; %bb.175:
	v_bfe_u32 v40, v40, 24, 7
	s_movk_i32 s10, 0x7f
	v_cmp_ne_u32_e32 vcc, s10, v40
	v_mov_b32_e32 v54, 0x7f800001
	s_and_saveexec_b64 s[10:11], vcc
	s_cbranch_execz .LBB564_177
; %bb.176:
	v_and_b32_e32 v50, 7, v38
	v_ffbh_u32_e32 v54, v50
	v_min_u32_e32 v57, 32, v54
	v_subrev_u32_e32 v54, 28, v57
	v_lshlrev_b64 v[54:55], v54, v[38:39]
	v_lshrrev_b32_e32 v56, 3, v40
	v_sub_u32_e32 v55, 29, v57
	v_and_b32_e32 v54, 7, v54
	v_cmp_gt_u32_e32 vcc, 8, v40
	v_cndmask_b32_e32 v40, v56, v55, vcc
	v_cndmask_b32_e32 v50, v50, v54, vcc
	v_lshlrev_b32_e32 v38, 24, v38
	v_bfrev_b32_e32 v54, 60
	v_lshlrev_b32_e32 v50, 20, v50
	v_and_b32_e32 v38, 0x80000000, v38
	v_lshl_add_u32 v40, v40, 23, v54
	v_or3_b32 v54, v38, v40, v50
.LBB564_177:
	s_or_b64 exec, exec, s[10:11]
.LBB564_178:
	s_or_b64 exec, exec, s[8:9]
.LBB564_179:
	s_or_b64 exec, exec, s[2:3]
	v_cmp_ne_u16_sdwa s[8:9], v41, v53 src0_sel:BYTE_0 src1_sel:DWORD
	s_and_saveexec_b64 s[2:3], s[8:9]
	s_cbranch_execz .LBB564_185
; %bb.180:
	s_movk_i32 s8, 0x80
	v_cmp_ne_u16_sdwa s[10:11], v41, s8 src0_sel:BYTE_0 src1_sel:DWORD
	v_bfrev_b32_e32 v53, 1
	s_and_saveexec_b64 s[8:9], s[10:11]
	s_cbranch_execz .LBB564_184
; %bb.181:
	s_movk_i32 s10, 0x7f
	v_and_b32_e32 v38, 0x7f, v41
	v_cmp_ne_u32_e32 vcc, s10, v38
	v_mov_b32_e32 v53, 0x7f800001
	s_and_saveexec_b64 s[10:11], vcc
	s_cbranch_execz .LBB564_183
; %bb.182:
	v_and_b32_e32 v50, 7, v41
	v_ffbh_u32_e32 v55, v50
	v_min_u32_e32 v55, 32, v55
	v_mov_b32_e32 v40, v41
	v_subrev_u32_e32 v56, 28, v55
	v_lshlrev_b64 v[56:57], v56, v[40:41]
	v_lshrrev_b32_e32 v53, 3, v38
	v_sub_u32_e32 v40, 29, v55
	v_and_b32_e32 v55, 7, v56
	v_cmp_gt_u32_e32 vcc, 8, v38
	v_cndmask_b32_e32 v38, v53, v40, vcc
	v_cndmask_b32_e32 v40, v50, v55, vcc
	v_lshlrev_b32_e32 v50, 24, v41
	v_bfrev_b32_e32 v53, 60
	v_lshlrev_b32_e32 v40, 20, v40
	v_and_b32_e32 v50, 0x80000000, v50
	v_lshl_add_u32 v38, v38, 23, v53
	v_or3_b32 v53, v50, v38, v40
.LBB564_183:
	s_or_b64 exec, exec, s[10:11]
.LBB564_184:
	s_or_b64 exec, exec, s[8:9]
.LBB564_185:
	s_or_b64 exec, exec, s[2:3]
	v_lshrrev_b16_e32 v38, 8, v41
	v_cmp_ne_u16_e32 vcc, 0, v38
	v_mov_b32_e32 v40, 0
	v_mov_b32_e32 v55, 0
	s_and_saveexec_b64 s[2:3], vcc
	s_cbranch_execz .LBB564_191
; %bb.186:
	s_movk_i32 s8, 0x80
	v_cmp_ne_u16_e32 vcc, s8, v38
	v_bfrev_b32_e32 v55, 1
	s_and_saveexec_b64 s[8:9], vcc
	s_cbranch_execz .LBB564_190
; %bb.187:
	s_movk_i32 s10, 0x7f
	v_and_b32_e32 v50, 0x7f, v38
	v_cmp_ne_u32_e32 vcc, s10, v50
	v_mov_b32_e32 v55, 0x7f800001
	s_and_saveexec_b64 s[10:11], vcc
	s_cbranch_execz .LBB564_189
; %bb.188:
	v_and_b32_e32 v55, 7, v38
	v_ffbh_u32_e32 v56, v55
	v_min_u32_e32 v59, 32, v56
	v_subrev_u32_e32 v56, 28, v59
	v_lshlrev_b64 v[56:57], v56, v[38:39]
	v_lshrrev_b32_e32 v58, 3, v50
	v_sub_u32_e32 v38, 29, v59
	v_and_b32_e32 v56, 7, v56
	v_cmp_gt_u32_e32 vcc, 8, v50
	v_cndmask_b32_e32 v38, v58, v38, vcc
	v_cndmask_b32_e32 v50, v55, v56, vcc
	v_lshlrev_b32_e32 v55, 16, v41
	v_bfrev_b32_e32 v56, 60
	v_lshlrev_b32_e32 v50, 20, v50
	v_and_b32_e32 v55, 0x80000000, v55
	v_lshl_add_u32 v38, v38, 23, v56
	v_or3_b32 v55, v55, v38, v50
.LBB564_189:
	s_or_b64 exec, exec, s[10:11]
.LBB564_190:
	s_or_b64 exec, exec, s[8:9]
.LBB564_191:
	s_or_b64 exec, exec, s[2:3]
	s_movk_i32 s2, 0xff
	v_and_b32_sdwa v50, v41, s2 dst_sel:DWORD dst_unused:UNUSED_PAD src0_sel:WORD_1 src1_sel:DWORD
	v_lshrrev_b32_e32 v38, 16, v41
	v_cmp_ne_u16_e32 vcc, 0, v50
	s_and_saveexec_b64 s[2:3], vcc
	s_cbranch_execz .LBB564_197
; %bb.192:
	s_movk_i32 s8, 0x80
	v_cmp_ne_u16_e32 vcc, s8, v50
	v_bfrev_b32_e32 v40, 1
	s_and_saveexec_b64 s[8:9], vcc
	s_cbranch_execz .LBB564_196
; %bb.193:
	v_bfe_u32 v50, v41, 16, 7
	s_movk_i32 s10, 0x7f
	v_cmp_ne_u32_e32 vcc, s10, v50
	v_mov_b32_e32 v40, 0x7f800001
	s_and_saveexec_b64 s[10:11], vcc
	s_cbranch_execz .LBB564_195
; %bb.194:
	v_and_b32_e32 v40, 7, v38
	v_ffbh_u32_e32 v56, v40
	v_min_u32_e32 v59, 32, v56
	v_subrev_u32_e32 v56, 28, v59
	v_lshlrev_b64 v[56:57], v56, v[38:39]
	v_lshrrev_b32_e32 v58, 3, v50
	v_sub_u32_e32 v38, 29, v59
	v_and_b32_e32 v56, 7, v56
	v_cmp_gt_u32_e32 vcc, 8, v50
	v_mov_b32_e32 v50, 24
	v_cndmask_b32_e32 v38, v58, v38, vcc
	v_cndmask_b32_e32 v40, v40, v56, vcc
	v_lshlrev_b32_sdwa v50, v50, v41 dst_sel:DWORD dst_unused:UNUSED_PAD src0_sel:DWORD src1_sel:WORD_1
	v_bfrev_b32_e32 v56, 60
	v_lshlrev_b32_e32 v40, 20, v40
	v_and_b32_e32 v50, 0x80000000, v50
	v_lshl_add_u32 v38, v38, 23, v56
	v_or3_b32 v40, v50, v38, v40
.LBB564_195:
	s_or_b64 exec, exec, s[10:11]
.LBB564_196:
	s_or_b64 exec, exec, s[8:9]
.LBB564_197:
	s_or_b64 exec, exec, s[2:3]
	s_mov_b32 s2, 0xffffff
	v_cmp_lt_u32_e32 vcc, s2, v41
	v_mov_b32_e32 v50, 0
	v_mov_b32_e32 v56, 0
	s_and_saveexec_b64 s[2:3], vcc
	s_cbranch_execz .LBB564_203
; %bb.198:
	v_lshrrev_b32_e32 v38, 24, v41
	s_movk_i32 s8, 0x80
	v_cmp_ne_u32_e32 vcc, s8, v38
	v_bfrev_b32_e32 v56, 1
	s_and_saveexec_b64 s[8:9], vcc
	s_cbranch_execz .LBB564_202
; %bb.199:
	v_bfe_u32 v41, v41, 24, 7
	s_movk_i32 s10, 0x7f
	v_cmp_ne_u32_e32 vcc, s10, v41
	v_mov_b32_e32 v56, 0x7f800001
	s_and_saveexec_b64 s[10:11], vcc
	s_cbranch_execz .LBB564_201
; %bb.200:
	v_and_b32_e32 v58, 7, v38
	v_ffbh_u32_e32 v56, v58
	v_min_u32_e32 v60, 32, v56
	v_subrev_u32_e32 v56, 28, v60
	v_lshlrev_b64 v[56:57], v56, v[38:39]
	v_lshrrev_b32_e32 v59, 3, v41
	v_sub_u32_e32 v57, 29, v60
	v_and_b32_e32 v56, 7, v56
	v_cmp_gt_u32_e32 vcc, 8, v41
	v_cndmask_b32_e32 v41, v59, v57, vcc
	v_cndmask_b32_e32 v56, v58, v56, vcc
	v_lshlrev_b32_e32 v38, 24, v38
	v_bfrev_b32_e32 v57, 60
	v_lshlrev_b32_e32 v56, 20, v56
	v_and_b32_e32 v38, 0x80000000, v38
	v_lshl_add_u32 v41, v41, 23, v57
	v_or3_b32 v56, v38, v41, v56
.LBB564_201:
	s_or_b64 exec, exec, s[10:11]
.LBB564_202:
	s_or_b64 exec, exec, s[8:9]
.LBB564_203:
	s_or_b64 exec, exec, s[2:3]
	v_cvt_pkrtz_f16_f32 v38, v51, v52
	v_cvt_pkrtz_f16_f32 v39, v39, v54
	s_waitcnt vmcnt(5)
	v_cmp_ne_u16_sdwa s[8:9], v34, v50 src0_sel:BYTE_0 src1_sel:DWORD
	v_mfma_f32_16x16x16f16 v[42:45], v[38:39], v[18:19], v[42:45]
	v_cvt_pkrtz_f16_f32 v38, v53, v55
	v_cvt_pkrtz_f16_f32 v39, v40, v56
	s_nop 1
	v_mfma_f32_16x16x16f16 v[38:41], v[38:39], v[20:21], v[42:45]
	s_and_saveexec_b64 s[2:3], s[8:9]
	s_cbranch_execz .LBB564_209
; %bb.204:
	s_movk_i32 s8, 0x80
	v_cmp_ne_u16_sdwa s[10:11], v34, s8 src0_sel:BYTE_0 src1_sel:DWORD
	v_bfrev_b32_e32 v50, 1
	s_and_saveexec_b64 s[8:9], s[10:11]
	s_cbranch_execz .LBB564_208
; %bb.205:
	s_movk_i32 s10, 0x7f
	v_and_b32_e32 v42, 0x7f, v34
	v_cmp_ne_u32_e32 vcc, s10, v42
	v_mov_b32_e32 v50, 0x7f800001
	s_and_saveexec_b64 s[10:11], vcc
	s_cbranch_execz .LBB564_207
; %bb.206:
	v_and_b32_e32 v43, 7, v34
	v_ffbh_u32_e32 v44, v43
	v_min_u32_e32 v51, 32, v44
	v_subrev_u32_e32 v44, 28, v51
	v_lshlrev_b64 v[44:45], v44, v[34:35]
	v_lshrrev_b32_e32 v50, 3, v42
	v_sub_u32_e32 v45, 29, v51
	v_and_b32_e32 v44, 7, v44
	v_cmp_gt_u32_e32 vcc, 8, v42
	v_cndmask_b32_e32 v42, v50, v45, vcc
	v_cndmask_b32_e32 v43, v43, v44, vcc
	v_lshlrev_b32_e32 v44, 24, v34
	v_bfrev_b32_e32 v45, 60
	v_lshlrev_b32_e32 v43, 20, v43
	v_and_b32_e32 v44, 0x80000000, v44
	v_lshl_add_u32 v42, v42, 23, v45
	v_or3_b32 v50, v44, v42, v43
.LBB564_207:
	s_or_b64 exec, exec, s[10:11]
.LBB564_208:
	s_or_b64 exec, exec, s[8:9]
.LBB564_209:
	s_or_b64 exec, exec, s[2:3]
	s_nop 3
	v_lshrrev_b16_e32 v42, 8, v34
	v_cmp_ne_u16_e32 vcc, 0, v42
	v_mov_b32_e32 v43, 0
	v_mov_b32_e32 v44, 0
	s_and_saveexec_b64 s[2:3], vcc
	s_cbranch_execz .LBB564_215
; %bb.210:
	s_movk_i32 s8, 0x80
	v_cmp_ne_u16_e32 vcc, s8, v42
	v_bfrev_b32_e32 v44, 1
	s_and_saveexec_b64 s[8:9], vcc
	s_cbranch_execz .LBB564_214
; %bb.211:
	s_movk_i32 s10, 0x7f
	v_and_b32_e32 v45, 0x7f, v42
	v_cmp_ne_u32_e32 vcc, s10, v45
	v_mov_b32_e32 v44, 0x7f800001
	s_and_saveexec_b64 s[10:11], vcc
	s_cbranch_execz .LBB564_213
; %bb.212:
	v_and_b32_e32 v44, 7, v42
	v_ffbh_u32_e32 v52, v44
	v_min_u32_e32 v54, 32, v52
	v_subrev_u32_e32 v52, 28, v54
	v_lshlrev_b64 v[52:53], v52, v[42:43]
	v_lshrrev_b32_e32 v51, 3, v45
	v_sub_u32_e32 v42, 29, v54
	v_and_b32_e32 v52, 7, v52
	v_cmp_gt_u32_e32 vcc, 8, v45
	v_cndmask_b32_e32 v42, v51, v42, vcc
	v_cndmask_b32_e32 v44, v44, v52, vcc
	v_lshlrev_b32_e32 v45, 16, v34
	v_bfrev_b32_e32 v51, 60
	v_lshlrev_b32_e32 v44, 20, v44
	v_and_b32_e32 v45, 0x80000000, v45
	v_lshl_add_u32 v42, v42, 23, v51
	v_or3_b32 v44, v45, v42, v44
.LBB564_213:
	s_or_b64 exec, exec, s[10:11]
.LBB564_214:
	s_or_b64 exec, exec, s[8:9]
.LBB564_215:
	s_or_b64 exec, exec, s[2:3]
	s_movk_i32 s2, 0xff
	v_and_b32_sdwa v45, v34, s2 dst_sel:DWORD dst_unused:UNUSED_PAD src0_sel:WORD_1 src1_sel:DWORD
	v_lshrrev_b32_e32 v42, 16, v34
	v_cmp_ne_u16_e32 vcc, 0, v45
	s_and_saveexec_b64 s[2:3], vcc
	s_cbranch_execz .LBB564_221
; %bb.216:
	s_movk_i32 s8, 0x80
	v_cmp_ne_u16_e32 vcc, s8, v45
	v_bfrev_b32_e32 v43, 1
	s_and_saveexec_b64 s[8:9], vcc
	s_cbranch_execz .LBB564_220
; %bb.217:
	v_bfe_u32 v45, v34, 16, 7
	s_movk_i32 s10, 0x7f
	v_cmp_ne_u32_e32 vcc, s10, v45
	v_mov_b32_e32 v43, 0x7f800001
	s_and_saveexec_b64 s[10:11], vcc
	s_cbranch_execz .LBB564_219
; %bb.218:
	v_and_b32_e32 v51, 7, v42
	v_ffbh_u32_e32 v43, v51
	v_min_u32_e32 v53, 32, v43
	v_subrev_u32_e32 v43, 28, v53
	v_lshlrev_b64 v[42:43], v43, v[42:43]
	v_lshrrev_b32_e32 v52, 3, v45
	v_sub_u32_e32 v43, 29, v53
	v_and_b32_e32 v42, 7, v42
	v_cmp_gt_u32_e32 vcc, 8, v45
	v_mov_b32_e32 v45, 24
	v_cndmask_b32_e32 v43, v52, v43, vcc
	v_cndmask_b32_e32 v42, v51, v42, vcc
	v_lshlrev_b32_sdwa v45, v45, v34 dst_sel:DWORD dst_unused:UNUSED_PAD src0_sel:DWORD src1_sel:WORD_1
	v_bfrev_b32_e32 v51, 60
	v_lshlrev_b32_e32 v42, 20, v42
	v_and_b32_e32 v45, 0x80000000, v45
	v_lshl_add_u32 v43, v43, 23, v51
	v_or3_b32 v43, v45, v43, v42
.LBB564_219:
	s_or_b64 exec, exec, s[10:11]
.LBB564_220:
	s_or_b64 exec, exec, s[8:9]
.LBB564_221:
	s_or_b64 exec, exec, s[2:3]
	s_mov_b32 s2, 0xffffff
	v_cmp_lt_u32_e32 vcc, s2, v34
	v_mov_b32_e32 v45, 0
	v_mov_b32_e32 v52, 0
	s_and_saveexec_b64 s[2:3], vcc
	s_cbranch_execz .LBB564_227
; %bb.222:
	v_lshrrev_b32_e32 v42, 24, v34
	s_movk_i32 s8, 0x80
	v_cmp_ne_u32_e32 vcc, s8, v42
	v_bfrev_b32_e32 v52, 1
	s_and_saveexec_b64 s[8:9], vcc
	s_cbranch_execz .LBB564_226
; %bb.223:
	v_bfe_u32 v34, v34, 24, 7
	s_movk_i32 s10, 0x7f
	v_cmp_ne_u32_e32 vcc, s10, v34
	v_mov_b32_e32 v52, 0x7f800001
	s_and_saveexec_b64 s[10:11], vcc
	s_cbranch_execz .LBB564_225
; %bb.224:
	v_and_b32_e32 v51, 7, v42
	v_ffbh_u32_e32 v52, v51
	v_min_u32_e32 v55, 32, v52
	v_subrev_u32_e32 v52, 28, v55
	v_lshlrev_b64 v[52:53], v52, v[42:43]
	v_lshrrev_b32_e32 v54, 3, v34
	v_sub_u32_e32 v53, 29, v55
	v_and_b32_e32 v52, 7, v52
	v_cmp_gt_u32_e32 vcc, 8, v34
	v_cndmask_b32_e32 v34, v54, v53, vcc
	v_cndmask_b32_e32 v51, v51, v52, vcc
	v_lshlrev_b32_e32 v42, 24, v42
	v_bfrev_b32_e32 v52, 60
	v_lshlrev_b32_e32 v51, 20, v51
	v_and_b32_e32 v42, 0x80000000, v42
	v_lshl_add_u32 v34, v34, 23, v52
	v_or3_b32 v52, v42, v34, v51
.LBB564_225:
	s_or_b64 exec, exec, s[10:11]
.LBB564_226:
	s_or_b64 exec, exec, s[8:9]
.LBB564_227:
	s_or_b64 exec, exec, s[2:3]
	v_cmp_ne_u16_sdwa s[8:9], v35, v45 src0_sel:BYTE_0 src1_sel:DWORD
	s_and_saveexec_b64 s[2:3], s[8:9]
	s_cbranch_execz .LBB564_233
; %bb.228:
	s_movk_i32 s8, 0x80
	v_cmp_ne_u16_sdwa s[10:11], v35, s8 src0_sel:BYTE_0 src1_sel:DWORD
	v_bfrev_b32_e32 v45, 1
	s_and_saveexec_b64 s[8:9], s[10:11]
	s_cbranch_execz .LBB564_232
; %bb.229:
	s_movk_i32 s10, 0x7f
	v_and_b32_e32 v34, 0x7f, v35
	v_cmp_ne_u32_e32 vcc, s10, v34
	v_mov_b32_e32 v45, 0x7f800001
	s_and_saveexec_b64 s[10:11], vcc
	s_cbranch_execz .LBB564_231
; %bb.230:
	v_and_b32_e32 v45, 7, v35
	v_ffbh_u32_e32 v53, v45
	v_min_u32_e32 v53, 32, v53
	v_mov_b32_e32 v42, v35
	v_subrev_u32_e32 v54, 28, v53
	v_lshlrev_b64 v[54:55], v54, v[42:43]
	v_lshrrev_b32_e32 v51, 3, v34
	v_sub_u32_e32 v42, 29, v53
	v_and_b32_e32 v53, 7, v54
	v_cmp_gt_u32_e32 vcc, 8, v34
	v_cndmask_b32_e32 v34, v51, v42, vcc
	v_cndmask_b32_e32 v42, v45, v53, vcc
	v_lshlrev_b32_e32 v45, 24, v35
	v_bfrev_b32_e32 v51, 60
	v_lshlrev_b32_e32 v42, 20, v42
	v_and_b32_e32 v45, 0x80000000, v45
	v_lshl_add_u32 v34, v34, 23, v51
	v_or3_b32 v45, v45, v34, v42
.LBB564_231:
	s_or_b64 exec, exec, s[10:11]
.LBB564_232:
	s_or_b64 exec, exec, s[8:9]
.LBB564_233:
	s_or_b64 exec, exec, s[2:3]
	v_lshrrev_b16_e32 v34, 8, v35
	v_cmp_ne_u16_e32 vcc, 0, v34
	v_mov_b32_e32 v42, 0
	v_mov_b32_e32 v53, 0
	s_and_saveexec_b64 s[2:3], vcc
	s_cbranch_execz .LBB564_239
; %bb.234:
	s_movk_i32 s8, 0x80
	v_cmp_ne_u16_e32 vcc, s8, v34
	v_bfrev_b32_e32 v53, 1
	s_and_saveexec_b64 s[8:9], vcc
	s_cbranch_execz .LBB564_238
; %bb.235:
	s_movk_i32 s10, 0x7f
	v_and_b32_e32 v51, 0x7f, v34
	v_cmp_ne_u32_e32 vcc, s10, v51
	v_mov_b32_e32 v53, 0x7f800001
	s_and_saveexec_b64 s[10:11], vcc
	s_cbranch_execz .LBB564_237
; %bb.236:
	v_and_b32_e32 v53, 7, v34
	v_ffbh_u32_e32 v54, v53
	v_min_u32_e32 v57, 32, v54
	v_subrev_u32_e32 v54, 28, v57
	v_lshlrev_b64 v[54:55], v54, v[34:35]
	v_lshrrev_b32_e32 v56, 3, v51
	v_sub_u32_e32 v34, 29, v57
	v_and_b32_e32 v54, 7, v54
	v_cmp_gt_u32_e32 vcc, 8, v51
	v_cndmask_b32_e32 v34, v56, v34, vcc
	v_cndmask_b32_e32 v51, v53, v54, vcc
	v_lshlrev_b32_e32 v53, 16, v35
	v_bfrev_b32_e32 v54, 60
	v_lshlrev_b32_e32 v51, 20, v51
	v_and_b32_e32 v53, 0x80000000, v53
	v_lshl_add_u32 v34, v34, 23, v54
	v_or3_b32 v53, v53, v34, v51
.LBB564_237:
	s_or_b64 exec, exec, s[10:11]
.LBB564_238:
	s_or_b64 exec, exec, s[8:9]
.LBB564_239:
	s_or_b64 exec, exec, s[2:3]
	s_movk_i32 s2, 0xff
	v_and_b32_sdwa v51, v35, s2 dst_sel:DWORD dst_unused:UNUSED_PAD src0_sel:WORD_1 src1_sel:DWORD
	v_lshrrev_b32_e32 v34, 16, v35
	v_cmp_ne_u16_e32 vcc, 0, v51
	s_and_saveexec_b64 s[2:3], vcc
	s_cbranch_execz .LBB564_245
; %bb.240:
	s_movk_i32 s8, 0x80
	v_cmp_ne_u16_e32 vcc, s8, v51
	v_bfrev_b32_e32 v42, 1
	s_and_saveexec_b64 s[8:9], vcc
	s_cbranch_execz .LBB564_244
; %bb.241:
	v_bfe_u32 v51, v35, 16, 7
	s_movk_i32 s10, 0x7f
	v_cmp_ne_u32_e32 vcc, s10, v51
	v_mov_b32_e32 v42, 0x7f800001
	s_and_saveexec_b64 s[10:11], vcc
	s_cbranch_execz .LBB564_243
; %bb.242:
	v_and_b32_e32 v42, 7, v34
	v_ffbh_u32_e32 v54, v42
	v_min_u32_e32 v57, 32, v54
	v_subrev_u32_e32 v54, 28, v57
	v_lshlrev_b64 v[54:55], v54, v[34:35]
	v_lshrrev_b32_e32 v56, 3, v51
	v_sub_u32_e32 v34, 29, v57
	v_and_b32_e32 v54, 7, v54
	v_cmp_gt_u32_e32 vcc, 8, v51
	v_mov_b32_e32 v51, 24
	v_cndmask_b32_e32 v34, v56, v34, vcc
	v_cndmask_b32_e32 v42, v42, v54, vcc
	v_lshlrev_b32_sdwa v51, v51, v35 dst_sel:DWORD dst_unused:UNUSED_PAD src0_sel:DWORD src1_sel:WORD_1
	v_bfrev_b32_e32 v54, 60
	v_lshlrev_b32_e32 v42, 20, v42
	v_and_b32_e32 v51, 0x80000000, v51
	v_lshl_add_u32 v34, v34, 23, v54
	v_or3_b32 v42, v51, v34, v42
.LBB564_243:
	s_or_b64 exec, exec, s[10:11]
.LBB564_244:
	s_or_b64 exec, exec, s[8:9]
.LBB564_245:
	s_or_b64 exec, exec, s[2:3]
	s_mov_b32 s2, 0xffffff
	v_cmp_lt_u32_e32 vcc, s2, v35
	v_mov_b32_e32 v51, 0
	v_mov_b32_e32 v54, 0
	s_and_saveexec_b64 s[2:3], vcc
	s_cbranch_execz .LBB564_251
; %bb.246:
	v_lshrrev_b32_e32 v34, 24, v35
	s_movk_i32 s8, 0x80
	v_cmp_ne_u32_e32 vcc, s8, v34
	v_bfrev_b32_e32 v54, 1
	s_and_saveexec_b64 s[8:9], vcc
	s_cbranch_execz .LBB564_250
; %bb.247:
	v_bfe_u32 v35, v35, 24, 7
	s_movk_i32 s10, 0x7f
	v_cmp_ne_u32_e32 vcc, s10, v35
	v_mov_b32_e32 v54, 0x7f800001
	s_and_saveexec_b64 s[10:11], vcc
	s_cbranch_execz .LBB564_249
; %bb.248:
	v_and_b32_e32 v56, 7, v34
	v_ffbh_u32_e32 v54, v56
	v_min_u32_e32 v58, 32, v54
	v_subrev_u32_e32 v54, 28, v58
	v_lshlrev_b64 v[54:55], v54, v[34:35]
	v_lshrrev_b32_e32 v57, 3, v35
	v_sub_u32_e32 v55, 29, v58
	v_and_b32_e32 v54, 7, v54
	v_cmp_gt_u32_e32 vcc, 8, v35
	v_cndmask_b32_e32 v35, v57, v55, vcc
	v_cndmask_b32_e32 v54, v56, v54, vcc
	v_lshlrev_b32_e32 v34, 24, v34
	v_bfrev_b32_e32 v55, 60
	v_lshlrev_b32_e32 v54, 20, v54
	v_and_b32_e32 v34, 0x80000000, v34
	v_lshl_add_u32 v35, v35, 23, v55
	v_or3_b32 v54, v34, v35, v54
.LBB564_249:
	s_or_b64 exec, exec, s[10:11]
.LBB564_250:
	s_or_b64 exec, exec, s[8:9]
.LBB564_251:
	s_or_b64 exec, exec, s[2:3]
	v_cvt_pkrtz_f16_f32 v34, v50, v44
	v_cvt_pkrtz_f16_f32 v35, v43, v52
	v_cmp_ne_u16_sdwa s[8:9], v36, v51 src0_sel:BYTE_0 src1_sel:DWORD
	s_nop 0
	v_mfma_f32_16x16x16f16 v[56:59], v[34:35], v[26:27], 0
	v_cvt_pkrtz_f16_f32 v34, v45, v53
	v_cvt_pkrtz_f16_f32 v35, v42, v54
	s_nop 1
	v_mfma_f32_16x16x16f16 v[42:45], v[34:35], v[28:29], v[56:59]
	s_and_saveexec_b64 s[2:3], s[8:9]
	s_cbranch_execz .LBB564_257
; %bb.252:
	s_movk_i32 s8, 0x80
	v_cmp_ne_u16_sdwa s[10:11], v36, s8 src0_sel:BYTE_0 src1_sel:DWORD
	v_bfrev_b32_e32 v51, 1
	s_and_saveexec_b64 s[8:9], s[10:11]
	s_cbranch_execz .LBB564_256
; %bb.253:
	s_movk_i32 s10, 0x7f
	v_and_b32_e32 v34, 0x7f, v36
	v_cmp_ne_u32_e32 vcc, s10, v34
	v_mov_b32_e32 v51, 0x7f800001
	s_and_saveexec_b64 s[10:11], vcc
	s_cbranch_execz .LBB564_255
; %bb.254:
	v_and_b32_e32 v35, 7, v36
	v_ffbh_u32_e32 v50, v35
	v_min_u32_e32 v53, 32, v50
	v_subrev_u32_e32 v50, 28, v53
	v_lshlrev_b64 v[50:51], v50, v[36:37]
	v_lshrrev_b32_e32 v52, 3, v34
	v_sub_u32_e32 v51, 29, v53
	v_and_b32_e32 v50, 7, v50
	v_cmp_gt_u32_e32 vcc, 8, v34
	v_cndmask_b32_e32 v34, v52, v51, vcc
	v_cndmask_b32_e32 v35, v35, v50, vcc
	v_lshlrev_b32_e32 v50, 24, v36
	v_bfrev_b32_e32 v51, 60
	v_lshlrev_b32_e32 v35, 20, v35
	v_and_b32_e32 v50, 0x80000000, v50
	v_lshl_add_u32 v34, v34, 23, v51
	v_or3_b32 v51, v50, v34, v35
.LBB564_255:
	s_or_b64 exec, exec, s[10:11]
.LBB564_256:
	s_or_b64 exec, exec, s[8:9]
.LBB564_257:
	s_or_b64 exec, exec, s[2:3]
	v_lshrrev_b16_e32 v34, 8, v36
	v_cmp_ne_u16_e32 vcc, 0, v34
	v_mov_b32_e32 v35, 0
	v_mov_b32_e32 v52, 0
	s_and_saveexec_b64 s[2:3], vcc
	s_cbranch_execz .LBB564_263
; %bb.258:
	s_movk_i32 s8, 0x80
	v_cmp_ne_u16_e32 vcc, s8, v34
	v_bfrev_b32_e32 v52, 1
	s_and_saveexec_b64 s[8:9], vcc
	s_cbranch_execz .LBB564_262
; %bb.259:
	s_movk_i32 s10, 0x7f
	v_and_b32_e32 v50, 0x7f, v34
	v_cmp_ne_u32_e32 vcc, s10, v50
	v_mov_b32_e32 v52, 0x7f800001
	s_and_saveexec_b64 s[10:11], vcc
	s_cbranch_execz .LBB564_261
; %bb.260:
	v_and_b32_e32 v54, 7, v34
	v_ffbh_u32_e32 v52, v54
	v_min_u32_e32 v56, 32, v52
	v_subrev_u32_e32 v52, 28, v56
	v_lshlrev_b64 v[52:53], v52, v[34:35]
	v_lshrrev_b32_e32 v55, 3, v50
	v_sub_u32_e32 v34, 29, v56
	v_and_b32_e32 v52, 7, v52
	v_cmp_gt_u32_e32 vcc, 8, v50
	v_cndmask_b32_e32 v34, v55, v34, vcc
	v_cndmask_b32_e32 v50, v54, v52, vcc
	v_lshlrev_b32_e32 v52, 16, v36
	v_bfrev_b32_e32 v53, 60
	v_lshlrev_b32_e32 v50, 20, v50
	v_and_b32_e32 v52, 0x80000000, v52
	v_lshl_add_u32 v34, v34, 23, v53
	v_or3_b32 v52, v52, v34, v50
.LBB564_261:
	s_or_b64 exec, exec, s[10:11]
.LBB564_262:
	s_or_b64 exec, exec, s[8:9]
.LBB564_263:
	s_or_b64 exec, exec, s[2:3]
	s_movk_i32 s2, 0xff
	v_and_b32_sdwa v50, v36, s2 dst_sel:DWORD dst_unused:UNUSED_PAD src0_sel:WORD_1 src1_sel:DWORD
	v_lshrrev_b32_e32 v34, 16, v36
	v_cmp_ne_u16_e32 vcc, 0, v50
	s_and_saveexec_b64 s[2:3], vcc
	s_cbranch_execz .LBB564_269
; %bb.264:
	s_movk_i32 s8, 0x80
	v_cmp_ne_u16_e32 vcc, s8, v50
	v_bfrev_b32_e32 v35, 1
	s_and_saveexec_b64 s[8:9], vcc
	s_cbranch_execz .LBB564_268
; %bb.265:
	v_bfe_u32 v50, v36, 16, 7
	s_movk_i32 s10, 0x7f
	v_cmp_ne_u32_e32 vcc, s10, v50
	v_mov_b32_e32 v35, 0x7f800001
	s_and_saveexec_b64 s[10:11], vcc
	s_cbranch_execz .LBB564_267
; %bb.266:
	v_and_b32_e32 v53, 7, v34
	v_ffbh_u32_e32 v35, v53
	v_min_u32_e32 v55, 32, v35
	v_subrev_u32_e32 v35, 28, v55
	v_lshlrev_b64 v[34:35], v35, v[34:35]
	v_lshrrev_b32_e32 v54, 3, v50
	v_sub_u32_e32 v35, 29, v55
	v_and_b32_e32 v34, 7, v34
	v_cmp_gt_u32_e32 vcc, 8, v50
	v_mov_b32_e32 v50, 24
	v_cndmask_b32_e32 v35, v54, v35, vcc
	v_cndmask_b32_e32 v34, v53, v34, vcc
	v_lshlrev_b32_sdwa v50, v50, v36 dst_sel:DWORD dst_unused:UNUSED_PAD src0_sel:DWORD src1_sel:WORD_1
	v_bfrev_b32_e32 v53, 60
	v_lshlrev_b32_e32 v34, 20, v34
	v_and_b32_e32 v50, 0x80000000, v50
	v_lshl_add_u32 v35, v35, 23, v53
	v_or3_b32 v35, v50, v35, v34
.LBB564_267:
	s_or_b64 exec, exec, s[10:11]
.LBB564_268:
	s_or_b64 exec, exec, s[8:9]
.LBB564_269:
	s_or_b64 exec, exec, s[2:3]
	s_mov_b32 s2, 0xffffff
	v_cmp_lt_u32_e32 vcc, s2, v36
	v_mov_b32_e32 v53, 0
	v_mov_b32_e32 v54, 0
	s_and_saveexec_b64 s[2:3], vcc
	s_cbranch_execz .LBB564_275
; %bb.270:
	v_lshrrev_b32_e32 v34, 24, v36
	s_movk_i32 s8, 0x80
	v_cmp_ne_u32_e32 vcc, s8, v34
	v_bfrev_b32_e32 v54, 1
	s_and_saveexec_b64 s[8:9], vcc
	s_cbranch_execz .LBB564_274
; %bb.271:
	v_bfe_u32 v36, v36, 24, 7
	s_movk_i32 s10, 0x7f
	v_cmp_ne_u32_e32 vcc, s10, v36
	v_mov_b32_e32 v54, 0x7f800001
	s_and_saveexec_b64 s[10:11], vcc
	s_cbranch_execz .LBB564_273
; %bb.272:
	v_and_b32_e32 v50, 7, v34
	v_ffbh_u32_e32 v54, v50
	v_min_u32_e32 v57, 32, v54
	v_subrev_u32_e32 v54, 28, v57
	v_lshlrev_b64 v[54:55], v54, v[34:35]
	v_lshrrev_b32_e32 v56, 3, v36
	v_sub_u32_e32 v55, 29, v57
	v_and_b32_e32 v54, 7, v54
	v_cmp_gt_u32_e32 vcc, 8, v36
	v_cndmask_b32_e32 v36, v56, v55, vcc
	v_cndmask_b32_e32 v50, v50, v54, vcc
	v_lshlrev_b32_e32 v34, 24, v34
	v_bfrev_b32_e32 v54, 60
	v_lshlrev_b32_e32 v50, 20, v50
	v_and_b32_e32 v34, 0x80000000, v34
	v_lshl_add_u32 v36, v36, 23, v54
	v_or3_b32 v54, v34, v36, v50
.LBB564_273:
	s_or_b64 exec, exec, s[10:11]
.LBB564_274:
	s_or_b64 exec, exec, s[8:9]
.LBB564_275:
	s_or_b64 exec, exec, s[2:3]
	v_cmp_ne_u16_sdwa s[8:9], v37, v53 src0_sel:BYTE_0 src1_sel:DWORD
	s_and_saveexec_b64 s[2:3], s[8:9]
	s_cbranch_execz .LBB564_281
; %bb.276:
	s_movk_i32 s8, 0x80
	v_cmp_ne_u16_sdwa s[10:11], v37, s8 src0_sel:BYTE_0 src1_sel:DWORD
	v_bfrev_b32_e32 v53, 1
	s_and_saveexec_b64 s[8:9], s[10:11]
	s_cbranch_execz .LBB564_280
; %bb.277:
	s_movk_i32 s10, 0x7f
	v_and_b32_e32 v34, 0x7f, v37
	v_cmp_ne_u32_e32 vcc, s10, v34
	v_mov_b32_e32 v53, 0x7f800001
	s_and_saveexec_b64 s[10:11], vcc
	s_cbranch_execz .LBB564_279
; %bb.278:
	v_and_b32_e32 v50, 7, v37
	v_ffbh_u32_e32 v55, v50
	v_min_u32_e32 v55, 32, v55
	v_mov_b32_e32 v36, v37
	v_subrev_u32_e32 v56, 28, v55
	v_lshlrev_b64 v[56:57], v56, v[36:37]
	v_lshrrev_b32_e32 v53, 3, v34
	v_sub_u32_e32 v36, 29, v55
	v_and_b32_e32 v55, 7, v56
	v_cmp_gt_u32_e32 vcc, 8, v34
	v_cndmask_b32_e32 v34, v53, v36, vcc
	v_cndmask_b32_e32 v36, v50, v55, vcc
	v_lshlrev_b32_e32 v50, 24, v37
	v_bfrev_b32_e32 v53, 60
	v_lshlrev_b32_e32 v36, 20, v36
	v_and_b32_e32 v50, 0x80000000, v50
	v_lshl_add_u32 v34, v34, 23, v53
	v_or3_b32 v53, v50, v34, v36
.LBB564_279:
	s_or_b64 exec, exec, s[10:11]
.LBB564_280:
	s_or_b64 exec, exec, s[8:9]
.LBB564_281:
	s_or_b64 exec, exec, s[2:3]
	v_lshrrev_b16_e32 v34, 8, v37
	v_cmp_ne_u16_e32 vcc, 0, v34
	v_mov_b32_e32 v36, 0
	v_mov_b32_e32 v55, 0
	s_and_saveexec_b64 s[2:3], vcc
	s_cbranch_execz .LBB564_287
; %bb.282:
	s_movk_i32 s8, 0x80
	v_cmp_ne_u16_e32 vcc, s8, v34
	v_bfrev_b32_e32 v55, 1
	s_and_saveexec_b64 s[8:9], vcc
	s_cbranch_execz .LBB564_286
; %bb.283:
	s_movk_i32 s10, 0x7f
	v_and_b32_e32 v50, 0x7f, v34
	v_cmp_ne_u32_e32 vcc, s10, v50
	v_mov_b32_e32 v55, 0x7f800001
	s_and_saveexec_b64 s[10:11], vcc
	s_cbranch_execz .LBB564_285
; %bb.284:
	v_and_b32_e32 v55, 7, v34
	v_ffbh_u32_e32 v56, v55
	v_min_u32_e32 v59, 32, v56
	v_subrev_u32_e32 v56, 28, v59
	v_lshlrev_b64 v[56:57], v56, v[34:35]
	v_lshrrev_b32_e32 v58, 3, v50
	v_sub_u32_e32 v34, 29, v59
	v_and_b32_e32 v56, 7, v56
	v_cmp_gt_u32_e32 vcc, 8, v50
	v_cndmask_b32_e32 v34, v58, v34, vcc
	v_cndmask_b32_e32 v50, v55, v56, vcc
	v_lshlrev_b32_e32 v55, 16, v37
	v_bfrev_b32_e32 v56, 60
	v_lshlrev_b32_e32 v50, 20, v50
	v_and_b32_e32 v55, 0x80000000, v55
	v_lshl_add_u32 v34, v34, 23, v56
	v_or3_b32 v55, v55, v34, v50
.LBB564_285:
	s_or_b64 exec, exec, s[10:11]
.LBB564_286:
	s_or_b64 exec, exec, s[8:9]
.LBB564_287:
	s_or_b64 exec, exec, s[2:3]
	s_movk_i32 s2, 0xff
	v_and_b32_sdwa v50, v37, s2 dst_sel:DWORD dst_unused:UNUSED_PAD src0_sel:WORD_1 src1_sel:DWORD
	v_lshrrev_b32_e32 v34, 16, v37
	v_cmp_ne_u16_e32 vcc, 0, v50
	s_and_saveexec_b64 s[2:3], vcc
	s_cbranch_execz .LBB564_293
; %bb.288:
	s_movk_i32 s8, 0x80
	v_cmp_ne_u16_e32 vcc, s8, v50
	v_bfrev_b32_e32 v36, 1
	s_and_saveexec_b64 s[8:9], vcc
	s_cbranch_execz .LBB564_292
; %bb.289:
	v_bfe_u32 v50, v37, 16, 7
	s_movk_i32 s10, 0x7f
	v_cmp_ne_u32_e32 vcc, s10, v50
	v_mov_b32_e32 v36, 0x7f800001
	s_and_saveexec_b64 s[10:11], vcc
	s_cbranch_execz .LBB564_291
; %bb.290:
	v_and_b32_e32 v36, 7, v34
	v_ffbh_u32_e32 v56, v36
	v_min_u32_e32 v59, 32, v56
	v_subrev_u32_e32 v56, 28, v59
	v_lshlrev_b64 v[56:57], v56, v[34:35]
	v_lshrrev_b32_e32 v58, 3, v50
	v_sub_u32_e32 v34, 29, v59
	v_and_b32_e32 v56, 7, v56
	v_cmp_gt_u32_e32 vcc, 8, v50
	v_mov_b32_e32 v50, 24
	v_cndmask_b32_e32 v34, v58, v34, vcc
	v_cndmask_b32_e32 v36, v36, v56, vcc
	v_lshlrev_b32_sdwa v50, v50, v37 dst_sel:DWORD dst_unused:UNUSED_PAD src0_sel:DWORD src1_sel:WORD_1
	v_bfrev_b32_e32 v56, 60
	v_lshlrev_b32_e32 v36, 20, v36
	v_and_b32_e32 v50, 0x80000000, v50
	v_lshl_add_u32 v34, v34, 23, v56
	v_or3_b32 v36, v50, v34, v36
.LBB564_291:
	s_or_b64 exec, exec, s[10:11]
.LBB564_292:
	s_or_b64 exec, exec, s[8:9]
.LBB564_293:
	s_or_b64 exec, exec, s[2:3]
	s_mov_b32 s2, 0xffffff
	v_cmp_lt_u32_e32 vcc, s2, v37
	v_mov_b32_e32 v50, 0
	v_mov_b32_e32 v56, 0
	s_and_saveexec_b64 s[2:3], vcc
	s_cbranch_execz .LBB564_299
; %bb.294:
	v_lshrrev_b32_e32 v34, 24, v37
	s_movk_i32 s8, 0x80
	v_cmp_ne_u32_e32 vcc, s8, v34
	v_bfrev_b32_e32 v56, 1
	s_and_saveexec_b64 s[8:9], vcc
	s_cbranch_execz .LBB564_298
; %bb.295:
	v_bfe_u32 v37, v37, 24, 7
	s_movk_i32 s10, 0x7f
	v_cmp_ne_u32_e32 vcc, s10, v37
	v_mov_b32_e32 v56, 0x7f800001
	s_and_saveexec_b64 s[10:11], vcc
	s_cbranch_execz .LBB564_297
; %bb.296:
	v_and_b32_e32 v58, 7, v34
	v_ffbh_u32_e32 v56, v58
	v_min_u32_e32 v60, 32, v56
	v_subrev_u32_e32 v56, 28, v60
	v_lshlrev_b64 v[56:57], v56, v[34:35]
	v_lshrrev_b32_e32 v59, 3, v37
	v_sub_u32_e32 v57, 29, v60
	v_and_b32_e32 v56, 7, v56
	v_cmp_gt_u32_e32 vcc, 8, v37
	v_cndmask_b32_e32 v37, v59, v57, vcc
	v_cndmask_b32_e32 v56, v58, v56, vcc
	v_lshlrev_b32_e32 v34, 24, v34
	v_bfrev_b32_e32 v57, 60
	v_lshlrev_b32_e32 v56, 20, v56
	v_and_b32_e32 v34, 0x80000000, v34
	v_lshl_add_u32 v37, v37, 23, v57
	v_or3_b32 v56, v34, v37, v56
.LBB564_297:
	s_or_b64 exec, exec, s[10:11]
.LBB564_298:
	s_or_b64 exec, exec, s[8:9]
.LBB564_299:
	s_or_b64 exec, exec, s[2:3]
	v_cvt_pkrtz_f16_f32 v34, v51, v52
	v_cvt_pkrtz_f16_f32 v35, v35, v54
	s_waitcnt vmcnt(4)
	v_cmp_ne_u16_sdwa s[8:9], v22, v50 src0_sel:BYTE_0 src1_sel:DWORD
	v_mfma_f32_16x16x16f16 v[42:45], v[34:35], v[18:19], v[42:45]
	v_cvt_pkrtz_f16_f32 v34, v53, v55
	v_cvt_pkrtz_f16_f32 v35, v36, v56
	s_nop 1
	v_mfma_f32_16x16x16f16 v[34:37], v[34:35], v[20:21], v[42:45]
	s_and_saveexec_b64 s[2:3], s[8:9]
	s_cbranch_execz .LBB564_305
; %bb.300:
	s_movk_i32 s8, 0x80
	v_cmp_ne_u16_sdwa s[10:11], v22, s8 src0_sel:BYTE_0 src1_sel:DWORD
	v_bfrev_b32_e32 v50, 1
	s_and_saveexec_b64 s[8:9], s[10:11]
	s_cbranch_execz .LBB564_304
; %bb.301:
	s_movk_i32 s10, 0x7f
	v_and_b32_e32 v42, 0x7f, v22
	v_cmp_ne_u32_e32 vcc, s10, v42
	v_mov_b32_e32 v50, 0x7f800001
	s_and_saveexec_b64 s[10:11], vcc
	s_cbranch_execz .LBB564_303
; %bb.302:
	v_and_b32_e32 v43, 7, v22
	v_ffbh_u32_e32 v44, v43
	v_min_u32_e32 v51, 32, v44
	v_subrev_u32_e32 v44, 28, v51
	v_lshlrev_b64 v[44:45], v44, v[22:23]
	v_lshrrev_b32_e32 v50, 3, v42
	v_sub_u32_e32 v45, 29, v51
	v_and_b32_e32 v44, 7, v44
	v_cmp_gt_u32_e32 vcc, 8, v42
	v_cndmask_b32_e32 v42, v50, v45, vcc
	v_cndmask_b32_e32 v43, v43, v44, vcc
	v_lshlrev_b32_e32 v44, 24, v22
	v_bfrev_b32_e32 v45, 60
	v_lshlrev_b32_e32 v43, 20, v43
	v_and_b32_e32 v44, 0x80000000, v44
	v_lshl_add_u32 v42, v42, 23, v45
	v_or3_b32 v50, v44, v42, v43
.LBB564_303:
	s_or_b64 exec, exec, s[10:11]
.LBB564_304:
	s_or_b64 exec, exec, s[8:9]
.LBB564_305:
	s_or_b64 exec, exec, s[2:3]
	s_nop 3
	v_lshrrev_b16_e32 v42, 8, v22
	v_cmp_ne_u16_e32 vcc, 0, v42
	v_mov_b32_e32 v43, 0
	v_mov_b32_e32 v44, 0
	s_and_saveexec_b64 s[2:3], vcc
	s_cbranch_execz .LBB564_311
; %bb.306:
	s_movk_i32 s8, 0x80
	v_cmp_ne_u16_e32 vcc, s8, v42
	v_bfrev_b32_e32 v44, 1
	s_and_saveexec_b64 s[8:9], vcc
	s_cbranch_execz .LBB564_310
; %bb.307:
	s_movk_i32 s10, 0x7f
	v_and_b32_e32 v45, 0x7f, v42
	v_cmp_ne_u32_e32 vcc, s10, v45
	v_mov_b32_e32 v44, 0x7f800001
	s_and_saveexec_b64 s[10:11], vcc
	s_cbranch_execz .LBB564_309
; %bb.308:
	v_and_b32_e32 v44, 7, v42
	v_ffbh_u32_e32 v52, v44
	v_min_u32_e32 v54, 32, v52
	v_subrev_u32_e32 v52, 28, v54
	v_lshlrev_b64 v[52:53], v52, v[42:43]
	v_lshrrev_b32_e32 v51, 3, v45
	v_sub_u32_e32 v42, 29, v54
	v_and_b32_e32 v52, 7, v52
	v_cmp_gt_u32_e32 vcc, 8, v45
	v_cndmask_b32_e32 v42, v51, v42, vcc
	v_cndmask_b32_e32 v44, v44, v52, vcc
	v_lshlrev_b32_e32 v45, 16, v22
	v_bfrev_b32_e32 v51, 60
	v_lshlrev_b32_e32 v44, 20, v44
	v_and_b32_e32 v45, 0x80000000, v45
	v_lshl_add_u32 v42, v42, 23, v51
	v_or3_b32 v44, v45, v42, v44
.LBB564_309:
	s_or_b64 exec, exec, s[10:11]
.LBB564_310:
	s_or_b64 exec, exec, s[8:9]
.LBB564_311:
	s_or_b64 exec, exec, s[2:3]
	s_movk_i32 s2, 0xff
	v_and_b32_sdwa v45, v22, s2 dst_sel:DWORD dst_unused:UNUSED_PAD src0_sel:WORD_1 src1_sel:DWORD
	v_lshrrev_b32_e32 v42, 16, v22
	v_cmp_ne_u16_e32 vcc, 0, v45
	s_and_saveexec_b64 s[2:3], vcc
	s_cbranch_execz .LBB564_317
; %bb.312:
	s_movk_i32 s8, 0x80
	v_cmp_ne_u16_e32 vcc, s8, v45
	v_bfrev_b32_e32 v43, 1
	s_and_saveexec_b64 s[8:9], vcc
	s_cbranch_execz .LBB564_316
; %bb.313:
	v_bfe_u32 v45, v22, 16, 7
	s_movk_i32 s10, 0x7f
	v_cmp_ne_u32_e32 vcc, s10, v45
	v_mov_b32_e32 v43, 0x7f800001
	s_and_saveexec_b64 s[10:11], vcc
	s_cbranch_execz .LBB564_315
; %bb.314:
	v_and_b32_e32 v51, 7, v42
	v_ffbh_u32_e32 v43, v51
	v_min_u32_e32 v53, 32, v43
	v_subrev_u32_e32 v43, 28, v53
	v_lshlrev_b64 v[42:43], v43, v[42:43]
	v_lshrrev_b32_e32 v52, 3, v45
	v_sub_u32_e32 v43, 29, v53
	v_and_b32_e32 v42, 7, v42
	v_cmp_gt_u32_e32 vcc, 8, v45
	v_mov_b32_e32 v45, 24
	v_cndmask_b32_e32 v43, v52, v43, vcc
	v_cndmask_b32_e32 v42, v51, v42, vcc
	v_lshlrev_b32_sdwa v45, v45, v22 dst_sel:DWORD dst_unused:UNUSED_PAD src0_sel:DWORD src1_sel:WORD_1
	v_bfrev_b32_e32 v51, 60
	v_lshlrev_b32_e32 v42, 20, v42
	v_and_b32_e32 v45, 0x80000000, v45
	v_lshl_add_u32 v43, v43, 23, v51
	v_or3_b32 v43, v45, v43, v42
.LBB564_315:
	s_or_b64 exec, exec, s[10:11]
.LBB564_316:
	s_or_b64 exec, exec, s[8:9]
.LBB564_317:
	s_or_b64 exec, exec, s[2:3]
	s_mov_b32 s2, 0xffffff
	v_cmp_lt_u32_e32 vcc, s2, v22
	v_mov_b32_e32 v45, 0
	v_mov_b32_e32 v51, 0
	s_and_saveexec_b64 s[2:3], vcc
	s_cbranch_execz .LBB564_323
; %bb.318:
	v_lshrrev_b32_e32 v42, 24, v22
	s_movk_i32 s8, 0x80
	v_cmp_ne_u32_e32 vcc, s8, v42
	v_bfrev_b32_e32 v51, 1
	s_and_saveexec_b64 s[8:9], vcc
	s_cbranch_execz .LBB564_322
; %bb.319:
	v_bfe_u32 v22, v22, 24, 7
	s_movk_i32 s10, 0x7f
	v_cmp_ne_u32_e32 vcc, s10, v22
	v_mov_b32_e32 v51, 0x7f800001
	s_and_saveexec_b64 s[10:11], vcc
	s_cbranch_execz .LBB564_321
; %bb.320:
	v_and_b32_e32 v51, 7, v42
	v_ffbh_u32_e32 v52, v51
	v_min_u32_e32 v55, 32, v52
	v_subrev_u32_e32 v52, 28, v55
	v_lshlrev_b64 v[52:53], v52, v[42:43]
	v_lshrrev_b32_e32 v54, 3, v22
	v_sub_u32_e32 v53, 29, v55
	v_and_b32_e32 v52, 7, v52
	v_cmp_gt_u32_e32 vcc, 8, v22
	v_cndmask_b32_e32 v22, v54, v53, vcc
	v_cndmask_b32_e32 v51, v51, v52, vcc
	v_lshlrev_b32_e32 v42, 24, v42
	v_bfrev_b32_e32 v52, 60
	v_lshlrev_b32_e32 v51, 20, v51
	v_and_b32_e32 v42, 0x80000000, v42
	v_lshl_add_u32 v22, v22, 23, v52
	v_or3_b32 v51, v42, v22, v51
.LBB564_321:
	s_or_b64 exec, exec, s[10:11]
.LBB564_322:
	s_or_b64 exec, exec, s[8:9]
.LBB564_323:
	s_or_b64 exec, exec, s[2:3]
	v_cmp_ne_u16_sdwa s[8:9], v23, v45 src0_sel:BYTE_0 src1_sel:DWORD
	s_and_saveexec_b64 s[2:3], s[8:9]
	s_cbranch_execz .LBB564_329
; %bb.324:
	s_movk_i32 s8, 0x80
	v_cmp_ne_u16_sdwa s[10:11], v23, s8 src0_sel:BYTE_0 src1_sel:DWORD
	v_bfrev_b32_e32 v45, 1
	s_and_saveexec_b64 s[8:9], s[10:11]
	s_cbranch_execz .LBB564_328
; %bb.325:
	s_movk_i32 s10, 0x7f
	v_and_b32_e32 v22, 0x7f, v23
	v_cmp_ne_u32_e32 vcc, s10, v22
	v_mov_b32_e32 v45, 0x7f800001
	s_and_saveexec_b64 s[10:11], vcc
	s_cbranch_execz .LBB564_327
; %bb.326:
	v_and_b32_e32 v45, 7, v23
	v_ffbh_u32_e32 v52, v45
	v_min_u32_e32 v55, 32, v52
	v_mov_b32_e32 v42, v23
	v_subrev_u32_e32 v52, 28, v55
	v_lshlrev_b64 v[52:53], v52, v[42:43]
	v_lshrrev_b32_e32 v54, 3, v22
	v_sub_u32_e32 v42, 29, v55
	v_and_b32_e32 v52, 7, v52
	v_cmp_gt_u32_e32 vcc, 8, v22
	v_cndmask_b32_e32 v22, v54, v42, vcc
	v_cndmask_b32_e32 v42, v45, v52, vcc
	v_lshlrev_b32_e32 v45, 24, v23
	v_bfrev_b32_e32 v52, 60
	v_lshlrev_b32_e32 v42, 20, v42
	v_and_b32_e32 v45, 0x80000000, v45
	v_lshl_add_u32 v22, v22, 23, v52
	v_or3_b32 v45, v45, v22, v42
.LBB564_327:
	s_or_b64 exec, exec, s[10:11]
.LBB564_328:
	s_or_b64 exec, exec, s[8:9]
.LBB564_329:
	s_or_b64 exec, exec, s[2:3]
	v_lshrrev_b16_e32 v22, 8, v23
	v_cmp_ne_u16_e32 vcc, 0, v22
	v_mov_b32_e32 v52, 0
	v_mov_b32_e32 v53, 0
	s_and_saveexec_b64 s[2:3], vcc
	s_cbranch_execz .LBB564_335
; %bb.330:
	s_movk_i32 s8, 0x80
	v_cmp_ne_u16_e32 vcc, s8, v22
	v_bfrev_b32_e32 v53, 1
	s_and_saveexec_b64 s[8:9], vcc
	s_cbranch_execz .LBB564_334
; %bb.331:
	s_movk_i32 s10, 0x7f
	v_and_b32_e32 v42, 0x7f, v22
	v_cmp_ne_u32_e32 vcc, s10, v42
	v_mov_b32_e32 v53, 0x7f800001
	s_and_saveexec_b64 s[10:11], vcc
	s_cbranch_execz .LBB564_333
; %bb.332:
	v_and_b32_e32 v53, 7, v22
	v_ffbh_u32_e32 v54, v53
	v_min_u32_e32 v57, 32, v54
	v_subrev_u32_e32 v54, 28, v57
	v_lshlrev_b64 v[54:55], v54, v[22:23]
	v_lshrrev_b32_e32 v56, 3, v42
	v_sub_u32_e32 v22, 29, v57
	v_and_b32_e32 v54, 7, v54
	v_cmp_gt_u32_e32 vcc, 8, v42
	v_cndmask_b32_e32 v22, v56, v22, vcc
	v_cndmask_b32_e32 v42, v53, v54, vcc
	v_lshlrev_b32_e32 v53, 16, v23
	v_bfrev_b32_e32 v54, 60
	v_lshlrev_b32_e32 v42, 20, v42
	v_and_b32_e32 v53, 0x80000000, v53
	v_lshl_add_u32 v22, v22, 23, v54
	v_or3_b32 v53, v53, v22, v42
.LBB564_333:
	s_or_b64 exec, exec, s[10:11]
.LBB564_334:
	s_or_b64 exec, exec, s[8:9]
.LBB564_335:
	s_or_b64 exec, exec, s[2:3]
	s_movk_i32 s2, 0xff
	v_and_b32_sdwa v42, v23, s2 dst_sel:DWORD dst_unused:UNUSED_PAD src0_sel:WORD_1 src1_sel:DWORD
	v_lshrrev_b32_e32 v22, 16, v23
	v_cmp_ne_u16_e32 vcc, 0, v42
	s_and_saveexec_b64 s[2:3], vcc
	s_cbranch_execz .LBB564_341
; %bb.336:
	s_movk_i32 s8, 0x80
	v_cmp_ne_u16_e32 vcc, s8, v42
	v_bfrev_b32_e32 v52, 1
	s_and_saveexec_b64 s[8:9], vcc
	s_cbranch_execz .LBB564_340
; %bb.337:
	v_bfe_u32 v42, v23, 16, 7
	s_movk_i32 s10, 0x7f
	v_cmp_ne_u32_e32 vcc, s10, v42
	v_mov_b32_e32 v52, 0x7f800001
	s_and_saveexec_b64 s[10:11], vcc
	s_cbranch_execz .LBB564_339
; %bb.338:
	v_and_b32_e32 v52, 7, v22
	v_ffbh_u32_e32 v54, v52
	v_min_u32_e32 v57, 32, v54
	v_subrev_u32_e32 v54, 28, v57
	v_lshlrev_b64 v[54:55], v54, v[22:23]
	v_and_b32_e32 v54, 7, v54
	v_cmp_gt_u32_e32 vcc, 8, v42
	v_lshrrev_b32_e32 v56, 3, v42
	v_sub_u32_e32 v22, 29, v57
	v_cndmask_b32_e32 v42, v52, v54, vcc
	v_mov_b32_e32 v52, 24
	v_cndmask_b32_e32 v22, v56, v22, vcc
	v_lshlrev_b32_sdwa v52, v52, v23 dst_sel:DWORD dst_unused:UNUSED_PAD src0_sel:DWORD src1_sel:WORD_1
	v_bfrev_b32_e32 v54, 60
	v_lshlrev_b32_e32 v42, 20, v42
	v_and_b32_e32 v52, 0x80000000, v52
	v_lshl_add_u32 v22, v22, 23, v54
	v_or3_b32 v52, v52, v22, v42
.LBB564_339:
	s_or_b64 exec, exec, s[10:11]
.LBB564_340:
	s_or_b64 exec, exec, s[8:9]
.LBB564_341:
	s_or_b64 exec, exec, s[2:3]
	s_mov_b32 s2, 0xffffff
	v_cmp_lt_u32_e32 vcc, s2, v23
	v_mov_b32_e32 v42, 0
	v_mov_b32_e32 v54, 0
	s_and_saveexec_b64 s[2:3], vcc
	s_cbranch_execz .LBB564_347
; %bb.342:
	v_lshrrev_b32_e32 v22, 24, v23
	s_movk_i32 s8, 0x80
	v_cmp_ne_u32_e32 vcc, s8, v22
	v_bfrev_b32_e32 v54, 1
	s_and_saveexec_b64 s[8:9], vcc
	s_cbranch_execz .LBB564_346
; %bb.343:
	v_bfe_u32 v23, v23, 24, 7
	s_movk_i32 s10, 0x7f
	v_cmp_ne_u32_e32 vcc, s10, v23
	v_mov_b32_e32 v54, 0x7f800001
	s_and_saveexec_b64 s[10:11], vcc
	s_cbranch_execz .LBB564_345
; %bb.344:
	v_and_b32_e32 v56, 7, v22
	v_ffbh_u32_e32 v54, v56
	v_min_u32_e32 v58, 32, v54
	v_subrev_u32_e32 v54, 28, v58
	v_lshlrev_b64 v[54:55], v54, v[22:23]
	v_lshrrev_b32_e32 v57, 3, v23
	v_sub_u32_e32 v55, 29, v58
	v_and_b32_e32 v54, 7, v54
	v_cmp_gt_u32_e32 vcc, 8, v23
	v_cndmask_b32_e32 v23, v57, v55, vcc
	v_cndmask_b32_e32 v54, v56, v54, vcc
	v_lshlrev_b32_e32 v22, 24, v22
	v_bfrev_b32_e32 v55, 60
	v_lshlrev_b32_e32 v54, 20, v54
	v_and_b32_e32 v22, 0x80000000, v22
	v_lshl_add_u32 v23, v23, 23, v55
	v_or3_b32 v54, v22, v23, v54
.LBB564_345:
	s_or_b64 exec, exec, s[10:11]
.LBB564_346:
	s_or_b64 exec, exec, s[8:9]
.LBB564_347:
	s_or_b64 exec, exec, s[2:3]
	v_cvt_pkrtz_f16_f32 v22, v50, v44
	v_cvt_pkrtz_f16_f32 v23, v43, v51
	v_cmp_ne_u16_sdwa s[8:9], v24, v42 src0_sel:BYTE_0 src1_sel:DWORD
	s_nop 0
	v_mfma_f32_16x16x16f16 v[56:59], v[22:23], v[26:27], 0
	v_cvt_pkrtz_f16_f32 v22, v45, v53
	v_cvt_pkrtz_f16_f32 v23, v52, v54
	s_nop 1
	v_mfma_f32_16x16x16f16 v[26:29], v[22:23], v[28:29], v[56:59]
	s_and_saveexec_b64 s[2:3], s[8:9]
	s_cbranch_execz .LBB564_353
; %bb.348:
	s_movk_i32 s8, 0x80
	v_cmp_ne_u16_sdwa s[10:11], v24, s8 src0_sel:BYTE_0 src1_sel:DWORD
	v_bfrev_b32_e32 v42, 1
	s_and_saveexec_b64 s[8:9], s[10:11]
	s_cbranch_execz .LBB564_352
; %bb.349:
	s_movk_i32 s10, 0x7f
	v_and_b32_e32 v22, 0x7f, v24
	v_cmp_ne_u32_e32 vcc, s10, v22
	v_mov_b32_e32 v42, 0x7f800001
	s_and_saveexec_b64 s[10:11], vcc
	s_cbranch_execz .LBB564_351
; %bb.350:
	v_and_b32_e32 v23, 7, v24
	v_ffbh_u32_e32 v42, v23
	v_min_u32_e32 v45, 32, v42
	v_subrev_u32_e32 v42, 28, v45
	v_lshlrev_b64 v[42:43], v42, v[24:25]
	v_lshrrev_b32_e32 v44, 3, v22
	v_sub_u32_e32 v43, 29, v45
	v_and_b32_e32 v42, 7, v42
	v_cmp_gt_u32_e32 vcc, 8, v22
	v_cndmask_b32_e32 v22, v44, v43, vcc
	v_cndmask_b32_e32 v23, v23, v42, vcc
	v_lshlrev_b32_e32 v42, 24, v24
	v_bfrev_b32_e32 v43, 60
	v_lshlrev_b32_e32 v23, 20, v23
	v_and_b32_e32 v42, 0x80000000, v42
	v_lshl_add_u32 v22, v22, 23, v43
	v_or3_b32 v42, v42, v22, v23
.LBB564_351:
	s_or_b64 exec, exec, s[10:11]
.LBB564_352:
	s_or_b64 exec, exec, s[8:9]
.LBB564_353:
	s_or_b64 exec, exec, s[2:3]
	v_lshrrev_b16_e32 v22, 8, v24
	v_cmp_ne_u16_e32 vcc, 0, v22
	v_mov_b32_e32 v23, 0
	v_mov_b32_e32 v43, 0
	s_and_saveexec_b64 s[2:3], vcc
	s_cbranch_execz .LBB564_359
; %bb.354:
	s_movk_i32 s8, 0x80
	v_cmp_ne_u16_e32 vcc, s8, v22
	v_bfrev_b32_e32 v43, 1
	s_and_saveexec_b64 s[8:9], vcc
	s_cbranch_execz .LBB564_358
; %bb.355:
	s_movk_i32 s10, 0x7f
	v_and_b32_e32 v44, 0x7f, v22
	v_cmp_ne_u32_e32 vcc, s10, v44
	v_mov_b32_e32 v43, 0x7f800001
	s_and_saveexec_b64 s[10:11], vcc
	s_cbranch_execz .LBB564_357
; %bb.356:
	v_and_b32_e32 v43, 7, v22
	v_ffbh_u32_e32 v50, v43
	v_min_u32_e32 v52, 32, v50
	v_subrev_u32_e32 v50, 28, v52
	v_lshlrev_b64 v[50:51], v50, v[22:23]
	v_lshrrev_b32_e32 v45, 3, v44
	v_sub_u32_e32 v22, 29, v52
	v_and_b32_e32 v50, 7, v50
	v_cmp_gt_u32_e32 vcc, 8, v44
	v_cndmask_b32_e32 v22, v45, v22, vcc
	v_cndmask_b32_e32 v43, v43, v50, vcc
	v_lshlrev_b32_e32 v44, 16, v24
	v_bfrev_b32_e32 v45, 60
	v_lshlrev_b32_e32 v43, 20, v43
	v_and_b32_e32 v44, 0x80000000, v44
	v_lshl_add_u32 v22, v22, 23, v45
	v_or3_b32 v43, v44, v22, v43
.LBB564_357:
	s_or_b64 exec, exec, s[10:11]
.LBB564_358:
	s_or_b64 exec, exec, s[8:9]
.LBB564_359:
	s_or_b64 exec, exec, s[2:3]
	s_movk_i32 s2, 0xff
	v_and_b32_sdwa v44, v24, s2 dst_sel:DWORD dst_unused:UNUSED_PAD src0_sel:WORD_1 src1_sel:DWORD
	v_lshrrev_b32_e32 v22, 16, v24
	v_cmp_ne_u16_e32 vcc, 0, v44
	s_and_saveexec_b64 s[2:3], vcc
	s_cbranch_execz .LBB564_365
; %bb.360:
	s_movk_i32 s8, 0x80
	v_cmp_ne_u16_e32 vcc, s8, v44
	v_bfrev_b32_e32 v23, 1
	s_and_saveexec_b64 s[8:9], vcc
	s_cbranch_execz .LBB564_364
; %bb.361:
	v_bfe_u32 v44, v24, 16, 7
	s_movk_i32 s10, 0x7f
	v_cmp_ne_u32_e32 vcc, s10, v44
	v_mov_b32_e32 v23, 0x7f800001
	s_and_saveexec_b64 s[10:11], vcc
	s_cbranch_execz .LBB564_363
; %bb.362:
	v_and_b32_e32 v45, 7, v22
	v_ffbh_u32_e32 v23, v45
	v_min_u32_e32 v51, 32, v23
	v_subrev_u32_e32 v23, 28, v51
	v_lshlrev_b64 v[22:23], v23, v[22:23]
	v_lshrrev_b32_e32 v50, 3, v44
	v_sub_u32_e32 v23, 29, v51
	v_and_b32_e32 v22, 7, v22
	v_cmp_gt_u32_e32 vcc, 8, v44
	v_mov_b32_e32 v44, 24
	v_cndmask_b32_e32 v23, v50, v23, vcc
	v_cndmask_b32_e32 v22, v45, v22, vcc
	v_lshlrev_b32_sdwa v44, v44, v24 dst_sel:DWORD dst_unused:UNUSED_PAD src0_sel:DWORD src1_sel:WORD_1
	v_bfrev_b32_e32 v45, 60
	v_lshlrev_b32_e32 v22, 20, v22
	v_and_b32_e32 v44, 0x80000000, v44
	v_lshl_add_u32 v23, v23, 23, v45
	v_or3_b32 v23, v44, v23, v22
.LBB564_363:
	s_or_b64 exec, exec, s[10:11]
.LBB564_364:
	s_or_b64 exec, exec, s[8:9]
.LBB564_365:
	s_or_b64 exec, exec, s[2:3]
	s_mov_b32 s2, 0xffffff
	v_cmp_lt_u32_e32 vcc, s2, v24
	v_mov_b32_e32 v44, 0
	v_mov_b32_e32 v45, 0
	s_and_saveexec_b64 s[2:3], vcc
	s_cbranch_execz .LBB564_371
; %bb.366:
	v_lshrrev_b32_e32 v22, 24, v24
	s_movk_i32 s8, 0x80
	v_cmp_ne_u32_e32 vcc, s8, v22
	v_bfrev_b32_e32 v45, 1
	s_and_saveexec_b64 s[8:9], vcc
	s_cbranch_execz .LBB564_370
; %bb.367:
	v_bfe_u32 v24, v24, 24, 7
	s_movk_i32 s10, 0x7f
	v_cmp_ne_u32_e32 vcc, s10, v24
	v_mov_b32_e32 v45, 0x7f800001
	s_and_saveexec_b64 s[10:11], vcc
	s_cbranch_execz .LBB564_369
; %bb.368:
	v_and_b32_e32 v45, 7, v22
	v_ffbh_u32_e32 v50, v45
	v_min_u32_e32 v53, 32, v50
	v_subrev_u32_e32 v50, 28, v53
	v_lshlrev_b64 v[50:51], v50, v[22:23]
	v_lshrrev_b32_e32 v52, 3, v24
	v_sub_u32_e32 v51, 29, v53
	v_and_b32_e32 v50, 7, v50
	v_cmp_gt_u32_e32 vcc, 8, v24
	v_cndmask_b32_e32 v24, v52, v51, vcc
	v_cndmask_b32_e32 v45, v45, v50, vcc
	v_lshlrev_b32_e32 v22, 24, v22
	v_bfrev_b32_e32 v50, 60
	v_lshlrev_b32_e32 v45, 20, v45
	v_and_b32_e32 v22, 0x80000000, v22
	v_lshl_add_u32 v24, v24, 23, v50
	v_or3_b32 v45, v22, v24, v45
.LBB564_369:
	s_or_b64 exec, exec, s[10:11]
.LBB564_370:
	s_or_b64 exec, exec, s[8:9]
.LBB564_371:
	s_or_b64 exec, exec, s[2:3]
	v_cmp_ne_u16_sdwa s[8:9], v25, v44 src0_sel:BYTE_0 src1_sel:DWORD
	s_and_saveexec_b64 s[2:3], s[8:9]
	s_cbranch_execz .LBB564_377
; %bb.372:
	s_movk_i32 s8, 0x80
	v_cmp_ne_u16_sdwa s[10:11], v25, s8 src0_sel:BYTE_0 src1_sel:DWORD
	v_bfrev_b32_e32 v44, 1
	s_and_saveexec_b64 s[8:9], s[10:11]
	s_cbranch_execz .LBB564_376
; %bb.373:
	s_movk_i32 s10, 0x7f
	v_and_b32_e32 v22, 0x7f, v25
	v_cmp_ne_u32_e32 vcc, s10, v22
	v_mov_b32_e32 v44, 0x7f800001
	s_and_saveexec_b64 s[10:11], vcc
	s_cbranch_execz .LBB564_375
; %bb.374:
	v_and_b32_e32 v44, 7, v25
	v_ffbh_u32_e32 v50, v44
	v_min_u32_e32 v53, 32, v50
	v_mov_b32_e32 v24, v25
	v_subrev_u32_e32 v50, 28, v53
	v_lshlrev_b64 v[50:51], v50, v[24:25]
	v_lshrrev_b32_e32 v52, 3, v22
	v_sub_u32_e32 v24, 29, v53
	v_and_b32_e32 v50, 7, v50
	v_cmp_gt_u32_e32 vcc, 8, v22
	v_cndmask_b32_e32 v22, v52, v24, vcc
	v_cndmask_b32_e32 v24, v44, v50, vcc
	v_lshlrev_b32_e32 v44, 24, v25
	v_bfrev_b32_e32 v50, 60
	v_lshlrev_b32_e32 v24, 20, v24
	v_and_b32_e32 v44, 0x80000000, v44
	v_lshl_add_u32 v22, v22, 23, v50
	v_or3_b32 v44, v44, v22, v24
.LBB564_375:
	s_or_b64 exec, exec, s[10:11]
.LBB564_376:
	s_or_b64 exec, exec, s[8:9]
.LBB564_377:
	s_or_b64 exec, exec, s[2:3]
	v_lshrrev_b16_e32 v22, 8, v25
	v_cmp_ne_u16_e32 vcc, 0, v22
	v_mov_b32_e32 v24, 0
	v_mov_b32_e32 v51, 0
	s_and_saveexec_b64 s[2:3], vcc
	s_cbranch_execz .LBB564_383
; %bb.378:
	s_movk_i32 s8, 0x80
	v_cmp_ne_u16_e32 vcc, s8, v22
	v_bfrev_b32_e32 v51, 1
	s_and_saveexec_b64 s[8:9], vcc
	s_cbranch_execz .LBB564_382
; %bb.379:
	s_movk_i32 s10, 0x7f
	v_and_b32_e32 v50, 0x7f, v22
	v_cmp_ne_u32_e32 vcc, s10, v50
	v_mov_b32_e32 v51, 0x7f800001
	s_and_saveexec_b64 s[10:11], vcc
	s_cbranch_execz .LBB564_381
; %bb.380:
	v_and_b32_e32 v51, 7, v22
	v_ffbh_u32_e32 v52, v51
	v_min_u32_e32 v55, 32, v52
	v_subrev_u32_e32 v52, 28, v55
	v_lshlrev_b64 v[52:53], v52, v[22:23]
	v_lshrrev_b32_e32 v54, 3, v50
	v_sub_u32_e32 v22, 29, v55
	v_and_b32_e32 v52, 7, v52
	v_cmp_gt_u32_e32 vcc, 8, v50
	v_cndmask_b32_e32 v22, v54, v22, vcc
	v_cndmask_b32_e32 v50, v51, v52, vcc
	v_lshlrev_b32_e32 v51, 16, v25
	v_bfrev_b32_e32 v52, 60
	v_lshlrev_b32_e32 v50, 20, v50
	v_and_b32_e32 v51, 0x80000000, v51
	v_lshl_add_u32 v22, v22, 23, v52
	v_or3_b32 v51, v51, v22, v50
.LBB564_381:
	s_or_b64 exec, exec, s[10:11]
.LBB564_382:
	s_or_b64 exec, exec, s[8:9]
.LBB564_383:
	s_or_b64 exec, exec, s[2:3]
	s_movk_i32 s2, 0xff
	v_and_b32_sdwa v50, v25, s2 dst_sel:DWORD dst_unused:UNUSED_PAD src0_sel:WORD_1 src1_sel:DWORD
	v_lshrrev_b32_e32 v22, 16, v25
	v_cmp_ne_u16_e32 vcc, 0, v50
	s_and_saveexec_b64 s[2:3], vcc
	s_cbranch_execz .LBB564_389
; %bb.384:
	s_movk_i32 s8, 0x80
	v_cmp_ne_u16_e32 vcc, s8, v50
	v_bfrev_b32_e32 v24, 1
	s_and_saveexec_b64 s[8:9], vcc
	s_cbranch_execz .LBB564_388
; %bb.385:
	v_bfe_u32 v50, v25, 16, 7
	s_movk_i32 s10, 0x7f
	v_cmp_ne_u32_e32 vcc, s10, v50
	v_mov_b32_e32 v24, 0x7f800001
	s_and_saveexec_b64 s[10:11], vcc
	s_cbranch_execz .LBB564_387
; %bb.386:
	v_and_b32_e32 v24, 7, v22
	v_ffbh_u32_e32 v52, v24
	v_min_u32_e32 v55, 32, v52
	v_subrev_u32_e32 v52, 28, v55
	v_lshlrev_b64 v[52:53], v52, v[22:23]
	v_lshrrev_b32_e32 v54, 3, v50
	v_sub_u32_e32 v22, 29, v55
	v_and_b32_e32 v52, 7, v52
	v_cmp_gt_u32_e32 vcc, 8, v50
	v_mov_b32_e32 v50, 24
	v_cndmask_b32_e32 v22, v54, v22, vcc
	v_cndmask_b32_e32 v24, v24, v52, vcc
	v_lshlrev_b32_sdwa v50, v50, v25 dst_sel:DWORD dst_unused:UNUSED_PAD src0_sel:DWORD src1_sel:WORD_1
	v_bfrev_b32_e32 v52, 60
	v_lshlrev_b32_e32 v24, 20, v24
	v_and_b32_e32 v50, 0x80000000, v50
	v_lshl_add_u32 v22, v22, 23, v52
	v_or3_b32 v24, v50, v22, v24
.LBB564_387:
	s_or_b64 exec, exec, s[10:11]
.LBB564_388:
	s_or_b64 exec, exec, s[8:9]
.LBB564_389:
	s_or_b64 exec, exec, s[2:3]
	s_mov_b32 s2, 0xffffff
	v_and_b32_e32 v50, 63, v0
	v_cmp_lt_u32_e32 vcc, s2, v25
	v_mov_b32_e32 v52, 0
	s_and_saveexec_b64 s[2:3], vcc
	s_cbranch_execz .LBB564_395
; %bb.390:
	v_lshrrev_b32_e32 v22, 24, v25
	s_movk_i32 s8, 0x80
	v_cmp_ne_u32_e32 vcc, s8, v22
	v_bfrev_b32_e32 v52, 1
	s_and_saveexec_b64 s[8:9], vcc
	s_cbranch_execz .LBB564_394
; %bb.391:
	v_bfe_u32 v25, v25, 24, 7
	s_movk_i32 s10, 0x7f
	v_cmp_ne_u32_e32 vcc, s10, v25
	v_mov_b32_e32 v52, 0x7f800001
	s_and_saveexec_b64 s[10:11], vcc
	s_cbranch_execz .LBB564_393
; %bb.392:
	v_and_b32_e32 v54, 7, v22
	v_ffbh_u32_e32 v52, v54
	v_min_u32_e32 v56, 32, v52
	v_subrev_u32_e32 v52, 28, v56
	v_lshlrev_b64 v[52:53], v52, v[22:23]
	v_lshrrev_b32_e32 v55, 3, v25
	v_sub_u32_e32 v53, 29, v56
	v_and_b32_e32 v52, 7, v52
	v_cmp_gt_u32_e32 vcc, 8, v25
	v_cndmask_b32_e32 v25, v55, v53, vcc
	v_cndmask_b32_e32 v52, v54, v52, vcc
	v_lshlrev_b32_e32 v22, 24, v22
	v_bfrev_b32_e32 v53, 60
	v_lshlrev_b32_e32 v52, 20, v52
	v_and_b32_e32 v22, 0x80000000, v22
	v_lshl_add_u32 v25, v25, 23, v53
	v_or3_b32 v52, v22, v25, v52
.LBB564_393:
	s_or_b64 exec, exec, s[10:11]
.LBB564_394:
	s_or_b64 exec, exec, s[8:9]
.LBB564_395:
	s_or_b64 exec, exec, s[2:3]
	v_cvt_pkrtz_f16_f32 v42, v42, v43
	v_cvt_pkrtz_f16_f32 v43, v23, v45
	s_load_dword s2, s[4:5], 0x1c
	s_mov_b32 s46, 0xff7fffff
	s_waitcnt lgkmcnt(0)
	v_mfma_f32_16x16x16f16 v[26:29], v[42:43], v[18:19], v[26:29]
	v_cvt_pkrtz_f16_f32 v18, v44, v51
	v_cvt_pkrtz_f16_f32 v19, v24, v52
	v_and_b32_e32 v24, 0xc0, v0
	v_mov_b32_e32 v22, s2
	v_add_u32_e32 v24, s20, v24
	v_mul_f32_e32 v54, s12, v22
	v_lshl_or_b32 v42, v1, 2, v24
	v_mfma_f32_16x16x16f16 v[18:21], v[18:19], v[20:21], v[26:29]
	v_pk_mul_f32 v[22:23], v[54:55], v[36:37] op_sel_hi:[0,1]
	v_pk_mul_f32 v[36:37], v[54:55], v[40:41] op_sel_hi:[0,1]
	;; [unrolled: 1-line block ×4, first 2 shown]
	v_mov_b32_e32 v43, 0xff7fffff
	v_cmp_gt_i32_e64 s[26:27], s33, v42
	v_pk_mul_f32 v[38:39], v[54:55], v[38:39] op_sel_hi:[0,1]
	s_nop 3
	v_pk_mul_f32 v[32:33], v[54:55], v[18:19] op_sel_hi:[0,1]
	v_or_b32_e32 v19, 1, v42
	v_cmp_gt_i32_e64 s[28:29], s33, v19
	v_cndmask_b32_e64 v18, v43, v30, s[26:27]
	v_cndmask_b32_e64 v19, v43, v31, s[28:29]
	v_pk_mul_f32 v[24:25], v[54:55], v[20:21] op_sel_hi:[0,1]
	v_max3_f32 v18, v18, s46, v19
	v_or_b32_e32 v19, 2, v42
	v_or_b32_e32 v20, 3, v42
	v_cmp_gt_i32_e64 s[30:31], s33, v19
	v_cmp_gt_i32_e64 s[34:35], s33, v20
	v_cndmask_b32_e64 v19, v43, v40, s[30:31]
	v_cndmask_b32_e64 v20, v43, v41, s[34:35]
	v_max3_f32 v18, v18, v19, v20
	v_or_b32_e32 v19, 16, v42
	v_or_b32_e32 v20, 17, v42
	v_cmp_gt_i32_e64 s[36:37], s33, v19
	v_cmp_gt_i32_e64 s[38:39], s33, v20
	v_cndmask_b32_e64 v19, v43, v38, s[36:37]
	v_cndmask_b32_e64 v20, v43, v39, s[38:39]
	;; [unrolled: 7-line block ×3, first 2 shown]
	v_max3_f32 v18, v18, v19, v20
	v_or_b32_e32 v19, 32, v42
	v_or_b32_e32 v20, 33, v42
	v_pk_mul_f32 v[34:35], v[54:55], v[34:35] op_sel_hi:[0,1]
	v_cmp_gt_i32_e64 s[16:17], s33, v19
	v_cmp_gt_i32_e64 s[18:19], s33, v20
	v_cndmask_b32_e64 v19, v43, v34, s[16:17]
	v_cndmask_b32_e64 v20, v43, v35, s[18:19]
	v_max3_f32 v18, v18, v19, v20
	v_or_b32_e32 v19, 34, v42
	v_or_b32_e32 v20, 35, v42
	v_cmp_gt_i32_e64 s[12:13], s33, v19
	v_cmp_gt_i32_e64 s[14:15], s33, v20
	v_cndmask_b32_e64 v19, v43, v22, s[12:13]
	v_cndmask_b32_e64 v20, v43, v23, s[14:15]
	v_max3_f32 v18, v18, v19, v20
	v_or_b32_e32 v19, 48, v42
	v_or_b32_e32 v20, 49, v42
	;; [unrolled: 7-line block ×3, first 2 shown]
	v_cmp_gt_i32_e32 vcc, s33, v19
	v_cmp_gt_i32_e64 s[2:3], s33, v20
	v_cndmask_b32_e32 v19, v43, v24, vcc
	v_cndmask_b32_e64 v20, v43, v25, s[2:3]
	v_max3_f32 v18, v18, v19, v20
	v_mbcnt_lo_u32_b32 v19, -1, 0
	v_mbcnt_hi_u32_b32 v19, -1, v19
	v_and_b32_e32 v20, 64, v19
	v_add_u32_e32 v20, 64, v20
	v_xor_b32_e32 v21, 32, v19
	v_cmp_lt_i32_e64 s[40:41], v21, v20
	v_cndmask_b32_e64 v21, v19, v21, s[40:41]
	v_lshlrev_b32_e32 v43, 2, v21
	ds_bpermute_b32 v21, v43, v18
	s_barrier
	s_waitcnt lgkmcnt(0)
	v_max_f32_e32 v21, v21, v21
	v_max_f32_e32 v18, v18, v21
	v_xor_b32_e32 v21, 16, v19
	v_cmp_lt_i32_e64 s[40:41], v21, v20
	v_cndmask_b32_e64 v19, v19, v21, s[40:41]
	v_lshlrev_b32_e32 v44, 2, v19
	ds_bpermute_b32 v19, v44, v18
	s_waitcnt lgkmcnt(0)
	v_max_f32_e32 v19, v19, v19
	v_max_f32_e32 v42, v18, v19
	v_sub_f32_e32 v21, v40, v42
	v_sub_f32_e32 v26, v41, v42
	v_mul_f32_e32 v21, 0x3fb8aa3b, v21
	v_mul_f32_e32 v26, 0x3fb8aa3b, v26
	v_sub_f32_e32 v18, v30, v42
	v_exp_f32_e32 v21, v21
	v_exp_f32_e32 v26, v26
	v_mul_f32_e32 v18, 0x3fb8aa3b, v18
	v_sub_f32_e32 v19, v31, v42
	v_exp_f32_e32 v18, v18
	v_mul_f32_e32 v19, 0x3fb8aa3b, v19
	v_exp_f32_e32 v19, v19
	v_cndmask_b32_e64 v28, 0, v21, s[30:31]
	v_cndmask_b32_e64 v29, 0, v26, s[34:35]
	v_sub_f32_e32 v21, v38, v42
	v_sub_f32_e32 v26, v39, v42
	v_mul_f32_e32 v21, 0x3fb8aa3b, v21
	v_mul_f32_e32 v26, 0x3fb8aa3b, v26
	v_cndmask_b32_e64 v18, 0, v18, s[26:27]
	v_exp_f32_e32 v21, v21
	v_exp_f32_e32 v26, v26
	v_add_f32_e32 v20, 0, v18
	v_cndmask_b32_e64 v19, 0, v19, s[28:29]
	v_add_f32_e32 v20, v20, v19
	v_add_f32_e32 v20, v20, v28
	;; [unrolled: 1-line block ×3, first 2 shown]
	v_cndmask_b32_e64 v20, 0, v21, s[36:37]
	v_cndmask_b32_e64 v21, 0, v26, s[38:39]
	v_sub_f32_e32 v26, v36, v42
	v_mul_f32_e32 v26, 0x3fb8aa3b, v26
	v_exp_f32_e32 v26, v26
	v_sub_f32_e32 v30, v37, v42
	v_add_f32_e32 v27, v27, v20
	v_mul_f32_e32 v30, 0x3fb8aa3b, v30
	v_exp_f32_e32 v31, v30
	v_add_f32_e32 v27, v27, v21
	v_cndmask_b32_e64 v30, 0, v26, s[20:21]
	v_add_f32_e32 v26, v27, v30
	v_sub_f32_e32 v27, v34, v42
	v_mul_f32_e32 v27, 0x3fb8aa3b, v27
	v_sub_f32_e32 v34, v35, v42
	v_exp_f32_e32 v27, v27
	v_mul_f32_e32 v34, 0x3fb8aa3b, v34
	v_sub_f32_e32 v22, v22, v42
	v_exp_f32_e32 v34, v34
	;; [unrolled: 3-line block ×3, first 2 shown]
	v_mul_f32_e32 v23, 0x3fb8aa3b, v23
	v_cndmask_b32_e64 v31, 0, v31, s[22:23]
	v_exp_f32_e32 v23, v23
	v_add_f32_e32 v35, v26, v31
	v_cndmask_b32_e64 v26, 0, v27, s[16:17]
	v_add_f32_e32 v35, v35, v26
	v_cndmask_b32_e64 v27, 0, v34, s[18:19]
	;; [unrolled: 2-line block ×4, first 2 shown]
	v_sub_f32_e32 v23, v32, v42
	v_mul_f32_e32 v23, 0x3fb8aa3b, v23
	v_sub_f32_e32 v32, v33, v42
	v_exp_f32_e32 v23, v23
	v_mul_f32_e32 v32, 0x3fb8aa3b, v32
	v_sub_f32_e32 v24, v24, v42
	v_exp_f32_e32 v32, v32
	;; [unrolled: 3-line block ×3, first 2 shown]
	v_mul_f32_e32 v25, 0x3fb8aa3b, v25
	v_exp_f32_e32 v25, v25
	v_add_f32_e32 v33, v22, v35
	v_cndmask_b32_e64 v22, 0, v23, s[8:9]
	v_add_f32_e32 v33, v33, v22
	v_cndmask_b32_e64 v23, 0, v32, s[10:11]
	v_add_f32_e32 v32, v33, v23
	v_cndmask_b32_e32 v24, 0, v24, vcc
	v_add_f32_e32 v32, v32, v24
	v_cndmask_b32_e64 v25, 0, v25, s[2:3]
	v_add_f32_e32 v32, v32, v25
	ds_bpermute_b32 v33, v43, v32
	v_cmp_gt_u32_e32 vcc, 16, v50
	s_waitcnt lgkmcnt(0)
	v_add_f32_e32 v33, v32, v33
	ds_bpermute_b32 v36, v44, v33
	v_lshlrev_b32_e32 v32, 2, v48
	s_and_saveexec_b64 s[2:3], vcc
	s_cbranch_execz .LBB564_397
; %bb.396:
	s_waitcnt lgkmcnt(0)
	v_add_f32_e32 v33, v33, v36
	v_lshl_or_b32 v36, v49, 6, v32
	ds_write2st64_b32 v36, v42, v33 offset1:1
.LBB564_397:
	s_or_b64 exec, exec, s[2:3]
	s_waitcnt lgkmcnt(0)
	s_barrier
	ds_read2_b32 v[36:37], v32 offset1:16
	ds_read2_b32 v[38:39], v32 offset0:32 offset1:48
	ds_read2_b32 v[40:41], v32 offset0:64 offset1:80
	;; [unrolled: 1-line block ×3, first 2 shown]
	s_waitcnt lgkmcnt(0)
	v_max3_f32 v33, v36, s46, v37
	v_max3_f32 v33, v33, v38, v39
	v_sub_f32_e32 v36, v36, v33
	v_mul_f32_e32 v36, 0x3fb8aa3b, v36
	v_exp_f32_e32 v44, v36
	v_sub_f32_e32 v36, v37, v33
	v_mul_f32_e32 v36, 0x3fb8aa3b, v36
	v_exp_f32_e32 v37, v36
	v_sub_f32_e32 v36, v38, v33
	v_mul_f32_e32 v36, 0x3fb8aa3b, v36
	v_sub_f32_e32 v32, v39, v33
	v_exp_f32_e32 v38, v36
	v_mul_f32_e32 v32, 0x3fb8aa3b, v32
	v_exp_f32_e32 v39, v32
	v_fma_f32 v36, v44, v40, 0
	v_fmac_f32_e32 v36, v37, v41
	v_fmac_f32_e32 v36, v38, v42
	;; [unrolled: 1-line block ×3, first 2 shown]
	v_add_f32_e32 v40, 0x358637bd, v36
	v_div_scale_f32 v41, s[2:3], v40, v40, 1.0
	v_rcp_f32_e32 v42, v41
	s_barrier
	s_mul_i32 s12, s45, 7
	v_fma_f32 v43, -v41, v42, 1.0
	v_fmac_f32_e32 v42, v43, v42
	v_div_scale_f32 v43, vcc, 1.0, v40, 1.0
	v_mul_f32_e32 v45, v43, v42
	v_fma_f32 v50, -v41, v45, v43
	v_fmac_f32_e32 v45, v50, v42
	v_fma_f32 v41, -v41, v45, v43
	v_div_fmas_f32 v41, v41, v42, v45
	v_cmp_eq_u32_e32 vcc, 1, v49
	v_cndmask_b32_e32 v37, v44, v37, vcc
	v_cmp_eq_u32_e32 vcc, 2, v49
	v_cndmask_b32_e32 v37, v37, v38, vcc
	v_cmp_eq_u32_e32 vcc, 3, v49
	v_div_fixup_f32 v40, v41, v40, 1.0
	v_cndmask_b32_e32 v37, v37, v39, vcc
	v_mul_f32_e32 v38, v37, v40
	v_pk_mul_f32 v[28:29], v[38:39], v[28:29] op_sel_hi:[0,1]
	v_cvt_f16_f32_e32 v28, v28
	v_cvt_f16_f32_e32 v29, v29
	v_pk_mul_f32 v[18:19], v[38:39], v[18:19] op_sel_hi:[0,1]
	v_cvt_f16_f32_e32 v18, v18
	v_cvt_f16_f32_e32 v19, v19
	v_pack_b32_f16 v41, v28, v29
	v_pk_mul_f32 v[28:29], v[38:39], v[30:31] op_sel_hi:[0,1]
	v_pk_mul_f32 v[20:21], v[38:39], v[20:21] op_sel_hi:[0,1]
	v_cvt_f16_f32_e32 v20, v20
	v_cvt_f16_f32_e32 v21, v21
	v_cvt_f16_f32_e32 v30, v28
	v_cvt_f16_f32_e32 v29, v29
	v_pack_b32_f16 v40, v18, v19
	v_lshlrev_b32_e32 v18, 3, v1
	v_lshlrev_b32_e32 v19, 5, v48
	;; [unrolled: 1-line block ×3, first 2 shown]
	v_or3_b32 v28, v28, v19, v18
	v_pack_b32_f16 v20, v20, v21
	v_pack_b32_f16 v21, v30, v29
	ds_write2st64_b64 v28, v[40:41], v[20:21] offset1:1
	v_pk_mul_f32 v[20:21], v[38:39], v[34:35] op_sel_hi:[0,1]
	v_pk_mul_f32 v[26:27], v[38:39], v[26:27] op_sel_hi:[0,1]
	v_cvt_f16_f32_e32 v18, v26
	v_cvt_f16_f32_e32 v26, v27
	;; [unrolled: 1-line block ×4, first 2 shown]
	v_pk_mul_f32 v[20:21], v[38:39], v[24:25] op_sel_hi:[0,1]
	v_pk_mul_f32 v[22:23], v[38:39], v[22:23] op_sel_hi:[0,1]
	v_cvt_f16_f32_e32 v22, v22
	v_cvt_f16_f32_e32 v23, v23
	v_cvt_f16_f32_e32 v24, v20
	v_cvt_f16_f32_e32 v25, v21
	v_mov_b32_e32 v32, 0
	v_pack_b32_f16 v20, v18, v26
	v_pack_b32_f16 v21, v27, v29
	;; [unrolled: 1-line block ×4, first 2 shown]
	v_cmp_gt_u32_e32 vcc, 7, v0
	ds_write2st64_b64 v28, v[20:21], v[22:23] offset0:2 offset1:3
	s_and_saveexec_b64 s[2:3], vcc
	s_cbranch_execz .LBB564_399
; %bb.398:
	v_add_co_u32_e32 v22, vcc, s25, v48
	v_addc_co_u32_e64 v23, s[14:15], 0, 0, vcc
	v_mov_b32_e32 v18, s12
	v_mov_b32_e32 v21, 0
	v_mad_u64_u32 v[22:23], s[14:15], s6, v18, v[22:23]
	v_mov_b32_e32 v20, s24
	s_load_dwordx4 s[8:11], s[4:5], 0x58
	s_mul_i32 s7, s7, s12
	v_mad_u64_u32 v[20:21], s[14:15], v22, s44, v[20:21]
	v_add_u32_e32 v23, s7, v23
	v_mov_b32_e32 v18, v21
	v_mad_u64_u32 v[22:23], s[14:15], v23, s44, v[18:19]
	v_mov_b32_e32 v21, v22
	v_lshlrev_b64 v[20:21], 2, v[20:21]
	s_waitcnt lgkmcnt(0)
	v_mov_b32_e32 v18, s11
	v_add_co_u32_e32 v22, vcc, s10, v20
	v_addc_co_u32_e32 v23, vcc, v18, v21, vcc
	v_mov_b32_e32 v18, s9
	v_add_co_u32_e32 v20, vcc, s8, v20
	v_addc_co_u32_e32 v21, vcc, v18, v21, vcc
	global_store_dword v[22:23], v33, off
	global_store_dword v[20:21], v36, off
.LBB564_399:
	s_or_b64 exec, exec, s[2:3]
	v_mov_b32_e32 v20, 0
	s_waitcnt vmcnt(3)
	v_cmp_ne_u16_sdwa s[8:9], v14, v20 src0_sel:BYTE_0 src1_sel:DWORD
	s_waitcnt lgkmcnt(0)
	s_barrier
	s_and_saveexec_b64 s[2:3], s[8:9]
	s_cbranch_execz .LBB564_405
; %bb.400:
	s_movk_i32 s7, 0x80
	v_cmp_ne_u16_sdwa s[10:11], v14, s7 src0_sel:BYTE_0 src1_sel:DWORD
	v_bfrev_b32_e32 v32, 1
	s_and_saveexec_b64 s[8:9], s[10:11]
	s_cbranch_execz .LBB564_404
; %bb.401:
	s_movk_i32 s7, 0x7f
	v_and_b32_e32 v18, 0x7f, v14
	v_cmp_ne_u32_e32 vcc, s7, v18
	v_mov_b32_e32 v32, 0x7f800001
	s_and_saveexec_b64 s[10:11], vcc
	s_cbranch_execz .LBB564_403
; %bb.402:
	v_and_b32_e32 v21, 7, v14
	v_ffbh_u32_e32 v22, v21
	v_min_u32_e32 v25, 32, v22
	v_subrev_u32_e32 v22, 28, v25
	v_lshlrev_b64 v[22:23], v22, v[14:15]
	v_lshrrev_b32_e32 v24, 3, v18
	v_sub_u32_e32 v23, 29, v25
	v_and_b32_e32 v22, 7, v22
	v_cmp_gt_u32_e32 vcc, 8, v18
	v_cndmask_b32_e32 v18, v24, v23, vcc
	v_cndmask_b32_e32 v21, v21, v22, vcc
	v_lshlrev_b32_e32 v22, 24, v14
	v_bfrev_b32_e32 v23, 60
	v_lshlrev_b32_e32 v21, 20, v21
	v_and_b32_e32 v22, 0x80000000, v22
	v_lshl_add_u32 v18, v18, 23, v23
	v_or3_b32 v32, v22, v18, v21
.LBB564_403:
	s_or_b64 exec, exec, s[10:11]
.LBB564_404:
	s_or_b64 exec, exec, s[8:9]
.LBB564_405:
	s_or_b64 exec, exec, s[2:3]
	v_lshrrev_b16_e32 v18, 8, v14
	v_cmp_ne_u16_e32 vcc, 0, v18
	v_mov_b32_e32 v21, 0
	s_and_saveexec_b64 s[2:3], vcc
	s_cbranch_execz .LBB564_411
; %bb.406:
	s_movk_i32 s7, 0x80
	v_cmp_ne_u16_e32 vcc, s7, v18
	v_bfrev_b32_e32 v21, 1
	s_and_saveexec_b64 s[8:9], vcc
	s_cbranch_execz .LBB564_410
; %bb.407:
	s_movk_i32 s7, 0x7f
	v_and_b32_e32 v22, 0x7f, v18
	v_cmp_ne_u32_e32 vcc, s7, v22
	v_mov_b32_e32 v21, 0x7f800001
	s_and_saveexec_b64 s[10:11], vcc
	s_cbranch_execz .LBB564_409
; %bb.408:
	v_and_b32_e32 v21, 7, v18
	v_ffbh_u32_e32 v24, v21
	v_min_u32_e32 v26, 32, v24
	v_subrev_u32_e32 v24, 28, v26
	v_lshlrev_b64 v[24:25], v24, v[18:19]
	v_lshrrev_b32_e32 v23, 3, v22
	v_sub_u32_e32 v18, 29, v26
	v_and_b32_e32 v24, 7, v24
	v_cmp_gt_u32_e32 vcc, 8, v22
	v_cndmask_b32_e32 v18, v23, v18, vcc
	v_cndmask_b32_e32 v21, v21, v24, vcc
	v_lshlrev_b32_e32 v22, 16, v14
	v_bfrev_b32_e32 v23, 60
	v_lshlrev_b32_e32 v21, 20, v21
	v_and_b32_e32 v22, 0x80000000, v22
	v_lshl_add_u32 v18, v18, 23, v23
	v_or3_b32 v21, v22, v18, v21
.LBB564_409:
	s_or_b64 exec, exec, s[10:11]
.LBB564_410:
	s_or_b64 exec, exec, s[8:9]
.LBB564_411:
	s_or_b64 exec, exec, s[2:3]
	s_movk_i32 s2, 0xff
	v_and_b32_sdwa v22, v14, s2 dst_sel:DWORD dst_unused:UNUSED_PAD src0_sel:WORD_1 src1_sel:DWORD
	v_lshrrev_b32_e32 v18, 16, v14
	v_cmp_ne_u16_e32 vcc, 0, v22
	s_and_saveexec_b64 s[2:3], vcc
	s_cbranch_execz .LBB564_417
; %bb.412:
	s_movk_i32 s7, 0x80
	v_cmp_ne_u16_e32 vcc, s7, v22
	v_bfrev_b32_e32 v20, 1
	s_and_saveexec_b64 s[8:9], vcc
	s_cbranch_execz .LBB564_416
; %bb.413:
	v_bfe_u32 v22, v14, 16, 7
	s_movk_i32 s7, 0x7f
	v_cmp_ne_u32_e32 vcc, s7, v22
	v_mov_b32_e32 v20, 0x7f800001
	s_and_saveexec_b64 s[10:11], vcc
	s_cbranch_execz .LBB564_415
; %bb.414:
	v_and_b32_e32 v20, 7, v18
	v_ffbh_u32_e32 v24, v20
	v_min_u32_e32 v26, 32, v24
	v_subrev_u32_e32 v24, 28, v26
	v_lshlrev_b64 v[24:25], v24, v[18:19]
	v_lshrrev_b32_e32 v23, 3, v22
	v_sub_u32_e32 v18, 29, v26
	v_and_b32_e32 v24, 7, v24
	v_cmp_gt_u32_e32 vcc, 8, v22
	v_mov_b32_e32 v22, 24
	v_cndmask_b32_e32 v18, v23, v18, vcc
	v_cndmask_b32_e32 v20, v20, v24, vcc
	v_lshlrev_b32_sdwa v22, v22, v14 dst_sel:DWORD dst_unused:UNUSED_PAD src0_sel:DWORD src1_sel:WORD_1
	v_bfrev_b32_e32 v23, 60
	v_lshlrev_b32_e32 v20, 20, v20
	v_and_b32_e32 v22, 0x80000000, v22
	v_lshl_add_u32 v18, v18, 23, v23
	v_or3_b32 v20, v22, v18, v20
.LBB564_415:
	s_or_b64 exec, exec, s[10:11]
.LBB564_416:
	s_or_b64 exec, exec, s[8:9]
.LBB564_417:
	s_or_b64 exec, exec, s[2:3]
	s_mov_b32 s2, 0xffffff
	v_cmp_lt_u32_e32 vcc, s2, v14
	v_mov_b32_e32 v24, 0
	v_mov_b32_e32 v22, 0
	s_and_saveexec_b64 s[2:3], vcc
	s_cbranch_execz .LBB564_423
; %bb.418:
	v_lshrrev_b32_e32 v18, 24, v14
	s_movk_i32 s7, 0x80
	v_cmp_ne_u32_e32 vcc, s7, v18
	v_bfrev_b32_e32 v22, 1
	s_and_saveexec_b64 s[8:9], vcc
	s_cbranch_execz .LBB564_422
; %bb.419:
	v_bfe_u32 v14, v14, 24, 7
	s_movk_i32 s7, 0x7f
	v_cmp_ne_u32_e32 vcc, s7, v14
	v_mov_b32_e32 v22, 0x7f800001
	s_and_saveexec_b64 s[10:11], vcc
	s_cbranch_execz .LBB564_421
; %bb.420:
	v_and_b32_e32 v25, 7, v18
	v_ffbh_u32_e32 v22, v25
	v_min_u32_e32 v27, 32, v22
	v_subrev_u32_e32 v22, 28, v27
	v_lshlrev_b64 v[22:23], v22, v[18:19]
	v_lshrrev_b32_e32 v26, 3, v14
	v_sub_u32_e32 v23, 29, v27
	v_and_b32_e32 v22, 7, v22
	v_cmp_gt_u32_e32 vcc, 8, v14
	v_cndmask_b32_e32 v14, v26, v23, vcc
	v_cndmask_b32_e32 v22, v25, v22, vcc
	v_lshlrev_b32_e32 v18, 24, v18
	v_bfrev_b32_e32 v23, 60
	v_lshlrev_b32_e32 v22, 20, v22
	v_and_b32_e32 v18, 0x80000000, v18
	v_lshl_add_u32 v14, v14, 23, v23
	v_or3_b32 v22, v18, v14, v22
.LBB564_421:
	s_or_b64 exec, exec, s[10:11]
.LBB564_422:
	s_or_b64 exec, exec, s[8:9]
.LBB564_423:
	s_or_b64 exec, exec, s[2:3]
	v_cmp_ne_u16_sdwa s[8:9], v15, v24 src0_sel:BYTE_0 src1_sel:DWORD
	s_and_saveexec_b64 s[2:3], s[8:9]
	s_cbranch_execz .LBB564_429
; %bb.424:
	s_movk_i32 s7, 0x80
	v_cmp_ne_u16_sdwa s[10:11], v15, s7 src0_sel:BYTE_0 src1_sel:DWORD
	v_bfrev_b32_e32 v24, 1
	s_and_saveexec_b64 s[8:9], s[10:11]
	s_cbranch_execz .LBB564_428
; %bb.425:
	s_movk_i32 s7, 0x7f
	v_and_b32_e32 v14, 0x7f, v15
	v_cmp_ne_u32_e32 vcc, s7, v14
	v_mov_b32_e32 v24, 0x7f800001
	s_and_saveexec_b64 s[10:11], vcc
	s_cbranch_execz .LBB564_427
; %bb.426:
	v_and_b32_e32 v23, 7, v15
	v_ffbh_u32_e32 v24, v23
	v_min_u32_e32 v27, 32, v24
	v_mov_b32_e32 v18, v15
	v_subrev_u32_e32 v24, 28, v27
	v_lshlrev_b64 v[24:25], v24, v[18:19]
	v_lshrrev_b32_e32 v26, 3, v14
	v_sub_u32_e32 v18, 29, v27
	v_and_b32_e32 v24, 7, v24
	v_cmp_gt_u32_e32 vcc, 8, v14
	v_cndmask_b32_e32 v14, v26, v18, vcc
	v_cndmask_b32_e32 v18, v23, v24, vcc
	v_lshlrev_b32_e32 v23, 24, v15
	v_bfrev_b32_e32 v24, 60
	v_lshlrev_b32_e32 v18, 20, v18
	v_and_b32_e32 v23, 0x80000000, v23
	v_lshl_add_u32 v14, v14, 23, v24
	v_or3_b32 v24, v23, v14, v18
.LBB564_427:
	s_or_b64 exec, exec, s[10:11]
.LBB564_428:
	s_or_b64 exec, exec, s[8:9]
.LBB564_429:
	s_or_b64 exec, exec, s[2:3]
	v_lshrrev_b16_e32 v14, 8, v15
	v_cmp_ne_u16_e32 vcc, 0, v14
	v_mov_b32_e32 v18, 0
	v_mov_b32_e32 v25, 0
	s_and_saveexec_b64 s[2:3], vcc
	s_cbranch_execz .LBB564_435
; %bb.430:
	s_movk_i32 s7, 0x80
	v_cmp_ne_u16_e32 vcc, s7, v14
	v_bfrev_b32_e32 v25, 1
	s_and_saveexec_b64 s[8:9], vcc
	s_cbranch_execz .LBB564_434
; %bb.431:
	s_movk_i32 s7, 0x7f
	v_and_b32_e32 v23, 0x7f, v14
	v_cmp_ne_u32_e32 vcc, s7, v23
	v_mov_b32_e32 v25, 0x7f800001
	s_and_saveexec_b64 s[10:11], vcc
	s_cbranch_execz .LBB564_433
; %bb.432:
	v_and_b32_e32 v25, 7, v14
	v_ffbh_u32_e32 v26, v25
	v_min_u32_e32 v30, 32, v26
	v_subrev_u32_e32 v26, 28, v30
	v_lshlrev_b64 v[26:27], v26, v[14:15]
	v_lshrrev_b32_e32 v29, 3, v23
	v_sub_u32_e32 v14, 29, v30
	v_and_b32_e32 v26, 7, v26
	v_cmp_gt_u32_e32 vcc, 8, v23
	v_cndmask_b32_e32 v14, v29, v14, vcc
	v_cndmask_b32_e32 v23, v25, v26, vcc
	v_lshlrev_b32_e32 v25, 16, v15
	v_bfrev_b32_e32 v26, 60
	v_lshlrev_b32_e32 v23, 20, v23
	v_and_b32_e32 v25, 0x80000000, v25
	v_lshl_add_u32 v14, v14, 23, v26
	v_or3_b32 v25, v25, v14, v23
.LBB564_433:
	s_or_b64 exec, exec, s[10:11]
.LBB564_434:
	s_or_b64 exec, exec, s[8:9]
.LBB564_435:
	s_or_b64 exec, exec, s[2:3]
	s_movk_i32 s2, 0xff
	v_and_b32_sdwa v23, v15, s2 dst_sel:DWORD dst_unused:UNUSED_PAD src0_sel:WORD_1 src1_sel:DWORD
	v_lshrrev_b32_e32 v14, 16, v15
	v_cmp_ne_u16_e32 vcc, 0, v23
	s_and_saveexec_b64 s[2:3], vcc
	s_cbranch_execz .LBB564_441
; %bb.436:
	s_movk_i32 s7, 0x80
	v_cmp_ne_u16_e32 vcc, s7, v23
	v_bfrev_b32_e32 v18, 1
	s_and_saveexec_b64 s[8:9], vcc
	s_cbranch_execz .LBB564_440
; %bb.437:
	v_bfe_u32 v23, v15, 16, 7
	s_movk_i32 s7, 0x7f
	v_cmp_ne_u32_e32 vcc, s7, v23
	v_mov_b32_e32 v18, 0x7f800001
	s_and_saveexec_b64 s[10:11], vcc
	s_cbranch_execz .LBB564_439
; %bb.438:
	v_and_b32_e32 v18, 7, v14
	v_ffbh_u32_e32 v26, v18
	v_min_u32_e32 v30, 32, v26
	v_subrev_u32_e32 v26, 28, v30
	v_lshlrev_b64 v[26:27], v26, v[14:15]
	v_lshrrev_b32_e32 v29, 3, v23
	v_sub_u32_e32 v14, 29, v30
	v_and_b32_e32 v26, 7, v26
	v_cmp_gt_u32_e32 vcc, 8, v23
	v_mov_b32_e32 v23, 24
	v_cndmask_b32_e32 v14, v29, v14, vcc
	v_cndmask_b32_e32 v18, v18, v26, vcc
	v_lshlrev_b32_sdwa v23, v23, v15 dst_sel:DWORD dst_unused:UNUSED_PAD src0_sel:DWORD src1_sel:WORD_1
	v_bfrev_b32_e32 v26, 60
	v_lshlrev_b32_e32 v18, 20, v18
	v_and_b32_e32 v23, 0x80000000, v23
	v_lshl_add_u32 v14, v14, 23, v26
	v_or3_b32 v18, v23, v14, v18
.LBB564_439:
	s_or_b64 exec, exec, s[10:11]
.LBB564_440:
	s_or_b64 exec, exec, s[8:9]
.LBB564_441:
	s_or_b64 exec, exec, s[2:3]
	s_mov_b32 s2, 0xffffff
	v_cmp_lt_u32_e32 vcc, s2, v15
	v_mov_b32_e32 v23, 0
	v_mov_b32_e32 v26, 0
	s_and_saveexec_b64 s[2:3], vcc
	s_cbranch_execz .LBB564_447
; %bb.442:
	v_lshrrev_b32_e32 v14, 24, v15
	s_movk_i32 s7, 0x80
	v_cmp_ne_u32_e32 vcc, s7, v14
	v_bfrev_b32_e32 v26, 1
	s_and_saveexec_b64 s[8:9], vcc
	s_cbranch_execz .LBB564_446
; %bb.443:
	v_bfe_u32 v15, v15, 24, 7
	s_movk_i32 s7, 0x7f
	v_cmp_ne_u32_e32 vcc, s7, v15
	v_mov_b32_e32 v26, 0x7f800001
	s_and_saveexec_b64 s[10:11], vcc
	s_cbranch_execz .LBB564_445
; %bb.444:
	v_and_b32_e32 v29, 7, v14
	v_ffbh_u32_e32 v26, v29
	v_min_u32_e32 v31, 32, v26
	v_subrev_u32_e32 v26, 28, v31
	v_lshlrev_b64 v[26:27], v26, v[14:15]
	v_lshrrev_b32_e32 v30, 3, v15
	v_sub_u32_e32 v27, 29, v31
	v_and_b32_e32 v26, 7, v26
	v_cmp_gt_u32_e32 vcc, 8, v15
	v_cndmask_b32_e32 v15, v30, v27, vcc
	v_cndmask_b32_e32 v26, v29, v26, vcc
	v_lshlrev_b32_e32 v14, 24, v14
	v_bfrev_b32_e32 v27, 60
	v_lshlrev_b32_e32 v26, 20, v26
	v_and_b32_e32 v14, 0x80000000, v14
	v_lshl_add_u32 v15, v15, 23, v27
	v_or3_b32 v26, v14, v15, v26
.LBB564_445:
	s_or_b64 exec, exec, s[10:11]
.LBB564_446:
	s_or_b64 exec, exec, s[8:9]
.LBB564_447:
	s_or_b64 exec, exec, s[2:3]
	v_cvt_pkrtz_f16_f32 v15, v20, v22
	v_lshl_or_b32 v22, v1, 9, v19
	v_cvt_pkrtz_f16_f32 v14, v32, v21
	ds_read_b128 v[30:33], v22
	v_cmp_ne_u16_sdwa s[8:9], v16, v23 src0_sel:BYTE_0 src1_sel:DWORD
	s_waitcnt lgkmcnt(0)
	v_mfma_f32_16x16x16f16 v[34:37], v[14:15], v[30:31], 0
	v_cvt_pkrtz_f16_f32 v14, v24, v25
	v_cvt_pkrtz_f16_f32 v15, v18, v26
	s_nop 1
	v_mfma_f32_16x16x16f16 v[18:21], v[14:15], v[32:33], v[34:37]
	s_and_saveexec_b64 s[2:3], s[8:9]
	s_cbranch_execz .LBB564_453
; %bb.448:
	s_movk_i32 s7, 0x80
	v_cmp_ne_u16_sdwa s[10:11], v16, s7 src0_sel:BYTE_0 src1_sel:DWORD
	v_bfrev_b32_e32 v23, 1
	s_and_saveexec_b64 s[8:9], s[10:11]
	s_cbranch_execz .LBB564_452
; %bb.449:
	s_movk_i32 s7, 0x7f
	v_and_b32_e32 v14, 0x7f, v16
	v_cmp_ne_u32_e32 vcc, s7, v14
	v_mov_b32_e32 v23, 0x7f800001
	s_and_saveexec_b64 s[10:11], vcc
	s_cbranch_execz .LBB564_451
; %bb.450:
	v_and_b32_e32 v15, 7, v16
	v_ffbh_u32_e32 v24, v15
	v_min_u32_e32 v26, 32, v24
	v_subrev_u32_e32 v24, 28, v26
	v_lshlrev_b64 v[24:25], v24, v[16:17]
	v_lshrrev_b32_e32 v23, 3, v14
	v_sub_u32_e32 v25, 29, v26
	v_and_b32_e32 v24, 7, v24
	v_cmp_gt_u32_e32 vcc, 8, v14
	v_cndmask_b32_e32 v14, v23, v25, vcc
	v_cndmask_b32_e32 v15, v15, v24, vcc
	v_lshlrev_b32_e32 v23, 24, v16
	v_bfrev_b32_e32 v24, 60
	v_lshlrev_b32_e32 v15, 20, v15
	v_and_b32_e32 v23, 0x80000000, v23
	v_lshl_add_u32 v14, v14, 23, v24
	v_or3_b32 v23, v23, v14, v15
.LBB564_451:
	s_or_b64 exec, exec, s[10:11]
.LBB564_452:
	s_or_b64 exec, exec, s[8:9]
.LBB564_453:
	s_or_b64 exec, exec, s[2:3]
	v_lshrrev_b16_e32 v14, 8, v16
	v_cmp_ne_u16_e32 vcc, 0, v14
	v_mov_b32_e32 v15, 0
	v_mov_b32_e32 v25, 0
	s_and_saveexec_b64 s[2:3], vcc
	s_cbranch_execz .LBB564_459
; %bb.454:
	s_movk_i32 s7, 0x80
	v_cmp_ne_u16_e32 vcc, s7, v14
	v_bfrev_b32_e32 v25, 1
	s_and_saveexec_b64 s[8:9], vcc
	s_cbranch_execz .LBB564_458
; %bb.455:
	s_movk_i32 s7, 0x7f
	v_and_b32_e32 v24, 0x7f, v14
	v_cmp_ne_u32_e32 vcc, s7, v24
	v_mov_b32_e32 v25, 0x7f800001
	s_and_saveexec_b64 s[10:11], vcc
	s_cbranch_execz .LBB564_457
; %bb.456:
	v_and_b32_e32 v25, 7, v14
	v_ffbh_u32_e32 v26, v25
	v_min_u32_e32 v30, 32, v26
	v_subrev_u32_e32 v26, 28, v30
	v_lshlrev_b64 v[26:27], v26, v[14:15]
	v_lshrrev_b32_e32 v29, 3, v24
	v_sub_u32_e32 v14, 29, v30
	v_and_b32_e32 v26, 7, v26
	v_cmp_gt_u32_e32 vcc, 8, v24
	v_cndmask_b32_e32 v14, v29, v14, vcc
	v_cndmask_b32_e32 v24, v25, v26, vcc
	v_lshlrev_b32_e32 v25, 16, v16
	v_bfrev_b32_e32 v26, 60
	v_lshlrev_b32_e32 v24, 20, v24
	v_and_b32_e32 v25, 0x80000000, v25
	v_lshl_add_u32 v14, v14, 23, v26
	v_or3_b32 v25, v25, v14, v24
.LBB564_457:
	s_or_b64 exec, exec, s[10:11]
.LBB564_458:
	s_or_b64 exec, exec, s[8:9]
.LBB564_459:
	s_or_b64 exec, exec, s[2:3]
	s_movk_i32 s2, 0xff
	v_and_b32_sdwa v24, v16, s2 dst_sel:DWORD dst_unused:UNUSED_PAD src0_sel:WORD_1 src1_sel:DWORD
	v_lshrrev_b32_e32 v14, 16, v16
	v_cmp_ne_u16_e32 vcc, 0, v24
	s_and_saveexec_b64 s[2:3], vcc
	s_cbranch_execz .LBB564_465
; %bb.460:
	s_movk_i32 s7, 0x80
	v_cmp_ne_u16_e32 vcc, s7, v24
	v_bfrev_b32_e32 v15, 1
	s_and_saveexec_b64 s[8:9], vcc
	s_cbranch_execz .LBB564_464
; %bb.461:
	v_bfe_u32 v24, v16, 16, 7
	s_movk_i32 s7, 0x7f
	v_cmp_ne_u32_e32 vcc, s7, v24
	v_mov_b32_e32 v15, 0x7f800001
	s_and_saveexec_b64 s[10:11], vcc
	s_cbranch_execz .LBB564_463
; %bb.462:
	v_and_b32_e32 v26, 7, v14
	v_ffbh_u32_e32 v15, v26
	v_min_u32_e32 v29, 32, v15
	v_subrev_u32_e32 v15, 28, v29
	v_lshlrev_b64 v[14:15], v15, v[14:15]
	v_lshrrev_b32_e32 v27, 3, v24
	v_sub_u32_e32 v15, 29, v29
	v_and_b32_e32 v14, 7, v14
	v_cmp_gt_u32_e32 vcc, 8, v24
	v_mov_b32_e32 v24, 24
	v_cndmask_b32_e32 v15, v27, v15, vcc
	v_cndmask_b32_e32 v14, v26, v14, vcc
	v_lshlrev_b32_sdwa v24, v24, v16 dst_sel:DWORD dst_unused:UNUSED_PAD src0_sel:DWORD src1_sel:WORD_1
	v_bfrev_b32_e32 v26, 60
	v_lshlrev_b32_e32 v14, 20, v14
	v_and_b32_e32 v24, 0x80000000, v24
	v_lshl_add_u32 v15, v15, 23, v26
	v_or3_b32 v15, v24, v15, v14
.LBB564_463:
	s_or_b64 exec, exec, s[10:11]
.LBB564_464:
	s_or_b64 exec, exec, s[8:9]
.LBB564_465:
	s_or_b64 exec, exec, s[2:3]
	s_mov_b32 s2, 0xffffff
	v_cmp_lt_u32_e32 vcc, s2, v16
	v_mov_b32_e32 v26, 0
	v_mov_b32_e32 v27, 0
	s_and_saveexec_b64 s[2:3], vcc
	s_cbranch_execz .LBB564_471
; %bb.466:
	v_lshrrev_b32_e32 v14, 24, v16
	s_movk_i32 s7, 0x80
	v_cmp_ne_u32_e32 vcc, s7, v14
	v_bfrev_b32_e32 v27, 1
	s_and_saveexec_b64 s[8:9], vcc
	s_cbranch_execz .LBB564_470
; %bb.467:
	v_bfe_u32 v16, v16, 24, 7
	s_movk_i32 s7, 0x7f
	v_cmp_ne_u32_e32 vcc, s7, v16
	v_mov_b32_e32 v27, 0x7f800001
	s_and_saveexec_b64 s[10:11], vcc
	s_cbranch_execz .LBB564_469
; %bb.468:
	v_and_b32_e32 v24, 7, v14
	v_ffbh_u32_e32 v29, v24
	v_min_u32_e32 v29, 32, v29
	v_subrev_u32_e32 v30, 28, v29
	v_lshlrev_b64 v[30:31], v30, v[14:15]
	v_lshrrev_b32_e32 v27, 3, v16
	v_sub_u32_e32 v29, 29, v29
	v_and_b32_e32 v30, 7, v30
	v_cmp_gt_u32_e32 vcc, 8, v16
	v_cndmask_b32_e32 v16, v27, v29, vcc
	v_cndmask_b32_e32 v24, v24, v30, vcc
	v_lshlrev_b32_e32 v14, 24, v14
	v_bfrev_b32_e32 v27, 60
	v_lshlrev_b32_e32 v24, 20, v24
	v_and_b32_e32 v14, 0x80000000, v14
	v_lshl_add_u32 v16, v16, 23, v27
	v_or3_b32 v27, v14, v16, v24
.LBB564_469:
	s_or_b64 exec, exec, s[10:11]
.LBB564_470:
	s_or_b64 exec, exec, s[8:9]
.LBB564_471:
	s_or_b64 exec, exec, s[2:3]
	v_cmp_ne_u16_sdwa s[8:9], v17, v26 src0_sel:BYTE_0 src1_sel:DWORD
	s_and_saveexec_b64 s[2:3], s[8:9]
	s_cbranch_execz .LBB564_477
; %bb.472:
	s_movk_i32 s7, 0x80
	v_cmp_ne_u16_sdwa s[10:11], v17, s7 src0_sel:BYTE_0 src1_sel:DWORD
	v_bfrev_b32_e32 v26, 1
	s_and_saveexec_b64 s[8:9], s[10:11]
	s_cbranch_execz .LBB564_476
; %bb.473:
	s_movk_i32 s7, 0x7f
	v_and_b32_e32 v14, 0x7f, v17
	v_cmp_ne_u32_e32 vcc, s7, v14
	v_mov_b32_e32 v26, 0x7f800001
	s_and_saveexec_b64 s[10:11], vcc
	s_cbranch_execz .LBB564_475
; %bb.474:
	v_and_b32_e32 v24, 7, v17
	v_ffbh_u32_e32 v29, v24
	v_min_u32_e32 v29, 32, v29
	v_mov_b32_e32 v16, v17
	v_subrev_u32_e32 v30, 28, v29
	v_lshlrev_b64 v[30:31], v30, v[16:17]
	v_lshrrev_b32_e32 v26, 3, v14
	v_sub_u32_e32 v16, 29, v29
	v_and_b32_e32 v29, 7, v30
	v_cmp_gt_u32_e32 vcc, 8, v14
	v_cndmask_b32_e32 v14, v26, v16, vcc
	v_cndmask_b32_e32 v16, v24, v29, vcc
	v_lshlrev_b32_e32 v24, 24, v17
	v_bfrev_b32_e32 v26, 60
	v_lshlrev_b32_e32 v16, 20, v16
	v_and_b32_e32 v24, 0x80000000, v24
	v_lshl_add_u32 v14, v14, 23, v26
	v_or3_b32 v26, v24, v14, v16
.LBB564_475:
	s_or_b64 exec, exec, s[10:11]
.LBB564_476:
	s_or_b64 exec, exec, s[8:9]
.LBB564_477:
	s_or_b64 exec, exec, s[2:3]
	v_lshrrev_b16_e32 v14, 8, v17
	v_cmp_ne_u16_e32 vcc, 0, v14
	v_mov_b32_e32 v16, 0
	v_mov_b32_e32 v29, 0
	s_and_saveexec_b64 s[2:3], vcc
	s_cbranch_execz .LBB564_483
; %bb.478:
	s_movk_i32 s7, 0x80
	v_cmp_ne_u16_e32 vcc, s7, v14
	v_bfrev_b32_e32 v29, 1
	s_and_saveexec_b64 s[8:9], vcc
	s_cbranch_execz .LBB564_482
; %bb.479:
	s_movk_i32 s7, 0x7f
	v_and_b32_e32 v24, 0x7f, v14
	v_cmp_ne_u32_e32 vcc, s7, v24
	v_mov_b32_e32 v29, 0x7f800001
	s_and_saveexec_b64 s[10:11], vcc
	s_cbranch_execz .LBB564_481
; %bb.480:
	v_and_b32_e32 v29, 7, v14
	v_ffbh_u32_e32 v30, v29
	v_min_u32_e32 v33, 32, v30
	v_subrev_u32_e32 v30, 28, v33
	v_lshlrev_b64 v[30:31], v30, v[14:15]
	v_lshrrev_b32_e32 v32, 3, v24
	v_sub_u32_e32 v14, 29, v33
	v_and_b32_e32 v30, 7, v30
	v_cmp_gt_u32_e32 vcc, 8, v24
	v_cndmask_b32_e32 v14, v32, v14, vcc
	v_cndmask_b32_e32 v24, v29, v30, vcc
	v_lshlrev_b32_e32 v29, 16, v17
	v_bfrev_b32_e32 v30, 60
	v_lshlrev_b32_e32 v24, 20, v24
	v_and_b32_e32 v29, 0x80000000, v29
	v_lshl_add_u32 v14, v14, 23, v30
	v_or3_b32 v29, v29, v14, v24
.LBB564_481:
	s_or_b64 exec, exec, s[10:11]
.LBB564_482:
	s_or_b64 exec, exec, s[8:9]
.LBB564_483:
	s_or_b64 exec, exec, s[2:3]
	s_movk_i32 s2, 0xff
	v_and_b32_sdwa v24, v17, s2 dst_sel:DWORD dst_unused:UNUSED_PAD src0_sel:WORD_1 src1_sel:DWORD
	v_lshrrev_b32_e32 v14, 16, v17
	v_cmp_ne_u16_e32 vcc, 0, v24
	s_and_saveexec_b64 s[2:3], vcc
	s_cbranch_execz .LBB564_489
; %bb.484:
	s_movk_i32 s7, 0x80
	v_cmp_ne_u16_e32 vcc, s7, v24
	v_bfrev_b32_e32 v16, 1
	s_and_saveexec_b64 s[8:9], vcc
	s_cbranch_execz .LBB564_488
; %bb.485:
	v_bfe_u32 v24, v17, 16, 7
	s_movk_i32 s7, 0x7f
	v_cmp_ne_u32_e32 vcc, s7, v24
	v_mov_b32_e32 v16, 0x7f800001
	s_and_saveexec_b64 s[10:11], vcc
	s_cbranch_execz .LBB564_487
; %bb.486:
	v_and_b32_e32 v16, 7, v14
	v_ffbh_u32_e32 v30, v16
	v_min_u32_e32 v33, 32, v30
	v_subrev_u32_e32 v30, 28, v33
	v_lshlrev_b64 v[30:31], v30, v[14:15]
	v_lshrrev_b32_e32 v32, 3, v24
	v_sub_u32_e32 v14, 29, v33
	v_and_b32_e32 v30, 7, v30
	v_cmp_gt_u32_e32 vcc, 8, v24
	v_mov_b32_e32 v24, 24
	v_cndmask_b32_e32 v14, v32, v14, vcc
	v_cndmask_b32_e32 v16, v16, v30, vcc
	v_lshlrev_b32_sdwa v24, v24, v17 dst_sel:DWORD dst_unused:UNUSED_PAD src0_sel:DWORD src1_sel:WORD_1
	v_bfrev_b32_e32 v30, 60
	v_lshlrev_b32_e32 v16, 20, v16
	v_and_b32_e32 v24, 0x80000000, v24
	v_lshl_add_u32 v14, v14, 23, v30
	v_or3_b32 v16, v24, v14, v16
.LBB564_487:
	s_or_b64 exec, exec, s[10:11]
.LBB564_488:
	s_or_b64 exec, exec, s[8:9]
.LBB564_489:
	s_or_b64 exec, exec, s[2:3]
	s_mov_b32 s2, 0xffffff
	v_cmp_lt_u32_e32 vcc, s2, v17
	v_mov_b32_e32 v24, 0
	v_mov_b32_e32 v30, 0
	s_and_saveexec_b64 s[2:3], vcc
	s_cbranch_execz .LBB564_495
; %bb.490:
	v_lshrrev_b32_e32 v14, 24, v17
	s_movk_i32 s7, 0x80
	v_cmp_ne_u32_e32 vcc, s7, v14
	v_bfrev_b32_e32 v30, 1
	s_and_saveexec_b64 s[8:9], vcc
	s_cbranch_execz .LBB564_494
; %bb.491:
	v_bfe_u32 v17, v17, 24, 7
	s_movk_i32 s7, 0x7f
	v_cmp_ne_u32_e32 vcc, s7, v17
	v_mov_b32_e32 v30, 0x7f800001
	s_and_saveexec_b64 s[10:11], vcc
	s_cbranch_execz .LBB564_493
; %bb.492:
	v_and_b32_e32 v32, 7, v14
	v_ffbh_u32_e32 v30, v32
	v_min_u32_e32 v34, 32, v30
	v_subrev_u32_e32 v30, 28, v34
	v_lshlrev_b64 v[30:31], v30, v[14:15]
	v_lshrrev_b32_e32 v33, 3, v17
	v_sub_u32_e32 v31, 29, v34
	v_and_b32_e32 v30, 7, v30
	v_cmp_gt_u32_e32 vcc, 8, v17
	v_cndmask_b32_e32 v17, v33, v31, vcc
	v_cndmask_b32_e32 v30, v32, v30, vcc
	v_lshlrev_b32_e32 v14, 24, v14
	v_bfrev_b32_e32 v31, 60
	v_lshlrev_b32_e32 v30, 20, v30
	v_and_b32_e32 v14, 0x80000000, v14
	v_lshl_add_u32 v17, v17, 23, v31
	v_or3_b32 v30, v14, v17, v30
.LBB564_493:
	s_or_b64 exec, exec, s[10:11]
.LBB564_494:
	s_or_b64 exec, exec, s[8:9]
.LBB564_495:
	s_or_b64 exec, exec, s[2:3]
	v_cvt_pkrtz_f16_f32 v14, v23, v25
	v_cvt_pkrtz_f16_f32 v15, v15, v27
	ds_read_b128 v[32:35], v22 offset:16
	s_waitcnt vmcnt(2)
	v_cmp_ne_u16_sdwa s[8:9], v10, v24 src0_sel:BYTE_0 src1_sel:DWORD
	s_waitcnt lgkmcnt(0)
	v_mfma_f32_16x16x16f16 v[18:21], v[14:15], v[32:33], v[18:21]
	v_cvt_pkrtz_f16_f32 v14, v26, v29
	v_cvt_pkrtz_f16_f32 v15, v16, v30
	s_nop 1
	v_mfma_f32_16x16x16f16 v[14:17], v[14:15], v[34:35], v[18:21]
	s_and_saveexec_b64 s[2:3], s[8:9]
	s_cbranch_execz .LBB564_501
; %bb.496:
	s_movk_i32 s7, 0x80
	v_cmp_ne_u16_sdwa s[10:11], v10, s7 src0_sel:BYTE_0 src1_sel:DWORD
	v_bfrev_b32_e32 v24, 1
	s_and_saveexec_b64 s[8:9], s[10:11]
	s_cbranch_execz .LBB564_500
; %bb.497:
	s_movk_i32 s7, 0x7f
	v_and_b32_e32 v18, 0x7f, v10
	v_cmp_ne_u32_e32 vcc, s7, v18
	v_mov_b32_e32 v24, 0x7f800001
	s_and_saveexec_b64 s[10:11], vcc
	s_cbranch_execz .LBB564_499
; %bb.498:
	v_and_b32_e32 v19, 7, v10
	v_ffbh_u32_e32 v20, v19
	v_min_u32_e32 v24, 32, v20
	v_subrev_u32_e32 v20, 28, v24
	v_lshlrev_b64 v[20:21], v20, v[10:11]
	v_lshrrev_b32_e32 v23, 3, v18
	v_sub_u32_e32 v21, 29, v24
	v_and_b32_e32 v20, 7, v20
	v_cmp_gt_u32_e32 vcc, 8, v18
	v_cndmask_b32_e32 v18, v23, v21, vcc
	v_cndmask_b32_e32 v19, v19, v20, vcc
	v_lshlrev_b32_e32 v20, 24, v10
	v_bfrev_b32_e32 v21, 60
	v_lshlrev_b32_e32 v19, 20, v19
	v_and_b32_e32 v20, 0x80000000, v20
	v_lshl_add_u32 v18, v18, 23, v21
	v_or3_b32 v24, v20, v18, v19
.LBB564_499:
	s_or_b64 exec, exec, s[10:11]
.LBB564_500:
	s_or_b64 exec, exec, s[8:9]
.LBB564_501:
	s_or_b64 exec, exec, s[2:3]
	s_nop 3
	v_lshrrev_b16_e32 v18, 8, v10
	v_cmp_ne_u16_e32 vcc, 0, v18
	v_mov_b32_e32 v19, 0
	v_mov_b32_e32 v20, 0
	s_and_saveexec_b64 s[2:3], vcc
	s_cbranch_execz .LBB564_507
; %bb.502:
	s_movk_i32 s7, 0x80
	v_cmp_ne_u16_e32 vcc, s7, v18
	v_bfrev_b32_e32 v20, 1
	s_and_saveexec_b64 s[8:9], vcc
	s_cbranch_execz .LBB564_506
; %bb.503:
	s_movk_i32 s7, 0x7f
	v_and_b32_e32 v21, 0x7f, v18
	v_cmp_ne_u32_e32 vcc, s7, v21
	v_mov_b32_e32 v20, 0x7f800001
	s_and_saveexec_b64 s[10:11], vcc
	s_cbranch_execz .LBB564_505
; %bb.504:
	v_and_b32_e32 v20, 7, v18
	v_ffbh_u32_e32 v25, v20
	v_min_u32_e32 v25, 32, v25
	v_subrev_u32_e32 v26, 28, v25
	v_lshlrev_b64 v[26:27], v26, v[18:19]
	v_lshrrev_b32_e32 v23, 3, v21
	v_sub_u32_e32 v18, 29, v25
	v_and_b32_e32 v25, 7, v26
	v_cmp_gt_u32_e32 vcc, 8, v21
	v_cndmask_b32_e32 v18, v23, v18, vcc
	v_cndmask_b32_e32 v20, v20, v25, vcc
	v_lshlrev_b32_e32 v21, 16, v10
	v_bfrev_b32_e32 v23, 60
	v_lshlrev_b32_e32 v20, 20, v20
	v_and_b32_e32 v21, 0x80000000, v21
	v_lshl_add_u32 v18, v18, 23, v23
	v_or3_b32 v20, v21, v18, v20
.LBB564_505:
	s_or_b64 exec, exec, s[10:11]
.LBB564_506:
	s_or_b64 exec, exec, s[8:9]
.LBB564_507:
	s_or_b64 exec, exec, s[2:3]
	s_movk_i32 s2, 0xff
	v_and_b32_sdwa v21, v10, s2 dst_sel:DWORD dst_unused:UNUSED_PAD src0_sel:WORD_1 src1_sel:DWORD
	v_lshrrev_b32_e32 v18, 16, v10
	v_cmp_ne_u16_e32 vcc, 0, v21
	s_and_saveexec_b64 s[2:3], vcc
	s_cbranch_execz .LBB564_513
; %bb.508:
	s_movk_i32 s7, 0x80
	v_cmp_ne_u16_e32 vcc, s7, v21
	v_bfrev_b32_e32 v19, 1
	s_and_saveexec_b64 s[8:9], vcc
	s_cbranch_execz .LBB564_512
; %bb.509:
	v_bfe_u32 v21, v10, 16, 7
	s_movk_i32 s7, 0x7f
	v_cmp_ne_u32_e32 vcc, s7, v21
	v_mov_b32_e32 v19, 0x7f800001
	s_and_saveexec_b64 s[10:11], vcc
	s_cbranch_execz .LBB564_511
; %bb.510:
	v_and_b32_e32 v23, 7, v18
	v_ffbh_u32_e32 v19, v23
	v_min_u32_e32 v26, 32, v19
	v_subrev_u32_e32 v19, 28, v26
	v_lshlrev_b64 v[18:19], v19, v[18:19]
	v_lshrrev_b32_e32 v25, 3, v21
	v_sub_u32_e32 v19, 29, v26
	v_and_b32_e32 v18, 7, v18
	v_cmp_gt_u32_e32 vcc, 8, v21
	v_mov_b32_e32 v21, 24
	v_cndmask_b32_e32 v19, v25, v19, vcc
	v_cndmask_b32_e32 v18, v23, v18, vcc
	v_lshlrev_b32_sdwa v21, v21, v10 dst_sel:DWORD dst_unused:UNUSED_PAD src0_sel:DWORD src1_sel:WORD_1
	v_bfrev_b32_e32 v23, 60
	v_lshlrev_b32_e32 v18, 20, v18
	v_and_b32_e32 v21, 0x80000000, v21
	v_lshl_add_u32 v19, v19, 23, v23
	v_or3_b32 v19, v21, v19, v18
.LBB564_511:
	s_or_b64 exec, exec, s[10:11]
.LBB564_512:
	s_or_b64 exec, exec, s[8:9]
.LBB564_513:
	s_or_b64 exec, exec, s[2:3]
	s_mov_b32 s2, 0xffffff
	v_cmp_lt_u32_e32 vcc, s2, v10
	v_mov_b32_e32 v21, 0
	v_mov_b32_e32 v23, 0
	s_and_saveexec_b64 s[2:3], vcc
	s_cbranch_execz .LBB564_519
; %bb.514:
	v_lshrrev_b32_e32 v18, 24, v10
	s_movk_i32 s7, 0x80
	v_cmp_ne_u32_e32 vcc, s7, v18
	v_bfrev_b32_e32 v23, 1
	s_and_saveexec_b64 s[8:9], vcc
	s_cbranch_execz .LBB564_518
; %bb.515:
	v_bfe_u32 v10, v10, 24, 7
	s_movk_i32 s7, 0x7f
	v_cmp_ne_u32_e32 vcc, s7, v10
	v_mov_b32_e32 v23, 0x7f800001
	s_and_saveexec_b64 s[10:11], vcc
	s_cbranch_execz .LBB564_517
; %bb.516:
	v_and_b32_e32 v23, 7, v18
	v_ffbh_u32_e32 v26, v23
	v_min_u32_e32 v29, 32, v26
	v_subrev_u32_e32 v26, 28, v29
	v_lshlrev_b64 v[26:27], v26, v[18:19]
	v_lshrrev_b32_e32 v25, 3, v10
	v_sub_u32_e32 v27, 29, v29
	v_and_b32_e32 v26, 7, v26
	v_cmp_gt_u32_e32 vcc, 8, v10
	v_cndmask_b32_e32 v10, v25, v27, vcc
	v_cndmask_b32_e32 v23, v23, v26, vcc
	v_lshlrev_b32_e32 v18, 24, v18
	v_bfrev_b32_e32 v25, 60
	v_lshlrev_b32_e32 v23, 20, v23
	v_and_b32_e32 v18, 0x80000000, v18
	v_lshl_add_u32 v10, v10, 23, v25
	v_or3_b32 v23, v18, v10, v23
.LBB564_517:
	s_or_b64 exec, exec, s[10:11]
.LBB564_518:
	s_or_b64 exec, exec, s[8:9]
.LBB564_519:
	s_or_b64 exec, exec, s[2:3]
	v_cmp_ne_u16_sdwa s[8:9], v11, v21 src0_sel:BYTE_0 src1_sel:DWORD
	s_and_saveexec_b64 s[2:3], s[8:9]
	s_cbranch_execz .LBB564_525
; %bb.520:
	s_movk_i32 s7, 0x80
	v_cmp_ne_u16_sdwa s[10:11], v11, s7 src0_sel:BYTE_0 src1_sel:DWORD
	v_bfrev_b32_e32 v21, 1
	s_and_saveexec_b64 s[8:9], s[10:11]
	s_cbranch_execz .LBB564_524
; %bb.521:
	s_movk_i32 s7, 0x7f
	v_and_b32_e32 v10, 0x7f, v11
	v_cmp_ne_u32_e32 vcc, s7, v10
	v_mov_b32_e32 v21, 0x7f800001
	s_and_saveexec_b64 s[10:11], vcc
	s_cbranch_execz .LBB564_523
; %bb.522:
	v_and_b32_e32 v21, 7, v11
	v_ffbh_u32_e32 v26, v21
	v_min_u32_e32 v29, 32, v26
	v_mov_b32_e32 v18, v11
	v_subrev_u32_e32 v26, 28, v29
	v_lshlrev_b64 v[26:27], v26, v[18:19]
	v_lshrrev_b32_e32 v25, 3, v10
	v_sub_u32_e32 v18, 29, v29
	v_and_b32_e32 v26, 7, v26
	v_cmp_gt_u32_e32 vcc, 8, v10
	v_cndmask_b32_e32 v10, v25, v18, vcc
	v_cndmask_b32_e32 v18, v21, v26, vcc
	v_lshlrev_b32_e32 v21, 24, v11
	v_bfrev_b32_e32 v25, 60
	v_lshlrev_b32_e32 v18, 20, v18
	v_and_b32_e32 v21, 0x80000000, v21
	v_lshl_add_u32 v10, v10, 23, v25
	v_or3_b32 v21, v21, v10, v18
.LBB564_523:
	s_or_b64 exec, exec, s[10:11]
.LBB564_524:
	s_or_b64 exec, exec, s[8:9]
.LBB564_525:
	s_or_b64 exec, exec, s[2:3]
	v_lshrrev_b16_e32 v10, 8, v11
	v_cmp_ne_u16_e32 vcc, 0, v10
	v_mov_b32_e32 v25, 0
	v_mov_b32_e32 v26, 0
	s_and_saveexec_b64 s[2:3], vcc
	s_cbranch_execz .LBB564_531
; %bb.526:
	s_movk_i32 s7, 0x80
	v_cmp_ne_u16_e32 vcc, s7, v10
	v_bfrev_b32_e32 v26, 1
	s_and_saveexec_b64 s[8:9], vcc
	s_cbranch_execz .LBB564_530
; %bb.527:
	s_movk_i32 s7, 0x7f
	v_and_b32_e32 v18, 0x7f, v10
	v_cmp_ne_u32_e32 vcc, s7, v18
	v_mov_b32_e32 v26, 0x7f800001
	s_and_saveexec_b64 s[10:11], vcc
	s_cbranch_execz .LBB564_529
; %bb.528:
	v_and_b32_e32 v29, 7, v10
	v_ffbh_u32_e32 v26, v29
	v_min_u32_e32 v31, 32, v26
	v_subrev_u32_e32 v26, 28, v31
	v_lshlrev_b64 v[26:27], v26, v[10:11]
	v_lshrrev_b32_e32 v30, 3, v18
	v_sub_u32_e32 v10, 29, v31
	v_and_b32_e32 v26, 7, v26
	v_cmp_gt_u32_e32 vcc, 8, v18
	v_cndmask_b32_e32 v10, v30, v10, vcc
	v_cndmask_b32_e32 v18, v29, v26, vcc
	v_lshlrev_b32_e32 v26, 16, v11
	v_bfrev_b32_e32 v27, 60
	v_lshlrev_b32_e32 v18, 20, v18
	v_and_b32_e32 v26, 0x80000000, v26
	v_lshl_add_u32 v10, v10, 23, v27
	v_or3_b32 v26, v26, v10, v18
.LBB564_529:
	s_or_b64 exec, exec, s[10:11]
.LBB564_530:
	s_or_b64 exec, exec, s[8:9]
.LBB564_531:
	s_or_b64 exec, exec, s[2:3]
	s_movk_i32 s2, 0xff
	v_and_b32_sdwa v18, v11, s2 dst_sel:DWORD dst_unused:UNUSED_PAD src0_sel:WORD_1 src1_sel:DWORD
	v_lshrrev_b32_e32 v10, 16, v11
	v_cmp_ne_u16_e32 vcc, 0, v18
	s_and_saveexec_b64 s[2:3], vcc
	s_cbranch_execz .LBB564_537
; %bb.532:
	s_movk_i32 s7, 0x80
	v_cmp_ne_u16_e32 vcc, s7, v18
	v_bfrev_b32_e32 v25, 1
	s_and_saveexec_b64 s[8:9], vcc
	s_cbranch_execz .LBB564_536
; %bb.533:
	v_bfe_u32 v18, v11, 16, 7
	s_movk_i32 s7, 0x7f
	v_cmp_ne_u32_e32 vcc, s7, v18
	v_mov_b32_e32 v25, 0x7f800001
	s_and_saveexec_b64 s[10:11], vcc
	s_cbranch_execz .LBB564_535
; %bb.534:
	v_and_b32_e32 v25, 7, v10
	v_ffbh_u32_e32 v29, v25
	v_min_u32_e32 v29, 32, v29
	v_subrev_u32_e32 v30, 28, v29
	v_lshlrev_b64 v[30:31], v30, v[10:11]
	v_sub_u32_e32 v10, 29, v29
	v_and_b32_e32 v29, 7, v30
	v_cmp_gt_u32_e32 vcc, 8, v18
	v_lshrrev_b32_e32 v27, 3, v18
	v_cndmask_b32_e32 v18, v25, v29, vcc
	v_mov_b32_e32 v25, 24
	v_cndmask_b32_e32 v10, v27, v10, vcc
	v_lshlrev_b32_sdwa v25, v25, v11 dst_sel:DWORD dst_unused:UNUSED_PAD src0_sel:DWORD src1_sel:WORD_1
	v_bfrev_b32_e32 v27, 60
	v_lshlrev_b32_e32 v18, 20, v18
	v_and_b32_e32 v25, 0x80000000, v25
	v_lshl_add_u32 v10, v10, 23, v27
	v_or3_b32 v25, v25, v10, v18
.LBB564_535:
	s_or_b64 exec, exec, s[10:11]
.LBB564_536:
	s_or_b64 exec, exec, s[8:9]
.LBB564_537:
	s_or_b64 exec, exec, s[2:3]
	s_mov_b32 s2, 0xffffff
	v_cmp_lt_u32_e32 vcc, s2, v11
	v_mov_b32_e32 v18, 0
	v_mov_b32_e32 v27, 0
	s_and_saveexec_b64 s[2:3], vcc
	s_cbranch_execz .LBB564_543
; %bb.538:
	v_lshrrev_b32_e32 v10, 24, v11
	s_movk_i32 s7, 0x80
	v_cmp_ne_u32_e32 vcc, s7, v10
	v_bfrev_b32_e32 v27, 1
	s_and_saveexec_b64 s[8:9], vcc
	s_cbranch_execz .LBB564_542
; %bb.539:
	v_bfe_u32 v11, v11, 24, 7
	s_movk_i32 s7, 0x7f
	v_cmp_ne_u32_e32 vcc, s7, v11
	v_mov_b32_e32 v27, 0x7f800001
	s_and_saveexec_b64 s[10:11], vcc
	s_cbranch_execz .LBB564_541
; %bb.540:
	v_and_b32_e32 v27, 7, v10
	v_ffbh_u32_e32 v30, v27
	v_min_u32_e32 v32, 32, v30
	v_subrev_u32_e32 v30, 28, v32
	v_lshlrev_b64 v[30:31], v30, v[10:11]
	v_lshrrev_b32_e32 v29, 3, v11
	v_sub_u32_e32 v31, 29, v32
	v_and_b32_e32 v30, 7, v30
	v_cmp_gt_u32_e32 vcc, 8, v11
	v_cndmask_b32_e32 v11, v29, v31, vcc
	v_cndmask_b32_e32 v27, v27, v30, vcc
	v_lshlrev_b32_e32 v10, 24, v10
	v_bfrev_b32_e32 v29, 60
	v_lshlrev_b32_e32 v27, 20, v27
	v_and_b32_e32 v10, 0x80000000, v10
	v_lshl_add_u32 v11, v11, 23, v29
	v_or3_b32 v27, v10, v11, v27
.LBB564_541:
	s_or_b64 exec, exec, s[10:11]
.LBB564_542:
	s_or_b64 exec, exec, s[8:9]
.LBB564_543:
	s_or_b64 exec, exec, s[2:3]
	v_cvt_pkrtz_f16_f32 v10, v24, v20
	v_cvt_pkrtz_f16_f32 v11, v19, v23
	ds_read_b128 v[30:33], v22 offset:2048
	v_cmp_ne_u16_sdwa s[8:9], v12, v18 src0_sel:BYTE_0 src1_sel:DWORD
	s_waitcnt lgkmcnt(0)
	v_mfma_f32_16x16x16f16 v[14:17], v[10:11], v[30:31], v[14:17]
	v_cvt_pkrtz_f16_f32 v10, v21, v26
	v_cvt_pkrtz_f16_f32 v11, v25, v27
	s_nop 1
	v_mfma_f32_16x16x16f16 v[14:17], v[10:11], v[32:33], v[14:17]
	s_and_saveexec_b64 s[2:3], s[8:9]
	s_cbranch_execz .LBB564_549
; %bb.544:
	s_movk_i32 s7, 0x80
	v_cmp_ne_u16_sdwa s[10:11], v12, s7 src0_sel:BYTE_0 src1_sel:DWORD
	v_bfrev_b32_e32 v18, 1
	s_and_saveexec_b64 s[8:9], s[10:11]
	s_cbranch_execz .LBB564_548
; %bb.545:
	s_movk_i32 s7, 0x7f
	v_and_b32_e32 v10, 0x7f, v12
	v_cmp_ne_u32_e32 vcc, s7, v10
	v_mov_b32_e32 v18, 0x7f800001
	s_and_saveexec_b64 s[10:11], vcc
	s_cbranch_execz .LBB564_547
; %bb.546:
	v_and_b32_e32 v11, 7, v12
	v_ffbh_u32_e32 v18, v11
	v_min_u32_e32 v21, 32, v18
	v_subrev_u32_e32 v18, 28, v21
	v_lshlrev_b64 v[18:19], v18, v[12:13]
	v_lshrrev_b32_e32 v20, 3, v10
	v_sub_u32_e32 v19, 29, v21
	v_and_b32_e32 v18, 7, v18
	v_cmp_gt_u32_e32 vcc, 8, v10
	v_cndmask_b32_e32 v10, v20, v19, vcc
	v_cndmask_b32_e32 v11, v11, v18, vcc
	v_lshlrev_b32_e32 v18, 24, v12
	v_bfrev_b32_e32 v19, 60
	v_lshlrev_b32_e32 v11, 20, v11
	v_and_b32_e32 v18, 0x80000000, v18
	v_lshl_add_u32 v10, v10, 23, v19
	v_or3_b32 v18, v18, v10, v11
.LBB564_547:
	s_or_b64 exec, exec, s[10:11]
.LBB564_548:
	s_or_b64 exec, exec, s[8:9]
.LBB564_549:
	s_or_b64 exec, exec, s[2:3]
	v_lshrrev_b16_e32 v10, 8, v12
	v_cmp_ne_u16_e32 vcc, 0, v10
	v_mov_b32_e32 v11, 0
	v_mov_b32_e32 v20, 0
	s_and_saveexec_b64 s[2:3], vcc
	s_cbranch_execz .LBB564_555
; %bb.550:
	s_movk_i32 s7, 0x80
	v_cmp_ne_u16_e32 vcc, s7, v10
	v_bfrev_b32_e32 v20, 1
	s_and_saveexec_b64 s[8:9], vcc
	s_cbranch_execz .LBB564_554
; %bb.551:
	s_movk_i32 s7, 0x7f
	v_and_b32_e32 v19, 0x7f, v10
	v_cmp_ne_u32_e32 vcc, s7, v19
	v_mov_b32_e32 v20, 0x7f800001
	s_and_saveexec_b64 s[10:11], vcc
	s_cbranch_execz .LBB564_553
; %bb.552:
	v_and_b32_e32 v23, 7, v10
	v_ffbh_u32_e32 v20, v23
	v_min_u32_e32 v25, 32, v20
	v_subrev_u32_e32 v20, 28, v25
	v_lshlrev_b64 v[20:21], v20, v[10:11]
	v_lshrrev_b32_e32 v24, 3, v19
	v_sub_u32_e32 v10, 29, v25
	v_and_b32_e32 v20, 7, v20
	v_cmp_gt_u32_e32 vcc, 8, v19
	v_cndmask_b32_e32 v10, v24, v10, vcc
	v_cndmask_b32_e32 v19, v23, v20, vcc
	v_lshlrev_b32_e32 v20, 16, v12
	v_bfrev_b32_e32 v21, 60
	v_lshlrev_b32_e32 v19, 20, v19
	v_and_b32_e32 v20, 0x80000000, v20
	v_lshl_add_u32 v10, v10, 23, v21
	v_or3_b32 v20, v20, v10, v19
.LBB564_553:
	s_or_b64 exec, exec, s[10:11]
.LBB564_554:
	s_or_b64 exec, exec, s[8:9]
.LBB564_555:
	s_or_b64 exec, exec, s[2:3]
	s_movk_i32 s2, 0xff
	v_and_b32_sdwa v19, v12, s2 dst_sel:DWORD dst_unused:UNUSED_PAD src0_sel:WORD_1 src1_sel:DWORD
	v_lshrrev_b32_e32 v10, 16, v12
	v_cmp_ne_u16_e32 vcc, 0, v19
	s_and_saveexec_b64 s[2:3], vcc
	s_cbranch_execz .LBB564_561
; %bb.556:
	s_movk_i32 s7, 0x80
	v_cmp_ne_u16_e32 vcc, s7, v19
	v_bfrev_b32_e32 v11, 1
	s_and_saveexec_b64 s[8:9], vcc
	s_cbranch_execz .LBB564_560
; %bb.557:
	v_bfe_u32 v19, v12, 16, 7
	s_movk_i32 s7, 0x7f
	v_cmp_ne_u32_e32 vcc, s7, v19
	v_mov_b32_e32 v11, 0x7f800001
	s_and_saveexec_b64 s[10:11], vcc
	s_cbranch_execz .LBB564_559
; %bb.558:
	v_and_b32_e32 v21, 7, v10
	v_ffbh_u32_e32 v11, v21
	v_min_u32_e32 v24, 32, v11
	v_subrev_u32_e32 v11, 28, v24
	v_lshlrev_b64 v[10:11], v11, v[10:11]
	v_lshrrev_b32_e32 v23, 3, v19
	v_sub_u32_e32 v11, 29, v24
	v_and_b32_e32 v10, 7, v10
	v_cmp_gt_u32_e32 vcc, 8, v19
	v_mov_b32_e32 v19, 24
	v_cndmask_b32_e32 v11, v23, v11, vcc
	v_cndmask_b32_e32 v10, v21, v10, vcc
	v_lshlrev_b32_sdwa v19, v19, v12 dst_sel:DWORD dst_unused:UNUSED_PAD src0_sel:DWORD src1_sel:WORD_1
	v_bfrev_b32_e32 v21, 60
	v_lshlrev_b32_e32 v10, 20, v10
	v_and_b32_e32 v19, 0x80000000, v19
	v_lshl_add_u32 v11, v11, 23, v21
	v_or3_b32 v11, v19, v11, v10
.LBB564_559:
	s_or_b64 exec, exec, s[10:11]
.LBB564_560:
	s_or_b64 exec, exec, s[8:9]
.LBB564_561:
	s_or_b64 exec, exec, s[2:3]
	s_mov_b32 s2, 0xffffff
	v_cmp_lt_u32_e32 vcc, s2, v12
	v_mov_b32_e32 v21, 0
	v_mov_b32_e32 v23, 0
	s_and_saveexec_b64 s[2:3], vcc
	s_cbranch_execz .LBB564_567
; %bb.562:
	v_lshrrev_b32_e32 v10, 24, v12
	s_movk_i32 s7, 0x80
	v_cmp_ne_u32_e32 vcc, s7, v10
	v_bfrev_b32_e32 v23, 1
	s_and_saveexec_b64 s[8:9], vcc
	s_cbranch_execz .LBB564_566
; %bb.563:
	v_bfe_u32 v12, v12, 24, 7
	s_movk_i32 s7, 0x7f
	v_cmp_ne_u32_e32 vcc, s7, v12
	v_mov_b32_e32 v23, 0x7f800001
	s_and_saveexec_b64 s[10:11], vcc
	s_cbranch_execz .LBB564_565
; %bb.564:
	v_and_b32_e32 v19, 7, v10
	v_ffbh_u32_e32 v24, v19
	v_min_u32_e32 v26, 32, v24
	v_subrev_u32_e32 v24, 28, v26
	v_lshlrev_b64 v[24:25], v24, v[10:11]
	v_lshrrev_b32_e32 v23, 3, v12
	v_sub_u32_e32 v25, 29, v26
	v_and_b32_e32 v24, 7, v24
	v_cmp_gt_u32_e32 vcc, 8, v12
	v_cndmask_b32_e32 v12, v23, v25, vcc
	v_cndmask_b32_e32 v19, v19, v24, vcc
	v_lshlrev_b32_e32 v10, 24, v10
	v_bfrev_b32_e32 v23, 60
	v_lshlrev_b32_e32 v19, 20, v19
	v_and_b32_e32 v10, 0x80000000, v10
	v_lshl_add_u32 v12, v12, 23, v23
	v_or3_b32 v23, v10, v12, v19
.LBB564_565:
	s_or_b64 exec, exec, s[10:11]
.LBB564_566:
	s_or_b64 exec, exec, s[8:9]
.LBB564_567:
	s_or_b64 exec, exec, s[2:3]
	v_cmp_ne_u16_sdwa s[8:9], v13, v21 src0_sel:BYTE_0 src1_sel:DWORD
	s_and_saveexec_b64 s[2:3], s[8:9]
	s_cbranch_execz .LBB564_573
; %bb.568:
	s_movk_i32 s7, 0x80
	v_cmp_ne_u16_sdwa s[10:11], v13, s7 src0_sel:BYTE_0 src1_sel:DWORD
	v_bfrev_b32_e32 v21, 1
	s_and_saveexec_b64 s[8:9], s[10:11]
	s_cbranch_execz .LBB564_572
; %bb.569:
	s_movk_i32 s7, 0x7f
	v_and_b32_e32 v10, 0x7f, v13
	v_cmp_ne_u32_e32 vcc, s7, v10
	v_mov_b32_e32 v21, 0x7f800001
	s_and_saveexec_b64 s[10:11], vcc
	s_cbranch_execz .LBB564_571
; %bb.570:
	v_and_b32_e32 v19, 7, v13
	v_ffbh_u32_e32 v24, v19
	v_min_u32_e32 v26, 32, v24
	v_mov_b32_e32 v12, v13
	v_subrev_u32_e32 v24, 28, v26
	v_lshlrev_b64 v[24:25], v24, v[12:13]
	v_lshrrev_b32_e32 v21, 3, v10
	v_sub_u32_e32 v12, 29, v26
	v_and_b32_e32 v24, 7, v24
	v_cmp_gt_u32_e32 vcc, 8, v10
	v_cndmask_b32_e32 v10, v21, v12, vcc
	v_cndmask_b32_e32 v12, v19, v24, vcc
	v_lshlrev_b32_e32 v19, 24, v13
	v_bfrev_b32_e32 v21, 60
	v_lshlrev_b32_e32 v12, 20, v12
	v_and_b32_e32 v19, 0x80000000, v19
	v_lshl_add_u32 v10, v10, 23, v21
	v_or3_b32 v21, v19, v10, v12
.LBB564_571:
	s_or_b64 exec, exec, s[10:11]
.LBB564_572:
	s_or_b64 exec, exec, s[8:9]
.LBB564_573:
	s_or_b64 exec, exec, s[2:3]
	v_lshrrev_b16_e32 v10, 8, v13
	v_cmp_ne_u16_e32 vcc, 0, v10
	v_mov_b32_e32 v12, 0
	v_mov_b32_e32 v24, 0
	s_and_saveexec_b64 s[2:3], vcc
	s_cbranch_execz .LBB564_579
; %bb.574:
	s_movk_i32 s7, 0x80
	v_cmp_ne_u16_e32 vcc, s7, v10
	v_bfrev_b32_e32 v24, 1
	s_and_saveexec_b64 s[8:9], vcc
	s_cbranch_execz .LBB564_578
; %bb.575:
	s_movk_i32 s7, 0x7f
	v_and_b32_e32 v19, 0x7f, v10
	v_cmp_ne_u32_e32 vcc, s7, v19
	v_mov_b32_e32 v24, 0x7f800001
	s_and_saveexec_b64 s[10:11], vcc
	s_cbranch_execz .LBB564_577
; %bb.576:
	v_and_b32_e32 v26, 7, v10
	v_ffbh_u32_e32 v24, v26
	v_min_u32_e32 v29, 32, v24
	v_subrev_u32_e32 v24, 28, v29
	v_lshlrev_b64 v[24:25], v24, v[10:11]
	v_lshrrev_b32_e32 v27, 3, v19
	v_sub_u32_e32 v10, 29, v29
	v_and_b32_e32 v24, 7, v24
	v_cmp_gt_u32_e32 vcc, 8, v19
	v_cndmask_b32_e32 v10, v27, v10, vcc
	v_cndmask_b32_e32 v19, v26, v24, vcc
	v_lshlrev_b32_e32 v24, 16, v13
	v_bfrev_b32_e32 v25, 60
	v_lshlrev_b32_e32 v19, 20, v19
	v_and_b32_e32 v24, 0x80000000, v24
	v_lshl_add_u32 v10, v10, 23, v25
	v_or3_b32 v24, v24, v10, v19
.LBB564_577:
	s_or_b64 exec, exec, s[10:11]
.LBB564_578:
	s_or_b64 exec, exec, s[8:9]
.LBB564_579:
	s_or_b64 exec, exec, s[2:3]
	s_movk_i32 s2, 0xff
	v_and_b32_sdwa v19, v13, s2 dst_sel:DWORD dst_unused:UNUSED_PAD src0_sel:WORD_1 src1_sel:DWORD
	v_lshrrev_b32_e32 v10, 16, v13
	v_cmp_ne_u16_e32 vcc, 0, v19
	s_and_saveexec_b64 s[2:3], vcc
	s_cbranch_execz .LBB564_585
; %bb.580:
	s_movk_i32 s7, 0x80
	v_cmp_ne_u16_e32 vcc, s7, v19
	v_bfrev_b32_e32 v12, 1
	s_and_saveexec_b64 s[8:9], vcc
	s_cbranch_execz .LBB564_584
; %bb.581:
	v_bfe_u32 v19, v13, 16, 7
	s_movk_i32 s7, 0x7f
	v_cmp_ne_u32_e32 vcc, s7, v19
	v_mov_b32_e32 v12, 0x7f800001
	s_and_saveexec_b64 s[10:11], vcc
	s_cbranch_execz .LBB564_583
; %bb.582:
	v_and_b32_e32 v12, 7, v10
	v_ffbh_u32_e32 v26, v12
	v_min_u32_e32 v29, 32, v26
	v_subrev_u32_e32 v26, 28, v29
	v_lshlrev_b64 v[26:27], v26, v[10:11]
	v_lshrrev_b32_e32 v25, 3, v19
	v_sub_u32_e32 v10, 29, v29
	v_and_b32_e32 v26, 7, v26
	v_cmp_gt_u32_e32 vcc, 8, v19
	v_mov_b32_e32 v19, 24
	v_cndmask_b32_e32 v10, v25, v10, vcc
	v_cndmask_b32_e32 v12, v12, v26, vcc
	v_lshlrev_b32_sdwa v19, v19, v13 dst_sel:DWORD dst_unused:UNUSED_PAD src0_sel:DWORD src1_sel:WORD_1
	v_bfrev_b32_e32 v25, 60
	v_lshlrev_b32_e32 v12, 20, v12
	v_and_b32_e32 v19, 0x80000000, v19
	v_lshl_add_u32 v10, v10, 23, v25
	v_or3_b32 v12, v19, v10, v12
.LBB564_583:
	s_or_b64 exec, exec, s[10:11]
.LBB564_584:
	s_or_b64 exec, exec, s[8:9]
.LBB564_585:
	s_or_b64 exec, exec, s[2:3]
	s_mov_b32 s2, 0xffffff
	v_cmp_lt_u32_e32 vcc, s2, v13
	v_mov_b32_e32 v19, 0
	v_mov_b32_e32 v25, 0
	s_and_saveexec_b64 s[2:3], vcc
	s_cbranch_execz .LBB564_591
; %bb.586:
	v_lshrrev_b32_e32 v10, 24, v13
	s_movk_i32 s7, 0x80
	v_cmp_ne_u32_e32 vcc, s7, v10
	v_bfrev_b32_e32 v25, 1
	s_and_saveexec_b64 s[8:9], vcc
	s_cbranch_execz .LBB564_590
; %bb.587:
	v_bfe_u32 v13, v13, 24, 7
	s_movk_i32 s7, 0x7f
	v_cmp_ne_u32_e32 vcc, s7, v13
	v_mov_b32_e32 v25, 0x7f800001
	s_and_saveexec_b64 s[10:11], vcc
	s_cbranch_execz .LBB564_589
; %bb.588:
	v_and_b32_e32 v25, 7, v10
	v_ffbh_u32_e32 v26, v25
	v_min_u32_e32 v30, 32, v26
	v_subrev_u32_e32 v26, 28, v30
	v_lshlrev_b64 v[26:27], v26, v[10:11]
	v_lshrrev_b32_e32 v29, 3, v13
	v_sub_u32_e32 v27, 29, v30
	v_and_b32_e32 v26, 7, v26
	v_cmp_gt_u32_e32 vcc, 8, v13
	v_cndmask_b32_e32 v13, v29, v27, vcc
	v_cndmask_b32_e32 v25, v25, v26, vcc
	v_lshlrev_b32_e32 v10, 24, v10
	v_bfrev_b32_e32 v26, 60
	v_lshlrev_b32_e32 v25, 20, v25
	v_and_b32_e32 v10, 0x80000000, v10
	v_lshl_add_u32 v13, v13, 23, v26
	v_or3_b32 v25, v10, v13, v25
.LBB564_589:
	s_or_b64 exec, exec, s[10:11]
.LBB564_590:
	s_or_b64 exec, exec, s[8:9]
.LBB564_591:
	s_or_b64 exec, exec, s[2:3]
	v_cvt_pkrtz_f16_f32 v10, v18, v20
	v_cvt_pkrtz_f16_f32 v11, v11, v23
	ds_read_b128 v[30:33], v22 offset:2064
	s_waitcnt vmcnt(1)
	v_cmp_ne_u16_sdwa s[8:9], v6, v19 src0_sel:BYTE_0 src1_sel:DWORD
	s_waitcnt lgkmcnt(0)
	v_mfma_f32_16x16x16f16 v[14:17], v[10:11], v[30:31], v[14:17]
	v_cvt_pkrtz_f16_f32 v10, v21, v24
	v_cvt_pkrtz_f16_f32 v11, v12, v25
	s_nop 1
	v_mfma_f32_16x16x16f16 v[10:13], v[10:11], v[32:33], v[14:17]
	s_and_saveexec_b64 s[2:3], s[8:9]
	s_cbranch_execz .LBB564_597
; %bb.592:
	s_movk_i32 s7, 0x80
	v_cmp_ne_u16_sdwa s[10:11], v6, s7 src0_sel:BYTE_0 src1_sel:DWORD
	v_bfrev_b32_e32 v19, 1
	s_and_saveexec_b64 s[8:9], s[10:11]
	s_cbranch_execz .LBB564_596
; %bb.593:
	s_movk_i32 s7, 0x7f
	v_and_b32_e32 v14, 0x7f, v6
	v_cmp_ne_u32_e32 vcc, s7, v14
	v_mov_b32_e32 v19, 0x7f800001
	s_and_saveexec_b64 s[10:11], vcc
	s_cbranch_execz .LBB564_595
; %bb.594:
	v_and_b32_e32 v15, 7, v6
	v_ffbh_u32_e32 v16, v15
	v_min_u32_e32 v19, 32, v16
	v_subrev_u32_e32 v16, 28, v19
	v_lshlrev_b64 v[16:17], v16, v[6:7]
	v_lshrrev_b32_e32 v18, 3, v14
	v_sub_u32_e32 v17, 29, v19
	v_and_b32_e32 v16, 7, v16
	v_cmp_gt_u32_e32 vcc, 8, v14
	v_cndmask_b32_e32 v14, v18, v17, vcc
	v_cndmask_b32_e32 v15, v15, v16, vcc
	v_lshlrev_b32_e32 v16, 24, v6
	v_bfrev_b32_e32 v17, 60
	v_lshlrev_b32_e32 v15, 20, v15
	v_and_b32_e32 v16, 0x80000000, v16
	v_lshl_add_u32 v14, v14, 23, v17
	v_or3_b32 v19, v16, v14, v15
.LBB564_595:
	s_or_b64 exec, exec, s[10:11]
.LBB564_596:
	s_or_b64 exec, exec, s[8:9]
.LBB564_597:
	s_or_b64 exec, exec, s[2:3]
	s_nop 3
	v_lshrrev_b16_e32 v14, 8, v6
	v_cmp_ne_u16_e32 vcc, 0, v14
	v_mov_b32_e32 v15, 0
	v_mov_b32_e32 v16, 0
	s_and_saveexec_b64 s[2:3], vcc
	s_cbranch_execz .LBB564_603
; %bb.598:
	s_movk_i32 s7, 0x80
	v_cmp_ne_u16_e32 vcc, s7, v14
	v_bfrev_b32_e32 v16, 1
	s_and_saveexec_b64 s[8:9], vcc
	s_cbranch_execz .LBB564_602
; %bb.599:
	s_movk_i32 s7, 0x7f
	v_and_b32_e32 v17, 0x7f, v14
	v_cmp_ne_u32_e32 vcc, s7, v17
	v_mov_b32_e32 v16, 0x7f800001
	s_and_saveexec_b64 s[10:11], vcc
	s_cbranch_execz .LBB564_601
; %bb.600:
	v_and_b32_e32 v16, 7, v14
	v_ffbh_u32_e32 v20, v16
	v_min_u32_e32 v23, 32, v20
	v_subrev_u32_e32 v20, 28, v23
	v_lshlrev_b64 v[20:21], v20, v[14:15]
	v_lshrrev_b32_e32 v18, 3, v17
	v_sub_u32_e32 v14, 29, v23
	v_and_b32_e32 v20, 7, v20
	v_cmp_gt_u32_e32 vcc, 8, v17
	v_cndmask_b32_e32 v14, v18, v14, vcc
	v_cndmask_b32_e32 v16, v16, v20, vcc
	v_lshlrev_b32_e32 v17, 16, v6
	v_bfrev_b32_e32 v18, 60
	v_lshlrev_b32_e32 v16, 20, v16
	v_and_b32_e32 v17, 0x80000000, v17
	v_lshl_add_u32 v14, v14, 23, v18
	v_or3_b32 v16, v17, v14, v16
.LBB564_601:
	s_or_b64 exec, exec, s[10:11]
.LBB564_602:
	s_or_b64 exec, exec, s[8:9]
.LBB564_603:
	s_or_b64 exec, exec, s[2:3]
	s_movk_i32 s2, 0xff
	v_and_b32_sdwa v17, v6, s2 dst_sel:DWORD dst_unused:UNUSED_PAD src0_sel:WORD_1 src1_sel:DWORD
	v_lshrrev_b32_e32 v14, 16, v6
	v_cmp_ne_u16_e32 vcc, 0, v17
	s_and_saveexec_b64 s[2:3], vcc
	s_cbranch_execz .LBB564_609
; %bb.604:
	s_movk_i32 s7, 0x80
	v_cmp_ne_u16_e32 vcc, s7, v17
	v_bfrev_b32_e32 v15, 1
	s_and_saveexec_b64 s[8:9], vcc
	s_cbranch_execz .LBB564_608
; %bb.605:
	v_bfe_u32 v17, v6, 16, 7
	s_movk_i32 s7, 0x7f
	v_cmp_ne_u32_e32 vcc, s7, v17
	v_mov_b32_e32 v15, 0x7f800001
	s_and_saveexec_b64 s[10:11], vcc
	s_cbranch_execz .LBB564_607
; %bb.606:
	v_and_b32_e32 v18, 7, v14
	v_ffbh_u32_e32 v15, v18
	v_min_u32_e32 v21, 32, v15
	v_subrev_u32_e32 v15, 28, v21
	v_lshlrev_b64 v[14:15], v15, v[14:15]
	v_lshrrev_b32_e32 v20, 3, v17
	v_sub_u32_e32 v15, 29, v21
	v_and_b32_e32 v14, 7, v14
	v_cmp_gt_u32_e32 vcc, 8, v17
	v_mov_b32_e32 v17, 24
	v_cndmask_b32_e32 v15, v20, v15, vcc
	v_cndmask_b32_e32 v14, v18, v14, vcc
	v_lshlrev_b32_sdwa v17, v17, v6 dst_sel:DWORD dst_unused:UNUSED_PAD src0_sel:DWORD src1_sel:WORD_1
	v_bfrev_b32_e32 v18, 60
	v_lshlrev_b32_e32 v14, 20, v14
	v_and_b32_e32 v17, 0x80000000, v17
	v_lshl_add_u32 v15, v15, 23, v18
	v_or3_b32 v15, v17, v15, v14
.LBB564_607:
	s_or_b64 exec, exec, s[10:11]
.LBB564_608:
	s_or_b64 exec, exec, s[8:9]
.LBB564_609:
	s_or_b64 exec, exec, s[2:3]
	s_mov_b32 s2, 0xffffff
	v_cmp_lt_u32_e32 vcc, s2, v6
	v_mov_b32_e32 v17, 0
	v_mov_b32_e32 v18, 0
	s_and_saveexec_b64 s[2:3], vcc
	s_cbranch_execz .LBB564_615
; %bb.610:
	v_lshrrev_b32_e32 v14, 24, v6
	s_movk_i32 s7, 0x80
	v_cmp_ne_u32_e32 vcc, s7, v14
	v_bfrev_b32_e32 v18, 1
	s_and_saveexec_b64 s[8:9], vcc
	s_cbranch_execz .LBB564_614
; %bb.611:
	v_bfe_u32 v6, v6, 24, 7
	s_movk_i32 s7, 0x7f
	v_cmp_ne_u32_e32 vcc, s7, v6
	v_mov_b32_e32 v18, 0x7f800001
	s_and_saveexec_b64 s[10:11], vcc
	s_cbranch_execz .LBB564_613
; %bb.612:
	v_and_b32_e32 v18, 7, v14
	v_ffbh_u32_e32 v20, v18
	v_min_u32_e32 v24, 32, v20
	v_subrev_u32_e32 v20, 28, v24
	v_lshlrev_b64 v[20:21], v20, v[14:15]
	v_lshrrev_b32_e32 v23, 3, v6
	v_sub_u32_e32 v21, 29, v24
	v_and_b32_e32 v20, 7, v20
	v_cmp_gt_u32_e32 vcc, 8, v6
	v_cndmask_b32_e32 v6, v23, v21, vcc
	v_cndmask_b32_e32 v18, v18, v20, vcc
	v_lshlrev_b32_e32 v14, 24, v14
	v_bfrev_b32_e32 v20, 60
	v_lshlrev_b32_e32 v18, 20, v18
	v_and_b32_e32 v14, 0x80000000, v14
	v_lshl_add_u32 v6, v6, 23, v20
	v_or3_b32 v18, v14, v6, v18
.LBB564_613:
	s_or_b64 exec, exec, s[10:11]
.LBB564_614:
	s_or_b64 exec, exec, s[8:9]
.LBB564_615:
	s_or_b64 exec, exec, s[2:3]
	v_cmp_ne_u16_sdwa s[8:9], v7, v17 src0_sel:BYTE_0 src1_sel:DWORD
	s_and_saveexec_b64 s[2:3], s[8:9]
	s_cbranch_execz .LBB564_621
; %bb.616:
	s_movk_i32 s7, 0x80
	v_cmp_ne_u16_sdwa s[10:11], v7, s7 src0_sel:BYTE_0 src1_sel:DWORD
	v_bfrev_b32_e32 v17, 1
	s_and_saveexec_b64 s[8:9], s[10:11]
	s_cbranch_execz .LBB564_620
; %bb.617:
	s_movk_i32 s7, 0x7f
	v_and_b32_e32 v6, 0x7f, v7
	v_cmp_ne_u32_e32 vcc, s7, v6
	v_mov_b32_e32 v17, 0x7f800001
	s_and_saveexec_b64 s[10:11], vcc
	s_cbranch_execz .LBB564_619
; %bb.618:
	v_and_b32_e32 v17, 7, v7
	v_ffbh_u32_e32 v20, v17
	v_min_u32_e32 v24, 32, v20
	v_mov_b32_e32 v14, v7
	v_subrev_u32_e32 v20, 28, v24
	v_lshlrev_b64 v[20:21], v20, v[14:15]
	v_lshrrev_b32_e32 v23, 3, v6
	v_sub_u32_e32 v14, 29, v24
	v_and_b32_e32 v20, 7, v20
	v_cmp_gt_u32_e32 vcc, 8, v6
	v_cndmask_b32_e32 v6, v23, v14, vcc
	v_cndmask_b32_e32 v14, v17, v20, vcc
	v_lshlrev_b32_e32 v17, 24, v7
	v_bfrev_b32_e32 v20, 60
	v_lshlrev_b32_e32 v14, 20, v14
	v_and_b32_e32 v17, 0x80000000, v17
	v_lshl_add_u32 v6, v6, 23, v20
	v_or3_b32 v17, v17, v6, v14
.LBB564_619:
	s_or_b64 exec, exec, s[10:11]
.LBB564_620:
	s_or_b64 exec, exec, s[8:9]
.LBB564_621:
	s_or_b64 exec, exec, s[2:3]
	v_lshrrev_b16_e32 v6, 8, v7
	v_cmp_ne_u16_e32 vcc, 0, v6
	v_mov_b32_e32 v20, 0
	v_mov_b32_e32 v21, 0
	s_and_saveexec_b64 s[2:3], vcc
	s_cbranch_execz .LBB564_627
; %bb.622:
	s_movk_i32 s7, 0x80
	v_cmp_ne_u16_e32 vcc, s7, v6
	v_bfrev_b32_e32 v21, 1
	s_and_saveexec_b64 s[8:9], vcc
	s_cbranch_execz .LBB564_626
; %bb.623:
	s_movk_i32 s7, 0x7f
	v_and_b32_e32 v14, 0x7f, v6
	v_cmp_ne_u32_e32 vcc, s7, v14
	v_mov_b32_e32 v21, 0x7f800001
	s_and_saveexec_b64 s[10:11], vcc
	s_cbranch_execz .LBB564_625
; %bb.624:
	v_and_b32_e32 v21, 7, v6
	v_ffbh_u32_e32 v24, v21
	v_min_u32_e32 v26, 32, v24
	v_subrev_u32_e32 v24, 28, v26
	v_lshlrev_b64 v[24:25], v24, v[6:7]
	v_lshrrev_b32_e32 v23, 3, v14
	v_sub_u32_e32 v6, 29, v26
	v_and_b32_e32 v24, 7, v24
	v_cmp_gt_u32_e32 vcc, 8, v14
	v_cndmask_b32_e32 v6, v23, v6, vcc
	v_cndmask_b32_e32 v14, v21, v24, vcc
	v_lshlrev_b32_e32 v21, 16, v7
	v_bfrev_b32_e32 v23, 60
	v_lshlrev_b32_e32 v14, 20, v14
	v_and_b32_e32 v21, 0x80000000, v21
	v_lshl_add_u32 v6, v6, 23, v23
	v_or3_b32 v21, v21, v6, v14
.LBB564_625:
	s_or_b64 exec, exec, s[10:11]
.LBB564_626:
	s_or_b64 exec, exec, s[8:9]
.LBB564_627:
	s_or_b64 exec, exec, s[2:3]
	s_movk_i32 s2, 0xff
	v_and_b32_sdwa v14, v7, s2 dst_sel:DWORD dst_unused:UNUSED_PAD src0_sel:WORD_1 src1_sel:DWORD
	v_lshrrev_b32_e32 v6, 16, v7
	v_cmp_ne_u16_e32 vcc, 0, v14
	s_and_saveexec_b64 s[2:3], vcc
	s_cbranch_execz .LBB564_633
; %bb.628:
	s_movk_i32 s7, 0x80
	v_cmp_ne_u16_e32 vcc, s7, v14
	v_bfrev_b32_e32 v20, 1
	s_and_saveexec_b64 s[8:9], vcc
	s_cbranch_execz .LBB564_632
; %bb.629:
	v_bfe_u32 v14, v7, 16, 7
	s_movk_i32 s7, 0x7f
	v_cmp_ne_u32_e32 vcc, s7, v14
	v_mov_b32_e32 v20, 0x7f800001
	s_and_saveexec_b64 s[10:11], vcc
	s_cbranch_execz .LBB564_631
; %bb.630:
	v_and_b32_e32 v20, 7, v6
	v_ffbh_u32_e32 v24, v20
	v_min_u32_e32 v26, 32, v24
	v_subrev_u32_e32 v24, 28, v26
	v_lshlrev_b64 v[24:25], v24, v[6:7]
	v_and_b32_e32 v24, 7, v24
	v_cmp_gt_u32_e32 vcc, 8, v14
	v_lshrrev_b32_e32 v23, 3, v14
	v_sub_u32_e32 v6, 29, v26
	v_cndmask_b32_e32 v14, v20, v24, vcc
	v_mov_b32_e32 v20, 24
	v_cndmask_b32_e32 v6, v23, v6, vcc
	v_lshlrev_b32_sdwa v20, v20, v7 dst_sel:DWORD dst_unused:UNUSED_PAD src0_sel:DWORD src1_sel:WORD_1
	v_bfrev_b32_e32 v23, 60
	v_lshlrev_b32_e32 v14, 20, v14
	v_and_b32_e32 v20, 0x80000000, v20
	v_lshl_add_u32 v6, v6, 23, v23
	v_or3_b32 v20, v20, v6, v14
.LBB564_631:
	s_or_b64 exec, exec, s[10:11]
.LBB564_632:
	s_or_b64 exec, exec, s[8:9]
.LBB564_633:
	s_or_b64 exec, exec, s[2:3]
	s_mov_b32 s2, 0xffffff
	v_cmp_lt_u32_e32 vcc, s2, v7
	v_mov_b32_e32 v14, 0
	v_mov_b32_e32 v23, 0
	s_and_saveexec_b64 s[2:3], vcc
	s_cbranch_execz .LBB564_639
; %bb.634:
	v_lshrrev_b32_e32 v6, 24, v7
	s_movk_i32 s7, 0x80
	v_cmp_ne_u32_e32 vcc, s7, v6
	v_bfrev_b32_e32 v23, 1
	s_and_saveexec_b64 s[8:9], vcc
	s_cbranch_execz .LBB564_638
; %bb.635:
	v_bfe_u32 v7, v7, 24, 7
	s_movk_i32 s7, 0x7f
	v_cmp_ne_u32_e32 vcc, s7, v7
	v_mov_b32_e32 v23, 0x7f800001
	s_and_saveexec_b64 s[10:11], vcc
	s_cbranch_execz .LBB564_637
; %bb.636:
	v_and_b32_e32 v23, 7, v6
	v_ffbh_u32_e32 v24, v23
	v_min_u32_e32 v27, 32, v24
	v_subrev_u32_e32 v24, 28, v27
	v_lshlrev_b64 v[24:25], v24, v[6:7]
	v_lshrrev_b32_e32 v26, 3, v7
	v_sub_u32_e32 v25, 29, v27
	v_and_b32_e32 v24, 7, v24
	v_cmp_gt_u32_e32 vcc, 8, v7
	v_cndmask_b32_e32 v7, v26, v25, vcc
	v_cndmask_b32_e32 v23, v23, v24, vcc
	v_lshlrev_b32_e32 v6, 24, v6
	v_bfrev_b32_e32 v24, 60
	v_lshlrev_b32_e32 v23, 20, v23
	v_and_b32_e32 v6, 0x80000000, v6
	v_lshl_add_u32 v7, v7, 23, v24
	v_or3_b32 v23, v6, v7, v23
.LBB564_637:
	s_or_b64 exec, exec, s[10:11]
.LBB564_638:
	s_or_b64 exec, exec, s[8:9]
.LBB564_639:
	s_or_b64 exec, exec, s[2:3]
	v_cvt_pkrtz_f16_f32 v6, v19, v16
	v_cvt_pkrtz_f16_f32 v7, v15, v18
	ds_read_b128 v[24:27], v22 offset:4096
	v_cmp_ne_u16_sdwa s[8:9], v8, v14 src0_sel:BYTE_0 src1_sel:DWORD
	s_waitcnt lgkmcnt(0)
	v_mfma_f32_16x16x16f16 v[10:13], v[6:7], v[24:25], v[10:13]
	v_cvt_pkrtz_f16_f32 v6, v17, v21
	v_cvt_pkrtz_f16_f32 v7, v20, v23
	s_nop 1
	v_mfma_f32_16x16x16f16 v[10:13], v[6:7], v[26:27], v[10:13]
	s_and_saveexec_b64 s[2:3], s[8:9]
	s_cbranch_execz .LBB564_645
; %bb.640:
	s_movk_i32 s7, 0x80
	v_cmp_ne_u16_sdwa s[10:11], v8, s7 src0_sel:BYTE_0 src1_sel:DWORD
	v_bfrev_b32_e32 v14, 1
	s_and_saveexec_b64 s[8:9], s[10:11]
	s_cbranch_execz .LBB564_644
; %bb.641:
	s_movk_i32 s7, 0x7f
	v_and_b32_e32 v6, 0x7f, v8
	v_cmp_ne_u32_e32 vcc, s7, v6
	v_mov_b32_e32 v14, 0x7f800001
	s_and_saveexec_b64 s[10:11], vcc
	s_cbranch_execz .LBB564_643
; %bb.642:
	v_and_b32_e32 v7, 7, v8
	v_ffbh_u32_e32 v14, v7
	v_min_u32_e32 v17, 32, v14
	v_subrev_u32_e32 v14, 28, v17
	v_lshlrev_b64 v[14:15], v14, v[8:9]
	v_lshrrev_b32_e32 v16, 3, v6
	v_sub_u32_e32 v15, 29, v17
	v_and_b32_e32 v14, 7, v14
	v_cmp_gt_u32_e32 vcc, 8, v6
	v_cndmask_b32_e32 v6, v16, v15, vcc
	v_cndmask_b32_e32 v7, v7, v14, vcc
	v_lshlrev_b32_e32 v14, 24, v8
	v_bfrev_b32_e32 v15, 60
	v_lshlrev_b32_e32 v7, 20, v7
	v_and_b32_e32 v14, 0x80000000, v14
	v_lshl_add_u32 v6, v6, 23, v15
	v_or3_b32 v14, v14, v6, v7
.LBB564_643:
	s_or_b64 exec, exec, s[10:11]
.LBB564_644:
	s_or_b64 exec, exec, s[8:9]
.LBB564_645:
	s_or_b64 exec, exec, s[2:3]
	v_lshrrev_b16_e32 v6, 8, v8
	v_cmp_ne_u16_e32 vcc, 0, v6
	v_mov_b32_e32 v7, 0
	v_mov_b32_e32 v16, 0
	s_and_saveexec_b64 s[2:3], vcc
	s_cbranch_execz .LBB564_651
; %bb.646:
	s_movk_i32 s7, 0x80
	v_cmp_ne_u16_e32 vcc, s7, v6
	v_bfrev_b32_e32 v16, 1
	s_and_saveexec_b64 s[8:9], vcc
	s_cbranch_execz .LBB564_650
; %bb.647:
	s_movk_i32 s7, 0x7f
	v_and_b32_e32 v15, 0x7f, v6
	v_cmp_ne_u32_e32 vcc, s7, v15
	v_mov_b32_e32 v16, 0x7f800001
	s_and_saveexec_b64 s[10:11], vcc
	s_cbranch_execz .LBB564_649
; %bb.648:
	v_and_b32_e32 v18, 7, v6
	v_ffbh_u32_e32 v16, v18
	v_min_u32_e32 v20, 32, v16
	v_subrev_u32_e32 v16, 28, v20
	v_lshlrev_b64 v[16:17], v16, v[6:7]
	v_lshrrev_b32_e32 v19, 3, v15
	v_sub_u32_e32 v6, 29, v20
	v_and_b32_e32 v16, 7, v16
	v_cmp_gt_u32_e32 vcc, 8, v15
	v_cndmask_b32_e32 v6, v19, v6, vcc
	v_cndmask_b32_e32 v15, v18, v16, vcc
	v_lshlrev_b32_e32 v16, 16, v8
	v_bfrev_b32_e32 v17, 60
	v_lshlrev_b32_e32 v15, 20, v15
	v_and_b32_e32 v16, 0x80000000, v16
	v_lshl_add_u32 v6, v6, 23, v17
	v_or3_b32 v16, v16, v6, v15
.LBB564_649:
	s_or_b64 exec, exec, s[10:11]
.LBB564_650:
	s_or_b64 exec, exec, s[8:9]
.LBB564_651:
	s_or_b64 exec, exec, s[2:3]
	s_movk_i32 s2, 0xff
	v_and_b32_sdwa v15, v8, s2 dst_sel:DWORD dst_unused:UNUSED_PAD src0_sel:WORD_1 src1_sel:DWORD
	v_lshrrev_b32_e32 v6, 16, v8
	v_cmp_ne_u16_e32 vcc, 0, v15
	s_and_saveexec_b64 s[2:3], vcc
	s_cbranch_execz .LBB564_657
; %bb.652:
	s_movk_i32 s7, 0x80
	v_cmp_ne_u16_e32 vcc, s7, v15
	v_bfrev_b32_e32 v7, 1
	s_and_saveexec_b64 s[8:9], vcc
	s_cbranch_execz .LBB564_656
; %bb.653:
	v_bfe_u32 v15, v8, 16, 7
	s_movk_i32 s7, 0x7f
	v_cmp_ne_u32_e32 vcc, s7, v15
	v_mov_b32_e32 v7, 0x7f800001
	s_and_saveexec_b64 s[10:11], vcc
	s_cbranch_execz .LBB564_655
; %bb.654:
	v_and_b32_e32 v17, 7, v6
	v_ffbh_u32_e32 v7, v17
	v_min_u32_e32 v19, 32, v7
	v_subrev_u32_e32 v7, 28, v19
	v_lshlrev_b64 v[6:7], v7, v[6:7]
	v_lshrrev_b32_e32 v18, 3, v15
	v_sub_u32_e32 v7, 29, v19
	v_and_b32_e32 v6, 7, v6
	v_cmp_gt_u32_e32 vcc, 8, v15
	v_mov_b32_e32 v15, 24
	v_cndmask_b32_e32 v7, v18, v7, vcc
	v_cndmask_b32_e32 v6, v17, v6, vcc
	v_lshlrev_b32_sdwa v15, v15, v8 dst_sel:DWORD dst_unused:UNUSED_PAD src0_sel:DWORD src1_sel:WORD_1
	v_bfrev_b32_e32 v17, 60
	v_lshlrev_b32_e32 v6, 20, v6
	v_and_b32_e32 v15, 0x80000000, v15
	v_lshl_add_u32 v7, v7, 23, v17
	v_or3_b32 v7, v15, v7, v6
.LBB564_655:
	s_or_b64 exec, exec, s[10:11]
.LBB564_656:
	s_or_b64 exec, exec, s[8:9]
.LBB564_657:
	s_or_b64 exec, exec, s[2:3]
	s_mov_b32 s2, 0xffffff
	v_cmp_lt_u32_e32 vcc, s2, v8
	v_mov_b32_e32 v17, 0
	v_mov_b32_e32 v18, 0
	s_and_saveexec_b64 s[2:3], vcc
	s_cbranch_execz .LBB564_663
; %bb.658:
	v_lshrrev_b32_e32 v6, 24, v8
	s_movk_i32 s7, 0x80
	v_cmp_ne_u32_e32 vcc, s7, v6
	v_bfrev_b32_e32 v18, 1
	s_and_saveexec_b64 s[8:9], vcc
	s_cbranch_execz .LBB564_662
; %bb.659:
	v_bfe_u32 v8, v8, 24, 7
	s_movk_i32 s7, 0x7f
	v_cmp_ne_u32_e32 vcc, s7, v8
	v_mov_b32_e32 v18, 0x7f800001
	s_and_saveexec_b64 s[10:11], vcc
	s_cbranch_execz .LBB564_661
; %bb.660:
	v_and_b32_e32 v15, 7, v6
	v_ffbh_u32_e32 v18, v15
	v_min_u32_e32 v21, 32, v18
	v_subrev_u32_e32 v18, 28, v21
	v_lshlrev_b64 v[18:19], v18, v[6:7]
	v_lshrrev_b32_e32 v20, 3, v8
	v_sub_u32_e32 v19, 29, v21
	v_and_b32_e32 v18, 7, v18
	v_cmp_gt_u32_e32 vcc, 8, v8
	v_cndmask_b32_e32 v8, v20, v19, vcc
	v_cndmask_b32_e32 v15, v15, v18, vcc
	v_lshlrev_b32_e32 v6, 24, v6
	v_bfrev_b32_e32 v18, 60
	v_lshlrev_b32_e32 v15, 20, v15
	v_and_b32_e32 v6, 0x80000000, v6
	v_lshl_add_u32 v8, v8, 23, v18
	v_or3_b32 v18, v6, v8, v15
.LBB564_661:
	s_or_b64 exec, exec, s[10:11]
.LBB564_662:
	s_or_b64 exec, exec, s[8:9]
.LBB564_663:
	s_or_b64 exec, exec, s[2:3]
	v_cmp_ne_u16_sdwa s[8:9], v9, v17 src0_sel:BYTE_0 src1_sel:DWORD
	s_and_saveexec_b64 s[2:3], s[8:9]
	s_cbranch_execz .LBB564_669
; %bb.664:
	s_movk_i32 s7, 0x80
	v_cmp_ne_u16_sdwa s[10:11], v9, s7 src0_sel:BYTE_0 src1_sel:DWORD
	v_bfrev_b32_e32 v17, 1
	s_and_saveexec_b64 s[8:9], s[10:11]
	s_cbranch_execz .LBB564_668
; %bb.665:
	s_movk_i32 s7, 0x7f
	v_and_b32_e32 v6, 0x7f, v9
	v_cmp_ne_u32_e32 vcc, s7, v6
	v_mov_b32_e32 v17, 0x7f800001
	s_and_saveexec_b64 s[10:11], vcc
	s_cbranch_execz .LBB564_667
; %bb.666:
	v_and_b32_e32 v15, 7, v9
	v_ffbh_u32_e32 v19, v15
	v_min_u32_e32 v19, 32, v19
	v_mov_b32_e32 v8, v9
	v_subrev_u32_e32 v20, 28, v19
	v_lshlrev_b64 v[20:21], v20, v[8:9]
	v_lshrrev_b32_e32 v17, 3, v6
	v_sub_u32_e32 v8, 29, v19
	v_and_b32_e32 v19, 7, v20
	v_cmp_gt_u32_e32 vcc, 8, v6
	v_cndmask_b32_e32 v6, v17, v8, vcc
	v_cndmask_b32_e32 v8, v15, v19, vcc
	v_lshlrev_b32_e32 v15, 24, v9
	v_bfrev_b32_e32 v17, 60
	v_lshlrev_b32_e32 v8, 20, v8
	v_and_b32_e32 v15, 0x80000000, v15
	v_lshl_add_u32 v6, v6, 23, v17
	v_or3_b32 v17, v15, v6, v8
.LBB564_667:
	s_or_b64 exec, exec, s[10:11]
.LBB564_668:
	s_or_b64 exec, exec, s[8:9]
.LBB564_669:
	s_or_b64 exec, exec, s[2:3]
	v_lshrrev_b16_e32 v6, 8, v9
	v_cmp_ne_u16_e32 vcc, 0, v6
	v_mov_b32_e32 v8, 0
	v_mov_b32_e32 v19, 0
	s_and_saveexec_b64 s[2:3], vcc
	s_cbranch_execz .LBB564_675
; %bb.670:
	s_movk_i32 s7, 0x80
	v_cmp_ne_u16_e32 vcc, s7, v6
	v_bfrev_b32_e32 v19, 1
	s_and_saveexec_b64 s[8:9], vcc
	s_cbranch_execz .LBB564_674
; %bb.671:
	s_movk_i32 s7, 0x7f
	v_and_b32_e32 v15, 0x7f, v6
	v_cmp_ne_u32_e32 vcc, s7, v15
	v_mov_b32_e32 v19, 0x7f800001
	s_and_saveexec_b64 s[10:11], vcc
	s_cbranch_execz .LBB564_673
; %bb.672:
	v_and_b32_e32 v19, 7, v6
	v_ffbh_u32_e32 v20, v19
	v_min_u32_e32 v24, 32, v20
	v_subrev_u32_e32 v20, 28, v24
	v_lshlrev_b64 v[20:21], v20, v[6:7]
	v_lshrrev_b32_e32 v23, 3, v15
	v_sub_u32_e32 v6, 29, v24
	v_and_b32_e32 v20, 7, v20
	v_cmp_gt_u32_e32 vcc, 8, v15
	v_cndmask_b32_e32 v6, v23, v6, vcc
	v_cndmask_b32_e32 v15, v19, v20, vcc
	v_lshlrev_b32_e32 v19, 16, v9
	v_bfrev_b32_e32 v20, 60
	v_lshlrev_b32_e32 v15, 20, v15
	v_and_b32_e32 v19, 0x80000000, v19
	v_lshl_add_u32 v6, v6, 23, v20
	v_or3_b32 v19, v19, v6, v15
.LBB564_673:
	s_or_b64 exec, exec, s[10:11]
.LBB564_674:
	s_or_b64 exec, exec, s[8:9]
.LBB564_675:
	s_or_b64 exec, exec, s[2:3]
	s_movk_i32 s2, 0xff
	v_and_b32_sdwa v15, v9, s2 dst_sel:DWORD dst_unused:UNUSED_PAD src0_sel:WORD_1 src1_sel:DWORD
	v_lshrrev_b32_e32 v6, 16, v9
	v_cmp_ne_u16_e32 vcc, 0, v15
	s_and_saveexec_b64 s[2:3], vcc
	s_cbranch_execz .LBB564_681
; %bb.676:
	s_movk_i32 s7, 0x80
	v_cmp_ne_u16_e32 vcc, s7, v15
	v_bfrev_b32_e32 v8, 1
	s_and_saveexec_b64 s[8:9], vcc
	s_cbranch_execz .LBB564_680
; %bb.677:
	v_bfe_u32 v15, v9, 16, 7
	s_movk_i32 s7, 0x7f
	v_cmp_ne_u32_e32 vcc, s7, v15
	v_mov_b32_e32 v8, 0x7f800001
	s_and_saveexec_b64 s[10:11], vcc
	s_cbranch_execz .LBB564_679
; %bb.678:
	v_and_b32_e32 v8, 7, v6
	v_ffbh_u32_e32 v20, v8
	v_min_u32_e32 v24, 32, v20
	v_subrev_u32_e32 v20, 28, v24
	v_lshlrev_b64 v[20:21], v20, v[6:7]
	v_lshrrev_b32_e32 v23, 3, v15
	v_sub_u32_e32 v6, 29, v24
	v_and_b32_e32 v20, 7, v20
	v_cmp_gt_u32_e32 vcc, 8, v15
	v_mov_b32_e32 v15, 24
	v_cndmask_b32_e32 v6, v23, v6, vcc
	v_cndmask_b32_e32 v8, v8, v20, vcc
	v_lshlrev_b32_sdwa v15, v15, v9 dst_sel:DWORD dst_unused:UNUSED_PAD src0_sel:DWORD src1_sel:WORD_1
	v_bfrev_b32_e32 v20, 60
	v_lshlrev_b32_e32 v8, 20, v8
	v_and_b32_e32 v15, 0x80000000, v15
	v_lshl_add_u32 v6, v6, 23, v20
	v_or3_b32 v8, v15, v6, v8
.LBB564_679:
	s_or_b64 exec, exec, s[10:11]
.LBB564_680:
	s_or_b64 exec, exec, s[8:9]
.LBB564_681:
	s_or_b64 exec, exec, s[2:3]
	s_mov_b32 s2, 0xffffff
	v_cmp_lt_u32_e32 vcc, s2, v9
	v_mov_b32_e32 v15, 0
	v_mov_b32_e32 v20, 0
	s_and_saveexec_b64 s[2:3], vcc
	s_cbranch_execz .LBB564_687
; %bb.682:
	v_lshrrev_b32_e32 v6, 24, v9
	s_movk_i32 s7, 0x80
	v_cmp_ne_u32_e32 vcc, s7, v6
	v_bfrev_b32_e32 v20, 1
	s_and_saveexec_b64 s[8:9], vcc
	s_cbranch_execz .LBB564_686
; %bb.683:
	v_bfe_u32 v9, v9, 24, 7
	s_movk_i32 s7, 0x7f
	v_cmp_ne_u32_e32 vcc, s7, v9
	v_mov_b32_e32 v20, 0x7f800001
	s_and_saveexec_b64 s[10:11], vcc
	s_cbranch_execz .LBB564_685
; %bb.684:
	v_and_b32_e32 v23, 7, v6
	v_ffbh_u32_e32 v20, v23
	v_min_u32_e32 v25, 32, v20
	v_subrev_u32_e32 v20, 28, v25
	v_lshlrev_b64 v[20:21], v20, v[6:7]
	v_lshrrev_b32_e32 v24, 3, v9
	v_sub_u32_e32 v21, 29, v25
	v_and_b32_e32 v20, 7, v20
	v_cmp_gt_u32_e32 vcc, 8, v9
	v_cndmask_b32_e32 v9, v24, v21, vcc
	v_cndmask_b32_e32 v20, v23, v20, vcc
	v_lshlrev_b32_e32 v6, 24, v6
	v_bfrev_b32_e32 v21, 60
	v_lshlrev_b32_e32 v20, 20, v20
	v_and_b32_e32 v6, 0x80000000, v6
	v_lshl_add_u32 v9, v9, 23, v21
	v_or3_b32 v20, v6, v9, v20
.LBB564_685:
	s_or_b64 exec, exec, s[10:11]
.LBB564_686:
	s_or_b64 exec, exec, s[8:9]
.LBB564_687:
	s_or_b64 exec, exec, s[2:3]
	v_cvt_pkrtz_f16_f32 v6, v14, v16
	v_cvt_pkrtz_f16_f32 v7, v7, v18
	ds_read_b128 v[24:27], v22 offset:4112
	s_waitcnt vmcnt(0)
	v_cmp_ne_u16_sdwa s[8:9], v2, v15 src0_sel:BYTE_0 src1_sel:DWORD
	s_waitcnt lgkmcnt(0)
	v_mfma_f32_16x16x16f16 v[10:13], v[6:7], v[24:25], v[10:13]
	v_cvt_pkrtz_f16_f32 v6, v17, v19
	v_cvt_pkrtz_f16_f32 v7, v8, v20
	s_nop 1
	v_mfma_f32_16x16x16f16 v[6:9], v[6:7], v[26:27], v[10:13]
	s_and_saveexec_b64 s[2:3], s[8:9]
	s_cbranch_execz .LBB564_693
; %bb.688:
	s_movk_i32 s7, 0x80
	v_cmp_ne_u16_sdwa s[10:11], v2, s7 src0_sel:BYTE_0 src1_sel:DWORD
	v_bfrev_b32_e32 v15, 1
	s_and_saveexec_b64 s[8:9], s[10:11]
	s_cbranch_execz .LBB564_692
; %bb.689:
	s_movk_i32 s7, 0x7f
	v_and_b32_e32 v10, 0x7f, v2
	v_cmp_ne_u32_e32 vcc, s7, v10
	v_mov_b32_e32 v15, 0x7f800001
	s_and_saveexec_b64 s[10:11], vcc
	s_cbranch_execz .LBB564_691
; %bb.690:
	v_and_b32_e32 v11, 7, v2
	v_ffbh_u32_e32 v12, v11
	v_min_u32_e32 v15, 32, v12
	v_subrev_u32_e32 v12, 28, v15
	v_lshlrev_b64 v[12:13], v12, v[2:3]
	v_lshrrev_b32_e32 v14, 3, v10
	v_sub_u32_e32 v13, 29, v15
	v_and_b32_e32 v12, 7, v12
	v_cmp_gt_u32_e32 vcc, 8, v10
	v_cndmask_b32_e32 v10, v14, v13, vcc
	v_cndmask_b32_e32 v11, v11, v12, vcc
	v_lshlrev_b32_e32 v12, 24, v2
	v_bfrev_b32_e32 v13, 60
	v_lshlrev_b32_e32 v11, 20, v11
	v_and_b32_e32 v12, 0x80000000, v12
	v_lshl_add_u32 v10, v10, 23, v13
	v_or3_b32 v15, v12, v10, v11
.LBB564_691:
	s_or_b64 exec, exec, s[10:11]
.LBB564_692:
	s_or_b64 exec, exec, s[8:9]
.LBB564_693:
	s_or_b64 exec, exec, s[2:3]
	s_nop 3
	v_lshrrev_b16_e32 v10, 8, v2
	v_cmp_ne_u16_e32 vcc, 0, v10
	v_mov_b32_e32 v11, 0
	v_mov_b32_e32 v12, 0
	s_and_saveexec_b64 s[2:3], vcc
	s_cbranch_execz .LBB564_699
; %bb.694:
	s_movk_i32 s7, 0x80
	v_cmp_ne_u16_e32 vcc, s7, v10
	v_bfrev_b32_e32 v12, 1
	s_and_saveexec_b64 s[8:9], vcc
	s_cbranch_execz .LBB564_698
; %bb.695:
	s_movk_i32 s7, 0x7f
	v_and_b32_e32 v13, 0x7f, v10
	v_cmp_ne_u32_e32 vcc, s7, v13
	v_mov_b32_e32 v12, 0x7f800001
	s_and_saveexec_b64 s[10:11], vcc
	s_cbranch_execz .LBB564_697
; %bb.696:
	v_and_b32_e32 v12, 7, v10
	v_ffbh_u32_e32 v16, v12
	v_min_u32_e32 v18, 32, v16
	v_subrev_u32_e32 v16, 28, v18
	v_lshlrev_b64 v[16:17], v16, v[10:11]
	v_lshrrev_b32_e32 v14, 3, v13
	v_sub_u32_e32 v10, 29, v18
	v_and_b32_e32 v16, 7, v16
	v_cmp_gt_u32_e32 vcc, 8, v13
	v_cndmask_b32_e32 v10, v14, v10, vcc
	v_cndmask_b32_e32 v12, v12, v16, vcc
	v_lshlrev_b32_e32 v13, 16, v2
	v_bfrev_b32_e32 v14, 60
	v_lshlrev_b32_e32 v12, 20, v12
	v_and_b32_e32 v13, 0x80000000, v13
	v_lshl_add_u32 v10, v10, 23, v14
	v_or3_b32 v12, v13, v10, v12
.LBB564_697:
	s_or_b64 exec, exec, s[10:11]
.LBB564_698:
	s_or_b64 exec, exec, s[8:9]
.LBB564_699:
	s_or_b64 exec, exec, s[2:3]
	s_movk_i32 s2, 0xff
	v_and_b32_sdwa v13, v2, s2 dst_sel:DWORD dst_unused:UNUSED_PAD src0_sel:WORD_1 src1_sel:DWORD
	v_lshrrev_b32_e32 v10, 16, v2
	v_cmp_ne_u16_e32 vcc, 0, v13
	s_and_saveexec_b64 s[2:3], vcc
	s_cbranch_execz .LBB564_705
; %bb.700:
	s_movk_i32 s7, 0x80
	v_cmp_ne_u16_e32 vcc, s7, v13
	v_bfrev_b32_e32 v11, 1
	s_and_saveexec_b64 s[8:9], vcc
	s_cbranch_execz .LBB564_704
; %bb.701:
	v_bfe_u32 v13, v2, 16, 7
	s_movk_i32 s7, 0x7f
	v_cmp_ne_u32_e32 vcc, s7, v13
	v_mov_b32_e32 v11, 0x7f800001
	s_and_saveexec_b64 s[10:11], vcc
	s_cbranch_execz .LBB564_703
; %bb.702:
	v_and_b32_e32 v14, 7, v10
	v_ffbh_u32_e32 v11, v14
	v_min_u32_e32 v17, 32, v11
	v_subrev_u32_e32 v11, 28, v17
	v_lshlrev_b64 v[10:11], v11, v[10:11]
	v_lshrrev_b32_e32 v16, 3, v13
	v_sub_u32_e32 v11, 29, v17
	v_and_b32_e32 v10, 7, v10
	v_cmp_gt_u32_e32 vcc, 8, v13
	v_mov_b32_e32 v13, 24
	v_cndmask_b32_e32 v11, v16, v11, vcc
	v_cndmask_b32_e32 v10, v14, v10, vcc
	v_lshlrev_b32_sdwa v13, v13, v2 dst_sel:DWORD dst_unused:UNUSED_PAD src0_sel:DWORD src1_sel:WORD_1
	v_bfrev_b32_e32 v14, 60
	v_lshlrev_b32_e32 v10, 20, v10
	v_and_b32_e32 v13, 0x80000000, v13
	v_lshl_add_u32 v11, v11, 23, v14
	v_or3_b32 v11, v13, v11, v10
.LBB564_703:
	s_or_b64 exec, exec, s[10:11]
.LBB564_704:
	s_or_b64 exec, exec, s[8:9]
.LBB564_705:
	s_or_b64 exec, exec, s[2:3]
	s_mov_b32 s2, 0xffffff
	v_cmp_lt_u32_e32 vcc, s2, v2
	v_mov_b32_e32 v13, 0
	v_mov_b32_e32 v14, 0
	s_and_saveexec_b64 s[2:3], vcc
	s_cbranch_execz .LBB564_711
; %bb.706:
	v_lshrrev_b32_e32 v10, 24, v2
	s_movk_i32 s7, 0x80
	v_cmp_ne_u32_e32 vcc, s7, v10
	v_bfrev_b32_e32 v14, 1
	s_and_saveexec_b64 s[8:9], vcc
	s_cbranch_execz .LBB564_710
; %bb.707:
	v_bfe_u32 v2, v2, 24, 7
	s_movk_i32 s7, 0x7f
	v_cmp_ne_u32_e32 vcc, s7, v2
	v_mov_b32_e32 v14, 0x7f800001
	s_and_saveexec_b64 s[10:11], vcc
	s_cbranch_execz .LBB564_709
; %bb.708:
	v_and_b32_e32 v14, 7, v10
	v_ffbh_u32_e32 v16, v14
	v_min_u32_e32 v19, 32, v16
	v_subrev_u32_e32 v16, 28, v19
	v_lshlrev_b64 v[16:17], v16, v[10:11]
	v_lshrrev_b32_e32 v18, 3, v2
	v_sub_u32_e32 v17, 29, v19
	v_and_b32_e32 v16, 7, v16
	v_cmp_gt_u32_e32 vcc, 8, v2
	v_cndmask_b32_e32 v2, v18, v17, vcc
	v_cndmask_b32_e32 v14, v14, v16, vcc
	v_lshlrev_b32_e32 v10, 24, v10
	v_bfrev_b32_e32 v16, 60
	v_lshlrev_b32_e32 v14, 20, v14
	v_and_b32_e32 v10, 0x80000000, v10
	v_lshl_add_u32 v2, v2, 23, v16
	v_or3_b32 v14, v10, v2, v14
.LBB564_709:
	s_or_b64 exec, exec, s[10:11]
.LBB564_710:
	s_or_b64 exec, exec, s[8:9]
.LBB564_711:
	s_or_b64 exec, exec, s[2:3]
	v_cmp_ne_u16_sdwa s[8:9], v3, v13 src0_sel:BYTE_0 src1_sel:DWORD
	s_and_saveexec_b64 s[2:3], s[8:9]
	s_cbranch_execz .LBB564_717
; %bb.712:
	s_movk_i32 s7, 0x80
	v_cmp_ne_u16_sdwa s[10:11], v3, s7 src0_sel:BYTE_0 src1_sel:DWORD
	v_bfrev_b32_e32 v13, 1
	s_and_saveexec_b64 s[8:9], s[10:11]
	s_cbranch_execz .LBB564_716
; %bb.713:
	s_movk_i32 s7, 0x7f
	v_and_b32_e32 v2, 0x7f, v3
	v_cmp_ne_u32_e32 vcc, s7, v2
	v_mov_b32_e32 v13, 0x7f800001
	s_and_saveexec_b64 s[10:11], vcc
	s_cbranch_execz .LBB564_715
; %bb.714:
	v_and_b32_e32 v13, 7, v3
	v_ffbh_u32_e32 v16, v13
	v_min_u32_e32 v19, 32, v16
	v_mov_b32_e32 v10, v3
	v_subrev_u32_e32 v16, 28, v19
	v_lshlrev_b64 v[16:17], v16, v[10:11]
	v_lshrrev_b32_e32 v18, 3, v2
	v_sub_u32_e32 v10, 29, v19
	v_and_b32_e32 v16, 7, v16
	v_cmp_gt_u32_e32 vcc, 8, v2
	v_cndmask_b32_e32 v2, v18, v10, vcc
	v_cndmask_b32_e32 v10, v13, v16, vcc
	v_lshlrev_b32_e32 v13, 24, v3
	v_bfrev_b32_e32 v16, 60
	v_lshlrev_b32_e32 v10, 20, v10
	v_and_b32_e32 v13, 0x80000000, v13
	v_lshl_add_u32 v2, v2, 23, v16
	v_or3_b32 v13, v13, v2, v10
.LBB564_715:
	s_or_b64 exec, exec, s[10:11]
.LBB564_716:
	s_or_b64 exec, exec, s[8:9]
.LBB564_717:
	s_or_b64 exec, exec, s[2:3]
	v_lshrrev_b16_e32 v2, 8, v3
	v_cmp_ne_u16_e32 vcc, 0, v2
	v_mov_b32_e32 v16, 0
	v_mov_b32_e32 v17, 0
	s_and_saveexec_b64 s[2:3], vcc
	s_cbranch_execz .LBB564_723
; %bb.718:
	s_movk_i32 s7, 0x80
	v_cmp_ne_u16_e32 vcc, s7, v2
	v_bfrev_b32_e32 v17, 1
	s_and_saveexec_b64 s[8:9], vcc
	s_cbranch_execz .LBB564_722
; %bb.719:
	s_movk_i32 s7, 0x7f
	v_and_b32_e32 v10, 0x7f, v2
	v_cmp_ne_u32_e32 vcc, s7, v10
	v_mov_b32_e32 v17, 0x7f800001
	s_and_saveexec_b64 s[10:11], vcc
	s_cbranch_execz .LBB564_721
; %bb.720:
	v_and_b32_e32 v17, 7, v2
	v_ffbh_u32_e32 v18, v17
	v_min_u32_e32 v21, 32, v18
	v_subrev_u32_e32 v18, 28, v21
	v_lshlrev_b64 v[18:19], v18, v[2:3]
	v_lshrrev_b32_e32 v20, 3, v10
	v_sub_u32_e32 v2, 29, v21
	v_and_b32_e32 v18, 7, v18
	v_cmp_gt_u32_e32 vcc, 8, v10
	v_cndmask_b32_e32 v2, v20, v2, vcc
	v_cndmask_b32_e32 v10, v17, v18, vcc
	v_lshlrev_b32_e32 v17, 16, v3
	v_bfrev_b32_e32 v18, 60
	v_lshlrev_b32_e32 v10, 20, v10
	v_and_b32_e32 v17, 0x80000000, v17
	v_lshl_add_u32 v2, v2, 23, v18
	v_or3_b32 v17, v17, v2, v10
.LBB564_721:
	s_or_b64 exec, exec, s[10:11]
.LBB564_722:
	s_or_b64 exec, exec, s[8:9]
.LBB564_723:
	s_or_b64 exec, exec, s[2:3]
	s_movk_i32 s2, 0xff
	v_and_b32_sdwa v10, v3, s2 dst_sel:DWORD dst_unused:UNUSED_PAD src0_sel:WORD_1 src1_sel:DWORD
	v_lshrrev_b32_e32 v2, 16, v3
	v_cmp_ne_u16_e32 vcc, 0, v10
	s_and_saveexec_b64 s[2:3], vcc
	s_cbranch_execz .LBB564_729
; %bb.724:
	s_movk_i32 s7, 0x80
	v_cmp_ne_u16_e32 vcc, s7, v10
	v_bfrev_b32_e32 v16, 1
	s_and_saveexec_b64 s[8:9], vcc
	s_cbranch_execz .LBB564_728
; %bb.725:
	v_bfe_u32 v10, v3, 16, 7
	s_movk_i32 s7, 0x7f
	v_cmp_ne_u32_e32 vcc, s7, v10
	v_mov_b32_e32 v16, 0x7f800001
	s_and_saveexec_b64 s[10:11], vcc
	s_cbranch_execz .LBB564_727
; %bb.726:
	v_and_b32_e32 v16, 7, v2
	v_ffbh_u32_e32 v18, v16
	v_min_u32_e32 v21, 32, v18
	v_subrev_u32_e32 v18, 28, v21
	v_lshlrev_b64 v[18:19], v18, v[2:3]
	v_and_b32_e32 v18, 7, v18
	v_cmp_gt_u32_e32 vcc, 8, v10
	v_lshrrev_b32_e32 v20, 3, v10
	v_sub_u32_e32 v2, 29, v21
	v_cndmask_b32_e32 v10, v16, v18, vcc
	v_mov_b32_e32 v16, 24
	v_cndmask_b32_e32 v2, v20, v2, vcc
	v_lshlrev_b32_sdwa v16, v16, v3 dst_sel:DWORD dst_unused:UNUSED_PAD src0_sel:DWORD src1_sel:WORD_1
	v_bfrev_b32_e32 v18, 60
	v_lshlrev_b32_e32 v10, 20, v10
	v_and_b32_e32 v16, 0x80000000, v16
	v_lshl_add_u32 v2, v2, 23, v18
	v_or3_b32 v16, v16, v2, v10
.LBB564_727:
	s_or_b64 exec, exec, s[10:11]
.LBB564_728:
	s_or_b64 exec, exec, s[8:9]
.LBB564_729:
	s_or_b64 exec, exec, s[2:3]
	s_mov_b32 s2, 0xffffff
	v_cmp_lt_u32_e32 vcc, s2, v3
	v_mov_b32_e32 v10, 0
	v_mov_b32_e32 v18, 0
	s_and_saveexec_b64 s[2:3], vcc
	s_cbranch_execz .LBB564_735
; %bb.730:
	v_lshrrev_b32_e32 v2, 24, v3
	s_movk_i32 s7, 0x80
	v_cmp_ne_u32_e32 vcc, s7, v2
	v_bfrev_b32_e32 v18, 1
	s_and_saveexec_b64 s[8:9], vcc
	s_cbranch_execz .LBB564_734
; %bb.731:
	v_bfe_u32 v3, v3, 24, 7
	s_movk_i32 s7, 0x7f
	v_cmp_ne_u32_e32 vcc, s7, v3
	v_mov_b32_e32 v18, 0x7f800001
	s_and_saveexec_b64 s[10:11], vcc
	s_cbranch_execz .LBB564_733
; %bb.732:
	v_and_b32_e32 v20, 7, v2
	v_ffbh_u32_e32 v18, v20
	v_min_u32_e32 v23, 32, v18
	v_subrev_u32_e32 v18, 28, v23
	v_lshlrev_b64 v[18:19], v18, v[2:3]
	v_lshrrev_b32_e32 v21, 3, v3
	v_sub_u32_e32 v19, 29, v23
	v_and_b32_e32 v18, 7, v18
	v_cmp_gt_u32_e32 vcc, 8, v3
	v_cndmask_b32_e32 v3, v21, v19, vcc
	v_cndmask_b32_e32 v18, v20, v18, vcc
	v_lshlrev_b32_e32 v2, 24, v2
	v_bfrev_b32_e32 v19, 60
	v_lshlrev_b32_e32 v18, 20, v18
	v_and_b32_e32 v2, 0x80000000, v2
	v_lshl_add_u32 v3, v3, 23, v19
	v_or3_b32 v18, v2, v3, v18
.LBB564_733:
	s_or_b64 exec, exec, s[10:11]
.LBB564_734:
	s_or_b64 exec, exec, s[8:9]
.LBB564_735:
	s_or_b64 exec, exec, s[2:3]
	v_cvt_pkrtz_f16_f32 v2, v15, v12
	v_cvt_pkrtz_f16_f32 v3, v11, v14
	ds_read_b128 v[24:27], v22 offset:6144
	v_cmp_ne_u16_sdwa s[8:9], v4, v10 src0_sel:BYTE_0 src1_sel:DWORD
	s_waitcnt lgkmcnt(0)
	v_mfma_f32_16x16x16f16 v[6:9], v[2:3], v[24:25], v[6:9]
	v_cvt_pkrtz_f16_f32 v2, v13, v17
	v_cvt_pkrtz_f16_f32 v3, v16, v18
	s_nop 1
	v_mfma_f32_16x16x16f16 v[6:9], v[2:3], v[26:27], v[6:9]
	s_and_saveexec_b64 s[2:3], s[8:9]
	s_cbranch_execz .LBB564_741
; %bb.736:
	s_movk_i32 s7, 0x80
	v_cmp_ne_u16_sdwa s[10:11], v4, s7 src0_sel:BYTE_0 src1_sel:DWORD
	v_bfrev_b32_e32 v10, 1
	s_and_saveexec_b64 s[8:9], s[10:11]
	s_cbranch_execz .LBB564_740
; %bb.737:
	s_movk_i32 s7, 0x7f
	v_and_b32_e32 v2, 0x7f, v4
	v_cmp_ne_u32_e32 vcc, s7, v2
	v_mov_b32_e32 v10, 0x7f800001
	s_and_saveexec_b64 s[10:11], vcc
	s_cbranch_execz .LBB564_739
; %bb.738:
	v_and_b32_e32 v3, 7, v4
	v_ffbh_u32_e32 v10, v3
	v_min_u32_e32 v13, 32, v10
	v_subrev_u32_e32 v10, 28, v13
	v_lshlrev_b64 v[10:11], v10, v[4:5]
	v_lshrrev_b32_e32 v12, 3, v2
	v_sub_u32_e32 v11, 29, v13
	v_and_b32_e32 v10, 7, v10
	v_cmp_gt_u32_e32 vcc, 8, v2
	v_cndmask_b32_e32 v2, v12, v11, vcc
	v_cndmask_b32_e32 v3, v3, v10, vcc
	v_lshlrev_b32_e32 v10, 24, v4
	v_bfrev_b32_e32 v11, 60
	v_lshlrev_b32_e32 v3, 20, v3
	v_and_b32_e32 v10, 0x80000000, v10
	v_lshl_add_u32 v2, v2, 23, v11
	v_or3_b32 v10, v10, v2, v3
.LBB564_739:
	s_or_b64 exec, exec, s[10:11]
.LBB564_740:
	s_or_b64 exec, exec, s[8:9]
.LBB564_741:
	s_or_b64 exec, exec, s[2:3]
	v_lshrrev_b16_e32 v2, 8, v4
	v_cmp_ne_u16_e32 vcc, 0, v2
	v_mov_b32_e32 v3, 0
	v_mov_b32_e32 v11, 0
	s_and_saveexec_b64 s[2:3], vcc
	s_cbranch_execz .LBB564_747
; %bb.742:
	s_movk_i32 s7, 0x80
	v_cmp_ne_u16_e32 vcc, s7, v2
	v_bfrev_b32_e32 v11, 1
	s_and_saveexec_b64 s[8:9], vcc
	s_cbranch_execz .LBB564_746
; %bb.743:
	s_movk_i32 s7, 0x7f
	v_and_b32_e32 v12, 0x7f, v2
	v_cmp_ne_u32_e32 vcc, s7, v12
	v_mov_b32_e32 v11, 0x7f800001
	s_and_saveexec_b64 s[10:11], vcc
	s_cbranch_execz .LBB564_745
; %bb.744:
	v_and_b32_e32 v11, 7, v2
	v_ffbh_u32_e32 v14, v11
	v_min_u32_e32 v16, 32, v14
	v_subrev_u32_e32 v14, 28, v16
	v_lshlrev_b64 v[14:15], v14, v[2:3]
	v_lshrrev_b32_e32 v13, 3, v12
	v_sub_u32_e32 v2, 29, v16
	v_and_b32_e32 v14, 7, v14
	v_cmp_gt_u32_e32 vcc, 8, v12
	v_cndmask_b32_e32 v2, v13, v2, vcc
	v_cndmask_b32_e32 v11, v11, v14, vcc
	v_lshlrev_b32_e32 v12, 16, v4
	v_bfrev_b32_e32 v13, 60
	v_lshlrev_b32_e32 v11, 20, v11
	v_and_b32_e32 v12, 0x80000000, v12
	v_lshl_add_u32 v2, v2, 23, v13
	v_or3_b32 v11, v12, v2, v11
.LBB564_745:
	s_or_b64 exec, exec, s[10:11]
.LBB564_746:
	s_or_b64 exec, exec, s[8:9]
.LBB564_747:
	s_or_b64 exec, exec, s[2:3]
	s_movk_i32 s2, 0xff
	v_and_b32_sdwa v12, v4, s2 dst_sel:DWORD dst_unused:UNUSED_PAD src0_sel:WORD_1 src1_sel:DWORD
	v_lshrrev_b32_e32 v2, 16, v4
	v_cmp_ne_u16_e32 vcc, 0, v12
	s_and_saveexec_b64 s[2:3], vcc
	s_cbranch_execz .LBB564_753
; %bb.748:
	s_movk_i32 s7, 0x80
	v_cmp_ne_u16_e32 vcc, s7, v12
	v_bfrev_b32_e32 v3, 1
	s_and_saveexec_b64 s[8:9], vcc
	s_cbranch_execz .LBB564_752
; %bb.749:
	v_bfe_u32 v12, v4, 16, 7
	s_movk_i32 s7, 0x7f
	v_cmp_ne_u32_e32 vcc, s7, v12
	v_mov_b32_e32 v3, 0x7f800001
	s_and_saveexec_b64 s[10:11], vcc
	s_cbranch_execz .LBB564_751
; %bb.750:
	v_and_b32_e32 v13, 7, v2
	v_ffbh_u32_e32 v3, v13
	v_min_u32_e32 v15, 32, v3
	v_subrev_u32_e32 v3, 28, v15
	v_lshlrev_b64 v[2:3], v3, v[2:3]
	v_lshrrev_b32_e32 v14, 3, v12
	v_sub_u32_e32 v3, 29, v15
	v_and_b32_e32 v2, 7, v2
	v_cmp_gt_u32_e32 vcc, 8, v12
	v_mov_b32_e32 v12, 24
	v_cndmask_b32_e32 v3, v14, v3, vcc
	v_cndmask_b32_e32 v2, v13, v2, vcc
	v_lshlrev_b32_sdwa v12, v12, v4 dst_sel:DWORD dst_unused:UNUSED_PAD src0_sel:DWORD src1_sel:WORD_1
	v_bfrev_b32_e32 v13, 60
	v_lshlrev_b32_e32 v2, 20, v2
	v_and_b32_e32 v12, 0x80000000, v12
	v_lshl_add_u32 v3, v3, 23, v13
	v_or3_b32 v3, v12, v3, v2
.LBB564_751:
	s_or_b64 exec, exec, s[10:11]
.LBB564_752:
	s_or_b64 exec, exec, s[8:9]
.LBB564_753:
	s_or_b64 exec, exec, s[2:3]
	s_mov_b32 s2, 0xffffff
	v_cmp_lt_u32_e32 vcc, s2, v4
	v_mov_b32_e32 v12, 0
	v_mov_b32_e32 v13, 0
	s_and_saveexec_b64 s[2:3], vcc
	s_cbranch_execz .LBB564_759
; %bb.754:
	v_lshrrev_b32_e32 v2, 24, v4
	s_movk_i32 s7, 0x80
	v_cmp_ne_u32_e32 vcc, s7, v2
	v_bfrev_b32_e32 v13, 1
	s_and_saveexec_b64 s[8:9], vcc
	s_cbranch_execz .LBB564_758
; %bb.755:
	v_bfe_u32 v4, v4, 24, 7
	s_movk_i32 s7, 0x7f
	v_cmp_ne_u32_e32 vcc, s7, v4
	v_mov_b32_e32 v13, 0x7f800001
	s_and_saveexec_b64 s[10:11], vcc
	s_cbranch_execz .LBB564_757
; %bb.756:
	v_and_b32_e32 v13, 7, v2
	v_ffbh_u32_e32 v14, v13
	v_min_u32_e32 v17, 32, v14
	v_subrev_u32_e32 v14, 28, v17
	v_lshlrev_b64 v[14:15], v14, v[2:3]
	v_lshrrev_b32_e32 v16, 3, v4
	v_sub_u32_e32 v15, 29, v17
	v_and_b32_e32 v14, 7, v14
	v_cmp_gt_u32_e32 vcc, 8, v4
	v_cndmask_b32_e32 v4, v16, v15, vcc
	v_cndmask_b32_e32 v13, v13, v14, vcc
	v_lshlrev_b32_e32 v2, 24, v2
	v_bfrev_b32_e32 v14, 60
	v_lshlrev_b32_e32 v13, 20, v13
	v_and_b32_e32 v2, 0x80000000, v2
	v_lshl_add_u32 v4, v4, 23, v14
	v_or3_b32 v13, v2, v4, v13
.LBB564_757:
	s_or_b64 exec, exec, s[10:11]
.LBB564_758:
	s_or_b64 exec, exec, s[8:9]
.LBB564_759:
	s_or_b64 exec, exec, s[2:3]
	v_cmp_ne_u16_sdwa s[8:9], v5, v12 src0_sel:BYTE_0 src1_sel:DWORD
	s_and_saveexec_b64 s[2:3], s[8:9]
	s_cbranch_execz .LBB564_765
; %bb.760:
	s_movk_i32 s7, 0x80
	v_cmp_ne_u16_sdwa s[10:11], v5, s7 src0_sel:BYTE_0 src1_sel:DWORD
	v_bfrev_b32_e32 v12, 1
	s_and_saveexec_b64 s[8:9], s[10:11]
	s_cbranch_execz .LBB564_764
; %bb.761:
	s_movk_i32 s7, 0x7f
	v_and_b32_e32 v2, 0x7f, v5
	v_cmp_ne_u32_e32 vcc, s7, v2
	v_mov_b32_e32 v12, 0x7f800001
	s_and_saveexec_b64 s[10:11], vcc
	s_cbranch_execz .LBB564_763
; %bb.762:
	v_and_b32_e32 v12, 7, v5
	v_ffbh_u32_e32 v14, v12
	v_min_u32_e32 v17, 32, v14
	v_mov_b32_e32 v4, v5
	v_subrev_u32_e32 v14, 28, v17
	v_lshlrev_b64 v[14:15], v14, v[4:5]
	v_lshrrev_b32_e32 v16, 3, v2
	v_sub_u32_e32 v4, 29, v17
	v_and_b32_e32 v14, 7, v14
	v_cmp_gt_u32_e32 vcc, 8, v2
	v_cndmask_b32_e32 v2, v16, v4, vcc
	v_cndmask_b32_e32 v4, v12, v14, vcc
	v_lshlrev_b32_e32 v12, 24, v5
	v_bfrev_b32_e32 v14, 60
	v_lshlrev_b32_e32 v4, 20, v4
	v_and_b32_e32 v12, 0x80000000, v12
	v_lshl_add_u32 v2, v2, 23, v14
	v_or3_b32 v12, v12, v2, v4
.LBB564_763:
	s_or_b64 exec, exec, s[10:11]
.LBB564_764:
	s_or_b64 exec, exec, s[8:9]
.LBB564_765:
	s_or_b64 exec, exec, s[2:3]
	v_lshrrev_b16_e32 v2, 8, v5
	v_cmp_ne_u16_e32 vcc, 0, v2
	v_mov_b32_e32 v4, 0
	v_mov_b32_e32 v14, 0
	s_and_saveexec_b64 s[2:3], vcc
	s_cbranch_execz .LBB564_771
; %bb.766:
	s_movk_i32 s7, 0x80
	v_cmp_ne_u16_e32 vcc, s7, v2
	v_bfrev_b32_e32 v14, 1
	s_and_saveexec_b64 s[8:9], vcc
	s_cbranch_execz .LBB564_770
; %bb.767:
	s_movk_i32 s7, 0x7f
	v_and_b32_e32 v15, 0x7f, v2
	v_cmp_ne_u32_e32 vcc, s7, v15
	v_mov_b32_e32 v14, 0x7f800001
	s_and_saveexec_b64 s[10:11], vcc
	s_cbranch_execz .LBB564_769
; %bb.768:
	v_and_b32_e32 v14, 7, v2
	v_ffbh_u32_e32 v16, v14
	v_min_u32_e32 v19, 32, v16
	v_subrev_u32_e32 v16, 28, v19
	v_lshlrev_b64 v[16:17], v16, v[2:3]
	v_lshrrev_b32_e32 v18, 3, v15
	v_sub_u32_e32 v2, 29, v19
	v_and_b32_e32 v16, 7, v16
	v_cmp_gt_u32_e32 vcc, 8, v15
	v_cndmask_b32_e32 v2, v18, v2, vcc
	v_cndmask_b32_e32 v14, v14, v16, vcc
	v_lshlrev_b32_e32 v15, 16, v5
	v_bfrev_b32_e32 v16, 60
	v_lshlrev_b32_e32 v14, 20, v14
	v_and_b32_e32 v15, 0x80000000, v15
	v_lshl_add_u32 v2, v2, 23, v16
	v_or3_b32 v14, v15, v2, v14
.LBB564_769:
	s_or_b64 exec, exec, s[10:11]
.LBB564_770:
	s_or_b64 exec, exec, s[8:9]
.LBB564_771:
	s_or_b64 exec, exec, s[2:3]
	s_movk_i32 s2, 0xff
	v_and_b32_sdwa v15, v5, s2 dst_sel:DWORD dst_unused:UNUSED_PAD src0_sel:WORD_1 src1_sel:DWORD
	v_lshrrev_b32_e32 v2, 16, v5
	v_cmp_ne_u16_e32 vcc, 0, v15
	s_and_saveexec_b64 s[2:3], vcc
	s_cbranch_execz .LBB564_777
; %bb.772:
	s_movk_i32 s7, 0x80
	v_cmp_ne_u16_e32 vcc, s7, v15
	v_bfrev_b32_e32 v4, 1
	s_and_saveexec_b64 s[8:9], vcc
	s_cbranch_execz .LBB564_776
; %bb.773:
	v_bfe_u32 v15, v5, 16, 7
	s_movk_i32 s7, 0x7f
	v_cmp_ne_u32_e32 vcc, s7, v15
	v_mov_b32_e32 v4, 0x7f800001
	s_and_saveexec_b64 s[10:11], vcc
	s_cbranch_execz .LBB564_775
; %bb.774:
	v_and_b32_e32 v4, 7, v2
	v_ffbh_u32_e32 v16, v4
	v_min_u32_e32 v19, 32, v16
	v_subrev_u32_e32 v16, 28, v19
	v_lshlrev_b64 v[16:17], v16, v[2:3]
	v_lshrrev_b32_e32 v18, 3, v15
	v_sub_u32_e32 v2, 29, v19
	v_and_b32_e32 v16, 7, v16
	v_cmp_gt_u32_e32 vcc, 8, v15
	v_mov_b32_e32 v15, 24
	v_cndmask_b32_e32 v2, v18, v2, vcc
	v_cndmask_b32_e32 v4, v4, v16, vcc
	v_lshlrev_b32_sdwa v15, v15, v5 dst_sel:DWORD dst_unused:UNUSED_PAD src0_sel:DWORD src1_sel:WORD_1
	v_bfrev_b32_e32 v16, 60
	v_lshlrev_b32_e32 v4, 20, v4
	v_and_b32_e32 v15, 0x80000000, v15
	v_lshl_add_u32 v2, v2, 23, v16
	v_or3_b32 v4, v15, v2, v4
.LBB564_775:
	s_or_b64 exec, exec, s[10:11]
.LBB564_776:
	s_or_b64 exec, exec, s[8:9]
.LBB564_777:
	s_or_b64 exec, exec, s[2:3]
	s_mov_b32 s2, 0xffffff
	v_cmp_lt_u32_e32 vcc, s2, v5
	v_mov_b32_e32 v15, 0
	s_and_saveexec_b64 s[2:3], vcc
	s_cbranch_execz .LBB564_783
; %bb.778:
	v_lshrrev_b32_e32 v2, 24, v5
	s_movk_i32 s7, 0x80
	v_cmp_ne_u32_e32 vcc, s7, v2
	v_bfrev_b32_e32 v15, 1
	s_and_saveexec_b64 s[8:9], vcc
	s_cbranch_execz .LBB564_782
; %bb.779:
	v_bfe_u32 v5, v5, 24, 7
	s_movk_i32 s7, 0x7f
	v_cmp_ne_u32_e32 vcc, s7, v5
	v_mov_b32_e32 v15, 0x7f800001
	s_and_saveexec_b64 s[10:11], vcc
	s_cbranch_execz .LBB564_781
; %bb.780:
	v_and_b32_e32 v15, 7, v2
	v_ffbh_u32_e32 v16, v15
	v_min_u32_e32 v19, 32, v16
	v_subrev_u32_e32 v16, 28, v19
	v_lshlrev_b64 v[16:17], v16, v[2:3]
	v_lshrrev_b32_e32 v18, 3, v5
	v_sub_u32_e32 v17, 29, v19
	v_and_b32_e32 v16, 7, v16
	v_cmp_gt_u32_e32 vcc, 8, v5
	v_cndmask_b32_e32 v5, v18, v17, vcc
	v_cndmask_b32_e32 v15, v15, v16, vcc
	v_lshlrev_b32_e32 v2, 24, v2
	v_bfrev_b32_e32 v16, 60
	v_lshlrev_b32_e32 v15, 20, v15
	v_and_b32_e32 v2, 0x80000000, v2
	v_lshl_add_u32 v5, v5, 23, v16
	v_or3_b32 v15, v2, v5, v15
.LBB564_781:
	s_or_b64 exec, exec, s[10:11]
.LBB564_782:
	s_or_b64 exec, exec, s[8:9]
.LBB564_783:
	s_or_b64 exec, exec, s[2:3]
	v_cvt_pkrtz_f16_f32 v2, v10, v11
	v_cvt_pkrtz_f16_f32 v3, v3, v13
	ds_read_b128 v[16:19], v22 offset:6160
	s_load_dword s2, s[42:43], 0x0
	v_cmp_gt_u32_e32 vcc, 64, v0
	s_waitcnt lgkmcnt(0)
	v_mfma_f32_16x16x16f16 v[6:9], v[2:3], v[16:17], v[6:9]
	v_cvt_pkrtz_f16_f32 v2, v12, v14
	v_cvt_pkrtz_f16_f32 v3, v4, v15
	s_and_b64 s[0:1], vcc, s[0:1]
	s_barrier
	v_mfma_f32_16x16x16f16 v[2:5], v[2:3], v[18:19], v[6:9]
	s_nop 7
	s_nop 2
	v_pk_mul_f32 v[4:5], v[4:5], s[2:3] op_sel_hi:[1,0]
	v_pk_mul_f32 v[2:3], v[2:3], s[2:3] op_sel_hi:[1,0]
	v_cvt_f16_f32_e32 v2, v2
	v_cvt_f16_f32_e32 v3, v3
	;; [unrolled: 1-line block ×4, first 2 shown]
	v_pack_b32_f16 v2, v2, v3
	v_pack_b32_f16 v3, v4, v5
	ds_write_b64 v28, v[2:3]
	s_waitcnt lgkmcnt(0)
	s_barrier
	s_and_saveexec_b64 s[2:3], s[0:1]
	s_cbranch_execz .LBB564_786
; %bb.784:
	s_load_dwordx2 s[2:3], s[4:5], 0x68
	s_lshl_b32 s0, s44, 6
	s_mul_i32 s1, s12, s6
	s_mul_hi_u32 s7, s1, s0
	s_mul_i32 s6, s1, s0
	s_lshl_b64 s[6:7], s[6:7], 1
	s_waitcnt lgkmcnt(0)
	s_add_u32 s1, s2, s6
	s_mov_b32 s5, 0
	s_addc_u32 s6, s3, s7
	s_lshl_b32 s4, s24, 6
	v_lshlrev_b32_e32 v0, 10, v0
	s_lshl_b64 s[2:3], s[4:5], 1
	v_and_b32_e32 v0, 0x1800, v0
	v_lshlrev_b32_e32 v2, 5, v1
	v_and_b32_e32 v3, 16, v47
	s_add_u32 s1, s1, s2
	v_or3_b32 v0, v0, v2, v3
	s_addc_u32 s2, s6, s3
	v_add_u32_e32 v8, s25, v1
	v_mov_b32_e32 v3, s2
	v_add_co_u32_e32 v2, vcc, s1, v46
	ds_read_b128 v[4:7], v0
	v_mad_u64_u32 v[8:9], s[2:3], v8, s0, 0
	v_addc_co_u32_e32 v3, vcc, 0, v3, vcc
	v_lshlrev_b64 v[8:9], 1, v[8:9]
	v_add_co_u32_e32 v8, vcc, v2, v8
	v_addc_co_u32_e32 v9, vcc, v3, v9, vcc
	v_cmp_ne_u32_e32 vcc, 3, v1
	s_waitcnt lgkmcnt(0)
	global_store_dwordx4 v[8:9], v[4:7], off
	s_and_b64 exec, exec, vcc
	s_cbranch_execz .LBB564_786
; %bb.785:
	ds_read_b128 v[4:7], v0 offset:128
	v_add3_u32 v0, s25, v1, 4
	v_mad_u64_u32 v[0:1], s[0:1], v0, s0, 0
	v_lshlrev_b64 v[0:1], 1, v[0:1]
	v_add_co_u32_e32 v0, vcc, v2, v0
	v_addc_co_u32_e32 v1, vcc, v3, v1, vcc
	s_waitcnt lgkmcnt(0)
	global_store_dwordx4 v[0:1], v[4:7], off
.LBB564_786:
	s_endpgm
	.section	.rodata,"a",@progbits
	.p2align	6, 0x0
	.amdhsa_kernel _Z39paged_attention_ll4mi_QKV_mfma16_kernelIDF16_hLN4vllm18Fp8KVCacheDataTypeE1EDF16_Li16ELi64ELi256ELb0ELi7EL8MFMAType0EEvPKT_PKT0_S8_ifPKiSA_SA_iPKfiiiPfSD_PS3_PT2_iSC_SC_
		.amdhsa_group_segment_fixed_size 8192
		.amdhsa_private_segment_fixed_size 0
		.amdhsa_kernarg_size 400
		.amdhsa_user_sgpr_count 6
		.amdhsa_user_sgpr_private_segment_buffer 1
		.amdhsa_user_sgpr_dispatch_ptr 0
		.amdhsa_user_sgpr_queue_ptr 0
		.amdhsa_user_sgpr_kernarg_segment_ptr 1
		.amdhsa_user_sgpr_dispatch_id 0
		.amdhsa_user_sgpr_flat_scratch_init 0
		.amdhsa_user_sgpr_kernarg_preload_length 0
		.amdhsa_user_sgpr_kernarg_preload_offset 0
		.amdhsa_user_sgpr_private_segment_size 0
		.amdhsa_uses_dynamic_stack 0
		.amdhsa_system_sgpr_private_segment_wavefront_offset 0
		.amdhsa_system_sgpr_workgroup_id_x 1
		.amdhsa_system_sgpr_workgroup_id_y 1
		.amdhsa_system_sgpr_workgroup_id_z 1
		.amdhsa_system_sgpr_workgroup_info 0
		.amdhsa_system_vgpr_workitem_id 0
		.amdhsa_next_free_vgpr 61
		.amdhsa_next_free_sgpr 47
		.amdhsa_accum_offset 64
		.amdhsa_reserve_vcc 1
		.amdhsa_reserve_flat_scratch 0
		.amdhsa_float_round_mode_32 0
		.amdhsa_float_round_mode_16_64 0
		.amdhsa_float_denorm_mode_32 3
		.amdhsa_float_denorm_mode_16_64 3
		.amdhsa_dx10_clamp 1
		.amdhsa_ieee_mode 1
		.amdhsa_fp16_overflow 0
		.amdhsa_tg_split 0
		.amdhsa_exception_fp_ieee_invalid_op 0
		.amdhsa_exception_fp_denorm_src 0
		.amdhsa_exception_fp_ieee_div_zero 0
		.amdhsa_exception_fp_ieee_overflow 0
		.amdhsa_exception_fp_ieee_underflow 0
		.amdhsa_exception_fp_ieee_inexact 0
		.amdhsa_exception_int_div_zero 0
	.end_amdhsa_kernel
	.section	.text._Z39paged_attention_ll4mi_QKV_mfma16_kernelIDF16_hLN4vllm18Fp8KVCacheDataTypeE1EDF16_Li16ELi64ELi256ELb0ELi7EL8MFMAType0EEvPKT_PKT0_S8_ifPKiSA_SA_iPKfiiiPfSD_PS3_PT2_iSC_SC_,"axG",@progbits,_Z39paged_attention_ll4mi_QKV_mfma16_kernelIDF16_hLN4vllm18Fp8KVCacheDataTypeE1EDF16_Li16ELi64ELi256ELb0ELi7EL8MFMAType0EEvPKT_PKT0_S8_ifPKiSA_SA_iPKfiiiPfSD_PS3_PT2_iSC_SC_,comdat
.Lfunc_end564:
	.size	_Z39paged_attention_ll4mi_QKV_mfma16_kernelIDF16_hLN4vllm18Fp8KVCacheDataTypeE1EDF16_Li16ELi64ELi256ELb0ELi7EL8MFMAType0EEvPKT_PKT0_S8_ifPKiSA_SA_iPKfiiiPfSD_PS3_PT2_iSC_SC_, .Lfunc_end564-_Z39paged_attention_ll4mi_QKV_mfma16_kernelIDF16_hLN4vllm18Fp8KVCacheDataTypeE1EDF16_Li16ELi64ELi256ELb0ELi7EL8MFMAType0EEvPKT_PKT0_S8_ifPKiSA_SA_iPKfiiiPfSD_PS3_PT2_iSC_SC_
                                        ; -- End function
	.section	.AMDGPU.csdata,"",@progbits
; Kernel info:
; codeLenInByte = 26924
; NumSgprs: 51
; NumVgprs: 61
; NumAgprs: 0
; TotalNumVgprs: 61
; ScratchSize: 0
; MemoryBound: 0
; FloatMode: 240
; IeeeMode: 1
; LDSByteSize: 8192 bytes/workgroup (compile time only)
; SGPRBlocks: 6
; VGPRBlocks: 7
; NumSGPRsForWavesPerEU: 51
; NumVGPRsForWavesPerEU: 61
; AccumOffset: 64
; Occupancy: 8
; WaveLimiterHint : 1
; COMPUTE_PGM_RSRC2:SCRATCH_EN: 0
; COMPUTE_PGM_RSRC2:USER_SGPR: 6
; COMPUTE_PGM_RSRC2:TRAP_HANDLER: 0
; COMPUTE_PGM_RSRC2:TGID_X_EN: 1
; COMPUTE_PGM_RSRC2:TGID_Y_EN: 1
; COMPUTE_PGM_RSRC2:TGID_Z_EN: 1
; COMPUTE_PGM_RSRC2:TIDIG_COMP_CNT: 0
; COMPUTE_PGM_RSRC3_GFX90A:ACCUM_OFFSET: 15
; COMPUTE_PGM_RSRC3_GFX90A:TG_SPLIT: 0
	.section	.text._Z39paged_attention_ll4mi_QKV_mfma16_kernelIDF16_hLN4vllm18Fp8KVCacheDataTypeE1EDF16_Li16ELi64ELi256ELb0ELi8EL8MFMAType0EEvPKT_PKT0_S8_ifPKiSA_SA_iPKfiiiPfSD_PS3_PT2_iSC_SC_,"axG",@progbits,_Z39paged_attention_ll4mi_QKV_mfma16_kernelIDF16_hLN4vllm18Fp8KVCacheDataTypeE1EDF16_Li16ELi64ELi256ELb0ELi8EL8MFMAType0EEvPKT_PKT0_S8_ifPKiSA_SA_iPKfiiiPfSD_PS3_PT2_iSC_SC_,comdat
	.protected	_Z39paged_attention_ll4mi_QKV_mfma16_kernelIDF16_hLN4vllm18Fp8KVCacheDataTypeE1EDF16_Li16ELi64ELi256ELb0ELi8EL8MFMAType0EEvPKT_PKT0_S8_ifPKiSA_SA_iPKfiiiPfSD_PS3_PT2_iSC_SC_ ; -- Begin function _Z39paged_attention_ll4mi_QKV_mfma16_kernelIDF16_hLN4vllm18Fp8KVCacheDataTypeE1EDF16_Li16ELi64ELi256ELb0ELi8EL8MFMAType0EEvPKT_PKT0_S8_ifPKiSA_SA_iPKfiiiPfSD_PS3_PT2_iSC_SC_
	.globl	_Z39paged_attention_ll4mi_QKV_mfma16_kernelIDF16_hLN4vllm18Fp8KVCacheDataTypeE1EDF16_Li16ELi64ELi256ELb0ELi8EL8MFMAType0EEvPKT_PKT0_S8_ifPKiSA_SA_iPKfiiiPfSD_PS3_PT2_iSC_SC_
	.p2align	8
	.type	_Z39paged_attention_ll4mi_QKV_mfma16_kernelIDF16_hLN4vllm18Fp8KVCacheDataTypeE1EDF16_Li16ELi64ELi256ELb0ELi8EL8MFMAType0EEvPKT_PKT0_S8_ifPKiSA_SA_iPKfiiiPfSD_PS3_PT2_iSC_SC_,@function
_Z39paged_attention_ll4mi_QKV_mfma16_kernelIDF16_hLN4vllm18Fp8KVCacheDataTypeE1EDF16_Li16ELi64ELi256ELb0ELi8EL8MFMAType0EEvPKT_PKT0_S8_ifPKiSA_SA_iPKfiiiPfSD_PS3_PT2_iSC_SC_: ; @_Z39paged_attention_ll4mi_QKV_mfma16_kernelIDF16_hLN4vllm18Fp8KVCacheDataTypeE1EDF16_Li16ELi64ELi256ELb0ELi8EL8MFMAType0EEvPKT_PKT0_S8_ifPKiSA_SA_iPKfiiiPfSD_PS3_PT2_iSC_SC_
; %bb.0:
	s_load_dwordx2 s[0:1], s[4:5], 0x30
	s_mov_b32 s24, s7
	s_mov_b64 s[10:11], 0
	s_waitcnt lgkmcnt(0)
	s_cmp_lg_u64 s[0:1], 0
	s_cselect_b64 s[2:3], -1, 0
	s_and_b64 vcc, exec, s[2:3]
	s_cbranch_vccz .LBB565_7
; %bb.1:
	s_add_i32 s12, s6, 1
	s_mov_b32 s13, 0
	s_lshl_b64 s[14:15], s[12:13], 2
	s_add_u32 s14, s0, s14
	s_mov_b32 s7, s13
	s_addc_u32 s15, s1, s15
	s_lshl_b64 s[12:13], s[6:7], 2
	s_add_u32 s12, s0, s12
	s_addc_u32 s13, s1, s13
	s_load_dword s9, s[14:15], 0x0
	s_load_dword s16, s[12:13], 0x0
	s_waitcnt lgkmcnt(0)
	s_sub_i32 s9, s9, s16
	s_cmp_eq_u32 s9, 1
	s_cselect_b64 s[12:13], -1, 0
	s_andn2_b64 vcc, exec, s[10:11]
	s_cbranch_vccnz .LBB565_3
.LBB565_2:
	s_mov_b32 s7, 0
	s_mov_b64 s[12:13], -1
.LBB565_3:
	s_andn2_b64 vcc, exec, s[12:13]
	s_cbranch_vccnz .LBB565_785
; %bb.4:
	s_load_dwordx2 s[12:13], s[4:5], 0x28
	s_lshl_b64 s[10:11], s[6:7], 2
	s_waitcnt lgkmcnt(0)
	s_add_u32 s12, s12, s10
	s_addc_u32 s13, s13, s11
	s_load_dword s33, s[12:13], 0x0
	s_lshl_b32 s20, s24, 8
	s_waitcnt lgkmcnt(0)
	s_cmp_ge_i32 s20, s33
	s_cbranch_scc1 .LBB565_785
; %bb.5:
	s_add_i32 s14, s33, 15
	s_load_dwordx2 s[12:13], s[4:5], 0x20
	s_load_dword s9, s[4:5], 0x38
	s_ashr_i32 s15, s14, 31
	v_and_b32_e32 v1, 0xcf, v0
	s_lshr_b32 s15, s15, 28
	v_add_u32_e32 v1, s20, v1
	s_add_i32 s14, s14, s15
	v_ashrrev_i32_e32 v2, 31, v1
	s_ashr_i32 s22, s14, 4
	v_lshrrev_b32_e32 v4, 28, v2
	s_add_i32 s22, s22, -1
	v_add_u32_e32 v2, v1, v4
	s_waitcnt lgkmcnt(0)
	s_mul_i32 s14, s6, s9
	s_mov_b32 s15, 0
	v_ashrrev_i32_e32 v2, 4, v2
	v_mov_b32_e32 v5, s22
	v_cmp_gt_i32_e32 vcc, s33, v1
	s_lshl_b64 s[14:15], s[14:15], 2
	v_cndmask_b32_e32 v2, v5, v2, vcc
	s_add_u32 s9, s12, s14
	v_ashrrev_i32_e32 v3, 31, v2
	s_addc_u32 s21, s13, s15
	v_lshlrev_b64 v[2:3], 2, v[2:3]
	v_mov_b32_e32 v7, s21
	v_add_co_u32_e32 v6, vcc, s9, v2
	v_or_b32_e32 v2, 16, v1
	v_addc_co_u32_e32 v7, vcc, v7, v3, vcc
	v_add_u32_e32 v3, v2, v4
	v_ashrrev_i32_e32 v3, 4, v3
	v_cmp_gt_i32_e32 vcc, s33, v2
	v_cndmask_b32_e32 v2, v5, v3, vcc
	v_ashrrev_i32_e32 v3, 31, v2
	v_lshlrev_b64 v[2:3], 2, v[2:3]
	v_mov_b32_e32 v9, s21
	v_add_co_u32_e32 v8, vcc, s9, v2
	v_or_b32_e32 v2, 32, v1
	v_addc_co_u32_e32 v9, vcc, v9, v3, vcc
	v_add_u32_e32 v3, v2, v4
	v_ashrrev_i32_e32 v3, 4, v3
	v_cmp_gt_i32_e32 vcc, s33, v2
	v_cndmask_b32_e32 v2, v5, v3, vcc
	v_ashrrev_i32_e32 v3, 31, v2
	;; [unrolled: 10-line block ×3, first 2 shown]
	v_lshlrev_b64 v[2:3], 2, v[2:3]
	v_mov_b32_e32 v1, s21
	v_add_co_u32_e32 v12, vcc, s9, v2
	v_addc_co_u32_e32 v13, vcc, v1, v3, vcc
	global_load_dword v4, v[6:7], off
	global_load_dword v5, v[8:9], off
	;; [unrolled: 1-line block ×4, first 2 shown]
	s_load_dwordx4 s[12:15], s[4:5], 0x8
	s_andn2_b64 vcc, exec, s[2:3]
	s_cbranch_vccnz .LBB565_8
; %bb.6:
	s_add_u32 s0, s0, s10
	s_addc_u32 s1, s1, s11
	s_load_dword s10, s[0:1], 0x0
	s_branch .LBB565_9
.LBB565_7:
	s_mov_b64 s[12:13], 0
	s_branch .LBB565_2
.LBB565_8:
	s_mov_b32 s10, s6
.LBB565_9:
	s_load_dwordx4 s[16:19], s[4:5], 0x48
	v_and_b32_e32 v49, 15, v0
	s_movk_i32 s0, 0x80
	v_lshlrev_b32_e32 v6, 3, v49
	v_cmp_gt_u32_e32 vcc, s0, v0
	v_cmp_gt_u32_e64 s[0:1], 8, v49
	v_lshrrev_b32_e32 v48, 6, v0
	v_bfe_u32 v1, v0, 4, 2
	s_lshl_b32 s25, s8, 3
	s_and_b64 s[26:27], vcc, s[0:1]
	v_lshlrev_b32_e32 v46, 1, v6
	v_lshlrev_b32_e32 v47, 4, v0
	s_and_saveexec_b64 s[2:3], s[26:27]
	s_cbranch_execz .LBB565_11
; %bb.10:
	s_load_dwordx2 s[26:27], s[4:5], 0x0
	s_waitcnt lgkmcnt(0)
	s_ashr_i32 s11, s16, 31
	s_mul_hi_u32 s19, s10, s16
	s_mul_i32 s11, s10, s11
	v_lshl_or_b32 v10, v48, 2, v1
	s_add_i32 s11, s19, s11
	s_mul_i32 s10, s10, s16
	s_lshl_b64 s[10:11], s[10:11], 1
	v_add_lshl_u32 v6, v10, s25, 6
	s_add_u32 s10, s26, s10
	v_ashrrev_i32_e32 v7, 31, v6
	s_addc_u32 s11, s27, s11
	v_lshlrev_b64 v[6:7], 1, v[6:7]
	v_mov_b32_e32 v8, s11
	v_add_co_u32_e32 v6, vcc, s10, v6
	v_addc_co_u32_e32 v7, vcc, v8, v7, vcc
	v_add_co_u32_e32 v6, vcc, v6, v46
	v_addc_co_u32_e32 v7, vcc, 0, v7, vcc
	global_load_dwordx4 v[6:9], v[6:7], off
	v_lshlrev_b32_e32 v12, 8, v49
	v_lshlrev_b32_e32 v10, 5, v10
	v_and_b32_e32 v11, 16, v47
	v_and_b32_e32 v12, 0xe00, v12
	v_or3_b32 v10, v12, v10, v11
	s_waitcnt vmcnt(0)
	ds_write_b128 v10, v[6:9]
.LBB565_11:
	s_or_b64 exec, exec, s[2:3]
	v_and_b32_e32 v12, 48, v0
	v_or_b32_e32 v13, s20, v12
	v_ashrrev_i32_e32 v6, 4, v13
	v_mov_b32_e32 v14, s22
	v_cmp_gt_i32_e32 vcc, s33, v13
	v_cndmask_b32_e32 v6, v14, v6, vcc
	v_ashrrev_i32_e32 v7, 31, v6
	v_lshlrev_b64 v[6:7], 2, v[6:7]
	v_mov_b32_e32 v8, s21
	v_add_co_u32_e32 v6, vcc, s9, v6
	v_addc_co_u32_e32 v7, vcc, v8, v7, vcc
	v_or_b32_e32 v8, 64, v13
	v_ashrrev_i32_e32 v9, 4, v8
	v_cmp_gt_i32_e32 vcc, s33, v8
	v_cndmask_b32_e32 v8, v14, v9, vcc
	v_ashrrev_i32_e32 v9, 31, v8
	v_lshlrev_b64 v[8:9], 2, v[8:9]
	v_mov_b32_e32 v10, s21
	v_add_co_u32_e32 v8, vcc, s9, v8
	v_addc_co_u32_e32 v9, vcc, v10, v9, vcc
	v_or_b32_e32 v10, 0x80, v13
	v_ashrrev_i32_e32 v11, 4, v10
	v_cmp_gt_i32_e32 vcc, s33, v10
	v_cndmask_b32_e32 v10, v14, v11, vcc
	v_ashrrev_i32_e32 v11, 31, v10
	v_lshlrev_b64 v[10:11], 2, v[10:11]
	v_mov_b32_e32 v15, s21
	v_add_co_u32_e32 v10, vcc, s9, v10
	s_load_dwordx2 s[44:45], s[4:5], 0x94
	s_load_dwordx4 s[40:43], s[4:5], 0x80
	s_waitcnt lgkmcnt(0)
	s_barrier
	v_addc_co_u32_e32 v11, vcc, v15, v11, vcc
	global_load_dword v15, v[6:7], off
	global_load_dword v16, v[8:9], off
	global_load_dword v18, v[10:11], off
	v_or_b32_e32 v6, 0xc0, v13
	v_ashrrev_i32_e32 v7, 4, v6
	v_cmp_gt_i32_e32 vcc, s33, v6
	v_cndmask_b32_e32 v6, v14, v7, vcc
	v_ashrrev_i32_e32 v7, 31, v6
	v_lshlrev_b64 v[6:7], 2, v[6:7]
	v_mov_b32_e32 v8, s21
	v_add_co_u32_e32 v6, vcc, s9, v6
	v_addc_co_u32_e32 v7, vcc, v8, v7, vcc
	global_load_dword v20, v[6:7], off
	s_mul_i32 s8, s8, s18
	s_add_u32 s2, s12, s8
	s_addc_u32 s3, s13, 0
	v_and_b32_e32 v6, 0xf0, v47
	v_mov_b32_e32 v7, s3
	v_add_co_u32_e32 v6, vcc, s2, v6
	v_addc_co_u32_e32 v7, vcc, 0, v7, vcc
	v_lshlrev_b32_e32 v8, 4, v12
	v_add_co_u32_e32 v6, vcc, v6, v8
	v_addc_co_u32_e32 v7, vcc, 0, v7, vcc
	s_waitcnt vmcnt(7)
	v_mad_i64_i32 v[8:9], s[2:3], v4, s17, v[6:7]
	s_waitcnt vmcnt(6)
	v_mad_i64_i32 v[4:5], s[2:3], v5, s17, v[6:7]
	global_load_dwordx4 v[30:33], v[8:9], off
	global_load_dwordx4 v[38:41], v[4:5], off
	s_waitcnt vmcnt(7)
	v_mad_i64_i32 v[4:5], s[2:3], v2, s17, v[6:7]
	s_waitcnt vmcnt(6)
	v_mad_i64_i32 v[2:3], s[2:3], v3, s17, v[6:7]
	global_load_dwordx4 v[34:37], v[4:5], off
	global_load_dwordx4 v[22:25], v[2:3], off
	s_add_u32 s2, s14, s8
	v_lshlrev_b32_e32 v2, 4, v49
	s_addc_u32 s3, s15, 0
	v_lshl_or_b32 v2, v48, 8, v2
	v_mov_b32_e32 v3, s3
	v_add_co_u32_e32 v2, vcc, s2, v2
	v_addc_co_u32_e32 v3, vcc, 0, v3, vcc
	v_mov_b32_e32 v43, 0
	v_mov_b32_e32 v44, 0
	s_waitcnt vmcnt(7)
	v_mad_i64_i32 v[4:5], s[2:3], v15, s17, v[2:3]
	s_waitcnt vmcnt(6)
	v_mad_i64_i32 v[6:7], s[2:3], v16, s17, v[2:3]
	;; [unrolled: 2-line block ×3, first 2 shown]
	global_load_dwordx4 v[14:17], v[4:5], off
	global_load_dwordx4 v[10:13], v[6:7], off
	s_waitcnt vmcnt(6)
	v_mad_i64_i32 v[20:21], s[2:3], v20, s17, v[2:3]
	global_load_dwordx4 v[6:9], v[18:19], off
	global_load_dwordx4 v[2:5], v[20:21], off
	v_and_b32_e32 v18, 7, v0
	v_lshlrev_b32_e32 v18, 5, v18
	v_lshl_or_b32 v18, v1, 9, v18
	ds_read_b128 v[26:29], v18
	ds_read_b128 v[18:21], v18 offset:16
	s_load_dword s12, s[40:41], 0x0
	s_waitcnt vmcnt(7)
	v_cmp_ne_u16_sdwa s[8:9], v30, v43 src0_sel:BYTE_0 src1_sel:DWORD
	s_and_saveexec_b64 s[2:3], s[8:9]
	s_cbranch_execz .LBB565_17
; %bb.12:
	s_movk_i32 s8, 0x80
	v_cmp_ne_u16_sdwa s[10:11], v30, s8 src0_sel:BYTE_0 src1_sel:DWORD
	v_bfrev_b32_e32 v44, 1
	s_and_saveexec_b64 s[8:9], s[10:11]
	s_cbranch_execz .LBB565_16
; %bb.13:
	s_movk_i32 s10, 0x7f
	v_and_b32_e32 v42, 0x7f, v30
	v_cmp_ne_u32_e32 vcc, s10, v42
	v_mov_b32_e32 v44, 0x7f800001
	s_and_saveexec_b64 s[10:11], vcc
	s_cbranch_execz .LBB565_15
; %bb.14:
	v_and_b32_e32 v50, 7, v30
	v_ffbh_u32_e32 v44, v50
	v_min_u32_e32 v52, 32, v44
	v_subrev_u32_e32 v44, 28, v52
	v_lshlrev_b64 v[44:45], v44, v[30:31]
	v_lshrrev_b32_e32 v51, 3, v42
	v_sub_u32_e32 v45, 29, v52
	v_and_b32_e32 v44, 7, v44
	v_cmp_gt_u32_e32 vcc, 8, v42
	v_cndmask_b32_e32 v42, v51, v45, vcc
	v_cndmask_b32_e32 v44, v50, v44, vcc
	v_lshlrev_b32_e32 v45, 24, v30
	v_bfrev_b32_e32 v50, 60
	v_lshlrev_b32_e32 v44, 20, v44
	v_and_b32_e32 v45, 0x80000000, v45
	v_lshl_add_u32 v42, v42, 23, v50
	v_or3_b32 v44, v45, v42, v44
.LBB565_15:
	s_or_b64 exec, exec, s[10:11]
.LBB565_16:
	s_or_b64 exec, exec, s[8:9]
.LBB565_17:
	s_or_b64 exec, exec, s[2:3]
	v_lshrrev_b16_e32 v42, 8, v30
	v_cmp_ne_u16_e32 vcc, 0, v42
	s_and_saveexec_b64 s[2:3], vcc
	s_cbranch_execz .LBB565_23
; %bb.18:
	s_movk_i32 s8, 0x80
	v_cmp_ne_u16_e32 vcc, s8, v42
	v_bfrev_b32_e32 v43, 1
	s_and_saveexec_b64 s[8:9], vcc
	s_cbranch_execz .LBB565_22
; %bb.19:
	s_movk_i32 s10, 0x7f
	v_and_b32_e32 v45, 0x7f, v42
	v_cmp_ne_u32_e32 vcc, s10, v45
	v_mov_b32_e32 v43, 0x7f800001
	s_and_saveexec_b64 s[10:11], vcc
	s_cbranch_execz .LBB565_21
; %bb.20:
	v_and_b32_e32 v50, 7, v42
	v_ffbh_u32_e32 v43, v50
	v_min_u32_e32 v52, 32, v43
	v_subrev_u32_e32 v43, 28, v52
	v_lshlrev_b64 v[42:43], v43, v[42:43]
	v_lshrrev_b32_e32 v51, 3, v45
	v_sub_u32_e32 v43, 29, v52
	v_and_b32_e32 v42, 7, v42
	v_cmp_gt_u32_e32 vcc, 8, v45
	v_cndmask_b32_e32 v43, v51, v43, vcc
	v_cndmask_b32_e32 v42, v50, v42, vcc
	v_lshlrev_b32_e32 v45, 16, v30
	v_bfrev_b32_e32 v50, 60
	v_lshlrev_b32_e32 v42, 20, v42
	v_and_b32_e32 v45, 0x80000000, v45
	v_lshl_add_u32 v43, v43, 23, v50
	v_or3_b32 v43, v45, v43, v42
.LBB565_21:
	s_or_b64 exec, exec, s[10:11]
.LBB565_22:
	s_or_b64 exec, exec, s[8:9]
.LBB565_23:
	s_or_b64 exec, exec, s[2:3]
	s_movk_i32 s2, 0xff
	v_and_b32_sdwa v51, v30, s2 dst_sel:DWORD dst_unused:UNUSED_PAD src0_sel:WORD_1 src1_sel:DWORD
	v_lshrrev_b32_e32 v42, 16, v30
	v_cmp_ne_u16_e32 vcc, 0, v51
	v_mov_b32_e32 v45, 0
	v_mov_b32_e32 v50, 0
	s_and_saveexec_b64 s[2:3], vcc
	s_cbranch_execz .LBB565_29
; %bb.24:
	s_movk_i32 s8, 0x80
	v_cmp_ne_u16_e32 vcc, s8, v51
	v_bfrev_b32_e32 v50, 1
	s_and_saveexec_b64 s[8:9], vcc
	s_cbranch_execz .LBB565_28
; %bb.25:
	v_bfe_u32 v51, v30, 16, 7
	s_movk_i32 s10, 0x7f
	v_cmp_ne_u32_e32 vcc, s10, v51
	v_mov_b32_e32 v50, 0x7f800001
	s_and_saveexec_b64 s[10:11], vcc
	s_cbranch_execz .LBB565_27
; %bb.26:
	v_and_b32_e32 v50, 7, v42
	v_ffbh_u32_e32 v52, v50
	v_min_u32_e32 v55, 32, v52
	v_subrev_u32_e32 v52, 28, v55
	v_lshlrev_b64 v[52:53], v52, v[42:43]
	v_lshrrev_b32_e32 v54, 3, v51
	v_sub_u32_e32 v42, 29, v55
	v_and_b32_e32 v52, 7, v52
	v_cmp_gt_u32_e32 vcc, 8, v51
	v_mov_b32_e32 v51, 24
	v_cndmask_b32_e32 v42, v54, v42, vcc
	v_cndmask_b32_e32 v50, v50, v52, vcc
	v_lshlrev_b32_sdwa v51, v51, v30 dst_sel:DWORD dst_unused:UNUSED_PAD src0_sel:DWORD src1_sel:WORD_1
	v_bfrev_b32_e32 v52, 60
	v_lshlrev_b32_e32 v50, 20, v50
	v_and_b32_e32 v51, 0x80000000, v51
	v_lshl_add_u32 v42, v42, 23, v52
	v_or3_b32 v50, v51, v42, v50
.LBB565_27:
	s_or_b64 exec, exec, s[10:11]
.LBB565_28:
	s_or_b64 exec, exec, s[8:9]
.LBB565_29:
	s_or_b64 exec, exec, s[2:3]
	s_mov_b32 s2, 0xffffff
	v_cmp_lt_u32_e32 vcc, s2, v30
	s_and_saveexec_b64 s[2:3], vcc
	s_cbranch_execz .LBB565_35
; %bb.30:
	v_lshrrev_b32_e32 v42, 24, v30
	s_movk_i32 s8, 0x80
	v_cmp_ne_u32_e32 vcc, s8, v42
	v_bfrev_b32_e32 v45, 1
	s_and_saveexec_b64 s[8:9], vcc
	s_cbranch_execz .LBB565_34
; %bb.31:
	v_bfe_u32 v30, v30, 24, 7
	s_movk_i32 s10, 0x7f
	v_cmp_ne_u32_e32 vcc, s10, v30
	v_mov_b32_e32 v45, 0x7f800001
	s_and_saveexec_b64 s[10:11], vcc
	s_cbranch_execz .LBB565_33
; %bb.32:
	v_and_b32_e32 v45, 7, v42
	v_ffbh_u32_e32 v52, v45
	v_min_u32_e32 v54, 32, v52
	v_subrev_u32_e32 v52, 28, v54
	v_lshlrev_b64 v[52:53], v52, v[42:43]
	v_lshrrev_b32_e32 v51, 3, v30
	v_sub_u32_e32 v53, 29, v54
	v_and_b32_e32 v52, 7, v52
	v_cmp_gt_u32_e32 vcc, 8, v30
	v_cndmask_b32_e32 v30, v51, v53, vcc
	v_cndmask_b32_e32 v45, v45, v52, vcc
	v_lshlrev_b32_e32 v42, 24, v42
	v_bfrev_b32_e32 v51, 60
	v_lshlrev_b32_e32 v45, 20, v45
	v_and_b32_e32 v42, 0x80000000, v42
	v_lshl_add_u32 v30, v30, 23, v51
	v_or3_b32 v45, v42, v30, v45
.LBB565_33:
	s_or_b64 exec, exec, s[10:11]
.LBB565_34:
	s_or_b64 exec, exec, s[8:9]
.LBB565_35:
	s_or_b64 exec, exec, s[2:3]
	v_mov_b32_e32 v42, 0
	v_cmp_ne_u16_sdwa s[8:9], v31, v42 src0_sel:BYTE_0 src1_sel:DWORD
	v_mov_b32_e32 v51, 0
	s_and_saveexec_b64 s[2:3], s[8:9]
	s_cbranch_execz .LBB565_41
; %bb.36:
	s_movk_i32 s8, 0x80
	v_cmp_ne_u16_sdwa s[10:11], v31, s8 src0_sel:BYTE_0 src1_sel:DWORD
	v_bfrev_b32_e32 v51, 1
	s_and_saveexec_b64 s[8:9], s[10:11]
	s_cbranch_execz .LBB565_40
; %bb.37:
	s_movk_i32 s10, 0x7f
	v_and_b32_e32 v30, 0x7f, v31
	v_cmp_ne_u32_e32 vcc, s10, v30
	v_mov_b32_e32 v51, 0x7f800001
	s_and_saveexec_b64 s[10:11], vcc
	s_cbranch_execz .LBB565_39
; %bb.38:
	v_and_b32_e32 v51, 7, v31
	v_ffbh_u32_e32 v53, v51
	v_min_u32_e32 v55, 32, v53
	v_mov_b32_e32 v52, v31
	v_subrev_u32_e32 v53, 28, v55
	v_lshlrev_b64 v[52:53], v53, v[52:53]
	v_lshrrev_b32_e32 v54, 3, v30
	v_sub_u32_e32 v53, 29, v55
	v_and_b32_e32 v52, 7, v52
	v_cmp_gt_u32_e32 vcc, 8, v30
	v_cndmask_b32_e32 v30, v54, v53, vcc
	v_cndmask_b32_e32 v51, v51, v52, vcc
	v_lshlrev_b32_e32 v52, 24, v31
	v_bfrev_b32_e32 v53, 60
	v_lshlrev_b32_e32 v51, 20, v51
	v_and_b32_e32 v52, 0x80000000, v52
	v_lshl_add_u32 v30, v30, 23, v53
	v_or3_b32 v51, v52, v30, v51
.LBB565_39:
	s_or_b64 exec, exec, s[10:11]
.LBB565_40:
	s_or_b64 exec, exec, s[8:9]
.LBB565_41:
	s_or_b64 exec, exec, s[2:3]
	v_lshrrev_b16_e32 v30, 8, v31
	v_cmp_ne_u16_e32 vcc, 0, v30
	s_and_saveexec_b64 s[2:3], vcc
	s_cbranch_execz .LBB565_47
; %bb.42:
	s_movk_i32 s8, 0x80
	v_cmp_ne_u16_e32 vcc, s8, v30
	v_bfrev_b32_e32 v42, 1
	s_and_saveexec_b64 s[8:9], vcc
	s_cbranch_execz .LBB565_46
; %bb.43:
	s_movk_i32 s10, 0x7f
	v_and_b32_e32 v52, 0x7f, v30
	v_cmp_ne_u32_e32 vcc, s10, v52
	v_mov_b32_e32 v42, 0x7f800001
	s_and_saveexec_b64 s[10:11], vcc
	s_cbranch_execz .LBB565_45
; %bb.44:
	v_and_b32_e32 v42, 7, v30
	v_ffbh_u32_e32 v54, v42
	v_min_u32_e32 v56, 32, v54
	v_subrev_u32_e32 v54, 28, v56
	v_lshlrev_b64 v[54:55], v54, v[30:31]
	v_lshrrev_b32_e32 v53, 3, v52
	v_sub_u32_e32 v30, 29, v56
	v_and_b32_e32 v54, 7, v54
	v_cmp_gt_u32_e32 vcc, 8, v52
	v_cndmask_b32_e32 v30, v53, v30, vcc
	v_cndmask_b32_e32 v42, v42, v54, vcc
	v_lshlrev_b32_e32 v52, 16, v31
	v_bfrev_b32_e32 v53, 60
	v_lshlrev_b32_e32 v42, 20, v42
	v_and_b32_e32 v52, 0x80000000, v52
	v_lshl_add_u32 v30, v30, 23, v53
	v_or3_b32 v42, v52, v30, v42
.LBB565_45:
	s_or_b64 exec, exec, s[10:11]
.LBB565_46:
	s_or_b64 exec, exec, s[8:9]
.LBB565_47:
	s_or_b64 exec, exec, s[2:3]
	s_movk_i32 s2, 0xff
	v_and_b32_sdwa v54, v31, s2 dst_sel:DWORD dst_unused:UNUSED_PAD src0_sel:WORD_1 src1_sel:DWORD
	v_lshrrev_b32_e32 v30, 16, v31
	v_cmp_ne_u16_e32 vcc, 0, v54
	v_mov_b32_e32 v52, 0
	v_mov_b32_e32 v53, 0
	s_and_saveexec_b64 s[2:3], vcc
	s_cbranch_execz .LBB565_53
; %bb.48:
	s_movk_i32 s8, 0x80
	v_cmp_ne_u16_e32 vcc, s8, v54
	v_bfrev_b32_e32 v53, 1
	s_and_saveexec_b64 s[8:9], vcc
	s_cbranch_execz .LBB565_52
; %bb.49:
	v_bfe_u32 v54, v31, 16, 7
	s_movk_i32 s10, 0x7f
	v_cmp_ne_u32_e32 vcc, s10, v54
	v_mov_b32_e32 v53, 0x7f800001
	s_and_saveexec_b64 s[10:11], vcc
	s_cbranch_execz .LBB565_51
; %bb.50:
	v_and_b32_e32 v53, 7, v30
	v_ffbh_u32_e32 v56, v53
	v_min_u32_e32 v58, 32, v56
	v_subrev_u32_e32 v56, 28, v58
	v_lshlrev_b64 v[56:57], v56, v[30:31]
	v_lshrrev_b32_e32 v55, 3, v54
	v_sub_u32_e32 v30, 29, v58
	v_and_b32_e32 v56, 7, v56
	v_cmp_gt_u32_e32 vcc, 8, v54
	v_mov_b32_e32 v54, 24
	v_cndmask_b32_e32 v30, v55, v30, vcc
	v_cndmask_b32_e32 v53, v53, v56, vcc
	v_lshlrev_b32_sdwa v54, v54, v31 dst_sel:DWORD dst_unused:UNUSED_PAD src0_sel:DWORD src1_sel:WORD_1
	v_bfrev_b32_e32 v55, 60
	v_lshlrev_b32_e32 v53, 20, v53
	v_and_b32_e32 v54, 0x80000000, v54
	v_lshl_add_u32 v30, v30, 23, v55
	v_or3_b32 v53, v54, v30, v53
.LBB565_51:
	s_or_b64 exec, exec, s[10:11]
.LBB565_52:
	s_or_b64 exec, exec, s[8:9]
.LBB565_53:
	s_or_b64 exec, exec, s[2:3]
	s_mov_b32 s2, 0xffffff
	v_cmp_lt_u32_e32 vcc, s2, v31
	s_and_saveexec_b64 s[2:3], vcc
	s_cbranch_execz .LBB565_59
; %bb.54:
	v_lshrrev_b32_e32 v30, 24, v31
	s_movk_i32 s8, 0x80
	v_cmp_ne_u32_e32 vcc, s8, v30
	v_bfrev_b32_e32 v52, 1
	s_and_saveexec_b64 s[8:9], vcc
	s_cbranch_execz .LBB565_58
; %bb.55:
	v_bfe_u32 v31, v31, 24, 7
	s_movk_i32 s10, 0x7f
	v_cmp_ne_u32_e32 vcc, s10, v31
	v_mov_b32_e32 v52, 0x7f800001
	s_and_saveexec_b64 s[10:11], vcc
	s_cbranch_execz .LBB565_57
; %bb.56:
	v_and_b32_e32 v52, 7, v30
	v_ffbh_u32_e32 v54, v52
	v_min_u32_e32 v57, 32, v54
	v_subrev_u32_e32 v54, 28, v57
	v_lshlrev_b64 v[54:55], v54, v[30:31]
	v_lshrrev_b32_e32 v56, 3, v31
	v_sub_u32_e32 v55, 29, v57
	v_and_b32_e32 v54, 7, v54
	v_cmp_gt_u32_e32 vcc, 8, v31
	v_cndmask_b32_e32 v31, v56, v55, vcc
	v_cndmask_b32_e32 v52, v52, v54, vcc
	v_lshlrev_b32_e32 v30, 24, v30
	v_bfrev_b32_e32 v54, 60
	v_lshlrev_b32_e32 v52, 20, v52
	v_and_b32_e32 v30, 0x80000000, v30
	v_lshl_add_u32 v31, v31, 23, v54
	v_or3_b32 v52, v30, v31, v52
.LBB565_57:
	s_or_b64 exec, exec, s[10:11]
.LBB565_58:
	s_or_b64 exec, exec, s[8:9]
.LBB565_59:
	s_or_b64 exec, exec, s[2:3]
	v_cvt_pkrtz_f16_f32 v30, v44, v43
	v_cvt_pkrtz_f16_f32 v31, v50, v45
	;; [unrolled: 1-line block ×4, first 2 shown]
	v_mov_b32_e32 v51, 0
	s_waitcnt lgkmcnt(0)
	v_mfma_f32_16x16x16f16 v[54:57], v[30:31], v[26:27], 0
	v_mov_b32_e32 v31, 0
	v_cmp_ne_u16_sdwa s[8:9], v32, v31 src0_sel:BYTE_0 src1_sel:DWORD
	v_mfma_f32_16x16x16f16 v[42:45], v[42:43], v[28:29], v[54:57]
	s_and_saveexec_b64 s[2:3], s[8:9]
	s_cbranch_execz .LBB565_65
; %bb.60:
	s_movk_i32 s8, 0x80
	v_cmp_ne_u16_sdwa s[10:11], v32, s8 src0_sel:BYTE_0 src1_sel:DWORD
	v_bfrev_b32_e32 v51, 1
	s_and_saveexec_b64 s[8:9], s[10:11]
	s_cbranch_execz .LBB565_64
; %bb.61:
	s_movk_i32 s10, 0x7f
	v_and_b32_e32 v30, 0x7f, v32
	v_cmp_ne_u32_e32 vcc, s10, v30
	v_mov_b32_e32 v51, 0x7f800001
	s_and_saveexec_b64 s[10:11], vcc
	s_cbranch_execz .LBB565_63
; %bb.62:
	v_and_b32_e32 v52, 7, v32
	v_ffbh_u32_e32 v50, v52
	v_min_u32_e32 v54, 32, v50
	v_subrev_u32_e32 v50, 28, v54
	v_lshlrev_b64 v[50:51], v50, v[32:33]
	v_lshrrev_b32_e32 v53, 3, v30
	v_sub_u32_e32 v51, 29, v54
	v_and_b32_e32 v50, 7, v50
	v_cmp_gt_u32_e32 vcc, 8, v30
	v_cndmask_b32_e32 v30, v53, v51, vcc
	v_cndmask_b32_e32 v50, v52, v50, vcc
	v_lshlrev_b32_e32 v51, 24, v32
	v_bfrev_b32_e32 v52, 60
	v_lshlrev_b32_e32 v50, 20, v50
	v_and_b32_e32 v51, 0x80000000, v51
	v_lshl_add_u32 v30, v30, 23, v52
	v_or3_b32 v51, v51, v30, v50
.LBB565_63:
	s_or_b64 exec, exec, s[10:11]
.LBB565_64:
	s_or_b64 exec, exec, s[8:9]
.LBB565_65:
	s_or_b64 exec, exec, s[2:3]
	v_lshrrev_b16_e32 v30, 8, v32
	v_cmp_ne_u16_e32 vcc, 0, v30
	v_mov_b32_e32 v52, 0
	s_and_saveexec_b64 s[2:3], vcc
	s_cbranch_execz .LBB565_71
; %bb.66:
	s_movk_i32 s8, 0x80
	v_cmp_ne_u16_e32 vcc, s8, v30
	v_bfrev_b32_e32 v52, 1
	s_and_saveexec_b64 s[8:9], vcc
	s_cbranch_execz .LBB565_70
; %bb.67:
	s_movk_i32 s10, 0x7f
	v_and_b32_e32 v50, 0x7f, v30
	v_cmp_ne_u32_e32 vcc, s10, v50
	v_mov_b32_e32 v52, 0x7f800001
	s_and_saveexec_b64 s[10:11], vcc
	s_cbranch_execz .LBB565_69
; %bb.68:
	v_and_b32_e32 v54, 7, v30
	v_ffbh_u32_e32 v52, v54
	v_min_u32_e32 v56, 32, v52
	v_subrev_u32_e32 v52, 28, v56
	v_lshlrev_b64 v[52:53], v52, v[30:31]
	v_lshrrev_b32_e32 v55, 3, v50
	v_sub_u32_e32 v30, 29, v56
	v_and_b32_e32 v52, 7, v52
	v_cmp_gt_u32_e32 vcc, 8, v50
	v_cndmask_b32_e32 v30, v55, v30, vcc
	v_cndmask_b32_e32 v50, v54, v52, vcc
	v_lshlrev_b32_e32 v52, 16, v32
	v_bfrev_b32_e32 v53, 60
	v_lshlrev_b32_e32 v50, 20, v50
	v_and_b32_e32 v52, 0x80000000, v52
	v_lshl_add_u32 v30, v30, 23, v53
	v_or3_b32 v52, v52, v30, v50
.LBB565_69:
	s_or_b64 exec, exec, s[10:11]
.LBB565_70:
	s_or_b64 exec, exec, s[8:9]
.LBB565_71:
	s_or_b64 exec, exec, s[2:3]
	s_movk_i32 s2, 0xff
	v_and_b32_sdwa v50, v32, s2 dst_sel:DWORD dst_unused:UNUSED_PAD src0_sel:WORD_1 src1_sel:DWORD
	v_lshrrev_b32_e32 v30, 16, v32
	v_cmp_ne_u16_e32 vcc, 0, v50
	s_and_saveexec_b64 s[2:3], vcc
	s_cbranch_execz .LBB565_77
; %bb.72:
	s_movk_i32 s8, 0x80
	v_cmp_ne_u16_e32 vcc, s8, v50
	v_bfrev_b32_e32 v31, 1
	s_and_saveexec_b64 s[8:9], vcc
	s_cbranch_execz .LBB565_76
; %bb.73:
	v_bfe_u32 v50, v32, 16, 7
	s_movk_i32 s10, 0x7f
	v_cmp_ne_u32_e32 vcc, s10, v50
	v_mov_b32_e32 v31, 0x7f800001
	s_and_saveexec_b64 s[10:11], vcc
	s_cbranch_execz .LBB565_75
; %bb.74:
	v_and_b32_e32 v53, 7, v30
	v_ffbh_u32_e32 v31, v53
	v_min_u32_e32 v55, 32, v31
	v_subrev_u32_e32 v31, 28, v55
	v_lshlrev_b64 v[30:31], v31, v[30:31]
	v_lshrrev_b32_e32 v54, 3, v50
	v_sub_u32_e32 v31, 29, v55
	v_and_b32_e32 v30, 7, v30
	v_cmp_gt_u32_e32 vcc, 8, v50
	v_mov_b32_e32 v50, 24
	v_cndmask_b32_e32 v31, v54, v31, vcc
	v_cndmask_b32_e32 v30, v53, v30, vcc
	v_lshlrev_b32_sdwa v50, v50, v32 dst_sel:DWORD dst_unused:UNUSED_PAD src0_sel:DWORD src1_sel:WORD_1
	v_bfrev_b32_e32 v53, 60
	v_lshlrev_b32_e32 v30, 20, v30
	v_and_b32_e32 v50, 0x80000000, v50
	v_lshl_add_u32 v31, v31, 23, v53
	v_or3_b32 v31, v50, v31, v30
.LBB565_75:
	s_or_b64 exec, exec, s[10:11]
.LBB565_76:
	s_or_b64 exec, exec, s[8:9]
.LBB565_77:
	s_or_b64 exec, exec, s[2:3]
	s_mov_b32 s2, 0xffffff
	v_cmp_lt_u32_e32 vcc, s2, v32
	v_mov_b32_e32 v53, 0
	v_mov_b32_e32 v54, 0
	s_and_saveexec_b64 s[2:3], vcc
	s_cbranch_execz .LBB565_83
; %bb.78:
	v_lshrrev_b32_e32 v30, 24, v32
	s_movk_i32 s8, 0x80
	v_cmp_ne_u32_e32 vcc, s8, v30
	v_bfrev_b32_e32 v54, 1
	s_and_saveexec_b64 s[8:9], vcc
	s_cbranch_execz .LBB565_82
; %bb.79:
	v_bfe_u32 v32, v32, 24, 7
	s_movk_i32 s10, 0x7f
	v_cmp_ne_u32_e32 vcc, s10, v32
	v_mov_b32_e32 v54, 0x7f800001
	s_and_saveexec_b64 s[10:11], vcc
	s_cbranch_execz .LBB565_81
; %bb.80:
	v_and_b32_e32 v50, 7, v30
	v_ffbh_u32_e32 v54, v50
	v_min_u32_e32 v57, 32, v54
	v_subrev_u32_e32 v54, 28, v57
	v_lshlrev_b64 v[54:55], v54, v[30:31]
	v_lshrrev_b32_e32 v56, 3, v32
	v_sub_u32_e32 v55, 29, v57
	v_and_b32_e32 v54, 7, v54
	v_cmp_gt_u32_e32 vcc, 8, v32
	v_cndmask_b32_e32 v32, v56, v55, vcc
	v_cndmask_b32_e32 v50, v50, v54, vcc
	v_lshlrev_b32_e32 v30, 24, v30
	v_bfrev_b32_e32 v54, 60
	v_lshlrev_b32_e32 v50, 20, v50
	v_and_b32_e32 v30, 0x80000000, v30
	v_lshl_add_u32 v32, v32, 23, v54
	v_or3_b32 v54, v30, v32, v50
.LBB565_81:
	s_or_b64 exec, exec, s[10:11]
.LBB565_82:
	s_or_b64 exec, exec, s[8:9]
.LBB565_83:
	s_or_b64 exec, exec, s[2:3]
	v_cmp_ne_u16_sdwa s[8:9], v33, v53 src0_sel:BYTE_0 src1_sel:DWORD
	s_and_saveexec_b64 s[2:3], s[8:9]
	s_cbranch_execz .LBB565_89
; %bb.84:
	s_movk_i32 s8, 0x80
	v_cmp_ne_u16_sdwa s[10:11], v33, s8 src0_sel:BYTE_0 src1_sel:DWORD
	v_bfrev_b32_e32 v53, 1
	s_and_saveexec_b64 s[8:9], s[10:11]
	s_cbranch_execz .LBB565_88
; %bb.85:
	s_movk_i32 s10, 0x7f
	v_and_b32_e32 v30, 0x7f, v33
	v_cmp_ne_u32_e32 vcc, s10, v30
	v_mov_b32_e32 v53, 0x7f800001
	s_and_saveexec_b64 s[10:11], vcc
	s_cbranch_execz .LBB565_87
; %bb.86:
	v_and_b32_e32 v50, 7, v33
	v_ffbh_u32_e32 v55, v50
	v_min_u32_e32 v55, 32, v55
	v_mov_b32_e32 v32, v33
	v_subrev_u32_e32 v56, 28, v55
	v_lshlrev_b64 v[56:57], v56, v[32:33]
	v_lshrrev_b32_e32 v53, 3, v30
	v_sub_u32_e32 v32, 29, v55
	v_and_b32_e32 v55, 7, v56
	v_cmp_gt_u32_e32 vcc, 8, v30
	v_cndmask_b32_e32 v30, v53, v32, vcc
	v_cndmask_b32_e32 v32, v50, v55, vcc
	v_lshlrev_b32_e32 v50, 24, v33
	v_bfrev_b32_e32 v53, 60
	v_lshlrev_b32_e32 v32, 20, v32
	v_and_b32_e32 v50, 0x80000000, v50
	v_lshl_add_u32 v30, v30, 23, v53
	v_or3_b32 v53, v50, v30, v32
.LBB565_87:
	s_or_b64 exec, exec, s[10:11]
.LBB565_88:
	s_or_b64 exec, exec, s[8:9]
.LBB565_89:
	s_or_b64 exec, exec, s[2:3]
	v_lshrrev_b16_e32 v30, 8, v33
	v_cmp_ne_u16_e32 vcc, 0, v30
	v_mov_b32_e32 v32, 0
	v_mov_b32_e32 v55, 0
	s_and_saveexec_b64 s[2:3], vcc
	s_cbranch_execz .LBB565_95
; %bb.90:
	s_movk_i32 s8, 0x80
	v_cmp_ne_u16_e32 vcc, s8, v30
	v_bfrev_b32_e32 v55, 1
	s_and_saveexec_b64 s[8:9], vcc
	s_cbranch_execz .LBB565_94
; %bb.91:
	s_movk_i32 s10, 0x7f
	v_and_b32_e32 v50, 0x7f, v30
	v_cmp_ne_u32_e32 vcc, s10, v50
	v_mov_b32_e32 v55, 0x7f800001
	s_and_saveexec_b64 s[10:11], vcc
	s_cbranch_execz .LBB565_93
; %bb.92:
	v_and_b32_e32 v55, 7, v30
	v_ffbh_u32_e32 v56, v55
	v_min_u32_e32 v59, 32, v56
	v_subrev_u32_e32 v56, 28, v59
	v_lshlrev_b64 v[56:57], v56, v[30:31]
	v_lshrrev_b32_e32 v58, 3, v50
	v_sub_u32_e32 v30, 29, v59
	v_and_b32_e32 v56, 7, v56
	v_cmp_gt_u32_e32 vcc, 8, v50
	v_cndmask_b32_e32 v30, v58, v30, vcc
	v_cndmask_b32_e32 v50, v55, v56, vcc
	v_lshlrev_b32_e32 v55, 16, v33
	v_bfrev_b32_e32 v56, 60
	v_lshlrev_b32_e32 v50, 20, v50
	v_and_b32_e32 v55, 0x80000000, v55
	v_lshl_add_u32 v30, v30, 23, v56
	v_or3_b32 v55, v55, v30, v50
.LBB565_93:
	s_or_b64 exec, exec, s[10:11]
.LBB565_94:
	s_or_b64 exec, exec, s[8:9]
.LBB565_95:
	s_or_b64 exec, exec, s[2:3]
	s_movk_i32 s2, 0xff
	v_and_b32_sdwa v50, v33, s2 dst_sel:DWORD dst_unused:UNUSED_PAD src0_sel:WORD_1 src1_sel:DWORD
	v_lshrrev_b32_e32 v30, 16, v33
	v_cmp_ne_u16_e32 vcc, 0, v50
	s_and_saveexec_b64 s[2:3], vcc
	s_cbranch_execz .LBB565_101
; %bb.96:
	s_movk_i32 s8, 0x80
	v_cmp_ne_u16_e32 vcc, s8, v50
	v_bfrev_b32_e32 v32, 1
	s_and_saveexec_b64 s[8:9], vcc
	s_cbranch_execz .LBB565_100
; %bb.97:
	v_bfe_u32 v50, v33, 16, 7
	s_movk_i32 s10, 0x7f
	v_cmp_ne_u32_e32 vcc, s10, v50
	v_mov_b32_e32 v32, 0x7f800001
	s_and_saveexec_b64 s[10:11], vcc
	s_cbranch_execz .LBB565_99
; %bb.98:
	v_and_b32_e32 v32, 7, v30
	v_ffbh_u32_e32 v56, v32
	v_min_u32_e32 v59, 32, v56
	v_subrev_u32_e32 v56, 28, v59
	v_lshlrev_b64 v[56:57], v56, v[30:31]
	v_lshrrev_b32_e32 v58, 3, v50
	v_sub_u32_e32 v30, 29, v59
	v_and_b32_e32 v56, 7, v56
	v_cmp_gt_u32_e32 vcc, 8, v50
	v_mov_b32_e32 v50, 24
	v_cndmask_b32_e32 v30, v58, v30, vcc
	v_cndmask_b32_e32 v32, v32, v56, vcc
	v_lshlrev_b32_sdwa v50, v50, v33 dst_sel:DWORD dst_unused:UNUSED_PAD src0_sel:DWORD src1_sel:WORD_1
	v_bfrev_b32_e32 v56, 60
	v_lshlrev_b32_e32 v32, 20, v32
	v_and_b32_e32 v50, 0x80000000, v50
	v_lshl_add_u32 v30, v30, 23, v56
	v_or3_b32 v32, v50, v30, v32
.LBB565_99:
	s_or_b64 exec, exec, s[10:11]
.LBB565_100:
	s_or_b64 exec, exec, s[8:9]
.LBB565_101:
	s_or_b64 exec, exec, s[2:3]
	s_mov_b32 s2, 0xffffff
	v_cmp_lt_u32_e32 vcc, s2, v33
	v_mov_b32_e32 v50, 0
	v_mov_b32_e32 v56, 0
	s_and_saveexec_b64 s[2:3], vcc
	s_cbranch_execz .LBB565_107
; %bb.102:
	v_lshrrev_b32_e32 v30, 24, v33
	s_movk_i32 s8, 0x80
	v_cmp_ne_u32_e32 vcc, s8, v30
	v_bfrev_b32_e32 v56, 1
	s_and_saveexec_b64 s[8:9], vcc
	s_cbranch_execz .LBB565_106
; %bb.103:
	v_bfe_u32 v33, v33, 24, 7
	s_movk_i32 s10, 0x7f
	v_cmp_ne_u32_e32 vcc, s10, v33
	v_mov_b32_e32 v56, 0x7f800001
	s_and_saveexec_b64 s[10:11], vcc
	s_cbranch_execz .LBB565_105
; %bb.104:
	v_and_b32_e32 v58, 7, v30
	v_ffbh_u32_e32 v56, v58
	v_min_u32_e32 v60, 32, v56
	v_subrev_u32_e32 v56, 28, v60
	v_lshlrev_b64 v[56:57], v56, v[30:31]
	v_lshrrev_b32_e32 v59, 3, v33
	v_sub_u32_e32 v57, 29, v60
	v_and_b32_e32 v56, 7, v56
	v_cmp_gt_u32_e32 vcc, 8, v33
	v_cndmask_b32_e32 v33, v59, v57, vcc
	v_cndmask_b32_e32 v56, v58, v56, vcc
	v_lshlrev_b32_e32 v30, 24, v30
	v_bfrev_b32_e32 v57, 60
	v_lshlrev_b32_e32 v56, 20, v56
	v_and_b32_e32 v30, 0x80000000, v30
	v_lshl_add_u32 v33, v33, 23, v57
	v_or3_b32 v56, v30, v33, v56
.LBB565_105:
	s_or_b64 exec, exec, s[10:11]
.LBB565_106:
	s_or_b64 exec, exec, s[8:9]
.LBB565_107:
	s_or_b64 exec, exec, s[2:3]
	v_cvt_pkrtz_f16_f32 v30, v51, v52
	v_cvt_pkrtz_f16_f32 v31, v31, v54
	s_waitcnt vmcnt(6)
	v_cmp_ne_u16_sdwa s[8:9], v38, v50 src0_sel:BYTE_0 src1_sel:DWORD
	v_mfma_f32_16x16x16f16 v[42:45], v[30:31], v[18:19], v[42:45]
	v_cvt_pkrtz_f16_f32 v30, v53, v55
	v_cvt_pkrtz_f16_f32 v31, v32, v56
	s_nop 1
	v_mfma_f32_16x16x16f16 v[30:33], v[30:31], v[20:21], v[42:45]
	s_and_saveexec_b64 s[2:3], s[8:9]
	s_cbranch_execz .LBB565_113
; %bb.108:
	s_movk_i32 s8, 0x80
	v_cmp_ne_u16_sdwa s[10:11], v38, s8 src0_sel:BYTE_0 src1_sel:DWORD
	v_bfrev_b32_e32 v50, 1
	s_and_saveexec_b64 s[8:9], s[10:11]
	s_cbranch_execz .LBB565_112
; %bb.109:
	s_movk_i32 s10, 0x7f
	v_and_b32_e32 v42, 0x7f, v38
	v_cmp_ne_u32_e32 vcc, s10, v42
	v_mov_b32_e32 v50, 0x7f800001
	s_and_saveexec_b64 s[10:11], vcc
	s_cbranch_execz .LBB565_111
; %bb.110:
	v_and_b32_e32 v43, 7, v38
	v_ffbh_u32_e32 v44, v43
	v_min_u32_e32 v51, 32, v44
	v_subrev_u32_e32 v44, 28, v51
	v_lshlrev_b64 v[44:45], v44, v[38:39]
	v_lshrrev_b32_e32 v50, 3, v42
	v_sub_u32_e32 v45, 29, v51
	v_and_b32_e32 v44, 7, v44
	v_cmp_gt_u32_e32 vcc, 8, v42
	v_cndmask_b32_e32 v42, v50, v45, vcc
	v_cndmask_b32_e32 v43, v43, v44, vcc
	v_lshlrev_b32_e32 v44, 24, v38
	v_bfrev_b32_e32 v45, 60
	v_lshlrev_b32_e32 v43, 20, v43
	v_and_b32_e32 v44, 0x80000000, v44
	v_lshl_add_u32 v42, v42, 23, v45
	v_or3_b32 v50, v44, v42, v43
.LBB565_111:
	s_or_b64 exec, exec, s[10:11]
.LBB565_112:
	s_or_b64 exec, exec, s[8:9]
.LBB565_113:
	s_or_b64 exec, exec, s[2:3]
	s_nop 3
	v_lshrrev_b16_e32 v42, 8, v38
	v_cmp_ne_u16_e32 vcc, 0, v42
	v_mov_b32_e32 v43, 0
	v_mov_b32_e32 v44, 0
	s_and_saveexec_b64 s[2:3], vcc
	s_cbranch_execz .LBB565_119
; %bb.114:
	s_movk_i32 s8, 0x80
	v_cmp_ne_u16_e32 vcc, s8, v42
	v_bfrev_b32_e32 v44, 1
	s_and_saveexec_b64 s[8:9], vcc
	s_cbranch_execz .LBB565_118
; %bb.115:
	s_movk_i32 s10, 0x7f
	v_and_b32_e32 v45, 0x7f, v42
	v_cmp_ne_u32_e32 vcc, s10, v45
	v_mov_b32_e32 v44, 0x7f800001
	s_and_saveexec_b64 s[10:11], vcc
	s_cbranch_execz .LBB565_117
; %bb.116:
	v_and_b32_e32 v44, 7, v42
	v_ffbh_u32_e32 v52, v44
	v_min_u32_e32 v54, 32, v52
	v_subrev_u32_e32 v52, 28, v54
	v_lshlrev_b64 v[52:53], v52, v[42:43]
	v_lshrrev_b32_e32 v51, 3, v45
	v_sub_u32_e32 v42, 29, v54
	v_and_b32_e32 v52, 7, v52
	v_cmp_gt_u32_e32 vcc, 8, v45
	v_cndmask_b32_e32 v42, v51, v42, vcc
	v_cndmask_b32_e32 v44, v44, v52, vcc
	v_lshlrev_b32_e32 v45, 16, v38
	v_bfrev_b32_e32 v51, 60
	v_lshlrev_b32_e32 v44, 20, v44
	v_and_b32_e32 v45, 0x80000000, v45
	v_lshl_add_u32 v42, v42, 23, v51
	v_or3_b32 v44, v45, v42, v44
.LBB565_117:
	s_or_b64 exec, exec, s[10:11]
.LBB565_118:
	s_or_b64 exec, exec, s[8:9]
.LBB565_119:
	s_or_b64 exec, exec, s[2:3]
	s_movk_i32 s2, 0xff
	v_and_b32_sdwa v45, v38, s2 dst_sel:DWORD dst_unused:UNUSED_PAD src0_sel:WORD_1 src1_sel:DWORD
	v_lshrrev_b32_e32 v42, 16, v38
	v_cmp_ne_u16_e32 vcc, 0, v45
	s_and_saveexec_b64 s[2:3], vcc
	s_cbranch_execz .LBB565_125
; %bb.120:
	s_movk_i32 s8, 0x80
	v_cmp_ne_u16_e32 vcc, s8, v45
	v_bfrev_b32_e32 v43, 1
	s_and_saveexec_b64 s[8:9], vcc
	s_cbranch_execz .LBB565_124
; %bb.121:
	v_bfe_u32 v45, v38, 16, 7
	s_movk_i32 s10, 0x7f
	v_cmp_ne_u32_e32 vcc, s10, v45
	v_mov_b32_e32 v43, 0x7f800001
	s_and_saveexec_b64 s[10:11], vcc
	s_cbranch_execz .LBB565_123
; %bb.122:
	v_and_b32_e32 v51, 7, v42
	v_ffbh_u32_e32 v43, v51
	v_min_u32_e32 v53, 32, v43
	v_subrev_u32_e32 v43, 28, v53
	v_lshlrev_b64 v[42:43], v43, v[42:43]
	v_lshrrev_b32_e32 v52, 3, v45
	v_sub_u32_e32 v43, 29, v53
	v_and_b32_e32 v42, 7, v42
	v_cmp_gt_u32_e32 vcc, 8, v45
	v_mov_b32_e32 v45, 24
	v_cndmask_b32_e32 v43, v52, v43, vcc
	v_cndmask_b32_e32 v42, v51, v42, vcc
	v_lshlrev_b32_sdwa v45, v45, v38 dst_sel:DWORD dst_unused:UNUSED_PAD src0_sel:DWORD src1_sel:WORD_1
	v_bfrev_b32_e32 v51, 60
	v_lshlrev_b32_e32 v42, 20, v42
	v_and_b32_e32 v45, 0x80000000, v45
	v_lshl_add_u32 v43, v43, 23, v51
	v_or3_b32 v43, v45, v43, v42
.LBB565_123:
	s_or_b64 exec, exec, s[10:11]
.LBB565_124:
	s_or_b64 exec, exec, s[8:9]
.LBB565_125:
	s_or_b64 exec, exec, s[2:3]
	s_mov_b32 s2, 0xffffff
	v_cmp_lt_u32_e32 vcc, s2, v38
	v_mov_b32_e32 v45, 0
	v_mov_b32_e32 v52, 0
	s_and_saveexec_b64 s[2:3], vcc
	s_cbranch_execz .LBB565_131
; %bb.126:
	v_lshrrev_b32_e32 v42, 24, v38
	s_movk_i32 s8, 0x80
	v_cmp_ne_u32_e32 vcc, s8, v42
	v_bfrev_b32_e32 v52, 1
	s_and_saveexec_b64 s[8:9], vcc
	s_cbranch_execz .LBB565_130
; %bb.127:
	v_bfe_u32 v38, v38, 24, 7
	s_movk_i32 s10, 0x7f
	v_cmp_ne_u32_e32 vcc, s10, v38
	v_mov_b32_e32 v52, 0x7f800001
	s_and_saveexec_b64 s[10:11], vcc
	s_cbranch_execz .LBB565_129
; %bb.128:
	v_and_b32_e32 v51, 7, v42
	v_ffbh_u32_e32 v52, v51
	v_min_u32_e32 v55, 32, v52
	v_subrev_u32_e32 v52, 28, v55
	v_lshlrev_b64 v[52:53], v52, v[42:43]
	v_lshrrev_b32_e32 v54, 3, v38
	v_sub_u32_e32 v53, 29, v55
	v_and_b32_e32 v52, 7, v52
	v_cmp_gt_u32_e32 vcc, 8, v38
	v_cndmask_b32_e32 v38, v54, v53, vcc
	v_cndmask_b32_e32 v51, v51, v52, vcc
	v_lshlrev_b32_e32 v42, 24, v42
	v_bfrev_b32_e32 v52, 60
	v_lshlrev_b32_e32 v51, 20, v51
	v_and_b32_e32 v42, 0x80000000, v42
	v_lshl_add_u32 v38, v38, 23, v52
	v_or3_b32 v52, v42, v38, v51
.LBB565_129:
	s_or_b64 exec, exec, s[10:11]
.LBB565_130:
	s_or_b64 exec, exec, s[8:9]
.LBB565_131:
	s_or_b64 exec, exec, s[2:3]
	v_cmp_ne_u16_sdwa s[8:9], v39, v45 src0_sel:BYTE_0 src1_sel:DWORD
	s_and_saveexec_b64 s[2:3], s[8:9]
	s_cbranch_execz .LBB565_137
; %bb.132:
	s_movk_i32 s8, 0x80
	v_cmp_ne_u16_sdwa s[10:11], v39, s8 src0_sel:BYTE_0 src1_sel:DWORD
	v_bfrev_b32_e32 v45, 1
	s_and_saveexec_b64 s[8:9], s[10:11]
	s_cbranch_execz .LBB565_136
; %bb.133:
	s_movk_i32 s10, 0x7f
	v_and_b32_e32 v38, 0x7f, v39
	v_cmp_ne_u32_e32 vcc, s10, v38
	v_mov_b32_e32 v45, 0x7f800001
	s_and_saveexec_b64 s[10:11], vcc
	s_cbranch_execz .LBB565_135
; %bb.134:
	v_and_b32_e32 v45, 7, v39
	v_ffbh_u32_e32 v53, v45
	v_min_u32_e32 v53, 32, v53
	v_mov_b32_e32 v42, v39
	v_subrev_u32_e32 v54, 28, v53
	v_lshlrev_b64 v[54:55], v54, v[42:43]
	v_lshrrev_b32_e32 v51, 3, v38
	v_sub_u32_e32 v42, 29, v53
	v_and_b32_e32 v53, 7, v54
	v_cmp_gt_u32_e32 vcc, 8, v38
	v_cndmask_b32_e32 v38, v51, v42, vcc
	v_cndmask_b32_e32 v42, v45, v53, vcc
	v_lshlrev_b32_e32 v45, 24, v39
	v_bfrev_b32_e32 v51, 60
	v_lshlrev_b32_e32 v42, 20, v42
	v_and_b32_e32 v45, 0x80000000, v45
	v_lshl_add_u32 v38, v38, 23, v51
	v_or3_b32 v45, v45, v38, v42
.LBB565_135:
	s_or_b64 exec, exec, s[10:11]
.LBB565_136:
	s_or_b64 exec, exec, s[8:9]
.LBB565_137:
	s_or_b64 exec, exec, s[2:3]
	v_lshrrev_b16_e32 v38, 8, v39
	v_cmp_ne_u16_e32 vcc, 0, v38
	v_mov_b32_e32 v42, 0
	v_mov_b32_e32 v53, 0
	s_and_saveexec_b64 s[2:3], vcc
	s_cbranch_execz .LBB565_143
; %bb.138:
	s_movk_i32 s8, 0x80
	v_cmp_ne_u16_e32 vcc, s8, v38
	v_bfrev_b32_e32 v53, 1
	s_and_saveexec_b64 s[8:9], vcc
	s_cbranch_execz .LBB565_142
; %bb.139:
	s_movk_i32 s10, 0x7f
	v_and_b32_e32 v51, 0x7f, v38
	v_cmp_ne_u32_e32 vcc, s10, v51
	v_mov_b32_e32 v53, 0x7f800001
	s_and_saveexec_b64 s[10:11], vcc
	s_cbranch_execz .LBB565_141
; %bb.140:
	v_and_b32_e32 v53, 7, v38
	v_ffbh_u32_e32 v54, v53
	v_min_u32_e32 v57, 32, v54
	v_subrev_u32_e32 v54, 28, v57
	v_lshlrev_b64 v[54:55], v54, v[38:39]
	v_lshrrev_b32_e32 v56, 3, v51
	v_sub_u32_e32 v38, 29, v57
	v_and_b32_e32 v54, 7, v54
	v_cmp_gt_u32_e32 vcc, 8, v51
	v_cndmask_b32_e32 v38, v56, v38, vcc
	v_cndmask_b32_e32 v51, v53, v54, vcc
	v_lshlrev_b32_e32 v53, 16, v39
	v_bfrev_b32_e32 v54, 60
	v_lshlrev_b32_e32 v51, 20, v51
	v_and_b32_e32 v53, 0x80000000, v53
	v_lshl_add_u32 v38, v38, 23, v54
	v_or3_b32 v53, v53, v38, v51
.LBB565_141:
	s_or_b64 exec, exec, s[10:11]
.LBB565_142:
	s_or_b64 exec, exec, s[8:9]
.LBB565_143:
	s_or_b64 exec, exec, s[2:3]
	s_movk_i32 s2, 0xff
	v_and_b32_sdwa v51, v39, s2 dst_sel:DWORD dst_unused:UNUSED_PAD src0_sel:WORD_1 src1_sel:DWORD
	v_lshrrev_b32_e32 v38, 16, v39
	v_cmp_ne_u16_e32 vcc, 0, v51
	s_and_saveexec_b64 s[2:3], vcc
	s_cbranch_execz .LBB565_149
; %bb.144:
	s_movk_i32 s8, 0x80
	v_cmp_ne_u16_e32 vcc, s8, v51
	v_bfrev_b32_e32 v42, 1
	s_and_saveexec_b64 s[8:9], vcc
	s_cbranch_execz .LBB565_148
; %bb.145:
	v_bfe_u32 v51, v39, 16, 7
	s_movk_i32 s10, 0x7f
	v_cmp_ne_u32_e32 vcc, s10, v51
	v_mov_b32_e32 v42, 0x7f800001
	s_and_saveexec_b64 s[10:11], vcc
	s_cbranch_execz .LBB565_147
; %bb.146:
	v_and_b32_e32 v42, 7, v38
	v_ffbh_u32_e32 v54, v42
	v_min_u32_e32 v57, 32, v54
	v_subrev_u32_e32 v54, 28, v57
	v_lshlrev_b64 v[54:55], v54, v[38:39]
	v_lshrrev_b32_e32 v56, 3, v51
	v_sub_u32_e32 v38, 29, v57
	v_and_b32_e32 v54, 7, v54
	v_cmp_gt_u32_e32 vcc, 8, v51
	v_mov_b32_e32 v51, 24
	v_cndmask_b32_e32 v38, v56, v38, vcc
	v_cndmask_b32_e32 v42, v42, v54, vcc
	v_lshlrev_b32_sdwa v51, v51, v39 dst_sel:DWORD dst_unused:UNUSED_PAD src0_sel:DWORD src1_sel:WORD_1
	v_bfrev_b32_e32 v54, 60
	v_lshlrev_b32_e32 v42, 20, v42
	v_and_b32_e32 v51, 0x80000000, v51
	v_lshl_add_u32 v38, v38, 23, v54
	v_or3_b32 v42, v51, v38, v42
.LBB565_147:
	s_or_b64 exec, exec, s[10:11]
.LBB565_148:
	s_or_b64 exec, exec, s[8:9]
.LBB565_149:
	s_or_b64 exec, exec, s[2:3]
	s_mov_b32 s2, 0xffffff
	v_cmp_lt_u32_e32 vcc, s2, v39
	v_mov_b32_e32 v51, 0
	v_mov_b32_e32 v54, 0
	s_and_saveexec_b64 s[2:3], vcc
	s_cbranch_execz .LBB565_155
; %bb.150:
	v_lshrrev_b32_e32 v38, 24, v39
	s_movk_i32 s8, 0x80
	v_cmp_ne_u32_e32 vcc, s8, v38
	v_bfrev_b32_e32 v54, 1
	s_and_saveexec_b64 s[8:9], vcc
	s_cbranch_execz .LBB565_154
; %bb.151:
	v_bfe_u32 v39, v39, 24, 7
	s_movk_i32 s10, 0x7f
	v_cmp_ne_u32_e32 vcc, s10, v39
	v_mov_b32_e32 v54, 0x7f800001
	s_and_saveexec_b64 s[10:11], vcc
	s_cbranch_execz .LBB565_153
; %bb.152:
	v_and_b32_e32 v56, 7, v38
	v_ffbh_u32_e32 v54, v56
	v_min_u32_e32 v58, 32, v54
	v_subrev_u32_e32 v54, 28, v58
	v_lshlrev_b64 v[54:55], v54, v[38:39]
	v_lshrrev_b32_e32 v57, 3, v39
	v_sub_u32_e32 v55, 29, v58
	v_and_b32_e32 v54, 7, v54
	v_cmp_gt_u32_e32 vcc, 8, v39
	v_cndmask_b32_e32 v39, v57, v55, vcc
	v_cndmask_b32_e32 v54, v56, v54, vcc
	v_lshlrev_b32_e32 v38, 24, v38
	v_bfrev_b32_e32 v55, 60
	v_lshlrev_b32_e32 v54, 20, v54
	v_and_b32_e32 v38, 0x80000000, v38
	v_lshl_add_u32 v39, v39, 23, v55
	v_or3_b32 v54, v38, v39, v54
.LBB565_153:
	s_or_b64 exec, exec, s[10:11]
.LBB565_154:
	s_or_b64 exec, exec, s[8:9]
.LBB565_155:
	s_or_b64 exec, exec, s[2:3]
	v_cvt_pkrtz_f16_f32 v38, v50, v44
	v_cvt_pkrtz_f16_f32 v39, v43, v52
	v_cmp_ne_u16_sdwa s[8:9], v40, v51 src0_sel:BYTE_0 src1_sel:DWORD
	s_nop 0
	v_mfma_f32_16x16x16f16 v[56:59], v[38:39], v[26:27], 0
	v_cvt_pkrtz_f16_f32 v38, v45, v53
	v_cvt_pkrtz_f16_f32 v39, v42, v54
	s_nop 1
	v_mfma_f32_16x16x16f16 v[42:45], v[38:39], v[28:29], v[56:59]
	s_and_saveexec_b64 s[2:3], s[8:9]
	s_cbranch_execz .LBB565_161
; %bb.156:
	s_movk_i32 s8, 0x80
	v_cmp_ne_u16_sdwa s[10:11], v40, s8 src0_sel:BYTE_0 src1_sel:DWORD
	v_bfrev_b32_e32 v51, 1
	s_and_saveexec_b64 s[8:9], s[10:11]
	s_cbranch_execz .LBB565_160
; %bb.157:
	s_movk_i32 s10, 0x7f
	v_and_b32_e32 v38, 0x7f, v40
	v_cmp_ne_u32_e32 vcc, s10, v38
	v_mov_b32_e32 v51, 0x7f800001
	s_and_saveexec_b64 s[10:11], vcc
	s_cbranch_execz .LBB565_159
; %bb.158:
	v_and_b32_e32 v39, 7, v40
	v_ffbh_u32_e32 v50, v39
	v_min_u32_e32 v53, 32, v50
	v_subrev_u32_e32 v50, 28, v53
	v_lshlrev_b64 v[50:51], v50, v[40:41]
	v_lshrrev_b32_e32 v52, 3, v38
	v_sub_u32_e32 v51, 29, v53
	v_and_b32_e32 v50, 7, v50
	v_cmp_gt_u32_e32 vcc, 8, v38
	v_cndmask_b32_e32 v38, v52, v51, vcc
	v_cndmask_b32_e32 v39, v39, v50, vcc
	v_lshlrev_b32_e32 v50, 24, v40
	v_bfrev_b32_e32 v51, 60
	v_lshlrev_b32_e32 v39, 20, v39
	v_and_b32_e32 v50, 0x80000000, v50
	v_lshl_add_u32 v38, v38, 23, v51
	v_or3_b32 v51, v50, v38, v39
.LBB565_159:
	s_or_b64 exec, exec, s[10:11]
.LBB565_160:
	s_or_b64 exec, exec, s[8:9]
.LBB565_161:
	s_or_b64 exec, exec, s[2:3]
	v_lshrrev_b16_e32 v38, 8, v40
	v_cmp_ne_u16_e32 vcc, 0, v38
	v_mov_b32_e32 v39, 0
	v_mov_b32_e32 v52, 0
	s_and_saveexec_b64 s[2:3], vcc
	s_cbranch_execz .LBB565_167
; %bb.162:
	s_movk_i32 s8, 0x80
	v_cmp_ne_u16_e32 vcc, s8, v38
	v_bfrev_b32_e32 v52, 1
	s_and_saveexec_b64 s[8:9], vcc
	s_cbranch_execz .LBB565_166
; %bb.163:
	s_movk_i32 s10, 0x7f
	v_and_b32_e32 v50, 0x7f, v38
	v_cmp_ne_u32_e32 vcc, s10, v50
	v_mov_b32_e32 v52, 0x7f800001
	s_and_saveexec_b64 s[10:11], vcc
	s_cbranch_execz .LBB565_165
; %bb.164:
	v_and_b32_e32 v54, 7, v38
	v_ffbh_u32_e32 v52, v54
	v_min_u32_e32 v56, 32, v52
	v_subrev_u32_e32 v52, 28, v56
	v_lshlrev_b64 v[52:53], v52, v[38:39]
	v_lshrrev_b32_e32 v55, 3, v50
	v_sub_u32_e32 v38, 29, v56
	v_and_b32_e32 v52, 7, v52
	v_cmp_gt_u32_e32 vcc, 8, v50
	v_cndmask_b32_e32 v38, v55, v38, vcc
	v_cndmask_b32_e32 v50, v54, v52, vcc
	v_lshlrev_b32_e32 v52, 16, v40
	v_bfrev_b32_e32 v53, 60
	v_lshlrev_b32_e32 v50, 20, v50
	v_and_b32_e32 v52, 0x80000000, v52
	v_lshl_add_u32 v38, v38, 23, v53
	v_or3_b32 v52, v52, v38, v50
.LBB565_165:
	s_or_b64 exec, exec, s[10:11]
.LBB565_166:
	s_or_b64 exec, exec, s[8:9]
.LBB565_167:
	s_or_b64 exec, exec, s[2:3]
	s_movk_i32 s2, 0xff
	v_and_b32_sdwa v50, v40, s2 dst_sel:DWORD dst_unused:UNUSED_PAD src0_sel:WORD_1 src1_sel:DWORD
	v_lshrrev_b32_e32 v38, 16, v40
	v_cmp_ne_u16_e32 vcc, 0, v50
	s_and_saveexec_b64 s[2:3], vcc
	s_cbranch_execz .LBB565_173
; %bb.168:
	s_movk_i32 s8, 0x80
	v_cmp_ne_u16_e32 vcc, s8, v50
	v_bfrev_b32_e32 v39, 1
	s_and_saveexec_b64 s[8:9], vcc
	s_cbranch_execz .LBB565_172
; %bb.169:
	v_bfe_u32 v50, v40, 16, 7
	s_movk_i32 s10, 0x7f
	v_cmp_ne_u32_e32 vcc, s10, v50
	v_mov_b32_e32 v39, 0x7f800001
	s_and_saveexec_b64 s[10:11], vcc
	s_cbranch_execz .LBB565_171
; %bb.170:
	v_and_b32_e32 v53, 7, v38
	v_ffbh_u32_e32 v39, v53
	v_min_u32_e32 v55, 32, v39
	v_subrev_u32_e32 v39, 28, v55
	v_lshlrev_b64 v[38:39], v39, v[38:39]
	v_lshrrev_b32_e32 v54, 3, v50
	v_sub_u32_e32 v39, 29, v55
	v_and_b32_e32 v38, 7, v38
	v_cmp_gt_u32_e32 vcc, 8, v50
	v_mov_b32_e32 v50, 24
	v_cndmask_b32_e32 v39, v54, v39, vcc
	v_cndmask_b32_e32 v38, v53, v38, vcc
	v_lshlrev_b32_sdwa v50, v50, v40 dst_sel:DWORD dst_unused:UNUSED_PAD src0_sel:DWORD src1_sel:WORD_1
	v_bfrev_b32_e32 v53, 60
	v_lshlrev_b32_e32 v38, 20, v38
	v_and_b32_e32 v50, 0x80000000, v50
	v_lshl_add_u32 v39, v39, 23, v53
	v_or3_b32 v39, v50, v39, v38
.LBB565_171:
	s_or_b64 exec, exec, s[10:11]
.LBB565_172:
	s_or_b64 exec, exec, s[8:9]
.LBB565_173:
	s_or_b64 exec, exec, s[2:3]
	s_mov_b32 s2, 0xffffff
	v_cmp_lt_u32_e32 vcc, s2, v40
	v_mov_b32_e32 v53, 0
	v_mov_b32_e32 v54, 0
	s_and_saveexec_b64 s[2:3], vcc
	s_cbranch_execz .LBB565_179
; %bb.174:
	v_lshrrev_b32_e32 v38, 24, v40
	s_movk_i32 s8, 0x80
	v_cmp_ne_u32_e32 vcc, s8, v38
	v_bfrev_b32_e32 v54, 1
	s_and_saveexec_b64 s[8:9], vcc
	s_cbranch_execz .LBB565_178
; %bb.175:
	v_bfe_u32 v40, v40, 24, 7
	s_movk_i32 s10, 0x7f
	v_cmp_ne_u32_e32 vcc, s10, v40
	v_mov_b32_e32 v54, 0x7f800001
	s_and_saveexec_b64 s[10:11], vcc
	s_cbranch_execz .LBB565_177
; %bb.176:
	v_and_b32_e32 v50, 7, v38
	v_ffbh_u32_e32 v54, v50
	v_min_u32_e32 v57, 32, v54
	v_subrev_u32_e32 v54, 28, v57
	v_lshlrev_b64 v[54:55], v54, v[38:39]
	v_lshrrev_b32_e32 v56, 3, v40
	v_sub_u32_e32 v55, 29, v57
	v_and_b32_e32 v54, 7, v54
	v_cmp_gt_u32_e32 vcc, 8, v40
	v_cndmask_b32_e32 v40, v56, v55, vcc
	v_cndmask_b32_e32 v50, v50, v54, vcc
	v_lshlrev_b32_e32 v38, 24, v38
	v_bfrev_b32_e32 v54, 60
	v_lshlrev_b32_e32 v50, 20, v50
	v_and_b32_e32 v38, 0x80000000, v38
	v_lshl_add_u32 v40, v40, 23, v54
	v_or3_b32 v54, v38, v40, v50
.LBB565_177:
	s_or_b64 exec, exec, s[10:11]
.LBB565_178:
	s_or_b64 exec, exec, s[8:9]
.LBB565_179:
	s_or_b64 exec, exec, s[2:3]
	v_cmp_ne_u16_sdwa s[8:9], v41, v53 src0_sel:BYTE_0 src1_sel:DWORD
	s_and_saveexec_b64 s[2:3], s[8:9]
	s_cbranch_execz .LBB565_185
; %bb.180:
	s_movk_i32 s8, 0x80
	v_cmp_ne_u16_sdwa s[10:11], v41, s8 src0_sel:BYTE_0 src1_sel:DWORD
	v_bfrev_b32_e32 v53, 1
	s_and_saveexec_b64 s[8:9], s[10:11]
	s_cbranch_execz .LBB565_184
; %bb.181:
	s_movk_i32 s10, 0x7f
	v_and_b32_e32 v38, 0x7f, v41
	v_cmp_ne_u32_e32 vcc, s10, v38
	v_mov_b32_e32 v53, 0x7f800001
	s_and_saveexec_b64 s[10:11], vcc
	s_cbranch_execz .LBB565_183
; %bb.182:
	v_and_b32_e32 v50, 7, v41
	v_ffbh_u32_e32 v55, v50
	v_min_u32_e32 v55, 32, v55
	v_mov_b32_e32 v40, v41
	v_subrev_u32_e32 v56, 28, v55
	v_lshlrev_b64 v[56:57], v56, v[40:41]
	v_lshrrev_b32_e32 v53, 3, v38
	v_sub_u32_e32 v40, 29, v55
	v_and_b32_e32 v55, 7, v56
	v_cmp_gt_u32_e32 vcc, 8, v38
	v_cndmask_b32_e32 v38, v53, v40, vcc
	v_cndmask_b32_e32 v40, v50, v55, vcc
	v_lshlrev_b32_e32 v50, 24, v41
	v_bfrev_b32_e32 v53, 60
	v_lshlrev_b32_e32 v40, 20, v40
	v_and_b32_e32 v50, 0x80000000, v50
	v_lshl_add_u32 v38, v38, 23, v53
	v_or3_b32 v53, v50, v38, v40
.LBB565_183:
	s_or_b64 exec, exec, s[10:11]
.LBB565_184:
	s_or_b64 exec, exec, s[8:9]
.LBB565_185:
	s_or_b64 exec, exec, s[2:3]
	v_lshrrev_b16_e32 v38, 8, v41
	v_cmp_ne_u16_e32 vcc, 0, v38
	v_mov_b32_e32 v40, 0
	v_mov_b32_e32 v55, 0
	s_and_saveexec_b64 s[2:3], vcc
	s_cbranch_execz .LBB565_191
; %bb.186:
	s_movk_i32 s8, 0x80
	v_cmp_ne_u16_e32 vcc, s8, v38
	v_bfrev_b32_e32 v55, 1
	s_and_saveexec_b64 s[8:9], vcc
	s_cbranch_execz .LBB565_190
; %bb.187:
	s_movk_i32 s10, 0x7f
	v_and_b32_e32 v50, 0x7f, v38
	v_cmp_ne_u32_e32 vcc, s10, v50
	v_mov_b32_e32 v55, 0x7f800001
	s_and_saveexec_b64 s[10:11], vcc
	s_cbranch_execz .LBB565_189
; %bb.188:
	v_and_b32_e32 v55, 7, v38
	v_ffbh_u32_e32 v56, v55
	v_min_u32_e32 v59, 32, v56
	v_subrev_u32_e32 v56, 28, v59
	v_lshlrev_b64 v[56:57], v56, v[38:39]
	v_lshrrev_b32_e32 v58, 3, v50
	v_sub_u32_e32 v38, 29, v59
	v_and_b32_e32 v56, 7, v56
	v_cmp_gt_u32_e32 vcc, 8, v50
	v_cndmask_b32_e32 v38, v58, v38, vcc
	v_cndmask_b32_e32 v50, v55, v56, vcc
	v_lshlrev_b32_e32 v55, 16, v41
	v_bfrev_b32_e32 v56, 60
	v_lshlrev_b32_e32 v50, 20, v50
	v_and_b32_e32 v55, 0x80000000, v55
	v_lshl_add_u32 v38, v38, 23, v56
	v_or3_b32 v55, v55, v38, v50
.LBB565_189:
	s_or_b64 exec, exec, s[10:11]
.LBB565_190:
	s_or_b64 exec, exec, s[8:9]
.LBB565_191:
	s_or_b64 exec, exec, s[2:3]
	s_movk_i32 s2, 0xff
	v_and_b32_sdwa v50, v41, s2 dst_sel:DWORD dst_unused:UNUSED_PAD src0_sel:WORD_1 src1_sel:DWORD
	v_lshrrev_b32_e32 v38, 16, v41
	v_cmp_ne_u16_e32 vcc, 0, v50
	s_and_saveexec_b64 s[2:3], vcc
	s_cbranch_execz .LBB565_197
; %bb.192:
	s_movk_i32 s8, 0x80
	v_cmp_ne_u16_e32 vcc, s8, v50
	v_bfrev_b32_e32 v40, 1
	s_and_saveexec_b64 s[8:9], vcc
	s_cbranch_execz .LBB565_196
; %bb.193:
	v_bfe_u32 v50, v41, 16, 7
	s_movk_i32 s10, 0x7f
	v_cmp_ne_u32_e32 vcc, s10, v50
	v_mov_b32_e32 v40, 0x7f800001
	s_and_saveexec_b64 s[10:11], vcc
	s_cbranch_execz .LBB565_195
; %bb.194:
	v_and_b32_e32 v40, 7, v38
	v_ffbh_u32_e32 v56, v40
	v_min_u32_e32 v59, 32, v56
	v_subrev_u32_e32 v56, 28, v59
	v_lshlrev_b64 v[56:57], v56, v[38:39]
	v_lshrrev_b32_e32 v58, 3, v50
	v_sub_u32_e32 v38, 29, v59
	v_and_b32_e32 v56, 7, v56
	v_cmp_gt_u32_e32 vcc, 8, v50
	v_mov_b32_e32 v50, 24
	v_cndmask_b32_e32 v38, v58, v38, vcc
	v_cndmask_b32_e32 v40, v40, v56, vcc
	v_lshlrev_b32_sdwa v50, v50, v41 dst_sel:DWORD dst_unused:UNUSED_PAD src0_sel:DWORD src1_sel:WORD_1
	v_bfrev_b32_e32 v56, 60
	v_lshlrev_b32_e32 v40, 20, v40
	v_and_b32_e32 v50, 0x80000000, v50
	v_lshl_add_u32 v38, v38, 23, v56
	v_or3_b32 v40, v50, v38, v40
.LBB565_195:
	s_or_b64 exec, exec, s[10:11]
.LBB565_196:
	s_or_b64 exec, exec, s[8:9]
.LBB565_197:
	s_or_b64 exec, exec, s[2:3]
	s_mov_b32 s2, 0xffffff
	v_cmp_lt_u32_e32 vcc, s2, v41
	v_mov_b32_e32 v50, 0
	v_mov_b32_e32 v56, 0
	s_and_saveexec_b64 s[2:3], vcc
	s_cbranch_execz .LBB565_203
; %bb.198:
	v_lshrrev_b32_e32 v38, 24, v41
	s_movk_i32 s8, 0x80
	v_cmp_ne_u32_e32 vcc, s8, v38
	v_bfrev_b32_e32 v56, 1
	s_and_saveexec_b64 s[8:9], vcc
	s_cbranch_execz .LBB565_202
; %bb.199:
	v_bfe_u32 v41, v41, 24, 7
	s_movk_i32 s10, 0x7f
	v_cmp_ne_u32_e32 vcc, s10, v41
	v_mov_b32_e32 v56, 0x7f800001
	s_and_saveexec_b64 s[10:11], vcc
	s_cbranch_execz .LBB565_201
; %bb.200:
	v_and_b32_e32 v58, 7, v38
	v_ffbh_u32_e32 v56, v58
	v_min_u32_e32 v60, 32, v56
	v_subrev_u32_e32 v56, 28, v60
	v_lshlrev_b64 v[56:57], v56, v[38:39]
	v_lshrrev_b32_e32 v59, 3, v41
	v_sub_u32_e32 v57, 29, v60
	v_and_b32_e32 v56, 7, v56
	v_cmp_gt_u32_e32 vcc, 8, v41
	v_cndmask_b32_e32 v41, v59, v57, vcc
	v_cndmask_b32_e32 v56, v58, v56, vcc
	v_lshlrev_b32_e32 v38, 24, v38
	v_bfrev_b32_e32 v57, 60
	v_lshlrev_b32_e32 v56, 20, v56
	v_and_b32_e32 v38, 0x80000000, v38
	v_lshl_add_u32 v41, v41, 23, v57
	v_or3_b32 v56, v38, v41, v56
.LBB565_201:
	s_or_b64 exec, exec, s[10:11]
.LBB565_202:
	s_or_b64 exec, exec, s[8:9]
.LBB565_203:
	s_or_b64 exec, exec, s[2:3]
	v_cvt_pkrtz_f16_f32 v38, v51, v52
	v_cvt_pkrtz_f16_f32 v39, v39, v54
	s_waitcnt vmcnt(5)
	v_cmp_ne_u16_sdwa s[8:9], v34, v50 src0_sel:BYTE_0 src1_sel:DWORD
	v_mfma_f32_16x16x16f16 v[42:45], v[38:39], v[18:19], v[42:45]
	v_cvt_pkrtz_f16_f32 v38, v53, v55
	v_cvt_pkrtz_f16_f32 v39, v40, v56
	s_nop 1
	v_mfma_f32_16x16x16f16 v[38:41], v[38:39], v[20:21], v[42:45]
	s_and_saveexec_b64 s[2:3], s[8:9]
	s_cbranch_execz .LBB565_209
; %bb.204:
	s_movk_i32 s8, 0x80
	v_cmp_ne_u16_sdwa s[10:11], v34, s8 src0_sel:BYTE_0 src1_sel:DWORD
	v_bfrev_b32_e32 v50, 1
	s_and_saveexec_b64 s[8:9], s[10:11]
	s_cbranch_execz .LBB565_208
; %bb.205:
	s_movk_i32 s10, 0x7f
	v_and_b32_e32 v42, 0x7f, v34
	v_cmp_ne_u32_e32 vcc, s10, v42
	v_mov_b32_e32 v50, 0x7f800001
	s_and_saveexec_b64 s[10:11], vcc
	s_cbranch_execz .LBB565_207
; %bb.206:
	v_and_b32_e32 v43, 7, v34
	v_ffbh_u32_e32 v44, v43
	v_min_u32_e32 v51, 32, v44
	v_subrev_u32_e32 v44, 28, v51
	v_lshlrev_b64 v[44:45], v44, v[34:35]
	v_lshrrev_b32_e32 v50, 3, v42
	v_sub_u32_e32 v45, 29, v51
	v_and_b32_e32 v44, 7, v44
	v_cmp_gt_u32_e32 vcc, 8, v42
	v_cndmask_b32_e32 v42, v50, v45, vcc
	v_cndmask_b32_e32 v43, v43, v44, vcc
	v_lshlrev_b32_e32 v44, 24, v34
	v_bfrev_b32_e32 v45, 60
	v_lshlrev_b32_e32 v43, 20, v43
	v_and_b32_e32 v44, 0x80000000, v44
	v_lshl_add_u32 v42, v42, 23, v45
	v_or3_b32 v50, v44, v42, v43
.LBB565_207:
	s_or_b64 exec, exec, s[10:11]
.LBB565_208:
	s_or_b64 exec, exec, s[8:9]
.LBB565_209:
	s_or_b64 exec, exec, s[2:3]
	s_nop 3
	v_lshrrev_b16_e32 v42, 8, v34
	v_cmp_ne_u16_e32 vcc, 0, v42
	v_mov_b32_e32 v43, 0
	v_mov_b32_e32 v44, 0
	s_and_saveexec_b64 s[2:3], vcc
	s_cbranch_execz .LBB565_215
; %bb.210:
	s_movk_i32 s8, 0x80
	v_cmp_ne_u16_e32 vcc, s8, v42
	v_bfrev_b32_e32 v44, 1
	s_and_saveexec_b64 s[8:9], vcc
	s_cbranch_execz .LBB565_214
; %bb.211:
	s_movk_i32 s10, 0x7f
	v_and_b32_e32 v45, 0x7f, v42
	v_cmp_ne_u32_e32 vcc, s10, v45
	v_mov_b32_e32 v44, 0x7f800001
	s_and_saveexec_b64 s[10:11], vcc
	s_cbranch_execz .LBB565_213
; %bb.212:
	v_and_b32_e32 v44, 7, v42
	v_ffbh_u32_e32 v52, v44
	v_min_u32_e32 v54, 32, v52
	v_subrev_u32_e32 v52, 28, v54
	v_lshlrev_b64 v[52:53], v52, v[42:43]
	v_lshrrev_b32_e32 v51, 3, v45
	v_sub_u32_e32 v42, 29, v54
	v_and_b32_e32 v52, 7, v52
	v_cmp_gt_u32_e32 vcc, 8, v45
	v_cndmask_b32_e32 v42, v51, v42, vcc
	v_cndmask_b32_e32 v44, v44, v52, vcc
	v_lshlrev_b32_e32 v45, 16, v34
	v_bfrev_b32_e32 v51, 60
	v_lshlrev_b32_e32 v44, 20, v44
	v_and_b32_e32 v45, 0x80000000, v45
	v_lshl_add_u32 v42, v42, 23, v51
	v_or3_b32 v44, v45, v42, v44
.LBB565_213:
	s_or_b64 exec, exec, s[10:11]
.LBB565_214:
	s_or_b64 exec, exec, s[8:9]
.LBB565_215:
	s_or_b64 exec, exec, s[2:3]
	s_movk_i32 s2, 0xff
	v_and_b32_sdwa v45, v34, s2 dst_sel:DWORD dst_unused:UNUSED_PAD src0_sel:WORD_1 src1_sel:DWORD
	v_lshrrev_b32_e32 v42, 16, v34
	v_cmp_ne_u16_e32 vcc, 0, v45
	s_and_saveexec_b64 s[2:3], vcc
	s_cbranch_execz .LBB565_221
; %bb.216:
	s_movk_i32 s8, 0x80
	v_cmp_ne_u16_e32 vcc, s8, v45
	v_bfrev_b32_e32 v43, 1
	s_and_saveexec_b64 s[8:9], vcc
	s_cbranch_execz .LBB565_220
; %bb.217:
	v_bfe_u32 v45, v34, 16, 7
	s_movk_i32 s10, 0x7f
	v_cmp_ne_u32_e32 vcc, s10, v45
	v_mov_b32_e32 v43, 0x7f800001
	s_and_saveexec_b64 s[10:11], vcc
	s_cbranch_execz .LBB565_219
; %bb.218:
	v_and_b32_e32 v51, 7, v42
	v_ffbh_u32_e32 v43, v51
	v_min_u32_e32 v53, 32, v43
	v_subrev_u32_e32 v43, 28, v53
	v_lshlrev_b64 v[42:43], v43, v[42:43]
	v_lshrrev_b32_e32 v52, 3, v45
	v_sub_u32_e32 v43, 29, v53
	v_and_b32_e32 v42, 7, v42
	v_cmp_gt_u32_e32 vcc, 8, v45
	v_mov_b32_e32 v45, 24
	v_cndmask_b32_e32 v43, v52, v43, vcc
	v_cndmask_b32_e32 v42, v51, v42, vcc
	v_lshlrev_b32_sdwa v45, v45, v34 dst_sel:DWORD dst_unused:UNUSED_PAD src0_sel:DWORD src1_sel:WORD_1
	v_bfrev_b32_e32 v51, 60
	v_lshlrev_b32_e32 v42, 20, v42
	v_and_b32_e32 v45, 0x80000000, v45
	v_lshl_add_u32 v43, v43, 23, v51
	v_or3_b32 v43, v45, v43, v42
.LBB565_219:
	s_or_b64 exec, exec, s[10:11]
.LBB565_220:
	s_or_b64 exec, exec, s[8:9]
.LBB565_221:
	s_or_b64 exec, exec, s[2:3]
	s_mov_b32 s2, 0xffffff
	v_cmp_lt_u32_e32 vcc, s2, v34
	v_mov_b32_e32 v45, 0
	v_mov_b32_e32 v52, 0
	s_and_saveexec_b64 s[2:3], vcc
	s_cbranch_execz .LBB565_227
; %bb.222:
	v_lshrrev_b32_e32 v42, 24, v34
	s_movk_i32 s8, 0x80
	v_cmp_ne_u32_e32 vcc, s8, v42
	v_bfrev_b32_e32 v52, 1
	s_and_saveexec_b64 s[8:9], vcc
	s_cbranch_execz .LBB565_226
; %bb.223:
	v_bfe_u32 v34, v34, 24, 7
	s_movk_i32 s10, 0x7f
	v_cmp_ne_u32_e32 vcc, s10, v34
	v_mov_b32_e32 v52, 0x7f800001
	s_and_saveexec_b64 s[10:11], vcc
	s_cbranch_execz .LBB565_225
; %bb.224:
	v_and_b32_e32 v51, 7, v42
	v_ffbh_u32_e32 v52, v51
	v_min_u32_e32 v55, 32, v52
	v_subrev_u32_e32 v52, 28, v55
	v_lshlrev_b64 v[52:53], v52, v[42:43]
	v_lshrrev_b32_e32 v54, 3, v34
	v_sub_u32_e32 v53, 29, v55
	v_and_b32_e32 v52, 7, v52
	v_cmp_gt_u32_e32 vcc, 8, v34
	v_cndmask_b32_e32 v34, v54, v53, vcc
	v_cndmask_b32_e32 v51, v51, v52, vcc
	v_lshlrev_b32_e32 v42, 24, v42
	v_bfrev_b32_e32 v52, 60
	v_lshlrev_b32_e32 v51, 20, v51
	v_and_b32_e32 v42, 0x80000000, v42
	v_lshl_add_u32 v34, v34, 23, v52
	v_or3_b32 v52, v42, v34, v51
.LBB565_225:
	s_or_b64 exec, exec, s[10:11]
.LBB565_226:
	s_or_b64 exec, exec, s[8:9]
.LBB565_227:
	s_or_b64 exec, exec, s[2:3]
	v_cmp_ne_u16_sdwa s[8:9], v35, v45 src0_sel:BYTE_0 src1_sel:DWORD
	s_and_saveexec_b64 s[2:3], s[8:9]
	s_cbranch_execz .LBB565_233
; %bb.228:
	s_movk_i32 s8, 0x80
	v_cmp_ne_u16_sdwa s[10:11], v35, s8 src0_sel:BYTE_0 src1_sel:DWORD
	v_bfrev_b32_e32 v45, 1
	s_and_saveexec_b64 s[8:9], s[10:11]
	s_cbranch_execz .LBB565_232
; %bb.229:
	s_movk_i32 s10, 0x7f
	v_and_b32_e32 v34, 0x7f, v35
	v_cmp_ne_u32_e32 vcc, s10, v34
	v_mov_b32_e32 v45, 0x7f800001
	s_and_saveexec_b64 s[10:11], vcc
	s_cbranch_execz .LBB565_231
; %bb.230:
	v_and_b32_e32 v45, 7, v35
	v_ffbh_u32_e32 v53, v45
	v_min_u32_e32 v53, 32, v53
	v_mov_b32_e32 v42, v35
	v_subrev_u32_e32 v54, 28, v53
	v_lshlrev_b64 v[54:55], v54, v[42:43]
	v_lshrrev_b32_e32 v51, 3, v34
	v_sub_u32_e32 v42, 29, v53
	v_and_b32_e32 v53, 7, v54
	v_cmp_gt_u32_e32 vcc, 8, v34
	v_cndmask_b32_e32 v34, v51, v42, vcc
	v_cndmask_b32_e32 v42, v45, v53, vcc
	v_lshlrev_b32_e32 v45, 24, v35
	v_bfrev_b32_e32 v51, 60
	v_lshlrev_b32_e32 v42, 20, v42
	v_and_b32_e32 v45, 0x80000000, v45
	v_lshl_add_u32 v34, v34, 23, v51
	v_or3_b32 v45, v45, v34, v42
.LBB565_231:
	s_or_b64 exec, exec, s[10:11]
.LBB565_232:
	s_or_b64 exec, exec, s[8:9]
.LBB565_233:
	s_or_b64 exec, exec, s[2:3]
	v_lshrrev_b16_e32 v34, 8, v35
	v_cmp_ne_u16_e32 vcc, 0, v34
	v_mov_b32_e32 v42, 0
	v_mov_b32_e32 v53, 0
	s_and_saveexec_b64 s[2:3], vcc
	s_cbranch_execz .LBB565_239
; %bb.234:
	s_movk_i32 s8, 0x80
	v_cmp_ne_u16_e32 vcc, s8, v34
	v_bfrev_b32_e32 v53, 1
	s_and_saveexec_b64 s[8:9], vcc
	s_cbranch_execz .LBB565_238
; %bb.235:
	s_movk_i32 s10, 0x7f
	v_and_b32_e32 v51, 0x7f, v34
	v_cmp_ne_u32_e32 vcc, s10, v51
	v_mov_b32_e32 v53, 0x7f800001
	s_and_saveexec_b64 s[10:11], vcc
	s_cbranch_execz .LBB565_237
; %bb.236:
	v_and_b32_e32 v53, 7, v34
	v_ffbh_u32_e32 v54, v53
	v_min_u32_e32 v57, 32, v54
	v_subrev_u32_e32 v54, 28, v57
	v_lshlrev_b64 v[54:55], v54, v[34:35]
	v_lshrrev_b32_e32 v56, 3, v51
	v_sub_u32_e32 v34, 29, v57
	v_and_b32_e32 v54, 7, v54
	v_cmp_gt_u32_e32 vcc, 8, v51
	v_cndmask_b32_e32 v34, v56, v34, vcc
	v_cndmask_b32_e32 v51, v53, v54, vcc
	v_lshlrev_b32_e32 v53, 16, v35
	v_bfrev_b32_e32 v54, 60
	v_lshlrev_b32_e32 v51, 20, v51
	v_and_b32_e32 v53, 0x80000000, v53
	v_lshl_add_u32 v34, v34, 23, v54
	v_or3_b32 v53, v53, v34, v51
.LBB565_237:
	s_or_b64 exec, exec, s[10:11]
.LBB565_238:
	s_or_b64 exec, exec, s[8:9]
.LBB565_239:
	s_or_b64 exec, exec, s[2:3]
	s_movk_i32 s2, 0xff
	v_and_b32_sdwa v51, v35, s2 dst_sel:DWORD dst_unused:UNUSED_PAD src0_sel:WORD_1 src1_sel:DWORD
	v_lshrrev_b32_e32 v34, 16, v35
	v_cmp_ne_u16_e32 vcc, 0, v51
	s_and_saveexec_b64 s[2:3], vcc
	s_cbranch_execz .LBB565_245
; %bb.240:
	s_movk_i32 s8, 0x80
	v_cmp_ne_u16_e32 vcc, s8, v51
	v_bfrev_b32_e32 v42, 1
	s_and_saveexec_b64 s[8:9], vcc
	s_cbranch_execz .LBB565_244
; %bb.241:
	v_bfe_u32 v51, v35, 16, 7
	s_movk_i32 s10, 0x7f
	v_cmp_ne_u32_e32 vcc, s10, v51
	v_mov_b32_e32 v42, 0x7f800001
	s_and_saveexec_b64 s[10:11], vcc
	s_cbranch_execz .LBB565_243
; %bb.242:
	v_and_b32_e32 v42, 7, v34
	v_ffbh_u32_e32 v54, v42
	v_min_u32_e32 v57, 32, v54
	v_subrev_u32_e32 v54, 28, v57
	v_lshlrev_b64 v[54:55], v54, v[34:35]
	v_lshrrev_b32_e32 v56, 3, v51
	v_sub_u32_e32 v34, 29, v57
	v_and_b32_e32 v54, 7, v54
	v_cmp_gt_u32_e32 vcc, 8, v51
	v_mov_b32_e32 v51, 24
	v_cndmask_b32_e32 v34, v56, v34, vcc
	v_cndmask_b32_e32 v42, v42, v54, vcc
	v_lshlrev_b32_sdwa v51, v51, v35 dst_sel:DWORD dst_unused:UNUSED_PAD src0_sel:DWORD src1_sel:WORD_1
	v_bfrev_b32_e32 v54, 60
	v_lshlrev_b32_e32 v42, 20, v42
	v_and_b32_e32 v51, 0x80000000, v51
	v_lshl_add_u32 v34, v34, 23, v54
	v_or3_b32 v42, v51, v34, v42
.LBB565_243:
	s_or_b64 exec, exec, s[10:11]
.LBB565_244:
	s_or_b64 exec, exec, s[8:9]
.LBB565_245:
	s_or_b64 exec, exec, s[2:3]
	s_mov_b32 s2, 0xffffff
	v_cmp_lt_u32_e32 vcc, s2, v35
	v_mov_b32_e32 v51, 0
	v_mov_b32_e32 v54, 0
	s_and_saveexec_b64 s[2:3], vcc
	s_cbranch_execz .LBB565_251
; %bb.246:
	v_lshrrev_b32_e32 v34, 24, v35
	s_movk_i32 s8, 0x80
	v_cmp_ne_u32_e32 vcc, s8, v34
	v_bfrev_b32_e32 v54, 1
	s_and_saveexec_b64 s[8:9], vcc
	s_cbranch_execz .LBB565_250
; %bb.247:
	v_bfe_u32 v35, v35, 24, 7
	s_movk_i32 s10, 0x7f
	v_cmp_ne_u32_e32 vcc, s10, v35
	v_mov_b32_e32 v54, 0x7f800001
	s_and_saveexec_b64 s[10:11], vcc
	s_cbranch_execz .LBB565_249
; %bb.248:
	v_and_b32_e32 v56, 7, v34
	v_ffbh_u32_e32 v54, v56
	v_min_u32_e32 v58, 32, v54
	v_subrev_u32_e32 v54, 28, v58
	v_lshlrev_b64 v[54:55], v54, v[34:35]
	v_lshrrev_b32_e32 v57, 3, v35
	v_sub_u32_e32 v55, 29, v58
	v_and_b32_e32 v54, 7, v54
	v_cmp_gt_u32_e32 vcc, 8, v35
	v_cndmask_b32_e32 v35, v57, v55, vcc
	v_cndmask_b32_e32 v54, v56, v54, vcc
	v_lshlrev_b32_e32 v34, 24, v34
	v_bfrev_b32_e32 v55, 60
	v_lshlrev_b32_e32 v54, 20, v54
	v_and_b32_e32 v34, 0x80000000, v34
	v_lshl_add_u32 v35, v35, 23, v55
	v_or3_b32 v54, v34, v35, v54
.LBB565_249:
	s_or_b64 exec, exec, s[10:11]
.LBB565_250:
	s_or_b64 exec, exec, s[8:9]
.LBB565_251:
	s_or_b64 exec, exec, s[2:3]
	v_cvt_pkrtz_f16_f32 v34, v50, v44
	v_cvt_pkrtz_f16_f32 v35, v43, v52
	v_cmp_ne_u16_sdwa s[8:9], v36, v51 src0_sel:BYTE_0 src1_sel:DWORD
	s_nop 0
	v_mfma_f32_16x16x16f16 v[56:59], v[34:35], v[26:27], 0
	v_cvt_pkrtz_f16_f32 v34, v45, v53
	v_cvt_pkrtz_f16_f32 v35, v42, v54
	s_nop 1
	v_mfma_f32_16x16x16f16 v[42:45], v[34:35], v[28:29], v[56:59]
	s_and_saveexec_b64 s[2:3], s[8:9]
	s_cbranch_execz .LBB565_257
; %bb.252:
	s_movk_i32 s8, 0x80
	v_cmp_ne_u16_sdwa s[10:11], v36, s8 src0_sel:BYTE_0 src1_sel:DWORD
	v_bfrev_b32_e32 v51, 1
	s_and_saveexec_b64 s[8:9], s[10:11]
	s_cbranch_execz .LBB565_256
; %bb.253:
	s_movk_i32 s10, 0x7f
	v_and_b32_e32 v34, 0x7f, v36
	v_cmp_ne_u32_e32 vcc, s10, v34
	v_mov_b32_e32 v51, 0x7f800001
	s_and_saveexec_b64 s[10:11], vcc
	s_cbranch_execz .LBB565_255
; %bb.254:
	v_and_b32_e32 v35, 7, v36
	v_ffbh_u32_e32 v50, v35
	v_min_u32_e32 v53, 32, v50
	v_subrev_u32_e32 v50, 28, v53
	v_lshlrev_b64 v[50:51], v50, v[36:37]
	v_lshrrev_b32_e32 v52, 3, v34
	v_sub_u32_e32 v51, 29, v53
	v_and_b32_e32 v50, 7, v50
	v_cmp_gt_u32_e32 vcc, 8, v34
	v_cndmask_b32_e32 v34, v52, v51, vcc
	v_cndmask_b32_e32 v35, v35, v50, vcc
	v_lshlrev_b32_e32 v50, 24, v36
	v_bfrev_b32_e32 v51, 60
	v_lshlrev_b32_e32 v35, 20, v35
	v_and_b32_e32 v50, 0x80000000, v50
	v_lshl_add_u32 v34, v34, 23, v51
	v_or3_b32 v51, v50, v34, v35
.LBB565_255:
	s_or_b64 exec, exec, s[10:11]
.LBB565_256:
	s_or_b64 exec, exec, s[8:9]
.LBB565_257:
	s_or_b64 exec, exec, s[2:3]
	v_lshrrev_b16_e32 v34, 8, v36
	v_cmp_ne_u16_e32 vcc, 0, v34
	v_mov_b32_e32 v35, 0
	v_mov_b32_e32 v52, 0
	s_and_saveexec_b64 s[2:3], vcc
	s_cbranch_execz .LBB565_263
; %bb.258:
	s_movk_i32 s8, 0x80
	v_cmp_ne_u16_e32 vcc, s8, v34
	v_bfrev_b32_e32 v52, 1
	s_and_saveexec_b64 s[8:9], vcc
	s_cbranch_execz .LBB565_262
; %bb.259:
	s_movk_i32 s10, 0x7f
	v_and_b32_e32 v50, 0x7f, v34
	v_cmp_ne_u32_e32 vcc, s10, v50
	v_mov_b32_e32 v52, 0x7f800001
	s_and_saveexec_b64 s[10:11], vcc
	s_cbranch_execz .LBB565_261
; %bb.260:
	v_and_b32_e32 v54, 7, v34
	v_ffbh_u32_e32 v52, v54
	v_min_u32_e32 v56, 32, v52
	v_subrev_u32_e32 v52, 28, v56
	v_lshlrev_b64 v[52:53], v52, v[34:35]
	v_lshrrev_b32_e32 v55, 3, v50
	v_sub_u32_e32 v34, 29, v56
	v_and_b32_e32 v52, 7, v52
	v_cmp_gt_u32_e32 vcc, 8, v50
	v_cndmask_b32_e32 v34, v55, v34, vcc
	v_cndmask_b32_e32 v50, v54, v52, vcc
	v_lshlrev_b32_e32 v52, 16, v36
	v_bfrev_b32_e32 v53, 60
	v_lshlrev_b32_e32 v50, 20, v50
	v_and_b32_e32 v52, 0x80000000, v52
	v_lshl_add_u32 v34, v34, 23, v53
	v_or3_b32 v52, v52, v34, v50
.LBB565_261:
	s_or_b64 exec, exec, s[10:11]
.LBB565_262:
	s_or_b64 exec, exec, s[8:9]
.LBB565_263:
	s_or_b64 exec, exec, s[2:3]
	s_movk_i32 s2, 0xff
	v_and_b32_sdwa v50, v36, s2 dst_sel:DWORD dst_unused:UNUSED_PAD src0_sel:WORD_1 src1_sel:DWORD
	v_lshrrev_b32_e32 v34, 16, v36
	v_cmp_ne_u16_e32 vcc, 0, v50
	s_and_saveexec_b64 s[2:3], vcc
	s_cbranch_execz .LBB565_269
; %bb.264:
	s_movk_i32 s8, 0x80
	v_cmp_ne_u16_e32 vcc, s8, v50
	v_bfrev_b32_e32 v35, 1
	s_and_saveexec_b64 s[8:9], vcc
	s_cbranch_execz .LBB565_268
; %bb.265:
	v_bfe_u32 v50, v36, 16, 7
	s_movk_i32 s10, 0x7f
	v_cmp_ne_u32_e32 vcc, s10, v50
	v_mov_b32_e32 v35, 0x7f800001
	s_and_saveexec_b64 s[10:11], vcc
	s_cbranch_execz .LBB565_267
; %bb.266:
	v_and_b32_e32 v53, 7, v34
	v_ffbh_u32_e32 v35, v53
	v_min_u32_e32 v55, 32, v35
	v_subrev_u32_e32 v35, 28, v55
	v_lshlrev_b64 v[34:35], v35, v[34:35]
	v_lshrrev_b32_e32 v54, 3, v50
	v_sub_u32_e32 v35, 29, v55
	v_and_b32_e32 v34, 7, v34
	v_cmp_gt_u32_e32 vcc, 8, v50
	v_mov_b32_e32 v50, 24
	v_cndmask_b32_e32 v35, v54, v35, vcc
	v_cndmask_b32_e32 v34, v53, v34, vcc
	v_lshlrev_b32_sdwa v50, v50, v36 dst_sel:DWORD dst_unused:UNUSED_PAD src0_sel:DWORD src1_sel:WORD_1
	v_bfrev_b32_e32 v53, 60
	v_lshlrev_b32_e32 v34, 20, v34
	v_and_b32_e32 v50, 0x80000000, v50
	v_lshl_add_u32 v35, v35, 23, v53
	v_or3_b32 v35, v50, v35, v34
.LBB565_267:
	s_or_b64 exec, exec, s[10:11]
.LBB565_268:
	s_or_b64 exec, exec, s[8:9]
.LBB565_269:
	s_or_b64 exec, exec, s[2:3]
	s_mov_b32 s2, 0xffffff
	v_cmp_lt_u32_e32 vcc, s2, v36
	v_mov_b32_e32 v53, 0
	v_mov_b32_e32 v54, 0
	s_and_saveexec_b64 s[2:3], vcc
	s_cbranch_execz .LBB565_275
; %bb.270:
	v_lshrrev_b32_e32 v34, 24, v36
	s_movk_i32 s8, 0x80
	v_cmp_ne_u32_e32 vcc, s8, v34
	v_bfrev_b32_e32 v54, 1
	s_and_saveexec_b64 s[8:9], vcc
	s_cbranch_execz .LBB565_274
; %bb.271:
	v_bfe_u32 v36, v36, 24, 7
	s_movk_i32 s10, 0x7f
	v_cmp_ne_u32_e32 vcc, s10, v36
	v_mov_b32_e32 v54, 0x7f800001
	s_and_saveexec_b64 s[10:11], vcc
	s_cbranch_execz .LBB565_273
; %bb.272:
	v_and_b32_e32 v50, 7, v34
	v_ffbh_u32_e32 v54, v50
	v_min_u32_e32 v57, 32, v54
	v_subrev_u32_e32 v54, 28, v57
	v_lshlrev_b64 v[54:55], v54, v[34:35]
	v_lshrrev_b32_e32 v56, 3, v36
	v_sub_u32_e32 v55, 29, v57
	v_and_b32_e32 v54, 7, v54
	v_cmp_gt_u32_e32 vcc, 8, v36
	v_cndmask_b32_e32 v36, v56, v55, vcc
	v_cndmask_b32_e32 v50, v50, v54, vcc
	v_lshlrev_b32_e32 v34, 24, v34
	v_bfrev_b32_e32 v54, 60
	v_lshlrev_b32_e32 v50, 20, v50
	v_and_b32_e32 v34, 0x80000000, v34
	v_lshl_add_u32 v36, v36, 23, v54
	v_or3_b32 v54, v34, v36, v50
.LBB565_273:
	s_or_b64 exec, exec, s[10:11]
.LBB565_274:
	s_or_b64 exec, exec, s[8:9]
.LBB565_275:
	s_or_b64 exec, exec, s[2:3]
	v_cmp_ne_u16_sdwa s[8:9], v37, v53 src0_sel:BYTE_0 src1_sel:DWORD
	s_and_saveexec_b64 s[2:3], s[8:9]
	s_cbranch_execz .LBB565_281
; %bb.276:
	s_movk_i32 s8, 0x80
	v_cmp_ne_u16_sdwa s[10:11], v37, s8 src0_sel:BYTE_0 src1_sel:DWORD
	v_bfrev_b32_e32 v53, 1
	s_and_saveexec_b64 s[8:9], s[10:11]
	s_cbranch_execz .LBB565_280
; %bb.277:
	s_movk_i32 s10, 0x7f
	v_and_b32_e32 v34, 0x7f, v37
	v_cmp_ne_u32_e32 vcc, s10, v34
	v_mov_b32_e32 v53, 0x7f800001
	s_and_saveexec_b64 s[10:11], vcc
	s_cbranch_execz .LBB565_279
; %bb.278:
	v_and_b32_e32 v50, 7, v37
	v_ffbh_u32_e32 v55, v50
	v_min_u32_e32 v55, 32, v55
	v_mov_b32_e32 v36, v37
	v_subrev_u32_e32 v56, 28, v55
	v_lshlrev_b64 v[56:57], v56, v[36:37]
	v_lshrrev_b32_e32 v53, 3, v34
	v_sub_u32_e32 v36, 29, v55
	v_and_b32_e32 v55, 7, v56
	v_cmp_gt_u32_e32 vcc, 8, v34
	v_cndmask_b32_e32 v34, v53, v36, vcc
	v_cndmask_b32_e32 v36, v50, v55, vcc
	v_lshlrev_b32_e32 v50, 24, v37
	v_bfrev_b32_e32 v53, 60
	v_lshlrev_b32_e32 v36, 20, v36
	v_and_b32_e32 v50, 0x80000000, v50
	v_lshl_add_u32 v34, v34, 23, v53
	v_or3_b32 v53, v50, v34, v36
.LBB565_279:
	s_or_b64 exec, exec, s[10:11]
.LBB565_280:
	s_or_b64 exec, exec, s[8:9]
.LBB565_281:
	s_or_b64 exec, exec, s[2:3]
	v_lshrrev_b16_e32 v34, 8, v37
	v_cmp_ne_u16_e32 vcc, 0, v34
	v_mov_b32_e32 v36, 0
	v_mov_b32_e32 v55, 0
	s_and_saveexec_b64 s[2:3], vcc
	s_cbranch_execz .LBB565_287
; %bb.282:
	s_movk_i32 s8, 0x80
	v_cmp_ne_u16_e32 vcc, s8, v34
	v_bfrev_b32_e32 v55, 1
	s_and_saveexec_b64 s[8:9], vcc
	s_cbranch_execz .LBB565_286
; %bb.283:
	s_movk_i32 s10, 0x7f
	v_and_b32_e32 v50, 0x7f, v34
	v_cmp_ne_u32_e32 vcc, s10, v50
	v_mov_b32_e32 v55, 0x7f800001
	s_and_saveexec_b64 s[10:11], vcc
	s_cbranch_execz .LBB565_285
; %bb.284:
	v_and_b32_e32 v55, 7, v34
	v_ffbh_u32_e32 v56, v55
	v_min_u32_e32 v59, 32, v56
	v_subrev_u32_e32 v56, 28, v59
	v_lshlrev_b64 v[56:57], v56, v[34:35]
	v_lshrrev_b32_e32 v58, 3, v50
	v_sub_u32_e32 v34, 29, v59
	v_and_b32_e32 v56, 7, v56
	v_cmp_gt_u32_e32 vcc, 8, v50
	v_cndmask_b32_e32 v34, v58, v34, vcc
	v_cndmask_b32_e32 v50, v55, v56, vcc
	v_lshlrev_b32_e32 v55, 16, v37
	v_bfrev_b32_e32 v56, 60
	v_lshlrev_b32_e32 v50, 20, v50
	v_and_b32_e32 v55, 0x80000000, v55
	v_lshl_add_u32 v34, v34, 23, v56
	v_or3_b32 v55, v55, v34, v50
.LBB565_285:
	s_or_b64 exec, exec, s[10:11]
.LBB565_286:
	s_or_b64 exec, exec, s[8:9]
.LBB565_287:
	s_or_b64 exec, exec, s[2:3]
	s_movk_i32 s2, 0xff
	v_and_b32_sdwa v50, v37, s2 dst_sel:DWORD dst_unused:UNUSED_PAD src0_sel:WORD_1 src1_sel:DWORD
	v_lshrrev_b32_e32 v34, 16, v37
	v_cmp_ne_u16_e32 vcc, 0, v50
	s_and_saveexec_b64 s[2:3], vcc
	s_cbranch_execz .LBB565_293
; %bb.288:
	s_movk_i32 s8, 0x80
	v_cmp_ne_u16_e32 vcc, s8, v50
	v_bfrev_b32_e32 v36, 1
	s_and_saveexec_b64 s[8:9], vcc
	s_cbranch_execz .LBB565_292
; %bb.289:
	v_bfe_u32 v50, v37, 16, 7
	s_movk_i32 s10, 0x7f
	v_cmp_ne_u32_e32 vcc, s10, v50
	v_mov_b32_e32 v36, 0x7f800001
	s_and_saveexec_b64 s[10:11], vcc
	s_cbranch_execz .LBB565_291
; %bb.290:
	v_and_b32_e32 v36, 7, v34
	v_ffbh_u32_e32 v56, v36
	v_min_u32_e32 v59, 32, v56
	v_subrev_u32_e32 v56, 28, v59
	v_lshlrev_b64 v[56:57], v56, v[34:35]
	v_lshrrev_b32_e32 v58, 3, v50
	v_sub_u32_e32 v34, 29, v59
	v_and_b32_e32 v56, 7, v56
	v_cmp_gt_u32_e32 vcc, 8, v50
	v_mov_b32_e32 v50, 24
	v_cndmask_b32_e32 v34, v58, v34, vcc
	v_cndmask_b32_e32 v36, v36, v56, vcc
	v_lshlrev_b32_sdwa v50, v50, v37 dst_sel:DWORD dst_unused:UNUSED_PAD src0_sel:DWORD src1_sel:WORD_1
	v_bfrev_b32_e32 v56, 60
	v_lshlrev_b32_e32 v36, 20, v36
	v_and_b32_e32 v50, 0x80000000, v50
	v_lshl_add_u32 v34, v34, 23, v56
	v_or3_b32 v36, v50, v34, v36
.LBB565_291:
	s_or_b64 exec, exec, s[10:11]
.LBB565_292:
	s_or_b64 exec, exec, s[8:9]
.LBB565_293:
	s_or_b64 exec, exec, s[2:3]
	s_mov_b32 s2, 0xffffff
	v_cmp_lt_u32_e32 vcc, s2, v37
	v_mov_b32_e32 v50, 0
	v_mov_b32_e32 v56, 0
	s_and_saveexec_b64 s[2:3], vcc
	s_cbranch_execz .LBB565_299
; %bb.294:
	v_lshrrev_b32_e32 v34, 24, v37
	s_movk_i32 s8, 0x80
	v_cmp_ne_u32_e32 vcc, s8, v34
	v_bfrev_b32_e32 v56, 1
	s_and_saveexec_b64 s[8:9], vcc
	s_cbranch_execz .LBB565_298
; %bb.295:
	v_bfe_u32 v37, v37, 24, 7
	s_movk_i32 s10, 0x7f
	v_cmp_ne_u32_e32 vcc, s10, v37
	v_mov_b32_e32 v56, 0x7f800001
	s_and_saveexec_b64 s[10:11], vcc
	s_cbranch_execz .LBB565_297
; %bb.296:
	v_and_b32_e32 v58, 7, v34
	v_ffbh_u32_e32 v56, v58
	v_min_u32_e32 v60, 32, v56
	v_subrev_u32_e32 v56, 28, v60
	v_lshlrev_b64 v[56:57], v56, v[34:35]
	v_lshrrev_b32_e32 v59, 3, v37
	v_sub_u32_e32 v57, 29, v60
	v_and_b32_e32 v56, 7, v56
	v_cmp_gt_u32_e32 vcc, 8, v37
	v_cndmask_b32_e32 v37, v59, v57, vcc
	v_cndmask_b32_e32 v56, v58, v56, vcc
	v_lshlrev_b32_e32 v34, 24, v34
	v_bfrev_b32_e32 v57, 60
	v_lshlrev_b32_e32 v56, 20, v56
	v_and_b32_e32 v34, 0x80000000, v34
	v_lshl_add_u32 v37, v37, 23, v57
	v_or3_b32 v56, v34, v37, v56
.LBB565_297:
	s_or_b64 exec, exec, s[10:11]
.LBB565_298:
	s_or_b64 exec, exec, s[8:9]
.LBB565_299:
	s_or_b64 exec, exec, s[2:3]
	v_cvt_pkrtz_f16_f32 v34, v51, v52
	v_cvt_pkrtz_f16_f32 v35, v35, v54
	s_waitcnt vmcnt(4)
	v_cmp_ne_u16_sdwa s[8:9], v22, v50 src0_sel:BYTE_0 src1_sel:DWORD
	v_mfma_f32_16x16x16f16 v[42:45], v[34:35], v[18:19], v[42:45]
	v_cvt_pkrtz_f16_f32 v34, v53, v55
	v_cvt_pkrtz_f16_f32 v35, v36, v56
	s_nop 1
	v_mfma_f32_16x16x16f16 v[34:37], v[34:35], v[20:21], v[42:45]
	s_and_saveexec_b64 s[2:3], s[8:9]
	s_cbranch_execz .LBB565_305
; %bb.300:
	s_movk_i32 s8, 0x80
	v_cmp_ne_u16_sdwa s[10:11], v22, s8 src0_sel:BYTE_0 src1_sel:DWORD
	v_bfrev_b32_e32 v50, 1
	s_and_saveexec_b64 s[8:9], s[10:11]
	s_cbranch_execz .LBB565_304
; %bb.301:
	s_movk_i32 s10, 0x7f
	v_and_b32_e32 v42, 0x7f, v22
	v_cmp_ne_u32_e32 vcc, s10, v42
	v_mov_b32_e32 v50, 0x7f800001
	s_and_saveexec_b64 s[10:11], vcc
	s_cbranch_execz .LBB565_303
; %bb.302:
	v_and_b32_e32 v43, 7, v22
	v_ffbh_u32_e32 v44, v43
	v_min_u32_e32 v51, 32, v44
	v_subrev_u32_e32 v44, 28, v51
	v_lshlrev_b64 v[44:45], v44, v[22:23]
	v_lshrrev_b32_e32 v50, 3, v42
	v_sub_u32_e32 v45, 29, v51
	v_and_b32_e32 v44, 7, v44
	v_cmp_gt_u32_e32 vcc, 8, v42
	v_cndmask_b32_e32 v42, v50, v45, vcc
	v_cndmask_b32_e32 v43, v43, v44, vcc
	v_lshlrev_b32_e32 v44, 24, v22
	v_bfrev_b32_e32 v45, 60
	v_lshlrev_b32_e32 v43, 20, v43
	v_and_b32_e32 v44, 0x80000000, v44
	v_lshl_add_u32 v42, v42, 23, v45
	v_or3_b32 v50, v44, v42, v43
.LBB565_303:
	s_or_b64 exec, exec, s[10:11]
.LBB565_304:
	s_or_b64 exec, exec, s[8:9]
.LBB565_305:
	s_or_b64 exec, exec, s[2:3]
	s_nop 3
	v_lshrrev_b16_e32 v42, 8, v22
	v_cmp_ne_u16_e32 vcc, 0, v42
	v_mov_b32_e32 v43, 0
	v_mov_b32_e32 v44, 0
	s_and_saveexec_b64 s[2:3], vcc
	s_cbranch_execz .LBB565_311
; %bb.306:
	s_movk_i32 s8, 0x80
	v_cmp_ne_u16_e32 vcc, s8, v42
	v_bfrev_b32_e32 v44, 1
	s_and_saveexec_b64 s[8:9], vcc
	s_cbranch_execz .LBB565_310
; %bb.307:
	s_movk_i32 s10, 0x7f
	v_and_b32_e32 v45, 0x7f, v42
	v_cmp_ne_u32_e32 vcc, s10, v45
	v_mov_b32_e32 v44, 0x7f800001
	s_and_saveexec_b64 s[10:11], vcc
	s_cbranch_execz .LBB565_309
; %bb.308:
	v_and_b32_e32 v44, 7, v42
	v_ffbh_u32_e32 v52, v44
	v_min_u32_e32 v54, 32, v52
	v_subrev_u32_e32 v52, 28, v54
	v_lshlrev_b64 v[52:53], v52, v[42:43]
	v_lshrrev_b32_e32 v51, 3, v45
	v_sub_u32_e32 v42, 29, v54
	v_and_b32_e32 v52, 7, v52
	v_cmp_gt_u32_e32 vcc, 8, v45
	v_cndmask_b32_e32 v42, v51, v42, vcc
	v_cndmask_b32_e32 v44, v44, v52, vcc
	v_lshlrev_b32_e32 v45, 16, v22
	v_bfrev_b32_e32 v51, 60
	v_lshlrev_b32_e32 v44, 20, v44
	v_and_b32_e32 v45, 0x80000000, v45
	v_lshl_add_u32 v42, v42, 23, v51
	v_or3_b32 v44, v45, v42, v44
.LBB565_309:
	s_or_b64 exec, exec, s[10:11]
.LBB565_310:
	s_or_b64 exec, exec, s[8:9]
.LBB565_311:
	s_or_b64 exec, exec, s[2:3]
	s_movk_i32 s2, 0xff
	v_and_b32_sdwa v45, v22, s2 dst_sel:DWORD dst_unused:UNUSED_PAD src0_sel:WORD_1 src1_sel:DWORD
	v_lshrrev_b32_e32 v42, 16, v22
	v_cmp_ne_u16_e32 vcc, 0, v45
	s_and_saveexec_b64 s[2:3], vcc
	s_cbranch_execz .LBB565_317
; %bb.312:
	s_movk_i32 s8, 0x80
	v_cmp_ne_u16_e32 vcc, s8, v45
	v_bfrev_b32_e32 v43, 1
	s_and_saveexec_b64 s[8:9], vcc
	s_cbranch_execz .LBB565_316
; %bb.313:
	v_bfe_u32 v45, v22, 16, 7
	s_movk_i32 s10, 0x7f
	v_cmp_ne_u32_e32 vcc, s10, v45
	v_mov_b32_e32 v43, 0x7f800001
	s_and_saveexec_b64 s[10:11], vcc
	s_cbranch_execz .LBB565_315
; %bb.314:
	v_and_b32_e32 v51, 7, v42
	v_ffbh_u32_e32 v43, v51
	v_min_u32_e32 v53, 32, v43
	v_subrev_u32_e32 v43, 28, v53
	v_lshlrev_b64 v[42:43], v43, v[42:43]
	v_lshrrev_b32_e32 v52, 3, v45
	v_sub_u32_e32 v43, 29, v53
	v_and_b32_e32 v42, 7, v42
	v_cmp_gt_u32_e32 vcc, 8, v45
	v_mov_b32_e32 v45, 24
	v_cndmask_b32_e32 v43, v52, v43, vcc
	v_cndmask_b32_e32 v42, v51, v42, vcc
	v_lshlrev_b32_sdwa v45, v45, v22 dst_sel:DWORD dst_unused:UNUSED_PAD src0_sel:DWORD src1_sel:WORD_1
	v_bfrev_b32_e32 v51, 60
	v_lshlrev_b32_e32 v42, 20, v42
	v_and_b32_e32 v45, 0x80000000, v45
	v_lshl_add_u32 v43, v43, 23, v51
	v_or3_b32 v43, v45, v43, v42
.LBB565_315:
	s_or_b64 exec, exec, s[10:11]
.LBB565_316:
	s_or_b64 exec, exec, s[8:9]
.LBB565_317:
	s_or_b64 exec, exec, s[2:3]
	s_mov_b32 s2, 0xffffff
	v_cmp_lt_u32_e32 vcc, s2, v22
	v_mov_b32_e32 v45, 0
	v_mov_b32_e32 v51, 0
	s_and_saveexec_b64 s[2:3], vcc
	s_cbranch_execz .LBB565_323
; %bb.318:
	v_lshrrev_b32_e32 v42, 24, v22
	s_movk_i32 s8, 0x80
	v_cmp_ne_u32_e32 vcc, s8, v42
	v_bfrev_b32_e32 v51, 1
	s_and_saveexec_b64 s[8:9], vcc
	s_cbranch_execz .LBB565_322
; %bb.319:
	v_bfe_u32 v22, v22, 24, 7
	s_movk_i32 s10, 0x7f
	v_cmp_ne_u32_e32 vcc, s10, v22
	v_mov_b32_e32 v51, 0x7f800001
	s_and_saveexec_b64 s[10:11], vcc
	s_cbranch_execz .LBB565_321
; %bb.320:
	v_and_b32_e32 v51, 7, v42
	v_ffbh_u32_e32 v52, v51
	v_min_u32_e32 v55, 32, v52
	v_subrev_u32_e32 v52, 28, v55
	v_lshlrev_b64 v[52:53], v52, v[42:43]
	v_lshrrev_b32_e32 v54, 3, v22
	v_sub_u32_e32 v53, 29, v55
	v_and_b32_e32 v52, 7, v52
	v_cmp_gt_u32_e32 vcc, 8, v22
	v_cndmask_b32_e32 v22, v54, v53, vcc
	v_cndmask_b32_e32 v51, v51, v52, vcc
	v_lshlrev_b32_e32 v42, 24, v42
	v_bfrev_b32_e32 v52, 60
	v_lshlrev_b32_e32 v51, 20, v51
	v_and_b32_e32 v42, 0x80000000, v42
	v_lshl_add_u32 v22, v22, 23, v52
	v_or3_b32 v51, v42, v22, v51
.LBB565_321:
	s_or_b64 exec, exec, s[10:11]
.LBB565_322:
	s_or_b64 exec, exec, s[8:9]
.LBB565_323:
	s_or_b64 exec, exec, s[2:3]
	v_cmp_ne_u16_sdwa s[8:9], v23, v45 src0_sel:BYTE_0 src1_sel:DWORD
	s_and_saveexec_b64 s[2:3], s[8:9]
	s_cbranch_execz .LBB565_329
; %bb.324:
	s_movk_i32 s8, 0x80
	v_cmp_ne_u16_sdwa s[10:11], v23, s8 src0_sel:BYTE_0 src1_sel:DWORD
	v_bfrev_b32_e32 v45, 1
	s_and_saveexec_b64 s[8:9], s[10:11]
	s_cbranch_execz .LBB565_328
; %bb.325:
	s_movk_i32 s10, 0x7f
	v_and_b32_e32 v22, 0x7f, v23
	v_cmp_ne_u32_e32 vcc, s10, v22
	v_mov_b32_e32 v45, 0x7f800001
	s_and_saveexec_b64 s[10:11], vcc
	s_cbranch_execz .LBB565_327
; %bb.326:
	v_and_b32_e32 v45, 7, v23
	v_ffbh_u32_e32 v52, v45
	v_min_u32_e32 v55, 32, v52
	v_mov_b32_e32 v42, v23
	v_subrev_u32_e32 v52, 28, v55
	v_lshlrev_b64 v[52:53], v52, v[42:43]
	v_lshrrev_b32_e32 v54, 3, v22
	v_sub_u32_e32 v42, 29, v55
	v_and_b32_e32 v52, 7, v52
	v_cmp_gt_u32_e32 vcc, 8, v22
	v_cndmask_b32_e32 v22, v54, v42, vcc
	v_cndmask_b32_e32 v42, v45, v52, vcc
	v_lshlrev_b32_e32 v45, 24, v23
	v_bfrev_b32_e32 v52, 60
	v_lshlrev_b32_e32 v42, 20, v42
	v_and_b32_e32 v45, 0x80000000, v45
	v_lshl_add_u32 v22, v22, 23, v52
	v_or3_b32 v45, v45, v22, v42
.LBB565_327:
	s_or_b64 exec, exec, s[10:11]
.LBB565_328:
	s_or_b64 exec, exec, s[8:9]
.LBB565_329:
	s_or_b64 exec, exec, s[2:3]
	v_lshrrev_b16_e32 v22, 8, v23
	v_cmp_ne_u16_e32 vcc, 0, v22
	v_mov_b32_e32 v52, 0
	v_mov_b32_e32 v53, 0
	s_and_saveexec_b64 s[2:3], vcc
	s_cbranch_execz .LBB565_335
; %bb.330:
	s_movk_i32 s8, 0x80
	v_cmp_ne_u16_e32 vcc, s8, v22
	v_bfrev_b32_e32 v53, 1
	s_and_saveexec_b64 s[8:9], vcc
	s_cbranch_execz .LBB565_334
; %bb.331:
	s_movk_i32 s10, 0x7f
	v_and_b32_e32 v42, 0x7f, v22
	v_cmp_ne_u32_e32 vcc, s10, v42
	v_mov_b32_e32 v53, 0x7f800001
	s_and_saveexec_b64 s[10:11], vcc
	s_cbranch_execz .LBB565_333
; %bb.332:
	v_and_b32_e32 v53, 7, v22
	v_ffbh_u32_e32 v54, v53
	v_min_u32_e32 v57, 32, v54
	v_subrev_u32_e32 v54, 28, v57
	v_lshlrev_b64 v[54:55], v54, v[22:23]
	v_lshrrev_b32_e32 v56, 3, v42
	v_sub_u32_e32 v22, 29, v57
	v_and_b32_e32 v54, 7, v54
	v_cmp_gt_u32_e32 vcc, 8, v42
	v_cndmask_b32_e32 v22, v56, v22, vcc
	v_cndmask_b32_e32 v42, v53, v54, vcc
	v_lshlrev_b32_e32 v53, 16, v23
	v_bfrev_b32_e32 v54, 60
	v_lshlrev_b32_e32 v42, 20, v42
	v_and_b32_e32 v53, 0x80000000, v53
	v_lshl_add_u32 v22, v22, 23, v54
	v_or3_b32 v53, v53, v22, v42
.LBB565_333:
	s_or_b64 exec, exec, s[10:11]
.LBB565_334:
	s_or_b64 exec, exec, s[8:9]
.LBB565_335:
	s_or_b64 exec, exec, s[2:3]
	s_movk_i32 s2, 0xff
	v_and_b32_sdwa v42, v23, s2 dst_sel:DWORD dst_unused:UNUSED_PAD src0_sel:WORD_1 src1_sel:DWORD
	v_lshrrev_b32_e32 v22, 16, v23
	v_cmp_ne_u16_e32 vcc, 0, v42
	s_and_saveexec_b64 s[2:3], vcc
	s_cbranch_execz .LBB565_341
; %bb.336:
	s_movk_i32 s8, 0x80
	v_cmp_ne_u16_e32 vcc, s8, v42
	v_bfrev_b32_e32 v52, 1
	s_and_saveexec_b64 s[8:9], vcc
	s_cbranch_execz .LBB565_340
; %bb.337:
	v_bfe_u32 v42, v23, 16, 7
	s_movk_i32 s10, 0x7f
	v_cmp_ne_u32_e32 vcc, s10, v42
	v_mov_b32_e32 v52, 0x7f800001
	s_and_saveexec_b64 s[10:11], vcc
	s_cbranch_execz .LBB565_339
; %bb.338:
	v_and_b32_e32 v52, 7, v22
	v_ffbh_u32_e32 v54, v52
	v_min_u32_e32 v57, 32, v54
	v_subrev_u32_e32 v54, 28, v57
	v_lshlrev_b64 v[54:55], v54, v[22:23]
	v_and_b32_e32 v54, 7, v54
	v_cmp_gt_u32_e32 vcc, 8, v42
	v_lshrrev_b32_e32 v56, 3, v42
	v_sub_u32_e32 v22, 29, v57
	v_cndmask_b32_e32 v42, v52, v54, vcc
	v_mov_b32_e32 v52, 24
	v_cndmask_b32_e32 v22, v56, v22, vcc
	v_lshlrev_b32_sdwa v52, v52, v23 dst_sel:DWORD dst_unused:UNUSED_PAD src0_sel:DWORD src1_sel:WORD_1
	v_bfrev_b32_e32 v54, 60
	v_lshlrev_b32_e32 v42, 20, v42
	v_and_b32_e32 v52, 0x80000000, v52
	v_lshl_add_u32 v22, v22, 23, v54
	v_or3_b32 v52, v52, v22, v42
.LBB565_339:
	s_or_b64 exec, exec, s[10:11]
.LBB565_340:
	s_or_b64 exec, exec, s[8:9]
.LBB565_341:
	s_or_b64 exec, exec, s[2:3]
	s_mov_b32 s2, 0xffffff
	v_cmp_lt_u32_e32 vcc, s2, v23
	v_mov_b32_e32 v42, 0
	v_mov_b32_e32 v54, 0
	s_and_saveexec_b64 s[2:3], vcc
	s_cbranch_execz .LBB565_347
; %bb.342:
	v_lshrrev_b32_e32 v22, 24, v23
	s_movk_i32 s8, 0x80
	v_cmp_ne_u32_e32 vcc, s8, v22
	v_bfrev_b32_e32 v54, 1
	s_and_saveexec_b64 s[8:9], vcc
	s_cbranch_execz .LBB565_346
; %bb.343:
	v_bfe_u32 v23, v23, 24, 7
	s_movk_i32 s10, 0x7f
	v_cmp_ne_u32_e32 vcc, s10, v23
	v_mov_b32_e32 v54, 0x7f800001
	s_and_saveexec_b64 s[10:11], vcc
	s_cbranch_execz .LBB565_345
; %bb.344:
	v_and_b32_e32 v56, 7, v22
	v_ffbh_u32_e32 v54, v56
	v_min_u32_e32 v58, 32, v54
	v_subrev_u32_e32 v54, 28, v58
	v_lshlrev_b64 v[54:55], v54, v[22:23]
	v_lshrrev_b32_e32 v57, 3, v23
	v_sub_u32_e32 v55, 29, v58
	v_and_b32_e32 v54, 7, v54
	v_cmp_gt_u32_e32 vcc, 8, v23
	v_cndmask_b32_e32 v23, v57, v55, vcc
	v_cndmask_b32_e32 v54, v56, v54, vcc
	v_lshlrev_b32_e32 v22, 24, v22
	v_bfrev_b32_e32 v55, 60
	v_lshlrev_b32_e32 v54, 20, v54
	v_and_b32_e32 v22, 0x80000000, v22
	v_lshl_add_u32 v23, v23, 23, v55
	v_or3_b32 v54, v22, v23, v54
.LBB565_345:
	s_or_b64 exec, exec, s[10:11]
.LBB565_346:
	s_or_b64 exec, exec, s[8:9]
.LBB565_347:
	s_or_b64 exec, exec, s[2:3]
	v_cvt_pkrtz_f16_f32 v22, v50, v44
	v_cvt_pkrtz_f16_f32 v23, v43, v51
	v_cmp_ne_u16_sdwa s[8:9], v24, v42 src0_sel:BYTE_0 src1_sel:DWORD
	s_nop 0
	v_mfma_f32_16x16x16f16 v[56:59], v[22:23], v[26:27], 0
	v_cvt_pkrtz_f16_f32 v22, v45, v53
	v_cvt_pkrtz_f16_f32 v23, v52, v54
	s_nop 1
	v_mfma_f32_16x16x16f16 v[26:29], v[22:23], v[28:29], v[56:59]
	s_and_saveexec_b64 s[2:3], s[8:9]
	s_cbranch_execz .LBB565_353
; %bb.348:
	s_movk_i32 s8, 0x80
	v_cmp_ne_u16_sdwa s[10:11], v24, s8 src0_sel:BYTE_0 src1_sel:DWORD
	v_bfrev_b32_e32 v42, 1
	s_and_saveexec_b64 s[8:9], s[10:11]
	s_cbranch_execz .LBB565_352
; %bb.349:
	s_movk_i32 s10, 0x7f
	v_and_b32_e32 v22, 0x7f, v24
	v_cmp_ne_u32_e32 vcc, s10, v22
	v_mov_b32_e32 v42, 0x7f800001
	s_and_saveexec_b64 s[10:11], vcc
	s_cbranch_execz .LBB565_351
; %bb.350:
	v_and_b32_e32 v23, 7, v24
	v_ffbh_u32_e32 v42, v23
	v_min_u32_e32 v45, 32, v42
	v_subrev_u32_e32 v42, 28, v45
	v_lshlrev_b64 v[42:43], v42, v[24:25]
	v_lshrrev_b32_e32 v44, 3, v22
	v_sub_u32_e32 v43, 29, v45
	v_and_b32_e32 v42, 7, v42
	v_cmp_gt_u32_e32 vcc, 8, v22
	v_cndmask_b32_e32 v22, v44, v43, vcc
	v_cndmask_b32_e32 v23, v23, v42, vcc
	v_lshlrev_b32_e32 v42, 24, v24
	v_bfrev_b32_e32 v43, 60
	v_lshlrev_b32_e32 v23, 20, v23
	v_and_b32_e32 v42, 0x80000000, v42
	v_lshl_add_u32 v22, v22, 23, v43
	v_or3_b32 v42, v42, v22, v23
.LBB565_351:
	s_or_b64 exec, exec, s[10:11]
.LBB565_352:
	s_or_b64 exec, exec, s[8:9]
.LBB565_353:
	s_or_b64 exec, exec, s[2:3]
	v_lshrrev_b16_e32 v22, 8, v24
	v_cmp_ne_u16_e32 vcc, 0, v22
	v_mov_b32_e32 v23, 0
	v_mov_b32_e32 v43, 0
	s_and_saveexec_b64 s[2:3], vcc
	s_cbranch_execz .LBB565_359
; %bb.354:
	s_movk_i32 s8, 0x80
	v_cmp_ne_u16_e32 vcc, s8, v22
	v_bfrev_b32_e32 v43, 1
	s_and_saveexec_b64 s[8:9], vcc
	s_cbranch_execz .LBB565_358
; %bb.355:
	s_movk_i32 s10, 0x7f
	v_and_b32_e32 v44, 0x7f, v22
	v_cmp_ne_u32_e32 vcc, s10, v44
	v_mov_b32_e32 v43, 0x7f800001
	s_and_saveexec_b64 s[10:11], vcc
	s_cbranch_execz .LBB565_357
; %bb.356:
	v_and_b32_e32 v43, 7, v22
	v_ffbh_u32_e32 v50, v43
	v_min_u32_e32 v52, 32, v50
	v_subrev_u32_e32 v50, 28, v52
	v_lshlrev_b64 v[50:51], v50, v[22:23]
	v_lshrrev_b32_e32 v45, 3, v44
	v_sub_u32_e32 v22, 29, v52
	v_and_b32_e32 v50, 7, v50
	v_cmp_gt_u32_e32 vcc, 8, v44
	v_cndmask_b32_e32 v22, v45, v22, vcc
	v_cndmask_b32_e32 v43, v43, v50, vcc
	v_lshlrev_b32_e32 v44, 16, v24
	v_bfrev_b32_e32 v45, 60
	v_lshlrev_b32_e32 v43, 20, v43
	v_and_b32_e32 v44, 0x80000000, v44
	v_lshl_add_u32 v22, v22, 23, v45
	v_or3_b32 v43, v44, v22, v43
.LBB565_357:
	s_or_b64 exec, exec, s[10:11]
.LBB565_358:
	s_or_b64 exec, exec, s[8:9]
.LBB565_359:
	s_or_b64 exec, exec, s[2:3]
	s_movk_i32 s2, 0xff
	v_and_b32_sdwa v44, v24, s2 dst_sel:DWORD dst_unused:UNUSED_PAD src0_sel:WORD_1 src1_sel:DWORD
	v_lshrrev_b32_e32 v22, 16, v24
	v_cmp_ne_u16_e32 vcc, 0, v44
	s_and_saveexec_b64 s[2:3], vcc
	s_cbranch_execz .LBB565_365
; %bb.360:
	s_movk_i32 s8, 0x80
	v_cmp_ne_u16_e32 vcc, s8, v44
	v_bfrev_b32_e32 v23, 1
	s_and_saveexec_b64 s[8:9], vcc
	s_cbranch_execz .LBB565_364
; %bb.361:
	v_bfe_u32 v44, v24, 16, 7
	s_movk_i32 s10, 0x7f
	v_cmp_ne_u32_e32 vcc, s10, v44
	v_mov_b32_e32 v23, 0x7f800001
	s_and_saveexec_b64 s[10:11], vcc
	s_cbranch_execz .LBB565_363
; %bb.362:
	v_and_b32_e32 v45, 7, v22
	v_ffbh_u32_e32 v23, v45
	v_min_u32_e32 v51, 32, v23
	v_subrev_u32_e32 v23, 28, v51
	v_lshlrev_b64 v[22:23], v23, v[22:23]
	v_lshrrev_b32_e32 v50, 3, v44
	v_sub_u32_e32 v23, 29, v51
	v_and_b32_e32 v22, 7, v22
	v_cmp_gt_u32_e32 vcc, 8, v44
	v_mov_b32_e32 v44, 24
	v_cndmask_b32_e32 v23, v50, v23, vcc
	v_cndmask_b32_e32 v22, v45, v22, vcc
	v_lshlrev_b32_sdwa v44, v44, v24 dst_sel:DWORD dst_unused:UNUSED_PAD src0_sel:DWORD src1_sel:WORD_1
	v_bfrev_b32_e32 v45, 60
	v_lshlrev_b32_e32 v22, 20, v22
	v_and_b32_e32 v44, 0x80000000, v44
	v_lshl_add_u32 v23, v23, 23, v45
	v_or3_b32 v23, v44, v23, v22
.LBB565_363:
	s_or_b64 exec, exec, s[10:11]
.LBB565_364:
	s_or_b64 exec, exec, s[8:9]
.LBB565_365:
	s_or_b64 exec, exec, s[2:3]
	s_mov_b32 s2, 0xffffff
	v_cmp_lt_u32_e32 vcc, s2, v24
	v_mov_b32_e32 v44, 0
	v_mov_b32_e32 v45, 0
	s_and_saveexec_b64 s[2:3], vcc
	s_cbranch_execz .LBB565_371
; %bb.366:
	v_lshrrev_b32_e32 v22, 24, v24
	s_movk_i32 s8, 0x80
	v_cmp_ne_u32_e32 vcc, s8, v22
	v_bfrev_b32_e32 v45, 1
	s_and_saveexec_b64 s[8:9], vcc
	s_cbranch_execz .LBB565_370
; %bb.367:
	v_bfe_u32 v24, v24, 24, 7
	s_movk_i32 s10, 0x7f
	v_cmp_ne_u32_e32 vcc, s10, v24
	v_mov_b32_e32 v45, 0x7f800001
	s_and_saveexec_b64 s[10:11], vcc
	s_cbranch_execz .LBB565_369
; %bb.368:
	v_and_b32_e32 v45, 7, v22
	v_ffbh_u32_e32 v50, v45
	v_min_u32_e32 v53, 32, v50
	v_subrev_u32_e32 v50, 28, v53
	v_lshlrev_b64 v[50:51], v50, v[22:23]
	v_lshrrev_b32_e32 v52, 3, v24
	v_sub_u32_e32 v51, 29, v53
	v_and_b32_e32 v50, 7, v50
	v_cmp_gt_u32_e32 vcc, 8, v24
	v_cndmask_b32_e32 v24, v52, v51, vcc
	v_cndmask_b32_e32 v45, v45, v50, vcc
	v_lshlrev_b32_e32 v22, 24, v22
	v_bfrev_b32_e32 v50, 60
	v_lshlrev_b32_e32 v45, 20, v45
	v_and_b32_e32 v22, 0x80000000, v22
	v_lshl_add_u32 v24, v24, 23, v50
	v_or3_b32 v45, v22, v24, v45
.LBB565_369:
	s_or_b64 exec, exec, s[10:11]
.LBB565_370:
	s_or_b64 exec, exec, s[8:9]
.LBB565_371:
	s_or_b64 exec, exec, s[2:3]
	v_cmp_ne_u16_sdwa s[8:9], v25, v44 src0_sel:BYTE_0 src1_sel:DWORD
	s_and_saveexec_b64 s[2:3], s[8:9]
	s_cbranch_execz .LBB565_377
; %bb.372:
	s_movk_i32 s8, 0x80
	v_cmp_ne_u16_sdwa s[10:11], v25, s8 src0_sel:BYTE_0 src1_sel:DWORD
	v_bfrev_b32_e32 v44, 1
	s_and_saveexec_b64 s[8:9], s[10:11]
	s_cbranch_execz .LBB565_376
; %bb.373:
	s_movk_i32 s10, 0x7f
	v_and_b32_e32 v22, 0x7f, v25
	v_cmp_ne_u32_e32 vcc, s10, v22
	v_mov_b32_e32 v44, 0x7f800001
	s_and_saveexec_b64 s[10:11], vcc
	s_cbranch_execz .LBB565_375
; %bb.374:
	v_and_b32_e32 v44, 7, v25
	v_ffbh_u32_e32 v50, v44
	v_min_u32_e32 v53, 32, v50
	v_mov_b32_e32 v24, v25
	v_subrev_u32_e32 v50, 28, v53
	v_lshlrev_b64 v[50:51], v50, v[24:25]
	v_lshrrev_b32_e32 v52, 3, v22
	v_sub_u32_e32 v24, 29, v53
	v_and_b32_e32 v50, 7, v50
	v_cmp_gt_u32_e32 vcc, 8, v22
	v_cndmask_b32_e32 v22, v52, v24, vcc
	v_cndmask_b32_e32 v24, v44, v50, vcc
	v_lshlrev_b32_e32 v44, 24, v25
	v_bfrev_b32_e32 v50, 60
	v_lshlrev_b32_e32 v24, 20, v24
	v_and_b32_e32 v44, 0x80000000, v44
	v_lshl_add_u32 v22, v22, 23, v50
	v_or3_b32 v44, v44, v22, v24
.LBB565_375:
	s_or_b64 exec, exec, s[10:11]
.LBB565_376:
	s_or_b64 exec, exec, s[8:9]
.LBB565_377:
	s_or_b64 exec, exec, s[2:3]
	v_lshrrev_b16_e32 v22, 8, v25
	v_cmp_ne_u16_e32 vcc, 0, v22
	v_mov_b32_e32 v24, 0
	v_mov_b32_e32 v51, 0
	s_and_saveexec_b64 s[2:3], vcc
	s_cbranch_execz .LBB565_383
; %bb.378:
	s_movk_i32 s8, 0x80
	v_cmp_ne_u16_e32 vcc, s8, v22
	v_bfrev_b32_e32 v51, 1
	s_and_saveexec_b64 s[8:9], vcc
	s_cbranch_execz .LBB565_382
; %bb.379:
	s_movk_i32 s10, 0x7f
	v_and_b32_e32 v50, 0x7f, v22
	v_cmp_ne_u32_e32 vcc, s10, v50
	v_mov_b32_e32 v51, 0x7f800001
	s_and_saveexec_b64 s[10:11], vcc
	s_cbranch_execz .LBB565_381
; %bb.380:
	v_and_b32_e32 v51, 7, v22
	v_ffbh_u32_e32 v52, v51
	v_min_u32_e32 v55, 32, v52
	v_subrev_u32_e32 v52, 28, v55
	v_lshlrev_b64 v[52:53], v52, v[22:23]
	v_lshrrev_b32_e32 v54, 3, v50
	v_sub_u32_e32 v22, 29, v55
	v_and_b32_e32 v52, 7, v52
	v_cmp_gt_u32_e32 vcc, 8, v50
	v_cndmask_b32_e32 v22, v54, v22, vcc
	v_cndmask_b32_e32 v50, v51, v52, vcc
	v_lshlrev_b32_e32 v51, 16, v25
	v_bfrev_b32_e32 v52, 60
	v_lshlrev_b32_e32 v50, 20, v50
	v_and_b32_e32 v51, 0x80000000, v51
	v_lshl_add_u32 v22, v22, 23, v52
	v_or3_b32 v51, v51, v22, v50
.LBB565_381:
	s_or_b64 exec, exec, s[10:11]
.LBB565_382:
	s_or_b64 exec, exec, s[8:9]
.LBB565_383:
	s_or_b64 exec, exec, s[2:3]
	s_movk_i32 s2, 0xff
	v_and_b32_sdwa v50, v25, s2 dst_sel:DWORD dst_unused:UNUSED_PAD src0_sel:WORD_1 src1_sel:DWORD
	v_lshrrev_b32_e32 v22, 16, v25
	v_cmp_ne_u16_e32 vcc, 0, v50
	s_and_saveexec_b64 s[2:3], vcc
	s_cbranch_execz .LBB565_389
; %bb.384:
	s_movk_i32 s8, 0x80
	v_cmp_ne_u16_e32 vcc, s8, v50
	v_bfrev_b32_e32 v24, 1
	s_and_saveexec_b64 s[8:9], vcc
	s_cbranch_execz .LBB565_388
; %bb.385:
	v_bfe_u32 v50, v25, 16, 7
	s_movk_i32 s10, 0x7f
	v_cmp_ne_u32_e32 vcc, s10, v50
	v_mov_b32_e32 v24, 0x7f800001
	s_and_saveexec_b64 s[10:11], vcc
	s_cbranch_execz .LBB565_387
; %bb.386:
	v_and_b32_e32 v24, 7, v22
	v_ffbh_u32_e32 v52, v24
	v_min_u32_e32 v55, 32, v52
	v_subrev_u32_e32 v52, 28, v55
	v_lshlrev_b64 v[52:53], v52, v[22:23]
	v_lshrrev_b32_e32 v54, 3, v50
	v_sub_u32_e32 v22, 29, v55
	v_and_b32_e32 v52, 7, v52
	v_cmp_gt_u32_e32 vcc, 8, v50
	v_mov_b32_e32 v50, 24
	v_cndmask_b32_e32 v22, v54, v22, vcc
	v_cndmask_b32_e32 v24, v24, v52, vcc
	v_lshlrev_b32_sdwa v50, v50, v25 dst_sel:DWORD dst_unused:UNUSED_PAD src0_sel:DWORD src1_sel:WORD_1
	v_bfrev_b32_e32 v52, 60
	v_lshlrev_b32_e32 v24, 20, v24
	v_and_b32_e32 v50, 0x80000000, v50
	v_lshl_add_u32 v22, v22, 23, v52
	v_or3_b32 v24, v50, v22, v24
.LBB565_387:
	s_or_b64 exec, exec, s[10:11]
.LBB565_388:
	s_or_b64 exec, exec, s[8:9]
.LBB565_389:
	s_or_b64 exec, exec, s[2:3]
	s_mov_b32 s2, 0xffffff
	v_and_b32_e32 v50, 63, v0
	v_cmp_lt_u32_e32 vcc, s2, v25
	v_mov_b32_e32 v52, 0
	s_and_saveexec_b64 s[2:3], vcc
	s_cbranch_execz .LBB565_395
; %bb.390:
	v_lshrrev_b32_e32 v22, 24, v25
	s_movk_i32 s8, 0x80
	v_cmp_ne_u32_e32 vcc, s8, v22
	v_bfrev_b32_e32 v52, 1
	s_and_saveexec_b64 s[8:9], vcc
	s_cbranch_execz .LBB565_394
; %bb.391:
	v_bfe_u32 v25, v25, 24, 7
	s_movk_i32 s10, 0x7f
	v_cmp_ne_u32_e32 vcc, s10, v25
	v_mov_b32_e32 v52, 0x7f800001
	s_and_saveexec_b64 s[10:11], vcc
	s_cbranch_execz .LBB565_393
; %bb.392:
	v_and_b32_e32 v54, 7, v22
	v_ffbh_u32_e32 v52, v54
	v_min_u32_e32 v56, 32, v52
	v_subrev_u32_e32 v52, 28, v56
	v_lshlrev_b64 v[52:53], v52, v[22:23]
	v_lshrrev_b32_e32 v55, 3, v25
	v_sub_u32_e32 v53, 29, v56
	v_and_b32_e32 v52, 7, v52
	v_cmp_gt_u32_e32 vcc, 8, v25
	v_cndmask_b32_e32 v25, v55, v53, vcc
	v_cndmask_b32_e32 v52, v54, v52, vcc
	v_lshlrev_b32_e32 v22, 24, v22
	v_bfrev_b32_e32 v53, 60
	v_lshlrev_b32_e32 v52, 20, v52
	v_and_b32_e32 v22, 0x80000000, v22
	v_lshl_add_u32 v25, v25, 23, v53
	v_or3_b32 v52, v22, v25, v52
.LBB565_393:
	s_or_b64 exec, exec, s[10:11]
.LBB565_394:
	s_or_b64 exec, exec, s[8:9]
.LBB565_395:
	s_or_b64 exec, exec, s[2:3]
	v_cvt_pkrtz_f16_f32 v42, v42, v43
	v_cvt_pkrtz_f16_f32 v43, v23, v45
	s_load_dword s2, s[4:5], 0x1c
	s_mov_b32 s46, 0xff7fffff
	s_waitcnt lgkmcnt(0)
	v_mfma_f32_16x16x16f16 v[26:29], v[42:43], v[18:19], v[26:29]
	v_cvt_pkrtz_f16_f32 v18, v44, v51
	v_cvt_pkrtz_f16_f32 v19, v24, v52
	v_and_b32_e32 v24, 0xc0, v0
	v_mov_b32_e32 v22, s2
	v_add_u32_e32 v24, s20, v24
	v_mul_f32_e32 v54, s12, v22
	v_lshl_or_b32 v42, v1, 2, v24
	v_mfma_f32_16x16x16f16 v[18:21], v[18:19], v[20:21], v[26:29]
	v_pk_mul_f32 v[22:23], v[54:55], v[36:37] op_sel_hi:[0,1]
	v_pk_mul_f32 v[36:37], v[54:55], v[40:41] op_sel_hi:[0,1]
	v_pk_mul_f32 v[40:41], v[54:55], v[32:33] op_sel_hi:[0,1]
	v_pk_mul_f32 v[30:31], v[54:55], v[30:31] op_sel_hi:[0,1]
	v_mov_b32_e32 v43, 0xff7fffff
	v_cmp_gt_i32_e64 s[26:27], s33, v42
	v_pk_mul_f32 v[38:39], v[54:55], v[38:39] op_sel_hi:[0,1]
	s_nop 3
	v_pk_mul_f32 v[32:33], v[54:55], v[18:19] op_sel_hi:[0,1]
	v_or_b32_e32 v19, 1, v42
	v_cmp_gt_i32_e64 s[28:29], s33, v19
	v_cndmask_b32_e64 v18, v43, v30, s[26:27]
	v_cndmask_b32_e64 v19, v43, v31, s[28:29]
	v_pk_mul_f32 v[24:25], v[54:55], v[20:21] op_sel_hi:[0,1]
	v_max3_f32 v18, v18, s46, v19
	v_or_b32_e32 v19, 2, v42
	v_or_b32_e32 v20, 3, v42
	v_cmp_gt_i32_e64 s[30:31], s33, v19
	v_cmp_gt_i32_e64 s[34:35], s33, v20
	v_cndmask_b32_e64 v19, v43, v40, s[30:31]
	v_cndmask_b32_e64 v20, v43, v41, s[34:35]
	v_max3_f32 v18, v18, v19, v20
	v_or_b32_e32 v19, 16, v42
	v_or_b32_e32 v20, 17, v42
	v_cmp_gt_i32_e64 s[36:37], s33, v19
	v_cmp_gt_i32_e64 s[38:39], s33, v20
	v_cndmask_b32_e64 v19, v43, v38, s[36:37]
	v_cndmask_b32_e64 v20, v43, v39, s[38:39]
	;; [unrolled: 7-line block ×3, first 2 shown]
	v_max3_f32 v18, v18, v19, v20
	v_or_b32_e32 v19, 32, v42
	v_or_b32_e32 v20, 33, v42
	v_pk_mul_f32 v[34:35], v[54:55], v[34:35] op_sel_hi:[0,1]
	v_cmp_gt_i32_e64 s[16:17], s33, v19
	v_cmp_gt_i32_e64 s[18:19], s33, v20
	v_cndmask_b32_e64 v19, v43, v34, s[16:17]
	v_cndmask_b32_e64 v20, v43, v35, s[18:19]
	v_max3_f32 v18, v18, v19, v20
	v_or_b32_e32 v19, 34, v42
	v_or_b32_e32 v20, 35, v42
	v_cmp_gt_i32_e64 s[12:13], s33, v19
	v_cmp_gt_i32_e64 s[14:15], s33, v20
	v_cndmask_b32_e64 v19, v43, v22, s[12:13]
	v_cndmask_b32_e64 v20, v43, v23, s[14:15]
	v_max3_f32 v18, v18, v19, v20
	v_or_b32_e32 v19, 48, v42
	v_or_b32_e32 v20, 49, v42
	;; [unrolled: 7-line block ×3, first 2 shown]
	v_cmp_gt_i32_e32 vcc, s33, v19
	v_cmp_gt_i32_e64 s[2:3], s33, v20
	v_cndmask_b32_e32 v19, v43, v24, vcc
	v_cndmask_b32_e64 v20, v43, v25, s[2:3]
	v_max3_f32 v18, v18, v19, v20
	v_mbcnt_lo_u32_b32 v19, -1, 0
	v_mbcnt_hi_u32_b32 v19, -1, v19
	v_and_b32_e32 v20, 64, v19
	v_add_u32_e32 v20, 64, v20
	v_xor_b32_e32 v21, 32, v19
	v_cmp_lt_i32_e64 s[40:41], v21, v20
	v_cndmask_b32_e64 v21, v19, v21, s[40:41]
	v_lshlrev_b32_e32 v43, 2, v21
	ds_bpermute_b32 v21, v43, v18
	s_barrier
	s_waitcnt lgkmcnt(0)
	v_max_f32_e32 v21, v21, v21
	v_max_f32_e32 v18, v18, v21
	v_xor_b32_e32 v21, 16, v19
	v_cmp_lt_i32_e64 s[40:41], v21, v20
	v_cndmask_b32_e64 v19, v19, v21, s[40:41]
	v_lshlrev_b32_e32 v44, 2, v19
	ds_bpermute_b32 v19, v44, v18
	s_waitcnt lgkmcnt(0)
	v_max_f32_e32 v19, v19, v19
	v_max_f32_e32 v42, v18, v19
	v_sub_f32_e32 v21, v40, v42
	v_sub_f32_e32 v26, v41, v42
	v_mul_f32_e32 v21, 0x3fb8aa3b, v21
	v_mul_f32_e32 v26, 0x3fb8aa3b, v26
	v_sub_f32_e32 v18, v30, v42
	v_exp_f32_e32 v21, v21
	v_exp_f32_e32 v26, v26
	v_mul_f32_e32 v18, 0x3fb8aa3b, v18
	v_sub_f32_e32 v19, v31, v42
	v_exp_f32_e32 v18, v18
	v_mul_f32_e32 v19, 0x3fb8aa3b, v19
	v_exp_f32_e32 v19, v19
	v_cndmask_b32_e64 v28, 0, v21, s[30:31]
	v_cndmask_b32_e64 v29, 0, v26, s[34:35]
	v_sub_f32_e32 v21, v38, v42
	v_sub_f32_e32 v26, v39, v42
	v_mul_f32_e32 v21, 0x3fb8aa3b, v21
	v_mul_f32_e32 v26, 0x3fb8aa3b, v26
	v_cndmask_b32_e64 v18, 0, v18, s[26:27]
	v_exp_f32_e32 v21, v21
	v_exp_f32_e32 v26, v26
	v_add_f32_e32 v20, 0, v18
	v_cndmask_b32_e64 v19, 0, v19, s[28:29]
	v_add_f32_e32 v20, v20, v19
	v_add_f32_e32 v20, v20, v28
	;; [unrolled: 1-line block ×3, first 2 shown]
	v_cndmask_b32_e64 v20, 0, v21, s[36:37]
	v_cndmask_b32_e64 v21, 0, v26, s[38:39]
	v_sub_f32_e32 v26, v36, v42
	v_mul_f32_e32 v26, 0x3fb8aa3b, v26
	v_exp_f32_e32 v26, v26
	v_sub_f32_e32 v30, v37, v42
	v_add_f32_e32 v27, v27, v20
	v_mul_f32_e32 v30, 0x3fb8aa3b, v30
	v_exp_f32_e32 v31, v30
	v_add_f32_e32 v27, v27, v21
	v_cndmask_b32_e64 v30, 0, v26, s[20:21]
	v_add_f32_e32 v26, v27, v30
	v_sub_f32_e32 v27, v34, v42
	v_mul_f32_e32 v27, 0x3fb8aa3b, v27
	v_sub_f32_e32 v34, v35, v42
	v_exp_f32_e32 v27, v27
	v_mul_f32_e32 v34, 0x3fb8aa3b, v34
	v_sub_f32_e32 v22, v22, v42
	v_exp_f32_e32 v34, v34
	;; [unrolled: 3-line block ×3, first 2 shown]
	v_mul_f32_e32 v23, 0x3fb8aa3b, v23
	v_cndmask_b32_e64 v31, 0, v31, s[22:23]
	v_exp_f32_e32 v23, v23
	v_add_f32_e32 v35, v26, v31
	v_cndmask_b32_e64 v26, 0, v27, s[16:17]
	v_add_f32_e32 v35, v35, v26
	v_cndmask_b32_e64 v27, 0, v34, s[18:19]
	;; [unrolled: 2-line block ×4, first 2 shown]
	v_sub_f32_e32 v23, v32, v42
	v_mul_f32_e32 v23, 0x3fb8aa3b, v23
	v_sub_f32_e32 v32, v33, v42
	v_exp_f32_e32 v23, v23
	v_mul_f32_e32 v32, 0x3fb8aa3b, v32
	v_sub_f32_e32 v24, v24, v42
	v_exp_f32_e32 v32, v32
	;; [unrolled: 3-line block ×3, first 2 shown]
	v_mul_f32_e32 v25, 0x3fb8aa3b, v25
	v_exp_f32_e32 v25, v25
	v_add_f32_e32 v33, v22, v35
	v_cndmask_b32_e64 v22, 0, v23, s[8:9]
	v_add_f32_e32 v33, v33, v22
	v_cndmask_b32_e64 v23, 0, v32, s[10:11]
	v_add_f32_e32 v32, v33, v23
	v_cndmask_b32_e32 v24, 0, v24, vcc
	v_add_f32_e32 v32, v32, v24
	v_cndmask_b32_e64 v25, 0, v25, s[2:3]
	v_add_f32_e32 v32, v32, v25
	ds_bpermute_b32 v33, v43, v32
	v_cmp_gt_u32_e32 vcc, 16, v50
	s_waitcnt lgkmcnt(0)
	v_add_f32_e32 v33, v32, v33
	ds_bpermute_b32 v36, v44, v33
	v_lshlrev_b32_e32 v32, 2, v49
	s_and_saveexec_b64 s[2:3], vcc
	s_cbranch_execz .LBB565_397
; %bb.396:
	s_waitcnt lgkmcnt(0)
	v_add_f32_e32 v33, v33, v36
	v_lshl_or_b32 v36, v48, 6, v32
	ds_write2st64_b32 v36, v42, v33 offset1:1
.LBB565_397:
	s_or_b64 exec, exec, s[2:3]
	s_waitcnt lgkmcnt(0)
	s_barrier
	ds_read2_b32 v[36:37], v32 offset1:16
	ds_read2_b32 v[38:39], v32 offset0:32 offset1:48
	ds_read2_b32 v[40:41], v32 offset0:64 offset1:80
	;; [unrolled: 1-line block ×3, first 2 shown]
	s_waitcnt lgkmcnt(0)
	v_max3_f32 v33, v36, s46, v37
	v_max3_f32 v33, v33, v38, v39
	v_sub_f32_e32 v36, v36, v33
	v_mul_f32_e32 v36, 0x3fb8aa3b, v36
	v_exp_f32_e32 v44, v36
	v_sub_f32_e32 v36, v37, v33
	v_mul_f32_e32 v36, 0x3fb8aa3b, v36
	v_exp_f32_e32 v37, v36
	v_sub_f32_e32 v36, v38, v33
	v_mul_f32_e32 v36, 0x3fb8aa3b, v36
	v_sub_f32_e32 v32, v39, v33
	v_exp_f32_e32 v38, v36
	v_mul_f32_e32 v32, 0x3fb8aa3b, v32
	v_exp_f32_e32 v39, v32
	v_fma_f32 v36, v44, v40, 0
	v_fmac_f32_e32 v36, v37, v41
	v_fmac_f32_e32 v36, v38, v42
	;; [unrolled: 1-line block ×3, first 2 shown]
	v_add_f32_e32 v40, 0x358637bd, v36
	v_div_scale_f32 v41, s[2:3], v40, v40, 1.0
	v_rcp_f32_e32 v42, v41
	s_barrier
	s_lshl_b32 s12, s45, 3
	v_fma_f32 v43, -v41, v42, 1.0
	v_fmac_f32_e32 v42, v43, v42
	v_div_scale_f32 v43, vcc, 1.0, v40, 1.0
	v_mul_f32_e32 v45, v43, v42
	v_fma_f32 v50, -v41, v45, v43
	v_fmac_f32_e32 v45, v50, v42
	v_fma_f32 v41, -v41, v45, v43
	v_div_fmas_f32 v41, v41, v42, v45
	v_cmp_eq_u32_e32 vcc, 1, v48
	v_cndmask_b32_e32 v37, v44, v37, vcc
	v_cmp_eq_u32_e32 vcc, 2, v48
	v_cndmask_b32_e32 v37, v37, v38, vcc
	v_cmp_eq_u32_e32 vcc, 3, v48
	v_div_fixup_f32 v40, v41, v40, 1.0
	v_cndmask_b32_e32 v37, v37, v39, vcc
	v_mul_f32_e32 v38, v37, v40
	v_pk_mul_f32 v[28:29], v[38:39], v[28:29] op_sel_hi:[0,1]
	v_cvt_f16_f32_e32 v28, v28
	v_cvt_f16_f32_e32 v29, v29
	v_pk_mul_f32 v[18:19], v[38:39], v[18:19] op_sel_hi:[0,1]
	v_cvt_f16_f32_e32 v18, v18
	v_cvt_f16_f32_e32 v19, v19
	v_pack_b32_f16 v41, v28, v29
	v_pk_mul_f32 v[28:29], v[38:39], v[30:31] op_sel_hi:[0,1]
	v_pk_mul_f32 v[20:21], v[38:39], v[20:21] op_sel_hi:[0,1]
	v_cvt_f16_f32_e32 v20, v20
	v_cvt_f16_f32_e32 v21, v21
	;; [unrolled: 1-line block ×4, first 2 shown]
	v_pack_b32_f16 v40, v18, v19
	v_lshlrev_b32_e32 v18, 3, v1
	v_lshlrev_b32_e32 v19, 5, v49
	;; [unrolled: 1-line block ×3, first 2 shown]
	v_or3_b32 v28, v28, v19, v18
	v_pack_b32_f16 v20, v20, v21
	v_pack_b32_f16 v21, v30, v29
	ds_write2st64_b64 v28, v[40:41], v[20:21] offset1:1
	v_pk_mul_f32 v[20:21], v[38:39], v[34:35] op_sel_hi:[0,1]
	v_pk_mul_f32 v[26:27], v[38:39], v[26:27] op_sel_hi:[0,1]
	v_cvt_f16_f32_e32 v18, v26
	v_cvt_f16_f32_e32 v26, v27
	;; [unrolled: 1-line block ×4, first 2 shown]
	v_pk_mul_f32 v[20:21], v[38:39], v[24:25] op_sel_hi:[0,1]
	v_pk_mul_f32 v[22:23], v[38:39], v[22:23] op_sel_hi:[0,1]
	v_cvt_f16_f32_e32 v22, v22
	v_cvt_f16_f32_e32 v23, v23
	;; [unrolled: 1-line block ×4, first 2 shown]
	v_mov_b32_e32 v32, 0
	v_pack_b32_f16 v20, v18, v26
	v_pack_b32_f16 v21, v27, v29
	;; [unrolled: 1-line block ×4, first 2 shown]
	v_cmp_gt_u32_e32 vcc, 8, v0
	ds_write2st64_b64 v28, v[20:21], v[22:23] offset0:2 offset1:3
	s_and_saveexec_b64 s[2:3], vcc
	s_cbranch_execz .LBB565_399
; %bb.398:
	v_or_b32_e32 v20, s25, v0
	v_mov_b32_e32 v21, 0
	v_mov_b32_e32 v18, s12
	v_mad_u64_u32 v[22:23], s[14:15], s6, v18, v[20:21]
	v_mov_b32_e32 v20, s24
	s_load_dwordx4 s[8:11], s[4:5], 0x58
	s_mul_i32 s7, s7, s12
	v_mad_u64_u32 v[20:21], s[14:15], v22, s44, v[20:21]
	v_add_u32_e32 v23, s7, v23
	v_mov_b32_e32 v18, v21
	v_mad_u64_u32 v[22:23], s[14:15], v23, s44, v[18:19]
	v_mov_b32_e32 v21, v22
	v_lshlrev_b64 v[20:21], 2, v[20:21]
	s_waitcnt lgkmcnt(0)
	v_mov_b32_e32 v18, s11
	v_add_co_u32_e32 v22, vcc, s10, v20
	v_addc_co_u32_e32 v23, vcc, v18, v21, vcc
	v_mov_b32_e32 v18, s9
	v_add_co_u32_e32 v20, vcc, s8, v20
	v_addc_co_u32_e32 v21, vcc, v18, v21, vcc
	global_store_dword v[22:23], v33, off
	global_store_dword v[20:21], v36, off
.LBB565_399:
	s_or_b64 exec, exec, s[2:3]
	v_mov_b32_e32 v20, 0
	s_waitcnt vmcnt(3)
	v_cmp_ne_u16_sdwa s[8:9], v14, v20 src0_sel:BYTE_0 src1_sel:DWORD
	s_waitcnt lgkmcnt(0)
	s_barrier
	s_and_saveexec_b64 s[2:3], s[8:9]
	s_cbranch_execz .LBB565_405
; %bb.400:
	s_movk_i32 s7, 0x80
	v_cmp_ne_u16_sdwa s[10:11], v14, s7 src0_sel:BYTE_0 src1_sel:DWORD
	v_bfrev_b32_e32 v32, 1
	s_and_saveexec_b64 s[8:9], s[10:11]
	s_cbranch_execz .LBB565_404
; %bb.401:
	s_movk_i32 s7, 0x7f
	v_and_b32_e32 v18, 0x7f, v14
	v_cmp_ne_u32_e32 vcc, s7, v18
	v_mov_b32_e32 v32, 0x7f800001
	s_and_saveexec_b64 s[10:11], vcc
	s_cbranch_execz .LBB565_403
; %bb.402:
	v_and_b32_e32 v21, 7, v14
	v_ffbh_u32_e32 v22, v21
	v_min_u32_e32 v25, 32, v22
	v_subrev_u32_e32 v22, 28, v25
	v_lshlrev_b64 v[22:23], v22, v[14:15]
	v_lshrrev_b32_e32 v24, 3, v18
	v_sub_u32_e32 v23, 29, v25
	v_and_b32_e32 v22, 7, v22
	v_cmp_gt_u32_e32 vcc, 8, v18
	v_cndmask_b32_e32 v18, v24, v23, vcc
	v_cndmask_b32_e32 v21, v21, v22, vcc
	v_lshlrev_b32_e32 v22, 24, v14
	v_bfrev_b32_e32 v23, 60
	v_lshlrev_b32_e32 v21, 20, v21
	v_and_b32_e32 v22, 0x80000000, v22
	v_lshl_add_u32 v18, v18, 23, v23
	v_or3_b32 v32, v22, v18, v21
.LBB565_403:
	s_or_b64 exec, exec, s[10:11]
.LBB565_404:
	s_or_b64 exec, exec, s[8:9]
.LBB565_405:
	s_or_b64 exec, exec, s[2:3]
	v_lshrrev_b16_e32 v18, 8, v14
	v_cmp_ne_u16_e32 vcc, 0, v18
	v_mov_b32_e32 v21, 0
	s_and_saveexec_b64 s[2:3], vcc
	s_cbranch_execz .LBB565_411
; %bb.406:
	s_movk_i32 s7, 0x80
	v_cmp_ne_u16_e32 vcc, s7, v18
	v_bfrev_b32_e32 v21, 1
	s_and_saveexec_b64 s[8:9], vcc
	s_cbranch_execz .LBB565_410
; %bb.407:
	s_movk_i32 s7, 0x7f
	v_and_b32_e32 v22, 0x7f, v18
	v_cmp_ne_u32_e32 vcc, s7, v22
	v_mov_b32_e32 v21, 0x7f800001
	s_and_saveexec_b64 s[10:11], vcc
	s_cbranch_execz .LBB565_409
; %bb.408:
	v_and_b32_e32 v21, 7, v18
	v_ffbh_u32_e32 v24, v21
	v_min_u32_e32 v26, 32, v24
	v_subrev_u32_e32 v24, 28, v26
	v_lshlrev_b64 v[24:25], v24, v[18:19]
	v_lshrrev_b32_e32 v23, 3, v22
	v_sub_u32_e32 v18, 29, v26
	v_and_b32_e32 v24, 7, v24
	v_cmp_gt_u32_e32 vcc, 8, v22
	v_cndmask_b32_e32 v18, v23, v18, vcc
	v_cndmask_b32_e32 v21, v21, v24, vcc
	v_lshlrev_b32_e32 v22, 16, v14
	v_bfrev_b32_e32 v23, 60
	v_lshlrev_b32_e32 v21, 20, v21
	v_and_b32_e32 v22, 0x80000000, v22
	v_lshl_add_u32 v18, v18, 23, v23
	v_or3_b32 v21, v22, v18, v21
.LBB565_409:
	s_or_b64 exec, exec, s[10:11]
.LBB565_410:
	s_or_b64 exec, exec, s[8:9]
.LBB565_411:
	s_or_b64 exec, exec, s[2:3]
	s_movk_i32 s2, 0xff
	v_and_b32_sdwa v22, v14, s2 dst_sel:DWORD dst_unused:UNUSED_PAD src0_sel:WORD_1 src1_sel:DWORD
	v_lshrrev_b32_e32 v18, 16, v14
	v_cmp_ne_u16_e32 vcc, 0, v22
	s_and_saveexec_b64 s[2:3], vcc
	s_cbranch_execz .LBB565_417
; %bb.412:
	s_movk_i32 s7, 0x80
	v_cmp_ne_u16_e32 vcc, s7, v22
	v_bfrev_b32_e32 v20, 1
	s_and_saveexec_b64 s[8:9], vcc
	s_cbranch_execz .LBB565_416
; %bb.413:
	v_bfe_u32 v22, v14, 16, 7
	s_movk_i32 s7, 0x7f
	v_cmp_ne_u32_e32 vcc, s7, v22
	v_mov_b32_e32 v20, 0x7f800001
	s_and_saveexec_b64 s[10:11], vcc
	s_cbranch_execz .LBB565_415
; %bb.414:
	v_and_b32_e32 v20, 7, v18
	v_ffbh_u32_e32 v24, v20
	v_min_u32_e32 v26, 32, v24
	v_subrev_u32_e32 v24, 28, v26
	v_lshlrev_b64 v[24:25], v24, v[18:19]
	v_lshrrev_b32_e32 v23, 3, v22
	v_sub_u32_e32 v18, 29, v26
	v_and_b32_e32 v24, 7, v24
	v_cmp_gt_u32_e32 vcc, 8, v22
	v_mov_b32_e32 v22, 24
	v_cndmask_b32_e32 v18, v23, v18, vcc
	v_cndmask_b32_e32 v20, v20, v24, vcc
	v_lshlrev_b32_sdwa v22, v22, v14 dst_sel:DWORD dst_unused:UNUSED_PAD src0_sel:DWORD src1_sel:WORD_1
	v_bfrev_b32_e32 v23, 60
	v_lshlrev_b32_e32 v20, 20, v20
	v_and_b32_e32 v22, 0x80000000, v22
	v_lshl_add_u32 v18, v18, 23, v23
	v_or3_b32 v20, v22, v18, v20
.LBB565_415:
	s_or_b64 exec, exec, s[10:11]
.LBB565_416:
	s_or_b64 exec, exec, s[8:9]
.LBB565_417:
	s_or_b64 exec, exec, s[2:3]
	s_mov_b32 s2, 0xffffff
	v_cmp_lt_u32_e32 vcc, s2, v14
	v_mov_b32_e32 v24, 0
	v_mov_b32_e32 v22, 0
	s_and_saveexec_b64 s[2:3], vcc
	s_cbranch_execz .LBB565_423
; %bb.418:
	v_lshrrev_b32_e32 v18, 24, v14
	s_movk_i32 s7, 0x80
	v_cmp_ne_u32_e32 vcc, s7, v18
	v_bfrev_b32_e32 v22, 1
	s_and_saveexec_b64 s[8:9], vcc
	s_cbranch_execz .LBB565_422
; %bb.419:
	v_bfe_u32 v14, v14, 24, 7
	s_movk_i32 s7, 0x7f
	v_cmp_ne_u32_e32 vcc, s7, v14
	v_mov_b32_e32 v22, 0x7f800001
	s_and_saveexec_b64 s[10:11], vcc
	s_cbranch_execz .LBB565_421
; %bb.420:
	v_and_b32_e32 v25, 7, v18
	v_ffbh_u32_e32 v22, v25
	v_min_u32_e32 v27, 32, v22
	v_subrev_u32_e32 v22, 28, v27
	v_lshlrev_b64 v[22:23], v22, v[18:19]
	v_lshrrev_b32_e32 v26, 3, v14
	v_sub_u32_e32 v23, 29, v27
	v_and_b32_e32 v22, 7, v22
	v_cmp_gt_u32_e32 vcc, 8, v14
	v_cndmask_b32_e32 v14, v26, v23, vcc
	v_cndmask_b32_e32 v22, v25, v22, vcc
	v_lshlrev_b32_e32 v18, 24, v18
	v_bfrev_b32_e32 v23, 60
	v_lshlrev_b32_e32 v22, 20, v22
	v_and_b32_e32 v18, 0x80000000, v18
	v_lshl_add_u32 v14, v14, 23, v23
	v_or3_b32 v22, v18, v14, v22
.LBB565_421:
	s_or_b64 exec, exec, s[10:11]
.LBB565_422:
	s_or_b64 exec, exec, s[8:9]
.LBB565_423:
	s_or_b64 exec, exec, s[2:3]
	v_cmp_ne_u16_sdwa s[8:9], v15, v24 src0_sel:BYTE_0 src1_sel:DWORD
	s_and_saveexec_b64 s[2:3], s[8:9]
	s_cbranch_execz .LBB565_429
; %bb.424:
	s_movk_i32 s7, 0x80
	v_cmp_ne_u16_sdwa s[10:11], v15, s7 src0_sel:BYTE_0 src1_sel:DWORD
	v_bfrev_b32_e32 v24, 1
	s_and_saveexec_b64 s[8:9], s[10:11]
	s_cbranch_execz .LBB565_428
; %bb.425:
	s_movk_i32 s7, 0x7f
	v_and_b32_e32 v14, 0x7f, v15
	v_cmp_ne_u32_e32 vcc, s7, v14
	v_mov_b32_e32 v24, 0x7f800001
	s_and_saveexec_b64 s[10:11], vcc
	s_cbranch_execz .LBB565_427
; %bb.426:
	v_and_b32_e32 v23, 7, v15
	v_ffbh_u32_e32 v24, v23
	v_min_u32_e32 v27, 32, v24
	v_mov_b32_e32 v18, v15
	v_subrev_u32_e32 v24, 28, v27
	v_lshlrev_b64 v[24:25], v24, v[18:19]
	v_lshrrev_b32_e32 v26, 3, v14
	v_sub_u32_e32 v18, 29, v27
	v_and_b32_e32 v24, 7, v24
	v_cmp_gt_u32_e32 vcc, 8, v14
	v_cndmask_b32_e32 v14, v26, v18, vcc
	v_cndmask_b32_e32 v18, v23, v24, vcc
	v_lshlrev_b32_e32 v23, 24, v15
	v_bfrev_b32_e32 v24, 60
	v_lshlrev_b32_e32 v18, 20, v18
	v_and_b32_e32 v23, 0x80000000, v23
	v_lshl_add_u32 v14, v14, 23, v24
	v_or3_b32 v24, v23, v14, v18
.LBB565_427:
	s_or_b64 exec, exec, s[10:11]
.LBB565_428:
	s_or_b64 exec, exec, s[8:9]
.LBB565_429:
	s_or_b64 exec, exec, s[2:3]
	v_lshrrev_b16_e32 v14, 8, v15
	v_cmp_ne_u16_e32 vcc, 0, v14
	v_mov_b32_e32 v18, 0
	v_mov_b32_e32 v25, 0
	s_and_saveexec_b64 s[2:3], vcc
	s_cbranch_execz .LBB565_435
; %bb.430:
	s_movk_i32 s7, 0x80
	v_cmp_ne_u16_e32 vcc, s7, v14
	v_bfrev_b32_e32 v25, 1
	s_and_saveexec_b64 s[8:9], vcc
	s_cbranch_execz .LBB565_434
; %bb.431:
	s_movk_i32 s7, 0x7f
	v_and_b32_e32 v23, 0x7f, v14
	v_cmp_ne_u32_e32 vcc, s7, v23
	v_mov_b32_e32 v25, 0x7f800001
	s_and_saveexec_b64 s[10:11], vcc
	s_cbranch_execz .LBB565_433
; %bb.432:
	v_and_b32_e32 v25, 7, v14
	v_ffbh_u32_e32 v26, v25
	v_min_u32_e32 v30, 32, v26
	v_subrev_u32_e32 v26, 28, v30
	v_lshlrev_b64 v[26:27], v26, v[14:15]
	v_lshrrev_b32_e32 v29, 3, v23
	v_sub_u32_e32 v14, 29, v30
	v_and_b32_e32 v26, 7, v26
	v_cmp_gt_u32_e32 vcc, 8, v23
	v_cndmask_b32_e32 v14, v29, v14, vcc
	v_cndmask_b32_e32 v23, v25, v26, vcc
	v_lshlrev_b32_e32 v25, 16, v15
	v_bfrev_b32_e32 v26, 60
	v_lshlrev_b32_e32 v23, 20, v23
	v_and_b32_e32 v25, 0x80000000, v25
	v_lshl_add_u32 v14, v14, 23, v26
	v_or3_b32 v25, v25, v14, v23
.LBB565_433:
	s_or_b64 exec, exec, s[10:11]
.LBB565_434:
	s_or_b64 exec, exec, s[8:9]
.LBB565_435:
	s_or_b64 exec, exec, s[2:3]
	s_movk_i32 s2, 0xff
	v_and_b32_sdwa v23, v15, s2 dst_sel:DWORD dst_unused:UNUSED_PAD src0_sel:WORD_1 src1_sel:DWORD
	v_lshrrev_b32_e32 v14, 16, v15
	v_cmp_ne_u16_e32 vcc, 0, v23
	s_and_saveexec_b64 s[2:3], vcc
	s_cbranch_execz .LBB565_441
; %bb.436:
	s_movk_i32 s7, 0x80
	v_cmp_ne_u16_e32 vcc, s7, v23
	v_bfrev_b32_e32 v18, 1
	s_and_saveexec_b64 s[8:9], vcc
	s_cbranch_execz .LBB565_440
; %bb.437:
	v_bfe_u32 v23, v15, 16, 7
	s_movk_i32 s7, 0x7f
	v_cmp_ne_u32_e32 vcc, s7, v23
	v_mov_b32_e32 v18, 0x7f800001
	s_and_saveexec_b64 s[10:11], vcc
	s_cbranch_execz .LBB565_439
; %bb.438:
	v_and_b32_e32 v18, 7, v14
	v_ffbh_u32_e32 v26, v18
	v_min_u32_e32 v30, 32, v26
	v_subrev_u32_e32 v26, 28, v30
	v_lshlrev_b64 v[26:27], v26, v[14:15]
	v_lshrrev_b32_e32 v29, 3, v23
	v_sub_u32_e32 v14, 29, v30
	v_and_b32_e32 v26, 7, v26
	v_cmp_gt_u32_e32 vcc, 8, v23
	v_mov_b32_e32 v23, 24
	v_cndmask_b32_e32 v14, v29, v14, vcc
	v_cndmask_b32_e32 v18, v18, v26, vcc
	v_lshlrev_b32_sdwa v23, v23, v15 dst_sel:DWORD dst_unused:UNUSED_PAD src0_sel:DWORD src1_sel:WORD_1
	v_bfrev_b32_e32 v26, 60
	v_lshlrev_b32_e32 v18, 20, v18
	v_and_b32_e32 v23, 0x80000000, v23
	v_lshl_add_u32 v14, v14, 23, v26
	v_or3_b32 v18, v23, v14, v18
.LBB565_439:
	s_or_b64 exec, exec, s[10:11]
.LBB565_440:
	s_or_b64 exec, exec, s[8:9]
.LBB565_441:
	s_or_b64 exec, exec, s[2:3]
	s_mov_b32 s2, 0xffffff
	v_cmp_lt_u32_e32 vcc, s2, v15
	v_mov_b32_e32 v23, 0
	v_mov_b32_e32 v26, 0
	s_and_saveexec_b64 s[2:3], vcc
	s_cbranch_execz .LBB565_447
; %bb.442:
	v_lshrrev_b32_e32 v14, 24, v15
	s_movk_i32 s7, 0x80
	v_cmp_ne_u32_e32 vcc, s7, v14
	v_bfrev_b32_e32 v26, 1
	s_and_saveexec_b64 s[8:9], vcc
	s_cbranch_execz .LBB565_446
; %bb.443:
	v_bfe_u32 v15, v15, 24, 7
	s_movk_i32 s7, 0x7f
	v_cmp_ne_u32_e32 vcc, s7, v15
	v_mov_b32_e32 v26, 0x7f800001
	s_and_saveexec_b64 s[10:11], vcc
	s_cbranch_execz .LBB565_445
; %bb.444:
	v_and_b32_e32 v29, 7, v14
	v_ffbh_u32_e32 v26, v29
	v_min_u32_e32 v31, 32, v26
	v_subrev_u32_e32 v26, 28, v31
	v_lshlrev_b64 v[26:27], v26, v[14:15]
	v_lshrrev_b32_e32 v30, 3, v15
	v_sub_u32_e32 v27, 29, v31
	v_and_b32_e32 v26, 7, v26
	v_cmp_gt_u32_e32 vcc, 8, v15
	v_cndmask_b32_e32 v15, v30, v27, vcc
	v_cndmask_b32_e32 v26, v29, v26, vcc
	v_lshlrev_b32_e32 v14, 24, v14
	v_bfrev_b32_e32 v27, 60
	v_lshlrev_b32_e32 v26, 20, v26
	v_and_b32_e32 v14, 0x80000000, v14
	v_lshl_add_u32 v15, v15, 23, v27
	v_or3_b32 v26, v14, v15, v26
.LBB565_445:
	s_or_b64 exec, exec, s[10:11]
.LBB565_446:
	s_or_b64 exec, exec, s[8:9]
.LBB565_447:
	s_or_b64 exec, exec, s[2:3]
	v_cvt_pkrtz_f16_f32 v15, v20, v22
	v_lshl_or_b32 v22, v1, 9, v19
	v_cvt_pkrtz_f16_f32 v14, v32, v21
	ds_read_b128 v[30:33], v22
	v_cmp_ne_u16_sdwa s[8:9], v16, v23 src0_sel:BYTE_0 src1_sel:DWORD
	s_waitcnt lgkmcnt(0)
	v_mfma_f32_16x16x16f16 v[34:37], v[14:15], v[30:31], 0
	v_cvt_pkrtz_f16_f32 v14, v24, v25
	v_cvt_pkrtz_f16_f32 v15, v18, v26
	s_nop 1
	v_mfma_f32_16x16x16f16 v[18:21], v[14:15], v[32:33], v[34:37]
	s_and_saveexec_b64 s[2:3], s[8:9]
	s_cbranch_execz .LBB565_453
; %bb.448:
	s_movk_i32 s7, 0x80
	v_cmp_ne_u16_sdwa s[10:11], v16, s7 src0_sel:BYTE_0 src1_sel:DWORD
	v_bfrev_b32_e32 v23, 1
	s_and_saveexec_b64 s[8:9], s[10:11]
	s_cbranch_execz .LBB565_452
; %bb.449:
	s_movk_i32 s7, 0x7f
	v_and_b32_e32 v14, 0x7f, v16
	v_cmp_ne_u32_e32 vcc, s7, v14
	v_mov_b32_e32 v23, 0x7f800001
	s_and_saveexec_b64 s[10:11], vcc
	s_cbranch_execz .LBB565_451
; %bb.450:
	v_and_b32_e32 v15, 7, v16
	v_ffbh_u32_e32 v24, v15
	v_min_u32_e32 v26, 32, v24
	v_subrev_u32_e32 v24, 28, v26
	v_lshlrev_b64 v[24:25], v24, v[16:17]
	v_lshrrev_b32_e32 v23, 3, v14
	v_sub_u32_e32 v25, 29, v26
	v_and_b32_e32 v24, 7, v24
	v_cmp_gt_u32_e32 vcc, 8, v14
	v_cndmask_b32_e32 v14, v23, v25, vcc
	v_cndmask_b32_e32 v15, v15, v24, vcc
	v_lshlrev_b32_e32 v23, 24, v16
	v_bfrev_b32_e32 v24, 60
	v_lshlrev_b32_e32 v15, 20, v15
	v_and_b32_e32 v23, 0x80000000, v23
	v_lshl_add_u32 v14, v14, 23, v24
	v_or3_b32 v23, v23, v14, v15
.LBB565_451:
	s_or_b64 exec, exec, s[10:11]
.LBB565_452:
	s_or_b64 exec, exec, s[8:9]
.LBB565_453:
	s_or_b64 exec, exec, s[2:3]
	v_lshrrev_b16_e32 v14, 8, v16
	v_cmp_ne_u16_e32 vcc, 0, v14
	v_mov_b32_e32 v15, 0
	v_mov_b32_e32 v25, 0
	s_and_saveexec_b64 s[2:3], vcc
	s_cbranch_execz .LBB565_459
; %bb.454:
	s_movk_i32 s7, 0x80
	v_cmp_ne_u16_e32 vcc, s7, v14
	v_bfrev_b32_e32 v25, 1
	s_and_saveexec_b64 s[8:9], vcc
	s_cbranch_execz .LBB565_458
; %bb.455:
	s_movk_i32 s7, 0x7f
	v_and_b32_e32 v24, 0x7f, v14
	v_cmp_ne_u32_e32 vcc, s7, v24
	v_mov_b32_e32 v25, 0x7f800001
	s_and_saveexec_b64 s[10:11], vcc
	s_cbranch_execz .LBB565_457
; %bb.456:
	v_and_b32_e32 v25, 7, v14
	v_ffbh_u32_e32 v26, v25
	v_min_u32_e32 v30, 32, v26
	v_subrev_u32_e32 v26, 28, v30
	v_lshlrev_b64 v[26:27], v26, v[14:15]
	v_lshrrev_b32_e32 v29, 3, v24
	v_sub_u32_e32 v14, 29, v30
	v_and_b32_e32 v26, 7, v26
	v_cmp_gt_u32_e32 vcc, 8, v24
	v_cndmask_b32_e32 v14, v29, v14, vcc
	v_cndmask_b32_e32 v24, v25, v26, vcc
	v_lshlrev_b32_e32 v25, 16, v16
	v_bfrev_b32_e32 v26, 60
	v_lshlrev_b32_e32 v24, 20, v24
	v_and_b32_e32 v25, 0x80000000, v25
	v_lshl_add_u32 v14, v14, 23, v26
	v_or3_b32 v25, v25, v14, v24
.LBB565_457:
	s_or_b64 exec, exec, s[10:11]
.LBB565_458:
	s_or_b64 exec, exec, s[8:9]
.LBB565_459:
	s_or_b64 exec, exec, s[2:3]
	s_movk_i32 s2, 0xff
	v_and_b32_sdwa v24, v16, s2 dst_sel:DWORD dst_unused:UNUSED_PAD src0_sel:WORD_1 src1_sel:DWORD
	v_lshrrev_b32_e32 v14, 16, v16
	v_cmp_ne_u16_e32 vcc, 0, v24
	s_and_saveexec_b64 s[2:3], vcc
	s_cbranch_execz .LBB565_465
; %bb.460:
	s_movk_i32 s7, 0x80
	v_cmp_ne_u16_e32 vcc, s7, v24
	v_bfrev_b32_e32 v15, 1
	s_and_saveexec_b64 s[8:9], vcc
	s_cbranch_execz .LBB565_464
; %bb.461:
	v_bfe_u32 v24, v16, 16, 7
	s_movk_i32 s7, 0x7f
	v_cmp_ne_u32_e32 vcc, s7, v24
	v_mov_b32_e32 v15, 0x7f800001
	s_and_saveexec_b64 s[10:11], vcc
	s_cbranch_execz .LBB565_463
; %bb.462:
	v_and_b32_e32 v26, 7, v14
	v_ffbh_u32_e32 v15, v26
	v_min_u32_e32 v29, 32, v15
	v_subrev_u32_e32 v15, 28, v29
	v_lshlrev_b64 v[14:15], v15, v[14:15]
	v_lshrrev_b32_e32 v27, 3, v24
	v_sub_u32_e32 v15, 29, v29
	v_and_b32_e32 v14, 7, v14
	v_cmp_gt_u32_e32 vcc, 8, v24
	v_mov_b32_e32 v24, 24
	v_cndmask_b32_e32 v15, v27, v15, vcc
	v_cndmask_b32_e32 v14, v26, v14, vcc
	v_lshlrev_b32_sdwa v24, v24, v16 dst_sel:DWORD dst_unused:UNUSED_PAD src0_sel:DWORD src1_sel:WORD_1
	v_bfrev_b32_e32 v26, 60
	v_lshlrev_b32_e32 v14, 20, v14
	v_and_b32_e32 v24, 0x80000000, v24
	v_lshl_add_u32 v15, v15, 23, v26
	v_or3_b32 v15, v24, v15, v14
.LBB565_463:
	s_or_b64 exec, exec, s[10:11]
.LBB565_464:
	s_or_b64 exec, exec, s[8:9]
.LBB565_465:
	s_or_b64 exec, exec, s[2:3]
	s_mov_b32 s2, 0xffffff
	v_cmp_lt_u32_e32 vcc, s2, v16
	v_mov_b32_e32 v26, 0
	v_mov_b32_e32 v27, 0
	s_and_saveexec_b64 s[2:3], vcc
	s_cbranch_execz .LBB565_471
; %bb.466:
	v_lshrrev_b32_e32 v14, 24, v16
	s_movk_i32 s7, 0x80
	v_cmp_ne_u32_e32 vcc, s7, v14
	v_bfrev_b32_e32 v27, 1
	s_and_saveexec_b64 s[8:9], vcc
	s_cbranch_execz .LBB565_470
; %bb.467:
	v_bfe_u32 v16, v16, 24, 7
	s_movk_i32 s7, 0x7f
	v_cmp_ne_u32_e32 vcc, s7, v16
	v_mov_b32_e32 v27, 0x7f800001
	s_and_saveexec_b64 s[10:11], vcc
	s_cbranch_execz .LBB565_469
; %bb.468:
	v_and_b32_e32 v24, 7, v14
	v_ffbh_u32_e32 v29, v24
	v_min_u32_e32 v29, 32, v29
	v_subrev_u32_e32 v30, 28, v29
	v_lshlrev_b64 v[30:31], v30, v[14:15]
	v_lshrrev_b32_e32 v27, 3, v16
	v_sub_u32_e32 v29, 29, v29
	v_and_b32_e32 v30, 7, v30
	v_cmp_gt_u32_e32 vcc, 8, v16
	v_cndmask_b32_e32 v16, v27, v29, vcc
	v_cndmask_b32_e32 v24, v24, v30, vcc
	v_lshlrev_b32_e32 v14, 24, v14
	v_bfrev_b32_e32 v27, 60
	v_lshlrev_b32_e32 v24, 20, v24
	v_and_b32_e32 v14, 0x80000000, v14
	v_lshl_add_u32 v16, v16, 23, v27
	v_or3_b32 v27, v14, v16, v24
.LBB565_469:
	s_or_b64 exec, exec, s[10:11]
.LBB565_470:
	s_or_b64 exec, exec, s[8:9]
.LBB565_471:
	s_or_b64 exec, exec, s[2:3]
	v_cmp_ne_u16_sdwa s[8:9], v17, v26 src0_sel:BYTE_0 src1_sel:DWORD
	s_and_saveexec_b64 s[2:3], s[8:9]
	s_cbranch_execz .LBB565_477
; %bb.472:
	s_movk_i32 s7, 0x80
	v_cmp_ne_u16_sdwa s[10:11], v17, s7 src0_sel:BYTE_0 src1_sel:DWORD
	v_bfrev_b32_e32 v26, 1
	s_and_saveexec_b64 s[8:9], s[10:11]
	s_cbranch_execz .LBB565_476
; %bb.473:
	s_movk_i32 s7, 0x7f
	v_and_b32_e32 v14, 0x7f, v17
	v_cmp_ne_u32_e32 vcc, s7, v14
	v_mov_b32_e32 v26, 0x7f800001
	s_and_saveexec_b64 s[10:11], vcc
	s_cbranch_execz .LBB565_475
; %bb.474:
	v_and_b32_e32 v24, 7, v17
	v_ffbh_u32_e32 v29, v24
	v_min_u32_e32 v29, 32, v29
	v_mov_b32_e32 v16, v17
	v_subrev_u32_e32 v30, 28, v29
	v_lshlrev_b64 v[30:31], v30, v[16:17]
	v_lshrrev_b32_e32 v26, 3, v14
	v_sub_u32_e32 v16, 29, v29
	v_and_b32_e32 v29, 7, v30
	v_cmp_gt_u32_e32 vcc, 8, v14
	v_cndmask_b32_e32 v14, v26, v16, vcc
	v_cndmask_b32_e32 v16, v24, v29, vcc
	v_lshlrev_b32_e32 v24, 24, v17
	v_bfrev_b32_e32 v26, 60
	v_lshlrev_b32_e32 v16, 20, v16
	v_and_b32_e32 v24, 0x80000000, v24
	v_lshl_add_u32 v14, v14, 23, v26
	v_or3_b32 v26, v24, v14, v16
.LBB565_475:
	s_or_b64 exec, exec, s[10:11]
.LBB565_476:
	s_or_b64 exec, exec, s[8:9]
.LBB565_477:
	s_or_b64 exec, exec, s[2:3]
	v_lshrrev_b16_e32 v14, 8, v17
	v_cmp_ne_u16_e32 vcc, 0, v14
	v_mov_b32_e32 v16, 0
	v_mov_b32_e32 v29, 0
	s_and_saveexec_b64 s[2:3], vcc
	s_cbranch_execz .LBB565_483
; %bb.478:
	s_movk_i32 s7, 0x80
	v_cmp_ne_u16_e32 vcc, s7, v14
	v_bfrev_b32_e32 v29, 1
	s_and_saveexec_b64 s[8:9], vcc
	s_cbranch_execz .LBB565_482
; %bb.479:
	s_movk_i32 s7, 0x7f
	v_and_b32_e32 v24, 0x7f, v14
	v_cmp_ne_u32_e32 vcc, s7, v24
	v_mov_b32_e32 v29, 0x7f800001
	s_and_saveexec_b64 s[10:11], vcc
	s_cbranch_execz .LBB565_481
; %bb.480:
	v_and_b32_e32 v29, 7, v14
	v_ffbh_u32_e32 v30, v29
	v_min_u32_e32 v33, 32, v30
	v_subrev_u32_e32 v30, 28, v33
	v_lshlrev_b64 v[30:31], v30, v[14:15]
	v_lshrrev_b32_e32 v32, 3, v24
	v_sub_u32_e32 v14, 29, v33
	v_and_b32_e32 v30, 7, v30
	v_cmp_gt_u32_e32 vcc, 8, v24
	v_cndmask_b32_e32 v14, v32, v14, vcc
	v_cndmask_b32_e32 v24, v29, v30, vcc
	v_lshlrev_b32_e32 v29, 16, v17
	v_bfrev_b32_e32 v30, 60
	v_lshlrev_b32_e32 v24, 20, v24
	v_and_b32_e32 v29, 0x80000000, v29
	v_lshl_add_u32 v14, v14, 23, v30
	v_or3_b32 v29, v29, v14, v24
.LBB565_481:
	s_or_b64 exec, exec, s[10:11]
.LBB565_482:
	s_or_b64 exec, exec, s[8:9]
.LBB565_483:
	s_or_b64 exec, exec, s[2:3]
	s_movk_i32 s2, 0xff
	v_and_b32_sdwa v24, v17, s2 dst_sel:DWORD dst_unused:UNUSED_PAD src0_sel:WORD_1 src1_sel:DWORD
	v_lshrrev_b32_e32 v14, 16, v17
	v_cmp_ne_u16_e32 vcc, 0, v24
	s_and_saveexec_b64 s[2:3], vcc
	s_cbranch_execz .LBB565_489
; %bb.484:
	s_movk_i32 s7, 0x80
	v_cmp_ne_u16_e32 vcc, s7, v24
	v_bfrev_b32_e32 v16, 1
	s_and_saveexec_b64 s[8:9], vcc
	s_cbranch_execz .LBB565_488
; %bb.485:
	v_bfe_u32 v24, v17, 16, 7
	s_movk_i32 s7, 0x7f
	v_cmp_ne_u32_e32 vcc, s7, v24
	v_mov_b32_e32 v16, 0x7f800001
	s_and_saveexec_b64 s[10:11], vcc
	s_cbranch_execz .LBB565_487
; %bb.486:
	v_and_b32_e32 v16, 7, v14
	v_ffbh_u32_e32 v30, v16
	v_min_u32_e32 v33, 32, v30
	v_subrev_u32_e32 v30, 28, v33
	v_lshlrev_b64 v[30:31], v30, v[14:15]
	v_lshrrev_b32_e32 v32, 3, v24
	v_sub_u32_e32 v14, 29, v33
	v_and_b32_e32 v30, 7, v30
	v_cmp_gt_u32_e32 vcc, 8, v24
	v_mov_b32_e32 v24, 24
	v_cndmask_b32_e32 v14, v32, v14, vcc
	v_cndmask_b32_e32 v16, v16, v30, vcc
	v_lshlrev_b32_sdwa v24, v24, v17 dst_sel:DWORD dst_unused:UNUSED_PAD src0_sel:DWORD src1_sel:WORD_1
	v_bfrev_b32_e32 v30, 60
	v_lshlrev_b32_e32 v16, 20, v16
	v_and_b32_e32 v24, 0x80000000, v24
	v_lshl_add_u32 v14, v14, 23, v30
	v_or3_b32 v16, v24, v14, v16
.LBB565_487:
	s_or_b64 exec, exec, s[10:11]
.LBB565_488:
	s_or_b64 exec, exec, s[8:9]
.LBB565_489:
	s_or_b64 exec, exec, s[2:3]
	s_mov_b32 s2, 0xffffff
	v_cmp_lt_u32_e32 vcc, s2, v17
	v_mov_b32_e32 v24, 0
	v_mov_b32_e32 v30, 0
	s_and_saveexec_b64 s[2:3], vcc
	s_cbranch_execz .LBB565_495
; %bb.490:
	v_lshrrev_b32_e32 v14, 24, v17
	s_movk_i32 s7, 0x80
	v_cmp_ne_u32_e32 vcc, s7, v14
	v_bfrev_b32_e32 v30, 1
	s_and_saveexec_b64 s[8:9], vcc
	s_cbranch_execz .LBB565_494
; %bb.491:
	v_bfe_u32 v17, v17, 24, 7
	s_movk_i32 s7, 0x7f
	v_cmp_ne_u32_e32 vcc, s7, v17
	v_mov_b32_e32 v30, 0x7f800001
	s_and_saveexec_b64 s[10:11], vcc
	s_cbranch_execz .LBB565_493
; %bb.492:
	v_and_b32_e32 v32, 7, v14
	v_ffbh_u32_e32 v30, v32
	v_min_u32_e32 v34, 32, v30
	v_subrev_u32_e32 v30, 28, v34
	v_lshlrev_b64 v[30:31], v30, v[14:15]
	v_lshrrev_b32_e32 v33, 3, v17
	v_sub_u32_e32 v31, 29, v34
	v_and_b32_e32 v30, 7, v30
	v_cmp_gt_u32_e32 vcc, 8, v17
	v_cndmask_b32_e32 v17, v33, v31, vcc
	v_cndmask_b32_e32 v30, v32, v30, vcc
	v_lshlrev_b32_e32 v14, 24, v14
	v_bfrev_b32_e32 v31, 60
	v_lshlrev_b32_e32 v30, 20, v30
	v_and_b32_e32 v14, 0x80000000, v14
	v_lshl_add_u32 v17, v17, 23, v31
	v_or3_b32 v30, v14, v17, v30
.LBB565_493:
	s_or_b64 exec, exec, s[10:11]
.LBB565_494:
	s_or_b64 exec, exec, s[8:9]
.LBB565_495:
	s_or_b64 exec, exec, s[2:3]
	v_cvt_pkrtz_f16_f32 v14, v23, v25
	v_cvt_pkrtz_f16_f32 v15, v15, v27
	ds_read_b128 v[32:35], v22 offset:16
	s_waitcnt vmcnt(2)
	v_cmp_ne_u16_sdwa s[8:9], v10, v24 src0_sel:BYTE_0 src1_sel:DWORD
	s_waitcnt lgkmcnt(0)
	v_mfma_f32_16x16x16f16 v[18:21], v[14:15], v[32:33], v[18:21]
	v_cvt_pkrtz_f16_f32 v14, v26, v29
	v_cvt_pkrtz_f16_f32 v15, v16, v30
	s_nop 1
	v_mfma_f32_16x16x16f16 v[14:17], v[14:15], v[34:35], v[18:21]
	s_and_saveexec_b64 s[2:3], s[8:9]
	s_cbranch_execz .LBB565_501
; %bb.496:
	s_movk_i32 s7, 0x80
	v_cmp_ne_u16_sdwa s[10:11], v10, s7 src0_sel:BYTE_0 src1_sel:DWORD
	v_bfrev_b32_e32 v24, 1
	s_and_saveexec_b64 s[8:9], s[10:11]
	s_cbranch_execz .LBB565_500
; %bb.497:
	s_movk_i32 s7, 0x7f
	v_and_b32_e32 v18, 0x7f, v10
	v_cmp_ne_u32_e32 vcc, s7, v18
	v_mov_b32_e32 v24, 0x7f800001
	s_and_saveexec_b64 s[10:11], vcc
	s_cbranch_execz .LBB565_499
; %bb.498:
	v_and_b32_e32 v19, 7, v10
	v_ffbh_u32_e32 v20, v19
	v_min_u32_e32 v24, 32, v20
	v_subrev_u32_e32 v20, 28, v24
	v_lshlrev_b64 v[20:21], v20, v[10:11]
	v_lshrrev_b32_e32 v23, 3, v18
	v_sub_u32_e32 v21, 29, v24
	v_and_b32_e32 v20, 7, v20
	v_cmp_gt_u32_e32 vcc, 8, v18
	v_cndmask_b32_e32 v18, v23, v21, vcc
	v_cndmask_b32_e32 v19, v19, v20, vcc
	v_lshlrev_b32_e32 v20, 24, v10
	v_bfrev_b32_e32 v21, 60
	v_lshlrev_b32_e32 v19, 20, v19
	v_and_b32_e32 v20, 0x80000000, v20
	v_lshl_add_u32 v18, v18, 23, v21
	v_or3_b32 v24, v20, v18, v19
.LBB565_499:
	s_or_b64 exec, exec, s[10:11]
.LBB565_500:
	s_or_b64 exec, exec, s[8:9]
.LBB565_501:
	s_or_b64 exec, exec, s[2:3]
	s_nop 3
	v_lshrrev_b16_e32 v18, 8, v10
	v_cmp_ne_u16_e32 vcc, 0, v18
	v_mov_b32_e32 v19, 0
	v_mov_b32_e32 v20, 0
	s_and_saveexec_b64 s[2:3], vcc
	s_cbranch_execz .LBB565_507
; %bb.502:
	s_movk_i32 s7, 0x80
	v_cmp_ne_u16_e32 vcc, s7, v18
	v_bfrev_b32_e32 v20, 1
	s_and_saveexec_b64 s[8:9], vcc
	s_cbranch_execz .LBB565_506
; %bb.503:
	s_movk_i32 s7, 0x7f
	v_and_b32_e32 v21, 0x7f, v18
	v_cmp_ne_u32_e32 vcc, s7, v21
	v_mov_b32_e32 v20, 0x7f800001
	s_and_saveexec_b64 s[10:11], vcc
	s_cbranch_execz .LBB565_505
; %bb.504:
	v_and_b32_e32 v20, 7, v18
	v_ffbh_u32_e32 v25, v20
	v_min_u32_e32 v25, 32, v25
	v_subrev_u32_e32 v26, 28, v25
	v_lshlrev_b64 v[26:27], v26, v[18:19]
	v_lshrrev_b32_e32 v23, 3, v21
	v_sub_u32_e32 v18, 29, v25
	v_and_b32_e32 v25, 7, v26
	v_cmp_gt_u32_e32 vcc, 8, v21
	v_cndmask_b32_e32 v18, v23, v18, vcc
	v_cndmask_b32_e32 v20, v20, v25, vcc
	v_lshlrev_b32_e32 v21, 16, v10
	v_bfrev_b32_e32 v23, 60
	v_lshlrev_b32_e32 v20, 20, v20
	v_and_b32_e32 v21, 0x80000000, v21
	v_lshl_add_u32 v18, v18, 23, v23
	v_or3_b32 v20, v21, v18, v20
.LBB565_505:
	s_or_b64 exec, exec, s[10:11]
.LBB565_506:
	s_or_b64 exec, exec, s[8:9]
.LBB565_507:
	s_or_b64 exec, exec, s[2:3]
	s_movk_i32 s2, 0xff
	v_and_b32_sdwa v21, v10, s2 dst_sel:DWORD dst_unused:UNUSED_PAD src0_sel:WORD_1 src1_sel:DWORD
	v_lshrrev_b32_e32 v18, 16, v10
	v_cmp_ne_u16_e32 vcc, 0, v21
	s_and_saveexec_b64 s[2:3], vcc
	s_cbranch_execz .LBB565_513
; %bb.508:
	s_movk_i32 s7, 0x80
	v_cmp_ne_u16_e32 vcc, s7, v21
	v_bfrev_b32_e32 v19, 1
	s_and_saveexec_b64 s[8:9], vcc
	s_cbranch_execz .LBB565_512
; %bb.509:
	v_bfe_u32 v21, v10, 16, 7
	s_movk_i32 s7, 0x7f
	v_cmp_ne_u32_e32 vcc, s7, v21
	v_mov_b32_e32 v19, 0x7f800001
	s_and_saveexec_b64 s[10:11], vcc
	s_cbranch_execz .LBB565_511
; %bb.510:
	v_and_b32_e32 v23, 7, v18
	v_ffbh_u32_e32 v19, v23
	v_min_u32_e32 v26, 32, v19
	v_subrev_u32_e32 v19, 28, v26
	v_lshlrev_b64 v[18:19], v19, v[18:19]
	v_lshrrev_b32_e32 v25, 3, v21
	v_sub_u32_e32 v19, 29, v26
	v_and_b32_e32 v18, 7, v18
	v_cmp_gt_u32_e32 vcc, 8, v21
	v_mov_b32_e32 v21, 24
	v_cndmask_b32_e32 v19, v25, v19, vcc
	v_cndmask_b32_e32 v18, v23, v18, vcc
	v_lshlrev_b32_sdwa v21, v21, v10 dst_sel:DWORD dst_unused:UNUSED_PAD src0_sel:DWORD src1_sel:WORD_1
	v_bfrev_b32_e32 v23, 60
	v_lshlrev_b32_e32 v18, 20, v18
	v_and_b32_e32 v21, 0x80000000, v21
	v_lshl_add_u32 v19, v19, 23, v23
	v_or3_b32 v19, v21, v19, v18
.LBB565_511:
	s_or_b64 exec, exec, s[10:11]
.LBB565_512:
	s_or_b64 exec, exec, s[8:9]
.LBB565_513:
	s_or_b64 exec, exec, s[2:3]
	s_mov_b32 s2, 0xffffff
	v_cmp_lt_u32_e32 vcc, s2, v10
	v_mov_b32_e32 v21, 0
	v_mov_b32_e32 v23, 0
	s_and_saveexec_b64 s[2:3], vcc
	s_cbranch_execz .LBB565_519
; %bb.514:
	v_lshrrev_b32_e32 v18, 24, v10
	s_movk_i32 s7, 0x80
	v_cmp_ne_u32_e32 vcc, s7, v18
	v_bfrev_b32_e32 v23, 1
	s_and_saveexec_b64 s[8:9], vcc
	s_cbranch_execz .LBB565_518
; %bb.515:
	v_bfe_u32 v10, v10, 24, 7
	s_movk_i32 s7, 0x7f
	v_cmp_ne_u32_e32 vcc, s7, v10
	v_mov_b32_e32 v23, 0x7f800001
	s_and_saveexec_b64 s[10:11], vcc
	s_cbranch_execz .LBB565_517
; %bb.516:
	v_and_b32_e32 v23, 7, v18
	v_ffbh_u32_e32 v26, v23
	v_min_u32_e32 v29, 32, v26
	v_subrev_u32_e32 v26, 28, v29
	v_lshlrev_b64 v[26:27], v26, v[18:19]
	v_lshrrev_b32_e32 v25, 3, v10
	v_sub_u32_e32 v27, 29, v29
	v_and_b32_e32 v26, 7, v26
	v_cmp_gt_u32_e32 vcc, 8, v10
	v_cndmask_b32_e32 v10, v25, v27, vcc
	v_cndmask_b32_e32 v23, v23, v26, vcc
	v_lshlrev_b32_e32 v18, 24, v18
	v_bfrev_b32_e32 v25, 60
	v_lshlrev_b32_e32 v23, 20, v23
	v_and_b32_e32 v18, 0x80000000, v18
	v_lshl_add_u32 v10, v10, 23, v25
	v_or3_b32 v23, v18, v10, v23
.LBB565_517:
	s_or_b64 exec, exec, s[10:11]
.LBB565_518:
	s_or_b64 exec, exec, s[8:9]
.LBB565_519:
	s_or_b64 exec, exec, s[2:3]
	v_cmp_ne_u16_sdwa s[8:9], v11, v21 src0_sel:BYTE_0 src1_sel:DWORD
	s_and_saveexec_b64 s[2:3], s[8:9]
	s_cbranch_execz .LBB565_525
; %bb.520:
	s_movk_i32 s7, 0x80
	v_cmp_ne_u16_sdwa s[10:11], v11, s7 src0_sel:BYTE_0 src1_sel:DWORD
	v_bfrev_b32_e32 v21, 1
	s_and_saveexec_b64 s[8:9], s[10:11]
	s_cbranch_execz .LBB565_524
; %bb.521:
	s_movk_i32 s7, 0x7f
	v_and_b32_e32 v10, 0x7f, v11
	v_cmp_ne_u32_e32 vcc, s7, v10
	v_mov_b32_e32 v21, 0x7f800001
	s_and_saveexec_b64 s[10:11], vcc
	s_cbranch_execz .LBB565_523
; %bb.522:
	v_and_b32_e32 v21, 7, v11
	v_ffbh_u32_e32 v26, v21
	v_min_u32_e32 v29, 32, v26
	v_mov_b32_e32 v18, v11
	v_subrev_u32_e32 v26, 28, v29
	v_lshlrev_b64 v[26:27], v26, v[18:19]
	v_lshrrev_b32_e32 v25, 3, v10
	v_sub_u32_e32 v18, 29, v29
	v_and_b32_e32 v26, 7, v26
	v_cmp_gt_u32_e32 vcc, 8, v10
	v_cndmask_b32_e32 v10, v25, v18, vcc
	v_cndmask_b32_e32 v18, v21, v26, vcc
	v_lshlrev_b32_e32 v21, 24, v11
	v_bfrev_b32_e32 v25, 60
	v_lshlrev_b32_e32 v18, 20, v18
	v_and_b32_e32 v21, 0x80000000, v21
	v_lshl_add_u32 v10, v10, 23, v25
	v_or3_b32 v21, v21, v10, v18
.LBB565_523:
	s_or_b64 exec, exec, s[10:11]
.LBB565_524:
	s_or_b64 exec, exec, s[8:9]
.LBB565_525:
	s_or_b64 exec, exec, s[2:3]
	v_lshrrev_b16_e32 v10, 8, v11
	v_cmp_ne_u16_e32 vcc, 0, v10
	v_mov_b32_e32 v25, 0
	v_mov_b32_e32 v26, 0
	s_and_saveexec_b64 s[2:3], vcc
	s_cbranch_execz .LBB565_531
; %bb.526:
	s_movk_i32 s7, 0x80
	v_cmp_ne_u16_e32 vcc, s7, v10
	v_bfrev_b32_e32 v26, 1
	s_and_saveexec_b64 s[8:9], vcc
	s_cbranch_execz .LBB565_530
; %bb.527:
	s_movk_i32 s7, 0x7f
	v_and_b32_e32 v18, 0x7f, v10
	v_cmp_ne_u32_e32 vcc, s7, v18
	v_mov_b32_e32 v26, 0x7f800001
	s_and_saveexec_b64 s[10:11], vcc
	s_cbranch_execz .LBB565_529
; %bb.528:
	v_and_b32_e32 v29, 7, v10
	v_ffbh_u32_e32 v26, v29
	v_min_u32_e32 v31, 32, v26
	v_subrev_u32_e32 v26, 28, v31
	v_lshlrev_b64 v[26:27], v26, v[10:11]
	v_lshrrev_b32_e32 v30, 3, v18
	v_sub_u32_e32 v10, 29, v31
	v_and_b32_e32 v26, 7, v26
	v_cmp_gt_u32_e32 vcc, 8, v18
	v_cndmask_b32_e32 v10, v30, v10, vcc
	v_cndmask_b32_e32 v18, v29, v26, vcc
	v_lshlrev_b32_e32 v26, 16, v11
	v_bfrev_b32_e32 v27, 60
	v_lshlrev_b32_e32 v18, 20, v18
	v_and_b32_e32 v26, 0x80000000, v26
	v_lshl_add_u32 v10, v10, 23, v27
	v_or3_b32 v26, v26, v10, v18
.LBB565_529:
	s_or_b64 exec, exec, s[10:11]
.LBB565_530:
	s_or_b64 exec, exec, s[8:9]
.LBB565_531:
	s_or_b64 exec, exec, s[2:3]
	s_movk_i32 s2, 0xff
	v_and_b32_sdwa v18, v11, s2 dst_sel:DWORD dst_unused:UNUSED_PAD src0_sel:WORD_1 src1_sel:DWORD
	v_lshrrev_b32_e32 v10, 16, v11
	v_cmp_ne_u16_e32 vcc, 0, v18
	s_and_saveexec_b64 s[2:3], vcc
	s_cbranch_execz .LBB565_537
; %bb.532:
	s_movk_i32 s7, 0x80
	v_cmp_ne_u16_e32 vcc, s7, v18
	v_bfrev_b32_e32 v25, 1
	s_and_saveexec_b64 s[8:9], vcc
	s_cbranch_execz .LBB565_536
; %bb.533:
	v_bfe_u32 v18, v11, 16, 7
	s_movk_i32 s7, 0x7f
	v_cmp_ne_u32_e32 vcc, s7, v18
	v_mov_b32_e32 v25, 0x7f800001
	s_and_saveexec_b64 s[10:11], vcc
	s_cbranch_execz .LBB565_535
; %bb.534:
	v_and_b32_e32 v25, 7, v10
	v_ffbh_u32_e32 v29, v25
	v_min_u32_e32 v29, 32, v29
	v_subrev_u32_e32 v30, 28, v29
	v_lshlrev_b64 v[30:31], v30, v[10:11]
	v_sub_u32_e32 v10, 29, v29
	v_and_b32_e32 v29, 7, v30
	v_cmp_gt_u32_e32 vcc, 8, v18
	v_lshrrev_b32_e32 v27, 3, v18
	v_cndmask_b32_e32 v18, v25, v29, vcc
	v_mov_b32_e32 v25, 24
	v_cndmask_b32_e32 v10, v27, v10, vcc
	v_lshlrev_b32_sdwa v25, v25, v11 dst_sel:DWORD dst_unused:UNUSED_PAD src0_sel:DWORD src1_sel:WORD_1
	v_bfrev_b32_e32 v27, 60
	v_lshlrev_b32_e32 v18, 20, v18
	v_and_b32_e32 v25, 0x80000000, v25
	v_lshl_add_u32 v10, v10, 23, v27
	v_or3_b32 v25, v25, v10, v18
.LBB565_535:
	s_or_b64 exec, exec, s[10:11]
.LBB565_536:
	s_or_b64 exec, exec, s[8:9]
.LBB565_537:
	s_or_b64 exec, exec, s[2:3]
	s_mov_b32 s2, 0xffffff
	v_cmp_lt_u32_e32 vcc, s2, v11
	v_mov_b32_e32 v18, 0
	v_mov_b32_e32 v27, 0
	s_and_saveexec_b64 s[2:3], vcc
	s_cbranch_execz .LBB565_543
; %bb.538:
	v_lshrrev_b32_e32 v10, 24, v11
	s_movk_i32 s7, 0x80
	v_cmp_ne_u32_e32 vcc, s7, v10
	v_bfrev_b32_e32 v27, 1
	s_and_saveexec_b64 s[8:9], vcc
	s_cbranch_execz .LBB565_542
; %bb.539:
	v_bfe_u32 v11, v11, 24, 7
	s_movk_i32 s7, 0x7f
	v_cmp_ne_u32_e32 vcc, s7, v11
	v_mov_b32_e32 v27, 0x7f800001
	s_and_saveexec_b64 s[10:11], vcc
	s_cbranch_execz .LBB565_541
; %bb.540:
	v_and_b32_e32 v27, 7, v10
	v_ffbh_u32_e32 v30, v27
	v_min_u32_e32 v32, 32, v30
	v_subrev_u32_e32 v30, 28, v32
	v_lshlrev_b64 v[30:31], v30, v[10:11]
	v_lshrrev_b32_e32 v29, 3, v11
	v_sub_u32_e32 v31, 29, v32
	v_and_b32_e32 v30, 7, v30
	v_cmp_gt_u32_e32 vcc, 8, v11
	v_cndmask_b32_e32 v11, v29, v31, vcc
	v_cndmask_b32_e32 v27, v27, v30, vcc
	v_lshlrev_b32_e32 v10, 24, v10
	v_bfrev_b32_e32 v29, 60
	v_lshlrev_b32_e32 v27, 20, v27
	v_and_b32_e32 v10, 0x80000000, v10
	v_lshl_add_u32 v11, v11, 23, v29
	v_or3_b32 v27, v10, v11, v27
.LBB565_541:
	s_or_b64 exec, exec, s[10:11]
.LBB565_542:
	s_or_b64 exec, exec, s[8:9]
.LBB565_543:
	s_or_b64 exec, exec, s[2:3]
	v_cvt_pkrtz_f16_f32 v10, v24, v20
	v_cvt_pkrtz_f16_f32 v11, v19, v23
	ds_read_b128 v[30:33], v22 offset:2048
	v_cmp_ne_u16_sdwa s[8:9], v12, v18 src0_sel:BYTE_0 src1_sel:DWORD
	s_waitcnt lgkmcnt(0)
	v_mfma_f32_16x16x16f16 v[14:17], v[10:11], v[30:31], v[14:17]
	v_cvt_pkrtz_f16_f32 v10, v21, v26
	v_cvt_pkrtz_f16_f32 v11, v25, v27
	s_nop 1
	v_mfma_f32_16x16x16f16 v[14:17], v[10:11], v[32:33], v[14:17]
	s_and_saveexec_b64 s[2:3], s[8:9]
	s_cbranch_execz .LBB565_549
; %bb.544:
	s_movk_i32 s7, 0x80
	v_cmp_ne_u16_sdwa s[10:11], v12, s7 src0_sel:BYTE_0 src1_sel:DWORD
	v_bfrev_b32_e32 v18, 1
	s_and_saveexec_b64 s[8:9], s[10:11]
	s_cbranch_execz .LBB565_548
; %bb.545:
	s_movk_i32 s7, 0x7f
	v_and_b32_e32 v10, 0x7f, v12
	v_cmp_ne_u32_e32 vcc, s7, v10
	v_mov_b32_e32 v18, 0x7f800001
	s_and_saveexec_b64 s[10:11], vcc
	s_cbranch_execz .LBB565_547
; %bb.546:
	v_and_b32_e32 v11, 7, v12
	v_ffbh_u32_e32 v18, v11
	v_min_u32_e32 v21, 32, v18
	v_subrev_u32_e32 v18, 28, v21
	v_lshlrev_b64 v[18:19], v18, v[12:13]
	v_lshrrev_b32_e32 v20, 3, v10
	v_sub_u32_e32 v19, 29, v21
	v_and_b32_e32 v18, 7, v18
	v_cmp_gt_u32_e32 vcc, 8, v10
	v_cndmask_b32_e32 v10, v20, v19, vcc
	v_cndmask_b32_e32 v11, v11, v18, vcc
	v_lshlrev_b32_e32 v18, 24, v12
	v_bfrev_b32_e32 v19, 60
	v_lshlrev_b32_e32 v11, 20, v11
	v_and_b32_e32 v18, 0x80000000, v18
	v_lshl_add_u32 v10, v10, 23, v19
	v_or3_b32 v18, v18, v10, v11
.LBB565_547:
	s_or_b64 exec, exec, s[10:11]
.LBB565_548:
	s_or_b64 exec, exec, s[8:9]
.LBB565_549:
	s_or_b64 exec, exec, s[2:3]
	v_lshrrev_b16_e32 v10, 8, v12
	v_cmp_ne_u16_e32 vcc, 0, v10
	v_mov_b32_e32 v11, 0
	v_mov_b32_e32 v20, 0
	s_and_saveexec_b64 s[2:3], vcc
	s_cbranch_execz .LBB565_555
; %bb.550:
	s_movk_i32 s7, 0x80
	v_cmp_ne_u16_e32 vcc, s7, v10
	v_bfrev_b32_e32 v20, 1
	s_and_saveexec_b64 s[8:9], vcc
	s_cbranch_execz .LBB565_554
; %bb.551:
	s_movk_i32 s7, 0x7f
	v_and_b32_e32 v19, 0x7f, v10
	v_cmp_ne_u32_e32 vcc, s7, v19
	v_mov_b32_e32 v20, 0x7f800001
	s_and_saveexec_b64 s[10:11], vcc
	s_cbranch_execz .LBB565_553
; %bb.552:
	v_and_b32_e32 v23, 7, v10
	v_ffbh_u32_e32 v20, v23
	v_min_u32_e32 v25, 32, v20
	v_subrev_u32_e32 v20, 28, v25
	v_lshlrev_b64 v[20:21], v20, v[10:11]
	v_lshrrev_b32_e32 v24, 3, v19
	v_sub_u32_e32 v10, 29, v25
	v_and_b32_e32 v20, 7, v20
	v_cmp_gt_u32_e32 vcc, 8, v19
	v_cndmask_b32_e32 v10, v24, v10, vcc
	v_cndmask_b32_e32 v19, v23, v20, vcc
	v_lshlrev_b32_e32 v20, 16, v12
	v_bfrev_b32_e32 v21, 60
	v_lshlrev_b32_e32 v19, 20, v19
	v_and_b32_e32 v20, 0x80000000, v20
	v_lshl_add_u32 v10, v10, 23, v21
	v_or3_b32 v20, v20, v10, v19
.LBB565_553:
	s_or_b64 exec, exec, s[10:11]
.LBB565_554:
	s_or_b64 exec, exec, s[8:9]
.LBB565_555:
	s_or_b64 exec, exec, s[2:3]
	s_movk_i32 s2, 0xff
	v_and_b32_sdwa v19, v12, s2 dst_sel:DWORD dst_unused:UNUSED_PAD src0_sel:WORD_1 src1_sel:DWORD
	v_lshrrev_b32_e32 v10, 16, v12
	v_cmp_ne_u16_e32 vcc, 0, v19
	s_and_saveexec_b64 s[2:3], vcc
	s_cbranch_execz .LBB565_561
; %bb.556:
	s_movk_i32 s7, 0x80
	v_cmp_ne_u16_e32 vcc, s7, v19
	v_bfrev_b32_e32 v11, 1
	s_and_saveexec_b64 s[8:9], vcc
	s_cbranch_execz .LBB565_560
; %bb.557:
	v_bfe_u32 v19, v12, 16, 7
	s_movk_i32 s7, 0x7f
	v_cmp_ne_u32_e32 vcc, s7, v19
	v_mov_b32_e32 v11, 0x7f800001
	s_and_saveexec_b64 s[10:11], vcc
	s_cbranch_execz .LBB565_559
; %bb.558:
	v_and_b32_e32 v21, 7, v10
	v_ffbh_u32_e32 v11, v21
	v_min_u32_e32 v24, 32, v11
	v_subrev_u32_e32 v11, 28, v24
	v_lshlrev_b64 v[10:11], v11, v[10:11]
	v_lshrrev_b32_e32 v23, 3, v19
	v_sub_u32_e32 v11, 29, v24
	v_and_b32_e32 v10, 7, v10
	v_cmp_gt_u32_e32 vcc, 8, v19
	v_mov_b32_e32 v19, 24
	v_cndmask_b32_e32 v11, v23, v11, vcc
	v_cndmask_b32_e32 v10, v21, v10, vcc
	v_lshlrev_b32_sdwa v19, v19, v12 dst_sel:DWORD dst_unused:UNUSED_PAD src0_sel:DWORD src1_sel:WORD_1
	v_bfrev_b32_e32 v21, 60
	v_lshlrev_b32_e32 v10, 20, v10
	v_and_b32_e32 v19, 0x80000000, v19
	v_lshl_add_u32 v11, v11, 23, v21
	v_or3_b32 v11, v19, v11, v10
.LBB565_559:
	s_or_b64 exec, exec, s[10:11]
.LBB565_560:
	s_or_b64 exec, exec, s[8:9]
.LBB565_561:
	s_or_b64 exec, exec, s[2:3]
	s_mov_b32 s2, 0xffffff
	v_cmp_lt_u32_e32 vcc, s2, v12
	v_mov_b32_e32 v21, 0
	v_mov_b32_e32 v23, 0
	s_and_saveexec_b64 s[2:3], vcc
	s_cbranch_execz .LBB565_567
; %bb.562:
	v_lshrrev_b32_e32 v10, 24, v12
	s_movk_i32 s7, 0x80
	v_cmp_ne_u32_e32 vcc, s7, v10
	v_bfrev_b32_e32 v23, 1
	s_and_saveexec_b64 s[8:9], vcc
	s_cbranch_execz .LBB565_566
; %bb.563:
	v_bfe_u32 v12, v12, 24, 7
	s_movk_i32 s7, 0x7f
	v_cmp_ne_u32_e32 vcc, s7, v12
	v_mov_b32_e32 v23, 0x7f800001
	s_and_saveexec_b64 s[10:11], vcc
	s_cbranch_execz .LBB565_565
; %bb.564:
	v_and_b32_e32 v19, 7, v10
	v_ffbh_u32_e32 v24, v19
	v_min_u32_e32 v26, 32, v24
	v_subrev_u32_e32 v24, 28, v26
	v_lshlrev_b64 v[24:25], v24, v[10:11]
	v_lshrrev_b32_e32 v23, 3, v12
	v_sub_u32_e32 v25, 29, v26
	v_and_b32_e32 v24, 7, v24
	v_cmp_gt_u32_e32 vcc, 8, v12
	v_cndmask_b32_e32 v12, v23, v25, vcc
	v_cndmask_b32_e32 v19, v19, v24, vcc
	v_lshlrev_b32_e32 v10, 24, v10
	v_bfrev_b32_e32 v23, 60
	v_lshlrev_b32_e32 v19, 20, v19
	v_and_b32_e32 v10, 0x80000000, v10
	v_lshl_add_u32 v12, v12, 23, v23
	v_or3_b32 v23, v10, v12, v19
.LBB565_565:
	s_or_b64 exec, exec, s[10:11]
.LBB565_566:
	s_or_b64 exec, exec, s[8:9]
.LBB565_567:
	s_or_b64 exec, exec, s[2:3]
	v_cmp_ne_u16_sdwa s[8:9], v13, v21 src0_sel:BYTE_0 src1_sel:DWORD
	s_and_saveexec_b64 s[2:3], s[8:9]
	s_cbranch_execz .LBB565_573
; %bb.568:
	s_movk_i32 s7, 0x80
	v_cmp_ne_u16_sdwa s[10:11], v13, s7 src0_sel:BYTE_0 src1_sel:DWORD
	v_bfrev_b32_e32 v21, 1
	s_and_saveexec_b64 s[8:9], s[10:11]
	s_cbranch_execz .LBB565_572
; %bb.569:
	s_movk_i32 s7, 0x7f
	v_and_b32_e32 v10, 0x7f, v13
	v_cmp_ne_u32_e32 vcc, s7, v10
	v_mov_b32_e32 v21, 0x7f800001
	s_and_saveexec_b64 s[10:11], vcc
	s_cbranch_execz .LBB565_571
; %bb.570:
	v_and_b32_e32 v19, 7, v13
	v_ffbh_u32_e32 v24, v19
	v_min_u32_e32 v26, 32, v24
	v_mov_b32_e32 v12, v13
	v_subrev_u32_e32 v24, 28, v26
	v_lshlrev_b64 v[24:25], v24, v[12:13]
	v_lshrrev_b32_e32 v21, 3, v10
	v_sub_u32_e32 v12, 29, v26
	v_and_b32_e32 v24, 7, v24
	v_cmp_gt_u32_e32 vcc, 8, v10
	v_cndmask_b32_e32 v10, v21, v12, vcc
	v_cndmask_b32_e32 v12, v19, v24, vcc
	v_lshlrev_b32_e32 v19, 24, v13
	v_bfrev_b32_e32 v21, 60
	v_lshlrev_b32_e32 v12, 20, v12
	v_and_b32_e32 v19, 0x80000000, v19
	v_lshl_add_u32 v10, v10, 23, v21
	v_or3_b32 v21, v19, v10, v12
.LBB565_571:
	s_or_b64 exec, exec, s[10:11]
.LBB565_572:
	s_or_b64 exec, exec, s[8:9]
.LBB565_573:
	s_or_b64 exec, exec, s[2:3]
	v_lshrrev_b16_e32 v10, 8, v13
	v_cmp_ne_u16_e32 vcc, 0, v10
	v_mov_b32_e32 v12, 0
	v_mov_b32_e32 v24, 0
	s_and_saveexec_b64 s[2:3], vcc
	s_cbranch_execz .LBB565_579
; %bb.574:
	s_movk_i32 s7, 0x80
	v_cmp_ne_u16_e32 vcc, s7, v10
	v_bfrev_b32_e32 v24, 1
	s_and_saveexec_b64 s[8:9], vcc
	s_cbranch_execz .LBB565_578
; %bb.575:
	s_movk_i32 s7, 0x7f
	v_and_b32_e32 v19, 0x7f, v10
	v_cmp_ne_u32_e32 vcc, s7, v19
	v_mov_b32_e32 v24, 0x7f800001
	s_and_saveexec_b64 s[10:11], vcc
	s_cbranch_execz .LBB565_577
; %bb.576:
	v_and_b32_e32 v26, 7, v10
	v_ffbh_u32_e32 v24, v26
	v_min_u32_e32 v29, 32, v24
	v_subrev_u32_e32 v24, 28, v29
	v_lshlrev_b64 v[24:25], v24, v[10:11]
	v_lshrrev_b32_e32 v27, 3, v19
	v_sub_u32_e32 v10, 29, v29
	v_and_b32_e32 v24, 7, v24
	v_cmp_gt_u32_e32 vcc, 8, v19
	v_cndmask_b32_e32 v10, v27, v10, vcc
	v_cndmask_b32_e32 v19, v26, v24, vcc
	v_lshlrev_b32_e32 v24, 16, v13
	v_bfrev_b32_e32 v25, 60
	v_lshlrev_b32_e32 v19, 20, v19
	v_and_b32_e32 v24, 0x80000000, v24
	v_lshl_add_u32 v10, v10, 23, v25
	v_or3_b32 v24, v24, v10, v19
.LBB565_577:
	s_or_b64 exec, exec, s[10:11]
.LBB565_578:
	s_or_b64 exec, exec, s[8:9]
.LBB565_579:
	s_or_b64 exec, exec, s[2:3]
	s_movk_i32 s2, 0xff
	v_and_b32_sdwa v19, v13, s2 dst_sel:DWORD dst_unused:UNUSED_PAD src0_sel:WORD_1 src1_sel:DWORD
	v_lshrrev_b32_e32 v10, 16, v13
	v_cmp_ne_u16_e32 vcc, 0, v19
	s_and_saveexec_b64 s[2:3], vcc
	s_cbranch_execz .LBB565_585
; %bb.580:
	s_movk_i32 s7, 0x80
	v_cmp_ne_u16_e32 vcc, s7, v19
	v_bfrev_b32_e32 v12, 1
	s_and_saveexec_b64 s[8:9], vcc
	s_cbranch_execz .LBB565_584
; %bb.581:
	v_bfe_u32 v19, v13, 16, 7
	s_movk_i32 s7, 0x7f
	v_cmp_ne_u32_e32 vcc, s7, v19
	v_mov_b32_e32 v12, 0x7f800001
	s_and_saveexec_b64 s[10:11], vcc
	s_cbranch_execz .LBB565_583
; %bb.582:
	v_and_b32_e32 v12, 7, v10
	v_ffbh_u32_e32 v26, v12
	v_min_u32_e32 v29, 32, v26
	v_subrev_u32_e32 v26, 28, v29
	v_lshlrev_b64 v[26:27], v26, v[10:11]
	v_lshrrev_b32_e32 v25, 3, v19
	v_sub_u32_e32 v10, 29, v29
	v_and_b32_e32 v26, 7, v26
	v_cmp_gt_u32_e32 vcc, 8, v19
	v_mov_b32_e32 v19, 24
	v_cndmask_b32_e32 v10, v25, v10, vcc
	v_cndmask_b32_e32 v12, v12, v26, vcc
	v_lshlrev_b32_sdwa v19, v19, v13 dst_sel:DWORD dst_unused:UNUSED_PAD src0_sel:DWORD src1_sel:WORD_1
	v_bfrev_b32_e32 v25, 60
	v_lshlrev_b32_e32 v12, 20, v12
	v_and_b32_e32 v19, 0x80000000, v19
	v_lshl_add_u32 v10, v10, 23, v25
	v_or3_b32 v12, v19, v10, v12
.LBB565_583:
	s_or_b64 exec, exec, s[10:11]
.LBB565_584:
	s_or_b64 exec, exec, s[8:9]
.LBB565_585:
	s_or_b64 exec, exec, s[2:3]
	s_mov_b32 s2, 0xffffff
	v_cmp_lt_u32_e32 vcc, s2, v13
	v_mov_b32_e32 v19, 0
	v_mov_b32_e32 v25, 0
	s_and_saveexec_b64 s[2:3], vcc
	s_cbranch_execz .LBB565_591
; %bb.586:
	v_lshrrev_b32_e32 v10, 24, v13
	s_movk_i32 s7, 0x80
	v_cmp_ne_u32_e32 vcc, s7, v10
	v_bfrev_b32_e32 v25, 1
	s_and_saveexec_b64 s[8:9], vcc
	s_cbranch_execz .LBB565_590
; %bb.587:
	v_bfe_u32 v13, v13, 24, 7
	s_movk_i32 s7, 0x7f
	v_cmp_ne_u32_e32 vcc, s7, v13
	v_mov_b32_e32 v25, 0x7f800001
	s_and_saveexec_b64 s[10:11], vcc
	s_cbranch_execz .LBB565_589
; %bb.588:
	v_and_b32_e32 v25, 7, v10
	v_ffbh_u32_e32 v26, v25
	v_min_u32_e32 v30, 32, v26
	v_subrev_u32_e32 v26, 28, v30
	v_lshlrev_b64 v[26:27], v26, v[10:11]
	v_lshrrev_b32_e32 v29, 3, v13
	v_sub_u32_e32 v27, 29, v30
	v_and_b32_e32 v26, 7, v26
	v_cmp_gt_u32_e32 vcc, 8, v13
	v_cndmask_b32_e32 v13, v29, v27, vcc
	v_cndmask_b32_e32 v25, v25, v26, vcc
	v_lshlrev_b32_e32 v10, 24, v10
	v_bfrev_b32_e32 v26, 60
	v_lshlrev_b32_e32 v25, 20, v25
	v_and_b32_e32 v10, 0x80000000, v10
	v_lshl_add_u32 v13, v13, 23, v26
	v_or3_b32 v25, v10, v13, v25
.LBB565_589:
	s_or_b64 exec, exec, s[10:11]
.LBB565_590:
	s_or_b64 exec, exec, s[8:9]
.LBB565_591:
	s_or_b64 exec, exec, s[2:3]
	v_cvt_pkrtz_f16_f32 v10, v18, v20
	v_cvt_pkrtz_f16_f32 v11, v11, v23
	ds_read_b128 v[30:33], v22 offset:2064
	s_waitcnt vmcnt(1)
	v_cmp_ne_u16_sdwa s[8:9], v6, v19 src0_sel:BYTE_0 src1_sel:DWORD
	s_waitcnt lgkmcnt(0)
	v_mfma_f32_16x16x16f16 v[14:17], v[10:11], v[30:31], v[14:17]
	v_cvt_pkrtz_f16_f32 v10, v21, v24
	v_cvt_pkrtz_f16_f32 v11, v12, v25
	s_nop 1
	v_mfma_f32_16x16x16f16 v[10:13], v[10:11], v[32:33], v[14:17]
	s_and_saveexec_b64 s[2:3], s[8:9]
	s_cbranch_execz .LBB565_597
; %bb.592:
	s_movk_i32 s7, 0x80
	v_cmp_ne_u16_sdwa s[10:11], v6, s7 src0_sel:BYTE_0 src1_sel:DWORD
	v_bfrev_b32_e32 v19, 1
	s_and_saveexec_b64 s[8:9], s[10:11]
	s_cbranch_execz .LBB565_596
; %bb.593:
	s_movk_i32 s7, 0x7f
	v_and_b32_e32 v14, 0x7f, v6
	v_cmp_ne_u32_e32 vcc, s7, v14
	v_mov_b32_e32 v19, 0x7f800001
	s_and_saveexec_b64 s[10:11], vcc
	s_cbranch_execz .LBB565_595
; %bb.594:
	v_and_b32_e32 v15, 7, v6
	v_ffbh_u32_e32 v16, v15
	v_min_u32_e32 v19, 32, v16
	v_subrev_u32_e32 v16, 28, v19
	v_lshlrev_b64 v[16:17], v16, v[6:7]
	v_lshrrev_b32_e32 v18, 3, v14
	v_sub_u32_e32 v17, 29, v19
	v_and_b32_e32 v16, 7, v16
	v_cmp_gt_u32_e32 vcc, 8, v14
	v_cndmask_b32_e32 v14, v18, v17, vcc
	v_cndmask_b32_e32 v15, v15, v16, vcc
	v_lshlrev_b32_e32 v16, 24, v6
	v_bfrev_b32_e32 v17, 60
	v_lshlrev_b32_e32 v15, 20, v15
	v_and_b32_e32 v16, 0x80000000, v16
	v_lshl_add_u32 v14, v14, 23, v17
	v_or3_b32 v19, v16, v14, v15
.LBB565_595:
	s_or_b64 exec, exec, s[10:11]
.LBB565_596:
	s_or_b64 exec, exec, s[8:9]
.LBB565_597:
	s_or_b64 exec, exec, s[2:3]
	s_nop 3
	v_lshrrev_b16_e32 v14, 8, v6
	v_cmp_ne_u16_e32 vcc, 0, v14
	v_mov_b32_e32 v15, 0
	v_mov_b32_e32 v16, 0
	s_and_saveexec_b64 s[2:3], vcc
	s_cbranch_execz .LBB565_603
; %bb.598:
	s_movk_i32 s7, 0x80
	v_cmp_ne_u16_e32 vcc, s7, v14
	v_bfrev_b32_e32 v16, 1
	s_and_saveexec_b64 s[8:9], vcc
	s_cbranch_execz .LBB565_602
; %bb.599:
	s_movk_i32 s7, 0x7f
	v_and_b32_e32 v17, 0x7f, v14
	v_cmp_ne_u32_e32 vcc, s7, v17
	v_mov_b32_e32 v16, 0x7f800001
	s_and_saveexec_b64 s[10:11], vcc
	s_cbranch_execz .LBB565_601
; %bb.600:
	v_and_b32_e32 v16, 7, v14
	v_ffbh_u32_e32 v20, v16
	v_min_u32_e32 v23, 32, v20
	v_subrev_u32_e32 v20, 28, v23
	v_lshlrev_b64 v[20:21], v20, v[14:15]
	v_lshrrev_b32_e32 v18, 3, v17
	v_sub_u32_e32 v14, 29, v23
	v_and_b32_e32 v20, 7, v20
	v_cmp_gt_u32_e32 vcc, 8, v17
	v_cndmask_b32_e32 v14, v18, v14, vcc
	v_cndmask_b32_e32 v16, v16, v20, vcc
	v_lshlrev_b32_e32 v17, 16, v6
	v_bfrev_b32_e32 v18, 60
	v_lshlrev_b32_e32 v16, 20, v16
	v_and_b32_e32 v17, 0x80000000, v17
	v_lshl_add_u32 v14, v14, 23, v18
	v_or3_b32 v16, v17, v14, v16
.LBB565_601:
	s_or_b64 exec, exec, s[10:11]
.LBB565_602:
	s_or_b64 exec, exec, s[8:9]
.LBB565_603:
	s_or_b64 exec, exec, s[2:3]
	s_movk_i32 s2, 0xff
	v_and_b32_sdwa v17, v6, s2 dst_sel:DWORD dst_unused:UNUSED_PAD src0_sel:WORD_1 src1_sel:DWORD
	v_lshrrev_b32_e32 v14, 16, v6
	v_cmp_ne_u16_e32 vcc, 0, v17
	s_and_saveexec_b64 s[2:3], vcc
	s_cbranch_execz .LBB565_609
; %bb.604:
	s_movk_i32 s7, 0x80
	v_cmp_ne_u16_e32 vcc, s7, v17
	v_bfrev_b32_e32 v15, 1
	s_and_saveexec_b64 s[8:9], vcc
	s_cbranch_execz .LBB565_608
; %bb.605:
	v_bfe_u32 v17, v6, 16, 7
	s_movk_i32 s7, 0x7f
	v_cmp_ne_u32_e32 vcc, s7, v17
	v_mov_b32_e32 v15, 0x7f800001
	s_and_saveexec_b64 s[10:11], vcc
	s_cbranch_execz .LBB565_607
; %bb.606:
	v_and_b32_e32 v18, 7, v14
	v_ffbh_u32_e32 v15, v18
	v_min_u32_e32 v21, 32, v15
	v_subrev_u32_e32 v15, 28, v21
	v_lshlrev_b64 v[14:15], v15, v[14:15]
	v_lshrrev_b32_e32 v20, 3, v17
	v_sub_u32_e32 v15, 29, v21
	v_and_b32_e32 v14, 7, v14
	v_cmp_gt_u32_e32 vcc, 8, v17
	v_mov_b32_e32 v17, 24
	v_cndmask_b32_e32 v15, v20, v15, vcc
	v_cndmask_b32_e32 v14, v18, v14, vcc
	v_lshlrev_b32_sdwa v17, v17, v6 dst_sel:DWORD dst_unused:UNUSED_PAD src0_sel:DWORD src1_sel:WORD_1
	v_bfrev_b32_e32 v18, 60
	v_lshlrev_b32_e32 v14, 20, v14
	v_and_b32_e32 v17, 0x80000000, v17
	v_lshl_add_u32 v15, v15, 23, v18
	v_or3_b32 v15, v17, v15, v14
.LBB565_607:
	s_or_b64 exec, exec, s[10:11]
.LBB565_608:
	s_or_b64 exec, exec, s[8:9]
.LBB565_609:
	s_or_b64 exec, exec, s[2:3]
	s_mov_b32 s2, 0xffffff
	v_cmp_lt_u32_e32 vcc, s2, v6
	v_mov_b32_e32 v17, 0
	v_mov_b32_e32 v18, 0
	s_and_saveexec_b64 s[2:3], vcc
	s_cbranch_execz .LBB565_615
; %bb.610:
	v_lshrrev_b32_e32 v14, 24, v6
	s_movk_i32 s7, 0x80
	v_cmp_ne_u32_e32 vcc, s7, v14
	v_bfrev_b32_e32 v18, 1
	s_and_saveexec_b64 s[8:9], vcc
	s_cbranch_execz .LBB565_614
; %bb.611:
	v_bfe_u32 v6, v6, 24, 7
	s_movk_i32 s7, 0x7f
	v_cmp_ne_u32_e32 vcc, s7, v6
	v_mov_b32_e32 v18, 0x7f800001
	s_and_saveexec_b64 s[10:11], vcc
	s_cbranch_execz .LBB565_613
; %bb.612:
	v_and_b32_e32 v18, 7, v14
	v_ffbh_u32_e32 v20, v18
	v_min_u32_e32 v24, 32, v20
	v_subrev_u32_e32 v20, 28, v24
	v_lshlrev_b64 v[20:21], v20, v[14:15]
	v_lshrrev_b32_e32 v23, 3, v6
	v_sub_u32_e32 v21, 29, v24
	v_and_b32_e32 v20, 7, v20
	v_cmp_gt_u32_e32 vcc, 8, v6
	v_cndmask_b32_e32 v6, v23, v21, vcc
	v_cndmask_b32_e32 v18, v18, v20, vcc
	v_lshlrev_b32_e32 v14, 24, v14
	v_bfrev_b32_e32 v20, 60
	v_lshlrev_b32_e32 v18, 20, v18
	v_and_b32_e32 v14, 0x80000000, v14
	v_lshl_add_u32 v6, v6, 23, v20
	v_or3_b32 v18, v14, v6, v18
.LBB565_613:
	s_or_b64 exec, exec, s[10:11]
.LBB565_614:
	s_or_b64 exec, exec, s[8:9]
.LBB565_615:
	s_or_b64 exec, exec, s[2:3]
	v_cmp_ne_u16_sdwa s[8:9], v7, v17 src0_sel:BYTE_0 src1_sel:DWORD
	s_and_saveexec_b64 s[2:3], s[8:9]
	s_cbranch_execz .LBB565_621
; %bb.616:
	s_movk_i32 s7, 0x80
	v_cmp_ne_u16_sdwa s[10:11], v7, s7 src0_sel:BYTE_0 src1_sel:DWORD
	v_bfrev_b32_e32 v17, 1
	s_and_saveexec_b64 s[8:9], s[10:11]
	s_cbranch_execz .LBB565_620
; %bb.617:
	s_movk_i32 s7, 0x7f
	v_and_b32_e32 v6, 0x7f, v7
	v_cmp_ne_u32_e32 vcc, s7, v6
	v_mov_b32_e32 v17, 0x7f800001
	s_and_saveexec_b64 s[10:11], vcc
	s_cbranch_execz .LBB565_619
; %bb.618:
	v_and_b32_e32 v17, 7, v7
	v_ffbh_u32_e32 v20, v17
	v_min_u32_e32 v24, 32, v20
	v_mov_b32_e32 v14, v7
	v_subrev_u32_e32 v20, 28, v24
	v_lshlrev_b64 v[20:21], v20, v[14:15]
	v_lshrrev_b32_e32 v23, 3, v6
	v_sub_u32_e32 v14, 29, v24
	v_and_b32_e32 v20, 7, v20
	v_cmp_gt_u32_e32 vcc, 8, v6
	v_cndmask_b32_e32 v6, v23, v14, vcc
	v_cndmask_b32_e32 v14, v17, v20, vcc
	v_lshlrev_b32_e32 v17, 24, v7
	v_bfrev_b32_e32 v20, 60
	v_lshlrev_b32_e32 v14, 20, v14
	v_and_b32_e32 v17, 0x80000000, v17
	v_lshl_add_u32 v6, v6, 23, v20
	v_or3_b32 v17, v17, v6, v14
.LBB565_619:
	s_or_b64 exec, exec, s[10:11]
.LBB565_620:
	s_or_b64 exec, exec, s[8:9]
.LBB565_621:
	s_or_b64 exec, exec, s[2:3]
	v_lshrrev_b16_e32 v6, 8, v7
	v_cmp_ne_u16_e32 vcc, 0, v6
	v_mov_b32_e32 v20, 0
	v_mov_b32_e32 v21, 0
	s_and_saveexec_b64 s[2:3], vcc
	s_cbranch_execz .LBB565_627
; %bb.622:
	s_movk_i32 s7, 0x80
	v_cmp_ne_u16_e32 vcc, s7, v6
	v_bfrev_b32_e32 v21, 1
	s_and_saveexec_b64 s[8:9], vcc
	s_cbranch_execz .LBB565_626
; %bb.623:
	s_movk_i32 s7, 0x7f
	v_and_b32_e32 v14, 0x7f, v6
	v_cmp_ne_u32_e32 vcc, s7, v14
	v_mov_b32_e32 v21, 0x7f800001
	s_and_saveexec_b64 s[10:11], vcc
	s_cbranch_execz .LBB565_625
; %bb.624:
	v_and_b32_e32 v21, 7, v6
	v_ffbh_u32_e32 v24, v21
	v_min_u32_e32 v26, 32, v24
	v_subrev_u32_e32 v24, 28, v26
	v_lshlrev_b64 v[24:25], v24, v[6:7]
	v_lshrrev_b32_e32 v23, 3, v14
	v_sub_u32_e32 v6, 29, v26
	v_and_b32_e32 v24, 7, v24
	v_cmp_gt_u32_e32 vcc, 8, v14
	v_cndmask_b32_e32 v6, v23, v6, vcc
	v_cndmask_b32_e32 v14, v21, v24, vcc
	v_lshlrev_b32_e32 v21, 16, v7
	v_bfrev_b32_e32 v23, 60
	v_lshlrev_b32_e32 v14, 20, v14
	v_and_b32_e32 v21, 0x80000000, v21
	v_lshl_add_u32 v6, v6, 23, v23
	v_or3_b32 v21, v21, v6, v14
.LBB565_625:
	s_or_b64 exec, exec, s[10:11]
.LBB565_626:
	s_or_b64 exec, exec, s[8:9]
.LBB565_627:
	s_or_b64 exec, exec, s[2:3]
	s_movk_i32 s2, 0xff
	v_and_b32_sdwa v14, v7, s2 dst_sel:DWORD dst_unused:UNUSED_PAD src0_sel:WORD_1 src1_sel:DWORD
	v_lshrrev_b32_e32 v6, 16, v7
	v_cmp_ne_u16_e32 vcc, 0, v14
	s_and_saveexec_b64 s[2:3], vcc
	s_cbranch_execz .LBB565_633
; %bb.628:
	s_movk_i32 s7, 0x80
	v_cmp_ne_u16_e32 vcc, s7, v14
	v_bfrev_b32_e32 v20, 1
	s_and_saveexec_b64 s[8:9], vcc
	s_cbranch_execz .LBB565_632
; %bb.629:
	v_bfe_u32 v14, v7, 16, 7
	s_movk_i32 s7, 0x7f
	v_cmp_ne_u32_e32 vcc, s7, v14
	v_mov_b32_e32 v20, 0x7f800001
	s_and_saveexec_b64 s[10:11], vcc
	s_cbranch_execz .LBB565_631
; %bb.630:
	v_and_b32_e32 v20, 7, v6
	v_ffbh_u32_e32 v24, v20
	v_min_u32_e32 v26, 32, v24
	v_subrev_u32_e32 v24, 28, v26
	v_lshlrev_b64 v[24:25], v24, v[6:7]
	v_and_b32_e32 v24, 7, v24
	v_cmp_gt_u32_e32 vcc, 8, v14
	v_lshrrev_b32_e32 v23, 3, v14
	v_sub_u32_e32 v6, 29, v26
	v_cndmask_b32_e32 v14, v20, v24, vcc
	v_mov_b32_e32 v20, 24
	v_cndmask_b32_e32 v6, v23, v6, vcc
	v_lshlrev_b32_sdwa v20, v20, v7 dst_sel:DWORD dst_unused:UNUSED_PAD src0_sel:DWORD src1_sel:WORD_1
	v_bfrev_b32_e32 v23, 60
	v_lshlrev_b32_e32 v14, 20, v14
	v_and_b32_e32 v20, 0x80000000, v20
	v_lshl_add_u32 v6, v6, 23, v23
	v_or3_b32 v20, v20, v6, v14
.LBB565_631:
	s_or_b64 exec, exec, s[10:11]
.LBB565_632:
	s_or_b64 exec, exec, s[8:9]
.LBB565_633:
	s_or_b64 exec, exec, s[2:3]
	s_mov_b32 s2, 0xffffff
	v_cmp_lt_u32_e32 vcc, s2, v7
	v_mov_b32_e32 v14, 0
	v_mov_b32_e32 v23, 0
	s_and_saveexec_b64 s[2:3], vcc
	s_cbranch_execz .LBB565_639
; %bb.634:
	v_lshrrev_b32_e32 v6, 24, v7
	s_movk_i32 s7, 0x80
	v_cmp_ne_u32_e32 vcc, s7, v6
	v_bfrev_b32_e32 v23, 1
	s_and_saveexec_b64 s[8:9], vcc
	s_cbranch_execz .LBB565_638
; %bb.635:
	v_bfe_u32 v7, v7, 24, 7
	s_movk_i32 s7, 0x7f
	v_cmp_ne_u32_e32 vcc, s7, v7
	v_mov_b32_e32 v23, 0x7f800001
	s_and_saveexec_b64 s[10:11], vcc
	s_cbranch_execz .LBB565_637
; %bb.636:
	v_and_b32_e32 v23, 7, v6
	v_ffbh_u32_e32 v24, v23
	v_min_u32_e32 v27, 32, v24
	v_subrev_u32_e32 v24, 28, v27
	v_lshlrev_b64 v[24:25], v24, v[6:7]
	v_lshrrev_b32_e32 v26, 3, v7
	v_sub_u32_e32 v25, 29, v27
	v_and_b32_e32 v24, 7, v24
	v_cmp_gt_u32_e32 vcc, 8, v7
	v_cndmask_b32_e32 v7, v26, v25, vcc
	v_cndmask_b32_e32 v23, v23, v24, vcc
	v_lshlrev_b32_e32 v6, 24, v6
	v_bfrev_b32_e32 v24, 60
	v_lshlrev_b32_e32 v23, 20, v23
	v_and_b32_e32 v6, 0x80000000, v6
	v_lshl_add_u32 v7, v7, 23, v24
	v_or3_b32 v23, v6, v7, v23
.LBB565_637:
	s_or_b64 exec, exec, s[10:11]
.LBB565_638:
	s_or_b64 exec, exec, s[8:9]
.LBB565_639:
	s_or_b64 exec, exec, s[2:3]
	v_cvt_pkrtz_f16_f32 v6, v19, v16
	v_cvt_pkrtz_f16_f32 v7, v15, v18
	ds_read_b128 v[24:27], v22 offset:4096
	v_cmp_ne_u16_sdwa s[8:9], v8, v14 src0_sel:BYTE_0 src1_sel:DWORD
	s_waitcnt lgkmcnt(0)
	v_mfma_f32_16x16x16f16 v[10:13], v[6:7], v[24:25], v[10:13]
	v_cvt_pkrtz_f16_f32 v6, v17, v21
	v_cvt_pkrtz_f16_f32 v7, v20, v23
	s_nop 1
	v_mfma_f32_16x16x16f16 v[10:13], v[6:7], v[26:27], v[10:13]
	s_and_saveexec_b64 s[2:3], s[8:9]
	s_cbranch_execz .LBB565_645
; %bb.640:
	s_movk_i32 s7, 0x80
	v_cmp_ne_u16_sdwa s[10:11], v8, s7 src0_sel:BYTE_0 src1_sel:DWORD
	v_bfrev_b32_e32 v14, 1
	s_and_saveexec_b64 s[8:9], s[10:11]
	s_cbranch_execz .LBB565_644
; %bb.641:
	s_movk_i32 s7, 0x7f
	v_and_b32_e32 v6, 0x7f, v8
	v_cmp_ne_u32_e32 vcc, s7, v6
	v_mov_b32_e32 v14, 0x7f800001
	s_and_saveexec_b64 s[10:11], vcc
	s_cbranch_execz .LBB565_643
; %bb.642:
	v_and_b32_e32 v7, 7, v8
	v_ffbh_u32_e32 v14, v7
	v_min_u32_e32 v17, 32, v14
	v_subrev_u32_e32 v14, 28, v17
	v_lshlrev_b64 v[14:15], v14, v[8:9]
	v_lshrrev_b32_e32 v16, 3, v6
	v_sub_u32_e32 v15, 29, v17
	v_and_b32_e32 v14, 7, v14
	v_cmp_gt_u32_e32 vcc, 8, v6
	v_cndmask_b32_e32 v6, v16, v15, vcc
	v_cndmask_b32_e32 v7, v7, v14, vcc
	v_lshlrev_b32_e32 v14, 24, v8
	v_bfrev_b32_e32 v15, 60
	v_lshlrev_b32_e32 v7, 20, v7
	v_and_b32_e32 v14, 0x80000000, v14
	v_lshl_add_u32 v6, v6, 23, v15
	v_or3_b32 v14, v14, v6, v7
.LBB565_643:
	s_or_b64 exec, exec, s[10:11]
.LBB565_644:
	s_or_b64 exec, exec, s[8:9]
.LBB565_645:
	s_or_b64 exec, exec, s[2:3]
	v_lshrrev_b16_e32 v6, 8, v8
	v_cmp_ne_u16_e32 vcc, 0, v6
	v_mov_b32_e32 v7, 0
	v_mov_b32_e32 v16, 0
	s_and_saveexec_b64 s[2:3], vcc
	s_cbranch_execz .LBB565_651
; %bb.646:
	s_movk_i32 s7, 0x80
	v_cmp_ne_u16_e32 vcc, s7, v6
	v_bfrev_b32_e32 v16, 1
	s_and_saveexec_b64 s[8:9], vcc
	s_cbranch_execz .LBB565_650
; %bb.647:
	s_movk_i32 s7, 0x7f
	v_and_b32_e32 v15, 0x7f, v6
	v_cmp_ne_u32_e32 vcc, s7, v15
	v_mov_b32_e32 v16, 0x7f800001
	s_and_saveexec_b64 s[10:11], vcc
	s_cbranch_execz .LBB565_649
; %bb.648:
	v_and_b32_e32 v18, 7, v6
	v_ffbh_u32_e32 v16, v18
	v_min_u32_e32 v20, 32, v16
	v_subrev_u32_e32 v16, 28, v20
	v_lshlrev_b64 v[16:17], v16, v[6:7]
	v_lshrrev_b32_e32 v19, 3, v15
	v_sub_u32_e32 v6, 29, v20
	v_and_b32_e32 v16, 7, v16
	v_cmp_gt_u32_e32 vcc, 8, v15
	v_cndmask_b32_e32 v6, v19, v6, vcc
	v_cndmask_b32_e32 v15, v18, v16, vcc
	v_lshlrev_b32_e32 v16, 16, v8
	v_bfrev_b32_e32 v17, 60
	v_lshlrev_b32_e32 v15, 20, v15
	v_and_b32_e32 v16, 0x80000000, v16
	v_lshl_add_u32 v6, v6, 23, v17
	v_or3_b32 v16, v16, v6, v15
.LBB565_649:
	s_or_b64 exec, exec, s[10:11]
.LBB565_650:
	s_or_b64 exec, exec, s[8:9]
.LBB565_651:
	s_or_b64 exec, exec, s[2:3]
	s_movk_i32 s2, 0xff
	v_and_b32_sdwa v15, v8, s2 dst_sel:DWORD dst_unused:UNUSED_PAD src0_sel:WORD_1 src1_sel:DWORD
	v_lshrrev_b32_e32 v6, 16, v8
	v_cmp_ne_u16_e32 vcc, 0, v15
	s_and_saveexec_b64 s[2:3], vcc
	s_cbranch_execz .LBB565_657
; %bb.652:
	s_movk_i32 s7, 0x80
	v_cmp_ne_u16_e32 vcc, s7, v15
	v_bfrev_b32_e32 v7, 1
	s_and_saveexec_b64 s[8:9], vcc
	s_cbranch_execz .LBB565_656
; %bb.653:
	v_bfe_u32 v15, v8, 16, 7
	s_movk_i32 s7, 0x7f
	v_cmp_ne_u32_e32 vcc, s7, v15
	v_mov_b32_e32 v7, 0x7f800001
	s_and_saveexec_b64 s[10:11], vcc
	s_cbranch_execz .LBB565_655
; %bb.654:
	v_and_b32_e32 v17, 7, v6
	v_ffbh_u32_e32 v7, v17
	v_min_u32_e32 v19, 32, v7
	v_subrev_u32_e32 v7, 28, v19
	v_lshlrev_b64 v[6:7], v7, v[6:7]
	v_lshrrev_b32_e32 v18, 3, v15
	v_sub_u32_e32 v7, 29, v19
	v_and_b32_e32 v6, 7, v6
	v_cmp_gt_u32_e32 vcc, 8, v15
	v_mov_b32_e32 v15, 24
	v_cndmask_b32_e32 v7, v18, v7, vcc
	v_cndmask_b32_e32 v6, v17, v6, vcc
	v_lshlrev_b32_sdwa v15, v15, v8 dst_sel:DWORD dst_unused:UNUSED_PAD src0_sel:DWORD src1_sel:WORD_1
	v_bfrev_b32_e32 v17, 60
	v_lshlrev_b32_e32 v6, 20, v6
	v_and_b32_e32 v15, 0x80000000, v15
	v_lshl_add_u32 v7, v7, 23, v17
	v_or3_b32 v7, v15, v7, v6
.LBB565_655:
	s_or_b64 exec, exec, s[10:11]
.LBB565_656:
	s_or_b64 exec, exec, s[8:9]
.LBB565_657:
	s_or_b64 exec, exec, s[2:3]
	s_mov_b32 s2, 0xffffff
	v_cmp_lt_u32_e32 vcc, s2, v8
	v_mov_b32_e32 v17, 0
	v_mov_b32_e32 v18, 0
	s_and_saveexec_b64 s[2:3], vcc
	s_cbranch_execz .LBB565_663
; %bb.658:
	v_lshrrev_b32_e32 v6, 24, v8
	s_movk_i32 s7, 0x80
	v_cmp_ne_u32_e32 vcc, s7, v6
	v_bfrev_b32_e32 v18, 1
	s_and_saveexec_b64 s[8:9], vcc
	s_cbranch_execz .LBB565_662
; %bb.659:
	v_bfe_u32 v8, v8, 24, 7
	s_movk_i32 s7, 0x7f
	v_cmp_ne_u32_e32 vcc, s7, v8
	v_mov_b32_e32 v18, 0x7f800001
	s_and_saveexec_b64 s[10:11], vcc
	s_cbranch_execz .LBB565_661
; %bb.660:
	v_and_b32_e32 v15, 7, v6
	v_ffbh_u32_e32 v18, v15
	v_min_u32_e32 v21, 32, v18
	v_subrev_u32_e32 v18, 28, v21
	v_lshlrev_b64 v[18:19], v18, v[6:7]
	v_lshrrev_b32_e32 v20, 3, v8
	v_sub_u32_e32 v19, 29, v21
	v_and_b32_e32 v18, 7, v18
	v_cmp_gt_u32_e32 vcc, 8, v8
	v_cndmask_b32_e32 v8, v20, v19, vcc
	v_cndmask_b32_e32 v15, v15, v18, vcc
	v_lshlrev_b32_e32 v6, 24, v6
	v_bfrev_b32_e32 v18, 60
	v_lshlrev_b32_e32 v15, 20, v15
	v_and_b32_e32 v6, 0x80000000, v6
	v_lshl_add_u32 v8, v8, 23, v18
	v_or3_b32 v18, v6, v8, v15
.LBB565_661:
	s_or_b64 exec, exec, s[10:11]
.LBB565_662:
	s_or_b64 exec, exec, s[8:9]
.LBB565_663:
	s_or_b64 exec, exec, s[2:3]
	v_cmp_ne_u16_sdwa s[8:9], v9, v17 src0_sel:BYTE_0 src1_sel:DWORD
	s_and_saveexec_b64 s[2:3], s[8:9]
	s_cbranch_execz .LBB565_669
; %bb.664:
	s_movk_i32 s7, 0x80
	v_cmp_ne_u16_sdwa s[10:11], v9, s7 src0_sel:BYTE_0 src1_sel:DWORD
	v_bfrev_b32_e32 v17, 1
	s_and_saveexec_b64 s[8:9], s[10:11]
	s_cbranch_execz .LBB565_668
; %bb.665:
	s_movk_i32 s7, 0x7f
	v_and_b32_e32 v6, 0x7f, v9
	v_cmp_ne_u32_e32 vcc, s7, v6
	v_mov_b32_e32 v17, 0x7f800001
	s_and_saveexec_b64 s[10:11], vcc
	s_cbranch_execz .LBB565_667
; %bb.666:
	v_and_b32_e32 v15, 7, v9
	v_ffbh_u32_e32 v19, v15
	v_min_u32_e32 v19, 32, v19
	v_mov_b32_e32 v8, v9
	v_subrev_u32_e32 v20, 28, v19
	v_lshlrev_b64 v[20:21], v20, v[8:9]
	v_lshrrev_b32_e32 v17, 3, v6
	v_sub_u32_e32 v8, 29, v19
	v_and_b32_e32 v19, 7, v20
	v_cmp_gt_u32_e32 vcc, 8, v6
	v_cndmask_b32_e32 v6, v17, v8, vcc
	v_cndmask_b32_e32 v8, v15, v19, vcc
	v_lshlrev_b32_e32 v15, 24, v9
	v_bfrev_b32_e32 v17, 60
	v_lshlrev_b32_e32 v8, 20, v8
	v_and_b32_e32 v15, 0x80000000, v15
	v_lshl_add_u32 v6, v6, 23, v17
	v_or3_b32 v17, v15, v6, v8
.LBB565_667:
	s_or_b64 exec, exec, s[10:11]
.LBB565_668:
	s_or_b64 exec, exec, s[8:9]
.LBB565_669:
	s_or_b64 exec, exec, s[2:3]
	v_lshrrev_b16_e32 v6, 8, v9
	v_cmp_ne_u16_e32 vcc, 0, v6
	v_mov_b32_e32 v8, 0
	v_mov_b32_e32 v19, 0
	s_and_saveexec_b64 s[2:3], vcc
	s_cbranch_execz .LBB565_675
; %bb.670:
	s_movk_i32 s7, 0x80
	v_cmp_ne_u16_e32 vcc, s7, v6
	v_bfrev_b32_e32 v19, 1
	s_and_saveexec_b64 s[8:9], vcc
	s_cbranch_execz .LBB565_674
; %bb.671:
	s_movk_i32 s7, 0x7f
	v_and_b32_e32 v15, 0x7f, v6
	v_cmp_ne_u32_e32 vcc, s7, v15
	v_mov_b32_e32 v19, 0x7f800001
	s_and_saveexec_b64 s[10:11], vcc
	s_cbranch_execz .LBB565_673
; %bb.672:
	v_and_b32_e32 v19, 7, v6
	v_ffbh_u32_e32 v20, v19
	v_min_u32_e32 v24, 32, v20
	v_subrev_u32_e32 v20, 28, v24
	v_lshlrev_b64 v[20:21], v20, v[6:7]
	v_lshrrev_b32_e32 v23, 3, v15
	v_sub_u32_e32 v6, 29, v24
	v_and_b32_e32 v20, 7, v20
	v_cmp_gt_u32_e32 vcc, 8, v15
	v_cndmask_b32_e32 v6, v23, v6, vcc
	v_cndmask_b32_e32 v15, v19, v20, vcc
	v_lshlrev_b32_e32 v19, 16, v9
	v_bfrev_b32_e32 v20, 60
	v_lshlrev_b32_e32 v15, 20, v15
	v_and_b32_e32 v19, 0x80000000, v19
	v_lshl_add_u32 v6, v6, 23, v20
	v_or3_b32 v19, v19, v6, v15
.LBB565_673:
	s_or_b64 exec, exec, s[10:11]
.LBB565_674:
	s_or_b64 exec, exec, s[8:9]
.LBB565_675:
	s_or_b64 exec, exec, s[2:3]
	s_movk_i32 s2, 0xff
	v_and_b32_sdwa v15, v9, s2 dst_sel:DWORD dst_unused:UNUSED_PAD src0_sel:WORD_1 src1_sel:DWORD
	v_lshrrev_b32_e32 v6, 16, v9
	v_cmp_ne_u16_e32 vcc, 0, v15
	s_and_saveexec_b64 s[2:3], vcc
	s_cbranch_execz .LBB565_681
; %bb.676:
	s_movk_i32 s7, 0x80
	v_cmp_ne_u16_e32 vcc, s7, v15
	v_bfrev_b32_e32 v8, 1
	s_and_saveexec_b64 s[8:9], vcc
	s_cbranch_execz .LBB565_680
; %bb.677:
	v_bfe_u32 v15, v9, 16, 7
	s_movk_i32 s7, 0x7f
	v_cmp_ne_u32_e32 vcc, s7, v15
	v_mov_b32_e32 v8, 0x7f800001
	s_and_saveexec_b64 s[10:11], vcc
	s_cbranch_execz .LBB565_679
; %bb.678:
	v_and_b32_e32 v8, 7, v6
	v_ffbh_u32_e32 v20, v8
	v_min_u32_e32 v24, 32, v20
	v_subrev_u32_e32 v20, 28, v24
	v_lshlrev_b64 v[20:21], v20, v[6:7]
	v_lshrrev_b32_e32 v23, 3, v15
	v_sub_u32_e32 v6, 29, v24
	v_and_b32_e32 v20, 7, v20
	v_cmp_gt_u32_e32 vcc, 8, v15
	v_mov_b32_e32 v15, 24
	v_cndmask_b32_e32 v6, v23, v6, vcc
	v_cndmask_b32_e32 v8, v8, v20, vcc
	v_lshlrev_b32_sdwa v15, v15, v9 dst_sel:DWORD dst_unused:UNUSED_PAD src0_sel:DWORD src1_sel:WORD_1
	v_bfrev_b32_e32 v20, 60
	v_lshlrev_b32_e32 v8, 20, v8
	v_and_b32_e32 v15, 0x80000000, v15
	v_lshl_add_u32 v6, v6, 23, v20
	v_or3_b32 v8, v15, v6, v8
.LBB565_679:
	s_or_b64 exec, exec, s[10:11]
.LBB565_680:
	s_or_b64 exec, exec, s[8:9]
.LBB565_681:
	s_or_b64 exec, exec, s[2:3]
	s_mov_b32 s2, 0xffffff
	v_cmp_lt_u32_e32 vcc, s2, v9
	v_mov_b32_e32 v15, 0
	v_mov_b32_e32 v20, 0
	s_and_saveexec_b64 s[2:3], vcc
	s_cbranch_execz .LBB565_687
; %bb.682:
	v_lshrrev_b32_e32 v6, 24, v9
	s_movk_i32 s7, 0x80
	v_cmp_ne_u32_e32 vcc, s7, v6
	v_bfrev_b32_e32 v20, 1
	s_and_saveexec_b64 s[8:9], vcc
	s_cbranch_execz .LBB565_686
; %bb.683:
	v_bfe_u32 v9, v9, 24, 7
	s_movk_i32 s7, 0x7f
	v_cmp_ne_u32_e32 vcc, s7, v9
	v_mov_b32_e32 v20, 0x7f800001
	s_and_saveexec_b64 s[10:11], vcc
	s_cbranch_execz .LBB565_685
; %bb.684:
	v_and_b32_e32 v23, 7, v6
	v_ffbh_u32_e32 v20, v23
	v_min_u32_e32 v25, 32, v20
	v_subrev_u32_e32 v20, 28, v25
	v_lshlrev_b64 v[20:21], v20, v[6:7]
	v_lshrrev_b32_e32 v24, 3, v9
	v_sub_u32_e32 v21, 29, v25
	v_and_b32_e32 v20, 7, v20
	v_cmp_gt_u32_e32 vcc, 8, v9
	v_cndmask_b32_e32 v9, v24, v21, vcc
	v_cndmask_b32_e32 v20, v23, v20, vcc
	v_lshlrev_b32_e32 v6, 24, v6
	v_bfrev_b32_e32 v21, 60
	v_lshlrev_b32_e32 v20, 20, v20
	v_and_b32_e32 v6, 0x80000000, v6
	v_lshl_add_u32 v9, v9, 23, v21
	v_or3_b32 v20, v6, v9, v20
.LBB565_685:
	s_or_b64 exec, exec, s[10:11]
.LBB565_686:
	s_or_b64 exec, exec, s[8:9]
.LBB565_687:
	s_or_b64 exec, exec, s[2:3]
	v_cvt_pkrtz_f16_f32 v6, v14, v16
	v_cvt_pkrtz_f16_f32 v7, v7, v18
	ds_read_b128 v[24:27], v22 offset:4112
	s_waitcnt vmcnt(0)
	v_cmp_ne_u16_sdwa s[8:9], v2, v15 src0_sel:BYTE_0 src1_sel:DWORD
	s_waitcnt lgkmcnt(0)
	v_mfma_f32_16x16x16f16 v[10:13], v[6:7], v[24:25], v[10:13]
	v_cvt_pkrtz_f16_f32 v6, v17, v19
	v_cvt_pkrtz_f16_f32 v7, v8, v20
	s_nop 1
	v_mfma_f32_16x16x16f16 v[6:9], v[6:7], v[26:27], v[10:13]
	s_and_saveexec_b64 s[2:3], s[8:9]
	s_cbranch_execz .LBB565_693
; %bb.688:
	s_movk_i32 s7, 0x80
	v_cmp_ne_u16_sdwa s[10:11], v2, s7 src0_sel:BYTE_0 src1_sel:DWORD
	v_bfrev_b32_e32 v15, 1
	s_and_saveexec_b64 s[8:9], s[10:11]
	s_cbranch_execz .LBB565_692
; %bb.689:
	s_movk_i32 s7, 0x7f
	v_and_b32_e32 v10, 0x7f, v2
	v_cmp_ne_u32_e32 vcc, s7, v10
	v_mov_b32_e32 v15, 0x7f800001
	s_and_saveexec_b64 s[10:11], vcc
	s_cbranch_execz .LBB565_691
; %bb.690:
	v_and_b32_e32 v11, 7, v2
	v_ffbh_u32_e32 v12, v11
	v_min_u32_e32 v15, 32, v12
	v_subrev_u32_e32 v12, 28, v15
	v_lshlrev_b64 v[12:13], v12, v[2:3]
	v_lshrrev_b32_e32 v14, 3, v10
	v_sub_u32_e32 v13, 29, v15
	v_and_b32_e32 v12, 7, v12
	v_cmp_gt_u32_e32 vcc, 8, v10
	v_cndmask_b32_e32 v10, v14, v13, vcc
	v_cndmask_b32_e32 v11, v11, v12, vcc
	v_lshlrev_b32_e32 v12, 24, v2
	v_bfrev_b32_e32 v13, 60
	v_lshlrev_b32_e32 v11, 20, v11
	v_and_b32_e32 v12, 0x80000000, v12
	v_lshl_add_u32 v10, v10, 23, v13
	v_or3_b32 v15, v12, v10, v11
.LBB565_691:
	s_or_b64 exec, exec, s[10:11]
.LBB565_692:
	s_or_b64 exec, exec, s[8:9]
.LBB565_693:
	s_or_b64 exec, exec, s[2:3]
	s_nop 3
	v_lshrrev_b16_e32 v10, 8, v2
	v_cmp_ne_u16_e32 vcc, 0, v10
	v_mov_b32_e32 v11, 0
	v_mov_b32_e32 v12, 0
	s_and_saveexec_b64 s[2:3], vcc
	s_cbranch_execz .LBB565_699
; %bb.694:
	s_movk_i32 s7, 0x80
	v_cmp_ne_u16_e32 vcc, s7, v10
	v_bfrev_b32_e32 v12, 1
	s_and_saveexec_b64 s[8:9], vcc
	s_cbranch_execz .LBB565_698
; %bb.695:
	s_movk_i32 s7, 0x7f
	v_and_b32_e32 v13, 0x7f, v10
	v_cmp_ne_u32_e32 vcc, s7, v13
	v_mov_b32_e32 v12, 0x7f800001
	s_and_saveexec_b64 s[10:11], vcc
	s_cbranch_execz .LBB565_697
; %bb.696:
	v_and_b32_e32 v12, 7, v10
	v_ffbh_u32_e32 v16, v12
	v_min_u32_e32 v18, 32, v16
	v_subrev_u32_e32 v16, 28, v18
	v_lshlrev_b64 v[16:17], v16, v[10:11]
	v_lshrrev_b32_e32 v14, 3, v13
	v_sub_u32_e32 v10, 29, v18
	v_and_b32_e32 v16, 7, v16
	v_cmp_gt_u32_e32 vcc, 8, v13
	v_cndmask_b32_e32 v10, v14, v10, vcc
	v_cndmask_b32_e32 v12, v12, v16, vcc
	v_lshlrev_b32_e32 v13, 16, v2
	v_bfrev_b32_e32 v14, 60
	v_lshlrev_b32_e32 v12, 20, v12
	v_and_b32_e32 v13, 0x80000000, v13
	v_lshl_add_u32 v10, v10, 23, v14
	v_or3_b32 v12, v13, v10, v12
.LBB565_697:
	s_or_b64 exec, exec, s[10:11]
.LBB565_698:
	s_or_b64 exec, exec, s[8:9]
.LBB565_699:
	s_or_b64 exec, exec, s[2:3]
	s_movk_i32 s2, 0xff
	v_and_b32_sdwa v13, v2, s2 dst_sel:DWORD dst_unused:UNUSED_PAD src0_sel:WORD_1 src1_sel:DWORD
	v_lshrrev_b32_e32 v10, 16, v2
	v_cmp_ne_u16_e32 vcc, 0, v13
	s_and_saveexec_b64 s[2:3], vcc
	s_cbranch_execz .LBB565_705
; %bb.700:
	s_movk_i32 s7, 0x80
	v_cmp_ne_u16_e32 vcc, s7, v13
	v_bfrev_b32_e32 v11, 1
	s_and_saveexec_b64 s[8:9], vcc
	s_cbranch_execz .LBB565_704
; %bb.701:
	v_bfe_u32 v13, v2, 16, 7
	s_movk_i32 s7, 0x7f
	v_cmp_ne_u32_e32 vcc, s7, v13
	v_mov_b32_e32 v11, 0x7f800001
	s_and_saveexec_b64 s[10:11], vcc
	s_cbranch_execz .LBB565_703
; %bb.702:
	v_and_b32_e32 v14, 7, v10
	v_ffbh_u32_e32 v11, v14
	v_min_u32_e32 v17, 32, v11
	v_subrev_u32_e32 v11, 28, v17
	v_lshlrev_b64 v[10:11], v11, v[10:11]
	v_lshrrev_b32_e32 v16, 3, v13
	v_sub_u32_e32 v11, 29, v17
	v_and_b32_e32 v10, 7, v10
	v_cmp_gt_u32_e32 vcc, 8, v13
	v_mov_b32_e32 v13, 24
	v_cndmask_b32_e32 v11, v16, v11, vcc
	v_cndmask_b32_e32 v10, v14, v10, vcc
	v_lshlrev_b32_sdwa v13, v13, v2 dst_sel:DWORD dst_unused:UNUSED_PAD src0_sel:DWORD src1_sel:WORD_1
	v_bfrev_b32_e32 v14, 60
	v_lshlrev_b32_e32 v10, 20, v10
	v_and_b32_e32 v13, 0x80000000, v13
	v_lshl_add_u32 v11, v11, 23, v14
	v_or3_b32 v11, v13, v11, v10
.LBB565_703:
	s_or_b64 exec, exec, s[10:11]
.LBB565_704:
	s_or_b64 exec, exec, s[8:9]
.LBB565_705:
	s_or_b64 exec, exec, s[2:3]
	s_mov_b32 s2, 0xffffff
	v_cmp_lt_u32_e32 vcc, s2, v2
	v_mov_b32_e32 v13, 0
	v_mov_b32_e32 v14, 0
	s_and_saveexec_b64 s[2:3], vcc
	s_cbranch_execz .LBB565_711
; %bb.706:
	v_lshrrev_b32_e32 v10, 24, v2
	s_movk_i32 s7, 0x80
	v_cmp_ne_u32_e32 vcc, s7, v10
	v_bfrev_b32_e32 v14, 1
	s_and_saveexec_b64 s[8:9], vcc
	s_cbranch_execz .LBB565_710
; %bb.707:
	v_bfe_u32 v2, v2, 24, 7
	s_movk_i32 s7, 0x7f
	v_cmp_ne_u32_e32 vcc, s7, v2
	v_mov_b32_e32 v14, 0x7f800001
	s_and_saveexec_b64 s[10:11], vcc
	s_cbranch_execz .LBB565_709
; %bb.708:
	v_and_b32_e32 v14, 7, v10
	v_ffbh_u32_e32 v16, v14
	v_min_u32_e32 v19, 32, v16
	v_subrev_u32_e32 v16, 28, v19
	v_lshlrev_b64 v[16:17], v16, v[10:11]
	v_lshrrev_b32_e32 v18, 3, v2
	v_sub_u32_e32 v17, 29, v19
	v_and_b32_e32 v16, 7, v16
	v_cmp_gt_u32_e32 vcc, 8, v2
	v_cndmask_b32_e32 v2, v18, v17, vcc
	v_cndmask_b32_e32 v14, v14, v16, vcc
	v_lshlrev_b32_e32 v10, 24, v10
	v_bfrev_b32_e32 v16, 60
	v_lshlrev_b32_e32 v14, 20, v14
	v_and_b32_e32 v10, 0x80000000, v10
	v_lshl_add_u32 v2, v2, 23, v16
	v_or3_b32 v14, v10, v2, v14
.LBB565_709:
	s_or_b64 exec, exec, s[10:11]
.LBB565_710:
	s_or_b64 exec, exec, s[8:9]
.LBB565_711:
	s_or_b64 exec, exec, s[2:3]
	v_cmp_ne_u16_sdwa s[8:9], v3, v13 src0_sel:BYTE_0 src1_sel:DWORD
	s_and_saveexec_b64 s[2:3], s[8:9]
	s_cbranch_execz .LBB565_717
; %bb.712:
	s_movk_i32 s7, 0x80
	v_cmp_ne_u16_sdwa s[10:11], v3, s7 src0_sel:BYTE_0 src1_sel:DWORD
	v_bfrev_b32_e32 v13, 1
	s_and_saveexec_b64 s[8:9], s[10:11]
	s_cbranch_execz .LBB565_716
; %bb.713:
	s_movk_i32 s7, 0x7f
	v_and_b32_e32 v2, 0x7f, v3
	v_cmp_ne_u32_e32 vcc, s7, v2
	v_mov_b32_e32 v13, 0x7f800001
	s_and_saveexec_b64 s[10:11], vcc
	s_cbranch_execz .LBB565_715
; %bb.714:
	v_and_b32_e32 v13, 7, v3
	v_ffbh_u32_e32 v16, v13
	v_min_u32_e32 v19, 32, v16
	v_mov_b32_e32 v10, v3
	v_subrev_u32_e32 v16, 28, v19
	v_lshlrev_b64 v[16:17], v16, v[10:11]
	v_lshrrev_b32_e32 v18, 3, v2
	v_sub_u32_e32 v10, 29, v19
	v_and_b32_e32 v16, 7, v16
	v_cmp_gt_u32_e32 vcc, 8, v2
	v_cndmask_b32_e32 v2, v18, v10, vcc
	v_cndmask_b32_e32 v10, v13, v16, vcc
	v_lshlrev_b32_e32 v13, 24, v3
	v_bfrev_b32_e32 v16, 60
	v_lshlrev_b32_e32 v10, 20, v10
	v_and_b32_e32 v13, 0x80000000, v13
	v_lshl_add_u32 v2, v2, 23, v16
	v_or3_b32 v13, v13, v2, v10
.LBB565_715:
	s_or_b64 exec, exec, s[10:11]
.LBB565_716:
	s_or_b64 exec, exec, s[8:9]
.LBB565_717:
	s_or_b64 exec, exec, s[2:3]
	v_lshrrev_b16_e32 v2, 8, v3
	v_cmp_ne_u16_e32 vcc, 0, v2
	v_mov_b32_e32 v16, 0
	v_mov_b32_e32 v17, 0
	s_and_saveexec_b64 s[2:3], vcc
	s_cbranch_execz .LBB565_723
; %bb.718:
	s_movk_i32 s7, 0x80
	v_cmp_ne_u16_e32 vcc, s7, v2
	v_bfrev_b32_e32 v17, 1
	s_and_saveexec_b64 s[8:9], vcc
	s_cbranch_execz .LBB565_722
; %bb.719:
	s_movk_i32 s7, 0x7f
	v_and_b32_e32 v10, 0x7f, v2
	v_cmp_ne_u32_e32 vcc, s7, v10
	v_mov_b32_e32 v17, 0x7f800001
	s_and_saveexec_b64 s[10:11], vcc
	s_cbranch_execz .LBB565_721
; %bb.720:
	v_and_b32_e32 v17, 7, v2
	v_ffbh_u32_e32 v18, v17
	v_min_u32_e32 v21, 32, v18
	v_subrev_u32_e32 v18, 28, v21
	v_lshlrev_b64 v[18:19], v18, v[2:3]
	v_lshrrev_b32_e32 v20, 3, v10
	v_sub_u32_e32 v2, 29, v21
	v_and_b32_e32 v18, 7, v18
	v_cmp_gt_u32_e32 vcc, 8, v10
	v_cndmask_b32_e32 v2, v20, v2, vcc
	v_cndmask_b32_e32 v10, v17, v18, vcc
	v_lshlrev_b32_e32 v17, 16, v3
	v_bfrev_b32_e32 v18, 60
	v_lshlrev_b32_e32 v10, 20, v10
	v_and_b32_e32 v17, 0x80000000, v17
	v_lshl_add_u32 v2, v2, 23, v18
	v_or3_b32 v17, v17, v2, v10
.LBB565_721:
	s_or_b64 exec, exec, s[10:11]
.LBB565_722:
	s_or_b64 exec, exec, s[8:9]
.LBB565_723:
	s_or_b64 exec, exec, s[2:3]
	s_movk_i32 s2, 0xff
	v_and_b32_sdwa v10, v3, s2 dst_sel:DWORD dst_unused:UNUSED_PAD src0_sel:WORD_1 src1_sel:DWORD
	v_lshrrev_b32_e32 v2, 16, v3
	v_cmp_ne_u16_e32 vcc, 0, v10
	s_and_saveexec_b64 s[2:3], vcc
	s_cbranch_execz .LBB565_729
; %bb.724:
	s_movk_i32 s7, 0x80
	v_cmp_ne_u16_e32 vcc, s7, v10
	v_bfrev_b32_e32 v16, 1
	s_and_saveexec_b64 s[8:9], vcc
	s_cbranch_execz .LBB565_728
; %bb.725:
	v_bfe_u32 v10, v3, 16, 7
	s_movk_i32 s7, 0x7f
	v_cmp_ne_u32_e32 vcc, s7, v10
	v_mov_b32_e32 v16, 0x7f800001
	s_and_saveexec_b64 s[10:11], vcc
	s_cbranch_execz .LBB565_727
; %bb.726:
	v_and_b32_e32 v16, 7, v2
	v_ffbh_u32_e32 v18, v16
	v_min_u32_e32 v21, 32, v18
	v_subrev_u32_e32 v18, 28, v21
	v_lshlrev_b64 v[18:19], v18, v[2:3]
	v_and_b32_e32 v18, 7, v18
	v_cmp_gt_u32_e32 vcc, 8, v10
	v_lshrrev_b32_e32 v20, 3, v10
	v_sub_u32_e32 v2, 29, v21
	v_cndmask_b32_e32 v10, v16, v18, vcc
	v_mov_b32_e32 v16, 24
	v_cndmask_b32_e32 v2, v20, v2, vcc
	v_lshlrev_b32_sdwa v16, v16, v3 dst_sel:DWORD dst_unused:UNUSED_PAD src0_sel:DWORD src1_sel:WORD_1
	v_bfrev_b32_e32 v18, 60
	v_lshlrev_b32_e32 v10, 20, v10
	v_and_b32_e32 v16, 0x80000000, v16
	v_lshl_add_u32 v2, v2, 23, v18
	v_or3_b32 v16, v16, v2, v10
.LBB565_727:
	s_or_b64 exec, exec, s[10:11]
.LBB565_728:
	s_or_b64 exec, exec, s[8:9]
.LBB565_729:
	s_or_b64 exec, exec, s[2:3]
	s_mov_b32 s2, 0xffffff
	v_cmp_lt_u32_e32 vcc, s2, v3
	v_mov_b32_e32 v10, 0
	v_mov_b32_e32 v18, 0
	s_and_saveexec_b64 s[2:3], vcc
	s_cbranch_execz .LBB565_735
; %bb.730:
	v_lshrrev_b32_e32 v2, 24, v3
	s_movk_i32 s7, 0x80
	v_cmp_ne_u32_e32 vcc, s7, v2
	v_bfrev_b32_e32 v18, 1
	s_and_saveexec_b64 s[8:9], vcc
	s_cbranch_execz .LBB565_734
; %bb.731:
	v_bfe_u32 v3, v3, 24, 7
	s_movk_i32 s7, 0x7f
	v_cmp_ne_u32_e32 vcc, s7, v3
	v_mov_b32_e32 v18, 0x7f800001
	s_and_saveexec_b64 s[10:11], vcc
	s_cbranch_execz .LBB565_733
; %bb.732:
	v_and_b32_e32 v20, 7, v2
	v_ffbh_u32_e32 v18, v20
	v_min_u32_e32 v23, 32, v18
	v_subrev_u32_e32 v18, 28, v23
	v_lshlrev_b64 v[18:19], v18, v[2:3]
	v_lshrrev_b32_e32 v21, 3, v3
	v_sub_u32_e32 v19, 29, v23
	v_and_b32_e32 v18, 7, v18
	v_cmp_gt_u32_e32 vcc, 8, v3
	v_cndmask_b32_e32 v3, v21, v19, vcc
	v_cndmask_b32_e32 v18, v20, v18, vcc
	v_lshlrev_b32_e32 v2, 24, v2
	v_bfrev_b32_e32 v19, 60
	v_lshlrev_b32_e32 v18, 20, v18
	v_and_b32_e32 v2, 0x80000000, v2
	v_lshl_add_u32 v3, v3, 23, v19
	v_or3_b32 v18, v2, v3, v18
.LBB565_733:
	s_or_b64 exec, exec, s[10:11]
.LBB565_734:
	s_or_b64 exec, exec, s[8:9]
.LBB565_735:
	s_or_b64 exec, exec, s[2:3]
	v_cvt_pkrtz_f16_f32 v2, v15, v12
	v_cvt_pkrtz_f16_f32 v3, v11, v14
	ds_read_b128 v[24:27], v22 offset:6144
	v_cmp_ne_u16_sdwa s[8:9], v4, v10 src0_sel:BYTE_0 src1_sel:DWORD
	s_waitcnt lgkmcnt(0)
	v_mfma_f32_16x16x16f16 v[6:9], v[2:3], v[24:25], v[6:9]
	v_cvt_pkrtz_f16_f32 v2, v13, v17
	v_cvt_pkrtz_f16_f32 v3, v16, v18
	s_nop 1
	v_mfma_f32_16x16x16f16 v[6:9], v[2:3], v[26:27], v[6:9]
	s_and_saveexec_b64 s[2:3], s[8:9]
	s_cbranch_execz .LBB565_741
; %bb.736:
	s_movk_i32 s7, 0x80
	v_cmp_ne_u16_sdwa s[10:11], v4, s7 src0_sel:BYTE_0 src1_sel:DWORD
	v_bfrev_b32_e32 v10, 1
	s_and_saveexec_b64 s[8:9], s[10:11]
	s_cbranch_execz .LBB565_740
; %bb.737:
	s_movk_i32 s7, 0x7f
	v_and_b32_e32 v2, 0x7f, v4
	v_cmp_ne_u32_e32 vcc, s7, v2
	v_mov_b32_e32 v10, 0x7f800001
	s_and_saveexec_b64 s[10:11], vcc
	s_cbranch_execz .LBB565_739
; %bb.738:
	v_and_b32_e32 v3, 7, v4
	v_ffbh_u32_e32 v10, v3
	v_min_u32_e32 v13, 32, v10
	v_subrev_u32_e32 v10, 28, v13
	v_lshlrev_b64 v[10:11], v10, v[4:5]
	v_lshrrev_b32_e32 v12, 3, v2
	v_sub_u32_e32 v11, 29, v13
	v_and_b32_e32 v10, 7, v10
	v_cmp_gt_u32_e32 vcc, 8, v2
	v_cndmask_b32_e32 v2, v12, v11, vcc
	v_cndmask_b32_e32 v3, v3, v10, vcc
	v_lshlrev_b32_e32 v10, 24, v4
	v_bfrev_b32_e32 v11, 60
	v_lshlrev_b32_e32 v3, 20, v3
	v_and_b32_e32 v10, 0x80000000, v10
	v_lshl_add_u32 v2, v2, 23, v11
	v_or3_b32 v10, v10, v2, v3
.LBB565_739:
	s_or_b64 exec, exec, s[10:11]
.LBB565_740:
	s_or_b64 exec, exec, s[8:9]
.LBB565_741:
	s_or_b64 exec, exec, s[2:3]
	v_lshrrev_b16_e32 v2, 8, v4
	v_cmp_ne_u16_e32 vcc, 0, v2
	v_mov_b32_e32 v3, 0
	v_mov_b32_e32 v11, 0
	s_and_saveexec_b64 s[2:3], vcc
	s_cbranch_execz .LBB565_747
; %bb.742:
	s_movk_i32 s7, 0x80
	v_cmp_ne_u16_e32 vcc, s7, v2
	v_bfrev_b32_e32 v11, 1
	s_and_saveexec_b64 s[8:9], vcc
	s_cbranch_execz .LBB565_746
; %bb.743:
	s_movk_i32 s7, 0x7f
	v_and_b32_e32 v12, 0x7f, v2
	v_cmp_ne_u32_e32 vcc, s7, v12
	v_mov_b32_e32 v11, 0x7f800001
	s_and_saveexec_b64 s[10:11], vcc
	s_cbranch_execz .LBB565_745
; %bb.744:
	v_and_b32_e32 v11, 7, v2
	v_ffbh_u32_e32 v14, v11
	v_min_u32_e32 v16, 32, v14
	v_subrev_u32_e32 v14, 28, v16
	v_lshlrev_b64 v[14:15], v14, v[2:3]
	v_lshrrev_b32_e32 v13, 3, v12
	v_sub_u32_e32 v2, 29, v16
	v_and_b32_e32 v14, 7, v14
	v_cmp_gt_u32_e32 vcc, 8, v12
	v_cndmask_b32_e32 v2, v13, v2, vcc
	v_cndmask_b32_e32 v11, v11, v14, vcc
	v_lshlrev_b32_e32 v12, 16, v4
	v_bfrev_b32_e32 v13, 60
	v_lshlrev_b32_e32 v11, 20, v11
	v_and_b32_e32 v12, 0x80000000, v12
	v_lshl_add_u32 v2, v2, 23, v13
	v_or3_b32 v11, v12, v2, v11
.LBB565_745:
	s_or_b64 exec, exec, s[10:11]
.LBB565_746:
	s_or_b64 exec, exec, s[8:9]
.LBB565_747:
	s_or_b64 exec, exec, s[2:3]
	s_movk_i32 s2, 0xff
	v_and_b32_sdwa v12, v4, s2 dst_sel:DWORD dst_unused:UNUSED_PAD src0_sel:WORD_1 src1_sel:DWORD
	v_lshrrev_b32_e32 v2, 16, v4
	v_cmp_ne_u16_e32 vcc, 0, v12
	s_and_saveexec_b64 s[2:3], vcc
	s_cbranch_execz .LBB565_753
; %bb.748:
	s_movk_i32 s7, 0x80
	v_cmp_ne_u16_e32 vcc, s7, v12
	v_bfrev_b32_e32 v3, 1
	s_and_saveexec_b64 s[8:9], vcc
	s_cbranch_execz .LBB565_752
; %bb.749:
	v_bfe_u32 v12, v4, 16, 7
	s_movk_i32 s7, 0x7f
	v_cmp_ne_u32_e32 vcc, s7, v12
	v_mov_b32_e32 v3, 0x7f800001
	s_and_saveexec_b64 s[10:11], vcc
	s_cbranch_execz .LBB565_751
; %bb.750:
	v_and_b32_e32 v13, 7, v2
	v_ffbh_u32_e32 v3, v13
	v_min_u32_e32 v15, 32, v3
	v_subrev_u32_e32 v3, 28, v15
	v_lshlrev_b64 v[2:3], v3, v[2:3]
	v_lshrrev_b32_e32 v14, 3, v12
	v_sub_u32_e32 v3, 29, v15
	v_and_b32_e32 v2, 7, v2
	v_cmp_gt_u32_e32 vcc, 8, v12
	v_mov_b32_e32 v12, 24
	v_cndmask_b32_e32 v3, v14, v3, vcc
	v_cndmask_b32_e32 v2, v13, v2, vcc
	v_lshlrev_b32_sdwa v12, v12, v4 dst_sel:DWORD dst_unused:UNUSED_PAD src0_sel:DWORD src1_sel:WORD_1
	v_bfrev_b32_e32 v13, 60
	v_lshlrev_b32_e32 v2, 20, v2
	v_and_b32_e32 v12, 0x80000000, v12
	v_lshl_add_u32 v3, v3, 23, v13
	v_or3_b32 v3, v12, v3, v2
.LBB565_751:
	s_or_b64 exec, exec, s[10:11]
.LBB565_752:
	s_or_b64 exec, exec, s[8:9]
.LBB565_753:
	s_or_b64 exec, exec, s[2:3]
	s_mov_b32 s2, 0xffffff
	v_cmp_lt_u32_e32 vcc, s2, v4
	v_mov_b32_e32 v12, 0
	v_mov_b32_e32 v13, 0
	s_and_saveexec_b64 s[2:3], vcc
	s_cbranch_execz .LBB565_759
; %bb.754:
	v_lshrrev_b32_e32 v2, 24, v4
	s_movk_i32 s7, 0x80
	v_cmp_ne_u32_e32 vcc, s7, v2
	v_bfrev_b32_e32 v13, 1
	s_and_saveexec_b64 s[8:9], vcc
	s_cbranch_execz .LBB565_758
; %bb.755:
	v_bfe_u32 v4, v4, 24, 7
	s_movk_i32 s7, 0x7f
	v_cmp_ne_u32_e32 vcc, s7, v4
	v_mov_b32_e32 v13, 0x7f800001
	s_and_saveexec_b64 s[10:11], vcc
	s_cbranch_execz .LBB565_757
; %bb.756:
	v_and_b32_e32 v13, 7, v2
	v_ffbh_u32_e32 v14, v13
	v_min_u32_e32 v17, 32, v14
	v_subrev_u32_e32 v14, 28, v17
	v_lshlrev_b64 v[14:15], v14, v[2:3]
	v_lshrrev_b32_e32 v16, 3, v4
	v_sub_u32_e32 v15, 29, v17
	v_and_b32_e32 v14, 7, v14
	v_cmp_gt_u32_e32 vcc, 8, v4
	v_cndmask_b32_e32 v4, v16, v15, vcc
	v_cndmask_b32_e32 v13, v13, v14, vcc
	v_lshlrev_b32_e32 v2, 24, v2
	v_bfrev_b32_e32 v14, 60
	v_lshlrev_b32_e32 v13, 20, v13
	v_and_b32_e32 v2, 0x80000000, v2
	v_lshl_add_u32 v4, v4, 23, v14
	v_or3_b32 v13, v2, v4, v13
.LBB565_757:
	s_or_b64 exec, exec, s[10:11]
.LBB565_758:
	s_or_b64 exec, exec, s[8:9]
.LBB565_759:
	s_or_b64 exec, exec, s[2:3]
	v_cmp_ne_u16_sdwa s[8:9], v5, v12 src0_sel:BYTE_0 src1_sel:DWORD
	s_and_saveexec_b64 s[2:3], s[8:9]
	s_cbranch_execz .LBB565_765
; %bb.760:
	s_movk_i32 s7, 0x80
	v_cmp_ne_u16_sdwa s[10:11], v5, s7 src0_sel:BYTE_0 src1_sel:DWORD
	v_bfrev_b32_e32 v12, 1
	s_and_saveexec_b64 s[8:9], s[10:11]
	s_cbranch_execz .LBB565_764
; %bb.761:
	s_movk_i32 s7, 0x7f
	v_and_b32_e32 v2, 0x7f, v5
	v_cmp_ne_u32_e32 vcc, s7, v2
	v_mov_b32_e32 v12, 0x7f800001
	s_and_saveexec_b64 s[10:11], vcc
	s_cbranch_execz .LBB565_763
; %bb.762:
	v_and_b32_e32 v12, 7, v5
	v_ffbh_u32_e32 v14, v12
	v_min_u32_e32 v17, 32, v14
	v_mov_b32_e32 v4, v5
	v_subrev_u32_e32 v14, 28, v17
	v_lshlrev_b64 v[14:15], v14, v[4:5]
	v_lshrrev_b32_e32 v16, 3, v2
	v_sub_u32_e32 v4, 29, v17
	v_and_b32_e32 v14, 7, v14
	v_cmp_gt_u32_e32 vcc, 8, v2
	v_cndmask_b32_e32 v2, v16, v4, vcc
	v_cndmask_b32_e32 v4, v12, v14, vcc
	v_lshlrev_b32_e32 v12, 24, v5
	v_bfrev_b32_e32 v14, 60
	v_lshlrev_b32_e32 v4, 20, v4
	v_and_b32_e32 v12, 0x80000000, v12
	v_lshl_add_u32 v2, v2, 23, v14
	v_or3_b32 v12, v12, v2, v4
.LBB565_763:
	s_or_b64 exec, exec, s[10:11]
.LBB565_764:
	s_or_b64 exec, exec, s[8:9]
.LBB565_765:
	s_or_b64 exec, exec, s[2:3]
	v_lshrrev_b16_e32 v2, 8, v5
	v_cmp_ne_u16_e32 vcc, 0, v2
	v_mov_b32_e32 v4, 0
	v_mov_b32_e32 v14, 0
	s_and_saveexec_b64 s[2:3], vcc
	s_cbranch_execz .LBB565_771
; %bb.766:
	s_movk_i32 s7, 0x80
	v_cmp_ne_u16_e32 vcc, s7, v2
	v_bfrev_b32_e32 v14, 1
	s_and_saveexec_b64 s[8:9], vcc
	s_cbranch_execz .LBB565_770
; %bb.767:
	s_movk_i32 s7, 0x7f
	v_and_b32_e32 v15, 0x7f, v2
	v_cmp_ne_u32_e32 vcc, s7, v15
	v_mov_b32_e32 v14, 0x7f800001
	s_and_saveexec_b64 s[10:11], vcc
	s_cbranch_execz .LBB565_769
; %bb.768:
	v_and_b32_e32 v14, 7, v2
	v_ffbh_u32_e32 v16, v14
	v_min_u32_e32 v19, 32, v16
	v_subrev_u32_e32 v16, 28, v19
	v_lshlrev_b64 v[16:17], v16, v[2:3]
	v_lshrrev_b32_e32 v18, 3, v15
	v_sub_u32_e32 v2, 29, v19
	v_and_b32_e32 v16, 7, v16
	v_cmp_gt_u32_e32 vcc, 8, v15
	v_cndmask_b32_e32 v2, v18, v2, vcc
	v_cndmask_b32_e32 v14, v14, v16, vcc
	v_lshlrev_b32_e32 v15, 16, v5
	v_bfrev_b32_e32 v16, 60
	v_lshlrev_b32_e32 v14, 20, v14
	v_and_b32_e32 v15, 0x80000000, v15
	v_lshl_add_u32 v2, v2, 23, v16
	v_or3_b32 v14, v15, v2, v14
.LBB565_769:
	s_or_b64 exec, exec, s[10:11]
.LBB565_770:
	s_or_b64 exec, exec, s[8:9]
.LBB565_771:
	s_or_b64 exec, exec, s[2:3]
	s_movk_i32 s2, 0xff
	v_and_b32_sdwa v15, v5, s2 dst_sel:DWORD dst_unused:UNUSED_PAD src0_sel:WORD_1 src1_sel:DWORD
	v_lshrrev_b32_e32 v2, 16, v5
	v_cmp_ne_u16_e32 vcc, 0, v15
	s_and_saveexec_b64 s[2:3], vcc
	s_cbranch_execz .LBB565_777
; %bb.772:
	s_movk_i32 s7, 0x80
	v_cmp_ne_u16_e32 vcc, s7, v15
	v_bfrev_b32_e32 v4, 1
	s_and_saveexec_b64 s[8:9], vcc
	s_cbranch_execz .LBB565_776
; %bb.773:
	v_bfe_u32 v15, v5, 16, 7
	s_movk_i32 s7, 0x7f
	v_cmp_ne_u32_e32 vcc, s7, v15
	v_mov_b32_e32 v4, 0x7f800001
	s_and_saveexec_b64 s[10:11], vcc
	s_cbranch_execz .LBB565_775
; %bb.774:
	v_and_b32_e32 v4, 7, v2
	v_ffbh_u32_e32 v16, v4
	v_min_u32_e32 v19, 32, v16
	v_subrev_u32_e32 v16, 28, v19
	v_lshlrev_b64 v[16:17], v16, v[2:3]
	v_lshrrev_b32_e32 v18, 3, v15
	v_sub_u32_e32 v2, 29, v19
	v_and_b32_e32 v16, 7, v16
	v_cmp_gt_u32_e32 vcc, 8, v15
	v_mov_b32_e32 v15, 24
	v_cndmask_b32_e32 v2, v18, v2, vcc
	v_cndmask_b32_e32 v4, v4, v16, vcc
	v_lshlrev_b32_sdwa v15, v15, v5 dst_sel:DWORD dst_unused:UNUSED_PAD src0_sel:DWORD src1_sel:WORD_1
	v_bfrev_b32_e32 v16, 60
	v_lshlrev_b32_e32 v4, 20, v4
	v_and_b32_e32 v15, 0x80000000, v15
	v_lshl_add_u32 v2, v2, 23, v16
	v_or3_b32 v4, v15, v2, v4
.LBB565_775:
	s_or_b64 exec, exec, s[10:11]
.LBB565_776:
	s_or_b64 exec, exec, s[8:9]
.LBB565_777:
	s_or_b64 exec, exec, s[2:3]
	s_mov_b32 s2, 0xffffff
	v_cmp_lt_u32_e32 vcc, s2, v5
	v_mov_b32_e32 v15, 0
	s_and_saveexec_b64 s[2:3], vcc
	s_cbranch_execz .LBB565_783
; %bb.778:
	v_lshrrev_b32_e32 v2, 24, v5
	s_movk_i32 s7, 0x80
	v_cmp_ne_u32_e32 vcc, s7, v2
	v_bfrev_b32_e32 v15, 1
	s_and_saveexec_b64 s[8:9], vcc
	s_cbranch_execz .LBB565_782
; %bb.779:
	v_bfe_u32 v5, v5, 24, 7
	s_movk_i32 s7, 0x7f
	v_cmp_ne_u32_e32 vcc, s7, v5
	v_mov_b32_e32 v15, 0x7f800001
	s_and_saveexec_b64 s[10:11], vcc
	s_cbranch_execz .LBB565_781
; %bb.780:
	v_and_b32_e32 v15, 7, v2
	v_ffbh_u32_e32 v16, v15
	v_min_u32_e32 v19, 32, v16
	v_subrev_u32_e32 v16, 28, v19
	v_lshlrev_b64 v[16:17], v16, v[2:3]
	v_lshrrev_b32_e32 v18, 3, v5
	v_sub_u32_e32 v17, 29, v19
	v_and_b32_e32 v16, 7, v16
	v_cmp_gt_u32_e32 vcc, 8, v5
	v_cndmask_b32_e32 v5, v18, v17, vcc
	v_cndmask_b32_e32 v15, v15, v16, vcc
	v_lshlrev_b32_e32 v2, 24, v2
	v_bfrev_b32_e32 v16, 60
	v_lshlrev_b32_e32 v15, 20, v15
	v_and_b32_e32 v2, 0x80000000, v2
	v_lshl_add_u32 v5, v5, 23, v16
	v_or3_b32 v15, v2, v5, v15
.LBB565_781:
	s_or_b64 exec, exec, s[10:11]
.LBB565_782:
	s_or_b64 exec, exec, s[8:9]
.LBB565_783:
	s_or_b64 exec, exec, s[2:3]
	v_cvt_pkrtz_f16_f32 v2, v10, v11
	v_cvt_pkrtz_f16_f32 v3, v3, v13
	ds_read_b128 v[16:19], v22 offset:6160
	s_load_dword s2, s[42:43], 0x0
	v_cmp_gt_u32_e32 vcc, 64, v0
	s_waitcnt lgkmcnt(0)
	v_mfma_f32_16x16x16f16 v[6:9], v[2:3], v[16:17], v[6:9]
	v_cvt_pkrtz_f16_f32 v2, v12, v14
	v_cvt_pkrtz_f16_f32 v3, v4, v15
	s_and_b64 s[0:1], vcc, s[0:1]
	s_barrier
	v_mfma_f32_16x16x16f16 v[2:5], v[2:3], v[18:19], v[6:9]
	s_nop 7
	s_nop 2
	v_pk_mul_f32 v[4:5], v[4:5], s[2:3] op_sel_hi:[1,0]
	v_pk_mul_f32 v[2:3], v[2:3], s[2:3] op_sel_hi:[1,0]
	v_cvt_f16_f32_e32 v2, v2
	v_cvt_f16_f32_e32 v3, v3
	;; [unrolled: 1-line block ×4, first 2 shown]
	v_pack_b32_f16 v2, v2, v3
	v_pack_b32_f16 v3, v4, v5
	ds_write_b64 v28, v[2:3]
	s_waitcnt lgkmcnt(0)
	s_barrier
	s_and_saveexec_b64 s[2:3], s[0:1]
	s_cbranch_execz .LBB565_785
; %bb.784:
	s_load_dwordx2 s[0:1], s[4:5], 0x68
	s_lshl_b32 s4, s44, 6
	s_mul_i32 s2, s12, s6
	s_mul_hi_u32 s3, s2, s4
	s_mul_i32 s2, s2, s4
	s_lshl_b64 s[2:3], s[2:3], 1
	s_waitcnt lgkmcnt(0)
	s_add_u32 s2, s0, s2
	s_addc_u32 s3, s1, s3
	s_lshl_b32 s0, s24, 6
	s_mov_b32 s1, 0
	v_lshlrev_b32_e32 v0, 10, v0
	s_lshl_b64 s[0:1], s[0:1], 1
	v_and_b32_e32 v0, 0x1800, v0
	v_lshlrev_b32_e32 v2, 5, v1
	v_and_b32_e32 v3, 16, v47
	s_add_u32 s0, s2, s0
	v_or3_b32 v0, v0, v2, v3
	s_addc_u32 s1, s3, s1
	ds_read_b128 v[2:5], v0
	ds_read_b128 v[6:9], v0 offset:128
	v_mov_b32_e32 v0, s1
	v_add_co_u32_e32 v10, vcc, s0, v46
	v_or_b32_e32 v12, s25, v1
	v_addc_co_u32_e32 v11, vcc, 0, v0, vcc
	v_mad_u64_u32 v[0:1], s[0:1], v12, s4, 0
	v_lshlrev_b64 v[0:1], 1, v[0:1]
	v_add_co_u32_e32 v0, vcc, v10, v0
	v_addc_co_u32_e32 v1, vcc, v11, v1, vcc
	s_waitcnt lgkmcnt(1)
	global_store_dwordx4 v[0:1], v[2:5], off
	v_or_b32_e32 v0, 4, v12
	v_mad_u64_u32 v[0:1], s[0:1], v0, s4, 0
	v_lshlrev_b64 v[0:1], 1, v[0:1]
	v_add_co_u32_e32 v0, vcc, v10, v0
	v_addc_co_u32_e32 v1, vcc, v11, v1, vcc
	s_waitcnt lgkmcnt(0)
	global_store_dwordx4 v[0:1], v[6:9], off
.LBB565_785:
	s_endpgm
	.section	.rodata,"a",@progbits
	.p2align	6, 0x0
	.amdhsa_kernel _Z39paged_attention_ll4mi_QKV_mfma16_kernelIDF16_hLN4vllm18Fp8KVCacheDataTypeE1EDF16_Li16ELi64ELi256ELb0ELi8EL8MFMAType0EEvPKT_PKT0_S8_ifPKiSA_SA_iPKfiiiPfSD_PS3_PT2_iSC_SC_
		.amdhsa_group_segment_fixed_size 8192
		.amdhsa_private_segment_fixed_size 0
		.amdhsa_kernarg_size 400
		.amdhsa_user_sgpr_count 6
		.amdhsa_user_sgpr_private_segment_buffer 1
		.amdhsa_user_sgpr_dispatch_ptr 0
		.amdhsa_user_sgpr_queue_ptr 0
		.amdhsa_user_sgpr_kernarg_segment_ptr 1
		.amdhsa_user_sgpr_dispatch_id 0
		.amdhsa_user_sgpr_flat_scratch_init 0
		.amdhsa_user_sgpr_kernarg_preload_length 0
		.amdhsa_user_sgpr_kernarg_preload_offset 0
		.amdhsa_user_sgpr_private_segment_size 0
		.amdhsa_uses_dynamic_stack 0
		.amdhsa_system_sgpr_private_segment_wavefront_offset 0
		.amdhsa_system_sgpr_workgroup_id_x 1
		.amdhsa_system_sgpr_workgroup_id_y 1
		.amdhsa_system_sgpr_workgroup_id_z 1
		.amdhsa_system_sgpr_workgroup_info 0
		.amdhsa_system_vgpr_workitem_id 0
		.amdhsa_next_free_vgpr 61
		.amdhsa_next_free_sgpr 47
		.amdhsa_accum_offset 64
		.amdhsa_reserve_vcc 1
		.amdhsa_reserve_flat_scratch 0
		.amdhsa_float_round_mode_32 0
		.amdhsa_float_round_mode_16_64 0
		.amdhsa_float_denorm_mode_32 3
		.amdhsa_float_denorm_mode_16_64 3
		.amdhsa_dx10_clamp 1
		.amdhsa_ieee_mode 1
		.amdhsa_fp16_overflow 0
		.amdhsa_tg_split 0
		.amdhsa_exception_fp_ieee_invalid_op 0
		.amdhsa_exception_fp_denorm_src 0
		.amdhsa_exception_fp_ieee_div_zero 0
		.amdhsa_exception_fp_ieee_overflow 0
		.amdhsa_exception_fp_ieee_underflow 0
		.amdhsa_exception_fp_ieee_inexact 0
		.amdhsa_exception_int_div_zero 0
	.end_amdhsa_kernel
	.section	.text._Z39paged_attention_ll4mi_QKV_mfma16_kernelIDF16_hLN4vllm18Fp8KVCacheDataTypeE1EDF16_Li16ELi64ELi256ELb0ELi8EL8MFMAType0EEvPKT_PKT0_S8_ifPKiSA_SA_iPKfiiiPfSD_PS3_PT2_iSC_SC_,"axG",@progbits,_Z39paged_attention_ll4mi_QKV_mfma16_kernelIDF16_hLN4vllm18Fp8KVCacheDataTypeE1EDF16_Li16ELi64ELi256ELb0ELi8EL8MFMAType0EEvPKT_PKT0_S8_ifPKiSA_SA_iPKfiiiPfSD_PS3_PT2_iSC_SC_,comdat
.Lfunc_end565:
	.size	_Z39paged_attention_ll4mi_QKV_mfma16_kernelIDF16_hLN4vllm18Fp8KVCacheDataTypeE1EDF16_Li16ELi64ELi256ELb0ELi8EL8MFMAType0EEvPKT_PKT0_S8_ifPKiSA_SA_iPKfiiiPfSD_PS3_PT2_iSC_SC_, .Lfunc_end565-_Z39paged_attention_ll4mi_QKV_mfma16_kernelIDF16_hLN4vllm18Fp8KVCacheDataTypeE1EDF16_Li16ELi64ELi256ELb0ELi8EL8MFMAType0EEvPKT_PKT0_S8_ifPKiSA_SA_iPKfiiiPfSD_PS3_PT2_iSC_SC_
                                        ; -- End function
	.section	.AMDGPU.csdata,"",@progbits
; Kernel info:
; codeLenInByte = 26880
; NumSgprs: 51
; NumVgprs: 61
; NumAgprs: 0
; TotalNumVgprs: 61
; ScratchSize: 0
; MemoryBound: 0
; FloatMode: 240
; IeeeMode: 1
; LDSByteSize: 8192 bytes/workgroup (compile time only)
; SGPRBlocks: 6
; VGPRBlocks: 7
; NumSGPRsForWavesPerEU: 51
; NumVGPRsForWavesPerEU: 61
; AccumOffset: 64
; Occupancy: 8
; WaveLimiterHint : 1
; COMPUTE_PGM_RSRC2:SCRATCH_EN: 0
; COMPUTE_PGM_RSRC2:USER_SGPR: 6
; COMPUTE_PGM_RSRC2:TRAP_HANDLER: 0
; COMPUTE_PGM_RSRC2:TGID_X_EN: 1
; COMPUTE_PGM_RSRC2:TGID_Y_EN: 1
; COMPUTE_PGM_RSRC2:TGID_Z_EN: 1
; COMPUTE_PGM_RSRC2:TIDIG_COMP_CNT: 0
; COMPUTE_PGM_RSRC3_GFX90A:ACCUM_OFFSET: 15
; COMPUTE_PGM_RSRC3_GFX90A:TG_SPLIT: 0
	.section	.text._Z39paged_attention_ll4mi_QKV_mfma16_kernelIDF16_hLN4vllm18Fp8KVCacheDataTypeE1EDF16_Li16ELi64ELi256ELb0ELi9EL8MFMAType0EEvPKT_PKT0_S8_ifPKiSA_SA_iPKfiiiPfSD_PS3_PT2_iSC_SC_,"axG",@progbits,_Z39paged_attention_ll4mi_QKV_mfma16_kernelIDF16_hLN4vllm18Fp8KVCacheDataTypeE1EDF16_Li16ELi64ELi256ELb0ELi9EL8MFMAType0EEvPKT_PKT0_S8_ifPKiSA_SA_iPKfiiiPfSD_PS3_PT2_iSC_SC_,comdat
	.protected	_Z39paged_attention_ll4mi_QKV_mfma16_kernelIDF16_hLN4vllm18Fp8KVCacheDataTypeE1EDF16_Li16ELi64ELi256ELb0ELi9EL8MFMAType0EEvPKT_PKT0_S8_ifPKiSA_SA_iPKfiiiPfSD_PS3_PT2_iSC_SC_ ; -- Begin function _Z39paged_attention_ll4mi_QKV_mfma16_kernelIDF16_hLN4vllm18Fp8KVCacheDataTypeE1EDF16_Li16ELi64ELi256ELb0ELi9EL8MFMAType0EEvPKT_PKT0_S8_ifPKiSA_SA_iPKfiiiPfSD_PS3_PT2_iSC_SC_
	.globl	_Z39paged_attention_ll4mi_QKV_mfma16_kernelIDF16_hLN4vllm18Fp8KVCacheDataTypeE1EDF16_Li16ELi64ELi256ELb0ELi9EL8MFMAType0EEvPKT_PKT0_S8_ifPKiSA_SA_iPKfiiiPfSD_PS3_PT2_iSC_SC_
	.p2align	8
	.type	_Z39paged_attention_ll4mi_QKV_mfma16_kernelIDF16_hLN4vllm18Fp8KVCacheDataTypeE1EDF16_Li16ELi64ELi256ELb0ELi9EL8MFMAType0EEvPKT_PKT0_S8_ifPKiSA_SA_iPKfiiiPfSD_PS3_PT2_iSC_SC_,@function
_Z39paged_attention_ll4mi_QKV_mfma16_kernelIDF16_hLN4vllm18Fp8KVCacheDataTypeE1EDF16_Li16ELi64ELi256ELb0ELi9EL8MFMAType0EEvPKT_PKT0_S8_ifPKiSA_SA_iPKfiiiPfSD_PS3_PT2_iSC_SC_: ; @_Z39paged_attention_ll4mi_QKV_mfma16_kernelIDF16_hLN4vllm18Fp8KVCacheDataTypeE1EDF16_Li16ELi64ELi256ELb0ELi9EL8MFMAType0EEvPKT_PKT0_S8_ifPKiSA_SA_iPKfiiiPfSD_PS3_PT2_iSC_SC_
; %bb.0:
	s_load_dwordx2 s[0:1], s[4:5], 0x30
	s_mov_b32 s24, s7
	s_mov_b64 s[10:11], 0
	s_waitcnt lgkmcnt(0)
	s_cmp_lg_u64 s[0:1], 0
	s_cselect_b64 s[2:3], -1, 0
	s_and_b64 vcc, exec, s[2:3]
	s_cbranch_vccz .LBB566_7
; %bb.1:
	s_add_i32 s12, s6, 1
	s_mov_b32 s13, 0
	s_lshl_b64 s[14:15], s[12:13], 2
	s_add_u32 s14, s0, s14
	s_mov_b32 s7, s13
	s_addc_u32 s15, s1, s15
	s_lshl_b64 s[12:13], s[6:7], 2
	s_add_u32 s12, s0, s12
	s_addc_u32 s13, s1, s13
	s_load_dword s9, s[14:15], 0x0
	s_load_dword s16, s[12:13], 0x0
	s_waitcnt lgkmcnt(0)
	s_sub_i32 s9, s9, s16
	s_cmp_eq_u32 s9, 1
	s_cselect_b64 s[12:13], -1, 0
	s_andn2_b64 vcc, exec, s[10:11]
	s_cbranch_vccnz .LBB566_3
.LBB566_2:
	s_mov_b32 s7, 0
	s_mov_b64 s[12:13], -1
.LBB566_3:
	s_andn2_b64 vcc, exec, s[12:13]
	s_cbranch_vccnz .LBB566_786
; %bb.4:
	s_load_dwordx2 s[12:13], s[4:5], 0x28
	s_lshl_b64 s[10:11], s[6:7], 2
	s_waitcnt lgkmcnt(0)
	s_add_u32 s12, s12, s10
	s_addc_u32 s13, s13, s11
	s_load_dword s33, s[12:13], 0x0
	s_lshl_b32 s20, s24, 8
	s_waitcnt lgkmcnt(0)
	s_cmp_ge_i32 s20, s33
	s_cbranch_scc1 .LBB566_786
; %bb.5:
	s_add_i32 s14, s33, 15
	s_load_dwordx2 s[12:13], s[4:5], 0x20
	s_load_dword s9, s[4:5], 0x38
	s_ashr_i32 s15, s14, 31
	v_and_b32_e32 v1, 0xcf, v0
	s_lshr_b32 s15, s15, 28
	v_add_u32_e32 v1, s20, v1
	s_add_i32 s14, s14, s15
	v_ashrrev_i32_e32 v2, 31, v1
	s_ashr_i32 s22, s14, 4
	v_lshrrev_b32_e32 v4, 28, v2
	s_add_i32 s22, s22, -1
	v_add_u32_e32 v2, v1, v4
	s_waitcnt lgkmcnt(0)
	s_mul_i32 s14, s6, s9
	s_mov_b32 s15, 0
	v_ashrrev_i32_e32 v2, 4, v2
	v_mov_b32_e32 v5, s22
	v_cmp_gt_i32_e32 vcc, s33, v1
	s_lshl_b64 s[14:15], s[14:15], 2
	v_cndmask_b32_e32 v2, v5, v2, vcc
	s_add_u32 s9, s12, s14
	v_ashrrev_i32_e32 v3, 31, v2
	s_addc_u32 s21, s13, s15
	v_lshlrev_b64 v[2:3], 2, v[2:3]
	v_mov_b32_e32 v7, s21
	v_add_co_u32_e32 v6, vcc, s9, v2
	v_or_b32_e32 v2, 16, v1
	v_addc_co_u32_e32 v7, vcc, v7, v3, vcc
	v_add_u32_e32 v3, v2, v4
	v_ashrrev_i32_e32 v3, 4, v3
	v_cmp_gt_i32_e32 vcc, s33, v2
	v_cndmask_b32_e32 v2, v5, v3, vcc
	v_ashrrev_i32_e32 v3, 31, v2
	v_lshlrev_b64 v[2:3], 2, v[2:3]
	v_mov_b32_e32 v9, s21
	v_add_co_u32_e32 v8, vcc, s9, v2
	v_or_b32_e32 v2, 32, v1
	v_addc_co_u32_e32 v9, vcc, v9, v3, vcc
	v_add_u32_e32 v3, v2, v4
	v_ashrrev_i32_e32 v3, 4, v3
	v_cmp_gt_i32_e32 vcc, s33, v2
	v_cndmask_b32_e32 v2, v5, v3, vcc
	v_ashrrev_i32_e32 v3, 31, v2
	;; [unrolled: 10-line block ×3, first 2 shown]
	v_lshlrev_b64 v[2:3], 2, v[2:3]
	v_mov_b32_e32 v1, s21
	v_add_co_u32_e32 v12, vcc, s9, v2
	v_addc_co_u32_e32 v13, vcc, v1, v3, vcc
	global_load_dword v4, v[6:7], off
	global_load_dword v5, v[8:9], off
	;; [unrolled: 1-line block ×4, first 2 shown]
	s_load_dwordx4 s[12:15], s[4:5], 0x8
	s_andn2_b64 vcc, exec, s[2:3]
	s_cbranch_vccnz .LBB566_8
; %bb.6:
	s_add_u32 s0, s0, s10
	s_addc_u32 s1, s1, s11
	s_load_dword s10, s[0:1], 0x0
	s_branch .LBB566_9
.LBB566_7:
	s_mov_b64 s[12:13], 0
	s_branch .LBB566_2
.LBB566_8:
	s_mov_b32 s10, s6
.LBB566_9:
	s_load_dwordx4 s[16:19], s[4:5], 0x48
	v_lshrrev_b32_e32 v49, 6, v0
	v_bfe_u32 v1, v0, 4, 2
	v_lshl_or_b32 v6, v49, 2, v1
	v_and_b32_e32 v48, 15, v0
	v_lshlrev_b32_e32 v7, 3, v48
	v_cmp_gt_u32_e32 vcc, 9, v6
	v_cmp_gt_u32_e64 s[0:1], 8, v48
	s_mul_i32 s25, s8, 9
	s_and_b64 s[26:27], s[0:1], vcc
	v_lshlrev_b32_e32 v46, 1, v7
	v_lshlrev_b32_e32 v47, 4, v0
	s_and_saveexec_b64 s[2:3], s[26:27]
	s_cbranch_execz .LBB566_11
; %bb.10:
	s_load_dwordx2 s[26:27], s[4:5], 0x0
	s_waitcnt lgkmcnt(0)
	s_ashr_i32 s11, s16, 31
	s_mul_hi_u32 s19, s10, s16
	s_mul_i32 s11, s10, s11
	s_add_i32 s11, s19, s11
	s_mul_i32 s10, s10, s16
	s_lshl_b64 s[10:11], s[10:11], 1
	v_add_lshl_u32 v8, v6, s25, 6
	s_add_u32 s10, s26, s10
	v_ashrrev_i32_e32 v9, 31, v8
	s_addc_u32 s11, s27, s11
	v_lshlrev_b64 v[8:9], 1, v[8:9]
	v_mov_b32_e32 v7, s11
	v_add_co_u32_e32 v8, vcc, s10, v8
	v_addc_co_u32_e32 v7, vcc, v7, v9, vcc
	v_add_co_u32_e32 v8, vcc, v8, v46
	v_addc_co_u32_e32 v9, vcc, 0, v7, vcc
	global_load_dwordx4 v[8:11], v[8:9], off
	v_lshlrev_b32_e32 v12, 8, v48
	v_lshlrev_b32_e32 v6, 5, v6
	v_and_b32_e32 v7, 16, v47
	v_and_b32_e32 v12, 0xe00, v12
	v_or3_b32 v6, v12, v6, v7
	s_waitcnt vmcnt(0)
	ds_write_b128 v6, v[8:11]
.LBB566_11:
	s_or_b64 exec, exec, s[2:3]
	v_and_b32_e32 v12, 48, v0
	v_or_b32_e32 v13, s20, v12
	v_ashrrev_i32_e32 v6, 4, v13
	v_mov_b32_e32 v14, s22
	v_cmp_gt_i32_e32 vcc, s33, v13
	v_cndmask_b32_e32 v6, v14, v6, vcc
	v_ashrrev_i32_e32 v7, 31, v6
	v_lshlrev_b64 v[6:7], 2, v[6:7]
	v_mov_b32_e32 v8, s21
	v_add_co_u32_e32 v6, vcc, s9, v6
	v_addc_co_u32_e32 v7, vcc, v8, v7, vcc
	v_or_b32_e32 v8, 64, v13
	v_ashrrev_i32_e32 v9, 4, v8
	v_cmp_gt_i32_e32 vcc, s33, v8
	v_cndmask_b32_e32 v8, v14, v9, vcc
	v_ashrrev_i32_e32 v9, 31, v8
	v_lshlrev_b64 v[8:9], 2, v[8:9]
	v_mov_b32_e32 v10, s21
	v_add_co_u32_e32 v8, vcc, s9, v8
	v_addc_co_u32_e32 v9, vcc, v10, v9, vcc
	v_or_b32_e32 v10, 0x80, v13
	v_ashrrev_i32_e32 v11, 4, v10
	v_cmp_gt_i32_e32 vcc, s33, v10
	v_cndmask_b32_e32 v10, v14, v11, vcc
	v_ashrrev_i32_e32 v11, 31, v10
	v_lshlrev_b64 v[10:11], 2, v[10:11]
	v_mov_b32_e32 v15, s21
	v_add_co_u32_e32 v10, vcc, s9, v10
	s_load_dwordx2 s[44:45], s[4:5], 0x94
	s_load_dwordx4 s[40:43], s[4:5], 0x80
	s_waitcnt lgkmcnt(0)
	s_barrier
	v_addc_co_u32_e32 v11, vcc, v15, v11, vcc
	global_load_dword v15, v[6:7], off
	global_load_dword v16, v[8:9], off
	;; [unrolled: 1-line block ×3, first 2 shown]
	v_or_b32_e32 v6, 0xc0, v13
	v_ashrrev_i32_e32 v7, 4, v6
	v_cmp_gt_i32_e32 vcc, s33, v6
	v_cndmask_b32_e32 v6, v14, v7, vcc
	v_ashrrev_i32_e32 v7, 31, v6
	v_lshlrev_b64 v[6:7], 2, v[6:7]
	v_mov_b32_e32 v8, s21
	v_add_co_u32_e32 v6, vcc, s9, v6
	v_addc_co_u32_e32 v7, vcc, v8, v7, vcc
	global_load_dword v20, v[6:7], off
	s_mul_i32 s8, s8, s18
	s_add_u32 s2, s12, s8
	s_addc_u32 s3, s13, 0
	v_and_b32_e32 v6, 0xf0, v47
	v_mov_b32_e32 v7, s3
	v_add_co_u32_e32 v6, vcc, s2, v6
	v_addc_co_u32_e32 v7, vcc, 0, v7, vcc
	v_lshlrev_b32_e32 v8, 4, v12
	v_add_co_u32_e32 v6, vcc, v6, v8
	v_addc_co_u32_e32 v7, vcc, 0, v7, vcc
	s_waitcnt vmcnt(7)
	v_mad_i64_i32 v[8:9], s[2:3], v4, s17, v[6:7]
	s_waitcnt vmcnt(6)
	v_mad_i64_i32 v[4:5], s[2:3], v5, s17, v[6:7]
	global_load_dwordx4 v[30:33], v[8:9], off
	global_load_dwordx4 v[38:41], v[4:5], off
	s_waitcnt vmcnt(7)
	v_mad_i64_i32 v[4:5], s[2:3], v2, s17, v[6:7]
	s_waitcnt vmcnt(6)
	v_mad_i64_i32 v[2:3], s[2:3], v3, s17, v[6:7]
	global_load_dwordx4 v[34:37], v[4:5], off
	global_load_dwordx4 v[22:25], v[2:3], off
	s_add_u32 s2, s14, s8
	v_lshlrev_b32_e32 v2, 4, v48
	s_addc_u32 s3, s15, 0
	v_lshl_or_b32 v2, v49, 8, v2
	v_mov_b32_e32 v3, s3
	v_add_co_u32_e32 v2, vcc, s2, v2
	v_addc_co_u32_e32 v3, vcc, 0, v3, vcc
	v_cmp_gt_u32_e32 vcc, 9, v48
	v_mov_b32_e32 v43, 0
	s_movk_i32 s8, 0x80
	v_mov_b32_e32 v44, 0
	s_waitcnt vmcnt(7)
	v_mad_i64_i32 v[4:5], s[2:3], v15, s17, v[2:3]
	s_waitcnt vmcnt(6)
	v_mad_i64_i32 v[6:7], s[2:3], v16, s17, v[2:3]
	;; [unrolled: 2-line block ×3, first 2 shown]
	global_load_dwordx4 v[14:17], v[4:5], off
	global_load_dwordx4 v[10:13], v[6:7], off
	s_waitcnt vmcnt(6)
	v_mad_i64_i32 v[20:21], s[2:3], v20, s17, v[2:3]
	global_load_dwordx4 v[6:9], v[18:19], off
	global_load_dwordx4 v[2:5], v[20:21], off
	v_add_u32_e32 v18, -9, v48
	v_cndmask_b32_e32 v18, v18, v48, vcc
	v_lshlrev_b32_e32 v18, 5, v18
	v_lshl_add_u32 v18, v1, 9, v18
	ds_read_b128 v[26:29], v18
	ds_read_b128 v[18:21], v18 offset:16
	s_load_dword s12, s[40:41], 0x0
	s_waitcnt vmcnt(7)
	v_cmp_ne_u16_sdwa s[10:11], v30, v43 src0_sel:BYTE_0 src1_sel:DWORD
	s_and_saveexec_b64 s[2:3], s[10:11]
	s_cbranch_execz .LBB566_17
; %bb.12:
	v_cmp_ne_u16_sdwa s[10:11], v30, s8 src0_sel:BYTE_0 src1_sel:DWORD
	v_bfrev_b32_e32 v44, 1
	s_and_saveexec_b64 s[8:9], s[10:11]
	s_cbranch_execz .LBB566_16
; %bb.13:
	s_movk_i32 s10, 0x7f
	v_and_b32_e32 v42, 0x7f, v30
	v_cmp_ne_u32_e32 vcc, s10, v42
	v_mov_b32_e32 v44, 0x7f800001
	s_and_saveexec_b64 s[10:11], vcc
	s_cbranch_execz .LBB566_15
; %bb.14:
	v_and_b32_e32 v50, 7, v30
	v_ffbh_u32_e32 v44, v50
	v_min_u32_e32 v52, 32, v44
	v_subrev_u32_e32 v44, 28, v52
	v_lshlrev_b64 v[44:45], v44, v[30:31]
	v_lshrrev_b32_e32 v51, 3, v42
	v_sub_u32_e32 v45, 29, v52
	v_and_b32_e32 v44, 7, v44
	v_cmp_gt_u32_e32 vcc, 8, v42
	v_cndmask_b32_e32 v42, v51, v45, vcc
	v_cndmask_b32_e32 v44, v50, v44, vcc
	v_lshlrev_b32_e32 v45, 24, v30
	v_bfrev_b32_e32 v50, 60
	v_lshlrev_b32_e32 v44, 20, v44
	v_and_b32_e32 v45, 0x80000000, v45
	v_lshl_add_u32 v42, v42, 23, v50
	v_or3_b32 v44, v45, v42, v44
.LBB566_15:
	s_or_b64 exec, exec, s[10:11]
.LBB566_16:
	s_or_b64 exec, exec, s[8:9]
.LBB566_17:
	s_or_b64 exec, exec, s[2:3]
	v_lshrrev_b16_e32 v42, 8, v30
	v_cmp_ne_u16_e32 vcc, 0, v42
	s_and_saveexec_b64 s[2:3], vcc
	s_cbranch_execz .LBB566_23
; %bb.18:
	s_movk_i32 s8, 0x80
	v_cmp_ne_u16_e32 vcc, s8, v42
	v_bfrev_b32_e32 v43, 1
	s_and_saveexec_b64 s[8:9], vcc
	s_cbranch_execz .LBB566_22
; %bb.19:
	s_movk_i32 s10, 0x7f
	v_and_b32_e32 v45, 0x7f, v42
	v_cmp_ne_u32_e32 vcc, s10, v45
	v_mov_b32_e32 v43, 0x7f800001
	s_and_saveexec_b64 s[10:11], vcc
	s_cbranch_execz .LBB566_21
; %bb.20:
	v_and_b32_e32 v50, 7, v42
	v_ffbh_u32_e32 v43, v50
	v_min_u32_e32 v52, 32, v43
	v_subrev_u32_e32 v43, 28, v52
	v_lshlrev_b64 v[42:43], v43, v[42:43]
	v_lshrrev_b32_e32 v51, 3, v45
	v_sub_u32_e32 v43, 29, v52
	v_and_b32_e32 v42, 7, v42
	v_cmp_gt_u32_e32 vcc, 8, v45
	v_cndmask_b32_e32 v43, v51, v43, vcc
	v_cndmask_b32_e32 v42, v50, v42, vcc
	v_lshlrev_b32_e32 v45, 16, v30
	v_bfrev_b32_e32 v50, 60
	v_lshlrev_b32_e32 v42, 20, v42
	v_and_b32_e32 v45, 0x80000000, v45
	v_lshl_add_u32 v43, v43, 23, v50
	v_or3_b32 v43, v45, v43, v42
.LBB566_21:
	s_or_b64 exec, exec, s[10:11]
.LBB566_22:
	s_or_b64 exec, exec, s[8:9]
.LBB566_23:
	s_or_b64 exec, exec, s[2:3]
	s_movk_i32 s2, 0xff
	v_and_b32_sdwa v51, v30, s2 dst_sel:DWORD dst_unused:UNUSED_PAD src0_sel:WORD_1 src1_sel:DWORD
	v_lshrrev_b32_e32 v42, 16, v30
	v_cmp_ne_u16_e32 vcc, 0, v51
	v_mov_b32_e32 v45, 0
	v_mov_b32_e32 v50, 0
	s_and_saveexec_b64 s[2:3], vcc
	s_cbranch_execz .LBB566_29
; %bb.24:
	s_movk_i32 s8, 0x80
	v_cmp_ne_u16_e32 vcc, s8, v51
	v_bfrev_b32_e32 v50, 1
	s_and_saveexec_b64 s[8:9], vcc
	s_cbranch_execz .LBB566_28
; %bb.25:
	v_bfe_u32 v51, v30, 16, 7
	s_movk_i32 s10, 0x7f
	v_cmp_ne_u32_e32 vcc, s10, v51
	v_mov_b32_e32 v50, 0x7f800001
	s_and_saveexec_b64 s[10:11], vcc
	s_cbranch_execz .LBB566_27
; %bb.26:
	v_and_b32_e32 v50, 7, v42
	v_ffbh_u32_e32 v52, v50
	v_min_u32_e32 v55, 32, v52
	v_subrev_u32_e32 v52, 28, v55
	v_lshlrev_b64 v[52:53], v52, v[42:43]
	v_lshrrev_b32_e32 v54, 3, v51
	v_sub_u32_e32 v42, 29, v55
	v_and_b32_e32 v52, 7, v52
	v_cmp_gt_u32_e32 vcc, 8, v51
	v_mov_b32_e32 v51, 24
	v_cndmask_b32_e32 v42, v54, v42, vcc
	v_cndmask_b32_e32 v50, v50, v52, vcc
	v_lshlrev_b32_sdwa v51, v51, v30 dst_sel:DWORD dst_unused:UNUSED_PAD src0_sel:DWORD src1_sel:WORD_1
	v_bfrev_b32_e32 v52, 60
	v_lshlrev_b32_e32 v50, 20, v50
	v_and_b32_e32 v51, 0x80000000, v51
	v_lshl_add_u32 v42, v42, 23, v52
	v_or3_b32 v50, v51, v42, v50
.LBB566_27:
	s_or_b64 exec, exec, s[10:11]
.LBB566_28:
	s_or_b64 exec, exec, s[8:9]
.LBB566_29:
	s_or_b64 exec, exec, s[2:3]
	s_mov_b32 s2, 0xffffff
	v_cmp_lt_u32_e32 vcc, s2, v30
	s_and_saveexec_b64 s[2:3], vcc
	s_cbranch_execz .LBB566_35
; %bb.30:
	v_lshrrev_b32_e32 v42, 24, v30
	s_movk_i32 s8, 0x80
	v_cmp_ne_u32_e32 vcc, s8, v42
	v_bfrev_b32_e32 v45, 1
	s_and_saveexec_b64 s[8:9], vcc
	s_cbranch_execz .LBB566_34
; %bb.31:
	v_bfe_u32 v30, v30, 24, 7
	s_movk_i32 s10, 0x7f
	v_cmp_ne_u32_e32 vcc, s10, v30
	v_mov_b32_e32 v45, 0x7f800001
	s_and_saveexec_b64 s[10:11], vcc
	s_cbranch_execz .LBB566_33
; %bb.32:
	v_and_b32_e32 v45, 7, v42
	v_ffbh_u32_e32 v52, v45
	v_min_u32_e32 v54, 32, v52
	v_subrev_u32_e32 v52, 28, v54
	v_lshlrev_b64 v[52:53], v52, v[42:43]
	v_lshrrev_b32_e32 v51, 3, v30
	v_sub_u32_e32 v53, 29, v54
	v_and_b32_e32 v52, 7, v52
	v_cmp_gt_u32_e32 vcc, 8, v30
	v_cndmask_b32_e32 v30, v51, v53, vcc
	v_cndmask_b32_e32 v45, v45, v52, vcc
	v_lshlrev_b32_e32 v42, 24, v42
	v_bfrev_b32_e32 v51, 60
	v_lshlrev_b32_e32 v45, 20, v45
	v_and_b32_e32 v42, 0x80000000, v42
	v_lshl_add_u32 v30, v30, 23, v51
	v_or3_b32 v45, v42, v30, v45
.LBB566_33:
	s_or_b64 exec, exec, s[10:11]
.LBB566_34:
	s_or_b64 exec, exec, s[8:9]
.LBB566_35:
	s_or_b64 exec, exec, s[2:3]
	v_mov_b32_e32 v42, 0
	v_cmp_ne_u16_sdwa s[8:9], v31, v42 src0_sel:BYTE_0 src1_sel:DWORD
	v_mov_b32_e32 v51, 0
	s_and_saveexec_b64 s[2:3], s[8:9]
	s_cbranch_execz .LBB566_41
; %bb.36:
	s_movk_i32 s8, 0x80
	v_cmp_ne_u16_sdwa s[10:11], v31, s8 src0_sel:BYTE_0 src1_sel:DWORD
	v_bfrev_b32_e32 v51, 1
	s_and_saveexec_b64 s[8:9], s[10:11]
	s_cbranch_execz .LBB566_40
; %bb.37:
	s_movk_i32 s10, 0x7f
	v_and_b32_e32 v30, 0x7f, v31
	v_cmp_ne_u32_e32 vcc, s10, v30
	v_mov_b32_e32 v51, 0x7f800001
	s_and_saveexec_b64 s[10:11], vcc
	s_cbranch_execz .LBB566_39
; %bb.38:
	v_and_b32_e32 v51, 7, v31
	v_ffbh_u32_e32 v53, v51
	v_min_u32_e32 v55, 32, v53
	v_mov_b32_e32 v52, v31
	v_subrev_u32_e32 v53, 28, v55
	v_lshlrev_b64 v[52:53], v53, v[52:53]
	v_lshrrev_b32_e32 v54, 3, v30
	v_sub_u32_e32 v53, 29, v55
	v_and_b32_e32 v52, 7, v52
	v_cmp_gt_u32_e32 vcc, 8, v30
	v_cndmask_b32_e32 v30, v54, v53, vcc
	v_cndmask_b32_e32 v51, v51, v52, vcc
	v_lshlrev_b32_e32 v52, 24, v31
	v_bfrev_b32_e32 v53, 60
	v_lshlrev_b32_e32 v51, 20, v51
	v_and_b32_e32 v52, 0x80000000, v52
	v_lshl_add_u32 v30, v30, 23, v53
	v_or3_b32 v51, v52, v30, v51
.LBB566_39:
	s_or_b64 exec, exec, s[10:11]
.LBB566_40:
	s_or_b64 exec, exec, s[8:9]
.LBB566_41:
	s_or_b64 exec, exec, s[2:3]
	v_lshrrev_b16_e32 v30, 8, v31
	v_cmp_ne_u16_e32 vcc, 0, v30
	s_and_saveexec_b64 s[2:3], vcc
	s_cbranch_execz .LBB566_47
; %bb.42:
	s_movk_i32 s8, 0x80
	v_cmp_ne_u16_e32 vcc, s8, v30
	v_bfrev_b32_e32 v42, 1
	s_and_saveexec_b64 s[8:9], vcc
	s_cbranch_execz .LBB566_46
; %bb.43:
	s_movk_i32 s10, 0x7f
	v_and_b32_e32 v52, 0x7f, v30
	v_cmp_ne_u32_e32 vcc, s10, v52
	v_mov_b32_e32 v42, 0x7f800001
	s_and_saveexec_b64 s[10:11], vcc
	s_cbranch_execz .LBB566_45
; %bb.44:
	v_and_b32_e32 v42, 7, v30
	v_ffbh_u32_e32 v54, v42
	v_min_u32_e32 v56, 32, v54
	v_subrev_u32_e32 v54, 28, v56
	v_lshlrev_b64 v[54:55], v54, v[30:31]
	v_lshrrev_b32_e32 v53, 3, v52
	v_sub_u32_e32 v30, 29, v56
	v_and_b32_e32 v54, 7, v54
	v_cmp_gt_u32_e32 vcc, 8, v52
	v_cndmask_b32_e32 v30, v53, v30, vcc
	v_cndmask_b32_e32 v42, v42, v54, vcc
	v_lshlrev_b32_e32 v52, 16, v31
	v_bfrev_b32_e32 v53, 60
	v_lshlrev_b32_e32 v42, 20, v42
	v_and_b32_e32 v52, 0x80000000, v52
	v_lshl_add_u32 v30, v30, 23, v53
	v_or3_b32 v42, v52, v30, v42
.LBB566_45:
	s_or_b64 exec, exec, s[10:11]
.LBB566_46:
	s_or_b64 exec, exec, s[8:9]
.LBB566_47:
	s_or_b64 exec, exec, s[2:3]
	s_movk_i32 s2, 0xff
	v_and_b32_sdwa v54, v31, s2 dst_sel:DWORD dst_unused:UNUSED_PAD src0_sel:WORD_1 src1_sel:DWORD
	v_lshrrev_b32_e32 v30, 16, v31
	v_cmp_ne_u16_e32 vcc, 0, v54
	v_mov_b32_e32 v52, 0
	v_mov_b32_e32 v53, 0
	s_and_saveexec_b64 s[2:3], vcc
	s_cbranch_execz .LBB566_53
; %bb.48:
	s_movk_i32 s8, 0x80
	v_cmp_ne_u16_e32 vcc, s8, v54
	v_bfrev_b32_e32 v53, 1
	s_and_saveexec_b64 s[8:9], vcc
	s_cbranch_execz .LBB566_52
; %bb.49:
	v_bfe_u32 v54, v31, 16, 7
	s_movk_i32 s10, 0x7f
	v_cmp_ne_u32_e32 vcc, s10, v54
	v_mov_b32_e32 v53, 0x7f800001
	s_and_saveexec_b64 s[10:11], vcc
	s_cbranch_execz .LBB566_51
; %bb.50:
	v_and_b32_e32 v53, 7, v30
	v_ffbh_u32_e32 v56, v53
	v_min_u32_e32 v58, 32, v56
	v_subrev_u32_e32 v56, 28, v58
	v_lshlrev_b64 v[56:57], v56, v[30:31]
	v_lshrrev_b32_e32 v55, 3, v54
	v_sub_u32_e32 v30, 29, v58
	v_and_b32_e32 v56, 7, v56
	v_cmp_gt_u32_e32 vcc, 8, v54
	v_mov_b32_e32 v54, 24
	v_cndmask_b32_e32 v30, v55, v30, vcc
	v_cndmask_b32_e32 v53, v53, v56, vcc
	v_lshlrev_b32_sdwa v54, v54, v31 dst_sel:DWORD dst_unused:UNUSED_PAD src0_sel:DWORD src1_sel:WORD_1
	v_bfrev_b32_e32 v55, 60
	v_lshlrev_b32_e32 v53, 20, v53
	v_and_b32_e32 v54, 0x80000000, v54
	v_lshl_add_u32 v30, v30, 23, v55
	v_or3_b32 v53, v54, v30, v53
.LBB566_51:
	s_or_b64 exec, exec, s[10:11]
.LBB566_52:
	s_or_b64 exec, exec, s[8:9]
.LBB566_53:
	s_or_b64 exec, exec, s[2:3]
	s_mov_b32 s2, 0xffffff
	v_cmp_lt_u32_e32 vcc, s2, v31
	s_and_saveexec_b64 s[2:3], vcc
	s_cbranch_execz .LBB566_59
; %bb.54:
	v_lshrrev_b32_e32 v30, 24, v31
	s_movk_i32 s8, 0x80
	v_cmp_ne_u32_e32 vcc, s8, v30
	v_bfrev_b32_e32 v52, 1
	s_and_saveexec_b64 s[8:9], vcc
	s_cbranch_execz .LBB566_58
; %bb.55:
	v_bfe_u32 v31, v31, 24, 7
	s_movk_i32 s10, 0x7f
	v_cmp_ne_u32_e32 vcc, s10, v31
	v_mov_b32_e32 v52, 0x7f800001
	s_and_saveexec_b64 s[10:11], vcc
	s_cbranch_execz .LBB566_57
; %bb.56:
	v_and_b32_e32 v52, 7, v30
	v_ffbh_u32_e32 v54, v52
	v_min_u32_e32 v57, 32, v54
	v_subrev_u32_e32 v54, 28, v57
	v_lshlrev_b64 v[54:55], v54, v[30:31]
	v_lshrrev_b32_e32 v56, 3, v31
	v_sub_u32_e32 v55, 29, v57
	v_and_b32_e32 v54, 7, v54
	v_cmp_gt_u32_e32 vcc, 8, v31
	v_cndmask_b32_e32 v31, v56, v55, vcc
	v_cndmask_b32_e32 v52, v52, v54, vcc
	v_lshlrev_b32_e32 v30, 24, v30
	v_bfrev_b32_e32 v54, 60
	v_lshlrev_b32_e32 v52, 20, v52
	v_and_b32_e32 v30, 0x80000000, v30
	v_lshl_add_u32 v31, v31, 23, v54
	v_or3_b32 v52, v30, v31, v52
.LBB566_57:
	s_or_b64 exec, exec, s[10:11]
.LBB566_58:
	s_or_b64 exec, exec, s[8:9]
.LBB566_59:
	s_or_b64 exec, exec, s[2:3]
	v_cvt_pkrtz_f16_f32 v30, v44, v43
	v_cvt_pkrtz_f16_f32 v31, v50, v45
	;; [unrolled: 1-line block ×4, first 2 shown]
	v_mov_b32_e32 v51, 0
	s_waitcnt lgkmcnt(0)
	v_mfma_f32_16x16x16f16 v[54:57], v[30:31], v[26:27], 0
	v_mov_b32_e32 v31, 0
	v_cmp_ne_u16_sdwa s[8:9], v32, v31 src0_sel:BYTE_0 src1_sel:DWORD
	v_mfma_f32_16x16x16f16 v[42:45], v[42:43], v[28:29], v[54:57]
	s_and_saveexec_b64 s[2:3], s[8:9]
	s_cbranch_execz .LBB566_65
; %bb.60:
	s_movk_i32 s8, 0x80
	v_cmp_ne_u16_sdwa s[10:11], v32, s8 src0_sel:BYTE_0 src1_sel:DWORD
	v_bfrev_b32_e32 v51, 1
	s_and_saveexec_b64 s[8:9], s[10:11]
	s_cbranch_execz .LBB566_64
; %bb.61:
	s_movk_i32 s10, 0x7f
	v_and_b32_e32 v30, 0x7f, v32
	v_cmp_ne_u32_e32 vcc, s10, v30
	v_mov_b32_e32 v51, 0x7f800001
	s_and_saveexec_b64 s[10:11], vcc
	s_cbranch_execz .LBB566_63
; %bb.62:
	v_and_b32_e32 v52, 7, v32
	v_ffbh_u32_e32 v50, v52
	v_min_u32_e32 v54, 32, v50
	v_subrev_u32_e32 v50, 28, v54
	v_lshlrev_b64 v[50:51], v50, v[32:33]
	v_lshrrev_b32_e32 v53, 3, v30
	v_sub_u32_e32 v51, 29, v54
	v_and_b32_e32 v50, 7, v50
	v_cmp_gt_u32_e32 vcc, 8, v30
	v_cndmask_b32_e32 v30, v53, v51, vcc
	v_cndmask_b32_e32 v50, v52, v50, vcc
	v_lshlrev_b32_e32 v51, 24, v32
	v_bfrev_b32_e32 v52, 60
	v_lshlrev_b32_e32 v50, 20, v50
	v_and_b32_e32 v51, 0x80000000, v51
	v_lshl_add_u32 v30, v30, 23, v52
	v_or3_b32 v51, v51, v30, v50
.LBB566_63:
	s_or_b64 exec, exec, s[10:11]
.LBB566_64:
	s_or_b64 exec, exec, s[8:9]
.LBB566_65:
	s_or_b64 exec, exec, s[2:3]
	v_lshrrev_b16_e32 v30, 8, v32
	v_cmp_ne_u16_e32 vcc, 0, v30
	v_mov_b32_e32 v52, 0
	s_and_saveexec_b64 s[2:3], vcc
	s_cbranch_execz .LBB566_71
; %bb.66:
	s_movk_i32 s8, 0x80
	v_cmp_ne_u16_e32 vcc, s8, v30
	v_bfrev_b32_e32 v52, 1
	s_and_saveexec_b64 s[8:9], vcc
	s_cbranch_execz .LBB566_70
; %bb.67:
	s_movk_i32 s10, 0x7f
	v_and_b32_e32 v50, 0x7f, v30
	v_cmp_ne_u32_e32 vcc, s10, v50
	v_mov_b32_e32 v52, 0x7f800001
	s_and_saveexec_b64 s[10:11], vcc
	s_cbranch_execz .LBB566_69
; %bb.68:
	v_and_b32_e32 v54, 7, v30
	v_ffbh_u32_e32 v52, v54
	v_min_u32_e32 v56, 32, v52
	v_subrev_u32_e32 v52, 28, v56
	v_lshlrev_b64 v[52:53], v52, v[30:31]
	v_lshrrev_b32_e32 v55, 3, v50
	v_sub_u32_e32 v30, 29, v56
	v_and_b32_e32 v52, 7, v52
	v_cmp_gt_u32_e32 vcc, 8, v50
	v_cndmask_b32_e32 v30, v55, v30, vcc
	v_cndmask_b32_e32 v50, v54, v52, vcc
	v_lshlrev_b32_e32 v52, 16, v32
	v_bfrev_b32_e32 v53, 60
	v_lshlrev_b32_e32 v50, 20, v50
	v_and_b32_e32 v52, 0x80000000, v52
	v_lshl_add_u32 v30, v30, 23, v53
	v_or3_b32 v52, v52, v30, v50
.LBB566_69:
	s_or_b64 exec, exec, s[10:11]
.LBB566_70:
	s_or_b64 exec, exec, s[8:9]
.LBB566_71:
	s_or_b64 exec, exec, s[2:3]
	s_movk_i32 s2, 0xff
	v_and_b32_sdwa v50, v32, s2 dst_sel:DWORD dst_unused:UNUSED_PAD src0_sel:WORD_1 src1_sel:DWORD
	v_lshrrev_b32_e32 v30, 16, v32
	v_cmp_ne_u16_e32 vcc, 0, v50
	s_and_saveexec_b64 s[2:3], vcc
	s_cbranch_execz .LBB566_77
; %bb.72:
	s_movk_i32 s8, 0x80
	v_cmp_ne_u16_e32 vcc, s8, v50
	v_bfrev_b32_e32 v31, 1
	s_and_saveexec_b64 s[8:9], vcc
	s_cbranch_execz .LBB566_76
; %bb.73:
	v_bfe_u32 v50, v32, 16, 7
	s_movk_i32 s10, 0x7f
	v_cmp_ne_u32_e32 vcc, s10, v50
	v_mov_b32_e32 v31, 0x7f800001
	s_and_saveexec_b64 s[10:11], vcc
	s_cbranch_execz .LBB566_75
; %bb.74:
	v_and_b32_e32 v53, 7, v30
	v_ffbh_u32_e32 v31, v53
	v_min_u32_e32 v55, 32, v31
	v_subrev_u32_e32 v31, 28, v55
	v_lshlrev_b64 v[30:31], v31, v[30:31]
	v_lshrrev_b32_e32 v54, 3, v50
	v_sub_u32_e32 v31, 29, v55
	v_and_b32_e32 v30, 7, v30
	v_cmp_gt_u32_e32 vcc, 8, v50
	v_mov_b32_e32 v50, 24
	v_cndmask_b32_e32 v31, v54, v31, vcc
	v_cndmask_b32_e32 v30, v53, v30, vcc
	v_lshlrev_b32_sdwa v50, v50, v32 dst_sel:DWORD dst_unused:UNUSED_PAD src0_sel:DWORD src1_sel:WORD_1
	v_bfrev_b32_e32 v53, 60
	v_lshlrev_b32_e32 v30, 20, v30
	v_and_b32_e32 v50, 0x80000000, v50
	v_lshl_add_u32 v31, v31, 23, v53
	v_or3_b32 v31, v50, v31, v30
.LBB566_75:
	s_or_b64 exec, exec, s[10:11]
.LBB566_76:
	s_or_b64 exec, exec, s[8:9]
.LBB566_77:
	s_or_b64 exec, exec, s[2:3]
	s_mov_b32 s2, 0xffffff
	v_cmp_lt_u32_e32 vcc, s2, v32
	v_mov_b32_e32 v53, 0
	v_mov_b32_e32 v54, 0
	s_and_saveexec_b64 s[2:3], vcc
	s_cbranch_execz .LBB566_83
; %bb.78:
	v_lshrrev_b32_e32 v30, 24, v32
	s_movk_i32 s8, 0x80
	v_cmp_ne_u32_e32 vcc, s8, v30
	v_bfrev_b32_e32 v54, 1
	s_and_saveexec_b64 s[8:9], vcc
	s_cbranch_execz .LBB566_82
; %bb.79:
	v_bfe_u32 v32, v32, 24, 7
	s_movk_i32 s10, 0x7f
	v_cmp_ne_u32_e32 vcc, s10, v32
	v_mov_b32_e32 v54, 0x7f800001
	s_and_saveexec_b64 s[10:11], vcc
	s_cbranch_execz .LBB566_81
; %bb.80:
	v_and_b32_e32 v50, 7, v30
	v_ffbh_u32_e32 v54, v50
	v_min_u32_e32 v57, 32, v54
	v_subrev_u32_e32 v54, 28, v57
	v_lshlrev_b64 v[54:55], v54, v[30:31]
	v_lshrrev_b32_e32 v56, 3, v32
	v_sub_u32_e32 v55, 29, v57
	v_and_b32_e32 v54, 7, v54
	v_cmp_gt_u32_e32 vcc, 8, v32
	v_cndmask_b32_e32 v32, v56, v55, vcc
	v_cndmask_b32_e32 v50, v50, v54, vcc
	v_lshlrev_b32_e32 v30, 24, v30
	v_bfrev_b32_e32 v54, 60
	v_lshlrev_b32_e32 v50, 20, v50
	v_and_b32_e32 v30, 0x80000000, v30
	v_lshl_add_u32 v32, v32, 23, v54
	v_or3_b32 v54, v30, v32, v50
.LBB566_81:
	s_or_b64 exec, exec, s[10:11]
.LBB566_82:
	s_or_b64 exec, exec, s[8:9]
.LBB566_83:
	s_or_b64 exec, exec, s[2:3]
	v_cmp_ne_u16_sdwa s[8:9], v33, v53 src0_sel:BYTE_0 src1_sel:DWORD
	s_and_saveexec_b64 s[2:3], s[8:9]
	s_cbranch_execz .LBB566_89
; %bb.84:
	s_movk_i32 s8, 0x80
	v_cmp_ne_u16_sdwa s[10:11], v33, s8 src0_sel:BYTE_0 src1_sel:DWORD
	v_bfrev_b32_e32 v53, 1
	s_and_saveexec_b64 s[8:9], s[10:11]
	s_cbranch_execz .LBB566_88
; %bb.85:
	s_movk_i32 s10, 0x7f
	v_and_b32_e32 v30, 0x7f, v33
	v_cmp_ne_u32_e32 vcc, s10, v30
	v_mov_b32_e32 v53, 0x7f800001
	s_and_saveexec_b64 s[10:11], vcc
	s_cbranch_execz .LBB566_87
; %bb.86:
	v_and_b32_e32 v50, 7, v33
	v_ffbh_u32_e32 v55, v50
	v_min_u32_e32 v55, 32, v55
	v_mov_b32_e32 v32, v33
	v_subrev_u32_e32 v56, 28, v55
	v_lshlrev_b64 v[56:57], v56, v[32:33]
	v_lshrrev_b32_e32 v53, 3, v30
	v_sub_u32_e32 v32, 29, v55
	v_and_b32_e32 v55, 7, v56
	v_cmp_gt_u32_e32 vcc, 8, v30
	v_cndmask_b32_e32 v30, v53, v32, vcc
	v_cndmask_b32_e32 v32, v50, v55, vcc
	v_lshlrev_b32_e32 v50, 24, v33
	v_bfrev_b32_e32 v53, 60
	v_lshlrev_b32_e32 v32, 20, v32
	v_and_b32_e32 v50, 0x80000000, v50
	v_lshl_add_u32 v30, v30, 23, v53
	v_or3_b32 v53, v50, v30, v32
.LBB566_87:
	s_or_b64 exec, exec, s[10:11]
.LBB566_88:
	s_or_b64 exec, exec, s[8:9]
.LBB566_89:
	s_or_b64 exec, exec, s[2:3]
	v_lshrrev_b16_e32 v30, 8, v33
	v_cmp_ne_u16_e32 vcc, 0, v30
	v_mov_b32_e32 v32, 0
	v_mov_b32_e32 v55, 0
	s_and_saveexec_b64 s[2:3], vcc
	s_cbranch_execz .LBB566_95
; %bb.90:
	s_movk_i32 s8, 0x80
	v_cmp_ne_u16_e32 vcc, s8, v30
	v_bfrev_b32_e32 v55, 1
	s_and_saveexec_b64 s[8:9], vcc
	s_cbranch_execz .LBB566_94
; %bb.91:
	s_movk_i32 s10, 0x7f
	v_and_b32_e32 v50, 0x7f, v30
	v_cmp_ne_u32_e32 vcc, s10, v50
	v_mov_b32_e32 v55, 0x7f800001
	s_and_saveexec_b64 s[10:11], vcc
	s_cbranch_execz .LBB566_93
; %bb.92:
	v_and_b32_e32 v55, 7, v30
	v_ffbh_u32_e32 v56, v55
	v_min_u32_e32 v59, 32, v56
	v_subrev_u32_e32 v56, 28, v59
	v_lshlrev_b64 v[56:57], v56, v[30:31]
	v_lshrrev_b32_e32 v58, 3, v50
	v_sub_u32_e32 v30, 29, v59
	v_and_b32_e32 v56, 7, v56
	v_cmp_gt_u32_e32 vcc, 8, v50
	v_cndmask_b32_e32 v30, v58, v30, vcc
	v_cndmask_b32_e32 v50, v55, v56, vcc
	v_lshlrev_b32_e32 v55, 16, v33
	v_bfrev_b32_e32 v56, 60
	v_lshlrev_b32_e32 v50, 20, v50
	v_and_b32_e32 v55, 0x80000000, v55
	v_lshl_add_u32 v30, v30, 23, v56
	v_or3_b32 v55, v55, v30, v50
.LBB566_93:
	s_or_b64 exec, exec, s[10:11]
.LBB566_94:
	s_or_b64 exec, exec, s[8:9]
.LBB566_95:
	s_or_b64 exec, exec, s[2:3]
	s_movk_i32 s2, 0xff
	v_and_b32_sdwa v50, v33, s2 dst_sel:DWORD dst_unused:UNUSED_PAD src0_sel:WORD_1 src1_sel:DWORD
	v_lshrrev_b32_e32 v30, 16, v33
	v_cmp_ne_u16_e32 vcc, 0, v50
	s_and_saveexec_b64 s[2:3], vcc
	s_cbranch_execz .LBB566_101
; %bb.96:
	s_movk_i32 s8, 0x80
	v_cmp_ne_u16_e32 vcc, s8, v50
	v_bfrev_b32_e32 v32, 1
	s_and_saveexec_b64 s[8:9], vcc
	s_cbranch_execz .LBB566_100
; %bb.97:
	v_bfe_u32 v50, v33, 16, 7
	s_movk_i32 s10, 0x7f
	v_cmp_ne_u32_e32 vcc, s10, v50
	v_mov_b32_e32 v32, 0x7f800001
	s_and_saveexec_b64 s[10:11], vcc
	s_cbranch_execz .LBB566_99
; %bb.98:
	v_and_b32_e32 v32, 7, v30
	v_ffbh_u32_e32 v56, v32
	v_min_u32_e32 v59, 32, v56
	v_subrev_u32_e32 v56, 28, v59
	v_lshlrev_b64 v[56:57], v56, v[30:31]
	v_lshrrev_b32_e32 v58, 3, v50
	v_sub_u32_e32 v30, 29, v59
	v_and_b32_e32 v56, 7, v56
	v_cmp_gt_u32_e32 vcc, 8, v50
	v_mov_b32_e32 v50, 24
	v_cndmask_b32_e32 v30, v58, v30, vcc
	v_cndmask_b32_e32 v32, v32, v56, vcc
	v_lshlrev_b32_sdwa v50, v50, v33 dst_sel:DWORD dst_unused:UNUSED_PAD src0_sel:DWORD src1_sel:WORD_1
	v_bfrev_b32_e32 v56, 60
	v_lshlrev_b32_e32 v32, 20, v32
	v_and_b32_e32 v50, 0x80000000, v50
	v_lshl_add_u32 v30, v30, 23, v56
	v_or3_b32 v32, v50, v30, v32
.LBB566_99:
	s_or_b64 exec, exec, s[10:11]
.LBB566_100:
	s_or_b64 exec, exec, s[8:9]
.LBB566_101:
	s_or_b64 exec, exec, s[2:3]
	s_mov_b32 s2, 0xffffff
	v_cmp_lt_u32_e32 vcc, s2, v33
	v_mov_b32_e32 v50, 0
	v_mov_b32_e32 v56, 0
	s_and_saveexec_b64 s[2:3], vcc
	s_cbranch_execz .LBB566_107
; %bb.102:
	v_lshrrev_b32_e32 v30, 24, v33
	s_movk_i32 s8, 0x80
	v_cmp_ne_u32_e32 vcc, s8, v30
	v_bfrev_b32_e32 v56, 1
	s_and_saveexec_b64 s[8:9], vcc
	s_cbranch_execz .LBB566_106
; %bb.103:
	v_bfe_u32 v33, v33, 24, 7
	s_movk_i32 s10, 0x7f
	v_cmp_ne_u32_e32 vcc, s10, v33
	v_mov_b32_e32 v56, 0x7f800001
	s_and_saveexec_b64 s[10:11], vcc
	s_cbranch_execz .LBB566_105
; %bb.104:
	v_and_b32_e32 v58, 7, v30
	v_ffbh_u32_e32 v56, v58
	v_min_u32_e32 v60, 32, v56
	v_subrev_u32_e32 v56, 28, v60
	v_lshlrev_b64 v[56:57], v56, v[30:31]
	v_lshrrev_b32_e32 v59, 3, v33
	v_sub_u32_e32 v57, 29, v60
	v_and_b32_e32 v56, 7, v56
	v_cmp_gt_u32_e32 vcc, 8, v33
	v_cndmask_b32_e32 v33, v59, v57, vcc
	v_cndmask_b32_e32 v56, v58, v56, vcc
	v_lshlrev_b32_e32 v30, 24, v30
	v_bfrev_b32_e32 v57, 60
	v_lshlrev_b32_e32 v56, 20, v56
	v_and_b32_e32 v30, 0x80000000, v30
	v_lshl_add_u32 v33, v33, 23, v57
	v_or3_b32 v56, v30, v33, v56
.LBB566_105:
	s_or_b64 exec, exec, s[10:11]
.LBB566_106:
	s_or_b64 exec, exec, s[8:9]
.LBB566_107:
	s_or_b64 exec, exec, s[2:3]
	v_cvt_pkrtz_f16_f32 v30, v51, v52
	v_cvt_pkrtz_f16_f32 v31, v31, v54
	s_waitcnt vmcnt(6)
	v_cmp_ne_u16_sdwa s[8:9], v38, v50 src0_sel:BYTE_0 src1_sel:DWORD
	v_mfma_f32_16x16x16f16 v[42:45], v[30:31], v[18:19], v[42:45]
	v_cvt_pkrtz_f16_f32 v30, v53, v55
	v_cvt_pkrtz_f16_f32 v31, v32, v56
	s_nop 1
	v_mfma_f32_16x16x16f16 v[30:33], v[30:31], v[20:21], v[42:45]
	s_and_saveexec_b64 s[2:3], s[8:9]
	s_cbranch_execz .LBB566_113
; %bb.108:
	s_movk_i32 s8, 0x80
	v_cmp_ne_u16_sdwa s[10:11], v38, s8 src0_sel:BYTE_0 src1_sel:DWORD
	v_bfrev_b32_e32 v50, 1
	s_and_saveexec_b64 s[8:9], s[10:11]
	s_cbranch_execz .LBB566_112
; %bb.109:
	s_movk_i32 s10, 0x7f
	v_and_b32_e32 v42, 0x7f, v38
	v_cmp_ne_u32_e32 vcc, s10, v42
	v_mov_b32_e32 v50, 0x7f800001
	s_and_saveexec_b64 s[10:11], vcc
	s_cbranch_execz .LBB566_111
; %bb.110:
	v_and_b32_e32 v43, 7, v38
	v_ffbh_u32_e32 v44, v43
	v_min_u32_e32 v51, 32, v44
	v_subrev_u32_e32 v44, 28, v51
	v_lshlrev_b64 v[44:45], v44, v[38:39]
	v_lshrrev_b32_e32 v50, 3, v42
	v_sub_u32_e32 v45, 29, v51
	v_and_b32_e32 v44, 7, v44
	v_cmp_gt_u32_e32 vcc, 8, v42
	v_cndmask_b32_e32 v42, v50, v45, vcc
	v_cndmask_b32_e32 v43, v43, v44, vcc
	v_lshlrev_b32_e32 v44, 24, v38
	v_bfrev_b32_e32 v45, 60
	v_lshlrev_b32_e32 v43, 20, v43
	v_and_b32_e32 v44, 0x80000000, v44
	v_lshl_add_u32 v42, v42, 23, v45
	v_or3_b32 v50, v44, v42, v43
.LBB566_111:
	s_or_b64 exec, exec, s[10:11]
.LBB566_112:
	s_or_b64 exec, exec, s[8:9]
.LBB566_113:
	s_or_b64 exec, exec, s[2:3]
	s_nop 3
	v_lshrrev_b16_e32 v42, 8, v38
	v_cmp_ne_u16_e32 vcc, 0, v42
	v_mov_b32_e32 v43, 0
	v_mov_b32_e32 v44, 0
	s_and_saveexec_b64 s[2:3], vcc
	s_cbranch_execz .LBB566_119
; %bb.114:
	s_movk_i32 s8, 0x80
	v_cmp_ne_u16_e32 vcc, s8, v42
	v_bfrev_b32_e32 v44, 1
	s_and_saveexec_b64 s[8:9], vcc
	s_cbranch_execz .LBB566_118
; %bb.115:
	s_movk_i32 s10, 0x7f
	v_and_b32_e32 v45, 0x7f, v42
	v_cmp_ne_u32_e32 vcc, s10, v45
	v_mov_b32_e32 v44, 0x7f800001
	s_and_saveexec_b64 s[10:11], vcc
	s_cbranch_execz .LBB566_117
; %bb.116:
	v_and_b32_e32 v44, 7, v42
	v_ffbh_u32_e32 v52, v44
	v_min_u32_e32 v54, 32, v52
	v_subrev_u32_e32 v52, 28, v54
	v_lshlrev_b64 v[52:53], v52, v[42:43]
	v_lshrrev_b32_e32 v51, 3, v45
	v_sub_u32_e32 v42, 29, v54
	v_and_b32_e32 v52, 7, v52
	v_cmp_gt_u32_e32 vcc, 8, v45
	v_cndmask_b32_e32 v42, v51, v42, vcc
	v_cndmask_b32_e32 v44, v44, v52, vcc
	v_lshlrev_b32_e32 v45, 16, v38
	v_bfrev_b32_e32 v51, 60
	v_lshlrev_b32_e32 v44, 20, v44
	v_and_b32_e32 v45, 0x80000000, v45
	v_lshl_add_u32 v42, v42, 23, v51
	v_or3_b32 v44, v45, v42, v44
.LBB566_117:
	s_or_b64 exec, exec, s[10:11]
.LBB566_118:
	s_or_b64 exec, exec, s[8:9]
.LBB566_119:
	s_or_b64 exec, exec, s[2:3]
	s_movk_i32 s2, 0xff
	v_and_b32_sdwa v45, v38, s2 dst_sel:DWORD dst_unused:UNUSED_PAD src0_sel:WORD_1 src1_sel:DWORD
	v_lshrrev_b32_e32 v42, 16, v38
	v_cmp_ne_u16_e32 vcc, 0, v45
	s_and_saveexec_b64 s[2:3], vcc
	s_cbranch_execz .LBB566_125
; %bb.120:
	s_movk_i32 s8, 0x80
	v_cmp_ne_u16_e32 vcc, s8, v45
	v_bfrev_b32_e32 v43, 1
	s_and_saveexec_b64 s[8:9], vcc
	s_cbranch_execz .LBB566_124
; %bb.121:
	v_bfe_u32 v45, v38, 16, 7
	s_movk_i32 s10, 0x7f
	v_cmp_ne_u32_e32 vcc, s10, v45
	v_mov_b32_e32 v43, 0x7f800001
	s_and_saveexec_b64 s[10:11], vcc
	s_cbranch_execz .LBB566_123
; %bb.122:
	v_and_b32_e32 v51, 7, v42
	v_ffbh_u32_e32 v43, v51
	v_min_u32_e32 v53, 32, v43
	v_subrev_u32_e32 v43, 28, v53
	v_lshlrev_b64 v[42:43], v43, v[42:43]
	v_lshrrev_b32_e32 v52, 3, v45
	v_sub_u32_e32 v43, 29, v53
	v_and_b32_e32 v42, 7, v42
	v_cmp_gt_u32_e32 vcc, 8, v45
	v_mov_b32_e32 v45, 24
	v_cndmask_b32_e32 v43, v52, v43, vcc
	v_cndmask_b32_e32 v42, v51, v42, vcc
	v_lshlrev_b32_sdwa v45, v45, v38 dst_sel:DWORD dst_unused:UNUSED_PAD src0_sel:DWORD src1_sel:WORD_1
	v_bfrev_b32_e32 v51, 60
	v_lshlrev_b32_e32 v42, 20, v42
	v_and_b32_e32 v45, 0x80000000, v45
	v_lshl_add_u32 v43, v43, 23, v51
	v_or3_b32 v43, v45, v43, v42
.LBB566_123:
	s_or_b64 exec, exec, s[10:11]
.LBB566_124:
	s_or_b64 exec, exec, s[8:9]
.LBB566_125:
	s_or_b64 exec, exec, s[2:3]
	s_mov_b32 s2, 0xffffff
	v_cmp_lt_u32_e32 vcc, s2, v38
	v_mov_b32_e32 v45, 0
	v_mov_b32_e32 v52, 0
	s_and_saveexec_b64 s[2:3], vcc
	s_cbranch_execz .LBB566_131
; %bb.126:
	v_lshrrev_b32_e32 v42, 24, v38
	s_movk_i32 s8, 0x80
	v_cmp_ne_u32_e32 vcc, s8, v42
	v_bfrev_b32_e32 v52, 1
	s_and_saveexec_b64 s[8:9], vcc
	s_cbranch_execz .LBB566_130
; %bb.127:
	v_bfe_u32 v38, v38, 24, 7
	s_movk_i32 s10, 0x7f
	v_cmp_ne_u32_e32 vcc, s10, v38
	v_mov_b32_e32 v52, 0x7f800001
	s_and_saveexec_b64 s[10:11], vcc
	s_cbranch_execz .LBB566_129
; %bb.128:
	v_and_b32_e32 v51, 7, v42
	v_ffbh_u32_e32 v52, v51
	v_min_u32_e32 v55, 32, v52
	v_subrev_u32_e32 v52, 28, v55
	v_lshlrev_b64 v[52:53], v52, v[42:43]
	v_lshrrev_b32_e32 v54, 3, v38
	v_sub_u32_e32 v53, 29, v55
	v_and_b32_e32 v52, 7, v52
	v_cmp_gt_u32_e32 vcc, 8, v38
	v_cndmask_b32_e32 v38, v54, v53, vcc
	v_cndmask_b32_e32 v51, v51, v52, vcc
	v_lshlrev_b32_e32 v42, 24, v42
	v_bfrev_b32_e32 v52, 60
	v_lshlrev_b32_e32 v51, 20, v51
	v_and_b32_e32 v42, 0x80000000, v42
	v_lshl_add_u32 v38, v38, 23, v52
	v_or3_b32 v52, v42, v38, v51
.LBB566_129:
	s_or_b64 exec, exec, s[10:11]
.LBB566_130:
	s_or_b64 exec, exec, s[8:9]
.LBB566_131:
	s_or_b64 exec, exec, s[2:3]
	v_cmp_ne_u16_sdwa s[8:9], v39, v45 src0_sel:BYTE_0 src1_sel:DWORD
	s_and_saveexec_b64 s[2:3], s[8:9]
	s_cbranch_execz .LBB566_137
; %bb.132:
	s_movk_i32 s8, 0x80
	v_cmp_ne_u16_sdwa s[10:11], v39, s8 src0_sel:BYTE_0 src1_sel:DWORD
	v_bfrev_b32_e32 v45, 1
	s_and_saveexec_b64 s[8:9], s[10:11]
	s_cbranch_execz .LBB566_136
; %bb.133:
	s_movk_i32 s10, 0x7f
	v_and_b32_e32 v38, 0x7f, v39
	v_cmp_ne_u32_e32 vcc, s10, v38
	v_mov_b32_e32 v45, 0x7f800001
	s_and_saveexec_b64 s[10:11], vcc
	s_cbranch_execz .LBB566_135
; %bb.134:
	v_and_b32_e32 v45, 7, v39
	v_ffbh_u32_e32 v53, v45
	v_min_u32_e32 v53, 32, v53
	v_mov_b32_e32 v42, v39
	v_subrev_u32_e32 v54, 28, v53
	v_lshlrev_b64 v[54:55], v54, v[42:43]
	v_lshrrev_b32_e32 v51, 3, v38
	v_sub_u32_e32 v42, 29, v53
	v_and_b32_e32 v53, 7, v54
	v_cmp_gt_u32_e32 vcc, 8, v38
	v_cndmask_b32_e32 v38, v51, v42, vcc
	v_cndmask_b32_e32 v42, v45, v53, vcc
	v_lshlrev_b32_e32 v45, 24, v39
	v_bfrev_b32_e32 v51, 60
	v_lshlrev_b32_e32 v42, 20, v42
	v_and_b32_e32 v45, 0x80000000, v45
	v_lshl_add_u32 v38, v38, 23, v51
	v_or3_b32 v45, v45, v38, v42
.LBB566_135:
	s_or_b64 exec, exec, s[10:11]
.LBB566_136:
	s_or_b64 exec, exec, s[8:9]
.LBB566_137:
	s_or_b64 exec, exec, s[2:3]
	v_lshrrev_b16_e32 v38, 8, v39
	v_cmp_ne_u16_e32 vcc, 0, v38
	v_mov_b32_e32 v42, 0
	v_mov_b32_e32 v53, 0
	s_and_saveexec_b64 s[2:3], vcc
	s_cbranch_execz .LBB566_143
; %bb.138:
	s_movk_i32 s8, 0x80
	v_cmp_ne_u16_e32 vcc, s8, v38
	v_bfrev_b32_e32 v53, 1
	s_and_saveexec_b64 s[8:9], vcc
	s_cbranch_execz .LBB566_142
; %bb.139:
	s_movk_i32 s10, 0x7f
	v_and_b32_e32 v51, 0x7f, v38
	v_cmp_ne_u32_e32 vcc, s10, v51
	v_mov_b32_e32 v53, 0x7f800001
	s_and_saveexec_b64 s[10:11], vcc
	s_cbranch_execz .LBB566_141
; %bb.140:
	v_and_b32_e32 v53, 7, v38
	v_ffbh_u32_e32 v54, v53
	v_min_u32_e32 v57, 32, v54
	v_subrev_u32_e32 v54, 28, v57
	v_lshlrev_b64 v[54:55], v54, v[38:39]
	v_lshrrev_b32_e32 v56, 3, v51
	v_sub_u32_e32 v38, 29, v57
	v_and_b32_e32 v54, 7, v54
	v_cmp_gt_u32_e32 vcc, 8, v51
	v_cndmask_b32_e32 v38, v56, v38, vcc
	v_cndmask_b32_e32 v51, v53, v54, vcc
	v_lshlrev_b32_e32 v53, 16, v39
	v_bfrev_b32_e32 v54, 60
	v_lshlrev_b32_e32 v51, 20, v51
	v_and_b32_e32 v53, 0x80000000, v53
	v_lshl_add_u32 v38, v38, 23, v54
	v_or3_b32 v53, v53, v38, v51
.LBB566_141:
	s_or_b64 exec, exec, s[10:11]
.LBB566_142:
	s_or_b64 exec, exec, s[8:9]
.LBB566_143:
	s_or_b64 exec, exec, s[2:3]
	s_movk_i32 s2, 0xff
	v_and_b32_sdwa v51, v39, s2 dst_sel:DWORD dst_unused:UNUSED_PAD src0_sel:WORD_1 src1_sel:DWORD
	v_lshrrev_b32_e32 v38, 16, v39
	v_cmp_ne_u16_e32 vcc, 0, v51
	s_and_saveexec_b64 s[2:3], vcc
	s_cbranch_execz .LBB566_149
; %bb.144:
	s_movk_i32 s8, 0x80
	v_cmp_ne_u16_e32 vcc, s8, v51
	v_bfrev_b32_e32 v42, 1
	s_and_saveexec_b64 s[8:9], vcc
	s_cbranch_execz .LBB566_148
; %bb.145:
	v_bfe_u32 v51, v39, 16, 7
	s_movk_i32 s10, 0x7f
	v_cmp_ne_u32_e32 vcc, s10, v51
	v_mov_b32_e32 v42, 0x7f800001
	s_and_saveexec_b64 s[10:11], vcc
	s_cbranch_execz .LBB566_147
; %bb.146:
	v_and_b32_e32 v42, 7, v38
	v_ffbh_u32_e32 v54, v42
	v_min_u32_e32 v57, 32, v54
	v_subrev_u32_e32 v54, 28, v57
	v_lshlrev_b64 v[54:55], v54, v[38:39]
	v_lshrrev_b32_e32 v56, 3, v51
	v_sub_u32_e32 v38, 29, v57
	v_and_b32_e32 v54, 7, v54
	v_cmp_gt_u32_e32 vcc, 8, v51
	v_mov_b32_e32 v51, 24
	v_cndmask_b32_e32 v38, v56, v38, vcc
	v_cndmask_b32_e32 v42, v42, v54, vcc
	v_lshlrev_b32_sdwa v51, v51, v39 dst_sel:DWORD dst_unused:UNUSED_PAD src0_sel:DWORD src1_sel:WORD_1
	v_bfrev_b32_e32 v54, 60
	v_lshlrev_b32_e32 v42, 20, v42
	v_and_b32_e32 v51, 0x80000000, v51
	v_lshl_add_u32 v38, v38, 23, v54
	v_or3_b32 v42, v51, v38, v42
.LBB566_147:
	s_or_b64 exec, exec, s[10:11]
.LBB566_148:
	s_or_b64 exec, exec, s[8:9]
.LBB566_149:
	s_or_b64 exec, exec, s[2:3]
	s_mov_b32 s2, 0xffffff
	v_cmp_lt_u32_e32 vcc, s2, v39
	v_mov_b32_e32 v51, 0
	v_mov_b32_e32 v54, 0
	s_and_saveexec_b64 s[2:3], vcc
	s_cbranch_execz .LBB566_155
; %bb.150:
	v_lshrrev_b32_e32 v38, 24, v39
	s_movk_i32 s8, 0x80
	v_cmp_ne_u32_e32 vcc, s8, v38
	v_bfrev_b32_e32 v54, 1
	s_and_saveexec_b64 s[8:9], vcc
	s_cbranch_execz .LBB566_154
; %bb.151:
	v_bfe_u32 v39, v39, 24, 7
	s_movk_i32 s10, 0x7f
	v_cmp_ne_u32_e32 vcc, s10, v39
	v_mov_b32_e32 v54, 0x7f800001
	s_and_saveexec_b64 s[10:11], vcc
	s_cbranch_execz .LBB566_153
; %bb.152:
	v_and_b32_e32 v56, 7, v38
	v_ffbh_u32_e32 v54, v56
	v_min_u32_e32 v58, 32, v54
	v_subrev_u32_e32 v54, 28, v58
	v_lshlrev_b64 v[54:55], v54, v[38:39]
	v_lshrrev_b32_e32 v57, 3, v39
	v_sub_u32_e32 v55, 29, v58
	v_and_b32_e32 v54, 7, v54
	v_cmp_gt_u32_e32 vcc, 8, v39
	v_cndmask_b32_e32 v39, v57, v55, vcc
	v_cndmask_b32_e32 v54, v56, v54, vcc
	v_lshlrev_b32_e32 v38, 24, v38
	v_bfrev_b32_e32 v55, 60
	v_lshlrev_b32_e32 v54, 20, v54
	v_and_b32_e32 v38, 0x80000000, v38
	v_lshl_add_u32 v39, v39, 23, v55
	v_or3_b32 v54, v38, v39, v54
.LBB566_153:
	s_or_b64 exec, exec, s[10:11]
.LBB566_154:
	s_or_b64 exec, exec, s[8:9]
.LBB566_155:
	s_or_b64 exec, exec, s[2:3]
	v_cvt_pkrtz_f16_f32 v38, v50, v44
	v_cvt_pkrtz_f16_f32 v39, v43, v52
	v_cmp_ne_u16_sdwa s[8:9], v40, v51 src0_sel:BYTE_0 src1_sel:DWORD
	s_nop 0
	v_mfma_f32_16x16x16f16 v[56:59], v[38:39], v[26:27], 0
	v_cvt_pkrtz_f16_f32 v38, v45, v53
	v_cvt_pkrtz_f16_f32 v39, v42, v54
	s_nop 1
	v_mfma_f32_16x16x16f16 v[42:45], v[38:39], v[28:29], v[56:59]
	s_and_saveexec_b64 s[2:3], s[8:9]
	s_cbranch_execz .LBB566_161
; %bb.156:
	s_movk_i32 s8, 0x80
	v_cmp_ne_u16_sdwa s[10:11], v40, s8 src0_sel:BYTE_0 src1_sel:DWORD
	v_bfrev_b32_e32 v51, 1
	s_and_saveexec_b64 s[8:9], s[10:11]
	s_cbranch_execz .LBB566_160
; %bb.157:
	s_movk_i32 s10, 0x7f
	v_and_b32_e32 v38, 0x7f, v40
	v_cmp_ne_u32_e32 vcc, s10, v38
	v_mov_b32_e32 v51, 0x7f800001
	s_and_saveexec_b64 s[10:11], vcc
	s_cbranch_execz .LBB566_159
; %bb.158:
	v_and_b32_e32 v39, 7, v40
	v_ffbh_u32_e32 v50, v39
	v_min_u32_e32 v53, 32, v50
	v_subrev_u32_e32 v50, 28, v53
	v_lshlrev_b64 v[50:51], v50, v[40:41]
	v_lshrrev_b32_e32 v52, 3, v38
	v_sub_u32_e32 v51, 29, v53
	v_and_b32_e32 v50, 7, v50
	v_cmp_gt_u32_e32 vcc, 8, v38
	v_cndmask_b32_e32 v38, v52, v51, vcc
	v_cndmask_b32_e32 v39, v39, v50, vcc
	v_lshlrev_b32_e32 v50, 24, v40
	v_bfrev_b32_e32 v51, 60
	v_lshlrev_b32_e32 v39, 20, v39
	v_and_b32_e32 v50, 0x80000000, v50
	v_lshl_add_u32 v38, v38, 23, v51
	v_or3_b32 v51, v50, v38, v39
.LBB566_159:
	s_or_b64 exec, exec, s[10:11]
.LBB566_160:
	s_or_b64 exec, exec, s[8:9]
.LBB566_161:
	s_or_b64 exec, exec, s[2:3]
	v_lshrrev_b16_e32 v38, 8, v40
	v_cmp_ne_u16_e32 vcc, 0, v38
	v_mov_b32_e32 v39, 0
	v_mov_b32_e32 v52, 0
	s_and_saveexec_b64 s[2:3], vcc
	s_cbranch_execz .LBB566_167
; %bb.162:
	s_movk_i32 s8, 0x80
	v_cmp_ne_u16_e32 vcc, s8, v38
	v_bfrev_b32_e32 v52, 1
	s_and_saveexec_b64 s[8:9], vcc
	s_cbranch_execz .LBB566_166
; %bb.163:
	s_movk_i32 s10, 0x7f
	v_and_b32_e32 v50, 0x7f, v38
	v_cmp_ne_u32_e32 vcc, s10, v50
	v_mov_b32_e32 v52, 0x7f800001
	s_and_saveexec_b64 s[10:11], vcc
	s_cbranch_execz .LBB566_165
; %bb.164:
	v_and_b32_e32 v54, 7, v38
	v_ffbh_u32_e32 v52, v54
	v_min_u32_e32 v56, 32, v52
	v_subrev_u32_e32 v52, 28, v56
	v_lshlrev_b64 v[52:53], v52, v[38:39]
	v_lshrrev_b32_e32 v55, 3, v50
	v_sub_u32_e32 v38, 29, v56
	v_and_b32_e32 v52, 7, v52
	v_cmp_gt_u32_e32 vcc, 8, v50
	v_cndmask_b32_e32 v38, v55, v38, vcc
	v_cndmask_b32_e32 v50, v54, v52, vcc
	v_lshlrev_b32_e32 v52, 16, v40
	v_bfrev_b32_e32 v53, 60
	v_lshlrev_b32_e32 v50, 20, v50
	v_and_b32_e32 v52, 0x80000000, v52
	v_lshl_add_u32 v38, v38, 23, v53
	v_or3_b32 v52, v52, v38, v50
.LBB566_165:
	s_or_b64 exec, exec, s[10:11]
.LBB566_166:
	s_or_b64 exec, exec, s[8:9]
.LBB566_167:
	s_or_b64 exec, exec, s[2:3]
	s_movk_i32 s2, 0xff
	v_and_b32_sdwa v50, v40, s2 dst_sel:DWORD dst_unused:UNUSED_PAD src0_sel:WORD_1 src1_sel:DWORD
	v_lshrrev_b32_e32 v38, 16, v40
	v_cmp_ne_u16_e32 vcc, 0, v50
	s_and_saveexec_b64 s[2:3], vcc
	s_cbranch_execz .LBB566_173
; %bb.168:
	s_movk_i32 s8, 0x80
	v_cmp_ne_u16_e32 vcc, s8, v50
	v_bfrev_b32_e32 v39, 1
	s_and_saveexec_b64 s[8:9], vcc
	s_cbranch_execz .LBB566_172
; %bb.169:
	v_bfe_u32 v50, v40, 16, 7
	s_movk_i32 s10, 0x7f
	v_cmp_ne_u32_e32 vcc, s10, v50
	v_mov_b32_e32 v39, 0x7f800001
	s_and_saveexec_b64 s[10:11], vcc
	s_cbranch_execz .LBB566_171
; %bb.170:
	v_and_b32_e32 v53, 7, v38
	v_ffbh_u32_e32 v39, v53
	v_min_u32_e32 v55, 32, v39
	v_subrev_u32_e32 v39, 28, v55
	v_lshlrev_b64 v[38:39], v39, v[38:39]
	v_lshrrev_b32_e32 v54, 3, v50
	v_sub_u32_e32 v39, 29, v55
	v_and_b32_e32 v38, 7, v38
	v_cmp_gt_u32_e32 vcc, 8, v50
	v_mov_b32_e32 v50, 24
	v_cndmask_b32_e32 v39, v54, v39, vcc
	v_cndmask_b32_e32 v38, v53, v38, vcc
	v_lshlrev_b32_sdwa v50, v50, v40 dst_sel:DWORD dst_unused:UNUSED_PAD src0_sel:DWORD src1_sel:WORD_1
	v_bfrev_b32_e32 v53, 60
	v_lshlrev_b32_e32 v38, 20, v38
	v_and_b32_e32 v50, 0x80000000, v50
	v_lshl_add_u32 v39, v39, 23, v53
	v_or3_b32 v39, v50, v39, v38
.LBB566_171:
	s_or_b64 exec, exec, s[10:11]
.LBB566_172:
	s_or_b64 exec, exec, s[8:9]
.LBB566_173:
	s_or_b64 exec, exec, s[2:3]
	s_mov_b32 s2, 0xffffff
	v_cmp_lt_u32_e32 vcc, s2, v40
	v_mov_b32_e32 v53, 0
	v_mov_b32_e32 v54, 0
	s_and_saveexec_b64 s[2:3], vcc
	s_cbranch_execz .LBB566_179
; %bb.174:
	v_lshrrev_b32_e32 v38, 24, v40
	s_movk_i32 s8, 0x80
	v_cmp_ne_u32_e32 vcc, s8, v38
	v_bfrev_b32_e32 v54, 1
	s_and_saveexec_b64 s[8:9], vcc
	s_cbranch_execz .LBB566_178
; %bb.175:
	v_bfe_u32 v40, v40, 24, 7
	s_movk_i32 s10, 0x7f
	v_cmp_ne_u32_e32 vcc, s10, v40
	v_mov_b32_e32 v54, 0x7f800001
	s_and_saveexec_b64 s[10:11], vcc
	s_cbranch_execz .LBB566_177
; %bb.176:
	v_and_b32_e32 v50, 7, v38
	v_ffbh_u32_e32 v54, v50
	v_min_u32_e32 v57, 32, v54
	v_subrev_u32_e32 v54, 28, v57
	v_lshlrev_b64 v[54:55], v54, v[38:39]
	v_lshrrev_b32_e32 v56, 3, v40
	v_sub_u32_e32 v55, 29, v57
	v_and_b32_e32 v54, 7, v54
	v_cmp_gt_u32_e32 vcc, 8, v40
	v_cndmask_b32_e32 v40, v56, v55, vcc
	v_cndmask_b32_e32 v50, v50, v54, vcc
	v_lshlrev_b32_e32 v38, 24, v38
	v_bfrev_b32_e32 v54, 60
	v_lshlrev_b32_e32 v50, 20, v50
	v_and_b32_e32 v38, 0x80000000, v38
	v_lshl_add_u32 v40, v40, 23, v54
	v_or3_b32 v54, v38, v40, v50
.LBB566_177:
	s_or_b64 exec, exec, s[10:11]
.LBB566_178:
	s_or_b64 exec, exec, s[8:9]
.LBB566_179:
	s_or_b64 exec, exec, s[2:3]
	v_cmp_ne_u16_sdwa s[8:9], v41, v53 src0_sel:BYTE_0 src1_sel:DWORD
	s_and_saveexec_b64 s[2:3], s[8:9]
	s_cbranch_execz .LBB566_185
; %bb.180:
	s_movk_i32 s8, 0x80
	v_cmp_ne_u16_sdwa s[10:11], v41, s8 src0_sel:BYTE_0 src1_sel:DWORD
	v_bfrev_b32_e32 v53, 1
	s_and_saveexec_b64 s[8:9], s[10:11]
	s_cbranch_execz .LBB566_184
; %bb.181:
	s_movk_i32 s10, 0x7f
	v_and_b32_e32 v38, 0x7f, v41
	v_cmp_ne_u32_e32 vcc, s10, v38
	v_mov_b32_e32 v53, 0x7f800001
	s_and_saveexec_b64 s[10:11], vcc
	s_cbranch_execz .LBB566_183
; %bb.182:
	v_and_b32_e32 v50, 7, v41
	v_ffbh_u32_e32 v55, v50
	v_min_u32_e32 v55, 32, v55
	v_mov_b32_e32 v40, v41
	v_subrev_u32_e32 v56, 28, v55
	v_lshlrev_b64 v[56:57], v56, v[40:41]
	v_lshrrev_b32_e32 v53, 3, v38
	v_sub_u32_e32 v40, 29, v55
	v_and_b32_e32 v55, 7, v56
	v_cmp_gt_u32_e32 vcc, 8, v38
	v_cndmask_b32_e32 v38, v53, v40, vcc
	v_cndmask_b32_e32 v40, v50, v55, vcc
	v_lshlrev_b32_e32 v50, 24, v41
	v_bfrev_b32_e32 v53, 60
	v_lshlrev_b32_e32 v40, 20, v40
	v_and_b32_e32 v50, 0x80000000, v50
	v_lshl_add_u32 v38, v38, 23, v53
	v_or3_b32 v53, v50, v38, v40
.LBB566_183:
	s_or_b64 exec, exec, s[10:11]
.LBB566_184:
	s_or_b64 exec, exec, s[8:9]
.LBB566_185:
	s_or_b64 exec, exec, s[2:3]
	v_lshrrev_b16_e32 v38, 8, v41
	v_cmp_ne_u16_e32 vcc, 0, v38
	v_mov_b32_e32 v40, 0
	v_mov_b32_e32 v55, 0
	s_and_saveexec_b64 s[2:3], vcc
	s_cbranch_execz .LBB566_191
; %bb.186:
	s_movk_i32 s8, 0x80
	v_cmp_ne_u16_e32 vcc, s8, v38
	v_bfrev_b32_e32 v55, 1
	s_and_saveexec_b64 s[8:9], vcc
	s_cbranch_execz .LBB566_190
; %bb.187:
	s_movk_i32 s10, 0x7f
	v_and_b32_e32 v50, 0x7f, v38
	v_cmp_ne_u32_e32 vcc, s10, v50
	v_mov_b32_e32 v55, 0x7f800001
	s_and_saveexec_b64 s[10:11], vcc
	s_cbranch_execz .LBB566_189
; %bb.188:
	v_and_b32_e32 v55, 7, v38
	v_ffbh_u32_e32 v56, v55
	v_min_u32_e32 v59, 32, v56
	v_subrev_u32_e32 v56, 28, v59
	v_lshlrev_b64 v[56:57], v56, v[38:39]
	v_lshrrev_b32_e32 v58, 3, v50
	v_sub_u32_e32 v38, 29, v59
	v_and_b32_e32 v56, 7, v56
	v_cmp_gt_u32_e32 vcc, 8, v50
	v_cndmask_b32_e32 v38, v58, v38, vcc
	v_cndmask_b32_e32 v50, v55, v56, vcc
	v_lshlrev_b32_e32 v55, 16, v41
	v_bfrev_b32_e32 v56, 60
	v_lshlrev_b32_e32 v50, 20, v50
	v_and_b32_e32 v55, 0x80000000, v55
	v_lshl_add_u32 v38, v38, 23, v56
	v_or3_b32 v55, v55, v38, v50
.LBB566_189:
	s_or_b64 exec, exec, s[10:11]
.LBB566_190:
	s_or_b64 exec, exec, s[8:9]
.LBB566_191:
	s_or_b64 exec, exec, s[2:3]
	s_movk_i32 s2, 0xff
	v_and_b32_sdwa v50, v41, s2 dst_sel:DWORD dst_unused:UNUSED_PAD src0_sel:WORD_1 src1_sel:DWORD
	v_lshrrev_b32_e32 v38, 16, v41
	v_cmp_ne_u16_e32 vcc, 0, v50
	s_and_saveexec_b64 s[2:3], vcc
	s_cbranch_execz .LBB566_197
; %bb.192:
	s_movk_i32 s8, 0x80
	v_cmp_ne_u16_e32 vcc, s8, v50
	v_bfrev_b32_e32 v40, 1
	s_and_saveexec_b64 s[8:9], vcc
	s_cbranch_execz .LBB566_196
; %bb.193:
	v_bfe_u32 v50, v41, 16, 7
	s_movk_i32 s10, 0x7f
	v_cmp_ne_u32_e32 vcc, s10, v50
	v_mov_b32_e32 v40, 0x7f800001
	s_and_saveexec_b64 s[10:11], vcc
	s_cbranch_execz .LBB566_195
; %bb.194:
	v_and_b32_e32 v40, 7, v38
	v_ffbh_u32_e32 v56, v40
	v_min_u32_e32 v59, 32, v56
	v_subrev_u32_e32 v56, 28, v59
	v_lshlrev_b64 v[56:57], v56, v[38:39]
	v_lshrrev_b32_e32 v58, 3, v50
	v_sub_u32_e32 v38, 29, v59
	v_and_b32_e32 v56, 7, v56
	v_cmp_gt_u32_e32 vcc, 8, v50
	v_mov_b32_e32 v50, 24
	v_cndmask_b32_e32 v38, v58, v38, vcc
	v_cndmask_b32_e32 v40, v40, v56, vcc
	v_lshlrev_b32_sdwa v50, v50, v41 dst_sel:DWORD dst_unused:UNUSED_PAD src0_sel:DWORD src1_sel:WORD_1
	v_bfrev_b32_e32 v56, 60
	v_lshlrev_b32_e32 v40, 20, v40
	v_and_b32_e32 v50, 0x80000000, v50
	v_lshl_add_u32 v38, v38, 23, v56
	v_or3_b32 v40, v50, v38, v40
.LBB566_195:
	s_or_b64 exec, exec, s[10:11]
.LBB566_196:
	s_or_b64 exec, exec, s[8:9]
.LBB566_197:
	s_or_b64 exec, exec, s[2:3]
	s_mov_b32 s2, 0xffffff
	v_cmp_lt_u32_e32 vcc, s2, v41
	v_mov_b32_e32 v50, 0
	v_mov_b32_e32 v56, 0
	s_and_saveexec_b64 s[2:3], vcc
	s_cbranch_execz .LBB566_203
; %bb.198:
	v_lshrrev_b32_e32 v38, 24, v41
	s_movk_i32 s8, 0x80
	v_cmp_ne_u32_e32 vcc, s8, v38
	v_bfrev_b32_e32 v56, 1
	s_and_saveexec_b64 s[8:9], vcc
	s_cbranch_execz .LBB566_202
; %bb.199:
	v_bfe_u32 v41, v41, 24, 7
	s_movk_i32 s10, 0x7f
	v_cmp_ne_u32_e32 vcc, s10, v41
	v_mov_b32_e32 v56, 0x7f800001
	s_and_saveexec_b64 s[10:11], vcc
	s_cbranch_execz .LBB566_201
; %bb.200:
	v_and_b32_e32 v58, 7, v38
	v_ffbh_u32_e32 v56, v58
	v_min_u32_e32 v60, 32, v56
	v_subrev_u32_e32 v56, 28, v60
	v_lshlrev_b64 v[56:57], v56, v[38:39]
	v_lshrrev_b32_e32 v59, 3, v41
	v_sub_u32_e32 v57, 29, v60
	v_and_b32_e32 v56, 7, v56
	v_cmp_gt_u32_e32 vcc, 8, v41
	v_cndmask_b32_e32 v41, v59, v57, vcc
	v_cndmask_b32_e32 v56, v58, v56, vcc
	v_lshlrev_b32_e32 v38, 24, v38
	v_bfrev_b32_e32 v57, 60
	v_lshlrev_b32_e32 v56, 20, v56
	v_and_b32_e32 v38, 0x80000000, v38
	v_lshl_add_u32 v41, v41, 23, v57
	v_or3_b32 v56, v38, v41, v56
.LBB566_201:
	s_or_b64 exec, exec, s[10:11]
.LBB566_202:
	s_or_b64 exec, exec, s[8:9]
.LBB566_203:
	s_or_b64 exec, exec, s[2:3]
	v_cvt_pkrtz_f16_f32 v38, v51, v52
	v_cvt_pkrtz_f16_f32 v39, v39, v54
	s_waitcnt vmcnt(5)
	v_cmp_ne_u16_sdwa s[8:9], v34, v50 src0_sel:BYTE_0 src1_sel:DWORD
	v_mfma_f32_16x16x16f16 v[42:45], v[38:39], v[18:19], v[42:45]
	v_cvt_pkrtz_f16_f32 v38, v53, v55
	v_cvt_pkrtz_f16_f32 v39, v40, v56
	s_nop 1
	v_mfma_f32_16x16x16f16 v[38:41], v[38:39], v[20:21], v[42:45]
	s_and_saveexec_b64 s[2:3], s[8:9]
	s_cbranch_execz .LBB566_209
; %bb.204:
	s_movk_i32 s8, 0x80
	v_cmp_ne_u16_sdwa s[10:11], v34, s8 src0_sel:BYTE_0 src1_sel:DWORD
	v_bfrev_b32_e32 v50, 1
	s_and_saveexec_b64 s[8:9], s[10:11]
	s_cbranch_execz .LBB566_208
; %bb.205:
	s_movk_i32 s10, 0x7f
	v_and_b32_e32 v42, 0x7f, v34
	v_cmp_ne_u32_e32 vcc, s10, v42
	v_mov_b32_e32 v50, 0x7f800001
	s_and_saveexec_b64 s[10:11], vcc
	s_cbranch_execz .LBB566_207
; %bb.206:
	v_and_b32_e32 v43, 7, v34
	v_ffbh_u32_e32 v44, v43
	v_min_u32_e32 v51, 32, v44
	v_subrev_u32_e32 v44, 28, v51
	v_lshlrev_b64 v[44:45], v44, v[34:35]
	v_lshrrev_b32_e32 v50, 3, v42
	v_sub_u32_e32 v45, 29, v51
	v_and_b32_e32 v44, 7, v44
	v_cmp_gt_u32_e32 vcc, 8, v42
	v_cndmask_b32_e32 v42, v50, v45, vcc
	v_cndmask_b32_e32 v43, v43, v44, vcc
	v_lshlrev_b32_e32 v44, 24, v34
	v_bfrev_b32_e32 v45, 60
	v_lshlrev_b32_e32 v43, 20, v43
	v_and_b32_e32 v44, 0x80000000, v44
	v_lshl_add_u32 v42, v42, 23, v45
	v_or3_b32 v50, v44, v42, v43
.LBB566_207:
	s_or_b64 exec, exec, s[10:11]
.LBB566_208:
	s_or_b64 exec, exec, s[8:9]
.LBB566_209:
	s_or_b64 exec, exec, s[2:3]
	s_nop 3
	v_lshrrev_b16_e32 v42, 8, v34
	v_cmp_ne_u16_e32 vcc, 0, v42
	v_mov_b32_e32 v43, 0
	v_mov_b32_e32 v44, 0
	s_and_saveexec_b64 s[2:3], vcc
	s_cbranch_execz .LBB566_215
; %bb.210:
	s_movk_i32 s8, 0x80
	v_cmp_ne_u16_e32 vcc, s8, v42
	v_bfrev_b32_e32 v44, 1
	s_and_saveexec_b64 s[8:9], vcc
	s_cbranch_execz .LBB566_214
; %bb.211:
	s_movk_i32 s10, 0x7f
	v_and_b32_e32 v45, 0x7f, v42
	v_cmp_ne_u32_e32 vcc, s10, v45
	v_mov_b32_e32 v44, 0x7f800001
	s_and_saveexec_b64 s[10:11], vcc
	s_cbranch_execz .LBB566_213
; %bb.212:
	v_and_b32_e32 v44, 7, v42
	v_ffbh_u32_e32 v52, v44
	v_min_u32_e32 v54, 32, v52
	v_subrev_u32_e32 v52, 28, v54
	v_lshlrev_b64 v[52:53], v52, v[42:43]
	v_lshrrev_b32_e32 v51, 3, v45
	v_sub_u32_e32 v42, 29, v54
	v_and_b32_e32 v52, 7, v52
	v_cmp_gt_u32_e32 vcc, 8, v45
	v_cndmask_b32_e32 v42, v51, v42, vcc
	v_cndmask_b32_e32 v44, v44, v52, vcc
	v_lshlrev_b32_e32 v45, 16, v34
	v_bfrev_b32_e32 v51, 60
	v_lshlrev_b32_e32 v44, 20, v44
	v_and_b32_e32 v45, 0x80000000, v45
	v_lshl_add_u32 v42, v42, 23, v51
	v_or3_b32 v44, v45, v42, v44
.LBB566_213:
	s_or_b64 exec, exec, s[10:11]
.LBB566_214:
	s_or_b64 exec, exec, s[8:9]
.LBB566_215:
	s_or_b64 exec, exec, s[2:3]
	s_movk_i32 s2, 0xff
	v_and_b32_sdwa v45, v34, s2 dst_sel:DWORD dst_unused:UNUSED_PAD src0_sel:WORD_1 src1_sel:DWORD
	v_lshrrev_b32_e32 v42, 16, v34
	v_cmp_ne_u16_e32 vcc, 0, v45
	s_and_saveexec_b64 s[2:3], vcc
	s_cbranch_execz .LBB566_221
; %bb.216:
	s_movk_i32 s8, 0x80
	v_cmp_ne_u16_e32 vcc, s8, v45
	v_bfrev_b32_e32 v43, 1
	s_and_saveexec_b64 s[8:9], vcc
	s_cbranch_execz .LBB566_220
; %bb.217:
	v_bfe_u32 v45, v34, 16, 7
	s_movk_i32 s10, 0x7f
	v_cmp_ne_u32_e32 vcc, s10, v45
	v_mov_b32_e32 v43, 0x7f800001
	s_and_saveexec_b64 s[10:11], vcc
	s_cbranch_execz .LBB566_219
; %bb.218:
	v_and_b32_e32 v51, 7, v42
	v_ffbh_u32_e32 v43, v51
	v_min_u32_e32 v53, 32, v43
	v_subrev_u32_e32 v43, 28, v53
	v_lshlrev_b64 v[42:43], v43, v[42:43]
	v_lshrrev_b32_e32 v52, 3, v45
	v_sub_u32_e32 v43, 29, v53
	v_and_b32_e32 v42, 7, v42
	v_cmp_gt_u32_e32 vcc, 8, v45
	v_mov_b32_e32 v45, 24
	v_cndmask_b32_e32 v43, v52, v43, vcc
	v_cndmask_b32_e32 v42, v51, v42, vcc
	v_lshlrev_b32_sdwa v45, v45, v34 dst_sel:DWORD dst_unused:UNUSED_PAD src0_sel:DWORD src1_sel:WORD_1
	v_bfrev_b32_e32 v51, 60
	v_lshlrev_b32_e32 v42, 20, v42
	v_and_b32_e32 v45, 0x80000000, v45
	v_lshl_add_u32 v43, v43, 23, v51
	v_or3_b32 v43, v45, v43, v42
.LBB566_219:
	s_or_b64 exec, exec, s[10:11]
.LBB566_220:
	s_or_b64 exec, exec, s[8:9]
.LBB566_221:
	s_or_b64 exec, exec, s[2:3]
	s_mov_b32 s2, 0xffffff
	v_cmp_lt_u32_e32 vcc, s2, v34
	v_mov_b32_e32 v45, 0
	v_mov_b32_e32 v52, 0
	s_and_saveexec_b64 s[2:3], vcc
	s_cbranch_execz .LBB566_227
; %bb.222:
	v_lshrrev_b32_e32 v42, 24, v34
	s_movk_i32 s8, 0x80
	v_cmp_ne_u32_e32 vcc, s8, v42
	v_bfrev_b32_e32 v52, 1
	s_and_saveexec_b64 s[8:9], vcc
	s_cbranch_execz .LBB566_226
; %bb.223:
	v_bfe_u32 v34, v34, 24, 7
	s_movk_i32 s10, 0x7f
	v_cmp_ne_u32_e32 vcc, s10, v34
	v_mov_b32_e32 v52, 0x7f800001
	s_and_saveexec_b64 s[10:11], vcc
	s_cbranch_execz .LBB566_225
; %bb.224:
	v_and_b32_e32 v51, 7, v42
	v_ffbh_u32_e32 v52, v51
	v_min_u32_e32 v55, 32, v52
	v_subrev_u32_e32 v52, 28, v55
	v_lshlrev_b64 v[52:53], v52, v[42:43]
	v_lshrrev_b32_e32 v54, 3, v34
	v_sub_u32_e32 v53, 29, v55
	v_and_b32_e32 v52, 7, v52
	v_cmp_gt_u32_e32 vcc, 8, v34
	v_cndmask_b32_e32 v34, v54, v53, vcc
	v_cndmask_b32_e32 v51, v51, v52, vcc
	v_lshlrev_b32_e32 v42, 24, v42
	v_bfrev_b32_e32 v52, 60
	v_lshlrev_b32_e32 v51, 20, v51
	v_and_b32_e32 v42, 0x80000000, v42
	v_lshl_add_u32 v34, v34, 23, v52
	v_or3_b32 v52, v42, v34, v51
.LBB566_225:
	s_or_b64 exec, exec, s[10:11]
.LBB566_226:
	s_or_b64 exec, exec, s[8:9]
.LBB566_227:
	s_or_b64 exec, exec, s[2:3]
	v_cmp_ne_u16_sdwa s[8:9], v35, v45 src0_sel:BYTE_0 src1_sel:DWORD
	s_and_saveexec_b64 s[2:3], s[8:9]
	s_cbranch_execz .LBB566_233
; %bb.228:
	s_movk_i32 s8, 0x80
	v_cmp_ne_u16_sdwa s[10:11], v35, s8 src0_sel:BYTE_0 src1_sel:DWORD
	v_bfrev_b32_e32 v45, 1
	s_and_saveexec_b64 s[8:9], s[10:11]
	s_cbranch_execz .LBB566_232
; %bb.229:
	s_movk_i32 s10, 0x7f
	v_and_b32_e32 v34, 0x7f, v35
	v_cmp_ne_u32_e32 vcc, s10, v34
	v_mov_b32_e32 v45, 0x7f800001
	s_and_saveexec_b64 s[10:11], vcc
	s_cbranch_execz .LBB566_231
; %bb.230:
	v_and_b32_e32 v45, 7, v35
	v_ffbh_u32_e32 v53, v45
	v_min_u32_e32 v53, 32, v53
	v_mov_b32_e32 v42, v35
	v_subrev_u32_e32 v54, 28, v53
	v_lshlrev_b64 v[54:55], v54, v[42:43]
	v_lshrrev_b32_e32 v51, 3, v34
	v_sub_u32_e32 v42, 29, v53
	v_and_b32_e32 v53, 7, v54
	v_cmp_gt_u32_e32 vcc, 8, v34
	v_cndmask_b32_e32 v34, v51, v42, vcc
	v_cndmask_b32_e32 v42, v45, v53, vcc
	v_lshlrev_b32_e32 v45, 24, v35
	v_bfrev_b32_e32 v51, 60
	v_lshlrev_b32_e32 v42, 20, v42
	v_and_b32_e32 v45, 0x80000000, v45
	v_lshl_add_u32 v34, v34, 23, v51
	v_or3_b32 v45, v45, v34, v42
.LBB566_231:
	s_or_b64 exec, exec, s[10:11]
.LBB566_232:
	s_or_b64 exec, exec, s[8:9]
.LBB566_233:
	s_or_b64 exec, exec, s[2:3]
	v_lshrrev_b16_e32 v34, 8, v35
	v_cmp_ne_u16_e32 vcc, 0, v34
	v_mov_b32_e32 v42, 0
	v_mov_b32_e32 v53, 0
	s_and_saveexec_b64 s[2:3], vcc
	s_cbranch_execz .LBB566_239
; %bb.234:
	s_movk_i32 s8, 0x80
	v_cmp_ne_u16_e32 vcc, s8, v34
	v_bfrev_b32_e32 v53, 1
	s_and_saveexec_b64 s[8:9], vcc
	s_cbranch_execz .LBB566_238
; %bb.235:
	s_movk_i32 s10, 0x7f
	v_and_b32_e32 v51, 0x7f, v34
	v_cmp_ne_u32_e32 vcc, s10, v51
	v_mov_b32_e32 v53, 0x7f800001
	s_and_saveexec_b64 s[10:11], vcc
	s_cbranch_execz .LBB566_237
; %bb.236:
	v_and_b32_e32 v53, 7, v34
	v_ffbh_u32_e32 v54, v53
	v_min_u32_e32 v57, 32, v54
	v_subrev_u32_e32 v54, 28, v57
	v_lshlrev_b64 v[54:55], v54, v[34:35]
	v_lshrrev_b32_e32 v56, 3, v51
	v_sub_u32_e32 v34, 29, v57
	v_and_b32_e32 v54, 7, v54
	v_cmp_gt_u32_e32 vcc, 8, v51
	v_cndmask_b32_e32 v34, v56, v34, vcc
	v_cndmask_b32_e32 v51, v53, v54, vcc
	v_lshlrev_b32_e32 v53, 16, v35
	v_bfrev_b32_e32 v54, 60
	v_lshlrev_b32_e32 v51, 20, v51
	v_and_b32_e32 v53, 0x80000000, v53
	v_lshl_add_u32 v34, v34, 23, v54
	v_or3_b32 v53, v53, v34, v51
.LBB566_237:
	s_or_b64 exec, exec, s[10:11]
.LBB566_238:
	s_or_b64 exec, exec, s[8:9]
.LBB566_239:
	s_or_b64 exec, exec, s[2:3]
	s_movk_i32 s2, 0xff
	v_and_b32_sdwa v51, v35, s2 dst_sel:DWORD dst_unused:UNUSED_PAD src0_sel:WORD_1 src1_sel:DWORD
	v_lshrrev_b32_e32 v34, 16, v35
	v_cmp_ne_u16_e32 vcc, 0, v51
	s_and_saveexec_b64 s[2:3], vcc
	s_cbranch_execz .LBB566_245
; %bb.240:
	s_movk_i32 s8, 0x80
	v_cmp_ne_u16_e32 vcc, s8, v51
	v_bfrev_b32_e32 v42, 1
	s_and_saveexec_b64 s[8:9], vcc
	s_cbranch_execz .LBB566_244
; %bb.241:
	v_bfe_u32 v51, v35, 16, 7
	s_movk_i32 s10, 0x7f
	v_cmp_ne_u32_e32 vcc, s10, v51
	v_mov_b32_e32 v42, 0x7f800001
	s_and_saveexec_b64 s[10:11], vcc
	s_cbranch_execz .LBB566_243
; %bb.242:
	v_and_b32_e32 v42, 7, v34
	v_ffbh_u32_e32 v54, v42
	v_min_u32_e32 v57, 32, v54
	v_subrev_u32_e32 v54, 28, v57
	v_lshlrev_b64 v[54:55], v54, v[34:35]
	v_lshrrev_b32_e32 v56, 3, v51
	v_sub_u32_e32 v34, 29, v57
	v_and_b32_e32 v54, 7, v54
	v_cmp_gt_u32_e32 vcc, 8, v51
	v_mov_b32_e32 v51, 24
	v_cndmask_b32_e32 v34, v56, v34, vcc
	v_cndmask_b32_e32 v42, v42, v54, vcc
	v_lshlrev_b32_sdwa v51, v51, v35 dst_sel:DWORD dst_unused:UNUSED_PAD src0_sel:DWORD src1_sel:WORD_1
	v_bfrev_b32_e32 v54, 60
	v_lshlrev_b32_e32 v42, 20, v42
	v_and_b32_e32 v51, 0x80000000, v51
	v_lshl_add_u32 v34, v34, 23, v54
	v_or3_b32 v42, v51, v34, v42
.LBB566_243:
	s_or_b64 exec, exec, s[10:11]
.LBB566_244:
	s_or_b64 exec, exec, s[8:9]
.LBB566_245:
	s_or_b64 exec, exec, s[2:3]
	s_mov_b32 s2, 0xffffff
	v_cmp_lt_u32_e32 vcc, s2, v35
	v_mov_b32_e32 v51, 0
	v_mov_b32_e32 v54, 0
	s_and_saveexec_b64 s[2:3], vcc
	s_cbranch_execz .LBB566_251
; %bb.246:
	v_lshrrev_b32_e32 v34, 24, v35
	s_movk_i32 s8, 0x80
	v_cmp_ne_u32_e32 vcc, s8, v34
	v_bfrev_b32_e32 v54, 1
	s_and_saveexec_b64 s[8:9], vcc
	s_cbranch_execz .LBB566_250
; %bb.247:
	v_bfe_u32 v35, v35, 24, 7
	s_movk_i32 s10, 0x7f
	v_cmp_ne_u32_e32 vcc, s10, v35
	v_mov_b32_e32 v54, 0x7f800001
	s_and_saveexec_b64 s[10:11], vcc
	s_cbranch_execz .LBB566_249
; %bb.248:
	v_and_b32_e32 v56, 7, v34
	v_ffbh_u32_e32 v54, v56
	v_min_u32_e32 v58, 32, v54
	v_subrev_u32_e32 v54, 28, v58
	v_lshlrev_b64 v[54:55], v54, v[34:35]
	v_lshrrev_b32_e32 v57, 3, v35
	v_sub_u32_e32 v55, 29, v58
	v_and_b32_e32 v54, 7, v54
	v_cmp_gt_u32_e32 vcc, 8, v35
	v_cndmask_b32_e32 v35, v57, v55, vcc
	v_cndmask_b32_e32 v54, v56, v54, vcc
	v_lshlrev_b32_e32 v34, 24, v34
	v_bfrev_b32_e32 v55, 60
	v_lshlrev_b32_e32 v54, 20, v54
	v_and_b32_e32 v34, 0x80000000, v34
	v_lshl_add_u32 v35, v35, 23, v55
	v_or3_b32 v54, v34, v35, v54
.LBB566_249:
	s_or_b64 exec, exec, s[10:11]
.LBB566_250:
	s_or_b64 exec, exec, s[8:9]
.LBB566_251:
	s_or_b64 exec, exec, s[2:3]
	v_cvt_pkrtz_f16_f32 v34, v50, v44
	v_cvt_pkrtz_f16_f32 v35, v43, v52
	v_cmp_ne_u16_sdwa s[8:9], v36, v51 src0_sel:BYTE_0 src1_sel:DWORD
	s_nop 0
	v_mfma_f32_16x16x16f16 v[56:59], v[34:35], v[26:27], 0
	v_cvt_pkrtz_f16_f32 v34, v45, v53
	v_cvt_pkrtz_f16_f32 v35, v42, v54
	s_nop 1
	v_mfma_f32_16x16x16f16 v[42:45], v[34:35], v[28:29], v[56:59]
	s_and_saveexec_b64 s[2:3], s[8:9]
	s_cbranch_execz .LBB566_257
; %bb.252:
	s_movk_i32 s8, 0x80
	v_cmp_ne_u16_sdwa s[10:11], v36, s8 src0_sel:BYTE_0 src1_sel:DWORD
	v_bfrev_b32_e32 v51, 1
	s_and_saveexec_b64 s[8:9], s[10:11]
	s_cbranch_execz .LBB566_256
; %bb.253:
	s_movk_i32 s10, 0x7f
	v_and_b32_e32 v34, 0x7f, v36
	v_cmp_ne_u32_e32 vcc, s10, v34
	v_mov_b32_e32 v51, 0x7f800001
	s_and_saveexec_b64 s[10:11], vcc
	s_cbranch_execz .LBB566_255
; %bb.254:
	v_and_b32_e32 v35, 7, v36
	v_ffbh_u32_e32 v50, v35
	v_min_u32_e32 v53, 32, v50
	v_subrev_u32_e32 v50, 28, v53
	v_lshlrev_b64 v[50:51], v50, v[36:37]
	v_lshrrev_b32_e32 v52, 3, v34
	v_sub_u32_e32 v51, 29, v53
	v_and_b32_e32 v50, 7, v50
	v_cmp_gt_u32_e32 vcc, 8, v34
	v_cndmask_b32_e32 v34, v52, v51, vcc
	v_cndmask_b32_e32 v35, v35, v50, vcc
	v_lshlrev_b32_e32 v50, 24, v36
	v_bfrev_b32_e32 v51, 60
	v_lshlrev_b32_e32 v35, 20, v35
	v_and_b32_e32 v50, 0x80000000, v50
	v_lshl_add_u32 v34, v34, 23, v51
	v_or3_b32 v51, v50, v34, v35
.LBB566_255:
	s_or_b64 exec, exec, s[10:11]
.LBB566_256:
	s_or_b64 exec, exec, s[8:9]
.LBB566_257:
	s_or_b64 exec, exec, s[2:3]
	v_lshrrev_b16_e32 v34, 8, v36
	v_cmp_ne_u16_e32 vcc, 0, v34
	v_mov_b32_e32 v35, 0
	v_mov_b32_e32 v52, 0
	s_and_saveexec_b64 s[2:3], vcc
	s_cbranch_execz .LBB566_263
; %bb.258:
	s_movk_i32 s8, 0x80
	v_cmp_ne_u16_e32 vcc, s8, v34
	v_bfrev_b32_e32 v52, 1
	s_and_saveexec_b64 s[8:9], vcc
	s_cbranch_execz .LBB566_262
; %bb.259:
	s_movk_i32 s10, 0x7f
	v_and_b32_e32 v50, 0x7f, v34
	v_cmp_ne_u32_e32 vcc, s10, v50
	v_mov_b32_e32 v52, 0x7f800001
	s_and_saveexec_b64 s[10:11], vcc
	s_cbranch_execz .LBB566_261
; %bb.260:
	v_and_b32_e32 v54, 7, v34
	v_ffbh_u32_e32 v52, v54
	v_min_u32_e32 v56, 32, v52
	v_subrev_u32_e32 v52, 28, v56
	v_lshlrev_b64 v[52:53], v52, v[34:35]
	v_lshrrev_b32_e32 v55, 3, v50
	v_sub_u32_e32 v34, 29, v56
	v_and_b32_e32 v52, 7, v52
	v_cmp_gt_u32_e32 vcc, 8, v50
	v_cndmask_b32_e32 v34, v55, v34, vcc
	v_cndmask_b32_e32 v50, v54, v52, vcc
	v_lshlrev_b32_e32 v52, 16, v36
	v_bfrev_b32_e32 v53, 60
	v_lshlrev_b32_e32 v50, 20, v50
	v_and_b32_e32 v52, 0x80000000, v52
	v_lshl_add_u32 v34, v34, 23, v53
	v_or3_b32 v52, v52, v34, v50
.LBB566_261:
	s_or_b64 exec, exec, s[10:11]
.LBB566_262:
	s_or_b64 exec, exec, s[8:9]
.LBB566_263:
	s_or_b64 exec, exec, s[2:3]
	s_movk_i32 s2, 0xff
	v_and_b32_sdwa v50, v36, s2 dst_sel:DWORD dst_unused:UNUSED_PAD src0_sel:WORD_1 src1_sel:DWORD
	v_lshrrev_b32_e32 v34, 16, v36
	v_cmp_ne_u16_e32 vcc, 0, v50
	s_and_saveexec_b64 s[2:3], vcc
	s_cbranch_execz .LBB566_269
; %bb.264:
	s_movk_i32 s8, 0x80
	v_cmp_ne_u16_e32 vcc, s8, v50
	v_bfrev_b32_e32 v35, 1
	s_and_saveexec_b64 s[8:9], vcc
	s_cbranch_execz .LBB566_268
; %bb.265:
	v_bfe_u32 v50, v36, 16, 7
	s_movk_i32 s10, 0x7f
	v_cmp_ne_u32_e32 vcc, s10, v50
	v_mov_b32_e32 v35, 0x7f800001
	s_and_saveexec_b64 s[10:11], vcc
	s_cbranch_execz .LBB566_267
; %bb.266:
	v_and_b32_e32 v53, 7, v34
	v_ffbh_u32_e32 v35, v53
	v_min_u32_e32 v55, 32, v35
	v_subrev_u32_e32 v35, 28, v55
	v_lshlrev_b64 v[34:35], v35, v[34:35]
	v_lshrrev_b32_e32 v54, 3, v50
	v_sub_u32_e32 v35, 29, v55
	v_and_b32_e32 v34, 7, v34
	v_cmp_gt_u32_e32 vcc, 8, v50
	v_mov_b32_e32 v50, 24
	v_cndmask_b32_e32 v35, v54, v35, vcc
	v_cndmask_b32_e32 v34, v53, v34, vcc
	v_lshlrev_b32_sdwa v50, v50, v36 dst_sel:DWORD dst_unused:UNUSED_PAD src0_sel:DWORD src1_sel:WORD_1
	v_bfrev_b32_e32 v53, 60
	v_lshlrev_b32_e32 v34, 20, v34
	v_and_b32_e32 v50, 0x80000000, v50
	v_lshl_add_u32 v35, v35, 23, v53
	v_or3_b32 v35, v50, v35, v34
.LBB566_267:
	s_or_b64 exec, exec, s[10:11]
.LBB566_268:
	s_or_b64 exec, exec, s[8:9]
.LBB566_269:
	s_or_b64 exec, exec, s[2:3]
	s_mov_b32 s2, 0xffffff
	v_cmp_lt_u32_e32 vcc, s2, v36
	v_mov_b32_e32 v53, 0
	v_mov_b32_e32 v54, 0
	s_and_saveexec_b64 s[2:3], vcc
	s_cbranch_execz .LBB566_275
; %bb.270:
	v_lshrrev_b32_e32 v34, 24, v36
	s_movk_i32 s8, 0x80
	v_cmp_ne_u32_e32 vcc, s8, v34
	v_bfrev_b32_e32 v54, 1
	s_and_saveexec_b64 s[8:9], vcc
	s_cbranch_execz .LBB566_274
; %bb.271:
	v_bfe_u32 v36, v36, 24, 7
	s_movk_i32 s10, 0x7f
	v_cmp_ne_u32_e32 vcc, s10, v36
	v_mov_b32_e32 v54, 0x7f800001
	s_and_saveexec_b64 s[10:11], vcc
	s_cbranch_execz .LBB566_273
; %bb.272:
	v_and_b32_e32 v50, 7, v34
	v_ffbh_u32_e32 v54, v50
	v_min_u32_e32 v57, 32, v54
	v_subrev_u32_e32 v54, 28, v57
	v_lshlrev_b64 v[54:55], v54, v[34:35]
	v_lshrrev_b32_e32 v56, 3, v36
	v_sub_u32_e32 v55, 29, v57
	v_and_b32_e32 v54, 7, v54
	v_cmp_gt_u32_e32 vcc, 8, v36
	v_cndmask_b32_e32 v36, v56, v55, vcc
	v_cndmask_b32_e32 v50, v50, v54, vcc
	v_lshlrev_b32_e32 v34, 24, v34
	v_bfrev_b32_e32 v54, 60
	v_lshlrev_b32_e32 v50, 20, v50
	v_and_b32_e32 v34, 0x80000000, v34
	v_lshl_add_u32 v36, v36, 23, v54
	v_or3_b32 v54, v34, v36, v50
.LBB566_273:
	s_or_b64 exec, exec, s[10:11]
.LBB566_274:
	s_or_b64 exec, exec, s[8:9]
.LBB566_275:
	s_or_b64 exec, exec, s[2:3]
	v_cmp_ne_u16_sdwa s[8:9], v37, v53 src0_sel:BYTE_0 src1_sel:DWORD
	s_and_saveexec_b64 s[2:3], s[8:9]
	s_cbranch_execz .LBB566_281
; %bb.276:
	s_movk_i32 s8, 0x80
	v_cmp_ne_u16_sdwa s[10:11], v37, s8 src0_sel:BYTE_0 src1_sel:DWORD
	v_bfrev_b32_e32 v53, 1
	s_and_saveexec_b64 s[8:9], s[10:11]
	s_cbranch_execz .LBB566_280
; %bb.277:
	s_movk_i32 s10, 0x7f
	v_and_b32_e32 v34, 0x7f, v37
	v_cmp_ne_u32_e32 vcc, s10, v34
	v_mov_b32_e32 v53, 0x7f800001
	s_and_saveexec_b64 s[10:11], vcc
	s_cbranch_execz .LBB566_279
; %bb.278:
	v_and_b32_e32 v50, 7, v37
	v_ffbh_u32_e32 v55, v50
	v_min_u32_e32 v55, 32, v55
	v_mov_b32_e32 v36, v37
	v_subrev_u32_e32 v56, 28, v55
	v_lshlrev_b64 v[56:57], v56, v[36:37]
	v_lshrrev_b32_e32 v53, 3, v34
	v_sub_u32_e32 v36, 29, v55
	v_and_b32_e32 v55, 7, v56
	v_cmp_gt_u32_e32 vcc, 8, v34
	v_cndmask_b32_e32 v34, v53, v36, vcc
	v_cndmask_b32_e32 v36, v50, v55, vcc
	v_lshlrev_b32_e32 v50, 24, v37
	v_bfrev_b32_e32 v53, 60
	v_lshlrev_b32_e32 v36, 20, v36
	v_and_b32_e32 v50, 0x80000000, v50
	v_lshl_add_u32 v34, v34, 23, v53
	v_or3_b32 v53, v50, v34, v36
.LBB566_279:
	s_or_b64 exec, exec, s[10:11]
.LBB566_280:
	s_or_b64 exec, exec, s[8:9]
.LBB566_281:
	s_or_b64 exec, exec, s[2:3]
	v_lshrrev_b16_e32 v34, 8, v37
	v_cmp_ne_u16_e32 vcc, 0, v34
	v_mov_b32_e32 v36, 0
	v_mov_b32_e32 v55, 0
	s_and_saveexec_b64 s[2:3], vcc
	s_cbranch_execz .LBB566_287
; %bb.282:
	s_movk_i32 s8, 0x80
	v_cmp_ne_u16_e32 vcc, s8, v34
	v_bfrev_b32_e32 v55, 1
	s_and_saveexec_b64 s[8:9], vcc
	s_cbranch_execz .LBB566_286
; %bb.283:
	s_movk_i32 s10, 0x7f
	v_and_b32_e32 v50, 0x7f, v34
	v_cmp_ne_u32_e32 vcc, s10, v50
	v_mov_b32_e32 v55, 0x7f800001
	s_and_saveexec_b64 s[10:11], vcc
	s_cbranch_execz .LBB566_285
; %bb.284:
	v_and_b32_e32 v55, 7, v34
	v_ffbh_u32_e32 v56, v55
	v_min_u32_e32 v59, 32, v56
	v_subrev_u32_e32 v56, 28, v59
	v_lshlrev_b64 v[56:57], v56, v[34:35]
	v_lshrrev_b32_e32 v58, 3, v50
	v_sub_u32_e32 v34, 29, v59
	v_and_b32_e32 v56, 7, v56
	v_cmp_gt_u32_e32 vcc, 8, v50
	v_cndmask_b32_e32 v34, v58, v34, vcc
	v_cndmask_b32_e32 v50, v55, v56, vcc
	v_lshlrev_b32_e32 v55, 16, v37
	v_bfrev_b32_e32 v56, 60
	v_lshlrev_b32_e32 v50, 20, v50
	v_and_b32_e32 v55, 0x80000000, v55
	v_lshl_add_u32 v34, v34, 23, v56
	v_or3_b32 v55, v55, v34, v50
.LBB566_285:
	s_or_b64 exec, exec, s[10:11]
.LBB566_286:
	s_or_b64 exec, exec, s[8:9]
.LBB566_287:
	s_or_b64 exec, exec, s[2:3]
	s_movk_i32 s2, 0xff
	v_and_b32_sdwa v50, v37, s2 dst_sel:DWORD dst_unused:UNUSED_PAD src0_sel:WORD_1 src1_sel:DWORD
	v_lshrrev_b32_e32 v34, 16, v37
	v_cmp_ne_u16_e32 vcc, 0, v50
	s_and_saveexec_b64 s[2:3], vcc
	s_cbranch_execz .LBB566_293
; %bb.288:
	s_movk_i32 s8, 0x80
	v_cmp_ne_u16_e32 vcc, s8, v50
	v_bfrev_b32_e32 v36, 1
	s_and_saveexec_b64 s[8:9], vcc
	s_cbranch_execz .LBB566_292
; %bb.289:
	v_bfe_u32 v50, v37, 16, 7
	s_movk_i32 s10, 0x7f
	v_cmp_ne_u32_e32 vcc, s10, v50
	v_mov_b32_e32 v36, 0x7f800001
	s_and_saveexec_b64 s[10:11], vcc
	s_cbranch_execz .LBB566_291
; %bb.290:
	v_and_b32_e32 v36, 7, v34
	v_ffbh_u32_e32 v56, v36
	v_min_u32_e32 v59, 32, v56
	v_subrev_u32_e32 v56, 28, v59
	v_lshlrev_b64 v[56:57], v56, v[34:35]
	v_lshrrev_b32_e32 v58, 3, v50
	v_sub_u32_e32 v34, 29, v59
	v_and_b32_e32 v56, 7, v56
	v_cmp_gt_u32_e32 vcc, 8, v50
	v_mov_b32_e32 v50, 24
	v_cndmask_b32_e32 v34, v58, v34, vcc
	v_cndmask_b32_e32 v36, v36, v56, vcc
	v_lshlrev_b32_sdwa v50, v50, v37 dst_sel:DWORD dst_unused:UNUSED_PAD src0_sel:DWORD src1_sel:WORD_1
	v_bfrev_b32_e32 v56, 60
	v_lshlrev_b32_e32 v36, 20, v36
	v_and_b32_e32 v50, 0x80000000, v50
	v_lshl_add_u32 v34, v34, 23, v56
	v_or3_b32 v36, v50, v34, v36
.LBB566_291:
	s_or_b64 exec, exec, s[10:11]
.LBB566_292:
	s_or_b64 exec, exec, s[8:9]
.LBB566_293:
	s_or_b64 exec, exec, s[2:3]
	s_mov_b32 s2, 0xffffff
	v_cmp_lt_u32_e32 vcc, s2, v37
	v_mov_b32_e32 v50, 0
	v_mov_b32_e32 v56, 0
	s_and_saveexec_b64 s[2:3], vcc
	s_cbranch_execz .LBB566_299
; %bb.294:
	v_lshrrev_b32_e32 v34, 24, v37
	s_movk_i32 s8, 0x80
	v_cmp_ne_u32_e32 vcc, s8, v34
	v_bfrev_b32_e32 v56, 1
	s_and_saveexec_b64 s[8:9], vcc
	s_cbranch_execz .LBB566_298
; %bb.295:
	v_bfe_u32 v37, v37, 24, 7
	s_movk_i32 s10, 0x7f
	v_cmp_ne_u32_e32 vcc, s10, v37
	v_mov_b32_e32 v56, 0x7f800001
	s_and_saveexec_b64 s[10:11], vcc
	s_cbranch_execz .LBB566_297
; %bb.296:
	v_and_b32_e32 v58, 7, v34
	v_ffbh_u32_e32 v56, v58
	v_min_u32_e32 v60, 32, v56
	v_subrev_u32_e32 v56, 28, v60
	v_lshlrev_b64 v[56:57], v56, v[34:35]
	v_lshrrev_b32_e32 v59, 3, v37
	v_sub_u32_e32 v57, 29, v60
	v_and_b32_e32 v56, 7, v56
	v_cmp_gt_u32_e32 vcc, 8, v37
	v_cndmask_b32_e32 v37, v59, v57, vcc
	v_cndmask_b32_e32 v56, v58, v56, vcc
	v_lshlrev_b32_e32 v34, 24, v34
	v_bfrev_b32_e32 v57, 60
	v_lshlrev_b32_e32 v56, 20, v56
	v_and_b32_e32 v34, 0x80000000, v34
	v_lshl_add_u32 v37, v37, 23, v57
	v_or3_b32 v56, v34, v37, v56
.LBB566_297:
	s_or_b64 exec, exec, s[10:11]
.LBB566_298:
	s_or_b64 exec, exec, s[8:9]
.LBB566_299:
	s_or_b64 exec, exec, s[2:3]
	v_cvt_pkrtz_f16_f32 v34, v51, v52
	v_cvt_pkrtz_f16_f32 v35, v35, v54
	s_waitcnt vmcnt(4)
	v_cmp_ne_u16_sdwa s[8:9], v22, v50 src0_sel:BYTE_0 src1_sel:DWORD
	v_mfma_f32_16x16x16f16 v[42:45], v[34:35], v[18:19], v[42:45]
	v_cvt_pkrtz_f16_f32 v34, v53, v55
	v_cvt_pkrtz_f16_f32 v35, v36, v56
	s_nop 1
	v_mfma_f32_16x16x16f16 v[34:37], v[34:35], v[20:21], v[42:45]
	s_and_saveexec_b64 s[2:3], s[8:9]
	s_cbranch_execz .LBB566_305
; %bb.300:
	s_movk_i32 s8, 0x80
	v_cmp_ne_u16_sdwa s[10:11], v22, s8 src0_sel:BYTE_0 src1_sel:DWORD
	v_bfrev_b32_e32 v50, 1
	s_and_saveexec_b64 s[8:9], s[10:11]
	s_cbranch_execz .LBB566_304
; %bb.301:
	s_movk_i32 s10, 0x7f
	v_and_b32_e32 v42, 0x7f, v22
	v_cmp_ne_u32_e32 vcc, s10, v42
	v_mov_b32_e32 v50, 0x7f800001
	s_and_saveexec_b64 s[10:11], vcc
	s_cbranch_execz .LBB566_303
; %bb.302:
	v_and_b32_e32 v43, 7, v22
	v_ffbh_u32_e32 v44, v43
	v_min_u32_e32 v51, 32, v44
	v_subrev_u32_e32 v44, 28, v51
	v_lshlrev_b64 v[44:45], v44, v[22:23]
	v_lshrrev_b32_e32 v50, 3, v42
	v_sub_u32_e32 v45, 29, v51
	v_and_b32_e32 v44, 7, v44
	v_cmp_gt_u32_e32 vcc, 8, v42
	v_cndmask_b32_e32 v42, v50, v45, vcc
	v_cndmask_b32_e32 v43, v43, v44, vcc
	v_lshlrev_b32_e32 v44, 24, v22
	v_bfrev_b32_e32 v45, 60
	v_lshlrev_b32_e32 v43, 20, v43
	v_and_b32_e32 v44, 0x80000000, v44
	v_lshl_add_u32 v42, v42, 23, v45
	v_or3_b32 v50, v44, v42, v43
.LBB566_303:
	s_or_b64 exec, exec, s[10:11]
.LBB566_304:
	s_or_b64 exec, exec, s[8:9]
.LBB566_305:
	s_or_b64 exec, exec, s[2:3]
	s_nop 3
	v_lshrrev_b16_e32 v42, 8, v22
	v_cmp_ne_u16_e32 vcc, 0, v42
	v_mov_b32_e32 v43, 0
	v_mov_b32_e32 v44, 0
	s_and_saveexec_b64 s[2:3], vcc
	s_cbranch_execz .LBB566_311
; %bb.306:
	s_movk_i32 s8, 0x80
	v_cmp_ne_u16_e32 vcc, s8, v42
	v_bfrev_b32_e32 v44, 1
	s_and_saveexec_b64 s[8:9], vcc
	s_cbranch_execz .LBB566_310
; %bb.307:
	s_movk_i32 s10, 0x7f
	v_and_b32_e32 v45, 0x7f, v42
	v_cmp_ne_u32_e32 vcc, s10, v45
	v_mov_b32_e32 v44, 0x7f800001
	s_and_saveexec_b64 s[10:11], vcc
	s_cbranch_execz .LBB566_309
; %bb.308:
	v_and_b32_e32 v44, 7, v42
	v_ffbh_u32_e32 v52, v44
	v_min_u32_e32 v54, 32, v52
	v_subrev_u32_e32 v52, 28, v54
	v_lshlrev_b64 v[52:53], v52, v[42:43]
	v_lshrrev_b32_e32 v51, 3, v45
	v_sub_u32_e32 v42, 29, v54
	v_and_b32_e32 v52, 7, v52
	v_cmp_gt_u32_e32 vcc, 8, v45
	v_cndmask_b32_e32 v42, v51, v42, vcc
	v_cndmask_b32_e32 v44, v44, v52, vcc
	v_lshlrev_b32_e32 v45, 16, v22
	v_bfrev_b32_e32 v51, 60
	v_lshlrev_b32_e32 v44, 20, v44
	v_and_b32_e32 v45, 0x80000000, v45
	v_lshl_add_u32 v42, v42, 23, v51
	v_or3_b32 v44, v45, v42, v44
.LBB566_309:
	s_or_b64 exec, exec, s[10:11]
.LBB566_310:
	s_or_b64 exec, exec, s[8:9]
.LBB566_311:
	s_or_b64 exec, exec, s[2:3]
	s_movk_i32 s2, 0xff
	v_and_b32_sdwa v45, v22, s2 dst_sel:DWORD dst_unused:UNUSED_PAD src0_sel:WORD_1 src1_sel:DWORD
	v_lshrrev_b32_e32 v42, 16, v22
	v_cmp_ne_u16_e32 vcc, 0, v45
	s_and_saveexec_b64 s[2:3], vcc
	s_cbranch_execz .LBB566_317
; %bb.312:
	s_movk_i32 s8, 0x80
	v_cmp_ne_u16_e32 vcc, s8, v45
	v_bfrev_b32_e32 v43, 1
	s_and_saveexec_b64 s[8:9], vcc
	s_cbranch_execz .LBB566_316
; %bb.313:
	v_bfe_u32 v45, v22, 16, 7
	s_movk_i32 s10, 0x7f
	v_cmp_ne_u32_e32 vcc, s10, v45
	v_mov_b32_e32 v43, 0x7f800001
	s_and_saveexec_b64 s[10:11], vcc
	s_cbranch_execz .LBB566_315
; %bb.314:
	v_and_b32_e32 v51, 7, v42
	v_ffbh_u32_e32 v43, v51
	v_min_u32_e32 v53, 32, v43
	v_subrev_u32_e32 v43, 28, v53
	v_lshlrev_b64 v[42:43], v43, v[42:43]
	v_lshrrev_b32_e32 v52, 3, v45
	v_sub_u32_e32 v43, 29, v53
	v_and_b32_e32 v42, 7, v42
	v_cmp_gt_u32_e32 vcc, 8, v45
	v_mov_b32_e32 v45, 24
	v_cndmask_b32_e32 v43, v52, v43, vcc
	v_cndmask_b32_e32 v42, v51, v42, vcc
	v_lshlrev_b32_sdwa v45, v45, v22 dst_sel:DWORD dst_unused:UNUSED_PAD src0_sel:DWORD src1_sel:WORD_1
	v_bfrev_b32_e32 v51, 60
	v_lshlrev_b32_e32 v42, 20, v42
	v_and_b32_e32 v45, 0x80000000, v45
	v_lshl_add_u32 v43, v43, 23, v51
	v_or3_b32 v43, v45, v43, v42
.LBB566_315:
	s_or_b64 exec, exec, s[10:11]
.LBB566_316:
	s_or_b64 exec, exec, s[8:9]
.LBB566_317:
	s_or_b64 exec, exec, s[2:3]
	s_mov_b32 s2, 0xffffff
	v_cmp_lt_u32_e32 vcc, s2, v22
	v_mov_b32_e32 v45, 0
	v_mov_b32_e32 v51, 0
	s_and_saveexec_b64 s[2:3], vcc
	s_cbranch_execz .LBB566_323
; %bb.318:
	v_lshrrev_b32_e32 v42, 24, v22
	s_movk_i32 s8, 0x80
	v_cmp_ne_u32_e32 vcc, s8, v42
	v_bfrev_b32_e32 v51, 1
	s_and_saveexec_b64 s[8:9], vcc
	s_cbranch_execz .LBB566_322
; %bb.319:
	v_bfe_u32 v22, v22, 24, 7
	s_movk_i32 s10, 0x7f
	v_cmp_ne_u32_e32 vcc, s10, v22
	v_mov_b32_e32 v51, 0x7f800001
	s_and_saveexec_b64 s[10:11], vcc
	s_cbranch_execz .LBB566_321
; %bb.320:
	v_and_b32_e32 v51, 7, v42
	v_ffbh_u32_e32 v52, v51
	v_min_u32_e32 v55, 32, v52
	v_subrev_u32_e32 v52, 28, v55
	v_lshlrev_b64 v[52:53], v52, v[42:43]
	v_lshrrev_b32_e32 v54, 3, v22
	v_sub_u32_e32 v53, 29, v55
	v_and_b32_e32 v52, 7, v52
	v_cmp_gt_u32_e32 vcc, 8, v22
	v_cndmask_b32_e32 v22, v54, v53, vcc
	v_cndmask_b32_e32 v51, v51, v52, vcc
	v_lshlrev_b32_e32 v42, 24, v42
	v_bfrev_b32_e32 v52, 60
	v_lshlrev_b32_e32 v51, 20, v51
	v_and_b32_e32 v42, 0x80000000, v42
	v_lshl_add_u32 v22, v22, 23, v52
	v_or3_b32 v51, v42, v22, v51
.LBB566_321:
	s_or_b64 exec, exec, s[10:11]
.LBB566_322:
	s_or_b64 exec, exec, s[8:9]
.LBB566_323:
	s_or_b64 exec, exec, s[2:3]
	v_cmp_ne_u16_sdwa s[8:9], v23, v45 src0_sel:BYTE_0 src1_sel:DWORD
	s_and_saveexec_b64 s[2:3], s[8:9]
	s_cbranch_execz .LBB566_329
; %bb.324:
	s_movk_i32 s8, 0x80
	v_cmp_ne_u16_sdwa s[10:11], v23, s8 src0_sel:BYTE_0 src1_sel:DWORD
	v_bfrev_b32_e32 v45, 1
	s_and_saveexec_b64 s[8:9], s[10:11]
	s_cbranch_execz .LBB566_328
; %bb.325:
	s_movk_i32 s10, 0x7f
	v_and_b32_e32 v22, 0x7f, v23
	v_cmp_ne_u32_e32 vcc, s10, v22
	v_mov_b32_e32 v45, 0x7f800001
	s_and_saveexec_b64 s[10:11], vcc
	s_cbranch_execz .LBB566_327
; %bb.326:
	v_and_b32_e32 v45, 7, v23
	v_ffbh_u32_e32 v52, v45
	v_min_u32_e32 v55, 32, v52
	v_mov_b32_e32 v42, v23
	v_subrev_u32_e32 v52, 28, v55
	v_lshlrev_b64 v[52:53], v52, v[42:43]
	v_lshrrev_b32_e32 v54, 3, v22
	v_sub_u32_e32 v42, 29, v55
	v_and_b32_e32 v52, 7, v52
	v_cmp_gt_u32_e32 vcc, 8, v22
	v_cndmask_b32_e32 v22, v54, v42, vcc
	v_cndmask_b32_e32 v42, v45, v52, vcc
	v_lshlrev_b32_e32 v45, 24, v23
	v_bfrev_b32_e32 v52, 60
	v_lshlrev_b32_e32 v42, 20, v42
	v_and_b32_e32 v45, 0x80000000, v45
	v_lshl_add_u32 v22, v22, 23, v52
	v_or3_b32 v45, v45, v22, v42
.LBB566_327:
	s_or_b64 exec, exec, s[10:11]
.LBB566_328:
	s_or_b64 exec, exec, s[8:9]
.LBB566_329:
	s_or_b64 exec, exec, s[2:3]
	v_lshrrev_b16_e32 v22, 8, v23
	v_cmp_ne_u16_e32 vcc, 0, v22
	v_mov_b32_e32 v52, 0
	v_mov_b32_e32 v53, 0
	s_and_saveexec_b64 s[2:3], vcc
	s_cbranch_execz .LBB566_335
; %bb.330:
	s_movk_i32 s8, 0x80
	v_cmp_ne_u16_e32 vcc, s8, v22
	v_bfrev_b32_e32 v53, 1
	s_and_saveexec_b64 s[8:9], vcc
	s_cbranch_execz .LBB566_334
; %bb.331:
	s_movk_i32 s10, 0x7f
	v_and_b32_e32 v42, 0x7f, v22
	v_cmp_ne_u32_e32 vcc, s10, v42
	v_mov_b32_e32 v53, 0x7f800001
	s_and_saveexec_b64 s[10:11], vcc
	s_cbranch_execz .LBB566_333
; %bb.332:
	v_and_b32_e32 v53, 7, v22
	v_ffbh_u32_e32 v54, v53
	v_min_u32_e32 v57, 32, v54
	v_subrev_u32_e32 v54, 28, v57
	v_lshlrev_b64 v[54:55], v54, v[22:23]
	v_lshrrev_b32_e32 v56, 3, v42
	v_sub_u32_e32 v22, 29, v57
	v_and_b32_e32 v54, 7, v54
	v_cmp_gt_u32_e32 vcc, 8, v42
	v_cndmask_b32_e32 v22, v56, v22, vcc
	v_cndmask_b32_e32 v42, v53, v54, vcc
	v_lshlrev_b32_e32 v53, 16, v23
	v_bfrev_b32_e32 v54, 60
	v_lshlrev_b32_e32 v42, 20, v42
	v_and_b32_e32 v53, 0x80000000, v53
	v_lshl_add_u32 v22, v22, 23, v54
	v_or3_b32 v53, v53, v22, v42
.LBB566_333:
	s_or_b64 exec, exec, s[10:11]
.LBB566_334:
	s_or_b64 exec, exec, s[8:9]
.LBB566_335:
	s_or_b64 exec, exec, s[2:3]
	s_movk_i32 s2, 0xff
	v_and_b32_sdwa v42, v23, s2 dst_sel:DWORD dst_unused:UNUSED_PAD src0_sel:WORD_1 src1_sel:DWORD
	v_lshrrev_b32_e32 v22, 16, v23
	v_cmp_ne_u16_e32 vcc, 0, v42
	s_and_saveexec_b64 s[2:3], vcc
	s_cbranch_execz .LBB566_341
; %bb.336:
	s_movk_i32 s8, 0x80
	v_cmp_ne_u16_e32 vcc, s8, v42
	v_bfrev_b32_e32 v52, 1
	s_and_saveexec_b64 s[8:9], vcc
	s_cbranch_execz .LBB566_340
; %bb.337:
	v_bfe_u32 v42, v23, 16, 7
	s_movk_i32 s10, 0x7f
	v_cmp_ne_u32_e32 vcc, s10, v42
	v_mov_b32_e32 v52, 0x7f800001
	s_and_saveexec_b64 s[10:11], vcc
	s_cbranch_execz .LBB566_339
; %bb.338:
	v_and_b32_e32 v52, 7, v22
	v_ffbh_u32_e32 v54, v52
	v_min_u32_e32 v57, 32, v54
	v_subrev_u32_e32 v54, 28, v57
	v_lshlrev_b64 v[54:55], v54, v[22:23]
	v_and_b32_e32 v54, 7, v54
	v_cmp_gt_u32_e32 vcc, 8, v42
	v_lshrrev_b32_e32 v56, 3, v42
	v_sub_u32_e32 v22, 29, v57
	v_cndmask_b32_e32 v42, v52, v54, vcc
	v_mov_b32_e32 v52, 24
	v_cndmask_b32_e32 v22, v56, v22, vcc
	v_lshlrev_b32_sdwa v52, v52, v23 dst_sel:DWORD dst_unused:UNUSED_PAD src0_sel:DWORD src1_sel:WORD_1
	v_bfrev_b32_e32 v54, 60
	v_lshlrev_b32_e32 v42, 20, v42
	v_and_b32_e32 v52, 0x80000000, v52
	v_lshl_add_u32 v22, v22, 23, v54
	v_or3_b32 v52, v52, v22, v42
.LBB566_339:
	s_or_b64 exec, exec, s[10:11]
.LBB566_340:
	s_or_b64 exec, exec, s[8:9]
.LBB566_341:
	s_or_b64 exec, exec, s[2:3]
	s_mov_b32 s2, 0xffffff
	v_cmp_lt_u32_e32 vcc, s2, v23
	v_mov_b32_e32 v42, 0
	v_mov_b32_e32 v54, 0
	s_and_saveexec_b64 s[2:3], vcc
	s_cbranch_execz .LBB566_347
; %bb.342:
	v_lshrrev_b32_e32 v22, 24, v23
	s_movk_i32 s8, 0x80
	v_cmp_ne_u32_e32 vcc, s8, v22
	v_bfrev_b32_e32 v54, 1
	s_and_saveexec_b64 s[8:9], vcc
	s_cbranch_execz .LBB566_346
; %bb.343:
	v_bfe_u32 v23, v23, 24, 7
	s_movk_i32 s10, 0x7f
	v_cmp_ne_u32_e32 vcc, s10, v23
	v_mov_b32_e32 v54, 0x7f800001
	s_and_saveexec_b64 s[10:11], vcc
	s_cbranch_execz .LBB566_345
; %bb.344:
	v_and_b32_e32 v56, 7, v22
	v_ffbh_u32_e32 v54, v56
	v_min_u32_e32 v58, 32, v54
	v_subrev_u32_e32 v54, 28, v58
	v_lshlrev_b64 v[54:55], v54, v[22:23]
	v_lshrrev_b32_e32 v57, 3, v23
	v_sub_u32_e32 v55, 29, v58
	v_and_b32_e32 v54, 7, v54
	v_cmp_gt_u32_e32 vcc, 8, v23
	v_cndmask_b32_e32 v23, v57, v55, vcc
	v_cndmask_b32_e32 v54, v56, v54, vcc
	v_lshlrev_b32_e32 v22, 24, v22
	v_bfrev_b32_e32 v55, 60
	v_lshlrev_b32_e32 v54, 20, v54
	v_and_b32_e32 v22, 0x80000000, v22
	v_lshl_add_u32 v23, v23, 23, v55
	v_or3_b32 v54, v22, v23, v54
.LBB566_345:
	s_or_b64 exec, exec, s[10:11]
.LBB566_346:
	s_or_b64 exec, exec, s[8:9]
.LBB566_347:
	s_or_b64 exec, exec, s[2:3]
	v_cvt_pkrtz_f16_f32 v22, v50, v44
	v_cvt_pkrtz_f16_f32 v23, v43, v51
	v_cmp_ne_u16_sdwa s[8:9], v24, v42 src0_sel:BYTE_0 src1_sel:DWORD
	s_nop 0
	v_mfma_f32_16x16x16f16 v[56:59], v[22:23], v[26:27], 0
	v_cvt_pkrtz_f16_f32 v22, v45, v53
	v_cvt_pkrtz_f16_f32 v23, v52, v54
	s_nop 1
	v_mfma_f32_16x16x16f16 v[26:29], v[22:23], v[28:29], v[56:59]
	s_and_saveexec_b64 s[2:3], s[8:9]
	s_cbranch_execz .LBB566_353
; %bb.348:
	s_movk_i32 s8, 0x80
	v_cmp_ne_u16_sdwa s[10:11], v24, s8 src0_sel:BYTE_0 src1_sel:DWORD
	v_bfrev_b32_e32 v42, 1
	s_and_saveexec_b64 s[8:9], s[10:11]
	s_cbranch_execz .LBB566_352
; %bb.349:
	s_movk_i32 s10, 0x7f
	v_and_b32_e32 v22, 0x7f, v24
	v_cmp_ne_u32_e32 vcc, s10, v22
	v_mov_b32_e32 v42, 0x7f800001
	s_and_saveexec_b64 s[10:11], vcc
	s_cbranch_execz .LBB566_351
; %bb.350:
	v_and_b32_e32 v23, 7, v24
	v_ffbh_u32_e32 v42, v23
	v_min_u32_e32 v45, 32, v42
	v_subrev_u32_e32 v42, 28, v45
	v_lshlrev_b64 v[42:43], v42, v[24:25]
	v_lshrrev_b32_e32 v44, 3, v22
	v_sub_u32_e32 v43, 29, v45
	v_and_b32_e32 v42, 7, v42
	v_cmp_gt_u32_e32 vcc, 8, v22
	v_cndmask_b32_e32 v22, v44, v43, vcc
	v_cndmask_b32_e32 v23, v23, v42, vcc
	v_lshlrev_b32_e32 v42, 24, v24
	v_bfrev_b32_e32 v43, 60
	v_lshlrev_b32_e32 v23, 20, v23
	v_and_b32_e32 v42, 0x80000000, v42
	v_lshl_add_u32 v22, v22, 23, v43
	v_or3_b32 v42, v42, v22, v23
.LBB566_351:
	s_or_b64 exec, exec, s[10:11]
.LBB566_352:
	s_or_b64 exec, exec, s[8:9]
.LBB566_353:
	s_or_b64 exec, exec, s[2:3]
	v_lshrrev_b16_e32 v22, 8, v24
	v_cmp_ne_u16_e32 vcc, 0, v22
	v_mov_b32_e32 v23, 0
	v_mov_b32_e32 v43, 0
	s_and_saveexec_b64 s[2:3], vcc
	s_cbranch_execz .LBB566_359
; %bb.354:
	s_movk_i32 s8, 0x80
	v_cmp_ne_u16_e32 vcc, s8, v22
	v_bfrev_b32_e32 v43, 1
	s_and_saveexec_b64 s[8:9], vcc
	s_cbranch_execz .LBB566_358
; %bb.355:
	s_movk_i32 s10, 0x7f
	v_and_b32_e32 v44, 0x7f, v22
	v_cmp_ne_u32_e32 vcc, s10, v44
	v_mov_b32_e32 v43, 0x7f800001
	s_and_saveexec_b64 s[10:11], vcc
	s_cbranch_execz .LBB566_357
; %bb.356:
	v_and_b32_e32 v43, 7, v22
	v_ffbh_u32_e32 v50, v43
	v_min_u32_e32 v52, 32, v50
	v_subrev_u32_e32 v50, 28, v52
	v_lshlrev_b64 v[50:51], v50, v[22:23]
	v_lshrrev_b32_e32 v45, 3, v44
	v_sub_u32_e32 v22, 29, v52
	v_and_b32_e32 v50, 7, v50
	v_cmp_gt_u32_e32 vcc, 8, v44
	v_cndmask_b32_e32 v22, v45, v22, vcc
	v_cndmask_b32_e32 v43, v43, v50, vcc
	v_lshlrev_b32_e32 v44, 16, v24
	v_bfrev_b32_e32 v45, 60
	v_lshlrev_b32_e32 v43, 20, v43
	v_and_b32_e32 v44, 0x80000000, v44
	v_lshl_add_u32 v22, v22, 23, v45
	v_or3_b32 v43, v44, v22, v43
.LBB566_357:
	s_or_b64 exec, exec, s[10:11]
.LBB566_358:
	s_or_b64 exec, exec, s[8:9]
.LBB566_359:
	s_or_b64 exec, exec, s[2:3]
	s_movk_i32 s2, 0xff
	v_and_b32_sdwa v44, v24, s2 dst_sel:DWORD dst_unused:UNUSED_PAD src0_sel:WORD_1 src1_sel:DWORD
	v_lshrrev_b32_e32 v22, 16, v24
	v_cmp_ne_u16_e32 vcc, 0, v44
	s_and_saveexec_b64 s[2:3], vcc
	s_cbranch_execz .LBB566_365
; %bb.360:
	s_movk_i32 s8, 0x80
	v_cmp_ne_u16_e32 vcc, s8, v44
	v_bfrev_b32_e32 v23, 1
	s_and_saveexec_b64 s[8:9], vcc
	s_cbranch_execz .LBB566_364
; %bb.361:
	v_bfe_u32 v44, v24, 16, 7
	s_movk_i32 s10, 0x7f
	v_cmp_ne_u32_e32 vcc, s10, v44
	v_mov_b32_e32 v23, 0x7f800001
	s_and_saveexec_b64 s[10:11], vcc
	s_cbranch_execz .LBB566_363
; %bb.362:
	v_and_b32_e32 v45, 7, v22
	v_ffbh_u32_e32 v23, v45
	v_min_u32_e32 v51, 32, v23
	v_subrev_u32_e32 v23, 28, v51
	v_lshlrev_b64 v[22:23], v23, v[22:23]
	v_lshrrev_b32_e32 v50, 3, v44
	v_sub_u32_e32 v23, 29, v51
	v_and_b32_e32 v22, 7, v22
	v_cmp_gt_u32_e32 vcc, 8, v44
	v_mov_b32_e32 v44, 24
	v_cndmask_b32_e32 v23, v50, v23, vcc
	v_cndmask_b32_e32 v22, v45, v22, vcc
	v_lshlrev_b32_sdwa v44, v44, v24 dst_sel:DWORD dst_unused:UNUSED_PAD src0_sel:DWORD src1_sel:WORD_1
	v_bfrev_b32_e32 v45, 60
	v_lshlrev_b32_e32 v22, 20, v22
	v_and_b32_e32 v44, 0x80000000, v44
	v_lshl_add_u32 v23, v23, 23, v45
	v_or3_b32 v23, v44, v23, v22
.LBB566_363:
	s_or_b64 exec, exec, s[10:11]
.LBB566_364:
	s_or_b64 exec, exec, s[8:9]
.LBB566_365:
	s_or_b64 exec, exec, s[2:3]
	s_mov_b32 s2, 0xffffff
	v_cmp_lt_u32_e32 vcc, s2, v24
	v_mov_b32_e32 v44, 0
	v_mov_b32_e32 v45, 0
	s_and_saveexec_b64 s[2:3], vcc
	s_cbranch_execz .LBB566_371
; %bb.366:
	v_lshrrev_b32_e32 v22, 24, v24
	s_movk_i32 s8, 0x80
	v_cmp_ne_u32_e32 vcc, s8, v22
	v_bfrev_b32_e32 v45, 1
	s_and_saveexec_b64 s[8:9], vcc
	s_cbranch_execz .LBB566_370
; %bb.367:
	v_bfe_u32 v24, v24, 24, 7
	s_movk_i32 s10, 0x7f
	v_cmp_ne_u32_e32 vcc, s10, v24
	v_mov_b32_e32 v45, 0x7f800001
	s_and_saveexec_b64 s[10:11], vcc
	s_cbranch_execz .LBB566_369
; %bb.368:
	v_and_b32_e32 v45, 7, v22
	v_ffbh_u32_e32 v50, v45
	v_min_u32_e32 v53, 32, v50
	v_subrev_u32_e32 v50, 28, v53
	v_lshlrev_b64 v[50:51], v50, v[22:23]
	v_lshrrev_b32_e32 v52, 3, v24
	v_sub_u32_e32 v51, 29, v53
	v_and_b32_e32 v50, 7, v50
	v_cmp_gt_u32_e32 vcc, 8, v24
	v_cndmask_b32_e32 v24, v52, v51, vcc
	v_cndmask_b32_e32 v45, v45, v50, vcc
	v_lshlrev_b32_e32 v22, 24, v22
	v_bfrev_b32_e32 v50, 60
	v_lshlrev_b32_e32 v45, 20, v45
	v_and_b32_e32 v22, 0x80000000, v22
	v_lshl_add_u32 v24, v24, 23, v50
	v_or3_b32 v45, v22, v24, v45
.LBB566_369:
	s_or_b64 exec, exec, s[10:11]
.LBB566_370:
	s_or_b64 exec, exec, s[8:9]
.LBB566_371:
	s_or_b64 exec, exec, s[2:3]
	v_cmp_ne_u16_sdwa s[8:9], v25, v44 src0_sel:BYTE_0 src1_sel:DWORD
	s_and_saveexec_b64 s[2:3], s[8:9]
	s_cbranch_execz .LBB566_377
; %bb.372:
	s_movk_i32 s8, 0x80
	v_cmp_ne_u16_sdwa s[10:11], v25, s8 src0_sel:BYTE_0 src1_sel:DWORD
	v_bfrev_b32_e32 v44, 1
	s_and_saveexec_b64 s[8:9], s[10:11]
	s_cbranch_execz .LBB566_376
; %bb.373:
	s_movk_i32 s10, 0x7f
	v_and_b32_e32 v22, 0x7f, v25
	v_cmp_ne_u32_e32 vcc, s10, v22
	v_mov_b32_e32 v44, 0x7f800001
	s_and_saveexec_b64 s[10:11], vcc
	s_cbranch_execz .LBB566_375
; %bb.374:
	v_and_b32_e32 v44, 7, v25
	v_ffbh_u32_e32 v50, v44
	v_min_u32_e32 v53, 32, v50
	v_mov_b32_e32 v24, v25
	v_subrev_u32_e32 v50, 28, v53
	v_lshlrev_b64 v[50:51], v50, v[24:25]
	v_lshrrev_b32_e32 v52, 3, v22
	v_sub_u32_e32 v24, 29, v53
	v_and_b32_e32 v50, 7, v50
	v_cmp_gt_u32_e32 vcc, 8, v22
	v_cndmask_b32_e32 v22, v52, v24, vcc
	v_cndmask_b32_e32 v24, v44, v50, vcc
	v_lshlrev_b32_e32 v44, 24, v25
	v_bfrev_b32_e32 v50, 60
	v_lshlrev_b32_e32 v24, 20, v24
	v_and_b32_e32 v44, 0x80000000, v44
	v_lshl_add_u32 v22, v22, 23, v50
	v_or3_b32 v44, v44, v22, v24
.LBB566_375:
	s_or_b64 exec, exec, s[10:11]
.LBB566_376:
	s_or_b64 exec, exec, s[8:9]
.LBB566_377:
	s_or_b64 exec, exec, s[2:3]
	v_lshrrev_b16_e32 v22, 8, v25
	v_cmp_ne_u16_e32 vcc, 0, v22
	v_mov_b32_e32 v24, 0
	v_mov_b32_e32 v51, 0
	s_and_saveexec_b64 s[2:3], vcc
	s_cbranch_execz .LBB566_383
; %bb.378:
	s_movk_i32 s8, 0x80
	v_cmp_ne_u16_e32 vcc, s8, v22
	v_bfrev_b32_e32 v51, 1
	s_and_saveexec_b64 s[8:9], vcc
	s_cbranch_execz .LBB566_382
; %bb.379:
	s_movk_i32 s10, 0x7f
	v_and_b32_e32 v50, 0x7f, v22
	v_cmp_ne_u32_e32 vcc, s10, v50
	v_mov_b32_e32 v51, 0x7f800001
	s_and_saveexec_b64 s[10:11], vcc
	s_cbranch_execz .LBB566_381
; %bb.380:
	v_and_b32_e32 v51, 7, v22
	v_ffbh_u32_e32 v52, v51
	v_min_u32_e32 v55, 32, v52
	v_subrev_u32_e32 v52, 28, v55
	v_lshlrev_b64 v[52:53], v52, v[22:23]
	v_lshrrev_b32_e32 v54, 3, v50
	v_sub_u32_e32 v22, 29, v55
	v_and_b32_e32 v52, 7, v52
	v_cmp_gt_u32_e32 vcc, 8, v50
	v_cndmask_b32_e32 v22, v54, v22, vcc
	v_cndmask_b32_e32 v50, v51, v52, vcc
	v_lshlrev_b32_e32 v51, 16, v25
	v_bfrev_b32_e32 v52, 60
	v_lshlrev_b32_e32 v50, 20, v50
	v_and_b32_e32 v51, 0x80000000, v51
	v_lshl_add_u32 v22, v22, 23, v52
	v_or3_b32 v51, v51, v22, v50
.LBB566_381:
	s_or_b64 exec, exec, s[10:11]
.LBB566_382:
	s_or_b64 exec, exec, s[8:9]
.LBB566_383:
	s_or_b64 exec, exec, s[2:3]
	s_movk_i32 s2, 0xff
	v_and_b32_sdwa v50, v25, s2 dst_sel:DWORD dst_unused:UNUSED_PAD src0_sel:WORD_1 src1_sel:DWORD
	v_lshrrev_b32_e32 v22, 16, v25
	v_cmp_ne_u16_e32 vcc, 0, v50
	s_and_saveexec_b64 s[2:3], vcc
	s_cbranch_execz .LBB566_389
; %bb.384:
	s_movk_i32 s8, 0x80
	v_cmp_ne_u16_e32 vcc, s8, v50
	v_bfrev_b32_e32 v24, 1
	s_and_saveexec_b64 s[8:9], vcc
	s_cbranch_execz .LBB566_388
; %bb.385:
	v_bfe_u32 v50, v25, 16, 7
	s_movk_i32 s10, 0x7f
	v_cmp_ne_u32_e32 vcc, s10, v50
	v_mov_b32_e32 v24, 0x7f800001
	s_and_saveexec_b64 s[10:11], vcc
	s_cbranch_execz .LBB566_387
; %bb.386:
	v_and_b32_e32 v24, 7, v22
	v_ffbh_u32_e32 v52, v24
	v_min_u32_e32 v55, 32, v52
	v_subrev_u32_e32 v52, 28, v55
	v_lshlrev_b64 v[52:53], v52, v[22:23]
	v_lshrrev_b32_e32 v54, 3, v50
	v_sub_u32_e32 v22, 29, v55
	v_and_b32_e32 v52, 7, v52
	v_cmp_gt_u32_e32 vcc, 8, v50
	v_mov_b32_e32 v50, 24
	v_cndmask_b32_e32 v22, v54, v22, vcc
	v_cndmask_b32_e32 v24, v24, v52, vcc
	v_lshlrev_b32_sdwa v50, v50, v25 dst_sel:DWORD dst_unused:UNUSED_PAD src0_sel:DWORD src1_sel:WORD_1
	v_bfrev_b32_e32 v52, 60
	v_lshlrev_b32_e32 v24, 20, v24
	v_and_b32_e32 v50, 0x80000000, v50
	v_lshl_add_u32 v22, v22, 23, v52
	v_or3_b32 v24, v50, v22, v24
.LBB566_387:
	s_or_b64 exec, exec, s[10:11]
.LBB566_388:
	s_or_b64 exec, exec, s[8:9]
.LBB566_389:
	s_or_b64 exec, exec, s[2:3]
	s_mov_b32 s2, 0xffffff
	v_and_b32_e32 v50, 63, v0
	v_cmp_lt_u32_e32 vcc, s2, v25
	v_mov_b32_e32 v52, 0
	s_and_saveexec_b64 s[2:3], vcc
	s_cbranch_execz .LBB566_395
; %bb.390:
	v_lshrrev_b32_e32 v22, 24, v25
	s_movk_i32 s8, 0x80
	v_cmp_ne_u32_e32 vcc, s8, v22
	v_bfrev_b32_e32 v52, 1
	s_and_saveexec_b64 s[8:9], vcc
	s_cbranch_execz .LBB566_394
; %bb.391:
	v_bfe_u32 v25, v25, 24, 7
	s_movk_i32 s10, 0x7f
	v_cmp_ne_u32_e32 vcc, s10, v25
	v_mov_b32_e32 v52, 0x7f800001
	s_and_saveexec_b64 s[10:11], vcc
	s_cbranch_execz .LBB566_393
; %bb.392:
	v_and_b32_e32 v54, 7, v22
	v_ffbh_u32_e32 v52, v54
	v_min_u32_e32 v56, 32, v52
	v_subrev_u32_e32 v52, 28, v56
	v_lshlrev_b64 v[52:53], v52, v[22:23]
	v_lshrrev_b32_e32 v55, 3, v25
	v_sub_u32_e32 v53, 29, v56
	v_and_b32_e32 v52, 7, v52
	v_cmp_gt_u32_e32 vcc, 8, v25
	v_cndmask_b32_e32 v25, v55, v53, vcc
	v_cndmask_b32_e32 v52, v54, v52, vcc
	v_lshlrev_b32_e32 v22, 24, v22
	v_bfrev_b32_e32 v53, 60
	v_lshlrev_b32_e32 v52, 20, v52
	v_and_b32_e32 v22, 0x80000000, v22
	v_lshl_add_u32 v25, v25, 23, v53
	v_or3_b32 v52, v22, v25, v52
.LBB566_393:
	s_or_b64 exec, exec, s[10:11]
.LBB566_394:
	s_or_b64 exec, exec, s[8:9]
.LBB566_395:
	s_or_b64 exec, exec, s[2:3]
	v_cvt_pkrtz_f16_f32 v42, v42, v43
	v_cvt_pkrtz_f16_f32 v43, v23, v45
	s_load_dword s2, s[4:5], 0x1c
	s_mov_b32 s46, 0xff7fffff
	s_waitcnt lgkmcnt(0)
	v_mfma_f32_16x16x16f16 v[26:29], v[42:43], v[18:19], v[26:29]
	v_cvt_pkrtz_f16_f32 v18, v44, v51
	v_cvt_pkrtz_f16_f32 v19, v24, v52
	v_and_b32_e32 v24, 0xc0, v0
	v_mov_b32_e32 v22, s2
	v_add_u32_e32 v24, s20, v24
	v_mul_f32_e32 v54, s12, v22
	v_lshl_or_b32 v42, v1, 2, v24
	v_mfma_f32_16x16x16f16 v[18:21], v[18:19], v[20:21], v[26:29]
	v_pk_mul_f32 v[22:23], v[54:55], v[36:37] op_sel_hi:[0,1]
	v_pk_mul_f32 v[36:37], v[54:55], v[40:41] op_sel_hi:[0,1]
	;; [unrolled: 1-line block ×4, first 2 shown]
	v_mov_b32_e32 v43, 0xff7fffff
	v_cmp_gt_i32_e64 s[26:27], s33, v42
	v_pk_mul_f32 v[38:39], v[54:55], v[38:39] op_sel_hi:[0,1]
	s_nop 3
	v_pk_mul_f32 v[32:33], v[54:55], v[18:19] op_sel_hi:[0,1]
	v_or_b32_e32 v19, 1, v42
	v_cmp_gt_i32_e64 s[28:29], s33, v19
	v_cndmask_b32_e64 v18, v43, v30, s[26:27]
	v_cndmask_b32_e64 v19, v43, v31, s[28:29]
	v_pk_mul_f32 v[24:25], v[54:55], v[20:21] op_sel_hi:[0,1]
	v_max3_f32 v18, v18, s46, v19
	v_or_b32_e32 v19, 2, v42
	v_or_b32_e32 v20, 3, v42
	v_cmp_gt_i32_e64 s[30:31], s33, v19
	v_cmp_gt_i32_e64 s[34:35], s33, v20
	v_cndmask_b32_e64 v19, v43, v40, s[30:31]
	v_cndmask_b32_e64 v20, v43, v41, s[34:35]
	v_max3_f32 v18, v18, v19, v20
	v_or_b32_e32 v19, 16, v42
	v_or_b32_e32 v20, 17, v42
	v_cmp_gt_i32_e64 s[36:37], s33, v19
	v_cmp_gt_i32_e64 s[38:39], s33, v20
	v_cndmask_b32_e64 v19, v43, v38, s[36:37]
	v_cndmask_b32_e64 v20, v43, v39, s[38:39]
	;; [unrolled: 7-line block ×3, first 2 shown]
	v_max3_f32 v18, v18, v19, v20
	v_or_b32_e32 v19, 32, v42
	v_or_b32_e32 v20, 33, v42
	v_pk_mul_f32 v[34:35], v[54:55], v[34:35] op_sel_hi:[0,1]
	v_cmp_gt_i32_e64 s[16:17], s33, v19
	v_cmp_gt_i32_e64 s[18:19], s33, v20
	v_cndmask_b32_e64 v19, v43, v34, s[16:17]
	v_cndmask_b32_e64 v20, v43, v35, s[18:19]
	v_max3_f32 v18, v18, v19, v20
	v_or_b32_e32 v19, 34, v42
	v_or_b32_e32 v20, 35, v42
	v_cmp_gt_i32_e64 s[12:13], s33, v19
	v_cmp_gt_i32_e64 s[14:15], s33, v20
	v_cndmask_b32_e64 v19, v43, v22, s[12:13]
	v_cndmask_b32_e64 v20, v43, v23, s[14:15]
	v_max3_f32 v18, v18, v19, v20
	v_or_b32_e32 v19, 48, v42
	v_or_b32_e32 v20, 49, v42
	;; [unrolled: 7-line block ×3, first 2 shown]
	v_cmp_gt_i32_e32 vcc, s33, v19
	v_cmp_gt_i32_e64 s[2:3], s33, v20
	v_cndmask_b32_e32 v19, v43, v24, vcc
	v_cndmask_b32_e64 v20, v43, v25, s[2:3]
	v_max3_f32 v18, v18, v19, v20
	v_mbcnt_lo_u32_b32 v19, -1, 0
	v_mbcnt_hi_u32_b32 v19, -1, v19
	v_and_b32_e32 v20, 64, v19
	v_add_u32_e32 v20, 64, v20
	v_xor_b32_e32 v21, 32, v19
	v_cmp_lt_i32_e64 s[40:41], v21, v20
	v_cndmask_b32_e64 v21, v19, v21, s[40:41]
	v_lshlrev_b32_e32 v43, 2, v21
	ds_bpermute_b32 v21, v43, v18
	s_barrier
	s_waitcnt lgkmcnt(0)
	v_max_f32_e32 v21, v21, v21
	v_max_f32_e32 v18, v18, v21
	v_xor_b32_e32 v21, 16, v19
	v_cmp_lt_i32_e64 s[40:41], v21, v20
	v_cndmask_b32_e64 v19, v19, v21, s[40:41]
	v_lshlrev_b32_e32 v44, 2, v19
	ds_bpermute_b32 v19, v44, v18
	s_waitcnt lgkmcnt(0)
	v_max_f32_e32 v19, v19, v19
	v_max_f32_e32 v42, v18, v19
	v_sub_f32_e32 v21, v40, v42
	v_sub_f32_e32 v26, v41, v42
	v_mul_f32_e32 v21, 0x3fb8aa3b, v21
	v_mul_f32_e32 v26, 0x3fb8aa3b, v26
	v_sub_f32_e32 v18, v30, v42
	v_exp_f32_e32 v21, v21
	v_exp_f32_e32 v26, v26
	v_mul_f32_e32 v18, 0x3fb8aa3b, v18
	v_sub_f32_e32 v19, v31, v42
	v_exp_f32_e32 v18, v18
	v_mul_f32_e32 v19, 0x3fb8aa3b, v19
	v_exp_f32_e32 v19, v19
	v_cndmask_b32_e64 v28, 0, v21, s[30:31]
	v_cndmask_b32_e64 v29, 0, v26, s[34:35]
	v_sub_f32_e32 v21, v38, v42
	v_sub_f32_e32 v26, v39, v42
	v_mul_f32_e32 v21, 0x3fb8aa3b, v21
	v_mul_f32_e32 v26, 0x3fb8aa3b, v26
	v_cndmask_b32_e64 v18, 0, v18, s[26:27]
	v_exp_f32_e32 v21, v21
	v_exp_f32_e32 v26, v26
	v_add_f32_e32 v20, 0, v18
	v_cndmask_b32_e64 v19, 0, v19, s[28:29]
	v_add_f32_e32 v20, v20, v19
	v_add_f32_e32 v20, v20, v28
	;; [unrolled: 1-line block ×3, first 2 shown]
	v_cndmask_b32_e64 v20, 0, v21, s[36:37]
	v_cndmask_b32_e64 v21, 0, v26, s[38:39]
	v_sub_f32_e32 v26, v36, v42
	v_mul_f32_e32 v26, 0x3fb8aa3b, v26
	v_exp_f32_e32 v26, v26
	v_sub_f32_e32 v30, v37, v42
	v_add_f32_e32 v27, v27, v20
	v_mul_f32_e32 v30, 0x3fb8aa3b, v30
	v_exp_f32_e32 v31, v30
	v_add_f32_e32 v27, v27, v21
	v_cndmask_b32_e64 v30, 0, v26, s[20:21]
	v_add_f32_e32 v26, v27, v30
	v_sub_f32_e32 v27, v34, v42
	v_mul_f32_e32 v27, 0x3fb8aa3b, v27
	v_sub_f32_e32 v34, v35, v42
	v_exp_f32_e32 v27, v27
	v_mul_f32_e32 v34, 0x3fb8aa3b, v34
	v_sub_f32_e32 v22, v22, v42
	v_exp_f32_e32 v34, v34
	;; [unrolled: 3-line block ×3, first 2 shown]
	v_mul_f32_e32 v23, 0x3fb8aa3b, v23
	v_cndmask_b32_e64 v31, 0, v31, s[22:23]
	v_exp_f32_e32 v23, v23
	v_add_f32_e32 v35, v26, v31
	v_cndmask_b32_e64 v26, 0, v27, s[16:17]
	v_add_f32_e32 v35, v35, v26
	v_cndmask_b32_e64 v27, 0, v34, s[18:19]
	;; [unrolled: 2-line block ×4, first 2 shown]
	v_sub_f32_e32 v23, v32, v42
	v_mul_f32_e32 v23, 0x3fb8aa3b, v23
	v_sub_f32_e32 v32, v33, v42
	v_exp_f32_e32 v23, v23
	v_mul_f32_e32 v32, 0x3fb8aa3b, v32
	v_sub_f32_e32 v24, v24, v42
	v_exp_f32_e32 v32, v32
	;; [unrolled: 3-line block ×3, first 2 shown]
	v_mul_f32_e32 v25, 0x3fb8aa3b, v25
	v_exp_f32_e32 v25, v25
	v_add_f32_e32 v33, v22, v35
	v_cndmask_b32_e64 v22, 0, v23, s[8:9]
	v_add_f32_e32 v33, v33, v22
	v_cndmask_b32_e64 v23, 0, v32, s[10:11]
	v_add_f32_e32 v32, v33, v23
	v_cndmask_b32_e32 v24, 0, v24, vcc
	v_add_f32_e32 v32, v32, v24
	v_cndmask_b32_e64 v25, 0, v25, s[2:3]
	v_add_f32_e32 v32, v32, v25
	ds_bpermute_b32 v33, v43, v32
	v_cmp_gt_u32_e64 s[2:3], 16, v50
	s_waitcnt lgkmcnt(0)
	v_add_f32_e32 v33, v32, v33
	ds_bpermute_b32 v36, v44, v33
	v_lshlrev_b32_e32 v32, 2, v48
	s_and_saveexec_b64 s[8:9], s[2:3]
	s_cbranch_execz .LBB566_397
; %bb.396:
	s_waitcnt lgkmcnt(0)
	v_add_f32_e32 v33, v33, v36
	v_lshl_or_b32 v36, v49, 6, v32
	ds_write2st64_b32 v36, v42, v33 offset1:1
.LBB566_397:
	s_or_b64 exec, exec, s[8:9]
	s_waitcnt lgkmcnt(0)
	s_barrier
	ds_read2_b32 v[36:37], v32 offset1:16
	ds_read2_b32 v[38:39], v32 offset0:32 offset1:48
	ds_read2_b32 v[40:41], v32 offset0:64 offset1:80
	;; [unrolled: 1-line block ×3, first 2 shown]
	s_waitcnt lgkmcnt(0)
	v_max3_f32 v33, v36, s46, v37
	v_max3_f32 v33, v33, v38, v39
	v_sub_f32_e32 v36, v36, v33
	v_mul_f32_e32 v36, 0x3fb8aa3b, v36
	v_exp_f32_e32 v44, v36
	v_sub_f32_e32 v36, v37, v33
	v_mul_f32_e32 v36, 0x3fb8aa3b, v36
	v_exp_f32_e32 v37, v36
	v_sub_f32_e32 v36, v38, v33
	v_mul_f32_e32 v36, 0x3fb8aa3b, v36
	v_sub_f32_e32 v32, v39, v33
	v_exp_f32_e32 v38, v36
	v_mul_f32_e32 v32, 0x3fb8aa3b, v32
	v_exp_f32_e32 v39, v32
	v_fma_f32 v36, v44, v40, 0
	v_fmac_f32_e32 v36, v37, v41
	v_fmac_f32_e32 v36, v38, v42
	;; [unrolled: 1-line block ×3, first 2 shown]
	v_add_f32_e32 v40, 0x358637bd, v36
	v_div_scale_f32 v41, s[8:9], v40, v40, 1.0
	v_rcp_f32_e32 v42, v41
	s_barrier
	s_mul_i32 s14, s45, 9
	v_fma_f32 v43, -v41, v42, 1.0
	v_fmac_f32_e32 v42, v43, v42
	v_div_scale_f32 v43, vcc, 1.0, v40, 1.0
	v_mul_f32_e32 v45, v43, v42
	v_fma_f32 v50, -v41, v45, v43
	v_fmac_f32_e32 v45, v50, v42
	v_fma_f32 v41, -v41, v45, v43
	v_div_fmas_f32 v41, v41, v42, v45
	v_cmp_eq_u32_e32 vcc, 1, v49
	v_cndmask_b32_e32 v37, v44, v37, vcc
	v_cmp_eq_u32_e32 vcc, 2, v49
	v_cndmask_b32_e32 v37, v37, v38, vcc
	v_cmp_eq_u32_e32 vcc, 3, v49
	v_div_fixup_f32 v40, v41, v40, 1.0
	v_cndmask_b32_e32 v37, v37, v39, vcc
	v_mul_f32_e32 v38, v37, v40
	v_pk_mul_f32 v[28:29], v[38:39], v[28:29] op_sel_hi:[0,1]
	v_cvt_f16_f32_e32 v28, v28
	v_cvt_f16_f32_e32 v29, v29
	v_pk_mul_f32 v[18:19], v[38:39], v[18:19] op_sel_hi:[0,1]
	v_cvt_f16_f32_e32 v18, v18
	v_cvt_f16_f32_e32 v19, v19
	v_pack_b32_f16 v41, v28, v29
	v_pk_mul_f32 v[28:29], v[38:39], v[30:31] op_sel_hi:[0,1]
	v_pk_mul_f32 v[20:21], v[38:39], v[20:21] op_sel_hi:[0,1]
	v_cvt_f16_f32_e32 v20, v20
	v_cvt_f16_f32_e32 v21, v21
	;; [unrolled: 1-line block ×4, first 2 shown]
	v_pack_b32_f16 v40, v18, v19
	v_lshlrev_b32_e32 v18, 3, v1
	v_lshlrev_b32_e32 v19, 5, v48
	;; [unrolled: 1-line block ×3, first 2 shown]
	v_or3_b32 v28, v28, v19, v18
	v_pack_b32_f16 v20, v20, v21
	v_pack_b32_f16 v21, v30, v29
	ds_write2st64_b64 v28, v[40:41], v[20:21] offset1:1
	v_pk_mul_f32 v[20:21], v[38:39], v[34:35] op_sel_hi:[0,1]
	v_pk_mul_f32 v[26:27], v[38:39], v[26:27] op_sel_hi:[0,1]
	v_cvt_f16_f32_e32 v18, v26
	v_cvt_f16_f32_e32 v26, v27
	;; [unrolled: 1-line block ×4, first 2 shown]
	v_pk_mul_f32 v[20:21], v[38:39], v[24:25] op_sel_hi:[0,1]
	v_pk_mul_f32 v[22:23], v[38:39], v[22:23] op_sel_hi:[0,1]
	v_cvt_f16_f32_e32 v22, v22
	v_cvt_f16_f32_e32 v23, v23
	v_cvt_f16_f32_e32 v24, v20
	v_cvt_f16_f32_e32 v25, v21
	v_mov_b32_e32 v32, 0
	v_pack_b32_f16 v20, v18, v26
	v_pack_b32_f16 v21, v27, v29
	;; [unrolled: 1-line block ×4, first 2 shown]
	v_cmp_gt_u32_e32 vcc, 9, v0
	ds_write2st64_b64 v28, v[20:21], v[22:23] offset0:2 offset1:3
	s_and_saveexec_b64 s[8:9], vcc
	s_cbranch_execz .LBB566_399
; %bb.398:
	v_add_co_u32_e32 v22, vcc, s25, v48
	v_addc_co_u32_e64 v23, s[10:11], 0, 0, vcc
	v_mov_b32_e32 v18, s14
	v_mov_b32_e32 v21, 0
	v_mad_u64_u32 v[22:23], s[10:11], s6, v18, v[22:23]
	v_mov_b32_e32 v20, s24
	s_load_dwordx4 s[16:19], s[4:5], 0x58
	s_mul_i32 s7, s7, s14
	v_mad_u64_u32 v[20:21], s[10:11], v22, s44, v[20:21]
	v_add_u32_e32 v23, s7, v23
	v_mov_b32_e32 v18, v21
	v_mad_u64_u32 v[22:23], s[10:11], v23, s44, v[18:19]
	v_mov_b32_e32 v21, v22
	v_lshlrev_b64 v[20:21], 2, v[20:21]
	s_waitcnt lgkmcnt(0)
	v_mov_b32_e32 v18, s19
	v_add_co_u32_e32 v22, vcc, s18, v20
	v_addc_co_u32_e32 v23, vcc, v18, v21, vcc
	v_mov_b32_e32 v18, s17
	v_add_co_u32_e32 v20, vcc, s16, v20
	v_addc_co_u32_e32 v21, vcc, v18, v21, vcc
	global_store_dword v[22:23], v33, off
	global_store_dword v[20:21], v36, off
.LBB566_399:
	s_or_b64 exec, exec, s[8:9]
	v_mov_b32_e32 v20, 0
	s_waitcnt vmcnt(3)
	v_cmp_ne_u16_sdwa s[10:11], v14, v20 src0_sel:BYTE_0 src1_sel:DWORD
	s_waitcnt lgkmcnt(0)
	s_barrier
	s_and_saveexec_b64 s[8:9], s[10:11]
	s_cbranch_execz .LBB566_405
; %bb.400:
	s_movk_i32 s7, 0x80
	v_cmp_ne_u16_sdwa s[12:13], v14, s7 src0_sel:BYTE_0 src1_sel:DWORD
	v_bfrev_b32_e32 v32, 1
	s_and_saveexec_b64 s[10:11], s[12:13]
	s_cbranch_execz .LBB566_404
; %bb.401:
	s_movk_i32 s7, 0x7f
	v_and_b32_e32 v18, 0x7f, v14
	v_cmp_ne_u32_e32 vcc, s7, v18
	v_mov_b32_e32 v32, 0x7f800001
	s_and_saveexec_b64 s[12:13], vcc
	s_cbranch_execz .LBB566_403
; %bb.402:
	v_and_b32_e32 v21, 7, v14
	v_ffbh_u32_e32 v22, v21
	v_min_u32_e32 v25, 32, v22
	v_subrev_u32_e32 v22, 28, v25
	v_lshlrev_b64 v[22:23], v22, v[14:15]
	v_lshrrev_b32_e32 v24, 3, v18
	v_sub_u32_e32 v23, 29, v25
	v_and_b32_e32 v22, 7, v22
	v_cmp_gt_u32_e32 vcc, 8, v18
	v_cndmask_b32_e32 v18, v24, v23, vcc
	v_cndmask_b32_e32 v21, v21, v22, vcc
	v_lshlrev_b32_e32 v22, 24, v14
	v_bfrev_b32_e32 v23, 60
	v_lshlrev_b32_e32 v21, 20, v21
	v_and_b32_e32 v22, 0x80000000, v22
	v_lshl_add_u32 v18, v18, 23, v23
	v_or3_b32 v32, v22, v18, v21
.LBB566_403:
	s_or_b64 exec, exec, s[12:13]
.LBB566_404:
	s_or_b64 exec, exec, s[10:11]
.LBB566_405:
	s_or_b64 exec, exec, s[8:9]
	v_lshrrev_b16_e32 v18, 8, v14
	v_cmp_ne_u16_e32 vcc, 0, v18
	v_mov_b32_e32 v21, 0
	s_and_saveexec_b64 s[8:9], vcc
	s_cbranch_execz .LBB566_411
; %bb.406:
	s_movk_i32 s7, 0x80
	v_cmp_ne_u16_e32 vcc, s7, v18
	v_bfrev_b32_e32 v21, 1
	s_and_saveexec_b64 s[10:11], vcc
	s_cbranch_execz .LBB566_410
; %bb.407:
	s_movk_i32 s7, 0x7f
	v_and_b32_e32 v22, 0x7f, v18
	v_cmp_ne_u32_e32 vcc, s7, v22
	v_mov_b32_e32 v21, 0x7f800001
	s_and_saveexec_b64 s[12:13], vcc
	s_cbranch_execz .LBB566_409
; %bb.408:
	v_and_b32_e32 v21, 7, v18
	v_ffbh_u32_e32 v24, v21
	v_min_u32_e32 v26, 32, v24
	v_subrev_u32_e32 v24, 28, v26
	v_lshlrev_b64 v[24:25], v24, v[18:19]
	v_lshrrev_b32_e32 v23, 3, v22
	v_sub_u32_e32 v18, 29, v26
	v_and_b32_e32 v24, 7, v24
	v_cmp_gt_u32_e32 vcc, 8, v22
	v_cndmask_b32_e32 v18, v23, v18, vcc
	v_cndmask_b32_e32 v21, v21, v24, vcc
	v_lshlrev_b32_e32 v22, 16, v14
	v_bfrev_b32_e32 v23, 60
	v_lshlrev_b32_e32 v21, 20, v21
	v_and_b32_e32 v22, 0x80000000, v22
	v_lshl_add_u32 v18, v18, 23, v23
	v_or3_b32 v21, v22, v18, v21
.LBB566_409:
	s_or_b64 exec, exec, s[12:13]
.LBB566_410:
	s_or_b64 exec, exec, s[10:11]
.LBB566_411:
	s_or_b64 exec, exec, s[8:9]
	s_movk_i32 s7, 0xff
	v_and_b32_sdwa v22, v14, s7 dst_sel:DWORD dst_unused:UNUSED_PAD src0_sel:WORD_1 src1_sel:DWORD
	v_lshrrev_b32_e32 v18, 16, v14
	v_cmp_ne_u16_e32 vcc, 0, v22
	s_and_saveexec_b64 s[8:9], vcc
	s_cbranch_execz .LBB566_417
; %bb.412:
	s_movk_i32 s7, 0x80
	v_cmp_ne_u16_e32 vcc, s7, v22
	v_bfrev_b32_e32 v20, 1
	s_and_saveexec_b64 s[10:11], vcc
	s_cbranch_execz .LBB566_416
; %bb.413:
	v_bfe_u32 v22, v14, 16, 7
	s_movk_i32 s7, 0x7f
	v_cmp_ne_u32_e32 vcc, s7, v22
	v_mov_b32_e32 v20, 0x7f800001
	s_and_saveexec_b64 s[12:13], vcc
	s_cbranch_execz .LBB566_415
; %bb.414:
	v_and_b32_e32 v20, 7, v18
	v_ffbh_u32_e32 v24, v20
	v_min_u32_e32 v26, 32, v24
	v_subrev_u32_e32 v24, 28, v26
	v_lshlrev_b64 v[24:25], v24, v[18:19]
	v_lshrrev_b32_e32 v23, 3, v22
	v_sub_u32_e32 v18, 29, v26
	v_and_b32_e32 v24, 7, v24
	v_cmp_gt_u32_e32 vcc, 8, v22
	v_mov_b32_e32 v22, 24
	v_cndmask_b32_e32 v18, v23, v18, vcc
	v_cndmask_b32_e32 v20, v20, v24, vcc
	v_lshlrev_b32_sdwa v22, v22, v14 dst_sel:DWORD dst_unused:UNUSED_PAD src0_sel:DWORD src1_sel:WORD_1
	v_bfrev_b32_e32 v23, 60
	v_lshlrev_b32_e32 v20, 20, v20
	v_and_b32_e32 v22, 0x80000000, v22
	v_lshl_add_u32 v18, v18, 23, v23
	v_or3_b32 v20, v22, v18, v20
.LBB566_415:
	s_or_b64 exec, exec, s[12:13]
.LBB566_416:
	s_or_b64 exec, exec, s[10:11]
.LBB566_417:
	s_or_b64 exec, exec, s[8:9]
	s_mov_b32 s7, 0xffffff
	v_cmp_lt_u32_e32 vcc, s7, v14
	v_mov_b32_e32 v24, 0
	v_mov_b32_e32 v22, 0
	s_and_saveexec_b64 s[8:9], vcc
	s_cbranch_execz .LBB566_423
; %bb.418:
	v_lshrrev_b32_e32 v18, 24, v14
	s_movk_i32 s7, 0x80
	v_cmp_ne_u32_e32 vcc, s7, v18
	v_bfrev_b32_e32 v22, 1
	s_and_saveexec_b64 s[10:11], vcc
	s_cbranch_execz .LBB566_422
; %bb.419:
	v_bfe_u32 v14, v14, 24, 7
	s_movk_i32 s7, 0x7f
	v_cmp_ne_u32_e32 vcc, s7, v14
	v_mov_b32_e32 v22, 0x7f800001
	s_and_saveexec_b64 s[12:13], vcc
	s_cbranch_execz .LBB566_421
; %bb.420:
	v_and_b32_e32 v25, 7, v18
	v_ffbh_u32_e32 v22, v25
	v_min_u32_e32 v27, 32, v22
	v_subrev_u32_e32 v22, 28, v27
	v_lshlrev_b64 v[22:23], v22, v[18:19]
	v_lshrrev_b32_e32 v26, 3, v14
	v_sub_u32_e32 v23, 29, v27
	v_and_b32_e32 v22, 7, v22
	v_cmp_gt_u32_e32 vcc, 8, v14
	v_cndmask_b32_e32 v14, v26, v23, vcc
	v_cndmask_b32_e32 v22, v25, v22, vcc
	v_lshlrev_b32_e32 v18, 24, v18
	v_bfrev_b32_e32 v23, 60
	v_lshlrev_b32_e32 v22, 20, v22
	v_and_b32_e32 v18, 0x80000000, v18
	v_lshl_add_u32 v14, v14, 23, v23
	v_or3_b32 v22, v18, v14, v22
.LBB566_421:
	s_or_b64 exec, exec, s[12:13]
.LBB566_422:
	s_or_b64 exec, exec, s[10:11]
.LBB566_423:
	s_or_b64 exec, exec, s[8:9]
	v_cmp_ne_u16_sdwa s[10:11], v15, v24 src0_sel:BYTE_0 src1_sel:DWORD
	s_and_saveexec_b64 s[8:9], s[10:11]
	s_cbranch_execz .LBB566_429
; %bb.424:
	s_movk_i32 s7, 0x80
	v_cmp_ne_u16_sdwa s[12:13], v15, s7 src0_sel:BYTE_0 src1_sel:DWORD
	v_bfrev_b32_e32 v24, 1
	s_and_saveexec_b64 s[10:11], s[12:13]
	s_cbranch_execz .LBB566_428
; %bb.425:
	s_movk_i32 s7, 0x7f
	v_and_b32_e32 v14, 0x7f, v15
	v_cmp_ne_u32_e32 vcc, s7, v14
	v_mov_b32_e32 v24, 0x7f800001
	s_and_saveexec_b64 s[12:13], vcc
	s_cbranch_execz .LBB566_427
; %bb.426:
	v_and_b32_e32 v23, 7, v15
	v_ffbh_u32_e32 v24, v23
	v_min_u32_e32 v27, 32, v24
	v_mov_b32_e32 v18, v15
	v_subrev_u32_e32 v24, 28, v27
	v_lshlrev_b64 v[24:25], v24, v[18:19]
	v_lshrrev_b32_e32 v26, 3, v14
	v_sub_u32_e32 v18, 29, v27
	v_and_b32_e32 v24, 7, v24
	v_cmp_gt_u32_e32 vcc, 8, v14
	v_cndmask_b32_e32 v14, v26, v18, vcc
	v_cndmask_b32_e32 v18, v23, v24, vcc
	v_lshlrev_b32_e32 v23, 24, v15
	v_bfrev_b32_e32 v24, 60
	v_lshlrev_b32_e32 v18, 20, v18
	v_and_b32_e32 v23, 0x80000000, v23
	v_lshl_add_u32 v14, v14, 23, v24
	v_or3_b32 v24, v23, v14, v18
.LBB566_427:
	s_or_b64 exec, exec, s[12:13]
.LBB566_428:
	s_or_b64 exec, exec, s[10:11]
.LBB566_429:
	s_or_b64 exec, exec, s[8:9]
	v_lshrrev_b16_e32 v14, 8, v15
	v_cmp_ne_u16_e32 vcc, 0, v14
	v_mov_b32_e32 v18, 0
	v_mov_b32_e32 v25, 0
	s_and_saveexec_b64 s[8:9], vcc
	s_cbranch_execz .LBB566_435
; %bb.430:
	s_movk_i32 s7, 0x80
	v_cmp_ne_u16_e32 vcc, s7, v14
	v_bfrev_b32_e32 v25, 1
	s_and_saveexec_b64 s[10:11], vcc
	s_cbranch_execz .LBB566_434
; %bb.431:
	s_movk_i32 s7, 0x7f
	v_and_b32_e32 v23, 0x7f, v14
	v_cmp_ne_u32_e32 vcc, s7, v23
	v_mov_b32_e32 v25, 0x7f800001
	s_and_saveexec_b64 s[12:13], vcc
	s_cbranch_execz .LBB566_433
; %bb.432:
	v_and_b32_e32 v25, 7, v14
	v_ffbh_u32_e32 v26, v25
	v_min_u32_e32 v30, 32, v26
	v_subrev_u32_e32 v26, 28, v30
	v_lshlrev_b64 v[26:27], v26, v[14:15]
	v_lshrrev_b32_e32 v29, 3, v23
	v_sub_u32_e32 v14, 29, v30
	v_and_b32_e32 v26, 7, v26
	v_cmp_gt_u32_e32 vcc, 8, v23
	v_cndmask_b32_e32 v14, v29, v14, vcc
	v_cndmask_b32_e32 v23, v25, v26, vcc
	v_lshlrev_b32_e32 v25, 16, v15
	v_bfrev_b32_e32 v26, 60
	v_lshlrev_b32_e32 v23, 20, v23
	v_and_b32_e32 v25, 0x80000000, v25
	v_lshl_add_u32 v14, v14, 23, v26
	v_or3_b32 v25, v25, v14, v23
.LBB566_433:
	s_or_b64 exec, exec, s[12:13]
.LBB566_434:
	s_or_b64 exec, exec, s[10:11]
.LBB566_435:
	s_or_b64 exec, exec, s[8:9]
	s_movk_i32 s7, 0xff
	v_and_b32_sdwa v23, v15, s7 dst_sel:DWORD dst_unused:UNUSED_PAD src0_sel:WORD_1 src1_sel:DWORD
	v_lshrrev_b32_e32 v14, 16, v15
	v_cmp_ne_u16_e32 vcc, 0, v23
	s_and_saveexec_b64 s[8:9], vcc
	s_cbranch_execz .LBB566_441
; %bb.436:
	s_movk_i32 s7, 0x80
	v_cmp_ne_u16_e32 vcc, s7, v23
	v_bfrev_b32_e32 v18, 1
	s_and_saveexec_b64 s[10:11], vcc
	s_cbranch_execz .LBB566_440
; %bb.437:
	v_bfe_u32 v23, v15, 16, 7
	s_movk_i32 s7, 0x7f
	v_cmp_ne_u32_e32 vcc, s7, v23
	v_mov_b32_e32 v18, 0x7f800001
	s_and_saveexec_b64 s[12:13], vcc
	s_cbranch_execz .LBB566_439
; %bb.438:
	v_and_b32_e32 v18, 7, v14
	v_ffbh_u32_e32 v26, v18
	v_min_u32_e32 v30, 32, v26
	v_subrev_u32_e32 v26, 28, v30
	v_lshlrev_b64 v[26:27], v26, v[14:15]
	v_lshrrev_b32_e32 v29, 3, v23
	v_sub_u32_e32 v14, 29, v30
	v_and_b32_e32 v26, 7, v26
	v_cmp_gt_u32_e32 vcc, 8, v23
	v_mov_b32_e32 v23, 24
	v_cndmask_b32_e32 v14, v29, v14, vcc
	v_cndmask_b32_e32 v18, v18, v26, vcc
	v_lshlrev_b32_sdwa v23, v23, v15 dst_sel:DWORD dst_unused:UNUSED_PAD src0_sel:DWORD src1_sel:WORD_1
	v_bfrev_b32_e32 v26, 60
	v_lshlrev_b32_e32 v18, 20, v18
	v_and_b32_e32 v23, 0x80000000, v23
	v_lshl_add_u32 v14, v14, 23, v26
	v_or3_b32 v18, v23, v14, v18
.LBB566_439:
	s_or_b64 exec, exec, s[12:13]
.LBB566_440:
	s_or_b64 exec, exec, s[10:11]
.LBB566_441:
	s_or_b64 exec, exec, s[8:9]
	s_mov_b32 s7, 0xffffff
	v_cmp_lt_u32_e32 vcc, s7, v15
	v_mov_b32_e32 v23, 0
	v_mov_b32_e32 v26, 0
	s_and_saveexec_b64 s[8:9], vcc
	s_cbranch_execz .LBB566_447
; %bb.442:
	v_lshrrev_b32_e32 v14, 24, v15
	s_movk_i32 s7, 0x80
	v_cmp_ne_u32_e32 vcc, s7, v14
	v_bfrev_b32_e32 v26, 1
	s_and_saveexec_b64 s[10:11], vcc
	s_cbranch_execz .LBB566_446
; %bb.443:
	v_bfe_u32 v15, v15, 24, 7
	s_movk_i32 s7, 0x7f
	v_cmp_ne_u32_e32 vcc, s7, v15
	v_mov_b32_e32 v26, 0x7f800001
	s_and_saveexec_b64 s[12:13], vcc
	s_cbranch_execz .LBB566_445
; %bb.444:
	v_and_b32_e32 v29, 7, v14
	v_ffbh_u32_e32 v26, v29
	v_min_u32_e32 v31, 32, v26
	v_subrev_u32_e32 v26, 28, v31
	v_lshlrev_b64 v[26:27], v26, v[14:15]
	v_lshrrev_b32_e32 v30, 3, v15
	v_sub_u32_e32 v27, 29, v31
	v_and_b32_e32 v26, 7, v26
	v_cmp_gt_u32_e32 vcc, 8, v15
	v_cndmask_b32_e32 v15, v30, v27, vcc
	v_cndmask_b32_e32 v26, v29, v26, vcc
	v_lshlrev_b32_e32 v14, 24, v14
	v_bfrev_b32_e32 v27, 60
	v_lshlrev_b32_e32 v26, 20, v26
	v_and_b32_e32 v14, 0x80000000, v14
	v_lshl_add_u32 v15, v15, 23, v27
	v_or3_b32 v26, v14, v15, v26
.LBB566_445:
	s_or_b64 exec, exec, s[12:13]
.LBB566_446:
	s_or_b64 exec, exec, s[10:11]
.LBB566_447:
	s_or_b64 exec, exec, s[8:9]
	v_cvt_pkrtz_f16_f32 v15, v20, v22
	v_lshl_or_b32 v22, v1, 9, v19
	v_cvt_pkrtz_f16_f32 v14, v32, v21
	ds_read_b128 v[30:33], v22
	v_cmp_ne_u16_sdwa s[10:11], v16, v23 src0_sel:BYTE_0 src1_sel:DWORD
	s_waitcnt lgkmcnt(0)
	v_mfma_f32_16x16x16f16 v[34:37], v[14:15], v[30:31], 0
	v_cvt_pkrtz_f16_f32 v14, v24, v25
	v_cvt_pkrtz_f16_f32 v15, v18, v26
	s_nop 1
	v_mfma_f32_16x16x16f16 v[18:21], v[14:15], v[32:33], v[34:37]
	s_and_saveexec_b64 s[8:9], s[10:11]
	s_cbranch_execz .LBB566_453
; %bb.448:
	s_movk_i32 s7, 0x80
	v_cmp_ne_u16_sdwa s[12:13], v16, s7 src0_sel:BYTE_0 src1_sel:DWORD
	v_bfrev_b32_e32 v23, 1
	s_and_saveexec_b64 s[10:11], s[12:13]
	s_cbranch_execz .LBB566_452
; %bb.449:
	s_movk_i32 s7, 0x7f
	v_and_b32_e32 v14, 0x7f, v16
	v_cmp_ne_u32_e32 vcc, s7, v14
	v_mov_b32_e32 v23, 0x7f800001
	s_and_saveexec_b64 s[12:13], vcc
	s_cbranch_execz .LBB566_451
; %bb.450:
	v_and_b32_e32 v15, 7, v16
	v_ffbh_u32_e32 v24, v15
	v_min_u32_e32 v26, 32, v24
	v_subrev_u32_e32 v24, 28, v26
	v_lshlrev_b64 v[24:25], v24, v[16:17]
	v_lshrrev_b32_e32 v23, 3, v14
	v_sub_u32_e32 v25, 29, v26
	v_and_b32_e32 v24, 7, v24
	v_cmp_gt_u32_e32 vcc, 8, v14
	v_cndmask_b32_e32 v14, v23, v25, vcc
	v_cndmask_b32_e32 v15, v15, v24, vcc
	v_lshlrev_b32_e32 v23, 24, v16
	v_bfrev_b32_e32 v24, 60
	v_lshlrev_b32_e32 v15, 20, v15
	v_and_b32_e32 v23, 0x80000000, v23
	v_lshl_add_u32 v14, v14, 23, v24
	v_or3_b32 v23, v23, v14, v15
.LBB566_451:
	s_or_b64 exec, exec, s[12:13]
.LBB566_452:
	s_or_b64 exec, exec, s[10:11]
.LBB566_453:
	s_or_b64 exec, exec, s[8:9]
	v_lshrrev_b16_e32 v14, 8, v16
	v_cmp_ne_u16_e32 vcc, 0, v14
	v_mov_b32_e32 v15, 0
	v_mov_b32_e32 v25, 0
	s_and_saveexec_b64 s[8:9], vcc
	s_cbranch_execz .LBB566_459
; %bb.454:
	s_movk_i32 s7, 0x80
	v_cmp_ne_u16_e32 vcc, s7, v14
	v_bfrev_b32_e32 v25, 1
	s_and_saveexec_b64 s[10:11], vcc
	s_cbranch_execz .LBB566_458
; %bb.455:
	s_movk_i32 s7, 0x7f
	v_and_b32_e32 v24, 0x7f, v14
	v_cmp_ne_u32_e32 vcc, s7, v24
	v_mov_b32_e32 v25, 0x7f800001
	s_and_saveexec_b64 s[12:13], vcc
	s_cbranch_execz .LBB566_457
; %bb.456:
	v_and_b32_e32 v25, 7, v14
	v_ffbh_u32_e32 v26, v25
	v_min_u32_e32 v30, 32, v26
	v_subrev_u32_e32 v26, 28, v30
	v_lshlrev_b64 v[26:27], v26, v[14:15]
	v_lshrrev_b32_e32 v29, 3, v24
	v_sub_u32_e32 v14, 29, v30
	v_and_b32_e32 v26, 7, v26
	v_cmp_gt_u32_e32 vcc, 8, v24
	v_cndmask_b32_e32 v14, v29, v14, vcc
	v_cndmask_b32_e32 v24, v25, v26, vcc
	v_lshlrev_b32_e32 v25, 16, v16
	v_bfrev_b32_e32 v26, 60
	v_lshlrev_b32_e32 v24, 20, v24
	v_and_b32_e32 v25, 0x80000000, v25
	v_lshl_add_u32 v14, v14, 23, v26
	v_or3_b32 v25, v25, v14, v24
.LBB566_457:
	s_or_b64 exec, exec, s[12:13]
.LBB566_458:
	s_or_b64 exec, exec, s[10:11]
.LBB566_459:
	s_or_b64 exec, exec, s[8:9]
	s_movk_i32 s7, 0xff
	v_and_b32_sdwa v24, v16, s7 dst_sel:DWORD dst_unused:UNUSED_PAD src0_sel:WORD_1 src1_sel:DWORD
	v_lshrrev_b32_e32 v14, 16, v16
	v_cmp_ne_u16_e32 vcc, 0, v24
	s_and_saveexec_b64 s[8:9], vcc
	s_cbranch_execz .LBB566_465
; %bb.460:
	s_movk_i32 s7, 0x80
	v_cmp_ne_u16_e32 vcc, s7, v24
	v_bfrev_b32_e32 v15, 1
	s_and_saveexec_b64 s[10:11], vcc
	s_cbranch_execz .LBB566_464
; %bb.461:
	v_bfe_u32 v24, v16, 16, 7
	s_movk_i32 s7, 0x7f
	v_cmp_ne_u32_e32 vcc, s7, v24
	v_mov_b32_e32 v15, 0x7f800001
	s_and_saveexec_b64 s[12:13], vcc
	s_cbranch_execz .LBB566_463
; %bb.462:
	v_and_b32_e32 v26, 7, v14
	v_ffbh_u32_e32 v15, v26
	v_min_u32_e32 v29, 32, v15
	v_subrev_u32_e32 v15, 28, v29
	v_lshlrev_b64 v[14:15], v15, v[14:15]
	v_lshrrev_b32_e32 v27, 3, v24
	v_sub_u32_e32 v15, 29, v29
	v_and_b32_e32 v14, 7, v14
	v_cmp_gt_u32_e32 vcc, 8, v24
	v_mov_b32_e32 v24, 24
	v_cndmask_b32_e32 v15, v27, v15, vcc
	v_cndmask_b32_e32 v14, v26, v14, vcc
	v_lshlrev_b32_sdwa v24, v24, v16 dst_sel:DWORD dst_unused:UNUSED_PAD src0_sel:DWORD src1_sel:WORD_1
	v_bfrev_b32_e32 v26, 60
	v_lshlrev_b32_e32 v14, 20, v14
	v_and_b32_e32 v24, 0x80000000, v24
	v_lshl_add_u32 v15, v15, 23, v26
	v_or3_b32 v15, v24, v15, v14
.LBB566_463:
	s_or_b64 exec, exec, s[12:13]
.LBB566_464:
	s_or_b64 exec, exec, s[10:11]
.LBB566_465:
	s_or_b64 exec, exec, s[8:9]
	s_mov_b32 s7, 0xffffff
	v_cmp_lt_u32_e32 vcc, s7, v16
	v_mov_b32_e32 v26, 0
	v_mov_b32_e32 v27, 0
	s_and_saveexec_b64 s[8:9], vcc
	s_cbranch_execz .LBB566_471
; %bb.466:
	v_lshrrev_b32_e32 v14, 24, v16
	s_movk_i32 s7, 0x80
	v_cmp_ne_u32_e32 vcc, s7, v14
	v_bfrev_b32_e32 v27, 1
	s_and_saveexec_b64 s[10:11], vcc
	s_cbranch_execz .LBB566_470
; %bb.467:
	v_bfe_u32 v16, v16, 24, 7
	s_movk_i32 s7, 0x7f
	v_cmp_ne_u32_e32 vcc, s7, v16
	v_mov_b32_e32 v27, 0x7f800001
	s_and_saveexec_b64 s[12:13], vcc
	s_cbranch_execz .LBB566_469
; %bb.468:
	v_and_b32_e32 v24, 7, v14
	v_ffbh_u32_e32 v29, v24
	v_min_u32_e32 v29, 32, v29
	v_subrev_u32_e32 v30, 28, v29
	v_lshlrev_b64 v[30:31], v30, v[14:15]
	v_lshrrev_b32_e32 v27, 3, v16
	v_sub_u32_e32 v29, 29, v29
	v_and_b32_e32 v30, 7, v30
	v_cmp_gt_u32_e32 vcc, 8, v16
	v_cndmask_b32_e32 v16, v27, v29, vcc
	v_cndmask_b32_e32 v24, v24, v30, vcc
	v_lshlrev_b32_e32 v14, 24, v14
	v_bfrev_b32_e32 v27, 60
	v_lshlrev_b32_e32 v24, 20, v24
	v_and_b32_e32 v14, 0x80000000, v14
	v_lshl_add_u32 v16, v16, 23, v27
	v_or3_b32 v27, v14, v16, v24
.LBB566_469:
	s_or_b64 exec, exec, s[12:13]
.LBB566_470:
	s_or_b64 exec, exec, s[10:11]
.LBB566_471:
	s_or_b64 exec, exec, s[8:9]
	v_cmp_ne_u16_sdwa s[10:11], v17, v26 src0_sel:BYTE_0 src1_sel:DWORD
	s_and_saveexec_b64 s[8:9], s[10:11]
	s_cbranch_execz .LBB566_477
; %bb.472:
	s_movk_i32 s7, 0x80
	v_cmp_ne_u16_sdwa s[12:13], v17, s7 src0_sel:BYTE_0 src1_sel:DWORD
	v_bfrev_b32_e32 v26, 1
	s_and_saveexec_b64 s[10:11], s[12:13]
	s_cbranch_execz .LBB566_476
; %bb.473:
	s_movk_i32 s7, 0x7f
	v_and_b32_e32 v14, 0x7f, v17
	v_cmp_ne_u32_e32 vcc, s7, v14
	v_mov_b32_e32 v26, 0x7f800001
	s_and_saveexec_b64 s[12:13], vcc
	s_cbranch_execz .LBB566_475
; %bb.474:
	v_and_b32_e32 v24, 7, v17
	v_ffbh_u32_e32 v29, v24
	v_min_u32_e32 v29, 32, v29
	v_mov_b32_e32 v16, v17
	v_subrev_u32_e32 v30, 28, v29
	v_lshlrev_b64 v[30:31], v30, v[16:17]
	v_lshrrev_b32_e32 v26, 3, v14
	v_sub_u32_e32 v16, 29, v29
	v_and_b32_e32 v29, 7, v30
	v_cmp_gt_u32_e32 vcc, 8, v14
	v_cndmask_b32_e32 v14, v26, v16, vcc
	v_cndmask_b32_e32 v16, v24, v29, vcc
	v_lshlrev_b32_e32 v24, 24, v17
	v_bfrev_b32_e32 v26, 60
	v_lshlrev_b32_e32 v16, 20, v16
	v_and_b32_e32 v24, 0x80000000, v24
	v_lshl_add_u32 v14, v14, 23, v26
	v_or3_b32 v26, v24, v14, v16
.LBB566_475:
	s_or_b64 exec, exec, s[12:13]
.LBB566_476:
	s_or_b64 exec, exec, s[10:11]
.LBB566_477:
	s_or_b64 exec, exec, s[8:9]
	v_lshrrev_b16_e32 v14, 8, v17
	v_cmp_ne_u16_e32 vcc, 0, v14
	v_mov_b32_e32 v16, 0
	v_mov_b32_e32 v29, 0
	s_and_saveexec_b64 s[8:9], vcc
	s_cbranch_execz .LBB566_483
; %bb.478:
	s_movk_i32 s7, 0x80
	v_cmp_ne_u16_e32 vcc, s7, v14
	v_bfrev_b32_e32 v29, 1
	s_and_saveexec_b64 s[10:11], vcc
	s_cbranch_execz .LBB566_482
; %bb.479:
	s_movk_i32 s7, 0x7f
	v_and_b32_e32 v24, 0x7f, v14
	v_cmp_ne_u32_e32 vcc, s7, v24
	v_mov_b32_e32 v29, 0x7f800001
	s_and_saveexec_b64 s[12:13], vcc
	s_cbranch_execz .LBB566_481
; %bb.480:
	v_and_b32_e32 v29, 7, v14
	v_ffbh_u32_e32 v30, v29
	v_min_u32_e32 v33, 32, v30
	v_subrev_u32_e32 v30, 28, v33
	v_lshlrev_b64 v[30:31], v30, v[14:15]
	v_lshrrev_b32_e32 v32, 3, v24
	v_sub_u32_e32 v14, 29, v33
	v_and_b32_e32 v30, 7, v30
	v_cmp_gt_u32_e32 vcc, 8, v24
	v_cndmask_b32_e32 v14, v32, v14, vcc
	v_cndmask_b32_e32 v24, v29, v30, vcc
	v_lshlrev_b32_e32 v29, 16, v17
	v_bfrev_b32_e32 v30, 60
	v_lshlrev_b32_e32 v24, 20, v24
	v_and_b32_e32 v29, 0x80000000, v29
	v_lshl_add_u32 v14, v14, 23, v30
	v_or3_b32 v29, v29, v14, v24
.LBB566_481:
	s_or_b64 exec, exec, s[12:13]
.LBB566_482:
	s_or_b64 exec, exec, s[10:11]
.LBB566_483:
	s_or_b64 exec, exec, s[8:9]
	s_movk_i32 s7, 0xff
	v_and_b32_sdwa v24, v17, s7 dst_sel:DWORD dst_unused:UNUSED_PAD src0_sel:WORD_1 src1_sel:DWORD
	v_lshrrev_b32_e32 v14, 16, v17
	v_cmp_ne_u16_e32 vcc, 0, v24
	s_and_saveexec_b64 s[8:9], vcc
	s_cbranch_execz .LBB566_489
; %bb.484:
	s_movk_i32 s7, 0x80
	v_cmp_ne_u16_e32 vcc, s7, v24
	v_bfrev_b32_e32 v16, 1
	s_and_saveexec_b64 s[10:11], vcc
	s_cbranch_execz .LBB566_488
; %bb.485:
	v_bfe_u32 v24, v17, 16, 7
	s_movk_i32 s7, 0x7f
	v_cmp_ne_u32_e32 vcc, s7, v24
	v_mov_b32_e32 v16, 0x7f800001
	s_and_saveexec_b64 s[12:13], vcc
	s_cbranch_execz .LBB566_487
; %bb.486:
	v_and_b32_e32 v16, 7, v14
	v_ffbh_u32_e32 v30, v16
	v_min_u32_e32 v33, 32, v30
	v_subrev_u32_e32 v30, 28, v33
	v_lshlrev_b64 v[30:31], v30, v[14:15]
	v_lshrrev_b32_e32 v32, 3, v24
	v_sub_u32_e32 v14, 29, v33
	v_and_b32_e32 v30, 7, v30
	v_cmp_gt_u32_e32 vcc, 8, v24
	v_mov_b32_e32 v24, 24
	v_cndmask_b32_e32 v14, v32, v14, vcc
	v_cndmask_b32_e32 v16, v16, v30, vcc
	v_lshlrev_b32_sdwa v24, v24, v17 dst_sel:DWORD dst_unused:UNUSED_PAD src0_sel:DWORD src1_sel:WORD_1
	v_bfrev_b32_e32 v30, 60
	v_lshlrev_b32_e32 v16, 20, v16
	v_and_b32_e32 v24, 0x80000000, v24
	v_lshl_add_u32 v14, v14, 23, v30
	v_or3_b32 v16, v24, v14, v16
.LBB566_487:
	s_or_b64 exec, exec, s[12:13]
.LBB566_488:
	s_or_b64 exec, exec, s[10:11]
.LBB566_489:
	s_or_b64 exec, exec, s[8:9]
	s_mov_b32 s7, 0xffffff
	v_cmp_lt_u32_e32 vcc, s7, v17
	v_mov_b32_e32 v24, 0
	v_mov_b32_e32 v30, 0
	s_and_saveexec_b64 s[8:9], vcc
	s_cbranch_execz .LBB566_495
; %bb.490:
	v_lshrrev_b32_e32 v14, 24, v17
	s_movk_i32 s7, 0x80
	v_cmp_ne_u32_e32 vcc, s7, v14
	v_bfrev_b32_e32 v30, 1
	s_and_saveexec_b64 s[10:11], vcc
	s_cbranch_execz .LBB566_494
; %bb.491:
	v_bfe_u32 v17, v17, 24, 7
	s_movk_i32 s7, 0x7f
	v_cmp_ne_u32_e32 vcc, s7, v17
	v_mov_b32_e32 v30, 0x7f800001
	s_and_saveexec_b64 s[12:13], vcc
	s_cbranch_execz .LBB566_493
; %bb.492:
	v_and_b32_e32 v32, 7, v14
	v_ffbh_u32_e32 v30, v32
	v_min_u32_e32 v34, 32, v30
	v_subrev_u32_e32 v30, 28, v34
	v_lshlrev_b64 v[30:31], v30, v[14:15]
	v_lshrrev_b32_e32 v33, 3, v17
	v_sub_u32_e32 v31, 29, v34
	v_and_b32_e32 v30, 7, v30
	v_cmp_gt_u32_e32 vcc, 8, v17
	v_cndmask_b32_e32 v17, v33, v31, vcc
	v_cndmask_b32_e32 v30, v32, v30, vcc
	v_lshlrev_b32_e32 v14, 24, v14
	v_bfrev_b32_e32 v31, 60
	v_lshlrev_b32_e32 v30, 20, v30
	v_and_b32_e32 v14, 0x80000000, v14
	v_lshl_add_u32 v17, v17, 23, v31
	v_or3_b32 v30, v14, v17, v30
.LBB566_493:
	s_or_b64 exec, exec, s[12:13]
.LBB566_494:
	s_or_b64 exec, exec, s[10:11]
.LBB566_495:
	s_or_b64 exec, exec, s[8:9]
	v_cvt_pkrtz_f16_f32 v14, v23, v25
	v_cvt_pkrtz_f16_f32 v15, v15, v27
	ds_read_b128 v[32:35], v22 offset:16
	s_waitcnt vmcnt(2)
	v_cmp_ne_u16_sdwa s[10:11], v10, v24 src0_sel:BYTE_0 src1_sel:DWORD
	s_waitcnt lgkmcnt(0)
	v_mfma_f32_16x16x16f16 v[18:21], v[14:15], v[32:33], v[18:21]
	v_cvt_pkrtz_f16_f32 v14, v26, v29
	v_cvt_pkrtz_f16_f32 v15, v16, v30
	s_nop 1
	v_mfma_f32_16x16x16f16 v[14:17], v[14:15], v[34:35], v[18:21]
	s_and_saveexec_b64 s[8:9], s[10:11]
	s_cbranch_execz .LBB566_501
; %bb.496:
	s_movk_i32 s7, 0x80
	v_cmp_ne_u16_sdwa s[12:13], v10, s7 src0_sel:BYTE_0 src1_sel:DWORD
	v_bfrev_b32_e32 v24, 1
	s_and_saveexec_b64 s[10:11], s[12:13]
	s_cbranch_execz .LBB566_500
; %bb.497:
	s_movk_i32 s7, 0x7f
	v_and_b32_e32 v18, 0x7f, v10
	v_cmp_ne_u32_e32 vcc, s7, v18
	v_mov_b32_e32 v24, 0x7f800001
	s_and_saveexec_b64 s[12:13], vcc
	s_cbranch_execz .LBB566_499
; %bb.498:
	v_and_b32_e32 v19, 7, v10
	v_ffbh_u32_e32 v20, v19
	v_min_u32_e32 v24, 32, v20
	v_subrev_u32_e32 v20, 28, v24
	v_lshlrev_b64 v[20:21], v20, v[10:11]
	v_lshrrev_b32_e32 v23, 3, v18
	v_sub_u32_e32 v21, 29, v24
	v_and_b32_e32 v20, 7, v20
	v_cmp_gt_u32_e32 vcc, 8, v18
	v_cndmask_b32_e32 v18, v23, v21, vcc
	v_cndmask_b32_e32 v19, v19, v20, vcc
	v_lshlrev_b32_e32 v20, 24, v10
	v_bfrev_b32_e32 v21, 60
	v_lshlrev_b32_e32 v19, 20, v19
	v_and_b32_e32 v20, 0x80000000, v20
	v_lshl_add_u32 v18, v18, 23, v21
	v_or3_b32 v24, v20, v18, v19
.LBB566_499:
	s_or_b64 exec, exec, s[12:13]
.LBB566_500:
	s_or_b64 exec, exec, s[10:11]
.LBB566_501:
	s_or_b64 exec, exec, s[8:9]
	s_nop 3
	v_lshrrev_b16_e32 v18, 8, v10
	v_cmp_ne_u16_e32 vcc, 0, v18
	v_mov_b32_e32 v19, 0
	v_mov_b32_e32 v20, 0
	s_and_saveexec_b64 s[8:9], vcc
	s_cbranch_execz .LBB566_507
; %bb.502:
	s_movk_i32 s7, 0x80
	v_cmp_ne_u16_e32 vcc, s7, v18
	v_bfrev_b32_e32 v20, 1
	s_and_saveexec_b64 s[10:11], vcc
	s_cbranch_execz .LBB566_506
; %bb.503:
	s_movk_i32 s7, 0x7f
	v_and_b32_e32 v21, 0x7f, v18
	v_cmp_ne_u32_e32 vcc, s7, v21
	v_mov_b32_e32 v20, 0x7f800001
	s_and_saveexec_b64 s[12:13], vcc
	s_cbranch_execz .LBB566_505
; %bb.504:
	v_and_b32_e32 v20, 7, v18
	v_ffbh_u32_e32 v25, v20
	v_min_u32_e32 v25, 32, v25
	v_subrev_u32_e32 v26, 28, v25
	v_lshlrev_b64 v[26:27], v26, v[18:19]
	v_lshrrev_b32_e32 v23, 3, v21
	v_sub_u32_e32 v18, 29, v25
	v_and_b32_e32 v25, 7, v26
	v_cmp_gt_u32_e32 vcc, 8, v21
	v_cndmask_b32_e32 v18, v23, v18, vcc
	v_cndmask_b32_e32 v20, v20, v25, vcc
	v_lshlrev_b32_e32 v21, 16, v10
	v_bfrev_b32_e32 v23, 60
	v_lshlrev_b32_e32 v20, 20, v20
	v_and_b32_e32 v21, 0x80000000, v21
	v_lshl_add_u32 v18, v18, 23, v23
	v_or3_b32 v20, v21, v18, v20
.LBB566_505:
	s_or_b64 exec, exec, s[12:13]
.LBB566_506:
	s_or_b64 exec, exec, s[10:11]
.LBB566_507:
	s_or_b64 exec, exec, s[8:9]
	s_movk_i32 s7, 0xff
	v_and_b32_sdwa v21, v10, s7 dst_sel:DWORD dst_unused:UNUSED_PAD src0_sel:WORD_1 src1_sel:DWORD
	v_lshrrev_b32_e32 v18, 16, v10
	v_cmp_ne_u16_e32 vcc, 0, v21
	s_and_saveexec_b64 s[8:9], vcc
	s_cbranch_execz .LBB566_513
; %bb.508:
	s_movk_i32 s7, 0x80
	v_cmp_ne_u16_e32 vcc, s7, v21
	v_bfrev_b32_e32 v19, 1
	s_and_saveexec_b64 s[10:11], vcc
	s_cbranch_execz .LBB566_512
; %bb.509:
	v_bfe_u32 v21, v10, 16, 7
	s_movk_i32 s7, 0x7f
	v_cmp_ne_u32_e32 vcc, s7, v21
	v_mov_b32_e32 v19, 0x7f800001
	s_and_saveexec_b64 s[12:13], vcc
	s_cbranch_execz .LBB566_511
; %bb.510:
	v_and_b32_e32 v23, 7, v18
	v_ffbh_u32_e32 v19, v23
	v_min_u32_e32 v26, 32, v19
	v_subrev_u32_e32 v19, 28, v26
	v_lshlrev_b64 v[18:19], v19, v[18:19]
	v_lshrrev_b32_e32 v25, 3, v21
	v_sub_u32_e32 v19, 29, v26
	v_and_b32_e32 v18, 7, v18
	v_cmp_gt_u32_e32 vcc, 8, v21
	v_mov_b32_e32 v21, 24
	v_cndmask_b32_e32 v19, v25, v19, vcc
	v_cndmask_b32_e32 v18, v23, v18, vcc
	v_lshlrev_b32_sdwa v21, v21, v10 dst_sel:DWORD dst_unused:UNUSED_PAD src0_sel:DWORD src1_sel:WORD_1
	v_bfrev_b32_e32 v23, 60
	v_lshlrev_b32_e32 v18, 20, v18
	v_and_b32_e32 v21, 0x80000000, v21
	v_lshl_add_u32 v19, v19, 23, v23
	v_or3_b32 v19, v21, v19, v18
.LBB566_511:
	s_or_b64 exec, exec, s[12:13]
.LBB566_512:
	s_or_b64 exec, exec, s[10:11]
.LBB566_513:
	s_or_b64 exec, exec, s[8:9]
	s_mov_b32 s7, 0xffffff
	v_cmp_lt_u32_e32 vcc, s7, v10
	v_mov_b32_e32 v21, 0
	v_mov_b32_e32 v23, 0
	s_and_saveexec_b64 s[8:9], vcc
	s_cbranch_execz .LBB566_519
; %bb.514:
	v_lshrrev_b32_e32 v18, 24, v10
	s_movk_i32 s7, 0x80
	v_cmp_ne_u32_e32 vcc, s7, v18
	v_bfrev_b32_e32 v23, 1
	s_and_saveexec_b64 s[10:11], vcc
	s_cbranch_execz .LBB566_518
; %bb.515:
	v_bfe_u32 v10, v10, 24, 7
	s_movk_i32 s7, 0x7f
	v_cmp_ne_u32_e32 vcc, s7, v10
	v_mov_b32_e32 v23, 0x7f800001
	s_and_saveexec_b64 s[12:13], vcc
	s_cbranch_execz .LBB566_517
; %bb.516:
	v_and_b32_e32 v23, 7, v18
	v_ffbh_u32_e32 v26, v23
	v_min_u32_e32 v29, 32, v26
	v_subrev_u32_e32 v26, 28, v29
	v_lshlrev_b64 v[26:27], v26, v[18:19]
	v_lshrrev_b32_e32 v25, 3, v10
	v_sub_u32_e32 v27, 29, v29
	v_and_b32_e32 v26, 7, v26
	v_cmp_gt_u32_e32 vcc, 8, v10
	v_cndmask_b32_e32 v10, v25, v27, vcc
	v_cndmask_b32_e32 v23, v23, v26, vcc
	v_lshlrev_b32_e32 v18, 24, v18
	v_bfrev_b32_e32 v25, 60
	v_lshlrev_b32_e32 v23, 20, v23
	v_and_b32_e32 v18, 0x80000000, v18
	v_lshl_add_u32 v10, v10, 23, v25
	v_or3_b32 v23, v18, v10, v23
.LBB566_517:
	s_or_b64 exec, exec, s[12:13]
.LBB566_518:
	s_or_b64 exec, exec, s[10:11]
.LBB566_519:
	s_or_b64 exec, exec, s[8:9]
	v_cmp_ne_u16_sdwa s[10:11], v11, v21 src0_sel:BYTE_0 src1_sel:DWORD
	s_and_saveexec_b64 s[8:9], s[10:11]
	s_cbranch_execz .LBB566_525
; %bb.520:
	s_movk_i32 s7, 0x80
	v_cmp_ne_u16_sdwa s[12:13], v11, s7 src0_sel:BYTE_0 src1_sel:DWORD
	v_bfrev_b32_e32 v21, 1
	s_and_saveexec_b64 s[10:11], s[12:13]
	s_cbranch_execz .LBB566_524
; %bb.521:
	s_movk_i32 s7, 0x7f
	v_and_b32_e32 v10, 0x7f, v11
	v_cmp_ne_u32_e32 vcc, s7, v10
	v_mov_b32_e32 v21, 0x7f800001
	s_and_saveexec_b64 s[12:13], vcc
	s_cbranch_execz .LBB566_523
; %bb.522:
	v_and_b32_e32 v21, 7, v11
	v_ffbh_u32_e32 v26, v21
	v_min_u32_e32 v29, 32, v26
	v_mov_b32_e32 v18, v11
	v_subrev_u32_e32 v26, 28, v29
	v_lshlrev_b64 v[26:27], v26, v[18:19]
	v_lshrrev_b32_e32 v25, 3, v10
	v_sub_u32_e32 v18, 29, v29
	v_and_b32_e32 v26, 7, v26
	v_cmp_gt_u32_e32 vcc, 8, v10
	v_cndmask_b32_e32 v10, v25, v18, vcc
	v_cndmask_b32_e32 v18, v21, v26, vcc
	v_lshlrev_b32_e32 v21, 24, v11
	v_bfrev_b32_e32 v25, 60
	v_lshlrev_b32_e32 v18, 20, v18
	v_and_b32_e32 v21, 0x80000000, v21
	v_lshl_add_u32 v10, v10, 23, v25
	v_or3_b32 v21, v21, v10, v18
.LBB566_523:
	s_or_b64 exec, exec, s[12:13]
.LBB566_524:
	s_or_b64 exec, exec, s[10:11]
.LBB566_525:
	s_or_b64 exec, exec, s[8:9]
	v_lshrrev_b16_e32 v10, 8, v11
	v_cmp_ne_u16_e32 vcc, 0, v10
	v_mov_b32_e32 v25, 0
	v_mov_b32_e32 v26, 0
	s_and_saveexec_b64 s[8:9], vcc
	s_cbranch_execz .LBB566_531
; %bb.526:
	s_movk_i32 s7, 0x80
	v_cmp_ne_u16_e32 vcc, s7, v10
	v_bfrev_b32_e32 v26, 1
	s_and_saveexec_b64 s[10:11], vcc
	s_cbranch_execz .LBB566_530
; %bb.527:
	s_movk_i32 s7, 0x7f
	v_and_b32_e32 v18, 0x7f, v10
	v_cmp_ne_u32_e32 vcc, s7, v18
	v_mov_b32_e32 v26, 0x7f800001
	s_and_saveexec_b64 s[12:13], vcc
	s_cbranch_execz .LBB566_529
; %bb.528:
	v_and_b32_e32 v29, 7, v10
	v_ffbh_u32_e32 v26, v29
	v_min_u32_e32 v31, 32, v26
	v_subrev_u32_e32 v26, 28, v31
	v_lshlrev_b64 v[26:27], v26, v[10:11]
	v_lshrrev_b32_e32 v30, 3, v18
	v_sub_u32_e32 v10, 29, v31
	v_and_b32_e32 v26, 7, v26
	v_cmp_gt_u32_e32 vcc, 8, v18
	v_cndmask_b32_e32 v10, v30, v10, vcc
	v_cndmask_b32_e32 v18, v29, v26, vcc
	v_lshlrev_b32_e32 v26, 16, v11
	v_bfrev_b32_e32 v27, 60
	v_lshlrev_b32_e32 v18, 20, v18
	v_and_b32_e32 v26, 0x80000000, v26
	v_lshl_add_u32 v10, v10, 23, v27
	v_or3_b32 v26, v26, v10, v18
.LBB566_529:
	s_or_b64 exec, exec, s[12:13]
.LBB566_530:
	s_or_b64 exec, exec, s[10:11]
.LBB566_531:
	s_or_b64 exec, exec, s[8:9]
	s_movk_i32 s7, 0xff
	v_and_b32_sdwa v18, v11, s7 dst_sel:DWORD dst_unused:UNUSED_PAD src0_sel:WORD_1 src1_sel:DWORD
	v_lshrrev_b32_e32 v10, 16, v11
	v_cmp_ne_u16_e32 vcc, 0, v18
	s_and_saveexec_b64 s[8:9], vcc
	s_cbranch_execz .LBB566_537
; %bb.532:
	s_movk_i32 s7, 0x80
	v_cmp_ne_u16_e32 vcc, s7, v18
	v_bfrev_b32_e32 v25, 1
	s_and_saveexec_b64 s[10:11], vcc
	s_cbranch_execz .LBB566_536
; %bb.533:
	v_bfe_u32 v18, v11, 16, 7
	s_movk_i32 s7, 0x7f
	v_cmp_ne_u32_e32 vcc, s7, v18
	v_mov_b32_e32 v25, 0x7f800001
	s_and_saveexec_b64 s[12:13], vcc
	s_cbranch_execz .LBB566_535
; %bb.534:
	v_and_b32_e32 v25, 7, v10
	v_ffbh_u32_e32 v29, v25
	v_min_u32_e32 v29, 32, v29
	v_subrev_u32_e32 v30, 28, v29
	v_lshlrev_b64 v[30:31], v30, v[10:11]
	v_sub_u32_e32 v10, 29, v29
	v_and_b32_e32 v29, 7, v30
	v_cmp_gt_u32_e32 vcc, 8, v18
	v_lshrrev_b32_e32 v27, 3, v18
	v_cndmask_b32_e32 v18, v25, v29, vcc
	v_mov_b32_e32 v25, 24
	v_cndmask_b32_e32 v10, v27, v10, vcc
	v_lshlrev_b32_sdwa v25, v25, v11 dst_sel:DWORD dst_unused:UNUSED_PAD src0_sel:DWORD src1_sel:WORD_1
	v_bfrev_b32_e32 v27, 60
	v_lshlrev_b32_e32 v18, 20, v18
	v_and_b32_e32 v25, 0x80000000, v25
	v_lshl_add_u32 v10, v10, 23, v27
	v_or3_b32 v25, v25, v10, v18
.LBB566_535:
	s_or_b64 exec, exec, s[12:13]
.LBB566_536:
	s_or_b64 exec, exec, s[10:11]
.LBB566_537:
	s_or_b64 exec, exec, s[8:9]
	s_mov_b32 s7, 0xffffff
	v_cmp_lt_u32_e32 vcc, s7, v11
	v_mov_b32_e32 v18, 0
	v_mov_b32_e32 v27, 0
	s_and_saveexec_b64 s[8:9], vcc
	s_cbranch_execz .LBB566_543
; %bb.538:
	v_lshrrev_b32_e32 v10, 24, v11
	s_movk_i32 s7, 0x80
	v_cmp_ne_u32_e32 vcc, s7, v10
	v_bfrev_b32_e32 v27, 1
	s_and_saveexec_b64 s[10:11], vcc
	s_cbranch_execz .LBB566_542
; %bb.539:
	v_bfe_u32 v11, v11, 24, 7
	s_movk_i32 s7, 0x7f
	v_cmp_ne_u32_e32 vcc, s7, v11
	v_mov_b32_e32 v27, 0x7f800001
	s_and_saveexec_b64 s[12:13], vcc
	s_cbranch_execz .LBB566_541
; %bb.540:
	v_and_b32_e32 v27, 7, v10
	v_ffbh_u32_e32 v30, v27
	v_min_u32_e32 v32, 32, v30
	v_subrev_u32_e32 v30, 28, v32
	v_lshlrev_b64 v[30:31], v30, v[10:11]
	v_lshrrev_b32_e32 v29, 3, v11
	v_sub_u32_e32 v31, 29, v32
	v_and_b32_e32 v30, 7, v30
	v_cmp_gt_u32_e32 vcc, 8, v11
	v_cndmask_b32_e32 v11, v29, v31, vcc
	v_cndmask_b32_e32 v27, v27, v30, vcc
	v_lshlrev_b32_e32 v10, 24, v10
	v_bfrev_b32_e32 v29, 60
	v_lshlrev_b32_e32 v27, 20, v27
	v_and_b32_e32 v10, 0x80000000, v10
	v_lshl_add_u32 v11, v11, 23, v29
	v_or3_b32 v27, v10, v11, v27
.LBB566_541:
	s_or_b64 exec, exec, s[12:13]
.LBB566_542:
	s_or_b64 exec, exec, s[10:11]
.LBB566_543:
	s_or_b64 exec, exec, s[8:9]
	v_cvt_pkrtz_f16_f32 v10, v24, v20
	v_cvt_pkrtz_f16_f32 v11, v19, v23
	ds_read_b128 v[30:33], v22 offset:2048
	v_cmp_ne_u16_sdwa s[10:11], v12, v18 src0_sel:BYTE_0 src1_sel:DWORD
	s_waitcnt lgkmcnt(0)
	v_mfma_f32_16x16x16f16 v[14:17], v[10:11], v[30:31], v[14:17]
	v_cvt_pkrtz_f16_f32 v10, v21, v26
	v_cvt_pkrtz_f16_f32 v11, v25, v27
	s_nop 1
	v_mfma_f32_16x16x16f16 v[14:17], v[10:11], v[32:33], v[14:17]
	s_and_saveexec_b64 s[8:9], s[10:11]
	s_cbranch_execz .LBB566_549
; %bb.544:
	s_movk_i32 s7, 0x80
	v_cmp_ne_u16_sdwa s[12:13], v12, s7 src0_sel:BYTE_0 src1_sel:DWORD
	v_bfrev_b32_e32 v18, 1
	s_and_saveexec_b64 s[10:11], s[12:13]
	s_cbranch_execz .LBB566_548
; %bb.545:
	s_movk_i32 s7, 0x7f
	v_and_b32_e32 v10, 0x7f, v12
	v_cmp_ne_u32_e32 vcc, s7, v10
	v_mov_b32_e32 v18, 0x7f800001
	s_and_saveexec_b64 s[12:13], vcc
	s_cbranch_execz .LBB566_547
; %bb.546:
	v_and_b32_e32 v11, 7, v12
	v_ffbh_u32_e32 v18, v11
	v_min_u32_e32 v21, 32, v18
	v_subrev_u32_e32 v18, 28, v21
	v_lshlrev_b64 v[18:19], v18, v[12:13]
	v_lshrrev_b32_e32 v20, 3, v10
	v_sub_u32_e32 v19, 29, v21
	v_and_b32_e32 v18, 7, v18
	v_cmp_gt_u32_e32 vcc, 8, v10
	v_cndmask_b32_e32 v10, v20, v19, vcc
	v_cndmask_b32_e32 v11, v11, v18, vcc
	v_lshlrev_b32_e32 v18, 24, v12
	v_bfrev_b32_e32 v19, 60
	v_lshlrev_b32_e32 v11, 20, v11
	v_and_b32_e32 v18, 0x80000000, v18
	v_lshl_add_u32 v10, v10, 23, v19
	v_or3_b32 v18, v18, v10, v11
.LBB566_547:
	s_or_b64 exec, exec, s[12:13]
.LBB566_548:
	s_or_b64 exec, exec, s[10:11]
.LBB566_549:
	s_or_b64 exec, exec, s[8:9]
	v_lshrrev_b16_e32 v10, 8, v12
	v_cmp_ne_u16_e32 vcc, 0, v10
	v_mov_b32_e32 v11, 0
	v_mov_b32_e32 v20, 0
	s_and_saveexec_b64 s[8:9], vcc
	s_cbranch_execz .LBB566_555
; %bb.550:
	s_movk_i32 s7, 0x80
	v_cmp_ne_u16_e32 vcc, s7, v10
	v_bfrev_b32_e32 v20, 1
	s_and_saveexec_b64 s[10:11], vcc
	s_cbranch_execz .LBB566_554
; %bb.551:
	s_movk_i32 s7, 0x7f
	v_and_b32_e32 v19, 0x7f, v10
	v_cmp_ne_u32_e32 vcc, s7, v19
	v_mov_b32_e32 v20, 0x7f800001
	s_and_saveexec_b64 s[12:13], vcc
	s_cbranch_execz .LBB566_553
; %bb.552:
	v_and_b32_e32 v23, 7, v10
	v_ffbh_u32_e32 v20, v23
	v_min_u32_e32 v25, 32, v20
	v_subrev_u32_e32 v20, 28, v25
	v_lshlrev_b64 v[20:21], v20, v[10:11]
	v_lshrrev_b32_e32 v24, 3, v19
	v_sub_u32_e32 v10, 29, v25
	v_and_b32_e32 v20, 7, v20
	v_cmp_gt_u32_e32 vcc, 8, v19
	v_cndmask_b32_e32 v10, v24, v10, vcc
	v_cndmask_b32_e32 v19, v23, v20, vcc
	v_lshlrev_b32_e32 v20, 16, v12
	v_bfrev_b32_e32 v21, 60
	v_lshlrev_b32_e32 v19, 20, v19
	v_and_b32_e32 v20, 0x80000000, v20
	v_lshl_add_u32 v10, v10, 23, v21
	v_or3_b32 v20, v20, v10, v19
.LBB566_553:
	s_or_b64 exec, exec, s[12:13]
.LBB566_554:
	s_or_b64 exec, exec, s[10:11]
.LBB566_555:
	s_or_b64 exec, exec, s[8:9]
	s_movk_i32 s7, 0xff
	v_and_b32_sdwa v19, v12, s7 dst_sel:DWORD dst_unused:UNUSED_PAD src0_sel:WORD_1 src1_sel:DWORD
	v_lshrrev_b32_e32 v10, 16, v12
	v_cmp_ne_u16_e32 vcc, 0, v19
	s_and_saveexec_b64 s[8:9], vcc
	s_cbranch_execz .LBB566_561
; %bb.556:
	s_movk_i32 s7, 0x80
	v_cmp_ne_u16_e32 vcc, s7, v19
	v_bfrev_b32_e32 v11, 1
	s_and_saveexec_b64 s[10:11], vcc
	s_cbranch_execz .LBB566_560
; %bb.557:
	v_bfe_u32 v19, v12, 16, 7
	s_movk_i32 s7, 0x7f
	v_cmp_ne_u32_e32 vcc, s7, v19
	v_mov_b32_e32 v11, 0x7f800001
	s_and_saveexec_b64 s[12:13], vcc
	s_cbranch_execz .LBB566_559
; %bb.558:
	v_and_b32_e32 v21, 7, v10
	v_ffbh_u32_e32 v11, v21
	v_min_u32_e32 v24, 32, v11
	v_subrev_u32_e32 v11, 28, v24
	v_lshlrev_b64 v[10:11], v11, v[10:11]
	v_lshrrev_b32_e32 v23, 3, v19
	v_sub_u32_e32 v11, 29, v24
	v_and_b32_e32 v10, 7, v10
	v_cmp_gt_u32_e32 vcc, 8, v19
	v_mov_b32_e32 v19, 24
	v_cndmask_b32_e32 v11, v23, v11, vcc
	v_cndmask_b32_e32 v10, v21, v10, vcc
	v_lshlrev_b32_sdwa v19, v19, v12 dst_sel:DWORD dst_unused:UNUSED_PAD src0_sel:DWORD src1_sel:WORD_1
	v_bfrev_b32_e32 v21, 60
	v_lshlrev_b32_e32 v10, 20, v10
	v_and_b32_e32 v19, 0x80000000, v19
	v_lshl_add_u32 v11, v11, 23, v21
	v_or3_b32 v11, v19, v11, v10
.LBB566_559:
	s_or_b64 exec, exec, s[12:13]
.LBB566_560:
	s_or_b64 exec, exec, s[10:11]
.LBB566_561:
	s_or_b64 exec, exec, s[8:9]
	s_mov_b32 s7, 0xffffff
	v_cmp_lt_u32_e32 vcc, s7, v12
	v_mov_b32_e32 v21, 0
	v_mov_b32_e32 v23, 0
	s_and_saveexec_b64 s[8:9], vcc
	s_cbranch_execz .LBB566_567
; %bb.562:
	v_lshrrev_b32_e32 v10, 24, v12
	s_movk_i32 s7, 0x80
	v_cmp_ne_u32_e32 vcc, s7, v10
	v_bfrev_b32_e32 v23, 1
	s_and_saveexec_b64 s[10:11], vcc
	s_cbranch_execz .LBB566_566
; %bb.563:
	v_bfe_u32 v12, v12, 24, 7
	s_movk_i32 s7, 0x7f
	v_cmp_ne_u32_e32 vcc, s7, v12
	v_mov_b32_e32 v23, 0x7f800001
	s_and_saveexec_b64 s[12:13], vcc
	s_cbranch_execz .LBB566_565
; %bb.564:
	v_and_b32_e32 v19, 7, v10
	v_ffbh_u32_e32 v24, v19
	v_min_u32_e32 v26, 32, v24
	v_subrev_u32_e32 v24, 28, v26
	v_lshlrev_b64 v[24:25], v24, v[10:11]
	v_lshrrev_b32_e32 v23, 3, v12
	v_sub_u32_e32 v25, 29, v26
	v_and_b32_e32 v24, 7, v24
	v_cmp_gt_u32_e32 vcc, 8, v12
	v_cndmask_b32_e32 v12, v23, v25, vcc
	v_cndmask_b32_e32 v19, v19, v24, vcc
	v_lshlrev_b32_e32 v10, 24, v10
	v_bfrev_b32_e32 v23, 60
	v_lshlrev_b32_e32 v19, 20, v19
	v_and_b32_e32 v10, 0x80000000, v10
	v_lshl_add_u32 v12, v12, 23, v23
	v_or3_b32 v23, v10, v12, v19
.LBB566_565:
	s_or_b64 exec, exec, s[12:13]
.LBB566_566:
	s_or_b64 exec, exec, s[10:11]
.LBB566_567:
	s_or_b64 exec, exec, s[8:9]
	v_cmp_ne_u16_sdwa s[10:11], v13, v21 src0_sel:BYTE_0 src1_sel:DWORD
	s_and_saveexec_b64 s[8:9], s[10:11]
	s_cbranch_execz .LBB566_573
; %bb.568:
	s_movk_i32 s7, 0x80
	v_cmp_ne_u16_sdwa s[12:13], v13, s7 src0_sel:BYTE_0 src1_sel:DWORD
	v_bfrev_b32_e32 v21, 1
	s_and_saveexec_b64 s[10:11], s[12:13]
	s_cbranch_execz .LBB566_572
; %bb.569:
	s_movk_i32 s7, 0x7f
	v_and_b32_e32 v10, 0x7f, v13
	v_cmp_ne_u32_e32 vcc, s7, v10
	v_mov_b32_e32 v21, 0x7f800001
	s_and_saveexec_b64 s[12:13], vcc
	s_cbranch_execz .LBB566_571
; %bb.570:
	v_and_b32_e32 v19, 7, v13
	v_ffbh_u32_e32 v24, v19
	v_min_u32_e32 v26, 32, v24
	v_mov_b32_e32 v12, v13
	v_subrev_u32_e32 v24, 28, v26
	v_lshlrev_b64 v[24:25], v24, v[12:13]
	v_lshrrev_b32_e32 v21, 3, v10
	v_sub_u32_e32 v12, 29, v26
	v_and_b32_e32 v24, 7, v24
	v_cmp_gt_u32_e32 vcc, 8, v10
	v_cndmask_b32_e32 v10, v21, v12, vcc
	v_cndmask_b32_e32 v12, v19, v24, vcc
	v_lshlrev_b32_e32 v19, 24, v13
	v_bfrev_b32_e32 v21, 60
	v_lshlrev_b32_e32 v12, 20, v12
	v_and_b32_e32 v19, 0x80000000, v19
	v_lshl_add_u32 v10, v10, 23, v21
	v_or3_b32 v21, v19, v10, v12
.LBB566_571:
	s_or_b64 exec, exec, s[12:13]
.LBB566_572:
	s_or_b64 exec, exec, s[10:11]
.LBB566_573:
	s_or_b64 exec, exec, s[8:9]
	v_lshrrev_b16_e32 v10, 8, v13
	v_cmp_ne_u16_e32 vcc, 0, v10
	v_mov_b32_e32 v12, 0
	v_mov_b32_e32 v24, 0
	s_and_saveexec_b64 s[8:9], vcc
	s_cbranch_execz .LBB566_579
; %bb.574:
	s_movk_i32 s7, 0x80
	v_cmp_ne_u16_e32 vcc, s7, v10
	v_bfrev_b32_e32 v24, 1
	s_and_saveexec_b64 s[10:11], vcc
	s_cbranch_execz .LBB566_578
; %bb.575:
	s_movk_i32 s7, 0x7f
	v_and_b32_e32 v19, 0x7f, v10
	v_cmp_ne_u32_e32 vcc, s7, v19
	v_mov_b32_e32 v24, 0x7f800001
	s_and_saveexec_b64 s[12:13], vcc
	s_cbranch_execz .LBB566_577
; %bb.576:
	v_and_b32_e32 v26, 7, v10
	v_ffbh_u32_e32 v24, v26
	v_min_u32_e32 v29, 32, v24
	v_subrev_u32_e32 v24, 28, v29
	v_lshlrev_b64 v[24:25], v24, v[10:11]
	v_lshrrev_b32_e32 v27, 3, v19
	v_sub_u32_e32 v10, 29, v29
	v_and_b32_e32 v24, 7, v24
	v_cmp_gt_u32_e32 vcc, 8, v19
	v_cndmask_b32_e32 v10, v27, v10, vcc
	v_cndmask_b32_e32 v19, v26, v24, vcc
	v_lshlrev_b32_e32 v24, 16, v13
	v_bfrev_b32_e32 v25, 60
	v_lshlrev_b32_e32 v19, 20, v19
	v_and_b32_e32 v24, 0x80000000, v24
	v_lshl_add_u32 v10, v10, 23, v25
	v_or3_b32 v24, v24, v10, v19
.LBB566_577:
	s_or_b64 exec, exec, s[12:13]
.LBB566_578:
	s_or_b64 exec, exec, s[10:11]
.LBB566_579:
	s_or_b64 exec, exec, s[8:9]
	s_movk_i32 s7, 0xff
	v_and_b32_sdwa v19, v13, s7 dst_sel:DWORD dst_unused:UNUSED_PAD src0_sel:WORD_1 src1_sel:DWORD
	v_lshrrev_b32_e32 v10, 16, v13
	v_cmp_ne_u16_e32 vcc, 0, v19
	s_and_saveexec_b64 s[8:9], vcc
	s_cbranch_execz .LBB566_585
; %bb.580:
	s_movk_i32 s7, 0x80
	v_cmp_ne_u16_e32 vcc, s7, v19
	v_bfrev_b32_e32 v12, 1
	s_and_saveexec_b64 s[10:11], vcc
	s_cbranch_execz .LBB566_584
; %bb.581:
	v_bfe_u32 v19, v13, 16, 7
	s_movk_i32 s7, 0x7f
	v_cmp_ne_u32_e32 vcc, s7, v19
	v_mov_b32_e32 v12, 0x7f800001
	s_and_saveexec_b64 s[12:13], vcc
	s_cbranch_execz .LBB566_583
; %bb.582:
	v_and_b32_e32 v12, 7, v10
	v_ffbh_u32_e32 v26, v12
	v_min_u32_e32 v29, 32, v26
	v_subrev_u32_e32 v26, 28, v29
	v_lshlrev_b64 v[26:27], v26, v[10:11]
	v_lshrrev_b32_e32 v25, 3, v19
	v_sub_u32_e32 v10, 29, v29
	v_and_b32_e32 v26, 7, v26
	v_cmp_gt_u32_e32 vcc, 8, v19
	v_mov_b32_e32 v19, 24
	v_cndmask_b32_e32 v10, v25, v10, vcc
	v_cndmask_b32_e32 v12, v12, v26, vcc
	v_lshlrev_b32_sdwa v19, v19, v13 dst_sel:DWORD dst_unused:UNUSED_PAD src0_sel:DWORD src1_sel:WORD_1
	v_bfrev_b32_e32 v25, 60
	v_lshlrev_b32_e32 v12, 20, v12
	v_and_b32_e32 v19, 0x80000000, v19
	v_lshl_add_u32 v10, v10, 23, v25
	v_or3_b32 v12, v19, v10, v12
.LBB566_583:
	s_or_b64 exec, exec, s[12:13]
.LBB566_584:
	s_or_b64 exec, exec, s[10:11]
.LBB566_585:
	s_or_b64 exec, exec, s[8:9]
	s_mov_b32 s7, 0xffffff
	v_cmp_lt_u32_e32 vcc, s7, v13
	v_mov_b32_e32 v19, 0
	v_mov_b32_e32 v25, 0
	s_and_saveexec_b64 s[8:9], vcc
	s_cbranch_execz .LBB566_591
; %bb.586:
	v_lshrrev_b32_e32 v10, 24, v13
	s_movk_i32 s7, 0x80
	v_cmp_ne_u32_e32 vcc, s7, v10
	v_bfrev_b32_e32 v25, 1
	s_and_saveexec_b64 s[10:11], vcc
	s_cbranch_execz .LBB566_590
; %bb.587:
	v_bfe_u32 v13, v13, 24, 7
	s_movk_i32 s7, 0x7f
	v_cmp_ne_u32_e32 vcc, s7, v13
	v_mov_b32_e32 v25, 0x7f800001
	s_and_saveexec_b64 s[12:13], vcc
	s_cbranch_execz .LBB566_589
; %bb.588:
	v_and_b32_e32 v25, 7, v10
	v_ffbh_u32_e32 v26, v25
	v_min_u32_e32 v30, 32, v26
	v_subrev_u32_e32 v26, 28, v30
	v_lshlrev_b64 v[26:27], v26, v[10:11]
	v_lshrrev_b32_e32 v29, 3, v13
	v_sub_u32_e32 v27, 29, v30
	v_and_b32_e32 v26, 7, v26
	v_cmp_gt_u32_e32 vcc, 8, v13
	v_cndmask_b32_e32 v13, v29, v27, vcc
	v_cndmask_b32_e32 v25, v25, v26, vcc
	v_lshlrev_b32_e32 v10, 24, v10
	v_bfrev_b32_e32 v26, 60
	v_lshlrev_b32_e32 v25, 20, v25
	v_and_b32_e32 v10, 0x80000000, v10
	v_lshl_add_u32 v13, v13, 23, v26
	v_or3_b32 v25, v10, v13, v25
.LBB566_589:
	s_or_b64 exec, exec, s[12:13]
.LBB566_590:
	s_or_b64 exec, exec, s[10:11]
.LBB566_591:
	s_or_b64 exec, exec, s[8:9]
	v_cvt_pkrtz_f16_f32 v10, v18, v20
	v_cvt_pkrtz_f16_f32 v11, v11, v23
	ds_read_b128 v[30:33], v22 offset:2064
	s_waitcnt vmcnt(1)
	v_cmp_ne_u16_sdwa s[10:11], v6, v19 src0_sel:BYTE_0 src1_sel:DWORD
	s_waitcnt lgkmcnt(0)
	v_mfma_f32_16x16x16f16 v[14:17], v[10:11], v[30:31], v[14:17]
	v_cvt_pkrtz_f16_f32 v10, v21, v24
	v_cvt_pkrtz_f16_f32 v11, v12, v25
	s_nop 1
	v_mfma_f32_16x16x16f16 v[10:13], v[10:11], v[32:33], v[14:17]
	s_and_saveexec_b64 s[8:9], s[10:11]
	s_cbranch_execz .LBB566_597
; %bb.592:
	s_movk_i32 s7, 0x80
	v_cmp_ne_u16_sdwa s[12:13], v6, s7 src0_sel:BYTE_0 src1_sel:DWORD
	v_bfrev_b32_e32 v19, 1
	s_and_saveexec_b64 s[10:11], s[12:13]
	s_cbranch_execz .LBB566_596
; %bb.593:
	s_movk_i32 s7, 0x7f
	v_and_b32_e32 v14, 0x7f, v6
	v_cmp_ne_u32_e32 vcc, s7, v14
	v_mov_b32_e32 v19, 0x7f800001
	s_and_saveexec_b64 s[12:13], vcc
	s_cbranch_execz .LBB566_595
; %bb.594:
	v_and_b32_e32 v15, 7, v6
	v_ffbh_u32_e32 v16, v15
	v_min_u32_e32 v19, 32, v16
	v_subrev_u32_e32 v16, 28, v19
	v_lshlrev_b64 v[16:17], v16, v[6:7]
	v_lshrrev_b32_e32 v18, 3, v14
	v_sub_u32_e32 v17, 29, v19
	v_and_b32_e32 v16, 7, v16
	v_cmp_gt_u32_e32 vcc, 8, v14
	v_cndmask_b32_e32 v14, v18, v17, vcc
	v_cndmask_b32_e32 v15, v15, v16, vcc
	v_lshlrev_b32_e32 v16, 24, v6
	v_bfrev_b32_e32 v17, 60
	v_lshlrev_b32_e32 v15, 20, v15
	v_and_b32_e32 v16, 0x80000000, v16
	v_lshl_add_u32 v14, v14, 23, v17
	v_or3_b32 v19, v16, v14, v15
.LBB566_595:
	s_or_b64 exec, exec, s[12:13]
.LBB566_596:
	s_or_b64 exec, exec, s[10:11]
.LBB566_597:
	s_or_b64 exec, exec, s[8:9]
	s_nop 3
	v_lshrrev_b16_e32 v14, 8, v6
	v_cmp_ne_u16_e32 vcc, 0, v14
	v_mov_b32_e32 v15, 0
	v_mov_b32_e32 v16, 0
	s_and_saveexec_b64 s[8:9], vcc
	s_cbranch_execz .LBB566_603
; %bb.598:
	s_movk_i32 s7, 0x80
	v_cmp_ne_u16_e32 vcc, s7, v14
	v_bfrev_b32_e32 v16, 1
	s_and_saveexec_b64 s[10:11], vcc
	s_cbranch_execz .LBB566_602
; %bb.599:
	s_movk_i32 s7, 0x7f
	v_and_b32_e32 v17, 0x7f, v14
	v_cmp_ne_u32_e32 vcc, s7, v17
	v_mov_b32_e32 v16, 0x7f800001
	s_and_saveexec_b64 s[12:13], vcc
	s_cbranch_execz .LBB566_601
; %bb.600:
	v_and_b32_e32 v16, 7, v14
	v_ffbh_u32_e32 v20, v16
	v_min_u32_e32 v23, 32, v20
	v_subrev_u32_e32 v20, 28, v23
	v_lshlrev_b64 v[20:21], v20, v[14:15]
	v_lshrrev_b32_e32 v18, 3, v17
	v_sub_u32_e32 v14, 29, v23
	v_and_b32_e32 v20, 7, v20
	v_cmp_gt_u32_e32 vcc, 8, v17
	v_cndmask_b32_e32 v14, v18, v14, vcc
	v_cndmask_b32_e32 v16, v16, v20, vcc
	v_lshlrev_b32_e32 v17, 16, v6
	v_bfrev_b32_e32 v18, 60
	v_lshlrev_b32_e32 v16, 20, v16
	v_and_b32_e32 v17, 0x80000000, v17
	v_lshl_add_u32 v14, v14, 23, v18
	v_or3_b32 v16, v17, v14, v16
.LBB566_601:
	s_or_b64 exec, exec, s[12:13]
.LBB566_602:
	s_or_b64 exec, exec, s[10:11]
.LBB566_603:
	s_or_b64 exec, exec, s[8:9]
	s_movk_i32 s7, 0xff
	v_and_b32_sdwa v17, v6, s7 dst_sel:DWORD dst_unused:UNUSED_PAD src0_sel:WORD_1 src1_sel:DWORD
	v_lshrrev_b32_e32 v14, 16, v6
	v_cmp_ne_u16_e32 vcc, 0, v17
	s_and_saveexec_b64 s[8:9], vcc
	s_cbranch_execz .LBB566_609
; %bb.604:
	s_movk_i32 s7, 0x80
	v_cmp_ne_u16_e32 vcc, s7, v17
	v_bfrev_b32_e32 v15, 1
	s_and_saveexec_b64 s[10:11], vcc
	s_cbranch_execz .LBB566_608
; %bb.605:
	v_bfe_u32 v17, v6, 16, 7
	s_movk_i32 s7, 0x7f
	v_cmp_ne_u32_e32 vcc, s7, v17
	v_mov_b32_e32 v15, 0x7f800001
	s_and_saveexec_b64 s[12:13], vcc
	s_cbranch_execz .LBB566_607
; %bb.606:
	v_and_b32_e32 v18, 7, v14
	v_ffbh_u32_e32 v15, v18
	v_min_u32_e32 v21, 32, v15
	v_subrev_u32_e32 v15, 28, v21
	v_lshlrev_b64 v[14:15], v15, v[14:15]
	v_lshrrev_b32_e32 v20, 3, v17
	v_sub_u32_e32 v15, 29, v21
	v_and_b32_e32 v14, 7, v14
	v_cmp_gt_u32_e32 vcc, 8, v17
	v_mov_b32_e32 v17, 24
	v_cndmask_b32_e32 v15, v20, v15, vcc
	v_cndmask_b32_e32 v14, v18, v14, vcc
	v_lshlrev_b32_sdwa v17, v17, v6 dst_sel:DWORD dst_unused:UNUSED_PAD src0_sel:DWORD src1_sel:WORD_1
	v_bfrev_b32_e32 v18, 60
	v_lshlrev_b32_e32 v14, 20, v14
	v_and_b32_e32 v17, 0x80000000, v17
	v_lshl_add_u32 v15, v15, 23, v18
	v_or3_b32 v15, v17, v15, v14
.LBB566_607:
	s_or_b64 exec, exec, s[12:13]
.LBB566_608:
	s_or_b64 exec, exec, s[10:11]
.LBB566_609:
	s_or_b64 exec, exec, s[8:9]
	s_mov_b32 s7, 0xffffff
	v_cmp_lt_u32_e32 vcc, s7, v6
	v_mov_b32_e32 v17, 0
	v_mov_b32_e32 v18, 0
	s_and_saveexec_b64 s[8:9], vcc
	s_cbranch_execz .LBB566_615
; %bb.610:
	v_lshrrev_b32_e32 v14, 24, v6
	s_movk_i32 s7, 0x80
	v_cmp_ne_u32_e32 vcc, s7, v14
	v_bfrev_b32_e32 v18, 1
	s_and_saveexec_b64 s[10:11], vcc
	s_cbranch_execz .LBB566_614
; %bb.611:
	v_bfe_u32 v6, v6, 24, 7
	s_movk_i32 s7, 0x7f
	v_cmp_ne_u32_e32 vcc, s7, v6
	v_mov_b32_e32 v18, 0x7f800001
	s_and_saveexec_b64 s[12:13], vcc
	s_cbranch_execz .LBB566_613
; %bb.612:
	v_and_b32_e32 v18, 7, v14
	v_ffbh_u32_e32 v20, v18
	v_min_u32_e32 v24, 32, v20
	v_subrev_u32_e32 v20, 28, v24
	v_lshlrev_b64 v[20:21], v20, v[14:15]
	v_lshrrev_b32_e32 v23, 3, v6
	v_sub_u32_e32 v21, 29, v24
	v_and_b32_e32 v20, 7, v20
	v_cmp_gt_u32_e32 vcc, 8, v6
	v_cndmask_b32_e32 v6, v23, v21, vcc
	v_cndmask_b32_e32 v18, v18, v20, vcc
	v_lshlrev_b32_e32 v14, 24, v14
	v_bfrev_b32_e32 v20, 60
	v_lshlrev_b32_e32 v18, 20, v18
	v_and_b32_e32 v14, 0x80000000, v14
	v_lshl_add_u32 v6, v6, 23, v20
	v_or3_b32 v18, v14, v6, v18
.LBB566_613:
	s_or_b64 exec, exec, s[12:13]
.LBB566_614:
	s_or_b64 exec, exec, s[10:11]
.LBB566_615:
	s_or_b64 exec, exec, s[8:9]
	v_cmp_ne_u16_sdwa s[10:11], v7, v17 src0_sel:BYTE_0 src1_sel:DWORD
	s_and_saveexec_b64 s[8:9], s[10:11]
	s_cbranch_execz .LBB566_621
; %bb.616:
	s_movk_i32 s7, 0x80
	v_cmp_ne_u16_sdwa s[12:13], v7, s7 src0_sel:BYTE_0 src1_sel:DWORD
	v_bfrev_b32_e32 v17, 1
	s_and_saveexec_b64 s[10:11], s[12:13]
	s_cbranch_execz .LBB566_620
; %bb.617:
	s_movk_i32 s7, 0x7f
	v_and_b32_e32 v6, 0x7f, v7
	v_cmp_ne_u32_e32 vcc, s7, v6
	v_mov_b32_e32 v17, 0x7f800001
	s_and_saveexec_b64 s[12:13], vcc
	s_cbranch_execz .LBB566_619
; %bb.618:
	v_and_b32_e32 v17, 7, v7
	v_ffbh_u32_e32 v20, v17
	v_min_u32_e32 v24, 32, v20
	v_mov_b32_e32 v14, v7
	v_subrev_u32_e32 v20, 28, v24
	v_lshlrev_b64 v[20:21], v20, v[14:15]
	v_lshrrev_b32_e32 v23, 3, v6
	v_sub_u32_e32 v14, 29, v24
	v_and_b32_e32 v20, 7, v20
	v_cmp_gt_u32_e32 vcc, 8, v6
	v_cndmask_b32_e32 v6, v23, v14, vcc
	v_cndmask_b32_e32 v14, v17, v20, vcc
	v_lshlrev_b32_e32 v17, 24, v7
	v_bfrev_b32_e32 v20, 60
	v_lshlrev_b32_e32 v14, 20, v14
	v_and_b32_e32 v17, 0x80000000, v17
	v_lshl_add_u32 v6, v6, 23, v20
	v_or3_b32 v17, v17, v6, v14
.LBB566_619:
	s_or_b64 exec, exec, s[12:13]
.LBB566_620:
	s_or_b64 exec, exec, s[10:11]
.LBB566_621:
	s_or_b64 exec, exec, s[8:9]
	v_lshrrev_b16_e32 v6, 8, v7
	v_cmp_ne_u16_e32 vcc, 0, v6
	v_mov_b32_e32 v20, 0
	v_mov_b32_e32 v21, 0
	s_and_saveexec_b64 s[8:9], vcc
	s_cbranch_execz .LBB566_627
; %bb.622:
	s_movk_i32 s7, 0x80
	v_cmp_ne_u16_e32 vcc, s7, v6
	v_bfrev_b32_e32 v21, 1
	s_and_saveexec_b64 s[10:11], vcc
	s_cbranch_execz .LBB566_626
; %bb.623:
	s_movk_i32 s7, 0x7f
	v_and_b32_e32 v14, 0x7f, v6
	v_cmp_ne_u32_e32 vcc, s7, v14
	v_mov_b32_e32 v21, 0x7f800001
	s_and_saveexec_b64 s[12:13], vcc
	s_cbranch_execz .LBB566_625
; %bb.624:
	v_and_b32_e32 v21, 7, v6
	v_ffbh_u32_e32 v24, v21
	v_min_u32_e32 v26, 32, v24
	v_subrev_u32_e32 v24, 28, v26
	v_lshlrev_b64 v[24:25], v24, v[6:7]
	v_lshrrev_b32_e32 v23, 3, v14
	v_sub_u32_e32 v6, 29, v26
	v_and_b32_e32 v24, 7, v24
	v_cmp_gt_u32_e32 vcc, 8, v14
	v_cndmask_b32_e32 v6, v23, v6, vcc
	v_cndmask_b32_e32 v14, v21, v24, vcc
	v_lshlrev_b32_e32 v21, 16, v7
	v_bfrev_b32_e32 v23, 60
	v_lshlrev_b32_e32 v14, 20, v14
	v_and_b32_e32 v21, 0x80000000, v21
	v_lshl_add_u32 v6, v6, 23, v23
	v_or3_b32 v21, v21, v6, v14
.LBB566_625:
	s_or_b64 exec, exec, s[12:13]
.LBB566_626:
	s_or_b64 exec, exec, s[10:11]
.LBB566_627:
	s_or_b64 exec, exec, s[8:9]
	s_movk_i32 s7, 0xff
	v_and_b32_sdwa v14, v7, s7 dst_sel:DWORD dst_unused:UNUSED_PAD src0_sel:WORD_1 src1_sel:DWORD
	v_lshrrev_b32_e32 v6, 16, v7
	v_cmp_ne_u16_e32 vcc, 0, v14
	s_and_saveexec_b64 s[8:9], vcc
	s_cbranch_execz .LBB566_633
; %bb.628:
	s_movk_i32 s7, 0x80
	v_cmp_ne_u16_e32 vcc, s7, v14
	v_bfrev_b32_e32 v20, 1
	s_and_saveexec_b64 s[10:11], vcc
	s_cbranch_execz .LBB566_632
; %bb.629:
	v_bfe_u32 v14, v7, 16, 7
	s_movk_i32 s7, 0x7f
	v_cmp_ne_u32_e32 vcc, s7, v14
	v_mov_b32_e32 v20, 0x7f800001
	s_and_saveexec_b64 s[12:13], vcc
	s_cbranch_execz .LBB566_631
; %bb.630:
	v_and_b32_e32 v20, 7, v6
	v_ffbh_u32_e32 v24, v20
	v_min_u32_e32 v26, 32, v24
	v_subrev_u32_e32 v24, 28, v26
	v_lshlrev_b64 v[24:25], v24, v[6:7]
	v_and_b32_e32 v24, 7, v24
	v_cmp_gt_u32_e32 vcc, 8, v14
	v_lshrrev_b32_e32 v23, 3, v14
	v_sub_u32_e32 v6, 29, v26
	v_cndmask_b32_e32 v14, v20, v24, vcc
	v_mov_b32_e32 v20, 24
	v_cndmask_b32_e32 v6, v23, v6, vcc
	v_lshlrev_b32_sdwa v20, v20, v7 dst_sel:DWORD dst_unused:UNUSED_PAD src0_sel:DWORD src1_sel:WORD_1
	v_bfrev_b32_e32 v23, 60
	v_lshlrev_b32_e32 v14, 20, v14
	v_and_b32_e32 v20, 0x80000000, v20
	v_lshl_add_u32 v6, v6, 23, v23
	v_or3_b32 v20, v20, v6, v14
.LBB566_631:
	s_or_b64 exec, exec, s[12:13]
.LBB566_632:
	s_or_b64 exec, exec, s[10:11]
.LBB566_633:
	s_or_b64 exec, exec, s[8:9]
	s_mov_b32 s7, 0xffffff
	v_cmp_lt_u32_e32 vcc, s7, v7
	v_mov_b32_e32 v14, 0
	v_mov_b32_e32 v23, 0
	s_and_saveexec_b64 s[8:9], vcc
	s_cbranch_execz .LBB566_639
; %bb.634:
	v_lshrrev_b32_e32 v6, 24, v7
	s_movk_i32 s7, 0x80
	v_cmp_ne_u32_e32 vcc, s7, v6
	v_bfrev_b32_e32 v23, 1
	s_and_saveexec_b64 s[10:11], vcc
	s_cbranch_execz .LBB566_638
; %bb.635:
	v_bfe_u32 v7, v7, 24, 7
	s_movk_i32 s7, 0x7f
	v_cmp_ne_u32_e32 vcc, s7, v7
	v_mov_b32_e32 v23, 0x7f800001
	s_and_saveexec_b64 s[12:13], vcc
	s_cbranch_execz .LBB566_637
; %bb.636:
	v_and_b32_e32 v23, 7, v6
	v_ffbh_u32_e32 v24, v23
	v_min_u32_e32 v27, 32, v24
	v_subrev_u32_e32 v24, 28, v27
	v_lshlrev_b64 v[24:25], v24, v[6:7]
	v_lshrrev_b32_e32 v26, 3, v7
	v_sub_u32_e32 v25, 29, v27
	v_and_b32_e32 v24, 7, v24
	v_cmp_gt_u32_e32 vcc, 8, v7
	v_cndmask_b32_e32 v7, v26, v25, vcc
	v_cndmask_b32_e32 v23, v23, v24, vcc
	v_lshlrev_b32_e32 v6, 24, v6
	v_bfrev_b32_e32 v24, 60
	v_lshlrev_b32_e32 v23, 20, v23
	v_and_b32_e32 v6, 0x80000000, v6
	v_lshl_add_u32 v7, v7, 23, v24
	v_or3_b32 v23, v6, v7, v23
.LBB566_637:
	s_or_b64 exec, exec, s[12:13]
.LBB566_638:
	s_or_b64 exec, exec, s[10:11]
.LBB566_639:
	s_or_b64 exec, exec, s[8:9]
	v_cvt_pkrtz_f16_f32 v6, v19, v16
	v_cvt_pkrtz_f16_f32 v7, v15, v18
	ds_read_b128 v[24:27], v22 offset:4096
	v_cmp_ne_u16_sdwa s[10:11], v8, v14 src0_sel:BYTE_0 src1_sel:DWORD
	s_waitcnt lgkmcnt(0)
	v_mfma_f32_16x16x16f16 v[10:13], v[6:7], v[24:25], v[10:13]
	v_cvt_pkrtz_f16_f32 v6, v17, v21
	v_cvt_pkrtz_f16_f32 v7, v20, v23
	s_nop 1
	v_mfma_f32_16x16x16f16 v[10:13], v[6:7], v[26:27], v[10:13]
	s_and_saveexec_b64 s[8:9], s[10:11]
	s_cbranch_execz .LBB566_645
; %bb.640:
	s_movk_i32 s7, 0x80
	v_cmp_ne_u16_sdwa s[12:13], v8, s7 src0_sel:BYTE_0 src1_sel:DWORD
	v_bfrev_b32_e32 v14, 1
	s_and_saveexec_b64 s[10:11], s[12:13]
	s_cbranch_execz .LBB566_644
; %bb.641:
	s_movk_i32 s7, 0x7f
	v_and_b32_e32 v6, 0x7f, v8
	v_cmp_ne_u32_e32 vcc, s7, v6
	v_mov_b32_e32 v14, 0x7f800001
	s_and_saveexec_b64 s[12:13], vcc
	s_cbranch_execz .LBB566_643
; %bb.642:
	v_and_b32_e32 v7, 7, v8
	v_ffbh_u32_e32 v14, v7
	v_min_u32_e32 v17, 32, v14
	v_subrev_u32_e32 v14, 28, v17
	v_lshlrev_b64 v[14:15], v14, v[8:9]
	v_lshrrev_b32_e32 v16, 3, v6
	v_sub_u32_e32 v15, 29, v17
	v_and_b32_e32 v14, 7, v14
	v_cmp_gt_u32_e32 vcc, 8, v6
	v_cndmask_b32_e32 v6, v16, v15, vcc
	v_cndmask_b32_e32 v7, v7, v14, vcc
	v_lshlrev_b32_e32 v14, 24, v8
	v_bfrev_b32_e32 v15, 60
	v_lshlrev_b32_e32 v7, 20, v7
	v_and_b32_e32 v14, 0x80000000, v14
	v_lshl_add_u32 v6, v6, 23, v15
	v_or3_b32 v14, v14, v6, v7
.LBB566_643:
	s_or_b64 exec, exec, s[12:13]
.LBB566_644:
	s_or_b64 exec, exec, s[10:11]
.LBB566_645:
	s_or_b64 exec, exec, s[8:9]
	v_lshrrev_b16_e32 v6, 8, v8
	v_cmp_ne_u16_e32 vcc, 0, v6
	v_mov_b32_e32 v7, 0
	v_mov_b32_e32 v16, 0
	s_and_saveexec_b64 s[8:9], vcc
	s_cbranch_execz .LBB566_651
; %bb.646:
	s_movk_i32 s7, 0x80
	v_cmp_ne_u16_e32 vcc, s7, v6
	v_bfrev_b32_e32 v16, 1
	s_and_saveexec_b64 s[10:11], vcc
	s_cbranch_execz .LBB566_650
; %bb.647:
	s_movk_i32 s7, 0x7f
	v_and_b32_e32 v15, 0x7f, v6
	v_cmp_ne_u32_e32 vcc, s7, v15
	v_mov_b32_e32 v16, 0x7f800001
	s_and_saveexec_b64 s[12:13], vcc
	s_cbranch_execz .LBB566_649
; %bb.648:
	v_and_b32_e32 v18, 7, v6
	v_ffbh_u32_e32 v16, v18
	v_min_u32_e32 v20, 32, v16
	v_subrev_u32_e32 v16, 28, v20
	v_lshlrev_b64 v[16:17], v16, v[6:7]
	v_lshrrev_b32_e32 v19, 3, v15
	v_sub_u32_e32 v6, 29, v20
	v_and_b32_e32 v16, 7, v16
	v_cmp_gt_u32_e32 vcc, 8, v15
	v_cndmask_b32_e32 v6, v19, v6, vcc
	v_cndmask_b32_e32 v15, v18, v16, vcc
	v_lshlrev_b32_e32 v16, 16, v8
	v_bfrev_b32_e32 v17, 60
	v_lshlrev_b32_e32 v15, 20, v15
	v_and_b32_e32 v16, 0x80000000, v16
	v_lshl_add_u32 v6, v6, 23, v17
	v_or3_b32 v16, v16, v6, v15
.LBB566_649:
	s_or_b64 exec, exec, s[12:13]
.LBB566_650:
	s_or_b64 exec, exec, s[10:11]
.LBB566_651:
	s_or_b64 exec, exec, s[8:9]
	s_movk_i32 s7, 0xff
	v_and_b32_sdwa v15, v8, s7 dst_sel:DWORD dst_unused:UNUSED_PAD src0_sel:WORD_1 src1_sel:DWORD
	v_lshrrev_b32_e32 v6, 16, v8
	v_cmp_ne_u16_e32 vcc, 0, v15
	s_and_saveexec_b64 s[8:9], vcc
	s_cbranch_execz .LBB566_657
; %bb.652:
	s_movk_i32 s7, 0x80
	v_cmp_ne_u16_e32 vcc, s7, v15
	v_bfrev_b32_e32 v7, 1
	s_and_saveexec_b64 s[10:11], vcc
	s_cbranch_execz .LBB566_656
; %bb.653:
	v_bfe_u32 v15, v8, 16, 7
	s_movk_i32 s7, 0x7f
	v_cmp_ne_u32_e32 vcc, s7, v15
	v_mov_b32_e32 v7, 0x7f800001
	s_and_saveexec_b64 s[12:13], vcc
	s_cbranch_execz .LBB566_655
; %bb.654:
	v_and_b32_e32 v17, 7, v6
	v_ffbh_u32_e32 v7, v17
	v_min_u32_e32 v19, 32, v7
	v_subrev_u32_e32 v7, 28, v19
	v_lshlrev_b64 v[6:7], v7, v[6:7]
	v_lshrrev_b32_e32 v18, 3, v15
	v_sub_u32_e32 v7, 29, v19
	v_and_b32_e32 v6, 7, v6
	v_cmp_gt_u32_e32 vcc, 8, v15
	v_mov_b32_e32 v15, 24
	v_cndmask_b32_e32 v7, v18, v7, vcc
	v_cndmask_b32_e32 v6, v17, v6, vcc
	v_lshlrev_b32_sdwa v15, v15, v8 dst_sel:DWORD dst_unused:UNUSED_PAD src0_sel:DWORD src1_sel:WORD_1
	v_bfrev_b32_e32 v17, 60
	v_lshlrev_b32_e32 v6, 20, v6
	v_and_b32_e32 v15, 0x80000000, v15
	v_lshl_add_u32 v7, v7, 23, v17
	v_or3_b32 v7, v15, v7, v6
.LBB566_655:
	s_or_b64 exec, exec, s[12:13]
.LBB566_656:
	s_or_b64 exec, exec, s[10:11]
.LBB566_657:
	s_or_b64 exec, exec, s[8:9]
	s_mov_b32 s7, 0xffffff
	v_cmp_lt_u32_e32 vcc, s7, v8
	v_mov_b32_e32 v17, 0
	v_mov_b32_e32 v18, 0
	s_and_saveexec_b64 s[8:9], vcc
	s_cbranch_execz .LBB566_663
; %bb.658:
	v_lshrrev_b32_e32 v6, 24, v8
	s_movk_i32 s7, 0x80
	v_cmp_ne_u32_e32 vcc, s7, v6
	v_bfrev_b32_e32 v18, 1
	s_and_saveexec_b64 s[10:11], vcc
	s_cbranch_execz .LBB566_662
; %bb.659:
	v_bfe_u32 v8, v8, 24, 7
	s_movk_i32 s7, 0x7f
	v_cmp_ne_u32_e32 vcc, s7, v8
	v_mov_b32_e32 v18, 0x7f800001
	s_and_saveexec_b64 s[12:13], vcc
	s_cbranch_execz .LBB566_661
; %bb.660:
	v_and_b32_e32 v15, 7, v6
	v_ffbh_u32_e32 v18, v15
	v_min_u32_e32 v21, 32, v18
	v_subrev_u32_e32 v18, 28, v21
	v_lshlrev_b64 v[18:19], v18, v[6:7]
	v_lshrrev_b32_e32 v20, 3, v8
	v_sub_u32_e32 v19, 29, v21
	v_and_b32_e32 v18, 7, v18
	v_cmp_gt_u32_e32 vcc, 8, v8
	v_cndmask_b32_e32 v8, v20, v19, vcc
	v_cndmask_b32_e32 v15, v15, v18, vcc
	v_lshlrev_b32_e32 v6, 24, v6
	v_bfrev_b32_e32 v18, 60
	v_lshlrev_b32_e32 v15, 20, v15
	v_and_b32_e32 v6, 0x80000000, v6
	v_lshl_add_u32 v8, v8, 23, v18
	v_or3_b32 v18, v6, v8, v15
.LBB566_661:
	s_or_b64 exec, exec, s[12:13]
.LBB566_662:
	s_or_b64 exec, exec, s[10:11]
.LBB566_663:
	s_or_b64 exec, exec, s[8:9]
	v_cmp_ne_u16_sdwa s[10:11], v9, v17 src0_sel:BYTE_0 src1_sel:DWORD
	s_and_saveexec_b64 s[8:9], s[10:11]
	s_cbranch_execz .LBB566_669
; %bb.664:
	s_movk_i32 s7, 0x80
	v_cmp_ne_u16_sdwa s[12:13], v9, s7 src0_sel:BYTE_0 src1_sel:DWORD
	v_bfrev_b32_e32 v17, 1
	s_and_saveexec_b64 s[10:11], s[12:13]
	s_cbranch_execz .LBB566_668
; %bb.665:
	s_movk_i32 s7, 0x7f
	v_and_b32_e32 v6, 0x7f, v9
	v_cmp_ne_u32_e32 vcc, s7, v6
	v_mov_b32_e32 v17, 0x7f800001
	s_and_saveexec_b64 s[12:13], vcc
	s_cbranch_execz .LBB566_667
; %bb.666:
	v_and_b32_e32 v15, 7, v9
	v_ffbh_u32_e32 v19, v15
	v_min_u32_e32 v19, 32, v19
	v_mov_b32_e32 v8, v9
	v_subrev_u32_e32 v20, 28, v19
	v_lshlrev_b64 v[20:21], v20, v[8:9]
	v_lshrrev_b32_e32 v17, 3, v6
	v_sub_u32_e32 v8, 29, v19
	v_and_b32_e32 v19, 7, v20
	v_cmp_gt_u32_e32 vcc, 8, v6
	v_cndmask_b32_e32 v6, v17, v8, vcc
	v_cndmask_b32_e32 v8, v15, v19, vcc
	v_lshlrev_b32_e32 v15, 24, v9
	v_bfrev_b32_e32 v17, 60
	v_lshlrev_b32_e32 v8, 20, v8
	v_and_b32_e32 v15, 0x80000000, v15
	v_lshl_add_u32 v6, v6, 23, v17
	v_or3_b32 v17, v15, v6, v8
.LBB566_667:
	s_or_b64 exec, exec, s[12:13]
.LBB566_668:
	s_or_b64 exec, exec, s[10:11]
.LBB566_669:
	s_or_b64 exec, exec, s[8:9]
	v_lshrrev_b16_e32 v6, 8, v9
	v_cmp_ne_u16_e32 vcc, 0, v6
	v_mov_b32_e32 v8, 0
	v_mov_b32_e32 v19, 0
	s_and_saveexec_b64 s[8:9], vcc
	s_cbranch_execz .LBB566_675
; %bb.670:
	s_movk_i32 s7, 0x80
	v_cmp_ne_u16_e32 vcc, s7, v6
	v_bfrev_b32_e32 v19, 1
	s_and_saveexec_b64 s[10:11], vcc
	s_cbranch_execz .LBB566_674
; %bb.671:
	s_movk_i32 s7, 0x7f
	v_and_b32_e32 v15, 0x7f, v6
	v_cmp_ne_u32_e32 vcc, s7, v15
	v_mov_b32_e32 v19, 0x7f800001
	s_and_saveexec_b64 s[12:13], vcc
	s_cbranch_execz .LBB566_673
; %bb.672:
	v_and_b32_e32 v19, 7, v6
	v_ffbh_u32_e32 v20, v19
	v_min_u32_e32 v24, 32, v20
	v_subrev_u32_e32 v20, 28, v24
	v_lshlrev_b64 v[20:21], v20, v[6:7]
	v_lshrrev_b32_e32 v23, 3, v15
	v_sub_u32_e32 v6, 29, v24
	v_and_b32_e32 v20, 7, v20
	v_cmp_gt_u32_e32 vcc, 8, v15
	v_cndmask_b32_e32 v6, v23, v6, vcc
	v_cndmask_b32_e32 v15, v19, v20, vcc
	v_lshlrev_b32_e32 v19, 16, v9
	v_bfrev_b32_e32 v20, 60
	v_lshlrev_b32_e32 v15, 20, v15
	v_and_b32_e32 v19, 0x80000000, v19
	v_lshl_add_u32 v6, v6, 23, v20
	v_or3_b32 v19, v19, v6, v15
.LBB566_673:
	s_or_b64 exec, exec, s[12:13]
.LBB566_674:
	s_or_b64 exec, exec, s[10:11]
.LBB566_675:
	s_or_b64 exec, exec, s[8:9]
	s_movk_i32 s7, 0xff
	v_and_b32_sdwa v15, v9, s7 dst_sel:DWORD dst_unused:UNUSED_PAD src0_sel:WORD_1 src1_sel:DWORD
	v_lshrrev_b32_e32 v6, 16, v9
	v_cmp_ne_u16_e32 vcc, 0, v15
	s_and_saveexec_b64 s[8:9], vcc
	s_cbranch_execz .LBB566_681
; %bb.676:
	s_movk_i32 s7, 0x80
	v_cmp_ne_u16_e32 vcc, s7, v15
	v_bfrev_b32_e32 v8, 1
	s_and_saveexec_b64 s[10:11], vcc
	s_cbranch_execz .LBB566_680
; %bb.677:
	v_bfe_u32 v15, v9, 16, 7
	s_movk_i32 s7, 0x7f
	v_cmp_ne_u32_e32 vcc, s7, v15
	v_mov_b32_e32 v8, 0x7f800001
	s_and_saveexec_b64 s[12:13], vcc
	s_cbranch_execz .LBB566_679
; %bb.678:
	v_and_b32_e32 v8, 7, v6
	v_ffbh_u32_e32 v20, v8
	v_min_u32_e32 v24, 32, v20
	v_subrev_u32_e32 v20, 28, v24
	v_lshlrev_b64 v[20:21], v20, v[6:7]
	v_lshrrev_b32_e32 v23, 3, v15
	v_sub_u32_e32 v6, 29, v24
	v_and_b32_e32 v20, 7, v20
	v_cmp_gt_u32_e32 vcc, 8, v15
	v_mov_b32_e32 v15, 24
	v_cndmask_b32_e32 v6, v23, v6, vcc
	v_cndmask_b32_e32 v8, v8, v20, vcc
	v_lshlrev_b32_sdwa v15, v15, v9 dst_sel:DWORD dst_unused:UNUSED_PAD src0_sel:DWORD src1_sel:WORD_1
	v_bfrev_b32_e32 v20, 60
	v_lshlrev_b32_e32 v8, 20, v8
	v_and_b32_e32 v15, 0x80000000, v15
	v_lshl_add_u32 v6, v6, 23, v20
	v_or3_b32 v8, v15, v6, v8
.LBB566_679:
	s_or_b64 exec, exec, s[12:13]
.LBB566_680:
	s_or_b64 exec, exec, s[10:11]
.LBB566_681:
	s_or_b64 exec, exec, s[8:9]
	s_mov_b32 s7, 0xffffff
	v_cmp_lt_u32_e32 vcc, s7, v9
	v_mov_b32_e32 v15, 0
	v_mov_b32_e32 v20, 0
	s_and_saveexec_b64 s[8:9], vcc
	s_cbranch_execz .LBB566_687
; %bb.682:
	v_lshrrev_b32_e32 v6, 24, v9
	s_movk_i32 s7, 0x80
	v_cmp_ne_u32_e32 vcc, s7, v6
	v_bfrev_b32_e32 v20, 1
	s_and_saveexec_b64 s[10:11], vcc
	s_cbranch_execz .LBB566_686
; %bb.683:
	v_bfe_u32 v9, v9, 24, 7
	s_movk_i32 s7, 0x7f
	v_cmp_ne_u32_e32 vcc, s7, v9
	v_mov_b32_e32 v20, 0x7f800001
	s_and_saveexec_b64 s[12:13], vcc
	s_cbranch_execz .LBB566_685
; %bb.684:
	v_and_b32_e32 v23, 7, v6
	v_ffbh_u32_e32 v20, v23
	v_min_u32_e32 v25, 32, v20
	v_subrev_u32_e32 v20, 28, v25
	v_lshlrev_b64 v[20:21], v20, v[6:7]
	v_lshrrev_b32_e32 v24, 3, v9
	v_sub_u32_e32 v21, 29, v25
	v_and_b32_e32 v20, 7, v20
	v_cmp_gt_u32_e32 vcc, 8, v9
	v_cndmask_b32_e32 v9, v24, v21, vcc
	v_cndmask_b32_e32 v20, v23, v20, vcc
	v_lshlrev_b32_e32 v6, 24, v6
	v_bfrev_b32_e32 v21, 60
	v_lshlrev_b32_e32 v20, 20, v20
	v_and_b32_e32 v6, 0x80000000, v6
	v_lshl_add_u32 v9, v9, 23, v21
	v_or3_b32 v20, v6, v9, v20
.LBB566_685:
	s_or_b64 exec, exec, s[12:13]
.LBB566_686:
	s_or_b64 exec, exec, s[10:11]
.LBB566_687:
	s_or_b64 exec, exec, s[8:9]
	v_cvt_pkrtz_f16_f32 v6, v14, v16
	v_cvt_pkrtz_f16_f32 v7, v7, v18
	ds_read_b128 v[24:27], v22 offset:4112
	s_waitcnt vmcnt(0)
	v_cmp_ne_u16_sdwa s[10:11], v2, v15 src0_sel:BYTE_0 src1_sel:DWORD
	s_waitcnt lgkmcnt(0)
	v_mfma_f32_16x16x16f16 v[10:13], v[6:7], v[24:25], v[10:13]
	v_cvt_pkrtz_f16_f32 v6, v17, v19
	v_cvt_pkrtz_f16_f32 v7, v8, v20
	s_nop 1
	v_mfma_f32_16x16x16f16 v[6:9], v[6:7], v[26:27], v[10:13]
	s_and_saveexec_b64 s[8:9], s[10:11]
	s_cbranch_execz .LBB566_693
; %bb.688:
	s_movk_i32 s7, 0x80
	v_cmp_ne_u16_sdwa s[12:13], v2, s7 src0_sel:BYTE_0 src1_sel:DWORD
	v_bfrev_b32_e32 v15, 1
	s_and_saveexec_b64 s[10:11], s[12:13]
	s_cbranch_execz .LBB566_692
; %bb.689:
	s_movk_i32 s7, 0x7f
	v_and_b32_e32 v10, 0x7f, v2
	v_cmp_ne_u32_e32 vcc, s7, v10
	v_mov_b32_e32 v15, 0x7f800001
	s_and_saveexec_b64 s[12:13], vcc
	s_cbranch_execz .LBB566_691
; %bb.690:
	v_and_b32_e32 v11, 7, v2
	v_ffbh_u32_e32 v12, v11
	v_min_u32_e32 v15, 32, v12
	v_subrev_u32_e32 v12, 28, v15
	v_lshlrev_b64 v[12:13], v12, v[2:3]
	v_lshrrev_b32_e32 v14, 3, v10
	v_sub_u32_e32 v13, 29, v15
	v_and_b32_e32 v12, 7, v12
	v_cmp_gt_u32_e32 vcc, 8, v10
	v_cndmask_b32_e32 v10, v14, v13, vcc
	v_cndmask_b32_e32 v11, v11, v12, vcc
	v_lshlrev_b32_e32 v12, 24, v2
	v_bfrev_b32_e32 v13, 60
	v_lshlrev_b32_e32 v11, 20, v11
	v_and_b32_e32 v12, 0x80000000, v12
	v_lshl_add_u32 v10, v10, 23, v13
	v_or3_b32 v15, v12, v10, v11
.LBB566_691:
	s_or_b64 exec, exec, s[12:13]
.LBB566_692:
	s_or_b64 exec, exec, s[10:11]
.LBB566_693:
	s_or_b64 exec, exec, s[8:9]
	s_nop 3
	v_lshrrev_b16_e32 v10, 8, v2
	v_cmp_ne_u16_e32 vcc, 0, v10
	v_mov_b32_e32 v11, 0
	v_mov_b32_e32 v12, 0
	s_and_saveexec_b64 s[8:9], vcc
	s_cbranch_execz .LBB566_699
; %bb.694:
	s_movk_i32 s7, 0x80
	v_cmp_ne_u16_e32 vcc, s7, v10
	v_bfrev_b32_e32 v12, 1
	s_and_saveexec_b64 s[10:11], vcc
	s_cbranch_execz .LBB566_698
; %bb.695:
	s_movk_i32 s7, 0x7f
	v_and_b32_e32 v13, 0x7f, v10
	v_cmp_ne_u32_e32 vcc, s7, v13
	v_mov_b32_e32 v12, 0x7f800001
	s_and_saveexec_b64 s[12:13], vcc
	s_cbranch_execz .LBB566_697
; %bb.696:
	v_and_b32_e32 v12, 7, v10
	v_ffbh_u32_e32 v16, v12
	v_min_u32_e32 v18, 32, v16
	v_subrev_u32_e32 v16, 28, v18
	v_lshlrev_b64 v[16:17], v16, v[10:11]
	v_lshrrev_b32_e32 v14, 3, v13
	v_sub_u32_e32 v10, 29, v18
	v_and_b32_e32 v16, 7, v16
	v_cmp_gt_u32_e32 vcc, 8, v13
	v_cndmask_b32_e32 v10, v14, v10, vcc
	v_cndmask_b32_e32 v12, v12, v16, vcc
	v_lshlrev_b32_e32 v13, 16, v2
	v_bfrev_b32_e32 v14, 60
	v_lshlrev_b32_e32 v12, 20, v12
	v_and_b32_e32 v13, 0x80000000, v13
	v_lshl_add_u32 v10, v10, 23, v14
	v_or3_b32 v12, v13, v10, v12
.LBB566_697:
	s_or_b64 exec, exec, s[12:13]
.LBB566_698:
	s_or_b64 exec, exec, s[10:11]
.LBB566_699:
	s_or_b64 exec, exec, s[8:9]
	s_movk_i32 s7, 0xff
	v_and_b32_sdwa v13, v2, s7 dst_sel:DWORD dst_unused:UNUSED_PAD src0_sel:WORD_1 src1_sel:DWORD
	v_lshrrev_b32_e32 v10, 16, v2
	v_cmp_ne_u16_e32 vcc, 0, v13
	s_and_saveexec_b64 s[8:9], vcc
	s_cbranch_execz .LBB566_705
; %bb.700:
	s_movk_i32 s7, 0x80
	v_cmp_ne_u16_e32 vcc, s7, v13
	v_bfrev_b32_e32 v11, 1
	s_and_saveexec_b64 s[10:11], vcc
	s_cbranch_execz .LBB566_704
; %bb.701:
	v_bfe_u32 v13, v2, 16, 7
	s_movk_i32 s7, 0x7f
	v_cmp_ne_u32_e32 vcc, s7, v13
	v_mov_b32_e32 v11, 0x7f800001
	s_and_saveexec_b64 s[12:13], vcc
	s_cbranch_execz .LBB566_703
; %bb.702:
	v_and_b32_e32 v14, 7, v10
	v_ffbh_u32_e32 v11, v14
	v_min_u32_e32 v17, 32, v11
	v_subrev_u32_e32 v11, 28, v17
	v_lshlrev_b64 v[10:11], v11, v[10:11]
	v_lshrrev_b32_e32 v16, 3, v13
	v_sub_u32_e32 v11, 29, v17
	v_and_b32_e32 v10, 7, v10
	v_cmp_gt_u32_e32 vcc, 8, v13
	v_mov_b32_e32 v13, 24
	v_cndmask_b32_e32 v11, v16, v11, vcc
	v_cndmask_b32_e32 v10, v14, v10, vcc
	v_lshlrev_b32_sdwa v13, v13, v2 dst_sel:DWORD dst_unused:UNUSED_PAD src0_sel:DWORD src1_sel:WORD_1
	v_bfrev_b32_e32 v14, 60
	v_lshlrev_b32_e32 v10, 20, v10
	v_and_b32_e32 v13, 0x80000000, v13
	v_lshl_add_u32 v11, v11, 23, v14
	v_or3_b32 v11, v13, v11, v10
.LBB566_703:
	s_or_b64 exec, exec, s[12:13]
.LBB566_704:
	s_or_b64 exec, exec, s[10:11]
.LBB566_705:
	s_or_b64 exec, exec, s[8:9]
	s_mov_b32 s7, 0xffffff
	v_cmp_lt_u32_e32 vcc, s7, v2
	v_mov_b32_e32 v13, 0
	v_mov_b32_e32 v14, 0
	s_and_saveexec_b64 s[8:9], vcc
	s_cbranch_execz .LBB566_711
; %bb.706:
	v_lshrrev_b32_e32 v10, 24, v2
	s_movk_i32 s7, 0x80
	v_cmp_ne_u32_e32 vcc, s7, v10
	v_bfrev_b32_e32 v14, 1
	s_and_saveexec_b64 s[10:11], vcc
	s_cbranch_execz .LBB566_710
; %bb.707:
	v_bfe_u32 v2, v2, 24, 7
	s_movk_i32 s7, 0x7f
	v_cmp_ne_u32_e32 vcc, s7, v2
	v_mov_b32_e32 v14, 0x7f800001
	s_and_saveexec_b64 s[12:13], vcc
	s_cbranch_execz .LBB566_709
; %bb.708:
	v_and_b32_e32 v14, 7, v10
	v_ffbh_u32_e32 v16, v14
	v_min_u32_e32 v19, 32, v16
	v_subrev_u32_e32 v16, 28, v19
	v_lshlrev_b64 v[16:17], v16, v[10:11]
	v_lshrrev_b32_e32 v18, 3, v2
	v_sub_u32_e32 v17, 29, v19
	v_and_b32_e32 v16, 7, v16
	v_cmp_gt_u32_e32 vcc, 8, v2
	v_cndmask_b32_e32 v2, v18, v17, vcc
	v_cndmask_b32_e32 v14, v14, v16, vcc
	v_lshlrev_b32_e32 v10, 24, v10
	v_bfrev_b32_e32 v16, 60
	v_lshlrev_b32_e32 v14, 20, v14
	v_and_b32_e32 v10, 0x80000000, v10
	v_lshl_add_u32 v2, v2, 23, v16
	v_or3_b32 v14, v10, v2, v14
.LBB566_709:
	s_or_b64 exec, exec, s[12:13]
.LBB566_710:
	s_or_b64 exec, exec, s[10:11]
.LBB566_711:
	s_or_b64 exec, exec, s[8:9]
	v_cmp_ne_u16_sdwa s[10:11], v3, v13 src0_sel:BYTE_0 src1_sel:DWORD
	s_and_saveexec_b64 s[8:9], s[10:11]
	s_cbranch_execz .LBB566_717
; %bb.712:
	s_movk_i32 s7, 0x80
	v_cmp_ne_u16_sdwa s[12:13], v3, s7 src0_sel:BYTE_0 src1_sel:DWORD
	v_bfrev_b32_e32 v13, 1
	s_and_saveexec_b64 s[10:11], s[12:13]
	s_cbranch_execz .LBB566_716
; %bb.713:
	s_movk_i32 s7, 0x7f
	v_and_b32_e32 v2, 0x7f, v3
	v_cmp_ne_u32_e32 vcc, s7, v2
	v_mov_b32_e32 v13, 0x7f800001
	s_and_saveexec_b64 s[12:13], vcc
	s_cbranch_execz .LBB566_715
; %bb.714:
	v_and_b32_e32 v13, 7, v3
	v_ffbh_u32_e32 v16, v13
	v_min_u32_e32 v19, 32, v16
	v_mov_b32_e32 v10, v3
	v_subrev_u32_e32 v16, 28, v19
	v_lshlrev_b64 v[16:17], v16, v[10:11]
	v_lshrrev_b32_e32 v18, 3, v2
	v_sub_u32_e32 v10, 29, v19
	v_and_b32_e32 v16, 7, v16
	v_cmp_gt_u32_e32 vcc, 8, v2
	v_cndmask_b32_e32 v2, v18, v10, vcc
	v_cndmask_b32_e32 v10, v13, v16, vcc
	v_lshlrev_b32_e32 v13, 24, v3
	v_bfrev_b32_e32 v16, 60
	v_lshlrev_b32_e32 v10, 20, v10
	v_and_b32_e32 v13, 0x80000000, v13
	v_lshl_add_u32 v2, v2, 23, v16
	v_or3_b32 v13, v13, v2, v10
.LBB566_715:
	s_or_b64 exec, exec, s[12:13]
.LBB566_716:
	s_or_b64 exec, exec, s[10:11]
.LBB566_717:
	s_or_b64 exec, exec, s[8:9]
	v_lshrrev_b16_e32 v2, 8, v3
	v_cmp_ne_u16_e32 vcc, 0, v2
	v_mov_b32_e32 v16, 0
	v_mov_b32_e32 v17, 0
	s_and_saveexec_b64 s[8:9], vcc
	s_cbranch_execz .LBB566_723
; %bb.718:
	s_movk_i32 s7, 0x80
	v_cmp_ne_u16_e32 vcc, s7, v2
	v_bfrev_b32_e32 v17, 1
	s_and_saveexec_b64 s[10:11], vcc
	s_cbranch_execz .LBB566_722
; %bb.719:
	s_movk_i32 s7, 0x7f
	v_and_b32_e32 v10, 0x7f, v2
	v_cmp_ne_u32_e32 vcc, s7, v10
	v_mov_b32_e32 v17, 0x7f800001
	s_and_saveexec_b64 s[12:13], vcc
	s_cbranch_execz .LBB566_721
; %bb.720:
	v_and_b32_e32 v17, 7, v2
	v_ffbh_u32_e32 v18, v17
	v_min_u32_e32 v21, 32, v18
	v_subrev_u32_e32 v18, 28, v21
	v_lshlrev_b64 v[18:19], v18, v[2:3]
	v_lshrrev_b32_e32 v20, 3, v10
	v_sub_u32_e32 v2, 29, v21
	v_and_b32_e32 v18, 7, v18
	v_cmp_gt_u32_e32 vcc, 8, v10
	v_cndmask_b32_e32 v2, v20, v2, vcc
	v_cndmask_b32_e32 v10, v17, v18, vcc
	v_lshlrev_b32_e32 v17, 16, v3
	v_bfrev_b32_e32 v18, 60
	v_lshlrev_b32_e32 v10, 20, v10
	v_and_b32_e32 v17, 0x80000000, v17
	v_lshl_add_u32 v2, v2, 23, v18
	v_or3_b32 v17, v17, v2, v10
.LBB566_721:
	s_or_b64 exec, exec, s[12:13]
.LBB566_722:
	s_or_b64 exec, exec, s[10:11]
.LBB566_723:
	s_or_b64 exec, exec, s[8:9]
	s_movk_i32 s7, 0xff
	v_and_b32_sdwa v10, v3, s7 dst_sel:DWORD dst_unused:UNUSED_PAD src0_sel:WORD_1 src1_sel:DWORD
	v_lshrrev_b32_e32 v2, 16, v3
	v_cmp_ne_u16_e32 vcc, 0, v10
	s_and_saveexec_b64 s[8:9], vcc
	s_cbranch_execz .LBB566_729
; %bb.724:
	s_movk_i32 s7, 0x80
	v_cmp_ne_u16_e32 vcc, s7, v10
	v_bfrev_b32_e32 v16, 1
	s_and_saveexec_b64 s[10:11], vcc
	s_cbranch_execz .LBB566_728
; %bb.725:
	v_bfe_u32 v10, v3, 16, 7
	s_movk_i32 s7, 0x7f
	v_cmp_ne_u32_e32 vcc, s7, v10
	v_mov_b32_e32 v16, 0x7f800001
	s_and_saveexec_b64 s[12:13], vcc
	s_cbranch_execz .LBB566_727
; %bb.726:
	v_and_b32_e32 v16, 7, v2
	v_ffbh_u32_e32 v18, v16
	v_min_u32_e32 v21, 32, v18
	v_subrev_u32_e32 v18, 28, v21
	v_lshlrev_b64 v[18:19], v18, v[2:3]
	v_and_b32_e32 v18, 7, v18
	v_cmp_gt_u32_e32 vcc, 8, v10
	v_lshrrev_b32_e32 v20, 3, v10
	v_sub_u32_e32 v2, 29, v21
	v_cndmask_b32_e32 v10, v16, v18, vcc
	v_mov_b32_e32 v16, 24
	v_cndmask_b32_e32 v2, v20, v2, vcc
	v_lshlrev_b32_sdwa v16, v16, v3 dst_sel:DWORD dst_unused:UNUSED_PAD src0_sel:DWORD src1_sel:WORD_1
	v_bfrev_b32_e32 v18, 60
	v_lshlrev_b32_e32 v10, 20, v10
	v_and_b32_e32 v16, 0x80000000, v16
	v_lshl_add_u32 v2, v2, 23, v18
	v_or3_b32 v16, v16, v2, v10
.LBB566_727:
	s_or_b64 exec, exec, s[12:13]
.LBB566_728:
	s_or_b64 exec, exec, s[10:11]
.LBB566_729:
	s_or_b64 exec, exec, s[8:9]
	s_mov_b32 s7, 0xffffff
	v_cmp_lt_u32_e32 vcc, s7, v3
	v_mov_b32_e32 v10, 0
	v_mov_b32_e32 v18, 0
	s_and_saveexec_b64 s[8:9], vcc
	s_cbranch_execz .LBB566_735
; %bb.730:
	v_lshrrev_b32_e32 v2, 24, v3
	s_movk_i32 s7, 0x80
	v_cmp_ne_u32_e32 vcc, s7, v2
	v_bfrev_b32_e32 v18, 1
	s_and_saveexec_b64 s[10:11], vcc
	s_cbranch_execz .LBB566_734
; %bb.731:
	v_bfe_u32 v3, v3, 24, 7
	s_movk_i32 s7, 0x7f
	v_cmp_ne_u32_e32 vcc, s7, v3
	v_mov_b32_e32 v18, 0x7f800001
	s_and_saveexec_b64 s[12:13], vcc
	s_cbranch_execz .LBB566_733
; %bb.732:
	v_and_b32_e32 v20, 7, v2
	v_ffbh_u32_e32 v18, v20
	v_min_u32_e32 v23, 32, v18
	v_subrev_u32_e32 v18, 28, v23
	v_lshlrev_b64 v[18:19], v18, v[2:3]
	v_lshrrev_b32_e32 v21, 3, v3
	v_sub_u32_e32 v19, 29, v23
	v_and_b32_e32 v18, 7, v18
	v_cmp_gt_u32_e32 vcc, 8, v3
	v_cndmask_b32_e32 v3, v21, v19, vcc
	v_cndmask_b32_e32 v18, v20, v18, vcc
	v_lshlrev_b32_e32 v2, 24, v2
	v_bfrev_b32_e32 v19, 60
	v_lshlrev_b32_e32 v18, 20, v18
	v_and_b32_e32 v2, 0x80000000, v2
	v_lshl_add_u32 v3, v3, 23, v19
	v_or3_b32 v18, v2, v3, v18
.LBB566_733:
	s_or_b64 exec, exec, s[12:13]
.LBB566_734:
	s_or_b64 exec, exec, s[10:11]
.LBB566_735:
	s_or_b64 exec, exec, s[8:9]
	v_cvt_pkrtz_f16_f32 v2, v15, v12
	v_cvt_pkrtz_f16_f32 v3, v11, v14
	ds_read_b128 v[24:27], v22 offset:6144
	v_cmp_ne_u16_sdwa s[10:11], v4, v10 src0_sel:BYTE_0 src1_sel:DWORD
	s_waitcnt lgkmcnt(0)
	v_mfma_f32_16x16x16f16 v[6:9], v[2:3], v[24:25], v[6:9]
	v_cvt_pkrtz_f16_f32 v2, v13, v17
	v_cvt_pkrtz_f16_f32 v3, v16, v18
	s_nop 1
	v_mfma_f32_16x16x16f16 v[6:9], v[2:3], v[26:27], v[6:9]
	s_and_saveexec_b64 s[8:9], s[10:11]
	s_cbranch_execz .LBB566_741
; %bb.736:
	s_movk_i32 s7, 0x80
	v_cmp_ne_u16_sdwa s[12:13], v4, s7 src0_sel:BYTE_0 src1_sel:DWORD
	v_bfrev_b32_e32 v10, 1
	s_and_saveexec_b64 s[10:11], s[12:13]
	s_cbranch_execz .LBB566_740
; %bb.737:
	s_movk_i32 s7, 0x7f
	v_and_b32_e32 v2, 0x7f, v4
	v_cmp_ne_u32_e32 vcc, s7, v2
	v_mov_b32_e32 v10, 0x7f800001
	s_and_saveexec_b64 s[12:13], vcc
	s_cbranch_execz .LBB566_739
; %bb.738:
	v_and_b32_e32 v3, 7, v4
	v_ffbh_u32_e32 v10, v3
	v_min_u32_e32 v13, 32, v10
	v_subrev_u32_e32 v10, 28, v13
	v_lshlrev_b64 v[10:11], v10, v[4:5]
	v_lshrrev_b32_e32 v12, 3, v2
	v_sub_u32_e32 v11, 29, v13
	v_and_b32_e32 v10, 7, v10
	v_cmp_gt_u32_e32 vcc, 8, v2
	v_cndmask_b32_e32 v2, v12, v11, vcc
	v_cndmask_b32_e32 v3, v3, v10, vcc
	v_lshlrev_b32_e32 v10, 24, v4
	v_bfrev_b32_e32 v11, 60
	v_lshlrev_b32_e32 v3, 20, v3
	v_and_b32_e32 v10, 0x80000000, v10
	v_lshl_add_u32 v2, v2, 23, v11
	v_or3_b32 v10, v10, v2, v3
.LBB566_739:
	s_or_b64 exec, exec, s[12:13]
.LBB566_740:
	s_or_b64 exec, exec, s[10:11]
.LBB566_741:
	s_or_b64 exec, exec, s[8:9]
	v_lshrrev_b16_e32 v2, 8, v4
	v_cmp_ne_u16_e32 vcc, 0, v2
	v_mov_b32_e32 v3, 0
	v_mov_b32_e32 v11, 0
	s_and_saveexec_b64 s[8:9], vcc
	s_cbranch_execz .LBB566_747
; %bb.742:
	s_movk_i32 s7, 0x80
	v_cmp_ne_u16_e32 vcc, s7, v2
	v_bfrev_b32_e32 v11, 1
	s_and_saveexec_b64 s[10:11], vcc
	s_cbranch_execz .LBB566_746
; %bb.743:
	s_movk_i32 s7, 0x7f
	v_and_b32_e32 v12, 0x7f, v2
	v_cmp_ne_u32_e32 vcc, s7, v12
	v_mov_b32_e32 v11, 0x7f800001
	s_and_saveexec_b64 s[12:13], vcc
	s_cbranch_execz .LBB566_745
; %bb.744:
	v_and_b32_e32 v11, 7, v2
	v_ffbh_u32_e32 v14, v11
	v_min_u32_e32 v16, 32, v14
	v_subrev_u32_e32 v14, 28, v16
	v_lshlrev_b64 v[14:15], v14, v[2:3]
	v_lshrrev_b32_e32 v13, 3, v12
	v_sub_u32_e32 v2, 29, v16
	v_and_b32_e32 v14, 7, v14
	v_cmp_gt_u32_e32 vcc, 8, v12
	v_cndmask_b32_e32 v2, v13, v2, vcc
	v_cndmask_b32_e32 v11, v11, v14, vcc
	v_lshlrev_b32_e32 v12, 16, v4
	v_bfrev_b32_e32 v13, 60
	v_lshlrev_b32_e32 v11, 20, v11
	v_and_b32_e32 v12, 0x80000000, v12
	v_lshl_add_u32 v2, v2, 23, v13
	v_or3_b32 v11, v12, v2, v11
.LBB566_745:
	s_or_b64 exec, exec, s[12:13]
.LBB566_746:
	s_or_b64 exec, exec, s[10:11]
.LBB566_747:
	s_or_b64 exec, exec, s[8:9]
	s_movk_i32 s7, 0xff
	v_and_b32_sdwa v12, v4, s7 dst_sel:DWORD dst_unused:UNUSED_PAD src0_sel:WORD_1 src1_sel:DWORD
	v_lshrrev_b32_e32 v2, 16, v4
	v_cmp_ne_u16_e32 vcc, 0, v12
	s_and_saveexec_b64 s[8:9], vcc
	s_cbranch_execz .LBB566_753
; %bb.748:
	s_movk_i32 s7, 0x80
	v_cmp_ne_u16_e32 vcc, s7, v12
	v_bfrev_b32_e32 v3, 1
	s_and_saveexec_b64 s[10:11], vcc
	s_cbranch_execz .LBB566_752
; %bb.749:
	v_bfe_u32 v12, v4, 16, 7
	s_movk_i32 s7, 0x7f
	v_cmp_ne_u32_e32 vcc, s7, v12
	v_mov_b32_e32 v3, 0x7f800001
	s_and_saveexec_b64 s[12:13], vcc
	s_cbranch_execz .LBB566_751
; %bb.750:
	v_and_b32_e32 v13, 7, v2
	v_ffbh_u32_e32 v3, v13
	v_min_u32_e32 v15, 32, v3
	v_subrev_u32_e32 v3, 28, v15
	v_lshlrev_b64 v[2:3], v3, v[2:3]
	v_lshrrev_b32_e32 v14, 3, v12
	v_sub_u32_e32 v3, 29, v15
	v_and_b32_e32 v2, 7, v2
	v_cmp_gt_u32_e32 vcc, 8, v12
	v_mov_b32_e32 v12, 24
	v_cndmask_b32_e32 v3, v14, v3, vcc
	v_cndmask_b32_e32 v2, v13, v2, vcc
	v_lshlrev_b32_sdwa v12, v12, v4 dst_sel:DWORD dst_unused:UNUSED_PAD src0_sel:DWORD src1_sel:WORD_1
	v_bfrev_b32_e32 v13, 60
	v_lshlrev_b32_e32 v2, 20, v2
	v_and_b32_e32 v12, 0x80000000, v12
	v_lshl_add_u32 v3, v3, 23, v13
	v_or3_b32 v3, v12, v3, v2
.LBB566_751:
	s_or_b64 exec, exec, s[12:13]
.LBB566_752:
	s_or_b64 exec, exec, s[10:11]
.LBB566_753:
	s_or_b64 exec, exec, s[8:9]
	s_mov_b32 s7, 0xffffff
	v_cmp_lt_u32_e32 vcc, s7, v4
	v_mov_b32_e32 v12, 0
	v_mov_b32_e32 v13, 0
	s_and_saveexec_b64 s[8:9], vcc
	s_cbranch_execz .LBB566_759
; %bb.754:
	v_lshrrev_b32_e32 v2, 24, v4
	s_movk_i32 s7, 0x80
	v_cmp_ne_u32_e32 vcc, s7, v2
	v_bfrev_b32_e32 v13, 1
	s_and_saveexec_b64 s[10:11], vcc
	s_cbranch_execz .LBB566_758
; %bb.755:
	v_bfe_u32 v4, v4, 24, 7
	s_movk_i32 s7, 0x7f
	v_cmp_ne_u32_e32 vcc, s7, v4
	v_mov_b32_e32 v13, 0x7f800001
	s_and_saveexec_b64 s[12:13], vcc
	s_cbranch_execz .LBB566_757
; %bb.756:
	v_and_b32_e32 v13, 7, v2
	v_ffbh_u32_e32 v14, v13
	v_min_u32_e32 v17, 32, v14
	v_subrev_u32_e32 v14, 28, v17
	v_lshlrev_b64 v[14:15], v14, v[2:3]
	v_lshrrev_b32_e32 v16, 3, v4
	v_sub_u32_e32 v15, 29, v17
	v_and_b32_e32 v14, 7, v14
	v_cmp_gt_u32_e32 vcc, 8, v4
	v_cndmask_b32_e32 v4, v16, v15, vcc
	v_cndmask_b32_e32 v13, v13, v14, vcc
	v_lshlrev_b32_e32 v2, 24, v2
	v_bfrev_b32_e32 v14, 60
	v_lshlrev_b32_e32 v13, 20, v13
	v_and_b32_e32 v2, 0x80000000, v2
	v_lshl_add_u32 v4, v4, 23, v14
	v_or3_b32 v13, v2, v4, v13
.LBB566_757:
	s_or_b64 exec, exec, s[12:13]
.LBB566_758:
	s_or_b64 exec, exec, s[10:11]
.LBB566_759:
	s_or_b64 exec, exec, s[8:9]
	v_cmp_ne_u16_sdwa s[10:11], v5, v12 src0_sel:BYTE_0 src1_sel:DWORD
	s_and_saveexec_b64 s[8:9], s[10:11]
	s_cbranch_execz .LBB566_765
; %bb.760:
	s_movk_i32 s7, 0x80
	v_cmp_ne_u16_sdwa s[12:13], v5, s7 src0_sel:BYTE_0 src1_sel:DWORD
	v_bfrev_b32_e32 v12, 1
	s_and_saveexec_b64 s[10:11], s[12:13]
	s_cbranch_execz .LBB566_764
; %bb.761:
	s_movk_i32 s7, 0x7f
	v_and_b32_e32 v2, 0x7f, v5
	v_cmp_ne_u32_e32 vcc, s7, v2
	v_mov_b32_e32 v12, 0x7f800001
	s_and_saveexec_b64 s[12:13], vcc
	s_cbranch_execz .LBB566_763
; %bb.762:
	v_and_b32_e32 v12, 7, v5
	v_ffbh_u32_e32 v14, v12
	v_min_u32_e32 v17, 32, v14
	v_mov_b32_e32 v4, v5
	v_subrev_u32_e32 v14, 28, v17
	v_lshlrev_b64 v[14:15], v14, v[4:5]
	v_lshrrev_b32_e32 v16, 3, v2
	v_sub_u32_e32 v4, 29, v17
	v_and_b32_e32 v14, 7, v14
	v_cmp_gt_u32_e32 vcc, 8, v2
	v_cndmask_b32_e32 v2, v16, v4, vcc
	v_cndmask_b32_e32 v4, v12, v14, vcc
	v_lshlrev_b32_e32 v12, 24, v5
	v_bfrev_b32_e32 v14, 60
	v_lshlrev_b32_e32 v4, 20, v4
	v_and_b32_e32 v12, 0x80000000, v12
	v_lshl_add_u32 v2, v2, 23, v14
	v_or3_b32 v12, v12, v2, v4
.LBB566_763:
	s_or_b64 exec, exec, s[12:13]
.LBB566_764:
	s_or_b64 exec, exec, s[10:11]
.LBB566_765:
	s_or_b64 exec, exec, s[8:9]
	v_lshrrev_b16_e32 v2, 8, v5
	v_cmp_ne_u16_e32 vcc, 0, v2
	v_mov_b32_e32 v4, 0
	v_mov_b32_e32 v14, 0
	s_and_saveexec_b64 s[8:9], vcc
	s_cbranch_execz .LBB566_771
; %bb.766:
	s_movk_i32 s7, 0x80
	v_cmp_ne_u16_e32 vcc, s7, v2
	v_bfrev_b32_e32 v14, 1
	s_and_saveexec_b64 s[10:11], vcc
	s_cbranch_execz .LBB566_770
; %bb.767:
	s_movk_i32 s7, 0x7f
	v_and_b32_e32 v15, 0x7f, v2
	v_cmp_ne_u32_e32 vcc, s7, v15
	v_mov_b32_e32 v14, 0x7f800001
	s_and_saveexec_b64 s[12:13], vcc
	s_cbranch_execz .LBB566_769
; %bb.768:
	v_and_b32_e32 v14, 7, v2
	v_ffbh_u32_e32 v16, v14
	v_min_u32_e32 v19, 32, v16
	v_subrev_u32_e32 v16, 28, v19
	v_lshlrev_b64 v[16:17], v16, v[2:3]
	v_lshrrev_b32_e32 v18, 3, v15
	v_sub_u32_e32 v2, 29, v19
	v_and_b32_e32 v16, 7, v16
	v_cmp_gt_u32_e32 vcc, 8, v15
	v_cndmask_b32_e32 v2, v18, v2, vcc
	v_cndmask_b32_e32 v14, v14, v16, vcc
	v_lshlrev_b32_e32 v15, 16, v5
	v_bfrev_b32_e32 v16, 60
	v_lshlrev_b32_e32 v14, 20, v14
	v_and_b32_e32 v15, 0x80000000, v15
	v_lshl_add_u32 v2, v2, 23, v16
	v_or3_b32 v14, v15, v2, v14
.LBB566_769:
	s_or_b64 exec, exec, s[12:13]
.LBB566_770:
	s_or_b64 exec, exec, s[10:11]
.LBB566_771:
	s_or_b64 exec, exec, s[8:9]
	s_movk_i32 s7, 0xff
	v_and_b32_sdwa v15, v5, s7 dst_sel:DWORD dst_unused:UNUSED_PAD src0_sel:WORD_1 src1_sel:DWORD
	v_lshrrev_b32_e32 v2, 16, v5
	v_cmp_ne_u16_e32 vcc, 0, v15
	s_and_saveexec_b64 s[8:9], vcc
	s_cbranch_execz .LBB566_777
; %bb.772:
	s_movk_i32 s7, 0x80
	v_cmp_ne_u16_e32 vcc, s7, v15
	v_bfrev_b32_e32 v4, 1
	s_and_saveexec_b64 s[10:11], vcc
	s_cbranch_execz .LBB566_776
; %bb.773:
	v_bfe_u32 v15, v5, 16, 7
	s_movk_i32 s7, 0x7f
	v_cmp_ne_u32_e32 vcc, s7, v15
	v_mov_b32_e32 v4, 0x7f800001
	s_and_saveexec_b64 s[12:13], vcc
	s_cbranch_execz .LBB566_775
; %bb.774:
	v_and_b32_e32 v4, 7, v2
	v_ffbh_u32_e32 v16, v4
	v_min_u32_e32 v19, 32, v16
	v_subrev_u32_e32 v16, 28, v19
	v_lshlrev_b64 v[16:17], v16, v[2:3]
	v_lshrrev_b32_e32 v18, 3, v15
	v_sub_u32_e32 v2, 29, v19
	v_and_b32_e32 v16, 7, v16
	v_cmp_gt_u32_e32 vcc, 8, v15
	v_mov_b32_e32 v15, 24
	v_cndmask_b32_e32 v2, v18, v2, vcc
	v_cndmask_b32_e32 v4, v4, v16, vcc
	v_lshlrev_b32_sdwa v15, v15, v5 dst_sel:DWORD dst_unused:UNUSED_PAD src0_sel:DWORD src1_sel:WORD_1
	v_bfrev_b32_e32 v16, 60
	v_lshlrev_b32_e32 v4, 20, v4
	v_and_b32_e32 v15, 0x80000000, v15
	v_lshl_add_u32 v2, v2, 23, v16
	v_or3_b32 v4, v15, v2, v4
.LBB566_775:
	s_or_b64 exec, exec, s[12:13]
.LBB566_776:
	s_or_b64 exec, exec, s[10:11]
.LBB566_777:
	s_or_b64 exec, exec, s[8:9]
	s_mov_b32 s7, 0xffffff
	v_cmp_lt_u32_e32 vcc, s7, v5
	v_mov_b32_e32 v15, 0
	s_and_saveexec_b64 s[8:9], vcc
	s_cbranch_execz .LBB566_783
; %bb.778:
	v_lshrrev_b32_e32 v2, 24, v5
	s_movk_i32 s7, 0x80
	v_cmp_ne_u32_e32 vcc, s7, v2
	v_bfrev_b32_e32 v15, 1
	s_and_saveexec_b64 s[10:11], vcc
	s_cbranch_execz .LBB566_782
; %bb.779:
	v_bfe_u32 v5, v5, 24, 7
	s_movk_i32 s7, 0x7f
	v_cmp_ne_u32_e32 vcc, s7, v5
	v_mov_b32_e32 v15, 0x7f800001
	s_and_saveexec_b64 s[12:13], vcc
	s_cbranch_execz .LBB566_781
; %bb.780:
	v_and_b32_e32 v15, 7, v2
	v_ffbh_u32_e32 v16, v15
	v_min_u32_e32 v19, 32, v16
	v_subrev_u32_e32 v16, 28, v19
	v_lshlrev_b64 v[16:17], v16, v[2:3]
	v_lshrrev_b32_e32 v18, 3, v5
	v_sub_u32_e32 v17, 29, v19
	v_and_b32_e32 v16, 7, v16
	v_cmp_gt_u32_e32 vcc, 8, v5
	v_cndmask_b32_e32 v5, v18, v17, vcc
	v_cndmask_b32_e32 v15, v15, v16, vcc
	v_lshlrev_b32_e32 v2, 24, v2
	v_bfrev_b32_e32 v16, 60
	v_lshlrev_b32_e32 v15, 20, v15
	v_and_b32_e32 v2, 0x80000000, v2
	v_lshl_add_u32 v5, v5, 23, v16
	v_or3_b32 v15, v2, v5, v15
.LBB566_781:
	s_or_b64 exec, exec, s[12:13]
.LBB566_782:
	s_or_b64 exec, exec, s[10:11]
.LBB566_783:
	s_or_b64 exec, exec, s[8:9]
	v_cvt_pkrtz_f16_f32 v2, v10, v11
	v_cvt_pkrtz_f16_f32 v3, v3, v13
	ds_read_b128 v[16:19], v22 offset:6160
	s_load_dword s8, s[42:43], 0x0
	v_cmp_gt_u32_e32 vcc, 64, v0
	s_waitcnt lgkmcnt(0)
	v_mfma_f32_16x16x16f16 v[6:9], v[2:3], v[16:17], v[6:9]
	v_cvt_pkrtz_f16_f32 v2, v12, v14
	v_cvt_pkrtz_f16_f32 v3, v4, v15
	s_and_b64 s[0:1], vcc, s[0:1]
	s_barrier
	v_mfma_f32_16x16x16f16 v[2:5], v[2:3], v[18:19], v[6:9]
	s_nop 7
	s_nop 2
	v_pk_mul_f32 v[4:5], v[4:5], s[8:9] op_sel_hi:[1,0]
	v_pk_mul_f32 v[2:3], v[2:3], s[8:9] op_sel_hi:[1,0]
	v_cvt_f16_f32_e32 v2, v2
	v_cvt_f16_f32_e32 v3, v3
	;; [unrolled: 1-line block ×4, first 2 shown]
	v_pack_b32_f16 v2, v2, v3
	v_pack_b32_f16 v3, v4, v5
	ds_write_b64 v28, v[2:3]
	s_waitcnt lgkmcnt(0)
	s_barrier
	s_and_saveexec_b64 s[8:9], s[0:1]
	s_cbranch_execz .LBB566_786
; %bb.784:
	s_load_dwordx2 s[4:5], s[4:5], 0x68
	s_lshl_b32 s0, s44, 6
	s_mul_i32 s1, s14, s6
	s_mul_hi_u32 s9, s1, s0
	s_mul_i32 s8, s1, s0
	s_lshl_b64 s[8:9], s[8:9], 1
	s_waitcnt lgkmcnt(0)
	s_add_u32 s1, s4, s8
	v_lshlrev_b32_e32 v0, 10, v0
	s_mov_b32 s7, 0
	s_addc_u32 s8, s5, s9
	s_lshl_b32 s6, s24, 6
	v_and_b32_e32 v0, 0x1800, v0
	v_lshlrev_b32_e32 v2, 5, v1
	v_and_b32_e32 v3, 16, v47
	s_lshl_b64 s[4:5], s[6:7], 1
	v_or3_b32 v0, v0, v2, v3
	s_add_u32 s1, s1, s4
	s_addc_u32 s4, s8, s5
	ds_read_b128 v[4:7], v0 offset:128
	ds_read_b128 v[8:11], v0
	v_add_u32_e32 v14, s25, v1
	v_mov_b32_e32 v3, s4
	v_add_co_u32_e32 v2, vcc, s1, v46
	v_mad_u64_u32 v[12:13], s[4:5], v14, s0, 0
	v_addc_co_u32_e32 v3, vcc, 0, v3, vcc
	v_lshlrev_b64 v[12:13], 1, v[12:13]
	v_add_co_u32_e32 v12, vcc, v2, v12
	v_addc_co_u32_e32 v13, vcc, v3, v13, vcc
	s_waitcnt lgkmcnt(0)
	global_store_dwordx4 v[12:13], v[8:11], off
	s_nop 0
	v_add_u32_e32 v8, 4, v14
	v_mad_u64_u32 v[8:9], s[4:5], v8, s0, 0
	v_lshlrev_b64 v[8:9], 1, v[8:9]
	v_add_co_u32_e32 v8, vcc, v2, v8
	v_addc_co_u32_e32 v9, vcc, v3, v9, vcc
	global_store_dwordx4 v[8:9], v[4:7], off
	s_and_b64 exec, exec, s[2:3]
	s_cbranch_execz .LBB566_786
; %bb.785:
	ds_read_b128 v[4:7], v0 offset:256
	v_add3_u32 v0, s25, v1, 8
	v_mad_u64_u32 v[0:1], s[0:1], v0, s0, 0
	v_lshlrev_b64 v[0:1], 1, v[0:1]
	v_add_co_u32_e32 v0, vcc, v2, v0
	v_addc_co_u32_e32 v1, vcc, v3, v1, vcc
	s_waitcnt lgkmcnt(0)
	global_store_dwordx4 v[0:1], v[4:7], off
.LBB566_786:
	s_endpgm
	.section	.rodata,"a",@progbits
	.p2align	6, 0x0
	.amdhsa_kernel _Z39paged_attention_ll4mi_QKV_mfma16_kernelIDF16_hLN4vllm18Fp8KVCacheDataTypeE1EDF16_Li16ELi64ELi256ELb0ELi9EL8MFMAType0EEvPKT_PKT0_S8_ifPKiSA_SA_iPKfiiiPfSD_PS3_PT2_iSC_SC_
		.amdhsa_group_segment_fixed_size 8192
		.amdhsa_private_segment_fixed_size 0
		.amdhsa_kernarg_size 400
		.amdhsa_user_sgpr_count 6
		.amdhsa_user_sgpr_private_segment_buffer 1
		.amdhsa_user_sgpr_dispatch_ptr 0
		.amdhsa_user_sgpr_queue_ptr 0
		.amdhsa_user_sgpr_kernarg_segment_ptr 1
		.amdhsa_user_sgpr_dispatch_id 0
		.amdhsa_user_sgpr_flat_scratch_init 0
		.amdhsa_user_sgpr_kernarg_preload_length 0
		.amdhsa_user_sgpr_kernarg_preload_offset 0
		.amdhsa_user_sgpr_private_segment_size 0
		.amdhsa_uses_dynamic_stack 0
		.amdhsa_system_sgpr_private_segment_wavefront_offset 0
		.amdhsa_system_sgpr_workgroup_id_x 1
		.amdhsa_system_sgpr_workgroup_id_y 1
		.amdhsa_system_sgpr_workgroup_id_z 1
		.amdhsa_system_sgpr_workgroup_info 0
		.amdhsa_system_vgpr_workitem_id 0
		.amdhsa_next_free_vgpr 61
		.amdhsa_next_free_sgpr 47
		.amdhsa_accum_offset 64
		.amdhsa_reserve_vcc 1
		.amdhsa_reserve_flat_scratch 0
		.amdhsa_float_round_mode_32 0
		.amdhsa_float_round_mode_16_64 0
		.amdhsa_float_denorm_mode_32 3
		.amdhsa_float_denorm_mode_16_64 3
		.amdhsa_dx10_clamp 1
		.amdhsa_ieee_mode 1
		.amdhsa_fp16_overflow 0
		.amdhsa_tg_split 0
		.amdhsa_exception_fp_ieee_invalid_op 0
		.amdhsa_exception_fp_denorm_src 0
		.amdhsa_exception_fp_ieee_div_zero 0
		.amdhsa_exception_fp_ieee_overflow 0
		.amdhsa_exception_fp_ieee_underflow 0
		.amdhsa_exception_fp_ieee_inexact 0
		.amdhsa_exception_int_div_zero 0
	.end_amdhsa_kernel
	.section	.text._Z39paged_attention_ll4mi_QKV_mfma16_kernelIDF16_hLN4vllm18Fp8KVCacheDataTypeE1EDF16_Li16ELi64ELi256ELb0ELi9EL8MFMAType0EEvPKT_PKT0_S8_ifPKiSA_SA_iPKfiiiPfSD_PS3_PT2_iSC_SC_,"axG",@progbits,_Z39paged_attention_ll4mi_QKV_mfma16_kernelIDF16_hLN4vllm18Fp8KVCacheDataTypeE1EDF16_Li16ELi64ELi256ELb0ELi9EL8MFMAType0EEvPKT_PKT0_S8_ifPKiSA_SA_iPKfiiiPfSD_PS3_PT2_iSC_SC_,comdat
.Lfunc_end566:
	.size	_Z39paged_attention_ll4mi_QKV_mfma16_kernelIDF16_hLN4vllm18Fp8KVCacheDataTypeE1EDF16_Li16ELi64ELi256ELb0ELi9EL8MFMAType0EEvPKT_PKT0_S8_ifPKiSA_SA_iPKfiiiPfSD_PS3_PT2_iSC_SC_, .Lfunc_end566-_Z39paged_attention_ll4mi_QKV_mfma16_kernelIDF16_hLN4vllm18Fp8KVCacheDataTypeE1EDF16_Li16ELi64ELi256ELb0ELi9EL8MFMAType0EEvPKT_PKT0_S8_ifPKiSA_SA_iPKfiiiPfSD_PS3_PT2_iSC_SC_
                                        ; -- End function
	.section	.AMDGPU.csdata,"",@progbits
; Kernel info:
; codeLenInByte = 26956
; NumSgprs: 51
; NumVgprs: 61
; NumAgprs: 0
; TotalNumVgprs: 61
; ScratchSize: 0
; MemoryBound: 0
; FloatMode: 240
; IeeeMode: 1
; LDSByteSize: 8192 bytes/workgroup (compile time only)
; SGPRBlocks: 6
; VGPRBlocks: 7
; NumSGPRsForWavesPerEU: 51
; NumVGPRsForWavesPerEU: 61
; AccumOffset: 64
; Occupancy: 8
; WaveLimiterHint : 1
; COMPUTE_PGM_RSRC2:SCRATCH_EN: 0
; COMPUTE_PGM_RSRC2:USER_SGPR: 6
; COMPUTE_PGM_RSRC2:TRAP_HANDLER: 0
; COMPUTE_PGM_RSRC2:TGID_X_EN: 1
; COMPUTE_PGM_RSRC2:TGID_Y_EN: 1
; COMPUTE_PGM_RSRC2:TGID_Z_EN: 1
; COMPUTE_PGM_RSRC2:TIDIG_COMP_CNT: 0
; COMPUTE_PGM_RSRC3_GFX90A:ACCUM_OFFSET: 15
; COMPUTE_PGM_RSRC3_GFX90A:TG_SPLIT: 0
	.section	.text._Z39paged_attention_ll4mi_QKV_mfma16_kernelIDF16_hLN4vllm18Fp8KVCacheDataTypeE1EDF16_Li16ELi64ELi256ELb0ELi10EL8MFMAType0EEvPKT_PKT0_S8_ifPKiSA_SA_iPKfiiiPfSD_PS3_PT2_iSC_SC_,"axG",@progbits,_Z39paged_attention_ll4mi_QKV_mfma16_kernelIDF16_hLN4vllm18Fp8KVCacheDataTypeE1EDF16_Li16ELi64ELi256ELb0ELi10EL8MFMAType0EEvPKT_PKT0_S8_ifPKiSA_SA_iPKfiiiPfSD_PS3_PT2_iSC_SC_,comdat
	.protected	_Z39paged_attention_ll4mi_QKV_mfma16_kernelIDF16_hLN4vllm18Fp8KVCacheDataTypeE1EDF16_Li16ELi64ELi256ELb0ELi10EL8MFMAType0EEvPKT_PKT0_S8_ifPKiSA_SA_iPKfiiiPfSD_PS3_PT2_iSC_SC_ ; -- Begin function _Z39paged_attention_ll4mi_QKV_mfma16_kernelIDF16_hLN4vllm18Fp8KVCacheDataTypeE1EDF16_Li16ELi64ELi256ELb0ELi10EL8MFMAType0EEvPKT_PKT0_S8_ifPKiSA_SA_iPKfiiiPfSD_PS3_PT2_iSC_SC_
	.globl	_Z39paged_attention_ll4mi_QKV_mfma16_kernelIDF16_hLN4vllm18Fp8KVCacheDataTypeE1EDF16_Li16ELi64ELi256ELb0ELi10EL8MFMAType0EEvPKT_PKT0_S8_ifPKiSA_SA_iPKfiiiPfSD_PS3_PT2_iSC_SC_
	.p2align	8
	.type	_Z39paged_attention_ll4mi_QKV_mfma16_kernelIDF16_hLN4vllm18Fp8KVCacheDataTypeE1EDF16_Li16ELi64ELi256ELb0ELi10EL8MFMAType0EEvPKT_PKT0_S8_ifPKiSA_SA_iPKfiiiPfSD_PS3_PT2_iSC_SC_,@function
_Z39paged_attention_ll4mi_QKV_mfma16_kernelIDF16_hLN4vllm18Fp8KVCacheDataTypeE1EDF16_Li16ELi64ELi256ELb0ELi10EL8MFMAType0EEvPKT_PKT0_S8_ifPKiSA_SA_iPKfiiiPfSD_PS3_PT2_iSC_SC_: ; @_Z39paged_attention_ll4mi_QKV_mfma16_kernelIDF16_hLN4vllm18Fp8KVCacheDataTypeE1EDF16_Li16ELi64ELi256ELb0ELi10EL8MFMAType0EEvPKT_PKT0_S8_ifPKiSA_SA_iPKfiiiPfSD_PS3_PT2_iSC_SC_
; %bb.0:
	s_load_dwordx2 s[0:1], s[4:5], 0x30
	s_mov_b32 s24, s7
	s_mov_b64 s[10:11], 0
	s_waitcnt lgkmcnt(0)
	s_cmp_lg_u64 s[0:1], 0
	s_cselect_b64 s[2:3], -1, 0
	s_and_b64 vcc, exec, s[2:3]
	s_cbranch_vccz .LBB567_7
; %bb.1:
	s_add_i32 s12, s6, 1
	s_mov_b32 s13, 0
	s_lshl_b64 s[14:15], s[12:13], 2
	s_add_u32 s14, s0, s14
	s_mov_b32 s7, s13
	s_addc_u32 s15, s1, s15
	s_lshl_b64 s[12:13], s[6:7], 2
	s_add_u32 s12, s0, s12
	s_addc_u32 s13, s1, s13
	s_load_dword s9, s[14:15], 0x0
	s_load_dword s16, s[12:13], 0x0
	s_waitcnt lgkmcnt(0)
	s_sub_i32 s9, s9, s16
	s_cmp_eq_u32 s9, 1
	s_cselect_b64 s[12:13], -1, 0
	s_andn2_b64 vcc, exec, s[10:11]
	s_cbranch_vccnz .LBB567_3
.LBB567_2:
	s_mov_b32 s7, 0
	s_mov_b64 s[12:13], -1
.LBB567_3:
	s_andn2_b64 vcc, exec, s[12:13]
	s_cbranch_vccnz .LBB567_786
; %bb.4:
	s_load_dwordx2 s[12:13], s[4:5], 0x28
	s_lshl_b64 s[10:11], s[6:7], 2
	s_waitcnt lgkmcnt(0)
	s_add_u32 s12, s12, s10
	s_addc_u32 s13, s13, s11
	s_load_dword s33, s[12:13], 0x0
	s_lshl_b32 s20, s24, 8
	s_waitcnt lgkmcnt(0)
	s_cmp_ge_i32 s20, s33
	s_cbranch_scc1 .LBB567_786
; %bb.5:
	s_add_i32 s14, s33, 15
	s_load_dwordx2 s[12:13], s[4:5], 0x20
	s_load_dword s9, s[4:5], 0x38
	s_ashr_i32 s15, s14, 31
	v_and_b32_e32 v1, 0xcf, v0
	s_lshr_b32 s15, s15, 28
	v_add_u32_e32 v1, s20, v1
	s_add_i32 s14, s14, s15
	v_ashrrev_i32_e32 v2, 31, v1
	s_ashr_i32 s22, s14, 4
	v_lshrrev_b32_e32 v4, 28, v2
	s_add_i32 s22, s22, -1
	v_add_u32_e32 v2, v1, v4
	s_waitcnt lgkmcnt(0)
	s_mul_i32 s14, s6, s9
	s_mov_b32 s15, 0
	v_ashrrev_i32_e32 v2, 4, v2
	v_mov_b32_e32 v5, s22
	v_cmp_gt_i32_e32 vcc, s33, v1
	s_lshl_b64 s[14:15], s[14:15], 2
	v_cndmask_b32_e32 v2, v5, v2, vcc
	s_add_u32 s9, s12, s14
	v_ashrrev_i32_e32 v3, 31, v2
	s_addc_u32 s21, s13, s15
	v_lshlrev_b64 v[2:3], 2, v[2:3]
	v_mov_b32_e32 v7, s21
	v_add_co_u32_e32 v6, vcc, s9, v2
	v_or_b32_e32 v2, 16, v1
	v_addc_co_u32_e32 v7, vcc, v7, v3, vcc
	v_add_u32_e32 v3, v2, v4
	v_ashrrev_i32_e32 v3, 4, v3
	v_cmp_gt_i32_e32 vcc, s33, v2
	v_cndmask_b32_e32 v2, v5, v3, vcc
	v_ashrrev_i32_e32 v3, 31, v2
	v_lshlrev_b64 v[2:3], 2, v[2:3]
	v_mov_b32_e32 v9, s21
	v_add_co_u32_e32 v8, vcc, s9, v2
	v_or_b32_e32 v2, 32, v1
	v_addc_co_u32_e32 v9, vcc, v9, v3, vcc
	v_add_u32_e32 v3, v2, v4
	v_ashrrev_i32_e32 v3, 4, v3
	v_cmp_gt_i32_e32 vcc, s33, v2
	v_cndmask_b32_e32 v2, v5, v3, vcc
	v_ashrrev_i32_e32 v3, 31, v2
	;; [unrolled: 10-line block ×3, first 2 shown]
	v_lshlrev_b64 v[2:3], 2, v[2:3]
	v_mov_b32_e32 v1, s21
	v_add_co_u32_e32 v12, vcc, s9, v2
	v_addc_co_u32_e32 v13, vcc, v1, v3, vcc
	global_load_dword v4, v[6:7], off
	global_load_dword v5, v[8:9], off
	;; [unrolled: 1-line block ×4, first 2 shown]
	s_load_dwordx4 s[12:15], s[4:5], 0x8
	s_andn2_b64 vcc, exec, s[2:3]
	s_cbranch_vccnz .LBB567_8
; %bb.6:
	s_add_u32 s0, s0, s10
	s_addc_u32 s1, s1, s11
	s_load_dword s10, s[0:1], 0x0
	s_branch .LBB567_9
.LBB567_7:
	s_mov_b64 s[12:13], 0
	s_branch .LBB567_2
.LBB567_8:
	s_mov_b32 s10, s6
.LBB567_9:
	s_load_dwordx4 s[16:19], s[4:5], 0x48
	v_lshrrev_b32_e32 v49, 6, v0
	v_bfe_u32 v1, v0, 4, 2
	v_lshl_or_b32 v6, v49, 2, v1
	v_and_b32_e32 v48, 15, v0
	v_lshlrev_b32_e32 v7, 3, v48
	v_cmp_gt_u32_e32 vcc, 10, v6
	v_cmp_gt_u32_e64 s[0:1], 8, v48
	s_mul_i32 s25, s8, 10
	s_and_b64 s[26:27], s[0:1], vcc
	v_lshlrev_b32_e32 v46, 1, v7
	v_lshlrev_b32_e32 v47, 4, v0
	s_and_saveexec_b64 s[2:3], s[26:27]
	s_cbranch_execz .LBB567_11
; %bb.10:
	s_load_dwordx2 s[26:27], s[4:5], 0x0
	s_waitcnt lgkmcnt(0)
	s_ashr_i32 s11, s16, 31
	s_mul_hi_u32 s19, s10, s16
	s_mul_i32 s11, s10, s11
	s_add_i32 s11, s19, s11
	s_mul_i32 s10, s10, s16
	s_lshl_b64 s[10:11], s[10:11], 1
	v_add_lshl_u32 v8, v6, s25, 6
	s_add_u32 s10, s26, s10
	v_ashrrev_i32_e32 v9, 31, v8
	s_addc_u32 s11, s27, s11
	v_lshlrev_b64 v[8:9], 1, v[8:9]
	v_mov_b32_e32 v7, s11
	v_add_co_u32_e32 v8, vcc, s10, v8
	v_addc_co_u32_e32 v7, vcc, v7, v9, vcc
	v_add_co_u32_e32 v8, vcc, v8, v46
	v_addc_co_u32_e32 v9, vcc, 0, v7, vcc
	global_load_dwordx4 v[8:11], v[8:9], off
	v_lshlrev_b32_e32 v12, 8, v48
	v_lshlrev_b32_e32 v6, 5, v6
	v_and_b32_e32 v7, 16, v47
	v_and_b32_e32 v12, 0xe00, v12
	v_or3_b32 v6, v12, v6, v7
	s_waitcnt vmcnt(0)
	ds_write_b128 v6, v[8:11]
.LBB567_11:
	s_or_b64 exec, exec, s[2:3]
	v_and_b32_e32 v12, 48, v0
	v_or_b32_e32 v13, s20, v12
	v_ashrrev_i32_e32 v6, 4, v13
	v_mov_b32_e32 v14, s22
	v_cmp_gt_i32_e32 vcc, s33, v13
	v_cndmask_b32_e32 v6, v14, v6, vcc
	v_ashrrev_i32_e32 v7, 31, v6
	v_lshlrev_b64 v[6:7], 2, v[6:7]
	v_mov_b32_e32 v8, s21
	v_add_co_u32_e32 v6, vcc, s9, v6
	v_addc_co_u32_e32 v7, vcc, v8, v7, vcc
	v_or_b32_e32 v8, 64, v13
	v_ashrrev_i32_e32 v9, 4, v8
	v_cmp_gt_i32_e32 vcc, s33, v8
	v_cndmask_b32_e32 v8, v14, v9, vcc
	v_ashrrev_i32_e32 v9, 31, v8
	v_lshlrev_b64 v[8:9], 2, v[8:9]
	v_mov_b32_e32 v10, s21
	v_add_co_u32_e32 v8, vcc, s9, v8
	v_addc_co_u32_e32 v9, vcc, v10, v9, vcc
	v_or_b32_e32 v10, 0x80, v13
	v_ashrrev_i32_e32 v11, 4, v10
	v_cmp_gt_i32_e32 vcc, s33, v10
	v_cndmask_b32_e32 v10, v14, v11, vcc
	v_ashrrev_i32_e32 v11, 31, v10
	v_lshlrev_b64 v[10:11], 2, v[10:11]
	v_mov_b32_e32 v15, s21
	v_add_co_u32_e32 v10, vcc, s9, v10
	s_load_dwordx2 s[44:45], s[4:5], 0x94
	s_load_dwordx4 s[40:43], s[4:5], 0x80
	s_waitcnt lgkmcnt(0)
	s_barrier
	v_addc_co_u32_e32 v11, vcc, v15, v11, vcc
	global_load_dword v15, v[6:7], off
	global_load_dword v16, v[8:9], off
	;; [unrolled: 1-line block ×3, first 2 shown]
	v_or_b32_e32 v6, 0xc0, v13
	v_ashrrev_i32_e32 v7, 4, v6
	v_cmp_gt_i32_e32 vcc, s33, v6
	v_cndmask_b32_e32 v6, v14, v7, vcc
	v_ashrrev_i32_e32 v7, 31, v6
	v_lshlrev_b64 v[6:7], 2, v[6:7]
	v_mov_b32_e32 v8, s21
	v_add_co_u32_e32 v6, vcc, s9, v6
	v_addc_co_u32_e32 v7, vcc, v8, v7, vcc
	global_load_dword v20, v[6:7], off
	s_mul_i32 s8, s8, s18
	s_add_u32 s2, s12, s8
	s_addc_u32 s3, s13, 0
	v_and_b32_e32 v6, 0xf0, v47
	v_mov_b32_e32 v7, s3
	v_add_co_u32_e32 v6, vcc, s2, v6
	v_addc_co_u32_e32 v7, vcc, 0, v7, vcc
	v_lshlrev_b32_e32 v8, 4, v12
	v_add_co_u32_e32 v6, vcc, v6, v8
	v_addc_co_u32_e32 v7, vcc, 0, v7, vcc
	s_waitcnt vmcnt(7)
	v_mad_i64_i32 v[8:9], s[2:3], v4, s17, v[6:7]
	s_waitcnt vmcnt(6)
	v_mad_i64_i32 v[4:5], s[2:3], v5, s17, v[6:7]
	global_load_dwordx4 v[30:33], v[8:9], off
	global_load_dwordx4 v[38:41], v[4:5], off
	s_waitcnt vmcnt(7)
	v_mad_i64_i32 v[4:5], s[2:3], v2, s17, v[6:7]
	s_waitcnt vmcnt(6)
	v_mad_i64_i32 v[2:3], s[2:3], v3, s17, v[6:7]
	global_load_dwordx4 v[34:37], v[4:5], off
	global_load_dwordx4 v[22:25], v[2:3], off
	s_add_u32 s2, s14, s8
	v_lshlrev_b32_e32 v2, 4, v48
	s_addc_u32 s3, s15, 0
	v_lshl_or_b32 v2, v49, 8, v2
	v_mov_b32_e32 v3, s3
	v_add_co_u32_e32 v2, vcc, s2, v2
	v_addc_co_u32_e32 v3, vcc, 0, v3, vcc
	v_cmp_gt_u32_e32 vcc, 10, v48
	v_mov_b32_e32 v43, 0
	s_movk_i32 s8, 0x80
	v_mov_b32_e32 v44, 0
	s_waitcnt vmcnt(7)
	v_mad_i64_i32 v[4:5], s[2:3], v15, s17, v[2:3]
	s_waitcnt vmcnt(6)
	v_mad_i64_i32 v[6:7], s[2:3], v16, s17, v[2:3]
	;; [unrolled: 2-line block ×3, first 2 shown]
	global_load_dwordx4 v[14:17], v[4:5], off
	global_load_dwordx4 v[10:13], v[6:7], off
	s_waitcnt vmcnt(6)
	v_mad_i64_i32 v[20:21], s[2:3], v20, s17, v[2:3]
	global_load_dwordx4 v[6:9], v[18:19], off
	global_load_dwordx4 v[2:5], v[20:21], off
	v_add_u32_e32 v18, -10, v48
	v_cndmask_b32_e32 v18, v18, v48, vcc
	v_lshlrev_b32_e32 v18, 5, v18
	v_lshl_add_u32 v18, v1, 9, v18
	ds_read_b128 v[26:29], v18
	ds_read_b128 v[18:21], v18 offset:16
	s_load_dword s12, s[40:41], 0x0
	s_waitcnt vmcnt(7)
	v_cmp_ne_u16_sdwa s[10:11], v30, v43 src0_sel:BYTE_0 src1_sel:DWORD
	s_and_saveexec_b64 s[2:3], s[10:11]
	s_cbranch_execz .LBB567_17
; %bb.12:
	v_cmp_ne_u16_sdwa s[10:11], v30, s8 src0_sel:BYTE_0 src1_sel:DWORD
	v_bfrev_b32_e32 v44, 1
	s_and_saveexec_b64 s[8:9], s[10:11]
	s_cbranch_execz .LBB567_16
; %bb.13:
	s_movk_i32 s10, 0x7f
	v_and_b32_e32 v42, 0x7f, v30
	v_cmp_ne_u32_e32 vcc, s10, v42
	v_mov_b32_e32 v44, 0x7f800001
	s_and_saveexec_b64 s[10:11], vcc
	s_cbranch_execz .LBB567_15
; %bb.14:
	v_and_b32_e32 v50, 7, v30
	v_ffbh_u32_e32 v44, v50
	v_min_u32_e32 v52, 32, v44
	v_subrev_u32_e32 v44, 28, v52
	v_lshlrev_b64 v[44:45], v44, v[30:31]
	v_lshrrev_b32_e32 v51, 3, v42
	v_sub_u32_e32 v45, 29, v52
	v_and_b32_e32 v44, 7, v44
	v_cmp_gt_u32_e32 vcc, 8, v42
	v_cndmask_b32_e32 v42, v51, v45, vcc
	v_cndmask_b32_e32 v44, v50, v44, vcc
	v_lshlrev_b32_e32 v45, 24, v30
	v_bfrev_b32_e32 v50, 60
	v_lshlrev_b32_e32 v44, 20, v44
	v_and_b32_e32 v45, 0x80000000, v45
	v_lshl_add_u32 v42, v42, 23, v50
	v_or3_b32 v44, v45, v42, v44
.LBB567_15:
	s_or_b64 exec, exec, s[10:11]
.LBB567_16:
	s_or_b64 exec, exec, s[8:9]
.LBB567_17:
	s_or_b64 exec, exec, s[2:3]
	v_lshrrev_b16_e32 v42, 8, v30
	v_cmp_ne_u16_e32 vcc, 0, v42
	s_and_saveexec_b64 s[2:3], vcc
	s_cbranch_execz .LBB567_23
; %bb.18:
	s_movk_i32 s8, 0x80
	v_cmp_ne_u16_e32 vcc, s8, v42
	v_bfrev_b32_e32 v43, 1
	s_and_saveexec_b64 s[8:9], vcc
	s_cbranch_execz .LBB567_22
; %bb.19:
	s_movk_i32 s10, 0x7f
	v_and_b32_e32 v45, 0x7f, v42
	v_cmp_ne_u32_e32 vcc, s10, v45
	v_mov_b32_e32 v43, 0x7f800001
	s_and_saveexec_b64 s[10:11], vcc
	s_cbranch_execz .LBB567_21
; %bb.20:
	v_and_b32_e32 v50, 7, v42
	v_ffbh_u32_e32 v43, v50
	v_min_u32_e32 v52, 32, v43
	v_subrev_u32_e32 v43, 28, v52
	v_lshlrev_b64 v[42:43], v43, v[42:43]
	v_lshrrev_b32_e32 v51, 3, v45
	v_sub_u32_e32 v43, 29, v52
	v_and_b32_e32 v42, 7, v42
	v_cmp_gt_u32_e32 vcc, 8, v45
	v_cndmask_b32_e32 v43, v51, v43, vcc
	v_cndmask_b32_e32 v42, v50, v42, vcc
	v_lshlrev_b32_e32 v45, 16, v30
	v_bfrev_b32_e32 v50, 60
	v_lshlrev_b32_e32 v42, 20, v42
	v_and_b32_e32 v45, 0x80000000, v45
	v_lshl_add_u32 v43, v43, 23, v50
	v_or3_b32 v43, v45, v43, v42
.LBB567_21:
	s_or_b64 exec, exec, s[10:11]
.LBB567_22:
	s_or_b64 exec, exec, s[8:9]
.LBB567_23:
	s_or_b64 exec, exec, s[2:3]
	s_movk_i32 s2, 0xff
	v_and_b32_sdwa v51, v30, s2 dst_sel:DWORD dst_unused:UNUSED_PAD src0_sel:WORD_1 src1_sel:DWORD
	v_lshrrev_b32_e32 v42, 16, v30
	v_cmp_ne_u16_e32 vcc, 0, v51
	v_mov_b32_e32 v45, 0
	v_mov_b32_e32 v50, 0
	s_and_saveexec_b64 s[2:3], vcc
	s_cbranch_execz .LBB567_29
; %bb.24:
	s_movk_i32 s8, 0x80
	v_cmp_ne_u16_e32 vcc, s8, v51
	v_bfrev_b32_e32 v50, 1
	s_and_saveexec_b64 s[8:9], vcc
	s_cbranch_execz .LBB567_28
; %bb.25:
	v_bfe_u32 v51, v30, 16, 7
	s_movk_i32 s10, 0x7f
	v_cmp_ne_u32_e32 vcc, s10, v51
	v_mov_b32_e32 v50, 0x7f800001
	s_and_saveexec_b64 s[10:11], vcc
	s_cbranch_execz .LBB567_27
; %bb.26:
	v_and_b32_e32 v50, 7, v42
	v_ffbh_u32_e32 v52, v50
	v_min_u32_e32 v55, 32, v52
	v_subrev_u32_e32 v52, 28, v55
	v_lshlrev_b64 v[52:53], v52, v[42:43]
	v_lshrrev_b32_e32 v54, 3, v51
	v_sub_u32_e32 v42, 29, v55
	v_and_b32_e32 v52, 7, v52
	v_cmp_gt_u32_e32 vcc, 8, v51
	v_mov_b32_e32 v51, 24
	v_cndmask_b32_e32 v42, v54, v42, vcc
	v_cndmask_b32_e32 v50, v50, v52, vcc
	v_lshlrev_b32_sdwa v51, v51, v30 dst_sel:DWORD dst_unused:UNUSED_PAD src0_sel:DWORD src1_sel:WORD_1
	v_bfrev_b32_e32 v52, 60
	v_lshlrev_b32_e32 v50, 20, v50
	v_and_b32_e32 v51, 0x80000000, v51
	v_lshl_add_u32 v42, v42, 23, v52
	v_or3_b32 v50, v51, v42, v50
.LBB567_27:
	s_or_b64 exec, exec, s[10:11]
.LBB567_28:
	s_or_b64 exec, exec, s[8:9]
.LBB567_29:
	s_or_b64 exec, exec, s[2:3]
	s_mov_b32 s2, 0xffffff
	v_cmp_lt_u32_e32 vcc, s2, v30
	s_and_saveexec_b64 s[2:3], vcc
	s_cbranch_execz .LBB567_35
; %bb.30:
	v_lshrrev_b32_e32 v42, 24, v30
	s_movk_i32 s8, 0x80
	v_cmp_ne_u32_e32 vcc, s8, v42
	v_bfrev_b32_e32 v45, 1
	s_and_saveexec_b64 s[8:9], vcc
	s_cbranch_execz .LBB567_34
; %bb.31:
	v_bfe_u32 v30, v30, 24, 7
	s_movk_i32 s10, 0x7f
	v_cmp_ne_u32_e32 vcc, s10, v30
	v_mov_b32_e32 v45, 0x7f800001
	s_and_saveexec_b64 s[10:11], vcc
	s_cbranch_execz .LBB567_33
; %bb.32:
	v_and_b32_e32 v45, 7, v42
	v_ffbh_u32_e32 v52, v45
	v_min_u32_e32 v54, 32, v52
	v_subrev_u32_e32 v52, 28, v54
	v_lshlrev_b64 v[52:53], v52, v[42:43]
	v_lshrrev_b32_e32 v51, 3, v30
	v_sub_u32_e32 v53, 29, v54
	v_and_b32_e32 v52, 7, v52
	v_cmp_gt_u32_e32 vcc, 8, v30
	v_cndmask_b32_e32 v30, v51, v53, vcc
	v_cndmask_b32_e32 v45, v45, v52, vcc
	v_lshlrev_b32_e32 v42, 24, v42
	v_bfrev_b32_e32 v51, 60
	v_lshlrev_b32_e32 v45, 20, v45
	v_and_b32_e32 v42, 0x80000000, v42
	v_lshl_add_u32 v30, v30, 23, v51
	v_or3_b32 v45, v42, v30, v45
.LBB567_33:
	s_or_b64 exec, exec, s[10:11]
.LBB567_34:
	s_or_b64 exec, exec, s[8:9]
.LBB567_35:
	s_or_b64 exec, exec, s[2:3]
	v_mov_b32_e32 v42, 0
	v_cmp_ne_u16_sdwa s[8:9], v31, v42 src0_sel:BYTE_0 src1_sel:DWORD
	v_mov_b32_e32 v51, 0
	s_and_saveexec_b64 s[2:3], s[8:9]
	s_cbranch_execz .LBB567_41
; %bb.36:
	s_movk_i32 s8, 0x80
	v_cmp_ne_u16_sdwa s[10:11], v31, s8 src0_sel:BYTE_0 src1_sel:DWORD
	v_bfrev_b32_e32 v51, 1
	s_and_saveexec_b64 s[8:9], s[10:11]
	s_cbranch_execz .LBB567_40
; %bb.37:
	s_movk_i32 s10, 0x7f
	v_and_b32_e32 v30, 0x7f, v31
	v_cmp_ne_u32_e32 vcc, s10, v30
	v_mov_b32_e32 v51, 0x7f800001
	s_and_saveexec_b64 s[10:11], vcc
	s_cbranch_execz .LBB567_39
; %bb.38:
	v_and_b32_e32 v51, 7, v31
	v_ffbh_u32_e32 v53, v51
	v_min_u32_e32 v55, 32, v53
	v_mov_b32_e32 v52, v31
	v_subrev_u32_e32 v53, 28, v55
	v_lshlrev_b64 v[52:53], v53, v[52:53]
	v_lshrrev_b32_e32 v54, 3, v30
	v_sub_u32_e32 v53, 29, v55
	v_and_b32_e32 v52, 7, v52
	v_cmp_gt_u32_e32 vcc, 8, v30
	v_cndmask_b32_e32 v30, v54, v53, vcc
	v_cndmask_b32_e32 v51, v51, v52, vcc
	v_lshlrev_b32_e32 v52, 24, v31
	v_bfrev_b32_e32 v53, 60
	v_lshlrev_b32_e32 v51, 20, v51
	v_and_b32_e32 v52, 0x80000000, v52
	v_lshl_add_u32 v30, v30, 23, v53
	v_or3_b32 v51, v52, v30, v51
.LBB567_39:
	s_or_b64 exec, exec, s[10:11]
.LBB567_40:
	s_or_b64 exec, exec, s[8:9]
.LBB567_41:
	s_or_b64 exec, exec, s[2:3]
	v_lshrrev_b16_e32 v30, 8, v31
	v_cmp_ne_u16_e32 vcc, 0, v30
	s_and_saveexec_b64 s[2:3], vcc
	s_cbranch_execz .LBB567_47
; %bb.42:
	s_movk_i32 s8, 0x80
	v_cmp_ne_u16_e32 vcc, s8, v30
	v_bfrev_b32_e32 v42, 1
	s_and_saveexec_b64 s[8:9], vcc
	s_cbranch_execz .LBB567_46
; %bb.43:
	s_movk_i32 s10, 0x7f
	v_and_b32_e32 v52, 0x7f, v30
	v_cmp_ne_u32_e32 vcc, s10, v52
	v_mov_b32_e32 v42, 0x7f800001
	s_and_saveexec_b64 s[10:11], vcc
	s_cbranch_execz .LBB567_45
; %bb.44:
	v_and_b32_e32 v42, 7, v30
	v_ffbh_u32_e32 v54, v42
	v_min_u32_e32 v56, 32, v54
	v_subrev_u32_e32 v54, 28, v56
	v_lshlrev_b64 v[54:55], v54, v[30:31]
	v_lshrrev_b32_e32 v53, 3, v52
	v_sub_u32_e32 v30, 29, v56
	v_and_b32_e32 v54, 7, v54
	v_cmp_gt_u32_e32 vcc, 8, v52
	v_cndmask_b32_e32 v30, v53, v30, vcc
	v_cndmask_b32_e32 v42, v42, v54, vcc
	v_lshlrev_b32_e32 v52, 16, v31
	v_bfrev_b32_e32 v53, 60
	v_lshlrev_b32_e32 v42, 20, v42
	v_and_b32_e32 v52, 0x80000000, v52
	v_lshl_add_u32 v30, v30, 23, v53
	v_or3_b32 v42, v52, v30, v42
.LBB567_45:
	s_or_b64 exec, exec, s[10:11]
.LBB567_46:
	s_or_b64 exec, exec, s[8:9]
.LBB567_47:
	s_or_b64 exec, exec, s[2:3]
	s_movk_i32 s2, 0xff
	v_and_b32_sdwa v54, v31, s2 dst_sel:DWORD dst_unused:UNUSED_PAD src0_sel:WORD_1 src1_sel:DWORD
	v_lshrrev_b32_e32 v30, 16, v31
	v_cmp_ne_u16_e32 vcc, 0, v54
	v_mov_b32_e32 v52, 0
	v_mov_b32_e32 v53, 0
	s_and_saveexec_b64 s[2:3], vcc
	s_cbranch_execz .LBB567_53
; %bb.48:
	s_movk_i32 s8, 0x80
	v_cmp_ne_u16_e32 vcc, s8, v54
	v_bfrev_b32_e32 v53, 1
	s_and_saveexec_b64 s[8:9], vcc
	s_cbranch_execz .LBB567_52
; %bb.49:
	v_bfe_u32 v54, v31, 16, 7
	s_movk_i32 s10, 0x7f
	v_cmp_ne_u32_e32 vcc, s10, v54
	v_mov_b32_e32 v53, 0x7f800001
	s_and_saveexec_b64 s[10:11], vcc
	s_cbranch_execz .LBB567_51
; %bb.50:
	v_and_b32_e32 v53, 7, v30
	v_ffbh_u32_e32 v56, v53
	v_min_u32_e32 v58, 32, v56
	v_subrev_u32_e32 v56, 28, v58
	v_lshlrev_b64 v[56:57], v56, v[30:31]
	v_lshrrev_b32_e32 v55, 3, v54
	v_sub_u32_e32 v30, 29, v58
	v_and_b32_e32 v56, 7, v56
	v_cmp_gt_u32_e32 vcc, 8, v54
	v_mov_b32_e32 v54, 24
	v_cndmask_b32_e32 v30, v55, v30, vcc
	v_cndmask_b32_e32 v53, v53, v56, vcc
	v_lshlrev_b32_sdwa v54, v54, v31 dst_sel:DWORD dst_unused:UNUSED_PAD src0_sel:DWORD src1_sel:WORD_1
	v_bfrev_b32_e32 v55, 60
	v_lshlrev_b32_e32 v53, 20, v53
	v_and_b32_e32 v54, 0x80000000, v54
	v_lshl_add_u32 v30, v30, 23, v55
	v_or3_b32 v53, v54, v30, v53
.LBB567_51:
	s_or_b64 exec, exec, s[10:11]
.LBB567_52:
	s_or_b64 exec, exec, s[8:9]
.LBB567_53:
	s_or_b64 exec, exec, s[2:3]
	s_mov_b32 s2, 0xffffff
	v_cmp_lt_u32_e32 vcc, s2, v31
	s_and_saveexec_b64 s[2:3], vcc
	s_cbranch_execz .LBB567_59
; %bb.54:
	v_lshrrev_b32_e32 v30, 24, v31
	s_movk_i32 s8, 0x80
	v_cmp_ne_u32_e32 vcc, s8, v30
	v_bfrev_b32_e32 v52, 1
	s_and_saveexec_b64 s[8:9], vcc
	s_cbranch_execz .LBB567_58
; %bb.55:
	v_bfe_u32 v31, v31, 24, 7
	s_movk_i32 s10, 0x7f
	v_cmp_ne_u32_e32 vcc, s10, v31
	v_mov_b32_e32 v52, 0x7f800001
	s_and_saveexec_b64 s[10:11], vcc
	s_cbranch_execz .LBB567_57
; %bb.56:
	v_and_b32_e32 v52, 7, v30
	v_ffbh_u32_e32 v54, v52
	v_min_u32_e32 v57, 32, v54
	v_subrev_u32_e32 v54, 28, v57
	v_lshlrev_b64 v[54:55], v54, v[30:31]
	v_lshrrev_b32_e32 v56, 3, v31
	v_sub_u32_e32 v55, 29, v57
	v_and_b32_e32 v54, 7, v54
	v_cmp_gt_u32_e32 vcc, 8, v31
	v_cndmask_b32_e32 v31, v56, v55, vcc
	v_cndmask_b32_e32 v52, v52, v54, vcc
	v_lshlrev_b32_e32 v30, 24, v30
	v_bfrev_b32_e32 v54, 60
	v_lshlrev_b32_e32 v52, 20, v52
	v_and_b32_e32 v30, 0x80000000, v30
	v_lshl_add_u32 v31, v31, 23, v54
	v_or3_b32 v52, v30, v31, v52
.LBB567_57:
	s_or_b64 exec, exec, s[10:11]
.LBB567_58:
	s_or_b64 exec, exec, s[8:9]
.LBB567_59:
	s_or_b64 exec, exec, s[2:3]
	v_cvt_pkrtz_f16_f32 v30, v44, v43
	v_cvt_pkrtz_f16_f32 v31, v50, v45
	;; [unrolled: 1-line block ×4, first 2 shown]
	v_mov_b32_e32 v51, 0
	s_waitcnt lgkmcnt(0)
	v_mfma_f32_16x16x16f16 v[54:57], v[30:31], v[26:27], 0
	v_mov_b32_e32 v31, 0
	v_cmp_ne_u16_sdwa s[8:9], v32, v31 src0_sel:BYTE_0 src1_sel:DWORD
	v_mfma_f32_16x16x16f16 v[42:45], v[42:43], v[28:29], v[54:57]
	s_and_saveexec_b64 s[2:3], s[8:9]
	s_cbranch_execz .LBB567_65
; %bb.60:
	s_movk_i32 s8, 0x80
	v_cmp_ne_u16_sdwa s[10:11], v32, s8 src0_sel:BYTE_0 src1_sel:DWORD
	v_bfrev_b32_e32 v51, 1
	s_and_saveexec_b64 s[8:9], s[10:11]
	s_cbranch_execz .LBB567_64
; %bb.61:
	s_movk_i32 s10, 0x7f
	v_and_b32_e32 v30, 0x7f, v32
	v_cmp_ne_u32_e32 vcc, s10, v30
	v_mov_b32_e32 v51, 0x7f800001
	s_and_saveexec_b64 s[10:11], vcc
	s_cbranch_execz .LBB567_63
; %bb.62:
	v_and_b32_e32 v52, 7, v32
	v_ffbh_u32_e32 v50, v52
	v_min_u32_e32 v54, 32, v50
	v_subrev_u32_e32 v50, 28, v54
	v_lshlrev_b64 v[50:51], v50, v[32:33]
	v_lshrrev_b32_e32 v53, 3, v30
	v_sub_u32_e32 v51, 29, v54
	v_and_b32_e32 v50, 7, v50
	v_cmp_gt_u32_e32 vcc, 8, v30
	v_cndmask_b32_e32 v30, v53, v51, vcc
	v_cndmask_b32_e32 v50, v52, v50, vcc
	v_lshlrev_b32_e32 v51, 24, v32
	v_bfrev_b32_e32 v52, 60
	v_lshlrev_b32_e32 v50, 20, v50
	v_and_b32_e32 v51, 0x80000000, v51
	v_lshl_add_u32 v30, v30, 23, v52
	v_or3_b32 v51, v51, v30, v50
.LBB567_63:
	s_or_b64 exec, exec, s[10:11]
.LBB567_64:
	s_or_b64 exec, exec, s[8:9]
.LBB567_65:
	s_or_b64 exec, exec, s[2:3]
	v_lshrrev_b16_e32 v30, 8, v32
	v_cmp_ne_u16_e32 vcc, 0, v30
	v_mov_b32_e32 v52, 0
	s_and_saveexec_b64 s[2:3], vcc
	s_cbranch_execz .LBB567_71
; %bb.66:
	s_movk_i32 s8, 0x80
	v_cmp_ne_u16_e32 vcc, s8, v30
	v_bfrev_b32_e32 v52, 1
	s_and_saveexec_b64 s[8:9], vcc
	s_cbranch_execz .LBB567_70
; %bb.67:
	s_movk_i32 s10, 0x7f
	v_and_b32_e32 v50, 0x7f, v30
	v_cmp_ne_u32_e32 vcc, s10, v50
	v_mov_b32_e32 v52, 0x7f800001
	s_and_saveexec_b64 s[10:11], vcc
	s_cbranch_execz .LBB567_69
; %bb.68:
	v_and_b32_e32 v54, 7, v30
	v_ffbh_u32_e32 v52, v54
	v_min_u32_e32 v56, 32, v52
	v_subrev_u32_e32 v52, 28, v56
	v_lshlrev_b64 v[52:53], v52, v[30:31]
	v_lshrrev_b32_e32 v55, 3, v50
	v_sub_u32_e32 v30, 29, v56
	v_and_b32_e32 v52, 7, v52
	v_cmp_gt_u32_e32 vcc, 8, v50
	v_cndmask_b32_e32 v30, v55, v30, vcc
	v_cndmask_b32_e32 v50, v54, v52, vcc
	v_lshlrev_b32_e32 v52, 16, v32
	v_bfrev_b32_e32 v53, 60
	v_lshlrev_b32_e32 v50, 20, v50
	v_and_b32_e32 v52, 0x80000000, v52
	v_lshl_add_u32 v30, v30, 23, v53
	v_or3_b32 v52, v52, v30, v50
.LBB567_69:
	s_or_b64 exec, exec, s[10:11]
.LBB567_70:
	s_or_b64 exec, exec, s[8:9]
.LBB567_71:
	s_or_b64 exec, exec, s[2:3]
	s_movk_i32 s2, 0xff
	v_and_b32_sdwa v50, v32, s2 dst_sel:DWORD dst_unused:UNUSED_PAD src0_sel:WORD_1 src1_sel:DWORD
	v_lshrrev_b32_e32 v30, 16, v32
	v_cmp_ne_u16_e32 vcc, 0, v50
	s_and_saveexec_b64 s[2:3], vcc
	s_cbranch_execz .LBB567_77
; %bb.72:
	s_movk_i32 s8, 0x80
	v_cmp_ne_u16_e32 vcc, s8, v50
	v_bfrev_b32_e32 v31, 1
	s_and_saveexec_b64 s[8:9], vcc
	s_cbranch_execz .LBB567_76
; %bb.73:
	v_bfe_u32 v50, v32, 16, 7
	s_movk_i32 s10, 0x7f
	v_cmp_ne_u32_e32 vcc, s10, v50
	v_mov_b32_e32 v31, 0x7f800001
	s_and_saveexec_b64 s[10:11], vcc
	s_cbranch_execz .LBB567_75
; %bb.74:
	v_and_b32_e32 v53, 7, v30
	v_ffbh_u32_e32 v31, v53
	v_min_u32_e32 v55, 32, v31
	v_subrev_u32_e32 v31, 28, v55
	v_lshlrev_b64 v[30:31], v31, v[30:31]
	v_lshrrev_b32_e32 v54, 3, v50
	v_sub_u32_e32 v31, 29, v55
	v_and_b32_e32 v30, 7, v30
	v_cmp_gt_u32_e32 vcc, 8, v50
	v_mov_b32_e32 v50, 24
	v_cndmask_b32_e32 v31, v54, v31, vcc
	v_cndmask_b32_e32 v30, v53, v30, vcc
	v_lshlrev_b32_sdwa v50, v50, v32 dst_sel:DWORD dst_unused:UNUSED_PAD src0_sel:DWORD src1_sel:WORD_1
	v_bfrev_b32_e32 v53, 60
	v_lshlrev_b32_e32 v30, 20, v30
	v_and_b32_e32 v50, 0x80000000, v50
	v_lshl_add_u32 v31, v31, 23, v53
	v_or3_b32 v31, v50, v31, v30
.LBB567_75:
	s_or_b64 exec, exec, s[10:11]
.LBB567_76:
	s_or_b64 exec, exec, s[8:9]
.LBB567_77:
	s_or_b64 exec, exec, s[2:3]
	s_mov_b32 s2, 0xffffff
	v_cmp_lt_u32_e32 vcc, s2, v32
	v_mov_b32_e32 v53, 0
	v_mov_b32_e32 v54, 0
	s_and_saveexec_b64 s[2:3], vcc
	s_cbranch_execz .LBB567_83
; %bb.78:
	v_lshrrev_b32_e32 v30, 24, v32
	s_movk_i32 s8, 0x80
	v_cmp_ne_u32_e32 vcc, s8, v30
	v_bfrev_b32_e32 v54, 1
	s_and_saveexec_b64 s[8:9], vcc
	s_cbranch_execz .LBB567_82
; %bb.79:
	v_bfe_u32 v32, v32, 24, 7
	s_movk_i32 s10, 0x7f
	v_cmp_ne_u32_e32 vcc, s10, v32
	v_mov_b32_e32 v54, 0x7f800001
	s_and_saveexec_b64 s[10:11], vcc
	s_cbranch_execz .LBB567_81
; %bb.80:
	v_and_b32_e32 v50, 7, v30
	v_ffbh_u32_e32 v54, v50
	v_min_u32_e32 v57, 32, v54
	v_subrev_u32_e32 v54, 28, v57
	v_lshlrev_b64 v[54:55], v54, v[30:31]
	v_lshrrev_b32_e32 v56, 3, v32
	v_sub_u32_e32 v55, 29, v57
	v_and_b32_e32 v54, 7, v54
	v_cmp_gt_u32_e32 vcc, 8, v32
	v_cndmask_b32_e32 v32, v56, v55, vcc
	v_cndmask_b32_e32 v50, v50, v54, vcc
	v_lshlrev_b32_e32 v30, 24, v30
	v_bfrev_b32_e32 v54, 60
	v_lshlrev_b32_e32 v50, 20, v50
	v_and_b32_e32 v30, 0x80000000, v30
	v_lshl_add_u32 v32, v32, 23, v54
	v_or3_b32 v54, v30, v32, v50
.LBB567_81:
	s_or_b64 exec, exec, s[10:11]
.LBB567_82:
	s_or_b64 exec, exec, s[8:9]
.LBB567_83:
	s_or_b64 exec, exec, s[2:3]
	v_cmp_ne_u16_sdwa s[8:9], v33, v53 src0_sel:BYTE_0 src1_sel:DWORD
	s_and_saveexec_b64 s[2:3], s[8:9]
	s_cbranch_execz .LBB567_89
; %bb.84:
	s_movk_i32 s8, 0x80
	v_cmp_ne_u16_sdwa s[10:11], v33, s8 src0_sel:BYTE_0 src1_sel:DWORD
	v_bfrev_b32_e32 v53, 1
	s_and_saveexec_b64 s[8:9], s[10:11]
	s_cbranch_execz .LBB567_88
; %bb.85:
	s_movk_i32 s10, 0x7f
	v_and_b32_e32 v30, 0x7f, v33
	v_cmp_ne_u32_e32 vcc, s10, v30
	v_mov_b32_e32 v53, 0x7f800001
	s_and_saveexec_b64 s[10:11], vcc
	s_cbranch_execz .LBB567_87
; %bb.86:
	v_and_b32_e32 v50, 7, v33
	v_ffbh_u32_e32 v55, v50
	v_min_u32_e32 v55, 32, v55
	v_mov_b32_e32 v32, v33
	v_subrev_u32_e32 v56, 28, v55
	v_lshlrev_b64 v[56:57], v56, v[32:33]
	v_lshrrev_b32_e32 v53, 3, v30
	v_sub_u32_e32 v32, 29, v55
	v_and_b32_e32 v55, 7, v56
	v_cmp_gt_u32_e32 vcc, 8, v30
	v_cndmask_b32_e32 v30, v53, v32, vcc
	v_cndmask_b32_e32 v32, v50, v55, vcc
	v_lshlrev_b32_e32 v50, 24, v33
	v_bfrev_b32_e32 v53, 60
	v_lshlrev_b32_e32 v32, 20, v32
	v_and_b32_e32 v50, 0x80000000, v50
	v_lshl_add_u32 v30, v30, 23, v53
	v_or3_b32 v53, v50, v30, v32
.LBB567_87:
	s_or_b64 exec, exec, s[10:11]
.LBB567_88:
	s_or_b64 exec, exec, s[8:9]
.LBB567_89:
	s_or_b64 exec, exec, s[2:3]
	v_lshrrev_b16_e32 v30, 8, v33
	v_cmp_ne_u16_e32 vcc, 0, v30
	v_mov_b32_e32 v32, 0
	v_mov_b32_e32 v55, 0
	s_and_saveexec_b64 s[2:3], vcc
	s_cbranch_execz .LBB567_95
; %bb.90:
	s_movk_i32 s8, 0x80
	v_cmp_ne_u16_e32 vcc, s8, v30
	v_bfrev_b32_e32 v55, 1
	s_and_saveexec_b64 s[8:9], vcc
	s_cbranch_execz .LBB567_94
; %bb.91:
	s_movk_i32 s10, 0x7f
	v_and_b32_e32 v50, 0x7f, v30
	v_cmp_ne_u32_e32 vcc, s10, v50
	v_mov_b32_e32 v55, 0x7f800001
	s_and_saveexec_b64 s[10:11], vcc
	s_cbranch_execz .LBB567_93
; %bb.92:
	v_and_b32_e32 v55, 7, v30
	v_ffbh_u32_e32 v56, v55
	v_min_u32_e32 v59, 32, v56
	v_subrev_u32_e32 v56, 28, v59
	v_lshlrev_b64 v[56:57], v56, v[30:31]
	v_lshrrev_b32_e32 v58, 3, v50
	v_sub_u32_e32 v30, 29, v59
	v_and_b32_e32 v56, 7, v56
	v_cmp_gt_u32_e32 vcc, 8, v50
	v_cndmask_b32_e32 v30, v58, v30, vcc
	v_cndmask_b32_e32 v50, v55, v56, vcc
	v_lshlrev_b32_e32 v55, 16, v33
	v_bfrev_b32_e32 v56, 60
	v_lshlrev_b32_e32 v50, 20, v50
	v_and_b32_e32 v55, 0x80000000, v55
	v_lshl_add_u32 v30, v30, 23, v56
	v_or3_b32 v55, v55, v30, v50
.LBB567_93:
	s_or_b64 exec, exec, s[10:11]
.LBB567_94:
	s_or_b64 exec, exec, s[8:9]
.LBB567_95:
	s_or_b64 exec, exec, s[2:3]
	s_movk_i32 s2, 0xff
	v_and_b32_sdwa v50, v33, s2 dst_sel:DWORD dst_unused:UNUSED_PAD src0_sel:WORD_1 src1_sel:DWORD
	v_lshrrev_b32_e32 v30, 16, v33
	v_cmp_ne_u16_e32 vcc, 0, v50
	s_and_saveexec_b64 s[2:3], vcc
	s_cbranch_execz .LBB567_101
; %bb.96:
	s_movk_i32 s8, 0x80
	v_cmp_ne_u16_e32 vcc, s8, v50
	v_bfrev_b32_e32 v32, 1
	s_and_saveexec_b64 s[8:9], vcc
	s_cbranch_execz .LBB567_100
; %bb.97:
	v_bfe_u32 v50, v33, 16, 7
	s_movk_i32 s10, 0x7f
	v_cmp_ne_u32_e32 vcc, s10, v50
	v_mov_b32_e32 v32, 0x7f800001
	s_and_saveexec_b64 s[10:11], vcc
	s_cbranch_execz .LBB567_99
; %bb.98:
	v_and_b32_e32 v32, 7, v30
	v_ffbh_u32_e32 v56, v32
	v_min_u32_e32 v59, 32, v56
	v_subrev_u32_e32 v56, 28, v59
	v_lshlrev_b64 v[56:57], v56, v[30:31]
	v_lshrrev_b32_e32 v58, 3, v50
	v_sub_u32_e32 v30, 29, v59
	v_and_b32_e32 v56, 7, v56
	v_cmp_gt_u32_e32 vcc, 8, v50
	v_mov_b32_e32 v50, 24
	v_cndmask_b32_e32 v30, v58, v30, vcc
	v_cndmask_b32_e32 v32, v32, v56, vcc
	v_lshlrev_b32_sdwa v50, v50, v33 dst_sel:DWORD dst_unused:UNUSED_PAD src0_sel:DWORD src1_sel:WORD_1
	v_bfrev_b32_e32 v56, 60
	v_lshlrev_b32_e32 v32, 20, v32
	v_and_b32_e32 v50, 0x80000000, v50
	v_lshl_add_u32 v30, v30, 23, v56
	v_or3_b32 v32, v50, v30, v32
.LBB567_99:
	s_or_b64 exec, exec, s[10:11]
.LBB567_100:
	s_or_b64 exec, exec, s[8:9]
.LBB567_101:
	s_or_b64 exec, exec, s[2:3]
	s_mov_b32 s2, 0xffffff
	v_cmp_lt_u32_e32 vcc, s2, v33
	v_mov_b32_e32 v50, 0
	v_mov_b32_e32 v56, 0
	s_and_saveexec_b64 s[2:3], vcc
	s_cbranch_execz .LBB567_107
; %bb.102:
	v_lshrrev_b32_e32 v30, 24, v33
	s_movk_i32 s8, 0x80
	v_cmp_ne_u32_e32 vcc, s8, v30
	v_bfrev_b32_e32 v56, 1
	s_and_saveexec_b64 s[8:9], vcc
	s_cbranch_execz .LBB567_106
; %bb.103:
	v_bfe_u32 v33, v33, 24, 7
	s_movk_i32 s10, 0x7f
	v_cmp_ne_u32_e32 vcc, s10, v33
	v_mov_b32_e32 v56, 0x7f800001
	s_and_saveexec_b64 s[10:11], vcc
	s_cbranch_execz .LBB567_105
; %bb.104:
	v_and_b32_e32 v58, 7, v30
	v_ffbh_u32_e32 v56, v58
	v_min_u32_e32 v60, 32, v56
	v_subrev_u32_e32 v56, 28, v60
	v_lshlrev_b64 v[56:57], v56, v[30:31]
	v_lshrrev_b32_e32 v59, 3, v33
	v_sub_u32_e32 v57, 29, v60
	v_and_b32_e32 v56, 7, v56
	v_cmp_gt_u32_e32 vcc, 8, v33
	v_cndmask_b32_e32 v33, v59, v57, vcc
	v_cndmask_b32_e32 v56, v58, v56, vcc
	v_lshlrev_b32_e32 v30, 24, v30
	v_bfrev_b32_e32 v57, 60
	v_lshlrev_b32_e32 v56, 20, v56
	v_and_b32_e32 v30, 0x80000000, v30
	v_lshl_add_u32 v33, v33, 23, v57
	v_or3_b32 v56, v30, v33, v56
.LBB567_105:
	s_or_b64 exec, exec, s[10:11]
.LBB567_106:
	s_or_b64 exec, exec, s[8:9]
.LBB567_107:
	s_or_b64 exec, exec, s[2:3]
	v_cvt_pkrtz_f16_f32 v30, v51, v52
	v_cvt_pkrtz_f16_f32 v31, v31, v54
	s_waitcnt vmcnt(6)
	v_cmp_ne_u16_sdwa s[8:9], v38, v50 src0_sel:BYTE_0 src1_sel:DWORD
	v_mfma_f32_16x16x16f16 v[42:45], v[30:31], v[18:19], v[42:45]
	v_cvt_pkrtz_f16_f32 v30, v53, v55
	v_cvt_pkrtz_f16_f32 v31, v32, v56
	s_nop 1
	v_mfma_f32_16x16x16f16 v[30:33], v[30:31], v[20:21], v[42:45]
	s_and_saveexec_b64 s[2:3], s[8:9]
	s_cbranch_execz .LBB567_113
; %bb.108:
	s_movk_i32 s8, 0x80
	v_cmp_ne_u16_sdwa s[10:11], v38, s8 src0_sel:BYTE_0 src1_sel:DWORD
	v_bfrev_b32_e32 v50, 1
	s_and_saveexec_b64 s[8:9], s[10:11]
	s_cbranch_execz .LBB567_112
; %bb.109:
	s_movk_i32 s10, 0x7f
	v_and_b32_e32 v42, 0x7f, v38
	v_cmp_ne_u32_e32 vcc, s10, v42
	v_mov_b32_e32 v50, 0x7f800001
	s_and_saveexec_b64 s[10:11], vcc
	s_cbranch_execz .LBB567_111
; %bb.110:
	v_and_b32_e32 v43, 7, v38
	v_ffbh_u32_e32 v44, v43
	v_min_u32_e32 v51, 32, v44
	v_subrev_u32_e32 v44, 28, v51
	v_lshlrev_b64 v[44:45], v44, v[38:39]
	v_lshrrev_b32_e32 v50, 3, v42
	v_sub_u32_e32 v45, 29, v51
	v_and_b32_e32 v44, 7, v44
	v_cmp_gt_u32_e32 vcc, 8, v42
	v_cndmask_b32_e32 v42, v50, v45, vcc
	v_cndmask_b32_e32 v43, v43, v44, vcc
	v_lshlrev_b32_e32 v44, 24, v38
	v_bfrev_b32_e32 v45, 60
	v_lshlrev_b32_e32 v43, 20, v43
	v_and_b32_e32 v44, 0x80000000, v44
	v_lshl_add_u32 v42, v42, 23, v45
	v_or3_b32 v50, v44, v42, v43
.LBB567_111:
	s_or_b64 exec, exec, s[10:11]
.LBB567_112:
	s_or_b64 exec, exec, s[8:9]
.LBB567_113:
	s_or_b64 exec, exec, s[2:3]
	s_nop 3
	v_lshrrev_b16_e32 v42, 8, v38
	v_cmp_ne_u16_e32 vcc, 0, v42
	v_mov_b32_e32 v43, 0
	v_mov_b32_e32 v44, 0
	s_and_saveexec_b64 s[2:3], vcc
	s_cbranch_execz .LBB567_119
; %bb.114:
	s_movk_i32 s8, 0x80
	v_cmp_ne_u16_e32 vcc, s8, v42
	v_bfrev_b32_e32 v44, 1
	s_and_saveexec_b64 s[8:9], vcc
	s_cbranch_execz .LBB567_118
; %bb.115:
	s_movk_i32 s10, 0x7f
	v_and_b32_e32 v45, 0x7f, v42
	v_cmp_ne_u32_e32 vcc, s10, v45
	v_mov_b32_e32 v44, 0x7f800001
	s_and_saveexec_b64 s[10:11], vcc
	s_cbranch_execz .LBB567_117
; %bb.116:
	v_and_b32_e32 v44, 7, v42
	v_ffbh_u32_e32 v52, v44
	v_min_u32_e32 v54, 32, v52
	v_subrev_u32_e32 v52, 28, v54
	v_lshlrev_b64 v[52:53], v52, v[42:43]
	v_lshrrev_b32_e32 v51, 3, v45
	v_sub_u32_e32 v42, 29, v54
	v_and_b32_e32 v52, 7, v52
	v_cmp_gt_u32_e32 vcc, 8, v45
	v_cndmask_b32_e32 v42, v51, v42, vcc
	v_cndmask_b32_e32 v44, v44, v52, vcc
	v_lshlrev_b32_e32 v45, 16, v38
	v_bfrev_b32_e32 v51, 60
	v_lshlrev_b32_e32 v44, 20, v44
	v_and_b32_e32 v45, 0x80000000, v45
	v_lshl_add_u32 v42, v42, 23, v51
	v_or3_b32 v44, v45, v42, v44
.LBB567_117:
	s_or_b64 exec, exec, s[10:11]
.LBB567_118:
	s_or_b64 exec, exec, s[8:9]
.LBB567_119:
	s_or_b64 exec, exec, s[2:3]
	s_movk_i32 s2, 0xff
	v_and_b32_sdwa v45, v38, s2 dst_sel:DWORD dst_unused:UNUSED_PAD src0_sel:WORD_1 src1_sel:DWORD
	v_lshrrev_b32_e32 v42, 16, v38
	v_cmp_ne_u16_e32 vcc, 0, v45
	s_and_saveexec_b64 s[2:3], vcc
	s_cbranch_execz .LBB567_125
; %bb.120:
	s_movk_i32 s8, 0x80
	v_cmp_ne_u16_e32 vcc, s8, v45
	v_bfrev_b32_e32 v43, 1
	s_and_saveexec_b64 s[8:9], vcc
	s_cbranch_execz .LBB567_124
; %bb.121:
	v_bfe_u32 v45, v38, 16, 7
	s_movk_i32 s10, 0x7f
	v_cmp_ne_u32_e32 vcc, s10, v45
	v_mov_b32_e32 v43, 0x7f800001
	s_and_saveexec_b64 s[10:11], vcc
	s_cbranch_execz .LBB567_123
; %bb.122:
	v_and_b32_e32 v51, 7, v42
	v_ffbh_u32_e32 v43, v51
	v_min_u32_e32 v53, 32, v43
	v_subrev_u32_e32 v43, 28, v53
	v_lshlrev_b64 v[42:43], v43, v[42:43]
	v_lshrrev_b32_e32 v52, 3, v45
	v_sub_u32_e32 v43, 29, v53
	v_and_b32_e32 v42, 7, v42
	v_cmp_gt_u32_e32 vcc, 8, v45
	v_mov_b32_e32 v45, 24
	v_cndmask_b32_e32 v43, v52, v43, vcc
	v_cndmask_b32_e32 v42, v51, v42, vcc
	v_lshlrev_b32_sdwa v45, v45, v38 dst_sel:DWORD dst_unused:UNUSED_PAD src0_sel:DWORD src1_sel:WORD_1
	v_bfrev_b32_e32 v51, 60
	v_lshlrev_b32_e32 v42, 20, v42
	v_and_b32_e32 v45, 0x80000000, v45
	v_lshl_add_u32 v43, v43, 23, v51
	v_or3_b32 v43, v45, v43, v42
.LBB567_123:
	s_or_b64 exec, exec, s[10:11]
.LBB567_124:
	s_or_b64 exec, exec, s[8:9]
.LBB567_125:
	s_or_b64 exec, exec, s[2:3]
	s_mov_b32 s2, 0xffffff
	v_cmp_lt_u32_e32 vcc, s2, v38
	v_mov_b32_e32 v45, 0
	v_mov_b32_e32 v52, 0
	s_and_saveexec_b64 s[2:3], vcc
	s_cbranch_execz .LBB567_131
; %bb.126:
	v_lshrrev_b32_e32 v42, 24, v38
	s_movk_i32 s8, 0x80
	v_cmp_ne_u32_e32 vcc, s8, v42
	v_bfrev_b32_e32 v52, 1
	s_and_saveexec_b64 s[8:9], vcc
	s_cbranch_execz .LBB567_130
; %bb.127:
	v_bfe_u32 v38, v38, 24, 7
	s_movk_i32 s10, 0x7f
	v_cmp_ne_u32_e32 vcc, s10, v38
	v_mov_b32_e32 v52, 0x7f800001
	s_and_saveexec_b64 s[10:11], vcc
	s_cbranch_execz .LBB567_129
; %bb.128:
	v_and_b32_e32 v51, 7, v42
	v_ffbh_u32_e32 v52, v51
	v_min_u32_e32 v55, 32, v52
	v_subrev_u32_e32 v52, 28, v55
	v_lshlrev_b64 v[52:53], v52, v[42:43]
	v_lshrrev_b32_e32 v54, 3, v38
	v_sub_u32_e32 v53, 29, v55
	v_and_b32_e32 v52, 7, v52
	v_cmp_gt_u32_e32 vcc, 8, v38
	v_cndmask_b32_e32 v38, v54, v53, vcc
	v_cndmask_b32_e32 v51, v51, v52, vcc
	v_lshlrev_b32_e32 v42, 24, v42
	v_bfrev_b32_e32 v52, 60
	v_lshlrev_b32_e32 v51, 20, v51
	v_and_b32_e32 v42, 0x80000000, v42
	v_lshl_add_u32 v38, v38, 23, v52
	v_or3_b32 v52, v42, v38, v51
.LBB567_129:
	s_or_b64 exec, exec, s[10:11]
.LBB567_130:
	s_or_b64 exec, exec, s[8:9]
.LBB567_131:
	s_or_b64 exec, exec, s[2:3]
	v_cmp_ne_u16_sdwa s[8:9], v39, v45 src0_sel:BYTE_0 src1_sel:DWORD
	s_and_saveexec_b64 s[2:3], s[8:9]
	s_cbranch_execz .LBB567_137
; %bb.132:
	s_movk_i32 s8, 0x80
	v_cmp_ne_u16_sdwa s[10:11], v39, s8 src0_sel:BYTE_0 src1_sel:DWORD
	v_bfrev_b32_e32 v45, 1
	s_and_saveexec_b64 s[8:9], s[10:11]
	s_cbranch_execz .LBB567_136
; %bb.133:
	s_movk_i32 s10, 0x7f
	v_and_b32_e32 v38, 0x7f, v39
	v_cmp_ne_u32_e32 vcc, s10, v38
	v_mov_b32_e32 v45, 0x7f800001
	s_and_saveexec_b64 s[10:11], vcc
	s_cbranch_execz .LBB567_135
; %bb.134:
	v_and_b32_e32 v45, 7, v39
	v_ffbh_u32_e32 v53, v45
	v_min_u32_e32 v53, 32, v53
	v_mov_b32_e32 v42, v39
	v_subrev_u32_e32 v54, 28, v53
	v_lshlrev_b64 v[54:55], v54, v[42:43]
	v_lshrrev_b32_e32 v51, 3, v38
	v_sub_u32_e32 v42, 29, v53
	v_and_b32_e32 v53, 7, v54
	v_cmp_gt_u32_e32 vcc, 8, v38
	v_cndmask_b32_e32 v38, v51, v42, vcc
	v_cndmask_b32_e32 v42, v45, v53, vcc
	v_lshlrev_b32_e32 v45, 24, v39
	v_bfrev_b32_e32 v51, 60
	v_lshlrev_b32_e32 v42, 20, v42
	v_and_b32_e32 v45, 0x80000000, v45
	v_lshl_add_u32 v38, v38, 23, v51
	v_or3_b32 v45, v45, v38, v42
.LBB567_135:
	s_or_b64 exec, exec, s[10:11]
.LBB567_136:
	s_or_b64 exec, exec, s[8:9]
.LBB567_137:
	s_or_b64 exec, exec, s[2:3]
	v_lshrrev_b16_e32 v38, 8, v39
	v_cmp_ne_u16_e32 vcc, 0, v38
	v_mov_b32_e32 v42, 0
	v_mov_b32_e32 v53, 0
	s_and_saveexec_b64 s[2:3], vcc
	s_cbranch_execz .LBB567_143
; %bb.138:
	s_movk_i32 s8, 0x80
	v_cmp_ne_u16_e32 vcc, s8, v38
	v_bfrev_b32_e32 v53, 1
	s_and_saveexec_b64 s[8:9], vcc
	s_cbranch_execz .LBB567_142
; %bb.139:
	s_movk_i32 s10, 0x7f
	v_and_b32_e32 v51, 0x7f, v38
	v_cmp_ne_u32_e32 vcc, s10, v51
	v_mov_b32_e32 v53, 0x7f800001
	s_and_saveexec_b64 s[10:11], vcc
	s_cbranch_execz .LBB567_141
; %bb.140:
	v_and_b32_e32 v53, 7, v38
	v_ffbh_u32_e32 v54, v53
	v_min_u32_e32 v57, 32, v54
	v_subrev_u32_e32 v54, 28, v57
	v_lshlrev_b64 v[54:55], v54, v[38:39]
	v_lshrrev_b32_e32 v56, 3, v51
	v_sub_u32_e32 v38, 29, v57
	v_and_b32_e32 v54, 7, v54
	v_cmp_gt_u32_e32 vcc, 8, v51
	v_cndmask_b32_e32 v38, v56, v38, vcc
	v_cndmask_b32_e32 v51, v53, v54, vcc
	v_lshlrev_b32_e32 v53, 16, v39
	v_bfrev_b32_e32 v54, 60
	v_lshlrev_b32_e32 v51, 20, v51
	v_and_b32_e32 v53, 0x80000000, v53
	v_lshl_add_u32 v38, v38, 23, v54
	v_or3_b32 v53, v53, v38, v51
.LBB567_141:
	s_or_b64 exec, exec, s[10:11]
.LBB567_142:
	s_or_b64 exec, exec, s[8:9]
.LBB567_143:
	s_or_b64 exec, exec, s[2:3]
	s_movk_i32 s2, 0xff
	v_and_b32_sdwa v51, v39, s2 dst_sel:DWORD dst_unused:UNUSED_PAD src0_sel:WORD_1 src1_sel:DWORD
	v_lshrrev_b32_e32 v38, 16, v39
	v_cmp_ne_u16_e32 vcc, 0, v51
	s_and_saveexec_b64 s[2:3], vcc
	s_cbranch_execz .LBB567_149
; %bb.144:
	s_movk_i32 s8, 0x80
	v_cmp_ne_u16_e32 vcc, s8, v51
	v_bfrev_b32_e32 v42, 1
	s_and_saveexec_b64 s[8:9], vcc
	s_cbranch_execz .LBB567_148
; %bb.145:
	v_bfe_u32 v51, v39, 16, 7
	s_movk_i32 s10, 0x7f
	v_cmp_ne_u32_e32 vcc, s10, v51
	v_mov_b32_e32 v42, 0x7f800001
	s_and_saveexec_b64 s[10:11], vcc
	s_cbranch_execz .LBB567_147
; %bb.146:
	v_and_b32_e32 v42, 7, v38
	v_ffbh_u32_e32 v54, v42
	v_min_u32_e32 v57, 32, v54
	v_subrev_u32_e32 v54, 28, v57
	v_lshlrev_b64 v[54:55], v54, v[38:39]
	v_lshrrev_b32_e32 v56, 3, v51
	v_sub_u32_e32 v38, 29, v57
	v_and_b32_e32 v54, 7, v54
	v_cmp_gt_u32_e32 vcc, 8, v51
	v_mov_b32_e32 v51, 24
	v_cndmask_b32_e32 v38, v56, v38, vcc
	v_cndmask_b32_e32 v42, v42, v54, vcc
	v_lshlrev_b32_sdwa v51, v51, v39 dst_sel:DWORD dst_unused:UNUSED_PAD src0_sel:DWORD src1_sel:WORD_1
	v_bfrev_b32_e32 v54, 60
	v_lshlrev_b32_e32 v42, 20, v42
	v_and_b32_e32 v51, 0x80000000, v51
	v_lshl_add_u32 v38, v38, 23, v54
	v_or3_b32 v42, v51, v38, v42
.LBB567_147:
	s_or_b64 exec, exec, s[10:11]
.LBB567_148:
	s_or_b64 exec, exec, s[8:9]
.LBB567_149:
	s_or_b64 exec, exec, s[2:3]
	s_mov_b32 s2, 0xffffff
	v_cmp_lt_u32_e32 vcc, s2, v39
	v_mov_b32_e32 v51, 0
	v_mov_b32_e32 v54, 0
	s_and_saveexec_b64 s[2:3], vcc
	s_cbranch_execz .LBB567_155
; %bb.150:
	v_lshrrev_b32_e32 v38, 24, v39
	s_movk_i32 s8, 0x80
	v_cmp_ne_u32_e32 vcc, s8, v38
	v_bfrev_b32_e32 v54, 1
	s_and_saveexec_b64 s[8:9], vcc
	s_cbranch_execz .LBB567_154
; %bb.151:
	v_bfe_u32 v39, v39, 24, 7
	s_movk_i32 s10, 0x7f
	v_cmp_ne_u32_e32 vcc, s10, v39
	v_mov_b32_e32 v54, 0x7f800001
	s_and_saveexec_b64 s[10:11], vcc
	s_cbranch_execz .LBB567_153
; %bb.152:
	v_and_b32_e32 v56, 7, v38
	v_ffbh_u32_e32 v54, v56
	v_min_u32_e32 v58, 32, v54
	v_subrev_u32_e32 v54, 28, v58
	v_lshlrev_b64 v[54:55], v54, v[38:39]
	v_lshrrev_b32_e32 v57, 3, v39
	v_sub_u32_e32 v55, 29, v58
	v_and_b32_e32 v54, 7, v54
	v_cmp_gt_u32_e32 vcc, 8, v39
	v_cndmask_b32_e32 v39, v57, v55, vcc
	v_cndmask_b32_e32 v54, v56, v54, vcc
	v_lshlrev_b32_e32 v38, 24, v38
	v_bfrev_b32_e32 v55, 60
	v_lshlrev_b32_e32 v54, 20, v54
	v_and_b32_e32 v38, 0x80000000, v38
	v_lshl_add_u32 v39, v39, 23, v55
	v_or3_b32 v54, v38, v39, v54
.LBB567_153:
	s_or_b64 exec, exec, s[10:11]
.LBB567_154:
	s_or_b64 exec, exec, s[8:9]
.LBB567_155:
	s_or_b64 exec, exec, s[2:3]
	v_cvt_pkrtz_f16_f32 v38, v50, v44
	v_cvt_pkrtz_f16_f32 v39, v43, v52
	v_cmp_ne_u16_sdwa s[8:9], v40, v51 src0_sel:BYTE_0 src1_sel:DWORD
	s_nop 0
	v_mfma_f32_16x16x16f16 v[56:59], v[38:39], v[26:27], 0
	v_cvt_pkrtz_f16_f32 v38, v45, v53
	v_cvt_pkrtz_f16_f32 v39, v42, v54
	s_nop 1
	v_mfma_f32_16x16x16f16 v[42:45], v[38:39], v[28:29], v[56:59]
	s_and_saveexec_b64 s[2:3], s[8:9]
	s_cbranch_execz .LBB567_161
; %bb.156:
	s_movk_i32 s8, 0x80
	v_cmp_ne_u16_sdwa s[10:11], v40, s8 src0_sel:BYTE_0 src1_sel:DWORD
	v_bfrev_b32_e32 v51, 1
	s_and_saveexec_b64 s[8:9], s[10:11]
	s_cbranch_execz .LBB567_160
; %bb.157:
	s_movk_i32 s10, 0x7f
	v_and_b32_e32 v38, 0x7f, v40
	v_cmp_ne_u32_e32 vcc, s10, v38
	v_mov_b32_e32 v51, 0x7f800001
	s_and_saveexec_b64 s[10:11], vcc
	s_cbranch_execz .LBB567_159
; %bb.158:
	v_and_b32_e32 v39, 7, v40
	v_ffbh_u32_e32 v50, v39
	v_min_u32_e32 v53, 32, v50
	v_subrev_u32_e32 v50, 28, v53
	v_lshlrev_b64 v[50:51], v50, v[40:41]
	v_lshrrev_b32_e32 v52, 3, v38
	v_sub_u32_e32 v51, 29, v53
	v_and_b32_e32 v50, 7, v50
	v_cmp_gt_u32_e32 vcc, 8, v38
	v_cndmask_b32_e32 v38, v52, v51, vcc
	v_cndmask_b32_e32 v39, v39, v50, vcc
	v_lshlrev_b32_e32 v50, 24, v40
	v_bfrev_b32_e32 v51, 60
	v_lshlrev_b32_e32 v39, 20, v39
	v_and_b32_e32 v50, 0x80000000, v50
	v_lshl_add_u32 v38, v38, 23, v51
	v_or3_b32 v51, v50, v38, v39
.LBB567_159:
	s_or_b64 exec, exec, s[10:11]
.LBB567_160:
	s_or_b64 exec, exec, s[8:9]
.LBB567_161:
	s_or_b64 exec, exec, s[2:3]
	v_lshrrev_b16_e32 v38, 8, v40
	v_cmp_ne_u16_e32 vcc, 0, v38
	v_mov_b32_e32 v39, 0
	v_mov_b32_e32 v52, 0
	s_and_saveexec_b64 s[2:3], vcc
	s_cbranch_execz .LBB567_167
; %bb.162:
	s_movk_i32 s8, 0x80
	v_cmp_ne_u16_e32 vcc, s8, v38
	v_bfrev_b32_e32 v52, 1
	s_and_saveexec_b64 s[8:9], vcc
	s_cbranch_execz .LBB567_166
; %bb.163:
	s_movk_i32 s10, 0x7f
	v_and_b32_e32 v50, 0x7f, v38
	v_cmp_ne_u32_e32 vcc, s10, v50
	v_mov_b32_e32 v52, 0x7f800001
	s_and_saveexec_b64 s[10:11], vcc
	s_cbranch_execz .LBB567_165
; %bb.164:
	v_and_b32_e32 v54, 7, v38
	v_ffbh_u32_e32 v52, v54
	v_min_u32_e32 v56, 32, v52
	v_subrev_u32_e32 v52, 28, v56
	v_lshlrev_b64 v[52:53], v52, v[38:39]
	v_lshrrev_b32_e32 v55, 3, v50
	v_sub_u32_e32 v38, 29, v56
	v_and_b32_e32 v52, 7, v52
	v_cmp_gt_u32_e32 vcc, 8, v50
	v_cndmask_b32_e32 v38, v55, v38, vcc
	v_cndmask_b32_e32 v50, v54, v52, vcc
	v_lshlrev_b32_e32 v52, 16, v40
	v_bfrev_b32_e32 v53, 60
	v_lshlrev_b32_e32 v50, 20, v50
	v_and_b32_e32 v52, 0x80000000, v52
	v_lshl_add_u32 v38, v38, 23, v53
	v_or3_b32 v52, v52, v38, v50
.LBB567_165:
	s_or_b64 exec, exec, s[10:11]
.LBB567_166:
	s_or_b64 exec, exec, s[8:9]
.LBB567_167:
	s_or_b64 exec, exec, s[2:3]
	s_movk_i32 s2, 0xff
	v_and_b32_sdwa v50, v40, s2 dst_sel:DWORD dst_unused:UNUSED_PAD src0_sel:WORD_1 src1_sel:DWORD
	v_lshrrev_b32_e32 v38, 16, v40
	v_cmp_ne_u16_e32 vcc, 0, v50
	s_and_saveexec_b64 s[2:3], vcc
	s_cbranch_execz .LBB567_173
; %bb.168:
	s_movk_i32 s8, 0x80
	v_cmp_ne_u16_e32 vcc, s8, v50
	v_bfrev_b32_e32 v39, 1
	s_and_saveexec_b64 s[8:9], vcc
	s_cbranch_execz .LBB567_172
; %bb.169:
	v_bfe_u32 v50, v40, 16, 7
	s_movk_i32 s10, 0x7f
	v_cmp_ne_u32_e32 vcc, s10, v50
	v_mov_b32_e32 v39, 0x7f800001
	s_and_saveexec_b64 s[10:11], vcc
	s_cbranch_execz .LBB567_171
; %bb.170:
	v_and_b32_e32 v53, 7, v38
	v_ffbh_u32_e32 v39, v53
	v_min_u32_e32 v55, 32, v39
	v_subrev_u32_e32 v39, 28, v55
	v_lshlrev_b64 v[38:39], v39, v[38:39]
	v_lshrrev_b32_e32 v54, 3, v50
	v_sub_u32_e32 v39, 29, v55
	v_and_b32_e32 v38, 7, v38
	v_cmp_gt_u32_e32 vcc, 8, v50
	v_mov_b32_e32 v50, 24
	v_cndmask_b32_e32 v39, v54, v39, vcc
	v_cndmask_b32_e32 v38, v53, v38, vcc
	v_lshlrev_b32_sdwa v50, v50, v40 dst_sel:DWORD dst_unused:UNUSED_PAD src0_sel:DWORD src1_sel:WORD_1
	v_bfrev_b32_e32 v53, 60
	v_lshlrev_b32_e32 v38, 20, v38
	v_and_b32_e32 v50, 0x80000000, v50
	v_lshl_add_u32 v39, v39, 23, v53
	v_or3_b32 v39, v50, v39, v38
.LBB567_171:
	s_or_b64 exec, exec, s[10:11]
.LBB567_172:
	s_or_b64 exec, exec, s[8:9]
.LBB567_173:
	s_or_b64 exec, exec, s[2:3]
	s_mov_b32 s2, 0xffffff
	v_cmp_lt_u32_e32 vcc, s2, v40
	v_mov_b32_e32 v53, 0
	v_mov_b32_e32 v54, 0
	s_and_saveexec_b64 s[2:3], vcc
	s_cbranch_execz .LBB567_179
; %bb.174:
	v_lshrrev_b32_e32 v38, 24, v40
	s_movk_i32 s8, 0x80
	v_cmp_ne_u32_e32 vcc, s8, v38
	v_bfrev_b32_e32 v54, 1
	s_and_saveexec_b64 s[8:9], vcc
	s_cbranch_execz .LBB567_178
; %bb.175:
	v_bfe_u32 v40, v40, 24, 7
	s_movk_i32 s10, 0x7f
	v_cmp_ne_u32_e32 vcc, s10, v40
	v_mov_b32_e32 v54, 0x7f800001
	s_and_saveexec_b64 s[10:11], vcc
	s_cbranch_execz .LBB567_177
; %bb.176:
	v_and_b32_e32 v50, 7, v38
	v_ffbh_u32_e32 v54, v50
	v_min_u32_e32 v57, 32, v54
	v_subrev_u32_e32 v54, 28, v57
	v_lshlrev_b64 v[54:55], v54, v[38:39]
	v_lshrrev_b32_e32 v56, 3, v40
	v_sub_u32_e32 v55, 29, v57
	v_and_b32_e32 v54, 7, v54
	v_cmp_gt_u32_e32 vcc, 8, v40
	v_cndmask_b32_e32 v40, v56, v55, vcc
	v_cndmask_b32_e32 v50, v50, v54, vcc
	v_lshlrev_b32_e32 v38, 24, v38
	v_bfrev_b32_e32 v54, 60
	v_lshlrev_b32_e32 v50, 20, v50
	v_and_b32_e32 v38, 0x80000000, v38
	v_lshl_add_u32 v40, v40, 23, v54
	v_or3_b32 v54, v38, v40, v50
.LBB567_177:
	s_or_b64 exec, exec, s[10:11]
.LBB567_178:
	s_or_b64 exec, exec, s[8:9]
.LBB567_179:
	s_or_b64 exec, exec, s[2:3]
	v_cmp_ne_u16_sdwa s[8:9], v41, v53 src0_sel:BYTE_0 src1_sel:DWORD
	s_and_saveexec_b64 s[2:3], s[8:9]
	s_cbranch_execz .LBB567_185
; %bb.180:
	s_movk_i32 s8, 0x80
	v_cmp_ne_u16_sdwa s[10:11], v41, s8 src0_sel:BYTE_0 src1_sel:DWORD
	v_bfrev_b32_e32 v53, 1
	s_and_saveexec_b64 s[8:9], s[10:11]
	s_cbranch_execz .LBB567_184
; %bb.181:
	s_movk_i32 s10, 0x7f
	v_and_b32_e32 v38, 0x7f, v41
	v_cmp_ne_u32_e32 vcc, s10, v38
	v_mov_b32_e32 v53, 0x7f800001
	s_and_saveexec_b64 s[10:11], vcc
	s_cbranch_execz .LBB567_183
; %bb.182:
	v_and_b32_e32 v50, 7, v41
	v_ffbh_u32_e32 v55, v50
	v_min_u32_e32 v55, 32, v55
	v_mov_b32_e32 v40, v41
	v_subrev_u32_e32 v56, 28, v55
	v_lshlrev_b64 v[56:57], v56, v[40:41]
	v_lshrrev_b32_e32 v53, 3, v38
	v_sub_u32_e32 v40, 29, v55
	v_and_b32_e32 v55, 7, v56
	v_cmp_gt_u32_e32 vcc, 8, v38
	v_cndmask_b32_e32 v38, v53, v40, vcc
	v_cndmask_b32_e32 v40, v50, v55, vcc
	v_lshlrev_b32_e32 v50, 24, v41
	v_bfrev_b32_e32 v53, 60
	v_lshlrev_b32_e32 v40, 20, v40
	v_and_b32_e32 v50, 0x80000000, v50
	v_lshl_add_u32 v38, v38, 23, v53
	v_or3_b32 v53, v50, v38, v40
.LBB567_183:
	s_or_b64 exec, exec, s[10:11]
.LBB567_184:
	s_or_b64 exec, exec, s[8:9]
.LBB567_185:
	s_or_b64 exec, exec, s[2:3]
	v_lshrrev_b16_e32 v38, 8, v41
	v_cmp_ne_u16_e32 vcc, 0, v38
	v_mov_b32_e32 v40, 0
	v_mov_b32_e32 v55, 0
	s_and_saveexec_b64 s[2:3], vcc
	s_cbranch_execz .LBB567_191
; %bb.186:
	s_movk_i32 s8, 0x80
	v_cmp_ne_u16_e32 vcc, s8, v38
	v_bfrev_b32_e32 v55, 1
	s_and_saveexec_b64 s[8:9], vcc
	s_cbranch_execz .LBB567_190
; %bb.187:
	s_movk_i32 s10, 0x7f
	v_and_b32_e32 v50, 0x7f, v38
	v_cmp_ne_u32_e32 vcc, s10, v50
	v_mov_b32_e32 v55, 0x7f800001
	s_and_saveexec_b64 s[10:11], vcc
	s_cbranch_execz .LBB567_189
; %bb.188:
	v_and_b32_e32 v55, 7, v38
	v_ffbh_u32_e32 v56, v55
	v_min_u32_e32 v59, 32, v56
	v_subrev_u32_e32 v56, 28, v59
	v_lshlrev_b64 v[56:57], v56, v[38:39]
	v_lshrrev_b32_e32 v58, 3, v50
	v_sub_u32_e32 v38, 29, v59
	v_and_b32_e32 v56, 7, v56
	v_cmp_gt_u32_e32 vcc, 8, v50
	v_cndmask_b32_e32 v38, v58, v38, vcc
	v_cndmask_b32_e32 v50, v55, v56, vcc
	v_lshlrev_b32_e32 v55, 16, v41
	v_bfrev_b32_e32 v56, 60
	v_lshlrev_b32_e32 v50, 20, v50
	v_and_b32_e32 v55, 0x80000000, v55
	v_lshl_add_u32 v38, v38, 23, v56
	v_or3_b32 v55, v55, v38, v50
.LBB567_189:
	s_or_b64 exec, exec, s[10:11]
.LBB567_190:
	s_or_b64 exec, exec, s[8:9]
.LBB567_191:
	s_or_b64 exec, exec, s[2:3]
	s_movk_i32 s2, 0xff
	v_and_b32_sdwa v50, v41, s2 dst_sel:DWORD dst_unused:UNUSED_PAD src0_sel:WORD_1 src1_sel:DWORD
	v_lshrrev_b32_e32 v38, 16, v41
	v_cmp_ne_u16_e32 vcc, 0, v50
	s_and_saveexec_b64 s[2:3], vcc
	s_cbranch_execz .LBB567_197
; %bb.192:
	s_movk_i32 s8, 0x80
	v_cmp_ne_u16_e32 vcc, s8, v50
	v_bfrev_b32_e32 v40, 1
	s_and_saveexec_b64 s[8:9], vcc
	s_cbranch_execz .LBB567_196
; %bb.193:
	v_bfe_u32 v50, v41, 16, 7
	s_movk_i32 s10, 0x7f
	v_cmp_ne_u32_e32 vcc, s10, v50
	v_mov_b32_e32 v40, 0x7f800001
	s_and_saveexec_b64 s[10:11], vcc
	s_cbranch_execz .LBB567_195
; %bb.194:
	v_and_b32_e32 v40, 7, v38
	v_ffbh_u32_e32 v56, v40
	v_min_u32_e32 v59, 32, v56
	v_subrev_u32_e32 v56, 28, v59
	v_lshlrev_b64 v[56:57], v56, v[38:39]
	v_lshrrev_b32_e32 v58, 3, v50
	v_sub_u32_e32 v38, 29, v59
	v_and_b32_e32 v56, 7, v56
	v_cmp_gt_u32_e32 vcc, 8, v50
	v_mov_b32_e32 v50, 24
	v_cndmask_b32_e32 v38, v58, v38, vcc
	v_cndmask_b32_e32 v40, v40, v56, vcc
	v_lshlrev_b32_sdwa v50, v50, v41 dst_sel:DWORD dst_unused:UNUSED_PAD src0_sel:DWORD src1_sel:WORD_1
	v_bfrev_b32_e32 v56, 60
	v_lshlrev_b32_e32 v40, 20, v40
	v_and_b32_e32 v50, 0x80000000, v50
	v_lshl_add_u32 v38, v38, 23, v56
	v_or3_b32 v40, v50, v38, v40
.LBB567_195:
	s_or_b64 exec, exec, s[10:11]
.LBB567_196:
	s_or_b64 exec, exec, s[8:9]
.LBB567_197:
	s_or_b64 exec, exec, s[2:3]
	s_mov_b32 s2, 0xffffff
	v_cmp_lt_u32_e32 vcc, s2, v41
	v_mov_b32_e32 v50, 0
	v_mov_b32_e32 v56, 0
	s_and_saveexec_b64 s[2:3], vcc
	s_cbranch_execz .LBB567_203
; %bb.198:
	v_lshrrev_b32_e32 v38, 24, v41
	s_movk_i32 s8, 0x80
	v_cmp_ne_u32_e32 vcc, s8, v38
	v_bfrev_b32_e32 v56, 1
	s_and_saveexec_b64 s[8:9], vcc
	s_cbranch_execz .LBB567_202
; %bb.199:
	v_bfe_u32 v41, v41, 24, 7
	s_movk_i32 s10, 0x7f
	v_cmp_ne_u32_e32 vcc, s10, v41
	v_mov_b32_e32 v56, 0x7f800001
	s_and_saveexec_b64 s[10:11], vcc
	s_cbranch_execz .LBB567_201
; %bb.200:
	v_and_b32_e32 v58, 7, v38
	v_ffbh_u32_e32 v56, v58
	v_min_u32_e32 v60, 32, v56
	v_subrev_u32_e32 v56, 28, v60
	v_lshlrev_b64 v[56:57], v56, v[38:39]
	v_lshrrev_b32_e32 v59, 3, v41
	v_sub_u32_e32 v57, 29, v60
	v_and_b32_e32 v56, 7, v56
	v_cmp_gt_u32_e32 vcc, 8, v41
	v_cndmask_b32_e32 v41, v59, v57, vcc
	v_cndmask_b32_e32 v56, v58, v56, vcc
	v_lshlrev_b32_e32 v38, 24, v38
	v_bfrev_b32_e32 v57, 60
	v_lshlrev_b32_e32 v56, 20, v56
	v_and_b32_e32 v38, 0x80000000, v38
	v_lshl_add_u32 v41, v41, 23, v57
	v_or3_b32 v56, v38, v41, v56
.LBB567_201:
	s_or_b64 exec, exec, s[10:11]
.LBB567_202:
	s_or_b64 exec, exec, s[8:9]
.LBB567_203:
	s_or_b64 exec, exec, s[2:3]
	v_cvt_pkrtz_f16_f32 v38, v51, v52
	v_cvt_pkrtz_f16_f32 v39, v39, v54
	s_waitcnt vmcnt(5)
	v_cmp_ne_u16_sdwa s[8:9], v34, v50 src0_sel:BYTE_0 src1_sel:DWORD
	v_mfma_f32_16x16x16f16 v[42:45], v[38:39], v[18:19], v[42:45]
	v_cvt_pkrtz_f16_f32 v38, v53, v55
	v_cvt_pkrtz_f16_f32 v39, v40, v56
	s_nop 1
	v_mfma_f32_16x16x16f16 v[38:41], v[38:39], v[20:21], v[42:45]
	s_and_saveexec_b64 s[2:3], s[8:9]
	s_cbranch_execz .LBB567_209
; %bb.204:
	s_movk_i32 s8, 0x80
	v_cmp_ne_u16_sdwa s[10:11], v34, s8 src0_sel:BYTE_0 src1_sel:DWORD
	v_bfrev_b32_e32 v50, 1
	s_and_saveexec_b64 s[8:9], s[10:11]
	s_cbranch_execz .LBB567_208
; %bb.205:
	s_movk_i32 s10, 0x7f
	v_and_b32_e32 v42, 0x7f, v34
	v_cmp_ne_u32_e32 vcc, s10, v42
	v_mov_b32_e32 v50, 0x7f800001
	s_and_saveexec_b64 s[10:11], vcc
	s_cbranch_execz .LBB567_207
; %bb.206:
	v_and_b32_e32 v43, 7, v34
	v_ffbh_u32_e32 v44, v43
	v_min_u32_e32 v51, 32, v44
	v_subrev_u32_e32 v44, 28, v51
	v_lshlrev_b64 v[44:45], v44, v[34:35]
	v_lshrrev_b32_e32 v50, 3, v42
	v_sub_u32_e32 v45, 29, v51
	v_and_b32_e32 v44, 7, v44
	v_cmp_gt_u32_e32 vcc, 8, v42
	v_cndmask_b32_e32 v42, v50, v45, vcc
	v_cndmask_b32_e32 v43, v43, v44, vcc
	v_lshlrev_b32_e32 v44, 24, v34
	v_bfrev_b32_e32 v45, 60
	v_lshlrev_b32_e32 v43, 20, v43
	v_and_b32_e32 v44, 0x80000000, v44
	v_lshl_add_u32 v42, v42, 23, v45
	v_or3_b32 v50, v44, v42, v43
.LBB567_207:
	s_or_b64 exec, exec, s[10:11]
.LBB567_208:
	s_or_b64 exec, exec, s[8:9]
.LBB567_209:
	s_or_b64 exec, exec, s[2:3]
	s_nop 3
	v_lshrrev_b16_e32 v42, 8, v34
	v_cmp_ne_u16_e32 vcc, 0, v42
	v_mov_b32_e32 v43, 0
	v_mov_b32_e32 v44, 0
	s_and_saveexec_b64 s[2:3], vcc
	s_cbranch_execz .LBB567_215
; %bb.210:
	s_movk_i32 s8, 0x80
	v_cmp_ne_u16_e32 vcc, s8, v42
	v_bfrev_b32_e32 v44, 1
	s_and_saveexec_b64 s[8:9], vcc
	s_cbranch_execz .LBB567_214
; %bb.211:
	s_movk_i32 s10, 0x7f
	v_and_b32_e32 v45, 0x7f, v42
	v_cmp_ne_u32_e32 vcc, s10, v45
	v_mov_b32_e32 v44, 0x7f800001
	s_and_saveexec_b64 s[10:11], vcc
	s_cbranch_execz .LBB567_213
; %bb.212:
	v_and_b32_e32 v44, 7, v42
	v_ffbh_u32_e32 v52, v44
	v_min_u32_e32 v54, 32, v52
	v_subrev_u32_e32 v52, 28, v54
	v_lshlrev_b64 v[52:53], v52, v[42:43]
	v_lshrrev_b32_e32 v51, 3, v45
	v_sub_u32_e32 v42, 29, v54
	v_and_b32_e32 v52, 7, v52
	v_cmp_gt_u32_e32 vcc, 8, v45
	v_cndmask_b32_e32 v42, v51, v42, vcc
	v_cndmask_b32_e32 v44, v44, v52, vcc
	v_lshlrev_b32_e32 v45, 16, v34
	v_bfrev_b32_e32 v51, 60
	v_lshlrev_b32_e32 v44, 20, v44
	v_and_b32_e32 v45, 0x80000000, v45
	v_lshl_add_u32 v42, v42, 23, v51
	v_or3_b32 v44, v45, v42, v44
.LBB567_213:
	s_or_b64 exec, exec, s[10:11]
.LBB567_214:
	s_or_b64 exec, exec, s[8:9]
.LBB567_215:
	s_or_b64 exec, exec, s[2:3]
	s_movk_i32 s2, 0xff
	v_and_b32_sdwa v45, v34, s2 dst_sel:DWORD dst_unused:UNUSED_PAD src0_sel:WORD_1 src1_sel:DWORD
	v_lshrrev_b32_e32 v42, 16, v34
	v_cmp_ne_u16_e32 vcc, 0, v45
	s_and_saveexec_b64 s[2:3], vcc
	s_cbranch_execz .LBB567_221
; %bb.216:
	s_movk_i32 s8, 0x80
	v_cmp_ne_u16_e32 vcc, s8, v45
	v_bfrev_b32_e32 v43, 1
	s_and_saveexec_b64 s[8:9], vcc
	s_cbranch_execz .LBB567_220
; %bb.217:
	v_bfe_u32 v45, v34, 16, 7
	s_movk_i32 s10, 0x7f
	v_cmp_ne_u32_e32 vcc, s10, v45
	v_mov_b32_e32 v43, 0x7f800001
	s_and_saveexec_b64 s[10:11], vcc
	s_cbranch_execz .LBB567_219
; %bb.218:
	v_and_b32_e32 v51, 7, v42
	v_ffbh_u32_e32 v43, v51
	v_min_u32_e32 v53, 32, v43
	v_subrev_u32_e32 v43, 28, v53
	v_lshlrev_b64 v[42:43], v43, v[42:43]
	v_lshrrev_b32_e32 v52, 3, v45
	v_sub_u32_e32 v43, 29, v53
	v_and_b32_e32 v42, 7, v42
	v_cmp_gt_u32_e32 vcc, 8, v45
	v_mov_b32_e32 v45, 24
	v_cndmask_b32_e32 v43, v52, v43, vcc
	v_cndmask_b32_e32 v42, v51, v42, vcc
	v_lshlrev_b32_sdwa v45, v45, v34 dst_sel:DWORD dst_unused:UNUSED_PAD src0_sel:DWORD src1_sel:WORD_1
	v_bfrev_b32_e32 v51, 60
	v_lshlrev_b32_e32 v42, 20, v42
	v_and_b32_e32 v45, 0x80000000, v45
	v_lshl_add_u32 v43, v43, 23, v51
	v_or3_b32 v43, v45, v43, v42
.LBB567_219:
	s_or_b64 exec, exec, s[10:11]
.LBB567_220:
	s_or_b64 exec, exec, s[8:9]
.LBB567_221:
	s_or_b64 exec, exec, s[2:3]
	s_mov_b32 s2, 0xffffff
	v_cmp_lt_u32_e32 vcc, s2, v34
	v_mov_b32_e32 v45, 0
	v_mov_b32_e32 v52, 0
	s_and_saveexec_b64 s[2:3], vcc
	s_cbranch_execz .LBB567_227
; %bb.222:
	v_lshrrev_b32_e32 v42, 24, v34
	s_movk_i32 s8, 0x80
	v_cmp_ne_u32_e32 vcc, s8, v42
	v_bfrev_b32_e32 v52, 1
	s_and_saveexec_b64 s[8:9], vcc
	s_cbranch_execz .LBB567_226
; %bb.223:
	v_bfe_u32 v34, v34, 24, 7
	s_movk_i32 s10, 0x7f
	v_cmp_ne_u32_e32 vcc, s10, v34
	v_mov_b32_e32 v52, 0x7f800001
	s_and_saveexec_b64 s[10:11], vcc
	s_cbranch_execz .LBB567_225
; %bb.224:
	v_and_b32_e32 v51, 7, v42
	v_ffbh_u32_e32 v52, v51
	v_min_u32_e32 v55, 32, v52
	v_subrev_u32_e32 v52, 28, v55
	v_lshlrev_b64 v[52:53], v52, v[42:43]
	v_lshrrev_b32_e32 v54, 3, v34
	v_sub_u32_e32 v53, 29, v55
	v_and_b32_e32 v52, 7, v52
	v_cmp_gt_u32_e32 vcc, 8, v34
	v_cndmask_b32_e32 v34, v54, v53, vcc
	v_cndmask_b32_e32 v51, v51, v52, vcc
	v_lshlrev_b32_e32 v42, 24, v42
	v_bfrev_b32_e32 v52, 60
	v_lshlrev_b32_e32 v51, 20, v51
	v_and_b32_e32 v42, 0x80000000, v42
	v_lshl_add_u32 v34, v34, 23, v52
	v_or3_b32 v52, v42, v34, v51
.LBB567_225:
	s_or_b64 exec, exec, s[10:11]
.LBB567_226:
	s_or_b64 exec, exec, s[8:9]
.LBB567_227:
	s_or_b64 exec, exec, s[2:3]
	v_cmp_ne_u16_sdwa s[8:9], v35, v45 src0_sel:BYTE_0 src1_sel:DWORD
	s_and_saveexec_b64 s[2:3], s[8:9]
	s_cbranch_execz .LBB567_233
; %bb.228:
	s_movk_i32 s8, 0x80
	v_cmp_ne_u16_sdwa s[10:11], v35, s8 src0_sel:BYTE_0 src1_sel:DWORD
	v_bfrev_b32_e32 v45, 1
	s_and_saveexec_b64 s[8:9], s[10:11]
	s_cbranch_execz .LBB567_232
; %bb.229:
	s_movk_i32 s10, 0x7f
	v_and_b32_e32 v34, 0x7f, v35
	v_cmp_ne_u32_e32 vcc, s10, v34
	v_mov_b32_e32 v45, 0x7f800001
	s_and_saveexec_b64 s[10:11], vcc
	s_cbranch_execz .LBB567_231
; %bb.230:
	v_and_b32_e32 v45, 7, v35
	v_ffbh_u32_e32 v53, v45
	v_min_u32_e32 v53, 32, v53
	v_mov_b32_e32 v42, v35
	v_subrev_u32_e32 v54, 28, v53
	v_lshlrev_b64 v[54:55], v54, v[42:43]
	v_lshrrev_b32_e32 v51, 3, v34
	v_sub_u32_e32 v42, 29, v53
	v_and_b32_e32 v53, 7, v54
	v_cmp_gt_u32_e32 vcc, 8, v34
	v_cndmask_b32_e32 v34, v51, v42, vcc
	v_cndmask_b32_e32 v42, v45, v53, vcc
	v_lshlrev_b32_e32 v45, 24, v35
	v_bfrev_b32_e32 v51, 60
	v_lshlrev_b32_e32 v42, 20, v42
	v_and_b32_e32 v45, 0x80000000, v45
	v_lshl_add_u32 v34, v34, 23, v51
	v_or3_b32 v45, v45, v34, v42
.LBB567_231:
	s_or_b64 exec, exec, s[10:11]
.LBB567_232:
	s_or_b64 exec, exec, s[8:9]
.LBB567_233:
	s_or_b64 exec, exec, s[2:3]
	v_lshrrev_b16_e32 v34, 8, v35
	v_cmp_ne_u16_e32 vcc, 0, v34
	v_mov_b32_e32 v42, 0
	v_mov_b32_e32 v53, 0
	s_and_saveexec_b64 s[2:3], vcc
	s_cbranch_execz .LBB567_239
; %bb.234:
	s_movk_i32 s8, 0x80
	v_cmp_ne_u16_e32 vcc, s8, v34
	v_bfrev_b32_e32 v53, 1
	s_and_saveexec_b64 s[8:9], vcc
	s_cbranch_execz .LBB567_238
; %bb.235:
	s_movk_i32 s10, 0x7f
	v_and_b32_e32 v51, 0x7f, v34
	v_cmp_ne_u32_e32 vcc, s10, v51
	v_mov_b32_e32 v53, 0x7f800001
	s_and_saveexec_b64 s[10:11], vcc
	s_cbranch_execz .LBB567_237
; %bb.236:
	v_and_b32_e32 v53, 7, v34
	v_ffbh_u32_e32 v54, v53
	v_min_u32_e32 v57, 32, v54
	v_subrev_u32_e32 v54, 28, v57
	v_lshlrev_b64 v[54:55], v54, v[34:35]
	v_lshrrev_b32_e32 v56, 3, v51
	v_sub_u32_e32 v34, 29, v57
	v_and_b32_e32 v54, 7, v54
	v_cmp_gt_u32_e32 vcc, 8, v51
	v_cndmask_b32_e32 v34, v56, v34, vcc
	v_cndmask_b32_e32 v51, v53, v54, vcc
	v_lshlrev_b32_e32 v53, 16, v35
	v_bfrev_b32_e32 v54, 60
	v_lshlrev_b32_e32 v51, 20, v51
	v_and_b32_e32 v53, 0x80000000, v53
	v_lshl_add_u32 v34, v34, 23, v54
	v_or3_b32 v53, v53, v34, v51
.LBB567_237:
	s_or_b64 exec, exec, s[10:11]
.LBB567_238:
	s_or_b64 exec, exec, s[8:9]
.LBB567_239:
	s_or_b64 exec, exec, s[2:3]
	s_movk_i32 s2, 0xff
	v_and_b32_sdwa v51, v35, s2 dst_sel:DWORD dst_unused:UNUSED_PAD src0_sel:WORD_1 src1_sel:DWORD
	v_lshrrev_b32_e32 v34, 16, v35
	v_cmp_ne_u16_e32 vcc, 0, v51
	s_and_saveexec_b64 s[2:3], vcc
	s_cbranch_execz .LBB567_245
; %bb.240:
	s_movk_i32 s8, 0x80
	v_cmp_ne_u16_e32 vcc, s8, v51
	v_bfrev_b32_e32 v42, 1
	s_and_saveexec_b64 s[8:9], vcc
	s_cbranch_execz .LBB567_244
; %bb.241:
	v_bfe_u32 v51, v35, 16, 7
	s_movk_i32 s10, 0x7f
	v_cmp_ne_u32_e32 vcc, s10, v51
	v_mov_b32_e32 v42, 0x7f800001
	s_and_saveexec_b64 s[10:11], vcc
	s_cbranch_execz .LBB567_243
; %bb.242:
	v_and_b32_e32 v42, 7, v34
	v_ffbh_u32_e32 v54, v42
	v_min_u32_e32 v57, 32, v54
	v_subrev_u32_e32 v54, 28, v57
	v_lshlrev_b64 v[54:55], v54, v[34:35]
	v_lshrrev_b32_e32 v56, 3, v51
	v_sub_u32_e32 v34, 29, v57
	v_and_b32_e32 v54, 7, v54
	v_cmp_gt_u32_e32 vcc, 8, v51
	v_mov_b32_e32 v51, 24
	v_cndmask_b32_e32 v34, v56, v34, vcc
	v_cndmask_b32_e32 v42, v42, v54, vcc
	v_lshlrev_b32_sdwa v51, v51, v35 dst_sel:DWORD dst_unused:UNUSED_PAD src0_sel:DWORD src1_sel:WORD_1
	v_bfrev_b32_e32 v54, 60
	v_lshlrev_b32_e32 v42, 20, v42
	v_and_b32_e32 v51, 0x80000000, v51
	v_lshl_add_u32 v34, v34, 23, v54
	v_or3_b32 v42, v51, v34, v42
.LBB567_243:
	s_or_b64 exec, exec, s[10:11]
.LBB567_244:
	s_or_b64 exec, exec, s[8:9]
.LBB567_245:
	s_or_b64 exec, exec, s[2:3]
	s_mov_b32 s2, 0xffffff
	v_cmp_lt_u32_e32 vcc, s2, v35
	v_mov_b32_e32 v51, 0
	v_mov_b32_e32 v54, 0
	s_and_saveexec_b64 s[2:3], vcc
	s_cbranch_execz .LBB567_251
; %bb.246:
	v_lshrrev_b32_e32 v34, 24, v35
	s_movk_i32 s8, 0x80
	v_cmp_ne_u32_e32 vcc, s8, v34
	v_bfrev_b32_e32 v54, 1
	s_and_saveexec_b64 s[8:9], vcc
	s_cbranch_execz .LBB567_250
; %bb.247:
	v_bfe_u32 v35, v35, 24, 7
	s_movk_i32 s10, 0x7f
	v_cmp_ne_u32_e32 vcc, s10, v35
	v_mov_b32_e32 v54, 0x7f800001
	s_and_saveexec_b64 s[10:11], vcc
	s_cbranch_execz .LBB567_249
; %bb.248:
	v_and_b32_e32 v56, 7, v34
	v_ffbh_u32_e32 v54, v56
	v_min_u32_e32 v58, 32, v54
	v_subrev_u32_e32 v54, 28, v58
	v_lshlrev_b64 v[54:55], v54, v[34:35]
	v_lshrrev_b32_e32 v57, 3, v35
	v_sub_u32_e32 v55, 29, v58
	v_and_b32_e32 v54, 7, v54
	v_cmp_gt_u32_e32 vcc, 8, v35
	v_cndmask_b32_e32 v35, v57, v55, vcc
	v_cndmask_b32_e32 v54, v56, v54, vcc
	v_lshlrev_b32_e32 v34, 24, v34
	v_bfrev_b32_e32 v55, 60
	v_lshlrev_b32_e32 v54, 20, v54
	v_and_b32_e32 v34, 0x80000000, v34
	v_lshl_add_u32 v35, v35, 23, v55
	v_or3_b32 v54, v34, v35, v54
.LBB567_249:
	s_or_b64 exec, exec, s[10:11]
.LBB567_250:
	s_or_b64 exec, exec, s[8:9]
.LBB567_251:
	s_or_b64 exec, exec, s[2:3]
	v_cvt_pkrtz_f16_f32 v34, v50, v44
	v_cvt_pkrtz_f16_f32 v35, v43, v52
	v_cmp_ne_u16_sdwa s[8:9], v36, v51 src0_sel:BYTE_0 src1_sel:DWORD
	s_nop 0
	v_mfma_f32_16x16x16f16 v[56:59], v[34:35], v[26:27], 0
	v_cvt_pkrtz_f16_f32 v34, v45, v53
	v_cvt_pkrtz_f16_f32 v35, v42, v54
	s_nop 1
	v_mfma_f32_16x16x16f16 v[42:45], v[34:35], v[28:29], v[56:59]
	s_and_saveexec_b64 s[2:3], s[8:9]
	s_cbranch_execz .LBB567_257
; %bb.252:
	s_movk_i32 s8, 0x80
	v_cmp_ne_u16_sdwa s[10:11], v36, s8 src0_sel:BYTE_0 src1_sel:DWORD
	v_bfrev_b32_e32 v51, 1
	s_and_saveexec_b64 s[8:9], s[10:11]
	s_cbranch_execz .LBB567_256
; %bb.253:
	s_movk_i32 s10, 0x7f
	v_and_b32_e32 v34, 0x7f, v36
	v_cmp_ne_u32_e32 vcc, s10, v34
	v_mov_b32_e32 v51, 0x7f800001
	s_and_saveexec_b64 s[10:11], vcc
	s_cbranch_execz .LBB567_255
; %bb.254:
	v_and_b32_e32 v35, 7, v36
	v_ffbh_u32_e32 v50, v35
	v_min_u32_e32 v53, 32, v50
	v_subrev_u32_e32 v50, 28, v53
	v_lshlrev_b64 v[50:51], v50, v[36:37]
	v_lshrrev_b32_e32 v52, 3, v34
	v_sub_u32_e32 v51, 29, v53
	v_and_b32_e32 v50, 7, v50
	v_cmp_gt_u32_e32 vcc, 8, v34
	v_cndmask_b32_e32 v34, v52, v51, vcc
	v_cndmask_b32_e32 v35, v35, v50, vcc
	v_lshlrev_b32_e32 v50, 24, v36
	v_bfrev_b32_e32 v51, 60
	v_lshlrev_b32_e32 v35, 20, v35
	v_and_b32_e32 v50, 0x80000000, v50
	v_lshl_add_u32 v34, v34, 23, v51
	v_or3_b32 v51, v50, v34, v35
.LBB567_255:
	s_or_b64 exec, exec, s[10:11]
.LBB567_256:
	s_or_b64 exec, exec, s[8:9]
.LBB567_257:
	s_or_b64 exec, exec, s[2:3]
	v_lshrrev_b16_e32 v34, 8, v36
	v_cmp_ne_u16_e32 vcc, 0, v34
	v_mov_b32_e32 v35, 0
	v_mov_b32_e32 v52, 0
	s_and_saveexec_b64 s[2:3], vcc
	s_cbranch_execz .LBB567_263
; %bb.258:
	s_movk_i32 s8, 0x80
	v_cmp_ne_u16_e32 vcc, s8, v34
	v_bfrev_b32_e32 v52, 1
	s_and_saveexec_b64 s[8:9], vcc
	s_cbranch_execz .LBB567_262
; %bb.259:
	s_movk_i32 s10, 0x7f
	v_and_b32_e32 v50, 0x7f, v34
	v_cmp_ne_u32_e32 vcc, s10, v50
	v_mov_b32_e32 v52, 0x7f800001
	s_and_saveexec_b64 s[10:11], vcc
	s_cbranch_execz .LBB567_261
; %bb.260:
	v_and_b32_e32 v54, 7, v34
	v_ffbh_u32_e32 v52, v54
	v_min_u32_e32 v56, 32, v52
	v_subrev_u32_e32 v52, 28, v56
	v_lshlrev_b64 v[52:53], v52, v[34:35]
	v_lshrrev_b32_e32 v55, 3, v50
	v_sub_u32_e32 v34, 29, v56
	v_and_b32_e32 v52, 7, v52
	v_cmp_gt_u32_e32 vcc, 8, v50
	v_cndmask_b32_e32 v34, v55, v34, vcc
	v_cndmask_b32_e32 v50, v54, v52, vcc
	v_lshlrev_b32_e32 v52, 16, v36
	v_bfrev_b32_e32 v53, 60
	v_lshlrev_b32_e32 v50, 20, v50
	v_and_b32_e32 v52, 0x80000000, v52
	v_lshl_add_u32 v34, v34, 23, v53
	v_or3_b32 v52, v52, v34, v50
.LBB567_261:
	s_or_b64 exec, exec, s[10:11]
.LBB567_262:
	s_or_b64 exec, exec, s[8:9]
.LBB567_263:
	s_or_b64 exec, exec, s[2:3]
	s_movk_i32 s2, 0xff
	v_and_b32_sdwa v50, v36, s2 dst_sel:DWORD dst_unused:UNUSED_PAD src0_sel:WORD_1 src1_sel:DWORD
	v_lshrrev_b32_e32 v34, 16, v36
	v_cmp_ne_u16_e32 vcc, 0, v50
	s_and_saveexec_b64 s[2:3], vcc
	s_cbranch_execz .LBB567_269
; %bb.264:
	s_movk_i32 s8, 0x80
	v_cmp_ne_u16_e32 vcc, s8, v50
	v_bfrev_b32_e32 v35, 1
	s_and_saveexec_b64 s[8:9], vcc
	s_cbranch_execz .LBB567_268
; %bb.265:
	v_bfe_u32 v50, v36, 16, 7
	s_movk_i32 s10, 0x7f
	v_cmp_ne_u32_e32 vcc, s10, v50
	v_mov_b32_e32 v35, 0x7f800001
	s_and_saveexec_b64 s[10:11], vcc
	s_cbranch_execz .LBB567_267
; %bb.266:
	v_and_b32_e32 v53, 7, v34
	v_ffbh_u32_e32 v35, v53
	v_min_u32_e32 v55, 32, v35
	v_subrev_u32_e32 v35, 28, v55
	v_lshlrev_b64 v[34:35], v35, v[34:35]
	v_lshrrev_b32_e32 v54, 3, v50
	v_sub_u32_e32 v35, 29, v55
	v_and_b32_e32 v34, 7, v34
	v_cmp_gt_u32_e32 vcc, 8, v50
	v_mov_b32_e32 v50, 24
	v_cndmask_b32_e32 v35, v54, v35, vcc
	v_cndmask_b32_e32 v34, v53, v34, vcc
	v_lshlrev_b32_sdwa v50, v50, v36 dst_sel:DWORD dst_unused:UNUSED_PAD src0_sel:DWORD src1_sel:WORD_1
	v_bfrev_b32_e32 v53, 60
	v_lshlrev_b32_e32 v34, 20, v34
	v_and_b32_e32 v50, 0x80000000, v50
	v_lshl_add_u32 v35, v35, 23, v53
	v_or3_b32 v35, v50, v35, v34
.LBB567_267:
	s_or_b64 exec, exec, s[10:11]
.LBB567_268:
	s_or_b64 exec, exec, s[8:9]
.LBB567_269:
	s_or_b64 exec, exec, s[2:3]
	s_mov_b32 s2, 0xffffff
	v_cmp_lt_u32_e32 vcc, s2, v36
	v_mov_b32_e32 v53, 0
	v_mov_b32_e32 v54, 0
	s_and_saveexec_b64 s[2:3], vcc
	s_cbranch_execz .LBB567_275
; %bb.270:
	v_lshrrev_b32_e32 v34, 24, v36
	s_movk_i32 s8, 0x80
	v_cmp_ne_u32_e32 vcc, s8, v34
	v_bfrev_b32_e32 v54, 1
	s_and_saveexec_b64 s[8:9], vcc
	s_cbranch_execz .LBB567_274
; %bb.271:
	v_bfe_u32 v36, v36, 24, 7
	s_movk_i32 s10, 0x7f
	v_cmp_ne_u32_e32 vcc, s10, v36
	v_mov_b32_e32 v54, 0x7f800001
	s_and_saveexec_b64 s[10:11], vcc
	s_cbranch_execz .LBB567_273
; %bb.272:
	v_and_b32_e32 v50, 7, v34
	v_ffbh_u32_e32 v54, v50
	v_min_u32_e32 v57, 32, v54
	v_subrev_u32_e32 v54, 28, v57
	v_lshlrev_b64 v[54:55], v54, v[34:35]
	v_lshrrev_b32_e32 v56, 3, v36
	v_sub_u32_e32 v55, 29, v57
	v_and_b32_e32 v54, 7, v54
	v_cmp_gt_u32_e32 vcc, 8, v36
	v_cndmask_b32_e32 v36, v56, v55, vcc
	v_cndmask_b32_e32 v50, v50, v54, vcc
	v_lshlrev_b32_e32 v34, 24, v34
	v_bfrev_b32_e32 v54, 60
	v_lshlrev_b32_e32 v50, 20, v50
	v_and_b32_e32 v34, 0x80000000, v34
	v_lshl_add_u32 v36, v36, 23, v54
	v_or3_b32 v54, v34, v36, v50
.LBB567_273:
	s_or_b64 exec, exec, s[10:11]
.LBB567_274:
	s_or_b64 exec, exec, s[8:9]
.LBB567_275:
	s_or_b64 exec, exec, s[2:3]
	v_cmp_ne_u16_sdwa s[8:9], v37, v53 src0_sel:BYTE_0 src1_sel:DWORD
	s_and_saveexec_b64 s[2:3], s[8:9]
	s_cbranch_execz .LBB567_281
; %bb.276:
	s_movk_i32 s8, 0x80
	v_cmp_ne_u16_sdwa s[10:11], v37, s8 src0_sel:BYTE_0 src1_sel:DWORD
	v_bfrev_b32_e32 v53, 1
	s_and_saveexec_b64 s[8:9], s[10:11]
	s_cbranch_execz .LBB567_280
; %bb.277:
	s_movk_i32 s10, 0x7f
	v_and_b32_e32 v34, 0x7f, v37
	v_cmp_ne_u32_e32 vcc, s10, v34
	v_mov_b32_e32 v53, 0x7f800001
	s_and_saveexec_b64 s[10:11], vcc
	s_cbranch_execz .LBB567_279
; %bb.278:
	v_and_b32_e32 v50, 7, v37
	v_ffbh_u32_e32 v55, v50
	v_min_u32_e32 v55, 32, v55
	v_mov_b32_e32 v36, v37
	v_subrev_u32_e32 v56, 28, v55
	v_lshlrev_b64 v[56:57], v56, v[36:37]
	v_lshrrev_b32_e32 v53, 3, v34
	v_sub_u32_e32 v36, 29, v55
	v_and_b32_e32 v55, 7, v56
	v_cmp_gt_u32_e32 vcc, 8, v34
	v_cndmask_b32_e32 v34, v53, v36, vcc
	v_cndmask_b32_e32 v36, v50, v55, vcc
	v_lshlrev_b32_e32 v50, 24, v37
	v_bfrev_b32_e32 v53, 60
	v_lshlrev_b32_e32 v36, 20, v36
	v_and_b32_e32 v50, 0x80000000, v50
	v_lshl_add_u32 v34, v34, 23, v53
	v_or3_b32 v53, v50, v34, v36
.LBB567_279:
	s_or_b64 exec, exec, s[10:11]
.LBB567_280:
	s_or_b64 exec, exec, s[8:9]
.LBB567_281:
	s_or_b64 exec, exec, s[2:3]
	v_lshrrev_b16_e32 v34, 8, v37
	v_cmp_ne_u16_e32 vcc, 0, v34
	v_mov_b32_e32 v36, 0
	v_mov_b32_e32 v55, 0
	s_and_saveexec_b64 s[2:3], vcc
	s_cbranch_execz .LBB567_287
; %bb.282:
	s_movk_i32 s8, 0x80
	v_cmp_ne_u16_e32 vcc, s8, v34
	v_bfrev_b32_e32 v55, 1
	s_and_saveexec_b64 s[8:9], vcc
	s_cbranch_execz .LBB567_286
; %bb.283:
	s_movk_i32 s10, 0x7f
	v_and_b32_e32 v50, 0x7f, v34
	v_cmp_ne_u32_e32 vcc, s10, v50
	v_mov_b32_e32 v55, 0x7f800001
	s_and_saveexec_b64 s[10:11], vcc
	s_cbranch_execz .LBB567_285
; %bb.284:
	v_and_b32_e32 v55, 7, v34
	v_ffbh_u32_e32 v56, v55
	v_min_u32_e32 v59, 32, v56
	v_subrev_u32_e32 v56, 28, v59
	v_lshlrev_b64 v[56:57], v56, v[34:35]
	v_lshrrev_b32_e32 v58, 3, v50
	v_sub_u32_e32 v34, 29, v59
	v_and_b32_e32 v56, 7, v56
	v_cmp_gt_u32_e32 vcc, 8, v50
	v_cndmask_b32_e32 v34, v58, v34, vcc
	v_cndmask_b32_e32 v50, v55, v56, vcc
	v_lshlrev_b32_e32 v55, 16, v37
	v_bfrev_b32_e32 v56, 60
	v_lshlrev_b32_e32 v50, 20, v50
	v_and_b32_e32 v55, 0x80000000, v55
	v_lshl_add_u32 v34, v34, 23, v56
	v_or3_b32 v55, v55, v34, v50
.LBB567_285:
	s_or_b64 exec, exec, s[10:11]
.LBB567_286:
	s_or_b64 exec, exec, s[8:9]
.LBB567_287:
	s_or_b64 exec, exec, s[2:3]
	s_movk_i32 s2, 0xff
	v_and_b32_sdwa v50, v37, s2 dst_sel:DWORD dst_unused:UNUSED_PAD src0_sel:WORD_1 src1_sel:DWORD
	v_lshrrev_b32_e32 v34, 16, v37
	v_cmp_ne_u16_e32 vcc, 0, v50
	s_and_saveexec_b64 s[2:3], vcc
	s_cbranch_execz .LBB567_293
; %bb.288:
	s_movk_i32 s8, 0x80
	v_cmp_ne_u16_e32 vcc, s8, v50
	v_bfrev_b32_e32 v36, 1
	s_and_saveexec_b64 s[8:9], vcc
	s_cbranch_execz .LBB567_292
; %bb.289:
	v_bfe_u32 v50, v37, 16, 7
	s_movk_i32 s10, 0x7f
	v_cmp_ne_u32_e32 vcc, s10, v50
	v_mov_b32_e32 v36, 0x7f800001
	s_and_saveexec_b64 s[10:11], vcc
	s_cbranch_execz .LBB567_291
; %bb.290:
	v_and_b32_e32 v36, 7, v34
	v_ffbh_u32_e32 v56, v36
	v_min_u32_e32 v59, 32, v56
	v_subrev_u32_e32 v56, 28, v59
	v_lshlrev_b64 v[56:57], v56, v[34:35]
	v_lshrrev_b32_e32 v58, 3, v50
	v_sub_u32_e32 v34, 29, v59
	v_and_b32_e32 v56, 7, v56
	v_cmp_gt_u32_e32 vcc, 8, v50
	v_mov_b32_e32 v50, 24
	v_cndmask_b32_e32 v34, v58, v34, vcc
	v_cndmask_b32_e32 v36, v36, v56, vcc
	v_lshlrev_b32_sdwa v50, v50, v37 dst_sel:DWORD dst_unused:UNUSED_PAD src0_sel:DWORD src1_sel:WORD_1
	v_bfrev_b32_e32 v56, 60
	v_lshlrev_b32_e32 v36, 20, v36
	v_and_b32_e32 v50, 0x80000000, v50
	v_lshl_add_u32 v34, v34, 23, v56
	v_or3_b32 v36, v50, v34, v36
.LBB567_291:
	s_or_b64 exec, exec, s[10:11]
.LBB567_292:
	s_or_b64 exec, exec, s[8:9]
.LBB567_293:
	s_or_b64 exec, exec, s[2:3]
	s_mov_b32 s2, 0xffffff
	v_cmp_lt_u32_e32 vcc, s2, v37
	v_mov_b32_e32 v50, 0
	v_mov_b32_e32 v56, 0
	s_and_saveexec_b64 s[2:3], vcc
	s_cbranch_execz .LBB567_299
; %bb.294:
	v_lshrrev_b32_e32 v34, 24, v37
	s_movk_i32 s8, 0x80
	v_cmp_ne_u32_e32 vcc, s8, v34
	v_bfrev_b32_e32 v56, 1
	s_and_saveexec_b64 s[8:9], vcc
	s_cbranch_execz .LBB567_298
; %bb.295:
	v_bfe_u32 v37, v37, 24, 7
	s_movk_i32 s10, 0x7f
	v_cmp_ne_u32_e32 vcc, s10, v37
	v_mov_b32_e32 v56, 0x7f800001
	s_and_saveexec_b64 s[10:11], vcc
	s_cbranch_execz .LBB567_297
; %bb.296:
	v_and_b32_e32 v58, 7, v34
	v_ffbh_u32_e32 v56, v58
	v_min_u32_e32 v60, 32, v56
	v_subrev_u32_e32 v56, 28, v60
	v_lshlrev_b64 v[56:57], v56, v[34:35]
	v_lshrrev_b32_e32 v59, 3, v37
	v_sub_u32_e32 v57, 29, v60
	v_and_b32_e32 v56, 7, v56
	v_cmp_gt_u32_e32 vcc, 8, v37
	v_cndmask_b32_e32 v37, v59, v57, vcc
	v_cndmask_b32_e32 v56, v58, v56, vcc
	v_lshlrev_b32_e32 v34, 24, v34
	v_bfrev_b32_e32 v57, 60
	v_lshlrev_b32_e32 v56, 20, v56
	v_and_b32_e32 v34, 0x80000000, v34
	v_lshl_add_u32 v37, v37, 23, v57
	v_or3_b32 v56, v34, v37, v56
.LBB567_297:
	s_or_b64 exec, exec, s[10:11]
.LBB567_298:
	s_or_b64 exec, exec, s[8:9]
.LBB567_299:
	s_or_b64 exec, exec, s[2:3]
	v_cvt_pkrtz_f16_f32 v34, v51, v52
	v_cvt_pkrtz_f16_f32 v35, v35, v54
	s_waitcnt vmcnt(4)
	v_cmp_ne_u16_sdwa s[8:9], v22, v50 src0_sel:BYTE_0 src1_sel:DWORD
	v_mfma_f32_16x16x16f16 v[42:45], v[34:35], v[18:19], v[42:45]
	v_cvt_pkrtz_f16_f32 v34, v53, v55
	v_cvt_pkrtz_f16_f32 v35, v36, v56
	s_nop 1
	v_mfma_f32_16x16x16f16 v[34:37], v[34:35], v[20:21], v[42:45]
	s_and_saveexec_b64 s[2:3], s[8:9]
	s_cbranch_execz .LBB567_305
; %bb.300:
	s_movk_i32 s8, 0x80
	v_cmp_ne_u16_sdwa s[10:11], v22, s8 src0_sel:BYTE_0 src1_sel:DWORD
	v_bfrev_b32_e32 v50, 1
	s_and_saveexec_b64 s[8:9], s[10:11]
	s_cbranch_execz .LBB567_304
; %bb.301:
	s_movk_i32 s10, 0x7f
	v_and_b32_e32 v42, 0x7f, v22
	v_cmp_ne_u32_e32 vcc, s10, v42
	v_mov_b32_e32 v50, 0x7f800001
	s_and_saveexec_b64 s[10:11], vcc
	s_cbranch_execz .LBB567_303
; %bb.302:
	v_and_b32_e32 v43, 7, v22
	v_ffbh_u32_e32 v44, v43
	v_min_u32_e32 v51, 32, v44
	v_subrev_u32_e32 v44, 28, v51
	v_lshlrev_b64 v[44:45], v44, v[22:23]
	v_lshrrev_b32_e32 v50, 3, v42
	v_sub_u32_e32 v45, 29, v51
	v_and_b32_e32 v44, 7, v44
	v_cmp_gt_u32_e32 vcc, 8, v42
	v_cndmask_b32_e32 v42, v50, v45, vcc
	v_cndmask_b32_e32 v43, v43, v44, vcc
	v_lshlrev_b32_e32 v44, 24, v22
	v_bfrev_b32_e32 v45, 60
	v_lshlrev_b32_e32 v43, 20, v43
	v_and_b32_e32 v44, 0x80000000, v44
	v_lshl_add_u32 v42, v42, 23, v45
	v_or3_b32 v50, v44, v42, v43
.LBB567_303:
	s_or_b64 exec, exec, s[10:11]
.LBB567_304:
	s_or_b64 exec, exec, s[8:9]
.LBB567_305:
	s_or_b64 exec, exec, s[2:3]
	s_nop 3
	v_lshrrev_b16_e32 v42, 8, v22
	v_cmp_ne_u16_e32 vcc, 0, v42
	v_mov_b32_e32 v43, 0
	v_mov_b32_e32 v44, 0
	s_and_saveexec_b64 s[2:3], vcc
	s_cbranch_execz .LBB567_311
; %bb.306:
	s_movk_i32 s8, 0x80
	v_cmp_ne_u16_e32 vcc, s8, v42
	v_bfrev_b32_e32 v44, 1
	s_and_saveexec_b64 s[8:9], vcc
	s_cbranch_execz .LBB567_310
; %bb.307:
	s_movk_i32 s10, 0x7f
	v_and_b32_e32 v45, 0x7f, v42
	v_cmp_ne_u32_e32 vcc, s10, v45
	v_mov_b32_e32 v44, 0x7f800001
	s_and_saveexec_b64 s[10:11], vcc
	s_cbranch_execz .LBB567_309
; %bb.308:
	v_and_b32_e32 v44, 7, v42
	v_ffbh_u32_e32 v52, v44
	v_min_u32_e32 v54, 32, v52
	v_subrev_u32_e32 v52, 28, v54
	v_lshlrev_b64 v[52:53], v52, v[42:43]
	v_lshrrev_b32_e32 v51, 3, v45
	v_sub_u32_e32 v42, 29, v54
	v_and_b32_e32 v52, 7, v52
	v_cmp_gt_u32_e32 vcc, 8, v45
	v_cndmask_b32_e32 v42, v51, v42, vcc
	v_cndmask_b32_e32 v44, v44, v52, vcc
	v_lshlrev_b32_e32 v45, 16, v22
	v_bfrev_b32_e32 v51, 60
	v_lshlrev_b32_e32 v44, 20, v44
	v_and_b32_e32 v45, 0x80000000, v45
	v_lshl_add_u32 v42, v42, 23, v51
	v_or3_b32 v44, v45, v42, v44
.LBB567_309:
	s_or_b64 exec, exec, s[10:11]
.LBB567_310:
	s_or_b64 exec, exec, s[8:9]
.LBB567_311:
	s_or_b64 exec, exec, s[2:3]
	s_movk_i32 s2, 0xff
	v_and_b32_sdwa v45, v22, s2 dst_sel:DWORD dst_unused:UNUSED_PAD src0_sel:WORD_1 src1_sel:DWORD
	v_lshrrev_b32_e32 v42, 16, v22
	v_cmp_ne_u16_e32 vcc, 0, v45
	s_and_saveexec_b64 s[2:3], vcc
	s_cbranch_execz .LBB567_317
; %bb.312:
	s_movk_i32 s8, 0x80
	v_cmp_ne_u16_e32 vcc, s8, v45
	v_bfrev_b32_e32 v43, 1
	s_and_saveexec_b64 s[8:9], vcc
	s_cbranch_execz .LBB567_316
; %bb.313:
	v_bfe_u32 v45, v22, 16, 7
	s_movk_i32 s10, 0x7f
	v_cmp_ne_u32_e32 vcc, s10, v45
	v_mov_b32_e32 v43, 0x7f800001
	s_and_saveexec_b64 s[10:11], vcc
	s_cbranch_execz .LBB567_315
; %bb.314:
	v_and_b32_e32 v51, 7, v42
	v_ffbh_u32_e32 v43, v51
	v_min_u32_e32 v53, 32, v43
	v_subrev_u32_e32 v43, 28, v53
	v_lshlrev_b64 v[42:43], v43, v[42:43]
	v_lshrrev_b32_e32 v52, 3, v45
	v_sub_u32_e32 v43, 29, v53
	v_and_b32_e32 v42, 7, v42
	v_cmp_gt_u32_e32 vcc, 8, v45
	v_mov_b32_e32 v45, 24
	v_cndmask_b32_e32 v43, v52, v43, vcc
	v_cndmask_b32_e32 v42, v51, v42, vcc
	v_lshlrev_b32_sdwa v45, v45, v22 dst_sel:DWORD dst_unused:UNUSED_PAD src0_sel:DWORD src1_sel:WORD_1
	v_bfrev_b32_e32 v51, 60
	v_lshlrev_b32_e32 v42, 20, v42
	v_and_b32_e32 v45, 0x80000000, v45
	v_lshl_add_u32 v43, v43, 23, v51
	v_or3_b32 v43, v45, v43, v42
.LBB567_315:
	s_or_b64 exec, exec, s[10:11]
.LBB567_316:
	s_or_b64 exec, exec, s[8:9]
.LBB567_317:
	s_or_b64 exec, exec, s[2:3]
	s_mov_b32 s2, 0xffffff
	v_cmp_lt_u32_e32 vcc, s2, v22
	v_mov_b32_e32 v45, 0
	v_mov_b32_e32 v51, 0
	s_and_saveexec_b64 s[2:3], vcc
	s_cbranch_execz .LBB567_323
; %bb.318:
	v_lshrrev_b32_e32 v42, 24, v22
	s_movk_i32 s8, 0x80
	v_cmp_ne_u32_e32 vcc, s8, v42
	v_bfrev_b32_e32 v51, 1
	s_and_saveexec_b64 s[8:9], vcc
	s_cbranch_execz .LBB567_322
; %bb.319:
	v_bfe_u32 v22, v22, 24, 7
	s_movk_i32 s10, 0x7f
	v_cmp_ne_u32_e32 vcc, s10, v22
	v_mov_b32_e32 v51, 0x7f800001
	s_and_saveexec_b64 s[10:11], vcc
	s_cbranch_execz .LBB567_321
; %bb.320:
	v_and_b32_e32 v51, 7, v42
	v_ffbh_u32_e32 v52, v51
	v_min_u32_e32 v55, 32, v52
	v_subrev_u32_e32 v52, 28, v55
	v_lshlrev_b64 v[52:53], v52, v[42:43]
	v_lshrrev_b32_e32 v54, 3, v22
	v_sub_u32_e32 v53, 29, v55
	v_and_b32_e32 v52, 7, v52
	v_cmp_gt_u32_e32 vcc, 8, v22
	v_cndmask_b32_e32 v22, v54, v53, vcc
	v_cndmask_b32_e32 v51, v51, v52, vcc
	v_lshlrev_b32_e32 v42, 24, v42
	v_bfrev_b32_e32 v52, 60
	v_lshlrev_b32_e32 v51, 20, v51
	v_and_b32_e32 v42, 0x80000000, v42
	v_lshl_add_u32 v22, v22, 23, v52
	v_or3_b32 v51, v42, v22, v51
.LBB567_321:
	s_or_b64 exec, exec, s[10:11]
.LBB567_322:
	s_or_b64 exec, exec, s[8:9]
.LBB567_323:
	s_or_b64 exec, exec, s[2:3]
	v_cmp_ne_u16_sdwa s[8:9], v23, v45 src0_sel:BYTE_0 src1_sel:DWORD
	s_and_saveexec_b64 s[2:3], s[8:9]
	s_cbranch_execz .LBB567_329
; %bb.324:
	s_movk_i32 s8, 0x80
	v_cmp_ne_u16_sdwa s[10:11], v23, s8 src0_sel:BYTE_0 src1_sel:DWORD
	v_bfrev_b32_e32 v45, 1
	s_and_saveexec_b64 s[8:9], s[10:11]
	s_cbranch_execz .LBB567_328
; %bb.325:
	s_movk_i32 s10, 0x7f
	v_and_b32_e32 v22, 0x7f, v23
	v_cmp_ne_u32_e32 vcc, s10, v22
	v_mov_b32_e32 v45, 0x7f800001
	s_and_saveexec_b64 s[10:11], vcc
	s_cbranch_execz .LBB567_327
; %bb.326:
	v_and_b32_e32 v45, 7, v23
	v_ffbh_u32_e32 v52, v45
	v_min_u32_e32 v55, 32, v52
	v_mov_b32_e32 v42, v23
	v_subrev_u32_e32 v52, 28, v55
	v_lshlrev_b64 v[52:53], v52, v[42:43]
	v_lshrrev_b32_e32 v54, 3, v22
	v_sub_u32_e32 v42, 29, v55
	v_and_b32_e32 v52, 7, v52
	v_cmp_gt_u32_e32 vcc, 8, v22
	v_cndmask_b32_e32 v22, v54, v42, vcc
	v_cndmask_b32_e32 v42, v45, v52, vcc
	v_lshlrev_b32_e32 v45, 24, v23
	v_bfrev_b32_e32 v52, 60
	v_lshlrev_b32_e32 v42, 20, v42
	v_and_b32_e32 v45, 0x80000000, v45
	v_lshl_add_u32 v22, v22, 23, v52
	v_or3_b32 v45, v45, v22, v42
.LBB567_327:
	s_or_b64 exec, exec, s[10:11]
.LBB567_328:
	s_or_b64 exec, exec, s[8:9]
.LBB567_329:
	s_or_b64 exec, exec, s[2:3]
	v_lshrrev_b16_e32 v22, 8, v23
	v_cmp_ne_u16_e32 vcc, 0, v22
	v_mov_b32_e32 v52, 0
	v_mov_b32_e32 v53, 0
	s_and_saveexec_b64 s[2:3], vcc
	s_cbranch_execz .LBB567_335
; %bb.330:
	s_movk_i32 s8, 0x80
	v_cmp_ne_u16_e32 vcc, s8, v22
	v_bfrev_b32_e32 v53, 1
	s_and_saveexec_b64 s[8:9], vcc
	s_cbranch_execz .LBB567_334
; %bb.331:
	s_movk_i32 s10, 0x7f
	v_and_b32_e32 v42, 0x7f, v22
	v_cmp_ne_u32_e32 vcc, s10, v42
	v_mov_b32_e32 v53, 0x7f800001
	s_and_saveexec_b64 s[10:11], vcc
	s_cbranch_execz .LBB567_333
; %bb.332:
	v_and_b32_e32 v53, 7, v22
	v_ffbh_u32_e32 v54, v53
	v_min_u32_e32 v57, 32, v54
	v_subrev_u32_e32 v54, 28, v57
	v_lshlrev_b64 v[54:55], v54, v[22:23]
	v_lshrrev_b32_e32 v56, 3, v42
	v_sub_u32_e32 v22, 29, v57
	v_and_b32_e32 v54, 7, v54
	v_cmp_gt_u32_e32 vcc, 8, v42
	v_cndmask_b32_e32 v22, v56, v22, vcc
	v_cndmask_b32_e32 v42, v53, v54, vcc
	v_lshlrev_b32_e32 v53, 16, v23
	v_bfrev_b32_e32 v54, 60
	v_lshlrev_b32_e32 v42, 20, v42
	v_and_b32_e32 v53, 0x80000000, v53
	v_lshl_add_u32 v22, v22, 23, v54
	v_or3_b32 v53, v53, v22, v42
.LBB567_333:
	s_or_b64 exec, exec, s[10:11]
.LBB567_334:
	s_or_b64 exec, exec, s[8:9]
.LBB567_335:
	s_or_b64 exec, exec, s[2:3]
	s_movk_i32 s2, 0xff
	v_and_b32_sdwa v42, v23, s2 dst_sel:DWORD dst_unused:UNUSED_PAD src0_sel:WORD_1 src1_sel:DWORD
	v_lshrrev_b32_e32 v22, 16, v23
	v_cmp_ne_u16_e32 vcc, 0, v42
	s_and_saveexec_b64 s[2:3], vcc
	s_cbranch_execz .LBB567_341
; %bb.336:
	s_movk_i32 s8, 0x80
	v_cmp_ne_u16_e32 vcc, s8, v42
	v_bfrev_b32_e32 v52, 1
	s_and_saveexec_b64 s[8:9], vcc
	s_cbranch_execz .LBB567_340
; %bb.337:
	v_bfe_u32 v42, v23, 16, 7
	s_movk_i32 s10, 0x7f
	v_cmp_ne_u32_e32 vcc, s10, v42
	v_mov_b32_e32 v52, 0x7f800001
	s_and_saveexec_b64 s[10:11], vcc
	s_cbranch_execz .LBB567_339
; %bb.338:
	v_and_b32_e32 v52, 7, v22
	v_ffbh_u32_e32 v54, v52
	v_min_u32_e32 v57, 32, v54
	v_subrev_u32_e32 v54, 28, v57
	v_lshlrev_b64 v[54:55], v54, v[22:23]
	v_and_b32_e32 v54, 7, v54
	v_cmp_gt_u32_e32 vcc, 8, v42
	v_lshrrev_b32_e32 v56, 3, v42
	v_sub_u32_e32 v22, 29, v57
	v_cndmask_b32_e32 v42, v52, v54, vcc
	v_mov_b32_e32 v52, 24
	v_cndmask_b32_e32 v22, v56, v22, vcc
	v_lshlrev_b32_sdwa v52, v52, v23 dst_sel:DWORD dst_unused:UNUSED_PAD src0_sel:DWORD src1_sel:WORD_1
	v_bfrev_b32_e32 v54, 60
	v_lshlrev_b32_e32 v42, 20, v42
	v_and_b32_e32 v52, 0x80000000, v52
	v_lshl_add_u32 v22, v22, 23, v54
	v_or3_b32 v52, v52, v22, v42
.LBB567_339:
	s_or_b64 exec, exec, s[10:11]
.LBB567_340:
	s_or_b64 exec, exec, s[8:9]
.LBB567_341:
	s_or_b64 exec, exec, s[2:3]
	s_mov_b32 s2, 0xffffff
	v_cmp_lt_u32_e32 vcc, s2, v23
	v_mov_b32_e32 v42, 0
	v_mov_b32_e32 v54, 0
	s_and_saveexec_b64 s[2:3], vcc
	s_cbranch_execz .LBB567_347
; %bb.342:
	v_lshrrev_b32_e32 v22, 24, v23
	s_movk_i32 s8, 0x80
	v_cmp_ne_u32_e32 vcc, s8, v22
	v_bfrev_b32_e32 v54, 1
	s_and_saveexec_b64 s[8:9], vcc
	s_cbranch_execz .LBB567_346
; %bb.343:
	v_bfe_u32 v23, v23, 24, 7
	s_movk_i32 s10, 0x7f
	v_cmp_ne_u32_e32 vcc, s10, v23
	v_mov_b32_e32 v54, 0x7f800001
	s_and_saveexec_b64 s[10:11], vcc
	s_cbranch_execz .LBB567_345
; %bb.344:
	v_and_b32_e32 v56, 7, v22
	v_ffbh_u32_e32 v54, v56
	v_min_u32_e32 v58, 32, v54
	v_subrev_u32_e32 v54, 28, v58
	v_lshlrev_b64 v[54:55], v54, v[22:23]
	v_lshrrev_b32_e32 v57, 3, v23
	v_sub_u32_e32 v55, 29, v58
	v_and_b32_e32 v54, 7, v54
	v_cmp_gt_u32_e32 vcc, 8, v23
	v_cndmask_b32_e32 v23, v57, v55, vcc
	v_cndmask_b32_e32 v54, v56, v54, vcc
	v_lshlrev_b32_e32 v22, 24, v22
	v_bfrev_b32_e32 v55, 60
	v_lshlrev_b32_e32 v54, 20, v54
	v_and_b32_e32 v22, 0x80000000, v22
	v_lshl_add_u32 v23, v23, 23, v55
	v_or3_b32 v54, v22, v23, v54
.LBB567_345:
	s_or_b64 exec, exec, s[10:11]
.LBB567_346:
	s_or_b64 exec, exec, s[8:9]
.LBB567_347:
	s_or_b64 exec, exec, s[2:3]
	v_cvt_pkrtz_f16_f32 v22, v50, v44
	v_cvt_pkrtz_f16_f32 v23, v43, v51
	v_cmp_ne_u16_sdwa s[8:9], v24, v42 src0_sel:BYTE_0 src1_sel:DWORD
	s_nop 0
	v_mfma_f32_16x16x16f16 v[56:59], v[22:23], v[26:27], 0
	v_cvt_pkrtz_f16_f32 v22, v45, v53
	v_cvt_pkrtz_f16_f32 v23, v52, v54
	s_nop 1
	v_mfma_f32_16x16x16f16 v[26:29], v[22:23], v[28:29], v[56:59]
	s_and_saveexec_b64 s[2:3], s[8:9]
	s_cbranch_execz .LBB567_353
; %bb.348:
	s_movk_i32 s8, 0x80
	v_cmp_ne_u16_sdwa s[10:11], v24, s8 src0_sel:BYTE_0 src1_sel:DWORD
	v_bfrev_b32_e32 v42, 1
	s_and_saveexec_b64 s[8:9], s[10:11]
	s_cbranch_execz .LBB567_352
; %bb.349:
	s_movk_i32 s10, 0x7f
	v_and_b32_e32 v22, 0x7f, v24
	v_cmp_ne_u32_e32 vcc, s10, v22
	v_mov_b32_e32 v42, 0x7f800001
	s_and_saveexec_b64 s[10:11], vcc
	s_cbranch_execz .LBB567_351
; %bb.350:
	v_and_b32_e32 v23, 7, v24
	v_ffbh_u32_e32 v42, v23
	v_min_u32_e32 v45, 32, v42
	v_subrev_u32_e32 v42, 28, v45
	v_lshlrev_b64 v[42:43], v42, v[24:25]
	v_lshrrev_b32_e32 v44, 3, v22
	v_sub_u32_e32 v43, 29, v45
	v_and_b32_e32 v42, 7, v42
	v_cmp_gt_u32_e32 vcc, 8, v22
	v_cndmask_b32_e32 v22, v44, v43, vcc
	v_cndmask_b32_e32 v23, v23, v42, vcc
	v_lshlrev_b32_e32 v42, 24, v24
	v_bfrev_b32_e32 v43, 60
	v_lshlrev_b32_e32 v23, 20, v23
	v_and_b32_e32 v42, 0x80000000, v42
	v_lshl_add_u32 v22, v22, 23, v43
	v_or3_b32 v42, v42, v22, v23
.LBB567_351:
	s_or_b64 exec, exec, s[10:11]
.LBB567_352:
	s_or_b64 exec, exec, s[8:9]
.LBB567_353:
	s_or_b64 exec, exec, s[2:3]
	v_lshrrev_b16_e32 v22, 8, v24
	v_cmp_ne_u16_e32 vcc, 0, v22
	v_mov_b32_e32 v23, 0
	v_mov_b32_e32 v43, 0
	s_and_saveexec_b64 s[2:3], vcc
	s_cbranch_execz .LBB567_359
; %bb.354:
	s_movk_i32 s8, 0x80
	v_cmp_ne_u16_e32 vcc, s8, v22
	v_bfrev_b32_e32 v43, 1
	s_and_saveexec_b64 s[8:9], vcc
	s_cbranch_execz .LBB567_358
; %bb.355:
	s_movk_i32 s10, 0x7f
	v_and_b32_e32 v44, 0x7f, v22
	v_cmp_ne_u32_e32 vcc, s10, v44
	v_mov_b32_e32 v43, 0x7f800001
	s_and_saveexec_b64 s[10:11], vcc
	s_cbranch_execz .LBB567_357
; %bb.356:
	v_and_b32_e32 v43, 7, v22
	v_ffbh_u32_e32 v50, v43
	v_min_u32_e32 v52, 32, v50
	v_subrev_u32_e32 v50, 28, v52
	v_lshlrev_b64 v[50:51], v50, v[22:23]
	v_lshrrev_b32_e32 v45, 3, v44
	v_sub_u32_e32 v22, 29, v52
	v_and_b32_e32 v50, 7, v50
	v_cmp_gt_u32_e32 vcc, 8, v44
	v_cndmask_b32_e32 v22, v45, v22, vcc
	v_cndmask_b32_e32 v43, v43, v50, vcc
	v_lshlrev_b32_e32 v44, 16, v24
	v_bfrev_b32_e32 v45, 60
	v_lshlrev_b32_e32 v43, 20, v43
	v_and_b32_e32 v44, 0x80000000, v44
	v_lshl_add_u32 v22, v22, 23, v45
	v_or3_b32 v43, v44, v22, v43
.LBB567_357:
	s_or_b64 exec, exec, s[10:11]
.LBB567_358:
	s_or_b64 exec, exec, s[8:9]
.LBB567_359:
	s_or_b64 exec, exec, s[2:3]
	s_movk_i32 s2, 0xff
	v_and_b32_sdwa v44, v24, s2 dst_sel:DWORD dst_unused:UNUSED_PAD src0_sel:WORD_1 src1_sel:DWORD
	v_lshrrev_b32_e32 v22, 16, v24
	v_cmp_ne_u16_e32 vcc, 0, v44
	s_and_saveexec_b64 s[2:3], vcc
	s_cbranch_execz .LBB567_365
; %bb.360:
	s_movk_i32 s8, 0x80
	v_cmp_ne_u16_e32 vcc, s8, v44
	v_bfrev_b32_e32 v23, 1
	s_and_saveexec_b64 s[8:9], vcc
	s_cbranch_execz .LBB567_364
; %bb.361:
	v_bfe_u32 v44, v24, 16, 7
	s_movk_i32 s10, 0x7f
	v_cmp_ne_u32_e32 vcc, s10, v44
	v_mov_b32_e32 v23, 0x7f800001
	s_and_saveexec_b64 s[10:11], vcc
	s_cbranch_execz .LBB567_363
; %bb.362:
	v_and_b32_e32 v45, 7, v22
	v_ffbh_u32_e32 v23, v45
	v_min_u32_e32 v51, 32, v23
	v_subrev_u32_e32 v23, 28, v51
	v_lshlrev_b64 v[22:23], v23, v[22:23]
	v_lshrrev_b32_e32 v50, 3, v44
	v_sub_u32_e32 v23, 29, v51
	v_and_b32_e32 v22, 7, v22
	v_cmp_gt_u32_e32 vcc, 8, v44
	v_mov_b32_e32 v44, 24
	v_cndmask_b32_e32 v23, v50, v23, vcc
	v_cndmask_b32_e32 v22, v45, v22, vcc
	v_lshlrev_b32_sdwa v44, v44, v24 dst_sel:DWORD dst_unused:UNUSED_PAD src0_sel:DWORD src1_sel:WORD_1
	v_bfrev_b32_e32 v45, 60
	v_lshlrev_b32_e32 v22, 20, v22
	v_and_b32_e32 v44, 0x80000000, v44
	v_lshl_add_u32 v23, v23, 23, v45
	v_or3_b32 v23, v44, v23, v22
.LBB567_363:
	s_or_b64 exec, exec, s[10:11]
.LBB567_364:
	s_or_b64 exec, exec, s[8:9]
.LBB567_365:
	s_or_b64 exec, exec, s[2:3]
	s_mov_b32 s2, 0xffffff
	v_cmp_lt_u32_e32 vcc, s2, v24
	v_mov_b32_e32 v44, 0
	v_mov_b32_e32 v45, 0
	s_and_saveexec_b64 s[2:3], vcc
	s_cbranch_execz .LBB567_371
; %bb.366:
	v_lshrrev_b32_e32 v22, 24, v24
	s_movk_i32 s8, 0x80
	v_cmp_ne_u32_e32 vcc, s8, v22
	v_bfrev_b32_e32 v45, 1
	s_and_saveexec_b64 s[8:9], vcc
	s_cbranch_execz .LBB567_370
; %bb.367:
	v_bfe_u32 v24, v24, 24, 7
	s_movk_i32 s10, 0x7f
	v_cmp_ne_u32_e32 vcc, s10, v24
	v_mov_b32_e32 v45, 0x7f800001
	s_and_saveexec_b64 s[10:11], vcc
	s_cbranch_execz .LBB567_369
; %bb.368:
	v_and_b32_e32 v45, 7, v22
	v_ffbh_u32_e32 v50, v45
	v_min_u32_e32 v53, 32, v50
	v_subrev_u32_e32 v50, 28, v53
	v_lshlrev_b64 v[50:51], v50, v[22:23]
	v_lshrrev_b32_e32 v52, 3, v24
	v_sub_u32_e32 v51, 29, v53
	v_and_b32_e32 v50, 7, v50
	v_cmp_gt_u32_e32 vcc, 8, v24
	v_cndmask_b32_e32 v24, v52, v51, vcc
	v_cndmask_b32_e32 v45, v45, v50, vcc
	v_lshlrev_b32_e32 v22, 24, v22
	v_bfrev_b32_e32 v50, 60
	v_lshlrev_b32_e32 v45, 20, v45
	v_and_b32_e32 v22, 0x80000000, v22
	v_lshl_add_u32 v24, v24, 23, v50
	v_or3_b32 v45, v22, v24, v45
.LBB567_369:
	s_or_b64 exec, exec, s[10:11]
.LBB567_370:
	s_or_b64 exec, exec, s[8:9]
.LBB567_371:
	s_or_b64 exec, exec, s[2:3]
	v_cmp_ne_u16_sdwa s[8:9], v25, v44 src0_sel:BYTE_0 src1_sel:DWORD
	s_and_saveexec_b64 s[2:3], s[8:9]
	s_cbranch_execz .LBB567_377
; %bb.372:
	s_movk_i32 s8, 0x80
	v_cmp_ne_u16_sdwa s[10:11], v25, s8 src0_sel:BYTE_0 src1_sel:DWORD
	v_bfrev_b32_e32 v44, 1
	s_and_saveexec_b64 s[8:9], s[10:11]
	s_cbranch_execz .LBB567_376
; %bb.373:
	s_movk_i32 s10, 0x7f
	v_and_b32_e32 v22, 0x7f, v25
	v_cmp_ne_u32_e32 vcc, s10, v22
	v_mov_b32_e32 v44, 0x7f800001
	s_and_saveexec_b64 s[10:11], vcc
	s_cbranch_execz .LBB567_375
; %bb.374:
	v_and_b32_e32 v44, 7, v25
	v_ffbh_u32_e32 v50, v44
	v_min_u32_e32 v53, 32, v50
	v_mov_b32_e32 v24, v25
	v_subrev_u32_e32 v50, 28, v53
	v_lshlrev_b64 v[50:51], v50, v[24:25]
	v_lshrrev_b32_e32 v52, 3, v22
	v_sub_u32_e32 v24, 29, v53
	v_and_b32_e32 v50, 7, v50
	v_cmp_gt_u32_e32 vcc, 8, v22
	v_cndmask_b32_e32 v22, v52, v24, vcc
	v_cndmask_b32_e32 v24, v44, v50, vcc
	v_lshlrev_b32_e32 v44, 24, v25
	v_bfrev_b32_e32 v50, 60
	v_lshlrev_b32_e32 v24, 20, v24
	v_and_b32_e32 v44, 0x80000000, v44
	v_lshl_add_u32 v22, v22, 23, v50
	v_or3_b32 v44, v44, v22, v24
.LBB567_375:
	s_or_b64 exec, exec, s[10:11]
.LBB567_376:
	s_or_b64 exec, exec, s[8:9]
.LBB567_377:
	s_or_b64 exec, exec, s[2:3]
	v_lshrrev_b16_e32 v22, 8, v25
	v_cmp_ne_u16_e32 vcc, 0, v22
	v_mov_b32_e32 v24, 0
	v_mov_b32_e32 v51, 0
	s_and_saveexec_b64 s[2:3], vcc
	s_cbranch_execz .LBB567_383
; %bb.378:
	s_movk_i32 s8, 0x80
	v_cmp_ne_u16_e32 vcc, s8, v22
	v_bfrev_b32_e32 v51, 1
	s_and_saveexec_b64 s[8:9], vcc
	s_cbranch_execz .LBB567_382
; %bb.379:
	s_movk_i32 s10, 0x7f
	v_and_b32_e32 v50, 0x7f, v22
	v_cmp_ne_u32_e32 vcc, s10, v50
	v_mov_b32_e32 v51, 0x7f800001
	s_and_saveexec_b64 s[10:11], vcc
	s_cbranch_execz .LBB567_381
; %bb.380:
	v_and_b32_e32 v51, 7, v22
	v_ffbh_u32_e32 v52, v51
	v_min_u32_e32 v55, 32, v52
	v_subrev_u32_e32 v52, 28, v55
	v_lshlrev_b64 v[52:53], v52, v[22:23]
	v_lshrrev_b32_e32 v54, 3, v50
	v_sub_u32_e32 v22, 29, v55
	v_and_b32_e32 v52, 7, v52
	v_cmp_gt_u32_e32 vcc, 8, v50
	v_cndmask_b32_e32 v22, v54, v22, vcc
	v_cndmask_b32_e32 v50, v51, v52, vcc
	v_lshlrev_b32_e32 v51, 16, v25
	v_bfrev_b32_e32 v52, 60
	v_lshlrev_b32_e32 v50, 20, v50
	v_and_b32_e32 v51, 0x80000000, v51
	v_lshl_add_u32 v22, v22, 23, v52
	v_or3_b32 v51, v51, v22, v50
.LBB567_381:
	s_or_b64 exec, exec, s[10:11]
.LBB567_382:
	s_or_b64 exec, exec, s[8:9]
.LBB567_383:
	s_or_b64 exec, exec, s[2:3]
	s_movk_i32 s2, 0xff
	v_and_b32_sdwa v50, v25, s2 dst_sel:DWORD dst_unused:UNUSED_PAD src0_sel:WORD_1 src1_sel:DWORD
	v_lshrrev_b32_e32 v22, 16, v25
	v_cmp_ne_u16_e32 vcc, 0, v50
	s_and_saveexec_b64 s[2:3], vcc
	s_cbranch_execz .LBB567_389
; %bb.384:
	s_movk_i32 s8, 0x80
	v_cmp_ne_u16_e32 vcc, s8, v50
	v_bfrev_b32_e32 v24, 1
	s_and_saveexec_b64 s[8:9], vcc
	s_cbranch_execz .LBB567_388
; %bb.385:
	v_bfe_u32 v50, v25, 16, 7
	s_movk_i32 s10, 0x7f
	v_cmp_ne_u32_e32 vcc, s10, v50
	v_mov_b32_e32 v24, 0x7f800001
	s_and_saveexec_b64 s[10:11], vcc
	s_cbranch_execz .LBB567_387
; %bb.386:
	v_and_b32_e32 v24, 7, v22
	v_ffbh_u32_e32 v52, v24
	v_min_u32_e32 v55, 32, v52
	v_subrev_u32_e32 v52, 28, v55
	v_lshlrev_b64 v[52:53], v52, v[22:23]
	v_lshrrev_b32_e32 v54, 3, v50
	v_sub_u32_e32 v22, 29, v55
	v_and_b32_e32 v52, 7, v52
	v_cmp_gt_u32_e32 vcc, 8, v50
	v_mov_b32_e32 v50, 24
	v_cndmask_b32_e32 v22, v54, v22, vcc
	v_cndmask_b32_e32 v24, v24, v52, vcc
	v_lshlrev_b32_sdwa v50, v50, v25 dst_sel:DWORD dst_unused:UNUSED_PAD src0_sel:DWORD src1_sel:WORD_1
	v_bfrev_b32_e32 v52, 60
	v_lshlrev_b32_e32 v24, 20, v24
	v_and_b32_e32 v50, 0x80000000, v50
	v_lshl_add_u32 v22, v22, 23, v52
	v_or3_b32 v24, v50, v22, v24
.LBB567_387:
	s_or_b64 exec, exec, s[10:11]
.LBB567_388:
	s_or_b64 exec, exec, s[8:9]
.LBB567_389:
	s_or_b64 exec, exec, s[2:3]
	s_mov_b32 s2, 0xffffff
	v_and_b32_e32 v50, 63, v0
	v_cmp_lt_u32_e32 vcc, s2, v25
	v_mov_b32_e32 v52, 0
	s_and_saveexec_b64 s[2:3], vcc
	s_cbranch_execz .LBB567_395
; %bb.390:
	v_lshrrev_b32_e32 v22, 24, v25
	s_movk_i32 s8, 0x80
	v_cmp_ne_u32_e32 vcc, s8, v22
	v_bfrev_b32_e32 v52, 1
	s_and_saveexec_b64 s[8:9], vcc
	s_cbranch_execz .LBB567_394
; %bb.391:
	v_bfe_u32 v25, v25, 24, 7
	s_movk_i32 s10, 0x7f
	v_cmp_ne_u32_e32 vcc, s10, v25
	v_mov_b32_e32 v52, 0x7f800001
	s_and_saveexec_b64 s[10:11], vcc
	s_cbranch_execz .LBB567_393
; %bb.392:
	v_and_b32_e32 v54, 7, v22
	v_ffbh_u32_e32 v52, v54
	v_min_u32_e32 v56, 32, v52
	v_subrev_u32_e32 v52, 28, v56
	v_lshlrev_b64 v[52:53], v52, v[22:23]
	v_lshrrev_b32_e32 v55, 3, v25
	v_sub_u32_e32 v53, 29, v56
	v_and_b32_e32 v52, 7, v52
	v_cmp_gt_u32_e32 vcc, 8, v25
	v_cndmask_b32_e32 v25, v55, v53, vcc
	v_cndmask_b32_e32 v52, v54, v52, vcc
	v_lshlrev_b32_e32 v22, 24, v22
	v_bfrev_b32_e32 v53, 60
	v_lshlrev_b32_e32 v52, 20, v52
	v_and_b32_e32 v22, 0x80000000, v22
	v_lshl_add_u32 v25, v25, 23, v53
	v_or3_b32 v52, v22, v25, v52
.LBB567_393:
	s_or_b64 exec, exec, s[10:11]
.LBB567_394:
	s_or_b64 exec, exec, s[8:9]
.LBB567_395:
	s_or_b64 exec, exec, s[2:3]
	v_cvt_pkrtz_f16_f32 v42, v42, v43
	v_cvt_pkrtz_f16_f32 v43, v23, v45
	s_load_dword s2, s[4:5], 0x1c
	s_mov_b32 s46, 0xff7fffff
	s_waitcnt lgkmcnt(0)
	v_mfma_f32_16x16x16f16 v[26:29], v[42:43], v[18:19], v[26:29]
	v_cvt_pkrtz_f16_f32 v18, v44, v51
	v_cvt_pkrtz_f16_f32 v19, v24, v52
	v_and_b32_e32 v24, 0xc0, v0
	v_mov_b32_e32 v22, s2
	v_add_u32_e32 v24, s20, v24
	v_mul_f32_e32 v54, s12, v22
	v_lshl_or_b32 v42, v1, 2, v24
	v_mfma_f32_16x16x16f16 v[18:21], v[18:19], v[20:21], v[26:29]
	v_pk_mul_f32 v[22:23], v[54:55], v[36:37] op_sel_hi:[0,1]
	v_pk_mul_f32 v[36:37], v[54:55], v[40:41] op_sel_hi:[0,1]
	;; [unrolled: 1-line block ×4, first 2 shown]
	v_mov_b32_e32 v43, 0xff7fffff
	v_cmp_gt_i32_e64 s[26:27], s33, v42
	v_pk_mul_f32 v[38:39], v[54:55], v[38:39] op_sel_hi:[0,1]
	s_nop 3
	v_pk_mul_f32 v[32:33], v[54:55], v[18:19] op_sel_hi:[0,1]
	v_or_b32_e32 v19, 1, v42
	v_cmp_gt_i32_e64 s[28:29], s33, v19
	v_cndmask_b32_e64 v18, v43, v30, s[26:27]
	v_cndmask_b32_e64 v19, v43, v31, s[28:29]
	v_pk_mul_f32 v[24:25], v[54:55], v[20:21] op_sel_hi:[0,1]
	v_max3_f32 v18, v18, s46, v19
	v_or_b32_e32 v19, 2, v42
	v_or_b32_e32 v20, 3, v42
	v_cmp_gt_i32_e64 s[30:31], s33, v19
	v_cmp_gt_i32_e64 s[34:35], s33, v20
	v_cndmask_b32_e64 v19, v43, v40, s[30:31]
	v_cndmask_b32_e64 v20, v43, v41, s[34:35]
	v_max3_f32 v18, v18, v19, v20
	v_or_b32_e32 v19, 16, v42
	v_or_b32_e32 v20, 17, v42
	v_cmp_gt_i32_e64 s[36:37], s33, v19
	v_cmp_gt_i32_e64 s[38:39], s33, v20
	v_cndmask_b32_e64 v19, v43, v38, s[36:37]
	v_cndmask_b32_e64 v20, v43, v39, s[38:39]
	;; [unrolled: 7-line block ×3, first 2 shown]
	v_max3_f32 v18, v18, v19, v20
	v_or_b32_e32 v19, 32, v42
	v_or_b32_e32 v20, 33, v42
	v_pk_mul_f32 v[34:35], v[54:55], v[34:35] op_sel_hi:[0,1]
	v_cmp_gt_i32_e64 s[16:17], s33, v19
	v_cmp_gt_i32_e64 s[18:19], s33, v20
	v_cndmask_b32_e64 v19, v43, v34, s[16:17]
	v_cndmask_b32_e64 v20, v43, v35, s[18:19]
	v_max3_f32 v18, v18, v19, v20
	v_or_b32_e32 v19, 34, v42
	v_or_b32_e32 v20, 35, v42
	v_cmp_gt_i32_e64 s[12:13], s33, v19
	v_cmp_gt_i32_e64 s[14:15], s33, v20
	v_cndmask_b32_e64 v19, v43, v22, s[12:13]
	v_cndmask_b32_e64 v20, v43, v23, s[14:15]
	v_max3_f32 v18, v18, v19, v20
	v_or_b32_e32 v19, 48, v42
	v_or_b32_e32 v20, 49, v42
	;; [unrolled: 7-line block ×3, first 2 shown]
	v_cmp_gt_i32_e32 vcc, s33, v19
	v_cmp_gt_i32_e64 s[2:3], s33, v20
	v_cndmask_b32_e32 v19, v43, v24, vcc
	v_cndmask_b32_e64 v20, v43, v25, s[2:3]
	v_max3_f32 v18, v18, v19, v20
	v_mbcnt_lo_u32_b32 v19, -1, 0
	v_mbcnt_hi_u32_b32 v19, -1, v19
	v_and_b32_e32 v20, 64, v19
	v_add_u32_e32 v20, 64, v20
	v_xor_b32_e32 v21, 32, v19
	v_cmp_lt_i32_e64 s[40:41], v21, v20
	v_cndmask_b32_e64 v21, v19, v21, s[40:41]
	v_lshlrev_b32_e32 v43, 2, v21
	ds_bpermute_b32 v21, v43, v18
	s_barrier
	s_waitcnt lgkmcnt(0)
	v_max_f32_e32 v21, v21, v21
	v_max_f32_e32 v18, v18, v21
	v_xor_b32_e32 v21, 16, v19
	v_cmp_lt_i32_e64 s[40:41], v21, v20
	v_cndmask_b32_e64 v19, v19, v21, s[40:41]
	v_lshlrev_b32_e32 v44, 2, v19
	ds_bpermute_b32 v19, v44, v18
	s_waitcnt lgkmcnt(0)
	v_max_f32_e32 v19, v19, v19
	v_max_f32_e32 v42, v18, v19
	v_sub_f32_e32 v21, v40, v42
	v_sub_f32_e32 v26, v41, v42
	v_mul_f32_e32 v21, 0x3fb8aa3b, v21
	v_mul_f32_e32 v26, 0x3fb8aa3b, v26
	v_sub_f32_e32 v18, v30, v42
	v_exp_f32_e32 v21, v21
	v_exp_f32_e32 v26, v26
	v_mul_f32_e32 v18, 0x3fb8aa3b, v18
	v_sub_f32_e32 v19, v31, v42
	v_exp_f32_e32 v18, v18
	v_mul_f32_e32 v19, 0x3fb8aa3b, v19
	v_exp_f32_e32 v19, v19
	v_cndmask_b32_e64 v28, 0, v21, s[30:31]
	v_cndmask_b32_e64 v29, 0, v26, s[34:35]
	v_sub_f32_e32 v21, v38, v42
	v_sub_f32_e32 v26, v39, v42
	v_mul_f32_e32 v21, 0x3fb8aa3b, v21
	v_mul_f32_e32 v26, 0x3fb8aa3b, v26
	v_cndmask_b32_e64 v18, 0, v18, s[26:27]
	v_exp_f32_e32 v21, v21
	v_exp_f32_e32 v26, v26
	v_add_f32_e32 v20, 0, v18
	v_cndmask_b32_e64 v19, 0, v19, s[28:29]
	v_add_f32_e32 v20, v20, v19
	v_add_f32_e32 v20, v20, v28
	;; [unrolled: 1-line block ×3, first 2 shown]
	v_cndmask_b32_e64 v20, 0, v21, s[36:37]
	v_cndmask_b32_e64 v21, 0, v26, s[38:39]
	v_sub_f32_e32 v26, v36, v42
	v_mul_f32_e32 v26, 0x3fb8aa3b, v26
	v_exp_f32_e32 v26, v26
	v_sub_f32_e32 v30, v37, v42
	v_add_f32_e32 v27, v27, v20
	v_mul_f32_e32 v30, 0x3fb8aa3b, v30
	v_exp_f32_e32 v31, v30
	v_add_f32_e32 v27, v27, v21
	v_cndmask_b32_e64 v30, 0, v26, s[20:21]
	v_add_f32_e32 v26, v27, v30
	v_sub_f32_e32 v27, v34, v42
	v_mul_f32_e32 v27, 0x3fb8aa3b, v27
	v_sub_f32_e32 v34, v35, v42
	v_exp_f32_e32 v27, v27
	v_mul_f32_e32 v34, 0x3fb8aa3b, v34
	v_sub_f32_e32 v22, v22, v42
	v_exp_f32_e32 v34, v34
	;; [unrolled: 3-line block ×3, first 2 shown]
	v_mul_f32_e32 v23, 0x3fb8aa3b, v23
	v_cndmask_b32_e64 v31, 0, v31, s[22:23]
	v_exp_f32_e32 v23, v23
	v_add_f32_e32 v35, v26, v31
	v_cndmask_b32_e64 v26, 0, v27, s[16:17]
	v_add_f32_e32 v35, v35, v26
	v_cndmask_b32_e64 v27, 0, v34, s[18:19]
	;; [unrolled: 2-line block ×4, first 2 shown]
	v_sub_f32_e32 v23, v32, v42
	v_mul_f32_e32 v23, 0x3fb8aa3b, v23
	v_sub_f32_e32 v32, v33, v42
	v_exp_f32_e32 v23, v23
	v_mul_f32_e32 v32, 0x3fb8aa3b, v32
	v_sub_f32_e32 v24, v24, v42
	v_exp_f32_e32 v32, v32
	;; [unrolled: 3-line block ×3, first 2 shown]
	v_mul_f32_e32 v25, 0x3fb8aa3b, v25
	v_exp_f32_e32 v25, v25
	v_add_f32_e32 v33, v22, v35
	v_cndmask_b32_e64 v22, 0, v23, s[8:9]
	v_add_f32_e32 v33, v33, v22
	v_cndmask_b32_e64 v23, 0, v32, s[10:11]
	v_add_f32_e32 v32, v33, v23
	v_cndmask_b32_e32 v24, 0, v24, vcc
	v_add_f32_e32 v32, v32, v24
	v_cndmask_b32_e64 v25, 0, v25, s[2:3]
	v_add_f32_e32 v32, v32, v25
	ds_bpermute_b32 v33, v43, v32
	v_cmp_gt_u32_e32 vcc, 16, v50
	s_waitcnt lgkmcnt(0)
	v_add_f32_e32 v33, v32, v33
	ds_bpermute_b32 v36, v44, v33
	v_lshlrev_b32_e32 v32, 2, v48
	s_and_saveexec_b64 s[2:3], vcc
	s_cbranch_execz .LBB567_397
; %bb.396:
	s_waitcnt lgkmcnt(0)
	v_add_f32_e32 v33, v33, v36
	v_lshl_or_b32 v36, v49, 6, v32
	ds_write2st64_b32 v36, v42, v33 offset1:1
.LBB567_397:
	s_or_b64 exec, exec, s[2:3]
	s_waitcnt lgkmcnt(0)
	s_barrier
	ds_read2_b32 v[36:37], v32 offset1:16
	ds_read2_b32 v[38:39], v32 offset0:32 offset1:48
	ds_read2_b32 v[40:41], v32 offset0:64 offset1:80
	;; [unrolled: 1-line block ×3, first 2 shown]
	s_waitcnt lgkmcnt(0)
	v_max3_f32 v33, v36, s46, v37
	v_max3_f32 v33, v33, v38, v39
	v_sub_f32_e32 v36, v36, v33
	v_mul_f32_e32 v36, 0x3fb8aa3b, v36
	v_exp_f32_e32 v44, v36
	v_sub_f32_e32 v36, v37, v33
	v_mul_f32_e32 v36, 0x3fb8aa3b, v36
	v_exp_f32_e32 v37, v36
	v_sub_f32_e32 v36, v38, v33
	v_mul_f32_e32 v36, 0x3fb8aa3b, v36
	v_sub_f32_e32 v32, v39, v33
	v_exp_f32_e32 v38, v36
	v_mul_f32_e32 v32, 0x3fb8aa3b, v32
	v_exp_f32_e32 v39, v32
	v_fma_f32 v36, v44, v40, 0
	v_fmac_f32_e32 v36, v37, v41
	v_fmac_f32_e32 v36, v38, v42
	;; [unrolled: 1-line block ×3, first 2 shown]
	v_add_f32_e32 v40, 0x358637bd, v36
	v_div_scale_f32 v41, s[2:3], v40, v40, 1.0
	v_rcp_f32_e32 v42, v41
	s_barrier
	s_mul_i32 s12, s45, 10
	v_fma_f32 v43, -v41, v42, 1.0
	v_fmac_f32_e32 v42, v43, v42
	v_div_scale_f32 v43, vcc, 1.0, v40, 1.0
	v_mul_f32_e32 v45, v43, v42
	v_fma_f32 v50, -v41, v45, v43
	v_fmac_f32_e32 v45, v50, v42
	v_fma_f32 v41, -v41, v45, v43
	v_div_fmas_f32 v41, v41, v42, v45
	v_cmp_eq_u32_e32 vcc, 1, v49
	v_cndmask_b32_e32 v37, v44, v37, vcc
	v_cmp_eq_u32_e32 vcc, 2, v49
	v_cndmask_b32_e32 v37, v37, v38, vcc
	v_cmp_eq_u32_e32 vcc, 3, v49
	v_div_fixup_f32 v40, v41, v40, 1.0
	v_cndmask_b32_e32 v37, v37, v39, vcc
	v_mul_f32_e32 v38, v37, v40
	v_pk_mul_f32 v[28:29], v[38:39], v[28:29] op_sel_hi:[0,1]
	v_cvt_f16_f32_e32 v28, v28
	v_cvt_f16_f32_e32 v29, v29
	v_pk_mul_f32 v[18:19], v[38:39], v[18:19] op_sel_hi:[0,1]
	v_cvt_f16_f32_e32 v18, v18
	v_cvt_f16_f32_e32 v19, v19
	v_pack_b32_f16 v41, v28, v29
	v_pk_mul_f32 v[28:29], v[38:39], v[30:31] op_sel_hi:[0,1]
	v_pk_mul_f32 v[20:21], v[38:39], v[20:21] op_sel_hi:[0,1]
	v_cvt_f16_f32_e32 v20, v20
	v_cvt_f16_f32_e32 v21, v21
	;; [unrolled: 1-line block ×4, first 2 shown]
	v_pack_b32_f16 v40, v18, v19
	v_lshlrev_b32_e32 v18, 3, v1
	v_lshlrev_b32_e32 v19, 5, v48
	;; [unrolled: 1-line block ×3, first 2 shown]
	v_or3_b32 v28, v28, v19, v18
	v_pack_b32_f16 v20, v20, v21
	v_pack_b32_f16 v21, v30, v29
	ds_write2st64_b64 v28, v[40:41], v[20:21] offset1:1
	v_pk_mul_f32 v[20:21], v[38:39], v[34:35] op_sel_hi:[0,1]
	v_pk_mul_f32 v[26:27], v[38:39], v[26:27] op_sel_hi:[0,1]
	v_cvt_f16_f32_e32 v18, v26
	v_cvt_f16_f32_e32 v26, v27
	;; [unrolled: 1-line block ×4, first 2 shown]
	v_pk_mul_f32 v[20:21], v[38:39], v[24:25] op_sel_hi:[0,1]
	v_pk_mul_f32 v[22:23], v[38:39], v[22:23] op_sel_hi:[0,1]
	v_cvt_f16_f32_e32 v22, v22
	v_cvt_f16_f32_e32 v23, v23
	v_cvt_f16_f32_e32 v24, v20
	v_cvt_f16_f32_e32 v25, v21
	v_mov_b32_e32 v32, 0
	v_pack_b32_f16 v20, v18, v26
	v_pack_b32_f16 v21, v27, v29
	;; [unrolled: 1-line block ×4, first 2 shown]
	v_cmp_gt_u32_e32 vcc, 10, v0
	ds_write2st64_b64 v28, v[20:21], v[22:23] offset0:2 offset1:3
	s_and_saveexec_b64 s[2:3], vcc
	s_cbranch_execz .LBB567_399
; %bb.398:
	v_add_co_u32_e32 v22, vcc, s25, v48
	v_addc_co_u32_e64 v23, s[14:15], 0, 0, vcc
	v_mov_b32_e32 v18, s12
	v_mov_b32_e32 v21, 0
	v_mad_u64_u32 v[22:23], s[14:15], s6, v18, v[22:23]
	v_mov_b32_e32 v20, s24
	s_load_dwordx4 s[8:11], s[4:5], 0x58
	s_mul_i32 s7, s7, s12
	v_mad_u64_u32 v[20:21], s[14:15], v22, s44, v[20:21]
	v_add_u32_e32 v23, s7, v23
	v_mov_b32_e32 v18, v21
	v_mad_u64_u32 v[22:23], s[14:15], v23, s44, v[18:19]
	v_mov_b32_e32 v21, v22
	v_lshlrev_b64 v[20:21], 2, v[20:21]
	s_waitcnt lgkmcnt(0)
	v_mov_b32_e32 v18, s11
	v_add_co_u32_e32 v22, vcc, s10, v20
	v_addc_co_u32_e32 v23, vcc, v18, v21, vcc
	v_mov_b32_e32 v18, s9
	v_add_co_u32_e32 v20, vcc, s8, v20
	v_addc_co_u32_e32 v21, vcc, v18, v21, vcc
	global_store_dword v[22:23], v33, off
	global_store_dword v[20:21], v36, off
.LBB567_399:
	s_or_b64 exec, exec, s[2:3]
	v_mov_b32_e32 v20, 0
	s_waitcnt vmcnt(3)
	v_cmp_ne_u16_sdwa s[8:9], v14, v20 src0_sel:BYTE_0 src1_sel:DWORD
	s_waitcnt lgkmcnt(0)
	s_barrier
	s_and_saveexec_b64 s[2:3], s[8:9]
	s_cbranch_execz .LBB567_405
; %bb.400:
	s_movk_i32 s7, 0x80
	v_cmp_ne_u16_sdwa s[10:11], v14, s7 src0_sel:BYTE_0 src1_sel:DWORD
	v_bfrev_b32_e32 v32, 1
	s_and_saveexec_b64 s[8:9], s[10:11]
	s_cbranch_execz .LBB567_404
; %bb.401:
	s_movk_i32 s7, 0x7f
	v_and_b32_e32 v18, 0x7f, v14
	v_cmp_ne_u32_e32 vcc, s7, v18
	v_mov_b32_e32 v32, 0x7f800001
	s_and_saveexec_b64 s[10:11], vcc
	s_cbranch_execz .LBB567_403
; %bb.402:
	v_and_b32_e32 v21, 7, v14
	v_ffbh_u32_e32 v22, v21
	v_min_u32_e32 v25, 32, v22
	v_subrev_u32_e32 v22, 28, v25
	v_lshlrev_b64 v[22:23], v22, v[14:15]
	v_lshrrev_b32_e32 v24, 3, v18
	v_sub_u32_e32 v23, 29, v25
	v_and_b32_e32 v22, 7, v22
	v_cmp_gt_u32_e32 vcc, 8, v18
	v_cndmask_b32_e32 v18, v24, v23, vcc
	v_cndmask_b32_e32 v21, v21, v22, vcc
	v_lshlrev_b32_e32 v22, 24, v14
	v_bfrev_b32_e32 v23, 60
	v_lshlrev_b32_e32 v21, 20, v21
	v_and_b32_e32 v22, 0x80000000, v22
	v_lshl_add_u32 v18, v18, 23, v23
	v_or3_b32 v32, v22, v18, v21
.LBB567_403:
	s_or_b64 exec, exec, s[10:11]
.LBB567_404:
	s_or_b64 exec, exec, s[8:9]
.LBB567_405:
	s_or_b64 exec, exec, s[2:3]
	v_lshrrev_b16_e32 v18, 8, v14
	v_cmp_ne_u16_e32 vcc, 0, v18
	v_mov_b32_e32 v21, 0
	s_and_saveexec_b64 s[2:3], vcc
	s_cbranch_execz .LBB567_411
; %bb.406:
	s_movk_i32 s7, 0x80
	v_cmp_ne_u16_e32 vcc, s7, v18
	v_bfrev_b32_e32 v21, 1
	s_and_saveexec_b64 s[8:9], vcc
	s_cbranch_execz .LBB567_410
; %bb.407:
	s_movk_i32 s7, 0x7f
	v_and_b32_e32 v22, 0x7f, v18
	v_cmp_ne_u32_e32 vcc, s7, v22
	v_mov_b32_e32 v21, 0x7f800001
	s_and_saveexec_b64 s[10:11], vcc
	s_cbranch_execz .LBB567_409
; %bb.408:
	v_and_b32_e32 v21, 7, v18
	v_ffbh_u32_e32 v24, v21
	v_min_u32_e32 v26, 32, v24
	v_subrev_u32_e32 v24, 28, v26
	v_lshlrev_b64 v[24:25], v24, v[18:19]
	v_lshrrev_b32_e32 v23, 3, v22
	v_sub_u32_e32 v18, 29, v26
	v_and_b32_e32 v24, 7, v24
	v_cmp_gt_u32_e32 vcc, 8, v22
	v_cndmask_b32_e32 v18, v23, v18, vcc
	v_cndmask_b32_e32 v21, v21, v24, vcc
	v_lshlrev_b32_e32 v22, 16, v14
	v_bfrev_b32_e32 v23, 60
	v_lshlrev_b32_e32 v21, 20, v21
	v_and_b32_e32 v22, 0x80000000, v22
	v_lshl_add_u32 v18, v18, 23, v23
	v_or3_b32 v21, v22, v18, v21
.LBB567_409:
	s_or_b64 exec, exec, s[10:11]
.LBB567_410:
	s_or_b64 exec, exec, s[8:9]
.LBB567_411:
	s_or_b64 exec, exec, s[2:3]
	s_movk_i32 s2, 0xff
	v_and_b32_sdwa v22, v14, s2 dst_sel:DWORD dst_unused:UNUSED_PAD src0_sel:WORD_1 src1_sel:DWORD
	v_lshrrev_b32_e32 v18, 16, v14
	v_cmp_ne_u16_e32 vcc, 0, v22
	s_and_saveexec_b64 s[2:3], vcc
	s_cbranch_execz .LBB567_417
; %bb.412:
	s_movk_i32 s7, 0x80
	v_cmp_ne_u16_e32 vcc, s7, v22
	v_bfrev_b32_e32 v20, 1
	s_and_saveexec_b64 s[8:9], vcc
	s_cbranch_execz .LBB567_416
; %bb.413:
	v_bfe_u32 v22, v14, 16, 7
	s_movk_i32 s7, 0x7f
	v_cmp_ne_u32_e32 vcc, s7, v22
	v_mov_b32_e32 v20, 0x7f800001
	s_and_saveexec_b64 s[10:11], vcc
	s_cbranch_execz .LBB567_415
; %bb.414:
	v_and_b32_e32 v20, 7, v18
	v_ffbh_u32_e32 v24, v20
	v_min_u32_e32 v26, 32, v24
	v_subrev_u32_e32 v24, 28, v26
	v_lshlrev_b64 v[24:25], v24, v[18:19]
	v_lshrrev_b32_e32 v23, 3, v22
	v_sub_u32_e32 v18, 29, v26
	v_and_b32_e32 v24, 7, v24
	v_cmp_gt_u32_e32 vcc, 8, v22
	v_mov_b32_e32 v22, 24
	v_cndmask_b32_e32 v18, v23, v18, vcc
	v_cndmask_b32_e32 v20, v20, v24, vcc
	v_lshlrev_b32_sdwa v22, v22, v14 dst_sel:DWORD dst_unused:UNUSED_PAD src0_sel:DWORD src1_sel:WORD_1
	v_bfrev_b32_e32 v23, 60
	v_lshlrev_b32_e32 v20, 20, v20
	v_and_b32_e32 v22, 0x80000000, v22
	v_lshl_add_u32 v18, v18, 23, v23
	v_or3_b32 v20, v22, v18, v20
.LBB567_415:
	s_or_b64 exec, exec, s[10:11]
.LBB567_416:
	s_or_b64 exec, exec, s[8:9]
.LBB567_417:
	s_or_b64 exec, exec, s[2:3]
	s_mov_b32 s2, 0xffffff
	v_cmp_lt_u32_e32 vcc, s2, v14
	v_mov_b32_e32 v24, 0
	v_mov_b32_e32 v22, 0
	s_and_saveexec_b64 s[2:3], vcc
	s_cbranch_execz .LBB567_423
; %bb.418:
	v_lshrrev_b32_e32 v18, 24, v14
	s_movk_i32 s7, 0x80
	v_cmp_ne_u32_e32 vcc, s7, v18
	v_bfrev_b32_e32 v22, 1
	s_and_saveexec_b64 s[8:9], vcc
	s_cbranch_execz .LBB567_422
; %bb.419:
	v_bfe_u32 v14, v14, 24, 7
	s_movk_i32 s7, 0x7f
	v_cmp_ne_u32_e32 vcc, s7, v14
	v_mov_b32_e32 v22, 0x7f800001
	s_and_saveexec_b64 s[10:11], vcc
	s_cbranch_execz .LBB567_421
; %bb.420:
	v_and_b32_e32 v25, 7, v18
	v_ffbh_u32_e32 v22, v25
	v_min_u32_e32 v27, 32, v22
	v_subrev_u32_e32 v22, 28, v27
	v_lshlrev_b64 v[22:23], v22, v[18:19]
	v_lshrrev_b32_e32 v26, 3, v14
	v_sub_u32_e32 v23, 29, v27
	v_and_b32_e32 v22, 7, v22
	v_cmp_gt_u32_e32 vcc, 8, v14
	v_cndmask_b32_e32 v14, v26, v23, vcc
	v_cndmask_b32_e32 v22, v25, v22, vcc
	v_lshlrev_b32_e32 v18, 24, v18
	v_bfrev_b32_e32 v23, 60
	v_lshlrev_b32_e32 v22, 20, v22
	v_and_b32_e32 v18, 0x80000000, v18
	v_lshl_add_u32 v14, v14, 23, v23
	v_or3_b32 v22, v18, v14, v22
.LBB567_421:
	s_or_b64 exec, exec, s[10:11]
.LBB567_422:
	s_or_b64 exec, exec, s[8:9]
.LBB567_423:
	s_or_b64 exec, exec, s[2:3]
	v_cmp_ne_u16_sdwa s[8:9], v15, v24 src0_sel:BYTE_0 src1_sel:DWORD
	s_and_saveexec_b64 s[2:3], s[8:9]
	s_cbranch_execz .LBB567_429
; %bb.424:
	s_movk_i32 s7, 0x80
	v_cmp_ne_u16_sdwa s[10:11], v15, s7 src0_sel:BYTE_0 src1_sel:DWORD
	v_bfrev_b32_e32 v24, 1
	s_and_saveexec_b64 s[8:9], s[10:11]
	s_cbranch_execz .LBB567_428
; %bb.425:
	s_movk_i32 s7, 0x7f
	v_and_b32_e32 v14, 0x7f, v15
	v_cmp_ne_u32_e32 vcc, s7, v14
	v_mov_b32_e32 v24, 0x7f800001
	s_and_saveexec_b64 s[10:11], vcc
	s_cbranch_execz .LBB567_427
; %bb.426:
	v_and_b32_e32 v23, 7, v15
	v_ffbh_u32_e32 v24, v23
	v_min_u32_e32 v27, 32, v24
	v_mov_b32_e32 v18, v15
	v_subrev_u32_e32 v24, 28, v27
	v_lshlrev_b64 v[24:25], v24, v[18:19]
	v_lshrrev_b32_e32 v26, 3, v14
	v_sub_u32_e32 v18, 29, v27
	v_and_b32_e32 v24, 7, v24
	v_cmp_gt_u32_e32 vcc, 8, v14
	v_cndmask_b32_e32 v14, v26, v18, vcc
	v_cndmask_b32_e32 v18, v23, v24, vcc
	v_lshlrev_b32_e32 v23, 24, v15
	v_bfrev_b32_e32 v24, 60
	v_lshlrev_b32_e32 v18, 20, v18
	v_and_b32_e32 v23, 0x80000000, v23
	v_lshl_add_u32 v14, v14, 23, v24
	v_or3_b32 v24, v23, v14, v18
.LBB567_427:
	s_or_b64 exec, exec, s[10:11]
.LBB567_428:
	s_or_b64 exec, exec, s[8:9]
.LBB567_429:
	s_or_b64 exec, exec, s[2:3]
	v_lshrrev_b16_e32 v14, 8, v15
	v_cmp_ne_u16_e32 vcc, 0, v14
	v_mov_b32_e32 v18, 0
	v_mov_b32_e32 v25, 0
	s_and_saveexec_b64 s[2:3], vcc
	s_cbranch_execz .LBB567_435
; %bb.430:
	s_movk_i32 s7, 0x80
	v_cmp_ne_u16_e32 vcc, s7, v14
	v_bfrev_b32_e32 v25, 1
	s_and_saveexec_b64 s[8:9], vcc
	s_cbranch_execz .LBB567_434
; %bb.431:
	s_movk_i32 s7, 0x7f
	v_and_b32_e32 v23, 0x7f, v14
	v_cmp_ne_u32_e32 vcc, s7, v23
	v_mov_b32_e32 v25, 0x7f800001
	s_and_saveexec_b64 s[10:11], vcc
	s_cbranch_execz .LBB567_433
; %bb.432:
	v_and_b32_e32 v25, 7, v14
	v_ffbh_u32_e32 v26, v25
	v_min_u32_e32 v30, 32, v26
	v_subrev_u32_e32 v26, 28, v30
	v_lshlrev_b64 v[26:27], v26, v[14:15]
	v_lshrrev_b32_e32 v29, 3, v23
	v_sub_u32_e32 v14, 29, v30
	v_and_b32_e32 v26, 7, v26
	v_cmp_gt_u32_e32 vcc, 8, v23
	v_cndmask_b32_e32 v14, v29, v14, vcc
	v_cndmask_b32_e32 v23, v25, v26, vcc
	v_lshlrev_b32_e32 v25, 16, v15
	v_bfrev_b32_e32 v26, 60
	v_lshlrev_b32_e32 v23, 20, v23
	v_and_b32_e32 v25, 0x80000000, v25
	v_lshl_add_u32 v14, v14, 23, v26
	v_or3_b32 v25, v25, v14, v23
.LBB567_433:
	s_or_b64 exec, exec, s[10:11]
.LBB567_434:
	s_or_b64 exec, exec, s[8:9]
.LBB567_435:
	s_or_b64 exec, exec, s[2:3]
	s_movk_i32 s2, 0xff
	v_and_b32_sdwa v23, v15, s2 dst_sel:DWORD dst_unused:UNUSED_PAD src0_sel:WORD_1 src1_sel:DWORD
	v_lshrrev_b32_e32 v14, 16, v15
	v_cmp_ne_u16_e32 vcc, 0, v23
	s_and_saveexec_b64 s[2:3], vcc
	s_cbranch_execz .LBB567_441
; %bb.436:
	s_movk_i32 s7, 0x80
	v_cmp_ne_u16_e32 vcc, s7, v23
	v_bfrev_b32_e32 v18, 1
	s_and_saveexec_b64 s[8:9], vcc
	s_cbranch_execz .LBB567_440
; %bb.437:
	v_bfe_u32 v23, v15, 16, 7
	s_movk_i32 s7, 0x7f
	v_cmp_ne_u32_e32 vcc, s7, v23
	v_mov_b32_e32 v18, 0x7f800001
	s_and_saveexec_b64 s[10:11], vcc
	s_cbranch_execz .LBB567_439
; %bb.438:
	v_and_b32_e32 v18, 7, v14
	v_ffbh_u32_e32 v26, v18
	v_min_u32_e32 v30, 32, v26
	v_subrev_u32_e32 v26, 28, v30
	v_lshlrev_b64 v[26:27], v26, v[14:15]
	v_lshrrev_b32_e32 v29, 3, v23
	v_sub_u32_e32 v14, 29, v30
	v_and_b32_e32 v26, 7, v26
	v_cmp_gt_u32_e32 vcc, 8, v23
	v_mov_b32_e32 v23, 24
	v_cndmask_b32_e32 v14, v29, v14, vcc
	v_cndmask_b32_e32 v18, v18, v26, vcc
	v_lshlrev_b32_sdwa v23, v23, v15 dst_sel:DWORD dst_unused:UNUSED_PAD src0_sel:DWORD src1_sel:WORD_1
	v_bfrev_b32_e32 v26, 60
	v_lshlrev_b32_e32 v18, 20, v18
	v_and_b32_e32 v23, 0x80000000, v23
	v_lshl_add_u32 v14, v14, 23, v26
	v_or3_b32 v18, v23, v14, v18
.LBB567_439:
	s_or_b64 exec, exec, s[10:11]
.LBB567_440:
	s_or_b64 exec, exec, s[8:9]
.LBB567_441:
	s_or_b64 exec, exec, s[2:3]
	s_mov_b32 s2, 0xffffff
	v_cmp_lt_u32_e32 vcc, s2, v15
	v_mov_b32_e32 v23, 0
	v_mov_b32_e32 v26, 0
	s_and_saveexec_b64 s[2:3], vcc
	s_cbranch_execz .LBB567_447
; %bb.442:
	v_lshrrev_b32_e32 v14, 24, v15
	s_movk_i32 s7, 0x80
	v_cmp_ne_u32_e32 vcc, s7, v14
	v_bfrev_b32_e32 v26, 1
	s_and_saveexec_b64 s[8:9], vcc
	s_cbranch_execz .LBB567_446
; %bb.443:
	v_bfe_u32 v15, v15, 24, 7
	s_movk_i32 s7, 0x7f
	v_cmp_ne_u32_e32 vcc, s7, v15
	v_mov_b32_e32 v26, 0x7f800001
	s_and_saveexec_b64 s[10:11], vcc
	s_cbranch_execz .LBB567_445
; %bb.444:
	v_and_b32_e32 v29, 7, v14
	v_ffbh_u32_e32 v26, v29
	v_min_u32_e32 v31, 32, v26
	v_subrev_u32_e32 v26, 28, v31
	v_lshlrev_b64 v[26:27], v26, v[14:15]
	v_lshrrev_b32_e32 v30, 3, v15
	v_sub_u32_e32 v27, 29, v31
	v_and_b32_e32 v26, 7, v26
	v_cmp_gt_u32_e32 vcc, 8, v15
	v_cndmask_b32_e32 v15, v30, v27, vcc
	v_cndmask_b32_e32 v26, v29, v26, vcc
	v_lshlrev_b32_e32 v14, 24, v14
	v_bfrev_b32_e32 v27, 60
	v_lshlrev_b32_e32 v26, 20, v26
	v_and_b32_e32 v14, 0x80000000, v14
	v_lshl_add_u32 v15, v15, 23, v27
	v_or3_b32 v26, v14, v15, v26
.LBB567_445:
	s_or_b64 exec, exec, s[10:11]
.LBB567_446:
	s_or_b64 exec, exec, s[8:9]
.LBB567_447:
	s_or_b64 exec, exec, s[2:3]
	v_cvt_pkrtz_f16_f32 v15, v20, v22
	v_lshl_or_b32 v22, v1, 9, v19
	v_cvt_pkrtz_f16_f32 v14, v32, v21
	ds_read_b128 v[30:33], v22
	v_cmp_ne_u16_sdwa s[8:9], v16, v23 src0_sel:BYTE_0 src1_sel:DWORD
	s_waitcnt lgkmcnt(0)
	v_mfma_f32_16x16x16f16 v[34:37], v[14:15], v[30:31], 0
	v_cvt_pkrtz_f16_f32 v14, v24, v25
	v_cvt_pkrtz_f16_f32 v15, v18, v26
	s_nop 1
	v_mfma_f32_16x16x16f16 v[18:21], v[14:15], v[32:33], v[34:37]
	s_and_saveexec_b64 s[2:3], s[8:9]
	s_cbranch_execz .LBB567_453
; %bb.448:
	s_movk_i32 s7, 0x80
	v_cmp_ne_u16_sdwa s[10:11], v16, s7 src0_sel:BYTE_0 src1_sel:DWORD
	v_bfrev_b32_e32 v23, 1
	s_and_saveexec_b64 s[8:9], s[10:11]
	s_cbranch_execz .LBB567_452
; %bb.449:
	s_movk_i32 s7, 0x7f
	v_and_b32_e32 v14, 0x7f, v16
	v_cmp_ne_u32_e32 vcc, s7, v14
	v_mov_b32_e32 v23, 0x7f800001
	s_and_saveexec_b64 s[10:11], vcc
	s_cbranch_execz .LBB567_451
; %bb.450:
	v_and_b32_e32 v15, 7, v16
	v_ffbh_u32_e32 v24, v15
	v_min_u32_e32 v26, 32, v24
	v_subrev_u32_e32 v24, 28, v26
	v_lshlrev_b64 v[24:25], v24, v[16:17]
	v_lshrrev_b32_e32 v23, 3, v14
	v_sub_u32_e32 v25, 29, v26
	v_and_b32_e32 v24, 7, v24
	v_cmp_gt_u32_e32 vcc, 8, v14
	v_cndmask_b32_e32 v14, v23, v25, vcc
	v_cndmask_b32_e32 v15, v15, v24, vcc
	v_lshlrev_b32_e32 v23, 24, v16
	v_bfrev_b32_e32 v24, 60
	v_lshlrev_b32_e32 v15, 20, v15
	v_and_b32_e32 v23, 0x80000000, v23
	v_lshl_add_u32 v14, v14, 23, v24
	v_or3_b32 v23, v23, v14, v15
.LBB567_451:
	s_or_b64 exec, exec, s[10:11]
.LBB567_452:
	s_or_b64 exec, exec, s[8:9]
.LBB567_453:
	s_or_b64 exec, exec, s[2:3]
	v_lshrrev_b16_e32 v14, 8, v16
	v_cmp_ne_u16_e32 vcc, 0, v14
	v_mov_b32_e32 v15, 0
	v_mov_b32_e32 v25, 0
	s_and_saveexec_b64 s[2:3], vcc
	s_cbranch_execz .LBB567_459
; %bb.454:
	s_movk_i32 s7, 0x80
	v_cmp_ne_u16_e32 vcc, s7, v14
	v_bfrev_b32_e32 v25, 1
	s_and_saveexec_b64 s[8:9], vcc
	s_cbranch_execz .LBB567_458
; %bb.455:
	s_movk_i32 s7, 0x7f
	v_and_b32_e32 v24, 0x7f, v14
	v_cmp_ne_u32_e32 vcc, s7, v24
	v_mov_b32_e32 v25, 0x7f800001
	s_and_saveexec_b64 s[10:11], vcc
	s_cbranch_execz .LBB567_457
; %bb.456:
	v_and_b32_e32 v25, 7, v14
	v_ffbh_u32_e32 v26, v25
	v_min_u32_e32 v30, 32, v26
	v_subrev_u32_e32 v26, 28, v30
	v_lshlrev_b64 v[26:27], v26, v[14:15]
	v_lshrrev_b32_e32 v29, 3, v24
	v_sub_u32_e32 v14, 29, v30
	v_and_b32_e32 v26, 7, v26
	v_cmp_gt_u32_e32 vcc, 8, v24
	v_cndmask_b32_e32 v14, v29, v14, vcc
	v_cndmask_b32_e32 v24, v25, v26, vcc
	v_lshlrev_b32_e32 v25, 16, v16
	v_bfrev_b32_e32 v26, 60
	v_lshlrev_b32_e32 v24, 20, v24
	v_and_b32_e32 v25, 0x80000000, v25
	v_lshl_add_u32 v14, v14, 23, v26
	v_or3_b32 v25, v25, v14, v24
.LBB567_457:
	s_or_b64 exec, exec, s[10:11]
.LBB567_458:
	s_or_b64 exec, exec, s[8:9]
.LBB567_459:
	s_or_b64 exec, exec, s[2:3]
	s_movk_i32 s2, 0xff
	v_and_b32_sdwa v24, v16, s2 dst_sel:DWORD dst_unused:UNUSED_PAD src0_sel:WORD_1 src1_sel:DWORD
	v_lshrrev_b32_e32 v14, 16, v16
	v_cmp_ne_u16_e32 vcc, 0, v24
	s_and_saveexec_b64 s[2:3], vcc
	s_cbranch_execz .LBB567_465
; %bb.460:
	s_movk_i32 s7, 0x80
	v_cmp_ne_u16_e32 vcc, s7, v24
	v_bfrev_b32_e32 v15, 1
	s_and_saveexec_b64 s[8:9], vcc
	s_cbranch_execz .LBB567_464
; %bb.461:
	v_bfe_u32 v24, v16, 16, 7
	s_movk_i32 s7, 0x7f
	v_cmp_ne_u32_e32 vcc, s7, v24
	v_mov_b32_e32 v15, 0x7f800001
	s_and_saveexec_b64 s[10:11], vcc
	s_cbranch_execz .LBB567_463
; %bb.462:
	v_and_b32_e32 v26, 7, v14
	v_ffbh_u32_e32 v15, v26
	v_min_u32_e32 v29, 32, v15
	v_subrev_u32_e32 v15, 28, v29
	v_lshlrev_b64 v[14:15], v15, v[14:15]
	v_lshrrev_b32_e32 v27, 3, v24
	v_sub_u32_e32 v15, 29, v29
	v_and_b32_e32 v14, 7, v14
	v_cmp_gt_u32_e32 vcc, 8, v24
	v_mov_b32_e32 v24, 24
	v_cndmask_b32_e32 v15, v27, v15, vcc
	v_cndmask_b32_e32 v14, v26, v14, vcc
	v_lshlrev_b32_sdwa v24, v24, v16 dst_sel:DWORD dst_unused:UNUSED_PAD src0_sel:DWORD src1_sel:WORD_1
	v_bfrev_b32_e32 v26, 60
	v_lshlrev_b32_e32 v14, 20, v14
	v_and_b32_e32 v24, 0x80000000, v24
	v_lshl_add_u32 v15, v15, 23, v26
	v_or3_b32 v15, v24, v15, v14
.LBB567_463:
	s_or_b64 exec, exec, s[10:11]
.LBB567_464:
	s_or_b64 exec, exec, s[8:9]
.LBB567_465:
	s_or_b64 exec, exec, s[2:3]
	s_mov_b32 s2, 0xffffff
	v_cmp_lt_u32_e32 vcc, s2, v16
	v_mov_b32_e32 v26, 0
	v_mov_b32_e32 v27, 0
	s_and_saveexec_b64 s[2:3], vcc
	s_cbranch_execz .LBB567_471
; %bb.466:
	v_lshrrev_b32_e32 v14, 24, v16
	s_movk_i32 s7, 0x80
	v_cmp_ne_u32_e32 vcc, s7, v14
	v_bfrev_b32_e32 v27, 1
	s_and_saveexec_b64 s[8:9], vcc
	s_cbranch_execz .LBB567_470
; %bb.467:
	v_bfe_u32 v16, v16, 24, 7
	s_movk_i32 s7, 0x7f
	v_cmp_ne_u32_e32 vcc, s7, v16
	v_mov_b32_e32 v27, 0x7f800001
	s_and_saveexec_b64 s[10:11], vcc
	s_cbranch_execz .LBB567_469
; %bb.468:
	v_and_b32_e32 v24, 7, v14
	v_ffbh_u32_e32 v29, v24
	v_min_u32_e32 v29, 32, v29
	v_subrev_u32_e32 v30, 28, v29
	v_lshlrev_b64 v[30:31], v30, v[14:15]
	v_lshrrev_b32_e32 v27, 3, v16
	v_sub_u32_e32 v29, 29, v29
	v_and_b32_e32 v30, 7, v30
	v_cmp_gt_u32_e32 vcc, 8, v16
	v_cndmask_b32_e32 v16, v27, v29, vcc
	v_cndmask_b32_e32 v24, v24, v30, vcc
	v_lshlrev_b32_e32 v14, 24, v14
	v_bfrev_b32_e32 v27, 60
	v_lshlrev_b32_e32 v24, 20, v24
	v_and_b32_e32 v14, 0x80000000, v14
	v_lshl_add_u32 v16, v16, 23, v27
	v_or3_b32 v27, v14, v16, v24
.LBB567_469:
	s_or_b64 exec, exec, s[10:11]
.LBB567_470:
	s_or_b64 exec, exec, s[8:9]
.LBB567_471:
	s_or_b64 exec, exec, s[2:3]
	v_cmp_ne_u16_sdwa s[8:9], v17, v26 src0_sel:BYTE_0 src1_sel:DWORD
	s_and_saveexec_b64 s[2:3], s[8:9]
	s_cbranch_execz .LBB567_477
; %bb.472:
	s_movk_i32 s7, 0x80
	v_cmp_ne_u16_sdwa s[10:11], v17, s7 src0_sel:BYTE_0 src1_sel:DWORD
	v_bfrev_b32_e32 v26, 1
	s_and_saveexec_b64 s[8:9], s[10:11]
	s_cbranch_execz .LBB567_476
; %bb.473:
	s_movk_i32 s7, 0x7f
	v_and_b32_e32 v14, 0x7f, v17
	v_cmp_ne_u32_e32 vcc, s7, v14
	v_mov_b32_e32 v26, 0x7f800001
	s_and_saveexec_b64 s[10:11], vcc
	s_cbranch_execz .LBB567_475
; %bb.474:
	v_and_b32_e32 v24, 7, v17
	v_ffbh_u32_e32 v29, v24
	v_min_u32_e32 v29, 32, v29
	v_mov_b32_e32 v16, v17
	v_subrev_u32_e32 v30, 28, v29
	v_lshlrev_b64 v[30:31], v30, v[16:17]
	v_lshrrev_b32_e32 v26, 3, v14
	v_sub_u32_e32 v16, 29, v29
	v_and_b32_e32 v29, 7, v30
	v_cmp_gt_u32_e32 vcc, 8, v14
	v_cndmask_b32_e32 v14, v26, v16, vcc
	v_cndmask_b32_e32 v16, v24, v29, vcc
	v_lshlrev_b32_e32 v24, 24, v17
	v_bfrev_b32_e32 v26, 60
	v_lshlrev_b32_e32 v16, 20, v16
	v_and_b32_e32 v24, 0x80000000, v24
	v_lshl_add_u32 v14, v14, 23, v26
	v_or3_b32 v26, v24, v14, v16
.LBB567_475:
	s_or_b64 exec, exec, s[10:11]
.LBB567_476:
	s_or_b64 exec, exec, s[8:9]
.LBB567_477:
	s_or_b64 exec, exec, s[2:3]
	v_lshrrev_b16_e32 v14, 8, v17
	v_cmp_ne_u16_e32 vcc, 0, v14
	v_mov_b32_e32 v16, 0
	v_mov_b32_e32 v29, 0
	s_and_saveexec_b64 s[2:3], vcc
	s_cbranch_execz .LBB567_483
; %bb.478:
	s_movk_i32 s7, 0x80
	v_cmp_ne_u16_e32 vcc, s7, v14
	v_bfrev_b32_e32 v29, 1
	s_and_saveexec_b64 s[8:9], vcc
	s_cbranch_execz .LBB567_482
; %bb.479:
	s_movk_i32 s7, 0x7f
	v_and_b32_e32 v24, 0x7f, v14
	v_cmp_ne_u32_e32 vcc, s7, v24
	v_mov_b32_e32 v29, 0x7f800001
	s_and_saveexec_b64 s[10:11], vcc
	s_cbranch_execz .LBB567_481
; %bb.480:
	v_and_b32_e32 v29, 7, v14
	v_ffbh_u32_e32 v30, v29
	v_min_u32_e32 v33, 32, v30
	v_subrev_u32_e32 v30, 28, v33
	v_lshlrev_b64 v[30:31], v30, v[14:15]
	v_lshrrev_b32_e32 v32, 3, v24
	v_sub_u32_e32 v14, 29, v33
	v_and_b32_e32 v30, 7, v30
	v_cmp_gt_u32_e32 vcc, 8, v24
	v_cndmask_b32_e32 v14, v32, v14, vcc
	v_cndmask_b32_e32 v24, v29, v30, vcc
	v_lshlrev_b32_e32 v29, 16, v17
	v_bfrev_b32_e32 v30, 60
	v_lshlrev_b32_e32 v24, 20, v24
	v_and_b32_e32 v29, 0x80000000, v29
	v_lshl_add_u32 v14, v14, 23, v30
	v_or3_b32 v29, v29, v14, v24
.LBB567_481:
	s_or_b64 exec, exec, s[10:11]
.LBB567_482:
	s_or_b64 exec, exec, s[8:9]
.LBB567_483:
	s_or_b64 exec, exec, s[2:3]
	s_movk_i32 s2, 0xff
	v_and_b32_sdwa v24, v17, s2 dst_sel:DWORD dst_unused:UNUSED_PAD src0_sel:WORD_1 src1_sel:DWORD
	v_lshrrev_b32_e32 v14, 16, v17
	v_cmp_ne_u16_e32 vcc, 0, v24
	s_and_saveexec_b64 s[2:3], vcc
	s_cbranch_execz .LBB567_489
; %bb.484:
	s_movk_i32 s7, 0x80
	v_cmp_ne_u16_e32 vcc, s7, v24
	v_bfrev_b32_e32 v16, 1
	s_and_saveexec_b64 s[8:9], vcc
	s_cbranch_execz .LBB567_488
; %bb.485:
	v_bfe_u32 v24, v17, 16, 7
	s_movk_i32 s7, 0x7f
	v_cmp_ne_u32_e32 vcc, s7, v24
	v_mov_b32_e32 v16, 0x7f800001
	s_and_saveexec_b64 s[10:11], vcc
	s_cbranch_execz .LBB567_487
; %bb.486:
	v_and_b32_e32 v16, 7, v14
	v_ffbh_u32_e32 v30, v16
	v_min_u32_e32 v33, 32, v30
	v_subrev_u32_e32 v30, 28, v33
	v_lshlrev_b64 v[30:31], v30, v[14:15]
	v_lshrrev_b32_e32 v32, 3, v24
	v_sub_u32_e32 v14, 29, v33
	v_and_b32_e32 v30, 7, v30
	v_cmp_gt_u32_e32 vcc, 8, v24
	v_mov_b32_e32 v24, 24
	v_cndmask_b32_e32 v14, v32, v14, vcc
	v_cndmask_b32_e32 v16, v16, v30, vcc
	v_lshlrev_b32_sdwa v24, v24, v17 dst_sel:DWORD dst_unused:UNUSED_PAD src0_sel:DWORD src1_sel:WORD_1
	v_bfrev_b32_e32 v30, 60
	v_lshlrev_b32_e32 v16, 20, v16
	v_and_b32_e32 v24, 0x80000000, v24
	v_lshl_add_u32 v14, v14, 23, v30
	v_or3_b32 v16, v24, v14, v16
.LBB567_487:
	s_or_b64 exec, exec, s[10:11]
.LBB567_488:
	s_or_b64 exec, exec, s[8:9]
.LBB567_489:
	s_or_b64 exec, exec, s[2:3]
	s_mov_b32 s2, 0xffffff
	v_cmp_lt_u32_e32 vcc, s2, v17
	v_mov_b32_e32 v24, 0
	v_mov_b32_e32 v30, 0
	s_and_saveexec_b64 s[2:3], vcc
	s_cbranch_execz .LBB567_495
; %bb.490:
	v_lshrrev_b32_e32 v14, 24, v17
	s_movk_i32 s7, 0x80
	v_cmp_ne_u32_e32 vcc, s7, v14
	v_bfrev_b32_e32 v30, 1
	s_and_saveexec_b64 s[8:9], vcc
	s_cbranch_execz .LBB567_494
; %bb.491:
	v_bfe_u32 v17, v17, 24, 7
	s_movk_i32 s7, 0x7f
	v_cmp_ne_u32_e32 vcc, s7, v17
	v_mov_b32_e32 v30, 0x7f800001
	s_and_saveexec_b64 s[10:11], vcc
	s_cbranch_execz .LBB567_493
; %bb.492:
	v_and_b32_e32 v32, 7, v14
	v_ffbh_u32_e32 v30, v32
	v_min_u32_e32 v34, 32, v30
	v_subrev_u32_e32 v30, 28, v34
	v_lshlrev_b64 v[30:31], v30, v[14:15]
	v_lshrrev_b32_e32 v33, 3, v17
	v_sub_u32_e32 v31, 29, v34
	v_and_b32_e32 v30, 7, v30
	v_cmp_gt_u32_e32 vcc, 8, v17
	v_cndmask_b32_e32 v17, v33, v31, vcc
	v_cndmask_b32_e32 v30, v32, v30, vcc
	v_lshlrev_b32_e32 v14, 24, v14
	v_bfrev_b32_e32 v31, 60
	v_lshlrev_b32_e32 v30, 20, v30
	v_and_b32_e32 v14, 0x80000000, v14
	v_lshl_add_u32 v17, v17, 23, v31
	v_or3_b32 v30, v14, v17, v30
.LBB567_493:
	s_or_b64 exec, exec, s[10:11]
.LBB567_494:
	s_or_b64 exec, exec, s[8:9]
.LBB567_495:
	s_or_b64 exec, exec, s[2:3]
	v_cvt_pkrtz_f16_f32 v14, v23, v25
	v_cvt_pkrtz_f16_f32 v15, v15, v27
	ds_read_b128 v[32:35], v22 offset:16
	s_waitcnt vmcnt(2)
	v_cmp_ne_u16_sdwa s[8:9], v10, v24 src0_sel:BYTE_0 src1_sel:DWORD
	s_waitcnt lgkmcnt(0)
	v_mfma_f32_16x16x16f16 v[18:21], v[14:15], v[32:33], v[18:21]
	v_cvt_pkrtz_f16_f32 v14, v26, v29
	v_cvt_pkrtz_f16_f32 v15, v16, v30
	s_nop 1
	v_mfma_f32_16x16x16f16 v[14:17], v[14:15], v[34:35], v[18:21]
	s_and_saveexec_b64 s[2:3], s[8:9]
	s_cbranch_execz .LBB567_501
; %bb.496:
	s_movk_i32 s7, 0x80
	v_cmp_ne_u16_sdwa s[10:11], v10, s7 src0_sel:BYTE_0 src1_sel:DWORD
	v_bfrev_b32_e32 v24, 1
	s_and_saveexec_b64 s[8:9], s[10:11]
	s_cbranch_execz .LBB567_500
; %bb.497:
	s_movk_i32 s7, 0x7f
	v_and_b32_e32 v18, 0x7f, v10
	v_cmp_ne_u32_e32 vcc, s7, v18
	v_mov_b32_e32 v24, 0x7f800001
	s_and_saveexec_b64 s[10:11], vcc
	s_cbranch_execz .LBB567_499
; %bb.498:
	v_and_b32_e32 v19, 7, v10
	v_ffbh_u32_e32 v20, v19
	v_min_u32_e32 v24, 32, v20
	v_subrev_u32_e32 v20, 28, v24
	v_lshlrev_b64 v[20:21], v20, v[10:11]
	v_lshrrev_b32_e32 v23, 3, v18
	v_sub_u32_e32 v21, 29, v24
	v_and_b32_e32 v20, 7, v20
	v_cmp_gt_u32_e32 vcc, 8, v18
	v_cndmask_b32_e32 v18, v23, v21, vcc
	v_cndmask_b32_e32 v19, v19, v20, vcc
	v_lshlrev_b32_e32 v20, 24, v10
	v_bfrev_b32_e32 v21, 60
	v_lshlrev_b32_e32 v19, 20, v19
	v_and_b32_e32 v20, 0x80000000, v20
	v_lshl_add_u32 v18, v18, 23, v21
	v_or3_b32 v24, v20, v18, v19
.LBB567_499:
	s_or_b64 exec, exec, s[10:11]
.LBB567_500:
	s_or_b64 exec, exec, s[8:9]
.LBB567_501:
	s_or_b64 exec, exec, s[2:3]
	s_nop 3
	v_lshrrev_b16_e32 v18, 8, v10
	v_cmp_ne_u16_e32 vcc, 0, v18
	v_mov_b32_e32 v19, 0
	v_mov_b32_e32 v20, 0
	s_and_saveexec_b64 s[2:3], vcc
	s_cbranch_execz .LBB567_507
; %bb.502:
	s_movk_i32 s7, 0x80
	v_cmp_ne_u16_e32 vcc, s7, v18
	v_bfrev_b32_e32 v20, 1
	s_and_saveexec_b64 s[8:9], vcc
	s_cbranch_execz .LBB567_506
; %bb.503:
	s_movk_i32 s7, 0x7f
	v_and_b32_e32 v21, 0x7f, v18
	v_cmp_ne_u32_e32 vcc, s7, v21
	v_mov_b32_e32 v20, 0x7f800001
	s_and_saveexec_b64 s[10:11], vcc
	s_cbranch_execz .LBB567_505
; %bb.504:
	v_and_b32_e32 v20, 7, v18
	v_ffbh_u32_e32 v25, v20
	v_min_u32_e32 v25, 32, v25
	v_subrev_u32_e32 v26, 28, v25
	v_lshlrev_b64 v[26:27], v26, v[18:19]
	v_lshrrev_b32_e32 v23, 3, v21
	v_sub_u32_e32 v18, 29, v25
	v_and_b32_e32 v25, 7, v26
	v_cmp_gt_u32_e32 vcc, 8, v21
	v_cndmask_b32_e32 v18, v23, v18, vcc
	v_cndmask_b32_e32 v20, v20, v25, vcc
	v_lshlrev_b32_e32 v21, 16, v10
	v_bfrev_b32_e32 v23, 60
	v_lshlrev_b32_e32 v20, 20, v20
	v_and_b32_e32 v21, 0x80000000, v21
	v_lshl_add_u32 v18, v18, 23, v23
	v_or3_b32 v20, v21, v18, v20
.LBB567_505:
	s_or_b64 exec, exec, s[10:11]
.LBB567_506:
	s_or_b64 exec, exec, s[8:9]
.LBB567_507:
	s_or_b64 exec, exec, s[2:3]
	s_movk_i32 s2, 0xff
	v_and_b32_sdwa v21, v10, s2 dst_sel:DWORD dst_unused:UNUSED_PAD src0_sel:WORD_1 src1_sel:DWORD
	v_lshrrev_b32_e32 v18, 16, v10
	v_cmp_ne_u16_e32 vcc, 0, v21
	s_and_saveexec_b64 s[2:3], vcc
	s_cbranch_execz .LBB567_513
; %bb.508:
	s_movk_i32 s7, 0x80
	v_cmp_ne_u16_e32 vcc, s7, v21
	v_bfrev_b32_e32 v19, 1
	s_and_saveexec_b64 s[8:9], vcc
	s_cbranch_execz .LBB567_512
; %bb.509:
	v_bfe_u32 v21, v10, 16, 7
	s_movk_i32 s7, 0x7f
	v_cmp_ne_u32_e32 vcc, s7, v21
	v_mov_b32_e32 v19, 0x7f800001
	s_and_saveexec_b64 s[10:11], vcc
	s_cbranch_execz .LBB567_511
; %bb.510:
	v_and_b32_e32 v23, 7, v18
	v_ffbh_u32_e32 v19, v23
	v_min_u32_e32 v26, 32, v19
	v_subrev_u32_e32 v19, 28, v26
	v_lshlrev_b64 v[18:19], v19, v[18:19]
	v_lshrrev_b32_e32 v25, 3, v21
	v_sub_u32_e32 v19, 29, v26
	v_and_b32_e32 v18, 7, v18
	v_cmp_gt_u32_e32 vcc, 8, v21
	v_mov_b32_e32 v21, 24
	v_cndmask_b32_e32 v19, v25, v19, vcc
	v_cndmask_b32_e32 v18, v23, v18, vcc
	v_lshlrev_b32_sdwa v21, v21, v10 dst_sel:DWORD dst_unused:UNUSED_PAD src0_sel:DWORD src1_sel:WORD_1
	v_bfrev_b32_e32 v23, 60
	v_lshlrev_b32_e32 v18, 20, v18
	v_and_b32_e32 v21, 0x80000000, v21
	v_lshl_add_u32 v19, v19, 23, v23
	v_or3_b32 v19, v21, v19, v18
.LBB567_511:
	s_or_b64 exec, exec, s[10:11]
.LBB567_512:
	s_or_b64 exec, exec, s[8:9]
.LBB567_513:
	s_or_b64 exec, exec, s[2:3]
	s_mov_b32 s2, 0xffffff
	v_cmp_lt_u32_e32 vcc, s2, v10
	v_mov_b32_e32 v21, 0
	v_mov_b32_e32 v23, 0
	s_and_saveexec_b64 s[2:3], vcc
	s_cbranch_execz .LBB567_519
; %bb.514:
	v_lshrrev_b32_e32 v18, 24, v10
	s_movk_i32 s7, 0x80
	v_cmp_ne_u32_e32 vcc, s7, v18
	v_bfrev_b32_e32 v23, 1
	s_and_saveexec_b64 s[8:9], vcc
	s_cbranch_execz .LBB567_518
; %bb.515:
	v_bfe_u32 v10, v10, 24, 7
	s_movk_i32 s7, 0x7f
	v_cmp_ne_u32_e32 vcc, s7, v10
	v_mov_b32_e32 v23, 0x7f800001
	s_and_saveexec_b64 s[10:11], vcc
	s_cbranch_execz .LBB567_517
; %bb.516:
	v_and_b32_e32 v23, 7, v18
	v_ffbh_u32_e32 v26, v23
	v_min_u32_e32 v29, 32, v26
	v_subrev_u32_e32 v26, 28, v29
	v_lshlrev_b64 v[26:27], v26, v[18:19]
	v_lshrrev_b32_e32 v25, 3, v10
	v_sub_u32_e32 v27, 29, v29
	v_and_b32_e32 v26, 7, v26
	v_cmp_gt_u32_e32 vcc, 8, v10
	v_cndmask_b32_e32 v10, v25, v27, vcc
	v_cndmask_b32_e32 v23, v23, v26, vcc
	v_lshlrev_b32_e32 v18, 24, v18
	v_bfrev_b32_e32 v25, 60
	v_lshlrev_b32_e32 v23, 20, v23
	v_and_b32_e32 v18, 0x80000000, v18
	v_lshl_add_u32 v10, v10, 23, v25
	v_or3_b32 v23, v18, v10, v23
.LBB567_517:
	s_or_b64 exec, exec, s[10:11]
.LBB567_518:
	s_or_b64 exec, exec, s[8:9]
.LBB567_519:
	s_or_b64 exec, exec, s[2:3]
	v_cmp_ne_u16_sdwa s[8:9], v11, v21 src0_sel:BYTE_0 src1_sel:DWORD
	s_and_saveexec_b64 s[2:3], s[8:9]
	s_cbranch_execz .LBB567_525
; %bb.520:
	s_movk_i32 s7, 0x80
	v_cmp_ne_u16_sdwa s[10:11], v11, s7 src0_sel:BYTE_0 src1_sel:DWORD
	v_bfrev_b32_e32 v21, 1
	s_and_saveexec_b64 s[8:9], s[10:11]
	s_cbranch_execz .LBB567_524
; %bb.521:
	s_movk_i32 s7, 0x7f
	v_and_b32_e32 v10, 0x7f, v11
	v_cmp_ne_u32_e32 vcc, s7, v10
	v_mov_b32_e32 v21, 0x7f800001
	s_and_saveexec_b64 s[10:11], vcc
	s_cbranch_execz .LBB567_523
; %bb.522:
	v_and_b32_e32 v21, 7, v11
	v_ffbh_u32_e32 v26, v21
	v_min_u32_e32 v29, 32, v26
	v_mov_b32_e32 v18, v11
	v_subrev_u32_e32 v26, 28, v29
	v_lshlrev_b64 v[26:27], v26, v[18:19]
	v_lshrrev_b32_e32 v25, 3, v10
	v_sub_u32_e32 v18, 29, v29
	v_and_b32_e32 v26, 7, v26
	v_cmp_gt_u32_e32 vcc, 8, v10
	v_cndmask_b32_e32 v10, v25, v18, vcc
	v_cndmask_b32_e32 v18, v21, v26, vcc
	v_lshlrev_b32_e32 v21, 24, v11
	v_bfrev_b32_e32 v25, 60
	v_lshlrev_b32_e32 v18, 20, v18
	v_and_b32_e32 v21, 0x80000000, v21
	v_lshl_add_u32 v10, v10, 23, v25
	v_or3_b32 v21, v21, v10, v18
.LBB567_523:
	s_or_b64 exec, exec, s[10:11]
.LBB567_524:
	s_or_b64 exec, exec, s[8:9]
.LBB567_525:
	s_or_b64 exec, exec, s[2:3]
	v_lshrrev_b16_e32 v10, 8, v11
	v_cmp_ne_u16_e32 vcc, 0, v10
	v_mov_b32_e32 v25, 0
	v_mov_b32_e32 v26, 0
	s_and_saveexec_b64 s[2:3], vcc
	s_cbranch_execz .LBB567_531
; %bb.526:
	s_movk_i32 s7, 0x80
	v_cmp_ne_u16_e32 vcc, s7, v10
	v_bfrev_b32_e32 v26, 1
	s_and_saveexec_b64 s[8:9], vcc
	s_cbranch_execz .LBB567_530
; %bb.527:
	s_movk_i32 s7, 0x7f
	v_and_b32_e32 v18, 0x7f, v10
	v_cmp_ne_u32_e32 vcc, s7, v18
	v_mov_b32_e32 v26, 0x7f800001
	s_and_saveexec_b64 s[10:11], vcc
	s_cbranch_execz .LBB567_529
; %bb.528:
	v_and_b32_e32 v29, 7, v10
	v_ffbh_u32_e32 v26, v29
	v_min_u32_e32 v31, 32, v26
	v_subrev_u32_e32 v26, 28, v31
	v_lshlrev_b64 v[26:27], v26, v[10:11]
	v_lshrrev_b32_e32 v30, 3, v18
	v_sub_u32_e32 v10, 29, v31
	v_and_b32_e32 v26, 7, v26
	v_cmp_gt_u32_e32 vcc, 8, v18
	v_cndmask_b32_e32 v10, v30, v10, vcc
	v_cndmask_b32_e32 v18, v29, v26, vcc
	v_lshlrev_b32_e32 v26, 16, v11
	v_bfrev_b32_e32 v27, 60
	v_lshlrev_b32_e32 v18, 20, v18
	v_and_b32_e32 v26, 0x80000000, v26
	v_lshl_add_u32 v10, v10, 23, v27
	v_or3_b32 v26, v26, v10, v18
.LBB567_529:
	s_or_b64 exec, exec, s[10:11]
.LBB567_530:
	s_or_b64 exec, exec, s[8:9]
.LBB567_531:
	s_or_b64 exec, exec, s[2:3]
	s_movk_i32 s2, 0xff
	v_and_b32_sdwa v18, v11, s2 dst_sel:DWORD dst_unused:UNUSED_PAD src0_sel:WORD_1 src1_sel:DWORD
	v_lshrrev_b32_e32 v10, 16, v11
	v_cmp_ne_u16_e32 vcc, 0, v18
	s_and_saveexec_b64 s[2:3], vcc
	s_cbranch_execz .LBB567_537
; %bb.532:
	s_movk_i32 s7, 0x80
	v_cmp_ne_u16_e32 vcc, s7, v18
	v_bfrev_b32_e32 v25, 1
	s_and_saveexec_b64 s[8:9], vcc
	s_cbranch_execz .LBB567_536
; %bb.533:
	v_bfe_u32 v18, v11, 16, 7
	s_movk_i32 s7, 0x7f
	v_cmp_ne_u32_e32 vcc, s7, v18
	v_mov_b32_e32 v25, 0x7f800001
	s_and_saveexec_b64 s[10:11], vcc
	s_cbranch_execz .LBB567_535
; %bb.534:
	v_and_b32_e32 v25, 7, v10
	v_ffbh_u32_e32 v29, v25
	v_min_u32_e32 v29, 32, v29
	v_subrev_u32_e32 v30, 28, v29
	v_lshlrev_b64 v[30:31], v30, v[10:11]
	v_sub_u32_e32 v10, 29, v29
	v_and_b32_e32 v29, 7, v30
	v_cmp_gt_u32_e32 vcc, 8, v18
	v_lshrrev_b32_e32 v27, 3, v18
	v_cndmask_b32_e32 v18, v25, v29, vcc
	v_mov_b32_e32 v25, 24
	v_cndmask_b32_e32 v10, v27, v10, vcc
	v_lshlrev_b32_sdwa v25, v25, v11 dst_sel:DWORD dst_unused:UNUSED_PAD src0_sel:DWORD src1_sel:WORD_1
	v_bfrev_b32_e32 v27, 60
	v_lshlrev_b32_e32 v18, 20, v18
	v_and_b32_e32 v25, 0x80000000, v25
	v_lshl_add_u32 v10, v10, 23, v27
	v_or3_b32 v25, v25, v10, v18
.LBB567_535:
	s_or_b64 exec, exec, s[10:11]
.LBB567_536:
	s_or_b64 exec, exec, s[8:9]
.LBB567_537:
	s_or_b64 exec, exec, s[2:3]
	s_mov_b32 s2, 0xffffff
	v_cmp_lt_u32_e32 vcc, s2, v11
	v_mov_b32_e32 v18, 0
	v_mov_b32_e32 v27, 0
	s_and_saveexec_b64 s[2:3], vcc
	s_cbranch_execz .LBB567_543
; %bb.538:
	v_lshrrev_b32_e32 v10, 24, v11
	s_movk_i32 s7, 0x80
	v_cmp_ne_u32_e32 vcc, s7, v10
	v_bfrev_b32_e32 v27, 1
	s_and_saveexec_b64 s[8:9], vcc
	s_cbranch_execz .LBB567_542
; %bb.539:
	v_bfe_u32 v11, v11, 24, 7
	s_movk_i32 s7, 0x7f
	v_cmp_ne_u32_e32 vcc, s7, v11
	v_mov_b32_e32 v27, 0x7f800001
	s_and_saveexec_b64 s[10:11], vcc
	s_cbranch_execz .LBB567_541
; %bb.540:
	v_and_b32_e32 v27, 7, v10
	v_ffbh_u32_e32 v30, v27
	v_min_u32_e32 v32, 32, v30
	v_subrev_u32_e32 v30, 28, v32
	v_lshlrev_b64 v[30:31], v30, v[10:11]
	v_lshrrev_b32_e32 v29, 3, v11
	v_sub_u32_e32 v31, 29, v32
	v_and_b32_e32 v30, 7, v30
	v_cmp_gt_u32_e32 vcc, 8, v11
	v_cndmask_b32_e32 v11, v29, v31, vcc
	v_cndmask_b32_e32 v27, v27, v30, vcc
	v_lshlrev_b32_e32 v10, 24, v10
	v_bfrev_b32_e32 v29, 60
	v_lshlrev_b32_e32 v27, 20, v27
	v_and_b32_e32 v10, 0x80000000, v10
	v_lshl_add_u32 v11, v11, 23, v29
	v_or3_b32 v27, v10, v11, v27
.LBB567_541:
	s_or_b64 exec, exec, s[10:11]
.LBB567_542:
	s_or_b64 exec, exec, s[8:9]
.LBB567_543:
	s_or_b64 exec, exec, s[2:3]
	v_cvt_pkrtz_f16_f32 v10, v24, v20
	v_cvt_pkrtz_f16_f32 v11, v19, v23
	ds_read_b128 v[30:33], v22 offset:2048
	v_cmp_ne_u16_sdwa s[8:9], v12, v18 src0_sel:BYTE_0 src1_sel:DWORD
	s_waitcnt lgkmcnt(0)
	v_mfma_f32_16x16x16f16 v[14:17], v[10:11], v[30:31], v[14:17]
	v_cvt_pkrtz_f16_f32 v10, v21, v26
	v_cvt_pkrtz_f16_f32 v11, v25, v27
	s_nop 1
	v_mfma_f32_16x16x16f16 v[14:17], v[10:11], v[32:33], v[14:17]
	s_and_saveexec_b64 s[2:3], s[8:9]
	s_cbranch_execz .LBB567_549
; %bb.544:
	s_movk_i32 s7, 0x80
	v_cmp_ne_u16_sdwa s[10:11], v12, s7 src0_sel:BYTE_0 src1_sel:DWORD
	v_bfrev_b32_e32 v18, 1
	s_and_saveexec_b64 s[8:9], s[10:11]
	s_cbranch_execz .LBB567_548
; %bb.545:
	s_movk_i32 s7, 0x7f
	v_and_b32_e32 v10, 0x7f, v12
	v_cmp_ne_u32_e32 vcc, s7, v10
	v_mov_b32_e32 v18, 0x7f800001
	s_and_saveexec_b64 s[10:11], vcc
	s_cbranch_execz .LBB567_547
; %bb.546:
	v_and_b32_e32 v11, 7, v12
	v_ffbh_u32_e32 v18, v11
	v_min_u32_e32 v21, 32, v18
	v_subrev_u32_e32 v18, 28, v21
	v_lshlrev_b64 v[18:19], v18, v[12:13]
	v_lshrrev_b32_e32 v20, 3, v10
	v_sub_u32_e32 v19, 29, v21
	v_and_b32_e32 v18, 7, v18
	v_cmp_gt_u32_e32 vcc, 8, v10
	v_cndmask_b32_e32 v10, v20, v19, vcc
	v_cndmask_b32_e32 v11, v11, v18, vcc
	v_lshlrev_b32_e32 v18, 24, v12
	v_bfrev_b32_e32 v19, 60
	v_lshlrev_b32_e32 v11, 20, v11
	v_and_b32_e32 v18, 0x80000000, v18
	v_lshl_add_u32 v10, v10, 23, v19
	v_or3_b32 v18, v18, v10, v11
.LBB567_547:
	s_or_b64 exec, exec, s[10:11]
.LBB567_548:
	s_or_b64 exec, exec, s[8:9]
.LBB567_549:
	s_or_b64 exec, exec, s[2:3]
	v_lshrrev_b16_e32 v10, 8, v12
	v_cmp_ne_u16_e32 vcc, 0, v10
	v_mov_b32_e32 v11, 0
	v_mov_b32_e32 v20, 0
	s_and_saveexec_b64 s[2:3], vcc
	s_cbranch_execz .LBB567_555
; %bb.550:
	s_movk_i32 s7, 0x80
	v_cmp_ne_u16_e32 vcc, s7, v10
	v_bfrev_b32_e32 v20, 1
	s_and_saveexec_b64 s[8:9], vcc
	s_cbranch_execz .LBB567_554
; %bb.551:
	s_movk_i32 s7, 0x7f
	v_and_b32_e32 v19, 0x7f, v10
	v_cmp_ne_u32_e32 vcc, s7, v19
	v_mov_b32_e32 v20, 0x7f800001
	s_and_saveexec_b64 s[10:11], vcc
	s_cbranch_execz .LBB567_553
; %bb.552:
	v_and_b32_e32 v23, 7, v10
	v_ffbh_u32_e32 v20, v23
	v_min_u32_e32 v25, 32, v20
	v_subrev_u32_e32 v20, 28, v25
	v_lshlrev_b64 v[20:21], v20, v[10:11]
	v_lshrrev_b32_e32 v24, 3, v19
	v_sub_u32_e32 v10, 29, v25
	v_and_b32_e32 v20, 7, v20
	v_cmp_gt_u32_e32 vcc, 8, v19
	v_cndmask_b32_e32 v10, v24, v10, vcc
	v_cndmask_b32_e32 v19, v23, v20, vcc
	v_lshlrev_b32_e32 v20, 16, v12
	v_bfrev_b32_e32 v21, 60
	v_lshlrev_b32_e32 v19, 20, v19
	v_and_b32_e32 v20, 0x80000000, v20
	v_lshl_add_u32 v10, v10, 23, v21
	v_or3_b32 v20, v20, v10, v19
.LBB567_553:
	s_or_b64 exec, exec, s[10:11]
.LBB567_554:
	s_or_b64 exec, exec, s[8:9]
.LBB567_555:
	s_or_b64 exec, exec, s[2:3]
	s_movk_i32 s2, 0xff
	v_and_b32_sdwa v19, v12, s2 dst_sel:DWORD dst_unused:UNUSED_PAD src0_sel:WORD_1 src1_sel:DWORD
	v_lshrrev_b32_e32 v10, 16, v12
	v_cmp_ne_u16_e32 vcc, 0, v19
	s_and_saveexec_b64 s[2:3], vcc
	s_cbranch_execz .LBB567_561
; %bb.556:
	s_movk_i32 s7, 0x80
	v_cmp_ne_u16_e32 vcc, s7, v19
	v_bfrev_b32_e32 v11, 1
	s_and_saveexec_b64 s[8:9], vcc
	s_cbranch_execz .LBB567_560
; %bb.557:
	v_bfe_u32 v19, v12, 16, 7
	s_movk_i32 s7, 0x7f
	v_cmp_ne_u32_e32 vcc, s7, v19
	v_mov_b32_e32 v11, 0x7f800001
	s_and_saveexec_b64 s[10:11], vcc
	s_cbranch_execz .LBB567_559
; %bb.558:
	v_and_b32_e32 v21, 7, v10
	v_ffbh_u32_e32 v11, v21
	v_min_u32_e32 v24, 32, v11
	v_subrev_u32_e32 v11, 28, v24
	v_lshlrev_b64 v[10:11], v11, v[10:11]
	v_lshrrev_b32_e32 v23, 3, v19
	v_sub_u32_e32 v11, 29, v24
	v_and_b32_e32 v10, 7, v10
	v_cmp_gt_u32_e32 vcc, 8, v19
	v_mov_b32_e32 v19, 24
	v_cndmask_b32_e32 v11, v23, v11, vcc
	v_cndmask_b32_e32 v10, v21, v10, vcc
	v_lshlrev_b32_sdwa v19, v19, v12 dst_sel:DWORD dst_unused:UNUSED_PAD src0_sel:DWORD src1_sel:WORD_1
	v_bfrev_b32_e32 v21, 60
	v_lshlrev_b32_e32 v10, 20, v10
	v_and_b32_e32 v19, 0x80000000, v19
	v_lshl_add_u32 v11, v11, 23, v21
	v_or3_b32 v11, v19, v11, v10
.LBB567_559:
	s_or_b64 exec, exec, s[10:11]
.LBB567_560:
	s_or_b64 exec, exec, s[8:9]
.LBB567_561:
	s_or_b64 exec, exec, s[2:3]
	s_mov_b32 s2, 0xffffff
	v_cmp_lt_u32_e32 vcc, s2, v12
	v_mov_b32_e32 v21, 0
	v_mov_b32_e32 v23, 0
	s_and_saveexec_b64 s[2:3], vcc
	s_cbranch_execz .LBB567_567
; %bb.562:
	v_lshrrev_b32_e32 v10, 24, v12
	s_movk_i32 s7, 0x80
	v_cmp_ne_u32_e32 vcc, s7, v10
	v_bfrev_b32_e32 v23, 1
	s_and_saveexec_b64 s[8:9], vcc
	s_cbranch_execz .LBB567_566
; %bb.563:
	v_bfe_u32 v12, v12, 24, 7
	s_movk_i32 s7, 0x7f
	v_cmp_ne_u32_e32 vcc, s7, v12
	v_mov_b32_e32 v23, 0x7f800001
	s_and_saveexec_b64 s[10:11], vcc
	s_cbranch_execz .LBB567_565
; %bb.564:
	v_and_b32_e32 v19, 7, v10
	v_ffbh_u32_e32 v24, v19
	v_min_u32_e32 v26, 32, v24
	v_subrev_u32_e32 v24, 28, v26
	v_lshlrev_b64 v[24:25], v24, v[10:11]
	v_lshrrev_b32_e32 v23, 3, v12
	v_sub_u32_e32 v25, 29, v26
	v_and_b32_e32 v24, 7, v24
	v_cmp_gt_u32_e32 vcc, 8, v12
	v_cndmask_b32_e32 v12, v23, v25, vcc
	v_cndmask_b32_e32 v19, v19, v24, vcc
	v_lshlrev_b32_e32 v10, 24, v10
	v_bfrev_b32_e32 v23, 60
	v_lshlrev_b32_e32 v19, 20, v19
	v_and_b32_e32 v10, 0x80000000, v10
	v_lshl_add_u32 v12, v12, 23, v23
	v_or3_b32 v23, v10, v12, v19
.LBB567_565:
	s_or_b64 exec, exec, s[10:11]
.LBB567_566:
	s_or_b64 exec, exec, s[8:9]
.LBB567_567:
	s_or_b64 exec, exec, s[2:3]
	v_cmp_ne_u16_sdwa s[8:9], v13, v21 src0_sel:BYTE_0 src1_sel:DWORD
	s_and_saveexec_b64 s[2:3], s[8:9]
	s_cbranch_execz .LBB567_573
; %bb.568:
	s_movk_i32 s7, 0x80
	v_cmp_ne_u16_sdwa s[10:11], v13, s7 src0_sel:BYTE_0 src1_sel:DWORD
	v_bfrev_b32_e32 v21, 1
	s_and_saveexec_b64 s[8:9], s[10:11]
	s_cbranch_execz .LBB567_572
; %bb.569:
	s_movk_i32 s7, 0x7f
	v_and_b32_e32 v10, 0x7f, v13
	v_cmp_ne_u32_e32 vcc, s7, v10
	v_mov_b32_e32 v21, 0x7f800001
	s_and_saveexec_b64 s[10:11], vcc
	s_cbranch_execz .LBB567_571
; %bb.570:
	v_and_b32_e32 v19, 7, v13
	v_ffbh_u32_e32 v24, v19
	v_min_u32_e32 v26, 32, v24
	v_mov_b32_e32 v12, v13
	v_subrev_u32_e32 v24, 28, v26
	v_lshlrev_b64 v[24:25], v24, v[12:13]
	v_lshrrev_b32_e32 v21, 3, v10
	v_sub_u32_e32 v12, 29, v26
	v_and_b32_e32 v24, 7, v24
	v_cmp_gt_u32_e32 vcc, 8, v10
	v_cndmask_b32_e32 v10, v21, v12, vcc
	v_cndmask_b32_e32 v12, v19, v24, vcc
	v_lshlrev_b32_e32 v19, 24, v13
	v_bfrev_b32_e32 v21, 60
	v_lshlrev_b32_e32 v12, 20, v12
	v_and_b32_e32 v19, 0x80000000, v19
	v_lshl_add_u32 v10, v10, 23, v21
	v_or3_b32 v21, v19, v10, v12
.LBB567_571:
	s_or_b64 exec, exec, s[10:11]
.LBB567_572:
	s_or_b64 exec, exec, s[8:9]
.LBB567_573:
	s_or_b64 exec, exec, s[2:3]
	v_lshrrev_b16_e32 v10, 8, v13
	v_cmp_ne_u16_e32 vcc, 0, v10
	v_mov_b32_e32 v12, 0
	v_mov_b32_e32 v24, 0
	s_and_saveexec_b64 s[2:3], vcc
	s_cbranch_execz .LBB567_579
; %bb.574:
	s_movk_i32 s7, 0x80
	v_cmp_ne_u16_e32 vcc, s7, v10
	v_bfrev_b32_e32 v24, 1
	s_and_saveexec_b64 s[8:9], vcc
	s_cbranch_execz .LBB567_578
; %bb.575:
	s_movk_i32 s7, 0x7f
	v_and_b32_e32 v19, 0x7f, v10
	v_cmp_ne_u32_e32 vcc, s7, v19
	v_mov_b32_e32 v24, 0x7f800001
	s_and_saveexec_b64 s[10:11], vcc
	s_cbranch_execz .LBB567_577
; %bb.576:
	v_and_b32_e32 v26, 7, v10
	v_ffbh_u32_e32 v24, v26
	v_min_u32_e32 v29, 32, v24
	v_subrev_u32_e32 v24, 28, v29
	v_lshlrev_b64 v[24:25], v24, v[10:11]
	v_lshrrev_b32_e32 v27, 3, v19
	v_sub_u32_e32 v10, 29, v29
	v_and_b32_e32 v24, 7, v24
	v_cmp_gt_u32_e32 vcc, 8, v19
	v_cndmask_b32_e32 v10, v27, v10, vcc
	v_cndmask_b32_e32 v19, v26, v24, vcc
	v_lshlrev_b32_e32 v24, 16, v13
	v_bfrev_b32_e32 v25, 60
	v_lshlrev_b32_e32 v19, 20, v19
	v_and_b32_e32 v24, 0x80000000, v24
	v_lshl_add_u32 v10, v10, 23, v25
	v_or3_b32 v24, v24, v10, v19
.LBB567_577:
	s_or_b64 exec, exec, s[10:11]
.LBB567_578:
	s_or_b64 exec, exec, s[8:9]
.LBB567_579:
	s_or_b64 exec, exec, s[2:3]
	s_movk_i32 s2, 0xff
	v_and_b32_sdwa v19, v13, s2 dst_sel:DWORD dst_unused:UNUSED_PAD src0_sel:WORD_1 src1_sel:DWORD
	v_lshrrev_b32_e32 v10, 16, v13
	v_cmp_ne_u16_e32 vcc, 0, v19
	s_and_saveexec_b64 s[2:3], vcc
	s_cbranch_execz .LBB567_585
; %bb.580:
	s_movk_i32 s7, 0x80
	v_cmp_ne_u16_e32 vcc, s7, v19
	v_bfrev_b32_e32 v12, 1
	s_and_saveexec_b64 s[8:9], vcc
	s_cbranch_execz .LBB567_584
; %bb.581:
	v_bfe_u32 v19, v13, 16, 7
	s_movk_i32 s7, 0x7f
	v_cmp_ne_u32_e32 vcc, s7, v19
	v_mov_b32_e32 v12, 0x7f800001
	s_and_saveexec_b64 s[10:11], vcc
	s_cbranch_execz .LBB567_583
; %bb.582:
	v_and_b32_e32 v12, 7, v10
	v_ffbh_u32_e32 v26, v12
	v_min_u32_e32 v29, 32, v26
	v_subrev_u32_e32 v26, 28, v29
	v_lshlrev_b64 v[26:27], v26, v[10:11]
	v_lshrrev_b32_e32 v25, 3, v19
	v_sub_u32_e32 v10, 29, v29
	v_and_b32_e32 v26, 7, v26
	v_cmp_gt_u32_e32 vcc, 8, v19
	v_mov_b32_e32 v19, 24
	v_cndmask_b32_e32 v10, v25, v10, vcc
	v_cndmask_b32_e32 v12, v12, v26, vcc
	v_lshlrev_b32_sdwa v19, v19, v13 dst_sel:DWORD dst_unused:UNUSED_PAD src0_sel:DWORD src1_sel:WORD_1
	v_bfrev_b32_e32 v25, 60
	v_lshlrev_b32_e32 v12, 20, v12
	v_and_b32_e32 v19, 0x80000000, v19
	v_lshl_add_u32 v10, v10, 23, v25
	v_or3_b32 v12, v19, v10, v12
.LBB567_583:
	s_or_b64 exec, exec, s[10:11]
.LBB567_584:
	s_or_b64 exec, exec, s[8:9]
.LBB567_585:
	s_or_b64 exec, exec, s[2:3]
	s_mov_b32 s2, 0xffffff
	v_cmp_lt_u32_e32 vcc, s2, v13
	v_mov_b32_e32 v19, 0
	v_mov_b32_e32 v25, 0
	s_and_saveexec_b64 s[2:3], vcc
	s_cbranch_execz .LBB567_591
; %bb.586:
	v_lshrrev_b32_e32 v10, 24, v13
	s_movk_i32 s7, 0x80
	v_cmp_ne_u32_e32 vcc, s7, v10
	v_bfrev_b32_e32 v25, 1
	s_and_saveexec_b64 s[8:9], vcc
	s_cbranch_execz .LBB567_590
; %bb.587:
	v_bfe_u32 v13, v13, 24, 7
	s_movk_i32 s7, 0x7f
	v_cmp_ne_u32_e32 vcc, s7, v13
	v_mov_b32_e32 v25, 0x7f800001
	s_and_saveexec_b64 s[10:11], vcc
	s_cbranch_execz .LBB567_589
; %bb.588:
	v_and_b32_e32 v25, 7, v10
	v_ffbh_u32_e32 v26, v25
	v_min_u32_e32 v30, 32, v26
	v_subrev_u32_e32 v26, 28, v30
	v_lshlrev_b64 v[26:27], v26, v[10:11]
	v_lshrrev_b32_e32 v29, 3, v13
	v_sub_u32_e32 v27, 29, v30
	v_and_b32_e32 v26, 7, v26
	v_cmp_gt_u32_e32 vcc, 8, v13
	v_cndmask_b32_e32 v13, v29, v27, vcc
	v_cndmask_b32_e32 v25, v25, v26, vcc
	v_lshlrev_b32_e32 v10, 24, v10
	v_bfrev_b32_e32 v26, 60
	v_lshlrev_b32_e32 v25, 20, v25
	v_and_b32_e32 v10, 0x80000000, v10
	v_lshl_add_u32 v13, v13, 23, v26
	v_or3_b32 v25, v10, v13, v25
.LBB567_589:
	s_or_b64 exec, exec, s[10:11]
.LBB567_590:
	s_or_b64 exec, exec, s[8:9]
.LBB567_591:
	s_or_b64 exec, exec, s[2:3]
	v_cvt_pkrtz_f16_f32 v10, v18, v20
	v_cvt_pkrtz_f16_f32 v11, v11, v23
	ds_read_b128 v[30:33], v22 offset:2064
	s_waitcnt vmcnt(1)
	v_cmp_ne_u16_sdwa s[8:9], v6, v19 src0_sel:BYTE_0 src1_sel:DWORD
	s_waitcnt lgkmcnt(0)
	v_mfma_f32_16x16x16f16 v[14:17], v[10:11], v[30:31], v[14:17]
	v_cvt_pkrtz_f16_f32 v10, v21, v24
	v_cvt_pkrtz_f16_f32 v11, v12, v25
	s_nop 1
	v_mfma_f32_16x16x16f16 v[10:13], v[10:11], v[32:33], v[14:17]
	s_and_saveexec_b64 s[2:3], s[8:9]
	s_cbranch_execz .LBB567_597
; %bb.592:
	s_movk_i32 s7, 0x80
	v_cmp_ne_u16_sdwa s[10:11], v6, s7 src0_sel:BYTE_0 src1_sel:DWORD
	v_bfrev_b32_e32 v19, 1
	s_and_saveexec_b64 s[8:9], s[10:11]
	s_cbranch_execz .LBB567_596
; %bb.593:
	s_movk_i32 s7, 0x7f
	v_and_b32_e32 v14, 0x7f, v6
	v_cmp_ne_u32_e32 vcc, s7, v14
	v_mov_b32_e32 v19, 0x7f800001
	s_and_saveexec_b64 s[10:11], vcc
	s_cbranch_execz .LBB567_595
; %bb.594:
	v_and_b32_e32 v15, 7, v6
	v_ffbh_u32_e32 v16, v15
	v_min_u32_e32 v19, 32, v16
	v_subrev_u32_e32 v16, 28, v19
	v_lshlrev_b64 v[16:17], v16, v[6:7]
	v_lshrrev_b32_e32 v18, 3, v14
	v_sub_u32_e32 v17, 29, v19
	v_and_b32_e32 v16, 7, v16
	v_cmp_gt_u32_e32 vcc, 8, v14
	v_cndmask_b32_e32 v14, v18, v17, vcc
	v_cndmask_b32_e32 v15, v15, v16, vcc
	v_lshlrev_b32_e32 v16, 24, v6
	v_bfrev_b32_e32 v17, 60
	v_lshlrev_b32_e32 v15, 20, v15
	v_and_b32_e32 v16, 0x80000000, v16
	v_lshl_add_u32 v14, v14, 23, v17
	v_or3_b32 v19, v16, v14, v15
.LBB567_595:
	s_or_b64 exec, exec, s[10:11]
.LBB567_596:
	s_or_b64 exec, exec, s[8:9]
.LBB567_597:
	s_or_b64 exec, exec, s[2:3]
	s_nop 3
	v_lshrrev_b16_e32 v14, 8, v6
	v_cmp_ne_u16_e32 vcc, 0, v14
	v_mov_b32_e32 v15, 0
	v_mov_b32_e32 v16, 0
	s_and_saveexec_b64 s[2:3], vcc
	s_cbranch_execz .LBB567_603
; %bb.598:
	s_movk_i32 s7, 0x80
	v_cmp_ne_u16_e32 vcc, s7, v14
	v_bfrev_b32_e32 v16, 1
	s_and_saveexec_b64 s[8:9], vcc
	s_cbranch_execz .LBB567_602
; %bb.599:
	s_movk_i32 s7, 0x7f
	v_and_b32_e32 v17, 0x7f, v14
	v_cmp_ne_u32_e32 vcc, s7, v17
	v_mov_b32_e32 v16, 0x7f800001
	s_and_saveexec_b64 s[10:11], vcc
	s_cbranch_execz .LBB567_601
; %bb.600:
	v_and_b32_e32 v16, 7, v14
	v_ffbh_u32_e32 v20, v16
	v_min_u32_e32 v23, 32, v20
	v_subrev_u32_e32 v20, 28, v23
	v_lshlrev_b64 v[20:21], v20, v[14:15]
	v_lshrrev_b32_e32 v18, 3, v17
	v_sub_u32_e32 v14, 29, v23
	v_and_b32_e32 v20, 7, v20
	v_cmp_gt_u32_e32 vcc, 8, v17
	v_cndmask_b32_e32 v14, v18, v14, vcc
	v_cndmask_b32_e32 v16, v16, v20, vcc
	v_lshlrev_b32_e32 v17, 16, v6
	v_bfrev_b32_e32 v18, 60
	v_lshlrev_b32_e32 v16, 20, v16
	v_and_b32_e32 v17, 0x80000000, v17
	v_lshl_add_u32 v14, v14, 23, v18
	v_or3_b32 v16, v17, v14, v16
.LBB567_601:
	s_or_b64 exec, exec, s[10:11]
.LBB567_602:
	s_or_b64 exec, exec, s[8:9]
.LBB567_603:
	s_or_b64 exec, exec, s[2:3]
	s_movk_i32 s2, 0xff
	v_and_b32_sdwa v17, v6, s2 dst_sel:DWORD dst_unused:UNUSED_PAD src0_sel:WORD_1 src1_sel:DWORD
	v_lshrrev_b32_e32 v14, 16, v6
	v_cmp_ne_u16_e32 vcc, 0, v17
	s_and_saveexec_b64 s[2:3], vcc
	s_cbranch_execz .LBB567_609
; %bb.604:
	s_movk_i32 s7, 0x80
	v_cmp_ne_u16_e32 vcc, s7, v17
	v_bfrev_b32_e32 v15, 1
	s_and_saveexec_b64 s[8:9], vcc
	s_cbranch_execz .LBB567_608
; %bb.605:
	v_bfe_u32 v17, v6, 16, 7
	s_movk_i32 s7, 0x7f
	v_cmp_ne_u32_e32 vcc, s7, v17
	v_mov_b32_e32 v15, 0x7f800001
	s_and_saveexec_b64 s[10:11], vcc
	s_cbranch_execz .LBB567_607
; %bb.606:
	v_and_b32_e32 v18, 7, v14
	v_ffbh_u32_e32 v15, v18
	v_min_u32_e32 v21, 32, v15
	v_subrev_u32_e32 v15, 28, v21
	v_lshlrev_b64 v[14:15], v15, v[14:15]
	v_lshrrev_b32_e32 v20, 3, v17
	v_sub_u32_e32 v15, 29, v21
	v_and_b32_e32 v14, 7, v14
	v_cmp_gt_u32_e32 vcc, 8, v17
	v_mov_b32_e32 v17, 24
	v_cndmask_b32_e32 v15, v20, v15, vcc
	v_cndmask_b32_e32 v14, v18, v14, vcc
	v_lshlrev_b32_sdwa v17, v17, v6 dst_sel:DWORD dst_unused:UNUSED_PAD src0_sel:DWORD src1_sel:WORD_1
	v_bfrev_b32_e32 v18, 60
	v_lshlrev_b32_e32 v14, 20, v14
	v_and_b32_e32 v17, 0x80000000, v17
	v_lshl_add_u32 v15, v15, 23, v18
	v_or3_b32 v15, v17, v15, v14
.LBB567_607:
	s_or_b64 exec, exec, s[10:11]
.LBB567_608:
	s_or_b64 exec, exec, s[8:9]
.LBB567_609:
	s_or_b64 exec, exec, s[2:3]
	s_mov_b32 s2, 0xffffff
	v_cmp_lt_u32_e32 vcc, s2, v6
	v_mov_b32_e32 v17, 0
	v_mov_b32_e32 v18, 0
	s_and_saveexec_b64 s[2:3], vcc
	s_cbranch_execz .LBB567_615
; %bb.610:
	v_lshrrev_b32_e32 v14, 24, v6
	s_movk_i32 s7, 0x80
	v_cmp_ne_u32_e32 vcc, s7, v14
	v_bfrev_b32_e32 v18, 1
	s_and_saveexec_b64 s[8:9], vcc
	s_cbranch_execz .LBB567_614
; %bb.611:
	v_bfe_u32 v6, v6, 24, 7
	s_movk_i32 s7, 0x7f
	v_cmp_ne_u32_e32 vcc, s7, v6
	v_mov_b32_e32 v18, 0x7f800001
	s_and_saveexec_b64 s[10:11], vcc
	s_cbranch_execz .LBB567_613
; %bb.612:
	v_and_b32_e32 v18, 7, v14
	v_ffbh_u32_e32 v20, v18
	v_min_u32_e32 v24, 32, v20
	v_subrev_u32_e32 v20, 28, v24
	v_lshlrev_b64 v[20:21], v20, v[14:15]
	v_lshrrev_b32_e32 v23, 3, v6
	v_sub_u32_e32 v21, 29, v24
	v_and_b32_e32 v20, 7, v20
	v_cmp_gt_u32_e32 vcc, 8, v6
	v_cndmask_b32_e32 v6, v23, v21, vcc
	v_cndmask_b32_e32 v18, v18, v20, vcc
	v_lshlrev_b32_e32 v14, 24, v14
	v_bfrev_b32_e32 v20, 60
	v_lshlrev_b32_e32 v18, 20, v18
	v_and_b32_e32 v14, 0x80000000, v14
	v_lshl_add_u32 v6, v6, 23, v20
	v_or3_b32 v18, v14, v6, v18
.LBB567_613:
	s_or_b64 exec, exec, s[10:11]
.LBB567_614:
	s_or_b64 exec, exec, s[8:9]
.LBB567_615:
	s_or_b64 exec, exec, s[2:3]
	v_cmp_ne_u16_sdwa s[8:9], v7, v17 src0_sel:BYTE_0 src1_sel:DWORD
	s_and_saveexec_b64 s[2:3], s[8:9]
	s_cbranch_execz .LBB567_621
; %bb.616:
	s_movk_i32 s7, 0x80
	v_cmp_ne_u16_sdwa s[10:11], v7, s7 src0_sel:BYTE_0 src1_sel:DWORD
	v_bfrev_b32_e32 v17, 1
	s_and_saveexec_b64 s[8:9], s[10:11]
	s_cbranch_execz .LBB567_620
; %bb.617:
	s_movk_i32 s7, 0x7f
	v_and_b32_e32 v6, 0x7f, v7
	v_cmp_ne_u32_e32 vcc, s7, v6
	v_mov_b32_e32 v17, 0x7f800001
	s_and_saveexec_b64 s[10:11], vcc
	s_cbranch_execz .LBB567_619
; %bb.618:
	v_and_b32_e32 v17, 7, v7
	v_ffbh_u32_e32 v20, v17
	v_min_u32_e32 v24, 32, v20
	v_mov_b32_e32 v14, v7
	v_subrev_u32_e32 v20, 28, v24
	v_lshlrev_b64 v[20:21], v20, v[14:15]
	v_lshrrev_b32_e32 v23, 3, v6
	v_sub_u32_e32 v14, 29, v24
	v_and_b32_e32 v20, 7, v20
	v_cmp_gt_u32_e32 vcc, 8, v6
	v_cndmask_b32_e32 v6, v23, v14, vcc
	v_cndmask_b32_e32 v14, v17, v20, vcc
	v_lshlrev_b32_e32 v17, 24, v7
	v_bfrev_b32_e32 v20, 60
	v_lshlrev_b32_e32 v14, 20, v14
	v_and_b32_e32 v17, 0x80000000, v17
	v_lshl_add_u32 v6, v6, 23, v20
	v_or3_b32 v17, v17, v6, v14
.LBB567_619:
	s_or_b64 exec, exec, s[10:11]
.LBB567_620:
	s_or_b64 exec, exec, s[8:9]
.LBB567_621:
	s_or_b64 exec, exec, s[2:3]
	v_lshrrev_b16_e32 v6, 8, v7
	v_cmp_ne_u16_e32 vcc, 0, v6
	v_mov_b32_e32 v20, 0
	v_mov_b32_e32 v21, 0
	s_and_saveexec_b64 s[2:3], vcc
	s_cbranch_execz .LBB567_627
; %bb.622:
	s_movk_i32 s7, 0x80
	v_cmp_ne_u16_e32 vcc, s7, v6
	v_bfrev_b32_e32 v21, 1
	s_and_saveexec_b64 s[8:9], vcc
	s_cbranch_execz .LBB567_626
; %bb.623:
	s_movk_i32 s7, 0x7f
	v_and_b32_e32 v14, 0x7f, v6
	v_cmp_ne_u32_e32 vcc, s7, v14
	v_mov_b32_e32 v21, 0x7f800001
	s_and_saveexec_b64 s[10:11], vcc
	s_cbranch_execz .LBB567_625
; %bb.624:
	v_and_b32_e32 v21, 7, v6
	v_ffbh_u32_e32 v24, v21
	v_min_u32_e32 v26, 32, v24
	v_subrev_u32_e32 v24, 28, v26
	v_lshlrev_b64 v[24:25], v24, v[6:7]
	v_lshrrev_b32_e32 v23, 3, v14
	v_sub_u32_e32 v6, 29, v26
	v_and_b32_e32 v24, 7, v24
	v_cmp_gt_u32_e32 vcc, 8, v14
	v_cndmask_b32_e32 v6, v23, v6, vcc
	v_cndmask_b32_e32 v14, v21, v24, vcc
	v_lshlrev_b32_e32 v21, 16, v7
	v_bfrev_b32_e32 v23, 60
	v_lshlrev_b32_e32 v14, 20, v14
	v_and_b32_e32 v21, 0x80000000, v21
	v_lshl_add_u32 v6, v6, 23, v23
	v_or3_b32 v21, v21, v6, v14
.LBB567_625:
	s_or_b64 exec, exec, s[10:11]
.LBB567_626:
	s_or_b64 exec, exec, s[8:9]
.LBB567_627:
	s_or_b64 exec, exec, s[2:3]
	s_movk_i32 s2, 0xff
	v_and_b32_sdwa v14, v7, s2 dst_sel:DWORD dst_unused:UNUSED_PAD src0_sel:WORD_1 src1_sel:DWORD
	v_lshrrev_b32_e32 v6, 16, v7
	v_cmp_ne_u16_e32 vcc, 0, v14
	s_and_saveexec_b64 s[2:3], vcc
	s_cbranch_execz .LBB567_633
; %bb.628:
	s_movk_i32 s7, 0x80
	v_cmp_ne_u16_e32 vcc, s7, v14
	v_bfrev_b32_e32 v20, 1
	s_and_saveexec_b64 s[8:9], vcc
	s_cbranch_execz .LBB567_632
; %bb.629:
	v_bfe_u32 v14, v7, 16, 7
	s_movk_i32 s7, 0x7f
	v_cmp_ne_u32_e32 vcc, s7, v14
	v_mov_b32_e32 v20, 0x7f800001
	s_and_saveexec_b64 s[10:11], vcc
	s_cbranch_execz .LBB567_631
; %bb.630:
	v_and_b32_e32 v20, 7, v6
	v_ffbh_u32_e32 v24, v20
	v_min_u32_e32 v26, 32, v24
	v_subrev_u32_e32 v24, 28, v26
	v_lshlrev_b64 v[24:25], v24, v[6:7]
	v_and_b32_e32 v24, 7, v24
	v_cmp_gt_u32_e32 vcc, 8, v14
	v_lshrrev_b32_e32 v23, 3, v14
	v_sub_u32_e32 v6, 29, v26
	v_cndmask_b32_e32 v14, v20, v24, vcc
	v_mov_b32_e32 v20, 24
	v_cndmask_b32_e32 v6, v23, v6, vcc
	v_lshlrev_b32_sdwa v20, v20, v7 dst_sel:DWORD dst_unused:UNUSED_PAD src0_sel:DWORD src1_sel:WORD_1
	v_bfrev_b32_e32 v23, 60
	v_lshlrev_b32_e32 v14, 20, v14
	v_and_b32_e32 v20, 0x80000000, v20
	v_lshl_add_u32 v6, v6, 23, v23
	v_or3_b32 v20, v20, v6, v14
.LBB567_631:
	s_or_b64 exec, exec, s[10:11]
.LBB567_632:
	s_or_b64 exec, exec, s[8:9]
.LBB567_633:
	s_or_b64 exec, exec, s[2:3]
	s_mov_b32 s2, 0xffffff
	v_cmp_lt_u32_e32 vcc, s2, v7
	v_mov_b32_e32 v14, 0
	v_mov_b32_e32 v23, 0
	s_and_saveexec_b64 s[2:3], vcc
	s_cbranch_execz .LBB567_639
; %bb.634:
	v_lshrrev_b32_e32 v6, 24, v7
	s_movk_i32 s7, 0x80
	v_cmp_ne_u32_e32 vcc, s7, v6
	v_bfrev_b32_e32 v23, 1
	s_and_saveexec_b64 s[8:9], vcc
	s_cbranch_execz .LBB567_638
; %bb.635:
	v_bfe_u32 v7, v7, 24, 7
	s_movk_i32 s7, 0x7f
	v_cmp_ne_u32_e32 vcc, s7, v7
	v_mov_b32_e32 v23, 0x7f800001
	s_and_saveexec_b64 s[10:11], vcc
	s_cbranch_execz .LBB567_637
; %bb.636:
	v_and_b32_e32 v23, 7, v6
	v_ffbh_u32_e32 v24, v23
	v_min_u32_e32 v27, 32, v24
	v_subrev_u32_e32 v24, 28, v27
	v_lshlrev_b64 v[24:25], v24, v[6:7]
	v_lshrrev_b32_e32 v26, 3, v7
	v_sub_u32_e32 v25, 29, v27
	v_and_b32_e32 v24, 7, v24
	v_cmp_gt_u32_e32 vcc, 8, v7
	v_cndmask_b32_e32 v7, v26, v25, vcc
	v_cndmask_b32_e32 v23, v23, v24, vcc
	v_lshlrev_b32_e32 v6, 24, v6
	v_bfrev_b32_e32 v24, 60
	v_lshlrev_b32_e32 v23, 20, v23
	v_and_b32_e32 v6, 0x80000000, v6
	v_lshl_add_u32 v7, v7, 23, v24
	v_or3_b32 v23, v6, v7, v23
.LBB567_637:
	s_or_b64 exec, exec, s[10:11]
.LBB567_638:
	s_or_b64 exec, exec, s[8:9]
.LBB567_639:
	s_or_b64 exec, exec, s[2:3]
	v_cvt_pkrtz_f16_f32 v6, v19, v16
	v_cvt_pkrtz_f16_f32 v7, v15, v18
	ds_read_b128 v[24:27], v22 offset:4096
	v_cmp_ne_u16_sdwa s[8:9], v8, v14 src0_sel:BYTE_0 src1_sel:DWORD
	s_waitcnt lgkmcnt(0)
	v_mfma_f32_16x16x16f16 v[10:13], v[6:7], v[24:25], v[10:13]
	v_cvt_pkrtz_f16_f32 v6, v17, v21
	v_cvt_pkrtz_f16_f32 v7, v20, v23
	s_nop 1
	v_mfma_f32_16x16x16f16 v[10:13], v[6:7], v[26:27], v[10:13]
	s_and_saveexec_b64 s[2:3], s[8:9]
	s_cbranch_execz .LBB567_645
; %bb.640:
	s_movk_i32 s7, 0x80
	v_cmp_ne_u16_sdwa s[10:11], v8, s7 src0_sel:BYTE_0 src1_sel:DWORD
	v_bfrev_b32_e32 v14, 1
	s_and_saveexec_b64 s[8:9], s[10:11]
	s_cbranch_execz .LBB567_644
; %bb.641:
	s_movk_i32 s7, 0x7f
	v_and_b32_e32 v6, 0x7f, v8
	v_cmp_ne_u32_e32 vcc, s7, v6
	v_mov_b32_e32 v14, 0x7f800001
	s_and_saveexec_b64 s[10:11], vcc
	s_cbranch_execz .LBB567_643
; %bb.642:
	v_and_b32_e32 v7, 7, v8
	v_ffbh_u32_e32 v14, v7
	v_min_u32_e32 v17, 32, v14
	v_subrev_u32_e32 v14, 28, v17
	v_lshlrev_b64 v[14:15], v14, v[8:9]
	v_lshrrev_b32_e32 v16, 3, v6
	v_sub_u32_e32 v15, 29, v17
	v_and_b32_e32 v14, 7, v14
	v_cmp_gt_u32_e32 vcc, 8, v6
	v_cndmask_b32_e32 v6, v16, v15, vcc
	v_cndmask_b32_e32 v7, v7, v14, vcc
	v_lshlrev_b32_e32 v14, 24, v8
	v_bfrev_b32_e32 v15, 60
	v_lshlrev_b32_e32 v7, 20, v7
	v_and_b32_e32 v14, 0x80000000, v14
	v_lshl_add_u32 v6, v6, 23, v15
	v_or3_b32 v14, v14, v6, v7
.LBB567_643:
	s_or_b64 exec, exec, s[10:11]
.LBB567_644:
	s_or_b64 exec, exec, s[8:9]
.LBB567_645:
	s_or_b64 exec, exec, s[2:3]
	v_lshrrev_b16_e32 v6, 8, v8
	v_cmp_ne_u16_e32 vcc, 0, v6
	v_mov_b32_e32 v7, 0
	v_mov_b32_e32 v16, 0
	s_and_saveexec_b64 s[2:3], vcc
	s_cbranch_execz .LBB567_651
; %bb.646:
	s_movk_i32 s7, 0x80
	v_cmp_ne_u16_e32 vcc, s7, v6
	v_bfrev_b32_e32 v16, 1
	s_and_saveexec_b64 s[8:9], vcc
	s_cbranch_execz .LBB567_650
; %bb.647:
	s_movk_i32 s7, 0x7f
	v_and_b32_e32 v15, 0x7f, v6
	v_cmp_ne_u32_e32 vcc, s7, v15
	v_mov_b32_e32 v16, 0x7f800001
	s_and_saveexec_b64 s[10:11], vcc
	s_cbranch_execz .LBB567_649
; %bb.648:
	v_and_b32_e32 v18, 7, v6
	v_ffbh_u32_e32 v16, v18
	v_min_u32_e32 v20, 32, v16
	v_subrev_u32_e32 v16, 28, v20
	v_lshlrev_b64 v[16:17], v16, v[6:7]
	v_lshrrev_b32_e32 v19, 3, v15
	v_sub_u32_e32 v6, 29, v20
	v_and_b32_e32 v16, 7, v16
	v_cmp_gt_u32_e32 vcc, 8, v15
	v_cndmask_b32_e32 v6, v19, v6, vcc
	v_cndmask_b32_e32 v15, v18, v16, vcc
	v_lshlrev_b32_e32 v16, 16, v8
	v_bfrev_b32_e32 v17, 60
	v_lshlrev_b32_e32 v15, 20, v15
	v_and_b32_e32 v16, 0x80000000, v16
	v_lshl_add_u32 v6, v6, 23, v17
	v_or3_b32 v16, v16, v6, v15
.LBB567_649:
	s_or_b64 exec, exec, s[10:11]
.LBB567_650:
	s_or_b64 exec, exec, s[8:9]
.LBB567_651:
	s_or_b64 exec, exec, s[2:3]
	s_movk_i32 s2, 0xff
	v_and_b32_sdwa v15, v8, s2 dst_sel:DWORD dst_unused:UNUSED_PAD src0_sel:WORD_1 src1_sel:DWORD
	v_lshrrev_b32_e32 v6, 16, v8
	v_cmp_ne_u16_e32 vcc, 0, v15
	s_and_saveexec_b64 s[2:3], vcc
	s_cbranch_execz .LBB567_657
; %bb.652:
	s_movk_i32 s7, 0x80
	v_cmp_ne_u16_e32 vcc, s7, v15
	v_bfrev_b32_e32 v7, 1
	s_and_saveexec_b64 s[8:9], vcc
	s_cbranch_execz .LBB567_656
; %bb.653:
	v_bfe_u32 v15, v8, 16, 7
	s_movk_i32 s7, 0x7f
	v_cmp_ne_u32_e32 vcc, s7, v15
	v_mov_b32_e32 v7, 0x7f800001
	s_and_saveexec_b64 s[10:11], vcc
	s_cbranch_execz .LBB567_655
; %bb.654:
	v_and_b32_e32 v17, 7, v6
	v_ffbh_u32_e32 v7, v17
	v_min_u32_e32 v19, 32, v7
	v_subrev_u32_e32 v7, 28, v19
	v_lshlrev_b64 v[6:7], v7, v[6:7]
	v_lshrrev_b32_e32 v18, 3, v15
	v_sub_u32_e32 v7, 29, v19
	v_and_b32_e32 v6, 7, v6
	v_cmp_gt_u32_e32 vcc, 8, v15
	v_mov_b32_e32 v15, 24
	v_cndmask_b32_e32 v7, v18, v7, vcc
	v_cndmask_b32_e32 v6, v17, v6, vcc
	v_lshlrev_b32_sdwa v15, v15, v8 dst_sel:DWORD dst_unused:UNUSED_PAD src0_sel:DWORD src1_sel:WORD_1
	v_bfrev_b32_e32 v17, 60
	v_lshlrev_b32_e32 v6, 20, v6
	v_and_b32_e32 v15, 0x80000000, v15
	v_lshl_add_u32 v7, v7, 23, v17
	v_or3_b32 v7, v15, v7, v6
.LBB567_655:
	s_or_b64 exec, exec, s[10:11]
.LBB567_656:
	s_or_b64 exec, exec, s[8:9]
.LBB567_657:
	s_or_b64 exec, exec, s[2:3]
	s_mov_b32 s2, 0xffffff
	v_cmp_lt_u32_e32 vcc, s2, v8
	v_mov_b32_e32 v17, 0
	v_mov_b32_e32 v18, 0
	s_and_saveexec_b64 s[2:3], vcc
	s_cbranch_execz .LBB567_663
; %bb.658:
	v_lshrrev_b32_e32 v6, 24, v8
	s_movk_i32 s7, 0x80
	v_cmp_ne_u32_e32 vcc, s7, v6
	v_bfrev_b32_e32 v18, 1
	s_and_saveexec_b64 s[8:9], vcc
	s_cbranch_execz .LBB567_662
; %bb.659:
	v_bfe_u32 v8, v8, 24, 7
	s_movk_i32 s7, 0x7f
	v_cmp_ne_u32_e32 vcc, s7, v8
	v_mov_b32_e32 v18, 0x7f800001
	s_and_saveexec_b64 s[10:11], vcc
	s_cbranch_execz .LBB567_661
; %bb.660:
	v_and_b32_e32 v15, 7, v6
	v_ffbh_u32_e32 v18, v15
	v_min_u32_e32 v21, 32, v18
	v_subrev_u32_e32 v18, 28, v21
	v_lshlrev_b64 v[18:19], v18, v[6:7]
	v_lshrrev_b32_e32 v20, 3, v8
	v_sub_u32_e32 v19, 29, v21
	v_and_b32_e32 v18, 7, v18
	v_cmp_gt_u32_e32 vcc, 8, v8
	v_cndmask_b32_e32 v8, v20, v19, vcc
	v_cndmask_b32_e32 v15, v15, v18, vcc
	v_lshlrev_b32_e32 v6, 24, v6
	v_bfrev_b32_e32 v18, 60
	v_lshlrev_b32_e32 v15, 20, v15
	v_and_b32_e32 v6, 0x80000000, v6
	v_lshl_add_u32 v8, v8, 23, v18
	v_or3_b32 v18, v6, v8, v15
.LBB567_661:
	s_or_b64 exec, exec, s[10:11]
.LBB567_662:
	s_or_b64 exec, exec, s[8:9]
.LBB567_663:
	s_or_b64 exec, exec, s[2:3]
	v_cmp_ne_u16_sdwa s[8:9], v9, v17 src0_sel:BYTE_0 src1_sel:DWORD
	s_and_saveexec_b64 s[2:3], s[8:9]
	s_cbranch_execz .LBB567_669
; %bb.664:
	s_movk_i32 s7, 0x80
	v_cmp_ne_u16_sdwa s[10:11], v9, s7 src0_sel:BYTE_0 src1_sel:DWORD
	v_bfrev_b32_e32 v17, 1
	s_and_saveexec_b64 s[8:9], s[10:11]
	s_cbranch_execz .LBB567_668
; %bb.665:
	s_movk_i32 s7, 0x7f
	v_and_b32_e32 v6, 0x7f, v9
	v_cmp_ne_u32_e32 vcc, s7, v6
	v_mov_b32_e32 v17, 0x7f800001
	s_and_saveexec_b64 s[10:11], vcc
	s_cbranch_execz .LBB567_667
; %bb.666:
	v_and_b32_e32 v15, 7, v9
	v_ffbh_u32_e32 v19, v15
	v_min_u32_e32 v19, 32, v19
	v_mov_b32_e32 v8, v9
	v_subrev_u32_e32 v20, 28, v19
	v_lshlrev_b64 v[20:21], v20, v[8:9]
	v_lshrrev_b32_e32 v17, 3, v6
	v_sub_u32_e32 v8, 29, v19
	v_and_b32_e32 v19, 7, v20
	v_cmp_gt_u32_e32 vcc, 8, v6
	v_cndmask_b32_e32 v6, v17, v8, vcc
	v_cndmask_b32_e32 v8, v15, v19, vcc
	v_lshlrev_b32_e32 v15, 24, v9
	v_bfrev_b32_e32 v17, 60
	v_lshlrev_b32_e32 v8, 20, v8
	v_and_b32_e32 v15, 0x80000000, v15
	v_lshl_add_u32 v6, v6, 23, v17
	v_or3_b32 v17, v15, v6, v8
.LBB567_667:
	s_or_b64 exec, exec, s[10:11]
.LBB567_668:
	s_or_b64 exec, exec, s[8:9]
.LBB567_669:
	s_or_b64 exec, exec, s[2:3]
	v_lshrrev_b16_e32 v6, 8, v9
	v_cmp_ne_u16_e32 vcc, 0, v6
	v_mov_b32_e32 v8, 0
	v_mov_b32_e32 v19, 0
	s_and_saveexec_b64 s[2:3], vcc
	s_cbranch_execz .LBB567_675
; %bb.670:
	s_movk_i32 s7, 0x80
	v_cmp_ne_u16_e32 vcc, s7, v6
	v_bfrev_b32_e32 v19, 1
	s_and_saveexec_b64 s[8:9], vcc
	s_cbranch_execz .LBB567_674
; %bb.671:
	s_movk_i32 s7, 0x7f
	v_and_b32_e32 v15, 0x7f, v6
	v_cmp_ne_u32_e32 vcc, s7, v15
	v_mov_b32_e32 v19, 0x7f800001
	s_and_saveexec_b64 s[10:11], vcc
	s_cbranch_execz .LBB567_673
; %bb.672:
	v_and_b32_e32 v19, 7, v6
	v_ffbh_u32_e32 v20, v19
	v_min_u32_e32 v24, 32, v20
	v_subrev_u32_e32 v20, 28, v24
	v_lshlrev_b64 v[20:21], v20, v[6:7]
	v_lshrrev_b32_e32 v23, 3, v15
	v_sub_u32_e32 v6, 29, v24
	v_and_b32_e32 v20, 7, v20
	v_cmp_gt_u32_e32 vcc, 8, v15
	v_cndmask_b32_e32 v6, v23, v6, vcc
	v_cndmask_b32_e32 v15, v19, v20, vcc
	v_lshlrev_b32_e32 v19, 16, v9
	v_bfrev_b32_e32 v20, 60
	v_lshlrev_b32_e32 v15, 20, v15
	v_and_b32_e32 v19, 0x80000000, v19
	v_lshl_add_u32 v6, v6, 23, v20
	v_or3_b32 v19, v19, v6, v15
.LBB567_673:
	s_or_b64 exec, exec, s[10:11]
.LBB567_674:
	s_or_b64 exec, exec, s[8:9]
.LBB567_675:
	s_or_b64 exec, exec, s[2:3]
	s_movk_i32 s2, 0xff
	v_and_b32_sdwa v15, v9, s2 dst_sel:DWORD dst_unused:UNUSED_PAD src0_sel:WORD_1 src1_sel:DWORD
	v_lshrrev_b32_e32 v6, 16, v9
	v_cmp_ne_u16_e32 vcc, 0, v15
	s_and_saveexec_b64 s[2:3], vcc
	s_cbranch_execz .LBB567_681
; %bb.676:
	s_movk_i32 s7, 0x80
	v_cmp_ne_u16_e32 vcc, s7, v15
	v_bfrev_b32_e32 v8, 1
	s_and_saveexec_b64 s[8:9], vcc
	s_cbranch_execz .LBB567_680
; %bb.677:
	v_bfe_u32 v15, v9, 16, 7
	s_movk_i32 s7, 0x7f
	v_cmp_ne_u32_e32 vcc, s7, v15
	v_mov_b32_e32 v8, 0x7f800001
	s_and_saveexec_b64 s[10:11], vcc
	s_cbranch_execz .LBB567_679
; %bb.678:
	v_and_b32_e32 v8, 7, v6
	v_ffbh_u32_e32 v20, v8
	v_min_u32_e32 v24, 32, v20
	v_subrev_u32_e32 v20, 28, v24
	v_lshlrev_b64 v[20:21], v20, v[6:7]
	v_lshrrev_b32_e32 v23, 3, v15
	v_sub_u32_e32 v6, 29, v24
	v_and_b32_e32 v20, 7, v20
	v_cmp_gt_u32_e32 vcc, 8, v15
	v_mov_b32_e32 v15, 24
	v_cndmask_b32_e32 v6, v23, v6, vcc
	v_cndmask_b32_e32 v8, v8, v20, vcc
	v_lshlrev_b32_sdwa v15, v15, v9 dst_sel:DWORD dst_unused:UNUSED_PAD src0_sel:DWORD src1_sel:WORD_1
	v_bfrev_b32_e32 v20, 60
	v_lshlrev_b32_e32 v8, 20, v8
	v_and_b32_e32 v15, 0x80000000, v15
	v_lshl_add_u32 v6, v6, 23, v20
	v_or3_b32 v8, v15, v6, v8
.LBB567_679:
	s_or_b64 exec, exec, s[10:11]
.LBB567_680:
	s_or_b64 exec, exec, s[8:9]
.LBB567_681:
	s_or_b64 exec, exec, s[2:3]
	s_mov_b32 s2, 0xffffff
	v_cmp_lt_u32_e32 vcc, s2, v9
	v_mov_b32_e32 v15, 0
	v_mov_b32_e32 v20, 0
	s_and_saveexec_b64 s[2:3], vcc
	s_cbranch_execz .LBB567_687
; %bb.682:
	v_lshrrev_b32_e32 v6, 24, v9
	s_movk_i32 s7, 0x80
	v_cmp_ne_u32_e32 vcc, s7, v6
	v_bfrev_b32_e32 v20, 1
	s_and_saveexec_b64 s[8:9], vcc
	s_cbranch_execz .LBB567_686
; %bb.683:
	v_bfe_u32 v9, v9, 24, 7
	s_movk_i32 s7, 0x7f
	v_cmp_ne_u32_e32 vcc, s7, v9
	v_mov_b32_e32 v20, 0x7f800001
	s_and_saveexec_b64 s[10:11], vcc
	s_cbranch_execz .LBB567_685
; %bb.684:
	v_and_b32_e32 v23, 7, v6
	v_ffbh_u32_e32 v20, v23
	v_min_u32_e32 v25, 32, v20
	v_subrev_u32_e32 v20, 28, v25
	v_lshlrev_b64 v[20:21], v20, v[6:7]
	v_lshrrev_b32_e32 v24, 3, v9
	v_sub_u32_e32 v21, 29, v25
	v_and_b32_e32 v20, 7, v20
	v_cmp_gt_u32_e32 vcc, 8, v9
	v_cndmask_b32_e32 v9, v24, v21, vcc
	v_cndmask_b32_e32 v20, v23, v20, vcc
	v_lshlrev_b32_e32 v6, 24, v6
	v_bfrev_b32_e32 v21, 60
	v_lshlrev_b32_e32 v20, 20, v20
	v_and_b32_e32 v6, 0x80000000, v6
	v_lshl_add_u32 v9, v9, 23, v21
	v_or3_b32 v20, v6, v9, v20
.LBB567_685:
	s_or_b64 exec, exec, s[10:11]
.LBB567_686:
	s_or_b64 exec, exec, s[8:9]
.LBB567_687:
	s_or_b64 exec, exec, s[2:3]
	v_cvt_pkrtz_f16_f32 v6, v14, v16
	v_cvt_pkrtz_f16_f32 v7, v7, v18
	ds_read_b128 v[24:27], v22 offset:4112
	s_waitcnt vmcnt(0)
	v_cmp_ne_u16_sdwa s[8:9], v2, v15 src0_sel:BYTE_0 src1_sel:DWORD
	s_waitcnt lgkmcnt(0)
	v_mfma_f32_16x16x16f16 v[10:13], v[6:7], v[24:25], v[10:13]
	v_cvt_pkrtz_f16_f32 v6, v17, v19
	v_cvt_pkrtz_f16_f32 v7, v8, v20
	s_nop 1
	v_mfma_f32_16x16x16f16 v[6:9], v[6:7], v[26:27], v[10:13]
	s_and_saveexec_b64 s[2:3], s[8:9]
	s_cbranch_execz .LBB567_693
; %bb.688:
	s_movk_i32 s7, 0x80
	v_cmp_ne_u16_sdwa s[10:11], v2, s7 src0_sel:BYTE_0 src1_sel:DWORD
	v_bfrev_b32_e32 v15, 1
	s_and_saveexec_b64 s[8:9], s[10:11]
	s_cbranch_execz .LBB567_692
; %bb.689:
	s_movk_i32 s7, 0x7f
	v_and_b32_e32 v10, 0x7f, v2
	v_cmp_ne_u32_e32 vcc, s7, v10
	v_mov_b32_e32 v15, 0x7f800001
	s_and_saveexec_b64 s[10:11], vcc
	s_cbranch_execz .LBB567_691
; %bb.690:
	v_and_b32_e32 v11, 7, v2
	v_ffbh_u32_e32 v12, v11
	v_min_u32_e32 v15, 32, v12
	v_subrev_u32_e32 v12, 28, v15
	v_lshlrev_b64 v[12:13], v12, v[2:3]
	v_lshrrev_b32_e32 v14, 3, v10
	v_sub_u32_e32 v13, 29, v15
	v_and_b32_e32 v12, 7, v12
	v_cmp_gt_u32_e32 vcc, 8, v10
	v_cndmask_b32_e32 v10, v14, v13, vcc
	v_cndmask_b32_e32 v11, v11, v12, vcc
	v_lshlrev_b32_e32 v12, 24, v2
	v_bfrev_b32_e32 v13, 60
	v_lshlrev_b32_e32 v11, 20, v11
	v_and_b32_e32 v12, 0x80000000, v12
	v_lshl_add_u32 v10, v10, 23, v13
	v_or3_b32 v15, v12, v10, v11
.LBB567_691:
	s_or_b64 exec, exec, s[10:11]
.LBB567_692:
	s_or_b64 exec, exec, s[8:9]
.LBB567_693:
	s_or_b64 exec, exec, s[2:3]
	s_nop 3
	v_lshrrev_b16_e32 v10, 8, v2
	v_cmp_ne_u16_e32 vcc, 0, v10
	v_mov_b32_e32 v11, 0
	v_mov_b32_e32 v12, 0
	s_and_saveexec_b64 s[2:3], vcc
	s_cbranch_execz .LBB567_699
; %bb.694:
	s_movk_i32 s7, 0x80
	v_cmp_ne_u16_e32 vcc, s7, v10
	v_bfrev_b32_e32 v12, 1
	s_and_saveexec_b64 s[8:9], vcc
	s_cbranch_execz .LBB567_698
; %bb.695:
	s_movk_i32 s7, 0x7f
	v_and_b32_e32 v13, 0x7f, v10
	v_cmp_ne_u32_e32 vcc, s7, v13
	v_mov_b32_e32 v12, 0x7f800001
	s_and_saveexec_b64 s[10:11], vcc
	s_cbranch_execz .LBB567_697
; %bb.696:
	v_and_b32_e32 v12, 7, v10
	v_ffbh_u32_e32 v16, v12
	v_min_u32_e32 v18, 32, v16
	v_subrev_u32_e32 v16, 28, v18
	v_lshlrev_b64 v[16:17], v16, v[10:11]
	v_lshrrev_b32_e32 v14, 3, v13
	v_sub_u32_e32 v10, 29, v18
	v_and_b32_e32 v16, 7, v16
	v_cmp_gt_u32_e32 vcc, 8, v13
	v_cndmask_b32_e32 v10, v14, v10, vcc
	v_cndmask_b32_e32 v12, v12, v16, vcc
	v_lshlrev_b32_e32 v13, 16, v2
	v_bfrev_b32_e32 v14, 60
	v_lshlrev_b32_e32 v12, 20, v12
	v_and_b32_e32 v13, 0x80000000, v13
	v_lshl_add_u32 v10, v10, 23, v14
	v_or3_b32 v12, v13, v10, v12
.LBB567_697:
	s_or_b64 exec, exec, s[10:11]
.LBB567_698:
	s_or_b64 exec, exec, s[8:9]
.LBB567_699:
	s_or_b64 exec, exec, s[2:3]
	s_movk_i32 s2, 0xff
	v_and_b32_sdwa v13, v2, s2 dst_sel:DWORD dst_unused:UNUSED_PAD src0_sel:WORD_1 src1_sel:DWORD
	v_lshrrev_b32_e32 v10, 16, v2
	v_cmp_ne_u16_e32 vcc, 0, v13
	s_and_saveexec_b64 s[2:3], vcc
	s_cbranch_execz .LBB567_705
; %bb.700:
	s_movk_i32 s7, 0x80
	v_cmp_ne_u16_e32 vcc, s7, v13
	v_bfrev_b32_e32 v11, 1
	s_and_saveexec_b64 s[8:9], vcc
	s_cbranch_execz .LBB567_704
; %bb.701:
	v_bfe_u32 v13, v2, 16, 7
	s_movk_i32 s7, 0x7f
	v_cmp_ne_u32_e32 vcc, s7, v13
	v_mov_b32_e32 v11, 0x7f800001
	s_and_saveexec_b64 s[10:11], vcc
	s_cbranch_execz .LBB567_703
; %bb.702:
	v_and_b32_e32 v14, 7, v10
	v_ffbh_u32_e32 v11, v14
	v_min_u32_e32 v17, 32, v11
	v_subrev_u32_e32 v11, 28, v17
	v_lshlrev_b64 v[10:11], v11, v[10:11]
	v_lshrrev_b32_e32 v16, 3, v13
	v_sub_u32_e32 v11, 29, v17
	v_and_b32_e32 v10, 7, v10
	v_cmp_gt_u32_e32 vcc, 8, v13
	v_mov_b32_e32 v13, 24
	v_cndmask_b32_e32 v11, v16, v11, vcc
	v_cndmask_b32_e32 v10, v14, v10, vcc
	v_lshlrev_b32_sdwa v13, v13, v2 dst_sel:DWORD dst_unused:UNUSED_PAD src0_sel:DWORD src1_sel:WORD_1
	v_bfrev_b32_e32 v14, 60
	v_lshlrev_b32_e32 v10, 20, v10
	v_and_b32_e32 v13, 0x80000000, v13
	v_lshl_add_u32 v11, v11, 23, v14
	v_or3_b32 v11, v13, v11, v10
.LBB567_703:
	s_or_b64 exec, exec, s[10:11]
.LBB567_704:
	s_or_b64 exec, exec, s[8:9]
.LBB567_705:
	s_or_b64 exec, exec, s[2:3]
	s_mov_b32 s2, 0xffffff
	v_cmp_lt_u32_e32 vcc, s2, v2
	v_mov_b32_e32 v13, 0
	v_mov_b32_e32 v14, 0
	s_and_saveexec_b64 s[2:3], vcc
	s_cbranch_execz .LBB567_711
; %bb.706:
	v_lshrrev_b32_e32 v10, 24, v2
	s_movk_i32 s7, 0x80
	v_cmp_ne_u32_e32 vcc, s7, v10
	v_bfrev_b32_e32 v14, 1
	s_and_saveexec_b64 s[8:9], vcc
	s_cbranch_execz .LBB567_710
; %bb.707:
	v_bfe_u32 v2, v2, 24, 7
	s_movk_i32 s7, 0x7f
	v_cmp_ne_u32_e32 vcc, s7, v2
	v_mov_b32_e32 v14, 0x7f800001
	s_and_saveexec_b64 s[10:11], vcc
	s_cbranch_execz .LBB567_709
; %bb.708:
	v_and_b32_e32 v14, 7, v10
	v_ffbh_u32_e32 v16, v14
	v_min_u32_e32 v19, 32, v16
	v_subrev_u32_e32 v16, 28, v19
	v_lshlrev_b64 v[16:17], v16, v[10:11]
	v_lshrrev_b32_e32 v18, 3, v2
	v_sub_u32_e32 v17, 29, v19
	v_and_b32_e32 v16, 7, v16
	v_cmp_gt_u32_e32 vcc, 8, v2
	v_cndmask_b32_e32 v2, v18, v17, vcc
	v_cndmask_b32_e32 v14, v14, v16, vcc
	v_lshlrev_b32_e32 v10, 24, v10
	v_bfrev_b32_e32 v16, 60
	v_lshlrev_b32_e32 v14, 20, v14
	v_and_b32_e32 v10, 0x80000000, v10
	v_lshl_add_u32 v2, v2, 23, v16
	v_or3_b32 v14, v10, v2, v14
.LBB567_709:
	s_or_b64 exec, exec, s[10:11]
.LBB567_710:
	s_or_b64 exec, exec, s[8:9]
.LBB567_711:
	s_or_b64 exec, exec, s[2:3]
	v_cmp_ne_u16_sdwa s[8:9], v3, v13 src0_sel:BYTE_0 src1_sel:DWORD
	s_and_saveexec_b64 s[2:3], s[8:9]
	s_cbranch_execz .LBB567_717
; %bb.712:
	s_movk_i32 s7, 0x80
	v_cmp_ne_u16_sdwa s[10:11], v3, s7 src0_sel:BYTE_0 src1_sel:DWORD
	v_bfrev_b32_e32 v13, 1
	s_and_saveexec_b64 s[8:9], s[10:11]
	s_cbranch_execz .LBB567_716
; %bb.713:
	s_movk_i32 s7, 0x7f
	v_and_b32_e32 v2, 0x7f, v3
	v_cmp_ne_u32_e32 vcc, s7, v2
	v_mov_b32_e32 v13, 0x7f800001
	s_and_saveexec_b64 s[10:11], vcc
	s_cbranch_execz .LBB567_715
; %bb.714:
	v_and_b32_e32 v13, 7, v3
	v_ffbh_u32_e32 v16, v13
	v_min_u32_e32 v19, 32, v16
	v_mov_b32_e32 v10, v3
	v_subrev_u32_e32 v16, 28, v19
	v_lshlrev_b64 v[16:17], v16, v[10:11]
	v_lshrrev_b32_e32 v18, 3, v2
	v_sub_u32_e32 v10, 29, v19
	v_and_b32_e32 v16, 7, v16
	v_cmp_gt_u32_e32 vcc, 8, v2
	v_cndmask_b32_e32 v2, v18, v10, vcc
	v_cndmask_b32_e32 v10, v13, v16, vcc
	v_lshlrev_b32_e32 v13, 24, v3
	v_bfrev_b32_e32 v16, 60
	v_lshlrev_b32_e32 v10, 20, v10
	v_and_b32_e32 v13, 0x80000000, v13
	v_lshl_add_u32 v2, v2, 23, v16
	v_or3_b32 v13, v13, v2, v10
.LBB567_715:
	s_or_b64 exec, exec, s[10:11]
.LBB567_716:
	s_or_b64 exec, exec, s[8:9]
.LBB567_717:
	s_or_b64 exec, exec, s[2:3]
	v_lshrrev_b16_e32 v2, 8, v3
	v_cmp_ne_u16_e32 vcc, 0, v2
	v_mov_b32_e32 v16, 0
	v_mov_b32_e32 v17, 0
	s_and_saveexec_b64 s[2:3], vcc
	s_cbranch_execz .LBB567_723
; %bb.718:
	s_movk_i32 s7, 0x80
	v_cmp_ne_u16_e32 vcc, s7, v2
	v_bfrev_b32_e32 v17, 1
	s_and_saveexec_b64 s[8:9], vcc
	s_cbranch_execz .LBB567_722
; %bb.719:
	s_movk_i32 s7, 0x7f
	v_and_b32_e32 v10, 0x7f, v2
	v_cmp_ne_u32_e32 vcc, s7, v10
	v_mov_b32_e32 v17, 0x7f800001
	s_and_saveexec_b64 s[10:11], vcc
	s_cbranch_execz .LBB567_721
; %bb.720:
	v_and_b32_e32 v17, 7, v2
	v_ffbh_u32_e32 v18, v17
	v_min_u32_e32 v21, 32, v18
	v_subrev_u32_e32 v18, 28, v21
	v_lshlrev_b64 v[18:19], v18, v[2:3]
	v_lshrrev_b32_e32 v20, 3, v10
	v_sub_u32_e32 v2, 29, v21
	v_and_b32_e32 v18, 7, v18
	v_cmp_gt_u32_e32 vcc, 8, v10
	v_cndmask_b32_e32 v2, v20, v2, vcc
	v_cndmask_b32_e32 v10, v17, v18, vcc
	v_lshlrev_b32_e32 v17, 16, v3
	v_bfrev_b32_e32 v18, 60
	v_lshlrev_b32_e32 v10, 20, v10
	v_and_b32_e32 v17, 0x80000000, v17
	v_lshl_add_u32 v2, v2, 23, v18
	v_or3_b32 v17, v17, v2, v10
.LBB567_721:
	s_or_b64 exec, exec, s[10:11]
.LBB567_722:
	s_or_b64 exec, exec, s[8:9]
.LBB567_723:
	s_or_b64 exec, exec, s[2:3]
	s_movk_i32 s2, 0xff
	v_and_b32_sdwa v10, v3, s2 dst_sel:DWORD dst_unused:UNUSED_PAD src0_sel:WORD_1 src1_sel:DWORD
	v_lshrrev_b32_e32 v2, 16, v3
	v_cmp_ne_u16_e32 vcc, 0, v10
	s_and_saveexec_b64 s[2:3], vcc
	s_cbranch_execz .LBB567_729
; %bb.724:
	s_movk_i32 s7, 0x80
	v_cmp_ne_u16_e32 vcc, s7, v10
	v_bfrev_b32_e32 v16, 1
	s_and_saveexec_b64 s[8:9], vcc
	s_cbranch_execz .LBB567_728
; %bb.725:
	v_bfe_u32 v10, v3, 16, 7
	s_movk_i32 s7, 0x7f
	v_cmp_ne_u32_e32 vcc, s7, v10
	v_mov_b32_e32 v16, 0x7f800001
	s_and_saveexec_b64 s[10:11], vcc
	s_cbranch_execz .LBB567_727
; %bb.726:
	v_and_b32_e32 v16, 7, v2
	v_ffbh_u32_e32 v18, v16
	v_min_u32_e32 v21, 32, v18
	v_subrev_u32_e32 v18, 28, v21
	v_lshlrev_b64 v[18:19], v18, v[2:3]
	v_and_b32_e32 v18, 7, v18
	v_cmp_gt_u32_e32 vcc, 8, v10
	v_lshrrev_b32_e32 v20, 3, v10
	v_sub_u32_e32 v2, 29, v21
	v_cndmask_b32_e32 v10, v16, v18, vcc
	v_mov_b32_e32 v16, 24
	v_cndmask_b32_e32 v2, v20, v2, vcc
	v_lshlrev_b32_sdwa v16, v16, v3 dst_sel:DWORD dst_unused:UNUSED_PAD src0_sel:DWORD src1_sel:WORD_1
	v_bfrev_b32_e32 v18, 60
	v_lshlrev_b32_e32 v10, 20, v10
	v_and_b32_e32 v16, 0x80000000, v16
	v_lshl_add_u32 v2, v2, 23, v18
	v_or3_b32 v16, v16, v2, v10
.LBB567_727:
	s_or_b64 exec, exec, s[10:11]
.LBB567_728:
	s_or_b64 exec, exec, s[8:9]
.LBB567_729:
	s_or_b64 exec, exec, s[2:3]
	s_mov_b32 s2, 0xffffff
	v_cmp_lt_u32_e32 vcc, s2, v3
	v_mov_b32_e32 v10, 0
	v_mov_b32_e32 v18, 0
	s_and_saveexec_b64 s[2:3], vcc
	s_cbranch_execz .LBB567_735
; %bb.730:
	v_lshrrev_b32_e32 v2, 24, v3
	s_movk_i32 s7, 0x80
	v_cmp_ne_u32_e32 vcc, s7, v2
	v_bfrev_b32_e32 v18, 1
	s_and_saveexec_b64 s[8:9], vcc
	s_cbranch_execz .LBB567_734
; %bb.731:
	v_bfe_u32 v3, v3, 24, 7
	s_movk_i32 s7, 0x7f
	v_cmp_ne_u32_e32 vcc, s7, v3
	v_mov_b32_e32 v18, 0x7f800001
	s_and_saveexec_b64 s[10:11], vcc
	s_cbranch_execz .LBB567_733
; %bb.732:
	v_and_b32_e32 v20, 7, v2
	v_ffbh_u32_e32 v18, v20
	v_min_u32_e32 v23, 32, v18
	v_subrev_u32_e32 v18, 28, v23
	v_lshlrev_b64 v[18:19], v18, v[2:3]
	v_lshrrev_b32_e32 v21, 3, v3
	v_sub_u32_e32 v19, 29, v23
	v_and_b32_e32 v18, 7, v18
	v_cmp_gt_u32_e32 vcc, 8, v3
	v_cndmask_b32_e32 v3, v21, v19, vcc
	v_cndmask_b32_e32 v18, v20, v18, vcc
	v_lshlrev_b32_e32 v2, 24, v2
	v_bfrev_b32_e32 v19, 60
	v_lshlrev_b32_e32 v18, 20, v18
	v_and_b32_e32 v2, 0x80000000, v2
	v_lshl_add_u32 v3, v3, 23, v19
	v_or3_b32 v18, v2, v3, v18
.LBB567_733:
	s_or_b64 exec, exec, s[10:11]
.LBB567_734:
	s_or_b64 exec, exec, s[8:9]
.LBB567_735:
	s_or_b64 exec, exec, s[2:3]
	v_cvt_pkrtz_f16_f32 v2, v15, v12
	v_cvt_pkrtz_f16_f32 v3, v11, v14
	ds_read_b128 v[24:27], v22 offset:6144
	v_cmp_ne_u16_sdwa s[8:9], v4, v10 src0_sel:BYTE_0 src1_sel:DWORD
	s_waitcnt lgkmcnt(0)
	v_mfma_f32_16x16x16f16 v[6:9], v[2:3], v[24:25], v[6:9]
	v_cvt_pkrtz_f16_f32 v2, v13, v17
	v_cvt_pkrtz_f16_f32 v3, v16, v18
	s_nop 1
	v_mfma_f32_16x16x16f16 v[6:9], v[2:3], v[26:27], v[6:9]
	s_and_saveexec_b64 s[2:3], s[8:9]
	s_cbranch_execz .LBB567_741
; %bb.736:
	s_movk_i32 s7, 0x80
	v_cmp_ne_u16_sdwa s[10:11], v4, s7 src0_sel:BYTE_0 src1_sel:DWORD
	v_bfrev_b32_e32 v10, 1
	s_and_saveexec_b64 s[8:9], s[10:11]
	s_cbranch_execz .LBB567_740
; %bb.737:
	s_movk_i32 s7, 0x7f
	v_and_b32_e32 v2, 0x7f, v4
	v_cmp_ne_u32_e32 vcc, s7, v2
	v_mov_b32_e32 v10, 0x7f800001
	s_and_saveexec_b64 s[10:11], vcc
	s_cbranch_execz .LBB567_739
; %bb.738:
	v_and_b32_e32 v3, 7, v4
	v_ffbh_u32_e32 v10, v3
	v_min_u32_e32 v13, 32, v10
	v_subrev_u32_e32 v10, 28, v13
	v_lshlrev_b64 v[10:11], v10, v[4:5]
	v_lshrrev_b32_e32 v12, 3, v2
	v_sub_u32_e32 v11, 29, v13
	v_and_b32_e32 v10, 7, v10
	v_cmp_gt_u32_e32 vcc, 8, v2
	v_cndmask_b32_e32 v2, v12, v11, vcc
	v_cndmask_b32_e32 v3, v3, v10, vcc
	v_lshlrev_b32_e32 v10, 24, v4
	v_bfrev_b32_e32 v11, 60
	v_lshlrev_b32_e32 v3, 20, v3
	v_and_b32_e32 v10, 0x80000000, v10
	v_lshl_add_u32 v2, v2, 23, v11
	v_or3_b32 v10, v10, v2, v3
.LBB567_739:
	s_or_b64 exec, exec, s[10:11]
.LBB567_740:
	s_or_b64 exec, exec, s[8:9]
.LBB567_741:
	s_or_b64 exec, exec, s[2:3]
	v_lshrrev_b16_e32 v2, 8, v4
	v_cmp_ne_u16_e32 vcc, 0, v2
	v_mov_b32_e32 v3, 0
	v_mov_b32_e32 v11, 0
	s_and_saveexec_b64 s[2:3], vcc
	s_cbranch_execz .LBB567_747
; %bb.742:
	s_movk_i32 s7, 0x80
	v_cmp_ne_u16_e32 vcc, s7, v2
	v_bfrev_b32_e32 v11, 1
	s_and_saveexec_b64 s[8:9], vcc
	s_cbranch_execz .LBB567_746
; %bb.743:
	s_movk_i32 s7, 0x7f
	v_and_b32_e32 v12, 0x7f, v2
	v_cmp_ne_u32_e32 vcc, s7, v12
	v_mov_b32_e32 v11, 0x7f800001
	s_and_saveexec_b64 s[10:11], vcc
	s_cbranch_execz .LBB567_745
; %bb.744:
	v_and_b32_e32 v11, 7, v2
	v_ffbh_u32_e32 v14, v11
	v_min_u32_e32 v16, 32, v14
	v_subrev_u32_e32 v14, 28, v16
	v_lshlrev_b64 v[14:15], v14, v[2:3]
	v_lshrrev_b32_e32 v13, 3, v12
	v_sub_u32_e32 v2, 29, v16
	v_and_b32_e32 v14, 7, v14
	v_cmp_gt_u32_e32 vcc, 8, v12
	v_cndmask_b32_e32 v2, v13, v2, vcc
	v_cndmask_b32_e32 v11, v11, v14, vcc
	v_lshlrev_b32_e32 v12, 16, v4
	v_bfrev_b32_e32 v13, 60
	v_lshlrev_b32_e32 v11, 20, v11
	v_and_b32_e32 v12, 0x80000000, v12
	v_lshl_add_u32 v2, v2, 23, v13
	v_or3_b32 v11, v12, v2, v11
.LBB567_745:
	s_or_b64 exec, exec, s[10:11]
.LBB567_746:
	s_or_b64 exec, exec, s[8:9]
.LBB567_747:
	s_or_b64 exec, exec, s[2:3]
	s_movk_i32 s2, 0xff
	v_and_b32_sdwa v12, v4, s2 dst_sel:DWORD dst_unused:UNUSED_PAD src0_sel:WORD_1 src1_sel:DWORD
	v_lshrrev_b32_e32 v2, 16, v4
	v_cmp_ne_u16_e32 vcc, 0, v12
	s_and_saveexec_b64 s[2:3], vcc
	s_cbranch_execz .LBB567_753
; %bb.748:
	s_movk_i32 s7, 0x80
	v_cmp_ne_u16_e32 vcc, s7, v12
	v_bfrev_b32_e32 v3, 1
	s_and_saveexec_b64 s[8:9], vcc
	s_cbranch_execz .LBB567_752
; %bb.749:
	v_bfe_u32 v12, v4, 16, 7
	s_movk_i32 s7, 0x7f
	v_cmp_ne_u32_e32 vcc, s7, v12
	v_mov_b32_e32 v3, 0x7f800001
	s_and_saveexec_b64 s[10:11], vcc
	s_cbranch_execz .LBB567_751
; %bb.750:
	v_and_b32_e32 v13, 7, v2
	v_ffbh_u32_e32 v3, v13
	v_min_u32_e32 v15, 32, v3
	v_subrev_u32_e32 v3, 28, v15
	v_lshlrev_b64 v[2:3], v3, v[2:3]
	v_lshrrev_b32_e32 v14, 3, v12
	v_sub_u32_e32 v3, 29, v15
	v_and_b32_e32 v2, 7, v2
	v_cmp_gt_u32_e32 vcc, 8, v12
	v_mov_b32_e32 v12, 24
	v_cndmask_b32_e32 v3, v14, v3, vcc
	v_cndmask_b32_e32 v2, v13, v2, vcc
	v_lshlrev_b32_sdwa v12, v12, v4 dst_sel:DWORD dst_unused:UNUSED_PAD src0_sel:DWORD src1_sel:WORD_1
	v_bfrev_b32_e32 v13, 60
	v_lshlrev_b32_e32 v2, 20, v2
	v_and_b32_e32 v12, 0x80000000, v12
	v_lshl_add_u32 v3, v3, 23, v13
	v_or3_b32 v3, v12, v3, v2
.LBB567_751:
	s_or_b64 exec, exec, s[10:11]
.LBB567_752:
	s_or_b64 exec, exec, s[8:9]
.LBB567_753:
	s_or_b64 exec, exec, s[2:3]
	s_mov_b32 s2, 0xffffff
	v_cmp_lt_u32_e32 vcc, s2, v4
	v_mov_b32_e32 v12, 0
	v_mov_b32_e32 v13, 0
	s_and_saveexec_b64 s[2:3], vcc
	s_cbranch_execz .LBB567_759
; %bb.754:
	v_lshrrev_b32_e32 v2, 24, v4
	s_movk_i32 s7, 0x80
	v_cmp_ne_u32_e32 vcc, s7, v2
	v_bfrev_b32_e32 v13, 1
	s_and_saveexec_b64 s[8:9], vcc
	s_cbranch_execz .LBB567_758
; %bb.755:
	v_bfe_u32 v4, v4, 24, 7
	s_movk_i32 s7, 0x7f
	v_cmp_ne_u32_e32 vcc, s7, v4
	v_mov_b32_e32 v13, 0x7f800001
	s_and_saveexec_b64 s[10:11], vcc
	s_cbranch_execz .LBB567_757
; %bb.756:
	v_and_b32_e32 v13, 7, v2
	v_ffbh_u32_e32 v14, v13
	v_min_u32_e32 v17, 32, v14
	v_subrev_u32_e32 v14, 28, v17
	v_lshlrev_b64 v[14:15], v14, v[2:3]
	v_lshrrev_b32_e32 v16, 3, v4
	v_sub_u32_e32 v15, 29, v17
	v_and_b32_e32 v14, 7, v14
	v_cmp_gt_u32_e32 vcc, 8, v4
	v_cndmask_b32_e32 v4, v16, v15, vcc
	v_cndmask_b32_e32 v13, v13, v14, vcc
	v_lshlrev_b32_e32 v2, 24, v2
	v_bfrev_b32_e32 v14, 60
	v_lshlrev_b32_e32 v13, 20, v13
	v_and_b32_e32 v2, 0x80000000, v2
	v_lshl_add_u32 v4, v4, 23, v14
	v_or3_b32 v13, v2, v4, v13
.LBB567_757:
	s_or_b64 exec, exec, s[10:11]
.LBB567_758:
	s_or_b64 exec, exec, s[8:9]
.LBB567_759:
	s_or_b64 exec, exec, s[2:3]
	v_cmp_ne_u16_sdwa s[8:9], v5, v12 src0_sel:BYTE_0 src1_sel:DWORD
	s_and_saveexec_b64 s[2:3], s[8:9]
	s_cbranch_execz .LBB567_765
; %bb.760:
	s_movk_i32 s7, 0x80
	v_cmp_ne_u16_sdwa s[10:11], v5, s7 src0_sel:BYTE_0 src1_sel:DWORD
	v_bfrev_b32_e32 v12, 1
	s_and_saveexec_b64 s[8:9], s[10:11]
	s_cbranch_execz .LBB567_764
; %bb.761:
	s_movk_i32 s7, 0x7f
	v_and_b32_e32 v2, 0x7f, v5
	v_cmp_ne_u32_e32 vcc, s7, v2
	v_mov_b32_e32 v12, 0x7f800001
	s_and_saveexec_b64 s[10:11], vcc
	s_cbranch_execz .LBB567_763
; %bb.762:
	v_and_b32_e32 v12, 7, v5
	v_ffbh_u32_e32 v14, v12
	v_min_u32_e32 v17, 32, v14
	v_mov_b32_e32 v4, v5
	v_subrev_u32_e32 v14, 28, v17
	v_lshlrev_b64 v[14:15], v14, v[4:5]
	v_lshrrev_b32_e32 v16, 3, v2
	v_sub_u32_e32 v4, 29, v17
	v_and_b32_e32 v14, 7, v14
	v_cmp_gt_u32_e32 vcc, 8, v2
	v_cndmask_b32_e32 v2, v16, v4, vcc
	v_cndmask_b32_e32 v4, v12, v14, vcc
	v_lshlrev_b32_e32 v12, 24, v5
	v_bfrev_b32_e32 v14, 60
	v_lshlrev_b32_e32 v4, 20, v4
	v_and_b32_e32 v12, 0x80000000, v12
	v_lshl_add_u32 v2, v2, 23, v14
	v_or3_b32 v12, v12, v2, v4
.LBB567_763:
	s_or_b64 exec, exec, s[10:11]
.LBB567_764:
	s_or_b64 exec, exec, s[8:9]
.LBB567_765:
	s_or_b64 exec, exec, s[2:3]
	v_lshrrev_b16_e32 v2, 8, v5
	v_cmp_ne_u16_e32 vcc, 0, v2
	v_mov_b32_e32 v4, 0
	v_mov_b32_e32 v14, 0
	s_and_saveexec_b64 s[2:3], vcc
	s_cbranch_execz .LBB567_771
; %bb.766:
	s_movk_i32 s7, 0x80
	v_cmp_ne_u16_e32 vcc, s7, v2
	v_bfrev_b32_e32 v14, 1
	s_and_saveexec_b64 s[8:9], vcc
	s_cbranch_execz .LBB567_770
; %bb.767:
	s_movk_i32 s7, 0x7f
	v_and_b32_e32 v15, 0x7f, v2
	v_cmp_ne_u32_e32 vcc, s7, v15
	v_mov_b32_e32 v14, 0x7f800001
	s_and_saveexec_b64 s[10:11], vcc
	s_cbranch_execz .LBB567_769
; %bb.768:
	v_and_b32_e32 v14, 7, v2
	v_ffbh_u32_e32 v16, v14
	v_min_u32_e32 v19, 32, v16
	v_subrev_u32_e32 v16, 28, v19
	v_lshlrev_b64 v[16:17], v16, v[2:3]
	v_lshrrev_b32_e32 v18, 3, v15
	v_sub_u32_e32 v2, 29, v19
	v_and_b32_e32 v16, 7, v16
	v_cmp_gt_u32_e32 vcc, 8, v15
	v_cndmask_b32_e32 v2, v18, v2, vcc
	v_cndmask_b32_e32 v14, v14, v16, vcc
	v_lshlrev_b32_e32 v15, 16, v5
	v_bfrev_b32_e32 v16, 60
	v_lshlrev_b32_e32 v14, 20, v14
	v_and_b32_e32 v15, 0x80000000, v15
	v_lshl_add_u32 v2, v2, 23, v16
	v_or3_b32 v14, v15, v2, v14
.LBB567_769:
	s_or_b64 exec, exec, s[10:11]
.LBB567_770:
	s_or_b64 exec, exec, s[8:9]
.LBB567_771:
	s_or_b64 exec, exec, s[2:3]
	s_movk_i32 s2, 0xff
	v_and_b32_sdwa v15, v5, s2 dst_sel:DWORD dst_unused:UNUSED_PAD src0_sel:WORD_1 src1_sel:DWORD
	v_lshrrev_b32_e32 v2, 16, v5
	v_cmp_ne_u16_e32 vcc, 0, v15
	s_and_saveexec_b64 s[2:3], vcc
	s_cbranch_execz .LBB567_777
; %bb.772:
	s_movk_i32 s7, 0x80
	v_cmp_ne_u16_e32 vcc, s7, v15
	v_bfrev_b32_e32 v4, 1
	s_and_saveexec_b64 s[8:9], vcc
	s_cbranch_execz .LBB567_776
; %bb.773:
	v_bfe_u32 v15, v5, 16, 7
	s_movk_i32 s7, 0x7f
	v_cmp_ne_u32_e32 vcc, s7, v15
	v_mov_b32_e32 v4, 0x7f800001
	s_and_saveexec_b64 s[10:11], vcc
	s_cbranch_execz .LBB567_775
; %bb.774:
	v_and_b32_e32 v4, 7, v2
	v_ffbh_u32_e32 v16, v4
	v_min_u32_e32 v19, 32, v16
	v_subrev_u32_e32 v16, 28, v19
	v_lshlrev_b64 v[16:17], v16, v[2:3]
	v_lshrrev_b32_e32 v18, 3, v15
	v_sub_u32_e32 v2, 29, v19
	v_and_b32_e32 v16, 7, v16
	v_cmp_gt_u32_e32 vcc, 8, v15
	v_mov_b32_e32 v15, 24
	v_cndmask_b32_e32 v2, v18, v2, vcc
	v_cndmask_b32_e32 v4, v4, v16, vcc
	v_lshlrev_b32_sdwa v15, v15, v5 dst_sel:DWORD dst_unused:UNUSED_PAD src0_sel:DWORD src1_sel:WORD_1
	v_bfrev_b32_e32 v16, 60
	v_lshlrev_b32_e32 v4, 20, v4
	v_and_b32_e32 v15, 0x80000000, v15
	v_lshl_add_u32 v2, v2, 23, v16
	v_or3_b32 v4, v15, v2, v4
.LBB567_775:
	s_or_b64 exec, exec, s[10:11]
.LBB567_776:
	s_or_b64 exec, exec, s[8:9]
.LBB567_777:
	s_or_b64 exec, exec, s[2:3]
	s_mov_b32 s2, 0xffffff
	v_cmp_lt_u32_e32 vcc, s2, v5
	v_mov_b32_e32 v15, 0
	s_and_saveexec_b64 s[2:3], vcc
	s_cbranch_execz .LBB567_783
; %bb.778:
	v_lshrrev_b32_e32 v2, 24, v5
	s_movk_i32 s7, 0x80
	v_cmp_ne_u32_e32 vcc, s7, v2
	v_bfrev_b32_e32 v15, 1
	s_and_saveexec_b64 s[8:9], vcc
	s_cbranch_execz .LBB567_782
; %bb.779:
	v_bfe_u32 v5, v5, 24, 7
	s_movk_i32 s7, 0x7f
	v_cmp_ne_u32_e32 vcc, s7, v5
	v_mov_b32_e32 v15, 0x7f800001
	s_and_saveexec_b64 s[10:11], vcc
	s_cbranch_execz .LBB567_781
; %bb.780:
	v_and_b32_e32 v15, 7, v2
	v_ffbh_u32_e32 v16, v15
	v_min_u32_e32 v19, 32, v16
	v_subrev_u32_e32 v16, 28, v19
	v_lshlrev_b64 v[16:17], v16, v[2:3]
	v_lshrrev_b32_e32 v18, 3, v5
	v_sub_u32_e32 v17, 29, v19
	v_and_b32_e32 v16, 7, v16
	v_cmp_gt_u32_e32 vcc, 8, v5
	v_cndmask_b32_e32 v5, v18, v17, vcc
	v_cndmask_b32_e32 v15, v15, v16, vcc
	v_lshlrev_b32_e32 v2, 24, v2
	v_bfrev_b32_e32 v16, 60
	v_lshlrev_b32_e32 v15, 20, v15
	v_and_b32_e32 v2, 0x80000000, v2
	v_lshl_add_u32 v5, v5, 23, v16
	v_or3_b32 v15, v2, v5, v15
.LBB567_781:
	s_or_b64 exec, exec, s[10:11]
.LBB567_782:
	s_or_b64 exec, exec, s[8:9]
.LBB567_783:
	s_or_b64 exec, exec, s[2:3]
	v_cvt_pkrtz_f16_f32 v2, v10, v11
	v_cvt_pkrtz_f16_f32 v3, v3, v13
	ds_read_b128 v[16:19], v22 offset:6160
	s_load_dword s2, s[42:43], 0x0
	v_cmp_gt_u32_e32 vcc, 64, v0
	s_waitcnt lgkmcnt(0)
	v_mfma_f32_16x16x16f16 v[6:9], v[2:3], v[16:17], v[6:9]
	v_cvt_pkrtz_f16_f32 v2, v12, v14
	v_cvt_pkrtz_f16_f32 v3, v4, v15
	s_and_b64 s[0:1], vcc, s[0:1]
	s_barrier
	v_mfma_f32_16x16x16f16 v[2:5], v[2:3], v[18:19], v[6:9]
	s_nop 7
	s_nop 2
	v_pk_mul_f32 v[4:5], v[4:5], s[2:3] op_sel_hi:[1,0]
	v_pk_mul_f32 v[2:3], v[2:3], s[2:3] op_sel_hi:[1,0]
	v_cvt_f16_f32_e32 v2, v2
	v_cvt_f16_f32_e32 v3, v3
	;; [unrolled: 1-line block ×4, first 2 shown]
	v_pack_b32_f16 v2, v2, v3
	v_pack_b32_f16 v3, v4, v5
	ds_write_b64 v28, v[2:3]
	s_waitcnt lgkmcnt(0)
	s_barrier
	s_and_saveexec_b64 s[2:3], s[0:1]
	s_cbranch_execz .LBB567_786
; %bb.784:
	s_load_dwordx2 s[2:3], s[4:5], 0x68
	s_lshl_b32 s0, s44, 6
	s_mul_i32 s1, s12, s6
	s_mul_hi_u32 s7, s1, s0
	s_mul_i32 s6, s1, s0
	s_lshl_b64 s[6:7], s[6:7], 1
	s_waitcnt lgkmcnt(0)
	s_add_u32 s1, s2, s6
	v_lshlrev_b32_e32 v0, 10, v0
	s_mov_b32 s5, 0
	s_addc_u32 s6, s3, s7
	s_lshl_b32 s4, s24, 6
	v_and_b32_e32 v0, 0x1800, v0
	v_lshlrev_b32_e32 v2, 5, v1
	v_and_b32_e32 v3, 16, v47
	s_lshl_b64 s[2:3], s[4:5], 1
	v_or3_b32 v0, v0, v2, v3
	s_add_u32 s1, s1, s2
	v_or_b32_e32 v2, 8, v1
	s_addc_u32 s2, s6, s3
	ds_read_b128 v[6:9], v0 offset:128
	ds_read_b128 v[10:13], v0
	v_add_u32_e32 v1, s25, v1
	v_mov_b32_e32 v4, s2
	v_add_co_u32_e32 v3, vcc, s1, v46
	v_mad_u64_u32 v[14:15], s[2:3], v1, s0, 0
	v_addc_co_u32_e32 v4, vcc, 0, v4, vcc
	v_lshlrev_b64 v[14:15], 1, v[14:15]
	v_add_co_u32_e32 v14, vcc, v3, v14
	v_addc_co_u32_e32 v15, vcc, v4, v15, vcc
	v_add_u32_e32 v1, 4, v1
	s_waitcnt lgkmcnt(0)
	global_store_dwordx4 v[14:15], v[10:13], off
	s_nop 0
	v_mad_u64_u32 v[10:11], s[2:3], v1, s0, 0
	v_lshlrev_b64 v[10:11], 1, v[10:11]
	v_add_co_u32_e32 v10, vcc, v3, v10
	v_addc_co_u32_e32 v11, vcc, v4, v11, vcc
	v_cmp_gt_u32_e32 vcc, 10, v2
	global_store_dwordx4 v[10:11], v[6:9], off
	s_and_b64 exec, exec, vcc
	s_cbranch_execz .LBB567_786
; %bb.785:
	ds_read_b128 v[6:9], v0 offset:256
	v_add_u32_e32 v0, s25, v2
	v_mad_u64_u32 v[0:1], s[0:1], v0, s0, 0
	v_lshlrev_b64 v[0:1], 1, v[0:1]
	v_add_co_u32_e32 v0, vcc, v3, v0
	v_addc_co_u32_e32 v1, vcc, v4, v1, vcc
	s_waitcnt lgkmcnt(0)
	global_store_dwordx4 v[0:1], v[6:9], off
.LBB567_786:
	s_endpgm
	.section	.rodata,"a",@progbits
	.p2align	6, 0x0
	.amdhsa_kernel _Z39paged_attention_ll4mi_QKV_mfma16_kernelIDF16_hLN4vllm18Fp8KVCacheDataTypeE1EDF16_Li16ELi64ELi256ELb0ELi10EL8MFMAType0EEvPKT_PKT0_S8_ifPKiSA_SA_iPKfiiiPfSD_PS3_PT2_iSC_SC_
		.amdhsa_group_segment_fixed_size 8192
		.amdhsa_private_segment_fixed_size 0
		.amdhsa_kernarg_size 400
		.amdhsa_user_sgpr_count 6
		.amdhsa_user_sgpr_private_segment_buffer 1
		.amdhsa_user_sgpr_dispatch_ptr 0
		.amdhsa_user_sgpr_queue_ptr 0
		.amdhsa_user_sgpr_kernarg_segment_ptr 1
		.amdhsa_user_sgpr_dispatch_id 0
		.amdhsa_user_sgpr_flat_scratch_init 0
		.amdhsa_user_sgpr_kernarg_preload_length 0
		.amdhsa_user_sgpr_kernarg_preload_offset 0
		.amdhsa_user_sgpr_private_segment_size 0
		.amdhsa_uses_dynamic_stack 0
		.amdhsa_system_sgpr_private_segment_wavefront_offset 0
		.amdhsa_system_sgpr_workgroup_id_x 1
		.amdhsa_system_sgpr_workgroup_id_y 1
		.amdhsa_system_sgpr_workgroup_id_z 1
		.amdhsa_system_sgpr_workgroup_info 0
		.amdhsa_system_vgpr_workitem_id 0
		.amdhsa_next_free_vgpr 61
		.amdhsa_next_free_sgpr 47
		.amdhsa_accum_offset 64
		.amdhsa_reserve_vcc 1
		.amdhsa_reserve_flat_scratch 0
		.amdhsa_float_round_mode_32 0
		.amdhsa_float_round_mode_16_64 0
		.amdhsa_float_denorm_mode_32 3
		.amdhsa_float_denorm_mode_16_64 3
		.amdhsa_dx10_clamp 1
		.amdhsa_ieee_mode 1
		.amdhsa_fp16_overflow 0
		.amdhsa_tg_split 0
		.amdhsa_exception_fp_ieee_invalid_op 0
		.amdhsa_exception_fp_denorm_src 0
		.amdhsa_exception_fp_ieee_div_zero 0
		.amdhsa_exception_fp_ieee_overflow 0
		.amdhsa_exception_fp_ieee_underflow 0
		.amdhsa_exception_fp_ieee_inexact 0
		.amdhsa_exception_int_div_zero 0
	.end_amdhsa_kernel
	.section	.text._Z39paged_attention_ll4mi_QKV_mfma16_kernelIDF16_hLN4vllm18Fp8KVCacheDataTypeE1EDF16_Li16ELi64ELi256ELb0ELi10EL8MFMAType0EEvPKT_PKT0_S8_ifPKiSA_SA_iPKfiiiPfSD_PS3_PT2_iSC_SC_,"axG",@progbits,_Z39paged_attention_ll4mi_QKV_mfma16_kernelIDF16_hLN4vllm18Fp8KVCacheDataTypeE1EDF16_Li16ELi64ELi256ELb0ELi10EL8MFMAType0EEvPKT_PKT0_S8_ifPKiSA_SA_iPKfiiiPfSD_PS3_PT2_iSC_SC_,comdat
.Lfunc_end567:
	.size	_Z39paged_attention_ll4mi_QKV_mfma16_kernelIDF16_hLN4vllm18Fp8KVCacheDataTypeE1EDF16_Li16ELi64ELi256ELb0ELi10EL8MFMAType0EEvPKT_PKT0_S8_ifPKiSA_SA_iPKfiiiPfSD_PS3_PT2_iSC_SC_, .Lfunc_end567-_Z39paged_attention_ll4mi_QKV_mfma16_kernelIDF16_hLN4vllm18Fp8KVCacheDataTypeE1EDF16_Li16ELi64ELi256ELb0ELi10EL8MFMAType0EEvPKT_PKT0_S8_ifPKiSA_SA_iPKfiiiPfSD_PS3_PT2_iSC_SC_
                                        ; -- End function
	.section	.AMDGPU.csdata,"",@progbits
; Kernel info:
; codeLenInByte = 26956
; NumSgprs: 51
; NumVgprs: 61
; NumAgprs: 0
; TotalNumVgprs: 61
; ScratchSize: 0
; MemoryBound: 0
; FloatMode: 240
; IeeeMode: 1
; LDSByteSize: 8192 bytes/workgroup (compile time only)
; SGPRBlocks: 6
; VGPRBlocks: 7
; NumSGPRsForWavesPerEU: 51
; NumVGPRsForWavesPerEU: 61
; AccumOffset: 64
; Occupancy: 8
; WaveLimiterHint : 1
; COMPUTE_PGM_RSRC2:SCRATCH_EN: 0
; COMPUTE_PGM_RSRC2:USER_SGPR: 6
; COMPUTE_PGM_RSRC2:TRAP_HANDLER: 0
; COMPUTE_PGM_RSRC2:TGID_X_EN: 1
; COMPUTE_PGM_RSRC2:TGID_Y_EN: 1
; COMPUTE_PGM_RSRC2:TGID_Z_EN: 1
; COMPUTE_PGM_RSRC2:TIDIG_COMP_CNT: 0
; COMPUTE_PGM_RSRC3_GFX90A:ACCUM_OFFSET: 15
; COMPUTE_PGM_RSRC3_GFX90A:TG_SPLIT: 0
	.section	.text._Z39paged_attention_ll4mi_QKV_mfma16_kernelIDF16_hLN4vllm18Fp8KVCacheDataTypeE1EDF16_Li16ELi64ELi256ELb0ELi11EL8MFMAType0EEvPKT_PKT0_S8_ifPKiSA_SA_iPKfiiiPfSD_PS3_PT2_iSC_SC_,"axG",@progbits,_Z39paged_attention_ll4mi_QKV_mfma16_kernelIDF16_hLN4vllm18Fp8KVCacheDataTypeE1EDF16_Li16ELi64ELi256ELb0ELi11EL8MFMAType0EEvPKT_PKT0_S8_ifPKiSA_SA_iPKfiiiPfSD_PS3_PT2_iSC_SC_,comdat
	.protected	_Z39paged_attention_ll4mi_QKV_mfma16_kernelIDF16_hLN4vllm18Fp8KVCacheDataTypeE1EDF16_Li16ELi64ELi256ELb0ELi11EL8MFMAType0EEvPKT_PKT0_S8_ifPKiSA_SA_iPKfiiiPfSD_PS3_PT2_iSC_SC_ ; -- Begin function _Z39paged_attention_ll4mi_QKV_mfma16_kernelIDF16_hLN4vllm18Fp8KVCacheDataTypeE1EDF16_Li16ELi64ELi256ELb0ELi11EL8MFMAType0EEvPKT_PKT0_S8_ifPKiSA_SA_iPKfiiiPfSD_PS3_PT2_iSC_SC_
	.globl	_Z39paged_attention_ll4mi_QKV_mfma16_kernelIDF16_hLN4vllm18Fp8KVCacheDataTypeE1EDF16_Li16ELi64ELi256ELb0ELi11EL8MFMAType0EEvPKT_PKT0_S8_ifPKiSA_SA_iPKfiiiPfSD_PS3_PT2_iSC_SC_
	.p2align	8
	.type	_Z39paged_attention_ll4mi_QKV_mfma16_kernelIDF16_hLN4vllm18Fp8KVCacheDataTypeE1EDF16_Li16ELi64ELi256ELb0ELi11EL8MFMAType0EEvPKT_PKT0_S8_ifPKiSA_SA_iPKfiiiPfSD_PS3_PT2_iSC_SC_,@function
_Z39paged_attention_ll4mi_QKV_mfma16_kernelIDF16_hLN4vllm18Fp8KVCacheDataTypeE1EDF16_Li16ELi64ELi256ELb0ELi11EL8MFMAType0EEvPKT_PKT0_S8_ifPKiSA_SA_iPKfiiiPfSD_PS3_PT2_iSC_SC_: ; @_Z39paged_attention_ll4mi_QKV_mfma16_kernelIDF16_hLN4vllm18Fp8KVCacheDataTypeE1EDF16_Li16ELi64ELi256ELb0ELi11EL8MFMAType0EEvPKT_PKT0_S8_ifPKiSA_SA_iPKfiiiPfSD_PS3_PT2_iSC_SC_
; %bb.0:
	s_load_dwordx2 s[0:1], s[4:5], 0x30
	s_mov_b32 s24, s7
	s_mov_b64 s[10:11], 0
	s_waitcnt lgkmcnt(0)
	s_cmp_lg_u64 s[0:1], 0
	s_cselect_b64 s[2:3], -1, 0
	s_and_b64 vcc, exec, s[2:3]
	s_cbranch_vccz .LBB568_7
; %bb.1:
	s_add_i32 s12, s6, 1
	s_mov_b32 s13, 0
	s_lshl_b64 s[14:15], s[12:13], 2
	s_add_u32 s14, s0, s14
	s_mov_b32 s7, s13
	s_addc_u32 s15, s1, s15
	s_lshl_b64 s[12:13], s[6:7], 2
	s_add_u32 s12, s0, s12
	s_addc_u32 s13, s1, s13
	s_load_dword s9, s[14:15], 0x0
	s_load_dword s16, s[12:13], 0x0
	s_waitcnt lgkmcnt(0)
	s_sub_i32 s9, s9, s16
	s_cmp_eq_u32 s9, 1
	s_cselect_b64 s[12:13], -1, 0
	s_andn2_b64 vcc, exec, s[10:11]
	s_cbranch_vccnz .LBB568_3
.LBB568_2:
	s_mov_b32 s7, 0
	s_mov_b64 s[12:13], -1
.LBB568_3:
	s_andn2_b64 vcc, exec, s[12:13]
	s_cbranch_vccnz .LBB568_786
; %bb.4:
	s_load_dwordx2 s[12:13], s[4:5], 0x28
	s_lshl_b64 s[10:11], s[6:7], 2
	s_waitcnt lgkmcnt(0)
	s_add_u32 s12, s12, s10
	s_addc_u32 s13, s13, s11
	s_load_dword s33, s[12:13], 0x0
	s_lshl_b32 s20, s24, 8
	s_waitcnt lgkmcnt(0)
	s_cmp_ge_i32 s20, s33
	s_cbranch_scc1 .LBB568_786
; %bb.5:
	s_add_i32 s14, s33, 15
	s_load_dwordx2 s[12:13], s[4:5], 0x20
	s_load_dword s9, s[4:5], 0x38
	s_ashr_i32 s15, s14, 31
	v_and_b32_e32 v1, 0xcf, v0
	s_lshr_b32 s15, s15, 28
	v_add_u32_e32 v1, s20, v1
	s_add_i32 s14, s14, s15
	v_ashrrev_i32_e32 v2, 31, v1
	s_ashr_i32 s22, s14, 4
	v_lshrrev_b32_e32 v4, 28, v2
	s_add_i32 s22, s22, -1
	v_add_u32_e32 v2, v1, v4
	s_waitcnt lgkmcnt(0)
	s_mul_i32 s14, s6, s9
	s_mov_b32 s15, 0
	v_ashrrev_i32_e32 v2, 4, v2
	v_mov_b32_e32 v5, s22
	v_cmp_gt_i32_e32 vcc, s33, v1
	s_lshl_b64 s[14:15], s[14:15], 2
	v_cndmask_b32_e32 v2, v5, v2, vcc
	s_add_u32 s9, s12, s14
	v_ashrrev_i32_e32 v3, 31, v2
	s_addc_u32 s21, s13, s15
	v_lshlrev_b64 v[2:3], 2, v[2:3]
	v_mov_b32_e32 v7, s21
	v_add_co_u32_e32 v6, vcc, s9, v2
	v_or_b32_e32 v2, 16, v1
	v_addc_co_u32_e32 v7, vcc, v7, v3, vcc
	v_add_u32_e32 v3, v2, v4
	v_ashrrev_i32_e32 v3, 4, v3
	v_cmp_gt_i32_e32 vcc, s33, v2
	v_cndmask_b32_e32 v2, v5, v3, vcc
	v_ashrrev_i32_e32 v3, 31, v2
	v_lshlrev_b64 v[2:3], 2, v[2:3]
	v_mov_b32_e32 v9, s21
	v_add_co_u32_e32 v8, vcc, s9, v2
	v_or_b32_e32 v2, 32, v1
	v_addc_co_u32_e32 v9, vcc, v9, v3, vcc
	v_add_u32_e32 v3, v2, v4
	v_ashrrev_i32_e32 v3, 4, v3
	v_cmp_gt_i32_e32 vcc, s33, v2
	v_cndmask_b32_e32 v2, v5, v3, vcc
	v_ashrrev_i32_e32 v3, 31, v2
	;; [unrolled: 10-line block ×3, first 2 shown]
	v_lshlrev_b64 v[2:3], 2, v[2:3]
	v_mov_b32_e32 v1, s21
	v_add_co_u32_e32 v12, vcc, s9, v2
	v_addc_co_u32_e32 v13, vcc, v1, v3, vcc
	global_load_dword v4, v[6:7], off
	global_load_dword v5, v[8:9], off
	;; [unrolled: 1-line block ×4, first 2 shown]
	s_load_dwordx4 s[12:15], s[4:5], 0x8
	s_andn2_b64 vcc, exec, s[2:3]
	s_cbranch_vccnz .LBB568_8
; %bb.6:
	s_add_u32 s0, s0, s10
	s_addc_u32 s1, s1, s11
	s_load_dword s10, s[0:1], 0x0
	s_branch .LBB568_9
.LBB568_7:
	s_mov_b64 s[12:13], 0
	s_branch .LBB568_2
.LBB568_8:
	s_mov_b32 s10, s6
.LBB568_9:
	s_load_dwordx4 s[16:19], s[4:5], 0x48
	v_lshrrev_b32_e32 v49, 6, v0
	v_bfe_u32 v1, v0, 4, 2
	v_lshl_or_b32 v6, v49, 2, v1
	v_and_b32_e32 v48, 15, v0
	v_lshlrev_b32_e32 v7, 3, v48
	v_cmp_gt_u32_e32 vcc, 11, v6
	v_cmp_gt_u32_e64 s[0:1], 8, v48
	s_mul_i32 s25, s8, 11
	s_and_b64 s[26:27], s[0:1], vcc
	v_lshlrev_b32_e32 v46, 1, v7
	v_lshlrev_b32_e32 v47, 4, v0
	s_and_saveexec_b64 s[2:3], s[26:27]
	s_cbranch_execz .LBB568_11
; %bb.10:
	s_load_dwordx2 s[26:27], s[4:5], 0x0
	s_waitcnt lgkmcnt(0)
	s_ashr_i32 s11, s16, 31
	s_mul_hi_u32 s19, s10, s16
	s_mul_i32 s11, s10, s11
	s_add_i32 s11, s19, s11
	s_mul_i32 s10, s10, s16
	s_lshl_b64 s[10:11], s[10:11], 1
	v_add_lshl_u32 v8, v6, s25, 6
	s_add_u32 s10, s26, s10
	v_ashrrev_i32_e32 v9, 31, v8
	s_addc_u32 s11, s27, s11
	v_lshlrev_b64 v[8:9], 1, v[8:9]
	v_mov_b32_e32 v7, s11
	v_add_co_u32_e32 v8, vcc, s10, v8
	v_addc_co_u32_e32 v7, vcc, v7, v9, vcc
	v_add_co_u32_e32 v8, vcc, v8, v46
	v_addc_co_u32_e32 v9, vcc, 0, v7, vcc
	global_load_dwordx4 v[8:11], v[8:9], off
	v_lshlrev_b32_e32 v12, 8, v48
	v_lshlrev_b32_e32 v6, 5, v6
	v_and_b32_e32 v7, 16, v47
	v_and_b32_e32 v12, 0xe00, v12
	v_or3_b32 v6, v12, v6, v7
	s_waitcnt vmcnt(0)
	ds_write_b128 v6, v[8:11]
.LBB568_11:
	s_or_b64 exec, exec, s[2:3]
	v_and_b32_e32 v12, 48, v0
	v_or_b32_e32 v13, s20, v12
	v_ashrrev_i32_e32 v6, 4, v13
	v_mov_b32_e32 v14, s22
	v_cmp_gt_i32_e32 vcc, s33, v13
	v_cndmask_b32_e32 v6, v14, v6, vcc
	v_ashrrev_i32_e32 v7, 31, v6
	v_lshlrev_b64 v[6:7], 2, v[6:7]
	v_mov_b32_e32 v8, s21
	v_add_co_u32_e32 v6, vcc, s9, v6
	v_addc_co_u32_e32 v7, vcc, v8, v7, vcc
	v_or_b32_e32 v8, 64, v13
	v_ashrrev_i32_e32 v9, 4, v8
	v_cmp_gt_i32_e32 vcc, s33, v8
	v_cndmask_b32_e32 v8, v14, v9, vcc
	v_ashrrev_i32_e32 v9, 31, v8
	v_lshlrev_b64 v[8:9], 2, v[8:9]
	v_mov_b32_e32 v10, s21
	v_add_co_u32_e32 v8, vcc, s9, v8
	v_addc_co_u32_e32 v9, vcc, v10, v9, vcc
	v_or_b32_e32 v10, 0x80, v13
	v_ashrrev_i32_e32 v11, 4, v10
	v_cmp_gt_i32_e32 vcc, s33, v10
	v_cndmask_b32_e32 v10, v14, v11, vcc
	v_ashrrev_i32_e32 v11, 31, v10
	v_lshlrev_b64 v[10:11], 2, v[10:11]
	v_mov_b32_e32 v15, s21
	v_add_co_u32_e32 v10, vcc, s9, v10
	s_load_dwordx2 s[44:45], s[4:5], 0x94
	s_load_dwordx4 s[40:43], s[4:5], 0x80
	s_waitcnt lgkmcnt(0)
	s_barrier
	v_addc_co_u32_e32 v11, vcc, v15, v11, vcc
	global_load_dword v15, v[6:7], off
	global_load_dword v16, v[8:9], off
	;; [unrolled: 1-line block ×3, first 2 shown]
	v_or_b32_e32 v6, 0xc0, v13
	v_ashrrev_i32_e32 v7, 4, v6
	v_cmp_gt_i32_e32 vcc, s33, v6
	v_cndmask_b32_e32 v6, v14, v7, vcc
	v_ashrrev_i32_e32 v7, 31, v6
	v_lshlrev_b64 v[6:7], 2, v[6:7]
	v_mov_b32_e32 v8, s21
	v_add_co_u32_e32 v6, vcc, s9, v6
	v_addc_co_u32_e32 v7, vcc, v8, v7, vcc
	global_load_dword v20, v[6:7], off
	s_mul_i32 s8, s8, s18
	s_add_u32 s2, s12, s8
	s_addc_u32 s3, s13, 0
	v_and_b32_e32 v6, 0xf0, v47
	v_mov_b32_e32 v7, s3
	v_add_co_u32_e32 v6, vcc, s2, v6
	v_addc_co_u32_e32 v7, vcc, 0, v7, vcc
	v_lshlrev_b32_e32 v8, 4, v12
	v_add_co_u32_e32 v6, vcc, v6, v8
	v_addc_co_u32_e32 v7, vcc, 0, v7, vcc
	s_waitcnt vmcnt(7)
	v_mad_i64_i32 v[8:9], s[2:3], v4, s17, v[6:7]
	s_waitcnt vmcnt(6)
	v_mad_i64_i32 v[4:5], s[2:3], v5, s17, v[6:7]
	global_load_dwordx4 v[30:33], v[8:9], off
	global_load_dwordx4 v[38:41], v[4:5], off
	s_waitcnt vmcnt(7)
	v_mad_i64_i32 v[4:5], s[2:3], v2, s17, v[6:7]
	s_waitcnt vmcnt(6)
	v_mad_i64_i32 v[2:3], s[2:3], v3, s17, v[6:7]
	global_load_dwordx4 v[34:37], v[4:5], off
	global_load_dwordx4 v[22:25], v[2:3], off
	s_add_u32 s2, s14, s8
	v_lshlrev_b32_e32 v2, 4, v48
	s_addc_u32 s3, s15, 0
	v_lshl_or_b32 v2, v49, 8, v2
	v_mov_b32_e32 v3, s3
	v_add_co_u32_e32 v2, vcc, s2, v2
	v_addc_co_u32_e32 v3, vcc, 0, v3, vcc
	v_cmp_gt_u32_e32 vcc, 11, v48
	v_mov_b32_e32 v43, 0
	s_movk_i32 s8, 0x80
	v_mov_b32_e32 v44, 0
	s_waitcnt vmcnt(7)
	v_mad_i64_i32 v[4:5], s[2:3], v15, s17, v[2:3]
	s_waitcnt vmcnt(6)
	v_mad_i64_i32 v[6:7], s[2:3], v16, s17, v[2:3]
	;; [unrolled: 2-line block ×3, first 2 shown]
	global_load_dwordx4 v[14:17], v[4:5], off
	global_load_dwordx4 v[10:13], v[6:7], off
	s_waitcnt vmcnt(6)
	v_mad_i64_i32 v[20:21], s[2:3], v20, s17, v[2:3]
	global_load_dwordx4 v[6:9], v[18:19], off
	global_load_dwordx4 v[2:5], v[20:21], off
	v_add_u32_e32 v18, -11, v48
	v_cndmask_b32_e32 v18, v18, v48, vcc
	v_lshlrev_b32_e32 v18, 5, v18
	v_lshl_add_u32 v18, v1, 9, v18
	ds_read_b128 v[26:29], v18
	ds_read_b128 v[18:21], v18 offset:16
	s_load_dword s12, s[40:41], 0x0
	s_waitcnt vmcnt(7)
	v_cmp_ne_u16_sdwa s[10:11], v30, v43 src0_sel:BYTE_0 src1_sel:DWORD
	s_and_saveexec_b64 s[2:3], s[10:11]
	s_cbranch_execz .LBB568_17
; %bb.12:
	v_cmp_ne_u16_sdwa s[10:11], v30, s8 src0_sel:BYTE_0 src1_sel:DWORD
	v_bfrev_b32_e32 v44, 1
	s_and_saveexec_b64 s[8:9], s[10:11]
	s_cbranch_execz .LBB568_16
; %bb.13:
	s_movk_i32 s10, 0x7f
	v_and_b32_e32 v42, 0x7f, v30
	v_cmp_ne_u32_e32 vcc, s10, v42
	v_mov_b32_e32 v44, 0x7f800001
	s_and_saveexec_b64 s[10:11], vcc
	s_cbranch_execz .LBB568_15
; %bb.14:
	v_and_b32_e32 v50, 7, v30
	v_ffbh_u32_e32 v44, v50
	v_min_u32_e32 v52, 32, v44
	v_subrev_u32_e32 v44, 28, v52
	v_lshlrev_b64 v[44:45], v44, v[30:31]
	v_lshrrev_b32_e32 v51, 3, v42
	v_sub_u32_e32 v45, 29, v52
	v_and_b32_e32 v44, 7, v44
	v_cmp_gt_u32_e32 vcc, 8, v42
	v_cndmask_b32_e32 v42, v51, v45, vcc
	v_cndmask_b32_e32 v44, v50, v44, vcc
	v_lshlrev_b32_e32 v45, 24, v30
	v_bfrev_b32_e32 v50, 60
	v_lshlrev_b32_e32 v44, 20, v44
	v_and_b32_e32 v45, 0x80000000, v45
	v_lshl_add_u32 v42, v42, 23, v50
	v_or3_b32 v44, v45, v42, v44
.LBB568_15:
	s_or_b64 exec, exec, s[10:11]
.LBB568_16:
	s_or_b64 exec, exec, s[8:9]
.LBB568_17:
	s_or_b64 exec, exec, s[2:3]
	v_lshrrev_b16_e32 v42, 8, v30
	v_cmp_ne_u16_e32 vcc, 0, v42
	s_and_saveexec_b64 s[2:3], vcc
	s_cbranch_execz .LBB568_23
; %bb.18:
	s_movk_i32 s8, 0x80
	v_cmp_ne_u16_e32 vcc, s8, v42
	v_bfrev_b32_e32 v43, 1
	s_and_saveexec_b64 s[8:9], vcc
	s_cbranch_execz .LBB568_22
; %bb.19:
	s_movk_i32 s10, 0x7f
	v_and_b32_e32 v45, 0x7f, v42
	v_cmp_ne_u32_e32 vcc, s10, v45
	v_mov_b32_e32 v43, 0x7f800001
	s_and_saveexec_b64 s[10:11], vcc
	s_cbranch_execz .LBB568_21
; %bb.20:
	v_and_b32_e32 v50, 7, v42
	v_ffbh_u32_e32 v43, v50
	v_min_u32_e32 v52, 32, v43
	v_subrev_u32_e32 v43, 28, v52
	v_lshlrev_b64 v[42:43], v43, v[42:43]
	v_lshrrev_b32_e32 v51, 3, v45
	v_sub_u32_e32 v43, 29, v52
	v_and_b32_e32 v42, 7, v42
	v_cmp_gt_u32_e32 vcc, 8, v45
	v_cndmask_b32_e32 v43, v51, v43, vcc
	v_cndmask_b32_e32 v42, v50, v42, vcc
	v_lshlrev_b32_e32 v45, 16, v30
	v_bfrev_b32_e32 v50, 60
	v_lshlrev_b32_e32 v42, 20, v42
	v_and_b32_e32 v45, 0x80000000, v45
	v_lshl_add_u32 v43, v43, 23, v50
	v_or3_b32 v43, v45, v43, v42
.LBB568_21:
	s_or_b64 exec, exec, s[10:11]
.LBB568_22:
	s_or_b64 exec, exec, s[8:9]
.LBB568_23:
	s_or_b64 exec, exec, s[2:3]
	s_movk_i32 s2, 0xff
	v_and_b32_sdwa v51, v30, s2 dst_sel:DWORD dst_unused:UNUSED_PAD src0_sel:WORD_1 src1_sel:DWORD
	v_lshrrev_b32_e32 v42, 16, v30
	v_cmp_ne_u16_e32 vcc, 0, v51
	v_mov_b32_e32 v45, 0
	v_mov_b32_e32 v50, 0
	s_and_saveexec_b64 s[2:3], vcc
	s_cbranch_execz .LBB568_29
; %bb.24:
	s_movk_i32 s8, 0x80
	v_cmp_ne_u16_e32 vcc, s8, v51
	v_bfrev_b32_e32 v50, 1
	s_and_saveexec_b64 s[8:9], vcc
	s_cbranch_execz .LBB568_28
; %bb.25:
	v_bfe_u32 v51, v30, 16, 7
	s_movk_i32 s10, 0x7f
	v_cmp_ne_u32_e32 vcc, s10, v51
	v_mov_b32_e32 v50, 0x7f800001
	s_and_saveexec_b64 s[10:11], vcc
	s_cbranch_execz .LBB568_27
; %bb.26:
	v_and_b32_e32 v50, 7, v42
	v_ffbh_u32_e32 v52, v50
	v_min_u32_e32 v55, 32, v52
	v_subrev_u32_e32 v52, 28, v55
	v_lshlrev_b64 v[52:53], v52, v[42:43]
	v_lshrrev_b32_e32 v54, 3, v51
	v_sub_u32_e32 v42, 29, v55
	v_and_b32_e32 v52, 7, v52
	v_cmp_gt_u32_e32 vcc, 8, v51
	v_mov_b32_e32 v51, 24
	v_cndmask_b32_e32 v42, v54, v42, vcc
	v_cndmask_b32_e32 v50, v50, v52, vcc
	v_lshlrev_b32_sdwa v51, v51, v30 dst_sel:DWORD dst_unused:UNUSED_PAD src0_sel:DWORD src1_sel:WORD_1
	v_bfrev_b32_e32 v52, 60
	v_lshlrev_b32_e32 v50, 20, v50
	v_and_b32_e32 v51, 0x80000000, v51
	v_lshl_add_u32 v42, v42, 23, v52
	v_or3_b32 v50, v51, v42, v50
.LBB568_27:
	s_or_b64 exec, exec, s[10:11]
.LBB568_28:
	s_or_b64 exec, exec, s[8:9]
.LBB568_29:
	s_or_b64 exec, exec, s[2:3]
	s_mov_b32 s2, 0xffffff
	v_cmp_lt_u32_e32 vcc, s2, v30
	s_and_saveexec_b64 s[2:3], vcc
	s_cbranch_execz .LBB568_35
; %bb.30:
	v_lshrrev_b32_e32 v42, 24, v30
	s_movk_i32 s8, 0x80
	v_cmp_ne_u32_e32 vcc, s8, v42
	v_bfrev_b32_e32 v45, 1
	s_and_saveexec_b64 s[8:9], vcc
	s_cbranch_execz .LBB568_34
; %bb.31:
	v_bfe_u32 v30, v30, 24, 7
	s_movk_i32 s10, 0x7f
	v_cmp_ne_u32_e32 vcc, s10, v30
	v_mov_b32_e32 v45, 0x7f800001
	s_and_saveexec_b64 s[10:11], vcc
	s_cbranch_execz .LBB568_33
; %bb.32:
	v_and_b32_e32 v45, 7, v42
	v_ffbh_u32_e32 v52, v45
	v_min_u32_e32 v54, 32, v52
	v_subrev_u32_e32 v52, 28, v54
	v_lshlrev_b64 v[52:53], v52, v[42:43]
	v_lshrrev_b32_e32 v51, 3, v30
	v_sub_u32_e32 v53, 29, v54
	v_and_b32_e32 v52, 7, v52
	v_cmp_gt_u32_e32 vcc, 8, v30
	v_cndmask_b32_e32 v30, v51, v53, vcc
	v_cndmask_b32_e32 v45, v45, v52, vcc
	v_lshlrev_b32_e32 v42, 24, v42
	v_bfrev_b32_e32 v51, 60
	v_lshlrev_b32_e32 v45, 20, v45
	v_and_b32_e32 v42, 0x80000000, v42
	v_lshl_add_u32 v30, v30, 23, v51
	v_or3_b32 v45, v42, v30, v45
.LBB568_33:
	s_or_b64 exec, exec, s[10:11]
.LBB568_34:
	s_or_b64 exec, exec, s[8:9]
.LBB568_35:
	s_or_b64 exec, exec, s[2:3]
	v_mov_b32_e32 v42, 0
	v_cmp_ne_u16_sdwa s[8:9], v31, v42 src0_sel:BYTE_0 src1_sel:DWORD
	v_mov_b32_e32 v51, 0
	s_and_saveexec_b64 s[2:3], s[8:9]
	s_cbranch_execz .LBB568_41
; %bb.36:
	s_movk_i32 s8, 0x80
	v_cmp_ne_u16_sdwa s[10:11], v31, s8 src0_sel:BYTE_0 src1_sel:DWORD
	v_bfrev_b32_e32 v51, 1
	s_and_saveexec_b64 s[8:9], s[10:11]
	s_cbranch_execz .LBB568_40
; %bb.37:
	s_movk_i32 s10, 0x7f
	v_and_b32_e32 v30, 0x7f, v31
	v_cmp_ne_u32_e32 vcc, s10, v30
	v_mov_b32_e32 v51, 0x7f800001
	s_and_saveexec_b64 s[10:11], vcc
	s_cbranch_execz .LBB568_39
; %bb.38:
	v_and_b32_e32 v51, 7, v31
	v_ffbh_u32_e32 v53, v51
	v_min_u32_e32 v55, 32, v53
	v_mov_b32_e32 v52, v31
	v_subrev_u32_e32 v53, 28, v55
	v_lshlrev_b64 v[52:53], v53, v[52:53]
	v_lshrrev_b32_e32 v54, 3, v30
	v_sub_u32_e32 v53, 29, v55
	v_and_b32_e32 v52, 7, v52
	v_cmp_gt_u32_e32 vcc, 8, v30
	v_cndmask_b32_e32 v30, v54, v53, vcc
	v_cndmask_b32_e32 v51, v51, v52, vcc
	v_lshlrev_b32_e32 v52, 24, v31
	v_bfrev_b32_e32 v53, 60
	v_lshlrev_b32_e32 v51, 20, v51
	v_and_b32_e32 v52, 0x80000000, v52
	v_lshl_add_u32 v30, v30, 23, v53
	v_or3_b32 v51, v52, v30, v51
.LBB568_39:
	s_or_b64 exec, exec, s[10:11]
.LBB568_40:
	s_or_b64 exec, exec, s[8:9]
.LBB568_41:
	s_or_b64 exec, exec, s[2:3]
	v_lshrrev_b16_e32 v30, 8, v31
	v_cmp_ne_u16_e32 vcc, 0, v30
	s_and_saveexec_b64 s[2:3], vcc
	s_cbranch_execz .LBB568_47
; %bb.42:
	s_movk_i32 s8, 0x80
	v_cmp_ne_u16_e32 vcc, s8, v30
	v_bfrev_b32_e32 v42, 1
	s_and_saveexec_b64 s[8:9], vcc
	s_cbranch_execz .LBB568_46
; %bb.43:
	s_movk_i32 s10, 0x7f
	v_and_b32_e32 v52, 0x7f, v30
	v_cmp_ne_u32_e32 vcc, s10, v52
	v_mov_b32_e32 v42, 0x7f800001
	s_and_saveexec_b64 s[10:11], vcc
	s_cbranch_execz .LBB568_45
; %bb.44:
	v_and_b32_e32 v42, 7, v30
	v_ffbh_u32_e32 v54, v42
	v_min_u32_e32 v56, 32, v54
	v_subrev_u32_e32 v54, 28, v56
	v_lshlrev_b64 v[54:55], v54, v[30:31]
	v_lshrrev_b32_e32 v53, 3, v52
	v_sub_u32_e32 v30, 29, v56
	v_and_b32_e32 v54, 7, v54
	v_cmp_gt_u32_e32 vcc, 8, v52
	v_cndmask_b32_e32 v30, v53, v30, vcc
	v_cndmask_b32_e32 v42, v42, v54, vcc
	v_lshlrev_b32_e32 v52, 16, v31
	v_bfrev_b32_e32 v53, 60
	v_lshlrev_b32_e32 v42, 20, v42
	v_and_b32_e32 v52, 0x80000000, v52
	v_lshl_add_u32 v30, v30, 23, v53
	v_or3_b32 v42, v52, v30, v42
.LBB568_45:
	s_or_b64 exec, exec, s[10:11]
.LBB568_46:
	s_or_b64 exec, exec, s[8:9]
.LBB568_47:
	s_or_b64 exec, exec, s[2:3]
	s_movk_i32 s2, 0xff
	v_and_b32_sdwa v54, v31, s2 dst_sel:DWORD dst_unused:UNUSED_PAD src0_sel:WORD_1 src1_sel:DWORD
	v_lshrrev_b32_e32 v30, 16, v31
	v_cmp_ne_u16_e32 vcc, 0, v54
	v_mov_b32_e32 v52, 0
	v_mov_b32_e32 v53, 0
	s_and_saveexec_b64 s[2:3], vcc
	s_cbranch_execz .LBB568_53
; %bb.48:
	s_movk_i32 s8, 0x80
	v_cmp_ne_u16_e32 vcc, s8, v54
	v_bfrev_b32_e32 v53, 1
	s_and_saveexec_b64 s[8:9], vcc
	s_cbranch_execz .LBB568_52
; %bb.49:
	v_bfe_u32 v54, v31, 16, 7
	s_movk_i32 s10, 0x7f
	v_cmp_ne_u32_e32 vcc, s10, v54
	v_mov_b32_e32 v53, 0x7f800001
	s_and_saveexec_b64 s[10:11], vcc
	s_cbranch_execz .LBB568_51
; %bb.50:
	v_and_b32_e32 v53, 7, v30
	v_ffbh_u32_e32 v56, v53
	v_min_u32_e32 v58, 32, v56
	v_subrev_u32_e32 v56, 28, v58
	v_lshlrev_b64 v[56:57], v56, v[30:31]
	v_lshrrev_b32_e32 v55, 3, v54
	v_sub_u32_e32 v30, 29, v58
	v_and_b32_e32 v56, 7, v56
	v_cmp_gt_u32_e32 vcc, 8, v54
	v_mov_b32_e32 v54, 24
	v_cndmask_b32_e32 v30, v55, v30, vcc
	v_cndmask_b32_e32 v53, v53, v56, vcc
	v_lshlrev_b32_sdwa v54, v54, v31 dst_sel:DWORD dst_unused:UNUSED_PAD src0_sel:DWORD src1_sel:WORD_1
	v_bfrev_b32_e32 v55, 60
	v_lshlrev_b32_e32 v53, 20, v53
	v_and_b32_e32 v54, 0x80000000, v54
	v_lshl_add_u32 v30, v30, 23, v55
	v_or3_b32 v53, v54, v30, v53
.LBB568_51:
	s_or_b64 exec, exec, s[10:11]
.LBB568_52:
	s_or_b64 exec, exec, s[8:9]
.LBB568_53:
	s_or_b64 exec, exec, s[2:3]
	s_mov_b32 s2, 0xffffff
	v_cmp_lt_u32_e32 vcc, s2, v31
	s_and_saveexec_b64 s[2:3], vcc
	s_cbranch_execz .LBB568_59
; %bb.54:
	v_lshrrev_b32_e32 v30, 24, v31
	s_movk_i32 s8, 0x80
	v_cmp_ne_u32_e32 vcc, s8, v30
	v_bfrev_b32_e32 v52, 1
	s_and_saveexec_b64 s[8:9], vcc
	s_cbranch_execz .LBB568_58
; %bb.55:
	v_bfe_u32 v31, v31, 24, 7
	s_movk_i32 s10, 0x7f
	v_cmp_ne_u32_e32 vcc, s10, v31
	v_mov_b32_e32 v52, 0x7f800001
	s_and_saveexec_b64 s[10:11], vcc
	s_cbranch_execz .LBB568_57
; %bb.56:
	v_and_b32_e32 v52, 7, v30
	v_ffbh_u32_e32 v54, v52
	v_min_u32_e32 v57, 32, v54
	v_subrev_u32_e32 v54, 28, v57
	v_lshlrev_b64 v[54:55], v54, v[30:31]
	v_lshrrev_b32_e32 v56, 3, v31
	v_sub_u32_e32 v55, 29, v57
	v_and_b32_e32 v54, 7, v54
	v_cmp_gt_u32_e32 vcc, 8, v31
	v_cndmask_b32_e32 v31, v56, v55, vcc
	v_cndmask_b32_e32 v52, v52, v54, vcc
	v_lshlrev_b32_e32 v30, 24, v30
	v_bfrev_b32_e32 v54, 60
	v_lshlrev_b32_e32 v52, 20, v52
	v_and_b32_e32 v30, 0x80000000, v30
	v_lshl_add_u32 v31, v31, 23, v54
	v_or3_b32 v52, v30, v31, v52
.LBB568_57:
	s_or_b64 exec, exec, s[10:11]
.LBB568_58:
	s_or_b64 exec, exec, s[8:9]
.LBB568_59:
	s_or_b64 exec, exec, s[2:3]
	v_cvt_pkrtz_f16_f32 v30, v44, v43
	v_cvt_pkrtz_f16_f32 v31, v50, v45
	;; [unrolled: 1-line block ×4, first 2 shown]
	v_mov_b32_e32 v51, 0
	s_waitcnt lgkmcnt(0)
	v_mfma_f32_16x16x16f16 v[54:57], v[30:31], v[26:27], 0
	v_mov_b32_e32 v31, 0
	v_cmp_ne_u16_sdwa s[8:9], v32, v31 src0_sel:BYTE_0 src1_sel:DWORD
	v_mfma_f32_16x16x16f16 v[42:45], v[42:43], v[28:29], v[54:57]
	s_and_saveexec_b64 s[2:3], s[8:9]
	s_cbranch_execz .LBB568_65
; %bb.60:
	s_movk_i32 s8, 0x80
	v_cmp_ne_u16_sdwa s[10:11], v32, s8 src0_sel:BYTE_0 src1_sel:DWORD
	v_bfrev_b32_e32 v51, 1
	s_and_saveexec_b64 s[8:9], s[10:11]
	s_cbranch_execz .LBB568_64
; %bb.61:
	s_movk_i32 s10, 0x7f
	v_and_b32_e32 v30, 0x7f, v32
	v_cmp_ne_u32_e32 vcc, s10, v30
	v_mov_b32_e32 v51, 0x7f800001
	s_and_saveexec_b64 s[10:11], vcc
	s_cbranch_execz .LBB568_63
; %bb.62:
	v_and_b32_e32 v52, 7, v32
	v_ffbh_u32_e32 v50, v52
	v_min_u32_e32 v54, 32, v50
	v_subrev_u32_e32 v50, 28, v54
	v_lshlrev_b64 v[50:51], v50, v[32:33]
	v_lshrrev_b32_e32 v53, 3, v30
	v_sub_u32_e32 v51, 29, v54
	v_and_b32_e32 v50, 7, v50
	v_cmp_gt_u32_e32 vcc, 8, v30
	v_cndmask_b32_e32 v30, v53, v51, vcc
	v_cndmask_b32_e32 v50, v52, v50, vcc
	v_lshlrev_b32_e32 v51, 24, v32
	v_bfrev_b32_e32 v52, 60
	v_lshlrev_b32_e32 v50, 20, v50
	v_and_b32_e32 v51, 0x80000000, v51
	v_lshl_add_u32 v30, v30, 23, v52
	v_or3_b32 v51, v51, v30, v50
.LBB568_63:
	s_or_b64 exec, exec, s[10:11]
.LBB568_64:
	s_or_b64 exec, exec, s[8:9]
.LBB568_65:
	s_or_b64 exec, exec, s[2:3]
	v_lshrrev_b16_e32 v30, 8, v32
	v_cmp_ne_u16_e32 vcc, 0, v30
	v_mov_b32_e32 v52, 0
	s_and_saveexec_b64 s[2:3], vcc
	s_cbranch_execz .LBB568_71
; %bb.66:
	s_movk_i32 s8, 0x80
	v_cmp_ne_u16_e32 vcc, s8, v30
	v_bfrev_b32_e32 v52, 1
	s_and_saveexec_b64 s[8:9], vcc
	s_cbranch_execz .LBB568_70
; %bb.67:
	s_movk_i32 s10, 0x7f
	v_and_b32_e32 v50, 0x7f, v30
	v_cmp_ne_u32_e32 vcc, s10, v50
	v_mov_b32_e32 v52, 0x7f800001
	s_and_saveexec_b64 s[10:11], vcc
	s_cbranch_execz .LBB568_69
; %bb.68:
	v_and_b32_e32 v54, 7, v30
	v_ffbh_u32_e32 v52, v54
	v_min_u32_e32 v56, 32, v52
	v_subrev_u32_e32 v52, 28, v56
	v_lshlrev_b64 v[52:53], v52, v[30:31]
	v_lshrrev_b32_e32 v55, 3, v50
	v_sub_u32_e32 v30, 29, v56
	v_and_b32_e32 v52, 7, v52
	v_cmp_gt_u32_e32 vcc, 8, v50
	v_cndmask_b32_e32 v30, v55, v30, vcc
	v_cndmask_b32_e32 v50, v54, v52, vcc
	v_lshlrev_b32_e32 v52, 16, v32
	v_bfrev_b32_e32 v53, 60
	v_lshlrev_b32_e32 v50, 20, v50
	v_and_b32_e32 v52, 0x80000000, v52
	v_lshl_add_u32 v30, v30, 23, v53
	v_or3_b32 v52, v52, v30, v50
.LBB568_69:
	s_or_b64 exec, exec, s[10:11]
.LBB568_70:
	s_or_b64 exec, exec, s[8:9]
.LBB568_71:
	s_or_b64 exec, exec, s[2:3]
	s_movk_i32 s2, 0xff
	v_and_b32_sdwa v50, v32, s2 dst_sel:DWORD dst_unused:UNUSED_PAD src0_sel:WORD_1 src1_sel:DWORD
	v_lshrrev_b32_e32 v30, 16, v32
	v_cmp_ne_u16_e32 vcc, 0, v50
	s_and_saveexec_b64 s[2:3], vcc
	s_cbranch_execz .LBB568_77
; %bb.72:
	s_movk_i32 s8, 0x80
	v_cmp_ne_u16_e32 vcc, s8, v50
	v_bfrev_b32_e32 v31, 1
	s_and_saveexec_b64 s[8:9], vcc
	s_cbranch_execz .LBB568_76
; %bb.73:
	v_bfe_u32 v50, v32, 16, 7
	s_movk_i32 s10, 0x7f
	v_cmp_ne_u32_e32 vcc, s10, v50
	v_mov_b32_e32 v31, 0x7f800001
	s_and_saveexec_b64 s[10:11], vcc
	s_cbranch_execz .LBB568_75
; %bb.74:
	v_and_b32_e32 v53, 7, v30
	v_ffbh_u32_e32 v31, v53
	v_min_u32_e32 v55, 32, v31
	v_subrev_u32_e32 v31, 28, v55
	v_lshlrev_b64 v[30:31], v31, v[30:31]
	v_lshrrev_b32_e32 v54, 3, v50
	v_sub_u32_e32 v31, 29, v55
	v_and_b32_e32 v30, 7, v30
	v_cmp_gt_u32_e32 vcc, 8, v50
	v_mov_b32_e32 v50, 24
	v_cndmask_b32_e32 v31, v54, v31, vcc
	v_cndmask_b32_e32 v30, v53, v30, vcc
	v_lshlrev_b32_sdwa v50, v50, v32 dst_sel:DWORD dst_unused:UNUSED_PAD src0_sel:DWORD src1_sel:WORD_1
	v_bfrev_b32_e32 v53, 60
	v_lshlrev_b32_e32 v30, 20, v30
	v_and_b32_e32 v50, 0x80000000, v50
	v_lshl_add_u32 v31, v31, 23, v53
	v_or3_b32 v31, v50, v31, v30
.LBB568_75:
	s_or_b64 exec, exec, s[10:11]
.LBB568_76:
	s_or_b64 exec, exec, s[8:9]
.LBB568_77:
	s_or_b64 exec, exec, s[2:3]
	s_mov_b32 s2, 0xffffff
	v_cmp_lt_u32_e32 vcc, s2, v32
	v_mov_b32_e32 v53, 0
	v_mov_b32_e32 v54, 0
	s_and_saveexec_b64 s[2:3], vcc
	s_cbranch_execz .LBB568_83
; %bb.78:
	v_lshrrev_b32_e32 v30, 24, v32
	s_movk_i32 s8, 0x80
	v_cmp_ne_u32_e32 vcc, s8, v30
	v_bfrev_b32_e32 v54, 1
	s_and_saveexec_b64 s[8:9], vcc
	s_cbranch_execz .LBB568_82
; %bb.79:
	v_bfe_u32 v32, v32, 24, 7
	s_movk_i32 s10, 0x7f
	v_cmp_ne_u32_e32 vcc, s10, v32
	v_mov_b32_e32 v54, 0x7f800001
	s_and_saveexec_b64 s[10:11], vcc
	s_cbranch_execz .LBB568_81
; %bb.80:
	v_and_b32_e32 v50, 7, v30
	v_ffbh_u32_e32 v54, v50
	v_min_u32_e32 v57, 32, v54
	v_subrev_u32_e32 v54, 28, v57
	v_lshlrev_b64 v[54:55], v54, v[30:31]
	v_lshrrev_b32_e32 v56, 3, v32
	v_sub_u32_e32 v55, 29, v57
	v_and_b32_e32 v54, 7, v54
	v_cmp_gt_u32_e32 vcc, 8, v32
	v_cndmask_b32_e32 v32, v56, v55, vcc
	v_cndmask_b32_e32 v50, v50, v54, vcc
	v_lshlrev_b32_e32 v30, 24, v30
	v_bfrev_b32_e32 v54, 60
	v_lshlrev_b32_e32 v50, 20, v50
	v_and_b32_e32 v30, 0x80000000, v30
	v_lshl_add_u32 v32, v32, 23, v54
	v_or3_b32 v54, v30, v32, v50
.LBB568_81:
	s_or_b64 exec, exec, s[10:11]
.LBB568_82:
	s_or_b64 exec, exec, s[8:9]
.LBB568_83:
	s_or_b64 exec, exec, s[2:3]
	v_cmp_ne_u16_sdwa s[8:9], v33, v53 src0_sel:BYTE_0 src1_sel:DWORD
	s_and_saveexec_b64 s[2:3], s[8:9]
	s_cbranch_execz .LBB568_89
; %bb.84:
	s_movk_i32 s8, 0x80
	v_cmp_ne_u16_sdwa s[10:11], v33, s8 src0_sel:BYTE_0 src1_sel:DWORD
	v_bfrev_b32_e32 v53, 1
	s_and_saveexec_b64 s[8:9], s[10:11]
	s_cbranch_execz .LBB568_88
; %bb.85:
	s_movk_i32 s10, 0x7f
	v_and_b32_e32 v30, 0x7f, v33
	v_cmp_ne_u32_e32 vcc, s10, v30
	v_mov_b32_e32 v53, 0x7f800001
	s_and_saveexec_b64 s[10:11], vcc
	s_cbranch_execz .LBB568_87
; %bb.86:
	v_and_b32_e32 v50, 7, v33
	v_ffbh_u32_e32 v55, v50
	v_min_u32_e32 v55, 32, v55
	v_mov_b32_e32 v32, v33
	v_subrev_u32_e32 v56, 28, v55
	v_lshlrev_b64 v[56:57], v56, v[32:33]
	v_lshrrev_b32_e32 v53, 3, v30
	v_sub_u32_e32 v32, 29, v55
	v_and_b32_e32 v55, 7, v56
	v_cmp_gt_u32_e32 vcc, 8, v30
	v_cndmask_b32_e32 v30, v53, v32, vcc
	v_cndmask_b32_e32 v32, v50, v55, vcc
	v_lshlrev_b32_e32 v50, 24, v33
	v_bfrev_b32_e32 v53, 60
	v_lshlrev_b32_e32 v32, 20, v32
	v_and_b32_e32 v50, 0x80000000, v50
	v_lshl_add_u32 v30, v30, 23, v53
	v_or3_b32 v53, v50, v30, v32
.LBB568_87:
	s_or_b64 exec, exec, s[10:11]
.LBB568_88:
	s_or_b64 exec, exec, s[8:9]
.LBB568_89:
	s_or_b64 exec, exec, s[2:3]
	v_lshrrev_b16_e32 v30, 8, v33
	v_cmp_ne_u16_e32 vcc, 0, v30
	v_mov_b32_e32 v32, 0
	v_mov_b32_e32 v55, 0
	s_and_saveexec_b64 s[2:3], vcc
	s_cbranch_execz .LBB568_95
; %bb.90:
	s_movk_i32 s8, 0x80
	v_cmp_ne_u16_e32 vcc, s8, v30
	v_bfrev_b32_e32 v55, 1
	s_and_saveexec_b64 s[8:9], vcc
	s_cbranch_execz .LBB568_94
; %bb.91:
	s_movk_i32 s10, 0x7f
	v_and_b32_e32 v50, 0x7f, v30
	v_cmp_ne_u32_e32 vcc, s10, v50
	v_mov_b32_e32 v55, 0x7f800001
	s_and_saveexec_b64 s[10:11], vcc
	s_cbranch_execz .LBB568_93
; %bb.92:
	v_and_b32_e32 v55, 7, v30
	v_ffbh_u32_e32 v56, v55
	v_min_u32_e32 v59, 32, v56
	v_subrev_u32_e32 v56, 28, v59
	v_lshlrev_b64 v[56:57], v56, v[30:31]
	v_lshrrev_b32_e32 v58, 3, v50
	v_sub_u32_e32 v30, 29, v59
	v_and_b32_e32 v56, 7, v56
	v_cmp_gt_u32_e32 vcc, 8, v50
	v_cndmask_b32_e32 v30, v58, v30, vcc
	v_cndmask_b32_e32 v50, v55, v56, vcc
	v_lshlrev_b32_e32 v55, 16, v33
	v_bfrev_b32_e32 v56, 60
	v_lshlrev_b32_e32 v50, 20, v50
	v_and_b32_e32 v55, 0x80000000, v55
	v_lshl_add_u32 v30, v30, 23, v56
	v_or3_b32 v55, v55, v30, v50
.LBB568_93:
	s_or_b64 exec, exec, s[10:11]
.LBB568_94:
	s_or_b64 exec, exec, s[8:9]
.LBB568_95:
	s_or_b64 exec, exec, s[2:3]
	s_movk_i32 s2, 0xff
	v_and_b32_sdwa v50, v33, s2 dst_sel:DWORD dst_unused:UNUSED_PAD src0_sel:WORD_1 src1_sel:DWORD
	v_lshrrev_b32_e32 v30, 16, v33
	v_cmp_ne_u16_e32 vcc, 0, v50
	s_and_saveexec_b64 s[2:3], vcc
	s_cbranch_execz .LBB568_101
; %bb.96:
	s_movk_i32 s8, 0x80
	v_cmp_ne_u16_e32 vcc, s8, v50
	v_bfrev_b32_e32 v32, 1
	s_and_saveexec_b64 s[8:9], vcc
	s_cbranch_execz .LBB568_100
; %bb.97:
	v_bfe_u32 v50, v33, 16, 7
	s_movk_i32 s10, 0x7f
	v_cmp_ne_u32_e32 vcc, s10, v50
	v_mov_b32_e32 v32, 0x7f800001
	s_and_saveexec_b64 s[10:11], vcc
	s_cbranch_execz .LBB568_99
; %bb.98:
	v_and_b32_e32 v32, 7, v30
	v_ffbh_u32_e32 v56, v32
	v_min_u32_e32 v59, 32, v56
	v_subrev_u32_e32 v56, 28, v59
	v_lshlrev_b64 v[56:57], v56, v[30:31]
	v_lshrrev_b32_e32 v58, 3, v50
	v_sub_u32_e32 v30, 29, v59
	v_and_b32_e32 v56, 7, v56
	v_cmp_gt_u32_e32 vcc, 8, v50
	v_mov_b32_e32 v50, 24
	v_cndmask_b32_e32 v30, v58, v30, vcc
	v_cndmask_b32_e32 v32, v32, v56, vcc
	v_lshlrev_b32_sdwa v50, v50, v33 dst_sel:DWORD dst_unused:UNUSED_PAD src0_sel:DWORD src1_sel:WORD_1
	v_bfrev_b32_e32 v56, 60
	v_lshlrev_b32_e32 v32, 20, v32
	v_and_b32_e32 v50, 0x80000000, v50
	v_lshl_add_u32 v30, v30, 23, v56
	v_or3_b32 v32, v50, v30, v32
.LBB568_99:
	s_or_b64 exec, exec, s[10:11]
.LBB568_100:
	s_or_b64 exec, exec, s[8:9]
.LBB568_101:
	s_or_b64 exec, exec, s[2:3]
	s_mov_b32 s2, 0xffffff
	v_cmp_lt_u32_e32 vcc, s2, v33
	v_mov_b32_e32 v50, 0
	v_mov_b32_e32 v56, 0
	s_and_saveexec_b64 s[2:3], vcc
	s_cbranch_execz .LBB568_107
; %bb.102:
	v_lshrrev_b32_e32 v30, 24, v33
	s_movk_i32 s8, 0x80
	v_cmp_ne_u32_e32 vcc, s8, v30
	v_bfrev_b32_e32 v56, 1
	s_and_saveexec_b64 s[8:9], vcc
	s_cbranch_execz .LBB568_106
; %bb.103:
	v_bfe_u32 v33, v33, 24, 7
	s_movk_i32 s10, 0x7f
	v_cmp_ne_u32_e32 vcc, s10, v33
	v_mov_b32_e32 v56, 0x7f800001
	s_and_saveexec_b64 s[10:11], vcc
	s_cbranch_execz .LBB568_105
; %bb.104:
	v_and_b32_e32 v58, 7, v30
	v_ffbh_u32_e32 v56, v58
	v_min_u32_e32 v60, 32, v56
	v_subrev_u32_e32 v56, 28, v60
	v_lshlrev_b64 v[56:57], v56, v[30:31]
	v_lshrrev_b32_e32 v59, 3, v33
	v_sub_u32_e32 v57, 29, v60
	v_and_b32_e32 v56, 7, v56
	v_cmp_gt_u32_e32 vcc, 8, v33
	v_cndmask_b32_e32 v33, v59, v57, vcc
	v_cndmask_b32_e32 v56, v58, v56, vcc
	v_lshlrev_b32_e32 v30, 24, v30
	v_bfrev_b32_e32 v57, 60
	v_lshlrev_b32_e32 v56, 20, v56
	v_and_b32_e32 v30, 0x80000000, v30
	v_lshl_add_u32 v33, v33, 23, v57
	v_or3_b32 v56, v30, v33, v56
.LBB568_105:
	s_or_b64 exec, exec, s[10:11]
.LBB568_106:
	s_or_b64 exec, exec, s[8:9]
.LBB568_107:
	s_or_b64 exec, exec, s[2:3]
	v_cvt_pkrtz_f16_f32 v30, v51, v52
	v_cvt_pkrtz_f16_f32 v31, v31, v54
	s_waitcnt vmcnt(6)
	v_cmp_ne_u16_sdwa s[8:9], v38, v50 src0_sel:BYTE_0 src1_sel:DWORD
	v_mfma_f32_16x16x16f16 v[42:45], v[30:31], v[18:19], v[42:45]
	v_cvt_pkrtz_f16_f32 v30, v53, v55
	v_cvt_pkrtz_f16_f32 v31, v32, v56
	s_nop 1
	v_mfma_f32_16x16x16f16 v[30:33], v[30:31], v[20:21], v[42:45]
	s_and_saveexec_b64 s[2:3], s[8:9]
	s_cbranch_execz .LBB568_113
; %bb.108:
	s_movk_i32 s8, 0x80
	v_cmp_ne_u16_sdwa s[10:11], v38, s8 src0_sel:BYTE_0 src1_sel:DWORD
	v_bfrev_b32_e32 v50, 1
	s_and_saveexec_b64 s[8:9], s[10:11]
	s_cbranch_execz .LBB568_112
; %bb.109:
	s_movk_i32 s10, 0x7f
	v_and_b32_e32 v42, 0x7f, v38
	v_cmp_ne_u32_e32 vcc, s10, v42
	v_mov_b32_e32 v50, 0x7f800001
	s_and_saveexec_b64 s[10:11], vcc
	s_cbranch_execz .LBB568_111
; %bb.110:
	v_and_b32_e32 v43, 7, v38
	v_ffbh_u32_e32 v44, v43
	v_min_u32_e32 v51, 32, v44
	v_subrev_u32_e32 v44, 28, v51
	v_lshlrev_b64 v[44:45], v44, v[38:39]
	v_lshrrev_b32_e32 v50, 3, v42
	v_sub_u32_e32 v45, 29, v51
	v_and_b32_e32 v44, 7, v44
	v_cmp_gt_u32_e32 vcc, 8, v42
	v_cndmask_b32_e32 v42, v50, v45, vcc
	v_cndmask_b32_e32 v43, v43, v44, vcc
	v_lshlrev_b32_e32 v44, 24, v38
	v_bfrev_b32_e32 v45, 60
	v_lshlrev_b32_e32 v43, 20, v43
	v_and_b32_e32 v44, 0x80000000, v44
	v_lshl_add_u32 v42, v42, 23, v45
	v_or3_b32 v50, v44, v42, v43
.LBB568_111:
	s_or_b64 exec, exec, s[10:11]
.LBB568_112:
	s_or_b64 exec, exec, s[8:9]
.LBB568_113:
	s_or_b64 exec, exec, s[2:3]
	s_nop 3
	v_lshrrev_b16_e32 v42, 8, v38
	v_cmp_ne_u16_e32 vcc, 0, v42
	v_mov_b32_e32 v43, 0
	v_mov_b32_e32 v44, 0
	s_and_saveexec_b64 s[2:3], vcc
	s_cbranch_execz .LBB568_119
; %bb.114:
	s_movk_i32 s8, 0x80
	v_cmp_ne_u16_e32 vcc, s8, v42
	v_bfrev_b32_e32 v44, 1
	s_and_saveexec_b64 s[8:9], vcc
	s_cbranch_execz .LBB568_118
; %bb.115:
	s_movk_i32 s10, 0x7f
	v_and_b32_e32 v45, 0x7f, v42
	v_cmp_ne_u32_e32 vcc, s10, v45
	v_mov_b32_e32 v44, 0x7f800001
	s_and_saveexec_b64 s[10:11], vcc
	s_cbranch_execz .LBB568_117
; %bb.116:
	v_and_b32_e32 v44, 7, v42
	v_ffbh_u32_e32 v52, v44
	v_min_u32_e32 v54, 32, v52
	v_subrev_u32_e32 v52, 28, v54
	v_lshlrev_b64 v[52:53], v52, v[42:43]
	v_lshrrev_b32_e32 v51, 3, v45
	v_sub_u32_e32 v42, 29, v54
	v_and_b32_e32 v52, 7, v52
	v_cmp_gt_u32_e32 vcc, 8, v45
	v_cndmask_b32_e32 v42, v51, v42, vcc
	v_cndmask_b32_e32 v44, v44, v52, vcc
	v_lshlrev_b32_e32 v45, 16, v38
	v_bfrev_b32_e32 v51, 60
	v_lshlrev_b32_e32 v44, 20, v44
	v_and_b32_e32 v45, 0x80000000, v45
	v_lshl_add_u32 v42, v42, 23, v51
	v_or3_b32 v44, v45, v42, v44
.LBB568_117:
	s_or_b64 exec, exec, s[10:11]
.LBB568_118:
	s_or_b64 exec, exec, s[8:9]
.LBB568_119:
	s_or_b64 exec, exec, s[2:3]
	s_movk_i32 s2, 0xff
	v_and_b32_sdwa v45, v38, s2 dst_sel:DWORD dst_unused:UNUSED_PAD src0_sel:WORD_1 src1_sel:DWORD
	v_lshrrev_b32_e32 v42, 16, v38
	v_cmp_ne_u16_e32 vcc, 0, v45
	s_and_saveexec_b64 s[2:3], vcc
	s_cbranch_execz .LBB568_125
; %bb.120:
	s_movk_i32 s8, 0x80
	v_cmp_ne_u16_e32 vcc, s8, v45
	v_bfrev_b32_e32 v43, 1
	s_and_saveexec_b64 s[8:9], vcc
	s_cbranch_execz .LBB568_124
; %bb.121:
	v_bfe_u32 v45, v38, 16, 7
	s_movk_i32 s10, 0x7f
	v_cmp_ne_u32_e32 vcc, s10, v45
	v_mov_b32_e32 v43, 0x7f800001
	s_and_saveexec_b64 s[10:11], vcc
	s_cbranch_execz .LBB568_123
; %bb.122:
	v_and_b32_e32 v51, 7, v42
	v_ffbh_u32_e32 v43, v51
	v_min_u32_e32 v53, 32, v43
	v_subrev_u32_e32 v43, 28, v53
	v_lshlrev_b64 v[42:43], v43, v[42:43]
	v_lshrrev_b32_e32 v52, 3, v45
	v_sub_u32_e32 v43, 29, v53
	v_and_b32_e32 v42, 7, v42
	v_cmp_gt_u32_e32 vcc, 8, v45
	v_mov_b32_e32 v45, 24
	v_cndmask_b32_e32 v43, v52, v43, vcc
	v_cndmask_b32_e32 v42, v51, v42, vcc
	v_lshlrev_b32_sdwa v45, v45, v38 dst_sel:DWORD dst_unused:UNUSED_PAD src0_sel:DWORD src1_sel:WORD_1
	v_bfrev_b32_e32 v51, 60
	v_lshlrev_b32_e32 v42, 20, v42
	v_and_b32_e32 v45, 0x80000000, v45
	v_lshl_add_u32 v43, v43, 23, v51
	v_or3_b32 v43, v45, v43, v42
.LBB568_123:
	s_or_b64 exec, exec, s[10:11]
.LBB568_124:
	s_or_b64 exec, exec, s[8:9]
.LBB568_125:
	s_or_b64 exec, exec, s[2:3]
	s_mov_b32 s2, 0xffffff
	v_cmp_lt_u32_e32 vcc, s2, v38
	v_mov_b32_e32 v45, 0
	v_mov_b32_e32 v52, 0
	s_and_saveexec_b64 s[2:3], vcc
	s_cbranch_execz .LBB568_131
; %bb.126:
	v_lshrrev_b32_e32 v42, 24, v38
	s_movk_i32 s8, 0x80
	v_cmp_ne_u32_e32 vcc, s8, v42
	v_bfrev_b32_e32 v52, 1
	s_and_saveexec_b64 s[8:9], vcc
	s_cbranch_execz .LBB568_130
; %bb.127:
	v_bfe_u32 v38, v38, 24, 7
	s_movk_i32 s10, 0x7f
	v_cmp_ne_u32_e32 vcc, s10, v38
	v_mov_b32_e32 v52, 0x7f800001
	s_and_saveexec_b64 s[10:11], vcc
	s_cbranch_execz .LBB568_129
; %bb.128:
	v_and_b32_e32 v51, 7, v42
	v_ffbh_u32_e32 v52, v51
	v_min_u32_e32 v55, 32, v52
	v_subrev_u32_e32 v52, 28, v55
	v_lshlrev_b64 v[52:53], v52, v[42:43]
	v_lshrrev_b32_e32 v54, 3, v38
	v_sub_u32_e32 v53, 29, v55
	v_and_b32_e32 v52, 7, v52
	v_cmp_gt_u32_e32 vcc, 8, v38
	v_cndmask_b32_e32 v38, v54, v53, vcc
	v_cndmask_b32_e32 v51, v51, v52, vcc
	v_lshlrev_b32_e32 v42, 24, v42
	v_bfrev_b32_e32 v52, 60
	v_lshlrev_b32_e32 v51, 20, v51
	v_and_b32_e32 v42, 0x80000000, v42
	v_lshl_add_u32 v38, v38, 23, v52
	v_or3_b32 v52, v42, v38, v51
.LBB568_129:
	s_or_b64 exec, exec, s[10:11]
.LBB568_130:
	s_or_b64 exec, exec, s[8:9]
.LBB568_131:
	s_or_b64 exec, exec, s[2:3]
	v_cmp_ne_u16_sdwa s[8:9], v39, v45 src0_sel:BYTE_0 src1_sel:DWORD
	s_and_saveexec_b64 s[2:3], s[8:9]
	s_cbranch_execz .LBB568_137
; %bb.132:
	s_movk_i32 s8, 0x80
	v_cmp_ne_u16_sdwa s[10:11], v39, s8 src0_sel:BYTE_0 src1_sel:DWORD
	v_bfrev_b32_e32 v45, 1
	s_and_saveexec_b64 s[8:9], s[10:11]
	s_cbranch_execz .LBB568_136
; %bb.133:
	s_movk_i32 s10, 0x7f
	v_and_b32_e32 v38, 0x7f, v39
	v_cmp_ne_u32_e32 vcc, s10, v38
	v_mov_b32_e32 v45, 0x7f800001
	s_and_saveexec_b64 s[10:11], vcc
	s_cbranch_execz .LBB568_135
; %bb.134:
	v_and_b32_e32 v45, 7, v39
	v_ffbh_u32_e32 v53, v45
	v_min_u32_e32 v53, 32, v53
	v_mov_b32_e32 v42, v39
	v_subrev_u32_e32 v54, 28, v53
	v_lshlrev_b64 v[54:55], v54, v[42:43]
	v_lshrrev_b32_e32 v51, 3, v38
	v_sub_u32_e32 v42, 29, v53
	v_and_b32_e32 v53, 7, v54
	v_cmp_gt_u32_e32 vcc, 8, v38
	v_cndmask_b32_e32 v38, v51, v42, vcc
	v_cndmask_b32_e32 v42, v45, v53, vcc
	v_lshlrev_b32_e32 v45, 24, v39
	v_bfrev_b32_e32 v51, 60
	v_lshlrev_b32_e32 v42, 20, v42
	v_and_b32_e32 v45, 0x80000000, v45
	v_lshl_add_u32 v38, v38, 23, v51
	v_or3_b32 v45, v45, v38, v42
.LBB568_135:
	s_or_b64 exec, exec, s[10:11]
.LBB568_136:
	s_or_b64 exec, exec, s[8:9]
.LBB568_137:
	s_or_b64 exec, exec, s[2:3]
	v_lshrrev_b16_e32 v38, 8, v39
	v_cmp_ne_u16_e32 vcc, 0, v38
	v_mov_b32_e32 v42, 0
	v_mov_b32_e32 v53, 0
	s_and_saveexec_b64 s[2:3], vcc
	s_cbranch_execz .LBB568_143
; %bb.138:
	s_movk_i32 s8, 0x80
	v_cmp_ne_u16_e32 vcc, s8, v38
	v_bfrev_b32_e32 v53, 1
	s_and_saveexec_b64 s[8:9], vcc
	s_cbranch_execz .LBB568_142
; %bb.139:
	s_movk_i32 s10, 0x7f
	v_and_b32_e32 v51, 0x7f, v38
	v_cmp_ne_u32_e32 vcc, s10, v51
	v_mov_b32_e32 v53, 0x7f800001
	s_and_saveexec_b64 s[10:11], vcc
	s_cbranch_execz .LBB568_141
; %bb.140:
	v_and_b32_e32 v53, 7, v38
	v_ffbh_u32_e32 v54, v53
	v_min_u32_e32 v57, 32, v54
	v_subrev_u32_e32 v54, 28, v57
	v_lshlrev_b64 v[54:55], v54, v[38:39]
	v_lshrrev_b32_e32 v56, 3, v51
	v_sub_u32_e32 v38, 29, v57
	v_and_b32_e32 v54, 7, v54
	v_cmp_gt_u32_e32 vcc, 8, v51
	v_cndmask_b32_e32 v38, v56, v38, vcc
	v_cndmask_b32_e32 v51, v53, v54, vcc
	v_lshlrev_b32_e32 v53, 16, v39
	v_bfrev_b32_e32 v54, 60
	v_lshlrev_b32_e32 v51, 20, v51
	v_and_b32_e32 v53, 0x80000000, v53
	v_lshl_add_u32 v38, v38, 23, v54
	v_or3_b32 v53, v53, v38, v51
.LBB568_141:
	s_or_b64 exec, exec, s[10:11]
.LBB568_142:
	s_or_b64 exec, exec, s[8:9]
.LBB568_143:
	s_or_b64 exec, exec, s[2:3]
	s_movk_i32 s2, 0xff
	v_and_b32_sdwa v51, v39, s2 dst_sel:DWORD dst_unused:UNUSED_PAD src0_sel:WORD_1 src1_sel:DWORD
	v_lshrrev_b32_e32 v38, 16, v39
	v_cmp_ne_u16_e32 vcc, 0, v51
	s_and_saveexec_b64 s[2:3], vcc
	s_cbranch_execz .LBB568_149
; %bb.144:
	s_movk_i32 s8, 0x80
	v_cmp_ne_u16_e32 vcc, s8, v51
	v_bfrev_b32_e32 v42, 1
	s_and_saveexec_b64 s[8:9], vcc
	s_cbranch_execz .LBB568_148
; %bb.145:
	v_bfe_u32 v51, v39, 16, 7
	s_movk_i32 s10, 0x7f
	v_cmp_ne_u32_e32 vcc, s10, v51
	v_mov_b32_e32 v42, 0x7f800001
	s_and_saveexec_b64 s[10:11], vcc
	s_cbranch_execz .LBB568_147
; %bb.146:
	v_and_b32_e32 v42, 7, v38
	v_ffbh_u32_e32 v54, v42
	v_min_u32_e32 v57, 32, v54
	v_subrev_u32_e32 v54, 28, v57
	v_lshlrev_b64 v[54:55], v54, v[38:39]
	v_lshrrev_b32_e32 v56, 3, v51
	v_sub_u32_e32 v38, 29, v57
	v_and_b32_e32 v54, 7, v54
	v_cmp_gt_u32_e32 vcc, 8, v51
	v_mov_b32_e32 v51, 24
	v_cndmask_b32_e32 v38, v56, v38, vcc
	v_cndmask_b32_e32 v42, v42, v54, vcc
	v_lshlrev_b32_sdwa v51, v51, v39 dst_sel:DWORD dst_unused:UNUSED_PAD src0_sel:DWORD src1_sel:WORD_1
	v_bfrev_b32_e32 v54, 60
	v_lshlrev_b32_e32 v42, 20, v42
	v_and_b32_e32 v51, 0x80000000, v51
	v_lshl_add_u32 v38, v38, 23, v54
	v_or3_b32 v42, v51, v38, v42
.LBB568_147:
	s_or_b64 exec, exec, s[10:11]
.LBB568_148:
	s_or_b64 exec, exec, s[8:9]
.LBB568_149:
	s_or_b64 exec, exec, s[2:3]
	s_mov_b32 s2, 0xffffff
	v_cmp_lt_u32_e32 vcc, s2, v39
	v_mov_b32_e32 v51, 0
	v_mov_b32_e32 v54, 0
	s_and_saveexec_b64 s[2:3], vcc
	s_cbranch_execz .LBB568_155
; %bb.150:
	v_lshrrev_b32_e32 v38, 24, v39
	s_movk_i32 s8, 0x80
	v_cmp_ne_u32_e32 vcc, s8, v38
	v_bfrev_b32_e32 v54, 1
	s_and_saveexec_b64 s[8:9], vcc
	s_cbranch_execz .LBB568_154
; %bb.151:
	v_bfe_u32 v39, v39, 24, 7
	s_movk_i32 s10, 0x7f
	v_cmp_ne_u32_e32 vcc, s10, v39
	v_mov_b32_e32 v54, 0x7f800001
	s_and_saveexec_b64 s[10:11], vcc
	s_cbranch_execz .LBB568_153
; %bb.152:
	v_and_b32_e32 v56, 7, v38
	v_ffbh_u32_e32 v54, v56
	v_min_u32_e32 v58, 32, v54
	v_subrev_u32_e32 v54, 28, v58
	v_lshlrev_b64 v[54:55], v54, v[38:39]
	v_lshrrev_b32_e32 v57, 3, v39
	v_sub_u32_e32 v55, 29, v58
	v_and_b32_e32 v54, 7, v54
	v_cmp_gt_u32_e32 vcc, 8, v39
	v_cndmask_b32_e32 v39, v57, v55, vcc
	v_cndmask_b32_e32 v54, v56, v54, vcc
	v_lshlrev_b32_e32 v38, 24, v38
	v_bfrev_b32_e32 v55, 60
	v_lshlrev_b32_e32 v54, 20, v54
	v_and_b32_e32 v38, 0x80000000, v38
	v_lshl_add_u32 v39, v39, 23, v55
	v_or3_b32 v54, v38, v39, v54
.LBB568_153:
	s_or_b64 exec, exec, s[10:11]
.LBB568_154:
	s_or_b64 exec, exec, s[8:9]
.LBB568_155:
	s_or_b64 exec, exec, s[2:3]
	v_cvt_pkrtz_f16_f32 v38, v50, v44
	v_cvt_pkrtz_f16_f32 v39, v43, v52
	v_cmp_ne_u16_sdwa s[8:9], v40, v51 src0_sel:BYTE_0 src1_sel:DWORD
	s_nop 0
	v_mfma_f32_16x16x16f16 v[56:59], v[38:39], v[26:27], 0
	v_cvt_pkrtz_f16_f32 v38, v45, v53
	v_cvt_pkrtz_f16_f32 v39, v42, v54
	s_nop 1
	v_mfma_f32_16x16x16f16 v[42:45], v[38:39], v[28:29], v[56:59]
	s_and_saveexec_b64 s[2:3], s[8:9]
	s_cbranch_execz .LBB568_161
; %bb.156:
	s_movk_i32 s8, 0x80
	v_cmp_ne_u16_sdwa s[10:11], v40, s8 src0_sel:BYTE_0 src1_sel:DWORD
	v_bfrev_b32_e32 v51, 1
	s_and_saveexec_b64 s[8:9], s[10:11]
	s_cbranch_execz .LBB568_160
; %bb.157:
	s_movk_i32 s10, 0x7f
	v_and_b32_e32 v38, 0x7f, v40
	v_cmp_ne_u32_e32 vcc, s10, v38
	v_mov_b32_e32 v51, 0x7f800001
	s_and_saveexec_b64 s[10:11], vcc
	s_cbranch_execz .LBB568_159
; %bb.158:
	v_and_b32_e32 v39, 7, v40
	v_ffbh_u32_e32 v50, v39
	v_min_u32_e32 v53, 32, v50
	v_subrev_u32_e32 v50, 28, v53
	v_lshlrev_b64 v[50:51], v50, v[40:41]
	v_lshrrev_b32_e32 v52, 3, v38
	v_sub_u32_e32 v51, 29, v53
	v_and_b32_e32 v50, 7, v50
	v_cmp_gt_u32_e32 vcc, 8, v38
	v_cndmask_b32_e32 v38, v52, v51, vcc
	v_cndmask_b32_e32 v39, v39, v50, vcc
	v_lshlrev_b32_e32 v50, 24, v40
	v_bfrev_b32_e32 v51, 60
	v_lshlrev_b32_e32 v39, 20, v39
	v_and_b32_e32 v50, 0x80000000, v50
	v_lshl_add_u32 v38, v38, 23, v51
	v_or3_b32 v51, v50, v38, v39
.LBB568_159:
	s_or_b64 exec, exec, s[10:11]
.LBB568_160:
	s_or_b64 exec, exec, s[8:9]
.LBB568_161:
	s_or_b64 exec, exec, s[2:3]
	v_lshrrev_b16_e32 v38, 8, v40
	v_cmp_ne_u16_e32 vcc, 0, v38
	v_mov_b32_e32 v39, 0
	v_mov_b32_e32 v52, 0
	s_and_saveexec_b64 s[2:3], vcc
	s_cbranch_execz .LBB568_167
; %bb.162:
	s_movk_i32 s8, 0x80
	v_cmp_ne_u16_e32 vcc, s8, v38
	v_bfrev_b32_e32 v52, 1
	s_and_saveexec_b64 s[8:9], vcc
	s_cbranch_execz .LBB568_166
; %bb.163:
	s_movk_i32 s10, 0x7f
	v_and_b32_e32 v50, 0x7f, v38
	v_cmp_ne_u32_e32 vcc, s10, v50
	v_mov_b32_e32 v52, 0x7f800001
	s_and_saveexec_b64 s[10:11], vcc
	s_cbranch_execz .LBB568_165
; %bb.164:
	v_and_b32_e32 v54, 7, v38
	v_ffbh_u32_e32 v52, v54
	v_min_u32_e32 v56, 32, v52
	v_subrev_u32_e32 v52, 28, v56
	v_lshlrev_b64 v[52:53], v52, v[38:39]
	v_lshrrev_b32_e32 v55, 3, v50
	v_sub_u32_e32 v38, 29, v56
	v_and_b32_e32 v52, 7, v52
	v_cmp_gt_u32_e32 vcc, 8, v50
	v_cndmask_b32_e32 v38, v55, v38, vcc
	v_cndmask_b32_e32 v50, v54, v52, vcc
	v_lshlrev_b32_e32 v52, 16, v40
	v_bfrev_b32_e32 v53, 60
	v_lshlrev_b32_e32 v50, 20, v50
	v_and_b32_e32 v52, 0x80000000, v52
	v_lshl_add_u32 v38, v38, 23, v53
	v_or3_b32 v52, v52, v38, v50
.LBB568_165:
	s_or_b64 exec, exec, s[10:11]
.LBB568_166:
	s_or_b64 exec, exec, s[8:9]
.LBB568_167:
	s_or_b64 exec, exec, s[2:3]
	s_movk_i32 s2, 0xff
	v_and_b32_sdwa v50, v40, s2 dst_sel:DWORD dst_unused:UNUSED_PAD src0_sel:WORD_1 src1_sel:DWORD
	v_lshrrev_b32_e32 v38, 16, v40
	v_cmp_ne_u16_e32 vcc, 0, v50
	s_and_saveexec_b64 s[2:3], vcc
	s_cbranch_execz .LBB568_173
; %bb.168:
	s_movk_i32 s8, 0x80
	v_cmp_ne_u16_e32 vcc, s8, v50
	v_bfrev_b32_e32 v39, 1
	s_and_saveexec_b64 s[8:9], vcc
	s_cbranch_execz .LBB568_172
; %bb.169:
	v_bfe_u32 v50, v40, 16, 7
	s_movk_i32 s10, 0x7f
	v_cmp_ne_u32_e32 vcc, s10, v50
	v_mov_b32_e32 v39, 0x7f800001
	s_and_saveexec_b64 s[10:11], vcc
	s_cbranch_execz .LBB568_171
; %bb.170:
	v_and_b32_e32 v53, 7, v38
	v_ffbh_u32_e32 v39, v53
	v_min_u32_e32 v55, 32, v39
	v_subrev_u32_e32 v39, 28, v55
	v_lshlrev_b64 v[38:39], v39, v[38:39]
	v_lshrrev_b32_e32 v54, 3, v50
	v_sub_u32_e32 v39, 29, v55
	v_and_b32_e32 v38, 7, v38
	v_cmp_gt_u32_e32 vcc, 8, v50
	v_mov_b32_e32 v50, 24
	v_cndmask_b32_e32 v39, v54, v39, vcc
	v_cndmask_b32_e32 v38, v53, v38, vcc
	v_lshlrev_b32_sdwa v50, v50, v40 dst_sel:DWORD dst_unused:UNUSED_PAD src0_sel:DWORD src1_sel:WORD_1
	v_bfrev_b32_e32 v53, 60
	v_lshlrev_b32_e32 v38, 20, v38
	v_and_b32_e32 v50, 0x80000000, v50
	v_lshl_add_u32 v39, v39, 23, v53
	v_or3_b32 v39, v50, v39, v38
.LBB568_171:
	s_or_b64 exec, exec, s[10:11]
.LBB568_172:
	s_or_b64 exec, exec, s[8:9]
.LBB568_173:
	s_or_b64 exec, exec, s[2:3]
	s_mov_b32 s2, 0xffffff
	v_cmp_lt_u32_e32 vcc, s2, v40
	v_mov_b32_e32 v53, 0
	v_mov_b32_e32 v54, 0
	s_and_saveexec_b64 s[2:3], vcc
	s_cbranch_execz .LBB568_179
; %bb.174:
	v_lshrrev_b32_e32 v38, 24, v40
	s_movk_i32 s8, 0x80
	v_cmp_ne_u32_e32 vcc, s8, v38
	v_bfrev_b32_e32 v54, 1
	s_and_saveexec_b64 s[8:9], vcc
	s_cbranch_execz .LBB568_178
; %bb.175:
	v_bfe_u32 v40, v40, 24, 7
	s_movk_i32 s10, 0x7f
	v_cmp_ne_u32_e32 vcc, s10, v40
	v_mov_b32_e32 v54, 0x7f800001
	s_and_saveexec_b64 s[10:11], vcc
	s_cbranch_execz .LBB568_177
; %bb.176:
	v_and_b32_e32 v50, 7, v38
	v_ffbh_u32_e32 v54, v50
	v_min_u32_e32 v57, 32, v54
	v_subrev_u32_e32 v54, 28, v57
	v_lshlrev_b64 v[54:55], v54, v[38:39]
	v_lshrrev_b32_e32 v56, 3, v40
	v_sub_u32_e32 v55, 29, v57
	v_and_b32_e32 v54, 7, v54
	v_cmp_gt_u32_e32 vcc, 8, v40
	v_cndmask_b32_e32 v40, v56, v55, vcc
	v_cndmask_b32_e32 v50, v50, v54, vcc
	v_lshlrev_b32_e32 v38, 24, v38
	v_bfrev_b32_e32 v54, 60
	v_lshlrev_b32_e32 v50, 20, v50
	v_and_b32_e32 v38, 0x80000000, v38
	v_lshl_add_u32 v40, v40, 23, v54
	v_or3_b32 v54, v38, v40, v50
.LBB568_177:
	s_or_b64 exec, exec, s[10:11]
.LBB568_178:
	s_or_b64 exec, exec, s[8:9]
.LBB568_179:
	s_or_b64 exec, exec, s[2:3]
	v_cmp_ne_u16_sdwa s[8:9], v41, v53 src0_sel:BYTE_0 src1_sel:DWORD
	s_and_saveexec_b64 s[2:3], s[8:9]
	s_cbranch_execz .LBB568_185
; %bb.180:
	s_movk_i32 s8, 0x80
	v_cmp_ne_u16_sdwa s[10:11], v41, s8 src0_sel:BYTE_0 src1_sel:DWORD
	v_bfrev_b32_e32 v53, 1
	s_and_saveexec_b64 s[8:9], s[10:11]
	s_cbranch_execz .LBB568_184
; %bb.181:
	s_movk_i32 s10, 0x7f
	v_and_b32_e32 v38, 0x7f, v41
	v_cmp_ne_u32_e32 vcc, s10, v38
	v_mov_b32_e32 v53, 0x7f800001
	s_and_saveexec_b64 s[10:11], vcc
	s_cbranch_execz .LBB568_183
; %bb.182:
	v_and_b32_e32 v50, 7, v41
	v_ffbh_u32_e32 v55, v50
	v_min_u32_e32 v55, 32, v55
	v_mov_b32_e32 v40, v41
	v_subrev_u32_e32 v56, 28, v55
	v_lshlrev_b64 v[56:57], v56, v[40:41]
	v_lshrrev_b32_e32 v53, 3, v38
	v_sub_u32_e32 v40, 29, v55
	v_and_b32_e32 v55, 7, v56
	v_cmp_gt_u32_e32 vcc, 8, v38
	v_cndmask_b32_e32 v38, v53, v40, vcc
	v_cndmask_b32_e32 v40, v50, v55, vcc
	v_lshlrev_b32_e32 v50, 24, v41
	v_bfrev_b32_e32 v53, 60
	v_lshlrev_b32_e32 v40, 20, v40
	v_and_b32_e32 v50, 0x80000000, v50
	v_lshl_add_u32 v38, v38, 23, v53
	v_or3_b32 v53, v50, v38, v40
.LBB568_183:
	s_or_b64 exec, exec, s[10:11]
.LBB568_184:
	s_or_b64 exec, exec, s[8:9]
.LBB568_185:
	s_or_b64 exec, exec, s[2:3]
	v_lshrrev_b16_e32 v38, 8, v41
	v_cmp_ne_u16_e32 vcc, 0, v38
	v_mov_b32_e32 v40, 0
	v_mov_b32_e32 v55, 0
	s_and_saveexec_b64 s[2:3], vcc
	s_cbranch_execz .LBB568_191
; %bb.186:
	s_movk_i32 s8, 0x80
	v_cmp_ne_u16_e32 vcc, s8, v38
	v_bfrev_b32_e32 v55, 1
	s_and_saveexec_b64 s[8:9], vcc
	s_cbranch_execz .LBB568_190
; %bb.187:
	s_movk_i32 s10, 0x7f
	v_and_b32_e32 v50, 0x7f, v38
	v_cmp_ne_u32_e32 vcc, s10, v50
	v_mov_b32_e32 v55, 0x7f800001
	s_and_saveexec_b64 s[10:11], vcc
	s_cbranch_execz .LBB568_189
; %bb.188:
	v_and_b32_e32 v55, 7, v38
	v_ffbh_u32_e32 v56, v55
	v_min_u32_e32 v59, 32, v56
	v_subrev_u32_e32 v56, 28, v59
	v_lshlrev_b64 v[56:57], v56, v[38:39]
	v_lshrrev_b32_e32 v58, 3, v50
	v_sub_u32_e32 v38, 29, v59
	v_and_b32_e32 v56, 7, v56
	v_cmp_gt_u32_e32 vcc, 8, v50
	v_cndmask_b32_e32 v38, v58, v38, vcc
	v_cndmask_b32_e32 v50, v55, v56, vcc
	v_lshlrev_b32_e32 v55, 16, v41
	v_bfrev_b32_e32 v56, 60
	v_lshlrev_b32_e32 v50, 20, v50
	v_and_b32_e32 v55, 0x80000000, v55
	v_lshl_add_u32 v38, v38, 23, v56
	v_or3_b32 v55, v55, v38, v50
.LBB568_189:
	s_or_b64 exec, exec, s[10:11]
.LBB568_190:
	s_or_b64 exec, exec, s[8:9]
.LBB568_191:
	s_or_b64 exec, exec, s[2:3]
	s_movk_i32 s2, 0xff
	v_and_b32_sdwa v50, v41, s2 dst_sel:DWORD dst_unused:UNUSED_PAD src0_sel:WORD_1 src1_sel:DWORD
	v_lshrrev_b32_e32 v38, 16, v41
	v_cmp_ne_u16_e32 vcc, 0, v50
	s_and_saveexec_b64 s[2:3], vcc
	s_cbranch_execz .LBB568_197
; %bb.192:
	s_movk_i32 s8, 0x80
	v_cmp_ne_u16_e32 vcc, s8, v50
	v_bfrev_b32_e32 v40, 1
	s_and_saveexec_b64 s[8:9], vcc
	s_cbranch_execz .LBB568_196
; %bb.193:
	v_bfe_u32 v50, v41, 16, 7
	s_movk_i32 s10, 0x7f
	v_cmp_ne_u32_e32 vcc, s10, v50
	v_mov_b32_e32 v40, 0x7f800001
	s_and_saveexec_b64 s[10:11], vcc
	s_cbranch_execz .LBB568_195
; %bb.194:
	v_and_b32_e32 v40, 7, v38
	v_ffbh_u32_e32 v56, v40
	v_min_u32_e32 v59, 32, v56
	v_subrev_u32_e32 v56, 28, v59
	v_lshlrev_b64 v[56:57], v56, v[38:39]
	v_lshrrev_b32_e32 v58, 3, v50
	v_sub_u32_e32 v38, 29, v59
	v_and_b32_e32 v56, 7, v56
	v_cmp_gt_u32_e32 vcc, 8, v50
	v_mov_b32_e32 v50, 24
	v_cndmask_b32_e32 v38, v58, v38, vcc
	v_cndmask_b32_e32 v40, v40, v56, vcc
	v_lshlrev_b32_sdwa v50, v50, v41 dst_sel:DWORD dst_unused:UNUSED_PAD src0_sel:DWORD src1_sel:WORD_1
	v_bfrev_b32_e32 v56, 60
	v_lshlrev_b32_e32 v40, 20, v40
	v_and_b32_e32 v50, 0x80000000, v50
	v_lshl_add_u32 v38, v38, 23, v56
	v_or3_b32 v40, v50, v38, v40
.LBB568_195:
	s_or_b64 exec, exec, s[10:11]
.LBB568_196:
	s_or_b64 exec, exec, s[8:9]
.LBB568_197:
	s_or_b64 exec, exec, s[2:3]
	s_mov_b32 s2, 0xffffff
	v_cmp_lt_u32_e32 vcc, s2, v41
	v_mov_b32_e32 v50, 0
	v_mov_b32_e32 v56, 0
	s_and_saveexec_b64 s[2:3], vcc
	s_cbranch_execz .LBB568_203
; %bb.198:
	v_lshrrev_b32_e32 v38, 24, v41
	s_movk_i32 s8, 0x80
	v_cmp_ne_u32_e32 vcc, s8, v38
	v_bfrev_b32_e32 v56, 1
	s_and_saveexec_b64 s[8:9], vcc
	s_cbranch_execz .LBB568_202
; %bb.199:
	v_bfe_u32 v41, v41, 24, 7
	s_movk_i32 s10, 0x7f
	v_cmp_ne_u32_e32 vcc, s10, v41
	v_mov_b32_e32 v56, 0x7f800001
	s_and_saveexec_b64 s[10:11], vcc
	s_cbranch_execz .LBB568_201
; %bb.200:
	v_and_b32_e32 v58, 7, v38
	v_ffbh_u32_e32 v56, v58
	v_min_u32_e32 v60, 32, v56
	v_subrev_u32_e32 v56, 28, v60
	v_lshlrev_b64 v[56:57], v56, v[38:39]
	v_lshrrev_b32_e32 v59, 3, v41
	v_sub_u32_e32 v57, 29, v60
	v_and_b32_e32 v56, 7, v56
	v_cmp_gt_u32_e32 vcc, 8, v41
	v_cndmask_b32_e32 v41, v59, v57, vcc
	v_cndmask_b32_e32 v56, v58, v56, vcc
	v_lshlrev_b32_e32 v38, 24, v38
	v_bfrev_b32_e32 v57, 60
	v_lshlrev_b32_e32 v56, 20, v56
	v_and_b32_e32 v38, 0x80000000, v38
	v_lshl_add_u32 v41, v41, 23, v57
	v_or3_b32 v56, v38, v41, v56
.LBB568_201:
	s_or_b64 exec, exec, s[10:11]
.LBB568_202:
	s_or_b64 exec, exec, s[8:9]
.LBB568_203:
	s_or_b64 exec, exec, s[2:3]
	v_cvt_pkrtz_f16_f32 v38, v51, v52
	v_cvt_pkrtz_f16_f32 v39, v39, v54
	s_waitcnt vmcnt(5)
	v_cmp_ne_u16_sdwa s[8:9], v34, v50 src0_sel:BYTE_0 src1_sel:DWORD
	v_mfma_f32_16x16x16f16 v[42:45], v[38:39], v[18:19], v[42:45]
	v_cvt_pkrtz_f16_f32 v38, v53, v55
	v_cvt_pkrtz_f16_f32 v39, v40, v56
	s_nop 1
	v_mfma_f32_16x16x16f16 v[38:41], v[38:39], v[20:21], v[42:45]
	s_and_saveexec_b64 s[2:3], s[8:9]
	s_cbranch_execz .LBB568_209
; %bb.204:
	s_movk_i32 s8, 0x80
	v_cmp_ne_u16_sdwa s[10:11], v34, s8 src0_sel:BYTE_0 src1_sel:DWORD
	v_bfrev_b32_e32 v50, 1
	s_and_saveexec_b64 s[8:9], s[10:11]
	s_cbranch_execz .LBB568_208
; %bb.205:
	s_movk_i32 s10, 0x7f
	v_and_b32_e32 v42, 0x7f, v34
	v_cmp_ne_u32_e32 vcc, s10, v42
	v_mov_b32_e32 v50, 0x7f800001
	s_and_saveexec_b64 s[10:11], vcc
	s_cbranch_execz .LBB568_207
; %bb.206:
	v_and_b32_e32 v43, 7, v34
	v_ffbh_u32_e32 v44, v43
	v_min_u32_e32 v51, 32, v44
	v_subrev_u32_e32 v44, 28, v51
	v_lshlrev_b64 v[44:45], v44, v[34:35]
	v_lshrrev_b32_e32 v50, 3, v42
	v_sub_u32_e32 v45, 29, v51
	v_and_b32_e32 v44, 7, v44
	v_cmp_gt_u32_e32 vcc, 8, v42
	v_cndmask_b32_e32 v42, v50, v45, vcc
	v_cndmask_b32_e32 v43, v43, v44, vcc
	v_lshlrev_b32_e32 v44, 24, v34
	v_bfrev_b32_e32 v45, 60
	v_lshlrev_b32_e32 v43, 20, v43
	v_and_b32_e32 v44, 0x80000000, v44
	v_lshl_add_u32 v42, v42, 23, v45
	v_or3_b32 v50, v44, v42, v43
.LBB568_207:
	s_or_b64 exec, exec, s[10:11]
.LBB568_208:
	s_or_b64 exec, exec, s[8:9]
.LBB568_209:
	s_or_b64 exec, exec, s[2:3]
	s_nop 3
	v_lshrrev_b16_e32 v42, 8, v34
	v_cmp_ne_u16_e32 vcc, 0, v42
	v_mov_b32_e32 v43, 0
	v_mov_b32_e32 v44, 0
	s_and_saveexec_b64 s[2:3], vcc
	s_cbranch_execz .LBB568_215
; %bb.210:
	s_movk_i32 s8, 0x80
	v_cmp_ne_u16_e32 vcc, s8, v42
	v_bfrev_b32_e32 v44, 1
	s_and_saveexec_b64 s[8:9], vcc
	s_cbranch_execz .LBB568_214
; %bb.211:
	s_movk_i32 s10, 0x7f
	v_and_b32_e32 v45, 0x7f, v42
	v_cmp_ne_u32_e32 vcc, s10, v45
	v_mov_b32_e32 v44, 0x7f800001
	s_and_saveexec_b64 s[10:11], vcc
	s_cbranch_execz .LBB568_213
; %bb.212:
	v_and_b32_e32 v44, 7, v42
	v_ffbh_u32_e32 v52, v44
	v_min_u32_e32 v54, 32, v52
	v_subrev_u32_e32 v52, 28, v54
	v_lshlrev_b64 v[52:53], v52, v[42:43]
	v_lshrrev_b32_e32 v51, 3, v45
	v_sub_u32_e32 v42, 29, v54
	v_and_b32_e32 v52, 7, v52
	v_cmp_gt_u32_e32 vcc, 8, v45
	v_cndmask_b32_e32 v42, v51, v42, vcc
	v_cndmask_b32_e32 v44, v44, v52, vcc
	v_lshlrev_b32_e32 v45, 16, v34
	v_bfrev_b32_e32 v51, 60
	v_lshlrev_b32_e32 v44, 20, v44
	v_and_b32_e32 v45, 0x80000000, v45
	v_lshl_add_u32 v42, v42, 23, v51
	v_or3_b32 v44, v45, v42, v44
.LBB568_213:
	s_or_b64 exec, exec, s[10:11]
.LBB568_214:
	s_or_b64 exec, exec, s[8:9]
.LBB568_215:
	s_or_b64 exec, exec, s[2:3]
	s_movk_i32 s2, 0xff
	v_and_b32_sdwa v45, v34, s2 dst_sel:DWORD dst_unused:UNUSED_PAD src0_sel:WORD_1 src1_sel:DWORD
	v_lshrrev_b32_e32 v42, 16, v34
	v_cmp_ne_u16_e32 vcc, 0, v45
	s_and_saveexec_b64 s[2:3], vcc
	s_cbranch_execz .LBB568_221
; %bb.216:
	s_movk_i32 s8, 0x80
	v_cmp_ne_u16_e32 vcc, s8, v45
	v_bfrev_b32_e32 v43, 1
	s_and_saveexec_b64 s[8:9], vcc
	s_cbranch_execz .LBB568_220
; %bb.217:
	v_bfe_u32 v45, v34, 16, 7
	s_movk_i32 s10, 0x7f
	v_cmp_ne_u32_e32 vcc, s10, v45
	v_mov_b32_e32 v43, 0x7f800001
	s_and_saveexec_b64 s[10:11], vcc
	s_cbranch_execz .LBB568_219
; %bb.218:
	v_and_b32_e32 v51, 7, v42
	v_ffbh_u32_e32 v43, v51
	v_min_u32_e32 v53, 32, v43
	v_subrev_u32_e32 v43, 28, v53
	v_lshlrev_b64 v[42:43], v43, v[42:43]
	v_lshrrev_b32_e32 v52, 3, v45
	v_sub_u32_e32 v43, 29, v53
	v_and_b32_e32 v42, 7, v42
	v_cmp_gt_u32_e32 vcc, 8, v45
	v_mov_b32_e32 v45, 24
	v_cndmask_b32_e32 v43, v52, v43, vcc
	v_cndmask_b32_e32 v42, v51, v42, vcc
	v_lshlrev_b32_sdwa v45, v45, v34 dst_sel:DWORD dst_unused:UNUSED_PAD src0_sel:DWORD src1_sel:WORD_1
	v_bfrev_b32_e32 v51, 60
	v_lshlrev_b32_e32 v42, 20, v42
	v_and_b32_e32 v45, 0x80000000, v45
	v_lshl_add_u32 v43, v43, 23, v51
	v_or3_b32 v43, v45, v43, v42
.LBB568_219:
	s_or_b64 exec, exec, s[10:11]
.LBB568_220:
	s_or_b64 exec, exec, s[8:9]
.LBB568_221:
	s_or_b64 exec, exec, s[2:3]
	s_mov_b32 s2, 0xffffff
	v_cmp_lt_u32_e32 vcc, s2, v34
	v_mov_b32_e32 v45, 0
	v_mov_b32_e32 v52, 0
	s_and_saveexec_b64 s[2:3], vcc
	s_cbranch_execz .LBB568_227
; %bb.222:
	v_lshrrev_b32_e32 v42, 24, v34
	s_movk_i32 s8, 0x80
	v_cmp_ne_u32_e32 vcc, s8, v42
	v_bfrev_b32_e32 v52, 1
	s_and_saveexec_b64 s[8:9], vcc
	s_cbranch_execz .LBB568_226
; %bb.223:
	v_bfe_u32 v34, v34, 24, 7
	s_movk_i32 s10, 0x7f
	v_cmp_ne_u32_e32 vcc, s10, v34
	v_mov_b32_e32 v52, 0x7f800001
	s_and_saveexec_b64 s[10:11], vcc
	s_cbranch_execz .LBB568_225
; %bb.224:
	v_and_b32_e32 v51, 7, v42
	v_ffbh_u32_e32 v52, v51
	v_min_u32_e32 v55, 32, v52
	v_subrev_u32_e32 v52, 28, v55
	v_lshlrev_b64 v[52:53], v52, v[42:43]
	v_lshrrev_b32_e32 v54, 3, v34
	v_sub_u32_e32 v53, 29, v55
	v_and_b32_e32 v52, 7, v52
	v_cmp_gt_u32_e32 vcc, 8, v34
	v_cndmask_b32_e32 v34, v54, v53, vcc
	v_cndmask_b32_e32 v51, v51, v52, vcc
	v_lshlrev_b32_e32 v42, 24, v42
	v_bfrev_b32_e32 v52, 60
	v_lshlrev_b32_e32 v51, 20, v51
	v_and_b32_e32 v42, 0x80000000, v42
	v_lshl_add_u32 v34, v34, 23, v52
	v_or3_b32 v52, v42, v34, v51
.LBB568_225:
	s_or_b64 exec, exec, s[10:11]
.LBB568_226:
	s_or_b64 exec, exec, s[8:9]
.LBB568_227:
	s_or_b64 exec, exec, s[2:3]
	v_cmp_ne_u16_sdwa s[8:9], v35, v45 src0_sel:BYTE_0 src1_sel:DWORD
	s_and_saveexec_b64 s[2:3], s[8:9]
	s_cbranch_execz .LBB568_233
; %bb.228:
	s_movk_i32 s8, 0x80
	v_cmp_ne_u16_sdwa s[10:11], v35, s8 src0_sel:BYTE_0 src1_sel:DWORD
	v_bfrev_b32_e32 v45, 1
	s_and_saveexec_b64 s[8:9], s[10:11]
	s_cbranch_execz .LBB568_232
; %bb.229:
	s_movk_i32 s10, 0x7f
	v_and_b32_e32 v34, 0x7f, v35
	v_cmp_ne_u32_e32 vcc, s10, v34
	v_mov_b32_e32 v45, 0x7f800001
	s_and_saveexec_b64 s[10:11], vcc
	s_cbranch_execz .LBB568_231
; %bb.230:
	v_and_b32_e32 v45, 7, v35
	v_ffbh_u32_e32 v53, v45
	v_min_u32_e32 v53, 32, v53
	v_mov_b32_e32 v42, v35
	v_subrev_u32_e32 v54, 28, v53
	v_lshlrev_b64 v[54:55], v54, v[42:43]
	v_lshrrev_b32_e32 v51, 3, v34
	v_sub_u32_e32 v42, 29, v53
	v_and_b32_e32 v53, 7, v54
	v_cmp_gt_u32_e32 vcc, 8, v34
	v_cndmask_b32_e32 v34, v51, v42, vcc
	v_cndmask_b32_e32 v42, v45, v53, vcc
	v_lshlrev_b32_e32 v45, 24, v35
	v_bfrev_b32_e32 v51, 60
	v_lshlrev_b32_e32 v42, 20, v42
	v_and_b32_e32 v45, 0x80000000, v45
	v_lshl_add_u32 v34, v34, 23, v51
	v_or3_b32 v45, v45, v34, v42
.LBB568_231:
	s_or_b64 exec, exec, s[10:11]
.LBB568_232:
	s_or_b64 exec, exec, s[8:9]
.LBB568_233:
	s_or_b64 exec, exec, s[2:3]
	v_lshrrev_b16_e32 v34, 8, v35
	v_cmp_ne_u16_e32 vcc, 0, v34
	v_mov_b32_e32 v42, 0
	v_mov_b32_e32 v53, 0
	s_and_saveexec_b64 s[2:3], vcc
	s_cbranch_execz .LBB568_239
; %bb.234:
	s_movk_i32 s8, 0x80
	v_cmp_ne_u16_e32 vcc, s8, v34
	v_bfrev_b32_e32 v53, 1
	s_and_saveexec_b64 s[8:9], vcc
	s_cbranch_execz .LBB568_238
; %bb.235:
	s_movk_i32 s10, 0x7f
	v_and_b32_e32 v51, 0x7f, v34
	v_cmp_ne_u32_e32 vcc, s10, v51
	v_mov_b32_e32 v53, 0x7f800001
	s_and_saveexec_b64 s[10:11], vcc
	s_cbranch_execz .LBB568_237
; %bb.236:
	v_and_b32_e32 v53, 7, v34
	v_ffbh_u32_e32 v54, v53
	v_min_u32_e32 v57, 32, v54
	v_subrev_u32_e32 v54, 28, v57
	v_lshlrev_b64 v[54:55], v54, v[34:35]
	v_lshrrev_b32_e32 v56, 3, v51
	v_sub_u32_e32 v34, 29, v57
	v_and_b32_e32 v54, 7, v54
	v_cmp_gt_u32_e32 vcc, 8, v51
	v_cndmask_b32_e32 v34, v56, v34, vcc
	v_cndmask_b32_e32 v51, v53, v54, vcc
	v_lshlrev_b32_e32 v53, 16, v35
	v_bfrev_b32_e32 v54, 60
	v_lshlrev_b32_e32 v51, 20, v51
	v_and_b32_e32 v53, 0x80000000, v53
	v_lshl_add_u32 v34, v34, 23, v54
	v_or3_b32 v53, v53, v34, v51
.LBB568_237:
	s_or_b64 exec, exec, s[10:11]
.LBB568_238:
	s_or_b64 exec, exec, s[8:9]
.LBB568_239:
	s_or_b64 exec, exec, s[2:3]
	s_movk_i32 s2, 0xff
	v_and_b32_sdwa v51, v35, s2 dst_sel:DWORD dst_unused:UNUSED_PAD src0_sel:WORD_1 src1_sel:DWORD
	v_lshrrev_b32_e32 v34, 16, v35
	v_cmp_ne_u16_e32 vcc, 0, v51
	s_and_saveexec_b64 s[2:3], vcc
	s_cbranch_execz .LBB568_245
; %bb.240:
	s_movk_i32 s8, 0x80
	v_cmp_ne_u16_e32 vcc, s8, v51
	v_bfrev_b32_e32 v42, 1
	s_and_saveexec_b64 s[8:9], vcc
	s_cbranch_execz .LBB568_244
; %bb.241:
	v_bfe_u32 v51, v35, 16, 7
	s_movk_i32 s10, 0x7f
	v_cmp_ne_u32_e32 vcc, s10, v51
	v_mov_b32_e32 v42, 0x7f800001
	s_and_saveexec_b64 s[10:11], vcc
	s_cbranch_execz .LBB568_243
; %bb.242:
	v_and_b32_e32 v42, 7, v34
	v_ffbh_u32_e32 v54, v42
	v_min_u32_e32 v57, 32, v54
	v_subrev_u32_e32 v54, 28, v57
	v_lshlrev_b64 v[54:55], v54, v[34:35]
	v_lshrrev_b32_e32 v56, 3, v51
	v_sub_u32_e32 v34, 29, v57
	v_and_b32_e32 v54, 7, v54
	v_cmp_gt_u32_e32 vcc, 8, v51
	v_mov_b32_e32 v51, 24
	v_cndmask_b32_e32 v34, v56, v34, vcc
	v_cndmask_b32_e32 v42, v42, v54, vcc
	v_lshlrev_b32_sdwa v51, v51, v35 dst_sel:DWORD dst_unused:UNUSED_PAD src0_sel:DWORD src1_sel:WORD_1
	v_bfrev_b32_e32 v54, 60
	v_lshlrev_b32_e32 v42, 20, v42
	v_and_b32_e32 v51, 0x80000000, v51
	v_lshl_add_u32 v34, v34, 23, v54
	v_or3_b32 v42, v51, v34, v42
.LBB568_243:
	s_or_b64 exec, exec, s[10:11]
.LBB568_244:
	s_or_b64 exec, exec, s[8:9]
.LBB568_245:
	s_or_b64 exec, exec, s[2:3]
	s_mov_b32 s2, 0xffffff
	v_cmp_lt_u32_e32 vcc, s2, v35
	v_mov_b32_e32 v51, 0
	v_mov_b32_e32 v54, 0
	s_and_saveexec_b64 s[2:3], vcc
	s_cbranch_execz .LBB568_251
; %bb.246:
	v_lshrrev_b32_e32 v34, 24, v35
	s_movk_i32 s8, 0x80
	v_cmp_ne_u32_e32 vcc, s8, v34
	v_bfrev_b32_e32 v54, 1
	s_and_saveexec_b64 s[8:9], vcc
	s_cbranch_execz .LBB568_250
; %bb.247:
	v_bfe_u32 v35, v35, 24, 7
	s_movk_i32 s10, 0x7f
	v_cmp_ne_u32_e32 vcc, s10, v35
	v_mov_b32_e32 v54, 0x7f800001
	s_and_saveexec_b64 s[10:11], vcc
	s_cbranch_execz .LBB568_249
; %bb.248:
	v_and_b32_e32 v56, 7, v34
	v_ffbh_u32_e32 v54, v56
	v_min_u32_e32 v58, 32, v54
	v_subrev_u32_e32 v54, 28, v58
	v_lshlrev_b64 v[54:55], v54, v[34:35]
	v_lshrrev_b32_e32 v57, 3, v35
	v_sub_u32_e32 v55, 29, v58
	v_and_b32_e32 v54, 7, v54
	v_cmp_gt_u32_e32 vcc, 8, v35
	v_cndmask_b32_e32 v35, v57, v55, vcc
	v_cndmask_b32_e32 v54, v56, v54, vcc
	v_lshlrev_b32_e32 v34, 24, v34
	v_bfrev_b32_e32 v55, 60
	v_lshlrev_b32_e32 v54, 20, v54
	v_and_b32_e32 v34, 0x80000000, v34
	v_lshl_add_u32 v35, v35, 23, v55
	v_or3_b32 v54, v34, v35, v54
.LBB568_249:
	s_or_b64 exec, exec, s[10:11]
.LBB568_250:
	s_or_b64 exec, exec, s[8:9]
.LBB568_251:
	s_or_b64 exec, exec, s[2:3]
	v_cvt_pkrtz_f16_f32 v34, v50, v44
	v_cvt_pkrtz_f16_f32 v35, v43, v52
	v_cmp_ne_u16_sdwa s[8:9], v36, v51 src0_sel:BYTE_0 src1_sel:DWORD
	s_nop 0
	v_mfma_f32_16x16x16f16 v[56:59], v[34:35], v[26:27], 0
	v_cvt_pkrtz_f16_f32 v34, v45, v53
	v_cvt_pkrtz_f16_f32 v35, v42, v54
	s_nop 1
	v_mfma_f32_16x16x16f16 v[42:45], v[34:35], v[28:29], v[56:59]
	s_and_saveexec_b64 s[2:3], s[8:9]
	s_cbranch_execz .LBB568_257
; %bb.252:
	s_movk_i32 s8, 0x80
	v_cmp_ne_u16_sdwa s[10:11], v36, s8 src0_sel:BYTE_0 src1_sel:DWORD
	v_bfrev_b32_e32 v51, 1
	s_and_saveexec_b64 s[8:9], s[10:11]
	s_cbranch_execz .LBB568_256
; %bb.253:
	s_movk_i32 s10, 0x7f
	v_and_b32_e32 v34, 0x7f, v36
	v_cmp_ne_u32_e32 vcc, s10, v34
	v_mov_b32_e32 v51, 0x7f800001
	s_and_saveexec_b64 s[10:11], vcc
	s_cbranch_execz .LBB568_255
; %bb.254:
	v_and_b32_e32 v35, 7, v36
	v_ffbh_u32_e32 v50, v35
	v_min_u32_e32 v53, 32, v50
	v_subrev_u32_e32 v50, 28, v53
	v_lshlrev_b64 v[50:51], v50, v[36:37]
	v_lshrrev_b32_e32 v52, 3, v34
	v_sub_u32_e32 v51, 29, v53
	v_and_b32_e32 v50, 7, v50
	v_cmp_gt_u32_e32 vcc, 8, v34
	v_cndmask_b32_e32 v34, v52, v51, vcc
	v_cndmask_b32_e32 v35, v35, v50, vcc
	v_lshlrev_b32_e32 v50, 24, v36
	v_bfrev_b32_e32 v51, 60
	v_lshlrev_b32_e32 v35, 20, v35
	v_and_b32_e32 v50, 0x80000000, v50
	v_lshl_add_u32 v34, v34, 23, v51
	v_or3_b32 v51, v50, v34, v35
.LBB568_255:
	s_or_b64 exec, exec, s[10:11]
.LBB568_256:
	s_or_b64 exec, exec, s[8:9]
.LBB568_257:
	s_or_b64 exec, exec, s[2:3]
	v_lshrrev_b16_e32 v34, 8, v36
	v_cmp_ne_u16_e32 vcc, 0, v34
	v_mov_b32_e32 v35, 0
	v_mov_b32_e32 v52, 0
	s_and_saveexec_b64 s[2:3], vcc
	s_cbranch_execz .LBB568_263
; %bb.258:
	s_movk_i32 s8, 0x80
	v_cmp_ne_u16_e32 vcc, s8, v34
	v_bfrev_b32_e32 v52, 1
	s_and_saveexec_b64 s[8:9], vcc
	s_cbranch_execz .LBB568_262
; %bb.259:
	s_movk_i32 s10, 0x7f
	v_and_b32_e32 v50, 0x7f, v34
	v_cmp_ne_u32_e32 vcc, s10, v50
	v_mov_b32_e32 v52, 0x7f800001
	s_and_saveexec_b64 s[10:11], vcc
	s_cbranch_execz .LBB568_261
; %bb.260:
	v_and_b32_e32 v54, 7, v34
	v_ffbh_u32_e32 v52, v54
	v_min_u32_e32 v56, 32, v52
	v_subrev_u32_e32 v52, 28, v56
	v_lshlrev_b64 v[52:53], v52, v[34:35]
	v_lshrrev_b32_e32 v55, 3, v50
	v_sub_u32_e32 v34, 29, v56
	v_and_b32_e32 v52, 7, v52
	v_cmp_gt_u32_e32 vcc, 8, v50
	v_cndmask_b32_e32 v34, v55, v34, vcc
	v_cndmask_b32_e32 v50, v54, v52, vcc
	v_lshlrev_b32_e32 v52, 16, v36
	v_bfrev_b32_e32 v53, 60
	v_lshlrev_b32_e32 v50, 20, v50
	v_and_b32_e32 v52, 0x80000000, v52
	v_lshl_add_u32 v34, v34, 23, v53
	v_or3_b32 v52, v52, v34, v50
.LBB568_261:
	s_or_b64 exec, exec, s[10:11]
.LBB568_262:
	s_or_b64 exec, exec, s[8:9]
.LBB568_263:
	s_or_b64 exec, exec, s[2:3]
	s_movk_i32 s2, 0xff
	v_and_b32_sdwa v50, v36, s2 dst_sel:DWORD dst_unused:UNUSED_PAD src0_sel:WORD_1 src1_sel:DWORD
	v_lshrrev_b32_e32 v34, 16, v36
	v_cmp_ne_u16_e32 vcc, 0, v50
	s_and_saveexec_b64 s[2:3], vcc
	s_cbranch_execz .LBB568_269
; %bb.264:
	s_movk_i32 s8, 0x80
	v_cmp_ne_u16_e32 vcc, s8, v50
	v_bfrev_b32_e32 v35, 1
	s_and_saveexec_b64 s[8:9], vcc
	s_cbranch_execz .LBB568_268
; %bb.265:
	v_bfe_u32 v50, v36, 16, 7
	s_movk_i32 s10, 0x7f
	v_cmp_ne_u32_e32 vcc, s10, v50
	v_mov_b32_e32 v35, 0x7f800001
	s_and_saveexec_b64 s[10:11], vcc
	s_cbranch_execz .LBB568_267
; %bb.266:
	v_and_b32_e32 v53, 7, v34
	v_ffbh_u32_e32 v35, v53
	v_min_u32_e32 v55, 32, v35
	v_subrev_u32_e32 v35, 28, v55
	v_lshlrev_b64 v[34:35], v35, v[34:35]
	v_lshrrev_b32_e32 v54, 3, v50
	v_sub_u32_e32 v35, 29, v55
	v_and_b32_e32 v34, 7, v34
	v_cmp_gt_u32_e32 vcc, 8, v50
	v_mov_b32_e32 v50, 24
	v_cndmask_b32_e32 v35, v54, v35, vcc
	v_cndmask_b32_e32 v34, v53, v34, vcc
	v_lshlrev_b32_sdwa v50, v50, v36 dst_sel:DWORD dst_unused:UNUSED_PAD src0_sel:DWORD src1_sel:WORD_1
	v_bfrev_b32_e32 v53, 60
	v_lshlrev_b32_e32 v34, 20, v34
	v_and_b32_e32 v50, 0x80000000, v50
	v_lshl_add_u32 v35, v35, 23, v53
	v_or3_b32 v35, v50, v35, v34
.LBB568_267:
	s_or_b64 exec, exec, s[10:11]
.LBB568_268:
	s_or_b64 exec, exec, s[8:9]
.LBB568_269:
	s_or_b64 exec, exec, s[2:3]
	s_mov_b32 s2, 0xffffff
	v_cmp_lt_u32_e32 vcc, s2, v36
	v_mov_b32_e32 v53, 0
	v_mov_b32_e32 v54, 0
	s_and_saveexec_b64 s[2:3], vcc
	s_cbranch_execz .LBB568_275
; %bb.270:
	v_lshrrev_b32_e32 v34, 24, v36
	s_movk_i32 s8, 0x80
	v_cmp_ne_u32_e32 vcc, s8, v34
	v_bfrev_b32_e32 v54, 1
	s_and_saveexec_b64 s[8:9], vcc
	s_cbranch_execz .LBB568_274
; %bb.271:
	v_bfe_u32 v36, v36, 24, 7
	s_movk_i32 s10, 0x7f
	v_cmp_ne_u32_e32 vcc, s10, v36
	v_mov_b32_e32 v54, 0x7f800001
	s_and_saveexec_b64 s[10:11], vcc
	s_cbranch_execz .LBB568_273
; %bb.272:
	v_and_b32_e32 v50, 7, v34
	v_ffbh_u32_e32 v54, v50
	v_min_u32_e32 v57, 32, v54
	v_subrev_u32_e32 v54, 28, v57
	v_lshlrev_b64 v[54:55], v54, v[34:35]
	v_lshrrev_b32_e32 v56, 3, v36
	v_sub_u32_e32 v55, 29, v57
	v_and_b32_e32 v54, 7, v54
	v_cmp_gt_u32_e32 vcc, 8, v36
	v_cndmask_b32_e32 v36, v56, v55, vcc
	v_cndmask_b32_e32 v50, v50, v54, vcc
	v_lshlrev_b32_e32 v34, 24, v34
	v_bfrev_b32_e32 v54, 60
	v_lshlrev_b32_e32 v50, 20, v50
	v_and_b32_e32 v34, 0x80000000, v34
	v_lshl_add_u32 v36, v36, 23, v54
	v_or3_b32 v54, v34, v36, v50
.LBB568_273:
	s_or_b64 exec, exec, s[10:11]
.LBB568_274:
	s_or_b64 exec, exec, s[8:9]
.LBB568_275:
	s_or_b64 exec, exec, s[2:3]
	v_cmp_ne_u16_sdwa s[8:9], v37, v53 src0_sel:BYTE_0 src1_sel:DWORD
	s_and_saveexec_b64 s[2:3], s[8:9]
	s_cbranch_execz .LBB568_281
; %bb.276:
	s_movk_i32 s8, 0x80
	v_cmp_ne_u16_sdwa s[10:11], v37, s8 src0_sel:BYTE_0 src1_sel:DWORD
	v_bfrev_b32_e32 v53, 1
	s_and_saveexec_b64 s[8:9], s[10:11]
	s_cbranch_execz .LBB568_280
; %bb.277:
	s_movk_i32 s10, 0x7f
	v_and_b32_e32 v34, 0x7f, v37
	v_cmp_ne_u32_e32 vcc, s10, v34
	v_mov_b32_e32 v53, 0x7f800001
	s_and_saveexec_b64 s[10:11], vcc
	s_cbranch_execz .LBB568_279
; %bb.278:
	v_and_b32_e32 v50, 7, v37
	v_ffbh_u32_e32 v55, v50
	v_min_u32_e32 v55, 32, v55
	v_mov_b32_e32 v36, v37
	v_subrev_u32_e32 v56, 28, v55
	v_lshlrev_b64 v[56:57], v56, v[36:37]
	v_lshrrev_b32_e32 v53, 3, v34
	v_sub_u32_e32 v36, 29, v55
	v_and_b32_e32 v55, 7, v56
	v_cmp_gt_u32_e32 vcc, 8, v34
	v_cndmask_b32_e32 v34, v53, v36, vcc
	v_cndmask_b32_e32 v36, v50, v55, vcc
	v_lshlrev_b32_e32 v50, 24, v37
	v_bfrev_b32_e32 v53, 60
	v_lshlrev_b32_e32 v36, 20, v36
	v_and_b32_e32 v50, 0x80000000, v50
	v_lshl_add_u32 v34, v34, 23, v53
	v_or3_b32 v53, v50, v34, v36
.LBB568_279:
	s_or_b64 exec, exec, s[10:11]
.LBB568_280:
	s_or_b64 exec, exec, s[8:9]
.LBB568_281:
	s_or_b64 exec, exec, s[2:3]
	v_lshrrev_b16_e32 v34, 8, v37
	v_cmp_ne_u16_e32 vcc, 0, v34
	v_mov_b32_e32 v36, 0
	v_mov_b32_e32 v55, 0
	s_and_saveexec_b64 s[2:3], vcc
	s_cbranch_execz .LBB568_287
; %bb.282:
	s_movk_i32 s8, 0x80
	v_cmp_ne_u16_e32 vcc, s8, v34
	v_bfrev_b32_e32 v55, 1
	s_and_saveexec_b64 s[8:9], vcc
	s_cbranch_execz .LBB568_286
; %bb.283:
	s_movk_i32 s10, 0x7f
	v_and_b32_e32 v50, 0x7f, v34
	v_cmp_ne_u32_e32 vcc, s10, v50
	v_mov_b32_e32 v55, 0x7f800001
	s_and_saveexec_b64 s[10:11], vcc
	s_cbranch_execz .LBB568_285
; %bb.284:
	v_and_b32_e32 v55, 7, v34
	v_ffbh_u32_e32 v56, v55
	v_min_u32_e32 v59, 32, v56
	v_subrev_u32_e32 v56, 28, v59
	v_lshlrev_b64 v[56:57], v56, v[34:35]
	v_lshrrev_b32_e32 v58, 3, v50
	v_sub_u32_e32 v34, 29, v59
	v_and_b32_e32 v56, 7, v56
	v_cmp_gt_u32_e32 vcc, 8, v50
	v_cndmask_b32_e32 v34, v58, v34, vcc
	v_cndmask_b32_e32 v50, v55, v56, vcc
	v_lshlrev_b32_e32 v55, 16, v37
	v_bfrev_b32_e32 v56, 60
	v_lshlrev_b32_e32 v50, 20, v50
	v_and_b32_e32 v55, 0x80000000, v55
	v_lshl_add_u32 v34, v34, 23, v56
	v_or3_b32 v55, v55, v34, v50
.LBB568_285:
	s_or_b64 exec, exec, s[10:11]
.LBB568_286:
	s_or_b64 exec, exec, s[8:9]
.LBB568_287:
	s_or_b64 exec, exec, s[2:3]
	s_movk_i32 s2, 0xff
	v_and_b32_sdwa v50, v37, s2 dst_sel:DWORD dst_unused:UNUSED_PAD src0_sel:WORD_1 src1_sel:DWORD
	v_lshrrev_b32_e32 v34, 16, v37
	v_cmp_ne_u16_e32 vcc, 0, v50
	s_and_saveexec_b64 s[2:3], vcc
	s_cbranch_execz .LBB568_293
; %bb.288:
	s_movk_i32 s8, 0x80
	v_cmp_ne_u16_e32 vcc, s8, v50
	v_bfrev_b32_e32 v36, 1
	s_and_saveexec_b64 s[8:9], vcc
	s_cbranch_execz .LBB568_292
; %bb.289:
	v_bfe_u32 v50, v37, 16, 7
	s_movk_i32 s10, 0x7f
	v_cmp_ne_u32_e32 vcc, s10, v50
	v_mov_b32_e32 v36, 0x7f800001
	s_and_saveexec_b64 s[10:11], vcc
	s_cbranch_execz .LBB568_291
; %bb.290:
	v_and_b32_e32 v36, 7, v34
	v_ffbh_u32_e32 v56, v36
	v_min_u32_e32 v59, 32, v56
	v_subrev_u32_e32 v56, 28, v59
	v_lshlrev_b64 v[56:57], v56, v[34:35]
	v_lshrrev_b32_e32 v58, 3, v50
	v_sub_u32_e32 v34, 29, v59
	v_and_b32_e32 v56, 7, v56
	v_cmp_gt_u32_e32 vcc, 8, v50
	v_mov_b32_e32 v50, 24
	v_cndmask_b32_e32 v34, v58, v34, vcc
	v_cndmask_b32_e32 v36, v36, v56, vcc
	v_lshlrev_b32_sdwa v50, v50, v37 dst_sel:DWORD dst_unused:UNUSED_PAD src0_sel:DWORD src1_sel:WORD_1
	v_bfrev_b32_e32 v56, 60
	v_lshlrev_b32_e32 v36, 20, v36
	v_and_b32_e32 v50, 0x80000000, v50
	v_lshl_add_u32 v34, v34, 23, v56
	v_or3_b32 v36, v50, v34, v36
.LBB568_291:
	s_or_b64 exec, exec, s[10:11]
.LBB568_292:
	s_or_b64 exec, exec, s[8:9]
.LBB568_293:
	s_or_b64 exec, exec, s[2:3]
	s_mov_b32 s2, 0xffffff
	v_cmp_lt_u32_e32 vcc, s2, v37
	v_mov_b32_e32 v50, 0
	v_mov_b32_e32 v56, 0
	s_and_saveexec_b64 s[2:3], vcc
	s_cbranch_execz .LBB568_299
; %bb.294:
	v_lshrrev_b32_e32 v34, 24, v37
	s_movk_i32 s8, 0x80
	v_cmp_ne_u32_e32 vcc, s8, v34
	v_bfrev_b32_e32 v56, 1
	s_and_saveexec_b64 s[8:9], vcc
	s_cbranch_execz .LBB568_298
; %bb.295:
	v_bfe_u32 v37, v37, 24, 7
	s_movk_i32 s10, 0x7f
	v_cmp_ne_u32_e32 vcc, s10, v37
	v_mov_b32_e32 v56, 0x7f800001
	s_and_saveexec_b64 s[10:11], vcc
	s_cbranch_execz .LBB568_297
; %bb.296:
	v_and_b32_e32 v58, 7, v34
	v_ffbh_u32_e32 v56, v58
	v_min_u32_e32 v60, 32, v56
	v_subrev_u32_e32 v56, 28, v60
	v_lshlrev_b64 v[56:57], v56, v[34:35]
	v_lshrrev_b32_e32 v59, 3, v37
	v_sub_u32_e32 v57, 29, v60
	v_and_b32_e32 v56, 7, v56
	v_cmp_gt_u32_e32 vcc, 8, v37
	v_cndmask_b32_e32 v37, v59, v57, vcc
	v_cndmask_b32_e32 v56, v58, v56, vcc
	v_lshlrev_b32_e32 v34, 24, v34
	v_bfrev_b32_e32 v57, 60
	v_lshlrev_b32_e32 v56, 20, v56
	v_and_b32_e32 v34, 0x80000000, v34
	v_lshl_add_u32 v37, v37, 23, v57
	v_or3_b32 v56, v34, v37, v56
.LBB568_297:
	s_or_b64 exec, exec, s[10:11]
.LBB568_298:
	s_or_b64 exec, exec, s[8:9]
.LBB568_299:
	s_or_b64 exec, exec, s[2:3]
	v_cvt_pkrtz_f16_f32 v34, v51, v52
	v_cvt_pkrtz_f16_f32 v35, v35, v54
	s_waitcnt vmcnt(4)
	v_cmp_ne_u16_sdwa s[8:9], v22, v50 src0_sel:BYTE_0 src1_sel:DWORD
	v_mfma_f32_16x16x16f16 v[42:45], v[34:35], v[18:19], v[42:45]
	v_cvt_pkrtz_f16_f32 v34, v53, v55
	v_cvt_pkrtz_f16_f32 v35, v36, v56
	s_nop 1
	v_mfma_f32_16x16x16f16 v[34:37], v[34:35], v[20:21], v[42:45]
	s_and_saveexec_b64 s[2:3], s[8:9]
	s_cbranch_execz .LBB568_305
; %bb.300:
	s_movk_i32 s8, 0x80
	v_cmp_ne_u16_sdwa s[10:11], v22, s8 src0_sel:BYTE_0 src1_sel:DWORD
	v_bfrev_b32_e32 v50, 1
	s_and_saveexec_b64 s[8:9], s[10:11]
	s_cbranch_execz .LBB568_304
; %bb.301:
	s_movk_i32 s10, 0x7f
	v_and_b32_e32 v42, 0x7f, v22
	v_cmp_ne_u32_e32 vcc, s10, v42
	v_mov_b32_e32 v50, 0x7f800001
	s_and_saveexec_b64 s[10:11], vcc
	s_cbranch_execz .LBB568_303
; %bb.302:
	v_and_b32_e32 v43, 7, v22
	v_ffbh_u32_e32 v44, v43
	v_min_u32_e32 v51, 32, v44
	v_subrev_u32_e32 v44, 28, v51
	v_lshlrev_b64 v[44:45], v44, v[22:23]
	v_lshrrev_b32_e32 v50, 3, v42
	v_sub_u32_e32 v45, 29, v51
	v_and_b32_e32 v44, 7, v44
	v_cmp_gt_u32_e32 vcc, 8, v42
	v_cndmask_b32_e32 v42, v50, v45, vcc
	v_cndmask_b32_e32 v43, v43, v44, vcc
	v_lshlrev_b32_e32 v44, 24, v22
	v_bfrev_b32_e32 v45, 60
	v_lshlrev_b32_e32 v43, 20, v43
	v_and_b32_e32 v44, 0x80000000, v44
	v_lshl_add_u32 v42, v42, 23, v45
	v_or3_b32 v50, v44, v42, v43
.LBB568_303:
	s_or_b64 exec, exec, s[10:11]
.LBB568_304:
	s_or_b64 exec, exec, s[8:9]
.LBB568_305:
	s_or_b64 exec, exec, s[2:3]
	s_nop 3
	v_lshrrev_b16_e32 v42, 8, v22
	v_cmp_ne_u16_e32 vcc, 0, v42
	v_mov_b32_e32 v43, 0
	v_mov_b32_e32 v44, 0
	s_and_saveexec_b64 s[2:3], vcc
	s_cbranch_execz .LBB568_311
; %bb.306:
	s_movk_i32 s8, 0x80
	v_cmp_ne_u16_e32 vcc, s8, v42
	v_bfrev_b32_e32 v44, 1
	s_and_saveexec_b64 s[8:9], vcc
	s_cbranch_execz .LBB568_310
; %bb.307:
	s_movk_i32 s10, 0x7f
	v_and_b32_e32 v45, 0x7f, v42
	v_cmp_ne_u32_e32 vcc, s10, v45
	v_mov_b32_e32 v44, 0x7f800001
	s_and_saveexec_b64 s[10:11], vcc
	s_cbranch_execz .LBB568_309
; %bb.308:
	v_and_b32_e32 v44, 7, v42
	v_ffbh_u32_e32 v52, v44
	v_min_u32_e32 v54, 32, v52
	v_subrev_u32_e32 v52, 28, v54
	v_lshlrev_b64 v[52:53], v52, v[42:43]
	v_lshrrev_b32_e32 v51, 3, v45
	v_sub_u32_e32 v42, 29, v54
	v_and_b32_e32 v52, 7, v52
	v_cmp_gt_u32_e32 vcc, 8, v45
	v_cndmask_b32_e32 v42, v51, v42, vcc
	v_cndmask_b32_e32 v44, v44, v52, vcc
	v_lshlrev_b32_e32 v45, 16, v22
	v_bfrev_b32_e32 v51, 60
	v_lshlrev_b32_e32 v44, 20, v44
	v_and_b32_e32 v45, 0x80000000, v45
	v_lshl_add_u32 v42, v42, 23, v51
	v_or3_b32 v44, v45, v42, v44
.LBB568_309:
	s_or_b64 exec, exec, s[10:11]
.LBB568_310:
	s_or_b64 exec, exec, s[8:9]
.LBB568_311:
	s_or_b64 exec, exec, s[2:3]
	s_movk_i32 s2, 0xff
	v_and_b32_sdwa v45, v22, s2 dst_sel:DWORD dst_unused:UNUSED_PAD src0_sel:WORD_1 src1_sel:DWORD
	v_lshrrev_b32_e32 v42, 16, v22
	v_cmp_ne_u16_e32 vcc, 0, v45
	s_and_saveexec_b64 s[2:3], vcc
	s_cbranch_execz .LBB568_317
; %bb.312:
	s_movk_i32 s8, 0x80
	v_cmp_ne_u16_e32 vcc, s8, v45
	v_bfrev_b32_e32 v43, 1
	s_and_saveexec_b64 s[8:9], vcc
	s_cbranch_execz .LBB568_316
; %bb.313:
	v_bfe_u32 v45, v22, 16, 7
	s_movk_i32 s10, 0x7f
	v_cmp_ne_u32_e32 vcc, s10, v45
	v_mov_b32_e32 v43, 0x7f800001
	s_and_saveexec_b64 s[10:11], vcc
	s_cbranch_execz .LBB568_315
; %bb.314:
	v_and_b32_e32 v51, 7, v42
	v_ffbh_u32_e32 v43, v51
	v_min_u32_e32 v53, 32, v43
	v_subrev_u32_e32 v43, 28, v53
	v_lshlrev_b64 v[42:43], v43, v[42:43]
	v_lshrrev_b32_e32 v52, 3, v45
	v_sub_u32_e32 v43, 29, v53
	v_and_b32_e32 v42, 7, v42
	v_cmp_gt_u32_e32 vcc, 8, v45
	v_mov_b32_e32 v45, 24
	v_cndmask_b32_e32 v43, v52, v43, vcc
	v_cndmask_b32_e32 v42, v51, v42, vcc
	v_lshlrev_b32_sdwa v45, v45, v22 dst_sel:DWORD dst_unused:UNUSED_PAD src0_sel:DWORD src1_sel:WORD_1
	v_bfrev_b32_e32 v51, 60
	v_lshlrev_b32_e32 v42, 20, v42
	v_and_b32_e32 v45, 0x80000000, v45
	v_lshl_add_u32 v43, v43, 23, v51
	v_or3_b32 v43, v45, v43, v42
.LBB568_315:
	s_or_b64 exec, exec, s[10:11]
.LBB568_316:
	s_or_b64 exec, exec, s[8:9]
.LBB568_317:
	s_or_b64 exec, exec, s[2:3]
	s_mov_b32 s2, 0xffffff
	v_cmp_lt_u32_e32 vcc, s2, v22
	v_mov_b32_e32 v45, 0
	v_mov_b32_e32 v51, 0
	s_and_saveexec_b64 s[2:3], vcc
	s_cbranch_execz .LBB568_323
; %bb.318:
	v_lshrrev_b32_e32 v42, 24, v22
	s_movk_i32 s8, 0x80
	v_cmp_ne_u32_e32 vcc, s8, v42
	v_bfrev_b32_e32 v51, 1
	s_and_saveexec_b64 s[8:9], vcc
	s_cbranch_execz .LBB568_322
; %bb.319:
	v_bfe_u32 v22, v22, 24, 7
	s_movk_i32 s10, 0x7f
	v_cmp_ne_u32_e32 vcc, s10, v22
	v_mov_b32_e32 v51, 0x7f800001
	s_and_saveexec_b64 s[10:11], vcc
	s_cbranch_execz .LBB568_321
; %bb.320:
	v_and_b32_e32 v51, 7, v42
	v_ffbh_u32_e32 v52, v51
	v_min_u32_e32 v55, 32, v52
	v_subrev_u32_e32 v52, 28, v55
	v_lshlrev_b64 v[52:53], v52, v[42:43]
	v_lshrrev_b32_e32 v54, 3, v22
	v_sub_u32_e32 v53, 29, v55
	v_and_b32_e32 v52, 7, v52
	v_cmp_gt_u32_e32 vcc, 8, v22
	v_cndmask_b32_e32 v22, v54, v53, vcc
	v_cndmask_b32_e32 v51, v51, v52, vcc
	v_lshlrev_b32_e32 v42, 24, v42
	v_bfrev_b32_e32 v52, 60
	v_lshlrev_b32_e32 v51, 20, v51
	v_and_b32_e32 v42, 0x80000000, v42
	v_lshl_add_u32 v22, v22, 23, v52
	v_or3_b32 v51, v42, v22, v51
.LBB568_321:
	s_or_b64 exec, exec, s[10:11]
.LBB568_322:
	s_or_b64 exec, exec, s[8:9]
.LBB568_323:
	s_or_b64 exec, exec, s[2:3]
	v_cmp_ne_u16_sdwa s[8:9], v23, v45 src0_sel:BYTE_0 src1_sel:DWORD
	s_and_saveexec_b64 s[2:3], s[8:9]
	s_cbranch_execz .LBB568_329
; %bb.324:
	s_movk_i32 s8, 0x80
	v_cmp_ne_u16_sdwa s[10:11], v23, s8 src0_sel:BYTE_0 src1_sel:DWORD
	v_bfrev_b32_e32 v45, 1
	s_and_saveexec_b64 s[8:9], s[10:11]
	s_cbranch_execz .LBB568_328
; %bb.325:
	s_movk_i32 s10, 0x7f
	v_and_b32_e32 v22, 0x7f, v23
	v_cmp_ne_u32_e32 vcc, s10, v22
	v_mov_b32_e32 v45, 0x7f800001
	s_and_saveexec_b64 s[10:11], vcc
	s_cbranch_execz .LBB568_327
; %bb.326:
	v_and_b32_e32 v45, 7, v23
	v_ffbh_u32_e32 v52, v45
	v_min_u32_e32 v55, 32, v52
	v_mov_b32_e32 v42, v23
	v_subrev_u32_e32 v52, 28, v55
	v_lshlrev_b64 v[52:53], v52, v[42:43]
	v_lshrrev_b32_e32 v54, 3, v22
	v_sub_u32_e32 v42, 29, v55
	v_and_b32_e32 v52, 7, v52
	v_cmp_gt_u32_e32 vcc, 8, v22
	v_cndmask_b32_e32 v22, v54, v42, vcc
	v_cndmask_b32_e32 v42, v45, v52, vcc
	v_lshlrev_b32_e32 v45, 24, v23
	v_bfrev_b32_e32 v52, 60
	v_lshlrev_b32_e32 v42, 20, v42
	v_and_b32_e32 v45, 0x80000000, v45
	v_lshl_add_u32 v22, v22, 23, v52
	v_or3_b32 v45, v45, v22, v42
.LBB568_327:
	s_or_b64 exec, exec, s[10:11]
.LBB568_328:
	s_or_b64 exec, exec, s[8:9]
.LBB568_329:
	s_or_b64 exec, exec, s[2:3]
	v_lshrrev_b16_e32 v22, 8, v23
	v_cmp_ne_u16_e32 vcc, 0, v22
	v_mov_b32_e32 v52, 0
	v_mov_b32_e32 v53, 0
	s_and_saveexec_b64 s[2:3], vcc
	s_cbranch_execz .LBB568_335
; %bb.330:
	s_movk_i32 s8, 0x80
	v_cmp_ne_u16_e32 vcc, s8, v22
	v_bfrev_b32_e32 v53, 1
	s_and_saveexec_b64 s[8:9], vcc
	s_cbranch_execz .LBB568_334
; %bb.331:
	s_movk_i32 s10, 0x7f
	v_and_b32_e32 v42, 0x7f, v22
	v_cmp_ne_u32_e32 vcc, s10, v42
	v_mov_b32_e32 v53, 0x7f800001
	s_and_saveexec_b64 s[10:11], vcc
	s_cbranch_execz .LBB568_333
; %bb.332:
	v_and_b32_e32 v53, 7, v22
	v_ffbh_u32_e32 v54, v53
	v_min_u32_e32 v57, 32, v54
	v_subrev_u32_e32 v54, 28, v57
	v_lshlrev_b64 v[54:55], v54, v[22:23]
	v_lshrrev_b32_e32 v56, 3, v42
	v_sub_u32_e32 v22, 29, v57
	v_and_b32_e32 v54, 7, v54
	v_cmp_gt_u32_e32 vcc, 8, v42
	v_cndmask_b32_e32 v22, v56, v22, vcc
	v_cndmask_b32_e32 v42, v53, v54, vcc
	v_lshlrev_b32_e32 v53, 16, v23
	v_bfrev_b32_e32 v54, 60
	v_lshlrev_b32_e32 v42, 20, v42
	v_and_b32_e32 v53, 0x80000000, v53
	v_lshl_add_u32 v22, v22, 23, v54
	v_or3_b32 v53, v53, v22, v42
.LBB568_333:
	s_or_b64 exec, exec, s[10:11]
.LBB568_334:
	s_or_b64 exec, exec, s[8:9]
.LBB568_335:
	s_or_b64 exec, exec, s[2:3]
	s_movk_i32 s2, 0xff
	v_and_b32_sdwa v42, v23, s2 dst_sel:DWORD dst_unused:UNUSED_PAD src0_sel:WORD_1 src1_sel:DWORD
	v_lshrrev_b32_e32 v22, 16, v23
	v_cmp_ne_u16_e32 vcc, 0, v42
	s_and_saveexec_b64 s[2:3], vcc
	s_cbranch_execz .LBB568_341
; %bb.336:
	s_movk_i32 s8, 0x80
	v_cmp_ne_u16_e32 vcc, s8, v42
	v_bfrev_b32_e32 v52, 1
	s_and_saveexec_b64 s[8:9], vcc
	s_cbranch_execz .LBB568_340
; %bb.337:
	v_bfe_u32 v42, v23, 16, 7
	s_movk_i32 s10, 0x7f
	v_cmp_ne_u32_e32 vcc, s10, v42
	v_mov_b32_e32 v52, 0x7f800001
	s_and_saveexec_b64 s[10:11], vcc
	s_cbranch_execz .LBB568_339
; %bb.338:
	v_and_b32_e32 v52, 7, v22
	v_ffbh_u32_e32 v54, v52
	v_min_u32_e32 v57, 32, v54
	v_subrev_u32_e32 v54, 28, v57
	v_lshlrev_b64 v[54:55], v54, v[22:23]
	v_and_b32_e32 v54, 7, v54
	v_cmp_gt_u32_e32 vcc, 8, v42
	v_lshrrev_b32_e32 v56, 3, v42
	v_sub_u32_e32 v22, 29, v57
	v_cndmask_b32_e32 v42, v52, v54, vcc
	v_mov_b32_e32 v52, 24
	v_cndmask_b32_e32 v22, v56, v22, vcc
	v_lshlrev_b32_sdwa v52, v52, v23 dst_sel:DWORD dst_unused:UNUSED_PAD src0_sel:DWORD src1_sel:WORD_1
	v_bfrev_b32_e32 v54, 60
	v_lshlrev_b32_e32 v42, 20, v42
	v_and_b32_e32 v52, 0x80000000, v52
	v_lshl_add_u32 v22, v22, 23, v54
	v_or3_b32 v52, v52, v22, v42
.LBB568_339:
	s_or_b64 exec, exec, s[10:11]
.LBB568_340:
	s_or_b64 exec, exec, s[8:9]
.LBB568_341:
	s_or_b64 exec, exec, s[2:3]
	s_mov_b32 s2, 0xffffff
	v_cmp_lt_u32_e32 vcc, s2, v23
	v_mov_b32_e32 v42, 0
	v_mov_b32_e32 v54, 0
	s_and_saveexec_b64 s[2:3], vcc
	s_cbranch_execz .LBB568_347
; %bb.342:
	v_lshrrev_b32_e32 v22, 24, v23
	s_movk_i32 s8, 0x80
	v_cmp_ne_u32_e32 vcc, s8, v22
	v_bfrev_b32_e32 v54, 1
	s_and_saveexec_b64 s[8:9], vcc
	s_cbranch_execz .LBB568_346
; %bb.343:
	v_bfe_u32 v23, v23, 24, 7
	s_movk_i32 s10, 0x7f
	v_cmp_ne_u32_e32 vcc, s10, v23
	v_mov_b32_e32 v54, 0x7f800001
	s_and_saveexec_b64 s[10:11], vcc
	s_cbranch_execz .LBB568_345
; %bb.344:
	v_and_b32_e32 v56, 7, v22
	v_ffbh_u32_e32 v54, v56
	v_min_u32_e32 v58, 32, v54
	v_subrev_u32_e32 v54, 28, v58
	v_lshlrev_b64 v[54:55], v54, v[22:23]
	v_lshrrev_b32_e32 v57, 3, v23
	v_sub_u32_e32 v55, 29, v58
	v_and_b32_e32 v54, 7, v54
	v_cmp_gt_u32_e32 vcc, 8, v23
	v_cndmask_b32_e32 v23, v57, v55, vcc
	v_cndmask_b32_e32 v54, v56, v54, vcc
	v_lshlrev_b32_e32 v22, 24, v22
	v_bfrev_b32_e32 v55, 60
	v_lshlrev_b32_e32 v54, 20, v54
	v_and_b32_e32 v22, 0x80000000, v22
	v_lshl_add_u32 v23, v23, 23, v55
	v_or3_b32 v54, v22, v23, v54
.LBB568_345:
	s_or_b64 exec, exec, s[10:11]
.LBB568_346:
	s_or_b64 exec, exec, s[8:9]
.LBB568_347:
	s_or_b64 exec, exec, s[2:3]
	v_cvt_pkrtz_f16_f32 v22, v50, v44
	v_cvt_pkrtz_f16_f32 v23, v43, v51
	v_cmp_ne_u16_sdwa s[8:9], v24, v42 src0_sel:BYTE_0 src1_sel:DWORD
	s_nop 0
	v_mfma_f32_16x16x16f16 v[56:59], v[22:23], v[26:27], 0
	v_cvt_pkrtz_f16_f32 v22, v45, v53
	v_cvt_pkrtz_f16_f32 v23, v52, v54
	s_nop 1
	v_mfma_f32_16x16x16f16 v[26:29], v[22:23], v[28:29], v[56:59]
	s_and_saveexec_b64 s[2:3], s[8:9]
	s_cbranch_execz .LBB568_353
; %bb.348:
	s_movk_i32 s8, 0x80
	v_cmp_ne_u16_sdwa s[10:11], v24, s8 src0_sel:BYTE_0 src1_sel:DWORD
	v_bfrev_b32_e32 v42, 1
	s_and_saveexec_b64 s[8:9], s[10:11]
	s_cbranch_execz .LBB568_352
; %bb.349:
	s_movk_i32 s10, 0x7f
	v_and_b32_e32 v22, 0x7f, v24
	v_cmp_ne_u32_e32 vcc, s10, v22
	v_mov_b32_e32 v42, 0x7f800001
	s_and_saveexec_b64 s[10:11], vcc
	s_cbranch_execz .LBB568_351
; %bb.350:
	v_and_b32_e32 v23, 7, v24
	v_ffbh_u32_e32 v42, v23
	v_min_u32_e32 v45, 32, v42
	v_subrev_u32_e32 v42, 28, v45
	v_lshlrev_b64 v[42:43], v42, v[24:25]
	v_lshrrev_b32_e32 v44, 3, v22
	v_sub_u32_e32 v43, 29, v45
	v_and_b32_e32 v42, 7, v42
	v_cmp_gt_u32_e32 vcc, 8, v22
	v_cndmask_b32_e32 v22, v44, v43, vcc
	v_cndmask_b32_e32 v23, v23, v42, vcc
	v_lshlrev_b32_e32 v42, 24, v24
	v_bfrev_b32_e32 v43, 60
	v_lshlrev_b32_e32 v23, 20, v23
	v_and_b32_e32 v42, 0x80000000, v42
	v_lshl_add_u32 v22, v22, 23, v43
	v_or3_b32 v42, v42, v22, v23
.LBB568_351:
	s_or_b64 exec, exec, s[10:11]
.LBB568_352:
	s_or_b64 exec, exec, s[8:9]
.LBB568_353:
	s_or_b64 exec, exec, s[2:3]
	v_lshrrev_b16_e32 v22, 8, v24
	v_cmp_ne_u16_e32 vcc, 0, v22
	v_mov_b32_e32 v23, 0
	v_mov_b32_e32 v43, 0
	s_and_saveexec_b64 s[2:3], vcc
	s_cbranch_execz .LBB568_359
; %bb.354:
	s_movk_i32 s8, 0x80
	v_cmp_ne_u16_e32 vcc, s8, v22
	v_bfrev_b32_e32 v43, 1
	s_and_saveexec_b64 s[8:9], vcc
	s_cbranch_execz .LBB568_358
; %bb.355:
	s_movk_i32 s10, 0x7f
	v_and_b32_e32 v44, 0x7f, v22
	v_cmp_ne_u32_e32 vcc, s10, v44
	v_mov_b32_e32 v43, 0x7f800001
	s_and_saveexec_b64 s[10:11], vcc
	s_cbranch_execz .LBB568_357
; %bb.356:
	v_and_b32_e32 v43, 7, v22
	v_ffbh_u32_e32 v50, v43
	v_min_u32_e32 v52, 32, v50
	v_subrev_u32_e32 v50, 28, v52
	v_lshlrev_b64 v[50:51], v50, v[22:23]
	v_lshrrev_b32_e32 v45, 3, v44
	v_sub_u32_e32 v22, 29, v52
	v_and_b32_e32 v50, 7, v50
	v_cmp_gt_u32_e32 vcc, 8, v44
	v_cndmask_b32_e32 v22, v45, v22, vcc
	v_cndmask_b32_e32 v43, v43, v50, vcc
	v_lshlrev_b32_e32 v44, 16, v24
	v_bfrev_b32_e32 v45, 60
	v_lshlrev_b32_e32 v43, 20, v43
	v_and_b32_e32 v44, 0x80000000, v44
	v_lshl_add_u32 v22, v22, 23, v45
	v_or3_b32 v43, v44, v22, v43
.LBB568_357:
	s_or_b64 exec, exec, s[10:11]
.LBB568_358:
	s_or_b64 exec, exec, s[8:9]
.LBB568_359:
	s_or_b64 exec, exec, s[2:3]
	s_movk_i32 s2, 0xff
	v_and_b32_sdwa v44, v24, s2 dst_sel:DWORD dst_unused:UNUSED_PAD src0_sel:WORD_1 src1_sel:DWORD
	v_lshrrev_b32_e32 v22, 16, v24
	v_cmp_ne_u16_e32 vcc, 0, v44
	s_and_saveexec_b64 s[2:3], vcc
	s_cbranch_execz .LBB568_365
; %bb.360:
	s_movk_i32 s8, 0x80
	v_cmp_ne_u16_e32 vcc, s8, v44
	v_bfrev_b32_e32 v23, 1
	s_and_saveexec_b64 s[8:9], vcc
	s_cbranch_execz .LBB568_364
; %bb.361:
	v_bfe_u32 v44, v24, 16, 7
	s_movk_i32 s10, 0x7f
	v_cmp_ne_u32_e32 vcc, s10, v44
	v_mov_b32_e32 v23, 0x7f800001
	s_and_saveexec_b64 s[10:11], vcc
	s_cbranch_execz .LBB568_363
; %bb.362:
	v_and_b32_e32 v45, 7, v22
	v_ffbh_u32_e32 v23, v45
	v_min_u32_e32 v51, 32, v23
	v_subrev_u32_e32 v23, 28, v51
	v_lshlrev_b64 v[22:23], v23, v[22:23]
	v_lshrrev_b32_e32 v50, 3, v44
	v_sub_u32_e32 v23, 29, v51
	v_and_b32_e32 v22, 7, v22
	v_cmp_gt_u32_e32 vcc, 8, v44
	v_mov_b32_e32 v44, 24
	v_cndmask_b32_e32 v23, v50, v23, vcc
	v_cndmask_b32_e32 v22, v45, v22, vcc
	v_lshlrev_b32_sdwa v44, v44, v24 dst_sel:DWORD dst_unused:UNUSED_PAD src0_sel:DWORD src1_sel:WORD_1
	v_bfrev_b32_e32 v45, 60
	v_lshlrev_b32_e32 v22, 20, v22
	v_and_b32_e32 v44, 0x80000000, v44
	v_lshl_add_u32 v23, v23, 23, v45
	v_or3_b32 v23, v44, v23, v22
.LBB568_363:
	s_or_b64 exec, exec, s[10:11]
.LBB568_364:
	s_or_b64 exec, exec, s[8:9]
.LBB568_365:
	s_or_b64 exec, exec, s[2:3]
	s_mov_b32 s2, 0xffffff
	v_cmp_lt_u32_e32 vcc, s2, v24
	v_mov_b32_e32 v44, 0
	v_mov_b32_e32 v45, 0
	s_and_saveexec_b64 s[2:3], vcc
	s_cbranch_execz .LBB568_371
; %bb.366:
	v_lshrrev_b32_e32 v22, 24, v24
	s_movk_i32 s8, 0x80
	v_cmp_ne_u32_e32 vcc, s8, v22
	v_bfrev_b32_e32 v45, 1
	s_and_saveexec_b64 s[8:9], vcc
	s_cbranch_execz .LBB568_370
; %bb.367:
	v_bfe_u32 v24, v24, 24, 7
	s_movk_i32 s10, 0x7f
	v_cmp_ne_u32_e32 vcc, s10, v24
	v_mov_b32_e32 v45, 0x7f800001
	s_and_saveexec_b64 s[10:11], vcc
	s_cbranch_execz .LBB568_369
; %bb.368:
	v_and_b32_e32 v45, 7, v22
	v_ffbh_u32_e32 v50, v45
	v_min_u32_e32 v53, 32, v50
	v_subrev_u32_e32 v50, 28, v53
	v_lshlrev_b64 v[50:51], v50, v[22:23]
	v_lshrrev_b32_e32 v52, 3, v24
	v_sub_u32_e32 v51, 29, v53
	v_and_b32_e32 v50, 7, v50
	v_cmp_gt_u32_e32 vcc, 8, v24
	v_cndmask_b32_e32 v24, v52, v51, vcc
	v_cndmask_b32_e32 v45, v45, v50, vcc
	v_lshlrev_b32_e32 v22, 24, v22
	v_bfrev_b32_e32 v50, 60
	v_lshlrev_b32_e32 v45, 20, v45
	v_and_b32_e32 v22, 0x80000000, v22
	v_lshl_add_u32 v24, v24, 23, v50
	v_or3_b32 v45, v22, v24, v45
.LBB568_369:
	s_or_b64 exec, exec, s[10:11]
.LBB568_370:
	s_or_b64 exec, exec, s[8:9]
.LBB568_371:
	s_or_b64 exec, exec, s[2:3]
	v_cmp_ne_u16_sdwa s[8:9], v25, v44 src0_sel:BYTE_0 src1_sel:DWORD
	s_and_saveexec_b64 s[2:3], s[8:9]
	s_cbranch_execz .LBB568_377
; %bb.372:
	s_movk_i32 s8, 0x80
	v_cmp_ne_u16_sdwa s[10:11], v25, s8 src0_sel:BYTE_0 src1_sel:DWORD
	v_bfrev_b32_e32 v44, 1
	s_and_saveexec_b64 s[8:9], s[10:11]
	s_cbranch_execz .LBB568_376
; %bb.373:
	s_movk_i32 s10, 0x7f
	v_and_b32_e32 v22, 0x7f, v25
	v_cmp_ne_u32_e32 vcc, s10, v22
	v_mov_b32_e32 v44, 0x7f800001
	s_and_saveexec_b64 s[10:11], vcc
	s_cbranch_execz .LBB568_375
; %bb.374:
	v_and_b32_e32 v44, 7, v25
	v_ffbh_u32_e32 v50, v44
	v_min_u32_e32 v53, 32, v50
	v_mov_b32_e32 v24, v25
	v_subrev_u32_e32 v50, 28, v53
	v_lshlrev_b64 v[50:51], v50, v[24:25]
	v_lshrrev_b32_e32 v52, 3, v22
	v_sub_u32_e32 v24, 29, v53
	v_and_b32_e32 v50, 7, v50
	v_cmp_gt_u32_e32 vcc, 8, v22
	v_cndmask_b32_e32 v22, v52, v24, vcc
	v_cndmask_b32_e32 v24, v44, v50, vcc
	v_lshlrev_b32_e32 v44, 24, v25
	v_bfrev_b32_e32 v50, 60
	v_lshlrev_b32_e32 v24, 20, v24
	v_and_b32_e32 v44, 0x80000000, v44
	v_lshl_add_u32 v22, v22, 23, v50
	v_or3_b32 v44, v44, v22, v24
.LBB568_375:
	s_or_b64 exec, exec, s[10:11]
.LBB568_376:
	s_or_b64 exec, exec, s[8:9]
.LBB568_377:
	s_or_b64 exec, exec, s[2:3]
	v_lshrrev_b16_e32 v22, 8, v25
	v_cmp_ne_u16_e32 vcc, 0, v22
	v_mov_b32_e32 v24, 0
	v_mov_b32_e32 v51, 0
	s_and_saveexec_b64 s[2:3], vcc
	s_cbranch_execz .LBB568_383
; %bb.378:
	s_movk_i32 s8, 0x80
	v_cmp_ne_u16_e32 vcc, s8, v22
	v_bfrev_b32_e32 v51, 1
	s_and_saveexec_b64 s[8:9], vcc
	s_cbranch_execz .LBB568_382
; %bb.379:
	s_movk_i32 s10, 0x7f
	v_and_b32_e32 v50, 0x7f, v22
	v_cmp_ne_u32_e32 vcc, s10, v50
	v_mov_b32_e32 v51, 0x7f800001
	s_and_saveexec_b64 s[10:11], vcc
	s_cbranch_execz .LBB568_381
; %bb.380:
	v_and_b32_e32 v51, 7, v22
	v_ffbh_u32_e32 v52, v51
	v_min_u32_e32 v55, 32, v52
	v_subrev_u32_e32 v52, 28, v55
	v_lshlrev_b64 v[52:53], v52, v[22:23]
	v_lshrrev_b32_e32 v54, 3, v50
	v_sub_u32_e32 v22, 29, v55
	v_and_b32_e32 v52, 7, v52
	v_cmp_gt_u32_e32 vcc, 8, v50
	v_cndmask_b32_e32 v22, v54, v22, vcc
	v_cndmask_b32_e32 v50, v51, v52, vcc
	v_lshlrev_b32_e32 v51, 16, v25
	v_bfrev_b32_e32 v52, 60
	v_lshlrev_b32_e32 v50, 20, v50
	v_and_b32_e32 v51, 0x80000000, v51
	v_lshl_add_u32 v22, v22, 23, v52
	v_or3_b32 v51, v51, v22, v50
.LBB568_381:
	s_or_b64 exec, exec, s[10:11]
.LBB568_382:
	s_or_b64 exec, exec, s[8:9]
.LBB568_383:
	s_or_b64 exec, exec, s[2:3]
	s_movk_i32 s2, 0xff
	v_and_b32_sdwa v50, v25, s2 dst_sel:DWORD dst_unused:UNUSED_PAD src0_sel:WORD_1 src1_sel:DWORD
	v_lshrrev_b32_e32 v22, 16, v25
	v_cmp_ne_u16_e32 vcc, 0, v50
	s_and_saveexec_b64 s[2:3], vcc
	s_cbranch_execz .LBB568_389
; %bb.384:
	s_movk_i32 s8, 0x80
	v_cmp_ne_u16_e32 vcc, s8, v50
	v_bfrev_b32_e32 v24, 1
	s_and_saveexec_b64 s[8:9], vcc
	s_cbranch_execz .LBB568_388
; %bb.385:
	v_bfe_u32 v50, v25, 16, 7
	s_movk_i32 s10, 0x7f
	v_cmp_ne_u32_e32 vcc, s10, v50
	v_mov_b32_e32 v24, 0x7f800001
	s_and_saveexec_b64 s[10:11], vcc
	s_cbranch_execz .LBB568_387
; %bb.386:
	v_and_b32_e32 v24, 7, v22
	v_ffbh_u32_e32 v52, v24
	v_min_u32_e32 v55, 32, v52
	v_subrev_u32_e32 v52, 28, v55
	v_lshlrev_b64 v[52:53], v52, v[22:23]
	v_lshrrev_b32_e32 v54, 3, v50
	v_sub_u32_e32 v22, 29, v55
	v_and_b32_e32 v52, 7, v52
	v_cmp_gt_u32_e32 vcc, 8, v50
	v_mov_b32_e32 v50, 24
	v_cndmask_b32_e32 v22, v54, v22, vcc
	v_cndmask_b32_e32 v24, v24, v52, vcc
	v_lshlrev_b32_sdwa v50, v50, v25 dst_sel:DWORD dst_unused:UNUSED_PAD src0_sel:DWORD src1_sel:WORD_1
	v_bfrev_b32_e32 v52, 60
	v_lshlrev_b32_e32 v24, 20, v24
	v_and_b32_e32 v50, 0x80000000, v50
	v_lshl_add_u32 v22, v22, 23, v52
	v_or3_b32 v24, v50, v22, v24
.LBB568_387:
	s_or_b64 exec, exec, s[10:11]
.LBB568_388:
	s_or_b64 exec, exec, s[8:9]
.LBB568_389:
	s_or_b64 exec, exec, s[2:3]
	s_mov_b32 s2, 0xffffff
	v_and_b32_e32 v50, 63, v0
	v_cmp_lt_u32_e32 vcc, s2, v25
	v_mov_b32_e32 v52, 0
	s_and_saveexec_b64 s[2:3], vcc
	s_cbranch_execz .LBB568_395
; %bb.390:
	v_lshrrev_b32_e32 v22, 24, v25
	s_movk_i32 s8, 0x80
	v_cmp_ne_u32_e32 vcc, s8, v22
	v_bfrev_b32_e32 v52, 1
	s_and_saveexec_b64 s[8:9], vcc
	s_cbranch_execz .LBB568_394
; %bb.391:
	v_bfe_u32 v25, v25, 24, 7
	s_movk_i32 s10, 0x7f
	v_cmp_ne_u32_e32 vcc, s10, v25
	v_mov_b32_e32 v52, 0x7f800001
	s_and_saveexec_b64 s[10:11], vcc
	s_cbranch_execz .LBB568_393
; %bb.392:
	v_and_b32_e32 v54, 7, v22
	v_ffbh_u32_e32 v52, v54
	v_min_u32_e32 v56, 32, v52
	v_subrev_u32_e32 v52, 28, v56
	v_lshlrev_b64 v[52:53], v52, v[22:23]
	v_lshrrev_b32_e32 v55, 3, v25
	v_sub_u32_e32 v53, 29, v56
	v_and_b32_e32 v52, 7, v52
	v_cmp_gt_u32_e32 vcc, 8, v25
	v_cndmask_b32_e32 v25, v55, v53, vcc
	v_cndmask_b32_e32 v52, v54, v52, vcc
	v_lshlrev_b32_e32 v22, 24, v22
	v_bfrev_b32_e32 v53, 60
	v_lshlrev_b32_e32 v52, 20, v52
	v_and_b32_e32 v22, 0x80000000, v22
	v_lshl_add_u32 v25, v25, 23, v53
	v_or3_b32 v52, v22, v25, v52
.LBB568_393:
	s_or_b64 exec, exec, s[10:11]
.LBB568_394:
	s_or_b64 exec, exec, s[8:9]
.LBB568_395:
	s_or_b64 exec, exec, s[2:3]
	v_cvt_pkrtz_f16_f32 v42, v42, v43
	v_cvt_pkrtz_f16_f32 v43, v23, v45
	s_load_dword s2, s[4:5], 0x1c
	s_mov_b32 s46, 0xff7fffff
	s_waitcnt lgkmcnt(0)
	v_mfma_f32_16x16x16f16 v[26:29], v[42:43], v[18:19], v[26:29]
	v_cvt_pkrtz_f16_f32 v18, v44, v51
	v_cvt_pkrtz_f16_f32 v19, v24, v52
	v_and_b32_e32 v24, 0xc0, v0
	v_mov_b32_e32 v22, s2
	v_add_u32_e32 v24, s20, v24
	v_mul_f32_e32 v54, s12, v22
	v_lshl_or_b32 v42, v1, 2, v24
	v_mfma_f32_16x16x16f16 v[18:21], v[18:19], v[20:21], v[26:29]
	v_pk_mul_f32 v[22:23], v[54:55], v[36:37] op_sel_hi:[0,1]
	v_pk_mul_f32 v[36:37], v[54:55], v[40:41] op_sel_hi:[0,1]
	v_pk_mul_f32 v[40:41], v[54:55], v[32:33] op_sel_hi:[0,1]
	v_pk_mul_f32 v[30:31], v[54:55], v[30:31] op_sel_hi:[0,1]
	v_mov_b32_e32 v43, 0xff7fffff
	v_cmp_gt_i32_e64 s[26:27], s33, v42
	v_pk_mul_f32 v[38:39], v[54:55], v[38:39] op_sel_hi:[0,1]
	s_nop 3
	v_pk_mul_f32 v[32:33], v[54:55], v[18:19] op_sel_hi:[0,1]
	v_or_b32_e32 v19, 1, v42
	v_cmp_gt_i32_e64 s[28:29], s33, v19
	v_cndmask_b32_e64 v18, v43, v30, s[26:27]
	v_cndmask_b32_e64 v19, v43, v31, s[28:29]
	v_pk_mul_f32 v[24:25], v[54:55], v[20:21] op_sel_hi:[0,1]
	v_max3_f32 v18, v18, s46, v19
	v_or_b32_e32 v19, 2, v42
	v_or_b32_e32 v20, 3, v42
	v_cmp_gt_i32_e64 s[30:31], s33, v19
	v_cmp_gt_i32_e64 s[34:35], s33, v20
	v_cndmask_b32_e64 v19, v43, v40, s[30:31]
	v_cndmask_b32_e64 v20, v43, v41, s[34:35]
	v_max3_f32 v18, v18, v19, v20
	v_or_b32_e32 v19, 16, v42
	v_or_b32_e32 v20, 17, v42
	v_cmp_gt_i32_e64 s[36:37], s33, v19
	v_cmp_gt_i32_e64 s[38:39], s33, v20
	v_cndmask_b32_e64 v19, v43, v38, s[36:37]
	v_cndmask_b32_e64 v20, v43, v39, s[38:39]
	;; [unrolled: 7-line block ×3, first 2 shown]
	v_max3_f32 v18, v18, v19, v20
	v_or_b32_e32 v19, 32, v42
	v_or_b32_e32 v20, 33, v42
	v_pk_mul_f32 v[34:35], v[54:55], v[34:35] op_sel_hi:[0,1]
	v_cmp_gt_i32_e64 s[16:17], s33, v19
	v_cmp_gt_i32_e64 s[18:19], s33, v20
	v_cndmask_b32_e64 v19, v43, v34, s[16:17]
	v_cndmask_b32_e64 v20, v43, v35, s[18:19]
	v_max3_f32 v18, v18, v19, v20
	v_or_b32_e32 v19, 34, v42
	v_or_b32_e32 v20, 35, v42
	v_cmp_gt_i32_e64 s[12:13], s33, v19
	v_cmp_gt_i32_e64 s[14:15], s33, v20
	v_cndmask_b32_e64 v19, v43, v22, s[12:13]
	v_cndmask_b32_e64 v20, v43, v23, s[14:15]
	v_max3_f32 v18, v18, v19, v20
	v_or_b32_e32 v19, 48, v42
	v_or_b32_e32 v20, 49, v42
	;; [unrolled: 7-line block ×3, first 2 shown]
	v_cmp_gt_i32_e32 vcc, s33, v19
	v_cmp_gt_i32_e64 s[2:3], s33, v20
	v_cndmask_b32_e32 v19, v43, v24, vcc
	v_cndmask_b32_e64 v20, v43, v25, s[2:3]
	v_max3_f32 v18, v18, v19, v20
	v_mbcnt_lo_u32_b32 v19, -1, 0
	v_mbcnt_hi_u32_b32 v19, -1, v19
	v_and_b32_e32 v20, 64, v19
	v_add_u32_e32 v20, 64, v20
	v_xor_b32_e32 v21, 32, v19
	v_cmp_lt_i32_e64 s[40:41], v21, v20
	v_cndmask_b32_e64 v21, v19, v21, s[40:41]
	v_lshlrev_b32_e32 v43, 2, v21
	ds_bpermute_b32 v21, v43, v18
	s_barrier
	s_waitcnt lgkmcnt(0)
	v_max_f32_e32 v21, v21, v21
	v_max_f32_e32 v18, v18, v21
	v_xor_b32_e32 v21, 16, v19
	v_cmp_lt_i32_e64 s[40:41], v21, v20
	v_cndmask_b32_e64 v19, v19, v21, s[40:41]
	v_lshlrev_b32_e32 v44, 2, v19
	ds_bpermute_b32 v19, v44, v18
	s_waitcnt lgkmcnt(0)
	v_max_f32_e32 v19, v19, v19
	v_max_f32_e32 v42, v18, v19
	v_sub_f32_e32 v21, v40, v42
	v_sub_f32_e32 v26, v41, v42
	v_mul_f32_e32 v21, 0x3fb8aa3b, v21
	v_mul_f32_e32 v26, 0x3fb8aa3b, v26
	v_sub_f32_e32 v18, v30, v42
	v_exp_f32_e32 v21, v21
	v_exp_f32_e32 v26, v26
	v_mul_f32_e32 v18, 0x3fb8aa3b, v18
	v_sub_f32_e32 v19, v31, v42
	v_exp_f32_e32 v18, v18
	v_mul_f32_e32 v19, 0x3fb8aa3b, v19
	v_exp_f32_e32 v19, v19
	v_cndmask_b32_e64 v28, 0, v21, s[30:31]
	v_cndmask_b32_e64 v29, 0, v26, s[34:35]
	v_sub_f32_e32 v21, v38, v42
	v_sub_f32_e32 v26, v39, v42
	v_mul_f32_e32 v21, 0x3fb8aa3b, v21
	v_mul_f32_e32 v26, 0x3fb8aa3b, v26
	v_cndmask_b32_e64 v18, 0, v18, s[26:27]
	v_exp_f32_e32 v21, v21
	v_exp_f32_e32 v26, v26
	v_add_f32_e32 v20, 0, v18
	v_cndmask_b32_e64 v19, 0, v19, s[28:29]
	v_add_f32_e32 v20, v20, v19
	v_add_f32_e32 v20, v20, v28
	;; [unrolled: 1-line block ×3, first 2 shown]
	v_cndmask_b32_e64 v20, 0, v21, s[36:37]
	v_cndmask_b32_e64 v21, 0, v26, s[38:39]
	v_sub_f32_e32 v26, v36, v42
	v_mul_f32_e32 v26, 0x3fb8aa3b, v26
	v_exp_f32_e32 v26, v26
	v_sub_f32_e32 v30, v37, v42
	v_add_f32_e32 v27, v27, v20
	v_mul_f32_e32 v30, 0x3fb8aa3b, v30
	v_exp_f32_e32 v31, v30
	v_add_f32_e32 v27, v27, v21
	v_cndmask_b32_e64 v30, 0, v26, s[20:21]
	v_add_f32_e32 v26, v27, v30
	v_sub_f32_e32 v27, v34, v42
	v_mul_f32_e32 v27, 0x3fb8aa3b, v27
	v_sub_f32_e32 v34, v35, v42
	v_exp_f32_e32 v27, v27
	v_mul_f32_e32 v34, 0x3fb8aa3b, v34
	v_sub_f32_e32 v22, v22, v42
	v_exp_f32_e32 v34, v34
	;; [unrolled: 3-line block ×3, first 2 shown]
	v_mul_f32_e32 v23, 0x3fb8aa3b, v23
	v_cndmask_b32_e64 v31, 0, v31, s[22:23]
	v_exp_f32_e32 v23, v23
	v_add_f32_e32 v35, v26, v31
	v_cndmask_b32_e64 v26, 0, v27, s[16:17]
	v_add_f32_e32 v35, v35, v26
	v_cndmask_b32_e64 v27, 0, v34, s[18:19]
	;; [unrolled: 2-line block ×4, first 2 shown]
	v_sub_f32_e32 v23, v32, v42
	v_mul_f32_e32 v23, 0x3fb8aa3b, v23
	v_sub_f32_e32 v32, v33, v42
	v_exp_f32_e32 v23, v23
	v_mul_f32_e32 v32, 0x3fb8aa3b, v32
	v_sub_f32_e32 v24, v24, v42
	v_exp_f32_e32 v32, v32
	;; [unrolled: 3-line block ×3, first 2 shown]
	v_mul_f32_e32 v25, 0x3fb8aa3b, v25
	v_exp_f32_e32 v25, v25
	v_add_f32_e32 v33, v22, v35
	v_cndmask_b32_e64 v22, 0, v23, s[8:9]
	v_add_f32_e32 v33, v33, v22
	v_cndmask_b32_e64 v23, 0, v32, s[10:11]
	v_add_f32_e32 v32, v33, v23
	v_cndmask_b32_e32 v24, 0, v24, vcc
	v_add_f32_e32 v32, v32, v24
	v_cndmask_b32_e64 v25, 0, v25, s[2:3]
	v_add_f32_e32 v32, v32, v25
	ds_bpermute_b32 v33, v43, v32
	v_cmp_gt_u32_e32 vcc, 16, v50
	s_waitcnt lgkmcnt(0)
	v_add_f32_e32 v33, v32, v33
	ds_bpermute_b32 v36, v44, v33
	v_lshlrev_b32_e32 v32, 2, v48
	s_and_saveexec_b64 s[2:3], vcc
	s_cbranch_execz .LBB568_397
; %bb.396:
	s_waitcnt lgkmcnt(0)
	v_add_f32_e32 v33, v33, v36
	v_lshl_or_b32 v36, v49, 6, v32
	ds_write2st64_b32 v36, v42, v33 offset1:1
.LBB568_397:
	s_or_b64 exec, exec, s[2:3]
	s_waitcnt lgkmcnt(0)
	s_barrier
	ds_read2_b32 v[36:37], v32 offset1:16
	ds_read2_b32 v[38:39], v32 offset0:32 offset1:48
	ds_read2_b32 v[40:41], v32 offset0:64 offset1:80
	;; [unrolled: 1-line block ×3, first 2 shown]
	s_waitcnt lgkmcnt(0)
	v_max3_f32 v33, v36, s46, v37
	v_max3_f32 v33, v33, v38, v39
	v_sub_f32_e32 v36, v36, v33
	v_mul_f32_e32 v36, 0x3fb8aa3b, v36
	v_exp_f32_e32 v44, v36
	v_sub_f32_e32 v36, v37, v33
	v_mul_f32_e32 v36, 0x3fb8aa3b, v36
	v_exp_f32_e32 v37, v36
	v_sub_f32_e32 v36, v38, v33
	v_mul_f32_e32 v36, 0x3fb8aa3b, v36
	v_sub_f32_e32 v32, v39, v33
	v_exp_f32_e32 v38, v36
	v_mul_f32_e32 v32, 0x3fb8aa3b, v32
	v_exp_f32_e32 v39, v32
	v_fma_f32 v36, v44, v40, 0
	v_fmac_f32_e32 v36, v37, v41
	v_fmac_f32_e32 v36, v38, v42
	;; [unrolled: 1-line block ×3, first 2 shown]
	v_add_f32_e32 v40, 0x358637bd, v36
	v_div_scale_f32 v41, s[2:3], v40, v40, 1.0
	v_rcp_f32_e32 v42, v41
	s_barrier
	s_mul_i32 s12, s45, 11
	v_fma_f32 v43, -v41, v42, 1.0
	v_fmac_f32_e32 v42, v43, v42
	v_div_scale_f32 v43, vcc, 1.0, v40, 1.0
	v_mul_f32_e32 v45, v43, v42
	v_fma_f32 v50, -v41, v45, v43
	v_fmac_f32_e32 v45, v50, v42
	v_fma_f32 v41, -v41, v45, v43
	v_div_fmas_f32 v41, v41, v42, v45
	v_cmp_eq_u32_e32 vcc, 1, v49
	v_cndmask_b32_e32 v37, v44, v37, vcc
	v_cmp_eq_u32_e32 vcc, 2, v49
	v_cndmask_b32_e32 v37, v37, v38, vcc
	v_cmp_eq_u32_e32 vcc, 3, v49
	v_div_fixup_f32 v40, v41, v40, 1.0
	v_cndmask_b32_e32 v37, v37, v39, vcc
	v_mul_f32_e32 v38, v37, v40
	v_pk_mul_f32 v[28:29], v[38:39], v[28:29] op_sel_hi:[0,1]
	v_cvt_f16_f32_e32 v28, v28
	v_cvt_f16_f32_e32 v29, v29
	v_pk_mul_f32 v[18:19], v[38:39], v[18:19] op_sel_hi:[0,1]
	v_cvt_f16_f32_e32 v18, v18
	v_cvt_f16_f32_e32 v19, v19
	v_pack_b32_f16 v41, v28, v29
	v_pk_mul_f32 v[28:29], v[38:39], v[30:31] op_sel_hi:[0,1]
	v_pk_mul_f32 v[20:21], v[38:39], v[20:21] op_sel_hi:[0,1]
	v_cvt_f16_f32_e32 v20, v20
	v_cvt_f16_f32_e32 v21, v21
	v_cvt_f16_f32_e32 v30, v28
	v_cvt_f16_f32_e32 v29, v29
	v_pack_b32_f16 v40, v18, v19
	v_lshlrev_b32_e32 v18, 3, v1
	v_lshlrev_b32_e32 v19, 5, v48
	;; [unrolled: 1-line block ×3, first 2 shown]
	v_or3_b32 v28, v28, v19, v18
	v_pack_b32_f16 v20, v20, v21
	v_pack_b32_f16 v21, v30, v29
	ds_write2st64_b64 v28, v[40:41], v[20:21] offset1:1
	v_pk_mul_f32 v[20:21], v[38:39], v[34:35] op_sel_hi:[0,1]
	v_pk_mul_f32 v[26:27], v[38:39], v[26:27] op_sel_hi:[0,1]
	v_cvt_f16_f32_e32 v18, v26
	v_cvt_f16_f32_e32 v26, v27
	;; [unrolled: 1-line block ×4, first 2 shown]
	v_pk_mul_f32 v[20:21], v[38:39], v[24:25] op_sel_hi:[0,1]
	v_pk_mul_f32 v[22:23], v[38:39], v[22:23] op_sel_hi:[0,1]
	v_cvt_f16_f32_e32 v22, v22
	v_cvt_f16_f32_e32 v23, v23
	;; [unrolled: 1-line block ×4, first 2 shown]
	v_mov_b32_e32 v32, 0
	v_pack_b32_f16 v20, v18, v26
	v_pack_b32_f16 v21, v27, v29
	;; [unrolled: 1-line block ×4, first 2 shown]
	v_cmp_gt_u32_e32 vcc, 11, v0
	ds_write2st64_b64 v28, v[20:21], v[22:23] offset0:2 offset1:3
	s_and_saveexec_b64 s[2:3], vcc
	s_cbranch_execz .LBB568_399
; %bb.398:
	v_add_co_u32_e32 v22, vcc, s25, v48
	v_addc_co_u32_e64 v23, s[14:15], 0, 0, vcc
	v_mov_b32_e32 v18, s12
	v_mov_b32_e32 v21, 0
	v_mad_u64_u32 v[22:23], s[14:15], s6, v18, v[22:23]
	v_mov_b32_e32 v20, s24
	s_load_dwordx4 s[8:11], s[4:5], 0x58
	s_mul_i32 s7, s7, s12
	v_mad_u64_u32 v[20:21], s[14:15], v22, s44, v[20:21]
	v_add_u32_e32 v23, s7, v23
	v_mov_b32_e32 v18, v21
	v_mad_u64_u32 v[22:23], s[14:15], v23, s44, v[18:19]
	v_mov_b32_e32 v21, v22
	v_lshlrev_b64 v[20:21], 2, v[20:21]
	s_waitcnt lgkmcnt(0)
	v_mov_b32_e32 v18, s11
	v_add_co_u32_e32 v22, vcc, s10, v20
	v_addc_co_u32_e32 v23, vcc, v18, v21, vcc
	v_mov_b32_e32 v18, s9
	v_add_co_u32_e32 v20, vcc, s8, v20
	v_addc_co_u32_e32 v21, vcc, v18, v21, vcc
	global_store_dword v[22:23], v33, off
	global_store_dword v[20:21], v36, off
.LBB568_399:
	s_or_b64 exec, exec, s[2:3]
	v_mov_b32_e32 v20, 0
	s_waitcnt vmcnt(3)
	v_cmp_ne_u16_sdwa s[8:9], v14, v20 src0_sel:BYTE_0 src1_sel:DWORD
	s_waitcnt lgkmcnt(0)
	s_barrier
	s_and_saveexec_b64 s[2:3], s[8:9]
	s_cbranch_execz .LBB568_405
; %bb.400:
	s_movk_i32 s7, 0x80
	v_cmp_ne_u16_sdwa s[10:11], v14, s7 src0_sel:BYTE_0 src1_sel:DWORD
	v_bfrev_b32_e32 v32, 1
	s_and_saveexec_b64 s[8:9], s[10:11]
	s_cbranch_execz .LBB568_404
; %bb.401:
	s_movk_i32 s7, 0x7f
	v_and_b32_e32 v18, 0x7f, v14
	v_cmp_ne_u32_e32 vcc, s7, v18
	v_mov_b32_e32 v32, 0x7f800001
	s_and_saveexec_b64 s[10:11], vcc
	s_cbranch_execz .LBB568_403
; %bb.402:
	v_and_b32_e32 v21, 7, v14
	v_ffbh_u32_e32 v22, v21
	v_min_u32_e32 v25, 32, v22
	v_subrev_u32_e32 v22, 28, v25
	v_lshlrev_b64 v[22:23], v22, v[14:15]
	v_lshrrev_b32_e32 v24, 3, v18
	v_sub_u32_e32 v23, 29, v25
	v_and_b32_e32 v22, 7, v22
	v_cmp_gt_u32_e32 vcc, 8, v18
	v_cndmask_b32_e32 v18, v24, v23, vcc
	v_cndmask_b32_e32 v21, v21, v22, vcc
	v_lshlrev_b32_e32 v22, 24, v14
	v_bfrev_b32_e32 v23, 60
	v_lshlrev_b32_e32 v21, 20, v21
	v_and_b32_e32 v22, 0x80000000, v22
	v_lshl_add_u32 v18, v18, 23, v23
	v_or3_b32 v32, v22, v18, v21
.LBB568_403:
	s_or_b64 exec, exec, s[10:11]
.LBB568_404:
	s_or_b64 exec, exec, s[8:9]
.LBB568_405:
	s_or_b64 exec, exec, s[2:3]
	v_lshrrev_b16_e32 v18, 8, v14
	v_cmp_ne_u16_e32 vcc, 0, v18
	v_mov_b32_e32 v21, 0
	s_and_saveexec_b64 s[2:3], vcc
	s_cbranch_execz .LBB568_411
; %bb.406:
	s_movk_i32 s7, 0x80
	v_cmp_ne_u16_e32 vcc, s7, v18
	v_bfrev_b32_e32 v21, 1
	s_and_saveexec_b64 s[8:9], vcc
	s_cbranch_execz .LBB568_410
; %bb.407:
	s_movk_i32 s7, 0x7f
	v_and_b32_e32 v22, 0x7f, v18
	v_cmp_ne_u32_e32 vcc, s7, v22
	v_mov_b32_e32 v21, 0x7f800001
	s_and_saveexec_b64 s[10:11], vcc
	s_cbranch_execz .LBB568_409
; %bb.408:
	v_and_b32_e32 v21, 7, v18
	v_ffbh_u32_e32 v24, v21
	v_min_u32_e32 v26, 32, v24
	v_subrev_u32_e32 v24, 28, v26
	v_lshlrev_b64 v[24:25], v24, v[18:19]
	v_lshrrev_b32_e32 v23, 3, v22
	v_sub_u32_e32 v18, 29, v26
	v_and_b32_e32 v24, 7, v24
	v_cmp_gt_u32_e32 vcc, 8, v22
	v_cndmask_b32_e32 v18, v23, v18, vcc
	v_cndmask_b32_e32 v21, v21, v24, vcc
	v_lshlrev_b32_e32 v22, 16, v14
	v_bfrev_b32_e32 v23, 60
	v_lshlrev_b32_e32 v21, 20, v21
	v_and_b32_e32 v22, 0x80000000, v22
	v_lshl_add_u32 v18, v18, 23, v23
	v_or3_b32 v21, v22, v18, v21
.LBB568_409:
	s_or_b64 exec, exec, s[10:11]
.LBB568_410:
	s_or_b64 exec, exec, s[8:9]
.LBB568_411:
	s_or_b64 exec, exec, s[2:3]
	s_movk_i32 s2, 0xff
	v_and_b32_sdwa v22, v14, s2 dst_sel:DWORD dst_unused:UNUSED_PAD src0_sel:WORD_1 src1_sel:DWORD
	v_lshrrev_b32_e32 v18, 16, v14
	v_cmp_ne_u16_e32 vcc, 0, v22
	s_and_saveexec_b64 s[2:3], vcc
	s_cbranch_execz .LBB568_417
; %bb.412:
	s_movk_i32 s7, 0x80
	v_cmp_ne_u16_e32 vcc, s7, v22
	v_bfrev_b32_e32 v20, 1
	s_and_saveexec_b64 s[8:9], vcc
	s_cbranch_execz .LBB568_416
; %bb.413:
	v_bfe_u32 v22, v14, 16, 7
	s_movk_i32 s7, 0x7f
	v_cmp_ne_u32_e32 vcc, s7, v22
	v_mov_b32_e32 v20, 0x7f800001
	s_and_saveexec_b64 s[10:11], vcc
	s_cbranch_execz .LBB568_415
; %bb.414:
	v_and_b32_e32 v20, 7, v18
	v_ffbh_u32_e32 v24, v20
	v_min_u32_e32 v26, 32, v24
	v_subrev_u32_e32 v24, 28, v26
	v_lshlrev_b64 v[24:25], v24, v[18:19]
	v_lshrrev_b32_e32 v23, 3, v22
	v_sub_u32_e32 v18, 29, v26
	v_and_b32_e32 v24, 7, v24
	v_cmp_gt_u32_e32 vcc, 8, v22
	v_mov_b32_e32 v22, 24
	v_cndmask_b32_e32 v18, v23, v18, vcc
	v_cndmask_b32_e32 v20, v20, v24, vcc
	v_lshlrev_b32_sdwa v22, v22, v14 dst_sel:DWORD dst_unused:UNUSED_PAD src0_sel:DWORD src1_sel:WORD_1
	v_bfrev_b32_e32 v23, 60
	v_lshlrev_b32_e32 v20, 20, v20
	v_and_b32_e32 v22, 0x80000000, v22
	v_lshl_add_u32 v18, v18, 23, v23
	v_or3_b32 v20, v22, v18, v20
.LBB568_415:
	s_or_b64 exec, exec, s[10:11]
.LBB568_416:
	s_or_b64 exec, exec, s[8:9]
.LBB568_417:
	s_or_b64 exec, exec, s[2:3]
	s_mov_b32 s2, 0xffffff
	v_cmp_lt_u32_e32 vcc, s2, v14
	v_mov_b32_e32 v24, 0
	v_mov_b32_e32 v22, 0
	s_and_saveexec_b64 s[2:3], vcc
	s_cbranch_execz .LBB568_423
; %bb.418:
	v_lshrrev_b32_e32 v18, 24, v14
	s_movk_i32 s7, 0x80
	v_cmp_ne_u32_e32 vcc, s7, v18
	v_bfrev_b32_e32 v22, 1
	s_and_saveexec_b64 s[8:9], vcc
	s_cbranch_execz .LBB568_422
; %bb.419:
	v_bfe_u32 v14, v14, 24, 7
	s_movk_i32 s7, 0x7f
	v_cmp_ne_u32_e32 vcc, s7, v14
	v_mov_b32_e32 v22, 0x7f800001
	s_and_saveexec_b64 s[10:11], vcc
	s_cbranch_execz .LBB568_421
; %bb.420:
	v_and_b32_e32 v25, 7, v18
	v_ffbh_u32_e32 v22, v25
	v_min_u32_e32 v27, 32, v22
	v_subrev_u32_e32 v22, 28, v27
	v_lshlrev_b64 v[22:23], v22, v[18:19]
	v_lshrrev_b32_e32 v26, 3, v14
	v_sub_u32_e32 v23, 29, v27
	v_and_b32_e32 v22, 7, v22
	v_cmp_gt_u32_e32 vcc, 8, v14
	v_cndmask_b32_e32 v14, v26, v23, vcc
	v_cndmask_b32_e32 v22, v25, v22, vcc
	v_lshlrev_b32_e32 v18, 24, v18
	v_bfrev_b32_e32 v23, 60
	v_lshlrev_b32_e32 v22, 20, v22
	v_and_b32_e32 v18, 0x80000000, v18
	v_lshl_add_u32 v14, v14, 23, v23
	v_or3_b32 v22, v18, v14, v22
.LBB568_421:
	s_or_b64 exec, exec, s[10:11]
.LBB568_422:
	s_or_b64 exec, exec, s[8:9]
.LBB568_423:
	s_or_b64 exec, exec, s[2:3]
	v_cmp_ne_u16_sdwa s[8:9], v15, v24 src0_sel:BYTE_0 src1_sel:DWORD
	s_and_saveexec_b64 s[2:3], s[8:9]
	s_cbranch_execz .LBB568_429
; %bb.424:
	s_movk_i32 s7, 0x80
	v_cmp_ne_u16_sdwa s[10:11], v15, s7 src0_sel:BYTE_0 src1_sel:DWORD
	v_bfrev_b32_e32 v24, 1
	s_and_saveexec_b64 s[8:9], s[10:11]
	s_cbranch_execz .LBB568_428
; %bb.425:
	s_movk_i32 s7, 0x7f
	v_and_b32_e32 v14, 0x7f, v15
	v_cmp_ne_u32_e32 vcc, s7, v14
	v_mov_b32_e32 v24, 0x7f800001
	s_and_saveexec_b64 s[10:11], vcc
	s_cbranch_execz .LBB568_427
; %bb.426:
	v_and_b32_e32 v23, 7, v15
	v_ffbh_u32_e32 v24, v23
	v_min_u32_e32 v27, 32, v24
	v_mov_b32_e32 v18, v15
	v_subrev_u32_e32 v24, 28, v27
	v_lshlrev_b64 v[24:25], v24, v[18:19]
	v_lshrrev_b32_e32 v26, 3, v14
	v_sub_u32_e32 v18, 29, v27
	v_and_b32_e32 v24, 7, v24
	v_cmp_gt_u32_e32 vcc, 8, v14
	v_cndmask_b32_e32 v14, v26, v18, vcc
	v_cndmask_b32_e32 v18, v23, v24, vcc
	v_lshlrev_b32_e32 v23, 24, v15
	v_bfrev_b32_e32 v24, 60
	v_lshlrev_b32_e32 v18, 20, v18
	v_and_b32_e32 v23, 0x80000000, v23
	v_lshl_add_u32 v14, v14, 23, v24
	v_or3_b32 v24, v23, v14, v18
.LBB568_427:
	s_or_b64 exec, exec, s[10:11]
.LBB568_428:
	s_or_b64 exec, exec, s[8:9]
.LBB568_429:
	s_or_b64 exec, exec, s[2:3]
	v_lshrrev_b16_e32 v14, 8, v15
	v_cmp_ne_u16_e32 vcc, 0, v14
	v_mov_b32_e32 v18, 0
	v_mov_b32_e32 v25, 0
	s_and_saveexec_b64 s[2:3], vcc
	s_cbranch_execz .LBB568_435
; %bb.430:
	s_movk_i32 s7, 0x80
	v_cmp_ne_u16_e32 vcc, s7, v14
	v_bfrev_b32_e32 v25, 1
	s_and_saveexec_b64 s[8:9], vcc
	s_cbranch_execz .LBB568_434
; %bb.431:
	s_movk_i32 s7, 0x7f
	v_and_b32_e32 v23, 0x7f, v14
	v_cmp_ne_u32_e32 vcc, s7, v23
	v_mov_b32_e32 v25, 0x7f800001
	s_and_saveexec_b64 s[10:11], vcc
	s_cbranch_execz .LBB568_433
; %bb.432:
	v_and_b32_e32 v25, 7, v14
	v_ffbh_u32_e32 v26, v25
	v_min_u32_e32 v30, 32, v26
	v_subrev_u32_e32 v26, 28, v30
	v_lshlrev_b64 v[26:27], v26, v[14:15]
	v_lshrrev_b32_e32 v29, 3, v23
	v_sub_u32_e32 v14, 29, v30
	v_and_b32_e32 v26, 7, v26
	v_cmp_gt_u32_e32 vcc, 8, v23
	v_cndmask_b32_e32 v14, v29, v14, vcc
	v_cndmask_b32_e32 v23, v25, v26, vcc
	v_lshlrev_b32_e32 v25, 16, v15
	v_bfrev_b32_e32 v26, 60
	v_lshlrev_b32_e32 v23, 20, v23
	v_and_b32_e32 v25, 0x80000000, v25
	v_lshl_add_u32 v14, v14, 23, v26
	v_or3_b32 v25, v25, v14, v23
.LBB568_433:
	s_or_b64 exec, exec, s[10:11]
.LBB568_434:
	s_or_b64 exec, exec, s[8:9]
.LBB568_435:
	s_or_b64 exec, exec, s[2:3]
	s_movk_i32 s2, 0xff
	v_and_b32_sdwa v23, v15, s2 dst_sel:DWORD dst_unused:UNUSED_PAD src0_sel:WORD_1 src1_sel:DWORD
	v_lshrrev_b32_e32 v14, 16, v15
	v_cmp_ne_u16_e32 vcc, 0, v23
	s_and_saveexec_b64 s[2:3], vcc
	s_cbranch_execz .LBB568_441
; %bb.436:
	s_movk_i32 s7, 0x80
	v_cmp_ne_u16_e32 vcc, s7, v23
	v_bfrev_b32_e32 v18, 1
	s_and_saveexec_b64 s[8:9], vcc
	s_cbranch_execz .LBB568_440
; %bb.437:
	v_bfe_u32 v23, v15, 16, 7
	s_movk_i32 s7, 0x7f
	v_cmp_ne_u32_e32 vcc, s7, v23
	v_mov_b32_e32 v18, 0x7f800001
	s_and_saveexec_b64 s[10:11], vcc
	s_cbranch_execz .LBB568_439
; %bb.438:
	v_and_b32_e32 v18, 7, v14
	v_ffbh_u32_e32 v26, v18
	v_min_u32_e32 v30, 32, v26
	v_subrev_u32_e32 v26, 28, v30
	v_lshlrev_b64 v[26:27], v26, v[14:15]
	v_lshrrev_b32_e32 v29, 3, v23
	v_sub_u32_e32 v14, 29, v30
	v_and_b32_e32 v26, 7, v26
	v_cmp_gt_u32_e32 vcc, 8, v23
	v_mov_b32_e32 v23, 24
	v_cndmask_b32_e32 v14, v29, v14, vcc
	v_cndmask_b32_e32 v18, v18, v26, vcc
	v_lshlrev_b32_sdwa v23, v23, v15 dst_sel:DWORD dst_unused:UNUSED_PAD src0_sel:DWORD src1_sel:WORD_1
	v_bfrev_b32_e32 v26, 60
	v_lshlrev_b32_e32 v18, 20, v18
	v_and_b32_e32 v23, 0x80000000, v23
	v_lshl_add_u32 v14, v14, 23, v26
	v_or3_b32 v18, v23, v14, v18
.LBB568_439:
	s_or_b64 exec, exec, s[10:11]
.LBB568_440:
	s_or_b64 exec, exec, s[8:9]
.LBB568_441:
	s_or_b64 exec, exec, s[2:3]
	s_mov_b32 s2, 0xffffff
	v_cmp_lt_u32_e32 vcc, s2, v15
	v_mov_b32_e32 v23, 0
	v_mov_b32_e32 v26, 0
	s_and_saveexec_b64 s[2:3], vcc
	s_cbranch_execz .LBB568_447
; %bb.442:
	v_lshrrev_b32_e32 v14, 24, v15
	s_movk_i32 s7, 0x80
	v_cmp_ne_u32_e32 vcc, s7, v14
	v_bfrev_b32_e32 v26, 1
	s_and_saveexec_b64 s[8:9], vcc
	s_cbranch_execz .LBB568_446
; %bb.443:
	v_bfe_u32 v15, v15, 24, 7
	s_movk_i32 s7, 0x7f
	v_cmp_ne_u32_e32 vcc, s7, v15
	v_mov_b32_e32 v26, 0x7f800001
	s_and_saveexec_b64 s[10:11], vcc
	s_cbranch_execz .LBB568_445
; %bb.444:
	v_and_b32_e32 v29, 7, v14
	v_ffbh_u32_e32 v26, v29
	v_min_u32_e32 v31, 32, v26
	v_subrev_u32_e32 v26, 28, v31
	v_lshlrev_b64 v[26:27], v26, v[14:15]
	v_lshrrev_b32_e32 v30, 3, v15
	v_sub_u32_e32 v27, 29, v31
	v_and_b32_e32 v26, 7, v26
	v_cmp_gt_u32_e32 vcc, 8, v15
	v_cndmask_b32_e32 v15, v30, v27, vcc
	v_cndmask_b32_e32 v26, v29, v26, vcc
	v_lshlrev_b32_e32 v14, 24, v14
	v_bfrev_b32_e32 v27, 60
	v_lshlrev_b32_e32 v26, 20, v26
	v_and_b32_e32 v14, 0x80000000, v14
	v_lshl_add_u32 v15, v15, 23, v27
	v_or3_b32 v26, v14, v15, v26
.LBB568_445:
	s_or_b64 exec, exec, s[10:11]
.LBB568_446:
	s_or_b64 exec, exec, s[8:9]
.LBB568_447:
	s_or_b64 exec, exec, s[2:3]
	v_cvt_pkrtz_f16_f32 v15, v20, v22
	v_lshl_or_b32 v22, v1, 9, v19
	v_cvt_pkrtz_f16_f32 v14, v32, v21
	ds_read_b128 v[30:33], v22
	v_cmp_ne_u16_sdwa s[8:9], v16, v23 src0_sel:BYTE_0 src1_sel:DWORD
	s_waitcnt lgkmcnt(0)
	v_mfma_f32_16x16x16f16 v[34:37], v[14:15], v[30:31], 0
	v_cvt_pkrtz_f16_f32 v14, v24, v25
	v_cvt_pkrtz_f16_f32 v15, v18, v26
	s_nop 1
	v_mfma_f32_16x16x16f16 v[18:21], v[14:15], v[32:33], v[34:37]
	s_and_saveexec_b64 s[2:3], s[8:9]
	s_cbranch_execz .LBB568_453
; %bb.448:
	s_movk_i32 s7, 0x80
	v_cmp_ne_u16_sdwa s[10:11], v16, s7 src0_sel:BYTE_0 src1_sel:DWORD
	v_bfrev_b32_e32 v23, 1
	s_and_saveexec_b64 s[8:9], s[10:11]
	s_cbranch_execz .LBB568_452
; %bb.449:
	s_movk_i32 s7, 0x7f
	v_and_b32_e32 v14, 0x7f, v16
	v_cmp_ne_u32_e32 vcc, s7, v14
	v_mov_b32_e32 v23, 0x7f800001
	s_and_saveexec_b64 s[10:11], vcc
	s_cbranch_execz .LBB568_451
; %bb.450:
	v_and_b32_e32 v15, 7, v16
	v_ffbh_u32_e32 v24, v15
	v_min_u32_e32 v26, 32, v24
	v_subrev_u32_e32 v24, 28, v26
	v_lshlrev_b64 v[24:25], v24, v[16:17]
	v_lshrrev_b32_e32 v23, 3, v14
	v_sub_u32_e32 v25, 29, v26
	v_and_b32_e32 v24, 7, v24
	v_cmp_gt_u32_e32 vcc, 8, v14
	v_cndmask_b32_e32 v14, v23, v25, vcc
	v_cndmask_b32_e32 v15, v15, v24, vcc
	v_lshlrev_b32_e32 v23, 24, v16
	v_bfrev_b32_e32 v24, 60
	v_lshlrev_b32_e32 v15, 20, v15
	v_and_b32_e32 v23, 0x80000000, v23
	v_lshl_add_u32 v14, v14, 23, v24
	v_or3_b32 v23, v23, v14, v15
.LBB568_451:
	s_or_b64 exec, exec, s[10:11]
.LBB568_452:
	s_or_b64 exec, exec, s[8:9]
.LBB568_453:
	s_or_b64 exec, exec, s[2:3]
	v_lshrrev_b16_e32 v14, 8, v16
	v_cmp_ne_u16_e32 vcc, 0, v14
	v_mov_b32_e32 v15, 0
	v_mov_b32_e32 v25, 0
	s_and_saveexec_b64 s[2:3], vcc
	s_cbranch_execz .LBB568_459
; %bb.454:
	s_movk_i32 s7, 0x80
	v_cmp_ne_u16_e32 vcc, s7, v14
	v_bfrev_b32_e32 v25, 1
	s_and_saveexec_b64 s[8:9], vcc
	s_cbranch_execz .LBB568_458
; %bb.455:
	s_movk_i32 s7, 0x7f
	v_and_b32_e32 v24, 0x7f, v14
	v_cmp_ne_u32_e32 vcc, s7, v24
	v_mov_b32_e32 v25, 0x7f800001
	s_and_saveexec_b64 s[10:11], vcc
	s_cbranch_execz .LBB568_457
; %bb.456:
	v_and_b32_e32 v25, 7, v14
	v_ffbh_u32_e32 v26, v25
	v_min_u32_e32 v30, 32, v26
	v_subrev_u32_e32 v26, 28, v30
	v_lshlrev_b64 v[26:27], v26, v[14:15]
	v_lshrrev_b32_e32 v29, 3, v24
	v_sub_u32_e32 v14, 29, v30
	v_and_b32_e32 v26, 7, v26
	v_cmp_gt_u32_e32 vcc, 8, v24
	v_cndmask_b32_e32 v14, v29, v14, vcc
	v_cndmask_b32_e32 v24, v25, v26, vcc
	v_lshlrev_b32_e32 v25, 16, v16
	v_bfrev_b32_e32 v26, 60
	v_lshlrev_b32_e32 v24, 20, v24
	v_and_b32_e32 v25, 0x80000000, v25
	v_lshl_add_u32 v14, v14, 23, v26
	v_or3_b32 v25, v25, v14, v24
.LBB568_457:
	s_or_b64 exec, exec, s[10:11]
.LBB568_458:
	s_or_b64 exec, exec, s[8:9]
.LBB568_459:
	s_or_b64 exec, exec, s[2:3]
	s_movk_i32 s2, 0xff
	v_and_b32_sdwa v24, v16, s2 dst_sel:DWORD dst_unused:UNUSED_PAD src0_sel:WORD_1 src1_sel:DWORD
	v_lshrrev_b32_e32 v14, 16, v16
	v_cmp_ne_u16_e32 vcc, 0, v24
	s_and_saveexec_b64 s[2:3], vcc
	s_cbranch_execz .LBB568_465
; %bb.460:
	s_movk_i32 s7, 0x80
	v_cmp_ne_u16_e32 vcc, s7, v24
	v_bfrev_b32_e32 v15, 1
	s_and_saveexec_b64 s[8:9], vcc
	s_cbranch_execz .LBB568_464
; %bb.461:
	v_bfe_u32 v24, v16, 16, 7
	s_movk_i32 s7, 0x7f
	v_cmp_ne_u32_e32 vcc, s7, v24
	v_mov_b32_e32 v15, 0x7f800001
	s_and_saveexec_b64 s[10:11], vcc
	s_cbranch_execz .LBB568_463
; %bb.462:
	v_and_b32_e32 v26, 7, v14
	v_ffbh_u32_e32 v15, v26
	v_min_u32_e32 v29, 32, v15
	v_subrev_u32_e32 v15, 28, v29
	v_lshlrev_b64 v[14:15], v15, v[14:15]
	v_lshrrev_b32_e32 v27, 3, v24
	v_sub_u32_e32 v15, 29, v29
	v_and_b32_e32 v14, 7, v14
	v_cmp_gt_u32_e32 vcc, 8, v24
	v_mov_b32_e32 v24, 24
	v_cndmask_b32_e32 v15, v27, v15, vcc
	v_cndmask_b32_e32 v14, v26, v14, vcc
	v_lshlrev_b32_sdwa v24, v24, v16 dst_sel:DWORD dst_unused:UNUSED_PAD src0_sel:DWORD src1_sel:WORD_1
	v_bfrev_b32_e32 v26, 60
	v_lshlrev_b32_e32 v14, 20, v14
	v_and_b32_e32 v24, 0x80000000, v24
	v_lshl_add_u32 v15, v15, 23, v26
	v_or3_b32 v15, v24, v15, v14
.LBB568_463:
	s_or_b64 exec, exec, s[10:11]
.LBB568_464:
	s_or_b64 exec, exec, s[8:9]
.LBB568_465:
	s_or_b64 exec, exec, s[2:3]
	s_mov_b32 s2, 0xffffff
	v_cmp_lt_u32_e32 vcc, s2, v16
	v_mov_b32_e32 v26, 0
	v_mov_b32_e32 v27, 0
	s_and_saveexec_b64 s[2:3], vcc
	s_cbranch_execz .LBB568_471
; %bb.466:
	v_lshrrev_b32_e32 v14, 24, v16
	s_movk_i32 s7, 0x80
	v_cmp_ne_u32_e32 vcc, s7, v14
	v_bfrev_b32_e32 v27, 1
	s_and_saveexec_b64 s[8:9], vcc
	s_cbranch_execz .LBB568_470
; %bb.467:
	v_bfe_u32 v16, v16, 24, 7
	s_movk_i32 s7, 0x7f
	v_cmp_ne_u32_e32 vcc, s7, v16
	v_mov_b32_e32 v27, 0x7f800001
	s_and_saveexec_b64 s[10:11], vcc
	s_cbranch_execz .LBB568_469
; %bb.468:
	v_and_b32_e32 v24, 7, v14
	v_ffbh_u32_e32 v29, v24
	v_min_u32_e32 v29, 32, v29
	v_subrev_u32_e32 v30, 28, v29
	v_lshlrev_b64 v[30:31], v30, v[14:15]
	v_lshrrev_b32_e32 v27, 3, v16
	v_sub_u32_e32 v29, 29, v29
	v_and_b32_e32 v30, 7, v30
	v_cmp_gt_u32_e32 vcc, 8, v16
	v_cndmask_b32_e32 v16, v27, v29, vcc
	v_cndmask_b32_e32 v24, v24, v30, vcc
	v_lshlrev_b32_e32 v14, 24, v14
	v_bfrev_b32_e32 v27, 60
	v_lshlrev_b32_e32 v24, 20, v24
	v_and_b32_e32 v14, 0x80000000, v14
	v_lshl_add_u32 v16, v16, 23, v27
	v_or3_b32 v27, v14, v16, v24
.LBB568_469:
	s_or_b64 exec, exec, s[10:11]
.LBB568_470:
	s_or_b64 exec, exec, s[8:9]
.LBB568_471:
	s_or_b64 exec, exec, s[2:3]
	v_cmp_ne_u16_sdwa s[8:9], v17, v26 src0_sel:BYTE_0 src1_sel:DWORD
	s_and_saveexec_b64 s[2:3], s[8:9]
	s_cbranch_execz .LBB568_477
; %bb.472:
	s_movk_i32 s7, 0x80
	v_cmp_ne_u16_sdwa s[10:11], v17, s7 src0_sel:BYTE_0 src1_sel:DWORD
	v_bfrev_b32_e32 v26, 1
	s_and_saveexec_b64 s[8:9], s[10:11]
	s_cbranch_execz .LBB568_476
; %bb.473:
	s_movk_i32 s7, 0x7f
	v_and_b32_e32 v14, 0x7f, v17
	v_cmp_ne_u32_e32 vcc, s7, v14
	v_mov_b32_e32 v26, 0x7f800001
	s_and_saveexec_b64 s[10:11], vcc
	s_cbranch_execz .LBB568_475
; %bb.474:
	v_and_b32_e32 v24, 7, v17
	v_ffbh_u32_e32 v29, v24
	v_min_u32_e32 v29, 32, v29
	v_mov_b32_e32 v16, v17
	v_subrev_u32_e32 v30, 28, v29
	v_lshlrev_b64 v[30:31], v30, v[16:17]
	v_lshrrev_b32_e32 v26, 3, v14
	v_sub_u32_e32 v16, 29, v29
	v_and_b32_e32 v29, 7, v30
	v_cmp_gt_u32_e32 vcc, 8, v14
	v_cndmask_b32_e32 v14, v26, v16, vcc
	v_cndmask_b32_e32 v16, v24, v29, vcc
	v_lshlrev_b32_e32 v24, 24, v17
	v_bfrev_b32_e32 v26, 60
	v_lshlrev_b32_e32 v16, 20, v16
	v_and_b32_e32 v24, 0x80000000, v24
	v_lshl_add_u32 v14, v14, 23, v26
	v_or3_b32 v26, v24, v14, v16
.LBB568_475:
	s_or_b64 exec, exec, s[10:11]
.LBB568_476:
	s_or_b64 exec, exec, s[8:9]
.LBB568_477:
	s_or_b64 exec, exec, s[2:3]
	v_lshrrev_b16_e32 v14, 8, v17
	v_cmp_ne_u16_e32 vcc, 0, v14
	v_mov_b32_e32 v16, 0
	v_mov_b32_e32 v29, 0
	s_and_saveexec_b64 s[2:3], vcc
	s_cbranch_execz .LBB568_483
; %bb.478:
	s_movk_i32 s7, 0x80
	v_cmp_ne_u16_e32 vcc, s7, v14
	v_bfrev_b32_e32 v29, 1
	s_and_saveexec_b64 s[8:9], vcc
	s_cbranch_execz .LBB568_482
; %bb.479:
	s_movk_i32 s7, 0x7f
	v_and_b32_e32 v24, 0x7f, v14
	v_cmp_ne_u32_e32 vcc, s7, v24
	v_mov_b32_e32 v29, 0x7f800001
	s_and_saveexec_b64 s[10:11], vcc
	s_cbranch_execz .LBB568_481
; %bb.480:
	v_and_b32_e32 v29, 7, v14
	v_ffbh_u32_e32 v30, v29
	v_min_u32_e32 v33, 32, v30
	v_subrev_u32_e32 v30, 28, v33
	v_lshlrev_b64 v[30:31], v30, v[14:15]
	v_lshrrev_b32_e32 v32, 3, v24
	v_sub_u32_e32 v14, 29, v33
	v_and_b32_e32 v30, 7, v30
	v_cmp_gt_u32_e32 vcc, 8, v24
	v_cndmask_b32_e32 v14, v32, v14, vcc
	v_cndmask_b32_e32 v24, v29, v30, vcc
	v_lshlrev_b32_e32 v29, 16, v17
	v_bfrev_b32_e32 v30, 60
	v_lshlrev_b32_e32 v24, 20, v24
	v_and_b32_e32 v29, 0x80000000, v29
	v_lshl_add_u32 v14, v14, 23, v30
	v_or3_b32 v29, v29, v14, v24
.LBB568_481:
	s_or_b64 exec, exec, s[10:11]
.LBB568_482:
	s_or_b64 exec, exec, s[8:9]
.LBB568_483:
	s_or_b64 exec, exec, s[2:3]
	s_movk_i32 s2, 0xff
	v_and_b32_sdwa v24, v17, s2 dst_sel:DWORD dst_unused:UNUSED_PAD src0_sel:WORD_1 src1_sel:DWORD
	v_lshrrev_b32_e32 v14, 16, v17
	v_cmp_ne_u16_e32 vcc, 0, v24
	s_and_saveexec_b64 s[2:3], vcc
	s_cbranch_execz .LBB568_489
; %bb.484:
	s_movk_i32 s7, 0x80
	v_cmp_ne_u16_e32 vcc, s7, v24
	v_bfrev_b32_e32 v16, 1
	s_and_saveexec_b64 s[8:9], vcc
	s_cbranch_execz .LBB568_488
; %bb.485:
	v_bfe_u32 v24, v17, 16, 7
	s_movk_i32 s7, 0x7f
	v_cmp_ne_u32_e32 vcc, s7, v24
	v_mov_b32_e32 v16, 0x7f800001
	s_and_saveexec_b64 s[10:11], vcc
	s_cbranch_execz .LBB568_487
; %bb.486:
	v_and_b32_e32 v16, 7, v14
	v_ffbh_u32_e32 v30, v16
	v_min_u32_e32 v33, 32, v30
	v_subrev_u32_e32 v30, 28, v33
	v_lshlrev_b64 v[30:31], v30, v[14:15]
	v_lshrrev_b32_e32 v32, 3, v24
	v_sub_u32_e32 v14, 29, v33
	v_and_b32_e32 v30, 7, v30
	v_cmp_gt_u32_e32 vcc, 8, v24
	v_mov_b32_e32 v24, 24
	v_cndmask_b32_e32 v14, v32, v14, vcc
	v_cndmask_b32_e32 v16, v16, v30, vcc
	v_lshlrev_b32_sdwa v24, v24, v17 dst_sel:DWORD dst_unused:UNUSED_PAD src0_sel:DWORD src1_sel:WORD_1
	v_bfrev_b32_e32 v30, 60
	v_lshlrev_b32_e32 v16, 20, v16
	v_and_b32_e32 v24, 0x80000000, v24
	v_lshl_add_u32 v14, v14, 23, v30
	v_or3_b32 v16, v24, v14, v16
.LBB568_487:
	s_or_b64 exec, exec, s[10:11]
.LBB568_488:
	s_or_b64 exec, exec, s[8:9]
.LBB568_489:
	s_or_b64 exec, exec, s[2:3]
	s_mov_b32 s2, 0xffffff
	v_cmp_lt_u32_e32 vcc, s2, v17
	v_mov_b32_e32 v24, 0
	v_mov_b32_e32 v30, 0
	s_and_saveexec_b64 s[2:3], vcc
	s_cbranch_execz .LBB568_495
; %bb.490:
	v_lshrrev_b32_e32 v14, 24, v17
	s_movk_i32 s7, 0x80
	v_cmp_ne_u32_e32 vcc, s7, v14
	v_bfrev_b32_e32 v30, 1
	s_and_saveexec_b64 s[8:9], vcc
	s_cbranch_execz .LBB568_494
; %bb.491:
	v_bfe_u32 v17, v17, 24, 7
	s_movk_i32 s7, 0x7f
	v_cmp_ne_u32_e32 vcc, s7, v17
	v_mov_b32_e32 v30, 0x7f800001
	s_and_saveexec_b64 s[10:11], vcc
	s_cbranch_execz .LBB568_493
; %bb.492:
	v_and_b32_e32 v32, 7, v14
	v_ffbh_u32_e32 v30, v32
	v_min_u32_e32 v34, 32, v30
	v_subrev_u32_e32 v30, 28, v34
	v_lshlrev_b64 v[30:31], v30, v[14:15]
	v_lshrrev_b32_e32 v33, 3, v17
	v_sub_u32_e32 v31, 29, v34
	v_and_b32_e32 v30, 7, v30
	v_cmp_gt_u32_e32 vcc, 8, v17
	v_cndmask_b32_e32 v17, v33, v31, vcc
	v_cndmask_b32_e32 v30, v32, v30, vcc
	v_lshlrev_b32_e32 v14, 24, v14
	v_bfrev_b32_e32 v31, 60
	v_lshlrev_b32_e32 v30, 20, v30
	v_and_b32_e32 v14, 0x80000000, v14
	v_lshl_add_u32 v17, v17, 23, v31
	v_or3_b32 v30, v14, v17, v30
.LBB568_493:
	s_or_b64 exec, exec, s[10:11]
.LBB568_494:
	s_or_b64 exec, exec, s[8:9]
.LBB568_495:
	s_or_b64 exec, exec, s[2:3]
	v_cvt_pkrtz_f16_f32 v14, v23, v25
	v_cvt_pkrtz_f16_f32 v15, v15, v27
	ds_read_b128 v[32:35], v22 offset:16
	s_waitcnt vmcnt(2)
	v_cmp_ne_u16_sdwa s[8:9], v10, v24 src0_sel:BYTE_0 src1_sel:DWORD
	s_waitcnt lgkmcnt(0)
	v_mfma_f32_16x16x16f16 v[18:21], v[14:15], v[32:33], v[18:21]
	v_cvt_pkrtz_f16_f32 v14, v26, v29
	v_cvt_pkrtz_f16_f32 v15, v16, v30
	s_nop 1
	v_mfma_f32_16x16x16f16 v[14:17], v[14:15], v[34:35], v[18:21]
	s_and_saveexec_b64 s[2:3], s[8:9]
	s_cbranch_execz .LBB568_501
; %bb.496:
	s_movk_i32 s7, 0x80
	v_cmp_ne_u16_sdwa s[10:11], v10, s7 src0_sel:BYTE_0 src1_sel:DWORD
	v_bfrev_b32_e32 v24, 1
	s_and_saveexec_b64 s[8:9], s[10:11]
	s_cbranch_execz .LBB568_500
; %bb.497:
	s_movk_i32 s7, 0x7f
	v_and_b32_e32 v18, 0x7f, v10
	v_cmp_ne_u32_e32 vcc, s7, v18
	v_mov_b32_e32 v24, 0x7f800001
	s_and_saveexec_b64 s[10:11], vcc
	s_cbranch_execz .LBB568_499
; %bb.498:
	v_and_b32_e32 v19, 7, v10
	v_ffbh_u32_e32 v20, v19
	v_min_u32_e32 v24, 32, v20
	v_subrev_u32_e32 v20, 28, v24
	v_lshlrev_b64 v[20:21], v20, v[10:11]
	v_lshrrev_b32_e32 v23, 3, v18
	v_sub_u32_e32 v21, 29, v24
	v_and_b32_e32 v20, 7, v20
	v_cmp_gt_u32_e32 vcc, 8, v18
	v_cndmask_b32_e32 v18, v23, v21, vcc
	v_cndmask_b32_e32 v19, v19, v20, vcc
	v_lshlrev_b32_e32 v20, 24, v10
	v_bfrev_b32_e32 v21, 60
	v_lshlrev_b32_e32 v19, 20, v19
	v_and_b32_e32 v20, 0x80000000, v20
	v_lshl_add_u32 v18, v18, 23, v21
	v_or3_b32 v24, v20, v18, v19
.LBB568_499:
	s_or_b64 exec, exec, s[10:11]
.LBB568_500:
	s_or_b64 exec, exec, s[8:9]
.LBB568_501:
	s_or_b64 exec, exec, s[2:3]
	s_nop 3
	v_lshrrev_b16_e32 v18, 8, v10
	v_cmp_ne_u16_e32 vcc, 0, v18
	v_mov_b32_e32 v19, 0
	v_mov_b32_e32 v20, 0
	s_and_saveexec_b64 s[2:3], vcc
	s_cbranch_execz .LBB568_507
; %bb.502:
	s_movk_i32 s7, 0x80
	v_cmp_ne_u16_e32 vcc, s7, v18
	v_bfrev_b32_e32 v20, 1
	s_and_saveexec_b64 s[8:9], vcc
	s_cbranch_execz .LBB568_506
; %bb.503:
	s_movk_i32 s7, 0x7f
	v_and_b32_e32 v21, 0x7f, v18
	v_cmp_ne_u32_e32 vcc, s7, v21
	v_mov_b32_e32 v20, 0x7f800001
	s_and_saveexec_b64 s[10:11], vcc
	s_cbranch_execz .LBB568_505
; %bb.504:
	v_and_b32_e32 v20, 7, v18
	v_ffbh_u32_e32 v25, v20
	v_min_u32_e32 v25, 32, v25
	v_subrev_u32_e32 v26, 28, v25
	v_lshlrev_b64 v[26:27], v26, v[18:19]
	v_lshrrev_b32_e32 v23, 3, v21
	v_sub_u32_e32 v18, 29, v25
	v_and_b32_e32 v25, 7, v26
	v_cmp_gt_u32_e32 vcc, 8, v21
	v_cndmask_b32_e32 v18, v23, v18, vcc
	v_cndmask_b32_e32 v20, v20, v25, vcc
	v_lshlrev_b32_e32 v21, 16, v10
	v_bfrev_b32_e32 v23, 60
	v_lshlrev_b32_e32 v20, 20, v20
	v_and_b32_e32 v21, 0x80000000, v21
	v_lshl_add_u32 v18, v18, 23, v23
	v_or3_b32 v20, v21, v18, v20
.LBB568_505:
	s_or_b64 exec, exec, s[10:11]
.LBB568_506:
	s_or_b64 exec, exec, s[8:9]
.LBB568_507:
	s_or_b64 exec, exec, s[2:3]
	s_movk_i32 s2, 0xff
	v_and_b32_sdwa v21, v10, s2 dst_sel:DWORD dst_unused:UNUSED_PAD src0_sel:WORD_1 src1_sel:DWORD
	v_lshrrev_b32_e32 v18, 16, v10
	v_cmp_ne_u16_e32 vcc, 0, v21
	s_and_saveexec_b64 s[2:3], vcc
	s_cbranch_execz .LBB568_513
; %bb.508:
	s_movk_i32 s7, 0x80
	v_cmp_ne_u16_e32 vcc, s7, v21
	v_bfrev_b32_e32 v19, 1
	s_and_saveexec_b64 s[8:9], vcc
	s_cbranch_execz .LBB568_512
; %bb.509:
	v_bfe_u32 v21, v10, 16, 7
	s_movk_i32 s7, 0x7f
	v_cmp_ne_u32_e32 vcc, s7, v21
	v_mov_b32_e32 v19, 0x7f800001
	s_and_saveexec_b64 s[10:11], vcc
	s_cbranch_execz .LBB568_511
; %bb.510:
	v_and_b32_e32 v23, 7, v18
	v_ffbh_u32_e32 v19, v23
	v_min_u32_e32 v26, 32, v19
	v_subrev_u32_e32 v19, 28, v26
	v_lshlrev_b64 v[18:19], v19, v[18:19]
	v_lshrrev_b32_e32 v25, 3, v21
	v_sub_u32_e32 v19, 29, v26
	v_and_b32_e32 v18, 7, v18
	v_cmp_gt_u32_e32 vcc, 8, v21
	v_mov_b32_e32 v21, 24
	v_cndmask_b32_e32 v19, v25, v19, vcc
	v_cndmask_b32_e32 v18, v23, v18, vcc
	v_lshlrev_b32_sdwa v21, v21, v10 dst_sel:DWORD dst_unused:UNUSED_PAD src0_sel:DWORD src1_sel:WORD_1
	v_bfrev_b32_e32 v23, 60
	v_lshlrev_b32_e32 v18, 20, v18
	v_and_b32_e32 v21, 0x80000000, v21
	v_lshl_add_u32 v19, v19, 23, v23
	v_or3_b32 v19, v21, v19, v18
.LBB568_511:
	s_or_b64 exec, exec, s[10:11]
.LBB568_512:
	s_or_b64 exec, exec, s[8:9]
.LBB568_513:
	s_or_b64 exec, exec, s[2:3]
	s_mov_b32 s2, 0xffffff
	v_cmp_lt_u32_e32 vcc, s2, v10
	v_mov_b32_e32 v21, 0
	v_mov_b32_e32 v23, 0
	s_and_saveexec_b64 s[2:3], vcc
	s_cbranch_execz .LBB568_519
; %bb.514:
	v_lshrrev_b32_e32 v18, 24, v10
	s_movk_i32 s7, 0x80
	v_cmp_ne_u32_e32 vcc, s7, v18
	v_bfrev_b32_e32 v23, 1
	s_and_saveexec_b64 s[8:9], vcc
	s_cbranch_execz .LBB568_518
; %bb.515:
	v_bfe_u32 v10, v10, 24, 7
	s_movk_i32 s7, 0x7f
	v_cmp_ne_u32_e32 vcc, s7, v10
	v_mov_b32_e32 v23, 0x7f800001
	s_and_saveexec_b64 s[10:11], vcc
	s_cbranch_execz .LBB568_517
; %bb.516:
	v_and_b32_e32 v23, 7, v18
	v_ffbh_u32_e32 v26, v23
	v_min_u32_e32 v29, 32, v26
	v_subrev_u32_e32 v26, 28, v29
	v_lshlrev_b64 v[26:27], v26, v[18:19]
	v_lshrrev_b32_e32 v25, 3, v10
	v_sub_u32_e32 v27, 29, v29
	v_and_b32_e32 v26, 7, v26
	v_cmp_gt_u32_e32 vcc, 8, v10
	v_cndmask_b32_e32 v10, v25, v27, vcc
	v_cndmask_b32_e32 v23, v23, v26, vcc
	v_lshlrev_b32_e32 v18, 24, v18
	v_bfrev_b32_e32 v25, 60
	v_lshlrev_b32_e32 v23, 20, v23
	v_and_b32_e32 v18, 0x80000000, v18
	v_lshl_add_u32 v10, v10, 23, v25
	v_or3_b32 v23, v18, v10, v23
.LBB568_517:
	s_or_b64 exec, exec, s[10:11]
.LBB568_518:
	s_or_b64 exec, exec, s[8:9]
.LBB568_519:
	s_or_b64 exec, exec, s[2:3]
	v_cmp_ne_u16_sdwa s[8:9], v11, v21 src0_sel:BYTE_0 src1_sel:DWORD
	s_and_saveexec_b64 s[2:3], s[8:9]
	s_cbranch_execz .LBB568_525
; %bb.520:
	s_movk_i32 s7, 0x80
	v_cmp_ne_u16_sdwa s[10:11], v11, s7 src0_sel:BYTE_0 src1_sel:DWORD
	v_bfrev_b32_e32 v21, 1
	s_and_saveexec_b64 s[8:9], s[10:11]
	s_cbranch_execz .LBB568_524
; %bb.521:
	s_movk_i32 s7, 0x7f
	v_and_b32_e32 v10, 0x7f, v11
	v_cmp_ne_u32_e32 vcc, s7, v10
	v_mov_b32_e32 v21, 0x7f800001
	s_and_saveexec_b64 s[10:11], vcc
	s_cbranch_execz .LBB568_523
; %bb.522:
	v_and_b32_e32 v21, 7, v11
	v_ffbh_u32_e32 v26, v21
	v_min_u32_e32 v29, 32, v26
	v_mov_b32_e32 v18, v11
	v_subrev_u32_e32 v26, 28, v29
	v_lshlrev_b64 v[26:27], v26, v[18:19]
	v_lshrrev_b32_e32 v25, 3, v10
	v_sub_u32_e32 v18, 29, v29
	v_and_b32_e32 v26, 7, v26
	v_cmp_gt_u32_e32 vcc, 8, v10
	v_cndmask_b32_e32 v10, v25, v18, vcc
	v_cndmask_b32_e32 v18, v21, v26, vcc
	v_lshlrev_b32_e32 v21, 24, v11
	v_bfrev_b32_e32 v25, 60
	v_lshlrev_b32_e32 v18, 20, v18
	v_and_b32_e32 v21, 0x80000000, v21
	v_lshl_add_u32 v10, v10, 23, v25
	v_or3_b32 v21, v21, v10, v18
.LBB568_523:
	s_or_b64 exec, exec, s[10:11]
.LBB568_524:
	s_or_b64 exec, exec, s[8:9]
.LBB568_525:
	s_or_b64 exec, exec, s[2:3]
	v_lshrrev_b16_e32 v10, 8, v11
	v_cmp_ne_u16_e32 vcc, 0, v10
	v_mov_b32_e32 v25, 0
	v_mov_b32_e32 v26, 0
	s_and_saveexec_b64 s[2:3], vcc
	s_cbranch_execz .LBB568_531
; %bb.526:
	s_movk_i32 s7, 0x80
	v_cmp_ne_u16_e32 vcc, s7, v10
	v_bfrev_b32_e32 v26, 1
	s_and_saveexec_b64 s[8:9], vcc
	s_cbranch_execz .LBB568_530
; %bb.527:
	s_movk_i32 s7, 0x7f
	v_and_b32_e32 v18, 0x7f, v10
	v_cmp_ne_u32_e32 vcc, s7, v18
	v_mov_b32_e32 v26, 0x7f800001
	s_and_saveexec_b64 s[10:11], vcc
	s_cbranch_execz .LBB568_529
; %bb.528:
	v_and_b32_e32 v29, 7, v10
	v_ffbh_u32_e32 v26, v29
	v_min_u32_e32 v31, 32, v26
	v_subrev_u32_e32 v26, 28, v31
	v_lshlrev_b64 v[26:27], v26, v[10:11]
	v_lshrrev_b32_e32 v30, 3, v18
	v_sub_u32_e32 v10, 29, v31
	v_and_b32_e32 v26, 7, v26
	v_cmp_gt_u32_e32 vcc, 8, v18
	v_cndmask_b32_e32 v10, v30, v10, vcc
	v_cndmask_b32_e32 v18, v29, v26, vcc
	v_lshlrev_b32_e32 v26, 16, v11
	v_bfrev_b32_e32 v27, 60
	v_lshlrev_b32_e32 v18, 20, v18
	v_and_b32_e32 v26, 0x80000000, v26
	v_lshl_add_u32 v10, v10, 23, v27
	v_or3_b32 v26, v26, v10, v18
.LBB568_529:
	s_or_b64 exec, exec, s[10:11]
.LBB568_530:
	s_or_b64 exec, exec, s[8:9]
.LBB568_531:
	s_or_b64 exec, exec, s[2:3]
	s_movk_i32 s2, 0xff
	v_and_b32_sdwa v18, v11, s2 dst_sel:DWORD dst_unused:UNUSED_PAD src0_sel:WORD_1 src1_sel:DWORD
	v_lshrrev_b32_e32 v10, 16, v11
	v_cmp_ne_u16_e32 vcc, 0, v18
	s_and_saveexec_b64 s[2:3], vcc
	s_cbranch_execz .LBB568_537
; %bb.532:
	s_movk_i32 s7, 0x80
	v_cmp_ne_u16_e32 vcc, s7, v18
	v_bfrev_b32_e32 v25, 1
	s_and_saveexec_b64 s[8:9], vcc
	s_cbranch_execz .LBB568_536
; %bb.533:
	v_bfe_u32 v18, v11, 16, 7
	s_movk_i32 s7, 0x7f
	v_cmp_ne_u32_e32 vcc, s7, v18
	v_mov_b32_e32 v25, 0x7f800001
	s_and_saveexec_b64 s[10:11], vcc
	s_cbranch_execz .LBB568_535
; %bb.534:
	v_and_b32_e32 v25, 7, v10
	v_ffbh_u32_e32 v29, v25
	v_min_u32_e32 v29, 32, v29
	v_subrev_u32_e32 v30, 28, v29
	v_lshlrev_b64 v[30:31], v30, v[10:11]
	v_sub_u32_e32 v10, 29, v29
	v_and_b32_e32 v29, 7, v30
	v_cmp_gt_u32_e32 vcc, 8, v18
	v_lshrrev_b32_e32 v27, 3, v18
	v_cndmask_b32_e32 v18, v25, v29, vcc
	v_mov_b32_e32 v25, 24
	v_cndmask_b32_e32 v10, v27, v10, vcc
	v_lshlrev_b32_sdwa v25, v25, v11 dst_sel:DWORD dst_unused:UNUSED_PAD src0_sel:DWORD src1_sel:WORD_1
	v_bfrev_b32_e32 v27, 60
	v_lshlrev_b32_e32 v18, 20, v18
	v_and_b32_e32 v25, 0x80000000, v25
	v_lshl_add_u32 v10, v10, 23, v27
	v_or3_b32 v25, v25, v10, v18
.LBB568_535:
	s_or_b64 exec, exec, s[10:11]
.LBB568_536:
	s_or_b64 exec, exec, s[8:9]
.LBB568_537:
	s_or_b64 exec, exec, s[2:3]
	s_mov_b32 s2, 0xffffff
	v_cmp_lt_u32_e32 vcc, s2, v11
	v_mov_b32_e32 v18, 0
	v_mov_b32_e32 v27, 0
	s_and_saveexec_b64 s[2:3], vcc
	s_cbranch_execz .LBB568_543
; %bb.538:
	v_lshrrev_b32_e32 v10, 24, v11
	s_movk_i32 s7, 0x80
	v_cmp_ne_u32_e32 vcc, s7, v10
	v_bfrev_b32_e32 v27, 1
	s_and_saveexec_b64 s[8:9], vcc
	s_cbranch_execz .LBB568_542
; %bb.539:
	v_bfe_u32 v11, v11, 24, 7
	s_movk_i32 s7, 0x7f
	v_cmp_ne_u32_e32 vcc, s7, v11
	v_mov_b32_e32 v27, 0x7f800001
	s_and_saveexec_b64 s[10:11], vcc
	s_cbranch_execz .LBB568_541
; %bb.540:
	v_and_b32_e32 v27, 7, v10
	v_ffbh_u32_e32 v30, v27
	v_min_u32_e32 v32, 32, v30
	v_subrev_u32_e32 v30, 28, v32
	v_lshlrev_b64 v[30:31], v30, v[10:11]
	v_lshrrev_b32_e32 v29, 3, v11
	v_sub_u32_e32 v31, 29, v32
	v_and_b32_e32 v30, 7, v30
	v_cmp_gt_u32_e32 vcc, 8, v11
	v_cndmask_b32_e32 v11, v29, v31, vcc
	v_cndmask_b32_e32 v27, v27, v30, vcc
	v_lshlrev_b32_e32 v10, 24, v10
	v_bfrev_b32_e32 v29, 60
	v_lshlrev_b32_e32 v27, 20, v27
	v_and_b32_e32 v10, 0x80000000, v10
	v_lshl_add_u32 v11, v11, 23, v29
	v_or3_b32 v27, v10, v11, v27
.LBB568_541:
	s_or_b64 exec, exec, s[10:11]
.LBB568_542:
	s_or_b64 exec, exec, s[8:9]
.LBB568_543:
	s_or_b64 exec, exec, s[2:3]
	v_cvt_pkrtz_f16_f32 v10, v24, v20
	v_cvt_pkrtz_f16_f32 v11, v19, v23
	ds_read_b128 v[30:33], v22 offset:2048
	v_cmp_ne_u16_sdwa s[8:9], v12, v18 src0_sel:BYTE_0 src1_sel:DWORD
	s_waitcnt lgkmcnt(0)
	v_mfma_f32_16x16x16f16 v[14:17], v[10:11], v[30:31], v[14:17]
	v_cvt_pkrtz_f16_f32 v10, v21, v26
	v_cvt_pkrtz_f16_f32 v11, v25, v27
	s_nop 1
	v_mfma_f32_16x16x16f16 v[14:17], v[10:11], v[32:33], v[14:17]
	s_and_saveexec_b64 s[2:3], s[8:9]
	s_cbranch_execz .LBB568_549
; %bb.544:
	s_movk_i32 s7, 0x80
	v_cmp_ne_u16_sdwa s[10:11], v12, s7 src0_sel:BYTE_0 src1_sel:DWORD
	v_bfrev_b32_e32 v18, 1
	s_and_saveexec_b64 s[8:9], s[10:11]
	s_cbranch_execz .LBB568_548
; %bb.545:
	s_movk_i32 s7, 0x7f
	v_and_b32_e32 v10, 0x7f, v12
	v_cmp_ne_u32_e32 vcc, s7, v10
	v_mov_b32_e32 v18, 0x7f800001
	s_and_saveexec_b64 s[10:11], vcc
	s_cbranch_execz .LBB568_547
; %bb.546:
	v_and_b32_e32 v11, 7, v12
	v_ffbh_u32_e32 v18, v11
	v_min_u32_e32 v21, 32, v18
	v_subrev_u32_e32 v18, 28, v21
	v_lshlrev_b64 v[18:19], v18, v[12:13]
	v_lshrrev_b32_e32 v20, 3, v10
	v_sub_u32_e32 v19, 29, v21
	v_and_b32_e32 v18, 7, v18
	v_cmp_gt_u32_e32 vcc, 8, v10
	v_cndmask_b32_e32 v10, v20, v19, vcc
	v_cndmask_b32_e32 v11, v11, v18, vcc
	v_lshlrev_b32_e32 v18, 24, v12
	v_bfrev_b32_e32 v19, 60
	v_lshlrev_b32_e32 v11, 20, v11
	v_and_b32_e32 v18, 0x80000000, v18
	v_lshl_add_u32 v10, v10, 23, v19
	v_or3_b32 v18, v18, v10, v11
.LBB568_547:
	s_or_b64 exec, exec, s[10:11]
.LBB568_548:
	s_or_b64 exec, exec, s[8:9]
.LBB568_549:
	s_or_b64 exec, exec, s[2:3]
	v_lshrrev_b16_e32 v10, 8, v12
	v_cmp_ne_u16_e32 vcc, 0, v10
	v_mov_b32_e32 v11, 0
	v_mov_b32_e32 v20, 0
	s_and_saveexec_b64 s[2:3], vcc
	s_cbranch_execz .LBB568_555
; %bb.550:
	s_movk_i32 s7, 0x80
	v_cmp_ne_u16_e32 vcc, s7, v10
	v_bfrev_b32_e32 v20, 1
	s_and_saveexec_b64 s[8:9], vcc
	s_cbranch_execz .LBB568_554
; %bb.551:
	s_movk_i32 s7, 0x7f
	v_and_b32_e32 v19, 0x7f, v10
	v_cmp_ne_u32_e32 vcc, s7, v19
	v_mov_b32_e32 v20, 0x7f800001
	s_and_saveexec_b64 s[10:11], vcc
	s_cbranch_execz .LBB568_553
; %bb.552:
	v_and_b32_e32 v23, 7, v10
	v_ffbh_u32_e32 v20, v23
	v_min_u32_e32 v25, 32, v20
	v_subrev_u32_e32 v20, 28, v25
	v_lshlrev_b64 v[20:21], v20, v[10:11]
	v_lshrrev_b32_e32 v24, 3, v19
	v_sub_u32_e32 v10, 29, v25
	v_and_b32_e32 v20, 7, v20
	v_cmp_gt_u32_e32 vcc, 8, v19
	v_cndmask_b32_e32 v10, v24, v10, vcc
	v_cndmask_b32_e32 v19, v23, v20, vcc
	v_lshlrev_b32_e32 v20, 16, v12
	v_bfrev_b32_e32 v21, 60
	v_lshlrev_b32_e32 v19, 20, v19
	v_and_b32_e32 v20, 0x80000000, v20
	v_lshl_add_u32 v10, v10, 23, v21
	v_or3_b32 v20, v20, v10, v19
.LBB568_553:
	s_or_b64 exec, exec, s[10:11]
.LBB568_554:
	s_or_b64 exec, exec, s[8:9]
.LBB568_555:
	s_or_b64 exec, exec, s[2:3]
	s_movk_i32 s2, 0xff
	v_and_b32_sdwa v19, v12, s2 dst_sel:DWORD dst_unused:UNUSED_PAD src0_sel:WORD_1 src1_sel:DWORD
	v_lshrrev_b32_e32 v10, 16, v12
	v_cmp_ne_u16_e32 vcc, 0, v19
	s_and_saveexec_b64 s[2:3], vcc
	s_cbranch_execz .LBB568_561
; %bb.556:
	s_movk_i32 s7, 0x80
	v_cmp_ne_u16_e32 vcc, s7, v19
	v_bfrev_b32_e32 v11, 1
	s_and_saveexec_b64 s[8:9], vcc
	s_cbranch_execz .LBB568_560
; %bb.557:
	v_bfe_u32 v19, v12, 16, 7
	s_movk_i32 s7, 0x7f
	v_cmp_ne_u32_e32 vcc, s7, v19
	v_mov_b32_e32 v11, 0x7f800001
	s_and_saveexec_b64 s[10:11], vcc
	s_cbranch_execz .LBB568_559
; %bb.558:
	v_and_b32_e32 v21, 7, v10
	v_ffbh_u32_e32 v11, v21
	v_min_u32_e32 v24, 32, v11
	v_subrev_u32_e32 v11, 28, v24
	v_lshlrev_b64 v[10:11], v11, v[10:11]
	v_lshrrev_b32_e32 v23, 3, v19
	v_sub_u32_e32 v11, 29, v24
	v_and_b32_e32 v10, 7, v10
	v_cmp_gt_u32_e32 vcc, 8, v19
	v_mov_b32_e32 v19, 24
	v_cndmask_b32_e32 v11, v23, v11, vcc
	v_cndmask_b32_e32 v10, v21, v10, vcc
	v_lshlrev_b32_sdwa v19, v19, v12 dst_sel:DWORD dst_unused:UNUSED_PAD src0_sel:DWORD src1_sel:WORD_1
	v_bfrev_b32_e32 v21, 60
	v_lshlrev_b32_e32 v10, 20, v10
	v_and_b32_e32 v19, 0x80000000, v19
	v_lshl_add_u32 v11, v11, 23, v21
	v_or3_b32 v11, v19, v11, v10
.LBB568_559:
	s_or_b64 exec, exec, s[10:11]
.LBB568_560:
	s_or_b64 exec, exec, s[8:9]
.LBB568_561:
	s_or_b64 exec, exec, s[2:3]
	s_mov_b32 s2, 0xffffff
	v_cmp_lt_u32_e32 vcc, s2, v12
	v_mov_b32_e32 v21, 0
	v_mov_b32_e32 v23, 0
	s_and_saveexec_b64 s[2:3], vcc
	s_cbranch_execz .LBB568_567
; %bb.562:
	v_lshrrev_b32_e32 v10, 24, v12
	s_movk_i32 s7, 0x80
	v_cmp_ne_u32_e32 vcc, s7, v10
	v_bfrev_b32_e32 v23, 1
	s_and_saveexec_b64 s[8:9], vcc
	s_cbranch_execz .LBB568_566
; %bb.563:
	v_bfe_u32 v12, v12, 24, 7
	s_movk_i32 s7, 0x7f
	v_cmp_ne_u32_e32 vcc, s7, v12
	v_mov_b32_e32 v23, 0x7f800001
	s_and_saveexec_b64 s[10:11], vcc
	s_cbranch_execz .LBB568_565
; %bb.564:
	v_and_b32_e32 v19, 7, v10
	v_ffbh_u32_e32 v24, v19
	v_min_u32_e32 v26, 32, v24
	v_subrev_u32_e32 v24, 28, v26
	v_lshlrev_b64 v[24:25], v24, v[10:11]
	v_lshrrev_b32_e32 v23, 3, v12
	v_sub_u32_e32 v25, 29, v26
	v_and_b32_e32 v24, 7, v24
	v_cmp_gt_u32_e32 vcc, 8, v12
	v_cndmask_b32_e32 v12, v23, v25, vcc
	v_cndmask_b32_e32 v19, v19, v24, vcc
	v_lshlrev_b32_e32 v10, 24, v10
	v_bfrev_b32_e32 v23, 60
	v_lshlrev_b32_e32 v19, 20, v19
	v_and_b32_e32 v10, 0x80000000, v10
	v_lshl_add_u32 v12, v12, 23, v23
	v_or3_b32 v23, v10, v12, v19
.LBB568_565:
	s_or_b64 exec, exec, s[10:11]
.LBB568_566:
	s_or_b64 exec, exec, s[8:9]
.LBB568_567:
	s_or_b64 exec, exec, s[2:3]
	v_cmp_ne_u16_sdwa s[8:9], v13, v21 src0_sel:BYTE_0 src1_sel:DWORD
	s_and_saveexec_b64 s[2:3], s[8:9]
	s_cbranch_execz .LBB568_573
; %bb.568:
	s_movk_i32 s7, 0x80
	v_cmp_ne_u16_sdwa s[10:11], v13, s7 src0_sel:BYTE_0 src1_sel:DWORD
	v_bfrev_b32_e32 v21, 1
	s_and_saveexec_b64 s[8:9], s[10:11]
	s_cbranch_execz .LBB568_572
; %bb.569:
	s_movk_i32 s7, 0x7f
	v_and_b32_e32 v10, 0x7f, v13
	v_cmp_ne_u32_e32 vcc, s7, v10
	v_mov_b32_e32 v21, 0x7f800001
	s_and_saveexec_b64 s[10:11], vcc
	s_cbranch_execz .LBB568_571
; %bb.570:
	v_and_b32_e32 v19, 7, v13
	v_ffbh_u32_e32 v24, v19
	v_min_u32_e32 v26, 32, v24
	v_mov_b32_e32 v12, v13
	v_subrev_u32_e32 v24, 28, v26
	v_lshlrev_b64 v[24:25], v24, v[12:13]
	v_lshrrev_b32_e32 v21, 3, v10
	v_sub_u32_e32 v12, 29, v26
	v_and_b32_e32 v24, 7, v24
	v_cmp_gt_u32_e32 vcc, 8, v10
	v_cndmask_b32_e32 v10, v21, v12, vcc
	v_cndmask_b32_e32 v12, v19, v24, vcc
	v_lshlrev_b32_e32 v19, 24, v13
	v_bfrev_b32_e32 v21, 60
	v_lshlrev_b32_e32 v12, 20, v12
	v_and_b32_e32 v19, 0x80000000, v19
	v_lshl_add_u32 v10, v10, 23, v21
	v_or3_b32 v21, v19, v10, v12
.LBB568_571:
	s_or_b64 exec, exec, s[10:11]
.LBB568_572:
	s_or_b64 exec, exec, s[8:9]
.LBB568_573:
	s_or_b64 exec, exec, s[2:3]
	v_lshrrev_b16_e32 v10, 8, v13
	v_cmp_ne_u16_e32 vcc, 0, v10
	v_mov_b32_e32 v12, 0
	v_mov_b32_e32 v24, 0
	s_and_saveexec_b64 s[2:3], vcc
	s_cbranch_execz .LBB568_579
; %bb.574:
	s_movk_i32 s7, 0x80
	v_cmp_ne_u16_e32 vcc, s7, v10
	v_bfrev_b32_e32 v24, 1
	s_and_saveexec_b64 s[8:9], vcc
	s_cbranch_execz .LBB568_578
; %bb.575:
	s_movk_i32 s7, 0x7f
	v_and_b32_e32 v19, 0x7f, v10
	v_cmp_ne_u32_e32 vcc, s7, v19
	v_mov_b32_e32 v24, 0x7f800001
	s_and_saveexec_b64 s[10:11], vcc
	s_cbranch_execz .LBB568_577
; %bb.576:
	v_and_b32_e32 v26, 7, v10
	v_ffbh_u32_e32 v24, v26
	v_min_u32_e32 v29, 32, v24
	v_subrev_u32_e32 v24, 28, v29
	v_lshlrev_b64 v[24:25], v24, v[10:11]
	v_lshrrev_b32_e32 v27, 3, v19
	v_sub_u32_e32 v10, 29, v29
	v_and_b32_e32 v24, 7, v24
	v_cmp_gt_u32_e32 vcc, 8, v19
	v_cndmask_b32_e32 v10, v27, v10, vcc
	v_cndmask_b32_e32 v19, v26, v24, vcc
	v_lshlrev_b32_e32 v24, 16, v13
	v_bfrev_b32_e32 v25, 60
	v_lshlrev_b32_e32 v19, 20, v19
	v_and_b32_e32 v24, 0x80000000, v24
	v_lshl_add_u32 v10, v10, 23, v25
	v_or3_b32 v24, v24, v10, v19
.LBB568_577:
	s_or_b64 exec, exec, s[10:11]
.LBB568_578:
	s_or_b64 exec, exec, s[8:9]
.LBB568_579:
	s_or_b64 exec, exec, s[2:3]
	s_movk_i32 s2, 0xff
	v_and_b32_sdwa v19, v13, s2 dst_sel:DWORD dst_unused:UNUSED_PAD src0_sel:WORD_1 src1_sel:DWORD
	v_lshrrev_b32_e32 v10, 16, v13
	v_cmp_ne_u16_e32 vcc, 0, v19
	s_and_saveexec_b64 s[2:3], vcc
	s_cbranch_execz .LBB568_585
; %bb.580:
	s_movk_i32 s7, 0x80
	v_cmp_ne_u16_e32 vcc, s7, v19
	v_bfrev_b32_e32 v12, 1
	s_and_saveexec_b64 s[8:9], vcc
	s_cbranch_execz .LBB568_584
; %bb.581:
	v_bfe_u32 v19, v13, 16, 7
	s_movk_i32 s7, 0x7f
	v_cmp_ne_u32_e32 vcc, s7, v19
	v_mov_b32_e32 v12, 0x7f800001
	s_and_saveexec_b64 s[10:11], vcc
	s_cbranch_execz .LBB568_583
; %bb.582:
	v_and_b32_e32 v12, 7, v10
	v_ffbh_u32_e32 v26, v12
	v_min_u32_e32 v29, 32, v26
	v_subrev_u32_e32 v26, 28, v29
	v_lshlrev_b64 v[26:27], v26, v[10:11]
	v_lshrrev_b32_e32 v25, 3, v19
	v_sub_u32_e32 v10, 29, v29
	v_and_b32_e32 v26, 7, v26
	v_cmp_gt_u32_e32 vcc, 8, v19
	v_mov_b32_e32 v19, 24
	v_cndmask_b32_e32 v10, v25, v10, vcc
	v_cndmask_b32_e32 v12, v12, v26, vcc
	v_lshlrev_b32_sdwa v19, v19, v13 dst_sel:DWORD dst_unused:UNUSED_PAD src0_sel:DWORD src1_sel:WORD_1
	v_bfrev_b32_e32 v25, 60
	v_lshlrev_b32_e32 v12, 20, v12
	v_and_b32_e32 v19, 0x80000000, v19
	v_lshl_add_u32 v10, v10, 23, v25
	v_or3_b32 v12, v19, v10, v12
.LBB568_583:
	s_or_b64 exec, exec, s[10:11]
.LBB568_584:
	s_or_b64 exec, exec, s[8:9]
.LBB568_585:
	s_or_b64 exec, exec, s[2:3]
	s_mov_b32 s2, 0xffffff
	v_cmp_lt_u32_e32 vcc, s2, v13
	v_mov_b32_e32 v19, 0
	v_mov_b32_e32 v25, 0
	s_and_saveexec_b64 s[2:3], vcc
	s_cbranch_execz .LBB568_591
; %bb.586:
	v_lshrrev_b32_e32 v10, 24, v13
	s_movk_i32 s7, 0x80
	v_cmp_ne_u32_e32 vcc, s7, v10
	v_bfrev_b32_e32 v25, 1
	s_and_saveexec_b64 s[8:9], vcc
	s_cbranch_execz .LBB568_590
; %bb.587:
	v_bfe_u32 v13, v13, 24, 7
	s_movk_i32 s7, 0x7f
	v_cmp_ne_u32_e32 vcc, s7, v13
	v_mov_b32_e32 v25, 0x7f800001
	s_and_saveexec_b64 s[10:11], vcc
	s_cbranch_execz .LBB568_589
; %bb.588:
	v_and_b32_e32 v25, 7, v10
	v_ffbh_u32_e32 v26, v25
	v_min_u32_e32 v30, 32, v26
	v_subrev_u32_e32 v26, 28, v30
	v_lshlrev_b64 v[26:27], v26, v[10:11]
	v_lshrrev_b32_e32 v29, 3, v13
	v_sub_u32_e32 v27, 29, v30
	v_and_b32_e32 v26, 7, v26
	v_cmp_gt_u32_e32 vcc, 8, v13
	v_cndmask_b32_e32 v13, v29, v27, vcc
	v_cndmask_b32_e32 v25, v25, v26, vcc
	v_lshlrev_b32_e32 v10, 24, v10
	v_bfrev_b32_e32 v26, 60
	v_lshlrev_b32_e32 v25, 20, v25
	v_and_b32_e32 v10, 0x80000000, v10
	v_lshl_add_u32 v13, v13, 23, v26
	v_or3_b32 v25, v10, v13, v25
.LBB568_589:
	s_or_b64 exec, exec, s[10:11]
.LBB568_590:
	s_or_b64 exec, exec, s[8:9]
.LBB568_591:
	s_or_b64 exec, exec, s[2:3]
	v_cvt_pkrtz_f16_f32 v10, v18, v20
	v_cvt_pkrtz_f16_f32 v11, v11, v23
	ds_read_b128 v[30:33], v22 offset:2064
	s_waitcnt vmcnt(1)
	v_cmp_ne_u16_sdwa s[8:9], v6, v19 src0_sel:BYTE_0 src1_sel:DWORD
	s_waitcnt lgkmcnt(0)
	v_mfma_f32_16x16x16f16 v[14:17], v[10:11], v[30:31], v[14:17]
	v_cvt_pkrtz_f16_f32 v10, v21, v24
	v_cvt_pkrtz_f16_f32 v11, v12, v25
	s_nop 1
	v_mfma_f32_16x16x16f16 v[10:13], v[10:11], v[32:33], v[14:17]
	s_and_saveexec_b64 s[2:3], s[8:9]
	s_cbranch_execz .LBB568_597
; %bb.592:
	s_movk_i32 s7, 0x80
	v_cmp_ne_u16_sdwa s[10:11], v6, s7 src0_sel:BYTE_0 src1_sel:DWORD
	v_bfrev_b32_e32 v19, 1
	s_and_saveexec_b64 s[8:9], s[10:11]
	s_cbranch_execz .LBB568_596
; %bb.593:
	s_movk_i32 s7, 0x7f
	v_and_b32_e32 v14, 0x7f, v6
	v_cmp_ne_u32_e32 vcc, s7, v14
	v_mov_b32_e32 v19, 0x7f800001
	s_and_saveexec_b64 s[10:11], vcc
	s_cbranch_execz .LBB568_595
; %bb.594:
	v_and_b32_e32 v15, 7, v6
	v_ffbh_u32_e32 v16, v15
	v_min_u32_e32 v19, 32, v16
	v_subrev_u32_e32 v16, 28, v19
	v_lshlrev_b64 v[16:17], v16, v[6:7]
	v_lshrrev_b32_e32 v18, 3, v14
	v_sub_u32_e32 v17, 29, v19
	v_and_b32_e32 v16, 7, v16
	v_cmp_gt_u32_e32 vcc, 8, v14
	v_cndmask_b32_e32 v14, v18, v17, vcc
	v_cndmask_b32_e32 v15, v15, v16, vcc
	v_lshlrev_b32_e32 v16, 24, v6
	v_bfrev_b32_e32 v17, 60
	v_lshlrev_b32_e32 v15, 20, v15
	v_and_b32_e32 v16, 0x80000000, v16
	v_lshl_add_u32 v14, v14, 23, v17
	v_or3_b32 v19, v16, v14, v15
.LBB568_595:
	s_or_b64 exec, exec, s[10:11]
.LBB568_596:
	s_or_b64 exec, exec, s[8:9]
.LBB568_597:
	s_or_b64 exec, exec, s[2:3]
	s_nop 3
	v_lshrrev_b16_e32 v14, 8, v6
	v_cmp_ne_u16_e32 vcc, 0, v14
	v_mov_b32_e32 v15, 0
	v_mov_b32_e32 v16, 0
	s_and_saveexec_b64 s[2:3], vcc
	s_cbranch_execz .LBB568_603
; %bb.598:
	s_movk_i32 s7, 0x80
	v_cmp_ne_u16_e32 vcc, s7, v14
	v_bfrev_b32_e32 v16, 1
	s_and_saveexec_b64 s[8:9], vcc
	s_cbranch_execz .LBB568_602
; %bb.599:
	s_movk_i32 s7, 0x7f
	v_and_b32_e32 v17, 0x7f, v14
	v_cmp_ne_u32_e32 vcc, s7, v17
	v_mov_b32_e32 v16, 0x7f800001
	s_and_saveexec_b64 s[10:11], vcc
	s_cbranch_execz .LBB568_601
; %bb.600:
	v_and_b32_e32 v16, 7, v14
	v_ffbh_u32_e32 v20, v16
	v_min_u32_e32 v23, 32, v20
	v_subrev_u32_e32 v20, 28, v23
	v_lshlrev_b64 v[20:21], v20, v[14:15]
	v_lshrrev_b32_e32 v18, 3, v17
	v_sub_u32_e32 v14, 29, v23
	v_and_b32_e32 v20, 7, v20
	v_cmp_gt_u32_e32 vcc, 8, v17
	v_cndmask_b32_e32 v14, v18, v14, vcc
	v_cndmask_b32_e32 v16, v16, v20, vcc
	v_lshlrev_b32_e32 v17, 16, v6
	v_bfrev_b32_e32 v18, 60
	v_lshlrev_b32_e32 v16, 20, v16
	v_and_b32_e32 v17, 0x80000000, v17
	v_lshl_add_u32 v14, v14, 23, v18
	v_or3_b32 v16, v17, v14, v16
.LBB568_601:
	s_or_b64 exec, exec, s[10:11]
.LBB568_602:
	s_or_b64 exec, exec, s[8:9]
.LBB568_603:
	s_or_b64 exec, exec, s[2:3]
	s_movk_i32 s2, 0xff
	v_and_b32_sdwa v17, v6, s2 dst_sel:DWORD dst_unused:UNUSED_PAD src0_sel:WORD_1 src1_sel:DWORD
	v_lshrrev_b32_e32 v14, 16, v6
	v_cmp_ne_u16_e32 vcc, 0, v17
	s_and_saveexec_b64 s[2:3], vcc
	s_cbranch_execz .LBB568_609
; %bb.604:
	s_movk_i32 s7, 0x80
	v_cmp_ne_u16_e32 vcc, s7, v17
	v_bfrev_b32_e32 v15, 1
	s_and_saveexec_b64 s[8:9], vcc
	s_cbranch_execz .LBB568_608
; %bb.605:
	v_bfe_u32 v17, v6, 16, 7
	s_movk_i32 s7, 0x7f
	v_cmp_ne_u32_e32 vcc, s7, v17
	v_mov_b32_e32 v15, 0x7f800001
	s_and_saveexec_b64 s[10:11], vcc
	s_cbranch_execz .LBB568_607
; %bb.606:
	v_and_b32_e32 v18, 7, v14
	v_ffbh_u32_e32 v15, v18
	v_min_u32_e32 v21, 32, v15
	v_subrev_u32_e32 v15, 28, v21
	v_lshlrev_b64 v[14:15], v15, v[14:15]
	v_lshrrev_b32_e32 v20, 3, v17
	v_sub_u32_e32 v15, 29, v21
	v_and_b32_e32 v14, 7, v14
	v_cmp_gt_u32_e32 vcc, 8, v17
	v_mov_b32_e32 v17, 24
	v_cndmask_b32_e32 v15, v20, v15, vcc
	v_cndmask_b32_e32 v14, v18, v14, vcc
	v_lshlrev_b32_sdwa v17, v17, v6 dst_sel:DWORD dst_unused:UNUSED_PAD src0_sel:DWORD src1_sel:WORD_1
	v_bfrev_b32_e32 v18, 60
	v_lshlrev_b32_e32 v14, 20, v14
	v_and_b32_e32 v17, 0x80000000, v17
	v_lshl_add_u32 v15, v15, 23, v18
	v_or3_b32 v15, v17, v15, v14
.LBB568_607:
	s_or_b64 exec, exec, s[10:11]
.LBB568_608:
	s_or_b64 exec, exec, s[8:9]
.LBB568_609:
	s_or_b64 exec, exec, s[2:3]
	s_mov_b32 s2, 0xffffff
	v_cmp_lt_u32_e32 vcc, s2, v6
	v_mov_b32_e32 v17, 0
	v_mov_b32_e32 v18, 0
	s_and_saveexec_b64 s[2:3], vcc
	s_cbranch_execz .LBB568_615
; %bb.610:
	v_lshrrev_b32_e32 v14, 24, v6
	s_movk_i32 s7, 0x80
	v_cmp_ne_u32_e32 vcc, s7, v14
	v_bfrev_b32_e32 v18, 1
	s_and_saveexec_b64 s[8:9], vcc
	s_cbranch_execz .LBB568_614
; %bb.611:
	v_bfe_u32 v6, v6, 24, 7
	s_movk_i32 s7, 0x7f
	v_cmp_ne_u32_e32 vcc, s7, v6
	v_mov_b32_e32 v18, 0x7f800001
	s_and_saveexec_b64 s[10:11], vcc
	s_cbranch_execz .LBB568_613
; %bb.612:
	v_and_b32_e32 v18, 7, v14
	v_ffbh_u32_e32 v20, v18
	v_min_u32_e32 v24, 32, v20
	v_subrev_u32_e32 v20, 28, v24
	v_lshlrev_b64 v[20:21], v20, v[14:15]
	v_lshrrev_b32_e32 v23, 3, v6
	v_sub_u32_e32 v21, 29, v24
	v_and_b32_e32 v20, 7, v20
	v_cmp_gt_u32_e32 vcc, 8, v6
	v_cndmask_b32_e32 v6, v23, v21, vcc
	v_cndmask_b32_e32 v18, v18, v20, vcc
	v_lshlrev_b32_e32 v14, 24, v14
	v_bfrev_b32_e32 v20, 60
	v_lshlrev_b32_e32 v18, 20, v18
	v_and_b32_e32 v14, 0x80000000, v14
	v_lshl_add_u32 v6, v6, 23, v20
	v_or3_b32 v18, v14, v6, v18
.LBB568_613:
	s_or_b64 exec, exec, s[10:11]
.LBB568_614:
	s_or_b64 exec, exec, s[8:9]
.LBB568_615:
	s_or_b64 exec, exec, s[2:3]
	v_cmp_ne_u16_sdwa s[8:9], v7, v17 src0_sel:BYTE_0 src1_sel:DWORD
	s_and_saveexec_b64 s[2:3], s[8:9]
	s_cbranch_execz .LBB568_621
; %bb.616:
	s_movk_i32 s7, 0x80
	v_cmp_ne_u16_sdwa s[10:11], v7, s7 src0_sel:BYTE_0 src1_sel:DWORD
	v_bfrev_b32_e32 v17, 1
	s_and_saveexec_b64 s[8:9], s[10:11]
	s_cbranch_execz .LBB568_620
; %bb.617:
	s_movk_i32 s7, 0x7f
	v_and_b32_e32 v6, 0x7f, v7
	v_cmp_ne_u32_e32 vcc, s7, v6
	v_mov_b32_e32 v17, 0x7f800001
	s_and_saveexec_b64 s[10:11], vcc
	s_cbranch_execz .LBB568_619
; %bb.618:
	v_and_b32_e32 v17, 7, v7
	v_ffbh_u32_e32 v20, v17
	v_min_u32_e32 v24, 32, v20
	v_mov_b32_e32 v14, v7
	v_subrev_u32_e32 v20, 28, v24
	v_lshlrev_b64 v[20:21], v20, v[14:15]
	v_lshrrev_b32_e32 v23, 3, v6
	v_sub_u32_e32 v14, 29, v24
	v_and_b32_e32 v20, 7, v20
	v_cmp_gt_u32_e32 vcc, 8, v6
	v_cndmask_b32_e32 v6, v23, v14, vcc
	v_cndmask_b32_e32 v14, v17, v20, vcc
	v_lshlrev_b32_e32 v17, 24, v7
	v_bfrev_b32_e32 v20, 60
	v_lshlrev_b32_e32 v14, 20, v14
	v_and_b32_e32 v17, 0x80000000, v17
	v_lshl_add_u32 v6, v6, 23, v20
	v_or3_b32 v17, v17, v6, v14
.LBB568_619:
	s_or_b64 exec, exec, s[10:11]
.LBB568_620:
	s_or_b64 exec, exec, s[8:9]
.LBB568_621:
	s_or_b64 exec, exec, s[2:3]
	v_lshrrev_b16_e32 v6, 8, v7
	v_cmp_ne_u16_e32 vcc, 0, v6
	v_mov_b32_e32 v20, 0
	v_mov_b32_e32 v21, 0
	s_and_saveexec_b64 s[2:3], vcc
	s_cbranch_execz .LBB568_627
; %bb.622:
	s_movk_i32 s7, 0x80
	v_cmp_ne_u16_e32 vcc, s7, v6
	v_bfrev_b32_e32 v21, 1
	s_and_saveexec_b64 s[8:9], vcc
	s_cbranch_execz .LBB568_626
; %bb.623:
	s_movk_i32 s7, 0x7f
	v_and_b32_e32 v14, 0x7f, v6
	v_cmp_ne_u32_e32 vcc, s7, v14
	v_mov_b32_e32 v21, 0x7f800001
	s_and_saveexec_b64 s[10:11], vcc
	s_cbranch_execz .LBB568_625
; %bb.624:
	v_and_b32_e32 v21, 7, v6
	v_ffbh_u32_e32 v24, v21
	v_min_u32_e32 v26, 32, v24
	v_subrev_u32_e32 v24, 28, v26
	v_lshlrev_b64 v[24:25], v24, v[6:7]
	v_lshrrev_b32_e32 v23, 3, v14
	v_sub_u32_e32 v6, 29, v26
	v_and_b32_e32 v24, 7, v24
	v_cmp_gt_u32_e32 vcc, 8, v14
	v_cndmask_b32_e32 v6, v23, v6, vcc
	v_cndmask_b32_e32 v14, v21, v24, vcc
	v_lshlrev_b32_e32 v21, 16, v7
	v_bfrev_b32_e32 v23, 60
	v_lshlrev_b32_e32 v14, 20, v14
	v_and_b32_e32 v21, 0x80000000, v21
	v_lshl_add_u32 v6, v6, 23, v23
	v_or3_b32 v21, v21, v6, v14
.LBB568_625:
	s_or_b64 exec, exec, s[10:11]
.LBB568_626:
	s_or_b64 exec, exec, s[8:9]
.LBB568_627:
	s_or_b64 exec, exec, s[2:3]
	s_movk_i32 s2, 0xff
	v_and_b32_sdwa v14, v7, s2 dst_sel:DWORD dst_unused:UNUSED_PAD src0_sel:WORD_1 src1_sel:DWORD
	v_lshrrev_b32_e32 v6, 16, v7
	v_cmp_ne_u16_e32 vcc, 0, v14
	s_and_saveexec_b64 s[2:3], vcc
	s_cbranch_execz .LBB568_633
; %bb.628:
	s_movk_i32 s7, 0x80
	v_cmp_ne_u16_e32 vcc, s7, v14
	v_bfrev_b32_e32 v20, 1
	s_and_saveexec_b64 s[8:9], vcc
	s_cbranch_execz .LBB568_632
; %bb.629:
	v_bfe_u32 v14, v7, 16, 7
	s_movk_i32 s7, 0x7f
	v_cmp_ne_u32_e32 vcc, s7, v14
	v_mov_b32_e32 v20, 0x7f800001
	s_and_saveexec_b64 s[10:11], vcc
	s_cbranch_execz .LBB568_631
; %bb.630:
	v_and_b32_e32 v20, 7, v6
	v_ffbh_u32_e32 v24, v20
	v_min_u32_e32 v26, 32, v24
	v_subrev_u32_e32 v24, 28, v26
	v_lshlrev_b64 v[24:25], v24, v[6:7]
	v_and_b32_e32 v24, 7, v24
	v_cmp_gt_u32_e32 vcc, 8, v14
	v_lshrrev_b32_e32 v23, 3, v14
	v_sub_u32_e32 v6, 29, v26
	v_cndmask_b32_e32 v14, v20, v24, vcc
	v_mov_b32_e32 v20, 24
	v_cndmask_b32_e32 v6, v23, v6, vcc
	v_lshlrev_b32_sdwa v20, v20, v7 dst_sel:DWORD dst_unused:UNUSED_PAD src0_sel:DWORD src1_sel:WORD_1
	v_bfrev_b32_e32 v23, 60
	v_lshlrev_b32_e32 v14, 20, v14
	v_and_b32_e32 v20, 0x80000000, v20
	v_lshl_add_u32 v6, v6, 23, v23
	v_or3_b32 v20, v20, v6, v14
.LBB568_631:
	s_or_b64 exec, exec, s[10:11]
.LBB568_632:
	s_or_b64 exec, exec, s[8:9]
.LBB568_633:
	s_or_b64 exec, exec, s[2:3]
	s_mov_b32 s2, 0xffffff
	v_cmp_lt_u32_e32 vcc, s2, v7
	v_mov_b32_e32 v14, 0
	v_mov_b32_e32 v23, 0
	s_and_saveexec_b64 s[2:3], vcc
	s_cbranch_execz .LBB568_639
; %bb.634:
	v_lshrrev_b32_e32 v6, 24, v7
	s_movk_i32 s7, 0x80
	v_cmp_ne_u32_e32 vcc, s7, v6
	v_bfrev_b32_e32 v23, 1
	s_and_saveexec_b64 s[8:9], vcc
	s_cbranch_execz .LBB568_638
; %bb.635:
	v_bfe_u32 v7, v7, 24, 7
	s_movk_i32 s7, 0x7f
	v_cmp_ne_u32_e32 vcc, s7, v7
	v_mov_b32_e32 v23, 0x7f800001
	s_and_saveexec_b64 s[10:11], vcc
	s_cbranch_execz .LBB568_637
; %bb.636:
	v_and_b32_e32 v23, 7, v6
	v_ffbh_u32_e32 v24, v23
	v_min_u32_e32 v27, 32, v24
	v_subrev_u32_e32 v24, 28, v27
	v_lshlrev_b64 v[24:25], v24, v[6:7]
	v_lshrrev_b32_e32 v26, 3, v7
	v_sub_u32_e32 v25, 29, v27
	v_and_b32_e32 v24, 7, v24
	v_cmp_gt_u32_e32 vcc, 8, v7
	v_cndmask_b32_e32 v7, v26, v25, vcc
	v_cndmask_b32_e32 v23, v23, v24, vcc
	v_lshlrev_b32_e32 v6, 24, v6
	v_bfrev_b32_e32 v24, 60
	v_lshlrev_b32_e32 v23, 20, v23
	v_and_b32_e32 v6, 0x80000000, v6
	v_lshl_add_u32 v7, v7, 23, v24
	v_or3_b32 v23, v6, v7, v23
.LBB568_637:
	s_or_b64 exec, exec, s[10:11]
.LBB568_638:
	s_or_b64 exec, exec, s[8:9]
.LBB568_639:
	s_or_b64 exec, exec, s[2:3]
	v_cvt_pkrtz_f16_f32 v6, v19, v16
	v_cvt_pkrtz_f16_f32 v7, v15, v18
	ds_read_b128 v[24:27], v22 offset:4096
	v_cmp_ne_u16_sdwa s[8:9], v8, v14 src0_sel:BYTE_0 src1_sel:DWORD
	s_waitcnt lgkmcnt(0)
	v_mfma_f32_16x16x16f16 v[10:13], v[6:7], v[24:25], v[10:13]
	v_cvt_pkrtz_f16_f32 v6, v17, v21
	v_cvt_pkrtz_f16_f32 v7, v20, v23
	s_nop 1
	v_mfma_f32_16x16x16f16 v[10:13], v[6:7], v[26:27], v[10:13]
	s_and_saveexec_b64 s[2:3], s[8:9]
	s_cbranch_execz .LBB568_645
; %bb.640:
	s_movk_i32 s7, 0x80
	v_cmp_ne_u16_sdwa s[10:11], v8, s7 src0_sel:BYTE_0 src1_sel:DWORD
	v_bfrev_b32_e32 v14, 1
	s_and_saveexec_b64 s[8:9], s[10:11]
	s_cbranch_execz .LBB568_644
; %bb.641:
	s_movk_i32 s7, 0x7f
	v_and_b32_e32 v6, 0x7f, v8
	v_cmp_ne_u32_e32 vcc, s7, v6
	v_mov_b32_e32 v14, 0x7f800001
	s_and_saveexec_b64 s[10:11], vcc
	s_cbranch_execz .LBB568_643
; %bb.642:
	v_and_b32_e32 v7, 7, v8
	v_ffbh_u32_e32 v14, v7
	v_min_u32_e32 v17, 32, v14
	v_subrev_u32_e32 v14, 28, v17
	v_lshlrev_b64 v[14:15], v14, v[8:9]
	v_lshrrev_b32_e32 v16, 3, v6
	v_sub_u32_e32 v15, 29, v17
	v_and_b32_e32 v14, 7, v14
	v_cmp_gt_u32_e32 vcc, 8, v6
	v_cndmask_b32_e32 v6, v16, v15, vcc
	v_cndmask_b32_e32 v7, v7, v14, vcc
	v_lshlrev_b32_e32 v14, 24, v8
	v_bfrev_b32_e32 v15, 60
	v_lshlrev_b32_e32 v7, 20, v7
	v_and_b32_e32 v14, 0x80000000, v14
	v_lshl_add_u32 v6, v6, 23, v15
	v_or3_b32 v14, v14, v6, v7
.LBB568_643:
	s_or_b64 exec, exec, s[10:11]
.LBB568_644:
	s_or_b64 exec, exec, s[8:9]
.LBB568_645:
	s_or_b64 exec, exec, s[2:3]
	v_lshrrev_b16_e32 v6, 8, v8
	v_cmp_ne_u16_e32 vcc, 0, v6
	v_mov_b32_e32 v7, 0
	v_mov_b32_e32 v16, 0
	s_and_saveexec_b64 s[2:3], vcc
	s_cbranch_execz .LBB568_651
; %bb.646:
	s_movk_i32 s7, 0x80
	v_cmp_ne_u16_e32 vcc, s7, v6
	v_bfrev_b32_e32 v16, 1
	s_and_saveexec_b64 s[8:9], vcc
	s_cbranch_execz .LBB568_650
; %bb.647:
	s_movk_i32 s7, 0x7f
	v_and_b32_e32 v15, 0x7f, v6
	v_cmp_ne_u32_e32 vcc, s7, v15
	v_mov_b32_e32 v16, 0x7f800001
	s_and_saveexec_b64 s[10:11], vcc
	s_cbranch_execz .LBB568_649
; %bb.648:
	v_and_b32_e32 v18, 7, v6
	v_ffbh_u32_e32 v16, v18
	v_min_u32_e32 v20, 32, v16
	v_subrev_u32_e32 v16, 28, v20
	v_lshlrev_b64 v[16:17], v16, v[6:7]
	v_lshrrev_b32_e32 v19, 3, v15
	v_sub_u32_e32 v6, 29, v20
	v_and_b32_e32 v16, 7, v16
	v_cmp_gt_u32_e32 vcc, 8, v15
	v_cndmask_b32_e32 v6, v19, v6, vcc
	v_cndmask_b32_e32 v15, v18, v16, vcc
	v_lshlrev_b32_e32 v16, 16, v8
	v_bfrev_b32_e32 v17, 60
	v_lshlrev_b32_e32 v15, 20, v15
	v_and_b32_e32 v16, 0x80000000, v16
	v_lshl_add_u32 v6, v6, 23, v17
	v_or3_b32 v16, v16, v6, v15
.LBB568_649:
	s_or_b64 exec, exec, s[10:11]
.LBB568_650:
	s_or_b64 exec, exec, s[8:9]
.LBB568_651:
	s_or_b64 exec, exec, s[2:3]
	s_movk_i32 s2, 0xff
	v_and_b32_sdwa v15, v8, s2 dst_sel:DWORD dst_unused:UNUSED_PAD src0_sel:WORD_1 src1_sel:DWORD
	v_lshrrev_b32_e32 v6, 16, v8
	v_cmp_ne_u16_e32 vcc, 0, v15
	s_and_saveexec_b64 s[2:3], vcc
	s_cbranch_execz .LBB568_657
; %bb.652:
	s_movk_i32 s7, 0x80
	v_cmp_ne_u16_e32 vcc, s7, v15
	v_bfrev_b32_e32 v7, 1
	s_and_saveexec_b64 s[8:9], vcc
	s_cbranch_execz .LBB568_656
; %bb.653:
	v_bfe_u32 v15, v8, 16, 7
	s_movk_i32 s7, 0x7f
	v_cmp_ne_u32_e32 vcc, s7, v15
	v_mov_b32_e32 v7, 0x7f800001
	s_and_saveexec_b64 s[10:11], vcc
	s_cbranch_execz .LBB568_655
; %bb.654:
	v_and_b32_e32 v17, 7, v6
	v_ffbh_u32_e32 v7, v17
	v_min_u32_e32 v19, 32, v7
	v_subrev_u32_e32 v7, 28, v19
	v_lshlrev_b64 v[6:7], v7, v[6:7]
	v_lshrrev_b32_e32 v18, 3, v15
	v_sub_u32_e32 v7, 29, v19
	v_and_b32_e32 v6, 7, v6
	v_cmp_gt_u32_e32 vcc, 8, v15
	v_mov_b32_e32 v15, 24
	v_cndmask_b32_e32 v7, v18, v7, vcc
	v_cndmask_b32_e32 v6, v17, v6, vcc
	v_lshlrev_b32_sdwa v15, v15, v8 dst_sel:DWORD dst_unused:UNUSED_PAD src0_sel:DWORD src1_sel:WORD_1
	v_bfrev_b32_e32 v17, 60
	v_lshlrev_b32_e32 v6, 20, v6
	v_and_b32_e32 v15, 0x80000000, v15
	v_lshl_add_u32 v7, v7, 23, v17
	v_or3_b32 v7, v15, v7, v6
.LBB568_655:
	s_or_b64 exec, exec, s[10:11]
.LBB568_656:
	s_or_b64 exec, exec, s[8:9]
.LBB568_657:
	s_or_b64 exec, exec, s[2:3]
	s_mov_b32 s2, 0xffffff
	v_cmp_lt_u32_e32 vcc, s2, v8
	v_mov_b32_e32 v17, 0
	v_mov_b32_e32 v18, 0
	s_and_saveexec_b64 s[2:3], vcc
	s_cbranch_execz .LBB568_663
; %bb.658:
	v_lshrrev_b32_e32 v6, 24, v8
	s_movk_i32 s7, 0x80
	v_cmp_ne_u32_e32 vcc, s7, v6
	v_bfrev_b32_e32 v18, 1
	s_and_saveexec_b64 s[8:9], vcc
	s_cbranch_execz .LBB568_662
; %bb.659:
	v_bfe_u32 v8, v8, 24, 7
	s_movk_i32 s7, 0x7f
	v_cmp_ne_u32_e32 vcc, s7, v8
	v_mov_b32_e32 v18, 0x7f800001
	s_and_saveexec_b64 s[10:11], vcc
	s_cbranch_execz .LBB568_661
; %bb.660:
	v_and_b32_e32 v15, 7, v6
	v_ffbh_u32_e32 v18, v15
	v_min_u32_e32 v21, 32, v18
	v_subrev_u32_e32 v18, 28, v21
	v_lshlrev_b64 v[18:19], v18, v[6:7]
	v_lshrrev_b32_e32 v20, 3, v8
	v_sub_u32_e32 v19, 29, v21
	v_and_b32_e32 v18, 7, v18
	v_cmp_gt_u32_e32 vcc, 8, v8
	v_cndmask_b32_e32 v8, v20, v19, vcc
	v_cndmask_b32_e32 v15, v15, v18, vcc
	v_lshlrev_b32_e32 v6, 24, v6
	v_bfrev_b32_e32 v18, 60
	v_lshlrev_b32_e32 v15, 20, v15
	v_and_b32_e32 v6, 0x80000000, v6
	v_lshl_add_u32 v8, v8, 23, v18
	v_or3_b32 v18, v6, v8, v15
.LBB568_661:
	s_or_b64 exec, exec, s[10:11]
.LBB568_662:
	s_or_b64 exec, exec, s[8:9]
.LBB568_663:
	s_or_b64 exec, exec, s[2:3]
	v_cmp_ne_u16_sdwa s[8:9], v9, v17 src0_sel:BYTE_0 src1_sel:DWORD
	s_and_saveexec_b64 s[2:3], s[8:9]
	s_cbranch_execz .LBB568_669
; %bb.664:
	s_movk_i32 s7, 0x80
	v_cmp_ne_u16_sdwa s[10:11], v9, s7 src0_sel:BYTE_0 src1_sel:DWORD
	v_bfrev_b32_e32 v17, 1
	s_and_saveexec_b64 s[8:9], s[10:11]
	s_cbranch_execz .LBB568_668
; %bb.665:
	s_movk_i32 s7, 0x7f
	v_and_b32_e32 v6, 0x7f, v9
	v_cmp_ne_u32_e32 vcc, s7, v6
	v_mov_b32_e32 v17, 0x7f800001
	s_and_saveexec_b64 s[10:11], vcc
	s_cbranch_execz .LBB568_667
; %bb.666:
	v_and_b32_e32 v15, 7, v9
	v_ffbh_u32_e32 v19, v15
	v_min_u32_e32 v19, 32, v19
	v_mov_b32_e32 v8, v9
	v_subrev_u32_e32 v20, 28, v19
	v_lshlrev_b64 v[20:21], v20, v[8:9]
	v_lshrrev_b32_e32 v17, 3, v6
	v_sub_u32_e32 v8, 29, v19
	v_and_b32_e32 v19, 7, v20
	v_cmp_gt_u32_e32 vcc, 8, v6
	v_cndmask_b32_e32 v6, v17, v8, vcc
	v_cndmask_b32_e32 v8, v15, v19, vcc
	v_lshlrev_b32_e32 v15, 24, v9
	v_bfrev_b32_e32 v17, 60
	v_lshlrev_b32_e32 v8, 20, v8
	v_and_b32_e32 v15, 0x80000000, v15
	v_lshl_add_u32 v6, v6, 23, v17
	v_or3_b32 v17, v15, v6, v8
.LBB568_667:
	s_or_b64 exec, exec, s[10:11]
.LBB568_668:
	s_or_b64 exec, exec, s[8:9]
.LBB568_669:
	s_or_b64 exec, exec, s[2:3]
	v_lshrrev_b16_e32 v6, 8, v9
	v_cmp_ne_u16_e32 vcc, 0, v6
	v_mov_b32_e32 v8, 0
	v_mov_b32_e32 v19, 0
	s_and_saveexec_b64 s[2:3], vcc
	s_cbranch_execz .LBB568_675
; %bb.670:
	s_movk_i32 s7, 0x80
	v_cmp_ne_u16_e32 vcc, s7, v6
	v_bfrev_b32_e32 v19, 1
	s_and_saveexec_b64 s[8:9], vcc
	s_cbranch_execz .LBB568_674
; %bb.671:
	s_movk_i32 s7, 0x7f
	v_and_b32_e32 v15, 0x7f, v6
	v_cmp_ne_u32_e32 vcc, s7, v15
	v_mov_b32_e32 v19, 0x7f800001
	s_and_saveexec_b64 s[10:11], vcc
	s_cbranch_execz .LBB568_673
; %bb.672:
	v_and_b32_e32 v19, 7, v6
	v_ffbh_u32_e32 v20, v19
	v_min_u32_e32 v24, 32, v20
	v_subrev_u32_e32 v20, 28, v24
	v_lshlrev_b64 v[20:21], v20, v[6:7]
	v_lshrrev_b32_e32 v23, 3, v15
	v_sub_u32_e32 v6, 29, v24
	v_and_b32_e32 v20, 7, v20
	v_cmp_gt_u32_e32 vcc, 8, v15
	v_cndmask_b32_e32 v6, v23, v6, vcc
	v_cndmask_b32_e32 v15, v19, v20, vcc
	v_lshlrev_b32_e32 v19, 16, v9
	v_bfrev_b32_e32 v20, 60
	v_lshlrev_b32_e32 v15, 20, v15
	v_and_b32_e32 v19, 0x80000000, v19
	v_lshl_add_u32 v6, v6, 23, v20
	v_or3_b32 v19, v19, v6, v15
.LBB568_673:
	s_or_b64 exec, exec, s[10:11]
.LBB568_674:
	s_or_b64 exec, exec, s[8:9]
.LBB568_675:
	s_or_b64 exec, exec, s[2:3]
	s_movk_i32 s2, 0xff
	v_and_b32_sdwa v15, v9, s2 dst_sel:DWORD dst_unused:UNUSED_PAD src0_sel:WORD_1 src1_sel:DWORD
	v_lshrrev_b32_e32 v6, 16, v9
	v_cmp_ne_u16_e32 vcc, 0, v15
	s_and_saveexec_b64 s[2:3], vcc
	s_cbranch_execz .LBB568_681
; %bb.676:
	s_movk_i32 s7, 0x80
	v_cmp_ne_u16_e32 vcc, s7, v15
	v_bfrev_b32_e32 v8, 1
	s_and_saveexec_b64 s[8:9], vcc
	s_cbranch_execz .LBB568_680
; %bb.677:
	v_bfe_u32 v15, v9, 16, 7
	s_movk_i32 s7, 0x7f
	v_cmp_ne_u32_e32 vcc, s7, v15
	v_mov_b32_e32 v8, 0x7f800001
	s_and_saveexec_b64 s[10:11], vcc
	s_cbranch_execz .LBB568_679
; %bb.678:
	v_and_b32_e32 v8, 7, v6
	v_ffbh_u32_e32 v20, v8
	v_min_u32_e32 v24, 32, v20
	v_subrev_u32_e32 v20, 28, v24
	v_lshlrev_b64 v[20:21], v20, v[6:7]
	v_lshrrev_b32_e32 v23, 3, v15
	v_sub_u32_e32 v6, 29, v24
	v_and_b32_e32 v20, 7, v20
	v_cmp_gt_u32_e32 vcc, 8, v15
	v_mov_b32_e32 v15, 24
	v_cndmask_b32_e32 v6, v23, v6, vcc
	v_cndmask_b32_e32 v8, v8, v20, vcc
	v_lshlrev_b32_sdwa v15, v15, v9 dst_sel:DWORD dst_unused:UNUSED_PAD src0_sel:DWORD src1_sel:WORD_1
	v_bfrev_b32_e32 v20, 60
	v_lshlrev_b32_e32 v8, 20, v8
	v_and_b32_e32 v15, 0x80000000, v15
	v_lshl_add_u32 v6, v6, 23, v20
	v_or3_b32 v8, v15, v6, v8
.LBB568_679:
	s_or_b64 exec, exec, s[10:11]
.LBB568_680:
	s_or_b64 exec, exec, s[8:9]
.LBB568_681:
	s_or_b64 exec, exec, s[2:3]
	s_mov_b32 s2, 0xffffff
	v_cmp_lt_u32_e32 vcc, s2, v9
	v_mov_b32_e32 v15, 0
	v_mov_b32_e32 v20, 0
	s_and_saveexec_b64 s[2:3], vcc
	s_cbranch_execz .LBB568_687
; %bb.682:
	v_lshrrev_b32_e32 v6, 24, v9
	s_movk_i32 s7, 0x80
	v_cmp_ne_u32_e32 vcc, s7, v6
	v_bfrev_b32_e32 v20, 1
	s_and_saveexec_b64 s[8:9], vcc
	s_cbranch_execz .LBB568_686
; %bb.683:
	v_bfe_u32 v9, v9, 24, 7
	s_movk_i32 s7, 0x7f
	v_cmp_ne_u32_e32 vcc, s7, v9
	v_mov_b32_e32 v20, 0x7f800001
	s_and_saveexec_b64 s[10:11], vcc
	s_cbranch_execz .LBB568_685
; %bb.684:
	v_and_b32_e32 v23, 7, v6
	v_ffbh_u32_e32 v20, v23
	v_min_u32_e32 v25, 32, v20
	v_subrev_u32_e32 v20, 28, v25
	v_lshlrev_b64 v[20:21], v20, v[6:7]
	v_lshrrev_b32_e32 v24, 3, v9
	v_sub_u32_e32 v21, 29, v25
	v_and_b32_e32 v20, 7, v20
	v_cmp_gt_u32_e32 vcc, 8, v9
	v_cndmask_b32_e32 v9, v24, v21, vcc
	v_cndmask_b32_e32 v20, v23, v20, vcc
	v_lshlrev_b32_e32 v6, 24, v6
	v_bfrev_b32_e32 v21, 60
	v_lshlrev_b32_e32 v20, 20, v20
	v_and_b32_e32 v6, 0x80000000, v6
	v_lshl_add_u32 v9, v9, 23, v21
	v_or3_b32 v20, v6, v9, v20
.LBB568_685:
	s_or_b64 exec, exec, s[10:11]
.LBB568_686:
	s_or_b64 exec, exec, s[8:9]
.LBB568_687:
	s_or_b64 exec, exec, s[2:3]
	v_cvt_pkrtz_f16_f32 v6, v14, v16
	v_cvt_pkrtz_f16_f32 v7, v7, v18
	ds_read_b128 v[24:27], v22 offset:4112
	s_waitcnt vmcnt(0)
	v_cmp_ne_u16_sdwa s[8:9], v2, v15 src0_sel:BYTE_0 src1_sel:DWORD
	s_waitcnt lgkmcnt(0)
	v_mfma_f32_16x16x16f16 v[10:13], v[6:7], v[24:25], v[10:13]
	v_cvt_pkrtz_f16_f32 v6, v17, v19
	v_cvt_pkrtz_f16_f32 v7, v8, v20
	s_nop 1
	v_mfma_f32_16x16x16f16 v[6:9], v[6:7], v[26:27], v[10:13]
	s_and_saveexec_b64 s[2:3], s[8:9]
	s_cbranch_execz .LBB568_693
; %bb.688:
	s_movk_i32 s7, 0x80
	v_cmp_ne_u16_sdwa s[10:11], v2, s7 src0_sel:BYTE_0 src1_sel:DWORD
	v_bfrev_b32_e32 v15, 1
	s_and_saveexec_b64 s[8:9], s[10:11]
	s_cbranch_execz .LBB568_692
; %bb.689:
	s_movk_i32 s7, 0x7f
	v_and_b32_e32 v10, 0x7f, v2
	v_cmp_ne_u32_e32 vcc, s7, v10
	v_mov_b32_e32 v15, 0x7f800001
	s_and_saveexec_b64 s[10:11], vcc
	s_cbranch_execz .LBB568_691
; %bb.690:
	v_and_b32_e32 v11, 7, v2
	v_ffbh_u32_e32 v12, v11
	v_min_u32_e32 v15, 32, v12
	v_subrev_u32_e32 v12, 28, v15
	v_lshlrev_b64 v[12:13], v12, v[2:3]
	v_lshrrev_b32_e32 v14, 3, v10
	v_sub_u32_e32 v13, 29, v15
	v_and_b32_e32 v12, 7, v12
	v_cmp_gt_u32_e32 vcc, 8, v10
	v_cndmask_b32_e32 v10, v14, v13, vcc
	v_cndmask_b32_e32 v11, v11, v12, vcc
	v_lshlrev_b32_e32 v12, 24, v2
	v_bfrev_b32_e32 v13, 60
	v_lshlrev_b32_e32 v11, 20, v11
	v_and_b32_e32 v12, 0x80000000, v12
	v_lshl_add_u32 v10, v10, 23, v13
	v_or3_b32 v15, v12, v10, v11
.LBB568_691:
	s_or_b64 exec, exec, s[10:11]
.LBB568_692:
	s_or_b64 exec, exec, s[8:9]
.LBB568_693:
	s_or_b64 exec, exec, s[2:3]
	s_nop 3
	v_lshrrev_b16_e32 v10, 8, v2
	v_cmp_ne_u16_e32 vcc, 0, v10
	v_mov_b32_e32 v11, 0
	v_mov_b32_e32 v12, 0
	s_and_saveexec_b64 s[2:3], vcc
	s_cbranch_execz .LBB568_699
; %bb.694:
	s_movk_i32 s7, 0x80
	v_cmp_ne_u16_e32 vcc, s7, v10
	v_bfrev_b32_e32 v12, 1
	s_and_saveexec_b64 s[8:9], vcc
	s_cbranch_execz .LBB568_698
; %bb.695:
	s_movk_i32 s7, 0x7f
	v_and_b32_e32 v13, 0x7f, v10
	v_cmp_ne_u32_e32 vcc, s7, v13
	v_mov_b32_e32 v12, 0x7f800001
	s_and_saveexec_b64 s[10:11], vcc
	s_cbranch_execz .LBB568_697
; %bb.696:
	v_and_b32_e32 v12, 7, v10
	v_ffbh_u32_e32 v16, v12
	v_min_u32_e32 v18, 32, v16
	v_subrev_u32_e32 v16, 28, v18
	v_lshlrev_b64 v[16:17], v16, v[10:11]
	v_lshrrev_b32_e32 v14, 3, v13
	v_sub_u32_e32 v10, 29, v18
	v_and_b32_e32 v16, 7, v16
	v_cmp_gt_u32_e32 vcc, 8, v13
	v_cndmask_b32_e32 v10, v14, v10, vcc
	v_cndmask_b32_e32 v12, v12, v16, vcc
	v_lshlrev_b32_e32 v13, 16, v2
	v_bfrev_b32_e32 v14, 60
	v_lshlrev_b32_e32 v12, 20, v12
	v_and_b32_e32 v13, 0x80000000, v13
	v_lshl_add_u32 v10, v10, 23, v14
	v_or3_b32 v12, v13, v10, v12
.LBB568_697:
	s_or_b64 exec, exec, s[10:11]
.LBB568_698:
	s_or_b64 exec, exec, s[8:9]
.LBB568_699:
	s_or_b64 exec, exec, s[2:3]
	s_movk_i32 s2, 0xff
	v_and_b32_sdwa v13, v2, s2 dst_sel:DWORD dst_unused:UNUSED_PAD src0_sel:WORD_1 src1_sel:DWORD
	v_lshrrev_b32_e32 v10, 16, v2
	v_cmp_ne_u16_e32 vcc, 0, v13
	s_and_saveexec_b64 s[2:3], vcc
	s_cbranch_execz .LBB568_705
; %bb.700:
	s_movk_i32 s7, 0x80
	v_cmp_ne_u16_e32 vcc, s7, v13
	v_bfrev_b32_e32 v11, 1
	s_and_saveexec_b64 s[8:9], vcc
	s_cbranch_execz .LBB568_704
; %bb.701:
	v_bfe_u32 v13, v2, 16, 7
	s_movk_i32 s7, 0x7f
	v_cmp_ne_u32_e32 vcc, s7, v13
	v_mov_b32_e32 v11, 0x7f800001
	s_and_saveexec_b64 s[10:11], vcc
	s_cbranch_execz .LBB568_703
; %bb.702:
	v_and_b32_e32 v14, 7, v10
	v_ffbh_u32_e32 v11, v14
	v_min_u32_e32 v17, 32, v11
	v_subrev_u32_e32 v11, 28, v17
	v_lshlrev_b64 v[10:11], v11, v[10:11]
	v_lshrrev_b32_e32 v16, 3, v13
	v_sub_u32_e32 v11, 29, v17
	v_and_b32_e32 v10, 7, v10
	v_cmp_gt_u32_e32 vcc, 8, v13
	v_mov_b32_e32 v13, 24
	v_cndmask_b32_e32 v11, v16, v11, vcc
	v_cndmask_b32_e32 v10, v14, v10, vcc
	v_lshlrev_b32_sdwa v13, v13, v2 dst_sel:DWORD dst_unused:UNUSED_PAD src0_sel:DWORD src1_sel:WORD_1
	v_bfrev_b32_e32 v14, 60
	v_lshlrev_b32_e32 v10, 20, v10
	v_and_b32_e32 v13, 0x80000000, v13
	v_lshl_add_u32 v11, v11, 23, v14
	v_or3_b32 v11, v13, v11, v10
.LBB568_703:
	s_or_b64 exec, exec, s[10:11]
.LBB568_704:
	s_or_b64 exec, exec, s[8:9]
.LBB568_705:
	s_or_b64 exec, exec, s[2:3]
	s_mov_b32 s2, 0xffffff
	v_cmp_lt_u32_e32 vcc, s2, v2
	v_mov_b32_e32 v13, 0
	v_mov_b32_e32 v14, 0
	s_and_saveexec_b64 s[2:3], vcc
	s_cbranch_execz .LBB568_711
; %bb.706:
	v_lshrrev_b32_e32 v10, 24, v2
	s_movk_i32 s7, 0x80
	v_cmp_ne_u32_e32 vcc, s7, v10
	v_bfrev_b32_e32 v14, 1
	s_and_saveexec_b64 s[8:9], vcc
	s_cbranch_execz .LBB568_710
; %bb.707:
	v_bfe_u32 v2, v2, 24, 7
	s_movk_i32 s7, 0x7f
	v_cmp_ne_u32_e32 vcc, s7, v2
	v_mov_b32_e32 v14, 0x7f800001
	s_and_saveexec_b64 s[10:11], vcc
	s_cbranch_execz .LBB568_709
; %bb.708:
	v_and_b32_e32 v14, 7, v10
	v_ffbh_u32_e32 v16, v14
	v_min_u32_e32 v19, 32, v16
	v_subrev_u32_e32 v16, 28, v19
	v_lshlrev_b64 v[16:17], v16, v[10:11]
	v_lshrrev_b32_e32 v18, 3, v2
	v_sub_u32_e32 v17, 29, v19
	v_and_b32_e32 v16, 7, v16
	v_cmp_gt_u32_e32 vcc, 8, v2
	v_cndmask_b32_e32 v2, v18, v17, vcc
	v_cndmask_b32_e32 v14, v14, v16, vcc
	v_lshlrev_b32_e32 v10, 24, v10
	v_bfrev_b32_e32 v16, 60
	v_lshlrev_b32_e32 v14, 20, v14
	v_and_b32_e32 v10, 0x80000000, v10
	v_lshl_add_u32 v2, v2, 23, v16
	v_or3_b32 v14, v10, v2, v14
.LBB568_709:
	s_or_b64 exec, exec, s[10:11]
.LBB568_710:
	s_or_b64 exec, exec, s[8:9]
.LBB568_711:
	s_or_b64 exec, exec, s[2:3]
	v_cmp_ne_u16_sdwa s[8:9], v3, v13 src0_sel:BYTE_0 src1_sel:DWORD
	s_and_saveexec_b64 s[2:3], s[8:9]
	s_cbranch_execz .LBB568_717
; %bb.712:
	s_movk_i32 s7, 0x80
	v_cmp_ne_u16_sdwa s[10:11], v3, s7 src0_sel:BYTE_0 src1_sel:DWORD
	v_bfrev_b32_e32 v13, 1
	s_and_saveexec_b64 s[8:9], s[10:11]
	s_cbranch_execz .LBB568_716
; %bb.713:
	s_movk_i32 s7, 0x7f
	v_and_b32_e32 v2, 0x7f, v3
	v_cmp_ne_u32_e32 vcc, s7, v2
	v_mov_b32_e32 v13, 0x7f800001
	s_and_saveexec_b64 s[10:11], vcc
	s_cbranch_execz .LBB568_715
; %bb.714:
	v_and_b32_e32 v13, 7, v3
	v_ffbh_u32_e32 v16, v13
	v_min_u32_e32 v19, 32, v16
	v_mov_b32_e32 v10, v3
	v_subrev_u32_e32 v16, 28, v19
	v_lshlrev_b64 v[16:17], v16, v[10:11]
	v_lshrrev_b32_e32 v18, 3, v2
	v_sub_u32_e32 v10, 29, v19
	v_and_b32_e32 v16, 7, v16
	v_cmp_gt_u32_e32 vcc, 8, v2
	v_cndmask_b32_e32 v2, v18, v10, vcc
	v_cndmask_b32_e32 v10, v13, v16, vcc
	v_lshlrev_b32_e32 v13, 24, v3
	v_bfrev_b32_e32 v16, 60
	v_lshlrev_b32_e32 v10, 20, v10
	v_and_b32_e32 v13, 0x80000000, v13
	v_lshl_add_u32 v2, v2, 23, v16
	v_or3_b32 v13, v13, v2, v10
.LBB568_715:
	s_or_b64 exec, exec, s[10:11]
.LBB568_716:
	s_or_b64 exec, exec, s[8:9]
.LBB568_717:
	s_or_b64 exec, exec, s[2:3]
	v_lshrrev_b16_e32 v2, 8, v3
	v_cmp_ne_u16_e32 vcc, 0, v2
	v_mov_b32_e32 v16, 0
	v_mov_b32_e32 v17, 0
	s_and_saveexec_b64 s[2:3], vcc
	s_cbranch_execz .LBB568_723
; %bb.718:
	s_movk_i32 s7, 0x80
	v_cmp_ne_u16_e32 vcc, s7, v2
	v_bfrev_b32_e32 v17, 1
	s_and_saveexec_b64 s[8:9], vcc
	s_cbranch_execz .LBB568_722
; %bb.719:
	s_movk_i32 s7, 0x7f
	v_and_b32_e32 v10, 0x7f, v2
	v_cmp_ne_u32_e32 vcc, s7, v10
	v_mov_b32_e32 v17, 0x7f800001
	s_and_saveexec_b64 s[10:11], vcc
	s_cbranch_execz .LBB568_721
; %bb.720:
	v_and_b32_e32 v17, 7, v2
	v_ffbh_u32_e32 v18, v17
	v_min_u32_e32 v21, 32, v18
	v_subrev_u32_e32 v18, 28, v21
	v_lshlrev_b64 v[18:19], v18, v[2:3]
	v_lshrrev_b32_e32 v20, 3, v10
	v_sub_u32_e32 v2, 29, v21
	v_and_b32_e32 v18, 7, v18
	v_cmp_gt_u32_e32 vcc, 8, v10
	v_cndmask_b32_e32 v2, v20, v2, vcc
	v_cndmask_b32_e32 v10, v17, v18, vcc
	v_lshlrev_b32_e32 v17, 16, v3
	v_bfrev_b32_e32 v18, 60
	v_lshlrev_b32_e32 v10, 20, v10
	v_and_b32_e32 v17, 0x80000000, v17
	v_lshl_add_u32 v2, v2, 23, v18
	v_or3_b32 v17, v17, v2, v10
.LBB568_721:
	s_or_b64 exec, exec, s[10:11]
.LBB568_722:
	s_or_b64 exec, exec, s[8:9]
.LBB568_723:
	s_or_b64 exec, exec, s[2:3]
	s_movk_i32 s2, 0xff
	v_and_b32_sdwa v10, v3, s2 dst_sel:DWORD dst_unused:UNUSED_PAD src0_sel:WORD_1 src1_sel:DWORD
	v_lshrrev_b32_e32 v2, 16, v3
	v_cmp_ne_u16_e32 vcc, 0, v10
	s_and_saveexec_b64 s[2:3], vcc
	s_cbranch_execz .LBB568_729
; %bb.724:
	s_movk_i32 s7, 0x80
	v_cmp_ne_u16_e32 vcc, s7, v10
	v_bfrev_b32_e32 v16, 1
	s_and_saveexec_b64 s[8:9], vcc
	s_cbranch_execz .LBB568_728
; %bb.725:
	v_bfe_u32 v10, v3, 16, 7
	s_movk_i32 s7, 0x7f
	v_cmp_ne_u32_e32 vcc, s7, v10
	v_mov_b32_e32 v16, 0x7f800001
	s_and_saveexec_b64 s[10:11], vcc
	s_cbranch_execz .LBB568_727
; %bb.726:
	v_and_b32_e32 v16, 7, v2
	v_ffbh_u32_e32 v18, v16
	v_min_u32_e32 v21, 32, v18
	v_subrev_u32_e32 v18, 28, v21
	v_lshlrev_b64 v[18:19], v18, v[2:3]
	v_and_b32_e32 v18, 7, v18
	v_cmp_gt_u32_e32 vcc, 8, v10
	v_lshrrev_b32_e32 v20, 3, v10
	v_sub_u32_e32 v2, 29, v21
	v_cndmask_b32_e32 v10, v16, v18, vcc
	v_mov_b32_e32 v16, 24
	v_cndmask_b32_e32 v2, v20, v2, vcc
	v_lshlrev_b32_sdwa v16, v16, v3 dst_sel:DWORD dst_unused:UNUSED_PAD src0_sel:DWORD src1_sel:WORD_1
	v_bfrev_b32_e32 v18, 60
	v_lshlrev_b32_e32 v10, 20, v10
	v_and_b32_e32 v16, 0x80000000, v16
	v_lshl_add_u32 v2, v2, 23, v18
	v_or3_b32 v16, v16, v2, v10
.LBB568_727:
	s_or_b64 exec, exec, s[10:11]
.LBB568_728:
	s_or_b64 exec, exec, s[8:9]
.LBB568_729:
	s_or_b64 exec, exec, s[2:3]
	s_mov_b32 s2, 0xffffff
	v_cmp_lt_u32_e32 vcc, s2, v3
	v_mov_b32_e32 v10, 0
	v_mov_b32_e32 v18, 0
	s_and_saveexec_b64 s[2:3], vcc
	s_cbranch_execz .LBB568_735
; %bb.730:
	v_lshrrev_b32_e32 v2, 24, v3
	s_movk_i32 s7, 0x80
	v_cmp_ne_u32_e32 vcc, s7, v2
	v_bfrev_b32_e32 v18, 1
	s_and_saveexec_b64 s[8:9], vcc
	s_cbranch_execz .LBB568_734
; %bb.731:
	v_bfe_u32 v3, v3, 24, 7
	s_movk_i32 s7, 0x7f
	v_cmp_ne_u32_e32 vcc, s7, v3
	v_mov_b32_e32 v18, 0x7f800001
	s_and_saveexec_b64 s[10:11], vcc
	s_cbranch_execz .LBB568_733
; %bb.732:
	v_and_b32_e32 v20, 7, v2
	v_ffbh_u32_e32 v18, v20
	v_min_u32_e32 v23, 32, v18
	v_subrev_u32_e32 v18, 28, v23
	v_lshlrev_b64 v[18:19], v18, v[2:3]
	v_lshrrev_b32_e32 v21, 3, v3
	v_sub_u32_e32 v19, 29, v23
	v_and_b32_e32 v18, 7, v18
	v_cmp_gt_u32_e32 vcc, 8, v3
	v_cndmask_b32_e32 v3, v21, v19, vcc
	v_cndmask_b32_e32 v18, v20, v18, vcc
	v_lshlrev_b32_e32 v2, 24, v2
	v_bfrev_b32_e32 v19, 60
	v_lshlrev_b32_e32 v18, 20, v18
	v_and_b32_e32 v2, 0x80000000, v2
	v_lshl_add_u32 v3, v3, 23, v19
	v_or3_b32 v18, v2, v3, v18
.LBB568_733:
	s_or_b64 exec, exec, s[10:11]
.LBB568_734:
	s_or_b64 exec, exec, s[8:9]
.LBB568_735:
	s_or_b64 exec, exec, s[2:3]
	v_cvt_pkrtz_f16_f32 v2, v15, v12
	v_cvt_pkrtz_f16_f32 v3, v11, v14
	ds_read_b128 v[24:27], v22 offset:6144
	v_cmp_ne_u16_sdwa s[8:9], v4, v10 src0_sel:BYTE_0 src1_sel:DWORD
	s_waitcnt lgkmcnt(0)
	v_mfma_f32_16x16x16f16 v[6:9], v[2:3], v[24:25], v[6:9]
	v_cvt_pkrtz_f16_f32 v2, v13, v17
	v_cvt_pkrtz_f16_f32 v3, v16, v18
	s_nop 1
	v_mfma_f32_16x16x16f16 v[6:9], v[2:3], v[26:27], v[6:9]
	s_and_saveexec_b64 s[2:3], s[8:9]
	s_cbranch_execz .LBB568_741
; %bb.736:
	s_movk_i32 s7, 0x80
	v_cmp_ne_u16_sdwa s[10:11], v4, s7 src0_sel:BYTE_0 src1_sel:DWORD
	v_bfrev_b32_e32 v10, 1
	s_and_saveexec_b64 s[8:9], s[10:11]
	s_cbranch_execz .LBB568_740
; %bb.737:
	s_movk_i32 s7, 0x7f
	v_and_b32_e32 v2, 0x7f, v4
	v_cmp_ne_u32_e32 vcc, s7, v2
	v_mov_b32_e32 v10, 0x7f800001
	s_and_saveexec_b64 s[10:11], vcc
	s_cbranch_execz .LBB568_739
; %bb.738:
	v_and_b32_e32 v3, 7, v4
	v_ffbh_u32_e32 v10, v3
	v_min_u32_e32 v13, 32, v10
	v_subrev_u32_e32 v10, 28, v13
	v_lshlrev_b64 v[10:11], v10, v[4:5]
	v_lshrrev_b32_e32 v12, 3, v2
	v_sub_u32_e32 v11, 29, v13
	v_and_b32_e32 v10, 7, v10
	v_cmp_gt_u32_e32 vcc, 8, v2
	v_cndmask_b32_e32 v2, v12, v11, vcc
	v_cndmask_b32_e32 v3, v3, v10, vcc
	v_lshlrev_b32_e32 v10, 24, v4
	v_bfrev_b32_e32 v11, 60
	v_lshlrev_b32_e32 v3, 20, v3
	v_and_b32_e32 v10, 0x80000000, v10
	v_lshl_add_u32 v2, v2, 23, v11
	v_or3_b32 v10, v10, v2, v3
.LBB568_739:
	s_or_b64 exec, exec, s[10:11]
.LBB568_740:
	s_or_b64 exec, exec, s[8:9]
.LBB568_741:
	s_or_b64 exec, exec, s[2:3]
	v_lshrrev_b16_e32 v2, 8, v4
	v_cmp_ne_u16_e32 vcc, 0, v2
	v_mov_b32_e32 v3, 0
	v_mov_b32_e32 v11, 0
	s_and_saveexec_b64 s[2:3], vcc
	s_cbranch_execz .LBB568_747
; %bb.742:
	s_movk_i32 s7, 0x80
	v_cmp_ne_u16_e32 vcc, s7, v2
	v_bfrev_b32_e32 v11, 1
	s_and_saveexec_b64 s[8:9], vcc
	s_cbranch_execz .LBB568_746
; %bb.743:
	s_movk_i32 s7, 0x7f
	v_and_b32_e32 v12, 0x7f, v2
	v_cmp_ne_u32_e32 vcc, s7, v12
	v_mov_b32_e32 v11, 0x7f800001
	s_and_saveexec_b64 s[10:11], vcc
	s_cbranch_execz .LBB568_745
; %bb.744:
	v_and_b32_e32 v11, 7, v2
	v_ffbh_u32_e32 v14, v11
	v_min_u32_e32 v16, 32, v14
	v_subrev_u32_e32 v14, 28, v16
	v_lshlrev_b64 v[14:15], v14, v[2:3]
	v_lshrrev_b32_e32 v13, 3, v12
	v_sub_u32_e32 v2, 29, v16
	v_and_b32_e32 v14, 7, v14
	v_cmp_gt_u32_e32 vcc, 8, v12
	v_cndmask_b32_e32 v2, v13, v2, vcc
	v_cndmask_b32_e32 v11, v11, v14, vcc
	v_lshlrev_b32_e32 v12, 16, v4
	v_bfrev_b32_e32 v13, 60
	v_lshlrev_b32_e32 v11, 20, v11
	v_and_b32_e32 v12, 0x80000000, v12
	v_lshl_add_u32 v2, v2, 23, v13
	v_or3_b32 v11, v12, v2, v11
.LBB568_745:
	s_or_b64 exec, exec, s[10:11]
.LBB568_746:
	s_or_b64 exec, exec, s[8:9]
.LBB568_747:
	s_or_b64 exec, exec, s[2:3]
	s_movk_i32 s2, 0xff
	v_and_b32_sdwa v12, v4, s2 dst_sel:DWORD dst_unused:UNUSED_PAD src0_sel:WORD_1 src1_sel:DWORD
	v_lshrrev_b32_e32 v2, 16, v4
	v_cmp_ne_u16_e32 vcc, 0, v12
	s_and_saveexec_b64 s[2:3], vcc
	s_cbranch_execz .LBB568_753
; %bb.748:
	s_movk_i32 s7, 0x80
	v_cmp_ne_u16_e32 vcc, s7, v12
	v_bfrev_b32_e32 v3, 1
	s_and_saveexec_b64 s[8:9], vcc
	s_cbranch_execz .LBB568_752
; %bb.749:
	v_bfe_u32 v12, v4, 16, 7
	s_movk_i32 s7, 0x7f
	v_cmp_ne_u32_e32 vcc, s7, v12
	v_mov_b32_e32 v3, 0x7f800001
	s_and_saveexec_b64 s[10:11], vcc
	s_cbranch_execz .LBB568_751
; %bb.750:
	v_and_b32_e32 v13, 7, v2
	v_ffbh_u32_e32 v3, v13
	v_min_u32_e32 v15, 32, v3
	v_subrev_u32_e32 v3, 28, v15
	v_lshlrev_b64 v[2:3], v3, v[2:3]
	v_lshrrev_b32_e32 v14, 3, v12
	v_sub_u32_e32 v3, 29, v15
	v_and_b32_e32 v2, 7, v2
	v_cmp_gt_u32_e32 vcc, 8, v12
	v_mov_b32_e32 v12, 24
	v_cndmask_b32_e32 v3, v14, v3, vcc
	v_cndmask_b32_e32 v2, v13, v2, vcc
	v_lshlrev_b32_sdwa v12, v12, v4 dst_sel:DWORD dst_unused:UNUSED_PAD src0_sel:DWORD src1_sel:WORD_1
	v_bfrev_b32_e32 v13, 60
	v_lshlrev_b32_e32 v2, 20, v2
	v_and_b32_e32 v12, 0x80000000, v12
	v_lshl_add_u32 v3, v3, 23, v13
	v_or3_b32 v3, v12, v3, v2
.LBB568_751:
	s_or_b64 exec, exec, s[10:11]
.LBB568_752:
	s_or_b64 exec, exec, s[8:9]
.LBB568_753:
	s_or_b64 exec, exec, s[2:3]
	s_mov_b32 s2, 0xffffff
	v_cmp_lt_u32_e32 vcc, s2, v4
	v_mov_b32_e32 v12, 0
	v_mov_b32_e32 v13, 0
	s_and_saveexec_b64 s[2:3], vcc
	s_cbranch_execz .LBB568_759
; %bb.754:
	v_lshrrev_b32_e32 v2, 24, v4
	s_movk_i32 s7, 0x80
	v_cmp_ne_u32_e32 vcc, s7, v2
	v_bfrev_b32_e32 v13, 1
	s_and_saveexec_b64 s[8:9], vcc
	s_cbranch_execz .LBB568_758
; %bb.755:
	v_bfe_u32 v4, v4, 24, 7
	s_movk_i32 s7, 0x7f
	v_cmp_ne_u32_e32 vcc, s7, v4
	v_mov_b32_e32 v13, 0x7f800001
	s_and_saveexec_b64 s[10:11], vcc
	s_cbranch_execz .LBB568_757
; %bb.756:
	v_and_b32_e32 v13, 7, v2
	v_ffbh_u32_e32 v14, v13
	v_min_u32_e32 v17, 32, v14
	v_subrev_u32_e32 v14, 28, v17
	v_lshlrev_b64 v[14:15], v14, v[2:3]
	v_lshrrev_b32_e32 v16, 3, v4
	v_sub_u32_e32 v15, 29, v17
	v_and_b32_e32 v14, 7, v14
	v_cmp_gt_u32_e32 vcc, 8, v4
	v_cndmask_b32_e32 v4, v16, v15, vcc
	v_cndmask_b32_e32 v13, v13, v14, vcc
	v_lshlrev_b32_e32 v2, 24, v2
	v_bfrev_b32_e32 v14, 60
	v_lshlrev_b32_e32 v13, 20, v13
	v_and_b32_e32 v2, 0x80000000, v2
	v_lshl_add_u32 v4, v4, 23, v14
	v_or3_b32 v13, v2, v4, v13
.LBB568_757:
	s_or_b64 exec, exec, s[10:11]
.LBB568_758:
	s_or_b64 exec, exec, s[8:9]
.LBB568_759:
	s_or_b64 exec, exec, s[2:3]
	v_cmp_ne_u16_sdwa s[8:9], v5, v12 src0_sel:BYTE_0 src1_sel:DWORD
	s_and_saveexec_b64 s[2:3], s[8:9]
	s_cbranch_execz .LBB568_765
; %bb.760:
	s_movk_i32 s7, 0x80
	v_cmp_ne_u16_sdwa s[10:11], v5, s7 src0_sel:BYTE_0 src1_sel:DWORD
	v_bfrev_b32_e32 v12, 1
	s_and_saveexec_b64 s[8:9], s[10:11]
	s_cbranch_execz .LBB568_764
; %bb.761:
	s_movk_i32 s7, 0x7f
	v_and_b32_e32 v2, 0x7f, v5
	v_cmp_ne_u32_e32 vcc, s7, v2
	v_mov_b32_e32 v12, 0x7f800001
	s_and_saveexec_b64 s[10:11], vcc
	s_cbranch_execz .LBB568_763
; %bb.762:
	v_and_b32_e32 v12, 7, v5
	v_ffbh_u32_e32 v14, v12
	v_min_u32_e32 v17, 32, v14
	v_mov_b32_e32 v4, v5
	v_subrev_u32_e32 v14, 28, v17
	v_lshlrev_b64 v[14:15], v14, v[4:5]
	v_lshrrev_b32_e32 v16, 3, v2
	v_sub_u32_e32 v4, 29, v17
	v_and_b32_e32 v14, 7, v14
	v_cmp_gt_u32_e32 vcc, 8, v2
	v_cndmask_b32_e32 v2, v16, v4, vcc
	v_cndmask_b32_e32 v4, v12, v14, vcc
	v_lshlrev_b32_e32 v12, 24, v5
	v_bfrev_b32_e32 v14, 60
	v_lshlrev_b32_e32 v4, 20, v4
	v_and_b32_e32 v12, 0x80000000, v12
	v_lshl_add_u32 v2, v2, 23, v14
	v_or3_b32 v12, v12, v2, v4
.LBB568_763:
	s_or_b64 exec, exec, s[10:11]
.LBB568_764:
	s_or_b64 exec, exec, s[8:9]
.LBB568_765:
	s_or_b64 exec, exec, s[2:3]
	v_lshrrev_b16_e32 v2, 8, v5
	v_cmp_ne_u16_e32 vcc, 0, v2
	v_mov_b32_e32 v4, 0
	v_mov_b32_e32 v14, 0
	s_and_saveexec_b64 s[2:3], vcc
	s_cbranch_execz .LBB568_771
; %bb.766:
	s_movk_i32 s7, 0x80
	v_cmp_ne_u16_e32 vcc, s7, v2
	v_bfrev_b32_e32 v14, 1
	s_and_saveexec_b64 s[8:9], vcc
	s_cbranch_execz .LBB568_770
; %bb.767:
	s_movk_i32 s7, 0x7f
	v_and_b32_e32 v15, 0x7f, v2
	v_cmp_ne_u32_e32 vcc, s7, v15
	v_mov_b32_e32 v14, 0x7f800001
	s_and_saveexec_b64 s[10:11], vcc
	s_cbranch_execz .LBB568_769
; %bb.768:
	v_and_b32_e32 v14, 7, v2
	v_ffbh_u32_e32 v16, v14
	v_min_u32_e32 v19, 32, v16
	v_subrev_u32_e32 v16, 28, v19
	v_lshlrev_b64 v[16:17], v16, v[2:3]
	v_lshrrev_b32_e32 v18, 3, v15
	v_sub_u32_e32 v2, 29, v19
	v_and_b32_e32 v16, 7, v16
	v_cmp_gt_u32_e32 vcc, 8, v15
	v_cndmask_b32_e32 v2, v18, v2, vcc
	v_cndmask_b32_e32 v14, v14, v16, vcc
	v_lshlrev_b32_e32 v15, 16, v5
	v_bfrev_b32_e32 v16, 60
	v_lshlrev_b32_e32 v14, 20, v14
	v_and_b32_e32 v15, 0x80000000, v15
	v_lshl_add_u32 v2, v2, 23, v16
	v_or3_b32 v14, v15, v2, v14
.LBB568_769:
	s_or_b64 exec, exec, s[10:11]
.LBB568_770:
	s_or_b64 exec, exec, s[8:9]
.LBB568_771:
	s_or_b64 exec, exec, s[2:3]
	s_movk_i32 s2, 0xff
	v_and_b32_sdwa v15, v5, s2 dst_sel:DWORD dst_unused:UNUSED_PAD src0_sel:WORD_1 src1_sel:DWORD
	v_lshrrev_b32_e32 v2, 16, v5
	v_cmp_ne_u16_e32 vcc, 0, v15
	s_and_saveexec_b64 s[2:3], vcc
	s_cbranch_execz .LBB568_777
; %bb.772:
	s_movk_i32 s7, 0x80
	v_cmp_ne_u16_e32 vcc, s7, v15
	v_bfrev_b32_e32 v4, 1
	s_and_saveexec_b64 s[8:9], vcc
	s_cbranch_execz .LBB568_776
; %bb.773:
	v_bfe_u32 v15, v5, 16, 7
	s_movk_i32 s7, 0x7f
	v_cmp_ne_u32_e32 vcc, s7, v15
	v_mov_b32_e32 v4, 0x7f800001
	s_and_saveexec_b64 s[10:11], vcc
	s_cbranch_execz .LBB568_775
; %bb.774:
	v_and_b32_e32 v4, 7, v2
	v_ffbh_u32_e32 v16, v4
	v_min_u32_e32 v19, 32, v16
	v_subrev_u32_e32 v16, 28, v19
	v_lshlrev_b64 v[16:17], v16, v[2:3]
	v_lshrrev_b32_e32 v18, 3, v15
	v_sub_u32_e32 v2, 29, v19
	v_and_b32_e32 v16, 7, v16
	v_cmp_gt_u32_e32 vcc, 8, v15
	v_mov_b32_e32 v15, 24
	v_cndmask_b32_e32 v2, v18, v2, vcc
	v_cndmask_b32_e32 v4, v4, v16, vcc
	v_lshlrev_b32_sdwa v15, v15, v5 dst_sel:DWORD dst_unused:UNUSED_PAD src0_sel:DWORD src1_sel:WORD_1
	v_bfrev_b32_e32 v16, 60
	v_lshlrev_b32_e32 v4, 20, v4
	v_and_b32_e32 v15, 0x80000000, v15
	v_lshl_add_u32 v2, v2, 23, v16
	v_or3_b32 v4, v15, v2, v4
.LBB568_775:
	s_or_b64 exec, exec, s[10:11]
.LBB568_776:
	s_or_b64 exec, exec, s[8:9]
.LBB568_777:
	s_or_b64 exec, exec, s[2:3]
	s_mov_b32 s2, 0xffffff
	v_cmp_lt_u32_e32 vcc, s2, v5
	v_mov_b32_e32 v15, 0
	s_and_saveexec_b64 s[2:3], vcc
	s_cbranch_execz .LBB568_783
; %bb.778:
	v_lshrrev_b32_e32 v2, 24, v5
	s_movk_i32 s7, 0x80
	v_cmp_ne_u32_e32 vcc, s7, v2
	v_bfrev_b32_e32 v15, 1
	s_and_saveexec_b64 s[8:9], vcc
	s_cbranch_execz .LBB568_782
; %bb.779:
	v_bfe_u32 v5, v5, 24, 7
	s_movk_i32 s7, 0x7f
	v_cmp_ne_u32_e32 vcc, s7, v5
	v_mov_b32_e32 v15, 0x7f800001
	s_and_saveexec_b64 s[10:11], vcc
	s_cbranch_execz .LBB568_781
; %bb.780:
	v_and_b32_e32 v15, 7, v2
	v_ffbh_u32_e32 v16, v15
	v_min_u32_e32 v19, 32, v16
	v_subrev_u32_e32 v16, 28, v19
	v_lshlrev_b64 v[16:17], v16, v[2:3]
	v_lshrrev_b32_e32 v18, 3, v5
	v_sub_u32_e32 v17, 29, v19
	v_and_b32_e32 v16, 7, v16
	v_cmp_gt_u32_e32 vcc, 8, v5
	v_cndmask_b32_e32 v5, v18, v17, vcc
	v_cndmask_b32_e32 v15, v15, v16, vcc
	v_lshlrev_b32_e32 v2, 24, v2
	v_bfrev_b32_e32 v16, 60
	v_lshlrev_b32_e32 v15, 20, v15
	v_and_b32_e32 v2, 0x80000000, v2
	v_lshl_add_u32 v5, v5, 23, v16
	v_or3_b32 v15, v2, v5, v15
.LBB568_781:
	s_or_b64 exec, exec, s[10:11]
.LBB568_782:
	s_or_b64 exec, exec, s[8:9]
.LBB568_783:
	s_or_b64 exec, exec, s[2:3]
	v_cvt_pkrtz_f16_f32 v2, v10, v11
	v_cvt_pkrtz_f16_f32 v3, v3, v13
	ds_read_b128 v[16:19], v22 offset:6160
	s_load_dword s2, s[42:43], 0x0
	v_cmp_gt_u32_e32 vcc, 64, v0
	s_waitcnt lgkmcnt(0)
	v_mfma_f32_16x16x16f16 v[6:9], v[2:3], v[16:17], v[6:9]
	v_cvt_pkrtz_f16_f32 v2, v12, v14
	v_cvt_pkrtz_f16_f32 v3, v4, v15
	s_and_b64 s[0:1], vcc, s[0:1]
	s_barrier
	v_mfma_f32_16x16x16f16 v[2:5], v[2:3], v[18:19], v[6:9]
	s_nop 7
	s_nop 2
	v_pk_mul_f32 v[4:5], v[4:5], s[2:3] op_sel_hi:[1,0]
	v_pk_mul_f32 v[2:3], v[2:3], s[2:3] op_sel_hi:[1,0]
	v_cvt_f16_f32_e32 v2, v2
	v_cvt_f16_f32_e32 v3, v3
	;; [unrolled: 1-line block ×4, first 2 shown]
	v_pack_b32_f16 v2, v2, v3
	v_pack_b32_f16 v3, v4, v5
	ds_write_b64 v28, v[2:3]
	s_waitcnt lgkmcnt(0)
	s_barrier
	s_and_saveexec_b64 s[2:3], s[0:1]
	s_cbranch_execz .LBB568_786
; %bb.784:
	s_load_dwordx2 s[2:3], s[4:5], 0x68
	s_lshl_b32 s0, s44, 6
	s_mul_i32 s1, s12, s6
	s_mul_hi_u32 s7, s1, s0
	s_mul_i32 s6, s1, s0
	s_lshl_b64 s[6:7], s[6:7], 1
	s_waitcnt lgkmcnt(0)
	s_add_u32 s1, s2, s6
	v_lshlrev_b32_e32 v0, 10, v0
	s_mov_b32 s5, 0
	s_addc_u32 s6, s3, s7
	s_lshl_b32 s4, s24, 6
	v_and_b32_e32 v0, 0x1800, v0
	v_lshlrev_b32_e32 v2, 5, v1
	v_and_b32_e32 v3, 16, v47
	s_lshl_b64 s[2:3], s[4:5], 1
	v_or3_b32 v0, v0, v2, v3
	s_add_u32 s1, s1, s2
	s_addc_u32 s2, s6, s3
	ds_read_b128 v[4:7], v0 offset:128
	ds_read_b128 v[8:11], v0
	v_add_u32_e32 v14, s25, v1
	v_mov_b32_e32 v3, s2
	v_add_co_u32_e32 v2, vcc, s1, v46
	v_mad_u64_u32 v[12:13], s[2:3], v14, s0, 0
	v_addc_co_u32_e32 v3, vcc, 0, v3, vcc
	v_lshlrev_b64 v[12:13], 1, v[12:13]
	v_add_co_u32_e32 v12, vcc, v2, v12
	v_addc_co_u32_e32 v13, vcc, v3, v13, vcc
	s_waitcnt lgkmcnt(0)
	global_store_dwordx4 v[12:13], v[8:11], off
	s_nop 0
	v_add_u32_e32 v8, 4, v14
	v_mad_u64_u32 v[8:9], s[2:3], v8, s0, 0
	v_lshlrev_b64 v[8:9], 1, v[8:9]
	v_add_co_u32_e32 v8, vcc, v2, v8
	v_addc_co_u32_e32 v9, vcc, v3, v9, vcc
	v_cmp_ne_u32_e32 vcc, 3, v1
	global_store_dwordx4 v[8:9], v[4:7], off
	s_and_b64 exec, exec, vcc
	s_cbranch_execz .LBB568_786
; %bb.785:
	ds_read_b128 v[4:7], v0 offset:256
	v_add3_u32 v0, s25, v1, 8
	v_mad_u64_u32 v[0:1], s[0:1], v0, s0, 0
	v_lshlrev_b64 v[0:1], 1, v[0:1]
	v_add_co_u32_e32 v0, vcc, v2, v0
	v_addc_co_u32_e32 v1, vcc, v3, v1, vcc
	s_waitcnt lgkmcnt(0)
	global_store_dwordx4 v[0:1], v[4:7], off
.LBB568_786:
	s_endpgm
	.section	.rodata,"a",@progbits
	.p2align	6, 0x0
	.amdhsa_kernel _Z39paged_attention_ll4mi_QKV_mfma16_kernelIDF16_hLN4vllm18Fp8KVCacheDataTypeE1EDF16_Li16ELi64ELi256ELb0ELi11EL8MFMAType0EEvPKT_PKT0_S8_ifPKiSA_SA_iPKfiiiPfSD_PS3_PT2_iSC_SC_
		.amdhsa_group_segment_fixed_size 8192
		.amdhsa_private_segment_fixed_size 0
		.amdhsa_kernarg_size 400
		.amdhsa_user_sgpr_count 6
		.amdhsa_user_sgpr_private_segment_buffer 1
		.amdhsa_user_sgpr_dispatch_ptr 0
		.amdhsa_user_sgpr_queue_ptr 0
		.amdhsa_user_sgpr_kernarg_segment_ptr 1
		.amdhsa_user_sgpr_dispatch_id 0
		.amdhsa_user_sgpr_flat_scratch_init 0
		.amdhsa_user_sgpr_kernarg_preload_length 0
		.amdhsa_user_sgpr_kernarg_preload_offset 0
		.amdhsa_user_sgpr_private_segment_size 0
		.amdhsa_uses_dynamic_stack 0
		.amdhsa_system_sgpr_private_segment_wavefront_offset 0
		.amdhsa_system_sgpr_workgroup_id_x 1
		.amdhsa_system_sgpr_workgroup_id_y 1
		.amdhsa_system_sgpr_workgroup_id_z 1
		.amdhsa_system_sgpr_workgroup_info 0
		.amdhsa_system_vgpr_workitem_id 0
		.amdhsa_next_free_vgpr 61
		.amdhsa_next_free_sgpr 47
		.amdhsa_accum_offset 64
		.amdhsa_reserve_vcc 1
		.amdhsa_reserve_flat_scratch 0
		.amdhsa_float_round_mode_32 0
		.amdhsa_float_round_mode_16_64 0
		.amdhsa_float_denorm_mode_32 3
		.amdhsa_float_denorm_mode_16_64 3
		.amdhsa_dx10_clamp 1
		.amdhsa_ieee_mode 1
		.amdhsa_fp16_overflow 0
		.amdhsa_tg_split 0
		.amdhsa_exception_fp_ieee_invalid_op 0
		.amdhsa_exception_fp_denorm_src 0
		.amdhsa_exception_fp_ieee_div_zero 0
		.amdhsa_exception_fp_ieee_overflow 0
		.amdhsa_exception_fp_ieee_underflow 0
		.amdhsa_exception_fp_ieee_inexact 0
		.amdhsa_exception_int_div_zero 0
	.end_amdhsa_kernel
	.section	.text._Z39paged_attention_ll4mi_QKV_mfma16_kernelIDF16_hLN4vllm18Fp8KVCacheDataTypeE1EDF16_Li16ELi64ELi256ELb0ELi11EL8MFMAType0EEvPKT_PKT0_S8_ifPKiSA_SA_iPKfiiiPfSD_PS3_PT2_iSC_SC_,"axG",@progbits,_Z39paged_attention_ll4mi_QKV_mfma16_kernelIDF16_hLN4vllm18Fp8KVCacheDataTypeE1EDF16_Li16ELi64ELi256ELb0ELi11EL8MFMAType0EEvPKT_PKT0_S8_ifPKiSA_SA_iPKfiiiPfSD_PS3_PT2_iSC_SC_,comdat
.Lfunc_end568:
	.size	_Z39paged_attention_ll4mi_QKV_mfma16_kernelIDF16_hLN4vllm18Fp8KVCacheDataTypeE1EDF16_Li16ELi64ELi256ELb0ELi11EL8MFMAType0EEvPKT_PKT0_S8_ifPKiSA_SA_iPKfiiiPfSD_PS3_PT2_iSC_SC_, .Lfunc_end568-_Z39paged_attention_ll4mi_QKV_mfma16_kernelIDF16_hLN4vllm18Fp8KVCacheDataTypeE1EDF16_Li16ELi64ELi256ELb0ELi11EL8MFMAType0EEvPKT_PKT0_S8_ifPKiSA_SA_iPKfiiiPfSD_PS3_PT2_iSC_SC_
                                        ; -- End function
	.section	.AMDGPU.csdata,"",@progbits
; Kernel info:
; codeLenInByte = 26956
; NumSgprs: 51
; NumVgprs: 61
; NumAgprs: 0
; TotalNumVgprs: 61
; ScratchSize: 0
; MemoryBound: 0
; FloatMode: 240
; IeeeMode: 1
; LDSByteSize: 8192 bytes/workgroup (compile time only)
; SGPRBlocks: 6
; VGPRBlocks: 7
; NumSGPRsForWavesPerEU: 51
; NumVGPRsForWavesPerEU: 61
; AccumOffset: 64
; Occupancy: 8
; WaveLimiterHint : 1
; COMPUTE_PGM_RSRC2:SCRATCH_EN: 0
; COMPUTE_PGM_RSRC2:USER_SGPR: 6
; COMPUTE_PGM_RSRC2:TRAP_HANDLER: 0
; COMPUTE_PGM_RSRC2:TGID_X_EN: 1
; COMPUTE_PGM_RSRC2:TGID_Y_EN: 1
; COMPUTE_PGM_RSRC2:TGID_Z_EN: 1
; COMPUTE_PGM_RSRC2:TIDIG_COMP_CNT: 0
; COMPUTE_PGM_RSRC3_GFX90A:ACCUM_OFFSET: 15
; COMPUTE_PGM_RSRC3_GFX90A:TG_SPLIT: 0
	.section	.text._Z39paged_attention_ll4mi_QKV_mfma16_kernelIDF16_hLN4vllm18Fp8KVCacheDataTypeE1EDF16_Li16ELi64ELi256ELb0ELi12EL8MFMAType0EEvPKT_PKT0_S8_ifPKiSA_SA_iPKfiiiPfSD_PS3_PT2_iSC_SC_,"axG",@progbits,_Z39paged_attention_ll4mi_QKV_mfma16_kernelIDF16_hLN4vllm18Fp8KVCacheDataTypeE1EDF16_Li16ELi64ELi256ELb0ELi12EL8MFMAType0EEvPKT_PKT0_S8_ifPKiSA_SA_iPKfiiiPfSD_PS3_PT2_iSC_SC_,comdat
	.protected	_Z39paged_attention_ll4mi_QKV_mfma16_kernelIDF16_hLN4vllm18Fp8KVCacheDataTypeE1EDF16_Li16ELi64ELi256ELb0ELi12EL8MFMAType0EEvPKT_PKT0_S8_ifPKiSA_SA_iPKfiiiPfSD_PS3_PT2_iSC_SC_ ; -- Begin function _Z39paged_attention_ll4mi_QKV_mfma16_kernelIDF16_hLN4vllm18Fp8KVCacheDataTypeE1EDF16_Li16ELi64ELi256ELb0ELi12EL8MFMAType0EEvPKT_PKT0_S8_ifPKiSA_SA_iPKfiiiPfSD_PS3_PT2_iSC_SC_
	.globl	_Z39paged_attention_ll4mi_QKV_mfma16_kernelIDF16_hLN4vllm18Fp8KVCacheDataTypeE1EDF16_Li16ELi64ELi256ELb0ELi12EL8MFMAType0EEvPKT_PKT0_S8_ifPKiSA_SA_iPKfiiiPfSD_PS3_PT2_iSC_SC_
	.p2align	8
	.type	_Z39paged_attention_ll4mi_QKV_mfma16_kernelIDF16_hLN4vllm18Fp8KVCacheDataTypeE1EDF16_Li16ELi64ELi256ELb0ELi12EL8MFMAType0EEvPKT_PKT0_S8_ifPKiSA_SA_iPKfiiiPfSD_PS3_PT2_iSC_SC_,@function
_Z39paged_attention_ll4mi_QKV_mfma16_kernelIDF16_hLN4vllm18Fp8KVCacheDataTypeE1EDF16_Li16ELi64ELi256ELb0ELi12EL8MFMAType0EEvPKT_PKT0_S8_ifPKiSA_SA_iPKfiiiPfSD_PS3_PT2_iSC_SC_: ; @_Z39paged_attention_ll4mi_QKV_mfma16_kernelIDF16_hLN4vllm18Fp8KVCacheDataTypeE1EDF16_Li16ELi64ELi256ELb0ELi12EL8MFMAType0EEvPKT_PKT0_S8_ifPKiSA_SA_iPKfiiiPfSD_PS3_PT2_iSC_SC_
; %bb.0:
	s_load_dwordx2 s[0:1], s[4:5], 0x30
	s_mov_b32 s24, s7
	s_mov_b64 s[10:11], 0
	s_waitcnt lgkmcnt(0)
	s_cmp_lg_u64 s[0:1], 0
	s_cselect_b64 s[2:3], -1, 0
	s_and_b64 vcc, exec, s[2:3]
	s_cbranch_vccz .LBB569_7
; %bb.1:
	s_add_i32 s12, s6, 1
	s_mov_b32 s13, 0
	s_lshl_b64 s[14:15], s[12:13], 2
	s_add_u32 s14, s0, s14
	s_mov_b32 s7, s13
	s_addc_u32 s15, s1, s15
	s_lshl_b64 s[12:13], s[6:7], 2
	s_add_u32 s12, s0, s12
	s_addc_u32 s13, s1, s13
	s_load_dword s9, s[14:15], 0x0
	s_load_dword s16, s[12:13], 0x0
	s_waitcnt lgkmcnt(0)
	s_sub_i32 s9, s9, s16
	s_cmp_eq_u32 s9, 1
	s_cselect_b64 s[12:13], -1, 0
	s_andn2_b64 vcc, exec, s[10:11]
	s_cbranch_vccnz .LBB569_3
.LBB569_2:
	s_mov_b32 s7, 0
	s_mov_b64 s[12:13], -1
.LBB569_3:
	s_andn2_b64 vcc, exec, s[12:13]
	s_cbranch_vccnz .LBB569_785
; %bb.4:
	s_load_dwordx2 s[12:13], s[4:5], 0x28
	s_lshl_b64 s[10:11], s[6:7], 2
	s_waitcnt lgkmcnt(0)
	s_add_u32 s12, s12, s10
	s_addc_u32 s13, s13, s11
	s_load_dword s33, s[12:13], 0x0
	s_lshl_b32 s20, s24, 8
	s_waitcnt lgkmcnt(0)
	s_cmp_ge_i32 s20, s33
	s_cbranch_scc1 .LBB569_785
; %bb.5:
	s_add_i32 s14, s33, 15
	s_load_dwordx2 s[12:13], s[4:5], 0x20
	s_load_dword s9, s[4:5], 0x38
	s_ashr_i32 s15, s14, 31
	v_and_b32_e32 v1, 0xcf, v0
	s_lshr_b32 s15, s15, 28
	v_add_u32_e32 v1, s20, v1
	s_add_i32 s14, s14, s15
	v_ashrrev_i32_e32 v2, 31, v1
	s_ashr_i32 s22, s14, 4
	v_lshrrev_b32_e32 v4, 28, v2
	s_add_i32 s22, s22, -1
	v_add_u32_e32 v2, v1, v4
	s_waitcnt lgkmcnt(0)
	s_mul_i32 s14, s6, s9
	s_mov_b32 s15, 0
	v_ashrrev_i32_e32 v2, 4, v2
	v_mov_b32_e32 v5, s22
	v_cmp_gt_i32_e32 vcc, s33, v1
	s_lshl_b64 s[14:15], s[14:15], 2
	v_cndmask_b32_e32 v2, v5, v2, vcc
	s_add_u32 s9, s12, s14
	v_ashrrev_i32_e32 v3, 31, v2
	s_addc_u32 s21, s13, s15
	v_lshlrev_b64 v[2:3], 2, v[2:3]
	v_mov_b32_e32 v7, s21
	v_add_co_u32_e32 v6, vcc, s9, v2
	v_or_b32_e32 v2, 16, v1
	v_addc_co_u32_e32 v7, vcc, v7, v3, vcc
	v_add_u32_e32 v3, v2, v4
	v_ashrrev_i32_e32 v3, 4, v3
	v_cmp_gt_i32_e32 vcc, s33, v2
	v_cndmask_b32_e32 v2, v5, v3, vcc
	v_ashrrev_i32_e32 v3, 31, v2
	v_lshlrev_b64 v[2:3], 2, v[2:3]
	v_mov_b32_e32 v9, s21
	v_add_co_u32_e32 v8, vcc, s9, v2
	v_or_b32_e32 v2, 32, v1
	v_addc_co_u32_e32 v9, vcc, v9, v3, vcc
	v_add_u32_e32 v3, v2, v4
	v_ashrrev_i32_e32 v3, 4, v3
	v_cmp_gt_i32_e32 vcc, s33, v2
	v_cndmask_b32_e32 v2, v5, v3, vcc
	v_ashrrev_i32_e32 v3, 31, v2
	;; [unrolled: 10-line block ×3, first 2 shown]
	v_lshlrev_b64 v[2:3], 2, v[2:3]
	v_mov_b32_e32 v1, s21
	v_add_co_u32_e32 v12, vcc, s9, v2
	v_addc_co_u32_e32 v13, vcc, v1, v3, vcc
	global_load_dword v4, v[6:7], off
	global_load_dword v5, v[8:9], off
	;; [unrolled: 1-line block ×4, first 2 shown]
	s_load_dwordx4 s[12:15], s[4:5], 0x8
	s_andn2_b64 vcc, exec, s[2:3]
	s_cbranch_vccnz .LBB569_8
; %bb.6:
	s_add_u32 s0, s0, s10
	s_addc_u32 s1, s1, s11
	s_load_dword s10, s[0:1], 0x0
	s_branch .LBB569_9
.LBB569_7:
	s_mov_b64 s[12:13], 0
	s_branch .LBB569_2
.LBB569_8:
	s_mov_b32 s10, s6
.LBB569_9:
	s_load_dwordx4 s[16:19], s[4:5], 0x48
	v_and_b32_e32 v48, 15, v0
	s_movk_i32 s0, 0xc0
	v_lshlrev_b32_e32 v6, 3, v48
	v_cmp_gt_u32_e32 vcc, s0, v0
	v_cmp_gt_u32_e64 s[0:1], 8, v48
	v_lshrrev_b32_e32 v49, 6, v0
	v_bfe_u32 v1, v0, 4, 2
	s_mul_i32 s25, s8, 12
	s_and_b64 s[26:27], vcc, s[0:1]
	v_lshlrev_b32_e32 v46, 1, v6
	v_lshlrev_b32_e32 v47, 4, v0
	s_and_saveexec_b64 s[2:3], s[26:27]
	s_cbranch_execz .LBB569_11
; %bb.10:
	s_load_dwordx2 s[26:27], s[4:5], 0x0
	s_waitcnt lgkmcnt(0)
	s_ashr_i32 s11, s16, 31
	s_mul_hi_u32 s19, s10, s16
	s_mul_i32 s11, s10, s11
	v_lshl_or_b32 v10, v49, 2, v1
	s_add_i32 s11, s19, s11
	s_mul_i32 s10, s10, s16
	s_lshl_b64 s[10:11], s[10:11], 1
	v_add_lshl_u32 v6, v10, s25, 6
	s_add_u32 s10, s26, s10
	v_ashrrev_i32_e32 v7, 31, v6
	s_addc_u32 s11, s27, s11
	v_lshlrev_b64 v[6:7], 1, v[6:7]
	v_mov_b32_e32 v8, s11
	v_add_co_u32_e32 v6, vcc, s10, v6
	v_addc_co_u32_e32 v7, vcc, v8, v7, vcc
	v_add_co_u32_e32 v6, vcc, v6, v46
	v_addc_co_u32_e32 v7, vcc, 0, v7, vcc
	global_load_dwordx4 v[6:9], v[6:7], off
	v_lshlrev_b32_e32 v12, 8, v48
	v_lshlrev_b32_e32 v10, 5, v10
	v_and_b32_e32 v11, 16, v47
	v_and_b32_e32 v12, 0xe00, v12
	v_or3_b32 v10, v12, v10, v11
	s_waitcnt vmcnt(0)
	ds_write_b128 v10, v[6:9]
.LBB569_11:
	s_or_b64 exec, exec, s[2:3]
	v_and_b32_e32 v12, 48, v0
	v_or_b32_e32 v13, s20, v12
	v_ashrrev_i32_e32 v6, 4, v13
	v_mov_b32_e32 v14, s22
	v_cmp_gt_i32_e32 vcc, s33, v13
	v_cndmask_b32_e32 v6, v14, v6, vcc
	v_ashrrev_i32_e32 v7, 31, v6
	v_lshlrev_b64 v[6:7], 2, v[6:7]
	v_mov_b32_e32 v8, s21
	v_add_co_u32_e32 v6, vcc, s9, v6
	v_addc_co_u32_e32 v7, vcc, v8, v7, vcc
	v_or_b32_e32 v8, 64, v13
	v_ashrrev_i32_e32 v9, 4, v8
	v_cmp_gt_i32_e32 vcc, s33, v8
	v_cndmask_b32_e32 v8, v14, v9, vcc
	v_ashrrev_i32_e32 v9, 31, v8
	v_lshlrev_b64 v[8:9], 2, v[8:9]
	v_mov_b32_e32 v10, s21
	v_add_co_u32_e32 v8, vcc, s9, v8
	v_addc_co_u32_e32 v9, vcc, v10, v9, vcc
	v_or_b32_e32 v10, 0x80, v13
	v_ashrrev_i32_e32 v11, 4, v10
	v_cmp_gt_i32_e32 vcc, s33, v10
	v_cndmask_b32_e32 v10, v14, v11, vcc
	v_ashrrev_i32_e32 v11, 31, v10
	v_lshlrev_b64 v[10:11], 2, v[10:11]
	v_mov_b32_e32 v15, s21
	v_add_co_u32_e32 v10, vcc, s9, v10
	s_load_dwordx2 s[44:45], s[4:5], 0x94
	s_load_dwordx4 s[40:43], s[4:5], 0x80
	s_waitcnt lgkmcnt(0)
	s_barrier
	v_addc_co_u32_e32 v11, vcc, v15, v11, vcc
	global_load_dword v15, v[6:7], off
	global_load_dword v16, v[8:9], off
	global_load_dword v18, v[10:11], off
	v_or_b32_e32 v6, 0xc0, v13
	v_ashrrev_i32_e32 v7, 4, v6
	v_cmp_gt_i32_e32 vcc, s33, v6
	v_cndmask_b32_e32 v6, v14, v7, vcc
	v_ashrrev_i32_e32 v7, 31, v6
	v_lshlrev_b64 v[6:7], 2, v[6:7]
	v_mov_b32_e32 v8, s21
	v_add_co_u32_e32 v6, vcc, s9, v6
	v_addc_co_u32_e32 v7, vcc, v8, v7, vcc
	global_load_dword v20, v[6:7], off
	s_mul_i32 s8, s8, s18
	s_add_u32 s2, s12, s8
	s_addc_u32 s3, s13, 0
	v_and_b32_e32 v6, 0xf0, v47
	v_mov_b32_e32 v7, s3
	v_add_co_u32_e32 v6, vcc, s2, v6
	v_addc_co_u32_e32 v7, vcc, 0, v7, vcc
	v_lshlrev_b32_e32 v8, 4, v12
	v_add_co_u32_e32 v6, vcc, v6, v8
	v_addc_co_u32_e32 v7, vcc, 0, v7, vcc
	s_waitcnt vmcnt(7)
	v_mad_i64_i32 v[8:9], s[2:3], v4, s17, v[6:7]
	s_waitcnt vmcnt(6)
	v_mad_i64_i32 v[4:5], s[2:3], v5, s17, v[6:7]
	global_load_dwordx4 v[30:33], v[8:9], off
	global_load_dwordx4 v[38:41], v[4:5], off
	s_waitcnt vmcnt(7)
	v_mad_i64_i32 v[4:5], s[2:3], v2, s17, v[6:7]
	s_waitcnt vmcnt(6)
	v_mad_i64_i32 v[2:3], s[2:3], v3, s17, v[6:7]
	global_load_dwordx4 v[34:37], v[4:5], off
	global_load_dwordx4 v[22:25], v[2:3], off
	s_add_u32 s2, s14, s8
	v_lshlrev_b32_e32 v2, 4, v48
	s_addc_u32 s3, s15, 0
	v_lshl_or_b32 v2, v49, 8, v2
	v_mov_b32_e32 v3, s3
	v_add_co_u32_e32 v2, vcc, s2, v2
	v_addc_co_u32_e32 v3, vcc, 0, v3, vcc
	v_cmp_gt_u32_e32 vcc, 12, v48
	v_mov_b32_e32 v43, 0
	s_movk_i32 s8, 0x80
	v_mov_b32_e32 v44, 0
	s_waitcnt vmcnt(7)
	v_mad_i64_i32 v[4:5], s[2:3], v15, s17, v[2:3]
	s_waitcnt vmcnt(6)
	v_mad_i64_i32 v[6:7], s[2:3], v16, s17, v[2:3]
	;; [unrolled: 2-line block ×3, first 2 shown]
	global_load_dwordx4 v[14:17], v[4:5], off
	global_load_dwordx4 v[10:13], v[6:7], off
	s_waitcnt vmcnt(6)
	v_mad_i64_i32 v[20:21], s[2:3], v20, s17, v[2:3]
	global_load_dwordx4 v[6:9], v[18:19], off
	global_load_dwordx4 v[2:5], v[20:21], off
	v_add_u32_e32 v18, -12, v48
	v_cndmask_b32_e32 v18, v18, v48, vcc
	v_lshlrev_b32_e32 v18, 5, v18
	v_lshl_add_u32 v18, v1, 9, v18
	ds_read_b128 v[26:29], v18
	ds_read_b128 v[18:21], v18 offset:16
	s_load_dword s12, s[40:41], 0x0
	s_waitcnt vmcnt(7)
	v_cmp_ne_u16_sdwa s[10:11], v30, v43 src0_sel:BYTE_0 src1_sel:DWORD
	s_and_saveexec_b64 s[2:3], s[10:11]
	s_cbranch_execz .LBB569_17
; %bb.12:
	v_cmp_ne_u16_sdwa s[10:11], v30, s8 src0_sel:BYTE_0 src1_sel:DWORD
	v_bfrev_b32_e32 v44, 1
	s_and_saveexec_b64 s[8:9], s[10:11]
	s_cbranch_execz .LBB569_16
; %bb.13:
	s_movk_i32 s10, 0x7f
	v_and_b32_e32 v42, 0x7f, v30
	v_cmp_ne_u32_e32 vcc, s10, v42
	v_mov_b32_e32 v44, 0x7f800001
	s_and_saveexec_b64 s[10:11], vcc
	s_cbranch_execz .LBB569_15
; %bb.14:
	v_and_b32_e32 v50, 7, v30
	v_ffbh_u32_e32 v44, v50
	v_min_u32_e32 v52, 32, v44
	v_subrev_u32_e32 v44, 28, v52
	v_lshlrev_b64 v[44:45], v44, v[30:31]
	v_lshrrev_b32_e32 v51, 3, v42
	v_sub_u32_e32 v45, 29, v52
	v_and_b32_e32 v44, 7, v44
	v_cmp_gt_u32_e32 vcc, 8, v42
	v_cndmask_b32_e32 v42, v51, v45, vcc
	v_cndmask_b32_e32 v44, v50, v44, vcc
	v_lshlrev_b32_e32 v45, 24, v30
	v_bfrev_b32_e32 v50, 60
	v_lshlrev_b32_e32 v44, 20, v44
	v_and_b32_e32 v45, 0x80000000, v45
	v_lshl_add_u32 v42, v42, 23, v50
	v_or3_b32 v44, v45, v42, v44
.LBB569_15:
	s_or_b64 exec, exec, s[10:11]
.LBB569_16:
	s_or_b64 exec, exec, s[8:9]
.LBB569_17:
	s_or_b64 exec, exec, s[2:3]
	v_lshrrev_b16_e32 v42, 8, v30
	v_cmp_ne_u16_e32 vcc, 0, v42
	s_and_saveexec_b64 s[2:3], vcc
	s_cbranch_execz .LBB569_23
; %bb.18:
	s_movk_i32 s8, 0x80
	v_cmp_ne_u16_e32 vcc, s8, v42
	v_bfrev_b32_e32 v43, 1
	s_and_saveexec_b64 s[8:9], vcc
	s_cbranch_execz .LBB569_22
; %bb.19:
	s_movk_i32 s10, 0x7f
	v_and_b32_e32 v45, 0x7f, v42
	v_cmp_ne_u32_e32 vcc, s10, v45
	v_mov_b32_e32 v43, 0x7f800001
	s_and_saveexec_b64 s[10:11], vcc
	s_cbranch_execz .LBB569_21
; %bb.20:
	v_and_b32_e32 v50, 7, v42
	v_ffbh_u32_e32 v43, v50
	v_min_u32_e32 v52, 32, v43
	v_subrev_u32_e32 v43, 28, v52
	v_lshlrev_b64 v[42:43], v43, v[42:43]
	v_lshrrev_b32_e32 v51, 3, v45
	v_sub_u32_e32 v43, 29, v52
	v_and_b32_e32 v42, 7, v42
	v_cmp_gt_u32_e32 vcc, 8, v45
	v_cndmask_b32_e32 v43, v51, v43, vcc
	v_cndmask_b32_e32 v42, v50, v42, vcc
	v_lshlrev_b32_e32 v45, 16, v30
	v_bfrev_b32_e32 v50, 60
	v_lshlrev_b32_e32 v42, 20, v42
	v_and_b32_e32 v45, 0x80000000, v45
	v_lshl_add_u32 v43, v43, 23, v50
	v_or3_b32 v43, v45, v43, v42
.LBB569_21:
	s_or_b64 exec, exec, s[10:11]
.LBB569_22:
	s_or_b64 exec, exec, s[8:9]
.LBB569_23:
	s_or_b64 exec, exec, s[2:3]
	s_movk_i32 s2, 0xff
	v_and_b32_sdwa v51, v30, s2 dst_sel:DWORD dst_unused:UNUSED_PAD src0_sel:WORD_1 src1_sel:DWORD
	v_lshrrev_b32_e32 v42, 16, v30
	v_cmp_ne_u16_e32 vcc, 0, v51
	v_mov_b32_e32 v45, 0
	v_mov_b32_e32 v50, 0
	s_and_saveexec_b64 s[2:3], vcc
	s_cbranch_execz .LBB569_29
; %bb.24:
	s_movk_i32 s8, 0x80
	v_cmp_ne_u16_e32 vcc, s8, v51
	v_bfrev_b32_e32 v50, 1
	s_and_saveexec_b64 s[8:9], vcc
	s_cbranch_execz .LBB569_28
; %bb.25:
	v_bfe_u32 v51, v30, 16, 7
	s_movk_i32 s10, 0x7f
	v_cmp_ne_u32_e32 vcc, s10, v51
	v_mov_b32_e32 v50, 0x7f800001
	s_and_saveexec_b64 s[10:11], vcc
	s_cbranch_execz .LBB569_27
; %bb.26:
	v_and_b32_e32 v50, 7, v42
	v_ffbh_u32_e32 v52, v50
	v_min_u32_e32 v55, 32, v52
	v_subrev_u32_e32 v52, 28, v55
	v_lshlrev_b64 v[52:53], v52, v[42:43]
	v_lshrrev_b32_e32 v54, 3, v51
	v_sub_u32_e32 v42, 29, v55
	v_and_b32_e32 v52, 7, v52
	v_cmp_gt_u32_e32 vcc, 8, v51
	v_mov_b32_e32 v51, 24
	v_cndmask_b32_e32 v42, v54, v42, vcc
	v_cndmask_b32_e32 v50, v50, v52, vcc
	v_lshlrev_b32_sdwa v51, v51, v30 dst_sel:DWORD dst_unused:UNUSED_PAD src0_sel:DWORD src1_sel:WORD_1
	v_bfrev_b32_e32 v52, 60
	v_lshlrev_b32_e32 v50, 20, v50
	v_and_b32_e32 v51, 0x80000000, v51
	v_lshl_add_u32 v42, v42, 23, v52
	v_or3_b32 v50, v51, v42, v50
.LBB569_27:
	s_or_b64 exec, exec, s[10:11]
.LBB569_28:
	s_or_b64 exec, exec, s[8:9]
.LBB569_29:
	s_or_b64 exec, exec, s[2:3]
	s_mov_b32 s2, 0xffffff
	v_cmp_lt_u32_e32 vcc, s2, v30
	s_and_saveexec_b64 s[2:3], vcc
	s_cbranch_execz .LBB569_35
; %bb.30:
	v_lshrrev_b32_e32 v42, 24, v30
	s_movk_i32 s8, 0x80
	v_cmp_ne_u32_e32 vcc, s8, v42
	v_bfrev_b32_e32 v45, 1
	s_and_saveexec_b64 s[8:9], vcc
	s_cbranch_execz .LBB569_34
; %bb.31:
	v_bfe_u32 v30, v30, 24, 7
	s_movk_i32 s10, 0x7f
	v_cmp_ne_u32_e32 vcc, s10, v30
	v_mov_b32_e32 v45, 0x7f800001
	s_and_saveexec_b64 s[10:11], vcc
	s_cbranch_execz .LBB569_33
; %bb.32:
	v_and_b32_e32 v45, 7, v42
	v_ffbh_u32_e32 v52, v45
	v_min_u32_e32 v54, 32, v52
	v_subrev_u32_e32 v52, 28, v54
	v_lshlrev_b64 v[52:53], v52, v[42:43]
	v_lshrrev_b32_e32 v51, 3, v30
	v_sub_u32_e32 v53, 29, v54
	v_and_b32_e32 v52, 7, v52
	v_cmp_gt_u32_e32 vcc, 8, v30
	v_cndmask_b32_e32 v30, v51, v53, vcc
	v_cndmask_b32_e32 v45, v45, v52, vcc
	v_lshlrev_b32_e32 v42, 24, v42
	v_bfrev_b32_e32 v51, 60
	v_lshlrev_b32_e32 v45, 20, v45
	v_and_b32_e32 v42, 0x80000000, v42
	v_lshl_add_u32 v30, v30, 23, v51
	v_or3_b32 v45, v42, v30, v45
.LBB569_33:
	s_or_b64 exec, exec, s[10:11]
.LBB569_34:
	s_or_b64 exec, exec, s[8:9]
.LBB569_35:
	s_or_b64 exec, exec, s[2:3]
	v_mov_b32_e32 v42, 0
	v_cmp_ne_u16_sdwa s[8:9], v31, v42 src0_sel:BYTE_0 src1_sel:DWORD
	v_mov_b32_e32 v51, 0
	s_and_saveexec_b64 s[2:3], s[8:9]
	s_cbranch_execz .LBB569_41
; %bb.36:
	s_movk_i32 s8, 0x80
	v_cmp_ne_u16_sdwa s[10:11], v31, s8 src0_sel:BYTE_0 src1_sel:DWORD
	v_bfrev_b32_e32 v51, 1
	s_and_saveexec_b64 s[8:9], s[10:11]
	s_cbranch_execz .LBB569_40
; %bb.37:
	s_movk_i32 s10, 0x7f
	v_and_b32_e32 v30, 0x7f, v31
	v_cmp_ne_u32_e32 vcc, s10, v30
	v_mov_b32_e32 v51, 0x7f800001
	s_and_saveexec_b64 s[10:11], vcc
	s_cbranch_execz .LBB569_39
; %bb.38:
	v_and_b32_e32 v51, 7, v31
	v_ffbh_u32_e32 v53, v51
	v_min_u32_e32 v55, 32, v53
	v_mov_b32_e32 v52, v31
	v_subrev_u32_e32 v53, 28, v55
	v_lshlrev_b64 v[52:53], v53, v[52:53]
	v_lshrrev_b32_e32 v54, 3, v30
	v_sub_u32_e32 v53, 29, v55
	v_and_b32_e32 v52, 7, v52
	v_cmp_gt_u32_e32 vcc, 8, v30
	v_cndmask_b32_e32 v30, v54, v53, vcc
	v_cndmask_b32_e32 v51, v51, v52, vcc
	v_lshlrev_b32_e32 v52, 24, v31
	v_bfrev_b32_e32 v53, 60
	v_lshlrev_b32_e32 v51, 20, v51
	v_and_b32_e32 v52, 0x80000000, v52
	v_lshl_add_u32 v30, v30, 23, v53
	v_or3_b32 v51, v52, v30, v51
.LBB569_39:
	s_or_b64 exec, exec, s[10:11]
.LBB569_40:
	s_or_b64 exec, exec, s[8:9]
.LBB569_41:
	s_or_b64 exec, exec, s[2:3]
	v_lshrrev_b16_e32 v30, 8, v31
	v_cmp_ne_u16_e32 vcc, 0, v30
	s_and_saveexec_b64 s[2:3], vcc
	s_cbranch_execz .LBB569_47
; %bb.42:
	s_movk_i32 s8, 0x80
	v_cmp_ne_u16_e32 vcc, s8, v30
	v_bfrev_b32_e32 v42, 1
	s_and_saveexec_b64 s[8:9], vcc
	s_cbranch_execz .LBB569_46
; %bb.43:
	s_movk_i32 s10, 0x7f
	v_and_b32_e32 v52, 0x7f, v30
	v_cmp_ne_u32_e32 vcc, s10, v52
	v_mov_b32_e32 v42, 0x7f800001
	s_and_saveexec_b64 s[10:11], vcc
	s_cbranch_execz .LBB569_45
; %bb.44:
	v_and_b32_e32 v42, 7, v30
	v_ffbh_u32_e32 v54, v42
	v_min_u32_e32 v56, 32, v54
	v_subrev_u32_e32 v54, 28, v56
	v_lshlrev_b64 v[54:55], v54, v[30:31]
	v_lshrrev_b32_e32 v53, 3, v52
	v_sub_u32_e32 v30, 29, v56
	v_and_b32_e32 v54, 7, v54
	v_cmp_gt_u32_e32 vcc, 8, v52
	v_cndmask_b32_e32 v30, v53, v30, vcc
	v_cndmask_b32_e32 v42, v42, v54, vcc
	v_lshlrev_b32_e32 v52, 16, v31
	v_bfrev_b32_e32 v53, 60
	v_lshlrev_b32_e32 v42, 20, v42
	v_and_b32_e32 v52, 0x80000000, v52
	v_lshl_add_u32 v30, v30, 23, v53
	v_or3_b32 v42, v52, v30, v42
.LBB569_45:
	s_or_b64 exec, exec, s[10:11]
.LBB569_46:
	s_or_b64 exec, exec, s[8:9]
.LBB569_47:
	s_or_b64 exec, exec, s[2:3]
	s_movk_i32 s2, 0xff
	v_and_b32_sdwa v54, v31, s2 dst_sel:DWORD dst_unused:UNUSED_PAD src0_sel:WORD_1 src1_sel:DWORD
	v_lshrrev_b32_e32 v30, 16, v31
	v_cmp_ne_u16_e32 vcc, 0, v54
	v_mov_b32_e32 v52, 0
	v_mov_b32_e32 v53, 0
	s_and_saveexec_b64 s[2:3], vcc
	s_cbranch_execz .LBB569_53
; %bb.48:
	s_movk_i32 s8, 0x80
	v_cmp_ne_u16_e32 vcc, s8, v54
	v_bfrev_b32_e32 v53, 1
	s_and_saveexec_b64 s[8:9], vcc
	s_cbranch_execz .LBB569_52
; %bb.49:
	v_bfe_u32 v54, v31, 16, 7
	s_movk_i32 s10, 0x7f
	v_cmp_ne_u32_e32 vcc, s10, v54
	v_mov_b32_e32 v53, 0x7f800001
	s_and_saveexec_b64 s[10:11], vcc
	s_cbranch_execz .LBB569_51
; %bb.50:
	v_and_b32_e32 v53, 7, v30
	v_ffbh_u32_e32 v56, v53
	v_min_u32_e32 v58, 32, v56
	v_subrev_u32_e32 v56, 28, v58
	v_lshlrev_b64 v[56:57], v56, v[30:31]
	v_lshrrev_b32_e32 v55, 3, v54
	v_sub_u32_e32 v30, 29, v58
	v_and_b32_e32 v56, 7, v56
	v_cmp_gt_u32_e32 vcc, 8, v54
	v_mov_b32_e32 v54, 24
	v_cndmask_b32_e32 v30, v55, v30, vcc
	v_cndmask_b32_e32 v53, v53, v56, vcc
	v_lshlrev_b32_sdwa v54, v54, v31 dst_sel:DWORD dst_unused:UNUSED_PAD src0_sel:DWORD src1_sel:WORD_1
	v_bfrev_b32_e32 v55, 60
	v_lshlrev_b32_e32 v53, 20, v53
	v_and_b32_e32 v54, 0x80000000, v54
	v_lshl_add_u32 v30, v30, 23, v55
	v_or3_b32 v53, v54, v30, v53
.LBB569_51:
	s_or_b64 exec, exec, s[10:11]
.LBB569_52:
	s_or_b64 exec, exec, s[8:9]
.LBB569_53:
	s_or_b64 exec, exec, s[2:3]
	s_mov_b32 s2, 0xffffff
	v_cmp_lt_u32_e32 vcc, s2, v31
	s_and_saveexec_b64 s[2:3], vcc
	s_cbranch_execz .LBB569_59
; %bb.54:
	v_lshrrev_b32_e32 v30, 24, v31
	s_movk_i32 s8, 0x80
	v_cmp_ne_u32_e32 vcc, s8, v30
	v_bfrev_b32_e32 v52, 1
	s_and_saveexec_b64 s[8:9], vcc
	s_cbranch_execz .LBB569_58
; %bb.55:
	v_bfe_u32 v31, v31, 24, 7
	s_movk_i32 s10, 0x7f
	v_cmp_ne_u32_e32 vcc, s10, v31
	v_mov_b32_e32 v52, 0x7f800001
	s_and_saveexec_b64 s[10:11], vcc
	s_cbranch_execz .LBB569_57
; %bb.56:
	v_and_b32_e32 v52, 7, v30
	v_ffbh_u32_e32 v54, v52
	v_min_u32_e32 v57, 32, v54
	v_subrev_u32_e32 v54, 28, v57
	v_lshlrev_b64 v[54:55], v54, v[30:31]
	v_lshrrev_b32_e32 v56, 3, v31
	v_sub_u32_e32 v55, 29, v57
	v_and_b32_e32 v54, 7, v54
	v_cmp_gt_u32_e32 vcc, 8, v31
	v_cndmask_b32_e32 v31, v56, v55, vcc
	v_cndmask_b32_e32 v52, v52, v54, vcc
	v_lshlrev_b32_e32 v30, 24, v30
	v_bfrev_b32_e32 v54, 60
	v_lshlrev_b32_e32 v52, 20, v52
	v_and_b32_e32 v30, 0x80000000, v30
	v_lshl_add_u32 v31, v31, 23, v54
	v_or3_b32 v52, v30, v31, v52
.LBB569_57:
	s_or_b64 exec, exec, s[10:11]
.LBB569_58:
	s_or_b64 exec, exec, s[8:9]
.LBB569_59:
	s_or_b64 exec, exec, s[2:3]
	v_cvt_pkrtz_f16_f32 v30, v44, v43
	v_cvt_pkrtz_f16_f32 v31, v50, v45
	;; [unrolled: 1-line block ×4, first 2 shown]
	v_mov_b32_e32 v51, 0
	s_waitcnt lgkmcnt(0)
	v_mfma_f32_16x16x16f16 v[54:57], v[30:31], v[26:27], 0
	v_mov_b32_e32 v31, 0
	v_cmp_ne_u16_sdwa s[8:9], v32, v31 src0_sel:BYTE_0 src1_sel:DWORD
	v_mfma_f32_16x16x16f16 v[42:45], v[42:43], v[28:29], v[54:57]
	s_and_saveexec_b64 s[2:3], s[8:9]
	s_cbranch_execz .LBB569_65
; %bb.60:
	s_movk_i32 s8, 0x80
	v_cmp_ne_u16_sdwa s[10:11], v32, s8 src0_sel:BYTE_0 src1_sel:DWORD
	v_bfrev_b32_e32 v51, 1
	s_and_saveexec_b64 s[8:9], s[10:11]
	s_cbranch_execz .LBB569_64
; %bb.61:
	s_movk_i32 s10, 0x7f
	v_and_b32_e32 v30, 0x7f, v32
	v_cmp_ne_u32_e32 vcc, s10, v30
	v_mov_b32_e32 v51, 0x7f800001
	s_and_saveexec_b64 s[10:11], vcc
	s_cbranch_execz .LBB569_63
; %bb.62:
	v_and_b32_e32 v52, 7, v32
	v_ffbh_u32_e32 v50, v52
	v_min_u32_e32 v54, 32, v50
	v_subrev_u32_e32 v50, 28, v54
	v_lshlrev_b64 v[50:51], v50, v[32:33]
	v_lshrrev_b32_e32 v53, 3, v30
	v_sub_u32_e32 v51, 29, v54
	v_and_b32_e32 v50, 7, v50
	v_cmp_gt_u32_e32 vcc, 8, v30
	v_cndmask_b32_e32 v30, v53, v51, vcc
	v_cndmask_b32_e32 v50, v52, v50, vcc
	v_lshlrev_b32_e32 v51, 24, v32
	v_bfrev_b32_e32 v52, 60
	v_lshlrev_b32_e32 v50, 20, v50
	v_and_b32_e32 v51, 0x80000000, v51
	v_lshl_add_u32 v30, v30, 23, v52
	v_or3_b32 v51, v51, v30, v50
.LBB569_63:
	s_or_b64 exec, exec, s[10:11]
.LBB569_64:
	s_or_b64 exec, exec, s[8:9]
.LBB569_65:
	s_or_b64 exec, exec, s[2:3]
	v_lshrrev_b16_e32 v30, 8, v32
	v_cmp_ne_u16_e32 vcc, 0, v30
	v_mov_b32_e32 v52, 0
	s_and_saveexec_b64 s[2:3], vcc
	s_cbranch_execz .LBB569_71
; %bb.66:
	s_movk_i32 s8, 0x80
	v_cmp_ne_u16_e32 vcc, s8, v30
	v_bfrev_b32_e32 v52, 1
	s_and_saveexec_b64 s[8:9], vcc
	s_cbranch_execz .LBB569_70
; %bb.67:
	s_movk_i32 s10, 0x7f
	v_and_b32_e32 v50, 0x7f, v30
	v_cmp_ne_u32_e32 vcc, s10, v50
	v_mov_b32_e32 v52, 0x7f800001
	s_and_saveexec_b64 s[10:11], vcc
	s_cbranch_execz .LBB569_69
; %bb.68:
	v_and_b32_e32 v54, 7, v30
	v_ffbh_u32_e32 v52, v54
	v_min_u32_e32 v56, 32, v52
	v_subrev_u32_e32 v52, 28, v56
	v_lshlrev_b64 v[52:53], v52, v[30:31]
	v_lshrrev_b32_e32 v55, 3, v50
	v_sub_u32_e32 v30, 29, v56
	v_and_b32_e32 v52, 7, v52
	v_cmp_gt_u32_e32 vcc, 8, v50
	v_cndmask_b32_e32 v30, v55, v30, vcc
	v_cndmask_b32_e32 v50, v54, v52, vcc
	v_lshlrev_b32_e32 v52, 16, v32
	v_bfrev_b32_e32 v53, 60
	v_lshlrev_b32_e32 v50, 20, v50
	v_and_b32_e32 v52, 0x80000000, v52
	v_lshl_add_u32 v30, v30, 23, v53
	v_or3_b32 v52, v52, v30, v50
.LBB569_69:
	s_or_b64 exec, exec, s[10:11]
.LBB569_70:
	s_or_b64 exec, exec, s[8:9]
.LBB569_71:
	s_or_b64 exec, exec, s[2:3]
	s_movk_i32 s2, 0xff
	v_and_b32_sdwa v50, v32, s2 dst_sel:DWORD dst_unused:UNUSED_PAD src0_sel:WORD_1 src1_sel:DWORD
	v_lshrrev_b32_e32 v30, 16, v32
	v_cmp_ne_u16_e32 vcc, 0, v50
	s_and_saveexec_b64 s[2:3], vcc
	s_cbranch_execz .LBB569_77
; %bb.72:
	s_movk_i32 s8, 0x80
	v_cmp_ne_u16_e32 vcc, s8, v50
	v_bfrev_b32_e32 v31, 1
	s_and_saveexec_b64 s[8:9], vcc
	s_cbranch_execz .LBB569_76
; %bb.73:
	v_bfe_u32 v50, v32, 16, 7
	s_movk_i32 s10, 0x7f
	v_cmp_ne_u32_e32 vcc, s10, v50
	v_mov_b32_e32 v31, 0x7f800001
	s_and_saveexec_b64 s[10:11], vcc
	s_cbranch_execz .LBB569_75
; %bb.74:
	v_and_b32_e32 v53, 7, v30
	v_ffbh_u32_e32 v31, v53
	v_min_u32_e32 v55, 32, v31
	v_subrev_u32_e32 v31, 28, v55
	v_lshlrev_b64 v[30:31], v31, v[30:31]
	v_lshrrev_b32_e32 v54, 3, v50
	v_sub_u32_e32 v31, 29, v55
	v_and_b32_e32 v30, 7, v30
	v_cmp_gt_u32_e32 vcc, 8, v50
	v_mov_b32_e32 v50, 24
	v_cndmask_b32_e32 v31, v54, v31, vcc
	v_cndmask_b32_e32 v30, v53, v30, vcc
	v_lshlrev_b32_sdwa v50, v50, v32 dst_sel:DWORD dst_unused:UNUSED_PAD src0_sel:DWORD src1_sel:WORD_1
	v_bfrev_b32_e32 v53, 60
	v_lshlrev_b32_e32 v30, 20, v30
	v_and_b32_e32 v50, 0x80000000, v50
	v_lshl_add_u32 v31, v31, 23, v53
	v_or3_b32 v31, v50, v31, v30
.LBB569_75:
	s_or_b64 exec, exec, s[10:11]
.LBB569_76:
	s_or_b64 exec, exec, s[8:9]
.LBB569_77:
	s_or_b64 exec, exec, s[2:3]
	s_mov_b32 s2, 0xffffff
	v_cmp_lt_u32_e32 vcc, s2, v32
	v_mov_b32_e32 v53, 0
	v_mov_b32_e32 v54, 0
	s_and_saveexec_b64 s[2:3], vcc
	s_cbranch_execz .LBB569_83
; %bb.78:
	v_lshrrev_b32_e32 v30, 24, v32
	s_movk_i32 s8, 0x80
	v_cmp_ne_u32_e32 vcc, s8, v30
	v_bfrev_b32_e32 v54, 1
	s_and_saveexec_b64 s[8:9], vcc
	s_cbranch_execz .LBB569_82
; %bb.79:
	v_bfe_u32 v32, v32, 24, 7
	s_movk_i32 s10, 0x7f
	v_cmp_ne_u32_e32 vcc, s10, v32
	v_mov_b32_e32 v54, 0x7f800001
	s_and_saveexec_b64 s[10:11], vcc
	s_cbranch_execz .LBB569_81
; %bb.80:
	v_and_b32_e32 v50, 7, v30
	v_ffbh_u32_e32 v54, v50
	v_min_u32_e32 v57, 32, v54
	v_subrev_u32_e32 v54, 28, v57
	v_lshlrev_b64 v[54:55], v54, v[30:31]
	v_lshrrev_b32_e32 v56, 3, v32
	v_sub_u32_e32 v55, 29, v57
	v_and_b32_e32 v54, 7, v54
	v_cmp_gt_u32_e32 vcc, 8, v32
	v_cndmask_b32_e32 v32, v56, v55, vcc
	v_cndmask_b32_e32 v50, v50, v54, vcc
	v_lshlrev_b32_e32 v30, 24, v30
	v_bfrev_b32_e32 v54, 60
	v_lshlrev_b32_e32 v50, 20, v50
	v_and_b32_e32 v30, 0x80000000, v30
	v_lshl_add_u32 v32, v32, 23, v54
	v_or3_b32 v54, v30, v32, v50
.LBB569_81:
	s_or_b64 exec, exec, s[10:11]
.LBB569_82:
	s_or_b64 exec, exec, s[8:9]
.LBB569_83:
	s_or_b64 exec, exec, s[2:3]
	v_cmp_ne_u16_sdwa s[8:9], v33, v53 src0_sel:BYTE_0 src1_sel:DWORD
	s_and_saveexec_b64 s[2:3], s[8:9]
	s_cbranch_execz .LBB569_89
; %bb.84:
	s_movk_i32 s8, 0x80
	v_cmp_ne_u16_sdwa s[10:11], v33, s8 src0_sel:BYTE_0 src1_sel:DWORD
	v_bfrev_b32_e32 v53, 1
	s_and_saveexec_b64 s[8:9], s[10:11]
	s_cbranch_execz .LBB569_88
; %bb.85:
	s_movk_i32 s10, 0x7f
	v_and_b32_e32 v30, 0x7f, v33
	v_cmp_ne_u32_e32 vcc, s10, v30
	v_mov_b32_e32 v53, 0x7f800001
	s_and_saveexec_b64 s[10:11], vcc
	s_cbranch_execz .LBB569_87
; %bb.86:
	v_and_b32_e32 v50, 7, v33
	v_ffbh_u32_e32 v55, v50
	v_min_u32_e32 v55, 32, v55
	v_mov_b32_e32 v32, v33
	v_subrev_u32_e32 v56, 28, v55
	v_lshlrev_b64 v[56:57], v56, v[32:33]
	v_lshrrev_b32_e32 v53, 3, v30
	v_sub_u32_e32 v32, 29, v55
	v_and_b32_e32 v55, 7, v56
	v_cmp_gt_u32_e32 vcc, 8, v30
	v_cndmask_b32_e32 v30, v53, v32, vcc
	v_cndmask_b32_e32 v32, v50, v55, vcc
	v_lshlrev_b32_e32 v50, 24, v33
	v_bfrev_b32_e32 v53, 60
	v_lshlrev_b32_e32 v32, 20, v32
	v_and_b32_e32 v50, 0x80000000, v50
	v_lshl_add_u32 v30, v30, 23, v53
	v_or3_b32 v53, v50, v30, v32
.LBB569_87:
	s_or_b64 exec, exec, s[10:11]
.LBB569_88:
	s_or_b64 exec, exec, s[8:9]
.LBB569_89:
	s_or_b64 exec, exec, s[2:3]
	v_lshrrev_b16_e32 v30, 8, v33
	v_cmp_ne_u16_e32 vcc, 0, v30
	v_mov_b32_e32 v32, 0
	v_mov_b32_e32 v55, 0
	s_and_saveexec_b64 s[2:3], vcc
	s_cbranch_execz .LBB569_95
; %bb.90:
	s_movk_i32 s8, 0x80
	v_cmp_ne_u16_e32 vcc, s8, v30
	v_bfrev_b32_e32 v55, 1
	s_and_saveexec_b64 s[8:9], vcc
	s_cbranch_execz .LBB569_94
; %bb.91:
	s_movk_i32 s10, 0x7f
	v_and_b32_e32 v50, 0x7f, v30
	v_cmp_ne_u32_e32 vcc, s10, v50
	v_mov_b32_e32 v55, 0x7f800001
	s_and_saveexec_b64 s[10:11], vcc
	s_cbranch_execz .LBB569_93
; %bb.92:
	v_and_b32_e32 v55, 7, v30
	v_ffbh_u32_e32 v56, v55
	v_min_u32_e32 v59, 32, v56
	v_subrev_u32_e32 v56, 28, v59
	v_lshlrev_b64 v[56:57], v56, v[30:31]
	v_lshrrev_b32_e32 v58, 3, v50
	v_sub_u32_e32 v30, 29, v59
	v_and_b32_e32 v56, 7, v56
	v_cmp_gt_u32_e32 vcc, 8, v50
	v_cndmask_b32_e32 v30, v58, v30, vcc
	v_cndmask_b32_e32 v50, v55, v56, vcc
	v_lshlrev_b32_e32 v55, 16, v33
	v_bfrev_b32_e32 v56, 60
	v_lshlrev_b32_e32 v50, 20, v50
	v_and_b32_e32 v55, 0x80000000, v55
	v_lshl_add_u32 v30, v30, 23, v56
	v_or3_b32 v55, v55, v30, v50
.LBB569_93:
	s_or_b64 exec, exec, s[10:11]
.LBB569_94:
	s_or_b64 exec, exec, s[8:9]
.LBB569_95:
	s_or_b64 exec, exec, s[2:3]
	s_movk_i32 s2, 0xff
	v_and_b32_sdwa v50, v33, s2 dst_sel:DWORD dst_unused:UNUSED_PAD src0_sel:WORD_1 src1_sel:DWORD
	v_lshrrev_b32_e32 v30, 16, v33
	v_cmp_ne_u16_e32 vcc, 0, v50
	s_and_saveexec_b64 s[2:3], vcc
	s_cbranch_execz .LBB569_101
; %bb.96:
	s_movk_i32 s8, 0x80
	v_cmp_ne_u16_e32 vcc, s8, v50
	v_bfrev_b32_e32 v32, 1
	s_and_saveexec_b64 s[8:9], vcc
	s_cbranch_execz .LBB569_100
; %bb.97:
	v_bfe_u32 v50, v33, 16, 7
	s_movk_i32 s10, 0x7f
	v_cmp_ne_u32_e32 vcc, s10, v50
	v_mov_b32_e32 v32, 0x7f800001
	s_and_saveexec_b64 s[10:11], vcc
	s_cbranch_execz .LBB569_99
; %bb.98:
	v_and_b32_e32 v32, 7, v30
	v_ffbh_u32_e32 v56, v32
	v_min_u32_e32 v59, 32, v56
	v_subrev_u32_e32 v56, 28, v59
	v_lshlrev_b64 v[56:57], v56, v[30:31]
	v_lshrrev_b32_e32 v58, 3, v50
	v_sub_u32_e32 v30, 29, v59
	v_and_b32_e32 v56, 7, v56
	v_cmp_gt_u32_e32 vcc, 8, v50
	v_mov_b32_e32 v50, 24
	v_cndmask_b32_e32 v30, v58, v30, vcc
	v_cndmask_b32_e32 v32, v32, v56, vcc
	v_lshlrev_b32_sdwa v50, v50, v33 dst_sel:DWORD dst_unused:UNUSED_PAD src0_sel:DWORD src1_sel:WORD_1
	v_bfrev_b32_e32 v56, 60
	v_lshlrev_b32_e32 v32, 20, v32
	v_and_b32_e32 v50, 0x80000000, v50
	v_lshl_add_u32 v30, v30, 23, v56
	v_or3_b32 v32, v50, v30, v32
.LBB569_99:
	s_or_b64 exec, exec, s[10:11]
.LBB569_100:
	s_or_b64 exec, exec, s[8:9]
.LBB569_101:
	s_or_b64 exec, exec, s[2:3]
	s_mov_b32 s2, 0xffffff
	v_cmp_lt_u32_e32 vcc, s2, v33
	v_mov_b32_e32 v50, 0
	v_mov_b32_e32 v56, 0
	s_and_saveexec_b64 s[2:3], vcc
	s_cbranch_execz .LBB569_107
; %bb.102:
	v_lshrrev_b32_e32 v30, 24, v33
	s_movk_i32 s8, 0x80
	v_cmp_ne_u32_e32 vcc, s8, v30
	v_bfrev_b32_e32 v56, 1
	s_and_saveexec_b64 s[8:9], vcc
	s_cbranch_execz .LBB569_106
; %bb.103:
	v_bfe_u32 v33, v33, 24, 7
	s_movk_i32 s10, 0x7f
	v_cmp_ne_u32_e32 vcc, s10, v33
	v_mov_b32_e32 v56, 0x7f800001
	s_and_saveexec_b64 s[10:11], vcc
	s_cbranch_execz .LBB569_105
; %bb.104:
	v_and_b32_e32 v58, 7, v30
	v_ffbh_u32_e32 v56, v58
	v_min_u32_e32 v60, 32, v56
	v_subrev_u32_e32 v56, 28, v60
	v_lshlrev_b64 v[56:57], v56, v[30:31]
	v_lshrrev_b32_e32 v59, 3, v33
	v_sub_u32_e32 v57, 29, v60
	v_and_b32_e32 v56, 7, v56
	v_cmp_gt_u32_e32 vcc, 8, v33
	v_cndmask_b32_e32 v33, v59, v57, vcc
	v_cndmask_b32_e32 v56, v58, v56, vcc
	v_lshlrev_b32_e32 v30, 24, v30
	v_bfrev_b32_e32 v57, 60
	v_lshlrev_b32_e32 v56, 20, v56
	v_and_b32_e32 v30, 0x80000000, v30
	v_lshl_add_u32 v33, v33, 23, v57
	v_or3_b32 v56, v30, v33, v56
.LBB569_105:
	s_or_b64 exec, exec, s[10:11]
.LBB569_106:
	s_or_b64 exec, exec, s[8:9]
.LBB569_107:
	s_or_b64 exec, exec, s[2:3]
	v_cvt_pkrtz_f16_f32 v30, v51, v52
	v_cvt_pkrtz_f16_f32 v31, v31, v54
	s_waitcnt vmcnt(6)
	v_cmp_ne_u16_sdwa s[8:9], v38, v50 src0_sel:BYTE_0 src1_sel:DWORD
	v_mfma_f32_16x16x16f16 v[42:45], v[30:31], v[18:19], v[42:45]
	v_cvt_pkrtz_f16_f32 v30, v53, v55
	v_cvt_pkrtz_f16_f32 v31, v32, v56
	s_nop 1
	v_mfma_f32_16x16x16f16 v[30:33], v[30:31], v[20:21], v[42:45]
	s_and_saveexec_b64 s[2:3], s[8:9]
	s_cbranch_execz .LBB569_113
; %bb.108:
	s_movk_i32 s8, 0x80
	v_cmp_ne_u16_sdwa s[10:11], v38, s8 src0_sel:BYTE_0 src1_sel:DWORD
	v_bfrev_b32_e32 v50, 1
	s_and_saveexec_b64 s[8:9], s[10:11]
	s_cbranch_execz .LBB569_112
; %bb.109:
	s_movk_i32 s10, 0x7f
	v_and_b32_e32 v42, 0x7f, v38
	v_cmp_ne_u32_e32 vcc, s10, v42
	v_mov_b32_e32 v50, 0x7f800001
	s_and_saveexec_b64 s[10:11], vcc
	s_cbranch_execz .LBB569_111
; %bb.110:
	v_and_b32_e32 v43, 7, v38
	v_ffbh_u32_e32 v44, v43
	v_min_u32_e32 v51, 32, v44
	v_subrev_u32_e32 v44, 28, v51
	v_lshlrev_b64 v[44:45], v44, v[38:39]
	v_lshrrev_b32_e32 v50, 3, v42
	v_sub_u32_e32 v45, 29, v51
	v_and_b32_e32 v44, 7, v44
	v_cmp_gt_u32_e32 vcc, 8, v42
	v_cndmask_b32_e32 v42, v50, v45, vcc
	v_cndmask_b32_e32 v43, v43, v44, vcc
	v_lshlrev_b32_e32 v44, 24, v38
	v_bfrev_b32_e32 v45, 60
	v_lshlrev_b32_e32 v43, 20, v43
	v_and_b32_e32 v44, 0x80000000, v44
	v_lshl_add_u32 v42, v42, 23, v45
	v_or3_b32 v50, v44, v42, v43
.LBB569_111:
	s_or_b64 exec, exec, s[10:11]
.LBB569_112:
	s_or_b64 exec, exec, s[8:9]
.LBB569_113:
	s_or_b64 exec, exec, s[2:3]
	s_nop 3
	v_lshrrev_b16_e32 v42, 8, v38
	v_cmp_ne_u16_e32 vcc, 0, v42
	v_mov_b32_e32 v43, 0
	v_mov_b32_e32 v44, 0
	s_and_saveexec_b64 s[2:3], vcc
	s_cbranch_execz .LBB569_119
; %bb.114:
	s_movk_i32 s8, 0x80
	v_cmp_ne_u16_e32 vcc, s8, v42
	v_bfrev_b32_e32 v44, 1
	s_and_saveexec_b64 s[8:9], vcc
	s_cbranch_execz .LBB569_118
; %bb.115:
	s_movk_i32 s10, 0x7f
	v_and_b32_e32 v45, 0x7f, v42
	v_cmp_ne_u32_e32 vcc, s10, v45
	v_mov_b32_e32 v44, 0x7f800001
	s_and_saveexec_b64 s[10:11], vcc
	s_cbranch_execz .LBB569_117
; %bb.116:
	v_and_b32_e32 v44, 7, v42
	v_ffbh_u32_e32 v52, v44
	v_min_u32_e32 v54, 32, v52
	v_subrev_u32_e32 v52, 28, v54
	v_lshlrev_b64 v[52:53], v52, v[42:43]
	v_lshrrev_b32_e32 v51, 3, v45
	v_sub_u32_e32 v42, 29, v54
	v_and_b32_e32 v52, 7, v52
	v_cmp_gt_u32_e32 vcc, 8, v45
	v_cndmask_b32_e32 v42, v51, v42, vcc
	v_cndmask_b32_e32 v44, v44, v52, vcc
	v_lshlrev_b32_e32 v45, 16, v38
	v_bfrev_b32_e32 v51, 60
	v_lshlrev_b32_e32 v44, 20, v44
	v_and_b32_e32 v45, 0x80000000, v45
	v_lshl_add_u32 v42, v42, 23, v51
	v_or3_b32 v44, v45, v42, v44
.LBB569_117:
	s_or_b64 exec, exec, s[10:11]
.LBB569_118:
	s_or_b64 exec, exec, s[8:9]
.LBB569_119:
	s_or_b64 exec, exec, s[2:3]
	s_movk_i32 s2, 0xff
	v_and_b32_sdwa v45, v38, s2 dst_sel:DWORD dst_unused:UNUSED_PAD src0_sel:WORD_1 src1_sel:DWORD
	v_lshrrev_b32_e32 v42, 16, v38
	v_cmp_ne_u16_e32 vcc, 0, v45
	s_and_saveexec_b64 s[2:3], vcc
	s_cbranch_execz .LBB569_125
; %bb.120:
	s_movk_i32 s8, 0x80
	v_cmp_ne_u16_e32 vcc, s8, v45
	v_bfrev_b32_e32 v43, 1
	s_and_saveexec_b64 s[8:9], vcc
	s_cbranch_execz .LBB569_124
; %bb.121:
	v_bfe_u32 v45, v38, 16, 7
	s_movk_i32 s10, 0x7f
	v_cmp_ne_u32_e32 vcc, s10, v45
	v_mov_b32_e32 v43, 0x7f800001
	s_and_saveexec_b64 s[10:11], vcc
	s_cbranch_execz .LBB569_123
; %bb.122:
	v_and_b32_e32 v51, 7, v42
	v_ffbh_u32_e32 v43, v51
	v_min_u32_e32 v53, 32, v43
	v_subrev_u32_e32 v43, 28, v53
	v_lshlrev_b64 v[42:43], v43, v[42:43]
	v_lshrrev_b32_e32 v52, 3, v45
	v_sub_u32_e32 v43, 29, v53
	v_and_b32_e32 v42, 7, v42
	v_cmp_gt_u32_e32 vcc, 8, v45
	v_mov_b32_e32 v45, 24
	v_cndmask_b32_e32 v43, v52, v43, vcc
	v_cndmask_b32_e32 v42, v51, v42, vcc
	v_lshlrev_b32_sdwa v45, v45, v38 dst_sel:DWORD dst_unused:UNUSED_PAD src0_sel:DWORD src1_sel:WORD_1
	v_bfrev_b32_e32 v51, 60
	v_lshlrev_b32_e32 v42, 20, v42
	v_and_b32_e32 v45, 0x80000000, v45
	v_lshl_add_u32 v43, v43, 23, v51
	v_or3_b32 v43, v45, v43, v42
.LBB569_123:
	s_or_b64 exec, exec, s[10:11]
.LBB569_124:
	s_or_b64 exec, exec, s[8:9]
.LBB569_125:
	s_or_b64 exec, exec, s[2:3]
	s_mov_b32 s2, 0xffffff
	v_cmp_lt_u32_e32 vcc, s2, v38
	v_mov_b32_e32 v45, 0
	v_mov_b32_e32 v52, 0
	s_and_saveexec_b64 s[2:3], vcc
	s_cbranch_execz .LBB569_131
; %bb.126:
	v_lshrrev_b32_e32 v42, 24, v38
	s_movk_i32 s8, 0x80
	v_cmp_ne_u32_e32 vcc, s8, v42
	v_bfrev_b32_e32 v52, 1
	s_and_saveexec_b64 s[8:9], vcc
	s_cbranch_execz .LBB569_130
; %bb.127:
	v_bfe_u32 v38, v38, 24, 7
	s_movk_i32 s10, 0x7f
	v_cmp_ne_u32_e32 vcc, s10, v38
	v_mov_b32_e32 v52, 0x7f800001
	s_and_saveexec_b64 s[10:11], vcc
	s_cbranch_execz .LBB569_129
; %bb.128:
	v_and_b32_e32 v51, 7, v42
	v_ffbh_u32_e32 v52, v51
	v_min_u32_e32 v55, 32, v52
	v_subrev_u32_e32 v52, 28, v55
	v_lshlrev_b64 v[52:53], v52, v[42:43]
	v_lshrrev_b32_e32 v54, 3, v38
	v_sub_u32_e32 v53, 29, v55
	v_and_b32_e32 v52, 7, v52
	v_cmp_gt_u32_e32 vcc, 8, v38
	v_cndmask_b32_e32 v38, v54, v53, vcc
	v_cndmask_b32_e32 v51, v51, v52, vcc
	v_lshlrev_b32_e32 v42, 24, v42
	v_bfrev_b32_e32 v52, 60
	v_lshlrev_b32_e32 v51, 20, v51
	v_and_b32_e32 v42, 0x80000000, v42
	v_lshl_add_u32 v38, v38, 23, v52
	v_or3_b32 v52, v42, v38, v51
.LBB569_129:
	s_or_b64 exec, exec, s[10:11]
.LBB569_130:
	s_or_b64 exec, exec, s[8:9]
.LBB569_131:
	s_or_b64 exec, exec, s[2:3]
	v_cmp_ne_u16_sdwa s[8:9], v39, v45 src0_sel:BYTE_0 src1_sel:DWORD
	s_and_saveexec_b64 s[2:3], s[8:9]
	s_cbranch_execz .LBB569_137
; %bb.132:
	s_movk_i32 s8, 0x80
	v_cmp_ne_u16_sdwa s[10:11], v39, s8 src0_sel:BYTE_0 src1_sel:DWORD
	v_bfrev_b32_e32 v45, 1
	s_and_saveexec_b64 s[8:9], s[10:11]
	s_cbranch_execz .LBB569_136
; %bb.133:
	s_movk_i32 s10, 0x7f
	v_and_b32_e32 v38, 0x7f, v39
	v_cmp_ne_u32_e32 vcc, s10, v38
	v_mov_b32_e32 v45, 0x7f800001
	s_and_saveexec_b64 s[10:11], vcc
	s_cbranch_execz .LBB569_135
; %bb.134:
	v_and_b32_e32 v45, 7, v39
	v_ffbh_u32_e32 v53, v45
	v_min_u32_e32 v53, 32, v53
	v_mov_b32_e32 v42, v39
	v_subrev_u32_e32 v54, 28, v53
	v_lshlrev_b64 v[54:55], v54, v[42:43]
	v_lshrrev_b32_e32 v51, 3, v38
	v_sub_u32_e32 v42, 29, v53
	v_and_b32_e32 v53, 7, v54
	v_cmp_gt_u32_e32 vcc, 8, v38
	v_cndmask_b32_e32 v38, v51, v42, vcc
	v_cndmask_b32_e32 v42, v45, v53, vcc
	v_lshlrev_b32_e32 v45, 24, v39
	v_bfrev_b32_e32 v51, 60
	v_lshlrev_b32_e32 v42, 20, v42
	v_and_b32_e32 v45, 0x80000000, v45
	v_lshl_add_u32 v38, v38, 23, v51
	v_or3_b32 v45, v45, v38, v42
.LBB569_135:
	s_or_b64 exec, exec, s[10:11]
.LBB569_136:
	s_or_b64 exec, exec, s[8:9]
.LBB569_137:
	s_or_b64 exec, exec, s[2:3]
	v_lshrrev_b16_e32 v38, 8, v39
	v_cmp_ne_u16_e32 vcc, 0, v38
	v_mov_b32_e32 v42, 0
	v_mov_b32_e32 v53, 0
	s_and_saveexec_b64 s[2:3], vcc
	s_cbranch_execz .LBB569_143
; %bb.138:
	s_movk_i32 s8, 0x80
	v_cmp_ne_u16_e32 vcc, s8, v38
	v_bfrev_b32_e32 v53, 1
	s_and_saveexec_b64 s[8:9], vcc
	s_cbranch_execz .LBB569_142
; %bb.139:
	s_movk_i32 s10, 0x7f
	v_and_b32_e32 v51, 0x7f, v38
	v_cmp_ne_u32_e32 vcc, s10, v51
	v_mov_b32_e32 v53, 0x7f800001
	s_and_saveexec_b64 s[10:11], vcc
	s_cbranch_execz .LBB569_141
; %bb.140:
	v_and_b32_e32 v53, 7, v38
	v_ffbh_u32_e32 v54, v53
	v_min_u32_e32 v57, 32, v54
	v_subrev_u32_e32 v54, 28, v57
	v_lshlrev_b64 v[54:55], v54, v[38:39]
	v_lshrrev_b32_e32 v56, 3, v51
	v_sub_u32_e32 v38, 29, v57
	v_and_b32_e32 v54, 7, v54
	v_cmp_gt_u32_e32 vcc, 8, v51
	v_cndmask_b32_e32 v38, v56, v38, vcc
	v_cndmask_b32_e32 v51, v53, v54, vcc
	v_lshlrev_b32_e32 v53, 16, v39
	v_bfrev_b32_e32 v54, 60
	v_lshlrev_b32_e32 v51, 20, v51
	v_and_b32_e32 v53, 0x80000000, v53
	v_lshl_add_u32 v38, v38, 23, v54
	v_or3_b32 v53, v53, v38, v51
.LBB569_141:
	s_or_b64 exec, exec, s[10:11]
.LBB569_142:
	s_or_b64 exec, exec, s[8:9]
.LBB569_143:
	s_or_b64 exec, exec, s[2:3]
	s_movk_i32 s2, 0xff
	v_and_b32_sdwa v51, v39, s2 dst_sel:DWORD dst_unused:UNUSED_PAD src0_sel:WORD_1 src1_sel:DWORD
	v_lshrrev_b32_e32 v38, 16, v39
	v_cmp_ne_u16_e32 vcc, 0, v51
	s_and_saveexec_b64 s[2:3], vcc
	s_cbranch_execz .LBB569_149
; %bb.144:
	s_movk_i32 s8, 0x80
	v_cmp_ne_u16_e32 vcc, s8, v51
	v_bfrev_b32_e32 v42, 1
	s_and_saveexec_b64 s[8:9], vcc
	s_cbranch_execz .LBB569_148
; %bb.145:
	v_bfe_u32 v51, v39, 16, 7
	s_movk_i32 s10, 0x7f
	v_cmp_ne_u32_e32 vcc, s10, v51
	v_mov_b32_e32 v42, 0x7f800001
	s_and_saveexec_b64 s[10:11], vcc
	s_cbranch_execz .LBB569_147
; %bb.146:
	v_and_b32_e32 v42, 7, v38
	v_ffbh_u32_e32 v54, v42
	v_min_u32_e32 v57, 32, v54
	v_subrev_u32_e32 v54, 28, v57
	v_lshlrev_b64 v[54:55], v54, v[38:39]
	v_lshrrev_b32_e32 v56, 3, v51
	v_sub_u32_e32 v38, 29, v57
	v_and_b32_e32 v54, 7, v54
	v_cmp_gt_u32_e32 vcc, 8, v51
	v_mov_b32_e32 v51, 24
	v_cndmask_b32_e32 v38, v56, v38, vcc
	v_cndmask_b32_e32 v42, v42, v54, vcc
	v_lshlrev_b32_sdwa v51, v51, v39 dst_sel:DWORD dst_unused:UNUSED_PAD src0_sel:DWORD src1_sel:WORD_1
	v_bfrev_b32_e32 v54, 60
	v_lshlrev_b32_e32 v42, 20, v42
	v_and_b32_e32 v51, 0x80000000, v51
	v_lshl_add_u32 v38, v38, 23, v54
	v_or3_b32 v42, v51, v38, v42
.LBB569_147:
	s_or_b64 exec, exec, s[10:11]
.LBB569_148:
	s_or_b64 exec, exec, s[8:9]
.LBB569_149:
	s_or_b64 exec, exec, s[2:3]
	s_mov_b32 s2, 0xffffff
	v_cmp_lt_u32_e32 vcc, s2, v39
	v_mov_b32_e32 v51, 0
	v_mov_b32_e32 v54, 0
	s_and_saveexec_b64 s[2:3], vcc
	s_cbranch_execz .LBB569_155
; %bb.150:
	v_lshrrev_b32_e32 v38, 24, v39
	s_movk_i32 s8, 0x80
	v_cmp_ne_u32_e32 vcc, s8, v38
	v_bfrev_b32_e32 v54, 1
	s_and_saveexec_b64 s[8:9], vcc
	s_cbranch_execz .LBB569_154
; %bb.151:
	v_bfe_u32 v39, v39, 24, 7
	s_movk_i32 s10, 0x7f
	v_cmp_ne_u32_e32 vcc, s10, v39
	v_mov_b32_e32 v54, 0x7f800001
	s_and_saveexec_b64 s[10:11], vcc
	s_cbranch_execz .LBB569_153
; %bb.152:
	v_and_b32_e32 v56, 7, v38
	v_ffbh_u32_e32 v54, v56
	v_min_u32_e32 v58, 32, v54
	v_subrev_u32_e32 v54, 28, v58
	v_lshlrev_b64 v[54:55], v54, v[38:39]
	v_lshrrev_b32_e32 v57, 3, v39
	v_sub_u32_e32 v55, 29, v58
	v_and_b32_e32 v54, 7, v54
	v_cmp_gt_u32_e32 vcc, 8, v39
	v_cndmask_b32_e32 v39, v57, v55, vcc
	v_cndmask_b32_e32 v54, v56, v54, vcc
	v_lshlrev_b32_e32 v38, 24, v38
	v_bfrev_b32_e32 v55, 60
	v_lshlrev_b32_e32 v54, 20, v54
	v_and_b32_e32 v38, 0x80000000, v38
	v_lshl_add_u32 v39, v39, 23, v55
	v_or3_b32 v54, v38, v39, v54
.LBB569_153:
	s_or_b64 exec, exec, s[10:11]
.LBB569_154:
	s_or_b64 exec, exec, s[8:9]
.LBB569_155:
	s_or_b64 exec, exec, s[2:3]
	v_cvt_pkrtz_f16_f32 v38, v50, v44
	v_cvt_pkrtz_f16_f32 v39, v43, v52
	v_cmp_ne_u16_sdwa s[8:9], v40, v51 src0_sel:BYTE_0 src1_sel:DWORD
	s_nop 0
	v_mfma_f32_16x16x16f16 v[56:59], v[38:39], v[26:27], 0
	v_cvt_pkrtz_f16_f32 v38, v45, v53
	v_cvt_pkrtz_f16_f32 v39, v42, v54
	s_nop 1
	v_mfma_f32_16x16x16f16 v[42:45], v[38:39], v[28:29], v[56:59]
	s_and_saveexec_b64 s[2:3], s[8:9]
	s_cbranch_execz .LBB569_161
; %bb.156:
	s_movk_i32 s8, 0x80
	v_cmp_ne_u16_sdwa s[10:11], v40, s8 src0_sel:BYTE_0 src1_sel:DWORD
	v_bfrev_b32_e32 v51, 1
	s_and_saveexec_b64 s[8:9], s[10:11]
	s_cbranch_execz .LBB569_160
; %bb.157:
	s_movk_i32 s10, 0x7f
	v_and_b32_e32 v38, 0x7f, v40
	v_cmp_ne_u32_e32 vcc, s10, v38
	v_mov_b32_e32 v51, 0x7f800001
	s_and_saveexec_b64 s[10:11], vcc
	s_cbranch_execz .LBB569_159
; %bb.158:
	v_and_b32_e32 v39, 7, v40
	v_ffbh_u32_e32 v50, v39
	v_min_u32_e32 v53, 32, v50
	v_subrev_u32_e32 v50, 28, v53
	v_lshlrev_b64 v[50:51], v50, v[40:41]
	v_lshrrev_b32_e32 v52, 3, v38
	v_sub_u32_e32 v51, 29, v53
	v_and_b32_e32 v50, 7, v50
	v_cmp_gt_u32_e32 vcc, 8, v38
	v_cndmask_b32_e32 v38, v52, v51, vcc
	v_cndmask_b32_e32 v39, v39, v50, vcc
	v_lshlrev_b32_e32 v50, 24, v40
	v_bfrev_b32_e32 v51, 60
	v_lshlrev_b32_e32 v39, 20, v39
	v_and_b32_e32 v50, 0x80000000, v50
	v_lshl_add_u32 v38, v38, 23, v51
	v_or3_b32 v51, v50, v38, v39
.LBB569_159:
	s_or_b64 exec, exec, s[10:11]
.LBB569_160:
	s_or_b64 exec, exec, s[8:9]
.LBB569_161:
	s_or_b64 exec, exec, s[2:3]
	v_lshrrev_b16_e32 v38, 8, v40
	v_cmp_ne_u16_e32 vcc, 0, v38
	v_mov_b32_e32 v39, 0
	v_mov_b32_e32 v52, 0
	s_and_saveexec_b64 s[2:3], vcc
	s_cbranch_execz .LBB569_167
; %bb.162:
	s_movk_i32 s8, 0x80
	v_cmp_ne_u16_e32 vcc, s8, v38
	v_bfrev_b32_e32 v52, 1
	s_and_saveexec_b64 s[8:9], vcc
	s_cbranch_execz .LBB569_166
; %bb.163:
	s_movk_i32 s10, 0x7f
	v_and_b32_e32 v50, 0x7f, v38
	v_cmp_ne_u32_e32 vcc, s10, v50
	v_mov_b32_e32 v52, 0x7f800001
	s_and_saveexec_b64 s[10:11], vcc
	s_cbranch_execz .LBB569_165
; %bb.164:
	v_and_b32_e32 v54, 7, v38
	v_ffbh_u32_e32 v52, v54
	v_min_u32_e32 v56, 32, v52
	v_subrev_u32_e32 v52, 28, v56
	v_lshlrev_b64 v[52:53], v52, v[38:39]
	v_lshrrev_b32_e32 v55, 3, v50
	v_sub_u32_e32 v38, 29, v56
	v_and_b32_e32 v52, 7, v52
	v_cmp_gt_u32_e32 vcc, 8, v50
	v_cndmask_b32_e32 v38, v55, v38, vcc
	v_cndmask_b32_e32 v50, v54, v52, vcc
	v_lshlrev_b32_e32 v52, 16, v40
	v_bfrev_b32_e32 v53, 60
	v_lshlrev_b32_e32 v50, 20, v50
	v_and_b32_e32 v52, 0x80000000, v52
	v_lshl_add_u32 v38, v38, 23, v53
	v_or3_b32 v52, v52, v38, v50
.LBB569_165:
	s_or_b64 exec, exec, s[10:11]
.LBB569_166:
	s_or_b64 exec, exec, s[8:9]
.LBB569_167:
	s_or_b64 exec, exec, s[2:3]
	s_movk_i32 s2, 0xff
	v_and_b32_sdwa v50, v40, s2 dst_sel:DWORD dst_unused:UNUSED_PAD src0_sel:WORD_1 src1_sel:DWORD
	v_lshrrev_b32_e32 v38, 16, v40
	v_cmp_ne_u16_e32 vcc, 0, v50
	s_and_saveexec_b64 s[2:3], vcc
	s_cbranch_execz .LBB569_173
; %bb.168:
	s_movk_i32 s8, 0x80
	v_cmp_ne_u16_e32 vcc, s8, v50
	v_bfrev_b32_e32 v39, 1
	s_and_saveexec_b64 s[8:9], vcc
	s_cbranch_execz .LBB569_172
; %bb.169:
	v_bfe_u32 v50, v40, 16, 7
	s_movk_i32 s10, 0x7f
	v_cmp_ne_u32_e32 vcc, s10, v50
	v_mov_b32_e32 v39, 0x7f800001
	s_and_saveexec_b64 s[10:11], vcc
	s_cbranch_execz .LBB569_171
; %bb.170:
	v_and_b32_e32 v53, 7, v38
	v_ffbh_u32_e32 v39, v53
	v_min_u32_e32 v55, 32, v39
	v_subrev_u32_e32 v39, 28, v55
	v_lshlrev_b64 v[38:39], v39, v[38:39]
	v_lshrrev_b32_e32 v54, 3, v50
	v_sub_u32_e32 v39, 29, v55
	v_and_b32_e32 v38, 7, v38
	v_cmp_gt_u32_e32 vcc, 8, v50
	v_mov_b32_e32 v50, 24
	v_cndmask_b32_e32 v39, v54, v39, vcc
	v_cndmask_b32_e32 v38, v53, v38, vcc
	v_lshlrev_b32_sdwa v50, v50, v40 dst_sel:DWORD dst_unused:UNUSED_PAD src0_sel:DWORD src1_sel:WORD_1
	v_bfrev_b32_e32 v53, 60
	v_lshlrev_b32_e32 v38, 20, v38
	v_and_b32_e32 v50, 0x80000000, v50
	v_lshl_add_u32 v39, v39, 23, v53
	v_or3_b32 v39, v50, v39, v38
.LBB569_171:
	s_or_b64 exec, exec, s[10:11]
.LBB569_172:
	s_or_b64 exec, exec, s[8:9]
.LBB569_173:
	s_or_b64 exec, exec, s[2:3]
	s_mov_b32 s2, 0xffffff
	v_cmp_lt_u32_e32 vcc, s2, v40
	v_mov_b32_e32 v53, 0
	v_mov_b32_e32 v54, 0
	s_and_saveexec_b64 s[2:3], vcc
	s_cbranch_execz .LBB569_179
; %bb.174:
	v_lshrrev_b32_e32 v38, 24, v40
	s_movk_i32 s8, 0x80
	v_cmp_ne_u32_e32 vcc, s8, v38
	v_bfrev_b32_e32 v54, 1
	s_and_saveexec_b64 s[8:9], vcc
	s_cbranch_execz .LBB569_178
; %bb.175:
	v_bfe_u32 v40, v40, 24, 7
	s_movk_i32 s10, 0x7f
	v_cmp_ne_u32_e32 vcc, s10, v40
	v_mov_b32_e32 v54, 0x7f800001
	s_and_saveexec_b64 s[10:11], vcc
	s_cbranch_execz .LBB569_177
; %bb.176:
	v_and_b32_e32 v50, 7, v38
	v_ffbh_u32_e32 v54, v50
	v_min_u32_e32 v57, 32, v54
	v_subrev_u32_e32 v54, 28, v57
	v_lshlrev_b64 v[54:55], v54, v[38:39]
	v_lshrrev_b32_e32 v56, 3, v40
	v_sub_u32_e32 v55, 29, v57
	v_and_b32_e32 v54, 7, v54
	v_cmp_gt_u32_e32 vcc, 8, v40
	v_cndmask_b32_e32 v40, v56, v55, vcc
	v_cndmask_b32_e32 v50, v50, v54, vcc
	v_lshlrev_b32_e32 v38, 24, v38
	v_bfrev_b32_e32 v54, 60
	v_lshlrev_b32_e32 v50, 20, v50
	v_and_b32_e32 v38, 0x80000000, v38
	v_lshl_add_u32 v40, v40, 23, v54
	v_or3_b32 v54, v38, v40, v50
.LBB569_177:
	s_or_b64 exec, exec, s[10:11]
.LBB569_178:
	s_or_b64 exec, exec, s[8:9]
.LBB569_179:
	s_or_b64 exec, exec, s[2:3]
	v_cmp_ne_u16_sdwa s[8:9], v41, v53 src0_sel:BYTE_0 src1_sel:DWORD
	s_and_saveexec_b64 s[2:3], s[8:9]
	s_cbranch_execz .LBB569_185
; %bb.180:
	s_movk_i32 s8, 0x80
	v_cmp_ne_u16_sdwa s[10:11], v41, s8 src0_sel:BYTE_0 src1_sel:DWORD
	v_bfrev_b32_e32 v53, 1
	s_and_saveexec_b64 s[8:9], s[10:11]
	s_cbranch_execz .LBB569_184
; %bb.181:
	s_movk_i32 s10, 0x7f
	v_and_b32_e32 v38, 0x7f, v41
	v_cmp_ne_u32_e32 vcc, s10, v38
	v_mov_b32_e32 v53, 0x7f800001
	s_and_saveexec_b64 s[10:11], vcc
	s_cbranch_execz .LBB569_183
; %bb.182:
	v_and_b32_e32 v50, 7, v41
	v_ffbh_u32_e32 v55, v50
	v_min_u32_e32 v55, 32, v55
	v_mov_b32_e32 v40, v41
	v_subrev_u32_e32 v56, 28, v55
	v_lshlrev_b64 v[56:57], v56, v[40:41]
	v_lshrrev_b32_e32 v53, 3, v38
	v_sub_u32_e32 v40, 29, v55
	v_and_b32_e32 v55, 7, v56
	v_cmp_gt_u32_e32 vcc, 8, v38
	v_cndmask_b32_e32 v38, v53, v40, vcc
	v_cndmask_b32_e32 v40, v50, v55, vcc
	v_lshlrev_b32_e32 v50, 24, v41
	v_bfrev_b32_e32 v53, 60
	v_lshlrev_b32_e32 v40, 20, v40
	v_and_b32_e32 v50, 0x80000000, v50
	v_lshl_add_u32 v38, v38, 23, v53
	v_or3_b32 v53, v50, v38, v40
.LBB569_183:
	s_or_b64 exec, exec, s[10:11]
.LBB569_184:
	s_or_b64 exec, exec, s[8:9]
.LBB569_185:
	s_or_b64 exec, exec, s[2:3]
	v_lshrrev_b16_e32 v38, 8, v41
	v_cmp_ne_u16_e32 vcc, 0, v38
	v_mov_b32_e32 v40, 0
	v_mov_b32_e32 v55, 0
	s_and_saveexec_b64 s[2:3], vcc
	s_cbranch_execz .LBB569_191
; %bb.186:
	s_movk_i32 s8, 0x80
	v_cmp_ne_u16_e32 vcc, s8, v38
	v_bfrev_b32_e32 v55, 1
	s_and_saveexec_b64 s[8:9], vcc
	s_cbranch_execz .LBB569_190
; %bb.187:
	s_movk_i32 s10, 0x7f
	v_and_b32_e32 v50, 0x7f, v38
	v_cmp_ne_u32_e32 vcc, s10, v50
	v_mov_b32_e32 v55, 0x7f800001
	s_and_saveexec_b64 s[10:11], vcc
	s_cbranch_execz .LBB569_189
; %bb.188:
	v_and_b32_e32 v55, 7, v38
	v_ffbh_u32_e32 v56, v55
	v_min_u32_e32 v59, 32, v56
	v_subrev_u32_e32 v56, 28, v59
	v_lshlrev_b64 v[56:57], v56, v[38:39]
	v_lshrrev_b32_e32 v58, 3, v50
	v_sub_u32_e32 v38, 29, v59
	v_and_b32_e32 v56, 7, v56
	v_cmp_gt_u32_e32 vcc, 8, v50
	v_cndmask_b32_e32 v38, v58, v38, vcc
	v_cndmask_b32_e32 v50, v55, v56, vcc
	v_lshlrev_b32_e32 v55, 16, v41
	v_bfrev_b32_e32 v56, 60
	v_lshlrev_b32_e32 v50, 20, v50
	v_and_b32_e32 v55, 0x80000000, v55
	v_lshl_add_u32 v38, v38, 23, v56
	v_or3_b32 v55, v55, v38, v50
.LBB569_189:
	s_or_b64 exec, exec, s[10:11]
.LBB569_190:
	s_or_b64 exec, exec, s[8:9]
.LBB569_191:
	s_or_b64 exec, exec, s[2:3]
	s_movk_i32 s2, 0xff
	v_and_b32_sdwa v50, v41, s2 dst_sel:DWORD dst_unused:UNUSED_PAD src0_sel:WORD_1 src1_sel:DWORD
	v_lshrrev_b32_e32 v38, 16, v41
	v_cmp_ne_u16_e32 vcc, 0, v50
	s_and_saveexec_b64 s[2:3], vcc
	s_cbranch_execz .LBB569_197
; %bb.192:
	s_movk_i32 s8, 0x80
	v_cmp_ne_u16_e32 vcc, s8, v50
	v_bfrev_b32_e32 v40, 1
	s_and_saveexec_b64 s[8:9], vcc
	s_cbranch_execz .LBB569_196
; %bb.193:
	v_bfe_u32 v50, v41, 16, 7
	s_movk_i32 s10, 0x7f
	v_cmp_ne_u32_e32 vcc, s10, v50
	v_mov_b32_e32 v40, 0x7f800001
	s_and_saveexec_b64 s[10:11], vcc
	s_cbranch_execz .LBB569_195
; %bb.194:
	v_and_b32_e32 v40, 7, v38
	v_ffbh_u32_e32 v56, v40
	v_min_u32_e32 v59, 32, v56
	v_subrev_u32_e32 v56, 28, v59
	v_lshlrev_b64 v[56:57], v56, v[38:39]
	v_lshrrev_b32_e32 v58, 3, v50
	v_sub_u32_e32 v38, 29, v59
	v_and_b32_e32 v56, 7, v56
	v_cmp_gt_u32_e32 vcc, 8, v50
	v_mov_b32_e32 v50, 24
	v_cndmask_b32_e32 v38, v58, v38, vcc
	v_cndmask_b32_e32 v40, v40, v56, vcc
	v_lshlrev_b32_sdwa v50, v50, v41 dst_sel:DWORD dst_unused:UNUSED_PAD src0_sel:DWORD src1_sel:WORD_1
	v_bfrev_b32_e32 v56, 60
	v_lshlrev_b32_e32 v40, 20, v40
	v_and_b32_e32 v50, 0x80000000, v50
	v_lshl_add_u32 v38, v38, 23, v56
	v_or3_b32 v40, v50, v38, v40
.LBB569_195:
	s_or_b64 exec, exec, s[10:11]
.LBB569_196:
	s_or_b64 exec, exec, s[8:9]
.LBB569_197:
	s_or_b64 exec, exec, s[2:3]
	s_mov_b32 s2, 0xffffff
	v_cmp_lt_u32_e32 vcc, s2, v41
	v_mov_b32_e32 v50, 0
	v_mov_b32_e32 v56, 0
	s_and_saveexec_b64 s[2:3], vcc
	s_cbranch_execz .LBB569_203
; %bb.198:
	v_lshrrev_b32_e32 v38, 24, v41
	s_movk_i32 s8, 0x80
	v_cmp_ne_u32_e32 vcc, s8, v38
	v_bfrev_b32_e32 v56, 1
	s_and_saveexec_b64 s[8:9], vcc
	s_cbranch_execz .LBB569_202
; %bb.199:
	v_bfe_u32 v41, v41, 24, 7
	s_movk_i32 s10, 0x7f
	v_cmp_ne_u32_e32 vcc, s10, v41
	v_mov_b32_e32 v56, 0x7f800001
	s_and_saveexec_b64 s[10:11], vcc
	s_cbranch_execz .LBB569_201
; %bb.200:
	v_and_b32_e32 v58, 7, v38
	v_ffbh_u32_e32 v56, v58
	v_min_u32_e32 v60, 32, v56
	v_subrev_u32_e32 v56, 28, v60
	v_lshlrev_b64 v[56:57], v56, v[38:39]
	v_lshrrev_b32_e32 v59, 3, v41
	v_sub_u32_e32 v57, 29, v60
	v_and_b32_e32 v56, 7, v56
	v_cmp_gt_u32_e32 vcc, 8, v41
	v_cndmask_b32_e32 v41, v59, v57, vcc
	v_cndmask_b32_e32 v56, v58, v56, vcc
	v_lshlrev_b32_e32 v38, 24, v38
	v_bfrev_b32_e32 v57, 60
	v_lshlrev_b32_e32 v56, 20, v56
	v_and_b32_e32 v38, 0x80000000, v38
	v_lshl_add_u32 v41, v41, 23, v57
	v_or3_b32 v56, v38, v41, v56
.LBB569_201:
	s_or_b64 exec, exec, s[10:11]
.LBB569_202:
	s_or_b64 exec, exec, s[8:9]
.LBB569_203:
	s_or_b64 exec, exec, s[2:3]
	v_cvt_pkrtz_f16_f32 v38, v51, v52
	v_cvt_pkrtz_f16_f32 v39, v39, v54
	s_waitcnt vmcnt(5)
	v_cmp_ne_u16_sdwa s[8:9], v34, v50 src0_sel:BYTE_0 src1_sel:DWORD
	v_mfma_f32_16x16x16f16 v[42:45], v[38:39], v[18:19], v[42:45]
	v_cvt_pkrtz_f16_f32 v38, v53, v55
	v_cvt_pkrtz_f16_f32 v39, v40, v56
	s_nop 1
	v_mfma_f32_16x16x16f16 v[38:41], v[38:39], v[20:21], v[42:45]
	s_and_saveexec_b64 s[2:3], s[8:9]
	s_cbranch_execz .LBB569_209
; %bb.204:
	s_movk_i32 s8, 0x80
	v_cmp_ne_u16_sdwa s[10:11], v34, s8 src0_sel:BYTE_0 src1_sel:DWORD
	v_bfrev_b32_e32 v50, 1
	s_and_saveexec_b64 s[8:9], s[10:11]
	s_cbranch_execz .LBB569_208
; %bb.205:
	s_movk_i32 s10, 0x7f
	v_and_b32_e32 v42, 0x7f, v34
	v_cmp_ne_u32_e32 vcc, s10, v42
	v_mov_b32_e32 v50, 0x7f800001
	s_and_saveexec_b64 s[10:11], vcc
	s_cbranch_execz .LBB569_207
; %bb.206:
	v_and_b32_e32 v43, 7, v34
	v_ffbh_u32_e32 v44, v43
	v_min_u32_e32 v51, 32, v44
	v_subrev_u32_e32 v44, 28, v51
	v_lshlrev_b64 v[44:45], v44, v[34:35]
	v_lshrrev_b32_e32 v50, 3, v42
	v_sub_u32_e32 v45, 29, v51
	v_and_b32_e32 v44, 7, v44
	v_cmp_gt_u32_e32 vcc, 8, v42
	v_cndmask_b32_e32 v42, v50, v45, vcc
	v_cndmask_b32_e32 v43, v43, v44, vcc
	v_lshlrev_b32_e32 v44, 24, v34
	v_bfrev_b32_e32 v45, 60
	v_lshlrev_b32_e32 v43, 20, v43
	v_and_b32_e32 v44, 0x80000000, v44
	v_lshl_add_u32 v42, v42, 23, v45
	v_or3_b32 v50, v44, v42, v43
.LBB569_207:
	s_or_b64 exec, exec, s[10:11]
.LBB569_208:
	s_or_b64 exec, exec, s[8:9]
.LBB569_209:
	s_or_b64 exec, exec, s[2:3]
	s_nop 3
	v_lshrrev_b16_e32 v42, 8, v34
	v_cmp_ne_u16_e32 vcc, 0, v42
	v_mov_b32_e32 v43, 0
	v_mov_b32_e32 v44, 0
	s_and_saveexec_b64 s[2:3], vcc
	s_cbranch_execz .LBB569_215
; %bb.210:
	s_movk_i32 s8, 0x80
	v_cmp_ne_u16_e32 vcc, s8, v42
	v_bfrev_b32_e32 v44, 1
	s_and_saveexec_b64 s[8:9], vcc
	s_cbranch_execz .LBB569_214
; %bb.211:
	s_movk_i32 s10, 0x7f
	v_and_b32_e32 v45, 0x7f, v42
	v_cmp_ne_u32_e32 vcc, s10, v45
	v_mov_b32_e32 v44, 0x7f800001
	s_and_saveexec_b64 s[10:11], vcc
	s_cbranch_execz .LBB569_213
; %bb.212:
	v_and_b32_e32 v44, 7, v42
	v_ffbh_u32_e32 v52, v44
	v_min_u32_e32 v54, 32, v52
	v_subrev_u32_e32 v52, 28, v54
	v_lshlrev_b64 v[52:53], v52, v[42:43]
	v_lshrrev_b32_e32 v51, 3, v45
	v_sub_u32_e32 v42, 29, v54
	v_and_b32_e32 v52, 7, v52
	v_cmp_gt_u32_e32 vcc, 8, v45
	v_cndmask_b32_e32 v42, v51, v42, vcc
	v_cndmask_b32_e32 v44, v44, v52, vcc
	v_lshlrev_b32_e32 v45, 16, v34
	v_bfrev_b32_e32 v51, 60
	v_lshlrev_b32_e32 v44, 20, v44
	v_and_b32_e32 v45, 0x80000000, v45
	v_lshl_add_u32 v42, v42, 23, v51
	v_or3_b32 v44, v45, v42, v44
.LBB569_213:
	s_or_b64 exec, exec, s[10:11]
.LBB569_214:
	s_or_b64 exec, exec, s[8:9]
.LBB569_215:
	s_or_b64 exec, exec, s[2:3]
	s_movk_i32 s2, 0xff
	v_and_b32_sdwa v45, v34, s2 dst_sel:DWORD dst_unused:UNUSED_PAD src0_sel:WORD_1 src1_sel:DWORD
	v_lshrrev_b32_e32 v42, 16, v34
	v_cmp_ne_u16_e32 vcc, 0, v45
	s_and_saveexec_b64 s[2:3], vcc
	s_cbranch_execz .LBB569_221
; %bb.216:
	s_movk_i32 s8, 0x80
	v_cmp_ne_u16_e32 vcc, s8, v45
	v_bfrev_b32_e32 v43, 1
	s_and_saveexec_b64 s[8:9], vcc
	s_cbranch_execz .LBB569_220
; %bb.217:
	v_bfe_u32 v45, v34, 16, 7
	s_movk_i32 s10, 0x7f
	v_cmp_ne_u32_e32 vcc, s10, v45
	v_mov_b32_e32 v43, 0x7f800001
	s_and_saveexec_b64 s[10:11], vcc
	s_cbranch_execz .LBB569_219
; %bb.218:
	v_and_b32_e32 v51, 7, v42
	v_ffbh_u32_e32 v43, v51
	v_min_u32_e32 v53, 32, v43
	v_subrev_u32_e32 v43, 28, v53
	v_lshlrev_b64 v[42:43], v43, v[42:43]
	v_lshrrev_b32_e32 v52, 3, v45
	v_sub_u32_e32 v43, 29, v53
	v_and_b32_e32 v42, 7, v42
	v_cmp_gt_u32_e32 vcc, 8, v45
	v_mov_b32_e32 v45, 24
	v_cndmask_b32_e32 v43, v52, v43, vcc
	v_cndmask_b32_e32 v42, v51, v42, vcc
	v_lshlrev_b32_sdwa v45, v45, v34 dst_sel:DWORD dst_unused:UNUSED_PAD src0_sel:DWORD src1_sel:WORD_1
	v_bfrev_b32_e32 v51, 60
	v_lshlrev_b32_e32 v42, 20, v42
	v_and_b32_e32 v45, 0x80000000, v45
	v_lshl_add_u32 v43, v43, 23, v51
	v_or3_b32 v43, v45, v43, v42
.LBB569_219:
	s_or_b64 exec, exec, s[10:11]
.LBB569_220:
	s_or_b64 exec, exec, s[8:9]
.LBB569_221:
	s_or_b64 exec, exec, s[2:3]
	s_mov_b32 s2, 0xffffff
	v_cmp_lt_u32_e32 vcc, s2, v34
	v_mov_b32_e32 v45, 0
	v_mov_b32_e32 v52, 0
	s_and_saveexec_b64 s[2:3], vcc
	s_cbranch_execz .LBB569_227
; %bb.222:
	v_lshrrev_b32_e32 v42, 24, v34
	s_movk_i32 s8, 0x80
	v_cmp_ne_u32_e32 vcc, s8, v42
	v_bfrev_b32_e32 v52, 1
	s_and_saveexec_b64 s[8:9], vcc
	s_cbranch_execz .LBB569_226
; %bb.223:
	v_bfe_u32 v34, v34, 24, 7
	s_movk_i32 s10, 0x7f
	v_cmp_ne_u32_e32 vcc, s10, v34
	v_mov_b32_e32 v52, 0x7f800001
	s_and_saveexec_b64 s[10:11], vcc
	s_cbranch_execz .LBB569_225
; %bb.224:
	v_and_b32_e32 v51, 7, v42
	v_ffbh_u32_e32 v52, v51
	v_min_u32_e32 v55, 32, v52
	v_subrev_u32_e32 v52, 28, v55
	v_lshlrev_b64 v[52:53], v52, v[42:43]
	v_lshrrev_b32_e32 v54, 3, v34
	v_sub_u32_e32 v53, 29, v55
	v_and_b32_e32 v52, 7, v52
	v_cmp_gt_u32_e32 vcc, 8, v34
	v_cndmask_b32_e32 v34, v54, v53, vcc
	v_cndmask_b32_e32 v51, v51, v52, vcc
	v_lshlrev_b32_e32 v42, 24, v42
	v_bfrev_b32_e32 v52, 60
	v_lshlrev_b32_e32 v51, 20, v51
	v_and_b32_e32 v42, 0x80000000, v42
	v_lshl_add_u32 v34, v34, 23, v52
	v_or3_b32 v52, v42, v34, v51
.LBB569_225:
	s_or_b64 exec, exec, s[10:11]
.LBB569_226:
	s_or_b64 exec, exec, s[8:9]
.LBB569_227:
	s_or_b64 exec, exec, s[2:3]
	v_cmp_ne_u16_sdwa s[8:9], v35, v45 src0_sel:BYTE_0 src1_sel:DWORD
	s_and_saveexec_b64 s[2:3], s[8:9]
	s_cbranch_execz .LBB569_233
; %bb.228:
	s_movk_i32 s8, 0x80
	v_cmp_ne_u16_sdwa s[10:11], v35, s8 src0_sel:BYTE_0 src1_sel:DWORD
	v_bfrev_b32_e32 v45, 1
	s_and_saveexec_b64 s[8:9], s[10:11]
	s_cbranch_execz .LBB569_232
; %bb.229:
	s_movk_i32 s10, 0x7f
	v_and_b32_e32 v34, 0x7f, v35
	v_cmp_ne_u32_e32 vcc, s10, v34
	v_mov_b32_e32 v45, 0x7f800001
	s_and_saveexec_b64 s[10:11], vcc
	s_cbranch_execz .LBB569_231
; %bb.230:
	v_and_b32_e32 v45, 7, v35
	v_ffbh_u32_e32 v53, v45
	v_min_u32_e32 v53, 32, v53
	v_mov_b32_e32 v42, v35
	v_subrev_u32_e32 v54, 28, v53
	v_lshlrev_b64 v[54:55], v54, v[42:43]
	v_lshrrev_b32_e32 v51, 3, v34
	v_sub_u32_e32 v42, 29, v53
	v_and_b32_e32 v53, 7, v54
	v_cmp_gt_u32_e32 vcc, 8, v34
	v_cndmask_b32_e32 v34, v51, v42, vcc
	v_cndmask_b32_e32 v42, v45, v53, vcc
	v_lshlrev_b32_e32 v45, 24, v35
	v_bfrev_b32_e32 v51, 60
	v_lshlrev_b32_e32 v42, 20, v42
	v_and_b32_e32 v45, 0x80000000, v45
	v_lshl_add_u32 v34, v34, 23, v51
	v_or3_b32 v45, v45, v34, v42
.LBB569_231:
	s_or_b64 exec, exec, s[10:11]
.LBB569_232:
	s_or_b64 exec, exec, s[8:9]
.LBB569_233:
	s_or_b64 exec, exec, s[2:3]
	v_lshrrev_b16_e32 v34, 8, v35
	v_cmp_ne_u16_e32 vcc, 0, v34
	v_mov_b32_e32 v42, 0
	v_mov_b32_e32 v53, 0
	s_and_saveexec_b64 s[2:3], vcc
	s_cbranch_execz .LBB569_239
; %bb.234:
	s_movk_i32 s8, 0x80
	v_cmp_ne_u16_e32 vcc, s8, v34
	v_bfrev_b32_e32 v53, 1
	s_and_saveexec_b64 s[8:9], vcc
	s_cbranch_execz .LBB569_238
; %bb.235:
	s_movk_i32 s10, 0x7f
	v_and_b32_e32 v51, 0x7f, v34
	v_cmp_ne_u32_e32 vcc, s10, v51
	v_mov_b32_e32 v53, 0x7f800001
	s_and_saveexec_b64 s[10:11], vcc
	s_cbranch_execz .LBB569_237
; %bb.236:
	v_and_b32_e32 v53, 7, v34
	v_ffbh_u32_e32 v54, v53
	v_min_u32_e32 v57, 32, v54
	v_subrev_u32_e32 v54, 28, v57
	v_lshlrev_b64 v[54:55], v54, v[34:35]
	v_lshrrev_b32_e32 v56, 3, v51
	v_sub_u32_e32 v34, 29, v57
	v_and_b32_e32 v54, 7, v54
	v_cmp_gt_u32_e32 vcc, 8, v51
	v_cndmask_b32_e32 v34, v56, v34, vcc
	v_cndmask_b32_e32 v51, v53, v54, vcc
	v_lshlrev_b32_e32 v53, 16, v35
	v_bfrev_b32_e32 v54, 60
	v_lshlrev_b32_e32 v51, 20, v51
	v_and_b32_e32 v53, 0x80000000, v53
	v_lshl_add_u32 v34, v34, 23, v54
	v_or3_b32 v53, v53, v34, v51
.LBB569_237:
	s_or_b64 exec, exec, s[10:11]
.LBB569_238:
	s_or_b64 exec, exec, s[8:9]
.LBB569_239:
	s_or_b64 exec, exec, s[2:3]
	s_movk_i32 s2, 0xff
	v_and_b32_sdwa v51, v35, s2 dst_sel:DWORD dst_unused:UNUSED_PAD src0_sel:WORD_1 src1_sel:DWORD
	v_lshrrev_b32_e32 v34, 16, v35
	v_cmp_ne_u16_e32 vcc, 0, v51
	s_and_saveexec_b64 s[2:3], vcc
	s_cbranch_execz .LBB569_245
; %bb.240:
	s_movk_i32 s8, 0x80
	v_cmp_ne_u16_e32 vcc, s8, v51
	v_bfrev_b32_e32 v42, 1
	s_and_saveexec_b64 s[8:9], vcc
	s_cbranch_execz .LBB569_244
; %bb.241:
	v_bfe_u32 v51, v35, 16, 7
	s_movk_i32 s10, 0x7f
	v_cmp_ne_u32_e32 vcc, s10, v51
	v_mov_b32_e32 v42, 0x7f800001
	s_and_saveexec_b64 s[10:11], vcc
	s_cbranch_execz .LBB569_243
; %bb.242:
	v_and_b32_e32 v42, 7, v34
	v_ffbh_u32_e32 v54, v42
	v_min_u32_e32 v57, 32, v54
	v_subrev_u32_e32 v54, 28, v57
	v_lshlrev_b64 v[54:55], v54, v[34:35]
	v_lshrrev_b32_e32 v56, 3, v51
	v_sub_u32_e32 v34, 29, v57
	v_and_b32_e32 v54, 7, v54
	v_cmp_gt_u32_e32 vcc, 8, v51
	v_mov_b32_e32 v51, 24
	v_cndmask_b32_e32 v34, v56, v34, vcc
	v_cndmask_b32_e32 v42, v42, v54, vcc
	v_lshlrev_b32_sdwa v51, v51, v35 dst_sel:DWORD dst_unused:UNUSED_PAD src0_sel:DWORD src1_sel:WORD_1
	v_bfrev_b32_e32 v54, 60
	v_lshlrev_b32_e32 v42, 20, v42
	v_and_b32_e32 v51, 0x80000000, v51
	v_lshl_add_u32 v34, v34, 23, v54
	v_or3_b32 v42, v51, v34, v42
.LBB569_243:
	s_or_b64 exec, exec, s[10:11]
.LBB569_244:
	s_or_b64 exec, exec, s[8:9]
.LBB569_245:
	s_or_b64 exec, exec, s[2:3]
	s_mov_b32 s2, 0xffffff
	v_cmp_lt_u32_e32 vcc, s2, v35
	v_mov_b32_e32 v51, 0
	v_mov_b32_e32 v54, 0
	s_and_saveexec_b64 s[2:3], vcc
	s_cbranch_execz .LBB569_251
; %bb.246:
	v_lshrrev_b32_e32 v34, 24, v35
	s_movk_i32 s8, 0x80
	v_cmp_ne_u32_e32 vcc, s8, v34
	v_bfrev_b32_e32 v54, 1
	s_and_saveexec_b64 s[8:9], vcc
	s_cbranch_execz .LBB569_250
; %bb.247:
	v_bfe_u32 v35, v35, 24, 7
	s_movk_i32 s10, 0x7f
	v_cmp_ne_u32_e32 vcc, s10, v35
	v_mov_b32_e32 v54, 0x7f800001
	s_and_saveexec_b64 s[10:11], vcc
	s_cbranch_execz .LBB569_249
; %bb.248:
	v_and_b32_e32 v56, 7, v34
	v_ffbh_u32_e32 v54, v56
	v_min_u32_e32 v58, 32, v54
	v_subrev_u32_e32 v54, 28, v58
	v_lshlrev_b64 v[54:55], v54, v[34:35]
	v_lshrrev_b32_e32 v57, 3, v35
	v_sub_u32_e32 v55, 29, v58
	v_and_b32_e32 v54, 7, v54
	v_cmp_gt_u32_e32 vcc, 8, v35
	v_cndmask_b32_e32 v35, v57, v55, vcc
	v_cndmask_b32_e32 v54, v56, v54, vcc
	v_lshlrev_b32_e32 v34, 24, v34
	v_bfrev_b32_e32 v55, 60
	v_lshlrev_b32_e32 v54, 20, v54
	v_and_b32_e32 v34, 0x80000000, v34
	v_lshl_add_u32 v35, v35, 23, v55
	v_or3_b32 v54, v34, v35, v54
.LBB569_249:
	s_or_b64 exec, exec, s[10:11]
.LBB569_250:
	s_or_b64 exec, exec, s[8:9]
.LBB569_251:
	s_or_b64 exec, exec, s[2:3]
	v_cvt_pkrtz_f16_f32 v34, v50, v44
	v_cvt_pkrtz_f16_f32 v35, v43, v52
	v_cmp_ne_u16_sdwa s[8:9], v36, v51 src0_sel:BYTE_0 src1_sel:DWORD
	s_nop 0
	v_mfma_f32_16x16x16f16 v[56:59], v[34:35], v[26:27], 0
	v_cvt_pkrtz_f16_f32 v34, v45, v53
	v_cvt_pkrtz_f16_f32 v35, v42, v54
	s_nop 1
	v_mfma_f32_16x16x16f16 v[42:45], v[34:35], v[28:29], v[56:59]
	s_and_saveexec_b64 s[2:3], s[8:9]
	s_cbranch_execz .LBB569_257
; %bb.252:
	s_movk_i32 s8, 0x80
	v_cmp_ne_u16_sdwa s[10:11], v36, s8 src0_sel:BYTE_0 src1_sel:DWORD
	v_bfrev_b32_e32 v51, 1
	s_and_saveexec_b64 s[8:9], s[10:11]
	s_cbranch_execz .LBB569_256
; %bb.253:
	s_movk_i32 s10, 0x7f
	v_and_b32_e32 v34, 0x7f, v36
	v_cmp_ne_u32_e32 vcc, s10, v34
	v_mov_b32_e32 v51, 0x7f800001
	s_and_saveexec_b64 s[10:11], vcc
	s_cbranch_execz .LBB569_255
; %bb.254:
	v_and_b32_e32 v35, 7, v36
	v_ffbh_u32_e32 v50, v35
	v_min_u32_e32 v53, 32, v50
	v_subrev_u32_e32 v50, 28, v53
	v_lshlrev_b64 v[50:51], v50, v[36:37]
	v_lshrrev_b32_e32 v52, 3, v34
	v_sub_u32_e32 v51, 29, v53
	v_and_b32_e32 v50, 7, v50
	v_cmp_gt_u32_e32 vcc, 8, v34
	v_cndmask_b32_e32 v34, v52, v51, vcc
	v_cndmask_b32_e32 v35, v35, v50, vcc
	v_lshlrev_b32_e32 v50, 24, v36
	v_bfrev_b32_e32 v51, 60
	v_lshlrev_b32_e32 v35, 20, v35
	v_and_b32_e32 v50, 0x80000000, v50
	v_lshl_add_u32 v34, v34, 23, v51
	v_or3_b32 v51, v50, v34, v35
.LBB569_255:
	s_or_b64 exec, exec, s[10:11]
.LBB569_256:
	s_or_b64 exec, exec, s[8:9]
.LBB569_257:
	s_or_b64 exec, exec, s[2:3]
	v_lshrrev_b16_e32 v34, 8, v36
	v_cmp_ne_u16_e32 vcc, 0, v34
	v_mov_b32_e32 v35, 0
	v_mov_b32_e32 v52, 0
	s_and_saveexec_b64 s[2:3], vcc
	s_cbranch_execz .LBB569_263
; %bb.258:
	s_movk_i32 s8, 0x80
	v_cmp_ne_u16_e32 vcc, s8, v34
	v_bfrev_b32_e32 v52, 1
	s_and_saveexec_b64 s[8:9], vcc
	s_cbranch_execz .LBB569_262
; %bb.259:
	s_movk_i32 s10, 0x7f
	v_and_b32_e32 v50, 0x7f, v34
	v_cmp_ne_u32_e32 vcc, s10, v50
	v_mov_b32_e32 v52, 0x7f800001
	s_and_saveexec_b64 s[10:11], vcc
	s_cbranch_execz .LBB569_261
; %bb.260:
	v_and_b32_e32 v54, 7, v34
	v_ffbh_u32_e32 v52, v54
	v_min_u32_e32 v56, 32, v52
	v_subrev_u32_e32 v52, 28, v56
	v_lshlrev_b64 v[52:53], v52, v[34:35]
	v_lshrrev_b32_e32 v55, 3, v50
	v_sub_u32_e32 v34, 29, v56
	v_and_b32_e32 v52, 7, v52
	v_cmp_gt_u32_e32 vcc, 8, v50
	v_cndmask_b32_e32 v34, v55, v34, vcc
	v_cndmask_b32_e32 v50, v54, v52, vcc
	v_lshlrev_b32_e32 v52, 16, v36
	v_bfrev_b32_e32 v53, 60
	v_lshlrev_b32_e32 v50, 20, v50
	v_and_b32_e32 v52, 0x80000000, v52
	v_lshl_add_u32 v34, v34, 23, v53
	v_or3_b32 v52, v52, v34, v50
.LBB569_261:
	s_or_b64 exec, exec, s[10:11]
.LBB569_262:
	s_or_b64 exec, exec, s[8:9]
.LBB569_263:
	s_or_b64 exec, exec, s[2:3]
	s_movk_i32 s2, 0xff
	v_and_b32_sdwa v50, v36, s2 dst_sel:DWORD dst_unused:UNUSED_PAD src0_sel:WORD_1 src1_sel:DWORD
	v_lshrrev_b32_e32 v34, 16, v36
	v_cmp_ne_u16_e32 vcc, 0, v50
	s_and_saveexec_b64 s[2:3], vcc
	s_cbranch_execz .LBB569_269
; %bb.264:
	s_movk_i32 s8, 0x80
	v_cmp_ne_u16_e32 vcc, s8, v50
	v_bfrev_b32_e32 v35, 1
	s_and_saveexec_b64 s[8:9], vcc
	s_cbranch_execz .LBB569_268
; %bb.265:
	v_bfe_u32 v50, v36, 16, 7
	s_movk_i32 s10, 0x7f
	v_cmp_ne_u32_e32 vcc, s10, v50
	v_mov_b32_e32 v35, 0x7f800001
	s_and_saveexec_b64 s[10:11], vcc
	s_cbranch_execz .LBB569_267
; %bb.266:
	v_and_b32_e32 v53, 7, v34
	v_ffbh_u32_e32 v35, v53
	v_min_u32_e32 v55, 32, v35
	v_subrev_u32_e32 v35, 28, v55
	v_lshlrev_b64 v[34:35], v35, v[34:35]
	v_lshrrev_b32_e32 v54, 3, v50
	v_sub_u32_e32 v35, 29, v55
	v_and_b32_e32 v34, 7, v34
	v_cmp_gt_u32_e32 vcc, 8, v50
	v_mov_b32_e32 v50, 24
	v_cndmask_b32_e32 v35, v54, v35, vcc
	v_cndmask_b32_e32 v34, v53, v34, vcc
	v_lshlrev_b32_sdwa v50, v50, v36 dst_sel:DWORD dst_unused:UNUSED_PAD src0_sel:DWORD src1_sel:WORD_1
	v_bfrev_b32_e32 v53, 60
	v_lshlrev_b32_e32 v34, 20, v34
	v_and_b32_e32 v50, 0x80000000, v50
	v_lshl_add_u32 v35, v35, 23, v53
	v_or3_b32 v35, v50, v35, v34
.LBB569_267:
	s_or_b64 exec, exec, s[10:11]
.LBB569_268:
	s_or_b64 exec, exec, s[8:9]
.LBB569_269:
	s_or_b64 exec, exec, s[2:3]
	s_mov_b32 s2, 0xffffff
	v_cmp_lt_u32_e32 vcc, s2, v36
	v_mov_b32_e32 v53, 0
	v_mov_b32_e32 v54, 0
	s_and_saveexec_b64 s[2:3], vcc
	s_cbranch_execz .LBB569_275
; %bb.270:
	v_lshrrev_b32_e32 v34, 24, v36
	s_movk_i32 s8, 0x80
	v_cmp_ne_u32_e32 vcc, s8, v34
	v_bfrev_b32_e32 v54, 1
	s_and_saveexec_b64 s[8:9], vcc
	s_cbranch_execz .LBB569_274
; %bb.271:
	v_bfe_u32 v36, v36, 24, 7
	s_movk_i32 s10, 0x7f
	v_cmp_ne_u32_e32 vcc, s10, v36
	v_mov_b32_e32 v54, 0x7f800001
	s_and_saveexec_b64 s[10:11], vcc
	s_cbranch_execz .LBB569_273
; %bb.272:
	v_and_b32_e32 v50, 7, v34
	v_ffbh_u32_e32 v54, v50
	v_min_u32_e32 v57, 32, v54
	v_subrev_u32_e32 v54, 28, v57
	v_lshlrev_b64 v[54:55], v54, v[34:35]
	v_lshrrev_b32_e32 v56, 3, v36
	v_sub_u32_e32 v55, 29, v57
	v_and_b32_e32 v54, 7, v54
	v_cmp_gt_u32_e32 vcc, 8, v36
	v_cndmask_b32_e32 v36, v56, v55, vcc
	v_cndmask_b32_e32 v50, v50, v54, vcc
	v_lshlrev_b32_e32 v34, 24, v34
	v_bfrev_b32_e32 v54, 60
	v_lshlrev_b32_e32 v50, 20, v50
	v_and_b32_e32 v34, 0x80000000, v34
	v_lshl_add_u32 v36, v36, 23, v54
	v_or3_b32 v54, v34, v36, v50
.LBB569_273:
	s_or_b64 exec, exec, s[10:11]
.LBB569_274:
	s_or_b64 exec, exec, s[8:9]
.LBB569_275:
	s_or_b64 exec, exec, s[2:3]
	v_cmp_ne_u16_sdwa s[8:9], v37, v53 src0_sel:BYTE_0 src1_sel:DWORD
	s_and_saveexec_b64 s[2:3], s[8:9]
	s_cbranch_execz .LBB569_281
; %bb.276:
	s_movk_i32 s8, 0x80
	v_cmp_ne_u16_sdwa s[10:11], v37, s8 src0_sel:BYTE_0 src1_sel:DWORD
	v_bfrev_b32_e32 v53, 1
	s_and_saveexec_b64 s[8:9], s[10:11]
	s_cbranch_execz .LBB569_280
; %bb.277:
	s_movk_i32 s10, 0x7f
	v_and_b32_e32 v34, 0x7f, v37
	v_cmp_ne_u32_e32 vcc, s10, v34
	v_mov_b32_e32 v53, 0x7f800001
	s_and_saveexec_b64 s[10:11], vcc
	s_cbranch_execz .LBB569_279
; %bb.278:
	v_and_b32_e32 v50, 7, v37
	v_ffbh_u32_e32 v55, v50
	v_min_u32_e32 v55, 32, v55
	v_mov_b32_e32 v36, v37
	v_subrev_u32_e32 v56, 28, v55
	v_lshlrev_b64 v[56:57], v56, v[36:37]
	v_lshrrev_b32_e32 v53, 3, v34
	v_sub_u32_e32 v36, 29, v55
	v_and_b32_e32 v55, 7, v56
	v_cmp_gt_u32_e32 vcc, 8, v34
	v_cndmask_b32_e32 v34, v53, v36, vcc
	v_cndmask_b32_e32 v36, v50, v55, vcc
	v_lshlrev_b32_e32 v50, 24, v37
	v_bfrev_b32_e32 v53, 60
	v_lshlrev_b32_e32 v36, 20, v36
	v_and_b32_e32 v50, 0x80000000, v50
	v_lshl_add_u32 v34, v34, 23, v53
	v_or3_b32 v53, v50, v34, v36
.LBB569_279:
	s_or_b64 exec, exec, s[10:11]
.LBB569_280:
	s_or_b64 exec, exec, s[8:9]
.LBB569_281:
	s_or_b64 exec, exec, s[2:3]
	v_lshrrev_b16_e32 v34, 8, v37
	v_cmp_ne_u16_e32 vcc, 0, v34
	v_mov_b32_e32 v36, 0
	v_mov_b32_e32 v55, 0
	s_and_saveexec_b64 s[2:3], vcc
	s_cbranch_execz .LBB569_287
; %bb.282:
	s_movk_i32 s8, 0x80
	v_cmp_ne_u16_e32 vcc, s8, v34
	v_bfrev_b32_e32 v55, 1
	s_and_saveexec_b64 s[8:9], vcc
	s_cbranch_execz .LBB569_286
; %bb.283:
	s_movk_i32 s10, 0x7f
	v_and_b32_e32 v50, 0x7f, v34
	v_cmp_ne_u32_e32 vcc, s10, v50
	v_mov_b32_e32 v55, 0x7f800001
	s_and_saveexec_b64 s[10:11], vcc
	s_cbranch_execz .LBB569_285
; %bb.284:
	v_and_b32_e32 v55, 7, v34
	v_ffbh_u32_e32 v56, v55
	v_min_u32_e32 v59, 32, v56
	v_subrev_u32_e32 v56, 28, v59
	v_lshlrev_b64 v[56:57], v56, v[34:35]
	v_lshrrev_b32_e32 v58, 3, v50
	v_sub_u32_e32 v34, 29, v59
	v_and_b32_e32 v56, 7, v56
	v_cmp_gt_u32_e32 vcc, 8, v50
	v_cndmask_b32_e32 v34, v58, v34, vcc
	v_cndmask_b32_e32 v50, v55, v56, vcc
	v_lshlrev_b32_e32 v55, 16, v37
	v_bfrev_b32_e32 v56, 60
	v_lshlrev_b32_e32 v50, 20, v50
	v_and_b32_e32 v55, 0x80000000, v55
	v_lshl_add_u32 v34, v34, 23, v56
	v_or3_b32 v55, v55, v34, v50
.LBB569_285:
	s_or_b64 exec, exec, s[10:11]
.LBB569_286:
	s_or_b64 exec, exec, s[8:9]
.LBB569_287:
	s_or_b64 exec, exec, s[2:3]
	s_movk_i32 s2, 0xff
	v_and_b32_sdwa v50, v37, s2 dst_sel:DWORD dst_unused:UNUSED_PAD src0_sel:WORD_1 src1_sel:DWORD
	v_lshrrev_b32_e32 v34, 16, v37
	v_cmp_ne_u16_e32 vcc, 0, v50
	s_and_saveexec_b64 s[2:3], vcc
	s_cbranch_execz .LBB569_293
; %bb.288:
	s_movk_i32 s8, 0x80
	v_cmp_ne_u16_e32 vcc, s8, v50
	v_bfrev_b32_e32 v36, 1
	s_and_saveexec_b64 s[8:9], vcc
	s_cbranch_execz .LBB569_292
; %bb.289:
	v_bfe_u32 v50, v37, 16, 7
	s_movk_i32 s10, 0x7f
	v_cmp_ne_u32_e32 vcc, s10, v50
	v_mov_b32_e32 v36, 0x7f800001
	s_and_saveexec_b64 s[10:11], vcc
	s_cbranch_execz .LBB569_291
; %bb.290:
	v_and_b32_e32 v36, 7, v34
	v_ffbh_u32_e32 v56, v36
	v_min_u32_e32 v59, 32, v56
	v_subrev_u32_e32 v56, 28, v59
	v_lshlrev_b64 v[56:57], v56, v[34:35]
	v_lshrrev_b32_e32 v58, 3, v50
	v_sub_u32_e32 v34, 29, v59
	v_and_b32_e32 v56, 7, v56
	v_cmp_gt_u32_e32 vcc, 8, v50
	v_mov_b32_e32 v50, 24
	v_cndmask_b32_e32 v34, v58, v34, vcc
	v_cndmask_b32_e32 v36, v36, v56, vcc
	v_lshlrev_b32_sdwa v50, v50, v37 dst_sel:DWORD dst_unused:UNUSED_PAD src0_sel:DWORD src1_sel:WORD_1
	v_bfrev_b32_e32 v56, 60
	v_lshlrev_b32_e32 v36, 20, v36
	v_and_b32_e32 v50, 0x80000000, v50
	v_lshl_add_u32 v34, v34, 23, v56
	v_or3_b32 v36, v50, v34, v36
.LBB569_291:
	s_or_b64 exec, exec, s[10:11]
.LBB569_292:
	s_or_b64 exec, exec, s[8:9]
.LBB569_293:
	s_or_b64 exec, exec, s[2:3]
	s_mov_b32 s2, 0xffffff
	v_cmp_lt_u32_e32 vcc, s2, v37
	v_mov_b32_e32 v50, 0
	v_mov_b32_e32 v56, 0
	s_and_saveexec_b64 s[2:3], vcc
	s_cbranch_execz .LBB569_299
; %bb.294:
	v_lshrrev_b32_e32 v34, 24, v37
	s_movk_i32 s8, 0x80
	v_cmp_ne_u32_e32 vcc, s8, v34
	v_bfrev_b32_e32 v56, 1
	s_and_saveexec_b64 s[8:9], vcc
	s_cbranch_execz .LBB569_298
; %bb.295:
	v_bfe_u32 v37, v37, 24, 7
	s_movk_i32 s10, 0x7f
	v_cmp_ne_u32_e32 vcc, s10, v37
	v_mov_b32_e32 v56, 0x7f800001
	s_and_saveexec_b64 s[10:11], vcc
	s_cbranch_execz .LBB569_297
; %bb.296:
	v_and_b32_e32 v58, 7, v34
	v_ffbh_u32_e32 v56, v58
	v_min_u32_e32 v60, 32, v56
	v_subrev_u32_e32 v56, 28, v60
	v_lshlrev_b64 v[56:57], v56, v[34:35]
	v_lshrrev_b32_e32 v59, 3, v37
	v_sub_u32_e32 v57, 29, v60
	v_and_b32_e32 v56, 7, v56
	v_cmp_gt_u32_e32 vcc, 8, v37
	v_cndmask_b32_e32 v37, v59, v57, vcc
	v_cndmask_b32_e32 v56, v58, v56, vcc
	v_lshlrev_b32_e32 v34, 24, v34
	v_bfrev_b32_e32 v57, 60
	v_lshlrev_b32_e32 v56, 20, v56
	v_and_b32_e32 v34, 0x80000000, v34
	v_lshl_add_u32 v37, v37, 23, v57
	v_or3_b32 v56, v34, v37, v56
.LBB569_297:
	s_or_b64 exec, exec, s[10:11]
.LBB569_298:
	s_or_b64 exec, exec, s[8:9]
.LBB569_299:
	s_or_b64 exec, exec, s[2:3]
	v_cvt_pkrtz_f16_f32 v34, v51, v52
	v_cvt_pkrtz_f16_f32 v35, v35, v54
	s_waitcnt vmcnt(4)
	v_cmp_ne_u16_sdwa s[8:9], v22, v50 src0_sel:BYTE_0 src1_sel:DWORD
	v_mfma_f32_16x16x16f16 v[42:45], v[34:35], v[18:19], v[42:45]
	v_cvt_pkrtz_f16_f32 v34, v53, v55
	v_cvt_pkrtz_f16_f32 v35, v36, v56
	s_nop 1
	v_mfma_f32_16x16x16f16 v[34:37], v[34:35], v[20:21], v[42:45]
	s_and_saveexec_b64 s[2:3], s[8:9]
	s_cbranch_execz .LBB569_305
; %bb.300:
	s_movk_i32 s8, 0x80
	v_cmp_ne_u16_sdwa s[10:11], v22, s8 src0_sel:BYTE_0 src1_sel:DWORD
	v_bfrev_b32_e32 v50, 1
	s_and_saveexec_b64 s[8:9], s[10:11]
	s_cbranch_execz .LBB569_304
; %bb.301:
	s_movk_i32 s10, 0x7f
	v_and_b32_e32 v42, 0x7f, v22
	v_cmp_ne_u32_e32 vcc, s10, v42
	v_mov_b32_e32 v50, 0x7f800001
	s_and_saveexec_b64 s[10:11], vcc
	s_cbranch_execz .LBB569_303
; %bb.302:
	v_and_b32_e32 v43, 7, v22
	v_ffbh_u32_e32 v44, v43
	v_min_u32_e32 v51, 32, v44
	v_subrev_u32_e32 v44, 28, v51
	v_lshlrev_b64 v[44:45], v44, v[22:23]
	v_lshrrev_b32_e32 v50, 3, v42
	v_sub_u32_e32 v45, 29, v51
	v_and_b32_e32 v44, 7, v44
	v_cmp_gt_u32_e32 vcc, 8, v42
	v_cndmask_b32_e32 v42, v50, v45, vcc
	v_cndmask_b32_e32 v43, v43, v44, vcc
	v_lshlrev_b32_e32 v44, 24, v22
	v_bfrev_b32_e32 v45, 60
	v_lshlrev_b32_e32 v43, 20, v43
	v_and_b32_e32 v44, 0x80000000, v44
	v_lshl_add_u32 v42, v42, 23, v45
	v_or3_b32 v50, v44, v42, v43
.LBB569_303:
	s_or_b64 exec, exec, s[10:11]
.LBB569_304:
	s_or_b64 exec, exec, s[8:9]
.LBB569_305:
	s_or_b64 exec, exec, s[2:3]
	s_nop 3
	v_lshrrev_b16_e32 v42, 8, v22
	v_cmp_ne_u16_e32 vcc, 0, v42
	v_mov_b32_e32 v43, 0
	v_mov_b32_e32 v44, 0
	s_and_saveexec_b64 s[2:3], vcc
	s_cbranch_execz .LBB569_311
; %bb.306:
	s_movk_i32 s8, 0x80
	v_cmp_ne_u16_e32 vcc, s8, v42
	v_bfrev_b32_e32 v44, 1
	s_and_saveexec_b64 s[8:9], vcc
	s_cbranch_execz .LBB569_310
; %bb.307:
	s_movk_i32 s10, 0x7f
	v_and_b32_e32 v45, 0x7f, v42
	v_cmp_ne_u32_e32 vcc, s10, v45
	v_mov_b32_e32 v44, 0x7f800001
	s_and_saveexec_b64 s[10:11], vcc
	s_cbranch_execz .LBB569_309
; %bb.308:
	v_and_b32_e32 v44, 7, v42
	v_ffbh_u32_e32 v52, v44
	v_min_u32_e32 v54, 32, v52
	v_subrev_u32_e32 v52, 28, v54
	v_lshlrev_b64 v[52:53], v52, v[42:43]
	v_lshrrev_b32_e32 v51, 3, v45
	v_sub_u32_e32 v42, 29, v54
	v_and_b32_e32 v52, 7, v52
	v_cmp_gt_u32_e32 vcc, 8, v45
	v_cndmask_b32_e32 v42, v51, v42, vcc
	v_cndmask_b32_e32 v44, v44, v52, vcc
	v_lshlrev_b32_e32 v45, 16, v22
	v_bfrev_b32_e32 v51, 60
	v_lshlrev_b32_e32 v44, 20, v44
	v_and_b32_e32 v45, 0x80000000, v45
	v_lshl_add_u32 v42, v42, 23, v51
	v_or3_b32 v44, v45, v42, v44
.LBB569_309:
	s_or_b64 exec, exec, s[10:11]
.LBB569_310:
	s_or_b64 exec, exec, s[8:9]
.LBB569_311:
	s_or_b64 exec, exec, s[2:3]
	s_movk_i32 s2, 0xff
	v_and_b32_sdwa v45, v22, s2 dst_sel:DWORD dst_unused:UNUSED_PAD src0_sel:WORD_1 src1_sel:DWORD
	v_lshrrev_b32_e32 v42, 16, v22
	v_cmp_ne_u16_e32 vcc, 0, v45
	s_and_saveexec_b64 s[2:3], vcc
	s_cbranch_execz .LBB569_317
; %bb.312:
	s_movk_i32 s8, 0x80
	v_cmp_ne_u16_e32 vcc, s8, v45
	v_bfrev_b32_e32 v43, 1
	s_and_saveexec_b64 s[8:9], vcc
	s_cbranch_execz .LBB569_316
; %bb.313:
	v_bfe_u32 v45, v22, 16, 7
	s_movk_i32 s10, 0x7f
	v_cmp_ne_u32_e32 vcc, s10, v45
	v_mov_b32_e32 v43, 0x7f800001
	s_and_saveexec_b64 s[10:11], vcc
	s_cbranch_execz .LBB569_315
; %bb.314:
	v_and_b32_e32 v51, 7, v42
	v_ffbh_u32_e32 v43, v51
	v_min_u32_e32 v53, 32, v43
	v_subrev_u32_e32 v43, 28, v53
	v_lshlrev_b64 v[42:43], v43, v[42:43]
	v_lshrrev_b32_e32 v52, 3, v45
	v_sub_u32_e32 v43, 29, v53
	v_and_b32_e32 v42, 7, v42
	v_cmp_gt_u32_e32 vcc, 8, v45
	v_mov_b32_e32 v45, 24
	v_cndmask_b32_e32 v43, v52, v43, vcc
	v_cndmask_b32_e32 v42, v51, v42, vcc
	v_lshlrev_b32_sdwa v45, v45, v22 dst_sel:DWORD dst_unused:UNUSED_PAD src0_sel:DWORD src1_sel:WORD_1
	v_bfrev_b32_e32 v51, 60
	v_lshlrev_b32_e32 v42, 20, v42
	v_and_b32_e32 v45, 0x80000000, v45
	v_lshl_add_u32 v43, v43, 23, v51
	v_or3_b32 v43, v45, v43, v42
.LBB569_315:
	s_or_b64 exec, exec, s[10:11]
.LBB569_316:
	s_or_b64 exec, exec, s[8:9]
.LBB569_317:
	s_or_b64 exec, exec, s[2:3]
	s_mov_b32 s2, 0xffffff
	v_cmp_lt_u32_e32 vcc, s2, v22
	v_mov_b32_e32 v45, 0
	v_mov_b32_e32 v51, 0
	s_and_saveexec_b64 s[2:3], vcc
	s_cbranch_execz .LBB569_323
; %bb.318:
	v_lshrrev_b32_e32 v42, 24, v22
	s_movk_i32 s8, 0x80
	v_cmp_ne_u32_e32 vcc, s8, v42
	v_bfrev_b32_e32 v51, 1
	s_and_saveexec_b64 s[8:9], vcc
	s_cbranch_execz .LBB569_322
; %bb.319:
	v_bfe_u32 v22, v22, 24, 7
	s_movk_i32 s10, 0x7f
	v_cmp_ne_u32_e32 vcc, s10, v22
	v_mov_b32_e32 v51, 0x7f800001
	s_and_saveexec_b64 s[10:11], vcc
	s_cbranch_execz .LBB569_321
; %bb.320:
	v_and_b32_e32 v51, 7, v42
	v_ffbh_u32_e32 v52, v51
	v_min_u32_e32 v55, 32, v52
	v_subrev_u32_e32 v52, 28, v55
	v_lshlrev_b64 v[52:53], v52, v[42:43]
	v_lshrrev_b32_e32 v54, 3, v22
	v_sub_u32_e32 v53, 29, v55
	v_and_b32_e32 v52, 7, v52
	v_cmp_gt_u32_e32 vcc, 8, v22
	v_cndmask_b32_e32 v22, v54, v53, vcc
	v_cndmask_b32_e32 v51, v51, v52, vcc
	v_lshlrev_b32_e32 v42, 24, v42
	v_bfrev_b32_e32 v52, 60
	v_lshlrev_b32_e32 v51, 20, v51
	v_and_b32_e32 v42, 0x80000000, v42
	v_lshl_add_u32 v22, v22, 23, v52
	v_or3_b32 v51, v42, v22, v51
.LBB569_321:
	s_or_b64 exec, exec, s[10:11]
.LBB569_322:
	s_or_b64 exec, exec, s[8:9]
.LBB569_323:
	s_or_b64 exec, exec, s[2:3]
	v_cmp_ne_u16_sdwa s[8:9], v23, v45 src0_sel:BYTE_0 src1_sel:DWORD
	s_and_saveexec_b64 s[2:3], s[8:9]
	s_cbranch_execz .LBB569_329
; %bb.324:
	s_movk_i32 s8, 0x80
	v_cmp_ne_u16_sdwa s[10:11], v23, s8 src0_sel:BYTE_0 src1_sel:DWORD
	v_bfrev_b32_e32 v45, 1
	s_and_saveexec_b64 s[8:9], s[10:11]
	s_cbranch_execz .LBB569_328
; %bb.325:
	s_movk_i32 s10, 0x7f
	v_and_b32_e32 v22, 0x7f, v23
	v_cmp_ne_u32_e32 vcc, s10, v22
	v_mov_b32_e32 v45, 0x7f800001
	s_and_saveexec_b64 s[10:11], vcc
	s_cbranch_execz .LBB569_327
; %bb.326:
	v_and_b32_e32 v45, 7, v23
	v_ffbh_u32_e32 v52, v45
	v_min_u32_e32 v55, 32, v52
	v_mov_b32_e32 v42, v23
	v_subrev_u32_e32 v52, 28, v55
	v_lshlrev_b64 v[52:53], v52, v[42:43]
	v_lshrrev_b32_e32 v54, 3, v22
	v_sub_u32_e32 v42, 29, v55
	v_and_b32_e32 v52, 7, v52
	v_cmp_gt_u32_e32 vcc, 8, v22
	v_cndmask_b32_e32 v22, v54, v42, vcc
	v_cndmask_b32_e32 v42, v45, v52, vcc
	v_lshlrev_b32_e32 v45, 24, v23
	v_bfrev_b32_e32 v52, 60
	v_lshlrev_b32_e32 v42, 20, v42
	v_and_b32_e32 v45, 0x80000000, v45
	v_lshl_add_u32 v22, v22, 23, v52
	v_or3_b32 v45, v45, v22, v42
.LBB569_327:
	s_or_b64 exec, exec, s[10:11]
.LBB569_328:
	s_or_b64 exec, exec, s[8:9]
.LBB569_329:
	s_or_b64 exec, exec, s[2:3]
	v_lshrrev_b16_e32 v22, 8, v23
	v_cmp_ne_u16_e32 vcc, 0, v22
	v_mov_b32_e32 v52, 0
	v_mov_b32_e32 v53, 0
	s_and_saveexec_b64 s[2:3], vcc
	s_cbranch_execz .LBB569_335
; %bb.330:
	s_movk_i32 s8, 0x80
	v_cmp_ne_u16_e32 vcc, s8, v22
	v_bfrev_b32_e32 v53, 1
	s_and_saveexec_b64 s[8:9], vcc
	s_cbranch_execz .LBB569_334
; %bb.331:
	s_movk_i32 s10, 0x7f
	v_and_b32_e32 v42, 0x7f, v22
	v_cmp_ne_u32_e32 vcc, s10, v42
	v_mov_b32_e32 v53, 0x7f800001
	s_and_saveexec_b64 s[10:11], vcc
	s_cbranch_execz .LBB569_333
; %bb.332:
	v_and_b32_e32 v53, 7, v22
	v_ffbh_u32_e32 v54, v53
	v_min_u32_e32 v57, 32, v54
	v_subrev_u32_e32 v54, 28, v57
	v_lshlrev_b64 v[54:55], v54, v[22:23]
	v_lshrrev_b32_e32 v56, 3, v42
	v_sub_u32_e32 v22, 29, v57
	v_and_b32_e32 v54, 7, v54
	v_cmp_gt_u32_e32 vcc, 8, v42
	v_cndmask_b32_e32 v22, v56, v22, vcc
	v_cndmask_b32_e32 v42, v53, v54, vcc
	v_lshlrev_b32_e32 v53, 16, v23
	v_bfrev_b32_e32 v54, 60
	v_lshlrev_b32_e32 v42, 20, v42
	v_and_b32_e32 v53, 0x80000000, v53
	v_lshl_add_u32 v22, v22, 23, v54
	v_or3_b32 v53, v53, v22, v42
.LBB569_333:
	s_or_b64 exec, exec, s[10:11]
.LBB569_334:
	s_or_b64 exec, exec, s[8:9]
.LBB569_335:
	s_or_b64 exec, exec, s[2:3]
	s_movk_i32 s2, 0xff
	v_and_b32_sdwa v42, v23, s2 dst_sel:DWORD dst_unused:UNUSED_PAD src0_sel:WORD_1 src1_sel:DWORD
	v_lshrrev_b32_e32 v22, 16, v23
	v_cmp_ne_u16_e32 vcc, 0, v42
	s_and_saveexec_b64 s[2:3], vcc
	s_cbranch_execz .LBB569_341
; %bb.336:
	s_movk_i32 s8, 0x80
	v_cmp_ne_u16_e32 vcc, s8, v42
	v_bfrev_b32_e32 v52, 1
	s_and_saveexec_b64 s[8:9], vcc
	s_cbranch_execz .LBB569_340
; %bb.337:
	v_bfe_u32 v42, v23, 16, 7
	s_movk_i32 s10, 0x7f
	v_cmp_ne_u32_e32 vcc, s10, v42
	v_mov_b32_e32 v52, 0x7f800001
	s_and_saveexec_b64 s[10:11], vcc
	s_cbranch_execz .LBB569_339
; %bb.338:
	v_and_b32_e32 v52, 7, v22
	v_ffbh_u32_e32 v54, v52
	v_min_u32_e32 v57, 32, v54
	v_subrev_u32_e32 v54, 28, v57
	v_lshlrev_b64 v[54:55], v54, v[22:23]
	v_and_b32_e32 v54, 7, v54
	v_cmp_gt_u32_e32 vcc, 8, v42
	v_lshrrev_b32_e32 v56, 3, v42
	v_sub_u32_e32 v22, 29, v57
	v_cndmask_b32_e32 v42, v52, v54, vcc
	v_mov_b32_e32 v52, 24
	v_cndmask_b32_e32 v22, v56, v22, vcc
	v_lshlrev_b32_sdwa v52, v52, v23 dst_sel:DWORD dst_unused:UNUSED_PAD src0_sel:DWORD src1_sel:WORD_1
	v_bfrev_b32_e32 v54, 60
	v_lshlrev_b32_e32 v42, 20, v42
	v_and_b32_e32 v52, 0x80000000, v52
	v_lshl_add_u32 v22, v22, 23, v54
	v_or3_b32 v52, v52, v22, v42
.LBB569_339:
	s_or_b64 exec, exec, s[10:11]
.LBB569_340:
	s_or_b64 exec, exec, s[8:9]
.LBB569_341:
	s_or_b64 exec, exec, s[2:3]
	s_mov_b32 s2, 0xffffff
	v_cmp_lt_u32_e32 vcc, s2, v23
	v_mov_b32_e32 v42, 0
	v_mov_b32_e32 v54, 0
	s_and_saveexec_b64 s[2:3], vcc
	s_cbranch_execz .LBB569_347
; %bb.342:
	v_lshrrev_b32_e32 v22, 24, v23
	s_movk_i32 s8, 0x80
	v_cmp_ne_u32_e32 vcc, s8, v22
	v_bfrev_b32_e32 v54, 1
	s_and_saveexec_b64 s[8:9], vcc
	s_cbranch_execz .LBB569_346
; %bb.343:
	v_bfe_u32 v23, v23, 24, 7
	s_movk_i32 s10, 0x7f
	v_cmp_ne_u32_e32 vcc, s10, v23
	v_mov_b32_e32 v54, 0x7f800001
	s_and_saveexec_b64 s[10:11], vcc
	s_cbranch_execz .LBB569_345
; %bb.344:
	v_and_b32_e32 v56, 7, v22
	v_ffbh_u32_e32 v54, v56
	v_min_u32_e32 v58, 32, v54
	v_subrev_u32_e32 v54, 28, v58
	v_lshlrev_b64 v[54:55], v54, v[22:23]
	v_lshrrev_b32_e32 v57, 3, v23
	v_sub_u32_e32 v55, 29, v58
	v_and_b32_e32 v54, 7, v54
	v_cmp_gt_u32_e32 vcc, 8, v23
	v_cndmask_b32_e32 v23, v57, v55, vcc
	v_cndmask_b32_e32 v54, v56, v54, vcc
	v_lshlrev_b32_e32 v22, 24, v22
	v_bfrev_b32_e32 v55, 60
	v_lshlrev_b32_e32 v54, 20, v54
	v_and_b32_e32 v22, 0x80000000, v22
	v_lshl_add_u32 v23, v23, 23, v55
	v_or3_b32 v54, v22, v23, v54
.LBB569_345:
	s_or_b64 exec, exec, s[10:11]
.LBB569_346:
	s_or_b64 exec, exec, s[8:9]
.LBB569_347:
	s_or_b64 exec, exec, s[2:3]
	v_cvt_pkrtz_f16_f32 v22, v50, v44
	v_cvt_pkrtz_f16_f32 v23, v43, v51
	v_cmp_ne_u16_sdwa s[8:9], v24, v42 src0_sel:BYTE_0 src1_sel:DWORD
	s_nop 0
	v_mfma_f32_16x16x16f16 v[56:59], v[22:23], v[26:27], 0
	v_cvt_pkrtz_f16_f32 v22, v45, v53
	v_cvt_pkrtz_f16_f32 v23, v52, v54
	s_nop 1
	v_mfma_f32_16x16x16f16 v[26:29], v[22:23], v[28:29], v[56:59]
	s_and_saveexec_b64 s[2:3], s[8:9]
	s_cbranch_execz .LBB569_353
; %bb.348:
	s_movk_i32 s8, 0x80
	v_cmp_ne_u16_sdwa s[10:11], v24, s8 src0_sel:BYTE_0 src1_sel:DWORD
	v_bfrev_b32_e32 v42, 1
	s_and_saveexec_b64 s[8:9], s[10:11]
	s_cbranch_execz .LBB569_352
; %bb.349:
	s_movk_i32 s10, 0x7f
	v_and_b32_e32 v22, 0x7f, v24
	v_cmp_ne_u32_e32 vcc, s10, v22
	v_mov_b32_e32 v42, 0x7f800001
	s_and_saveexec_b64 s[10:11], vcc
	s_cbranch_execz .LBB569_351
; %bb.350:
	v_and_b32_e32 v23, 7, v24
	v_ffbh_u32_e32 v42, v23
	v_min_u32_e32 v45, 32, v42
	v_subrev_u32_e32 v42, 28, v45
	v_lshlrev_b64 v[42:43], v42, v[24:25]
	v_lshrrev_b32_e32 v44, 3, v22
	v_sub_u32_e32 v43, 29, v45
	v_and_b32_e32 v42, 7, v42
	v_cmp_gt_u32_e32 vcc, 8, v22
	v_cndmask_b32_e32 v22, v44, v43, vcc
	v_cndmask_b32_e32 v23, v23, v42, vcc
	v_lshlrev_b32_e32 v42, 24, v24
	v_bfrev_b32_e32 v43, 60
	v_lshlrev_b32_e32 v23, 20, v23
	v_and_b32_e32 v42, 0x80000000, v42
	v_lshl_add_u32 v22, v22, 23, v43
	v_or3_b32 v42, v42, v22, v23
.LBB569_351:
	s_or_b64 exec, exec, s[10:11]
.LBB569_352:
	s_or_b64 exec, exec, s[8:9]
.LBB569_353:
	s_or_b64 exec, exec, s[2:3]
	v_lshrrev_b16_e32 v22, 8, v24
	v_cmp_ne_u16_e32 vcc, 0, v22
	v_mov_b32_e32 v23, 0
	v_mov_b32_e32 v43, 0
	s_and_saveexec_b64 s[2:3], vcc
	s_cbranch_execz .LBB569_359
; %bb.354:
	s_movk_i32 s8, 0x80
	v_cmp_ne_u16_e32 vcc, s8, v22
	v_bfrev_b32_e32 v43, 1
	s_and_saveexec_b64 s[8:9], vcc
	s_cbranch_execz .LBB569_358
; %bb.355:
	s_movk_i32 s10, 0x7f
	v_and_b32_e32 v44, 0x7f, v22
	v_cmp_ne_u32_e32 vcc, s10, v44
	v_mov_b32_e32 v43, 0x7f800001
	s_and_saveexec_b64 s[10:11], vcc
	s_cbranch_execz .LBB569_357
; %bb.356:
	v_and_b32_e32 v43, 7, v22
	v_ffbh_u32_e32 v50, v43
	v_min_u32_e32 v52, 32, v50
	v_subrev_u32_e32 v50, 28, v52
	v_lshlrev_b64 v[50:51], v50, v[22:23]
	v_lshrrev_b32_e32 v45, 3, v44
	v_sub_u32_e32 v22, 29, v52
	v_and_b32_e32 v50, 7, v50
	v_cmp_gt_u32_e32 vcc, 8, v44
	v_cndmask_b32_e32 v22, v45, v22, vcc
	v_cndmask_b32_e32 v43, v43, v50, vcc
	v_lshlrev_b32_e32 v44, 16, v24
	v_bfrev_b32_e32 v45, 60
	v_lshlrev_b32_e32 v43, 20, v43
	v_and_b32_e32 v44, 0x80000000, v44
	v_lshl_add_u32 v22, v22, 23, v45
	v_or3_b32 v43, v44, v22, v43
.LBB569_357:
	s_or_b64 exec, exec, s[10:11]
.LBB569_358:
	s_or_b64 exec, exec, s[8:9]
.LBB569_359:
	s_or_b64 exec, exec, s[2:3]
	s_movk_i32 s2, 0xff
	v_and_b32_sdwa v44, v24, s2 dst_sel:DWORD dst_unused:UNUSED_PAD src0_sel:WORD_1 src1_sel:DWORD
	v_lshrrev_b32_e32 v22, 16, v24
	v_cmp_ne_u16_e32 vcc, 0, v44
	s_and_saveexec_b64 s[2:3], vcc
	s_cbranch_execz .LBB569_365
; %bb.360:
	s_movk_i32 s8, 0x80
	v_cmp_ne_u16_e32 vcc, s8, v44
	v_bfrev_b32_e32 v23, 1
	s_and_saveexec_b64 s[8:9], vcc
	s_cbranch_execz .LBB569_364
; %bb.361:
	v_bfe_u32 v44, v24, 16, 7
	s_movk_i32 s10, 0x7f
	v_cmp_ne_u32_e32 vcc, s10, v44
	v_mov_b32_e32 v23, 0x7f800001
	s_and_saveexec_b64 s[10:11], vcc
	s_cbranch_execz .LBB569_363
; %bb.362:
	v_and_b32_e32 v45, 7, v22
	v_ffbh_u32_e32 v23, v45
	v_min_u32_e32 v51, 32, v23
	v_subrev_u32_e32 v23, 28, v51
	v_lshlrev_b64 v[22:23], v23, v[22:23]
	v_lshrrev_b32_e32 v50, 3, v44
	v_sub_u32_e32 v23, 29, v51
	v_and_b32_e32 v22, 7, v22
	v_cmp_gt_u32_e32 vcc, 8, v44
	v_mov_b32_e32 v44, 24
	v_cndmask_b32_e32 v23, v50, v23, vcc
	v_cndmask_b32_e32 v22, v45, v22, vcc
	v_lshlrev_b32_sdwa v44, v44, v24 dst_sel:DWORD dst_unused:UNUSED_PAD src0_sel:DWORD src1_sel:WORD_1
	v_bfrev_b32_e32 v45, 60
	v_lshlrev_b32_e32 v22, 20, v22
	v_and_b32_e32 v44, 0x80000000, v44
	v_lshl_add_u32 v23, v23, 23, v45
	v_or3_b32 v23, v44, v23, v22
.LBB569_363:
	s_or_b64 exec, exec, s[10:11]
.LBB569_364:
	s_or_b64 exec, exec, s[8:9]
.LBB569_365:
	s_or_b64 exec, exec, s[2:3]
	s_mov_b32 s2, 0xffffff
	v_cmp_lt_u32_e32 vcc, s2, v24
	v_mov_b32_e32 v44, 0
	v_mov_b32_e32 v45, 0
	s_and_saveexec_b64 s[2:3], vcc
	s_cbranch_execz .LBB569_371
; %bb.366:
	v_lshrrev_b32_e32 v22, 24, v24
	s_movk_i32 s8, 0x80
	v_cmp_ne_u32_e32 vcc, s8, v22
	v_bfrev_b32_e32 v45, 1
	s_and_saveexec_b64 s[8:9], vcc
	s_cbranch_execz .LBB569_370
; %bb.367:
	v_bfe_u32 v24, v24, 24, 7
	s_movk_i32 s10, 0x7f
	v_cmp_ne_u32_e32 vcc, s10, v24
	v_mov_b32_e32 v45, 0x7f800001
	s_and_saveexec_b64 s[10:11], vcc
	s_cbranch_execz .LBB569_369
; %bb.368:
	v_and_b32_e32 v45, 7, v22
	v_ffbh_u32_e32 v50, v45
	v_min_u32_e32 v53, 32, v50
	v_subrev_u32_e32 v50, 28, v53
	v_lshlrev_b64 v[50:51], v50, v[22:23]
	v_lshrrev_b32_e32 v52, 3, v24
	v_sub_u32_e32 v51, 29, v53
	v_and_b32_e32 v50, 7, v50
	v_cmp_gt_u32_e32 vcc, 8, v24
	v_cndmask_b32_e32 v24, v52, v51, vcc
	v_cndmask_b32_e32 v45, v45, v50, vcc
	v_lshlrev_b32_e32 v22, 24, v22
	v_bfrev_b32_e32 v50, 60
	v_lshlrev_b32_e32 v45, 20, v45
	v_and_b32_e32 v22, 0x80000000, v22
	v_lshl_add_u32 v24, v24, 23, v50
	v_or3_b32 v45, v22, v24, v45
.LBB569_369:
	s_or_b64 exec, exec, s[10:11]
.LBB569_370:
	s_or_b64 exec, exec, s[8:9]
.LBB569_371:
	s_or_b64 exec, exec, s[2:3]
	v_cmp_ne_u16_sdwa s[8:9], v25, v44 src0_sel:BYTE_0 src1_sel:DWORD
	s_and_saveexec_b64 s[2:3], s[8:9]
	s_cbranch_execz .LBB569_377
; %bb.372:
	s_movk_i32 s8, 0x80
	v_cmp_ne_u16_sdwa s[10:11], v25, s8 src0_sel:BYTE_0 src1_sel:DWORD
	v_bfrev_b32_e32 v44, 1
	s_and_saveexec_b64 s[8:9], s[10:11]
	s_cbranch_execz .LBB569_376
; %bb.373:
	s_movk_i32 s10, 0x7f
	v_and_b32_e32 v22, 0x7f, v25
	v_cmp_ne_u32_e32 vcc, s10, v22
	v_mov_b32_e32 v44, 0x7f800001
	s_and_saveexec_b64 s[10:11], vcc
	s_cbranch_execz .LBB569_375
; %bb.374:
	v_and_b32_e32 v44, 7, v25
	v_ffbh_u32_e32 v50, v44
	v_min_u32_e32 v53, 32, v50
	v_mov_b32_e32 v24, v25
	v_subrev_u32_e32 v50, 28, v53
	v_lshlrev_b64 v[50:51], v50, v[24:25]
	v_lshrrev_b32_e32 v52, 3, v22
	v_sub_u32_e32 v24, 29, v53
	v_and_b32_e32 v50, 7, v50
	v_cmp_gt_u32_e32 vcc, 8, v22
	v_cndmask_b32_e32 v22, v52, v24, vcc
	v_cndmask_b32_e32 v24, v44, v50, vcc
	v_lshlrev_b32_e32 v44, 24, v25
	v_bfrev_b32_e32 v50, 60
	v_lshlrev_b32_e32 v24, 20, v24
	v_and_b32_e32 v44, 0x80000000, v44
	v_lshl_add_u32 v22, v22, 23, v50
	v_or3_b32 v44, v44, v22, v24
.LBB569_375:
	s_or_b64 exec, exec, s[10:11]
.LBB569_376:
	s_or_b64 exec, exec, s[8:9]
.LBB569_377:
	s_or_b64 exec, exec, s[2:3]
	v_lshrrev_b16_e32 v22, 8, v25
	v_cmp_ne_u16_e32 vcc, 0, v22
	v_mov_b32_e32 v24, 0
	v_mov_b32_e32 v51, 0
	s_and_saveexec_b64 s[2:3], vcc
	s_cbranch_execz .LBB569_383
; %bb.378:
	s_movk_i32 s8, 0x80
	v_cmp_ne_u16_e32 vcc, s8, v22
	v_bfrev_b32_e32 v51, 1
	s_and_saveexec_b64 s[8:9], vcc
	s_cbranch_execz .LBB569_382
; %bb.379:
	s_movk_i32 s10, 0x7f
	v_and_b32_e32 v50, 0x7f, v22
	v_cmp_ne_u32_e32 vcc, s10, v50
	v_mov_b32_e32 v51, 0x7f800001
	s_and_saveexec_b64 s[10:11], vcc
	s_cbranch_execz .LBB569_381
; %bb.380:
	v_and_b32_e32 v51, 7, v22
	v_ffbh_u32_e32 v52, v51
	v_min_u32_e32 v55, 32, v52
	v_subrev_u32_e32 v52, 28, v55
	v_lshlrev_b64 v[52:53], v52, v[22:23]
	v_lshrrev_b32_e32 v54, 3, v50
	v_sub_u32_e32 v22, 29, v55
	v_and_b32_e32 v52, 7, v52
	v_cmp_gt_u32_e32 vcc, 8, v50
	v_cndmask_b32_e32 v22, v54, v22, vcc
	v_cndmask_b32_e32 v50, v51, v52, vcc
	v_lshlrev_b32_e32 v51, 16, v25
	v_bfrev_b32_e32 v52, 60
	v_lshlrev_b32_e32 v50, 20, v50
	v_and_b32_e32 v51, 0x80000000, v51
	v_lshl_add_u32 v22, v22, 23, v52
	v_or3_b32 v51, v51, v22, v50
.LBB569_381:
	s_or_b64 exec, exec, s[10:11]
.LBB569_382:
	s_or_b64 exec, exec, s[8:9]
.LBB569_383:
	s_or_b64 exec, exec, s[2:3]
	s_movk_i32 s2, 0xff
	v_and_b32_sdwa v50, v25, s2 dst_sel:DWORD dst_unused:UNUSED_PAD src0_sel:WORD_1 src1_sel:DWORD
	v_lshrrev_b32_e32 v22, 16, v25
	v_cmp_ne_u16_e32 vcc, 0, v50
	s_and_saveexec_b64 s[2:3], vcc
	s_cbranch_execz .LBB569_389
; %bb.384:
	s_movk_i32 s8, 0x80
	v_cmp_ne_u16_e32 vcc, s8, v50
	v_bfrev_b32_e32 v24, 1
	s_and_saveexec_b64 s[8:9], vcc
	s_cbranch_execz .LBB569_388
; %bb.385:
	v_bfe_u32 v50, v25, 16, 7
	s_movk_i32 s10, 0x7f
	v_cmp_ne_u32_e32 vcc, s10, v50
	v_mov_b32_e32 v24, 0x7f800001
	s_and_saveexec_b64 s[10:11], vcc
	s_cbranch_execz .LBB569_387
; %bb.386:
	v_and_b32_e32 v24, 7, v22
	v_ffbh_u32_e32 v52, v24
	v_min_u32_e32 v55, 32, v52
	v_subrev_u32_e32 v52, 28, v55
	v_lshlrev_b64 v[52:53], v52, v[22:23]
	v_lshrrev_b32_e32 v54, 3, v50
	v_sub_u32_e32 v22, 29, v55
	v_and_b32_e32 v52, 7, v52
	v_cmp_gt_u32_e32 vcc, 8, v50
	v_mov_b32_e32 v50, 24
	v_cndmask_b32_e32 v22, v54, v22, vcc
	v_cndmask_b32_e32 v24, v24, v52, vcc
	v_lshlrev_b32_sdwa v50, v50, v25 dst_sel:DWORD dst_unused:UNUSED_PAD src0_sel:DWORD src1_sel:WORD_1
	v_bfrev_b32_e32 v52, 60
	v_lshlrev_b32_e32 v24, 20, v24
	v_and_b32_e32 v50, 0x80000000, v50
	v_lshl_add_u32 v22, v22, 23, v52
	v_or3_b32 v24, v50, v22, v24
.LBB569_387:
	s_or_b64 exec, exec, s[10:11]
.LBB569_388:
	s_or_b64 exec, exec, s[8:9]
.LBB569_389:
	s_or_b64 exec, exec, s[2:3]
	s_mov_b32 s2, 0xffffff
	v_and_b32_e32 v50, 63, v0
	v_cmp_lt_u32_e32 vcc, s2, v25
	v_mov_b32_e32 v52, 0
	s_and_saveexec_b64 s[2:3], vcc
	s_cbranch_execz .LBB569_395
; %bb.390:
	v_lshrrev_b32_e32 v22, 24, v25
	s_movk_i32 s8, 0x80
	v_cmp_ne_u32_e32 vcc, s8, v22
	v_bfrev_b32_e32 v52, 1
	s_and_saveexec_b64 s[8:9], vcc
	s_cbranch_execz .LBB569_394
; %bb.391:
	v_bfe_u32 v25, v25, 24, 7
	s_movk_i32 s10, 0x7f
	v_cmp_ne_u32_e32 vcc, s10, v25
	v_mov_b32_e32 v52, 0x7f800001
	s_and_saveexec_b64 s[10:11], vcc
	s_cbranch_execz .LBB569_393
; %bb.392:
	v_and_b32_e32 v54, 7, v22
	v_ffbh_u32_e32 v52, v54
	v_min_u32_e32 v56, 32, v52
	v_subrev_u32_e32 v52, 28, v56
	v_lshlrev_b64 v[52:53], v52, v[22:23]
	v_lshrrev_b32_e32 v55, 3, v25
	v_sub_u32_e32 v53, 29, v56
	v_and_b32_e32 v52, 7, v52
	v_cmp_gt_u32_e32 vcc, 8, v25
	v_cndmask_b32_e32 v25, v55, v53, vcc
	v_cndmask_b32_e32 v52, v54, v52, vcc
	v_lshlrev_b32_e32 v22, 24, v22
	v_bfrev_b32_e32 v53, 60
	v_lshlrev_b32_e32 v52, 20, v52
	v_and_b32_e32 v22, 0x80000000, v22
	v_lshl_add_u32 v25, v25, 23, v53
	v_or3_b32 v52, v22, v25, v52
.LBB569_393:
	s_or_b64 exec, exec, s[10:11]
.LBB569_394:
	s_or_b64 exec, exec, s[8:9]
.LBB569_395:
	s_or_b64 exec, exec, s[2:3]
	v_cvt_pkrtz_f16_f32 v42, v42, v43
	v_cvt_pkrtz_f16_f32 v43, v23, v45
	s_load_dword s2, s[4:5], 0x1c
	s_mov_b32 s46, 0xff7fffff
	s_waitcnt lgkmcnt(0)
	v_mfma_f32_16x16x16f16 v[26:29], v[42:43], v[18:19], v[26:29]
	v_cvt_pkrtz_f16_f32 v18, v44, v51
	v_cvt_pkrtz_f16_f32 v19, v24, v52
	v_and_b32_e32 v24, 0xc0, v0
	v_mov_b32_e32 v22, s2
	v_add_u32_e32 v24, s20, v24
	v_mul_f32_e32 v54, s12, v22
	v_lshl_or_b32 v42, v1, 2, v24
	v_mfma_f32_16x16x16f16 v[18:21], v[18:19], v[20:21], v[26:29]
	v_pk_mul_f32 v[22:23], v[54:55], v[36:37] op_sel_hi:[0,1]
	v_pk_mul_f32 v[36:37], v[54:55], v[40:41] op_sel_hi:[0,1]
	;; [unrolled: 1-line block ×4, first 2 shown]
	v_mov_b32_e32 v43, 0xff7fffff
	v_cmp_gt_i32_e64 s[26:27], s33, v42
	v_pk_mul_f32 v[38:39], v[54:55], v[38:39] op_sel_hi:[0,1]
	s_nop 3
	v_pk_mul_f32 v[32:33], v[54:55], v[18:19] op_sel_hi:[0,1]
	v_or_b32_e32 v19, 1, v42
	v_cmp_gt_i32_e64 s[28:29], s33, v19
	v_cndmask_b32_e64 v18, v43, v30, s[26:27]
	v_cndmask_b32_e64 v19, v43, v31, s[28:29]
	v_pk_mul_f32 v[24:25], v[54:55], v[20:21] op_sel_hi:[0,1]
	v_max3_f32 v18, v18, s46, v19
	v_or_b32_e32 v19, 2, v42
	v_or_b32_e32 v20, 3, v42
	v_cmp_gt_i32_e64 s[30:31], s33, v19
	v_cmp_gt_i32_e64 s[34:35], s33, v20
	v_cndmask_b32_e64 v19, v43, v40, s[30:31]
	v_cndmask_b32_e64 v20, v43, v41, s[34:35]
	v_max3_f32 v18, v18, v19, v20
	v_or_b32_e32 v19, 16, v42
	v_or_b32_e32 v20, 17, v42
	v_cmp_gt_i32_e64 s[36:37], s33, v19
	v_cmp_gt_i32_e64 s[38:39], s33, v20
	v_cndmask_b32_e64 v19, v43, v38, s[36:37]
	v_cndmask_b32_e64 v20, v43, v39, s[38:39]
	;; [unrolled: 7-line block ×3, first 2 shown]
	v_max3_f32 v18, v18, v19, v20
	v_or_b32_e32 v19, 32, v42
	v_or_b32_e32 v20, 33, v42
	v_pk_mul_f32 v[34:35], v[54:55], v[34:35] op_sel_hi:[0,1]
	v_cmp_gt_i32_e64 s[16:17], s33, v19
	v_cmp_gt_i32_e64 s[18:19], s33, v20
	v_cndmask_b32_e64 v19, v43, v34, s[16:17]
	v_cndmask_b32_e64 v20, v43, v35, s[18:19]
	v_max3_f32 v18, v18, v19, v20
	v_or_b32_e32 v19, 34, v42
	v_or_b32_e32 v20, 35, v42
	v_cmp_gt_i32_e64 s[12:13], s33, v19
	v_cmp_gt_i32_e64 s[14:15], s33, v20
	v_cndmask_b32_e64 v19, v43, v22, s[12:13]
	v_cndmask_b32_e64 v20, v43, v23, s[14:15]
	v_max3_f32 v18, v18, v19, v20
	v_or_b32_e32 v19, 48, v42
	v_or_b32_e32 v20, 49, v42
	;; [unrolled: 7-line block ×3, first 2 shown]
	v_cmp_gt_i32_e32 vcc, s33, v19
	v_cmp_gt_i32_e64 s[2:3], s33, v20
	v_cndmask_b32_e32 v19, v43, v24, vcc
	v_cndmask_b32_e64 v20, v43, v25, s[2:3]
	v_max3_f32 v18, v18, v19, v20
	v_mbcnt_lo_u32_b32 v19, -1, 0
	v_mbcnt_hi_u32_b32 v19, -1, v19
	v_and_b32_e32 v20, 64, v19
	v_add_u32_e32 v20, 64, v20
	v_xor_b32_e32 v21, 32, v19
	v_cmp_lt_i32_e64 s[40:41], v21, v20
	v_cndmask_b32_e64 v21, v19, v21, s[40:41]
	v_lshlrev_b32_e32 v43, 2, v21
	ds_bpermute_b32 v21, v43, v18
	s_barrier
	s_waitcnt lgkmcnt(0)
	v_max_f32_e32 v21, v21, v21
	v_max_f32_e32 v18, v18, v21
	v_xor_b32_e32 v21, 16, v19
	v_cmp_lt_i32_e64 s[40:41], v21, v20
	v_cndmask_b32_e64 v19, v19, v21, s[40:41]
	v_lshlrev_b32_e32 v44, 2, v19
	ds_bpermute_b32 v19, v44, v18
	s_waitcnt lgkmcnt(0)
	v_max_f32_e32 v19, v19, v19
	v_max_f32_e32 v42, v18, v19
	v_sub_f32_e32 v21, v40, v42
	v_sub_f32_e32 v26, v41, v42
	v_mul_f32_e32 v21, 0x3fb8aa3b, v21
	v_mul_f32_e32 v26, 0x3fb8aa3b, v26
	v_sub_f32_e32 v18, v30, v42
	v_exp_f32_e32 v21, v21
	v_exp_f32_e32 v26, v26
	v_mul_f32_e32 v18, 0x3fb8aa3b, v18
	v_sub_f32_e32 v19, v31, v42
	v_exp_f32_e32 v18, v18
	v_mul_f32_e32 v19, 0x3fb8aa3b, v19
	v_exp_f32_e32 v19, v19
	v_cndmask_b32_e64 v28, 0, v21, s[30:31]
	v_cndmask_b32_e64 v29, 0, v26, s[34:35]
	v_sub_f32_e32 v21, v38, v42
	v_sub_f32_e32 v26, v39, v42
	v_mul_f32_e32 v21, 0x3fb8aa3b, v21
	v_mul_f32_e32 v26, 0x3fb8aa3b, v26
	v_cndmask_b32_e64 v18, 0, v18, s[26:27]
	v_exp_f32_e32 v21, v21
	v_exp_f32_e32 v26, v26
	v_add_f32_e32 v20, 0, v18
	v_cndmask_b32_e64 v19, 0, v19, s[28:29]
	v_add_f32_e32 v20, v20, v19
	v_add_f32_e32 v20, v20, v28
	v_add_f32_e32 v27, v20, v29
	v_cndmask_b32_e64 v20, 0, v21, s[36:37]
	v_cndmask_b32_e64 v21, 0, v26, s[38:39]
	v_sub_f32_e32 v26, v36, v42
	v_mul_f32_e32 v26, 0x3fb8aa3b, v26
	v_exp_f32_e32 v26, v26
	v_sub_f32_e32 v30, v37, v42
	v_add_f32_e32 v27, v27, v20
	v_mul_f32_e32 v30, 0x3fb8aa3b, v30
	v_exp_f32_e32 v31, v30
	v_add_f32_e32 v27, v27, v21
	v_cndmask_b32_e64 v30, 0, v26, s[20:21]
	v_add_f32_e32 v26, v27, v30
	v_sub_f32_e32 v27, v34, v42
	v_mul_f32_e32 v27, 0x3fb8aa3b, v27
	v_sub_f32_e32 v34, v35, v42
	v_exp_f32_e32 v27, v27
	v_mul_f32_e32 v34, 0x3fb8aa3b, v34
	v_sub_f32_e32 v22, v22, v42
	v_exp_f32_e32 v34, v34
	;; [unrolled: 3-line block ×3, first 2 shown]
	v_mul_f32_e32 v23, 0x3fb8aa3b, v23
	v_cndmask_b32_e64 v31, 0, v31, s[22:23]
	v_exp_f32_e32 v23, v23
	v_add_f32_e32 v35, v26, v31
	v_cndmask_b32_e64 v26, 0, v27, s[16:17]
	v_add_f32_e32 v35, v35, v26
	v_cndmask_b32_e64 v27, 0, v34, s[18:19]
	v_add_f32_e32 v35, v35, v27
	v_cndmask_b32_e64 v34, 0, v22, s[12:13]
	v_add_f32_e32 v22, v35, v34
	v_cndmask_b32_e64 v35, 0, v23, s[14:15]
	v_sub_f32_e32 v23, v32, v42
	v_mul_f32_e32 v23, 0x3fb8aa3b, v23
	v_sub_f32_e32 v32, v33, v42
	v_exp_f32_e32 v23, v23
	v_mul_f32_e32 v32, 0x3fb8aa3b, v32
	v_sub_f32_e32 v24, v24, v42
	v_exp_f32_e32 v32, v32
	;; [unrolled: 3-line block ×3, first 2 shown]
	v_mul_f32_e32 v25, 0x3fb8aa3b, v25
	v_exp_f32_e32 v25, v25
	v_add_f32_e32 v33, v22, v35
	v_cndmask_b32_e64 v22, 0, v23, s[8:9]
	v_add_f32_e32 v33, v33, v22
	v_cndmask_b32_e64 v23, 0, v32, s[10:11]
	v_add_f32_e32 v32, v33, v23
	v_cndmask_b32_e32 v24, 0, v24, vcc
	v_add_f32_e32 v32, v32, v24
	v_cndmask_b32_e64 v25, 0, v25, s[2:3]
	v_add_f32_e32 v32, v32, v25
	ds_bpermute_b32 v33, v43, v32
	v_cmp_gt_u32_e32 vcc, 16, v50
	s_waitcnt lgkmcnt(0)
	v_add_f32_e32 v33, v32, v33
	ds_bpermute_b32 v36, v44, v33
	v_lshlrev_b32_e32 v32, 2, v48
	s_and_saveexec_b64 s[2:3], vcc
	s_cbranch_execz .LBB569_397
; %bb.396:
	s_waitcnt lgkmcnt(0)
	v_add_f32_e32 v33, v33, v36
	v_lshl_or_b32 v36, v49, 6, v32
	ds_write2st64_b32 v36, v42, v33 offset1:1
.LBB569_397:
	s_or_b64 exec, exec, s[2:3]
	s_waitcnt lgkmcnt(0)
	s_barrier
	ds_read2_b32 v[36:37], v32 offset1:16
	ds_read2_b32 v[38:39], v32 offset0:32 offset1:48
	ds_read2_b32 v[40:41], v32 offset0:64 offset1:80
	;; [unrolled: 1-line block ×3, first 2 shown]
	s_waitcnt lgkmcnt(0)
	v_max3_f32 v33, v36, s46, v37
	v_max3_f32 v33, v33, v38, v39
	v_sub_f32_e32 v36, v36, v33
	v_mul_f32_e32 v36, 0x3fb8aa3b, v36
	v_exp_f32_e32 v44, v36
	v_sub_f32_e32 v36, v37, v33
	v_mul_f32_e32 v36, 0x3fb8aa3b, v36
	v_exp_f32_e32 v37, v36
	v_sub_f32_e32 v36, v38, v33
	v_mul_f32_e32 v36, 0x3fb8aa3b, v36
	v_sub_f32_e32 v32, v39, v33
	v_exp_f32_e32 v38, v36
	v_mul_f32_e32 v32, 0x3fb8aa3b, v32
	v_exp_f32_e32 v39, v32
	v_fma_f32 v36, v44, v40, 0
	v_fmac_f32_e32 v36, v37, v41
	v_fmac_f32_e32 v36, v38, v42
	;; [unrolled: 1-line block ×3, first 2 shown]
	v_add_f32_e32 v40, 0x358637bd, v36
	v_div_scale_f32 v41, s[2:3], v40, v40, 1.0
	v_rcp_f32_e32 v42, v41
	s_barrier
	s_mul_i32 s12, s45, 12
	v_fma_f32 v43, -v41, v42, 1.0
	v_fmac_f32_e32 v42, v43, v42
	v_div_scale_f32 v43, vcc, 1.0, v40, 1.0
	v_mul_f32_e32 v45, v43, v42
	v_fma_f32 v50, -v41, v45, v43
	v_fmac_f32_e32 v45, v50, v42
	v_fma_f32 v41, -v41, v45, v43
	v_div_fmas_f32 v41, v41, v42, v45
	v_cmp_eq_u32_e32 vcc, 1, v49
	v_cndmask_b32_e32 v37, v44, v37, vcc
	v_cmp_eq_u32_e32 vcc, 2, v49
	v_cndmask_b32_e32 v37, v37, v38, vcc
	v_cmp_eq_u32_e32 vcc, 3, v49
	v_div_fixup_f32 v40, v41, v40, 1.0
	v_cndmask_b32_e32 v37, v37, v39, vcc
	v_mul_f32_e32 v38, v37, v40
	v_pk_mul_f32 v[28:29], v[38:39], v[28:29] op_sel_hi:[0,1]
	v_cvt_f16_f32_e32 v28, v28
	v_cvt_f16_f32_e32 v29, v29
	v_pk_mul_f32 v[18:19], v[38:39], v[18:19] op_sel_hi:[0,1]
	v_cvt_f16_f32_e32 v18, v18
	v_cvt_f16_f32_e32 v19, v19
	v_pack_b32_f16 v41, v28, v29
	v_pk_mul_f32 v[28:29], v[38:39], v[30:31] op_sel_hi:[0,1]
	v_pk_mul_f32 v[20:21], v[38:39], v[20:21] op_sel_hi:[0,1]
	v_cvt_f16_f32_e32 v20, v20
	v_cvt_f16_f32_e32 v21, v21
	;; [unrolled: 1-line block ×4, first 2 shown]
	v_pack_b32_f16 v40, v18, v19
	v_lshlrev_b32_e32 v18, 3, v1
	v_lshlrev_b32_e32 v19, 5, v48
	;; [unrolled: 1-line block ×3, first 2 shown]
	v_or3_b32 v28, v28, v19, v18
	v_pack_b32_f16 v20, v20, v21
	v_pack_b32_f16 v21, v30, v29
	ds_write2st64_b64 v28, v[40:41], v[20:21] offset1:1
	v_pk_mul_f32 v[20:21], v[38:39], v[34:35] op_sel_hi:[0,1]
	v_pk_mul_f32 v[26:27], v[38:39], v[26:27] op_sel_hi:[0,1]
	v_cvt_f16_f32_e32 v18, v26
	v_cvt_f16_f32_e32 v26, v27
	;; [unrolled: 1-line block ×4, first 2 shown]
	v_pk_mul_f32 v[20:21], v[38:39], v[24:25] op_sel_hi:[0,1]
	v_pk_mul_f32 v[22:23], v[38:39], v[22:23] op_sel_hi:[0,1]
	v_cvt_f16_f32_e32 v22, v22
	v_cvt_f16_f32_e32 v23, v23
	;; [unrolled: 1-line block ×4, first 2 shown]
	v_mov_b32_e32 v32, 0
	v_pack_b32_f16 v20, v18, v26
	v_pack_b32_f16 v21, v27, v29
	v_pack_b32_f16 v22, v22, v23
	v_pack_b32_f16 v23, v24, v25
	v_cmp_gt_u32_e32 vcc, 12, v0
	ds_write2st64_b64 v28, v[20:21], v[22:23] offset0:2 offset1:3
	s_and_saveexec_b64 s[2:3], vcc
	s_cbranch_execz .LBB569_399
; %bb.398:
	v_add_co_u32_e32 v22, vcc, s25, v48
	v_addc_co_u32_e64 v23, s[14:15], 0, 0, vcc
	v_mov_b32_e32 v18, s12
	v_mov_b32_e32 v21, 0
	v_mad_u64_u32 v[22:23], s[14:15], s6, v18, v[22:23]
	v_mov_b32_e32 v20, s24
	s_load_dwordx4 s[8:11], s[4:5], 0x58
	s_mul_i32 s7, s7, s12
	v_mad_u64_u32 v[20:21], s[14:15], v22, s44, v[20:21]
	v_add_u32_e32 v23, s7, v23
	v_mov_b32_e32 v18, v21
	v_mad_u64_u32 v[22:23], s[14:15], v23, s44, v[18:19]
	v_mov_b32_e32 v21, v22
	v_lshlrev_b64 v[20:21], 2, v[20:21]
	s_waitcnt lgkmcnt(0)
	v_mov_b32_e32 v18, s11
	v_add_co_u32_e32 v22, vcc, s10, v20
	v_addc_co_u32_e32 v23, vcc, v18, v21, vcc
	v_mov_b32_e32 v18, s9
	v_add_co_u32_e32 v20, vcc, s8, v20
	v_addc_co_u32_e32 v21, vcc, v18, v21, vcc
	global_store_dword v[22:23], v33, off
	global_store_dword v[20:21], v36, off
.LBB569_399:
	s_or_b64 exec, exec, s[2:3]
	v_mov_b32_e32 v20, 0
	s_waitcnt vmcnt(3)
	v_cmp_ne_u16_sdwa s[8:9], v14, v20 src0_sel:BYTE_0 src1_sel:DWORD
	s_waitcnt lgkmcnt(0)
	s_barrier
	s_and_saveexec_b64 s[2:3], s[8:9]
	s_cbranch_execz .LBB569_405
; %bb.400:
	s_movk_i32 s7, 0x80
	v_cmp_ne_u16_sdwa s[10:11], v14, s7 src0_sel:BYTE_0 src1_sel:DWORD
	v_bfrev_b32_e32 v32, 1
	s_and_saveexec_b64 s[8:9], s[10:11]
	s_cbranch_execz .LBB569_404
; %bb.401:
	s_movk_i32 s7, 0x7f
	v_and_b32_e32 v18, 0x7f, v14
	v_cmp_ne_u32_e32 vcc, s7, v18
	v_mov_b32_e32 v32, 0x7f800001
	s_and_saveexec_b64 s[10:11], vcc
	s_cbranch_execz .LBB569_403
; %bb.402:
	v_and_b32_e32 v21, 7, v14
	v_ffbh_u32_e32 v22, v21
	v_min_u32_e32 v25, 32, v22
	v_subrev_u32_e32 v22, 28, v25
	v_lshlrev_b64 v[22:23], v22, v[14:15]
	v_lshrrev_b32_e32 v24, 3, v18
	v_sub_u32_e32 v23, 29, v25
	v_and_b32_e32 v22, 7, v22
	v_cmp_gt_u32_e32 vcc, 8, v18
	v_cndmask_b32_e32 v18, v24, v23, vcc
	v_cndmask_b32_e32 v21, v21, v22, vcc
	v_lshlrev_b32_e32 v22, 24, v14
	v_bfrev_b32_e32 v23, 60
	v_lshlrev_b32_e32 v21, 20, v21
	v_and_b32_e32 v22, 0x80000000, v22
	v_lshl_add_u32 v18, v18, 23, v23
	v_or3_b32 v32, v22, v18, v21
.LBB569_403:
	s_or_b64 exec, exec, s[10:11]
.LBB569_404:
	s_or_b64 exec, exec, s[8:9]
.LBB569_405:
	s_or_b64 exec, exec, s[2:3]
	v_lshrrev_b16_e32 v18, 8, v14
	v_cmp_ne_u16_e32 vcc, 0, v18
	v_mov_b32_e32 v21, 0
	s_and_saveexec_b64 s[2:3], vcc
	s_cbranch_execz .LBB569_411
; %bb.406:
	s_movk_i32 s7, 0x80
	v_cmp_ne_u16_e32 vcc, s7, v18
	v_bfrev_b32_e32 v21, 1
	s_and_saveexec_b64 s[8:9], vcc
	s_cbranch_execz .LBB569_410
; %bb.407:
	s_movk_i32 s7, 0x7f
	v_and_b32_e32 v22, 0x7f, v18
	v_cmp_ne_u32_e32 vcc, s7, v22
	v_mov_b32_e32 v21, 0x7f800001
	s_and_saveexec_b64 s[10:11], vcc
	s_cbranch_execz .LBB569_409
; %bb.408:
	v_and_b32_e32 v21, 7, v18
	v_ffbh_u32_e32 v24, v21
	v_min_u32_e32 v26, 32, v24
	v_subrev_u32_e32 v24, 28, v26
	v_lshlrev_b64 v[24:25], v24, v[18:19]
	v_lshrrev_b32_e32 v23, 3, v22
	v_sub_u32_e32 v18, 29, v26
	v_and_b32_e32 v24, 7, v24
	v_cmp_gt_u32_e32 vcc, 8, v22
	v_cndmask_b32_e32 v18, v23, v18, vcc
	v_cndmask_b32_e32 v21, v21, v24, vcc
	v_lshlrev_b32_e32 v22, 16, v14
	v_bfrev_b32_e32 v23, 60
	v_lshlrev_b32_e32 v21, 20, v21
	v_and_b32_e32 v22, 0x80000000, v22
	v_lshl_add_u32 v18, v18, 23, v23
	v_or3_b32 v21, v22, v18, v21
.LBB569_409:
	s_or_b64 exec, exec, s[10:11]
.LBB569_410:
	s_or_b64 exec, exec, s[8:9]
.LBB569_411:
	s_or_b64 exec, exec, s[2:3]
	s_movk_i32 s2, 0xff
	v_and_b32_sdwa v22, v14, s2 dst_sel:DWORD dst_unused:UNUSED_PAD src0_sel:WORD_1 src1_sel:DWORD
	v_lshrrev_b32_e32 v18, 16, v14
	v_cmp_ne_u16_e32 vcc, 0, v22
	s_and_saveexec_b64 s[2:3], vcc
	s_cbranch_execz .LBB569_417
; %bb.412:
	s_movk_i32 s7, 0x80
	v_cmp_ne_u16_e32 vcc, s7, v22
	v_bfrev_b32_e32 v20, 1
	s_and_saveexec_b64 s[8:9], vcc
	s_cbranch_execz .LBB569_416
; %bb.413:
	v_bfe_u32 v22, v14, 16, 7
	s_movk_i32 s7, 0x7f
	v_cmp_ne_u32_e32 vcc, s7, v22
	v_mov_b32_e32 v20, 0x7f800001
	s_and_saveexec_b64 s[10:11], vcc
	s_cbranch_execz .LBB569_415
; %bb.414:
	v_and_b32_e32 v20, 7, v18
	v_ffbh_u32_e32 v24, v20
	v_min_u32_e32 v26, 32, v24
	v_subrev_u32_e32 v24, 28, v26
	v_lshlrev_b64 v[24:25], v24, v[18:19]
	v_lshrrev_b32_e32 v23, 3, v22
	v_sub_u32_e32 v18, 29, v26
	v_and_b32_e32 v24, 7, v24
	v_cmp_gt_u32_e32 vcc, 8, v22
	v_mov_b32_e32 v22, 24
	v_cndmask_b32_e32 v18, v23, v18, vcc
	v_cndmask_b32_e32 v20, v20, v24, vcc
	v_lshlrev_b32_sdwa v22, v22, v14 dst_sel:DWORD dst_unused:UNUSED_PAD src0_sel:DWORD src1_sel:WORD_1
	v_bfrev_b32_e32 v23, 60
	v_lshlrev_b32_e32 v20, 20, v20
	v_and_b32_e32 v22, 0x80000000, v22
	v_lshl_add_u32 v18, v18, 23, v23
	v_or3_b32 v20, v22, v18, v20
.LBB569_415:
	s_or_b64 exec, exec, s[10:11]
.LBB569_416:
	s_or_b64 exec, exec, s[8:9]
.LBB569_417:
	s_or_b64 exec, exec, s[2:3]
	s_mov_b32 s2, 0xffffff
	v_cmp_lt_u32_e32 vcc, s2, v14
	v_mov_b32_e32 v24, 0
	v_mov_b32_e32 v22, 0
	s_and_saveexec_b64 s[2:3], vcc
	s_cbranch_execz .LBB569_423
; %bb.418:
	v_lshrrev_b32_e32 v18, 24, v14
	s_movk_i32 s7, 0x80
	v_cmp_ne_u32_e32 vcc, s7, v18
	v_bfrev_b32_e32 v22, 1
	s_and_saveexec_b64 s[8:9], vcc
	s_cbranch_execz .LBB569_422
; %bb.419:
	v_bfe_u32 v14, v14, 24, 7
	s_movk_i32 s7, 0x7f
	v_cmp_ne_u32_e32 vcc, s7, v14
	v_mov_b32_e32 v22, 0x7f800001
	s_and_saveexec_b64 s[10:11], vcc
	s_cbranch_execz .LBB569_421
; %bb.420:
	v_and_b32_e32 v25, 7, v18
	v_ffbh_u32_e32 v22, v25
	v_min_u32_e32 v27, 32, v22
	v_subrev_u32_e32 v22, 28, v27
	v_lshlrev_b64 v[22:23], v22, v[18:19]
	v_lshrrev_b32_e32 v26, 3, v14
	v_sub_u32_e32 v23, 29, v27
	v_and_b32_e32 v22, 7, v22
	v_cmp_gt_u32_e32 vcc, 8, v14
	v_cndmask_b32_e32 v14, v26, v23, vcc
	v_cndmask_b32_e32 v22, v25, v22, vcc
	v_lshlrev_b32_e32 v18, 24, v18
	v_bfrev_b32_e32 v23, 60
	v_lshlrev_b32_e32 v22, 20, v22
	v_and_b32_e32 v18, 0x80000000, v18
	v_lshl_add_u32 v14, v14, 23, v23
	v_or3_b32 v22, v18, v14, v22
.LBB569_421:
	s_or_b64 exec, exec, s[10:11]
.LBB569_422:
	s_or_b64 exec, exec, s[8:9]
.LBB569_423:
	s_or_b64 exec, exec, s[2:3]
	v_cmp_ne_u16_sdwa s[8:9], v15, v24 src0_sel:BYTE_0 src1_sel:DWORD
	s_and_saveexec_b64 s[2:3], s[8:9]
	s_cbranch_execz .LBB569_429
; %bb.424:
	s_movk_i32 s7, 0x80
	v_cmp_ne_u16_sdwa s[10:11], v15, s7 src0_sel:BYTE_0 src1_sel:DWORD
	v_bfrev_b32_e32 v24, 1
	s_and_saveexec_b64 s[8:9], s[10:11]
	s_cbranch_execz .LBB569_428
; %bb.425:
	s_movk_i32 s7, 0x7f
	v_and_b32_e32 v14, 0x7f, v15
	v_cmp_ne_u32_e32 vcc, s7, v14
	v_mov_b32_e32 v24, 0x7f800001
	s_and_saveexec_b64 s[10:11], vcc
	s_cbranch_execz .LBB569_427
; %bb.426:
	v_and_b32_e32 v23, 7, v15
	v_ffbh_u32_e32 v24, v23
	v_min_u32_e32 v27, 32, v24
	v_mov_b32_e32 v18, v15
	v_subrev_u32_e32 v24, 28, v27
	v_lshlrev_b64 v[24:25], v24, v[18:19]
	v_lshrrev_b32_e32 v26, 3, v14
	v_sub_u32_e32 v18, 29, v27
	v_and_b32_e32 v24, 7, v24
	v_cmp_gt_u32_e32 vcc, 8, v14
	v_cndmask_b32_e32 v14, v26, v18, vcc
	v_cndmask_b32_e32 v18, v23, v24, vcc
	v_lshlrev_b32_e32 v23, 24, v15
	v_bfrev_b32_e32 v24, 60
	v_lshlrev_b32_e32 v18, 20, v18
	v_and_b32_e32 v23, 0x80000000, v23
	v_lshl_add_u32 v14, v14, 23, v24
	v_or3_b32 v24, v23, v14, v18
.LBB569_427:
	s_or_b64 exec, exec, s[10:11]
.LBB569_428:
	s_or_b64 exec, exec, s[8:9]
.LBB569_429:
	s_or_b64 exec, exec, s[2:3]
	v_lshrrev_b16_e32 v14, 8, v15
	v_cmp_ne_u16_e32 vcc, 0, v14
	v_mov_b32_e32 v18, 0
	v_mov_b32_e32 v25, 0
	s_and_saveexec_b64 s[2:3], vcc
	s_cbranch_execz .LBB569_435
; %bb.430:
	s_movk_i32 s7, 0x80
	v_cmp_ne_u16_e32 vcc, s7, v14
	v_bfrev_b32_e32 v25, 1
	s_and_saveexec_b64 s[8:9], vcc
	s_cbranch_execz .LBB569_434
; %bb.431:
	s_movk_i32 s7, 0x7f
	v_and_b32_e32 v23, 0x7f, v14
	v_cmp_ne_u32_e32 vcc, s7, v23
	v_mov_b32_e32 v25, 0x7f800001
	s_and_saveexec_b64 s[10:11], vcc
	s_cbranch_execz .LBB569_433
; %bb.432:
	v_and_b32_e32 v25, 7, v14
	v_ffbh_u32_e32 v26, v25
	v_min_u32_e32 v30, 32, v26
	v_subrev_u32_e32 v26, 28, v30
	v_lshlrev_b64 v[26:27], v26, v[14:15]
	v_lshrrev_b32_e32 v29, 3, v23
	v_sub_u32_e32 v14, 29, v30
	v_and_b32_e32 v26, 7, v26
	v_cmp_gt_u32_e32 vcc, 8, v23
	v_cndmask_b32_e32 v14, v29, v14, vcc
	v_cndmask_b32_e32 v23, v25, v26, vcc
	v_lshlrev_b32_e32 v25, 16, v15
	v_bfrev_b32_e32 v26, 60
	v_lshlrev_b32_e32 v23, 20, v23
	v_and_b32_e32 v25, 0x80000000, v25
	v_lshl_add_u32 v14, v14, 23, v26
	v_or3_b32 v25, v25, v14, v23
.LBB569_433:
	s_or_b64 exec, exec, s[10:11]
.LBB569_434:
	s_or_b64 exec, exec, s[8:9]
.LBB569_435:
	s_or_b64 exec, exec, s[2:3]
	s_movk_i32 s2, 0xff
	v_and_b32_sdwa v23, v15, s2 dst_sel:DWORD dst_unused:UNUSED_PAD src0_sel:WORD_1 src1_sel:DWORD
	v_lshrrev_b32_e32 v14, 16, v15
	v_cmp_ne_u16_e32 vcc, 0, v23
	s_and_saveexec_b64 s[2:3], vcc
	s_cbranch_execz .LBB569_441
; %bb.436:
	s_movk_i32 s7, 0x80
	v_cmp_ne_u16_e32 vcc, s7, v23
	v_bfrev_b32_e32 v18, 1
	s_and_saveexec_b64 s[8:9], vcc
	s_cbranch_execz .LBB569_440
; %bb.437:
	v_bfe_u32 v23, v15, 16, 7
	s_movk_i32 s7, 0x7f
	v_cmp_ne_u32_e32 vcc, s7, v23
	v_mov_b32_e32 v18, 0x7f800001
	s_and_saveexec_b64 s[10:11], vcc
	s_cbranch_execz .LBB569_439
; %bb.438:
	v_and_b32_e32 v18, 7, v14
	v_ffbh_u32_e32 v26, v18
	v_min_u32_e32 v30, 32, v26
	v_subrev_u32_e32 v26, 28, v30
	v_lshlrev_b64 v[26:27], v26, v[14:15]
	v_lshrrev_b32_e32 v29, 3, v23
	v_sub_u32_e32 v14, 29, v30
	v_and_b32_e32 v26, 7, v26
	v_cmp_gt_u32_e32 vcc, 8, v23
	v_mov_b32_e32 v23, 24
	v_cndmask_b32_e32 v14, v29, v14, vcc
	v_cndmask_b32_e32 v18, v18, v26, vcc
	v_lshlrev_b32_sdwa v23, v23, v15 dst_sel:DWORD dst_unused:UNUSED_PAD src0_sel:DWORD src1_sel:WORD_1
	v_bfrev_b32_e32 v26, 60
	v_lshlrev_b32_e32 v18, 20, v18
	v_and_b32_e32 v23, 0x80000000, v23
	v_lshl_add_u32 v14, v14, 23, v26
	v_or3_b32 v18, v23, v14, v18
.LBB569_439:
	s_or_b64 exec, exec, s[10:11]
.LBB569_440:
	s_or_b64 exec, exec, s[8:9]
.LBB569_441:
	s_or_b64 exec, exec, s[2:3]
	s_mov_b32 s2, 0xffffff
	v_cmp_lt_u32_e32 vcc, s2, v15
	v_mov_b32_e32 v23, 0
	v_mov_b32_e32 v26, 0
	s_and_saveexec_b64 s[2:3], vcc
	s_cbranch_execz .LBB569_447
; %bb.442:
	v_lshrrev_b32_e32 v14, 24, v15
	s_movk_i32 s7, 0x80
	v_cmp_ne_u32_e32 vcc, s7, v14
	v_bfrev_b32_e32 v26, 1
	s_and_saveexec_b64 s[8:9], vcc
	s_cbranch_execz .LBB569_446
; %bb.443:
	v_bfe_u32 v15, v15, 24, 7
	s_movk_i32 s7, 0x7f
	v_cmp_ne_u32_e32 vcc, s7, v15
	v_mov_b32_e32 v26, 0x7f800001
	s_and_saveexec_b64 s[10:11], vcc
	s_cbranch_execz .LBB569_445
; %bb.444:
	v_and_b32_e32 v29, 7, v14
	v_ffbh_u32_e32 v26, v29
	v_min_u32_e32 v31, 32, v26
	v_subrev_u32_e32 v26, 28, v31
	v_lshlrev_b64 v[26:27], v26, v[14:15]
	v_lshrrev_b32_e32 v30, 3, v15
	v_sub_u32_e32 v27, 29, v31
	v_and_b32_e32 v26, 7, v26
	v_cmp_gt_u32_e32 vcc, 8, v15
	v_cndmask_b32_e32 v15, v30, v27, vcc
	v_cndmask_b32_e32 v26, v29, v26, vcc
	v_lshlrev_b32_e32 v14, 24, v14
	v_bfrev_b32_e32 v27, 60
	v_lshlrev_b32_e32 v26, 20, v26
	v_and_b32_e32 v14, 0x80000000, v14
	v_lshl_add_u32 v15, v15, 23, v27
	v_or3_b32 v26, v14, v15, v26
.LBB569_445:
	s_or_b64 exec, exec, s[10:11]
.LBB569_446:
	s_or_b64 exec, exec, s[8:9]
.LBB569_447:
	s_or_b64 exec, exec, s[2:3]
	v_cvt_pkrtz_f16_f32 v15, v20, v22
	v_lshl_or_b32 v22, v1, 9, v19
	v_cvt_pkrtz_f16_f32 v14, v32, v21
	ds_read_b128 v[30:33], v22
	v_cmp_ne_u16_sdwa s[8:9], v16, v23 src0_sel:BYTE_0 src1_sel:DWORD
	s_waitcnt lgkmcnt(0)
	v_mfma_f32_16x16x16f16 v[34:37], v[14:15], v[30:31], 0
	v_cvt_pkrtz_f16_f32 v14, v24, v25
	v_cvt_pkrtz_f16_f32 v15, v18, v26
	s_nop 1
	v_mfma_f32_16x16x16f16 v[18:21], v[14:15], v[32:33], v[34:37]
	s_and_saveexec_b64 s[2:3], s[8:9]
	s_cbranch_execz .LBB569_453
; %bb.448:
	s_movk_i32 s7, 0x80
	v_cmp_ne_u16_sdwa s[10:11], v16, s7 src0_sel:BYTE_0 src1_sel:DWORD
	v_bfrev_b32_e32 v23, 1
	s_and_saveexec_b64 s[8:9], s[10:11]
	s_cbranch_execz .LBB569_452
; %bb.449:
	s_movk_i32 s7, 0x7f
	v_and_b32_e32 v14, 0x7f, v16
	v_cmp_ne_u32_e32 vcc, s7, v14
	v_mov_b32_e32 v23, 0x7f800001
	s_and_saveexec_b64 s[10:11], vcc
	s_cbranch_execz .LBB569_451
; %bb.450:
	v_and_b32_e32 v15, 7, v16
	v_ffbh_u32_e32 v24, v15
	v_min_u32_e32 v26, 32, v24
	v_subrev_u32_e32 v24, 28, v26
	v_lshlrev_b64 v[24:25], v24, v[16:17]
	v_lshrrev_b32_e32 v23, 3, v14
	v_sub_u32_e32 v25, 29, v26
	v_and_b32_e32 v24, 7, v24
	v_cmp_gt_u32_e32 vcc, 8, v14
	v_cndmask_b32_e32 v14, v23, v25, vcc
	v_cndmask_b32_e32 v15, v15, v24, vcc
	v_lshlrev_b32_e32 v23, 24, v16
	v_bfrev_b32_e32 v24, 60
	v_lshlrev_b32_e32 v15, 20, v15
	v_and_b32_e32 v23, 0x80000000, v23
	v_lshl_add_u32 v14, v14, 23, v24
	v_or3_b32 v23, v23, v14, v15
.LBB569_451:
	s_or_b64 exec, exec, s[10:11]
.LBB569_452:
	s_or_b64 exec, exec, s[8:9]
.LBB569_453:
	s_or_b64 exec, exec, s[2:3]
	v_lshrrev_b16_e32 v14, 8, v16
	v_cmp_ne_u16_e32 vcc, 0, v14
	v_mov_b32_e32 v15, 0
	v_mov_b32_e32 v25, 0
	s_and_saveexec_b64 s[2:3], vcc
	s_cbranch_execz .LBB569_459
; %bb.454:
	s_movk_i32 s7, 0x80
	v_cmp_ne_u16_e32 vcc, s7, v14
	v_bfrev_b32_e32 v25, 1
	s_and_saveexec_b64 s[8:9], vcc
	s_cbranch_execz .LBB569_458
; %bb.455:
	s_movk_i32 s7, 0x7f
	v_and_b32_e32 v24, 0x7f, v14
	v_cmp_ne_u32_e32 vcc, s7, v24
	v_mov_b32_e32 v25, 0x7f800001
	s_and_saveexec_b64 s[10:11], vcc
	s_cbranch_execz .LBB569_457
; %bb.456:
	v_and_b32_e32 v25, 7, v14
	v_ffbh_u32_e32 v26, v25
	v_min_u32_e32 v30, 32, v26
	v_subrev_u32_e32 v26, 28, v30
	v_lshlrev_b64 v[26:27], v26, v[14:15]
	v_lshrrev_b32_e32 v29, 3, v24
	v_sub_u32_e32 v14, 29, v30
	v_and_b32_e32 v26, 7, v26
	v_cmp_gt_u32_e32 vcc, 8, v24
	v_cndmask_b32_e32 v14, v29, v14, vcc
	v_cndmask_b32_e32 v24, v25, v26, vcc
	v_lshlrev_b32_e32 v25, 16, v16
	v_bfrev_b32_e32 v26, 60
	v_lshlrev_b32_e32 v24, 20, v24
	v_and_b32_e32 v25, 0x80000000, v25
	v_lshl_add_u32 v14, v14, 23, v26
	v_or3_b32 v25, v25, v14, v24
.LBB569_457:
	s_or_b64 exec, exec, s[10:11]
.LBB569_458:
	s_or_b64 exec, exec, s[8:9]
.LBB569_459:
	s_or_b64 exec, exec, s[2:3]
	s_movk_i32 s2, 0xff
	v_and_b32_sdwa v24, v16, s2 dst_sel:DWORD dst_unused:UNUSED_PAD src0_sel:WORD_1 src1_sel:DWORD
	v_lshrrev_b32_e32 v14, 16, v16
	v_cmp_ne_u16_e32 vcc, 0, v24
	s_and_saveexec_b64 s[2:3], vcc
	s_cbranch_execz .LBB569_465
; %bb.460:
	s_movk_i32 s7, 0x80
	v_cmp_ne_u16_e32 vcc, s7, v24
	v_bfrev_b32_e32 v15, 1
	s_and_saveexec_b64 s[8:9], vcc
	s_cbranch_execz .LBB569_464
; %bb.461:
	v_bfe_u32 v24, v16, 16, 7
	s_movk_i32 s7, 0x7f
	v_cmp_ne_u32_e32 vcc, s7, v24
	v_mov_b32_e32 v15, 0x7f800001
	s_and_saveexec_b64 s[10:11], vcc
	s_cbranch_execz .LBB569_463
; %bb.462:
	v_and_b32_e32 v26, 7, v14
	v_ffbh_u32_e32 v15, v26
	v_min_u32_e32 v29, 32, v15
	v_subrev_u32_e32 v15, 28, v29
	v_lshlrev_b64 v[14:15], v15, v[14:15]
	v_lshrrev_b32_e32 v27, 3, v24
	v_sub_u32_e32 v15, 29, v29
	v_and_b32_e32 v14, 7, v14
	v_cmp_gt_u32_e32 vcc, 8, v24
	v_mov_b32_e32 v24, 24
	v_cndmask_b32_e32 v15, v27, v15, vcc
	v_cndmask_b32_e32 v14, v26, v14, vcc
	v_lshlrev_b32_sdwa v24, v24, v16 dst_sel:DWORD dst_unused:UNUSED_PAD src0_sel:DWORD src1_sel:WORD_1
	v_bfrev_b32_e32 v26, 60
	v_lshlrev_b32_e32 v14, 20, v14
	v_and_b32_e32 v24, 0x80000000, v24
	v_lshl_add_u32 v15, v15, 23, v26
	v_or3_b32 v15, v24, v15, v14
.LBB569_463:
	s_or_b64 exec, exec, s[10:11]
.LBB569_464:
	s_or_b64 exec, exec, s[8:9]
.LBB569_465:
	s_or_b64 exec, exec, s[2:3]
	s_mov_b32 s2, 0xffffff
	v_cmp_lt_u32_e32 vcc, s2, v16
	v_mov_b32_e32 v26, 0
	v_mov_b32_e32 v27, 0
	s_and_saveexec_b64 s[2:3], vcc
	s_cbranch_execz .LBB569_471
; %bb.466:
	v_lshrrev_b32_e32 v14, 24, v16
	s_movk_i32 s7, 0x80
	v_cmp_ne_u32_e32 vcc, s7, v14
	v_bfrev_b32_e32 v27, 1
	s_and_saveexec_b64 s[8:9], vcc
	s_cbranch_execz .LBB569_470
; %bb.467:
	v_bfe_u32 v16, v16, 24, 7
	s_movk_i32 s7, 0x7f
	v_cmp_ne_u32_e32 vcc, s7, v16
	v_mov_b32_e32 v27, 0x7f800001
	s_and_saveexec_b64 s[10:11], vcc
	s_cbranch_execz .LBB569_469
; %bb.468:
	v_and_b32_e32 v24, 7, v14
	v_ffbh_u32_e32 v29, v24
	v_min_u32_e32 v29, 32, v29
	v_subrev_u32_e32 v30, 28, v29
	v_lshlrev_b64 v[30:31], v30, v[14:15]
	v_lshrrev_b32_e32 v27, 3, v16
	v_sub_u32_e32 v29, 29, v29
	v_and_b32_e32 v30, 7, v30
	v_cmp_gt_u32_e32 vcc, 8, v16
	v_cndmask_b32_e32 v16, v27, v29, vcc
	v_cndmask_b32_e32 v24, v24, v30, vcc
	v_lshlrev_b32_e32 v14, 24, v14
	v_bfrev_b32_e32 v27, 60
	v_lshlrev_b32_e32 v24, 20, v24
	v_and_b32_e32 v14, 0x80000000, v14
	v_lshl_add_u32 v16, v16, 23, v27
	v_or3_b32 v27, v14, v16, v24
.LBB569_469:
	s_or_b64 exec, exec, s[10:11]
.LBB569_470:
	s_or_b64 exec, exec, s[8:9]
.LBB569_471:
	s_or_b64 exec, exec, s[2:3]
	v_cmp_ne_u16_sdwa s[8:9], v17, v26 src0_sel:BYTE_0 src1_sel:DWORD
	s_and_saveexec_b64 s[2:3], s[8:9]
	s_cbranch_execz .LBB569_477
; %bb.472:
	s_movk_i32 s7, 0x80
	v_cmp_ne_u16_sdwa s[10:11], v17, s7 src0_sel:BYTE_0 src1_sel:DWORD
	v_bfrev_b32_e32 v26, 1
	s_and_saveexec_b64 s[8:9], s[10:11]
	s_cbranch_execz .LBB569_476
; %bb.473:
	s_movk_i32 s7, 0x7f
	v_and_b32_e32 v14, 0x7f, v17
	v_cmp_ne_u32_e32 vcc, s7, v14
	v_mov_b32_e32 v26, 0x7f800001
	s_and_saveexec_b64 s[10:11], vcc
	s_cbranch_execz .LBB569_475
; %bb.474:
	v_and_b32_e32 v24, 7, v17
	v_ffbh_u32_e32 v29, v24
	v_min_u32_e32 v29, 32, v29
	v_mov_b32_e32 v16, v17
	v_subrev_u32_e32 v30, 28, v29
	v_lshlrev_b64 v[30:31], v30, v[16:17]
	v_lshrrev_b32_e32 v26, 3, v14
	v_sub_u32_e32 v16, 29, v29
	v_and_b32_e32 v29, 7, v30
	v_cmp_gt_u32_e32 vcc, 8, v14
	v_cndmask_b32_e32 v14, v26, v16, vcc
	v_cndmask_b32_e32 v16, v24, v29, vcc
	v_lshlrev_b32_e32 v24, 24, v17
	v_bfrev_b32_e32 v26, 60
	v_lshlrev_b32_e32 v16, 20, v16
	v_and_b32_e32 v24, 0x80000000, v24
	v_lshl_add_u32 v14, v14, 23, v26
	v_or3_b32 v26, v24, v14, v16
.LBB569_475:
	s_or_b64 exec, exec, s[10:11]
.LBB569_476:
	s_or_b64 exec, exec, s[8:9]
.LBB569_477:
	s_or_b64 exec, exec, s[2:3]
	v_lshrrev_b16_e32 v14, 8, v17
	v_cmp_ne_u16_e32 vcc, 0, v14
	v_mov_b32_e32 v16, 0
	v_mov_b32_e32 v29, 0
	s_and_saveexec_b64 s[2:3], vcc
	s_cbranch_execz .LBB569_483
; %bb.478:
	s_movk_i32 s7, 0x80
	v_cmp_ne_u16_e32 vcc, s7, v14
	v_bfrev_b32_e32 v29, 1
	s_and_saveexec_b64 s[8:9], vcc
	s_cbranch_execz .LBB569_482
; %bb.479:
	s_movk_i32 s7, 0x7f
	v_and_b32_e32 v24, 0x7f, v14
	v_cmp_ne_u32_e32 vcc, s7, v24
	v_mov_b32_e32 v29, 0x7f800001
	s_and_saveexec_b64 s[10:11], vcc
	s_cbranch_execz .LBB569_481
; %bb.480:
	v_and_b32_e32 v29, 7, v14
	v_ffbh_u32_e32 v30, v29
	v_min_u32_e32 v33, 32, v30
	v_subrev_u32_e32 v30, 28, v33
	v_lshlrev_b64 v[30:31], v30, v[14:15]
	v_lshrrev_b32_e32 v32, 3, v24
	v_sub_u32_e32 v14, 29, v33
	v_and_b32_e32 v30, 7, v30
	v_cmp_gt_u32_e32 vcc, 8, v24
	v_cndmask_b32_e32 v14, v32, v14, vcc
	v_cndmask_b32_e32 v24, v29, v30, vcc
	v_lshlrev_b32_e32 v29, 16, v17
	v_bfrev_b32_e32 v30, 60
	v_lshlrev_b32_e32 v24, 20, v24
	v_and_b32_e32 v29, 0x80000000, v29
	v_lshl_add_u32 v14, v14, 23, v30
	v_or3_b32 v29, v29, v14, v24
.LBB569_481:
	s_or_b64 exec, exec, s[10:11]
.LBB569_482:
	s_or_b64 exec, exec, s[8:9]
.LBB569_483:
	s_or_b64 exec, exec, s[2:3]
	s_movk_i32 s2, 0xff
	v_and_b32_sdwa v24, v17, s2 dst_sel:DWORD dst_unused:UNUSED_PAD src0_sel:WORD_1 src1_sel:DWORD
	v_lshrrev_b32_e32 v14, 16, v17
	v_cmp_ne_u16_e32 vcc, 0, v24
	s_and_saveexec_b64 s[2:3], vcc
	s_cbranch_execz .LBB569_489
; %bb.484:
	s_movk_i32 s7, 0x80
	v_cmp_ne_u16_e32 vcc, s7, v24
	v_bfrev_b32_e32 v16, 1
	s_and_saveexec_b64 s[8:9], vcc
	s_cbranch_execz .LBB569_488
; %bb.485:
	v_bfe_u32 v24, v17, 16, 7
	s_movk_i32 s7, 0x7f
	v_cmp_ne_u32_e32 vcc, s7, v24
	v_mov_b32_e32 v16, 0x7f800001
	s_and_saveexec_b64 s[10:11], vcc
	s_cbranch_execz .LBB569_487
; %bb.486:
	v_and_b32_e32 v16, 7, v14
	v_ffbh_u32_e32 v30, v16
	v_min_u32_e32 v33, 32, v30
	v_subrev_u32_e32 v30, 28, v33
	v_lshlrev_b64 v[30:31], v30, v[14:15]
	v_lshrrev_b32_e32 v32, 3, v24
	v_sub_u32_e32 v14, 29, v33
	v_and_b32_e32 v30, 7, v30
	v_cmp_gt_u32_e32 vcc, 8, v24
	v_mov_b32_e32 v24, 24
	v_cndmask_b32_e32 v14, v32, v14, vcc
	v_cndmask_b32_e32 v16, v16, v30, vcc
	v_lshlrev_b32_sdwa v24, v24, v17 dst_sel:DWORD dst_unused:UNUSED_PAD src0_sel:DWORD src1_sel:WORD_1
	v_bfrev_b32_e32 v30, 60
	v_lshlrev_b32_e32 v16, 20, v16
	v_and_b32_e32 v24, 0x80000000, v24
	v_lshl_add_u32 v14, v14, 23, v30
	v_or3_b32 v16, v24, v14, v16
.LBB569_487:
	s_or_b64 exec, exec, s[10:11]
.LBB569_488:
	s_or_b64 exec, exec, s[8:9]
.LBB569_489:
	s_or_b64 exec, exec, s[2:3]
	s_mov_b32 s2, 0xffffff
	v_cmp_lt_u32_e32 vcc, s2, v17
	v_mov_b32_e32 v24, 0
	v_mov_b32_e32 v30, 0
	s_and_saveexec_b64 s[2:3], vcc
	s_cbranch_execz .LBB569_495
; %bb.490:
	v_lshrrev_b32_e32 v14, 24, v17
	s_movk_i32 s7, 0x80
	v_cmp_ne_u32_e32 vcc, s7, v14
	v_bfrev_b32_e32 v30, 1
	s_and_saveexec_b64 s[8:9], vcc
	s_cbranch_execz .LBB569_494
; %bb.491:
	v_bfe_u32 v17, v17, 24, 7
	s_movk_i32 s7, 0x7f
	v_cmp_ne_u32_e32 vcc, s7, v17
	v_mov_b32_e32 v30, 0x7f800001
	s_and_saveexec_b64 s[10:11], vcc
	s_cbranch_execz .LBB569_493
; %bb.492:
	v_and_b32_e32 v32, 7, v14
	v_ffbh_u32_e32 v30, v32
	v_min_u32_e32 v34, 32, v30
	v_subrev_u32_e32 v30, 28, v34
	v_lshlrev_b64 v[30:31], v30, v[14:15]
	v_lshrrev_b32_e32 v33, 3, v17
	v_sub_u32_e32 v31, 29, v34
	v_and_b32_e32 v30, 7, v30
	v_cmp_gt_u32_e32 vcc, 8, v17
	v_cndmask_b32_e32 v17, v33, v31, vcc
	v_cndmask_b32_e32 v30, v32, v30, vcc
	v_lshlrev_b32_e32 v14, 24, v14
	v_bfrev_b32_e32 v31, 60
	v_lshlrev_b32_e32 v30, 20, v30
	v_and_b32_e32 v14, 0x80000000, v14
	v_lshl_add_u32 v17, v17, 23, v31
	v_or3_b32 v30, v14, v17, v30
.LBB569_493:
	s_or_b64 exec, exec, s[10:11]
.LBB569_494:
	s_or_b64 exec, exec, s[8:9]
.LBB569_495:
	s_or_b64 exec, exec, s[2:3]
	v_cvt_pkrtz_f16_f32 v14, v23, v25
	v_cvt_pkrtz_f16_f32 v15, v15, v27
	ds_read_b128 v[32:35], v22 offset:16
	s_waitcnt vmcnt(2)
	v_cmp_ne_u16_sdwa s[8:9], v10, v24 src0_sel:BYTE_0 src1_sel:DWORD
	s_waitcnt lgkmcnt(0)
	v_mfma_f32_16x16x16f16 v[18:21], v[14:15], v[32:33], v[18:21]
	v_cvt_pkrtz_f16_f32 v14, v26, v29
	v_cvt_pkrtz_f16_f32 v15, v16, v30
	s_nop 1
	v_mfma_f32_16x16x16f16 v[14:17], v[14:15], v[34:35], v[18:21]
	s_and_saveexec_b64 s[2:3], s[8:9]
	s_cbranch_execz .LBB569_501
; %bb.496:
	s_movk_i32 s7, 0x80
	v_cmp_ne_u16_sdwa s[10:11], v10, s7 src0_sel:BYTE_0 src1_sel:DWORD
	v_bfrev_b32_e32 v24, 1
	s_and_saveexec_b64 s[8:9], s[10:11]
	s_cbranch_execz .LBB569_500
; %bb.497:
	s_movk_i32 s7, 0x7f
	v_and_b32_e32 v18, 0x7f, v10
	v_cmp_ne_u32_e32 vcc, s7, v18
	v_mov_b32_e32 v24, 0x7f800001
	s_and_saveexec_b64 s[10:11], vcc
	s_cbranch_execz .LBB569_499
; %bb.498:
	v_and_b32_e32 v19, 7, v10
	v_ffbh_u32_e32 v20, v19
	v_min_u32_e32 v24, 32, v20
	v_subrev_u32_e32 v20, 28, v24
	v_lshlrev_b64 v[20:21], v20, v[10:11]
	v_lshrrev_b32_e32 v23, 3, v18
	v_sub_u32_e32 v21, 29, v24
	v_and_b32_e32 v20, 7, v20
	v_cmp_gt_u32_e32 vcc, 8, v18
	v_cndmask_b32_e32 v18, v23, v21, vcc
	v_cndmask_b32_e32 v19, v19, v20, vcc
	v_lshlrev_b32_e32 v20, 24, v10
	v_bfrev_b32_e32 v21, 60
	v_lshlrev_b32_e32 v19, 20, v19
	v_and_b32_e32 v20, 0x80000000, v20
	v_lshl_add_u32 v18, v18, 23, v21
	v_or3_b32 v24, v20, v18, v19
.LBB569_499:
	s_or_b64 exec, exec, s[10:11]
.LBB569_500:
	s_or_b64 exec, exec, s[8:9]
.LBB569_501:
	s_or_b64 exec, exec, s[2:3]
	s_nop 3
	v_lshrrev_b16_e32 v18, 8, v10
	v_cmp_ne_u16_e32 vcc, 0, v18
	v_mov_b32_e32 v19, 0
	v_mov_b32_e32 v20, 0
	s_and_saveexec_b64 s[2:3], vcc
	s_cbranch_execz .LBB569_507
; %bb.502:
	s_movk_i32 s7, 0x80
	v_cmp_ne_u16_e32 vcc, s7, v18
	v_bfrev_b32_e32 v20, 1
	s_and_saveexec_b64 s[8:9], vcc
	s_cbranch_execz .LBB569_506
; %bb.503:
	s_movk_i32 s7, 0x7f
	v_and_b32_e32 v21, 0x7f, v18
	v_cmp_ne_u32_e32 vcc, s7, v21
	v_mov_b32_e32 v20, 0x7f800001
	s_and_saveexec_b64 s[10:11], vcc
	s_cbranch_execz .LBB569_505
; %bb.504:
	v_and_b32_e32 v20, 7, v18
	v_ffbh_u32_e32 v25, v20
	v_min_u32_e32 v25, 32, v25
	v_subrev_u32_e32 v26, 28, v25
	v_lshlrev_b64 v[26:27], v26, v[18:19]
	v_lshrrev_b32_e32 v23, 3, v21
	v_sub_u32_e32 v18, 29, v25
	v_and_b32_e32 v25, 7, v26
	v_cmp_gt_u32_e32 vcc, 8, v21
	v_cndmask_b32_e32 v18, v23, v18, vcc
	v_cndmask_b32_e32 v20, v20, v25, vcc
	v_lshlrev_b32_e32 v21, 16, v10
	v_bfrev_b32_e32 v23, 60
	v_lshlrev_b32_e32 v20, 20, v20
	v_and_b32_e32 v21, 0x80000000, v21
	v_lshl_add_u32 v18, v18, 23, v23
	v_or3_b32 v20, v21, v18, v20
.LBB569_505:
	s_or_b64 exec, exec, s[10:11]
.LBB569_506:
	s_or_b64 exec, exec, s[8:9]
.LBB569_507:
	s_or_b64 exec, exec, s[2:3]
	s_movk_i32 s2, 0xff
	v_and_b32_sdwa v21, v10, s2 dst_sel:DWORD dst_unused:UNUSED_PAD src0_sel:WORD_1 src1_sel:DWORD
	v_lshrrev_b32_e32 v18, 16, v10
	v_cmp_ne_u16_e32 vcc, 0, v21
	s_and_saveexec_b64 s[2:3], vcc
	s_cbranch_execz .LBB569_513
; %bb.508:
	s_movk_i32 s7, 0x80
	v_cmp_ne_u16_e32 vcc, s7, v21
	v_bfrev_b32_e32 v19, 1
	s_and_saveexec_b64 s[8:9], vcc
	s_cbranch_execz .LBB569_512
; %bb.509:
	v_bfe_u32 v21, v10, 16, 7
	s_movk_i32 s7, 0x7f
	v_cmp_ne_u32_e32 vcc, s7, v21
	v_mov_b32_e32 v19, 0x7f800001
	s_and_saveexec_b64 s[10:11], vcc
	s_cbranch_execz .LBB569_511
; %bb.510:
	v_and_b32_e32 v23, 7, v18
	v_ffbh_u32_e32 v19, v23
	v_min_u32_e32 v26, 32, v19
	v_subrev_u32_e32 v19, 28, v26
	v_lshlrev_b64 v[18:19], v19, v[18:19]
	v_lshrrev_b32_e32 v25, 3, v21
	v_sub_u32_e32 v19, 29, v26
	v_and_b32_e32 v18, 7, v18
	v_cmp_gt_u32_e32 vcc, 8, v21
	v_mov_b32_e32 v21, 24
	v_cndmask_b32_e32 v19, v25, v19, vcc
	v_cndmask_b32_e32 v18, v23, v18, vcc
	v_lshlrev_b32_sdwa v21, v21, v10 dst_sel:DWORD dst_unused:UNUSED_PAD src0_sel:DWORD src1_sel:WORD_1
	v_bfrev_b32_e32 v23, 60
	v_lshlrev_b32_e32 v18, 20, v18
	v_and_b32_e32 v21, 0x80000000, v21
	v_lshl_add_u32 v19, v19, 23, v23
	v_or3_b32 v19, v21, v19, v18
.LBB569_511:
	s_or_b64 exec, exec, s[10:11]
.LBB569_512:
	s_or_b64 exec, exec, s[8:9]
.LBB569_513:
	s_or_b64 exec, exec, s[2:3]
	s_mov_b32 s2, 0xffffff
	v_cmp_lt_u32_e32 vcc, s2, v10
	v_mov_b32_e32 v21, 0
	v_mov_b32_e32 v23, 0
	s_and_saveexec_b64 s[2:3], vcc
	s_cbranch_execz .LBB569_519
; %bb.514:
	v_lshrrev_b32_e32 v18, 24, v10
	s_movk_i32 s7, 0x80
	v_cmp_ne_u32_e32 vcc, s7, v18
	v_bfrev_b32_e32 v23, 1
	s_and_saveexec_b64 s[8:9], vcc
	s_cbranch_execz .LBB569_518
; %bb.515:
	v_bfe_u32 v10, v10, 24, 7
	s_movk_i32 s7, 0x7f
	v_cmp_ne_u32_e32 vcc, s7, v10
	v_mov_b32_e32 v23, 0x7f800001
	s_and_saveexec_b64 s[10:11], vcc
	s_cbranch_execz .LBB569_517
; %bb.516:
	v_and_b32_e32 v23, 7, v18
	v_ffbh_u32_e32 v26, v23
	v_min_u32_e32 v29, 32, v26
	v_subrev_u32_e32 v26, 28, v29
	v_lshlrev_b64 v[26:27], v26, v[18:19]
	v_lshrrev_b32_e32 v25, 3, v10
	v_sub_u32_e32 v27, 29, v29
	v_and_b32_e32 v26, 7, v26
	v_cmp_gt_u32_e32 vcc, 8, v10
	v_cndmask_b32_e32 v10, v25, v27, vcc
	v_cndmask_b32_e32 v23, v23, v26, vcc
	v_lshlrev_b32_e32 v18, 24, v18
	v_bfrev_b32_e32 v25, 60
	v_lshlrev_b32_e32 v23, 20, v23
	v_and_b32_e32 v18, 0x80000000, v18
	v_lshl_add_u32 v10, v10, 23, v25
	v_or3_b32 v23, v18, v10, v23
.LBB569_517:
	s_or_b64 exec, exec, s[10:11]
.LBB569_518:
	s_or_b64 exec, exec, s[8:9]
.LBB569_519:
	s_or_b64 exec, exec, s[2:3]
	v_cmp_ne_u16_sdwa s[8:9], v11, v21 src0_sel:BYTE_0 src1_sel:DWORD
	s_and_saveexec_b64 s[2:3], s[8:9]
	s_cbranch_execz .LBB569_525
; %bb.520:
	s_movk_i32 s7, 0x80
	v_cmp_ne_u16_sdwa s[10:11], v11, s7 src0_sel:BYTE_0 src1_sel:DWORD
	v_bfrev_b32_e32 v21, 1
	s_and_saveexec_b64 s[8:9], s[10:11]
	s_cbranch_execz .LBB569_524
; %bb.521:
	s_movk_i32 s7, 0x7f
	v_and_b32_e32 v10, 0x7f, v11
	v_cmp_ne_u32_e32 vcc, s7, v10
	v_mov_b32_e32 v21, 0x7f800001
	s_and_saveexec_b64 s[10:11], vcc
	s_cbranch_execz .LBB569_523
; %bb.522:
	v_and_b32_e32 v21, 7, v11
	v_ffbh_u32_e32 v26, v21
	v_min_u32_e32 v29, 32, v26
	v_mov_b32_e32 v18, v11
	v_subrev_u32_e32 v26, 28, v29
	v_lshlrev_b64 v[26:27], v26, v[18:19]
	v_lshrrev_b32_e32 v25, 3, v10
	v_sub_u32_e32 v18, 29, v29
	v_and_b32_e32 v26, 7, v26
	v_cmp_gt_u32_e32 vcc, 8, v10
	v_cndmask_b32_e32 v10, v25, v18, vcc
	v_cndmask_b32_e32 v18, v21, v26, vcc
	v_lshlrev_b32_e32 v21, 24, v11
	v_bfrev_b32_e32 v25, 60
	v_lshlrev_b32_e32 v18, 20, v18
	v_and_b32_e32 v21, 0x80000000, v21
	v_lshl_add_u32 v10, v10, 23, v25
	v_or3_b32 v21, v21, v10, v18
.LBB569_523:
	s_or_b64 exec, exec, s[10:11]
.LBB569_524:
	s_or_b64 exec, exec, s[8:9]
.LBB569_525:
	s_or_b64 exec, exec, s[2:3]
	v_lshrrev_b16_e32 v10, 8, v11
	v_cmp_ne_u16_e32 vcc, 0, v10
	v_mov_b32_e32 v25, 0
	v_mov_b32_e32 v26, 0
	s_and_saveexec_b64 s[2:3], vcc
	s_cbranch_execz .LBB569_531
; %bb.526:
	s_movk_i32 s7, 0x80
	v_cmp_ne_u16_e32 vcc, s7, v10
	v_bfrev_b32_e32 v26, 1
	s_and_saveexec_b64 s[8:9], vcc
	s_cbranch_execz .LBB569_530
; %bb.527:
	s_movk_i32 s7, 0x7f
	v_and_b32_e32 v18, 0x7f, v10
	v_cmp_ne_u32_e32 vcc, s7, v18
	v_mov_b32_e32 v26, 0x7f800001
	s_and_saveexec_b64 s[10:11], vcc
	s_cbranch_execz .LBB569_529
; %bb.528:
	v_and_b32_e32 v29, 7, v10
	v_ffbh_u32_e32 v26, v29
	v_min_u32_e32 v31, 32, v26
	v_subrev_u32_e32 v26, 28, v31
	v_lshlrev_b64 v[26:27], v26, v[10:11]
	v_lshrrev_b32_e32 v30, 3, v18
	v_sub_u32_e32 v10, 29, v31
	v_and_b32_e32 v26, 7, v26
	v_cmp_gt_u32_e32 vcc, 8, v18
	v_cndmask_b32_e32 v10, v30, v10, vcc
	v_cndmask_b32_e32 v18, v29, v26, vcc
	v_lshlrev_b32_e32 v26, 16, v11
	v_bfrev_b32_e32 v27, 60
	v_lshlrev_b32_e32 v18, 20, v18
	v_and_b32_e32 v26, 0x80000000, v26
	v_lshl_add_u32 v10, v10, 23, v27
	v_or3_b32 v26, v26, v10, v18
.LBB569_529:
	s_or_b64 exec, exec, s[10:11]
.LBB569_530:
	s_or_b64 exec, exec, s[8:9]
.LBB569_531:
	s_or_b64 exec, exec, s[2:3]
	s_movk_i32 s2, 0xff
	v_and_b32_sdwa v18, v11, s2 dst_sel:DWORD dst_unused:UNUSED_PAD src0_sel:WORD_1 src1_sel:DWORD
	v_lshrrev_b32_e32 v10, 16, v11
	v_cmp_ne_u16_e32 vcc, 0, v18
	s_and_saveexec_b64 s[2:3], vcc
	s_cbranch_execz .LBB569_537
; %bb.532:
	s_movk_i32 s7, 0x80
	v_cmp_ne_u16_e32 vcc, s7, v18
	v_bfrev_b32_e32 v25, 1
	s_and_saveexec_b64 s[8:9], vcc
	s_cbranch_execz .LBB569_536
; %bb.533:
	v_bfe_u32 v18, v11, 16, 7
	s_movk_i32 s7, 0x7f
	v_cmp_ne_u32_e32 vcc, s7, v18
	v_mov_b32_e32 v25, 0x7f800001
	s_and_saveexec_b64 s[10:11], vcc
	s_cbranch_execz .LBB569_535
; %bb.534:
	v_and_b32_e32 v25, 7, v10
	v_ffbh_u32_e32 v29, v25
	v_min_u32_e32 v29, 32, v29
	v_subrev_u32_e32 v30, 28, v29
	v_lshlrev_b64 v[30:31], v30, v[10:11]
	v_sub_u32_e32 v10, 29, v29
	v_and_b32_e32 v29, 7, v30
	v_cmp_gt_u32_e32 vcc, 8, v18
	v_lshrrev_b32_e32 v27, 3, v18
	v_cndmask_b32_e32 v18, v25, v29, vcc
	v_mov_b32_e32 v25, 24
	v_cndmask_b32_e32 v10, v27, v10, vcc
	v_lshlrev_b32_sdwa v25, v25, v11 dst_sel:DWORD dst_unused:UNUSED_PAD src0_sel:DWORD src1_sel:WORD_1
	v_bfrev_b32_e32 v27, 60
	v_lshlrev_b32_e32 v18, 20, v18
	v_and_b32_e32 v25, 0x80000000, v25
	v_lshl_add_u32 v10, v10, 23, v27
	v_or3_b32 v25, v25, v10, v18
.LBB569_535:
	s_or_b64 exec, exec, s[10:11]
.LBB569_536:
	s_or_b64 exec, exec, s[8:9]
.LBB569_537:
	s_or_b64 exec, exec, s[2:3]
	s_mov_b32 s2, 0xffffff
	v_cmp_lt_u32_e32 vcc, s2, v11
	v_mov_b32_e32 v18, 0
	v_mov_b32_e32 v27, 0
	s_and_saveexec_b64 s[2:3], vcc
	s_cbranch_execz .LBB569_543
; %bb.538:
	v_lshrrev_b32_e32 v10, 24, v11
	s_movk_i32 s7, 0x80
	v_cmp_ne_u32_e32 vcc, s7, v10
	v_bfrev_b32_e32 v27, 1
	s_and_saveexec_b64 s[8:9], vcc
	s_cbranch_execz .LBB569_542
; %bb.539:
	v_bfe_u32 v11, v11, 24, 7
	s_movk_i32 s7, 0x7f
	v_cmp_ne_u32_e32 vcc, s7, v11
	v_mov_b32_e32 v27, 0x7f800001
	s_and_saveexec_b64 s[10:11], vcc
	s_cbranch_execz .LBB569_541
; %bb.540:
	v_and_b32_e32 v27, 7, v10
	v_ffbh_u32_e32 v30, v27
	v_min_u32_e32 v32, 32, v30
	v_subrev_u32_e32 v30, 28, v32
	v_lshlrev_b64 v[30:31], v30, v[10:11]
	v_lshrrev_b32_e32 v29, 3, v11
	v_sub_u32_e32 v31, 29, v32
	v_and_b32_e32 v30, 7, v30
	v_cmp_gt_u32_e32 vcc, 8, v11
	v_cndmask_b32_e32 v11, v29, v31, vcc
	v_cndmask_b32_e32 v27, v27, v30, vcc
	v_lshlrev_b32_e32 v10, 24, v10
	v_bfrev_b32_e32 v29, 60
	v_lshlrev_b32_e32 v27, 20, v27
	v_and_b32_e32 v10, 0x80000000, v10
	v_lshl_add_u32 v11, v11, 23, v29
	v_or3_b32 v27, v10, v11, v27
.LBB569_541:
	s_or_b64 exec, exec, s[10:11]
.LBB569_542:
	s_or_b64 exec, exec, s[8:9]
.LBB569_543:
	s_or_b64 exec, exec, s[2:3]
	v_cvt_pkrtz_f16_f32 v10, v24, v20
	v_cvt_pkrtz_f16_f32 v11, v19, v23
	ds_read_b128 v[30:33], v22 offset:2048
	v_cmp_ne_u16_sdwa s[8:9], v12, v18 src0_sel:BYTE_0 src1_sel:DWORD
	s_waitcnt lgkmcnt(0)
	v_mfma_f32_16x16x16f16 v[14:17], v[10:11], v[30:31], v[14:17]
	v_cvt_pkrtz_f16_f32 v10, v21, v26
	v_cvt_pkrtz_f16_f32 v11, v25, v27
	s_nop 1
	v_mfma_f32_16x16x16f16 v[14:17], v[10:11], v[32:33], v[14:17]
	s_and_saveexec_b64 s[2:3], s[8:9]
	s_cbranch_execz .LBB569_549
; %bb.544:
	s_movk_i32 s7, 0x80
	v_cmp_ne_u16_sdwa s[10:11], v12, s7 src0_sel:BYTE_0 src1_sel:DWORD
	v_bfrev_b32_e32 v18, 1
	s_and_saveexec_b64 s[8:9], s[10:11]
	s_cbranch_execz .LBB569_548
; %bb.545:
	s_movk_i32 s7, 0x7f
	v_and_b32_e32 v10, 0x7f, v12
	v_cmp_ne_u32_e32 vcc, s7, v10
	v_mov_b32_e32 v18, 0x7f800001
	s_and_saveexec_b64 s[10:11], vcc
	s_cbranch_execz .LBB569_547
; %bb.546:
	v_and_b32_e32 v11, 7, v12
	v_ffbh_u32_e32 v18, v11
	v_min_u32_e32 v21, 32, v18
	v_subrev_u32_e32 v18, 28, v21
	v_lshlrev_b64 v[18:19], v18, v[12:13]
	v_lshrrev_b32_e32 v20, 3, v10
	v_sub_u32_e32 v19, 29, v21
	v_and_b32_e32 v18, 7, v18
	v_cmp_gt_u32_e32 vcc, 8, v10
	v_cndmask_b32_e32 v10, v20, v19, vcc
	v_cndmask_b32_e32 v11, v11, v18, vcc
	v_lshlrev_b32_e32 v18, 24, v12
	v_bfrev_b32_e32 v19, 60
	v_lshlrev_b32_e32 v11, 20, v11
	v_and_b32_e32 v18, 0x80000000, v18
	v_lshl_add_u32 v10, v10, 23, v19
	v_or3_b32 v18, v18, v10, v11
.LBB569_547:
	s_or_b64 exec, exec, s[10:11]
.LBB569_548:
	s_or_b64 exec, exec, s[8:9]
.LBB569_549:
	s_or_b64 exec, exec, s[2:3]
	v_lshrrev_b16_e32 v10, 8, v12
	v_cmp_ne_u16_e32 vcc, 0, v10
	v_mov_b32_e32 v11, 0
	v_mov_b32_e32 v20, 0
	s_and_saveexec_b64 s[2:3], vcc
	s_cbranch_execz .LBB569_555
; %bb.550:
	s_movk_i32 s7, 0x80
	v_cmp_ne_u16_e32 vcc, s7, v10
	v_bfrev_b32_e32 v20, 1
	s_and_saveexec_b64 s[8:9], vcc
	s_cbranch_execz .LBB569_554
; %bb.551:
	s_movk_i32 s7, 0x7f
	v_and_b32_e32 v19, 0x7f, v10
	v_cmp_ne_u32_e32 vcc, s7, v19
	v_mov_b32_e32 v20, 0x7f800001
	s_and_saveexec_b64 s[10:11], vcc
	s_cbranch_execz .LBB569_553
; %bb.552:
	v_and_b32_e32 v23, 7, v10
	v_ffbh_u32_e32 v20, v23
	v_min_u32_e32 v25, 32, v20
	v_subrev_u32_e32 v20, 28, v25
	v_lshlrev_b64 v[20:21], v20, v[10:11]
	v_lshrrev_b32_e32 v24, 3, v19
	v_sub_u32_e32 v10, 29, v25
	v_and_b32_e32 v20, 7, v20
	v_cmp_gt_u32_e32 vcc, 8, v19
	v_cndmask_b32_e32 v10, v24, v10, vcc
	v_cndmask_b32_e32 v19, v23, v20, vcc
	v_lshlrev_b32_e32 v20, 16, v12
	v_bfrev_b32_e32 v21, 60
	v_lshlrev_b32_e32 v19, 20, v19
	v_and_b32_e32 v20, 0x80000000, v20
	v_lshl_add_u32 v10, v10, 23, v21
	v_or3_b32 v20, v20, v10, v19
.LBB569_553:
	s_or_b64 exec, exec, s[10:11]
.LBB569_554:
	s_or_b64 exec, exec, s[8:9]
.LBB569_555:
	s_or_b64 exec, exec, s[2:3]
	s_movk_i32 s2, 0xff
	v_and_b32_sdwa v19, v12, s2 dst_sel:DWORD dst_unused:UNUSED_PAD src0_sel:WORD_1 src1_sel:DWORD
	v_lshrrev_b32_e32 v10, 16, v12
	v_cmp_ne_u16_e32 vcc, 0, v19
	s_and_saveexec_b64 s[2:3], vcc
	s_cbranch_execz .LBB569_561
; %bb.556:
	s_movk_i32 s7, 0x80
	v_cmp_ne_u16_e32 vcc, s7, v19
	v_bfrev_b32_e32 v11, 1
	s_and_saveexec_b64 s[8:9], vcc
	s_cbranch_execz .LBB569_560
; %bb.557:
	v_bfe_u32 v19, v12, 16, 7
	s_movk_i32 s7, 0x7f
	v_cmp_ne_u32_e32 vcc, s7, v19
	v_mov_b32_e32 v11, 0x7f800001
	s_and_saveexec_b64 s[10:11], vcc
	s_cbranch_execz .LBB569_559
; %bb.558:
	v_and_b32_e32 v21, 7, v10
	v_ffbh_u32_e32 v11, v21
	v_min_u32_e32 v24, 32, v11
	v_subrev_u32_e32 v11, 28, v24
	v_lshlrev_b64 v[10:11], v11, v[10:11]
	v_lshrrev_b32_e32 v23, 3, v19
	v_sub_u32_e32 v11, 29, v24
	v_and_b32_e32 v10, 7, v10
	v_cmp_gt_u32_e32 vcc, 8, v19
	v_mov_b32_e32 v19, 24
	v_cndmask_b32_e32 v11, v23, v11, vcc
	v_cndmask_b32_e32 v10, v21, v10, vcc
	v_lshlrev_b32_sdwa v19, v19, v12 dst_sel:DWORD dst_unused:UNUSED_PAD src0_sel:DWORD src1_sel:WORD_1
	v_bfrev_b32_e32 v21, 60
	v_lshlrev_b32_e32 v10, 20, v10
	v_and_b32_e32 v19, 0x80000000, v19
	v_lshl_add_u32 v11, v11, 23, v21
	v_or3_b32 v11, v19, v11, v10
.LBB569_559:
	s_or_b64 exec, exec, s[10:11]
.LBB569_560:
	s_or_b64 exec, exec, s[8:9]
.LBB569_561:
	s_or_b64 exec, exec, s[2:3]
	s_mov_b32 s2, 0xffffff
	v_cmp_lt_u32_e32 vcc, s2, v12
	v_mov_b32_e32 v21, 0
	v_mov_b32_e32 v23, 0
	s_and_saveexec_b64 s[2:3], vcc
	s_cbranch_execz .LBB569_567
; %bb.562:
	v_lshrrev_b32_e32 v10, 24, v12
	s_movk_i32 s7, 0x80
	v_cmp_ne_u32_e32 vcc, s7, v10
	v_bfrev_b32_e32 v23, 1
	s_and_saveexec_b64 s[8:9], vcc
	s_cbranch_execz .LBB569_566
; %bb.563:
	v_bfe_u32 v12, v12, 24, 7
	s_movk_i32 s7, 0x7f
	v_cmp_ne_u32_e32 vcc, s7, v12
	v_mov_b32_e32 v23, 0x7f800001
	s_and_saveexec_b64 s[10:11], vcc
	s_cbranch_execz .LBB569_565
; %bb.564:
	v_and_b32_e32 v19, 7, v10
	v_ffbh_u32_e32 v24, v19
	v_min_u32_e32 v26, 32, v24
	v_subrev_u32_e32 v24, 28, v26
	v_lshlrev_b64 v[24:25], v24, v[10:11]
	v_lshrrev_b32_e32 v23, 3, v12
	v_sub_u32_e32 v25, 29, v26
	v_and_b32_e32 v24, 7, v24
	v_cmp_gt_u32_e32 vcc, 8, v12
	v_cndmask_b32_e32 v12, v23, v25, vcc
	v_cndmask_b32_e32 v19, v19, v24, vcc
	v_lshlrev_b32_e32 v10, 24, v10
	v_bfrev_b32_e32 v23, 60
	v_lshlrev_b32_e32 v19, 20, v19
	v_and_b32_e32 v10, 0x80000000, v10
	v_lshl_add_u32 v12, v12, 23, v23
	v_or3_b32 v23, v10, v12, v19
.LBB569_565:
	s_or_b64 exec, exec, s[10:11]
.LBB569_566:
	s_or_b64 exec, exec, s[8:9]
.LBB569_567:
	s_or_b64 exec, exec, s[2:3]
	v_cmp_ne_u16_sdwa s[8:9], v13, v21 src0_sel:BYTE_0 src1_sel:DWORD
	s_and_saveexec_b64 s[2:3], s[8:9]
	s_cbranch_execz .LBB569_573
; %bb.568:
	s_movk_i32 s7, 0x80
	v_cmp_ne_u16_sdwa s[10:11], v13, s7 src0_sel:BYTE_0 src1_sel:DWORD
	v_bfrev_b32_e32 v21, 1
	s_and_saveexec_b64 s[8:9], s[10:11]
	s_cbranch_execz .LBB569_572
; %bb.569:
	s_movk_i32 s7, 0x7f
	v_and_b32_e32 v10, 0x7f, v13
	v_cmp_ne_u32_e32 vcc, s7, v10
	v_mov_b32_e32 v21, 0x7f800001
	s_and_saveexec_b64 s[10:11], vcc
	s_cbranch_execz .LBB569_571
; %bb.570:
	v_and_b32_e32 v19, 7, v13
	v_ffbh_u32_e32 v24, v19
	v_min_u32_e32 v26, 32, v24
	v_mov_b32_e32 v12, v13
	v_subrev_u32_e32 v24, 28, v26
	v_lshlrev_b64 v[24:25], v24, v[12:13]
	v_lshrrev_b32_e32 v21, 3, v10
	v_sub_u32_e32 v12, 29, v26
	v_and_b32_e32 v24, 7, v24
	v_cmp_gt_u32_e32 vcc, 8, v10
	v_cndmask_b32_e32 v10, v21, v12, vcc
	v_cndmask_b32_e32 v12, v19, v24, vcc
	v_lshlrev_b32_e32 v19, 24, v13
	v_bfrev_b32_e32 v21, 60
	v_lshlrev_b32_e32 v12, 20, v12
	v_and_b32_e32 v19, 0x80000000, v19
	v_lshl_add_u32 v10, v10, 23, v21
	v_or3_b32 v21, v19, v10, v12
.LBB569_571:
	s_or_b64 exec, exec, s[10:11]
.LBB569_572:
	s_or_b64 exec, exec, s[8:9]
.LBB569_573:
	s_or_b64 exec, exec, s[2:3]
	v_lshrrev_b16_e32 v10, 8, v13
	v_cmp_ne_u16_e32 vcc, 0, v10
	v_mov_b32_e32 v12, 0
	v_mov_b32_e32 v24, 0
	s_and_saveexec_b64 s[2:3], vcc
	s_cbranch_execz .LBB569_579
; %bb.574:
	s_movk_i32 s7, 0x80
	v_cmp_ne_u16_e32 vcc, s7, v10
	v_bfrev_b32_e32 v24, 1
	s_and_saveexec_b64 s[8:9], vcc
	s_cbranch_execz .LBB569_578
; %bb.575:
	s_movk_i32 s7, 0x7f
	v_and_b32_e32 v19, 0x7f, v10
	v_cmp_ne_u32_e32 vcc, s7, v19
	v_mov_b32_e32 v24, 0x7f800001
	s_and_saveexec_b64 s[10:11], vcc
	s_cbranch_execz .LBB569_577
; %bb.576:
	v_and_b32_e32 v26, 7, v10
	v_ffbh_u32_e32 v24, v26
	v_min_u32_e32 v29, 32, v24
	v_subrev_u32_e32 v24, 28, v29
	v_lshlrev_b64 v[24:25], v24, v[10:11]
	v_lshrrev_b32_e32 v27, 3, v19
	v_sub_u32_e32 v10, 29, v29
	v_and_b32_e32 v24, 7, v24
	v_cmp_gt_u32_e32 vcc, 8, v19
	v_cndmask_b32_e32 v10, v27, v10, vcc
	v_cndmask_b32_e32 v19, v26, v24, vcc
	v_lshlrev_b32_e32 v24, 16, v13
	v_bfrev_b32_e32 v25, 60
	v_lshlrev_b32_e32 v19, 20, v19
	v_and_b32_e32 v24, 0x80000000, v24
	v_lshl_add_u32 v10, v10, 23, v25
	v_or3_b32 v24, v24, v10, v19
.LBB569_577:
	s_or_b64 exec, exec, s[10:11]
.LBB569_578:
	s_or_b64 exec, exec, s[8:9]
.LBB569_579:
	s_or_b64 exec, exec, s[2:3]
	s_movk_i32 s2, 0xff
	v_and_b32_sdwa v19, v13, s2 dst_sel:DWORD dst_unused:UNUSED_PAD src0_sel:WORD_1 src1_sel:DWORD
	v_lshrrev_b32_e32 v10, 16, v13
	v_cmp_ne_u16_e32 vcc, 0, v19
	s_and_saveexec_b64 s[2:3], vcc
	s_cbranch_execz .LBB569_585
; %bb.580:
	s_movk_i32 s7, 0x80
	v_cmp_ne_u16_e32 vcc, s7, v19
	v_bfrev_b32_e32 v12, 1
	s_and_saveexec_b64 s[8:9], vcc
	s_cbranch_execz .LBB569_584
; %bb.581:
	v_bfe_u32 v19, v13, 16, 7
	s_movk_i32 s7, 0x7f
	v_cmp_ne_u32_e32 vcc, s7, v19
	v_mov_b32_e32 v12, 0x7f800001
	s_and_saveexec_b64 s[10:11], vcc
	s_cbranch_execz .LBB569_583
; %bb.582:
	v_and_b32_e32 v12, 7, v10
	v_ffbh_u32_e32 v26, v12
	v_min_u32_e32 v29, 32, v26
	v_subrev_u32_e32 v26, 28, v29
	v_lshlrev_b64 v[26:27], v26, v[10:11]
	v_lshrrev_b32_e32 v25, 3, v19
	v_sub_u32_e32 v10, 29, v29
	v_and_b32_e32 v26, 7, v26
	v_cmp_gt_u32_e32 vcc, 8, v19
	v_mov_b32_e32 v19, 24
	v_cndmask_b32_e32 v10, v25, v10, vcc
	v_cndmask_b32_e32 v12, v12, v26, vcc
	v_lshlrev_b32_sdwa v19, v19, v13 dst_sel:DWORD dst_unused:UNUSED_PAD src0_sel:DWORD src1_sel:WORD_1
	v_bfrev_b32_e32 v25, 60
	v_lshlrev_b32_e32 v12, 20, v12
	v_and_b32_e32 v19, 0x80000000, v19
	v_lshl_add_u32 v10, v10, 23, v25
	v_or3_b32 v12, v19, v10, v12
.LBB569_583:
	s_or_b64 exec, exec, s[10:11]
.LBB569_584:
	s_or_b64 exec, exec, s[8:9]
.LBB569_585:
	s_or_b64 exec, exec, s[2:3]
	s_mov_b32 s2, 0xffffff
	v_cmp_lt_u32_e32 vcc, s2, v13
	v_mov_b32_e32 v19, 0
	v_mov_b32_e32 v25, 0
	s_and_saveexec_b64 s[2:3], vcc
	s_cbranch_execz .LBB569_591
; %bb.586:
	v_lshrrev_b32_e32 v10, 24, v13
	s_movk_i32 s7, 0x80
	v_cmp_ne_u32_e32 vcc, s7, v10
	v_bfrev_b32_e32 v25, 1
	s_and_saveexec_b64 s[8:9], vcc
	s_cbranch_execz .LBB569_590
; %bb.587:
	v_bfe_u32 v13, v13, 24, 7
	s_movk_i32 s7, 0x7f
	v_cmp_ne_u32_e32 vcc, s7, v13
	v_mov_b32_e32 v25, 0x7f800001
	s_and_saveexec_b64 s[10:11], vcc
	s_cbranch_execz .LBB569_589
; %bb.588:
	v_and_b32_e32 v25, 7, v10
	v_ffbh_u32_e32 v26, v25
	v_min_u32_e32 v30, 32, v26
	v_subrev_u32_e32 v26, 28, v30
	v_lshlrev_b64 v[26:27], v26, v[10:11]
	v_lshrrev_b32_e32 v29, 3, v13
	v_sub_u32_e32 v27, 29, v30
	v_and_b32_e32 v26, 7, v26
	v_cmp_gt_u32_e32 vcc, 8, v13
	v_cndmask_b32_e32 v13, v29, v27, vcc
	v_cndmask_b32_e32 v25, v25, v26, vcc
	v_lshlrev_b32_e32 v10, 24, v10
	v_bfrev_b32_e32 v26, 60
	v_lshlrev_b32_e32 v25, 20, v25
	v_and_b32_e32 v10, 0x80000000, v10
	v_lshl_add_u32 v13, v13, 23, v26
	v_or3_b32 v25, v10, v13, v25
.LBB569_589:
	s_or_b64 exec, exec, s[10:11]
.LBB569_590:
	s_or_b64 exec, exec, s[8:9]
.LBB569_591:
	s_or_b64 exec, exec, s[2:3]
	v_cvt_pkrtz_f16_f32 v10, v18, v20
	v_cvt_pkrtz_f16_f32 v11, v11, v23
	ds_read_b128 v[30:33], v22 offset:2064
	s_waitcnt vmcnt(1)
	v_cmp_ne_u16_sdwa s[8:9], v6, v19 src0_sel:BYTE_0 src1_sel:DWORD
	s_waitcnt lgkmcnt(0)
	v_mfma_f32_16x16x16f16 v[14:17], v[10:11], v[30:31], v[14:17]
	v_cvt_pkrtz_f16_f32 v10, v21, v24
	v_cvt_pkrtz_f16_f32 v11, v12, v25
	s_nop 1
	v_mfma_f32_16x16x16f16 v[10:13], v[10:11], v[32:33], v[14:17]
	s_and_saveexec_b64 s[2:3], s[8:9]
	s_cbranch_execz .LBB569_597
; %bb.592:
	s_movk_i32 s7, 0x80
	v_cmp_ne_u16_sdwa s[10:11], v6, s7 src0_sel:BYTE_0 src1_sel:DWORD
	v_bfrev_b32_e32 v19, 1
	s_and_saveexec_b64 s[8:9], s[10:11]
	s_cbranch_execz .LBB569_596
; %bb.593:
	s_movk_i32 s7, 0x7f
	v_and_b32_e32 v14, 0x7f, v6
	v_cmp_ne_u32_e32 vcc, s7, v14
	v_mov_b32_e32 v19, 0x7f800001
	s_and_saveexec_b64 s[10:11], vcc
	s_cbranch_execz .LBB569_595
; %bb.594:
	v_and_b32_e32 v15, 7, v6
	v_ffbh_u32_e32 v16, v15
	v_min_u32_e32 v19, 32, v16
	v_subrev_u32_e32 v16, 28, v19
	v_lshlrev_b64 v[16:17], v16, v[6:7]
	v_lshrrev_b32_e32 v18, 3, v14
	v_sub_u32_e32 v17, 29, v19
	v_and_b32_e32 v16, 7, v16
	v_cmp_gt_u32_e32 vcc, 8, v14
	v_cndmask_b32_e32 v14, v18, v17, vcc
	v_cndmask_b32_e32 v15, v15, v16, vcc
	v_lshlrev_b32_e32 v16, 24, v6
	v_bfrev_b32_e32 v17, 60
	v_lshlrev_b32_e32 v15, 20, v15
	v_and_b32_e32 v16, 0x80000000, v16
	v_lshl_add_u32 v14, v14, 23, v17
	v_or3_b32 v19, v16, v14, v15
.LBB569_595:
	s_or_b64 exec, exec, s[10:11]
.LBB569_596:
	s_or_b64 exec, exec, s[8:9]
.LBB569_597:
	s_or_b64 exec, exec, s[2:3]
	s_nop 3
	v_lshrrev_b16_e32 v14, 8, v6
	v_cmp_ne_u16_e32 vcc, 0, v14
	v_mov_b32_e32 v15, 0
	v_mov_b32_e32 v16, 0
	s_and_saveexec_b64 s[2:3], vcc
	s_cbranch_execz .LBB569_603
; %bb.598:
	s_movk_i32 s7, 0x80
	v_cmp_ne_u16_e32 vcc, s7, v14
	v_bfrev_b32_e32 v16, 1
	s_and_saveexec_b64 s[8:9], vcc
	s_cbranch_execz .LBB569_602
; %bb.599:
	s_movk_i32 s7, 0x7f
	v_and_b32_e32 v17, 0x7f, v14
	v_cmp_ne_u32_e32 vcc, s7, v17
	v_mov_b32_e32 v16, 0x7f800001
	s_and_saveexec_b64 s[10:11], vcc
	s_cbranch_execz .LBB569_601
; %bb.600:
	v_and_b32_e32 v16, 7, v14
	v_ffbh_u32_e32 v20, v16
	v_min_u32_e32 v23, 32, v20
	v_subrev_u32_e32 v20, 28, v23
	v_lshlrev_b64 v[20:21], v20, v[14:15]
	v_lshrrev_b32_e32 v18, 3, v17
	v_sub_u32_e32 v14, 29, v23
	v_and_b32_e32 v20, 7, v20
	v_cmp_gt_u32_e32 vcc, 8, v17
	v_cndmask_b32_e32 v14, v18, v14, vcc
	v_cndmask_b32_e32 v16, v16, v20, vcc
	v_lshlrev_b32_e32 v17, 16, v6
	v_bfrev_b32_e32 v18, 60
	v_lshlrev_b32_e32 v16, 20, v16
	v_and_b32_e32 v17, 0x80000000, v17
	v_lshl_add_u32 v14, v14, 23, v18
	v_or3_b32 v16, v17, v14, v16
.LBB569_601:
	s_or_b64 exec, exec, s[10:11]
.LBB569_602:
	s_or_b64 exec, exec, s[8:9]
.LBB569_603:
	s_or_b64 exec, exec, s[2:3]
	s_movk_i32 s2, 0xff
	v_and_b32_sdwa v17, v6, s2 dst_sel:DWORD dst_unused:UNUSED_PAD src0_sel:WORD_1 src1_sel:DWORD
	v_lshrrev_b32_e32 v14, 16, v6
	v_cmp_ne_u16_e32 vcc, 0, v17
	s_and_saveexec_b64 s[2:3], vcc
	s_cbranch_execz .LBB569_609
; %bb.604:
	s_movk_i32 s7, 0x80
	v_cmp_ne_u16_e32 vcc, s7, v17
	v_bfrev_b32_e32 v15, 1
	s_and_saveexec_b64 s[8:9], vcc
	s_cbranch_execz .LBB569_608
; %bb.605:
	v_bfe_u32 v17, v6, 16, 7
	s_movk_i32 s7, 0x7f
	v_cmp_ne_u32_e32 vcc, s7, v17
	v_mov_b32_e32 v15, 0x7f800001
	s_and_saveexec_b64 s[10:11], vcc
	s_cbranch_execz .LBB569_607
; %bb.606:
	v_and_b32_e32 v18, 7, v14
	v_ffbh_u32_e32 v15, v18
	v_min_u32_e32 v21, 32, v15
	v_subrev_u32_e32 v15, 28, v21
	v_lshlrev_b64 v[14:15], v15, v[14:15]
	v_lshrrev_b32_e32 v20, 3, v17
	v_sub_u32_e32 v15, 29, v21
	v_and_b32_e32 v14, 7, v14
	v_cmp_gt_u32_e32 vcc, 8, v17
	v_mov_b32_e32 v17, 24
	v_cndmask_b32_e32 v15, v20, v15, vcc
	v_cndmask_b32_e32 v14, v18, v14, vcc
	v_lshlrev_b32_sdwa v17, v17, v6 dst_sel:DWORD dst_unused:UNUSED_PAD src0_sel:DWORD src1_sel:WORD_1
	v_bfrev_b32_e32 v18, 60
	v_lshlrev_b32_e32 v14, 20, v14
	v_and_b32_e32 v17, 0x80000000, v17
	v_lshl_add_u32 v15, v15, 23, v18
	v_or3_b32 v15, v17, v15, v14
.LBB569_607:
	s_or_b64 exec, exec, s[10:11]
.LBB569_608:
	s_or_b64 exec, exec, s[8:9]
.LBB569_609:
	s_or_b64 exec, exec, s[2:3]
	s_mov_b32 s2, 0xffffff
	v_cmp_lt_u32_e32 vcc, s2, v6
	v_mov_b32_e32 v17, 0
	v_mov_b32_e32 v18, 0
	s_and_saveexec_b64 s[2:3], vcc
	s_cbranch_execz .LBB569_615
; %bb.610:
	v_lshrrev_b32_e32 v14, 24, v6
	s_movk_i32 s7, 0x80
	v_cmp_ne_u32_e32 vcc, s7, v14
	v_bfrev_b32_e32 v18, 1
	s_and_saveexec_b64 s[8:9], vcc
	s_cbranch_execz .LBB569_614
; %bb.611:
	v_bfe_u32 v6, v6, 24, 7
	s_movk_i32 s7, 0x7f
	v_cmp_ne_u32_e32 vcc, s7, v6
	v_mov_b32_e32 v18, 0x7f800001
	s_and_saveexec_b64 s[10:11], vcc
	s_cbranch_execz .LBB569_613
; %bb.612:
	v_and_b32_e32 v18, 7, v14
	v_ffbh_u32_e32 v20, v18
	v_min_u32_e32 v24, 32, v20
	v_subrev_u32_e32 v20, 28, v24
	v_lshlrev_b64 v[20:21], v20, v[14:15]
	v_lshrrev_b32_e32 v23, 3, v6
	v_sub_u32_e32 v21, 29, v24
	v_and_b32_e32 v20, 7, v20
	v_cmp_gt_u32_e32 vcc, 8, v6
	v_cndmask_b32_e32 v6, v23, v21, vcc
	v_cndmask_b32_e32 v18, v18, v20, vcc
	v_lshlrev_b32_e32 v14, 24, v14
	v_bfrev_b32_e32 v20, 60
	v_lshlrev_b32_e32 v18, 20, v18
	v_and_b32_e32 v14, 0x80000000, v14
	v_lshl_add_u32 v6, v6, 23, v20
	v_or3_b32 v18, v14, v6, v18
.LBB569_613:
	s_or_b64 exec, exec, s[10:11]
.LBB569_614:
	s_or_b64 exec, exec, s[8:9]
.LBB569_615:
	s_or_b64 exec, exec, s[2:3]
	v_cmp_ne_u16_sdwa s[8:9], v7, v17 src0_sel:BYTE_0 src1_sel:DWORD
	s_and_saveexec_b64 s[2:3], s[8:9]
	s_cbranch_execz .LBB569_621
; %bb.616:
	s_movk_i32 s7, 0x80
	v_cmp_ne_u16_sdwa s[10:11], v7, s7 src0_sel:BYTE_0 src1_sel:DWORD
	v_bfrev_b32_e32 v17, 1
	s_and_saveexec_b64 s[8:9], s[10:11]
	s_cbranch_execz .LBB569_620
; %bb.617:
	s_movk_i32 s7, 0x7f
	v_and_b32_e32 v6, 0x7f, v7
	v_cmp_ne_u32_e32 vcc, s7, v6
	v_mov_b32_e32 v17, 0x7f800001
	s_and_saveexec_b64 s[10:11], vcc
	s_cbranch_execz .LBB569_619
; %bb.618:
	v_and_b32_e32 v17, 7, v7
	v_ffbh_u32_e32 v20, v17
	v_min_u32_e32 v24, 32, v20
	v_mov_b32_e32 v14, v7
	v_subrev_u32_e32 v20, 28, v24
	v_lshlrev_b64 v[20:21], v20, v[14:15]
	v_lshrrev_b32_e32 v23, 3, v6
	v_sub_u32_e32 v14, 29, v24
	v_and_b32_e32 v20, 7, v20
	v_cmp_gt_u32_e32 vcc, 8, v6
	v_cndmask_b32_e32 v6, v23, v14, vcc
	v_cndmask_b32_e32 v14, v17, v20, vcc
	v_lshlrev_b32_e32 v17, 24, v7
	v_bfrev_b32_e32 v20, 60
	v_lshlrev_b32_e32 v14, 20, v14
	v_and_b32_e32 v17, 0x80000000, v17
	v_lshl_add_u32 v6, v6, 23, v20
	v_or3_b32 v17, v17, v6, v14
.LBB569_619:
	s_or_b64 exec, exec, s[10:11]
.LBB569_620:
	s_or_b64 exec, exec, s[8:9]
.LBB569_621:
	s_or_b64 exec, exec, s[2:3]
	v_lshrrev_b16_e32 v6, 8, v7
	v_cmp_ne_u16_e32 vcc, 0, v6
	v_mov_b32_e32 v20, 0
	v_mov_b32_e32 v21, 0
	s_and_saveexec_b64 s[2:3], vcc
	s_cbranch_execz .LBB569_627
; %bb.622:
	s_movk_i32 s7, 0x80
	v_cmp_ne_u16_e32 vcc, s7, v6
	v_bfrev_b32_e32 v21, 1
	s_and_saveexec_b64 s[8:9], vcc
	s_cbranch_execz .LBB569_626
; %bb.623:
	s_movk_i32 s7, 0x7f
	v_and_b32_e32 v14, 0x7f, v6
	v_cmp_ne_u32_e32 vcc, s7, v14
	v_mov_b32_e32 v21, 0x7f800001
	s_and_saveexec_b64 s[10:11], vcc
	s_cbranch_execz .LBB569_625
; %bb.624:
	v_and_b32_e32 v21, 7, v6
	v_ffbh_u32_e32 v24, v21
	v_min_u32_e32 v26, 32, v24
	v_subrev_u32_e32 v24, 28, v26
	v_lshlrev_b64 v[24:25], v24, v[6:7]
	v_lshrrev_b32_e32 v23, 3, v14
	v_sub_u32_e32 v6, 29, v26
	v_and_b32_e32 v24, 7, v24
	v_cmp_gt_u32_e32 vcc, 8, v14
	v_cndmask_b32_e32 v6, v23, v6, vcc
	v_cndmask_b32_e32 v14, v21, v24, vcc
	v_lshlrev_b32_e32 v21, 16, v7
	v_bfrev_b32_e32 v23, 60
	v_lshlrev_b32_e32 v14, 20, v14
	v_and_b32_e32 v21, 0x80000000, v21
	v_lshl_add_u32 v6, v6, 23, v23
	v_or3_b32 v21, v21, v6, v14
.LBB569_625:
	s_or_b64 exec, exec, s[10:11]
.LBB569_626:
	s_or_b64 exec, exec, s[8:9]
.LBB569_627:
	s_or_b64 exec, exec, s[2:3]
	s_movk_i32 s2, 0xff
	v_and_b32_sdwa v14, v7, s2 dst_sel:DWORD dst_unused:UNUSED_PAD src0_sel:WORD_1 src1_sel:DWORD
	v_lshrrev_b32_e32 v6, 16, v7
	v_cmp_ne_u16_e32 vcc, 0, v14
	s_and_saveexec_b64 s[2:3], vcc
	s_cbranch_execz .LBB569_633
; %bb.628:
	s_movk_i32 s7, 0x80
	v_cmp_ne_u16_e32 vcc, s7, v14
	v_bfrev_b32_e32 v20, 1
	s_and_saveexec_b64 s[8:9], vcc
	s_cbranch_execz .LBB569_632
; %bb.629:
	v_bfe_u32 v14, v7, 16, 7
	s_movk_i32 s7, 0x7f
	v_cmp_ne_u32_e32 vcc, s7, v14
	v_mov_b32_e32 v20, 0x7f800001
	s_and_saveexec_b64 s[10:11], vcc
	s_cbranch_execz .LBB569_631
; %bb.630:
	v_and_b32_e32 v20, 7, v6
	v_ffbh_u32_e32 v24, v20
	v_min_u32_e32 v26, 32, v24
	v_subrev_u32_e32 v24, 28, v26
	v_lshlrev_b64 v[24:25], v24, v[6:7]
	v_and_b32_e32 v24, 7, v24
	v_cmp_gt_u32_e32 vcc, 8, v14
	v_lshrrev_b32_e32 v23, 3, v14
	v_sub_u32_e32 v6, 29, v26
	v_cndmask_b32_e32 v14, v20, v24, vcc
	v_mov_b32_e32 v20, 24
	v_cndmask_b32_e32 v6, v23, v6, vcc
	v_lshlrev_b32_sdwa v20, v20, v7 dst_sel:DWORD dst_unused:UNUSED_PAD src0_sel:DWORD src1_sel:WORD_1
	v_bfrev_b32_e32 v23, 60
	v_lshlrev_b32_e32 v14, 20, v14
	v_and_b32_e32 v20, 0x80000000, v20
	v_lshl_add_u32 v6, v6, 23, v23
	v_or3_b32 v20, v20, v6, v14
.LBB569_631:
	s_or_b64 exec, exec, s[10:11]
.LBB569_632:
	s_or_b64 exec, exec, s[8:9]
.LBB569_633:
	s_or_b64 exec, exec, s[2:3]
	s_mov_b32 s2, 0xffffff
	v_cmp_lt_u32_e32 vcc, s2, v7
	v_mov_b32_e32 v14, 0
	v_mov_b32_e32 v23, 0
	s_and_saveexec_b64 s[2:3], vcc
	s_cbranch_execz .LBB569_639
; %bb.634:
	v_lshrrev_b32_e32 v6, 24, v7
	s_movk_i32 s7, 0x80
	v_cmp_ne_u32_e32 vcc, s7, v6
	v_bfrev_b32_e32 v23, 1
	s_and_saveexec_b64 s[8:9], vcc
	s_cbranch_execz .LBB569_638
; %bb.635:
	v_bfe_u32 v7, v7, 24, 7
	s_movk_i32 s7, 0x7f
	v_cmp_ne_u32_e32 vcc, s7, v7
	v_mov_b32_e32 v23, 0x7f800001
	s_and_saveexec_b64 s[10:11], vcc
	s_cbranch_execz .LBB569_637
; %bb.636:
	v_and_b32_e32 v23, 7, v6
	v_ffbh_u32_e32 v24, v23
	v_min_u32_e32 v27, 32, v24
	v_subrev_u32_e32 v24, 28, v27
	v_lshlrev_b64 v[24:25], v24, v[6:7]
	v_lshrrev_b32_e32 v26, 3, v7
	v_sub_u32_e32 v25, 29, v27
	v_and_b32_e32 v24, 7, v24
	v_cmp_gt_u32_e32 vcc, 8, v7
	v_cndmask_b32_e32 v7, v26, v25, vcc
	v_cndmask_b32_e32 v23, v23, v24, vcc
	v_lshlrev_b32_e32 v6, 24, v6
	v_bfrev_b32_e32 v24, 60
	v_lshlrev_b32_e32 v23, 20, v23
	v_and_b32_e32 v6, 0x80000000, v6
	v_lshl_add_u32 v7, v7, 23, v24
	v_or3_b32 v23, v6, v7, v23
.LBB569_637:
	s_or_b64 exec, exec, s[10:11]
.LBB569_638:
	s_or_b64 exec, exec, s[8:9]
.LBB569_639:
	s_or_b64 exec, exec, s[2:3]
	v_cvt_pkrtz_f16_f32 v6, v19, v16
	v_cvt_pkrtz_f16_f32 v7, v15, v18
	ds_read_b128 v[24:27], v22 offset:4096
	v_cmp_ne_u16_sdwa s[8:9], v8, v14 src0_sel:BYTE_0 src1_sel:DWORD
	s_waitcnt lgkmcnt(0)
	v_mfma_f32_16x16x16f16 v[10:13], v[6:7], v[24:25], v[10:13]
	v_cvt_pkrtz_f16_f32 v6, v17, v21
	v_cvt_pkrtz_f16_f32 v7, v20, v23
	s_nop 1
	v_mfma_f32_16x16x16f16 v[10:13], v[6:7], v[26:27], v[10:13]
	s_and_saveexec_b64 s[2:3], s[8:9]
	s_cbranch_execz .LBB569_645
; %bb.640:
	s_movk_i32 s7, 0x80
	v_cmp_ne_u16_sdwa s[10:11], v8, s7 src0_sel:BYTE_0 src1_sel:DWORD
	v_bfrev_b32_e32 v14, 1
	s_and_saveexec_b64 s[8:9], s[10:11]
	s_cbranch_execz .LBB569_644
; %bb.641:
	s_movk_i32 s7, 0x7f
	v_and_b32_e32 v6, 0x7f, v8
	v_cmp_ne_u32_e32 vcc, s7, v6
	v_mov_b32_e32 v14, 0x7f800001
	s_and_saveexec_b64 s[10:11], vcc
	s_cbranch_execz .LBB569_643
; %bb.642:
	v_and_b32_e32 v7, 7, v8
	v_ffbh_u32_e32 v14, v7
	v_min_u32_e32 v17, 32, v14
	v_subrev_u32_e32 v14, 28, v17
	v_lshlrev_b64 v[14:15], v14, v[8:9]
	v_lshrrev_b32_e32 v16, 3, v6
	v_sub_u32_e32 v15, 29, v17
	v_and_b32_e32 v14, 7, v14
	v_cmp_gt_u32_e32 vcc, 8, v6
	v_cndmask_b32_e32 v6, v16, v15, vcc
	v_cndmask_b32_e32 v7, v7, v14, vcc
	v_lshlrev_b32_e32 v14, 24, v8
	v_bfrev_b32_e32 v15, 60
	v_lshlrev_b32_e32 v7, 20, v7
	v_and_b32_e32 v14, 0x80000000, v14
	v_lshl_add_u32 v6, v6, 23, v15
	v_or3_b32 v14, v14, v6, v7
.LBB569_643:
	s_or_b64 exec, exec, s[10:11]
.LBB569_644:
	s_or_b64 exec, exec, s[8:9]
.LBB569_645:
	s_or_b64 exec, exec, s[2:3]
	v_lshrrev_b16_e32 v6, 8, v8
	v_cmp_ne_u16_e32 vcc, 0, v6
	v_mov_b32_e32 v7, 0
	v_mov_b32_e32 v16, 0
	s_and_saveexec_b64 s[2:3], vcc
	s_cbranch_execz .LBB569_651
; %bb.646:
	s_movk_i32 s7, 0x80
	v_cmp_ne_u16_e32 vcc, s7, v6
	v_bfrev_b32_e32 v16, 1
	s_and_saveexec_b64 s[8:9], vcc
	s_cbranch_execz .LBB569_650
; %bb.647:
	s_movk_i32 s7, 0x7f
	v_and_b32_e32 v15, 0x7f, v6
	v_cmp_ne_u32_e32 vcc, s7, v15
	v_mov_b32_e32 v16, 0x7f800001
	s_and_saveexec_b64 s[10:11], vcc
	s_cbranch_execz .LBB569_649
; %bb.648:
	v_and_b32_e32 v18, 7, v6
	v_ffbh_u32_e32 v16, v18
	v_min_u32_e32 v20, 32, v16
	v_subrev_u32_e32 v16, 28, v20
	v_lshlrev_b64 v[16:17], v16, v[6:7]
	v_lshrrev_b32_e32 v19, 3, v15
	v_sub_u32_e32 v6, 29, v20
	v_and_b32_e32 v16, 7, v16
	v_cmp_gt_u32_e32 vcc, 8, v15
	v_cndmask_b32_e32 v6, v19, v6, vcc
	v_cndmask_b32_e32 v15, v18, v16, vcc
	v_lshlrev_b32_e32 v16, 16, v8
	v_bfrev_b32_e32 v17, 60
	v_lshlrev_b32_e32 v15, 20, v15
	v_and_b32_e32 v16, 0x80000000, v16
	v_lshl_add_u32 v6, v6, 23, v17
	v_or3_b32 v16, v16, v6, v15
.LBB569_649:
	s_or_b64 exec, exec, s[10:11]
.LBB569_650:
	s_or_b64 exec, exec, s[8:9]
.LBB569_651:
	s_or_b64 exec, exec, s[2:3]
	s_movk_i32 s2, 0xff
	v_and_b32_sdwa v15, v8, s2 dst_sel:DWORD dst_unused:UNUSED_PAD src0_sel:WORD_1 src1_sel:DWORD
	v_lshrrev_b32_e32 v6, 16, v8
	v_cmp_ne_u16_e32 vcc, 0, v15
	s_and_saveexec_b64 s[2:3], vcc
	s_cbranch_execz .LBB569_657
; %bb.652:
	s_movk_i32 s7, 0x80
	v_cmp_ne_u16_e32 vcc, s7, v15
	v_bfrev_b32_e32 v7, 1
	s_and_saveexec_b64 s[8:9], vcc
	s_cbranch_execz .LBB569_656
; %bb.653:
	v_bfe_u32 v15, v8, 16, 7
	s_movk_i32 s7, 0x7f
	v_cmp_ne_u32_e32 vcc, s7, v15
	v_mov_b32_e32 v7, 0x7f800001
	s_and_saveexec_b64 s[10:11], vcc
	s_cbranch_execz .LBB569_655
; %bb.654:
	v_and_b32_e32 v17, 7, v6
	v_ffbh_u32_e32 v7, v17
	v_min_u32_e32 v19, 32, v7
	v_subrev_u32_e32 v7, 28, v19
	v_lshlrev_b64 v[6:7], v7, v[6:7]
	v_lshrrev_b32_e32 v18, 3, v15
	v_sub_u32_e32 v7, 29, v19
	v_and_b32_e32 v6, 7, v6
	v_cmp_gt_u32_e32 vcc, 8, v15
	v_mov_b32_e32 v15, 24
	v_cndmask_b32_e32 v7, v18, v7, vcc
	v_cndmask_b32_e32 v6, v17, v6, vcc
	v_lshlrev_b32_sdwa v15, v15, v8 dst_sel:DWORD dst_unused:UNUSED_PAD src0_sel:DWORD src1_sel:WORD_1
	v_bfrev_b32_e32 v17, 60
	v_lshlrev_b32_e32 v6, 20, v6
	v_and_b32_e32 v15, 0x80000000, v15
	v_lshl_add_u32 v7, v7, 23, v17
	v_or3_b32 v7, v15, v7, v6
.LBB569_655:
	s_or_b64 exec, exec, s[10:11]
.LBB569_656:
	s_or_b64 exec, exec, s[8:9]
.LBB569_657:
	s_or_b64 exec, exec, s[2:3]
	s_mov_b32 s2, 0xffffff
	v_cmp_lt_u32_e32 vcc, s2, v8
	v_mov_b32_e32 v17, 0
	v_mov_b32_e32 v18, 0
	s_and_saveexec_b64 s[2:3], vcc
	s_cbranch_execz .LBB569_663
; %bb.658:
	v_lshrrev_b32_e32 v6, 24, v8
	s_movk_i32 s7, 0x80
	v_cmp_ne_u32_e32 vcc, s7, v6
	v_bfrev_b32_e32 v18, 1
	s_and_saveexec_b64 s[8:9], vcc
	s_cbranch_execz .LBB569_662
; %bb.659:
	v_bfe_u32 v8, v8, 24, 7
	s_movk_i32 s7, 0x7f
	v_cmp_ne_u32_e32 vcc, s7, v8
	v_mov_b32_e32 v18, 0x7f800001
	s_and_saveexec_b64 s[10:11], vcc
	s_cbranch_execz .LBB569_661
; %bb.660:
	v_and_b32_e32 v15, 7, v6
	v_ffbh_u32_e32 v18, v15
	v_min_u32_e32 v21, 32, v18
	v_subrev_u32_e32 v18, 28, v21
	v_lshlrev_b64 v[18:19], v18, v[6:7]
	v_lshrrev_b32_e32 v20, 3, v8
	v_sub_u32_e32 v19, 29, v21
	v_and_b32_e32 v18, 7, v18
	v_cmp_gt_u32_e32 vcc, 8, v8
	v_cndmask_b32_e32 v8, v20, v19, vcc
	v_cndmask_b32_e32 v15, v15, v18, vcc
	v_lshlrev_b32_e32 v6, 24, v6
	v_bfrev_b32_e32 v18, 60
	v_lshlrev_b32_e32 v15, 20, v15
	v_and_b32_e32 v6, 0x80000000, v6
	v_lshl_add_u32 v8, v8, 23, v18
	v_or3_b32 v18, v6, v8, v15
.LBB569_661:
	s_or_b64 exec, exec, s[10:11]
.LBB569_662:
	s_or_b64 exec, exec, s[8:9]
.LBB569_663:
	s_or_b64 exec, exec, s[2:3]
	v_cmp_ne_u16_sdwa s[8:9], v9, v17 src0_sel:BYTE_0 src1_sel:DWORD
	s_and_saveexec_b64 s[2:3], s[8:9]
	s_cbranch_execz .LBB569_669
; %bb.664:
	s_movk_i32 s7, 0x80
	v_cmp_ne_u16_sdwa s[10:11], v9, s7 src0_sel:BYTE_0 src1_sel:DWORD
	v_bfrev_b32_e32 v17, 1
	s_and_saveexec_b64 s[8:9], s[10:11]
	s_cbranch_execz .LBB569_668
; %bb.665:
	s_movk_i32 s7, 0x7f
	v_and_b32_e32 v6, 0x7f, v9
	v_cmp_ne_u32_e32 vcc, s7, v6
	v_mov_b32_e32 v17, 0x7f800001
	s_and_saveexec_b64 s[10:11], vcc
	s_cbranch_execz .LBB569_667
; %bb.666:
	v_and_b32_e32 v15, 7, v9
	v_ffbh_u32_e32 v19, v15
	v_min_u32_e32 v19, 32, v19
	v_mov_b32_e32 v8, v9
	v_subrev_u32_e32 v20, 28, v19
	v_lshlrev_b64 v[20:21], v20, v[8:9]
	v_lshrrev_b32_e32 v17, 3, v6
	v_sub_u32_e32 v8, 29, v19
	v_and_b32_e32 v19, 7, v20
	v_cmp_gt_u32_e32 vcc, 8, v6
	v_cndmask_b32_e32 v6, v17, v8, vcc
	v_cndmask_b32_e32 v8, v15, v19, vcc
	v_lshlrev_b32_e32 v15, 24, v9
	v_bfrev_b32_e32 v17, 60
	v_lshlrev_b32_e32 v8, 20, v8
	v_and_b32_e32 v15, 0x80000000, v15
	v_lshl_add_u32 v6, v6, 23, v17
	v_or3_b32 v17, v15, v6, v8
.LBB569_667:
	s_or_b64 exec, exec, s[10:11]
.LBB569_668:
	s_or_b64 exec, exec, s[8:9]
.LBB569_669:
	s_or_b64 exec, exec, s[2:3]
	v_lshrrev_b16_e32 v6, 8, v9
	v_cmp_ne_u16_e32 vcc, 0, v6
	v_mov_b32_e32 v8, 0
	v_mov_b32_e32 v19, 0
	s_and_saveexec_b64 s[2:3], vcc
	s_cbranch_execz .LBB569_675
; %bb.670:
	s_movk_i32 s7, 0x80
	v_cmp_ne_u16_e32 vcc, s7, v6
	v_bfrev_b32_e32 v19, 1
	s_and_saveexec_b64 s[8:9], vcc
	s_cbranch_execz .LBB569_674
; %bb.671:
	s_movk_i32 s7, 0x7f
	v_and_b32_e32 v15, 0x7f, v6
	v_cmp_ne_u32_e32 vcc, s7, v15
	v_mov_b32_e32 v19, 0x7f800001
	s_and_saveexec_b64 s[10:11], vcc
	s_cbranch_execz .LBB569_673
; %bb.672:
	v_and_b32_e32 v19, 7, v6
	v_ffbh_u32_e32 v20, v19
	v_min_u32_e32 v24, 32, v20
	v_subrev_u32_e32 v20, 28, v24
	v_lshlrev_b64 v[20:21], v20, v[6:7]
	v_lshrrev_b32_e32 v23, 3, v15
	v_sub_u32_e32 v6, 29, v24
	v_and_b32_e32 v20, 7, v20
	v_cmp_gt_u32_e32 vcc, 8, v15
	v_cndmask_b32_e32 v6, v23, v6, vcc
	v_cndmask_b32_e32 v15, v19, v20, vcc
	v_lshlrev_b32_e32 v19, 16, v9
	v_bfrev_b32_e32 v20, 60
	v_lshlrev_b32_e32 v15, 20, v15
	v_and_b32_e32 v19, 0x80000000, v19
	v_lshl_add_u32 v6, v6, 23, v20
	v_or3_b32 v19, v19, v6, v15
.LBB569_673:
	s_or_b64 exec, exec, s[10:11]
.LBB569_674:
	s_or_b64 exec, exec, s[8:9]
.LBB569_675:
	s_or_b64 exec, exec, s[2:3]
	s_movk_i32 s2, 0xff
	v_and_b32_sdwa v15, v9, s2 dst_sel:DWORD dst_unused:UNUSED_PAD src0_sel:WORD_1 src1_sel:DWORD
	v_lshrrev_b32_e32 v6, 16, v9
	v_cmp_ne_u16_e32 vcc, 0, v15
	s_and_saveexec_b64 s[2:3], vcc
	s_cbranch_execz .LBB569_681
; %bb.676:
	s_movk_i32 s7, 0x80
	v_cmp_ne_u16_e32 vcc, s7, v15
	v_bfrev_b32_e32 v8, 1
	s_and_saveexec_b64 s[8:9], vcc
	s_cbranch_execz .LBB569_680
; %bb.677:
	v_bfe_u32 v15, v9, 16, 7
	s_movk_i32 s7, 0x7f
	v_cmp_ne_u32_e32 vcc, s7, v15
	v_mov_b32_e32 v8, 0x7f800001
	s_and_saveexec_b64 s[10:11], vcc
	s_cbranch_execz .LBB569_679
; %bb.678:
	v_and_b32_e32 v8, 7, v6
	v_ffbh_u32_e32 v20, v8
	v_min_u32_e32 v24, 32, v20
	v_subrev_u32_e32 v20, 28, v24
	v_lshlrev_b64 v[20:21], v20, v[6:7]
	v_lshrrev_b32_e32 v23, 3, v15
	v_sub_u32_e32 v6, 29, v24
	v_and_b32_e32 v20, 7, v20
	v_cmp_gt_u32_e32 vcc, 8, v15
	v_mov_b32_e32 v15, 24
	v_cndmask_b32_e32 v6, v23, v6, vcc
	v_cndmask_b32_e32 v8, v8, v20, vcc
	v_lshlrev_b32_sdwa v15, v15, v9 dst_sel:DWORD dst_unused:UNUSED_PAD src0_sel:DWORD src1_sel:WORD_1
	v_bfrev_b32_e32 v20, 60
	v_lshlrev_b32_e32 v8, 20, v8
	v_and_b32_e32 v15, 0x80000000, v15
	v_lshl_add_u32 v6, v6, 23, v20
	v_or3_b32 v8, v15, v6, v8
.LBB569_679:
	s_or_b64 exec, exec, s[10:11]
.LBB569_680:
	s_or_b64 exec, exec, s[8:9]
.LBB569_681:
	s_or_b64 exec, exec, s[2:3]
	s_mov_b32 s2, 0xffffff
	v_cmp_lt_u32_e32 vcc, s2, v9
	v_mov_b32_e32 v15, 0
	v_mov_b32_e32 v20, 0
	s_and_saveexec_b64 s[2:3], vcc
	s_cbranch_execz .LBB569_687
; %bb.682:
	v_lshrrev_b32_e32 v6, 24, v9
	s_movk_i32 s7, 0x80
	v_cmp_ne_u32_e32 vcc, s7, v6
	v_bfrev_b32_e32 v20, 1
	s_and_saveexec_b64 s[8:9], vcc
	s_cbranch_execz .LBB569_686
; %bb.683:
	v_bfe_u32 v9, v9, 24, 7
	s_movk_i32 s7, 0x7f
	v_cmp_ne_u32_e32 vcc, s7, v9
	v_mov_b32_e32 v20, 0x7f800001
	s_and_saveexec_b64 s[10:11], vcc
	s_cbranch_execz .LBB569_685
; %bb.684:
	v_and_b32_e32 v23, 7, v6
	v_ffbh_u32_e32 v20, v23
	v_min_u32_e32 v25, 32, v20
	v_subrev_u32_e32 v20, 28, v25
	v_lshlrev_b64 v[20:21], v20, v[6:7]
	v_lshrrev_b32_e32 v24, 3, v9
	v_sub_u32_e32 v21, 29, v25
	v_and_b32_e32 v20, 7, v20
	v_cmp_gt_u32_e32 vcc, 8, v9
	v_cndmask_b32_e32 v9, v24, v21, vcc
	v_cndmask_b32_e32 v20, v23, v20, vcc
	v_lshlrev_b32_e32 v6, 24, v6
	v_bfrev_b32_e32 v21, 60
	v_lshlrev_b32_e32 v20, 20, v20
	v_and_b32_e32 v6, 0x80000000, v6
	v_lshl_add_u32 v9, v9, 23, v21
	v_or3_b32 v20, v6, v9, v20
.LBB569_685:
	s_or_b64 exec, exec, s[10:11]
.LBB569_686:
	s_or_b64 exec, exec, s[8:9]
.LBB569_687:
	s_or_b64 exec, exec, s[2:3]
	v_cvt_pkrtz_f16_f32 v6, v14, v16
	v_cvt_pkrtz_f16_f32 v7, v7, v18
	ds_read_b128 v[24:27], v22 offset:4112
	s_waitcnt vmcnt(0)
	v_cmp_ne_u16_sdwa s[8:9], v2, v15 src0_sel:BYTE_0 src1_sel:DWORD
	s_waitcnt lgkmcnt(0)
	v_mfma_f32_16x16x16f16 v[10:13], v[6:7], v[24:25], v[10:13]
	v_cvt_pkrtz_f16_f32 v6, v17, v19
	v_cvt_pkrtz_f16_f32 v7, v8, v20
	s_nop 1
	v_mfma_f32_16x16x16f16 v[6:9], v[6:7], v[26:27], v[10:13]
	s_and_saveexec_b64 s[2:3], s[8:9]
	s_cbranch_execz .LBB569_693
; %bb.688:
	s_movk_i32 s7, 0x80
	v_cmp_ne_u16_sdwa s[10:11], v2, s7 src0_sel:BYTE_0 src1_sel:DWORD
	v_bfrev_b32_e32 v15, 1
	s_and_saveexec_b64 s[8:9], s[10:11]
	s_cbranch_execz .LBB569_692
; %bb.689:
	s_movk_i32 s7, 0x7f
	v_and_b32_e32 v10, 0x7f, v2
	v_cmp_ne_u32_e32 vcc, s7, v10
	v_mov_b32_e32 v15, 0x7f800001
	s_and_saveexec_b64 s[10:11], vcc
	s_cbranch_execz .LBB569_691
; %bb.690:
	v_and_b32_e32 v11, 7, v2
	v_ffbh_u32_e32 v12, v11
	v_min_u32_e32 v15, 32, v12
	v_subrev_u32_e32 v12, 28, v15
	v_lshlrev_b64 v[12:13], v12, v[2:3]
	v_lshrrev_b32_e32 v14, 3, v10
	v_sub_u32_e32 v13, 29, v15
	v_and_b32_e32 v12, 7, v12
	v_cmp_gt_u32_e32 vcc, 8, v10
	v_cndmask_b32_e32 v10, v14, v13, vcc
	v_cndmask_b32_e32 v11, v11, v12, vcc
	v_lshlrev_b32_e32 v12, 24, v2
	v_bfrev_b32_e32 v13, 60
	v_lshlrev_b32_e32 v11, 20, v11
	v_and_b32_e32 v12, 0x80000000, v12
	v_lshl_add_u32 v10, v10, 23, v13
	v_or3_b32 v15, v12, v10, v11
.LBB569_691:
	s_or_b64 exec, exec, s[10:11]
.LBB569_692:
	s_or_b64 exec, exec, s[8:9]
.LBB569_693:
	s_or_b64 exec, exec, s[2:3]
	s_nop 3
	v_lshrrev_b16_e32 v10, 8, v2
	v_cmp_ne_u16_e32 vcc, 0, v10
	v_mov_b32_e32 v11, 0
	v_mov_b32_e32 v12, 0
	s_and_saveexec_b64 s[2:3], vcc
	s_cbranch_execz .LBB569_699
; %bb.694:
	s_movk_i32 s7, 0x80
	v_cmp_ne_u16_e32 vcc, s7, v10
	v_bfrev_b32_e32 v12, 1
	s_and_saveexec_b64 s[8:9], vcc
	s_cbranch_execz .LBB569_698
; %bb.695:
	s_movk_i32 s7, 0x7f
	v_and_b32_e32 v13, 0x7f, v10
	v_cmp_ne_u32_e32 vcc, s7, v13
	v_mov_b32_e32 v12, 0x7f800001
	s_and_saveexec_b64 s[10:11], vcc
	s_cbranch_execz .LBB569_697
; %bb.696:
	v_and_b32_e32 v12, 7, v10
	v_ffbh_u32_e32 v16, v12
	v_min_u32_e32 v18, 32, v16
	v_subrev_u32_e32 v16, 28, v18
	v_lshlrev_b64 v[16:17], v16, v[10:11]
	v_lshrrev_b32_e32 v14, 3, v13
	v_sub_u32_e32 v10, 29, v18
	v_and_b32_e32 v16, 7, v16
	v_cmp_gt_u32_e32 vcc, 8, v13
	v_cndmask_b32_e32 v10, v14, v10, vcc
	v_cndmask_b32_e32 v12, v12, v16, vcc
	v_lshlrev_b32_e32 v13, 16, v2
	v_bfrev_b32_e32 v14, 60
	v_lshlrev_b32_e32 v12, 20, v12
	v_and_b32_e32 v13, 0x80000000, v13
	v_lshl_add_u32 v10, v10, 23, v14
	v_or3_b32 v12, v13, v10, v12
.LBB569_697:
	s_or_b64 exec, exec, s[10:11]
.LBB569_698:
	s_or_b64 exec, exec, s[8:9]
.LBB569_699:
	s_or_b64 exec, exec, s[2:3]
	s_movk_i32 s2, 0xff
	v_and_b32_sdwa v13, v2, s2 dst_sel:DWORD dst_unused:UNUSED_PAD src0_sel:WORD_1 src1_sel:DWORD
	v_lshrrev_b32_e32 v10, 16, v2
	v_cmp_ne_u16_e32 vcc, 0, v13
	s_and_saveexec_b64 s[2:3], vcc
	s_cbranch_execz .LBB569_705
; %bb.700:
	s_movk_i32 s7, 0x80
	v_cmp_ne_u16_e32 vcc, s7, v13
	v_bfrev_b32_e32 v11, 1
	s_and_saveexec_b64 s[8:9], vcc
	s_cbranch_execz .LBB569_704
; %bb.701:
	v_bfe_u32 v13, v2, 16, 7
	s_movk_i32 s7, 0x7f
	v_cmp_ne_u32_e32 vcc, s7, v13
	v_mov_b32_e32 v11, 0x7f800001
	s_and_saveexec_b64 s[10:11], vcc
	s_cbranch_execz .LBB569_703
; %bb.702:
	v_and_b32_e32 v14, 7, v10
	v_ffbh_u32_e32 v11, v14
	v_min_u32_e32 v17, 32, v11
	v_subrev_u32_e32 v11, 28, v17
	v_lshlrev_b64 v[10:11], v11, v[10:11]
	v_lshrrev_b32_e32 v16, 3, v13
	v_sub_u32_e32 v11, 29, v17
	v_and_b32_e32 v10, 7, v10
	v_cmp_gt_u32_e32 vcc, 8, v13
	v_mov_b32_e32 v13, 24
	v_cndmask_b32_e32 v11, v16, v11, vcc
	v_cndmask_b32_e32 v10, v14, v10, vcc
	v_lshlrev_b32_sdwa v13, v13, v2 dst_sel:DWORD dst_unused:UNUSED_PAD src0_sel:DWORD src1_sel:WORD_1
	v_bfrev_b32_e32 v14, 60
	v_lshlrev_b32_e32 v10, 20, v10
	v_and_b32_e32 v13, 0x80000000, v13
	v_lshl_add_u32 v11, v11, 23, v14
	v_or3_b32 v11, v13, v11, v10
.LBB569_703:
	s_or_b64 exec, exec, s[10:11]
.LBB569_704:
	s_or_b64 exec, exec, s[8:9]
.LBB569_705:
	s_or_b64 exec, exec, s[2:3]
	s_mov_b32 s2, 0xffffff
	v_cmp_lt_u32_e32 vcc, s2, v2
	v_mov_b32_e32 v13, 0
	v_mov_b32_e32 v14, 0
	s_and_saveexec_b64 s[2:3], vcc
	s_cbranch_execz .LBB569_711
; %bb.706:
	v_lshrrev_b32_e32 v10, 24, v2
	s_movk_i32 s7, 0x80
	v_cmp_ne_u32_e32 vcc, s7, v10
	v_bfrev_b32_e32 v14, 1
	s_and_saveexec_b64 s[8:9], vcc
	s_cbranch_execz .LBB569_710
; %bb.707:
	v_bfe_u32 v2, v2, 24, 7
	s_movk_i32 s7, 0x7f
	v_cmp_ne_u32_e32 vcc, s7, v2
	v_mov_b32_e32 v14, 0x7f800001
	s_and_saveexec_b64 s[10:11], vcc
	s_cbranch_execz .LBB569_709
; %bb.708:
	v_and_b32_e32 v14, 7, v10
	v_ffbh_u32_e32 v16, v14
	v_min_u32_e32 v19, 32, v16
	v_subrev_u32_e32 v16, 28, v19
	v_lshlrev_b64 v[16:17], v16, v[10:11]
	v_lshrrev_b32_e32 v18, 3, v2
	v_sub_u32_e32 v17, 29, v19
	v_and_b32_e32 v16, 7, v16
	v_cmp_gt_u32_e32 vcc, 8, v2
	v_cndmask_b32_e32 v2, v18, v17, vcc
	v_cndmask_b32_e32 v14, v14, v16, vcc
	v_lshlrev_b32_e32 v10, 24, v10
	v_bfrev_b32_e32 v16, 60
	v_lshlrev_b32_e32 v14, 20, v14
	v_and_b32_e32 v10, 0x80000000, v10
	v_lshl_add_u32 v2, v2, 23, v16
	v_or3_b32 v14, v10, v2, v14
.LBB569_709:
	s_or_b64 exec, exec, s[10:11]
.LBB569_710:
	s_or_b64 exec, exec, s[8:9]
.LBB569_711:
	s_or_b64 exec, exec, s[2:3]
	v_cmp_ne_u16_sdwa s[8:9], v3, v13 src0_sel:BYTE_0 src1_sel:DWORD
	s_and_saveexec_b64 s[2:3], s[8:9]
	s_cbranch_execz .LBB569_717
; %bb.712:
	s_movk_i32 s7, 0x80
	v_cmp_ne_u16_sdwa s[10:11], v3, s7 src0_sel:BYTE_0 src1_sel:DWORD
	v_bfrev_b32_e32 v13, 1
	s_and_saveexec_b64 s[8:9], s[10:11]
	s_cbranch_execz .LBB569_716
; %bb.713:
	s_movk_i32 s7, 0x7f
	v_and_b32_e32 v2, 0x7f, v3
	v_cmp_ne_u32_e32 vcc, s7, v2
	v_mov_b32_e32 v13, 0x7f800001
	s_and_saveexec_b64 s[10:11], vcc
	s_cbranch_execz .LBB569_715
; %bb.714:
	v_and_b32_e32 v13, 7, v3
	v_ffbh_u32_e32 v16, v13
	v_min_u32_e32 v19, 32, v16
	v_mov_b32_e32 v10, v3
	v_subrev_u32_e32 v16, 28, v19
	v_lshlrev_b64 v[16:17], v16, v[10:11]
	v_lshrrev_b32_e32 v18, 3, v2
	v_sub_u32_e32 v10, 29, v19
	v_and_b32_e32 v16, 7, v16
	v_cmp_gt_u32_e32 vcc, 8, v2
	v_cndmask_b32_e32 v2, v18, v10, vcc
	v_cndmask_b32_e32 v10, v13, v16, vcc
	v_lshlrev_b32_e32 v13, 24, v3
	v_bfrev_b32_e32 v16, 60
	v_lshlrev_b32_e32 v10, 20, v10
	v_and_b32_e32 v13, 0x80000000, v13
	v_lshl_add_u32 v2, v2, 23, v16
	v_or3_b32 v13, v13, v2, v10
.LBB569_715:
	s_or_b64 exec, exec, s[10:11]
.LBB569_716:
	s_or_b64 exec, exec, s[8:9]
.LBB569_717:
	s_or_b64 exec, exec, s[2:3]
	v_lshrrev_b16_e32 v2, 8, v3
	v_cmp_ne_u16_e32 vcc, 0, v2
	v_mov_b32_e32 v16, 0
	v_mov_b32_e32 v17, 0
	s_and_saveexec_b64 s[2:3], vcc
	s_cbranch_execz .LBB569_723
; %bb.718:
	s_movk_i32 s7, 0x80
	v_cmp_ne_u16_e32 vcc, s7, v2
	v_bfrev_b32_e32 v17, 1
	s_and_saveexec_b64 s[8:9], vcc
	s_cbranch_execz .LBB569_722
; %bb.719:
	s_movk_i32 s7, 0x7f
	v_and_b32_e32 v10, 0x7f, v2
	v_cmp_ne_u32_e32 vcc, s7, v10
	v_mov_b32_e32 v17, 0x7f800001
	s_and_saveexec_b64 s[10:11], vcc
	s_cbranch_execz .LBB569_721
; %bb.720:
	v_and_b32_e32 v17, 7, v2
	v_ffbh_u32_e32 v18, v17
	v_min_u32_e32 v21, 32, v18
	v_subrev_u32_e32 v18, 28, v21
	v_lshlrev_b64 v[18:19], v18, v[2:3]
	v_lshrrev_b32_e32 v20, 3, v10
	v_sub_u32_e32 v2, 29, v21
	v_and_b32_e32 v18, 7, v18
	v_cmp_gt_u32_e32 vcc, 8, v10
	v_cndmask_b32_e32 v2, v20, v2, vcc
	v_cndmask_b32_e32 v10, v17, v18, vcc
	v_lshlrev_b32_e32 v17, 16, v3
	v_bfrev_b32_e32 v18, 60
	v_lshlrev_b32_e32 v10, 20, v10
	v_and_b32_e32 v17, 0x80000000, v17
	v_lshl_add_u32 v2, v2, 23, v18
	v_or3_b32 v17, v17, v2, v10
.LBB569_721:
	s_or_b64 exec, exec, s[10:11]
.LBB569_722:
	s_or_b64 exec, exec, s[8:9]
.LBB569_723:
	s_or_b64 exec, exec, s[2:3]
	s_movk_i32 s2, 0xff
	v_and_b32_sdwa v10, v3, s2 dst_sel:DWORD dst_unused:UNUSED_PAD src0_sel:WORD_1 src1_sel:DWORD
	v_lshrrev_b32_e32 v2, 16, v3
	v_cmp_ne_u16_e32 vcc, 0, v10
	s_and_saveexec_b64 s[2:3], vcc
	s_cbranch_execz .LBB569_729
; %bb.724:
	s_movk_i32 s7, 0x80
	v_cmp_ne_u16_e32 vcc, s7, v10
	v_bfrev_b32_e32 v16, 1
	s_and_saveexec_b64 s[8:9], vcc
	s_cbranch_execz .LBB569_728
; %bb.725:
	v_bfe_u32 v10, v3, 16, 7
	s_movk_i32 s7, 0x7f
	v_cmp_ne_u32_e32 vcc, s7, v10
	v_mov_b32_e32 v16, 0x7f800001
	s_and_saveexec_b64 s[10:11], vcc
	s_cbranch_execz .LBB569_727
; %bb.726:
	v_and_b32_e32 v16, 7, v2
	v_ffbh_u32_e32 v18, v16
	v_min_u32_e32 v21, 32, v18
	v_subrev_u32_e32 v18, 28, v21
	v_lshlrev_b64 v[18:19], v18, v[2:3]
	v_and_b32_e32 v18, 7, v18
	v_cmp_gt_u32_e32 vcc, 8, v10
	v_lshrrev_b32_e32 v20, 3, v10
	v_sub_u32_e32 v2, 29, v21
	v_cndmask_b32_e32 v10, v16, v18, vcc
	v_mov_b32_e32 v16, 24
	v_cndmask_b32_e32 v2, v20, v2, vcc
	v_lshlrev_b32_sdwa v16, v16, v3 dst_sel:DWORD dst_unused:UNUSED_PAD src0_sel:DWORD src1_sel:WORD_1
	v_bfrev_b32_e32 v18, 60
	v_lshlrev_b32_e32 v10, 20, v10
	v_and_b32_e32 v16, 0x80000000, v16
	v_lshl_add_u32 v2, v2, 23, v18
	v_or3_b32 v16, v16, v2, v10
.LBB569_727:
	s_or_b64 exec, exec, s[10:11]
.LBB569_728:
	s_or_b64 exec, exec, s[8:9]
.LBB569_729:
	s_or_b64 exec, exec, s[2:3]
	s_mov_b32 s2, 0xffffff
	v_cmp_lt_u32_e32 vcc, s2, v3
	v_mov_b32_e32 v10, 0
	v_mov_b32_e32 v18, 0
	s_and_saveexec_b64 s[2:3], vcc
	s_cbranch_execz .LBB569_735
; %bb.730:
	v_lshrrev_b32_e32 v2, 24, v3
	s_movk_i32 s7, 0x80
	v_cmp_ne_u32_e32 vcc, s7, v2
	v_bfrev_b32_e32 v18, 1
	s_and_saveexec_b64 s[8:9], vcc
	s_cbranch_execz .LBB569_734
; %bb.731:
	v_bfe_u32 v3, v3, 24, 7
	s_movk_i32 s7, 0x7f
	v_cmp_ne_u32_e32 vcc, s7, v3
	v_mov_b32_e32 v18, 0x7f800001
	s_and_saveexec_b64 s[10:11], vcc
	s_cbranch_execz .LBB569_733
; %bb.732:
	v_and_b32_e32 v20, 7, v2
	v_ffbh_u32_e32 v18, v20
	v_min_u32_e32 v23, 32, v18
	v_subrev_u32_e32 v18, 28, v23
	v_lshlrev_b64 v[18:19], v18, v[2:3]
	v_lshrrev_b32_e32 v21, 3, v3
	v_sub_u32_e32 v19, 29, v23
	v_and_b32_e32 v18, 7, v18
	v_cmp_gt_u32_e32 vcc, 8, v3
	v_cndmask_b32_e32 v3, v21, v19, vcc
	v_cndmask_b32_e32 v18, v20, v18, vcc
	v_lshlrev_b32_e32 v2, 24, v2
	v_bfrev_b32_e32 v19, 60
	v_lshlrev_b32_e32 v18, 20, v18
	v_and_b32_e32 v2, 0x80000000, v2
	v_lshl_add_u32 v3, v3, 23, v19
	v_or3_b32 v18, v2, v3, v18
.LBB569_733:
	s_or_b64 exec, exec, s[10:11]
.LBB569_734:
	s_or_b64 exec, exec, s[8:9]
.LBB569_735:
	s_or_b64 exec, exec, s[2:3]
	v_cvt_pkrtz_f16_f32 v2, v15, v12
	v_cvt_pkrtz_f16_f32 v3, v11, v14
	ds_read_b128 v[24:27], v22 offset:6144
	v_cmp_ne_u16_sdwa s[8:9], v4, v10 src0_sel:BYTE_0 src1_sel:DWORD
	s_waitcnt lgkmcnt(0)
	v_mfma_f32_16x16x16f16 v[6:9], v[2:3], v[24:25], v[6:9]
	v_cvt_pkrtz_f16_f32 v2, v13, v17
	v_cvt_pkrtz_f16_f32 v3, v16, v18
	s_nop 1
	v_mfma_f32_16x16x16f16 v[6:9], v[2:3], v[26:27], v[6:9]
	s_and_saveexec_b64 s[2:3], s[8:9]
	s_cbranch_execz .LBB569_741
; %bb.736:
	s_movk_i32 s7, 0x80
	v_cmp_ne_u16_sdwa s[10:11], v4, s7 src0_sel:BYTE_0 src1_sel:DWORD
	v_bfrev_b32_e32 v10, 1
	s_and_saveexec_b64 s[8:9], s[10:11]
	s_cbranch_execz .LBB569_740
; %bb.737:
	s_movk_i32 s7, 0x7f
	v_and_b32_e32 v2, 0x7f, v4
	v_cmp_ne_u32_e32 vcc, s7, v2
	v_mov_b32_e32 v10, 0x7f800001
	s_and_saveexec_b64 s[10:11], vcc
	s_cbranch_execz .LBB569_739
; %bb.738:
	v_and_b32_e32 v3, 7, v4
	v_ffbh_u32_e32 v10, v3
	v_min_u32_e32 v13, 32, v10
	v_subrev_u32_e32 v10, 28, v13
	v_lshlrev_b64 v[10:11], v10, v[4:5]
	v_lshrrev_b32_e32 v12, 3, v2
	v_sub_u32_e32 v11, 29, v13
	v_and_b32_e32 v10, 7, v10
	v_cmp_gt_u32_e32 vcc, 8, v2
	v_cndmask_b32_e32 v2, v12, v11, vcc
	v_cndmask_b32_e32 v3, v3, v10, vcc
	v_lshlrev_b32_e32 v10, 24, v4
	v_bfrev_b32_e32 v11, 60
	v_lshlrev_b32_e32 v3, 20, v3
	v_and_b32_e32 v10, 0x80000000, v10
	v_lshl_add_u32 v2, v2, 23, v11
	v_or3_b32 v10, v10, v2, v3
.LBB569_739:
	s_or_b64 exec, exec, s[10:11]
.LBB569_740:
	s_or_b64 exec, exec, s[8:9]
.LBB569_741:
	s_or_b64 exec, exec, s[2:3]
	v_lshrrev_b16_e32 v2, 8, v4
	v_cmp_ne_u16_e32 vcc, 0, v2
	v_mov_b32_e32 v3, 0
	v_mov_b32_e32 v11, 0
	s_and_saveexec_b64 s[2:3], vcc
	s_cbranch_execz .LBB569_747
; %bb.742:
	s_movk_i32 s7, 0x80
	v_cmp_ne_u16_e32 vcc, s7, v2
	v_bfrev_b32_e32 v11, 1
	s_and_saveexec_b64 s[8:9], vcc
	s_cbranch_execz .LBB569_746
; %bb.743:
	s_movk_i32 s7, 0x7f
	v_and_b32_e32 v12, 0x7f, v2
	v_cmp_ne_u32_e32 vcc, s7, v12
	v_mov_b32_e32 v11, 0x7f800001
	s_and_saveexec_b64 s[10:11], vcc
	s_cbranch_execz .LBB569_745
; %bb.744:
	v_and_b32_e32 v11, 7, v2
	v_ffbh_u32_e32 v14, v11
	v_min_u32_e32 v16, 32, v14
	v_subrev_u32_e32 v14, 28, v16
	v_lshlrev_b64 v[14:15], v14, v[2:3]
	v_lshrrev_b32_e32 v13, 3, v12
	v_sub_u32_e32 v2, 29, v16
	v_and_b32_e32 v14, 7, v14
	v_cmp_gt_u32_e32 vcc, 8, v12
	v_cndmask_b32_e32 v2, v13, v2, vcc
	v_cndmask_b32_e32 v11, v11, v14, vcc
	v_lshlrev_b32_e32 v12, 16, v4
	v_bfrev_b32_e32 v13, 60
	v_lshlrev_b32_e32 v11, 20, v11
	v_and_b32_e32 v12, 0x80000000, v12
	v_lshl_add_u32 v2, v2, 23, v13
	v_or3_b32 v11, v12, v2, v11
.LBB569_745:
	s_or_b64 exec, exec, s[10:11]
.LBB569_746:
	s_or_b64 exec, exec, s[8:9]
.LBB569_747:
	s_or_b64 exec, exec, s[2:3]
	s_movk_i32 s2, 0xff
	v_and_b32_sdwa v12, v4, s2 dst_sel:DWORD dst_unused:UNUSED_PAD src0_sel:WORD_1 src1_sel:DWORD
	v_lshrrev_b32_e32 v2, 16, v4
	v_cmp_ne_u16_e32 vcc, 0, v12
	s_and_saveexec_b64 s[2:3], vcc
	s_cbranch_execz .LBB569_753
; %bb.748:
	s_movk_i32 s7, 0x80
	v_cmp_ne_u16_e32 vcc, s7, v12
	v_bfrev_b32_e32 v3, 1
	s_and_saveexec_b64 s[8:9], vcc
	s_cbranch_execz .LBB569_752
; %bb.749:
	v_bfe_u32 v12, v4, 16, 7
	s_movk_i32 s7, 0x7f
	v_cmp_ne_u32_e32 vcc, s7, v12
	v_mov_b32_e32 v3, 0x7f800001
	s_and_saveexec_b64 s[10:11], vcc
	s_cbranch_execz .LBB569_751
; %bb.750:
	v_and_b32_e32 v13, 7, v2
	v_ffbh_u32_e32 v3, v13
	v_min_u32_e32 v15, 32, v3
	v_subrev_u32_e32 v3, 28, v15
	v_lshlrev_b64 v[2:3], v3, v[2:3]
	v_lshrrev_b32_e32 v14, 3, v12
	v_sub_u32_e32 v3, 29, v15
	v_and_b32_e32 v2, 7, v2
	v_cmp_gt_u32_e32 vcc, 8, v12
	v_mov_b32_e32 v12, 24
	v_cndmask_b32_e32 v3, v14, v3, vcc
	v_cndmask_b32_e32 v2, v13, v2, vcc
	v_lshlrev_b32_sdwa v12, v12, v4 dst_sel:DWORD dst_unused:UNUSED_PAD src0_sel:DWORD src1_sel:WORD_1
	v_bfrev_b32_e32 v13, 60
	v_lshlrev_b32_e32 v2, 20, v2
	v_and_b32_e32 v12, 0x80000000, v12
	v_lshl_add_u32 v3, v3, 23, v13
	v_or3_b32 v3, v12, v3, v2
.LBB569_751:
	s_or_b64 exec, exec, s[10:11]
.LBB569_752:
	s_or_b64 exec, exec, s[8:9]
.LBB569_753:
	s_or_b64 exec, exec, s[2:3]
	s_mov_b32 s2, 0xffffff
	v_cmp_lt_u32_e32 vcc, s2, v4
	v_mov_b32_e32 v12, 0
	v_mov_b32_e32 v13, 0
	s_and_saveexec_b64 s[2:3], vcc
	s_cbranch_execz .LBB569_759
; %bb.754:
	v_lshrrev_b32_e32 v2, 24, v4
	s_movk_i32 s7, 0x80
	v_cmp_ne_u32_e32 vcc, s7, v2
	v_bfrev_b32_e32 v13, 1
	s_and_saveexec_b64 s[8:9], vcc
	s_cbranch_execz .LBB569_758
; %bb.755:
	v_bfe_u32 v4, v4, 24, 7
	s_movk_i32 s7, 0x7f
	v_cmp_ne_u32_e32 vcc, s7, v4
	v_mov_b32_e32 v13, 0x7f800001
	s_and_saveexec_b64 s[10:11], vcc
	s_cbranch_execz .LBB569_757
; %bb.756:
	v_and_b32_e32 v13, 7, v2
	v_ffbh_u32_e32 v14, v13
	v_min_u32_e32 v17, 32, v14
	v_subrev_u32_e32 v14, 28, v17
	v_lshlrev_b64 v[14:15], v14, v[2:3]
	v_lshrrev_b32_e32 v16, 3, v4
	v_sub_u32_e32 v15, 29, v17
	v_and_b32_e32 v14, 7, v14
	v_cmp_gt_u32_e32 vcc, 8, v4
	v_cndmask_b32_e32 v4, v16, v15, vcc
	v_cndmask_b32_e32 v13, v13, v14, vcc
	v_lshlrev_b32_e32 v2, 24, v2
	v_bfrev_b32_e32 v14, 60
	v_lshlrev_b32_e32 v13, 20, v13
	v_and_b32_e32 v2, 0x80000000, v2
	v_lshl_add_u32 v4, v4, 23, v14
	v_or3_b32 v13, v2, v4, v13
.LBB569_757:
	s_or_b64 exec, exec, s[10:11]
.LBB569_758:
	s_or_b64 exec, exec, s[8:9]
.LBB569_759:
	s_or_b64 exec, exec, s[2:3]
	v_cmp_ne_u16_sdwa s[8:9], v5, v12 src0_sel:BYTE_0 src1_sel:DWORD
	s_and_saveexec_b64 s[2:3], s[8:9]
	s_cbranch_execz .LBB569_765
; %bb.760:
	s_movk_i32 s7, 0x80
	v_cmp_ne_u16_sdwa s[10:11], v5, s7 src0_sel:BYTE_0 src1_sel:DWORD
	v_bfrev_b32_e32 v12, 1
	s_and_saveexec_b64 s[8:9], s[10:11]
	s_cbranch_execz .LBB569_764
; %bb.761:
	s_movk_i32 s7, 0x7f
	v_and_b32_e32 v2, 0x7f, v5
	v_cmp_ne_u32_e32 vcc, s7, v2
	v_mov_b32_e32 v12, 0x7f800001
	s_and_saveexec_b64 s[10:11], vcc
	s_cbranch_execz .LBB569_763
; %bb.762:
	v_and_b32_e32 v12, 7, v5
	v_ffbh_u32_e32 v14, v12
	v_min_u32_e32 v17, 32, v14
	v_mov_b32_e32 v4, v5
	v_subrev_u32_e32 v14, 28, v17
	v_lshlrev_b64 v[14:15], v14, v[4:5]
	v_lshrrev_b32_e32 v16, 3, v2
	v_sub_u32_e32 v4, 29, v17
	v_and_b32_e32 v14, 7, v14
	v_cmp_gt_u32_e32 vcc, 8, v2
	v_cndmask_b32_e32 v2, v16, v4, vcc
	v_cndmask_b32_e32 v4, v12, v14, vcc
	v_lshlrev_b32_e32 v12, 24, v5
	v_bfrev_b32_e32 v14, 60
	v_lshlrev_b32_e32 v4, 20, v4
	v_and_b32_e32 v12, 0x80000000, v12
	v_lshl_add_u32 v2, v2, 23, v14
	v_or3_b32 v12, v12, v2, v4
.LBB569_763:
	s_or_b64 exec, exec, s[10:11]
.LBB569_764:
	s_or_b64 exec, exec, s[8:9]
.LBB569_765:
	s_or_b64 exec, exec, s[2:3]
	v_lshrrev_b16_e32 v2, 8, v5
	v_cmp_ne_u16_e32 vcc, 0, v2
	v_mov_b32_e32 v4, 0
	v_mov_b32_e32 v14, 0
	s_and_saveexec_b64 s[2:3], vcc
	s_cbranch_execz .LBB569_771
; %bb.766:
	s_movk_i32 s7, 0x80
	v_cmp_ne_u16_e32 vcc, s7, v2
	v_bfrev_b32_e32 v14, 1
	s_and_saveexec_b64 s[8:9], vcc
	s_cbranch_execz .LBB569_770
; %bb.767:
	s_movk_i32 s7, 0x7f
	v_and_b32_e32 v15, 0x7f, v2
	v_cmp_ne_u32_e32 vcc, s7, v15
	v_mov_b32_e32 v14, 0x7f800001
	s_and_saveexec_b64 s[10:11], vcc
	s_cbranch_execz .LBB569_769
; %bb.768:
	v_and_b32_e32 v14, 7, v2
	v_ffbh_u32_e32 v16, v14
	v_min_u32_e32 v19, 32, v16
	v_subrev_u32_e32 v16, 28, v19
	v_lshlrev_b64 v[16:17], v16, v[2:3]
	v_lshrrev_b32_e32 v18, 3, v15
	v_sub_u32_e32 v2, 29, v19
	v_and_b32_e32 v16, 7, v16
	v_cmp_gt_u32_e32 vcc, 8, v15
	v_cndmask_b32_e32 v2, v18, v2, vcc
	v_cndmask_b32_e32 v14, v14, v16, vcc
	v_lshlrev_b32_e32 v15, 16, v5
	v_bfrev_b32_e32 v16, 60
	v_lshlrev_b32_e32 v14, 20, v14
	v_and_b32_e32 v15, 0x80000000, v15
	v_lshl_add_u32 v2, v2, 23, v16
	v_or3_b32 v14, v15, v2, v14
.LBB569_769:
	s_or_b64 exec, exec, s[10:11]
.LBB569_770:
	s_or_b64 exec, exec, s[8:9]
.LBB569_771:
	s_or_b64 exec, exec, s[2:3]
	s_movk_i32 s2, 0xff
	v_and_b32_sdwa v15, v5, s2 dst_sel:DWORD dst_unused:UNUSED_PAD src0_sel:WORD_1 src1_sel:DWORD
	v_lshrrev_b32_e32 v2, 16, v5
	v_cmp_ne_u16_e32 vcc, 0, v15
	s_and_saveexec_b64 s[2:3], vcc
	s_cbranch_execz .LBB569_777
; %bb.772:
	s_movk_i32 s7, 0x80
	v_cmp_ne_u16_e32 vcc, s7, v15
	v_bfrev_b32_e32 v4, 1
	s_and_saveexec_b64 s[8:9], vcc
	s_cbranch_execz .LBB569_776
; %bb.773:
	v_bfe_u32 v15, v5, 16, 7
	s_movk_i32 s7, 0x7f
	v_cmp_ne_u32_e32 vcc, s7, v15
	v_mov_b32_e32 v4, 0x7f800001
	s_and_saveexec_b64 s[10:11], vcc
	s_cbranch_execz .LBB569_775
; %bb.774:
	v_and_b32_e32 v4, 7, v2
	v_ffbh_u32_e32 v16, v4
	v_min_u32_e32 v19, 32, v16
	v_subrev_u32_e32 v16, 28, v19
	v_lshlrev_b64 v[16:17], v16, v[2:3]
	v_lshrrev_b32_e32 v18, 3, v15
	v_sub_u32_e32 v2, 29, v19
	v_and_b32_e32 v16, 7, v16
	v_cmp_gt_u32_e32 vcc, 8, v15
	v_mov_b32_e32 v15, 24
	v_cndmask_b32_e32 v2, v18, v2, vcc
	v_cndmask_b32_e32 v4, v4, v16, vcc
	v_lshlrev_b32_sdwa v15, v15, v5 dst_sel:DWORD dst_unused:UNUSED_PAD src0_sel:DWORD src1_sel:WORD_1
	v_bfrev_b32_e32 v16, 60
	v_lshlrev_b32_e32 v4, 20, v4
	v_and_b32_e32 v15, 0x80000000, v15
	v_lshl_add_u32 v2, v2, 23, v16
	v_or3_b32 v4, v15, v2, v4
.LBB569_775:
	s_or_b64 exec, exec, s[10:11]
.LBB569_776:
	s_or_b64 exec, exec, s[8:9]
.LBB569_777:
	s_or_b64 exec, exec, s[2:3]
	s_mov_b32 s2, 0xffffff
	v_cmp_lt_u32_e32 vcc, s2, v5
	v_mov_b32_e32 v15, 0
	s_and_saveexec_b64 s[2:3], vcc
	s_cbranch_execz .LBB569_783
; %bb.778:
	v_lshrrev_b32_e32 v2, 24, v5
	s_movk_i32 s7, 0x80
	v_cmp_ne_u32_e32 vcc, s7, v2
	v_bfrev_b32_e32 v15, 1
	s_and_saveexec_b64 s[8:9], vcc
	s_cbranch_execz .LBB569_782
; %bb.779:
	v_bfe_u32 v5, v5, 24, 7
	s_movk_i32 s7, 0x7f
	v_cmp_ne_u32_e32 vcc, s7, v5
	v_mov_b32_e32 v15, 0x7f800001
	s_and_saveexec_b64 s[10:11], vcc
	s_cbranch_execz .LBB569_781
; %bb.780:
	v_and_b32_e32 v15, 7, v2
	v_ffbh_u32_e32 v16, v15
	v_min_u32_e32 v19, 32, v16
	v_subrev_u32_e32 v16, 28, v19
	v_lshlrev_b64 v[16:17], v16, v[2:3]
	v_lshrrev_b32_e32 v18, 3, v5
	v_sub_u32_e32 v17, 29, v19
	v_and_b32_e32 v16, 7, v16
	v_cmp_gt_u32_e32 vcc, 8, v5
	v_cndmask_b32_e32 v5, v18, v17, vcc
	v_cndmask_b32_e32 v15, v15, v16, vcc
	v_lshlrev_b32_e32 v2, 24, v2
	v_bfrev_b32_e32 v16, 60
	v_lshlrev_b32_e32 v15, 20, v15
	v_and_b32_e32 v2, 0x80000000, v2
	v_lshl_add_u32 v5, v5, 23, v16
	v_or3_b32 v15, v2, v5, v15
.LBB569_781:
	s_or_b64 exec, exec, s[10:11]
.LBB569_782:
	s_or_b64 exec, exec, s[8:9]
.LBB569_783:
	s_or_b64 exec, exec, s[2:3]
	v_cvt_pkrtz_f16_f32 v2, v10, v11
	v_cvt_pkrtz_f16_f32 v3, v3, v13
	ds_read_b128 v[16:19], v22 offset:6160
	s_load_dword s2, s[42:43], 0x0
	v_cmp_gt_u32_e32 vcc, 64, v0
	s_waitcnt lgkmcnt(0)
	v_mfma_f32_16x16x16f16 v[6:9], v[2:3], v[16:17], v[6:9]
	v_cvt_pkrtz_f16_f32 v2, v12, v14
	v_cvt_pkrtz_f16_f32 v3, v4, v15
	s_and_b64 s[0:1], vcc, s[0:1]
	s_barrier
	v_mfma_f32_16x16x16f16 v[2:5], v[2:3], v[18:19], v[6:9]
	s_nop 7
	s_nop 2
	v_pk_mul_f32 v[4:5], v[4:5], s[2:3] op_sel_hi:[1,0]
	v_pk_mul_f32 v[2:3], v[2:3], s[2:3] op_sel_hi:[1,0]
	v_cvt_f16_f32_e32 v2, v2
	v_cvt_f16_f32_e32 v3, v3
	;; [unrolled: 1-line block ×4, first 2 shown]
	v_pack_b32_f16 v2, v2, v3
	v_pack_b32_f16 v3, v4, v5
	ds_write_b64 v28, v[2:3]
	s_waitcnt lgkmcnt(0)
	s_barrier
	s_and_saveexec_b64 s[2:3], s[0:1]
	s_cbranch_execz .LBB569_785
; %bb.784:
	s_load_dwordx2 s[0:1], s[4:5], 0x68
	s_lshl_b32 s4, s44, 6
	s_mul_i32 s2, s12, s6
	s_mul_hi_u32 s3, s2, s4
	s_mul_i32 s2, s2, s4
	s_lshl_b64 s[2:3], s[2:3], 1
	s_waitcnt lgkmcnt(0)
	s_add_u32 s2, s0, s2
	s_addc_u32 s3, s1, s3
	s_lshl_b32 s0, s24, 6
	s_mov_b32 s1, 0
	v_lshlrev_b32_e32 v0, 10, v0
	s_lshl_b64 s[0:1], s[0:1], 1
	v_and_b32_e32 v0, 0x1800, v0
	v_lshlrev_b32_e32 v2, 5, v1
	v_and_b32_e32 v3, 16, v47
	s_add_u32 s0, s2, s0
	v_or3_b32 v0, v0, v2, v3
	s_addc_u32 s1, s3, s1
	ds_read_b128 v[2:5], v0
	ds_read_b128 v[6:9], v0 offset:128
	ds_read_b128 v[10:13], v0 offset:256
	v_or_b32_e32 v14, s25, v1
	v_mov_b32_e32 v0, s1
	v_add_co_u32_e32 v15, vcc, s0, v46
	v_addc_co_u32_e32 v16, vcc, 0, v0, vcc
	v_mad_u64_u32 v[0:1], s[0:1], v14, s4, 0
	v_lshlrev_b64 v[0:1], 1, v[0:1]
	v_add_co_u32_e32 v0, vcc, v15, v0
	v_addc_co_u32_e32 v1, vcc, v16, v1, vcc
	s_waitcnt lgkmcnt(2)
	global_store_dwordx4 v[0:1], v[2:5], off
	v_add_u32_e32 v0, 4, v14
	v_mad_u64_u32 v[0:1], s[0:1], v0, s4, 0
	v_lshlrev_b64 v[0:1], 1, v[0:1]
	v_add_co_u32_e32 v0, vcc, v15, v0
	v_addc_co_u32_e32 v1, vcc, v16, v1, vcc
	s_waitcnt lgkmcnt(1)
	global_store_dwordx4 v[0:1], v[6:9], off
	v_add_u32_e32 v0, 8, v14
	v_mad_u64_u32 v[0:1], s[0:1], v0, s4, 0
	v_lshlrev_b64 v[0:1], 1, v[0:1]
	v_add_co_u32_e32 v0, vcc, v15, v0
	v_addc_co_u32_e32 v1, vcc, v16, v1, vcc
	s_waitcnt lgkmcnt(0)
	global_store_dwordx4 v[0:1], v[10:13], off
.LBB569_785:
	s_endpgm
	.section	.rodata,"a",@progbits
	.p2align	6, 0x0
	.amdhsa_kernel _Z39paged_attention_ll4mi_QKV_mfma16_kernelIDF16_hLN4vllm18Fp8KVCacheDataTypeE1EDF16_Li16ELi64ELi256ELb0ELi12EL8MFMAType0EEvPKT_PKT0_S8_ifPKiSA_SA_iPKfiiiPfSD_PS3_PT2_iSC_SC_
		.amdhsa_group_segment_fixed_size 8192
		.amdhsa_private_segment_fixed_size 0
		.amdhsa_kernarg_size 400
		.amdhsa_user_sgpr_count 6
		.amdhsa_user_sgpr_private_segment_buffer 1
		.amdhsa_user_sgpr_dispatch_ptr 0
		.amdhsa_user_sgpr_queue_ptr 0
		.amdhsa_user_sgpr_kernarg_segment_ptr 1
		.amdhsa_user_sgpr_dispatch_id 0
		.amdhsa_user_sgpr_flat_scratch_init 0
		.amdhsa_user_sgpr_kernarg_preload_length 0
		.amdhsa_user_sgpr_kernarg_preload_offset 0
		.amdhsa_user_sgpr_private_segment_size 0
		.amdhsa_uses_dynamic_stack 0
		.amdhsa_system_sgpr_private_segment_wavefront_offset 0
		.amdhsa_system_sgpr_workgroup_id_x 1
		.amdhsa_system_sgpr_workgroup_id_y 1
		.amdhsa_system_sgpr_workgroup_id_z 1
		.amdhsa_system_sgpr_workgroup_info 0
		.amdhsa_system_vgpr_workitem_id 0
		.amdhsa_next_free_vgpr 61
		.amdhsa_next_free_sgpr 47
		.amdhsa_accum_offset 64
		.amdhsa_reserve_vcc 1
		.amdhsa_reserve_flat_scratch 0
		.amdhsa_float_round_mode_32 0
		.amdhsa_float_round_mode_16_64 0
		.amdhsa_float_denorm_mode_32 3
		.amdhsa_float_denorm_mode_16_64 3
		.amdhsa_dx10_clamp 1
		.amdhsa_ieee_mode 1
		.amdhsa_fp16_overflow 0
		.amdhsa_tg_split 0
		.amdhsa_exception_fp_ieee_invalid_op 0
		.amdhsa_exception_fp_denorm_src 0
		.amdhsa_exception_fp_ieee_div_zero 0
		.amdhsa_exception_fp_ieee_overflow 0
		.amdhsa_exception_fp_ieee_underflow 0
		.amdhsa_exception_fp_ieee_inexact 0
		.amdhsa_exception_int_div_zero 0
	.end_amdhsa_kernel
	.section	.text._Z39paged_attention_ll4mi_QKV_mfma16_kernelIDF16_hLN4vllm18Fp8KVCacheDataTypeE1EDF16_Li16ELi64ELi256ELb0ELi12EL8MFMAType0EEvPKT_PKT0_S8_ifPKiSA_SA_iPKfiiiPfSD_PS3_PT2_iSC_SC_,"axG",@progbits,_Z39paged_attention_ll4mi_QKV_mfma16_kernelIDF16_hLN4vllm18Fp8KVCacheDataTypeE1EDF16_Li16ELi64ELi256ELb0ELi12EL8MFMAType0EEvPKT_PKT0_S8_ifPKiSA_SA_iPKfiiiPfSD_PS3_PT2_iSC_SC_,comdat
.Lfunc_end569:
	.size	_Z39paged_attention_ll4mi_QKV_mfma16_kernelIDF16_hLN4vllm18Fp8KVCacheDataTypeE1EDF16_Li16ELi64ELi256ELb0ELi12EL8MFMAType0EEvPKT_PKT0_S8_ifPKiSA_SA_iPKfiiiPfSD_PS3_PT2_iSC_SC_, .Lfunc_end569-_Z39paged_attention_ll4mi_QKV_mfma16_kernelIDF16_hLN4vllm18Fp8KVCacheDataTypeE1EDF16_Li16ELi64ELi256ELb0ELi12EL8MFMAType0EEvPKT_PKT0_S8_ifPKiSA_SA_iPKfiiiPfSD_PS3_PT2_iSC_SC_
                                        ; -- End function
	.section	.AMDGPU.csdata,"",@progbits
; Kernel info:
; codeLenInByte = 26944
; NumSgprs: 51
; NumVgprs: 61
; NumAgprs: 0
; TotalNumVgprs: 61
; ScratchSize: 0
; MemoryBound: 0
; FloatMode: 240
; IeeeMode: 1
; LDSByteSize: 8192 bytes/workgroup (compile time only)
; SGPRBlocks: 6
; VGPRBlocks: 7
; NumSGPRsForWavesPerEU: 51
; NumVGPRsForWavesPerEU: 61
; AccumOffset: 64
; Occupancy: 8
; WaveLimiterHint : 1
; COMPUTE_PGM_RSRC2:SCRATCH_EN: 0
; COMPUTE_PGM_RSRC2:USER_SGPR: 6
; COMPUTE_PGM_RSRC2:TRAP_HANDLER: 0
; COMPUTE_PGM_RSRC2:TGID_X_EN: 1
; COMPUTE_PGM_RSRC2:TGID_Y_EN: 1
; COMPUTE_PGM_RSRC2:TGID_Z_EN: 1
; COMPUTE_PGM_RSRC2:TIDIG_COMP_CNT: 0
; COMPUTE_PGM_RSRC3_GFX90A:ACCUM_OFFSET: 15
; COMPUTE_PGM_RSRC3_GFX90A:TG_SPLIT: 0
	.section	.text._Z39paged_attention_ll4mi_QKV_mfma16_kernelIDF16_hLN4vllm18Fp8KVCacheDataTypeE1EDF16_Li16ELi64ELi256ELb0ELi13EL8MFMAType0EEvPKT_PKT0_S8_ifPKiSA_SA_iPKfiiiPfSD_PS3_PT2_iSC_SC_,"axG",@progbits,_Z39paged_attention_ll4mi_QKV_mfma16_kernelIDF16_hLN4vllm18Fp8KVCacheDataTypeE1EDF16_Li16ELi64ELi256ELb0ELi13EL8MFMAType0EEvPKT_PKT0_S8_ifPKiSA_SA_iPKfiiiPfSD_PS3_PT2_iSC_SC_,comdat
	.protected	_Z39paged_attention_ll4mi_QKV_mfma16_kernelIDF16_hLN4vllm18Fp8KVCacheDataTypeE1EDF16_Li16ELi64ELi256ELb0ELi13EL8MFMAType0EEvPKT_PKT0_S8_ifPKiSA_SA_iPKfiiiPfSD_PS3_PT2_iSC_SC_ ; -- Begin function _Z39paged_attention_ll4mi_QKV_mfma16_kernelIDF16_hLN4vllm18Fp8KVCacheDataTypeE1EDF16_Li16ELi64ELi256ELb0ELi13EL8MFMAType0EEvPKT_PKT0_S8_ifPKiSA_SA_iPKfiiiPfSD_PS3_PT2_iSC_SC_
	.globl	_Z39paged_attention_ll4mi_QKV_mfma16_kernelIDF16_hLN4vllm18Fp8KVCacheDataTypeE1EDF16_Li16ELi64ELi256ELb0ELi13EL8MFMAType0EEvPKT_PKT0_S8_ifPKiSA_SA_iPKfiiiPfSD_PS3_PT2_iSC_SC_
	.p2align	8
	.type	_Z39paged_attention_ll4mi_QKV_mfma16_kernelIDF16_hLN4vllm18Fp8KVCacheDataTypeE1EDF16_Li16ELi64ELi256ELb0ELi13EL8MFMAType0EEvPKT_PKT0_S8_ifPKiSA_SA_iPKfiiiPfSD_PS3_PT2_iSC_SC_,@function
_Z39paged_attention_ll4mi_QKV_mfma16_kernelIDF16_hLN4vllm18Fp8KVCacheDataTypeE1EDF16_Li16ELi64ELi256ELb0ELi13EL8MFMAType0EEvPKT_PKT0_S8_ifPKiSA_SA_iPKfiiiPfSD_PS3_PT2_iSC_SC_: ; @_Z39paged_attention_ll4mi_QKV_mfma16_kernelIDF16_hLN4vllm18Fp8KVCacheDataTypeE1EDF16_Li16ELi64ELi256ELb0ELi13EL8MFMAType0EEvPKT_PKT0_S8_ifPKiSA_SA_iPKfiiiPfSD_PS3_PT2_iSC_SC_
; %bb.0:
	s_load_dwordx2 s[0:1], s[4:5], 0x30
	s_mov_b32 s24, s7
	s_mov_b64 s[10:11], 0
	s_waitcnt lgkmcnt(0)
	s_cmp_lg_u64 s[0:1], 0
	s_cselect_b64 s[2:3], -1, 0
	s_and_b64 vcc, exec, s[2:3]
	s_cbranch_vccz .LBB570_7
; %bb.1:
	s_add_i32 s12, s6, 1
	s_mov_b32 s13, 0
	s_lshl_b64 s[14:15], s[12:13], 2
	s_add_u32 s14, s0, s14
	s_mov_b32 s7, s13
	s_addc_u32 s15, s1, s15
	s_lshl_b64 s[12:13], s[6:7], 2
	s_add_u32 s12, s0, s12
	s_addc_u32 s13, s1, s13
	s_load_dword s9, s[14:15], 0x0
	s_load_dword s16, s[12:13], 0x0
	s_waitcnt lgkmcnt(0)
	s_sub_i32 s9, s9, s16
	s_cmp_eq_u32 s9, 1
	s_cselect_b64 s[12:13], -1, 0
	s_andn2_b64 vcc, exec, s[10:11]
	s_cbranch_vccnz .LBB570_3
.LBB570_2:
	s_mov_b32 s7, 0
	s_mov_b64 s[12:13], -1
.LBB570_3:
	s_andn2_b64 vcc, exec, s[12:13]
	s_cbranch_vccnz .LBB570_786
; %bb.4:
	s_load_dwordx2 s[12:13], s[4:5], 0x28
	s_lshl_b64 s[10:11], s[6:7], 2
	s_waitcnt lgkmcnt(0)
	s_add_u32 s12, s12, s10
	s_addc_u32 s13, s13, s11
	s_load_dword s33, s[12:13], 0x0
	s_lshl_b32 s20, s24, 8
	s_waitcnt lgkmcnt(0)
	s_cmp_ge_i32 s20, s33
	s_cbranch_scc1 .LBB570_786
; %bb.5:
	s_add_i32 s14, s33, 15
	s_load_dwordx2 s[12:13], s[4:5], 0x20
	s_load_dword s9, s[4:5], 0x38
	s_ashr_i32 s15, s14, 31
	v_and_b32_e32 v1, 0xcf, v0
	s_lshr_b32 s15, s15, 28
	v_add_u32_e32 v1, s20, v1
	s_add_i32 s14, s14, s15
	v_ashrrev_i32_e32 v2, 31, v1
	s_ashr_i32 s22, s14, 4
	v_lshrrev_b32_e32 v4, 28, v2
	s_add_i32 s22, s22, -1
	v_add_u32_e32 v2, v1, v4
	s_waitcnt lgkmcnt(0)
	s_mul_i32 s14, s6, s9
	s_mov_b32 s15, 0
	v_ashrrev_i32_e32 v2, 4, v2
	v_mov_b32_e32 v5, s22
	v_cmp_gt_i32_e32 vcc, s33, v1
	s_lshl_b64 s[14:15], s[14:15], 2
	v_cndmask_b32_e32 v2, v5, v2, vcc
	s_add_u32 s9, s12, s14
	v_ashrrev_i32_e32 v3, 31, v2
	s_addc_u32 s21, s13, s15
	v_lshlrev_b64 v[2:3], 2, v[2:3]
	v_mov_b32_e32 v7, s21
	v_add_co_u32_e32 v6, vcc, s9, v2
	v_or_b32_e32 v2, 16, v1
	v_addc_co_u32_e32 v7, vcc, v7, v3, vcc
	v_add_u32_e32 v3, v2, v4
	v_ashrrev_i32_e32 v3, 4, v3
	v_cmp_gt_i32_e32 vcc, s33, v2
	v_cndmask_b32_e32 v2, v5, v3, vcc
	v_ashrrev_i32_e32 v3, 31, v2
	v_lshlrev_b64 v[2:3], 2, v[2:3]
	v_mov_b32_e32 v9, s21
	v_add_co_u32_e32 v8, vcc, s9, v2
	v_or_b32_e32 v2, 32, v1
	v_addc_co_u32_e32 v9, vcc, v9, v3, vcc
	v_add_u32_e32 v3, v2, v4
	v_ashrrev_i32_e32 v3, 4, v3
	v_cmp_gt_i32_e32 vcc, s33, v2
	v_cndmask_b32_e32 v2, v5, v3, vcc
	v_ashrrev_i32_e32 v3, 31, v2
	;; [unrolled: 10-line block ×3, first 2 shown]
	v_lshlrev_b64 v[2:3], 2, v[2:3]
	v_mov_b32_e32 v1, s21
	v_add_co_u32_e32 v12, vcc, s9, v2
	v_addc_co_u32_e32 v13, vcc, v1, v3, vcc
	global_load_dword v4, v[6:7], off
	global_load_dword v5, v[8:9], off
	;; [unrolled: 1-line block ×4, first 2 shown]
	s_load_dwordx4 s[12:15], s[4:5], 0x8
	s_andn2_b64 vcc, exec, s[2:3]
	s_cbranch_vccnz .LBB570_8
; %bb.6:
	s_add_u32 s0, s0, s10
	s_addc_u32 s1, s1, s11
	s_load_dword s10, s[0:1], 0x0
	s_branch .LBB570_9
.LBB570_7:
	s_mov_b64 s[12:13], 0
	s_branch .LBB570_2
.LBB570_8:
	s_mov_b32 s10, s6
.LBB570_9:
	s_load_dwordx4 s[16:19], s[4:5], 0x48
	v_lshrrev_b32_e32 v49, 6, v0
	v_bfe_u32 v1, v0, 4, 2
	v_lshl_or_b32 v6, v49, 2, v1
	v_and_b32_e32 v48, 15, v0
	v_lshlrev_b32_e32 v7, 3, v48
	v_cmp_gt_u32_e32 vcc, 13, v6
	v_cmp_gt_u32_e64 s[0:1], 8, v48
	s_mul_i32 s25, s8, 13
	s_and_b64 s[26:27], s[0:1], vcc
	v_lshlrev_b32_e32 v46, 1, v7
	v_lshlrev_b32_e32 v47, 4, v0
	s_and_saveexec_b64 s[2:3], s[26:27]
	s_cbranch_execz .LBB570_11
; %bb.10:
	s_load_dwordx2 s[26:27], s[4:5], 0x0
	s_waitcnt lgkmcnt(0)
	s_ashr_i32 s11, s16, 31
	s_mul_hi_u32 s19, s10, s16
	s_mul_i32 s11, s10, s11
	s_add_i32 s11, s19, s11
	s_mul_i32 s10, s10, s16
	s_lshl_b64 s[10:11], s[10:11], 1
	v_add_lshl_u32 v8, v6, s25, 6
	s_add_u32 s10, s26, s10
	v_ashrrev_i32_e32 v9, 31, v8
	s_addc_u32 s11, s27, s11
	v_lshlrev_b64 v[8:9], 1, v[8:9]
	v_mov_b32_e32 v7, s11
	v_add_co_u32_e32 v8, vcc, s10, v8
	v_addc_co_u32_e32 v7, vcc, v7, v9, vcc
	v_add_co_u32_e32 v8, vcc, v8, v46
	v_addc_co_u32_e32 v9, vcc, 0, v7, vcc
	global_load_dwordx4 v[8:11], v[8:9], off
	v_lshlrev_b32_e32 v12, 8, v48
	v_lshlrev_b32_e32 v6, 5, v6
	v_and_b32_e32 v7, 16, v47
	v_and_b32_e32 v12, 0xe00, v12
	v_or3_b32 v6, v12, v6, v7
	s_waitcnt vmcnt(0)
	ds_write_b128 v6, v[8:11]
.LBB570_11:
	s_or_b64 exec, exec, s[2:3]
	v_and_b32_e32 v12, 48, v0
	v_or_b32_e32 v13, s20, v12
	v_ashrrev_i32_e32 v6, 4, v13
	v_mov_b32_e32 v14, s22
	v_cmp_gt_i32_e32 vcc, s33, v13
	v_cndmask_b32_e32 v6, v14, v6, vcc
	v_ashrrev_i32_e32 v7, 31, v6
	v_lshlrev_b64 v[6:7], 2, v[6:7]
	v_mov_b32_e32 v8, s21
	v_add_co_u32_e32 v6, vcc, s9, v6
	v_addc_co_u32_e32 v7, vcc, v8, v7, vcc
	v_or_b32_e32 v8, 64, v13
	v_ashrrev_i32_e32 v9, 4, v8
	v_cmp_gt_i32_e32 vcc, s33, v8
	v_cndmask_b32_e32 v8, v14, v9, vcc
	v_ashrrev_i32_e32 v9, 31, v8
	v_lshlrev_b64 v[8:9], 2, v[8:9]
	v_mov_b32_e32 v10, s21
	v_add_co_u32_e32 v8, vcc, s9, v8
	v_addc_co_u32_e32 v9, vcc, v10, v9, vcc
	v_or_b32_e32 v10, 0x80, v13
	v_ashrrev_i32_e32 v11, 4, v10
	v_cmp_gt_i32_e32 vcc, s33, v10
	v_cndmask_b32_e32 v10, v14, v11, vcc
	v_ashrrev_i32_e32 v11, 31, v10
	v_lshlrev_b64 v[10:11], 2, v[10:11]
	v_mov_b32_e32 v15, s21
	v_add_co_u32_e32 v10, vcc, s9, v10
	s_load_dwordx2 s[44:45], s[4:5], 0x94
	s_load_dwordx4 s[40:43], s[4:5], 0x80
	s_waitcnt lgkmcnt(0)
	s_barrier
	v_addc_co_u32_e32 v11, vcc, v15, v11, vcc
	global_load_dword v15, v[6:7], off
	global_load_dword v16, v[8:9], off
	;; [unrolled: 1-line block ×3, first 2 shown]
	v_or_b32_e32 v6, 0xc0, v13
	v_ashrrev_i32_e32 v7, 4, v6
	v_cmp_gt_i32_e32 vcc, s33, v6
	v_cndmask_b32_e32 v6, v14, v7, vcc
	v_ashrrev_i32_e32 v7, 31, v6
	v_lshlrev_b64 v[6:7], 2, v[6:7]
	v_mov_b32_e32 v8, s21
	v_add_co_u32_e32 v6, vcc, s9, v6
	v_addc_co_u32_e32 v7, vcc, v8, v7, vcc
	global_load_dword v20, v[6:7], off
	s_mul_i32 s8, s8, s18
	s_add_u32 s2, s12, s8
	s_addc_u32 s3, s13, 0
	v_and_b32_e32 v6, 0xf0, v47
	v_mov_b32_e32 v7, s3
	v_add_co_u32_e32 v6, vcc, s2, v6
	v_addc_co_u32_e32 v7, vcc, 0, v7, vcc
	v_lshlrev_b32_e32 v8, 4, v12
	v_add_co_u32_e32 v6, vcc, v6, v8
	v_addc_co_u32_e32 v7, vcc, 0, v7, vcc
	s_waitcnt vmcnt(7)
	v_mad_i64_i32 v[8:9], s[2:3], v4, s17, v[6:7]
	s_waitcnt vmcnt(6)
	v_mad_i64_i32 v[4:5], s[2:3], v5, s17, v[6:7]
	global_load_dwordx4 v[30:33], v[8:9], off
	global_load_dwordx4 v[38:41], v[4:5], off
	s_waitcnt vmcnt(7)
	v_mad_i64_i32 v[4:5], s[2:3], v2, s17, v[6:7]
	s_waitcnt vmcnt(6)
	v_mad_i64_i32 v[2:3], s[2:3], v3, s17, v[6:7]
	global_load_dwordx4 v[34:37], v[4:5], off
	global_load_dwordx4 v[22:25], v[2:3], off
	s_add_u32 s2, s14, s8
	v_lshlrev_b32_e32 v2, 4, v48
	s_addc_u32 s3, s15, 0
	v_lshl_or_b32 v2, v49, 8, v2
	v_mov_b32_e32 v3, s3
	v_add_co_u32_e32 v2, vcc, s2, v2
	v_addc_co_u32_e32 v3, vcc, 0, v3, vcc
	v_cmp_gt_u32_e32 vcc, 13, v48
	v_mov_b32_e32 v43, 0
	s_movk_i32 s8, 0x80
	v_mov_b32_e32 v44, 0
	s_waitcnt vmcnt(7)
	v_mad_i64_i32 v[4:5], s[2:3], v15, s17, v[2:3]
	s_waitcnt vmcnt(6)
	v_mad_i64_i32 v[6:7], s[2:3], v16, s17, v[2:3]
	;; [unrolled: 2-line block ×3, first 2 shown]
	global_load_dwordx4 v[14:17], v[4:5], off
	global_load_dwordx4 v[10:13], v[6:7], off
	s_waitcnt vmcnt(6)
	v_mad_i64_i32 v[20:21], s[2:3], v20, s17, v[2:3]
	global_load_dwordx4 v[6:9], v[18:19], off
	global_load_dwordx4 v[2:5], v[20:21], off
	v_add_u32_e32 v18, -13, v48
	v_cndmask_b32_e32 v18, v18, v48, vcc
	v_lshlrev_b32_e32 v18, 5, v18
	v_lshl_add_u32 v18, v1, 9, v18
	ds_read_b128 v[26:29], v18
	ds_read_b128 v[18:21], v18 offset:16
	s_load_dword s12, s[40:41], 0x0
	s_waitcnt vmcnt(7)
	v_cmp_ne_u16_sdwa s[10:11], v30, v43 src0_sel:BYTE_0 src1_sel:DWORD
	s_and_saveexec_b64 s[2:3], s[10:11]
	s_cbranch_execz .LBB570_17
; %bb.12:
	v_cmp_ne_u16_sdwa s[10:11], v30, s8 src0_sel:BYTE_0 src1_sel:DWORD
	v_bfrev_b32_e32 v44, 1
	s_and_saveexec_b64 s[8:9], s[10:11]
	s_cbranch_execz .LBB570_16
; %bb.13:
	s_movk_i32 s10, 0x7f
	v_and_b32_e32 v42, 0x7f, v30
	v_cmp_ne_u32_e32 vcc, s10, v42
	v_mov_b32_e32 v44, 0x7f800001
	s_and_saveexec_b64 s[10:11], vcc
	s_cbranch_execz .LBB570_15
; %bb.14:
	v_and_b32_e32 v50, 7, v30
	v_ffbh_u32_e32 v44, v50
	v_min_u32_e32 v52, 32, v44
	v_subrev_u32_e32 v44, 28, v52
	v_lshlrev_b64 v[44:45], v44, v[30:31]
	v_lshrrev_b32_e32 v51, 3, v42
	v_sub_u32_e32 v45, 29, v52
	v_and_b32_e32 v44, 7, v44
	v_cmp_gt_u32_e32 vcc, 8, v42
	v_cndmask_b32_e32 v42, v51, v45, vcc
	v_cndmask_b32_e32 v44, v50, v44, vcc
	v_lshlrev_b32_e32 v45, 24, v30
	v_bfrev_b32_e32 v50, 60
	v_lshlrev_b32_e32 v44, 20, v44
	v_and_b32_e32 v45, 0x80000000, v45
	v_lshl_add_u32 v42, v42, 23, v50
	v_or3_b32 v44, v45, v42, v44
.LBB570_15:
	s_or_b64 exec, exec, s[10:11]
.LBB570_16:
	s_or_b64 exec, exec, s[8:9]
.LBB570_17:
	s_or_b64 exec, exec, s[2:3]
	v_lshrrev_b16_e32 v42, 8, v30
	v_cmp_ne_u16_e32 vcc, 0, v42
	s_and_saveexec_b64 s[2:3], vcc
	s_cbranch_execz .LBB570_23
; %bb.18:
	s_movk_i32 s8, 0x80
	v_cmp_ne_u16_e32 vcc, s8, v42
	v_bfrev_b32_e32 v43, 1
	s_and_saveexec_b64 s[8:9], vcc
	s_cbranch_execz .LBB570_22
; %bb.19:
	s_movk_i32 s10, 0x7f
	v_and_b32_e32 v45, 0x7f, v42
	v_cmp_ne_u32_e32 vcc, s10, v45
	v_mov_b32_e32 v43, 0x7f800001
	s_and_saveexec_b64 s[10:11], vcc
	s_cbranch_execz .LBB570_21
; %bb.20:
	v_and_b32_e32 v50, 7, v42
	v_ffbh_u32_e32 v43, v50
	v_min_u32_e32 v52, 32, v43
	v_subrev_u32_e32 v43, 28, v52
	v_lshlrev_b64 v[42:43], v43, v[42:43]
	v_lshrrev_b32_e32 v51, 3, v45
	v_sub_u32_e32 v43, 29, v52
	v_and_b32_e32 v42, 7, v42
	v_cmp_gt_u32_e32 vcc, 8, v45
	v_cndmask_b32_e32 v43, v51, v43, vcc
	v_cndmask_b32_e32 v42, v50, v42, vcc
	v_lshlrev_b32_e32 v45, 16, v30
	v_bfrev_b32_e32 v50, 60
	v_lshlrev_b32_e32 v42, 20, v42
	v_and_b32_e32 v45, 0x80000000, v45
	v_lshl_add_u32 v43, v43, 23, v50
	v_or3_b32 v43, v45, v43, v42
.LBB570_21:
	s_or_b64 exec, exec, s[10:11]
.LBB570_22:
	s_or_b64 exec, exec, s[8:9]
.LBB570_23:
	s_or_b64 exec, exec, s[2:3]
	s_movk_i32 s2, 0xff
	v_and_b32_sdwa v51, v30, s2 dst_sel:DWORD dst_unused:UNUSED_PAD src0_sel:WORD_1 src1_sel:DWORD
	v_lshrrev_b32_e32 v42, 16, v30
	v_cmp_ne_u16_e32 vcc, 0, v51
	v_mov_b32_e32 v45, 0
	v_mov_b32_e32 v50, 0
	s_and_saveexec_b64 s[2:3], vcc
	s_cbranch_execz .LBB570_29
; %bb.24:
	s_movk_i32 s8, 0x80
	v_cmp_ne_u16_e32 vcc, s8, v51
	v_bfrev_b32_e32 v50, 1
	s_and_saveexec_b64 s[8:9], vcc
	s_cbranch_execz .LBB570_28
; %bb.25:
	v_bfe_u32 v51, v30, 16, 7
	s_movk_i32 s10, 0x7f
	v_cmp_ne_u32_e32 vcc, s10, v51
	v_mov_b32_e32 v50, 0x7f800001
	s_and_saveexec_b64 s[10:11], vcc
	s_cbranch_execz .LBB570_27
; %bb.26:
	v_and_b32_e32 v50, 7, v42
	v_ffbh_u32_e32 v52, v50
	v_min_u32_e32 v55, 32, v52
	v_subrev_u32_e32 v52, 28, v55
	v_lshlrev_b64 v[52:53], v52, v[42:43]
	v_lshrrev_b32_e32 v54, 3, v51
	v_sub_u32_e32 v42, 29, v55
	v_and_b32_e32 v52, 7, v52
	v_cmp_gt_u32_e32 vcc, 8, v51
	v_mov_b32_e32 v51, 24
	v_cndmask_b32_e32 v42, v54, v42, vcc
	v_cndmask_b32_e32 v50, v50, v52, vcc
	v_lshlrev_b32_sdwa v51, v51, v30 dst_sel:DWORD dst_unused:UNUSED_PAD src0_sel:DWORD src1_sel:WORD_1
	v_bfrev_b32_e32 v52, 60
	v_lshlrev_b32_e32 v50, 20, v50
	v_and_b32_e32 v51, 0x80000000, v51
	v_lshl_add_u32 v42, v42, 23, v52
	v_or3_b32 v50, v51, v42, v50
.LBB570_27:
	s_or_b64 exec, exec, s[10:11]
.LBB570_28:
	s_or_b64 exec, exec, s[8:9]
.LBB570_29:
	s_or_b64 exec, exec, s[2:3]
	s_mov_b32 s2, 0xffffff
	v_cmp_lt_u32_e32 vcc, s2, v30
	s_and_saveexec_b64 s[2:3], vcc
	s_cbranch_execz .LBB570_35
; %bb.30:
	v_lshrrev_b32_e32 v42, 24, v30
	s_movk_i32 s8, 0x80
	v_cmp_ne_u32_e32 vcc, s8, v42
	v_bfrev_b32_e32 v45, 1
	s_and_saveexec_b64 s[8:9], vcc
	s_cbranch_execz .LBB570_34
; %bb.31:
	v_bfe_u32 v30, v30, 24, 7
	s_movk_i32 s10, 0x7f
	v_cmp_ne_u32_e32 vcc, s10, v30
	v_mov_b32_e32 v45, 0x7f800001
	s_and_saveexec_b64 s[10:11], vcc
	s_cbranch_execz .LBB570_33
; %bb.32:
	v_and_b32_e32 v45, 7, v42
	v_ffbh_u32_e32 v52, v45
	v_min_u32_e32 v54, 32, v52
	v_subrev_u32_e32 v52, 28, v54
	v_lshlrev_b64 v[52:53], v52, v[42:43]
	v_lshrrev_b32_e32 v51, 3, v30
	v_sub_u32_e32 v53, 29, v54
	v_and_b32_e32 v52, 7, v52
	v_cmp_gt_u32_e32 vcc, 8, v30
	v_cndmask_b32_e32 v30, v51, v53, vcc
	v_cndmask_b32_e32 v45, v45, v52, vcc
	v_lshlrev_b32_e32 v42, 24, v42
	v_bfrev_b32_e32 v51, 60
	v_lshlrev_b32_e32 v45, 20, v45
	v_and_b32_e32 v42, 0x80000000, v42
	v_lshl_add_u32 v30, v30, 23, v51
	v_or3_b32 v45, v42, v30, v45
.LBB570_33:
	s_or_b64 exec, exec, s[10:11]
.LBB570_34:
	s_or_b64 exec, exec, s[8:9]
.LBB570_35:
	s_or_b64 exec, exec, s[2:3]
	v_mov_b32_e32 v42, 0
	v_cmp_ne_u16_sdwa s[8:9], v31, v42 src0_sel:BYTE_0 src1_sel:DWORD
	v_mov_b32_e32 v51, 0
	s_and_saveexec_b64 s[2:3], s[8:9]
	s_cbranch_execz .LBB570_41
; %bb.36:
	s_movk_i32 s8, 0x80
	v_cmp_ne_u16_sdwa s[10:11], v31, s8 src0_sel:BYTE_0 src1_sel:DWORD
	v_bfrev_b32_e32 v51, 1
	s_and_saveexec_b64 s[8:9], s[10:11]
	s_cbranch_execz .LBB570_40
; %bb.37:
	s_movk_i32 s10, 0x7f
	v_and_b32_e32 v30, 0x7f, v31
	v_cmp_ne_u32_e32 vcc, s10, v30
	v_mov_b32_e32 v51, 0x7f800001
	s_and_saveexec_b64 s[10:11], vcc
	s_cbranch_execz .LBB570_39
; %bb.38:
	v_and_b32_e32 v51, 7, v31
	v_ffbh_u32_e32 v53, v51
	v_min_u32_e32 v55, 32, v53
	v_mov_b32_e32 v52, v31
	v_subrev_u32_e32 v53, 28, v55
	v_lshlrev_b64 v[52:53], v53, v[52:53]
	v_lshrrev_b32_e32 v54, 3, v30
	v_sub_u32_e32 v53, 29, v55
	v_and_b32_e32 v52, 7, v52
	v_cmp_gt_u32_e32 vcc, 8, v30
	v_cndmask_b32_e32 v30, v54, v53, vcc
	v_cndmask_b32_e32 v51, v51, v52, vcc
	v_lshlrev_b32_e32 v52, 24, v31
	v_bfrev_b32_e32 v53, 60
	v_lshlrev_b32_e32 v51, 20, v51
	v_and_b32_e32 v52, 0x80000000, v52
	v_lshl_add_u32 v30, v30, 23, v53
	v_or3_b32 v51, v52, v30, v51
.LBB570_39:
	s_or_b64 exec, exec, s[10:11]
.LBB570_40:
	s_or_b64 exec, exec, s[8:9]
.LBB570_41:
	s_or_b64 exec, exec, s[2:3]
	v_lshrrev_b16_e32 v30, 8, v31
	v_cmp_ne_u16_e32 vcc, 0, v30
	s_and_saveexec_b64 s[2:3], vcc
	s_cbranch_execz .LBB570_47
; %bb.42:
	s_movk_i32 s8, 0x80
	v_cmp_ne_u16_e32 vcc, s8, v30
	v_bfrev_b32_e32 v42, 1
	s_and_saveexec_b64 s[8:9], vcc
	s_cbranch_execz .LBB570_46
; %bb.43:
	s_movk_i32 s10, 0x7f
	v_and_b32_e32 v52, 0x7f, v30
	v_cmp_ne_u32_e32 vcc, s10, v52
	v_mov_b32_e32 v42, 0x7f800001
	s_and_saveexec_b64 s[10:11], vcc
	s_cbranch_execz .LBB570_45
; %bb.44:
	v_and_b32_e32 v42, 7, v30
	v_ffbh_u32_e32 v54, v42
	v_min_u32_e32 v56, 32, v54
	v_subrev_u32_e32 v54, 28, v56
	v_lshlrev_b64 v[54:55], v54, v[30:31]
	v_lshrrev_b32_e32 v53, 3, v52
	v_sub_u32_e32 v30, 29, v56
	v_and_b32_e32 v54, 7, v54
	v_cmp_gt_u32_e32 vcc, 8, v52
	v_cndmask_b32_e32 v30, v53, v30, vcc
	v_cndmask_b32_e32 v42, v42, v54, vcc
	v_lshlrev_b32_e32 v52, 16, v31
	v_bfrev_b32_e32 v53, 60
	v_lshlrev_b32_e32 v42, 20, v42
	v_and_b32_e32 v52, 0x80000000, v52
	v_lshl_add_u32 v30, v30, 23, v53
	v_or3_b32 v42, v52, v30, v42
.LBB570_45:
	s_or_b64 exec, exec, s[10:11]
.LBB570_46:
	s_or_b64 exec, exec, s[8:9]
.LBB570_47:
	s_or_b64 exec, exec, s[2:3]
	s_movk_i32 s2, 0xff
	v_and_b32_sdwa v54, v31, s2 dst_sel:DWORD dst_unused:UNUSED_PAD src0_sel:WORD_1 src1_sel:DWORD
	v_lshrrev_b32_e32 v30, 16, v31
	v_cmp_ne_u16_e32 vcc, 0, v54
	v_mov_b32_e32 v52, 0
	v_mov_b32_e32 v53, 0
	s_and_saveexec_b64 s[2:3], vcc
	s_cbranch_execz .LBB570_53
; %bb.48:
	s_movk_i32 s8, 0x80
	v_cmp_ne_u16_e32 vcc, s8, v54
	v_bfrev_b32_e32 v53, 1
	s_and_saveexec_b64 s[8:9], vcc
	s_cbranch_execz .LBB570_52
; %bb.49:
	v_bfe_u32 v54, v31, 16, 7
	s_movk_i32 s10, 0x7f
	v_cmp_ne_u32_e32 vcc, s10, v54
	v_mov_b32_e32 v53, 0x7f800001
	s_and_saveexec_b64 s[10:11], vcc
	s_cbranch_execz .LBB570_51
; %bb.50:
	v_and_b32_e32 v53, 7, v30
	v_ffbh_u32_e32 v56, v53
	v_min_u32_e32 v58, 32, v56
	v_subrev_u32_e32 v56, 28, v58
	v_lshlrev_b64 v[56:57], v56, v[30:31]
	v_lshrrev_b32_e32 v55, 3, v54
	v_sub_u32_e32 v30, 29, v58
	v_and_b32_e32 v56, 7, v56
	v_cmp_gt_u32_e32 vcc, 8, v54
	v_mov_b32_e32 v54, 24
	v_cndmask_b32_e32 v30, v55, v30, vcc
	v_cndmask_b32_e32 v53, v53, v56, vcc
	v_lshlrev_b32_sdwa v54, v54, v31 dst_sel:DWORD dst_unused:UNUSED_PAD src0_sel:DWORD src1_sel:WORD_1
	v_bfrev_b32_e32 v55, 60
	v_lshlrev_b32_e32 v53, 20, v53
	v_and_b32_e32 v54, 0x80000000, v54
	v_lshl_add_u32 v30, v30, 23, v55
	v_or3_b32 v53, v54, v30, v53
.LBB570_51:
	s_or_b64 exec, exec, s[10:11]
.LBB570_52:
	s_or_b64 exec, exec, s[8:9]
.LBB570_53:
	s_or_b64 exec, exec, s[2:3]
	s_mov_b32 s2, 0xffffff
	v_cmp_lt_u32_e32 vcc, s2, v31
	s_and_saveexec_b64 s[2:3], vcc
	s_cbranch_execz .LBB570_59
; %bb.54:
	v_lshrrev_b32_e32 v30, 24, v31
	s_movk_i32 s8, 0x80
	v_cmp_ne_u32_e32 vcc, s8, v30
	v_bfrev_b32_e32 v52, 1
	s_and_saveexec_b64 s[8:9], vcc
	s_cbranch_execz .LBB570_58
; %bb.55:
	v_bfe_u32 v31, v31, 24, 7
	s_movk_i32 s10, 0x7f
	v_cmp_ne_u32_e32 vcc, s10, v31
	v_mov_b32_e32 v52, 0x7f800001
	s_and_saveexec_b64 s[10:11], vcc
	s_cbranch_execz .LBB570_57
; %bb.56:
	v_and_b32_e32 v52, 7, v30
	v_ffbh_u32_e32 v54, v52
	v_min_u32_e32 v57, 32, v54
	v_subrev_u32_e32 v54, 28, v57
	v_lshlrev_b64 v[54:55], v54, v[30:31]
	v_lshrrev_b32_e32 v56, 3, v31
	v_sub_u32_e32 v55, 29, v57
	v_and_b32_e32 v54, 7, v54
	v_cmp_gt_u32_e32 vcc, 8, v31
	v_cndmask_b32_e32 v31, v56, v55, vcc
	v_cndmask_b32_e32 v52, v52, v54, vcc
	v_lshlrev_b32_e32 v30, 24, v30
	v_bfrev_b32_e32 v54, 60
	v_lshlrev_b32_e32 v52, 20, v52
	v_and_b32_e32 v30, 0x80000000, v30
	v_lshl_add_u32 v31, v31, 23, v54
	v_or3_b32 v52, v30, v31, v52
.LBB570_57:
	s_or_b64 exec, exec, s[10:11]
.LBB570_58:
	s_or_b64 exec, exec, s[8:9]
.LBB570_59:
	s_or_b64 exec, exec, s[2:3]
	v_cvt_pkrtz_f16_f32 v30, v44, v43
	v_cvt_pkrtz_f16_f32 v31, v50, v45
	;; [unrolled: 1-line block ×4, first 2 shown]
	v_mov_b32_e32 v51, 0
	s_waitcnt lgkmcnt(0)
	v_mfma_f32_16x16x16f16 v[54:57], v[30:31], v[26:27], 0
	v_mov_b32_e32 v31, 0
	v_cmp_ne_u16_sdwa s[8:9], v32, v31 src0_sel:BYTE_0 src1_sel:DWORD
	v_mfma_f32_16x16x16f16 v[42:45], v[42:43], v[28:29], v[54:57]
	s_and_saveexec_b64 s[2:3], s[8:9]
	s_cbranch_execz .LBB570_65
; %bb.60:
	s_movk_i32 s8, 0x80
	v_cmp_ne_u16_sdwa s[10:11], v32, s8 src0_sel:BYTE_0 src1_sel:DWORD
	v_bfrev_b32_e32 v51, 1
	s_and_saveexec_b64 s[8:9], s[10:11]
	s_cbranch_execz .LBB570_64
; %bb.61:
	s_movk_i32 s10, 0x7f
	v_and_b32_e32 v30, 0x7f, v32
	v_cmp_ne_u32_e32 vcc, s10, v30
	v_mov_b32_e32 v51, 0x7f800001
	s_and_saveexec_b64 s[10:11], vcc
	s_cbranch_execz .LBB570_63
; %bb.62:
	v_and_b32_e32 v52, 7, v32
	v_ffbh_u32_e32 v50, v52
	v_min_u32_e32 v54, 32, v50
	v_subrev_u32_e32 v50, 28, v54
	v_lshlrev_b64 v[50:51], v50, v[32:33]
	v_lshrrev_b32_e32 v53, 3, v30
	v_sub_u32_e32 v51, 29, v54
	v_and_b32_e32 v50, 7, v50
	v_cmp_gt_u32_e32 vcc, 8, v30
	v_cndmask_b32_e32 v30, v53, v51, vcc
	v_cndmask_b32_e32 v50, v52, v50, vcc
	v_lshlrev_b32_e32 v51, 24, v32
	v_bfrev_b32_e32 v52, 60
	v_lshlrev_b32_e32 v50, 20, v50
	v_and_b32_e32 v51, 0x80000000, v51
	v_lshl_add_u32 v30, v30, 23, v52
	v_or3_b32 v51, v51, v30, v50
.LBB570_63:
	s_or_b64 exec, exec, s[10:11]
.LBB570_64:
	s_or_b64 exec, exec, s[8:9]
.LBB570_65:
	s_or_b64 exec, exec, s[2:3]
	v_lshrrev_b16_e32 v30, 8, v32
	v_cmp_ne_u16_e32 vcc, 0, v30
	v_mov_b32_e32 v52, 0
	s_and_saveexec_b64 s[2:3], vcc
	s_cbranch_execz .LBB570_71
; %bb.66:
	s_movk_i32 s8, 0x80
	v_cmp_ne_u16_e32 vcc, s8, v30
	v_bfrev_b32_e32 v52, 1
	s_and_saveexec_b64 s[8:9], vcc
	s_cbranch_execz .LBB570_70
; %bb.67:
	s_movk_i32 s10, 0x7f
	v_and_b32_e32 v50, 0x7f, v30
	v_cmp_ne_u32_e32 vcc, s10, v50
	v_mov_b32_e32 v52, 0x7f800001
	s_and_saveexec_b64 s[10:11], vcc
	s_cbranch_execz .LBB570_69
; %bb.68:
	v_and_b32_e32 v54, 7, v30
	v_ffbh_u32_e32 v52, v54
	v_min_u32_e32 v56, 32, v52
	v_subrev_u32_e32 v52, 28, v56
	v_lshlrev_b64 v[52:53], v52, v[30:31]
	v_lshrrev_b32_e32 v55, 3, v50
	v_sub_u32_e32 v30, 29, v56
	v_and_b32_e32 v52, 7, v52
	v_cmp_gt_u32_e32 vcc, 8, v50
	v_cndmask_b32_e32 v30, v55, v30, vcc
	v_cndmask_b32_e32 v50, v54, v52, vcc
	v_lshlrev_b32_e32 v52, 16, v32
	v_bfrev_b32_e32 v53, 60
	v_lshlrev_b32_e32 v50, 20, v50
	v_and_b32_e32 v52, 0x80000000, v52
	v_lshl_add_u32 v30, v30, 23, v53
	v_or3_b32 v52, v52, v30, v50
.LBB570_69:
	s_or_b64 exec, exec, s[10:11]
.LBB570_70:
	s_or_b64 exec, exec, s[8:9]
.LBB570_71:
	s_or_b64 exec, exec, s[2:3]
	s_movk_i32 s2, 0xff
	v_and_b32_sdwa v50, v32, s2 dst_sel:DWORD dst_unused:UNUSED_PAD src0_sel:WORD_1 src1_sel:DWORD
	v_lshrrev_b32_e32 v30, 16, v32
	v_cmp_ne_u16_e32 vcc, 0, v50
	s_and_saveexec_b64 s[2:3], vcc
	s_cbranch_execz .LBB570_77
; %bb.72:
	s_movk_i32 s8, 0x80
	v_cmp_ne_u16_e32 vcc, s8, v50
	v_bfrev_b32_e32 v31, 1
	s_and_saveexec_b64 s[8:9], vcc
	s_cbranch_execz .LBB570_76
; %bb.73:
	v_bfe_u32 v50, v32, 16, 7
	s_movk_i32 s10, 0x7f
	v_cmp_ne_u32_e32 vcc, s10, v50
	v_mov_b32_e32 v31, 0x7f800001
	s_and_saveexec_b64 s[10:11], vcc
	s_cbranch_execz .LBB570_75
; %bb.74:
	v_and_b32_e32 v53, 7, v30
	v_ffbh_u32_e32 v31, v53
	v_min_u32_e32 v55, 32, v31
	v_subrev_u32_e32 v31, 28, v55
	v_lshlrev_b64 v[30:31], v31, v[30:31]
	v_lshrrev_b32_e32 v54, 3, v50
	v_sub_u32_e32 v31, 29, v55
	v_and_b32_e32 v30, 7, v30
	v_cmp_gt_u32_e32 vcc, 8, v50
	v_mov_b32_e32 v50, 24
	v_cndmask_b32_e32 v31, v54, v31, vcc
	v_cndmask_b32_e32 v30, v53, v30, vcc
	v_lshlrev_b32_sdwa v50, v50, v32 dst_sel:DWORD dst_unused:UNUSED_PAD src0_sel:DWORD src1_sel:WORD_1
	v_bfrev_b32_e32 v53, 60
	v_lshlrev_b32_e32 v30, 20, v30
	v_and_b32_e32 v50, 0x80000000, v50
	v_lshl_add_u32 v31, v31, 23, v53
	v_or3_b32 v31, v50, v31, v30
.LBB570_75:
	s_or_b64 exec, exec, s[10:11]
.LBB570_76:
	s_or_b64 exec, exec, s[8:9]
.LBB570_77:
	s_or_b64 exec, exec, s[2:3]
	s_mov_b32 s2, 0xffffff
	v_cmp_lt_u32_e32 vcc, s2, v32
	v_mov_b32_e32 v53, 0
	v_mov_b32_e32 v54, 0
	s_and_saveexec_b64 s[2:3], vcc
	s_cbranch_execz .LBB570_83
; %bb.78:
	v_lshrrev_b32_e32 v30, 24, v32
	s_movk_i32 s8, 0x80
	v_cmp_ne_u32_e32 vcc, s8, v30
	v_bfrev_b32_e32 v54, 1
	s_and_saveexec_b64 s[8:9], vcc
	s_cbranch_execz .LBB570_82
; %bb.79:
	v_bfe_u32 v32, v32, 24, 7
	s_movk_i32 s10, 0x7f
	v_cmp_ne_u32_e32 vcc, s10, v32
	v_mov_b32_e32 v54, 0x7f800001
	s_and_saveexec_b64 s[10:11], vcc
	s_cbranch_execz .LBB570_81
; %bb.80:
	v_and_b32_e32 v50, 7, v30
	v_ffbh_u32_e32 v54, v50
	v_min_u32_e32 v57, 32, v54
	v_subrev_u32_e32 v54, 28, v57
	v_lshlrev_b64 v[54:55], v54, v[30:31]
	v_lshrrev_b32_e32 v56, 3, v32
	v_sub_u32_e32 v55, 29, v57
	v_and_b32_e32 v54, 7, v54
	v_cmp_gt_u32_e32 vcc, 8, v32
	v_cndmask_b32_e32 v32, v56, v55, vcc
	v_cndmask_b32_e32 v50, v50, v54, vcc
	v_lshlrev_b32_e32 v30, 24, v30
	v_bfrev_b32_e32 v54, 60
	v_lshlrev_b32_e32 v50, 20, v50
	v_and_b32_e32 v30, 0x80000000, v30
	v_lshl_add_u32 v32, v32, 23, v54
	v_or3_b32 v54, v30, v32, v50
.LBB570_81:
	s_or_b64 exec, exec, s[10:11]
.LBB570_82:
	s_or_b64 exec, exec, s[8:9]
.LBB570_83:
	s_or_b64 exec, exec, s[2:3]
	v_cmp_ne_u16_sdwa s[8:9], v33, v53 src0_sel:BYTE_0 src1_sel:DWORD
	s_and_saveexec_b64 s[2:3], s[8:9]
	s_cbranch_execz .LBB570_89
; %bb.84:
	s_movk_i32 s8, 0x80
	v_cmp_ne_u16_sdwa s[10:11], v33, s8 src0_sel:BYTE_0 src1_sel:DWORD
	v_bfrev_b32_e32 v53, 1
	s_and_saveexec_b64 s[8:9], s[10:11]
	s_cbranch_execz .LBB570_88
; %bb.85:
	s_movk_i32 s10, 0x7f
	v_and_b32_e32 v30, 0x7f, v33
	v_cmp_ne_u32_e32 vcc, s10, v30
	v_mov_b32_e32 v53, 0x7f800001
	s_and_saveexec_b64 s[10:11], vcc
	s_cbranch_execz .LBB570_87
; %bb.86:
	v_and_b32_e32 v50, 7, v33
	v_ffbh_u32_e32 v55, v50
	v_min_u32_e32 v55, 32, v55
	v_mov_b32_e32 v32, v33
	v_subrev_u32_e32 v56, 28, v55
	v_lshlrev_b64 v[56:57], v56, v[32:33]
	v_lshrrev_b32_e32 v53, 3, v30
	v_sub_u32_e32 v32, 29, v55
	v_and_b32_e32 v55, 7, v56
	v_cmp_gt_u32_e32 vcc, 8, v30
	v_cndmask_b32_e32 v30, v53, v32, vcc
	v_cndmask_b32_e32 v32, v50, v55, vcc
	v_lshlrev_b32_e32 v50, 24, v33
	v_bfrev_b32_e32 v53, 60
	v_lshlrev_b32_e32 v32, 20, v32
	v_and_b32_e32 v50, 0x80000000, v50
	v_lshl_add_u32 v30, v30, 23, v53
	v_or3_b32 v53, v50, v30, v32
.LBB570_87:
	s_or_b64 exec, exec, s[10:11]
.LBB570_88:
	s_or_b64 exec, exec, s[8:9]
.LBB570_89:
	s_or_b64 exec, exec, s[2:3]
	v_lshrrev_b16_e32 v30, 8, v33
	v_cmp_ne_u16_e32 vcc, 0, v30
	v_mov_b32_e32 v32, 0
	v_mov_b32_e32 v55, 0
	s_and_saveexec_b64 s[2:3], vcc
	s_cbranch_execz .LBB570_95
; %bb.90:
	s_movk_i32 s8, 0x80
	v_cmp_ne_u16_e32 vcc, s8, v30
	v_bfrev_b32_e32 v55, 1
	s_and_saveexec_b64 s[8:9], vcc
	s_cbranch_execz .LBB570_94
; %bb.91:
	s_movk_i32 s10, 0x7f
	v_and_b32_e32 v50, 0x7f, v30
	v_cmp_ne_u32_e32 vcc, s10, v50
	v_mov_b32_e32 v55, 0x7f800001
	s_and_saveexec_b64 s[10:11], vcc
	s_cbranch_execz .LBB570_93
; %bb.92:
	v_and_b32_e32 v55, 7, v30
	v_ffbh_u32_e32 v56, v55
	v_min_u32_e32 v59, 32, v56
	v_subrev_u32_e32 v56, 28, v59
	v_lshlrev_b64 v[56:57], v56, v[30:31]
	v_lshrrev_b32_e32 v58, 3, v50
	v_sub_u32_e32 v30, 29, v59
	v_and_b32_e32 v56, 7, v56
	v_cmp_gt_u32_e32 vcc, 8, v50
	v_cndmask_b32_e32 v30, v58, v30, vcc
	v_cndmask_b32_e32 v50, v55, v56, vcc
	v_lshlrev_b32_e32 v55, 16, v33
	v_bfrev_b32_e32 v56, 60
	v_lshlrev_b32_e32 v50, 20, v50
	v_and_b32_e32 v55, 0x80000000, v55
	v_lshl_add_u32 v30, v30, 23, v56
	v_or3_b32 v55, v55, v30, v50
.LBB570_93:
	s_or_b64 exec, exec, s[10:11]
.LBB570_94:
	s_or_b64 exec, exec, s[8:9]
.LBB570_95:
	s_or_b64 exec, exec, s[2:3]
	s_movk_i32 s2, 0xff
	v_and_b32_sdwa v50, v33, s2 dst_sel:DWORD dst_unused:UNUSED_PAD src0_sel:WORD_1 src1_sel:DWORD
	v_lshrrev_b32_e32 v30, 16, v33
	v_cmp_ne_u16_e32 vcc, 0, v50
	s_and_saveexec_b64 s[2:3], vcc
	s_cbranch_execz .LBB570_101
; %bb.96:
	s_movk_i32 s8, 0x80
	v_cmp_ne_u16_e32 vcc, s8, v50
	v_bfrev_b32_e32 v32, 1
	s_and_saveexec_b64 s[8:9], vcc
	s_cbranch_execz .LBB570_100
; %bb.97:
	v_bfe_u32 v50, v33, 16, 7
	s_movk_i32 s10, 0x7f
	v_cmp_ne_u32_e32 vcc, s10, v50
	v_mov_b32_e32 v32, 0x7f800001
	s_and_saveexec_b64 s[10:11], vcc
	s_cbranch_execz .LBB570_99
; %bb.98:
	v_and_b32_e32 v32, 7, v30
	v_ffbh_u32_e32 v56, v32
	v_min_u32_e32 v59, 32, v56
	v_subrev_u32_e32 v56, 28, v59
	v_lshlrev_b64 v[56:57], v56, v[30:31]
	v_lshrrev_b32_e32 v58, 3, v50
	v_sub_u32_e32 v30, 29, v59
	v_and_b32_e32 v56, 7, v56
	v_cmp_gt_u32_e32 vcc, 8, v50
	v_mov_b32_e32 v50, 24
	v_cndmask_b32_e32 v30, v58, v30, vcc
	v_cndmask_b32_e32 v32, v32, v56, vcc
	v_lshlrev_b32_sdwa v50, v50, v33 dst_sel:DWORD dst_unused:UNUSED_PAD src0_sel:DWORD src1_sel:WORD_1
	v_bfrev_b32_e32 v56, 60
	v_lshlrev_b32_e32 v32, 20, v32
	v_and_b32_e32 v50, 0x80000000, v50
	v_lshl_add_u32 v30, v30, 23, v56
	v_or3_b32 v32, v50, v30, v32
.LBB570_99:
	s_or_b64 exec, exec, s[10:11]
.LBB570_100:
	s_or_b64 exec, exec, s[8:9]
.LBB570_101:
	s_or_b64 exec, exec, s[2:3]
	s_mov_b32 s2, 0xffffff
	v_cmp_lt_u32_e32 vcc, s2, v33
	v_mov_b32_e32 v50, 0
	v_mov_b32_e32 v56, 0
	s_and_saveexec_b64 s[2:3], vcc
	s_cbranch_execz .LBB570_107
; %bb.102:
	v_lshrrev_b32_e32 v30, 24, v33
	s_movk_i32 s8, 0x80
	v_cmp_ne_u32_e32 vcc, s8, v30
	v_bfrev_b32_e32 v56, 1
	s_and_saveexec_b64 s[8:9], vcc
	s_cbranch_execz .LBB570_106
; %bb.103:
	v_bfe_u32 v33, v33, 24, 7
	s_movk_i32 s10, 0x7f
	v_cmp_ne_u32_e32 vcc, s10, v33
	v_mov_b32_e32 v56, 0x7f800001
	s_and_saveexec_b64 s[10:11], vcc
	s_cbranch_execz .LBB570_105
; %bb.104:
	v_and_b32_e32 v58, 7, v30
	v_ffbh_u32_e32 v56, v58
	v_min_u32_e32 v60, 32, v56
	v_subrev_u32_e32 v56, 28, v60
	v_lshlrev_b64 v[56:57], v56, v[30:31]
	v_lshrrev_b32_e32 v59, 3, v33
	v_sub_u32_e32 v57, 29, v60
	v_and_b32_e32 v56, 7, v56
	v_cmp_gt_u32_e32 vcc, 8, v33
	v_cndmask_b32_e32 v33, v59, v57, vcc
	v_cndmask_b32_e32 v56, v58, v56, vcc
	v_lshlrev_b32_e32 v30, 24, v30
	v_bfrev_b32_e32 v57, 60
	v_lshlrev_b32_e32 v56, 20, v56
	v_and_b32_e32 v30, 0x80000000, v30
	v_lshl_add_u32 v33, v33, 23, v57
	v_or3_b32 v56, v30, v33, v56
.LBB570_105:
	s_or_b64 exec, exec, s[10:11]
.LBB570_106:
	s_or_b64 exec, exec, s[8:9]
.LBB570_107:
	s_or_b64 exec, exec, s[2:3]
	v_cvt_pkrtz_f16_f32 v30, v51, v52
	v_cvt_pkrtz_f16_f32 v31, v31, v54
	s_waitcnt vmcnt(6)
	v_cmp_ne_u16_sdwa s[8:9], v38, v50 src0_sel:BYTE_0 src1_sel:DWORD
	v_mfma_f32_16x16x16f16 v[42:45], v[30:31], v[18:19], v[42:45]
	v_cvt_pkrtz_f16_f32 v30, v53, v55
	v_cvt_pkrtz_f16_f32 v31, v32, v56
	s_nop 1
	v_mfma_f32_16x16x16f16 v[30:33], v[30:31], v[20:21], v[42:45]
	s_and_saveexec_b64 s[2:3], s[8:9]
	s_cbranch_execz .LBB570_113
; %bb.108:
	s_movk_i32 s8, 0x80
	v_cmp_ne_u16_sdwa s[10:11], v38, s8 src0_sel:BYTE_0 src1_sel:DWORD
	v_bfrev_b32_e32 v50, 1
	s_and_saveexec_b64 s[8:9], s[10:11]
	s_cbranch_execz .LBB570_112
; %bb.109:
	s_movk_i32 s10, 0x7f
	v_and_b32_e32 v42, 0x7f, v38
	v_cmp_ne_u32_e32 vcc, s10, v42
	v_mov_b32_e32 v50, 0x7f800001
	s_and_saveexec_b64 s[10:11], vcc
	s_cbranch_execz .LBB570_111
; %bb.110:
	v_and_b32_e32 v43, 7, v38
	v_ffbh_u32_e32 v44, v43
	v_min_u32_e32 v51, 32, v44
	v_subrev_u32_e32 v44, 28, v51
	v_lshlrev_b64 v[44:45], v44, v[38:39]
	v_lshrrev_b32_e32 v50, 3, v42
	v_sub_u32_e32 v45, 29, v51
	v_and_b32_e32 v44, 7, v44
	v_cmp_gt_u32_e32 vcc, 8, v42
	v_cndmask_b32_e32 v42, v50, v45, vcc
	v_cndmask_b32_e32 v43, v43, v44, vcc
	v_lshlrev_b32_e32 v44, 24, v38
	v_bfrev_b32_e32 v45, 60
	v_lshlrev_b32_e32 v43, 20, v43
	v_and_b32_e32 v44, 0x80000000, v44
	v_lshl_add_u32 v42, v42, 23, v45
	v_or3_b32 v50, v44, v42, v43
.LBB570_111:
	s_or_b64 exec, exec, s[10:11]
.LBB570_112:
	s_or_b64 exec, exec, s[8:9]
.LBB570_113:
	s_or_b64 exec, exec, s[2:3]
	s_nop 3
	v_lshrrev_b16_e32 v42, 8, v38
	v_cmp_ne_u16_e32 vcc, 0, v42
	v_mov_b32_e32 v43, 0
	v_mov_b32_e32 v44, 0
	s_and_saveexec_b64 s[2:3], vcc
	s_cbranch_execz .LBB570_119
; %bb.114:
	s_movk_i32 s8, 0x80
	v_cmp_ne_u16_e32 vcc, s8, v42
	v_bfrev_b32_e32 v44, 1
	s_and_saveexec_b64 s[8:9], vcc
	s_cbranch_execz .LBB570_118
; %bb.115:
	s_movk_i32 s10, 0x7f
	v_and_b32_e32 v45, 0x7f, v42
	v_cmp_ne_u32_e32 vcc, s10, v45
	v_mov_b32_e32 v44, 0x7f800001
	s_and_saveexec_b64 s[10:11], vcc
	s_cbranch_execz .LBB570_117
; %bb.116:
	v_and_b32_e32 v44, 7, v42
	v_ffbh_u32_e32 v52, v44
	v_min_u32_e32 v54, 32, v52
	v_subrev_u32_e32 v52, 28, v54
	v_lshlrev_b64 v[52:53], v52, v[42:43]
	v_lshrrev_b32_e32 v51, 3, v45
	v_sub_u32_e32 v42, 29, v54
	v_and_b32_e32 v52, 7, v52
	v_cmp_gt_u32_e32 vcc, 8, v45
	v_cndmask_b32_e32 v42, v51, v42, vcc
	v_cndmask_b32_e32 v44, v44, v52, vcc
	v_lshlrev_b32_e32 v45, 16, v38
	v_bfrev_b32_e32 v51, 60
	v_lshlrev_b32_e32 v44, 20, v44
	v_and_b32_e32 v45, 0x80000000, v45
	v_lshl_add_u32 v42, v42, 23, v51
	v_or3_b32 v44, v45, v42, v44
.LBB570_117:
	s_or_b64 exec, exec, s[10:11]
.LBB570_118:
	s_or_b64 exec, exec, s[8:9]
.LBB570_119:
	s_or_b64 exec, exec, s[2:3]
	s_movk_i32 s2, 0xff
	v_and_b32_sdwa v45, v38, s2 dst_sel:DWORD dst_unused:UNUSED_PAD src0_sel:WORD_1 src1_sel:DWORD
	v_lshrrev_b32_e32 v42, 16, v38
	v_cmp_ne_u16_e32 vcc, 0, v45
	s_and_saveexec_b64 s[2:3], vcc
	s_cbranch_execz .LBB570_125
; %bb.120:
	s_movk_i32 s8, 0x80
	v_cmp_ne_u16_e32 vcc, s8, v45
	v_bfrev_b32_e32 v43, 1
	s_and_saveexec_b64 s[8:9], vcc
	s_cbranch_execz .LBB570_124
; %bb.121:
	v_bfe_u32 v45, v38, 16, 7
	s_movk_i32 s10, 0x7f
	v_cmp_ne_u32_e32 vcc, s10, v45
	v_mov_b32_e32 v43, 0x7f800001
	s_and_saveexec_b64 s[10:11], vcc
	s_cbranch_execz .LBB570_123
; %bb.122:
	v_and_b32_e32 v51, 7, v42
	v_ffbh_u32_e32 v43, v51
	v_min_u32_e32 v53, 32, v43
	v_subrev_u32_e32 v43, 28, v53
	v_lshlrev_b64 v[42:43], v43, v[42:43]
	v_lshrrev_b32_e32 v52, 3, v45
	v_sub_u32_e32 v43, 29, v53
	v_and_b32_e32 v42, 7, v42
	v_cmp_gt_u32_e32 vcc, 8, v45
	v_mov_b32_e32 v45, 24
	v_cndmask_b32_e32 v43, v52, v43, vcc
	v_cndmask_b32_e32 v42, v51, v42, vcc
	v_lshlrev_b32_sdwa v45, v45, v38 dst_sel:DWORD dst_unused:UNUSED_PAD src0_sel:DWORD src1_sel:WORD_1
	v_bfrev_b32_e32 v51, 60
	v_lshlrev_b32_e32 v42, 20, v42
	v_and_b32_e32 v45, 0x80000000, v45
	v_lshl_add_u32 v43, v43, 23, v51
	v_or3_b32 v43, v45, v43, v42
.LBB570_123:
	s_or_b64 exec, exec, s[10:11]
.LBB570_124:
	s_or_b64 exec, exec, s[8:9]
.LBB570_125:
	s_or_b64 exec, exec, s[2:3]
	s_mov_b32 s2, 0xffffff
	v_cmp_lt_u32_e32 vcc, s2, v38
	v_mov_b32_e32 v45, 0
	v_mov_b32_e32 v52, 0
	s_and_saveexec_b64 s[2:3], vcc
	s_cbranch_execz .LBB570_131
; %bb.126:
	v_lshrrev_b32_e32 v42, 24, v38
	s_movk_i32 s8, 0x80
	v_cmp_ne_u32_e32 vcc, s8, v42
	v_bfrev_b32_e32 v52, 1
	s_and_saveexec_b64 s[8:9], vcc
	s_cbranch_execz .LBB570_130
; %bb.127:
	v_bfe_u32 v38, v38, 24, 7
	s_movk_i32 s10, 0x7f
	v_cmp_ne_u32_e32 vcc, s10, v38
	v_mov_b32_e32 v52, 0x7f800001
	s_and_saveexec_b64 s[10:11], vcc
	s_cbranch_execz .LBB570_129
; %bb.128:
	v_and_b32_e32 v51, 7, v42
	v_ffbh_u32_e32 v52, v51
	v_min_u32_e32 v55, 32, v52
	v_subrev_u32_e32 v52, 28, v55
	v_lshlrev_b64 v[52:53], v52, v[42:43]
	v_lshrrev_b32_e32 v54, 3, v38
	v_sub_u32_e32 v53, 29, v55
	v_and_b32_e32 v52, 7, v52
	v_cmp_gt_u32_e32 vcc, 8, v38
	v_cndmask_b32_e32 v38, v54, v53, vcc
	v_cndmask_b32_e32 v51, v51, v52, vcc
	v_lshlrev_b32_e32 v42, 24, v42
	v_bfrev_b32_e32 v52, 60
	v_lshlrev_b32_e32 v51, 20, v51
	v_and_b32_e32 v42, 0x80000000, v42
	v_lshl_add_u32 v38, v38, 23, v52
	v_or3_b32 v52, v42, v38, v51
.LBB570_129:
	s_or_b64 exec, exec, s[10:11]
.LBB570_130:
	s_or_b64 exec, exec, s[8:9]
.LBB570_131:
	s_or_b64 exec, exec, s[2:3]
	v_cmp_ne_u16_sdwa s[8:9], v39, v45 src0_sel:BYTE_0 src1_sel:DWORD
	s_and_saveexec_b64 s[2:3], s[8:9]
	s_cbranch_execz .LBB570_137
; %bb.132:
	s_movk_i32 s8, 0x80
	v_cmp_ne_u16_sdwa s[10:11], v39, s8 src0_sel:BYTE_0 src1_sel:DWORD
	v_bfrev_b32_e32 v45, 1
	s_and_saveexec_b64 s[8:9], s[10:11]
	s_cbranch_execz .LBB570_136
; %bb.133:
	s_movk_i32 s10, 0x7f
	v_and_b32_e32 v38, 0x7f, v39
	v_cmp_ne_u32_e32 vcc, s10, v38
	v_mov_b32_e32 v45, 0x7f800001
	s_and_saveexec_b64 s[10:11], vcc
	s_cbranch_execz .LBB570_135
; %bb.134:
	v_and_b32_e32 v45, 7, v39
	v_ffbh_u32_e32 v53, v45
	v_min_u32_e32 v53, 32, v53
	v_mov_b32_e32 v42, v39
	v_subrev_u32_e32 v54, 28, v53
	v_lshlrev_b64 v[54:55], v54, v[42:43]
	v_lshrrev_b32_e32 v51, 3, v38
	v_sub_u32_e32 v42, 29, v53
	v_and_b32_e32 v53, 7, v54
	v_cmp_gt_u32_e32 vcc, 8, v38
	v_cndmask_b32_e32 v38, v51, v42, vcc
	v_cndmask_b32_e32 v42, v45, v53, vcc
	v_lshlrev_b32_e32 v45, 24, v39
	v_bfrev_b32_e32 v51, 60
	v_lshlrev_b32_e32 v42, 20, v42
	v_and_b32_e32 v45, 0x80000000, v45
	v_lshl_add_u32 v38, v38, 23, v51
	v_or3_b32 v45, v45, v38, v42
.LBB570_135:
	s_or_b64 exec, exec, s[10:11]
.LBB570_136:
	s_or_b64 exec, exec, s[8:9]
.LBB570_137:
	s_or_b64 exec, exec, s[2:3]
	v_lshrrev_b16_e32 v38, 8, v39
	v_cmp_ne_u16_e32 vcc, 0, v38
	v_mov_b32_e32 v42, 0
	v_mov_b32_e32 v53, 0
	s_and_saveexec_b64 s[2:3], vcc
	s_cbranch_execz .LBB570_143
; %bb.138:
	s_movk_i32 s8, 0x80
	v_cmp_ne_u16_e32 vcc, s8, v38
	v_bfrev_b32_e32 v53, 1
	s_and_saveexec_b64 s[8:9], vcc
	s_cbranch_execz .LBB570_142
; %bb.139:
	s_movk_i32 s10, 0x7f
	v_and_b32_e32 v51, 0x7f, v38
	v_cmp_ne_u32_e32 vcc, s10, v51
	v_mov_b32_e32 v53, 0x7f800001
	s_and_saveexec_b64 s[10:11], vcc
	s_cbranch_execz .LBB570_141
; %bb.140:
	v_and_b32_e32 v53, 7, v38
	v_ffbh_u32_e32 v54, v53
	v_min_u32_e32 v57, 32, v54
	v_subrev_u32_e32 v54, 28, v57
	v_lshlrev_b64 v[54:55], v54, v[38:39]
	v_lshrrev_b32_e32 v56, 3, v51
	v_sub_u32_e32 v38, 29, v57
	v_and_b32_e32 v54, 7, v54
	v_cmp_gt_u32_e32 vcc, 8, v51
	v_cndmask_b32_e32 v38, v56, v38, vcc
	v_cndmask_b32_e32 v51, v53, v54, vcc
	v_lshlrev_b32_e32 v53, 16, v39
	v_bfrev_b32_e32 v54, 60
	v_lshlrev_b32_e32 v51, 20, v51
	v_and_b32_e32 v53, 0x80000000, v53
	v_lshl_add_u32 v38, v38, 23, v54
	v_or3_b32 v53, v53, v38, v51
.LBB570_141:
	s_or_b64 exec, exec, s[10:11]
.LBB570_142:
	s_or_b64 exec, exec, s[8:9]
.LBB570_143:
	s_or_b64 exec, exec, s[2:3]
	s_movk_i32 s2, 0xff
	v_and_b32_sdwa v51, v39, s2 dst_sel:DWORD dst_unused:UNUSED_PAD src0_sel:WORD_1 src1_sel:DWORD
	v_lshrrev_b32_e32 v38, 16, v39
	v_cmp_ne_u16_e32 vcc, 0, v51
	s_and_saveexec_b64 s[2:3], vcc
	s_cbranch_execz .LBB570_149
; %bb.144:
	s_movk_i32 s8, 0x80
	v_cmp_ne_u16_e32 vcc, s8, v51
	v_bfrev_b32_e32 v42, 1
	s_and_saveexec_b64 s[8:9], vcc
	s_cbranch_execz .LBB570_148
; %bb.145:
	v_bfe_u32 v51, v39, 16, 7
	s_movk_i32 s10, 0x7f
	v_cmp_ne_u32_e32 vcc, s10, v51
	v_mov_b32_e32 v42, 0x7f800001
	s_and_saveexec_b64 s[10:11], vcc
	s_cbranch_execz .LBB570_147
; %bb.146:
	v_and_b32_e32 v42, 7, v38
	v_ffbh_u32_e32 v54, v42
	v_min_u32_e32 v57, 32, v54
	v_subrev_u32_e32 v54, 28, v57
	v_lshlrev_b64 v[54:55], v54, v[38:39]
	v_lshrrev_b32_e32 v56, 3, v51
	v_sub_u32_e32 v38, 29, v57
	v_and_b32_e32 v54, 7, v54
	v_cmp_gt_u32_e32 vcc, 8, v51
	v_mov_b32_e32 v51, 24
	v_cndmask_b32_e32 v38, v56, v38, vcc
	v_cndmask_b32_e32 v42, v42, v54, vcc
	v_lshlrev_b32_sdwa v51, v51, v39 dst_sel:DWORD dst_unused:UNUSED_PAD src0_sel:DWORD src1_sel:WORD_1
	v_bfrev_b32_e32 v54, 60
	v_lshlrev_b32_e32 v42, 20, v42
	v_and_b32_e32 v51, 0x80000000, v51
	v_lshl_add_u32 v38, v38, 23, v54
	v_or3_b32 v42, v51, v38, v42
.LBB570_147:
	s_or_b64 exec, exec, s[10:11]
.LBB570_148:
	s_or_b64 exec, exec, s[8:9]
.LBB570_149:
	s_or_b64 exec, exec, s[2:3]
	s_mov_b32 s2, 0xffffff
	v_cmp_lt_u32_e32 vcc, s2, v39
	v_mov_b32_e32 v51, 0
	v_mov_b32_e32 v54, 0
	s_and_saveexec_b64 s[2:3], vcc
	s_cbranch_execz .LBB570_155
; %bb.150:
	v_lshrrev_b32_e32 v38, 24, v39
	s_movk_i32 s8, 0x80
	v_cmp_ne_u32_e32 vcc, s8, v38
	v_bfrev_b32_e32 v54, 1
	s_and_saveexec_b64 s[8:9], vcc
	s_cbranch_execz .LBB570_154
; %bb.151:
	v_bfe_u32 v39, v39, 24, 7
	s_movk_i32 s10, 0x7f
	v_cmp_ne_u32_e32 vcc, s10, v39
	v_mov_b32_e32 v54, 0x7f800001
	s_and_saveexec_b64 s[10:11], vcc
	s_cbranch_execz .LBB570_153
; %bb.152:
	v_and_b32_e32 v56, 7, v38
	v_ffbh_u32_e32 v54, v56
	v_min_u32_e32 v58, 32, v54
	v_subrev_u32_e32 v54, 28, v58
	v_lshlrev_b64 v[54:55], v54, v[38:39]
	v_lshrrev_b32_e32 v57, 3, v39
	v_sub_u32_e32 v55, 29, v58
	v_and_b32_e32 v54, 7, v54
	v_cmp_gt_u32_e32 vcc, 8, v39
	v_cndmask_b32_e32 v39, v57, v55, vcc
	v_cndmask_b32_e32 v54, v56, v54, vcc
	v_lshlrev_b32_e32 v38, 24, v38
	v_bfrev_b32_e32 v55, 60
	v_lshlrev_b32_e32 v54, 20, v54
	v_and_b32_e32 v38, 0x80000000, v38
	v_lshl_add_u32 v39, v39, 23, v55
	v_or3_b32 v54, v38, v39, v54
.LBB570_153:
	s_or_b64 exec, exec, s[10:11]
.LBB570_154:
	s_or_b64 exec, exec, s[8:9]
.LBB570_155:
	s_or_b64 exec, exec, s[2:3]
	v_cvt_pkrtz_f16_f32 v38, v50, v44
	v_cvt_pkrtz_f16_f32 v39, v43, v52
	v_cmp_ne_u16_sdwa s[8:9], v40, v51 src0_sel:BYTE_0 src1_sel:DWORD
	s_nop 0
	v_mfma_f32_16x16x16f16 v[56:59], v[38:39], v[26:27], 0
	v_cvt_pkrtz_f16_f32 v38, v45, v53
	v_cvt_pkrtz_f16_f32 v39, v42, v54
	s_nop 1
	v_mfma_f32_16x16x16f16 v[42:45], v[38:39], v[28:29], v[56:59]
	s_and_saveexec_b64 s[2:3], s[8:9]
	s_cbranch_execz .LBB570_161
; %bb.156:
	s_movk_i32 s8, 0x80
	v_cmp_ne_u16_sdwa s[10:11], v40, s8 src0_sel:BYTE_0 src1_sel:DWORD
	v_bfrev_b32_e32 v51, 1
	s_and_saveexec_b64 s[8:9], s[10:11]
	s_cbranch_execz .LBB570_160
; %bb.157:
	s_movk_i32 s10, 0x7f
	v_and_b32_e32 v38, 0x7f, v40
	v_cmp_ne_u32_e32 vcc, s10, v38
	v_mov_b32_e32 v51, 0x7f800001
	s_and_saveexec_b64 s[10:11], vcc
	s_cbranch_execz .LBB570_159
; %bb.158:
	v_and_b32_e32 v39, 7, v40
	v_ffbh_u32_e32 v50, v39
	v_min_u32_e32 v53, 32, v50
	v_subrev_u32_e32 v50, 28, v53
	v_lshlrev_b64 v[50:51], v50, v[40:41]
	v_lshrrev_b32_e32 v52, 3, v38
	v_sub_u32_e32 v51, 29, v53
	v_and_b32_e32 v50, 7, v50
	v_cmp_gt_u32_e32 vcc, 8, v38
	v_cndmask_b32_e32 v38, v52, v51, vcc
	v_cndmask_b32_e32 v39, v39, v50, vcc
	v_lshlrev_b32_e32 v50, 24, v40
	v_bfrev_b32_e32 v51, 60
	v_lshlrev_b32_e32 v39, 20, v39
	v_and_b32_e32 v50, 0x80000000, v50
	v_lshl_add_u32 v38, v38, 23, v51
	v_or3_b32 v51, v50, v38, v39
.LBB570_159:
	s_or_b64 exec, exec, s[10:11]
.LBB570_160:
	s_or_b64 exec, exec, s[8:9]
.LBB570_161:
	s_or_b64 exec, exec, s[2:3]
	v_lshrrev_b16_e32 v38, 8, v40
	v_cmp_ne_u16_e32 vcc, 0, v38
	v_mov_b32_e32 v39, 0
	v_mov_b32_e32 v52, 0
	s_and_saveexec_b64 s[2:3], vcc
	s_cbranch_execz .LBB570_167
; %bb.162:
	s_movk_i32 s8, 0x80
	v_cmp_ne_u16_e32 vcc, s8, v38
	v_bfrev_b32_e32 v52, 1
	s_and_saveexec_b64 s[8:9], vcc
	s_cbranch_execz .LBB570_166
; %bb.163:
	s_movk_i32 s10, 0x7f
	v_and_b32_e32 v50, 0x7f, v38
	v_cmp_ne_u32_e32 vcc, s10, v50
	v_mov_b32_e32 v52, 0x7f800001
	s_and_saveexec_b64 s[10:11], vcc
	s_cbranch_execz .LBB570_165
; %bb.164:
	v_and_b32_e32 v54, 7, v38
	v_ffbh_u32_e32 v52, v54
	v_min_u32_e32 v56, 32, v52
	v_subrev_u32_e32 v52, 28, v56
	v_lshlrev_b64 v[52:53], v52, v[38:39]
	v_lshrrev_b32_e32 v55, 3, v50
	v_sub_u32_e32 v38, 29, v56
	v_and_b32_e32 v52, 7, v52
	v_cmp_gt_u32_e32 vcc, 8, v50
	v_cndmask_b32_e32 v38, v55, v38, vcc
	v_cndmask_b32_e32 v50, v54, v52, vcc
	v_lshlrev_b32_e32 v52, 16, v40
	v_bfrev_b32_e32 v53, 60
	v_lshlrev_b32_e32 v50, 20, v50
	v_and_b32_e32 v52, 0x80000000, v52
	v_lshl_add_u32 v38, v38, 23, v53
	v_or3_b32 v52, v52, v38, v50
.LBB570_165:
	s_or_b64 exec, exec, s[10:11]
.LBB570_166:
	s_or_b64 exec, exec, s[8:9]
.LBB570_167:
	s_or_b64 exec, exec, s[2:3]
	s_movk_i32 s2, 0xff
	v_and_b32_sdwa v50, v40, s2 dst_sel:DWORD dst_unused:UNUSED_PAD src0_sel:WORD_1 src1_sel:DWORD
	v_lshrrev_b32_e32 v38, 16, v40
	v_cmp_ne_u16_e32 vcc, 0, v50
	s_and_saveexec_b64 s[2:3], vcc
	s_cbranch_execz .LBB570_173
; %bb.168:
	s_movk_i32 s8, 0x80
	v_cmp_ne_u16_e32 vcc, s8, v50
	v_bfrev_b32_e32 v39, 1
	s_and_saveexec_b64 s[8:9], vcc
	s_cbranch_execz .LBB570_172
; %bb.169:
	v_bfe_u32 v50, v40, 16, 7
	s_movk_i32 s10, 0x7f
	v_cmp_ne_u32_e32 vcc, s10, v50
	v_mov_b32_e32 v39, 0x7f800001
	s_and_saveexec_b64 s[10:11], vcc
	s_cbranch_execz .LBB570_171
; %bb.170:
	v_and_b32_e32 v53, 7, v38
	v_ffbh_u32_e32 v39, v53
	v_min_u32_e32 v55, 32, v39
	v_subrev_u32_e32 v39, 28, v55
	v_lshlrev_b64 v[38:39], v39, v[38:39]
	v_lshrrev_b32_e32 v54, 3, v50
	v_sub_u32_e32 v39, 29, v55
	v_and_b32_e32 v38, 7, v38
	v_cmp_gt_u32_e32 vcc, 8, v50
	v_mov_b32_e32 v50, 24
	v_cndmask_b32_e32 v39, v54, v39, vcc
	v_cndmask_b32_e32 v38, v53, v38, vcc
	v_lshlrev_b32_sdwa v50, v50, v40 dst_sel:DWORD dst_unused:UNUSED_PAD src0_sel:DWORD src1_sel:WORD_1
	v_bfrev_b32_e32 v53, 60
	v_lshlrev_b32_e32 v38, 20, v38
	v_and_b32_e32 v50, 0x80000000, v50
	v_lshl_add_u32 v39, v39, 23, v53
	v_or3_b32 v39, v50, v39, v38
.LBB570_171:
	s_or_b64 exec, exec, s[10:11]
.LBB570_172:
	s_or_b64 exec, exec, s[8:9]
.LBB570_173:
	s_or_b64 exec, exec, s[2:3]
	s_mov_b32 s2, 0xffffff
	v_cmp_lt_u32_e32 vcc, s2, v40
	v_mov_b32_e32 v53, 0
	v_mov_b32_e32 v54, 0
	s_and_saveexec_b64 s[2:3], vcc
	s_cbranch_execz .LBB570_179
; %bb.174:
	v_lshrrev_b32_e32 v38, 24, v40
	s_movk_i32 s8, 0x80
	v_cmp_ne_u32_e32 vcc, s8, v38
	v_bfrev_b32_e32 v54, 1
	s_and_saveexec_b64 s[8:9], vcc
	s_cbranch_execz .LBB570_178
; %bb.175:
	v_bfe_u32 v40, v40, 24, 7
	s_movk_i32 s10, 0x7f
	v_cmp_ne_u32_e32 vcc, s10, v40
	v_mov_b32_e32 v54, 0x7f800001
	s_and_saveexec_b64 s[10:11], vcc
	s_cbranch_execz .LBB570_177
; %bb.176:
	v_and_b32_e32 v50, 7, v38
	v_ffbh_u32_e32 v54, v50
	v_min_u32_e32 v57, 32, v54
	v_subrev_u32_e32 v54, 28, v57
	v_lshlrev_b64 v[54:55], v54, v[38:39]
	v_lshrrev_b32_e32 v56, 3, v40
	v_sub_u32_e32 v55, 29, v57
	v_and_b32_e32 v54, 7, v54
	v_cmp_gt_u32_e32 vcc, 8, v40
	v_cndmask_b32_e32 v40, v56, v55, vcc
	v_cndmask_b32_e32 v50, v50, v54, vcc
	v_lshlrev_b32_e32 v38, 24, v38
	v_bfrev_b32_e32 v54, 60
	v_lshlrev_b32_e32 v50, 20, v50
	v_and_b32_e32 v38, 0x80000000, v38
	v_lshl_add_u32 v40, v40, 23, v54
	v_or3_b32 v54, v38, v40, v50
.LBB570_177:
	s_or_b64 exec, exec, s[10:11]
.LBB570_178:
	s_or_b64 exec, exec, s[8:9]
.LBB570_179:
	s_or_b64 exec, exec, s[2:3]
	v_cmp_ne_u16_sdwa s[8:9], v41, v53 src0_sel:BYTE_0 src1_sel:DWORD
	s_and_saveexec_b64 s[2:3], s[8:9]
	s_cbranch_execz .LBB570_185
; %bb.180:
	s_movk_i32 s8, 0x80
	v_cmp_ne_u16_sdwa s[10:11], v41, s8 src0_sel:BYTE_0 src1_sel:DWORD
	v_bfrev_b32_e32 v53, 1
	s_and_saveexec_b64 s[8:9], s[10:11]
	s_cbranch_execz .LBB570_184
; %bb.181:
	s_movk_i32 s10, 0x7f
	v_and_b32_e32 v38, 0x7f, v41
	v_cmp_ne_u32_e32 vcc, s10, v38
	v_mov_b32_e32 v53, 0x7f800001
	s_and_saveexec_b64 s[10:11], vcc
	s_cbranch_execz .LBB570_183
; %bb.182:
	v_and_b32_e32 v50, 7, v41
	v_ffbh_u32_e32 v55, v50
	v_min_u32_e32 v55, 32, v55
	v_mov_b32_e32 v40, v41
	v_subrev_u32_e32 v56, 28, v55
	v_lshlrev_b64 v[56:57], v56, v[40:41]
	v_lshrrev_b32_e32 v53, 3, v38
	v_sub_u32_e32 v40, 29, v55
	v_and_b32_e32 v55, 7, v56
	v_cmp_gt_u32_e32 vcc, 8, v38
	v_cndmask_b32_e32 v38, v53, v40, vcc
	v_cndmask_b32_e32 v40, v50, v55, vcc
	v_lshlrev_b32_e32 v50, 24, v41
	v_bfrev_b32_e32 v53, 60
	v_lshlrev_b32_e32 v40, 20, v40
	v_and_b32_e32 v50, 0x80000000, v50
	v_lshl_add_u32 v38, v38, 23, v53
	v_or3_b32 v53, v50, v38, v40
.LBB570_183:
	s_or_b64 exec, exec, s[10:11]
.LBB570_184:
	s_or_b64 exec, exec, s[8:9]
.LBB570_185:
	s_or_b64 exec, exec, s[2:3]
	v_lshrrev_b16_e32 v38, 8, v41
	v_cmp_ne_u16_e32 vcc, 0, v38
	v_mov_b32_e32 v40, 0
	v_mov_b32_e32 v55, 0
	s_and_saveexec_b64 s[2:3], vcc
	s_cbranch_execz .LBB570_191
; %bb.186:
	s_movk_i32 s8, 0x80
	v_cmp_ne_u16_e32 vcc, s8, v38
	v_bfrev_b32_e32 v55, 1
	s_and_saveexec_b64 s[8:9], vcc
	s_cbranch_execz .LBB570_190
; %bb.187:
	s_movk_i32 s10, 0x7f
	v_and_b32_e32 v50, 0x7f, v38
	v_cmp_ne_u32_e32 vcc, s10, v50
	v_mov_b32_e32 v55, 0x7f800001
	s_and_saveexec_b64 s[10:11], vcc
	s_cbranch_execz .LBB570_189
; %bb.188:
	v_and_b32_e32 v55, 7, v38
	v_ffbh_u32_e32 v56, v55
	v_min_u32_e32 v59, 32, v56
	v_subrev_u32_e32 v56, 28, v59
	v_lshlrev_b64 v[56:57], v56, v[38:39]
	v_lshrrev_b32_e32 v58, 3, v50
	v_sub_u32_e32 v38, 29, v59
	v_and_b32_e32 v56, 7, v56
	v_cmp_gt_u32_e32 vcc, 8, v50
	v_cndmask_b32_e32 v38, v58, v38, vcc
	v_cndmask_b32_e32 v50, v55, v56, vcc
	v_lshlrev_b32_e32 v55, 16, v41
	v_bfrev_b32_e32 v56, 60
	v_lshlrev_b32_e32 v50, 20, v50
	v_and_b32_e32 v55, 0x80000000, v55
	v_lshl_add_u32 v38, v38, 23, v56
	v_or3_b32 v55, v55, v38, v50
.LBB570_189:
	s_or_b64 exec, exec, s[10:11]
.LBB570_190:
	s_or_b64 exec, exec, s[8:9]
.LBB570_191:
	s_or_b64 exec, exec, s[2:3]
	s_movk_i32 s2, 0xff
	v_and_b32_sdwa v50, v41, s2 dst_sel:DWORD dst_unused:UNUSED_PAD src0_sel:WORD_1 src1_sel:DWORD
	v_lshrrev_b32_e32 v38, 16, v41
	v_cmp_ne_u16_e32 vcc, 0, v50
	s_and_saveexec_b64 s[2:3], vcc
	s_cbranch_execz .LBB570_197
; %bb.192:
	s_movk_i32 s8, 0x80
	v_cmp_ne_u16_e32 vcc, s8, v50
	v_bfrev_b32_e32 v40, 1
	s_and_saveexec_b64 s[8:9], vcc
	s_cbranch_execz .LBB570_196
; %bb.193:
	v_bfe_u32 v50, v41, 16, 7
	s_movk_i32 s10, 0x7f
	v_cmp_ne_u32_e32 vcc, s10, v50
	v_mov_b32_e32 v40, 0x7f800001
	s_and_saveexec_b64 s[10:11], vcc
	s_cbranch_execz .LBB570_195
; %bb.194:
	v_and_b32_e32 v40, 7, v38
	v_ffbh_u32_e32 v56, v40
	v_min_u32_e32 v59, 32, v56
	v_subrev_u32_e32 v56, 28, v59
	v_lshlrev_b64 v[56:57], v56, v[38:39]
	v_lshrrev_b32_e32 v58, 3, v50
	v_sub_u32_e32 v38, 29, v59
	v_and_b32_e32 v56, 7, v56
	v_cmp_gt_u32_e32 vcc, 8, v50
	v_mov_b32_e32 v50, 24
	v_cndmask_b32_e32 v38, v58, v38, vcc
	v_cndmask_b32_e32 v40, v40, v56, vcc
	v_lshlrev_b32_sdwa v50, v50, v41 dst_sel:DWORD dst_unused:UNUSED_PAD src0_sel:DWORD src1_sel:WORD_1
	v_bfrev_b32_e32 v56, 60
	v_lshlrev_b32_e32 v40, 20, v40
	v_and_b32_e32 v50, 0x80000000, v50
	v_lshl_add_u32 v38, v38, 23, v56
	v_or3_b32 v40, v50, v38, v40
.LBB570_195:
	s_or_b64 exec, exec, s[10:11]
.LBB570_196:
	s_or_b64 exec, exec, s[8:9]
.LBB570_197:
	s_or_b64 exec, exec, s[2:3]
	s_mov_b32 s2, 0xffffff
	v_cmp_lt_u32_e32 vcc, s2, v41
	v_mov_b32_e32 v50, 0
	v_mov_b32_e32 v56, 0
	s_and_saveexec_b64 s[2:3], vcc
	s_cbranch_execz .LBB570_203
; %bb.198:
	v_lshrrev_b32_e32 v38, 24, v41
	s_movk_i32 s8, 0x80
	v_cmp_ne_u32_e32 vcc, s8, v38
	v_bfrev_b32_e32 v56, 1
	s_and_saveexec_b64 s[8:9], vcc
	s_cbranch_execz .LBB570_202
; %bb.199:
	v_bfe_u32 v41, v41, 24, 7
	s_movk_i32 s10, 0x7f
	v_cmp_ne_u32_e32 vcc, s10, v41
	v_mov_b32_e32 v56, 0x7f800001
	s_and_saveexec_b64 s[10:11], vcc
	s_cbranch_execz .LBB570_201
; %bb.200:
	v_and_b32_e32 v58, 7, v38
	v_ffbh_u32_e32 v56, v58
	v_min_u32_e32 v60, 32, v56
	v_subrev_u32_e32 v56, 28, v60
	v_lshlrev_b64 v[56:57], v56, v[38:39]
	v_lshrrev_b32_e32 v59, 3, v41
	v_sub_u32_e32 v57, 29, v60
	v_and_b32_e32 v56, 7, v56
	v_cmp_gt_u32_e32 vcc, 8, v41
	v_cndmask_b32_e32 v41, v59, v57, vcc
	v_cndmask_b32_e32 v56, v58, v56, vcc
	v_lshlrev_b32_e32 v38, 24, v38
	v_bfrev_b32_e32 v57, 60
	v_lshlrev_b32_e32 v56, 20, v56
	v_and_b32_e32 v38, 0x80000000, v38
	v_lshl_add_u32 v41, v41, 23, v57
	v_or3_b32 v56, v38, v41, v56
.LBB570_201:
	s_or_b64 exec, exec, s[10:11]
.LBB570_202:
	s_or_b64 exec, exec, s[8:9]
.LBB570_203:
	s_or_b64 exec, exec, s[2:3]
	v_cvt_pkrtz_f16_f32 v38, v51, v52
	v_cvt_pkrtz_f16_f32 v39, v39, v54
	s_waitcnt vmcnt(5)
	v_cmp_ne_u16_sdwa s[8:9], v34, v50 src0_sel:BYTE_0 src1_sel:DWORD
	v_mfma_f32_16x16x16f16 v[42:45], v[38:39], v[18:19], v[42:45]
	v_cvt_pkrtz_f16_f32 v38, v53, v55
	v_cvt_pkrtz_f16_f32 v39, v40, v56
	s_nop 1
	v_mfma_f32_16x16x16f16 v[38:41], v[38:39], v[20:21], v[42:45]
	s_and_saveexec_b64 s[2:3], s[8:9]
	s_cbranch_execz .LBB570_209
; %bb.204:
	s_movk_i32 s8, 0x80
	v_cmp_ne_u16_sdwa s[10:11], v34, s8 src0_sel:BYTE_0 src1_sel:DWORD
	v_bfrev_b32_e32 v50, 1
	s_and_saveexec_b64 s[8:9], s[10:11]
	s_cbranch_execz .LBB570_208
; %bb.205:
	s_movk_i32 s10, 0x7f
	v_and_b32_e32 v42, 0x7f, v34
	v_cmp_ne_u32_e32 vcc, s10, v42
	v_mov_b32_e32 v50, 0x7f800001
	s_and_saveexec_b64 s[10:11], vcc
	s_cbranch_execz .LBB570_207
; %bb.206:
	v_and_b32_e32 v43, 7, v34
	v_ffbh_u32_e32 v44, v43
	v_min_u32_e32 v51, 32, v44
	v_subrev_u32_e32 v44, 28, v51
	v_lshlrev_b64 v[44:45], v44, v[34:35]
	v_lshrrev_b32_e32 v50, 3, v42
	v_sub_u32_e32 v45, 29, v51
	v_and_b32_e32 v44, 7, v44
	v_cmp_gt_u32_e32 vcc, 8, v42
	v_cndmask_b32_e32 v42, v50, v45, vcc
	v_cndmask_b32_e32 v43, v43, v44, vcc
	v_lshlrev_b32_e32 v44, 24, v34
	v_bfrev_b32_e32 v45, 60
	v_lshlrev_b32_e32 v43, 20, v43
	v_and_b32_e32 v44, 0x80000000, v44
	v_lshl_add_u32 v42, v42, 23, v45
	v_or3_b32 v50, v44, v42, v43
.LBB570_207:
	s_or_b64 exec, exec, s[10:11]
.LBB570_208:
	s_or_b64 exec, exec, s[8:9]
.LBB570_209:
	s_or_b64 exec, exec, s[2:3]
	s_nop 3
	v_lshrrev_b16_e32 v42, 8, v34
	v_cmp_ne_u16_e32 vcc, 0, v42
	v_mov_b32_e32 v43, 0
	v_mov_b32_e32 v44, 0
	s_and_saveexec_b64 s[2:3], vcc
	s_cbranch_execz .LBB570_215
; %bb.210:
	s_movk_i32 s8, 0x80
	v_cmp_ne_u16_e32 vcc, s8, v42
	v_bfrev_b32_e32 v44, 1
	s_and_saveexec_b64 s[8:9], vcc
	s_cbranch_execz .LBB570_214
; %bb.211:
	s_movk_i32 s10, 0x7f
	v_and_b32_e32 v45, 0x7f, v42
	v_cmp_ne_u32_e32 vcc, s10, v45
	v_mov_b32_e32 v44, 0x7f800001
	s_and_saveexec_b64 s[10:11], vcc
	s_cbranch_execz .LBB570_213
; %bb.212:
	v_and_b32_e32 v44, 7, v42
	v_ffbh_u32_e32 v52, v44
	v_min_u32_e32 v54, 32, v52
	v_subrev_u32_e32 v52, 28, v54
	v_lshlrev_b64 v[52:53], v52, v[42:43]
	v_lshrrev_b32_e32 v51, 3, v45
	v_sub_u32_e32 v42, 29, v54
	v_and_b32_e32 v52, 7, v52
	v_cmp_gt_u32_e32 vcc, 8, v45
	v_cndmask_b32_e32 v42, v51, v42, vcc
	v_cndmask_b32_e32 v44, v44, v52, vcc
	v_lshlrev_b32_e32 v45, 16, v34
	v_bfrev_b32_e32 v51, 60
	v_lshlrev_b32_e32 v44, 20, v44
	v_and_b32_e32 v45, 0x80000000, v45
	v_lshl_add_u32 v42, v42, 23, v51
	v_or3_b32 v44, v45, v42, v44
.LBB570_213:
	s_or_b64 exec, exec, s[10:11]
.LBB570_214:
	s_or_b64 exec, exec, s[8:9]
.LBB570_215:
	s_or_b64 exec, exec, s[2:3]
	s_movk_i32 s2, 0xff
	v_and_b32_sdwa v45, v34, s2 dst_sel:DWORD dst_unused:UNUSED_PAD src0_sel:WORD_1 src1_sel:DWORD
	v_lshrrev_b32_e32 v42, 16, v34
	v_cmp_ne_u16_e32 vcc, 0, v45
	s_and_saveexec_b64 s[2:3], vcc
	s_cbranch_execz .LBB570_221
; %bb.216:
	s_movk_i32 s8, 0x80
	v_cmp_ne_u16_e32 vcc, s8, v45
	v_bfrev_b32_e32 v43, 1
	s_and_saveexec_b64 s[8:9], vcc
	s_cbranch_execz .LBB570_220
; %bb.217:
	v_bfe_u32 v45, v34, 16, 7
	s_movk_i32 s10, 0x7f
	v_cmp_ne_u32_e32 vcc, s10, v45
	v_mov_b32_e32 v43, 0x7f800001
	s_and_saveexec_b64 s[10:11], vcc
	s_cbranch_execz .LBB570_219
; %bb.218:
	v_and_b32_e32 v51, 7, v42
	v_ffbh_u32_e32 v43, v51
	v_min_u32_e32 v53, 32, v43
	v_subrev_u32_e32 v43, 28, v53
	v_lshlrev_b64 v[42:43], v43, v[42:43]
	v_lshrrev_b32_e32 v52, 3, v45
	v_sub_u32_e32 v43, 29, v53
	v_and_b32_e32 v42, 7, v42
	v_cmp_gt_u32_e32 vcc, 8, v45
	v_mov_b32_e32 v45, 24
	v_cndmask_b32_e32 v43, v52, v43, vcc
	v_cndmask_b32_e32 v42, v51, v42, vcc
	v_lshlrev_b32_sdwa v45, v45, v34 dst_sel:DWORD dst_unused:UNUSED_PAD src0_sel:DWORD src1_sel:WORD_1
	v_bfrev_b32_e32 v51, 60
	v_lshlrev_b32_e32 v42, 20, v42
	v_and_b32_e32 v45, 0x80000000, v45
	v_lshl_add_u32 v43, v43, 23, v51
	v_or3_b32 v43, v45, v43, v42
.LBB570_219:
	s_or_b64 exec, exec, s[10:11]
.LBB570_220:
	s_or_b64 exec, exec, s[8:9]
.LBB570_221:
	s_or_b64 exec, exec, s[2:3]
	s_mov_b32 s2, 0xffffff
	v_cmp_lt_u32_e32 vcc, s2, v34
	v_mov_b32_e32 v45, 0
	v_mov_b32_e32 v52, 0
	s_and_saveexec_b64 s[2:3], vcc
	s_cbranch_execz .LBB570_227
; %bb.222:
	v_lshrrev_b32_e32 v42, 24, v34
	s_movk_i32 s8, 0x80
	v_cmp_ne_u32_e32 vcc, s8, v42
	v_bfrev_b32_e32 v52, 1
	s_and_saveexec_b64 s[8:9], vcc
	s_cbranch_execz .LBB570_226
; %bb.223:
	v_bfe_u32 v34, v34, 24, 7
	s_movk_i32 s10, 0x7f
	v_cmp_ne_u32_e32 vcc, s10, v34
	v_mov_b32_e32 v52, 0x7f800001
	s_and_saveexec_b64 s[10:11], vcc
	s_cbranch_execz .LBB570_225
; %bb.224:
	v_and_b32_e32 v51, 7, v42
	v_ffbh_u32_e32 v52, v51
	v_min_u32_e32 v55, 32, v52
	v_subrev_u32_e32 v52, 28, v55
	v_lshlrev_b64 v[52:53], v52, v[42:43]
	v_lshrrev_b32_e32 v54, 3, v34
	v_sub_u32_e32 v53, 29, v55
	v_and_b32_e32 v52, 7, v52
	v_cmp_gt_u32_e32 vcc, 8, v34
	v_cndmask_b32_e32 v34, v54, v53, vcc
	v_cndmask_b32_e32 v51, v51, v52, vcc
	v_lshlrev_b32_e32 v42, 24, v42
	v_bfrev_b32_e32 v52, 60
	v_lshlrev_b32_e32 v51, 20, v51
	v_and_b32_e32 v42, 0x80000000, v42
	v_lshl_add_u32 v34, v34, 23, v52
	v_or3_b32 v52, v42, v34, v51
.LBB570_225:
	s_or_b64 exec, exec, s[10:11]
.LBB570_226:
	s_or_b64 exec, exec, s[8:9]
.LBB570_227:
	s_or_b64 exec, exec, s[2:3]
	v_cmp_ne_u16_sdwa s[8:9], v35, v45 src0_sel:BYTE_0 src1_sel:DWORD
	s_and_saveexec_b64 s[2:3], s[8:9]
	s_cbranch_execz .LBB570_233
; %bb.228:
	s_movk_i32 s8, 0x80
	v_cmp_ne_u16_sdwa s[10:11], v35, s8 src0_sel:BYTE_0 src1_sel:DWORD
	v_bfrev_b32_e32 v45, 1
	s_and_saveexec_b64 s[8:9], s[10:11]
	s_cbranch_execz .LBB570_232
; %bb.229:
	s_movk_i32 s10, 0x7f
	v_and_b32_e32 v34, 0x7f, v35
	v_cmp_ne_u32_e32 vcc, s10, v34
	v_mov_b32_e32 v45, 0x7f800001
	s_and_saveexec_b64 s[10:11], vcc
	s_cbranch_execz .LBB570_231
; %bb.230:
	v_and_b32_e32 v45, 7, v35
	v_ffbh_u32_e32 v53, v45
	v_min_u32_e32 v53, 32, v53
	v_mov_b32_e32 v42, v35
	v_subrev_u32_e32 v54, 28, v53
	v_lshlrev_b64 v[54:55], v54, v[42:43]
	v_lshrrev_b32_e32 v51, 3, v34
	v_sub_u32_e32 v42, 29, v53
	v_and_b32_e32 v53, 7, v54
	v_cmp_gt_u32_e32 vcc, 8, v34
	v_cndmask_b32_e32 v34, v51, v42, vcc
	v_cndmask_b32_e32 v42, v45, v53, vcc
	v_lshlrev_b32_e32 v45, 24, v35
	v_bfrev_b32_e32 v51, 60
	v_lshlrev_b32_e32 v42, 20, v42
	v_and_b32_e32 v45, 0x80000000, v45
	v_lshl_add_u32 v34, v34, 23, v51
	v_or3_b32 v45, v45, v34, v42
.LBB570_231:
	s_or_b64 exec, exec, s[10:11]
.LBB570_232:
	s_or_b64 exec, exec, s[8:9]
.LBB570_233:
	s_or_b64 exec, exec, s[2:3]
	v_lshrrev_b16_e32 v34, 8, v35
	v_cmp_ne_u16_e32 vcc, 0, v34
	v_mov_b32_e32 v42, 0
	v_mov_b32_e32 v53, 0
	s_and_saveexec_b64 s[2:3], vcc
	s_cbranch_execz .LBB570_239
; %bb.234:
	s_movk_i32 s8, 0x80
	v_cmp_ne_u16_e32 vcc, s8, v34
	v_bfrev_b32_e32 v53, 1
	s_and_saveexec_b64 s[8:9], vcc
	s_cbranch_execz .LBB570_238
; %bb.235:
	s_movk_i32 s10, 0x7f
	v_and_b32_e32 v51, 0x7f, v34
	v_cmp_ne_u32_e32 vcc, s10, v51
	v_mov_b32_e32 v53, 0x7f800001
	s_and_saveexec_b64 s[10:11], vcc
	s_cbranch_execz .LBB570_237
; %bb.236:
	v_and_b32_e32 v53, 7, v34
	v_ffbh_u32_e32 v54, v53
	v_min_u32_e32 v57, 32, v54
	v_subrev_u32_e32 v54, 28, v57
	v_lshlrev_b64 v[54:55], v54, v[34:35]
	v_lshrrev_b32_e32 v56, 3, v51
	v_sub_u32_e32 v34, 29, v57
	v_and_b32_e32 v54, 7, v54
	v_cmp_gt_u32_e32 vcc, 8, v51
	v_cndmask_b32_e32 v34, v56, v34, vcc
	v_cndmask_b32_e32 v51, v53, v54, vcc
	v_lshlrev_b32_e32 v53, 16, v35
	v_bfrev_b32_e32 v54, 60
	v_lshlrev_b32_e32 v51, 20, v51
	v_and_b32_e32 v53, 0x80000000, v53
	v_lshl_add_u32 v34, v34, 23, v54
	v_or3_b32 v53, v53, v34, v51
.LBB570_237:
	s_or_b64 exec, exec, s[10:11]
.LBB570_238:
	s_or_b64 exec, exec, s[8:9]
.LBB570_239:
	s_or_b64 exec, exec, s[2:3]
	s_movk_i32 s2, 0xff
	v_and_b32_sdwa v51, v35, s2 dst_sel:DWORD dst_unused:UNUSED_PAD src0_sel:WORD_1 src1_sel:DWORD
	v_lshrrev_b32_e32 v34, 16, v35
	v_cmp_ne_u16_e32 vcc, 0, v51
	s_and_saveexec_b64 s[2:3], vcc
	s_cbranch_execz .LBB570_245
; %bb.240:
	s_movk_i32 s8, 0x80
	v_cmp_ne_u16_e32 vcc, s8, v51
	v_bfrev_b32_e32 v42, 1
	s_and_saveexec_b64 s[8:9], vcc
	s_cbranch_execz .LBB570_244
; %bb.241:
	v_bfe_u32 v51, v35, 16, 7
	s_movk_i32 s10, 0x7f
	v_cmp_ne_u32_e32 vcc, s10, v51
	v_mov_b32_e32 v42, 0x7f800001
	s_and_saveexec_b64 s[10:11], vcc
	s_cbranch_execz .LBB570_243
; %bb.242:
	v_and_b32_e32 v42, 7, v34
	v_ffbh_u32_e32 v54, v42
	v_min_u32_e32 v57, 32, v54
	v_subrev_u32_e32 v54, 28, v57
	v_lshlrev_b64 v[54:55], v54, v[34:35]
	v_lshrrev_b32_e32 v56, 3, v51
	v_sub_u32_e32 v34, 29, v57
	v_and_b32_e32 v54, 7, v54
	v_cmp_gt_u32_e32 vcc, 8, v51
	v_mov_b32_e32 v51, 24
	v_cndmask_b32_e32 v34, v56, v34, vcc
	v_cndmask_b32_e32 v42, v42, v54, vcc
	v_lshlrev_b32_sdwa v51, v51, v35 dst_sel:DWORD dst_unused:UNUSED_PAD src0_sel:DWORD src1_sel:WORD_1
	v_bfrev_b32_e32 v54, 60
	v_lshlrev_b32_e32 v42, 20, v42
	v_and_b32_e32 v51, 0x80000000, v51
	v_lshl_add_u32 v34, v34, 23, v54
	v_or3_b32 v42, v51, v34, v42
.LBB570_243:
	s_or_b64 exec, exec, s[10:11]
.LBB570_244:
	s_or_b64 exec, exec, s[8:9]
.LBB570_245:
	s_or_b64 exec, exec, s[2:3]
	s_mov_b32 s2, 0xffffff
	v_cmp_lt_u32_e32 vcc, s2, v35
	v_mov_b32_e32 v51, 0
	v_mov_b32_e32 v54, 0
	s_and_saveexec_b64 s[2:3], vcc
	s_cbranch_execz .LBB570_251
; %bb.246:
	v_lshrrev_b32_e32 v34, 24, v35
	s_movk_i32 s8, 0x80
	v_cmp_ne_u32_e32 vcc, s8, v34
	v_bfrev_b32_e32 v54, 1
	s_and_saveexec_b64 s[8:9], vcc
	s_cbranch_execz .LBB570_250
; %bb.247:
	v_bfe_u32 v35, v35, 24, 7
	s_movk_i32 s10, 0x7f
	v_cmp_ne_u32_e32 vcc, s10, v35
	v_mov_b32_e32 v54, 0x7f800001
	s_and_saveexec_b64 s[10:11], vcc
	s_cbranch_execz .LBB570_249
; %bb.248:
	v_and_b32_e32 v56, 7, v34
	v_ffbh_u32_e32 v54, v56
	v_min_u32_e32 v58, 32, v54
	v_subrev_u32_e32 v54, 28, v58
	v_lshlrev_b64 v[54:55], v54, v[34:35]
	v_lshrrev_b32_e32 v57, 3, v35
	v_sub_u32_e32 v55, 29, v58
	v_and_b32_e32 v54, 7, v54
	v_cmp_gt_u32_e32 vcc, 8, v35
	v_cndmask_b32_e32 v35, v57, v55, vcc
	v_cndmask_b32_e32 v54, v56, v54, vcc
	v_lshlrev_b32_e32 v34, 24, v34
	v_bfrev_b32_e32 v55, 60
	v_lshlrev_b32_e32 v54, 20, v54
	v_and_b32_e32 v34, 0x80000000, v34
	v_lshl_add_u32 v35, v35, 23, v55
	v_or3_b32 v54, v34, v35, v54
.LBB570_249:
	s_or_b64 exec, exec, s[10:11]
.LBB570_250:
	s_or_b64 exec, exec, s[8:9]
.LBB570_251:
	s_or_b64 exec, exec, s[2:3]
	v_cvt_pkrtz_f16_f32 v34, v50, v44
	v_cvt_pkrtz_f16_f32 v35, v43, v52
	v_cmp_ne_u16_sdwa s[8:9], v36, v51 src0_sel:BYTE_0 src1_sel:DWORD
	s_nop 0
	v_mfma_f32_16x16x16f16 v[56:59], v[34:35], v[26:27], 0
	v_cvt_pkrtz_f16_f32 v34, v45, v53
	v_cvt_pkrtz_f16_f32 v35, v42, v54
	s_nop 1
	v_mfma_f32_16x16x16f16 v[42:45], v[34:35], v[28:29], v[56:59]
	s_and_saveexec_b64 s[2:3], s[8:9]
	s_cbranch_execz .LBB570_257
; %bb.252:
	s_movk_i32 s8, 0x80
	v_cmp_ne_u16_sdwa s[10:11], v36, s8 src0_sel:BYTE_0 src1_sel:DWORD
	v_bfrev_b32_e32 v51, 1
	s_and_saveexec_b64 s[8:9], s[10:11]
	s_cbranch_execz .LBB570_256
; %bb.253:
	s_movk_i32 s10, 0x7f
	v_and_b32_e32 v34, 0x7f, v36
	v_cmp_ne_u32_e32 vcc, s10, v34
	v_mov_b32_e32 v51, 0x7f800001
	s_and_saveexec_b64 s[10:11], vcc
	s_cbranch_execz .LBB570_255
; %bb.254:
	v_and_b32_e32 v35, 7, v36
	v_ffbh_u32_e32 v50, v35
	v_min_u32_e32 v53, 32, v50
	v_subrev_u32_e32 v50, 28, v53
	v_lshlrev_b64 v[50:51], v50, v[36:37]
	v_lshrrev_b32_e32 v52, 3, v34
	v_sub_u32_e32 v51, 29, v53
	v_and_b32_e32 v50, 7, v50
	v_cmp_gt_u32_e32 vcc, 8, v34
	v_cndmask_b32_e32 v34, v52, v51, vcc
	v_cndmask_b32_e32 v35, v35, v50, vcc
	v_lshlrev_b32_e32 v50, 24, v36
	v_bfrev_b32_e32 v51, 60
	v_lshlrev_b32_e32 v35, 20, v35
	v_and_b32_e32 v50, 0x80000000, v50
	v_lshl_add_u32 v34, v34, 23, v51
	v_or3_b32 v51, v50, v34, v35
.LBB570_255:
	s_or_b64 exec, exec, s[10:11]
.LBB570_256:
	s_or_b64 exec, exec, s[8:9]
.LBB570_257:
	s_or_b64 exec, exec, s[2:3]
	v_lshrrev_b16_e32 v34, 8, v36
	v_cmp_ne_u16_e32 vcc, 0, v34
	v_mov_b32_e32 v35, 0
	v_mov_b32_e32 v52, 0
	s_and_saveexec_b64 s[2:3], vcc
	s_cbranch_execz .LBB570_263
; %bb.258:
	s_movk_i32 s8, 0x80
	v_cmp_ne_u16_e32 vcc, s8, v34
	v_bfrev_b32_e32 v52, 1
	s_and_saveexec_b64 s[8:9], vcc
	s_cbranch_execz .LBB570_262
; %bb.259:
	s_movk_i32 s10, 0x7f
	v_and_b32_e32 v50, 0x7f, v34
	v_cmp_ne_u32_e32 vcc, s10, v50
	v_mov_b32_e32 v52, 0x7f800001
	s_and_saveexec_b64 s[10:11], vcc
	s_cbranch_execz .LBB570_261
; %bb.260:
	v_and_b32_e32 v54, 7, v34
	v_ffbh_u32_e32 v52, v54
	v_min_u32_e32 v56, 32, v52
	v_subrev_u32_e32 v52, 28, v56
	v_lshlrev_b64 v[52:53], v52, v[34:35]
	v_lshrrev_b32_e32 v55, 3, v50
	v_sub_u32_e32 v34, 29, v56
	v_and_b32_e32 v52, 7, v52
	v_cmp_gt_u32_e32 vcc, 8, v50
	v_cndmask_b32_e32 v34, v55, v34, vcc
	v_cndmask_b32_e32 v50, v54, v52, vcc
	v_lshlrev_b32_e32 v52, 16, v36
	v_bfrev_b32_e32 v53, 60
	v_lshlrev_b32_e32 v50, 20, v50
	v_and_b32_e32 v52, 0x80000000, v52
	v_lshl_add_u32 v34, v34, 23, v53
	v_or3_b32 v52, v52, v34, v50
.LBB570_261:
	s_or_b64 exec, exec, s[10:11]
.LBB570_262:
	s_or_b64 exec, exec, s[8:9]
.LBB570_263:
	s_or_b64 exec, exec, s[2:3]
	s_movk_i32 s2, 0xff
	v_and_b32_sdwa v50, v36, s2 dst_sel:DWORD dst_unused:UNUSED_PAD src0_sel:WORD_1 src1_sel:DWORD
	v_lshrrev_b32_e32 v34, 16, v36
	v_cmp_ne_u16_e32 vcc, 0, v50
	s_and_saveexec_b64 s[2:3], vcc
	s_cbranch_execz .LBB570_269
; %bb.264:
	s_movk_i32 s8, 0x80
	v_cmp_ne_u16_e32 vcc, s8, v50
	v_bfrev_b32_e32 v35, 1
	s_and_saveexec_b64 s[8:9], vcc
	s_cbranch_execz .LBB570_268
; %bb.265:
	v_bfe_u32 v50, v36, 16, 7
	s_movk_i32 s10, 0x7f
	v_cmp_ne_u32_e32 vcc, s10, v50
	v_mov_b32_e32 v35, 0x7f800001
	s_and_saveexec_b64 s[10:11], vcc
	s_cbranch_execz .LBB570_267
; %bb.266:
	v_and_b32_e32 v53, 7, v34
	v_ffbh_u32_e32 v35, v53
	v_min_u32_e32 v55, 32, v35
	v_subrev_u32_e32 v35, 28, v55
	v_lshlrev_b64 v[34:35], v35, v[34:35]
	v_lshrrev_b32_e32 v54, 3, v50
	v_sub_u32_e32 v35, 29, v55
	v_and_b32_e32 v34, 7, v34
	v_cmp_gt_u32_e32 vcc, 8, v50
	v_mov_b32_e32 v50, 24
	v_cndmask_b32_e32 v35, v54, v35, vcc
	v_cndmask_b32_e32 v34, v53, v34, vcc
	v_lshlrev_b32_sdwa v50, v50, v36 dst_sel:DWORD dst_unused:UNUSED_PAD src0_sel:DWORD src1_sel:WORD_1
	v_bfrev_b32_e32 v53, 60
	v_lshlrev_b32_e32 v34, 20, v34
	v_and_b32_e32 v50, 0x80000000, v50
	v_lshl_add_u32 v35, v35, 23, v53
	v_or3_b32 v35, v50, v35, v34
.LBB570_267:
	s_or_b64 exec, exec, s[10:11]
.LBB570_268:
	s_or_b64 exec, exec, s[8:9]
.LBB570_269:
	s_or_b64 exec, exec, s[2:3]
	s_mov_b32 s2, 0xffffff
	v_cmp_lt_u32_e32 vcc, s2, v36
	v_mov_b32_e32 v53, 0
	v_mov_b32_e32 v54, 0
	s_and_saveexec_b64 s[2:3], vcc
	s_cbranch_execz .LBB570_275
; %bb.270:
	v_lshrrev_b32_e32 v34, 24, v36
	s_movk_i32 s8, 0x80
	v_cmp_ne_u32_e32 vcc, s8, v34
	v_bfrev_b32_e32 v54, 1
	s_and_saveexec_b64 s[8:9], vcc
	s_cbranch_execz .LBB570_274
; %bb.271:
	v_bfe_u32 v36, v36, 24, 7
	s_movk_i32 s10, 0x7f
	v_cmp_ne_u32_e32 vcc, s10, v36
	v_mov_b32_e32 v54, 0x7f800001
	s_and_saveexec_b64 s[10:11], vcc
	s_cbranch_execz .LBB570_273
; %bb.272:
	v_and_b32_e32 v50, 7, v34
	v_ffbh_u32_e32 v54, v50
	v_min_u32_e32 v57, 32, v54
	v_subrev_u32_e32 v54, 28, v57
	v_lshlrev_b64 v[54:55], v54, v[34:35]
	v_lshrrev_b32_e32 v56, 3, v36
	v_sub_u32_e32 v55, 29, v57
	v_and_b32_e32 v54, 7, v54
	v_cmp_gt_u32_e32 vcc, 8, v36
	v_cndmask_b32_e32 v36, v56, v55, vcc
	v_cndmask_b32_e32 v50, v50, v54, vcc
	v_lshlrev_b32_e32 v34, 24, v34
	v_bfrev_b32_e32 v54, 60
	v_lshlrev_b32_e32 v50, 20, v50
	v_and_b32_e32 v34, 0x80000000, v34
	v_lshl_add_u32 v36, v36, 23, v54
	v_or3_b32 v54, v34, v36, v50
.LBB570_273:
	s_or_b64 exec, exec, s[10:11]
.LBB570_274:
	s_or_b64 exec, exec, s[8:9]
.LBB570_275:
	s_or_b64 exec, exec, s[2:3]
	v_cmp_ne_u16_sdwa s[8:9], v37, v53 src0_sel:BYTE_0 src1_sel:DWORD
	s_and_saveexec_b64 s[2:3], s[8:9]
	s_cbranch_execz .LBB570_281
; %bb.276:
	s_movk_i32 s8, 0x80
	v_cmp_ne_u16_sdwa s[10:11], v37, s8 src0_sel:BYTE_0 src1_sel:DWORD
	v_bfrev_b32_e32 v53, 1
	s_and_saveexec_b64 s[8:9], s[10:11]
	s_cbranch_execz .LBB570_280
; %bb.277:
	s_movk_i32 s10, 0x7f
	v_and_b32_e32 v34, 0x7f, v37
	v_cmp_ne_u32_e32 vcc, s10, v34
	v_mov_b32_e32 v53, 0x7f800001
	s_and_saveexec_b64 s[10:11], vcc
	s_cbranch_execz .LBB570_279
; %bb.278:
	v_and_b32_e32 v50, 7, v37
	v_ffbh_u32_e32 v55, v50
	v_min_u32_e32 v55, 32, v55
	v_mov_b32_e32 v36, v37
	v_subrev_u32_e32 v56, 28, v55
	v_lshlrev_b64 v[56:57], v56, v[36:37]
	v_lshrrev_b32_e32 v53, 3, v34
	v_sub_u32_e32 v36, 29, v55
	v_and_b32_e32 v55, 7, v56
	v_cmp_gt_u32_e32 vcc, 8, v34
	v_cndmask_b32_e32 v34, v53, v36, vcc
	v_cndmask_b32_e32 v36, v50, v55, vcc
	v_lshlrev_b32_e32 v50, 24, v37
	v_bfrev_b32_e32 v53, 60
	v_lshlrev_b32_e32 v36, 20, v36
	v_and_b32_e32 v50, 0x80000000, v50
	v_lshl_add_u32 v34, v34, 23, v53
	v_or3_b32 v53, v50, v34, v36
.LBB570_279:
	s_or_b64 exec, exec, s[10:11]
.LBB570_280:
	s_or_b64 exec, exec, s[8:9]
.LBB570_281:
	s_or_b64 exec, exec, s[2:3]
	v_lshrrev_b16_e32 v34, 8, v37
	v_cmp_ne_u16_e32 vcc, 0, v34
	v_mov_b32_e32 v36, 0
	v_mov_b32_e32 v55, 0
	s_and_saveexec_b64 s[2:3], vcc
	s_cbranch_execz .LBB570_287
; %bb.282:
	s_movk_i32 s8, 0x80
	v_cmp_ne_u16_e32 vcc, s8, v34
	v_bfrev_b32_e32 v55, 1
	s_and_saveexec_b64 s[8:9], vcc
	s_cbranch_execz .LBB570_286
; %bb.283:
	s_movk_i32 s10, 0x7f
	v_and_b32_e32 v50, 0x7f, v34
	v_cmp_ne_u32_e32 vcc, s10, v50
	v_mov_b32_e32 v55, 0x7f800001
	s_and_saveexec_b64 s[10:11], vcc
	s_cbranch_execz .LBB570_285
; %bb.284:
	v_and_b32_e32 v55, 7, v34
	v_ffbh_u32_e32 v56, v55
	v_min_u32_e32 v59, 32, v56
	v_subrev_u32_e32 v56, 28, v59
	v_lshlrev_b64 v[56:57], v56, v[34:35]
	v_lshrrev_b32_e32 v58, 3, v50
	v_sub_u32_e32 v34, 29, v59
	v_and_b32_e32 v56, 7, v56
	v_cmp_gt_u32_e32 vcc, 8, v50
	v_cndmask_b32_e32 v34, v58, v34, vcc
	v_cndmask_b32_e32 v50, v55, v56, vcc
	v_lshlrev_b32_e32 v55, 16, v37
	v_bfrev_b32_e32 v56, 60
	v_lshlrev_b32_e32 v50, 20, v50
	v_and_b32_e32 v55, 0x80000000, v55
	v_lshl_add_u32 v34, v34, 23, v56
	v_or3_b32 v55, v55, v34, v50
.LBB570_285:
	s_or_b64 exec, exec, s[10:11]
.LBB570_286:
	s_or_b64 exec, exec, s[8:9]
.LBB570_287:
	s_or_b64 exec, exec, s[2:3]
	s_movk_i32 s2, 0xff
	v_and_b32_sdwa v50, v37, s2 dst_sel:DWORD dst_unused:UNUSED_PAD src0_sel:WORD_1 src1_sel:DWORD
	v_lshrrev_b32_e32 v34, 16, v37
	v_cmp_ne_u16_e32 vcc, 0, v50
	s_and_saveexec_b64 s[2:3], vcc
	s_cbranch_execz .LBB570_293
; %bb.288:
	s_movk_i32 s8, 0x80
	v_cmp_ne_u16_e32 vcc, s8, v50
	v_bfrev_b32_e32 v36, 1
	s_and_saveexec_b64 s[8:9], vcc
	s_cbranch_execz .LBB570_292
; %bb.289:
	v_bfe_u32 v50, v37, 16, 7
	s_movk_i32 s10, 0x7f
	v_cmp_ne_u32_e32 vcc, s10, v50
	v_mov_b32_e32 v36, 0x7f800001
	s_and_saveexec_b64 s[10:11], vcc
	s_cbranch_execz .LBB570_291
; %bb.290:
	v_and_b32_e32 v36, 7, v34
	v_ffbh_u32_e32 v56, v36
	v_min_u32_e32 v59, 32, v56
	v_subrev_u32_e32 v56, 28, v59
	v_lshlrev_b64 v[56:57], v56, v[34:35]
	v_lshrrev_b32_e32 v58, 3, v50
	v_sub_u32_e32 v34, 29, v59
	v_and_b32_e32 v56, 7, v56
	v_cmp_gt_u32_e32 vcc, 8, v50
	v_mov_b32_e32 v50, 24
	v_cndmask_b32_e32 v34, v58, v34, vcc
	v_cndmask_b32_e32 v36, v36, v56, vcc
	v_lshlrev_b32_sdwa v50, v50, v37 dst_sel:DWORD dst_unused:UNUSED_PAD src0_sel:DWORD src1_sel:WORD_1
	v_bfrev_b32_e32 v56, 60
	v_lshlrev_b32_e32 v36, 20, v36
	v_and_b32_e32 v50, 0x80000000, v50
	v_lshl_add_u32 v34, v34, 23, v56
	v_or3_b32 v36, v50, v34, v36
.LBB570_291:
	s_or_b64 exec, exec, s[10:11]
.LBB570_292:
	s_or_b64 exec, exec, s[8:9]
.LBB570_293:
	s_or_b64 exec, exec, s[2:3]
	s_mov_b32 s2, 0xffffff
	v_cmp_lt_u32_e32 vcc, s2, v37
	v_mov_b32_e32 v50, 0
	v_mov_b32_e32 v56, 0
	s_and_saveexec_b64 s[2:3], vcc
	s_cbranch_execz .LBB570_299
; %bb.294:
	v_lshrrev_b32_e32 v34, 24, v37
	s_movk_i32 s8, 0x80
	v_cmp_ne_u32_e32 vcc, s8, v34
	v_bfrev_b32_e32 v56, 1
	s_and_saveexec_b64 s[8:9], vcc
	s_cbranch_execz .LBB570_298
; %bb.295:
	v_bfe_u32 v37, v37, 24, 7
	s_movk_i32 s10, 0x7f
	v_cmp_ne_u32_e32 vcc, s10, v37
	v_mov_b32_e32 v56, 0x7f800001
	s_and_saveexec_b64 s[10:11], vcc
	s_cbranch_execz .LBB570_297
; %bb.296:
	v_and_b32_e32 v58, 7, v34
	v_ffbh_u32_e32 v56, v58
	v_min_u32_e32 v60, 32, v56
	v_subrev_u32_e32 v56, 28, v60
	v_lshlrev_b64 v[56:57], v56, v[34:35]
	v_lshrrev_b32_e32 v59, 3, v37
	v_sub_u32_e32 v57, 29, v60
	v_and_b32_e32 v56, 7, v56
	v_cmp_gt_u32_e32 vcc, 8, v37
	v_cndmask_b32_e32 v37, v59, v57, vcc
	v_cndmask_b32_e32 v56, v58, v56, vcc
	v_lshlrev_b32_e32 v34, 24, v34
	v_bfrev_b32_e32 v57, 60
	v_lshlrev_b32_e32 v56, 20, v56
	v_and_b32_e32 v34, 0x80000000, v34
	v_lshl_add_u32 v37, v37, 23, v57
	v_or3_b32 v56, v34, v37, v56
.LBB570_297:
	s_or_b64 exec, exec, s[10:11]
.LBB570_298:
	s_or_b64 exec, exec, s[8:9]
.LBB570_299:
	s_or_b64 exec, exec, s[2:3]
	v_cvt_pkrtz_f16_f32 v34, v51, v52
	v_cvt_pkrtz_f16_f32 v35, v35, v54
	s_waitcnt vmcnt(4)
	v_cmp_ne_u16_sdwa s[8:9], v22, v50 src0_sel:BYTE_0 src1_sel:DWORD
	v_mfma_f32_16x16x16f16 v[42:45], v[34:35], v[18:19], v[42:45]
	v_cvt_pkrtz_f16_f32 v34, v53, v55
	v_cvt_pkrtz_f16_f32 v35, v36, v56
	s_nop 1
	v_mfma_f32_16x16x16f16 v[34:37], v[34:35], v[20:21], v[42:45]
	s_and_saveexec_b64 s[2:3], s[8:9]
	s_cbranch_execz .LBB570_305
; %bb.300:
	s_movk_i32 s8, 0x80
	v_cmp_ne_u16_sdwa s[10:11], v22, s8 src0_sel:BYTE_0 src1_sel:DWORD
	v_bfrev_b32_e32 v50, 1
	s_and_saveexec_b64 s[8:9], s[10:11]
	s_cbranch_execz .LBB570_304
; %bb.301:
	s_movk_i32 s10, 0x7f
	v_and_b32_e32 v42, 0x7f, v22
	v_cmp_ne_u32_e32 vcc, s10, v42
	v_mov_b32_e32 v50, 0x7f800001
	s_and_saveexec_b64 s[10:11], vcc
	s_cbranch_execz .LBB570_303
; %bb.302:
	v_and_b32_e32 v43, 7, v22
	v_ffbh_u32_e32 v44, v43
	v_min_u32_e32 v51, 32, v44
	v_subrev_u32_e32 v44, 28, v51
	v_lshlrev_b64 v[44:45], v44, v[22:23]
	v_lshrrev_b32_e32 v50, 3, v42
	v_sub_u32_e32 v45, 29, v51
	v_and_b32_e32 v44, 7, v44
	v_cmp_gt_u32_e32 vcc, 8, v42
	v_cndmask_b32_e32 v42, v50, v45, vcc
	v_cndmask_b32_e32 v43, v43, v44, vcc
	v_lshlrev_b32_e32 v44, 24, v22
	v_bfrev_b32_e32 v45, 60
	v_lshlrev_b32_e32 v43, 20, v43
	v_and_b32_e32 v44, 0x80000000, v44
	v_lshl_add_u32 v42, v42, 23, v45
	v_or3_b32 v50, v44, v42, v43
.LBB570_303:
	s_or_b64 exec, exec, s[10:11]
.LBB570_304:
	s_or_b64 exec, exec, s[8:9]
.LBB570_305:
	s_or_b64 exec, exec, s[2:3]
	s_nop 3
	v_lshrrev_b16_e32 v42, 8, v22
	v_cmp_ne_u16_e32 vcc, 0, v42
	v_mov_b32_e32 v43, 0
	v_mov_b32_e32 v44, 0
	s_and_saveexec_b64 s[2:3], vcc
	s_cbranch_execz .LBB570_311
; %bb.306:
	s_movk_i32 s8, 0x80
	v_cmp_ne_u16_e32 vcc, s8, v42
	v_bfrev_b32_e32 v44, 1
	s_and_saveexec_b64 s[8:9], vcc
	s_cbranch_execz .LBB570_310
; %bb.307:
	s_movk_i32 s10, 0x7f
	v_and_b32_e32 v45, 0x7f, v42
	v_cmp_ne_u32_e32 vcc, s10, v45
	v_mov_b32_e32 v44, 0x7f800001
	s_and_saveexec_b64 s[10:11], vcc
	s_cbranch_execz .LBB570_309
; %bb.308:
	v_and_b32_e32 v44, 7, v42
	v_ffbh_u32_e32 v52, v44
	v_min_u32_e32 v54, 32, v52
	v_subrev_u32_e32 v52, 28, v54
	v_lshlrev_b64 v[52:53], v52, v[42:43]
	v_lshrrev_b32_e32 v51, 3, v45
	v_sub_u32_e32 v42, 29, v54
	v_and_b32_e32 v52, 7, v52
	v_cmp_gt_u32_e32 vcc, 8, v45
	v_cndmask_b32_e32 v42, v51, v42, vcc
	v_cndmask_b32_e32 v44, v44, v52, vcc
	v_lshlrev_b32_e32 v45, 16, v22
	v_bfrev_b32_e32 v51, 60
	v_lshlrev_b32_e32 v44, 20, v44
	v_and_b32_e32 v45, 0x80000000, v45
	v_lshl_add_u32 v42, v42, 23, v51
	v_or3_b32 v44, v45, v42, v44
.LBB570_309:
	s_or_b64 exec, exec, s[10:11]
.LBB570_310:
	s_or_b64 exec, exec, s[8:9]
.LBB570_311:
	s_or_b64 exec, exec, s[2:3]
	s_movk_i32 s2, 0xff
	v_and_b32_sdwa v45, v22, s2 dst_sel:DWORD dst_unused:UNUSED_PAD src0_sel:WORD_1 src1_sel:DWORD
	v_lshrrev_b32_e32 v42, 16, v22
	v_cmp_ne_u16_e32 vcc, 0, v45
	s_and_saveexec_b64 s[2:3], vcc
	s_cbranch_execz .LBB570_317
; %bb.312:
	s_movk_i32 s8, 0x80
	v_cmp_ne_u16_e32 vcc, s8, v45
	v_bfrev_b32_e32 v43, 1
	s_and_saveexec_b64 s[8:9], vcc
	s_cbranch_execz .LBB570_316
; %bb.313:
	v_bfe_u32 v45, v22, 16, 7
	s_movk_i32 s10, 0x7f
	v_cmp_ne_u32_e32 vcc, s10, v45
	v_mov_b32_e32 v43, 0x7f800001
	s_and_saveexec_b64 s[10:11], vcc
	s_cbranch_execz .LBB570_315
; %bb.314:
	v_and_b32_e32 v51, 7, v42
	v_ffbh_u32_e32 v43, v51
	v_min_u32_e32 v53, 32, v43
	v_subrev_u32_e32 v43, 28, v53
	v_lshlrev_b64 v[42:43], v43, v[42:43]
	v_lshrrev_b32_e32 v52, 3, v45
	v_sub_u32_e32 v43, 29, v53
	v_and_b32_e32 v42, 7, v42
	v_cmp_gt_u32_e32 vcc, 8, v45
	v_mov_b32_e32 v45, 24
	v_cndmask_b32_e32 v43, v52, v43, vcc
	v_cndmask_b32_e32 v42, v51, v42, vcc
	v_lshlrev_b32_sdwa v45, v45, v22 dst_sel:DWORD dst_unused:UNUSED_PAD src0_sel:DWORD src1_sel:WORD_1
	v_bfrev_b32_e32 v51, 60
	v_lshlrev_b32_e32 v42, 20, v42
	v_and_b32_e32 v45, 0x80000000, v45
	v_lshl_add_u32 v43, v43, 23, v51
	v_or3_b32 v43, v45, v43, v42
.LBB570_315:
	s_or_b64 exec, exec, s[10:11]
.LBB570_316:
	s_or_b64 exec, exec, s[8:9]
.LBB570_317:
	s_or_b64 exec, exec, s[2:3]
	s_mov_b32 s2, 0xffffff
	v_cmp_lt_u32_e32 vcc, s2, v22
	v_mov_b32_e32 v45, 0
	v_mov_b32_e32 v51, 0
	s_and_saveexec_b64 s[2:3], vcc
	s_cbranch_execz .LBB570_323
; %bb.318:
	v_lshrrev_b32_e32 v42, 24, v22
	s_movk_i32 s8, 0x80
	v_cmp_ne_u32_e32 vcc, s8, v42
	v_bfrev_b32_e32 v51, 1
	s_and_saveexec_b64 s[8:9], vcc
	s_cbranch_execz .LBB570_322
; %bb.319:
	v_bfe_u32 v22, v22, 24, 7
	s_movk_i32 s10, 0x7f
	v_cmp_ne_u32_e32 vcc, s10, v22
	v_mov_b32_e32 v51, 0x7f800001
	s_and_saveexec_b64 s[10:11], vcc
	s_cbranch_execz .LBB570_321
; %bb.320:
	v_and_b32_e32 v51, 7, v42
	v_ffbh_u32_e32 v52, v51
	v_min_u32_e32 v55, 32, v52
	v_subrev_u32_e32 v52, 28, v55
	v_lshlrev_b64 v[52:53], v52, v[42:43]
	v_lshrrev_b32_e32 v54, 3, v22
	v_sub_u32_e32 v53, 29, v55
	v_and_b32_e32 v52, 7, v52
	v_cmp_gt_u32_e32 vcc, 8, v22
	v_cndmask_b32_e32 v22, v54, v53, vcc
	v_cndmask_b32_e32 v51, v51, v52, vcc
	v_lshlrev_b32_e32 v42, 24, v42
	v_bfrev_b32_e32 v52, 60
	v_lshlrev_b32_e32 v51, 20, v51
	v_and_b32_e32 v42, 0x80000000, v42
	v_lshl_add_u32 v22, v22, 23, v52
	v_or3_b32 v51, v42, v22, v51
.LBB570_321:
	s_or_b64 exec, exec, s[10:11]
.LBB570_322:
	s_or_b64 exec, exec, s[8:9]
.LBB570_323:
	s_or_b64 exec, exec, s[2:3]
	v_cmp_ne_u16_sdwa s[8:9], v23, v45 src0_sel:BYTE_0 src1_sel:DWORD
	s_and_saveexec_b64 s[2:3], s[8:9]
	s_cbranch_execz .LBB570_329
; %bb.324:
	s_movk_i32 s8, 0x80
	v_cmp_ne_u16_sdwa s[10:11], v23, s8 src0_sel:BYTE_0 src1_sel:DWORD
	v_bfrev_b32_e32 v45, 1
	s_and_saveexec_b64 s[8:9], s[10:11]
	s_cbranch_execz .LBB570_328
; %bb.325:
	s_movk_i32 s10, 0x7f
	v_and_b32_e32 v22, 0x7f, v23
	v_cmp_ne_u32_e32 vcc, s10, v22
	v_mov_b32_e32 v45, 0x7f800001
	s_and_saveexec_b64 s[10:11], vcc
	s_cbranch_execz .LBB570_327
; %bb.326:
	v_and_b32_e32 v45, 7, v23
	v_ffbh_u32_e32 v52, v45
	v_min_u32_e32 v55, 32, v52
	v_mov_b32_e32 v42, v23
	v_subrev_u32_e32 v52, 28, v55
	v_lshlrev_b64 v[52:53], v52, v[42:43]
	v_lshrrev_b32_e32 v54, 3, v22
	v_sub_u32_e32 v42, 29, v55
	v_and_b32_e32 v52, 7, v52
	v_cmp_gt_u32_e32 vcc, 8, v22
	v_cndmask_b32_e32 v22, v54, v42, vcc
	v_cndmask_b32_e32 v42, v45, v52, vcc
	v_lshlrev_b32_e32 v45, 24, v23
	v_bfrev_b32_e32 v52, 60
	v_lshlrev_b32_e32 v42, 20, v42
	v_and_b32_e32 v45, 0x80000000, v45
	v_lshl_add_u32 v22, v22, 23, v52
	v_or3_b32 v45, v45, v22, v42
.LBB570_327:
	s_or_b64 exec, exec, s[10:11]
.LBB570_328:
	s_or_b64 exec, exec, s[8:9]
.LBB570_329:
	s_or_b64 exec, exec, s[2:3]
	v_lshrrev_b16_e32 v22, 8, v23
	v_cmp_ne_u16_e32 vcc, 0, v22
	v_mov_b32_e32 v52, 0
	v_mov_b32_e32 v53, 0
	s_and_saveexec_b64 s[2:3], vcc
	s_cbranch_execz .LBB570_335
; %bb.330:
	s_movk_i32 s8, 0x80
	v_cmp_ne_u16_e32 vcc, s8, v22
	v_bfrev_b32_e32 v53, 1
	s_and_saveexec_b64 s[8:9], vcc
	s_cbranch_execz .LBB570_334
; %bb.331:
	s_movk_i32 s10, 0x7f
	v_and_b32_e32 v42, 0x7f, v22
	v_cmp_ne_u32_e32 vcc, s10, v42
	v_mov_b32_e32 v53, 0x7f800001
	s_and_saveexec_b64 s[10:11], vcc
	s_cbranch_execz .LBB570_333
; %bb.332:
	v_and_b32_e32 v53, 7, v22
	v_ffbh_u32_e32 v54, v53
	v_min_u32_e32 v57, 32, v54
	v_subrev_u32_e32 v54, 28, v57
	v_lshlrev_b64 v[54:55], v54, v[22:23]
	v_lshrrev_b32_e32 v56, 3, v42
	v_sub_u32_e32 v22, 29, v57
	v_and_b32_e32 v54, 7, v54
	v_cmp_gt_u32_e32 vcc, 8, v42
	v_cndmask_b32_e32 v22, v56, v22, vcc
	v_cndmask_b32_e32 v42, v53, v54, vcc
	v_lshlrev_b32_e32 v53, 16, v23
	v_bfrev_b32_e32 v54, 60
	v_lshlrev_b32_e32 v42, 20, v42
	v_and_b32_e32 v53, 0x80000000, v53
	v_lshl_add_u32 v22, v22, 23, v54
	v_or3_b32 v53, v53, v22, v42
.LBB570_333:
	s_or_b64 exec, exec, s[10:11]
.LBB570_334:
	s_or_b64 exec, exec, s[8:9]
.LBB570_335:
	s_or_b64 exec, exec, s[2:3]
	s_movk_i32 s2, 0xff
	v_and_b32_sdwa v42, v23, s2 dst_sel:DWORD dst_unused:UNUSED_PAD src0_sel:WORD_1 src1_sel:DWORD
	v_lshrrev_b32_e32 v22, 16, v23
	v_cmp_ne_u16_e32 vcc, 0, v42
	s_and_saveexec_b64 s[2:3], vcc
	s_cbranch_execz .LBB570_341
; %bb.336:
	s_movk_i32 s8, 0x80
	v_cmp_ne_u16_e32 vcc, s8, v42
	v_bfrev_b32_e32 v52, 1
	s_and_saveexec_b64 s[8:9], vcc
	s_cbranch_execz .LBB570_340
; %bb.337:
	v_bfe_u32 v42, v23, 16, 7
	s_movk_i32 s10, 0x7f
	v_cmp_ne_u32_e32 vcc, s10, v42
	v_mov_b32_e32 v52, 0x7f800001
	s_and_saveexec_b64 s[10:11], vcc
	s_cbranch_execz .LBB570_339
; %bb.338:
	v_and_b32_e32 v52, 7, v22
	v_ffbh_u32_e32 v54, v52
	v_min_u32_e32 v57, 32, v54
	v_subrev_u32_e32 v54, 28, v57
	v_lshlrev_b64 v[54:55], v54, v[22:23]
	v_and_b32_e32 v54, 7, v54
	v_cmp_gt_u32_e32 vcc, 8, v42
	v_lshrrev_b32_e32 v56, 3, v42
	v_sub_u32_e32 v22, 29, v57
	v_cndmask_b32_e32 v42, v52, v54, vcc
	v_mov_b32_e32 v52, 24
	v_cndmask_b32_e32 v22, v56, v22, vcc
	v_lshlrev_b32_sdwa v52, v52, v23 dst_sel:DWORD dst_unused:UNUSED_PAD src0_sel:DWORD src1_sel:WORD_1
	v_bfrev_b32_e32 v54, 60
	v_lshlrev_b32_e32 v42, 20, v42
	v_and_b32_e32 v52, 0x80000000, v52
	v_lshl_add_u32 v22, v22, 23, v54
	v_or3_b32 v52, v52, v22, v42
.LBB570_339:
	s_or_b64 exec, exec, s[10:11]
.LBB570_340:
	s_or_b64 exec, exec, s[8:9]
.LBB570_341:
	s_or_b64 exec, exec, s[2:3]
	s_mov_b32 s2, 0xffffff
	v_cmp_lt_u32_e32 vcc, s2, v23
	v_mov_b32_e32 v42, 0
	v_mov_b32_e32 v54, 0
	s_and_saveexec_b64 s[2:3], vcc
	s_cbranch_execz .LBB570_347
; %bb.342:
	v_lshrrev_b32_e32 v22, 24, v23
	s_movk_i32 s8, 0x80
	v_cmp_ne_u32_e32 vcc, s8, v22
	v_bfrev_b32_e32 v54, 1
	s_and_saveexec_b64 s[8:9], vcc
	s_cbranch_execz .LBB570_346
; %bb.343:
	v_bfe_u32 v23, v23, 24, 7
	s_movk_i32 s10, 0x7f
	v_cmp_ne_u32_e32 vcc, s10, v23
	v_mov_b32_e32 v54, 0x7f800001
	s_and_saveexec_b64 s[10:11], vcc
	s_cbranch_execz .LBB570_345
; %bb.344:
	v_and_b32_e32 v56, 7, v22
	v_ffbh_u32_e32 v54, v56
	v_min_u32_e32 v58, 32, v54
	v_subrev_u32_e32 v54, 28, v58
	v_lshlrev_b64 v[54:55], v54, v[22:23]
	v_lshrrev_b32_e32 v57, 3, v23
	v_sub_u32_e32 v55, 29, v58
	v_and_b32_e32 v54, 7, v54
	v_cmp_gt_u32_e32 vcc, 8, v23
	v_cndmask_b32_e32 v23, v57, v55, vcc
	v_cndmask_b32_e32 v54, v56, v54, vcc
	v_lshlrev_b32_e32 v22, 24, v22
	v_bfrev_b32_e32 v55, 60
	v_lshlrev_b32_e32 v54, 20, v54
	v_and_b32_e32 v22, 0x80000000, v22
	v_lshl_add_u32 v23, v23, 23, v55
	v_or3_b32 v54, v22, v23, v54
.LBB570_345:
	s_or_b64 exec, exec, s[10:11]
.LBB570_346:
	s_or_b64 exec, exec, s[8:9]
.LBB570_347:
	s_or_b64 exec, exec, s[2:3]
	v_cvt_pkrtz_f16_f32 v22, v50, v44
	v_cvt_pkrtz_f16_f32 v23, v43, v51
	v_cmp_ne_u16_sdwa s[8:9], v24, v42 src0_sel:BYTE_0 src1_sel:DWORD
	s_nop 0
	v_mfma_f32_16x16x16f16 v[56:59], v[22:23], v[26:27], 0
	v_cvt_pkrtz_f16_f32 v22, v45, v53
	v_cvt_pkrtz_f16_f32 v23, v52, v54
	s_nop 1
	v_mfma_f32_16x16x16f16 v[26:29], v[22:23], v[28:29], v[56:59]
	s_and_saveexec_b64 s[2:3], s[8:9]
	s_cbranch_execz .LBB570_353
; %bb.348:
	s_movk_i32 s8, 0x80
	v_cmp_ne_u16_sdwa s[10:11], v24, s8 src0_sel:BYTE_0 src1_sel:DWORD
	v_bfrev_b32_e32 v42, 1
	s_and_saveexec_b64 s[8:9], s[10:11]
	s_cbranch_execz .LBB570_352
; %bb.349:
	s_movk_i32 s10, 0x7f
	v_and_b32_e32 v22, 0x7f, v24
	v_cmp_ne_u32_e32 vcc, s10, v22
	v_mov_b32_e32 v42, 0x7f800001
	s_and_saveexec_b64 s[10:11], vcc
	s_cbranch_execz .LBB570_351
; %bb.350:
	v_and_b32_e32 v23, 7, v24
	v_ffbh_u32_e32 v42, v23
	v_min_u32_e32 v45, 32, v42
	v_subrev_u32_e32 v42, 28, v45
	v_lshlrev_b64 v[42:43], v42, v[24:25]
	v_lshrrev_b32_e32 v44, 3, v22
	v_sub_u32_e32 v43, 29, v45
	v_and_b32_e32 v42, 7, v42
	v_cmp_gt_u32_e32 vcc, 8, v22
	v_cndmask_b32_e32 v22, v44, v43, vcc
	v_cndmask_b32_e32 v23, v23, v42, vcc
	v_lshlrev_b32_e32 v42, 24, v24
	v_bfrev_b32_e32 v43, 60
	v_lshlrev_b32_e32 v23, 20, v23
	v_and_b32_e32 v42, 0x80000000, v42
	v_lshl_add_u32 v22, v22, 23, v43
	v_or3_b32 v42, v42, v22, v23
.LBB570_351:
	s_or_b64 exec, exec, s[10:11]
.LBB570_352:
	s_or_b64 exec, exec, s[8:9]
.LBB570_353:
	s_or_b64 exec, exec, s[2:3]
	v_lshrrev_b16_e32 v22, 8, v24
	v_cmp_ne_u16_e32 vcc, 0, v22
	v_mov_b32_e32 v23, 0
	v_mov_b32_e32 v43, 0
	s_and_saveexec_b64 s[2:3], vcc
	s_cbranch_execz .LBB570_359
; %bb.354:
	s_movk_i32 s8, 0x80
	v_cmp_ne_u16_e32 vcc, s8, v22
	v_bfrev_b32_e32 v43, 1
	s_and_saveexec_b64 s[8:9], vcc
	s_cbranch_execz .LBB570_358
; %bb.355:
	s_movk_i32 s10, 0x7f
	v_and_b32_e32 v44, 0x7f, v22
	v_cmp_ne_u32_e32 vcc, s10, v44
	v_mov_b32_e32 v43, 0x7f800001
	s_and_saveexec_b64 s[10:11], vcc
	s_cbranch_execz .LBB570_357
; %bb.356:
	v_and_b32_e32 v43, 7, v22
	v_ffbh_u32_e32 v50, v43
	v_min_u32_e32 v52, 32, v50
	v_subrev_u32_e32 v50, 28, v52
	v_lshlrev_b64 v[50:51], v50, v[22:23]
	v_lshrrev_b32_e32 v45, 3, v44
	v_sub_u32_e32 v22, 29, v52
	v_and_b32_e32 v50, 7, v50
	v_cmp_gt_u32_e32 vcc, 8, v44
	v_cndmask_b32_e32 v22, v45, v22, vcc
	v_cndmask_b32_e32 v43, v43, v50, vcc
	v_lshlrev_b32_e32 v44, 16, v24
	v_bfrev_b32_e32 v45, 60
	v_lshlrev_b32_e32 v43, 20, v43
	v_and_b32_e32 v44, 0x80000000, v44
	v_lshl_add_u32 v22, v22, 23, v45
	v_or3_b32 v43, v44, v22, v43
.LBB570_357:
	s_or_b64 exec, exec, s[10:11]
.LBB570_358:
	s_or_b64 exec, exec, s[8:9]
.LBB570_359:
	s_or_b64 exec, exec, s[2:3]
	s_movk_i32 s2, 0xff
	v_and_b32_sdwa v44, v24, s2 dst_sel:DWORD dst_unused:UNUSED_PAD src0_sel:WORD_1 src1_sel:DWORD
	v_lshrrev_b32_e32 v22, 16, v24
	v_cmp_ne_u16_e32 vcc, 0, v44
	s_and_saveexec_b64 s[2:3], vcc
	s_cbranch_execz .LBB570_365
; %bb.360:
	s_movk_i32 s8, 0x80
	v_cmp_ne_u16_e32 vcc, s8, v44
	v_bfrev_b32_e32 v23, 1
	s_and_saveexec_b64 s[8:9], vcc
	s_cbranch_execz .LBB570_364
; %bb.361:
	v_bfe_u32 v44, v24, 16, 7
	s_movk_i32 s10, 0x7f
	v_cmp_ne_u32_e32 vcc, s10, v44
	v_mov_b32_e32 v23, 0x7f800001
	s_and_saveexec_b64 s[10:11], vcc
	s_cbranch_execz .LBB570_363
; %bb.362:
	v_and_b32_e32 v45, 7, v22
	v_ffbh_u32_e32 v23, v45
	v_min_u32_e32 v51, 32, v23
	v_subrev_u32_e32 v23, 28, v51
	v_lshlrev_b64 v[22:23], v23, v[22:23]
	v_lshrrev_b32_e32 v50, 3, v44
	v_sub_u32_e32 v23, 29, v51
	v_and_b32_e32 v22, 7, v22
	v_cmp_gt_u32_e32 vcc, 8, v44
	v_mov_b32_e32 v44, 24
	v_cndmask_b32_e32 v23, v50, v23, vcc
	v_cndmask_b32_e32 v22, v45, v22, vcc
	v_lshlrev_b32_sdwa v44, v44, v24 dst_sel:DWORD dst_unused:UNUSED_PAD src0_sel:DWORD src1_sel:WORD_1
	v_bfrev_b32_e32 v45, 60
	v_lshlrev_b32_e32 v22, 20, v22
	v_and_b32_e32 v44, 0x80000000, v44
	v_lshl_add_u32 v23, v23, 23, v45
	v_or3_b32 v23, v44, v23, v22
.LBB570_363:
	s_or_b64 exec, exec, s[10:11]
.LBB570_364:
	s_or_b64 exec, exec, s[8:9]
.LBB570_365:
	s_or_b64 exec, exec, s[2:3]
	s_mov_b32 s2, 0xffffff
	v_cmp_lt_u32_e32 vcc, s2, v24
	v_mov_b32_e32 v44, 0
	v_mov_b32_e32 v45, 0
	s_and_saveexec_b64 s[2:3], vcc
	s_cbranch_execz .LBB570_371
; %bb.366:
	v_lshrrev_b32_e32 v22, 24, v24
	s_movk_i32 s8, 0x80
	v_cmp_ne_u32_e32 vcc, s8, v22
	v_bfrev_b32_e32 v45, 1
	s_and_saveexec_b64 s[8:9], vcc
	s_cbranch_execz .LBB570_370
; %bb.367:
	v_bfe_u32 v24, v24, 24, 7
	s_movk_i32 s10, 0x7f
	v_cmp_ne_u32_e32 vcc, s10, v24
	v_mov_b32_e32 v45, 0x7f800001
	s_and_saveexec_b64 s[10:11], vcc
	s_cbranch_execz .LBB570_369
; %bb.368:
	v_and_b32_e32 v45, 7, v22
	v_ffbh_u32_e32 v50, v45
	v_min_u32_e32 v53, 32, v50
	v_subrev_u32_e32 v50, 28, v53
	v_lshlrev_b64 v[50:51], v50, v[22:23]
	v_lshrrev_b32_e32 v52, 3, v24
	v_sub_u32_e32 v51, 29, v53
	v_and_b32_e32 v50, 7, v50
	v_cmp_gt_u32_e32 vcc, 8, v24
	v_cndmask_b32_e32 v24, v52, v51, vcc
	v_cndmask_b32_e32 v45, v45, v50, vcc
	v_lshlrev_b32_e32 v22, 24, v22
	v_bfrev_b32_e32 v50, 60
	v_lshlrev_b32_e32 v45, 20, v45
	v_and_b32_e32 v22, 0x80000000, v22
	v_lshl_add_u32 v24, v24, 23, v50
	v_or3_b32 v45, v22, v24, v45
.LBB570_369:
	s_or_b64 exec, exec, s[10:11]
.LBB570_370:
	s_or_b64 exec, exec, s[8:9]
.LBB570_371:
	s_or_b64 exec, exec, s[2:3]
	v_cmp_ne_u16_sdwa s[8:9], v25, v44 src0_sel:BYTE_0 src1_sel:DWORD
	s_and_saveexec_b64 s[2:3], s[8:9]
	s_cbranch_execz .LBB570_377
; %bb.372:
	s_movk_i32 s8, 0x80
	v_cmp_ne_u16_sdwa s[10:11], v25, s8 src0_sel:BYTE_0 src1_sel:DWORD
	v_bfrev_b32_e32 v44, 1
	s_and_saveexec_b64 s[8:9], s[10:11]
	s_cbranch_execz .LBB570_376
; %bb.373:
	s_movk_i32 s10, 0x7f
	v_and_b32_e32 v22, 0x7f, v25
	v_cmp_ne_u32_e32 vcc, s10, v22
	v_mov_b32_e32 v44, 0x7f800001
	s_and_saveexec_b64 s[10:11], vcc
	s_cbranch_execz .LBB570_375
; %bb.374:
	v_and_b32_e32 v44, 7, v25
	v_ffbh_u32_e32 v50, v44
	v_min_u32_e32 v53, 32, v50
	v_mov_b32_e32 v24, v25
	v_subrev_u32_e32 v50, 28, v53
	v_lshlrev_b64 v[50:51], v50, v[24:25]
	v_lshrrev_b32_e32 v52, 3, v22
	v_sub_u32_e32 v24, 29, v53
	v_and_b32_e32 v50, 7, v50
	v_cmp_gt_u32_e32 vcc, 8, v22
	v_cndmask_b32_e32 v22, v52, v24, vcc
	v_cndmask_b32_e32 v24, v44, v50, vcc
	v_lshlrev_b32_e32 v44, 24, v25
	v_bfrev_b32_e32 v50, 60
	v_lshlrev_b32_e32 v24, 20, v24
	v_and_b32_e32 v44, 0x80000000, v44
	v_lshl_add_u32 v22, v22, 23, v50
	v_or3_b32 v44, v44, v22, v24
.LBB570_375:
	s_or_b64 exec, exec, s[10:11]
.LBB570_376:
	s_or_b64 exec, exec, s[8:9]
.LBB570_377:
	s_or_b64 exec, exec, s[2:3]
	v_lshrrev_b16_e32 v22, 8, v25
	v_cmp_ne_u16_e32 vcc, 0, v22
	v_mov_b32_e32 v24, 0
	v_mov_b32_e32 v51, 0
	s_and_saveexec_b64 s[2:3], vcc
	s_cbranch_execz .LBB570_383
; %bb.378:
	s_movk_i32 s8, 0x80
	v_cmp_ne_u16_e32 vcc, s8, v22
	v_bfrev_b32_e32 v51, 1
	s_and_saveexec_b64 s[8:9], vcc
	s_cbranch_execz .LBB570_382
; %bb.379:
	s_movk_i32 s10, 0x7f
	v_and_b32_e32 v50, 0x7f, v22
	v_cmp_ne_u32_e32 vcc, s10, v50
	v_mov_b32_e32 v51, 0x7f800001
	s_and_saveexec_b64 s[10:11], vcc
	s_cbranch_execz .LBB570_381
; %bb.380:
	v_and_b32_e32 v51, 7, v22
	v_ffbh_u32_e32 v52, v51
	v_min_u32_e32 v55, 32, v52
	v_subrev_u32_e32 v52, 28, v55
	v_lshlrev_b64 v[52:53], v52, v[22:23]
	v_lshrrev_b32_e32 v54, 3, v50
	v_sub_u32_e32 v22, 29, v55
	v_and_b32_e32 v52, 7, v52
	v_cmp_gt_u32_e32 vcc, 8, v50
	v_cndmask_b32_e32 v22, v54, v22, vcc
	v_cndmask_b32_e32 v50, v51, v52, vcc
	v_lshlrev_b32_e32 v51, 16, v25
	v_bfrev_b32_e32 v52, 60
	v_lshlrev_b32_e32 v50, 20, v50
	v_and_b32_e32 v51, 0x80000000, v51
	v_lshl_add_u32 v22, v22, 23, v52
	v_or3_b32 v51, v51, v22, v50
.LBB570_381:
	s_or_b64 exec, exec, s[10:11]
.LBB570_382:
	s_or_b64 exec, exec, s[8:9]
.LBB570_383:
	s_or_b64 exec, exec, s[2:3]
	s_movk_i32 s2, 0xff
	v_and_b32_sdwa v50, v25, s2 dst_sel:DWORD dst_unused:UNUSED_PAD src0_sel:WORD_1 src1_sel:DWORD
	v_lshrrev_b32_e32 v22, 16, v25
	v_cmp_ne_u16_e32 vcc, 0, v50
	s_and_saveexec_b64 s[2:3], vcc
	s_cbranch_execz .LBB570_389
; %bb.384:
	s_movk_i32 s8, 0x80
	v_cmp_ne_u16_e32 vcc, s8, v50
	v_bfrev_b32_e32 v24, 1
	s_and_saveexec_b64 s[8:9], vcc
	s_cbranch_execz .LBB570_388
; %bb.385:
	v_bfe_u32 v50, v25, 16, 7
	s_movk_i32 s10, 0x7f
	v_cmp_ne_u32_e32 vcc, s10, v50
	v_mov_b32_e32 v24, 0x7f800001
	s_and_saveexec_b64 s[10:11], vcc
	s_cbranch_execz .LBB570_387
; %bb.386:
	v_and_b32_e32 v24, 7, v22
	v_ffbh_u32_e32 v52, v24
	v_min_u32_e32 v55, 32, v52
	v_subrev_u32_e32 v52, 28, v55
	v_lshlrev_b64 v[52:53], v52, v[22:23]
	v_lshrrev_b32_e32 v54, 3, v50
	v_sub_u32_e32 v22, 29, v55
	v_and_b32_e32 v52, 7, v52
	v_cmp_gt_u32_e32 vcc, 8, v50
	v_mov_b32_e32 v50, 24
	v_cndmask_b32_e32 v22, v54, v22, vcc
	v_cndmask_b32_e32 v24, v24, v52, vcc
	v_lshlrev_b32_sdwa v50, v50, v25 dst_sel:DWORD dst_unused:UNUSED_PAD src0_sel:DWORD src1_sel:WORD_1
	v_bfrev_b32_e32 v52, 60
	v_lshlrev_b32_e32 v24, 20, v24
	v_and_b32_e32 v50, 0x80000000, v50
	v_lshl_add_u32 v22, v22, 23, v52
	v_or3_b32 v24, v50, v22, v24
.LBB570_387:
	s_or_b64 exec, exec, s[10:11]
.LBB570_388:
	s_or_b64 exec, exec, s[8:9]
.LBB570_389:
	s_or_b64 exec, exec, s[2:3]
	s_mov_b32 s2, 0xffffff
	v_and_b32_e32 v50, 63, v0
	v_cmp_lt_u32_e32 vcc, s2, v25
	v_mov_b32_e32 v52, 0
	s_and_saveexec_b64 s[2:3], vcc
	s_cbranch_execz .LBB570_395
; %bb.390:
	v_lshrrev_b32_e32 v22, 24, v25
	s_movk_i32 s8, 0x80
	v_cmp_ne_u32_e32 vcc, s8, v22
	v_bfrev_b32_e32 v52, 1
	s_and_saveexec_b64 s[8:9], vcc
	s_cbranch_execz .LBB570_394
; %bb.391:
	v_bfe_u32 v25, v25, 24, 7
	s_movk_i32 s10, 0x7f
	v_cmp_ne_u32_e32 vcc, s10, v25
	v_mov_b32_e32 v52, 0x7f800001
	s_and_saveexec_b64 s[10:11], vcc
	s_cbranch_execz .LBB570_393
; %bb.392:
	v_and_b32_e32 v54, 7, v22
	v_ffbh_u32_e32 v52, v54
	v_min_u32_e32 v56, 32, v52
	v_subrev_u32_e32 v52, 28, v56
	v_lshlrev_b64 v[52:53], v52, v[22:23]
	v_lshrrev_b32_e32 v55, 3, v25
	v_sub_u32_e32 v53, 29, v56
	v_and_b32_e32 v52, 7, v52
	v_cmp_gt_u32_e32 vcc, 8, v25
	v_cndmask_b32_e32 v25, v55, v53, vcc
	v_cndmask_b32_e32 v52, v54, v52, vcc
	v_lshlrev_b32_e32 v22, 24, v22
	v_bfrev_b32_e32 v53, 60
	v_lshlrev_b32_e32 v52, 20, v52
	v_and_b32_e32 v22, 0x80000000, v22
	v_lshl_add_u32 v25, v25, 23, v53
	v_or3_b32 v52, v22, v25, v52
.LBB570_393:
	s_or_b64 exec, exec, s[10:11]
.LBB570_394:
	s_or_b64 exec, exec, s[8:9]
.LBB570_395:
	s_or_b64 exec, exec, s[2:3]
	v_cvt_pkrtz_f16_f32 v42, v42, v43
	v_cvt_pkrtz_f16_f32 v43, v23, v45
	s_load_dword s2, s[4:5], 0x1c
	s_mov_b32 s46, 0xff7fffff
	s_waitcnt lgkmcnt(0)
	v_mfma_f32_16x16x16f16 v[26:29], v[42:43], v[18:19], v[26:29]
	v_cvt_pkrtz_f16_f32 v18, v44, v51
	v_cvt_pkrtz_f16_f32 v19, v24, v52
	v_and_b32_e32 v24, 0xc0, v0
	v_mov_b32_e32 v22, s2
	v_add_u32_e32 v24, s20, v24
	v_mul_f32_e32 v54, s12, v22
	v_lshl_or_b32 v42, v1, 2, v24
	v_mfma_f32_16x16x16f16 v[18:21], v[18:19], v[20:21], v[26:29]
	v_pk_mul_f32 v[22:23], v[54:55], v[36:37] op_sel_hi:[0,1]
	v_pk_mul_f32 v[36:37], v[54:55], v[40:41] op_sel_hi:[0,1]
	;; [unrolled: 1-line block ×4, first 2 shown]
	v_mov_b32_e32 v43, 0xff7fffff
	v_cmp_gt_i32_e64 s[26:27], s33, v42
	v_pk_mul_f32 v[38:39], v[54:55], v[38:39] op_sel_hi:[0,1]
	s_nop 3
	v_pk_mul_f32 v[32:33], v[54:55], v[18:19] op_sel_hi:[0,1]
	v_or_b32_e32 v19, 1, v42
	v_cmp_gt_i32_e64 s[28:29], s33, v19
	v_cndmask_b32_e64 v18, v43, v30, s[26:27]
	v_cndmask_b32_e64 v19, v43, v31, s[28:29]
	v_pk_mul_f32 v[24:25], v[54:55], v[20:21] op_sel_hi:[0,1]
	v_max3_f32 v18, v18, s46, v19
	v_or_b32_e32 v19, 2, v42
	v_or_b32_e32 v20, 3, v42
	v_cmp_gt_i32_e64 s[30:31], s33, v19
	v_cmp_gt_i32_e64 s[34:35], s33, v20
	v_cndmask_b32_e64 v19, v43, v40, s[30:31]
	v_cndmask_b32_e64 v20, v43, v41, s[34:35]
	v_max3_f32 v18, v18, v19, v20
	v_or_b32_e32 v19, 16, v42
	v_or_b32_e32 v20, 17, v42
	v_cmp_gt_i32_e64 s[36:37], s33, v19
	v_cmp_gt_i32_e64 s[38:39], s33, v20
	v_cndmask_b32_e64 v19, v43, v38, s[36:37]
	v_cndmask_b32_e64 v20, v43, v39, s[38:39]
	;; [unrolled: 7-line block ×3, first 2 shown]
	v_max3_f32 v18, v18, v19, v20
	v_or_b32_e32 v19, 32, v42
	v_or_b32_e32 v20, 33, v42
	v_pk_mul_f32 v[34:35], v[54:55], v[34:35] op_sel_hi:[0,1]
	v_cmp_gt_i32_e64 s[16:17], s33, v19
	v_cmp_gt_i32_e64 s[18:19], s33, v20
	v_cndmask_b32_e64 v19, v43, v34, s[16:17]
	v_cndmask_b32_e64 v20, v43, v35, s[18:19]
	v_max3_f32 v18, v18, v19, v20
	v_or_b32_e32 v19, 34, v42
	v_or_b32_e32 v20, 35, v42
	v_cmp_gt_i32_e64 s[12:13], s33, v19
	v_cmp_gt_i32_e64 s[14:15], s33, v20
	v_cndmask_b32_e64 v19, v43, v22, s[12:13]
	v_cndmask_b32_e64 v20, v43, v23, s[14:15]
	v_max3_f32 v18, v18, v19, v20
	v_or_b32_e32 v19, 48, v42
	v_or_b32_e32 v20, 49, v42
	v_cmp_gt_i32_e64 s[8:9], s33, v19
	v_cmp_gt_i32_e64 s[10:11], s33, v20
	v_cndmask_b32_e64 v19, v43, v32, s[8:9]
	v_cndmask_b32_e64 v20, v43, v33, s[10:11]
	v_max3_f32 v18, v18, v19, v20
	v_or_b32_e32 v19, 50, v42
	v_or_b32_e32 v20, 51, v42
	v_cmp_gt_i32_e32 vcc, s33, v19
	v_cmp_gt_i32_e64 s[2:3], s33, v20
	v_cndmask_b32_e32 v19, v43, v24, vcc
	v_cndmask_b32_e64 v20, v43, v25, s[2:3]
	v_max3_f32 v18, v18, v19, v20
	v_mbcnt_lo_u32_b32 v19, -1, 0
	v_mbcnt_hi_u32_b32 v19, -1, v19
	v_and_b32_e32 v20, 64, v19
	v_add_u32_e32 v20, 64, v20
	v_xor_b32_e32 v21, 32, v19
	v_cmp_lt_i32_e64 s[40:41], v21, v20
	v_cndmask_b32_e64 v21, v19, v21, s[40:41]
	v_lshlrev_b32_e32 v43, 2, v21
	ds_bpermute_b32 v21, v43, v18
	s_barrier
	s_waitcnt lgkmcnt(0)
	v_max_f32_e32 v21, v21, v21
	v_max_f32_e32 v18, v18, v21
	v_xor_b32_e32 v21, 16, v19
	v_cmp_lt_i32_e64 s[40:41], v21, v20
	v_cndmask_b32_e64 v19, v19, v21, s[40:41]
	v_lshlrev_b32_e32 v44, 2, v19
	ds_bpermute_b32 v19, v44, v18
	s_waitcnt lgkmcnt(0)
	v_max_f32_e32 v19, v19, v19
	v_max_f32_e32 v42, v18, v19
	v_sub_f32_e32 v21, v40, v42
	v_sub_f32_e32 v26, v41, v42
	v_mul_f32_e32 v21, 0x3fb8aa3b, v21
	v_mul_f32_e32 v26, 0x3fb8aa3b, v26
	v_sub_f32_e32 v18, v30, v42
	v_exp_f32_e32 v21, v21
	v_exp_f32_e32 v26, v26
	v_mul_f32_e32 v18, 0x3fb8aa3b, v18
	v_sub_f32_e32 v19, v31, v42
	v_exp_f32_e32 v18, v18
	v_mul_f32_e32 v19, 0x3fb8aa3b, v19
	v_exp_f32_e32 v19, v19
	v_cndmask_b32_e64 v28, 0, v21, s[30:31]
	v_cndmask_b32_e64 v29, 0, v26, s[34:35]
	v_sub_f32_e32 v21, v38, v42
	v_sub_f32_e32 v26, v39, v42
	v_mul_f32_e32 v21, 0x3fb8aa3b, v21
	v_mul_f32_e32 v26, 0x3fb8aa3b, v26
	v_cndmask_b32_e64 v18, 0, v18, s[26:27]
	v_exp_f32_e32 v21, v21
	v_exp_f32_e32 v26, v26
	v_add_f32_e32 v20, 0, v18
	v_cndmask_b32_e64 v19, 0, v19, s[28:29]
	v_add_f32_e32 v20, v20, v19
	v_add_f32_e32 v20, v20, v28
	;; [unrolled: 1-line block ×3, first 2 shown]
	v_cndmask_b32_e64 v20, 0, v21, s[36:37]
	v_cndmask_b32_e64 v21, 0, v26, s[38:39]
	v_sub_f32_e32 v26, v36, v42
	v_mul_f32_e32 v26, 0x3fb8aa3b, v26
	v_exp_f32_e32 v26, v26
	v_sub_f32_e32 v30, v37, v42
	v_add_f32_e32 v27, v27, v20
	v_mul_f32_e32 v30, 0x3fb8aa3b, v30
	v_exp_f32_e32 v31, v30
	v_add_f32_e32 v27, v27, v21
	v_cndmask_b32_e64 v30, 0, v26, s[20:21]
	v_add_f32_e32 v26, v27, v30
	v_sub_f32_e32 v27, v34, v42
	v_mul_f32_e32 v27, 0x3fb8aa3b, v27
	v_sub_f32_e32 v34, v35, v42
	v_exp_f32_e32 v27, v27
	v_mul_f32_e32 v34, 0x3fb8aa3b, v34
	v_sub_f32_e32 v22, v22, v42
	v_exp_f32_e32 v34, v34
	;; [unrolled: 3-line block ×3, first 2 shown]
	v_mul_f32_e32 v23, 0x3fb8aa3b, v23
	v_cndmask_b32_e64 v31, 0, v31, s[22:23]
	v_exp_f32_e32 v23, v23
	v_add_f32_e32 v35, v26, v31
	v_cndmask_b32_e64 v26, 0, v27, s[16:17]
	v_add_f32_e32 v35, v35, v26
	v_cndmask_b32_e64 v27, 0, v34, s[18:19]
	;; [unrolled: 2-line block ×4, first 2 shown]
	v_sub_f32_e32 v23, v32, v42
	v_mul_f32_e32 v23, 0x3fb8aa3b, v23
	v_sub_f32_e32 v32, v33, v42
	v_exp_f32_e32 v23, v23
	v_mul_f32_e32 v32, 0x3fb8aa3b, v32
	v_sub_f32_e32 v24, v24, v42
	v_exp_f32_e32 v32, v32
	;; [unrolled: 3-line block ×3, first 2 shown]
	v_mul_f32_e32 v25, 0x3fb8aa3b, v25
	v_exp_f32_e32 v25, v25
	v_add_f32_e32 v33, v22, v35
	v_cndmask_b32_e64 v22, 0, v23, s[8:9]
	v_add_f32_e32 v33, v33, v22
	v_cndmask_b32_e64 v23, 0, v32, s[10:11]
	v_add_f32_e32 v32, v33, v23
	v_cndmask_b32_e32 v24, 0, v24, vcc
	v_add_f32_e32 v32, v32, v24
	v_cndmask_b32_e64 v25, 0, v25, s[2:3]
	v_add_f32_e32 v32, v32, v25
	ds_bpermute_b32 v33, v43, v32
	v_cmp_gt_u32_e64 s[2:3], 16, v50
	s_waitcnt lgkmcnt(0)
	v_add_f32_e32 v33, v32, v33
	ds_bpermute_b32 v36, v44, v33
	v_lshlrev_b32_e32 v32, 2, v48
	s_and_saveexec_b64 s[8:9], s[2:3]
	s_cbranch_execz .LBB570_397
; %bb.396:
	s_waitcnt lgkmcnt(0)
	v_add_f32_e32 v33, v33, v36
	v_lshl_or_b32 v36, v49, 6, v32
	ds_write2st64_b32 v36, v42, v33 offset1:1
.LBB570_397:
	s_or_b64 exec, exec, s[8:9]
	s_waitcnt lgkmcnt(0)
	s_barrier
	ds_read2_b32 v[36:37], v32 offset1:16
	ds_read2_b32 v[38:39], v32 offset0:32 offset1:48
	ds_read2_b32 v[40:41], v32 offset0:64 offset1:80
	;; [unrolled: 1-line block ×3, first 2 shown]
	s_waitcnt lgkmcnt(0)
	v_max3_f32 v33, v36, s46, v37
	v_max3_f32 v33, v33, v38, v39
	v_sub_f32_e32 v36, v36, v33
	v_mul_f32_e32 v36, 0x3fb8aa3b, v36
	v_exp_f32_e32 v44, v36
	v_sub_f32_e32 v36, v37, v33
	v_mul_f32_e32 v36, 0x3fb8aa3b, v36
	v_exp_f32_e32 v37, v36
	v_sub_f32_e32 v36, v38, v33
	v_mul_f32_e32 v36, 0x3fb8aa3b, v36
	v_sub_f32_e32 v32, v39, v33
	v_exp_f32_e32 v38, v36
	v_mul_f32_e32 v32, 0x3fb8aa3b, v32
	v_exp_f32_e32 v39, v32
	v_fma_f32 v36, v44, v40, 0
	v_fmac_f32_e32 v36, v37, v41
	v_fmac_f32_e32 v36, v38, v42
	;; [unrolled: 1-line block ×3, first 2 shown]
	v_add_f32_e32 v40, 0x358637bd, v36
	v_div_scale_f32 v41, s[8:9], v40, v40, 1.0
	v_rcp_f32_e32 v42, v41
	s_barrier
	s_mul_i32 s14, s45, 13
	v_fma_f32 v43, -v41, v42, 1.0
	v_fmac_f32_e32 v42, v43, v42
	v_div_scale_f32 v43, vcc, 1.0, v40, 1.0
	v_mul_f32_e32 v45, v43, v42
	v_fma_f32 v50, -v41, v45, v43
	v_fmac_f32_e32 v45, v50, v42
	v_fma_f32 v41, -v41, v45, v43
	v_div_fmas_f32 v41, v41, v42, v45
	v_cmp_eq_u32_e32 vcc, 1, v49
	v_cndmask_b32_e32 v37, v44, v37, vcc
	v_cmp_eq_u32_e32 vcc, 2, v49
	v_cndmask_b32_e32 v37, v37, v38, vcc
	v_cmp_eq_u32_e32 vcc, 3, v49
	v_div_fixup_f32 v40, v41, v40, 1.0
	v_cndmask_b32_e32 v37, v37, v39, vcc
	v_mul_f32_e32 v38, v37, v40
	v_pk_mul_f32 v[28:29], v[38:39], v[28:29] op_sel_hi:[0,1]
	v_cvt_f16_f32_e32 v28, v28
	v_cvt_f16_f32_e32 v29, v29
	v_pk_mul_f32 v[18:19], v[38:39], v[18:19] op_sel_hi:[0,1]
	v_cvt_f16_f32_e32 v18, v18
	v_cvt_f16_f32_e32 v19, v19
	v_pack_b32_f16 v41, v28, v29
	v_pk_mul_f32 v[28:29], v[38:39], v[30:31] op_sel_hi:[0,1]
	v_pk_mul_f32 v[20:21], v[38:39], v[20:21] op_sel_hi:[0,1]
	v_cvt_f16_f32_e32 v20, v20
	v_cvt_f16_f32_e32 v21, v21
	;; [unrolled: 1-line block ×4, first 2 shown]
	v_pack_b32_f16 v40, v18, v19
	v_lshlrev_b32_e32 v18, 3, v1
	v_lshlrev_b32_e32 v19, 5, v48
	v_lshlrev_b32_e32 v28, 11, v49
	v_or3_b32 v28, v28, v19, v18
	v_pack_b32_f16 v20, v20, v21
	v_pack_b32_f16 v21, v30, v29
	ds_write2st64_b64 v28, v[40:41], v[20:21] offset1:1
	v_pk_mul_f32 v[20:21], v[38:39], v[34:35] op_sel_hi:[0,1]
	v_pk_mul_f32 v[26:27], v[38:39], v[26:27] op_sel_hi:[0,1]
	v_cvt_f16_f32_e32 v18, v26
	v_cvt_f16_f32_e32 v26, v27
	;; [unrolled: 1-line block ×4, first 2 shown]
	v_pk_mul_f32 v[20:21], v[38:39], v[24:25] op_sel_hi:[0,1]
	v_pk_mul_f32 v[22:23], v[38:39], v[22:23] op_sel_hi:[0,1]
	v_cvt_f16_f32_e32 v22, v22
	v_cvt_f16_f32_e32 v23, v23
	;; [unrolled: 1-line block ×4, first 2 shown]
	v_mov_b32_e32 v32, 0
	v_pack_b32_f16 v20, v18, v26
	v_pack_b32_f16 v21, v27, v29
	;; [unrolled: 1-line block ×4, first 2 shown]
	v_cmp_gt_u32_e32 vcc, 13, v0
	ds_write2st64_b64 v28, v[20:21], v[22:23] offset0:2 offset1:3
	s_and_saveexec_b64 s[8:9], vcc
	s_cbranch_execz .LBB570_399
; %bb.398:
	v_add_co_u32_e32 v22, vcc, s25, v48
	v_addc_co_u32_e64 v23, s[10:11], 0, 0, vcc
	v_mov_b32_e32 v18, s14
	v_mov_b32_e32 v21, 0
	v_mad_u64_u32 v[22:23], s[10:11], s6, v18, v[22:23]
	v_mov_b32_e32 v20, s24
	s_load_dwordx4 s[16:19], s[4:5], 0x58
	s_mul_i32 s7, s7, s14
	v_mad_u64_u32 v[20:21], s[10:11], v22, s44, v[20:21]
	v_add_u32_e32 v23, s7, v23
	v_mov_b32_e32 v18, v21
	v_mad_u64_u32 v[22:23], s[10:11], v23, s44, v[18:19]
	v_mov_b32_e32 v21, v22
	v_lshlrev_b64 v[20:21], 2, v[20:21]
	s_waitcnt lgkmcnt(0)
	v_mov_b32_e32 v18, s19
	v_add_co_u32_e32 v22, vcc, s18, v20
	v_addc_co_u32_e32 v23, vcc, v18, v21, vcc
	v_mov_b32_e32 v18, s17
	v_add_co_u32_e32 v20, vcc, s16, v20
	v_addc_co_u32_e32 v21, vcc, v18, v21, vcc
	global_store_dword v[22:23], v33, off
	global_store_dword v[20:21], v36, off
.LBB570_399:
	s_or_b64 exec, exec, s[8:9]
	v_mov_b32_e32 v20, 0
	s_waitcnt vmcnt(3)
	v_cmp_ne_u16_sdwa s[10:11], v14, v20 src0_sel:BYTE_0 src1_sel:DWORD
	s_waitcnt lgkmcnt(0)
	s_barrier
	s_and_saveexec_b64 s[8:9], s[10:11]
	s_cbranch_execz .LBB570_405
; %bb.400:
	s_movk_i32 s7, 0x80
	v_cmp_ne_u16_sdwa s[12:13], v14, s7 src0_sel:BYTE_0 src1_sel:DWORD
	v_bfrev_b32_e32 v32, 1
	s_and_saveexec_b64 s[10:11], s[12:13]
	s_cbranch_execz .LBB570_404
; %bb.401:
	s_movk_i32 s7, 0x7f
	v_and_b32_e32 v18, 0x7f, v14
	v_cmp_ne_u32_e32 vcc, s7, v18
	v_mov_b32_e32 v32, 0x7f800001
	s_and_saveexec_b64 s[12:13], vcc
	s_cbranch_execz .LBB570_403
; %bb.402:
	v_and_b32_e32 v21, 7, v14
	v_ffbh_u32_e32 v22, v21
	v_min_u32_e32 v25, 32, v22
	v_subrev_u32_e32 v22, 28, v25
	v_lshlrev_b64 v[22:23], v22, v[14:15]
	v_lshrrev_b32_e32 v24, 3, v18
	v_sub_u32_e32 v23, 29, v25
	v_and_b32_e32 v22, 7, v22
	v_cmp_gt_u32_e32 vcc, 8, v18
	v_cndmask_b32_e32 v18, v24, v23, vcc
	v_cndmask_b32_e32 v21, v21, v22, vcc
	v_lshlrev_b32_e32 v22, 24, v14
	v_bfrev_b32_e32 v23, 60
	v_lshlrev_b32_e32 v21, 20, v21
	v_and_b32_e32 v22, 0x80000000, v22
	v_lshl_add_u32 v18, v18, 23, v23
	v_or3_b32 v32, v22, v18, v21
.LBB570_403:
	s_or_b64 exec, exec, s[12:13]
.LBB570_404:
	s_or_b64 exec, exec, s[10:11]
.LBB570_405:
	s_or_b64 exec, exec, s[8:9]
	v_lshrrev_b16_e32 v18, 8, v14
	v_cmp_ne_u16_e32 vcc, 0, v18
	v_mov_b32_e32 v21, 0
	s_and_saveexec_b64 s[8:9], vcc
	s_cbranch_execz .LBB570_411
; %bb.406:
	s_movk_i32 s7, 0x80
	v_cmp_ne_u16_e32 vcc, s7, v18
	v_bfrev_b32_e32 v21, 1
	s_and_saveexec_b64 s[10:11], vcc
	s_cbranch_execz .LBB570_410
; %bb.407:
	s_movk_i32 s7, 0x7f
	v_and_b32_e32 v22, 0x7f, v18
	v_cmp_ne_u32_e32 vcc, s7, v22
	v_mov_b32_e32 v21, 0x7f800001
	s_and_saveexec_b64 s[12:13], vcc
	s_cbranch_execz .LBB570_409
; %bb.408:
	v_and_b32_e32 v21, 7, v18
	v_ffbh_u32_e32 v24, v21
	v_min_u32_e32 v26, 32, v24
	v_subrev_u32_e32 v24, 28, v26
	v_lshlrev_b64 v[24:25], v24, v[18:19]
	v_lshrrev_b32_e32 v23, 3, v22
	v_sub_u32_e32 v18, 29, v26
	v_and_b32_e32 v24, 7, v24
	v_cmp_gt_u32_e32 vcc, 8, v22
	v_cndmask_b32_e32 v18, v23, v18, vcc
	v_cndmask_b32_e32 v21, v21, v24, vcc
	v_lshlrev_b32_e32 v22, 16, v14
	v_bfrev_b32_e32 v23, 60
	v_lshlrev_b32_e32 v21, 20, v21
	v_and_b32_e32 v22, 0x80000000, v22
	v_lshl_add_u32 v18, v18, 23, v23
	v_or3_b32 v21, v22, v18, v21
.LBB570_409:
	s_or_b64 exec, exec, s[12:13]
.LBB570_410:
	s_or_b64 exec, exec, s[10:11]
.LBB570_411:
	s_or_b64 exec, exec, s[8:9]
	s_movk_i32 s7, 0xff
	v_and_b32_sdwa v22, v14, s7 dst_sel:DWORD dst_unused:UNUSED_PAD src0_sel:WORD_1 src1_sel:DWORD
	v_lshrrev_b32_e32 v18, 16, v14
	v_cmp_ne_u16_e32 vcc, 0, v22
	s_and_saveexec_b64 s[8:9], vcc
	s_cbranch_execz .LBB570_417
; %bb.412:
	s_movk_i32 s7, 0x80
	v_cmp_ne_u16_e32 vcc, s7, v22
	v_bfrev_b32_e32 v20, 1
	s_and_saveexec_b64 s[10:11], vcc
	s_cbranch_execz .LBB570_416
; %bb.413:
	v_bfe_u32 v22, v14, 16, 7
	s_movk_i32 s7, 0x7f
	v_cmp_ne_u32_e32 vcc, s7, v22
	v_mov_b32_e32 v20, 0x7f800001
	s_and_saveexec_b64 s[12:13], vcc
	s_cbranch_execz .LBB570_415
; %bb.414:
	v_and_b32_e32 v20, 7, v18
	v_ffbh_u32_e32 v24, v20
	v_min_u32_e32 v26, 32, v24
	v_subrev_u32_e32 v24, 28, v26
	v_lshlrev_b64 v[24:25], v24, v[18:19]
	v_lshrrev_b32_e32 v23, 3, v22
	v_sub_u32_e32 v18, 29, v26
	v_and_b32_e32 v24, 7, v24
	v_cmp_gt_u32_e32 vcc, 8, v22
	v_mov_b32_e32 v22, 24
	v_cndmask_b32_e32 v18, v23, v18, vcc
	v_cndmask_b32_e32 v20, v20, v24, vcc
	v_lshlrev_b32_sdwa v22, v22, v14 dst_sel:DWORD dst_unused:UNUSED_PAD src0_sel:DWORD src1_sel:WORD_1
	v_bfrev_b32_e32 v23, 60
	v_lshlrev_b32_e32 v20, 20, v20
	v_and_b32_e32 v22, 0x80000000, v22
	v_lshl_add_u32 v18, v18, 23, v23
	v_or3_b32 v20, v22, v18, v20
.LBB570_415:
	s_or_b64 exec, exec, s[12:13]
.LBB570_416:
	s_or_b64 exec, exec, s[10:11]
.LBB570_417:
	s_or_b64 exec, exec, s[8:9]
	s_mov_b32 s7, 0xffffff
	v_cmp_lt_u32_e32 vcc, s7, v14
	v_mov_b32_e32 v24, 0
	v_mov_b32_e32 v22, 0
	s_and_saveexec_b64 s[8:9], vcc
	s_cbranch_execz .LBB570_423
; %bb.418:
	v_lshrrev_b32_e32 v18, 24, v14
	s_movk_i32 s7, 0x80
	v_cmp_ne_u32_e32 vcc, s7, v18
	v_bfrev_b32_e32 v22, 1
	s_and_saveexec_b64 s[10:11], vcc
	s_cbranch_execz .LBB570_422
; %bb.419:
	v_bfe_u32 v14, v14, 24, 7
	s_movk_i32 s7, 0x7f
	v_cmp_ne_u32_e32 vcc, s7, v14
	v_mov_b32_e32 v22, 0x7f800001
	s_and_saveexec_b64 s[12:13], vcc
	s_cbranch_execz .LBB570_421
; %bb.420:
	v_and_b32_e32 v25, 7, v18
	v_ffbh_u32_e32 v22, v25
	v_min_u32_e32 v27, 32, v22
	v_subrev_u32_e32 v22, 28, v27
	v_lshlrev_b64 v[22:23], v22, v[18:19]
	v_lshrrev_b32_e32 v26, 3, v14
	v_sub_u32_e32 v23, 29, v27
	v_and_b32_e32 v22, 7, v22
	v_cmp_gt_u32_e32 vcc, 8, v14
	v_cndmask_b32_e32 v14, v26, v23, vcc
	v_cndmask_b32_e32 v22, v25, v22, vcc
	v_lshlrev_b32_e32 v18, 24, v18
	v_bfrev_b32_e32 v23, 60
	v_lshlrev_b32_e32 v22, 20, v22
	v_and_b32_e32 v18, 0x80000000, v18
	v_lshl_add_u32 v14, v14, 23, v23
	v_or3_b32 v22, v18, v14, v22
.LBB570_421:
	s_or_b64 exec, exec, s[12:13]
.LBB570_422:
	s_or_b64 exec, exec, s[10:11]
.LBB570_423:
	s_or_b64 exec, exec, s[8:9]
	v_cmp_ne_u16_sdwa s[10:11], v15, v24 src0_sel:BYTE_0 src1_sel:DWORD
	s_and_saveexec_b64 s[8:9], s[10:11]
	s_cbranch_execz .LBB570_429
; %bb.424:
	s_movk_i32 s7, 0x80
	v_cmp_ne_u16_sdwa s[12:13], v15, s7 src0_sel:BYTE_0 src1_sel:DWORD
	v_bfrev_b32_e32 v24, 1
	s_and_saveexec_b64 s[10:11], s[12:13]
	s_cbranch_execz .LBB570_428
; %bb.425:
	s_movk_i32 s7, 0x7f
	v_and_b32_e32 v14, 0x7f, v15
	v_cmp_ne_u32_e32 vcc, s7, v14
	v_mov_b32_e32 v24, 0x7f800001
	s_and_saveexec_b64 s[12:13], vcc
	s_cbranch_execz .LBB570_427
; %bb.426:
	v_and_b32_e32 v23, 7, v15
	v_ffbh_u32_e32 v24, v23
	v_min_u32_e32 v27, 32, v24
	v_mov_b32_e32 v18, v15
	v_subrev_u32_e32 v24, 28, v27
	v_lshlrev_b64 v[24:25], v24, v[18:19]
	v_lshrrev_b32_e32 v26, 3, v14
	v_sub_u32_e32 v18, 29, v27
	v_and_b32_e32 v24, 7, v24
	v_cmp_gt_u32_e32 vcc, 8, v14
	v_cndmask_b32_e32 v14, v26, v18, vcc
	v_cndmask_b32_e32 v18, v23, v24, vcc
	v_lshlrev_b32_e32 v23, 24, v15
	v_bfrev_b32_e32 v24, 60
	v_lshlrev_b32_e32 v18, 20, v18
	v_and_b32_e32 v23, 0x80000000, v23
	v_lshl_add_u32 v14, v14, 23, v24
	v_or3_b32 v24, v23, v14, v18
.LBB570_427:
	s_or_b64 exec, exec, s[12:13]
.LBB570_428:
	s_or_b64 exec, exec, s[10:11]
.LBB570_429:
	s_or_b64 exec, exec, s[8:9]
	v_lshrrev_b16_e32 v14, 8, v15
	v_cmp_ne_u16_e32 vcc, 0, v14
	v_mov_b32_e32 v18, 0
	v_mov_b32_e32 v25, 0
	s_and_saveexec_b64 s[8:9], vcc
	s_cbranch_execz .LBB570_435
; %bb.430:
	s_movk_i32 s7, 0x80
	v_cmp_ne_u16_e32 vcc, s7, v14
	v_bfrev_b32_e32 v25, 1
	s_and_saveexec_b64 s[10:11], vcc
	s_cbranch_execz .LBB570_434
; %bb.431:
	s_movk_i32 s7, 0x7f
	v_and_b32_e32 v23, 0x7f, v14
	v_cmp_ne_u32_e32 vcc, s7, v23
	v_mov_b32_e32 v25, 0x7f800001
	s_and_saveexec_b64 s[12:13], vcc
	s_cbranch_execz .LBB570_433
; %bb.432:
	v_and_b32_e32 v25, 7, v14
	v_ffbh_u32_e32 v26, v25
	v_min_u32_e32 v30, 32, v26
	v_subrev_u32_e32 v26, 28, v30
	v_lshlrev_b64 v[26:27], v26, v[14:15]
	v_lshrrev_b32_e32 v29, 3, v23
	v_sub_u32_e32 v14, 29, v30
	v_and_b32_e32 v26, 7, v26
	v_cmp_gt_u32_e32 vcc, 8, v23
	v_cndmask_b32_e32 v14, v29, v14, vcc
	v_cndmask_b32_e32 v23, v25, v26, vcc
	v_lshlrev_b32_e32 v25, 16, v15
	v_bfrev_b32_e32 v26, 60
	v_lshlrev_b32_e32 v23, 20, v23
	v_and_b32_e32 v25, 0x80000000, v25
	v_lshl_add_u32 v14, v14, 23, v26
	v_or3_b32 v25, v25, v14, v23
.LBB570_433:
	s_or_b64 exec, exec, s[12:13]
.LBB570_434:
	s_or_b64 exec, exec, s[10:11]
.LBB570_435:
	s_or_b64 exec, exec, s[8:9]
	s_movk_i32 s7, 0xff
	v_and_b32_sdwa v23, v15, s7 dst_sel:DWORD dst_unused:UNUSED_PAD src0_sel:WORD_1 src1_sel:DWORD
	v_lshrrev_b32_e32 v14, 16, v15
	v_cmp_ne_u16_e32 vcc, 0, v23
	s_and_saveexec_b64 s[8:9], vcc
	s_cbranch_execz .LBB570_441
; %bb.436:
	s_movk_i32 s7, 0x80
	v_cmp_ne_u16_e32 vcc, s7, v23
	v_bfrev_b32_e32 v18, 1
	s_and_saveexec_b64 s[10:11], vcc
	s_cbranch_execz .LBB570_440
; %bb.437:
	v_bfe_u32 v23, v15, 16, 7
	s_movk_i32 s7, 0x7f
	v_cmp_ne_u32_e32 vcc, s7, v23
	v_mov_b32_e32 v18, 0x7f800001
	s_and_saveexec_b64 s[12:13], vcc
	s_cbranch_execz .LBB570_439
; %bb.438:
	v_and_b32_e32 v18, 7, v14
	v_ffbh_u32_e32 v26, v18
	v_min_u32_e32 v30, 32, v26
	v_subrev_u32_e32 v26, 28, v30
	v_lshlrev_b64 v[26:27], v26, v[14:15]
	v_lshrrev_b32_e32 v29, 3, v23
	v_sub_u32_e32 v14, 29, v30
	v_and_b32_e32 v26, 7, v26
	v_cmp_gt_u32_e32 vcc, 8, v23
	v_mov_b32_e32 v23, 24
	v_cndmask_b32_e32 v14, v29, v14, vcc
	v_cndmask_b32_e32 v18, v18, v26, vcc
	v_lshlrev_b32_sdwa v23, v23, v15 dst_sel:DWORD dst_unused:UNUSED_PAD src0_sel:DWORD src1_sel:WORD_1
	v_bfrev_b32_e32 v26, 60
	v_lshlrev_b32_e32 v18, 20, v18
	v_and_b32_e32 v23, 0x80000000, v23
	v_lshl_add_u32 v14, v14, 23, v26
	v_or3_b32 v18, v23, v14, v18
.LBB570_439:
	s_or_b64 exec, exec, s[12:13]
.LBB570_440:
	s_or_b64 exec, exec, s[10:11]
.LBB570_441:
	s_or_b64 exec, exec, s[8:9]
	s_mov_b32 s7, 0xffffff
	v_cmp_lt_u32_e32 vcc, s7, v15
	v_mov_b32_e32 v23, 0
	v_mov_b32_e32 v26, 0
	s_and_saveexec_b64 s[8:9], vcc
	s_cbranch_execz .LBB570_447
; %bb.442:
	v_lshrrev_b32_e32 v14, 24, v15
	s_movk_i32 s7, 0x80
	v_cmp_ne_u32_e32 vcc, s7, v14
	v_bfrev_b32_e32 v26, 1
	s_and_saveexec_b64 s[10:11], vcc
	s_cbranch_execz .LBB570_446
; %bb.443:
	v_bfe_u32 v15, v15, 24, 7
	s_movk_i32 s7, 0x7f
	v_cmp_ne_u32_e32 vcc, s7, v15
	v_mov_b32_e32 v26, 0x7f800001
	s_and_saveexec_b64 s[12:13], vcc
	s_cbranch_execz .LBB570_445
; %bb.444:
	v_and_b32_e32 v29, 7, v14
	v_ffbh_u32_e32 v26, v29
	v_min_u32_e32 v31, 32, v26
	v_subrev_u32_e32 v26, 28, v31
	v_lshlrev_b64 v[26:27], v26, v[14:15]
	v_lshrrev_b32_e32 v30, 3, v15
	v_sub_u32_e32 v27, 29, v31
	v_and_b32_e32 v26, 7, v26
	v_cmp_gt_u32_e32 vcc, 8, v15
	v_cndmask_b32_e32 v15, v30, v27, vcc
	v_cndmask_b32_e32 v26, v29, v26, vcc
	v_lshlrev_b32_e32 v14, 24, v14
	v_bfrev_b32_e32 v27, 60
	v_lshlrev_b32_e32 v26, 20, v26
	v_and_b32_e32 v14, 0x80000000, v14
	v_lshl_add_u32 v15, v15, 23, v27
	v_or3_b32 v26, v14, v15, v26
.LBB570_445:
	s_or_b64 exec, exec, s[12:13]
.LBB570_446:
	s_or_b64 exec, exec, s[10:11]
.LBB570_447:
	s_or_b64 exec, exec, s[8:9]
	v_cvt_pkrtz_f16_f32 v15, v20, v22
	v_lshl_or_b32 v22, v1, 9, v19
	v_cvt_pkrtz_f16_f32 v14, v32, v21
	ds_read_b128 v[30:33], v22
	v_cmp_ne_u16_sdwa s[10:11], v16, v23 src0_sel:BYTE_0 src1_sel:DWORD
	s_waitcnt lgkmcnt(0)
	v_mfma_f32_16x16x16f16 v[34:37], v[14:15], v[30:31], 0
	v_cvt_pkrtz_f16_f32 v14, v24, v25
	v_cvt_pkrtz_f16_f32 v15, v18, v26
	s_nop 1
	v_mfma_f32_16x16x16f16 v[18:21], v[14:15], v[32:33], v[34:37]
	s_and_saveexec_b64 s[8:9], s[10:11]
	s_cbranch_execz .LBB570_453
; %bb.448:
	s_movk_i32 s7, 0x80
	v_cmp_ne_u16_sdwa s[12:13], v16, s7 src0_sel:BYTE_0 src1_sel:DWORD
	v_bfrev_b32_e32 v23, 1
	s_and_saveexec_b64 s[10:11], s[12:13]
	s_cbranch_execz .LBB570_452
; %bb.449:
	s_movk_i32 s7, 0x7f
	v_and_b32_e32 v14, 0x7f, v16
	v_cmp_ne_u32_e32 vcc, s7, v14
	v_mov_b32_e32 v23, 0x7f800001
	s_and_saveexec_b64 s[12:13], vcc
	s_cbranch_execz .LBB570_451
; %bb.450:
	v_and_b32_e32 v15, 7, v16
	v_ffbh_u32_e32 v24, v15
	v_min_u32_e32 v26, 32, v24
	v_subrev_u32_e32 v24, 28, v26
	v_lshlrev_b64 v[24:25], v24, v[16:17]
	v_lshrrev_b32_e32 v23, 3, v14
	v_sub_u32_e32 v25, 29, v26
	v_and_b32_e32 v24, 7, v24
	v_cmp_gt_u32_e32 vcc, 8, v14
	v_cndmask_b32_e32 v14, v23, v25, vcc
	v_cndmask_b32_e32 v15, v15, v24, vcc
	v_lshlrev_b32_e32 v23, 24, v16
	v_bfrev_b32_e32 v24, 60
	v_lshlrev_b32_e32 v15, 20, v15
	v_and_b32_e32 v23, 0x80000000, v23
	v_lshl_add_u32 v14, v14, 23, v24
	v_or3_b32 v23, v23, v14, v15
.LBB570_451:
	s_or_b64 exec, exec, s[12:13]
.LBB570_452:
	s_or_b64 exec, exec, s[10:11]
.LBB570_453:
	s_or_b64 exec, exec, s[8:9]
	v_lshrrev_b16_e32 v14, 8, v16
	v_cmp_ne_u16_e32 vcc, 0, v14
	v_mov_b32_e32 v15, 0
	v_mov_b32_e32 v25, 0
	s_and_saveexec_b64 s[8:9], vcc
	s_cbranch_execz .LBB570_459
; %bb.454:
	s_movk_i32 s7, 0x80
	v_cmp_ne_u16_e32 vcc, s7, v14
	v_bfrev_b32_e32 v25, 1
	s_and_saveexec_b64 s[10:11], vcc
	s_cbranch_execz .LBB570_458
; %bb.455:
	s_movk_i32 s7, 0x7f
	v_and_b32_e32 v24, 0x7f, v14
	v_cmp_ne_u32_e32 vcc, s7, v24
	v_mov_b32_e32 v25, 0x7f800001
	s_and_saveexec_b64 s[12:13], vcc
	s_cbranch_execz .LBB570_457
; %bb.456:
	v_and_b32_e32 v25, 7, v14
	v_ffbh_u32_e32 v26, v25
	v_min_u32_e32 v30, 32, v26
	v_subrev_u32_e32 v26, 28, v30
	v_lshlrev_b64 v[26:27], v26, v[14:15]
	v_lshrrev_b32_e32 v29, 3, v24
	v_sub_u32_e32 v14, 29, v30
	v_and_b32_e32 v26, 7, v26
	v_cmp_gt_u32_e32 vcc, 8, v24
	v_cndmask_b32_e32 v14, v29, v14, vcc
	v_cndmask_b32_e32 v24, v25, v26, vcc
	v_lshlrev_b32_e32 v25, 16, v16
	v_bfrev_b32_e32 v26, 60
	v_lshlrev_b32_e32 v24, 20, v24
	v_and_b32_e32 v25, 0x80000000, v25
	v_lshl_add_u32 v14, v14, 23, v26
	v_or3_b32 v25, v25, v14, v24
.LBB570_457:
	s_or_b64 exec, exec, s[12:13]
.LBB570_458:
	s_or_b64 exec, exec, s[10:11]
.LBB570_459:
	s_or_b64 exec, exec, s[8:9]
	s_movk_i32 s7, 0xff
	v_and_b32_sdwa v24, v16, s7 dst_sel:DWORD dst_unused:UNUSED_PAD src0_sel:WORD_1 src1_sel:DWORD
	v_lshrrev_b32_e32 v14, 16, v16
	v_cmp_ne_u16_e32 vcc, 0, v24
	s_and_saveexec_b64 s[8:9], vcc
	s_cbranch_execz .LBB570_465
; %bb.460:
	s_movk_i32 s7, 0x80
	v_cmp_ne_u16_e32 vcc, s7, v24
	v_bfrev_b32_e32 v15, 1
	s_and_saveexec_b64 s[10:11], vcc
	s_cbranch_execz .LBB570_464
; %bb.461:
	v_bfe_u32 v24, v16, 16, 7
	s_movk_i32 s7, 0x7f
	v_cmp_ne_u32_e32 vcc, s7, v24
	v_mov_b32_e32 v15, 0x7f800001
	s_and_saveexec_b64 s[12:13], vcc
	s_cbranch_execz .LBB570_463
; %bb.462:
	v_and_b32_e32 v26, 7, v14
	v_ffbh_u32_e32 v15, v26
	v_min_u32_e32 v29, 32, v15
	v_subrev_u32_e32 v15, 28, v29
	v_lshlrev_b64 v[14:15], v15, v[14:15]
	v_lshrrev_b32_e32 v27, 3, v24
	v_sub_u32_e32 v15, 29, v29
	v_and_b32_e32 v14, 7, v14
	v_cmp_gt_u32_e32 vcc, 8, v24
	v_mov_b32_e32 v24, 24
	v_cndmask_b32_e32 v15, v27, v15, vcc
	v_cndmask_b32_e32 v14, v26, v14, vcc
	v_lshlrev_b32_sdwa v24, v24, v16 dst_sel:DWORD dst_unused:UNUSED_PAD src0_sel:DWORD src1_sel:WORD_1
	v_bfrev_b32_e32 v26, 60
	v_lshlrev_b32_e32 v14, 20, v14
	v_and_b32_e32 v24, 0x80000000, v24
	v_lshl_add_u32 v15, v15, 23, v26
	v_or3_b32 v15, v24, v15, v14
.LBB570_463:
	s_or_b64 exec, exec, s[12:13]
.LBB570_464:
	s_or_b64 exec, exec, s[10:11]
.LBB570_465:
	s_or_b64 exec, exec, s[8:9]
	s_mov_b32 s7, 0xffffff
	v_cmp_lt_u32_e32 vcc, s7, v16
	v_mov_b32_e32 v26, 0
	v_mov_b32_e32 v27, 0
	s_and_saveexec_b64 s[8:9], vcc
	s_cbranch_execz .LBB570_471
; %bb.466:
	v_lshrrev_b32_e32 v14, 24, v16
	s_movk_i32 s7, 0x80
	v_cmp_ne_u32_e32 vcc, s7, v14
	v_bfrev_b32_e32 v27, 1
	s_and_saveexec_b64 s[10:11], vcc
	s_cbranch_execz .LBB570_470
; %bb.467:
	v_bfe_u32 v16, v16, 24, 7
	s_movk_i32 s7, 0x7f
	v_cmp_ne_u32_e32 vcc, s7, v16
	v_mov_b32_e32 v27, 0x7f800001
	s_and_saveexec_b64 s[12:13], vcc
	s_cbranch_execz .LBB570_469
; %bb.468:
	v_and_b32_e32 v24, 7, v14
	v_ffbh_u32_e32 v29, v24
	v_min_u32_e32 v29, 32, v29
	v_subrev_u32_e32 v30, 28, v29
	v_lshlrev_b64 v[30:31], v30, v[14:15]
	v_lshrrev_b32_e32 v27, 3, v16
	v_sub_u32_e32 v29, 29, v29
	v_and_b32_e32 v30, 7, v30
	v_cmp_gt_u32_e32 vcc, 8, v16
	v_cndmask_b32_e32 v16, v27, v29, vcc
	v_cndmask_b32_e32 v24, v24, v30, vcc
	v_lshlrev_b32_e32 v14, 24, v14
	v_bfrev_b32_e32 v27, 60
	v_lshlrev_b32_e32 v24, 20, v24
	v_and_b32_e32 v14, 0x80000000, v14
	v_lshl_add_u32 v16, v16, 23, v27
	v_or3_b32 v27, v14, v16, v24
.LBB570_469:
	s_or_b64 exec, exec, s[12:13]
.LBB570_470:
	s_or_b64 exec, exec, s[10:11]
.LBB570_471:
	s_or_b64 exec, exec, s[8:9]
	v_cmp_ne_u16_sdwa s[10:11], v17, v26 src0_sel:BYTE_0 src1_sel:DWORD
	s_and_saveexec_b64 s[8:9], s[10:11]
	s_cbranch_execz .LBB570_477
; %bb.472:
	s_movk_i32 s7, 0x80
	v_cmp_ne_u16_sdwa s[12:13], v17, s7 src0_sel:BYTE_0 src1_sel:DWORD
	v_bfrev_b32_e32 v26, 1
	s_and_saveexec_b64 s[10:11], s[12:13]
	s_cbranch_execz .LBB570_476
; %bb.473:
	s_movk_i32 s7, 0x7f
	v_and_b32_e32 v14, 0x7f, v17
	v_cmp_ne_u32_e32 vcc, s7, v14
	v_mov_b32_e32 v26, 0x7f800001
	s_and_saveexec_b64 s[12:13], vcc
	s_cbranch_execz .LBB570_475
; %bb.474:
	v_and_b32_e32 v24, 7, v17
	v_ffbh_u32_e32 v29, v24
	v_min_u32_e32 v29, 32, v29
	v_mov_b32_e32 v16, v17
	v_subrev_u32_e32 v30, 28, v29
	v_lshlrev_b64 v[30:31], v30, v[16:17]
	v_lshrrev_b32_e32 v26, 3, v14
	v_sub_u32_e32 v16, 29, v29
	v_and_b32_e32 v29, 7, v30
	v_cmp_gt_u32_e32 vcc, 8, v14
	v_cndmask_b32_e32 v14, v26, v16, vcc
	v_cndmask_b32_e32 v16, v24, v29, vcc
	v_lshlrev_b32_e32 v24, 24, v17
	v_bfrev_b32_e32 v26, 60
	v_lshlrev_b32_e32 v16, 20, v16
	v_and_b32_e32 v24, 0x80000000, v24
	v_lshl_add_u32 v14, v14, 23, v26
	v_or3_b32 v26, v24, v14, v16
.LBB570_475:
	s_or_b64 exec, exec, s[12:13]
.LBB570_476:
	s_or_b64 exec, exec, s[10:11]
.LBB570_477:
	s_or_b64 exec, exec, s[8:9]
	v_lshrrev_b16_e32 v14, 8, v17
	v_cmp_ne_u16_e32 vcc, 0, v14
	v_mov_b32_e32 v16, 0
	v_mov_b32_e32 v29, 0
	s_and_saveexec_b64 s[8:9], vcc
	s_cbranch_execz .LBB570_483
; %bb.478:
	s_movk_i32 s7, 0x80
	v_cmp_ne_u16_e32 vcc, s7, v14
	v_bfrev_b32_e32 v29, 1
	s_and_saveexec_b64 s[10:11], vcc
	s_cbranch_execz .LBB570_482
; %bb.479:
	s_movk_i32 s7, 0x7f
	v_and_b32_e32 v24, 0x7f, v14
	v_cmp_ne_u32_e32 vcc, s7, v24
	v_mov_b32_e32 v29, 0x7f800001
	s_and_saveexec_b64 s[12:13], vcc
	s_cbranch_execz .LBB570_481
; %bb.480:
	v_and_b32_e32 v29, 7, v14
	v_ffbh_u32_e32 v30, v29
	v_min_u32_e32 v33, 32, v30
	v_subrev_u32_e32 v30, 28, v33
	v_lshlrev_b64 v[30:31], v30, v[14:15]
	v_lshrrev_b32_e32 v32, 3, v24
	v_sub_u32_e32 v14, 29, v33
	v_and_b32_e32 v30, 7, v30
	v_cmp_gt_u32_e32 vcc, 8, v24
	v_cndmask_b32_e32 v14, v32, v14, vcc
	v_cndmask_b32_e32 v24, v29, v30, vcc
	v_lshlrev_b32_e32 v29, 16, v17
	v_bfrev_b32_e32 v30, 60
	v_lshlrev_b32_e32 v24, 20, v24
	v_and_b32_e32 v29, 0x80000000, v29
	v_lshl_add_u32 v14, v14, 23, v30
	v_or3_b32 v29, v29, v14, v24
.LBB570_481:
	s_or_b64 exec, exec, s[12:13]
.LBB570_482:
	s_or_b64 exec, exec, s[10:11]
.LBB570_483:
	s_or_b64 exec, exec, s[8:9]
	s_movk_i32 s7, 0xff
	v_and_b32_sdwa v24, v17, s7 dst_sel:DWORD dst_unused:UNUSED_PAD src0_sel:WORD_1 src1_sel:DWORD
	v_lshrrev_b32_e32 v14, 16, v17
	v_cmp_ne_u16_e32 vcc, 0, v24
	s_and_saveexec_b64 s[8:9], vcc
	s_cbranch_execz .LBB570_489
; %bb.484:
	s_movk_i32 s7, 0x80
	v_cmp_ne_u16_e32 vcc, s7, v24
	v_bfrev_b32_e32 v16, 1
	s_and_saveexec_b64 s[10:11], vcc
	s_cbranch_execz .LBB570_488
; %bb.485:
	v_bfe_u32 v24, v17, 16, 7
	s_movk_i32 s7, 0x7f
	v_cmp_ne_u32_e32 vcc, s7, v24
	v_mov_b32_e32 v16, 0x7f800001
	s_and_saveexec_b64 s[12:13], vcc
	s_cbranch_execz .LBB570_487
; %bb.486:
	v_and_b32_e32 v16, 7, v14
	v_ffbh_u32_e32 v30, v16
	v_min_u32_e32 v33, 32, v30
	v_subrev_u32_e32 v30, 28, v33
	v_lshlrev_b64 v[30:31], v30, v[14:15]
	v_lshrrev_b32_e32 v32, 3, v24
	v_sub_u32_e32 v14, 29, v33
	v_and_b32_e32 v30, 7, v30
	v_cmp_gt_u32_e32 vcc, 8, v24
	v_mov_b32_e32 v24, 24
	v_cndmask_b32_e32 v14, v32, v14, vcc
	v_cndmask_b32_e32 v16, v16, v30, vcc
	v_lshlrev_b32_sdwa v24, v24, v17 dst_sel:DWORD dst_unused:UNUSED_PAD src0_sel:DWORD src1_sel:WORD_1
	v_bfrev_b32_e32 v30, 60
	v_lshlrev_b32_e32 v16, 20, v16
	v_and_b32_e32 v24, 0x80000000, v24
	v_lshl_add_u32 v14, v14, 23, v30
	v_or3_b32 v16, v24, v14, v16
.LBB570_487:
	s_or_b64 exec, exec, s[12:13]
.LBB570_488:
	s_or_b64 exec, exec, s[10:11]
.LBB570_489:
	s_or_b64 exec, exec, s[8:9]
	s_mov_b32 s7, 0xffffff
	v_cmp_lt_u32_e32 vcc, s7, v17
	v_mov_b32_e32 v24, 0
	v_mov_b32_e32 v30, 0
	s_and_saveexec_b64 s[8:9], vcc
	s_cbranch_execz .LBB570_495
; %bb.490:
	v_lshrrev_b32_e32 v14, 24, v17
	s_movk_i32 s7, 0x80
	v_cmp_ne_u32_e32 vcc, s7, v14
	v_bfrev_b32_e32 v30, 1
	s_and_saveexec_b64 s[10:11], vcc
	s_cbranch_execz .LBB570_494
; %bb.491:
	v_bfe_u32 v17, v17, 24, 7
	s_movk_i32 s7, 0x7f
	v_cmp_ne_u32_e32 vcc, s7, v17
	v_mov_b32_e32 v30, 0x7f800001
	s_and_saveexec_b64 s[12:13], vcc
	s_cbranch_execz .LBB570_493
; %bb.492:
	v_and_b32_e32 v32, 7, v14
	v_ffbh_u32_e32 v30, v32
	v_min_u32_e32 v34, 32, v30
	v_subrev_u32_e32 v30, 28, v34
	v_lshlrev_b64 v[30:31], v30, v[14:15]
	v_lshrrev_b32_e32 v33, 3, v17
	v_sub_u32_e32 v31, 29, v34
	v_and_b32_e32 v30, 7, v30
	v_cmp_gt_u32_e32 vcc, 8, v17
	v_cndmask_b32_e32 v17, v33, v31, vcc
	v_cndmask_b32_e32 v30, v32, v30, vcc
	v_lshlrev_b32_e32 v14, 24, v14
	v_bfrev_b32_e32 v31, 60
	v_lshlrev_b32_e32 v30, 20, v30
	v_and_b32_e32 v14, 0x80000000, v14
	v_lshl_add_u32 v17, v17, 23, v31
	v_or3_b32 v30, v14, v17, v30
.LBB570_493:
	s_or_b64 exec, exec, s[12:13]
.LBB570_494:
	s_or_b64 exec, exec, s[10:11]
.LBB570_495:
	s_or_b64 exec, exec, s[8:9]
	v_cvt_pkrtz_f16_f32 v14, v23, v25
	v_cvt_pkrtz_f16_f32 v15, v15, v27
	ds_read_b128 v[32:35], v22 offset:16
	s_waitcnt vmcnt(2)
	v_cmp_ne_u16_sdwa s[10:11], v10, v24 src0_sel:BYTE_0 src1_sel:DWORD
	s_waitcnt lgkmcnt(0)
	v_mfma_f32_16x16x16f16 v[18:21], v[14:15], v[32:33], v[18:21]
	v_cvt_pkrtz_f16_f32 v14, v26, v29
	v_cvt_pkrtz_f16_f32 v15, v16, v30
	s_nop 1
	v_mfma_f32_16x16x16f16 v[14:17], v[14:15], v[34:35], v[18:21]
	s_and_saveexec_b64 s[8:9], s[10:11]
	s_cbranch_execz .LBB570_501
; %bb.496:
	s_movk_i32 s7, 0x80
	v_cmp_ne_u16_sdwa s[12:13], v10, s7 src0_sel:BYTE_0 src1_sel:DWORD
	v_bfrev_b32_e32 v24, 1
	s_and_saveexec_b64 s[10:11], s[12:13]
	s_cbranch_execz .LBB570_500
; %bb.497:
	s_movk_i32 s7, 0x7f
	v_and_b32_e32 v18, 0x7f, v10
	v_cmp_ne_u32_e32 vcc, s7, v18
	v_mov_b32_e32 v24, 0x7f800001
	s_and_saveexec_b64 s[12:13], vcc
	s_cbranch_execz .LBB570_499
; %bb.498:
	v_and_b32_e32 v19, 7, v10
	v_ffbh_u32_e32 v20, v19
	v_min_u32_e32 v24, 32, v20
	v_subrev_u32_e32 v20, 28, v24
	v_lshlrev_b64 v[20:21], v20, v[10:11]
	v_lshrrev_b32_e32 v23, 3, v18
	v_sub_u32_e32 v21, 29, v24
	v_and_b32_e32 v20, 7, v20
	v_cmp_gt_u32_e32 vcc, 8, v18
	v_cndmask_b32_e32 v18, v23, v21, vcc
	v_cndmask_b32_e32 v19, v19, v20, vcc
	v_lshlrev_b32_e32 v20, 24, v10
	v_bfrev_b32_e32 v21, 60
	v_lshlrev_b32_e32 v19, 20, v19
	v_and_b32_e32 v20, 0x80000000, v20
	v_lshl_add_u32 v18, v18, 23, v21
	v_or3_b32 v24, v20, v18, v19
.LBB570_499:
	s_or_b64 exec, exec, s[12:13]
.LBB570_500:
	s_or_b64 exec, exec, s[10:11]
.LBB570_501:
	s_or_b64 exec, exec, s[8:9]
	s_nop 3
	v_lshrrev_b16_e32 v18, 8, v10
	v_cmp_ne_u16_e32 vcc, 0, v18
	v_mov_b32_e32 v19, 0
	v_mov_b32_e32 v20, 0
	s_and_saveexec_b64 s[8:9], vcc
	s_cbranch_execz .LBB570_507
; %bb.502:
	s_movk_i32 s7, 0x80
	v_cmp_ne_u16_e32 vcc, s7, v18
	v_bfrev_b32_e32 v20, 1
	s_and_saveexec_b64 s[10:11], vcc
	s_cbranch_execz .LBB570_506
; %bb.503:
	s_movk_i32 s7, 0x7f
	v_and_b32_e32 v21, 0x7f, v18
	v_cmp_ne_u32_e32 vcc, s7, v21
	v_mov_b32_e32 v20, 0x7f800001
	s_and_saveexec_b64 s[12:13], vcc
	s_cbranch_execz .LBB570_505
; %bb.504:
	v_and_b32_e32 v20, 7, v18
	v_ffbh_u32_e32 v25, v20
	v_min_u32_e32 v25, 32, v25
	v_subrev_u32_e32 v26, 28, v25
	v_lshlrev_b64 v[26:27], v26, v[18:19]
	v_lshrrev_b32_e32 v23, 3, v21
	v_sub_u32_e32 v18, 29, v25
	v_and_b32_e32 v25, 7, v26
	v_cmp_gt_u32_e32 vcc, 8, v21
	v_cndmask_b32_e32 v18, v23, v18, vcc
	v_cndmask_b32_e32 v20, v20, v25, vcc
	v_lshlrev_b32_e32 v21, 16, v10
	v_bfrev_b32_e32 v23, 60
	v_lshlrev_b32_e32 v20, 20, v20
	v_and_b32_e32 v21, 0x80000000, v21
	v_lshl_add_u32 v18, v18, 23, v23
	v_or3_b32 v20, v21, v18, v20
.LBB570_505:
	s_or_b64 exec, exec, s[12:13]
.LBB570_506:
	s_or_b64 exec, exec, s[10:11]
.LBB570_507:
	s_or_b64 exec, exec, s[8:9]
	s_movk_i32 s7, 0xff
	v_and_b32_sdwa v21, v10, s7 dst_sel:DWORD dst_unused:UNUSED_PAD src0_sel:WORD_1 src1_sel:DWORD
	v_lshrrev_b32_e32 v18, 16, v10
	v_cmp_ne_u16_e32 vcc, 0, v21
	s_and_saveexec_b64 s[8:9], vcc
	s_cbranch_execz .LBB570_513
; %bb.508:
	s_movk_i32 s7, 0x80
	v_cmp_ne_u16_e32 vcc, s7, v21
	v_bfrev_b32_e32 v19, 1
	s_and_saveexec_b64 s[10:11], vcc
	s_cbranch_execz .LBB570_512
; %bb.509:
	v_bfe_u32 v21, v10, 16, 7
	s_movk_i32 s7, 0x7f
	v_cmp_ne_u32_e32 vcc, s7, v21
	v_mov_b32_e32 v19, 0x7f800001
	s_and_saveexec_b64 s[12:13], vcc
	s_cbranch_execz .LBB570_511
; %bb.510:
	v_and_b32_e32 v23, 7, v18
	v_ffbh_u32_e32 v19, v23
	v_min_u32_e32 v26, 32, v19
	v_subrev_u32_e32 v19, 28, v26
	v_lshlrev_b64 v[18:19], v19, v[18:19]
	v_lshrrev_b32_e32 v25, 3, v21
	v_sub_u32_e32 v19, 29, v26
	v_and_b32_e32 v18, 7, v18
	v_cmp_gt_u32_e32 vcc, 8, v21
	v_mov_b32_e32 v21, 24
	v_cndmask_b32_e32 v19, v25, v19, vcc
	v_cndmask_b32_e32 v18, v23, v18, vcc
	v_lshlrev_b32_sdwa v21, v21, v10 dst_sel:DWORD dst_unused:UNUSED_PAD src0_sel:DWORD src1_sel:WORD_1
	v_bfrev_b32_e32 v23, 60
	v_lshlrev_b32_e32 v18, 20, v18
	v_and_b32_e32 v21, 0x80000000, v21
	v_lshl_add_u32 v19, v19, 23, v23
	v_or3_b32 v19, v21, v19, v18
.LBB570_511:
	s_or_b64 exec, exec, s[12:13]
.LBB570_512:
	s_or_b64 exec, exec, s[10:11]
.LBB570_513:
	s_or_b64 exec, exec, s[8:9]
	s_mov_b32 s7, 0xffffff
	v_cmp_lt_u32_e32 vcc, s7, v10
	v_mov_b32_e32 v21, 0
	v_mov_b32_e32 v23, 0
	s_and_saveexec_b64 s[8:9], vcc
	s_cbranch_execz .LBB570_519
; %bb.514:
	v_lshrrev_b32_e32 v18, 24, v10
	s_movk_i32 s7, 0x80
	v_cmp_ne_u32_e32 vcc, s7, v18
	v_bfrev_b32_e32 v23, 1
	s_and_saveexec_b64 s[10:11], vcc
	s_cbranch_execz .LBB570_518
; %bb.515:
	v_bfe_u32 v10, v10, 24, 7
	s_movk_i32 s7, 0x7f
	v_cmp_ne_u32_e32 vcc, s7, v10
	v_mov_b32_e32 v23, 0x7f800001
	s_and_saveexec_b64 s[12:13], vcc
	s_cbranch_execz .LBB570_517
; %bb.516:
	v_and_b32_e32 v23, 7, v18
	v_ffbh_u32_e32 v26, v23
	v_min_u32_e32 v29, 32, v26
	v_subrev_u32_e32 v26, 28, v29
	v_lshlrev_b64 v[26:27], v26, v[18:19]
	v_lshrrev_b32_e32 v25, 3, v10
	v_sub_u32_e32 v27, 29, v29
	v_and_b32_e32 v26, 7, v26
	v_cmp_gt_u32_e32 vcc, 8, v10
	v_cndmask_b32_e32 v10, v25, v27, vcc
	v_cndmask_b32_e32 v23, v23, v26, vcc
	v_lshlrev_b32_e32 v18, 24, v18
	v_bfrev_b32_e32 v25, 60
	v_lshlrev_b32_e32 v23, 20, v23
	v_and_b32_e32 v18, 0x80000000, v18
	v_lshl_add_u32 v10, v10, 23, v25
	v_or3_b32 v23, v18, v10, v23
.LBB570_517:
	s_or_b64 exec, exec, s[12:13]
.LBB570_518:
	s_or_b64 exec, exec, s[10:11]
.LBB570_519:
	s_or_b64 exec, exec, s[8:9]
	v_cmp_ne_u16_sdwa s[10:11], v11, v21 src0_sel:BYTE_0 src1_sel:DWORD
	s_and_saveexec_b64 s[8:9], s[10:11]
	s_cbranch_execz .LBB570_525
; %bb.520:
	s_movk_i32 s7, 0x80
	v_cmp_ne_u16_sdwa s[12:13], v11, s7 src0_sel:BYTE_0 src1_sel:DWORD
	v_bfrev_b32_e32 v21, 1
	s_and_saveexec_b64 s[10:11], s[12:13]
	s_cbranch_execz .LBB570_524
; %bb.521:
	s_movk_i32 s7, 0x7f
	v_and_b32_e32 v10, 0x7f, v11
	v_cmp_ne_u32_e32 vcc, s7, v10
	v_mov_b32_e32 v21, 0x7f800001
	s_and_saveexec_b64 s[12:13], vcc
	s_cbranch_execz .LBB570_523
; %bb.522:
	v_and_b32_e32 v21, 7, v11
	v_ffbh_u32_e32 v26, v21
	v_min_u32_e32 v29, 32, v26
	v_mov_b32_e32 v18, v11
	v_subrev_u32_e32 v26, 28, v29
	v_lshlrev_b64 v[26:27], v26, v[18:19]
	v_lshrrev_b32_e32 v25, 3, v10
	v_sub_u32_e32 v18, 29, v29
	v_and_b32_e32 v26, 7, v26
	v_cmp_gt_u32_e32 vcc, 8, v10
	v_cndmask_b32_e32 v10, v25, v18, vcc
	v_cndmask_b32_e32 v18, v21, v26, vcc
	v_lshlrev_b32_e32 v21, 24, v11
	v_bfrev_b32_e32 v25, 60
	v_lshlrev_b32_e32 v18, 20, v18
	v_and_b32_e32 v21, 0x80000000, v21
	v_lshl_add_u32 v10, v10, 23, v25
	v_or3_b32 v21, v21, v10, v18
.LBB570_523:
	s_or_b64 exec, exec, s[12:13]
.LBB570_524:
	s_or_b64 exec, exec, s[10:11]
.LBB570_525:
	s_or_b64 exec, exec, s[8:9]
	v_lshrrev_b16_e32 v10, 8, v11
	v_cmp_ne_u16_e32 vcc, 0, v10
	v_mov_b32_e32 v25, 0
	v_mov_b32_e32 v26, 0
	s_and_saveexec_b64 s[8:9], vcc
	s_cbranch_execz .LBB570_531
; %bb.526:
	s_movk_i32 s7, 0x80
	v_cmp_ne_u16_e32 vcc, s7, v10
	v_bfrev_b32_e32 v26, 1
	s_and_saveexec_b64 s[10:11], vcc
	s_cbranch_execz .LBB570_530
; %bb.527:
	s_movk_i32 s7, 0x7f
	v_and_b32_e32 v18, 0x7f, v10
	v_cmp_ne_u32_e32 vcc, s7, v18
	v_mov_b32_e32 v26, 0x7f800001
	s_and_saveexec_b64 s[12:13], vcc
	s_cbranch_execz .LBB570_529
; %bb.528:
	v_and_b32_e32 v29, 7, v10
	v_ffbh_u32_e32 v26, v29
	v_min_u32_e32 v31, 32, v26
	v_subrev_u32_e32 v26, 28, v31
	v_lshlrev_b64 v[26:27], v26, v[10:11]
	v_lshrrev_b32_e32 v30, 3, v18
	v_sub_u32_e32 v10, 29, v31
	v_and_b32_e32 v26, 7, v26
	v_cmp_gt_u32_e32 vcc, 8, v18
	v_cndmask_b32_e32 v10, v30, v10, vcc
	v_cndmask_b32_e32 v18, v29, v26, vcc
	v_lshlrev_b32_e32 v26, 16, v11
	v_bfrev_b32_e32 v27, 60
	v_lshlrev_b32_e32 v18, 20, v18
	v_and_b32_e32 v26, 0x80000000, v26
	v_lshl_add_u32 v10, v10, 23, v27
	v_or3_b32 v26, v26, v10, v18
.LBB570_529:
	s_or_b64 exec, exec, s[12:13]
.LBB570_530:
	s_or_b64 exec, exec, s[10:11]
.LBB570_531:
	s_or_b64 exec, exec, s[8:9]
	s_movk_i32 s7, 0xff
	v_and_b32_sdwa v18, v11, s7 dst_sel:DWORD dst_unused:UNUSED_PAD src0_sel:WORD_1 src1_sel:DWORD
	v_lshrrev_b32_e32 v10, 16, v11
	v_cmp_ne_u16_e32 vcc, 0, v18
	s_and_saveexec_b64 s[8:9], vcc
	s_cbranch_execz .LBB570_537
; %bb.532:
	s_movk_i32 s7, 0x80
	v_cmp_ne_u16_e32 vcc, s7, v18
	v_bfrev_b32_e32 v25, 1
	s_and_saveexec_b64 s[10:11], vcc
	s_cbranch_execz .LBB570_536
; %bb.533:
	v_bfe_u32 v18, v11, 16, 7
	s_movk_i32 s7, 0x7f
	v_cmp_ne_u32_e32 vcc, s7, v18
	v_mov_b32_e32 v25, 0x7f800001
	s_and_saveexec_b64 s[12:13], vcc
	s_cbranch_execz .LBB570_535
; %bb.534:
	v_and_b32_e32 v25, 7, v10
	v_ffbh_u32_e32 v29, v25
	v_min_u32_e32 v29, 32, v29
	v_subrev_u32_e32 v30, 28, v29
	v_lshlrev_b64 v[30:31], v30, v[10:11]
	v_sub_u32_e32 v10, 29, v29
	v_and_b32_e32 v29, 7, v30
	v_cmp_gt_u32_e32 vcc, 8, v18
	v_lshrrev_b32_e32 v27, 3, v18
	v_cndmask_b32_e32 v18, v25, v29, vcc
	v_mov_b32_e32 v25, 24
	v_cndmask_b32_e32 v10, v27, v10, vcc
	v_lshlrev_b32_sdwa v25, v25, v11 dst_sel:DWORD dst_unused:UNUSED_PAD src0_sel:DWORD src1_sel:WORD_1
	v_bfrev_b32_e32 v27, 60
	v_lshlrev_b32_e32 v18, 20, v18
	v_and_b32_e32 v25, 0x80000000, v25
	v_lshl_add_u32 v10, v10, 23, v27
	v_or3_b32 v25, v25, v10, v18
.LBB570_535:
	s_or_b64 exec, exec, s[12:13]
.LBB570_536:
	s_or_b64 exec, exec, s[10:11]
.LBB570_537:
	s_or_b64 exec, exec, s[8:9]
	s_mov_b32 s7, 0xffffff
	v_cmp_lt_u32_e32 vcc, s7, v11
	v_mov_b32_e32 v18, 0
	v_mov_b32_e32 v27, 0
	s_and_saveexec_b64 s[8:9], vcc
	s_cbranch_execz .LBB570_543
; %bb.538:
	v_lshrrev_b32_e32 v10, 24, v11
	s_movk_i32 s7, 0x80
	v_cmp_ne_u32_e32 vcc, s7, v10
	v_bfrev_b32_e32 v27, 1
	s_and_saveexec_b64 s[10:11], vcc
	s_cbranch_execz .LBB570_542
; %bb.539:
	v_bfe_u32 v11, v11, 24, 7
	s_movk_i32 s7, 0x7f
	v_cmp_ne_u32_e32 vcc, s7, v11
	v_mov_b32_e32 v27, 0x7f800001
	s_and_saveexec_b64 s[12:13], vcc
	s_cbranch_execz .LBB570_541
; %bb.540:
	v_and_b32_e32 v27, 7, v10
	v_ffbh_u32_e32 v30, v27
	v_min_u32_e32 v32, 32, v30
	v_subrev_u32_e32 v30, 28, v32
	v_lshlrev_b64 v[30:31], v30, v[10:11]
	v_lshrrev_b32_e32 v29, 3, v11
	v_sub_u32_e32 v31, 29, v32
	v_and_b32_e32 v30, 7, v30
	v_cmp_gt_u32_e32 vcc, 8, v11
	v_cndmask_b32_e32 v11, v29, v31, vcc
	v_cndmask_b32_e32 v27, v27, v30, vcc
	v_lshlrev_b32_e32 v10, 24, v10
	v_bfrev_b32_e32 v29, 60
	v_lshlrev_b32_e32 v27, 20, v27
	v_and_b32_e32 v10, 0x80000000, v10
	v_lshl_add_u32 v11, v11, 23, v29
	v_or3_b32 v27, v10, v11, v27
.LBB570_541:
	s_or_b64 exec, exec, s[12:13]
.LBB570_542:
	s_or_b64 exec, exec, s[10:11]
.LBB570_543:
	s_or_b64 exec, exec, s[8:9]
	v_cvt_pkrtz_f16_f32 v10, v24, v20
	v_cvt_pkrtz_f16_f32 v11, v19, v23
	ds_read_b128 v[30:33], v22 offset:2048
	v_cmp_ne_u16_sdwa s[10:11], v12, v18 src0_sel:BYTE_0 src1_sel:DWORD
	s_waitcnt lgkmcnt(0)
	v_mfma_f32_16x16x16f16 v[14:17], v[10:11], v[30:31], v[14:17]
	v_cvt_pkrtz_f16_f32 v10, v21, v26
	v_cvt_pkrtz_f16_f32 v11, v25, v27
	s_nop 1
	v_mfma_f32_16x16x16f16 v[14:17], v[10:11], v[32:33], v[14:17]
	s_and_saveexec_b64 s[8:9], s[10:11]
	s_cbranch_execz .LBB570_549
; %bb.544:
	s_movk_i32 s7, 0x80
	v_cmp_ne_u16_sdwa s[12:13], v12, s7 src0_sel:BYTE_0 src1_sel:DWORD
	v_bfrev_b32_e32 v18, 1
	s_and_saveexec_b64 s[10:11], s[12:13]
	s_cbranch_execz .LBB570_548
; %bb.545:
	s_movk_i32 s7, 0x7f
	v_and_b32_e32 v10, 0x7f, v12
	v_cmp_ne_u32_e32 vcc, s7, v10
	v_mov_b32_e32 v18, 0x7f800001
	s_and_saveexec_b64 s[12:13], vcc
	s_cbranch_execz .LBB570_547
; %bb.546:
	v_and_b32_e32 v11, 7, v12
	v_ffbh_u32_e32 v18, v11
	v_min_u32_e32 v21, 32, v18
	v_subrev_u32_e32 v18, 28, v21
	v_lshlrev_b64 v[18:19], v18, v[12:13]
	v_lshrrev_b32_e32 v20, 3, v10
	v_sub_u32_e32 v19, 29, v21
	v_and_b32_e32 v18, 7, v18
	v_cmp_gt_u32_e32 vcc, 8, v10
	v_cndmask_b32_e32 v10, v20, v19, vcc
	v_cndmask_b32_e32 v11, v11, v18, vcc
	v_lshlrev_b32_e32 v18, 24, v12
	v_bfrev_b32_e32 v19, 60
	v_lshlrev_b32_e32 v11, 20, v11
	v_and_b32_e32 v18, 0x80000000, v18
	v_lshl_add_u32 v10, v10, 23, v19
	v_or3_b32 v18, v18, v10, v11
.LBB570_547:
	s_or_b64 exec, exec, s[12:13]
.LBB570_548:
	s_or_b64 exec, exec, s[10:11]
.LBB570_549:
	s_or_b64 exec, exec, s[8:9]
	v_lshrrev_b16_e32 v10, 8, v12
	v_cmp_ne_u16_e32 vcc, 0, v10
	v_mov_b32_e32 v11, 0
	v_mov_b32_e32 v20, 0
	s_and_saveexec_b64 s[8:9], vcc
	s_cbranch_execz .LBB570_555
; %bb.550:
	s_movk_i32 s7, 0x80
	v_cmp_ne_u16_e32 vcc, s7, v10
	v_bfrev_b32_e32 v20, 1
	s_and_saveexec_b64 s[10:11], vcc
	s_cbranch_execz .LBB570_554
; %bb.551:
	s_movk_i32 s7, 0x7f
	v_and_b32_e32 v19, 0x7f, v10
	v_cmp_ne_u32_e32 vcc, s7, v19
	v_mov_b32_e32 v20, 0x7f800001
	s_and_saveexec_b64 s[12:13], vcc
	s_cbranch_execz .LBB570_553
; %bb.552:
	v_and_b32_e32 v23, 7, v10
	v_ffbh_u32_e32 v20, v23
	v_min_u32_e32 v25, 32, v20
	v_subrev_u32_e32 v20, 28, v25
	v_lshlrev_b64 v[20:21], v20, v[10:11]
	v_lshrrev_b32_e32 v24, 3, v19
	v_sub_u32_e32 v10, 29, v25
	v_and_b32_e32 v20, 7, v20
	v_cmp_gt_u32_e32 vcc, 8, v19
	v_cndmask_b32_e32 v10, v24, v10, vcc
	v_cndmask_b32_e32 v19, v23, v20, vcc
	v_lshlrev_b32_e32 v20, 16, v12
	v_bfrev_b32_e32 v21, 60
	v_lshlrev_b32_e32 v19, 20, v19
	v_and_b32_e32 v20, 0x80000000, v20
	v_lshl_add_u32 v10, v10, 23, v21
	v_or3_b32 v20, v20, v10, v19
.LBB570_553:
	s_or_b64 exec, exec, s[12:13]
.LBB570_554:
	s_or_b64 exec, exec, s[10:11]
.LBB570_555:
	s_or_b64 exec, exec, s[8:9]
	s_movk_i32 s7, 0xff
	v_and_b32_sdwa v19, v12, s7 dst_sel:DWORD dst_unused:UNUSED_PAD src0_sel:WORD_1 src1_sel:DWORD
	v_lshrrev_b32_e32 v10, 16, v12
	v_cmp_ne_u16_e32 vcc, 0, v19
	s_and_saveexec_b64 s[8:9], vcc
	s_cbranch_execz .LBB570_561
; %bb.556:
	s_movk_i32 s7, 0x80
	v_cmp_ne_u16_e32 vcc, s7, v19
	v_bfrev_b32_e32 v11, 1
	s_and_saveexec_b64 s[10:11], vcc
	s_cbranch_execz .LBB570_560
; %bb.557:
	v_bfe_u32 v19, v12, 16, 7
	s_movk_i32 s7, 0x7f
	v_cmp_ne_u32_e32 vcc, s7, v19
	v_mov_b32_e32 v11, 0x7f800001
	s_and_saveexec_b64 s[12:13], vcc
	s_cbranch_execz .LBB570_559
; %bb.558:
	v_and_b32_e32 v21, 7, v10
	v_ffbh_u32_e32 v11, v21
	v_min_u32_e32 v24, 32, v11
	v_subrev_u32_e32 v11, 28, v24
	v_lshlrev_b64 v[10:11], v11, v[10:11]
	v_lshrrev_b32_e32 v23, 3, v19
	v_sub_u32_e32 v11, 29, v24
	v_and_b32_e32 v10, 7, v10
	v_cmp_gt_u32_e32 vcc, 8, v19
	v_mov_b32_e32 v19, 24
	v_cndmask_b32_e32 v11, v23, v11, vcc
	v_cndmask_b32_e32 v10, v21, v10, vcc
	v_lshlrev_b32_sdwa v19, v19, v12 dst_sel:DWORD dst_unused:UNUSED_PAD src0_sel:DWORD src1_sel:WORD_1
	v_bfrev_b32_e32 v21, 60
	v_lshlrev_b32_e32 v10, 20, v10
	v_and_b32_e32 v19, 0x80000000, v19
	v_lshl_add_u32 v11, v11, 23, v21
	v_or3_b32 v11, v19, v11, v10
.LBB570_559:
	s_or_b64 exec, exec, s[12:13]
.LBB570_560:
	s_or_b64 exec, exec, s[10:11]
.LBB570_561:
	s_or_b64 exec, exec, s[8:9]
	s_mov_b32 s7, 0xffffff
	v_cmp_lt_u32_e32 vcc, s7, v12
	v_mov_b32_e32 v21, 0
	v_mov_b32_e32 v23, 0
	s_and_saveexec_b64 s[8:9], vcc
	s_cbranch_execz .LBB570_567
; %bb.562:
	v_lshrrev_b32_e32 v10, 24, v12
	s_movk_i32 s7, 0x80
	v_cmp_ne_u32_e32 vcc, s7, v10
	v_bfrev_b32_e32 v23, 1
	s_and_saveexec_b64 s[10:11], vcc
	s_cbranch_execz .LBB570_566
; %bb.563:
	v_bfe_u32 v12, v12, 24, 7
	s_movk_i32 s7, 0x7f
	v_cmp_ne_u32_e32 vcc, s7, v12
	v_mov_b32_e32 v23, 0x7f800001
	s_and_saveexec_b64 s[12:13], vcc
	s_cbranch_execz .LBB570_565
; %bb.564:
	v_and_b32_e32 v19, 7, v10
	v_ffbh_u32_e32 v24, v19
	v_min_u32_e32 v26, 32, v24
	v_subrev_u32_e32 v24, 28, v26
	v_lshlrev_b64 v[24:25], v24, v[10:11]
	v_lshrrev_b32_e32 v23, 3, v12
	v_sub_u32_e32 v25, 29, v26
	v_and_b32_e32 v24, 7, v24
	v_cmp_gt_u32_e32 vcc, 8, v12
	v_cndmask_b32_e32 v12, v23, v25, vcc
	v_cndmask_b32_e32 v19, v19, v24, vcc
	v_lshlrev_b32_e32 v10, 24, v10
	v_bfrev_b32_e32 v23, 60
	v_lshlrev_b32_e32 v19, 20, v19
	v_and_b32_e32 v10, 0x80000000, v10
	v_lshl_add_u32 v12, v12, 23, v23
	v_or3_b32 v23, v10, v12, v19
.LBB570_565:
	s_or_b64 exec, exec, s[12:13]
.LBB570_566:
	s_or_b64 exec, exec, s[10:11]
.LBB570_567:
	s_or_b64 exec, exec, s[8:9]
	v_cmp_ne_u16_sdwa s[10:11], v13, v21 src0_sel:BYTE_0 src1_sel:DWORD
	s_and_saveexec_b64 s[8:9], s[10:11]
	s_cbranch_execz .LBB570_573
; %bb.568:
	s_movk_i32 s7, 0x80
	v_cmp_ne_u16_sdwa s[12:13], v13, s7 src0_sel:BYTE_0 src1_sel:DWORD
	v_bfrev_b32_e32 v21, 1
	s_and_saveexec_b64 s[10:11], s[12:13]
	s_cbranch_execz .LBB570_572
; %bb.569:
	s_movk_i32 s7, 0x7f
	v_and_b32_e32 v10, 0x7f, v13
	v_cmp_ne_u32_e32 vcc, s7, v10
	v_mov_b32_e32 v21, 0x7f800001
	s_and_saveexec_b64 s[12:13], vcc
	s_cbranch_execz .LBB570_571
; %bb.570:
	v_and_b32_e32 v19, 7, v13
	v_ffbh_u32_e32 v24, v19
	v_min_u32_e32 v26, 32, v24
	v_mov_b32_e32 v12, v13
	v_subrev_u32_e32 v24, 28, v26
	v_lshlrev_b64 v[24:25], v24, v[12:13]
	v_lshrrev_b32_e32 v21, 3, v10
	v_sub_u32_e32 v12, 29, v26
	v_and_b32_e32 v24, 7, v24
	v_cmp_gt_u32_e32 vcc, 8, v10
	v_cndmask_b32_e32 v10, v21, v12, vcc
	v_cndmask_b32_e32 v12, v19, v24, vcc
	v_lshlrev_b32_e32 v19, 24, v13
	v_bfrev_b32_e32 v21, 60
	v_lshlrev_b32_e32 v12, 20, v12
	v_and_b32_e32 v19, 0x80000000, v19
	v_lshl_add_u32 v10, v10, 23, v21
	v_or3_b32 v21, v19, v10, v12
.LBB570_571:
	s_or_b64 exec, exec, s[12:13]
.LBB570_572:
	s_or_b64 exec, exec, s[10:11]
.LBB570_573:
	s_or_b64 exec, exec, s[8:9]
	v_lshrrev_b16_e32 v10, 8, v13
	v_cmp_ne_u16_e32 vcc, 0, v10
	v_mov_b32_e32 v12, 0
	v_mov_b32_e32 v24, 0
	s_and_saveexec_b64 s[8:9], vcc
	s_cbranch_execz .LBB570_579
; %bb.574:
	s_movk_i32 s7, 0x80
	v_cmp_ne_u16_e32 vcc, s7, v10
	v_bfrev_b32_e32 v24, 1
	s_and_saveexec_b64 s[10:11], vcc
	s_cbranch_execz .LBB570_578
; %bb.575:
	s_movk_i32 s7, 0x7f
	v_and_b32_e32 v19, 0x7f, v10
	v_cmp_ne_u32_e32 vcc, s7, v19
	v_mov_b32_e32 v24, 0x7f800001
	s_and_saveexec_b64 s[12:13], vcc
	s_cbranch_execz .LBB570_577
; %bb.576:
	v_and_b32_e32 v26, 7, v10
	v_ffbh_u32_e32 v24, v26
	v_min_u32_e32 v29, 32, v24
	v_subrev_u32_e32 v24, 28, v29
	v_lshlrev_b64 v[24:25], v24, v[10:11]
	v_lshrrev_b32_e32 v27, 3, v19
	v_sub_u32_e32 v10, 29, v29
	v_and_b32_e32 v24, 7, v24
	v_cmp_gt_u32_e32 vcc, 8, v19
	v_cndmask_b32_e32 v10, v27, v10, vcc
	v_cndmask_b32_e32 v19, v26, v24, vcc
	v_lshlrev_b32_e32 v24, 16, v13
	v_bfrev_b32_e32 v25, 60
	v_lshlrev_b32_e32 v19, 20, v19
	v_and_b32_e32 v24, 0x80000000, v24
	v_lshl_add_u32 v10, v10, 23, v25
	v_or3_b32 v24, v24, v10, v19
.LBB570_577:
	s_or_b64 exec, exec, s[12:13]
.LBB570_578:
	s_or_b64 exec, exec, s[10:11]
.LBB570_579:
	s_or_b64 exec, exec, s[8:9]
	s_movk_i32 s7, 0xff
	v_and_b32_sdwa v19, v13, s7 dst_sel:DWORD dst_unused:UNUSED_PAD src0_sel:WORD_1 src1_sel:DWORD
	v_lshrrev_b32_e32 v10, 16, v13
	v_cmp_ne_u16_e32 vcc, 0, v19
	s_and_saveexec_b64 s[8:9], vcc
	s_cbranch_execz .LBB570_585
; %bb.580:
	s_movk_i32 s7, 0x80
	v_cmp_ne_u16_e32 vcc, s7, v19
	v_bfrev_b32_e32 v12, 1
	s_and_saveexec_b64 s[10:11], vcc
	s_cbranch_execz .LBB570_584
; %bb.581:
	v_bfe_u32 v19, v13, 16, 7
	s_movk_i32 s7, 0x7f
	v_cmp_ne_u32_e32 vcc, s7, v19
	v_mov_b32_e32 v12, 0x7f800001
	s_and_saveexec_b64 s[12:13], vcc
	s_cbranch_execz .LBB570_583
; %bb.582:
	v_and_b32_e32 v12, 7, v10
	v_ffbh_u32_e32 v26, v12
	v_min_u32_e32 v29, 32, v26
	v_subrev_u32_e32 v26, 28, v29
	v_lshlrev_b64 v[26:27], v26, v[10:11]
	v_lshrrev_b32_e32 v25, 3, v19
	v_sub_u32_e32 v10, 29, v29
	v_and_b32_e32 v26, 7, v26
	v_cmp_gt_u32_e32 vcc, 8, v19
	v_mov_b32_e32 v19, 24
	v_cndmask_b32_e32 v10, v25, v10, vcc
	v_cndmask_b32_e32 v12, v12, v26, vcc
	v_lshlrev_b32_sdwa v19, v19, v13 dst_sel:DWORD dst_unused:UNUSED_PAD src0_sel:DWORD src1_sel:WORD_1
	v_bfrev_b32_e32 v25, 60
	v_lshlrev_b32_e32 v12, 20, v12
	v_and_b32_e32 v19, 0x80000000, v19
	v_lshl_add_u32 v10, v10, 23, v25
	v_or3_b32 v12, v19, v10, v12
.LBB570_583:
	s_or_b64 exec, exec, s[12:13]
.LBB570_584:
	s_or_b64 exec, exec, s[10:11]
.LBB570_585:
	s_or_b64 exec, exec, s[8:9]
	s_mov_b32 s7, 0xffffff
	v_cmp_lt_u32_e32 vcc, s7, v13
	v_mov_b32_e32 v19, 0
	v_mov_b32_e32 v25, 0
	s_and_saveexec_b64 s[8:9], vcc
	s_cbranch_execz .LBB570_591
; %bb.586:
	v_lshrrev_b32_e32 v10, 24, v13
	s_movk_i32 s7, 0x80
	v_cmp_ne_u32_e32 vcc, s7, v10
	v_bfrev_b32_e32 v25, 1
	s_and_saveexec_b64 s[10:11], vcc
	s_cbranch_execz .LBB570_590
; %bb.587:
	v_bfe_u32 v13, v13, 24, 7
	s_movk_i32 s7, 0x7f
	v_cmp_ne_u32_e32 vcc, s7, v13
	v_mov_b32_e32 v25, 0x7f800001
	s_and_saveexec_b64 s[12:13], vcc
	s_cbranch_execz .LBB570_589
; %bb.588:
	v_and_b32_e32 v25, 7, v10
	v_ffbh_u32_e32 v26, v25
	v_min_u32_e32 v30, 32, v26
	v_subrev_u32_e32 v26, 28, v30
	v_lshlrev_b64 v[26:27], v26, v[10:11]
	v_lshrrev_b32_e32 v29, 3, v13
	v_sub_u32_e32 v27, 29, v30
	v_and_b32_e32 v26, 7, v26
	v_cmp_gt_u32_e32 vcc, 8, v13
	v_cndmask_b32_e32 v13, v29, v27, vcc
	v_cndmask_b32_e32 v25, v25, v26, vcc
	v_lshlrev_b32_e32 v10, 24, v10
	v_bfrev_b32_e32 v26, 60
	v_lshlrev_b32_e32 v25, 20, v25
	v_and_b32_e32 v10, 0x80000000, v10
	v_lshl_add_u32 v13, v13, 23, v26
	v_or3_b32 v25, v10, v13, v25
.LBB570_589:
	s_or_b64 exec, exec, s[12:13]
.LBB570_590:
	s_or_b64 exec, exec, s[10:11]
.LBB570_591:
	s_or_b64 exec, exec, s[8:9]
	v_cvt_pkrtz_f16_f32 v10, v18, v20
	v_cvt_pkrtz_f16_f32 v11, v11, v23
	ds_read_b128 v[30:33], v22 offset:2064
	s_waitcnt vmcnt(1)
	v_cmp_ne_u16_sdwa s[10:11], v6, v19 src0_sel:BYTE_0 src1_sel:DWORD
	s_waitcnt lgkmcnt(0)
	v_mfma_f32_16x16x16f16 v[14:17], v[10:11], v[30:31], v[14:17]
	v_cvt_pkrtz_f16_f32 v10, v21, v24
	v_cvt_pkrtz_f16_f32 v11, v12, v25
	s_nop 1
	v_mfma_f32_16x16x16f16 v[10:13], v[10:11], v[32:33], v[14:17]
	s_and_saveexec_b64 s[8:9], s[10:11]
	s_cbranch_execz .LBB570_597
; %bb.592:
	s_movk_i32 s7, 0x80
	v_cmp_ne_u16_sdwa s[12:13], v6, s7 src0_sel:BYTE_0 src1_sel:DWORD
	v_bfrev_b32_e32 v19, 1
	s_and_saveexec_b64 s[10:11], s[12:13]
	s_cbranch_execz .LBB570_596
; %bb.593:
	s_movk_i32 s7, 0x7f
	v_and_b32_e32 v14, 0x7f, v6
	v_cmp_ne_u32_e32 vcc, s7, v14
	v_mov_b32_e32 v19, 0x7f800001
	s_and_saveexec_b64 s[12:13], vcc
	s_cbranch_execz .LBB570_595
; %bb.594:
	v_and_b32_e32 v15, 7, v6
	v_ffbh_u32_e32 v16, v15
	v_min_u32_e32 v19, 32, v16
	v_subrev_u32_e32 v16, 28, v19
	v_lshlrev_b64 v[16:17], v16, v[6:7]
	v_lshrrev_b32_e32 v18, 3, v14
	v_sub_u32_e32 v17, 29, v19
	v_and_b32_e32 v16, 7, v16
	v_cmp_gt_u32_e32 vcc, 8, v14
	v_cndmask_b32_e32 v14, v18, v17, vcc
	v_cndmask_b32_e32 v15, v15, v16, vcc
	v_lshlrev_b32_e32 v16, 24, v6
	v_bfrev_b32_e32 v17, 60
	v_lshlrev_b32_e32 v15, 20, v15
	v_and_b32_e32 v16, 0x80000000, v16
	v_lshl_add_u32 v14, v14, 23, v17
	v_or3_b32 v19, v16, v14, v15
.LBB570_595:
	s_or_b64 exec, exec, s[12:13]
.LBB570_596:
	s_or_b64 exec, exec, s[10:11]
.LBB570_597:
	s_or_b64 exec, exec, s[8:9]
	s_nop 3
	v_lshrrev_b16_e32 v14, 8, v6
	v_cmp_ne_u16_e32 vcc, 0, v14
	v_mov_b32_e32 v15, 0
	v_mov_b32_e32 v16, 0
	s_and_saveexec_b64 s[8:9], vcc
	s_cbranch_execz .LBB570_603
; %bb.598:
	s_movk_i32 s7, 0x80
	v_cmp_ne_u16_e32 vcc, s7, v14
	v_bfrev_b32_e32 v16, 1
	s_and_saveexec_b64 s[10:11], vcc
	s_cbranch_execz .LBB570_602
; %bb.599:
	s_movk_i32 s7, 0x7f
	v_and_b32_e32 v17, 0x7f, v14
	v_cmp_ne_u32_e32 vcc, s7, v17
	v_mov_b32_e32 v16, 0x7f800001
	s_and_saveexec_b64 s[12:13], vcc
	s_cbranch_execz .LBB570_601
; %bb.600:
	v_and_b32_e32 v16, 7, v14
	v_ffbh_u32_e32 v20, v16
	v_min_u32_e32 v23, 32, v20
	v_subrev_u32_e32 v20, 28, v23
	v_lshlrev_b64 v[20:21], v20, v[14:15]
	v_lshrrev_b32_e32 v18, 3, v17
	v_sub_u32_e32 v14, 29, v23
	v_and_b32_e32 v20, 7, v20
	v_cmp_gt_u32_e32 vcc, 8, v17
	v_cndmask_b32_e32 v14, v18, v14, vcc
	v_cndmask_b32_e32 v16, v16, v20, vcc
	v_lshlrev_b32_e32 v17, 16, v6
	v_bfrev_b32_e32 v18, 60
	v_lshlrev_b32_e32 v16, 20, v16
	v_and_b32_e32 v17, 0x80000000, v17
	v_lshl_add_u32 v14, v14, 23, v18
	v_or3_b32 v16, v17, v14, v16
.LBB570_601:
	s_or_b64 exec, exec, s[12:13]
.LBB570_602:
	s_or_b64 exec, exec, s[10:11]
.LBB570_603:
	s_or_b64 exec, exec, s[8:9]
	s_movk_i32 s7, 0xff
	v_and_b32_sdwa v17, v6, s7 dst_sel:DWORD dst_unused:UNUSED_PAD src0_sel:WORD_1 src1_sel:DWORD
	v_lshrrev_b32_e32 v14, 16, v6
	v_cmp_ne_u16_e32 vcc, 0, v17
	s_and_saveexec_b64 s[8:9], vcc
	s_cbranch_execz .LBB570_609
; %bb.604:
	s_movk_i32 s7, 0x80
	v_cmp_ne_u16_e32 vcc, s7, v17
	v_bfrev_b32_e32 v15, 1
	s_and_saveexec_b64 s[10:11], vcc
	s_cbranch_execz .LBB570_608
; %bb.605:
	v_bfe_u32 v17, v6, 16, 7
	s_movk_i32 s7, 0x7f
	v_cmp_ne_u32_e32 vcc, s7, v17
	v_mov_b32_e32 v15, 0x7f800001
	s_and_saveexec_b64 s[12:13], vcc
	s_cbranch_execz .LBB570_607
; %bb.606:
	v_and_b32_e32 v18, 7, v14
	v_ffbh_u32_e32 v15, v18
	v_min_u32_e32 v21, 32, v15
	v_subrev_u32_e32 v15, 28, v21
	v_lshlrev_b64 v[14:15], v15, v[14:15]
	v_lshrrev_b32_e32 v20, 3, v17
	v_sub_u32_e32 v15, 29, v21
	v_and_b32_e32 v14, 7, v14
	v_cmp_gt_u32_e32 vcc, 8, v17
	v_mov_b32_e32 v17, 24
	v_cndmask_b32_e32 v15, v20, v15, vcc
	v_cndmask_b32_e32 v14, v18, v14, vcc
	v_lshlrev_b32_sdwa v17, v17, v6 dst_sel:DWORD dst_unused:UNUSED_PAD src0_sel:DWORD src1_sel:WORD_1
	v_bfrev_b32_e32 v18, 60
	v_lshlrev_b32_e32 v14, 20, v14
	v_and_b32_e32 v17, 0x80000000, v17
	v_lshl_add_u32 v15, v15, 23, v18
	v_or3_b32 v15, v17, v15, v14
.LBB570_607:
	s_or_b64 exec, exec, s[12:13]
.LBB570_608:
	s_or_b64 exec, exec, s[10:11]
.LBB570_609:
	s_or_b64 exec, exec, s[8:9]
	s_mov_b32 s7, 0xffffff
	v_cmp_lt_u32_e32 vcc, s7, v6
	v_mov_b32_e32 v17, 0
	v_mov_b32_e32 v18, 0
	s_and_saveexec_b64 s[8:9], vcc
	s_cbranch_execz .LBB570_615
; %bb.610:
	v_lshrrev_b32_e32 v14, 24, v6
	s_movk_i32 s7, 0x80
	v_cmp_ne_u32_e32 vcc, s7, v14
	v_bfrev_b32_e32 v18, 1
	s_and_saveexec_b64 s[10:11], vcc
	s_cbranch_execz .LBB570_614
; %bb.611:
	v_bfe_u32 v6, v6, 24, 7
	s_movk_i32 s7, 0x7f
	v_cmp_ne_u32_e32 vcc, s7, v6
	v_mov_b32_e32 v18, 0x7f800001
	s_and_saveexec_b64 s[12:13], vcc
	s_cbranch_execz .LBB570_613
; %bb.612:
	v_and_b32_e32 v18, 7, v14
	v_ffbh_u32_e32 v20, v18
	v_min_u32_e32 v24, 32, v20
	v_subrev_u32_e32 v20, 28, v24
	v_lshlrev_b64 v[20:21], v20, v[14:15]
	v_lshrrev_b32_e32 v23, 3, v6
	v_sub_u32_e32 v21, 29, v24
	v_and_b32_e32 v20, 7, v20
	v_cmp_gt_u32_e32 vcc, 8, v6
	v_cndmask_b32_e32 v6, v23, v21, vcc
	v_cndmask_b32_e32 v18, v18, v20, vcc
	v_lshlrev_b32_e32 v14, 24, v14
	v_bfrev_b32_e32 v20, 60
	v_lshlrev_b32_e32 v18, 20, v18
	v_and_b32_e32 v14, 0x80000000, v14
	v_lshl_add_u32 v6, v6, 23, v20
	v_or3_b32 v18, v14, v6, v18
.LBB570_613:
	s_or_b64 exec, exec, s[12:13]
.LBB570_614:
	s_or_b64 exec, exec, s[10:11]
.LBB570_615:
	s_or_b64 exec, exec, s[8:9]
	v_cmp_ne_u16_sdwa s[10:11], v7, v17 src0_sel:BYTE_0 src1_sel:DWORD
	s_and_saveexec_b64 s[8:9], s[10:11]
	s_cbranch_execz .LBB570_621
; %bb.616:
	s_movk_i32 s7, 0x80
	v_cmp_ne_u16_sdwa s[12:13], v7, s7 src0_sel:BYTE_0 src1_sel:DWORD
	v_bfrev_b32_e32 v17, 1
	s_and_saveexec_b64 s[10:11], s[12:13]
	s_cbranch_execz .LBB570_620
; %bb.617:
	s_movk_i32 s7, 0x7f
	v_and_b32_e32 v6, 0x7f, v7
	v_cmp_ne_u32_e32 vcc, s7, v6
	v_mov_b32_e32 v17, 0x7f800001
	s_and_saveexec_b64 s[12:13], vcc
	s_cbranch_execz .LBB570_619
; %bb.618:
	v_and_b32_e32 v17, 7, v7
	v_ffbh_u32_e32 v20, v17
	v_min_u32_e32 v24, 32, v20
	v_mov_b32_e32 v14, v7
	v_subrev_u32_e32 v20, 28, v24
	v_lshlrev_b64 v[20:21], v20, v[14:15]
	v_lshrrev_b32_e32 v23, 3, v6
	v_sub_u32_e32 v14, 29, v24
	v_and_b32_e32 v20, 7, v20
	v_cmp_gt_u32_e32 vcc, 8, v6
	v_cndmask_b32_e32 v6, v23, v14, vcc
	v_cndmask_b32_e32 v14, v17, v20, vcc
	v_lshlrev_b32_e32 v17, 24, v7
	v_bfrev_b32_e32 v20, 60
	v_lshlrev_b32_e32 v14, 20, v14
	v_and_b32_e32 v17, 0x80000000, v17
	v_lshl_add_u32 v6, v6, 23, v20
	v_or3_b32 v17, v17, v6, v14
.LBB570_619:
	s_or_b64 exec, exec, s[12:13]
.LBB570_620:
	s_or_b64 exec, exec, s[10:11]
.LBB570_621:
	s_or_b64 exec, exec, s[8:9]
	v_lshrrev_b16_e32 v6, 8, v7
	v_cmp_ne_u16_e32 vcc, 0, v6
	v_mov_b32_e32 v20, 0
	v_mov_b32_e32 v21, 0
	s_and_saveexec_b64 s[8:9], vcc
	s_cbranch_execz .LBB570_627
; %bb.622:
	s_movk_i32 s7, 0x80
	v_cmp_ne_u16_e32 vcc, s7, v6
	v_bfrev_b32_e32 v21, 1
	s_and_saveexec_b64 s[10:11], vcc
	s_cbranch_execz .LBB570_626
; %bb.623:
	s_movk_i32 s7, 0x7f
	v_and_b32_e32 v14, 0x7f, v6
	v_cmp_ne_u32_e32 vcc, s7, v14
	v_mov_b32_e32 v21, 0x7f800001
	s_and_saveexec_b64 s[12:13], vcc
	s_cbranch_execz .LBB570_625
; %bb.624:
	v_and_b32_e32 v21, 7, v6
	v_ffbh_u32_e32 v24, v21
	v_min_u32_e32 v26, 32, v24
	v_subrev_u32_e32 v24, 28, v26
	v_lshlrev_b64 v[24:25], v24, v[6:7]
	v_lshrrev_b32_e32 v23, 3, v14
	v_sub_u32_e32 v6, 29, v26
	v_and_b32_e32 v24, 7, v24
	v_cmp_gt_u32_e32 vcc, 8, v14
	v_cndmask_b32_e32 v6, v23, v6, vcc
	v_cndmask_b32_e32 v14, v21, v24, vcc
	v_lshlrev_b32_e32 v21, 16, v7
	v_bfrev_b32_e32 v23, 60
	v_lshlrev_b32_e32 v14, 20, v14
	v_and_b32_e32 v21, 0x80000000, v21
	v_lshl_add_u32 v6, v6, 23, v23
	v_or3_b32 v21, v21, v6, v14
.LBB570_625:
	s_or_b64 exec, exec, s[12:13]
.LBB570_626:
	s_or_b64 exec, exec, s[10:11]
.LBB570_627:
	s_or_b64 exec, exec, s[8:9]
	s_movk_i32 s7, 0xff
	v_and_b32_sdwa v14, v7, s7 dst_sel:DWORD dst_unused:UNUSED_PAD src0_sel:WORD_1 src1_sel:DWORD
	v_lshrrev_b32_e32 v6, 16, v7
	v_cmp_ne_u16_e32 vcc, 0, v14
	s_and_saveexec_b64 s[8:9], vcc
	s_cbranch_execz .LBB570_633
; %bb.628:
	s_movk_i32 s7, 0x80
	v_cmp_ne_u16_e32 vcc, s7, v14
	v_bfrev_b32_e32 v20, 1
	s_and_saveexec_b64 s[10:11], vcc
	s_cbranch_execz .LBB570_632
; %bb.629:
	v_bfe_u32 v14, v7, 16, 7
	s_movk_i32 s7, 0x7f
	v_cmp_ne_u32_e32 vcc, s7, v14
	v_mov_b32_e32 v20, 0x7f800001
	s_and_saveexec_b64 s[12:13], vcc
	s_cbranch_execz .LBB570_631
; %bb.630:
	v_and_b32_e32 v20, 7, v6
	v_ffbh_u32_e32 v24, v20
	v_min_u32_e32 v26, 32, v24
	v_subrev_u32_e32 v24, 28, v26
	v_lshlrev_b64 v[24:25], v24, v[6:7]
	v_and_b32_e32 v24, 7, v24
	v_cmp_gt_u32_e32 vcc, 8, v14
	v_lshrrev_b32_e32 v23, 3, v14
	v_sub_u32_e32 v6, 29, v26
	v_cndmask_b32_e32 v14, v20, v24, vcc
	v_mov_b32_e32 v20, 24
	v_cndmask_b32_e32 v6, v23, v6, vcc
	v_lshlrev_b32_sdwa v20, v20, v7 dst_sel:DWORD dst_unused:UNUSED_PAD src0_sel:DWORD src1_sel:WORD_1
	v_bfrev_b32_e32 v23, 60
	v_lshlrev_b32_e32 v14, 20, v14
	v_and_b32_e32 v20, 0x80000000, v20
	v_lshl_add_u32 v6, v6, 23, v23
	v_or3_b32 v20, v20, v6, v14
.LBB570_631:
	s_or_b64 exec, exec, s[12:13]
.LBB570_632:
	s_or_b64 exec, exec, s[10:11]
.LBB570_633:
	s_or_b64 exec, exec, s[8:9]
	s_mov_b32 s7, 0xffffff
	v_cmp_lt_u32_e32 vcc, s7, v7
	v_mov_b32_e32 v14, 0
	v_mov_b32_e32 v23, 0
	s_and_saveexec_b64 s[8:9], vcc
	s_cbranch_execz .LBB570_639
; %bb.634:
	v_lshrrev_b32_e32 v6, 24, v7
	s_movk_i32 s7, 0x80
	v_cmp_ne_u32_e32 vcc, s7, v6
	v_bfrev_b32_e32 v23, 1
	s_and_saveexec_b64 s[10:11], vcc
	s_cbranch_execz .LBB570_638
; %bb.635:
	v_bfe_u32 v7, v7, 24, 7
	s_movk_i32 s7, 0x7f
	v_cmp_ne_u32_e32 vcc, s7, v7
	v_mov_b32_e32 v23, 0x7f800001
	s_and_saveexec_b64 s[12:13], vcc
	s_cbranch_execz .LBB570_637
; %bb.636:
	v_and_b32_e32 v23, 7, v6
	v_ffbh_u32_e32 v24, v23
	v_min_u32_e32 v27, 32, v24
	v_subrev_u32_e32 v24, 28, v27
	v_lshlrev_b64 v[24:25], v24, v[6:7]
	v_lshrrev_b32_e32 v26, 3, v7
	v_sub_u32_e32 v25, 29, v27
	v_and_b32_e32 v24, 7, v24
	v_cmp_gt_u32_e32 vcc, 8, v7
	v_cndmask_b32_e32 v7, v26, v25, vcc
	v_cndmask_b32_e32 v23, v23, v24, vcc
	v_lshlrev_b32_e32 v6, 24, v6
	v_bfrev_b32_e32 v24, 60
	v_lshlrev_b32_e32 v23, 20, v23
	v_and_b32_e32 v6, 0x80000000, v6
	v_lshl_add_u32 v7, v7, 23, v24
	v_or3_b32 v23, v6, v7, v23
.LBB570_637:
	s_or_b64 exec, exec, s[12:13]
.LBB570_638:
	s_or_b64 exec, exec, s[10:11]
.LBB570_639:
	s_or_b64 exec, exec, s[8:9]
	v_cvt_pkrtz_f16_f32 v6, v19, v16
	v_cvt_pkrtz_f16_f32 v7, v15, v18
	ds_read_b128 v[24:27], v22 offset:4096
	v_cmp_ne_u16_sdwa s[10:11], v8, v14 src0_sel:BYTE_0 src1_sel:DWORD
	s_waitcnt lgkmcnt(0)
	v_mfma_f32_16x16x16f16 v[10:13], v[6:7], v[24:25], v[10:13]
	v_cvt_pkrtz_f16_f32 v6, v17, v21
	v_cvt_pkrtz_f16_f32 v7, v20, v23
	s_nop 1
	v_mfma_f32_16x16x16f16 v[10:13], v[6:7], v[26:27], v[10:13]
	s_and_saveexec_b64 s[8:9], s[10:11]
	s_cbranch_execz .LBB570_645
; %bb.640:
	s_movk_i32 s7, 0x80
	v_cmp_ne_u16_sdwa s[12:13], v8, s7 src0_sel:BYTE_0 src1_sel:DWORD
	v_bfrev_b32_e32 v14, 1
	s_and_saveexec_b64 s[10:11], s[12:13]
	s_cbranch_execz .LBB570_644
; %bb.641:
	s_movk_i32 s7, 0x7f
	v_and_b32_e32 v6, 0x7f, v8
	v_cmp_ne_u32_e32 vcc, s7, v6
	v_mov_b32_e32 v14, 0x7f800001
	s_and_saveexec_b64 s[12:13], vcc
	s_cbranch_execz .LBB570_643
; %bb.642:
	v_and_b32_e32 v7, 7, v8
	v_ffbh_u32_e32 v14, v7
	v_min_u32_e32 v17, 32, v14
	v_subrev_u32_e32 v14, 28, v17
	v_lshlrev_b64 v[14:15], v14, v[8:9]
	v_lshrrev_b32_e32 v16, 3, v6
	v_sub_u32_e32 v15, 29, v17
	v_and_b32_e32 v14, 7, v14
	v_cmp_gt_u32_e32 vcc, 8, v6
	v_cndmask_b32_e32 v6, v16, v15, vcc
	v_cndmask_b32_e32 v7, v7, v14, vcc
	v_lshlrev_b32_e32 v14, 24, v8
	v_bfrev_b32_e32 v15, 60
	v_lshlrev_b32_e32 v7, 20, v7
	v_and_b32_e32 v14, 0x80000000, v14
	v_lshl_add_u32 v6, v6, 23, v15
	v_or3_b32 v14, v14, v6, v7
.LBB570_643:
	s_or_b64 exec, exec, s[12:13]
.LBB570_644:
	s_or_b64 exec, exec, s[10:11]
.LBB570_645:
	s_or_b64 exec, exec, s[8:9]
	v_lshrrev_b16_e32 v6, 8, v8
	v_cmp_ne_u16_e32 vcc, 0, v6
	v_mov_b32_e32 v7, 0
	v_mov_b32_e32 v16, 0
	s_and_saveexec_b64 s[8:9], vcc
	s_cbranch_execz .LBB570_651
; %bb.646:
	s_movk_i32 s7, 0x80
	v_cmp_ne_u16_e32 vcc, s7, v6
	v_bfrev_b32_e32 v16, 1
	s_and_saveexec_b64 s[10:11], vcc
	s_cbranch_execz .LBB570_650
; %bb.647:
	s_movk_i32 s7, 0x7f
	v_and_b32_e32 v15, 0x7f, v6
	v_cmp_ne_u32_e32 vcc, s7, v15
	v_mov_b32_e32 v16, 0x7f800001
	s_and_saveexec_b64 s[12:13], vcc
	s_cbranch_execz .LBB570_649
; %bb.648:
	v_and_b32_e32 v18, 7, v6
	v_ffbh_u32_e32 v16, v18
	v_min_u32_e32 v20, 32, v16
	v_subrev_u32_e32 v16, 28, v20
	v_lshlrev_b64 v[16:17], v16, v[6:7]
	v_lshrrev_b32_e32 v19, 3, v15
	v_sub_u32_e32 v6, 29, v20
	v_and_b32_e32 v16, 7, v16
	v_cmp_gt_u32_e32 vcc, 8, v15
	v_cndmask_b32_e32 v6, v19, v6, vcc
	v_cndmask_b32_e32 v15, v18, v16, vcc
	v_lshlrev_b32_e32 v16, 16, v8
	v_bfrev_b32_e32 v17, 60
	v_lshlrev_b32_e32 v15, 20, v15
	v_and_b32_e32 v16, 0x80000000, v16
	v_lshl_add_u32 v6, v6, 23, v17
	v_or3_b32 v16, v16, v6, v15
.LBB570_649:
	s_or_b64 exec, exec, s[12:13]
.LBB570_650:
	s_or_b64 exec, exec, s[10:11]
.LBB570_651:
	s_or_b64 exec, exec, s[8:9]
	s_movk_i32 s7, 0xff
	v_and_b32_sdwa v15, v8, s7 dst_sel:DWORD dst_unused:UNUSED_PAD src0_sel:WORD_1 src1_sel:DWORD
	v_lshrrev_b32_e32 v6, 16, v8
	v_cmp_ne_u16_e32 vcc, 0, v15
	s_and_saveexec_b64 s[8:9], vcc
	s_cbranch_execz .LBB570_657
; %bb.652:
	s_movk_i32 s7, 0x80
	v_cmp_ne_u16_e32 vcc, s7, v15
	v_bfrev_b32_e32 v7, 1
	s_and_saveexec_b64 s[10:11], vcc
	s_cbranch_execz .LBB570_656
; %bb.653:
	v_bfe_u32 v15, v8, 16, 7
	s_movk_i32 s7, 0x7f
	v_cmp_ne_u32_e32 vcc, s7, v15
	v_mov_b32_e32 v7, 0x7f800001
	s_and_saveexec_b64 s[12:13], vcc
	s_cbranch_execz .LBB570_655
; %bb.654:
	v_and_b32_e32 v17, 7, v6
	v_ffbh_u32_e32 v7, v17
	v_min_u32_e32 v19, 32, v7
	v_subrev_u32_e32 v7, 28, v19
	v_lshlrev_b64 v[6:7], v7, v[6:7]
	v_lshrrev_b32_e32 v18, 3, v15
	v_sub_u32_e32 v7, 29, v19
	v_and_b32_e32 v6, 7, v6
	v_cmp_gt_u32_e32 vcc, 8, v15
	v_mov_b32_e32 v15, 24
	v_cndmask_b32_e32 v7, v18, v7, vcc
	v_cndmask_b32_e32 v6, v17, v6, vcc
	v_lshlrev_b32_sdwa v15, v15, v8 dst_sel:DWORD dst_unused:UNUSED_PAD src0_sel:DWORD src1_sel:WORD_1
	v_bfrev_b32_e32 v17, 60
	v_lshlrev_b32_e32 v6, 20, v6
	v_and_b32_e32 v15, 0x80000000, v15
	v_lshl_add_u32 v7, v7, 23, v17
	v_or3_b32 v7, v15, v7, v6
.LBB570_655:
	s_or_b64 exec, exec, s[12:13]
.LBB570_656:
	s_or_b64 exec, exec, s[10:11]
.LBB570_657:
	s_or_b64 exec, exec, s[8:9]
	s_mov_b32 s7, 0xffffff
	v_cmp_lt_u32_e32 vcc, s7, v8
	v_mov_b32_e32 v17, 0
	v_mov_b32_e32 v18, 0
	s_and_saveexec_b64 s[8:9], vcc
	s_cbranch_execz .LBB570_663
; %bb.658:
	v_lshrrev_b32_e32 v6, 24, v8
	s_movk_i32 s7, 0x80
	v_cmp_ne_u32_e32 vcc, s7, v6
	v_bfrev_b32_e32 v18, 1
	s_and_saveexec_b64 s[10:11], vcc
	s_cbranch_execz .LBB570_662
; %bb.659:
	v_bfe_u32 v8, v8, 24, 7
	s_movk_i32 s7, 0x7f
	v_cmp_ne_u32_e32 vcc, s7, v8
	v_mov_b32_e32 v18, 0x7f800001
	s_and_saveexec_b64 s[12:13], vcc
	s_cbranch_execz .LBB570_661
; %bb.660:
	v_and_b32_e32 v15, 7, v6
	v_ffbh_u32_e32 v18, v15
	v_min_u32_e32 v21, 32, v18
	v_subrev_u32_e32 v18, 28, v21
	v_lshlrev_b64 v[18:19], v18, v[6:7]
	v_lshrrev_b32_e32 v20, 3, v8
	v_sub_u32_e32 v19, 29, v21
	v_and_b32_e32 v18, 7, v18
	v_cmp_gt_u32_e32 vcc, 8, v8
	v_cndmask_b32_e32 v8, v20, v19, vcc
	v_cndmask_b32_e32 v15, v15, v18, vcc
	v_lshlrev_b32_e32 v6, 24, v6
	v_bfrev_b32_e32 v18, 60
	v_lshlrev_b32_e32 v15, 20, v15
	v_and_b32_e32 v6, 0x80000000, v6
	v_lshl_add_u32 v8, v8, 23, v18
	v_or3_b32 v18, v6, v8, v15
.LBB570_661:
	s_or_b64 exec, exec, s[12:13]
.LBB570_662:
	s_or_b64 exec, exec, s[10:11]
.LBB570_663:
	s_or_b64 exec, exec, s[8:9]
	v_cmp_ne_u16_sdwa s[10:11], v9, v17 src0_sel:BYTE_0 src1_sel:DWORD
	s_and_saveexec_b64 s[8:9], s[10:11]
	s_cbranch_execz .LBB570_669
; %bb.664:
	s_movk_i32 s7, 0x80
	v_cmp_ne_u16_sdwa s[12:13], v9, s7 src0_sel:BYTE_0 src1_sel:DWORD
	v_bfrev_b32_e32 v17, 1
	s_and_saveexec_b64 s[10:11], s[12:13]
	s_cbranch_execz .LBB570_668
; %bb.665:
	s_movk_i32 s7, 0x7f
	v_and_b32_e32 v6, 0x7f, v9
	v_cmp_ne_u32_e32 vcc, s7, v6
	v_mov_b32_e32 v17, 0x7f800001
	s_and_saveexec_b64 s[12:13], vcc
	s_cbranch_execz .LBB570_667
; %bb.666:
	v_and_b32_e32 v15, 7, v9
	v_ffbh_u32_e32 v19, v15
	v_min_u32_e32 v19, 32, v19
	v_mov_b32_e32 v8, v9
	v_subrev_u32_e32 v20, 28, v19
	v_lshlrev_b64 v[20:21], v20, v[8:9]
	v_lshrrev_b32_e32 v17, 3, v6
	v_sub_u32_e32 v8, 29, v19
	v_and_b32_e32 v19, 7, v20
	v_cmp_gt_u32_e32 vcc, 8, v6
	v_cndmask_b32_e32 v6, v17, v8, vcc
	v_cndmask_b32_e32 v8, v15, v19, vcc
	v_lshlrev_b32_e32 v15, 24, v9
	v_bfrev_b32_e32 v17, 60
	v_lshlrev_b32_e32 v8, 20, v8
	v_and_b32_e32 v15, 0x80000000, v15
	v_lshl_add_u32 v6, v6, 23, v17
	v_or3_b32 v17, v15, v6, v8
.LBB570_667:
	s_or_b64 exec, exec, s[12:13]
.LBB570_668:
	s_or_b64 exec, exec, s[10:11]
.LBB570_669:
	s_or_b64 exec, exec, s[8:9]
	v_lshrrev_b16_e32 v6, 8, v9
	v_cmp_ne_u16_e32 vcc, 0, v6
	v_mov_b32_e32 v8, 0
	v_mov_b32_e32 v19, 0
	s_and_saveexec_b64 s[8:9], vcc
	s_cbranch_execz .LBB570_675
; %bb.670:
	s_movk_i32 s7, 0x80
	v_cmp_ne_u16_e32 vcc, s7, v6
	v_bfrev_b32_e32 v19, 1
	s_and_saveexec_b64 s[10:11], vcc
	s_cbranch_execz .LBB570_674
; %bb.671:
	s_movk_i32 s7, 0x7f
	v_and_b32_e32 v15, 0x7f, v6
	v_cmp_ne_u32_e32 vcc, s7, v15
	v_mov_b32_e32 v19, 0x7f800001
	s_and_saveexec_b64 s[12:13], vcc
	s_cbranch_execz .LBB570_673
; %bb.672:
	v_and_b32_e32 v19, 7, v6
	v_ffbh_u32_e32 v20, v19
	v_min_u32_e32 v24, 32, v20
	v_subrev_u32_e32 v20, 28, v24
	v_lshlrev_b64 v[20:21], v20, v[6:7]
	v_lshrrev_b32_e32 v23, 3, v15
	v_sub_u32_e32 v6, 29, v24
	v_and_b32_e32 v20, 7, v20
	v_cmp_gt_u32_e32 vcc, 8, v15
	v_cndmask_b32_e32 v6, v23, v6, vcc
	v_cndmask_b32_e32 v15, v19, v20, vcc
	v_lshlrev_b32_e32 v19, 16, v9
	v_bfrev_b32_e32 v20, 60
	v_lshlrev_b32_e32 v15, 20, v15
	v_and_b32_e32 v19, 0x80000000, v19
	v_lshl_add_u32 v6, v6, 23, v20
	v_or3_b32 v19, v19, v6, v15
.LBB570_673:
	s_or_b64 exec, exec, s[12:13]
.LBB570_674:
	s_or_b64 exec, exec, s[10:11]
.LBB570_675:
	s_or_b64 exec, exec, s[8:9]
	s_movk_i32 s7, 0xff
	v_and_b32_sdwa v15, v9, s7 dst_sel:DWORD dst_unused:UNUSED_PAD src0_sel:WORD_1 src1_sel:DWORD
	v_lshrrev_b32_e32 v6, 16, v9
	v_cmp_ne_u16_e32 vcc, 0, v15
	s_and_saveexec_b64 s[8:9], vcc
	s_cbranch_execz .LBB570_681
; %bb.676:
	s_movk_i32 s7, 0x80
	v_cmp_ne_u16_e32 vcc, s7, v15
	v_bfrev_b32_e32 v8, 1
	s_and_saveexec_b64 s[10:11], vcc
	s_cbranch_execz .LBB570_680
; %bb.677:
	v_bfe_u32 v15, v9, 16, 7
	s_movk_i32 s7, 0x7f
	v_cmp_ne_u32_e32 vcc, s7, v15
	v_mov_b32_e32 v8, 0x7f800001
	s_and_saveexec_b64 s[12:13], vcc
	s_cbranch_execz .LBB570_679
; %bb.678:
	v_and_b32_e32 v8, 7, v6
	v_ffbh_u32_e32 v20, v8
	v_min_u32_e32 v24, 32, v20
	v_subrev_u32_e32 v20, 28, v24
	v_lshlrev_b64 v[20:21], v20, v[6:7]
	v_lshrrev_b32_e32 v23, 3, v15
	v_sub_u32_e32 v6, 29, v24
	v_and_b32_e32 v20, 7, v20
	v_cmp_gt_u32_e32 vcc, 8, v15
	v_mov_b32_e32 v15, 24
	v_cndmask_b32_e32 v6, v23, v6, vcc
	v_cndmask_b32_e32 v8, v8, v20, vcc
	v_lshlrev_b32_sdwa v15, v15, v9 dst_sel:DWORD dst_unused:UNUSED_PAD src0_sel:DWORD src1_sel:WORD_1
	v_bfrev_b32_e32 v20, 60
	v_lshlrev_b32_e32 v8, 20, v8
	v_and_b32_e32 v15, 0x80000000, v15
	v_lshl_add_u32 v6, v6, 23, v20
	v_or3_b32 v8, v15, v6, v8
.LBB570_679:
	s_or_b64 exec, exec, s[12:13]
.LBB570_680:
	s_or_b64 exec, exec, s[10:11]
.LBB570_681:
	s_or_b64 exec, exec, s[8:9]
	s_mov_b32 s7, 0xffffff
	v_cmp_lt_u32_e32 vcc, s7, v9
	v_mov_b32_e32 v15, 0
	v_mov_b32_e32 v20, 0
	s_and_saveexec_b64 s[8:9], vcc
	s_cbranch_execz .LBB570_687
; %bb.682:
	v_lshrrev_b32_e32 v6, 24, v9
	s_movk_i32 s7, 0x80
	v_cmp_ne_u32_e32 vcc, s7, v6
	v_bfrev_b32_e32 v20, 1
	s_and_saveexec_b64 s[10:11], vcc
	s_cbranch_execz .LBB570_686
; %bb.683:
	v_bfe_u32 v9, v9, 24, 7
	s_movk_i32 s7, 0x7f
	v_cmp_ne_u32_e32 vcc, s7, v9
	v_mov_b32_e32 v20, 0x7f800001
	s_and_saveexec_b64 s[12:13], vcc
	s_cbranch_execz .LBB570_685
; %bb.684:
	v_and_b32_e32 v23, 7, v6
	v_ffbh_u32_e32 v20, v23
	v_min_u32_e32 v25, 32, v20
	v_subrev_u32_e32 v20, 28, v25
	v_lshlrev_b64 v[20:21], v20, v[6:7]
	v_lshrrev_b32_e32 v24, 3, v9
	v_sub_u32_e32 v21, 29, v25
	v_and_b32_e32 v20, 7, v20
	v_cmp_gt_u32_e32 vcc, 8, v9
	v_cndmask_b32_e32 v9, v24, v21, vcc
	v_cndmask_b32_e32 v20, v23, v20, vcc
	v_lshlrev_b32_e32 v6, 24, v6
	v_bfrev_b32_e32 v21, 60
	v_lshlrev_b32_e32 v20, 20, v20
	v_and_b32_e32 v6, 0x80000000, v6
	v_lshl_add_u32 v9, v9, 23, v21
	v_or3_b32 v20, v6, v9, v20
.LBB570_685:
	s_or_b64 exec, exec, s[12:13]
.LBB570_686:
	s_or_b64 exec, exec, s[10:11]
.LBB570_687:
	s_or_b64 exec, exec, s[8:9]
	v_cvt_pkrtz_f16_f32 v6, v14, v16
	v_cvt_pkrtz_f16_f32 v7, v7, v18
	ds_read_b128 v[24:27], v22 offset:4112
	s_waitcnt vmcnt(0)
	v_cmp_ne_u16_sdwa s[10:11], v2, v15 src0_sel:BYTE_0 src1_sel:DWORD
	s_waitcnt lgkmcnt(0)
	v_mfma_f32_16x16x16f16 v[10:13], v[6:7], v[24:25], v[10:13]
	v_cvt_pkrtz_f16_f32 v6, v17, v19
	v_cvt_pkrtz_f16_f32 v7, v8, v20
	s_nop 1
	v_mfma_f32_16x16x16f16 v[6:9], v[6:7], v[26:27], v[10:13]
	s_and_saveexec_b64 s[8:9], s[10:11]
	s_cbranch_execz .LBB570_693
; %bb.688:
	s_movk_i32 s7, 0x80
	v_cmp_ne_u16_sdwa s[12:13], v2, s7 src0_sel:BYTE_0 src1_sel:DWORD
	v_bfrev_b32_e32 v15, 1
	s_and_saveexec_b64 s[10:11], s[12:13]
	s_cbranch_execz .LBB570_692
; %bb.689:
	s_movk_i32 s7, 0x7f
	v_and_b32_e32 v10, 0x7f, v2
	v_cmp_ne_u32_e32 vcc, s7, v10
	v_mov_b32_e32 v15, 0x7f800001
	s_and_saveexec_b64 s[12:13], vcc
	s_cbranch_execz .LBB570_691
; %bb.690:
	v_and_b32_e32 v11, 7, v2
	v_ffbh_u32_e32 v12, v11
	v_min_u32_e32 v15, 32, v12
	v_subrev_u32_e32 v12, 28, v15
	v_lshlrev_b64 v[12:13], v12, v[2:3]
	v_lshrrev_b32_e32 v14, 3, v10
	v_sub_u32_e32 v13, 29, v15
	v_and_b32_e32 v12, 7, v12
	v_cmp_gt_u32_e32 vcc, 8, v10
	v_cndmask_b32_e32 v10, v14, v13, vcc
	v_cndmask_b32_e32 v11, v11, v12, vcc
	v_lshlrev_b32_e32 v12, 24, v2
	v_bfrev_b32_e32 v13, 60
	v_lshlrev_b32_e32 v11, 20, v11
	v_and_b32_e32 v12, 0x80000000, v12
	v_lshl_add_u32 v10, v10, 23, v13
	v_or3_b32 v15, v12, v10, v11
.LBB570_691:
	s_or_b64 exec, exec, s[12:13]
.LBB570_692:
	s_or_b64 exec, exec, s[10:11]
.LBB570_693:
	s_or_b64 exec, exec, s[8:9]
	s_nop 3
	v_lshrrev_b16_e32 v10, 8, v2
	v_cmp_ne_u16_e32 vcc, 0, v10
	v_mov_b32_e32 v11, 0
	v_mov_b32_e32 v12, 0
	s_and_saveexec_b64 s[8:9], vcc
	s_cbranch_execz .LBB570_699
; %bb.694:
	s_movk_i32 s7, 0x80
	v_cmp_ne_u16_e32 vcc, s7, v10
	v_bfrev_b32_e32 v12, 1
	s_and_saveexec_b64 s[10:11], vcc
	s_cbranch_execz .LBB570_698
; %bb.695:
	s_movk_i32 s7, 0x7f
	v_and_b32_e32 v13, 0x7f, v10
	v_cmp_ne_u32_e32 vcc, s7, v13
	v_mov_b32_e32 v12, 0x7f800001
	s_and_saveexec_b64 s[12:13], vcc
	s_cbranch_execz .LBB570_697
; %bb.696:
	v_and_b32_e32 v12, 7, v10
	v_ffbh_u32_e32 v16, v12
	v_min_u32_e32 v18, 32, v16
	v_subrev_u32_e32 v16, 28, v18
	v_lshlrev_b64 v[16:17], v16, v[10:11]
	v_lshrrev_b32_e32 v14, 3, v13
	v_sub_u32_e32 v10, 29, v18
	v_and_b32_e32 v16, 7, v16
	v_cmp_gt_u32_e32 vcc, 8, v13
	v_cndmask_b32_e32 v10, v14, v10, vcc
	v_cndmask_b32_e32 v12, v12, v16, vcc
	v_lshlrev_b32_e32 v13, 16, v2
	v_bfrev_b32_e32 v14, 60
	v_lshlrev_b32_e32 v12, 20, v12
	v_and_b32_e32 v13, 0x80000000, v13
	v_lshl_add_u32 v10, v10, 23, v14
	v_or3_b32 v12, v13, v10, v12
.LBB570_697:
	s_or_b64 exec, exec, s[12:13]
.LBB570_698:
	s_or_b64 exec, exec, s[10:11]
.LBB570_699:
	s_or_b64 exec, exec, s[8:9]
	s_movk_i32 s7, 0xff
	v_and_b32_sdwa v13, v2, s7 dst_sel:DWORD dst_unused:UNUSED_PAD src0_sel:WORD_1 src1_sel:DWORD
	v_lshrrev_b32_e32 v10, 16, v2
	v_cmp_ne_u16_e32 vcc, 0, v13
	s_and_saveexec_b64 s[8:9], vcc
	s_cbranch_execz .LBB570_705
; %bb.700:
	s_movk_i32 s7, 0x80
	v_cmp_ne_u16_e32 vcc, s7, v13
	v_bfrev_b32_e32 v11, 1
	s_and_saveexec_b64 s[10:11], vcc
	s_cbranch_execz .LBB570_704
; %bb.701:
	v_bfe_u32 v13, v2, 16, 7
	s_movk_i32 s7, 0x7f
	v_cmp_ne_u32_e32 vcc, s7, v13
	v_mov_b32_e32 v11, 0x7f800001
	s_and_saveexec_b64 s[12:13], vcc
	s_cbranch_execz .LBB570_703
; %bb.702:
	v_and_b32_e32 v14, 7, v10
	v_ffbh_u32_e32 v11, v14
	v_min_u32_e32 v17, 32, v11
	v_subrev_u32_e32 v11, 28, v17
	v_lshlrev_b64 v[10:11], v11, v[10:11]
	v_lshrrev_b32_e32 v16, 3, v13
	v_sub_u32_e32 v11, 29, v17
	v_and_b32_e32 v10, 7, v10
	v_cmp_gt_u32_e32 vcc, 8, v13
	v_mov_b32_e32 v13, 24
	v_cndmask_b32_e32 v11, v16, v11, vcc
	v_cndmask_b32_e32 v10, v14, v10, vcc
	v_lshlrev_b32_sdwa v13, v13, v2 dst_sel:DWORD dst_unused:UNUSED_PAD src0_sel:DWORD src1_sel:WORD_1
	v_bfrev_b32_e32 v14, 60
	v_lshlrev_b32_e32 v10, 20, v10
	v_and_b32_e32 v13, 0x80000000, v13
	v_lshl_add_u32 v11, v11, 23, v14
	v_or3_b32 v11, v13, v11, v10
.LBB570_703:
	s_or_b64 exec, exec, s[12:13]
.LBB570_704:
	s_or_b64 exec, exec, s[10:11]
.LBB570_705:
	s_or_b64 exec, exec, s[8:9]
	s_mov_b32 s7, 0xffffff
	v_cmp_lt_u32_e32 vcc, s7, v2
	v_mov_b32_e32 v13, 0
	v_mov_b32_e32 v14, 0
	s_and_saveexec_b64 s[8:9], vcc
	s_cbranch_execz .LBB570_711
; %bb.706:
	v_lshrrev_b32_e32 v10, 24, v2
	s_movk_i32 s7, 0x80
	v_cmp_ne_u32_e32 vcc, s7, v10
	v_bfrev_b32_e32 v14, 1
	s_and_saveexec_b64 s[10:11], vcc
	s_cbranch_execz .LBB570_710
; %bb.707:
	v_bfe_u32 v2, v2, 24, 7
	s_movk_i32 s7, 0x7f
	v_cmp_ne_u32_e32 vcc, s7, v2
	v_mov_b32_e32 v14, 0x7f800001
	s_and_saveexec_b64 s[12:13], vcc
	s_cbranch_execz .LBB570_709
; %bb.708:
	v_and_b32_e32 v14, 7, v10
	v_ffbh_u32_e32 v16, v14
	v_min_u32_e32 v19, 32, v16
	v_subrev_u32_e32 v16, 28, v19
	v_lshlrev_b64 v[16:17], v16, v[10:11]
	v_lshrrev_b32_e32 v18, 3, v2
	v_sub_u32_e32 v17, 29, v19
	v_and_b32_e32 v16, 7, v16
	v_cmp_gt_u32_e32 vcc, 8, v2
	v_cndmask_b32_e32 v2, v18, v17, vcc
	v_cndmask_b32_e32 v14, v14, v16, vcc
	v_lshlrev_b32_e32 v10, 24, v10
	v_bfrev_b32_e32 v16, 60
	v_lshlrev_b32_e32 v14, 20, v14
	v_and_b32_e32 v10, 0x80000000, v10
	v_lshl_add_u32 v2, v2, 23, v16
	v_or3_b32 v14, v10, v2, v14
.LBB570_709:
	s_or_b64 exec, exec, s[12:13]
.LBB570_710:
	s_or_b64 exec, exec, s[10:11]
.LBB570_711:
	s_or_b64 exec, exec, s[8:9]
	v_cmp_ne_u16_sdwa s[10:11], v3, v13 src0_sel:BYTE_0 src1_sel:DWORD
	s_and_saveexec_b64 s[8:9], s[10:11]
	s_cbranch_execz .LBB570_717
; %bb.712:
	s_movk_i32 s7, 0x80
	v_cmp_ne_u16_sdwa s[12:13], v3, s7 src0_sel:BYTE_0 src1_sel:DWORD
	v_bfrev_b32_e32 v13, 1
	s_and_saveexec_b64 s[10:11], s[12:13]
	s_cbranch_execz .LBB570_716
; %bb.713:
	s_movk_i32 s7, 0x7f
	v_and_b32_e32 v2, 0x7f, v3
	v_cmp_ne_u32_e32 vcc, s7, v2
	v_mov_b32_e32 v13, 0x7f800001
	s_and_saveexec_b64 s[12:13], vcc
	s_cbranch_execz .LBB570_715
; %bb.714:
	v_and_b32_e32 v13, 7, v3
	v_ffbh_u32_e32 v16, v13
	v_min_u32_e32 v19, 32, v16
	v_mov_b32_e32 v10, v3
	v_subrev_u32_e32 v16, 28, v19
	v_lshlrev_b64 v[16:17], v16, v[10:11]
	v_lshrrev_b32_e32 v18, 3, v2
	v_sub_u32_e32 v10, 29, v19
	v_and_b32_e32 v16, 7, v16
	v_cmp_gt_u32_e32 vcc, 8, v2
	v_cndmask_b32_e32 v2, v18, v10, vcc
	v_cndmask_b32_e32 v10, v13, v16, vcc
	v_lshlrev_b32_e32 v13, 24, v3
	v_bfrev_b32_e32 v16, 60
	v_lshlrev_b32_e32 v10, 20, v10
	v_and_b32_e32 v13, 0x80000000, v13
	v_lshl_add_u32 v2, v2, 23, v16
	v_or3_b32 v13, v13, v2, v10
.LBB570_715:
	s_or_b64 exec, exec, s[12:13]
.LBB570_716:
	s_or_b64 exec, exec, s[10:11]
.LBB570_717:
	s_or_b64 exec, exec, s[8:9]
	v_lshrrev_b16_e32 v2, 8, v3
	v_cmp_ne_u16_e32 vcc, 0, v2
	v_mov_b32_e32 v16, 0
	v_mov_b32_e32 v17, 0
	s_and_saveexec_b64 s[8:9], vcc
	s_cbranch_execz .LBB570_723
; %bb.718:
	s_movk_i32 s7, 0x80
	v_cmp_ne_u16_e32 vcc, s7, v2
	v_bfrev_b32_e32 v17, 1
	s_and_saveexec_b64 s[10:11], vcc
	s_cbranch_execz .LBB570_722
; %bb.719:
	s_movk_i32 s7, 0x7f
	v_and_b32_e32 v10, 0x7f, v2
	v_cmp_ne_u32_e32 vcc, s7, v10
	v_mov_b32_e32 v17, 0x7f800001
	s_and_saveexec_b64 s[12:13], vcc
	s_cbranch_execz .LBB570_721
; %bb.720:
	v_and_b32_e32 v17, 7, v2
	v_ffbh_u32_e32 v18, v17
	v_min_u32_e32 v21, 32, v18
	v_subrev_u32_e32 v18, 28, v21
	v_lshlrev_b64 v[18:19], v18, v[2:3]
	v_lshrrev_b32_e32 v20, 3, v10
	v_sub_u32_e32 v2, 29, v21
	v_and_b32_e32 v18, 7, v18
	v_cmp_gt_u32_e32 vcc, 8, v10
	v_cndmask_b32_e32 v2, v20, v2, vcc
	v_cndmask_b32_e32 v10, v17, v18, vcc
	v_lshlrev_b32_e32 v17, 16, v3
	v_bfrev_b32_e32 v18, 60
	v_lshlrev_b32_e32 v10, 20, v10
	v_and_b32_e32 v17, 0x80000000, v17
	v_lshl_add_u32 v2, v2, 23, v18
	v_or3_b32 v17, v17, v2, v10
.LBB570_721:
	s_or_b64 exec, exec, s[12:13]
.LBB570_722:
	s_or_b64 exec, exec, s[10:11]
.LBB570_723:
	s_or_b64 exec, exec, s[8:9]
	s_movk_i32 s7, 0xff
	v_and_b32_sdwa v10, v3, s7 dst_sel:DWORD dst_unused:UNUSED_PAD src0_sel:WORD_1 src1_sel:DWORD
	v_lshrrev_b32_e32 v2, 16, v3
	v_cmp_ne_u16_e32 vcc, 0, v10
	s_and_saveexec_b64 s[8:9], vcc
	s_cbranch_execz .LBB570_729
; %bb.724:
	s_movk_i32 s7, 0x80
	v_cmp_ne_u16_e32 vcc, s7, v10
	v_bfrev_b32_e32 v16, 1
	s_and_saveexec_b64 s[10:11], vcc
	s_cbranch_execz .LBB570_728
; %bb.725:
	v_bfe_u32 v10, v3, 16, 7
	s_movk_i32 s7, 0x7f
	v_cmp_ne_u32_e32 vcc, s7, v10
	v_mov_b32_e32 v16, 0x7f800001
	s_and_saveexec_b64 s[12:13], vcc
	s_cbranch_execz .LBB570_727
; %bb.726:
	v_and_b32_e32 v16, 7, v2
	v_ffbh_u32_e32 v18, v16
	v_min_u32_e32 v21, 32, v18
	v_subrev_u32_e32 v18, 28, v21
	v_lshlrev_b64 v[18:19], v18, v[2:3]
	v_and_b32_e32 v18, 7, v18
	v_cmp_gt_u32_e32 vcc, 8, v10
	v_lshrrev_b32_e32 v20, 3, v10
	v_sub_u32_e32 v2, 29, v21
	v_cndmask_b32_e32 v10, v16, v18, vcc
	v_mov_b32_e32 v16, 24
	v_cndmask_b32_e32 v2, v20, v2, vcc
	v_lshlrev_b32_sdwa v16, v16, v3 dst_sel:DWORD dst_unused:UNUSED_PAD src0_sel:DWORD src1_sel:WORD_1
	v_bfrev_b32_e32 v18, 60
	v_lshlrev_b32_e32 v10, 20, v10
	v_and_b32_e32 v16, 0x80000000, v16
	v_lshl_add_u32 v2, v2, 23, v18
	v_or3_b32 v16, v16, v2, v10
.LBB570_727:
	s_or_b64 exec, exec, s[12:13]
.LBB570_728:
	s_or_b64 exec, exec, s[10:11]
.LBB570_729:
	s_or_b64 exec, exec, s[8:9]
	s_mov_b32 s7, 0xffffff
	v_cmp_lt_u32_e32 vcc, s7, v3
	v_mov_b32_e32 v10, 0
	v_mov_b32_e32 v18, 0
	s_and_saveexec_b64 s[8:9], vcc
	s_cbranch_execz .LBB570_735
; %bb.730:
	v_lshrrev_b32_e32 v2, 24, v3
	s_movk_i32 s7, 0x80
	v_cmp_ne_u32_e32 vcc, s7, v2
	v_bfrev_b32_e32 v18, 1
	s_and_saveexec_b64 s[10:11], vcc
	s_cbranch_execz .LBB570_734
; %bb.731:
	v_bfe_u32 v3, v3, 24, 7
	s_movk_i32 s7, 0x7f
	v_cmp_ne_u32_e32 vcc, s7, v3
	v_mov_b32_e32 v18, 0x7f800001
	s_and_saveexec_b64 s[12:13], vcc
	s_cbranch_execz .LBB570_733
; %bb.732:
	v_and_b32_e32 v20, 7, v2
	v_ffbh_u32_e32 v18, v20
	v_min_u32_e32 v23, 32, v18
	v_subrev_u32_e32 v18, 28, v23
	v_lshlrev_b64 v[18:19], v18, v[2:3]
	v_lshrrev_b32_e32 v21, 3, v3
	v_sub_u32_e32 v19, 29, v23
	v_and_b32_e32 v18, 7, v18
	v_cmp_gt_u32_e32 vcc, 8, v3
	v_cndmask_b32_e32 v3, v21, v19, vcc
	v_cndmask_b32_e32 v18, v20, v18, vcc
	v_lshlrev_b32_e32 v2, 24, v2
	v_bfrev_b32_e32 v19, 60
	v_lshlrev_b32_e32 v18, 20, v18
	v_and_b32_e32 v2, 0x80000000, v2
	v_lshl_add_u32 v3, v3, 23, v19
	v_or3_b32 v18, v2, v3, v18
.LBB570_733:
	s_or_b64 exec, exec, s[12:13]
.LBB570_734:
	s_or_b64 exec, exec, s[10:11]
.LBB570_735:
	s_or_b64 exec, exec, s[8:9]
	v_cvt_pkrtz_f16_f32 v2, v15, v12
	v_cvt_pkrtz_f16_f32 v3, v11, v14
	ds_read_b128 v[24:27], v22 offset:6144
	v_cmp_ne_u16_sdwa s[10:11], v4, v10 src0_sel:BYTE_0 src1_sel:DWORD
	s_waitcnt lgkmcnt(0)
	v_mfma_f32_16x16x16f16 v[6:9], v[2:3], v[24:25], v[6:9]
	v_cvt_pkrtz_f16_f32 v2, v13, v17
	v_cvt_pkrtz_f16_f32 v3, v16, v18
	s_nop 1
	v_mfma_f32_16x16x16f16 v[6:9], v[2:3], v[26:27], v[6:9]
	s_and_saveexec_b64 s[8:9], s[10:11]
	s_cbranch_execz .LBB570_741
; %bb.736:
	s_movk_i32 s7, 0x80
	v_cmp_ne_u16_sdwa s[12:13], v4, s7 src0_sel:BYTE_0 src1_sel:DWORD
	v_bfrev_b32_e32 v10, 1
	s_and_saveexec_b64 s[10:11], s[12:13]
	s_cbranch_execz .LBB570_740
; %bb.737:
	s_movk_i32 s7, 0x7f
	v_and_b32_e32 v2, 0x7f, v4
	v_cmp_ne_u32_e32 vcc, s7, v2
	v_mov_b32_e32 v10, 0x7f800001
	s_and_saveexec_b64 s[12:13], vcc
	s_cbranch_execz .LBB570_739
; %bb.738:
	v_and_b32_e32 v3, 7, v4
	v_ffbh_u32_e32 v10, v3
	v_min_u32_e32 v13, 32, v10
	v_subrev_u32_e32 v10, 28, v13
	v_lshlrev_b64 v[10:11], v10, v[4:5]
	v_lshrrev_b32_e32 v12, 3, v2
	v_sub_u32_e32 v11, 29, v13
	v_and_b32_e32 v10, 7, v10
	v_cmp_gt_u32_e32 vcc, 8, v2
	v_cndmask_b32_e32 v2, v12, v11, vcc
	v_cndmask_b32_e32 v3, v3, v10, vcc
	v_lshlrev_b32_e32 v10, 24, v4
	v_bfrev_b32_e32 v11, 60
	v_lshlrev_b32_e32 v3, 20, v3
	v_and_b32_e32 v10, 0x80000000, v10
	v_lshl_add_u32 v2, v2, 23, v11
	v_or3_b32 v10, v10, v2, v3
.LBB570_739:
	s_or_b64 exec, exec, s[12:13]
.LBB570_740:
	s_or_b64 exec, exec, s[10:11]
.LBB570_741:
	s_or_b64 exec, exec, s[8:9]
	v_lshrrev_b16_e32 v2, 8, v4
	v_cmp_ne_u16_e32 vcc, 0, v2
	v_mov_b32_e32 v3, 0
	v_mov_b32_e32 v11, 0
	s_and_saveexec_b64 s[8:9], vcc
	s_cbranch_execz .LBB570_747
; %bb.742:
	s_movk_i32 s7, 0x80
	v_cmp_ne_u16_e32 vcc, s7, v2
	v_bfrev_b32_e32 v11, 1
	s_and_saveexec_b64 s[10:11], vcc
	s_cbranch_execz .LBB570_746
; %bb.743:
	s_movk_i32 s7, 0x7f
	v_and_b32_e32 v12, 0x7f, v2
	v_cmp_ne_u32_e32 vcc, s7, v12
	v_mov_b32_e32 v11, 0x7f800001
	s_and_saveexec_b64 s[12:13], vcc
	s_cbranch_execz .LBB570_745
; %bb.744:
	v_and_b32_e32 v11, 7, v2
	v_ffbh_u32_e32 v14, v11
	v_min_u32_e32 v16, 32, v14
	v_subrev_u32_e32 v14, 28, v16
	v_lshlrev_b64 v[14:15], v14, v[2:3]
	v_lshrrev_b32_e32 v13, 3, v12
	v_sub_u32_e32 v2, 29, v16
	v_and_b32_e32 v14, 7, v14
	v_cmp_gt_u32_e32 vcc, 8, v12
	v_cndmask_b32_e32 v2, v13, v2, vcc
	v_cndmask_b32_e32 v11, v11, v14, vcc
	v_lshlrev_b32_e32 v12, 16, v4
	v_bfrev_b32_e32 v13, 60
	v_lshlrev_b32_e32 v11, 20, v11
	v_and_b32_e32 v12, 0x80000000, v12
	v_lshl_add_u32 v2, v2, 23, v13
	v_or3_b32 v11, v12, v2, v11
.LBB570_745:
	s_or_b64 exec, exec, s[12:13]
.LBB570_746:
	s_or_b64 exec, exec, s[10:11]
.LBB570_747:
	s_or_b64 exec, exec, s[8:9]
	s_movk_i32 s7, 0xff
	v_and_b32_sdwa v12, v4, s7 dst_sel:DWORD dst_unused:UNUSED_PAD src0_sel:WORD_1 src1_sel:DWORD
	v_lshrrev_b32_e32 v2, 16, v4
	v_cmp_ne_u16_e32 vcc, 0, v12
	s_and_saveexec_b64 s[8:9], vcc
	s_cbranch_execz .LBB570_753
; %bb.748:
	s_movk_i32 s7, 0x80
	v_cmp_ne_u16_e32 vcc, s7, v12
	v_bfrev_b32_e32 v3, 1
	s_and_saveexec_b64 s[10:11], vcc
	s_cbranch_execz .LBB570_752
; %bb.749:
	v_bfe_u32 v12, v4, 16, 7
	s_movk_i32 s7, 0x7f
	v_cmp_ne_u32_e32 vcc, s7, v12
	v_mov_b32_e32 v3, 0x7f800001
	s_and_saveexec_b64 s[12:13], vcc
	s_cbranch_execz .LBB570_751
; %bb.750:
	v_and_b32_e32 v13, 7, v2
	v_ffbh_u32_e32 v3, v13
	v_min_u32_e32 v15, 32, v3
	v_subrev_u32_e32 v3, 28, v15
	v_lshlrev_b64 v[2:3], v3, v[2:3]
	v_lshrrev_b32_e32 v14, 3, v12
	v_sub_u32_e32 v3, 29, v15
	v_and_b32_e32 v2, 7, v2
	v_cmp_gt_u32_e32 vcc, 8, v12
	v_mov_b32_e32 v12, 24
	v_cndmask_b32_e32 v3, v14, v3, vcc
	v_cndmask_b32_e32 v2, v13, v2, vcc
	v_lshlrev_b32_sdwa v12, v12, v4 dst_sel:DWORD dst_unused:UNUSED_PAD src0_sel:DWORD src1_sel:WORD_1
	v_bfrev_b32_e32 v13, 60
	v_lshlrev_b32_e32 v2, 20, v2
	v_and_b32_e32 v12, 0x80000000, v12
	v_lshl_add_u32 v3, v3, 23, v13
	v_or3_b32 v3, v12, v3, v2
.LBB570_751:
	s_or_b64 exec, exec, s[12:13]
.LBB570_752:
	s_or_b64 exec, exec, s[10:11]
.LBB570_753:
	s_or_b64 exec, exec, s[8:9]
	s_mov_b32 s7, 0xffffff
	v_cmp_lt_u32_e32 vcc, s7, v4
	v_mov_b32_e32 v12, 0
	v_mov_b32_e32 v13, 0
	s_and_saveexec_b64 s[8:9], vcc
	s_cbranch_execz .LBB570_759
; %bb.754:
	v_lshrrev_b32_e32 v2, 24, v4
	s_movk_i32 s7, 0x80
	v_cmp_ne_u32_e32 vcc, s7, v2
	v_bfrev_b32_e32 v13, 1
	s_and_saveexec_b64 s[10:11], vcc
	s_cbranch_execz .LBB570_758
; %bb.755:
	v_bfe_u32 v4, v4, 24, 7
	s_movk_i32 s7, 0x7f
	v_cmp_ne_u32_e32 vcc, s7, v4
	v_mov_b32_e32 v13, 0x7f800001
	s_and_saveexec_b64 s[12:13], vcc
	s_cbranch_execz .LBB570_757
; %bb.756:
	v_and_b32_e32 v13, 7, v2
	v_ffbh_u32_e32 v14, v13
	v_min_u32_e32 v17, 32, v14
	v_subrev_u32_e32 v14, 28, v17
	v_lshlrev_b64 v[14:15], v14, v[2:3]
	v_lshrrev_b32_e32 v16, 3, v4
	v_sub_u32_e32 v15, 29, v17
	v_and_b32_e32 v14, 7, v14
	v_cmp_gt_u32_e32 vcc, 8, v4
	v_cndmask_b32_e32 v4, v16, v15, vcc
	v_cndmask_b32_e32 v13, v13, v14, vcc
	v_lshlrev_b32_e32 v2, 24, v2
	v_bfrev_b32_e32 v14, 60
	v_lshlrev_b32_e32 v13, 20, v13
	v_and_b32_e32 v2, 0x80000000, v2
	v_lshl_add_u32 v4, v4, 23, v14
	v_or3_b32 v13, v2, v4, v13
.LBB570_757:
	s_or_b64 exec, exec, s[12:13]
.LBB570_758:
	s_or_b64 exec, exec, s[10:11]
.LBB570_759:
	s_or_b64 exec, exec, s[8:9]
	v_cmp_ne_u16_sdwa s[10:11], v5, v12 src0_sel:BYTE_0 src1_sel:DWORD
	s_and_saveexec_b64 s[8:9], s[10:11]
	s_cbranch_execz .LBB570_765
; %bb.760:
	s_movk_i32 s7, 0x80
	v_cmp_ne_u16_sdwa s[12:13], v5, s7 src0_sel:BYTE_0 src1_sel:DWORD
	v_bfrev_b32_e32 v12, 1
	s_and_saveexec_b64 s[10:11], s[12:13]
	s_cbranch_execz .LBB570_764
; %bb.761:
	s_movk_i32 s7, 0x7f
	v_and_b32_e32 v2, 0x7f, v5
	v_cmp_ne_u32_e32 vcc, s7, v2
	v_mov_b32_e32 v12, 0x7f800001
	s_and_saveexec_b64 s[12:13], vcc
	s_cbranch_execz .LBB570_763
; %bb.762:
	v_and_b32_e32 v12, 7, v5
	v_ffbh_u32_e32 v14, v12
	v_min_u32_e32 v17, 32, v14
	v_mov_b32_e32 v4, v5
	v_subrev_u32_e32 v14, 28, v17
	v_lshlrev_b64 v[14:15], v14, v[4:5]
	v_lshrrev_b32_e32 v16, 3, v2
	v_sub_u32_e32 v4, 29, v17
	v_and_b32_e32 v14, 7, v14
	v_cmp_gt_u32_e32 vcc, 8, v2
	v_cndmask_b32_e32 v2, v16, v4, vcc
	v_cndmask_b32_e32 v4, v12, v14, vcc
	v_lshlrev_b32_e32 v12, 24, v5
	v_bfrev_b32_e32 v14, 60
	v_lshlrev_b32_e32 v4, 20, v4
	v_and_b32_e32 v12, 0x80000000, v12
	v_lshl_add_u32 v2, v2, 23, v14
	v_or3_b32 v12, v12, v2, v4
.LBB570_763:
	s_or_b64 exec, exec, s[12:13]
.LBB570_764:
	s_or_b64 exec, exec, s[10:11]
.LBB570_765:
	s_or_b64 exec, exec, s[8:9]
	v_lshrrev_b16_e32 v2, 8, v5
	v_cmp_ne_u16_e32 vcc, 0, v2
	v_mov_b32_e32 v4, 0
	v_mov_b32_e32 v14, 0
	s_and_saveexec_b64 s[8:9], vcc
	s_cbranch_execz .LBB570_771
; %bb.766:
	s_movk_i32 s7, 0x80
	v_cmp_ne_u16_e32 vcc, s7, v2
	v_bfrev_b32_e32 v14, 1
	s_and_saveexec_b64 s[10:11], vcc
	s_cbranch_execz .LBB570_770
; %bb.767:
	s_movk_i32 s7, 0x7f
	v_and_b32_e32 v15, 0x7f, v2
	v_cmp_ne_u32_e32 vcc, s7, v15
	v_mov_b32_e32 v14, 0x7f800001
	s_and_saveexec_b64 s[12:13], vcc
	s_cbranch_execz .LBB570_769
; %bb.768:
	v_and_b32_e32 v14, 7, v2
	v_ffbh_u32_e32 v16, v14
	v_min_u32_e32 v19, 32, v16
	v_subrev_u32_e32 v16, 28, v19
	v_lshlrev_b64 v[16:17], v16, v[2:3]
	v_lshrrev_b32_e32 v18, 3, v15
	v_sub_u32_e32 v2, 29, v19
	v_and_b32_e32 v16, 7, v16
	v_cmp_gt_u32_e32 vcc, 8, v15
	v_cndmask_b32_e32 v2, v18, v2, vcc
	v_cndmask_b32_e32 v14, v14, v16, vcc
	v_lshlrev_b32_e32 v15, 16, v5
	v_bfrev_b32_e32 v16, 60
	v_lshlrev_b32_e32 v14, 20, v14
	v_and_b32_e32 v15, 0x80000000, v15
	v_lshl_add_u32 v2, v2, 23, v16
	v_or3_b32 v14, v15, v2, v14
.LBB570_769:
	s_or_b64 exec, exec, s[12:13]
.LBB570_770:
	s_or_b64 exec, exec, s[10:11]
.LBB570_771:
	s_or_b64 exec, exec, s[8:9]
	s_movk_i32 s7, 0xff
	v_and_b32_sdwa v15, v5, s7 dst_sel:DWORD dst_unused:UNUSED_PAD src0_sel:WORD_1 src1_sel:DWORD
	v_lshrrev_b32_e32 v2, 16, v5
	v_cmp_ne_u16_e32 vcc, 0, v15
	s_and_saveexec_b64 s[8:9], vcc
	s_cbranch_execz .LBB570_777
; %bb.772:
	s_movk_i32 s7, 0x80
	v_cmp_ne_u16_e32 vcc, s7, v15
	v_bfrev_b32_e32 v4, 1
	s_and_saveexec_b64 s[10:11], vcc
	s_cbranch_execz .LBB570_776
; %bb.773:
	v_bfe_u32 v15, v5, 16, 7
	s_movk_i32 s7, 0x7f
	v_cmp_ne_u32_e32 vcc, s7, v15
	v_mov_b32_e32 v4, 0x7f800001
	s_and_saveexec_b64 s[12:13], vcc
	s_cbranch_execz .LBB570_775
; %bb.774:
	v_and_b32_e32 v4, 7, v2
	v_ffbh_u32_e32 v16, v4
	v_min_u32_e32 v19, 32, v16
	v_subrev_u32_e32 v16, 28, v19
	v_lshlrev_b64 v[16:17], v16, v[2:3]
	v_lshrrev_b32_e32 v18, 3, v15
	v_sub_u32_e32 v2, 29, v19
	v_and_b32_e32 v16, 7, v16
	v_cmp_gt_u32_e32 vcc, 8, v15
	v_mov_b32_e32 v15, 24
	v_cndmask_b32_e32 v2, v18, v2, vcc
	v_cndmask_b32_e32 v4, v4, v16, vcc
	v_lshlrev_b32_sdwa v15, v15, v5 dst_sel:DWORD dst_unused:UNUSED_PAD src0_sel:DWORD src1_sel:WORD_1
	v_bfrev_b32_e32 v16, 60
	v_lshlrev_b32_e32 v4, 20, v4
	v_and_b32_e32 v15, 0x80000000, v15
	v_lshl_add_u32 v2, v2, 23, v16
	v_or3_b32 v4, v15, v2, v4
.LBB570_775:
	s_or_b64 exec, exec, s[12:13]
.LBB570_776:
	s_or_b64 exec, exec, s[10:11]
.LBB570_777:
	s_or_b64 exec, exec, s[8:9]
	s_mov_b32 s7, 0xffffff
	v_cmp_lt_u32_e32 vcc, s7, v5
	v_mov_b32_e32 v15, 0
	s_and_saveexec_b64 s[8:9], vcc
	s_cbranch_execz .LBB570_783
; %bb.778:
	v_lshrrev_b32_e32 v2, 24, v5
	s_movk_i32 s7, 0x80
	v_cmp_ne_u32_e32 vcc, s7, v2
	v_bfrev_b32_e32 v15, 1
	s_and_saveexec_b64 s[10:11], vcc
	s_cbranch_execz .LBB570_782
; %bb.779:
	v_bfe_u32 v5, v5, 24, 7
	s_movk_i32 s7, 0x7f
	v_cmp_ne_u32_e32 vcc, s7, v5
	v_mov_b32_e32 v15, 0x7f800001
	s_and_saveexec_b64 s[12:13], vcc
	s_cbranch_execz .LBB570_781
; %bb.780:
	v_and_b32_e32 v15, 7, v2
	v_ffbh_u32_e32 v16, v15
	v_min_u32_e32 v19, 32, v16
	v_subrev_u32_e32 v16, 28, v19
	v_lshlrev_b64 v[16:17], v16, v[2:3]
	v_lshrrev_b32_e32 v18, 3, v5
	v_sub_u32_e32 v17, 29, v19
	v_and_b32_e32 v16, 7, v16
	v_cmp_gt_u32_e32 vcc, 8, v5
	v_cndmask_b32_e32 v5, v18, v17, vcc
	v_cndmask_b32_e32 v15, v15, v16, vcc
	v_lshlrev_b32_e32 v2, 24, v2
	v_bfrev_b32_e32 v16, 60
	v_lshlrev_b32_e32 v15, 20, v15
	v_and_b32_e32 v2, 0x80000000, v2
	v_lshl_add_u32 v5, v5, 23, v16
	v_or3_b32 v15, v2, v5, v15
.LBB570_781:
	s_or_b64 exec, exec, s[12:13]
.LBB570_782:
	s_or_b64 exec, exec, s[10:11]
.LBB570_783:
	s_or_b64 exec, exec, s[8:9]
	v_cvt_pkrtz_f16_f32 v2, v10, v11
	v_cvt_pkrtz_f16_f32 v3, v3, v13
	ds_read_b128 v[16:19], v22 offset:6160
	s_load_dword s8, s[42:43], 0x0
	v_cmp_gt_u32_e32 vcc, 64, v0
	s_waitcnt lgkmcnt(0)
	v_mfma_f32_16x16x16f16 v[6:9], v[2:3], v[16:17], v[6:9]
	v_cvt_pkrtz_f16_f32 v2, v12, v14
	v_cvt_pkrtz_f16_f32 v3, v4, v15
	s_and_b64 s[0:1], vcc, s[0:1]
	s_barrier
	v_mfma_f32_16x16x16f16 v[2:5], v[2:3], v[18:19], v[6:9]
	s_nop 7
	s_nop 2
	v_pk_mul_f32 v[4:5], v[4:5], s[8:9] op_sel_hi:[1,0]
	v_pk_mul_f32 v[2:3], v[2:3], s[8:9] op_sel_hi:[1,0]
	v_cvt_f16_f32_e32 v2, v2
	v_cvt_f16_f32_e32 v3, v3
	;; [unrolled: 1-line block ×4, first 2 shown]
	v_pack_b32_f16 v2, v2, v3
	v_pack_b32_f16 v3, v4, v5
	ds_write_b64 v28, v[2:3]
	s_waitcnt lgkmcnt(0)
	s_barrier
	s_and_saveexec_b64 s[8:9], s[0:1]
	s_cbranch_execz .LBB570_786
; %bb.784:
	s_load_dwordx2 s[4:5], s[4:5], 0x68
	s_lshl_b32 s0, s44, 6
	s_mul_i32 s1, s14, s6
	s_mul_hi_u32 s9, s1, s0
	s_mul_i32 s8, s1, s0
	s_lshl_b64 s[8:9], s[8:9], 1
	s_waitcnt lgkmcnt(0)
	s_add_u32 s1, s4, s8
	v_lshlrev_b32_e32 v0, 10, v0
	s_mov_b32 s7, 0
	s_addc_u32 s8, s5, s9
	s_lshl_b32 s6, s24, 6
	v_and_b32_e32 v0, 0x1800, v0
	v_lshlrev_b32_e32 v2, 5, v1
	v_and_b32_e32 v3, 16, v47
	s_lshl_b64 s[4:5], s[6:7], 1
	v_or3_b32 v0, v0, v2, v3
	s_add_u32 s1, s1, s4
	ds_read_b128 v[4:7], v0 offset:256
	s_addc_u32 s4, s8, s5
	ds_read_b128 v[8:11], v0 offset:128
	ds_read_b128 v[12:15], v0
	v_add_u32_e32 v18, s25, v1
	v_mov_b32_e32 v3, s4
	v_add_co_u32_e32 v2, vcc, s1, v46
	v_mad_u64_u32 v[16:17], s[4:5], v18, s0, 0
	v_addc_co_u32_e32 v3, vcc, 0, v3, vcc
	v_lshlrev_b64 v[16:17], 1, v[16:17]
	v_add_co_u32_e32 v16, vcc, v2, v16
	v_addc_co_u32_e32 v17, vcc, v3, v17, vcc
	s_waitcnt lgkmcnt(0)
	global_store_dwordx4 v[16:17], v[12:15], off
	s_nop 0
	v_add_u32_e32 v12, 4, v18
	v_mad_u64_u32 v[12:13], s[4:5], v12, s0, 0
	v_lshlrev_b64 v[12:13], 1, v[12:13]
	v_add_co_u32_e32 v12, vcc, v2, v12
	v_addc_co_u32_e32 v13, vcc, v3, v13, vcc
	global_store_dwordx4 v[12:13], v[8:11], off
	s_nop 0
	v_add_u32_e32 v8, 8, v18
	v_mad_u64_u32 v[8:9], s[4:5], v8, s0, 0
	v_lshlrev_b64 v[8:9], 1, v[8:9]
	v_add_co_u32_e32 v8, vcc, v2, v8
	v_addc_co_u32_e32 v9, vcc, v3, v9, vcc
	global_store_dwordx4 v[8:9], v[4:7], off
	s_and_b64 exec, exec, s[2:3]
	s_cbranch_execz .LBB570_786
; %bb.785:
	ds_read_b128 v[4:7], v0 offset:384
	v_add3_u32 v0, s25, v1, 12
	v_mad_u64_u32 v[0:1], s[0:1], v0, s0, 0
	v_lshlrev_b64 v[0:1], 1, v[0:1]
	v_add_co_u32_e32 v0, vcc, v2, v0
	v_addc_co_u32_e32 v1, vcc, v3, v1, vcc
	s_waitcnt lgkmcnt(0)
	global_store_dwordx4 v[0:1], v[4:7], off
.LBB570_786:
	s_endpgm
	.section	.rodata,"a",@progbits
	.p2align	6, 0x0
	.amdhsa_kernel _Z39paged_attention_ll4mi_QKV_mfma16_kernelIDF16_hLN4vllm18Fp8KVCacheDataTypeE1EDF16_Li16ELi64ELi256ELb0ELi13EL8MFMAType0EEvPKT_PKT0_S8_ifPKiSA_SA_iPKfiiiPfSD_PS3_PT2_iSC_SC_
		.amdhsa_group_segment_fixed_size 8192
		.amdhsa_private_segment_fixed_size 0
		.amdhsa_kernarg_size 400
		.amdhsa_user_sgpr_count 6
		.amdhsa_user_sgpr_private_segment_buffer 1
		.amdhsa_user_sgpr_dispatch_ptr 0
		.amdhsa_user_sgpr_queue_ptr 0
		.amdhsa_user_sgpr_kernarg_segment_ptr 1
		.amdhsa_user_sgpr_dispatch_id 0
		.amdhsa_user_sgpr_flat_scratch_init 0
		.amdhsa_user_sgpr_kernarg_preload_length 0
		.amdhsa_user_sgpr_kernarg_preload_offset 0
		.amdhsa_user_sgpr_private_segment_size 0
		.amdhsa_uses_dynamic_stack 0
		.amdhsa_system_sgpr_private_segment_wavefront_offset 0
		.amdhsa_system_sgpr_workgroup_id_x 1
		.amdhsa_system_sgpr_workgroup_id_y 1
		.amdhsa_system_sgpr_workgroup_id_z 1
		.amdhsa_system_sgpr_workgroup_info 0
		.amdhsa_system_vgpr_workitem_id 0
		.amdhsa_next_free_vgpr 61
		.amdhsa_next_free_sgpr 47
		.amdhsa_accum_offset 64
		.amdhsa_reserve_vcc 1
		.amdhsa_reserve_flat_scratch 0
		.amdhsa_float_round_mode_32 0
		.amdhsa_float_round_mode_16_64 0
		.amdhsa_float_denorm_mode_32 3
		.amdhsa_float_denorm_mode_16_64 3
		.amdhsa_dx10_clamp 1
		.amdhsa_ieee_mode 1
		.amdhsa_fp16_overflow 0
		.amdhsa_tg_split 0
		.amdhsa_exception_fp_ieee_invalid_op 0
		.amdhsa_exception_fp_denorm_src 0
		.amdhsa_exception_fp_ieee_div_zero 0
		.amdhsa_exception_fp_ieee_overflow 0
		.amdhsa_exception_fp_ieee_underflow 0
		.amdhsa_exception_fp_ieee_inexact 0
		.amdhsa_exception_int_div_zero 0
	.end_amdhsa_kernel
	.section	.text._Z39paged_attention_ll4mi_QKV_mfma16_kernelIDF16_hLN4vllm18Fp8KVCacheDataTypeE1EDF16_Li16ELi64ELi256ELb0ELi13EL8MFMAType0EEvPKT_PKT0_S8_ifPKiSA_SA_iPKfiiiPfSD_PS3_PT2_iSC_SC_,"axG",@progbits,_Z39paged_attention_ll4mi_QKV_mfma16_kernelIDF16_hLN4vllm18Fp8KVCacheDataTypeE1EDF16_Li16ELi64ELi256ELb0ELi13EL8MFMAType0EEvPKT_PKT0_S8_ifPKiSA_SA_iPKfiiiPfSD_PS3_PT2_iSC_SC_,comdat
.Lfunc_end570:
	.size	_Z39paged_attention_ll4mi_QKV_mfma16_kernelIDF16_hLN4vllm18Fp8KVCacheDataTypeE1EDF16_Li16ELi64ELi256ELb0ELi13EL8MFMAType0EEvPKT_PKT0_S8_ifPKiSA_SA_iPKfiiiPfSD_PS3_PT2_iSC_SC_, .Lfunc_end570-_Z39paged_attention_ll4mi_QKV_mfma16_kernelIDF16_hLN4vllm18Fp8KVCacheDataTypeE1EDF16_Li16ELi64ELi256ELb0ELi13EL8MFMAType0EEvPKT_PKT0_S8_ifPKiSA_SA_iPKfiiiPfSD_PS3_PT2_iSC_SC_
                                        ; -- End function
	.section	.AMDGPU.csdata,"",@progbits
; Kernel info:
; codeLenInByte = 27004
; NumSgprs: 51
; NumVgprs: 61
; NumAgprs: 0
; TotalNumVgprs: 61
; ScratchSize: 0
; MemoryBound: 0
; FloatMode: 240
; IeeeMode: 1
; LDSByteSize: 8192 bytes/workgroup (compile time only)
; SGPRBlocks: 6
; VGPRBlocks: 7
; NumSGPRsForWavesPerEU: 51
; NumVGPRsForWavesPerEU: 61
; AccumOffset: 64
; Occupancy: 8
; WaveLimiterHint : 1
; COMPUTE_PGM_RSRC2:SCRATCH_EN: 0
; COMPUTE_PGM_RSRC2:USER_SGPR: 6
; COMPUTE_PGM_RSRC2:TRAP_HANDLER: 0
; COMPUTE_PGM_RSRC2:TGID_X_EN: 1
; COMPUTE_PGM_RSRC2:TGID_Y_EN: 1
; COMPUTE_PGM_RSRC2:TGID_Z_EN: 1
; COMPUTE_PGM_RSRC2:TIDIG_COMP_CNT: 0
; COMPUTE_PGM_RSRC3_GFX90A:ACCUM_OFFSET: 15
; COMPUTE_PGM_RSRC3_GFX90A:TG_SPLIT: 0
	.section	.text._Z39paged_attention_ll4mi_QKV_mfma16_kernelIDF16_hLN4vllm18Fp8KVCacheDataTypeE1EDF16_Li16ELi64ELi256ELb0ELi14EL8MFMAType0EEvPKT_PKT0_S8_ifPKiSA_SA_iPKfiiiPfSD_PS3_PT2_iSC_SC_,"axG",@progbits,_Z39paged_attention_ll4mi_QKV_mfma16_kernelIDF16_hLN4vllm18Fp8KVCacheDataTypeE1EDF16_Li16ELi64ELi256ELb0ELi14EL8MFMAType0EEvPKT_PKT0_S8_ifPKiSA_SA_iPKfiiiPfSD_PS3_PT2_iSC_SC_,comdat
	.protected	_Z39paged_attention_ll4mi_QKV_mfma16_kernelIDF16_hLN4vllm18Fp8KVCacheDataTypeE1EDF16_Li16ELi64ELi256ELb0ELi14EL8MFMAType0EEvPKT_PKT0_S8_ifPKiSA_SA_iPKfiiiPfSD_PS3_PT2_iSC_SC_ ; -- Begin function _Z39paged_attention_ll4mi_QKV_mfma16_kernelIDF16_hLN4vllm18Fp8KVCacheDataTypeE1EDF16_Li16ELi64ELi256ELb0ELi14EL8MFMAType0EEvPKT_PKT0_S8_ifPKiSA_SA_iPKfiiiPfSD_PS3_PT2_iSC_SC_
	.globl	_Z39paged_attention_ll4mi_QKV_mfma16_kernelIDF16_hLN4vllm18Fp8KVCacheDataTypeE1EDF16_Li16ELi64ELi256ELb0ELi14EL8MFMAType0EEvPKT_PKT0_S8_ifPKiSA_SA_iPKfiiiPfSD_PS3_PT2_iSC_SC_
	.p2align	8
	.type	_Z39paged_attention_ll4mi_QKV_mfma16_kernelIDF16_hLN4vllm18Fp8KVCacheDataTypeE1EDF16_Li16ELi64ELi256ELb0ELi14EL8MFMAType0EEvPKT_PKT0_S8_ifPKiSA_SA_iPKfiiiPfSD_PS3_PT2_iSC_SC_,@function
_Z39paged_attention_ll4mi_QKV_mfma16_kernelIDF16_hLN4vllm18Fp8KVCacheDataTypeE1EDF16_Li16ELi64ELi256ELb0ELi14EL8MFMAType0EEvPKT_PKT0_S8_ifPKiSA_SA_iPKfiiiPfSD_PS3_PT2_iSC_SC_: ; @_Z39paged_attention_ll4mi_QKV_mfma16_kernelIDF16_hLN4vllm18Fp8KVCacheDataTypeE1EDF16_Li16ELi64ELi256ELb0ELi14EL8MFMAType0EEvPKT_PKT0_S8_ifPKiSA_SA_iPKfiiiPfSD_PS3_PT2_iSC_SC_
; %bb.0:
	s_load_dwordx2 s[0:1], s[4:5], 0x30
	s_mov_b32 s24, s7
	s_mov_b64 s[10:11], 0
	s_waitcnt lgkmcnt(0)
	s_cmp_lg_u64 s[0:1], 0
	s_cselect_b64 s[2:3], -1, 0
	s_and_b64 vcc, exec, s[2:3]
	s_cbranch_vccz .LBB571_7
; %bb.1:
	s_add_i32 s12, s6, 1
	s_mov_b32 s13, 0
	s_lshl_b64 s[14:15], s[12:13], 2
	s_add_u32 s14, s0, s14
	s_mov_b32 s7, s13
	s_addc_u32 s15, s1, s15
	s_lshl_b64 s[12:13], s[6:7], 2
	s_add_u32 s12, s0, s12
	s_addc_u32 s13, s1, s13
	s_load_dword s9, s[14:15], 0x0
	s_load_dword s16, s[12:13], 0x0
	s_waitcnt lgkmcnt(0)
	s_sub_i32 s9, s9, s16
	s_cmp_eq_u32 s9, 1
	s_cselect_b64 s[12:13], -1, 0
	s_andn2_b64 vcc, exec, s[10:11]
	s_cbranch_vccnz .LBB571_3
.LBB571_2:
	s_mov_b32 s7, 0
	s_mov_b64 s[12:13], -1
.LBB571_3:
	s_andn2_b64 vcc, exec, s[12:13]
	s_cbranch_vccnz .LBB571_786
; %bb.4:
	s_load_dwordx2 s[12:13], s[4:5], 0x28
	s_lshl_b64 s[10:11], s[6:7], 2
	s_waitcnt lgkmcnt(0)
	s_add_u32 s12, s12, s10
	s_addc_u32 s13, s13, s11
	s_load_dword s33, s[12:13], 0x0
	s_lshl_b32 s20, s24, 8
	s_waitcnt lgkmcnt(0)
	s_cmp_ge_i32 s20, s33
	s_cbranch_scc1 .LBB571_786
; %bb.5:
	s_add_i32 s14, s33, 15
	s_load_dwordx2 s[12:13], s[4:5], 0x20
	s_load_dword s9, s[4:5], 0x38
	s_ashr_i32 s15, s14, 31
	v_and_b32_e32 v1, 0xcf, v0
	s_lshr_b32 s15, s15, 28
	v_add_u32_e32 v1, s20, v1
	s_add_i32 s14, s14, s15
	v_ashrrev_i32_e32 v2, 31, v1
	s_ashr_i32 s22, s14, 4
	v_lshrrev_b32_e32 v4, 28, v2
	s_add_i32 s22, s22, -1
	v_add_u32_e32 v2, v1, v4
	s_waitcnt lgkmcnt(0)
	s_mul_i32 s14, s6, s9
	s_mov_b32 s15, 0
	v_ashrrev_i32_e32 v2, 4, v2
	v_mov_b32_e32 v5, s22
	v_cmp_gt_i32_e32 vcc, s33, v1
	s_lshl_b64 s[14:15], s[14:15], 2
	v_cndmask_b32_e32 v2, v5, v2, vcc
	s_add_u32 s9, s12, s14
	v_ashrrev_i32_e32 v3, 31, v2
	s_addc_u32 s21, s13, s15
	v_lshlrev_b64 v[2:3], 2, v[2:3]
	v_mov_b32_e32 v7, s21
	v_add_co_u32_e32 v6, vcc, s9, v2
	v_or_b32_e32 v2, 16, v1
	v_addc_co_u32_e32 v7, vcc, v7, v3, vcc
	v_add_u32_e32 v3, v2, v4
	v_ashrrev_i32_e32 v3, 4, v3
	v_cmp_gt_i32_e32 vcc, s33, v2
	v_cndmask_b32_e32 v2, v5, v3, vcc
	v_ashrrev_i32_e32 v3, 31, v2
	v_lshlrev_b64 v[2:3], 2, v[2:3]
	v_mov_b32_e32 v9, s21
	v_add_co_u32_e32 v8, vcc, s9, v2
	v_or_b32_e32 v2, 32, v1
	v_addc_co_u32_e32 v9, vcc, v9, v3, vcc
	v_add_u32_e32 v3, v2, v4
	v_ashrrev_i32_e32 v3, 4, v3
	v_cmp_gt_i32_e32 vcc, s33, v2
	v_cndmask_b32_e32 v2, v5, v3, vcc
	v_ashrrev_i32_e32 v3, 31, v2
	;; [unrolled: 10-line block ×3, first 2 shown]
	v_lshlrev_b64 v[2:3], 2, v[2:3]
	v_mov_b32_e32 v1, s21
	v_add_co_u32_e32 v12, vcc, s9, v2
	v_addc_co_u32_e32 v13, vcc, v1, v3, vcc
	global_load_dword v4, v[6:7], off
	global_load_dword v5, v[8:9], off
	;; [unrolled: 1-line block ×4, first 2 shown]
	s_load_dwordx4 s[12:15], s[4:5], 0x8
	s_andn2_b64 vcc, exec, s[2:3]
	s_cbranch_vccnz .LBB571_8
; %bb.6:
	s_add_u32 s0, s0, s10
	s_addc_u32 s1, s1, s11
	s_load_dword s10, s[0:1], 0x0
	s_branch .LBB571_9
.LBB571_7:
	s_mov_b64 s[12:13], 0
	s_branch .LBB571_2
.LBB571_8:
	s_mov_b32 s10, s6
.LBB571_9:
	s_load_dwordx4 s[16:19], s[4:5], 0x48
	v_lshrrev_b32_e32 v49, 6, v0
	v_bfe_u32 v1, v0, 4, 2
	v_lshl_or_b32 v6, v49, 2, v1
	v_and_b32_e32 v48, 15, v0
	v_lshlrev_b32_e32 v7, 3, v48
	v_cmp_gt_u32_e32 vcc, 14, v6
	v_cmp_gt_u32_e64 s[0:1], 8, v48
	s_mul_i32 s25, s8, 14
	s_and_b64 s[26:27], s[0:1], vcc
	v_lshlrev_b32_e32 v46, 1, v7
	v_lshlrev_b32_e32 v47, 4, v0
	s_and_saveexec_b64 s[2:3], s[26:27]
	s_cbranch_execz .LBB571_11
; %bb.10:
	s_load_dwordx2 s[26:27], s[4:5], 0x0
	s_waitcnt lgkmcnt(0)
	s_ashr_i32 s11, s16, 31
	s_mul_hi_u32 s19, s10, s16
	s_mul_i32 s11, s10, s11
	s_add_i32 s11, s19, s11
	s_mul_i32 s10, s10, s16
	s_lshl_b64 s[10:11], s[10:11], 1
	v_add_lshl_u32 v8, v6, s25, 6
	s_add_u32 s10, s26, s10
	v_ashrrev_i32_e32 v9, 31, v8
	s_addc_u32 s11, s27, s11
	v_lshlrev_b64 v[8:9], 1, v[8:9]
	v_mov_b32_e32 v7, s11
	v_add_co_u32_e32 v8, vcc, s10, v8
	v_addc_co_u32_e32 v7, vcc, v7, v9, vcc
	v_add_co_u32_e32 v8, vcc, v8, v46
	v_addc_co_u32_e32 v9, vcc, 0, v7, vcc
	global_load_dwordx4 v[8:11], v[8:9], off
	v_lshlrev_b32_e32 v12, 8, v48
	v_lshlrev_b32_e32 v6, 5, v6
	v_and_b32_e32 v7, 16, v47
	v_and_b32_e32 v12, 0xe00, v12
	v_or3_b32 v6, v12, v6, v7
	s_waitcnt vmcnt(0)
	ds_write_b128 v6, v[8:11]
.LBB571_11:
	s_or_b64 exec, exec, s[2:3]
	v_and_b32_e32 v12, 48, v0
	v_or_b32_e32 v13, s20, v12
	v_ashrrev_i32_e32 v6, 4, v13
	v_mov_b32_e32 v14, s22
	v_cmp_gt_i32_e32 vcc, s33, v13
	v_cndmask_b32_e32 v6, v14, v6, vcc
	v_ashrrev_i32_e32 v7, 31, v6
	v_lshlrev_b64 v[6:7], 2, v[6:7]
	v_mov_b32_e32 v8, s21
	v_add_co_u32_e32 v6, vcc, s9, v6
	v_addc_co_u32_e32 v7, vcc, v8, v7, vcc
	v_or_b32_e32 v8, 64, v13
	v_ashrrev_i32_e32 v9, 4, v8
	v_cmp_gt_i32_e32 vcc, s33, v8
	v_cndmask_b32_e32 v8, v14, v9, vcc
	v_ashrrev_i32_e32 v9, 31, v8
	v_lshlrev_b64 v[8:9], 2, v[8:9]
	v_mov_b32_e32 v10, s21
	v_add_co_u32_e32 v8, vcc, s9, v8
	v_addc_co_u32_e32 v9, vcc, v10, v9, vcc
	v_or_b32_e32 v10, 0x80, v13
	v_ashrrev_i32_e32 v11, 4, v10
	v_cmp_gt_i32_e32 vcc, s33, v10
	v_cndmask_b32_e32 v10, v14, v11, vcc
	v_ashrrev_i32_e32 v11, 31, v10
	v_lshlrev_b64 v[10:11], 2, v[10:11]
	v_mov_b32_e32 v15, s21
	v_add_co_u32_e32 v10, vcc, s9, v10
	s_load_dwordx2 s[44:45], s[4:5], 0x94
	s_load_dwordx4 s[40:43], s[4:5], 0x80
	s_waitcnt lgkmcnt(0)
	s_barrier
	v_addc_co_u32_e32 v11, vcc, v15, v11, vcc
	global_load_dword v15, v[6:7], off
	global_load_dword v16, v[8:9], off
	global_load_dword v18, v[10:11], off
	v_or_b32_e32 v6, 0xc0, v13
	v_ashrrev_i32_e32 v7, 4, v6
	v_cmp_gt_i32_e32 vcc, s33, v6
	v_cndmask_b32_e32 v6, v14, v7, vcc
	v_ashrrev_i32_e32 v7, 31, v6
	v_lshlrev_b64 v[6:7], 2, v[6:7]
	v_mov_b32_e32 v8, s21
	v_add_co_u32_e32 v6, vcc, s9, v6
	v_addc_co_u32_e32 v7, vcc, v8, v7, vcc
	global_load_dword v20, v[6:7], off
	s_mul_i32 s8, s8, s18
	s_add_u32 s2, s12, s8
	s_addc_u32 s3, s13, 0
	v_and_b32_e32 v6, 0xf0, v47
	v_mov_b32_e32 v7, s3
	v_add_co_u32_e32 v6, vcc, s2, v6
	v_addc_co_u32_e32 v7, vcc, 0, v7, vcc
	v_lshlrev_b32_e32 v8, 4, v12
	v_add_co_u32_e32 v6, vcc, v6, v8
	v_addc_co_u32_e32 v7, vcc, 0, v7, vcc
	s_waitcnt vmcnt(7)
	v_mad_i64_i32 v[8:9], s[2:3], v4, s17, v[6:7]
	s_waitcnt vmcnt(6)
	v_mad_i64_i32 v[4:5], s[2:3], v5, s17, v[6:7]
	global_load_dwordx4 v[30:33], v[8:9], off
	global_load_dwordx4 v[38:41], v[4:5], off
	s_waitcnt vmcnt(7)
	v_mad_i64_i32 v[4:5], s[2:3], v2, s17, v[6:7]
	s_waitcnt vmcnt(6)
	v_mad_i64_i32 v[2:3], s[2:3], v3, s17, v[6:7]
	global_load_dwordx4 v[34:37], v[4:5], off
	global_load_dwordx4 v[22:25], v[2:3], off
	s_add_u32 s2, s14, s8
	v_lshlrev_b32_e32 v2, 4, v48
	s_addc_u32 s3, s15, 0
	v_lshl_or_b32 v2, v49, 8, v2
	v_mov_b32_e32 v3, s3
	v_add_co_u32_e32 v2, vcc, s2, v2
	v_addc_co_u32_e32 v3, vcc, 0, v3, vcc
	v_cmp_gt_u32_e32 vcc, 14, v48
	v_mov_b32_e32 v43, 0
	s_movk_i32 s8, 0x80
	v_mov_b32_e32 v44, 0
	s_waitcnt vmcnt(7)
	v_mad_i64_i32 v[4:5], s[2:3], v15, s17, v[2:3]
	s_waitcnt vmcnt(6)
	v_mad_i64_i32 v[6:7], s[2:3], v16, s17, v[2:3]
	;; [unrolled: 2-line block ×3, first 2 shown]
	global_load_dwordx4 v[14:17], v[4:5], off
	global_load_dwordx4 v[10:13], v[6:7], off
	s_waitcnt vmcnt(6)
	v_mad_i64_i32 v[20:21], s[2:3], v20, s17, v[2:3]
	global_load_dwordx4 v[6:9], v[18:19], off
	global_load_dwordx4 v[2:5], v[20:21], off
	v_add_u32_e32 v18, -14, v48
	v_cndmask_b32_e32 v18, v18, v48, vcc
	v_lshlrev_b32_e32 v18, 5, v18
	v_lshl_add_u32 v18, v1, 9, v18
	ds_read_b128 v[26:29], v18
	ds_read_b128 v[18:21], v18 offset:16
	s_load_dword s12, s[40:41], 0x0
	s_waitcnt vmcnt(7)
	v_cmp_ne_u16_sdwa s[10:11], v30, v43 src0_sel:BYTE_0 src1_sel:DWORD
	s_and_saveexec_b64 s[2:3], s[10:11]
	s_cbranch_execz .LBB571_17
; %bb.12:
	v_cmp_ne_u16_sdwa s[10:11], v30, s8 src0_sel:BYTE_0 src1_sel:DWORD
	v_bfrev_b32_e32 v44, 1
	s_and_saveexec_b64 s[8:9], s[10:11]
	s_cbranch_execz .LBB571_16
; %bb.13:
	s_movk_i32 s10, 0x7f
	v_and_b32_e32 v42, 0x7f, v30
	v_cmp_ne_u32_e32 vcc, s10, v42
	v_mov_b32_e32 v44, 0x7f800001
	s_and_saveexec_b64 s[10:11], vcc
	s_cbranch_execz .LBB571_15
; %bb.14:
	v_and_b32_e32 v50, 7, v30
	v_ffbh_u32_e32 v44, v50
	v_min_u32_e32 v52, 32, v44
	v_subrev_u32_e32 v44, 28, v52
	v_lshlrev_b64 v[44:45], v44, v[30:31]
	v_lshrrev_b32_e32 v51, 3, v42
	v_sub_u32_e32 v45, 29, v52
	v_and_b32_e32 v44, 7, v44
	v_cmp_gt_u32_e32 vcc, 8, v42
	v_cndmask_b32_e32 v42, v51, v45, vcc
	v_cndmask_b32_e32 v44, v50, v44, vcc
	v_lshlrev_b32_e32 v45, 24, v30
	v_bfrev_b32_e32 v50, 60
	v_lshlrev_b32_e32 v44, 20, v44
	v_and_b32_e32 v45, 0x80000000, v45
	v_lshl_add_u32 v42, v42, 23, v50
	v_or3_b32 v44, v45, v42, v44
.LBB571_15:
	s_or_b64 exec, exec, s[10:11]
.LBB571_16:
	s_or_b64 exec, exec, s[8:9]
.LBB571_17:
	s_or_b64 exec, exec, s[2:3]
	v_lshrrev_b16_e32 v42, 8, v30
	v_cmp_ne_u16_e32 vcc, 0, v42
	s_and_saveexec_b64 s[2:3], vcc
	s_cbranch_execz .LBB571_23
; %bb.18:
	s_movk_i32 s8, 0x80
	v_cmp_ne_u16_e32 vcc, s8, v42
	v_bfrev_b32_e32 v43, 1
	s_and_saveexec_b64 s[8:9], vcc
	s_cbranch_execz .LBB571_22
; %bb.19:
	s_movk_i32 s10, 0x7f
	v_and_b32_e32 v45, 0x7f, v42
	v_cmp_ne_u32_e32 vcc, s10, v45
	v_mov_b32_e32 v43, 0x7f800001
	s_and_saveexec_b64 s[10:11], vcc
	s_cbranch_execz .LBB571_21
; %bb.20:
	v_and_b32_e32 v50, 7, v42
	v_ffbh_u32_e32 v43, v50
	v_min_u32_e32 v52, 32, v43
	v_subrev_u32_e32 v43, 28, v52
	v_lshlrev_b64 v[42:43], v43, v[42:43]
	v_lshrrev_b32_e32 v51, 3, v45
	v_sub_u32_e32 v43, 29, v52
	v_and_b32_e32 v42, 7, v42
	v_cmp_gt_u32_e32 vcc, 8, v45
	v_cndmask_b32_e32 v43, v51, v43, vcc
	v_cndmask_b32_e32 v42, v50, v42, vcc
	v_lshlrev_b32_e32 v45, 16, v30
	v_bfrev_b32_e32 v50, 60
	v_lshlrev_b32_e32 v42, 20, v42
	v_and_b32_e32 v45, 0x80000000, v45
	v_lshl_add_u32 v43, v43, 23, v50
	v_or3_b32 v43, v45, v43, v42
.LBB571_21:
	s_or_b64 exec, exec, s[10:11]
.LBB571_22:
	s_or_b64 exec, exec, s[8:9]
.LBB571_23:
	s_or_b64 exec, exec, s[2:3]
	s_movk_i32 s2, 0xff
	v_and_b32_sdwa v51, v30, s2 dst_sel:DWORD dst_unused:UNUSED_PAD src0_sel:WORD_1 src1_sel:DWORD
	v_lshrrev_b32_e32 v42, 16, v30
	v_cmp_ne_u16_e32 vcc, 0, v51
	v_mov_b32_e32 v45, 0
	v_mov_b32_e32 v50, 0
	s_and_saveexec_b64 s[2:3], vcc
	s_cbranch_execz .LBB571_29
; %bb.24:
	s_movk_i32 s8, 0x80
	v_cmp_ne_u16_e32 vcc, s8, v51
	v_bfrev_b32_e32 v50, 1
	s_and_saveexec_b64 s[8:9], vcc
	s_cbranch_execz .LBB571_28
; %bb.25:
	v_bfe_u32 v51, v30, 16, 7
	s_movk_i32 s10, 0x7f
	v_cmp_ne_u32_e32 vcc, s10, v51
	v_mov_b32_e32 v50, 0x7f800001
	s_and_saveexec_b64 s[10:11], vcc
	s_cbranch_execz .LBB571_27
; %bb.26:
	v_and_b32_e32 v50, 7, v42
	v_ffbh_u32_e32 v52, v50
	v_min_u32_e32 v55, 32, v52
	v_subrev_u32_e32 v52, 28, v55
	v_lshlrev_b64 v[52:53], v52, v[42:43]
	v_lshrrev_b32_e32 v54, 3, v51
	v_sub_u32_e32 v42, 29, v55
	v_and_b32_e32 v52, 7, v52
	v_cmp_gt_u32_e32 vcc, 8, v51
	v_mov_b32_e32 v51, 24
	v_cndmask_b32_e32 v42, v54, v42, vcc
	v_cndmask_b32_e32 v50, v50, v52, vcc
	v_lshlrev_b32_sdwa v51, v51, v30 dst_sel:DWORD dst_unused:UNUSED_PAD src0_sel:DWORD src1_sel:WORD_1
	v_bfrev_b32_e32 v52, 60
	v_lshlrev_b32_e32 v50, 20, v50
	v_and_b32_e32 v51, 0x80000000, v51
	v_lshl_add_u32 v42, v42, 23, v52
	v_or3_b32 v50, v51, v42, v50
.LBB571_27:
	s_or_b64 exec, exec, s[10:11]
.LBB571_28:
	s_or_b64 exec, exec, s[8:9]
.LBB571_29:
	s_or_b64 exec, exec, s[2:3]
	s_mov_b32 s2, 0xffffff
	v_cmp_lt_u32_e32 vcc, s2, v30
	s_and_saveexec_b64 s[2:3], vcc
	s_cbranch_execz .LBB571_35
; %bb.30:
	v_lshrrev_b32_e32 v42, 24, v30
	s_movk_i32 s8, 0x80
	v_cmp_ne_u32_e32 vcc, s8, v42
	v_bfrev_b32_e32 v45, 1
	s_and_saveexec_b64 s[8:9], vcc
	s_cbranch_execz .LBB571_34
; %bb.31:
	v_bfe_u32 v30, v30, 24, 7
	s_movk_i32 s10, 0x7f
	v_cmp_ne_u32_e32 vcc, s10, v30
	v_mov_b32_e32 v45, 0x7f800001
	s_and_saveexec_b64 s[10:11], vcc
	s_cbranch_execz .LBB571_33
; %bb.32:
	v_and_b32_e32 v45, 7, v42
	v_ffbh_u32_e32 v52, v45
	v_min_u32_e32 v54, 32, v52
	v_subrev_u32_e32 v52, 28, v54
	v_lshlrev_b64 v[52:53], v52, v[42:43]
	v_lshrrev_b32_e32 v51, 3, v30
	v_sub_u32_e32 v53, 29, v54
	v_and_b32_e32 v52, 7, v52
	v_cmp_gt_u32_e32 vcc, 8, v30
	v_cndmask_b32_e32 v30, v51, v53, vcc
	v_cndmask_b32_e32 v45, v45, v52, vcc
	v_lshlrev_b32_e32 v42, 24, v42
	v_bfrev_b32_e32 v51, 60
	v_lshlrev_b32_e32 v45, 20, v45
	v_and_b32_e32 v42, 0x80000000, v42
	v_lshl_add_u32 v30, v30, 23, v51
	v_or3_b32 v45, v42, v30, v45
.LBB571_33:
	s_or_b64 exec, exec, s[10:11]
.LBB571_34:
	s_or_b64 exec, exec, s[8:9]
.LBB571_35:
	s_or_b64 exec, exec, s[2:3]
	v_mov_b32_e32 v42, 0
	v_cmp_ne_u16_sdwa s[8:9], v31, v42 src0_sel:BYTE_0 src1_sel:DWORD
	v_mov_b32_e32 v51, 0
	s_and_saveexec_b64 s[2:3], s[8:9]
	s_cbranch_execz .LBB571_41
; %bb.36:
	s_movk_i32 s8, 0x80
	v_cmp_ne_u16_sdwa s[10:11], v31, s8 src0_sel:BYTE_0 src1_sel:DWORD
	v_bfrev_b32_e32 v51, 1
	s_and_saveexec_b64 s[8:9], s[10:11]
	s_cbranch_execz .LBB571_40
; %bb.37:
	s_movk_i32 s10, 0x7f
	v_and_b32_e32 v30, 0x7f, v31
	v_cmp_ne_u32_e32 vcc, s10, v30
	v_mov_b32_e32 v51, 0x7f800001
	s_and_saveexec_b64 s[10:11], vcc
	s_cbranch_execz .LBB571_39
; %bb.38:
	v_and_b32_e32 v51, 7, v31
	v_ffbh_u32_e32 v53, v51
	v_min_u32_e32 v55, 32, v53
	v_mov_b32_e32 v52, v31
	v_subrev_u32_e32 v53, 28, v55
	v_lshlrev_b64 v[52:53], v53, v[52:53]
	v_lshrrev_b32_e32 v54, 3, v30
	v_sub_u32_e32 v53, 29, v55
	v_and_b32_e32 v52, 7, v52
	v_cmp_gt_u32_e32 vcc, 8, v30
	v_cndmask_b32_e32 v30, v54, v53, vcc
	v_cndmask_b32_e32 v51, v51, v52, vcc
	v_lshlrev_b32_e32 v52, 24, v31
	v_bfrev_b32_e32 v53, 60
	v_lshlrev_b32_e32 v51, 20, v51
	v_and_b32_e32 v52, 0x80000000, v52
	v_lshl_add_u32 v30, v30, 23, v53
	v_or3_b32 v51, v52, v30, v51
.LBB571_39:
	s_or_b64 exec, exec, s[10:11]
.LBB571_40:
	s_or_b64 exec, exec, s[8:9]
.LBB571_41:
	s_or_b64 exec, exec, s[2:3]
	v_lshrrev_b16_e32 v30, 8, v31
	v_cmp_ne_u16_e32 vcc, 0, v30
	s_and_saveexec_b64 s[2:3], vcc
	s_cbranch_execz .LBB571_47
; %bb.42:
	s_movk_i32 s8, 0x80
	v_cmp_ne_u16_e32 vcc, s8, v30
	v_bfrev_b32_e32 v42, 1
	s_and_saveexec_b64 s[8:9], vcc
	s_cbranch_execz .LBB571_46
; %bb.43:
	s_movk_i32 s10, 0x7f
	v_and_b32_e32 v52, 0x7f, v30
	v_cmp_ne_u32_e32 vcc, s10, v52
	v_mov_b32_e32 v42, 0x7f800001
	s_and_saveexec_b64 s[10:11], vcc
	s_cbranch_execz .LBB571_45
; %bb.44:
	v_and_b32_e32 v42, 7, v30
	v_ffbh_u32_e32 v54, v42
	v_min_u32_e32 v56, 32, v54
	v_subrev_u32_e32 v54, 28, v56
	v_lshlrev_b64 v[54:55], v54, v[30:31]
	v_lshrrev_b32_e32 v53, 3, v52
	v_sub_u32_e32 v30, 29, v56
	v_and_b32_e32 v54, 7, v54
	v_cmp_gt_u32_e32 vcc, 8, v52
	v_cndmask_b32_e32 v30, v53, v30, vcc
	v_cndmask_b32_e32 v42, v42, v54, vcc
	v_lshlrev_b32_e32 v52, 16, v31
	v_bfrev_b32_e32 v53, 60
	v_lshlrev_b32_e32 v42, 20, v42
	v_and_b32_e32 v52, 0x80000000, v52
	v_lshl_add_u32 v30, v30, 23, v53
	v_or3_b32 v42, v52, v30, v42
.LBB571_45:
	s_or_b64 exec, exec, s[10:11]
.LBB571_46:
	s_or_b64 exec, exec, s[8:9]
.LBB571_47:
	s_or_b64 exec, exec, s[2:3]
	s_movk_i32 s2, 0xff
	v_and_b32_sdwa v54, v31, s2 dst_sel:DWORD dst_unused:UNUSED_PAD src0_sel:WORD_1 src1_sel:DWORD
	v_lshrrev_b32_e32 v30, 16, v31
	v_cmp_ne_u16_e32 vcc, 0, v54
	v_mov_b32_e32 v52, 0
	v_mov_b32_e32 v53, 0
	s_and_saveexec_b64 s[2:3], vcc
	s_cbranch_execz .LBB571_53
; %bb.48:
	s_movk_i32 s8, 0x80
	v_cmp_ne_u16_e32 vcc, s8, v54
	v_bfrev_b32_e32 v53, 1
	s_and_saveexec_b64 s[8:9], vcc
	s_cbranch_execz .LBB571_52
; %bb.49:
	v_bfe_u32 v54, v31, 16, 7
	s_movk_i32 s10, 0x7f
	v_cmp_ne_u32_e32 vcc, s10, v54
	v_mov_b32_e32 v53, 0x7f800001
	s_and_saveexec_b64 s[10:11], vcc
	s_cbranch_execz .LBB571_51
; %bb.50:
	v_and_b32_e32 v53, 7, v30
	v_ffbh_u32_e32 v56, v53
	v_min_u32_e32 v58, 32, v56
	v_subrev_u32_e32 v56, 28, v58
	v_lshlrev_b64 v[56:57], v56, v[30:31]
	v_lshrrev_b32_e32 v55, 3, v54
	v_sub_u32_e32 v30, 29, v58
	v_and_b32_e32 v56, 7, v56
	v_cmp_gt_u32_e32 vcc, 8, v54
	v_mov_b32_e32 v54, 24
	v_cndmask_b32_e32 v30, v55, v30, vcc
	v_cndmask_b32_e32 v53, v53, v56, vcc
	v_lshlrev_b32_sdwa v54, v54, v31 dst_sel:DWORD dst_unused:UNUSED_PAD src0_sel:DWORD src1_sel:WORD_1
	v_bfrev_b32_e32 v55, 60
	v_lshlrev_b32_e32 v53, 20, v53
	v_and_b32_e32 v54, 0x80000000, v54
	v_lshl_add_u32 v30, v30, 23, v55
	v_or3_b32 v53, v54, v30, v53
.LBB571_51:
	s_or_b64 exec, exec, s[10:11]
.LBB571_52:
	s_or_b64 exec, exec, s[8:9]
.LBB571_53:
	s_or_b64 exec, exec, s[2:3]
	s_mov_b32 s2, 0xffffff
	v_cmp_lt_u32_e32 vcc, s2, v31
	s_and_saveexec_b64 s[2:3], vcc
	s_cbranch_execz .LBB571_59
; %bb.54:
	v_lshrrev_b32_e32 v30, 24, v31
	s_movk_i32 s8, 0x80
	v_cmp_ne_u32_e32 vcc, s8, v30
	v_bfrev_b32_e32 v52, 1
	s_and_saveexec_b64 s[8:9], vcc
	s_cbranch_execz .LBB571_58
; %bb.55:
	v_bfe_u32 v31, v31, 24, 7
	s_movk_i32 s10, 0x7f
	v_cmp_ne_u32_e32 vcc, s10, v31
	v_mov_b32_e32 v52, 0x7f800001
	s_and_saveexec_b64 s[10:11], vcc
	s_cbranch_execz .LBB571_57
; %bb.56:
	v_and_b32_e32 v52, 7, v30
	v_ffbh_u32_e32 v54, v52
	v_min_u32_e32 v57, 32, v54
	v_subrev_u32_e32 v54, 28, v57
	v_lshlrev_b64 v[54:55], v54, v[30:31]
	v_lshrrev_b32_e32 v56, 3, v31
	v_sub_u32_e32 v55, 29, v57
	v_and_b32_e32 v54, 7, v54
	v_cmp_gt_u32_e32 vcc, 8, v31
	v_cndmask_b32_e32 v31, v56, v55, vcc
	v_cndmask_b32_e32 v52, v52, v54, vcc
	v_lshlrev_b32_e32 v30, 24, v30
	v_bfrev_b32_e32 v54, 60
	v_lshlrev_b32_e32 v52, 20, v52
	v_and_b32_e32 v30, 0x80000000, v30
	v_lshl_add_u32 v31, v31, 23, v54
	v_or3_b32 v52, v30, v31, v52
.LBB571_57:
	s_or_b64 exec, exec, s[10:11]
.LBB571_58:
	s_or_b64 exec, exec, s[8:9]
.LBB571_59:
	s_or_b64 exec, exec, s[2:3]
	v_cvt_pkrtz_f16_f32 v30, v44, v43
	v_cvt_pkrtz_f16_f32 v31, v50, v45
	;; [unrolled: 1-line block ×4, first 2 shown]
	v_mov_b32_e32 v51, 0
	s_waitcnt lgkmcnt(0)
	v_mfma_f32_16x16x16f16 v[54:57], v[30:31], v[26:27], 0
	v_mov_b32_e32 v31, 0
	v_cmp_ne_u16_sdwa s[8:9], v32, v31 src0_sel:BYTE_0 src1_sel:DWORD
	v_mfma_f32_16x16x16f16 v[42:45], v[42:43], v[28:29], v[54:57]
	s_and_saveexec_b64 s[2:3], s[8:9]
	s_cbranch_execz .LBB571_65
; %bb.60:
	s_movk_i32 s8, 0x80
	v_cmp_ne_u16_sdwa s[10:11], v32, s8 src0_sel:BYTE_0 src1_sel:DWORD
	v_bfrev_b32_e32 v51, 1
	s_and_saveexec_b64 s[8:9], s[10:11]
	s_cbranch_execz .LBB571_64
; %bb.61:
	s_movk_i32 s10, 0x7f
	v_and_b32_e32 v30, 0x7f, v32
	v_cmp_ne_u32_e32 vcc, s10, v30
	v_mov_b32_e32 v51, 0x7f800001
	s_and_saveexec_b64 s[10:11], vcc
	s_cbranch_execz .LBB571_63
; %bb.62:
	v_and_b32_e32 v52, 7, v32
	v_ffbh_u32_e32 v50, v52
	v_min_u32_e32 v54, 32, v50
	v_subrev_u32_e32 v50, 28, v54
	v_lshlrev_b64 v[50:51], v50, v[32:33]
	v_lshrrev_b32_e32 v53, 3, v30
	v_sub_u32_e32 v51, 29, v54
	v_and_b32_e32 v50, 7, v50
	v_cmp_gt_u32_e32 vcc, 8, v30
	v_cndmask_b32_e32 v30, v53, v51, vcc
	v_cndmask_b32_e32 v50, v52, v50, vcc
	v_lshlrev_b32_e32 v51, 24, v32
	v_bfrev_b32_e32 v52, 60
	v_lshlrev_b32_e32 v50, 20, v50
	v_and_b32_e32 v51, 0x80000000, v51
	v_lshl_add_u32 v30, v30, 23, v52
	v_or3_b32 v51, v51, v30, v50
.LBB571_63:
	s_or_b64 exec, exec, s[10:11]
.LBB571_64:
	s_or_b64 exec, exec, s[8:9]
.LBB571_65:
	s_or_b64 exec, exec, s[2:3]
	v_lshrrev_b16_e32 v30, 8, v32
	v_cmp_ne_u16_e32 vcc, 0, v30
	v_mov_b32_e32 v52, 0
	s_and_saveexec_b64 s[2:3], vcc
	s_cbranch_execz .LBB571_71
; %bb.66:
	s_movk_i32 s8, 0x80
	v_cmp_ne_u16_e32 vcc, s8, v30
	v_bfrev_b32_e32 v52, 1
	s_and_saveexec_b64 s[8:9], vcc
	s_cbranch_execz .LBB571_70
; %bb.67:
	s_movk_i32 s10, 0x7f
	v_and_b32_e32 v50, 0x7f, v30
	v_cmp_ne_u32_e32 vcc, s10, v50
	v_mov_b32_e32 v52, 0x7f800001
	s_and_saveexec_b64 s[10:11], vcc
	s_cbranch_execz .LBB571_69
; %bb.68:
	v_and_b32_e32 v54, 7, v30
	v_ffbh_u32_e32 v52, v54
	v_min_u32_e32 v56, 32, v52
	v_subrev_u32_e32 v52, 28, v56
	v_lshlrev_b64 v[52:53], v52, v[30:31]
	v_lshrrev_b32_e32 v55, 3, v50
	v_sub_u32_e32 v30, 29, v56
	v_and_b32_e32 v52, 7, v52
	v_cmp_gt_u32_e32 vcc, 8, v50
	v_cndmask_b32_e32 v30, v55, v30, vcc
	v_cndmask_b32_e32 v50, v54, v52, vcc
	v_lshlrev_b32_e32 v52, 16, v32
	v_bfrev_b32_e32 v53, 60
	v_lshlrev_b32_e32 v50, 20, v50
	v_and_b32_e32 v52, 0x80000000, v52
	v_lshl_add_u32 v30, v30, 23, v53
	v_or3_b32 v52, v52, v30, v50
.LBB571_69:
	s_or_b64 exec, exec, s[10:11]
.LBB571_70:
	s_or_b64 exec, exec, s[8:9]
.LBB571_71:
	s_or_b64 exec, exec, s[2:3]
	s_movk_i32 s2, 0xff
	v_and_b32_sdwa v50, v32, s2 dst_sel:DWORD dst_unused:UNUSED_PAD src0_sel:WORD_1 src1_sel:DWORD
	v_lshrrev_b32_e32 v30, 16, v32
	v_cmp_ne_u16_e32 vcc, 0, v50
	s_and_saveexec_b64 s[2:3], vcc
	s_cbranch_execz .LBB571_77
; %bb.72:
	s_movk_i32 s8, 0x80
	v_cmp_ne_u16_e32 vcc, s8, v50
	v_bfrev_b32_e32 v31, 1
	s_and_saveexec_b64 s[8:9], vcc
	s_cbranch_execz .LBB571_76
; %bb.73:
	v_bfe_u32 v50, v32, 16, 7
	s_movk_i32 s10, 0x7f
	v_cmp_ne_u32_e32 vcc, s10, v50
	v_mov_b32_e32 v31, 0x7f800001
	s_and_saveexec_b64 s[10:11], vcc
	s_cbranch_execz .LBB571_75
; %bb.74:
	v_and_b32_e32 v53, 7, v30
	v_ffbh_u32_e32 v31, v53
	v_min_u32_e32 v55, 32, v31
	v_subrev_u32_e32 v31, 28, v55
	v_lshlrev_b64 v[30:31], v31, v[30:31]
	v_lshrrev_b32_e32 v54, 3, v50
	v_sub_u32_e32 v31, 29, v55
	v_and_b32_e32 v30, 7, v30
	v_cmp_gt_u32_e32 vcc, 8, v50
	v_mov_b32_e32 v50, 24
	v_cndmask_b32_e32 v31, v54, v31, vcc
	v_cndmask_b32_e32 v30, v53, v30, vcc
	v_lshlrev_b32_sdwa v50, v50, v32 dst_sel:DWORD dst_unused:UNUSED_PAD src0_sel:DWORD src1_sel:WORD_1
	v_bfrev_b32_e32 v53, 60
	v_lshlrev_b32_e32 v30, 20, v30
	v_and_b32_e32 v50, 0x80000000, v50
	v_lshl_add_u32 v31, v31, 23, v53
	v_or3_b32 v31, v50, v31, v30
.LBB571_75:
	s_or_b64 exec, exec, s[10:11]
.LBB571_76:
	s_or_b64 exec, exec, s[8:9]
.LBB571_77:
	s_or_b64 exec, exec, s[2:3]
	s_mov_b32 s2, 0xffffff
	v_cmp_lt_u32_e32 vcc, s2, v32
	v_mov_b32_e32 v53, 0
	v_mov_b32_e32 v54, 0
	s_and_saveexec_b64 s[2:3], vcc
	s_cbranch_execz .LBB571_83
; %bb.78:
	v_lshrrev_b32_e32 v30, 24, v32
	s_movk_i32 s8, 0x80
	v_cmp_ne_u32_e32 vcc, s8, v30
	v_bfrev_b32_e32 v54, 1
	s_and_saveexec_b64 s[8:9], vcc
	s_cbranch_execz .LBB571_82
; %bb.79:
	v_bfe_u32 v32, v32, 24, 7
	s_movk_i32 s10, 0x7f
	v_cmp_ne_u32_e32 vcc, s10, v32
	v_mov_b32_e32 v54, 0x7f800001
	s_and_saveexec_b64 s[10:11], vcc
	s_cbranch_execz .LBB571_81
; %bb.80:
	v_and_b32_e32 v50, 7, v30
	v_ffbh_u32_e32 v54, v50
	v_min_u32_e32 v57, 32, v54
	v_subrev_u32_e32 v54, 28, v57
	v_lshlrev_b64 v[54:55], v54, v[30:31]
	v_lshrrev_b32_e32 v56, 3, v32
	v_sub_u32_e32 v55, 29, v57
	v_and_b32_e32 v54, 7, v54
	v_cmp_gt_u32_e32 vcc, 8, v32
	v_cndmask_b32_e32 v32, v56, v55, vcc
	v_cndmask_b32_e32 v50, v50, v54, vcc
	v_lshlrev_b32_e32 v30, 24, v30
	v_bfrev_b32_e32 v54, 60
	v_lshlrev_b32_e32 v50, 20, v50
	v_and_b32_e32 v30, 0x80000000, v30
	v_lshl_add_u32 v32, v32, 23, v54
	v_or3_b32 v54, v30, v32, v50
.LBB571_81:
	s_or_b64 exec, exec, s[10:11]
.LBB571_82:
	s_or_b64 exec, exec, s[8:9]
.LBB571_83:
	s_or_b64 exec, exec, s[2:3]
	v_cmp_ne_u16_sdwa s[8:9], v33, v53 src0_sel:BYTE_0 src1_sel:DWORD
	s_and_saveexec_b64 s[2:3], s[8:9]
	s_cbranch_execz .LBB571_89
; %bb.84:
	s_movk_i32 s8, 0x80
	v_cmp_ne_u16_sdwa s[10:11], v33, s8 src0_sel:BYTE_0 src1_sel:DWORD
	v_bfrev_b32_e32 v53, 1
	s_and_saveexec_b64 s[8:9], s[10:11]
	s_cbranch_execz .LBB571_88
; %bb.85:
	s_movk_i32 s10, 0x7f
	v_and_b32_e32 v30, 0x7f, v33
	v_cmp_ne_u32_e32 vcc, s10, v30
	v_mov_b32_e32 v53, 0x7f800001
	s_and_saveexec_b64 s[10:11], vcc
	s_cbranch_execz .LBB571_87
; %bb.86:
	v_and_b32_e32 v50, 7, v33
	v_ffbh_u32_e32 v55, v50
	v_min_u32_e32 v55, 32, v55
	v_mov_b32_e32 v32, v33
	v_subrev_u32_e32 v56, 28, v55
	v_lshlrev_b64 v[56:57], v56, v[32:33]
	v_lshrrev_b32_e32 v53, 3, v30
	v_sub_u32_e32 v32, 29, v55
	v_and_b32_e32 v55, 7, v56
	v_cmp_gt_u32_e32 vcc, 8, v30
	v_cndmask_b32_e32 v30, v53, v32, vcc
	v_cndmask_b32_e32 v32, v50, v55, vcc
	v_lshlrev_b32_e32 v50, 24, v33
	v_bfrev_b32_e32 v53, 60
	v_lshlrev_b32_e32 v32, 20, v32
	v_and_b32_e32 v50, 0x80000000, v50
	v_lshl_add_u32 v30, v30, 23, v53
	v_or3_b32 v53, v50, v30, v32
.LBB571_87:
	s_or_b64 exec, exec, s[10:11]
.LBB571_88:
	s_or_b64 exec, exec, s[8:9]
.LBB571_89:
	s_or_b64 exec, exec, s[2:3]
	v_lshrrev_b16_e32 v30, 8, v33
	v_cmp_ne_u16_e32 vcc, 0, v30
	v_mov_b32_e32 v32, 0
	v_mov_b32_e32 v55, 0
	s_and_saveexec_b64 s[2:3], vcc
	s_cbranch_execz .LBB571_95
; %bb.90:
	s_movk_i32 s8, 0x80
	v_cmp_ne_u16_e32 vcc, s8, v30
	v_bfrev_b32_e32 v55, 1
	s_and_saveexec_b64 s[8:9], vcc
	s_cbranch_execz .LBB571_94
; %bb.91:
	s_movk_i32 s10, 0x7f
	v_and_b32_e32 v50, 0x7f, v30
	v_cmp_ne_u32_e32 vcc, s10, v50
	v_mov_b32_e32 v55, 0x7f800001
	s_and_saveexec_b64 s[10:11], vcc
	s_cbranch_execz .LBB571_93
; %bb.92:
	v_and_b32_e32 v55, 7, v30
	v_ffbh_u32_e32 v56, v55
	v_min_u32_e32 v59, 32, v56
	v_subrev_u32_e32 v56, 28, v59
	v_lshlrev_b64 v[56:57], v56, v[30:31]
	v_lshrrev_b32_e32 v58, 3, v50
	v_sub_u32_e32 v30, 29, v59
	v_and_b32_e32 v56, 7, v56
	v_cmp_gt_u32_e32 vcc, 8, v50
	v_cndmask_b32_e32 v30, v58, v30, vcc
	v_cndmask_b32_e32 v50, v55, v56, vcc
	v_lshlrev_b32_e32 v55, 16, v33
	v_bfrev_b32_e32 v56, 60
	v_lshlrev_b32_e32 v50, 20, v50
	v_and_b32_e32 v55, 0x80000000, v55
	v_lshl_add_u32 v30, v30, 23, v56
	v_or3_b32 v55, v55, v30, v50
.LBB571_93:
	s_or_b64 exec, exec, s[10:11]
.LBB571_94:
	s_or_b64 exec, exec, s[8:9]
.LBB571_95:
	s_or_b64 exec, exec, s[2:3]
	s_movk_i32 s2, 0xff
	v_and_b32_sdwa v50, v33, s2 dst_sel:DWORD dst_unused:UNUSED_PAD src0_sel:WORD_1 src1_sel:DWORD
	v_lshrrev_b32_e32 v30, 16, v33
	v_cmp_ne_u16_e32 vcc, 0, v50
	s_and_saveexec_b64 s[2:3], vcc
	s_cbranch_execz .LBB571_101
; %bb.96:
	s_movk_i32 s8, 0x80
	v_cmp_ne_u16_e32 vcc, s8, v50
	v_bfrev_b32_e32 v32, 1
	s_and_saveexec_b64 s[8:9], vcc
	s_cbranch_execz .LBB571_100
; %bb.97:
	v_bfe_u32 v50, v33, 16, 7
	s_movk_i32 s10, 0x7f
	v_cmp_ne_u32_e32 vcc, s10, v50
	v_mov_b32_e32 v32, 0x7f800001
	s_and_saveexec_b64 s[10:11], vcc
	s_cbranch_execz .LBB571_99
; %bb.98:
	v_and_b32_e32 v32, 7, v30
	v_ffbh_u32_e32 v56, v32
	v_min_u32_e32 v59, 32, v56
	v_subrev_u32_e32 v56, 28, v59
	v_lshlrev_b64 v[56:57], v56, v[30:31]
	v_lshrrev_b32_e32 v58, 3, v50
	v_sub_u32_e32 v30, 29, v59
	v_and_b32_e32 v56, 7, v56
	v_cmp_gt_u32_e32 vcc, 8, v50
	v_mov_b32_e32 v50, 24
	v_cndmask_b32_e32 v30, v58, v30, vcc
	v_cndmask_b32_e32 v32, v32, v56, vcc
	v_lshlrev_b32_sdwa v50, v50, v33 dst_sel:DWORD dst_unused:UNUSED_PAD src0_sel:DWORD src1_sel:WORD_1
	v_bfrev_b32_e32 v56, 60
	v_lshlrev_b32_e32 v32, 20, v32
	v_and_b32_e32 v50, 0x80000000, v50
	v_lshl_add_u32 v30, v30, 23, v56
	v_or3_b32 v32, v50, v30, v32
.LBB571_99:
	s_or_b64 exec, exec, s[10:11]
.LBB571_100:
	s_or_b64 exec, exec, s[8:9]
.LBB571_101:
	s_or_b64 exec, exec, s[2:3]
	s_mov_b32 s2, 0xffffff
	v_cmp_lt_u32_e32 vcc, s2, v33
	v_mov_b32_e32 v50, 0
	v_mov_b32_e32 v56, 0
	s_and_saveexec_b64 s[2:3], vcc
	s_cbranch_execz .LBB571_107
; %bb.102:
	v_lshrrev_b32_e32 v30, 24, v33
	s_movk_i32 s8, 0x80
	v_cmp_ne_u32_e32 vcc, s8, v30
	v_bfrev_b32_e32 v56, 1
	s_and_saveexec_b64 s[8:9], vcc
	s_cbranch_execz .LBB571_106
; %bb.103:
	v_bfe_u32 v33, v33, 24, 7
	s_movk_i32 s10, 0x7f
	v_cmp_ne_u32_e32 vcc, s10, v33
	v_mov_b32_e32 v56, 0x7f800001
	s_and_saveexec_b64 s[10:11], vcc
	s_cbranch_execz .LBB571_105
; %bb.104:
	v_and_b32_e32 v58, 7, v30
	v_ffbh_u32_e32 v56, v58
	v_min_u32_e32 v60, 32, v56
	v_subrev_u32_e32 v56, 28, v60
	v_lshlrev_b64 v[56:57], v56, v[30:31]
	v_lshrrev_b32_e32 v59, 3, v33
	v_sub_u32_e32 v57, 29, v60
	v_and_b32_e32 v56, 7, v56
	v_cmp_gt_u32_e32 vcc, 8, v33
	v_cndmask_b32_e32 v33, v59, v57, vcc
	v_cndmask_b32_e32 v56, v58, v56, vcc
	v_lshlrev_b32_e32 v30, 24, v30
	v_bfrev_b32_e32 v57, 60
	v_lshlrev_b32_e32 v56, 20, v56
	v_and_b32_e32 v30, 0x80000000, v30
	v_lshl_add_u32 v33, v33, 23, v57
	v_or3_b32 v56, v30, v33, v56
.LBB571_105:
	s_or_b64 exec, exec, s[10:11]
.LBB571_106:
	s_or_b64 exec, exec, s[8:9]
.LBB571_107:
	s_or_b64 exec, exec, s[2:3]
	v_cvt_pkrtz_f16_f32 v30, v51, v52
	v_cvt_pkrtz_f16_f32 v31, v31, v54
	s_waitcnt vmcnt(6)
	v_cmp_ne_u16_sdwa s[8:9], v38, v50 src0_sel:BYTE_0 src1_sel:DWORD
	v_mfma_f32_16x16x16f16 v[42:45], v[30:31], v[18:19], v[42:45]
	v_cvt_pkrtz_f16_f32 v30, v53, v55
	v_cvt_pkrtz_f16_f32 v31, v32, v56
	s_nop 1
	v_mfma_f32_16x16x16f16 v[30:33], v[30:31], v[20:21], v[42:45]
	s_and_saveexec_b64 s[2:3], s[8:9]
	s_cbranch_execz .LBB571_113
; %bb.108:
	s_movk_i32 s8, 0x80
	v_cmp_ne_u16_sdwa s[10:11], v38, s8 src0_sel:BYTE_0 src1_sel:DWORD
	v_bfrev_b32_e32 v50, 1
	s_and_saveexec_b64 s[8:9], s[10:11]
	s_cbranch_execz .LBB571_112
; %bb.109:
	s_movk_i32 s10, 0x7f
	v_and_b32_e32 v42, 0x7f, v38
	v_cmp_ne_u32_e32 vcc, s10, v42
	v_mov_b32_e32 v50, 0x7f800001
	s_and_saveexec_b64 s[10:11], vcc
	s_cbranch_execz .LBB571_111
; %bb.110:
	v_and_b32_e32 v43, 7, v38
	v_ffbh_u32_e32 v44, v43
	v_min_u32_e32 v51, 32, v44
	v_subrev_u32_e32 v44, 28, v51
	v_lshlrev_b64 v[44:45], v44, v[38:39]
	v_lshrrev_b32_e32 v50, 3, v42
	v_sub_u32_e32 v45, 29, v51
	v_and_b32_e32 v44, 7, v44
	v_cmp_gt_u32_e32 vcc, 8, v42
	v_cndmask_b32_e32 v42, v50, v45, vcc
	v_cndmask_b32_e32 v43, v43, v44, vcc
	v_lshlrev_b32_e32 v44, 24, v38
	v_bfrev_b32_e32 v45, 60
	v_lshlrev_b32_e32 v43, 20, v43
	v_and_b32_e32 v44, 0x80000000, v44
	v_lshl_add_u32 v42, v42, 23, v45
	v_or3_b32 v50, v44, v42, v43
.LBB571_111:
	s_or_b64 exec, exec, s[10:11]
.LBB571_112:
	s_or_b64 exec, exec, s[8:9]
.LBB571_113:
	s_or_b64 exec, exec, s[2:3]
	s_nop 3
	v_lshrrev_b16_e32 v42, 8, v38
	v_cmp_ne_u16_e32 vcc, 0, v42
	v_mov_b32_e32 v43, 0
	v_mov_b32_e32 v44, 0
	s_and_saveexec_b64 s[2:3], vcc
	s_cbranch_execz .LBB571_119
; %bb.114:
	s_movk_i32 s8, 0x80
	v_cmp_ne_u16_e32 vcc, s8, v42
	v_bfrev_b32_e32 v44, 1
	s_and_saveexec_b64 s[8:9], vcc
	s_cbranch_execz .LBB571_118
; %bb.115:
	s_movk_i32 s10, 0x7f
	v_and_b32_e32 v45, 0x7f, v42
	v_cmp_ne_u32_e32 vcc, s10, v45
	v_mov_b32_e32 v44, 0x7f800001
	s_and_saveexec_b64 s[10:11], vcc
	s_cbranch_execz .LBB571_117
; %bb.116:
	v_and_b32_e32 v44, 7, v42
	v_ffbh_u32_e32 v52, v44
	v_min_u32_e32 v54, 32, v52
	v_subrev_u32_e32 v52, 28, v54
	v_lshlrev_b64 v[52:53], v52, v[42:43]
	v_lshrrev_b32_e32 v51, 3, v45
	v_sub_u32_e32 v42, 29, v54
	v_and_b32_e32 v52, 7, v52
	v_cmp_gt_u32_e32 vcc, 8, v45
	v_cndmask_b32_e32 v42, v51, v42, vcc
	v_cndmask_b32_e32 v44, v44, v52, vcc
	v_lshlrev_b32_e32 v45, 16, v38
	v_bfrev_b32_e32 v51, 60
	v_lshlrev_b32_e32 v44, 20, v44
	v_and_b32_e32 v45, 0x80000000, v45
	v_lshl_add_u32 v42, v42, 23, v51
	v_or3_b32 v44, v45, v42, v44
.LBB571_117:
	s_or_b64 exec, exec, s[10:11]
.LBB571_118:
	s_or_b64 exec, exec, s[8:9]
.LBB571_119:
	s_or_b64 exec, exec, s[2:3]
	s_movk_i32 s2, 0xff
	v_and_b32_sdwa v45, v38, s2 dst_sel:DWORD dst_unused:UNUSED_PAD src0_sel:WORD_1 src1_sel:DWORD
	v_lshrrev_b32_e32 v42, 16, v38
	v_cmp_ne_u16_e32 vcc, 0, v45
	s_and_saveexec_b64 s[2:3], vcc
	s_cbranch_execz .LBB571_125
; %bb.120:
	s_movk_i32 s8, 0x80
	v_cmp_ne_u16_e32 vcc, s8, v45
	v_bfrev_b32_e32 v43, 1
	s_and_saveexec_b64 s[8:9], vcc
	s_cbranch_execz .LBB571_124
; %bb.121:
	v_bfe_u32 v45, v38, 16, 7
	s_movk_i32 s10, 0x7f
	v_cmp_ne_u32_e32 vcc, s10, v45
	v_mov_b32_e32 v43, 0x7f800001
	s_and_saveexec_b64 s[10:11], vcc
	s_cbranch_execz .LBB571_123
; %bb.122:
	v_and_b32_e32 v51, 7, v42
	v_ffbh_u32_e32 v43, v51
	v_min_u32_e32 v53, 32, v43
	v_subrev_u32_e32 v43, 28, v53
	v_lshlrev_b64 v[42:43], v43, v[42:43]
	v_lshrrev_b32_e32 v52, 3, v45
	v_sub_u32_e32 v43, 29, v53
	v_and_b32_e32 v42, 7, v42
	v_cmp_gt_u32_e32 vcc, 8, v45
	v_mov_b32_e32 v45, 24
	v_cndmask_b32_e32 v43, v52, v43, vcc
	v_cndmask_b32_e32 v42, v51, v42, vcc
	v_lshlrev_b32_sdwa v45, v45, v38 dst_sel:DWORD dst_unused:UNUSED_PAD src0_sel:DWORD src1_sel:WORD_1
	v_bfrev_b32_e32 v51, 60
	v_lshlrev_b32_e32 v42, 20, v42
	v_and_b32_e32 v45, 0x80000000, v45
	v_lshl_add_u32 v43, v43, 23, v51
	v_or3_b32 v43, v45, v43, v42
.LBB571_123:
	s_or_b64 exec, exec, s[10:11]
.LBB571_124:
	s_or_b64 exec, exec, s[8:9]
.LBB571_125:
	s_or_b64 exec, exec, s[2:3]
	s_mov_b32 s2, 0xffffff
	v_cmp_lt_u32_e32 vcc, s2, v38
	v_mov_b32_e32 v45, 0
	v_mov_b32_e32 v52, 0
	s_and_saveexec_b64 s[2:3], vcc
	s_cbranch_execz .LBB571_131
; %bb.126:
	v_lshrrev_b32_e32 v42, 24, v38
	s_movk_i32 s8, 0x80
	v_cmp_ne_u32_e32 vcc, s8, v42
	v_bfrev_b32_e32 v52, 1
	s_and_saveexec_b64 s[8:9], vcc
	s_cbranch_execz .LBB571_130
; %bb.127:
	v_bfe_u32 v38, v38, 24, 7
	s_movk_i32 s10, 0x7f
	v_cmp_ne_u32_e32 vcc, s10, v38
	v_mov_b32_e32 v52, 0x7f800001
	s_and_saveexec_b64 s[10:11], vcc
	s_cbranch_execz .LBB571_129
; %bb.128:
	v_and_b32_e32 v51, 7, v42
	v_ffbh_u32_e32 v52, v51
	v_min_u32_e32 v55, 32, v52
	v_subrev_u32_e32 v52, 28, v55
	v_lshlrev_b64 v[52:53], v52, v[42:43]
	v_lshrrev_b32_e32 v54, 3, v38
	v_sub_u32_e32 v53, 29, v55
	v_and_b32_e32 v52, 7, v52
	v_cmp_gt_u32_e32 vcc, 8, v38
	v_cndmask_b32_e32 v38, v54, v53, vcc
	v_cndmask_b32_e32 v51, v51, v52, vcc
	v_lshlrev_b32_e32 v42, 24, v42
	v_bfrev_b32_e32 v52, 60
	v_lshlrev_b32_e32 v51, 20, v51
	v_and_b32_e32 v42, 0x80000000, v42
	v_lshl_add_u32 v38, v38, 23, v52
	v_or3_b32 v52, v42, v38, v51
.LBB571_129:
	s_or_b64 exec, exec, s[10:11]
.LBB571_130:
	s_or_b64 exec, exec, s[8:9]
.LBB571_131:
	s_or_b64 exec, exec, s[2:3]
	v_cmp_ne_u16_sdwa s[8:9], v39, v45 src0_sel:BYTE_0 src1_sel:DWORD
	s_and_saveexec_b64 s[2:3], s[8:9]
	s_cbranch_execz .LBB571_137
; %bb.132:
	s_movk_i32 s8, 0x80
	v_cmp_ne_u16_sdwa s[10:11], v39, s8 src0_sel:BYTE_0 src1_sel:DWORD
	v_bfrev_b32_e32 v45, 1
	s_and_saveexec_b64 s[8:9], s[10:11]
	s_cbranch_execz .LBB571_136
; %bb.133:
	s_movk_i32 s10, 0x7f
	v_and_b32_e32 v38, 0x7f, v39
	v_cmp_ne_u32_e32 vcc, s10, v38
	v_mov_b32_e32 v45, 0x7f800001
	s_and_saveexec_b64 s[10:11], vcc
	s_cbranch_execz .LBB571_135
; %bb.134:
	v_and_b32_e32 v45, 7, v39
	v_ffbh_u32_e32 v53, v45
	v_min_u32_e32 v53, 32, v53
	v_mov_b32_e32 v42, v39
	v_subrev_u32_e32 v54, 28, v53
	v_lshlrev_b64 v[54:55], v54, v[42:43]
	v_lshrrev_b32_e32 v51, 3, v38
	v_sub_u32_e32 v42, 29, v53
	v_and_b32_e32 v53, 7, v54
	v_cmp_gt_u32_e32 vcc, 8, v38
	v_cndmask_b32_e32 v38, v51, v42, vcc
	v_cndmask_b32_e32 v42, v45, v53, vcc
	v_lshlrev_b32_e32 v45, 24, v39
	v_bfrev_b32_e32 v51, 60
	v_lshlrev_b32_e32 v42, 20, v42
	v_and_b32_e32 v45, 0x80000000, v45
	v_lshl_add_u32 v38, v38, 23, v51
	v_or3_b32 v45, v45, v38, v42
.LBB571_135:
	s_or_b64 exec, exec, s[10:11]
.LBB571_136:
	s_or_b64 exec, exec, s[8:9]
.LBB571_137:
	s_or_b64 exec, exec, s[2:3]
	v_lshrrev_b16_e32 v38, 8, v39
	v_cmp_ne_u16_e32 vcc, 0, v38
	v_mov_b32_e32 v42, 0
	v_mov_b32_e32 v53, 0
	s_and_saveexec_b64 s[2:3], vcc
	s_cbranch_execz .LBB571_143
; %bb.138:
	s_movk_i32 s8, 0x80
	v_cmp_ne_u16_e32 vcc, s8, v38
	v_bfrev_b32_e32 v53, 1
	s_and_saveexec_b64 s[8:9], vcc
	s_cbranch_execz .LBB571_142
; %bb.139:
	s_movk_i32 s10, 0x7f
	v_and_b32_e32 v51, 0x7f, v38
	v_cmp_ne_u32_e32 vcc, s10, v51
	v_mov_b32_e32 v53, 0x7f800001
	s_and_saveexec_b64 s[10:11], vcc
	s_cbranch_execz .LBB571_141
; %bb.140:
	v_and_b32_e32 v53, 7, v38
	v_ffbh_u32_e32 v54, v53
	v_min_u32_e32 v57, 32, v54
	v_subrev_u32_e32 v54, 28, v57
	v_lshlrev_b64 v[54:55], v54, v[38:39]
	v_lshrrev_b32_e32 v56, 3, v51
	v_sub_u32_e32 v38, 29, v57
	v_and_b32_e32 v54, 7, v54
	v_cmp_gt_u32_e32 vcc, 8, v51
	v_cndmask_b32_e32 v38, v56, v38, vcc
	v_cndmask_b32_e32 v51, v53, v54, vcc
	v_lshlrev_b32_e32 v53, 16, v39
	v_bfrev_b32_e32 v54, 60
	v_lshlrev_b32_e32 v51, 20, v51
	v_and_b32_e32 v53, 0x80000000, v53
	v_lshl_add_u32 v38, v38, 23, v54
	v_or3_b32 v53, v53, v38, v51
.LBB571_141:
	s_or_b64 exec, exec, s[10:11]
.LBB571_142:
	s_or_b64 exec, exec, s[8:9]
.LBB571_143:
	s_or_b64 exec, exec, s[2:3]
	s_movk_i32 s2, 0xff
	v_and_b32_sdwa v51, v39, s2 dst_sel:DWORD dst_unused:UNUSED_PAD src0_sel:WORD_1 src1_sel:DWORD
	v_lshrrev_b32_e32 v38, 16, v39
	v_cmp_ne_u16_e32 vcc, 0, v51
	s_and_saveexec_b64 s[2:3], vcc
	s_cbranch_execz .LBB571_149
; %bb.144:
	s_movk_i32 s8, 0x80
	v_cmp_ne_u16_e32 vcc, s8, v51
	v_bfrev_b32_e32 v42, 1
	s_and_saveexec_b64 s[8:9], vcc
	s_cbranch_execz .LBB571_148
; %bb.145:
	v_bfe_u32 v51, v39, 16, 7
	s_movk_i32 s10, 0x7f
	v_cmp_ne_u32_e32 vcc, s10, v51
	v_mov_b32_e32 v42, 0x7f800001
	s_and_saveexec_b64 s[10:11], vcc
	s_cbranch_execz .LBB571_147
; %bb.146:
	v_and_b32_e32 v42, 7, v38
	v_ffbh_u32_e32 v54, v42
	v_min_u32_e32 v57, 32, v54
	v_subrev_u32_e32 v54, 28, v57
	v_lshlrev_b64 v[54:55], v54, v[38:39]
	v_lshrrev_b32_e32 v56, 3, v51
	v_sub_u32_e32 v38, 29, v57
	v_and_b32_e32 v54, 7, v54
	v_cmp_gt_u32_e32 vcc, 8, v51
	v_mov_b32_e32 v51, 24
	v_cndmask_b32_e32 v38, v56, v38, vcc
	v_cndmask_b32_e32 v42, v42, v54, vcc
	v_lshlrev_b32_sdwa v51, v51, v39 dst_sel:DWORD dst_unused:UNUSED_PAD src0_sel:DWORD src1_sel:WORD_1
	v_bfrev_b32_e32 v54, 60
	v_lshlrev_b32_e32 v42, 20, v42
	v_and_b32_e32 v51, 0x80000000, v51
	v_lshl_add_u32 v38, v38, 23, v54
	v_or3_b32 v42, v51, v38, v42
.LBB571_147:
	s_or_b64 exec, exec, s[10:11]
.LBB571_148:
	s_or_b64 exec, exec, s[8:9]
.LBB571_149:
	s_or_b64 exec, exec, s[2:3]
	s_mov_b32 s2, 0xffffff
	v_cmp_lt_u32_e32 vcc, s2, v39
	v_mov_b32_e32 v51, 0
	v_mov_b32_e32 v54, 0
	s_and_saveexec_b64 s[2:3], vcc
	s_cbranch_execz .LBB571_155
; %bb.150:
	v_lshrrev_b32_e32 v38, 24, v39
	s_movk_i32 s8, 0x80
	v_cmp_ne_u32_e32 vcc, s8, v38
	v_bfrev_b32_e32 v54, 1
	s_and_saveexec_b64 s[8:9], vcc
	s_cbranch_execz .LBB571_154
; %bb.151:
	v_bfe_u32 v39, v39, 24, 7
	s_movk_i32 s10, 0x7f
	v_cmp_ne_u32_e32 vcc, s10, v39
	v_mov_b32_e32 v54, 0x7f800001
	s_and_saveexec_b64 s[10:11], vcc
	s_cbranch_execz .LBB571_153
; %bb.152:
	v_and_b32_e32 v56, 7, v38
	v_ffbh_u32_e32 v54, v56
	v_min_u32_e32 v58, 32, v54
	v_subrev_u32_e32 v54, 28, v58
	v_lshlrev_b64 v[54:55], v54, v[38:39]
	v_lshrrev_b32_e32 v57, 3, v39
	v_sub_u32_e32 v55, 29, v58
	v_and_b32_e32 v54, 7, v54
	v_cmp_gt_u32_e32 vcc, 8, v39
	v_cndmask_b32_e32 v39, v57, v55, vcc
	v_cndmask_b32_e32 v54, v56, v54, vcc
	v_lshlrev_b32_e32 v38, 24, v38
	v_bfrev_b32_e32 v55, 60
	v_lshlrev_b32_e32 v54, 20, v54
	v_and_b32_e32 v38, 0x80000000, v38
	v_lshl_add_u32 v39, v39, 23, v55
	v_or3_b32 v54, v38, v39, v54
.LBB571_153:
	s_or_b64 exec, exec, s[10:11]
.LBB571_154:
	s_or_b64 exec, exec, s[8:9]
.LBB571_155:
	s_or_b64 exec, exec, s[2:3]
	v_cvt_pkrtz_f16_f32 v38, v50, v44
	v_cvt_pkrtz_f16_f32 v39, v43, v52
	v_cmp_ne_u16_sdwa s[8:9], v40, v51 src0_sel:BYTE_0 src1_sel:DWORD
	s_nop 0
	v_mfma_f32_16x16x16f16 v[56:59], v[38:39], v[26:27], 0
	v_cvt_pkrtz_f16_f32 v38, v45, v53
	v_cvt_pkrtz_f16_f32 v39, v42, v54
	s_nop 1
	v_mfma_f32_16x16x16f16 v[42:45], v[38:39], v[28:29], v[56:59]
	s_and_saveexec_b64 s[2:3], s[8:9]
	s_cbranch_execz .LBB571_161
; %bb.156:
	s_movk_i32 s8, 0x80
	v_cmp_ne_u16_sdwa s[10:11], v40, s8 src0_sel:BYTE_0 src1_sel:DWORD
	v_bfrev_b32_e32 v51, 1
	s_and_saveexec_b64 s[8:9], s[10:11]
	s_cbranch_execz .LBB571_160
; %bb.157:
	s_movk_i32 s10, 0x7f
	v_and_b32_e32 v38, 0x7f, v40
	v_cmp_ne_u32_e32 vcc, s10, v38
	v_mov_b32_e32 v51, 0x7f800001
	s_and_saveexec_b64 s[10:11], vcc
	s_cbranch_execz .LBB571_159
; %bb.158:
	v_and_b32_e32 v39, 7, v40
	v_ffbh_u32_e32 v50, v39
	v_min_u32_e32 v53, 32, v50
	v_subrev_u32_e32 v50, 28, v53
	v_lshlrev_b64 v[50:51], v50, v[40:41]
	v_lshrrev_b32_e32 v52, 3, v38
	v_sub_u32_e32 v51, 29, v53
	v_and_b32_e32 v50, 7, v50
	v_cmp_gt_u32_e32 vcc, 8, v38
	v_cndmask_b32_e32 v38, v52, v51, vcc
	v_cndmask_b32_e32 v39, v39, v50, vcc
	v_lshlrev_b32_e32 v50, 24, v40
	v_bfrev_b32_e32 v51, 60
	v_lshlrev_b32_e32 v39, 20, v39
	v_and_b32_e32 v50, 0x80000000, v50
	v_lshl_add_u32 v38, v38, 23, v51
	v_or3_b32 v51, v50, v38, v39
.LBB571_159:
	s_or_b64 exec, exec, s[10:11]
.LBB571_160:
	s_or_b64 exec, exec, s[8:9]
.LBB571_161:
	s_or_b64 exec, exec, s[2:3]
	v_lshrrev_b16_e32 v38, 8, v40
	v_cmp_ne_u16_e32 vcc, 0, v38
	v_mov_b32_e32 v39, 0
	v_mov_b32_e32 v52, 0
	s_and_saveexec_b64 s[2:3], vcc
	s_cbranch_execz .LBB571_167
; %bb.162:
	s_movk_i32 s8, 0x80
	v_cmp_ne_u16_e32 vcc, s8, v38
	v_bfrev_b32_e32 v52, 1
	s_and_saveexec_b64 s[8:9], vcc
	s_cbranch_execz .LBB571_166
; %bb.163:
	s_movk_i32 s10, 0x7f
	v_and_b32_e32 v50, 0x7f, v38
	v_cmp_ne_u32_e32 vcc, s10, v50
	v_mov_b32_e32 v52, 0x7f800001
	s_and_saveexec_b64 s[10:11], vcc
	s_cbranch_execz .LBB571_165
; %bb.164:
	v_and_b32_e32 v54, 7, v38
	v_ffbh_u32_e32 v52, v54
	v_min_u32_e32 v56, 32, v52
	v_subrev_u32_e32 v52, 28, v56
	v_lshlrev_b64 v[52:53], v52, v[38:39]
	v_lshrrev_b32_e32 v55, 3, v50
	v_sub_u32_e32 v38, 29, v56
	v_and_b32_e32 v52, 7, v52
	v_cmp_gt_u32_e32 vcc, 8, v50
	v_cndmask_b32_e32 v38, v55, v38, vcc
	v_cndmask_b32_e32 v50, v54, v52, vcc
	v_lshlrev_b32_e32 v52, 16, v40
	v_bfrev_b32_e32 v53, 60
	v_lshlrev_b32_e32 v50, 20, v50
	v_and_b32_e32 v52, 0x80000000, v52
	v_lshl_add_u32 v38, v38, 23, v53
	v_or3_b32 v52, v52, v38, v50
.LBB571_165:
	s_or_b64 exec, exec, s[10:11]
.LBB571_166:
	s_or_b64 exec, exec, s[8:9]
.LBB571_167:
	s_or_b64 exec, exec, s[2:3]
	s_movk_i32 s2, 0xff
	v_and_b32_sdwa v50, v40, s2 dst_sel:DWORD dst_unused:UNUSED_PAD src0_sel:WORD_1 src1_sel:DWORD
	v_lshrrev_b32_e32 v38, 16, v40
	v_cmp_ne_u16_e32 vcc, 0, v50
	s_and_saveexec_b64 s[2:3], vcc
	s_cbranch_execz .LBB571_173
; %bb.168:
	s_movk_i32 s8, 0x80
	v_cmp_ne_u16_e32 vcc, s8, v50
	v_bfrev_b32_e32 v39, 1
	s_and_saveexec_b64 s[8:9], vcc
	s_cbranch_execz .LBB571_172
; %bb.169:
	v_bfe_u32 v50, v40, 16, 7
	s_movk_i32 s10, 0x7f
	v_cmp_ne_u32_e32 vcc, s10, v50
	v_mov_b32_e32 v39, 0x7f800001
	s_and_saveexec_b64 s[10:11], vcc
	s_cbranch_execz .LBB571_171
; %bb.170:
	v_and_b32_e32 v53, 7, v38
	v_ffbh_u32_e32 v39, v53
	v_min_u32_e32 v55, 32, v39
	v_subrev_u32_e32 v39, 28, v55
	v_lshlrev_b64 v[38:39], v39, v[38:39]
	v_lshrrev_b32_e32 v54, 3, v50
	v_sub_u32_e32 v39, 29, v55
	v_and_b32_e32 v38, 7, v38
	v_cmp_gt_u32_e32 vcc, 8, v50
	v_mov_b32_e32 v50, 24
	v_cndmask_b32_e32 v39, v54, v39, vcc
	v_cndmask_b32_e32 v38, v53, v38, vcc
	v_lshlrev_b32_sdwa v50, v50, v40 dst_sel:DWORD dst_unused:UNUSED_PAD src0_sel:DWORD src1_sel:WORD_1
	v_bfrev_b32_e32 v53, 60
	v_lshlrev_b32_e32 v38, 20, v38
	v_and_b32_e32 v50, 0x80000000, v50
	v_lshl_add_u32 v39, v39, 23, v53
	v_or3_b32 v39, v50, v39, v38
.LBB571_171:
	s_or_b64 exec, exec, s[10:11]
.LBB571_172:
	s_or_b64 exec, exec, s[8:9]
.LBB571_173:
	s_or_b64 exec, exec, s[2:3]
	s_mov_b32 s2, 0xffffff
	v_cmp_lt_u32_e32 vcc, s2, v40
	v_mov_b32_e32 v53, 0
	v_mov_b32_e32 v54, 0
	s_and_saveexec_b64 s[2:3], vcc
	s_cbranch_execz .LBB571_179
; %bb.174:
	v_lshrrev_b32_e32 v38, 24, v40
	s_movk_i32 s8, 0x80
	v_cmp_ne_u32_e32 vcc, s8, v38
	v_bfrev_b32_e32 v54, 1
	s_and_saveexec_b64 s[8:9], vcc
	s_cbranch_execz .LBB571_178
; %bb.175:
	v_bfe_u32 v40, v40, 24, 7
	s_movk_i32 s10, 0x7f
	v_cmp_ne_u32_e32 vcc, s10, v40
	v_mov_b32_e32 v54, 0x7f800001
	s_and_saveexec_b64 s[10:11], vcc
	s_cbranch_execz .LBB571_177
; %bb.176:
	v_and_b32_e32 v50, 7, v38
	v_ffbh_u32_e32 v54, v50
	v_min_u32_e32 v57, 32, v54
	v_subrev_u32_e32 v54, 28, v57
	v_lshlrev_b64 v[54:55], v54, v[38:39]
	v_lshrrev_b32_e32 v56, 3, v40
	v_sub_u32_e32 v55, 29, v57
	v_and_b32_e32 v54, 7, v54
	v_cmp_gt_u32_e32 vcc, 8, v40
	v_cndmask_b32_e32 v40, v56, v55, vcc
	v_cndmask_b32_e32 v50, v50, v54, vcc
	v_lshlrev_b32_e32 v38, 24, v38
	v_bfrev_b32_e32 v54, 60
	v_lshlrev_b32_e32 v50, 20, v50
	v_and_b32_e32 v38, 0x80000000, v38
	v_lshl_add_u32 v40, v40, 23, v54
	v_or3_b32 v54, v38, v40, v50
.LBB571_177:
	s_or_b64 exec, exec, s[10:11]
.LBB571_178:
	s_or_b64 exec, exec, s[8:9]
.LBB571_179:
	s_or_b64 exec, exec, s[2:3]
	v_cmp_ne_u16_sdwa s[8:9], v41, v53 src0_sel:BYTE_0 src1_sel:DWORD
	s_and_saveexec_b64 s[2:3], s[8:9]
	s_cbranch_execz .LBB571_185
; %bb.180:
	s_movk_i32 s8, 0x80
	v_cmp_ne_u16_sdwa s[10:11], v41, s8 src0_sel:BYTE_0 src1_sel:DWORD
	v_bfrev_b32_e32 v53, 1
	s_and_saveexec_b64 s[8:9], s[10:11]
	s_cbranch_execz .LBB571_184
; %bb.181:
	s_movk_i32 s10, 0x7f
	v_and_b32_e32 v38, 0x7f, v41
	v_cmp_ne_u32_e32 vcc, s10, v38
	v_mov_b32_e32 v53, 0x7f800001
	s_and_saveexec_b64 s[10:11], vcc
	s_cbranch_execz .LBB571_183
; %bb.182:
	v_and_b32_e32 v50, 7, v41
	v_ffbh_u32_e32 v55, v50
	v_min_u32_e32 v55, 32, v55
	v_mov_b32_e32 v40, v41
	v_subrev_u32_e32 v56, 28, v55
	v_lshlrev_b64 v[56:57], v56, v[40:41]
	v_lshrrev_b32_e32 v53, 3, v38
	v_sub_u32_e32 v40, 29, v55
	v_and_b32_e32 v55, 7, v56
	v_cmp_gt_u32_e32 vcc, 8, v38
	v_cndmask_b32_e32 v38, v53, v40, vcc
	v_cndmask_b32_e32 v40, v50, v55, vcc
	v_lshlrev_b32_e32 v50, 24, v41
	v_bfrev_b32_e32 v53, 60
	v_lshlrev_b32_e32 v40, 20, v40
	v_and_b32_e32 v50, 0x80000000, v50
	v_lshl_add_u32 v38, v38, 23, v53
	v_or3_b32 v53, v50, v38, v40
.LBB571_183:
	s_or_b64 exec, exec, s[10:11]
.LBB571_184:
	s_or_b64 exec, exec, s[8:9]
.LBB571_185:
	s_or_b64 exec, exec, s[2:3]
	v_lshrrev_b16_e32 v38, 8, v41
	v_cmp_ne_u16_e32 vcc, 0, v38
	v_mov_b32_e32 v40, 0
	v_mov_b32_e32 v55, 0
	s_and_saveexec_b64 s[2:3], vcc
	s_cbranch_execz .LBB571_191
; %bb.186:
	s_movk_i32 s8, 0x80
	v_cmp_ne_u16_e32 vcc, s8, v38
	v_bfrev_b32_e32 v55, 1
	s_and_saveexec_b64 s[8:9], vcc
	s_cbranch_execz .LBB571_190
; %bb.187:
	s_movk_i32 s10, 0x7f
	v_and_b32_e32 v50, 0x7f, v38
	v_cmp_ne_u32_e32 vcc, s10, v50
	v_mov_b32_e32 v55, 0x7f800001
	s_and_saveexec_b64 s[10:11], vcc
	s_cbranch_execz .LBB571_189
; %bb.188:
	v_and_b32_e32 v55, 7, v38
	v_ffbh_u32_e32 v56, v55
	v_min_u32_e32 v59, 32, v56
	v_subrev_u32_e32 v56, 28, v59
	v_lshlrev_b64 v[56:57], v56, v[38:39]
	v_lshrrev_b32_e32 v58, 3, v50
	v_sub_u32_e32 v38, 29, v59
	v_and_b32_e32 v56, 7, v56
	v_cmp_gt_u32_e32 vcc, 8, v50
	v_cndmask_b32_e32 v38, v58, v38, vcc
	v_cndmask_b32_e32 v50, v55, v56, vcc
	v_lshlrev_b32_e32 v55, 16, v41
	v_bfrev_b32_e32 v56, 60
	v_lshlrev_b32_e32 v50, 20, v50
	v_and_b32_e32 v55, 0x80000000, v55
	v_lshl_add_u32 v38, v38, 23, v56
	v_or3_b32 v55, v55, v38, v50
.LBB571_189:
	s_or_b64 exec, exec, s[10:11]
.LBB571_190:
	s_or_b64 exec, exec, s[8:9]
.LBB571_191:
	s_or_b64 exec, exec, s[2:3]
	s_movk_i32 s2, 0xff
	v_and_b32_sdwa v50, v41, s2 dst_sel:DWORD dst_unused:UNUSED_PAD src0_sel:WORD_1 src1_sel:DWORD
	v_lshrrev_b32_e32 v38, 16, v41
	v_cmp_ne_u16_e32 vcc, 0, v50
	s_and_saveexec_b64 s[2:3], vcc
	s_cbranch_execz .LBB571_197
; %bb.192:
	s_movk_i32 s8, 0x80
	v_cmp_ne_u16_e32 vcc, s8, v50
	v_bfrev_b32_e32 v40, 1
	s_and_saveexec_b64 s[8:9], vcc
	s_cbranch_execz .LBB571_196
; %bb.193:
	v_bfe_u32 v50, v41, 16, 7
	s_movk_i32 s10, 0x7f
	v_cmp_ne_u32_e32 vcc, s10, v50
	v_mov_b32_e32 v40, 0x7f800001
	s_and_saveexec_b64 s[10:11], vcc
	s_cbranch_execz .LBB571_195
; %bb.194:
	v_and_b32_e32 v40, 7, v38
	v_ffbh_u32_e32 v56, v40
	v_min_u32_e32 v59, 32, v56
	v_subrev_u32_e32 v56, 28, v59
	v_lshlrev_b64 v[56:57], v56, v[38:39]
	v_lshrrev_b32_e32 v58, 3, v50
	v_sub_u32_e32 v38, 29, v59
	v_and_b32_e32 v56, 7, v56
	v_cmp_gt_u32_e32 vcc, 8, v50
	v_mov_b32_e32 v50, 24
	v_cndmask_b32_e32 v38, v58, v38, vcc
	v_cndmask_b32_e32 v40, v40, v56, vcc
	v_lshlrev_b32_sdwa v50, v50, v41 dst_sel:DWORD dst_unused:UNUSED_PAD src0_sel:DWORD src1_sel:WORD_1
	v_bfrev_b32_e32 v56, 60
	v_lshlrev_b32_e32 v40, 20, v40
	v_and_b32_e32 v50, 0x80000000, v50
	v_lshl_add_u32 v38, v38, 23, v56
	v_or3_b32 v40, v50, v38, v40
.LBB571_195:
	s_or_b64 exec, exec, s[10:11]
.LBB571_196:
	s_or_b64 exec, exec, s[8:9]
.LBB571_197:
	s_or_b64 exec, exec, s[2:3]
	s_mov_b32 s2, 0xffffff
	v_cmp_lt_u32_e32 vcc, s2, v41
	v_mov_b32_e32 v50, 0
	v_mov_b32_e32 v56, 0
	s_and_saveexec_b64 s[2:3], vcc
	s_cbranch_execz .LBB571_203
; %bb.198:
	v_lshrrev_b32_e32 v38, 24, v41
	s_movk_i32 s8, 0x80
	v_cmp_ne_u32_e32 vcc, s8, v38
	v_bfrev_b32_e32 v56, 1
	s_and_saveexec_b64 s[8:9], vcc
	s_cbranch_execz .LBB571_202
; %bb.199:
	v_bfe_u32 v41, v41, 24, 7
	s_movk_i32 s10, 0x7f
	v_cmp_ne_u32_e32 vcc, s10, v41
	v_mov_b32_e32 v56, 0x7f800001
	s_and_saveexec_b64 s[10:11], vcc
	s_cbranch_execz .LBB571_201
; %bb.200:
	v_and_b32_e32 v58, 7, v38
	v_ffbh_u32_e32 v56, v58
	v_min_u32_e32 v60, 32, v56
	v_subrev_u32_e32 v56, 28, v60
	v_lshlrev_b64 v[56:57], v56, v[38:39]
	v_lshrrev_b32_e32 v59, 3, v41
	v_sub_u32_e32 v57, 29, v60
	v_and_b32_e32 v56, 7, v56
	v_cmp_gt_u32_e32 vcc, 8, v41
	v_cndmask_b32_e32 v41, v59, v57, vcc
	v_cndmask_b32_e32 v56, v58, v56, vcc
	v_lshlrev_b32_e32 v38, 24, v38
	v_bfrev_b32_e32 v57, 60
	v_lshlrev_b32_e32 v56, 20, v56
	v_and_b32_e32 v38, 0x80000000, v38
	v_lshl_add_u32 v41, v41, 23, v57
	v_or3_b32 v56, v38, v41, v56
.LBB571_201:
	s_or_b64 exec, exec, s[10:11]
.LBB571_202:
	s_or_b64 exec, exec, s[8:9]
.LBB571_203:
	s_or_b64 exec, exec, s[2:3]
	v_cvt_pkrtz_f16_f32 v38, v51, v52
	v_cvt_pkrtz_f16_f32 v39, v39, v54
	s_waitcnt vmcnt(5)
	v_cmp_ne_u16_sdwa s[8:9], v34, v50 src0_sel:BYTE_0 src1_sel:DWORD
	v_mfma_f32_16x16x16f16 v[42:45], v[38:39], v[18:19], v[42:45]
	v_cvt_pkrtz_f16_f32 v38, v53, v55
	v_cvt_pkrtz_f16_f32 v39, v40, v56
	s_nop 1
	v_mfma_f32_16x16x16f16 v[38:41], v[38:39], v[20:21], v[42:45]
	s_and_saveexec_b64 s[2:3], s[8:9]
	s_cbranch_execz .LBB571_209
; %bb.204:
	s_movk_i32 s8, 0x80
	v_cmp_ne_u16_sdwa s[10:11], v34, s8 src0_sel:BYTE_0 src1_sel:DWORD
	v_bfrev_b32_e32 v50, 1
	s_and_saveexec_b64 s[8:9], s[10:11]
	s_cbranch_execz .LBB571_208
; %bb.205:
	s_movk_i32 s10, 0x7f
	v_and_b32_e32 v42, 0x7f, v34
	v_cmp_ne_u32_e32 vcc, s10, v42
	v_mov_b32_e32 v50, 0x7f800001
	s_and_saveexec_b64 s[10:11], vcc
	s_cbranch_execz .LBB571_207
; %bb.206:
	v_and_b32_e32 v43, 7, v34
	v_ffbh_u32_e32 v44, v43
	v_min_u32_e32 v51, 32, v44
	v_subrev_u32_e32 v44, 28, v51
	v_lshlrev_b64 v[44:45], v44, v[34:35]
	v_lshrrev_b32_e32 v50, 3, v42
	v_sub_u32_e32 v45, 29, v51
	v_and_b32_e32 v44, 7, v44
	v_cmp_gt_u32_e32 vcc, 8, v42
	v_cndmask_b32_e32 v42, v50, v45, vcc
	v_cndmask_b32_e32 v43, v43, v44, vcc
	v_lshlrev_b32_e32 v44, 24, v34
	v_bfrev_b32_e32 v45, 60
	v_lshlrev_b32_e32 v43, 20, v43
	v_and_b32_e32 v44, 0x80000000, v44
	v_lshl_add_u32 v42, v42, 23, v45
	v_or3_b32 v50, v44, v42, v43
.LBB571_207:
	s_or_b64 exec, exec, s[10:11]
.LBB571_208:
	s_or_b64 exec, exec, s[8:9]
.LBB571_209:
	s_or_b64 exec, exec, s[2:3]
	s_nop 3
	v_lshrrev_b16_e32 v42, 8, v34
	v_cmp_ne_u16_e32 vcc, 0, v42
	v_mov_b32_e32 v43, 0
	v_mov_b32_e32 v44, 0
	s_and_saveexec_b64 s[2:3], vcc
	s_cbranch_execz .LBB571_215
; %bb.210:
	s_movk_i32 s8, 0x80
	v_cmp_ne_u16_e32 vcc, s8, v42
	v_bfrev_b32_e32 v44, 1
	s_and_saveexec_b64 s[8:9], vcc
	s_cbranch_execz .LBB571_214
; %bb.211:
	s_movk_i32 s10, 0x7f
	v_and_b32_e32 v45, 0x7f, v42
	v_cmp_ne_u32_e32 vcc, s10, v45
	v_mov_b32_e32 v44, 0x7f800001
	s_and_saveexec_b64 s[10:11], vcc
	s_cbranch_execz .LBB571_213
; %bb.212:
	v_and_b32_e32 v44, 7, v42
	v_ffbh_u32_e32 v52, v44
	v_min_u32_e32 v54, 32, v52
	v_subrev_u32_e32 v52, 28, v54
	v_lshlrev_b64 v[52:53], v52, v[42:43]
	v_lshrrev_b32_e32 v51, 3, v45
	v_sub_u32_e32 v42, 29, v54
	v_and_b32_e32 v52, 7, v52
	v_cmp_gt_u32_e32 vcc, 8, v45
	v_cndmask_b32_e32 v42, v51, v42, vcc
	v_cndmask_b32_e32 v44, v44, v52, vcc
	v_lshlrev_b32_e32 v45, 16, v34
	v_bfrev_b32_e32 v51, 60
	v_lshlrev_b32_e32 v44, 20, v44
	v_and_b32_e32 v45, 0x80000000, v45
	v_lshl_add_u32 v42, v42, 23, v51
	v_or3_b32 v44, v45, v42, v44
.LBB571_213:
	s_or_b64 exec, exec, s[10:11]
.LBB571_214:
	s_or_b64 exec, exec, s[8:9]
.LBB571_215:
	s_or_b64 exec, exec, s[2:3]
	s_movk_i32 s2, 0xff
	v_and_b32_sdwa v45, v34, s2 dst_sel:DWORD dst_unused:UNUSED_PAD src0_sel:WORD_1 src1_sel:DWORD
	v_lshrrev_b32_e32 v42, 16, v34
	v_cmp_ne_u16_e32 vcc, 0, v45
	s_and_saveexec_b64 s[2:3], vcc
	s_cbranch_execz .LBB571_221
; %bb.216:
	s_movk_i32 s8, 0x80
	v_cmp_ne_u16_e32 vcc, s8, v45
	v_bfrev_b32_e32 v43, 1
	s_and_saveexec_b64 s[8:9], vcc
	s_cbranch_execz .LBB571_220
; %bb.217:
	v_bfe_u32 v45, v34, 16, 7
	s_movk_i32 s10, 0x7f
	v_cmp_ne_u32_e32 vcc, s10, v45
	v_mov_b32_e32 v43, 0x7f800001
	s_and_saveexec_b64 s[10:11], vcc
	s_cbranch_execz .LBB571_219
; %bb.218:
	v_and_b32_e32 v51, 7, v42
	v_ffbh_u32_e32 v43, v51
	v_min_u32_e32 v53, 32, v43
	v_subrev_u32_e32 v43, 28, v53
	v_lshlrev_b64 v[42:43], v43, v[42:43]
	v_lshrrev_b32_e32 v52, 3, v45
	v_sub_u32_e32 v43, 29, v53
	v_and_b32_e32 v42, 7, v42
	v_cmp_gt_u32_e32 vcc, 8, v45
	v_mov_b32_e32 v45, 24
	v_cndmask_b32_e32 v43, v52, v43, vcc
	v_cndmask_b32_e32 v42, v51, v42, vcc
	v_lshlrev_b32_sdwa v45, v45, v34 dst_sel:DWORD dst_unused:UNUSED_PAD src0_sel:DWORD src1_sel:WORD_1
	v_bfrev_b32_e32 v51, 60
	v_lshlrev_b32_e32 v42, 20, v42
	v_and_b32_e32 v45, 0x80000000, v45
	v_lshl_add_u32 v43, v43, 23, v51
	v_or3_b32 v43, v45, v43, v42
.LBB571_219:
	s_or_b64 exec, exec, s[10:11]
.LBB571_220:
	s_or_b64 exec, exec, s[8:9]
.LBB571_221:
	s_or_b64 exec, exec, s[2:3]
	s_mov_b32 s2, 0xffffff
	v_cmp_lt_u32_e32 vcc, s2, v34
	v_mov_b32_e32 v45, 0
	v_mov_b32_e32 v52, 0
	s_and_saveexec_b64 s[2:3], vcc
	s_cbranch_execz .LBB571_227
; %bb.222:
	v_lshrrev_b32_e32 v42, 24, v34
	s_movk_i32 s8, 0x80
	v_cmp_ne_u32_e32 vcc, s8, v42
	v_bfrev_b32_e32 v52, 1
	s_and_saveexec_b64 s[8:9], vcc
	s_cbranch_execz .LBB571_226
; %bb.223:
	v_bfe_u32 v34, v34, 24, 7
	s_movk_i32 s10, 0x7f
	v_cmp_ne_u32_e32 vcc, s10, v34
	v_mov_b32_e32 v52, 0x7f800001
	s_and_saveexec_b64 s[10:11], vcc
	s_cbranch_execz .LBB571_225
; %bb.224:
	v_and_b32_e32 v51, 7, v42
	v_ffbh_u32_e32 v52, v51
	v_min_u32_e32 v55, 32, v52
	v_subrev_u32_e32 v52, 28, v55
	v_lshlrev_b64 v[52:53], v52, v[42:43]
	v_lshrrev_b32_e32 v54, 3, v34
	v_sub_u32_e32 v53, 29, v55
	v_and_b32_e32 v52, 7, v52
	v_cmp_gt_u32_e32 vcc, 8, v34
	v_cndmask_b32_e32 v34, v54, v53, vcc
	v_cndmask_b32_e32 v51, v51, v52, vcc
	v_lshlrev_b32_e32 v42, 24, v42
	v_bfrev_b32_e32 v52, 60
	v_lshlrev_b32_e32 v51, 20, v51
	v_and_b32_e32 v42, 0x80000000, v42
	v_lshl_add_u32 v34, v34, 23, v52
	v_or3_b32 v52, v42, v34, v51
.LBB571_225:
	s_or_b64 exec, exec, s[10:11]
.LBB571_226:
	s_or_b64 exec, exec, s[8:9]
.LBB571_227:
	s_or_b64 exec, exec, s[2:3]
	v_cmp_ne_u16_sdwa s[8:9], v35, v45 src0_sel:BYTE_0 src1_sel:DWORD
	s_and_saveexec_b64 s[2:3], s[8:9]
	s_cbranch_execz .LBB571_233
; %bb.228:
	s_movk_i32 s8, 0x80
	v_cmp_ne_u16_sdwa s[10:11], v35, s8 src0_sel:BYTE_0 src1_sel:DWORD
	v_bfrev_b32_e32 v45, 1
	s_and_saveexec_b64 s[8:9], s[10:11]
	s_cbranch_execz .LBB571_232
; %bb.229:
	s_movk_i32 s10, 0x7f
	v_and_b32_e32 v34, 0x7f, v35
	v_cmp_ne_u32_e32 vcc, s10, v34
	v_mov_b32_e32 v45, 0x7f800001
	s_and_saveexec_b64 s[10:11], vcc
	s_cbranch_execz .LBB571_231
; %bb.230:
	v_and_b32_e32 v45, 7, v35
	v_ffbh_u32_e32 v53, v45
	v_min_u32_e32 v53, 32, v53
	v_mov_b32_e32 v42, v35
	v_subrev_u32_e32 v54, 28, v53
	v_lshlrev_b64 v[54:55], v54, v[42:43]
	v_lshrrev_b32_e32 v51, 3, v34
	v_sub_u32_e32 v42, 29, v53
	v_and_b32_e32 v53, 7, v54
	v_cmp_gt_u32_e32 vcc, 8, v34
	v_cndmask_b32_e32 v34, v51, v42, vcc
	v_cndmask_b32_e32 v42, v45, v53, vcc
	v_lshlrev_b32_e32 v45, 24, v35
	v_bfrev_b32_e32 v51, 60
	v_lshlrev_b32_e32 v42, 20, v42
	v_and_b32_e32 v45, 0x80000000, v45
	v_lshl_add_u32 v34, v34, 23, v51
	v_or3_b32 v45, v45, v34, v42
.LBB571_231:
	s_or_b64 exec, exec, s[10:11]
.LBB571_232:
	s_or_b64 exec, exec, s[8:9]
.LBB571_233:
	s_or_b64 exec, exec, s[2:3]
	v_lshrrev_b16_e32 v34, 8, v35
	v_cmp_ne_u16_e32 vcc, 0, v34
	v_mov_b32_e32 v42, 0
	v_mov_b32_e32 v53, 0
	s_and_saveexec_b64 s[2:3], vcc
	s_cbranch_execz .LBB571_239
; %bb.234:
	s_movk_i32 s8, 0x80
	v_cmp_ne_u16_e32 vcc, s8, v34
	v_bfrev_b32_e32 v53, 1
	s_and_saveexec_b64 s[8:9], vcc
	s_cbranch_execz .LBB571_238
; %bb.235:
	s_movk_i32 s10, 0x7f
	v_and_b32_e32 v51, 0x7f, v34
	v_cmp_ne_u32_e32 vcc, s10, v51
	v_mov_b32_e32 v53, 0x7f800001
	s_and_saveexec_b64 s[10:11], vcc
	s_cbranch_execz .LBB571_237
; %bb.236:
	v_and_b32_e32 v53, 7, v34
	v_ffbh_u32_e32 v54, v53
	v_min_u32_e32 v57, 32, v54
	v_subrev_u32_e32 v54, 28, v57
	v_lshlrev_b64 v[54:55], v54, v[34:35]
	v_lshrrev_b32_e32 v56, 3, v51
	v_sub_u32_e32 v34, 29, v57
	v_and_b32_e32 v54, 7, v54
	v_cmp_gt_u32_e32 vcc, 8, v51
	v_cndmask_b32_e32 v34, v56, v34, vcc
	v_cndmask_b32_e32 v51, v53, v54, vcc
	v_lshlrev_b32_e32 v53, 16, v35
	v_bfrev_b32_e32 v54, 60
	v_lshlrev_b32_e32 v51, 20, v51
	v_and_b32_e32 v53, 0x80000000, v53
	v_lshl_add_u32 v34, v34, 23, v54
	v_or3_b32 v53, v53, v34, v51
.LBB571_237:
	s_or_b64 exec, exec, s[10:11]
.LBB571_238:
	s_or_b64 exec, exec, s[8:9]
.LBB571_239:
	s_or_b64 exec, exec, s[2:3]
	s_movk_i32 s2, 0xff
	v_and_b32_sdwa v51, v35, s2 dst_sel:DWORD dst_unused:UNUSED_PAD src0_sel:WORD_1 src1_sel:DWORD
	v_lshrrev_b32_e32 v34, 16, v35
	v_cmp_ne_u16_e32 vcc, 0, v51
	s_and_saveexec_b64 s[2:3], vcc
	s_cbranch_execz .LBB571_245
; %bb.240:
	s_movk_i32 s8, 0x80
	v_cmp_ne_u16_e32 vcc, s8, v51
	v_bfrev_b32_e32 v42, 1
	s_and_saveexec_b64 s[8:9], vcc
	s_cbranch_execz .LBB571_244
; %bb.241:
	v_bfe_u32 v51, v35, 16, 7
	s_movk_i32 s10, 0x7f
	v_cmp_ne_u32_e32 vcc, s10, v51
	v_mov_b32_e32 v42, 0x7f800001
	s_and_saveexec_b64 s[10:11], vcc
	s_cbranch_execz .LBB571_243
; %bb.242:
	v_and_b32_e32 v42, 7, v34
	v_ffbh_u32_e32 v54, v42
	v_min_u32_e32 v57, 32, v54
	v_subrev_u32_e32 v54, 28, v57
	v_lshlrev_b64 v[54:55], v54, v[34:35]
	v_lshrrev_b32_e32 v56, 3, v51
	v_sub_u32_e32 v34, 29, v57
	v_and_b32_e32 v54, 7, v54
	v_cmp_gt_u32_e32 vcc, 8, v51
	v_mov_b32_e32 v51, 24
	v_cndmask_b32_e32 v34, v56, v34, vcc
	v_cndmask_b32_e32 v42, v42, v54, vcc
	v_lshlrev_b32_sdwa v51, v51, v35 dst_sel:DWORD dst_unused:UNUSED_PAD src0_sel:DWORD src1_sel:WORD_1
	v_bfrev_b32_e32 v54, 60
	v_lshlrev_b32_e32 v42, 20, v42
	v_and_b32_e32 v51, 0x80000000, v51
	v_lshl_add_u32 v34, v34, 23, v54
	v_or3_b32 v42, v51, v34, v42
.LBB571_243:
	s_or_b64 exec, exec, s[10:11]
.LBB571_244:
	s_or_b64 exec, exec, s[8:9]
.LBB571_245:
	s_or_b64 exec, exec, s[2:3]
	s_mov_b32 s2, 0xffffff
	v_cmp_lt_u32_e32 vcc, s2, v35
	v_mov_b32_e32 v51, 0
	v_mov_b32_e32 v54, 0
	s_and_saveexec_b64 s[2:3], vcc
	s_cbranch_execz .LBB571_251
; %bb.246:
	v_lshrrev_b32_e32 v34, 24, v35
	s_movk_i32 s8, 0x80
	v_cmp_ne_u32_e32 vcc, s8, v34
	v_bfrev_b32_e32 v54, 1
	s_and_saveexec_b64 s[8:9], vcc
	s_cbranch_execz .LBB571_250
; %bb.247:
	v_bfe_u32 v35, v35, 24, 7
	s_movk_i32 s10, 0x7f
	v_cmp_ne_u32_e32 vcc, s10, v35
	v_mov_b32_e32 v54, 0x7f800001
	s_and_saveexec_b64 s[10:11], vcc
	s_cbranch_execz .LBB571_249
; %bb.248:
	v_and_b32_e32 v56, 7, v34
	v_ffbh_u32_e32 v54, v56
	v_min_u32_e32 v58, 32, v54
	v_subrev_u32_e32 v54, 28, v58
	v_lshlrev_b64 v[54:55], v54, v[34:35]
	v_lshrrev_b32_e32 v57, 3, v35
	v_sub_u32_e32 v55, 29, v58
	v_and_b32_e32 v54, 7, v54
	v_cmp_gt_u32_e32 vcc, 8, v35
	v_cndmask_b32_e32 v35, v57, v55, vcc
	v_cndmask_b32_e32 v54, v56, v54, vcc
	v_lshlrev_b32_e32 v34, 24, v34
	v_bfrev_b32_e32 v55, 60
	v_lshlrev_b32_e32 v54, 20, v54
	v_and_b32_e32 v34, 0x80000000, v34
	v_lshl_add_u32 v35, v35, 23, v55
	v_or3_b32 v54, v34, v35, v54
.LBB571_249:
	s_or_b64 exec, exec, s[10:11]
.LBB571_250:
	s_or_b64 exec, exec, s[8:9]
.LBB571_251:
	s_or_b64 exec, exec, s[2:3]
	v_cvt_pkrtz_f16_f32 v34, v50, v44
	v_cvt_pkrtz_f16_f32 v35, v43, v52
	v_cmp_ne_u16_sdwa s[8:9], v36, v51 src0_sel:BYTE_0 src1_sel:DWORD
	s_nop 0
	v_mfma_f32_16x16x16f16 v[56:59], v[34:35], v[26:27], 0
	v_cvt_pkrtz_f16_f32 v34, v45, v53
	v_cvt_pkrtz_f16_f32 v35, v42, v54
	s_nop 1
	v_mfma_f32_16x16x16f16 v[42:45], v[34:35], v[28:29], v[56:59]
	s_and_saveexec_b64 s[2:3], s[8:9]
	s_cbranch_execz .LBB571_257
; %bb.252:
	s_movk_i32 s8, 0x80
	v_cmp_ne_u16_sdwa s[10:11], v36, s8 src0_sel:BYTE_0 src1_sel:DWORD
	v_bfrev_b32_e32 v51, 1
	s_and_saveexec_b64 s[8:9], s[10:11]
	s_cbranch_execz .LBB571_256
; %bb.253:
	s_movk_i32 s10, 0x7f
	v_and_b32_e32 v34, 0x7f, v36
	v_cmp_ne_u32_e32 vcc, s10, v34
	v_mov_b32_e32 v51, 0x7f800001
	s_and_saveexec_b64 s[10:11], vcc
	s_cbranch_execz .LBB571_255
; %bb.254:
	v_and_b32_e32 v35, 7, v36
	v_ffbh_u32_e32 v50, v35
	v_min_u32_e32 v53, 32, v50
	v_subrev_u32_e32 v50, 28, v53
	v_lshlrev_b64 v[50:51], v50, v[36:37]
	v_lshrrev_b32_e32 v52, 3, v34
	v_sub_u32_e32 v51, 29, v53
	v_and_b32_e32 v50, 7, v50
	v_cmp_gt_u32_e32 vcc, 8, v34
	v_cndmask_b32_e32 v34, v52, v51, vcc
	v_cndmask_b32_e32 v35, v35, v50, vcc
	v_lshlrev_b32_e32 v50, 24, v36
	v_bfrev_b32_e32 v51, 60
	v_lshlrev_b32_e32 v35, 20, v35
	v_and_b32_e32 v50, 0x80000000, v50
	v_lshl_add_u32 v34, v34, 23, v51
	v_or3_b32 v51, v50, v34, v35
.LBB571_255:
	s_or_b64 exec, exec, s[10:11]
.LBB571_256:
	s_or_b64 exec, exec, s[8:9]
.LBB571_257:
	s_or_b64 exec, exec, s[2:3]
	v_lshrrev_b16_e32 v34, 8, v36
	v_cmp_ne_u16_e32 vcc, 0, v34
	v_mov_b32_e32 v35, 0
	v_mov_b32_e32 v52, 0
	s_and_saveexec_b64 s[2:3], vcc
	s_cbranch_execz .LBB571_263
; %bb.258:
	s_movk_i32 s8, 0x80
	v_cmp_ne_u16_e32 vcc, s8, v34
	v_bfrev_b32_e32 v52, 1
	s_and_saveexec_b64 s[8:9], vcc
	s_cbranch_execz .LBB571_262
; %bb.259:
	s_movk_i32 s10, 0x7f
	v_and_b32_e32 v50, 0x7f, v34
	v_cmp_ne_u32_e32 vcc, s10, v50
	v_mov_b32_e32 v52, 0x7f800001
	s_and_saveexec_b64 s[10:11], vcc
	s_cbranch_execz .LBB571_261
; %bb.260:
	v_and_b32_e32 v54, 7, v34
	v_ffbh_u32_e32 v52, v54
	v_min_u32_e32 v56, 32, v52
	v_subrev_u32_e32 v52, 28, v56
	v_lshlrev_b64 v[52:53], v52, v[34:35]
	v_lshrrev_b32_e32 v55, 3, v50
	v_sub_u32_e32 v34, 29, v56
	v_and_b32_e32 v52, 7, v52
	v_cmp_gt_u32_e32 vcc, 8, v50
	v_cndmask_b32_e32 v34, v55, v34, vcc
	v_cndmask_b32_e32 v50, v54, v52, vcc
	v_lshlrev_b32_e32 v52, 16, v36
	v_bfrev_b32_e32 v53, 60
	v_lshlrev_b32_e32 v50, 20, v50
	v_and_b32_e32 v52, 0x80000000, v52
	v_lshl_add_u32 v34, v34, 23, v53
	v_or3_b32 v52, v52, v34, v50
.LBB571_261:
	s_or_b64 exec, exec, s[10:11]
.LBB571_262:
	s_or_b64 exec, exec, s[8:9]
.LBB571_263:
	s_or_b64 exec, exec, s[2:3]
	s_movk_i32 s2, 0xff
	v_and_b32_sdwa v50, v36, s2 dst_sel:DWORD dst_unused:UNUSED_PAD src0_sel:WORD_1 src1_sel:DWORD
	v_lshrrev_b32_e32 v34, 16, v36
	v_cmp_ne_u16_e32 vcc, 0, v50
	s_and_saveexec_b64 s[2:3], vcc
	s_cbranch_execz .LBB571_269
; %bb.264:
	s_movk_i32 s8, 0x80
	v_cmp_ne_u16_e32 vcc, s8, v50
	v_bfrev_b32_e32 v35, 1
	s_and_saveexec_b64 s[8:9], vcc
	s_cbranch_execz .LBB571_268
; %bb.265:
	v_bfe_u32 v50, v36, 16, 7
	s_movk_i32 s10, 0x7f
	v_cmp_ne_u32_e32 vcc, s10, v50
	v_mov_b32_e32 v35, 0x7f800001
	s_and_saveexec_b64 s[10:11], vcc
	s_cbranch_execz .LBB571_267
; %bb.266:
	v_and_b32_e32 v53, 7, v34
	v_ffbh_u32_e32 v35, v53
	v_min_u32_e32 v55, 32, v35
	v_subrev_u32_e32 v35, 28, v55
	v_lshlrev_b64 v[34:35], v35, v[34:35]
	v_lshrrev_b32_e32 v54, 3, v50
	v_sub_u32_e32 v35, 29, v55
	v_and_b32_e32 v34, 7, v34
	v_cmp_gt_u32_e32 vcc, 8, v50
	v_mov_b32_e32 v50, 24
	v_cndmask_b32_e32 v35, v54, v35, vcc
	v_cndmask_b32_e32 v34, v53, v34, vcc
	v_lshlrev_b32_sdwa v50, v50, v36 dst_sel:DWORD dst_unused:UNUSED_PAD src0_sel:DWORD src1_sel:WORD_1
	v_bfrev_b32_e32 v53, 60
	v_lshlrev_b32_e32 v34, 20, v34
	v_and_b32_e32 v50, 0x80000000, v50
	v_lshl_add_u32 v35, v35, 23, v53
	v_or3_b32 v35, v50, v35, v34
.LBB571_267:
	s_or_b64 exec, exec, s[10:11]
.LBB571_268:
	s_or_b64 exec, exec, s[8:9]
.LBB571_269:
	s_or_b64 exec, exec, s[2:3]
	s_mov_b32 s2, 0xffffff
	v_cmp_lt_u32_e32 vcc, s2, v36
	v_mov_b32_e32 v53, 0
	v_mov_b32_e32 v54, 0
	s_and_saveexec_b64 s[2:3], vcc
	s_cbranch_execz .LBB571_275
; %bb.270:
	v_lshrrev_b32_e32 v34, 24, v36
	s_movk_i32 s8, 0x80
	v_cmp_ne_u32_e32 vcc, s8, v34
	v_bfrev_b32_e32 v54, 1
	s_and_saveexec_b64 s[8:9], vcc
	s_cbranch_execz .LBB571_274
; %bb.271:
	v_bfe_u32 v36, v36, 24, 7
	s_movk_i32 s10, 0x7f
	v_cmp_ne_u32_e32 vcc, s10, v36
	v_mov_b32_e32 v54, 0x7f800001
	s_and_saveexec_b64 s[10:11], vcc
	s_cbranch_execz .LBB571_273
; %bb.272:
	v_and_b32_e32 v50, 7, v34
	v_ffbh_u32_e32 v54, v50
	v_min_u32_e32 v57, 32, v54
	v_subrev_u32_e32 v54, 28, v57
	v_lshlrev_b64 v[54:55], v54, v[34:35]
	v_lshrrev_b32_e32 v56, 3, v36
	v_sub_u32_e32 v55, 29, v57
	v_and_b32_e32 v54, 7, v54
	v_cmp_gt_u32_e32 vcc, 8, v36
	v_cndmask_b32_e32 v36, v56, v55, vcc
	v_cndmask_b32_e32 v50, v50, v54, vcc
	v_lshlrev_b32_e32 v34, 24, v34
	v_bfrev_b32_e32 v54, 60
	v_lshlrev_b32_e32 v50, 20, v50
	v_and_b32_e32 v34, 0x80000000, v34
	v_lshl_add_u32 v36, v36, 23, v54
	v_or3_b32 v54, v34, v36, v50
.LBB571_273:
	s_or_b64 exec, exec, s[10:11]
.LBB571_274:
	s_or_b64 exec, exec, s[8:9]
.LBB571_275:
	s_or_b64 exec, exec, s[2:3]
	v_cmp_ne_u16_sdwa s[8:9], v37, v53 src0_sel:BYTE_0 src1_sel:DWORD
	s_and_saveexec_b64 s[2:3], s[8:9]
	s_cbranch_execz .LBB571_281
; %bb.276:
	s_movk_i32 s8, 0x80
	v_cmp_ne_u16_sdwa s[10:11], v37, s8 src0_sel:BYTE_0 src1_sel:DWORD
	v_bfrev_b32_e32 v53, 1
	s_and_saveexec_b64 s[8:9], s[10:11]
	s_cbranch_execz .LBB571_280
; %bb.277:
	s_movk_i32 s10, 0x7f
	v_and_b32_e32 v34, 0x7f, v37
	v_cmp_ne_u32_e32 vcc, s10, v34
	v_mov_b32_e32 v53, 0x7f800001
	s_and_saveexec_b64 s[10:11], vcc
	s_cbranch_execz .LBB571_279
; %bb.278:
	v_and_b32_e32 v50, 7, v37
	v_ffbh_u32_e32 v55, v50
	v_min_u32_e32 v55, 32, v55
	v_mov_b32_e32 v36, v37
	v_subrev_u32_e32 v56, 28, v55
	v_lshlrev_b64 v[56:57], v56, v[36:37]
	v_lshrrev_b32_e32 v53, 3, v34
	v_sub_u32_e32 v36, 29, v55
	v_and_b32_e32 v55, 7, v56
	v_cmp_gt_u32_e32 vcc, 8, v34
	v_cndmask_b32_e32 v34, v53, v36, vcc
	v_cndmask_b32_e32 v36, v50, v55, vcc
	v_lshlrev_b32_e32 v50, 24, v37
	v_bfrev_b32_e32 v53, 60
	v_lshlrev_b32_e32 v36, 20, v36
	v_and_b32_e32 v50, 0x80000000, v50
	v_lshl_add_u32 v34, v34, 23, v53
	v_or3_b32 v53, v50, v34, v36
.LBB571_279:
	s_or_b64 exec, exec, s[10:11]
.LBB571_280:
	s_or_b64 exec, exec, s[8:9]
.LBB571_281:
	s_or_b64 exec, exec, s[2:3]
	v_lshrrev_b16_e32 v34, 8, v37
	v_cmp_ne_u16_e32 vcc, 0, v34
	v_mov_b32_e32 v36, 0
	v_mov_b32_e32 v55, 0
	s_and_saveexec_b64 s[2:3], vcc
	s_cbranch_execz .LBB571_287
; %bb.282:
	s_movk_i32 s8, 0x80
	v_cmp_ne_u16_e32 vcc, s8, v34
	v_bfrev_b32_e32 v55, 1
	s_and_saveexec_b64 s[8:9], vcc
	s_cbranch_execz .LBB571_286
; %bb.283:
	s_movk_i32 s10, 0x7f
	v_and_b32_e32 v50, 0x7f, v34
	v_cmp_ne_u32_e32 vcc, s10, v50
	v_mov_b32_e32 v55, 0x7f800001
	s_and_saveexec_b64 s[10:11], vcc
	s_cbranch_execz .LBB571_285
; %bb.284:
	v_and_b32_e32 v55, 7, v34
	v_ffbh_u32_e32 v56, v55
	v_min_u32_e32 v59, 32, v56
	v_subrev_u32_e32 v56, 28, v59
	v_lshlrev_b64 v[56:57], v56, v[34:35]
	v_lshrrev_b32_e32 v58, 3, v50
	v_sub_u32_e32 v34, 29, v59
	v_and_b32_e32 v56, 7, v56
	v_cmp_gt_u32_e32 vcc, 8, v50
	v_cndmask_b32_e32 v34, v58, v34, vcc
	v_cndmask_b32_e32 v50, v55, v56, vcc
	v_lshlrev_b32_e32 v55, 16, v37
	v_bfrev_b32_e32 v56, 60
	v_lshlrev_b32_e32 v50, 20, v50
	v_and_b32_e32 v55, 0x80000000, v55
	v_lshl_add_u32 v34, v34, 23, v56
	v_or3_b32 v55, v55, v34, v50
.LBB571_285:
	s_or_b64 exec, exec, s[10:11]
.LBB571_286:
	s_or_b64 exec, exec, s[8:9]
.LBB571_287:
	s_or_b64 exec, exec, s[2:3]
	s_movk_i32 s2, 0xff
	v_and_b32_sdwa v50, v37, s2 dst_sel:DWORD dst_unused:UNUSED_PAD src0_sel:WORD_1 src1_sel:DWORD
	v_lshrrev_b32_e32 v34, 16, v37
	v_cmp_ne_u16_e32 vcc, 0, v50
	s_and_saveexec_b64 s[2:3], vcc
	s_cbranch_execz .LBB571_293
; %bb.288:
	s_movk_i32 s8, 0x80
	v_cmp_ne_u16_e32 vcc, s8, v50
	v_bfrev_b32_e32 v36, 1
	s_and_saveexec_b64 s[8:9], vcc
	s_cbranch_execz .LBB571_292
; %bb.289:
	v_bfe_u32 v50, v37, 16, 7
	s_movk_i32 s10, 0x7f
	v_cmp_ne_u32_e32 vcc, s10, v50
	v_mov_b32_e32 v36, 0x7f800001
	s_and_saveexec_b64 s[10:11], vcc
	s_cbranch_execz .LBB571_291
; %bb.290:
	v_and_b32_e32 v36, 7, v34
	v_ffbh_u32_e32 v56, v36
	v_min_u32_e32 v59, 32, v56
	v_subrev_u32_e32 v56, 28, v59
	v_lshlrev_b64 v[56:57], v56, v[34:35]
	v_lshrrev_b32_e32 v58, 3, v50
	v_sub_u32_e32 v34, 29, v59
	v_and_b32_e32 v56, 7, v56
	v_cmp_gt_u32_e32 vcc, 8, v50
	v_mov_b32_e32 v50, 24
	v_cndmask_b32_e32 v34, v58, v34, vcc
	v_cndmask_b32_e32 v36, v36, v56, vcc
	v_lshlrev_b32_sdwa v50, v50, v37 dst_sel:DWORD dst_unused:UNUSED_PAD src0_sel:DWORD src1_sel:WORD_1
	v_bfrev_b32_e32 v56, 60
	v_lshlrev_b32_e32 v36, 20, v36
	v_and_b32_e32 v50, 0x80000000, v50
	v_lshl_add_u32 v34, v34, 23, v56
	v_or3_b32 v36, v50, v34, v36
.LBB571_291:
	s_or_b64 exec, exec, s[10:11]
.LBB571_292:
	s_or_b64 exec, exec, s[8:9]
.LBB571_293:
	s_or_b64 exec, exec, s[2:3]
	s_mov_b32 s2, 0xffffff
	v_cmp_lt_u32_e32 vcc, s2, v37
	v_mov_b32_e32 v50, 0
	v_mov_b32_e32 v56, 0
	s_and_saveexec_b64 s[2:3], vcc
	s_cbranch_execz .LBB571_299
; %bb.294:
	v_lshrrev_b32_e32 v34, 24, v37
	s_movk_i32 s8, 0x80
	v_cmp_ne_u32_e32 vcc, s8, v34
	v_bfrev_b32_e32 v56, 1
	s_and_saveexec_b64 s[8:9], vcc
	s_cbranch_execz .LBB571_298
; %bb.295:
	v_bfe_u32 v37, v37, 24, 7
	s_movk_i32 s10, 0x7f
	v_cmp_ne_u32_e32 vcc, s10, v37
	v_mov_b32_e32 v56, 0x7f800001
	s_and_saveexec_b64 s[10:11], vcc
	s_cbranch_execz .LBB571_297
; %bb.296:
	v_and_b32_e32 v58, 7, v34
	v_ffbh_u32_e32 v56, v58
	v_min_u32_e32 v60, 32, v56
	v_subrev_u32_e32 v56, 28, v60
	v_lshlrev_b64 v[56:57], v56, v[34:35]
	v_lshrrev_b32_e32 v59, 3, v37
	v_sub_u32_e32 v57, 29, v60
	v_and_b32_e32 v56, 7, v56
	v_cmp_gt_u32_e32 vcc, 8, v37
	v_cndmask_b32_e32 v37, v59, v57, vcc
	v_cndmask_b32_e32 v56, v58, v56, vcc
	v_lshlrev_b32_e32 v34, 24, v34
	v_bfrev_b32_e32 v57, 60
	v_lshlrev_b32_e32 v56, 20, v56
	v_and_b32_e32 v34, 0x80000000, v34
	v_lshl_add_u32 v37, v37, 23, v57
	v_or3_b32 v56, v34, v37, v56
.LBB571_297:
	s_or_b64 exec, exec, s[10:11]
.LBB571_298:
	s_or_b64 exec, exec, s[8:9]
.LBB571_299:
	s_or_b64 exec, exec, s[2:3]
	v_cvt_pkrtz_f16_f32 v34, v51, v52
	v_cvt_pkrtz_f16_f32 v35, v35, v54
	s_waitcnt vmcnt(4)
	v_cmp_ne_u16_sdwa s[8:9], v22, v50 src0_sel:BYTE_0 src1_sel:DWORD
	v_mfma_f32_16x16x16f16 v[42:45], v[34:35], v[18:19], v[42:45]
	v_cvt_pkrtz_f16_f32 v34, v53, v55
	v_cvt_pkrtz_f16_f32 v35, v36, v56
	s_nop 1
	v_mfma_f32_16x16x16f16 v[34:37], v[34:35], v[20:21], v[42:45]
	s_and_saveexec_b64 s[2:3], s[8:9]
	s_cbranch_execz .LBB571_305
; %bb.300:
	s_movk_i32 s8, 0x80
	v_cmp_ne_u16_sdwa s[10:11], v22, s8 src0_sel:BYTE_0 src1_sel:DWORD
	v_bfrev_b32_e32 v50, 1
	s_and_saveexec_b64 s[8:9], s[10:11]
	s_cbranch_execz .LBB571_304
; %bb.301:
	s_movk_i32 s10, 0x7f
	v_and_b32_e32 v42, 0x7f, v22
	v_cmp_ne_u32_e32 vcc, s10, v42
	v_mov_b32_e32 v50, 0x7f800001
	s_and_saveexec_b64 s[10:11], vcc
	s_cbranch_execz .LBB571_303
; %bb.302:
	v_and_b32_e32 v43, 7, v22
	v_ffbh_u32_e32 v44, v43
	v_min_u32_e32 v51, 32, v44
	v_subrev_u32_e32 v44, 28, v51
	v_lshlrev_b64 v[44:45], v44, v[22:23]
	v_lshrrev_b32_e32 v50, 3, v42
	v_sub_u32_e32 v45, 29, v51
	v_and_b32_e32 v44, 7, v44
	v_cmp_gt_u32_e32 vcc, 8, v42
	v_cndmask_b32_e32 v42, v50, v45, vcc
	v_cndmask_b32_e32 v43, v43, v44, vcc
	v_lshlrev_b32_e32 v44, 24, v22
	v_bfrev_b32_e32 v45, 60
	v_lshlrev_b32_e32 v43, 20, v43
	v_and_b32_e32 v44, 0x80000000, v44
	v_lshl_add_u32 v42, v42, 23, v45
	v_or3_b32 v50, v44, v42, v43
.LBB571_303:
	s_or_b64 exec, exec, s[10:11]
.LBB571_304:
	s_or_b64 exec, exec, s[8:9]
.LBB571_305:
	s_or_b64 exec, exec, s[2:3]
	s_nop 3
	v_lshrrev_b16_e32 v42, 8, v22
	v_cmp_ne_u16_e32 vcc, 0, v42
	v_mov_b32_e32 v43, 0
	v_mov_b32_e32 v44, 0
	s_and_saveexec_b64 s[2:3], vcc
	s_cbranch_execz .LBB571_311
; %bb.306:
	s_movk_i32 s8, 0x80
	v_cmp_ne_u16_e32 vcc, s8, v42
	v_bfrev_b32_e32 v44, 1
	s_and_saveexec_b64 s[8:9], vcc
	s_cbranch_execz .LBB571_310
; %bb.307:
	s_movk_i32 s10, 0x7f
	v_and_b32_e32 v45, 0x7f, v42
	v_cmp_ne_u32_e32 vcc, s10, v45
	v_mov_b32_e32 v44, 0x7f800001
	s_and_saveexec_b64 s[10:11], vcc
	s_cbranch_execz .LBB571_309
; %bb.308:
	v_and_b32_e32 v44, 7, v42
	v_ffbh_u32_e32 v52, v44
	v_min_u32_e32 v54, 32, v52
	v_subrev_u32_e32 v52, 28, v54
	v_lshlrev_b64 v[52:53], v52, v[42:43]
	v_lshrrev_b32_e32 v51, 3, v45
	v_sub_u32_e32 v42, 29, v54
	v_and_b32_e32 v52, 7, v52
	v_cmp_gt_u32_e32 vcc, 8, v45
	v_cndmask_b32_e32 v42, v51, v42, vcc
	v_cndmask_b32_e32 v44, v44, v52, vcc
	v_lshlrev_b32_e32 v45, 16, v22
	v_bfrev_b32_e32 v51, 60
	v_lshlrev_b32_e32 v44, 20, v44
	v_and_b32_e32 v45, 0x80000000, v45
	v_lshl_add_u32 v42, v42, 23, v51
	v_or3_b32 v44, v45, v42, v44
.LBB571_309:
	s_or_b64 exec, exec, s[10:11]
.LBB571_310:
	s_or_b64 exec, exec, s[8:9]
.LBB571_311:
	s_or_b64 exec, exec, s[2:3]
	s_movk_i32 s2, 0xff
	v_and_b32_sdwa v45, v22, s2 dst_sel:DWORD dst_unused:UNUSED_PAD src0_sel:WORD_1 src1_sel:DWORD
	v_lshrrev_b32_e32 v42, 16, v22
	v_cmp_ne_u16_e32 vcc, 0, v45
	s_and_saveexec_b64 s[2:3], vcc
	s_cbranch_execz .LBB571_317
; %bb.312:
	s_movk_i32 s8, 0x80
	v_cmp_ne_u16_e32 vcc, s8, v45
	v_bfrev_b32_e32 v43, 1
	s_and_saveexec_b64 s[8:9], vcc
	s_cbranch_execz .LBB571_316
; %bb.313:
	v_bfe_u32 v45, v22, 16, 7
	s_movk_i32 s10, 0x7f
	v_cmp_ne_u32_e32 vcc, s10, v45
	v_mov_b32_e32 v43, 0x7f800001
	s_and_saveexec_b64 s[10:11], vcc
	s_cbranch_execz .LBB571_315
; %bb.314:
	v_and_b32_e32 v51, 7, v42
	v_ffbh_u32_e32 v43, v51
	v_min_u32_e32 v53, 32, v43
	v_subrev_u32_e32 v43, 28, v53
	v_lshlrev_b64 v[42:43], v43, v[42:43]
	v_lshrrev_b32_e32 v52, 3, v45
	v_sub_u32_e32 v43, 29, v53
	v_and_b32_e32 v42, 7, v42
	v_cmp_gt_u32_e32 vcc, 8, v45
	v_mov_b32_e32 v45, 24
	v_cndmask_b32_e32 v43, v52, v43, vcc
	v_cndmask_b32_e32 v42, v51, v42, vcc
	v_lshlrev_b32_sdwa v45, v45, v22 dst_sel:DWORD dst_unused:UNUSED_PAD src0_sel:DWORD src1_sel:WORD_1
	v_bfrev_b32_e32 v51, 60
	v_lshlrev_b32_e32 v42, 20, v42
	v_and_b32_e32 v45, 0x80000000, v45
	v_lshl_add_u32 v43, v43, 23, v51
	v_or3_b32 v43, v45, v43, v42
.LBB571_315:
	s_or_b64 exec, exec, s[10:11]
.LBB571_316:
	s_or_b64 exec, exec, s[8:9]
.LBB571_317:
	s_or_b64 exec, exec, s[2:3]
	s_mov_b32 s2, 0xffffff
	v_cmp_lt_u32_e32 vcc, s2, v22
	v_mov_b32_e32 v45, 0
	v_mov_b32_e32 v51, 0
	s_and_saveexec_b64 s[2:3], vcc
	s_cbranch_execz .LBB571_323
; %bb.318:
	v_lshrrev_b32_e32 v42, 24, v22
	s_movk_i32 s8, 0x80
	v_cmp_ne_u32_e32 vcc, s8, v42
	v_bfrev_b32_e32 v51, 1
	s_and_saveexec_b64 s[8:9], vcc
	s_cbranch_execz .LBB571_322
; %bb.319:
	v_bfe_u32 v22, v22, 24, 7
	s_movk_i32 s10, 0x7f
	v_cmp_ne_u32_e32 vcc, s10, v22
	v_mov_b32_e32 v51, 0x7f800001
	s_and_saveexec_b64 s[10:11], vcc
	s_cbranch_execz .LBB571_321
; %bb.320:
	v_and_b32_e32 v51, 7, v42
	v_ffbh_u32_e32 v52, v51
	v_min_u32_e32 v55, 32, v52
	v_subrev_u32_e32 v52, 28, v55
	v_lshlrev_b64 v[52:53], v52, v[42:43]
	v_lshrrev_b32_e32 v54, 3, v22
	v_sub_u32_e32 v53, 29, v55
	v_and_b32_e32 v52, 7, v52
	v_cmp_gt_u32_e32 vcc, 8, v22
	v_cndmask_b32_e32 v22, v54, v53, vcc
	v_cndmask_b32_e32 v51, v51, v52, vcc
	v_lshlrev_b32_e32 v42, 24, v42
	v_bfrev_b32_e32 v52, 60
	v_lshlrev_b32_e32 v51, 20, v51
	v_and_b32_e32 v42, 0x80000000, v42
	v_lshl_add_u32 v22, v22, 23, v52
	v_or3_b32 v51, v42, v22, v51
.LBB571_321:
	s_or_b64 exec, exec, s[10:11]
.LBB571_322:
	s_or_b64 exec, exec, s[8:9]
.LBB571_323:
	s_or_b64 exec, exec, s[2:3]
	v_cmp_ne_u16_sdwa s[8:9], v23, v45 src0_sel:BYTE_0 src1_sel:DWORD
	s_and_saveexec_b64 s[2:3], s[8:9]
	s_cbranch_execz .LBB571_329
; %bb.324:
	s_movk_i32 s8, 0x80
	v_cmp_ne_u16_sdwa s[10:11], v23, s8 src0_sel:BYTE_0 src1_sel:DWORD
	v_bfrev_b32_e32 v45, 1
	s_and_saveexec_b64 s[8:9], s[10:11]
	s_cbranch_execz .LBB571_328
; %bb.325:
	s_movk_i32 s10, 0x7f
	v_and_b32_e32 v22, 0x7f, v23
	v_cmp_ne_u32_e32 vcc, s10, v22
	v_mov_b32_e32 v45, 0x7f800001
	s_and_saveexec_b64 s[10:11], vcc
	s_cbranch_execz .LBB571_327
; %bb.326:
	v_and_b32_e32 v45, 7, v23
	v_ffbh_u32_e32 v52, v45
	v_min_u32_e32 v55, 32, v52
	v_mov_b32_e32 v42, v23
	v_subrev_u32_e32 v52, 28, v55
	v_lshlrev_b64 v[52:53], v52, v[42:43]
	v_lshrrev_b32_e32 v54, 3, v22
	v_sub_u32_e32 v42, 29, v55
	v_and_b32_e32 v52, 7, v52
	v_cmp_gt_u32_e32 vcc, 8, v22
	v_cndmask_b32_e32 v22, v54, v42, vcc
	v_cndmask_b32_e32 v42, v45, v52, vcc
	v_lshlrev_b32_e32 v45, 24, v23
	v_bfrev_b32_e32 v52, 60
	v_lshlrev_b32_e32 v42, 20, v42
	v_and_b32_e32 v45, 0x80000000, v45
	v_lshl_add_u32 v22, v22, 23, v52
	v_or3_b32 v45, v45, v22, v42
.LBB571_327:
	s_or_b64 exec, exec, s[10:11]
.LBB571_328:
	s_or_b64 exec, exec, s[8:9]
.LBB571_329:
	s_or_b64 exec, exec, s[2:3]
	v_lshrrev_b16_e32 v22, 8, v23
	v_cmp_ne_u16_e32 vcc, 0, v22
	v_mov_b32_e32 v52, 0
	v_mov_b32_e32 v53, 0
	s_and_saveexec_b64 s[2:3], vcc
	s_cbranch_execz .LBB571_335
; %bb.330:
	s_movk_i32 s8, 0x80
	v_cmp_ne_u16_e32 vcc, s8, v22
	v_bfrev_b32_e32 v53, 1
	s_and_saveexec_b64 s[8:9], vcc
	s_cbranch_execz .LBB571_334
; %bb.331:
	s_movk_i32 s10, 0x7f
	v_and_b32_e32 v42, 0x7f, v22
	v_cmp_ne_u32_e32 vcc, s10, v42
	v_mov_b32_e32 v53, 0x7f800001
	s_and_saveexec_b64 s[10:11], vcc
	s_cbranch_execz .LBB571_333
; %bb.332:
	v_and_b32_e32 v53, 7, v22
	v_ffbh_u32_e32 v54, v53
	v_min_u32_e32 v57, 32, v54
	v_subrev_u32_e32 v54, 28, v57
	v_lshlrev_b64 v[54:55], v54, v[22:23]
	v_lshrrev_b32_e32 v56, 3, v42
	v_sub_u32_e32 v22, 29, v57
	v_and_b32_e32 v54, 7, v54
	v_cmp_gt_u32_e32 vcc, 8, v42
	v_cndmask_b32_e32 v22, v56, v22, vcc
	v_cndmask_b32_e32 v42, v53, v54, vcc
	v_lshlrev_b32_e32 v53, 16, v23
	v_bfrev_b32_e32 v54, 60
	v_lshlrev_b32_e32 v42, 20, v42
	v_and_b32_e32 v53, 0x80000000, v53
	v_lshl_add_u32 v22, v22, 23, v54
	v_or3_b32 v53, v53, v22, v42
.LBB571_333:
	s_or_b64 exec, exec, s[10:11]
.LBB571_334:
	s_or_b64 exec, exec, s[8:9]
.LBB571_335:
	s_or_b64 exec, exec, s[2:3]
	s_movk_i32 s2, 0xff
	v_and_b32_sdwa v42, v23, s2 dst_sel:DWORD dst_unused:UNUSED_PAD src0_sel:WORD_1 src1_sel:DWORD
	v_lshrrev_b32_e32 v22, 16, v23
	v_cmp_ne_u16_e32 vcc, 0, v42
	s_and_saveexec_b64 s[2:3], vcc
	s_cbranch_execz .LBB571_341
; %bb.336:
	s_movk_i32 s8, 0x80
	v_cmp_ne_u16_e32 vcc, s8, v42
	v_bfrev_b32_e32 v52, 1
	s_and_saveexec_b64 s[8:9], vcc
	s_cbranch_execz .LBB571_340
; %bb.337:
	v_bfe_u32 v42, v23, 16, 7
	s_movk_i32 s10, 0x7f
	v_cmp_ne_u32_e32 vcc, s10, v42
	v_mov_b32_e32 v52, 0x7f800001
	s_and_saveexec_b64 s[10:11], vcc
	s_cbranch_execz .LBB571_339
; %bb.338:
	v_and_b32_e32 v52, 7, v22
	v_ffbh_u32_e32 v54, v52
	v_min_u32_e32 v57, 32, v54
	v_subrev_u32_e32 v54, 28, v57
	v_lshlrev_b64 v[54:55], v54, v[22:23]
	v_and_b32_e32 v54, 7, v54
	v_cmp_gt_u32_e32 vcc, 8, v42
	v_lshrrev_b32_e32 v56, 3, v42
	v_sub_u32_e32 v22, 29, v57
	v_cndmask_b32_e32 v42, v52, v54, vcc
	v_mov_b32_e32 v52, 24
	v_cndmask_b32_e32 v22, v56, v22, vcc
	v_lshlrev_b32_sdwa v52, v52, v23 dst_sel:DWORD dst_unused:UNUSED_PAD src0_sel:DWORD src1_sel:WORD_1
	v_bfrev_b32_e32 v54, 60
	v_lshlrev_b32_e32 v42, 20, v42
	v_and_b32_e32 v52, 0x80000000, v52
	v_lshl_add_u32 v22, v22, 23, v54
	v_or3_b32 v52, v52, v22, v42
.LBB571_339:
	s_or_b64 exec, exec, s[10:11]
.LBB571_340:
	s_or_b64 exec, exec, s[8:9]
.LBB571_341:
	s_or_b64 exec, exec, s[2:3]
	s_mov_b32 s2, 0xffffff
	v_cmp_lt_u32_e32 vcc, s2, v23
	v_mov_b32_e32 v42, 0
	v_mov_b32_e32 v54, 0
	s_and_saveexec_b64 s[2:3], vcc
	s_cbranch_execz .LBB571_347
; %bb.342:
	v_lshrrev_b32_e32 v22, 24, v23
	s_movk_i32 s8, 0x80
	v_cmp_ne_u32_e32 vcc, s8, v22
	v_bfrev_b32_e32 v54, 1
	s_and_saveexec_b64 s[8:9], vcc
	s_cbranch_execz .LBB571_346
; %bb.343:
	v_bfe_u32 v23, v23, 24, 7
	s_movk_i32 s10, 0x7f
	v_cmp_ne_u32_e32 vcc, s10, v23
	v_mov_b32_e32 v54, 0x7f800001
	s_and_saveexec_b64 s[10:11], vcc
	s_cbranch_execz .LBB571_345
; %bb.344:
	v_and_b32_e32 v56, 7, v22
	v_ffbh_u32_e32 v54, v56
	v_min_u32_e32 v58, 32, v54
	v_subrev_u32_e32 v54, 28, v58
	v_lshlrev_b64 v[54:55], v54, v[22:23]
	v_lshrrev_b32_e32 v57, 3, v23
	v_sub_u32_e32 v55, 29, v58
	v_and_b32_e32 v54, 7, v54
	v_cmp_gt_u32_e32 vcc, 8, v23
	v_cndmask_b32_e32 v23, v57, v55, vcc
	v_cndmask_b32_e32 v54, v56, v54, vcc
	v_lshlrev_b32_e32 v22, 24, v22
	v_bfrev_b32_e32 v55, 60
	v_lshlrev_b32_e32 v54, 20, v54
	v_and_b32_e32 v22, 0x80000000, v22
	v_lshl_add_u32 v23, v23, 23, v55
	v_or3_b32 v54, v22, v23, v54
.LBB571_345:
	s_or_b64 exec, exec, s[10:11]
.LBB571_346:
	s_or_b64 exec, exec, s[8:9]
.LBB571_347:
	s_or_b64 exec, exec, s[2:3]
	v_cvt_pkrtz_f16_f32 v22, v50, v44
	v_cvt_pkrtz_f16_f32 v23, v43, v51
	v_cmp_ne_u16_sdwa s[8:9], v24, v42 src0_sel:BYTE_0 src1_sel:DWORD
	s_nop 0
	v_mfma_f32_16x16x16f16 v[56:59], v[22:23], v[26:27], 0
	v_cvt_pkrtz_f16_f32 v22, v45, v53
	v_cvt_pkrtz_f16_f32 v23, v52, v54
	s_nop 1
	v_mfma_f32_16x16x16f16 v[26:29], v[22:23], v[28:29], v[56:59]
	s_and_saveexec_b64 s[2:3], s[8:9]
	s_cbranch_execz .LBB571_353
; %bb.348:
	s_movk_i32 s8, 0x80
	v_cmp_ne_u16_sdwa s[10:11], v24, s8 src0_sel:BYTE_0 src1_sel:DWORD
	v_bfrev_b32_e32 v42, 1
	s_and_saveexec_b64 s[8:9], s[10:11]
	s_cbranch_execz .LBB571_352
; %bb.349:
	s_movk_i32 s10, 0x7f
	v_and_b32_e32 v22, 0x7f, v24
	v_cmp_ne_u32_e32 vcc, s10, v22
	v_mov_b32_e32 v42, 0x7f800001
	s_and_saveexec_b64 s[10:11], vcc
	s_cbranch_execz .LBB571_351
; %bb.350:
	v_and_b32_e32 v23, 7, v24
	v_ffbh_u32_e32 v42, v23
	v_min_u32_e32 v45, 32, v42
	v_subrev_u32_e32 v42, 28, v45
	v_lshlrev_b64 v[42:43], v42, v[24:25]
	v_lshrrev_b32_e32 v44, 3, v22
	v_sub_u32_e32 v43, 29, v45
	v_and_b32_e32 v42, 7, v42
	v_cmp_gt_u32_e32 vcc, 8, v22
	v_cndmask_b32_e32 v22, v44, v43, vcc
	v_cndmask_b32_e32 v23, v23, v42, vcc
	v_lshlrev_b32_e32 v42, 24, v24
	v_bfrev_b32_e32 v43, 60
	v_lshlrev_b32_e32 v23, 20, v23
	v_and_b32_e32 v42, 0x80000000, v42
	v_lshl_add_u32 v22, v22, 23, v43
	v_or3_b32 v42, v42, v22, v23
.LBB571_351:
	s_or_b64 exec, exec, s[10:11]
.LBB571_352:
	s_or_b64 exec, exec, s[8:9]
.LBB571_353:
	s_or_b64 exec, exec, s[2:3]
	v_lshrrev_b16_e32 v22, 8, v24
	v_cmp_ne_u16_e32 vcc, 0, v22
	v_mov_b32_e32 v23, 0
	v_mov_b32_e32 v43, 0
	s_and_saveexec_b64 s[2:3], vcc
	s_cbranch_execz .LBB571_359
; %bb.354:
	s_movk_i32 s8, 0x80
	v_cmp_ne_u16_e32 vcc, s8, v22
	v_bfrev_b32_e32 v43, 1
	s_and_saveexec_b64 s[8:9], vcc
	s_cbranch_execz .LBB571_358
; %bb.355:
	s_movk_i32 s10, 0x7f
	v_and_b32_e32 v44, 0x7f, v22
	v_cmp_ne_u32_e32 vcc, s10, v44
	v_mov_b32_e32 v43, 0x7f800001
	s_and_saveexec_b64 s[10:11], vcc
	s_cbranch_execz .LBB571_357
; %bb.356:
	v_and_b32_e32 v43, 7, v22
	v_ffbh_u32_e32 v50, v43
	v_min_u32_e32 v52, 32, v50
	v_subrev_u32_e32 v50, 28, v52
	v_lshlrev_b64 v[50:51], v50, v[22:23]
	v_lshrrev_b32_e32 v45, 3, v44
	v_sub_u32_e32 v22, 29, v52
	v_and_b32_e32 v50, 7, v50
	v_cmp_gt_u32_e32 vcc, 8, v44
	v_cndmask_b32_e32 v22, v45, v22, vcc
	v_cndmask_b32_e32 v43, v43, v50, vcc
	v_lshlrev_b32_e32 v44, 16, v24
	v_bfrev_b32_e32 v45, 60
	v_lshlrev_b32_e32 v43, 20, v43
	v_and_b32_e32 v44, 0x80000000, v44
	v_lshl_add_u32 v22, v22, 23, v45
	v_or3_b32 v43, v44, v22, v43
.LBB571_357:
	s_or_b64 exec, exec, s[10:11]
.LBB571_358:
	s_or_b64 exec, exec, s[8:9]
.LBB571_359:
	s_or_b64 exec, exec, s[2:3]
	s_movk_i32 s2, 0xff
	v_and_b32_sdwa v44, v24, s2 dst_sel:DWORD dst_unused:UNUSED_PAD src0_sel:WORD_1 src1_sel:DWORD
	v_lshrrev_b32_e32 v22, 16, v24
	v_cmp_ne_u16_e32 vcc, 0, v44
	s_and_saveexec_b64 s[2:3], vcc
	s_cbranch_execz .LBB571_365
; %bb.360:
	s_movk_i32 s8, 0x80
	v_cmp_ne_u16_e32 vcc, s8, v44
	v_bfrev_b32_e32 v23, 1
	s_and_saveexec_b64 s[8:9], vcc
	s_cbranch_execz .LBB571_364
; %bb.361:
	v_bfe_u32 v44, v24, 16, 7
	s_movk_i32 s10, 0x7f
	v_cmp_ne_u32_e32 vcc, s10, v44
	v_mov_b32_e32 v23, 0x7f800001
	s_and_saveexec_b64 s[10:11], vcc
	s_cbranch_execz .LBB571_363
; %bb.362:
	v_and_b32_e32 v45, 7, v22
	v_ffbh_u32_e32 v23, v45
	v_min_u32_e32 v51, 32, v23
	v_subrev_u32_e32 v23, 28, v51
	v_lshlrev_b64 v[22:23], v23, v[22:23]
	v_lshrrev_b32_e32 v50, 3, v44
	v_sub_u32_e32 v23, 29, v51
	v_and_b32_e32 v22, 7, v22
	v_cmp_gt_u32_e32 vcc, 8, v44
	v_mov_b32_e32 v44, 24
	v_cndmask_b32_e32 v23, v50, v23, vcc
	v_cndmask_b32_e32 v22, v45, v22, vcc
	v_lshlrev_b32_sdwa v44, v44, v24 dst_sel:DWORD dst_unused:UNUSED_PAD src0_sel:DWORD src1_sel:WORD_1
	v_bfrev_b32_e32 v45, 60
	v_lshlrev_b32_e32 v22, 20, v22
	v_and_b32_e32 v44, 0x80000000, v44
	v_lshl_add_u32 v23, v23, 23, v45
	v_or3_b32 v23, v44, v23, v22
.LBB571_363:
	s_or_b64 exec, exec, s[10:11]
.LBB571_364:
	s_or_b64 exec, exec, s[8:9]
.LBB571_365:
	s_or_b64 exec, exec, s[2:3]
	s_mov_b32 s2, 0xffffff
	v_cmp_lt_u32_e32 vcc, s2, v24
	v_mov_b32_e32 v44, 0
	v_mov_b32_e32 v45, 0
	s_and_saveexec_b64 s[2:3], vcc
	s_cbranch_execz .LBB571_371
; %bb.366:
	v_lshrrev_b32_e32 v22, 24, v24
	s_movk_i32 s8, 0x80
	v_cmp_ne_u32_e32 vcc, s8, v22
	v_bfrev_b32_e32 v45, 1
	s_and_saveexec_b64 s[8:9], vcc
	s_cbranch_execz .LBB571_370
; %bb.367:
	v_bfe_u32 v24, v24, 24, 7
	s_movk_i32 s10, 0x7f
	v_cmp_ne_u32_e32 vcc, s10, v24
	v_mov_b32_e32 v45, 0x7f800001
	s_and_saveexec_b64 s[10:11], vcc
	s_cbranch_execz .LBB571_369
; %bb.368:
	v_and_b32_e32 v45, 7, v22
	v_ffbh_u32_e32 v50, v45
	v_min_u32_e32 v53, 32, v50
	v_subrev_u32_e32 v50, 28, v53
	v_lshlrev_b64 v[50:51], v50, v[22:23]
	v_lshrrev_b32_e32 v52, 3, v24
	v_sub_u32_e32 v51, 29, v53
	v_and_b32_e32 v50, 7, v50
	v_cmp_gt_u32_e32 vcc, 8, v24
	v_cndmask_b32_e32 v24, v52, v51, vcc
	v_cndmask_b32_e32 v45, v45, v50, vcc
	v_lshlrev_b32_e32 v22, 24, v22
	v_bfrev_b32_e32 v50, 60
	v_lshlrev_b32_e32 v45, 20, v45
	v_and_b32_e32 v22, 0x80000000, v22
	v_lshl_add_u32 v24, v24, 23, v50
	v_or3_b32 v45, v22, v24, v45
.LBB571_369:
	s_or_b64 exec, exec, s[10:11]
.LBB571_370:
	s_or_b64 exec, exec, s[8:9]
.LBB571_371:
	s_or_b64 exec, exec, s[2:3]
	v_cmp_ne_u16_sdwa s[8:9], v25, v44 src0_sel:BYTE_0 src1_sel:DWORD
	s_and_saveexec_b64 s[2:3], s[8:9]
	s_cbranch_execz .LBB571_377
; %bb.372:
	s_movk_i32 s8, 0x80
	v_cmp_ne_u16_sdwa s[10:11], v25, s8 src0_sel:BYTE_0 src1_sel:DWORD
	v_bfrev_b32_e32 v44, 1
	s_and_saveexec_b64 s[8:9], s[10:11]
	s_cbranch_execz .LBB571_376
; %bb.373:
	s_movk_i32 s10, 0x7f
	v_and_b32_e32 v22, 0x7f, v25
	v_cmp_ne_u32_e32 vcc, s10, v22
	v_mov_b32_e32 v44, 0x7f800001
	s_and_saveexec_b64 s[10:11], vcc
	s_cbranch_execz .LBB571_375
; %bb.374:
	v_and_b32_e32 v44, 7, v25
	v_ffbh_u32_e32 v50, v44
	v_min_u32_e32 v53, 32, v50
	v_mov_b32_e32 v24, v25
	v_subrev_u32_e32 v50, 28, v53
	v_lshlrev_b64 v[50:51], v50, v[24:25]
	v_lshrrev_b32_e32 v52, 3, v22
	v_sub_u32_e32 v24, 29, v53
	v_and_b32_e32 v50, 7, v50
	v_cmp_gt_u32_e32 vcc, 8, v22
	v_cndmask_b32_e32 v22, v52, v24, vcc
	v_cndmask_b32_e32 v24, v44, v50, vcc
	v_lshlrev_b32_e32 v44, 24, v25
	v_bfrev_b32_e32 v50, 60
	v_lshlrev_b32_e32 v24, 20, v24
	v_and_b32_e32 v44, 0x80000000, v44
	v_lshl_add_u32 v22, v22, 23, v50
	v_or3_b32 v44, v44, v22, v24
.LBB571_375:
	s_or_b64 exec, exec, s[10:11]
.LBB571_376:
	s_or_b64 exec, exec, s[8:9]
.LBB571_377:
	s_or_b64 exec, exec, s[2:3]
	v_lshrrev_b16_e32 v22, 8, v25
	v_cmp_ne_u16_e32 vcc, 0, v22
	v_mov_b32_e32 v24, 0
	v_mov_b32_e32 v51, 0
	s_and_saveexec_b64 s[2:3], vcc
	s_cbranch_execz .LBB571_383
; %bb.378:
	s_movk_i32 s8, 0x80
	v_cmp_ne_u16_e32 vcc, s8, v22
	v_bfrev_b32_e32 v51, 1
	s_and_saveexec_b64 s[8:9], vcc
	s_cbranch_execz .LBB571_382
; %bb.379:
	s_movk_i32 s10, 0x7f
	v_and_b32_e32 v50, 0x7f, v22
	v_cmp_ne_u32_e32 vcc, s10, v50
	v_mov_b32_e32 v51, 0x7f800001
	s_and_saveexec_b64 s[10:11], vcc
	s_cbranch_execz .LBB571_381
; %bb.380:
	v_and_b32_e32 v51, 7, v22
	v_ffbh_u32_e32 v52, v51
	v_min_u32_e32 v55, 32, v52
	v_subrev_u32_e32 v52, 28, v55
	v_lshlrev_b64 v[52:53], v52, v[22:23]
	v_lshrrev_b32_e32 v54, 3, v50
	v_sub_u32_e32 v22, 29, v55
	v_and_b32_e32 v52, 7, v52
	v_cmp_gt_u32_e32 vcc, 8, v50
	v_cndmask_b32_e32 v22, v54, v22, vcc
	v_cndmask_b32_e32 v50, v51, v52, vcc
	v_lshlrev_b32_e32 v51, 16, v25
	v_bfrev_b32_e32 v52, 60
	v_lshlrev_b32_e32 v50, 20, v50
	v_and_b32_e32 v51, 0x80000000, v51
	v_lshl_add_u32 v22, v22, 23, v52
	v_or3_b32 v51, v51, v22, v50
.LBB571_381:
	s_or_b64 exec, exec, s[10:11]
.LBB571_382:
	s_or_b64 exec, exec, s[8:9]
.LBB571_383:
	s_or_b64 exec, exec, s[2:3]
	s_movk_i32 s2, 0xff
	v_and_b32_sdwa v50, v25, s2 dst_sel:DWORD dst_unused:UNUSED_PAD src0_sel:WORD_1 src1_sel:DWORD
	v_lshrrev_b32_e32 v22, 16, v25
	v_cmp_ne_u16_e32 vcc, 0, v50
	s_and_saveexec_b64 s[2:3], vcc
	s_cbranch_execz .LBB571_389
; %bb.384:
	s_movk_i32 s8, 0x80
	v_cmp_ne_u16_e32 vcc, s8, v50
	v_bfrev_b32_e32 v24, 1
	s_and_saveexec_b64 s[8:9], vcc
	s_cbranch_execz .LBB571_388
; %bb.385:
	v_bfe_u32 v50, v25, 16, 7
	s_movk_i32 s10, 0x7f
	v_cmp_ne_u32_e32 vcc, s10, v50
	v_mov_b32_e32 v24, 0x7f800001
	s_and_saveexec_b64 s[10:11], vcc
	s_cbranch_execz .LBB571_387
; %bb.386:
	v_and_b32_e32 v24, 7, v22
	v_ffbh_u32_e32 v52, v24
	v_min_u32_e32 v55, 32, v52
	v_subrev_u32_e32 v52, 28, v55
	v_lshlrev_b64 v[52:53], v52, v[22:23]
	v_lshrrev_b32_e32 v54, 3, v50
	v_sub_u32_e32 v22, 29, v55
	v_and_b32_e32 v52, 7, v52
	v_cmp_gt_u32_e32 vcc, 8, v50
	v_mov_b32_e32 v50, 24
	v_cndmask_b32_e32 v22, v54, v22, vcc
	v_cndmask_b32_e32 v24, v24, v52, vcc
	v_lshlrev_b32_sdwa v50, v50, v25 dst_sel:DWORD dst_unused:UNUSED_PAD src0_sel:DWORD src1_sel:WORD_1
	v_bfrev_b32_e32 v52, 60
	v_lshlrev_b32_e32 v24, 20, v24
	v_and_b32_e32 v50, 0x80000000, v50
	v_lshl_add_u32 v22, v22, 23, v52
	v_or3_b32 v24, v50, v22, v24
.LBB571_387:
	s_or_b64 exec, exec, s[10:11]
.LBB571_388:
	s_or_b64 exec, exec, s[8:9]
.LBB571_389:
	s_or_b64 exec, exec, s[2:3]
	s_mov_b32 s2, 0xffffff
	v_and_b32_e32 v50, 63, v0
	v_cmp_lt_u32_e32 vcc, s2, v25
	v_mov_b32_e32 v52, 0
	s_and_saveexec_b64 s[2:3], vcc
	s_cbranch_execz .LBB571_395
; %bb.390:
	v_lshrrev_b32_e32 v22, 24, v25
	s_movk_i32 s8, 0x80
	v_cmp_ne_u32_e32 vcc, s8, v22
	v_bfrev_b32_e32 v52, 1
	s_and_saveexec_b64 s[8:9], vcc
	s_cbranch_execz .LBB571_394
; %bb.391:
	v_bfe_u32 v25, v25, 24, 7
	s_movk_i32 s10, 0x7f
	v_cmp_ne_u32_e32 vcc, s10, v25
	v_mov_b32_e32 v52, 0x7f800001
	s_and_saveexec_b64 s[10:11], vcc
	s_cbranch_execz .LBB571_393
; %bb.392:
	v_and_b32_e32 v54, 7, v22
	v_ffbh_u32_e32 v52, v54
	v_min_u32_e32 v56, 32, v52
	v_subrev_u32_e32 v52, 28, v56
	v_lshlrev_b64 v[52:53], v52, v[22:23]
	v_lshrrev_b32_e32 v55, 3, v25
	v_sub_u32_e32 v53, 29, v56
	v_and_b32_e32 v52, 7, v52
	v_cmp_gt_u32_e32 vcc, 8, v25
	v_cndmask_b32_e32 v25, v55, v53, vcc
	v_cndmask_b32_e32 v52, v54, v52, vcc
	v_lshlrev_b32_e32 v22, 24, v22
	v_bfrev_b32_e32 v53, 60
	v_lshlrev_b32_e32 v52, 20, v52
	v_and_b32_e32 v22, 0x80000000, v22
	v_lshl_add_u32 v25, v25, 23, v53
	v_or3_b32 v52, v22, v25, v52
.LBB571_393:
	s_or_b64 exec, exec, s[10:11]
.LBB571_394:
	s_or_b64 exec, exec, s[8:9]
.LBB571_395:
	s_or_b64 exec, exec, s[2:3]
	v_cvt_pkrtz_f16_f32 v42, v42, v43
	v_cvt_pkrtz_f16_f32 v43, v23, v45
	s_load_dword s2, s[4:5], 0x1c
	s_mov_b32 s46, 0xff7fffff
	s_waitcnt lgkmcnt(0)
	v_mfma_f32_16x16x16f16 v[26:29], v[42:43], v[18:19], v[26:29]
	v_cvt_pkrtz_f16_f32 v18, v44, v51
	v_cvt_pkrtz_f16_f32 v19, v24, v52
	v_and_b32_e32 v24, 0xc0, v0
	v_mov_b32_e32 v22, s2
	v_add_u32_e32 v24, s20, v24
	v_mul_f32_e32 v54, s12, v22
	v_lshl_or_b32 v42, v1, 2, v24
	v_mfma_f32_16x16x16f16 v[18:21], v[18:19], v[20:21], v[26:29]
	v_pk_mul_f32 v[22:23], v[54:55], v[36:37] op_sel_hi:[0,1]
	v_pk_mul_f32 v[36:37], v[54:55], v[40:41] op_sel_hi:[0,1]
	;; [unrolled: 1-line block ×4, first 2 shown]
	v_mov_b32_e32 v43, 0xff7fffff
	v_cmp_gt_i32_e64 s[26:27], s33, v42
	v_pk_mul_f32 v[38:39], v[54:55], v[38:39] op_sel_hi:[0,1]
	s_nop 3
	v_pk_mul_f32 v[32:33], v[54:55], v[18:19] op_sel_hi:[0,1]
	v_or_b32_e32 v19, 1, v42
	v_cmp_gt_i32_e64 s[28:29], s33, v19
	v_cndmask_b32_e64 v18, v43, v30, s[26:27]
	v_cndmask_b32_e64 v19, v43, v31, s[28:29]
	v_pk_mul_f32 v[24:25], v[54:55], v[20:21] op_sel_hi:[0,1]
	v_max3_f32 v18, v18, s46, v19
	v_or_b32_e32 v19, 2, v42
	v_or_b32_e32 v20, 3, v42
	v_cmp_gt_i32_e64 s[30:31], s33, v19
	v_cmp_gt_i32_e64 s[34:35], s33, v20
	v_cndmask_b32_e64 v19, v43, v40, s[30:31]
	v_cndmask_b32_e64 v20, v43, v41, s[34:35]
	v_max3_f32 v18, v18, v19, v20
	v_or_b32_e32 v19, 16, v42
	v_or_b32_e32 v20, 17, v42
	v_cmp_gt_i32_e64 s[36:37], s33, v19
	v_cmp_gt_i32_e64 s[38:39], s33, v20
	v_cndmask_b32_e64 v19, v43, v38, s[36:37]
	v_cndmask_b32_e64 v20, v43, v39, s[38:39]
	;; [unrolled: 7-line block ×3, first 2 shown]
	v_max3_f32 v18, v18, v19, v20
	v_or_b32_e32 v19, 32, v42
	v_or_b32_e32 v20, 33, v42
	v_pk_mul_f32 v[34:35], v[54:55], v[34:35] op_sel_hi:[0,1]
	v_cmp_gt_i32_e64 s[16:17], s33, v19
	v_cmp_gt_i32_e64 s[18:19], s33, v20
	v_cndmask_b32_e64 v19, v43, v34, s[16:17]
	v_cndmask_b32_e64 v20, v43, v35, s[18:19]
	v_max3_f32 v18, v18, v19, v20
	v_or_b32_e32 v19, 34, v42
	v_or_b32_e32 v20, 35, v42
	v_cmp_gt_i32_e64 s[12:13], s33, v19
	v_cmp_gt_i32_e64 s[14:15], s33, v20
	v_cndmask_b32_e64 v19, v43, v22, s[12:13]
	v_cndmask_b32_e64 v20, v43, v23, s[14:15]
	v_max3_f32 v18, v18, v19, v20
	v_or_b32_e32 v19, 48, v42
	v_or_b32_e32 v20, 49, v42
	;; [unrolled: 7-line block ×3, first 2 shown]
	v_cmp_gt_i32_e32 vcc, s33, v19
	v_cmp_gt_i32_e64 s[2:3], s33, v20
	v_cndmask_b32_e32 v19, v43, v24, vcc
	v_cndmask_b32_e64 v20, v43, v25, s[2:3]
	v_max3_f32 v18, v18, v19, v20
	v_mbcnt_lo_u32_b32 v19, -1, 0
	v_mbcnt_hi_u32_b32 v19, -1, v19
	v_and_b32_e32 v20, 64, v19
	v_add_u32_e32 v20, 64, v20
	v_xor_b32_e32 v21, 32, v19
	v_cmp_lt_i32_e64 s[40:41], v21, v20
	v_cndmask_b32_e64 v21, v19, v21, s[40:41]
	v_lshlrev_b32_e32 v43, 2, v21
	ds_bpermute_b32 v21, v43, v18
	s_barrier
	s_waitcnt lgkmcnt(0)
	v_max_f32_e32 v21, v21, v21
	v_max_f32_e32 v18, v18, v21
	v_xor_b32_e32 v21, 16, v19
	v_cmp_lt_i32_e64 s[40:41], v21, v20
	v_cndmask_b32_e64 v19, v19, v21, s[40:41]
	v_lshlrev_b32_e32 v44, 2, v19
	ds_bpermute_b32 v19, v44, v18
	s_waitcnt lgkmcnt(0)
	v_max_f32_e32 v19, v19, v19
	v_max_f32_e32 v42, v18, v19
	v_sub_f32_e32 v21, v40, v42
	v_sub_f32_e32 v26, v41, v42
	v_mul_f32_e32 v21, 0x3fb8aa3b, v21
	v_mul_f32_e32 v26, 0x3fb8aa3b, v26
	v_sub_f32_e32 v18, v30, v42
	v_exp_f32_e32 v21, v21
	v_exp_f32_e32 v26, v26
	v_mul_f32_e32 v18, 0x3fb8aa3b, v18
	v_sub_f32_e32 v19, v31, v42
	v_exp_f32_e32 v18, v18
	v_mul_f32_e32 v19, 0x3fb8aa3b, v19
	v_exp_f32_e32 v19, v19
	v_cndmask_b32_e64 v28, 0, v21, s[30:31]
	v_cndmask_b32_e64 v29, 0, v26, s[34:35]
	v_sub_f32_e32 v21, v38, v42
	v_sub_f32_e32 v26, v39, v42
	v_mul_f32_e32 v21, 0x3fb8aa3b, v21
	v_mul_f32_e32 v26, 0x3fb8aa3b, v26
	v_cndmask_b32_e64 v18, 0, v18, s[26:27]
	v_exp_f32_e32 v21, v21
	v_exp_f32_e32 v26, v26
	v_add_f32_e32 v20, 0, v18
	v_cndmask_b32_e64 v19, 0, v19, s[28:29]
	v_add_f32_e32 v20, v20, v19
	v_add_f32_e32 v20, v20, v28
	;; [unrolled: 1-line block ×3, first 2 shown]
	v_cndmask_b32_e64 v20, 0, v21, s[36:37]
	v_cndmask_b32_e64 v21, 0, v26, s[38:39]
	v_sub_f32_e32 v26, v36, v42
	v_mul_f32_e32 v26, 0x3fb8aa3b, v26
	v_exp_f32_e32 v26, v26
	v_sub_f32_e32 v30, v37, v42
	v_add_f32_e32 v27, v27, v20
	v_mul_f32_e32 v30, 0x3fb8aa3b, v30
	v_exp_f32_e32 v31, v30
	v_add_f32_e32 v27, v27, v21
	v_cndmask_b32_e64 v30, 0, v26, s[20:21]
	v_add_f32_e32 v26, v27, v30
	v_sub_f32_e32 v27, v34, v42
	v_mul_f32_e32 v27, 0x3fb8aa3b, v27
	v_sub_f32_e32 v34, v35, v42
	v_exp_f32_e32 v27, v27
	v_mul_f32_e32 v34, 0x3fb8aa3b, v34
	v_sub_f32_e32 v22, v22, v42
	v_exp_f32_e32 v34, v34
	;; [unrolled: 3-line block ×3, first 2 shown]
	v_mul_f32_e32 v23, 0x3fb8aa3b, v23
	v_cndmask_b32_e64 v31, 0, v31, s[22:23]
	v_exp_f32_e32 v23, v23
	v_add_f32_e32 v35, v26, v31
	v_cndmask_b32_e64 v26, 0, v27, s[16:17]
	v_add_f32_e32 v35, v35, v26
	v_cndmask_b32_e64 v27, 0, v34, s[18:19]
	;; [unrolled: 2-line block ×4, first 2 shown]
	v_sub_f32_e32 v23, v32, v42
	v_mul_f32_e32 v23, 0x3fb8aa3b, v23
	v_sub_f32_e32 v32, v33, v42
	v_exp_f32_e32 v23, v23
	v_mul_f32_e32 v32, 0x3fb8aa3b, v32
	v_sub_f32_e32 v24, v24, v42
	v_exp_f32_e32 v32, v32
	v_mul_f32_e32 v24, 0x3fb8aa3b, v24
	v_sub_f32_e32 v25, v25, v42
	v_exp_f32_e32 v24, v24
	v_mul_f32_e32 v25, 0x3fb8aa3b, v25
	v_exp_f32_e32 v25, v25
	v_add_f32_e32 v33, v22, v35
	v_cndmask_b32_e64 v22, 0, v23, s[8:9]
	v_add_f32_e32 v33, v33, v22
	v_cndmask_b32_e64 v23, 0, v32, s[10:11]
	v_add_f32_e32 v32, v33, v23
	v_cndmask_b32_e32 v24, 0, v24, vcc
	v_add_f32_e32 v32, v32, v24
	v_cndmask_b32_e64 v25, 0, v25, s[2:3]
	v_add_f32_e32 v32, v32, v25
	ds_bpermute_b32 v33, v43, v32
	v_cmp_gt_u32_e32 vcc, 16, v50
	s_waitcnt lgkmcnt(0)
	v_add_f32_e32 v33, v32, v33
	ds_bpermute_b32 v36, v44, v33
	v_lshlrev_b32_e32 v32, 2, v48
	s_and_saveexec_b64 s[2:3], vcc
	s_cbranch_execz .LBB571_397
; %bb.396:
	s_waitcnt lgkmcnt(0)
	v_add_f32_e32 v33, v33, v36
	v_lshl_or_b32 v36, v49, 6, v32
	ds_write2st64_b32 v36, v42, v33 offset1:1
.LBB571_397:
	s_or_b64 exec, exec, s[2:3]
	s_waitcnt lgkmcnt(0)
	s_barrier
	ds_read2_b32 v[36:37], v32 offset1:16
	ds_read2_b32 v[38:39], v32 offset0:32 offset1:48
	ds_read2_b32 v[40:41], v32 offset0:64 offset1:80
	;; [unrolled: 1-line block ×3, first 2 shown]
	s_waitcnt lgkmcnt(0)
	v_max3_f32 v33, v36, s46, v37
	v_max3_f32 v33, v33, v38, v39
	v_sub_f32_e32 v36, v36, v33
	v_mul_f32_e32 v36, 0x3fb8aa3b, v36
	v_exp_f32_e32 v44, v36
	v_sub_f32_e32 v36, v37, v33
	v_mul_f32_e32 v36, 0x3fb8aa3b, v36
	v_exp_f32_e32 v37, v36
	v_sub_f32_e32 v36, v38, v33
	v_mul_f32_e32 v36, 0x3fb8aa3b, v36
	v_sub_f32_e32 v32, v39, v33
	v_exp_f32_e32 v38, v36
	v_mul_f32_e32 v32, 0x3fb8aa3b, v32
	v_exp_f32_e32 v39, v32
	v_fma_f32 v36, v44, v40, 0
	v_fmac_f32_e32 v36, v37, v41
	v_fmac_f32_e32 v36, v38, v42
	;; [unrolled: 1-line block ×3, first 2 shown]
	v_add_f32_e32 v40, 0x358637bd, v36
	v_div_scale_f32 v41, s[2:3], v40, v40, 1.0
	v_rcp_f32_e32 v42, v41
	s_barrier
	s_mul_i32 s12, s45, 14
	v_fma_f32 v43, -v41, v42, 1.0
	v_fmac_f32_e32 v42, v43, v42
	v_div_scale_f32 v43, vcc, 1.0, v40, 1.0
	v_mul_f32_e32 v45, v43, v42
	v_fma_f32 v50, -v41, v45, v43
	v_fmac_f32_e32 v45, v50, v42
	v_fma_f32 v41, -v41, v45, v43
	v_div_fmas_f32 v41, v41, v42, v45
	v_cmp_eq_u32_e32 vcc, 1, v49
	v_cndmask_b32_e32 v37, v44, v37, vcc
	v_cmp_eq_u32_e32 vcc, 2, v49
	v_cndmask_b32_e32 v37, v37, v38, vcc
	v_cmp_eq_u32_e32 vcc, 3, v49
	v_div_fixup_f32 v40, v41, v40, 1.0
	v_cndmask_b32_e32 v37, v37, v39, vcc
	v_mul_f32_e32 v38, v37, v40
	v_pk_mul_f32 v[28:29], v[38:39], v[28:29] op_sel_hi:[0,1]
	v_cvt_f16_f32_e32 v28, v28
	v_cvt_f16_f32_e32 v29, v29
	v_pk_mul_f32 v[18:19], v[38:39], v[18:19] op_sel_hi:[0,1]
	v_cvt_f16_f32_e32 v18, v18
	v_cvt_f16_f32_e32 v19, v19
	v_pack_b32_f16 v41, v28, v29
	v_pk_mul_f32 v[28:29], v[38:39], v[30:31] op_sel_hi:[0,1]
	v_pk_mul_f32 v[20:21], v[38:39], v[20:21] op_sel_hi:[0,1]
	v_cvt_f16_f32_e32 v20, v20
	v_cvt_f16_f32_e32 v21, v21
	v_cvt_f16_f32_e32 v30, v28
	v_cvt_f16_f32_e32 v29, v29
	v_pack_b32_f16 v40, v18, v19
	v_lshlrev_b32_e32 v18, 3, v1
	v_lshlrev_b32_e32 v19, 5, v48
	;; [unrolled: 1-line block ×3, first 2 shown]
	v_or3_b32 v28, v28, v19, v18
	v_pack_b32_f16 v20, v20, v21
	v_pack_b32_f16 v21, v30, v29
	ds_write2st64_b64 v28, v[40:41], v[20:21] offset1:1
	v_pk_mul_f32 v[20:21], v[38:39], v[34:35] op_sel_hi:[0,1]
	v_pk_mul_f32 v[26:27], v[38:39], v[26:27] op_sel_hi:[0,1]
	v_cvt_f16_f32_e32 v18, v26
	v_cvt_f16_f32_e32 v26, v27
	;; [unrolled: 1-line block ×4, first 2 shown]
	v_pk_mul_f32 v[20:21], v[38:39], v[24:25] op_sel_hi:[0,1]
	v_pk_mul_f32 v[22:23], v[38:39], v[22:23] op_sel_hi:[0,1]
	v_cvt_f16_f32_e32 v22, v22
	v_cvt_f16_f32_e32 v23, v23
	;; [unrolled: 1-line block ×4, first 2 shown]
	v_mov_b32_e32 v32, 0
	v_pack_b32_f16 v20, v18, v26
	v_pack_b32_f16 v21, v27, v29
	;; [unrolled: 1-line block ×4, first 2 shown]
	v_cmp_gt_u32_e32 vcc, 14, v0
	ds_write2st64_b64 v28, v[20:21], v[22:23] offset0:2 offset1:3
	s_and_saveexec_b64 s[2:3], vcc
	s_cbranch_execz .LBB571_399
; %bb.398:
	v_add_co_u32_e32 v22, vcc, s25, v48
	v_addc_co_u32_e64 v23, s[14:15], 0, 0, vcc
	v_mov_b32_e32 v18, s12
	v_mov_b32_e32 v21, 0
	v_mad_u64_u32 v[22:23], s[14:15], s6, v18, v[22:23]
	v_mov_b32_e32 v20, s24
	s_load_dwordx4 s[8:11], s[4:5], 0x58
	s_mul_i32 s7, s7, s12
	v_mad_u64_u32 v[20:21], s[14:15], v22, s44, v[20:21]
	v_add_u32_e32 v23, s7, v23
	v_mov_b32_e32 v18, v21
	v_mad_u64_u32 v[22:23], s[14:15], v23, s44, v[18:19]
	v_mov_b32_e32 v21, v22
	v_lshlrev_b64 v[20:21], 2, v[20:21]
	s_waitcnt lgkmcnt(0)
	v_mov_b32_e32 v18, s11
	v_add_co_u32_e32 v22, vcc, s10, v20
	v_addc_co_u32_e32 v23, vcc, v18, v21, vcc
	v_mov_b32_e32 v18, s9
	v_add_co_u32_e32 v20, vcc, s8, v20
	v_addc_co_u32_e32 v21, vcc, v18, v21, vcc
	global_store_dword v[22:23], v33, off
	global_store_dword v[20:21], v36, off
.LBB571_399:
	s_or_b64 exec, exec, s[2:3]
	v_mov_b32_e32 v20, 0
	s_waitcnt vmcnt(3)
	v_cmp_ne_u16_sdwa s[8:9], v14, v20 src0_sel:BYTE_0 src1_sel:DWORD
	s_waitcnt lgkmcnt(0)
	s_barrier
	s_and_saveexec_b64 s[2:3], s[8:9]
	s_cbranch_execz .LBB571_405
; %bb.400:
	s_movk_i32 s7, 0x80
	v_cmp_ne_u16_sdwa s[10:11], v14, s7 src0_sel:BYTE_0 src1_sel:DWORD
	v_bfrev_b32_e32 v32, 1
	s_and_saveexec_b64 s[8:9], s[10:11]
	s_cbranch_execz .LBB571_404
; %bb.401:
	s_movk_i32 s7, 0x7f
	v_and_b32_e32 v18, 0x7f, v14
	v_cmp_ne_u32_e32 vcc, s7, v18
	v_mov_b32_e32 v32, 0x7f800001
	s_and_saveexec_b64 s[10:11], vcc
	s_cbranch_execz .LBB571_403
; %bb.402:
	v_and_b32_e32 v21, 7, v14
	v_ffbh_u32_e32 v22, v21
	v_min_u32_e32 v25, 32, v22
	v_subrev_u32_e32 v22, 28, v25
	v_lshlrev_b64 v[22:23], v22, v[14:15]
	v_lshrrev_b32_e32 v24, 3, v18
	v_sub_u32_e32 v23, 29, v25
	v_and_b32_e32 v22, 7, v22
	v_cmp_gt_u32_e32 vcc, 8, v18
	v_cndmask_b32_e32 v18, v24, v23, vcc
	v_cndmask_b32_e32 v21, v21, v22, vcc
	v_lshlrev_b32_e32 v22, 24, v14
	v_bfrev_b32_e32 v23, 60
	v_lshlrev_b32_e32 v21, 20, v21
	v_and_b32_e32 v22, 0x80000000, v22
	v_lshl_add_u32 v18, v18, 23, v23
	v_or3_b32 v32, v22, v18, v21
.LBB571_403:
	s_or_b64 exec, exec, s[10:11]
.LBB571_404:
	s_or_b64 exec, exec, s[8:9]
.LBB571_405:
	s_or_b64 exec, exec, s[2:3]
	v_lshrrev_b16_e32 v18, 8, v14
	v_cmp_ne_u16_e32 vcc, 0, v18
	v_mov_b32_e32 v21, 0
	s_and_saveexec_b64 s[2:3], vcc
	s_cbranch_execz .LBB571_411
; %bb.406:
	s_movk_i32 s7, 0x80
	v_cmp_ne_u16_e32 vcc, s7, v18
	v_bfrev_b32_e32 v21, 1
	s_and_saveexec_b64 s[8:9], vcc
	s_cbranch_execz .LBB571_410
; %bb.407:
	s_movk_i32 s7, 0x7f
	v_and_b32_e32 v22, 0x7f, v18
	v_cmp_ne_u32_e32 vcc, s7, v22
	v_mov_b32_e32 v21, 0x7f800001
	s_and_saveexec_b64 s[10:11], vcc
	s_cbranch_execz .LBB571_409
; %bb.408:
	v_and_b32_e32 v21, 7, v18
	v_ffbh_u32_e32 v24, v21
	v_min_u32_e32 v26, 32, v24
	v_subrev_u32_e32 v24, 28, v26
	v_lshlrev_b64 v[24:25], v24, v[18:19]
	v_lshrrev_b32_e32 v23, 3, v22
	v_sub_u32_e32 v18, 29, v26
	v_and_b32_e32 v24, 7, v24
	v_cmp_gt_u32_e32 vcc, 8, v22
	v_cndmask_b32_e32 v18, v23, v18, vcc
	v_cndmask_b32_e32 v21, v21, v24, vcc
	v_lshlrev_b32_e32 v22, 16, v14
	v_bfrev_b32_e32 v23, 60
	v_lshlrev_b32_e32 v21, 20, v21
	v_and_b32_e32 v22, 0x80000000, v22
	v_lshl_add_u32 v18, v18, 23, v23
	v_or3_b32 v21, v22, v18, v21
.LBB571_409:
	s_or_b64 exec, exec, s[10:11]
.LBB571_410:
	s_or_b64 exec, exec, s[8:9]
.LBB571_411:
	s_or_b64 exec, exec, s[2:3]
	s_movk_i32 s2, 0xff
	v_and_b32_sdwa v22, v14, s2 dst_sel:DWORD dst_unused:UNUSED_PAD src0_sel:WORD_1 src1_sel:DWORD
	v_lshrrev_b32_e32 v18, 16, v14
	v_cmp_ne_u16_e32 vcc, 0, v22
	s_and_saveexec_b64 s[2:3], vcc
	s_cbranch_execz .LBB571_417
; %bb.412:
	s_movk_i32 s7, 0x80
	v_cmp_ne_u16_e32 vcc, s7, v22
	v_bfrev_b32_e32 v20, 1
	s_and_saveexec_b64 s[8:9], vcc
	s_cbranch_execz .LBB571_416
; %bb.413:
	v_bfe_u32 v22, v14, 16, 7
	s_movk_i32 s7, 0x7f
	v_cmp_ne_u32_e32 vcc, s7, v22
	v_mov_b32_e32 v20, 0x7f800001
	s_and_saveexec_b64 s[10:11], vcc
	s_cbranch_execz .LBB571_415
; %bb.414:
	v_and_b32_e32 v20, 7, v18
	v_ffbh_u32_e32 v24, v20
	v_min_u32_e32 v26, 32, v24
	v_subrev_u32_e32 v24, 28, v26
	v_lshlrev_b64 v[24:25], v24, v[18:19]
	v_lshrrev_b32_e32 v23, 3, v22
	v_sub_u32_e32 v18, 29, v26
	v_and_b32_e32 v24, 7, v24
	v_cmp_gt_u32_e32 vcc, 8, v22
	v_mov_b32_e32 v22, 24
	v_cndmask_b32_e32 v18, v23, v18, vcc
	v_cndmask_b32_e32 v20, v20, v24, vcc
	v_lshlrev_b32_sdwa v22, v22, v14 dst_sel:DWORD dst_unused:UNUSED_PAD src0_sel:DWORD src1_sel:WORD_1
	v_bfrev_b32_e32 v23, 60
	v_lshlrev_b32_e32 v20, 20, v20
	v_and_b32_e32 v22, 0x80000000, v22
	v_lshl_add_u32 v18, v18, 23, v23
	v_or3_b32 v20, v22, v18, v20
.LBB571_415:
	s_or_b64 exec, exec, s[10:11]
.LBB571_416:
	s_or_b64 exec, exec, s[8:9]
.LBB571_417:
	s_or_b64 exec, exec, s[2:3]
	s_mov_b32 s2, 0xffffff
	v_cmp_lt_u32_e32 vcc, s2, v14
	v_mov_b32_e32 v24, 0
	v_mov_b32_e32 v22, 0
	s_and_saveexec_b64 s[2:3], vcc
	s_cbranch_execz .LBB571_423
; %bb.418:
	v_lshrrev_b32_e32 v18, 24, v14
	s_movk_i32 s7, 0x80
	v_cmp_ne_u32_e32 vcc, s7, v18
	v_bfrev_b32_e32 v22, 1
	s_and_saveexec_b64 s[8:9], vcc
	s_cbranch_execz .LBB571_422
; %bb.419:
	v_bfe_u32 v14, v14, 24, 7
	s_movk_i32 s7, 0x7f
	v_cmp_ne_u32_e32 vcc, s7, v14
	v_mov_b32_e32 v22, 0x7f800001
	s_and_saveexec_b64 s[10:11], vcc
	s_cbranch_execz .LBB571_421
; %bb.420:
	v_and_b32_e32 v25, 7, v18
	v_ffbh_u32_e32 v22, v25
	v_min_u32_e32 v27, 32, v22
	v_subrev_u32_e32 v22, 28, v27
	v_lshlrev_b64 v[22:23], v22, v[18:19]
	v_lshrrev_b32_e32 v26, 3, v14
	v_sub_u32_e32 v23, 29, v27
	v_and_b32_e32 v22, 7, v22
	v_cmp_gt_u32_e32 vcc, 8, v14
	v_cndmask_b32_e32 v14, v26, v23, vcc
	v_cndmask_b32_e32 v22, v25, v22, vcc
	v_lshlrev_b32_e32 v18, 24, v18
	v_bfrev_b32_e32 v23, 60
	v_lshlrev_b32_e32 v22, 20, v22
	v_and_b32_e32 v18, 0x80000000, v18
	v_lshl_add_u32 v14, v14, 23, v23
	v_or3_b32 v22, v18, v14, v22
.LBB571_421:
	s_or_b64 exec, exec, s[10:11]
.LBB571_422:
	s_or_b64 exec, exec, s[8:9]
.LBB571_423:
	s_or_b64 exec, exec, s[2:3]
	v_cmp_ne_u16_sdwa s[8:9], v15, v24 src0_sel:BYTE_0 src1_sel:DWORD
	s_and_saveexec_b64 s[2:3], s[8:9]
	s_cbranch_execz .LBB571_429
; %bb.424:
	s_movk_i32 s7, 0x80
	v_cmp_ne_u16_sdwa s[10:11], v15, s7 src0_sel:BYTE_0 src1_sel:DWORD
	v_bfrev_b32_e32 v24, 1
	s_and_saveexec_b64 s[8:9], s[10:11]
	s_cbranch_execz .LBB571_428
; %bb.425:
	s_movk_i32 s7, 0x7f
	v_and_b32_e32 v14, 0x7f, v15
	v_cmp_ne_u32_e32 vcc, s7, v14
	v_mov_b32_e32 v24, 0x7f800001
	s_and_saveexec_b64 s[10:11], vcc
	s_cbranch_execz .LBB571_427
; %bb.426:
	v_and_b32_e32 v23, 7, v15
	v_ffbh_u32_e32 v24, v23
	v_min_u32_e32 v27, 32, v24
	v_mov_b32_e32 v18, v15
	v_subrev_u32_e32 v24, 28, v27
	v_lshlrev_b64 v[24:25], v24, v[18:19]
	v_lshrrev_b32_e32 v26, 3, v14
	v_sub_u32_e32 v18, 29, v27
	v_and_b32_e32 v24, 7, v24
	v_cmp_gt_u32_e32 vcc, 8, v14
	v_cndmask_b32_e32 v14, v26, v18, vcc
	v_cndmask_b32_e32 v18, v23, v24, vcc
	v_lshlrev_b32_e32 v23, 24, v15
	v_bfrev_b32_e32 v24, 60
	v_lshlrev_b32_e32 v18, 20, v18
	v_and_b32_e32 v23, 0x80000000, v23
	v_lshl_add_u32 v14, v14, 23, v24
	v_or3_b32 v24, v23, v14, v18
.LBB571_427:
	s_or_b64 exec, exec, s[10:11]
.LBB571_428:
	s_or_b64 exec, exec, s[8:9]
.LBB571_429:
	s_or_b64 exec, exec, s[2:3]
	v_lshrrev_b16_e32 v14, 8, v15
	v_cmp_ne_u16_e32 vcc, 0, v14
	v_mov_b32_e32 v18, 0
	v_mov_b32_e32 v25, 0
	s_and_saveexec_b64 s[2:3], vcc
	s_cbranch_execz .LBB571_435
; %bb.430:
	s_movk_i32 s7, 0x80
	v_cmp_ne_u16_e32 vcc, s7, v14
	v_bfrev_b32_e32 v25, 1
	s_and_saveexec_b64 s[8:9], vcc
	s_cbranch_execz .LBB571_434
; %bb.431:
	s_movk_i32 s7, 0x7f
	v_and_b32_e32 v23, 0x7f, v14
	v_cmp_ne_u32_e32 vcc, s7, v23
	v_mov_b32_e32 v25, 0x7f800001
	s_and_saveexec_b64 s[10:11], vcc
	s_cbranch_execz .LBB571_433
; %bb.432:
	v_and_b32_e32 v25, 7, v14
	v_ffbh_u32_e32 v26, v25
	v_min_u32_e32 v30, 32, v26
	v_subrev_u32_e32 v26, 28, v30
	v_lshlrev_b64 v[26:27], v26, v[14:15]
	v_lshrrev_b32_e32 v29, 3, v23
	v_sub_u32_e32 v14, 29, v30
	v_and_b32_e32 v26, 7, v26
	v_cmp_gt_u32_e32 vcc, 8, v23
	v_cndmask_b32_e32 v14, v29, v14, vcc
	v_cndmask_b32_e32 v23, v25, v26, vcc
	v_lshlrev_b32_e32 v25, 16, v15
	v_bfrev_b32_e32 v26, 60
	v_lshlrev_b32_e32 v23, 20, v23
	v_and_b32_e32 v25, 0x80000000, v25
	v_lshl_add_u32 v14, v14, 23, v26
	v_or3_b32 v25, v25, v14, v23
.LBB571_433:
	s_or_b64 exec, exec, s[10:11]
.LBB571_434:
	s_or_b64 exec, exec, s[8:9]
.LBB571_435:
	s_or_b64 exec, exec, s[2:3]
	s_movk_i32 s2, 0xff
	v_and_b32_sdwa v23, v15, s2 dst_sel:DWORD dst_unused:UNUSED_PAD src0_sel:WORD_1 src1_sel:DWORD
	v_lshrrev_b32_e32 v14, 16, v15
	v_cmp_ne_u16_e32 vcc, 0, v23
	s_and_saveexec_b64 s[2:3], vcc
	s_cbranch_execz .LBB571_441
; %bb.436:
	s_movk_i32 s7, 0x80
	v_cmp_ne_u16_e32 vcc, s7, v23
	v_bfrev_b32_e32 v18, 1
	s_and_saveexec_b64 s[8:9], vcc
	s_cbranch_execz .LBB571_440
; %bb.437:
	v_bfe_u32 v23, v15, 16, 7
	s_movk_i32 s7, 0x7f
	v_cmp_ne_u32_e32 vcc, s7, v23
	v_mov_b32_e32 v18, 0x7f800001
	s_and_saveexec_b64 s[10:11], vcc
	s_cbranch_execz .LBB571_439
; %bb.438:
	v_and_b32_e32 v18, 7, v14
	v_ffbh_u32_e32 v26, v18
	v_min_u32_e32 v30, 32, v26
	v_subrev_u32_e32 v26, 28, v30
	v_lshlrev_b64 v[26:27], v26, v[14:15]
	v_lshrrev_b32_e32 v29, 3, v23
	v_sub_u32_e32 v14, 29, v30
	v_and_b32_e32 v26, 7, v26
	v_cmp_gt_u32_e32 vcc, 8, v23
	v_mov_b32_e32 v23, 24
	v_cndmask_b32_e32 v14, v29, v14, vcc
	v_cndmask_b32_e32 v18, v18, v26, vcc
	v_lshlrev_b32_sdwa v23, v23, v15 dst_sel:DWORD dst_unused:UNUSED_PAD src0_sel:DWORD src1_sel:WORD_1
	v_bfrev_b32_e32 v26, 60
	v_lshlrev_b32_e32 v18, 20, v18
	v_and_b32_e32 v23, 0x80000000, v23
	v_lshl_add_u32 v14, v14, 23, v26
	v_or3_b32 v18, v23, v14, v18
.LBB571_439:
	s_or_b64 exec, exec, s[10:11]
.LBB571_440:
	s_or_b64 exec, exec, s[8:9]
.LBB571_441:
	s_or_b64 exec, exec, s[2:3]
	s_mov_b32 s2, 0xffffff
	v_cmp_lt_u32_e32 vcc, s2, v15
	v_mov_b32_e32 v23, 0
	v_mov_b32_e32 v26, 0
	s_and_saveexec_b64 s[2:3], vcc
	s_cbranch_execz .LBB571_447
; %bb.442:
	v_lshrrev_b32_e32 v14, 24, v15
	s_movk_i32 s7, 0x80
	v_cmp_ne_u32_e32 vcc, s7, v14
	v_bfrev_b32_e32 v26, 1
	s_and_saveexec_b64 s[8:9], vcc
	s_cbranch_execz .LBB571_446
; %bb.443:
	v_bfe_u32 v15, v15, 24, 7
	s_movk_i32 s7, 0x7f
	v_cmp_ne_u32_e32 vcc, s7, v15
	v_mov_b32_e32 v26, 0x7f800001
	s_and_saveexec_b64 s[10:11], vcc
	s_cbranch_execz .LBB571_445
; %bb.444:
	v_and_b32_e32 v29, 7, v14
	v_ffbh_u32_e32 v26, v29
	v_min_u32_e32 v31, 32, v26
	v_subrev_u32_e32 v26, 28, v31
	v_lshlrev_b64 v[26:27], v26, v[14:15]
	v_lshrrev_b32_e32 v30, 3, v15
	v_sub_u32_e32 v27, 29, v31
	v_and_b32_e32 v26, 7, v26
	v_cmp_gt_u32_e32 vcc, 8, v15
	v_cndmask_b32_e32 v15, v30, v27, vcc
	v_cndmask_b32_e32 v26, v29, v26, vcc
	v_lshlrev_b32_e32 v14, 24, v14
	v_bfrev_b32_e32 v27, 60
	v_lshlrev_b32_e32 v26, 20, v26
	v_and_b32_e32 v14, 0x80000000, v14
	v_lshl_add_u32 v15, v15, 23, v27
	v_or3_b32 v26, v14, v15, v26
.LBB571_445:
	s_or_b64 exec, exec, s[10:11]
.LBB571_446:
	s_or_b64 exec, exec, s[8:9]
.LBB571_447:
	s_or_b64 exec, exec, s[2:3]
	v_cvt_pkrtz_f16_f32 v15, v20, v22
	v_lshl_or_b32 v22, v1, 9, v19
	v_cvt_pkrtz_f16_f32 v14, v32, v21
	ds_read_b128 v[30:33], v22
	v_cmp_ne_u16_sdwa s[8:9], v16, v23 src0_sel:BYTE_0 src1_sel:DWORD
	s_waitcnt lgkmcnt(0)
	v_mfma_f32_16x16x16f16 v[34:37], v[14:15], v[30:31], 0
	v_cvt_pkrtz_f16_f32 v14, v24, v25
	v_cvt_pkrtz_f16_f32 v15, v18, v26
	s_nop 1
	v_mfma_f32_16x16x16f16 v[18:21], v[14:15], v[32:33], v[34:37]
	s_and_saveexec_b64 s[2:3], s[8:9]
	s_cbranch_execz .LBB571_453
; %bb.448:
	s_movk_i32 s7, 0x80
	v_cmp_ne_u16_sdwa s[10:11], v16, s7 src0_sel:BYTE_0 src1_sel:DWORD
	v_bfrev_b32_e32 v23, 1
	s_and_saveexec_b64 s[8:9], s[10:11]
	s_cbranch_execz .LBB571_452
; %bb.449:
	s_movk_i32 s7, 0x7f
	v_and_b32_e32 v14, 0x7f, v16
	v_cmp_ne_u32_e32 vcc, s7, v14
	v_mov_b32_e32 v23, 0x7f800001
	s_and_saveexec_b64 s[10:11], vcc
	s_cbranch_execz .LBB571_451
; %bb.450:
	v_and_b32_e32 v15, 7, v16
	v_ffbh_u32_e32 v24, v15
	v_min_u32_e32 v26, 32, v24
	v_subrev_u32_e32 v24, 28, v26
	v_lshlrev_b64 v[24:25], v24, v[16:17]
	v_lshrrev_b32_e32 v23, 3, v14
	v_sub_u32_e32 v25, 29, v26
	v_and_b32_e32 v24, 7, v24
	v_cmp_gt_u32_e32 vcc, 8, v14
	v_cndmask_b32_e32 v14, v23, v25, vcc
	v_cndmask_b32_e32 v15, v15, v24, vcc
	v_lshlrev_b32_e32 v23, 24, v16
	v_bfrev_b32_e32 v24, 60
	v_lshlrev_b32_e32 v15, 20, v15
	v_and_b32_e32 v23, 0x80000000, v23
	v_lshl_add_u32 v14, v14, 23, v24
	v_or3_b32 v23, v23, v14, v15
.LBB571_451:
	s_or_b64 exec, exec, s[10:11]
.LBB571_452:
	s_or_b64 exec, exec, s[8:9]
.LBB571_453:
	s_or_b64 exec, exec, s[2:3]
	v_lshrrev_b16_e32 v14, 8, v16
	v_cmp_ne_u16_e32 vcc, 0, v14
	v_mov_b32_e32 v15, 0
	v_mov_b32_e32 v25, 0
	s_and_saveexec_b64 s[2:3], vcc
	s_cbranch_execz .LBB571_459
; %bb.454:
	s_movk_i32 s7, 0x80
	v_cmp_ne_u16_e32 vcc, s7, v14
	v_bfrev_b32_e32 v25, 1
	s_and_saveexec_b64 s[8:9], vcc
	s_cbranch_execz .LBB571_458
; %bb.455:
	s_movk_i32 s7, 0x7f
	v_and_b32_e32 v24, 0x7f, v14
	v_cmp_ne_u32_e32 vcc, s7, v24
	v_mov_b32_e32 v25, 0x7f800001
	s_and_saveexec_b64 s[10:11], vcc
	s_cbranch_execz .LBB571_457
; %bb.456:
	v_and_b32_e32 v25, 7, v14
	v_ffbh_u32_e32 v26, v25
	v_min_u32_e32 v30, 32, v26
	v_subrev_u32_e32 v26, 28, v30
	v_lshlrev_b64 v[26:27], v26, v[14:15]
	v_lshrrev_b32_e32 v29, 3, v24
	v_sub_u32_e32 v14, 29, v30
	v_and_b32_e32 v26, 7, v26
	v_cmp_gt_u32_e32 vcc, 8, v24
	v_cndmask_b32_e32 v14, v29, v14, vcc
	v_cndmask_b32_e32 v24, v25, v26, vcc
	v_lshlrev_b32_e32 v25, 16, v16
	v_bfrev_b32_e32 v26, 60
	v_lshlrev_b32_e32 v24, 20, v24
	v_and_b32_e32 v25, 0x80000000, v25
	v_lshl_add_u32 v14, v14, 23, v26
	v_or3_b32 v25, v25, v14, v24
.LBB571_457:
	s_or_b64 exec, exec, s[10:11]
.LBB571_458:
	s_or_b64 exec, exec, s[8:9]
.LBB571_459:
	s_or_b64 exec, exec, s[2:3]
	s_movk_i32 s2, 0xff
	v_and_b32_sdwa v24, v16, s2 dst_sel:DWORD dst_unused:UNUSED_PAD src0_sel:WORD_1 src1_sel:DWORD
	v_lshrrev_b32_e32 v14, 16, v16
	v_cmp_ne_u16_e32 vcc, 0, v24
	s_and_saveexec_b64 s[2:3], vcc
	s_cbranch_execz .LBB571_465
; %bb.460:
	s_movk_i32 s7, 0x80
	v_cmp_ne_u16_e32 vcc, s7, v24
	v_bfrev_b32_e32 v15, 1
	s_and_saveexec_b64 s[8:9], vcc
	s_cbranch_execz .LBB571_464
; %bb.461:
	v_bfe_u32 v24, v16, 16, 7
	s_movk_i32 s7, 0x7f
	v_cmp_ne_u32_e32 vcc, s7, v24
	v_mov_b32_e32 v15, 0x7f800001
	s_and_saveexec_b64 s[10:11], vcc
	s_cbranch_execz .LBB571_463
; %bb.462:
	v_and_b32_e32 v26, 7, v14
	v_ffbh_u32_e32 v15, v26
	v_min_u32_e32 v29, 32, v15
	v_subrev_u32_e32 v15, 28, v29
	v_lshlrev_b64 v[14:15], v15, v[14:15]
	v_lshrrev_b32_e32 v27, 3, v24
	v_sub_u32_e32 v15, 29, v29
	v_and_b32_e32 v14, 7, v14
	v_cmp_gt_u32_e32 vcc, 8, v24
	v_mov_b32_e32 v24, 24
	v_cndmask_b32_e32 v15, v27, v15, vcc
	v_cndmask_b32_e32 v14, v26, v14, vcc
	v_lshlrev_b32_sdwa v24, v24, v16 dst_sel:DWORD dst_unused:UNUSED_PAD src0_sel:DWORD src1_sel:WORD_1
	v_bfrev_b32_e32 v26, 60
	v_lshlrev_b32_e32 v14, 20, v14
	v_and_b32_e32 v24, 0x80000000, v24
	v_lshl_add_u32 v15, v15, 23, v26
	v_or3_b32 v15, v24, v15, v14
.LBB571_463:
	s_or_b64 exec, exec, s[10:11]
.LBB571_464:
	s_or_b64 exec, exec, s[8:9]
.LBB571_465:
	s_or_b64 exec, exec, s[2:3]
	s_mov_b32 s2, 0xffffff
	v_cmp_lt_u32_e32 vcc, s2, v16
	v_mov_b32_e32 v26, 0
	v_mov_b32_e32 v27, 0
	s_and_saveexec_b64 s[2:3], vcc
	s_cbranch_execz .LBB571_471
; %bb.466:
	v_lshrrev_b32_e32 v14, 24, v16
	s_movk_i32 s7, 0x80
	v_cmp_ne_u32_e32 vcc, s7, v14
	v_bfrev_b32_e32 v27, 1
	s_and_saveexec_b64 s[8:9], vcc
	s_cbranch_execz .LBB571_470
; %bb.467:
	v_bfe_u32 v16, v16, 24, 7
	s_movk_i32 s7, 0x7f
	v_cmp_ne_u32_e32 vcc, s7, v16
	v_mov_b32_e32 v27, 0x7f800001
	s_and_saveexec_b64 s[10:11], vcc
	s_cbranch_execz .LBB571_469
; %bb.468:
	v_and_b32_e32 v24, 7, v14
	v_ffbh_u32_e32 v29, v24
	v_min_u32_e32 v29, 32, v29
	v_subrev_u32_e32 v30, 28, v29
	v_lshlrev_b64 v[30:31], v30, v[14:15]
	v_lshrrev_b32_e32 v27, 3, v16
	v_sub_u32_e32 v29, 29, v29
	v_and_b32_e32 v30, 7, v30
	v_cmp_gt_u32_e32 vcc, 8, v16
	v_cndmask_b32_e32 v16, v27, v29, vcc
	v_cndmask_b32_e32 v24, v24, v30, vcc
	v_lshlrev_b32_e32 v14, 24, v14
	v_bfrev_b32_e32 v27, 60
	v_lshlrev_b32_e32 v24, 20, v24
	v_and_b32_e32 v14, 0x80000000, v14
	v_lshl_add_u32 v16, v16, 23, v27
	v_or3_b32 v27, v14, v16, v24
.LBB571_469:
	s_or_b64 exec, exec, s[10:11]
.LBB571_470:
	s_or_b64 exec, exec, s[8:9]
.LBB571_471:
	s_or_b64 exec, exec, s[2:3]
	v_cmp_ne_u16_sdwa s[8:9], v17, v26 src0_sel:BYTE_0 src1_sel:DWORD
	s_and_saveexec_b64 s[2:3], s[8:9]
	s_cbranch_execz .LBB571_477
; %bb.472:
	s_movk_i32 s7, 0x80
	v_cmp_ne_u16_sdwa s[10:11], v17, s7 src0_sel:BYTE_0 src1_sel:DWORD
	v_bfrev_b32_e32 v26, 1
	s_and_saveexec_b64 s[8:9], s[10:11]
	s_cbranch_execz .LBB571_476
; %bb.473:
	s_movk_i32 s7, 0x7f
	v_and_b32_e32 v14, 0x7f, v17
	v_cmp_ne_u32_e32 vcc, s7, v14
	v_mov_b32_e32 v26, 0x7f800001
	s_and_saveexec_b64 s[10:11], vcc
	s_cbranch_execz .LBB571_475
; %bb.474:
	v_and_b32_e32 v24, 7, v17
	v_ffbh_u32_e32 v29, v24
	v_min_u32_e32 v29, 32, v29
	v_mov_b32_e32 v16, v17
	v_subrev_u32_e32 v30, 28, v29
	v_lshlrev_b64 v[30:31], v30, v[16:17]
	v_lshrrev_b32_e32 v26, 3, v14
	v_sub_u32_e32 v16, 29, v29
	v_and_b32_e32 v29, 7, v30
	v_cmp_gt_u32_e32 vcc, 8, v14
	v_cndmask_b32_e32 v14, v26, v16, vcc
	v_cndmask_b32_e32 v16, v24, v29, vcc
	v_lshlrev_b32_e32 v24, 24, v17
	v_bfrev_b32_e32 v26, 60
	v_lshlrev_b32_e32 v16, 20, v16
	v_and_b32_e32 v24, 0x80000000, v24
	v_lshl_add_u32 v14, v14, 23, v26
	v_or3_b32 v26, v24, v14, v16
.LBB571_475:
	s_or_b64 exec, exec, s[10:11]
.LBB571_476:
	s_or_b64 exec, exec, s[8:9]
.LBB571_477:
	s_or_b64 exec, exec, s[2:3]
	v_lshrrev_b16_e32 v14, 8, v17
	v_cmp_ne_u16_e32 vcc, 0, v14
	v_mov_b32_e32 v16, 0
	v_mov_b32_e32 v29, 0
	s_and_saveexec_b64 s[2:3], vcc
	s_cbranch_execz .LBB571_483
; %bb.478:
	s_movk_i32 s7, 0x80
	v_cmp_ne_u16_e32 vcc, s7, v14
	v_bfrev_b32_e32 v29, 1
	s_and_saveexec_b64 s[8:9], vcc
	s_cbranch_execz .LBB571_482
; %bb.479:
	s_movk_i32 s7, 0x7f
	v_and_b32_e32 v24, 0x7f, v14
	v_cmp_ne_u32_e32 vcc, s7, v24
	v_mov_b32_e32 v29, 0x7f800001
	s_and_saveexec_b64 s[10:11], vcc
	s_cbranch_execz .LBB571_481
; %bb.480:
	v_and_b32_e32 v29, 7, v14
	v_ffbh_u32_e32 v30, v29
	v_min_u32_e32 v33, 32, v30
	v_subrev_u32_e32 v30, 28, v33
	v_lshlrev_b64 v[30:31], v30, v[14:15]
	v_lshrrev_b32_e32 v32, 3, v24
	v_sub_u32_e32 v14, 29, v33
	v_and_b32_e32 v30, 7, v30
	v_cmp_gt_u32_e32 vcc, 8, v24
	v_cndmask_b32_e32 v14, v32, v14, vcc
	v_cndmask_b32_e32 v24, v29, v30, vcc
	v_lshlrev_b32_e32 v29, 16, v17
	v_bfrev_b32_e32 v30, 60
	v_lshlrev_b32_e32 v24, 20, v24
	v_and_b32_e32 v29, 0x80000000, v29
	v_lshl_add_u32 v14, v14, 23, v30
	v_or3_b32 v29, v29, v14, v24
.LBB571_481:
	s_or_b64 exec, exec, s[10:11]
.LBB571_482:
	s_or_b64 exec, exec, s[8:9]
.LBB571_483:
	s_or_b64 exec, exec, s[2:3]
	s_movk_i32 s2, 0xff
	v_and_b32_sdwa v24, v17, s2 dst_sel:DWORD dst_unused:UNUSED_PAD src0_sel:WORD_1 src1_sel:DWORD
	v_lshrrev_b32_e32 v14, 16, v17
	v_cmp_ne_u16_e32 vcc, 0, v24
	s_and_saveexec_b64 s[2:3], vcc
	s_cbranch_execz .LBB571_489
; %bb.484:
	s_movk_i32 s7, 0x80
	v_cmp_ne_u16_e32 vcc, s7, v24
	v_bfrev_b32_e32 v16, 1
	s_and_saveexec_b64 s[8:9], vcc
	s_cbranch_execz .LBB571_488
; %bb.485:
	v_bfe_u32 v24, v17, 16, 7
	s_movk_i32 s7, 0x7f
	v_cmp_ne_u32_e32 vcc, s7, v24
	v_mov_b32_e32 v16, 0x7f800001
	s_and_saveexec_b64 s[10:11], vcc
	s_cbranch_execz .LBB571_487
; %bb.486:
	v_and_b32_e32 v16, 7, v14
	v_ffbh_u32_e32 v30, v16
	v_min_u32_e32 v33, 32, v30
	v_subrev_u32_e32 v30, 28, v33
	v_lshlrev_b64 v[30:31], v30, v[14:15]
	v_lshrrev_b32_e32 v32, 3, v24
	v_sub_u32_e32 v14, 29, v33
	v_and_b32_e32 v30, 7, v30
	v_cmp_gt_u32_e32 vcc, 8, v24
	v_mov_b32_e32 v24, 24
	v_cndmask_b32_e32 v14, v32, v14, vcc
	v_cndmask_b32_e32 v16, v16, v30, vcc
	v_lshlrev_b32_sdwa v24, v24, v17 dst_sel:DWORD dst_unused:UNUSED_PAD src0_sel:DWORD src1_sel:WORD_1
	v_bfrev_b32_e32 v30, 60
	v_lshlrev_b32_e32 v16, 20, v16
	v_and_b32_e32 v24, 0x80000000, v24
	v_lshl_add_u32 v14, v14, 23, v30
	v_or3_b32 v16, v24, v14, v16
.LBB571_487:
	s_or_b64 exec, exec, s[10:11]
.LBB571_488:
	s_or_b64 exec, exec, s[8:9]
.LBB571_489:
	s_or_b64 exec, exec, s[2:3]
	s_mov_b32 s2, 0xffffff
	v_cmp_lt_u32_e32 vcc, s2, v17
	v_mov_b32_e32 v24, 0
	v_mov_b32_e32 v30, 0
	s_and_saveexec_b64 s[2:3], vcc
	s_cbranch_execz .LBB571_495
; %bb.490:
	v_lshrrev_b32_e32 v14, 24, v17
	s_movk_i32 s7, 0x80
	v_cmp_ne_u32_e32 vcc, s7, v14
	v_bfrev_b32_e32 v30, 1
	s_and_saveexec_b64 s[8:9], vcc
	s_cbranch_execz .LBB571_494
; %bb.491:
	v_bfe_u32 v17, v17, 24, 7
	s_movk_i32 s7, 0x7f
	v_cmp_ne_u32_e32 vcc, s7, v17
	v_mov_b32_e32 v30, 0x7f800001
	s_and_saveexec_b64 s[10:11], vcc
	s_cbranch_execz .LBB571_493
; %bb.492:
	v_and_b32_e32 v32, 7, v14
	v_ffbh_u32_e32 v30, v32
	v_min_u32_e32 v34, 32, v30
	v_subrev_u32_e32 v30, 28, v34
	v_lshlrev_b64 v[30:31], v30, v[14:15]
	v_lshrrev_b32_e32 v33, 3, v17
	v_sub_u32_e32 v31, 29, v34
	v_and_b32_e32 v30, 7, v30
	v_cmp_gt_u32_e32 vcc, 8, v17
	v_cndmask_b32_e32 v17, v33, v31, vcc
	v_cndmask_b32_e32 v30, v32, v30, vcc
	v_lshlrev_b32_e32 v14, 24, v14
	v_bfrev_b32_e32 v31, 60
	v_lshlrev_b32_e32 v30, 20, v30
	v_and_b32_e32 v14, 0x80000000, v14
	v_lshl_add_u32 v17, v17, 23, v31
	v_or3_b32 v30, v14, v17, v30
.LBB571_493:
	s_or_b64 exec, exec, s[10:11]
.LBB571_494:
	s_or_b64 exec, exec, s[8:9]
.LBB571_495:
	s_or_b64 exec, exec, s[2:3]
	v_cvt_pkrtz_f16_f32 v14, v23, v25
	v_cvt_pkrtz_f16_f32 v15, v15, v27
	ds_read_b128 v[32:35], v22 offset:16
	s_waitcnt vmcnt(2)
	v_cmp_ne_u16_sdwa s[8:9], v10, v24 src0_sel:BYTE_0 src1_sel:DWORD
	s_waitcnt lgkmcnt(0)
	v_mfma_f32_16x16x16f16 v[18:21], v[14:15], v[32:33], v[18:21]
	v_cvt_pkrtz_f16_f32 v14, v26, v29
	v_cvt_pkrtz_f16_f32 v15, v16, v30
	s_nop 1
	v_mfma_f32_16x16x16f16 v[14:17], v[14:15], v[34:35], v[18:21]
	s_and_saveexec_b64 s[2:3], s[8:9]
	s_cbranch_execz .LBB571_501
; %bb.496:
	s_movk_i32 s7, 0x80
	v_cmp_ne_u16_sdwa s[10:11], v10, s7 src0_sel:BYTE_0 src1_sel:DWORD
	v_bfrev_b32_e32 v24, 1
	s_and_saveexec_b64 s[8:9], s[10:11]
	s_cbranch_execz .LBB571_500
; %bb.497:
	s_movk_i32 s7, 0x7f
	v_and_b32_e32 v18, 0x7f, v10
	v_cmp_ne_u32_e32 vcc, s7, v18
	v_mov_b32_e32 v24, 0x7f800001
	s_and_saveexec_b64 s[10:11], vcc
	s_cbranch_execz .LBB571_499
; %bb.498:
	v_and_b32_e32 v19, 7, v10
	v_ffbh_u32_e32 v20, v19
	v_min_u32_e32 v24, 32, v20
	v_subrev_u32_e32 v20, 28, v24
	v_lshlrev_b64 v[20:21], v20, v[10:11]
	v_lshrrev_b32_e32 v23, 3, v18
	v_sub_u32_e32 v21, 29, v24
	v_and_b32_e32 v20, 7, v20
	v_cmp_gt_u32_e32 vcc, 8, v18
	v_cndmask_b32_e32 v18, v23, v21, vcc
	v_cndmask_b32_e32 v19, v19, v20, vcc
	v_lshlrev_b32_e32 v20, 24, v10
	v_bfrev_b32_e32 v21, 60
	v_lshlrev_b32_e32 v19, 20, v19
	v_and_b32_e32 v20, 0x80000000, v20
	v_lshl_add_u32 v18, v18, 23, v21
	v_or3_b32 v24, v20, v18, v19
.LBB571_499:
	s_or_b64 exec, exec, s[10:11]
.LBB571_500:
	s_or_b64 exec, exec, s[8:9]
.LBB571_501:
	s_or_b64 exec, exec, s[2:3]
	s_nop 3
	v_lshrrev_b16_e32 v18, 8, v10
	v_cmp_ne_u16_e32 vcc, 0, v18
	v_mov_b32_e32 v19, 0
	v_mov_b32_e32 v20, 0
	s_and_saveexec_b64 s[2:3], vcc
	s_cbranch_execz .LBB571_507
; %bb.502:
	s_movk_i32 s7, 0x80
	v_cmp_ne_u16_e32 vcc, s7, v18
	v_bfrev_b32_e32 v20, 1
	s_and_saveexec_b64 s[8:9], vcc
	s_cbranch_execz .LBB571_506
; %bb.503:
	s_movk_i32 s7, 0x7f
	v_and_b32_e32 v21, 0x7f, v18
	v_cmp_ne_u32_e32 vcc, s7, v21
	v_mov_b32_e32 v20, 0x7f800001
	s_and_saveexec_b64 s[10:11], vcc
	s_cbranch_execz .LBB571_505
; %bb.504:
	v_and_b32_e32 v20, 7, v18
	v_ffbh_u32_e32 v25, v20
	v_min_u32_e32 v25, 32, v25
	v_subrev_u32_e32 v26, 28, v25
	v_lshlrev_b64 v[26:27], v26, v[18:19]
	v_lshrrev_b32_e32 v23, 3, v21
	v_sub_u32_e32 v18, 29, v25
	v_and_b32_e32 v25, 7, v26
	v_cmp_gt_u32_e32 vcc, 8, v21
	v_cndmask_b32_e32 v18, v23, v18, vcc
	v_cndmask_b32_e32 v20, v20, v25, vcc
	v_lshlrev_b32_e32 v21, 16, v10
	v_bfrev_b32_e32 v23, 60
	v_lshlrev_b32_e32 v20, 20, v20
	v_and_b32_e32 v21, 0x80000000, v21
	v_lshl_add_u32 v18, v18, 23, v23
	v_or3_b32 v20, v21, v18, v20
.LBB571_505:
	s_or_b64 exec, exec, s[10:11]
.LBB571_506:
	s_or_b64 exec, exec, s[8:9]
.LBB571_507:
	s_or_b64 exec, exec, s[2:3]
	s_movk_i32 s2, 0xff
	v_and_b32_sdwa v21, v10, s2 dst_sel:DWORD dst_unused:UNUSED_PAD src0_sel:WORD_1 src1_sel:DWORD
	v_lshrrev_b32_e32 v18, 16, v10
	v_cmp_ne_u16_e32 vcc, 0, v21
	s_and_saveexec_b64 s[2:3], vcc
	s_cbranch_execz .LBB571_513
; %bb.508:
	s_movk_i32 s7, 0x80
	v_cmp_ne_u16_e32 vcc, s7, v21
	v_bfrev_b32_e32 v19, 1
	s_and_saveexec_b64 s[8:9], vcc
	s_cbranch_execz .LBB571_512
; %bb.509:
	v_bfe_u32 v21, v10, 16, 7
	s_movk_i32 s7, 0x7f
	v_cmp_ne_u32_e32 vcc, s7, v21
	v_mov_b32_e32 v19, 0x7f800001
	s_and_saveexec_b64 s[10:11], vcc
	s_cbranch_execz .LBB571_511
; %bb.510:
	v_and_b32_e32 v23, 7, v18
	v_ffbh_u32_e32 v19, v23
	v_min_u32_e32 v26, 32, v19
	v_subrev_u32_e32 v19, 28, v26
	v_lshlrev_b64 v[18:19], v19, v[18:19]
	v_lshrrev_b32_e32 v25, 3, v21
	v_sub_u32_e32 v19, 29, v26
	v_and_b32_e32 v18, 7, v18
	v_cmp_gt_u32_e32 vcc, 8, v21
	v_mov_b32_e32 v21, 24
	v_cndmask_b32_e32 v19, v25, v19, vcc
	v_cndmask_b32_e32 v18, v23, v18, vcc
	v_lshlrev_b32_sdwa v21, v21, v10 dst_sel:DWORD dst_unused:UNUSED_PAD src0_sel:DWORD src1_sel:WORD_1
	v_bfrev_b32_e32 v23, 60
	v_lshlrev_b32_e32 v18, 20, v18
	v_and_b32_e32 v21, 0x80000000, v21
	v_lshl_add_u32 v19, v19, 23, v23
	v_or3_b32 v19, v21, v19, v18
.LBB571_511:
	s_or_b64 exec, exec, s[10:11]
.LBB571_512:
	s_or_b64 exec, exec, s[8:9]
.LBB571_513:
	s_or_b64 exec, exec, s[2:3]
	s_mov_b32 s2, 0xffffff
	v_cmp_lt_u32_e32 vcc, s2, v10
	v_mov_b32_e32 v21, 0
	v_mov_b32_e32 v23, 0
	s_and_saveexec_b64 s[2:3], vcc
	s_cbranch_execz .LBB571_519
; %bb.514:
	v_lshrrev_b32_e32 v18, 24, v10
	s_movk_i32 s7, 0x80
	v_cmp_ne_u32_e32 vcc, s7, v18
	v_bfrev_b32_e32 v23, 1
	s_and_saveexec_b64 s[8:9], vcc
	s_cbranch_execz .LBB571_518
; %bb.515:
	v_bfe_u32 v10, v10, 24, 7
	s_movk_i32 s7, 0x7f
	v_cmp_ne_u32_e32 vcc, s7, v10
	v_mov_b32_e32 v23, 0x7f800001
	s_and_saveexec_b64 s[10:11], vcc
	s_cbranch_execz .LBB571_517
; %bb.516:
	v_and_b32_e32 v23, 7, v18
	v_ffbh_u32_e32 v26, v23
	v_min_u32_e32 v29, 32, v26
	v_subrev_u32_e32 v26, 28, v29
	v_lshlrev_b64 v[26:27], v26, v[18:19]
	v_lshrrev_b32_e32 v25, 3, v10
	v_sub_u32_e32 v27, 29, v29
	v_and_b32_e32 v26, 7, v26
	v_cmp_gt_u32_e32 vcc, 8, v10
	v_cndmask_b32_e32 v10, v25, v27, vcc
	v_cndmask_b32_e32 v23, v23, v26, vcc
	v_lshlrev_b32_e32 v18, 24, v18
	v_bfrev_b32_e32 v25, 60
	v_lshlrev_b32_e32 v23, 20, v23
	v_and_b32_e32 v18, 0x80000000, v18
	v_lshl_add_u32 v10, v10, 23, v25
	v_or3_b32 v23, v18, v10, v23
.LBB571_517:
	s_or_b64 exec, exec, s[10:11]
.LBB571_518:
	s_or_b64 exec, exec, s[8:9]
.LBB571_519:
	s_or_b64 exec, exec, s[2:3]
	v_cmp_ne_u16_sdwa s[8:9], v11, v21 src0_sel:BYTE_0 src1_sel:DWORD
	s_and_saveexec_b64 s[2:3], s[8:9]
	s_cbranch_execz .LBB571_525
; %bb.520:
	s_movk_i32 s7, 0x80
	v_cmp_ne_u16_sdwa s[10:11], v11, s7 src0_sel:BYTE_0 src1_sel:DWORD
	v_bfrev_b32_e32 v21, 1
	s_and_saveexec_b64 s[8:9], s[10:11]
	s_cbranch_execz .LBB571_524
; %bb.521:
	s_movk_i32 s7, 0x7f
	v_and_b32_e32 v10, 0x7f, v11
	v_cmp_ne_u32_e32 vcc, s7, v10
	v_mov_b32_e32 v21, 0x7f800001
	s_and_saveexec_b64 s[10:11], vcc
	s_cbranch_execz .LBB571_523
; %bb.522:
	v_and_b32_e32 v21, 7, v11
	v_ffbh_u32_e32 v26, v21
	v_min_u32_e32 v29, 32, v26
	v_mov_b32_e32 v18, v11
	v_subrev_u32_e32 v26, 28, v29
	v_lshlrev_b64 v[26:27], v26, v[18:19]
	v_lshrrev_b32_e32 v25, 3, v10
	v_sub_u32_e32 v18, 29, v29
	v_and_b32_e32 v26, 7, v26
	v_cmp_gt_u32_e32 vcc, 8, v10
	v_cndmask_b32_e32 v10, v25, v18, vcc
	v_cndmask_b32_e32 v18, v21, v26, vcc
	v_lshlrev_b32_e32 v21, 24, v11
	v_bfrev_b32_e32 v25, 60
	v_lshlrev_b32_e32 v18, 20, v18
	v_and_b32_e32 v21, 0x80000000, v21
	v_lshl_add_u32 v10, v10, 23, v25
	v_or3_b32 v21, v21, v10, v18
.LBB571_523:
	s_or_b64 exec, exec, s[10:11]
.LBB571_524:
	s_or_b64 exec, exec, s[8:9]
.LBB571_525:
	s_or_b64 exec, exec, s[2:3]
	v_lshrrev_b16_e32 v10, 8, v11
	v_cmp_ne_u16_e32 vcc, 0, v10
	v_mov_b32_e32 v25, 0
	v_mov_b32_e32 v26, 0
	s_and_saveexec_b64 s[2:3], vcc
	s_cbranch_execz .LBB571_531
; %bb.526:
	s_movk_i32 s7, 0x80
	v_cmp_ne_u16_e32 vcc, s7, v10
	v_bfrev_b32_e32 v26, 1
	s_and_saveexec_b64 s[8:9], vcc
	s_cbranch_execz .LBB571_530
; %bb.527:
	s_movk_i32 s7, 0x7f
	v_and_b32_e32 v18, 0x7f, v10
	v_cmp_ne_u32_e32 vcc, s7, v18
	v_mov_b32_e32 v26, 0x7f800001
	s_and_saveexec_b64 s[10:11], vcc
	s_cbranch_execz .LBB571_529
; %bb.528:
	v_and_b32_e32 v29, 7, v10
	v_ffbh_u32_e32 v26, v29
	v_min_u32_e32 v31, 32, v26
	v_subrev_u32_e32 v26, 28, v31
	v_lshlrev_b64 v[26:27], v26, v[10:11]
	v_lshrrev_b32_e32 v30, 3, v18
	v_sub_u32_e32 v10, 29, v31
	v_and_b32_e32 v26, 7, v26
	v_cmp_gt_u32_e32 vcc, 8, v18
	v_cndmask_b32_e32 v10, v30, v10, vcc
	v_cndmask_b32_e32 v18, v29, v26, vcc
	v_lshlrev_b32_e32 v26, 16, v11
	v_bfrev_b32_e32 v27, 60
	v_lshlrev_b32_e32 v18, 20, v18
	v_and_b32_e32 v26, 0x80000000, v26
	v_lshl_add_u32 v10, v10, 23, v27
	v_or3_b32 v26, v26, v10, v18
.LBB571_529:
	s_or_b64 exec, exec, s[10:11]
.LBB571_530:
	s_or_b64 exec, exec, s[8:9]
.LBB571_531:
	s_or_b64 exec, exec, s[2:3]
	s_movk_i32 s2, 0xff
	v_and_b32_sdwa v18, v11, s2 dst_sel:DWORD dst_unused:UNUSED_PAD src0_sel:WORD_1 src1_sel:DWORD
	v_lshrrev_b32_e32 v10, 16, v11
	v_cmp_ne_u16_e32 vcc, 0, v18
	s_and_saveexec_b64 s[2:3], vcc
	s_cbranch_execz .LBB571_537
; %bb.532:
	s_movk_i32 s7, 0x80
	v_cmp_ne_u16_e32 vcc, s7, v18
	v_bfrev_b32_e32 v25, 1
	s_and_saveexec_b64 s[8:9], vcc
	s_cbranch_execz .LBB571_536
; %bb.533:
	v_bfe_u32 v18, v11, 16, 7
	s_movk_i32 s7, 0x7f
	v_cmp_ne_u32_e32 vcc, s7, v18
	v_mov_b32_e32 v25, 0x7f800001
	s_and_saveexec_b64 s[10:11], vcc
	s_cbranch_execz .LBB571_535
; %bb.534:
	v_and_b32_e32 v25, 7, v10
	v_ffbh_u32_e32 v29, v25
	v_min_u32_e32 v29, 32, v29
	v_subrev_u32_e32 v30, 28, v29
	v_lshlrev_b64 v[30:31], v30, v[10:11]
	v_sub_u32_e32 v10, 29, v29
	v_and_b32_e32 v29, 7, v30
	v_cmp_gt_u32_e32 vcc, 8, v18
	v_lshrrev_b32_e32 v27, 3, v18
	v_cndmask_b32_e32 v18, v25, v29, vcc
	v_mov_b32_e32 v25, 24
	v_cndmask_b32_e32 v10, v27, v10, vcc
	v_lshlrev_b32_sdwa v25, v25, v11 dst_sel:DWORD dst_unused:UNUSED_PAD src0_sel:DWORD src1_sel:WORD_1
	v_bfrev_b32_e32 v27, 60
	v_lshlrev_b32_e32 v18, 20, v18
	v_and_b32_e32 v25, 0x80000000, v25
	v_lshl_add_u32 v10, v10, 23, v27
	v_or3_b32 v25, v25, v10, v18
.LBB571_535:
	s_or_b64 exec, exec, s[10:11]
.LBB571_536:
	s_or_b64 exec, exec, s[8:9]
.LBB571_537:
	s_or_b64 exec, exec, s[2:3]
	s_mov_b32 s2, 0xffffff
	v_cmp_lt_u32_e32 vcc, s2, v11
	v_mov_b32_e32 v18, 0
	v_mov_b32_e32 v27, 0
	s_and_saveexec_b64 s[2:3], vcc
	s_cbranch_execz .LBB571_543
; %bb.538:
	v_lshrrev_b32_e32 v10, 24, v11
	s_movk_i32 s7, 0x80
	v_cmp_ne_u32_e32 vcc, s7, v10
	v_bfrev_b32_e32 v27, 1
	s_and_saveexec_b64 s[8:9], vcc
	s_cbranch_execz .LBB571_542
; %bb.539:
	v_bfe_u32 v11, v11, 24, 7
	s_movk_i32 s7, 0x7f
	v_cmp_ne_u32_e32 vcc, s7, v11
	v_mov_b32_e32 v27, 0x7f800001
	s_and_saveexec_b64 s[10:11], vcc
	s_cbranch_execz .LBB571_541
; %bb.540:
	v_and_b32_e32 v27, 7, v10
	v_ffbh_u32_e32 v30, v27
	v_min_u32_e32 v32, 32, v30
	v_subrev_u32_e32 v30, 28, v32
	v_lshlrev_b64 v[30:31], v30, v[10:11]
	v_lshrrev_b32_e32 v29, 3, v11
	v_sub_u32_e32 v31, 29, v32
	v_and_b32_e32 v30, 7, v30
	v_cmp_gt_u32_e32 vcc, 8, v11
	v_cndmask_b32_e32 v11, v29, v31, vcc
	v_cndmask_b32_e32 v27, v27, v30, vcc
	v_lshlrev_b32_e32 v10, 24, v10
	v_bfrev_b32_e32 v29, 60
	v_lshlrev_b32_e32 v27, 20, v27
	v_and_b32_e32 v10, 0x80000000, v10
	v_lshl_add_u32 v11, v11, 23, v29
	v_or3_b32 v27, v10, v11, v27
.LBB571_541:
	s_or_b64 exec, exec, s[10:11]
.LBB571_542:
	s_or_b64 exec, exec, s[8:9]
.LBB571_543:
	s_or_b64 exec, exec, s[2:3]
	v_cvt_pkrtz_f16_f32 v10, v24, v20
	v_cvt_pkrtz_f16_f32 v11, v19, v23
	ds_read_b128 v[30:33], v22 offset:2048
	v_cmp_ne_u16_sdwa s[8:9], v12, v18 src0_sel:BYTE_0 src1_sel:DWORD
	s_waitcnt lgkmcnt(0)
	v_mfma_f32_16x16x16f16 v[14:17], v[10:11], v[30:31], v[14:17]
	v_cvt_pkrtz_f16_f32 v10, v21, v26
	v_cvt_pkrtz_f16_f32 v11, v25, v27
	s_nop 1
	v_mfma_f32_16x16x16f16 v[14:17], v[10:11], v[32:33], v[14:17]
	s_and_saveexec_b64 s[2:3], s[8:9]
	s_cbranch_execz .LBB571_549
; %bb.544:
	s_movk_i32 s7, 0x80
	v_cmp_ne_u16_sdwa s[10:11], v12, s7 src0_sel:BYTE_0 src1_sel:DWORD
	v_bfrev_b32_e32 v18, 1
	s_and_saveexec_b64 s[8:9], s[10:11]
	s_cbranch_execz .LBB571_548
; %bb.545:
	s_movk_i32 s7, 0x7f
	v_and_b32_e32 v10, 0x7f, v12
	v_cmp_ne_u32_e32 vcc, s7, v10
	v_mov_b32_e32 v18, 0x7f800001
	s_and_saveexec_b64 s[10:11], vcc
	s_cbranch_execz .LBB571_547
; %bb.546:
	v_and_b32_e32 v11, 7, v12
	v_ffbh_u32_e32 v18, v11
	v_min_u32_e32 v21, 32, v18
	v_subrev_u32_e32 v18, 28, v21
	v_lshlrev_b64 v[18:19], v18, v[12:13]
	v_lshrrev_b32_e32 v20, 3, v10
	v_sub_u32_e32 v19, 29, v21
	v_and_b32_e32 v18, 7, v18
	v_cmp_gt_u32_e32 vcc, 8, v10
	v_cndmask_b32_e32 v10, v20, v19, vcc
	v_cndmask_b32_e32 v11, v11, v18, vcc
	v_lshlrev_b32_e32 v18, 24, v12
	v_bfrev_b32_e32 v19, 60
	v_lshlrev_b32_e32 v11, 20, v11
	v_and_b32_e32 v18, 0x80000000, v18
	v_lshl_add_u32 v10, v10, 23, v19
	v_or3_b32 v18, v18, v10, v11
.LBB571_547:
	s_or_b64 exec, exec, s[10:11]
.LBB571_548:
	s_or_b64 exec, exec, s[8:9]
.LBB571_549:
	s_or_b64 exec, exec, s[2:3]
	v_lshrrev_b16_e32 v10, 8, v12
	v_cmp_ne_u16_e32 vcc, 0, v10
	v_mov_b32_e32 v11, 0
	v_mov_b32_e32 v20, 0
	s_and_saveexec_b64 s[2:3], vcc
	s_cbranch_execz .LBB571_555
; %bb.550:
	s_movk_i32 s7, 0x80
	v_cmp_ne_u16_e32 vcc, s7, v10
	v_bfrev_b32_e32 v20, 1
	s_and_saveexec_b64 s[8:9], vcc
	s_cbranch_execz .LBB571_554
; %bb.551:
	s_movk_i32 s7, 0x7f
	v_and_b32_e32 v19, 0x7f, v10
	v_cmp_ne_u32_e32 vcc, s7, v19
	v_mov_b32_e32 v20, 0x7f800001
	s_and_saveexec_b64 s[10:11], vcc
	s_cbranch_execz .LBB571_553
; %bb.552:
	v_and_b32_e32 v23, 7, v10
	v_ffbh_u32_e32 v20, v23
	v_min_u32_e32 v25, 32, v20
	v_subrev_u32_e32 v20, 28, v25
	v_lshlrev_b64 v[20:21], v20, v[10:11]
	v_lshrrev_b32_e32 v24, 3, v19
	v_sub_u32_e32 v10, 29, v25
	v_and_b32_e32 v20, 7, v20
	v_cmp_gt_u32_e32 vcc, 8, v19
	v_cndmask_b32_e32 v10, v24, v10, vcc
	v_cndmask_b32_e32 v19, v23, v20, vcc
	v_lshlrev_b32_e32 v20, 16, v12
	v_bfrev_b32_e32 v21, 60
	v_lshlrev_b32_e32 v19, 20, v19
	v_and_b32_e32 v20, 0x80000000, v20
	v_lshl_add_u32 v10, v10, 23, v21
	v_or3_b32 v20, v20, v10, v19
.LBB571_553:
	s_or_b64 exec, exec, s[10:11]
.LBB571_554:
	s_or_b64 exec, exec, s[8:9]
.LBB571_555:
	s_or_b64 exec, exec, s[2:3]
	s_movk_i32 s2, 0xff
	v_and_b32_sdwa v19, v12, s2 dst_sel:DWORD dst_unused:UNUSED_PAD src0_sel:WORD_1 src1_sel:DWORD
	v_lshrrev_b32_e32 v10, 16, v12
	v_cmp_ne_u16_e32 vcc, 0, v19
	s_and_saveexec_b64 s[2:3], vcc
	s_cbranch_execz .LBB571_561
; %bb.556:
	s_movk_i32 s7, 0x80
	v_cmp_ne_u16_e32 vcc, s7, v19
	v_bfrev_b32_e32 v11, 1
	s_and_saveexec_b64 s[8:9], vcc
	s_cbranch_execz .LBB571_560
; %bb.557:
	v_bfe_u32 v19, v12, 16, 7
	s_movk_i32 s7, 0x7f
	v_cmp_ne_u32_e32 vcc, s7, v19
	v_mov_b32_e32 v11, 0x7f800001
	s_and_saveexec_b64 s[10:11], vcc
	s_cbranch_execz .LBB571_559
; %bb.558:
	v_and_b32_e32 v21, 7, v10
	v_ffbh_u32_e32 v11, v21
	v_min_u32_e32 v24, 32, v11
	v_subrev_u32_e32 v11, 28, v24
	v_lshlrev_b64 v[10:11], v11, v[10:11]
	v_lshrrev_b32_e32 v23, 3, v19
	v_sub_u32_e32 v11, 29, v24
	v_and_b32_e32 v10, 7, v10
	v_cmp_gt_u32_e32 vcc, 8, v19
	v_mov_b32_e32 v19, 24
	v_cndmask_b32_e32 v11, v23, v11, vcc
	v_cndmask_b32_e32 v10, v21, v10, vcc
	v_lshlrev_b32_sdwa v19, v19, v12 dst_sel:DWORD dst_unused:UNUSED_PAD src0_sel:DWORD src1_sel:WORD_1
	v_bfrev_b32_e32 v21, 60
	v_lshlrev_b32_e32 v10, 20, v10
	v_and_b32_e32 v19, 0x80000000, v19
	v_lshl_add_u32 v11, v11, 23, v21
	v_or3_b32 v11, v19, v11, v10
.LBB571_559:
	s_or_b64 exec, exec, s[10:11]
.LBB571_560:
	s_or_b64 exec, exec, s[8:9]
.LBB571_561:
	s_or_b64 exec, exec, s[2:3]
	s_mov_b32 s2, 0xffffff
	v_cmp_lt_u32_e32 vcc, s2, v12
	v_mov_b32_e32 v21, 0
	v_mov_b32_e32 v23, 0
	s_and_saveexec_b64 s[2:3], vcc
	s_cbranch_execz .LBB571_567
; %bb.562:
	v_lshrrev_b32_e32 v10, 24, v12
	s_movk_i32 s7, 0x80
	v_cmp_ne_u32_e32 vcc, s7, v10
	v_bfrev_b32_e32 v23, 1
	s_and_saveexec_b64 s[8:9], vcc
	s_cbranch_execz .LBB571_566
; %bb.563:
	v_bfe_u32 v12, v12, 24, 7
	s_movk_i32 s7, 0x7f
	v_cmp_ne_u32_e32 vcc, s7, v12
	v_mov_b32_e32 v23, 0x7f800001
	s_and_saveexec_b64 s[10:11], vcc
	s_cbranch_execz .LBB571_565
; %bb.564:
	v_and_b32_e32 v19, 7, v10
	v_ffbh_u32_e32 v24, v19
	v_min_u32_e32 v26, 32, v24
	v_subrev_u32_e32 v24, 28, v26
	v_lshlrev_b64 v[24:25], v24, v[10:11]
	v_lshrrev_b32_e32 v23, 3, v12
	v_sub_u32_e32 v25, 29, v26
	v_and_b32_e32 v24, 7, v24
	v_cmp_gt_u32_e32 vcc, 8, v12
	v_cndmask_b32_e32 v12, v23, v25, vcc
	v_cndmask_b32_e32 v19, v19, v24, vcc
	v_lshlrev_b32_e32 v10, 24, v10
	v_bfrev_b32_e32 v23, 60
	v_lshlrev_b32_e32 v19, 20, v19
	v_and_b32_e32 v10, 0x80000000, v10
	v_lshl_add_u32 v12, v12, 23, v23
	v_or3_b32 v23, v10, v12, v19
.LBB571_565:
	s_or_b64 exec, exec, s[10:11]
.LBB571_566:
	s_or_b64 exec, exec, s[8:9]
.LBB571_567:
	s_or_b64 exec, exec, s[2:3]
	v_cmp_ne_u16_sdwa s[8:9], v13, v21 src0_sel:BYTE_0 src1_sel:DWORD
	s_and_saveexec_b64 s[2:3], s[8:9]
	s_cbranch_execz .LBB571_573
; %bb.568:
	s_movk_i32 s7, 0x80
	v_cmp_ne_u16_sdwa s[10:11], v13, s7 src0_sel:BYTE_0 src1_sel:DWORD
	v_bfrev_b32_e32 v21, 1
	s_and_saveexec_b64 s[8:9], s[10:11]
	s_cbranch_execz .LBB571_572
; %bb.569:
	s_movk_i32 s7, 0x7f
	v_and_b32_e32 v10, 0x7f, v13
	v_cmp_ne_u32_e32 vcc, s7, v10
	v_mov_b32_e32 v21, 0x7f800001
	s_and_saveexec_b64 s[10:11], vcc
	s_cbranch_execz .LBB571_571
; %bb.570:
	v_and_b32_e32 v19, 7, v13
	v_ffbh_u32_e32 v24, v19
	v_min_u32_e32 v26, 32, v24
	v_mov_b32_e32 v12, v13
	v_subrev_u32_e32 v24, 28, v26
	v_lshlrev_b64 v[24:25], v24, v[12:13]
	v_lshrrev_b32_e32 v21, 3, v10
	v_sub_u32_e32 v12, 29, v26
	v_and_b32_e32 v24, 7, v24
	v_cmp_gt_u32_e32 vcc, 8, v10
	v_cndmask_b32_e32 v10, v21, v12, vcc
	v_cndmask_b32_e32 v12, v19, v24, vcc
	v_lshlrev_b32_e32 v19, 24, v13
	v_bfrev_b32_e32 v21, 60
	v_lshlrev_b32_e32 v12, 20, v12
	v_and_b32_e32 v19, 0x80000000, v19
	v_lshl_add_u32 v10, v10, 23, v21
	v_or3_b32 v21, v19, v10, v12
.LBB571_571:
	s_or_b64 exec, exec, s[10:11]
.LBB571_572:
	s_or_b64 exec, exec, s[8:9]
.LBB571_573:
	s_or_b64 exec, exec, s[2:3]
	v_lshrrev_b16_e32 v10, 8, v13
	v_cmp_ne_u16_e32 vcc, 0, v10
	v_mov_b32_e32 v12, 0
	v_mov_b32_e32 v24, 0
	s_and_saveexec_b64 s[2:3], vcc
	s_cbranch_execz .LBB571_579
; %bb.574:
	s_movk_i32 s7, 0x80
	v_cmp_ne_u16_e32 vcc, s7, v10
	v_bfrev_b32_e32 v24, 1
	s_and_saveexec_b64 s[8:9], vcc
	s_cbranch_execz .LBB571_578
; %bb.575:
	s_movk_i32 s7, 0x7f
	v_and_b32_e32 v19, 0x7f, v10
	v_cmp_ne_u32_e32 vcc, s7, v19
	v_mov_b32_e32 v24, 0x7f800001
	s_and_saveexec_b64 s[10:11], vcc
	s_cbranch_execz .LBB571_577
; %bb.576:
	v_and_b32_e32 v26, 7, v10
	v_ffbh_u32_e32 v24, v26
	v_min_u32_e32 v29, 32, v24
	v_subrev_u32_e32 v24, 28, v29
	v_lshlrev_b64 v[24:25], v24, v[10:11]
	v_lshrrev_b32_e32 v27, 3, v19
	v_sub_u32_e32 v10, 29, v29
	v_and_b32_e32 v24, 7, v24
	v_cmp_gt_u32_e32 vcc, 8, v19
	v_cndmask_b32_e32 v10, v27, v10, vcc
	v_cndmask_b32_e32 v19, v26, v24, vcc
	v_lshlrev_b32_e32 v24, 16, v13
	v_bfrev_b32_e32 v25, 60
	v_lshlrev_b32_e32 v19, 20, v19
	v_and_b32_e32 v24, 0x80000000, v24
	v_lshl_add_u32 v10, v10, 23, v25
	v_or3_b32 v24, v24, v10, v19
.LBB571_577:
	s_or_b64 exec, exec, s[10:11]
.LBB571_578:
	s_or_b64 exec, exec, s[8:9]
.LBB571_579:
	s_or_b64 exec, exec, s[2:3]
	s_movk_i32 s2, 0xff
	v_and_b32_sdwa v19, v13, s2 dst_sel:DWORD dst_unused:UNUSED_PAD src0_sel:WORD_1 src1_sel:DWORD
	v_lshrrev_b32_e32 v10, 16, v13
	v_cmp_ne_u16_e32 vcc, 0, v19
	s_and_saveexec_b64 s[2:3], vcc
	s_cbranch_execz .LBB571_585
; %bb.580:
	s_movk_i32 s7, 0x80
	v_cmp_ne_u16_e32 vcc, s7, v19
	v_bfrev_b32_e32 v12, 1
	s_and_saveexec_b64 s[8:9], vcc
	s_cbranch_execz .LBB571_584
; %bb.581:
	v_bfe_u32 v19, v13, 16, 7
	s_movk_i32 s7, 0x7f
	v_cmp_ne_u32_e32 vcc, s7, v19
	v_mov_b32_e32 v12, 0x7f800001
	s_and_saveexec_b64 s[10:11], vcc
	s_cbranch_execz .LBB571_583
; %bb.582:
	v_and_b32_e32 v12, 7, v10
	v_ffbh_u32_e32 v26, v12
	v_min_u32_e32 v29, 32, v26
	v_subrev_u32_e32 v26, 28, v29
	v_lshlrev_b64 v[26:27], v26, v[10:11]
	v_lshrrev_b32_e32 v25, 3, v19
	v_sub_u32_e32 v10, 29, v29
	v_and_b32_e32 v26, 7, v26
	v_cmp_gt_u32_e32 vcc, 8, v19
	v_mov_b32_e32 v19, 24
	v_cndmask_b32_e32 v10, v25, v10, vcc
	v_cndmask_b32_e32 v12, v12, v26, vcc
	v_lshlrev_b32_sdwa v19, v19, v13 dst_sel:DWORD dst_unused:UNUSED_PAD src0_sel:DWORD src1_sel:WORD_1
	v_bfrev_b32_e32 v25, 60
	v_lshlrev_b32_e32 v12, 20, v12
	v_and_b32_e32 v19, 0x80000000, v19
	v_lshl_add_u32 v10, v10, 23, v25
	v_or3_b32 v12, v19, v10, v12
.LBB571_583:
	s_or_b64 exec, exec, s[10:11]
.LBB571_584:
	s_or_b64 exec, exec, s[8:9]
.LBB571_585:
	s_or_b64 exec, exec, s[2:3]
	s_mov_b32 s2, 0xffffff
	v_cmp_lt_u32_e32 vcc, s2, v13
	v_mov_b32_e32 v19, 0
	v_mov_b32_e32 v25, 0
	s_and_saveexec_b64 s[2:3], vcc
	s_cbranch_execz .LBB571_591
; %bb.586:
	v_lshrrev_b32_e32 v10, 24, v13
	s_movk_i32 s7, 0x80
	v_cmp_ne_u32_e32 vcc, s7, v10
	v_bfrev_b32_e32 v25, 1
	s_and_saveexec_b64 s[8:9], vcc
	s_cbranch_execz .LBB571_590
; %bb.587:
	v_bfe_u32 v13, v13, 24, 7
	s_movk_i32 s7, 0x7f
	v_cmp_ne_u32_e32 vcc, s7, v13
	v_mov_b32_e32 v25, 0x7f800001
	s_and_saveexec_b64 s[10:11], vcc
	s_cbranch_execz .LBB571_589
; %bb.588:
	v_and_b32_e32 v25, 7, v10
	v_ffbh_u32_e32 v26, v25
	v_min_u32_e32 v30, 32, v26
	v_subrev_u32_e32 v26, 28, v30
	v_lshlrev_b64 v[26:27], v26, v[10:11]
	v_lshrrev_b32_e32 v29, 3, v13
	v_sub_u32_e32 v27, 29, v30
	v_and_b32_e32 v26, 7, v26
	v_cmp_gt_u32_e32 vcc, 8, v13
	v_cndmask_b32_e32 v13, v29, v27, vcc
	v_cndmask_b32_e32 v25, v25, v26, vcc
	v_lshlrev_b32_e32 v10, 24, v10
	v_bfrev_b32_e32 v26, 60
	v_lshlrev_b32_e32 v25, 20, v25
	v_and_b32_e32 v10, 0x80000000, v10
	v_lshl_add_u32 v13, v13, 23, v26
	v_or3_b32 v25, v10, v13, v25
.LBB571_589:
	s_or_b64 exec, exec, s[10:11]
.LBB571_590:
	s_or_b64 exec, exec, s[8:9]
.LBB571_591:
	s_or_b64 exec, exec, s[2:3]
	v_cvt_pkrtz_f16_f32 v10, v18, v20
	v_cvt_pkrtz_f16_f32 v11, v11, v23
	ds_read_b128 v[30:33], v22 offset:2064
	s_waitcnt vmcnt(1)
	v_cmp_ne_u16_sdwa s[8:9], v6, v19 src0_sel:BYTE_0 src1_sel:DWORD
	s_waitcnt lgkmcnt(0)
	v_mfma_f32_16x16x16f16 v[14:17], v[10:11], v[30:31], v[14:17]
	v_cvt_pkrtz_f16_f32 v10, v21, v24
	v_cvt_pkrtz_f16_f32 v11, v12, v25
	s_nop 1
	v_mfma_f32_16x16x16f16 v[10:13], v[10:11], v[32:33], v[14:17]
	s_and_saveexec_b64 s[2:3], s[8:9]
	s_cbranch_execz .LBB571_597
; %bb.592:
	s_movk_i32 s7, 0x80
	v_cmp_ne_u16_sdwa s[10:11], v6, s7 src0_sel:BYTE_0 src1_sel:DWORD
	v_bfrev_b32_e32 v19, 1
	s_and_saveexec_b64 s[8:9], s[10:11]
	s_cbranch_execz .LBB571_596
; %bb.593:
	s_movk_i32 s7, 0x7f
	v_and_b32_e32 v14, 0x7f, v6
	v_cmp_ne_u32_e32 vcc, s7, v14
	v_mov_b32_e32 v19, 0x7f800001
	s_and_saveexec_b64 s[10:11], vcc
	s_cbranch_execz .LBB571_595
; %bb.594:
	v_and_b32_e32 v15, 7, v6
	v_ffbh_u32_e32 v16, v15
	v_min_u32_e32 v19, 32, v16
	v_subrev_u32_e32 v16, 28, v19
	v_lshlrev_b64 v[16:17], v16, v[6:7]
	v_lshrrev_b32_e32 v18, 3, v14
	v_sub_u32_e32 v17, 29, v19
	v_and_b32_e32 v16, 7, v16
	v_cmp_gt_u32_e32 vcc, 8, v14
	v_cndmask_b32_e32 v14, v18, v17, vcc
	v_cndmask_b32_e32 v15, v15, v16, vcc
	v_lshlrev_b32_e32 v16, 24, v6
	v_bfrev_b32_e32 v17, 60
	v_lshlrev_b32_e32 v15, 20, v15
	v_and_b32_e32 v16, 0x80000000, v16
	v_lshl_add_u32 v14, v14, 23, v17
	v_or3_b32 v19, v16, v14, v15
.LBB571_595:
	s_or_b64 exec, exec, s[10:11]
.LBB571_596:
	s_or_b64 exec, exec, s[8:9]
.LBB571_597:
	s_or_b64 exec, exec, s[2:3]
	s_nop 3
	v_lshrrev_b16_e32 v14, 8, v6
	v_cmp_ne_u16_e32 vcc, 0, v14
	v_mov_b32_e32 v15, 0
	v_mov_b32_e32 v16, 0
	s_and_saveexec_b64 s[2:3], vcc
	s_cbranch_execz .LBB571_603
; %bb.598:
	s_movk_i32 s7, 0x80
	v_cmp_ne_u16_e32 vcc, s7, v14
	v_bfrev_b32_e32 v16, 1
	s_and_saveexec_b64 s[8:9], vcc
	s_cbranch_execz .LBB571_602
; %bb.599:
	s_movk_i32 s7, 0x7f
	v_and_b32_e32 v17, 0x7f, v14
	v_cmp_ne_u32_e32 vcc, s7, v17
	v_mov_b32_e32 v16, 0x7f800001
	s_and_saveexec_b64 s[10:11], vcc
	s_cbranch_execz .LBB571_601
; %bb.600:
	v_and_b32_e32 v16, 7, v14
	v_ffbh_u32_e32 v20, v16
	v_min_u32_e32 v23, 32, v20
	v_subrev_u32_e32 v20, 28, v23
	v_lshlrev_b64 v[20:21], v20, v[14:15]
	v_lshrrev_b32_e32 v18, 3, v17
	v_sub_u32_e32 v14, 29, v23
	v_and_b32_e32 v20, 7, v20
	v_cmp_gt_u32_e32 vcc, 8, v17
	v_cndmask_b32_e32 v14, v18, v14, vcc
	v_cndmask_b32_e32 v16, v16, v20, vcc
	v_lshlrev_b32_e32 v17, 16, v6
	v_bfrev_b32_e32 v18, 60
	v_lshlrev_b32_e32 v16, 20, v16
	v_and_b32_e32 v17, 0x80000000, v17
	v_lshl_add_u32 v14, v14, 23, v18
	v_or3_b32 v16, v17, v14, v16
.LBB571_601:
	s_or_b64 exec, exec, s[10:11]
.LBB571_602:
	s_or_b64 exec, exec, s[8:9]
.LBB571_603:
	s_or_b64 exec, exec, s[2:3]
	s_movk_i32 s2, 0xff
	v_and_b32_sdwa v17, v6, s2 dst_sel:DWORD dst_unused:UNUSED_PAD src0_sel:WORD_1 src1_sel:DWORD
	v_lshrrev_b32_e32 v14, 16, v6
	v_cmp_ne_u16_e32 vcc, 0, v17
	s_and_saveexec_b64 s[2:3], vcc
	s_cbranch_execz .LBB571_609
; %bb.604:
	s_movk_i32 s7, 0x80
	v_cmp_ne_u16_e32 vcc, s7, v17
	v_bfrev_b32_e32 v15, 1
	s_and_saveexec_b64 s[8:9], vcc
	s_cbranch_execz .LBB571_608
; %bb.605:
	v_bfe_u32 v17, v6, 16, 7
	s_movk_i32 s7, 0x7f
	v_cmp_ne_u32_e32 vcc, s7, v17
	v_mov_b32_e32 v15, 0x7f800001
	s_and_saveexec_b64 s[10:11], vcc
	s_cbranch_execz .LBB571_607
; %bb.606:
	v_and_b32_e32 v18, 7, v14
	v_ffbh_u32_e32 v15, v18
	v_min_u32_e32 v21, 32, v15
	v_subrev_u32_e32 v15, 28, v21
	v_lshlrev_b64 v[14:15], v15, v[14:15]
	v_lshrrev_b32_e32 v20, 3, v17
	v_sub_u32_e32 v15, 29, v21
	v_and_b32_e32 v14, 7, v14
	v_cmp_gt_u32_e32 vcc, 8, v17
	v_mov_b32_e32 v17, 24
	v_cndmask_b32_e32 v15, v20, v15, vcc
	v_cndmask_b32_e32 v14, v18, v14, vcc
	v_lshlrev_b32_sdwa v17, v17, v6 dst_sel:DWORD dst_unused:UNUSED_PAD src0_sel:DWORD src1_sel:WORD_1
	v_bfrev_b32_e32 v18, 60
	v_lshlrev_b32_e32 v14, 20, v14
	v_and_b32_e32 v17, 0x80000000, v17
	v_lshl_add_u32 v15, v15, 23, v18
	v_or3_b32 v15, v17, v15, v14
.LBB571_607:
	s_or_b64 exec, exec, s[10:11]
.LBB571_608:
	s_or_b64 exec, exec, s[8:9]
.LBB571_609:
	s_or_b64 exec, exec, s[2:3]
	s_mov_b32 s2, 0xffffff
	v_cmp_lt_u32_e32 vcc, s2, v6
	v_mov_b32_e32 v17, 0
	v_mov_b32_e32 v18, 0
	s_and_saveexec_b64 s[2:3], vcc
	s_cbranch_execz .LBB571_615
; %bb.610:
	v_lshrrev_b32_e32 v14, 24, v6
	s_movk_i32 s7, 0x80
	v_cmp_ne_u32_e32 vcc, s7, v14
	v_bfrev_b32_e32 v18, 1
	s_and_saveexec_b64 s[8:9], vcc
	s_cbranch_execz .LBB571_614
; %bb.611:
	v_bfe_u32 v6, v6, 24, 7
	s_movk_i32 s7, 0x7f
	v_cmp_ne_u32_e32 vcc, s7, v6
	v_mov_b32_e32 v18, 0x7f800001
	s_and_saveexec_b64 s[10:11], vcc
	s_cbranch_execz .LBB571_613
; %bb.612:
	v_and_b32_e32 v18, 7, v14
	v_ffbh_u32_e32 v20, v18
	v_min_u32_e32 v24, 32, v20
	v_subrev_u32_e32 v20, 28, v24
	v_lshlrev_b64 v[20:21], v20, v[14:15]
	v_lshrrev_b32_e32 v23, 3, v6
	v_sub_u32_e32 v21, 29, v24
	v_and_b32_e32 v20, 7, v20
	v_cmp_gt_u32_e32 vcc, 8, v6
	v_cndmask_b32_e32 v6, v23, v21, vcc
	v_cndmask_b32_e32 v18, v18, v20, vcc
	v_lshlrev_b32_e32 v14, 24, v14
	v_bfrev_b32_e32 v20, 60
	v_lshlrev_b32_e32 v18, 20, v18
	v_and_b32_e32 v14, 0x80000000, v14
	v_lshl_add_u32 v6, v6, 23, v20
	v_or3_b32 v18, v14, v6, v18
.LBB571_613:
	s_or_b64 exec, exec, s[10:11]
.LBB571_614:
	s_or_b64 exec, exec, s[8:9]
.LBB571_615:
	s_or_b64 exec, exec, s[2:3]
	v_cmp_ne_u16_sdwa s[8:9], v7, v17 src0_sel:BYTE_0 src1_sel:DWORD
	s_and_saveexec_b64 s[2:3], s[8:9]
	s_cbranch_execz .LBB571_621
; %bb.616:
	s_movk_i32 s7, 0x80
	v_cmp_ne_u16_sdwa s[10:11], v7, s7 src0_sel:BYTE_0 src1_sel:DWORD
	v_bfrev_b32_e32 v17, 1
	s_and_saveexec_b64 s[8:9], s[10:11]
	s_cbranch_execz .LBB571_620
; %bb.617:
	s_movk_i32 s7, 0x7f
	v_and_b32_e32 v6, 0x7f, v7
	v_cmp_ne_u32_e32 vcc, s7, v6
	v_mov_b32_e32 v17, 0x7f800001
	s_and_saveexec_b64 s[10:11], vcc
	s_cbranch_execz .LBB571_619
; %bb.618:
	v_and_b32_e32 v17, 7, v7
	v_ffbh_u32_e32 v20, v17
	v_min_u32_e32 v24, 32, v20
	v_mov_b32_e32 v14, v7
	v_subrev_u32_e32 v20, 28, v24
	v_lshlrev_b64 v[20:21], v20, v[14:15]
	v_lshrrev_b32_e32 v23, 3, v6
	v_sub_u32_e32 v14, 29, v24
	v_and_b32_e32 v20, 7, v20
	v_cmp_gt_u32_e32 vcc, 8, v6
	v_cndmask_b32_e32 v6, v23, v14, vcc
	v_cndmask_b32_e32 v14, v17, v20, vcc
	v_lshlrev_b32_e32 v17, 24, v7
	v_bfrev_b32_e32 v20, 60
	v_lshlrev_b32_e32 v14, 20, v14
	v_and_b32_e32 v17, 0x80000000, v17
	v_lshl_add_u32 v6, v6, 23, v20
	v_or3_b32 v17, v17, v6, v14
.LBB571_619:
	s_or_b64 exec, exec, s[10:11]
.LBB571_620:
	s_or_b64 exec, exec, s[8:9]
.LBB571_621:
	s_or_b64 exec, exec, s[2:3]
	v_lshrrev_b16_e32 v6, 8, v7
	v_cmp_ne_u16_e32 vcc, 0, v6
	v_mov_b32_e32 v20, 0
	v_mov_b32_e32 v21, 0
	s_and_saveexec_b64 s[2:3], vcc
	s_cbranch_execz .LBB571_627
; %bb.622:
	s_movk_i32 s7, 0x80
	v_cmp_ne_u16_e32 vcc, s7, v6
	v_bfrev_b32_e32 v21, 1
	s_and_saveexec_b64 s[8:9], vcc
	s_cbranch_execz .LBB571_626
; %bb.623:
	s_movk_i32 s7, 0x7f
	v_and_b32_e32 v14, 0x7f, v6
	v_cmp_ne_u32_e32 vcc, s7, v14
	v_mov_b32_e32 v21, 0x7f800001
	s_and_saveexec_b64 s[10:11], vcc
	s_cbranch_execz .LBB571_625
; %bb.624:
	v_and_b32_e32 v21, 7, v6
	v_ffbh_u32_e32 v24, v21
	v_min_u32_e32 v26, 32, v24
	v_subrev_u32_e32 v24, 28, v26
	v_lshlrev_b64 v[24:25], v24, v[6:7]
	v_lshrrev_b32_e32 v23, 3, v14
	v_sub_u32_e32 v6, 29, v26
	v_and_b32_e32 v24, 7, v24
	v_cmp_gt_u32_e32 vcc, 8, v14
	v_cndmask_b32_e32 v6, v23, v6, vcc
	v_cndmask_b32_e32 v14, v21, v24, vcc
	v_lshlrev_b32_e32 v21, 16, v7
	v_bfrev_b32_e32 v23, 60
	v_lshlrev_b32_e32 v14, 20, v14
	v_and_b32_e32 v21, 0x80000000, v21
	v_lshl_add_u32 v6, v6, 23, v23
	v_or3_b32 v21, v21, v6, v14
.LBB571_625:
	s_or_b64 exec, exec, s[10:11]
.LBB571_626:
	s_or_b64 exec, exec, s[8:9]
.LBB571_627:
	s_or_b64 exec, exec, s[2:3]
	s_movk_i32 s2, 0xff
	v_and_b32_sdwa v14, v7, s2 dst_sel:DWORD dst_unused:UNUSED_PAD src0_sel:WORD_1 src1_sel:DWORD
	v_lshrrev_b32_e32 v6, 16, v7
	v_cmp_ne_u16_e32 vcc, 0, v14
	s_and_saveexec_b64 s[2:3], vcc
	s_cbranch_execz .LBB571_633
; %bb.628:
	s_movk_i32 s7, 0x80
	v_cmp_ne_u16_e32 vcc, s7, v14
	v_bfrev_b32_e32 v20, 1
	s_and_saveexec_b64 s[8:9], vcc
	s_cbranch_execz .LBB571_632
; %bb.629:
	v_bfe_u32 v14, v7, 16, 7
	s_movk_i32 s7, 0x7f
	v_cmp_ne_u32_e32 vcc, s7, v14
	v_mov_b32_e32 v20, 0x7f800001
	s_and_saveexec_b64 s[10:11], vcc
	s_cbranch_execz .LBB571_631
; %bb.630:
	v_and_b32_e32 v20, 7, v6
	v_ffbh_u32_e32 v24, v20
	v_min_u32_e32 v26, 32, v24
	v_subrev_u32_e32 v24, 28, v26
	v_lshlrev_b64 v[24:25], v24, v[6:7]
	v_and_b32_e32 v24, 7, v24
	v_cmp_gt_u32_e32 vcc, 8, v14
	v_lshrrev_b32_e32 v23, 3, v14
	v_sub_u32_e32 v6, 29, v26
	v_cndmask_b32_e32 v14, v20, v24, vcc
	v_mov_b32_e32 v20, 24
	v_cndmask_b32_e32 v6, v23, v6, vcc
	v_lshlrev_b32_sdwa v20, v20, v7 dst_sel:DWORD dst_unused:UNUSED_PAD src0_sel:DWORD src1_sel:WORD_1
	v_bfrev_b32_e32 v23, 60
	v_lshlrev_b32_e32 v14, 20, v14
	v_and_b32_e32 v20, 0x80000000, v20
	v_lshl_add_u32 v6, v6, 23, v23
	v_or3_b32 v20, v20, v6, v14
.LBB571_631:
	s_or_b64 exec, exec, s[10:11]
.LBB571_632:
	s_or_b64 exec, exec, s[8:9]
.LBB571_633:
	s_or_b64 exec, exec, s[2:3]
	s_mov_b32 s2, 0xffffff
	v_cmp_lt_u32_e32 vcc, s2, v7
	v_mov_b32_e32 v14, 0
	v_mov_b32_e32 v23, 0
	s_and_saveexec_b64 s[2:3], vcc
	s_cbranch_execz .LBB571_639
; %bb.634:
	v_lshrrev_b32_e32 v6, 24, v7
	s_movk_i32 s7, 0x80
	v_cmp_ne_u32_e32 vcc, s7, v6
	v_bfrev_b32_e32 v23, 1
	s_and_saveexec_b64 s[8:9], vcc
	s_cbranch_execz .LBB571_638
; %bb.635:
	v_bfe_u32 v7, v7, 24, 7
	s_movk_i32 s7, 0x7f
	v_cmp_ne_u32_e32 vcc, s7, v7
	v_mov_b32_e32 v23, 0x7f800001
	s_and_saveexec_b64 s[10:11], vcc
	s_cbranch_execz .LBB571_637
; %bb.636:
	v_and_b32_e32 v23, 7, v6
	v_ffbh_u32_e32 v24, v23
	v_min_u32_e32 v27, 32, v24
	v_subrev_u32_e32 v24, 28, v27
	v_lshlrev_b64 v[24:25], v24, v[6:7]
	v_lshrrev_b32_e32 v26, 3, v7
	v_sub_u32_e32 v25, 29, v27
	v_and_b32_e32 v24, 7, v24
	v_cmp_gt_u32_e32 vcc, 8, v7
	v_cndmask_b32_e32 v7, v26, v25, vcc
	v_cndmask_b32_e32 v23, v23, v24, vcc
	v_lshlrev_b32_e32 v6, 24, v6
	v_bfrev_b32_e32 v24, 60
	v_lshlrev_b32_e32 v23, 20, v23
	v_and_b32_e32 v6, 0x80000000, v6
	v_lshl_add_u32 v7, v7, 23, v24
	v_or3_b32 v23, v6, v7, v23
.LBB571_637:
	s_or_b64 exec, exec, s[10:11]
.LBB571_638:
	s_or_b64 exec, exec, s[8:9]
.LBB571_639:
	s_or_b64 exec, exec, s[2:3]
	v_cvt_pkrtz_f16_f32 v6, v19, v16
	v_cvt_pkrtz_f16_f32 v7, v15, v18
	ds_read_b128 v[24:27], v22 offset:4096
	v_cmp_ne_u16_sdwa s[8:9], v8, v14 src0_sel:BYTE_0 src1_sel:DWORD
	s_waitcnt lgkmcnt(0)
	v_mfma_f32_16x16x16f16 v[10:13], v[6:7], v[24:25], v[10:13]
	v_cvt_pkrtz_f16_f32 v6, v17, v21
	v_cvt_pkrtz_f16_f32 v7, v20, v23
	s_nop 1
	v_mfma_f32_16x16x16f16 v[10:13], v[6:7], v[26:27], v[10:13]
	s_and_saveexec_b64 s[2:3], s[8:9]
	s_cbranch_execz .LBB571_645
; %bb.640:
	s_movk_i32 s7, 0x80
	v_cmp_ne_u16_sdwa s[10:11], v8, s7 src0_sel:BYTE_0 src1_sel:DWORD
	v_bfrev_b32_e32 v14, 1
	s_and_saveexec_b64 s[8:9], s[10:11]
	s_cbranch_execz .LBB571_644
; %bb.641:
	s_movk_i32 s7, 0x7f
	v_and_b32_e32 v6, 0x7f, v8
	v_cmp_ne_u32_e32 vcc, s7, v6
	v_mov_b32_e32 v14, 0x7f800001
	s_and_saveexec_b64 s[10:11], vcc
	s_cbranch_execz .LBB571_643
; %bb.642:
	v_and_b32_e32 v7, 7, v8
	v_ffbh_u32_e32 v14, v7
	v_min_u32_e32 v17, 32, v14
	v_subrev_u32_e32 v14, 28, v17
	v_lshlrev_b64 v[14:15], v14, v[8:9]
	v_lshrrev_b32_e32 v16, 3, v6
	v_sub_u32_e32 v15, 29, v17
	v_and_b32_e32 v14, 7, v14
	v_cmp_gt_u32_e32 vcc, 8, v6
	v_cndmask_b32_e32 v6, v16, v15, vcc
	v_cndmask_b32_e32 v7, v7, v14, vcc
	v_lshlrev_b32_e32 v14, 24, v8
	v_bfrev_b32_e32 v15, 60
	v_lshlrev_b32_e32 v7, 20, v7
	v_and_b32_e32 v14, 0x80000000, v14
	v_lshl_add_u32 v6, v6, 23, v15
	v_or3_b32 v14, v14, v6, v7
.LBB571_643:
	s_or_b64 exec, exec, s[10:11]
.LBB571_644:
	s_or_b64 exec, exec, s[8:9]
.LBB571_645:
	s_or_b64 exec, exec, s[2:3]
	v_lshrrev_b16_e32 v6, 8, v8
	v_cmp_ne_u16_e32 vcc, 0, v6
	v_mov_b32_e32 v7, 0
	v_mov_b32_e32 v16, 0
	s_and_saveexec_b64 s[2:3], vcc
	s_cbranch_execz .LBB571_651
; %bb.646:
	s_movk_i32 s7, 0x80
	v_cmp_ne_u16_e32 vcc, s7, v6
	v_bfrev_b32_e32 v16, 1
	s_and_saveexec_b64 s[8:9], vcc
	s_cbranch_execz .LBB571_650
; %bb.647:
	s_movk_i32 s7, 0x7f
	v_and_b32_e32 v15, 0x7f, v6
	v_cmp_ne_u32_e32 vcc, s7, v15
	v_mov_b32_e32 v16, 0x7f800001
	s_and_saveexec_b64 s[10:11], vcc
	s_cbranch_execz .LBB571_649
; %bb.648:
	v_and_b32_e32 v18, 7, v6
	v_ffbh_u32_e32 v16, v18
	v_min_u32_e32 v20, 32, v16
	v_subrev_u32_e32 v16, 28, v20
	v_lshlrev_b64 v[16:17], v16, v[6:7]
	v_lshrrev_b32_e32 v19, 3, v15
	v_sub_u32_e32 v6, 29, v20
	v_and_b32_e32 v16, 7, v16
	v_cmp_gt_u32_e32 vcc, 8, v15
	v_cndmask_b32_e32 v6, v19, v6, vcc
	v_cndmask_b32_e32 v15, v18, v16, vcc
	v_lshlrev_b32_e32 v16, 16, v8
	v_bfrev_b32_e32 v17, 60
	v_lshlrev_b32_e32 v15, 20, v15
	v_and_b32_e32 v16, 0x80000000, v16
	v_lshl_add_u32 v6, v6, 23, v17
	v_or3_b32 v16, v16, v6, v15
.LBB571_649:
	s_or_b64 exec, exec, s[10:11]
.LBB571_650:
	s_or_b64 exec, exec, s[8:9]
.LBB571_651:
	s_or_b64 exec, exec, s[2:3]
	s_movk_i32 s2, 0xff
	v_and_b32_sdwa v15, v8, s2 dst_sel:DWORD dst_unused:UNUSED_PAD src0_sel:WORD_1 src1_sel:DWORD
	v_lshrrev_b32_e32 v6, 16, v8
	v_cmp_ne_u16_e32 vcc, 0, v15
	s_and_saveexec_b64 s[2:3], vcc
	s_cbranch_execz .LBB571_657
; %bb.652:
	s_movk_i32 s7, 0x80
	v_cmp_ne_u16_e32 vcc, s7, v15
	v_bfrev_b32_e32 v7, 1
	s_and_saveexec_b64 s[8:9], vcc
	s_cbranch_execz .LBB571_656
; %bb.653:
	v_bfe_u32 v15, v8, 16, 7
	s_movk_i32 s7, 0x7f
	v_cmp_ne_u32_e32 vcc, s7, v15
	v_mov_b32_e32 v7, 0x7f800001
	s_and_saveexec_b64 s[10:11], vcc
	s_cbranch_execz .LBB571_655
; %bb.654:
	v_and_b32_e32 v17, 7, v6
	v_ffbh_u32_e32 v7, v17
	v_min_u32_e32 v19, 32, v7
	v_subrev_u32_e32 v7, 28, v19
	v_lshlrev_b64 v[6:7], v7, v[6:7]
	v_lshrrev_b32_e32 v18, 3, v15
	v_sub_u32_e32 v7, 29, v19
	v_and_b32_e32 v6, 7, v6
	v_cmp_gt_u32_e32 vcc, 8, v15
	v_mov_b32_e32 v15, 24
	v_cndmask_b32_e32 v7, v18, v7, vcc
	v_cndmask_b32_e32 v6, v17, v6, vcc
	v_lshlrev_b32_sdwa v15, v15, v8 dst_sel:DWORD dst_unused:UNUSED_PAD src0_sel:DWORD src1_sel:WORD_1
	v_bfrev_b32_e32 v17, 60
	v_lshlrev_b32_e32 v6, 20, v6
	v_and_b32_e32 v15, 0x80000000, v15
	v_lshl_add_u32 v7, v7, 23, v17
	v_or3_b32 v7, v15, v7, v6
.LBB571_655:
	s_or_b64 exec, exec, s[10:11]
.LBB571_656:
	s_or_b64 exec, exec, s[8:9]
.LBB571_657:
	s_or_b64 exec, exec, s[2:3]
	s_mov_b32 s2, 0xffffff
	v_cmp_lt_u32_e32 vcc, s2, v8
	v_mov_b32_e32 v17, 0
	v_mov_b32_e32 v18, 0
	s_and_saveexec_b64 s[2:3], vcc
	s_cbranch_execz .LBB571_663
; %bb.658:
	v_lshrrev_b32_e32 v6, 24, v8
	s_movk_i32 s7, 0x80
	v_cmp_ne_u32_e32 vcc, s7, v6
	v_bfrev_b32_e32 v18, 1
	s_and_saveexec_b64 s[8:9], vcc
	s_cbranch_execz .LBB571_662
; %bb.659:
	v_bfe_u32 v8, v8, 24, 7
	s_movk_i32 s7, 0x7f
	v_cmp_ne_u32_e32 vcc, s7, v8
	v_mov_b32_e32 v18, 0x7f800001
	s_and_saveexec_b64 s[10:11], vcc
	s_cbranch_execz .LBB571_661
; %bb.660:
	v_and_b32_e32 v15, 7, v6
	v_ffbh_u32_e32 v18, v15
	v_min_u32_e32 v21, 32, v18
	v_subrev_u32_e32 v18, 28, v21
	v_lshlrev_b64 v[18:19], v18, v[6:7]
	v_lshrrev_b32_e32 v20, 3, v8
	v_sub_u32_e32 v19, 29, v21
	v_and_b32_e32 v18, 7, v18
	v_cmp_gt_u32_e32 vcc, 8, v8
	v_cndmask_b32_e32 v8, v20, v19, vcc
	v_cndmask_b32_e32 v15, v15, v18, vcc
	v_lshlrev_b32_e32 v6, 24, v6
	v_bfrev_b32_e32 v18, 60
	v_lshlrev_b32_e32 v15, 20, v15
	v_and_b32_e32 v6, 0x80000000, v6
	v_lshl_add_u32 v8, v8, 23, v18
	v_or3_b32 v18, v6, v8, v15
.LBB571_661:
	s_or_b64 exec, exec, s[10:11]
.LBB571_662:
	s_or_b64 exec, exec, s[8:9]
.LBB571_663:
	s_or_b64 exec, exec, s[2:3]
	v_cmp_ne_u16_sdwa s[8:9], v9, v17 src0_sel:BYTE_0 src1_sel:DWORD
	s_and_saveexec_b64 s[2:3], s[8:9]
	s_cbranch_execz .LBB571_669
; %bb.664:
	s_movk_i32 s7, 0x80
	v_cmp_ne_u16_sdwa s[10:11], v9, s7 src0_sel:BYTE_0 src1_sel:DWORD
	v_bfrev_b32_e32 v17, 1
	s_and_saveexec_b64 s[8:9], s[10:11]
	s_cbranch_execz .LBB571_668
; %bb.665:
	s_movk_i32 s7, 0x7f
	v_and_b32_e32 v6, 0x7f, v9
	v_cmp_ne_u32_e32 vcc, s7, v6
	v_mov_b32_e32 v17, 0x7f800001
	s_and_saveexec_b64 s[10:11], vcc
	s_cbranch_execz .LBB571_667
; %bb.666:
	v_and_b32_e32 v15, 7, v9
	v_ffbh_u32_e32 v19, v15
	v_min_u32_e32 v19, 32, v19
	v_mov_b32_e32 v8, v9
	v_subrev_u32_e32 v20, 28, v19
	v_lshlrev_b64 v[20:21], v20, v[8:9]
	v_lshrrev_b32_e32 v17, 3, v6
	v_sub_u32_e32 v8, 29, v19
	v_and_b32_e32 v19, 7, v20
	v_cmp_gt_u32_e32 vcc, 8, v6
	v_cndmask_b32_e32 v6, v17, v8, vcc
	v_cndmask_b32_e32 v8, v15, v19, vcc
	v_lshlrev_b32_e32 v15, 24, v9
	v_bfrev_b32_e32 v17, 60
	v_lshlrev_b32_e32 v8, 20, v8
	v_and_b32_e32 v15, 0x80000000, v15
	v_lshl_add_u32 v6, v6, 23, v17
	v_or3_b32 v17, v15, v6, v8
.LBB571_667:
	s_or_b64 exec, exec, s[10:11]
.LBB571_668:
	s_or_b64 exec, exec, s[8:9]
.LBB571_669:
	s_or_b64 exec, exec, s[2:3]
	v_lshrrev_b16_e32 v6, 8, v9
	v_cmp_ne_u16_e32 vcc, 0, v6
	v_mov_b32_e32 v8, 0
	v_mov_b32_e32 v19, 0
	s_and_saveexec_b64 s[2:3], vcc
	s_cbranch_execz .LBB571_675
; %bb.670:
	s_movk_i32 s7, 0x80
	v_cmp_ne_u16_e32 vcc, s7, v6
	v_bfrev_b32_e32 v19, 1
	s_and_saveexec_b64 s[8:9], vcc
	s_cbranch_execz .LBB571_674
; %bb.671:
	s_movk_i32 s7, 0x7f
	v_and_b32_e32 v15, 0x7f, v6
	v_cmp_ne_u32_e32 vcc, s7, v15
	v_mov_b32_e32 v19, 0x7f800001
	s_and_saveexec_b64 s[10:11], vcc
	s_cbranch_execz .LBB571_673
; %bb.672:
	v_and_b32_e32 v19, 7, v6
	v_ffbh_u32_e32 v20, v19
	v_min_u32_e32 v24, 32, v20
	v_subrev_u32_e32 v20, 28, v24
	v_lshlrev_b64 v[20:21], v20, v[6:7]
	v_lshrrev_b32_e32 v23, 3, v15
	v_sub_u32_e32 v6, 29, v24
	v_and_b32_e32 v20, 7, v20
	v_cmp_gt_u32_e32 vcc, 8, v15
	v_cndmask_b32_e32 v6, v23, v6, vcc
	v_cndmask_b32_e32 v15, v19, v20, vcc
	v_lshlrev_b32_e32 v19, 16, v9
	v_bfrev_b32_e32 v20, 60
	v_lshlrev_b32_e32 v15, 20, v15
	v_and_b32_e32 v19, 0x80000000, v19
	v_lshl_add_u32 v6, v6, 23, v20
	v_or3_b32 v19, v19, v6, v15
.LBB571_673:
	s_or_b64 exec, exec, s[10:11]
.LBB571_674:
	s_or_b64 exec, exec, s[8:9]
.LBB571_675:
	s_or_b64 exec, exec, s[2:3]
	s_movk_i32 s2, 0xff
	v_and_b32_sdwa v15, v9, s2 dst_sel:DWORD dst_unused:UNUSED_PAD src0_sel:WORD_1 src1_sel:DWORD
	v_lshrrev_b32_e32 v6, 16, v9
	v_cmp_ne_u16_e32 vcc, 0, v15
	s_and_saveexec_b64 s[2:3], vcc
	s_cbranch_execz .LBB571_681
; %bb.676:
	s_movk_i32 s7, 0x80
	v_cmp_ne_u16_e32 vcc, s7, v15
	v_bfrev_b32_e32 v8, 1
	s_and_saveexec_b64 s[8:9], vcc
	s_cbranch_execz .LBB571_680
; %bb.677:
	v_bfe_u32 v15, v9, 16, 7
	s_movk_i32 s7, 0x7f
	v_cmp_ne_u32_e32 vcc, s7, v15
	v_mov_b32_e32 v8, 0x7f800001
	s_and_saveexec_b64 s[10:11], vcc
	s_cbranch_execz .LBB571_679
; %bb.678:
	v_and_b32_e32 v8, 7, v6
	v_ffbh_u32_e32 v20, v8
	v_min_u32_e32 v24, 32, v20
	v_subrev_u32_e32 v20, 28, v24
	v_lshlrev_b64 v[20:21], v20, v[6:7]
	v_lshrrev_b32_e32 v23, 3, v15
	v_sub_u32_e32 v6, 29, v24
	v_and_b32_e32 v20, 7, v20
	v_cmp_gt_u32_e32 vcc, 8, v15
	v_mov_b32_e32 v15, 24
	v_cndmask_b32_e32 v6, v23, v6, vcc
	v_cndmask_b32_e32 v8, v8, v20, vcc
	v_lshlrev_b32_sdwa v15, v15, v9 dst_sel:DWORD dst_unused:UNUSED_PAD src0_sel:DWORD src1_sel:WORD_1
	v_bfrev_b32_e32 v20, 60
	v_lshlrev_b32_e32 v8, 20, v8
	v_and_b32_e32 v15, 0x80000000, v15
	v_lshl_add_u32 v6, v6, 23, v20
	v_or3_b32 v8, v15, v6, v8
.LBB571_679:
	s_or_b64 exec, exec, s[10:11]
.LBB571_680:
	s_or_b64 exec, exec, s[8:9]
.LBB571_681:
	s_or_b64 exec, exec, s[2:3]
	s_mov_b32 s2, 0xffffff
	v_cmp_lt_u32_e32 vcc, s2, v9
	v_mov_b32_e32 v15, 0
	v_mov_b32_e32 v20, 0
	s_and_saveexec_b64 s[2:3], vcc
	s_cbranch_execz .LBB571_687
; %bb.682:
	v_lshrrev_b32_e32 v6, 24, v9
	s_movk_i32 s7, 0x80
	v_cmp_ne_u32_e32 vcc, s7, v6
	v_bfrev_b32_e32 v20, 1
	s_and_saveexec_b64 s[8:9], vcc
	s_cbranch_execz .LBB571_686
; %bb.683:
	v_bfe_u32 v9, v9, 24, 7
	s_movk_i32 s7, 0x7f
	v_cmp_ne_u32_e32 vcc, s7, v9
	v_mov_b32_e32 v20, 0x7f800001
	s_and_saveexec_b64 s[10:11], vcc
	s_cbranch_execz .LBB571_685
; %bb.684:
	v_and_b32_e32 v23, 7, v6
	v_ffbh_u32_e32 v20, v23
	v_min_u32_e32 v25, 32, v20
	v_subrev_u32_e32 v20, 28, v25
	v_lshlrev_b64 v[20:21], v20, v[6:7]
	v_lshrrev_b32_e32 v24, 3, v9
	v_sub_u32_e32 v21, 29, v25
	v_and_b32_e32 v20, 7, v20
	v_cmp_gt_u32_e32 vcc, 8, v9
	v_cndmask_b32_e32 v9, v24, v21, vcc
	v_cndmask_b32_e32 v20, v23, v20, vcc
	v_lshlrev_b32_e32 v6, 24, v6
	v_bfrev_b32_e32 v21, 60
	v_lshlrev_b32_e32 v20, 20, v20
	v_and_b32_e32 v6, 0x80000000, v6
	v_lshl_add_u32 v9, v9, 23, v21
	v_or3_b32 v20, v6, v9, v20
.LBB571_685:
	s_or_b64 exec, exec, s[10:11]
.LBB571_686:
	s_or_b64 exec, exec, s[8:9]
.LBB571_687:
	s_or_b64 exec, exec, s[2:3]
	v_cvt_pkrtz_f16_f32 v6, v14, v16
	v_cvt_pkrtz_f16_f32 v7, v7, v18
	ds_read_b128 v[24:27], v22 offset:4112
	s_waitcnt vmcnt(0)
	v_cmp_ne_u16_sdwa s[8:9], v2, v15 src0_sel:BYTE_0 src1_sel:DWORD
	s_waitcnt lgkmcnt(0)
	v_mfma_f32_16x16x16f16 v[10:13], v[6:7], v[24:25], v[10:13]
	v_cvt_pkrtz_f16_f32 v6, v17, v19
	v_cvt_pkrtz_f16_f32 v7, v8, v20
	s_nop 1
	v_mfma_f32_16x16x16f16 v[6:9], v[6:7], v[26:27], v[10:13]
	s_and_saveexec_b64 s[2:3], s[8:9]
	s_cbranch_execz .LBB571_693
; %bb.688:
	s_movk_i32 s7, 0x80
	v_cmp_ne_u16_sdwa s[10:11], v2, s7 src0_sel:BYTE_0 src1_sel:DWORD
	v_bfrev_b32_e32 v15, 1
	s_and_saveexec_b64 s[8:9], s[10:11]
	s_cbranch_execz .LBB571_692
; %bb.689:
	s_movk_i32 s7, 0x7f
	v_and_b32_e32 v10, 0x7f, v2
	v_cmp_ne_u32_e32 vcc, s7, v10
	v_mov_b32_e32 v15, 0x7f800001
	s_and_saveexec_b64 s[10:11], vcc
	s_cbranch_execz .LBB571_691
; %bb.690:
	v_and_b32_e32 v11, 7, v2
	v_ffbh_u32_e32 v12, v11
	v_min_u32_e32 v15, 32, v12
	v_subrev_u32_e32 v12, 28, v15
	v_lshlrev_b64 v[12:13], v12, v[2:3]
	v_lshrrev_b32_e32 v14, 3, v10
	v_sub_u32_e32 v13, 29, v15
	v_and_b32_e32 v12, 7, v12
	v_cmp_gt_u32_e32 vcc, 8, v10
	v_cndmask_b32_e32 v10, v14, v13, vcc
	v_cndmask_b32_e32 v11, v11, v12, vcc
	v_lshlrev_b32_e32 v12, 24, v2
	v_bfrev_b32_e32 v13, 60
	v_lshlrev_b32_e32 v11, 20, v11
	v_and_b32_e32 v12, 0x80000000, v12
	v_lshl_add_u32 v10, v10, 23, v13
	v_or3_b32 v15, v12, v10, v11
.LBB571_691:
	s_or_b64 exec, exec, s[10:11]
.LBB571_692:
	s_or_b64 exec, exec, s[8:9]
.LBB571_693:
	s_or_b64 exec, exec, s[2:3]
	s_nop 3
	v_lshrrev_b16_e32 v10, 8, v2
	v_cmp_ne_u16_e32 vcc, 0, v10
	v_mov_b32_e32 v11, 0
	v_mov_b32_e32 v12, 0
	s_and_saveexec_b64 s[2:3], vcc
	s_cbranch_execz .LBB571_699
; %bb.694:
	s_movk_i32 s7, 0x80
	v_cmp_ne_u16_e32 vcc, s7, v10
	v_bfrev_b32_e32 v12, 1
	s_and_saveexec_b64 s[8:9], vcc
	s_cbranch_execz .LBB571_698
; %bb.695:
	s_movk_i32 s7, 0x7f
	v_and_b32_e32 v13, 0x7f, v10
	v_cmp_ne_u32_e32 vcc, s7, v13
	v_mov_b32_e32 v12, 0x7f800001
	s_and_saveexec_b64 s[10:11], vcc
	s_cbranch_execz .LBB571_697
; %bb.696:
	v_and_b32_e32 v12, 7, v10
	v_ffbh_u32_e32 v16, v12
	v_min_u32_e32 v18, 32, v16
	v_subrev_u32_e32 v16, 28, v18
	v_lshlrev_b64 v[16:17], v16, v[10:11]
	v_lshrrev_b32_e32 v14, 3, v13
	v_sub_u32_e32 v10, 29, v18
	v_and_b32_e32 v16, 7, v16
	v_cmp_gt_u32_e32 vcc, 8, v13
	v_cndmask_b32_e32 v10, v14, v10, vcc
	v_cndmask_b32_e32 v12, v12, v16, vcc
	v_lshlrev_b32_e32 v13, 16, v2
	v_bfrev_b32_e32 v14, 60
	v_lshlrev_b32_e32 v12, 20, v12
	v_and_b32_e32 v13, 0x80000000, v13
	v_lshl_add_u32 v10, v10, 23, v14
	v_or3_b32 v12, v13, v10, v12
.LBB571_697:
	s_or_b64 exec, exec, s[10:11]
.LBB571_698:
	s_or_b64 exec, exec, s[8:9]
.LBB571_699:
	s_or_b64 exec, exec, s[2:3]
	s_movk_i32 s2, 0xff
	v_and_b32_sdwa v13, v2, s2 dst_sel:DWORD dst_unused:UNUSED_PAD src0_sel:WORD_1 src1_sel:DWORD
	v_lshrrev_b32_e32 v10, 16, v2
	v_cmp_ne_u16_e32 vcc, 0, v13
	s_and_saveexec_b64 s[2:3], vcc
	s_cbranch_execz .LBB571_705
; %bb.700:
	s_movk_i32 s7, 0x80
	v_cmp_ne_u16_e32 vcc, s7, v13
	v_bfrev_b32_e32 v11, 1
	s_and_saveexec_b64 s[8:9], vcc
	s_cbranch_execz .LBB571_704
; %bb.701:
	v_bfe_u32 v13, v2, 16, 7
	s_movk_i32 s7, 0x7f
	v_cmp_ne_u32_e32 vcc, s7, v13
	v_mov_b32_e32 v11, 0x7f800001
	s_and_saveexec_b64 s[10:11], vcc
	s_cbranch_execz .LBB571_703
; %bb.702:
	v_and_b32_e32 v14, 7, v10
	v_ffbh_u32_e32 v11, v14
	v_min_u32_e32 v17, 32, v11
	v_subrev_u32_e32 v11, 28, v17
	v_lshlrev_b64 v[10:11], v11, v[10:11]
	v_lshrrev_b32_e32 v16, 3, v13
	v_sub_u32_e32 v11, 29, v17
	v_and_b32_e32 v10, 7, v10
	v_cmp_gt_u32_e32 vcc, 8, v13
	v_mov_b32_e32 v13, 24
	v_cndmask_b32_e32 v11, v16, v11, vcc
	v_cndmask_b32_e32 v10, v14, v10, vcc
	v_lshlrev_b32_sdwa v13, v13, v2 dst_sel:DWORD dst_unused:UNUSED_PAD src0_sel:DWORD src1_sel:WORD_1
	v_bfrev_b32_e32 v14, 60
	v_lshlrev_b32_e32 v10, 20, v10
	v_and_b32_e32 v13, 0x80000000, v13
	v_lshl_add_u32 v11, v11, 23, v14
	v_or3_b32 v11, v13, v11, v10
.LBB571_703:
	s_or_b64 exec, exec, s[10:11]
.LBB571_704:
	s_or_b64 exec, exec, s[8:9]
.LBB571_705:
	s_or_b64 exec, exec, s[2:3]
	s_mov_b32 s2, 0xffffff
	v_cmp_lt_u32_e32 vcc, s2, v2
	v_mov_b32_e32 v13, 0
	v_mov_b32_e32 v14, 0
	s_and_saveexec_b64 s[2:3], vcc
	s_cbranch_execz .LBB571_711
; %bb.706:
	v_lshrrev_b32_e32 v10, 24, v2
	s_movk_i32 s7, 0x80
	v_cmp_ne_u32_e32 vcc, s7, v10
	v_bfrev_b32_e32 v14, 1
	s_and_saveexec_b64 s[8:9], vcc
	s_cbranch_execz .LBB571_710
; %bb.707:
	v_bfe_u32 v2, v2, 24, 7
	s_movk_i32 s7, 0x7f
	v_cmp_ne_u32_e32 vcc, s7, v2
	v_mov_b32_e32 v14, 0x7f800001
	s_and_saveexec_b64 s[10:11], vcc
	s_cbranch_execz .LBB571_709
; %bb.708:
	v_and_b32_e32 v14, 7, v10
	v_ffbh_u32_e32 v16, v14
	v_min_u32_e32 v19, 32, v16
	v_subrev_u32_e32 v16, 28, v19
	v_lshlrev_b64 v[16:17], v16, v[10:11]
	v_lshrrev_b32_e32 v18, 3, v2
	v_sub_u32_e32 v17, 29, v19
	v_and_b32_e32 v16, 7, v16
	v_cmp_gt_u32_e32 vcc, 8, v2
	v_cndmask_b32_e32 v2, v18, v17, vcc
	v_cndmask_b32_e32 v14, v14, v16, vcc
	v_lshlrev_b32_e32 v10, 24, v10
	v_bfrev_b32_e32 v16, 60
	v_lshlrev_b32_e32 v14, 20, v14
	v_and_b32_e32 v10, 0x80000000, v10
	v_lshl_add_u32 v2, v2, 23, v16
	v_or3_b32 v14, v10, v2, v14
.LBB571_709:
	s_or_b64 exec, exec, s[10:11]
.LBB571_710:
	s_or_b64 exec, exec, s[8:9]
.LBB571_711:
	s_or_b64 exec, exec, s[2:3]
	v_cmp_ne_u16_sdwa s[8:9], v3, v13 src0_sel:BYTE_0 src1_sel:DWORD
	s_and_saveexec_b64 s[2:3], s[8:9]
	s_cbranch_execz .LBB571_717
; %bb.712:
	s_movk_i32 s7, 0x80
	v_cmp_ne_u16_sdwa s[10:11], v3, s7 src0_sel:BYTE_0 src1_sel:DWORD
	v_bfrev_b32_e32 v13, 1
	s_and_saveexec_b64 s[8:9], s[10:11]
	s_cbranch_execz .LBB571_716
; %bb.713:
	s_movk_i32 s7, 0x7f
	v_and_b32_e32 v2, 0x7f, v3
	v_cmp_ne_u32_e32 vcc, s7, v2
	v_mov_b32_e32 v13, 0x7f800001
	s_and_saveexec_b64 s[10:11], vcc
	s_cbranch_execz .LBB571_715
; %bb.714:
	v_and_b32_e32 v13, 7, v3
	v_ffbh_u32_e32 v16, v13
	v_min_u32_e32 v19, 32, v16
	v_mov_b32_e32 v10, v3
	v_subrev_u32_e32 v16, 28, v19
	v_lshlrev_b64 v[16:17], v16, v[10:11]
	v_lshrrev_b32_e32 v18, 3, v2
	v_sub_u32_e32 v10, 29, v19
	v_and_b32_e32 v16, 7, v16
	v_cmp_gt_u32_e32 vcc, 8, v2
	v_cndmask_b32_e32 v2, v18, v10, vcc
	v_cndmask_b32_e32 v10, v13, v16, vcc
	v_lshlrev_b32_e32 v13, 24, v3
	v_bfrev_b32_e32 v16, 60
	v_lshlrev_b32_e32 v10, 20, v10
	v_and_b32_e32 v13, 0x80000000, v13
	v_lshl_add_u32 v2, v2, 23, v16
	v_or3_b32 v13, v13, v2, v10
.LBB571_715:
	s_or_b64 exec, exec, s[10:11]
.LBB571_716:
	s_or_b64 exec, exec, s[8:9]
.LBB571_717:
	s_or_b64 exec, exec, s[2:3]
	v_lshrrev_b16_e32 v2, 8, v3
	v_cmp_ne_u16_e32 vcc, 0, v2
	v_mov_b32_e32 v16, 0
	v_mov_b32_e32 v17, 0
	s_and_saveexec_b64 s[2:3], vcc
	s_cbranch_execz .LBB571_723
; %bb.718:
	s_movk_i32 s7, 0x80
	v_cmp_ne_u16_e32 vcc, s7, v2
	v_bfrev_b32_e32 v17, 1
	s_and_saveexec_b64 s[8:9], vcc
	s_cbranch_execz .LBB571_722
; %bb.719:
	s_movk_i32 s7, 0x7f
	v_and_b32_e32 v10, 0x7f, v2
	v_cmp_ne_u32_e32 vcc, s7, v10
	v_mov_b32_e32 v17, 0x7f800001
	s_and_saveexec_b64 s[10:11], vcc
	s_cbranch_execz .LBB571_721
; %bb.720:
	v_and_b32_e32 v17, 7, v2
	v_ffbh_u32_e32 v18, v17
	v_min_u32_e32 v21, 32, v18
	v_subrev_u32_e32 v18, 28, v21
	v_lshlrev_b64 v[18:19], v18, v[2:3]
	v_lshrrev_b32_e32 v20, 3, v10
	v_sub_u32_e32 v2, 29, v21
	v_and_b32_e32 v18, 7, v18
	v_cmp_gt_u32_e32 vcc, 8, v10
	v_cndmask_b32_e32 v2, v20, v2, vcc
	v_cndmask_b32_e32 v10, v17, v18, vcc
	v_lshlrev_b32_e32 v17, 16, v3
	v_bfrev_b32_e32 v18, 60
	v_lshlrev_b32_e32 v10, 20, v10
	v_and_b32_e32 v17, 0x80000000, v17
	v_lshl_add_u32 v2, v2, 23, v18
	v_or3_b32 v17, v17, v2, v10
.LBB571_721:
	s_or_b64 exec, exec, s[10:11]
.LBB571_722:
	s_or_b64 exec, exec, s[8:9]
.LBB571_723:
	s_or_b64 exec, exec, s[2:3]
	s_movk_i32 s2, 0xff
	v_and_b32_sdwa v10, v3, s2 dst_sel:DWORD dst_unused:UNUSED_PAD src0_sel:WORD_1 src1_sel:DWORD
	v_lshrrev_b32_e32 v2, 16, v3
	v_cmp_ne_u16_e32 vcc, 0, v10
	s_and_saveexec_b64 s[2:3], vcc
	s_cbranch_execz .LBB571_729
; %bb.724:
	s_movk_i32 s7, 0x80
	v_cmp_ne_u16_e32 vcc, s7, v10
	v_bfrev_b32_e32 v16, 1
	s_and_saveexec_b64 s[8:9], vcc
	s_cbranch_execz .LBB571_728
; %bb.725:
	v_bfe_u32 v10, v3, 16, 7
	s_movk_i32 s7, 0x7f
	v_cmp_ne_u32_e32 vcc, s7, v10
	v_mov_b32_e32 v16, 0x7f800001
	s_and_saveexec_b64 s[10:11], vcc
	s_cbranch_execz .LBB571_727
; %bb.726:
	v_and_b32_e32 v16, 7, v2
	v_ffbh_u32_e32 v18, v16
	v_min_u32_e32 v21, 32, v18
	v_subrev_u32_e32 v18, 28, v21
	v_lshlrev_b64 v[18:19], v18, v[2:3]
	v_and_b32_e32 v18, 7, v18
	v_cmp_gt_u32_e32 vcc, 8, v10
	v_lshrrev_b32_e32 v20, 3, v10
	v_sub_u32_e32 v2, 29, v21
	v_cndmask_b32_e32 v10, v16, v18, vcc
	v_mov_b32_e32 v16, 24
	v_cndmask_b32_e32 v2, v20, v2, vcc
	v_lshlrev_b32_sdwa v16, v16, v3 dst_sel:DWORD dst_unused:UNUSED_PAD src0_sel:DWORD src1_sel:WORD_1
	v_bfrev_b32_e32 v18, 60
	v_lshlrev_b32_e32 v10, 20, v10
	v_and_b32_e32 v16, 0x80000000, v16
	v_lshl_add_u32 v2, v2, 23, v18
	v_or3_b32 v16, v16, v2, v10
.LBB571_727:
	s_or_b64 exec, exec, s[10:11]
.LBB571_728:
	s_or_b64 exec, exec, s[8:9]
.LBB571_729:
	s_or_b64 exec, exec, s[2:3]
	s_mov_b32 s2, 0xffffff
	v_cmp_lt_u32_e32 vcc, s2, v3
	v_mov_b32_e32 v10, 0
	v_mov_b32_e32 v18, 0
	s_and_saveexec_b64 s[2:3], vcc
	s_cbranch_execz .LBB571_735
; %bb.730:
	v_lshrrev_b32_e32 v2, 24, v3
	s_movk_i32 s7, 0x80
	v_cmp_ne_u32_e32 vcc, s7, v2
	v_bfrev_b32_e32 v18, 1
	s_and_saveexec_b64 s[8:9], vcc
	s_cbranch_execz .LBB571_734
; %bb.731:
	v_bfe_u32 v3, v3, 24, 7
	s_movk_i32 s7, 0x7f
	v_cmp_ne_u32_e32 vcc, s7, v3
	v_mov_b32_e32 v18, 0x7f800001
	s_and_saveexec_b64 s[10:11], vcc
	s_cbranch_execz .LBB571_733
; %bb.732:
	v_and_b32_e32 v20, 7, v2
	v_ffbh_u32_e32 v18, v20
	v_min_u32_e32 v23, 32, v18
	v_subrev_u32_e32 v18, 28, v23
	v_lshlrev_b64 v[18:19], v18, v[2:3]
	v_lshrrev_b32_e32 v21, 3, v3
	v_sub_u32_e32 v19, 29, v23
	v_and_b32_e32 v18, 7, v18
	v_cmp_gt_u32_e32 vcc, 8, v3
	v_cndmask_b32_e32 v3, v21, v19, vcc
	v_cndmask_b32_e32 v18, v20, v18, vcc
	v_lshlrev_b32_e32 v2, 24, v2
	v_bfrev_b32_e32 v19, 60
	v_lshlrev_b32_e32 v18, 20, v18
	v_and_b32_e32 v2, 0x80000000, v2
	v_lshl_add_u32 v3, v3, 23, v19
	v_or3_b32 v18, v2, v3, v18
.LBB571_733:
	s_or_b64 exec, exec, s[10:11]
.LBB571_734:
	s_or_b64 exec, exec, s[8:9]
.LBB571_735:
	s_or_b64 exec, exec, s[2:3]
	v_cvt_pkrtz_f16_f32 v2, v15, v12
	v_cvt_pkrtz_f16_f32 v3, v11, v14
	ds_read_b128 v[24:27], v22 offset:6144
	v_cmp_ne_u16_sdwa s[8:9], v4, v10 src0_sel:BYTE_0 src1_sel:DWORD
	s_waitcnt lgkmcnt(0)
	v_mfma_f32_16x16x16f16 v[6:9], v[2:3], v[24:25], v[6:9]
	v_cvt_pkrtz_f16_f32 v2, v13, v17
	v_cvt_pkrtz_f16_f32 v3, v16, v18
	s_nop 1
	v_mfma_f32_16x16x16f16 v[6:9], v[2:3], v[26:27], v[6:9]
	s_and_saveexec_b64 s[2:3], s[8:9]
	s_cbranch_execz .LBB571_741
; %bb.736:
	s_movk_i32 s7, 0x80
	v_cmp_ne_u16_sdwa s[10:11], v4, s7 src0_sel:BYTE_0 src1_sel:DWORD
	v_bfrev_b32_e32 v10, 1
	s_and_saveexec_b64 s[8:9], s[10:11]
	s_cbranch_execz .LBB571_740
; %bb.737:
	s_movk_i32 s7, 0x7f
	v_and_b32_e32 v2, 0x7f, v4
	v_cmp_ne_u32_e32 vcc, s7, v2
	v_mov_b32_e32 v10, 0x7f800001
	s_and_saveexec_b64 s[10:11], vcc
	s_cbranch_execz .LBB571_739
; %bb.738:
	v_and_b32_e32 v3, 7, v4
	v_ffbh_u32_e32 v10, v3
	v_min_u32_e32 v13, 32, v10
	v_subrev_u32_e32 v10, 28, v13
	v_lshlrev_b64 v[10:11], v10, v[4:5]
	v_lshrrev_b32_e32 v12, 3, v2
	v_sub_u32_e32 v11, 29, v13
	v_and_b32_e32 v10, 7, v10
	v_cmp_gt_u32_e32 vcc, 8, v2
	v_cndmask_b32_e32 v2, v12, v11, vcc
	v_cndmask_b32_e32 v3, v3, v10, vcc
	v_lshlrev_b32_e32 v10, 24, v4
	v_bfrev_b32_e32 v11, 60
	v_lshlrev_b32_e32 v3, 20, v3
	v_and_b32_e32 v10, 0x80000000, v10
	v_lshl_add_u32 v2, v2, 23, v11
	v_or3_b32 v10, v10, v2, v3
.LBB571_739:
	s_or_b64 exec, exec, s[10:11]
.LBB571_740:
	s_or_b64 exec, exec, s[8:9]
.LBB571_741:
	s_or_b64 exec, exec, s[2:3]
	v_lshrrev_b16_e32 v2, 8, v4
	v_cmp_ne_u16_e32 vcc, 0, v2
	v_mov_b32_e32 v3, 0
	v_mov_b32_e32 v11, 0
	s_and_saveexec_b64 s[2:3], vcc
	s_cbranch_execz .LBB571_747
; %bb.742:
	s_movk_i32 s7, 0x80
	v_cmp_ne_u16_e32 vcc, s7, v2
	v_bfrev_b32_e32 v11, 1
	s_and_saveexec_b64 s[8:9], vcc
	s_cbranch_execz .LBB571_746
; %bb.743:
	s_movk_i32 s7, 0x7f
	v_and_b32_e32 v12, 0x7f, v2
	v_cmp_ne_u32_e32 vcc, s7, v12
	v_mov_b32_e32 v11, 0x7f800001
	s_and_saveexec_b64 s[10:11], vcc
	s_cbranch_execz .LBB571_745
; %bb.744:
	v_and_b32_e32 v11, 7, v2
	v_ffbh_u32_e32 v14, v11
	v_min_u32_e32 v16, 32, v14
	v_subrev_u32_e32 v14, 28, v16
	v_lshlrev_b64 v[14:15], v14, v[2:3]
	v_lshrrev_b32_e32 v13, 3, v12
	v_sub_u32_e32 v2, 29, v16
	v_and_b32_e32 v14, 7, v14
	v_cmp_gt_u32_e32 vcc, 8, v12
	v_cndmask_b32_e32 v2, v13, v2, vcc
	v_cndmask_b32_e32 v11, v11, v14, vcc
	v_lshlrev_b32_e32 v12, 16, v4
	v_bfrev_b32_e32 v13, 60
	v_lshlrev_b32_e32 v11, 20, v11
	v_and_b32_e32 v12, 0x80000000, v12
	v_lshl_add_u32 v2, v2, 23, v13
	v_or3_b32 v11, v12, v2, v11
.LBB571_745:
	s_or_b64 exec, exec, s[10:11]
.LBB571_746:
	s_or_b64 exec, exec, s[8:9]
.LBB571_747:
	s_or_b64 exec, exec, s[2:3]
	s_movk_i32 s2, 0xff
	v_and_b32_sdwa v12, v4, s2 dst_sel:DWORD dst_unused:UNUSED_PAD src0_sel:WORD_1 src1_sel:DWORD
	v_lshrrev_b32_e32 v2, 16, v4
	v_cmp_ne_u16_e32 vcc, 0, v12
	s_and_saveexec_b64 s[2:3], vcc
	s_cbranch_execz .LBB571_753
; %bb.748:
	s_movk_i32 s7, 0x80
	v_cmp_ne_u16_e32 vcc, s7, v12
	v_bfrev_b32_e32 v3, 1
	s_and_saveexec_b64 s[8:9], vcc
	s_cbranch_execz .LBB571_752
; %bb.749:
	v_bfe_u32 v12, v4, 16, 7
	s_movk_i32 s7, 0x7f
	v_cmp_ne_u32_e32 vcc, s7, v12
	v_mov_b32_e32 v3, 0x7f800001
	s_and_saveexec_b64 s[10:11], vcc
	s_cbranch_execz .LBB571_751
; %bb.750:
	v_and_b32_e32 v13, 7, v2
	v_ffbh_u32_e32 v3, v13
	v_min_u32_e32 v15, 32, v3
	v_subrev_u32_e32 v3, 28, v15
	v_lshlrev_b64 v[2:3], v3, v[2:3]
	v_lshrrev_b32_e32 v14, 3, v12
	v_sub_u32_e32 v3, 29, v15
	v_and_b32_e32 v2, 7, v2
	v_cmp_gt_u32_e32 vcc, 8, v12
	v_mov_b32_e32 v12, 24
	v_cndmask_b32_e32 v3, v14, v3, vcc
	v_cndmask_b32_e32 v2, v13, v2, vcc
	v_lshlrev_b32_sdwa v12, v12, v4 dst_sel:DWORD dst_unused:UNUSED_PAD src0_sel:DWORD src1_sel:WORD_1
	v_bfrev_b32_e32 v13, 60
	v_lshlrev_b32_e32 v2, 20, v2
	v_and_b32_e32 v12, 0x80000000, v12
	v_lshl_add_u32 v3, v3, 23, v13
	v_or3_b32 v3, v12, v3, v2
.LBB571_751:
	s_or_b64 exec, exec, s[10:11]
.LBB571_752:
	s_or_b64 exec, exec, s[8:9]
.LBB571_753:
	s_or_b64 exec, exec, s[2:3]
	s_mov_b32 s2, 0xffffff
	v_cmp_lt_u32_e32 vcc, s2, v4
	v_mov_b32_e32 v12, 0
	v_mov_b32_e32 v13, 0
	s_and_saveexec_b64 s[2:3], vcc
	s_cbranch_execz .LBB571_759
; %bb.754:
	v_lshrrev_b32_e32 v2, 24, v4
	s_movk_i32 s7, 0x80
	v_cmp_ne_u32_e32 vcc, s7, v2
	v_bfrev_b32_e32 v13, 1
	s_and_saveexec_b64 s[8:9], vcc
	s_cbranch_execz .LBB571_758
; %bb.755:
	v_bfe_u32 v4, v4, 24, 7
	s_movk_i32 s7, 0x7f
	v_cmp_ne_u32_e32 vcc, s7, v4
	v_mov_b32_e32 v13, 0x7f800001
	s_and_saveexec_b64 s[10:11], vcc
	s_cbranch_execz .LBB571_757
; %bb.756:
	v_and_b32_e32 v13, 7, v2
	v_ffbh_u32_e32 v14, v13
	v_min_u32_e32 v17, 32, v14
	v_subrev_u32_e32 v14, 28, v17
	v_lshlrev_b64 v[14:15], v14, v[2:3]
	v_lshrrev_b32_e32 v16, 3, v4
	v_sub_u32_e32 v15, 29, v17
	v_and_b32_e32 v14, 7, v14
	v_cmp_gt_u32_e32 vcc, 8, v4
	v_cndmask_b32_e32 v4, v16, v15, vcc
	v_cndmask_b32_e32 v13, v13, v14, vcc
	v_lshlrev_b32_e32 v2, 24, v2
	v_bfrev_b32_e32 v14, 60
	v_lshlrev_b32_e32 v13, 20, v13
	v_and_b32_e32 v2, 0x80000000, v2
	v_lshl_add_u32 v4, v4, 23, v14
	v_or3_b32 v13, v2, v4, v13
.LBB571_757:
	s_or_b64 exec, exec, s[10:11]
.LBB571_758:
	s_or_b64 exec, exec, s[8:9]
.LBB571_759:
	s_or_b64 exec, exec, s[2:3]
	v_cmp_ne_u16_sdwa s[8:9], v5, v12 src0_sel:BYTE_0 src1_sel:DWORD
	s_and_saveexec_b64 s[2:3], s[8:9]
	s_cbranch_execz .LBB571_765
; %bb.760:
	s_movk_i32 s7, 0x80
	v_cmp_ne_u16_sdwa s[10:11], v5, s7 src0_sel:BYTE_0 src1_sel:DWORD
	v_bfrev_b32_e32 v12, 1
	s_and_saveexec_b64 s[8:9], s[10:11]
	s_cbranch_execz .LBB571_764
; %bb.761:
	s_movk_i32 s7, 0x7f
	v_and_b32_e32 v2, 0x7f, v5
	v_cmp_ne_u32_e32 vcc, s7, v2
	v_mov_b32_e32 v12, 0x7f800001
	s_and_saveexec_b64 s[10:11], vcc
	s_cbranch_execz .LBB571_763
; %bb.762:
	v_and_b32_e32 v12, 7, v5
	v_ffbh_u32_e32 v14, v12
	v_min_u32_e32 v17, 32, v14
	v_mov_b32_e32 v4, v5
	v_subrev_u32_e32 v14, 28, v17
	v_lshlrev_b64 v[14:15], v14, v[4:5]
	v_lshrrev_b32_e32 v16, 3, v2
	v_sub_u32_e32 v4, 29, v17
	v_and_b32_e32 v14, 7, v14
	v_cmp_gt_u32_e32 vcc, 8, v2
	v_cndmask_b32_e32 v2, v16, v4, vcc
	v_cndmask_b32_e32 v4, v12, v14, vcc
	v_lshlrev_b32_e32 v12, 24, v5
	v_bfrev_b32_e32 v14, 60
	v_lshlrev_b32_e32 v4, 20, v4
	v_and_b32_e32 v12, 0x80000000, v12
	v_lshl_add_u32 v2, v2, 23, v14
	v_or3_b32 v12, v12, v2, v4
.LBB571_763:
	s_or_b64 exec, exec, s[10:11]
.LBB571_764:
	s_or_b64 exec, exec, s[8:9]
.LBB571_765:
	s_or_b64 exec, exec, s[2:3]
	v_lshrrev_b16_e32 v2, 8, v5
	v_cmp_ne_u16_e32 vcc, 0, v2
	v_mov_b32_e32 v4, 0
	v_mov_b32_e32 v14, 0
	s_and_saveexec_b64 s[2:3], vcc
	s_cbranch_execz .LBB571_771
; %bb.766:
	s_movk_i32 s7, 0x80
	v_cmp_ne_u16_e32 vcc, s7, v2
	v_bfrev_b32_e32 v14, 1
	s_and_saveexec_b64 s[8:9], vcc
	s_cbranch_execz .LBB571_770
; %bb.767:
	s_movk_i32 s7, 0x7f
	v_and_b32_e32 v15, 0x7f, v2
	v_cmp_ne_u32_e32 vcc, s7, v15
	v_mov_b32_e32 v14, 0x7f800001
	s_and_saveexec_b64 s[10:11], vcc
	s_cbranch_execz .LBB571_769
; %bb.768:
	v_and_b32_e32 v14, 7, v2
	v_ffbh_u32_e32 v16, v14
	v_min_u32_e32 v19, 32, v16
	v_subrev_u32_e32 v16, 28, v19
	v_lshlrev_b64 v[16:17], v16, v[2:3]
	v_lshrrev_b32_e32 v18, 3, v15
	v_sub_u32_e32 v2, 29, v19
	v_and_b32_e32 v16, 7, v16
	v_cmp_gt_u32_e32 vcc, 8, v15
	v_cndmask_b32_e32 v2, v18, v2, vcc
	v_cndmask_b32_e32 v14, v14, v16, vcc
	v_lshlrev_b32_e32 v15, 16, v5
	v_bfrev_b32_e32 v16, 60
	v_lshlrev_b32_e32 v14, 20, v14
	v_and_b32_e32 v15, 0x80000000, v15
	v_lshl_add_u32 v2, v2, 23, v16
	v_or3_b32 v14, v15, v2, v14
.LBB571_769:
	s_or_b64 exec, exec, s[10:11]
.LBB571_770:
	s_or_b64 exec, exec, s[8:9]
.LBB571_771:
	s_or_b64 exec, exec, s[2:3]
	s_movk_i32 s2, 0xff
	v_and_b32_sdwa v15, v5, s2 dst_sel:DWORD dst_unused:UNUSED_PAD src0_sel:WORD_1 src1_sel:DWORD
	v_lshrrev_b32_e32 v2, 16, v5
	v_cmp_ne_u16_e32 vcc, 0, v15
	s_and_saveexec_b64 s[2:3], vcc
	s_cbranch_execz .LBB571_777
; %bb.772:
	s_movk_i32 s7, 0x80
	v_cmp_ne_u16_e32 vcc, s7, v15
	v_bfrev_b32_e32 v4, 1
	s_and_saveexec_b64 s[8:9], vcc
	s_cbranch_execz .LBB571_776
; %bb.773:
	v_bfe_u32 v15, v5, 16, 7
	s_movk_i32 s7, 0x7f
	v_cmp_ne_u32_e32 vcc, s7, v15
	v_mov_b32_e32 v4, 0x7f800001
	s_and_saveexec_b64 s[10:11], vcc
	s_cbranch_execz .LBB571_775
; %bb.774:
	v_and_b32_e32 v4, 7, v2
	v_ffbh_u32_e32 v16, v4
	v_min_u32_e32 v19, 32, v16
	v_subrev_u32_e32 v16, 28, v19
	v_lshlrev_b64 v[16:17], v16, v[2:3]
	v_lshrrev_b32_e32 v18, 3, v15
	v_sub_u32_e32 v2, 29, v19
	v_and_b32_e32 v16, 7, v16
	v_cmp_gt_u32_e32 vcc, 8, v15
	v_mov_b32_e32 v15, 24
	v_cndmask_b32_e32 v2, v18, v2, vcc
	v_cndmask_b32_e32 v4, v4, v16, vcc
	v_lshlrev_b32_sdwa v15, v15, v5 dst_sel:DWORD dst_unused:UNUSED_PAD src0_sel:DWORD src1_sel:WORD_1
	v_bfrev_b32_e32 v16, 60
	v_lshlrev_b32_e32 v4, 20, v4
	v_and_b32_e32 v15, 0x80000000, v15
	v_lshl_add_u32 v2, v2, 23, v16
	v_or3_b32 v4, v15, v2, v4
.LBB571_775:
	s_or_b64 exec, exec, s[10:11]
.LBB571_776:
	s_or_b64 exec, exec, s[8:9]
.LBB571_777:
	s_or_b64 exec, exec, s[2:3]
	s_mov_b32 s2, 0xffffff
	v_cmp_lt_u32_e32 vcc, s2, v5
	v_mov_b32_e32 v15, 0
	s_and_saveexec_b64 s[2:3], vcc
	s_cbranch_execz .LBB571_783
; %bb.778:
	v_lshrrev_b32_e32 v2, 24, v5
	s_movk_i32 s7, 0x80
	v_cmp_ne_u32_e32 vcc, s7, v2
	v_bfrev_b32_e32 v15, 1
	s_and_saveexec_b64 s[8:9], vcc
	s_cbranch_execz .LBB571_782
; %bb.779:
	v_bfe_u32 v5, v5, 24, 7
	s_movk_i32 s7, 0x7f
	v_cmp_ne_u32_e32 vcc, s7, v5
	v_mov_b32_e32 v15, 0x7f800001
	s_and_saveexec_b64 s[10:11], vcc
	s_cbranch_execz .LBB571_781
; %bb.780:
	v_and_b32_e32 v15, 7, v2
	v_ffbh_u32_e32 v16, v15
	v_min_u32_e32 v19, 32, v16
	v_subrev_u32_e32 v16, 28, v19
	v_lshlrev_b64 v[16:17], v16, v[2:3]
	v_lshrrev_b32_e32 v18, 3, v5
	v_sub_u32_e32 v17, 29, v19
	v_and_b32_e32 v16, 7, v16
	v_cmp_gt_u32_e32 vcc, 8, v5
	v_cndmask_b32_e32 v5, v18, v17, vcc
	v_cndmask_b32_e32 v15, v15, v16, vcc
	v_lshlrev_b32_e32 v2, 24, v2
	v_bfrev_b32_e32 v16, 60
	v_lshlrev_b32_e32 v15, 20, v15
	v_and_b32_e32 v2, 0x80000000, v2
	v_lshl_add_u32 v5, v5, 23, v16
	v_or3_b32 v15, v2, v5, v15
.LBB571_781:
	s_or_b64 exec, exec, s[10:11]
.LBB571_782:
	s_or_b64 exec, exec, s[8:9]
.LBB571_783:
	s_or_b64 exec, exec, s[2:3]
	v_cvt_pkrtz_f16_f32 v2, v10, v11
	v_cvt_pkrtz_f16_f32 v3, v3, v13
	ds_read_b128 v[16:19], v22 offset:6160
	s_load_dword s2, s[42:43], 0x0
	v_cmp_gt_u32_e32 vcc, 64, v0
	s_waitcnt lgkmcnt(0)
	v_mfma_f32_16x16x16f16 v[6:9], v[2:3], v[16:17], v[6:9]
	v_cvt_pkrtz_f16_f32 v2, v12, v14
	v_cvt_pkrtz_f16_f32 v3, v4, v15
	s_and_b64 s[0:1], vcc, s[0:1]
	s_barrier
	v_mfma_f32_16x16x16f16 v[2:5], v[2:3], v[18:19], v[6:9]
	s_nop 7
	s_nop 2
	v_pk_mul_f32 v[4:5], v[4:5], s[2:3] op_sel_hi:[1,0]
	v_pk_mul_f32 v[2:3], v[2:3], s[2:3] op_sel_hi:[1,0]
	v_cvt_f16_f32_e32 v2, v2
	v_cvt_f16_f32_e32 v3, v3
	;; [unrolled: 1-line block ×4, first 2 shown]
	v_pack_b32_f16 v2, v2, v3
	v_pack_b32_f16 v3, v4, v5
	ds_write_b64 v28, v[2:3]
	s_waitcnt lgkmcnt(0)
	s_barrier
	s_and_saveexec_b64 s[2:3], s[0:1]
	s_cbranch_execz .LBB571_786
; %bb.784:
	s_load_dwordx2 s[2:3], s[4:5], 0x68
	s_lshl_b32 s0, s44, 6
	s_mul_i32 s1, s12, s6
	s_mul_hi_u32 s7, s1, s0
	s_mul_i32 s6, s1, s0
	s_lshl_b64 s[6:7], s[6:7], 1
	s_waitcnt lgkmcnt(0)
	s_add_u32 s1, s2, s6
	v_lshlrev_b32_e32 v0, 10, v0
	s_mov_b32 s5, 0
	s_addc_u32 s6, s3, s7
	s_lshl_b32 s4, s24, 6
	v_and_b32_e32 v0, 0x1800, v0
	v_lshlrev_b32_e32 v2, 5, v1
	v_and_b32_e32 v3, 16, v47
	s_lshl_b64 s[2:3], s[4:5], 1
	v_or3_b32 v0, v0, v2, v3
	s_add_u32 s1, s1, s2
	ds_read_b128 v[6:9], v0 offset:256
	v_or_b32_e32 v2, 12, v1
	s_addc_u32 s2, s6, s3
	ds_read_b128 v[10:13], v0 offset:128
	ds_read_b128 v[14:17], v0
	v_add_u32_e32 v1, s25, v1
	v_mov_b32_e32 v4, s2
	v_add_co_u32_e32 v3, vcc, s1, v46
	v_mad_u64_u32 v[18:19], s[2:3], v1, s0, 0
	v_addc_co_u32_e32 v4, vcc, 0, v4, vcc
	v_lshlrev_b64 v[18:19], 1, v[18:19]
	v_add_co_u32_e32 v18, vcc, v3, v18
	v_addc_co_u32_e32 v19, vcc, v4, v19, vcc
	v_add_u32_e32 v5, 4, v1
	s_waitcnt lgkmcnt(0)
	global_store_dwordx4 v[18:19], v[14:17], off
	v_add_u32_e32 v1, 8, v1
	v_mad_u64_u32 v[14:15], s[2:3], v5, s0, 0
	v_lshlrev_b64 v[14:15], 1, v[14:15]
	v_add_co_u32_e32 v14, vcc, v3, v14
	v_addc_co_u32_e32 v15, vcc, v4, v15, vcc
	global_store_dwordx4 v[14:15], v[10:13], off
	s_nop 0
	v_mad_u64_u32 v[10:11], s[2:3], v1, s0, 0
	v_lshlrev_b64 v[10:11], 1, v[10:11]
	v_add_co_u32_e32 v10, vcc, v3, v10
	v_addc_co_u32_e32 v11, vcc, v4, v11, vcc
	v_cmp_gt_u32_e32 vcc, 14, v2
	global_store_dwordx4 v[10:11], v[6:9], off
	s_and_b64 exec, exec, vcc
	s_cbranch_execz .LBB571_786
; %bb.785:
	ds_read_b128 v[6:9], v0 offset:384
	v_add_u32_e32 v0, s25, v2
	v_mad_u64_u32 v[0:1], s[0:1], v0, s0, 0
	v_lshlrev_b64 v[0:1], 1, v[0:1]
	v_add_co_u32_e32 v0, vcc, v3, v0
	v_addc_co_u32_e32 v1, vcc, v4, v1, vcc
	s_waitcnt lgkmcnt(0)
	global_store_dwordx4 v[0:1], v[6:9], off
.LBB571_786:
	s_endpgm
	.section	.rodata,"a",@progbits
	.p2align	6, 0x0
	.amdhsa_kernel _Z39paged_attention_ll4mi_QKV_mfma16_kernelIDF16_hLN4vllm18Fp8KVCacheDataTypeE1EDF16_Li16ELi64ELi256ELb0ELi14EL8MFMAType0EEvPKT_PKT0_S8_ifPKiSA_SA_iPKfiiiPfSD_PS3_PT2_iSC_SC_
		.amdhsa_group_segment_fixed_size 8192
		.amdhsa_private_segment_fixed_size 0
		.amdhsa_kernarg_size 400
		.amdhsa_user_sgpr_count 6
		.amdhsa_user_sgpr_private_segment_buffer 1
		.amdhsa_user_sgpr_dispatch_ptr 0
		.amdhsa_user_sgpr_queue_ptr 0
		.amdhsa_user_sgpr_kernarg_segment_ptr 1
		.amdhsa_user_sgpr_dispatch_id 0
		.amdhsa_user_sgpr_flat_scratch_init 0
		.amdhsa_user_sgpr_kernarg_preload_length 0
		.amdhsa_user_sgpr_kernarg_preload_offset 0
		.amdhsa_user_sgpr_private_segment_size 0
		.amdhsa_uses_dynamic_stack 0
		.amdhsa_system_sgpr_private_segment_wavefront_offset 0
		.amdhsa_system_sgpr_workgroup_id_x 1
		.amdhsa_system_sgpr_workgroup_id_y 1
		.amdhsa_system_sgpr_workgroup_id_z 1
		.amdhsa_system_sgpr_workgroup_info 0
		.amdhsa_system_vgpr_workitem_id 0
		.amdhsa_next_free_vgpr 61
		.amdhsa_next_free_sgpr 47
		.amdhsa_accum_offset 64
		.amdhsa_reserve_vcc 1
		.amdhsa_reserve_flat_scratch 0
		.amdhsa_float_round_mode_32 0
		.amdhsa_float_round_mode_16_64 0
		.amdhsa_float_denorm_mode_32 3
		.amdhsa_float_denorm_mode_16_64 3
		.amdhsa_dx10_clamp 1
		.amdhsa_ieee_mode 1
		.amdhsa_fp16_overflow 0
		.amdhsa_tg_split 0
		.amdhsa_exception_fp_ieee_invalid_op 0
		.amdhsa_exception_fp_denorm_src 0
		.amdhsa_exception_fp_ieee_div_zero 0
		.amdhsa_exception_fp_ieee_overflow 0
		.amdhsa_exception_fp_ieee_underflow 0
		.amdhsa_exception_fp_ieee_inexact 0
		.amdhsa_exception_int_div_zero 0
	.end_amdhsa_kernel
	.section	.text._Z39paged_attention_ll4mi_QKV_mfma16_kernelIDF16_hLN4vllm18Fp8KVCacheDataTypeE1EDF16_Li16ELi64ELi256ELb0ELi14EL8MFMAType0EEvPKT_PKT0_S8_ifPKiSA_SA_iPKfiiiPfSD_PS3_PT2_iSC_SC_,"axG",@progbits,_Z39paged_attention_ll4mi_QKV_mfma16_kernelIDF16_hLN4vllm18Fp8KVCacheDataTypeE1EDF16_Li16ELi64ELi256ELb0ELi14EL8MFMAType0EEvPKT_PKT0_S8_ifPKiSA_SA_iPKfiiiPfSD_PS3_PT2_iSC_SC_,comdat
.Lfunc_end571:
	.size	_Z39paged_attention_ll4mi_QKV_mfma16_kernelIDF16_hLN4vllm18Fp8KVCacheDataTypeE1EDF16_Li16ELi64ELi256ELb0ELi14EL8MFMAType0EEvPKT_PKT0_S8_ifPKiSA_SA_iPKfiiiPfSD_PS3_PT2_iSC_SC_, .Lfunc_end571-_Z39paged_attention_ll4mi_QKV_mfma16_kernelIDF16_hLN4vllm18Fp8KVCacheDataTypeE1EDF16_Li16ELi64ELi256ELb0ELi14EL8MFMAType0EEvPKT_PKT0_S8_ifPKiSA_SA_iPKfiiiPfSD_PS3_PT2_iSC_SC_
                                        ; -- End function
	.section	.AMDGPU.csdata,"",@progbits
; Kernel info:
; codeLenInByte = 27000
; NumSgprs: 51
; NumVgprs: 61
; NumAgprs: 0
; TotalNumVgprs: 61
; ScratchSize: 0
; MemoryBound: 0
; FloatMode: 240
; IeeeMode: 1
; LDSByteSize: 8192 bytes/workgroup (compile time only)
; SGPRBlocks: 6
; VGPRBlocks: 7
; NumSGPRsForWavesPerEU: 51
; NumVGPRsForWavesPerEU: 61
; AccumOffset: 64
; Occupancy: 8
; WaveLimiterHint : 1
; COMPUTE_PGM_RSRC2:SCRATCH_EN: 0
; COMPUTE_PGM_RSRC2:USER_SGPR: 6
; COMPUTE_PGM_RSRC2:TRAP_HANDLER: 0
; COMPUTE_PGM_RSRC2:TGID_X_EN: 1
; COMPUTE_PGM_RSRC2:TGID_Y_EN: 1
; COMPUTE_PGM_RSRC2:TGID_Z_EN: 1
; COMPUTE_PGM_RSRC2:TIDIG_COMP_CNT: 0
; COMPUTE_PGM_RSRC3_GFX90A:ACCUM_OFFSET: 15
; COMPUTE_PGM_RSRC3_GFX90A:TG_SPLIT: 0
	.section	.text._Z39paged_attention_ll4mi_QKV_mfma16_kernelIDF16_hLN4vllm18Fp8KVCacheDataTypeE1EDF16_Li16ELi64ELi256ELb0ELi15EL8MFMAType0EEvPKT_PKT0_S8_ifPKiSA_SA_iPKfiiiPfSD_PS3_PT2_iSC_SC_,"axG",@progbits,_Z39paged_attention_ll4mi_QKV_mfma16_kernelIDF16_hLN4vllm18Fp8KVCacheDataTypeE1EDF16_Li16ELi64ELi256ELb0ELi15EL8MFMAType0EEvPKT_PKT0_S8_ifPKiSA_SA_iPKfiiiPfSD_PS3_PT2_iSC_SC_,comdat
	.protected	_Z39paged_attention_ll4mi_QKV_mfma16_kernelIDF16_hLN4vllm18Fp8KVCacheDataTypeE1EDF16_Li16ELi64ELi256ELb0ELi15EL8MFMAType0EEvPKT_PKT0_S8_ifPKiSA_SA_iPKfiiiPfSD_PS3_PT2_iSC_SC_ ; -- Begin function _Z39paged_attention_ll4mi_QKV_mfma16_kernelIDF16_hLN4vllm18Fp8KVCacheDataTypeE1EDF16_Li16ELi64ELi256ELb0ELi15EL8MFMAType0EEvPKT_PKT0_S8_ifPKiSA_SA_iPKfiiiPfSD_PS3_PT2_iSC_SC_
	.globl	_Z39paged_attention_ll4mi_QKV_mfma16_kernelIDF16_hLN4vllm18Fp8KVCacheDataTypeE1EDF16_Li16ELi64ELi256ELb0ELi15EL8MFMAType0EEvPKT_PKT0_S8_ifPKiSA_SA_iPKfiiiPfSD_PS3_PT2_iSC_SC_
	.p2align	8
	.type	_Z39paged_attention_ll4mi_QKV_mfma16_kernelIDF16_hLN4vllm18Fp8KVCacheDataTypeE1EDF16_Li16ELi64ELi256ELb0ELi15EL8MFMAType0EEvPKT_PKT0_S8_ifPKiSA_SA_iPKfiiiPfSD_PS3_PT2_iSC_SC_,@function
_Z39paged_attention_ll4mi_QKV_mfma16_kernelIDF16_hLN4vllm18Fp8KVCacheDataTypeE1EDF16_Li16ELi64ELi256ELb0ELi15EL8MFMAType0EEvPKT_PKT0_S8_ifPKiSA_SA_iPKfiiiPfSD_PS3_PT2_iSC_SC_: ; @_Z39paged_attention_ll4mi_QKV_mfma16_kernelIDF16_hLN4vllm18Fp8KVCacheDataTypeE1EDF16_Li16ELi64ELi256ELb0ELi15EL8MFMAType0EEvPKT_PKT0_S8_ifPKiSA_SA_iPKfiiiPfSD_PS3_PT2_iSC_SC_
; %bb.0:
	s_load_dwordx2 s[0:1], s[4:5], 0x30
	s_mov_b32 s24, s7
	s_mov_b64 s[10:11], 0
	s_waitcnt lgkmcnt(0)
	s_cmp_lg_u64 s[0:1], 0
	s_cselect_b64 s[2:3], -1, 0
	s_and_b64 vcc, exec, s[2:3]
	s_cbranch_vccz .LBB572_7
; %bb.1:
	s_add_i32 s12, s6, 1
	s_mov_b32 s13, 0
	s_lshl_b64 s[14:15], s[12:13], 2
	s_add_u32 s14, s0, s14
	s_mov_b32 s7, s13
	s_addc_u32 s15, s1, s15
	s_lshl_b64 s[12:13], s[6:7], 2
	s_add_u32 s12, s0, s12
	s_addc_u32 s13, s1, s13
	s_load_dword s9, s[14:15], 0x0
	s_load_dword s16, s[12:13], 0x0
	s_waitcnt lgkmcnt(0)
	s_sub_i32 s9, s9, s16
	s_cmp_eq_u32 s9, 1
	s_cselect_b64 s[12:13], -1, 0
	s_andn2_b64 vcc, exec, s[10:11]
	s_cbranch_vccnz .LBB572_3
.LBB572_2:
	s_mov_b32 s7, 0
	s_mov_b64 s[12:13], -1
.LBB572_3:
	s_andn2_b64 vcc, exec, s[12:13]
	s_cbranch_vccnz .LBB572_786
; %bb.4:
	s_load_dwordx2 s[12:13], s[4:5], 0x28
	s_lshl_b64 s[10:11], s[6:7], 2
	s_waitcnt lgkmcnt(0)
	s_add_u32 s12, s12, s10
	s_addc_u32 s13, s13, s11
	s_load_dword s33, s[12:13], 0x0
	s_lshl_b32 s20, s24, 8
	s_waitcnt lgkmcnt(0)
	s_cmp_ge_i32 s20, s33
	s_cbranch_scc1 .LBB572_786
; %bb.5:
	s_add_i32 s14, s33, 15
	s_load_dwordx2 s[12:13], s[4:5], 0x20
	s_load_dword s9, s[4:5], 0x38
	s_ashr_i32 s15, s14, 31
	v_and_b32_e32 v1, 0xcf, v0
	s_lshr_b32 s15, s15, 28
	v_add_u32_e32 v1, s20, v1
	s_add_i32 s14, s14, s15
	v_ashrrev_i32_e32 v2, 31, v1
	s_ashr_i32 s22, s14, 4
	v_lshrrev_b32_e32 v4, 28, v2
	s_add_i32 s22, s22, -1
	v_add_u32_e32 v2, v1, v4
	s_waitcnt lgkmcnt(0)
	s_mul_i32 s14, s6, s9
	s_mov_b32 s15, 0
	v_ashrrev_i32_e32 v2, 4, v2
	v_mov_b32_e32 v5, s22
	v_cmp_gt_i32_e32 vcc, s33, v1
	s_lshl_b64 s[14:15], s[14:15], 2
	v_cndmask_b32_e32 v2, v5, v2, vcc
	s_add_u32 s9, s12, s14
	v_ashrrev_i32_e32 v3, 31, v2
	s_addc_u32 s21, s13, s15
	v_lshlrev_b64 v[2:3], 2, v[2:3]
	v_mov_b32_e32 v7, s21
	v_add_co_u32_e32 v6, vcc, s9, v2
	v_or_b32_e32 v2, 16, v1
	v_addc_co_u32_e32 v7, vcc, v7, v3, vcc
	v_add_u32_e32 v3, v2, v4
	v_ashrrev_i32_e32 v3, 4, v3
	v_cmp_gt_i32_e32 vcc, s33, v2
	v_cndmask_b32_e32 v2, v5, v3, vcc
	v_ashrrev_i32_e32 v3, 31, v2
	v_lshlrev_b64 v[2:3], 2, v[2:3]
	v_mov_b32_e32 v9, s21
	v_add_co_u32_e32 v8, vcc, s9, v2
	v_or_b32_e32 v2, 32, v1
	v_addc_co_u32_e32 v9, vcc, v9, v3, vcc
	v_add_u32_e32 v3, v2, v4
	v_ashrrev_i32_e32 v3, 4, v3
	v_cmp_gt_i32_e32 vcc, s33, v2
	v_cndmask_b32_e32 v2, v5, v3, vcc
	v_ashrrev_i32_e32 v3, 31, v2
	v_lshlrev_b64 v[2:3], 2, v[2:3]
	v_mov_b32_e32 v11, s21
	v_add_co_u32_e32 v10, vcc, s9, v2
	v_or_b32_e32 v1, 48, v1
	v_addc_co_u32_e32 v11, vcc, v11, v3, vcc
	v_add_u32_e32 v2, v1, v4
	v_ashrrev_i32_e32 v2, 4, v2
	v_cmp_gt_i32_e32 vcc, s33, v1
	v_cndmask_b32_e32 v2, v5, v2, vcc
	v_ashrrev_i32_e32 v3, 31, v2
	v_lshlrev_b64 v[2:3], 2, v[2:3]
	v_mov_b32_e32 v1, s21
	v_add_co_u32_e32 v12, vcc, s9, v2
	v_addc_co_u32_e32 v13, vcc, v1, v3, vcc
	global_load_dword v4, v[6:7], off
	global_load_dword v5, v[8:9], off
	;; [unrolled: 1-line block ×4, first 2 shown]
	s_load_dwordx4 s[12:15], s[4:5], 0x8
	s_andn2_b64 vcc, exec, s[2:3]
	s_cbranch_vccnz .LBB572_8
; %bb.6:
	s_add_u32 s0, s0, s10
	s_addc_u32 s1, s1, s11
	s_load_dword s10, s[0:1], 0x0
	s_branch .LBB572_9
.LBB572_7:
	s_mov_b64 s[12:13], 0
	s_branch .LBB572_2
.LBB572_8:
	s_mov_b32 s10, s6
.LBB572_9:
	s_load_dwordx4 s[16:19], s[4:5], 0x48
	v_lshrrev_b32_e32 v49, 6, v0
	v_bfe_u32 v1, v0, 4, 2
	v_lshl_or_b32 v6, v49, 2, v1
	v_and_b32_e32 v48, 15, v0
	v_lshlrev_b32_e32 v7, 3, v48
	v_cmp_gt_u32_e32 vcc, 15, v6
	v_cmp_gt_u32_e64 s[0:1], 8, v48
	s_mul_i32 s25, s8, 15
	s_and_b64 s[26:27], s[0:1], vcc
	v_lshlrev_b32_e32 v46, 1, v7
	v_lshlrev_b32_e32 v47, 4, v0
	s_and_saveexec_b64 s[2:3], s[26:27]
	s_cbranch_execz .LBB572_11
; %bb.10:
	s_load_dwordx2 s[26:27], s[4:5], 0x0
	s_waitcnt lgkmcnt(0)
	s_ashr_i32 s11, s16, 31
	s_mul_hi_u32 s19, s10, s16
	s_mul_i32 s11, s10, s11
	s_add_i32 s11, s19, s11
	s_mul_i32 s10, s10, s16
	s_lshl_b64 s[10:11], s[10:11], 1
	v_add_lshl_u32 v8, v6, s25, 6
	s_add_u32 s10, s26, s10
	v_ashrrev_i32_e32 v9, 31, v8
	s_addc_u32 s11, s27, s11
	v_lshlrev_b64 v[8:9], 1, v[8:9]
	v_mov_b32_e32 v7, s11
	v_add_co_u32_e32 v8, vcc, s10, v8
	v_addc_co_u32_e32 v7, vcc, v7, v9, vcc
	v_add_co_u32_e32 v8, vcc, v8, v46
	v_addc_co_u32_e32 v9, vcc, 0, v7, vcc
	global_load_dwordx4 v[8:11], v[8:9], off
	v_lshlrev_b32_e32 v12, 8, v48
	v_lshlrev_b32_e32 v6, 5, v6
	v_and_b32_e32 v7, 16, v47
	v_and_b32_e32 v12, 0xe00, v12
	v_or3_b32 v6, v12, v6, v7
	s_waitcnt vmcnt(0)
	ds_write_b128 v6, v[8:11]
.LBB572_11:
	s_or_b64 exec, exec, s[2:3]
	v_and_b32_e32 v12, 48, v0
	v_or_b32_e32 v13, s20, v12
	v_ashrrev_i32_e32 v6, 4, v13
	v_mov_b32_e32 v14, s22
	v_cmp_gt_i32_e32 vcc, s33, v13
	v_cndmask_b32_e32 v6, v14, v6, vcc
	v_ashrrev_i32_e32 v7, 31, v6
	v_lshlrev_b64 v[6:7], 2, v[6:7]
	v_mov_b32_e32 v8, s21
	v_add_co_u32_e32 v6, vcc, s9, v6
	v_addc_co_u32_e32 v7, vcc, v8, v7, vcc
	v_or_b32_e32 v8, 64, v13
	v_ashrrev_i32_e32 v9, 4, v8
	v_cmp_gt_i32_e32 vcc, s33, v8
	v_cndmask_b32_e32 v8, v14, v9, vcc
	v_ashrrev_i32_e32 v9, 31, v8
	v_lshlrev_b64 v[8:9], 2, v[8:9]
	v_mov_b32_e32 v10, s21
	v_add_co_u32_e32 v8, vcc, s9, v8
	v_addc_co_u32_e32 v9, vcc, v10, v9, vcc
	v_or_b32_e32 v10, 0x80, v13
	v_ashrrev_i32_e32 v11, 4, v10
	v_cmp_gt_i32_e32 vcc, s33, v10
	v_cndmask_b32_e32 v10, v14, v11, vcc
	v_ashrrev_i32_e32 v11, 31, v10
	v_lshlrev_b64 v[10:11], 2, v[10:11]
	v_mov_b32_e32 v15, s21
	v_add_co_u32_e32 v10, vcc, s9, v10
	s_load_dwordx2 s[44:45], s[4:5], 0x94
	s_load_dwordx4 s[40:43], s[4:5], 0x80
	s_waitcnt lgkmcnt(0)
	s_barrier
	v_addc_co_u32_e32 v11, vcc, v15, v11, vcc
	global_load_dword v15, v[6:7], off
	global_load_dword v16, v[8:9], off
	;; [unrolled: 1-line block ×3, first 2 shown]
	v_or_b32_e32 v6, 0xc0, v13
	v_ashrrev_i32_e32 v7, 4, v6
	v_cmp_gt_i32_e32 vcc, s33, v6
	v_cndmask_b32_e32 v6, v14, v7, vcc
	v_ashrrev_i32_e32 v7, 31, v6
	v_lshlrev_b64 v[6:7], 2, v[6:7]
	v_mov_b32_e32 v8, s21
	v_add_co_u32_e32 v6, vcc, s9, v6
	v_addc_co_u32_e32 v7, vcc, v8, v7, vcc
	global_load_dword v20, v[6:7], off
	s_mul_i32 s8, s8, s18
	s_add_u32 s2, s12, s8
	s_addc_u32 s3, s13, 0
	v_and_b32_e32 v6, 0xf0, v47
	v_mov_b32_e32 v7, s3
	v_add_co_u32_e32 v6, vcc, s2, v6
	v_addc_co_u32_e32 v7, vcc, 0, v7, vcc
	v_lshlrev_b32_e32 v8, 4, v12
	v_add_co_u32_e32 v6, vcc, v6, v8
	v_addc_co_u32_e32 v7, vcc, 0, v7, vcc
	s_waitcnt vmcnt(7)
	v_mad_i64_i32 v[8:9], s[2:3], v4, s17, v[6:7]
	s_waitcnt vmcnt(6)
	v_mad_i64_i32 v[4:5], s[2:3], v5, s17, v[6:7]
	global_load_dwordx4 v[30:33], v[8:9], off
	global_load_dwordx4 v[38:41], v[4:5], off
	s_waitcnt vmcnt(7)
	v_mad_i64_i32 v[4:5], s[2:3], v2, s17, v[6:7]
	s_waitcnt vmcnt(6)
	v_mad_i64_i32 v[2:3], s[2:3], v3, s17, v[6:7]
	global_load_dwordx4 v[34:37], v[4:5], off
	global_load_dwordx4 v[22:25], v[2:3], off
	s_add_u32 s2, s14, s8
	v_lshlrev_b32_e32 v2, 4, v48
	s_addc_u32 s3, s15, 0
	v_lshl_or_b32 v2, v49, 8, v2
	v_mov_b32_e32 v3, s3
	v_add_co_u32_e32 v2, vcc, s2, v2
	v_addc_co_u32_e32 v3, vcc, 0, v3, vcc
	v_cmp_ne_u32_e32 vcc, 15, v48
	v_mov_b32_e32 v43, 0
	s_movk_i32 s8, 0x80
	v_mov_b32_e32 v44, 0
	s_waitcnt vmcnt(7)
	v_mad_i64_i32 v[4:5], s[2:3], v15, s17, v[2:3]
	s_waitcnt vmcnt(6)
	v_mad_i64_i32 v[6:7], s[2:3], v16, s17, v[2:3]
	;; [unrolled: 2-line block ×3, first 2 shown]
	global_load_dwordx4 v[14:17], v[4:5], off
	global_load_dwordx4 v[10:13], v[6:7], off
	s_waitcnt vmcnt(6)
	v_mad_i64_i32 v[20:21], s[2:3], v20, s17, v[2:3]
	global_load_dwordx4 v[6:9], v[18:19], off
	global_load_dwordx4 v[2:5], v[20:21], off
	v_cndmask_b32_e32 v18, 0, v48, vcc
	v_lshlrev_b32_e32 v18, 5, v18
	v_lshl_or_b32 v18, v1, 9, v18
	ds_read_b128 v[26:29], v18
	ds_read_b128 v[18:21], v18 offset:16
	s_load_dword s12, s[40:41], 0x0
	s_waitcnt vmcnt(7)
	v_cmp_ne_u16_sdwa s[10:11], v30, v43 src0_sel:BYTE_0 src1_sel:DWORD
	s_and_saveexec_b64 s[2:3], s[10:11]
	s_cbranch_execz .LBB572_17
; %bb.12:
	v_cmp_ne_u16_sdwa s[10:11], v30, s8 src0_sel:BYTE_0 src1_sel:DWORD
	v_bfrev_b32_e32 v44, 1
	s_and_saveexec_b64 s[8:9], s[10:11]
	s_cbranch_execz .LBB572_16
; %bb.13:
	s_movk_i32 s10, 0x7f
	v_and_b32_e32 v42, 0x7f, v30
	v_cmp_ne_u32_e32 vcc, s10, v42
	v_mov_b32_e32 v44, 0x7f800001
	s_and_saveexec_b64 s[10:11], vcc
	s_cbranch_execz .LBB572_15
; %bb.14:
	v_and_b32_e32 v50, 7, v30
	v_ffbh_u32_e32 v44, v50
	v_min_u32_e32 v52, 32, v44
	v_subrev_u32_e32 v44, 28, v52
	v_lshlrev_b64 v[44:45], v44, v[30:31]
	v_lshrrev_b32_e32 v51, 3, v42
	v_sub_u32_e32 v45, 29, v52
	v_and_b32_e32 v44, 7, v44
	v_cmp_gt_u32_e32 vcc, 8, v42
	v_cndmask_b32_e32 v42, v51, v45, vcc
	v_cndmask_b32_e32 v44, v50, v44, vcc
	v_lshlrev_b32_e32 v45, 24, v30
	v_bfrev_b32_e32 v50, 60
	v_lshlrev_b32_e32 v44, 20, v44
	v_and_b32_e32 v45, 0x80000000, v45
	v_lshl_add_u32 v42, v42, 23, v50
	v_or3_b32 v44, v45, v42, v44
.LBB572_15:
	s_or_b64 exec, exec, s[10:11]
.LBB572_16:
	s_or_b64 exec, exec, s[8:9]
.LBB572_17:
	s_or_b64 exec, exec, s[2:3]
	v_lshrrev_b16_e32 v42, 8, v30
	v_cmp_ne_u16_e32 vcc, 0, v42
	s_and_saveexec_b64 s[2:3], vcc
	s_cbranch_execz .LBB572_23
; %bb.18:
	s_movk_i32 s8, 0x80
	v_cmp_ne_u16_e32 vcc, s8, v42
	v_bfrev_b32_e32 v43, 1
	s_and_saveexec_b64 s[8:9], vcc
	s_cbranch_execz .LBB572_22
; %bb.19:
	s_movk_i32 s10, 0x7f
	v_and_b32_e32 v45, 0x7f, v42
	v_cmp_ne_u32_e32 vcc, s10, v45
	v_mov_b32_e32 v43, 0x7f800001
	s_and_saveexec_b64 s[10:11], vcc
	s_cbranch_execz .LBB572_21
; %bb.20:
	v_and_b32_e32 v50, 7, v42
	v_ffbh_u32_e32 v43, v50
	v_min_u32_e32 v52, 32, v43
	v_subrev_u32_e32 v43, 28, v52
	v_lshlrev_b64 v[42:43], v43, v[42:43]
	v_lshrrev_b32_e32 v51, 3, v45
	v_sub_u32_e32 v43, 29, v52
	v_and_b32_e32 v42, 7, v42
	v_cmp_gt_u32_e32 vcc, 8, v45
	v_cndmask_b32_e32 v43, v51, v43, vcc
	v_cndmask_b32_e32 v42, v50, v42, vcc
	v_lshlrev_b32_e32 v45, 16, v30
	v_bfrev_b32_e32 v50, 60
	v_lshlrev_b32_e32 v42, 20, v42
	v_and_b32_e32 v45, 0x80000000, v45
	v_lshl_add_u32 v43, v43, 23, v50
	v_or3_b32 v43, v45, v43, v42
.LBB572_21:
	s_or_b64 exec, exec, s[10:11]
.LBB572_22:
	s_or_b64 exec, exec, s[8:9]
.LBB572_23:
	s_or_b64 exec, exec, s[2:3]
	s_movk_i32 s2, 0xff
	v_and_b32_sdwa v51, v30, s2 dst_sel:DWORD dst_unused:UNUSED_PAD src0_sel:WORD_1 src1_sel:DWORD
	v_lshrrev_b32_e32 v42, 16, v30
	v_cmp_ne_u16_e32 vcc, 0, v51
	v_mov_b32_e32 v45, 0
	v_mov_b32_e32 v50, 0
	s_and_saveexec_b64 s[2:3], vcc
	s_cbranch_execz .LBB572_29
; %bb.24:
	s_movk_i32 s8, 0x80
	v_cmp_ne_u16_e32 vcc, s8, v51
	v_bfrev_b32_e32 v50, 1
	s_and_saveexec_b64 s[8:9], vcc
	s_cbranch_execz .LBB572_28
; %bb.25:
	v_bfe_u32 v51, v30, 16, 7
	s_movk_i32 s10, 0x7f
	v_cmp_ne_u32_e32 vcc, s10, v51
	v_mov_b32_e32 v50, 0x7f800001
	s_and_saveexec_b64 s[10:11], vcc
	s_cbranch_execz .LBB572_27
; %bb.26:
	v_and_b32_e32 v50, 7, v42
	v_ffbh_u32_e32 v52, v50
	v_min_u32_e32 v55, 32, v52
	v_subrev_u32_e32 v52, 28, v55
	v_lshlrev_b64 v[52:53], v52, v[42:43]
	v_lshrrev_b32_e32 v54, 3, v51
	v_sub_u32_e32 v42, 29, v55
	v_and_b32_e32 v52, 7, v52
	v_cmp_gt_u32_e32 vcc, 8, v51
	v_mov_b32_e32 v51, 24
	v_cndmask_b32_e32 v42, v54, v42, vcc
	v_cndmask_b32_e32 v50, v50, v52, vcc
	v_lshlrev_b32_sdwa v51, v51, v30 dst_sel:DWORD dst_unused:UNUSED_PAD src0_sel:DWORD src1_sel:WORD_1
	v_bfrev_b32_e32 v52, 60
	v_lshlrev_b32_e32 v50, 20, v50
	v_and_b32_e32 v51, 0x80000000, v51
	v_lshl_add_u32 v42, v42, 23, v52
	v_or3_b32 v50, v51, v42, v50
.LBB572_27:
	s_or_b64 exec, exec, s[10:11]
.LBB572_28:
	s_or_b64 exec, exec, s[8:9]
.LBB572_29:
	s_or_b64 exec, exec, s[2:3]
	s_mov_b32 s2, 0xffffff
	v_cmp_lt_u32_e32 vcc, s2, v30
	s_and_saveexec_b64 s[2:3], vcc
	s_cbranch_execz .LBB572_35
; %bb.30:
	v_lshrrev_b32_e32 v42, 24, v30
	s_movk_i32 s8, 0x80
	v_cmp_ne_u32_e32 vcc, s8, v42
	v_bfrev_b32_e32 v45, 1
	s_and_saveexec_b64 s[8:9], vcc
	s_cbranch_execz .LBB572_34
; %bb.31:
	v_bfe_u32 v30, v30, 24, 7
	s_movk_i32 s10, 0x7f
	v_cmp_ne_u32_e32 vcc, s10, v30
	v_mov_b32_e32 v45, 0x7f800001
	s_and_saveexec_b64 s[10:11], vcc
	s_cbranch_execz .LBB572_33
; %bb.32:
	v_and_b32_e32 v45, 7, v42
	v_ffbh_u32_e32 v52, v45
	v_min_u32_e32 v54, 32, v52
	v_subrev_u32_e32 v52, 28, v54
	v_lshlrev_b64 v[52:53], v52, v[42:43]
	v_lshrrev_b32_e32 v51, 3, v30
	v_sub_u32_e32 v53, 29, v54
	v_and_b32_e32 v52, 7, v52
	v_cmp_gt_u32_e32 vcc, 8, v30
	v_cndmask_b32_e32 v30, v51, v53, vcc
	v_cndmask_b32_e32 v45, v45, v52, vcc
	v_lshlrev_b32_e32 v42, 24, v42
	v_bfrev_b32_e32 v51, 60
	v_lshlrev_b32_e32 v45, 20, v45
	v_and_b32_e32 v42, 0x80000000, v42
	v_lshl_add_u32 v30, v30, 23, v51
	v_or3_b32 v45, v42, v30, v45
.LBB572_33:
	s_or_b64 exec, exec, s[10:11]
.LBB572_34:
	s_or_b64 exec, exec, s[8:9]
.LBB572_35:
	s_or_b64 exec, exec, s[2:3]
	v_mov_b32_e32 v42, 0
	v_cmp_ne_u16_sdwa s[8:9], v31, v42 src0_sel:BYTE_0 src1_sel:DWORD
	v_mov_b32_e32 v51, 0
	s_and_saveexec_b64 s[2:3], s[8:9]
	s_cbranch_execz .LBB572_41
; %bb.36:
	s_movk_i32 s8, 0x80
	v_cmp_ne_u16_sdwa s[10:11], v31, s8 src0_sel:BYTE_0 src1_sel:DWORD
	v_bfrev_b32_e32 v51, 1
	s_and_saveexec_b64 s[8:9], s[10:11]
	s_cbranch_execz .LBB572_40
; %bb.37:
	s_movk_i32 s10, 0x7f
	v_and_b32_e32 v30, 0x7f, v31
	v_cmp_ne_u32_e32 vcc, s10, v30
	v_mov_b32_e32 v51, 0x7f800001
	s_and_saveexec_b64 s[10:11], vcc
	s_cbranch_execz .LBB572_39
; %bb.38:
	v_and_b32_e32 v51, 7, v31
	v_ffbh_u32_e32 v53, v51
	v_min_u32_e32 v55, 32, v53
	v_mov_b32_e32 v52, v31
	v_subrev_u32_e32 v53, 28, v55
	v_lshlrev_b64 v[52:53], v53, v[52:53]
	v_lshrrev_b32_e32 v54, 3, v30
	v_sub_u32_e32 v53, 29, v55
	v_and_b32_e32 v52, 7, v52
	v_cmp_gt_u32_e32 vcc, 8, v30
	v_cndmask_b32_e32 v30, v54, v53, vcc
	v_cndmask_b32_e32 v51, v51, v52, vcc
	v_lshlrev_b32_e32 v52, 24, v31
	v_bfrev_b32_e32 v53, 60
	v_lshlrev_b32_e32 v51, 20, v51
	v_and_b32_e32 v52, 0x80000000, v52
	v_lshl_add_u32 v30, v30, 23, v53
	v_or3_b32 v51, v52, v30, v51
.LBB572_39:
	s_or_b64 exec, exec, s[10:11]
.LBB572_40:
	s_or_b64 exec, exec, s[8:9]
.LBB572_41:
	s_or_b64 exec, exec, s[2:3]
	v_lshrrev_b16_e32 v30, 8, v31
	v_cmp_ne_u16_e32 vcc, 0, v30
	s_and_saveexec_b64 s[2:3], vcc
	s_cbranch_execz .LBB572_47
; %bb.42:
	s_movk_i32 s8, 0x80
	v_cmp_ne_u16_e32 vcc, s8, v30
	v_bfrev_b32_e32 v42, 1
	s_and_saveexec_b64 s[8:9], vcc
	s_cbranch_execz .LBB572_46
; %bb.43:
	s_movk_i32 s10, 0x7f
	v_and_b32_e32 v52, 0x7f, v30
	v_cmp_ne_u32_e32 vcc, s10, v52
	v_mov_b32_e32 v42, 0x7f800001
	s_and_saveexec_b64 s[10:11], vcc
	s_cbranch_execz .LBB572_45
; %bb.44:
	v_and_b32_e32 v42, 7, v30
	v_ffbh_u32_e32 v54, v42
	v_min_u32_e32 v56, 32, v54
	v_subrev_u32_e32 v54, 28, v56
	v_lshlrev_b64 v[54:55], v54, v[30:31]
	v_lshrrev_b32_e32 v53, 3, v52
	v_sub_u32_e32 v30, 29, v56
	v_and_b32_e32 v54, 7, v54
	v_cmp_gt_u32_e32 vcc, 8, v52
	v_cndmask_b32_e32 v30, v53, v30, vcc
	v_cndmask_b32_e32 v42, v42, v54, vcc
	v_lshlrev_b32_e32 v52, 16, v31
	v_bfrev_b32_e32 v53, 60
	v_lshlrev_b32_e32 v42, 20, v42
	v_and_b32_e32 v52, 0x80000000, v52
	v_lshl_add_u32 v30, v30, 23, v53
	v_or3_b32 v42, v52, v30, v42
.LBB572_45:
	s_or_b64 exec, exec, s[10:11]
.LBB572_46:
	s_or_b64 exec, exec, s[8:9]
.LBB572_47:
	s_or_b64 exec, exec, s[2:3]
	s_movk_i32 s2, 0xff
	v_and_b32_sdwa v54, v31, s2 dst_sel:DWORD dst_unused:UNUSED_PAD src0_sel:WORD_1 src1_sel:DWORD
	v_lshrrev_b32_e32 v30, 16, v31
	v_cmp_ne_u16_e32 vcc, 0, v54
	v_mov_b32_e32 v52, 0
	v_mov_b32_e32 v53, 0
	s_and_saveexec_b64 s[2:3], vcc
	s_cbranch_execz .LBB572_53
; %bb.48:
	s_movk_i32 s8, 0x80
	v_cmp_ne_u16_e32 vcc, s8, v54
	v_bfrev_b32_e32 v53, 1
	s_and_saveexec_b64 s[8:9], vcc
	s_cbranch_execz .LBB572_52
; %bb.49:
	v_bfe_u32 v54, v31, 16, 7
	s_movk_i32 s10, 0x7f
	v_cmp_ne_u32_e32 vcc, s10, v54
	v_mov_b32_e32 v53, 0x7f800001
	s_and_saveexec_b64 s[10:11], vcc
	s_cbranch_execz .LBB572_51
; %bb.50:
	v_and_b32_e32 v53, 7, v30
	v_ffbh_u32_e32 v56, v53
	v_min_u32_e32 v58, 32, v56
	v_subrev_u32_e32 v56, 28, v58
	v_lshlrev_b64 v[56:57], v56, v[30:31]
	v_lshrrev_b32_e32 v55, 3, v54
	v_sub_u32_e32 v30, 29, v58
	v_and_b32_e32 v56, 7, v56
	v_cmp_gt_u32_e32 vcc, 8, v54
	v_mov_b32_e32 v54, 24
	v_cndmask_b32_e32 v30, v55, v30, vcc
	v_cndmask_b32_e32 v53, v53, v56, vcc
	v_lshlrev_b32_sdwa v54, v54, v31 dst_sel:DWORD dst_unused:UNUSED_PAD src0_sel:DWORD src1_sel:WORD_1
	v_bfrev_b32_e32 v55, 60
	v_lshlrev_b32_e32 v53, 20, v53
	v_and_b32_e32 v54, 0x80000000, v54
	v_lshl_add_u32 v30, v30, 23, v55
	v_or3_b32 v53, v54, v30, v53
.LBB572_51:
	s_or_b64 exec, exec, s[10:11]
.LBB572_52:
	s_or_b64 exec, exec, s[8:9]
.LBB572_53:
	s_or_b64 exec, exec, s[2:3]
	s_mov_b32 s2, 0xffffff
	v_cmp_lt_u32_e32 vcc, s2, v31
	s_and_saveexec_b64 s[2:3], vcc
	s_cbranch_execz .LBB572_59
; %bb.54:
	v_lshrrev_b32_e32 v30, 24, v31
	s_movk_i32 s8, 0x80
	v_cmp_ne_u32_e32 vcc, s8, v30
	v_bfrev_b32_e32 v52, 1
	s_and_saveexec_b64 s[8:9], vcc
	s_cbranch_execz .LBB572_58
; %bb.55:
	v_bfe_u32 v31, v31, 24, 7
	s_movk_i32 s10, 0x7f
	v_cmp_ne_u32_e32 vcc, s10, v31
	v_mov_b32_e32 v52, 0x7f800001
	s_and_saveexec_b64 s[10:11], vcc
	s_cbranch_execz .LBB572_57
; %bb.56:
	v_and_b32_e32 v52, 7, v30
	v_ffbh_u32_e32 v54, v52
	v_min_u32_e32 v57, 32, v54
	v_subrev_u32_e32 v54, 28, v57
	v_lshlrev_b64 v[54:55], v54, v[30:31]
	v_lshrrev_b32_e32 v56, 3, v31
	v_sub_u32_e32 v55, 29, v57
	v_and_b32_e32 v54, 7, v54
	v_cmp_gt_u32_e32 vcc, 8, v31
	v_cndmask_b32_e32 v31, v56, v55, vcc
	v_cndmask_b32_e32 v52, v52, v54, vcc
	v_lshlrev_b32_e32 v30, 24, v30
	v_bfrev_b32_e32 v54, 60
	v_lshlrev_b32_e32 v52, 20, v52
	v_and_b32_e32 v30, 0x80000000, v30
	v_lshl_add_u32 v31, v31, 23, v54
	v_or3_b32 v52, v30, v31, v52
.LBB572_57:
	s_or_b64 exec, exec, s[10:11]
.LBB572_58:
	s_or_b64 exec, exec, s[8:9]
.LBB572_59:
	s_or_b64 exec, exec, s[2:3]
	v_cvt_pkrtz_f16_f32 v30, v44, v43
	v_cvt_pkrtz_f16_f32 v31, v50, v45
	;; [unrolled: 1-line block ×4, first 2 shown]
	v_mov_b32_e32 v51, 0
	s_waitcnt lgkmcnt(0)
	v_mfma_f32_16x16x16f16 v[54:57], v[30:31], v[26:27], 0
	v_mov_b32_e32 v31, 0
	v_cmp_ne_u16_sdwa s[8:9], v32, v31 src0_sel:BYTE_0 src1_sel:DWORD
	v_mfma_f32_16x16x16f16 v[42:45], v[42:43], v[28:29], v[54:57]
	s_and_saveexec_b64 s[2:3], s[8:9]
	s_cbranch_execz .LBB572_65
; %bb.60:
	s_movk_i32 s8, 0x80
	v_cmp_ne_u16_sdwa s[10:11], v32, s8 src0_sel:BYTE_0 src1_sel:DWORD
	v_bfrev_b32_e32 v51, 1
	s_and_saveexec_b64 s[8:9], s[10:11]
	s_cbranch_execz .LBB572_64
; %bb.61:
	s_movk_i32 s10, 0x7f
	v_and_b32_e32 v30, 0x7f, v32
	v_cmp_ne_u32_e32 vcc, s10, v30
	v_mov_b32_e32 v51, 0x7f800001
	s_and_saveexec_b64 s[10:11], vcc
	s_cbranch_execz .LBB572_63
; %bb.62:
	v_and_b32_e32 v52, 7, v32
	v_ffbh_u32_e32 v50, v52
	v_min_u32_e32 v54, 32, v50
	v_subrev_u32_e32 v50, 28, v54
	v_lshlrev_b64 v[50:51], v50, v[32:33]
	v_lshrrev_b32_e32 v53, 3, v30
	v_sub_u32_e32 v51, 29, v54
	v_and_b32_e32 v50, 7, v50
	v_cmp_gt_u32_e32 vcc, 8, v30
	v_cndmask_b32_e32 v30, v53, v51, vcc
	v_cndmask_b32_e32 v50, v52, v50, vcc
	v_lshlrev_b32_e32 v51, 24, v32
	v_bfrev_b32_e32 v52, 60
	v_lshlrev_b32_e32 v50, 20, v50
	v_and_b32_e32 v51, 0x80000000, v51
	v_lshl_add_u32 v30, v30, 23, v52
	v_or3_b32 v51, v51, v30, v50
.LBB572_63:
	s_or_b64 exec, exec, s[10:11]
.LBB572_64:
	s_or_b64 exec, exec, s[8:9]
.LBB572_65:
	s_or_b64 exec, exec, s[2:3]
	v_lshrrev_b16_e32 v30, 8, v32
	v_cmp_ne_u16_e32 vcc, 0, v30
	v_mov_b32_e32 v52, 0
	s_and_saveexec_b64 s[2:3], vcc
	s_cbranch_execz .LBB572_71
; %bb.66:
	s_movk_i32 s8, 0x80
	v_cmp_ne_u16_e32 vcc, s8, v30
	v_bfrev_b32_e32 v52, 1
	s_and_saveexec_b64 s[8:9], vcc
	s_cbranch_execz .LBB572_70
; %bb.67:
	s_movk_i32 s10, 0x7f
	v_and_b32_e32 v50, 0x7f, v30
	v_cmp_ne_u32_e32 vcc, s10, v50
	v_mov_b32_e32 v52, 0x7f800001
	s_and_saveexec_b64 s[10:11], vcc
	s_cbranch_execz .LBB572_69
; %bb.68:
	v_and_b32_e32 v54, 7, v30
	v_ffbh_u32_e32 v52, v54
	v_min_u32_e32 v56, 32, v52
	v_subrev_u32_e32 v52, 28, v56
	v_lshlrev_b64 v[52:53], v52, v[30:31]
	v_lshrrev_b32_e32 v55, 3, v50
	v_sub_u32_e32 v30, 29, v56
	v_and_b32_e32 v52, 7, v52
	v_cmp_gt_u32_e32 vcc, 8, v50
	v_cndmask_b32_e32 v30, v55, v30, vcc
	v_cndmask_b32_e32 v50, v54, v52, vcc
	v_lshlrev_b32_e32 v52, 16, v32
	v_bfrev_b32_e32 v53, 60
	v_lshlrev_b32_e32 v50, 20, v50
	v_and_b32_e32 v52, 0x80000000, v52
	v_lshl_add_u32 v30, v30, 23, v53
	v_or3_b32 v52, v52, v30, v50
.LBB572_69:
	s_or_b64 exec, exec, s[10:11]
.LBB572_70:
	s_or_b64 exec, exec, s[8:9]
.LBB572_71:
	s_or_b64 exec, exec, s[2:3]
	s_movk_i32 s2, 0xff
	v_and_b32_sdwa v50, v32, s2 dst_sel:DWORD dst_unused:UNUSED_PAD src0_sel:WORD_1 src1_sel:DWORD
	v_lshrrev_b32_e32 v30, 16, v32
	v_cmp_ne_u16_e32 vcc, 0, v50
	s_and_saveexec_b64 s[2:3], vcc
	s_cbranch_execz .LBB572_77
; %bb.72:
	s_movk_i32 s8, 0x80
	v_cmp_ne_u16_e32 vcc, s8, v50
	v_bfrev_b32_e32 v31, 1
	s_and_saveexec_b64 s[8:9], vcc
	s_cbranch_execz .LBB572_76
; %bb.73:
	v_bfe_u32 v50, v32, 16, 7
	s_movk_i32 s10, 0x7f
	v_cmp_ne_u32_e32 vcc, s10, v50
	v_mov_b32_e32 v31, 0x7f800001
	s_and_saveexec_b64 s[10:11], vcc
	s_cbranch_execz .LBB572_75
; %bb.74:
	v_and_b32_e32 v53, 7, v30
	v_ffbh_u32_e32 v31, v53
	v_min_u32_e32 v55, 32, v31
	v_subrev_u32_e32 v31, 28, v55
	v_lshlrev_b64 v[30:31], v31, v[30:31]
	v_lshrrev_b32_e32 v54, 3, v50
	v_sub_u32_e32 v31, 29, v55
	v_and_b32_e32 v30, 7, v30
	v_cmp_gt_u32_e32 vcc, 8, v50
	v_mov_b32_e32 v50, 24
	v_cndmask_b32_e32 v31, v54, v31, vcc
	v_cndmask_b32_e32 v30, v53, v30, vcc
	v_lshlrev_b32_sdwa v50, v50, v32 dst_sel:DWORD dst_unused:UNUSED_PAD src0_sel:DWORD src1_sel:WORD_1
	v_bfrev_b32_e32 v53, 60
	v_lshlrev_b32_e32 v30, 20, v30
	v_and_b32_e32 v50, 0x80000000, v50
	v_lshl_add_u32 v31, v31, 23, v53
	v_or3_b32 v31, v50, v31, v30
.LBB572_75:
	s_or_b64 exec, exec, s[10:11]
.LBB572_76:
	s_or_b64 exec, exec, s[8:9]
.LBB572_77:
	s_or_b64 exec, exec, s[2:3]
	s_mov_b32 s2, 0xffffff
	v_cmp_lt_u32_e32 vcc, s2, v32
	v_mov_b32_e32 v53, 0
	v_mov_b32_e32 v54, 0
	s_and_saveexec_b64 s[2:3], vcc
	s_cbranch_execz .LBB572_83
; %bb.78:
	v_lshrrev_b32_e32 v30, 24, v32
	s_movk_i32 s8, 0x80
	v_cmp_ne_u32_e32 vcc, s8, v30
	v_bfrev_b32_e32 v54, 1
	s_and_saveexec_b64 s[8:9], vcc
	s_cbranch_execz .LBB572_82
; %bb.79:
	v_bfe_u32 v32, v32, 24, 7
	s_movk_i32 s10, 0x7f
	v_cmp_ne_u32_e32 vcc, s10, v32
	v_mov_b32_e32 v54, 0x7f800001
	s_and_saveexec_b64 s[10:11], vcc
	s_cbranch_execz .LBB572_81
; %bb.80:
	v_and_b32_e32 v50, 7, v30
	v_ffbh_u32_e32 v54, v50
	v_min_u32_e32 v57, 32, v54
	v_subrev_u32_e32 v54, 28, v57
	v_lshlrev_b64 v[54:55], v54, v[30:31]
	v_lshrrev_b32_e32 v56, 3, v32
	v_sub_u32_e32 v55, 29, v57
	v_and_b32_e32 v54, 7, v54
	v_cmp_gt_u32_e32 vcc, 8, v32
	v_cndmask_b32_e32 v32, v56, v55, vcc
	v_cndmask_b32_e32 v50, v50, v54, vcc
	v_lshlrev_b32_e32 v30, 24, v30
	v_bfrev_b32_e32 v54, 60
	v_lshlrev_b32_e32 v50, 20, v50
	v_and_b32_e32 v30, 0x80000000, v30
	v_lshl_add_u32 v32, v32, 23, v54
	v_or3_b32 v54, v30, v32, v50
.LBB572_81:
	s_or_b64 exec, exec, s[10:11]
.LBB572_82:
	s_or_b64 exec, exec, s[8:9]
.LBB572_83:
	s_or_b64 exec, exec, s[2:3]
	v_cmp_ne_u16_sdwa s[8:9], v33, v53 src0_sel:BYTE_0 src1_sel:DWORD
	s_and_saveexec_b64 s[2:3], s[8:9]
	s_cbranch_execz .LBB572_89
; %bb.84:
	s_movk_i32 s8, 0x80
	v_cmp_ne_u16_sdwa s[10:11], v33, s8 src0_sel:BYTE_0 src1_sel:DWORD
	v_bfrev_b32_e32 v53, 1
	s_and_saveexec_b64 s[8:9], s[10:11]
	s_cbranch_execz .LBB572_88
; %bb.85:
	s_movk_i32 s10, 0x7f
	v_and_b32_e32 v30, 0x7f, v33
	v_cmp_ne_u32_e32 vcc, s10, v30
	v_mov_b32_e32 v53, 0x7f800001
	s_and_saveexec_b64 s[10:11], vcc
	s_cbranch_execz .LBB572_87
; %bb.86:
	v_and_b32_e32 v50, 7, v33
	v_ffbh_u32_e32 v55, v50
	v_min_u32_e32 v55, 32, v55
	v_mov_b32_e32 v32, v33
	v_subrev_u32_e32 v56, 28, v55
	v_lshlrev_b64 v[56:57], v56, v[32:33]
	v_lshrrev_b32_e32 v53, 3, v30
	v_sub_u32_e32 v32, 29, v55
	v_and_b32_e32 v55, 7, v56
	v_cmp_gt_u32_e32 vcc, 8, v30
	v_cndmask_b32_e32 v30, v53, v32, vcc
	v_cndmask_b32_e32 v32, v50, v55, vcc
	v_lshlrev_b32_e32 v50, 24, v33
	v_bfrev_b32_e32 v53, 60
	v_lshlrev_b32_e32 v32, 20, v32
	v_and_b32_e32 v50, 0x80000000, v50
	v_lshl_add_u32 v30, v30, 23, v53
	v_or3_b32 v53, v50, v30, v32
.LBB572_87:
	s_or_b64 exec, exec, s[10:11]
.LBB572_88:
	s_or_b64 exec, exec, s[8:9]
.LBB572_89:
	s_or_b64 exec, exec, s[2:3]
	v_lshrrev_b16_e32 v30, 8, v33
	v_cmp_ne_u16_e32 vcc, 0, v30
	v_mov_b32_e32 v32, 0
	v_mov_b32_e32 v55, 0
	s_and_saveexec_b64 s[2:3], vcc
	s_cbranch_execz .LBB572_95
; %bb.90:
	s_movk_i32 s8, 0x80
	v_cmp_ne_u16_e32 vcc, s8, v30
	v_bfrev_b32_e32 v55, 1
	s_and_saveexec_b64 s[8:9], vcc
	s_cbranch_execz .LBB572_94
; %bb.91:
	s_movk_i32 s10, 0x7f
	v_and_b32_e32 v50, 0x7f, v30
	v_cmp_ne_u32_e32 vcc, s10, v50
	v_mov_b32_e32 v55, 0x7f800001
	s_and_saveexec_b64 s[10:11], vcc
	s_cbranch_execz .LBB572_93
; %bb.92:
	v_and_b32_e32 v55, 7, v30
	v_ffbh_u32_e32 v56, v55
	v_min_u32_e32 v59, 32, v56
	v_subrev_u32_e32 v56, 28, v59
	v_lshlrev_b64 v[56:57], v56, v[30:31]
	v_lshrrev_b32_e32 v58, 3, v50
	v_sub_u32_e32 v30, 29, v59
	v_and_b32_e32 v56, 7, v56
	v_cmp_gt_u32_e32 vcc, 8, v50
	v_cndmask_b32_e32 v30, v58, v30, vcc
	v_cndmask_b32_e32 v50, v55, v56, vcc
	v_lshlrev_b32_e32 v55, 16, v33
	v_bfrev_b32_e32 v56, 60
	v_lshlrev_b32_e32 v50, 20, v50
	v_and_b32_e32 v55, 0x80000000, v55
	v_lshl_add_u32 v30, v30, 23, v56
	v_or3_b32 v55, v55, v30, v50
.LBB572_93:
	s_or_b64 exec, exec, s[10:11]
.LBB572_94:
	s_or_b64 exec, exec, s[8:9]
.LBB572_95:
	s_or_b64 exec, exec, s[2:3]
	s_movk_i32 s2, 0xff
	v_and_b32_sdwa v50, v33, s2 dst_sel:DWORD dst_unused:UNUSED_PAD src0_sel:WORD_1 src1_sel:DWORD
	v_lshrrev_b32_e32 v30, 16, v33
	v_cmp_ne_u16_e32 vcc, 0, v50
	s_and_saveexec_b64 s[2:3], vcc
	s_cbranch_execz .LBB572_101
; %bb.96:
	s_movk_i32 s8, 0x80
	v_cmp_ne_u16_e32 vcc, s8, v50
	v_bfrev_b32_e32 v32, 1
	s_and_saveexec_b64 s[8:9], vcc
	s_cbranch_execz .LBB572_100
; %bb.97:
	v_bfe_u32 v50, v33, 16, 7
	s_movk_i32 s10, 0x7f
	v_cmp_ne_u32_e32 vcc, s10, v50
	v_mov_b32_e32 v32, 0x7f800001
	s_and_saveexec_b64 s[10:11], vcc
	s_cbranch_execz .LBB572_99
; %bb.98:
	v_and_b32_e32 v32, 7, v30
	v_ffbh_u32_e32 v56, v32
	v_min_u32_e32 v59, 32, v56
	v_subrev_u32_e32 v56, 28, v59
	v_lshlrev_b64 v[56:57], v56, v[30:31]
	v_lshrrev_b32_e32 v58, 3, v50
	v_sub_u32_e32 v30, 29, v59
	v_and_b32_e32 v56, 7, v56
	v_cmp_gt_u32_e32 vcc, 8, v50
	v_mov_b32_e32 v50, 24
	v_cndmask_b32_e32 v30, v58, v30, vcc
	v_cndmask_b32_e32 v32, v32, v56, vcc
	v_lshlrev_b32_sdwa v50, v50, v33 dst_sel:DWORD dst_unused:UNUSED_PAD src0_sel:DWORD src1_sel:WORD_1
	v_bfrev_b32_e32 v56, 60
	v_lshlrev_b32_e32 v32, 20, v32
	v_and_b32_e32 v50, 0x80000000, v50
	v_lshl_add_u32 v30, v30, 23, v56
	v_or3_b32 v32, v50, v30, v32
.LBB572_99:
	s_or_b64 exec, exec, s[10:11]
.LBB572_100:
	s_or_b64 exec, exec, s[8:9]
.LBB572_101:
	s_or_b64 exec, exec, s[2:3]
	s_mov_b32 s2, 0xffffff
	v_cmp_lt_u32_e32 vcc, s2, v33
	v_mov_b32_e32 v50, 0
	v_mov_b32_e32 v56, 0
	s_and_saveexec_b64 s[2:3], vcc
	s_cbranch_execz .LBB572_107
; %bb.102:
	v_lshrrev_b32_e32 v30, 24, v33
	s_movk_i32 s8, 0x80
	v_cmp_ne_u32_e32 vcc, s8, v30
	v_bfrev_b32_e32 v56, 1
	s_and_saveexec_b64 s[8:9], vcc
	s_cbranch_execz .LBB572_106
; %bb.103:
	v_bfe_u32 v33, v33, 24, 7
	s_movk_i32 s10, 0x7f
	v_cmp_ne_u32_e32 vcc, s10, v33
	v_mov_b32_e32 v56, 0x7f800001
	s_and_saveexec_b64 s[10:11], vcc
	s_cbranch_execz .LBB572_105
; %bb.104:
	v_and_b32_e32 v58, 7, v30
	v_ffbh_u32_e32 v56, v58
	v_min_u32_e32 v60, 32, v56
	v_subrev_u32_e32 v56, 28, v60
	v_lshlrev_b64 v[56:57], v56, v[30:31]
	v_lshrrev_b32_e32 v59, 3, v33
	v_sub_u32_e32 v57, 29, v60
	v_and_b32_e32 v56, 7, v56
	v_cmp_gt_u32_e32 vcc, 8, v33
	v_cndmask_b32_e32 v33, v59, v57, vcc
	v_cndmask_b32_e32 v56, v58, v56, vcc
	v_lshlrev_b32_e32 v30, 24, v30
	v_bfrev_b32_e32 v57, 60
	v_lshlrev_b32_e32 v56, 20, v56
	v_and_b32_e32 v30, 0x80000000, v30
	v_lshl_add_u32 v33, v33, 23, v57
	v_or3_b32 v56, v30, v33, v56
.LBB572_105:
	s_or_b64 exec, exec, s[10:11]
.LBB572_106:
	s_or_b64 exec, exec, s[8:9]
.LBB572_107:
	s_or_b64 exec, exec, s[2:3]
	v_cvt_pkrtz_f16_f32 v30, v51, v52
	v_cvt_pkrtz_f16_f32 v31, v31, v54
	s_waitcnt vmcnt(6)
	v_cmp_ne_u16_sdwa s[8:9], v38, v50 src0_sel:BYTE_0 src1_sel:DWORD
	v_mfma_f32_16x16x16f16 v[42:45], v[30:31], v[18:19], v[42:45]
	v_cvt_pkrtz_f16_f32 v30, v53, v55
	v_cvt_pkrtz_f16_f32 v31, v32, v56
	s_nop 1
	v_mfma_f32_16x16x16f16 v[30:33], v[30:31], v[20:21], v[42:45]
	s_and_saveexec_b64 s[2:3], s[8:9]
	s_cbranch_execz .LBB572_113
; %bb.108:
	s_movk_i32 s8, 0x80
	v_cmp_ne_u16_sdwa s[10:11], v38, s8 src0_sel:BYTE_0 src1_sel:DWORD
	v_bfrev_b32_e32 v50, 1
	s_and_saveexec_b64 s[8:9], s[10:11]
	s_cbranch_execz .LBB572_112
; %bb.109:
	s_movk_i32 s10, 0x7f
	v_and_b32_e32 v42, 0x7f, v38
	v_cmp_ne_u32_e32 vcc, s10, v42
	v_mov_b32_e32 v50, 0x7f800001
	s_and_saveexec_b64 s[10:11], vcc
	s_cbranch_execz .LBB572_111
; %bb.110:
	v_and_b32_e32 v43, 7, v38
	v_ffbh_u32_e32 v44, v43
	v_min_u32_e32 v51, 32, v44
	v_subrev_u32_e32 v44, 28, v51
	v_lshlrev_b64 v[44:45], v44, v[38:39]
	v_lshrrev_b32_e32 v50, 3, v42
	v_sub_u32_e32 v45, 29, v51
	v_and_b32_e32 v44, 7, v44
	v_cmp_gt_u32_e32 vcc, 8, v42
	v_cndmask_b32_e32 v42, v50, v45, vcc
	v_cndmask_b32_e32 v43, v43, v44, vcc
	v_lshlrev_b32_e32 v44, 24, v38
	v_bfrev_b32_e32 v45, 60
	v_lshlrev_b32_e32 v43, 20, v43
	v_and_b32_e32 v44, 0x80000000, v44
	v_lshl_add_u32 v42, v42, 23, v45
	v_or3_b32 v50, v44, v42, v43
.LBB572_111:
	s_or_b64 exec, exec, s[10:11]
.LBB572_112:
	s_or_b64 exec, exec, s[8:9]
.LBB572_113:
	s_or_b64 exec, exec, s[2:3]
	s_nop 3
	v_lshrrev_b16_e32 v42, 8, v38
	v_cmp_ne_u16_e32 vcc, 0, v42
	v_mov_b32_e32 v43, 0
	v_mov_b32_e32 v44, 0
	s_and_saveexec_b64 s[2:3], vcc
	s_cbranch_execz .LBB572_119
; %bb.114:
	s_movk_i32 s8, 0x80
	v_cmp_ne_u16_e32 vcc, s8, v42
	v_bfrev_b32_e32 v44, 1
	s_and_saveexec_b64 s[8:9], vcc
	s_cbranch_execz .LBB572_118
; %bb.115:
	s_movk_i32 s10, 0x7f
	v_and_b32_e32 v45, 0x7f, v42
	v_cmp_ne_u32_e32 vcc, s10, v45
	v_mov_b32_e32 v44, 0x7f800001
	s_and_saveexec_b64 s[10:11], vcc
	s_cbranch_execz .LBB572_117
; %bb.116:
	v_and_b32_e32 v44, 7, v42
	v_ffbh_u32_e32 v52, v44
	v_min_u32_e32 v54, 32, v52
	v_subrev_u32_e32 v52, 28, v54
	v_lshlrev_b64 v[52:53], v52, v[42:43]
	v_lshrrev_b32_e32 v51, 3, v45
	v_sub_u32_e32 v42, 29, v54
	v_and_b32_e32 v52, 7, v52
	v_cmp_gt_u32_e32 vcc, 8, v45
	v_cndmask_b32_e32 v42, v51, v42, vcc
	v_cndmask_b32_e32 v44, v44, v52, vcc
	v_lshlrev_b32_e32 v45, 16, v38
	v_bfrev_b32_e32 v51, 60
	v_lshlrev_b32_e32 v44, 20, v44
	v_and_b32_e32 v45, 0x80000000, v45
	v_lshl_add_u32 v42, v42, 23, v51
	v_or3_b32 v44, v45, v42, v44
.LBB572_117:
	s_or_b64 exec, exec, s[10:11]
.LBB572_118:
	s_or_b64 exec, exec, s[8:9]
.LBB572_119:
	s_or_b64 exec, exec, s[2:3]
	s_movk_i32 s2, 0xff
	v_and_b32_sdwa v45, v38, s2 dst_sel:DWORD dst_unused:UNUSED_PAD src0_sel:WORD_1 src1_sel:DWORD
	v_lshrrev_b32_e32 v42, 16, v38
	v_cmp_ne_u16_e32 vcc, 0, v45
	s_and_saveexec_b64 s[2:3], vcc
	s_cbranch_execz .LBB572_125
; %bb.120:
	s_movk_i32 s8, 0x80
	v_cmp_ne_u16_e32 vcc, s8, v45
	v_bfrev_b32_e32 v43, 1
	s_and_saveexec_b64 s[8:9], vcc
	s_cbranch_execz .LBB572_124
; %bb.121:
	v_bfe_u32 v45, v38, 16, 7
	s_movk_i32 s10, 0x7f
	v_cmp_ne_u32_e32 vcc, s10, v45
	v_mov_b32_e32 v43, 0x7f800001
	s_and_saveexec_b64 s[10:11], vcc
	s_cbranch_execz .LBB572_123
; %bb.122:
	v_and_b32_e32 v51, 7, v42
	v_ffbh_u32_e32 v43, v51
	v_min_u32_e32 v53, 32, v43
	v_subrev_u32_e32 v43, 28, v53
	v_lshlrev_b64 v[42:43], v43, v[42:43]
	v_lshrrev_b32_e32 v52, 3, v45
	v_sub_u32_e32 v43, 29, v53
	v_and_b32_e32 v42, 7, v42
	v_cmp_gt_u32_e32 vcc, 8, v45
	v_mov_b32_e32 v45, 24
	v_cndmask_b32_e32 v43, v52, v43, vcc
	v_cndmask_b32_e32 v42, v51, v42, vcc
	v_lshlrev_b32_sdwa v45, v45, v38 dst_sel:DWORD dst_unused:UNUSED_PAD src0_sel:DWORD src1_sel:WORD_1
	v_bfrev_b32_e32 v51, 60
	v_lshlrev_b32_e32 v42, 20, v42
	v_and_b32_e32 v45, 0x80000000, v45
	v_lshl_add_u32 v43, v43, 23, v51
	v_or3_b32 v43, v45, v43, v42
.LBB572_123:
	s_or_b64 exec, exec, s[10:11]
.LBB572_124:
	s_or_b64 exec, exec, s[8:9]
.LBB572_125:
	s_or_b64 exec, exec, s[2:3]
	s_mov_b32 s2, 0xffffff
	v_cmp_lt_u32_e32 vcc, s2, v38
	v_mov_b32_e32 v45, 0
	v_mov_b32_e32 v52, 0
	s_and_saveexec_b64 s[2:3], vcc
	s_cbranch_execz .LBB572_131
; %bb.126:
	v_lshrrev_b32_e32 v42, 24, v38
	s_movk_i32 s8, 0x80
	v_cmp_ne_u32_e32 vcc, s8, v42
	v_bfrev_b32_e32 v52, 1
	s_and_saveexec_b64 s[8:9], vcc
	s_cbranch_execz .LBB572_130
; %bb.127:
	v_bfe_u32 v38, v38, 24, 7
	s_movk_i32 s10, 0x7f
	v_cmp_ne_u32_e32 vcc, s10, v38
	v_mov_b32_e32 v52, 0x7f800001
	s_and_saveexec_b64 s[10:11], vcc
	s_cbranch_execz .LBB572_129
; %bb.128:
	v_and_b32_e32 v51, 7, v42
	v_ffbh_u32_e32 v52, v51
	v_min_u32_e32 v55, 32, v52
	v_subrev_u32_e32 v52, 28, v55
	v_lshlrev_b64 v[52:53], v52, v[42:43]
	v_lshrrev_b32_e32 v54, 3, v38
	v_sub_u32_e32 v53, 29, v55
	v_and_b32_e32 v52, 7, v52
	v_cmp_gt_u32_e32 vcc, 8, v38
	v_cndmask_b32_e32 v38, v54, v53, vcc
	v_cndmask_b32_e32 v51, v51, v52, vcc
	v_lshlrev_b32_e32 v42, 24, v42
	v_bfrev_b32_e32 v52, 60
	v_lshlrev_b32_e32 v51, 20, v51
	v_and_b32_e32 v42, 0x80000000, v42
	v_lshl_add_u32 v38, v38, 23, v52
	v_or3_b32 v52, v42, v38, v51
.LBB572_129:
	s_or_b64 exec, exec, s[10:11]
.LBB572_130:
	s_or_b64 exec, exec, s[8:9]
.LBB572_131:
	s_or_b64 exec, exec, s[2:3]
	v_cmp_ne_u16_sdwa s[8:9], v39, v45 src0_sel:BYTE_0 src1_sel:DWORD
	s_and_saveexec_b64 s[2:3], s[8:9]
	s_cbranch_execz .LBB572_137
; %bb.132:
	s_movk_i32 s8, 0x80
	v_cmp_ne_u16_sdwa s[10:11], v39, s8 src0_sel:BYTE_0 src1_sel:DWORD
	v_bfrev_b32_e32 v45, 1
	s_and_saveexec_b64 s[8:9], s[10:11]
	s_cbranch_execz .LBB572_136
; %bb.133:
	s_movk_i32 s10, 0x7f
	v_and_b32_e32 v38, 0x7f, v39
	v_cmp_ne_u32_e32 vcc, s10, v38
	v_mov_b32_e32 v45, 0x7f800001
	s_and_saveexec_b64 s[10:11], vcc
	s_cbranch_execz .LBB572_135
; %bb.134:
	v_and_b32_e32 v45, 7, v39
	v_ffbh_u32_e32 v53, v45
	v_min_u32_e32 v53, 32, v53
	v_mov_b32_e32 v42, v39
	v_subrev_u32_e32 v54, 28, v53
	v_lshlrev_b64 v[54:55], v54, v[42:43]
	v_lshrrev_b32_e32 v51, 3, v38
	v_sub_u32_e32 v42, 29, v53
	v_and_b32_e32 v53, 7, v54
	v_cmp_gt_u32_e32 vcc, 8, v38
	v_cndmask_b32_e32 v38, v51, v42, vcc
	v_cndmask_b32_e32 v42, v45, v53, vcc
	v_lshlrev_b32_e32 v45, 24, v39
	v_bfrev_b32_e32 v51, 60
	v_lshlrev_b32_e32 v42, 20, v42
	v_and_b32_e32 v45, 0x80000000, v45
	v_lshl_add_u32 v38, v38, 23, v51
	v_or3_b32 v45, v45, v38, v42
.LBB572_135:
	s_or_b64 exec, exec, s[10:11]
.LBB572_136:
	s_or_b64 exec, exec, s[8:9]
.LBB572_137:
	s_or_b64 exec, exec, s[2:3]
	v_lshrrev_b16_e32 v38, 8, v39
	v_cmp_ne_u16_e32 vcc, 0, v38
	v_mov_b32_e32 v42, 0
	v_mov_b32_e32 v53, 0
	s_and_saveexec_b64 s[2:3], vcc
	s_cbranch_execz .LBB572_143
; %bb.138:
	s_movk_i32 s8, 0x80
	v_cmp_ne_u16_e32 vcc, s8, v38
	v_bfrev_b32_e32 v53, 1
	s_and_saveexec_b64 s[8:9], vcc
	s_cbranch_execz .LBB572_142
; %bb.139:
	s_movk_i32 s10, 0x7f
	v_and_b32_e32 v51, 0x7f, v38
	v_cmp_ne_u32_e32 vcc, s10, v51
	v_mov_b32_e32 v53, 0x7f800001
	s_and_saveexec_b64 s[10:11], vcc
	s_cbranch_execz .LBB572_141
; %bb.140:
	v_and_b32_e32 v53, 7, v38
	v_ffbh_u32_e32 v54, v53
	v_min_u32_e32 v57, 32, v54
	v_subrev_u32_e32 v54, 28, v57
	v_lshlrev_b64 v[54:55], v54, v[38:39]
	v_lshrrev_b32_e32 v56, 3, v51
	v_sub_u32_e32 v38, 29, v57
	v_and_b32_e32 v54, 7, v54
	v_cmp_gt_u32_e32 vcc, 8, v51
	v_cndmask_b32_e32 v38, v56, v38, vcc
	v_cndmask_b32_e32 v51, v53, v54, vcc
	v_lshlrev_b32_e32 v53, 16, v39
	v_bfrev_b32_e32 v54, 60
	v_lshlrev_b32_e32 v51, 20, v51
	v_and_b32_e32 v53, 0x80000000, v53
	v_lshl_add_u32 v38, v38, 23, v54
	v_or3_b32 v53, v53, v38, v51
.LBB572_141:
	s_or_b64 exec, exec, s[10:11]
.LBB572_142:
	s_or_b64 exec, exec, s[8:9]
.LBB572_143:
	s_or_b64 exec, exec, s[2:3]
	s_movk_i32 s2, 0xff
	v_and_b32_sdwa v51, v39, s2 dst_sel:DWORD dst_unused:UNUSED_PAD src0_sel:WORD_1 src1_sel:DWORD
	v_lshrrev_b32_e32 v38, 16, v39
	v_cmp_ne_u16_e32 vcc, 0, v51
	s_and_saveexec_b64 s[2:3], vcc
	s_cbranch_execz .LBB572_149
; %bb.144:
	s_movk_i32 s8, 0x80
	v_cmp_ne_u16_e32 vcc, s8, v51
	v_bfrev_b32_e32 v42, 1
	s_and_saveexec_b64 s[8:9], vcc
	s_cbranch_execz .LBB572_148
; %bb.145:
	v_bfe_u32 v51, v39, 16, 7
	s_movk_i32 s10, 0x7f
	v_cmp_ne_u32_e32 vcc, s10, v51
	v_mov_b32_e32 v42, 0x7f800001
	s_and_saveexec_b64 s[10:11], vcc
	s_cbranch_execz .LBB572_147
; %bb.146:
	v_and_b32_e32 v42, 7, v38
	v_ffbh_u32_e32 v54, v42
	v_min_u32_e32 v57, 32, v54
	v_subrev_u32_e32 v54, 28, v57
	v_lshlrev_b64 v[54:55], v54, v[38:39]
	v_lshrrev_b32_e32 v56, 3, v51
	v_sub_u32_e32 v38, 29, v57
	v_and_b32_e32 v54, 7, v54
	v_cmp_gt_u32_e32 vcc, 8, v51
	v_mov_b32_e32 v51, 24
	v_cndmask_b32_e32 v38, v56, v38, vcc
	v_cndmask_b32_e32 v42, v42, v54, vcc
	v_lshlrev_b32_sdwa v51, v51, v39 dst_sel:DWORD dst_unused:UNUSED_PAD src0_sel:DWORD src1_sel:WORD_1
	v_bfrev_b32_e32 v54, 60
	v_lshlrev_b32_e32 v42, 20, v42
	v_and_b32_e32 v51, 0x80000000, v51
	v_lshl_add_u32 v38, v38, 23, v54
	v_or3_b32 v42, v51, v38, v42
.LBB572_147:
	s_or_b64 exec, exec, s[10:11]
.LBB572_148:
	s_or_b64 exec, exec, s[8:9]
.LBB572_149:
	s_or_b64 exec, exec, s[2:3]
	s_mov_b32 s2, 0xffffff
	v_cmp_lt_u32_e32 vcc, s2, v39
	v_mov_b32_e32 v51, 0
	v_mov_b32_e32 v54, 0
	s_and_saveexec_b64 s[2:3], vcc
	s_cbranch_execz .LBB572_155
; %bb.150:
	v_lshrrev_b32_e32 v38, 24, v39
	s_movk_i32 s8, 0x80
	v_cmp_ne_u32_e32 vcc, s8, v38
	v_bfrev_b32_e32 v54, 1
	s_and_saveexec_b64 s[8:9], vcc
	s_cbranch_execz .LBB572_154
; %bb.151:
	v_bfe_u32 v39, v39, 24, 7
	s_movk_i32 s10, 0x7f
	v_cmp_ne_u32_e32 vcc, s10, v39
	v_mov_b32_e32 v54, 0x7f800001
	s_and_saveexec_b64 s[10:11], vcc
	s_cbranch_execz .LBB572_153
; %bb.152:
	v_and_b32_e32 v56, 7, v38
	v_ffbh_u32_e32 v54, v56
	v_min_u32_e32 v58, 32, v54
	v_subrev_u32_e32 v54, 28, v58
	v_lshlrev_b64 v[54:55], v54, v[38:39]
	v_lshrrev_b32_e32 v57, 3, v39
	v_sub_u32_e32 v55, 29, v58
	v_and_b32_e32 v54, 7, v54
	v_cmp_gt_u32_e32 vcc, 8, v39
	v_cndmask_b32_e32 v39, v57, v55, vcc
	v_cndmask_b32_e32 v54, v56, v54, vcc
	v_lshlrev_b32_e32 v38, 24, v38
	v_bfrev_b32_e32 v55, 60
	v_lshlrev_b32_e32 v54, 20, v54
	v_and_b32_e32 v38, 0x80000000, v38
	v_lshl_add_u32 v39, v39, 23, v55
	v_or3_b32 v54, v38, v39, v54
.LBB572_153:
	s_or_b64 exec, exec, s[10:11]
.LBB572_154:
	s_or_b64 exec, exec, s[8:9]
.LBB572_155:
	s_or_b64 exec, exec, s[2:3]
	v_cvt_pkrtz_f16_f32 v38, v50, v44
	v_cvt_pkrtz_f16_f32 v39, v43, v52
	v_cmp_ne_u16_sdwa s[8:9], v40, v51 src0_sel:BYTE_0 src1_sel:DWORD
	s_nop 0
	v_mfma_f32_16x16x16f16 v[56:59], v[38:39], v[26:27], 0
	v_cvt_pkrtz_f16_f32 v38, v45, v53
	v_cvt_pkrtz_f16_f32 v39, v42, v54
	s_nop 1
	v_mfma_f32_16x16x16f16 v[42:45], v[38:39], v[28:29], v[56:59]
	s_and_saveexec_b64 s[2:3], s[8:9]
	s_cbranch_execz .LBB572_161
; %bb.156:
	s_movk_i32 s8, 0x80
	v_cmp_ne_u16_sdwa s[10:11], v40, s8 src0_sel:BYTE_0 src1_sel:DWORD
	v_bfrev_b32_e32 v51, 1
	s_and_saveexec_b64 s[8:9], s[10:11]
	s_cbranch_execz .LBB572_160
; %bb.157:
	s_movk_i32 s10, 0x7f
	v_and_b32_e32 v38, 0x7f, v40
	v_cmp_ne_u32_e32 vcc, s10, v38
	v_mov_b32_e32 v51, 0x7f800001
	s_and_saveexec_b64 s[10:11], vcc
	s_cbranch_execz .LBB572_159
; %bb.158:
	v_and_b32_e32 v39, 7, v40
	v_ffbh_u32_e32 v50, v39
	v_min_u32_e32 v53, 32, v50
	v_subrev_u32_e32 v50, 28, v53
	v_lshlrev_b64 v[50:51], v50, v[40:41]
	v_lshrrev_b32_e32 v52, 3, v38
	v_sub_u32_e32 v51, 29, v53
	v_and_b32_e32 v50, 7, v50
	v_cmp_gt_u32_e32 vcc, 8, v38
	v_cndmask_b32_e32 v38, v52, v51, vcc
	v_cndmask_b32_e32 v39, v39, v50, vcc
	v_lshlrev_b32_e32 v50, 24, v40
	v_bfrev_b32_e32 v51, 60
	v_lshlrev_b32_e32 v39, 20, v39
	v_and_b32_e32 v50, 0x80000000, v50
	v_lshl_add_u32 v38, v38, 23, v51
	v_or3_b32 v51, v50, v38, v39
.LBB572_159:
	s_or_b64 exec, exec, s[10:11]
.LBB572_160:
	s_or_b64 exec, exec, s[8:9]
.LBB572_161:
	s_or_b64 exec, exec, s[2:3]
	v_lshrrev_b16_e32 v38, 8, v40
	v_cmp_ne_u16_e32 vcc, 0, v38
	v_mov_b32_e32 v39, 0
	v_mov_b32_e32 v52, 0
	s_and_saveexec_b64 s[2:3], vcc
	s_cbranch_execz .LBB572_167
; %bb.162:
	s_movk_i32 s8, 0x80
	v_cmp_ne_u16_e32 vcc, s8, v38
	v_bfrev_b32_e32 v52, 1
	s_and_saveexec_b64 s[8:9], vcc
	s_cbranch_execz .LBB572_166
; %bb.163:
	s_movk_i32 s10, 0x7f
	v_and_b32_e32 v50, 0x7f, v38
	v_cmp_ne_u32_e32 vcc, s10, v50
	v_mov_b32_e32 v52, 0x7f800001
	s_and_saveexec_b64 s[10:11], vcc
	s_cbranch_execz .LBB572_165
; %bb.164:
	v_and_b32_e32 v54, 7, v38
	v_ffbh_u32_e32 v52, v54
	v_min_u32_e32 v56, 32, v52
	v_subrev_u32_e32 v52, 28, v56
	v_lshlrev_b64 v[52:53], v52, v[38:39]
	v_lshrrev_b32_e32 v55, 3, v50
	v_sub_u32_e32 v38, 29, v56
	v_and_b32_e32 v52, 7, v52
	v_cmp_gt_u32_e32 vcc, 8, v50
	v_cndmask_b32_e32 v38, v55, v38, vcc
	v_cndmask_b32_e32 v50, v54, v52, vcc
	v_lshlrev_b32_e32 v52, 16, v40
	v_bfrev_b32_e32 v53, 60
	v_lshlrev_b32_e32 v50, 20, v50
	v_and_b32_e32 v52, 0x80000000, v52
	v_lshl_add_u32 v38, v38, 23, v53
	v_or3_b32 v52, v52, v38, v50
.LBB572_165:
	s_or_b64 exec, exec, s[10:11]
.LBB572_166:
	s_or_b64 exec, exec, s[8:9]
.LBB572_167:
	s_or_b64 exec, exec, s[2:3]
	s_movk_i32 s2, 0xff
	v_and_b32_sdwa v50, v40, s2 dst_sel:DWORD dst_unused:UNUSED_PAD src0_sel:WORD_1 src1_sel:DWORD
	v_lshrrev_b32_e32 v38, 16, v40
	v_cmp_ne_u16_e32 vcc, 0, v50
	s_and_saveexec_b64 s[2:3], vcc
	s_cbranch_execz .LBB572_173
; %bb.168:
	s_movk_i32 s8, 0x80
	v_cmp_ne_u16_e32 vcc, s8, v50
	v_bfrev_b32_e32 v39, 1
	s_and_saveexec_b64 s[8:9], vcc
	s_cbranch_execz .LBB572_172
; %bb.169:
	v_bfe_u32 v50, v40, 16, 7
	s_movk_i32 s10, 0x7f
	v_cmp_ne_u32_e32 vcc, s10, v50
	v_mov_b32_e32 v39, 0x7f800001
	s_and_saveexec_b64 s[10:11], vcc
	s_cbranch_execz .LBB572_171
; %bb.170:
	v_and_b32_e32 v53, 7, v38
	v_ffbh_u32_e32 v39, v53
	v_min_u32_e32 v55, 32, v39
	v_subrev_u32_e32 v39, 28, v55
	v_lshlrev_b64 v[38:39], v39, v[38:39]
	v_lshrrev_b32_e32 v54, 3, v50
	v_sub_u32_e32 v39, 29, v55
	v_and_b32_e32 v38, 7, v38
	v_cmp_gt_u32_e32 vcc, 8, v50
	v_mov_b32_e32 v50, 24
	v_cndmask_b32_e32 v39, v54, v39, vcc
	v_cndmask_b32_e32 v38, v53, v38, vcc
	v_lshlrev_b32_sdwa v50, v50, v40 dst_sel:DWORD dst_unused:UNUSED_PAD src0_sel:DWORD src1_sel:WORD_1
	v_bfrev_b32_e32 v53, 60
	v_lshlrev_b32_e32 v38, 20, v38
	v_and_b32_e32 v50, 0x80000000, v50
	v_lshl_add_u32 v39, v39, 23, v53
	v_or3_b32 v39, v50, v39, v38
.LBB572_171:
	s_or_b64 exec, exec, s[10:11]
.LBB572_172:
	s_or_b64 exec, exec, s[8:9]
.LBB572_173:
	s_or_b64 exec, exec, s[2:3]
	s_mov_b32 s2, 0xffffff
	v_cmp_lt_u32_e32 vcc, s2, v40
	v_mov_b32_e32 v53, 0
	v_mov_b32_e32 v54, 0
	s_and_saveexec_b64 s[2:3], vcc
	s_cbranch_execz .LBB572_179
; %bb.174:
	v_lshrrev_b32_e32 v38, 24, v40
	s_movk_i32 s8, 0x80
	v_cmp_ne_u32_e32 vcc, s8, v38
	v_bfrev_b32_e32 v54, 1
	s_and_saveexec_b64 s[8:9], vcc
	s_cbranch_execz .LBB572_178
; %bb.175:
	v_bfe_u32 v40, v40, 24, 7
	s_movk_i32 s10, 0x7f
	v_cmp_ne_u32_e32 vcc, s10, v40
	v_mov_b32_e32 v54, 0x7f800001
	s_and_saveexec_b64 s[10:11], vcc
	s_cbranch_execz .LBB572_177
; %bb.176:
	v_and_b32_e32 v50, 7, v38
	v_ffbh_u32_e32 v54, v50
	v_min_u32_e32 v57, 32, v54
	v_subrev_u32_e32 v54, 28, v57
	v_lshlrev_b64 v[54:55], v54, v[38:39]
	v_lshrrev_b32_e32 v56, 3, v40
	v_sub_u32_e32 v55, 29, v57
	v_and_b32_e32 v54, 7, v54
	v_cmp_gt_u32_e32 vcc, 8, v40
	v_cndmask_b32_e32 v40, v56, v55, vcc
	v_cndmask_b32_e32 v50, v50, v54, vcc
	v_lshlrev_b32_e32 v38, 24, v38
	v_bfrev_b32_e32 v54, 60
	v_lshlrev_b32_e32 v50, 20, v50
	v_and_b32_e32 v38, 0x80000000, v38
	v_lshl_add_u32 v40, v40, 23, v54
	v_or3_b32 v54, v38, v40, v50
.LBB572_177:
	s_or_b64 exec, exec, s[10:11]
.LBB572_178:
	s_or_b64 exec, exec, s[8:9]
.LBB572_179:
	s_or_b64 exec, exec, s[2:3]
	v_cmp_ne_u16_sdwa s[8:9], v41, v53 src0_sel:BYTE_0 src1_sel:DWORD
	s_and_saveexec_b64 s[2:3], s[8:9]
	s_cbranch_execz .LBB572_185
; %bb.180:
	s_movk_i32 s8, 0x80
	v_cmp_ne_u16_sdwa s[10:11], v41, s8 src0_sel:BYTE_0 src1_sel:DWORD
	v_bfrev_b32_e32 v53, 1
	s_and_saveexec_b64 s[8:9], s[10:11]
	s_cbranch_execz .LBB572_184
; %bb.181:
	s_movk_i32 s10, 0x7f
	v_and_b32_e32 v38, 0x7f, v41
	v_cmp_ne_u32_e32 vcc, s10, v38
	v_mov_b32_e32 v53, 0x7f800001
	s_and_saveexec_b64 s[10:11], vcc
	s_cbranch_execz .LBB572_183
; %bb.182:
	v_and_b32_e32 v50, 7, v41
	v_ffbh_u32_e32 v55, v50
	v_min_u32_e32 v55, 32, v55
	v_mov_b32_e32 v40, v41
	v_subrev_u32_e32 v56, 28, v55
	v_lshlrev_b64 v[56:57], v56, v[40:41]
	v_lshrrev_b32_e32 v53, 3, v38
	v_sub_u32_e32 v40, 29, v55
	v_and_b32_e32 v55, 7, v56
	v_cmp_gt_u32_e32 vcc, 8, v38
	v_cndmask_b32_e32 v38, v53, v40, vcc
	v_cndmask_b32_e32 v40, v50, v55, vcc
	v_lshlrev_b32_e32 v50, 24, v41
	v_bfrev_b32_e32 v53, 60
	v_lshlrev_b32_e32 v40, 20, v40
	v_and_b32_e32 v50, 0x80000000, v50
	v_lshl_add_u32 v38, v38, 23, v53
	v_or3_b32 v53, v50, v38, v40
.LBB572_183:
	s_or_b64 exec, exec, s[10:11]
.LBB572_184:
	s_or_b64 exec, exec, s[8:9]
.LBB572_185:
	s_or_b64 exec, exec, s[2:3]
	v_lshrrev_b16_e32 v38, 8, v41
	v_cmp_ne_u16_e32 vcc, 0, v38
	v_mov_b32_e32 v40, 0
	v_mov_b32_e32 v55, 0
	s_and_saveexec_b64 s[2:3], vcc
	s_cbranch_execz .LBB572_191
; %bb.186:
	s_movk_i32 s8, 0x80
	v_cmp_ne_u16_e32 vcc, s8, v38
	v_bfrev_b32_e32 v55, 1
	s_and_saveexec_b64 s[8:9], vcc
	s_cbranch_execz .LBB572_190
; %bb.187:
	s_movk_i32 s10, 0x7f
	v_and_b32_e32 v50, 0x7f, v38
	v_cmp_ne_u32_e32 vcc, s10, v50
	v_mov_b32_e32 v55, 0x7f800001
	s_and_saveexec_b64 s[10:11], vcc
	s_cbranch_execz .LBB572_189
; %bb.188:
	v_and_b32_e32 v55, 7, v38
	v_ffbh_u32_e32 v56, v55
	v_min_u32_e32 v59, 32, v56
	v_subrev_u32_e32 v56, 28, v59
	v_lshlrev_b64 v[56:57], v56, v[38:39]
	v_lshrrev_b32_e32 v58, 3, v50
	v_sub_u32_e32 v38, 29, v59
	v_and_b32_e32 v56, 7, v56
	v_cmp_gt_u32_e32 vcc, 8, v50
	v_cndmask_b32_e32 v38, v58, v38, vcc
	v_cndmask_b32_e32 v50, v55, v56, vcc
	v_lshlrev_b32_e32 v55, 16, v41
	v_bfrev_b32_e32 v56, 60
	v_lshlrev_b32_e32 v50, 20, v50
	v_and_b32_e32 v55, 0x80000000, v55
	v_lshl_add_u32 v38, v38, 23, v56
	v_or3_b32 v55, v55, v38, v50
.LBB572_189:
	s_or_b64 exec, exec, s[10:11]
.LBB572_190:
	s_or_b64 exec, exec, s[8:9]
.LBB572_191:
	s_or_b64 exec, exec, s[2:3]
	s_movk_i32 s2, 0xff
	v_and_b32_sdwa v50, v41, s2 dst_sel:DWORD dst_unused:UNUSED_PAD src0_sel:WORD_1 src1_sel:DWORD
	v_lshrrev_b32_e32 v38, 16, v41
	v_cmp_ne_u16_e32 vcc, 0, v50
	s_and_saveexec_b64 s[2:3], vcc
	s_cbranch_execz .LBB572_197
; %bb.192:
	s_movk_i32 s8, 0x80
	v_cmp_ne_u16_e32 vcc, s8, v50
	v_bfrev_b32_e32 v40, 1
	s_and_saveexec_b64 s[8:9], vcc
	s_cbranch_execz .LBB572_196
; %bb.193:
	v_bfe_u32 v50, v41, 16, 7
	s_movk_i32 s10, 0x7f
	v_cmp_ne_u32_e32 vcc, s10, v50
	v_mov_b32_e32 v40, 0x7f800001
	s_and_saveexec_b64 s[10:11], vcc
	s_cbranch_execz .LBB572_195
; %bb.194:
	v_and_b32_e32 v40, 7, v38
	v_ffbh_u32_e32 v56, v40
	v_min_u32_e32 v59, 32, v56
	v_subrev_u32_e32 v56, 28, v59
	v_lshlrev_b64 v[56:57], v56, v[38:39]
	v_lshrrev_b32_e32 v58, 3, v50
	v_sub_u32_e32 v38, 29, v59
	v_and_b32_e32 v56, 7, v56
	v_cmp_gt_u32_e32 vcc, 8, v50
	v_mov_b32_e32 v50, 24
	v_cndmask_b32_e32 v38, v58, v38, vcc
	v_cndmask_b32_e32 v40, v40, v56, vcc
	v_lshlrev_b32_sdwa v50, v50, v41 dst_sel:DWORD dst_unused:UNUSED_PAD src0_sel:DWORD src1_sel:WORD_1
	v_bfrev_b32_e32 v56, 60
	v_lshlrev_b32_e32 v40, 20, v40
	v_and_b32_e32 v50, 0x80000000, v50
	v_lshl_add_u32 v38, v38, 23, v56
	v_or3_b32 v40, v50, v38, v40
.LBB572_195:
	s_or_b64 exec, exec, s[10:11]
.LBB572_196:
	s_or_b64 exec, exec, s[8:9]
.LBB572_197:
	s_or_b64 exec, exec, s[2:3]
	s_mov_b32 s2, 0xffffff
	v_cmp_lt_u32_e32 vcc, s2, v41
	v_mov_b32_e32 v50, 0
	v_mov_b32_e32 v56, 0
	s_and_saveexec_b64 s[2:3], vcc
	s_cbranch_execz .LBB572_203
; %bb.198:
	v_lshrrev_b32_e32 v38, 24, v41
	s_movk_i32 s8, 0x80
	v_cmp_ne_u32_e32 vcc, s8, v38
	v_bfrev_b32_e32 v56, 1
	s_and_saveexec_b64 s[8:9], vcc
	s_cbranch_execz .LBB572_202
; %bb.199:
	v_bfe_u32 v41, v41, 24, 7
	s_movk_i32 s10, 0x7f
	v_cmp_ne_u32_e32 vcc, s10, v41
	v_mov_b32_e32 v56, 0x7f800001
	s_and_saveexec_b64 s[10:11], vcc
	s_cbranch_execz .LBB572_201
; %bb.200:
	v_and_b32_e32 v58, 7, v38
	v_ffbh_u32_e32 v56, v58
	v_min_u32_e32 v60, 32, v56
	v_subrev_u32_e32 v56, 28, v60
	v_lshlrev_b64 v[56:57], v56, v[38:39]
	v_lshrrev_b32_e32 v59, 3, v41
	v_sub_u32_e32 v57, 29, v60
	v_and_b32_e32 v56, 7, v56
	v_cmp_gt_u32_e32 vcc, 8, v41
	v_cndmask_b32_e32 v41, v59, v57, vcc
	v_cndmask_b32_e32 v56, v58, v56, vcc
	v_lshlrev_b32_e32 v38, 24, v38
	v_bfrev_b32_e32 v57, 60
	v_lshlrev_b32_e32 v56, 20, v56
	v_and_b32_e32 v38, 0x80000000, v38
	v_lshl_add_u32 v41, v41, 23, v57
	v_or3_b32 v56, v38, v41, v56
.LBB572_201:
	s_or_b64 exec, exec, s[10:11]
.LBB572_202:
	s_or_b64 exec, exec, s[8:9]
.LBB572_203:
	s_or_b64 exec, exec, s[2:3]
	v_cvt_pkrtz_f16_f32 v38, v51, v52
	v_cvt_pkrtz_f16_f32 v39, v39, v54
	s_waitcnt vmcnt(5)
	v_cmp_ne_u16_sdwa s[8:9], v34, v50 src0_sel:BYTE_0 src1_sel:DWORD
	v_mfma_f32_16x16x16f16 v[42:45], v[38:39], v[18:19], v[42:45]
	v_cvt_pkrtz_f16_f32 v38, v53, v55
	v_cvt_pkrtz_f16_f32 v39, v40, v56
	s_nop 1
	v_mfma_f32_16x16x16f16 v[38:41], v[38:39], v[20:21], v[42:45]
	s_and_saveexec_b64 s[2:3], s[8:9]
	s_cbranch_execz .LBB572_209
; %bb.204:
	s_movk_i32 s8, 0x80
	v_cmp_ne_u16_sdwa s[10:11], v34, s8 src0_sel:BYTE_0 src1_sel:DWORD
	v_bfrev_b32_e32 v50, 1
	s_and_saveexec_b64 s[8:9], s[10:11]
	s_cbranch_execz .LBB572_208
; %bb.205:
	s_movk_i32 s10, 0x7f
	v_and_b32_e32 v42, 0x7f, v34
	v_cmp_ne_u32_e32 vcc, s10, v42
	v_mov_b32_e32 v50, 0x7f800001
	s_and_saveexec_b64 s[10:11], vcc
	s_cbranch_execz .LBB572_207
; %bb.206:
	v_and_b32_e32 v43, 7, v34
	v_ffbh_u32_e32 v44, v43
	v_min_u32_e32 v51, 32, v44
	v_subrev_u32_e32 v44, 28, v51
	v_lshlrev_b64 v[44:45], v44, v[34:35]
	v_lshrrev_b32_e32 v50, 3, v42
	v_sub_u32_e32 v45, 29, v51
	v_and_b32_e32 v44, 7, v44
	v_cmp_gt_u32_e32 vcc, 8, v42
	v_cndmask_b32_e32 v42, v50, v45, vcc
	v_cndmask_b32_e32 v43, v43, v44, vcc
	v_lshlrev_b32_e32 v44, 24, v34
	v_bfrev_b32_e32 v45, 60
	v_lshlrev_b32_e32 v43, 20, v43
	v_and_b32_e32 v44, 0x80000000, v44
	v_lshl_add_u32 v42, v42, 23, v45
	v_or3_b32 v50, v44, v42, v43
.LBB572_207:
	s_or_b64 exec, exec, s[10:11]
.LBB572_208:
	s_or_b64 exec, exec, s[8:9]
.LBB572_209:
	s_or_b64 exec, exec, s[2:3]
	s_nop 3
	v_lshrrev_b16_e32 v42, 8, v34
	v_cmp_ne_u16_e32 vcc, 0, v42
	v_mov_b32_e32 v43, 0
	v_mov_b32_e32 v44, 0
	s_and_saveexec_b64 s[2:3], vcc
	s_cbranch_execz .LBB572_215
; %bb.210:
	s_movk_i32 s8, 0x80
	v_cmp_ne_u16_e32 vcc, s8, v42
	v_bfrev_b32_e32 v44, 1
	s_and_saveexec_b64 s[8:9], vcc
	s_cbranch_execz .LBB572_214
; %bb.211:
	s_movk_i32 s10, 0x7f
	v_and_b32_e32 v45, 0x7f, v42
	v_cmp_ne_u32_e32 vcc, s10, v45
	v_mov_b32_e32 v44, 0x7f800001
	s_and_saveexec_b64 s[10:11], vcc
	s_cbranch_execz .LBB572_213
; %bb.212:
	v_and_b32_e32 v44, 7, v42
	v_ffbh_u32_e32 v52, v44
	v_min_u32_e32 v54, 32, v52
	v_subrev_u32_e32 v52, 28, v54
	v_lshlrev_b64 v[52:53], v52, v[42:43]
	v_lshrrev_b32_e32 v51, 3, v45
	v_sub_u32_e32 v42, 29, v54
	v_and_b32_e32 v52, 7, v52
	v_cmp_gt_u32_e32 vcc, 8, v45
	v_cndmask_b32_e32 v42, v51, v42, vcc
	v_cndmask_b32_e32 v44, v44, v52, vcc
	v_lshlrev_b32_e32 v45, 16, v34
	v_bfrev_b32_e32 v51, 60
	v_lshlrev_b32_e32 v44, 20, v44
	v_and_b32_e32 v45, 0x80000000, v45
	v_lshl_add_u32 v42, v42, 23, v51
	v_or3_b32 v44, v45, v42, v44
.LBB572_213:
	s_or_b64 exec, exec, s[10:11]
.LBB572_214:
	s_or_b64 exec, exec, s[8:9]
.LBB572_215:
	s_or_b64 exec, exec, s[2:3]
	s_movk_i32 s2, 0xff
	v_and_b32_sdwa v45, v34, s2 dst_sel:DWORD dst_unused:UNUSED_PAD src0_sel:WORD_1 src1_sel:DWORD
	v_lshrrev_b32_e32 v42, 16, v34
	v_cmp_ne_u16_e32 vcc, 0, v45
	s_and_saveexec_b64 s[2:3], vcc
	s_cbranch_execz .LBB572_221
; %bb.216:
	s_movk_i32 s8, 0x80
	v_cmp_ne_u16_e32 vcc, s8, v45
	v_bfrev_b32_e32 v43, 1
	s_and_saveexec_b64 s[8:9], vcc
	s_cbranch_execz .LBB572_220
; %bb.217:
	v_bfe_u32 v45, v34, 16, 7
	s_movk_i32 s10, 0x7f
	v_cmp_ne_u32_e32 vcc, s10, v45
	v_mov_b32_e32 v43, 0x7f800001
	s_and_saveexec_b64 s[10:11], vcc
	s_cbranch_execz .LBB572_219
; %bb.218:
	v_and_b32_e32 v51, 7, v42
	v_ffbh_u32_e32 v43, v51
	v_min_u32_e32 v53, 32, v43
	v_subrev_u32_e32 v43, 28, v53
	v_lshlrev_b64 v[42:43], v43, v[42:43]
	v_lshrrev_b32_e32 v52, 3, v45
	v_sub_u32_e32 v43, 29, v53
	v_and_b32_e32 v42, 7, v42
	v_cmp_gt_u32_e32 vcc, 8, v45
	v_mov_b32_e32 v45, 24
	v_cndmask_b32_e32 v43, v52, v43, vcc
	v_cndmask_b32_e32 v42, v51, v42, vcc
	v_lshlrev_b32_sdwa v45, v45, v34 dst_sel:DWORD dst_unused:UNUSED_PAD src0_sel:DWORD src1_sel:WORD_1
	v_bfrev_b32_e32 v51, 60
	v_lshlrev_b32_e32 v42, 20, v42
	v_and_b32_e32 v45, 0x80000000, v45
	v_lshl_add_u32 v43, v43, 23, v51
	v_or3_b32 v43, v45, v43, v42
.LBB572_219:
	s_or_b64 exec, exec, s[10:11]
.LBB572_220:
	s_or_b64 exec, exec, s[8:9]
.LBB572_221:
	s_or_b64 exec, exec, s[2:3]
	s_mov_b32 s2, 0xffffff
	v_cmp_lt_u32_e32 vcc, s2, v34
	v_mov_b32_e32 v45, 0
	v_mov_b32_e32 v52, 0
	s_and_saveexec_b64 s[2:3], vcc
	s_cbranch_execz .LBB572_227
; %bb.222:
	v_lshrrev_b32_e32 v42, 24, v34
	s_movk_i32 s8, 0x80
	v_cmp_ne_u32_e32 vcc, s8, v42
	v_bfrev_b32_e32 v52, 1
	s_and_saveexec_b64 s[8:9], vcc
	s_cbranch_execz .LBB572_226
; %bb.223:
	v_bfe_u32 v34, v34, 24, 7
	s_movk_i32 s10, 0x7f
	v_cmp_ne_u32_e32 vcc, s10, v34
	v_mov_b32_e32 v52, 0x7f800001
	s_and_saveexec_b64 s[10:11], vcc
	s_cbranch_execz .LBB572_225
; %bb.224:
	v_and_b32_e32 v51, 7, v42
	v_ffbh_u32_e32 v52, v51
	v_min_u32_e32 v55, 32, v52
	v_subrev_u32_e32 v52, 28, v55
	v_lshlrev_b64 v[52:53], v52, v[42:43]
	v_lshrrev_b32_e32 v54, 3, v34
	v_sub_u32_e32 v53, 29, v55
	v_and_b32_e32 v52, 7, v52
	v_cmp_gt_u32_e32 vcc, 8, v34
	v_cndmask_b32_e32 v34, v54, v53, vcc
	v_cndmask_b32_e32 v51, v51, v52, vcc
	v_lshlrev_b32_e32 v42, 24, v42
	v_bfrev_b32_e32 v52, 60
	v_lshlrev_b32_e32 v51, 20, v51
	v_and_b32_e32 v42, 0x80000000, v42
	v_lshl_add_u32 v34, v34, 23, v52
	v_or3_b32 v52, v42, v34, v51
.LBB572_225:
	s_or_b64 exec, exec, s[10:11]
.LBB572_226:
	s_or_b64 exec, exec, s[8:9]
.LBB572_227:
	s_or_b64 exec, exec, s[2:3]
	v_cmp_ne_u16_sdwa s[8:9], v35, v45 src0_sel:BYTE_0 src1_sel:DWORD
	s_and_saveexec_b64 s[2:3], s[8:9]
	s_cbranch_execz .LBB572_233
; %bb.228:
	s_movk_i32 s8, 0x80
	v_cmp_ne_u16_sdwa s[10:11], v35, s8 src0_sel:BYTE_0 src1_sel:DWORD
	v_bfrev_b32_e32 v45, 1
	s_and_saveexec_b64 s[8:9], s[10:11]
	s_cbranch_execz .LBB572_232
; %bb.229:
	s_movk_i32 s10, 0x7f
	v_and_b32_e32 v34, 0x7f, v35
	v_cmp_ne_u32_e32 vcc, s10, v34
	v_mov_b32_e32 v45, 0x7f800001
	s_and_saveexec_b64 s[10:11], vcc
	s_cbranch_execz .LBB572_231
; %bb.230:
	v_and_b32_e32 v45, 7, v35
	v_ffbh_u32_e32 v53, v45
	v_min_u32_e32 v53, 32, v53
	v_mov_b32_e32 v42, v35
	v_subrev_u32_e32 v54, 28, v53
	v_lshlrev_b64 v[54:55], v54, v[42:43]
	v_lshrrev_b32_e32 v51, 3, v34
	v_sub_u32_e32 v42, 29, v53
	v_and_b32_e32 v53, 7, v54
	v_cmp_gt_u32_e32 vcc, 8, v34
	v_cndmask_b32_e32 v34, v51, v42, vcc
	v_cndmask_b32_e32 v42, v45, v53, vcc
	v_lshlrev_b32_e32 v45, 24, v35
	v_bfrev_b32_e32 v51, 60
	v_lshlrev_b32_e32 v42, 20, v42
	v_and_b32_e32 v45, 0x80000000, v45
	v_lshl_add_u32 v34, v34, 23, v51
	v_or3_b32 v45, v45, v34, v42
.LBB572_231:
	s_or_b64 exec, exec, s[10:11]
.LBB572_232:
	s_or_b64 exec, exec, s[8:9]
.LBB572_233:
	s_or_b64 exec, exec, s[2:3]
	v_lshrrev_b16_e32 v34, 8, v35
	v_cmp_ne_u16_e32 vcc, 0, v34
	v_mov_b32_e32 v42, 0
	v_mov_b32_e32 v53, 0
	s_and_saveexec_b64 s[2:3], vcc
	s_cbranch_execz .LBB572_239
; %bb.234:
	s_movk_i32 s8, 0x80
	v_cmp_ne_u16_e32 vcc, s8, v34
	v_bfrev_b32_e32 v53, 1
	s_and_saveexec_b64 s[8:9], vcc
	s_cbranch_execz .LBB572_238
; %bb.235:
	s_movk_i32 s10, 0x7f
	v_and_b32_e32 v51, 0x7f, v34
	v_cmp_ne_u32_e32 vcc, s10, v51
	v_mov_b32_e32 v53, 0x7f800001
	s_and_saveexec_b64 s[10:11], vcc
	s_cbranch_execz .LBB572_237
; %bb.236:
	v_and_b32_e32 v53, 7, v34
	v_ffbh_u32_e32 v54, v53
	v_min_u32_e32 v57, 32, v54
	v_subrev_u32_e32 v54, 28, v57
	v_lshlrev_b64 v[54:55], v54, v[34:35]
	v_lshrrev_b32_e32 v56, 3, v51
	v_sub_u32_e32 v34, 29, v57
	v_and_b32_e32 v54, 7, v54
	v_cmp_gt_u32_e32 vcc, 8, v51
	v_cndmask_b32_e32 v34, v56, v34, vcc
	v_cndmask_b32_e32 v51, v53, v54, vcc
	v_lshlrev_b32_e32 v53, 16, v35
	v_bfrev_b32_e32 v54, 60
	v_lshlrev_b32_e32 v51, 20, v51
	v_and_b32_e32 v53, 0x80000000, v53
	v_lshl_add_u32 v34, v34, 23, v54
	v_or3_b32 v53, v53, v34, v51
.LBB572_237:
	s_or_b64 exec, exec, s[10:11]
.LBB572_238:
	s_or_b64 exec, exec, s[8:9]
.LBB572_239:
	s_or_b64 exec, exec, s[2:3]
	s_movk_i32 s2, 0xff
	v_and_b32_sdwa v51, v35, s2 dst_sel:DWORD dst_unused:UNUSED_PAD src0_sel:WORD_1 src1_sel:DWORD
	v_lshrrev_b32_e32 v34, 16, v35
	v_cmp_ne_u16_e32 vcc, 0, v51
	s_and_saveexec_b64 s[2:3], vcc
	s_cbranch_execz .LBB572_245
; %bb.240:
	s_movk_i32 s8, 0x80
	v_cmp_ne_u16_e32 vcc, s8, v51
	v_bfrev_b32_e32 v42, 1
	s_and_saveexec_b64 s[8:9], vcc
	s_cbranch_execz .LBB572_244
; %bb.241:
	v_bfe_u32 v51, v35, 16, 7
	s_movk_i32 s10, 0x7f
	v_cmp_ne_u32_e32 vcc, s10, v51
	v_mov_b32_e32 v42, 0x7f800001
	s_and_saveexec_b64 s[10:11], vcc
	s_cbranch_execz .LBB572_243
; %bb.242:
	v_and_b32_e32 v42, 7, v34
	v_ffbh_u32_e32 v54, v42
	v_min_u32_e32 v57, 32, v54
	v_subrev_u32_e32 v54, 28, v57
	v_lshlrev_b64 v[54:55], v54, v[34:35]
	v_lshrrev_b32_e32 v56, 3, v51
	v_sub_u32_e32 v34, 29, v57
	v_and_b32_e32 v54, 7, v54
	v_cmp_gt_u32_e32 vcc, 8, v51
	v_mov_b32_e32 v51, 24
	v_cndmask_b32_e32 v34, v56, v34, vcc
	v_cndmask_b32_e32 v42, v42, v54, vcc
	v_lshlrev_b32_sdwa v51, v51, v35 dst_sel:DWORD dst_unused:UNUSED_PAD src0_sel:DWORD src1_sel:WORD_1
	v_bfrev_b32_e32 v54, 60
	v_lshlrev_b32_e32 v42, 20, v42
	v_and_b32_e32 v51, 0x80000000, v51
	v_lshl_add_u32 v34, v34, 23, v54
	v_or3_b32 v42, v51, v34, v42
.LBB572_243:
	s_or_b64 exec, exec, s[10:11]
.LBB572_244:
	s_or_b64 exec, exec, s[8:9]
.LBB572_245:
	s_or_b64 exec, exec, s[2:3]
	s_mov_b32 s2, 0xffffff
	v_cmp_lt_u32_e32 vcc, s2, v35
	v_mov_b32_e32 v51, 0
	v_mov_b32_e32 v54, 0
	s_and_saveexec_b64 s[2:3], vcc
	s_cbranch_execz .LBB572_251
; %bb.246:
	v_lshrrev_b32_e32 v34, 24, v35
	s_movk_i32 s8, 0x80
	v_cmp_ne_u32_e32 vcc, s8, v34
	v_bfrev_b32_e32 v54, 1
	s_and_saveexec_b64 s[8:9], vcc
	s_cbranch_execz .LBB572_250
; %bb.247:
	v_bfe_u32 v35, v35, 24, 7
	s_movk_i32 s10, 0x7f
	v_cmp_ne_u32_e32 vcc, s10, v35
	v_mov_b32_e32 v54, 0x7f800001
	s_and_saveexec_b64 s[10:11], vcc
	s_cbranch_execz .LBB572_249
; %bb.248:
	v_and_b32_e32 v56, 7, v34
	v_ffbh_u32_e32 v54, v56
	v_min_u32_e32 v58, 32, v54
	v_subrev_u32_e32 v54, 28, v58
	v_lshlrev_b64 v[54:55], v54, v[34:35]
	v_lshrrev_b32_e32 v57, 3, v35
	v_sub_u32_e32 v55, 29, v58
	v_and_b32_e32 v54, 7, v54
	v_cmp_gt_u32_e32 vcc, 8, v35
	v_cndmask_b32_e32 v35, v57, v55, vcc
	v_cndmask_b32_e32 v54, v56, v54, vcc
	v_lshlrev_b32_e32 v34, 24, v34
	v_bfrev_b32_e32 v55, 60
	v_lshlrev_b32_e32 v54, 20, v54
	v_and_b32_e32 v34, 0x80000000, v34
	v_lshl_add_u32 v35, v35, 23, v55
	v_or3_b32 v54, v34, v35, v54
.LBB572_249:
	s_or_b64 exec, exec, s[10:11]
.LBB572_250:
	s_or_b64 exec, exec, s[8:9]
.LBB572_251:
	s_or_b64 exec, exec, s[2:3]
	v_cvt_pkrtz_f16_f32 v34, v50, v44
	v_cvt_pkrtz_f16_f32 v35, v43, v52
	v_cmp_ne_u16_sdwa s[8:9], v36, v51 src0_sel:BYTE_0 src1_sel:DWORD
	s_nop 0
	v_mfma_f32_16x16x16f16 v[56:59], v[34:35], v[26:27], 0
	v_cvt_pkrtz_f16_f32 v34, v45, v53
	v_cvt_pkrtz_f16_f32 v35, v42, v54
	s_nop 1
	v_mfma_f32_16x16x16f16 v[42:45], v[34:35], v[28:29], v[56:59]
	s_and_saveexec_b64 s[2:3], s[8:9]
	s_cbranch_execz .LBB572_257
; %bb.252:
	s_movk_i32 s8, 0x80
	v_cmp_ne_u16_sdwa s[10:11], v36, s8 src0_sel:BYTE_0 src1_sel:DWORD
	v_bfrev_b32_e32 v51, 1
	s_and_saveexec_b64 s[8:9], s[10:11]
	s_cbranch_execz .LBB572_256
; %bb.253:
	s_movk_i32 s10, 0x7f
	v_and_b32_e32 v34, 0x7f, v36
	v_cmp_ne_u32_e32 vcc, s10, v34
	v_mov_b32_e32 v51, 0x7f800001
	s_and_saveexec_b64 s[10:11], vcc
	s_cbranch_execz .LBB572_255
; %bb.254:
	v_and_b32_e32 v35, 7, v36
	v_ffbh_u32_e32 v50, v35
	v_min_u32_e32 v53, 32, v50
	v_subrev_u32_e32 v50, 28, v53
	v_lshlrev_b64 v[50:51], v50, v[36:37]
	v_lshrrev_b32_e32 v52, 3, v34
	v_sub_u32_e32 v51, 29, v53
	v_and_b32_e32 v50, 7, v50
	v_cmp_gt_u32_e32 vcc, 8, v34
	v_cndmask_b32_e32 v34, v52, v51, vcc
	v_cndmask_b32_e32 v35, v35, v50, vcc
	v_lshlrev_b32_e32 v50, 24, v36
	v_bfrev_b32_e32 v51, 60
	v_lshlrev_b32_e32 v35, 20, v35
	v_and_b32_e32 v50, 0x80000000, v50
	v_lshl_add_u32 v34, v34, 23, v51
	v_or3_b32 v51, v50, v34, v35
.LBB572_255:
	s_or_b64 exec, exec, s[10:11]
.LBB572_256:
	s_or_b64 exec, exec, s[8:9]
.LBB572_257:
	s_or_b64 exec, exec, s[2:3]
	v_lshrrev_b16_e32 v34, 8, v36
	v_cmp_ne_u16_e32 vcc, 0, v34
	v_mov_b32_e32 v35, 0
	v_mov_b32_e32 v52, 0
	s_and_saveexec_b64 s[2:3], vcc
	s_cbranch_execz .LBB572_263
; %bb.258:
	s_movk_i32 s8, 0x80
	v_cmp_ne_u16_e32 vcc, s8, v34
	v_bfrev_b32_e32 v52, 1
	s_and_saveexec_b64 s[8:9], vcc
	s_cbranch_execz .LBB572_262
; %bb.259:
	s_movk_i32 s10, 0x7f
	v_and_b32_e32 v50, 0x7f, v34
	v_cmp_ne_u32_e32 vcc, s10, v50
	v_mov_b32_e32 v52, 0x7f800001
	s_and_saveexec_b64 s[10:11], vcc
	s_cbranch_execz .LBB572_261
; %bb.260:
	v_and_b32_e32 v54, 7, v34
	v_ffbh_u32_e32 v52, v54
	v_min_u32_e32 v56, 32, v52
	v_subrev_u32_e32 v52, 28, v56
	v_lshlrev_b64 v[52:53], v52, v[34:35]
	v_lshrrev_b32_e32 v55, 3, v50
	v_sub_u32_e32 v34, 29, v56
	v_and_b32_e32 v52, 7, v52
	v_cmp_gt_u32_e32 vcc, 8, v50
	v_cndmask_b32_e32 v34, v55, v34, vcc
	v_cndmask_b32_e32 v50, v54, v52, vcc
	v_lshlrev_b32_e32 v52, 16, v36
	v_bfrev_b32_e32 v53, 60
	v_lshlrev_b32_e32 v50, 20, v50
	v_and_b32_e32 v52, 0x80000000, v52
	v_lshl_add_u32 v34, v34, 23, v53
	v_or3_b32 v52, v52, v34, v50
.LBB572_261:
	s_or_b64 exec, exec, s[10:11]
.LBB572_262:
	s_or_b64 exec, exec, s[8:9]
.LBB572_263:
	s_or_b64 exec, exec, s[2:3]
	s_movk_i32 s2, 0xff
	v_and_b32_sdwa v50, v36, s2 dst_sel:DWORD dst_unused:UNUSED_PAD src0_sel:WORD_1 src1_sel:DWORD
	v_lshrrev_b32_e32 v34, 16, v36
	v_cmp_ne_u16_e32 vcc, 0, v50
	s_and_saveexec_b64 s[2:3], vcc
	s_cbranch_execz .LBB572_269
; %bb.264:
	s_movk_i32 s8, 0x80
	v_cmp_ne_u16_e32 vcc, s8, v50
	v_bfrev_b32_e32 v35, 1
	s_and_saveexec_b64 s[8:9], vcc
	s_cbranch_execz .LBB572_268
; %bb.265:
	v_bfe_u32 v50, v36, 16, 7
	s_movk_i32 s10, 0x7f
	v_cmp_ne_u32_e32 vcc, s10, v50
	v_mov_b32_e32 v35, 0x7f800001
	s_and_saveexec_b64 s[10:11], vcc
	s_cbranch_execz .LBB572_267
; %bb.266:
	v_and_b32_e32 v53, 7, v34
	v_ffbh_u32_e32 v35, v53
	v_min_u32_e32 v55, 32, v35
	v_subrev_u32_e32 v35, 28, v55
	v_lshlrev_b64 v[34:35], v35, v[34:35]
	v_lshrrev_b32_e32 v54, 3, v50
	v_sub_u32_e32 v35, 29, v55
	v_and_b32_e32 v34, 7, v34
	v_cmp_gt_u32_e32 vcc, 8, v50
	v_mov_b32_e32 v50, 24
	v_cndmask_b32_e32 v35, v54, v35, vcc
	v_cndmask_b32_e32 v34, v53, v34, vcc
	v_lshlrev_b32_sdwa v50, v50, v36 dst_sel:DWORD dst_unused:UNUSED_PAD src0_sel:DWORD src1_sel:WORD_1
	v_bfrev_b32_e32 v53, 60
	v_lshlrev_b32_e32 v34, 20, v34
	v_and_b32_e32 v50, 0x80000000, v50
	v_lshl_add_u32 v35, v35, 23, v53
	v_or3_b32 v35, v50, v35, v34
.LBB572_267:
	s_or_b64 exec, exec, s[10:11]
.LBB572_268:
	s_or_b64 exec, exec, s[8:9]
.LBB572_269:
	s_or_b64 exec, exec, s[2:3]
	s_mov_b32 s2, 0xffffff
	v_cmp_lt_u32_e32 vcc, s2, v36
	v_mov_b32_e32 v53, 0
	v_mov_b32_e32 v54, 0
	s_and_saveexec_b64 s[2:3], vcc
	s_cbranch_execz .LBB572_275
; %bb.270:
	v_lshrrev_b32_e32 v34, 24, v36
	s_movk_i32 s8, 0x80
	v_cmp_ne_u32_e32 vcc, s8, v34
	v_bfrev_b32_e32 v54, 1
	s_and_saveexec_b64 s[8:9], vcc
	s_cbranch_execz .LBB572_274
; %bb.271:
	v_bfe_u32 v36, v36, 24, 7
	s_movk_i32 s10, 0x7f
	v_cmp_ne_u32_e32 vcc, s10, v36
	v_mov_b32_e32 v54, 0x7f800001
	s_and_saveexec_b64 s[10:11], vcc
	s_cbranch_execz .LBB572_273
; %bb.272:
	v_and_b32_e32 v50, 7, v34
	v_ffbh_u32_e32 v54, v50
	v_min_u32_e32 v57, 32, v54
	v_subrev_u32_e32 v54, 28, v57
	v_lshlrev_b64 v[54:55], v54, v[34:35]
	v_lshrrev_b32_e32 v56, 3, v36
	v_sub_u32_e32 v55, 29, v57
	v_and_b32_e32 v54, 7, v54
	v_cmp_gt_u32_e32 vcc, 8, v36
	v_cndmask_b32_e32 v36, v56, v55, vcc
	v_cndmask_b32_e32 v50, v50, v54, vcc
	v_lshlrev_b32_e32 v34, 24, v34
	v_bfrev_b32_e32 v54, 60
	v_lshlrev_b32_e32 v50, 20, v50
	v_and_b32_e32 v34, 0x80000000, v34
	v_lshl_add_u32 v36, v36, 23, v54
	v_or3_b32 v54, v34, v36, v50
.LBB572_273:
	s_or_b64 exec, exec, s[10:11]
.LBB572_274:
	s_or_b64 exec, exec, s[8:9]
.LBB572_275:
	s_or_b64 exec, exec, s[2:3]
	v_cmp_ne_u16_sdwa s[8:9], v37, v53 src0_sel:BYTE_0 src1_sel:DWORD
	s_and_saveexec_b64 s[2:3], s[8:9]
	s_cbranch_execz .LBB572_281
; %bb.276:
	s_movk_i32 s8, 0x80
	v_cmp_ne_u16_sdwa s[10:11], v37, s8 src0_sel:BYTE_0 src1_sel:DWORD
	v_bfrev_b32_e32 v53, 1
	s_and_saveexec_b64 s[8:9], s[10:11]
	s_cbranch_execz .LBB572_280
; %bb.277:
	s_movk_i32 s10, 0x7f
	v_and_b32_e32 v34, 0x7f, v37
	v_cmp_ne_u32_e32 vcc, s10, v34
	v_mov_b32_e32 v53, 0x7f800001
	s_and_saveexec_b64 s[10:11], vcc
	s_cbranch_execz .LBB572_279
; %bb.278:
	v_and_b32_e32 v50, 7, v37
	v_ffbh_u32_e32 v55, v50
	v_min_u32_e32 v55, 32, v55
	v_mov_b32_e32 v36, v37
	v_subrev_u32_e32 v56, 28, v55
	v_lshlrev_b64 v[56:57], v56, v[36:37]
	v_lshrrev_b32_e32 v53, 3, v34
	v_sub_u32_e32 v36, 29, v55
	v_and_b32_e32 v55, 7, v56
	v_cmp_gt_u32_e32 vcc, 8, v34
	v_cndmask_b32_e32 v34, v53, v36, vcc
	v_cndmask_b32_e32 v36, v50, v55, vcc
	v_lshlrev_b32_e32 v50, 24, v37
	v_bfrev_b32_e32 v53, 60
	v_lshlrev_b32_e32 v36, 20, v36
	v_and_b32_e32 v50, 0x80000000, v50
	v_lshl_add_u32 v34, v34, 23, v53
	v_or3_b32 v53, v50, v34, v36
.LBB572_279:
	s_or_b64 exec, exec, s[10:11]
.LBB572_280:
	s_or_b64 exec, exec, s[8:9]
.LBB572_281:
	s_or_b64 exec, exec, s[2:3]
	v_lshrrev_b16_e32 v34, 8, v37
	v_cmp_ne_u16_e32 vcc, 0, v34
	v_mov_b32_e32 v36, 0
	v_mov_b32_e32 v55, 0
	s_and_saveexec_b64 s[2:3], vcc
	s_cbranch_execz .LBB572_287
; %bb.282:
	s_movk_i32 s8, 0x80
	v_cmp_ne_u16_e32 vcc, s8, v34
	v_bfrev_b32_e32 v55, 1
	s_and_saveexec_b64 s[8:9], vcc
	s_cbranch_execz .LBB572_286
; %bb.283:
	s_movk_i32 s10, 0x7f
	v_and_b32_e32 v50, 0x7f, v34
	v_cmp_ne_u32_e32 vcc, s10, v50
	v_mov_b32_e32 v55, 0x7f800001
	s_and_saveexec_b64 s[10:11], vcc
	s_cbranch_execz .LBB572_285
; %bb.284:
	v_and_b32_e32 v55, 7, v34
	v_ffbh_u32_e32 v56, v55
	v_min_u32_e32 v59, 32, v56
	v_subrev_u32_e32 v56, 28, v59
	v_lshlrev_b64 v[56:57], v56, v[34:35]
	v_lshrrev_b32_e32 v58, 3, v50
	v_sub_u32_e32 v34, 29, v59
	v_and_b32_e32 v56, 7, v56
	v_cmp_gt_u32_e32 vcc, 8, v50
	v_cndmask_b32_e32 v34, v58, v34, vcc
	v_cndmask_b32_e32 v50, v55, v56, vcc
	v_lshlrev_b32_e32 v55, 16, v37
	v_bfrev_b32_e32 v56, 60
	v_lshlrev_b32_e32 v50, 20, v50
	v_and_b32_e32 v55, 0x80000000, v55
	v_lshl_add_u32 v34, v34, 23, v56
	v_or3_b32 v55, v55, v34, v50
.LBB572_285:
	s_or_b64 exec, exec, s[10:11]
.LBB572_286:
	s_or_b64 exec, exec, s[8:9]
.LBB572_287:
	s_or_b64 exec, exec, s[2:3]
	s_movk_i32 s2, 0xff
	v_and_b32_sdwa v50, v37, s2 dst_sel:DWORD dst_unused:UNUSED_PAD src0_sel:WORD_1 src1_sel:DWORD
	v_lshrrev_b32_e32 v34, 16, v37
	v_cmp_ne_u16_e32 vcc, 0, v50
	s_and_saveexec_b64 s[2:3], vcc
	s_cbranch_execz .LBB572_293
; %bb.288:
	s_movk_i32 s8, 0x80
	v_cmp_ne_u16_e32 vcc, s8, v50
	v_bfrev_b32_e32 v36, 1
	s_and_saveexec_b64 s[8:9], vcc
	s_cbranch_execz .LBB572_292
; %bb.289:
	v_bfe_u32 v50, v37, 16, 7
	s_movk_i32 s10, 0x7f
	v_cmp_ne_u32_e32 vcc, s10, v50
	v_mov_b32_e32 v36, 0x7f800001
	s_and_saveexec_b64 s[10:11], vcc
	s_cbranch_execz .LBB572_291
; %bb.290:
	v_and_b32_e32 v36, 7, v34
	v_ffbh_u32_e32 v56, v36
	v_min_u32_e32 v59, 32, v56
	v_subrev_u32_e32 v56, 28, v59
	v_lshlrev_b64 v[56:57], v56, v[34:35]
	v_lshrrev_b32_e32 v58, 3, v50
	v_sub_u32_e32 v34, 29, v59
	v_and_b32_e32 v56, 7, v56
	v_cmp_gt_u32_e32 vcc, 8, v50
	v_mov_b32_e32 v50, 24
	v_cndmask_b32_e32 v34, v58, v34, vcc
	v_cndmask_b32_e32 v36, v36, v56, vcc
	v_lshlrev_b32_sdwa v50, v50, v37 dst_sel:DWORD dst_unused:UNUSED_PAD src0_sel:DWORD src1_sel:WORD_1
	v_bfrev_b32_e32 v56, 60
	v_lshlrev_b32_e32 v36, 20, v36
	v_and_b32_e32 v50, 0x80000000, v50
	v_lshl_add_u32 v34, v34, 23, v56
	v_or3_b32 v36, v50, v34, v36
.LBB572_291:
	s_or_b64 exec, exec, s[10:11]
.LBB572_292:
	s_or_b64 exec, exec, s[8:9]
.LBB572_293:
	s_or_b64 exec, exec, s[2:3]
	s_mov_b32 s2, 0xffffff
	v_cmp_lt_u32_e32 vcc, s2, v37
	v_mov_b32_e32 v50, 0
	v_mov_b32_e32 v56, 0
	s_and_saveexec_b64 s[2:3], vcc
	s_cbranch_execz .LBB572_299
; %bb.294:
	v_lshrrev_b32_e32 v34, 24, v37
	s_movk_i32 s8, 0x80
	v_cmp_ne_u32_e32 vcc, s8, v34
	v_bfrev_b32_e32 v56, 1
	s_and_saveexec_b64 s[8:9], vcc
	s_cbranch_execz .LBB572_298
; %bb.295:
	v_bfe_u32 v37, v37, 24, 7
	s_movk_i32 s10, 0x7f
	v_cmp_ne_u32_e32 vcc, s10, v37
	v_mov_b32_e32 v56, 0x7f800001
	s_and_saveexec_b64 s[10:11], vcc
	s_cbranch_execz .LBB572_297
; %bb.296:
	v_and_b32_e32 v58, 7, v34
	v_ffbh_u32_e32 v56, v58
	v_min_u32_e32 v60, 32, v56
	v_subrev_u32_e32 v56, 28, v60
	v_lshlrev_b64 v[56:57], v56, v[34:35]
	v_lshrrev_b32_e32 v59, 3, v37
	v_sub_u32_e32 v57, 29, v60
	v_and_b32_e32 v56, 7, v56
	v_cmp_gt_u32_e32 vcc, 8, v37
	v_cndmask_b32_e32 v37, v59, v57, vcc
	v_cndmask_b32_e32 v56, v58, v56, vcc
	v_lshlrev_b32_e32 v34, 24, v34
	v_bfrev_b32_e32 v57, 60
	v_lshlrev_b32_e32 v56, 20, v56
	v_and_b32_e32 v34, 0x80000000, v34
	v_lshl_add_u32 v37, v37, 23, v57
	v_or3_b32 v56, v34, v37, v56
.LBB572_297:
	s_or_b64 exec, exec, s[10:11]
.LBB572_298:
	s_or_b64 exec, exec, s[8:9]
.LBB572_299:
	s_or_b64 exec, exec, s[2:3]
	v_cvt_pkrtz_f16_f32 v34, v51, v52
	v_cvt_pkrtz_f16_f32 v35, v35, v54
	s_waitcnt vmcnt(4)
	v_cmp_ne_u16_sdwa s[8:9], v22, v50 src0_sel:BYTE_0 src1_sel:DWORD
	v_mfma_f32_16x16x16f16 v[42:45], v[34:35], v[18:19], v[42:45]
	v_cvt_pkrtz_f16_f32 v34, v53, v55
	v_cvt_pkrtz_f16_f32 v35, v36, v56
	s_nop 1
	v_mfma_f32_16x16x16f16 v[34:37], v[34:35], v[20:21], v[42:45]
	s_and_saveexec_b64 s[2:3], s[8:9]
	s_cbranch_execz .LBB572_305
; %bb.300:
	s_movk_i32 s8, 0x80
	v_cmp_ne_u16_sdwa s[10:11], v22, s8 src0_sel:BYTE_0 src1_sel:DWORD
	v_bfrev_b32_e32 v50, 1
	s_and_saveexec_b64 s[8:9], s[10:11]
	s_cbranch_execz .LBB572_304
; %bb.301:
	s_movk_i32 s10, 0x7f
	v_and_b32_e32 v42, 0x7f, v22
	v_cmp_ne_u32_e32 vcc, s10, v42
	v_mov_b32_e32 v50, 0x7f800001
	s_and_saveexec_b64 s[10:11], vcc
	s_cbranch_execz .LBB572_303
; %bb.302:
	v_and_b32_e32 v43, 7, v22
	v_ffbh_u32_e32 v44, v43
	v_min_u32_e32 v51, 32, v44
	v_subrev_u32_e32 v44, 28, v51
	v_lshlrev_b64 v[44:45], v44, v[22:23]
	v_lshrrev_b32_e32 v50, 3, v42
	v_sub_u32_e32 v45, 29, v51
	v_and_b32_e32 v44, 7, v44
	v_cmp_gt_u32_e32 vcc, 8, v42
	v_cndmask_b32_e32 v42, v50, v45, vcc
	v_cndmask_b32_e32 v43, v43, v44, vcc
	v_lshlrev_b32_e32 v44, 24, v22
	v_bfrev_b32_e32 v45, 60
	v_lshlrev_b32_e32 v43, 20, v43
	v_and_b32_e32 v44, 0x80000000, v44
	v_lshl_add_u32 v42, v42, 23, v45
	v_or3_b32 v50, v44, v42, v43
.LBB572_303:
	s_or_b64 exec, exec, s[10:11]
.LBB572_304:
	s_or_b64 exec, exec, s[8:9]
.LBB572_305:
	s_or_b64 exec, exec, s[2:3]
	s_nop 3
	v_lshrrev_b16_e32 v42, 8, v22
	v_cmp_ne_u16_e32 vcc, 0, v42
	v_mov_b32_e32 v43, 0
	v_mov_b32_e32 v44, 0
	s_and_saveexec_b64 s[2:3], vcc
	s_cbranch_execz .LBB572_311
; %bb.306:
	s_movk_i32 s8, 0x80
	v_cmp_ne_u16_e32 vcc, s8, v42
	v_bfrev_b32_e32 v44, 1
	s_and_saveexec_b64 s[8:9], vcc
	s_cbranch_execz .LBB572_310
; %bb.307:
	s_movk_i32 s10, 0x7f
	v_and_b32_e32 v45, 0x7f, v42
	v_cmp_ne_u32_e32 vcc, s10, v45
	v_mov_b32_e32 v44, 0x7f800001
	s_and_saveexec_b64 s[10:11], vcc
	s_cbranch_execz .LBB572_309
; %bb.308:
	v_and_b32_e32 v44, 7, v42
	v_ffbh_u32_e32 v52, v44
	v_min_u32_e32 v54, 32, v52
	v_subrev_u32_e32 v52, 28, v54
	v_lshlrev_b64 v[52:53], v52, v[42:43]
	v_lshrrev_b32_e32 v51, 3, v45
	v_sub_u32_e32 v42, 29, v54
	v_and_b32_e32 v52, 7, v52
	v_cmp_gt_u32_e32 vcc, 8, v45
	v_cndmask_b32_e32 v42, v51, v42, vcc
	v_cndmask_b32_e32 v44, v44, v52, vcc
	v_lshlrev_b32_e32 v45, 16, v22
	v_bfrev_b32_e32 v51, 60
	v_lshlrev_b32_e32 v44, 20, v44
	v_and_b32_e32 v45, 0x80000000, v45
	v_lshl_add_u32 v42, v42, 23, v51
	v_or3_b32 v44, v45, v42, v44
.LBB572_309:
	s_or_b64 exec, exec, s[10:11]
.LBB572_310:
	s_or_b64 exec, exec, s[8:9]
.LBB572_311:
	s_or_b64 exec, exec, s[2:3]
	s_movk_i32 s2, 0xff
	v_and_b32_sdwa v45, v22, s2 dst_sel:DWORD dst_unused:UNUSED_PAD src0_sel:WORD_1 src1_sel:DWORD
	v_lshrrev_b32_e32 v42, 16, v22
	v_cmp_ne_u16_e32 vcc, 0, v45
	s_and_saveexec_b64 s[2:3], vcc
	s_cbranch_execz .LBB572_317
; %bb.312:
	s_movk_i32 s8, 0x80
	v_cmp_ne_u16_e32 vcc, s8, v45
	v_bfrev_b32_e32 v43, 1
	s_and_saveexec_b64 s[8:9], vcc
	s_cbranch_execz .LBB572_316
; %bb.313:
	v_bfe_u32 v45, v22, 16, 7
	s_movk_i32 s10, 0x7f
	v_cmp_ne_u32_e32 vcc, s10, v45
	v_mov_b32_e32 v43, 0x7f800001
	s_and_saveexec_b64 s[10:11], vcc
	s_cbranch_execz .LBB572_315
; %bb.314:
	v_and_b32_e32 v51, 7, v42
	v_ffbh_u32_e32 v43, v51
	v_min_u32_e32 v53, 32, v43
	v_subrev_u32_e32 v43, 28, v53
	v_lshlrev_b64 v[42:43], v43, v[42:43]
	v_lshrrev_b32_e32 v52, 3, v45
	v_sub_u32_e32 v43, 29, v53
	v_and_b32_e32 v42, 7, v42
	v_cmp_gt_u32_e32 vcc, 8, v45
	v_mov_b32_e32 v45, 24
	v_cndmask_b32_e32 v43, v52, v43, vcc
	v_cndmask_b32_e32 v42, v51, v42, vcc
	v_lshlrev_b32_sdwa v45, v45, v22 dst_sel:DWORD dst_unused:UNUSED_PAD src0_sel:DWORD src1_sel:WORD_1
	v_bfrev_b32_e32 v51, 60
	v_lshlrev_b32_e32 v42, 20, v42
	v_and_b32_e32 v45, 0x80000000, v45
	v_lshl_add_u32 v43, v43, 23, v51
	v_or3_b32 v43, v45, v43, v42
.LBB572_315:
	s_or_b64 exec, exec, s[10:11]
.LBB572_316:
	s_or_b64 exec, exec, s[8:9]
.LBB572_317:
	s_or_b64 exec, exec, s[2:3]
	s_mov_b32 s2, 0xffffff
	v_cmp_lt_u32_e32 vcc, s2, v22
	v_mov_b32_e32 v45, 0
	v_mov_b32_e32 v51, 0
	s_and_saveexec_b64 s[2:3], vcc
	s_cbranch_execz .LBB572_323
; %bb.318:
	v_lshrrev_b32_e32 v42, 24, v22
	s_movk_i32 s8, 0x80
	v_cmp_ne_u32_e32 vcc, s8, v42
	v_bfrev_b32_e32 v51, 1
	s_and_saveexec_b64 s[8:9], vcc
	s_cbranch_execz .LBB572_322
; %bb.319:
	v_bfe_u32 v22, v22, 24, 7
	s_movk_i32 s10, 0x7f
	v_cmp_ne_u32_e32 vcc, s10, v22
	v_mov_b32_e32 v51, 0x7f800001
	s_and_saveexec_b64 s[10:11], vcc
	s_cbranch_execz .LBB572_321
; %bb.320:
	v_and_b32_e32 v51, 7, v42
	v_ffbh_u32_e32 v52, v51
	v_min_u32_e32 v55, 32, v52
	v_subrev_u32_e32 v52, 28, v55
	v_lshlrev_b64 v[52:53], v52, v[42:43]
	v_lshrrev_b32_e32 v54, 3, v22
	v_sub_u32_e32 v53, 29, v55
	v_and_b32_e32 v52, 7, v52
	v_cmp_gt_u32_e32 vcc, 8, v22
	v_cndmask_b32_e32 v22, v54, v53, vcc
	v_cndmask_b32_e32 v51, v51, v52, vcc
	v_lshlrev_b32_e32 v42, 24, v42
	v_bfrev_b32_e32 v52, 60
	v_lshlrev_b32_e32 v51, 20, v51
	v_and_b32_e32 v42, 0x80000000, v42
	v_lshl_add_u32 v22, v22, 23, v52
	v_or3_b32 v51, v42, v22, v51
.LBB572_321:
	s_or_b64 exec, exec, s[10:11]
.LBB572_322:
	s_or_b64 exec, exec, s[8:9]
.LBB572_323:
	s_or_b64 exec, exec, s[2:3]
	v_cmp_ne_u16_sdwa s[8:9], v23, v45 src0_sel:BYTE_0 src1_sel:DWORD
	s_and_saveexec_b64 s[2:3], s[8:9]
	s_cbranch_execz .LBB572_329
; %bb.324:
	s_movk_i32 s8, 0x80
	v_cmp_ne_u16_sdwa s[10:11], v23, s8 src0_sel:BYTE_0 src1_sel:DWORD
	v_bfrev_b32_e32 v45, 1
	s_and_saveexec_b64 s[8:9], s[10:11]
	s_cbranch_execz .LBB572_328
; %bb.325:
	s_movk_i32 s10, 0x7f
	v_and_b32_e32 v22, 0x7f, v23
	v_cmp_ne_u32_e32 vcc, s10, v22
	v_mov_b32_e32 v45, 0x7f800001
	s_and_saveexec_b64 s[10:11], vcc
	s_cbranch_execz .LBB572_327
; %bb.326:
	v_and_b32_e32 v45, 7, v23
	v_ffbh_u32_e32 v52, v45
	v_min_u32_e32 v55, 32, v52
	v_mov_b32_e32 v42, v23
	v_subrev_u32_e32 v52, 28, v55
	v_lshlrev_b64 v[52:53], v52, v[42:43]
	v_lshrrev_b32_e32 v54, 3, v22
	v_sub_u32_e32 v42, 29, v55
	v_and_b32_e32 v52, 7, v52
	v_cmp_gt_u32_e32 vcc, 8, v22
	v_cndmask_b32_e32 v22, v54, v42, vcc
	v_cndmask_b32_e32 v42, v45, v52, vcc
	v_lshlrev_b32_e32 v45, 24, v23
	v_bfrev_b32_e32 v52, 60
	v_lshlrev_b32_e32 v42, 20, v42
	v_and_b32_e32 v45, 0x80000000, v45
	v_lshl_add_u32 v22, v22, 23, v52
	v_or3_b32 v45, v45, v22, v42
.LBB572_327:
	s_or_b64 exec, exec, s[10:11]
.LBB572_328:
	s_or_b64 exec, exec, s[8:9]
.LBB572_329:
	s_or_b64 exec, exec, s[2:3]
	v_lshrrev_b16_e32 v22, 8, v23
	v_cmp_ne_u16_e32 vcc, 0, v22
	v_mov_b32_e32 v52, 0
	v_mov_b32_e32 v53, 0
	s_and_saveexec_b64 s[2:3], vcc
	s_cbranch_execz .LBB572_335
; %bb.330:
	s_movk_i32 s8, 0x80
	v_cmp_ne_u16_e32 vcc, s8, v22
	v_bfrev_b32_e32 v53, 1
	s_and_saveexec_b64 s[8:9], vcc
	s_cbranch_execz .LBB572_334
; %bb.331:
	s_movk_i32 s10, 0x7f
	v_and_b32_e32 v42, 0x7f, v22
	v_cmp_ne_u32_e32 vcc, s10, v42
	v_mov_b32_e32 v53, 0x7f800001
	s_and_saveexec_b64 s[10:11], vcc
	s_cbranch_execz .LBB572_333
; %bb.332:
	v_and_b32_e32 v53, 7, v22
	v_ffbh_u32_e32 v54, v53
	v_min_u32_e32 v57, 32, v54
	v_subrev_u32_e32 v54, 28, v57
	v_lshlrev_b64 v[54:55], v54, v[22:23]
	v_lshrrev_b32_e32 v56, 3, v42
	v_sub_u32_e32 v22, 29, v57
	v_and_b32_e32 v54, 7, v54
	v_cmp_gt_u32_e32 vcc, 8, v42
	v_cndmask_b32_e32 v22, v56, v22, vcc
	v_cndmask_b32_e32 v42, v53, v54, vcc
	v_lshlrev_b32_e32 v53, 16, v23
	v_bfrev_b32_e32 v54, 60
	v_lshlrev_b32_e32 v42, 20, v42
	v_and_b32_e32 v53, 0x80000000, v53
	v_lshl_add_u32 v22, v22, 23, v54
	v_or3_b32 v53, v53, v22, v42
.LBB572_333:
	s_or_b64 exec, exec, s[10:11]
.LBB572_334:
	s_or_b64 exec, exec, s[8:9]
.LBB572_335:
	s_or_b64 exec, exec, s[2:3]
	s_movk_i32 s2, 0xff
	v_and_b32_sdwa v42, v23, s2 dst_sel:DWORD dst_unused:UNUSED_PAD src0_sel:WORD_1 src1_sel:DWORD
	v_lshrrev_b32_e32 v22, 16, v23
	v_cmp_ne_u16_e32 vcc, 0, v42
	s_and_saveexec_b64 s[2:3], vcc
	s_cbranch_execz .LBB572_341
; %bb.336:
	s_movk_i32 s8, 0x80
	v_cmp_ne_u16_e32 vcc, s8, v42
	v_bfrev_b32_e32 v52, 1
	s_and_saveexec_b64 s[8:9], vcc
	s_cbranch_execz .LBB572_340
; %bb.337:
	v_bfe_u32 v42, v23, 16, 7
	s_movk_i32 s10, 0x7f
	v_cmp_ne_u32_e32 vcc, s10, v42
	v_mov_b32_e32 v52, 0x7f800001
	s_and_saveexec_b64 s[10:11], vcc
	s_cbranch_execz .LBB572_339
; %bb.338:
	v_and_b32_e32 v52, 7, v22
	v_ffbh_u32_e32 v54, v52
	v_min_u32_e32 v57, 32, v54
	v_subrev_u32_e32 v54, 28, v57
	v_lshlrev_b64 v[54:55], v54, v[22:23]
	v_and_b32_e32 v54, 7, v54
	v_cmp_gt_u32_e32 vcc, 8, v42
	v_lshrrev_b32_e32 v56, 3, v42
	v_sub_u32_e32 v22, 29, v57
	v_cndmask_b32_e32 v42, v52, v54, vcc
	v_mov_b32_e32 v52, 24
	v_cndmask_b32_e32 v22, v56, v22, vcc
	v_lshlrev_b32_sdwa v52, v52, v23 dst_sel:DWORD dst_unused:UNUSED_PAD src0_sel:DWORD src1_sel:WORD_1
	v_bfrev_b32_e32 v54, 60
	v_lshlrev_b32_e32 v42, 20, v42
	v_and_b32_e32 v52, 0x80000000, v52
	v_lshl_add_u32 v22, v22, 23, v54
	v_or3_b32 v52, v52, v22, v42
.LBB572_339:
	s_or_b64 exec, exec, s[10:11]
.LBB572_340:
	s_or_b64 exec, exec, s[8:9]
.LBB572_341:
	s_or_b64 exec, exec, s[2:3]
	s_mov_b32 s2, 0xffffff
	v_cmp_lt_u32_e32 vcc, s2, v23
	v_mov_b32_e32 v42, 0
	v_mov_b32_e32 v54, 0
	s_and_saveexec_b64 s[2:3], vcc
	s_cbranch_execz .LBB572_347
; %bb.342:
	v_lshrrev_b32_e32 v22, 24, v23
	s_movk_i32 s8, 0x80
	v_cmp_ne_u32_e32 vcc, s8, v22
	v_bfrev_b32_e32 v54, 1
	s_and_saveexec_b64 s[8:9], vcc
	s_cbranch_execz .LBB572_346
; %bb.343:
	v_bfe_u32 v23, v23, 24, 7
	s_movk_i32 s10, 0x7f
	v_cmp_ne_u32_e32 vcc, s10, v23
	v_mov_b32_e32 v54, 0x7f800001
	s_and_saveexec_b64 s[10:11], vcc
	s_cbranch_execz .LBB572_345
; %bb.344:
	v_and_b32_e32 v56, 7, v22
	v_ffbh_u32_e32 v54, v56
	v_min_u32_e32 v58, 32, v54
	v_subrev_u32_e32 v54, 28, v58
	v_lshlrev_b64 v[54:55], v54, v[22:23]
	v_lshrrev_b32_e32 v57, 3, v23
	v_sub_u32_e32 v55, 29, v58
	v_and_b32_e32 v54, 7, v54
	v_cmp_gt_u32_e32 vcc, 8, v23
	v_cndmask_b32_e32 v23, v57, v55, vcc
	v_cndmask_b32_e32 v54, v56, v54, vcc
	v_lshlrev_b32_e32 v22, 24, v22
	v_bfrev_b32_e32 v55, 60
	v_lshlrev_b32_e32 v54, 20, v54
	v_and_b32_e32 v22, 0x80000000, v22
	v_lshl_add_u32 v23, v23, 23, v55
	v_or3_b32 v54, v22, v23, v54
.LBB572_345:
	s_or_b64 exec, exec, s[10:11]
.LBB572_346:
	s_or_b64 exec, exec, s[8:9]
.LBB572_347:
	s_or_b64 exec, exec, s[2:3]
	v_cvt_pkrtz_f16_f32 v22, v50, v44
	v_cvt_pkrtz_f16_f32 v23, v43, v51
	v_cmp_ne_u16_sdwa s[8:9], v24, v42 src0_sel:BYTE_0 src1_sel:DWORD
	s_nop 0
	v_mfma_f32_16x16x16f16 v[56:59], v[22:23], v[26:27], 0
	v_cvt_pkrtz_f16_f32 v22, v45, v53
	v_cvt_pkrtz_f16_f32 v23, v52, v54
	s_nop 1
	v_mfma_f32_16x16x16f16 v[26:29], v[22:23], v[28:29], v[56:59]
	s_and_saveexec_b64 s[2:3], s[8:9]
	s_cbranch_execz .LBB572_353
; %bb.348:
	s_movk_i32 s8, 0x80
	v_cmp_ne_u16_sdwa s[10:11], v24, s8 src0_sel:BYTE_0 src1_sel:DWORD
	v_bfrev_b32_e32 v42, 1
	s_and_saveexec_b64 s[8:9], s[10:11]
	s_cbranch_execz .LBB572_352
; %bb.349:
	s_movk_i32 s10, 0x7f
	v_and_b32_e32 v22, 0x7f, v24
	v_cmp_ne_u32_e32 vcc, s10, v22
	v_mov_b32_e32 v42, 0x7f800001
	s_and_saveexec_b64 s[10:11], vcc
	s_cbranch_execz .LBB572_351
; %bb.350:
	v_and_b32_e32 v23, 7, v24
	v_ffbh_u32_e32 v42, v23
	v_min_u32_e32 v45, 32, v42
	v_subrev_u32_e32 v42, 28, v45
	v_lshlrev_b64 v[42:43], v42, v[24:25]
	v_lshrrev_b32_e32 v44, 3, v22
	v_sub_u32_e32 v43, 29, v45
	v_and_b32_e32 v42, 7, v42
	v_cmp_gt_u32_e32 vcc, 8, v22
	v_cndmask_b32_e32 v22, v44, v43, vcc
	v_cndmask_b32_e32 v23, v23, v42, vcc
	v_lshlrev_b32_e32 v42, 24, v24
	v_bfrev_b32_e32 v43, 60
	v_lshlrev_b32_e32 v23, 20, v23
	v_and_b32_e32 v42, 0x80000000, v42
	v_lshl_add_u32 v22, v22, 23, v43
	v_or3_b32 v42, v42, v22, v23
.LBB572_351:
	s_or_b64 exec, exec, s[10:11]
.LBB572_352:
	s_or_b64 exec, exec, s[8:9]
.LBB572_353:
	s_or_b64 exec, exec, s[2:3]
	v_lshrrev_b16_e32 v22, 8, v24
	v_cmp_ne_u16_e32 vcc, 0, v22
	v_mov_b32_e32 v23, 0
	v_mov_b32_e32 v43, 0
	s_and_saveexec_b64 s[2:3], vcc
	s_cbranch_execz .LBB572_359
; %bb.354:
	s_movk_i32 s8, 0x80
	v_cmp_ne_u16_e32 vcc, s8, v22
	v_bfrev_b32_e32 v43, 1
	s_and_saveexec_b64 s[8:9], vcc
	s_cbranch_execz .LBB572_358
; %bb.355:
	s_movk_i32 s10, 0x7f
	v_and_b32_e32 v44, 0x7f, v22
	v_cmp_ne_u32_e32 vcc, s10, v44
	v_mov_b32_e32 v43, 0x7f800001
	s_and_saveexec_b64 s[10:11], vcc
	s_cbranch_execz .LBB572_357
; %bb.356:
	v_and_b32_e32 v43, 7, v22
	v_ffbh_u32_e32 v50, v43
	v_min_u32_e32 v52, 32, v50
	v_subrev_u32_e32 v50, 28, v52
	v_lshlrev_b64 v[50:51], v50, v[22:23]
	v_lshrrev_b32_e32 v45, 3, v44
	v_sub_u32_e32 v22, 29, v52
	v_and_b32_e32 v50, 7, v50
	v_cmp_gt_u32_e32 vcc, 8, v44
	v_cndmask_b32_e32 v22, v45, v22, vcc
	v_cndmask_b32_e32 v43, v43, v50, vcc
	v_lshlrev_b32_e32 v44, 16, v24
	v_bfrev_b32_e32 v45, 60
	v_lshlrev_b32_e32 v43, 20, v43
	v_and_b32_e32 v44, 0x80000000, v44
	v_lshl_add_u32 v22, v22, 23, v45
	v_or3_b32 v43, v44, v22, v43
.LBB572_357:
	s_or_b64 exec, exec, s[10:11]
.LBB572_358:
	s_or_b64 exec, exec, s[8:9]
.LBB572_359:
	s_or_b64 exec, exec, s[2:3]
	s_movk_i32 s2, 0xff
	v_and_b32_sdwa v44, v24, s2 dst_sel:DWORD dst_unused:UNUSED_PAD src0_sel:WORD_1 src1_sel:DWORD
	v_lshrrev_b32_e32 v22, 16, v24
	v_cmp_ne_u16_e32 vcc, 0, v44
	s_and_saveexec_b64 s[2:3], vcc
	s_cbranch_execz .LBB572_365
; %bb.360:
	s_movk_i32 s8, 0x80
	v_cmp_ne_u16_e32 vcc, s8, v44
	v_bfrev_b32_e32 v23, 1
	s_and_saveexec_b64 s[8:9], vcc
	s_cbranch_execz .LBB572_364
; %bb.361:
	v_bfe_u32 v44, v24, 16, 7
	s_movk_i32 s10, 0x7f
	v_cmp_ne_u32_e32 vcc, s10, v44
	v_mov_b32_e32 v23, 0x7f800001
	s_and_saveexec_b64 s[10:11], vcc
	s_cbranch_execz .LBB572_363
; %bb.362:
	v_and_b32_e32 v45, 7, v22
	v_ffbh_u32_e32 v23, v45
	v_min_u32_e32 v51, 32, v23
	v_subrev_u32_e32 v23, 28, v51
	v_lshlrev_b64 v[22:23], v23, v[22:23]
	v_lshrrev_b32_e32 v50, 3, v44
	v_sub_u32_e32 v23, 29, v51
	v_and_b32_e32 v22, 7, v22
	v_cmp_gt_u32_e32 vcc, 8, v44
	v_mov_b32_e32 v44, 24
	v_cndmask_b32_e32 v23, v50, v23, vcc
	v_cndmask_b32_e32 v22, v45, v22, vcc
	v_lshlrev_b32_sdwa v44, v44, v24 dst_sel:DWORD dst_unused:UNUSED_PAD src0_sel:DWORD src1_sel:WORD_1
	v_bfrev_b32_e32 v45, 60
	v_lshlrev_b32_e32 v22, 20, v22
	v_and_b32_e32 v44, 0x80000000, v44
	v_lshl_add_u32 v23, v23, 23, v45
	v_or3_b32 v23, v44, v23, v22
.LBB572_363:
	s_or_b64 exec, exec, s[10:11]
.LBB572_364:
	s_or_b64 exec, exec, s[8:9]
.LBB572_365:
	s_or_b64 exec, exec, s[2:3]
	s_mov_b32 s2, 0xffffff
	v_cmp_lt_u32_e32 vcc, s2, v24
	v_mov_b32_e32 v44, 0
	v_mov_b32_e32 v45, 0
	s_and_saveexec_b64 s[2:3], vcc
	s_cbranch_execz .LBB572_371
; %bb.366:
	v_lshrrev_b32_e32 v22, 24, v24
	s_movk_i32 s8, 0x80
	v_cmp_ne_u32_e32 vcc, s8, v22
	v_bfrev_b32_e32 v45, 1
	s_and_saveexec_b64 s[8:9], vcc
	s_cbranch_execz .LBB572_370
; %bb.367:
	v_bfe_u32 v24, v24, 24, 7
	s_movk_i32 s10, 0x7f
	v_cmp_ne_u32_e32 vcc, s10, v24
	v_mov_b32_e32 v45, 0x7f800001
	s_and_saveexec_b64 s[10:11], vcc
	s_cbranch_execz .LBB572_369
; %bb.368:
	v_and_b32_e32 v45, 7, v22
	v_ffbh_u32_e32 v50, v45
	v_min_u32_e32 v53, 32, v50
	v_subrev_u32_e32 v50, 28, v53
	v_lshlrev_b64 v[50:51], v50, v[22:23]
	v_lshrrev_b32_e32 v52, 3, v24
	v_sub_u32_e32 v51, 29, v53
	v_and_b32_e32 v50, 7, v50
	v_cmp_gt_u32_e32 vcc, 8, v24
	v_cndmask_b32_e32 v24, v52, v51, vcc
	v_cndmask_b32_e32 v45, v45, v50, vcc
	v_lshlrev_b32_e32 v22, 24, v22
	v_bfrev_b32_e32 v50, 60
	v_lshlrev_b32_e32 v45, 20, v45
	v_and_b32_e32 v22, 0x80000000, v22
	v_lshl_add_u32 v24, v24, 23, v50
	v_or3_b32 v45, v22, v24, v45
.LBB572_369:
	s_or_b64 exec, exec, s[10:11]
.LBB572_370:
	s_or_b64 exec, exec, s[8:9]
.LBB572_371:
	s_or_b64 exec, exec, s[2:3]
	v_cmp_ne_u16_sdwa s[8:9], v25, v44 src0_sel:BYTE_0 src1_sel:DWORD
	s_and_saveexec_b64 s[2:3], s[8:9]
	s_cbranch_execz .LBB572_377
; %bb.372:
	s_movk_i32 s8, 0x80
	v_cmp_ne_u16_sdwa s[10:11], v25, s8 src0_sel:BYTE_0 src1_sel:DWORD
	v_bfrev_b32_e32 v44, 1
	s_and_saveexec_b64 s[8:9], s[10:11]
	s_cbranch_execz .LBB572_376
; %bb.373:
	s_movk_i32 s10, 0x7f
	v_and_b32_e32 v22, 0x7f, v25
	v_cmp_ne_u32_e32 vcc, s10, v22
	v_mov_b32_e32 v44, 0x7f800001
	s_and_saveexec_b64 s[10:11], vcc
	s_cbranch_execz .LBB572_375
; %bb.374:
	v_and_b32_e32 v44, 7, v25
	v_ffbh_u32_e32 v50, v44
	v_min_u32_e32 v53, 32, v50
	v_mov_b32_e32 v24, v25
	v_subrev_u32_e32 v50, 28, v53
	v_lshlrev_b64 v[50:51], v50, v[24:25]
	v_lshrrev_b32_e32 v52, 3, v22
	v_sub_u32_e32 v24, 29, v53
	v_and_b32_e32 v50, 7, v50
	v_cmp_gt_u32_e32 vcc, 8, v22
	v_cndmask_b32_e32 v22, v52, v24, vcc
	v_cndmask_b32_e32 v24, v44, v50, vcc
	v_lshlrev_b32_e32 v44, 24, v25
	v_bfrev_b32_e32 v50, 60
	v_lshlrev_b32_e32 v24, 20, v24
	v_and_b32_e32 v44, 0x80000000, v44
	v_lshl_add_u32 v22, v22, 23, v50
	v_or3_b32 v44, v44, v22, v24
.LBB572_375:
	s_or_b64 exec, exec, s[10:11]
.LBB572_376:
	s_or_b64 exec, exec, s[8:9]
.LBB572_377:
	s_or_b64 exec, exec, s[2:3]
	v_lshrrev_b16_e32 v22, 8, v25
	v_cmp_ne_u16_e32 vcc, 0, v22
	v_mov_b32_e32 v24, 0
	v_mov_b32_e32 v51, 0
	s_and_saveexec_b64 s[2:3], vcc
	s_cbranch_execz .LBB572_383
; %bb.378:
	s_movk_i32 s8, 0x80
	v_cmp_ne_u16_e32 vcc, s8, v22
	v_bfrev_b32_e32 v51, 1
	s_and_saveexec_b64 s[8:9], vcc
	s_cbranch_execz .LBB572_382
; %bb.379:
	s_movk_i32 s10, 0x7f
	v_and_b32_e32 v50, 0x7f, v22
	v_cmp_ne_u32_e32 vcc, s10, v50
	v_mov_b32_e32 v51, 0x7f800001
	s_and_saveexec_b64 s[10:11], vcc
	s_cbranch_execz .LBB572_381
; %bb.380:
	v_and_b32_e32 v51, 7, v22
	v_ffbh_u32_e32 v52, v51
	v_min_u32_e32 v55, 32, v52
	v_subrev_u32_e32 v52, 28, v55
	v_lshlrev_b64 v[52:53], v52, v[22:23]
	v_lshrrev_b32_e32 v54, 3, v50
	v_sub_u32_e32 v22, 29, v55
	v_and_b32_e32 v52, 7, v52
	v_cmp_gt_u32_e32 vcc, 8, v50
	v_cndmask_b32_e32 v22, v54, v22, vcc
	v_cndmask_b32_e32 v50, v51, v52, vcc
	v_lshlrev_b32_e32 v51, 16, v25
	v_bfrev_b32_e32 v52, 60
	v_lshlrev_b32_e32 v50, 20, v50
	v_and_b32_e32 v51, 0x80000000, v51
	v_lshl_add_u32 v22, v22, 23, v52
	v_or3_b32 v51, v51, v22, v50
.LBB572_381:
	s_or_b64 exec, exec, s[10:11]
.LBB572_382:
	s_or_b64 exec, exec, s[8:9]
.LBB572_383:
	s_or_b64 exec, exec, s[2:3]
	s_movk_i32 s2, 0xff
	v_and_b32_sdwa v50, v25, s2 dst_sel:DWORD dst_unused:UNUSED_PAD src0_sel:WORD_1 src1_sel:DWORD
	v_lshrrev_b32_e32 v22, 16, v25
	v_cmp_ne_u16_e32 vcc, 0, v50
	s_and_saveexec_b64 s[2:3], vcc
	s_cbranch_execz .LBB572_389
; %bb.384:
	s_movk_i32 s8, 0x80
	v_cmp_ne_u16_e32 vcc, s8, v50
	v_bfrev_b32_e32 v24, 1
	s_and_saveexec_b64 s[8:9], vcc
	s_cbranch_execz .LBB572_388
; %bb.385:
	v_bfe_u32 v50, v25, 16, 7
	s_movk_i32 s10, 0x7f
	v_cmp_ne_u32_e32 vcc, s10, v50
	v_mov_b32_e32 v24, 0x7f800001
	s_and_saveexec_b64 s[10:11], vcc
	s_cbranch_execz .LBB572_387
; %bb.386:
	v_and_b32_e32 v24, 7, v22
	v_ffbh_u32_e32 v52, v24
	v_min_u32_e32 v55, 32, v52
	v_subrev_u32_e32 v52, 28, v55
	v_lshlrev_b64 v[52:53], v52, v[22:23]
	v_lshrrev_b32_e32 v54, 3, v50
	v_sub_u32_e32 v22, 29, v55
	v_and_b32_e32 v52, 7, v52
	v_cmp_gt_u32_e32 vcc, 8, v50
	v_mov_b32_e32 v50, 24
	v_cndmask_b32_e32 v22, v54, v22, vcc
	v_cndmask_b32_e32 v24, v24, v52, vcc
	v_lshlrev_b32_sdwa v50, v50, v25 dst_sel:DWORD dst_unused:UNUSED_PAD src0_sel:DWORD src1_sel:WORD_1
	v_bfrev_b32_e32 v52, 60
	v_lshlrev_b32_e32 v24, 20, v24
	v_and_b32_e32 v50, 0x80000000, v50
	v_lshl_add_u32 v22, v22, 23, v52
	v_or3_b32 v24, v50, v22, v24
.LBB572_387:
	s_or_b64 exec, exec, s[10:11]
.LBB572_388:
	s_or_b64 exec, exec, s[8:9]
.LBB572_389:
	s_or_b64 exec, exec, s[2:3]
	s_mov_b32 s2, 0xffffff
	v_and_b32_e32 v50, 63, v0
	v_cmp_lt_u32_e32 vcc, s2, v25
	v_mov_b32_e32 v52, 0
	s_and_saveexec_b64 s[2:3], vcc
	s_cbranch_execz .LBB572_395
; %bb.390:
	v_lshrrev_b32_e32 v22, 24, v25
	s_movk_i32 s8, 0x80
	v_cmp_ne_u32_e32 vcc, s8, v22
	v_bfrev_b32_e32 v52, 1
	s_and_saveexec_b64 s[8:9], vcc
	s_cbranch_execz .LBB572_394
; %bb.391:
	v_bfe_u32 v25, v25, 24, 7
	s_movk_i32 s10, 0x7f
	v_cmp_ne_u32_e32 vcc, s10, v25
	v_mov_b32_e32 v52, 0x7f800001
	s_and_saveexec_b64 s[10:11], vcc
	s_cbranch_execz .LBB572_393
; %bb.392:
	v_and_b32_e32 v54, 7, v22
	v_ffbh_u32_e32 v52, v54
	v_min_u32_e32 v56, 32, v52
	v_subrev_u32_e32 v52, 28, v56
	v_lshlrev_b64 v[52:53], v52, v[22:23]
	v_lshrrev_b32_e32 v55, 3, v25
	v_sub_u32_e32 v53, 29, v56
	v_and_b32_e32 v52, 7, v52
	v_cmp_gt_u32_e32 vcc, 8, v25
	v_cndmask_b32_e32 v25, v55, v53, vcc
	v_cndmask_b32_e32 v52, v54, v52, vcc
	v_lshlrev_b32_e32 v22, 24, v22
	v_bfrev_b32_e32 v53, 60
	v_lshlrev_b32_e32 v52, 20, v52
	v_and_b32_e32 v22, 0x80000000, v22
	v_lshl_add_u32 v25, v25, 23, v53
	v_or3_b32 v52, v22, v25, v52
.LBB572_393:
	s_or_b64 exec, exec, s[10:11]
.LBB572_394:
	s_or_b64 exec, exec, s[8:9]
.LBB572_395:
	s_or_b64 exec, exec, s[2:3]
	v_cvt_pkrtz_f16_f32 v42, v42, v43
	v_cvt_pkrtz_f16_f32 v43, v23, v45
	s_load_dword s2, s[4:5], 0x1c
	s_mov_b32 s46, 0xff7fffff
	s_waitcnt lgkmcnt(0)
	v_mfma_f32_16x16x16f16 v[26:29], v[42:43], v[18:19], v[26:29]
	v_cvt_pkrtz_f16_f32 v18, v44, v51
	v_cvt_pkrtz_f16_f32 v19, v24, v52
	v_and_b32_e32 v24, 0xc0, v0
	v_mov_b32_e32 v22, s2
	v_add_u32_e32 v24, s20, v24
	v_mul_f32_e32 v54, s12, v22
	v_lshl_or_b32 v42, v1, 2, v24
	v_mfma_f32_16x16x16f16 v[18:21], v[18:19], v[20:21], v[26:29]
	v_pk_mul_f32 v[22:23], v[54:55], v[36:37] op_sel_hi:[0,1]
	v_pk_mul_f32 v[36:37], v[54:55], v[40:41] op_sel_hi:[0,1]
	;; [unrolled: 1-line block ×4, first 2 shown]
	v_mov_b32_e32 v43, 0xff7fffff
	v_cmp_gt_i32_e64 s[26:27], s33, v42
	v_pk_mul_f32 v[38:39], v[54:55], v[38:39] op_sel_hi:[0,1]
	s_nop 3
	v_pk_mul_f32 v[32:33], v[54:55], v[18:19] op_sel_hi:[0,1]
	v_or_b32_e32 v19, 1, v42
	v_cmp_gt_i32_e64 s[28:29], s33, v19
	v_cndmask_b32_e64 v18, v43, v30, s[26:27]
	v_cndmask_b32_e64 v19, v43, v31, s[28:29]
	v_pk_mul_f32 v[24:25], v[54:55], v[20:21] op_sel_hi:[0,1]
	v_max3_f32 v18, v18, s46, v19
	v_or_b32_e32 v19, 2, v42
	v_or_b32_e32 v20, 3, v42
	v_cmp_gt_i32_e64 s[30:31], s33, v19
	v_cmp_gt_i32_e64 s[34:35], s33, v20
	v_cndmask_b32_e64 v19, v43, v40, s[30:31]
	v_cndmask_b32_e64 v20, v43, v41, s[34:35]
	v_max3_f32 v18, v18, v19, v20
	v_or_b32_e32 v19, 16, v42
	v_or_b32_e32 v20, 17, v42
	v_cmp_gt_i32_e64 s[36:37], s33, v19
	v_cmp_gt_i32_e64 s[38:39], s33, v20
	v_cndmask_b32_e64 v19, v43, v38, s[36:37]
	v_cndmask_b32_e64 v20, v43, v39, s[38:39]
	;; [unrolled: 7-line block ×3, first 2 shown]
	v_max3_f32 v18, v18, v19, v20
	v_or_b32_e32 v19, 32, v42
	v_or_b32_e32 v20, 33, v42
	v_pk_mul_f32 v[34:35], v[54:55], v[34:35] op_sel_hi:[0,1]
	v_cmp_gt_i32_e64 s[16:17], s33, v19
	v_cmp_gt_i32_e64 s[18:19], s33, v20
	v_cndmask_b32_e64 v19, v43, v34, s[16:17]
	v_cndmask_b32_e64 v20, v43, v35, s[18:19]
	v_max3_f32 v18, v18, v19, v20
	v_or_b32_e32 v19, 34, v42
	v_or_b32_e32 v20, 35, v42
	v_cmp_gt_i32_e64 s[12:13], s33, v19
	v_cmp_gt_i32_e64 s[14:15], s33, v20
	v_cndmask_b32_e64 v19, v43, v22, s[12:13]
	v_cndmask_b32_e64 v20, v43, v23, s[14:15]
	v_max3_f32 v18, v18, v19, v20
	v_or_b32_e32 v19, 48, v42
	v_or_b32_e32 v20, 49, v42
	;; [unrolled: 7-line block ×3, first 2 shown]
	v_cmp_gt_i32_e32 vcc, s33, v19
	v_cmp_gt_i32_e64 s[2:3], s33, v20
	v_cndmask_b32_e32 v19, v43, v24, vcc
	v_cndmask_b32_e64 v20, v43, v25, s[2:3]
	v_max3_f32 v18, v18, v19, v20
	v_mbcnt_lo_u32_b32 v19, -1, 0
	v_mbcnt_hi_u32_b32 v19, -1, v19
	v_and_b32_e32 v20, 64, v19
	v_add_u32_e32 v20, 64, v20
	v_xor_b32_e32 v21, 32, v19
	v_cmp_lt_i32_e64 s[40:41], v21, v20
	v_cndmask_b32_e64 v21, v19, v21, s[40:41]
	v_lshlrev_b32_e32 v43, 2, v21
	ds_bpermute_b32 v21, v43, v18
	s_barrier
	s_waitcnt lgkmcnt(0)
	v_max_f32_e32 v21, v21, v21
	v_max_f32_e32 v18, v18, v21
	v_xor_b32_e32 v21, 16, v19
	v_cmp_lt_i32_e64 s[40:41], v21, v20
	v_cndmask_b32_e64 v19, v19, v21, s[40:41]
	v_lshlrev_b32_e32 v44, 2, v19
	ds_bpermute_b32 v19, v44, v18
	s_waitcnt lgkmcnt(0)
	v_max_f32_e32 v19, v19, v19
	v_max_f32_e32 v42, v18, v19
	v_sub_f32_e32 v21, v40, v42
	v_sub_f32_e32 v26, v41, v42
	v_mul_f32_e32 v21, 0x3fb8aa3b, v21
	v_mul_f32_e32 v26, 0x3fb8aa3b, v26
	v_sub_f32_e32 v18, v30, v42
	v_exp_f32_e32 v21, v21
	v_exp_f32_e32 v26, v26
	v_mul_f32_e32 v18, 0x3fb8aa3b, v18
	v_sub_f32_e32 v19, v31, v42
	v_exp_f32_e32 v18, v18
	v_mul_f32_e32 v19, 0x3fb8aa3b, v19
	v_exp_f32_e32 v19, v19
	v_cndmask_b32_e64 v28, 0, v21, s[30:31]
	v_cndmask_b32_e64 v29, 0, v26, s[34:35]
	v_sub_f32_e32 v21, v38, v42
	v_sub_f32_e32 v26, v39, v42
	v_mul_f32_e32 v21, 0x3fb8aa3b, v21
	v_mul_f32_e32 v26, 0x3fb8aa3b, v26
	v_cndmask_b32_e64 v18, 0, v18, s[26:27]
	v_exp_f32_e32 v21, v21
	v_exp_f32_e32 v26, v26
	v_add_f32_e32 v20, 0, v18
	v_cndmask_b32_e64 v19, 0, v19, s[28:29]
	v_add_f32_e32 v20, v20, v19
	v_add_f32_e32 v20, v20, v28
	;; [unrolled: 1-line block ×3, first 2 shown]
	v_cndmask_b32_e64 v20, 0, v21, s[36:37]
	v_cndmask_b32_e64 v21, 0, v26, s[38:39]
	v_sub_f32_e32 v26, v36, v42
	v_mul_f32_e32 v26, 0x3fb8aa3b, v26
	v_exp_f32_e32 v26, v26
	v_sub_f32_e32 v30, v37, v42
	v_add_f32_e32 v27, v27, v20
	v_mul_f32_e32 v30, 0x3fb8aa3b, v30
	v_exp_f32_e32 v31, v30
	v_add_f32_e32 v27, v27, v21
	v_cndmask_b32_e64 v30, 0, v26, s[20:21]
	v_add_f32_e32 v26, v27, v30
	v_sub_f32_e32 v27, v34, v42
	v_mul_f32_e32 v27, 0x3fb8aa3b, v27
	v_sub_f32_e32 v34, v35, v42
	v_exp_f32_e32 v27, v27
	v_mul_f32_e32 v34, 0x3fb8aa3b, v34
	v_sub_f32_e32 v22, v22, v42
	v_exp_f32_e32 v34, v34
	;; [unrolled: 3-line block ×3, first 2 shown]
	v_mul_f32_e32 v23, 0x3fb8aa3b, v23
	v_cndmask_b32_e64 v31, 0, v31, s[22:23]
	v_exp_f32_e32 v23, v23
	v_add_f32_e32 v35, v26, v31
	v_cndmask_b32_e64 v26, 0, v27, s[16:17]
	v_add_f32_e32 v35, v35, v26
	v_cndmask_b32_e64 v27, 0, v34, s[18:19]
	;; [unrolled: 2-line block ×4, first 2 shown]
	v_sub_f32_e32 v23, v32, v42
	v_mul_f32_e32 v23, 0x3fb8aa3b, v23
	v_sub_f32_e32 v32, v33, v42
	v_exp_f32_e32 v23, v23
	v_mul_f32_e32 v32, 0x3fb8aa3b, v32
	v_sub_f32_e32 v24, v24, v42
	v_exp_f32_e32 v32, v32
	;; [unrolled: 3-line block ×3, first 2 shown]
	v_mul_f32_e32 v25, 0x3fb8aa3b, v25
	v_exp_f32_e32 v25, v25
	v_add_f32_e32 v33, v22, v35
	v_cndmask_b32_e64 v22, 0, v23, s[8:9]
	v_add_f32_e32 v33, v33, v22
	v_cndmask_b32_e64 v23, 0, v32, s[10:11]
	v_add_f32_e32 v32, v33, v23
	v_cndmask_b32_e32 v24, 0, v24, vcc
	v_add_f32_e32 v32, v32, v24
	v_cndmask_b32_e64 v25, 0, v25, s[2:3]
	v_add_f32_e32 v32, v32, v25
	ds_bpermute_b32 v33, v43, v32
	v_cmp_gt_u32_e32 vcc, 16, v50
	s_waitcnt lgkmcnt(0)
	v_add_f32_e32 v33, v32, v33
	ds_bpermute_b32 v36, v44, v33
	v_lshlrev_b32_e32 v32, 2, v48
	s_and_saveexec_b64 s[2:3], vcc
	s_cbranch_execz .LBB572_397
; %bb.396:
	s_waitcnt lgkmcnt(0)
	v_add_f32_e32 v33, v33, v36
	v_lshl_or_b32 v36, v49, 6, v32
	ds_write2st64_b32 v36, v42, v33 offset1:1
.LBB572_397:
	s_or_b64 exec, exec, s[2:3]
	s_waitcnt lgkmcnt(0)
	s_barrier
	ds_read2_b32 v[36:37], v32 offset1:16
	ds_read2_b32 v[38:39], v32 offset0:32 offset1:48
	ds_read2_b32 v[40:41], v32 offset0:64 offset1:80
	ds_read2_b32 v[42:43], v32 offset0:96 offset1:112
	s_waitcnt lgkmcnt(0)
	v_max3_f32 v33, v36, s46, v37
	v_max3_f32 v33, v33, v38, v39
	v_sub_f32_e32 v36, v36, v33
	v_mul_f32_e32 v36, 0x3fb8aa3b, v36
	v_exp_f32_e32 v44, v36
	v_sub_f32_e32 v36, v37, v33
	v_mul_f32_e32 v36, 0x3fb8aa3b, v36
	v_exp_f32_e32 v37, v36
	v_sub_f32_e32 v36, v38, v33
	v_mul_f32_e32 v36, 0x3fb8aa3b, v36
	v_sub_f32_e32 v32, v39, v33
	v_exp_f32_e32 v38, v36
	v_mul_f32_e32 v32, 0x3fb8aa3b, v32
	v_exp_f32_e32 v39, v32
	v_fma_f32 v36, v44, v40, 0
	v_fmac_f32_e32 v36, v37, v41
	v_fmac_f32_e32 v36, v38, v42
	;; [unrolled: 1-line block ×3, first 2 shown]
	v_add_f32_e32 v40, 0x358637bd, v36
	v_div_scale_f32 v41, s[2:3], v40, v40, 1.0
	v_rcp_f32_e32 v42, v41
	s_barrier
	s_mul_i32 s12, s45, 15
	v_fma_f32 v43, -v41, v42, 1.0
	v_fmac_f32_e32 v42, v43, v42
	v_div_scale_f32 v43, vcc, 1.0, v40, 1.0
	v_mul_f32_e32 v45, v43, v42
	v_fma_f32 v50, -v41, v45, v43
	v_fmac_f32_e32 v45, v50, v42
	v_fma_f32 v41, -v41, v45, v43
	v_div_fmas_f32 v41, v41, v42, v45
	v_cmp_eq_u32_e32 vcc, 1, v49
	v_cndmask_b32_e32 v37, v44, v37, vcc
	v_cmp_eq_u32_e32 vcc, 2, v49
	v_cndmask_b32_e32 v37, v37, v38, vcc
	v_cmp_eq_u32_e32 vcc, 3, v49
	v_div_fixup_f32 v40, v41, v40, 1.0
	v_cndmask_b32_e32 v37, v37, v39, vcc
	v_mul_f32_e32 v38, v37, v40
	v_pk_mul_f32 v[28:29], v[38:39], v[28:29] op_sel_hi:[0,1]
	v_cvt_f16_f32_e32 v28, v28
	v_cvt_f16_f32_e32 v29, v29
	v_pk_mul_f32 v[18:19], v[38:39], v[18:19] op_sel_hi:[0,1]
	v_cvt_f16_f32_e32 v18, v18
	v_cvt_f16_f32_e32 v19, v19
	v_pack_b32_f16 v41, v28, v29
	v_pk_mul_f32 v[28:29], v[38:39], v[30:31] op_sel_hi:[0,1]
	v_pk_mul_f32 v[20:21], v[38:39], v[20:21] op_sel_hi:[0,1]
	v_cvt_f16_f32_e32 v20, v20
	v_cvt_f16_f32_e32 v21, v21
	;; [unrolled: 1-line block ×4, first 2 shown]
	v_pack_b32_f16 v40, v18, v19
	v_lshlrev_b32_e32 v18, 3, v1
	v_lshlrev_b32_e32 v19, 5, v48
	;; [unrolled: 1-line block ×3, first 2 shown]
	v_or3_b32 v28, v28, v19, v18
	v_pack_b32_f16 v20, v20, v21
	v_pack_b32_f16 v21, v30, v29
	ds_write2st64_b64 v28, v[40:41], v[20:21] offset1:1
	v_pk_mul_f32 v[20:21], v[38:39], v[34:35] op_sel_hi:[0,1]
	v_pk_mul_f32 v[26:27], v[38:39], v[26:27] op_sel_hi:[0,1]
	v_cvt_f16_f32_e32 v18, v26
	v_cvt_f16_f32_e32 v26, v27
	;; [unrolled: 1-line block ×4, first 2 shown]
	v_pk_mul_f32 v[20:21], v[38:39], v[24:25] op_sel_hi:[0,1]
	v_pk_mul_f32 v[22:23], v[38:39], v[22:23] op_sel_hi:[0,1]
	v_cvt_f16_f32_e32 v22, v22
	v_cvt_f16_f32_e32 v23, v23
	;; [unrolled: 1-line block ×4, first 2 shown]
	v_mov_b32_e32 v32, 0
	v_pack_b32_f16 v20, v18, v26
	v_pack_b32_f16 v21, v27, v29
	;; [unrolled: 1-line block ×4, first 2 shown]
	v_cmp_gt_u32_e32 vcc, 15, v0
	ds_write2st64_b64 v28, v[20:21], v[22:23] offset0:2 offset1:3
	s_and_saveexec_b64 s[2:3], vcc
	s_cbranch_execz .LBB572_399
; %bb.398:
	v_add_co_u32_e32 v22, vcc, s25, v48
	v_addc_co_u32_e64 v23, s[14:15], 0, 0, vcc
	v_mov_b32_e32 v18, s12
	v_mov_b32_e32 v21, 0
	v_mad_u64_u32 v[22:23], s[14:15], s6, v18, v[22:23]
	v_mov_b32_e32 v20, s24
	s_load_dwordx4 s[8:11], s[4:5], 0x58
	s_mul_i32 s7, s7, s12
	v_mad_u64_u32 v[20:21], s[14:15], v22, s44, v[20:21]
	v_add_u32_e32 v23, s7, v23
	v_mov_b32_e32 v18, v21
	v_mad_u64_u32 v[22:23], s[14:15], v23, s44, v[18:19]
	v_mov_b32_e32 v21, v22
	v_lshlrev_b64 v[20:21], 2, v[20:21]
	s_waitcnt lgkmcnt(0)
	v_mov_b32_e32 v18, s11
	v_add_co_u32_e32 v22, vcc, s10, v20
	v_addc_co_u32_e32 v23, vcc, v18, v21, vcc
	v_mov_b32_e32 v18, s9
	v_add_co_u32_e32 v20, vcc, s8, v20
	v_addc_co_u32_e32 v21, vcc, v18, v21, vcc
	global_store_dword v[22:23], v33, off
	global_store_dword v[20:21], v36, off
.LBB572_399:
	s_or_b64 exec, exec, s[2:3]
	v_mov_b32_e32 v20, 0
	s_waitcnt vmcnt(3)
	v_cmp_ne_u16_sdwa s[8:9], v14, v20 src0_sel:BYTE_0 src1_sel:DWORD
	s_waitcnt lgkmcnt(0)
	s_barrier
	s_and_saveexec_b64 s[2:3], s[8:9]
	s_cbranch_execz .LBB572_405
; %bb.400:
	s_movk_i32 s7, 0x80
	v_cmp_ne_u16_sdwa s[10:11], v14, s7 src0_sel:BYTE_0 src1_sel:DWORD
	v_bfrev_b32_e32 v32, 1
	s_and_saveexec_b64 s[8:9], s[10:11]
	s_cbranch_execz .LBB572_404
; %bb.401:
	s_movk_i32 s7, 0x7f
	v_and_b32_e32 v18, 0x7f, v14
	v_cmp_ne_u32_e32 vcc, s7, v18
	v_mov_b32_e32 v32, 0x7f800001
	s_and_saveexec_b64 s[10:11], vcc
	s_cbranch_execz .LBB572_403
; %bb.402:
	v_and_b32_e32 v21, 7, v14
	v_ffbh_u32_e32 v22, v21
	v_min_u32_e32 v25, 32, v22
	v_subrev_u32_e32 v22, 28, v25
	v_lshlrev_b64 v[22:23], v22, v[14:15]
	v_lshrrev_b32_e32 v24, 3, v18
	v_sub_u32_e32 v23, 29, v25
	v_and_b32_e32 v22, 7, v22
	v_cmp_gt_u32_e32 vcc, 8, v18
	v_cndmask_b32_e32 v18, v24, v23, vcc
	v_cndmask_b32_e32 v21, v21, v22, vcc
	v_lshlrev_b32_e32 v22, 24, v14
	v_bfrev_b32_e32 v23, 60
	v_lshlrev_b32_e32 v21, 20, v21
	v_and_b32_e32 v22, 0x80000000, v22
	v_lshl_add_u32 v18, v18, 23, v23
	v_or3_b32 v32, v22, v18, v21
.LBB572_403:
	s_or_b64 exec, exec, s[10:11]
.LBB572_404:
	s_or_b64 exec, exec, s[8:9]
.LBB572_405:
	s_or_b64 exec, exec, s[2:3]
	v_lshrrev_b16_e32 v18, 8, v14
	v_cmp_ne_u16_e32 vcc, 0, v18
	v_mov_b32_e32 v21, 0
	s_and_saveexec_b64 s[2:3], vcc
	s_cbranch_execz .LBB572_411
; %bb.406:
	s_movk_i32 s7, 0x80
	v_cmp_ne_u16_e32 vcc, s7, v18
	v_bfrev_b32_e32 v21, 1
	s_and_saveexec_b64 s[8:9], vcc
	s_cbranch_execz .LBB572_410
; %bb.407:
	s_movk_i32 s7, 0x7f
	v_and_b32_e32 v22, 0x7f, v18
	v_cmp_ne_u32_e32 vcc, s7, v22
	v_mov_b32_e32 v21, 0x7f800001
	s_and_saveexec_b64 s[10:11], vcc
	s_cbranch_execz .LBB572_409
; %bb.408:
	v_and_b32_e32 v21, 7, v18
	v_ffbh_u32_e32 v24, v21
	v_min_u32_e32 v26, 32, v24
	v_subrev_u32_e32 v24, 28, v26
	v_lshlrev_b64 v[24:25], v24, v[18:19]
	v_lshrrev_b32_e32 v23, 3, v22
	v_sub_u32_e32 v18, 29, v26
	v_and_b32_e32 v24, 7, v24
	v_cmp_gt_u32_e32 vcc, 8, v22
	v_cndmask_b32_e32 v18, v23, v18, vcc
	v_cndmask_b32_e32 v21, v21, v24, vcc
	v_lshlrev_b32_e32 v22, 16, v14
	v_bfrev_b32_e32 v23, 60
	v_lshlrev_b32_e32 v21, 20, v21
	v_and_b32_e32 v22, 0x80000000, v22
	v_lshl_add_u32 v18, v18, 23, v23
	v_or3_b32 v21, v22, v18, v21
.LBB572_409:
	s_or_b64 exec, exec, s[10:11]
.LBB572_410:
	s_or_b64 exec, exec, s[8:9]
.LBB572_411:
	s_or_b64 exec, exec, s[2:3]
	s_movk_i32 s2, 0xff
	v_and_b32_sdwa v22, v14, s2 dst_sel:DWORD dst_unused:UNUSED_PAD src0_sel:WORD_1 src1_sel:DWORD
	v_lshrrev_b32_e32 v18, 16, v14
	v_cmp_ne_u16_e32 vcc, 0, v22
	s_and_saveexec_b64 s[2:3], vcc
	s_cbranch_execz .LBB572_417
; %bb.412:
	s_movk_i32 s7, 0x80
	v_cmp_ne_u16_e32 vcc, s7, v22
	v_bfrev_b32_e32 v20, 1
	s_and_saveexec_b64 s[8:9], vcc
	s_cbranch_execz .LBB572_416
; %bb.413:
	v_bfe_u32 v22, v14, 16, 7
	s_movk_i32 s7, 0x7f
	v_cmp_ne_u32_e32 vcc, s7, v22
	v_mov_b32_e32 v20, 0x7f800001
	s_and_saveexec_b64 s[10:11], vcc
	s_cbranch_execz .LBB572_415
; %bb.414:
	v_and_b32_e32 v20, 7, v18
	v_ffbh_u32_e32 v24, v20
	v_min_u32_e32 v26, 32, v24
	v_subrev_u32_e32 v24, 28, v26
	v_lshlrev_b64 v[24:25], v24, v[18:19]
	v_lshrrev_b32_e32 v23, 3, v22
	v_sub_u32_e32 v18, 29, v26
	v_and_b32_e32 v24, 7, v24
	v_cmp_gt_u32_e32 vcc, 8, v22
	v_mov_b32_e32 v22, 24
	v_cndmask_b32_e32 v18, v23, v18, vcc
	v_cndmask_b32_e32 v20, v20, v24, vcc
	v_lshlrev_b32_sdwa v22, v22, v14 dst_sel:DWORD dst_unused:UNUSED_PAD src0_sel:DWORD src1_sel:WORD_1
	v_bfrev_b32_e32 v23, 60
	v_lshlrev_b32_e32 v20, 20, v20
	v_and_b32_e32 v22, 0x80000000, v22
	v_lshl_add_u32 v18, v18, 23, v23
	v_or3_b32 v20, v22, v18, v20
.LBB572_415:
	s_or_b64 exec, exec, s[10:11]
.LBB572_416:
	s_or_b64 exec, exec, s[8:9]
.LBB572_417:
	s_or_b64 exec, exec, s[2:3]
	s_mov_b32 s2, 0xffffff
	v_cmp_lt_u32_e32 vcc, s2, v14
	v_mov_b32_e32 v24, 0
	v_mov_b32_e32 v22, 0
	s_and_saveexec_b64 s[2:3], vcc
	s_cbranch_execz .LBB572_423
; %bb.418:
	v_lshrrev_b32_e32 v18, 24, v14
	s_movk_i32 s7, 0x80
	v_cmp_ne_u32_e32 vcc, s7, v18
	v_bfrev_b32_e32 v22, 1
	s_and_saveexec_b64 s[8:9], vcc
	s_cbranch_execz .LBB572_422
; %bb.419:
	v_bfe_u32 v14, v14, 24, 7
	s_movk_i32 s7, 0x7f
	v_cmp_ne_u32_e32 vcc, s7, v14
	v_mov_b32_e32 v22, 0x7f800001
	s_and_saveexec_b64 s[10:11], vcc
	s_cbranch_execz .LBB572_421
; %bb.420:
	v_and_b32_e32 v25, 7, v18
	v_ffbh_u32_e32 v22, v25
	v_min_u32_e32 v27, 32, v22
	v_subrev_u32_e32 v22, 28, v27
	v_lshlrev_b64 v[22:23], v22, v[18:19]
	v_lshrrev_b32_e32 v26, 3, v14
	v_sub_u32_e32 v23, 29, v27
	v_and_b32_e32 v22, 7, v22
	v_cmp_gt_u32_e32 vcc, 8, v14
	v_cndmask_b32_e32 v14, v26, v23, vcc
	v_cndmask_b32_e32 v22, v25, v22, vcc
	v_lshlrev_b32_e32 v18, 24, v18
	v_bfrev_b32_e32 v23, 60
	v_lshlrev_b32_e32 v22, 20, v22
	v_and_b32_e32 v18, 0x80000000, v18
	v_lshl_add_u32 v14, v14, 23, v23
	v_or3_b32 v22, v18, v14, v22
.LBB572_421:
	s_or_b64 exec, exec, s[10:11]
.LBB572_422:
	s_or_b64 exec, exec, s[8:9]
.LBB572_423:
	s_or_b64 exec, exec, s[2:3]
	v_cmp_ne_u16_sdwa s[8:9], v15, v24 src0_sel:BYTE_0 src1_sel:DWORD
	s_and_saveexec_b64 s[2:3], s[8:9]
	s_cbranch_execz .LBB572_429
; %bb.424:
	s_movk_i32 s7, 0x80
	v_cmp_ne_u16_sdwa s[10:11], v15, s7 src0_sel:BYTE_0 src1_sel:DWORD
	v_bfrev_b32_e32 v24, 1
	s_and_saveexec_b64 s[8:9], s[10:11]
	s_cbranch_execz .LBB572_428
; %bb.425:
	s_movk_i32 s7, 0x7f
	v_and_b32_e32 v14, 0x7f, v15
	v_cmp_ne_u32_e32 vcc, s7, v14
	v_mov_b32_e32 v24, 0x7f800001
	s_and_saveexec_b64 s[10:11], vcc
	s_cbranch_execz .LBB572_427
; %bb.426:
	v_and_b32_e32 v23, 7, v15
	v_ffbh_u32_e32 v24, v23
	v_min_u32_e32 v27, 32, v24
	v_mov_b32_e32 v18, v15
	v_subrev_u32_e32 v24, 28, v27
	v_lshlrev_b64 v[24:25], v24, v[18:19]
	v_lshrrev_b32_e32 v26, 3, v14
	v_sub_u32_e32 v18, 29, v27
	v_and_b32_e32 v24, 7, v24
	v_cmp_gt_u32_e32 vcc, 8, v14
	v_cndmask_b32_e32 v14, v26, v18, vcc
	v_cndmask_b32_e32 v18, v23, v24, vcc
	v_lshlrev_b32_e32 v23, 24, v15
	v_bfrev_b32_e32 v24, 60
	v_lshlrev_b32_e32 v18, 20, v18
	v_and_b32_e32 v23, 0x80000000, v23
	v_lshl_add_u32 v14, v14, 23, v24
	v_or3_b32 v24, v23, v14, v18
.LBB572_427:
	s_or_b64 exec, exec, s[10:11]
.LBB572_428:
	s_or_b64 exec, exec, s[8:9]
.LBB572_429:
	s_or_b64 exec, exec, s[2:3]
	v_lshrrev_b16_e32 v14, 8, v15
	v_cmp_ne_u16_e32 vcc, 0, v14
	v_mov_b32_e32 v18, 0
	v_mov_b32_e32 v25, 0
	s_and_saveexec_b64 s[2:3], vcc
	s_cbranch_execz .LBB572_435
; %bb.430:
	s_movk_i32 s7, 0x80
	v_cmp_ne_u16_e32 vcc, s7, v14
	v_bfrev_b32_e32 v25, 1
	s_and_saveexec_b64 s[8:9], vcc
	s_cbranch_execz .LBB572_434
; %bb.431:
	s_movk_i32 s7, 0x7f
	v_and_b32_e32 v23, 0x7f, v14
	v_cmp_ne_u32_e32 vcc, s7, v23
	v_mov_b32_e32 v25, 0x7f800001
	s_and_saveexec_b64 s[10:11], vcc
	s_cbranch_execz .LBB572_433
; %bb.432:
	v_and_b32_e32 v25, 7, v14
	v_ffbh_u32_e32 v26, v25
	v_min_u32_e32 v30, 32, v26
	v_subrev_u32_e32 v26, 28, v30
	v_lshlrev_b64 v[26:27], v26, v[14:15]
	v_lshrrev_b32_e32 v29, 3, v23
	v_sub_u32_e32 v14, 29, v30
	v_and_b32_e32 v26, 7, v26
	v_cmp_gt_u32_e32 vcc, 8, v23
	v_cndmask_b32_e32 v14, v29, v14, vcc
	v_cndmask_b32_e32 v23, v25, v26, vcc
	v_lshlrev_b32_e32 v25, 16, v15
	v_bfrev_b32_e32 v26, 60
	v_lshlrev_b32_e32 v23, 20, v23
	v_and_b32_e32 v25, 0x80000000, v25
	v_lshl_add_u32 v14, v14, 23, v26
	v_or3_b32 v25, v25, v14, v23
.LBB572_433:
	s_or_b64 exec, exec, s[10:11]
.LBB572_434:
	s_or_b64 exec, exec, s[8:9]
.LBB572_435:
	s_or_b64 exec, exec, s[2:3]
	s_movk_i32 s2, 0xff
	v_and_b32_sdwa v23, v15, s2 dst_sel:DWORD dst_unused:UNUSED_PAD src0_sel:WORD_1 src1_sel:DWORD
	v_lshrrev_b32_e32 v14, 16, v15
	v_cmp_ne_u16_e32 vcc, 0, v23
	s_and_saveexec_b64 s[2:3], vcc
	s_cbranch_execz .LBB572_441
; %bb.436:
	s_movk_i32 s7, 0x80
	v_cmp_ne_u16_e32 vcc, s7, v23
	v_bfrev_b32_e32 v18, 1
	s_and_saveexec_b64 s[8:9], vcc
	s_cbranch_execz .LBB572_440
; %bb.437:
	v_bfe_u32 v23, v15, 16, 7
	s_movk_i32 s7, 0x7f
	v_cmp_ne_u32_e32 vcc, s7, v23
	v_mov_b32_e32 v18, 0x7f800001
	s_and_saveexec_b64 s[10:11], vcc
	s_cbranch_execz .LBB572_439
; %bb.438:
	v_and_b32_e32 v18, 7, v14
	v_ffbh_u32_e32 v26, v18
	v_min_u32_e32 v30, 32, v26
	v_subrev_u32_e32 v26, 28, v30
	v_lshlrev_b64 v[26:27], v26, v[14:15]
	v_lshrrev_b32_e32 v29, 3, v23
	v_sub_u32_e32 v14, 29, v30
	v_and_b32_e32 v26, 7, v26
	v_cmp_gt_u32_e32 vcc, 8, v23
	v_mov_b32_e32 v23, 24
	v_cndmask_b32_e32 v14, v29, v14, vcc
	v_cndmask_b32_e32 v18, v18, v26, vcc
	v_lshlrev_b32_sdwa v23, v23, v15 dst_sel:DWORD dst_unused:UNUSED_PAD src0_sel:DWORD src1_sel:WORD_1
	v_bfrev_b32_e32 v26, 60
	v_lshlrev_b32_e32 v18, 20, v18
	v_and_b32_e32 v23, 0x80000000, v23
	v_lshl_add_u32 v14, v14, 23, v26
	v_or3_b32 v18, v23, v14, v18
.LBB572_439:
	s_or_b64 exec, exec, s[10:11]
.LBB572_440:
	s_or_b64 exec, exec, s[8:9]
.LBB572_441:
	s_or_b64 exec, exec, s[2:3]
	s_mov_b32 s2, 0xffffff
	v_cmp_lt_u32_e32 vcc, s2, v15
	v_mov_b32_e32 v23, 0
	v_mov_b32_e32 v26, 0
	s_and_saveexec_b64 s[2:3], vcc
	s_cbranch_execz .LBB572_447
; %bb.442:
	v_lshrrev_b32_e32 v14, 24, v15
	s_movk_i32 s7, 0x80
	v_cmp_ne_u32_e32 vcc, s7, v14
	v_bfrev_b32_e32 v26, 1
	s_and_saveexec_b64 s[8:9], vcc
	s_cbranch_execz .LBB572_446
; %bb.443:
	v_bfe_u32 v15, v15, 24, 7
	s_movk_i32 s7, 0x7f
	v_cmp_ne_u32_e32 vcc, s7, v15
	v_mov_b32_e32 v26, 0x7f800001
	s_and_saveexec_b64 s[10:11], vcc
	s_cbranch_execz .LBB572_445
; %bb.444:
	v_and_b32_e32 v29, 7, v14
	v_ffbh_u32_e32 v26, v29
	v_min_u32_e32 v31, 32, v26
	v_subrev_u32_e32 v26, 28, v31
	v_lshlrev_b64 v[26:27], v26, v[14:15]
	v_lshrrev_b32_e32 v30, 3, v15
	v_sub_u32_e32 v27, 29, v31
	v_and_b32_e32 v26, 7, v26
	v_cmp_gt_u32_e32 vcc, 8, v15
	v_cndmask_b32_e32 v15, v30, v27, vcc
	v_cndmask_b32_e32 v26, v29, v26, vcc
	v_lshlrev_b32_e32 v14, 24, v14
	v_bfrev_b32_e32 v27, 60
	v_lshlrev_b32_e32 v26, 20, v26
	v_and_b32_e32 v14, 0x80000000, v14
	v_lshl_add_u32 v15, v15, 23, v27
	v_or3_b32 v26, v14, v15, v26
.LBB572_445:
	s_or_b64 exec, exec, s[10:11]
.LBB572_446:
	s_or_b64 exec, exec, s[8:9]
.LBB572_447:
	s_or_b64 exec, exec, s[2:3]
	v_cvt_pkrtz_f16_f32 v15, v20, v22
	v_lshl_or_b32 v22, v1, 9, v19
	v_cvt_pkrtz_f16_f32 v14, v32, v21
	ds_read_b128 v[30:33], v22
	v_cmp_ne_u16_sdwa s[8:9], v16, v23 src0_sel:BYTE_0 src1_sel:DWORD
	s_waitcnt lgkmcnt(0)
	v_mfma_f32_16x16x16f16 v[34:37], v[14:15], v[30:31], 0
	v_cvt_pkrtz_f16_f32 v14, v24, v25
	v_cvt_pkrtz_f16_f32 v15, v18, v26
	s_nop 1
	v_mfma_f32_16x16x16f16 v[18:21], v[14:15], v[32:33], v[34:37]
	s_and_saveexec_b64 s[2:3], s[8:9]
	s_cbranch_execz .LBB572_453
; %bb.448:
	s_movk_i32 s7, 0x80
	v_cmp_ne_u16_sdwa s[10:11], v16, s7 src0_sel:BYTE_0 src1_sel:DWORD
	v_bfrev_b32_e32 v23, 1
	s_and_saveexec_b64 s[8:9], s[10:11]
	s_cbranch_execz .LBB572_452
; %bb.449:
	s_movk_i32 s7, 0x7f
	v_and_b32_e32 v14, 0x7f, v16
	v_cmp_ne_u32_e32 vcc, s7, v14
	v_mov_b32_e32 v23, 0x7f800001
	s_and_saveexec_b64 s[10:11], vcc
	s_cbranch_execz .LBB572_451
; %bb.450:
	v_and_b32_e32 v15, 7, v16
	v_ffbh_u32_e32 v24, v15
	v_min_u32_e32 v26, 32, v24
	v_subrev_u32_e32 v24, 28, v26
	v_lshlrev_b64 v[24:25], v24, v[16:17]
	v_lshrrev_b32_e32 v23, 3, v14
	v_sub_u32_e32 v25, 29, v26
	v_and_b32_e32 v24, 7, v24
	v_cmp_gt_u32_e32 vcc, 8, v14
	v_cndmask_b32_e32 v14, v23, v25, vcc
	v_cndmask_b32_e32 v15, v15, v24, vcc
	v_lshlrev_b32_e32 v23, 24, v16
	v_bfrev_b32_e32 v24, 60
	v_lshlrev_b32_e32 v15, 20, v15
	v_and_b32_e32 v23, 0x80000000, v23
	v_lshl_add_u32 v14, v14, 23, v24
	v_or3_b32 v23, v23, v14, v15
.LBB572_451:
	s_or_b64 exec, exec, s[10:11]
.LBB572_452:
	s_or_b64 exec, exec, s[8:9]
.LBB572_453:
	s_or_b64 exec, exec, s[2:3]
	v_lshrrev_b16_e32 v14, 8, v16
	v_cmp_ne_u16_e32 vcc, 0, v14
	v_mov_b32_e32 v15, 0
	v_mov_b32_e32 v25, 0
	s_and_saveexec_b64 s[2:3], vcc
	s_cbranch_execz .LBB572_459
; %bb.454:
	s_movk_i32 s7, 0x80
	v_cmp_ne_u16_e32 vcc, s7, v14
	v_bfrev_b32_e32 v25, 1
	s_and_saveexec_b64 s[8:9], vcc
	s_cbranch_execz .LBB572_458
; %bb.455:
	s_movk_i32 s7, 0x7f
	v_and_b32_e32 v24, 0x7f, v14
	v_cmp_ne_u32_e32 vcc, s7, v24
	v_mov_b32_e32 v25, 0x7f800001
	s_and_saveexec_b64 s[10:11], vcc
	s_cbranch_execz .LBB572_457
; %bb.456:
	v_and_b32_e32 v25, 7, v14
	v_ffbh_u32_e32 v26, v25
	v_min_u32_e32 v30, 32, v26
	v_subrev_u32_e32 v26, 28, v30
	v_lshlrev_b64 v[26:27], v26, v[14:15]
	v_lshrrev_b32_e32 v29, 3, v24
	v_sub_u32_e32 v14, 29, v30
	v_and_b32_e32 v26, 7, v26
	v_cmp_gt_u32_e32 vcc, 8, v24
	v_cndmask_b32_e32 v14, v29, v14, vcc
	v_cndmask_b32_e32 v24, v25, v26, vcc
	v_lshlrev_b32_e32 v25, 16, v16
	v_bfrev_b32_e32 v26, 60
	v_lshlrev_b32_e32 v24, 20, v24
	v_and_b32_e32 v25, 0x80000000, v25
	v_lshl_add_u32 v14, v14, 23, v26
	v_or3_b32 v25, v25, v14, v24
.LBB572_457:
	s_or_b64 exec, exec, s[10:11]
.LBB572_458:
	s_or_b64 exec, exec, s[8:9]
.LBB572_459:
	s_or_b64 exec, exec, s[2:3]
	s_movk_i32 s2, 0xff
	v_and_b32_sdwa v24, v16, s2 dst_sel:DWORD dst_unused:UNUSED_PAD src0_sel:WORD_1 src1_sel:DWORD
	v_lshrrev_b32_e32 v14, 16, v16
	v_cmp_ne_u16_e32 vcc, 0, v24
	s_and_saveexec_b64 s[2:3], vcc
	s_cbranch_execz .LBB572_465
; %bb.460:
	s_movk_i32 s7, 0x80
	v_cmp_ne_u16_e32 vcc, s7, v24
	v_bfrev_b32_e32 v15, 1
	s_and_saveexec_b64 s[8:9], vcc
	s_cbranch_execz .LBB572_464
; %bb.461:
	v_bfe_u32 v24, v16, 16, 7
	s_movk_i32 s7, 0x7f
	v_cmp_ne_u32_e32 vcc, s7, v24
	v_mov_b32_e32 v15, 0x7f800001
	s_and_saveexec_b64 s[10:11], vcc
	s_cbranch_execz .LBB572_463
; %bb.462:
	v_and_b32_e32 v26, 7, v14
	v_ffbh_u32_e32 v15, v26
	v_min_u32_e32 v29, 32, v15
	v_subrev_u32_e32 v15, 28, v29
	v_lshlrev_b64 v[14:15], v15, v[14:15]
	v_lshrrev_b32_e32 v27, 3, v24
	v_sub_u32_e32 v15, 29, v29
	v_and_b32_e32 v14, 7, v14
	v_cmp_gt_u32_e32 vcc, 8, v24
	v_mov_b32_e32 v24, 24
	v_cndmask_b32_e32 v15, v27, v15, vcc
	v_cndmask_b32_e32 v14, v26, v14, vcc
	v_lshlrev_b32_sdwa v24, v24, v16 dst_sel:DWORD dst_unused:UNUSED_PAD src0_sel:DWORD src1_sel:WORD_1
	v_bfrev_b32_e32 v26, 60
	v_lshlrev_b32_e32 v14, 20, v14
	v_and_b32_e32 v24, 0x80000000, v24
	v_lshl_add_u32 v15, v15, 23, v26
	v_or3_b32 v15, v24, v15, v14
.LBB572_463:
	s_or_b64 exec, exec, s[10:11]
.LBB572_464:
	s_or_b64 exec, exec, s[8:9]
.LBB572_465:
	s_or_b64 exec, exec, s[2:3]
	s_mov_b32 s2, 0xffffff
	v_cmp_lt_u32_e32 vcc, s2, v16
	v_mov_b32_e32 v26, 0
	v_mov_b32_e32 v27, 0
	s_and_saveexec_b64 s[2:3], vcc
	s_cbranch_execz .LBB572_471
; %bb.466:
	v_lshrrev_b32_e32 v14, 24, v16
	s_movk_i32 s7, 0x80
	v_cmp_ne_u32_e32 vcc, s7, v14
	v_bfrev_b32_e32 v27, 1
	s_and_saveexec_b64 s[8:9], vcc
	s_cbranch_execz .LBB572_470
; %bb.467:
	v_bfe_u32 v16, v16, 24, 7
	s_movk_i32 s7, 0x7f
	v_cmp_ne_u32_e32 vcc, s7, v16
	v_mov_b32_e32 v27, 0x7f800001
	s_and_saveexec_b64 s[10:11], vcc
	s_cbranch_execz .LBB572_469
; %bb.468:
	v_and_b32_e32 v24, 7, v14
	v_ffbh_u32_e32 v29, v24
	v_min_u32_e32 v29, 32, v29
	v_subrev_u32_e32 v30, 28, v29
	v_lshlrev_b64 v[30:31], v30, v[14:15]
	v_lshrrev_b32_e32 v27, 3, v16
	v_sub_u32_e32 v29, 29, v29
	v_and_b32_e32 v30, 7, v30
	v_cmp_gt_u32_e32 vcc, 8, v16
	v_cndmask_b32_e32 v16, v27, v29, vcc
	v_cndmask_b32_e32 v24, v24, v30, vcc
	v_lshlrev_b32_e32 v14, 24, v14
	v_bfrev_b32_e32 v27, 60
	v_lshlrev_b32_e32 v24, 20, v24
	v_and_b32_e32 v14, 0x80000000, v14
	v_lshl_add_u32 v16, v16, 23, v27
	v_or3_b32 v27, v14, v16, v24
.LBB572_469:
	s_or_b64 exec, exec, s[10:11]
.LBB572_470:
	s_or_b64 exec, exec, s[8:9]
.LBB572_471:
	s_or_b64 exec, exec, s[2:3]
	v_cmp_ne_u16_sdwa s[8:9], v17, v26 src0_sel:BYTE_0 src1_sel:DWORD
	s_and_saveexec_b64 s[2:3], s[8:9]
	s_cbranch_execz .LBB572_477
; %bb.472:
	s_movk_i32 s7, 0x80
	v_cmp_ne_u16_sdwa s[10:11], v17, s7 src0_sel:BYTE_0 src1_sel:DWORD
	v_bfrev_b32_e32 v26, 1
	s_and_saveexec_b64 s[8:9], s[10:11]
	s_cbranch_execz .LBB572_476
; %bb.473:
	s_movk_i32 s7, 0x7f
	v_and_b32_e32 v14, 0x7f, v17
	v_cmp_ne_u32_e32 vcc, s7, v14
	v_mov_b32_e32 v26, 0x7f800001
	s_and_saveexec_b64 s[10:11], vcc
	s_cbranch_execz .LBB572_475
; %bb.474:
	v_and_b32_e32 v24, 7, v17
	v_ffbh_u32_e32 v29, v24
	v_min_u32_e32 v29, 32, v29
	v_mov_b32_e32 v16, v17
	v_subrev_u32_e32 v30, 28, v29
	v_lshlrev_b64 v[30:31], v30, v[16:17]
	v_lshrrev_b32_e32 v26, 3, v14
	v_sub_u32_e32 v16, 29, v29
	v_and_b32_e32 v29, 7, v30
	v_cmp_gt_u32_e32 vcc, 8, v14
	v_cndmask_b32_e32 v14, v26, v16, vcc
	v_cndmask_b32_e32 v16, v24, v29, vcc
	v_lshlrev_b32_e32 v24, 24, v17
	v_bfrev_b32_e32 v26, 60
	v_lshlrev_b32_e32 v16, 20, v16
	v_and_b32_e32 v24, 0x80000000, v24
	v_lshl_add_u32 v14, v14, 23, v26
	v_or3_b32 v26, v24, v14, v16
.LBB572_475:
	s_or_b64 exec, exec, s[10:11]
.LBB572_476:
	s_or_b64 exec, exec, s[8:9]
.LBB572_477:
	s_or_b64 exec, exec, s[2:3]
	v_lshrrev_b16_e32 v14, 8, v17
	v_cmp_ne_u16_e32 vcc, 0, v14
	v_mov_b32_e32 v16, 0
	v_mov_b32_e32 v29, 0
	s_and_saveexec_b64 s[2:3], vcc
	s_cbranch_execz .LBB572_483
; %bb.478:
	s_movk_i32 s7, 0x80
	v_cmp_ne_u16_e32 vcc, s7, v14
	v_bfrev_b32_e32 v29, 1
	s_and_saveexec_b64 s[8:9], vcc
	s_cbranch_execz .LBB572_482
; %bb.479:
	s_movk_i32 s7, 0x7f
	v_and_b32_e32 v24, 0x7f, v14
	v_cmp_ne_u32_e32 vcc, s7, v24
	v_mov_b32_e32 v29, 0x7f800001
	s_and_saveexec_b64 s[10:11], vcc
	s_cbranch_execz .LBB572_481
; %bb.480:
	v_and_b32_e32 v29, 7, v14
	v_ffbh_u32_e32 v30, v29
	v_min_u32_e32 v33, 32, v30
	v_subrev_u32_e32 v30, 28, v33
	v_lshlrev_b64 v[30:31], v30, v[14:15]
	v_lshrrev_b32_e32 v32, 3, v24
	v_sub_u32_e32 v14, 29, v33
	v_and_b32_e32 v30, 7, v30
	v_cmp_gt_u32_e32 vcc, 8, v24
	v_cndmask_b32_e32 v14, v32, v14, vcc
	v_cndmask_b32_e32 v24, v29, v30, vcc
	v_lshlrev_b32_e32 v29, 16, v17
	v_bfrev_b32_e32 v30, 60
	v_lshlrev_b32_e32 v24, 20, v24
	v_and_b32_e32 v29, 0x80000000, v29
	v_lshl_add_u32 v14, v14, 23, v30
	v_or3_b32 v29, v29, v14, v24
.LBB572_481:
	s_or_b64 exec, exec, s[10:11]
.LBB572_482:
	s_or_b64 exec, exec, s[8:9]
.LBB572_483:
	s_or_b64 exec, exec, s[2:3]
	s_movk_i32 s2, 0xff
	v_and_b32_sdwa v24, v17, s2 dst_sel:DWORD dst_unused:UNUSED_PAD src0_sel:WORD_1 src1_sel:DWORD
	v_lshrrev_b32_e32 v14, 16, v17
	v_cmp_ne_u16_e32 vcc, 0, v24
	s_and_saveexec_b64 s[2:3], vcc
	s_cbranch_execz .LBB572_489
; %bb.484:
	s_movk_i32 s7, 0x80
	v_cmp_ne_u16_e32 vcc, s7, v24
	v_bfrev_b32_e32 v16, 1
	s_and_saveexec_b64 s[8:9], vcc
	s_cbranch_execz .LBB572_488
; %bb.485:
	v_bfe_u32 v24, v17, 16, 7
	s_movk_i32 s7, 0x7f
	v_cmp_ne_u32_e32 vcc, s7, v24
	v_mov_b32_e32 v16, 0x7f800001
	s_and_saveexec_b64 s[10:11], vcc
	s_cbranch_execz .LBB572_487
; %bb.486:
	v_and_b32_e32 v16, 7, v14
	v_ffbh_u32_e32 v30, v16
	v_min_u32_e32 v33, 32, v30
	v_subrev_u32_e32 v30, 28, v33
	v_lshlrev_b64 v[30:31], v30, v[14:15]
	v_lshrrev_b32_e32 v32, 3, v24
	v_sub_u32_e32 v14, 29, v33
	v_and_b32_e32 v30, 7, v30
	v_cmp_gt_u32_e32 vcc, 8, v24
	v_mov_b32_e32 v24, 24
	v_cndmask_b32_e32 v14, v32, v14, vcc
	v_cndmask_b32_e32 v16, v16, v30, vcc
	v_lshlrev_b32_sdwa v24, v24, v17 dst_sel:DWORD dst_unused:UNUSED_PAD src0_sel:DWORD src1_sel:WORD_1
	v_bfrev_b32_e32 v30, 60
	v_lshlrev_b32_e32 v16, 20, v16
	v_and_b32_e32 v24, 0x80000000, v24
	v_lshl_add_u32 v14, v14, 23, v30
	v_or3_b32 v16, v24, v14, v16
.LBB572_487:
	s_or_b64 exec, exec, s[10:11]
.LBB572_488:
	s_or_b64 exec, exec, s[8:9]
.LBB572_489:
	s_or_b64 exec, exec, s[2:3]
	s_mov_b32 s2, 0xffffff
	v_cmp_lt_u32_e32 vcc, s2, v17
	v_mov_b32_e32 v24, 0
	v_mov_b32_e32 v30, 0
	s_and_saveexec_b64 s[2:3], vcc
	s_cbranch_execz .LBB572_495
; %bb.490:
	v_lshrrev_b32_e32 v14, 24, v17
	s_movk_i32 s7, 0x80
	v_cmp_ne_u32_e32 vcc, s7, v14
	v_bfrev_b32_e32 v30, 1
	s_and_saveexec_b64 s[8:9], vcc
	s_cbranch_execz .LBB572_494
; %bb.491:
	v_bfe_u32 v17, v17, 24, 7
	s_movk_i32 s7, 0x7f
	v_cmp_ne_u32_e32 vcc, s7, v17
	v_mov_b32_e32 v30, 0x7f800001
	s_and_saveexec_b64 s[10:11], vcc
	s_cbranch_execz .LBB572_493
; %bb.492:
	v_and_b32_e32 v32, 7, v14
	v_ffbh_u32_e32 v30, v32
	v_min_u32_e32 v34, 32, v30
	v_subrev_u32_e32 v30, 28, v34
	v_lshlrev_b64 v[30:31], v30, v[14:15]
	v_lshrrev_b32_e32 v33, 3, v17
	v_sub_u32_e32 v31, 29, v34
	v_and_b32_e32 v30, 7, v30
	v_cmp_gt_u32_e32 vcc, 8, v17
	v_cndmask_b32_e32 v17, v33, v31, vcc
	v_cndmask_b32_e32 v30, v32, v30, vcc
	v_lshlrev_b32_e32 v14, 24, v14
	v_bfrev_b32_e32 v31, 60
	v_lshlrev_b32_e32 v30, 20, v30
	v_and_b32_e32 v14, 0x80000000, v14
	v_lshl_add_u32 v17, v17, 23, v31
	v_or3_b32 v30, v14, v17, v30
.LBB572_493:
	s_or_b64 exec, exec, s[10:11]
.LBB572_494:
	s_or_b64 exec, exec, s[8:9]
.LBB572_495:
	s_or_b64 exec, exec, s[2:3]
	v_cvt_pkrtz_f16_f32 v14, v23, v25
	v_cvt_pkrtz_f16_f32 v15, v15, v27
	ds_read_b128 v[32:35], v22 offset:16
	s_waitcnt vmcnt(2)
	v_cmp_ne_u16_sdwa s[8:9], v10, v24 src0_sel:BYTE_0 src1_sel:DWORD
	s_waitcnt lgkmcnt(0)
	v_mfma_f32_16x16x16f16 v[18:21], v[14:15], v[32:33], v[18:21]
	v_cvt_pkrtz_f16_f32 v14, v26, v29
	v_cvt_pkrtz_f16_f32 v15, v16, v30
	s_nop 1
	v_mfma_f32_16x16x16f16 v[14:17], v[14:15], v[34:35], v[18:21]
	s_and_saveexec_b64 s[2:3], s[8:9]
	s_cbranch_execz .LBB572_501
; %bb.496:
	s_movk_i32 s7, 0x80
	v_cmp_ne_u16_sdwa s[10:11], v10, s7 src0_sel:BYTE_0 src1_sel:DWORD
	v_bfrev_b32_e32 v24, 1
	s_and_saveexec_b64 s[8:9], s[10:11]
	s_cbranch_execz .LBB572_500
; %bb.497:
	s_movk_i32 s7, 0x7f
	v_and_b32_e32 v18, 0x7f, v10
	v_cmp_ne_u32_e32 vcc, s7, v18
	v_mov_b32_e32 v24, 0x7f800001
	s_and_saveexec_b64 s[10:11], vcc
	s_cbranch_execz .LBB572_499
; %bb.498:
	v_and_b32_e32 v19, 7, v10
	v_ffbh_u32_e32 v20, v19
	v_min_u32_e32 v24, 32, v20
	v_subrev_u32_e32 v20, 28, v24
	v_lshlrev_b64 v[20:21], v20, v[10:11]
	v_lshrrev_b32_e32 v23, 3, v18
	v_sub_u32_e32 v21, 29, v24
	v_and_b32_e32 v20, 7, v20
	v_cmp_gt_u32_e32 vcc, 8, v18
	v_cndmask_b32_e32 v18, v23, v21, vcc
	v_cndmask_b32_e32 v19, v19, v20, vcc
	v_lshlrev_b32_e32 v20, 24, v10
	v_bfrev_b32_e32 v21, 60
	v_lshlrev_b32_e32 v19, 20, v19
	v_and_b32_e32 v20, 0x80000000, v20
	v_lshl_add_u32 v18, v18, 23, v21
	v_or3_b32 v24, v20, v18, v19
.LBB572_499:
	s_or_b64 exec, exec, s[10:11]
.LBB572_500:
	s_or_b64 exec, exec, s[8:9]
.LBB572_501:
	s_or_b64 exec, exec, s[2:3]
	s_nop 3
	v_lshrrev_b16_e32 v18, 8, v10
	v_cmp_ne_u16_e32 vcc, 0, v18
	v_mov_b32_e32 v19, 0
	v_mov_b32_e32 v20, 0
	s_and_saveexec_b64 s[2:3], vcc
	s_cbranch_execz .LBB572_507
; %bb.502:
	s_movk_i32 s7, 0x80
	v_cmp_ne_u16_e32 vcc, s7, v18
	v_bfrev_b32_e32 v20, 1
	s_and_saveexec_b64 s[8:9], vcc
	s_cbranch_execz .LBB572_506
; %bb.503:
	s_movk_i32 s7, 0x7f
	v_and_b32_e32 v21, 0x7f, v18
	v_cmp_ne_u32_e32 vcc, s7, v21
	v_mov_b32_e32 v20, 0x7f800001
	s_and_saveexec_b64 s[10:11], vcc
	s_cbranch_execz .LBB572_505
; %bb.504:
	v_and_b32_e32 v20, 7, v18
	v_ffbh_u32_e32 v25, v20
	v_min_u32_e32 v25, 32, v25
	v_subrev_u32_e32 v26, 28, v25
	v_lshlrev_b64 v[26:27], v26, v[18:19]
	v_lshrrev_b32_e32 v23, 3, v21
	v_sub_u32_e32 v18, 29, v25
	v_and_b32_e32 v25, 7, v26
	v_cmp_gt_u32_e32 vcc, 8, v21
	v_cndmask_b32_e32 v18, v23, v18, vcc
	v_cndmask_b32_e32 v20, v20, v25, vcc
	v_lshlrev_b32_e32 v21, 16, v10
	v_bfrev_b32_e32 v23, 60
	v_lshlrev_b32_e32 v20, 20, v20
	v_and_b32_e32 v21, 0x80000000, v21
	v_lshl_add_u32 v18, v18, 23, v23
	v_or3_b32 v20, v21, v18, v20
.LBB572_505:
	s_or_b64 exec, exec, s[10:11]
.LBB572_506:
	s_or_b64 exec, exec, s[8:9]
.LBB572_507:
	s_or_b64 exec, exec, s[2:3]
	s_movk_i32 s2, 0xff
	v_and_b32_sdwa v21, v10, s2 dst_sel:DWORD dst_unused:UNUSED_PAD src0_sel:WORD_1 src1_sel:DWORD
	v_lshrrev_b32_e32 v18, 16, v10
	v_cmp_ne_u16_e32 vcc, 0, v21
	s_and_saveexec_b64 s[2:3], vcc
	s_cbranch_execz .LBB572_513
; %bb.508:
	s_movk_i32 s7, 0x80
	v_cmp_ne_u16_e32 vcc, s7, v21
	v_bfrev_b32_e32 v19, 1
	s_and_saveexec_b64 s[8:9], vcc
	s_cbranch_execz .LBB572_512
; %bb.509:
	v_bfe_u32 v21, v10, 16, 7
	s_movk_i32 s7, 0x7f
	v_cmp_ne_u32_e32 vcc, s7, v21
	v_mov_b32_e32 v19, 0x7f800001
	s_and_saveexec_b64 s[10:11], vcc
	s_cbranch_execz .LBB572_511
; %bb.510:
	v_and_b32_e32 v23, 7, v18
	v_ffbh_u32_e32 v19, v23
	v_min_u32_e32 v26, 32, v19
	v_subrev_u32_e32 v19, 28, v26
	v_lshlrev_b64 v[18:19], v19, v[18:19]
	v_lshrrev_b32_e32 v25, 3, v21
	v_sub_u32_e32 v19, 29, v26
	v_and_b32_e32 v18, 7, v18
	v_cmp_gt_u32_e32 vcc, 8, v21
	v_mov_b32_e32 v21, 24
	v_cndmask_b32_e32 v19, v25, v19, vcc
	v_cndmask_b32_e32 v18, v23, v18, vcc
	v_lshlrev_b32_sdwa v21, v21, v10 dst_sel:DWORD dst_unused:UNUSED_PAD src0_sel:DWORD src1_sel:WORD_1
	v_bfrev_b32_e32 v23, 60
	v_lshlrev_b32_e32 v18, 20, v18
	v_and_b32_e32 v21, 0x80000000, v21
	v_lshl_add_u32 v19, v19, 23, v23
	v_or3_b32 v19, v21, v19, v18
.LBB572_511:
	s_or_b64 exec, exec, s[10:11]
.LBB572_512:
	s_or_b64 exec, exec, s[8:9]
.LBB572_513:
	s_or_b64 exec, exec, s[2:3]
	s_mov_b32 s2, 0xffffff
	v_cmp_lt_u32_e32 vcc, s2, v10
	v_mov_b32_e32 v21, 0
	v_mov_b32_e32 v23, 0
	s_and_saveexec_b64 s[2:3], vcc
	s_cbranch_execz .LBB572_519
; %bb.514:
	v_lshrrev_b32_e32 v18, 24, v10
	s_movk_i32 s7, 0x80
	v_cmp_ne_u32_e32 vcc, s7, v18
	v_bfrev_b32_e32 v23, 1
	s_and_saveexec_b64 s[8:9], vcc
	s_cbranch_execz .LBB572_518
; %bb.515:
	v_bfe_u32 v10, v10, 24, 7
	s_movk_i32 s7, 0x7f
	v_cmp_ne_u32_e32 vcc, s7, v10
	v_mov_b32_e32 v23, 0x7f800001
	s_and_saveexec_b64 s[10:11], vcc
	s_cbranch_execz .LBB572_517
; %bb.516:
	v_and_b32_e32 v23, 7, v18
	v_ffbh_u32_e32 v26, v23
	v_min_u32_e32 v29, 32, v26
	v_subrev_u32_e32 v26, 28, v29
	v_lshlrev_b64 v[26:27], v26, v[18:19]
	v_lshrrev_b32_e32 v25, 3, v10
	v_sub_u32_e32 v27, 29, v29
	v_and_b32_e32 v26, 7, v26
	v_cmp_gt_u32_e32 vcc, 8, v10
	v_cndmask_b32_e32 v10, v25, v27, vcc
	v_cndmask_b32_e32 v23, v23, v26, vcc
	v_lshlrev_b32_e32 v18, 24, v18
	v_bfrev_b32_e32 v25, 60
	v_lshlrev_b32_e32 v23, 20, v23
	v_and_b32_e32 v18, 0x80000000, v18
	v_lshl_add_u32 v10, v10, 23, v25
	v_or3_b32 v23, v18, v10, v23
.LBB572_517:
	s_or_b64 exec, exec, s[10:11]
.LBB572_518:
	s_or_b64 exec, exec, s[8:9]
.LBB572_519:
	s_or_b64 exec, exec, s[2:3]
	v_cmp_ne_u16_sdwa s[8:9], v11, v21 src0_sel:BYTE_0 src1_sel:DWORD
	s_and_saveexec_b64 s[2:3], s[8:9]
	s_cbranch_execz .LBB572_525
; %bb.520:
	s_movk_i32 s7, 0x80
	v_cmp_ne_u16_sdwa s[10:11], v11, s7 src0_sel:BYTE_0 src1_sel:DWORD
	v_bfrev_b32_e32 v21, 1
	s_and_saveexec_b64 s[8:9], s[10:11]
	s_cbranch_execz .LBB572_524
; %bb.521:
	s_movk_i32 s7, 0x7f
	v_and_b32_e32 v10, 0x7f, v11
	v_cmp_ne_u32_e32 vcc, s7, v10
	v_mov_b32_e32 v21, 0x7f800001
	s_and_saveexec_b64 s[10:11], vcc
	s_cbranch_execz .LBB572_523
; %bb.522:
	v_and_b32_e32 v21, 7, v11
	v_ffbh_u32_e32 v26, v21
	v_min_u32_e32 v29, 32, v26
	v_mov_b32_e32 v18, v11
	v_subrev_u32_e32 v26, 28, v29
	v_lshlrev_b64 v[26:27], v26, v[18:19]
	v_lshrrev_b32_e32 v25, 3, v10
	v_sub_u32_e32 v18, 29, v29
	v_and_b32_e32 v26, 7, v26
	v_cmp_gt_u32_e32 vcc, 8, v10
	v_cndmask_b32_e32 v10, v25, v18, vcc
	v_cndmask_b32_e32 v18, v21, v26, vcc
	v_lshlrev_b32_e32 v21, 24, v11
	v_bfrev_b32_e32 v25, 60
	v_lshlrev_b32_e32 v18, 20, v18
	v_and_b32_e32 v21, 0x80000000, v21
	v_lshl_add_u32 v10, v10, 23, v25
	v_or3_b32 v21, v21, v10, v18
.LBB572_523:
	s_or_b64 exec, exec, s[10:11]
.LBB572_524:
	s_or_b64 exec, exec, s[8:9]
.LBB572_525:
	s_or_b64 exec, exec, s[2:3]
	v_lshrrev_b16_e32 v10, 8, v11
	v_cmp_ne_u16_e32 vcc, 0, v10
	v_mov_b32_e32 v25, 0
	v_mov_b32_e32 v26, 0
	s_and_saveexec_b64 s[2:3], vcc
	s_cbranch_execz .LBB572_531
; %bb.526:
	s_movk_i32 s7, 0x80
	v_cmp_ne_u16_e32 vcc, s7, v10
	v_bfrev_b32_e32 v26, 1
	s_and_saveexec_b64 s[8:9], vcc
	s_cbranch_execz .LBB572_530
; %bb.527:
	s_movk_i32 s7, 0x7f
	v_and_b32_e32 v18, 0x7f, v10
	v_cmp_ne_u32_e32 vcc, s7, v18
	v_mov_b32_e32 v26, 0x7f800001
	s_and_saveexec_b64 s[10:11], vcc
	s_cbranch_execz .LBB572_529
; %bb.528:
	v_and_b32_e32 v29, 7, v10
	v_ffbh_u32_e32 v26, v29
	v_min_u32_e32 v31, 32, v26
	v_subrev_u32_e32 v26, 28, v31
	v_lshlrev_b64 v[26:27], v26, v[10:11]
	v_lshrrev_b32_e32 v30, 3, v18
	v_sub_u32_e32 v10, 29, v31
	v_and_b32_e32 v26, 7, v26
	v_cmp_gt_u32_e32 vcc, 8, v18
	v_cndmask_b32_e32 v10, v30, v10, vcc
	v_cndmask_b32_e32 v18, v29, v26, vcc
	v_lshlrev_b32_e32 v26, 16, v11
	v_bfrev_b32_e32 v27, 60
	v_lshlrev_b32_e32 v18, 20, v18
	v_and_b32_e32 v26, 0x80000000, v26
	v_lshl_add_u32 v10, v10, 23, v27
	v_or3_b32 v26, v26, v10, v18
.LBB572_529:
	s_or_b64 exec, exec, s[10:11]
.LBB572_530:
	s_or_b64 exec, exec, s[8:9]
.LBB572_531:
	s_or_b64 exec, exec, s[2:3]
	s_movk_i32 s2, 0xff
	v_and_b32_sdwa v18, v11, s2 dst_sel:DWORD dst_unused:UNUSED_PAD src0_sel:WORD_1 src1_sel:DWORD
	v_lshrrev_b32_e32 v10, 16, v11
	v_cmp_ne_u16_e32 vcc, 0, v18
	s_and_saveexec_b64 s[2:3], vcc
	s_cbranch_execz .LBB572_537
; %bb.532:
	s_movk_i32 s7, 0x80
	v_cmp_ne_u16_e32 vcc, s7, v18
	v_bfrev_b32_e32 v25, 1
	s_and_saveexec_b64 s[8:9], vcc
	s_cbranch_execz .LBB572_536
; %bb.533:
	v_bfe_u32 v18, v11, 16, 7
	s_movk_i32 s7, 0x7f
	v_cmp_ne_u32_e32 vcc, s7, v18
	v_mov_b32_e32 v25, 0x7f800001
	s_and_saveexec_b64 s[10:11], vcc
	s_cbranch_execz .LBB572_535
; %bb.534:
	v_and_b32_e32 v25, 7, v10
	v_ffbh_u32_e32 v29, v25
	v_min_u32_e32 v29, 32, v29
	v_subrev_u32_e32 v30, 28, v29
	v_lshlrev_b64 v[30:31], v30, v[10:11]
	v_sub_u32_e32 v10, 29, v29
	v_and_b32_e32 v29, 7, v30
	v_cmp_gt_u32_e32 vcc, 8, v18
	v_lshrrev_b32_e32 v27, 3, v18
	v_cndmask_b32_e32 v18, v25, v29, vcc
	v_mov_b32_e32 v25, 24
	v_cndmask_b32_e32 v10, v27, v10, vcc
	v_lshlrev_b32_sdwa v25, v25, v11 dst_sel:DWORD dst_unused:UNUSED_PAD src0_sel:DWORD src1_sel:WORD_1
	v_bfrev_b32_e32 v27, 60
	v_lshlrev_b32_e32 v18, 20, v18
	v_and_b32_e32 v25, 0x80000000, v25
	v_lshl_add_u32 v10, v10, 23, v27
	v_or3_b32 v25, v25, v10, v18
.LBB572_535:
	s_or_b64 exec, exec, s[10:11]
.LBB572_536:
	s_or_b64 exec, exec, s[8:9]
.LBB572_537:
	s_or_b64 exec, exec, s[2:3]
	s_mov_b32 s2, 0xffffff
	v_cmp_lt_u32_e32 vcc, s2, v11
	v_mov_b32_e32 v18, 0
	v_mov_b32_e32 v27, 0
	s_and_saveexec_b64 s[2:3], vcc
	s_cbranch_execz .LBB572_543
; %bb.538:
	v_lshrrev_b32_e32 v10, 24, v11
	s_movk_i32 s7, 0x80
	v_cmp_ne_u32_e32 vcc, s7, v10
	v_bfrev_b32_e32 v27, 1
	s_and_saveexec_b64 s[8:9], vcc
	s_cbranch_execz .LBB572_542
; %bb.539:
	v_bfe_u32 v11, v11, 24, 7
	s_movk_i32 s7, 0x7f
	v_cmp_ne_u32_e32 vcc, s7, v11
	v_mov_b32_e32 v27, 0x7f800001
	s_and_saveexec_b64 s[10:11], vcc
	s_cbranch_execz .LBB572_541
; %bb.540:
	v_and_b32_e32 v27, 7, v10
	v_ffbh_u32_e32 v30, v27
	v_min_u32_e32 v32, 32, v30
	v_subrev_u32_e32 v30, 28, v32
	v_lshlrev_b64 v[30:31], v30, v[10:11]
	v_lshrrev_b32_e32 v29, 3, v11
	v_sub_u32_e32 v31, 29, v32
	v_and_b32_e32 v30, 7, v30
	v_cmp_gt_u32_e32 vcc, 8, v11
	v_cndmask_b32_e32 v11, v29, v31, vcc
	v_cndmask_b32_e32 v27, v27, v30, vcc
	v_lshlrev_b32_e32 v10, 24, v10
	v_bfrev_b32_e32 v29, 60
	v_lshlrev_b32_e32 v27, 20, v27
	v_and_b32_e32 v10, 0x80000000, v10
	v_lshl_add_u32 v11, v11, 23, v29
	v_or3_b32 v27, v10, v11, v27
.LBB572_541:
	s_or_b64 exec, exec, s[10:11]
.LBB572_542:
	s_or_b64 exec, exec, s[8:9]
.LBB572_543:
	s_or_b64 exec, exec, s[2:3]
	v_cvt_pkrtz_f16_f32 v10, v24, v20
	v_cvt_pkrtz_f16_f32 v11, v19, v23
	ds_read_b128 v[30:33], v22 offset:2048
	v_cmp_ne_u16_sdwa s[8:9], v12, v18 src0_sel:BYTE_0 src1_sel:DWORD
	s_waitcnt lgkmcnt(0)
	v_mfma_f32_16x16x16f16 v[14:17], v[10:11], v[30:31], v[14:17]
	v_cvt_pkrtz_f16_f32 v10, v21, v26
	v_cvt_pkrtz_f16_f32 v11, v25, v27
	s_nop 1
	v_mfma_f32_16x16x16f16 v[14:17], v[10:11], v[32:33], v[14:17]
	s_and_saveexec_b64 s[2:3], s[8:9]
	s_cbranch_execz .LBB572_549
; %bb.544:
	s_movk_i32 s7, 0x80
	v_cmp_ne_u16_sdwa s[10:11], v12, s7 src0_sel:BYTE_0 src1_sel:DWORD
	v_bfrev_b32_e32 v18, 1
	s_and_saveexec_b64 s[8:9], s[10:11]
	s_cbranch_execz .LBB572_548
; %bb.545:
	s_movk_i32 s7, 0x7f
	v_and_b32_e32 v10, 0x7f, v12
	v_cmp_ne_u32_e32 vcc, s7, v10
	v_mov_b32_e32 v18, 0x7f800001
	s_and_saveexec_b64 s[10:11], vcc
	s_cbranch_execz .LBB572_547
; %bb.546:
	v_and_b32_e32 v11, 7, v12
	v_ffbh_u32_e32 v18, v11
	v_min_u32_e32 v21, 32, v18
	v_subrev_u32_e32 v18, 28, v21
	v_lshlrev_b64 v[18:19], v18, v[12:13]
	v_lshrrev_b32_e32 v20, 3, v10
	v_sub_u32_e32 v19, 29, v21
	v_and_b32_e32 v18, 7, v18
	v_cmp_gt_u32_e32 vcc, 8, v10
	v_cndmask_b32_e32 v10, v20, v19, vcc
	v_cndmask_b32_e32 v11, v11, v18, vcc
	v_lshlrev_b32_e32 v18, 24, v12
	v_bfrev_b32_e32 v19, 60
	v_lshlrev_b32_e32 v11, 20, v11
	v_and_b32_e32 v18, 0x80000000, v18
	v_lshl_add_u32 v10, v10, 23, v19
	v_or3_b32 v18, v18, v10, v11
.LBB572_547:
	s_or_b64 exec, exec, s[10:11]
.LBB572_548:
	s_or_b64 exec, exec, s[8:9]
.LBB572_549:
	s_or_b64 exec, exec, s[2:3]
	v_lshrrev_b16_e32 v10, 8, v12
	v_cmp_ne_u16_e32 vcc, 0, v10
	v_mov_b32_e32 v11, 0
	v_mov_b32_e32 v20, 0
	s_and_saveexec_b64 s[2:3], vcc
	s_cbranch_execz .LBB572_555
; %bb.550:
	s_movk_i32 s7, 0x80
	v_cmp_ne_u16_e32 vcc, s7, v10
	v_bfrev_b32_e32 v20, 1
	s_and_saveexec_b64 s[8:9], vcc
	s_cbranch_execz .LBB572_554
; %bb.551:
	s_movk_i32 s7, 0x7f
	v_and_b32_e32 v19, 0x7f, v10
	v_cmp_ne_u32_e32 vcc, s7, v19
	v_mov_b32_e32 v20, 0x7f800001
	s_and_saveexec_b64 s[10:11], vcc
	s_cbranch_execz .LBB572_553
; %bb.552:
	v_and_b32_e32 v23, 7, v10
	v_ffbh_u32_e32 v20, v23
	v_min_u32_e32 v25, 32, v20
	v_subrev_u32_e32 v20, 28, v25
	v_lshlrev_b64 v[20:21], v20, v[10:11]
	v_lshrrev_b32_e32 v24, 3, v19
	v_sub_u32_e32 v10, 29, v25
	v_and_b32_e32 v20, 7, v20
	v_cmp_gt_u32_e32 vcc, 8, v19
	v_cndmask_b32_e32 v10, v24, v10, vcc
	v_cndmask_b32_e32 v19, v23, v20, vcc
	v_lshlrev_b32_e32 v20, 16, v12
	v_bfrev_b32_e32 v21, 60
	v_lshlrev_b32_e32 v19, 20, v19
	v_and_b32_e32 v20, 0x80000000, v20
	v_lshl_add_u32 v10, v10, 23, v21
	v_or3_b32 v20, v20, v10, v19
.LBB572_553:
	s_or_b64 exec, exec, s[10:11]
.LBB572_554:
	s_or_b64 exec, exec, s[8:9]
.LBB572_555:
	s_or_b64 exec, exec, s[2:3]
	s_movk_i32 s2, 0xff
	v_and_b32_sdwa v19, v12, s2 dst_sel:DWORD dst_unused:UNUSED_PAD src0_sel:WORD_1 src1_sel:DWORD
	v_lshrrev_b32_e32 v10, 16, v12
	v_cmp_ne_u16_e32 vcc, 0, v19
	s_and_saveexec_b64 s[2:3], vcc
	s_cbranch_execz .LBB572_561
; %bb.556:
	s_movk_i32 s7, 0x80
	v_cmp_ne_u16_e32 vcc, s7, v19
	v_bfrev_b32_e32 v11, 1
	s_and_saveexec_b64 s[8:9], vcc
	s_cbranch_execz .LBB572_560
; %bb.557:
	v_bfe_u32 v19, v12, 16, 7
	s_movk_i32 s7, 0x7f
	v_cmp_ne_u32_e32 vcc, s7, v19
	v_mov_b32_e32 v11, 0x7f800001
	s_and_saveexec_b64 s[10:11], vcc
	s_cbranch_execz .LBB572_559
; %bb.558:
	v_and_b32_e32 v21, 7, v10
	v_ffbh_u32_e32 v11, v21
	v_min_u32_e32 v24, 32, v11
	v_subrev_u32_e32 v11, 28, v24
	v_lshlrev_b64 v[10:11], v11, v[10:11]
	v_lshrrev_b32_e32 v23, 3, v19
	v_sub_u32_e32 v11, 29, v24
	v_and_b32_e32 v10, 7, v10
	v_cmp_gt_u32_e32 vcc, 8, v19
	v_mov_b32_e32 v19, 24
	v_cndmask_b32_e32 v11, v23, v11, vcc
	v_cndmask_b32_e32 v10, v21, v10, vcc
	v_lshlrev_b32_sdwa v19, v19, v12 dst_sel:DWORD dst_unused:UNUSED_PAD src0_sel:DWORD src1_sel:WORD_1
	v_bfrev_b32_e32 v21, 60
	v_lshlrev_b32_e32 v10, 20, v10
	v_and_b32_e32 v19, 0x80000000, v19
	v_lshl_add_u32 v11, v11, 23, v21
	v_or3_b32 v11, v19, v11, v10
.LBB572_559:
	s_or_b64 exec, exec, s[10:11]
.LBB572_560:
	s_or_b64 exec, exec, s[8:9]
.LBB572_561:
	s_or_b64 exec, exec, s[2:3]
	s_mov_b32 s2, 0xffffff
	v_cmp_lt_u32_e32 vcc, s2, v12
	v_mov_b32_e32 v21, 0
	v_mov_b32_e32 v23, 0
	s_and_saveexec_b64 s[2:3], vcc
	s_cbranch_execz .LBB572_567
; %bb.562:
	v_lshrrev_b32_e32 v10, 24, v12
	s_movk_i32 s7, 0x80
	v_cmp_ne_u32_e32 vcc, s7, v10
	v_bfrev_b32_e32 v23, 1
	s_and_saveexec_b64 s[8:9], vcc
	s_cbranch_execz .LBB572_566
; %bb.563:
	v_bfe_u32 v12, v12, 24, 7
	s_movk_i32 s7, 0x7f
	v_cmp_ne_u32_e32 vcc, s7, v12
	v_mov_b32_e32 v23, 0x7f800001
	s_and_saveexec_b64 s[10:11], vcc
	s_cbranch_execz .LBB572_565
; %bb.564:
	v_and_b32_e32 v19, 7, v10
	v_ffbh_u32_e32 v24, v19
	v_min_u32_e32 v26, 32, v24
	v_subrev_u32_e32 v24, 28, v26
	v_lshlrev_b64 v[24:25], v24, v[10:11]
	v_lshrrev_b32_e32 v23, 3, v12
	v_sub_u32_e32 v25, 29, v26
	v_and_b32_e32 v24, 7, v24
	v_cmp_gt_u32_e32 vcc, 8, v12
	v_cndmask_b32_e32 v12, v23, v25, vcc
	v_cndmask_b32_e32 v19, v19, v24, vcc
	v_lshlrev_b32_e32 v10, 24, v10
	v_bfrev_b32_e32 v23, 60
	v_lshlrev_b32_e32 v19, 20, v19
	v_and_b32_e32 v10, 0x80000000, v10
	v_lshl_add_u32 v12, v12, 23, v23
	v_or3_b32 v23, v10, v12, v19
.LBB572_565:
	s_or_b64 exec, exec, s[10:11]
.LBB572_566:
	s_or_b64 exec, exec, s[8:9]
.LBB572_567:
	s_or_b64 exec, exec, s[2:3]
	v_cmp_ne_u16_sdwa s[8:9], v13, v21 src0_sel:BYTE_0 src1_sel:DWORD
	s_and_saveexec_b64 s[2:3], s[8:9]
	s_cbranch_execz .LBB572_573
; %bb.568:
	s_movk_i32 s7, 0x80
	v_cmp_ne_u16_sdwa s[10:11], v13, s7 src0_sel:BYTE_0 src1_sel:DWORD
	v_bfrev_b32_e32 v21, 1
	s_and_saveexec_b64 s[8:9], s[10:11]
	s_cbranch_execz .LBB572_572
; %bb.569:
	s_movk_i32 s7, 0x7f
	v_and_b32_e32 v10, 0x7f, v13
	v_cmp_ne_u32_e32 vcc, s7, v10
	v_mov_b32_e32 v21, 0x7f800001
	s_and_saveexec_b64 s[10:11], vcc
	s_cbranch_execz .LBB572_571
; %bb.570:
	v_and_b32_e32 v19, 7, v13
	v_ffbh_u32_e32 v24, v19
	v_min_u32_e32 v26, 32, v24
	v_mov_b32_e32 v12, v13
	v_subrev_u32_e32 v24, 28, v26
	v_lshlrev_b64 v[24:25], v24, v[12:13]
	v_lshrrev_b32_e32 v21, 3, v10
	v_sub_u32_e32 v12, 29, v26
	v_and_b32_e32 v24, 7, v24
	v_cmp_gt_u32_e32 vcc, 8, v10
	v_cndmask_b32_e32 v10, v21, v12, vcc
	v_cndmask_b32_e32 v12, v19, v24, vcc
	v_lshlrev_b32_e32 v19, 24, v13
	v_bfrev_b32_e32 v21, 60
	v_lshlrev_b32_e32 v12, 20, v12
	v_and_b32_e32 v19, 0x80000000, v19
	v_lshl_add_u32 v10, v10, 23, v21
	v_or3_b32 v21, v19, v10, v12
.LBB572_571:
	s_or_b64 exec, exec, s[10:11]
.LBB572_572:
	s_or_b64 exec, exec, s[8:9]
.LBB572_573:
	s_or_b64 exec, exec, s[2:3]
	v_lshrrev_b16_e32 v10, 8, v13
	v_cmp_ne_u16_e32 vcc, 0, v10
	v_mov_b32_e32 v12, 0
	v_mov_b32_e32 v24, 0
	s_and_saveexec_b64 s[2:3], vcc
	s_cbranch_execz .LBB572_579
; %bb.574:
	s_movk_i32 s7, 0x80
	v_cmp_ne_u16_e32 vcc, s7, v10
	v_bfrev_b32_e32 v24, 1
	s_and_saveexec_b64 s[8:9], vcc
	s_cbranch_execz .LBB572_578
; %bb.575:
	s_movk_i32 s7, 0x7f
	v_and_b32_e32 v19, 0x7f, v10
	v_cmp_ne_u32_e32 vcc, s7, v19
	v_mov_b32_e32 v24, 0x7f800001
	s_and_saveexec_b64 s[10:11], vcc
	s_cbranch_execz .LBB572_577
; %bb.576:
	v_and_b32_e32 v26, 7, v10
	v_ffbh_u32_e32 v24, v26
	v_min_u32_e32 v29, 32, v24
	v_subrev_u32_e32 v24, 28, v29
	v_lshlrev_b64 v[24:25], v24, v[10:11]
	v_lshrrev_b32_e32 v27, 3, v19
	v_sub_u32_e32 v10, 29, v29
	v_and_b32_e32 v24, 7, v24
	v_cmp_gt_u32_e32 vcc, 8, v19
	v_cndmask_b32_e32 v10, v27, v10, vcc
	v_cndmask_b32_e32 v19, v26, v24, vcc
	v_lshlrev_b32_e32 v24, 16, v13
	v_bfrev_b32_e32 v25, 60
	v_lshlrev_b32_e32 v19, 20, v19
	v_and_b32_e32 v24, 0x80000000, v24
	v_lshl_add_u32 v10, v10, 23, v25
	v_or3_b32 v24, v24, v10, v19
.LBB572_577:
	s_or_b64 exec, exec, s[10:11]
.LBB572_578:
	s_or_b64 exec, exec, s[8:9]
.LBB572_579:
	s_or_b64 exec, exec, s[2:3]
	s_movk_i32 s2, 0xff
	v_and_b32_sdwa v19, v13, s2 dst_sel:DWORD dst_unused:UNUSED_PAD src0_sel:WORD_1 src1_sel:DWORD
	v_lshrrev_b32_e32 v10, 16, v13
	v_cmp_ne_u16_e32 vcc, 0, v19
	s_and_saveexec_b64 s[2:3], vcc
	s_cbranch_execz .LBB572_585
; %bb.580:
	s_movk_i32 s7, 0x80
	v_cmp_ne_u16_e32 vcc, s7, v19
	v_bfrev_b32_e32 v12, 1
	s_and_saveexec_b64 s[8:9], vcc
	s_cbranch_execz .LBB572_584
; %bb.581:
	v_bfe_u32 v19, v13, 16, 7
	s_movk_i32 s7, 0x7f
	v_cmp_ne_u32_e32 vcc, s7, v19
	v_mov_b32_e32 v12, 0x7f800001
	s_and_saveexec_b64 s[10:11], vcc
	s_cbranch_execz .LBB572_583
; %bb.582:
	v_and_b32_e32 v12, 7, v10
	v_ffbh_u32_e32 v26, v12
	v_min_u32_e32 v29, 32, v26
	v_subrev_u32_e32 v26, 28, v29
	v_lshlrev_b64 v[26:27], v26, v[10:11]
	v_lshrrev_b32_e32 v25, 3, v19
	v_sub_u32_e32 v10, 29, v29
	v_and_b32_e32 v26, 7, v26
	v_cmp_gt_u32_e32 vcc, 8, v19
	v_mov_b32_e32 v19, 24
	v_cndmask_b32_e32 v10, v25, v10, vcc
	v_cndmask_b32_e32 v12, v12, v26, vcc
	v_lshlrev_b32_sdwa v19, v19, v13 dst_sel:DWORD dst_unused:UNUSED_PAD src0_sel:DWORD src1_sel:WORD_1
	v_bfrev_b32_e32 v25, 60
	v_lshlrev_b32_e32 v12, 20, v12
	v_and_b32_e32 v19, 0x80000000, v19
	v_lshl_add_u32 v10, v10, 23, v25
	v_or3_b32 v12, v19, v10, v12
.LBB572_583:
	s_or_b64 exec, exec, s[10:11]
.LBB572_584:
	s_or_b64 exec, exec, s[8:9]
.LBB572_585:
	s_or_b64 exec, exec, s[2:3]
	s_mov_b32 s2, 0xffffff
	v_cmp_lt_u32_e32 vcc, s2, v13
	v_mov_b32_e32 v19, 0
	v_mov_b32_e32 v25, 0
	s_and_saveexec_b64 s[2:3], vcc
	s_cbranch_execz .LBB572_591
; %bb.586:
	v_lshrrev_b32_e32 v10, 24, v13
	s_movk_i32 s7, 0x80
	v_cmp_ne_u32_e32 vcc, s7, v10
	v_bfrev_b32_e32 v25, 1
	s_and_saveexec_b64 s[8:9], vcc
	s_cbranch_execz .LBB572_590
; %bb.587:
	v_bfe_u32 v13, v13, 24, 7
	s_movk_i32 s7, 0x7f
	v_cmp_ne_u32_e32 vcc, s7, v13
	v_mov_b32_e32 v25, 0x7f800001
	s_and_saveexec_b64 s[10:11], vcc
	s_cbranch_execz .LBB572_589
; %bb.588:
	v_and_b32_e32 v25, 7, v10
	v_ffbh_u32_e32 v26, v25
	v_min_u32_e32 v30, 32, v26
	v_subrev_u32_e32 v26, 28, v30
	v_lshlrev_b64 v[26:27], v26, v[10:11]
	v_lshrrev_b32_e32 v29, 3, v13
	v_sub_u32_e32 v27, 29, v30
	v_and_b32_e32 v26, 7, v26
	v_cmp_gt_u32_e32 vcc, 8, v13
	v_cndmask_b32_e32 v13, v29, v27, vcc
	v_cndmask_b32_e32 v25, v25, v26, vcc
	v_lshlrev_b32_e32 v10, 24, v10
	v_bfrev_b32_e32 v26, 60
	v_lshlrev_b32_e32 v25, 20, v25
	v_and_b32_e32 v10, 0x80000000, v10
	v_lshl_add_u32 v13, v13, 23, v26
	v_or3_b32 v25, v10, v13, v25
.LBB572_589:
	s_or_b64 exec, exec, s[10:11]
.LBB572_590:
	s_or_b64 exec, exec, s[8:9]
.LBB572_591:
	s_or_b64 exec, exec, s[2:3]
	v_cvt_pkrtz_f16_f32 v10, v18, v20
	v_cvt_pkrtz_f16_f32 v11, v11, v23
	ds_read_b128 v[30:33], v22 offset:2064
	s_waitcnt vmcnt(1)
	v_cmp_ne_u16_sdwa s[8:9], v6, v19 src0_sel:BYTE_0 src1_sel:DWORD
	s_waitcnt lgkmcnt(0)
	v_mfma_f32_16x16x16f16 v[14:17], v[10:11], v[30:31], v[14:17]
	v_cvt_pkrtz_f16_f32 v10, v21, v24
	v_cvt_pkrtz_f16_f32 v11, v12, v25
	s_nop 1
	v_mfma_f32_16x16x16f16 v[10:13], v[10:11], v[32:33], v[14:17]
	s_and_saveexec_b64 s[2:3], s[8:9]
	s_cbranch_execz .LBB572_597
; %bb.592:
	s_movk_i32 s7, 0x80
	v_cmp_ne_u16_sdwa s[10:11], v6, s7 src0_sel:BYTE_0 src1_sel:DWORD
	v_bfrev_b32_e32 v19, 1
	s_and_saveexec_b64 s[8:9], s[10:11]
	s_cbranch_execz .LBB572_596
; %bb.593:
	s_movk_i32 s7, 0x7f
	v_and_b32_e32 v14, 0x7f, v6
	v_cmp_ne_u32_e32 vcc, s7, v14
	v_mov_b32_e32 v19, 0x7f800001
	s_and_saveexec_b64 s[10:11], vcc
	s_cbranch_execz .LBB572_595
; %bb.594:
	v_and_b32_e32 v15, 7, v6
	v_ffbh_u32_e32 v16, v15
	v_min_u32_e32 v19, 32, v16
	v_subrev_u32_e32 v16, 28, v19
	v_lshlrev_b64 v[16:17], v16, v[6:7]
	v_lshrrev_b32_e32 v18, 3, v14
	v_sub_u32_e32 v17, 29, v19
	v_and_b32_e32 v16, 7, v16
	v_cmp_gt_u32_e32 vcc, 8, v14
	v_cndmask_b32_e32 v14, v18, v17, vcc
	v_cndmask_b32_e32 v15, v15, v16, vcc
	v_lshlrev_b32_e32 v16, 24, v6
	v_bfrev_b32_e32 v17, 60
	v_lshlrev_b32_e32 v15, 20, v15
	v_and_b32_e32 v16, 0x80000000, v16
	v_lshl_add_u32 v14, v14, 23, v17
	v_or3_b32 v19, v16, v14, v15
.LBB572_595:
	s_or_b64 exec, exec, s[10:11]
.LBB572_596:
	s_or_b64 exec, exec, s[8:9]
.LBB572_597:
	s_or_b64 exec, exec, s[2:3]
	s_nop 3
	v_lshrrev_b16_e32 v14, 8, v6
	v_cmp_ne_u16_e32 vcc, 0, v14
	v_mov_b32_e32 v15, 0
	v_mov_b32_e32 v16, 0
	s_and_saveexec_b64 s[2:3], vcc
	s_cbranch_execz .LBB572_603
; %bb.598:
	s_movk_i32 s7, 0x80
	v_cmp_ne_u16_e32 vcc, s7, v14
	v_bfrev_b32_e32 v16, 1
	s_and_saveexec_b64 s[8:9], vcc
	s_cbranch_execz .LBB572_602
; %bb.599:
	s_movk_i32 s7, 0x7f
	v_and_b32_e32 v17, 0x7f, v14
	v_cmp_ne_u32_e32 vcc, s7, v17
	v_mov_b32_e32 v16, 0x7f800001
	s_and_saveexec_b64 s[10:11], vcc
	s_cbranch_execz .LBB572_601
; %bb.600:
	v_and_b32_e32 v16, 7, v14
	v_ffbh_u32_e32 v20, v16
	v_min_u32_e32 v23, 32, v20
	v_subrev_u32_e32 v20, 28, v23
	v_lshlrev_b64 v[20:21], v20, v[14:15]
	v_lshrrev_b32_e32 v18, 3, v17
	v_sub_u32_e32 v14, 29, v23
	v_and_b32_e32 v20, 7, v20
	v_cmp_gt_u32_e32 vcc, 8, v17
	v_cndmask_b32_e32 v14, v18, v14, vcc
	v_cndmask_b32_e32 v16, v16, v20, vcc
	v_lshlrev_b32_e32 v17, 16, v6
	v_bfrev_b32_e32 v18, 60
	v_lshlrev_b32_e32 v16, 20, v16
	v_and_b32_e32 v17, 0x80000000, v17
	v_lshl_add_u32 v14, v14, 23, v18
	v_or3_b32 v16, v17, v14, v16
.LBB572_601:
	s_or_b64 exec, exec, s[10:11]
.LBB572_602:
	s_or_b64 exec, exec, s[8:9]
.LBB572_603:
	s_or_b64 exec, exec, s[2:3]
	s_movk_i32 s2, 0xff
	v_and_b32_sdwa v17, v6, s2 dst_sel:DWORD dst_unused:UNUSED_PAD src0_sel:WORD_1 src1_sel:DWORD
	v_lshrrev_b32_e32 v14, 16, v6
	v_cmp_ne_u16_e32 vcc, 0, v17
	s_and_saveexec_b64 s[2:3], vcc
	s_cbranch_execz .LBB572_609
; %bb.604:
	s_movk_i32 s7, 0x80
	v_cmp_ne_u16_e32 vcc, s7, v17
	v_bfrev_b32_e32 v15, 1
	s_and_saveexec_b64 s[8:9], vcc
	s_cbranch_execz .LBB572_608
; %bb.605:
	v_bfe_u32 v17, v6, 16, 7
	s_movk_i32 s7, 0x7f
	v_cmp_ne_u32_e32 vcc, s7, v17
	v_mov_b32_e32 v15, 0x7f800001
	s_and_saveexec_b64 s[10:11], vcc
	s_cbranch_execz .LBB572_607
; %bb.606:
	v_and_b32_e32 v18, 7, v14
	v_ffbh_u32_e32 v15, v18
	v_min_u32_e32 v21, 32, v15
	v_subrev_u32_e32 v15, 28, v21
	v_lshlrev_b64 v[14:15], v15, v[14:15]
	v_lshrrev_b32_e32 v20, 3, v17
	v_sub_u32_e32 v15, 29, v21
	v_and_b32_e32 v14, 7, v14
	v_cmp_gt_u32_e32 vcc, 8, v17
	v_mov_b32_e32 v17, 24
	v_cndmask_b32_e32 v15, v20, v15, vcc
	v_cndmask_b32_e32 v14, v18, v14, vcc
	v_lshlrev_b32_sdwa v17, v17, v6 dst_sel:DWORD dst_unused:UNUSED_PAD src0_sel:DWORD src1_sel:WORD_1
	v_bfrev_b32_e32 v18, 60
	v_lshlrev_b32_e32 v14, 20, v14
	v_and_b32_e32 v17, 0x80000000, v17
	v_lshl_add_u32 v15, v15, 23, v18
	v_or3_b32 v15, v17, v15, v14
.LBB572_607:
	s_or_b64 exec, exec, s[10:11]
.LBB572_608:
	s_or_b64 exec, exec, s[8:9]
.LBB572_609:
	s_or_b64 exec, exec, s[2:3]
	s_mov_b32 s2, 0xffffff
	v_cmp_lt_u32_e32 vcc, s2, v6
	v_mov_b32_e32 v17, 0
	v_mov_b32_e32 v18, 0
	s_and_saveexec_b64 s[2:3], vcc
	s_cbranch_execz .LBB572_615
; %bb.610:
	v_lshrrev_b32_e32 v14, 24, v6
	s_movk_i32 s7, 0x80
	v_cmp_ne_u32_e32 vcc, s7, v14
	v_bfrev_b32_e32 v18, 1
	s_and_saveexec_b64 s[8:9], vcc
	s_cbranch_execz .LBB572_614
; %bb.611:
	v_bfe_u32 v6, v6, 24, 7
	s_movk_i32 s7, 0x7f
	v_cmp_ne_u32_e32 vcc, s7, v6
	v_mov_b32_e32 v18, 0x7f800001
	s_and_saveexec_b64 s[10:11], vcc
	s_cbranch_execz .LBB572_613
; %bb.612:
	v_and_b32_e32 v18, 7, v14
	v_ffbh_u32_e32 v20, v18
	v_min_u32_e32 v24, 32, v20
	v_subrev_u32_e32 v20, 28, v24
	v_lshlrev_b64 v[20:21], v20, v[14:15]
	v_lshrrev_b32_e32 v23, 3, v6
	v_sub_u32_e32 v21, 29, v24
	v_and_b32_e32 v20, 7, v20
	v_cmp_gt_u32_e32 vcc, 8, v6
	v_cndmask_b32_e32 v6, v23, v21, vcc
	v_cndmask_b32_e32 v18, v18, v20, vcc
	v_lshlrev_b32_e32 v14, 24, v14
	v_bfrev_b32_e32 v20, 60
	v_lshlrev_b32_e32 v18, 20, v18
	v_and_b32_e32 v14, 0x80000000, v14
	v_lshl_add_u32 v6, v6, 23, v20
	v_or3_b32 v18, v14, v6, v18
.LBB572_613:
	s_or_b64 exec, exec, s[10:11]
.LBB572_614:
	s_or_b64 exec, exec, s[8:9]
.LBB572_615:
	s_or_b64 exec, exec, s[2:3]
	v_cmp_ne_u16_sdwa s[8:9], v7, v17 src0_sel:BYTE_0 src1_sel:DWORD
	s_and_saveexec_b64 s[2:3], s[8:9]
	s_cbranch_execz .LBB572_621
; %bb.616:
	s_movk_i32 s7, 0x80
	v_cmp_ne_u16_sdwa s[10:11], v7, s7 src0_sel:BYTE_0 src1_sel:DWORD
	v_bfrev_b32_e32 v17, 1
	s_and_saveexec_b64 s[8:9], s[10:11]
	s_cbranch_execz .LBB572_620
; %bb.617:
	s_movk_i32 s7, 0x7f
	v_and_b32_e32 v6, 0x7f, v7
	v_cmp_ne_u32_e32 vcc, s7, v6
	v_mov_b32_e32 v17, 0x7f800001
	s_and_saveexec_b64 s[10:11], vcc
	s_cbranch_execz .LBB572_619
; %bb.618:
	v_and_b32_e32 v17, 7, v7
	v_ffbh_u32_e32 v20, v17
	v_min_u32_e32 v24, 32, v20
	v_mov_b32_e32 v14, v7
	v_subrev_u32_e32 v20, 28, v24
	v_lshlrev_b64 v[20:21], v20, v[14:15]
	v_lshrrev_b32_e32 v23, 3, v6
	v_sub_u32_e32 v14, 29, v24
	v_and_b32_e32 v20, 7, v20
	v_cmp_gt_u32_e32 vcc, 8, v6
	v_cndmask_b32_e32 v6, v23, v14, vcc
	v_cndmask_b32_e32 v14, v17, v20, vcc
	v_lshlrev_b32_e32 v17, 24, v7
	v_bfrev_b32_e32 v20, 60
	v_lshlrev_b32_e32 v14, 20, v14
	v_and_b32_e32 v17, 0x80000000, v17
	v_lshl_add_u32 v6, v6, 23, v20
	v_or3_b32 v17, v17, v6, v14
.LBB572_619:
	s_or_b64 exec, exec, s[10:11]
.LBB572_620:
	s_or_b64 exec, exec, s[8:9]
.LBB572_621:
	s_or_b64 exec, exec, s[2:3]
	v_lshrrev_b16_e32 v6, 8, v7
	v_cmp_ne_u16_e32 vcc, 0, v6
	v_mov_b32_e32 v20, 0
	v_mov_b32_e32 v21, 0
	s_and_saveexec_b64 s[2:3], vcc
	s_cbranch_execz .LBB572_627
; %bb.622:
	s_movk_i32 s7, 0x80
	v_cmp_ne_u16_e32 vcc, s7, v6
	v_bfrev_b32_e32 v21, 1
	s_and_saveexec_b64 s[8:9], vcc
	s_cbranch_execz .LBB572_626
; %bb.623:
	s_movk_i32 s7, 0x7f
	v_and_b32_e32 v14, 0x7f, v6
	v_cmp_ne_u32_e32 vcc, s7, v14
	v_mov_b32_e32 v21, 0x7f800001
	s_and_saveexec_b64 s[10:11], vcc
	s_cbranch_execz .LBB572_625
; %bb.624:
	v_and_b32_e32 v21, 7, v6
	v_ffbh_u32_e32 v24, v21
	v_min_u32_e32 v26, 32, v24
	v_subrev_u32_e32 v24, 28, v26
	v_lshlrev_b64 v[24:25], v24, v[6:7]
	v_lshrrev_b32_e32 v23, 3, v14
	v_sub_u32_e32 v6, 29, v26
	v_and_b32_e32 v24, 7, v24
	v_cmp_gt_u32_e32 vcc, 8, v14
	v_cndmask_b32_e32 v6, v23, v6, vcc
	v_cndmask_b32_e32 v14, v21, v24, vcc
	v_lshlrev_b32_e32 v21, 16, v7
	v_bfrev_b32_e32 v23, 60
	v_lshlrev_b32_e32 v14, 20, v14
	v_and_b32_e32 v21, 0x80000000, v21
	v_lshl_add_u32 v6, v6, 23, v23
	v_or3_b32 v21, v21, v6, v14
.LBB572_625:
	s_or_b64 exec, exec, s[10:11]
.LBB572_626:
	s_or_b64 exec, exec, s[8:9]
.LBB572_627:
	s_or_b64 exec, exec, s[2:3]
	s_movk_i32 s2, 0xff
	v_and_b32_sdwa v14, v7, s2 dst_sel:DWORD dst_unused:UNUSED_PAD src0_sel:WORD_1 src1_sel:DWORD
	v_lshrrev_b32_e32 v6, 16, v7
	v_cmp_ne_u16_e32 vcc, 0, v14
	s_and_saveexec_b64 s[2:3], vcc
	s_cbranch_execz .LBB572_633
; %bb.628:
	s_movk_i32 s7, 0x80
	v_cmp_ne_u16_e32 vcc, s7, v14
	v_bfrev_b32_e32 v20, 1
	s_and_saveexec_b64 s[8:9], vcc
	s_cbranch_execz .LBB572_632
; %bb.629:
	v_bfe_u32 v14, v7, 16, 7
	s_movk_i32 s7, 0x7f
	v_cmp_ne_u32_e32 vcc, s7, v14
	v_mov_b32_e32 v20, 0x7f800001
	s_and_saveexec_b64 s[10:11], vcc
	s_cbranch_execz .LBB572_631
; %bb.630:
	v_and_b32_e32 v20, 7, v6
	v_ffbh_u32_e32 v24, v20
	v_min_u32_e32 v26, 32, v24
	v_subrev_u32_e32 v24, 28, v26
	v_lshlrev_b64 v[24:25], v24, v[6:7]
	v_and_b32_e32 v24, 7, v24
	v_cmp_gt_u32_e32 vcc, 8, v14
	v_lshrrev_b32_e32 v23, 3, v14
	v_sub_u32_e32 v6, 29, v26
	v_cndmask_b32_e32 v14, v20, v24, vcc
	v_mov_b32_e32 v20, 24
	v_cndmask_b32_e32 v6, v23, v6, vcc
	v_lshlrev_b32_sdwa v20, v20, v7 dst_sel:DWORD dst_unused:UNUSED_PAD src0_sel:DWORD src1_sel:WORD_1
	v_bfrev_b32_e32 v23, 60
	v_lshlrev_b32_e32 v14, 20, v14
	v_and_b32_e32 v20, 0x80000000, v20
	v_lshl_add_u32 v6, v6, 23, v23
	v_or3_b32 v20, v20, v6, v14
.LBB572_631:
	s_or_b64 exec, exec, s[10:11]
.LBB572_632:
	s_or_b64 exec, exec, s[8:9]
.LBB572_633:
	s_or_b64 exec, exec, s[2:3]
	s_mov_b32 s2, 0xffffff
	v_cmp_lt_u32_e32 vcc, s2, v7
	v_mov_b32_e32 v14, 0
	v_mov_b32_e32 v23, 0
	s_and_saveexec_b64 s[2:3], vcc
	s_cbranch_execz .LBB572_639
; %bb.634:
	v_lshrrev_b32_e32 v6, 24, v7
	s_movk_i32 s7, 0x80
	v_cmp_ne_u32_e32 vcc, s7, v6
	v_bfrev_b32_e32 v23, 1
	s_and_saveexec_b64 s[8:9], vcc
	s_cbranch_execz .LBB572_638
; %bb.635:
	v_bfe_u32 v7, v7, 24, 7
	s_movk_i32 s7, 0x7f
	v_cmp_ne_u32_e32 vcc, s7, v7
	v_mov_b32_e32 v23, 0x7f800001
	s_and_saveexec_b64 s[10:11], vcc
	s_cbranch_execz .LBB572_637
; %bb.636:
	v_and_b32_e32 v23, 7, v6
	v_ffbh_u32_e32 v24, v23
	v_min_u32_e32 v27, 32, v24
	v_subrev_u32_e32 v24, 28, v27
	v_lshlrev_b64 v[24:25], v24, v[6:7]
	v_lshrrev_b32_e32 v26, 3, v7
	v_sub_u32_e32 v25, 29, v27
	v_and_b32_e32 v24, 7, v24
	v_cmp_gt_u32_e32 vcc, 8, v7
	v_cndmask_b32_e32 v7, v26, v25, vcc
	v_cndmask_b32_e32 v23, v23, v24, vcc
	v_lshlrev_b32_e32 v6, 24, v6
	v_bfrev_b32_e32 v24, 60
	v_lshlrev_b32_e32 v23, 20, v23
	v_and_b32_e32 v6, 0x80000000, v6
	v_lshl_add_u32 v7, v7, 23, v24
	v_or3_b32 v23, v6, v7, v23
.LBB572_637:
	s_or_b64 exec, exec, s[10:11]
.LBB572_638:
	s_or_b64 exec, exec, s[8:9]
.LBB572_639:
	s_or_b64 exec, exec, s[2:3]
	v_cvt_pkrtz_f16_f32 v6, v19, v16
	v_cvt_pkrtz_f16_f32 v7, v15, v18
	ds_read_b128 v[24:27], v22 offset:4096
	v_cmp_ne_u16_sdwa s[8:9], v8, v14 src0_sel:BYTE_0 src1_sel:DWORD
	s_waitcnt lgkmcnt(0)
	v_mfma_f32_16x16x16f16 v[10:13], v[6:7], v[24:25], v[10:13]
	v_cvt_pkrtz_f16_f32 v6, v17, v21
	v_cvt_pkrtz_f16_f32 v7, v20, v23
	s_nop 1
	v_mfma_f32_16x16x16f16 v[10:13], v[6:7], v[26:27], v[10:13]
	s_and_saveexec_b64 s[2:3], s[8:9]
	s_cbranch_execz .LBB572_645
; %bb.640:
	s_movk_i32 s7, 0x80
	v_cmp_ne_u16_sdwa s[10:11], v8, s7 src0_sel:BYTE_0 src1_sel:DWORD
	v_bfrev_b32_e32 v14, 1
	s_and_saveexec_b64 s[8:9], s[10:11]
	s_cbranch_execz .LBB572_644
; %bb.641:
	s_movk_i32 s7, 0x7f
	v_and_b32_e32 v6, 0x7f, v8
	v_cmp_ne_u32_e32 vcc, s7, v6
	v_mov_b32_e32 v14, 0x7f800001
	s_and_saveexec_b64 s[10:11], vcc
	s_cbranch_execz .LBB572_643
; %bb.642:
	v_and_b32_e32 v7, 7, v8
	v_ffbh_u32_e32 v14, v7
	v_min_u32_e32 v17, 32, v14
	v_subrev_u32_e32 v14, 28, v17
	v_lshlrev_b64 v[14:15], v14, v[8:9]
	v_lshrrev_b32_e32 v16, 3, v6
	v_sub_u32_e32 v15, 29, v17
	v_and_b32_e32 v14, 7, v14
	v_cmp_gt_u32_e32 vcc, 8, v6
	v_cndmask_b32_e32 v6, v16, v15, vcc
	v_cndmask_b32_e32 v7, v7, v14, vcc
	v_lshlrev_b32_e32 v14, 24, v8
	v_bfrev_b32_e32 v15, 60
	v_lshlrev_b32_e32 v7, 20, v7
	v_and_b32_e32 v14, 0x80000000, v14
	v_lshl_add_u32 v6, v6, 23, v15
	v_or3_b32 v14, v14, v6, v7
.LBB572_643:
	s_or_b64 exec, exec, s[10:11]
.LBB572_644:
	s_or_b64 exec, exec, s[8:9]
.LBB572_645:
	s_or_b64 exec, exec, s[2:3]
	v_lshrrev_b16_e32 v6, 8, v8
	v_cmp_ne_u16_e32 vcc, 0, v6
	v_mov_b32_e32 v7, 0
	v_mov_b32_e32 v16, 0
	s_and_saveexec_b64 s[2:3], vcc
	s_cbranch_execz .LBB572_651
; %bb.646:
	s_movk_i32 s7, 0x80
	v_cmp_ne_u16_e32 vcc, s7, v6
	v_bfrev_b32_e32 v16, 1
	s_and_saveexec_b64 s[8:9], vcc
	s_cbranch_execz .LBB572_650
; %bb.647:
	s_movk_i32 s7, 0x7f
	v_and_b32_e32 v15, 0x7f, v6
	v_cmp_ne_u32_e32 vcc, s7, v15
	v_mov_b32_e32 v16, 0x7f800001
	s_and_saveexec_b64 s[10:11], vcc
	s_cbranch_execz .LBB572_649
; %bb.648:
	v_and_b32_e32 v18, 7, v6
	v_ffbh_u32_e32 v16, v18
	v_min_u32_e32 v20, 32, v16
	v_subrev_u32_e32 v16, 28, v20
	v_lshlrev_b64 v[16:17], v16, v[6:7]
	v_lshrrev_b32_e32 v19, 3, v15
	v_sub_u32_e32 v6, 29, v20
	v_and_b32_e32 v16, 7, v16
	v_cmp_gt_u32_e32 vcc, 8, v15
	v_cndmask_b32_e32 v6, v19, v6, vcc
	v_cndmask_b32_e32 v15, v18, v16, vcc
	v_lshlrev_b32_e32 v16, 16, v8
	v_bfrev_b32_e32 v17, 60
	v_lshlrev_b32_e32 v15, 20, v15
	v_and_b32_e32 v16, 0x80000000, v16
	v_lshl_add_u32 v6, v6, 23, v17
	v_or3_b32 v16, v16, v6, v15
.LBB572_649:
	s_or_b64 exec, exec, s[10:11]
.LBB572_650:
	s_or_b64 exec, exec, s[8:9]
.LBB572_651:
	s_or_b64 exec, exec, s[2:3]
	s_movk_i32 s2, 0xff
	v_and_b32_sdwa v15, v8, s2 dst_sel:DWORD dst_unused:UNUSED_PAD src0_sel:WORD_1 src1_sel:DWORD
	v_lshrrev_b32_e32 v6, 16, v8
	v_cmp_ne_u16_e32 vcc, 0, v15
	s_and_saveexec_b64 s[2:3], vcc
	s_cbranch_execz .LBB572_657
; %bb.652:
	s_movk_i32 s7, 0x80
	v_cmp_ne_u16_e32 vcc, s7, v15
	v_bfrev_b32_e32 v7, 1
	s_and_saveexec_b64 s[8:9], vcc
	s_cbranch_execz .LBB572_656
; %bb.653:
	v_bfe_u32 v15, v8, 16, 7
	s_movk_i32 s7, 0x7f
	v_cmp_ne_u32_e32 vcc, s7, v15
	v_mov_b32_e32 v7, 0x7f800001
	s_and_saveexec_b64 s[10:11], vcc
	s_cbranch_execz .LBB572_655
; %bb.654:
	v_and_b32_e32 v17, 7, v6
	v_ffbh_u32_e32 v7, v17
	v_min_u32_e32 v19, 32, v7
	v_subrev_u32_e32 v7, 28, v19
	v_lshlrev_b64 v[6:7], v7, v[6:7]
	v_lshrrev_b32_e32 v18, 3, v15
	v_sub_u32_e32 v7, 29, v19
	v_and_b32_e32 v6, 7, v6
	v_cmp_gt_u32_e32 vcc, 8, v15
	v_mov_b32_e32 v15, 24
	v_cndmask_b32_e32 v7, v18, v7, vcc
	v_cndmask_b32_e32 v6, v17, v6, vcc
	v_lshlrev_b32_sdwa v15, v15, v8 dst_sel:DWORD dst_unused:UNUSED_PAD src0_sel:DWORD src1_sel:WORD_1
	v_bfrev_b32_e32 v17, 60
	v_lshlrev_b32_e32 v6, 20, v6
	v_and_b32_e32 v15, 0x80000000, v15
	v_lshl_add_u32 v7, v7, 23, v17
	v_or3_b32 v7, v15, v7, v6
.LBB572_655:
	s_or_b64 exec, exec, s[10:11]
.LBB572_656:
	s_or_b64 exec, exec, s[8:9]
.LBB572_657:
	s_or_b64 exec, exec, s[2:3]
	s_mov_b32 s2, 0xffffff
	v_cmp_lt_u32_e32 vcc, s2, v8
	v_mov_b32_e32 v17, 0
	v_mov_b32_e32 v18, 0
	s_and_saveexec_b64 s[2:3], vcc
	s_cbranch_execz .LBB572_663
; %bb.658:
	v_lshrrev_b32_e32 v6, 24, v8
	s_movk_i32 s7, 0x80
	v_cmp_ne_u32_e32 vcc, s7, v6
	v_bfrev_b32_e32 v18, 1
	s_and_saveexec_b64 s[8:9], vcc
	s_cbranch_execz .LBB572_662
; %bb.659:
	v_bfe_u32 v8, v8, 24, 7
	s_movk_i32 s7, 0x7f
	v_cmp_ne_u32_e32 vcc, s7, v8
	v_mov_b32_e32 v18, 0x7f800001
	s_and_saveexec_b64 s[10:11], vcc
	s_cbranch_execz .LBB572_661
; %bb.660:
	v_and_b32_e32 v15, 7, v6
	v_ffbh_u32_e32 v18, v15
	v_min_u32_e32 v21, 32, v18
	v_subrev_u32_e32 v18, 28, v21
	v_lshlrev_b64 v[18:19], v18, v[6:7]
	v_lshrrev_b32_e32 v20, 3, v8
	v_sub_u32_e32 v19, 29, v21
	v_and_b32_e32 v18, 7, v18
	v_cmp_gt_u32_e32 vcc, 8, v8
	v_cndmask_b32_e32 v8, v20, v19, vcc
	v_cndmask_b32_e32 v15, v15, v18, vcc
	v_lshlrev_b32_e32 v6, 24, v6
	v_bfrev_b32_e32 v18, 60
	v_lshlrev_b32_e32 v15, 20, v15
	v_and_b32_e32 v6, 0x80000000, v6
	v_lshl_add_u32 v8, v8, 23, v18
	v_or3_b32 v18, v6, v8, v15
.LBB572_661:
	s_or_b64 exec, exec, s[10:11]
.LBB572_662:
	s_or_b64 exec, exec, s[8:9]
.LBB572_663:
	s_or_b64 exec, exec, s[2:3]
	v_cmp_ne_u16_sdwa s[8:9], v9, v17 src0_sel:BYTE_0 src1_sel:DWORD
	s_and_saveexec_b64 s[2:3], s[8:9]
	s_cbranch_execz .LBB572_669
; %bb.664:
	s_movk_i32 s7, 0x80
	v_cmp_ne_u16_sdwa s[10:11], v9, s7 src0_sel:BYTE_0 src1_sel:DWORD
	v_bfrev_b32_e32 v17, 1
	s_and_saveexec_b64 s[8:9], s[10:11]
	s_cbranch_execz .LBB572_668
; %bb.665:
	s_movk_i32 s7, 0x7f
	v_and_b32_e32 v6, 0x7f, v9
	v_cmp_ne_u32_e32 vcc, s7, v6
	v_mov_b32_e32 v17, 0x7f800001
	s_and_saveexec_b64 s[10:11], vcc
	s_cbranch_execz .LBB572_667
; %bb.666:
	v_and_b32_e32 v15, 7, v9
	v_ffbh_u32_e32 v19, v15
	v_min_u32_e32 v19, 32, v19
	v_mov_b32_e32 v8, v9
	v_subrev_u32_e32 v20, 28, v19
	v_lshlrev_b64 v[20:21], v20, v[8:9]
	v_lshrrev_b32_e32 v17, 3, v6
	v_sub_u32_e32 v8, 29, v19
	v_and_b32_e32 v19, 7, v20
	v_cmp_gt_u32_e32 vcc, 8, v6
	v_cndmask_b32_e32 v6, v17, v8, vcc
	v_cndmask_b32_e32 v8, v15, v19, vcc
	v_lshlrev_b32_e32 v15, 24, v9
	v_bfrev_b32_e32 v17, 60
	v_lshlrev_b32_e32 v8, 20, v8
	v_and_b32_e32 v15, 0x80000000, v15
	v_lshl_add_u32 v6, v6, 23, v17
	v_or3_b32 v17, v15, v6, v8
.LBB572_667:
	s_or_b64 exec, exec, s[10:11]
.LBB572_668:
	s_or_b64 exec, exec, s[8:9]
.LBB572_669:
	s_or_b64 exec, exec, s[2:3]
	v_lshrrev_b16_e32 v6, 8, v9
	v_cmp_ne_u16_e32 vcc, 0, v6
	v_mov_b32_e32 v8, 0
	v_mov_b32_e32 v19, 0
	s_and_saveexec_b64 s[2:3], vcc
	s_cbranch_execz .LBB572_675
; %bb.670:
	s_movk_i32 s7, 0x80
	v_cmp_ne_u16_e32 vcc, s7, v6
	v_bfrev_b32_e32 v19, 1
	s_and_saveexec_b64 s[8:9], vcc
	s_cbranch_execz .LBB572_674
; %bb.671:
	s_movk_i32 s7, 0x7f
	v_and_b32_e32 v15, 0x7f, v6
	v_cmp_ne_u32_e32 vcc, s7, v15
	v_mov_b32_e32 v19, 0x7f800001
	s_and_saveexec_b64 s[10:11], vcc
	s_cbranch_execz .LBB572_673
; %bb.672:
	v_and_b32_e32 v19, 7, v6
	v_ffbh_u32_e32 v20, v19
	v_min_u32_e32 v24, 32, v20
	v_subrev_u32_e32 v20, 28, v24
	v_lshlrev_b64 v[20:21], v20, v[6:7]
	v_lshrrev_b32_e32 v23, 3, v15
	v_sub_u32_e32 v6, 29, v24
	v_and_b32_e32 v20, 7, v20
	v_cmp_gt_u32_e32 vcc, 8, v15
	v_cndmask_b32_e32 v6, v23, v6, vcc
	v_cndmask_b32_e32 v15, v19, v20, vcc
	v_lshlrev_b32_e32 v19, 16, v9
	v_bfrev_b32_e32 v20, 60
	v_lshlrev_b32_e32 v15, 20, v15
	v_and_b32_e32 v19, 0x80000000, v19
	v_lshl_add_u32 v6, v6, 23, v20
	v_or3_b32 v19, v19, v6, v15
.LBB572_673:
	s_or_b64 exec, exec, s[10:11]
.LBB572_674:
	s_or_b64 exec, exec, s[8:9]
.LBB572_675:
	s_or_b64 exec, exec, s[2:3]
	s_movk_i32 s2, 0xff
	v_and_b32_sdwa v15, v9, s2 dst_sel:DWORD dst_unused:UNUSED_PAD src0_sel:WORD_1 src1_sel:DWORD
	v_lshrrev_b32_e32 v6, 16, v9
	v_cmp_ne_u16_e32 vcc, 0, v15
	s_and_saveexec_b64 s[2:3], vcc
	s_cbranch_execz .LBB572_681
; %bb.676:
	s_movk_i32 s7, 0x80
	v_cmp_ne_u16_e32 vcc, s7, v15
	v_bfrev_b32_e32 v8, 1
	s_and_saveexec_b64 s[8:9], vcc
	s_cbranch_execz .LBB572_680
; %bb.677:
	v_bfe_u32 v15, v9, 16, 7
	s_movk_i32 s7, 0x7f
	v_cmp_ne_u32_e32 vcc, s7, v15
	v_mov_b32_e32 v8, 0x7f800001
	s_and_saveexec_b64 s[10:11], vcc
	s_cbranch_execz .LBB572_679
; %bb.678:
	v_and_b32_e32 v8, 7, v6
	v_ffbh_u32_e32 v20, v8
	v_min_u32_e32 v24, 32, v20
	v_subrev_u32_e32 v20, 28, v24
	v_lshlrev_b64 v[20:21], v20, v[6:7]
	v_lshrrev_b32_e32 v23, 3, v15
	v_sub_u32_e32 v6, 29, v24
	v_and_b32_e32 v20, 7, v20
	v_cmp_gt_u32_e32 vcc, 8, v15
	v_mov_b32_e32 v15, 24
	v_cndmask_b32_e32 v6, v23, v6, vcc
	v_cndmask_b32_e32 v8, v8, v20, vcc
	v_lshlrev_b32_sdwa v15, v15, v9 dst_sel:DWORD dst_unused:UNUSED_PAD src0_sel:DWORD src1_sel:WORD_1
	v_bfrev_b32_e32 v20, 60
	v_lshlrev_b32_e32 v8, 20, v8
	v_and_b32_e32 v15, 0x80000000, v15
	v_lshl_add_u32 v6, v6, 23, v20
	v_or3_b32 v8, v15, v6, v8
.LBB572_679:
	s_or_b64 exec, exec, s[10:11]
.LBB572_680:
	s_or_b64 exec, exec, s[8:9]
.LBB572_681:
	s_or_b64 exec, exec, s[2:3]
	s_mov_b32 s2, 0xffffff
	v_cmp_lt_u32_e32 vcc, s2, v9
	v_mov_b32_e32 v15, 0
	v_mov_b32_e32 v20, 0
	s_and_saveexec_b64 s[2:3], vcc
	s_cbranch_execz .LBB572_687
; %bb.682:
	v_lshrrev_b32_e32 v6, 24, v9
	s_movk_i32 s7, 0x80
	v_cmp_ne_u32_e32 vcc, s7, v6
	v_bfrev_b32_e32 v20, 1
	s_and_saveexec_b64 s[8:9], vcc
	s_cbranch_execz .LBB572_686
; %bb.683:
	v_bfe_u32 v9, v9, 24, 7
	s_movk_i32 s7, 0x7f
	v_cmp_ne_u32_e32 vcc, s7, v9
	v_mov_b32_e32 v20, 0x7f800001
	s_and_saveexec_b64 s[10:11], vcc
	s_cbranch_execz .LBB572_685
; %bb.684:
	v_and_b32_e32 v23, 7, v6
	v_ffbh_u32_e32 v20, v23
	v_min_u32_e32 v25, 32, v20
	v_subrev_u32_e32 v20, 28, v25
	v_lshlrev_b64 v[20:21], v20, v[6:7]
	v_lshrrev_b32_e32 v24, 3, v9
	v_sub_u32_e32 v21, 29, v25
	v_and_b32_e32 v20, 7, v20
	v_cmp_gt_u32_e32 vcc, 8, v9
	v_cndmask_b32_e32 v9, v24, v21, vcc
	v_cndmask_b32_e32 v20, v23, v20, vcc
	v_lshlrev_b32_e32 v6, 24, v6
	v_bfrev_b32_e32 v21, 60
	v_lshlrev_b32_e32 v20, 20, v20
	v_and_b32_e32 v6, 0x80000000, v6
	v_lshl_add_u32 v9, v9, 23, v21
	v_or3_b32 v20, v6, v9, v20
.LBB572_685:
	s_or_b64 exec, exec, s[10:11]
.LBB572_686:
	s_or_b64 exec, exec, s[8:9]
.LBB572_687:
	s_or_b64 exec, exec, s[2:3]
	v_cvt_pkrtz_f16_f32 v6, v14, v16
	v_cvt_pkrtz_f16_f32 v7, v7, v18
	ds_read_b128 v[24:27], v22 offset:4112
	s_waitcnt vmcnt(0)
	v_cmp_ne_u16_sdwa s[8:9], v2, v15 src0_sel:BYTE_0 src1_sel:DWORD
	s_waitcnt lgkmcnt(0)
	v_mfma_f32_16x16x16f16 v[10:13], v[6:7], v[24:25], v[10:13]
	v_cvt_pkrtz_f16_f32 v6, v17, v19
	v_cvt_pkrtz_f16_f32 v7, v8, v20
	s_nop 1
	v_mfma_f32_16x16x16f16 v[6:9], v[6:7], v[26:27], v[10:13]
	s_and_saveexec_b64 s[2:3], s[8:9]
	s_cbranch_execz .LBB572_693
; %bb.688:
	s_movk_i32 s7, 0x80
	v_cmp_ne_u16_sdwa s[10:11], v2, s7 src0_sel:BYTE_0 src1_sel:DWORD
	v_bfrev_b32_e32 v15, 1
	s_and_saveexec_b64 s[8:9], s[10:11]
	s_cbranch_execz .LBB572_692
; %bb.689:
	s_movk_i32 s7, 0x7f
	v_and_b32_e32 v10, 0x7f, v2
	v_cmp_ne_u32_e32 vcc, s7, v10
	v_mov_b32_e32 v15, 0x7f800001
	s_and_saveexec_b64 s[10:11], vcc
	s_cbranch_execz .LBB572_691
; %bb.690:
	v_and_b32_e32 v11, 7, v2
	v_ffbh_u32_e32 v12, v11
	v_min_u32_e32 v15, 32, v12
	v_subrev_u32_e32 v12, 28, v15
	v_lshlrev_b64 v[12:13], v12, v[2:3]
	v_lshrrev_b32_e32 v14, 3, v10
	v_sub_u32_e32 v13, 29, v15
	v_and_b32_e32 v12, 7, v12
	v_cmp_gt_u32_e32 vcc, 8, v10
	v_cndmask_b32_e32 v10, v14, v13, vcc
	v_cndmask_b32_e32 v11, v11, v12, vcc
	v_lshlrev_b32_e32 v12, 24, v2
	v_bfrev_b32_e32 v13, 60
	v_lshlrev_b32_e32 v11, 20, v11
	v_and_b32_e32 v12, 0x80000000, v12
	v_lshl_add_u32 v10, v10, 23, v13
	v_or3_b32 v15, v12, v10, v11
.LBB572_691:
	s_or_b64 exec, exec, s[10:11]
.LBB572_692:
	s_or_b64 exec, exec, s[8:9]
.LBB572_693:
	s_or_b64 exec, exec, s[2:3]
	s_nop 3
	v_lshrrev_b16_e32 v10, 8, v2
	v_cmp_ne_u16_e32 vcc, 0, v10
	v_mov_b32_e32 v11, 0
	v_mov_b32_e32 v12, 0
	s_and_saveexec_b64 s[2:3], vcc
	s_cbranch_execz .LBB572_699
; %bb.694:
	s_movk_i32 s7, 0x80
	v_cmp_ne_u16_e32 vcc, s7, v10
	v_bfrev_b32_e32 v12, 1
	s_and_saveexec_b64 s[8:9], vcc
	s_cbranch_execz .LBB572_698
; %bb.695:
	s_movk_i32 s7, 0x7f
	v_and_b32_e32 v13, 0x7f, v10
	v_cmp_ne_u32_e32 vcc, s7, v13
	v_mov_b32_e32 v12, 0x7f800001
	s_and_saveexec_b64 s[10:11], vcc
	s_cbranch_execz .LBB572_697
; %bb.696:
	v_and_b32_e32 v12, 7, v10
	v_ffbh_u32_e32 v16, v12
	v_min_u32_e32 v18, 32, v16
	v_subrev_u32_e32 v16, 28, v18
	v_lshlrev_b64 v[16:17], v16, v[10:11]
	v_lshrrev_b32_e32 v14, 3, v13
	v_sub_u32_e32 v10, 29, v18
	v_and_b32_e32 v16, 7, v16
	v_cmp_gt_u32_e32 vcc, 8, v13
	v_cndmask_b32_e32 v10, v14, v10, vcc
	v_cndmask_b32_e32 v12, v12, v16, vcc
	v_lshlrev_b32_e32 v13, 16, v2
	v_bfrev_b32_e32 v14, 60
	v_lshlrev_b32_e32 v12, 20, v12
	v_and_b32_e32 v13, 0x80000000, v13
	v_lshl_add_u32 v10, v10, 23, v14
	v_or3_b32 v12, v13, v10, v12
.LBB572_697:
	s_or_b64 exec, exec, s[10:11]
.LBB572_698:
	s_or_b64 exec, exec, s[8:9]
.LBB572_699:
	s_or_b64 exec, exec, s[2:3]
	s_movk_i32 s2, 0xff
	v_and_b32_sdwa v13, v2, s2 dst_sel:DWORD dst_unused:UNUSED_PAD src0_sel:WORD_1 src1_sel:DWORD
	v_lshrrev_b32_e32 v10, 16, v2
	v_cmp_ne_u16_e32 vcc, 0, v13
	s_and_saveexec_b64 s[2:3], vcc
	s_cbranch_execz .LBB572_705
; %bb.700:
	s_movk_i32 s7, 0x80
	v_cmp_ne_u16_e32 vcc, s7, v13
	v_bfrev_b32_e32 v11, 1
	s_and_saveexec_b64 s[8:9], vcc
	s_cbranch_execz .LBB572_704
; %bb.701:
	v_bfe_u32 v13, v2, 16, 7
	s_movk_i32 s7, 0x7f
	v_cmp_ne_u32_e32 vcc, s7, v13
	v_mov_b32_e32 v11, 0x7f800001
	s_and_saveexec_b64 s[10:11], vcc
	s_cbranch_execz .LBB572_703
; %bb.702:
	v_and_b32_e32 v14, 7, v10
	v_ffbh_u32_e32 v11, v14
	v_min_u32_e32 v17, 32, v11
	v_subrev_u32_e32 v11, 28, v17
	v_lshlrev_b64 v[10:11], v11, v[10:11]
	v_lshrrev_b32_e32 v16, 3, v13
	v_sub_u32_e32 v11, 29, v17
	v_and_b32_e32 v10, 7, v10
	v_cmp_gt_u32_e32 vcc, 8, v13
	v_mov_b32_e32 v13, 24
	v_cndmask_b32_e32 v11, v16, v11, vcc
	v_cndmask_b32_e32 v10, v14, v10, vcc
	v_lshlrev_b32_sdwa v13, v13, v2 dst_sel:DWORD dst_unused:UNUSED_PAD src0_sel:DWORD src1_sel:WORD_1
	v_bfrev_b32_e32 v14, 60
	v_lshlrev_b32_e32 v10, 20, v10
	v_and_b32_e32 v13, 0x80000000, v13
	v_lshl_add_u32 v11, v11, 23, v14
	v_or3_b32 v11, v13, v11, v10
.LBB572_703:
	s_or_b64 exec, exec, s[10:11]
.LBB572_704:
	s_or_b64 exec, exec, s[8:9]
.LBB572_705:
	s_or_b64 exec, exec, s[2:3]
	s_mov_b32 s2, 0xffffff
	v_cmp_lt_u32_e32 vcc, s2, v2
	v_mov_b32_e32 v13, 0
	v_mov_b32_e32 v14, 0
	s_and_saveexec_b64 s[2:3], vcc
	s_cbranch_execz .LBB572_711
; %bb.706:
	v_lshrrev_b32_e32 v10, 24, v2
	s_movk_i32 s7, 0x80
	v_cmp_ne_u32_e32 vcc, s7, v10
	v_bfrev_b32_e32 v14, 1
	s_and_saveexec_b64 s[8:9], vcc
	s_cbranch_execz .LBB572_710
; %bb.707:
	v_bfe_u32 v2, v2, 24, 7
	s_movk_i32 s7, 0x7f
	v_cmp_ne_u32_e32 vcc, s7, v2
	v_mov_b32_e32 v14, 0x7f800001
	s_and_saveexec_b64 s[10:11], vcc
	s_cbranch_execz .LBB572_709
; %bb.708:
	v_and_b32_e32 v14, 7, v10
	v_ffbh_u32_e32 v16, v14
	v_min_u32_e32 v19, 32, v16
	v_subrev_u32_e32 v16, 28, v19
	v_lshlrev_b64 v[16:17], v16, v[10:11]
	v_lshrrev_b32_e32 v18, 3, v2
	v_sub_u32_e32 v17, 29, v19
	v_and_b32_e32 v16, 7, v16
	v_cmp_gt_u32_e32 vcc, 8, v2
	v_cndmask_b32_e32 v2, v18, v17, vcc
	v_cndmask_b32_e32 v14, v14, v16, vcc
	v_lshlrev_b32_e32 v10, 24, v10
	v_bfrev_b32_e32 v16, 60
	v_lshlrev_b32_e32 v14, 20, v14
	v_and_b32_e32 v10, 0x80000000, v10
	v_lshl_add_u32 v2, v2, 23, v16
	v_or3_b32 v14, v10, v2, v14
.LBB572_709:
	s_or_b64 exec, exec, s[10:11]
.LBB572_710:
	s_or_b64 exec, exec, s[8:9]
.LBB572_711:
	s_or_b64 exec, exec, s[2:3]
	v_cmp_ne_u16_sdwa s[8:9], v3, v13 src0_sel:BYTE_0 src1_sel:DWORD
	s_and_saveexec_b64 s[2:3], s[8:9]
	s_cbranch_execz .LBB572_717
; %bb.712:
	s_movk_i32 s7, 0x80
	v_cmp_ne_u16_sdwa s[10:11], v3, s7 src0_sel:BYTE_0 src1_sel:DWORD
	v_bfrev_b32_e32 v13, 1
	s_and_saveexec_b64 s[8:9], s[10:11]
	s_cbranch_execz .LBB572_716
; %bb.713:
	s_movk_i32 s7, 0x7f
	v_and_b32_e32 v2, 0x7f, v3
	v_cmp_ne_u32_e32 vcc, s7, v2
	v_mov_b32_e32 v13, 0x7f800001
	s_and_saveexec_b64 s[10:11], vcc
	s_cbranch_execz .LBB572_715
; %bb.714:
	v_and_b32_e32 v13, 7, v3
	v_ffbh_u32_e32 v16, v13
	v_min_u32_e32 v19, 32, v16
	v_mov_b32_e32 v10, v3
	v_subrev_u32_e32 v16, 28, v19
	v_lshlrev_b64 v[16:17], v16, v[10:11]
	v_lshrrev_b32_e32 v18, 3, v2
	v_sub_u32_e32 v10, 29, v19
	v_and_b32_e32 v16, 7, v16
	v_cmp_gt_u32_e32 vcc, 8, v2
	v_cndmask_b32_e32 v2, v18, v10, vcc
	v_cndmask_b32_e32 v10, v13, v16, vcc
	v_lshlrev_b32_e32 v13, 24, v3
	v_bfrev_b32_e32 v16, 60
	v_lshlrev_b32_e32 v10, 20, v10
	v_and_b32_e32 v13, 0x80000000, v13
	v_lshl_add_u32 v2, v2, 23, v16
	v_or3_b32 v13, v13, v2, v10
.LBB572_715:
	s_or_b64 exec, exec, s[10:11]
.LBB572_716:
	s_or_b64 exec, exec, s[8:9]
.LBB572_717:
	s_or_b64 exec, exec, s[2:3]
	v_lshrrev_b16_e32 v2, 8, v3
	v_cmp_ne_u16_e32 vcc, 0, v2
	v_mov_b32_e32 v16, 0
	v_mov_b32_e32 v17, 0
	s_and_saveexec_b64 s[2:3], vcc
	s_cbranch_execz .LBB572_723
; %bb.718:
	s_movk_i32 s7, 0x80
	v_cmp_ne_u16_e32 vcc, s7, v2
	v_bfrev_b32_e32 v17, 1
	s_and_saveexec_b64 s[8:9], vcc
	s_cbranch_execz .LBB572_722
; %bb.719:
	s_movk_i32 s7, 0x7f
	v_and_b32_e32 v10, 0x7f, v2
	v_cmp_ne_u32_e32 vcc, s7, v10
	v_mov_b32_e32 v17, 0x7f800001
	s_and_saveexec_b64 s[10:11], vcc
	s_cbranch_execz .LBB572_721
; %bb.720:
	v_and_b32_e32 v17, 7, v2
	v_ffbh_u32_e32 v18, v17
	v_min_u32_e32 v21, 32, v18
	v_subrev_u32_e32 v18, 28, v21
	v_lshlrev_b64 v[18:19], v18, v[2:3]
	v_lshrrev_b32_e32 v20, 3, v10
	v_sub_u32_e32 v2, 29, v21
	v_and_b32_e32 v18, 7, v18
	v_cmp_gt_u32_e32 vcc, 8, v10
	v_cndmask_b32_e32 v2, v20, v2, vcc
	v_cndmask_b32_e32 v10, v17, v18, vcc
	v_lshlrev_b32_e32 v17, 16, v3
	v_bfrev_b32_e32 v18, 60
	v_lshlrev_b32_e32 v10, 20, v10
	v_and_b32_e32 v17, 0x80000000, v17
	v_lshl_add_u32 v2, v2, 23, v18
	v_or3_b32 v17, v17, v2, v10
.LBB572_721:
	s_or_b64 exec, exec, s[10:11]
.LBB572_722:
	s_or_b64 exec, exec, s[8:9]
.LBB572_723:
	s_or_b64 exec, exec, s[2:3]
	s_movk_i32 s2, 0xff
	v_and_b32_sdwa v10, v3, s2 dst_sel:DWORD dst_unused:UNUSED_PAD src0_sel:WORD_1 src1_sel:DWORD
	v_lshrrev_b32_e32 v2, 16, v3
	v_cmp_ne_u16_e32 vcc, 0, v10
	s_and_saveexec_b64 s[2:3], vcc
	s_cbranch_execz .LBB572_729
; %bb.724:
	s_movk_i32 s7, 0x80
	v_cmp_ne_u16_e32 vcc, s7, v10
	v_bfrev_b32_e32 v16, 1
	s_and_saveexec_b64 s[8:9], vcc
	s_cbranch_execz .LBB572_728
; %bb.725:
	v_bfe_u32 v10, v3, 16, 7
	s_movk_i32 s7, 0x7f
	v_cmp_ne_u32_e32 vcc, s7, v10
	v_mov_b32_e32 v16, 0x7f800001
	s_and_saveexec_b64 s[10:11], vcc
	s_cbranch_execz .LBB572_727
; %bb.726:
	v_and_b32_e32 v16, 7, v2
	v_ffbh_u32_e32 v18, v16
	v_min_u32_e32 v21, 32, v18
	v_subrev_u32_e32 v18, 28, v21
	v_lshlrev_b64 v[18:19], v18, v[2:3]
	v_and_b32_e32 v18, 7, v18
	v_cmp_gt_u32_e32 vcc, 8, v10
	v_lshrrev_b32_e32 v20, 3, v10
	v_sub_u32_e32 v2, 29, v21
	v_cndmask_b32_e32 v10, v16, v18, vcc
	v_mov_b32_e32 v16, 24
	v_cndmask_b32_e32 v2, v20, v2, vcc
	v_lshlrev_b32_sdwa v16, v16, v3 dst_sel:DWORD dst_unused:UNUSED_PAD src0_sel:DWORD src1_sel:WORD_1
	v_bfrev_b32_e32 v18, 60
	v_lshlrev_b32_e32 v10, 20, v10
	v_and_b32_e32 v16, 0x80000000, v16
	v_lshl_add_u32 v2, v2, 23, v18
	v_or3_b32 v16, v16, v2, v10
.LBB572_727:
	s_or_b64 exec, exec, s[10:11]
.LBB572_728:
	s_or_b64 exec, exec, s[8:9]
.LBB572_729:
	s_or_b64 exec, exec, s[2:3]
	s_mov_b32 s2, 0xffffff
	v_cmp_lt_u32_e32 vcc, s2, v3
	v_mov_b32_e32 v10, 0
	v_mov_b32_e32 v18, 0
	s_and_saveexec_b64 s[2:3], vcc
	s_cbranch_execz .LBB572_735
; %bb.730:
	v_lshrrev_b32_e32 v2, 24, v3
	s_movk_i32 s7, 0x80
	v_cmp_ne_u32_e32 vcc, s7, v2
	v_bfrev_b32_e32 v18, 1
	s_and_saveexec_b64 s[8:9], vcc
	s_cbranch_execz .LBB572_734
; %bb.731:
	v_bfe_u32 v3, v3, 24, 7
	s_movk_i32 s7, 0x7f
	v_cmp_ne_u32_e32 vcc, s7, v3
	v_mov_b32_e32 v18, 0x7f800001
	s_and_saveexec_b64 s[10:11], vcc
	s_cbranch_execz .LBB572_733
; %bb.732:
	v_and_b32_e32 v20, 7, v2
	v_ffbh_u32_e32 v18, v20
	v_min_u32_e32 v23, 32, v18
	v_subrev_u32_e32 v18, 28, v23
	v_lshlrev_b64 v[18:19], v18, v[2:3]
	v_lshrrev_b32_e32 v21, 3, v3
	v_sub_u32_e32 v19, 29, v23
	v_and_b32_e32 v18, 7, v18
	v_cmp_gt_u32_e32 vcc, 8, v3
	v_cndmask_b32_e32 v3, v21, v19, vcc
	v_cndmask_b32_e32 v18, v20, v18, vcc
	v_lshlrev_b32_e32 v2, 24, v2
	v_bfrev_b32_e32 v19, 60
	v_lshlrev_b32_e32 v18, 20, v18
	v_and_b32_e32 v2, 0x80000000, v2
	v_lshl_add_u32 v3, v3, 23, v19
	v_or3_b32 v18, v2, v3, v18
.LBB572_733:
	s_or_b64 exec, exec, s[10:11]
.LBB572_734:
	s_or_b64 exec, exec, s[8:9]
.LBB572_735:
	s_or_b64 exec, exec, s[2:3]
	v_cvt_pkrtz_f16_f32 v2, v15, v12
	v_cvt_pkrtz_f16_f32 v3, v11, v14
	ds_read_b128 v[24:27], v22 offset:6144
	v_cmp_ne_u16_sdwa s[8:9], v4, v10 src0_sel:BYTE_0 src1_sel:DWORD
	s_waitcnt lgkmcnt(0)
	v_mfma_f32_16x16x16f16 v[6:9], v[2:3], v[24:25], v[6:9]
	v_cvt_pkrtz_f16_f32 v2, v13, v17
	v_cvt_pkrtz_f16_f32 v3, v16, v18
	s_nop 1
	v_mfma_f32_16x16x16f16 v[6:9], v[2:3], v[26:27], v[6:9]
	s_and_saveexec_b64 s[2:3], s[8:9]
	s_cbranch_execz .LBB572_741
; %bb.736:
	s_movk_i32 s7, 0x80
	v_cmp_ne_u16_sdwa s[10:11], v4, s7 src0_sel:BYTE_0 src1_sel:DWORD
	v_bfrev_b32_e32 v10, 1
	s_and_saveexec_b64 s[8:9], s[10:11]
	s_cbranch_execz .LBB572_740
; %bb.737:
	s_movk_i32 s7, 0x7f
	v_and_b32_e32 v2, 0x7f, v4
	v_cmp_ne_u32_e32 vcc, s7, v2
	v_mov_b32_e32 v10, 0x7f800001
	s_and_saveexec_b64 s[10:11], vcc
	s_cbranch_execz .LBB572_739
; %bb.738:
	v_and_b32_e32 v3, 7, v4
	v_ffbh_u32_e32 v10, v3
	v_min_u32_e32 v13, 32, v10
	v_subrev_u32_e32 v10, 28, v13
	v_lshlrev_b64 v[10:11], v10, v[4:5]
	v_lshrrev_b32_e32 v12, 3, v2
	v_sub_u32_e32 v11, 29, v13
	v_and_b32_e32 v10, 7, v10
	v_cmp_gt_u32_e32 vcc, 8, v2
	v_cndmask_b32_e32 v2, v12, v11, vcc
	v_cndmask_b32_e32 v3, v3, v10, vcc
	v_lshlrev_b32_e32 v10, 24, v4
	v_bfrev_b32_e32 v11, 60
	v_lshlrev_b32_e32 v3, 20, v3
	v_and_b32_e32 v10, 0x80000000, v10
	v_lshl_add_u32 v2, v2, 23, v11
	v_or3_b32 v10, v10, v2, v3
.LBB572_739:
	s_or_b64 exec, exec, s[10:11]
.LBB572_740:
	s_or_b64 exec, exec, s[8:9]
.LBB572_741:
	s_or_b64 exec, exec, s[2:3]
	v_lshrrev_b16_e32 v2, 8, v4
	v_cmp_ne_u16_e32 vcc, 0, v2
	v_mov_b32_e32 v3, 0
	v_mov_b32_e32 v11, 0
	s_and_saveexec_b64 s[2:3], vcc
	s_cbranch_execz .LBB572_747
; %bb.742:
	s_movk_i32 s7, 0x80
	v_cmp_ne_u16_e32 vcc, s7, v2
	v_bfrev_b32_e32 v11, 1
	s_and_saveexec_b64 s[8:9], vcc
	s_cbranch_execz .LBB572_746
; %bb.743:
	s_movk_i32 s7, 0x7f
	v_and_b32_e32 v12, 0x7f, v2
	v_cmp_ne_u32_e32 vcc, s7, v12
	v_mov_b32_e32 v11, 0x7f800001
	s_and_saveexec_b64 s[10:11], vcc
	s_cbranch_execz .LBB572_745
; %bb.744:
	v_and_b32_e32 v11, 7, v2
	v_ffbh_u32_e32 v14, v11
	v_min_u32_e32 v16, 32, v14
	v_subrev_u32_e32 v14, 28, v16
	v_lshlrev_b64 v[14:15], v14, v[2:3]
	v_lshrrev_b32_e32 v13, 3, v12
	v_sub_u32_e32 v2, 29, v16
	v_and_b32_e32 v14, 7, v14
	v_cmp_gt_u32_e32 vcc, 8, v12
	v_cndmask_b32_e32 v2, v13, v2, vcc
	v_cndmask_b32_e32 v11, v11, v14, vcc
	v_lshlrev_b32_e32 v12, 16, v4
	v_bfrev_b32_e32 v13, 60
	v_lshlrev_b32_e32 v11, 20, v11
	v_and_b32_e32 v12, 0x80000000, v12
	v_lshl_add_u32 v2, v2, 23, v13
	v_or3_b32 v11, v12, v2, v11
.LBB572_745:
	s_or_b64 exec, exec, s[10:11]
.LBB572_746:
	s_or_b64 exec, exec, s[8:9]
.LBB572_747:
	s_or_b64 exec, exec, s[2:3]
	s_movk_i32 s2, 0xff
	v_and_b32_sdwa v12, v4, s2 dst_sel:DWORD dst_unused:UNUSED_PAD src0_sel:WORD_1 src1_sel:DWORD
	v_lshrrev_b32_e32 v2, 16, v4
	v_cmp_ne_u16_e32 vcc, 0, v12
	s_and_saveexec_b64 s[2:3], vcc
	s_cbranch_execz .LBB572_753
; %bb.748:
	s_movk_i32 s7, 0x80
	v_cmp_ne_u16_e32 vcc, s7, v12
	v_bfrev_b32_e32 v3, 1
	s_and_saveexec_b64 s[8:9], vcc
	s_cbranch_execz .LBB572_752
; %bb.749:
	v_bfe_u32 v12, v4, 16, 7
	s_movk_i32 s7, 0x7f
	v_cmp_ne_u32_e32 vcc, s7, v12
	v_mov_b32_e32 v3, 0x7f800001
	s_and_saveexec_b64 s[10:11], vcc
	s_cbranch_execz .LBB572_751
; %bb.750:
	v_and_b32_e32 v13, 7, v2
	v_ffbh_u32_e32 v3, v13
	v_min_u32_e32 v15, 32, v3
	v_subrev_u32_e32 v3, 28, v15
	v_lshlrev_b64 v[2:3], v3, v[2:3]
	v_lshrrev_b32_e32 v14, 3, v12
	v_sub_u32_e32 v3, 29, v15
	v_and_b32_e32 v2, 7, v2
	v_cmp_gt_u32_e32 vcc, 8, v12
	v_mov_b32_e32 v12, 24
	v_cndmask_b32_e32 v3, v14, v3, vcc
	v_cndmask_b32_e32 v2, v13, v2, vcc
	v_lshlrev_b32_sdwa v12, v12, v4 dst_sel:DWORD dst_unused:UNUSED_PAD src0_sel:DWORD src1_sel:WORD_1
	v_bfrev_b32_e32 v13, 60
	v_lshlrev_b32_e32 v2, 20, v2
	v_and_b32_e32 v12, 0x80000000, v12
	v_lshl_add_u32 v3, v3, 23, v13
	v_or3_b32 v3, v12, v3, v2
.LBB572_751:
	s_or_b64 exec, exec, s[10:11]
.LBB572_752:
	s_or_b64 exec, exec, s[8:9]
.LBB572_753:
	s_or_b64 exec, exec, s[2:3]
	s_mov_b32 s2, 0xffffff
	v_cmp_lt_u32_e32 vcc, s2, v4
	v_mov_b32_e32 v12, 0
	v_mov_b32_e32 v13, 0
	s_and_saveexec_b64 s[2:3], vcc
	s_cbranch_execz .LBB572_759
; %bb.754:
	v_lshrrev_b32_e32 v2, 24, v4
	s_movk_i32 s7, 0x80
	v_cmp_ne_u32_e32 vcc, s7, v2
	v_bfrev_b32_e32 v13, 1
	s_and_saveexec_b64 s[8:9], vcc
	s_cbranch_execz .LBB572_758
; %bb.755:
	v_bfe_u32 v4, v4, 24, 7
	s_movk_i32 s7, 0x7f
	v_cmp_ne_u32_e32 vcc, s7, v4
	v_mov_b32_e32 v13, 0x7f800001
	s_and_saveexec_b64 s[10:11], vcc
	s_cbranch_execz .LBB572_757
; %bb.756:
	v_and_b32_e32 v13, 7, v2
	v_ffbh_u32_e32 v14, v13
	v_min_u32_e32 v17, 32, v14
	v_subrev_u32_e32 v14, 28, v17
	v_lshlrev_b64 v[14:15], v14, v[2:3]
	v_lshrrev_b32_e32 v16, 3, v4
	v_sub_u32_e32 v15, 29, v17
	v_and_b32_e32 v14, 7, v14
	v_cmp_gt_u32_e32 vcc, 8, v4
	v_cndmask_b32_e32 v4, v16, v15, vcc
	v_cndmask_b32_e32 v13, v13, v14, vcc
	v_lshlrev_b32_e32 v2, 24, v2
	v_bfrev_b32_e32 v14, 60
	v_lshlrev_b32_e32 v13, 20, v13
	v_and_b32_e32 v2, 0x80000000, v2
	v_lshl_add_u32 v4, v4, 23, v14
	v_or3_b32 v13, v2, v4, v13
.LBB572_757:
	s_or_b64 exec, exec, s[10:11]
.LBB572_758:
	s_or_b64 exec, exec, s[8:9]
.LBB572_759:
	s_or_b64 exec, exec, s[2:3]
	v_cmp_ne_u16_sdwa s[8:9], v5, v12 src0_sel:BYTE_0 src1_sel:DWORD
	s_and_saveexec_b64 s[2:3], s[8:9]
	s_cbranch_execz .LBB572_765
; %bb.760:
	s_movk_i32 s7, 0x80
	v_cmp_ne_u16_sdwa s[10:11], v5, s7 src0_sel:BYTE_0 src1_sel:DWORD
	v_bfrev_b32_e32 v12, 1
	s_and_saveexec_b64 s[8:9], s[10:11]
	s_cbranch_execz .LBB572_764
; %bb.761:
	s_movk_i32 s7, 0x7f
	v_and_b32_e32 v2, 0x7f, v5
	v_cmp_ne_u32_e32 vcc, s7, v2
	v_mov_b32_e32 v12, 0x7f800001
	s_and_saveexec_b64 s[10:11], vcc
	s_cbranch_execz .LBB572_763
; %bb.762:
	v_and_b32_e32 v12, 7, v5
	v_ffbh_u32_e32 v14, v12
	v_min_u32_e32 v17, 32, v14
	v_mov_b32_e32 v4, v5
	v_subrev_u32_e32 v14, 28, v17
	v_lshlrev_b64 v[14:15], v14, v[4:5]
	v_lshrrev_b32_e32 v16, 3, v2
	v_sub_u32_e32 v4, 29, v17
	v_and_b32_e32 v14, 7, v14
	v_cmp_gt_u32_e32 vcc, 8, v2
	v_cndmask_b32_e32 v2, v16, v4, vcc
	v_cndmask_b32_e32 v4, v12, v14, vcc
	v_lshlrev_b32_e32 v12, 24, v5
	v_bfrev_b32_e32 v14, 60
	v_lshlrev_b32_e32 v4, 20, v4
	v_and_b32_e32 v12, 0x80000000, v12
	v_lshl_add_u32 v2, v2, 23, v14
	v_or3_b32 v12, v12, v2, v4
.LBB572_763:
	s_or_b64 exec, exec, s[10:11]
.LBB572_764:
	s_or_b64 exec, exec, s[8:9]
.LBB572_765:
	s_or_b64 exec, exec, s[2:3]
	v_lshrrev_b16_e32 v2, 8, v5
	v_cmp_ne_u16_e32 vcc, 0, v2
	v_mov_b32_e32 v4, 0
	v_mov_b32_e32 v14, 0
	s_and_saveexec_b64 s[2:3], vcc
	s_cbranch_execz .LBB572_771
; %bb.766:
	s_movk_i32 s7, 0x80
	v_cmp_ne_u16_e32 vcc, s7, v2
	v_bfrev_b32_e32 v14, 1
	s_and_saveexec_b64 s[8:9], vcc
	s_cbranch_execz .LBB572_770
; %bb.767:
	s_movk_i32 s7, 0x7f
	v_and_b32_e32 v15, 0x7f, v2
	v_cmp_ne_u32_e32 vcc, s7, v15
	v_mov_b32_e32 v14, 0x7f800001
	s_and_saveexec_b64 s[10:11], vcc
	s_cbranch_execz .LBB572_769
; %bb.768:
	v_and_b32_e32 v14, 7, v2
	v_ffbh_u32_e32 v16, v14
	v_min_u32_e32 v19, 32, v16
	v_subrev_u32_e32 v16, 28, v19
	v_lshlrev_b64 v[16:17], v16, v[2:3]
	v_lshrrev_b32_e32 v18, 3, v15
	v_sub_u32_e32 v2, 29, v19
	v_and_b32_e32 v16, 7, v16
	v_cmp_gt_u32_e32 vcc, 8, v15
	v_cndmask_b32_e32 v2, v18, v2, vcc
	v_cndmask_b32_e32 v14, v14, v16, vcc
	v_lshlrev_b32_e32 v15, 16, v5
	v_bfrev_b32_e32 v16, 60
	v_lshlrev_b32_e32 v14, 20, v14
	v_and_b32_e32 v15, 0x80000000, v15
	v_lshl_add_u32 v2, v2, 23, v16
	v_or3_b32 v14, v15, v2, v14
.LBB572_769:
	s_or_b64 exec, exec, s[10:11]
.LBB572_770:
	s_or_b64 exec, exec, s[8:9]
.LBB572_771:
	s_or_b64 exec, exec, s[2:3]
	s_movk_i32 s2, 0xff
	v_and_b32_sdwa v15, v5, s2 dst_sel:DWORD dst_unused:UNUSED_PAD src0_sel:WORD_1 src1_sel:DWORD
	v_lshrrev_b32_e32 v2, 16, v5
	v_cmp_ne_u16_e32 vcc, 0, v15
	s_and_saveexec_b64 s[2:3], vcc
	s_cbranch_execz .LBB572_777
; %bb.772:
	s_movk_i32 s7, 0x80
	v_cmp_ne_u16_e32 vcc, s7, v15
	v_bfrev_b32_e32 v4, 1
	s_and_saveexec_b64 s[8:9], vcc
	s_cbranch_execz .LBB572_776
; %bb.773:
	v_bfe_u32 v15, v5, 16, 7
	s_movk_i32 s7, 0x7f
	v_cmp_ne_u32_e32 vcc, s7, v15
	v_mov_b32_e32 v4, 0x7f800001
	s_and_saveexec_b64 s[10:11], vcc
	s_cbranch_execz .LBB572_775
; %bb.774:
	v_and_b32_e32 v4, 7, v2
	v_ffbh_u32_e32 v16, v4
	v_min_u32_e32 v19, 32, v16
	v_subrev_u32_e32 v16, 28, v19
	v_lshlrev_b64 v[16:17], v16, v[2:3]
	v_lshrrev_b32_e32 v18, 3, v15
	v_sub_u32_e32 v2, 29, v19
	v_and_b32_e32 v16, 7, v16
	v_cmp_gt_u32_e32 vcc, 8, v15
	v_mov_b32_e32 v15, 24
	v_cndmask_b32_e32 v2, v18, v2, vcc
	v_cndmask_b32_e32 v4, v4, v16, vcc
	v_lshlrev_b32_sdwa v15, v15, v5 dst_sel:DWORD dst_unused:UNUSED_PAD src0_sel:DWORD src1_sel:WORD_1
	v_bfrev_b32_e32 v16, 60
	v_lshlrev_b32_e32 v4, 20, v4
	v_and_b32_e32 v15, 0x80000000, v15
	v_lshl_add_u32 v2, v2, 23, v16
	v_or3_b32 v4, v15, v2, v4
.LBB572_775:
	s_or_b64 exec, exec, s[10:11]
.LBB572_776:
	s_or_b64 exec, exec, s[8:9]
.LBB572_777:
	s_or_b64 exec, exec, s[2:3]
	s_mov_b32 s2, 0xffffff
	v_cmp_lt_u32_e32 vcc, s2, v5
	v_mov_b32_e32 v15, 0
	s_and_saveexec_b64 s[2:3], vcc
	s_cbranch_execz .LBB572_783
; %bb.778:
	v_lshrrev_b32_e32 v2, 24, v5
	s_movk_i32 s7, 0x80
	v_cmp_ne_u32_e32 vcc, s7, v2
	v_bfrev_b32_e32 v15, 1
	s_and_saveexec_b64 s[8:9], vcc
	s_cbranch_execz .LBB572_782
; %bb.779:
	v_bfe_u32 v5, v5, 24, 7
	s_movk_i32 s7, 0x7f
	v_cmp_ne_u32_e32 vcc, s7, v5
	v_mov_b32_e32 v15, 0x7f800001
	s_and_saveexec_b64 s[10:11], vcc
	s_cbranch_execz .LBB572_781
; %bb.780:
	v_and_b32_e32 v15, 7, v2
	v_ffbh_u32_e32 v16, v15
	v_min_u32_e32 v19, 32, v16
	v_subrev_u32_e32 v16, 28, v19
	v_lshlrev_b64 v[16:17], v16, v[2:3]
	v_lshrrev_b32_e32 v18, 3, v5
	v_sub_u32_e32 v17, 29, v19
	v_and_b32_e32 v16, 7, v16
	v_cmp_gt_u32_e32 vcc, 8, v5
	v_cndmask_b32_e32 v5, v18, v17, vcc
	v_cndmask_b32_e32 v15, v15, v16, vcc
	v_lshlrev_b32_e32 v2, 24, v2
	v_bfrev_b32_e32 v16, 60
	v_lshlrev_b32_e32 v15, 20, v15
	v_and_b32_e32 v2, 0x80000000, v2
	v_lshl_add_u32 v5, v5, 23, v16
	v_or3_b32 v15, v2, v5, v15
.LBB572_781:
	s_or_b64 exec, exec, s[10:11]
.LBB572_782:
	s_or_b64 exec, exec, s[8:9]
.LBB572_783:
	s_or_b64 exec, exec, s[2:3]
	v_cvt_pkrtz_f16_f32 v2, v10, v11
	v_cvt_pkrtz_f16_f32 v3, v3, v13
	ds_read_b128 v[16:19], v22 offset:6160
	s_load_dword s2, s[42:43], 0x0
	v_cmp_gt_u32_e32 vcc, 64, v0
	s_waitcnt lgkmcnt(0)
	v_mfma_f32_16x16x16f16 v[6:9], v[2:3], v[16:17], v[6:9]
	v_cvt_pkrtz_f16_f32 v2, v12, v14
	v_cvt_pkrtz_f16_f32 v3, v4, v15
	s_and_b64 s[0:1], vcc, s[0:1]
	s_barrier
	v_mfma_f32_16x16x16f16 v[2:5], v[2:3], v[18:19], v[6:9]
	s_nop 7
	s_nop 2
	v_pk_mul_f32 v[4:5], v[4:5], s[2:3] op_sel_hi:[1,0]
	v_pk_mul_f32 v[2:3], v[2:3], s[2:3] op_sel_hi:[1,0]
	v_cvt_f16_f32_e32 v2, v2
	v_cvt_f16_f32_e32 v3, v3
	;; [unrolled: 1-line block ×4, first 2 shown]
	v_pack_b32_f16 v2, v2, v3
	v_pack_b32_f16 v3, v4, v5
	ds_write_b64 v28, v[2:3]
	s_waitcnt lgkmcnt(0)
	s_barrier
	s_and_saveexec_b64 s[2:3], s[0:1]
	s_cbranch_execz .LBB572_786
; %bb.784:
	s_load_dwordx2 s[2:3], s[4:5], 0x68
	s_lshl_b32 s0, s44, 6
	s_mul_i32 s1, s12, s6
	s_mul_hi_u32 s7, s1, s0
	s_mul_i32 s6, s1, s0
	s_lshl_b64 s[6:7], s[6:7], 1
	s_waitcnt lgkmcnt(0)
	s_add_u32 s1, s2, s6
	v_lshlrev_b32_e32 v0, 10, v0
	s_mov_b32 s5, 0
	s_addc_u32 s6, s3, s7
	s_lshl_b32 s4, s24, 6
	v_and_b32_e32 v0, 0x1800, v0
	v_lshlrev_b32_e32 v2, 5, v1
	v_and_b32_e32 v3, 16, v47
	s_lshl_b64 s[2:3], s[4:5], 1
	v_or3_b32 v0, v0, v2, v3
	s_add_u32 s1, s1, s2
	ds_read_b128 v[4:7], v0 offset:256
	s_addc_u32 s2, s6, s3
	ds_read_b128 v[8:11], v0 offset:128
	ds_read_b128 v[12:15], v0
	v_add_u32_e32 v18, s25, v1
	v_mov_b32_e32 v3, s2
	v_add_co_u32_e32 v2, vcc, s1, v46
	v_mad_u64_u32 v[16:17], s[2:3], v18, s0, 0
	v_addc_co_u32_e32 v3, vcc, 0, v3, vcc
	v_lshlrev_b64 v[16:17], 1, v[16:17]
	v_add_co_u32_e32 v16, vcc, v2, v16
	v_addc_co_u32_e32 v17, vcc, v3, v17, vcc
	s_waitcnt lgkmcnt(0)
	global_store_dwordx4 v[16:17], v[12:15], off
	s_nop 0
	v_add_u32_e32 v12, 4, v18
	v_mad_u64_u32 v[12:13], s[2:3], v12, s0, 0
	v_lshlrev_b64 v[12:13], 1, v[12:13]
	v_add_co_u32_e32 v12, vcc, v2, v12
	v_addc_co_u32_e32 v13, vcc, v3, v13, vcc
	global_store_dwordx4 v[12:13], v[8:11], off
	s_nop 0
	v_add_u32_e32 v8, 8, v18
	v_mad_u64_u32 v[8:9], s[2:3], v8, s0, 0
	v_lshlrev_b64 v[8:9], 1, v[8:9]
	v_add_co_u32_e32 v8, vcc, v2, v8
	v_addc_co_u32_e32 v9, vcc, v3, v9, vcc
	v_cmp_ne_u32_e32 vcc, 3, v1
	global_store_dwordx4 v[8:9], v[4:7], off
	s_and_b64 exec, exec, vcc
	s_cbranch_execz .LBB572_786
; %bb.785:
	ds_read_b128 v[4:7], v0 offset:384
	v_add3_u32 v0, s25, v1, 12
	v_mad_u64_u32 v[0:1], s[0:1], v0, s0, 0
	v_lshlrev_b64 v[0:1], 1, v[0:1]
	v_add_co_u32_e32 v0, vcc, v2, v0
	v_addc_co_u32_e32 v1, vcc, v3, v1, vcc
	s_waitcnt lgkmcnt(0)
	global_store_dwordx4 v[0:1], v[4:7], off
.LBB572_786:
	s_endpgm
	.section	.rodata,"a",@progbits
	.p2align	6, 0x0
	.amdhsa_kernel _Z39paged_attention_ll4mi_QKV_mfma16_kernelIDF16_hLN4vllm18Fp8KVCacheDataTypeE1EDF16_Li16ELi64ELi256ELb0ELi15EL8MFMAType0EEvPKT_PKT0_S8_ifPKiSA_SA_iPKfiiiPfSD_PS3_PT2_iSC_SC_
		.amdhsa_group_segment_fixed_size 8192
		.amdhsa_private_segment_fixed_size 0
		.amdhsa_kernarg_size 400
		.amdhsa_user_sgpr_count 6
		.amdhsa_user_sgpr_private_segment_buffer 1
		.amdhsa_user_sgpr_dispatch_ptr 0
		.amdhsa_user_sgpr_queue_ptr 0
		.amdhsa_user_sgpr_kernarg_segment_ptr 1
		.amdhsa_user_sgpr_dispatch_id 0
		.amdhsa_user_sgpr_flat_scratch_init 0
		.amdhsa_user_sgpr_kernarg_preload_length 0
		.amdhsa_user_sgpr_kernarg_preload_offset 0
		.amdhsa_user_sgpr_private_segment_size 0
		.amdhsa_uses_dynamic_stack 0
		.amdhsa_system_sgpr_private_segment_wavefront_offset 0
		.amdhsa_system_sgpr_workgroup_id_x 1
		.amdhsa_system_sgpr_workgroup_id_y 1
		.amdhsa_system_sgpr_workgroup_id_z 1
		.amdhsa_system_sgpr_workgroup_info 0
		.amdhsa_system_vgpr_workitem_id 0
		.amdhsa_next_free_vgpr 61
		.amdhsa_next_free_sgpr 47
		.amdhsa_accum_offset 64
		.amdhsa_reserve_vcc 1
		.amdhsa_reserve_flat_scratch 0
		.amdhsa_float_round_mode_32 0
		.amdhsa_float_round_mode_16_64 0
		.amdhsa_float_denorm_mode_32 3
		.amdhsa_float_denorm_mode_16_64 3
		.amdhsa_dx10_clamp 1
		.amdhsa_ieee_mode 1
		.amdhsa_fp16_overflow 0
		.amdhsa_tg_split 0
		.amdhsa_exception_fp_ieee_invalid_op 0
		.amdhsa_exception_fp_denorm_src 0
		.amdhsa_exception_fp_ieee_div_zero 0
		.amdhsa_exception_fp_ieee_overflow 0
		.amdhsa_exception_fp_ieee_underflow 0
		.amdhsa_exception_fp_ieee_inexact 0
		.amdhsa_exception_int_div_zero 0
	.end_amdhsa_kernel
	.section	.text._Z39paged_attention_ll4mi_QKV_mfma16_kernelIDF16_hLN4vllm18Fp8KVCacheDataTypeE1EDF16_Li16ELi64ELi256ELb0ELi15EL8MFMAType0EEvPKT_PKT0_S8_ifPKiSA_SA_iPKfiiiPfSD_PS3_PT2_iSC_SC_,"axG",@progbits,_Z39paged_attention_ll4mi_QKV_mfma16_kernelIDF16_hLN4vllm18Fp8KVCacheDataTypeE1EDF16_Li16ELi64ELi256ELb0ELi15EL8MFMAType0EEvPKT_PKT0_S8_ifPKiSA_SA_iPKfiiiPfSD_PS3_PT2_iSC_SC_,comdat
.Lfunc_end572:
	.size	_Z39paged_attention_ll4mi_QKV_mfma16_kernelIDF16_hLN4vllm18Fp8KVCacheDataTypeE1EDF16_Li16ELi64ELi256ELb0ELi15EL8MFMAType0EEvPKT_PKT0_S8_ifPKiSA_SA_iPKfiiiPfSD_PS3_PT2_iSC_SC_, .Lfunc_end572-_Z39paged_attention_ll4mi_QKV_mfma16_kernelIDF16_hLN4vllm18Fp8KVCacheDataTypeE1EDF16_Li16ELi64ELi256ELb0ELi15EL8MFMAType0EEvPKT_PKT0_S8_ifPKiSA_SA_iPKfiiiPfSD_PS3_PT2_iSC_SC_
                                        ; -- End function
	.section	.AMDGPU.csdata,"",@progbits
; Kernel info:
; codeLenInByte = 27000
; NumSgprs: 51
; NumVgprs: 61
; NumAgprs: 0
; TotalNumVgprs: 61
; ScratchSize: 0
; MemoryBound: 0
; FloatMode: 240
; IeeeMode: 1
; LDSByteSize: 8192 bytes/workgroup (compile time only)
; SGPRBlocks: 6
; VGPRBlocks: 7
; NumSGPRsForWavesPerEU: 51
; NumVGPRsForWavesPerEU: 61
; AccumOffset: 64
; Occupancy: 8
; WaveLimiterHint : 1
; COMPUTE_PGM_RSRC2:SCRATCH_EN: 0
; COMPUTE_PGM_RSRC2:USER_SGPR: 6
; COMPUTE_PGM_RSRC2:TRAP_HANDLER: 0
; COMPUTE_PGM_RSRC2:TGID_X_EN: 1
; COMPUTE_PGM_RSRC2:TGID_Y_EN: 1
; COMPUTE_PGM_RSRC2:TGID_Z_EN: 1
; COMPUTE_PGM_RSRC2:TIDIG_COMP_CNT: 0
; COMPUTE_PGM_RSRC3_GFX90A:ACCUM_OFFSET: 15
; COMPUTE_PGM_RSRC3_GFX90A:TG_SPLIT: 0
	.section	.text._Z39paged_attention_ll4mi_QKV_mfma16_kernelIDF16_hLN4vllm18Fp8KVCacheDataTypeE1EDF16_Li16ELi64ELi256ELb0ELi16EL8MFMAType0EEvPKT_PKT0_S8_ifPKiSA_SA_iPKfiiiPfSD_PS3_PT2_iSC_SC_,"axG",@progbits,_Z39paged_attention_ll4mi_QKV_mfma16_kernelIDF16_hLN4vllm18Fp8KVCacheDataTypeE1EDF16_Li16ELi64ELi256ELb0ELi16EL8MFMAType0EEvPKT_PKT0_S8_ifPKiSA_SA_iPKfiiiPfSD_PS3_PT2_iSC_SC_,comdat
	.protected	_Z39paged_attention_ll4mi_QKV_mfma16_kernelIDF16_hLN4vllm18Fp8KVCacheDataTypeE1EDF16_Li16ELi64ELi256ELb0ELi16EL8MFMAType0EEvPKT_PKT0_S8_ifPKiSA_SA_iPKfiiiPfSD_PS3_PT2_iSC_SC_ ; -- Begin function _Z39paged_attention_ll4mi_QKV_mfma16_kernelIDF16_hLN4vllm18Fp8KVCacheDataTypeE1EDF16_Li16ELi64ELi256ELb0ELi16EL8MFMAType0EEvPKT_PKT0_S8_ifPKiSA_SA_iPKfiiiPfSD_PS3_PT2_iSC_SC_
	.globl	_Z39paged_attention_ll4mi_QKV_mfma16_kernelIDF16_hLN4vllm18Fp8KVCacheDataTypeE1EDF16_Li16ELi64ELi256ELb0ELi16EL8MFMAType0EEvPKT_PKT0_S8_ifPKiSA_SA_iPKfiiiPfSD_PS3_PT2_iSC_SC_
	.p2align	8
	.type	_Z39paged_attention_ll4mi_QKV_mfma16_kernelIDF16_hLN4vllm18Fp8KVCacheDataTypeE1EDF16_Li16ELi64ELi256ELb0ELi16EL8MFMAType0EEvPKT_PKT0_S8_ifPKiSA_SA_iPKfiiiPfSD_PS3_PT2_iSC_SC_,@function
_Z39paged_attention_ll4mi_QKV_mfma16_kernelIDF16_hLN4vllm18Fp8KVCacheDataTypeE1EDF16_Li16ELi64ELi256ELb0ELi16EL8MFMAType0EEvPKT_PKT0_S8_ifPKiSA_SA_iPKfiiiPfSD_PS3_PT2_iSC_SC_: ; @_Z39paged_attention_ll4mi_QKV_mfma16_kernelIDF16_hLN4vllm18Fp8KVCacheDataTypeE1EDF16_Li16ELi64ELi256ELb0ELi16EL8MFMAType0EEvPKT_PKT0_S8_ifPKiSA_SA_iPKfiiiPfSD_PS3_PT2_iSC_SC_
; %bb.0:
	s_load_dwordx2 s[0:1], s[4:5], 0x30
	s_mov_b32 s24, s7
	s_mov_b64 s[10:11], 0
	s_waitcnt lgkmcnt(0)
	s_cmp_lg_u64 s[0:1], 0
	s_cselect_b64 s[2:3], -1, 0
	s_and_b64 vcc, exec, s[2:3]
	s_cbranch_vccz .LBB573_7
; %bb.1:
	s_add_i32 s12, s6, 1
	s_mov_b32 s13, 0
	s_lshl_b64 s[14:15], s[12:13], 2
	s_add_u32 s14, s0, s14
	s_mov_b32 s7, s13
	s_addc_u32 s15, s1, s15
	s_lshl_b64 s[12:13], s[6:7], 2
	s_add_u32 s12, s0, s12
	s_addc_u32 s13, s1, s13
	s_load_dword s9, s[14:15], 0x0
	s_load_dword s16, s[12:13], 0x0
	s_waitcnt lgkmcnt(0)
	s_sub_i32 s9, s9, s16
	s_cmp_eq_u32 s9, 1
	s_cselect_b64 s[12:13], -1, 0
	s_andn2_b64 vcc, exec, s[10:11]
	s_cbranch_vccnz .LBB573_3
.LBB573_2:
	s_mov_b32 s7, 0
	s_mov_b64 s[12:13], -1
.LBB573_3:
	s_andn2_b64 vcc, exec, s[12:13]
	s_cbranch_vccnz .LBB573_785
; %bb.4:
	s_load_dwordx2 s[12:13], s[4:5], 0x28
	s_lshl_b64 s[10:11], s[6:7], 2
	s_waitcnt lgkmcnt(0)
	s_add_u32 s12, s12, s10
	s_addc_u32 s13, s13, s11
	s_load_dword s33, s[12:13], 0x0
	s_lshl_b32 s20, s24, 8
	s_waitcnt lgkmcnt(0)
	s_cmp_ge_i32 s20, s33
	s_cbranch_scc1 .LBB573_785
; %bb.5:
	s_add_i32 s14, s33, 15
	s_load_dwordx2 s[12:13], s[4:5], 0x20
	s_load_dword s9, s[4:5], 0x38
	s_ashr_i32 s15, s14, 31
	v_and_b32_e32 v1, 0xcf, v0
	s_lshr_b32 s15, s15, 28
	v_add_u32_e32 v1, s20, v1
	s_add_i32 s14, s14, s15
	v_ashrrev_i32_e32 v2, 31, v1
	s_ashr_i32 s22, s14, 4
	v_lshrrev_b32_e32 v4, 28, v2
	s_add_i32 s22, s22, -1
	v_add_u32_e32 v2, v1, v4
	s_waitcnt lgkmcnt(0)
	s_mul_i32 s14, s6, s9
	s_mov_b32 s15, 0
	v_ashrrev_i32_e32 v2, 4, v2
	v_mov_b32_e32 v5, s22
	v_cmp_gt_i32_e32 vcc, s33, v1
	s_lshl_b64 s[14:15], s[14:15], 2
	v_cndmask_b32_e32 v2, v5, v2, vcc
	s_add_u32 s9, s12, s14
	v_ashrrev_i32_e32 v3, 31, v2
	s_addc_u32 s21, s13, s15
	v_lshlrev_b64 v[2:3], 2, v[2:3]
	v_mov_b32_e32 v7, s21
	v_add_co_u32_e32 v6, vcc, s9, v2
	v_or_b32_e32 v2, 16, v1
	v_addc_co_u32_e32 v7, vcc, v7, v3, vcc
	v_add_u32_e32 v3, v2, v4
	v_ashrrev_i32_e32 v3, 4, v3
	v_cmp_gt_i32_e32 vcc, s33, v2
	v_cndmask_b32_e32 v2, v5, v3, vcc
	v_ashrrev_i32_e32 v3, 31, v2
	v_lshlrev_b64 v[2:3], 2, v[2:3]
	v_mov_b32_e32 v9, s21
	v_add_co_u32_e32 v8, vcc, s9, v2
	v_or_b32_e32 v2, 32, v1
	v_addc_co_u32_e32 v9, vcc, v9, v3, vcc
	v_add_u32_e32 v3, v2, v4
	v_ashrrev_i32_e32 v3, 4, v3
	v_cmp_gt_i32_e32 vcc, s33, v2
	v_cndmask_b32_e32 v2, v5, v3, vcc
	v_ashrrev_i32_e32 v3, 31, v2
	;; [unrolled: 10-line block ×3, first 2 shown]
	v_lshlrev_b64 v[2:3], 2, v[2:3]
	v_mov_b32_e32 v1, s21
	v_add_co_u32_e32 v12, vcc, s9, v2
	v_addc_co_u32_e32 v13, vcc, v1, v3, vcc
	global_load_dword v4, v[6:7], off
	global_load_dword v5, v[8:9], off
	;; [unrolled: 1-line block ×4, first 2 shown]
	s_load_dwordx4 s[12:15], s[4:5], 0x8
	s_andn2_b64 vcc, exec, s[2:3]
	s_cbranch_vccnz .LBB573_8
; %bb.6:
	s_add_u32 s0, s0, s10
	s_addc_u32 s1, s1, s11
	s_load_dword s10, s[0:1], 0x0
	s_branch .LBB573_9
.LBB573_7:
	s_mov_b64 s[12:13], 0
	s_branch .LBB573_2
.LBB573_8:
	s_mov_b32 s10, s6
.LBB573_9:
	s_load_dwordx4 s[16:19], s[4:5], 0x48
	v_and_b32_e32 v50, 15, v0
	s_movk_i32 s0, 0x100
	v_lshlrev_b32_e32 v6, 3, v50
	v_cmp_gt_u32_e32 vcc, s0, v0
	v_cmp_gt_u32_e64 s[0:1], 8, v50
	v_lshrrev_b32_e32 v49, 6, v0
	v_bfe_u32 v1, v0, 4, 2
	s_lshl_b32 s25, s8, 4
	s_and_b64 s[26:27], vcc, s[0:1]
	v_lshlrev_b32_e32 v46, 1, v6
	v_lshlrev_b32_e32 v47, 4, v0
	s_and_saveexec_b64 s[2:3], s[26:27]
	s_cbranch_execz .LBB573_11
; %bb.10:
	s_load_dwordx2 s[26:27], s[4:5], 0x0
	s_waitcnt lgkmcnt(0)
	s_ashr_i32 s11, s16, 31
	s_mul_hi_u32 s19, s10, s16
	s_mul_i32 s11, s10, s11
	v_lshl_or_b32 v10, v49, 2, v1
	s_add_i32 s11, s19, s11
	s_mul_i32 s10, s10, s16
	s_lshl_b64 s[10:11], s[10:11], 1
	v_add_lshl_u32 v6, v10, s25, 6
	s_add_u32 s10, s26, s10
	v_ashrrev_i32_e32 v7, 31, v6
	s_addc_u32 s11, s27, s11
	v_lshlrev_b64 v[6:7], 1, v[6:7]
	v_mov_b32_e32 v8, s11
	v_add_co_u32_e32 v6, vcc, s10, v6
	v_addc_co_u32_e32 v7, vcc, v8, v7, vcc
	v_add_co_u32_e32 v6, vcc, v6, v46
	v_addc_co_u32_e32 v7, vcc, 0, v7, vcc
	global_load_dwordx4 v[6:9], v[6:7], off
	v_lshlrev_b32_e32 v12, 8, v50
	v_lshlrev_b32_e32 v10, 5, v10
	v_and_b32_e32 v11, 16, v47
	v_and_b32_e32 v12, 0xe00, v12
	v_or3_b32 v10, v12, v10, v11
	s_waitcnt vmcnt(0)
	ds_write_b128 v10, v[6:9]
.LBB573_11:
	s_or_b64 exec, exec, s[2:3]
	v_and_b32_e32 v12, 48, v0
	v_or_b32_e32 v13, s20, v12
	v_ashrrev_i32_e32 v6, 4, v13
	v_mov_b32_e32 v14, s22
	v_cmp_gt_i32_e32 vcc, s33, v13
	v_cndmask_b32_e32 v6, v14, v6, vcc
	v_ashrrev_i32_e32 v7, 31, v6
	v_lshlrev_b64 v[6:7], 2, v[6:7]
	v_mov_b32_e32 v8, s21
	v_add_co_u32_e32 v6, vcc, s9, v6
	v_addc_co_u32_e32 v7, vcc, v8, v7, vcc
	v_or_b32_e32 v8, 64, v13
	v_ashrrev_i32_e32 v9, 4, v8
	v_cmp_gt_i32_e32 vcc, s33, v8
	v_cndmask_b32_e32 v8, v14, v9, vcc
	v_ashrrev_i32_e32 v9, 31, v8
	v_lshlrev_b64 v[8:9], 2, v[8:9]
	v_mov_b32_e32 v10, s21
	v_add_co_u32_e32 v8, vcc, s9, v8
	v_addc_co_u32_e32 v9, vcc, v10, v9, vcc
	v_or_b32_e32 v10, 0x80, v13
	v_ashrrev_i32_e32 v11, 4, v10
	v_cmp_gt_i32_e32 vcc, s33, v10
	v_cndmask_b32_e32 v10, v14, v11, vcc
	v_ashrrev_i32_e32 v11, 31, v10
	v_lshlrev_b64 v[10:11], 2, v[10:11]
	v_mov_b32_e32 v15, s21
	v_add_co_u32_e32 v10, vcc, s9, v10
	s_load_dwordx2 s[44:45], s[4:5], 0x94
	s_load_dwordx4 s[40:43], s[4:5], 0x80
	s_waitcnt lgkmcnt(0)
	s_barrier
	v_addc_co_u32_e32 v11, vcc, v15, v11, vcc
	global_load_dword v15, v[6:7], off
	global_load_dword v16, v[8:9], off
	;; [unrolled: 1-line block ×3, first 2 shown]
	v_or_b32_e32 v6, 0xc0, v13
	v_ashrrev_i32_e32 v7, 4, v6
	v_cmp_gt_i32_e32 vcc, s33, v6
	v_cndmask_b32_e32 v6, v14, v7, vcc
	v_ashrrev_i32_e32 v7, 31, v6
	v_lshlrev_b64 v[6:7], 2, v[6:7]
	v_mov_b32_e32 v8, s21
	v_add_co_u32_e32 v6, vcc, s9, v6
	v_addc_co_u32_e32 v7, vcc, v8, v7, vcc
	global_load_dword v20, v[6:7], off
	s_mul_i32 s8, s8, s18
	s_add_u32 s2, s12, s8
	s_addc_u32 s3, s13, 0
	v_and_b32_e32 v6, 0xf0, v47
	v_mov_b32_e32 v7, s3
	v_add_co_u32_e32 v6, vcc, s2, v6
	v_addc_co_u32_e32 v7, vcc, 0, v7, vcc
	v_lshlrev_b32_e32 v8, 4, v12
	v_add_co_u32_e32 v6, vcc, v6, v8
	v_addc_co_u32_e32 v7, vcc, 0, v7, vcc
	s_waitcnt vmcnt(7)
	v_mad_i64_i32 v[8:9], s[2:3], v4, s17, v[6:7]
	s_waitcnt vmcnt(6)
	v_mad_i64_i32 v[4:5], s[2:3], v5, s17, v[6:7]
	global_load_dwordx4 v[30:33], v[8:9], off
	global_load_dwordx4 v[38:41], v[4:5], off
	s_waitcnt vmcnt(7)
	v_mad_i64_i32 v[4:5], s[2:3], v2, s17, v[6:7]
	s_waitcnt vmcnt(6)
	v_mad_i64_i32 v[2:3], s[2:3], v3, s17, v[6:7]
	global_load_dwordx4 v[34:37], v[4:5], off
	global_load_dwordx4 v[22:25], v[2:3], off
	s_add_u32 s2, s14, s8
	v_lshlrev_b32_e32 v2, 4, v50
	s_addc_u32 s3, s15, 0
	v_lshl_or_b32 v2, v49, 8, v2
	v_mov_b32_e32 v3, s3
	v_add_co_u32_e32 v2, vcc, s2, v2
	v_addc_co_u32_e32 v3, vcc, 0, v3, vcc
	v_lshlrev_b32_e32 v51, 5, v50
	v_lshl_or_b32 v48, v1, 9, v51
	v_mov_b32_e32 v43, 0
	s_movk_i32 s8, 0x80
	v_mov_b32_e32 v44, 0
	s_waitcnt vmcnt(7)
	v_mad_i64_i32 v[4:5], s[2:3], v15, s17, v[2:3]
	s_waitcnt vmcnt(6)
	v_mad_i64_i32 v[6:7], s[2:3], v16, s17, v[2:3]
	;; [unrolled: 2-line block ×3, first 2 shown]
	global_load_dwordx4 v[14:17], v[4:5], off
	global_load_dwordx4 v[10:13], v[6:7], off
	s_waitcnt vmcnt(6)
	v_mad_i64_i32 v[20:21], s[2:3], v20, s17, v[2:3]
	global_load_dwordx4 v[6:9], v[18:19], off
	global_load_dwordx4 v[2:5], v[20:21], off
	ds_read_b128 v[26:29], v48
	ds_read_b128 v[18:21], v48 offset:16
	s_load_dword s12, s[40:41], 0x0
	s_waitcnt vmcnt(7)
	v_cmp_ne_u16_sdwa s[10:11], v30, v43 src0_sel:BYTE_0 src1_sel:DWORD
	s_and_saveexec_b64 s[2:3], s[10:11]
	s_cbranch_execz .LBB573_17
; %bb.12:
	v_cmp_ne_u16_sdwa s[10:11], v30, s8 src0_sel:BYTE_0 src1_sel:DWORD
	v_bfrev_b32_e32 v44, 1
	s_and_saveexec_b64 s[8:9], s[10:11]
	s_cbranch_execz .LBB573_16
; %bb.13:
	s_movk_i32 s10, 0x7f
	v_and_b32_e32 v42, 0x7f, v30
	v_cmp_ne_u32_e32 vcc, s10, v42
	v_mov_b32_e32 v44, 0x7f800001
	s_and_saveexec_b64 s[10:11], vcc
	s_cbranch_execz .LBB573_15
; %bb.14:
	v_and_b32_e32 v52, 7, v30
	v_ffbh_u32_e32 v44, v52
	v_min_u32_e32 v54, 32, v44
	v_subrev_u32_e32 v44, 28, v54
	v_lshlrev_b64 v[44:45], v44, v[30:31]
	v_lshrrev_b32_e32 v53, 3, v42
	v_sub_u32_e32 v45, 29, v54
	v_and_b32_e32 v44, 7, v44
	v_cmp_gt_u32_e32 vcc, 8, v42
	v_cndmask_b32_e32 v42, v53, v45, vcc
	v_cndmask_b32_e32 v44, v52, v44, vcc
	v_lshlrev_b32_e32 v45, 24, v30
	v_bfrev_b32_e32 v52, 60
	v_lshlrev_b32_e32 v44, 20, v44
	v_and_b32_e32 v45, 0x80000000, v45
	v_lshl_add_u32 v42, v42, 23, v52
	v_or3_b32 v44, v45, v42, v44
.LBB573_15:
	s_or_b64 exec, exec, s[10:11]
.LBB573_16:
	s_or_b64 exec, exec, s[8:9]
.LBB573_17:
	s_or_b64 exec, exec, s[2:3]
	v_lshrrev_b16_e32 v42, 8, v30
	v_cmp_ne_u16_e32 vcc, 0, v42
	s_and_saveexec_b64 s[2:3], vcc
	s_cbranch_execz .LBB573_23
; %bb.18:
	s_movk_i32 s8, 0x80
	v_cmp_ne_u16_e32 vcc, s8, v42
	v_bfrev_b32_e32 v43, 1
	s_and_saveexec_b64 s[8:9], vcc
	s_cbranch_execz .LBB573_22
; %bb.19:
	s_movk_i32 s10, 0x7f
	v_and_b32_e32 v45, 0x7f, v42
	v_cmp_ne_u32_e32 vcc, s10, v45
	v_mov_b32_e32 v43, 0x7f800001
	s_and_saveexec_b64 s[10:11], vcc
	s_cbranch_execz .LBB573_21
; %bb.20:
	v_and_b32_e32 v52, 7, v42
	v_ffbh_u32_e32 v43, v52
	v_min_u32_e32 v54, 32, v43
	v_subrev_u32_e32 v43, 28, v54
	v_lshlrev_b64 v[42:43], v43, v[42:43]
	v_lshrrev_b32_e32 v53, 3, v45
	v_sub_u32_e32 v43, 29, v54
	v_and_b32_e32 v42, 7, v42
	v_cmp_gt_u32_e32 vcc, 8, v45
	v_cndmask_b32_e32 v43, v53, v43, vcc
	v_cndmask_b32_e32 v42, v52, v42, vcc
	v_lshlrev_b32_e32 v45, 16, v30
	v_bfrev_b32_e32 v52, 60
	v_lshlrev_b32_e32 v42, 20, v42
	v_and_b32_e32 v45, 0x80000000, v45
	v_lshl_add_u32 v43, v43, 23, v52
	v_or3_b32 v43, v45, v43, v42
.LBB573_21:
	s_or_b64 exec, exec, s[10:11]
.LBB573_22:
	s_or_b64 exec, exec, s[8:9]
.LBB573_23:
	s_or_b64 exec, exec, s[2:3]
	s_movk_i32 s2, 0xff
	v_and_b32_sdwa v53, v30, s2 dst_sel:DWORD dst_unused:UNUSED_PAD src0_sel:WORD_1 src1_sel:DWORD
	v_lshrrev_b32_e32 v42, 16, v30
	v_cmp_ne_u16_e32 vcc, 0, v53
	v_mov_b32_e32 v45, 0
	v_mov_b32_e32 v52, 0
	s_and_saveexec_b64 s[2:3], vcc
	s_cbranch_execz .LBB573_29
; %bb.24:
	s_movk_i32 s8, 0x80
	v_cmp_ne_u16_e32 vcc, s8, v53
	v_bfrev_b32_e32 v52, 1
	s_and_saveexec_b64 s[8:9], vcc
	s_cbranch_execz .LBB573_28
; %bb.25:
	v_bfe_u32 v53, v30, 16, 7
	s_movk_i32 s10, 0x7f
	v_cmp_ne_u32_e32 vcc, s10, v53
	v_mov_b32_e32 v52, 0x7f800001
	s_and_saveexec_b64 s[10:11], vcc
	s_cbranch_execz .LBB573_27
; %bb.26:
	v_and_b32_e32 v52, 7, v42
	v_ffbh_u32_e32 v54, v52
	v_min_u32_e32 v57, 32, v54
	v_subrev_u32_e32 v54, 28, v57
	v_lshlrev_b64 v[54:55], v54, v[42:43]
	v_lshrrev_b32_e32 v56, 3, v53
	v_sub_u32_e32 v42, 29, v57
	v_and_b32_e32 v54, 7, v54
	v_cmp_gt_u32_e32 vcc, 8, v53
	v_mov_b32_e32 v53, 24
	v_cndmask_b32_e32 v42, v56, v42, vcc
	v_cndmask_b32_e32 v52, v52, v54, vcc
	v_lshlrev_b32_sdwa v53, v53, v30 dst_sel:DWORD dst_unused:UNUSED_PAD src0_sel:DWORD src1_sel:WORD_1
	v_bfrev_b32_e32 v54, 60
	v_lshlrev_b32_e32 v52, 20, v52
	v_and_b32_e32 v53, 0x80000000, v53
	v_lshl_add_u32 v42, v42, 23, v54
	v_or3_b32 v52, v53, v42, v52
.LBB573_27:
	s_or_b64 exec, exec, s[10:11]
.LBB573_28:
	s_or_b64 exec, exec, s[8:9]
.LBB573_29:
	s_or_b64 exec, exec, s[2:3]
	s_mov_b32 s2, 0xffffff
	v_cmp_lt_u32_e32 vcc, s2, v30
	s_and_saveexec_b64 s[2:3], vcc
	s_cbranch_execz .LBB573_35
; %bb.30:
	v_lshrrev_b32_e32 v42, 24, v30
	s_movk_i32 s8, 0x80
	v_cmp_ne_u32_e32 vcc, s8, v42
	v_bfrev_b32_e32 v45, 1
	s_and_saveexec_b64 s[8:9], vcc
	s_cbranch_execz .LBB573_34
; %bb.31:
	v_bfe_u32 v30, v30, 24, 7
	s_movk_i32 s10, 0x7f
	v_cmp_ne_u32_e32 vcc, s10, v30
	v_mov_b32_e32 v45, 0x7f800001
	s_and_saveexec_b64 s[10:11], vcc
	s_cbranch_execz .LBB573_33
; %bb.32:
	v_and_b32_e32 v45, 7, v42
	v_ffbh_u32_e32 v54, v45
	v_min_u32_e32 v56, 32, v54
	v_subrev_u32_e32 v54, 28, v56
	v_lshlrev_b64 v[54:55], v54, v[42:43]
	v_lshrrev_b32_e32 v53, 3, v30
	v_sub_u32_e32 v55, 29, v56
	v_and_b32_e32 v54, 7, v54
	v_cmp_gt_u32_e32 vcc, 8, v30
	v_cndmask_b32_e32 v30, v53, v55, vcc
	v_cndmask_b32_e32 v45, v45, v54, vcc
	v_lshlrev_b32_e32 v42, 24, v42
	v_bfrev_b32_e32 v53, 60
	v_lshlrev_b32_e32 v45, 20, v45
	v_and_b32_e32 v42, 0x80000000, v42
	v_lshl_add_u32 v30, v30, 23, v53
	v_or3_b32 v45, v42, v30, v45
.LBB573_33:
	s_or_b64 exec, exec, s[10:11]
.LBB573_34:
	s_or_b64 exec, exec, s[8:9]
.LBB573_35:
	s_or_b64 exec, exec, s[2:3]
	v_mov_b32_e32 v42, 0
	v_cmp_ne_u16_sdwa s[8:9], v31, v42 src0_sel:BYTE_0 src1_sel:DWORD
	v_mov_b32_e32 v53, 0
	s_and_saveexec_b64 s[2:3], s[8:9]
	s_cbranch_execz .LBB573_41
; %bb.36:
	s_movk_i32 s8, 0x80
	v_cmp_ne_u16_sdwa s[10:11], v31, s8 src0_sel:BYTE_0 src1_sel:DWORD
	v_bfrev_b32_e32 v53, 1
	s_and_saveexec_b64 s[8:9], s[10:11]
	s_cbranch_execz .LBB573_40
; %bb.37:
	s_movk_i32 s10, 0x7f
	v_and_b32_e32 v30, 0x7f, v31
	v_cmp_ne_u32_e32 vcc, s10, v30
	v_mov_b32_e32 v53, 0x7f800001
	s_and_saveexec_b64 s[10:11], vcc
	s_cbranch_execz .LBB573_39
; %bb.38:
	v_and_b32_e32 v53, 7, v31
	v_ffbh_u32_e32 v55, v53
	v_min_u32_e32 v57, 32, v55
	v_mov_b32_e32 v54, v31
	v_subrev_u32_e32 v55, 28, v57
	v_lshlrev_b64 v[54:55], v55, v[54:55]
	v_lshrrev_b32_e32 v56, 3, v30
	v_sub_u32_e32 v55, 29, v57
	v_and_b32_e32 v54, 7, v54
	v_cmp_gt_u32_e32 vcc, 8, v30
	v_cndmask_b32_e32 v30, v56, v55, vcc
	v_cndmask_b32_e32 v53, v53, v54, vcc
	v_lshlrev_b32_e32 v54, 24, v31
	v_bfrev_b32_e32 v55, 60
	v_lshlrev_b32_e32 v53, 20, v53
	v_and_b32_e32 v54, 0x80000000, v54
	v_lshl_add_u32 v30, v30, 23, v55
	v_or3_b32 v53, v54, v30, v53
.LBB573_39:
	s_or_b64 exec, exec, s[10:11]
.LBB573_40:
	s_or_b64 exec, exec, s[8:9]
.LBB573_41:
	s_or_b64 exec, exec, s[2:3]
	v_lshrrev_b16_e32 v30, 8, v31
	v_cmp_ne_u16_e32 vcc, 0, v30
	s_and_saveexec_b64 s[2:3], vcc
	s_cbranch_execz .LBB573_47
; %bb.42:
	s_movk_i32 s8, 0x80
	v_cmp_ne_u16_e32 vcc, s8, v30
	v_bfrev_b32_e32 v42, 1
	s_and_saveexec_b64 s[8:9], vcc
	s_cbranch_execz .LBB573_46
; %bb.43:
	s_movk_i32 s10, 0x7f
	v_and_b32_e32 v54, 0x7f, v30
	v_cmp_ne_u32_e32 vcc, s10, v54
	v_mov_b32_e32 v42, 0x7f800001
	s_and_saveexec_b64 s[10:11], vcc
	s_cbranch_execz .LBB573_45
; %bb.44:
	v_and_b32_e32 v42, 7, v30
	v_ffbh_u32_e32 v56, v42
	v_min_u32_e32 v58, 32, v56
	v_subrev_u32_e32 v56, 28, v58
	v_lshlrev_b64 v[56:57], v56, v[30:31]
	v_lshrrev_b32_e32 v55, 3, v54
	v_sub_u32_e32 v30, 29, v58
	v_and_b32_e32 v56, 7, v56
	v_cmp_gt_u32_e32 vcc, 8, v54
	v_cndmask_b32_e32 v30, v55, v30, vcc
	v_cndmask_b32_e32 v42, v42, v56, vcc
	v_lshlrev_b32_e32 v54, 16, v31
	v_bfrev_b32_e32 v55, 60
	v_lshlrev_b32_e32 v42, 20, v42
	v_and_b32_e32 v54, 0x80000000, v54
	v_lshl_add_u32 v30, v30, 23, v55
	v_or3_b32 v42, v54, v30, v42
.LBB573_45:
	s_or_b64 exec, exec, s[10:11]
.LBB573_46:
	s_or_b64 exec, exec, s[8:9]
.LBB573_47:
	s_or_b64 exec, exec, s[2:3]
	s_movk_i32 s2, 0xff
	v_and_b32_sdwa v56, v31, s2 dst_sel:DWORD dst_unused:UNUSED_PAD src0_sel:WORD_1 src1_sel:DWORD
	v_lshrrev_b32_e32 v30, 16, v31
	v_cmp_ne_u16_e32 vcc, 0, v56
	v_mov_b32_e32 v54, 0
	v_mov_b32_e32 v55, 0
	s_and_saveexec_b64 s[2:3], vcc
	s_cbranch_execz .LBB573_53
; %bb.48:
	s_movk_i32 s8, 0x80
	v_cmp_ne_u16_e32 vcc, s8, v56
	v_bfrev_b32_e32 v55, 1
	s_and_saveexec_b64 s[8:9], vcc
	s_cbranch_execz .LBB573_52
; %bb.49:
	v_bfe_u32 v56, v31, 16, 7
	s_movk_i32 s10, 0x7f
	v_cmp_ne_u32_e32 vcc, s10, v56
	v_mov_b32_e32 v55, 0x7f800001
	s_and_saveexec_b64 s[10:11], vcc
	s_cbranch_execz .LBB573_51
; %bb.50:
	v_and_b32_e32 v55, 7, v30
	v_ffbh_u32_e32 v58, v55
	v_min_u32_e32 v60, 32, v58
	v_subrev_u32_e32 v58, 28, v60
	v_lshlrev_b64 v[58:59], v58, v[30:31]
	v_lshrrev_b32_e32 v57, 3, v56
	v_sub_u32_e32 v30, 29, v60
	v_and_b32_e32 v58, 7, v58
	v_cmp_gt_u32_e32 vcc, 8, v56
	v_mov_b32_e32 v56, 24
	v_cndmask_b32_e32 v30, v57, v30, vcc
	v_cndmask_b32_e32 v55, v55, v58, vcc
	v_lshlrev_b32_sdwa v56, v56, v31 dst_sel:DWORD dst_unused:UNUSED_PAD src0_sel:DWORD src1_sel:WORD_1
	v_bfrev_b32_e32 v57, 60
	v_lshlrev_b32_e32 v55, 20, v55
	v_and_b32_e32 v56, 0x80000000, v56
	v_lshl_add_u32 v30, v30, 23, v57
	v_or3_b32 v55, v56, v30, v55
.LBB573_51:
	s_or_b64 exec, exec, s[10:11]
.LBB573_52:
	s_or_b64 exec, exec, s[8:9]
.LBB573_53:
	s_or_b64 exec, exec, s[2:3]
	s_mov_b32 s2, 0xffffff
	v_cmp_lt_u32_e32 vcc, s2, v31
	s_and_saveexec_b64 s[2:3], vcc
	s_cbranch_execz .LBB573_59
; %bb.54:
	v_lshrrev_b32_e32 v30, 24, v31
	s_movk_i32 s8, 0x80
	v_cmp_ne_u32_e32 vcc, s8, v30
	v_bfrev_b32_e32 v54, 1
	s_and_saveexec_b64 s[8:9], vcc
	s_cbranch_execz .LBB573_58
; %bb.55:
	v_bfe_u32 v31, v31, 24, 7
	s_movk_i32 s10, 0x7f
	v_cmp_ne_u32_e32 vcc, s10, v31
	v_mov_b32_e32 v54, 0x7f800001
	s_and_saveexec_b64 s[10:11], vcc
	s_cbranch_execz .LBB573_57
; %bb.56:
	v_and_b32_e32 v54, 7, v30
	v_ffbh_u32_e32 v56, v54
	v_min_u32_e32 v59, 32, v56
	v_subrev_u32_e32 v56, 28, v59
	v_lshlrev_b64 v[56:57], v56, v[30:31]
	v_lshrrev_b32_e32 v58, 3, v31
	v_sub_u32_e32 v57, 29, v59
	v_and_b32_e32 v56, 7, v56
	v_cmp_gt_u32_e32 vcc, 8, v31
	v_cndmask_b32_e32 v31, v58, v57, vcc
	v_cndmask_b32_e32 v54, v54, v56, vcc
	v_lshlrev_b32_e32 v30, 24, v30
	v_bfrev_b32_e32 v56, 60
	v_lshlrev_b32_e32 v54, 20, v54
	v_and_b32_e32 v30, 0x80000000, v30
	v_lshl_add_u32 v31, v31, 23, v56
	v_or3_b32 v54, v30, v31, v54
.LBB573_57:
	s_or_b64 exec, exec, s[10:11]
.LBB573_58:
	s_or_b64 exec, exec, s[8:9]
.LBB573_59:
	s_or_b64 exec, exec, s[2:3]
	v_cvt_pkrtz_f16_f32 v30, v44, v43
	v_cvt_pkrtz_f16_f32 v31, v52, v45
	;; [unrolled: 1-line block ×4, first 2 shown]
	v_mov_b32_e32 v53, 0
	s_waitcnt lgkmcnt(0)
	v_mfma_f32_16x16x16f16 v[56:59], v[30:31], v[26:27], 0
	v_mov_b32_e32 v31, 0
	v_cmp_ne_u16_sdwa s[8:9], v32, v31 src0_sel:BYTE_0 src1_sel:DWORD
	v_mfma_f32_16x16x16f16 v[42:45], v[42:43], v[28:29], v[56:59]
	s_and_saveexec_b64 s[2:3], s[8:9]
	s_cbranch_execz .LBB573_65
; %bb.60:
	s_movk_i32 s8, 0x80
	v_cmp_ne_u16_sdwa s[10:11], v32, s8 src0_sel:BYTE_0 src1_sel:DWORD
	v_bfrev_b32_e32 v53, 1
	s_and_saveexec_b64 s[8:9], s[10:11]
	s_cbranch_execz .LBB573_64
; %bb.61:
	s_movk_i32 s10, 0x7f
	v_and_b32_e32 v30, 0x7f, v32
	v_cmp_ne_u32_e32 vcc, s10, v30
	v_mov_b32_e32 v53, 0x7f800001
	s_and_saveexec_b64 s[10:11], vcc
	s_cbranch_execz .LBB573_63
; %bb.62:
	v_and_b32_e32 v54, 7, v32
	v_ffbh_u32_e32 v52, v54
	v_min_u32_e32 v56, 32, v52
	v_subrev_u32_e32 v52, 28, v56
	v_lshlrev_b64 v[52:53], v52, v[32:33]
	v_lshrrev_b32_e32 v55, 3, v30
	v_sub_u32_e32 v53, 29, v56
	v_and_b32_e32 v52, 7, v52
	v_cmp_gt_u32_e32 vcc, 8, v30
	v_cndmask_b32_e32 v30, v55, v53, vcc
	v_cndmask_b32_e32 v52, v54, v52, vcc
	v_lshlrev_b32_e32 v53, 24, v32
	v_bfrev_b32_e32 v54, 60
	v_lshlrev_b32_e32 v52, 20, v52
	v_and_b32_e32 v53, 0x80000000, v53
	v_lshl_add_u32 v30, v30, 23, v54
	v_or3_b32 v53, v53, v30, v52
.LBB573_63:
	s_or_b64 exec, exec, s[10:11]
.LBB573_64:
	s_or_b64 exec, exec, s[8:9]
.LBB573_65:
	s_or_b64 exec, exec, s[2:3]
	v_lshrrev_b16_e32 v30, 8, v32
	v_cmp_ne_u16_e32 vcc, 0, v30
	v_mov_b32_e32 v54, 0
	s_and_saveexec_b64 s[2:3], vcc
	s_cbranch_execz .LBB573_71
; %bb.66:
	s_movk_i32 s8, 0x80
	v_cmp_ne_u16_e32 vcc, s8, v30
	v_bfrev_b32_e32 v54, 1
	s_and_saveexec_b64 s[8:9], vcc
	s_cbranch_execz .LBB573_70
; %bb.67:
	s_movk_i32 s10, 0x7f
	v_and_b32_e32 v52, 0x7f, v30
	v_cmp_ne_u32_e32 vcc, s10, v52
	v_mov_b32_e32 v54, 0x7f800001
	s_and_saveexec_b64 s[10:11], vcc
	s_cbranch_execz .LBB573_69
; %bb.68:
	v_and_b32_e32 v56, 7, v30
	v_ffbh_u32_e32 v54, v56
	v_min_u32_e32 v58, 32, v54
	v_subrev_u32_e32 v54, 28, v58
	v_lshlrev_b64 v[54:55], v54, v[30:31]
	v_lshrrev_b32_e32 v57, 3, v52
	v_sub_u32_e32 v30, 29, v58
	v_and_b32_e32 v54, 7, v54
	v_cmp_gt_u32_e32 vcc, 8, v52
	v_cndmask_b32_e32 v30, v57, v30, vcc
	v_cndmask_b32_e32 v52, v56, v54, vcc
	v_lshlrev_b32_e32 v54, 16, v32
	v_bfrev_b32_e32 v55, 60
	v_lshlrev_b32_e32 v52, 20, v52
	v_and_b32_e32 v54, 0x80000000, v54
	v_lshl_add_u32 v30, v30, 23, v55
	v_or3_b32 v54, v54, v30, v52
.LBB573_69:
	s_or_b64 exec, exec, s[10:11]
.LBB573_70:
	s_or_b64 exec, exec, s[8:9]
.LBB573_71:
	s_or_b64 exec, exec, s[2:3]
	s_movk_i32 s2, 0xff
	v_and_b32_sdwa v52, v32, s2 dst_sel:DWORD dst_unused:UNUSED_PAD src0_sel:WORD_1 src1_sel:DWORD
	v_lshrrev_b32_e32 v30, 16, v32
	v_cmp_ne_u16_e32 vcc, 0, v52
	s_and_saveexec_b64 s[2:3], vcc
	s_cbranch_execz .LBB573_77
; %bb.72:
	s_movk_i32 s8, 0x80
	v_cmp_ne_u16_e32 vcc, s8, v52
	v_bfrev_b32_e32 v31, 1
	s_and_saveexec_b64 s[8:9], vcc
	s_cbranch_execz .LBB573_76
; %bb.73:
	v_bfe_u32 v52, v32, 16, 7
	s_movk_i32 s10, 0x7f
	v_cmp_ne_u32_e32 vcc, s10, v52
	v_mov_b32_e32 v31, 0x7f800001
	s_and_saveexec_b64 s[10:11], vcc
	s_cbranch_execz .LBB573_75
; %bb.74:
	v_and_b32_e32 v55, 7, v30
	v_ffbh_u32_e32 v31, v55
	v_min_u32_e32 v57, 32, v31
	v_subrev_u32_e32 v31, 28, v57
	v_lshlrev_b64 v[30:31], v31, v[30:31]
	v_lshrrev_b32_e32 v56, 3, v52
	v_sub_u32_e32 v31, 29, v57
	v_and_b32_e32 v30, 7, v30
	v_cmp_gt_u32_e32 vcc, 8, v52
	v_mov_b32_e32 v52, 24
	v_cndmask_b32_e32 v31, v56, v31, vcc
	v_cndmask_b32_e32 v30, v55, v30, vcc
	v_lshlrev_b32_sdwa v52, v52, v32 dst_sel:DWORD dst_unused:UNUSED_PAD src0_sel:DWORD src1_sel:WORD_1
	v_bfrev_b32_e32 v55, 60
	v_lshlrev_b32_e32 v30, 20, v30
	v_and_b32_e32 v52, 0x80000000, v52
	v_lshl_add_u32 v31, v31, 23, v55
	v_or3_b32 v31, v52, v31, v30
.LBB573_75:
	s_or_b64 exec, exec, s[10:11]
.LBB573_76:
	s_or_b64 exec, exec, s[8:9]
.LBB573_77:
	s_or_b64 exec, exec, s[2:3]
	s_mov_b32 s2, 0xffffff
	v_cmp_lt_u32_e32 vcc, s2, v32
	v_mov_b32_e32 v55, 0
	v_mov_b32_e32 v56, 0
	s_and_saveexec_b64 s[2:3], vcc
	s_cbranch_execz .LBB573_83
; %bb.78:
	v_lshrrev_b32_e32 v30, 24, v32
	s_movk_i32 s8, 0x80
	v_cmp_ne_u32_e32 vcc, s8, v30
	v_bfrev_b32_e32 v56, 1
	s_and_saveexec_b64 s[8:9], vcc
	s_cbranch_execz .LBB573_82
; %bb.79:
	v_bfe_u32 v32, v32, 24, 7
	s_movk_i32 s10, 0x7f
	v_cmp_ne_u32_e32 vcc, s10, v32
	v_mov_b32_e32 v56, 0x7f800001
	s_and_saveexec_b64 s[10:11], vcc
	s_cbranch_execz .LBB573_81
; %bb.80:
	v_and_b32_e32 v52, 7, v30
	v_ffbh_u32_e32 v56, v52
	v_min_u32_e32 v59, 32, v56
	v_subrev_u32_e32 v56, 28, v59
	v_lshlrev_b64 v[56:57], v56, v[30:31]
	v_lshrrev_b32_e32 v58, 3, v32
	v_sub_u32_e32 v57, 29, v59
	v_and_b32_e32 v56, 7, v56
	v_cmp_gt_u32_e32 vcc, 8, v32
	v_cndmask_b32_e32 v32, v58, v57, vcc
	v_cndmask_b32_e32 v52, v52, v56, vcc
	v_lshlrev_b32_e32 v30, 24, v30
	v_bfrev_b32_e32 v56, 60
	v_lshlrev_b32_e32 v52, 20, v52
	v_and_b32_e32 v30, 0x80000000, v30
	v_lshl_add_u32 v32, v32, 23, v56
	v_or3_b32 v56, v30, v32, v52
.LBB573_81:
	s_or_b64 exec, exec, s[10:11]
.LBB573_82:
	s_or_b64 exec, exec, s[8:9]
.LBB573_83:
	s_or_b64 exec, exec, s[2:3]
	v_cmp_ne_u16_sdwa s[8:9], v33, v55 src0_sel:BYTE_0 src1_sel:DWORD
	s_and_saveexec_b64 s[2:3], s[8:9]
	s_cbranch_execz .LBB573_89
; %bb.84:
	s_movk_i32 s8, 0x80
	v_cmp_ne_u16_sdwa s[10:11], v33, s8 src0_sel:BYTE_0 src1_sel:DWORD
	v_bfrev_b32_e32 v55, 1
	s_and_saveexec_b64 s[8:9], s[10:11]
	s_cbranch_execz .LBB573_88
; %bb.85:
	s_movk_i32 s10, 0x7f
	v_and_b32_e32 v30, 0x7f, v33
	v_cmp_ne_u32_e32 vcc, s10, v30
	v_mov_b32_e32 v55, 0x7f800001
	s_and_saveexec_b64 s[10:11], vcc
	s_cbranch_execz .LBB573_87
; %bb.86:
	v_and_b32_e32 v52, 7, v33
	v_ffbh_u32_e32 v57, v52
	v_min_u32_e32 v57, 32, v57
	v_mov_b32_e32 v32, v33
	v_subrev_u32_e32 v58, 28, v57
	v_lshlrev_b64 v[58:59], v58, v[32:33]
	v_lshrrev_b32_e32 v55, 3, v30
	v_sub_u32_e32 v32, 29, v57
	v_and_b32_e32 v57, 7, v58
	v_cmp_gt_u32_e32 vcc, 8, v30
	v_cndmask_b32_e32 v30, v55, v32, vcc
	v_cndmask_b32_e32 v32, v52, v57, vcc
	v_lshlrev_b32_e32 v52, 24, v33
	v_bfrev_b32_e32 v55, 60
	v_lshlrev_b32_e32 v32, 20, v32
	v_and_b32_e32 v52, 0x80000000, v52
	v_lshl_add_u32 v30, v30, 23, v55
	v_or3_b32 v55, v52, v30, v32
.LBB573_87:
	s_or_b64 exec, exec, s[10:11]
.LBB573_88:
	s_or_b64 exec, exec, s[8:9]
.LBB573_89:
	s_or_b64 exec, exec, s[2:3]
	v_lshrrev_b16_e32 v30, 8, v33
	v_cmp_ne_u16_e32 vcc, 0, v30
	v_mov_b32_e32 v32, 0
	v_mov_b32_e32 v57, 0
	s_and_saveexec_b64 s[2:3], vcc
	s_cbranch_execz .LBB573_95
; %bb.90:
	s_movk_i32 s8, 0x80
	v_cmp_ne_u16_e32 vcc, s8, v30
	v_bfrev_b32_e32 v57, 1
	s_and_saveexec_b64 s[8:9], vcc
	s_cbranch_execz .LBB573_94
; %bb.91:
	s_movk_i32 s10, 0x7f
	v_and_b32_e32 v52, 0x7f, v30
	v_cmp_ne_u32_e32 vcc, s10, v52
	v_mov_b32_e32 v57, 0x7f800001
	s_and_saveexec_b64 s[10:11], vcc
	s_cbranch_execz .LBB573_93
; %bb.92:
	v_and_b32_e32 v57, 7, v30
	v_ffbh_u32_e32 v58, v57
	v_min_u32_e32 v61, 32, v58
	v_subrev_u32_e32 v58, 28, v61
	v_lshlrev_b64 v[58:59], v58, v[30:31]
	v_lshrrev_b32_e32 v60, 3, v52
	v_sub_u32_e32 v30, 29, v61
	v_and_b32_e32 v58, 7, v58
	v_cmp_gt_u32_e32 vcc, 8, v52
	v_cndmask_b32_e32 v30, v60, v30, vcc
	v_cndmask_b32_e32 v52, v57, v58, vcc
	v_lshlrev_b32_e32 v57, 16, v33
	v_bfrev_b32_e32 v58, 60
	v_lshlrev_b32_e32 v52, 20, v52
	v_and_b32_e32 v57, 0x80000000, v57
	v_lshl_add_u32 v30, v30, 23, v58
	v_or3_b32 v57, v57, v30, v52
.LBB573_93:
	s_or_b64 exec, exec, s[10:11]
.LBB573_94:
	s_or_b64 exec, exec, s[8:9]
.LBB573_95:
	s_or_b64 exec, exec, s[2:3]
	s_movk_i32 s2, 0xff
	v_and_b32_sdwa v52, v33, s2 dst_sel:DWORD dst_unused:UNUSED_PAD src0_sel:WORD_1 src1_sel:DWORD
	v_lshrrev_b32_e32 v30, 16, v33
	v_cmp_ne_u16_e32 vcc, 0, v52
	s_and_saveexec_b64 s[2:3], vcc
	s_cbranch_execz .LBB573_101
; %bb.96:
	s_movk_i32 s8, 0x80
	v_cmp_ne_u16_e32 vcc, s8, v52
	v_bfrev_b32_e32 v32, 1
	s_and_saveexec_b64 s[8:9], vcc
	s_cbranch_execz .LBB573_100
; %bb.97:
	v_bfe_u32 v52, v33, 16, 7
	s_movk_i32 s10, 0x7f
	v_cmp_ne_u32_e32 vcc, s10, v52
	v_mov_b32_e32 v32, 0x7f800001
	s_and_saveexec_b64 s[10:11], vcc
	s_cbranch_execz .LBB573_99
; %bb.98:
	v_and_b32_e32 v32, 7, v30
	v_ffbh_u32_e32 v58, v32
	v_min_u32_e32 v61, 32, v58
	v_subrev_u32_e32 v58, 28, v61
	v_lshlrev_b64 v[58:59], v58, v[30:31]
	v_lshrrev_b32_e32 v60, 3, v52
	v_sub_u32_e32 v30, 29, v61
	v_and_b32_e32 v58, 7, v58
	v_cmp_gt_u32_e32 vcc, 8, v52
	v_mov_b32_e32 v52, 24
	v_cndmask_b32_e32 v30, v60, v30, vcc
	v_cndmask_b32_e32 v32, v32, v58, vcc
	v_lshlrev_b32_sdwa v52, v52, v33 dst_sel:DWORD dst_unused:UNUSED_PAD src0_sel:DWORD src1_sel:WORD_1
	v_bfrev_b32_e32 v58, 60
	v_lshlrev_b32_e32 v32, 20, v32
	v_and_b32_e32 v52, 0x80000000, v52
	v_lshl_add_u32 v30, v30, 23, v58
	v_or3_b32 v32, v52, v30, v32
.LBB573_99:
	s_or_b64 exec, exec, s[10:11]
.LBB573_100:
	s_or_b64 exec, exec, s[8:9]
.LBB573_101:
	s_or_b64 exec, exec, s[2:3]
	s_mov_b32 s2, 0xffffff
	v_cmp_lt_u32_e32 vcc, s2, v33
	v_mov_b32_e32 v52, 0
	v_mov_b32_e32 v58, 0
	s_and_saveexec_b64 s[2:3], vcc
	s_cbranch_execz .LBB573_107
; %bb.102:
	v_lshrrev_b32_e32 v30, 24, v33
	s_movk_i32 s8, 0x80
	v_cmp_ne_u32_e32 vcc, s8, v30
	v_bfrev_b32_e32 v58, 1
	s_and_saveexec_b64 s[8:9], vcc
	s_cbranch_execz .LBB573_106
; %bb.103:
	v_bfe_u32 v33, v33, 24, 7
	s_movk_i32 s10, 0x7f
	v_cmp_ne_u32_e32 vcc, s10, v33
	v_mov_b32_e32 v58, 0x7f800001
	s_and_saveexec_b64 s[10:11], vcc
	s_cbranch_execz .LBB573_105
; %bb.104:
	v_and_b32_e32 v60, 7, v30
	v_ffbh_u32_e32 v58, v60
	v_min_u32_e32 v62, 32, v58
	v_subrev_u32_e32 v58, 28, v62
	v_lshlrev_b64 v[58:59], v58, v[30:31]
	v_lshrrev_b32_e32 v61, 3, v33
	v_sub_u32_e32 v59, 29, v62
	v_and_b32_e32 v58, 7, v58
	v_cmp_gt_u32_e32 vcc, 8, v33
	v_cndmask_b32_e32 v33, v61, v59, vcc
	v_cndmask_b32_e32 v58, v60, v58, vcc
	v_lshlrev_b32_e32 v30, 24, v30
	v_bfrev_b32_e32 v59, 60
	v_lshlrev_b32_e32 v58, 20, v58
	v_and_b32_e32 v30, 0x80000000, v30
	v_lshl_add_u32 v33, v33, 23, v59
	v_or3_b32 v58, v30, v33, v58
.LBB573_105:
	s_or_b64 exec, exec, s[10:11]
.LBB573_106:
	s_or_b64 exec, exec, s[8:9]
.LBB573_107:
	s_or_b64 exec, exec, s[2:3]
	v_cvt_pkrtz_f16_f32 v30, v53, v54
	v_cvt_pkrtz_f16_f32 v31, v31, v56
	s_waitcnt vmcnt(6)
	v_cmp_ne_u16_sdwa s[8:9], v38, v52 src0_sel:BYTE_0 src1_sel:DWORD
	v_mfma_f32_16x16x16f16 v[42:45], v[30:31], v[18:19], v[42:45]
	v_cvt_pkrtz_f16_f32 v30, v55, v57
	v_cvt_pkrtz_f16_f32 v31, v32, v58
	s_nop 1
	v_mfma_f32_16x16x16f16 v[30:33], v[30:31], v[20:21], v[42:45]
	s_and_saveexec_b64 s[2:3], s[8:9]
	s_cbranch_execz .LBB573_113
; %bb.108:
	s_movk_i32 s8, 0x80
	v_cmp_ne_u16_sdwa s[10:11], v38, s8 src0_sel:BYTE_0 src1_sel:DWORD
	v_bfrev_b32_e32 v52, 1
	s_and_saveexec_b64 s[8:9], s[10:11]
	s_cbranch_execz .LBB573_112
; %bb.109:
	s_movk_i32 s10, 0x7f
	v_and_b32_e32 v42, 0x7f, v38
	v_cmp_ne_u32_e32 vcc, s10, v42
	v_mov_b32_e32 v52, 0x7f800001
	s_and_saveexec_b64 s[10:11], vcc
	s_cbranch_execz .LBB573_111
; %bb.110:
	v_and_b32_e32 v43, 7, v38
	v_ffbh_u32_e32 v44, v43
	v_min_u32_e32 v53, 32, v44
	v_subrev_u32_e32 v44, 28, v53
	v_lshlrev_b64 v[44:45], v44, v[38:39]
	v_lshrrev_b32_e32 v52, 3, v42
	v_sub_u32_e32 v45, 29, v53
	v_and_b32_e32 v44, 7, v44
	v_cmp_gt_u32_e32 vcc, 8, v42
	v_cndmask_b32_e32 v42, v52, v45, vcc
	v_cndmask_b32_e32 v43, v43, v44, vcc
	v_lshlrev_b32_e32 v44, 24, v38
	v_bfrev_b32_e32 v45, 60
	v_lshlrev_b32_e32 v43, 20, v43
	v_and_b32_e32 v44, 0x80000000, v44
	v_lshl_add_u32 v42, v42, 23, v45
	v_or3_b32 v52, v44, v42, v43
.LBB573_111:
	s_or_b64 exec, exec, s[10:11]
.LBB573_112:
	s_or_b64 exec, exec, s[8:9]
.LBB573_113:
	s_or_b64 exec, exec, s[2:3]
	s_nop 3
	v_lshrrev_b16_e32 v42, 8, v38
	v_cmp_ne_u16_e32 vcc, 0, v42
	v_mov_b32_e32 v43, 0
	v_mov_b32_e32 v44, 0
	s_and_saveexec_b64 s[2:3], vcc
	s_cbranch_execz .LBB573_119
; %bb.114:
	s_movk_i32 s8, 0x80
	v_cmp_ne_u16_e32 vcc, s8, v42
	v_bfrev_b32_e32 v44, 1
	s_and_saveexec_b64 s[8:9], vcc
	s_cbranch_execz .LBB573_118
; %bb.115:
	s_movk_i32 s10, 0x7f
	v_and_b32_e32 v45, 0x7f, v42
	v_cmp_ne_u32_e32 vcc, s10, v45
	v_mov_b32_e32 v44, 0x7f800001
	s_and_saveexec_b64 s[10:11], vcc
	s_cbranch_execz .LBB573_117
; %bb.116:
	v_and_b32_e32 v44, 7, v42
	v_ffbh_u32_e32 v54, v44
	v_min_u32_e32 v56, 32, v54
	v_subrev_u32_e32 v54, 28, v56
	v_lshlrev_b64 v[54:55], v54, v[42:43]
	v_lshrrev_b32_e32 v53, 3, v45
	v_sub_u32_e32 v42, 29, v56
	v_and_b32_e32 v54, 7, v54
	v_cmp_gt_u32_e32 vcc, 8, v45
	v_cndmask_b32_e32 v42, v53, v42, vcc
	v_cndmask_b32_e32 v44, v44, v54, vcc
	v_lshlrev_b32_e32 v45, 16, v38
	v_bfrev_b32_e32 v53, 60
	v_lshlrev_b32_e32 v44, 20, v44
	v_and_b32_e32 v45, 0x80000000, v45
	v_lshl_add_u32 v42, v42, 23, v53
	v_or3_b32 v44, v45, v42, v44
.LBB573_117:
	s_or_b64 exec, exec, s[10:11]
.LBB573_118:
	s_or_b64 exec, exec, s[8:9]
.LBB573_119:
	s_or_b64 exec, exec, s[2:3]
	s_movk_i32 s2, 0xff
	v_and_b32_sdwa v45, v38, s2 dst_sel:DWORD dst_unused:UNUSED_PAD src0_sel:WORD_1 src1_sel:DWORD
	v_lshrrev_b32_e32 v42, 16, v38
	v_cmp_ne_u16_e32 vcc, 0, v45
	s_and_saveexec_b64 s[2:3], vcc
	s_cbranch_execz .LBB573_125
; %bb.120:
	s_movk_i32 s8, 0x80
	v_cmp_ne_u16_e32 vcc, s8, v45
	v_bfrev_b32_e32 v43, 1
	s_and_saveexec_b64 s[8:9], vcc
	s_cbranch_execz .LBB573_124
; %bb.121:
	v_bfe_u32 v45, v38, 16, 7
	s_movk_i32 s10, 0x7f
	v_cmp_ne_u32_e32 vcc, s10, v45
	v_mov_b32_e32 v43, 0x7f800001
	s_and_saveexec_b64 s[10:11], vcc
	s_cbranch_execz .LBB573_123
; %bb.122:
	v_and_b32_e32 v53, 7, v42
	v_ffbh_u32_e32 v43, v53
	v_min_u32_e32 v55, 32, v43
	v_subrev_u32_e32 v43, 28, v55
	v_lshlrev_b64 v[42:43], v43, v[42:43]
	v_lshrrev_b32_e32 v54, 3, v45
	v_sub_u32_e32 v43, 29, v55
	v_and_b32_e32 v42, 7, v42
	v_cmp_gt_u32_e32 vcc, 8, v45
	v_mov_b32_e32 v45, 24
	v_cndmask_b32_e32 v43, v54, v43, vcc
	v_cndmask_b32_e32 v42, v53, v42, vcc
	v_lshlrev_b32_sdwa v45, v45, v38 dst_sel:DWORD dst_unused:UNUSED_PAD src0_sel:DWORD src1_sel:WORD_1
	v_bfrev_b32_e32 v53, 60
	v_lshlrev_b32_e32 v42, 20, v42
	v_and_b32_e32 v45, 0x80000000, v45
	v_lshl_add_u32 v43, v43, 23, v53
	v_or3_b32 v43, v45, v43, v42
.LBB573_123:
	s_or_b64 exec, exec, s[10:11]
.LBB573_124:
	s_or_b64 exec, exec, s[8:9]
.LBB573_125:
	s_or_b64 exec, exec, s[2:3]
	s_mov_b32 s2, 0xffffff
	v_cmp_lt_u32_e32 vcc, s2, v38
	v_mov_b32_e32 v45, 0
	v_mov_b32_e32 v54, 0
	s_and_saveexec_b64 s[2:3], vcc
	s_cbranch_execz .LBB573_131
; %bb.126:
	v_lshrrev_b32_e32 v42, 24, v38
	s_movk_i32 s8, 0x80
	v_cmp_ne_u32_e32 vcc, s8, v42
	v_bfrev_b32_e32 v54, 1
	s_and_saveexec_b64 s[8:9], vcc
	s_cbranch_execz .LBB573_130
; %bb.127:
	v_bfe_u32 v38, v38, 24, 7
	s_movk_i32 s10, 0x7f
	v_cmp_ne_u32_e32 vcc, s10, v38
	v_mov_b32_e32 v54, 0x7f800001
	s_and_saveexec_b64 s[10:11], vcc
	s_cbranch_execz .LBB573_129
; %bb.128:
	v_and_b32_e32 v53, 7, v42
	v_ffbh_u32_e32 v54, v53
	v_min_u32_e32 v57, 32, v54
	v_subrev_u32_e32 v54, 28, v57
	v_lshlrev_b64 v[54:55], v54, v[42:43]
	v_lshrrev_b32_e32 v56, 3, v38
	v_sub_u32_e32 v55, 29, v57
	v_and_b32_e32 v54, 7, v54
	v_cmp_gt_u32_e32 vcc, 8, v38
	v_cndmask_b32_e32 v38, v56, v55, vcc
	v_cndmask_b32_e32 v53, v53, v54, vcc
	v_lshlrev_b32_e32 v42, 24, v42
	v_bfrev_b32_e32 v54, 60
	v_lshlrev_b32_e32 v53, 20, v53
	v_and_b32_e32 v42, 0x80000000, v42
	v_lshl_add_u32 v38, v38, 23, v54
	v_or3_b32 v54, v42, v38, v53
.LBB573_129:
	s_or_b64 exec, exec, s[10:11]
.LBB573_130:
	s_or_b64 exec, exec, s[8:9]
.LBB573_131:
	s_or_b64 exec, exec, s[2:3]
	v_cmp_ne_u16_sdwa s[8:9], v39, v45 src0_sel:BYTE_0 src1_sel:DWORD
	s_and_saveexec_b64 s[2:3], s[8:9]
	s_cbranch_execz .LBB573_137
; %bb.132:
	s_movk_i32 s8, 0x80
	v_cmp_ne_u16_sdwa s[10:11], v39, s8 src0_sel:BYTE_0 src1_sel:DWORD
	v_bfrev_b32_e32 v45, 1
	s_and_saveexec_b64 s[8:9], s[10:11]
	s_cbranch_execz .LBB573_136
; %bb.133:
	s_movk_i32 s10, 0x7f
	v_and_b32_e32 v38, 0x7f, v39
	v_cmp_ne_u32_e32 vcc, s10, v38
	v_mov_b32_e32 v45, 0x7f800001
	s_and_saveexec_b64 s[10:11], vcc
	s_cbranch_execz .LBB573_135
; %bb.134:
	v_and_b32_e32 v45, 7, v39
	v_ffbh_u32_e32 v55, v45
	v_min_u32_e32 v55, 32, v55
	v_mov_b32_e32 v42, v39
	v_subrev_u32_e32 v56, 28, v55
	v_lshlrev_b64 v[56:57], v56, v[42:43]
	v_lshrrev_b32_e32 v53, 3, v38
	v_sub_u32_e32 v42, 29, v55
	v_and_b32_e32 v55, 7, v56
	v_cmp_gt_u32_e32 vcc, 8, v38
	v_cndmask_b32_e32 v38, v53, v42, vcc
	v_cndmask_b32_e32 v42, v45, v55, vcc
	v_lshlrev_b32_e32 v45, 24, v39
	v_bfrev_b32_e32 v53, 60
	v_lshlrev_b32_e32 v42, 20, v42
	v_and_b32_e32 v45, 0x80000000, v45
	v_lshl_add_u32 v38, v38, 23, v53
	v_or3_b32 v45, v45, v38, v42
.LBB573_135:
	s_or_b64 exec, exec, s[10:11]
.LBB573_136:
	s_or_b64 exec, exec, s[8:9]
.LBB573_137:
	s_or_b64 exec, exec, s[2:3]
	v_lshrrev_b16_e32 v38, 8, v39
	v_cmp_ne_u16_e32 vcc, 0, v38
	v_mov_b32_e32 v42, 0
	v_mov_b32_e32 v55, 0
	s_and_saveexec_b64 s[2:3], vcc
	s_cbranch_execz .LBB573_143
; %bb.138:
	s_movk_i32 s8, 0x80
	v_cmp_ne_u16_e32 vcc, s8, v38
	v_bfrev_b32_e32 v55, 1
	s_and_saveexec_b64 s[8:9], vcc
	s_cbranch_execz .LBB573_142
; %bb.139:
	s_movk_i32 s10, 0x7f
	v_and_b32_e32 v53, 0x7f, v38
	v_cmp_ne_u32_e32 vcc, s10, v53
	v_mov_b32_e32 v55, 0x7f800001
	s_and_saveexec_b64 s[10:11], vcc
	s_cbranch_execz .LBB573_141
; %bb.140:
	v_and_b32_e32 v55, 7, v38
	v_ffbh_u32_e32 v56, v55
	v_min_u32_e32 v59, 32, v56
	v_subrev_u32_e32 v56, 28, v59
	v_lshlrev_b64 v[56:57], v56, v[38:39]
	v_lshrrev_b32_e32 v58, 3, v53
	v_sub_u32_e32 v38, 29, v59
	v_and_b32_e32 v56, 7, v56
	v_cmp_gt_u32_e32 vcc, 8, v53
	v_cndmask_b32_e32 v38, v58, v38, vcc
	v_cndmask_b32_e32 v53, v55, v56, vcc
	v_lshlrev_b32_e32 v55, 16, v39
	v_bfrev_b32_e32 v56, 60
	v_lshlrev_b32_e32 v53, 20, v53
	v_and_b32_e32 v55, 0x80000000, v55
	v_lshl_add_u32 v38, v38, 23, v56
	v_or3_b32 v55, v55, v38, v53
.LBB573_141:
	s_or_b64 exec, exec, s[10:11]
.LBB573_142:
	s_or_b64 exec, exec, s[8:9]
.LBB573_143:
	s_or_b64 exec, exec, s[2:3]
	s_movk_i32 s2, 0xff
	v_and_b32_sdwa v53, v39, s2 dst_sel:DWORD dst_unused:UNUSED_PAD src0_sel:WORD_1 src1_sel:DWORD
	v_lshrrev_b32_e32 v38, 16, v39
	v_cmp_ne_u16_e32 vcc, 0, v53
	s_and_saveexec_b64 s[2:3], vcc
	s_cbranch_execz .LBB573_149
; %bb.144:
	s_movk_i32 s8, 0x80
	v_cmp_ne_u16_e32 vcc, s8, v53
	v_bfrev_b32_e32 v42, 1
	s_and_saveexec_b64 s[8:9], vcc
	s_cbranch_execz .LBB573_148
; %bb.145:
	v_bfe_u32 v53, v39, 16, 7
	s_movk_i32 s10, 0x7f
	v_cmp_ne_u32_e32 vcc, s10, v53
	v_mov_b32_e32 v42, 0x7f800001
	s_and_saveexec_b64 s[10:11], vcc
	s_cbranch_execz .LBB573_147
; %bb.146:
	v_and_b32_e32 v42, 7, v38
	v_ffbh_u32_e32 v56, v42
	v_min_u32_e32 v59, 32, v56
	v_subrev_u32_e32 v56, 28, v59
	v_lshlrev_b64 v[56:57], v56, v[38:39]
	v_lshrrev_b32_e32 v58, 3, v53
	v_sub_u32_e32 v38, 29, v59
	v_and_b32_e32 v56, 7, v56
	v_cmp_gt_u32_e32 vcc, 8, v53
	v_mov_b32_e32 v53, 24
	v_cndmask_b32_e32 v38, v58, v38, vcc
	v_cndmask_b32_e32 v42, v42, v56, vcc
	v_lshlrev_b32_sdwa v53, v53, v39 dst_sel:DWORD dst_unused:UNUSED_PAD src0_sel:DWORD src1_sel:WORD_1
	v_bfrev_b32_e32 v56, 60
	v_lshlrev_b32_e32 v42, 20, v42
	v_and_b32_e32 v53, 0x80000000, v53
	v_lshl_add_u32 v38, v38, 23, v56
	v_or3_b32 v42, v53, v38, v42
.LBB573_147:
	s_or_b64 exec, exec, s[10:11]
.LBB573_148:
	s_or_b64 exec, exec, s[8:9]
.LBB573_149:
	s_or_b64 exec, exec, s[2:3]
	s_mov_b32 s2, 0xffffff
	v_cmp_lt_u32_e32 vcc, s2, v39
	v_mov_b32_e32 v53, 0
	v_mov_b32_e32 v56, 0
	s_and_saveexec_b64 s[2:3], vcc
	s_cbranch_execz .LBB573_155
; %bb.150:
	v_lshrrev_b32_e32 v38, 24, v39
	s_movk_i32 s8, 0x80
	v_cmp_ne_u32_e32 vcc, s8, v38
	v_bfrev_b32_e32 v56, 1
	s_and_saveexec_b64 s[8:9], vcc
	s_cbranch_execz .LBB573_154
; %bb.151:
	v_bfe_u32 v39, v39, 24, 7
	s_movk_i32 s10, 0x7f
	v_cmp_ne_u32_e32 vcc, s10, v39
	v_mov_b32_e32 v56, 0x7f800001
	s_and_saveexec_b64 s[10:11], vcc
	s_cbranch_execz .LBB573_153
; %bb.152:
	v_and_b32_e32 v58, 7, v38
	v_ffbh_u32_e32 v56, v58
	v_min_u32_e32 v60, 32, v56
	v_subrev_u32_e32 v56, 28, v60
	v_lshlrev_b64 v[56:57], v56, v[38:39]
	v_lshrrev_b32_e32 v59, 3, v39
	v_sub_u32_e32 v57, 29, v60
	v_and_b32_e32 v56, 7, v56
	v_cmp_gt_u32_e32 vcc, 8, v39
	v_cndmask_b32_e32 v39, v59, v57, vcc
	v_cndmask_b32_e32 v56, v58, v56, vcc
	v_lshlrev_b32_e32 v38, 24, v38
	v_bfrev_b32_e32 v57, 60
	v_lshlrev_b32_e32 v56, 20, v56
	v_and_b32_e32 v38, 0x80000000, v38
	v_lshl_add_u32 v39, v39, 23, v57
	v_or3_b32 v56, v38, v39, v56
.LBB573_153:
	s_or_b64 exec, exec, s[10:11]
.LBB573_154:
	s_or_b64 exec, exec, s[8:9]
.LBB573_155:
	s_or_b64 exec, exec, s[2:3]
	v_cvt_pkrtz_f16_f32 v38, v52, v44
	v_cvt_pkrtz_f16_f32 v39, v43, v54
	v_cmp_ne_u16_sdwa s[8:9], v40, v53 src0_sel:BYTE_0 src1_sel:DWORD
	s_nop 0
	v_mfma_f32_16x16x16f16 v[58:61], v[38:39], v[26:27], 0
	v_cvt_pkrtz_f16_f32 v38, v45, v55
	v_cvt_pkrtz_f16_f32 v39, v42, v56
	s_nop 1
	v_mfma_f32_16x16x16f16 v[42:45], v[38:39], v[28:29], v[58:61]
	s_and_saveexec_b64 s[2:3], s[8:9]
	s_cbranch_execz .LBB573_161
; %bb.156:
	s_movk_i32 s8, 0x80
	v_cmp_ne_u16_sdwa s[10:11], v40, s8 src0_sel:BYTE_0 src1_sel:DWORD
	v_bfrev_b32_e32 v53, 1
	s_and_saveexec_b64 s[8:9], s[10:11]
	s_cbranch_execz .LBB573_160
; %bb.157:
	s_movk_i32 s10, 0x7f
	v_and_b32_e32 v38, 0x7f, v40
	v_cmp_ne_u32_e32 vcc, s10, v38
	v_mov_b32_e32 v53, 0x7f800001
	s_and_saveexec_b64 s[10:11], vcc
	s_cbranch_execz .LBB573_159
; %bb.158:
	v_and_b32_e32 v39, 7, v40
	v_ffbh_u32_e32 v52, v39
	v_min_u32_e32 v55, 32, v52
	v_subrev_u32_e32 v52, 28, v55
	v_lshlrev_b64 v[52:53], v52, v[40:41]
	v_lshrrev_b32_e32 v54, 3, v38
	v_sub_u32_e32 v53, 29, v55
	v_and_b32_e32 v52, 7, v52
	v_cmp_gt_u32_e32 vcc, 8, v38
	v_cndmask_b32_e32 v38, v54, v53, vcc
	v_cndmask_b32_e32 v39, v39, v52, vcc
	v_lshlrev_b32_e32 v52, 24, v40
	v_bfrev_b32_e32 v53, 60
	v_lshlrev_b32_e32 v39, 20, v39
	v_and_b32_e32 v52, 0x80000000, v52
	v_lshl_add_u32 v38, v38, 23, v53
	v_or3_b32 v53, v52, v38, v39
.LBB573_159:
	s_or_b64 exec, exec, s[10:11]
.LBB573_160:
	s_or_b64 exec, exec, s[8:9]
.LBB573_161:
	s_or_b64 exec, exec, s[2:3]
	v_lshrrev_b16_e32 v38, 8, v40
	v_cmp_ne_u16_e32 vcc, 0, v38
	v_mov_b32_e32 v39, 0
	v_mov_b32_e32 v54, 0
	s_and_saveexec_b64 s[2:3], vcc
	s_cbranch_execz .LBB573_167
; %bb.162:
	s_movk_i32 s8, 0x80
	v_cmp_ne_u16_e32 vcc, s8, v38
	v_bfrev_b32_e32 v54, 1
	s_and_saveexec_b64 s[8:9], vcc
	s_cbranch_execz .LBB573_166
; %bb.163:
	s_movk_i32 s10, 0x7f
	v_and_b32_e32 v52, 0x7f, v38
	v_cmp_ne_u32_e32 vcc, s10, v52
	v_mov_b32_e32 v54, 0x7f800001
	s_and_saveexec_b64 s[10:11], vcc
	s_cbranch_execz .LBB573_165
; %bb.164:
	v_and_b32_e32 v56, 7, v38
	v_ffbh_u32_e32 v54, v56
	v_min_u32_e32 v58, 32, v54
	v_subrev_u32_e32 v54, 28, v58
	v_lshlrev_b64 v[54:55], v54, v[38:39]
	v_lshrrev_b32_e32 v57, 3, v52
	v_sub_u32_e32 v38, 29, v58
	v_and_b32_e32 v54, 7, v54
	v_cmp_gt_u32_e32 vcc, 8, v52
	v_cndmask_b32_e32 v38, v57, v38, vcc
	v_cndmask_b32_e32 v52, v56, v54, vcc
	v_lshlrev_b32_e32 v54, 16, v40
	v_bfrev_b32_e32 v55, 60
	v_lshlrev_b32_e32 v52, 20, v52
	v_and_b32_e32 v54, 0x80000000, v54
	v_lshl_add_u32 v38, v38, 23, v55
	v_or3_b32 v54, v54, v38, v52
.LBB573_165:
	s_or_b64 exec, exec, s[10:11]
.LBB573_166:
	s_or_b64 exec, exec, s[8:9]
.LBB573_167:
	s_or_b64 exec, exec, s[2:3]
	s_movk_i32 s2, 0xff
	v_and_b32_sdwa v52, v40, s2 dst_sel:DWORD dst_unused:UNUSED_PAD src0_sel:WORD_1 src1_sel:DWORD
	v_lshrrev_b32_e32 v38, 16, v40
	v_cmp_ne_u16_e32 vcc, 0, v52
	s_and_saveexec_b64 s[2:3], vcc
	s_cbranch_execz .LBB573_173
; %bb.168:
	s_movk_i32 s8, 0x80
	v_cmp_ne_u16_e32 vcc, s8, v52
	v_bfrev_b32_e32 v39, 1
	s_and_saveexec_b64 s[8:9], vcc
	s_cbranch_execz .LBB573_172
; %bb.169:
	v_bfe_u32 v52, v40, 16, 7
	s_movk_i32 s10, 0x7f
	v_cmp_ne_u32_e32 vcc, s10, v52
	v_mov_b32_e32 v39, 0x7f800001
	s_and_saveexec_b64 s[10:11], vcc
	s_cbranch_execz .LBB573_171
; %bb.170:
	v_and_b32_e32 v55, 7, v38
	v_ffbh_u32_e32 v39, v55
	v_min_u32_e32 v57, 32, v39
	v_subrev_u32_e32 v39, 28, v57
	v_lshlrev_b64 v[38:39], v39, v[38:39]
	v_lshrrev_b32_e32 v56, 3, v52
	v_sub_u32_e32 v39, 29, v57
	v_and_b32_e32 v38, 7, v38
	v_cmp_gt_u32_e32 vcc, 8, v52
	v_mov_b32_e32 v52, 24
	v_cndmask_b32_e32 v39, v56, v39, vcc
	v_cndmask_b32_e32 v38, v55, v38, vcc
	v_lshlrev_b32_sdwa v52, v52, v40 dst_sel:DWORD dst_unused:UNUSED_PAD src0_sel:DWORD src1_sel:WORD_1
	v_bfrev_b32_e32 v55, 60
	v_lshlrev_b32_e32 v38, 20, v38
	v_and_b32_e32 v52, 0x80000000, v52
	v_lshl_add_u32 v39, v39, 23, v55
	v_or3_b32 v39, v52, v39, v38
.LBB573_171:
	s_or_b64 exec, exec, s[10:11]
.LBB573_172:
	s_or_b64 exec, exec, s[8:9]
.LBB573_173:
	s_or_b64 exec, exec, s[2:3]
	s_mov_b32 s2, 0xffffff
	v_cmp_lt_u32_e32 vcc, s2, v40
	v_mov_b32_e32 v55, 0
	v_mov_b32_e32 v56, 0
	s_and_saveexec_b64 s[2:3], vcc
	s_cbranch_execz .LBB573_179
; %bb.174:
	v_lshrrev_b32_e32 v38, 24, v40
	s_movk_i32 s8, 0x80
	v_cmp_ne_u32_e32 vcc, s8, v38
	v_bfrev_b32_e32 v56, 1
	s_and_saveexec_b64 s[8:9], vcc
	s_cbranch_execz .LBB573_178
; %bb.175:
	v_bfe_u32 v40, v40, 24, 7
	s_movk_i32 s10, 0x7f
	v_cmp_ne_u32_e32 vcc, s10, v40
	v_mov_b32_e32 v56, 0x7f800001
	s_and_saveexec_b64 s[10:11], vcc
	s_cbranch_execz .LBB573_177
; %bb.176:
	v_and_b32_e32 v52, 7, v38
	v_ffbh_u32_e32 v56, v52
	v_min_u32_e32 v59, 32, v56
	v_subrev_u32_e32 v56, 28, v59
	v_lshlrev_b64 v[56:57], v56, v[38:39]
	v_lshrrev_b32_e32 v58, 3, v40
	v_sub_u32_e32 v57, 29, v59
	v_and_b32_e32 v56, 7, v56
	v_cmp_gt_u32_e32 vcc, 8, v40
	v_cndmask_b32_e32 v40, v58, v57, vcc
	v_cndmask_b32_e32 v52, v52, v56, vcc
	v_lshlrev_b32_e32 v38, 24, v38
	v_bfrev_b32_e32 v56, 60
	v_lshlrev_b32_e32 v52, 20, v52
	v_and_b32_e32 v38, 0x80000000, v38
	v_lshl_add_u32 v40, v40, 23, v56
	v_or3_b32 v56, v38, v40, v52
.LBB573_177:
	s_or_b64 exec, exec, s[10:11]
.LBB573_178:
	s_or_b64 exec, exec, s[8:9]
.LBB573_179:
	s_or_b64 exec, exec, s[2:3]
	v_cmp_ne_u16_sdwa s[8:9], v41, v55 src0_sel:BYTE_0 src1_sel:DWORD
	s_and_saveexec_b64 s[2:3], s[8:9]
	s_cbranch_execz .LBB573_185
; %bb.180:
	s_movk_i32 s8, 0x80
	v_cmp_ne_u16_sdwa s[10:11], v41, s8 src0_sel:BYTE_0 src1_sel:DWORD
	v_bfrev_b32_e32 v55, 1
	s_and_saveexec_b64 s[8:9], s[10:11]
	s_cbranch_execz .LBB573_184
; %bb.181:
	s_movk_i32 s10, 0x7f
	v_and_b32_e32 v38, 0x7f, v41
	v_cmp_ne_u32_e32 vcc, s10, v38
	v_mov_b32_e32 v55, 0x7f800001
	s_and_saveexec_b64 s[10:11], vcc
	s_cbranch_execz .LBB573_183
; %bb.182:
	v_and_b32_e32 v52, 7, v41
	v_ffbh_u32_e32 v57, v52
	v_min_u32_e32 v57, 32, v57
	v_mov_b32_e32 v40, v41
	v_subrev_u32_e32 v58, 28, v57
	v_lshlrev_b64 v[58:59], v58, v[40:41]
	v_lshrrev_b32_e32 v55, 3, v38
	v_sub_u32_e32 v40, 29, v57
	v_and_b32_e32 v57, 7, v58
	v_cmp_gt_u32_e32 vcc, 8, v38
	v_cndmask_b32_e32 v38, v55, v40, vcc
	v_cndmask_b32_e32 v40, v52, v57, vcc
	v_lshlrev_b32_e32 v52, 24, v41
	v_bfrev_b32_e32 v55, 60
	v_lshlrev_b32_e32 v40, 20, v40
	v_and_b32_e32 v52, 0x80000000, v52
	v_lshl_add_u32 v38, v38, 23, v55
	v_or3_b32 v55, v52, v38, v40
.LBB573_183:
	s_or_b64 exec, exec, s[10:11]
.LBB573_184:
	s_or_b64 exec, exec, s[8:9]
.LBB573_185:
	s_or_b64 exec, exec, s[2:3]
	v_lshrrev_b16_e32 v38, 8, v41
	v_cmp_ne_u16_e32 vcc, 0, v38
	v_mov_b32_e32 v40, 0
	v_mov_b32_e32 v57, 0
	s_and_saveexec_b64 s[2:3], vcc
	s_cbranch_execz .LBB573_191
; %bb.186:
	s_movk_i32 s8, 0x80
	v_cmp_ne_u16_e32 vcc, s8, v38
	v_bfrev_b32_e32 v57, 1
	s_and_saveexec_b64 s[8:9], vcc
	s_cbranch_execz .LBB573_190
; %bb.187:
	s_movk_i32 s10, 0x7f
	v_and_b32_e32 v52, 0x7f, v38
	v_cmp_ne_u32_e32 vcc, s10, v52
	v_mov_b32_e32 v57, 0x7f800001
	s_and_saveexec_b64 s[10:11], vcc
	s_cbranch_execz .LBB573_189
; %bb.188:
	v_and_b32_e32 v57, 7, v38
	v_ffbh_u32_e32 v58, v57
	v_min_u32_e32 v61, 32, v58
	v_subrev_u32_e32 v58, 28, v61
	v_lshlrev_b64 v[58:59], v58, v[38:39]
	v_lshrrev_b32_e32 v60, 3, v52
	v_sub_u32_e32 v38, 29, v61
	v_and_b32_e32 v58, 7, v58
	v_cmp_gt_u32_e32 vcc, 8, v52
	v_cndmask_b32_e32 v38, v60, v38, vcc
	v_cndmask_b32_e32 v52, v57, v58, vcc
	v_lshlrev_b32_e32 v57, 16, v41
	v_bfrev_b32_e32 v58, 60
	v_lshlrev_b32_e32 v52, 20, v52
	v_and_b32_e32 v57, 0x80000000, v57
	v_lshl_add_u32 v38, v38, 23, v58
	v_or3_b32 v57, v57, v38, v52
.LBB573_189:
	s_or_b64 exec, exec, s[10:11]
.LBB573_190:
	s_or_b64 exec, exec, s[8:9]
.LBB573_191:
	s_or_b64 exec, exec, s[2:3]
	s_movk_i32 s2, 0xff
	v_and_b32_sdwa v52, v41, s2 dst_sel:DWORD dst_unused:UNUSED_PAD src0_sel:WORD_1 src1_sel:DWORD
	v_lshrrev_b32_e32 v38, 16, v41
	v_cmp_ne_u16_e32 vcc, 0, v52
	s_and_saveexec_b64 s[2:3], vcc
	s_cbranch_execz .LBB573_197
; %bb.192:
	s_movk_i32 s8, 0x80
	v_cmp_ne_u16_e32 vcc, s8, v52
	v_bfrev_b32_e32 v40, 1
	s_and_saveexec_b64 s[8:9], vcc
	s_cbranch_execz .LBB573_196
; %bb.193:
	v_bfe_u32 v52, v41, 16, 7
	s_movk_i32 s10, 0x7f
	v_cmp_ne_u32_e32 vcc, s10, v52
	v_mov_b32_e32 v40, 0x7f800001
	s_and_saveexec_b64 s[10:11], vcc
	s_cbranch_execz .LBB573_195
; %bb.194:
	v_and_b32_e32 v40, 7, v38
	v_ffbh_u32_e32 v58, v40
	v_min_u32_e32 v61, 32, v58
	v_subrev_u32_e32 v58, 28, v61
	v_lshlrev_b64 v[58:59], v58, v[38:39]
	v_lshrrev_b32_e32 v60, 3, v52
	v_sub_u32_e32 v38, 29, v61
	v_and_b32_e32 v58, 7, v58
	v_cmp_gt_u32_e32 vcc, 8, v52
	v_mov_b32_e32 v52, 24
	v_cndmask_b32_e32 v38, v60, v38, vcc
	v_cndmask_b32_e32 v40, v40, v58, vcc
	v_lshlrev_b32_sdwa v52, v52, v41 dst_sel:DWORD dst_unused:UNUSED_PAD src0_sel:DWORD src1_sel:WORD_1
	v_bfrev_b32_e32 v58, 60
	v_lshlrev_b32_e32 v40, 20, v40
	v_and_b32_e32 v52, 0x80000000, v52
	v_lshl_add_u32 v38, v38, 23, v58
	v_or3_b32 v40, v52, v38, v40
.LBB573_195:
	s_or_b64 exec, exec, s[10:11]
.LBB573_196:
	s_or_b64 exec, exec, s[8:9]
.LBB573_197:
	s_or_b64 exec, exec, s[2:3]
	s_mov_b32 s2, 0xffffff
	v_cmp_lt_u32_e32 vcc, s2, v41
	v_mov_b32_e32 v52, 0
	v_mov_b32_e32 v58, 0
	s_and_saveexec_b64 s[2:3], vcc
	s_cbranch_execz .LBB573_203
; %bb.198:
	v_lshrrev_b32_e32 v38, 24, v41
	s_movk_i32 s8, 0x80
	v_cmp_ne_u32_e32 vcc, s8, v38
	v_bfrev_b32_e32 v58, 1
	s_and_saveexec_b64 s[8:9], vcc
	s_cbranch_execz .LBB573_202
; %bb.199:
	v_bfe_u32 v41, v41, 24, 7
	s_movk_i32 s10, 0x7f
	v_cmp_ne_u32_e32 vcc, s10, v41
	v_mov_b32_e32 v58, 0x7f800001
	s_and_saveexec_b64 s[10:11], vcc
	s_cbranch_execz .LBB573_201
; %bb.200:
	v_and_b32_e32 v60, 7, v38
	v_ffbh_u32_e32 v58, v60
	v_min_u32_e32 v62, 32, v58
	v_subrev_u32_e32 v58, 28, v62
	v_lshlrev_b64 v[58:59], v58, v[38:39]
	v_lshrrev_b32_e32 v61, 3, v41
	v_sub_u32_e32 v59, 29, v62
	v_and_b32_e32 v58, 7, v58
	v_cmp_gt_u32_e32 vcc, 8, v41
	v_cndmask_b32_e32 v41, v61, v59, vcc
	v_cndmask_b32_e32 v58, v60, v58, vcc
	v_lshlrev_b32_e32 v38, 24, v38
	v_bfrev_b32_e32 v59, 60
	v_lshlrev_b32_e32 v58, 20, v58
	v_and_b32_e32 v38, 0x80000000, v38
	v_lshl_add_u32 v41, v41, 23, v59
	v_or3_b32 v58, v38, v41, v58
.LBB573_201:
	s_or_b64 exec, exec, s[10:11]
.LBB573_202:
	s_or_b64 exec, exec, s[8:9]
.LBB573_203:
	s_or_b64 exec, exec, s[2:3]
	v_cvt_pkrtz_f16_f32 v38, v53, v54
	v_cvt_pkrtz_f16_f32 v39, v39, v56
	s_waitcnt vmcnt(5)
	v_cmp_ne_u16_sdwa s[8:9], v34, v52 src0_sel:BYTE_0 src1_sel:DWORD
	v_mfma_f32_16x16x16f16 v[42:45], v[38:39], v[18:19], v[42:45]
	v_cvt_pkrtz_f16_f32 v38, v55, v57
	v_cvt_pkrtz_f16_f32 v39, v40, v58
	s_nop 1
	v_mfma_f32_16x16x16f16 v[38:41], v[38:39], v[20:21], v[42:45]
	s_and_saveexec_b64 s[2:3], s[8:9]
	s_cbranch_execz .LBB573_209
; %bb.204:
	s_movk_i32 s8, 0x80
	v_cmp_ne_u16_sdwa s[10:11], v34, s8 src0_sel:BYTE_0 src1_sel:DWORD
	v_bfrev_b32_e32 v52, 1
	s_and_saveexec_b64 s[8:9], s[10:11]
	s_cbranch_execz .LBB573_208
; %bb.205:
	s_movk_i32 s10, 0x7f
	v_and_b32_e32 v42, 0x7f, v34
	v_cmp_ne_u32_e32 vcc, s10, v42
	v_mov_b32_e32 v52, 0x7f800001
	s_and_saveexec_b64 s[10:11], vcc
	s_cbranch_execz .LBB573_207
; %bb.206:
	v_and_b32_e32 v43, 7, v34
	v_ffbh_u32_e32 v44, v43
	v_min_u32_e32 v53, 32, v44
	v_subrev_u32_e32 v44, 28, v53
	v_lshlrev_b64 v[44:45], v44, v[34:35]
	v_lshrrev_b32_e32 v52, 3, v42
	v_sub_u32_e32 v45, 29, v53
	v_and_b32_e32 v44, 7, v44
	v_cmp_gt_u32_e32 vcc, 8, v42
	v_cndmask_b32_e32 v42, v52, v45, vcc
	v_cndmask_b32_e32 v43, v43, v44, vcc
	v_lshlrev_b32_e32 v44, 24, v34
	v_bfrev_b32_e32 v45, 60
	v_lshlrev_b32_e32 v43, 20, v43
	v_and_b32_e32 v44, 0x80000000, v44
	v_lshl_add_u32 v42, v42, 23, v45
	v_or3_b32 v52, v44, v42, v43
.LBB573_207:
	s_or_b64 exec, exec, s[10:11]
.LBB573_208:
	s_or_b64 exec, exec, s[8:9]
.LBB573_209:
	s_or_b64 exec, exec, s[2:3]
	s_nop 3
	v_lshrrev_b16_e32 v42, 8, v34
	v_cmp_ne_u16_e32 vcc, 0, v42
	v_mov_b32_e32 v43, 0
	v_mov_b32_e32 v44, 0
	s_and_saveexec_b64 s[2:3], vcc
	s_cbranch_execz .LBB573_215
; %bb.210:
	s_movk_i32 s8, 0x80
	v_cmp_ne_u16_e32 vcc, s8, v42
	v_bfrev_b32_e32 v44, 1
	s_and_saveexec_b64 s[8:9], vcc
	s_cbranch_execz .LBB573_214
; %bb.211:
	s_movk_i32 s10, 0x7f
	v_and_b32_e32 v45, 0x7f, v42
	v_cmp_ne_u32_e32 vcc, s10, v45
	v_mov_b32_e32 v44, 0x7f800001
	s_and_saveexec_b64 s[10:11], vcc
	s_cbranch_execz .LBB573_213
; %bb.212:
	v_and_b32_e32 v44, 7, v42
	v_ffbh_u32_e32 v54, v44
	v_min_u32_e32 v56, 32, v54
	v_subrev_u32_e32 v54, 28, v56
	v_lshlrev_b64 v[54:55], v54, v[42:43]
	v_lshrrev_b32_e32 v53, 3, v45
	v_sub_u32_e32 v42, 29, v56
	v_and_b32_e32 v54, 7, v54
	v_cmp_gt_u32_e32 vcc, 8, v45
	v_cndmask_b32_e32 v42, v53, v42, vcc
	v_cndmask_b32_e32 v44, v44, v54, vcc
	v_lshlrev_b32_e32 v45, 16, v34
	v_bfrev_b32_e32 v53, 60
	v_lshlrev_b32_e32 v44, 20, v44
	v_and_b32_e32 v45, 0x80000000, v45
	v_lshl_add_u32 v42, v42, 23, v53
	v_or3_b32 v44, v45, v42, v44
.LBB573_213:
	s_or_b64 exec, exec, s[10:11]
.LBB573_214:
	s_or_b64 exec, exec, s[8:9]
.LBB573_215:
	s_or_b64 exec, exec, s[2:3]
	s_movk_i32 s2, 0xff
	v_and_b32_sdwa v45, v34, s2 dst_sel:DWORD dst_unused:UNUSED_PAD src0_sel:WORD_1 src1_sel:DWORD
	v_lshrrev_b32_e32 v42, 16, v34
	v_cmp_ne_u16_e32 vcc, 0, v45
	s_and_saveexec_b64 s[2:3], vcc
	s_cbranch_execz .LBB573_221
; %bb.216:
	s_movk_i32 s8, 0x80
	v_cmp_ne_u16_e32 vcc, s8, v45
	v_bfrev_b32_e32 v43, 1
	s_and_saveexec_b64 s[8:9], vcc
	s_cbranch_execz .LBB573_220
; %bb.217:
	v_bfe_u32 v45, v34, 16, 7
	s_movk_i32 s10, 0x7f
	v_cmp_ne_u32_e32 vcc, s10, v45
	v_mov_b32_e32 v43, 0x7f800001
	s_and_saveexec_b64 s[10:11], vcc
	s_cbranch_execz .LBB573_219
; %bb.218:
	v_and_b32_e32 v53, 7, v42
	v_ffbh_u32_e32 v43, v53
	v_min_u32_e32 v55, 32, v43
	v_subrev_u32_e32 v43, 28, v55
	v_lshlrev_b64 v[42:43], v43, v[42:43]
	v_lshrrev_b32_e32 v54, 3, v45
	v_sub_u32_e32 v43, 29, v55
	v_and_b32_e32 v42, 7, v42
	v_cmp_gt_u32_e32 vcc, 8, v45
	v_mov_b32_e32 v45, 24
	v_cndmask_b32_e32 v43, v54, v43, vcc
	v_cndmask_b32_e32 v42, v53, v42, vcc
	v_lshlrev_b32_sdwa v45, v45, v34 dst_sel:DWORD dst_unused:UNUSED_PAD src0_sel:DWORD src1_sel:WORD_1
	v_bfrev_b32_e32 v53, 60
	v_lshlrev_b32_e32 v42, 20, v42
	v_and_b32_e32 v45, 0x80000000, v45
	v_lshl_add_u32 v43, v43, 23, v53
	v_or3_b32 v43, v45, v43, v42
.LBB573_219:
	s_or_b64 exec, exec, s[10:11]
.LBB573_220:
	s_or_b64 exec, exec, s[8:9]
.LBB573_221:
	s_or_b64 exec, exec, s[2:3]
	s_mov_b32 s2, 0xffffff
	v_cmp_lt_u32_e32 vcc, s2, v34
	v_mov_b32_e32 v45, 0
	v_mov_b32_e32 v54, 0
	s_and_saveexec_b64 s[2:3], vcc
	s_cbranch_execz .LBB573_227
; %bb.222:
	v_lshrrev_b32_e32 v42, 24, v34
	s_movk_i32 s8, 0x80
	v_cmp_ne_u32_e32 vcc, s8, v42
	v_bfrev_b32_e32 v54, 1
	s_and_saveexec_b64 s[8:9], vcc
	s_cbranch_execz .LBB573_226
; %bb.223:
	v_bfe_u32 v34, v34, 24, 7
	s_movk_i32 s10, 0x7f
	v_cmp_ne_u32_e32 vcc, s10, v34
	v_mov_b32_e32 v54, 0x7f800001
	s_and_saveexec_b64 s[10:11], vcc
	s_cbranch_execz .LBB573_225
; %bb.224:
	v_and_b32_e32 v53, 7, v42
	v_ffbh_u32_e32 v54, v53
	v_min_u32_e32 v57, 32, v54
	v_subrev_u32_e32 v54, 28, v57
	v_lshlrev_b64 v[54:55], v54, v[42:43]
	v_lshrrev_b32_e32 v56, 3, v34
	v_sub_u32_e32 v55, 29, v57
	v_and_b32_e32 v54, 7, v54
	v_cmp_gt_u32_e32 vcc, 8, v34
	v_cndmask_b32_e32 v34, v56, v55, vcc
	v_cndmask_b32_e32 v53, v53, v54, vcc
	v_lshlrev_b32_e32 v42, 24, v42
	v_bfrev_b32_e32 v54, 60
	v_lshlrev_b32_e32 v53, 20, v53
	v_and_b32_e32 v42, 0x80000000, v42
	v_lshl_add_u32 v34, v34, 23, v54
	v_or3_b32 v54, v42, v34, v53
.LBB573_225:
	s_or_b64 exec, exec, s[10:11]
.LBB573_226:
	s_or_b64 exec, exec, s[8:9]
.LBB573_227:
	s_or_b64 exec, exec, s[2:3]
	v_cmp_ne_u16_sdwa s[8:9], v35, v45 src0_sel:BYTE_0 src1_sel:DWORD
	s_and_saveexec_b64 s[2:3], s[8:9]
	s_cbranch_execz .LBB573_233
; %bb.228:
	s_movk_i32 s8, 0x80
	v_cmp_ne_u16_sdwa s[10:11], v35, s8 src0_sel:BYTE_0 src1_sel:DWORD
	v_bfrev_b32_e32 v45, 1
	s_and_saveexec_b64 s[8:9], s[10:11]
	s_cbranch_execz .LBB573_232
; %bb.229:
	s_movk_i32 s10, 0x7f
	v_and_b32_e32 v34, 0x7f, v35
	v_cmp_ne_u32_e32 vcc, s10, v34
	v_mov_b32_e32 v45, 0x7f800001
	s_and_saveexec_b64 s[10:11], vcc
	s_cbranch_execz .LBB573_231
; %bb.230:
	v_and_b32_e32 v45, 7, v35
	v_ffbh_u32_e32 v55, v45
	v_min_u32_e32 v55, 32, v55
	v_mov_b32_e32 v42, v35
	v_subrev_u32_e32 v56, 28, v55
	v_lshlrev_b64 v[56:57], v56, v[42:43]
	v_lshrrev_b32_e32 v53, 3, v34
	v_sub_u32_e32 v42, 29, v55
	v_and_b32_e32 v55, 7, v56
	v_cmp_gt_u32_e32 vcc, 8, v34
	v_cndmask_b32_e32 v34, v53, v42, vcc
	v_cndmask_b32_e32 v42, v45, v55, vcc
	v_lshlrev_b32_e32 v45, 24, v35
	v_bfrev_b32_e32 v53, 60
	v_lshlrev_b32_e32 v42, 20, v42
	v_and_b32_e32 v45, 0x80000000, v45
	v_lshl_add_u32 v34, v34, 23, v53
	v_or3_b32 v45, v45, v34, v42
.LBB573_231:
	s_or_b64 exec, exec, s[10:11]
.LBB573_232:
	s_or_b64 exec, exec, s[8:9]
.LBB573_233:
	s_or_b64 exec, exec, s[2:3]
	v_lshrrev_b16_e32 v34, 8, v35
	v_cmp_ne_u16_e32 vcc, 0, v34
	v_mov_b32_e32 v42, 0
	v_mov_b32_e32 v55, 0
	s_and_saveexec_b64 s[2:3], vcc
	s_cbranch_execz .LBB573_239
; %bb.234:
	s_movk_i32 s8, 0x80
	v_cmp_ne_u16_e32 vcc, s8, v34
	v_bfrev_b32_e32 v55, 1
	s_and_saveexec_b64 s[8:9], vcc
	s_cbranch_execz .LBB573_238
; %bb.235:
	s_movk_i32 s10, 0x7f
	v_and_b32_e32 v53, 0x7f, v34
	v_cmp_ne_u32_e32 vcc, s10, v53
	v_mov_b32_e32 v55, 0x7f800001
	s_and_saveexec_b64 s[10:11], vcc
	s_cbranch_execz .LBB573_237
; %bb.236:
	v_and_b32_e32 v55, 7, v34
	v_ffbh_u32_e32 v56, v55
	v_min_u32_e32 v59, 32, v56
	v_subrev_u32_e32 v56, 28, v59
	v_lshlrev_b64 v[56:57], v56, v[34:35]
	v_lshrrev_b32_e32 v58, 3, v53
	v_sub_u32_e32 v34, 29, v59
	v_and_b32_e32 v56, 7, v56
	v_cmp_gt_u32_e32 vcc, 8, v53
	v_cndmask_b32_e32 v34, v58, v34, vcc
	v_cndmask_b32_e32 v53, v55, v56, vcc
	v_lshlrev_b32_e32 v55, 16, v35
	v_bfrev_b32_e32 v56, 60
	v_lshlrev_b32_e32 v53, 20, v53
	v_and_b32_e32 v55, 0x80000000, v55
	v_lshl_add_u32 v34, v34, 23, v56
	v_or3_b32 v55, v55, v34, v53
.LBB573_237:
	s_or_b64 exec, exec, s[10:11]
.LBB573_238:
	s_or_b64 exec, exec, s[8:9]
.LBB573_239:
	s_or_b64 exec, exec, s[2:3]
	s_movk_i32 s2, 0xff
	v_and_b32_sdwa v53, v35, s2 dst_sel:DWORD dst_unused:UNUSED_PAD src0_sel:WORD_1 src1_sel:DWORD
	v_lshrrev_b32_e32 v34, 16, v35
	v_cmp_ne_u16_e32 vcc, 0, v53
	s_and_saveexec_b64 s[2:3], vcc
	s_cbranch_execz .LBB573_245
; %bb.240:
	s_movk_i32 s8, 0x80
	v_cmp_ne_u16_e32 vcc, s8, v53
	v_bfrev_b32_e32 v42, 1
	s_and_saveexec_b64 s[8:9], vcc
	s_cbranch_execz .LBB573_244
; %bb.241:
	v_bfe_u32 v53, v35, 16, 7
	s_movk_i32 s10, 0x7f
	v_cmp_ne_u32_e32 vcc, s10, v53
	v_mov_b32_e32 v42, 0x7f800001
	s_and_saveexec_b64 s[10:11], vcc
	s_cbranch_execz .LBB573_243
; %bb.242:
	v_and_b32_e32 v42, 7, v34
	v_ffbh_u32_e32 v56, v42
	v_min_u32_e32 v59, 32, v56
	v_subrev_u32_e32 v56, 28, v59
	v_lshlrev_b64 v[56:57], v56, v[34:35]
	v_lshrrev_b32_e32 v58, 3, v53
	v_sub_u32_e32 v34, 29, v59
	v_and_b32_e32 v56, 7, v56
	v_cmp_gt_u32_e32 vcc, 8, v53
	v_mov_b32_e32 v53, 24
	v_cndmask_b32_e32 v34, v58, v34, vcc
	v_cndmask_b32_e32 v42, v42, v56, vcc
	v_lshlrev_b32_sdwa v53, v53, v35 dst_sel:DWORD dst_unused:UNUSED_PAD src0_sel:DWORD src1_sel:WORD_1
	v_bfrev_b32_e32 v56, 60
	v_lshlrev_b32_e32 v42, 20, v42
	v_and_b32_e32 v53, 0x80000000, v53
	v_lshl_add_u32 v34, v34, 23, v56
	v_or3_b32 v42, v53, v34, v42
.LBB573_243:
	s_or_b64 exec, exec, s[10:11]
.LBB573_244:
	s_or_b64 exec, exec, s[8:9]
.LBB573_245:
	s_or_b64 exec, exec, s[2:3]
	s_mov_b32 s2, 0xffffff
	v_cmp_lt_u32_e32 vcc, s2, v35
	v_mov_b32_e32 v53, 0
	v_mov_b32_e32 v56, 0
	s_and_saveexec_b64 s[2:3], vcc
	s_cbranch_execz .LBB573_251
; %bb.246:
	v_lshrrev_b32_e32 v34, 24, v35
	s_movk_i32 s8, 0x80
	v_cmp_ne_u32_e32 vcc, s8, v34
	v_bfrev_b32_e32 v56, 1
	s_and_saveexec_b64 s[8:9], vcc
	s_cbranch_execz .LBB573_250
; %bb.247:
	v_bfe_u32 v35, v35, 24, 7
	s_movk_i32 s10, 0x7f
	v_cmp_ne_u32_e32 vcc, s10, v35
	v_mov_b32_e32 v56, 0x7f800001
	s_and_saveexec_b64 s[10:11], vcc
	s_cbranch_execz .LBB573_249
; %bb.248:
	v_and_b32_e32 v58, 7, v34
	v_ffbh_u32_e32 v56, v58
	v_min_u32_e32 v60, 32, v56
	v_subrev_u32_e32 v56, 28, v60
	v_lshlrev_b64 v[56:57], v56, v[34:35]
	v_lshrrev_b32_e32 v59, 3, v35
	v_sub_u32_e32 v57, 29, v60
	v_and_b32_e32 v56, 7, v56
	v_cmp_gt_u32_e32 vcc, 8, v35
	v_cndmask_b32_e32 v35, v59, v57, vcc
	v_cndmask_b32_e32 v56, v58, v56, vcc
	v_lshlrev_b32_e32 v34, 24, v34
	v_bfrev_b32_e32 v57, 60
	v_lshlrev_b32_e32 v56, 20, v56
	v_and_b32_e32 v34, 0x80000000, v34
	v_lshl_add_u32 v35, v35, 23, v57
	v_or3_b32 v56, v34, v35, v56
.LBB573_249:
	s_or_b64 exec, exec, s[10:11]
.LBB573_250:
	s_or_b64 exec, exec, s[8:9]
.LBB573_251:
	s_or_b64 exec, exec, s[2:3]
	v_cvt_pkrtz_f16_f32 v34, v52, v44
	v_cvt_pkrtz_f16_f32 v35, v43, v54
	v_cmp_ne_u16_sdwa s[8:9], v36, v53 src0_sel:BYTE_0 src1_sel:DWORD
	s_nop 0
	v_mfma_f32_16x16x16f16 v[58:61], v[34:35], v[26:27], 0
	v_cvt_pkrtz_f16_f32 v34, v45, v55
	v_cvt_pkrtz_f16_f32 v35, v42, v56
	s_nop 1
	v_mfma_f32_16x16x16f16 v[42:45], v[34:35], v[28:29], v[58:61]
	s_and_saveexec_b64 s[2:3], s[8:9]
	s_cbranch_execz .LBB573_257
; %bb.252:
	s_movk_i32 s8, 0x80
	v_cmp_ne_u16_sdwa s[10:11], v36, s8 src0_sel:BYTE_0 src1_sel:DWORD
	v_bfrev_b32_e32 v53, 1
	s_and_saveexec_b64 s[8:9], s[10:11]
	s_cbranch_execz .LBB573_256
; %bb.253:
	s_movk_i32 s10, 0x7f
	v_and_b32_e32 v34, 0x7f, v36
	v_cmp_ne_u32_e32 vcc, s10, v34
	v_mov_b32_e32 v53, 0x7f800001
	s_and_saveexec_b64 s[10:11], vcc
	s_cbranch_execz .LBB573_255
; %bb.254:
	v_and_b32_e32 v35, 7, v36
	v_ffbh_u32_e32 v52, v35
	v_min_u32_e32 v55, 32, v52
	v_subrev_u32_e32 v52, 28, v55
	v_lshlrev_b64 v[52:53], v52, v[36:37]
	v_lshrrev_b32_e32 v54, 3, v34
	v_sub_u32_e32 v53, 29, v55
	v_and_b32_e32 v52, 7, v52
	v_cmp_gt_u32_e32 vcc, 8, v34
	v_cndmask_b32_e32 v34, v54, v53, vcc
	v_cndmask_b32_e32 v35, v35, v52, vcc
	v_lshlrev_b32_e32 v52, 24, v36
	v_bfrev_b32_e32 v53, 60
	v_lshlrev_b32_e32 v35, 20, v35
	v_and_b32_e32 v52, 0x80000000, v52
	v_lshl_add_u32 v34, v34, 23, v53
	v_or3_b32 v53, v52, v34, v35
.LBB573_255:
	s_or_b64 exec, exec, s[10:11]
.LBB573_256:
	s_or_b64 exec, exec, s[8:9]
.LBB573_257:
	s_or_b64 exec, exec, s[2:3]
	v_lshrrev_b16_e32 v34, 8, v36
	v_cmp_ne_u16_e32 vcc, 0, v34
	v_mov_b32_e32 v35, 0
	v_mov_b32_e32 v54, 0
	s_and_saveexec_b64 s[2:3], vcc
	s_cbranch_execz .LBB573_263
; %bb.258:
	s_movk_i32 s8, 0x80
	v_cmp_ne_u16_e32 vcc, s8, v34
	v_bfrev_b32_e32 v54, 1
	s_and_saveexec_b64 s[8:9], vcc
	s_cbranch_execz .LBB573_262
; %bb.259:
	s_movk_i32 s10, 0x7f
	v_and_b32_e32 v52, 0x7f, v34
	v_cmp_ne_u32_e32 vcc, s10, v52
	v_mov_b32_e32 v54, 0x7f800001
	s_and_saveexec_b64 s[10:11], vcc
	s_cbranch_execz .LBB573_261
; %bb.260:
	v_and_b32_e32 v56, 7, v34
	v_ffbh_u32_e32 v54, v56
	v_min_u32_e32 v58, 32, v54
	v_subrev_u32_e32 v54, 28, v58
	v_lshlrev_b64 v[54:55], v54, v[34:35]
	v_lshrrev_b32_e32 v57, 3, v52
	v_sub_u32_e32 v34, 29, v58
	v_and_b32_e32 v54, 7, v54
	v_cmp_gt_u32_e32 vcc, 8, v52
	v_cndmask_b32_e32 v34, v57, v34, vcc
	v_cndmask_b32_e32 v52, v56, v54, vcc
	v_lshlrev_b32_e32 v54, 16, v36
	v_bfrev_b32_e32 v55, 60
	v_lshlrev_b32_e32 v52, 20, v52
	v_and_b32_e32 v54, 0x80000000, v54
	v_lshl_add_u32 v34, v34, 23, v55
	v_or3_b32 v54, v54, v34, v52
.LBB573_261:
	s_or_b64 exec, exec, s[10:11]
.LBB573_262:
	s_or_b64 exec, exec, s[8:9]
.LBB573_263:
	s_or_b64 exec, exec, s[2:3]
	s_movk_i32 s2, 0xff
	v_and_b32_sdwa v52, v36, s2 dst_sel:DWORD dst_unused:UNUSED_PAD src0_sel:WORD_1 src1_sel:DWORD
	v_lshrrev_b32_e32 v34, 16, v36
	v_cmp_ne_u16_e32 vcc, 0, v52
	s_and_saveexec_b64 s[2:3], vcc
	s_cbranch_execz .LBB573_269
; %bb.264:
	s_movk_i32 s8, 0x80
	v_cmp_ne_u16_e32 vcc, s8, v52
	v_bfrev_b32_e32 v35, 1
	s_and_saveexec_b64 s[8:9], vcc
	s_cbranch_execz .LBB573_268
; %bb.265:
	v_bfe_u32 v52, v36, 16, 7
	s_movk_i32 s10, 0x7f
	v_cmp_ne_u32_e32 vcc, s10, v52
	v_mov_b32_e32 v35, 0x7f800001
	s_and_saveexec_b64 s[10:11], vcc
	s_cbranch_execz .LBB573_267
; %bb.266:
	v_and_b32_e32 v55, 7, v34
	v_ffbh_u32_e32 v35, v55
	v_min_u32_e32 v57, 32, v35
	v_subrev_u32_e32 v35, 28, v57
	v_lshlrev_b64 v[34:35], v35, v[34:35]
	v_lshrrev_b32_e32 v56, 3, v52
	v_sub_u32_e32 v35, 29, v57
	v_and_b32_e32 v34, 7, v34
	v_cmp_gt_u32_e32 vcc, 8, v52
	v_mov_b32_e32 v52, 24
	v_cndmask_b32_e32 v35, v56, v35, vcc
	v_cndmask_b32_e32 v34, v55, v34, vcc
	v_lshlrev_b32_sdwa v52, v52, v36 dst_sel:DWORD dst_unused:UNUSED_PAD src0_sel:DWORD src1_sel:WORD_1
	v_bfrev_b32_e32 v55, 60
	v_lshlrev_b32_e32 v34, 20, v34
	v_and_b32_e32 v52, 0x80000000, v52
	v_lshl_add_u32 v35, v35, 23, v55
	v_or3_b32 v35, v52, v35, v34
.LBB573_267:
	s_or_b64 exec, exec, s[10:11]
.LBB573_268:
	s_or_b64 exec, exec, s[8:9]
.LBB573_269:
	s_or_b64 exec, exec, s[2:3]
	s_mov_b32 s2, 0xffffff
	v_cmp_lt_u32_e32 vcc, s2, v36
	v_mov_b32_e32 v55, 0
	v_mov_b32_e32 v56, 0
	s_and_saveexec_b64 s[2:3], vcc
	s_cbranch_execz .LBB573_275
; %bb.270:
	v_lshrrev_b32_e32 v34, 24, v36
	s_movk_i32 s8, 0x80
	v_cmp_ne_u32_e32 vcc, s8, v34
	v_bfrev_b32_e32 v56, 1
	s_and_saveexec_b64 s[8:9], vcc
	s_cbranch_execz .LBB573_274
; %bb.271:
	v_bfe_u32 v36, v36, 24, 7
	s_movk_i32 s10, 0x7f
	v_cmp_ne_u32_e32 vcc, s10, v36
	v_mov_b32_e32 v56, 0x7f800001
	s_and_saveexec_b64 s[10:11], vcc
	s_cbranch_execz .LBB573_273
; %bb.272:
	v_and_b32_e32 v52, 7, v34
	v_ffbh_u32_e32 v56, v52
	v_min_u32_e32 v59, 32, v56
	v_subrev_u32_e32 v56, 28, v59
	v_lshlrev_b64 v[56:57], v56, v[34:35]
	v_lshrrev_b32_e32 v58, 3, v36
	v_sub_u32_e32 v57, 29, v59
	v_and_b32_e32 v56, 7, v56
	v_cmp_gt_u32_e32 vcc, 8, v36
	v_cndmask_b32_e32 v36, v58, v57, vcc
	v_cndmask_b32_e32 v52, v52, v56, vcc
	v_lshlrev_b32_e32 v34, 24, v34
	v_bfrev_b32_e32 v56, 60
	v_lshlrev_b32_e32 v52, 20, v52
	v_and_b32_e32 v34, 0x80000000, v34
	v_lshl_add_u32 v36, v36, 23, v56
	v_or3_b32 v56, v34, v36, v52
.LBB573_273:
	s_or_b64 exec, exec, s[10:11]
.LBB573_274:
	s_or_b64 exec, exec, s[8:9]
.LBB573_275:
	s_or_b64 exec, exec, s[2:3]
	v_cmp_ne_u16_sdwa s[8:9], v37, v55 src0_sel:BYTE_0 src1_sel:DWORD
	s_and_saveexec_b64 s[2:3], s[8:9]
	s_cbranch_execz .LBB573_281
; %bb.276:
	s_movk_i32 s8, 0x80
	v_cmp_ne_u16_sdwa s[10:11], v37, s8 src0_sel:BYTE_0 src1_sel:DWORD
	v_bfrev_b32_e32 v55, 1
	s_and_saveexec_b64 s[8:9], s[10:11]
	s_cbranch_execz .LBB573_280
; %bb.277:
	s_movk_i32 s10, 0x7f
	v_and_b32_e32 v34, 0x7f, v37
	v_cmp_ne_u32_e32 vcc, s10, v34
	v_mov_b32_e32 v55, 0x7f800001
	s_and_saveexec_b64 s[10:11], vcc
	s_cbranch_execz .LBB573_279
; %bb.278:
	v_and_b32_e32 v52, 7, v37
	v_ffbh_u32_e32 v57, v52
	v_min_u32_e32 v57, 32, v57
	v_mov_b32_e32 v36, v37
	v_subrev_u32_e32 v58, 28, v57
	v_lshlrev_b64 v[58:59], v58, v[36:37]
	v_lshrrev_b32_e32 v55, 3, v34
	v_sub_u32_e32 v36, 29, v57
	v_and_b32_e32 v57, 7, v58
	v_cmp_gt_u32_e32 vcc, 8, v34
	v_cndmask_b32_e32 v34, v55, v36, vcc
	v_cndmask_b32_e32 v36, v52, v57, vcc
	v_lshlrev_b32_e32 v52, 24, v37
	v_bfrev_b32_e32 v55, 60
	v_lshlrev_b32_e32 v36, 20, v36
	v_and_b32_e32 v52, 0x80000000, v52
	v_lshl_add_u32 v34, v34, 23, v55
	v_or3_b32 v55, v52, v34, v36
.LBB573_279:
	s_or_b64 exec, exec, s[10:11]
.LBB573_280:
	s_or_b64 exec, exec, s[8:9]
.LBB573_281:
	s_or_b64 exec, exec, s[2:3]
	v_lshrrev_b16_e32 v34, 8, v37
	v_cmp_ne_u16_e32 vcc, 0, v34
	v_mov_b32_e32 v36, 0
	v_mov_b32_e32 v57, 0
	s_and_saveexec_b64 s[2:3], vcc
	s_cbranch_execz .LBB573_287
; %bb.282:
	s_movk_i32 s8, 0x80
	v_cmp_ne_u16_e32 vcc, s8, v34
	v_bfrev_b32_e32 v57, 1
	s_and_saveexec_b64 s[8:9], vcc
	s_cbranch_execz .LBB573_286
; %bb.283:
	s_movk_i32 s10, 0x7f
	v_and_b32_e32 v52, 0x7f, v34
	v_cmp_ne_u32_e32 vcc, s10, v52
	v_mov_b32_e32 v57, 0x7f800001
	s_and_saveexec_b64 s[10:11], vcc
	s_cbranch_execz .LBB573_285
; %bb.284:
	v_and_b32_e32 v57, 7, v34
	v_ffbh_u32_e32 v58, v57
	v_min_u32_e32 v61, 32, v58
	v_subrev_u32_e32 v58, 28, v61
	v_lshlrev_b64 v[58:59], v58, v[34:35]
	v_lshrrev_b32_e32 v60, 3, v52
	v_sub_u32_e32 v34, 29, v61
	v_and_b32_e32 v58, 7, v58
	v_cmp_gt_u32_e32 vcc, 8, v52
	v_cndmask_b32_e32 v34, v60, v34, vcc
	v_cndmask_b32_e32 v52, v57, v58, vcc
	v_lshlrev_b32_e32 v57, 16, v37
	v_bfrev_b32_e32 v58, 60
	v_lshlrev_b32_e32 v52, 20, v52
	v_and_b32_e32 v57, 0x80000000, v57
	v_lshl_add_u32 v34, v34, 23, v58
	v_or3_b32 v57, v57, v34, v52
.LBB573_285:
	s_or_b64 exec, exec, s[10:11]
.LBB573_286:
	s_or_b64 exec, exec, s[8:9]
.LBB573_287:
	s_or_b64 exec, exec, s[2:3]
	s_movk_i32 s2, 0xff
	v_and_b32_sdwa v52, v37, s2 dst_sel:DWORD dst_unused:UNUSED_PAD src0_sel:WORD_1 src1_sel:DWORD
	v_lshrrev_b32_e32 v34, 16, v37
	v_cmp_ne_u16_e32 vcc, 0, v52
	s_and_saveexec_b64 s[2:3], vcc
	s_cbranch_execz .LBB573_293
; %bb.288:
	s_movk_i32 s8, 0x80
	v_cmp_ne_u16_e32 vcc, s8, v52
	v_bfrev_b32_e32 v36, 1
	s_and_saveexec_b64 s[8:9], vcc
	s_cbranch_execz .LBB573_292
; %bb.289:
	v_bfe_u32 v52, v37, 16, 7
	s_movk_i32 s10, 0x7f
	v_cmp_ne_u32_e32 vcc, s10, v52
	v_mov_b32_e32 v36, 0x7f800001
	s_and_saveexec_b64 s[10:11], vcc
	s_cbranch_execz .LBB573_291
; %bb.290:
	v_and_b32_e32 v36, 7, v34
	v_ffbh_u32_e32 v58, v36
	v_min_u32_e32 v61, 32, v58
	v_subrev_u32_e32 v58, 28, v61
	v_lshlrev_b64 v[58:59], v58, v[34:35]
	v_lshrrev_b32_e32 v60, 3, v52
	v_sub_u32_e32 v34, 29, v61
	v_and_b32_e32 v58, 7, v58
	v_cmp_gt_u32_e32 vcc, 8, v52
	v_mov_b32_e32 v52, 24
	v_cndmask_b32_e32 v34, v60, v34, vcc
	v_cndmask_b32_e32 v36, v36, v58, vcc
	v_lshlrev_b32_sdwa v52, v52, v37 dst_sel:DWORD dst_unused:UNUSED_PAD src0_sel:DWORD src1_sel:WORD_1
	v_bfrev_b32_e32 v58, 60
	v_lshlrev_b32_e32 v36, 20, v36
	v_and_b32_e32 v52, 0x80000000, v52
	v_lshl_add_u32 v34, v34, 23, v58
	v_or3_b32 v36, v52, v34, v36
.LBB573_291:
	s_or_b64 exec, exec, s[10:11]
.LBB573_292:
	s_or_b64 exec, exec, s[8:9]
.LBB573_293:
	s_or_b64 exec, exec, s[2:3]
	s_mov_b32 s2, 0xffffff
	v_cmp_lt_u32_e32 vcc, s2, v37
	v_mov_b32_e32 v52, 0
	v_mov_b32_e32 v58, 0
	s_and_saveexec_b64 s[2:3], vcc
	s_cbranch_execz .LBB573_299
; %bb.294:
	v_lshrrev_b32_e32 v34, 24, v37
	s_movk_i32 s8, 0x80
	v_cmp_ne_u32_e32 vcc, s8, v34
	v_bfrev_b32_e32 v58, 1
	s_and_saveexec_b64 s[8:9], vcc
	s_cbranch_execz .LBB573_298
; %bb.295:
	v_bfe_u32 v37, v37, 24, 7
	s_movk_i32 s10, 0x7f
	v_cmp_ne_u32_e32 vcc, s10, v37
	v_mov_b32_e32 v58, 0x7f800001
	s_and_saveexec_b64 s[10:11], vcc
	s_cbranch_execz .LBB573_297
; %bb.296:
	v_and_b32_e32 v60, 7, v34
	v_ffbh_u32_e32 v58, v60
	v_min_u32_e32 v62, 32, v58
	v_subrev_u32_e32 v58, 28, v62
	v_lshlrev_b64 v[58:59], v58, v[34:35]
	v_lshrrev_b32_e32 v61, 3, v37
	v_sub_u32_e32 v59, 29, v62
	v_and_b32_e32 v58, 7, v58
	v_cmp_gt_u32_e32 vcc, 8, v37
	v_cndmask_b32_e32 v37, v61, v59, vcc
	v_cndmask_b32_e32 v58, v60, v58, vcc
	v_lshlrev_b32_e32 v34, 24, v34
	v_bfrev_b32_e32 v59, 60
	v_lshlrev_b32_e32 v58, 20, v58
	v_and_b32_e32 v34, 0x80000000, v34
	v_lshl_add_u32 v37, v37, 23, v59
	v_or3_b32 v58, v34, v37, v58
.LBB573_297:
	s_or_b64 exec, exec, s[10:11]
.LBB573_298:
	s_or_b64 exec, exec, s[8:9]
.LBB573_299:
	s_or_b64 exec, exec, s[2:3]
	v_cvt_pkrtz_f16_f32 v34, v53, v54
	v_cvt_pkrtz_f16_f32 v35, v35, v56
	s_waitcnt vmcnt(4)
	v_cmp_ne_u16_sdwa s[8:9], v22, v52 src0_sel:BYTE_0 src1_sel:DWORD
	v_mfma_f32_16x16x16f16 v[42:45], v[34:35], v[18:19], v[42:45]
	v_cvt_pkrtz_f16_f32 v34, v55, v57
	v_cvt_pkrtz_f16_f32 v35, v36, v58
	s_nop 1
	v_mfma_f32_16x16x16f16 v[34:37], v[34:35], v[20:21], v[42:45]
	s_and_saveexec_b64 s[2:3], s[8:9]
	s_cbranch_execz .LBB573_305
; %bb.300:
	s_movk_i32 s8, 0x80
	v_cmp_ne_u16_sdwa s[10:11], v22, s8 src0_sel:BYTE_0 src1_sel:DWORD
	v_bfrev_b32_e32 v52, 1
	s_and_saveexec_b64 s[8:9], s[10:11]
	s_cbranch_execz .LBB573_304
; %bb.301:
	s_movk_i32 s10, 0x7f
	v_and_b32_e32 v42, 0x7f, v22
	v_cmp_ne_u32_e32 vcc, s10, v42
	v_mov_b32_e32 v52, 0x7f800001
	s_and_saveexec_b64 s[10:11], vcc
	s_cbranch_execz .LBB573_303
; %bb.302:
	v_and_b32_e32 v43, 7, v22
	v_ffbh_u32_e32 v44, v43
	v_min_u32_e32 v53, 32, v44
	v_subrev_u32_e32 v44, 28, v53
	v_lshlrev_b64 v[44:45], v44, v[22:23]
	v_lshrrev_b32_e32 v52, 3, v42
	v_sub_u32_e32 v45, 29, v53
	v_and_b32_e32 v44, 7, v44
	v_cmp_gt_u32_e32 vcc, 8, v42
	v_cndmask_b32_e32 v42, v52, v45, vcc
	v_cndmask_b32_e32 v43, v43, v44, vcc
	v_lshlrev_b32_e32 v44, 24, v22
	v_bfrev_b32_e32 v45, 60
	v_lshlrev_b32_e32 v43, 20, v43
	v_and_b32_e32 v44, 0x80000000, v44
	v_lshl_add_u32 v42, v42, 23, v45
	v_or3_b32 v52, v44, v42, v43
.LBB573_303:
	s_or_b64 exec, exec, s[10:11]
.LBB573_304:
	s_or_b64 exec, exec, s[8:9]
.LBB573_305:
	s_or_b64 exec, exec, s[2:3]
	s_nop 3
	v_lshrrev_b16_e32 v42, 8, v22
	v_cmp_ne_u16_e32 vcc, 0, v42
	v_mov_b32_e32 v43, 0
	v_mov_b32_e32 v44, 0
	s_and_saveexec_b64 s[2:3], vcc
	s_cbranch_execz .LBB573_311
; %bb.306:
	s_movk_i32 s8, 0x80
	v_cmp_ne_u16_e32 vcc, s8, v42
	v_bfrev_b32_e32 v44, 1
	s_and_saveexec_b64 s[8:9], vcc
	s_cbranch_execz .LBB573_310
; %bb.307:
	s_movk_i32 s10, 0x7f
	v_and_b32_e32 v45, 0x7f, v42
	v_cmp_ne_u32_e32 vcc, s10, v45
	v_mov_b32_e32 v44, 0x7f800001
	s_and_saveexec_b64 s[10:11], vcc
	s_cbranch_execz .LBB573_309
; %bb.308:
	v_and_b32_e32 v44, 7, v42
	v_ffbh_u32_e32 v54, v44
	v_min_u32_e32 v56, 32, v54
	v_subrev_u32_e32 v54, 28, v56
	v_lshlrev_b64 v[54:55], v54, v[42:43]
	v_lshrrev_b32_e32 v53, 3, v45
	v_sub_u32_e32 v42, 29, v56
	v_and_b32_e32 v54, 7, v54
	v_cmp_gt_u32_e32 vcc, 8, v45
	v_cndmask_b32_e32 v42, v53, v42, vcc
	v_cndmask_b32_e32 v44, v44, v54, vcc
	v_lshlrev_b32_e32 v45, 16, v22
	v_bfrev_b32_e32 v53, 60
	v_lshlrev_b32_e32 v44, 20, v44
	v_and_b32_e32 v45, 0x80000000, v45
	v_lshl_add_u32 v42, v42, 23, v53
	v_or3_b32 v44, v45, v42, v44
.LBB573_309:
	s_or_b64 exec, exec, s[10:11]
.LBB573_310:
	s_or_b64 exec, exec, s[8:9]
.LBB573_311:
	s_or_b64 exec, exec, s[2:3]
	s_movk_i32 s2, 0xff
	v_and_b32_sdwa v45, v22, s2 dst_sel:DWORD dst_unused:UNUSED_PAD src0_sel:WORD_1 src1_sel:DWORD
	v_lshrrev_b32_e32 v42, 16, v22
	v_cmp_ne_u16_e32 vcc, 0, v45
	s_and_saveexec_b64 s[2:3], vcc
	s_cbranch_execz .LBB573_317
; %bb.312:
	s_movk_i32 s8, 0x80
	v_cmp_ne_u16_e32 vcc, s8, v45
	v_bfrev_b32_e32 v43, 1
	s_and_saveexec_b64 s[8:9], vcc
	s_cbranch_execz .LBB573_316
; %bb.313:
	v_bfe_u32 v45, v22, 16, 7
	s_movk_i32 s10, 0x7f
	v_cmp_ne_u32_e32 vcc, s10, v45
	v_mov_b32_e32 v43, 0x7f800001
	s_and_saveexec_b64 s[10:11], vcc
	s_cbranch_execz .LBB573_315
; %bb.314:
	v_and_b32_e32 v53, 7, v42
	v_ffbh_u32_e32 v43, v53
	v_min_u32_e32 v55, 32, v43
	v_subrev_u32_e32 v43, 28, v55
	v_lshlrev_b64 v[42:43], v43, v[42:43]
	v_lshrrev_b32_e32 v54, 3, v45
	v_sub_u32_e32 v43, 29, v55
	v_and_b32_e32 v42, 7, v42
	v_cmp_gt_u32_e32 vcc, 8, v45
	v_mov_b32_e32 v45, 24
	v_cndmask_b32_e32 v43, v54, v43, vcc
	v_cndmask_b32_e32 v42, v53, v42, vcc
	v_lshlrev_b32_sdwa v45, v45, v22 dst_sel:DWORD dst_unused:UNUSED_PAD src0_sel:DWORD src1_sel:WORD_1
	v_bfrev_b32_e32 v53, 60
	v_lshlrev_b32_e32 v42, 20, v42
	v_and_b32_e32 v45, 0x80000000, v45
	v_lshl_add_u32 v43, v43, 23, v53
	v_or3_b32 v43, v45, v43, v42
.LBB573_315:
	s_or_b64 exec, exec, s[10:11]
.LBB573_316:
	s_or_b64 exec, exec, s[8:9]
.LBB573_317:
	s_or_b64 exec, exec, s[2:3]
	s_mov_b32 s2, 0xffffff
	v_cmp_lt_u32_e32 vcc, s2, v22
	v_mov_b32_e32 v45, 0
	v_mov_b32_e32 v53, 0
	s_and_saveexec_b64 s[2:3], vcc
	s_cbranch_execz .LBB573_323
; %bb.318:
	v_lshrrev_b32_e32 v42, 24, v22
	s_movk_i32 s8, 0x80
	v_cmp_ne_u32_e32 vcc, s8, v42
	v_bfrev_b32_e32 v53, 1
	s_and_saveexec_b64 s[8:9], vcc
	s_cbranch_execz .LBB573_322
; %bb.319:
	v_bfe_u32 v22, v22, 24, 7
	s_movk_i32 s10, 0x7f
	v_cmp_ne_u32_e32 vcc, s10, v22
	v_mov_b32_e32 v53, 0x7f800001
	s_and_saveexec_b64 s[10:11], vcc
	s_cbranch_execz .LBB573_321
; %bb.320:
	v_and_b32_e32 v53, 7, v42
	v_ffbh_u32_e32 v54, v53
	v_min_u32_e32 v57, 32, v54
	v_subrev_u32_e32 v54, 28, v57
	v_lshlrev_b64 v[54:55], v54, v[42:43]
	v_lshrrev_b32_e32 v56, 3, v22
	v_sub_u32_e32 v55, 29, v57
	v_and_b32_e32 v54, 7, v54
	v_cmp_gt_u32_e32 vcc, 8, v22
	v_cndmask_b32_e32 v22, v56, v55, vcc
	v_cndmask_b32_e32 v53, v53, v54, vcc
	v_lshlrev_b32_e32 v42, 24, v42
	v_bfrev_b32_e32 v54, 60
	v_lshlrev_b32_e32 v53, 20, v53
	v_and_b32_e32 v42, 0x80000000, v42
	v_lshl_add_u32 v22, v22, 23, v54
	v_or3_b32 v53, v42, v22, v53
.LBB573_321:
	s_or_b64 exec, exec, s[10:11]
.LBB573_322:
	s_or_b64 exec, exec, s[8:9]
.LBB573_323:
	s_or_b64 exec, exec, s[2:3]
	v_cmp_ne_u16_sdwa s[8:9], v23, v45 src0_sel:BYTE_0 src1_sel:DWORD
	s_and_saveexec_b64 s[2:3], s[8:9]
	s_cbranch_execz .LBB573_329
; %bb.324:
	s_movk_i32 s8, 0x80
	v_cmp_ne_u16_sdwa s[10:11], v23, s8 src0_sel:BYTE_0 src1_sel:DWORD
	v_bfrev_b32_e32 v45, 1
	s_and_saveexec_b64 s[8:9], s[10:11]
	s_cbranch_execz .LBB573_328
; %bb.325:
	s_movk_i32 s10, 0x7f
	v_and_b32_e32 v22, 0x7f, v23
	v_cmp_ne_u32_e32 vcc, s10, v22
	v_mov_b32_e32 v45, 0x7f800001
	s_and_saveexec_b64 s[10:11], vcc
	s_cbranch_execz .LBB573_327
; %bb.326:
	v_and_b32_e32 v45, 7, v23
	v_ffbh_u32_e32 v54, v45
	v_min_u32_e32 v57, 32, v54
	v_mov_b32_e32 v42, v23
	v_subrev_u32_e32 v54, 28, v57
	v_lshlrev_b64 v[54:55], v54, v[42:43]
	v_lshrrev_b32_e32 v56, 3, v22
	v_sub_u32_e32 v42, 29, v57
	v_and_b32_e32 v54, 7, v54
	v_cmp_gt_u32_e32 vcc, 8, v22
	v_cndmask_b32_e32 v22, v56, v42, vcc
	v_cndmask_b32_e32 v42, v45, v54, vcc
	v_lshlrev_b32_e32 v45, 24, v23
	v_bfrev_b32_e32 v54, 60
	v_lshlrev_b32_e32 v42, 20, v42
	v_and_b32_e32 v45, 0x80000000, v45
	v_lshl_add_u32 v22, v22, 23, v54
	v_or3_b32 v45, v45, v22, v42
.LBB573_327:
	s_or_b64 exec, exec, s[10:11]
.LBB573_328:
	s_or_b64 exec, exec, s[8:9]
.LBB573_329:
	s_or_b64 exec, exec, s[2:3]
	v_lshrrev_b16_e32 v22, 8, v23
	v_cmp_ne_u16_e32 vcc, 0, v22
	v_mov_b32_e32 v54, 0
	v_mov_b32_e32 v55, 0
	s_and_saveexec_b64 s[2:3], vcc
	s_cbranch_execz .LBB573_335
; %bb.330:
	s_movk_i32 s8, 0x80
	v_cmp_ne_u16_e32 vcc, s8, v22
	v_bfrev_b32_e32 v55, 1
	s_and_saveexec_b64 s[8:9], vcc
	s_cbranch_execz .LBB573_334
; %bb.331:
	s_movk_i32 s10, 0x7f
	v_and_b32_e32 v42, 0x7f, v22
	v_cmp_ne_u32_e32 vcc, s10, v42
	v_mov_b32_e32 v55, 0x7f800001
	s_and_saveexec_b64 s[10:11], vcc
	s_cbranch_execz .LBB573_333
; %bb.332:
	v_and_b32_e32 v55, 7, v22
	v_ffbh_u32_e32 v56, v55
	v_min_u32_e32 v59, 32, v56
	v_subrev_u32_e32 v56, 28, v59
	v_lshlrev_b64 v[56:57], v56, v[22:23]
	v_lshrrev_b32_e32 v58, 3, v42
	v_sub_u32_e32 v22, 29, v59
	v_and_b32_e32 v56, 7, v56
	v_cmp_gt_u32_e32 vcc, 8, v42
	v_cndmask_b32_e32 v22, v58, v22, vcc
	v_cndmask_b32_e32 v42, v55, v56, vcc
	v_lshlrev_b32_e32 v55, 16, v23
	v_bfrev_b32_e32 v56, 60
	v_lshlrev_b32_e32 v42, 20, v42
	v_and_b32_e32 v55, 0x80000000, v55
	v_lshl_add_u32 v22, v22, 23, v56
	v_or3_b32 v55, v55, v22, v42
.LBB573_333:
	s_or_b64 exec, exec, s[10:11]
.LBB573_334:
	s_or_b64 exec, exec, s[8:9]
.LBB573_335:
	s_or_b64 exec, exec, s[2:3]
	s_movk_i32 s2, 0xff
	v_and_b32_sdwa v42, v23, s2 dst_sel:DWORD dst_unused:UNUSED_PAD src0_sel:WORD_1 src1_sel:DWORD
	v_lshrrev_b32_e32 v22, 16, v23
	v_cmp_ne_u16_e32 vcc, 0, v42
	s_and_saveexec_b64 s[2:3], vcc
	s_cbranch_execz .LBB573_341
; %bb.336:
	s_movk_i32 s8, 0x80
	v_cmp_ne_u16_e32 vcc, s8, v42
	v_bfrev_b32_e32 v54, 1
	s_and_saveexec_b64 s[8:9], vcc
	s_cbranch_execz .LBB573_340
; %bb.337:
	v_bfe_u32 v42, v23, 16, 7
	s_movk_i32 s10, 0x7f
	v_cmp_ne_u32_e32 vcc, s10, v42
	v_mov_b32_e32 v54, 0x7f800001
	s_and_saveexec_b64 s[10:11], vcc
	s_cbranch_execz .LBB573_339
; %bb.338:
	v_and_b32_e32 v54, 7, v22
	v_ffbh_u32_e32 v56, v54
	v_min_u32_e32 v59, 32, v56
	v_subrev_u32_e32 v56, 28, v59
	v_lshlrev_b64 v[56:57], v56, v[22:23]
	v_and_b32_e32 v56, 7, v56
	v_cmp_gt_u32_e32 vcc, 8, v42
	v_lshrrev_b32_e32 v58, 3, v42
	v_sub_u32_e32 v22, 29, v59
	v_cndmask_b32_e32 v42, v54, v56, vcc
	v_mov_b32_e32 v54, 24
	v_cndmask_b32_e32 v22, v58, v22, vcc
	v_lshlrev_b32_sdwa v54, v54, v23 dst_sel:DWORD dst_unused:UNUSED_PAD src0_sel:DWORD src1_sel:WORD_1
	v_bfrev_b32_e32 v56, 60
	v_lshlrev_b32_e32 v42, 20, v42
	v_and_b32_e32 v54, 0x80000000, v54
	v_lshl_add_u32 v22, v22, 23, v56
	v_or3_b32 v54, v54, v22, v42
.LBB573_339:
	s_or_b64 exec, exec, s[10:11]
.LBB573_340:
	s_or_b64 exec, exec, s[8:9]
.LBB573_341:
	s_or_b64 exec, exec, s[2:3]
	s_mov_b32 s2, 0xffffff
	v_cmp_lt_u32_e32 vcc, s2, v23
	v_mov_b32_e32 v42, 0
	v_mov_b32_e32 v56, 0
	s_and_saveexec_b64 s[2:3], vcc
	s_cbranch_execz .LBB573_347
; %bb.342:
	v_lshrrev_b32_e32 v22, 24, v23
	s_movk_i32 s8, 0x80
	v_cmp_ne_u32_e32 vcc, s8, v22
	v_bfrev_b32_e32 v56, 1
	s_and_saveexec_b64 s[8:9], vcc
	s_cbranch_execz .LBB573_346
; %bb.343:
	v_bfe_u32 v23, v23, 24, 7
	s_movk_i32 s10, 0x7f
	v_cmp_ne_u32_e32 vcc, s10, v23
	v_mov_b32_e32 v56, 0x7f800001
	s_and_saveexec_b64 s[10:11], vcc
	s_cbranch_execz .LBB573_345
; %bb.344:
	v_and_b32_e32 v58, 7, v22
	v_ffbh_u32_e32 v56, v58
	v_min_u32_e32 v60, 32, v56
	v_subrev_u32_e32 v56, 28, v60
	v_lshlrev_b64 v[56:57], v56, v[22:23]
	v_lshrrev_b32_e32 v59, 3, v23
	v_sub_u32_e32 v57, 29, v60
	v_and_b32_e32 v56, 7, v56
	v_cmp_gt_u32_e32 vcc, 8, v23
	v_cndmask_b32_e32 v23, v59, v57, vcc
	v_cndmask_b32_e32 v56, v58, v56, vcc
	v_lshlrev_b32_e32 v22, 24, v22
	v_bfrev_b32_e32 v57, 60
	v_lshlrev_b32_e32 v56, 20, v56
	v_and_b32_e32 v22, 0x80000000, v22
	v_lshl_add_u32 v23, v23, 23, v57
	v_or3_b32 v56, v22, v23, v56
.LBB573_345:
	s_or_b64 exec, exec, s[10:11]
.LBB573_346:
	s_or_b64 exec, exec, s[8:9]
.LBB573_347:
	s_or_b64 exec, exec, s[2:3]
	v_cvt_pkrtz_f16_f32 v22, v52, v44
	v_cvt_pkrtz_f16_f32 v23, v43, v53
	v_cmp_ne_u16_sdwa s[8:9], v24, v42 src0_sel:BYTE_0 src1_sel:DWORD
	s_nop 0
	v_mfma_f32_16x16x16f16 v[58:61], v[22:23], v[26:27], 0
	v_cvt_pkrtz_f16_f32 v22, v45, v55
	v_cvt_pkrtz_f16_f32 v23, v54, v56
	s_nop 1
	v_mfma_f32_16x16x16f16 v[26:29], v[22:23], v[28:29], v[58:61]
	s_and_saveexec_b64 s[2:3], s[8:9]
	s_cbranch_execz .LBB573_353
; %bb.348:
	s_movk_i32 s8, 0x80
	v_cmp_ne_u16_sdwa s[10:11], v24, s8 src0_sel:BYTE_0 src1_sel:DWORD
	v_bfrev_b32_e32 v42, 1
	s_and_saveexec_b64 s[8:9], s[10:11]
	s_cbranch_execz .LBB573_352
; %bb.349:
	s_movk_i32 s10, 0x7f
	v_and_b32_e32 v22, 0x7f, v24
	v_cmp_ne_u32_e32 vcc, s10, v22
	v_mov_b32_e32 v42, 0x7f800001
	s_and_saveexec_b64 s[10:11], vcc
	s_cbranch_execz .LBB573_351
; %bb.350:
	v_and_b32_e32 v23, 7, v24
	v_ffbh_u32_e32 v42, v23
	v_min_u32_e32 v45, 32, v42
	v_subrev_u32_e32 v42, 28, v45
	v_lshlrev_b64 v[42:43], v42, v[24:25]
	v_lshrrev_b32_e32 v44, 3, v22
	v_sub_u32_e32 v43, 29, v45
	v_and_b32_e32 v42, 7, v42
	v_cmp_gt_u32_e32 vcc, 8, v22
	v_cndmask_b32_e32 v22, v44, v43, vcc
	v_cndmask_b32_e32 v23, v23, v42, vcc
	v_lshlrev_b32_e32 v42, 24, v24
	v_bfrev_b32_e32 v43, 60
	v_lshlrev_b32_e32 v23, 20, v23
	v_and_b32_e32 v42, 0x80000000, v42
	v_lshl_add_u32 v22, v22, 23, v43
	v_or3_b32 v42, v42, v22, v23
.LBB573_351:
	s_or_b64 exec, exec, s[10:11]
.LBB573_352:
	s_or_b64 exec, exec, s[8:9]
.LBB573_353:
	s_or_b64 exec, exec, s[2:3]
	v_lshrrev_b16_e32 v22, 8, v24
	v_cmp_ne_u16_e32 vcc, 0, v22
	v_mov_b32_e32 v23, 0
	v_mov_b32_e32 v43, 0
	s_and_saveexec_b64 s[2:3], vcc
	s_cbranch_execz .LBB573_359
; %bb.354:
	s_movk_i32 s8, 0x80
	v_cmp_ne_u16_e32 vcc, s8, v22
	v_bfrev_b32_e32 v43, 1
	s_and_saveexec_b64 s[8:9], vcc
	s_cbranch_execz .LBB573_358
; %bb.355:
	s_movk_i32 s10, 0x7f
	v_and_b32_e32 v44, 0x7f, v22
	v_cmp_ne_u32_e32 vcc, s10, v44
	v_mov_b32_e32 v43, 0x7f800001
	s_and_saveexec_b64 s[10:11], vcc
	s_cbranch_execz .LBB573_357
; %bb.356:
	v_and_b32_e32 v43, 7, v22
	v_ffbh_u32_e32 v52, v43
	v_min_u32_e32 v54, 32, v52
	v_subrev_u32_e32 v52, 28, v54
	v_lshlrev_b64 v[52:53], v52, v[22:23]
	v_lshrrev_b32_e32 v45, 3, v44
	v_sub_u32_e32 v22, 29, v54
	v_and_b32_e32 v52, 7, v52
	v_cmp_gt_u32_e32 vcc, 8, v44
	v_cndmask_b32_e32 v22, v45, v22, vcc
	v_cndmask_b32_e32 v43, v43, v52, vcc
	v_lshlrev_b32_e32 v44, 16, v24
	v_bfrev_b32_e32 v45, 60
	v_lshlrev_b32_e32 v43, 20, v43
	v_and_b32_e32 v44, 0x80000000, v44
	v_lshl_add_u32 v22, v22, 23, v45
	v_or3_b32 v43, v44, v22, v43
.LBB573_357:
	s_or_b64 exec, exec, s[10:11]
.LBB573_358:
	s_or_b64 exec, exec, s[8:9]
.LBB573_359:
	s_or_b64 exec, exec, s[2:3]
	s_movk_i32 s2, 0xff
	v_and_b32_sdwa v44, v24, s2 dst_sel:DWORD dst_unused:UNUSED_PAD src0_sel:WORD_1 src1_sel:DWORD
	v_lshrrev_b32_e32 v22, 16, v24
	v_cmp_ne_u16_e32 vcc, 0, v44
	s_and_saveexec_b64 s[2:3], vcc
	s_cbranch_execz .LBB573_365
; %bb.360:
	s_movk_i32 s8, 0x80
	v_cmp_ne_u16_e32 vcc, s8, v44
	v_bfrev_b32_e32 v23, 1
	s_and_saveexec_b64 s[8:9], vcc
	s_cbranch_execz .LBB573_364
; %bb.361:
	v_bfe_u32 v44, v24, 16, 7
	s_movk_i32 s10, 0x7f
	v_cmp_ne_u32_e32 vcc, s10, v44
	v_mov_b32_e32 v23, 0x7f800001
	s_and_saveexec_b64 s[10:11], vcc
	s_cbranch_execz .LBB573_363
; %bb.362:
	v_and_b32_e32 v45, 7, v22
	v_ffbh_u32_e32 v23, v45
	v_min_u32_e32 v53, 32, v23
	v_subrev_u32_e32 v23, 28, v53
	v_lshlrev_b64 v[22:23], v23, v[22:23]
	v_lshrrev_b32_e32 v52, 3, v44
	v_sub_u32_e32 v23, 29, v53
	v_and_b32_e32 v22, 7, v22
	v_cmp_gt_u32_e32 vcc, 8, v44
	v_mov_b32_e32 v44, 24
	v_cndmask_b32_e32 v23, v52, v23, vcc
	v_cndmask_b32_e32 v22, v45, v22, vcc
	v_lshlrev_b32_sdwa v44, v44, v24 dst_sel:DWORD dst_unused:UNUSED_PAD src0_sel:DWORD src1_sel:WORD_1
	v_bfrev_b32_e32 v45, 60
	v_lshlrev_b32_e32 v22, 20, v22
	v_and_b32_e32 v44, 0x80000000, v44
	v_lshl_add_u32 v23, v23, 23, v45
	v_or3_b32 v23, v44, v23, v22
.LBB573_363:
	s_or_b64 exec, exec, s[10:11]
.LBB573_364:
	s_or_b64 exec, exec, s[8:9]
.LBB573_365:
	s_or_b64 exec, exec, s[2:3]
	s_mov_b32 s2, 0xffffff
	v_cmp_lt_u32_e32 vcc, s2, v24
	v_mov_b32_e32 v44, 0
	v_mov_b32_e32 v45, 0
	s_and_saveexec_b64 s[2:3], vcc
	s_cbranch_execz .LBB573_371
; %bb.366:
	v_lshrrev_b32_e32 v22, 24, v24
	s_movk_i32 s8, 0x80
	v_cmp_ne_u32_e32 vcc, s8, v22
	v_bfrev_b32_e32 v45, 1
	s_and_saveexec_b64 s[8:9], vcc
	s_cbranch_execz .LBB573_370
; %bb.367:
	v_bfe_u32 v24, v24, 24, 7
	s_movk_i32 s10, 0x7f
	v_cmp_ne_u32_e32 vcc, s10, v24
	v_mov_b32_e32 v45, 0x7f800001
	s_and_saveexec_b64 s[10:11], vcc
	s_cbranch_execz .LBB573_369
; %bb.368:
	v_and_b32_e32 v45, 7, v22
	v_ffbh_u32_e32 v52, v45
	v_min_u32_e32 v55, 32, v52
	v_subrev_u32_e32 v52, 28, v55
	v_lshlrev_b64 v[52:53], v52, v[22:23]
	v_lshrrev_b32_e32 v54, 3, v24
	v_sub_u32_e32 v53, 29, v55
	v_and_b32_e32 v52, 7, v52
	v_cmp_gt_u32_e32 vcc, 8, v24
	v_cndmask_b32_e32 v24, v54, v53, vcc
	v_cndmask_b32_e32 v45, v45, v52, vcc
	v_lshlrev_b32_e32 v22, 24, v22
	v_bfrev_b32_e32 v52, 60
	v_lshlrev_b32_e32 v45, 20, v45
	v_and_b32_e32 v22, 0x80000000, v22
	v_lshl_add_u32 v24, v24, 23, v52
	v_or3_b32 v45, v22, v24, v45
.LBB573_369:
	s_or_b64 exec, exec, s[10:11]
.LBB573_370:
	s_or_b64 exec, exec, s[8:9]
.LBB573_371:
	s_or_b64 exec, exec, s[2:3]
	v_cmp_ne_u16_sdwa s[8:9], v25, v44 src0_sel:BYTE_0 src1_sel:DWORD
	s_and_saveexec_b64 s[2:3], s[8:9]
	s_cbranch_execz .LBB573_377
; %bb.372:
	s_movk_i32 s8, 0x80
	v_cmp_ne_u16_sdwa s[10:11], v25, s8 src0_sel:BYTE_0 src1_sel:DWORD
	v_bfrev_b32_e32 v44, 1
	s_and_saveexec_b64 s[8:9], s[10:11]
	s_cbranch_execz .LBB573_376
; %bb.373:
	s_movk_i32 s10, 0x7f
	v_and_b32_e32 v22, 0x7f, v25
	v_cmp_ne_u32_e32 vcc, s10, v22
	v_mov_b32_e32 v44, 0x7f800001
	s_and_saveexec_b64 s[10:11], vcc
	s_cbranch_execz .LBB573_375
; %bb.374:
	v_and_b32_e32 v44, 7, v25
	v_ffbh_u32_e32 v52, v44
	v_min_u32_e32 v55, 32, v52
	v_mov_b32_e32 v24, v25
	v_subrev_u32_e32 v52, 28, v55
	v_lshlrev_b64 v[52:53], v52, v[24:25]
	v_lshrrev_b32_e32 v54, 3, v22
	v_sub_u32_e32 v24, 29, v55
	v_and_b32_e32 v52, 7, v52
	v_cmp_gt_u32_e32 vcc, 8, v22
	v_cndmask_b32_e32 v22, v54, v24, vcc
	v_cndmask_b32_e32 v24, v44, v52, vcc
	v_lshlrev_b32_e32 v44, 24, v25
	v_bfrev_b32_e32 v52, 60
	v_lshlrev_b32_e32 v24, 20, v24
	v_and_b32_e32 v44, 0x80000000, v44
	v_lshl_add_u32 v22, v22, 23, v52
	v_or3_b32 v44, v44, v22, v24
.LBB573_375:
	s_or_b64 exec, exec, s[10:11]
.LBB573_376:
	s_or_b64 exec, exec, s[8:9]
.LBB573_377:
	s_or_b64 exec, exec, s[2:3]
	v_lshrrev_b16_e32 v22, 8, v25
	v_cmp_ne_u16_e32 vcc, 0, v22
	v_mov_b32_e32 v24, 0
	v_mov_b32_e32 v53, 0
	s_and_saveexec_b64 s[2:3], vcc
	s_cbranch_execz .LBB573_383
; %bb.378:
	s_movk_i32 s8, 0x80
	v_cmp_ne_u16_e32 vcc, s8, v22
	v_bfrev_b32_e32 v53, 1
	s_and_saveexec_b64 s[8:9], vcc
	s_cbranch_execz .LBB573_382
; %bb.379:
	s_movk_i32 s10, 0x7f
	v_and_b32_e32 v52, 0x7f, v22
	v_cmp_ne_u32_e32 vcc, s10, v52
	v_mov_b32_e32 v53, 0x7f800001
	s_and_saveexec_b64 s[10:11], vcc
	s_cbranch_execz .LBB573_381
; %bb.380:
	v_and_b32_e32 v53, 7, v22
	v_ffbh_u32_e32 v54, v53
	v_min_u32_e32 v57, 32, v54
	v_subrev_u32_e32 v54, 28, v57
	v_lshlrev_b64 v[54:55], v54, v[22:23]
	v_lshrrev_b32_e32 v56, 3, v52
	v_sub_u32_e32 v22, 29, v57
	v_and_b32_e32 v54, 7, v54
	v_cmp_gt_u32_e32 vcc, 8, v52
	v_cndmask_b32_e32 v22, v56, v22, vcc
	v_cndmask_b32_e32 v52, v53, v54, vcc
	v_lshlrev_b32_e32 v53, 16, v25
	v_bfrev_b32_e32 v54, 60
	v_lshlrev_b32_e32 v52, 20, v52
	v_and_b32_e32 v53, 0x80000000, v53
	v_lshl_add_u32 v22, v22, 23, v54
	v_or3_b32 v53, v53, v22, v52
.LBB573_381:
	s_or_b64 exec, exec, s[10:11]
.LBB573_382:
	s_or_b64 exec, exec, s[8:9]
.LBB573_383:
	s_or_b64 exec, exec, s[2:3]
	s_movk_i32 s2, 0xff
	v_and_b32_sdwa v52, v25, s2 dst_sel:DWORD dst_unused:UNUSED_PAD src0_sel:WORD_1 src1_sel:DWORD
	v_lshrrev_b32_e32 v22, 16, v25
	v_cmp_ne_u16_e32 vcc, 0, v52
	s_and_saveexec_b64 s[2:3], vcc
	s_cbranch_execz .LBB573_389
; %bb.384:
	s_movk_i32 s8, 0x80
	v_cmp_ne_u16_e32 vcc, s8, v52
	v_bfrev_b32_e32 v24, 1
	s_and_saveexec_b64 s[8:9], vcc
	s_cbranch_execz .LBB573_388
; %bb.385:
	v_bfe_u32 v52, v25, 16, 7
	s_movk_i32 s10, 0x7f
	v_cmp_ne_u32_e32 vcc, s10, v52
	v_mov_b32_e32 v24, 0x7f800001
	s_and_saveexec_b64 s[10:11], vcc
	s_cbranch_execz .LBB573_387
; %bb.386:
	v_and_b32_e32 v24, 7, v22
	v_ffbh_u32_e32 v54, v24
	v_min_u32_e32 v57, 32, v54
	v_subrev_u32_e32 v54, 28, v57
	v_lshlrev_b64 v[54:55], v54, v[22:23]
	v_lshrrev_b32_e32 v56, 3, v52
	v_sub_u32_e32 v22, 29, v57
	v_and_b32_e32 v54, 7, v54
	v_cmp_gt_u32_e32 vcc, 8, v52
	v_mov_b32_e32 v52, 24
	v_cndmask_b32_e32 v22, v56, v22, vcc
	v_cndmask_b32_e32 v24, v24, v54, vcc
	v_lshlrev_b32_sdwa v52, v52, v25 dst_sel:DWORD dst_unused:UNUSED_PAD src0_sel:DWORD src1_sel:WORD_1
	v_bfrev_b32_e32 v54, 60
	v_lshlrev_b32_e32 v24, 20, v24
	v_and_b32_e32 v52, 0x80000000, v52
	v_lshl_add_u32 v22, v22, 23, v54
	v_or3_b32 v24, v52, v22, v24
.LBB573_387:
	s_or_b64 exec, exec, s[10:11]
.LBB573_388:
	s_or_b64 exec, exec, s[8:9]
.LBB573_389:
	s_or_b64 exec, exec, s[2:3]
	s_mov_b32 s2, 0xffffff
	v_and_b32_e32 v52, 63, v0
	v_cmp_lt_u32_e32 vcc, s2, v25
	v_mov_b32_e32 v54, 0
	s_and_saveexec_b64 s[2:3], vcc
	s_cbranch_execz .LBB573_395
; %bb.390:
	v_lshrrev_b32_e32 v22, 24, v25
	s_movk_i32 s8, 0x80
	v_cmp_ne_u32_e32 vcc, s8, v22
	v_bfrev_b32_e32 v54, 1
	s_and_saveexec_b64 s[8:9], vcc
	s_cbranch_execz .LBB573_394
; %bb.391:
	v_bfe_u32 v25, v25, 24, 7
	s_movk_i32 s10, 0x7f
	v_cmp_ne_u32_e32 vcc, s10, v25
	v_mov_b32_e32 v54, 0x7f800001
	s_and_saveexec_b64 s[10:11], vcc
	s_cbranch_execz .LBB573_393
; %bb.392:
	v_and_b32_e32 v56, 7, v22
	v_ffbh_u32_e32 v54, v56
	v_min_u32_e32 v58, 32, v54
	v_subrev_u32_e32 v54, 28, v58
	v_lshlrev_b64 v[54:55], v54, v[22:23]
	v_lshrrev_b32_e32 v57, 3, v25
	v_sub_u32_e32 v55, 29, v58
	v_and_b32_e32 v54, 7, v54
	v_cmp_gt_u32_e32 vcc, 8, v25
	v_cndmask_b32_e32 v25, v57, v55, vcc
	v_cndmask_b32_e32 v54, v56, v54, vcc
	v_lshlrev_b32_e32 v22, 24, v22
	v_bfrev_b32_e32 v55, 60
	v_lshlrev_b32_e32 v54, 20, v54
	v_and_b32_e32 v22, 0x80000000, v22
	v_lshl_add_u32 v25, v25, 23, v55
	v_or3_b32 v54, v22, v25, v54
.LBB573_393:
	s_or_b64 exec, exec, s[10:11]
.LBB573_394:
	s_or_b64 exec, exec, s[8:9]
.LBB573_395:
	s_or_b64 exec, exec, s[2:3]
	v_cvt_pkrtz_f16_f32 v42, v42, v43
	v_cvt_pkrtz_f16_f32 v43, v23, v45
	s_load_dword s2, s[4:5], 0x1c
	s_mov_b32 s46, 0xff7fffff
	s_waitcnt lgkmcnt(0)
	v_mfma_f32_16x16x16f16 v[26:29], v[42:43], v[18:19], v[26:29]
	v_cvt_pkrtz_f16_f32 v18, v44, v53
	v_cvt_pkrtz_f16_f32 v19, v24, v54
	v_and_b32_e32 v24, 0xc0, v0
	v_mov_b32_e32 v22, s2
	v_add_u32_e32 v24, s20, v24
	v_mul_f32_e32 v56, s12, v22
	v_lshl_or_b32 v42, v1, 2, v24
	v_mfma_f32_16x16x16f16 v[18:21], v[18:19], v[20:21], v[26:29]
	v_pk_mul_f32 v[22:23], v[56:57], v[36:37] op_sel_hi:[0,1]
	v_pk_mul_f32 v[36:37], v[56:57], v[40:41] op_sel_hi:[0,1]
	;; [unrolled: 1-line block ×4, first 2 shown]
	v_mov_b32_e32 v43, 0xff7fffff
	v_cmp_gt_i32_e64 s[26:27], s33, v42
	v_pk_mul_f32 v[38:39], v[56:57], v[38:39] op_sel_hi:[0,1]
	s_nop 3
	v_pk_mul_f32 v[32:33], v[56:57], v[18:19] op_sel_hi:[0,1]
	v_or_b32_e32 v19, 1, v42
	v_cmp_gt_i32_e64 s[28:29], s33, v19
	v_cndmask_b32_e64 v18, v43, v30, s[26:27]
	v_cndmask_b32_e64 v19, v43, v31, s[28:29]
	v_pk_mul_f32 v[24:25], v[56:57], v[20:21] op_sel_hi:[0,1]
	v_max3_f32 v18, v18, s46, v19
	v_or_b32_e32 v19, 2, v42
	v_or_b32_e32 v20, 3, v42
	v_cmp_gt_i32_e64 s[30:31], s33, v19
	v_cmp_gt_i32_e64 s[34:35], s33, v20
	v_cndmask_b32_e64 v19, v43, v40, s[30:31]
	v_cndmask_b32_e64 v20, v43, v41, s[34:35]
	v_max3_f32 v18, v18, v19, v20
	v_or_b32_e32 v19, 16, v42
	v_or_b32_e32 v20, 17, v42
	v_cmp_gt_i32_e64 s[36:37], s33, v19
	v_cmp_gt_i32_e64 s[38:39], s33, v20
	v_cndmask_b32_e64 v19, v43, v38, s[36:37]
	v_cndmask_b32_e64 v20, v43, v39, s[38:39]
	;; [unrolled: 7-line block ×3, first 2 shown]
	v_max3_f32 v18, v18, v19, v20
	v_or_b32_e32 v19, 32, v42
	v_or_b32_e32 v20, 33, v42
	v_pk_mul_f32 v[34:35], v[56:57], v[34:35] op_sel_hi:[0,1]
	v_cmp_gt_i32_e64 s[16:17], s33, v19
	v_cmp_gt_i32_e64 s[18:19], s33, v20
	v_cndmask_b32_e64 v19, v43, v34, s[16:17]
	v_cndmask_b32_e64 v20, v43, v35, s[18:19]
	v_max3_f32 v18, v18, v19, v20
	v_or_b32_e32 v19, 34, v42
	v_or_b32_e32 v20, 35, v42
	v_cmp_gt_i32_e64 s[12:13], s33, v19
	v_cmp_gt_i32_e64 s[14:15], s33, v20
	v_cndmask_b32_e64 v19, v43, v22, s[12:13]
	v_cndmask_b32_e64 v20, v43, v23, s[14:15]
	v_max3_f32 v18, v18, v19, v20
	v_or_b32_e32 v19, 48, v42
	v_or_b32_e32 v20, 49, v42
	;; [unrolled: 7-line block ×3, first 2 shown]
	v_cmp_gt_i32_e32 vcc, s33, v19
	v_cmp_gt_i32_e64 s[2:3], s33, v20
	v_cndmask_b32_e32 v19, v43, v24, vcc
	v_cndmask_b32_e64 v20, v43, v25, s[2:3]
	v_max3_f32 v18, v18, v19, v20
	v_mbcnt_lo_u32_b32 v19, -1, 0
	v_mbcnt_hi_u32_b32 v19, -1, v19
	v_and_b32_e32 v20, 64, v19
	v_add_u32_e32 v20, 64, v20
	v_xor_b32_e32 v21, 32, v19
	v_cmp_lt_i32_e64 s[40:41], v21, v20
	v_cndmask_b32_e64 v21, v19, v21, s[40:41]
	v_lshlrev_b32_e32 v43, 2, v21
	ds_bpermute_b32 v21, v43, v18
	s_barrier
	s_waitcnt lgkmcnt(0)
	v_max_f32_e32 v21, v21, v21
	v_max_f32_e32 v18, v18, v21
	v_xor_b32_e32 v21, 16, v19
	v_cmp_lt_i32_e64 s[40:41], v21, v20
	v_cndmask_b32_e64 v19, v19, v21, s[40:41]
	v_lshlrev_b32_e32 v44, 2, v19
	ds_bpermute_b32 v19, v44, v18
	s_waitcnt lgkmcnt(0)
	v_max_f32_e32 v19, v19, v19
	v_max_f32_e32 v42, v18, v19
	v_sub_f32_e32 v21, v40, v42
	v_sub_f32_e32 v26, v41, v42
	v_mul_f32_e32 v21, 0x3fb8aa3b, v21
	v_mul_f32_e32 v26, 0x3fb8aa3b, v26
	v_sub_f32_e32 v18, v30, v42
	v_exp_f32_e32 v21, v21
	v_exp_f32_e32 v26, v26
	v_mul_f32_e32 v18, 0x3fb8aa3b, v18
	v_sub_f32_e32 v19, v31, v42
	v_exp_f32_e32 v18, v18
	v_mul_f32_e32 v19, 0x3fb8aa3b, v19
	v_exp_f32_e32 v19, v19
	v_cndmask_b32_e64 v28, 0, v21, s[30:31]
	v_cndmask_b32_e64 v29, 0, v26, s[34:35]
	v_sub_f32_e32 v21, v38, v42
	v_sub_f32_e32 v26, v39, v42
	v_mul_f32_e32 v21, 0x3fb8aa3b, v21
	v_mul_f32_e32 v26, 0x3fb8aa3b, v26
	v_cndmask_b32_e64 v18, 0, v18, s[26:27]
	v_exp_f32_e32 v21, v21
	v_exp_f32_e32 v26, v26
	v_add_f32_e32 v20, 0, v18
	v_cndmask_b32_e64 v19, 0, v19, s[28:29]
	v_add_f32_e32 v20, v20, v19
	v_add_f32_e32 v20, v20, v28
	;; [unrolled: 1-line block ×3, first 2 shown]
	v_cndmask_b32_e64 v20, 0, v21, s[36:37]
	v_cndmask_b32_e64 v21, 0, v26, s[38:39]
	v_sub_f32_e32 v26, v36, v42
	v_mul_f32_e32 v26, 0x3fb8aa3b, v26
	v_exp_f32_e32 v26, v26
	v_sub_f32_e32 v30, v37, v42
	v_add_f32_e32 v27, v27, v20
	v_mul_f32_e32 v30, 0x3fb8aa3b, v30
	v_exp_f32_e32 v31, v30
	v_add_f32_e32 v27, v27, v21
	v_cndmask_b32_e64 v30, 0, v26, s[20:21]
	v_add_f32_e32 v26, v27, v30
	v_sub_f32_e32 v27, v34, v42
	v_mul_f32_e32 v27, 0x3fb8aa3b, v27
	v_sub_f32_e32 v34, v35, v42
	v_exp_f32_e32 v27, v27
	v_mul_f32_e32 v34, 0x3fb8aa3b, v34
	v_sub_f32_e32 v22, v22, v42
	v_exp_f32_e32 v34, v34
	;; [unrolled: 3-line block ×3, first 2 shown]
	v_mul_f32_e32 v23, 0x3fb8aa3b, v23
	v_cndmask_b32_e64 v31, 0, v31, s[22:23]
	v_exp_f32_e32 v23, v23
	v_add_f32_e32 v35, v26, v31
	v_cndmask_b32_e64 v26, 0, v27, s[16:17]
	v_add_f32_e32 v35, v35, v26
	v_cndmask_b32_e64 v27, 0, v34, s[18:19]
	;; [unrolled: 2-line block ×4, first 2 shown]
	v_sub_f32_e32 v23, v32, v42
	v_mul_f32_e32 v23, 0x3fb8aa3b, v23
	v_sub_f32_e32 v32, v33, v42
	v_exp_f32_e32 v23, v23
	v_mul_f32_e32 v32, 0x3fb8aa3b, v32
	v_sub_f32_e32 v24, v24, v42
	v_exp_f32_e32 v32, v32
	;; [unrolled: 3-line block ×3, first 2 shown]
	v_mul_f32_e32 v25, 0x3fb8aa3b, v25
	v_exp_f32_e32 v25, v25
	v_add_f32_e32 v33, v22, v35
	v_cndmask_b32_e64 v22, 0, v23, s[8:9]
	v_add_f32_e32 v33, v33, v22
	v_cndmask_b32_e64 v23, 0, v32, s[10:11]
	v_add_f32_e32 v32, v33, v23
	v_cndmask_b32_e32 v24, 0, v24, vcc
	v_add_f32_e32 v32, v32, v24
	v_cndmask_b32_e64 v25, 0, v25, s[2:3]
	v_add_f32_e32 v32, v32, v25
	ds_bpermute_b32 v33, v43, v32
	v_cmp_gt_u32_e32 vcc, 16, v52
	s_waitcnt lgkmcnt(0)
	v_add_f32_e32 v33, v32, v33
	ds_bpermute_b32 v36, v44, v33
	v_lshlrev_b32_e32 v32, 2, v50
	s_and_saveexec_b64 s[2:3], vcc
	s_cbranch_execz .LBB573_397
; %bb.396:
	s_waitcnt lgkmcnt(0)
	v_add_f32_e32 v33, v33, v36
	v_lshl_or_b32 v36, v49, 6, v32
	ds_write2st64_b32 v36, v42, v33 offset1:1
.LBB573_397:
	s_or_b64 exec, exec, s[2:3]
	s_waitcnt lgkmcnt(0)
	s_barrier
	ds_read2_b32 v[36:37], v32 offset1:16
	ds_read2_b32 v[38:39], v32 offset0:32 offset1:48
	ds_read2_b32 v[40:41], v32 offset0:64 offset1:80
	;; [unrolled: 1-line block ×3, first 2 shown]
	s_waitcnt lgkmcnt(0)
	v_max3_f32 v33, v36, s46, v37
	v_max3_f32 v33, v33, v38, v39
	v_sub_f32_e32 v36, v36, v33
	v_mul_f32_e32 v36, 0x3fb8aa3b, v36
	v_exp_f32_e32 v44, v36
	v_sub_f32_e32 v36, v37, v33
	v_mul_f32_e32 v36, 0x3fb8aa3b, v36
	v_exp_f32_e32 v37, v36
	v_sub_f32_e32 v36, v38, v33
	v_mul_f32_e32 v36, 0x3fb8aa3b, v36
	v_sub_f32_e32 v32, v39, v33
	v_exp_f32_e32 v38, v36
	v_mul_f32_e32 v32, 0x3fb8aa3b, v32
	v_exp_f32_e32 v39, v32
	v_fma_f32 v36, v44, v40, 0
	v_fmac_f32_e32 v36, v37, v41
	v_fmac_f32_e32 v36, v38, v42
	;; [unrolled: 1-line block ×3, first 2 shown]
	v_add_f32_e32 v40, 0x358637bd, v36
	v_div_scale_f32 v41, s[2:3], v40, v40, 1.0
	v_rcp_f32_e32 v42, v41
	s_barrier
	s_lshl_b32 s12, s45, 4
	v_fma_f32 v43, -v41, v42, 1.0
	v_fmac_f32_e32 v42, v43, v42
	v_div_scale_f32 v43, vcc, 1.0, v40, 1.0
	v_mul_f32_e32 v45, v43, v42
	v_fma_f32 v50, -v41, v45, v43
	v_fmac_f32_e32 v45, v50, v42
	v_fma_f32 v41, -v41, v45, v43
	v_div_fmas_f32 v41, v41, v42, v45
	v_cmp_eq_u32_e32 vcc, 1, v49
	v_cndmask_b32_e32 v37, v44, v37, vcc
	v_cmp_eq_u32_e32 vcc, 2, v49
	v_cndmask_b32_e32 v37, v37, v38, vcc
	v_cmp_eq_u32_e32 vcc, 3, v49
	v_div_fixup_f32 v40, v41, v40, 1.0
	v_cndmask_b32_e32 v37, v37, v39, vcc
	v_mul_f32_e32 v38, v37, v40
	v_pk_mul_f32 v[28:29], v[38:39], v[28:29] op_sel_hi:[0,1]
	v_pk_mul_f32 v[18:19], v[38:39], v[18:19] op_sel_hi:[0,1]
	v_cvt_f16_f32_e32 v18, v18
	v_cvt_f16_f32_e32 v19, v19
	;; [unrolled: 1-line block ×4, first 2 shown]
	v_pk_mul_f32 v[20:21], v[38:39], v[20:21] op_sel_hi:[0,1]
	v_pack_b32_f16 v18, v18, v19
	v_cvt_f16_f32_e32 v20, v20
	v_pack_b32_f16 v19, v28, v29
	v_pk_mul_f32 v[28:29], v[38:39], v[30:31] op_sel_hi:[0,1]
	v_cvt_f16_f32_e32 v21, v21
	v_cvt_f16_f32_e32 v30, v28
	;; [unrolled: 1-line block ×3, first 2 shown]
	v_lshlrev_b32_e32 v37, 3, v1
	v_lshlrev_b32_e32 v28, 11, v49
	v_or3_b32 v28, v28, v51, v37
	v_pack_b32_f16 v20, v20, v21
	v_pack_b32_f16 v21, v30, v29
	ds_write2st64_b64 v28, v[18:19], v[20:21] offset1:1
	v_pk_mul_f32 v[18:19], v[38:39], v[34:35] op_sel_hi:[0,1]
	v_pk_mul_f32 v[20:21], v[38:39], v[26:27] op_sel_hi:[0,1]
	v_cvt_f16_f32_e32 v26, v20
	v_cvt_f16_f32_e32 v27, v21
	;; [unrolled: 1-line block ×4, first 2 shown]
	v_pk_mul_f32 v[18:19], v[38:39], v[24:25] op_sel_hi:[0,1]
	v_pk_mul_f32 v[20:21], v[38:39], v[22:23] op_sel_hi:[0,1]
	v_cvt_f16_f32_e32 v20, v20
	v_cvt_f16_f32_e32 v21, v21
	;; [unrolled: 1-line block ×4, first 2 shown]
	v_mov_b32_e32 v32, 0
	v_pack_b32_f16 v18, v26, v27
	v_pack_b32_f16 v19, v29, v30
	;; [unrolled: 1-line block ×4, first 2 shown]
	v_cmp_gt_u32_e32 vcc, 16, v0
	ds_write2st64_b64 v28, v[18:19], v[20:21] offset0:2 offset1:3
	s_and_saveexec_b64 s[2:3], vcc
	s_cbranch_execz .LBB573_399
; %bb.398:
	v_or_b32_e32 v18, s25, v0
	v_mov_b32_e32 v19, 0
	v_mov_b32_e32 v20, s12
	v_mad_u64_u32 v[20:21], s[14:15], s6, v20, v[18:19]
	v_mov_b32_e32 v18, s24
	s_load_dwordx4 s[8:11], s[4:5], 0x58
	s_mul_i32 s7, s7, s12
	v_mad_u64_u32 v[18:19], s[14:15], v20, s44, v[18:19]
	v_add_u32_e32 v21, s7, v21
	v_mov_b32_e32 v20, v19
	v_mad_u64_u32 v[20:21], s[14:15], v21, s44, v[20:21]
	v_mov_b32_e32 v19, v20
	v_lshlrev_b64 v[18:19], 2, v[18:19]
	s_waitcnt lgkmcnt(0)
	v_mov_b32_e32 v21, s11
	v_add_co_u32_e32 v20, vcc, s10, v18
	v_addc_co_u32_e32 v21, vcc, v21, v19, vcc
	global_store_dword v[20:21], v33, off
	v_mov_b32_e32 v20, s9
	v_add_co_u32_e32 v18, vcc, s8, v18
	v_addc_co_u32_e32 v19, vcc, v20, v19, vcc
	global_store_dword v[18:19], v36, off
.LBB573_399:
	s_or_b64 exec, exec, s[2:3]
	v_mov_b32_e32 v19, 0
	s_waitcnt vmcnt(3)
	v_cmp_ne_u16_sdwa s[8:9], v14, v19 src0_sel:BYTE_0 src1_sel:DWORD
	s_waitcnt lgkmcnt(0)
	s_barrier
	s_and_saveexec_b64 s[2:3], s[8:9]
	s_cbranch_execz .LBB573_405
; %bb.400:
	s_movk_i32 s7, 0x80
	v_cmp_ne_u16_sdwa s[10:11], v14, s7 src0_sel:BYTE_0 src1_sel:DWORD
	v_bfrev_b32_e32 v32, 1
	s_and_saveexec_b64 s[8:9], s[10:11]
	s_cbranch_execz .LBB573_404
; %bb.401:
	s_movk_i32 s7, 0x7f
	v_and_b32_e32 v18, 0x7f, v14
	v_cmp_ne_u32_e32 vcc, s7, v18
	v_mov_b32_e32 v32, 0x7f800001
	s_and_saveexec_b64 s[10:11], vcc
	s_cbranch_execz .LBB573_403
; %bb.402:
	v_and_b32_e32 v22, 7, v14
	v_ffbh_u32_e32 v20, v22
	v_min_u32_e32 v24, 32, v20
	v_subrev_u32_e32 v20, 28, v24
	v_lshlrev_b64 v[20:21], v20, v[14:15]
	v_lshrrev_b32_e32 v23, 3, v18
	v_sub_u32_e32 v21, 29, v24
	v_and_b32_e32 v20, 7, v20
	v_cmp_gt_u32_e32 vcc, 8, v18
	v_cndmask_b32_e32 v18, v23, v21, vcc
	v_cndmask_b32_e32 v20, v22, v20, vcc
	v_lshlrev_b32_e32 v21, 24, v14
	v_bfrev_b32_e32 v22, 60
	v_lshlrev_b32_e32 v20, 20, v20
	v_and_b32_e32 v21, 0x80000000, v21
	v_lshl_add_u32 v18, v18, 23, v22
	v_or3_b32 v32, v21, v18, v20
.LBB573_403:
	s_or_b64 exec, exec, s[10:11]
.LBB573_404:
	s_or_b64 exec, exec, s[8:9]
.LBB573_405:
	s_or_b64 exec, exec, s[2:3]
	v_lshrrev_b16_e32 v18, 8, v14
	v_cmp_ne_u16_e32 vcc, 0, v18
	v_mov_b32_e32 v20, 0
	s_and_saveexec_b64 s[2:3], vcc
	s_cbranch_execz .LBB573_411
; %bb.406:
	s_movk_i32 s7, 0x80
	v_cmp_ne_u16_e32 vcc, s7, v18
	v_bfrev_b32_e32 v20, 1
	s_and_saveexec_b64 s[8:9], vcc
	s_cbranch_execz .LBB573_410
; %bb.407:
	s_movk_i32 s7, 0x7f
	v_and_b32_e32 v21, 0x7f, v18
	v_cmp_ne_u32_e32 vcc, s7, v21
	v_mov_b32_e32 v20, 0x7f800001
	s_and_saveexec_b64 s[10:11], vcc
	s_cbranch_execz .LBB573_409
; %bb.408:
	v_and_b32_e32 v20, 7, v18
	v_ffbh_u32_e32 v22, v20
	v_min_u32_e32 v25, 32, v22
	v_subrev_u32_e32 v22, 28, v25
	v_lshlrev_b64 v[22:23], v22, v[18:19]
	v_lshrrev_b32_e32 v24, 3, v21
	v_sub_u32_e32 v18, 29, v25
	v_and_b32_e32 v22, 7, v22
	v_cmp_gt_u32_e32 vcc, 8, v21
	v_cndmask_b32_e32 v18, v24, v18, vcc
	v_cndmask_b32_e32 v20, v20, v22, vcc
	v_lshlrev_b32_e32 v21, 16, v14
	v_bfrev_b32_e32 v22, 60
	v_lshlrev_b32_e32 v20, 20, v20
	v_and_b32_e32 v21, 0x80000000, v21
	v_lshl_add_u32 v18, v18, 23, v22
	v_or3_b32 v20, v21, v18, v20
.LBB573_409:
	s_or_b64 exec, exec, s[10:11]
.LBB573_410:
	s_or_b64 exec, exec, s[8:9]
.LBB573_411:
	s_or_b64 exec, exec, s[2:3]
	s_movk_i32 s2, 0xff
	v_and_b32_sdwa v21, v14, s2 dst_sel:DWORD dst_unused:UNUSED_PAD src0_sel:WORD_1 src1_sel:DWORD
	v_lshrrev_b32_e32 v18, 16, v14
	v_cmp_ne_u16_e32 vcc, 0, v21
	s_and_saveexec_b64 s[2:3], vcc
	s_cbranch_execz .LBB573_417
; %bb.412:
	s_movk_i32 s7, 0x80
	v_cmp_ne_u16_e32 vcc, s7, v21
	v_bfrev_b32_e32 v19, 1
	s_and_saveexec_b64 s[8:9], vcc
	s_cbranch_execz .LBB573_416
; %bb.413:
	v_bfe_u32 v21, v14, 16, 7
	s_movk_i32 s7, 0x7f
	v_cmp_ne_u32_e32 vcc, s7, v21
	v_mov_b32_e32 v19, 0x7f800001
	s_and_saveexec_b64 s[10:11], vcc
	s_cbranch_execz .LBB573_415
; %bb.414:
	v_and_b32_e32 v22, 7, v18
	v_ffbh_u32_e32 v19, v22
	v_min_u32_e32 v24, 32, v19
	v_subrev_u32_e32 v19, 28, v24
	v_lshlrev_b64 v[18:19], v19, v[18:19]
	v_lshrrev_b32_e32 v23, 3, v21
	v_sub_u32_e32 v19, 29, v24
	v_and_b32_e32 v18, 7, v18
	v_cmp_gt_u32_e32 vcc, 8, v21
	v_mov_b32_e32 v21, 24
	v_cndmask_b32_e32 v19, v23, v19, vcc
	v_cndmask_b32_e32 v18, v22, v18, vcc
	v_lshlrev_b32_sdwa v21, v21, v14 dst_sel:DWORD dst_unused:UNUSED_PAD src0_sel:DWORD src1_sel:WORD_1
	v_bfrev_b32_e32 v22, 60
	v_lshlrev_b32_e32 v18, 20, v18
	v_and_b32_e32 v21, 0x80000000, v21
	v_lshl_add_u32 v19, v19, 23, v22
	v_or3_b32 v19, v21, v19, v18
.LBB573_415:
	s_or_b64 exec, exec, s[10:11]
.LBB573_416:
	s_or_b64 exec, exec, s[8:9]
.LBB573_417:
	s_or_b64 exec, exec, s[2:3]
	s_mov_b32 s2, 0xffffff
	v_cmp_lt_u32_e32 vcc, s2, v14
	v_mov_b32_e32 v21, 0
	v_mov_b32_e32 v23, 0
	s_and_saveexec_b64 s[2:3], vcc
	s_cbranch_execz .LBB573_423
; %bb.418:
	v_lshrrev_b32_e32 v18, 24, v14
	s_movk_i32 s7, 0x80
	v_cmp_ne_u32_e32 vcc, s7, v18
	v_bfrev_b32_e32 v23, 1
	s_and_saveexec_b64 s[8:9], vcc
	s_cbranch_execz .LBB573_422
; %bb.419:
	v_bfe_u32 v14, v14, 24, 7
	s_movk_i32 s7, 0x7f
	v_cmp_ne_u32_e32 vcc, s7, v14
	v_mov_b32_e32 v23, 0x7f800001
	s_and_saveexec_b64 s[10:11], vcc
	s_cbranch_execz .LBB573_421
; %bb.420:
	v_and_b32_e32 v24, 7, v18
	v_ffbh_u32_e32 v22, v24
	v_min_u32_e32 v26, 32, v22
	v_subrev_u32_e32 v22, 28, v26
	v_lshlrev_b64 v[22:23], v22, v[18:19]
	v_lshrrev_b32_e32 v25, 3, v14
	v_sub_u32_e32 v23, 29, v26
	v_and_b32_e32 v22, 7, v22
	v_cmp_gt_u32_e32 vcc, 8, v14
	v_cndmask_b32_e32 v14, v25, v23, vcc
	v_cndmask_b32_e32 v22, v24, v22, vcc
	v_lshlrev_b32_e32 v18, 24, v18
	v_bfrev_b32_e32 v23, 60
	v_lshlrev_b32_e32 v22, 20, v22
	v_and_b32_e32 v18, 0x80000000, v18
	v_lshl_add_u32 v14, v14, 23, v23
	v_or3_b32 v23, v18, v14, v22
.LBB573_421:
	s_or_b64 exec, exec, s[10:11]
.LBB573_422:
	s_or_b64 exec, exec, s[8:9]
.LBB573_423:
	s_or_b64 exec, exec, s[2:3]
	v_cmp_ne_u16_sdwa s[8:9], v15, v21 src0_sel:BYTE_0 src1_sel:DWORD
	s_and_saveexec_b64 s[2:3], s[8:9]
	s_cbranch_execz .LBB573_429
; %bb.424:
	s_movk_i32 s7, 0x80
	v_cmp_ne_u16_sdwa s[10:11], v15, s7 src0_sel:BYTE_0 src1_sel:DWORD
	v_bfrev_b32_e32 v21, 1
	s_and_saveexec_b64 s[8:9], s[10:11]
	s_cbranch_execz .LBB573_428
; %bb.425:
	s_movk_i32 s7, 0x7f
	v_and_b32_e32 v14, 0x7f, v15
	v_cmp_ne_u32_e32 vcc, s7, v14
	v_mov_b32_e32 v21, 0x7f800001
	s_and_saveexec_b64 s[10:11], vcc
	s_cbranch_execz .LBB573_427
; %bb.426:
	v_and_b32_e32 v21, 7, v15
	v_ffbh_u32_e32 v24, v21
	v_min_u32_e32 v26, 32, v24
	v_mov_b32_e32 v18, v15
	v_subrev_u32_e32 v24, 28, v26
	v_lshlrev_b64 v[24:25], v24, v[18:19]
	v_lshrrev_b32_e32 v22, 3, v14
	v_sub_u32_e32 v18, 29, v26
	v_and_b32_e32 v24, 7, v24
	v_cmp_gt_u32_e32 vcc, 8, v14
	v_cndmask_b32_e32 v14, v22, v18, vcc
	v_cndmask_b32_e32 v18, v21, v24, vcc
	v_lshlrev_b32_e32 v21, 24, v15
	v_bfrev_b32_e32 v22, 60
	v_lshlrev_b32_e32 v18, 20, v18
	v_and_b32_e32 v21, 0x80000000, v21
	v_lshl_add_u32 v14, v14, 23, v22
	v_or3_b32 v21, v21, v14, v18
.LBB573_427:
	s_or_b64 exec, exec, s[10:11]
.LBB573_428:
	s_or_b64 exec, exec, s[8:9]
.LBB573_429:
	s_or_b64 exec, exec, s[2:3]
	v_lshrrev_b16_e32 v14, 8, v15
	v_cmp_ne_u16_e32 vcc, 0, v14
	v_mov_b32_e32 v18, 0
	v_mov_b32_e32 v24, 0
	s_and_saveexec_b64 s[2:3], vcc
	s_cbranch_execz .LBB573_435
; %bb.430:
	s_movk_i32 s7, 0x80
	v_cmp_ne_u16_e32 vcc, s7, v14
	v_bfrev_b32_e32 v24, 1
	s_and_saveexec_b64 s[8:9], vcc
	s_cbranch_execz .LBB573_434
; %bb.431:
	s_movk_i32 s7, 0x7f
	v_and_b32_e32 v22, 0x7f, v14
	v_cmp_ne_u32_e32 vcc, s7, v22
	v_mov_b32_e32 v24, 0x7f800001
	s_and_saveexec_b64 s[10:11], vcc
	s_cbranch_execz .LBB573_433
; %bb.432:
	v_and_b32_e32 v26, 7, v14
	v_ffbh_u32_e32 v24, v26
	v_min_u32_e32 v29, 32, v24
	v_subrev_u32_e32 v24, 28, v29
	v_lshlrev_b64 v[24:25], v24, v[14:15]
	v_lshrrev_b32_e32 v27, 3, v22
	v_sub_u32_e32 v14, 29, v29
	v_and_b32_e32 v24, 7, v24
	v_cmp_gt_u32_e32 vcc, 8, v22
	v_cndmask_b32_e32 v14, v27, v14, vcc
	v_cndmask_b32_e32 v22, v26, v24, vcc
	v_lshlrev_b32_e32 v24, 16, v15
	v_bfrev_b32_e32 v25, 60
	v_lshlrev_b32_e32 v22, 20, v22
	v_and_b32_e32 v24, 0x80000000, v24
	v_lshl_add_u32 v14, v14, 23, v25
	v_or3_b32 v24, v24, v14, v22
.LBB573_433:
	s_or_b64 exec, exec, s[10:11]
.LBB573_434:
	s_or_b64 exec, exec, s[8:9]
.LBB573_435:
	s_or_b64 exec, exec, s[2:3]
	s_movk_i32 s2, 0xff
	v_and_b32_sdwa v22, v15, s2 dst_sel:DWORD dst_unused:UNUSED_PAD src0_sel:WORD_1 src1_sel:DWORD
	v_lshrrev_b32_e32 v14, 16, v15
	v_cmp_ne_u16_e32 vcc, 0, v22
	s_and_saveexec_b64 s[2:3], vcc
	s_cbranch_execz .LBB573_441
; %bb.436:
	s_movk_i32 s7, 0x80
	v_cmp_ne_u16_e32 vcc, s7, v22
	v_bfrev_b32_e32 v18, 1
	s_and_saveexec_b64 s[8:9], vcc
	s_cbranch_execz .LBB573_440
; %bb.437:
	v_bfe_u32 v22, v15, 16, 7
	s_movk_i32 s7, 0x7f
	v_cmp_ne_u32_e32 vcc, s7, v22
	v_mov_b32_e32 v18, 0x7f800001
	s_and_saveexec_b64 s[10:11], vcc
	s_cbranch_execz .LBB573_439
; %bb.438:
	v_and_b32_e32 v18, 7, v14
	v_ffbh_u32_e32 v26, v18
	v_min_u32_e32 v29, 32, v26
	v_subrev_u32_e32 v26, 28, v29
	v_lshlrev_b64 v[26:27], v26, v[14:15]
	v_lshrrev_b32_e32 v25, 3, v22
	v_sub_u32_e32 v14, 29, v29
	v_and_b32_e32 v26, 7, v26
	v_cmp_gt_u32_e32 vcc, 8, v22
	v_mov_b32_e32 v22, 24
	v_cndmask_b32_e32 v14, v25, v14, vcc
	v_cndmask_b32_e32 v18, v18, v26, vcc
	v_lshlrev_b32_sdwa v22, v22, v15 dst_sel:DWORD dst_unused:UNUSED_PAD src0_sel:DWORD src1_sel:WORD_1
	v_bfrev_b32_e32 v25, 60
	v_lshlrev_b32_e32 v18, 20, v18
	v_and_b32_e32 v22, 0x80000000, v22
	v_lshl_add_u32 v14, v14, 23, v25
	v_or3_b32 v18, v22, v14, v18
.LBB573_439:
	s_or_b64 exec, exec, s[10:11]
.LBB573_440:
	s_or_b64 exec, exec, s[8:9]
.LBB573_441:
	s_or_b64 exec, exec, s[2:3]
	s_mov_b32 s2, 0xffffff
	v_cmp_lt_u32_e32 vcc, s2, v15
	v_mov_b32_e32 v22, 0
	v_mov_b32_e32 v25, 0
	s_and_saveexec_b64 s[2:3], vcc
	s_cbranch_execz .LBB573_447
; %bb.442:
	v_lshrrev_b32_e32 v14, 24, v15
	s_movk_i32 s7, 0x80
	v_cmp_ne_u32_e32 vcc, s7, v14
	v_bfrev_b32_e32 v25, 1
	s_and_saveexec_b64 s[8:9], vcc
	s_cbranch_execz .LBB573_446
; %bb.443:
	v_bfe_u32 v15, v15, 24, 7
	s_movk_i32 s7, 0x7f
	v_cmp_ne_u32_e32 vcc, s7, v15
	v_mov_b32_e32 v25, 0x7f800001
	s_and_saveexec_b64 s[10:11], vcc
	s_cbranch_execz .LBB573_445
; %bb.444:
	v_and_b32_e32 v25, 7, v14
	v_ffbh_u32_e32 v26, v25
	v_min_u32_e32 v30, 32, v26
	v_subrev_u32_e32 v26, 28, v30
	v_lshlrev_b64 v[26:27], v26, v[14:15]
	v_lshrrev_b32_e32 v29, 3, v15
	v_sub_u32_e32 v27, 29, v30
	v_and_b32_e32 v26, 7, v26
	v_cmp_gt_u32_e32 vcc, 8, v15
	v_cndmask_b32_e32 v15, v29, v27, vcc
	v_cndmask_b32_e32 v25, v25, v26, vcc
	v_lshlrev_b32_e32 v14, 24, v14
	v_bfrev_b32_e32 v26, 60
	v_lshlrev_b32_e32 v25, 20, v25
	v_and_b32_e32 v14, 0x80000000, v14
	v_lshl_add_u32 v15, v15, 23, v26
	v_or3_b32 v25, v14, v15, v25
.LBB573_445:
	s_or_b64 exec, exec, s[10:11]
.LBB573_446:
	s_or_b64 exec, exec, s[8:9]
.LBB573_447:
	s_or_b64 exec, exec, s[2:3]
	v_cvt_pkrtz_f16_f32 v14, v32, v20
	v_cvt_pkrtz_f16_f32 v15, v19, v23
	ds_read_b128 v[30:33], v48
	v_cmp_ne_u16_sdwa s[8:9], v16, v22 src0_sel:BYTE_0 src1_sel:DWORD
	s_waitcnt lgkmcnt(0)
	v_mfma_f32_16x16x16f16 v[34:37], v[14:15], v[30:31], 0
	v_cvt_pkrtz_f16_f32 v14, v21, v24
	v_cvt_pkrtz_f16_f32 v15, v18, v25
	s_nop 1
	v_mfma_f32_16x16x16f16 v[18:21], v[14:15], v[32:33], v[34:37]
	s_and_saveexec_b64 s[2:3], s[8:9]
	s_cbranch_execz .LBB573_453
; %bb.448:
	s_movk_i32 s7, 0x80
	v_cmp_ne_u16_sdwa s[10:11], v16, s7 src0_sel:BYTE_0 src1_sel:DWORD
	v_bfrev_b32_e32 v22, 1
	s_and_saveexec_b64 s[8:9], s[10:11]
	s_cbranch_execz .LBB573_452
; %bb.449:
	s_movk_i32 s7, 0x7f
	v_and_b32_e32 v14, 0x7f, v16
	v_cmp_ne_u32_e32 vcc, s7, v14
	v_mov_b32_e32 v22, 0x7f800001
	s_and_saveexec_b64 s[10:11], vcc
	s_cbranch_execz .LBB573_451
; %bb.450:
	v_and_b32_e32 v15, 7, v16
	v_ffbh_u32_e32 v22, v15
	v_min_u32_e32 v25, 32, v22
	v_subrev_u32_e32 v22, 28, v25
	v_lshlrev_b64 v[22:23], v22, v[16:17]
	v_lshrrev_b32_e32 v24, 3, v14
	v_sub_u32_e32 v23, 29, v25
	v_and_b32_e32 v22, 7, v22
	v_cmp_gt_u32_e32 vcc, 8, v14
	v_cndmask_b32_e32 v14, v24, v23, vcc
	v_cndmask_b32_e32 v15, v15, v22, vcc
	v_lshlrev_b32_e32 v22, 24, v16
	v_bfrev_b32_e32 v23, 60
	v_lshlrev_b32_e32 v15, 20, v15
	v_and_b32_e32 v22, 0x80000000, v22
	v_lshl_add_u32 v14, v14, 23, v23
	v_or3_b32 v22, v22, v14, v15
.LBB573_451:
	s_or_b64 exec, exec, s[10:11]
.LBB573_452:
	s_or_b64 exec, exec, s[8:9]
.LBB573_453:
	s_or_b64 exec, exec, s[2:3]
	v_lshrrev_b16_e32 v14, 8, v16
	v_cmp_ne_u16_e32 vcc, 0, v14
	v_mov_b32_e32 v15, 0
	v_mov_b32_e32 v24, 0
	s_and_saveexec_b64 s[2:3], vcc
	s_cbranch_execz .LBB573_459
; %bb.454:
	s_movk_i32 s7, 0x80
	v_cmp_ne_u16_e32 vcc, s7, v14
	v_bfrev_b32_e32 v24, 1
	s_and_saveexec_b64 s[8:9], vcc
	s_cbranch_execz .LBB573_458
; %bb.455:
	s_movk_i32 s7, 0x7f
	v_and_b32_e32 v23, 0x7f, v14
	v_cmp_ne_u32_e32 vcc, s7, v23
	v_mov_b32_e32 v24, 0x7f800001
	s_and_saveexec_b64 s[10:11], vcc
	s_cbranch_execz .LBB573_457
; %bb.456:
	v_and_b32_e32 v26, 7, v14
	v_ffbh_u32_e32 v24, v26
	v_min_u32_e32 v29, 32, v24
	v_subrev_u32_e32 v24, 28, v29
	v_lshlrev_b64 v[24:25], v24, v[14:15]
	v_lshrrev_b32_e32 v27, 3, v23
	v_sub_u32_e32 v14, 29, v29
	v_and_b32_e32 v24, 7, v24
	v_cmp_gt_u32_e32 vcc, 8, v23
	v_cndmask_b32_e32 v14, v27, v14, vcc
	v_cndmask_b32_e32 v23, v26, v24, vcc
	v_lshlrev_b32_e32 v24, 16, v16
	v_bfrev_b32_e32 v25, 60
	v_lshlrev_b32_e32 v23, 20, v23
	v_and_b32_e32 v24, 0x80000000, v24
	v_lshl_add_u32 v14, v14, 23, v25
	v_or3_b32 v24, v24, v14, v23
.LBB573_457:
	s_or_b64 exec, exec, s[10:11]
.LBB573_458:
	s_or_b64 exec, exec, s[8:9]
.LBB573_459:
	s_or_b64 exec, exec, s[2:3]
	s_movk_i32 s2, 0xff
	v_and_b32_sdwa v23, v16, s2 dst_sel:DWORD dst_unused:UNUSED_PAD src0_sel:WORD_1 src1_sel:DWORD
	v_lshrrev_b32_e32 v14, 16, v16
	v_cmp_ne_u16_e32 vcc, 0, v23
	s_and_saveexec_b64 s[2:3], vcc
	s_cbranch_execz .LBB573_465
; %bb.460:
	s_movk_i32 s7, 0x80
	v_cmp_ne_u16_e32 vcc, s7, v23
	v_bfrev_b32_e32 v15, 1
	s_and_saveexec_b64 s[8:9], vcc
	s_cbranch_execz .LBB573_464
; %bb.461:
	v_bfe_u32 v23, v16, 16, 7
	s_movk_i32 s7, 0x7f
	v_cmp_ne_u32_e32 vcc, s7, v23
	v_mov_b32_e32 v15, 0x7f800001
	s_and_saveexec_b64 s[10:11], vcc
	s_cbranch_execz .LBB573_463
; %bb.462:
	v_and_b32_e32 v25, 7, v14
	v_ffbh_u32_e32 v15, v25
	v_min_u32_e32 v27, 32, v15
	v_subrev_u32_e32 v15, 28, v27
	v_lshlrev_b64 v[14:15], v15, v[14:15]
	v_lshrrev_b32_e32 v26, 3, v23
	v_sub_u32_e32 v15, 29, v27
	v_and_b32_e32 v14, 7, v14
	v_cmp_gt_u32_e32 vcc, 8, v23
	v_mov_b32_e32 v23, 24
	v_cndmask_b32_e32 v15, v26, v15, vcc
	v_cndmask_b32_e32 v14, v25, v14, vcc
	v_lshlrev_b32_sdwa v23, v23, v16 dst_sel:DWORD dst_unused:UNUSED_PAD src0_sel:DWORD src1_sel:WORD_1
	v_bfrev_b32_e32 v25, 60
	v_lshlrev_b32_e32 v14, 20, v14
	v_and_b32_e32 v23, 0x80000000, v23
	v_lshl_add_u32 v15, v15, 23, v25
	v_or3_b32 v15, v23, v15, v14
.LBB573_463:
	s_or_b64 exec, exec, s[10:11]
.LBB573_464:
	s_or_b64 exec, exec, s[8:9]
.LBB573_465:
	s_or_b64 exec, exec, s[2:3]
	s_mov_b32 s2, 0xffffff
	v_cmp_lt_u32_e32 vcc, s2, v16
	v_mov_b32_e32 v25, 0
	v_mov_b32_e32 v26, 0
	s_and_saveexec_b64 s[2:3], vcc
	s_cbranch_execz .LBB573_471
; %bb.466:
	v_lshrrev_b32_e32 v14, 24, v16
	s_movk_i32 s7, 0x80
	v_cmp_ne_u32_e32 vcc, s7, v14
	v_bfrev_b32_e32 v26, 1
	s_and_saveexec_b64 s[8:9], vcc
	s_cbranch_execz .LBB573_470
; %bb.467:
	v_bfe_u32 v16, v16, 24, 7
	s_movk_i32 s7, 0x7f
	v_cmp_ne_u32_e32 vcc, s7, v16
	v_mov_b32_e32 v26, 0x7f800001
	s_and_saveexec_b64 s[10:11], vcc
	s_cbranch_execz .LBB573_469
; %bb.468:
	v_and_b32_e32 v23, 7, v14
	v_ffbh_u32_e32 v26, v23
	v_min_u32_e32 v30, 32, v26
	v_subrev_u32_e32 v26, 28, v30
	v_lshlrev_b64 v[26:27], v26, v[14:15]
	v_lshrrev_b32_e32 v29, 3, v16
	v_sub_u32_e32 v27, 29, v30
	v_and_b32_e32 v26, 7, v26
	v_cmp_gt_u32_e32 vcc, 8, v16
	v_cndmask_b32_e32 v16, v29, v27, vcc
	v_cndmask_b32_e32 v23, v23, v26, vcc
	v_lshlrev_b32_e32 v14, 24, v14
	v_bfrev_b32_e32 v26, 60
	v_lshlrev_b32_e32 v23, 20, v23
	v_and_b32_e32 v14, 0x80000000, v14
	v_lshl_add_u32 v16, v16, 23, v26
	v_or3_b32 v26, v14, v16, v23
.LBB573_469:
	s_or_b64 exec, exec, s[10:11]
.LBB573_470:
	s_or_b64 exec, exec, s[8:9]
.LBB573_471:
	s_or_b64 exec, exec, s[2:3]
	v_cmp_ne_u16_sdwa s[8:9], v17, v25 src0_sel:BYTE_0 src1_sel:DWORD
	s_and_saveexec_b64 s[2:3], s[8:9]
	s_cbranch_execz .LBB573_477
; %bb.472:
	s_movk_i32 s7, 0x80
	v_cmp_ne_u16_sdwa s[10:11], v17, s7 src0_sel:BYTE_0 src1_sel:DWORD
	v_bfrev_b32_e32 v25, 1
	s_and_saveexec_b64 s[8:9], s[10:11]
	s_cbranch_execz .LBB573_476
; %bb.473:
	s_movk_i32 s7, 0x7f
	v_and_b32_e32 v14, 0x7f, v17
	v_cmp_ne_u32_e32 vcc, s7, v14
	v_mov_b32_e32 v25, 0x7f800001
	s_and_saveexec_b64 s[10:11], vcc
	s_cbranch_execz .LBB573_475
; %bb.474:
	v_and_b32_e32 v23, 7, v17
	v_ffbh_u32_e32 v27, v23
	v_min_u32_e32 v27, 32, v27
	v_mov_b32_e32 v16, v17
	v_subrev_u32_e32 v29, 28, v27
	v_lshlrev_b64 v[30:31], v29, v[16:17]
	v_lshrrev_b32_e32 v25, 3, v14
	v_sub_u32_e32 v16, 29, v27
	v_and_b32_e32 v27, 7, v30
	v_cmp_gt_u32_e32 vcc, 8, v14
	v_cndmask_b32_e32 v14, v25, v16, vcc
	v_cndmask_b32_e32 v16, v23, v27, vcc
	v_lshlrev_b32_e32 v23, 24, v17
	v_bfrev_b32_e32 v25, 60
	v_lshlrev_b32_e32 v16, 20, v16
	v_and_b32_e32 v23, 0x80000000, v23
	v_lshl_add_u32 v14, v14, 23, v25
	v_or3_b32 v25, v23, v14, v16
.LBB573_475:
	s_or_b64 exec, exec, s[10:11]
.LBB573_476:
	s_or_b64 exec, exec, s[8:9]
.LBB573_477:
	s_or_b64 exec, exec, s[2:3]
	v_lshrrev_b16_e32 v14, 8, v17
	v_cmp_ne_u16_e32 vcc, 0, v14
	v_mov_b32_e32 v16, 0
	v_mov_b32_e32 v27, 0
	s_and_saveexec_b64 s[2:3], vcc
	s_cbranch_execz .LBB573_483
; %bb.478:
	s_movk_i32 s7, 0x80
	v_cmp_ne_u16_e32 vcc, s7, v14
	v_bfrev_b32_e32 v27, 1
	s_and_saveexec_b64 s[8:9], vcc
	s_cbranch_execz .LBB573_482
; %bb.479:
	s_movk_i32 s7, 0x7f
	v_and_b32_e32 v23, 0x7f, v14
	v_cmp_ne_u32_e32 vcc, s7, v23
	v_mov_b32_e32 v27, 0x7f800001
	s_and_saveexec_b64 s[10:11], vcc
	s_cbranch_execz .LBB573_481
; %bb.480:
	v_and_b32_e32 v27, 7, v14
	v_ffbh_u32_e32 v30, v27
	v_min_u32_e32 v32, 32, v30
	v_subrev_u32_e32 v30, 28, v32
	v_lshlrev_b64 v[30:31], v30, v[14:15]
	v_lshrrev_b32_e32 v29, 3, v23
	v_sub_u32_e32 v14, 29, v32
	v_and_b32_e32 v30, 7, v30
	v_cmp_gt_u32_e32 vcc, 8, v23
	v_cndmask_b32_e32 v14, v29, v14, vcc
	v_cndmask_b32_e32 v23, v27, v30, vcc
	v_lshlrev_b32_e32 v27, 16, v17
	v_bfrev_b32_e32 v29, 60
	v_lshlrev_b32_e32 v23, 20, v23
	v_and_b32_e32 v27, 0x80000000, v27
	v_lshl_add_u32 v14, v14, 23, v29
	v_or3_b32 v27, v27, v14, v23
.LBB573_481:
	s_or_b64 exec, exec, s[10:11]
.LBB573_482:
	s_or_b64 exec, exec, s[8:9]
.LBB573_483:
	s_or_b64 exec, exec, s[2:3]
	s_movk_i32 s2, 0xff
	v_and_b32_sdwa v23, v17, s2 dst_sel:DWORD dst_unused:UNUSED_PAD src0_sel:WORD_1 src1_sel:DWORD
	v_lshrrev_b32_e32 v14, 16, v17
	v_cmp_ne_u16_e32 vcc, 0, v23
	s_and_saveexec_b64 s[2:3], vcc
	s_cbranch_execz .LBB573_489
; %bb.484:
	s_movk_i32 s7, 0x80
	v_cmp_ne_u16_e32 vcc, s7, v23
	v_bfrev_b32_e32 v16, 1
	s_and_saveexec_b64 s[8:9], vcc
	s_cbranch_execz .LBB573_488
; %bb.485:
	v_bfe_u32 v23, v17, 16, 7
	s_movk_i32 s7, 0x7f
	v_cmp_ne_u32_e32 vcc, s7, v23
	v_mov_b32_e32 v16, 0x7f800001
	s_and_saveexec_b64 s[10:11], vcc
	s_cbranch_execz .LBB573_487
; %bb.486:
	v_and_b32_e32 v16, 7, v14
	v_ffbh_u32_e32 v30, v16
	v_min_u32_e32 v32, 32, v30
	v_subrev_u32_e32 v30, 28, v32
	v_lshlrev_b64 v[30:31], v30, v[14:15]
	v_lshrrev_b32_e32 v29, 3, v23
	v_sub_u32_e32 v14, 29, v32
	v_and_b32_e32 v30, 7, v30
	v_cmp_gt_u32_e32 vcc, 8, v23
	v_mov_b32_e32 v23, 24
	v_cndmask_b32_e32 v14, v29, v14, vcc
	v_cndmask_b32_e32 v16, v16, v30, vcc
	v_lshlrev_b32_sdwa v23, v23, v17 dst_sel:DWORD dst_unused:UNUSED_PAD src0_sel:DWORD src1_sel:WORD_1
	v_bfrev_b32_e32 v29, 60
	v_lshlrev_b32_e32 v16, 20, v16
	v_and_b32_e32 v23, 0x80000000, v23
	v_lshl_add_u32 v14, v14, 23, v29
	v_or3_b32 v16, v23, v14, v16
.LBB573_487:
	s_or_b64 exec, exec, s[10:11]
.LBB573_488:
	s_or_b64 exec, exec, s[8:9]
.LBB573_489:
	s_or_b64 exec, exec, s[2:3]
	s_mov_b32 s2, 0xffffff
	v_cmp_lt_u32_e32 vcc, s2, v17
	v_mov_b32_e32 v23, 0
	v_mov_b32_e32 v29, 0
	s_and_saveexec_b64 s[2:3], vcc
	s_cbranch_execz .LBB573_495
; %bb.490:
	v_lshrrev_b32_e32 v14, 24, v17
	s_movk_i32 s7, 0x80
	v_cmp_ne_u32_e32 vcc, s7, v14
	v_bfrev_b32_e32 v29, 1
	s_and_saveexec_b64 s[8:9], vcc
	s_cbranch_execz .LBB573_494
; %bb.491:
	v_bfe_u32 v17, v17, 24, 7
	s_movk_i32 s7, 0x7f
	v_cmp_ne_u32_e32 vcc, s7, v17
	v_mov_b32_e32 v29, 0x7f800001
	s_and_saveexec_b64 s[10:11], vcc
	s_cbranch_execz .LBB573_493
; %bb.492:
	v_and_b32_e32 v29, 7, v14
	v_ffbh_u32_e32 v30, v29
	v_min_u32_e32 v33, 32, v30
	v_subrev_u32_e32 v30, 28, v33
	v_lshlrev_b64 v[30:31], v30, v[14:15]
	v_lshrrev_b32_e32 v32, 3, v17
	v_sub_u32_e32 v31, 29, v33
	v_and_b32_e32 v30, 7, v30
	v_cmp_gt_u32_e32 vcc, 8, v17
	v_cndmask_b32_e32 v17, v32, v31, vcc
	v_cndmask_b32_e32 v29, v29, v30, vcc
	v_lshlrev_b32_e32 v14, 24, v14
	v_bfrev_b32_e32 v30, 60
	v_lshlrev_b32_e32 v29, 20, v29
	v_and_b32_e32 v14, 0x80000000, v14
	v_lshl_add_u32 v17, v17, 23, v30
	v_or3_b32 v29, v14, v17, v29
.LBB573_493:
	s_or_b64 exec, exec, s[10:11]
.LBB573_494:
	s_or_b64 exec, exec, s[8:9]
.LBB573_495:
	s_or_b64 exec, exec, s[2:3]
	v_cvt_pkrtz_f16_f32 v14, v22, v24
	v_cvt_pkrtz_f16_f32 v15, v15, v26
	ds_read_b128 v[30:33], v48 offset:16
	s_waitcnt vmcnt(2)
	v_cmp_ne_u16_sdwa s[8:9], v10, v23 src0_sel:BYTE_0 src1_sel:DWORD
	s_waitcnt lgkmcnt(0)
	v_mfma_f32_16x16x16f16 v[18:21], v[14:15], v[30:31], v[18:21]
	v_cvt_pkrtz_f16_f32 v14, v25, v27
	v_cvt_pkrtz_f16_f32 v15, v16, v29
	s_nop 1
	v_mfma_f32_16x16x16f16 v[14:17], v[14:15], v[32:33], v[18:21]
	s_and_saveexec_b64 s[2:3], s[8:9]
	s_cbranch_execz .LBB573_501
; %bb.496:
	s_movk_i32 s7, 0x80
	v_cmp_ne_u16_sdwa s[10:11], v10, s7 src0_sel:BYTE_0 src1_sel:DWORD
	v_bfrev_b32_e32 v23, 1
	s_and_saveexec_b64 s[8:9], s[10:11]
	s_cbranch_execz .LBB573_500
; %bb.497:
	s_movk_i32 s7, 0x7f
	v_and_b32_e32 v18, 0x7f, v10
	v_cmp_ne_u32_e32 vcc, s7, v18
	v_mov_b32_e32 v23, 0x7f800001
	s_and_saveexec_b64 s[10:11], vcc
	s_cbranch_execz .LBB573_499
; %bb.498:
	v_and_b32_e32 v19, 7, v10
	v_ffbh_u32_e32 v20, v19
	v_min_u32_e32 v23, 32, v20
	v_subrev_u32_e32 v20, 28, v23
	v_lshlrev_b64 v[20:21], v20, v[10:11]
	v_lshrrev_b32_e32 v22, 3, v18
	v_sub_u32_e32 v21, 29, v23
	v_and_b32_e32 v20, 7, v20
	v_cmp_gt_u32_e32 vcc, 8, v18
	v_cndmask_b32_e32 v18, v22, v21, vcc
	v_cndmask_b32_e32 v19, v19, v20, vcc
	v_lshlrev_b32_e32 v20, 24, v10
	v_bfrev_b32_e32 v21, 60
	v_lshlrev_b32_e32 v19, 20, v19
	v_and_b32_e32 v20, 0x80000000, v20
	v_lshl_add_u32 v18, v18, 23, v21
	v_or3_b32 v23, v20, v18, v19
.LBB573_499:
	s_or_b64 exec, exec, s[10:11]
.LBB573_500:
	s_or_b64 exec, exec, s[8:9]
.LBB573_501:
	s_or_b64 exec, exec, s[2:3]
	s_nop 3
	v_lshrrev_b16_e32 v18, 8, v10
	v_cmp_ne_u16_e32 vcc, 0, v18
	v_mov_b32_e32 v19, 0
	v_mov_b32_e32 v20, 0
	s_and_saveexec_b64 s[2:3], vcc
	s_cbranch_execz .LBB573_507
; %bb.502:
	s_movk_i32 s7, 0x80
	v_cmp_ne_u16_e32 vcc, s7, v18
	v_bfrev_b32_e32 v20, 1
	s_and_saveexec_b64 s[8:9], vcc
	s_cbranch_execz .LBB573_506
; %bb.503:
	s_movk_i32 s7, 0x7f
	v_and_b32_e32 v21, 0x7f, v18
	v_cmp_ne_u32_e32 vcc, s7, v21
	v_mov_b32_e32 v20, 0x7f800001
	s_and_saveexec_b64 s[10:11], vcc
	s_cbranch_execz .LBB573_505
; %bb.504:
	v_and_b32_e32 v20, 7, v18
	v_ffbh_u32_e32 v24, v20
	v_min_u32_e32 v26, 32, v24
	v_subrev_u32_e32 v24, 28, v26
	v_lshlrev_b64 v[24:25], v24, v[18:19]
	v_lshrrev_b32_e32 v22, 3, v21
	v_sub_u32_e32 v18, 29, v26
	v_and_b32_e32 v24, 7, v24
	v_cmp_gt_u32_e32 vcc, 8, v21
	v_cndmask_b32_e32 v18, v22, v18, vcc
	v_cndmask_b32_e32 v20, v20, v24, vcc
	v_lshlrev_b32_e32 v21, 16, v10
	v_bfrev_b32_e32 v22, 60
	v_lshlrev_b32_e32 v20, 20, v20
	v_and_b32_e32 v21, 0x80000000, v21
	v_lshl_add_u32 v18, v18, 23, v22
	v_or3_b32 v20, v21, v18, v20
.LBB573_505:
	s_or_b64 exec, exec, s[10:11]
.LBB573_506:
	s_or_b64 exec, exec, s[8:9]
.LBB573_507:
	s_or_b64 exec, exec, s[2:3]
	s_movk_i32 s2, 0xff
	v_and_b32_sdwa v21, v10, s2 dst_sel:DWORD dst_unused:UNUSED_PAD src0_sel:WORD_1 src1_sel:DWORD
	v_lshrrev_b32_e32 v18, 16, v10
	v_cmp_ne_u16_e32 vcc, 0, v21
	s_and_saveexec_b64 s[2:3], vcc
	s_cbranch_execz .LBB573_513
; %bb.508:
	s_movk_i32 s7, 0x80
	v_cmp_ne_u16_e32 vcc, s7, v21
	v_bfrev_b32_e32 v19, 1
	s_and_saveexec_b64 s[8:9], vcc
	s_cbranch_execz .LBB573_512
; %bb.509:
	v_bfe_u32 v21, v10, 16, 7
	s_movk_i32 s7, 0x7f
	v_cmp_ne_u32_e32 vcc, s7, v21
	v_mov_b32_e32 v19, 0x7f800001
	s_and_saveexec_b64 s[10:11], vcc
	s_cbranch_execz .LBB573_511
; %bb.510:
	v_and_b32_e32 v22, 7, v18
	v_ffbh_u32_e32 v19, v22
	v_min_u32_e32 v25, 32, v19
	v_subrev_u32_e32 v19, 28, v25
	v_lshlrev_b64 v[18:19], v19, v[18:19]
	v_lshrrev_b32_e32 v24, 3, v21
	v_sub_u32_e32 v19, 29, v25
	v_and_b32_e32 v18, 7, v18
	v_cmp_gt_u32_e32 vcc, 8, v21
	v_mov_b32_e32 v21, 24
	v_cndmask_b32_e32 v19, v24, v19, vcc
	v_cndmask_b32_e32 v18, v22, v18, vcc
	v_lshlrev_b32_sdwa v21, v21, v10 dst_sel:DWORD dst_unused:UNUSED_PAD src0_sel:DWORD src1_sel:WORD_1
	v_bfrev_b32_e32 v22, 60
	v_lshlrev_b32_e32 v18, 20, v18
	v_and_b32_e32 v21, 0x80000000, v21
	v_lshl_add_u32 v19, v19, 23, v22
	v_or3_b32 v19, v21, v19, v18
.LBB573_511:
	s_or_b64 exec, exec, s[10:11]
.LBB573_512:
	s_or_b64 exec, exec, s[8:9]
.LBB573_513:
	s_or_b64 exec, exec, s[2:3]
	s_mov_b32 s2, 0xffffff
	v_cmp_lt_u32_e32 vcc, s2, v10
	v_mov_b32_e32 v21, 0
	v_mov_b32_e32 v22, 0
	s_and_saveexec_b64 s[2:3], vcc
	s_cbranch_execz .LBB573_519
; %bb.514:
	v_lshrrev_b32_e32 v18, 24, v10
	s_movk_i32 s7, 0x80
	v_cmp_ne_u32_e32 vcc, s7, v18
	v_bfrev_b32_e32 v22, 1
	s_and_saveexec_b64 s[8:9], vcc
	s_cbranch_execz .LBB573_518
; %bb.515:
	v_bfe_u32 v10, v10, 24, 7
	s_movk_i32 s7, 0x7f
	v_cmp_ne_u32_e32 vcc, s7, v10
	v_mov_b32_e32 v22, 0x7f800001
	s_and_saveexec_b64 s[10:11], vcc
	s_cbranch_execz .LBB573_517
; %bb.516:
	v_and_b32_e32 v22, 7, v18
	v_ffbh_u32_e32 v24, v22
	v_min_u32_e32 v27, 32, v24
	v_subrev_u32_e32 v24, 28, v27
	v_lshlrev_b64 v[24:25], v24, v[18:19]
	v_lshrrev_b32_e32 v26, 3, v10
	v_sub_u32_e32 v25, 29, v27
	v_and_b32_e32 v24, 7, v24
	v_cmp_gt_u32_e32 vcc, 8, v10
	v_cndmask_b32_e32 v10, v26, v25, vcc
	v_cndmask_b32_e32 v22, v22, v24, vcc
	v_lshlrev_b32_e32 v18, 24, v18
	v_bfrev_b32_e32 v24, 60
	v_lshlrev_b32_e32 v22, 20, v22
	v_and_b32_e32 v18, 0x80000000, v18
	v_lshl_add_u32 v10, v10, 23, v24
	v_or3_b32 v22, v18, v10, v22
.LBB573_517:
	s_or_b64 exec, exec, s[10:11]
.LBB573_518:
	s_or_b64 exec, exec, s[8:9]
.LBB573_519:
	s_or_b64 exec, exec, s[2:3]
	v_cmp_ne_u16_sdwa s[8:9], v11, v21 src0_sel:BYTE_0 src1_sel:DWORD
	s_and_saveexec_b64 s[2:3], s[8:9]
	s_cbranch_execz .LBB573_525
; %bb.520:
	s_movk_i32 s7, 0x80
	v_cmp_ne_u16_sdwa s[10:11], v11, s7 src0_sel:BYTE_0 src1_sel:DWORD
	v_bfrev_b32_e32 v21, 1
	s_and_saveexec_b64 s[8:9], s[10:11]
	s_cbranch_execz .LBB573_524
; %bb.521:
	s_movk_i32 s7, 0x7f
	v_and_b32_e32 v10, 0x7f, v11
	v_cmp_ne_u32_e32 vcc, s7, v10
	v_mov_b32_e32 v21, 0x7f800001
	s_and_saveexec_b64 s[10:11], vcc
	s_cbranch_execz .LBB573_523
; %bb.522:
	v_and_b32_e32 v21, 7, v11
	v_ffbh_u32_e32 v24, v21
	v_min_u32_e32 v27, 32, v24
	v_mov_b32_e32 v18, v11
	v_subrev_u32_e32 v24, 28, v27
	v_lshlrev_b64 v[24:25], v24, v[18:19]
	v_lshrrev_b32_e32 v26, 3, v10
	v_sub_u32_e32 v18, 29, v27
	v_and_b32_e32 v24, 7, v24
	v_cmp_gt_u32_e32 vcc, 8, v10
	v_cndmask_b32_e32 v10, v26, v18, vcc
	v_cndmask_b32_e32 v18, v21, v24, vcc
	v_lshlrev_b32_e32 v21, 24, v11
	v_bfrev_b32_e32 v24, 60
	v_lshlrev_b32_e32 v18, 20, v18
	v_and_b32_e32 v21, 0x80000000, v21
	v_lshl_add_u32 v10, v10, 23, v24
	v_or3_b32 v21, v21, v10, v18
.LBB573_523:
	s_or_b64 exec, exec, s[10:11]
.LBB573_524:
	s_or_b64 exec, exec, s[8:9]
.LBB573_525:
	s_or_b64 exec, exec, s[2:3]
	v_lshrrev_b16_e32 v10, 8, v11
	v_cmp_ne_u16_e32 vcc, 0, v10
	v_mov_b32_e32 v24, 0
	v_mov_b32_e32 v25, 0
	s_and_saveexec_b64 s[2:3], vcc
	s_cbranch_execz .LBB573_531
; %bb.526:
	s_movk_i32 s7, 0x80
	v_cmp_ne_u16_e32 vcc, s7, v10
	v_bfrev_b32_e32 v25, 1
	s_and_saveexec_b64 s[8:9], vcc
	s_cbranch_execz .LBB573_530
; %bb.527:
	s_movk_i32 s7, 0x7f
	v_and_b32_e32 v18, 0x7f, v10
	v_cmp_ne_u32_e32 vcc, s7, v18
	v_mov_b32_e32 v25, 0x7f800001
	s_and_saveexec_b64 s[10:11], vcc
	s_cbranch_execz .LBB573_529
; %bb.528:
	v_and_b32_e32 v25, 7, v10
	v_ffbh_u32_e32 v26, v25
	v_min_u32_e32 v30, 32, v26
	v_subrev_u32_e32 v26, 28, v30
	v_lshlrev_b64 v[26:27], v26, v[10:11]
	v_lshrrev_b32_e32 v29, 3, v18
	v_sub_u32_e32 v10, 29, v30
	v_and_b32_e32 v26, 7, v26
	v_cmp_gt_u32_e32 vcc, 8, v18
	v_cndmask_b32_e32 v10, v29, v10, vcc
	v_cndmask_b32_e32 v18, v25, v26, vcc
	v_lshlrev_b32_e32 v25, 16, v11
	v_bfrev_b32_e32 v26, 60
	v_lshlrev_b32_e32 v18, 20, v18
	v_and_b32_e32 v25, 0x80000000, v25
	v_lshl_add_u32 v10, v10, 23, v26
	v_or3_b32 v25, v25, v10, v18
.LBB573_529:
	s_or_b64 exec, exec, s[10:11]
.LBB573_530:
	s_or_b64 exec, exec, s[8:9]
.LBB573_531:
	s_or_b64 exec, exec, s[2:3]
	s_movk_i32 s2, 0xff
	v_and_b32_sdwa v18, v11, s2 dst_sel:DWORD dst_unused:UNUSED_PAD src0_sel:WORD_1 src1_sel:DWORD
	v_lshrrev_b32_e32 v10, 16, v11
	v_cmp_ne_u16_e32 vcc, 0, v18
	s_and_saveexec_b64 s[2:3], vcc
	s_cbranch_execz .LBB573_537
; %bb.532:
	s_movk_i32 s7, 0x80
	v_cmp_ne_u16_e32 vcc, s7, v18
	v_bfrev_b32_e32 v24, 1
	s_and_saveexec_b64 s[8:9], vcc
	s_cbranch_execz .LBB573_536
; %bb.533:
	v_bfe_u32 v18, v11, 16, 7
	s_movk_i32 s7, 0x7f
	v_cmp_ne_u32_e32 vcc, s7, v18
	v_mov_b32_e32 v24, 0x7f800001
	s_and_saveexec_b64 s[10:11], vcc
	s_cbranch_execz .LBB573_535
; %bb.534:
	v_and_b32_e32 v24, 7, v10
	v_ffbh_u32_e32 v26, v24
	v_min_u32_e32 v30, 32, v26
	v_subrev_u32_e32 v26, 28, v30
	v_lshlrev_b64 v[26:27], v26, v[10:11]
	v_and_b32_e32 v26, 7, v26
	v_cmp_gt_u32_e32 vcc, 8, v18
	v_lshrrev_b32_e32 v29, 3, v18
	v_sub_u32_e32 v10, 29, v30
	v_cndmask_b32_e32 v18, v24, v26, vcc
	v_mov_b32_e32 v24, 24
	v_cndmask_b32_e32 v10, v29, v10, vcc
	v_lshlrev_b32_sdwa v24, v24, v11 dst_sel:DWORD dst_unused:UNUSED_PAD src0_sel:DWORD src1_sel:WORD_1
	v_bfrev_b32_e32 v26, 60
	v_lshlrev_b32_e32 v18, 20, v18
	v_and_b32_e32 v24, 0x80000000, v24
	v_lshl_add_u32 v10, v10, 23, v26
	v_or3_b32 v24, v24, v10, v18
.LBB573_535:
	s_or_b64 exec, exec, s[10:11]
.LBB573_536:
	s_or_b64 exec, exec, s[8:9]
.LBB573_537:
	s_or_b64 exec, exec, s[2:3]
	s_mov_b32 s2, 0xffffff
	v_cmp_lt_u32_e32 vcc, s2, v11
	v_mov_b32_e32 v18, 0
	v_mov_b32_e32 v26, 0
	s_and_saveexec_b64 s[2:3], vcc
	s_cbranch_execz .LBB573_543
; %bb.538:
	v_lshrrev_b32_e32 v10, 24, v11
	s_movk_i32 s7, 0x80
	v_cmp_ne_u32_e32 vcc, s7, v10
	v_bfrev_b32_e32 v26, 1
	s_and_saveexec_b64 s[8:9], vcc
	s_cbranch_execz .LBB573_542
; %bb.539:
	v_bfe_u32 v11, v11, 24, 7
	s_movk_i32 s7, 0x7f
	v_cmp_ne_u32_e32 vcc, s7, v11
	v_mov_b32_e32 v26, 0x7f800001
	s_and_saveexec_b64 s[10:11], vcc
	s_cbranch_execz .LBB573_541
; %bb.540:
	v_and_b32_e32 v29, 7, v10
	v_ffbh_u32_e32 v26, v29
	v_min_u32_e32 v31, 32, v26
	v_subrev_u32_e32 v26, 28, v31
	v_lshlrev_b64 v[26:27], v26, v[10:11]
	v_lshrrev_b32_e32 v30, 3, v11
	v_sub_u32_e32 v27, 29, v31
	v_and_b32_e32 v26, 7, v26
	v_cmp_gt_u32_e32 vcc, 8, v11
	v_cndmask_b32_e32 v11, v30, v27, vcc
	v_cndmask_b32_e32 v26, v29, v26, vcc
	v_lshlrev_b32_e32 v10, 24, v10
	v_bfrev_b32_e32 v27, 60
	v_lshlrev_b32_e32 v26, 20, v26
	v_and_b32_e32 v10, 0x80000000, v10
	v_lshl_add_u32 v11, v11, 23, v27
	v_or3_b32 v26, v10, v11, v26
.LBB573_541:
	s_or_b64 exec, exec, s[10:11]
.LBB573_542:
	s_or_b64 exec, exec, s[8:9]
.LBB573_543:
	s_or_b64 exec, exec, s[2:3]
	v_cvt_pkrtz_f16_f32 v10, v23, v20
	v_cvt_pkrtz_f16_f32 v11, v19, v22
	ds_read_b128 v[30:33], v48 offset:2048
	v_cmp_ne_u16_sdwa s[8:9], v12, v18 src0_sel:BYTE_0 src1_sel:DWORD
	s_waitcnt lgkmcnt(0)
	v_mfma_f32_16x16x16f16 v[14:17], v[10:11], v[30:31], v[14:17]
	v_cvt_pkrtz_f16_f32 v10, v21, v25
	v_cvt_pkrtz_f16_f32 v11, v24, v26
	s_nop 1
	v_mfma_f32_16x16x16f16 v[14:17], v[10:11], v[32:33], v[14:17]
	s_and_saveexec_b64 s[2:3], s[8:9]
	s_cbranch_execz .LBB573_549
; %bb.544:
	s_movk_i32 s7, 0x80
	v_cmp_ne_u16_sdwa s[10:11], v12, s7 src0_sel:BYTE_0 src1_sel:DWORD
	v_bfrev_b32_e32 v18, 1
	s_and_saveexec_b64 s[8:9], s[10:11]
	s_cbranch_execz .LBB573_548
; %bb.545:
	s_movk_i32 s7, 0x7f
	v_and_b32_e32 v10, 0x7f, v12
	v_cmp_ne_u32_e32 vcc, s7, v10
	v_mov_b32_e32 v18, 0x7f800001
	s_and_saveexec_b64 s[10:11], vcc
	s_cbranch_execz .LBB573_547
; %bb.546:
	v_and_b32_e32 v11, 7, v12
	v_ffbh_u32_e32 v18, v11
	v_min_u32_e32 v21, 32, v18
	v_subrev_u32_e32 v18, 28, v21
	v_lshlrev_b64 v[18:19], v18, v[12:13]
	v_lshrrev_b32_e32 v20, 3, v10
	v_sub_u32_e32 v19, 29, v21
	v_and_b32_e32 v18, 7, v18
	v_cmp_gt_u32_e32 vcc, 8, v10
	v_cndmask_b32_e32 v10, v20, v19, vcc
	v_cndmask_b32_e32 v11, v11, v18, vcc
	v_lshlrev_b32_e32 v18, 24, v12
	v_bfrev_b32_e32 v19, 60
	v_lshlrev_b32_e32 v11, 20, v11
	v_and_b32_e32 v18, 0x80000000, v18
	v_lshl_add_u32 v10, v10, 23, v19
	v_or3_b32 v18, v18, v10, v11
.LBB573_547:
	s_or_b64 exec, exec, s[10:11]
.LBB573_548:
	s_or_b64 exec, exec, s[8:9]
.LBB573_549:
	s_or_b64 exec, exec, s[2:3]
	v_lshrrev_b16_e32 v10, 8, v12
	v_cmp_ne_u16_e32 vcc, 0, v10
	v_mov_b32_e32 v11, 0
	v_mov_b32_e32 v20, 0
	s_and_saveexec_b64 s[2:3], vcc
	s_cbranch_execz .LBB573_555
; %bb.550:
	s_movk_i32 s7, 0x80
	v_cmp_ne_u16_e32 vcc, s7, v10
	v_bfrev_b32_e32 v20, 1
	s_and_saveexec_b64 s[8:9], vcc
	s_cbranch_execz .LBB573_554
; %bb.551:
	s_movk_i32 s7, 0x7f
	v_and_b32_e32 v19, 0x7f, v10
	v_cmp_ne_u32_e32 vcc, s7, v19
	v_mov_b32_e32 v20, 0x7f800001
	s_and_saveexec_b64 s[10:11], vcc
	s_cbranch_execz .LBB573_553
; %bb.552:
	v_and_b32_e32 v22, 7, v10
	v_ffbh_u32_e32 v20, v22
	v_min_u32_e32 v24, 32, v20
	v_subrev_u32_e32 v20, 28, v24
	v_lshlrev_b64 v[20:21], v20, v[10:11]
	v_lshrrev_b32_e32 v23, 3, v19
	v_sub_u32_e32 v10, 29, v24
	v_and_b32_e32 v20, 7, v20
	v_cmp_gt_u32_e32 vcc, 8, v19
	v_cndmask_b32_e32 v10, v23, v10, vcc
	v_cndmask_b32_e32 v19, v22, v20, vcc
	v_lshlrev_b32_e32 v20, 16, v12
	v_bfrev_b32_e32 v21, 60
	v_lshlrev_b32_e32 v19, 20, v19
	v_and_b32_e32 v20, 0x80000000, v20
	v_lshl_add_u32 v10, v10, 23, v21
	v_or3_b32 v20, v20, v10, v19
.LBB573_553:
	s_or_b64 exec, exec, s[10:11]
.LBB573_554:
	s_or_b64 exec, exec, s[8:9]
.LBB573_555:
	s_or_b64 exec, exec, s[2:3]
	s_movk_i32 s2, 0xff
	v_and_b32_sdwa v19, v12, s2 dst_sel:DWORD dst_unused:UNUSED_PAD src0_sel:WORD_1 src1_sel:DWORD
	v_lshrrev_b32_e32 v10, 16, v12
	v_cmp_ne_u16_e32 vcc, 0, v19
	s_and_saveexec_b64 s[2:3], vcc
	s_cbranch_execz .LBB573_561
; %bb.556:
	s_movk_i32 s7, 0x80
	v_cmp_ne_u16_e32 vcc, s7, v19
	v_bfrev_b32_e32 v11, 1
	s_and_saveexec_b64 s[8:9], vcc
	s_cbranch_execz .LBB573_560
; %bb.557:
	v_bfe_u32 v19, v12, 16, 7
	s_movk_i32 s7, 0x7f
	v_cmp_ne_u32_e32 vcc, s7, v19
	v_mov_b32_e32 v11, 0x7f800001
	s_and_saveexec_b64 s[10:11], vcc
	s_cbranch_execz .LBB573_559
; %bb.558:
	v_and_b32_e32 v21, 7, v10
	v_ffbh_u32_e32 v11, v21
	v_min_u32_e32 v23, 32, v11
	v_subrev_u32_e32 v11, 28, v23
	v_lshlrev_b64 v[10:11], v11, v[10:11]
	v_lshrrev_b32_e32 v22, 3, v19
	v_sub_u32_e32 v11, 29, v23
	v_and_b32_e32 v10, 7, v10
	v_cmp_gt_u32_e32 vcc, 8, v19
	v_mov_b32_e32 v19, 24
	v_cndmask_b32_e32 v11, v22, v11, vcc
	v_cndmask_b32_e32 v10, v21, v10, vcc
	v_lshlrev_b32_sdwa v19, v19, v12 dst_sel:DWORD dst_unused:UNUSED_PAD src0_sel:DWORD src1_sel:WORD_1
	v_bfrev_b32_e32 v21, 60
	v_lshlrev_b32_e32 v10, 20, v10
	v_and_b32_e32 v19, 0x80000000, v19
	v_lshl_add_u32 v11, v11, 23, v21
	v_or3_b32 v11, v19, v11, v10
.LBB573_559:
	s_or_b64 exec, exec, s[10:11]
.LBB573_560:
	s_or_b64 exec, exec, s[8:9]
.LBB573_561:
	s_or_b64 exec, exec, s[2:3]
	s_mov_b32 s2, 0xffffff
	v_cmp_lt_u32_e32 vcc, s2, v12
	v_mov_b32_e32 v21, 0
	v_mov_b32_e32 v22, 0
	s_and_saveexec_b64 s[2:3], vcc
	s_cbranch_execz .LBB573_567
; %bb.562:
	v_lshrrev_b32_e32 v10, 24, v12
	s_movk_i32 s7, 0x80
	v_cmp_ne_u32_e32 vcc, s7, v10
	v_bfrev_b32_e32 v22, 1
	s_and_saveexec_b64 s[8:9], vcc
	s_cbranch_execz .LBB573_566
; %bb.563:
	v_bfe_u32 v12, v12, 24, 7
	s_movk_i32 s7, 0x7f
	v_cmp_ne_u32_e32 vcc, s7, v12
	v_mov_b32_e32 v22, 0x7f800001
	s_and_saveexec_b64 s[10:11], vcc
	s_cbranch_execz .LBB573_565
; %bb.564:
	v_and_b32_e32 v19, 7, v10
	v_ffbh_u32_e32 v22, v19
	v_min_u32_e32 v25, 32, v22
	v_subrev_u32_e32 v22, 28, v25
	v_lshlrev_b64 v[22:23], v22, v[10:11]
	v_lshrrev_b32_e32 v24, 3, v12
	v_sub_u32_e32 v23, 29, v25
	v_and_b32_e32 v22, 7, v22
	v_cmp_gt_u32_e32 vcc, 8, v12
	v_cndmask_b32_e32 v12, v24, v23, vcc
	v_cndmask_b32_e32 v19, v19, v22, vcc
	v_lshlrev_b32_e32 v10, 24, v10
	v_bfrev_b32_e32 v22, 60
	v_lshlrev_b32_e32 v19, 20, v19
	v_and_b32_e32 v10, 0x80000000, v10
	v_lshl_add_u32 v12, v12, 23, v22
	v_or3_b32 v22, v10, v12, v19
.LBB573_565:
	s_or_b64 exec, exec, s[10:11]
.LBB573_566:
	s_or_b64 exec, exec, s[8:9]
.LBB573_567:
	s_or_b64 exec, exec, s[2:3]
	v_cmp_ne_u16_sdwa s[8:9], v13, v21 src0_sel:BYTE_0 src1_sel:DWORD
	s_and_saveexec_b64 s[2:3], s[8:9]
	s_cbranch_execz .LBB573_573
; %bb.568:
	s_movk_i32 s7, 0x80
	v_cmp_ne_u16_sdwa s[10:11], v13, s7 src0_sel:BYTE_0 src1_sel:DWORD
	v_bfrev_b32_e32 v21, 1
	s_and_saveexec_b64 s[8:9], s[10:11]
	s_cbranch_execz .LBB573_572
; %bb.569:
	s_movk_i32 s7, 0x7f
	v_and_b32_e32 v10, 0x7f, v13
	v_cmp_ne_u32_e32 vcc, s7, v10
	v_mov_b32_e32 v21, 0x7f800001
	s_and_saveexec_b64 s[10:11], vcc
	s_cbranch_execz .LBB573_571
; %bb.570:
	v_and_b32_e32 v19, 7, v13
	v_ffbh_u32_e32 v23, v19
	v_min_u32_e32 v23, 32, v23
	v_mov_b32_e32 v12, v13
	v_subrev_u32_e32 v24, 28, v23
	v_lshlrev_b64 v[24:25], v24, v[12:13]
	v_lshrrev_b32_e32 v21, 3, v10
	v_sub_u32_e32 v12, 29, v23
	v_and_b32_e32 v23, 7, v24
	v_cmp_gt_u32_e32 vcc, 8, v10
	v_cndmask_b32_e32 v10, v21, v12, vcc
	v_cndmask_b32_e32 v12, v19, v23, vcc
	v_lshlrev_b32_e32 v19, 24, v13
	v_bfrev_b32_e32 v21, 60
	v_lshlrev_b32_e32 v12, 20, v12
	v_and_b32_e32 v19, 0x80000000, v19
	v_lshl_add_u32 v10, v10, 23, v21
	v_or3_b32 v21, v19, v10, v12
.LBB573_571:
	s_or_b64 exec, exec, s[10:11]
.LBB573_572:
	s_or_b64 exec, exec, s[8:9]
.LBB573_573:
	s_or_b64 exec, exec, s[2:3]
	v_lshrrev_b16_e32 v10, 8, v13
	v_cmp_ne_u16_e32 vcc, 0, v10
	v_mov_b32_e32 v12, 0
	v_mov_b32_e32 v23, 0
	s_and_saveexec_b64 s[2:3], vcc
	s_cbranch_execz .LBB573_579
; %bb.574:
	s_movk_i32 s7, 0x80
	v_cmp_ne_u16_e32 vcc, s7, v10
	v_bfrev_b32_e32 v23, 1
	s_and_saveexec_b64 s[8:9], vcc
	s_cbranch_execz .LBB573_578
; %bb.575:
	s_movk_i32 s7, 0x7f
	v_and_b32_e32 v19, 0x7f, v10
	v_cmp_ne_u32_e32 vcc, s7, v19
	v_mov_b32_e32 v23, 0x7f800001
	s_and_saveexec_b64 s[10:11], vcc
	s_cbranch_execz .LBB573_577
; %bb.576:
	v_and_b32_e32 v23, 7, v10
	v_ffbh_u32_e32 v24, v23
	v_min_u32_e32 v27, 32, v24
	v_subrev_u32_e32 v24, 28, v27
	v_lshlrev_b64 v[24:25], v24, v[10:11]
	v_lshrrev_b32_e32 v26, 3, v19
	v_sub_u32_e32 v10, 29, v27
	v_and_b32_e32 v24, 7, v24
	v_cmp_gt_u32_e32 vcc, 8, v19
	v_cndmask_b32_e32 v10, v26, v10, vcc
	v_cndmask_b32_e32 v19, v23, v24, vcc
	v_lshlrev_b32_e32 v23, 16, v13
	v_bfrev_b32_e32 v24, 60
	v_lshlrev_b32_e32 v19, 20, v19
	v_and_b32_e32 v23, 0x80000000, v23
	v_lshl_add_u32 v10, v10, 23, v24
	v_or3_b32 v23, v23, v10, v19
.LBB573_577:
	s_or_b64 exec, exec, s[10:11]
.LBB573_578:
	s_or_b64 exec, exec, s[8:9]
.LBB573_579:
	s_or_b64 exec, exec, s[2:3]
	s_movk_i32 s2, 0xff
	v_and_b32_sdwa v19, v13, s2 dst_sel:DWORD dst_unused:UNUSED_PAD src0_sel:WORD_1 src1_sel:DWORD
	v_lshrrev_b32_e32 v10, 16, v13
	v_cmp_ne_u16_e32 vcc, 0, v19
	s_and_saveexec_b64 s[2:3], vcc
	s_cbranch_execz .LBB573_585
; %bb.580:
	s_movk_i32 s7, 0x80
	v_cmp_ne_u16_e32 vcc, s7, v19
	v_bfrev_b32_e32 v12, 1
	s_and_saveexec_b64 s[8:9], vcc
	s_cbranch_execz .LBB573_584
; %bb.581:
	v_bfe_u32 v19, v13, 16, 7
	s_movk_i32 s7, 0x7f
	v_cmp_ne_u32_e32 vcc, s7, v19
	v_mov_b32_e32 v12, 0x7f800001
	s_and_saveexec_b64 s[10:11], vcc
	s_cbranch_execz .LBB573_583
; %bb.582:
	v_and_b32_e32 v12, 7, v10
	v_ffbh_u32_e32 v24, v12
	v_min_u32_e32 v27, 32, v24
	v_subrev_u32_e32 v24, 28, v27
	v_lshlrev_b64 v[24:25], v24, v[10:11]
	v_lshrrev_b32_e32 v26, 3, v19
	v_sub_u32_e32 v10, 29, v27
	v_and_b32_e32 v24, 7, v24
	v_cmp_gt_u32_e32 vcc, 8, v19
	v_mov_b32_e32 v19, 24
	v_cndmask_b32_e32 v10, v26, v10, vcc
	v_cndmask_b32_e32 v12, v12, v24, vcc
	v_lshlrev_b32_sdwa v19, v19, v13 dst_sel:DWORD dst_unused:UNUSED_PAD src0_sel:DWORD src1_sel:WORD_1
	v_bfrev_b32_e32 v24, 60
	v_lshlrev_b32_e32 v12, 20, v12
	v_and_b32_e32 v19, 0x80000000, v19
	v_lshl_add_u32 v10, v10, 23, v24
	v_or3_b32 v12, v19, v10, v12
.LBB573_583:
	s_or_b64 exec, exec, s[10:11]
.LBB573_584:
	s_or_b64 exec, exec, s[8:9]
.LBB573_585:
	s_or_b64 exec, exec, s[2:3]
	s_mov_b32 s2, 0xffffff
	v_cmp_lt_u32_e32 vcc, s2, v13
	v_mov_b32_e32 v19, 0
	v_mov_b32_e32 v24, 0
	s_and_saveexec_b64 s[2:3], vcc
	s_cbranch_execz .LBB573_591
; %bb.586:
	v_lshrrev_b32_e32 v10, 24, v13
	s_movk_i32 s7, 0x80
	v_cmp_ne_u32_e32 vcc, s7, v10
	v_bfrev_b32_e32 v24, 1
	s_and_saveexec_b64 s[8:9], vcc
	s_cbranch_execz .LBB573_590
; %bb.587:
	v_bfe_u32 v13, v13, 24, 7
	s_movk_i32 s7, 0x7f
	v_cmp_ne_u32_e32 vcc, s7, v13
	v_mov_b32_e32 v24, 0x7f800001
	s_and_saveexec_b64 s[10:11], vcc
	s_cbranch_execz .LBB573_589
; %bb.588:
	v_and_b32_e32 v26, 7, v10
	v_ffbh_u32_e32 v24, v26
	v_min_u32_e32 v29, 32, v24
	v_subrev_u32_e32 v24, 28, v29
	v_lshlrev_b64 v[24:25], v24, v[10:11]
	v_lshrrev_b32_e32 v27, 3, v13
	v_sub_u32_e32 v25, 29, v29
	v_and_b32_e32 v24, 7, v24
	v_cmp_gt_u32_e32 vcc, 8, v13
	v_cndmask_b32_e32 v13, v27, v25, vcc
	v_cndmask_b32_e32 v24, v26, v24, vcc
	v_lshlrev_b32_e32 v10, 24, v10
	v_bfrev_b32_e32 v25, 60
	v_lshlrev_b32_e32 v24, 20, v24
	v_and_b32_e32 v10, 0x80000000, v10
	v_lshl_add_u32 v13, v13, 23, v25
	v_or3_b32 v24, v10, v13, v24
.LBB573_589:
	s_or_b64 exec, exec, s[10:11]
.LBB573_590:
	s_or_b64 exec, exec, s[8:9]
.LBB573_591:
	s_or_b64 exec, exec, s[2:3]
	v_cvt_pkrtz_f16_f32 v10, v18, v20
	v_cvt_pkrtz_f16_f32 v11, v11, v22
	ds_read_b128 v[30:33], v48 offset:2064
	s_waitcnt vmcnt(1)
	v_cmp_ne_u16_sdwa s[8:9], v6, v19 src0_sel:BYTE_0 src1_sel:DWORD
	s_waitcnt lgkmcnt(0)
	v_mfma_f32_16x16x16f16 v[14:17], v[10:11], v[30:31], v[14:17]
	v_cvt_pkrtz_f16_f32 v10, v21, v23
	v_cvt_pkrtz_f16_f32 v11, v12, v24
	s_nop 1
	v_mfma_f32_16x16x16f16 v[10:13], v[10:11], v[32:33], v[14:17]
	s_and_saveexec_b64 s[2:3], s[8:9]
	s_cbranch_execz .LBB573_597
; %bb.592:
	s_movk_i32 s7, 0x80
	v_cmp_ne_u16_sdwa s[10:11], v6, s7 src0_sel:BYTE_0 src1_sel:DWORD
	v_bfrev_b32_e32 v19, 1
	s_and_saveexec_b64 s[8:9], s[10:11]
	s_cbranch_execz .LBB573_596
; %bb.593:
	s_movk_i32 s7, 0x7f
	v_and_b32_e32 v14, 0x7f, v6
	v_cmp_ne_u32_e32 vcc, s7, v14
	v_mov_b32_e32 v19, 0x7f800001
	s_and_saveexec_b64 s[10:11], vcc
	s_cbranch_execz .LBB573_595
; %bb.594:
	v_and_b32_e32 v15, 7, v6
	v_ffbh_u32_e32 v16, v15
	v_min_u32_e32 v19, 32, v16
	v_subrev_u32_e32 v16, 28, v19
	v_lshlrev_b64 v[16:17], v16, v[6:7]
	v_lshrrev_b32_e32 v18, 3, v14
	v_sub_u32_e32 v17, 29, v19
	v_and_b32_e32 v16, 7, v16
	v_cmp_gt_u32_e32 vcc, 8, v14
	v_cndmask_b32_e32 v14, v18, v17, vcc
	v_cndmask_b32_e32 v15, v15, v16, vcc
	v_lshlrev_b32_e32 v16, 24, v6
	v_bfrev_b32_e32 v17, 60
	v_lshlrev_b32_e32 v15, 20, v15
	v_and_b32_e32 v16, 0x80000000, v16
	v_lshl_add_u32 v14, v14, 23, v17
	v_or3_b32 v19, v16, v14, v15
.LBB573_595:
	s_or_b64 exec, exec, s[10:11]
.LBB573_596:
	s_or_b64 exec, exec, s[8:9]
.LBB573_597:
	s_or_b64 exec, exec, s[2:3]
	s_nop 3
	v_lshrrev_b16_e32 v14, 8, v6
	v_cmp_ne_u16_e32 vcc, 0, v14
	v_mov_b32_e32 v15, 0
	v_mov_b32_e32 v16, 0
	s_and_saveexec_b64 s[2:3], vcc
	s_cbranch_execz .LBB573_603
; %bb.598:
	s_movk_i32 s7, 0x80
	v_cmp_ne_u16_e32 vcc, s7, v14
	v_bfrev_b32_e32 v16, 1
	s_and_saveexec_b64 s[8:9], vcc
	s_cbranch_execz .LBB573_602
; %bb.599:
	s_movk_i32 s7, 0x7f
	v_and_b32_e32 v17, 0x7f, v14
	v_cmp_ne_u32_e32 vcc, s7, v17
	v_mov_b32_e32 v16, 0x7f800001
	s_and_saveexec_b64 s[10:11], vcc
	s_cbranch_execz .LBB573_601
; %bb.600:
	v_and_b32_e32 v16, 7, v14
	v_ffbh_u32_e32 v20, v16
	v_min_u32_e32 v22, 32, v20
	v_subrev_u32_e32 v20, 28, v22
	v_lshlrev_b64 v[20:21], v20, v[14:15]
	v_lshrrev_b32_e32 v18, 3, v17
	v_sub_u32_e32 v14, 29, v22
	v_and_b32_e32 v20, 7, v20
	v_cmp_gt_u32_e32 vcc, 8, v17
	v_cndmask_b32_e32 v14, v18, v14, vcc
	v_cndmask_b32_e32 v16, v16, v20, vcc
	v_lshlrev_b32_e32 v17, 16, v6
	v_bfrev_b32_e32 v18, 60
	v_lshlrev_b32_e32 v16, 20, v16
	v_and_b32_e32 v17, 0x80000000, v17
	v_lshl_add_u32 v14, v14, 23, v18
	v_or3_b32 v16, v17, v14, v16
.LBB573_601:
	s_or_b64 exec, exec, s[10:11]
.LBB573_602:
	s_or_b64 exec, exec, s[8:9]
.LBB573_603:
	s_or_b64 exec, exec, s[2:3]
	s_movk_i32 s2, 0xff
	v_and_b32_sdwa v17, v6, s2 dst_sel:DWORD dst_unused:UNUSED_PAD src0_sel:WORD_1 src1_sel:DWORD
	v_lshrrev_b32_e32 v14, 16, v6
	v_cmp_ne_u16_e32 vcc, 0, v17
	s_and_saveexec_b64 s[2:3], vcc
	s_cbranch_execz .LBB573_609
; %bb.604:
	s_movk_i32 s7, 0x80
	v_cmp_ne_u16_e32 vcc, s7, v17
	v_bfrev_b32_e32 v15, 1
	s_and_saveexec_b64 s[8:9], vcc
	s_cbranch_execz .LBB573_608
; %bb.605:
	v_bfe_u32 v17, v6, 16, 7
	s_movk_i32 s7, 0x7f
	v_cmp_ne_u32_e32 vcc, s7, v17
	v_mov_b32_e32 v15, 0x7f800001
	s_and_saveexec_b64 s[10:11], vcc
	s_cbranch_execz .LBB573_607
; %bb.606:
	v_and_b32_e32 v18, 7, v14
	v_ffbh_u32_e32 v15, v18
	v_min_u32_e32 v21, 32, v15
	v_subrev_u32_e32 v15, 28, v21
	v_lshlrev_b64 v[14:15], v15, v[14:15]
	v_lshrrev_b32_e32 v20, 3, v17
	v_sub_u32_e32 v15, 29, v21
	v_and_b32_e32 v14, 7, v14
	v_cmp_gt_u32_e32 vcc, 8, v17
	v_mov_b32_e32 v17, 24
	v_cndmask_b32_e32 v15, v20, v15, vcc
	v_cndmask_b32_e32 v14, v18, v14, vcc
	v_lshlrev_b32_sdwa v17, v17, v6 dst_sel:DWORD dst_unused:UNUSED_PAD src0_sel:DWORD src1_sel:WORD_1
	v_bfrev_b32_e32 v18, 60
	v_lshlrev_b32_e32 v14, 20, v14
	v_and_b32_e32 v17, 0x80000000, v17
	v_lshl_add_u32 v15, v15, 23, v18
	v_or3_b32 v15, v17, v15, v14
.LBB573_607:
	s_or_b64 exec, exec, s[10:11]
.LBB573_608:
	s_or_b64 exec, exec, s[8:9]
.LBB573_609:
	s_or_b64 exec, exec, s[2:3]
	s_mov_b32 s2, 0xffffff
	v_cmp_lt_u32_e32 vcc, s2, v6
	v_mov_b32_e32 v17, 0
	v_mov_b32_e32 v18, 0
	s_and_saveexec_b64 s[2:3], vcc
	s_cbranch_execz .LBB573_615
; %bb.610:
	v_lshrrev_b32_e32 v14, 24, v6
	s_movk_i32 s7, 0x80
	v_cmp_ne_u32_e32 vcc, s7, v14
	v_bfrev_b32_e32 v18, 1
	s_and_saveexec_b64 s[8:9], vcc
	s_cbranch_execz .LBB573_614
; %bb.611:
	v_bfe_u32 v6, v6, 24, 7
	s_movk_i32 s7, 0x7f
	v_cmp_ne_u32_e32 vcc, s7, v6
	v_mov_b32_e32 v18, 0x7f800001
	s_and_saveexec_b64 s[10:11], vcc
	s_cbranch_execz .LBB573_613
; %bb.612:
	v_and_b32_e32 v18, 7, v14
	v_ffbh_u32_e32 v20, v18
	v_min_u32_e32 v23, 32, v20
	v_subrev_u32_e32 v20, 28, v23
	v_lshlrev_b64 v[20:21], v20, v[14:15]
	v_lshrrev_b32_e32 v22, 3, v6
	v_sub_u32_e32 v21, 29, v23
	v_and_b32_e32 v20, 7, v20
	v_cmp_gt_u32_e32 vcc, 8, v6
	v_cndmask_b32_e32 v6, v22, v21, vcc
	v_cndmask_b32_e32 v18, v18, v20, vcc
	v_lshlrev_b32_e32 v14, 24, v14
	v_bfrev_b32_e32 v20, 60
	v_lshlrev_b32_e32 v18, 20, v18
	v_and_b32_e32 v14, 0x80000000, v14
	v_lshl_add_u32 v6, v6, 23, v20
	v_or3_b32 v18, v14, v6, v18
.LBB573_613:
	s_or_b64 exec, exec, s[10:11]
.LBB573_614:
	s_or_b64 exec, exec, s[8:9]
.LBB573_615:
	s_or_b64 exec, exec, s[2:3]
	v_cmp_ne_u16_sdwa s[8:9], v7, v17 src0_sel:BYTE_0 src1_sel:DWORD
	s_and_saveexec_b64 s[2:3], s[8:9]
	s_cbranch_execz .LBB573_621
; %bb.616:
	s_movk_i32 s7, 0x80
	v_cmp_ne_u16_sdwa s[10:11], v7, s7 src0_sel:BYTE_0 src1_sel:DWORD
	v_bfrev_b32_e32 v17, 1
	s_and_saveexec_b64 s[8:9], s[10:11]
	s_cbranch_execz .LBB573_620
; %bb.617:
	s_movk_i32 s7, 0x7f
	v_and_b32_e32 v6, 0x7f, v7
	v_cmp_ne_u32_e32 vcc, s7, v6
	v_mov_b32_e32 v17, 0x7f800001
	s_and_saveexec_b64 s[10:11], vcc
	s_cbranch_execz .LBB573_619
; %bb.618:
	v_and_b32_e32 v17, 7, v7
	v_ffbh_u32_e32 v20, v17
	v_min_u32_e32 v23, 32, v20
	v_mov_b32_e32 v14, v7
	v_subrev_u32_e32 v20, 28, v23
	v_lshlrev_b64 v[20:21], v20, v[14:15]
	v_lshrrev_b32_e32 v22, 3, v6
	v_sub_u32_e32 v14, 29, v23
	v_and_b32_e32 v20, 7, v20
	v_cmp_gt_u32_e32 vcc, 8, v6
	v_cndmask_b32_e32 v6, v22, v14, vcc
	v_cndmask_b32_e32 v14, v17, v20, vcc
	v_lshlrev_b32_e32 v17, 24, v7
	v_bfrev_b32_e32 v20, 60
	v_lshlrev_b32_e32 v14, 20, v14
	v_and_b32_e32 v17, 0x80000000, v17
	v_lshl_add_u32 v6, v6, 23, v20
	v_or3_b32 v17, v17, v6, v14
.LBB573_619:
	s_or_b64 exec, exec, s[10:11]
.LBB573_620:
	s_or_b64 exec, exec, s[8:9]
.LBB573_621:
	s_or_b64 exec, exec, s[2:3]
	v_lshrrev_b16_e32 v6, 8, v7
	v_cmp_ne_u16_e32 vcc, 0, v6
	v_mov_b32_e32 v20, 0
	v_mov_b32_e32 v21, 0
	s_and_saveexec_b64 s[2:3], vcc
	s_cbranch_execz .LBB573_627
; %bb.622:
	s_movk_i32 s7, 0x80
	v_cmp_ne_u16_e32 vcc, s7, v6
	v_bfrev_b32_e32 v21, 1
	s_and_saveexec_b64 s[8:9], vcc
	s_cbranch_execz .LBB573_626
; %bb.623:
	s_movk_i32 s7, 0x7f
	v_and_b32_e32 v14, 0x7f, v6
	v_cmp_ne_u32_e32 vcc, s7, v14
	v_mov_b32_e32 v21, 0x7f800001
	s_and_saveexec_b64 s[10:11], vcc
	s_cbranch_execz .LBB573_625
; %bb.624:
	v_and_b32_e32 v21, 7, v6
	v_ffbh_u32_e32 v22, v21
	v_min_u32_e32 v25, 32, v22
	v_subrev_u32_e32 v22, 28, v25
	v_lshlrev_b64 v[22:23], v22, v[6:7]
	v_lshrrev_b32_e32 v24, 3, v14
	v_sub_u32_e32 v6, 29, v25
	v_and_b32_e32 v22, 7, v22
	v_cmp_gt_u32_e32 vcc, 8, v14
	v_cndmask_b32_e32 v6, v24, v6, vcc
	v_cndmask_b32_e32 v14, v21, v22, vcc
	v_lshlrev_b32_e32 v21, 16, v7
	v_bfrev_b32_e32 v22, 60
	v_lshlrev_b32_e32 v14, 20, v14
	v_and_b32_e32 v21, 0x80000000, v21
	v_lshl_add_u32 v6, v6, 23, v22
	v_or3_b32 v21, v21, v6, v14
.LBB573_625:
	s_or_b64 exec, exec, s[10:11]
.LBB573_626:
	s_or_b64 exec, exec, s[8:9]
.LBB573_627:
	s_or_b64 exec, exec, s[2:3]
	s_movk_i32 s2, 0xff
	v_and_b32_sdwa v14, v7, s2 dst_sel:DWORD dst_unused:UNUSED_PAD src0_sel:WORD_1 src1_sel:DWORD
	v_lshrrev_b32_e32 v6, 16, v7
	v_cmp_ne_u16_e32 vcc, 0, v14
	s_and_saveexec_b64 s[2:3], vcc
	s_cbranch_execz .LBB573_633
; %bb.628:
	s_movk_i32 s7, 0x80
	v_cmp_ne_u16_e32 vcc, s7, v14
	v_bfrev_b32_e32 v20, 1
	s_and_saveexec_b64 s[8:9], vcc
	s_cbranch_execz .LBB573_632
; %bb.629:
	v_bfe_u32 v14, v7, 16, 7
	s_movk_i32 s7, 0x7f
	v_cmp_ne_u32_e32 vcc, s7, v14
	v_mov_b32_e32 v20, 0x7f800001
	s_and_saveexec_b64 s[10:11], vcc
	s_cbranch_execz .LBB573_631
; %bb.630:
	v_and_b32_e32 v20, 7, v6
	v_ffbh_u32_e32 v22, v20
	v_min_u32_e32 v25, 32, v22
	v_subrev_u32_e32 v22, 28, v25
	v_lshlrev_b64 v[22:23], v22, v[6:7]
	v_and_b32_e32 v22, 7, v22
	v_cmp_gt_u32_e32 vcc, 8, v14
	v_lshrrev_b32_e32 v24, 3, v14
	v_sub_u32_e32 v6, 29, v25
	v_cndmask_b32_e32 v14, v20, v22, vcc
	v_mov_b32_e32 v20, 24
	v_cndmask_b32_e32 v6, v24, v6, vcc
	v_lshlrev_b32_sdwa v20, v20, v7 dst_sel:DWORD dst_unused:UNUSED_PAD src0_sel:DWORD src1_sel:WORD_1
	v_bfrev_b32_e32 v22, 60
	v_lshlrev_b32_e32 v14, 20, v14
	v_and_b32_e32 v20, 0x80000000, v20
	v_lshl_add_u32 v6, v6, 23, v22
	v_or3_b32 v20, v20, v6, v14
.LBB573_631:
	s_or_b64 exec, exec, s[10:11]
.LBB573_632:
	s_or_b64 exec, exec, s[8:9]
.LBB573_633:
	s_or_b64 exec, exec, s[2:3]
	s_mov_b32 s2, 0xffffff
	v_cmp_lt_u32_e32 vcc, s2, v7
	v_mov_b32_e32 v14, 0
	v_mov_b32_e32 v22, 0
	s_and_saveexec_b64 s[2:3], vcc
	s_cbranch_execz .LBB573_639
; %bb.634:
	v_lshrrev_b32_e32 v6, 24, v7
	s_movk_i32 s7, 0x80
	v_cmp_ne_u32_e32 vcc, s7, v6
	v_bfrev_b32_e32 v22, 1
	s_and_saveexec_b64 s[8:9], vcc
	s_cbranch_execz .LBB573_638
; %bb.635:
	v_bfe_u32 v7, v7, 24, 7
	s_movk_i32 s7, 0x7f
	v_cmp_ne_u32_e32 vcc, s7, v7
	v_mov_b32_e32 v22, 0x7f800001
	s_and_saveexec_b64 s[10:11], vcc
	s_cbranch_execz .LBB573_637
; %bb.636:
	v_and_b32_e32 v24, 7, v6
	v_ffbh_u32_e32 v22, v24
	v_min_u32_e32 v26, 32, v22
	v_subrev_u32_e32 v22, 28, v26
	v_lshlrev_b64 v[22:23], v22, v[6:7]
	v_lshrrev_b32_e32 v25, 3, v7
	v_sub_u32_e32 v23, 29, v26
	v_and_b32_e32 v22, 7, v22
	v_cmp_gt_u32_e32 vcc, 8, v7
	v_cndmask_b32_e32 v7, v25, v23, vcc
	v_cndmask_b32_e32 v22, v24, v22, vcc
	v_lshlrev_b32_e32 v6, 24, v6
	v_bfrev_b32_e32 v23, 60
	v_lshlrev_b32_e32 v22, 20, v22
	v_and_b32_e32 v6, 0x80000000, v6
	v_lshl_add_u32 v7, v7, 23, v23
	v_or3_b32 v22, v6, v7, v22
.LBB573_637:
	s_or_b64 exec, exec, s[10:11]
.LBB573_638:
	s_or_b64 exec, exec, s[8:9]
.LBB573_639:
	s_or_b64 exec, exec, s[2:3]
	v_cvt_pkrtz_f16_f32 v6, v19, v16
	v_cvt_pkrtz_f16_f32 v7, v15, v18
	ds_read_b128 v[24:27], v48 offset:4096
	v_cmp_ne_u16_sdwa s[8:9], v8, v14 src0_sel:BYTE_0 src1_sel:DWORD
	s_waitcnt lgkmcnt(0)
	v_mfma_f32_16x16x16f16 v[10:13], v[6:7], v[24:25], v[10:13]
	v_cvt_pkrtz_f16_f32 v6, v17, v21
	v_cvt_pkrtz_f16_f32 v7, v20, v22
	s_nop 1
	v_mfma_f32_16x16x16f16 v[10:13], v[6:7], v[26:27], v[10:13]
	s_and_saveexec_b64 s[2:3], s[8:9]
	s_cbranch_execz .LBB573_645
; %bb.640:
	s_movk_i32 s7, 0x80
	v_cmp_ne_u16_sdwa s[10:11], v8, s7 src0_sel:BYTE_0 src1_sel:DWORD
	v_bfrev_b32_e32 v14, 1
	s_and_saveexec_b64 s[8:9], s[10:11]
	s_cbranch_execz .LBB573_644
; %bb.641:
	s_movk_i32 s7, 0x7f
	v_and_b32_e32 v6, 0x7f, v8
	v_cmp_ne_u32_e32 vcc, s7, v6
	v_mov_b32_e32 v14, 0x7f800001
	s_and_saveexec_b64 s[10:11], vcc
	s_cbranch_execz .LBB573_643
; %bb.642:
	v_and_b32_e32 v7, 7, v8
	v_ffbh_u32_e32 v14, v7
	v_min_u32_e32 v17, 32, v14
	v_subrev_u32_e32 v14, 28, v17
	v_lshlrev_b64 v[14:15], v14, v[8:9]
	v_lshrrev_b32_e32 v16, 3, v6
	v_sub_u32_e32 v15, 29, v17
	v_and_b32_e32 v14, 7, v14
	v_cmp_gt_u32_e32 vcc, 8, v6
	v_cndmask_b32_e32 v6, v16, v15, vcc
	v_cndmask_b32_e32 v7, v7, v14, vcc
	v_lshlrev_b32_e32 v14, 24, v8
	v_bfrev_b32_e32 v15, 60
	v_lshlrev_b32_e32 v7, 20, v7
	v_and_b32_e32 v14, 0x80000000, v14
	v_lshl_add_u32 v6, v6, 23, v15
	v_or3_b32 v14, v14, v6, v7
.LBB573_643:
	s_or_b64 exec, exec, s[10:11]
.LBB573_644:
	s_or_b64 exec, exec, s[8:9]
.LBB573_645:
	s_or_b64 exec, exec, s[2:3]
	v_lshrrev_b16_e32 v6, 8, v8
	v_cmp_ne_u16_e32 vcc, 0, v6
	v_mov_b32_e32 v7, 0
	v_mov_b32_e32 v16, 0
	s_and_saveexec_b64 s[2:3], vcc
	s_cbranch_execz .LBB573_651
; %bb.646:
	s_movk_i32 s7, 0x80
	v_cmp_ne_u16_e32 vcc, s7, v6
	v_bfrev_b32_e32 v16, 1
	s_and_saveexec_b64 s[8:9], vcc
	s_cbranch_execz .LBB573_650
; %bb.647:
	s_movk_i32 s7, 0x7f
	v_and_b32_e32 v15, 0x7f, v6
	v_cmp_ne_u32_e32 vcc, s7, v15
	v_mov_b32_e32 v16, 0x7f800001
	s_and_saveexec_b64 s[10:11], vcc
	s_cbranch_execz .LBB573_649
; %bb.648:
	v_and_b32_e32 v18, 7, v6
	v_ffbh_u32_e32 v16, v18
	v_min_u32_e32 v20, 32, v16
	v_subrev_u32_e32 v16, 28, v20
	v_lshlrev_b64 v[16:17], v16, v[6:7]
	v_lshrrev_b32_e32 v19, 3, v15
	v_sub_u32_e32 v6, 29, v20
	v_and_b32_e32 v16, 7, v16
	v_cmp_gt_u32_e32 vcc, 8, v15
	v_cndmask_b32_e32 v6, v19, v6, vcc
	v_cndmask_b32_e32 v15, v18, v16, vcc
	v_lshlrev_b32_e32 v16, 16, v8
	v_bfrev_b32_e32 v17, 60
	v_lshlrev_b32_e32 v15, 20, v15
	v_and_b32_e32 v16, 0x80000000, v16
	v_lshl_add_u32 v6, v6, 23, v17
	v_or3_b32 v16, v16, v6, v15
.LBB573_649:
	s_or_b64 exec, exec, s[10:11]
.LBB573_650:
	s_or_b64 exec, exec, s[8:9]
.LBB573_651:
	s_or_b64 exec, exec, s[2:3]
	s_movk_i32 s2, 0xff
	v_and_b32_sdwa v15, v8, s2 dst_sel:DWORD dst_unused:UNUSED_PAD src0_sel:WORD_1 src1_sel:DWORD
	v_lshrrev_b32_e32 v6, 16, v8
	v_cmp_ne_u16_e32 vcc, 0, v15
	s_and_saveexec_b64 s[2:3], vcc
	s_cbranch_execz .LBB573_657
; %bb.652:
	s_movk_i32 s7, 0x80
	v_cmp_ne_u16_e32 vcc, s7, v15
	v_bfrev_b32_e32 v7, 1
	s_and_saveexec_b64 s[8:9], vcc
	s_cbranch_execz .LBB573_656
; %bb.653:
	v_bfe_u32 v15, v8, 16, 7
	s_movk_i32 s7, 0x7f
	v_cmp_ne_u32_e32 vcc, s7, v15
	v_mov_b32_e32 v7, 0x7f800001
	s_and_saveexec_b64 s[10:11], vcc
	s_cbranch_execz .LBB573_655
; %bb.654:
	v_and_b32_e32 v17, 7, v6
	v_ffbh_u32_e32 v7, v17
	v_min_u32_e32 v19, 32, v7
	v_subrev_u32_e32 v7, 28, v19
	v_lshlrev_b64 v[6:7], v7, v[6:7]
	v_lshrrev_b32_e32 v18, 3, v15
	v_sub_u32_e32 v7, 29, v19
	v_and_b32_e32 v6, 7, v6
	v_cmp_gt_u32_e32 vcc, 8, v15
	v_mov_b32_e32 v15, 24
	v_cndmask_b32_e32 v7, v18, v7, vcc
	v_cndmask_b32_e32 v6, v17, v6, vcc
	v_lshlrev_b32_sdwa v15, v15, v8 dst_sel:DWORD dst_unused:UNUSED_PAD src0_sel:DWORD src1_sel:WORD_1
	v_bfrev_b32_e32 v17, 60
	v_lshlrev_b32_e32 v6, 20, v6
	v_and_b32_e32 v15, 0x80000000, v15
	v_lshl_add_u32 v7, v7, 23, v17
	v_or3_b32 v7, v15, v7, v6
.LBB573_655:
	s_or_b64 exec, exec, s[10:11]
.LBB573_656:
	s_or_b64 exec, exec, s[8:9]
.LBB573_657:
	s_or_b64 exec, exec, s[2:3]
	s_mov_b32 s2, 0xffffff
	v_cmp_lt_u32_e32 vcc, s2, v8
	v_mov_b32_e32 v17, 0
	v_mov_b32_e32 v18, 0
	s_and_saveexec_b64 s[2:3], vcc
	s_cbranch_execz .LBB573_663
; %bb.658:
	v_lshrrev_b32_e32 v6, 24, v8
	s_movk_i32 s7, 0x80
	v_cmp_ne_u32_e32 vcc, s7, v6
	v_bfrev_b32_e32 v18, 1
	s_and_saveexec_b64 s[8:9], vcc
	s_cbranch_execz .LBB573_662
; %bb.659:
	v_bfe_u32 v8, v8, 24, 7
	s_movk_i32 s7, 0x7f
	v_cmp_ne_u32_e32 vcc, s7, v8
	v_mov_b32_e32 v18, 0x7f800001
	s_and_saveexec_b64 s[10:11], vcc
	s_cbranch_execz .LBB573_661
; %bb.660:
	v_and_b32_e32 v15, 7, v6
	v_ffbh_u32_e32 v18, v15
	v_min_u32_e32 v21, 32, v18
	v_subrev_u32_e32 v18, 28, v21
	v_lshlrev_b64 v[18:19], v18, v[6:7]
	v_lshrrev_b32_e32 v20, 3, v8
	v_sub_u32_e32 v19, 29, v21
	v_and_b32_e32 v18, 7, v18
	v_cmp_gt_u32_e32 vcc, 8, v8
	v_cndmask_b32_e32 v8, v20, v19, vcc
	v_cndmask_b32_e32 v15, v15, v18, vcc
	v_lshlrev_b32_e32 v6, 24, v6
	v_bfrev_b32_e32 v18, 60
	v_lshlrev_b32_e32 v15, 20, v15
	v_and_b32_e32 v6, 0x80000000, v6
	v_lshl_add_u32 v8, v8, 23, v18
	v_or3_b32 v18, v6, v8, v15
.LBB573_661:
	s_or_b64 exec, exec, s[10:11]
.LBB573_662:
	s_or_b64 exec, exec, s[8:9]
.LBB573_663:
	s_or_b64 exec, exec, s[2:3]
	v_cmp_ne_u16_sdwa s[8:9], v9, v17 src0_sel:BYTE_0 src1_sel:DWORD
	s_and_saveexec_b64 s[2:3], s[8:9]
	s_cbranch_execz .LBB573_669
; %bb.664:
	s_movk_i32 s7, 0x80
	v_cmp_ne_u16_sdwa s[10:11], v9, s7 src0_sel:BYTE_0 src1_sel:DWORD
	v_bfrev_b32_e32 v17, 1
	s_and_saveexec_b64 s[8:9], s[10:11]
	s_cbranch_execz .LBB573_668
; %bb.665:
	s_movk_i32 s7, 0x7f
	v_and_b32_e32 v6, 0x7f, v9
	v_cmp_ne_u32_e32 vcc, s7, v6
	v_mov_b32_e32 v17, 0x7f800001
	s_and_saveexec_b64 s[10:11], vcc
	s_cbranch_execz .LBB573_667
; %bb.666:
	v_and_b32_e32 v15, 7, v9
	v_ffbh_u32_e32 v19, v15
	v_min_u32_e32 v19, 32, v19
	v_mov_b32_e32 v8, v9
	v_subrev_u32_e32 v20, 28, v19
	v_lshlrev_b64 v[20:21], v20, v[8:9]
	v_lshrrev_b32_e32 v17, 3, v6
	v_sub_u32_e32 v8, 29, v19
	v_and_b32_e32 v19, 7, v20
	v_cmp_gt_u32_e32 vcc, 8, v6
	v_cndmask_b32_e32 v6, v17, v8, vcc
	v_cndmask_b32_e32 v8, v15, v19, vcc
	v_lshlrev_b32_e32 v15, 24, v9
	v_bfrev_b32_e32 v17, 60
	v_lshlrev_b32_e32 v8, 20, v8
	v_and_b32_e32 v15, 0x80000000, v15
	v_lshl_add_u32 v6, v6, 23, v17
	v_or3_b32 v17, v15, v6, v8
.LBB573_667:
	s_or_b64 exec, exec, s[10:11]
.LBB573_668:
	s_or_b64 exec, exec, s[8:9]
.LBB573_669:
	s_or_b64 exec, exec, s[2:3]
	v_lshrrev_b16_e32 v6, 8, v9
	v_cmp_ne_u16_e32 vcc, 0, v6
	v_mov_b32_e32 v8, 0
	v_mov_b32_e32 v19, 0
	s_and_saveexec_b64 s[2:3], vcc
	s_cbranch_execz .LBB573_675
; %bb.670:
	s_movk_i32 s7, 0x80
	v_cmp_ne_u16_e32 vcc, s7, v6
	v_bfrev_b32_e32 v19, 1
	s_and_saveexec_b64 s[8:9], vcc
	s_cbranch_execz .LBB573_674
; %bb.671:
	s_movk_i32 s7, 0x7f
	v_and_b32_e32 v15, 0x7f, v6
	v_cmp_ne_u32_e32 vcc, s7, v15
	v_mov_b32_e32 v19, 0x7f800001
	s_and_saveexec_b64 s[10:11], vcc
	s_cbranch_execz .LBB573_673
; %bb.672:
	v_and_b32_e32 v19, 7, v6
	v_ffbh_u32_e32 v20, v19
	v_min_u32_e32 v23, 32, v20
	v_subrev_u32_e32 v20, 28, v23
	v_lshlrev_b64 v[20:21], v20, v[6:7]
	v_lshrrev_b32_e32 v22, 3, v15
	v_sub_u32_e32 v6, 29, v23
	v_and_b32_e32 v20, 7, v20
	v_cmp_gt_u32_e32 vcc, 8, v15
	v_cndmask_b32_e32 v6, v22, v6, vcc
	v_cndmask_b32_e32 v15, v19, v20, vcc
	v_lshlrev_b32_e32 v19, 16, v9
	v_bfrev_b32_e32 v20, 60
	v_lshlrev_b32_e32 v15, 20, v15
	v_and_b32_e32 v19, 0x80000000, v19
	v_lshl_add_u32 v6, v6, 23, v20
	v_or3_b32 v19, v19, v6, v15
.LBB573_673:
	s_or_b64 exec, exec, s[10:11]
.LBB573_674:
	s_or_b64 exec, exec, s[8:9]
.LBB573_675:
	s_or_b64 exec, exec, s[2:3]
	s_movk_i32 s2, 0xff
	v_and_b32_sdwa v15, v9, s2 dst_sel:DWORD dst_unused:UNUSED_PAD src0_sel:WORD_1 src1_sel:DWORD
	v_lshrrev_b32_e32 v6, 16, v9
	v_cmp_ne_u16_e32 vcc, 0, v15
	s_and_saveexec_b64 s[2:3], vcc
	s_cbranch_execz .LBB573_681
; %bb.676:
	s_movk_i32 s7, 0x80
	v_cmp_ne_u16_e32 vcc, s7, v15
	v_bfrev_b32_e32 v8, 1
	s_and_saveexec_b64 s[8:9], vcc
	s_cbranch_execz .LBB573_680
; %bb.677:
	v_bfe_u32 v15, v9, 16, 7
	s_movk_i32 s7, 0x7f
	v_cmp_ne_u32_e32 vcc, s7, v15
	v_mov_b32_e32 v8, 0x7f800001
	s_and_saveexec_b64 s[10:11], vcc
	s_cbranch_execz .LBB573_679
; %bb.678:
	v_and_b32_e32 v8, 7, v6
	v_ffbh_u32_e32 v20, v8
	v_min_u32_e32 v23, 32, v20
	v_subrev_u32_e32 v20, 28, v23
	v_lshlrev_b64 v[20:21], v20, v[6:7]
	v_lshrrev_b32_e32 v22, 3, v15
	v_sub_u32_e32 v6, 29, v23
	v_and_b32_e32 v20, 7, v20
	v_cmp_gt_u32_e32 vcc, 8, v15
	v_mov_b32_e32 v15, 24
	v_cndmask_b32_e32 v6, v22, v6, vcc
	v_cndmask_b32_e32 v8, v8, v20, vcc
	v_lshlrev_b32_sdwa v15, v15, v9 dst_sel:DWORD dst_unused:UNUSED_PAD src0_sel:DWORD src1_sel:WORD_1
	v_bfrev_b32_e32 v20, 60
	v_lshlrev_b32_e32 v8, 20, v8
	v_and_b32_e32 v15, 0x80000000, v15
	v_lshl_add_u32 v6, v6, 23, v20
	v_or3_b32 v8, v15, v6, v8
.LBB573_679:
	s_or_b64 exec, exec, s[10:11]
.LBB573_680:
	s_or_b64 exec, exec, s[8:9]
.LBB573_681:
	s_or_b64 exec, exec, s[2:3]
	s_mov_b32 s2, 0xffffff
	v_cmp_lt_u32_e32 vcc, s2, v9
	v_mov_b32_e32 v15, 0
	v_mov_b32_e32 v20, 0
	s_and_saveexec_b64 s[2:3], vcc
	s_cbranch_execz .LBB573_687
; %bb.682:
	v_lshrrev_b32_e32 v6, 24, v9
	s_movk_i32 s7, 0x80
	v_cmp_ne_u32_e32 vcc, s7, v6
	v_bfrev_b32_e32 v20, 1
	s_and_saveexec_b64 s[8:9], vcc
	s_cbranch_execz .LBB573_686
; %bb.683:
	v_bfe_u32 v9, v9, 24, 7
	s_movk_i32 s7, 0x7f
	v_cmp_ne_u32_e32 vcc, s7, v9
	v_mov_b32_e32 v20, 0x7f800001
	s_and_saveexec_b64 s[10:11], vcc
	s_cbranch_execz .LBB573_685
; %bb.684:
	v_and_b32_e32 v22, 7, v6
	v_ffbh_u32_e32 v20, v22
	v_min_u32_e32 v24, 32, v20
	v_subrev_u32_e32 v20, 28, v24
	v_lshlrev_b64 v[20:21], v20, v[6:7]
	v_lshrrev_b32_e32 v23, 3, v9
	v_sub_u32_e32 v21, 29, v24
	v_and_b32_e32 v20, 7, v20
	v_cmp_gt_u32_e32 vcc, 8, v9
	v_cndmask_b32_e32 v9, v23, v21, vcc
	v_cndmask_b32_e32 v20, v22, v20, vcc
	v_lshlrev_b32_e32 v6, 24, v6
	v_bfrev_b32_e32 v21, 60
	v_lshlrev_b32_e32 v20, 20, v20
	v_and_b32_e32 v6, 0x80000000, v6
	v_lshl_add_u32 v9, v9, 23, v21
	v_or3_b32 v20, v6, v9, v20
.LBB573_685:
	s_or_b64 exec, exec, s[10:11]
.LBB573_686:
	s_or_b64 exec, exec, s[8:9]
.LBB573_687:
	s_or_b64 exec, exec, s[2:3]
	v_cvt_pkrtz_f16_f32 v6, v14, v16
	v_cvt_pkrtz_f16_f32 v7, v7, v18
	ds_read_b128 v[22:25], v48 offset:4112
	s_waitcnt vmcnt(0)
	v_cmp_ne_u16_sdwa s[8:9], v2, v15 src0_sel:BYTE_0 src1_sel:DWORD
	s_waitcnt lgkmcnt(0)
	v_mfma_f32_16x16x16f16 v[10:13], v[6:7], v[22:23], v[10:13]
	v_cvt_pkrtz_f16_f32 v6, v17, v19
	v_cvt_pkrtz_f16_f32 v7, v8, v20
	s_nop 1
	v_mfma_f32_16x16x16f16 v[6:9], v[6:7], v[24:25], v[10:13]
	s_and_saveexec_b64 s[2:3], s[8:9]
	s_cbranch_execz .LBB573_693
; %bb.688:
	s_movk_i32 s7, 0x80
	v_cmp_ne_u16_sdwa s[10:11], v2, s7 src0_sel:BYTE_0 src1_sel:DWORD
	v_bfrev_b32_e32 v15, 1
	s_and_saveexec_b64 s[8:9], s[10:11]
	s_cbranch_execz .LBB573_692
; %bb.689:
	s_movk_i32 s7, 0x7f
	v_and_b32_e32 v10, 0x7f, v2
	v_cmp_ne_u32_e32 vcc, s7, v10
	v_mov_b32_e32 v15, 0x7f800001
	s_and_saveexec_b64 s[10:11], vcc
	s_cbranch_execz .LBB573_691
; %bb.690:
	v_and_b32_e32 v11, 7, v2
	v_ffbh_u32_e32 v12, v11
	v_min_u32_e32 v15, 32, v12
	v_subrev_u32_e32 v12, 28, v15
	v_lshlrev_b64 v[12:13], v12, v[2:3]
	v_lshrrev_b32_e32 v14, 3, v10
	v_sub_u32_e32 v13, 29, v15
	v_and_b32_e32 v12, 7, v12
	v_cmp_gt_u32_e32 vcc, 8, v10
	v_cndmask_b32_e32 v10, v14, v13, vcc
	v_cndmask_b32_e32 v11, v11, v12, vcc
	v_lshlrev_b32_e32 v12, 24, v2
	v_bfrev_b32_e32 v13, 60
	v_lshlrev_b32_e32 v11, 20, v11
	v_and_b32_e32 v12, 0x80000000, v12
	v_lshl_add_u32 v10, v10, 23, v13
	v_or3_b32 v15, v12, v10, v11
.LBB573_691:
	s_or_b64 exec, exec, s[10:11]
.LBB573_692:
	s_or_b64 exec, exec, s[8:9]
.LBB573_693:
	s_or_b64 exec, exec, s[2:3]
	s_nop 3
	v_lshrrev_b16_e32 v10, 8, v2
	v_cmp_ne_u16_e32 vcc, 0, v10
	v_mov_b32_e32 v11, 0
	v_mov_b32_e32 v12, 0
	s_and_saveexec_b64 s[2:3], vcc
	s_cbranch_execz .LBB573_699
; %bb.694:
	s_movk_i32 s7, 0x80
	v_cmp_ne_u16_e32 vcc, s7, v10
	v_bfrev_b32_e32 v12, 1
	s_and_saveexec_b64 s[8:9], vcc
	s_cbranch_execz .LBB573_698
; %bb.695:
	s_movk_i32 s7, 0x7f
	v_and_b32_e32 v13, 0x7f, v10
	v_cmp_ne_u32_e32 vcc, s7, v13
	v_mov_b32_e32 v12, 0x7f800001
	s_and_saveexec_b64 s[10:11], vcc
	s_cbranch_execz .LBB573_697
; %bb.696:
	v_and_b32_e32 v12, 7, v10
	v_ffbh_u32_e32 v16, v12
	v_min_u32_e32 v18, 32, v16
	v_subrev_u32_e32 v16, 28, v18
	v_lshlrev_b64 v[16:17], v16, v[10:11]
	v_lshrrev_b32_e32 v14, 3, v13
	v_sub_u32_e32 v10, 29, v18
	v_and_b32_e32 v16, 7, v16
	v_cmp_gt_u32_e32 vcc, 8, v13
	v_cndmask_b32_e32 v10, v14, v10, vcc
	v_cndmask_b32_e32 v12, v12, v16, vcc
	v_lshlrev_b32_e32 v13, 16, v2
	v_bfrev_b32_e32 v14, 60
	v_lshlrev_b32_e32 v12, 20, v12
	v_and_b32_e32 v13, 0x80000000, v13
	v_lshl_add_u32 v10, v10, 23, v14
	v_or3_b32 v12, v13, v10, v12
.LBB573_697:
	s_or_b64 exec, exec, s[10:11]
.LBB573_698:
	s_or_b64 exec, exec, s[8:9]
.LBB573_699:
	s_or_b64 exec, exec, s[2:3]
	s_movk_i32 s2, 0xff
	v_and_b32_sdwa v13, v2, s2 dst_sel:DWORD dst_unused:UNUSED_PAD src0_sel:WORD_1 src1_sel:DWORD
	v_lshrrev_b32_e32 v10, 16, v2
	v_cmp_ne_u16_e32 vcc, 0, v13
	s_and_saveexec_b64 s[2:3], vcc
	s_cbranch_execz .LBB573_705
; %bb.700:
	s_movk_i32 s7, 0x80
	v_cmp_ne_u16_e32 vcc, s7, v13
	v_bfrev_b32_e32 v11, 1
	s_and_saveexec_b64 s[8:9], vcc
	s_cbranch_execz .LBB573_704
; %bb.701:
	v_bfe_u32 v13, v2, 16, 7
	s_movk_i32 s7, 0x7f
	v_cmp_ne_u32_e32 vcc, s7, v13
	v_mov_b32_e32 v11, 0x7f800001
	s_and_saveexec_b64 s[10:11], vcc
	s_cbranch_execz .LBB573_703
; %bb.702:
	v_and_b32_e32 v14, 7, v10
	v_ffbh_u32_e32 v11, v14
	v_min_u32_e32 v17, 32, v11
	v_subrev_u32_e32 v11, 28, v17
	v_lshlrev_b64 v[10:11], v11, v[10:11]
	v_lshrrev_b32_e32 v16, 3, v13
	v_sub_u32_e32 v11, 29, v17
	v_and_b32_e32 v10, 7, v10
	v_cmp_gt_u32_e32 vcc, 8, v13
	v_mov_b32_e32 v13, 24
	v_cndmask_b32_e32 v11, v16, v11, vcc
	v_cndmask_b32_e32 v10, v14, v10, vcc
	v_lshlrev_b32_sdwa v13, v13, v2 dst_sel:DWORD dst_unused:UNUSED_PAD src0_sel:DWORD src1_sel:WORD_1
	v_bfrev_b32_e32 v14, 60
	v_lshlrev_b32_e32 v10, 20, v10
	v_and_b32_e32 v13, 0x80000000, v13
	v_lshl_add_u32 v11, v11, 23, v14
	v_or3_b32 v11, v13, v11, v10
.LBB573_703:
	s_or_b64 exec, exec, s[10:11]
.LBB573_704:
	s_or_b64 exec, exec, s[8:9]
.LBB573_705:
	s_or_b64 exec, exec, s[2:3]
	s_mov_b32 s2, 0xffffff
	v_cmp_lt_u32_e32 vcc, s2, v2
	v_mov_b32_e32 v13, 0
	v_mov_b32_e32 v14, 0
	s_and_saveexec_b64 s[2:3], vcc
	s_cbranch_execz .LBB573_711
; %bb.706:
	v_lshrrev_b32_e32 v10, 24, v2
	s_movk_i32 s7, 0x80
	v_cmp_ne_u32_e32 vcc, s7, v10
	v_bfrev_b32_e32 v14, 1
	s_and_saveexec_b64 s[8:9], vcc
	s_cbranch_execz .LBB573_710
; %bb.707:
	v_bfe_u32 v2, v2, 24, 7
	s_movk_i32 s7, 0x7f
	v_cmp_ne_u32_e32 vcc, s7, v2
	v_mov_b32_e32 v14, 0x7f800001
	s_and_saveexec_b64 s[10:11], vcc
	s_cbranch_execz .LBB573_709
; %bb.708:
	v_and_b32_e32 v14, 7, v10
	v_ffbh_u32_e32 v16, v14
	v_min_u32_e32 v19, 32, v16
	v_subrev_u32_e32 v16, 28, v19
	v_lshlrev_b64 v[16:17], v16, v[10:11]
	v_lshrrev_b32_e32 v18, 3, v2
	v_sub_u32_e32 v17, 29, v19
	v_and_b32_e32 v16, 7, v16
	v_cmp_gt_u32_e32 vcc, 8, v2
	v_cndmask_b32_e32 v2, v18, v17, vcc
	v_cndmask_b32_e32 v14, v14, v16, vcc
	v_lshlrev_b32_e32 v10, 24, v10
	v_bfrev_b32_e32 v16, 60
	v_lshlrev_b32_e32 v14, 20, v14
	v_and_b32_e32 v10, 0x80000000, v10
	v_lshl_add_u32 v2, v2, 23, v16
	v_or3_b32 v14, v10, v2, v14
.LBB573_709:
	s_or_b64 exec, exec, s[10:11]
.LBB573_710:
	s_or_b64 exec, exec, s[8:9]
.LBB573_711:
	s_or_b64 exec, exec, s[2:3]
	v_cmp_ne_u16_sdwa s[8:9], v3, v13 src0_sel:BYTE_0 src1_sel:DWORD
	s_and_saveexec_b64 s[2:3], s[8:9]
	s_cbranch_execz .LBB573_717
; %bb.712:
	s_movk_i32 s7, 0x80
	v_cmp_ne_u16_sdwa s[10:11], v3, s7 src0_sel:BYTE_0 src1_sel:DWORD
	v_bfrev_b32_e32 v13, 1
	s_and_saveexec_b64 s[8:9], s[10:11]
	s_cbranch_execz .LBB573_716
; %bb.713:
	s_movk_i32 s7, 0x7f
	v_and_b32_e32 v2, 0x7f, v3
	v_cmp_ne_u32_e32 vcc, s7, v2
	v_mov_b32_e32 v13, 0x7f800001
	s_and_saveexec_b64 s[10:11], vcc
	s_cbranch_execz .LBB573_715
; %bb.714:
	v_and_b32_e32 v13, 7, v3
	v_ffbh_u32_e32 v16, v13
	v_min_u32_e32 v19, 32, v16
	v_mov_b32_e32 v10, v3
	v_subrev_u32_e32 v16, 28, v19
	v_lshlrev_b64 v[16:17], v16, v[10:11]
	v_lshrrev_b32_e32 v18, 3, v2
	v_sub_u32_e32 v10, 29, v19
	v_and_b32_e32 v16, 7, v16
	v_cmp_gt_u32_e32 vcc, 8, v2
	v_cndmask_b32_e32 v2, v18, v10, vcc
	v_cndmask_b32_e32 v10, v13, v16, vcc
	v_lshlrev_b32_e32 v13, 24, v3
	v_bfrev_b32_e32 v16, 60
	v_lshlrev_b32_e32 v10, 20, v10
	v_and_b32_e32 v13, 0x80000000, v13
	v_lshl_add_u32 v2, v2, 23, v16
	v_or3_b32 v13, v13, v2, v10
.LBB573_715:
	s_or_b64 exec, exec, s[10:11]
.LBB573_716:
	s_or_b64 exec, exec, s[8:9]
.LBB573_717:
	s_or_b64 exec, exec, s[2:3]
	v_lshrrev_b16_e32 v2, 8, v3
	v_cmp_ne_u16_e32 vcc, 0, v2
	v_mov_b32_e32 v16, 0
	v_mov_b32_e32 v17, 0
	s_and_saveexec_b64 s[2:3], vcc
	s_cbranch_execz .LBB573_723
; %bb.718:
	s_movk_i32 s7, 0x80
	v_cmp_ne_u16_e32 vcc, s7, v2
	v_bfrev_b32_e32 v17, 1
	s_and_saveexec_b64 s[8:9], vcc
	s_cbranch_execz .LBB573_722
; %bb.719:
	s_movk_i32 s7, 0x7f
	v_and_b32_e32 v10, 0x7f, v2
	v_cmp_ne_u32_e32 vcc, s7, v10
	v_mov_b32_e32 v17, 0x7f800001
	s_and_saveexec_b64 s[10:11], vcc
	s_cbranch_execz .LBB573_721
; %bb.720:
	v_and_b32_e32 v17, 7, v2
	v_ffbh_u32_e32 v18, v17
	v_min_u32_e32 v21, 32, v18
	v_subrev_u32_e32 v18, 28, v21
	v_lshlrev_b64 v[18:19], v18, v[2:3]
	v_lshrrev_b32_e32 v20, 3, v10
	v_sub_u32_e32 v2, 29, v21
	v_and_b32_e32 v18, 7, v18
	v_cmp_gt_u32_e32 vcc, 8, v10
	v_cndmask_b32_e32 v2, v20, v2, vcc
	v_cndmask_b32_e32 v10, v17, v18, vcc
	v_lshlrev_b32_e32 v17, 16, v3
	v_bfrev_b32_e32 v18, 60
	v_lshlrev_b32_e32 v10, 20, v10
	v_and_b32_e32 v17, 0x80000000, v17
	v_lshl_add_u32 v2, v2, 23, v18
	v_or3_b32 v17, v17, v2, v10
.LBB573_721:
	s_or_b64 exec, exec, s[10:11]
.LBB573_722:
	s_or_b64 exec, exec, s[8:9]
.LBB573_723:
	s_or_b64 exec, exec, s[2:3]
	s_movk_i32 s2, 0xff
	v_and_b32_sdwa v10, v3, s2 dst_sel:DWORD dst_unused:UNUSED_PAD src0_sel:WORD_1 src1_sel:DWORD
	v_lshrrev_b32_e32 v2, 16, v3
	v_cmp_ne_u16_e32 vcc, 0, v10
	s_and_saveexec_b64 s[2:3], vcc
	s_cbranch_execz .LBB573_729
; %bb.724:
	s_movk_i32 s7, 0x80
	v_cmp_ne_u16_e32 vcc, s7, v10
	v_bfrev_b32_e32 v16, 1
	s_and_saveexec_b64 s[8:9], vcc
	s_cbranch_execz .LBB573_728
; %bb.725:
	v_bfe_u32 v10, v3, 16, 7
	s_movk_i32 s7, 0x7f
	v_cmp_ne_u32_e32 vcc, s7, v10
	v_mov_b32_e32 v16, 0x7f800001
	s_and_saveexec_b64 s[10:11], vcc
	s_cbranch_execz .LBB573_727
; %bb.726:
	v_and_b32_e32 v16, 7, v2
	v_ffbh_u32_e32 v18, v16
	v_min_u32_e32 v21, 32, v18
	v_subrev_u32_e32 v18, 28, v21
	v_lshlrev_b64 v[18:19], v18, v[2:3]
	v_and_b32_e32 v18, 7, v18
	v_cmp_gt_u32_e32 vcc, 8, v10
	v_lshrrev_b32_e32 v20, 3, v10
	v_sub_u32_e32 v2, 29, v21
	v_cndmask_b32_e32 v10, v16, v18, vcc
	v_mov_b32_e32 v16, 24
	v_cndmask_b32_e32 v2, v20, v2, vcc
	v_lshlrev_b32_sdwa v16, v16, v3 dst_sel:DWORD dst_unused:UNUSED_PAD src0_sel:DWORD src1_sel:WORD_1
	v_bfrev_b32_e32 v18, 60
	v_lshlrev_b32_e32 v10, 20, v10
	v_and_b32_e32 v16, 0x80000000, v16
	v_lshl_add_u32 v2, v2, 23, v18
	v_or3_b32 v16, v16, v2, v10
.LBB573_727:
	s_or_b64 exec, exec, s[10:11]
.LBB573_728:
	s_or_b64 exec, exec, s[8:9]
.LBB573_729:
	s_or_b64 exec, exec, s[2:3]
	s_mov_b32 s2, 0xffffff
	v_cmp_lt_u32_e32 vcc, s2, v3
	v_mov_b32_e32 v10, 0
	v_mov_b32_e32 v18, 0
	s_and_saveexec_b64 s[2:3], vcc
	s_cbranch_execz .LBB573_735
; %bb.730:
	v_lshrrev_b32_e32 v2, 24, v3
	s_movk_i32 s7, 0x80
	v_cmp_ne_u32_e32 vcc, s7, v2
	v_bfrev_b32_e32 v18, 1
	s_and_saveexec_b64 s[8:9], vcc
	s_cbranch_execz .LBB573_734
; %bb.731:
	v_bfe_u32 v3, v3, 24, 7
	s_movk_i32 s7, 0x7f
	v_cmp_ne_u32_e32 vcc, s7, v3
	v_mov_b32_e32 v18, 0x7f800001
	s_and_saveexec_b64 s[10:11], vcc
	s_cbranch_execz .LBB573_733
; %bb.732:
	v_and_b32_e32 v20, 7, v2
	v_ffbh_u32_e32 v18, v20
	v_min_u32_e32 v22, 32, v18
	v_subrev_u32_e32 v18, 28, v22
	v_lshlrev_b64 v[18:19], v18, v[2:3]
	v_lshrrev_b32_e32 v21, 3, v3
	v_sub_u32_e32 v19, 29, v22
	v_and_b32_e32 v18, 7, v18
	v_cmp_gt_u32_e32 vcc, 8, v3
	v_cndmask_b32_e32 v3, v21, v19, vcc
	v_cndmask_b32_e32 v18, v20, v18, vcc
	v_lshlrev_b32_e32 v2, 24, v2
	v_bfrev_b32_e32 v19, 60
	v_lshlrev_b32_e32 v18, 20, v18
	v_and_b32_e32 v2, 0x80000000, v2
	v_lshl_add_u32 v3, v3, 23, v19
	v_or3_b32 v18, v2, v3, v18
.LBB573_733:
	s_or_b64 exec, exec, s[10:11]
.LBB573_734:
	s_or_b64 exec, exec, s[8:9]
.LBB573_735:
	s_or_b64 exec, exec, s[2:3]
	v_cvt_pkrtz_f16_f32 v2, v15, v12
	v_cvt_pkrtz_f16_f32 v3, v11, v14
	ds_read_b128 v[20:23], v48 offset:6144
	v_cmp_ne_u16_sdwa s[8:9], v4, v10 src0_sel:BYTE_0 src1_sel:DWORD
	s_waitcnt lgkmcnt(0)
	v_mfma_f32_16x16x16f16 v[6:9], v[2:3], v[20:21], v[6:9]
	v_cvt_pkrtz_f16_f32 v2, v13, v17
	v_cvt_pkrtz_f16_f32 v3, v16, v18
	s_nop 1
	v_mfma_f32_16x16x16f16 v[6:9], v[2:3], v[22:23], v[6:9]
	s_and_saveexec_b64 s[2:3], s[8:9]
	s_cbranch_execz .LBB573_741
; %bb.736:
	s_movk_i32 s7, 0x80
	v_cmp_ne_u16_sdwa s[10:11], v4, s7 src0_sel:BYTE_0 src1_sel:DWORD
	v_bfrev_b32_e32 v10, 1
	s_and_saveexec_b64 s[8:9], s[10:11]
	s_cbranch_execz .LBB573_740
; %bb.737:
	s_movk_i32 s7, 0x7f
	v_and_b32_e32 v2, 0x7f, v4
	v_cmp_ne_u32_e32 vcc, s7, v2
	v_mov_b32_e32 v10, 0x7f800001
	s_and_saveexec_b64 s[10:11], vcc
	s_cbranch_execz .LBB573_739
; %bb.738:
	v_and_b32_e32 v3, 7, v4
	v_ffbh_u32_e32 v10, v3
	v_min_u32_e32 v13, 32, v10
	v_subrev_u32_e32 v10, 28, v13
	v_lshlrev_b64 v[10:11], v10, v[4:5]
	v_lshrrev_b32_e32 v12, 3, v2
	v_sub_u32_e32 v11, 29, v13
	v_and_b32_e32 v10, 7, v10
	v_cmp_gt_u32_e32 vcc, 8, v2
	v_cndmask_b32_e32 v2, v12, v11, vcc
	v_cndmask_b32_e32 v3, v3, v10, vcc
	v_lshlrev_b32_e32 v10, 24, v4
	v_bfrev_b32_e32 v11, 60
	v_lshlrev_b32_e32 v3, 20, v3
	v_and_b32_e32 v10, 0x80000000, v10
	v_lshl_add_u32 v2, v2, 23, v11
	v_or3_b32 v10, v10, v2, v3
.LBB573_739:
	s_or_b64 exec, exec, s[10:11]
.LBB573_740:
	s_or_b64 exec, exec, s[8:9]
.LBB573_741:
	s_or_b64 exec, exec, s[2:3]
	v_lshrrev_b16_e32 v2, 8, v4
	v_cmp_ne_u16_e32 vcc, 0, v2
	v_mov_b32_e32 v3, 0
	v_mov_b32_e32 v11, 0
	s_and_saveexec_b64 s[2:3], vcc
	s_cbranch_execz .LBB573_747
; %bb.742:
	s_movk_i32 s7, 0x80
	v_cmp_ne_u16_e32 vcc, s7, v2
	v_bfrev_b32_e32 v11, 1
	s_and_saveexec_b64 s[8:9], vcc
	s_cbranch_execz .LBB573_746
; %bb.743:
	s_movk_i32 s7, 0x7f
	v_and_b32_e32 v12, 0x7f, v2
	v_cmp_ne_u32_e32 vcc, s7, v12
	v_mov_b32_e32 v11, 0x7f800001
	s_and_saveexec_b64 s[10:11], vcc
	s_cbranch_execz .LBB573_745
; %bb.744:
	v_and_b32_e32 v11, 7, v2
	v_ffbh_u32_e32 v14, v11
	v_min_u32_e32 v16, 32, v14
	v_subrev_u32_e32 v14, 28, v16
	v_lshlrev_b64 v[14:15], v14, v[2:3]
	v_lshrrev_b32_e32 v13, 3, v12
	v_sub_u32_e32 v2, 29, v16
	v_and_b32_e32 v14, 7, v14
	v_cmp_gt_u32_e32 vcc, 8, v12
	v_cndmask_b32_e32 v2, v13, v2, vcc
	v_cndmask_b32_e32 v11, v11, v14, vcc
	v_lshlrev_b32_e32 v12, 16, v4
	v_bfrev_b32_e32 v13, 60
	v_lshlrev_b32_e32 v11, 20, v11
	v_and_b32_e32 v12, 0x80000000, v12
	v_lshl_add_u32 v2, v2, 23, v13
	v_or3_b32 v11, v12, v2, v11
.LBB573_745:
	s_or_b64 exec, exec, s[10:11]
.LBB573_746:
	s_or_b64 exec, exec, s[8:9]
.LBB573_747:
	s_or_b64 exec, exec, s[2:3]
	s_movk_i32 s2, 0xff
	v_and_b32_sdwa v12, v4, s2 dst_sel:DWORD dst_unused:UNUSED_PAD src0_sel:WORD_1 src1_sel:DWORD
	v_lshrrev_b32_e32 v2, 16, v4
	v_cmp_ne_u16_e32 vcc, 0, v12
	s_and_saveexec_b64 s[2:3], vcc
	s_cbranch_execz .LBB573_753
; %bb.748:
	s_movk_i32 s7, 0x80
	v_cmp_ne_u16_e32 vcc, s7, v12
	v_bfrev_b32_e32 v3, 1
	s_and_saveexec_b64 s[8:9], vcc
	s_cbranch_execz .LBB573_752
; %bb.749:
	v_bfe_u32 v12, v4, 16, 7
	s_movk_i32 s7, 0x7f
	v_cmp_ne_u32_e32 vcc, s7, v12
	v_mov_b32_e32 v3, 0x7f800001
	s_and_saveexec_b64 s[10:11], vcc
	s_cbranch_execz .LBB573_751
; %bb.750:
	v_and_b32_e32 v13, 7, v2
	v_ffbh_u32_e32 v3, v13
	v_min_u32_e32 v15, 32, v3
	v_subrev_u32_e32 v3, 28, v15
	v_lshlrev_b64 v[2:3], v3, v[2:3]
	v_lshrrev_b32_e32 v14, 3, v12
	v_sub_u32_e32 v3, 29, v15
	v_and_b32_e32 v2, 7, v2
	v_cmp_gt_u32_e32 vcc, 8, v12
	v_mov_b32_e32 v12, 24
	v_cndmask_b32_e32 v3, v14, v3, vcc
	v_cndmask_b32_e32 v2, v13, v2, vcc
	v_lshlrev_b32_sdwa v12, v12, v4 dst_sel:DWORD dst_unused:UNUSED_PAD src0_sel:DWORD src1_sel:WORD_1
	v_bfrev_b32_e32 v13, 60
	v_lshlrev_b32_e32 v2, 20, v2
	v_and_b32_e32 v12, 0x80000000, v12
	v_lshl_add_u32 v3, v3, 23, v13
	v_or3_b32 v3, v12, v3, v2
.LBB573_751:
	s_or_b64 exec, exec, s[10:11]
.LBB573_752:
	s_or_b64 exec, exec, s[8:9]
.LBB573_753:
	s_or_b64 exec, exec, s[2:3]
	s_mov_b32 s2, 0xffffff
	v_cmp_lt_u32_e32 vcc, s2, v4
	v_mov_b32_e32 v12, 0
	v_mov_b32_e32 v13, 0
	s_and_saveexec_b64 s[2:3], vcc
	s_cbranch_execz .LBB573_759
; %bb.754:
	v_lshrrev_b32_e32 v2, 24, v4
	s_movk_i32 s7, 0x80
	v_cmp_ne_u32_e32 vcc, s7, v2
	v_bfrev_b32_e32 v13, 1
	s_and_saveexec_b64 s[8:9], vcc
	s_cbranch_execz .LBB573_758
; %bb.755:
	v_bfe_u32 v4, v4, 24, 7
	s_movk_i32 s7, 0x7f
	v_cmp_ne_u32_e32 vcc, s7, v4
	v_mov_b32_e32 v13, 0x7f800001
	s_and_saveexec_b64 s[10:11], vcc
	s_cbranch_execz .LBB573_757
; %bb.756:
	v_and_b32_e32 v13, 7, v2
	v_ffbh_u32_e32 v14, v13
	v_min_u32_e32 v17, 32, v14
	v_subrev_u32_e32 v14, 28, v17
	v_lshlrev_b64 v[14:15], v14, v[2:3]
	v_lshrrev_b32_e32 v16, 3, v4
	v_sub_u32_e32 v15, 29, v17
	v_and_b32_e32 v14, 7, v14
	v_cmp_gt_u32_e32 vcc, 8, v4
	v_cndmask_b32_e32 v4, v16, v15, vcc
	v_cndmask_b32_e32 v13, v13, v14, vcc
	v_lshlrev_b32_e32 v2, 24, v2
	v_bfrev_b32_e32 v14, 60
	v_lshlrev_b32_e32 v13, 20, v13
	v_and_b32_e32 v2, 0x80000000, v2
	v_lshl_add_u32 v4, v4, 23, v14
	v_or3_b32 v13, v2, v4, v13
.LBB573_757:
	s_or_b64 exec, exec, s[10:11]
.LBB573_758:
	s_or_b64 exec, exec, s[8:9]
.LBB573_759:
	s_or_b64 exec, exec, s[2:3]
	v_cmp_ne_u16_sdwa s[8:9], v5, v12 src0_sel:BYTE_0 src1_sel:DWORD
	s_and_saveexec_b64 s[2:3], s[8:9]
	s_cbranch_execz .LBB573_765
; %bb.760:
	s_movk_i32 s7, 0x80
	v_cmp_ne_u16_sdwa s[10:11], v5, s7 src0_sel:BYTE_0 src1_sel:DWORD
	v_bfrev_b32_e32 v12, 1
	s_and_saveexec_b64 s[8:9], s[10:11]
	s_cbranch_execz .LBB573_764
; %bb.761:
	s_movk_i32 s7, 0x7f
	v_and_b32_e32 v2, 0x7f, v5
	v_cmp_ne_u32_e32 vcc, s7, v2
	v_mov_b32_e32 v12, 0x7f800001
	s_and_saveexec_b64 s[10:11], vcc
	s_cbranch_execz .LBB573_763
; %bb.762:
	v_and_b32_e32 v12, 7, v5
	v_ffbh_u32_e32 v14, v12
	v_min_u32_e32 v17, 32, v14
	v_mov_b32_e32 v4, v5
	v_subrev_u32_e32 v14, 28, v17
	v_lshlrev_b64 v[14:15], v14, v[4:5]
	v_lshrrev_b32_e32 v16, 3, v2
	v_sub_u32_e32 v4, 29, v17
	v_and_b32_e32 v14, 7, v14
	v_cmp_gt_u32_e32 vcc, 8, v2
	v_cndmask_b32_e32 v2, v16, v4, vcc
	v_cndmask_b32_e32 v4, v12, v14, vcc
	v_lshlrev_b32_e32 v12, 24, v5
	v_bfrev_b32_e32 v14, 60
	v_lshlrev_b32_e32 v4, 20, v4
	v_and_b32_e32 v12, 0x80000000, v12
	v_lshl_add_u32 v2, v2, 23, v14
	v_or3_b32 v12, v12, v2, v4
.LBB573_763:
	s_or_b64 exec, exec, s[10:11]
.LBB573_764:
	s_or_b64 exec, exec, s[8:9]
.LBB573_765:
	s_or_b64 exec, exec, s[2:3]
	v_lshrrev_b16_e32 v2, 8, v5
	v_cmp_ne_u16_e32 vcc, 0, v2
	v_mov_b32_e32 v4, 0
	v_mov_b32_e32 v14, 0
	s_and_saveexec_b64 s[2:3], vcc
	s_cbranch_execz .LBB573_771
; %bb.766:
	s_movk_i32 s7, 0x80
	v_cmp_ne_u16_e32 vcc, s7, v2
	v_bfrev_b32_e32 v14, 1
	s_and_saveexec_b64 s[8:9], vcc
	s_cbranch_execz .LBB573_770
; %bb.767:
	s_movk_i32 s7, 0x7f
	v_and_b32_e32 v15, 0x7f, v2
	v_cmp_ne_u32_e32 vcc, s7, v15
	v_mov_b32_e32 v14, 0x7f800001
	s_and_saveexec_b64 s[10:11], vcc
	s_cbranch_execz .LBB573_769
; %bb.768:
	v_and_b32_e32 v14, 7, v2
	v_ffbh_u32_e32 v16, v14
	v_min_u32_e32 v19, 32, v16
	v_subrev_u32_e32 v16, 28, v19
	v_lshlrev_b64 v[16:17], v16, v[2:3]
	v_lshrrev_b32_e32 v18, 3, v15
	v_sub_u32_e32 v2, 29, v19
	v_and_b32_e32 v16, 7, v16
	v_cmp_gt_u32_e32 vcc, 8, v15
	v_cndmask_b32_e32 v2, v18, v2, vcc
	v_cndmask_b32_e32 v14, v14, v16, vcc
	v_lshlrev_b32_e32 v15, 16, v5
	v_bfrev_b32_e32 v16, 60
	v_lshlrev_b32_e32 v14, 20, v14
	v_and_b32_e32 v15, 0x80000000, v15
	v_lshl_add_u32 v2, v2, 23, v16
	v_or3_b32 v14, v15, v2, v14
.LBB573_769:
	s_or_b64 exec, exec, s[10:11]
.LBB573_770:
	s_or_b64 exec, exec, s[8:9]
.LBB573_771:
	s_or_b64 exec, exec, s[2:3]
	s_movk_i32 s2, 0xff
	v_and_b32_sdwa v15, v5, s2 dst_sel:DWORD dst_unused:UNUSED_PAD src0_sel:WORD_1 src1_sel:DWORD
	v_lshrrev_b32_e32 v2, 16, v5
	v_cmp_ne_u16_e32 vcc, 0, v15
	s_and_saveexec_b64 s[2:3], vcc
	s_cbranch_execz .LBB573_777
; %bb.772:
	s_movk_i32 s7, 0x80
	v_cmp_ne_u16_e32 vcc, s7, v15
	v_bfrev_b32_e32 v4, 1
	s_and_saveexec_b64 s[8:9], vcc
	s_cbranch_execz .LBB573_776
; %bb.773:
	v_bfe_u32 v15, v5, 16, 7
	s_movk_i32 s7, 0x7f
	v_cmp_ne_u32_e32 vcc, s7, v15
	v_mov_b32_e32 v4, 0x7f800001
	s_and_saveexec_b64 s[10:11], vcc
	s_cbranch_execz .LBB573_775
; %bb.774:
	v_and_b32_e32 v4, 7, v2
	v_ffbh_u32_e32 v16, v4
	v_min_u32_e32 v19, 32, v16
	v_subrev_u32_e32 v16, 28, v19
	v_lshlrev_b64 v[16:17], v16, v[2:3]
	v_lshrrev_b32_e32 v18, 3, v15
	v_sub_u32_e32 v2, 29, v19
	v_and_b32_e32 v16, 7, v16
	v_cmp_gt_u32_e32 vcc, 8, v15
	v_mov_b32_e32 v15, 24
	v_cndmask_b32_e32 v2, v18, v2, vcc
	v_cndmask_b32_e32 v4, v4, v16, vcc
	v_lshlrev_b32_sdwa v15, v15, v5 dst_sel:DWORD dst_unused:UNUSED_PAD src0_sel:DWORD src1_sel:WORD_1
	v_bfrev_b32_e32 v16, 60
	v_lshlrev_b32_e32 v4, 20, v4
	v_and_b32_e32 v15, 0x80000000, v15
	v_lshl_add_u32 v2, v2, 23, v16
	v_or3_b32 v4, v15, v2, v4
.LBB573_775:
	s_or_b64 exec, exec, s[10:11]
.LBB573_776:
	s_or_b64 exec, exec, s[8:9]
.LBB573_777:
	s_or_b64 exec, exec, s[2:3]
	s_mov_b32 s2, 0xffffff
	v_cmp_lt_u32_e32 vcc, s2, v5
	v_mov_b32_e32 v15, 0
	s_and_saveexec_b64 s[2:3], vcc
	s_cbranch_execz .LBB573_783
; %bb.778:
	v_lshrrev_b32_e32 v2, 24, v5
	s_movk_i32 s7, 0x80
	v_cmp_ne_u32_e32 vcc, s7, v2
	v_bfrev_b32_e32 v15, 1
	s_and_saveexec_b64 s[8:9], vcc
	s_cbranch_execz .LBB573_782
; %bb.779:
	v_bfe_u32 v5, v5, 24, 7
	s_movk_i32 s7, 0x7f
	v_cmp_ne_u32_e32 vcc, s7, v5
	v_mov_b32_e32 v15, 0x7f800001
	s_and_saveexec_b64 s[10:11], vcc
	s_cbranch_execz .LBB573_781
; %bb.780:
	v_and_b32_e32 v15, 7, v2
	v_ffbh_u32_e32 v16, v15
	v_min_u32_e32 v19, 32, v16
	v_subrev_u32_e32 v16, 28, v19
	v_lshlrev_b64 v[16:17], v16, v[2:3]
	v_lshrrev_b32_e32 v18, 3, v5
	v_sub_u32_e32 v17, 29, v19
	v_and_b32_e32 v16, 7, v16
	v_cmp_gt_u32_e32 vcc, 8, v5
	v_cndmask_b32_e32 v5, v18, v17, vcc
	v_cndmask_b32_e32 v15, v15, v16, vcc
	v_lshlrev_b32_e32 v2, 24, v2
	v_bfrev_b32_e32 v16, 60
	v_lshlrev_b32_e32 v15, 20, v15
	v_and_b32_e32 v2, 0x80000000, v2
	v_lshl_add_u32 v5, v5, 23, v16
	v_or3_b32 v15, v2, v5, v15
.LBB573_781:
	s_or_b64 exec, exec, s[10:11]
.LBB573_782:
	s_or_b64 exec, exec, s[8:9]
.LBB573_783:
	s_or_b64 exec, exec, s[2:3]
	v_cvt_pkrtz_f16_f32 v2, v10, v11
	v_cvt_pkrtz_f16_f32 v3, v3, v13
	ds_read_b128 v[16:19], v48 offset:6160
	s_load_dword s2, s[42:43], 0x0
	v_cmp_gt_u32_e32 vcc, 64, v0
	s_waitcnt lgkmcnt(0)
	v_mfma_f32_16x16x16f16 v[6:9], v[2:3], v[16:17], v[6:9]
	v_cvt_pkrtz_f16_f32 v2, v12, v14
	v_cvt_pkrtz_f16_f32 v3, v4, v15
	s_and_b64 s[0:1], vcc, s[0:1]
	s_barrier
	v_mfma_f32_16x16x16f16 v[2:5], v[2:3], v[18:19], v[6:9]
	s_nop 7
	s_nop 2
	v_pk_mul_f32 v[4:5], v[4:5], s[2:3] op_sel_hi:[1,0]
	v_pk_mul_f32 v[2:3], v[2:3], s[2:3] op_sel_hi:[1,0]
	v_cvt_f16_f32_e32 v2, v2
	v_cvt_f16_f32_e32 v3, v3
	;; [unrolled: 1-line block ×4, first 2 shown]
	v_pack_b32_f16 v2, v2, v3
	v_pack_b32_f16 v3, v4, v5
	ds_write_b64 v28, v[2:3]
	s_waitcnt lgkmcnt(0)
	s_barrier
	s_and_saveexec_b64 s[2:3], s[0:1]
	s_cbranch_execz .LBB573_785
; %bb.784:
	s_load_dwordx2 s[0:1], s[4:5], 0x68
	s_lshl_b32 s4, s44, 6
	s_mul_i32 s2, s12, s6
	s_mul_hi_u32 s3, s2, s4
	s_mul_i32 s2, s2, s4
	s_lshl_b64 s[2:3], s[2:3], 1
	s_waitcnt lgkmcnt(0)
	s_add_u32 s2, s0, s2
	s_addc_u32 s3, s1, s3
	s_lshl_b32 s0, s24, 6
	s_mov_b32 s1, 0
	v_lshlrev_b32_e32 v0, 10, v0
	s_lshl_b64 s[0:1], s[0:1], 1
	v_and_b32_e32 v0, 0x1800, v0
	v_lshlrev_b32_e32 v2, 5, v1
	v_and_b32_e32 v3, 16, v47
	s_add_u32 s0, s2, s0
	v_or3_b32 v0, v0, v2, v3
	s_addc_u32 s1, s3, s1
	ds_read_b128 v[2:5], v0
	ds_read_b128 v[6:9], v0 offset:128
	ds_read_b128 v[10:13], v0 offset:256
	;; [unrolled: 1-line block ×3, first 2 shown]
	v_mov_b32_e32 v0, s1
	v_add_co_u32_e32 v18, vcc, s0, v46
	v_or_b32_e32 v20, s25, v1
	v_addc_co_u32_e32 v19, vcc, 0, v0, vcc
	v_mad_u64_u32 v[0:1], s[0:1], v20, s4, 0
	v_lshlrev_b64 v[0:1], 1, v[0:1]
	v_add_co_u32_e32 v0, vcc, v18, v0
	v_addc_co_u32_e32 v1, vcc, v19, v1, vcc
	s_waitcnt lgkmcnt(3)
	global_store_dwordx4 v[0:1], v[2:5], off
	v_or_b32_e32 v0, 4, v20
	v_mad_u64_u32 v[0:1], s[0:1], v0, s4, 0
	v_lshlrev_b64 v[0:1], 1, v[0:1]
	v_add_co_u32_e32 v0, vcc, v18, v0
	v_addc_co_u32_e32 v1, vcc, v19, v1, vcc
	s_waitcnt lgkmcnt(2)
	global_store_dwordx4 v[0:1], v[6:9], off
	v_or_b32_e32 v0, 8, v20
	;; [unrolled: 7-line block ×3, first 2 shown]
	v_mad_u64_u32 v[0:1], s[0:1], v0, s4, 0
	v_lshlrev_b64 v[0:1], 1, v[0:1]
	v_add_co_u32_e32 v0, vcc, v18, v0
	v_addc_co_u32_e32 v1, vcc, v19, v1, vcc
	s_waitcnt lgkmcnt(0)
	global_store_dwordx4 v[0:1], v[14:17], off
.LBB573_785:
	s_endpgm
	.section	.rodata,"a",@progbits
	.p2align	6, 0x0
	.amdhsa_kernel _Z39paged_attention_ll4mi_QKV_mfma16_kernelIDF16_hLN4vllm18Fp8KVCacheDataTypeE1EDF16_Li16ELi64ELi256ELb0ELi16EL8MFMAType0EEvPKT_PKT0_S8_ifPKiSA_SA_iPKfiiiPfSD_PS3_PT2_iSC_SC_
		.amdhsa_group_segment_fixed_size 8192
		.amdhsa_private_segment_fixed_size 0
		.amdhsa_kernarg_size 400
		.amdhsa_user_sgpr_count 6
		.amdhsa_user_sgpr_private_segment_buffer 1
		.amdhsa_user_sgpr_dispatch_ptr 0
		.amdhsa_user_sgpr_queue_ptr 0
		.amdhsa_user_sgpr_kernarg_segment_ptr 1
		.amdhsa_user_sgpr_dispatch_id 0
		.amdhsa_user_sgpr_flat_scratch_init 0
		.amdhsa_user_sgpr_kernarg_preload_length 0
		.amdhsa_user_sgpr_kernarg_preload_offset 0
		.amdhsa_user_sgpr_private_segment_size 0
		.amdhsa_uses_dynamic_stack 0
		.amdhsa_system_sgpr_private_segment_wavefront_offset 0
		.amdhsa_system_sgpr_workgroup_id_x 1
		.amdhsa_system_sgpr_workgroup_id_y 1
		.amdhsa_system_sgpr_workgroup_id_z 1
		.amdhsa_system_sgpr_workgroup_info 0
		.amdhsa_system_vgpr_workitem_id 0
		.amdhsa_next_free_vgpr 63
		.amdhsa_next_free_sgpr 47
		.amdhsa_accum_offset 64
		.amdhsa_reserve_vcc 1
		.amdhsa_reserve_flat_scratch 0
		.amdhsa_float_round_mode_32 0
		.amdhsa_float_round_mode_16_64 0
		.amdhsa_float_denorm_mode_32 3
		.amdhsa_float_denorm_mode_16_64 3
		.amdhsa_dx10_clamp 1
		.amdhsa_ieee_mode 1
		.amdhsa_fp16_overflow 0
		.amdhsa_tg_split 0
		.amdhsa_exception_fp_ieee_invalid_op 0
		.amdhsa_exception_fp_denorm_src 0
		.amdhsa_exception_fp_ieee_div_zero 0
		.amdhsa_exception_fp_ieee_overflow 0
		.amdhsa_exception_fp_ieee_underflow 0
		.amdhsa_exception_fp_ieee_inexact 0
		.amdhsa_exception_int_div_zero 0
	.end_amdhsa_kernel
	.section	.text._Z39paged_attention_ll4mi_QKV_mfma16_kernelIDF16_hLN4vllm18Fp8KVCacheDataTypeE1EDF16_Li16ELi64ELi256ELb0ELi16EL8MFMAType0EEvPKT_PKT0_S8_ifPKiSA_SA_iPKfiiiPfSD_PS3_PT2_iSC_SC_,"axG",@progbits,_Z39paged_attention_ll4mi_QKV_mfma16_kernelIDF16_hLN4vllm18Fp8KVCacheDataTypeE1EDF16_Li16ELi64ELi256ELb0ELi16EL8MFMAType0EEvPKT_PKT0_S8_ifPKiSA_SA_iPKfiiiPfSD_PS3_PT2_iSC_SC_,comdat
.Lfunc_end573:
	.size	_Z39paged_attention_ll4mi_QKV_mfma16_kernelIDF16_hLN4vllm18Fp8KVCacheDataTypeE1EDF16_Li16ELi64ELi256ELb0ELi16EL8MFMAType0EEvPKT_PKT0_S8_ifPKiSA_SA_iPKfiiiPfSD_PS3_PT2_iSC_SC_, .Lfunc_end573-_Z39paged_attention_ll4mi_QKV_mfma16_kernelIDF16_hLN4vllm18Fp8KVCacheDataTypeE1EDF16_Li16ELi64ELi256ELb0ELi16EL8MFMAType0EEvPKT_PKT0_S8_ifPKiSA_SA_iPKfiiiPfSD_PS3_PT2_iSC_SC_
                                        ; -- End function
	.section	.AMDGPU.csdata,"",@progbits
; Kernel info:
; codeLenInByte = 26960
; NumSgprs: 51
; NumVgprs: 63
; NumAgprs: 0
; TotalNumVgprs: 63
; ScratchSize: 0
; MemoryBound: 0
; FloatMode: 240
; IeeeMode: 1
; LDSByteSize: 8192 bytes/workgroup (compile time only)
; SGPRBlocks: 6
; VGPRBlocks: 7
; NumSGPRsForWavesPerEU: 51
; NumVGPRsForWavesPerEU: 63
; AccumOffset: 64
; Occupancy: 8
; WaveLimiterHint : 1
; COMPUTE_PGM_RSRC2:SCRATCH_EN: 0
; COMPUTE_PGM_RSRC2:USER_SGPR: 6
; COMPUTE_PGM_RSRC2:TRAP_HANDLER: 0
; COMPUTE_PGM_RSRC2:TGID_X_EN: 1
; COMPUTE_PGM_RSRC2:TGID_Y_EN: 1
; COMPUTE_PGM_RSRC2:TGID_Z_EN: 1
; COMPUTE_PGM_RSRC2:TIDIG_COMP_CNT: 0
; COMPUTE_PGM_RSRC3_GFX90A:ACCUM_OFFSET: 15
; COMPUTE_PGM_RSRC3_GFX90A:TG_SPLIT: 0
	.section	.text._Z39paged_attention_ll4mi_QKV_mfma16_kernelIDF16_hLN4vllm18Fp8KVCacheDataTypeE1EDF16_Li16ELi64ELi256ELb0ELi1EL8MFMAType0EEvPKT_PKT0_S8_ifPKiSA_SA_iPKfiiiPfSD_PS3_PT2_iSC_SC_,"axG",@progbits,_Z39paged_attention_ll4mi_QKV_mfma16_kernelIDF16_hLN4vllm18Fp8KVCacheDataTypeE1EDF16_Li16ELi64ELi256ELb0ELi1EL8MFMAType0EEvPKT_PKT0_S8_ifPKiSA_SA_iPKfiiiPfSD_PS3_PT2_iSC_SC_,comdat
	.protected	_Z39paged_attention_ll4mi_QKV_mfma16_kernelIDF16_hLN4vllm18Fp8KVCacheDataTypeE1EDF16_Li16ELi64ELi256ELb0ELi1EL8MFMAType0EEvPKT_PKT0_S8_ifPKiSA_SA_iPKfiiiPfSD_PS3_PT2_iSC_SC_ ; -- Begin function _Z39paged_attention_ll4mi_QKV_mfma16_kernelIDF16_hLN4vllm18Fp8KVCacheDataTypeE1EDF16_Li16ELi64ELi256ELb0ELi1EL8MFMAType0EEvPKT_PKT0_S8_ifPKiSA_SA_iPKfiiiPfSD_PS3_PT2_iSC_SC_
	.globl	_Z39paged_attention_ll4mi_QKV_mfma16_kernelIDF16_hLN4vllm18Fp8KVCacheDataTypeE1EDF16_Li16ELi64ELi256ELb0ELi1EL8MFMAType0EEvPKT_PKT0_S8_ifPKiSA_SA_iPKfiiiPfSD_PS3_PT2_iSC_SC_
	.p2align	8
	.type	_Z39paged_attention_ll4mi_QKV_mfma16_kernelIDF16_hLN4vllm18Fp8KVCacheDataTypeE1EDF16_Li16ELi64ELi256ELb0ELi1EL8MFMAType0EEvPKT_PKT0_S8_ifPKiSA_SA_iPKfiiiPfSD_PS3_PT2_iSC_SC_,@function
_Z39paged_attention_ll4mi_QKV_mfma16_kernelIDF16_hLN4vllm18Fp8KVCacheDataTypeE1EDF16_Li16ELi64ELi256ELb0ELi1EL8MFMAType0EEvPKT_PKT0_S8_ifPKiSA_SA_iPKfiiiPfSD_PS3_PT2_iSC_SC_: ; @_Z39paged_attention_ll4mi_QKV_mfma16_kernelIDF16_hLN4vllm18Fp8KVCacheDataTypeE1EDF16_Li16ELi64ELi256ELb0ELi1EL8MFMAType0EEvPKT_PKT0_S8_ifPKiSA_SA_iPKfiiiPfSD_PS3_PT2_iSC_SC_
; %bb.0:
	s_load_dwordx2 s[0:1], s[4:5], 0x30
	s_mov_b32 s9, s7
	s_mov_b64 s[10:11], 0
	s_waitcnt lgkmcnt(0)
	s_cmp_lg_u64 s[0:1], 0
	s_cselect_b64 s[2:3], -1, 0
	s_and_b64 vcc, exec, s[2:3]
	s_cbranch_vccz .LBB574_7
; %bb.1:
	s_add_i32 s12, s6, 1
	s_mov_b32 s13, 0
	s_lshl_b64 s[14:15], s[12:13], 2
	s_add_u32 s14, s0, s14
	s_mov_b32 s7, s13
	s_addc_u32 s15, s1, s15
	s_lshl_b64 s[12:13], s[6:7], 2
	s_add_u32 s12, s0, s12
	s_addc_u32 s13, s1, s13
	s_load_dword s16, s[14:15], 0x0
	s_load_dword s17, s[12:13], 0x0
	s_waitcnt lgkmcnt(0)
	s_sub_i32 s12, s16, s17
	s_cmp_eq_u32 s12, 1
	s_cselect_b64 s[12:13], -1, 0
	s_andn2_b64 vcc, exec, s[10:11]
	s_cbranch_vccnz .LBB574_3
.LBB574_2:
	s_mov_b32 s7, 0
	s_mov_b64 s[12:13], -1
.LBB574_3:
	s_andn2_b64 vcc, exec, s[12:13]
	s_cbranch_vccnz .LBB574_785
; %bb.4:
	s_load_dwordx2 s[12:13], s[4:5], 0x28
	s_lshl_b64 s[10:11], s[6:7], 2
	s_waitcnt lgkmcnt(0)
	s_add_u32 s12, s12, s10
	s_addc_u32 s13, s13, s11
	s_load_dword s33, s[12:13], 0x0
	s_lshl_b32 s20, s9, 8
	s_waitcnt lgkmcnt(0)
	s_cmp_ge_i32 s20, s33
	s_cbranch_scc1 .LBB574_785
; %bb.5:
	s_add_i32 s15, s33, 15
	s_load_dwordx2 s[12:13], s[4:5], 0x20
	s_load_dword s14, s[4:5], 0x38
	s_ashr_i32 s16, s15, 31
	v_and_b32_e32 v1, 0xcf, v0
	s_lshr_b32 s16, s16, 28
	v_add_u32_e32 v1, s20, v1
	s_add_i32 s15, s15, s16
	v_ashrrev_i32_e32 v2, 31, v1
	s_ashr_i32 s23, s15, 4
	v_lshrrev_b32_e32 v4, 28, v2
	s_add_i32 s23, s23, -1
	v_add_u32_e32 v2, v1, v4
	s_waitcnt lgkmcnt(0)
	s_mul_i32 s14, s6, s14
	s_mov_b32 s15, 0
	v_ashrrev_i32_e32 v2, 4, v2
	v_mov_b32_e32 v5, s23
	v_cmp_gt_i32_e32 vcc, s33, v1
	s_lshl_b64 s[14:15], s[14:15], 2
	v_cndmask_b32_e32 v2, v5, v2, vcc
	s_add_u32 s21, s12, s14
	v_ashrrev_i32_e32 v3, 31, v2
	s_addc_u32 s22, s13, s15
	v_lshlrev_b64 v[2:3], 2, v[2:3]
	v_mov_b32_e32 v7, s22
	v_add_co_u32_e32 v6, vcc, s21, v2
	v_or_b32_e32 v2, 16, v1
	v_addc_co_u32_e32 v7, vcc, v7, v3, vcc
	v_add_u32_e32 v3, v2, v4
	v_ashrrev_i32_e32 v3, 4, v3
	v_cmp_gt_i32_e32 vcc, s33, v2
	v_cndmask_b32_e32 v2, v5, v3, vcc
	v_ashrrev_i32_e32 v3, 31, v2
	v_lshlrev_b64 v[2:3], 2, v[2:3]
	v_mov_b32_e32 v9, s22
	v_add_co_u32_e32 v8, vcc, s21, v2
	v_or_b32_e32 v2, 32, v1
	v_addc_co_u32_e32 v9, vcc, v9, v3, vcc
	v_add_u32_e32 v3, v2, v4
	v_ashrrev_i32_e32 v3, 4, v3
	v_cmp_gt_i32_e32 vcc, s33, v2
	v_cndmask_b32_e32 v2, v5, v3, vcc
	v_ashrrev_i32_e32 v3, 31, v2
	;; [unrolled: 10-line block ×3, first 2 shown]
	v_lshlrev_b64 v[2:3], 2, v[2:3]
	v_mov_b32_e32 v1, s22
	v_add_co_u32_e32 v12, vcc, s21, v2
	v_addc_co_u32_e32 v13, vcc, v1, v3, vcc
	global_load_dword v4, v[6:7], off
	global_load_dword v5, v[8:9], off
	;; [unrolled: 1-line block ×4, first 2 shown]
	s_load_dwordx4 s[12:15], s[4:5], 0x8
	s_andn2_b64 vcc, exec, s[2:3]
	s_cbranch_vccnz .LBB574_8
; %bb.6:
	s_add_u32 s0, s0, s10
	s_addc_u32 s1, s1, s11
	s_load_dword s10, s[0:1], 0x0
	s_branch .LBB574_9
.LBB574_7:
	s_mov_b64 s[12:13], 0
	s_branch .LBB574_2
.LBB574_8:
	s_mov_b32 s10, s6
.LBB574_9:
	s_load_dwordx4 s[16:19], s[4:5], 0x48
	v_lshrrev_b32_e32 v48, 6, v0
	v_bfe_u32 v46, v0, 4, 2
	v_lshl_or_b32 v1, v48, 2, v46
	v_and_b32_e32 v49, 15, v0
	v_lshlrev_b32_e32 v6, 3, v49
	v_cmp_eq_u32_e32 vcc, 0, v1
	v_cmp_gt_u32_e64 s[0:1], 8, v49
	s_and_b64 s[24:25], s[0:1], vcc
	v_lshlrev_b32_e32 v1, 1, v6
	v_lshlrev_b32_e32 v47, 4, v0
	s_and_saveexec_b64 s[2:3], s[24:25]
	s_cbranch_execz .LBB574_11
; %bb.10:
	s_load_dwordx2 s[24:25], s[4:5], 0x0
	s_waitcnt lgkmcnt(0)
	s_ashr_i32 s11, s16, 31
	s_mul_hi_u32 s19, s10, s16
	s_mul_i32 s11, s10, s11
	s_add_i32 s11, s19, s11
	s_mul_i32 s10, s10, s16
	s_lshl_b64 s[10:11], s[10:11], 1
	s_add_u32 s16, s24, s10
	s_addc_u32 s19, s25, s11
	s_lshl_b32 s10, s8, 6
	s_ashr_i32 s11, s10, 31
	s_lshl_b64 s[10:11], s[10:11], 1
	s_add_u32 s10, s16, s10
	s_addc_u32 s11, s19, s11
	global_load_dwordx4 v[6:9], v1, s[10:11]
	v_lshlrev_b32_e32 v10, 8, v49
	v_and_b32_e32 v11, 16, v47
	s_movk_i32 s10, 0xe00
	v_and_or_b32 v10, v10, s10, v11
	s_waitcnt vmcnt(0)
	ds_write_b128 v10, v[6:9]
.LBB574_11:
	s_or_b64 exec, exec, s[2:3]
	v_and_b32_e32 v12, 48, v0
	v_or_b32_e32 v13, s20, v12
	v_ashrrev_i32_e32 v6, 4, v13
	v_mov_b32_e32 v14, s23
	v_cmp_gt_i32_e32 vcc, s33, v13
	v_cndmask_b32_e32 v6, v14, v6, vcc
	v_ashrrev_i32_e32 v7, 31, v6
	v_lshlrev_b64 v[6:7], 2, v[6:7]
	v_mov_b32_e32 v8, s22
	v_add_co_u32_e32 v6, vcc, s21, v6
	v_addc_co_u32_e32 v7, vcc, v8, v7, vcc
	v_or_b32_e32 v8, 64, v13
	v_ashrrev_i32_e32 v9, 4, v8
	v_cmp_gt_i32_e32 vcc, s33, v8
	v_cndmask_b32_e32 v8, v14, v9, vcc
	v_ashrrev_i32_e32 v9, 31, v8
	v_lshlrev_b64 v[8:9], 2, v[8:9]
	v_mov_b32_e32 v10, s22
	v_add_co_u32_e32 v8, vcc, s21, v8
	v_addc_co_u32_e32 v9, vcc, v10, v9, vcc
	v_or_b32_e32 v10, 0x80, v13
	v_ashrrev_i32_e32 v11, 4, v10
	v_cmp_gt_i32_e32 vcc, s33, v10
	v_cndmask_b32_e32 v10, v14, v11, vcc
	v_ashrrev_i32_e32 v11, 31, v10
	v_lshlrev_b64 v[10:11], 2, v[10:11]
	v_mov_b32_e32 v15, s22
	v_add_co_u32_e32 v10, vcc, s21, v10
	s_load_dwordx2 s[44:45], s[4:5], 0x94
	s_load_dwordx4 s[40:43], s[4:5], 0x80
	s_waitcnt lgkmcnt(0)
	s_barrier
	v_addc_co_u32_e32 v11, vcc, v15, v11, vcc
	global_load_dword v15, v[6:7], off
	global_load_dword v16, v[8:9], off
	;; [unrolled: 1-line block ×3, first 2 shown]
	v_or_b32_e32 v6, 0xc0, v13
	v_ashrrev_i32_e32 v7, 4, v6
	v_cmp_gt_i32_e32 vcc, s33, v6
	v_cndmask_b32_e32 v6, v14, v7, vcc
	v_ashrrev_i32_e32 v7, 31, v6
	v_lshlrev_b64 v[6:7], 2, v[6:7]
	v_mov_b32_e32 v8, s22
	v_add_co_u32_e32 v6, vcc, s21, v6
	v_addc_co_u32_e32 v7, vcc, v8, v7, vcc
	global_load_dword v20, v[6:7], off
	s_mul_i32 s10, s8, s18
	s_add_u32 s2, s12, s10
	s_addc_u32 s3, s13, 0
	v_and_b32_e32 v6, 0xf0, v47
	v_mov_b32_e32 v7, s3
	v_add_co_u32_e32 v6, vcc, s2, v6
	v_addc_co_u32_e32 v7, vcc, 0, v7, vcc
	v_lshlrev_b32_e32 v8, 4, v12
	v_add_co_u32_e32 v6, vcc, v6, v8
	v_addc_co_u32_e32 v7, vcc, 0, v7, vcc
	s_waitcnt vmcnt(7)
	v_mad_i64_i32 v[8:9], s[2:3], v4, s17, v[6:7]
	s_waitcnt vmcnt(6)
	v_mad_i64_i32 v[4:5], s[2:3], v5, s17, v[6:7]
	global_load_dwordx4 v[30:33], v[8:9], off
	global_load_dwordx4 v[38:41], v[4:5], off
	s_waitcnt vmcnt(7)
	v_mad_i64_i32 v[4:5], s[2:3], v2, s17, v[6:7]
	s_waitcnt vmcnt(6)
	v_mad_i64_i32 v[2:3], s[2:3], v3, s17, v[6:7]
	global_load_dwordx4 v[34:37], v[4:5], off
	global_load_dwordx4 v[22:25], v[2:3], off
	s_add_u32 s2, s14, s10
	v_lshlrev_b32_e32 v2, 4, v49
	s_addc_u32 s3, s15, 0
	v_lshl_or_b32 v2, v48, 8, v2
	v_mov_b32_e32 v3, s3
	v_add_co_u32_e32 v2, vcc, s2, v2
	v_addc_co_u32_e32 v3, vcc, 0, v3, vcc
	v_mov_b32_e32 v43, 0
	s_movk_i32 s10, 0x80
	v_mov_b32_e32 v44, 0
	s_waitcnt vmcnt(7)
	v_mad_i64_i32 v[4:5], s[2:3], v15, s17, v[2:3]
	s_waitcnt vmcnt(6)
	v_mad_i64_i32 v[6:7], s[2:3], v16, s17, v[2:3]
	;; [unrolled: 2-line block ×3, first 2 shown]
	global_load_dwordx4 v[14:17], v[4:5], off
	global_load_dwordx4 v[10:13], v[6:7], off
	s_waitcnt vmcnt(6)
	v_mad_i64_i32 v[20:21], s[2:3], v20, s17, v[2:3]
	global_load_dwordx4 v[6:9], v[18:19], off
	global_load_dwordx4 v[2:5], v[20:21], off
	v_lshlrev_b32_e32 v18, 9, v46
	ds_read_b128 v[26:29], v18
	ds_read_b128 v[18:21], v18 offset:16
	s_load_dword s14, s[40:41], 0x0
	s_waitcnt vmcnt(7)
	v_cmp_ne_u16_sdwa s[12:13], v30, v43 src0_sel:BYTE_0 src1_sel:DWORD
	s_and_saveexec_b64 s[2:3], s[12:13]
	s_cbranch_execz .LBB574_17
; %bb.12:
	v_cmp_ne_u16_sdwa s[12:13], v30, s10 src0_sel:BYTE_0 src1_sel:DWORD
	v_bfrev_b32_e32 v44, 1
	s_and_saveexec_b64 s[10:11], s[12:13]
	s_cbranch_execz .LBB574_16
; %bb.13:
	s_movk_i32 s12, 0x7f
	v_and_b32_e32 v42, 0x7f, v30
	v_cmp_ne_u32_e32 vcc, s12, v42
	v_mov_b32_e32 v44, 0x7f800001
	s_and_saveexec_b64 s[12:13], vcc
	s_cbranch_execz .LBB574_15
; %bb.14:
	v_and_b32_e32 v50, 7, v30
	v_ffbh_u32_e32 v44, v50
	v_min_u32_e32 v52, 32, v44
	v_subrev_u32_e32 v44, 28, v52
	v_lshlrev_b64 v[44:45], v44, v[30:31]
	v_lshrrev_b32_e32 v51, 3, v42
	v_sub_u32_e32 v45, 29, v52
	v_and_b32_e32 v44, 7, v44
	v_cmp_gt_u32_e32 vcc, 8, v42
	v_cndmask_b32_e32 v42, v51, v45, vcc
	v_cndmask_b32_e32 v44, v50, v44, vcc
	v_lshlrev_b32_e32 v45, 24, v30
	v_bfrev_b32_e32 v50, 60
	v_lshlrev_b32_e32 v44, 20, v44
	v_and_b32_e32 v45, 0x80000000, v45
	v_lshl_add_u32 v42, v42, 23, v50
	v_or3_b32 v44, v45, v42, v44
.LBB574_15:
	s_or_b64 exec, exec, s[12:13]
.LBB574_16:
	s_or_b64 exec, exec, s[10:11]
.LBB574_17:
	s_or_b64 exec, exec, s[2:3]
	v_lshrrev_b16_e32 v42, 8, v30
	v_cmp_ne_u16_e32 vcc, 0, v42
	s_and_saveexec_b64 s[2:3], vcc
	s_cbranch_execz .LBB574_23
; %bb.18:
	s_movk_i32 s10, 0x80
	v_cmp_ne_u16_e32 vcc, s10, v42
	v_bfrev_b32_e32 v43, 1
	s_and_saveexec_b64 s[10:11], vcc
	s_cbranch_execz .LBB574_22
; %bb.19:
	s_movk_i32 s12, 0x7f
	v_and_b32_e32 v45, 0x7f, v42
	v_cmp_ne_u32_e32 vcc, s12, v45
	v_mov_b32_e32 v43, 0x7f800001
	s_and_saveexec_b64 s[12:13], vcc
	s_cbranch_execz .LBB574_21
; %bb.20:
	v_and_b32_e32 v50, 7, v42
	v_ffbh_u32_e32 v43, v50
	v_min_u32_e32 v52, 32, v43
	v_subrev_u32_e32 v43, 28, v52
	v_lshlrev_b64 v[42:43], v43, v[42:43]
	v_lshrrev_b32_e32 v51, 3, v45
	v_sub_u32_e32 v43, 29, v52
	v_and_b32_e32 v42, 7, v42
	v_cmp_gt_u32_e32 vcc, 8, v45
	v_cndmask_b32_e32 v43, v51, v43, vcc
	v_cndmask_b32_e32 v42, v50, v42, vcc
	v_lshlrev_b32_e32 v45, 16, v30
	v_bfrev_b32_e32 v50, 60
	v_lshlrev_b32_e32 v42, 20, v42
	v_and_b32_e32 v45, 0x80000000, v45
	v_lshl_add_u32 v43, v43, 23, v50
	v_or3_b32 v43, v45, v43, v42
.LBB574_21:
	s_or_b64 exec, exec, s[12:13]
.LBB574_22:
	s_or_b64 exec, exec, s[10:11]
.LBB574_23:
	s_or_b64 exec, exec, s[2:3]
	s_movk_i32 s2, 0xff
	v_and_b32_sdwa v51, v30, s2 dst_sel:DWORD dst_unused:UNUSED_PAD src0_sel:WORD_1 src1_sel:DWORD
	v_lshrrev_b32_e32 v42, 16, v30
	v_cmp_ne_u16_e32 vcc, 0, v51
	v_mov_b32_e32 v45, 0
	v_mov_b32_e32 v50, 0
	s_and_saveexec_b64 s[2:3], vcc
	s_cbranch_execz .LBB574_29
; %bb.24:
	s_movk_i32 s10, 0x80
	v_cmp_ne_u16_e32 vcc, s10, v51
	v_bfrev_b32_e32 v50, 1
	s_and_saveexec_b64 s[10:11], vcc
	s_cbranch_execz .LBB574_28
; %bb.25:
	v_bfe_u32 v51, v30, 16, 7
	s_movk_i32 s12, 0x7f
	v_cmp_ne_u32_e32 vcc, s12, v51
	v_mov_b32_e32 v50, 0x7f800001
	s_and_saveexec_b64 s[12:13], vcc
	s_cbranch_execz .LBB574_27
; %bb.26:
	v_and_b32_e32 v50, 7, v42
	v_ffbh_u32_e32 v52, v50
	v_min_u32_e32 v55, 32, v52
	v_subrev_u32_e32 v52, 28, v55
	v_lshlrev_b64 v[52:53], v52, v[42:43]
	v_lshrrev_b32_e32 v54, 3, v51
	v_sub_u32_e32 v42, 29, v55
	v_and_b32_e32 v52, 7, v52
	v_cmp_gt_u32_e32 vcc, 8, v51
	v_mov_b32_e32 v51, 24
	v_cndmask_b32_e32 v42, v54, v42, vcc
	v_cndmask_b32_e32 v50, v50, v52, vcc
	v_lshlrev_b32_sdwa v51, v51, v30 dst_sel:DWORD dst_unused:UNUSED_PAD src0_sel:DWORD src1_sel:WORD_1
	v_bfrev_b32_e32 v52, 60
	v_lshlrev_b32_e32 v50, 20, v50
	v_and_b32_e32 v51, 0x80000000, v51
	v_lshl_add_u32 v42, v42, 23, v52
	v_or3_b32 v50, v51, v42, v50
.LBB574_27:
	s_or_b64 exec, exec, s[12:13]
.LBB574_28:
	s_or_b64 exec, exec, s[10:11]
.LBB574_29:
	s_or_b64 exec, exec, s[2:3]
	s_mov_b32 s2, 0xffffff
	v_cmp_lt_u32_e32 vcc, s2, v30
	s_and_saveexec_b64 s[2:3], vcc
	s_cbranch_execz .LBB574_35
; %bb.30:
	v_lshrrev_b32_e32 v42, 24, v30
	s_movk_i32 s10, 0x80
	v_cmp_ne_u32_e32 vcc, s10, v42
	v_bfrev_b32_e32 v45, 1
	s_and_saveexec_b64 s[10:11], vcc
	s_cbranch_execz .LBB574_34
; %bb.31:
	v_bfe_u32 v30, v30, 24, 7
	s_movk_i32 s12, 0x7f
	v_cmp_ne_u32_e32 vcc, s12, v30
	v_mov_b32_e32 v45, 0x7f800001
	s_and_saveexec_b64 s[12:13], vcc
	s_cbranch_execz .LBB574_33
; %bb.32:
	v_and_b32_e32 v45, 7, v42
	v_ffbh_u32_e32 v52, v45
	v_min_u32_e32 v54, 32, v52
	v_subrev_u32_e32 v52, 28, v54
	v_lshlrev_b64 v[52:53], v52, v[42:43]
	v_lshrrev_b32_e32 v51, 3, v30
	v_sub_u32_e32 v53, 29, v54
	v_and_b32_e32 v52, 7, v52
	v_cmp_gt_u32_e32 vcc, 8, v30
	v_cndmask_b32_e32 v30, v51, v53, vcc
	v_cndmask_b32_e32 v45, v45, v52, vcc
	v_lshlrev_b32_e32 v42, 24, v42
	v_bfrev_b32_e32 v51, 60
	v_lshlrev_b32_e32 v45, 20, v45
	v_and_b32_e32 v42, 0x80000000, v42
	v_lshl_add_u32 v30, v30, 23, v51
	v_or3_b32 v45, v42, v30, v45
.LBB574_33:
	s_or_b64 exec, exec, s[12:13]
.LBB574_34:
	s_or_b64 exec, exec, s[10:11]
.LBB574_35:
	s_or_b64 exec, exec, s[2:3]
	v_mov_b32_e32 v42, 0
	v_cmp_ne_u16_sdwa s[10:11], v31, v42 src0_sel:BYTE_0 src1_sel:DWORD
	v_mov_b32_e32 v51, 0
	s_and_saveexec_b64 s[2:3], s[10:11]
	s_cbranch_execz .LBB574_41
; %bb.36:
	s_movk_i32 s10, 0x80
	v_cmp_ne_u16_sdwa s[12:13], v31, s10 src0_sel:BYTE_0 src1_sel:DWORD
	v_bfrev_b32_e32 v51, 1
	s_and_saveexec_b64 s[10:11], s[12:13]
	s_cbranch_execz .LBB574_40
; %bb.37:
	s_movk_i32 s12, 0x7f
	v_and_b32_e32 v30, 0x7f, v31
	v_cmp_ne_u32_e32 vcc, s12, v30
	v_mov_b32_e32 v51, 0x7f800001
	s_and_saveexec_b64 s[12:13], vcc
	s_cbranch_execz .LBB574_39
; %bb.38:
	v_and_b32_e32 v51, 7, v31
	v_ffbh_u32_e32 v53, v51
	v_min_u32_e32 v55, 32, v53
	v_mov_b32_e32 v52, v31
	v_subrev_u32_e32 v53, 28, v55
	v_lshlrev_b64 v[52:53], v53, v[52:53]
	v_lshrrev_b32_e32 v54, 3, v30
	v_sub_u32_e32 v53, 29, v55
	v_and_b32_e32 v52, 7, v52
	v_cmp_gt_u32_e32 vcc, 8, v30
	v_cndmask_b32_e32 v30, v54, v53, vcc
	v_cndmask_b32_e32 v51, v51, v52, vcc
	v_lshlrev_b32_e32 v52, 24, v31
	v_bfrev_b32_e32 v53, 60
	v_lshlrev_b32_e32 v51, 20, v51
	v_and_b32_e32 v52, 0x80000000, v52
	v_lshl_add_u32 v30, v30, 23, v53
	v_or3_b32 v51, v52, v30, v51
.LBB574_39:
	s_or_b64 exec, exec, s[12:13]
.LBB574_40:
	s_or_b64 exec, exec, s[10:11]
.LBB574_41:
	s_or_b64 exec, exec, s[2:3]
	v_lshrrev_b16_e32 v30, 8, v31
	v_cmp_ne_u16_e32 vcc, 0, v30
	s_and_saveexec_b64 s[2:3], vcc
	s_cbranch_execz .LBB574_47
; %bb.42:
	s_movk_i32 s10, 0x80
	v_cmp_ne_u16_e32 vcc, s10, v30
	v_bfrev_b32_e32 v42, 1
	s_and_saveexec_b64 s[10:11], vcc
	s_cbranch_execz .LBB574_46
; %bb.43:
	s_movk_i32 s12, 0x7f
	v_and_b32_e32 v52, 0x7f, v30
	v_cmp_ne_u32_e32 vcc, s12, v52
	v_mov_b32_e32 v42, 0x7f800001
	s_and_saveexec_b64 s[12:13], vcc
	s_cbranch_execz .LBB574_45
; %bb.44:
	v_and_b32_e32 v42, 7, v30
	v_ffbh_u32_e32 v54, v42
	v_min_u32_e32 v56, 32, v54
	v_subrev_u32_e32 v54, 28, v56
	v_lshlrev_b64 v[54:55], v54, v[30:31]
	v_lshrrev_b32_e32 v53, 3, v52
	v_sub_u32_e32 v30, 29, v56
	v_and_b32_e32 v54, 7, v54
	v_cmp_gt_u32_e32 vcc, 8, v52
	v_cndmask_b32_e32 v30, v53, v30, vcc
	v_cndmask_b32_e32 v42, v42, v54, vcc
	v_lshlrev_b32_e32 v52, 16, v31
	v_bfrev_b32_e32 v53, 60
	v_lshlrev_b32_e32 v42, 20, v42
	v_and_b32_e32 v52, 0x80000000, v52
	v_lshl_add_u32 v30, v30, 23, v53
	v_or3_b32 v42, v52, v30, v42
.LBB574_45:
	s_or_b64 exec, exec, s[12:13]
.LBB574_46:
	s_or_b64 exec, exec, s[10:11]
.LBB574_47:
	s_or_b64 exec, exec, s[2:3]
	s_movk_i32 s2, 0xff
	v_and_b32_sdwa v54, v31, s2 dst_sel:DWORD dst_unused:UNUSED_PAD src0_sel:WORD_1 src1_sel:DWORD
	v_lshrrev_b32_e32 v30, 16, v31
	v_cmp_ne_u16_e32 vcc, 0, v54
	v_mov_b32_e32 v52, 0
	v_mov_b32_e32 v53, 0
	s_and_saveexec_b64 s[2:3], vcc
	s_cbranch_execz .LBB574_53
; %bb.48:
	s_movk_i32 s10, 0x80
	v_cmp_ne_u16_e32 vcc, s10, v54
	v_bfrev_b32_e32 v53, 1
	s_and_saveexec_b64 s[10:11], vcc
	s_cbranch_execz .LBB574_52
; %bb.49:
	v_bfe_u32 v54, v31, 16, 7
	s_movk_i32 s12, 0x7f
	v_cmp_ne_u32_e32 vcc, s12, v54
	v_mov_b32_e32 v53, 0x7f800001
	s_and_saveexec_b64 s[12:13], vcc
	s_cbranch_execz .LBB574_51
; %bb.50:
	v_and_b32_e32 v53, 7, v30
	v_ffbh_u32_e32 v56, v53
	v_min_u32_e32 v58, 32, v56
	v_subrev_u32_e32 v56, 28, v58
	v_lshlrev_b64 v[56:57], v56, v[30:31]
	v_lshrrev_b32_e32 v55, 3, v54
	v_sub_u32_e32 v30, 29, v58
	v_and_b32_e32 v56, 7, v56
	v_cmp_gt_u32_e32 vcc, 8, v54
	v_mov_b32_e32 v54, 24
	v_cndmask_b32_e32 v30, v55, v30, vcc
	v_cndmask_b32_e32 v53, v53, v56, vcc
	v_lshlrev_b32_sdwa v54, v54, v31 dst_sel:DWORD dst_unused:UNUSED_PAD src0_sel:DWORD src1_sel:WORD_1
	v_bfrev_b32_e32 v55, 60
	v_lshlrev_b32_e32 v53, 20, v53
	v_and_b32_e32 v54, 0x80000000, v54
	v_lshl_add_u32 v30, v30, 23, v55
	v_or3_b32 v53, v54, v30, v53
.LBB574_51:
	s_or_b64 exec, exec, s[12:13]
.LBB574_52:
	s_or_b64 exec, exec, s[10:11]
.LBB574_53:
	s_or_b64 exec, exec, s[2:3]
	s_mov_b32 s2, 0xffffff
	v_cmp_lt_u32_e32 vcc, s2, v31
	s_and_saveexec_b64 s[2:3], vcc
	s_cbranch_execz .LBB574_59
; %bb.54:
	v_lshrrev_b32_e32 v30, 24, v31
	s_movk_i32 s10, 0x80
	v_cmp_ne_u32_e32 vcc, s10, v30
	v_bfrev_b32_e32 v52, 1
	s_and_saveexec_b64 s[10:11], vcc
	s_cbranch_execz .LBB574_58
; %bb.55:
	v_bfe_u32 v31, v31, 24, 7
	s_movk_i32 s12, 0x7f
	v_cmp_ne_u32_e32 vcc, s12, v31
	v_mov_b32_e32 v52, 0x7f800001
	s_and_saveexec_b64 s[12:13], vcc
	s_cbranch_execz .LBB574_57
; %bb.56:
	v_and_b32_e32 v52, 7, v30
	v_ffbh_u32_e32 v54, v52
	v_min_u32_e32 v57, 32, v54
	v_subrev_u32_e32 v54, 28, v57
	v_lshlrev_b64 v[54:55], v54, v[30:31]
	v_lshrrev_b32_e32 v56, 3, v31
	v_sub_u32_e32 v55, 29, v57
	v_and_b32_e32 v54, 7, v54
	v_cmp_gt_u32_e32 vcc, 8, v31
	v_cndmask_b32_e32 v31, v56, v55, vcc
	v_cndmask_b32_e32 v52, v52, v54, vcc
	v_lshlrev_b32_e32 v30, 24, v30
	v_bfrev_b32_e32 v54, 60
	v_lshlrev_b32_e32 v52, 20, v52
	v_and_b32_e32 v30, 0x80000000, v30
	v_lshl_add_u32 v31, v31, 23, v54
	v_or3_b32 v52, v30, v31, v52
.LBB574_57:
	s_or_b64 exec, exec, s[12:13]
.LBB574_58:
	s_or_b64 exec, exec, s[10:11]
.LBB574_59:
	s_or_b64 exec, exec, s[2:3]
	v_cvt_pkrtz_f16_f32 v30, v44, v43
	v_cvt_pkrtz_f16_f32 v31, v50, v45
	;; [unrolled: 1-line block ×4, first 2 shown]
	v_mov_b32_e32 v51, 0
	s_waitcnt lgkmcnt(0)
	v_mfma_f32_16x16x16f16 v[54:57], v[30:31], v[26:27], 0
	v_mov_b32_e32 v31, 0
	v_cmp_ne_u16_sdwa s[10:11], v32, v31 src0_sel:BYTE_0 src1_sel:DWORD
	v_mfma_f32_16x16x16f16 v[42:45], v[42:43], v[28:29], v[54:57]
	s_and_saveexec_b64 s[2:3], s[10:11]
	s_cbranch_execz .LBB574_65
; %bb.60:
	s_movk_i32 s10, 0x80
	v_cmp_ne_u16_sdwa s[12:13], v32, s10 src0_sel:BYTE_0 src1_sel:DWORD
	v_bfrev_b32_e32 v51, 1
	s_and_saveexec_b64 s[10:11], s[12:13]
	s_cbranch_execz .LBB574_64
; %bb.61:
	s_movk_i32 s12, 0x7f
	v_and_b32_e32 v30, 0x7f, v32
	v_cmp_ne_u32_e32 vcc, s12, v30
	v_mov_b32_e32 v51, 0x7f800001
	s_and_saveexec_b64 s[12:13], vcc
	s_cbranch_execz .LBB574_63
; %bb.62:
	v_and_b32_e32 v52, 7, v32
	v_ffbh_u32_e32 v50, v52
	v_min_u32_e32 v54, 32, v50
	v_subrev_u32_e32 v50, 28, v54
	v_lshlrev_b64 v[50:51], v50, v[32:33]
	v_lshrrev_b32_e32 v53, 3, v30
	v_sub_u32_e32 v51, 29, v54
	v_and_b32_e32 v50, 7, v50
	v_cmp_gt_u32_e32 vcc, 8, v30
	v_cndmask_b32_e32 v30, v53, v51, vcc
	v_cndmask_b32_e32 v50, v52, v50, vcc
	v_lshlrev_b32_e32 v51, 24, v32
	v_bfrev_b32_e32 v52, 60
	v_lshlrev_b32_e32 v50, 20, v50
	v_and_b32_e32 v51, 0x80000000, v51
	v_lshl_add_u32 v30, v30, 23, v52
	v_or3_b32 v51, v51, v30, v50
.LBB574_63:
	s_or_b64 exec, exec, s[12:13]
.LBB574_64:
	s_or_b64 exec, exec, s[10:11]
.LBB574_65:
	s_or_b64 exec, exec, s[2:3]
	v_lshrrev_b16_e32 v30, 8, v32
	v_cmp_ne_u16_e32 vcc, 0, v30
	v_mov_b32_e32 v52, 0
	s_and_saveexec_b64 s[2:3], vcc
	s_cbranch_execz .LBB574_71
; %bb.66:
	s_movk_i32 s10, 0x80
	v_cmp_ne_u16_e32 vcc, s10, v30
	v_bfrev_b32_e32 v52, 1
	s_and_saveexec_b64 s[10:11], vcc
	s_cbranch_execz .LBB574_70
; %bb.67:
	s_movk_i32 s12, 0x7f
	v_and_b32_e32 v50, 0x7f, v30
	v_cmp_ne_u32_e32 vcc, s12, v50
	v_mov_b32_e32 v52, 0x7f800001
	s_and_saveexec_b64 s[12:13], vcc
	s_cbranch_execz .LBB574_69
; %bb.68:
	v_and_b32_e32 v54, 7, v30
	v_ffbh_u32_e32 v52, v54
	v_min_u32_e32 v56, 32, v52
	v_subrev_u32_e32 v52, 28, v56
	v_lshlrev_b64 v[52:53], v52, v[30:31]
	v_lshrrev_b32_e32 v55, 3, v50
	v_sub_u32_e32 v30, 29, v56
	v_and_b32_e32 v52, 7, v52
	v_cmp_gt_u32_e32 vcc, 8, v50
	v_cndmask_b32_e32 v30, v55, v30, vcc
	v_cndmask_b32_e32 v50, v54, v52, vcc
	v_lshlrev_b32_e32 v52, 16, v32
	v_bfrev_b32_e32 v53, 60
	v_lshlrev_b32_e32 v50, 20, v50
	v_and_b32_e32 v52, 0x80000000, v52
	v_lshl_add_u32 v30, v30, 23, v53
	v_or3_b32 v52, v52, v30, v50
.LBB574_69:
	s_or_b64 exec, exec, s[12:13]
.LBB574_70:
	s_or_b64 exec, exec, s[10:11]
.LBB574_71:
	s_or_b64 exec, exec, s[2:3]
	s_movk_i32 s2, 0xff
	v_and_b32_sdwa v50, v32, s2 dst_sel:DWORD dst_unused:UNUSED_PAD src0_sel:WORD_1 src1_sel:DWORD
	v_lshrrev_b32_e32 v30, 16, v32
	v_cmp_ne_u16_e32 vcc, 0, v50
	s_and_saveexec_b64 s[2:3], vcc
	s_cbranch_execz .LBB574_77
; %bb.72:
	s_movk_i32 s10, 0x80
	v_cmp_ne_u16_e32 vcc, s10, v50
	v_bfrev_b32_e32 v31, 1
	s_and_saveexec_b64 s[10:11], vcc
	s_cbranch_execz .LBB574_76
; %bb.73:
	v_bfe_u32 v50, v32, 16, 7
	s_movk_i32 s12, 0x7f
	v_cmp_ne_u32_e32 vcc, s12, v50
	v_mov_b32_e32 v31, 0x7f800001
	s_and_saveexec_b64 s[12:13], vcc
	s_cbranch_execz .LBB574_75
; %bb.74:
	v_and_b32_e32 v53, 7, v30
	v_ffbh_u32_e32 v31, v53
	v_min_u32_e32 v55, 32, v31
	v_subrev_u32_e32 v31, 28, v55
	v_lshlrev_b64 v[30:31], v31, v[30:31]
	v_lshrrev_b32_e32 v54, 3, v50
	v_sub_u32_e32 v31, 29, v55
	v_and_b32_e32 v30, 7, v30
	v_cmp_gt_u32_e32 vcc, 8, v50
	v_mov_b32_e32 v50, 24
	v_cndmask_b32_e32 v31, v54, v31, vcc
	v_cndmask_b32_e32 v30, v53, v30, vcc
	v_lshlrev_b32_sdwa v50, v50, v32 dst_sel:DWORD dst_unused:UNUSED_PAD src0_sel:DWORD src1_sel:WORD_1
	v_bfrev_b32_e32 v53, 60
	v_lshlrev_b32_e32 v30, 20, v30
	v_and_b32_e32 v50, 0x80000000, v50
	v_lshl_add_u32 v31, v31, 23, v53
	v_or3_b32 v31, v50, v31, v30
.LBB574_75:
	s_or_b64 exec, exec, s[12:13]
.LBB574_76:
	s_or_b64 exec, exec, s[10:11]
.LBB574_77:
	s_or_b64 exec, exec, s[2:3]
	s_mov_b32 s2, 0xffffff
	v_cmp_lt_u32_e32 vcc, s2, v32
	v_mov_b32_e32 v53, 0
	v_mov_b32_e32 v54, 0
	s_and_saveexec_b64 s[2:3], vcc
	s_cbranch_execz .LBB574_83
; %bb.78:
	v_lshrrev_b32_e32 v30, 24, v32
	s_movk_i32 s10, 0x80
	v_cmp_ne_u32_e32 vcc, s10, v30
	v_bfrev_b32_e32 v54, 1
	s_and_saveexec_b64 s[10:11], vcc
	s_cbranch_execz .LBB574_82
; %bb.79:
	v_bfe_u32 v32, v32, 24, 7
	s_movk_i32 s12, 0x7f
	v_cmp_ne_u32_e32 vcc, s12, v32
	v_mov_b32_e32 v54, 0x7f800001
	s_and_saveexec_b64 s[12:13], vcc
	s_cbranch_execz .LBB574_81
; %bb.80:
	v_and_b32_e32 v50, 7, v30
	v_ffbh_u32_e32 v54, v50
	v_min_u32_e32 v57, 32, v54
	v_subrev_u32_e32 v54, 28, v57
	v_lshlrev_b64 v[54:55], v54, v[30:31]
	v_lshrrev_b32_e32 v56, 3, v32
	v_sub_u32_e32 v55, 29, v57
	v_and_b32_e32 v54, 7, v54
	v_cmp_gt_u32_e32 vcc, 8, v32
	v_cndmask_b32_e32 v32, v56, v55, vcc
	v_cndmask_b32_e32 v50, v50, v54, vcc
	v_lshlrev_b32_e32 v30, 24, v30
	v_bfrev_b32_e32 v54, 60
	v_lshlrev_b32_e32 v50, 20, v50
	v_and_b32_e32 v30, 0x80000000, v30
	v_lshl_add_u32 v32, v32, 23, v54
	v_or3_b32 v54, v30, v32, v50
.LBB574_81:
	s_or_b64 exec, exec, s[12:13]
.LBB574_82:
	s_or_b64 exec, exec, s[10:11]
.LBB574_83:
	s_or_b64 exec, exec, s[2:3]
	v_cmp_ne_u16_sdwa s[10:11], v33, v53 src0_sel:BYTE_0 src1_sel:DWORD
	s_and_saveexec_b64 s[2:3], s[10:11]
	s_cbranch_execz .LBB574_89
; %bb.84:
	s_movk_i32 s10, 0x80
	v_cmp_ne_u16_sdwa s[12:13], v33, s10 src0_sel:BYTE_0 src1_sel:DWORD
	v_bfrev_b32_e32 v53, 1
	s_and_saveexec_b64 s[10:11], s[12:13]
	s_cbranch_execz .LBB574_88
; %bb.85:
	s_movk_i32 s12, 0x7f
	v_and_b32_e32 v30, 0x7f, v33
	v_cmp_ne_u32_e32 vcc, s12, v30
	v_mov_b32_e32 v53, 0x7f800001
	s_and_saveexec_b64 s[12:13], vcc
	s_cbranch_execz .LBB574_87
; %bb.86:
	v_and_b32_e32 v50, 7, v33
	v_ffbh_u32_e32 v55, v50
	v_min_u32_e32 v55, 32, v55
	v_mov_b32_e32 v32, v33
	v_subrev_u32_e32 v56, 28, v55
	v_lshlrev_b64 v[56:57], v56, v[32:33]
	v_lshrrev_b32_e32 v53, 3, v30
	v_sub_u32_e32 v32, 29, v55
	v_and_b32_e32 v55, 7, v56
	v_cmp_gt_u32_e32 vcc, 8, v30
	v_cndmask_b32_e32 v30, v53, v32, vcc
	v_cndmask_b32_e32 v32, v50, v55, vcc
	v_lshlrev_b32_e32 v50, 24, v33
	v_bfrev_b32_e32 v53, 60
	v_lshlrev_b32_e32 v32, 20, v32
	v_and_b32_e32 v50, 0x80000000, v50
	v_lshl_add_u32 v30, v30, 23, v53
	v_or3_b32 v53, v50, v30, v32
.LBB574_87:
	s_or_b64 exec, exec, s[12:13]
.LBB574_88:
	s_or_b64 exec, exec, s[10:11]
.LBB574_89:
	s_or_b64 exec, exec, s[2:3]
	v_lshrrev_b16_e32 v30, 8, v33
	v_cmp_ne_u16_e32 vcc, 0, v30
	v_mov_b32_e32 v32, 0
	v_mov_b32_e32 v55, 0
	s_and_saveexec_b64 s[2:3], vcc
	s_cbranch_execz .LBB574_95
; %bb.90:
	s_movk_i32 s10, 0x80
	v_cmp_ne_u16_e32 vcc, s10, v30
	v_bfrev_b32_e32 v55, 1
	s_and_saveexec_b64 s[10:11], vcc
	s_cbranch_execz .LBB574_94
; %bb.91:
	s_movk_i32 s12, 0x7f
	v_and_b32_e32 v50, 0x7f, v30
	v_cmp_ne_u32_e32 vcc, s12, v50
	v_mov_b32_e32 v55, 0x7f800001
	s_and_saveexec_b64 s[12:13], vcc
	s_cbranch_execz .LBB574_93
; %bb.92:
	v_and_b32_e32 v55, 7, v30
	v_ffbh_u32_e32 v56, v55
	v_min_u32_e32 v59, 32, v56
	v_subrev_u32_e32 v56, 28, v59
	v_lshlrev_b64 v[56:57], v56, v[30:31]
	v_lshrrev_b32_e32 v58, 3, v50
	v_sub_u32_e32 v30, 29, v59
	v_and_b32_e32 v56, 7, v56
	v_cmp_gt_u32_e32 vcc, 8, v50
	v_cndmask_b32_e32 v30, v58, v30, vcc
	v_cndmask_b32_e32 v50, v55, v56, vcc
	v_lshlrev_b32_e32 v55, 16, v33
	v_bfrev_b32_e32 v56, 60
	v_lshlrev_b32_e32 v50, 20, v50
	v_and_b32_e32 v55, 0x80000000, v55
	v_lshl_add_u32 v30, v30, 23, v56
	v_or3_b32 v55, v55, v30, v50
.LBB574_93:
	s_or_b64 exec, exec, s[12:13]
.LBB574_94:
	s_or_b64 exec, exec, s[10:11]
.LBB574_95:
	s_or_b64 exec, exec, s[2:3]
	s_movk_i32 s2, 0xff
	v_and_b32_sdwa v50, v33, s2 dst_sel:DWORD dst_unused:UNUSED_PAD src0_sel:WORD_1 src1_sel:DWORD
	v_lshrrev_b32_e32 v30, 16, v33
	v_cmp_ne_u16_e32 vcc, 0, v50
	s_and_saveexec_b64 s[2:3], vcc
	s_cbranch_execz .LBB574_101
; %bb.96:
	s_movk_i32 s10, 0x80
	v_cmp_ne_u16_e32 vcc, s10, v50
	v_bfrev_b32_e32 v32, 1
	s_and_saveexec_b64 s[10:11], vcc
	s_cbranch_execz .LBB574_100
; %bb.97:
	v_bfe_u32 v50, v33, 16, 7
	s_movk_i32 s12, 0x7f
	v_cmp_ne_u32_e32 vcc, s12, v50
	v_mov_b32_e32 v32, 0x7f800001
	s_and_saveexec_b64 s[12:13], vcc
	s_cbranch_execz .LBB574_99
; %bb.98:
	v_and_b32_e32 v32, 7, v30
	v_ffbh_u32_e32 v56, v32
	v_min_u32_e32 v59, 32, v56
	v_subrev_u32_e32 v56, 28, v59
	v_lshlrev_b64 v[56:57], v56, v[30:31]
	v_lshrrev_b32_e32 v58, 3, v50
	v_sub_u32_e32 v30, 29, v59
	v_and_b32_e32 v56, 7, v56
	v_cmp_gt_u32_e32 vcc, 8, v50
	v_mov_b32_e32 v50, 24
	v_cndmask_b32_e32 v30, v58, v30, vcc
	v_cndmask_b32_e32 v32, v32, v56, vcc
	v_lshlrev_b32_sdwa v50, v50, v33 dst_sel:DWORD dst_unused:UNUSED_PAD src0_sel:DWORD src1_sel:WORD_1
	v_bfrev_b32_e32 v56, 60
	v_lshlrev_b32_e32 v32, 20, v32
	v_and_b32_e32 v50, 0x80000000, v50
	v_lshl_add_u32 v30, v30, 23, v56
	v_or3_b32 v32, v50, v30, v32
.LBB574_99:
	s_or_b64 exec, exec, s[12:13]
.LBB574_100:
	s_or_b64 exec, exec, s[10:11]
.LBB574_101:
	s_or_b64 exec, exec, s[2:3]
	s_mov_b32 s2, 0xffffff
	v_cmp_lt_u32_e32 vcc, s2, v33
	v_mov_b32_e32 v50, 0
	v_mov_b32_e32 v56, 0
	s_and_saveexec_b64 s[2:3], vcc
	s_cbranch_execz .LBB574_107
; %bb.102:
	v_lshrrev_b32_e32 v30, 24, v33
	s_movk_i32 s10, 0x80
	v_cmp_ne_u32_e32 vcc, s10, v30
	v_bfrev_b32_e32 v56, 1
	s_and_saveexec_b64 s[10:11], vcc
	s_cbranch_execz .LBB574_106
; %bb.103:
	v_bfe_u32 v33, v33, 24, 7
	s_movk_i32 s12, 0x7f
	v_cmp_ne_u32_e32 vcc, s12, v33
	v_mov_b32_e32 v56, 0x7f800001
	s_and_saveexec_b64 s[12:13], vcc
	s_cbranch_execz .LBB574_105
; %bb.104:
	v_and_b32_e32 v58, 7, v30
	v_ffbh_u32_e32 v56, v58
	v_min_u32_e32 v60, 32, v56
	v_subrev_u32_e32 v56, 28, v60
	v_lshlrev_b64 v[56:57], v56, v[30:31]
	v_lshrrev_b32_e32 v59, 3, v33
	v_sub_u32_e32 v57, 29, v60
	v_and_b32_e32 v56, 7, v56
	v_cmp_gt_u32_e32 vcc, 8, v33
	v_cndmask_b32_e32 v33, v59, v57, vcc
	v_cndmask_b32_e32 v56, v58, v56, vcc
	v_lshlrev_b32_e32 v30, 24, v30
	v_bfrev_b32_e32 v57, 60
	v_lshlrev_b32_e32 v56, 20, v56
	v_and_b32_e32 v30, 0x80000000, v30
	v_lshl_add_u32 v33, v33, 23, v57
	v_or3_b32 v56, v30, v33, v56
.LBB574_105:
	s_or_b64 exec, exec, s[12:13]
.LBB574_106:
	s_or_b64 exec, exec, s[10:11]
.LBB574_107:
	s_or_b64 exec, exec, s[2:3]
	v_cvt_pkrtz_f16_f32 v30, v51, v52
	v_cvt_pkrtz_f16_f32 v31, v31, v54
	s_waitcnt vmcnt(6)
	v_cmp_ne_u16_sdwa s[10:11], v38, v50 src0_sel:BYTE_0 src1_sel:DWORD
	v_mfma_f32_16x16x16f16 v[42:45], v[30:31], v[18:19], v[42:45]
	v_cvt_pkrtz_f16_f32 v30, v53, v55
	v_cvt_pkrtz_f16_f32 v31, v32, v56
	s_nop 1
	v_mfma_f32_16x16x16f16 v[30:33], v[30:31], v[20:21], v[42:45]
	s_and_saveexec_b64 s[2:3], s[10:11]
	s_cbranch_execz .LBB574_113
; %bb.108:
	s_movk_i32 s10, 0x80
	v_cmp_ne_u16_sdwa s[12:13], v38, s10 src0_sel:BYTE_0 src1_sel:DWORD
	v_bfrev_b32_e32 v50, 1
	s_and_saveexec_b64 s[10:11], s[12:13]
	s_cbranch_execz .LBB574_112
; %bb.109:
	s_movk_i32 s12, 0x7f
	v_and_b32_e32 v42, 0x7f, v38
	v_cmp_ne_u32_e32 vcc, s12, v42
	v_mov_b32_e32 v50, 0x7f800001
	s_and_saveexec_b64 s[12:13], vcc
	s_cbranch_execz .LBB574_111
; %bb.110:
	v_and_b32_e32 v43, 7, v38
	v_ffbh_u32_e32 v44, v43
	v_min_u32_e32 v51, 32, v44
	v_subrev_u32_e32 v44, 28, v51
	v_lshlrev_b64 v[44:45], v44, v[38:39]
	v_lshrrev_b32_e32 v50, 3, v42
	v_sub_u32_e32 v45, 29, v51
	v_and_b32_e32 v44, 7, v44
	v_cmp_gt_u32_e32 vcc, 8, v42
	v_cndmask_b32_e32 v42, v50, v45, vcc
	v_cndmask_b32_e32 v43, v43, v44, vcc
	v_lshlrev_b32_e32 v44, 24, v38
	v_bfrev_b32_e32 v45, 60
	v_lshlrev_b32_e32 v43, 20, v43
	v_and_b32_e32 v44, 0x80000000, v44
	v_lshl_add_u32 v42, v42, 23, v45
	v_or3_b32 v50, v44, v42, v43
.LBB574_111:
	s_or_b64 exec, exec, s[12:13]
.LBB574_112:
	s_or_b64 exec, exec, s[10:11]
.LBB574_113:
	s_or_b64 exec, exec, s[2:3]
	s_nop 3
	v_lshrrev_b16_e32 v42, 8, v38
	v_cmp_ne_u16_e32 vcc, 0, v42
	v_mov_b32_e32 v43, 0
	v_mov_b32_e32 v44, 0
	s_and_saveexec_b64 s[2:3], vcc
	s_cbranch_execz .LBB574_119
; %bb.114:
	s_movk_i32 s10, 0x80
	v_cmp_ne_u16_e32 vcc, s10, v42
	v_bfrev_b32_e32 v44, 1
	s_and_saveexec_b64 s[10:11], vcc
	s_cbranch_execz .LBB574_118
; %bb.115:
	s_movk_i32 s12, 0x7f
	v_and_b32_e32 v45, 0x7f, v42
	v_cmp_ne_u32_e32 vcc, s12, v45
	v_mov_b32_e32 v44, 0x7f800001
	s_and_saveexec_b64 s[12:13], vcc
	s_cbranch_execz .LBB574_117
; %bb.116:
	v_and_b32_e32 v44, 7, v42
	v_ffbh_u32_e32 v52, v44
	v_min_u32_e32 v54, 32, v52
	v_subrev_u32_e32 v52, 28, v54
	v_lshlrev_b64 v[52:53], v52, v[42:43]
	v_lshrrev_b32_e32 v51, 3, v45
	v_sub_u32_e32 v42, 29, v54
	v_and_b32_e32 v52, 7, v52
	v_cmp_gt_u32_e32 vcc, 8, v45
	v_cndmask_b32_e32 v42, v51, v42, vcc
	v_cndmask_b32_e32 v44, v44, v52, vcc
	v_lshlrev_b32_e32 v45, 16, v38
	v_bfrev_b32_e32 v51, 60
	v_lshlrev_b32_e32 v44, 20, v44
	v_and_b32_e32 v45, 0x80000000, v45
	v_lshl_add_u32 v42, v42, 23, v51
	v_or3_b32 v44, v45, v42, v44
.LBB574_117:
	s_or_b64 exec, exec, s[12:13]
.LBB574_118:
	s_or_b64 exec, exec, s[10:11]
.LBB574_119:
	s_or_b64 exec, exec, s[2:3]
	s_movk_i32 s2, 0xff
	v_and_b32_sdwa v45, v38, s2 dst_sel:DWORD dst_unused:UNUSED_PAD src0_sel:WORD_1 src1_sel:DWORD
	v_lshrrev_b32_e32 v42, 16, v38
	v_cmp_ne_u16_e32 vcc, 0, v45
	s_and_saveexec_b64 s[2:3], vcc
	s_cbranch_execz .LBB574_125
; %bb.120:
	s_movk_i32 s10, 0x80
	v_cmp_ne_u16_e32 vcc, s10, v45
	v_bfrev_b32_e32 v43, 1
	s_and_saveexec_b64 s[10:11], vcc
	s_cbranch_execz .LBB574_124
; %bb.121:
	v_bfe_u32 v45, v38, 16, 7
	s_movk_i32 s12, 0x7f
	v_cmp_ne_u32_e32 vcc, s12, v45
	v_mov_b32_e32 v43, 0x7f800001
	s_and_saveexec_b64 s[12:13], vcc
	s_cbranch_execz .LBB574_123
; %bb.122:
	v_and_b32_e32 v51, 7, v42
	v_ffbh_u32_e32 v43, v51
	v_min_u32_e32 v53, 32, v43
	v_subrev_u32_e32 v43, 28, v53
	v_lshlrev_b64 v[42:43], v43, v[42:43]
	v_lshrrev_b32_e32 v52, 3, v45
	v_sub_u32_e32 v43, 29, v53
	v_and_b32_e32 v42, 7, v42
	v_cmp_gt_u32_e32 vcc, 8, v45
	v_mov_b32_e32 v45, 24
	v_cndmask_b32_e32 v43, v52, v43, vcc
	v_cndmask_b32_e32 v42, v51, v42, vcc
	v_lshlrev_b32_sdwa v45, v45, v38 dst_sel:DWORD dst_unused:UNUSED_PAD src0_sel:DWORD src1_sel:WORD_1
	v_bfrev_b32_e32 v51, 60
	v_lshlrev_b32_e32 v42, 20, v42
	v_and_b32_e32 v45, 0x80000000, v45
	v_lshl_add_u32 v43, v43, 23, v51
	v_or3_b32 v43, v45, v43, v42
.LBB574_123:
	s_or_b64 exec, exec, s[12:13]
.LBB574_124:
	s_or_b64 exec, exec, s[10:11]
.LBB574_125:
	s_or_b64 exec, exec, s[2:3]
	s_mov_b32 s2, 0xffffff
	v_cmp_lt_u32_e32 vcc, s2, v38
	v_mov_b32_e32 v45, 0
	v_mov_b32_e32 v52, 0
	s_and_saveexec_b64 s[2:3], vcc
	s_cbranch_execz .LBB574_131
; %bb.126:
	v_lshrrev_b32_e32 v42, 24, v38
	s_movk_i32 s10, 0x80
	v_cmp_ne_u32_e32 vcc, s10, v42
	v_bfrev_b32_e32 v52, 1
	s_and_saveexec_b64 s[10:11], vcc
	s_cbranch_execz .LBB574_130
; %bb.127:
	v_bfe_u32 v38, v38, 24, 7
	s_movk_i32 s12, 0x7f
	v_cmp_ne_u32_e32 vcc, s12, v38
	v_mov_b32_e32 v52, 0x7f800001
	s_and_saveexec_b64 s[12:13], vcc
	s_cbranch_execz .LBB574_129
; %bb.128:
	v_and_b32_e32 v51, 7, v42
	v_ffbh_u32_e32 v52, v51
	v_min_u32_e32 v55, 32, v52
	v_subrev_u32_e32 v52, 28, v55
	v_lshlrev_b64 v[52:53], v52, v[42:43]
	v_lshrrev_b32_e32 v54, 3, v38
	v_sub_u32_e32 v53, 29, v55
	v_and_b32_e32 v52, 7, v52
	v_cmp_gt_u32_e32 vcc, 8, v38
	v_cndmask_b32_e32 v38, v54, v53, vcc
	v_cndmask_b32_e32 v51, v51, v52, vcc
	v_lshlrev_b32_e32 v42, 24, v42
	v_bfrev_b32_e32 v52, 60
	v_lshlrev_b32_e32 v51, 20, v51
	v_and_b32_e32 v42, 0x80000000, v42
	v_lshl_add_u32 v38, v38, 23, v52
	v_or3_b32 v52, v42, v38, v51
.LBB574_129:
	s_or_b64 exec, exec, s[12:13]
.LBB574_130:
	s_or_b64 exec, exec, s[10:11]
.LBB574_131:
	s_or_b64 exec, exec, s[2:3]
	v_cmp_ne_u16_sdwa s[10:11], v39, v45 src0_sel:BYTE_0 src1_sel:DWORD
	s_and_saveexec_b64 s[2:3], s[10:11]
	s_cbranch_execz .LBB574_137
; %bb.132:
	s_movk_i32 s10, 0x80
	v_cmp_ne_u16_sdwa s[12:13], v39, s10 src0_sel:BYTE_0 src1_sel:DWORD
	v_bfrev_b32_e32 v45, 1
	s_and_saveexec_b64 s[10:11], s[12:13]
	s_cbranch_execz .LBB574_136
; %bb.133:
	s_movk_i32 s12, 0x7f
	v_and_b32_e32 v38, 0x7f, v39
	v_cmp_ne_u32_e32 vcc, s12, v38
	v_mov_b32_e32 v45, 0x7f800001
	s_and_saveexec_b64 s[12:13], vcc
	s_cbranch_execz .LBB574_135
; %bb.134:
	v_and_b32_e32 v45, 7, v39
	v_ffbh_u32_e32 v53, v45
	v_min_u32_e32 v53, 32, v53
	v_mov_b32_e32 v42, v39
	v_subrev_u32_e32 v54, 28, v53
	v_lshlrev_b64 v[54:55], v54, v[42:43]
	v_lshrrev_b32_e32 v51, 3, v38
	v_sub_u32_e32 v42, 29, v53
	v_and_b32_e32 v53, 7, v54
	v_cmp_gt_u32_e32 vcc, 8, v38
	v_cndmask_b32_e32 v38, v51, v42, vcc
	v_cndmask_b32_e32 v42, v45, v53, vcc
	v_lshlrev_b32_e32 v45, 24, v39
	v_bfrev_b32_e32 v51, 60
	v_lshlrev_b32_e32 v42, 20, v42
	v_and_b32_e32 v45, 0x80000000, v45
	v_lshl_add_u32 v38, v38, 23, v51
	v_or3_b32 v45, v45, v38, v42
.LBB574_135:
	s_or_b64 exec, exec, s[12:13]
.LBB574_136:
	s_or_b64 exec, exec, s[10:11]
.LBB574_137:
	s_or_b64 exec, exec, s[2:3]
	v_lshrrev_b16_e32 v38, 8, v39
	v_cmp_ne_u16_e32 vcc, 0, v38
	v_mov_b32_e32 v42, 0
	v_mov_b32_e32 v53, 0
	s_and_saveexec_b64 s[2:3], vcc
	s_cbranch_execz .LBB574_143
; %bb.138:
	s_movk_i32 s10, 0x80
	v_cmp_ne_u16_e32 vcc, s10, v38
	v_bfrev_b32_e32 v53, 1
	s_and_saveexec_b64 s[10:11], vcc
	s_cbranch_execz .LBB574_142
; %bb.139:
	s_movk_i32 s12, 0x7f
	v_and_b32_e32 v51, 0x7f, v38
	v_cmp_ne_u32_e32 vcc, s12, v51
	v_mov_b32_e32 v53, 0x7f800001
	s_and_saveexec_b64 s[12:13], vcc
	s_cbranch_execz .LBB574_141
; %bb.140:
	v_and_b32_e32 v53, 7, v38
	v_ffbh_u32_e32 v54, v53
	v_min_u32_e32 v57, 32, v54
	v_subrev_u32_e32 v54, 28, v57
	v_lshlrev_b64 v[54:55], v54, v[38:39]
	v_lshrrev_b32_e32 v56, 3, v51
	v_sub_u32_e32 v38, 29, v57
	v_and_b32_e32 v54, 7, v54
	v_cmp_gt_u32_e32 vcc, 8, v51
	v_cndmask_b32_e32 v38, v56, v38, vcc
	v_cndmask_b32_e32 v51, v53, v54, vcc
	v_lshlrev_b32_e32 v53, 16, v39
	v_bfrev_b32_e32 v54, 60
	v_lshlrev_b32_e32 v51, 20, v51
	v_and_b32_e32 v53, 0x80000000, v53
	v_lshl_add_u32 v38, v38, 23, v54
	v_or3_b32 v53, v53, v38, v51
.LBB574_141:
	s_or_b64 exec, exec, s[12:13]
.LBB574_142:
	s_or_b64 exec, exec, s[10:11]
.LBB574_143:
	s_or_b64 exec, exec, s[2:3]
	s_movk_i32 s2, 0xff
	v_and_b32_sdwa v51, v39, s2 dst_sel:DWORD dst_unused:UNUSED_PAD src0_sel:WORD_1 src1_sel:DWORD
	v_lshrrev_b32_e32 v38, 16, v39
	v_cmp_ne_u16_e32 vcc, 0, v51
	s_and_saveexec_b64 s[2:3], vcc
	s_cbranch_execz .LBB574_149
; %bb.144:
	s_movk_i32 s10, 0x80
	v_cmp_ne_u16_e32 vcc, s10, v51
	v_bfrev_b32_e32 v42, 1
	s_and_saveexec_b64 s[10:11], vcc
	s_cbranch_execz .LBB574_148
; %bb.145:
	v_bfe_u32 v51, v39, 16, 7
	s_movk_i32 s12, 0x7f
	v_cmp_ne_u32_e32 vcc, s12, v51
	v_mov_b32_e32 v42, 0x7f800001
	s_and_saveexec_b64 s[12:13], vcc
	s_cbranch_execz .LBB574_147
; %bb.146:
	v_and_b32_e32 v42, 7, v38
	v_ffbh_u32_e32 v54, v42
	v_min_u32_e32 v57, 32, v54
	v_subrev_u32_e32 v54, 28, v57
	v_lshlrev_b64 v[54:55], v54, v[38:39]
	v_lshrrev_b32_e32 v56, 3, v51
	v_sub_u32_e32 v38, 29, v57
	v_and_b32_e32 v54, 7, v54
	v_cmp_gt_u32_e32 vcc, 8, v51
	v_mov_b32_e32 v51, 24
	v_cndmask_b32_e32 v38, v56, v38, vcc
	v_cndmask_b32_e32 v42, v42, v54, vcc
	v_lshlrev_b32_sdwa v51, v51, v39 dst_sel:DWORD dst_unused:UNUSED_PAD src0_sel:DWORD src1_sel:WORD_1
	v_bfrev_b32_e32 v54, 60
	v_lshlrev_b32_e32 v42, 20, v42
	v_and_b32_e32 v51, 0x80000000, v51
	v_lshl_add_u32 v38, v38, 23, v54
	v_or3_b32 v42, v51, v38, v42
.LBB574_147:
	s_or_b64 exec, exec, s[12:13]
.LBB574_148:
	s_or_b64 exec, exec, s[10:11]
.LBB574_149:
	s_or_b64 exec, exec, s[2:3]
	s_mov_b32 s2, 0xffffff
	v_cmp_lt_u32_e32 vcc, s2, v39
	v_mov_b32_e32 v51, 0
	v_mov_b32_e32 v54, 0
	s_and_saveexec_b64 s[2:3], vcc
	s_cbranch_execz .LBB574_155
; %bb.150:
	v_lshrrev_b32_e32 v38, 24, v39
	s_movk_i32 s10, 0x80
	v_cmp_ne_u32_e32 vcc, s10, v38
	v_bfrev_b32_e32 v54, 1
	s_and_saveexec_b64 s[10:11], vcc
	s_cbranch_execz .LBB574_154
; %bb.151:
	v_bfe_u32 v39, v39, 24, 7
	s_movk_i32 s12, 0x7f
	v_cmp_ne_u32_e32 vcc, s12, v39
	v_mov_b32_e32 v54, 0x7f800001
	s_and_saveexec_b64 s[12:13], vcc
	s_cbranch_execz .LBB574_153
; %bb.152:
	v_and_b32_e32 v56, 7, v38
	v_ffbh_u32_e32 v54, v56
	v_min_u32_e32 v58, 32, v54
	v_subrev_u32_e32 v54, 28, v58
	v_lshlrev_b64 v[54:55], v54, v[38:39]
	v_lshrrev_b32_e32 v57, 3, v39
	v_sub_u32_e32 v55, 29, v58
	v_and_b32_e32 v54, 7, v54
	v_cmp_gt_u32_e32 vcc, 8, v39
	v_cndmask_b32_e32 v39, v57, v55, vcc
	v_cndmask_b32_e32 v54, v56, v54, vcc
	v_lshlrev_b32_e32 v38, 24, v38
	v_bfrev_b32_e32 v55, 60
	v_lshlrev_b32_e32 v54, 20, v54
	v_and_b32_e32 v38, 0x80000000, v38
	v_lshl_add_u32 v39, v39, 23, v55
	v_or3_b32 v54, v38, v39, v54
.LBB574_153:
	s_or_b64 exec, exec, s[12:13]
.LBB574_154:
	s_or_b64 exec, exec, s[10:11]
.LBB574_155:
	s_or_b64 exec, exec, s[2:3]
	v_cvt_pkrtz_f16_f32 v38, v50, v44
	v_cvt_pkrtz_f16_f32 v39, v43, v52
	v_cmp_ne_u16_sdwa s[10:11], v40, v51 src0_sel:BYTE_0 src1_sel:DWORD
	s_nop 0
	v_mfma_f32_16x16x16f16 v[56:59], v[38:39], v[26:27], 0
	v_cvt_pkrtz_f16_f32 v38, v45, v53
	v_cvt_pkrtz_f16_f32 v39, v42, v54
	s_nop 1
	v_mfma_f32_16x16x16f16 v[42:45], v[38:39], v[28:29], v[56:59]
	s_and_saveexec_b64 s[2:3], s[10:11]
	s_cbranch_execz .LBB574_161
; %bb.156:
	s_movk_i32 s10, 0x80
	v_cmp_ne_u16_sdwa s[12:13], v40, s10 src0_sel:BYTE_0 src1_sel:DWORD
	v_bfrev_b32_e32 v51, 1
	s_and_saveexec_b64 s[10:11], s[12:13]
	s_cbranch_execz .LBB574_160
; %bb.157:
	s_movk_i32 s12, 0x7f
	v_and_b32_e32 v38, 0x7f, v40
	v_cmp_ne_u32_e32 vcc, s12, v38
	v_mov_b32_e32 v51, 0x7f800001
	s_and_saveexec_b64 s[12:13], vcc
	s_cbranch_execz .LBB574_159
; %bb.158:
	v_and_b32_e32 v39, 7, v40
	v_ffbh_u32_e32 v50, v39
	v_min_u32_e32 v53, 32, v50
	v_subrev_u32_e32 v50, 28, v53
	v_lshlrev_b64 v[50:51], v50, v[40:41]
	v_lshrrev_b32_e32 v52, 3, v38
	v_sub_u32_e32 v51, 29, v53
	v_and_b32_e32 v50, 7, v50
	v_cmp_gt_u32_e32 vcc, 8, v38
	v_cndmask_b32_e32 v38, v52, v51, vcc
	v_cndmask_b32_e32 v39, v39, v50, vcc
	v_lshlrev_b32_e32 v50, 24, v40
	v_bfrev_b32_e32 v51, 60
	v_lshlrev_b32_e32 v39, 20, v39
	v_and_b32_e32 v50, 0x80000000, v50
	v_lshl_add_u32 v38, v38, 23, v51
	v_or3_b32 v51, v50, v38, v39
.LBB574_159:
	s_or_b64 exec, exec, s[12:13]
.LBB574_160:
	s_or_b64 exec, exec, s[10:11]
.LBB574_161:
	s_or_b64 exec, exec, s[2:3]
	v_lshrrev_b16_e32 v38, 8, v40
	v_cmp_ne_u16_e32 vcc, 0, v38
	v_mov_b32_e32 v39, 0
	v_mov_b32_e32 v52, 0
	s_and_saveexec_b64 s[2:3], vcc
	s_cbranch_execz .LBB574_167
; %bb.162:
	s_movk_i32 s10, 0x80
	v_cmp_ne_u16_e32 vcc, s10, v38
	v_bfrev_b32_e32 v52, 1
	s_and_saveexec_b64 s[10:11], vcc
	s_cbranch_execz .LBB574_166
; %bb.163:
	s_movk_i32 s12, 0x7f
	v_and_b32_e32 v50, 0x7f, v38
	v_cmp_ne_u32_e32 vcc, s12, v50
	v_mov_b32_e32 v52, 0x7f800001
	s_and_saveexec_b64 s[12:13], vcc
	s_cbranch_execz .LBB574_165
; %bb.164:
	v_and_b32_e32 v54, 7, v38
	v_ffbh_u32_e32 v52, v54
	v_min_u32_e32 v56, 32, v52
	v_subrev_u32_e32 v52, 28, v56
	v_lshlrev_b64 v[52:53], v52, v[38:39]
	v_lshrrev_b32_e32 v55, 3, v50
	v_sub_u32_e32 v38, 29, v56
	v_and_b32_e32 v52, 7, v52
	v_cmp_gt_u32_e32 vcc, 8, v50
	v_cndmask_b32_e32 v38, v55, v38, vcc
	v_cndmask_b32_e32 v50, v54, v52, vcc
	v_lshlrev_b32_e32 v52, 16, v40
	v_bfrev_b32_e32 v53, 60
	v_lshlrev_b32_e32 v50, 20, v50
	v_and_b32_e32 v52, 0x80000000, v52
	v_lshl_add_u32 v38, v38, 23, v53
	v_or3_b32 v52, v52, v38, v50
.LBB574_165:
	s_or_b64 exec, exec, s[12:13]
.LBB574_166:
	s_or_b64 exec, exec, s[10:11]
.LBB574_167:
	s_or_b64 exec, exec, s[2:3]
	s_movk_i32 s2, 0xff
	v_and_b32_sdwa v50, v40, s2 dst_sel:DWORD dst_unused:UNUSED_PAD src0_sel:WORD_1 src1_sel:DWORD
	v_lshrrev_b32_e32 v38, 16, v40
	v_cmp_ne_u16_e32 vcc, 0, v50
	s_and_saveexec_b64 s[2:3], vcc
	s_cbranch_execz .LBB574_173
; %bb.168:
	s_movk_i32 s10, 0x80
	v_cmp_ne_u16_e32 vcc, s10, v50
	v_bfrev_b32_e32 v39, 1
	s_and_saveexec_b64 s[10:11], vcc
	s_cbranch_execz .LBB574_172
; %bb.169:
	v_bfe_u32 v50, v40, 16, 7
	s_movk_i32 s12, 0x7f
	v_cmp_ne_u32_e32 vcc, s12, v50
	v_mov_b32_e32 v39, 0x7f800001
	s_and_saveexec_b64 s[12:13], vcc
	s_cbranch_execz .LBB574_171
; %bb.170:
	v_and_b32_e32 v53, 7, v38
	v_ffbh_u32_e32 v39, v53
	v_min_u32_e32 v55, 32, v39
	v_subrev_u32_e32 v39, 28, v55
	v_lshlrev_b64 v[38:39], v39, v[38:39]
	v_lshrrev_b32_e32 v54, 3, v50
	v_sub_u32_e32 v39, 29, v55
	v_and_b32_e32 v38, 7, v38
	v_cmp_gt_u32_e32 vcc, 8, v50
	v_mov_b32_e32 v50, 24
	v_cndmask_b32_e32 v39, v54, v39, vcc
	v_cndmask_b32_e32 v38, v53, v38, vcc
	v_lshlrev_b32_sdwa v50, v50, v40 dst_sel:DWORD dst_unused:UNUSED_PAD src0_sel:DWORD src1_sel:WORD_1
	v_bfrev_b32_e32 v53, 60
	v_lshlrev_b32_e32 v38, 20, v38
	v_and_b32_e32 v50, 0x80000000, v50
	v_lshl_add_u32 v39, v39, 23, v53
	v_or3_b32 v39, v50, v39, v38
.LBB574_171:
	s_or_b64 exec, exec, s[12:13]
.LBB574_172:
	s_or_b64 exec, exec, s[10:11]
.LBB574_173:
	s_or_b64 exec, exec, s[2:3]
	s_mov_b32 s2, 0xffffff
	v_cmp_lt_u32_e32 vcc, s2, v40
	v_mov_b32_e32 v53, 0
	v_mov_b32_e32 v54, 0
	s_and_saveexec_b64 s[2:3], vcc
	s_cbranch_execz .LBB574_179
; %bb.174:
	v_lshrrev_b32_e32 v38, 24, v40
	s_movk_i32 s10, 0x80
	v_cmp_ne_u32_e32 vcc, s10, v38
	v_bfrev_b32_e32 v54, 1
	s_and_saveexec_b64 s[10:11], vcc
	s_cbranch_execz .LBB574_178
; %bb.175:
	v_bfe_u32 v40, v40, 24, 7
	s_movk_i32 s12, 0x7f
	v_cmp_ne_u32_e32 vcc, s12, v40
	v_mov_b32_e32 v54, 0x7f800001
	s_and_saveexec_b64 s[12:13], vcc
	s_cbranch_execz .LBB574_177
; %bb.176:
	v_and_b32_e32 v50, 7, v38
	v_ffbh_u32_e32 v54, v50
	v_min_u32_e32 v57, 32, v54
	v_subrev_u32_e32 v54, 28, v57
	v_lshlrev_b64 v[54:55], v54, v[38:39]
	v_lshrrev_b32_e32 v56, 3, v40
	v_sub_u32_e32 v55, 29, v57
	v_and_b32_e32 v54, 7, v54
	v_cmp_gt_u32_e32 vcc, 8, v40
	v_cndmask_b32_e32 v40, v56, v55, vcc
	v_cndmask_b32_e32 v50, v50, v54, vcc
	v_lshlrev_b32_e32 v38, 24, v38
	v_bfrev_b32_e32 v54, 60
	v_lshlrev_b32_e32 v50, 20, v50
	v_and_b32_e32 v38, 0x80000000, v38
	v_lshl_add_u32 v40, v40, 23, v54
	v_or3_b32 v54, v38, v40, v50
.LBB574_177:
	s_or_b64 exec, exec, s[12:13]
.LBB574_178:
	s_or_b64 exec, exec, s[10:11]
.LBB574_179:
	s_or_b64 exec, exec, s[2:3]
	v_cmp_ne_u16_sdwa s[10:11], v41, v53 src0_sel:BYTE_0 src1_sel:DWORD
	s_and_saveexec_b64 s[2:3], s[10:11]
	s_cbranch_execz .LBB574_185
; %bb.180:
	s_movk_i32 s10, 0x80
	v_cmp_ne_u16_sdwa s[12:13], v41, s10 src0_sel:BYTE_0 src1_sel:DWORD
	v_bfrev_b32_e32 v53, 1
	s_and_saveexec_b64 s[10:11], s[12:13]
	s_cbranch_execz .LBB574_184
; %bb.181:
	s_movk_i32 s12, 0x7f
	v_and_b32_e32 v38, 0x7f, v41
	v_cmp_ne_u32_e32 vcc, s12, v38
	v_mov_b32_e32 v53, 0x7f800001
	s_and_saveexec_b64 s[12:13], vcc
	s_cbranch_execz .LBB574_183
; %bb.182:
	v_and_b32_e32 v50, 7, v41
	v_ffbh_u32_e32 v55, v50
	v_min_u32_e32 v55, 32, v55
	v_mov_b32_e32 v40, v41
	v_subrev_u32_e32 v56, 28, v55
	v_lshlrev_b64 v[56:57], v56, v[40:41]
	v_lshrrev_b32_e32 v53, 3, v38
	v_sub_u32_e32 v40, 29, v55
	v_and_b32_e32 v55, 7, v56
	v_cmp_gt_u32_e32 vcc, 8, v38
	v_cndmask_b32_e32 v38, v53, v40, vcc
	v_cndmask_b32_e32 v40, v50, v55, vcc
	v_lshlrev_b32_e32 v50, 24, v41
	v_bfrev_b32_e32 v53, 60
	v_lshlrev_b32_e32 v40, 20, v40
	v_and_b32_e32 v50, 0x80000000, v50
	v_lshl_add_u32 v38, v38, 23, v53
	v_or3_b32 v53, v50, v38, v40
.LBB574_183:
	s_or_b64 exec, exec, s[12:13]
.LBB574_184:
	s_or_b64 exec, exec, s[10:11]
.LBB574_185:
	s_or_b64 exec, exec, s[2:3]
	v_lshrrev_b16_e32 v38, 8, v41
	v_cmp_ne_u16_e32 vcc, 0, v38
	v_mov_b32_e32 v40, 0
	v_mov_b32_e32 v55, 0
	s_and_saveexec_b64 s[2:3], vcc
	s_cbranch_execz .LBB574_191
; %bb.186:
	s_movk_i32 s10, 0x80
	v_cmp_ne_u16_e32 vcc, s10, v38
	v_bfrev_b32_e32 v55, 1
	s_and_saveexec_b64 s[10:11], vcc
	s_cbranch_execz .LBB574_190
; %bb.187:
	s_movk_i32 s12, 0x7f
	v_and_b32_e32 v50, 0x7f, v38
	v_cmp_ne_u32_e32 vcc, s12, v50
	v_mov_b32_e32 v55, 0x7f800001
	s_and_saveexec_b64 s[12:13], vcc
	s_cbranch_execz .LBB574_189
; %bb.188:
	v_and_b32_e32 v55, 7, v38
	v_ffbh_u32_e32 v56, v55
	v_min_u32_e32 v59, 32, v56
	v_subrev_u32_e32 v56, 28, v59
	v_lshlrev_b64 v[56:57], v56, v[38:39]
	v_lshrrev_b32_e32 v58, 3, v50
	v_sub_u32_e32 v38, 29, v59
	v_and_b32_e32 v56, 7, v56
	v_cmp_gt_u32_e32 vcc, 8, v50
	v_cndmask_b32_e32 v38, v58, v38, vcc
	v_cndmask_b32_e32 v50, v55, v56, vcc
	v_lshlrev_b32_e32 v55, 16, v41
	v_bfrev_b32_e32 v56, 60
	v_lshlrev_b32_e32 v50, 20, v50
	v_and_b32_e32 v55, 0x80000000, v55
	v_lshl_add_u32 v38, v38, 23, v56
	v_or3_b32 v55, v55, v38, v50
.LBB574_189:
	s_or_b64 exec, exec, s[12:13]
.LBB574_190:
	s_or_b64 exec, exec, s[10:11]
.LBB574_191:
	s_or_b64 exec, exec, s[2:3]
	s_movk_i32 s2, 0xff
	v_and_b32_sdwa v50, v41, s2 dst_sel:DWORD dst_unused:UNUSED_PAD src0_sel:WORD_1 src1_sel:DWORD
	v_lshrrev_b32_e32 v38, 16, v41
	v_cmp_ne_u16_e32 vcc, 0, v50
	s_and_saveexec_b64 s[2:3], vcc
	s_cbranch_execz .LBB574_197
; %bb.192:
	s_movk_i32 s10, 0x80
	v_cmp_ne_u16_e32 vcc, s10, v50
	v_bfrev_b32_e32 v40, 1
	s_and_saveexec_b64 s[10:11], vcc
	s_cbranch_execz .LBB574_196
; %bb.193:
	v_bfe_u32 v50, v41, 16, 7
	s_movk_i32 s12, 0x7f
	v_cmp_ne_u32_e32 vcc, s12, v50
	v_mov_b32_e32 v40, 0x7f800001
	s_and_saveexec_b64 s[12:13], vcc
	s_cbranch_execz .LBB574_195
; %bb.194:
	v_and_b32_e32 v40, 7, v38
	v_ffbh_u32_e32 v56, v40
	v_min_u32_e32 v59, 32, v56
	v_subrev_u32_e32 v56, 28, v59
	v_lshlrev_b64 v[56:57], v56, v[38:39]
	v_lshrrev_b32_e32 v58, 3, v50
	v_sub_u32_e32 v38, 29, v59
	v_and_b32_e32 v56, 7, v56
	v_cmp_gt_u32_e32 vcc, 8, v50
	v_mov_b32_e32 v50, 24
	v_cndmask_b32_e32 v38, v58, v38, vcc
	v_cndmask_b32_e32 v40, v40, v56, vcc
	v_lshlrev_b32_sdwa v50, v50, v41 dst_sel:DWORD dst_unused:UNUSED_PAD src0_sel:DWORD src1_sel:WORD_1
	v_bfrev_b32_e32 v56, 60
	v_lshlrev_b32_e32 v40, 20, v40
	v_and_b32_e32 v50, 0x80000000, v50
	v_lshl_add_u32 v38, v38, 23, v56
	v_or3_b32 v40, v50, v38, v40
.LBB574_195:
	s_or_b64 exec, exec, s[12:13]
.LBB574_196:
	s_or_b64 exec, exec, s[10:11]
.LBB574_197:
	s_or_b64 exec, exec, s[2:3]
	s_mov_b32 s2, 0xffffff
	v_cmp_lt_u32_e32 vcc, s2, v41
	v_mov_b32_e32 v50, 0
	v_mov_b32_e32 v56, 0
	s_and_saveexec_b64 s[2:3], vcc
	s_cbranch_execz .LBB574_203
; %bb.198:
	v_lshrrev_b32_e32 v38, 24, v41
	s_movk_i32 s10, 0x80
	v_cmp_ne_u32_e32 vcc, s10, v38
	v_bfrev_b32_e32 v56, 1
	s_and_saveexec_b64 s[10:11], vcc
	s_cbranch_execz .LBB574_202
; %bb.199:
	v_bfe_u32 v41, v41, 24, 7
	s_movk_i32 s12, 0x7f
	v_cmp_ne_u32_e32 vcc, s12, v41
	v_mov_b32_e32 v56, 0x7f800001
	s_and_saveexec_b64 s[12:13], vcc
	s_cbranch_execz .LBB574_201
; %bb.200:
	v_and_b32_e32 v58, 7, v38
	v_ffbh_u32_e32 v56, v58
	v_min_u32_e32 v60, 32, v56
	v_subrev_u32_e32 v56, 28, v60
	v_lshlrev_b64 v[56:57], v56, v[38:39]
	v_lshrrev_b32_e32 v59, 3, v41
	v_sub_u32_e32 v57, 29, v60
	v_and_b32_e32 v56, 7, v56
	v_cmp_gt_u32_e32 vcc, 8, v41
	v_cndmask_b32_e32 v41, v59, v57, vcc
	v_cndmask_b32_e32 v56, v58, v56, vcc
	v_lshlrev_b32_e32 v38, 24, v38
	v_bfrev_b32_e32 v57, 60
	v_lshlrev_b32_e32 v56, 20, v56
	v_and_b32_e32 v38, 0x80000000, v38
	v_lshl_add_u32 v41, v41, 23, v57
	v_or3_b32 v56, v38, v41, v56
.LBB574_201:
	s_or_b64 exec, exec, s[12:13]
.LBB574_202:
	s_or_b64 exec, exec, s[10:11]
.LBB574_203:
	s_or_b64 exec, exec, s[2:3]
	v_cvt_pkrtz_f16_f32 v38, v51, v52
	v_cvt_pkrtz_f16_f32 v39, v39, v54
	s_waitcnt vmcnt(5)
	v_cmp_ne_u16_sdwa s[10:11], v34, v50 src0_sel:BYTE_0 src1_sel:DWORD
	v_mfma_f32_16x16x16f16 v[42:45], v[38:39], v[18:19], v[42:45]
	v_cvt_pkrtz_f16_f32 v38, v53, v55
	v_cvt_pkrtz_f16_f32 v39, v40, v56
	s_nop 1
	v_mfma_f32_16x16x16f16 v[38:41], v[38:39], v[20:21], v[42:45]
	s_and_saveexec_b64 s[2:3], s[10:11]
	s_cbranch_execz .LBB574_209
; %bb.204:
	s_movk_i32 s10, 0x80
	v_cmp_ne_u16_sdwa s[12:13], v34, s10 src0_sel:BYTE_0 src1_sel:DWORD
	v_bfrev_b32_e32 v50, 1
	s_and_saveexec_b64 s[10:11], s[12:13]
	s_cbranch_execz .LBB574_208
; %bb.205:
	s_movk_i32 s12, 0x7f
	v_and_b32_e32 v42, 0x7f, v34
	v_cmp_ne_u32_e32 vcc, s12, v42
	v_mov_b32_e32 v50, 0x7f800001
	s_and_saveexec_b64 s[12:13], vcc
	s_cbranch_execz .LBB574_207
; %bb.206:
	v_and_b32_e32 v43, 7, v34
	v_ffbh_u32_e32 v44, v43
	v_min_u32_e32 v51, 32, v44
	v_subrev_u32_e32 v44, 28, v51
	v_lshlrev_b64 v[44:45], v44, v[34:35]
	v_lshrrev_b32_e32 v50, 3, v42
	v_sub_u32_e32 v45, 29, v51
	v_and_b32_e32 v44, 7, v44
	v_cmp_gt_u32_e32 vcc, 8, v42
	v_cndmask_b32_e32 v42, v50, v45, vcc
	v_cndmask_b32_e32 v43, v43, v44, vcc
	v_lshlrev_b32_e32 v44, 24, v34
	v_bfrev_b32_e32 v45, 60
	v_lshlrev_b32_e32 v43, 20, v43
	v_and_b32_e32 v44, 0x80000000, v44
	v_lshl_add_u32 v42, v42, 23, v45
	v_or3_b32 v50, v44, v42, v43
.LBB574_207:
	s_or_b64 exec, exec, s[12:13]
.LBB574_208:
	s_or_b64 exec, exec, s[10:11]
.LBB574_209:
	s_or_b64 exec, exec, s[2:3]
	s_nop 3
	v_lshrrev_b16_e32 v42, 8, v34
	v_cmp_ne_u16_e32 vcc, 0, v42
	v_mov_b32_e32 v43, 0
	v_mov_b32_e32 v44, 0
	s_and_saveexec_b64 s[2:3], vcc
	s_cbranch_execz .LBB574_215
; %bb.210:
	s_movk_i32 s10, 0x80
	v_cmp_ne_u16_e32 vcc, s10, v42
	v_bfrev_b32_e32 v44, 1
	s_and_saveexec_b64 s[10:11], vcc
	s_cbranch_execz .LBB574_214
; %bb.211:
	s_movk_i32 s12, 0x7f
	v_and_b32_e32 v45, 0x7f, v42
	v_cmp_ne_u32_e32 vcc, s12, v45
	v_mov_b32_e32 v44, 0x7f800001
	s_and_saveexec_b64 s[12:13], vcc
	s_cbranch_execz .LBB574_213
; %bb.212:
	v_and_b32_e32 v44, 7, v42
	v_ffbh_u32_e32 v52, v44
	v_min_u32_e32 v54, 32, v52
	v_subrev_u32_e32 v52, 28, v54
	v_lshlrev_b64 v[52:53], v52, v[42:43]
	v_lshrrev_b32_e32 v51, 3, v45
	v_sub_u32_e32 v42, 29, v54
	v_and_b32_e32 v52, 7, v52
	v_cmp_gt_u32_e32 vcc, 8, v45
	v_cndmask_b32_e32 v42, v51, v42, vcc
	v_cndmask_b32_e32 v44, v44, v52, vcc
	v_lshlrev_b32_e32 v45, 16, v34
	v_bfrev_b32_e32 v51, 60
	v_lshlrev_b32_e32 v44, 20, v44
	v_and_b32_e32 v45, 0x80000000, v45
	v_lshl_add_u32 v42, v42, 23, v51
	v_or3_b32 v44, v45, v42, v44
.LBB574_213:
	s_or_b64 exec, exec, s[12:13]
.LBB574_214:
	s_or_b64 exec, exec, s[10:11]
.LBB574_215:
	s_or_b64 exec, exec, s[2:3]
	s_movk_i32 s2, 0xff
	v_and_b32_sdwa v45, v34, s2 dst_sel:DWORD dst_unused:UNUSED_PAD src0_sel:WORD_1 src1_sel:DWORD
	v_lshrrev_b32_e32 v42, 16, v34
	v_cmp_ne_u16_e32 vcc, 0, v45
	s_and_saveexec_b64 s[2:3], vcc
	s_cbranch_execz .LBB574_221
; %bb.216:
	s_movk_i32 s10, 0x80
	v_cmp_ne_u16_e32 vcc, s10, v45
	v_bfrev_b32_e32 v43, 1
	s_and_saveexec_b64 s[10:11], vcc
	s_cbranch_execz .LBB574_220
; %bb.217:
	v_bfe_u32 v45, v34, 16, 7
	s_movk_i32 s12, 0x7f
	v_cmp_ne_u32_e32 vcc, s12, v45
	v_mov_b32_e32 v43, 0x7f800001
	s_and_saveexec_b64 s[12:13], vcc
	s_cbranch_execz .LBB574_219
; %bb.218:
	v_and_b32_e32 v51, 7, v42
	v_ffbh_u32_e32 v43, v51
	v_min_u32_e32 v53, 32, v43
	v_subrev_u32_e32 v43, 28, v53
	v_lshlrev_b64 v[42:43], v43, v[42:43]
	v_lshrrev_b32_e32 v52, 3, v45
	v_sub_u32_e32 v43, 29, v53
	v_and_b32_e32 v42, 7, v42
	v_cmp_gt_u32_e32 vcc, 8, v45
	v_mov_b32_e32 v45, 24
	v_cndmask_b32_e32 v43, v52, v43, vcc
	v_cndmask_b32_e32 v42, v51, v42, vcc
	v_lshlrev_b32_sdwa v45, v45, v34 dst_sel:DWORD dst_unused:UNUSED_PAD src0_sel:DWORD src1_sel:WORD_1
	v_bfrev_b32_e32 v51, 60
	v_lshlrev_b32_e32 v42, 20, v42
	v_and_b32_e32 v45, 0x80000000, v45
	v_lshl_add_u32 v43, v43, 23, v51
	v_or3_b32 v43, v45, v43, v42
.LBB574_219:
	s_or_b64 exec, exec, s[12:13]
.LBB574_220:
	s_or_b64 exec, exec, s[10:11]
.LBB574_221:
	s_or_b64 exec, exec, s[2:3]
	s_mov_b32 s2, 0xffffff
	v_cmp_lt_u32_e32 vcc, s2, v34
	v_mov_b32_e32 v45, 0
	v_mov_b32_e32 v52, 0
	s_and_saveexec_b64 s[2:3], vcc
	s_cbranch_execz .LBB574_227
; %bb.222:
	v_lshrrev_b32_e32 v42, 24, v34
	s_movk_i32 s10, 0x80
	v_cmp_ne_u32_e32 vcc, s10, v42
	v_bfrev_b32_e32 v52, 1
	s_and_saveexec_b64 s[10:11], vcc
	s_cbranch_execz .LBB574_226
; %bb.223:
	v_bfe_u32 v34, v34, 24, 7
	s_movk_i32 s12, 0x7f
	v_cmp_ne_u32_e32 vcc, s12, v34
	v_mov_b32_e32 v52, 0x7f800001
	s_and_saveexec_b64 s[12:13], vcc
	s_cbranch_execz .LBB574_225
; %bb.224:
	v_and_b32_e32 v51, 7, v42
	v_ffbh_u32_e32 v52, v51
	v_min_u32_e32 v55, 32, v52
	v_subrev_u32_e32 v52, 28, v55
	v_lshlrev_b64 v[52:53], v52, v[42:43]
	v_lshrrev_b32_e32 v54, 3, v34
	v_sub_u32_e32 v53, 29, v55
	v_and_b32_e32 v52, 7, v52
	v_cmp_gt_u32_e32 vcc, 8, v34
	v_cndmask_b32_e32 v34, v54, v53, vcc
	v_cndmask_b32_e32 v51, v51, v52, vcc
	v_lshlrev_b32_e32 v42, 24, v42
	v_bfrev_b32_e32 v52, 60
	v_lshlrev_b32_e32 v51, 20, v51
	v_and_b32_e32 v42, 0x80000000, v42
	v_lshl_add_u32 v34, v34, 23, v52
	v_or3_b32 v52, v42, v34, v51
.LBB574_225:
	s_or_b64 exec, exec, s[12:13]
.LBB574_226:
	s_or_b64 exec, exec, s[10:11]
.LBB574_227:
	s_or_b64 exec, exec, s[2:3]
	v_cmp_ne_u16_sdwa s[10:11], v35, v45 src0_sel:BYTE_0 src1_sel:DWORD
	s_and_saveexec_b64 s[2:3], s[10:11]
	s_cbranch_execz .LBB574_233
; %bb.228:
	s_movk_i32 s10, 0x80
	v_cmp_ne_u16_sdwa s[12:13], v35, s10 src0_sel:BYTE_0 src1_sel:DWORD
	v_bfrev_b32_e32 v45, 1
	s_and_saveexec_b64 s[10:11], s[12:13]
	s_cbranch_execz .LBB574_232
; %bb.229:
	s_movk_i32 s12, 0x7f
	v_and_b32_e32 v34, 0x7f, v35
	v_cmp_ne_u32_e32 vcc, s12, v34
	v_mov_b32_e32 v45, 0x7f800001
	s_and_saveexec_b64 s[12:13], vcc
	s_cbranch_execz .LBB574_231
; %bb.230:
	v_and_b32_e32 v45, 7, v35
	v_ffbh_u32_e32 v53, v45
	v_min_u32_e32 v53, 32, v53
	v_mov_b32_e32 v42, v35
	v_subrev_u32_e32 v54, 28, v53
	v_lshlrev_b64 v[54:55], v54, v[42:43]
	v_lshrrev_b32_e32 v51, 3, v34
	v_sub_u32_e32 v42, 29, v53
	v_and_b32_e32 v53, 7, v54
	v_cmp_gt_u32_e32 vcc, 8, v34
	v_cndmask_b32_e32 v34, v51, v42, vcc
	v_cndmask_b32_e32 v42, v45, v53, vcc
	v_lshlrev_b32_e32 v45, 24, v35
	v_bfrev_b32_e32 v51, 60
	v_lshlrev_b32_e32 v42, 20, v42
	v_and_b32_e32 v45, 0x80000000, v45
	v_lshl_add_u32 v34, v34, 23, v51
	v_or3_b32 v45, v45, v34, v42
.LBB574_231:
	s_or_b64 exec, exec, s[12:13]
.LBB574_232:
	s_or_b64 exec, exec, s[10:11]
.LBB574_233:
	s_or_b64 exec, exec, s[2:3]
	v_lshrrev_b16_e32 v34, 8, v35
	v_cmp_ne_u16_e32 vcc, 0, v34
	v_mov_b32_e32 v42, 0
	v_mov_b32_e32 v53, 0
	s_and_saveexec_b64 s[2:3], vcc
	s_cbranch_execz .LBB574_239
; %bb.234:
	s_movk_i32 s10, 0x80
	v_cmp_ne_u16_e32 vcc, s10, v34
	v_bfrev_b32_e32 v53, 1
	s_and_saveexec_b64 s[10:11], vcc
	s_cbranch_execz .LBB574_238
; %bb.235:
	s_movk_i32 s12, 0x7f
	v_and_b32_e32 v51, 0x7f, v34
	v_cmp_ne_u32_e32 vcc, s12, v51
	v_mov_b32_e32 v53, 0x7f800001
	s_and_saveexec_b64 s[12:13], vcc
	s_cbranch_execz .LBB574_237
; %bb.236:
	v_and_b32_e32 v53, 7, v34
	v_ffbh_u32_e32 v54, v53
	v_min_u32_e32 v57, 32, v54
	v_subrev_u32_e32 v54, 28, v57
	v_lshlrev_b64 v[54:55], v54, v[34:35]
	v_lshrrev_b32_e32 v56, 3, v51
	v_sub_u32_e32 v34, 29, v57
	v_and_b32_e32 v54, 7, v54
	v_cmp_gt_u32_e32 vcc, 8, v51
	v_cndmask_b32_e32 v34, v56, v34, vcc
	v_cndmask_b32_e32 v51, v53, v54, vcc
	v_lshlrev_b32_e32 v53, 16, v35
	v_bfrev_b32_e32 v54, 60
	v_lshlrev_b32_e32 v51, 20, v51
	v_and_b32_e32 v53, 0x80000000, v53
	v_lshl_add_u32 v34, v34, 23, v54
	v_or3_b32 v53, v53, v34, v51
.LBB574_237:
	s_or_b64 exec, exec, s[12:13]
.LBB574_238:
	s_or_b64 exec, exec, s[10:11]
.LBB574_239:
	s_or_b64 exec, exec, s[2:3]
	s_movk_i32 s2, 0xff
	v_and_b32_sdwa v51, v35, s2 dst_sel:DWORD dst_unused:UNUSED_PAD src0_sel:WORD_1 src1_sel:DWORD
	v_lshrrev_b32_e32 v34, 16, v35
	v_cmp_ne_u16_e32 vcc, 0, v51
	s_and_saveexec_b64 s[2:3], vcc
	s_cbranch_execz .LBB574_245
; %bb.240:
	s_movk_i32 s10, 0x80
	v_cmp_ne_u16_e32 vcc, s10, v51
	v_bfrev_b32_e32 v42, 1
	s_and_saveexec_b64 s[10:11], vcc
	s_cbranch_execz .LBB574_244
; %bb.241:
	v_bfe_u32 v51, v35, 16, 7
	s_movk_i32 s12, 0x7f
	v_cmp_ne_u32_e32 vcc, s12, v51
	v_mov_b32_e32 v42, 0x7f800001
	s_and_saveexec_b64 s[12:13], vcc
	s_cbranch_execz .LBB574_243
; %bb.242:
	v_and_b32_e32 v42, 7, v34
	v_ffbh_u32_e32 v54, v42
	v_min_u32_e32 v57, 32, v54
	v_subrev_u32_e32 v54, 28, v57
	v_lshlrev_b64 v[54:55], v54, v[34:35]
	v_lshrrev_b32_e32 v56, 3, v51
	v_sub_u32_e32 v34, 29, v57
	v_and_b32_e32 v54, 7, v54
	v_cmp_gt_u32_e32 vcc, 8, v51
	v_mov_b32_e32 v51, 24
	v_cndmask_b32_e32 v34, v56, v34, vcc
	v_cndmask_b32_e32 v42, v42, v54, vcc
	v_lshlrev_b32_sdwa v51, v51, v35 dst_sel:DWORD dst_unused:UNUSED_PAD src0_sel:DWORD src1_sel:WORD_1
	v_bfrev_b32_e32 v54, 60
	v_lshlrev_b32_e32 v42, 20, v42
	v_and_b32_e32 v51, 0x80000000, v51
	v_lshl_add_u32 v34, v34, 23, v54
	v_or3_b32 v42, v51, v34, v42
.LBB574_243:
	s_or_b64 exec, exec, s[12:13]
.LBB574_244:
	s_or_b64 exec, exec, s[10:11]
.LBB574_245:
	s_or_b64 exec, exec, s[2:3]
	s_mov_b32 s2, 0xffffff
	v_cmp_lt_u32_e32 vcc, s2, v35
	v_mov_b32_e32 v51, 0
	v_mov_b32_e32 v54, 0
	s_and_saveexec_b64 s[2:3], vcc
	s_cbranch_execz .LBB574_251
; %bb.246:
	v_lshrrev_b32_e32 v34, 24, v35
	s_movk_i32 s10, 0x80
	v_cmp_ne_u32_e32 vcc, s10, v34
	v_bfrev_b32_e32 v54, 1
	s_and_saveexec_b64 s[10:11], vcc
	s_cbranch_execz .LBB574_250
; %bb.247:
	v_bfe_u32 v35, v35, 24, 7
	s_movk_i32 s12, 0x7f
	v_cmp_ne_u32_e32 vcc, s12, v35
	v_mov_b32_e32 v54, 0x7f800001
	s_and_saveexec_b64 s[12:13], vcc
	s_cbranch_execz .LBB574_249
; %bb.248:
	v_and_b32_e32 v56, 7, v34
	v_ffbh_u32_e32 v54, v56
	v_min_u32_e32 v58, 32, v54
	v_subrev_u32_e32 v54, 28, v58
	v_lshlrev_b64 v[54:55], v54, v[34:35]
	v_lshrrev_b32_e32 v57, 3, v35
	v_sub_u32_e32 v55, 29, v58
	v_and_b32_e32 v54, 7, v54
	v_cmp_gt_u32_e32 vcc, 8, v35
	v_cndmask_b32_e32 v35, v57, v55, vcc
	v_cndmask_b32_e32 v54, v56, v54, vcc
	v_lshlrev_b32_e32 v34, 24, v34
	v_bfrev_b32_e32 v55, 60
	v_lshlrev_b32_e32 v54, 20, v54
	v_and_b32_e32 v34, 0x80000000, v34
	v_lshl_add_u32 v35, v35, 23, v55
	v_or3_b32 v54, v34, v35, v54
.LBB574_249:
	s_or_b64 exec, exec, s[12:13]
.LBB574_250:
	s_or_b64 exec, exec, s[10:11]
.LBB574_251:
	s_or_b64 exec, exec, s[2:3]
	v_cvt_pkrtz_f16_f32 v34, v50, v44
	v_cvt_pkrtz_f16_f32 v35, v43, v52
	v_cmp_ne_u16_sdwa s[10:11], v36, v51 src0_sel:BYTE_0 src1_sel:DWORD
	s_nop 0
	v_mfma_f32_16x16x16f16 v[56:59], v[34:35], v[26:27], 0
	v_cvt_pkrtz_f16_f32 v34, v45, v53
	v_cvt_pkrtz_f16_f32 v35, v42, v54
	s_nop 1
	v_mfma_f32_16x16x16f16 v[42:45], v[34:35], v[28:29], v[56:59]
	s_and_saveexec_b64 s[2:3], s[10:11]
	s_cbranch_execz .LBB574_257
; %bb.252:
	s_movk_i32 s10, 0x80
	v_cmp_ne_u16_sdwa s[12:13], v36, s10 src0_sel:BYTE_0 src1_sel:DWORD
	v_bfrev_b32_e32 v51, 1
	s_and_saveexec_b64 s[10:11], s[12:13]
	s_cbranch_execz .LBB574_256
; %bb.253:
	s_movk_i32 s12, 0x7f
	v_and_b32_e32 v34, 0x7f, v36
	v_cmp_ne_u32_e32 vcc, s12, v34
	v_mov_b32_e32 v51, 0x7f800001
	s_and_saveexec_b64 s[12:13], vcc
	s_cbranch_execz .LBB574_255
; %bb.254:
	v_and_b32_e32 v35, 7, v36
	v_ffbh_u32_e32 v50, v35
	v_min_u32_e32 v53, 32, v50
	v_subrev_u32_e32 v50, 28, v53
	v_lshlrev_b64 v[50:51], v50, v[36:37]
	v_lshrrev_b32_e32 v52, 3, v34
	v_sub_u32_e32 v51, 29, v53
	v_and_b32_e32 v50, 7, v50
	v_cmp_gt_u32_e32 vcc, 8, v34
	v_cndmask_b32_e32 v34, v52, v51, vcc
	v_cndmask_b32_e32 v35, v35, v50, vcc
	v_lshlrev_b32_e32 v50, 24, v36
	v_bfrev_b32_e32 v51, 60
	v_lshlrev_b32_e32 v35, 20, v35
	v_and_b32_e32 v50, 0x80000000, v50
	v_lshl_add_u32 v34, v34, 23, v51
	v_or3_b32 v51, v50, v34, v35
.LBB574_255:
	s_or_b64 exec, exec, s[12:13]
.LBB574_256:
	s_or_b64 exec, exec, s[10:11]
.LBB574_257:
	s_or_b64 exec, exec, s[2:3]
	v_lshrrev_b16_e32 v34, 8, v36
	v_cmp_ne_u16_e32 vcc, 0, v34
	v_mov_b32_e32 v35, 0
	v_mov_b32_e32 v52, 0
	s_and_saveexec_b64 s[2:3], vcc
	s_cbranch_execz .LBB574_263
; %bb.258:
	s_movk_i32 s10, 0x80
	v_cmp_ne_u16_e32 vcc, s10, v34
	v_bfrev_b32_e32 v52, 1
	s_and_saveexec_b64 s[10:11], vcc
	s_cbranch_execz .LBB574_262
; %bb.259:
	s_movk_i32 s12, 0x7f
	v_and_b32_e32 v50, 0x7f, v34
	v_cmp_ne_u32_e32 vcc, s12, v50
	v_mov_b32_e32 v52, 0x7f800001
	s_and_saveexec_b64 s[12:13], vcc
	s_cbranch_execz .LBB574_261
; %bb.260:
	v_and_b32_e32 v54, 7, v34
	v_ffbh_u32_e32 v52, v54
	v_min_u32_e32 v56, 32, v52
	v_subrev_u32_e32 v52, 28, v56
	v_lshlrev_b64 v[52:53], v52, v[34:35]
	v_lshrrev_b32_e32 v55, 3, v50
	v_sub_u32_e32 v34, 29, v56
	v_and_b32_e32 v52, 7, v52
	v_cmp_gt_u32_e32 vcc, 8, v50
	v_cndmask_b32_e32 v34, v55, v34, vcc
	v_cndmask_b32_e32 v50, v54, v52, vcc
	v_lshlrev_b32_e32 v52, 16, v36
	v_bfrev_b32_e32 v53, 60
	v_lshlrev_b32_e32 v50, 20, v50
	v_and_b32_e32 v52, 0x80000000, v52
	v_lshl_add_u32 v34, v34, 23, v53
	v_or3_b32 v52, v52, v34, v50
.LBB574_261:
	s_or_b64 exec, exec, s[12:13]
.LBB574_262:
	s_or_b64 exec, exec, s[10:11]
.LBB574_263:
	s_or_b64 exec, exec, s[2:3]
	s_movk_i32 s2, 0xff
	v_and_b32_sdwa v50, v36, s2 dst_sel:DWORD dst_unused:UNUSED_PAD src0_sel:WORD_1 src1_sel:DWORD
	v_lshrrev_b32_e32 v34, 16, v36
	v_cmp_ne_u16_e32 vcc, 0, v50
	s_and_saveexec_b64 s[2:3], vcc
	s_cbranch_execz .LBB574_269
; %bb.264:
	s_movk_i32 s10, 0x80
	v_cmp_ne_u16_e32 vcc, s10, v50
	v_bfrev_b32_e32 v35, 1
	s_and_saveexec_b64 s[10:11], vcc
	s_cbranch_execz .LBB574_268
; %bb.265:
	v_bfe_u32 v50, v36, 16, 7
	s_movk_i32 s12, 0x7f
	v_cmp_ne_u32_e32 vcc, s12, v50
	v_mov_b32_e32 v35, 0x7f800001
	s_and_saveexec_b64 s[12:13], vcc
	s_cbranch_execz .LBB574_267
; %bb.266:
	v_and_b32_e32 v53, 7, v34
	v_ffbh_u32_e32 v35, v53
	v_min_u32_e32 v55, 32, v35
	v_subrev_u32_e32 v35, 28, v55
	v_lshlrev_b64 v[34:35], v35, v[34:35]
	v_lshrrev_b32_e32 v54, 3, v50
	v_sub_u32_e32 v35, 29, v55
	v_and_b32_e32 v34, 7, v34
	v_cmp_gt_u32_e32 vcc, 8, v50
	v_mov_b32_e32 v50, 24
	v_cndmask_b32_e32 v35, v54, v35, vcc
	v_cndmask_b32_e32 v34, v53, v34, vcc
	v_lshlrev_b32_sdwa v50, v50, v36 dst_sel:DWORD dst_unused:UNUSED_PAD src0_sel:DWORD src1_sel:WORD_1
	v_bfrev_b32_e32 v53, 60
	v_lshlrev_b32_e32 v34, 20, v34
	v_and_b32_e32 v50, 0x80000000, v50
	v_lshl_add_u32 v35, v35, 23, v53
	v_or3_b32 v35, v50, v35, v34
.LBB574_267:
	s_or_b64 exec, exec, s[12:13]
.LBB574_268:
	s_or_b64 exec, exec, s[10:11]
.LBB574_269:
	s_or_b64 exec, exec, s[2:3]
	s_mov_b32 s2, 0xffffff
	v_cmp_lt_u32_e32 vcc, s2, v36
	v_mov_b32_e32 v53, 0
	v_mov_b32_e32 v54, 0
	s_and_saveexec_b64 s[2:3], vcc
	s_cbranch_execz .LBB574_275
; %bb.270:
	v_lshrrev_b32_e32 v34, 24, v36
	s_movk_i32 s10, 0x80
	v_cmp_ne_u32_e32 vcc, s10, v34
	v_bfrev_b32_e32 v54, 1
	s_and_saveexec_b64 s[10:11], vcc
	s_cbranch_execz .LBB574_274
; %bb.271:
	v_bfe_u32 v36, v36, 24, 7
	s_movk_i32 s12, 0x7f
	v_cmp_ne_u32_e32 vcc, s12, v36
	v_mov_b32_e32 v54, 0x7f800001
	s_and_saveexec_b64 s[12:13], vcc
	s_cbranch_execz .LBB574_273
; %bb.272:
	v_and_b32_e32 v50, 7, v34
	v_ffbh_u32_e32 v54, v50
	v_min_u32_e32 v57, 32, v54
	v_subrev_u32_e32 v54, 28, v57
	v_lshlrev_b64 v[54:55], v54, v[34:35]
	v_lshrrev_b32_e32 v56, 3, v36
	v_sub_u32_e32 v55, 29, v57
	v_and_b32_e32 v54, 7, v54
	v_cmp_gt_u32_e32 vcc, 8, v36
	v_cndmask_b32_e32 v36, v56, v55, vcc
	v_cndmask_b32_e32 v50, v50, v54, vcc
	v_lshlrev_b32_e32 v34, 24, v34
	v_bfrev_b32_e32 v54, 60
	v_lshlrev_b32_e32 v50, 20, v50
	v_and_b32_e32 v34, 0x80000000, v34
	v_lshl_add_u32 v36, v36, 23, v54
	v_or3_b32 v54, v34, v36, v50
.LBB574_273:
	s_or_b64 exec, exec, s[12:13]
.LBB574_274:
	s_or_b64 exec, exec, s[10:11]
.LBB574_275:
	s_or_b64 exec, exec, s[2:3]
	v_cmp_ne_u16_sdwa s[10:11], v37, v53 src0_sel:BYTE_0 src1_sel:DWORD
	s_and_saveexec_b64 s[2:3], s[10:11]
	s_cbranch_execz .LBB574_281
; %bb.276:
	s_movk_i32 s10, 0x80
	v_cmp_ne_u16_sdwa s[12:13], v37, s10 src0_sel:BYTE_0 src1_sel:DWORD
	v_bfrev_b32_e32 v53, 1
	s_and_saveexec_b64 s[10:11], s[12:13]
	s_cbranch_execz .LBB574_280
; %bb.277:
	s_movk_i32 s12, 0x7f
	v_and_b32_e32 v34, 0x7f, v37
	v_cmp_ne_u32_e32 vcc, s12, v34
	v_mov_b32_e32 v53, 0x7f800001
	s_and_saveexec_b64 s[12:13], vcc
	s_cbranch_execz .LBB574_279
; %bb.278:
	v_and_b32_e32 v50, 7, v37
	v_ffbh_u32_e32 v55, v50
	v_min_u32_e32 v55, 32, v55
	v_mov_b32_e32 v36, v37
	v_subrev_u32_e32 v56, 28, v55
	v_lshlrev_b64 v[56:57], v56, v[36:37]
	v_lshrrev_b32_e32 v53, 3, v34
	v_sub_u32_e32 v36, 29, v55
	v_and_b32_e32 v55, 7, v56
	v_cmp_gt_u32_e32 vcc, 8, v34
	v_cndmask_b32_e32 v34, v53, v36, vcc
	v_cndmask_b32_e32 v36, v50, v55, vcc
	v_lshlrev_b32_e32 v50, 24, v37
	v_bfrev_b32_e32 v53, 60
	v_lshlrev_b32_e32 v36, 20, v36
	v_and_b32_e32 v50, 0x80000000, v50
	v_lshl_add_u32 v34, v34, 23, v53
	v_or3_b32 v53, v50, v34, v36
.LBB574_279:
	s_or_b64 exec, exec, s[12:13]
.LBB574_280:
	s_or_b64 exec, exec, s[10:11]
.LBB574_281:
	s_or_b64 exec, exec, s[2:3]
	v_lshrrev_b16_e32 v34, 8, v37
	v_cmp_ne_u16_e32 vcc, 0, v34
	v_mov_b32_e32 v36, 0
	v_mov_b32_e32 v55, 0
	s_and_saveexec_b64 s[2:3], vcc
	s_cbranch_execz .LBB574_287
; %bb.282:
	s_movk_i32 s10, 0x80
	v_cmp_ne_u16_e32 vcc, s10, v34
	v_bfrev_b32_e32 v55, 1
	s_and_saveexec_b64 s[10:11], vcc
	s_cbranch_execz .LBB574_286
; %bb.283:
	s_movk_i32 s12, 0x7f
	v_and_b32_e32 v50, 0x7f, v34
	v_cmp_ne_u32_e32 vcc, s12, v50
	v_mov_b32_e32 v55, 0x7f800001
	s_and_saveexec_b64 s[12:13], vcc
	s_cbranch_execz .LBB574_285
; %bb.284:
	v_and_b32_e32 v55, 7, v34
	v_ffbh_u32_e32 v56, v55
	v_min_u32_e32 v59, 32, v56
	v_subrev_u32_e32 v56, 28, v59
	v_lshlrev_b64 v[56:57], v56, v[34:35]
	v_lshrrev_b32_e32 v58, 3, v50
	v_sub_u32_e32 v34, 29, v59
	v_and_b32_e32 v56, 7, v56
	v_cmp_gt_u32_e32 vcc, 8, v50
	v_cndmask_b32_e32 v34, v58, v34, vcc
	v_cndmask_b32_e32 v50, v55, v56, vcc
	v_lshlrev_b32_e32 v55, 16, v37
	v_bfrev_b32_e32 v56, 60
	v_lshlrev_b32_e32 v50, 20, v50
	v_and_b32_e32 v55, 0x80000000, v55
	v_lshl_add_u32 v34, v34, 23, v56
	v_or3_b32 v55, v55, v34, v50
.LBB574_285:
	s_or_b64 exec, exec, s[12:13]
.LBB574_286:
	s_or_b64 exec, exec, s[10:11]
.LBB574_287:
	s_or_b64 exec, exec, s[2:3]
	s_movk_i32 s2, 0xff
	v_and_b32_sdwa v50, v37, s2 dst_sel:DWORD dst_unused:UNUSED_PAD src0_sel:WORD_1 src1_sel:DWORD
	v_lshrrev_b32_e32 v34, 16, v37
	v_cmp_ne_u16_e32 vcc, 0, v50
	s_and_saveexec_b64 s[2:3], vcc
	s_cbranch_execz .LBB574_293
; %bb.288:
	s_movk_i32 s10, 0x80
	v_cmp_ne_u16_e32 vcc, s10, v50
	v_bfrev_b32_e32 v36, 1
	s_and_saveexec_b64 s[10:11], vcc
	s_cbranch_execz .LBB574_292
; %bb.289:
	v_bfe_u32 v50, v37, 16, 7
	s_movk_i32 s12, 0x7f
	v_cmp_ne_u32_e32 vcc, s12, v50
	v_mov_b32_e32 v36, 0x7f800001
	s_and_saveexec_b64 s[12:13], vcc
	s_cbranch_execz .LBB574_291
; %bb.290:
	v_and_b32_e32 v36, 7, v34
	v_ffbh_u32_e32 v56, v36
	v_min_u32_e32 v59, 32, v56
	v_subrev_u32_e32 v56, 28, v59
	v_lshlrev_b64 v[56:57], v56, v[34:35]
	v_lshrrev_b32_e32 v58, 3, v50
	v_sub_u32_e32 v34, 29, v59
	v_and_b32_e32 v56, 7, v56
	v_cmp_gt_u32_e32 vcc, 8, v50
	v_mov_b32_e32 v50, 24
	v_cndmask_b32_e32 v34, v58, v34, vcc
	v_cndmask_b32_e32 v36, v36, v56, vcc
	v_lshlrev_b32_sdwa v50, v50, v37 dst_sel:DWORD dst_unused:UNUSED_PAD src0_sel:DWORD src1_sel:WORD_1
	v_bfrev_b32_e32 v56, 60
	v_lshlrev_b32_e32 v36, 20, v36
	v_and_b32_e32 v50, 0x80000000, v50
	v_lshl_add_u32 v34, v34, 23, v56
	v_or3_b32 v36, v50, v34, v36
.LBB574_291:
	s_or_b64 exec, exec, s[12:13]
.LBB574_292:
	s_or_b64 exec, exec, s[10:11]
.LBB574_293:
	s_or_b64 exec, exec, s[2:3]
	s_mov_b32 s2, 0xffffff
	v_cmp_lt_u32_e32 vcc, s2, v37
	v_mov_b32_e32 v50, 0
	v_mov_b32_e32 v56, 0
	s_and_saveexec_b64 s[2:3], vcc
	s_cbranch_execz .LBB574_299
; %bb.294:
	v_lshrrev_b32_e32 v34, 24, v37
	s_movk_i32 s10, 0x80
	v_cmp_ne_u32_e32 vcc, s10, v34
	v_bfrev_b32_e32 v56, 1
	s_and_saveexec_b64 s[10:11], vcc
	s_cbranch_execz .LBB574_298
; %bb.295:
	v_bfe_u32 v37, v37, 24, 7
	s_movk_i32 s12, 0x7f
	v_cmp_ne_u32_e32 vcc, s12, v37
	v_mov_b32_e32 v56, 0x7f800001
	s_and_saveexec_b64 s[12:13], vcc
	s_cbranch_execz .LBB574_297
; %bb.296:
	v_and_b32_e32 v58, 7, v34
	v_ffbh_u32_e32 v56, v58
	v_min_u32_e32 v60, 32, v56
	v_subrev_u32_e32 v56, 28, v60
	v_lshlrev_b64 v[56:57], v56, v[34:35]
	v_lshrrev_b32_e32 v59, 3, v37
	v_sub_u32_e32 v57, 29, v60
	v_and_b32_e32 v56, 7, v56
	v_cmp_gt_u32_e32 vcc, 8, v37
	v_cndmask_b32_e32 v37, v59, v57, vcc
	v_cndmask_b32_e32 v56, v58, v56, vcc
	v_lshlrev_b32_e32 v34, 24, v34
	v_bfrev_b32_e32 v57, 60
	v_lshlrev_b32_e32 v56, 20, v56
	v_and_b32_e32 v34, 0x80000000, v34
	v_lshl_add_u32 v37, v37, 23, v57
	v_or3_b32 v56, v34, v37, v56
.LBB574_297:
	s_or_b64 exec, exec, s[12:13]
.LBB574_298:
	s_or_b64 exec, exec, s[10:11]
.LBB574_299:
	s_or_b64 exec, exec, s[2:3]
	v_cvt_pkrtz_f16_f32 v34, v51, v52
	v_cvt_pkrtz_f16_f32 v35, v35, v54
	s_waitcnt vmcnt(4)
	v_cmp_ne_u16_sdwa s[10:11], v22, v50 src0_sel:BYTE_0 src1_sel:DWORD
	v_mfma_f32_16x16x16f16 v[42:45], v[34:35], v[18:19], v[42:45]
	v_cvt_pkrtz_f16_f32 v34, v53, v55
	v_cvt_pkrtz_f16_f32 v35, v36, v56
	s_nop 1
	v_mfma_f32_16x16x16f16 v[34:37], v[34:35], v[20:21], v[42:45]
	s_and_saveexec_b64 s[2:3], s[10:11]
	s_cbranch_execz .LBB574_305
; %bb.300:
	s_movk_i32 s10, 0x80
	v_cmp_ne_u16_sdwa s[12:13], v22, s10 src0_sel:BYTE_0 src1_sel:DWORD
	v_bfrev_b32_e32 v50, 1
	s_and_saveexec_b64 s[10:11], s[12:13]
	s_cbranch_execz .LBB574_304
; %bb.301:
	s_movk_i32 s12, 0x7f
	v_and_b32_e32 v42, 0x7f, v22
	v_cmp_ne_u32_e32 vcc, s12, v42
	v_mov_b32_e32 v50, 0x7f800001
	s_and_saveexec_b64 s[12:13], vcc
	s_cbranch_execz .LBB574_303
; %bb.302:
	v_and_b32_e32 v43, 7, v22
	v_ffbh_u32_e32 v44, v43
	v_min_u32_e32 v51, 32, v44
	v_subrev_u32_e32 v44, 28, v51
	v_lshlrev_b64 v[44:45], v44, v[22:23]
	v_lshrrev_b32_e32 v50, 3, v42
	v_sub_u32_e32 v45, 29, v51
	v_and_b32_e32 v44, 7, v44
	v_cmp_gt_u32_e32 vcc, 8, v42
	v_cndmask_b32_e32 v42, v50, v45, vcc
	v_cndmask_b32_e32 v43, v43, v44, vcc
	v_lshlrev_b32_e32 v44, 24, v22
	v_bfrev_b32_e32 v45, 60
	v_lshlrev_b32_e32 v43, 20, v43
	v_and_b32_e32 v44, 0x80000000, v44
	v_lshl_add_u32 v42, v42, 23, v45
	v_or3_b32 v50, v44, v42, v43
.LBB574_303:
	s_or_b64 exec, exec, s[12:13]
.LBB574_304:
	s_or_b64 exec, exec, s[10:11]
.LBB574_305:
	s_or_b64 exec, exec, s[2:3]
	s_nop 3
	v_lshrrev_b16_e32 v42, 8, v22
	v_cmp_ne_u16_e32 vcc, 0, v42
	v_mov_b32_e32 v43, 0
	v_mov_b32_e32 v44, 0
	s_and_saveexec_b64 s[2:3], vcc
	s_cbranch_execz .LBB574_311
; %bb.306:
	s_movk_i32 s10, 0x80
	v_cmp_ne_u16_e32 vcc, s10, v42
	v_bfrev_b32_e32 v44, 1
	s_and_saveexec_b64 s[10:11], vcc
	s_cbranch_execz .LBB574_310
; %bb.307:
	s_movk_i32 s12, 0x7f
	v_and_b32_e32 v45, 0x7f, v42
	v_cmp_ne_u32_e32 vcc, s12, v45
	v_mov_b32_e32 v44, 0x7f800001
	s_and_saveexec_b64 s[12:13], vcc
	s_cbranch_execz .LBB574_309
; %bb.308:
	v_and_b32_e32 v44, 7, v42
	v_ffbh_u32_e32 v52, v44
	v_min_u32_e32 v54, 32, v52
	v_subrev_u32_e32 v52, 28, v54
	v_lshlrev_b64 v[52:53], v52, v[42:43]
	v_lshrrev_b32_e32 v51, 3, v45
	v_sub_u32_e32 v42, 29, v54
	v_and_b32_e32 v52, 7, v52
	v_cmp_gt_u32_e32 vcc, 8, v45
	v_cndmask_b32_e32 v42, v51, v42, vcc
	v_cndmask_b32_e32 v44, v44, v52, vcc
	v_lshlrev_b32_e32 v45, 16, v22
	v_bfrev_b32_e32 v51, 60
	v_lshlrev_b32_e32 v44, 20, v44
	v_and_b32_e32 v45, 0x80000000, v45
	v_lshl_add_u32 v42, v42, 23, v51
	v_or3_b32 v44, v45, v42, v44
.LBB574_309:
	s_or_b64 exec, exec, s[12:13]
.LBB574_310:
	s_or_b64 exec, exec, s[10:11]
.LBB574_311:
	s_or_b64 exec, exec, s[2:3]
	s_movk_i32 s2, 0xff
	v_and_b32_sdwa v45, v22, s2 dst_sel:DWORD dst_unused:UNUSED_PAD src0_sel:WORD_1 src1_sel:DWORD
	v_lshrrev_b32_e32 v42, 16, v22
	v_cmp_ne_u16_e32 vcc, 0, v45
	s_and_saveexec_b64 s[2:3], vcc
	s_cbranch_execz .LBB574_317
; %bb.312:
	s_movk_i32 s10, 0x80
	v_cmp_ne_u16_e32 vcc, s10, v45
	v_bfrev_b32_e32 v43, 1
	s_and_saveexec_b64 s[10:11], vcc
	s_cbranch_execz .LBB574_316
; %bb.313:
	v_bfe_u32 v45, v22, 16, 7
	s_movk_i32 s12, 0x7f
	v_cmp_ne_u32_e32 vcc, s12, v45
	v_mov_b32_e32 v43, 0x7f800001
	s_and_saveexec_b64 s[12:13], vcc
	s_cbranch_execz .LBB574_315
; %bb.314:
	v_and_b32_e32 v51, 7, v42
	v_ffbh_u32_e32 v43, v51
	v_min_u32_e32 v53, 32, v43
	v_subrev_u32_e32 v43, 28, v53
	v_lshlrev_b64 v[42:43], v43, v[42:43]
	v_lshrrev_b32_e32 v52, 3, v45
	v_sub_u32_e32 v43, 29, v53
	v_and_b32_e32 v42, 7, v42
	v_cmp_gt_u32_e32 vcc, 8, v45
	v_mov_b32_e32 v45, 24
	v_cndmask_b32_e32 v43, v52, v43, vcc
	v_cndmask_b32_e32 v42, v51, v42, vcc
	v_lshlrev_b32_sdwa v45, v45, v22 dst_sel:DWORD dst_unused:UNUSED_PAD src0_sel:DWORD src1_sel:WORD_1
	v_bfrev_b32_e32 v51, 60
	v_lshlrev_b32_e32 v42, 20, v42
	v_and_b32_e32 v45, 0x80000000, v45
	v_lshl_add_u32 v43, v43, 23, v51
	v_or3_b32 v43, v45, v43, v42
.LBB574_315:
	s_or_b64 exec, exec, s[12:13]
.LBB574_316:
	s_or_b64 exec, exec, s[10:11]
.LBB574_317:
	s_or_b64 exec, exec, s[2:3]
	s_mov_b32 s2, 0xffffff
	v_cmp_lt_u32_e32 vcc, s2, v22
	v_mov_b32_e32 v45, 0
	v_mov_b32_e32 v51, 0
	s_and_saveexec_b64 s[2:3], vcc
	s_cbranch_execz .LBB574_323
; %bb.318:
	v_lshrrev_b32_e32 v42, 24, v22
	s_movk_i32 s10, 0x80
	v_cmp_ne_u32_e32 vcc, s10, v42
	v_bfrev_b32_e32 v51, 1
	s_and_saveexec_b64 s[10:11], vcc
	s_cbranch_execz .LBB574_322
; %bb.319:
	v_bfe_u32 v22, v22, 24, 7
	s_movk_i32 s12, 0x7f
	v_cmp_ne_u32_e32 vcc, s12, v22
	v_mov_b32_e32 v51, 0x7f800001
	s_and_saveexec_b64 s[12:13], vcc
	s_cbranch_execz .LBB574_321
; %bb.320:
	v_and_b32_e32 v51, 7, v42
	v_ffbh_u32_e32 v52, v51
	v_min_u32_e32 v55, 32, v52
	v_subrev_u32_e32 v52, 28, v55
	v_lshlrev_b64 v[52:53], v52, v[42:43]
	v_lshrrev_b32_e32 v54, 3, v22
	v_sub_u32_e32 v53, 29, v55
	v_and_b32_e32 v52, 7, v52
	v_cmp_gt_u32_e32 vcc, 8, v22
	v_cndmask_b32_e32 v22, v54, v53, vcc
	v_cndmask_b32_e32 v51, v51, v52, vcc
	v_lshlrev_b32_e32 v42, 24, v42
	v_bfrev_b32_e32 v52, 60
	v_lshlrev_b32_e32 v51, 20, v51
	v_and_b32_e32 v42, 0x80000000, v42
	v_lshl_add_u32 v22, v22, 23, v52
	v_or3_b32 v51, v42, v22, v51
.LBB574_321:
	s_or_b64 exec, exec, s[12:13]
.LBB574_322:
	s_or_b64 exec, exec, s[10:11]
.LBB574_323:
	s_or_b64 exec, exec, s[2:3]
	v_cmp_ne_u16_sdwa s[10:11], v23, v45 src0_sel:BYTE_0 src1_sel:DWORD
	s_and_saveexec_b64 s[2:3], s[10:11]
	s_cbranch_execz .LBB574_329
; %bb.324:
	s_movk_i32 s10, 0x80
	v_cmp_ne_u16_sdwa s[12:13], v23, s10 src0_sel:BYTE_0 src1_sel:DWORD
	v_bfrev_b32_e32 v45, 1
	s_and_saveexec_b64 s[10:11], s[12:13]
	s_cbranch_execz .LBB574_328
; %bb.325:
	s_movk_i32 s12, 0x7f
	v_and_b32_e32 v22, 0x7f, v23
	v_cmp_ne_u32_e32 vcc, s12, v22
	v_mov_b32_e32 v45, 0x7f800001
	s_and_saveexec_b64 s[12:13], vcc
	s_cbranch_execz .LBB574_327
; %bb.326:
	v_and_b32_e32 v45, 7, v23
	v_ffbh_u32_e32 v52, v45
	v_min_u32_e32 v55, 32, v52
	v_mov_b32_e32 v42, v23
	v_subrev_u32_e32 v52, 28, v55
	v_lshlrev_b64 v[52:53], v52, v[42:43]
	v_lshrrev_b32_e32 v54, 3, v22
	v_sub_u32_e32 v42, 29, v55
	v_and_b32_e32 v52, 7, v52
	v_cmp_gt_u32_e32 vcc, 8, v22
	v_cndmask_b32_e32 v22, v54, v42, vcc
	v_cndmask_b32_e32 v42, v45, v52, vcc
	v_lshlrev_b32_e32 v45, 24, v23
	v_bfrev_b32_e32 v52, 60
	v_lshlrev_b32_e32 v42, 20, v42
	v_and_b32_e32 v45, 0x80000000, v45
	v_lshl_add_u32 v22, v22, 23, v52
	v_or3_b32 v45, v45, v22, v42
.LBB574_327:
	s_or_b64 exec, exec, s[12:13]
.LBB574_328:
	s_or_b64 exec, exec, s[10:11]
.LBB574_329:
	s_or_b64 exec, exec, s[2:3]
	v_lshrrev_b16_e32 v22, 8, v23
	v_cmp_ne_u16_e32 vcc, 0, v22
	v_mov_b32_e32 v52, 0
	v_mov_b32_e32 v53, 0
	s_and_saveexec_b64 s[2:3], vcc
	s_cbranch_execz .LBB574_335
; %bb.330:
	s_movk_i32 s10, 0x80
	v_cmp_ne_u16_e32 vcc, s10, v22
	v_bfrev_b32_e32 v53, 1
	s_and_saveexec_b64 s[10:11], vcc
	s_cbranch_execz .LBB574_334
; %bb.331:
	s_movk_i32 s12, 0x7f
	v_and_b32_e32 v42, 0x7f, v22
	v_cmp_ne_u32_e32 vcc, s12, v42
	v_mov_b32_e32 v53, 0x7f800001
	s_and_saveexec_b64 s[12:13], vcc
	s_cbranch_execz .LBB574_333
; %bb.332:
	v_and_b32_e32 v53, 7, v22
	v_ffbh_u32_e32 v54, v53
	v_min_u32_e32 v57, 32, v54
	v_subrev_u32_e32 v54, 28, v57
	v_lshlrev_b64 v[54:55], v54, v[22:23]
	v_lshrrev_b32_e32 v56, 3, v42
	v_sub_u32_e32 v22, 29, v57
	v_and_b32_e32 v54, 7, v54
	v_cmp_gt_u32_e32 vcc, 8, v42
	v_cndmask_b32_e32 v22, v56, v22, vcc
	v_cndmask_b32_e32 v42, v53, v54, vcc
	v_lshlrev_b32_e32 v53, 16, v23
	v_bfrev_b32_e32 v54, 60
	v_lshlrev_b32_e32 v42, 20, v42
	v_and_b32_e32 v53, 0x80000000, v53
	v_lshl_add_u32 v22, v22, 23, v54
	v_or3_b32 v53, v53, v22, v42
.LBB574_333:
	s_or_b64 exec, exec, s[12:13]
.LBB574_334:
	s_or_b64 exec, exec, s[10:11]
.LBB574_335:
	s_or_b64 exec, exec, s[2:3]
	s_movk_i32 s2, 0xff
	v_and_b32_sdwa v42, v23, s2 dst_sel:DWORD dst_unused:UNUSED_PAD src0_sel:WORD_1 src1_sel:DWORD
	v_lshrrev_b32_e32 v22, 16, v23
	v_cmp_ne_u16_e32 vcc, 0, v42
	s_and_saveexec_b64 s[2:3], vcc
	s_cbranch_execz .LBB574_341
; %bb.336:
	s_movk_i32 s10, 0x80
	v_cmp_ne_u16_e32 vcc, s10, v42
	v_bfrev_b32_e32 v52, 1
	s_and_saveexec_b64 s[10:11], vcc
	s_cbranch_execz .LBB574_340
; %bb.337:
	v_bfe_u32 v42, v23, 16, 7
	s_movk_i32 s12, 0x7f
	v_cmp_ne_u32_e32 vcc, s12, v42
	v_mov_b32_e32 v52, 0x7f800001
	s_and_saveexec_b64 s[12:13], vcc
	s_cbranch_execz .LBB574_339
; %bb.338:
	v_and_b32_e32 v52, 7, v22
	v_ffbh_u32_e32 v54, v52
	v_min_u32_e32 v57, 32, v54
	v_subrev_u32_e32 v54, 28, v57
	v_lshlrev_b64 v[54:55], v54, v[22:23]
	v_and_b32_e32 v54, 7, v54
	v_cmp_gt_u32_e32 vcc, 8, v42
	v_lshrrev_b32_e32 v56, 3, v42
	v_sub_u32_e32 v22, 29, v57
	v_cndmask_b32_e32 v42, v52, v54, vcc
	v_mov_b32_e32 v52, 24
	v_cndmask_b32_e32 v22, v56, v22, vcc
	v_lshlrev_b32_sdwa v52, v52, v23 dst_sel:DWORD dst_unused:UNUSED_PAD src0_sel:DWORD src1_sel:WORD_1
	v_bfrev_b32_e32 v54, 60
	v_lshlrev_b32_e32 v42, 20, v42
	v_and_b32_e32 v52, 0x80000000, v52
	v_lshl_add_u32 v22, v22, 23, v54
	v_or3_b32 v52, v52, v22, v42
.LBB574_339:
	s_or_b64 exec, exec, s[12:13]
.LBB574_340:
	s_or_b64 exec, exec, s[10:11]
.LBB574_341:
	s_or_b64 exec, exec, s[2:3]
	s_mov_b32 s2, 0xffffff
	v_cmp_lt_u32_e32 vcc, s2, v23
	v_mov_b32_e32 v42, 0
	v_mov_b32_e32 v54, 0
	s_and_saveexec_b64 s[2:3], vcc
	s_cbranch_execz .LBB574_347
; %bb.342:
	v_lshrrev_b32_e32 v22, 24, v23
	s_movk_i32 s10, 0x80
	v_cmp_ne_u32_e32 vcc, s10, v22
	v_bfrev_b32_e32 v54, 1
	s_and_saveexec_b64 s[10:11], vcc
	s_cbranch_execz .LBB574_346
; %bb.343:
	v_bfe_u32 v23, v23, 24, 7
	s_movk_i32 s12, 0x7f
	v_cmp_ne_u32_e32 vcc, s12, v23
	v_mov_b32_e32 v54, 0x7f800001
	s_and_saveexec_b64 s[12:13], vcc
	s_cbranch_execz .LBB574_345
; %bb.344:
	v_and_b32_e32 v56, 7, v22
	v_ffbh_u32_e32 v54, v56
	v_min_u32_e32 v58, 32, v54
	v_subrev_u32_e32 v54, 28, v58
	v_lshlrev_b64 v[54:55], v54, v[22:23]
	v_lshrrev_b32_e32 v57, 3, v23
	v_sub_u32_e32 v55, 29, v58
	v_and_b32_e32 v54, 7, v54
	v_cmp_gt_u32_e32 vcc, 8, v23
	v_cndmask_b32_e32 v23, v57, v55, vcc
	v_cndmask_b32_e32 v54, v56, v54, vcc
	v_lshlrev_b32_e32 v22, 24, v22
	v_bfrev_b32_e32 v55, 60
	v_lshlrev_b32_e32 v54, 20, v54
	v_and_b32_e32 v22, 0x80000000, v22
	v_lshl_add_u32 v23, v23, 23, v55
	v_or3_b32 v54, v22, v23, v54
.LBB574_345:
	s_or_b64 exec, exec, s[12:13]
.LBB574_346:
	s_or_b64 exec, exec, s[10:11]
.LBB574_347:
	s_or_b64 exec, exec, s[2:3]
	v_cvt_pkrtz_f16_f32 v22, v50, v44
	v_cvt_pkrtz_f16_f32 v23, v43, v51
	v_cmp_ne_u16_sdwa s[10:11], v24, v42 src0_sel:BYTE_0 src1_sel:DWORD
	s_nop 0
	v_mfma_f32_16x16x16f16 v[56:59], v[22:23], v[26:27], 0
	v_cvt_pkrtz_f16_f32 v22, v45, v53
	v_cvt_pkrtz_f16_f32 v23, v52, v54
	s_nop 1
	v_mfma_f32_16x16x16f16 v[26:29], v[22:23], v[28:29], v[56:59]
	s_and_saveexec_b64 s[2:3], s[10:11]
	s_cbranch_execz .LBB574_353
; %bb.348:
	s_movk_i32 s10, 0x80
	v_cmp_ne_u16_sdwa s[12:13], v24, s10 src0_sel:BYTE_0 src1_sel:DWORD
	v_bfrev_b32_e32 v42, 1
	s_and_saveexec_b64 s[10:11], s[12:13]
	s_cbranch_execz .LBB574_352
; %bb.349:
	s_movk_i32 s12, 0x7f
	v_and_b32_e32 v22, 0x7f, v24
	v_cmp_ne_u32_e32 vcc, s12, v22
	v_mov_b32_e32 v42, 0x7f800001
	s_and_saveexec_b64 s[12:13], vcc
	s_cbranch_execz .LBB574_351
; %bb.350:
	v_and_b32_e32 v23, 7, v24
	v_ffbh_u32_e32 v42, v23
	v_min_u32_e32 v45, 32, v42
	v_subrev_u32_e32 v42, 28, v45
	v_lshlrev_b64 v[42:43], v42, v[24:25]
	v_lshrrev_b32_e32 v44, 3, v22
	v_sub_u32_e32 v43, 29, v45
	v_and_b32_e32 v42, 7, v42
	v_cmp_gt_u32_e32 vcc, 8, v22
	v_cndmask_b32_e32 v22, v44, v43, vcc
	v_cndmask_b32_e32 v23, v23, v42, vcc
	v_lshlrev_b32_e32 v42, 24, v24
	v_bfrev_b32_e32 v43, 60
	v_lshlrev_b32_e32 v23, 20, v23
	v_and_b32_e32 v42, 0x80000000, v42
	v_lshl_add_u32 v22, v22, 23, v43
	v_or3_b32 v42, v42, v22, v23
.LBB574_351:
	s_or_b64 exec, exec, s[12:13]
.LBB574_352:
	s_or_b64 exec, exec, s[10:11]
.LBB574_353:
	s_or_b64 exec, exec, s[2:3]
	v_lshrrev_b16_e32 v22, 8, v24
	v_cmp_ne_u16_e32 vcc, 0, v22
	v_mov_b32_e32 v23, 0
	v_mov_b32_e32 v43, 0
	s_and_saveexec_b64 s[2:3], vcc
	s_cbranch_execz .LBB574_359
; %bb.354:
	s_movk_i32 s10, 0x80
	v_cmp_ne_u16_e32 vcc, s10, v22
	v_bfrev_b32_e32 v43, 1
	s_and_saveexec_b64 s[10:11], vcc
	s_cbranch_execz .LBB574_358
; %bb.355:
	s_movk_i32 s12, 0x7f
	v_and_b32_e32 v44, 0x7f, v22
	v_cmp_ne_u32_e32 vcc, s12, v44
	v_mov_b32_e32 v43, 0x7f800001
	s_and_saveexec_b64 s[12:13], vcc
	s_cbranch_execz .LBB574_357
; %bb.356:
	v_and_b32_e32 v43, 7, v22
	v_ffbh_u32_e32 v50, v43
	v_min_u32_e32 v52, 32, v50
	v_subrev_u32_e32 v50, 28, v52
	v_lshlrev_b64 v[50:51], v50, v[22:23]
	v_lshrrev_b32_e32 v45, 3, v44
	v_sub_u32_e32 v22, 29, v52
	v_and_b32_e32 v50, 7, v50
	v_cmp_gt_u32_e32 vcc, 8, v44
	v_cndmask_b32_e32 v22, v45, v22, vcc
	v_cndmask_b32_e32 v43, v43, v50, vcc
	v_lshlrev_b32_e32 v44, 16, v24
	v_bfrev_b32_e32 v45, 60
	v_lshlrev_b32_e32 v43, 20, v43
	v_and_b32_e32 v44, 0x80000000, v44
	v_lshl_add_u32 v22, v22, 23, v45
	v_or3_b32 v43, v44, v22, v43
.LBB574_357:
	s_or_b64 exec, exec, s[12:13]
.LBB574_358:
	s_or_b64 exec, exec, s[10:11]
.LBB574_359:
	s_or_b64 exec, exec, s[2:3]
	s_movk_i32 s2, 0xff
	v_and_b32_sdwa v44, v24, s2 dst_sel:DWORD dst_unused:UNUSED_PAD src0_sel:WORD_1 src1_sel:DWORD
	v_lshrrev_b32_e32 v22, 16, v24
	v_cmp_ne_u16_e32 vcc, 0, v44
	s_and_saveexec_b64 s[2:3], vcc
	s_cbranch_execz .LBB574_365
; %bb.360:
	s_movk_i32 s10, 0x80
	v_cmp_ne_u16_e32 vcc, s10, v44
	v_bfrev_b32_e32 v23, 1
	s_and_saveexec_b64 s[10:11], vcc
	s_cbranch_execz .LBB574_364
; %bb.361:
	v_bfe_u32 v44, v24, 16, 7
	s_movk_i32 s12, 0x7f
	v_cmp_ne_u32_e32 vcc, s12, v44
	v_mov_b32_e32 v23, 0x7f800001
	s_and_saveexec_b64 s[12:13], vcc
	s_cbranch_execz .LBB574_363
; %bb.362:
	v_and_b32_e32 v45, 7, v22
	v_ffbh_u32_e32 v23, v45
	v_min_u32_e32 v51, 32, v23
	v_subrev_u32_e32 v23, 28, v51
	v_lshlrev_b64 v[22:23], v23, v[22:23]
	v_lshrrev_b32_e32 v50, 3, v44
	v_sub_u32_e32 v23, 29, v51
	v_and_b32_e32 v22, 7, v22
	v_cmp_gt_u32_e32 vcc, 8, v44
	v_mov_b32_e32 v44, 24
	v_cndmask_b32_e32 v23, v50, v23, vcc
	v_cndmask_b32_e32 v22, v45, v22, vcc
	v_lshlrev_b32_sdwa v44, v44, v24 dst_sel:DWORD dst_unused:UNUSED_PAD src0_sel:DWORD src1_sel:WORD_1
	v_bfrev_b32_e32 v45, 60
	v_lshlrev_b32_e32 v22, 20, v22
	v_and_b32_e32 v44, 0x80000000, v44
	v_lshl_add_u32 v23, v23, 23, v45
	v_or3_b32 v23, v44, v23, v22
.LBB574_363:
	s_or_b64 exec, exec, s[12:13]
.LBB574_364:
	s_or_b64 exec, exec, s[10:11]
.LBB574_365:
	s_or_b64 exec, exec, s[2:3]
	s_mov_b32 s2, 0xffffff
	v_cmp_lt_u32_e32 vcc, s2, v24
	v_mov_b32_e32 v44, 0
	v_mov_b32_e32 v45, 0
	s_and_saveexec_b64 s[2:3], vcc
	s_cbranch_execz .LBB574_371
; %bb.366:
	v_lshrrev_b32_e32 v22, 24, v24
	s_movk_i32 s10, 0x80
	v_cmp_ne_u32_e32 vcc, s10, v22
	v_bfrev_b32_e32 v45, 1
	s_and_saveexec_b64 s[10:11], vcc
	s_cbranch_execz .LBB574_370
; %bb.367:
	v_bfe_u32 v24, v24, 24, 7
	s_movk_i32 s12, 0x7f
	v_cmp_ne_u32_e32 vcc, s12, v24
	v_mov_b32_e32 v45, 0x7f800001
	s_and_saveexec_b64 s[12:13], vcc
	s_cbranch_execz .LBB574_369
; %bb.368:
	v_and_b32_e32 v45, 7, v22
	v_ffbh_u32_e32 v50, v45
	v_min_u32_e32 v53, 32, v50
	v_subrev_u32_e32 v50, 28, v53
	v_lshlrev_b64 v[50:51], v50, v[22:23]
	v_lshrrev_b32_e32 v52, 3, v24
	v_sub_u32_e32 v51, 29, v53
	v_and_b32_e32 v50, 7, v50
	v_cmp_gt_u32_e32 vcc, 8, v24
	v_cndmask_b32_e32 v24, v52, v51, vcc
	v_cndmask_b32_e32 v45, v45, v50, vcc
	v_lshlrev_b32_e32 v22, 24, v22
	v_bfrev_b32_e32 v50, 60
	v_lshlrev_b32_e32 v45, 20, v45
	v_and_b32_e32 v22, 0x80000000, v22
	v_lshl_add_u32 v24, v24, 23, v50
	v_or3_b32 v45, v22, v24, v45
.LBB574_369:
	s_or_b64 exec, exec, s[12:13]
.LBB574_370:
	s_or_b64 exec, exec, s[10:11]
.LBB574_371:
	s_or_b64 exec, exec, s[2:3]
	v_cmp_ne_u16_sdwa s[10:11], v25, v44 src0_sel:BYTE_0 src1_sel:DWORD
	s_and_saveexec_b64 s[2:3], s[10:11]
	s_cbranch_execz .LBB574_377
; %bb.372:
	s_movk_i32 s10, 0x80
	v_cmp_ne_u16_sdwa s[12:13], v25, s10 src0_sel:BYTE_0 src1_sel:DWORD
	v_bfrev_b32_e32 v44, 1
	s_and_saveexec_b64 s[10:11], s[12:13]
	s_cbranch_execz .LBB574_376
; %bb.373:
	s_movk_i32 s12, 0x7f
	v_and_b32_e32 v22, 0x7f, v25
	v_cmp_ne_u32_e32 vcc, s12, v22
	v_mov_b32_e32 v44, 0x7f800001
	s_and_saveexec_b64 s[12:13], vcc
	s_cbranch_execz .LBB574_375
; %bb.374:
	v_and_b32_e32 v44, 7, v25
	v_ffbh_u32_e32 v50, v44
	v_min_u32_e32 v53, 32, v50
	v_mov_b32_e32 v24, v25
	v_subrev_u32_e32 v50, 28, v53
	v_lshlrev_b64 v[50:51], v50, v[24:25]
	v_lshrrev_b32_e32 v52, 3, v22
	v_sub_u32_e32 v24, 29, v53
	v_and_b32_e32 v50, 7, v50
	v_cmp_gt_u32_e32 vcc, 8, v22
	v_cndmask_b32_e32 v22, v52, v24, vcc
	v_cndmask_b32_e32 v24, v44, v50, vcc
	v_lshlrev_b32_e32 v44, 24, v25
	v_bfrev_b32_e32 v50, 60
	v_lshlrev_b32_e32 v24, 20, v24
	v_and_b32_e32 v44, 0x80000000, v44
	v_lshl_add_u32 v22, v22, 23, v50
	v_or3_b32 v44, v44, v22, v24
.LBB574_375:
	s_or_b64 exec, exec, s[12:13]
.LBB574_376:
	s_or_b64 exec, exec, s[10:11]
.LBB574_377:
	s_or_b64 exec, exec, s[2:3]
	v_lshrrev_b16_e32 v22, 8, v25
	v_cmp_ne_u16_e32 vcc, 0, v22
	v_mov_b32_e32 v24, 0
	v_mov_b32_e32 v51, 0
	s_and_saveexec_b64 s[2:3], vcc
	s_cbranch_execz .LBB574_383
; %bb.378:
	s_movk_i32 s10, 0x80
	v_cmp_ne_u16_e32 vcc, s10, v22
	v_bfrev_b32_e32 v51, 1
	s_and_saveexec_b64 s[10:11], vcc
	s_cbranch_execz .LBB574_382
; %bb.379:
	s_movk_i32 s12, 0x7f
	v_and_b32_e32 v50, 0x7f, v22
	v_cmp_ne_u32_e32 vcc, s12, v50
	v_mov_b32_e32 v51, 0x7f800001
	s_and_saveexec_b64 s[12:13], vcc
	s_cbranch_execz .LBB574_381
; %bb.380:
	v_and_b32_e32 v51, 7, v22
	v_ffbh_u32_e32 v52, v51
	v_min_u32_e32 v55, 32, v52
	v_subrev_u32_e32 v52, 28, v55
	v_lshlrev_b64 v[52:53], v52, v[22:23]
	v_lshrrev_b32_e32 v54, 3, v50
	v_sub_u32_e32 v22, 29, v55
	v_and_b32_e32 v52, 7, v52
	v_cmp_gt_u32_e32 vcc, 8, v50
	v_cndmask_b32_e32 v22, v54, v22, vcc
	v_cndmask_b32_e32 v50, v51, v52, vcc
	v_lshlrev_b32_e32 v51, 16, v25
	v_bfrev_b32_e32 v52, 60
	v_lshlrev_b32_e32 v50, 20, v50
	v_and_b32_e32 v51, 0x80000000, v51
	v_lshl_add_u32 v22, v22, 23, v52
	v_or3_b32 v51, v51, v22, v50
.LBB574_381:
	s_or_b64 exec, exec, s[12:13]
.LBB574_382:
	s_or_b64 exec, exec, s[10:11]
.LBB574_383:
	s_or_b64 exec, exec, s[2:3]
	s_movk_i32 s2, 0xff
	v_and_b32_sdwa v50, v25, s2 dst_sel:DWORD dst_unused:UNUSED_PAD src0_sel:WORD_1 src1_sel:DWORD
	v_lshrrev_b32_e32 v22, 16, v25
	v_cmp_ne_u16_e32 vcc, 0, v50
	s_and_saveexec_b64 s[2:3], vcc
	s_cbranch_execz .LBB574_389
; %bb.384:
	s_movk_i32 s10, 0x80
	v_cmp_ne_u16_e32 vcc, s10, v50
	v_bfrev_b32_e32 v24, 1
	s_and_saveexec_b64 s[10:11], vcc
	s_cbranch_execz .LBB574_388
; %bb.385:
	v_bfe_u32 v50, v25, 16, 7
	s_movk_i32 s12, 0x7f
	v_cmp_ne_u32_e32 vcc, s12, v50
	v_mov_b32_e32 v24, 0x7f800001
	s_and_saveexec_b64 s[12:13], vcc
	s_cbranch_execz .LBB574_387
; %bb.386:
	v_and_b32_e32 v24, 7, v22
	v_ffbh_u32_e32 v52, v24
	v_min_u32_e32 v55, 32, v52
	v_subrev_u32_e32 v52, 28, v55
	v_lshlrev_b64 v[52:53], v52, v[22:23]
	v_lshrrev_b32_e32 v54, 3, v50
	v_sub_u32_e32 v22, 29, v55
	v_and_b32_e32 v52, 7, v52
	v_cmp_gt_u32_e32 vcc, 8, v50
	v_mov_b32_e32 v50, 24
	v_cndmask_b32_e32 v22, v54, v22, vcc
	v_cndmask_b32_e32 v24, v24, v52, vcc
	v_lshlrev_b32_sdwa v50, v50, v25 dst_sel:DWORD dst_unused:UNUSED_PAD src0_sel:DWORD src1_sel:WORD_1
	v_bfrev_b32_e32 v52, 60
	v_lshlrev_b32_e32 v24, 20, v24
	v_and_b32_e32 v50, 0x80000000, v50
	v_lshl_add_u32 v22, v22, 23, v52
	v_or3_b32 v24, v50, v22, v24
.LBB574_387:
	s_or_b64 exec, exec, s[12:13]
.LBB574_388:
	s_or_b64 exec, exec, s[10:11]
.LBB574_389:
	s_or_b64 exec, exec, s[2:3]
	s_mov_b32 s2, 0xffffff
	v_and_b32_e32 v50, 63, v0
	v_cmp_lt_u32_e32 vcc, s2, v25
	v_mov_b32_e32 v52, 0
	s_and_saveexec_b64 s[2:3], vcc
	s_cbranch_execz .LBB574_395
; %bb.390:
	v_lshrrev_b32_e32 v22, 24, v25
	s_movk_i32 s10, 0x80
	v_cmp_ne_u32_e32 vcc, s10, v22
	v_bfrev_b32_e32 v52, 1
	s_and_saveexec_b64 s[10:11], vcc
	s_cbranch_execz .LBB574_394
; %bb.391:
	v_bfe_u32 v25, v25, 24, 7
	s_movk_i32 s12, 0x7f
	v_cmp_ne_u32_e32 vcc, s12, v25
	v_mov_b32_e32 v52, 0x7f800001
	s_and_saveexec_b64 s[12:13], vcc
	s_cbranch_execz .LBB574_393
; %bb.392:
	v_and_b32_e32 v54, 7, v22
	v_ffbh_u32_e32 v52, v54
	v_min_u32_e32 v56, 32, v52
	v_subrev_u32_e32 v52, 28, v56
	v_lshlrev_b64 v[52:53], v52, v[22:23]
	v_lshrrev_b32_e32 v55, 3, v25
	v_sub_u32_e32 v53, 29, v56
	v_and_b32_e32 v52, 7, v52
	v_cmp_gt_u32_e32 vcc, 8, v25
	v_cndmask_b32_e32 v25, v55, v53, vcc
	v_cndmask_b32_e32 v52, v54, v52, vcc
	v_lshlrev_b32_e32 v22, 24, v22
	v_bfrev_b32_e32 v53, 60
	v_lshlrev_b32_e32 v52, 20, v52
	v_and_b32_e32 v22, 0x80000000, v22
	v_lshl_add_u32 v25, v25, 23, v53
	v_or3_b32 v52, v22, v25, v52
.LBB574_393:
	s_or_b64 exec, exec, s[12:13]
.LBB574_394:
	s_or_b64 exec, exec, s[10:11]
.LBB574_395:
	s_or_b64 exec, exec, s[2:3]
	v_cvt_pkrtz_f16_f32 v42, v42, v43
	v_cvt_pkrtz_f16_f32 v43, v23, v45
	s_load_dword s2, s[4:5], 0x1c
	s_mov_b32 s46, 0xff7fffff
	s_waitcnt lgkmcnt(0)
	v_mfma_f32_16x16x16f16 v[26:29], v[42:43], v[18:19], v[26:29]
	v_cvt_pkrtz_f16_f32 v18, v44, v51
	v_cvt_pkrtz_f16_f32 v19, v24, v52
	v_and_b32_e32 v24, 0xc0, v0
	v_mov_b32_e32 v22, s2
	v_add_u32_e32 v24, s20, v24
	v_mul_f32_e32 v54, s14, v22
	v_lshl_or_b32 v42, v46, 2, v24
	v_mfma_f32_16x16x16f16 v[18:21], v[18:19], v[20:21], v[26:29]
	v_pk_mul_f32 v[22:23], v[54:55], v[36:37] op_sel_hi:[0,1]
	v_pk_mul_f32 v[36:37], v[54:55], v[40:41] op_sel_hi:[0,1]
	v_pk_mul_f32 v[40:41], v[54:55], v[32:33] op_sel_hi:[0,1]
	v_pk_mul_f32 v[30:31], v[54:55], v[30:31] op_sel_hi:[0,1]
	v_mov_b32_e32 v43, 0xff7fffff
	v_cmp_gt_i32_e64 s[26:27], s33, v42
	v_pk_mul_f32 v[38:39], v[54:55], v[38:39] op_sel_hi:[0,1]
	s_nop 3
	v_pk_mul_f32 v[32:33], v[54:55], v[18:19] op_sel_hi:[0,1]
	v_or_b32_e32 v19, 1, v42
	v_cmp_gt_i32_e64 s[28:29], s33, v19
	v_cndmask_b32_e64 v18, v43, v30, s[26:27]
	v_cndmask_b32_e64 v19, v43, v31, s[28:29]
	v_pk_mul_f32 v[24:25], v[54:55], v[20:21] op_sel_hi:[0,1]
	v_max3_f32 v18, v18, s46, v19
	v_or_b32_e32 v19, 2, v42
	v_or_b32_e32 v20, 3, v42
	v_cmp_gt_i32_e64 s[30:31], s33, v19
	v_cmp_gt_i32_e64 s[34:35], s33, v20
	v_cndmask_b32_e64 v19, v43, v40, s[30:31]
	v_cndmask_b32_e64 v20, v43, v41, s[34:35]
	v_max3_f32 v18, v18, v19, v20
	v_or_b32_e32 v19, 16, v42
	v_or_b32_e32 v20, 17, v42
	v_cmp_gt_i32_e64 s[36:37], s33, v19
	v_cmp_gt_i32_e64 s[38:39], s33, v20
	v_cndmask_b32_e64 v19, v43, v38, s[36:37]
	v_cndmask_b32_e64 v20, v43, v39, s[38:39]
	;; [unrolled: 7-line block ×3, first 2 shown]
	v_max3_f32 v18, v18, v19, v20
	v_or_b32_e32 v19, 32, v42
	v_or_b32_e32 v20, 33, v42
	v_pk_mul_f32 v[34:35], v[54:55], v[34:35] op_sel_hi:[0,1]
	v_cmp_gt_i32_e64 s[16:17], s33, v19
	v_cmp_gt_i32_e64 s[18:19], s33, v20
	v_cndmask_b32_e64 v19, v43, v34, s[16:17]
	v_cndmask_b32_e64 v20, v43, v35, s[18:19]
	v_max3_f32 v18, v18, v19, v20
	v_or_b32_e32 v19, 34, v42
	v_or_b32_e32 v20, 35, v42
	v_cmp_gt_i32_e64 s[12:13], s33, v19
	v_cmp_gt_i32_e64 s[14:15], s33, v20
	v_cndmask_b32_e64 v19, v43, v22, s[12:13]
	v_cndmask_b32_e64 v20, v43, v23, s[14:15]
	v_max3_f32 v18, v18, v19, v20
	v_or_b32_e32 v19, 48, v42
	v_or_b32_e32 v20, 49, v42
	;; [unrolled: 7-line block ×3, first 2 shown]
	v_cmp_gt_i32_e32 vcc, s33, v19
	v_cmp_gt_i32_e64 s[2:3], s33, v20
	v_cndmask_b32_e32 v19, v43, v24, vcc
	v_cndmask_b32_e64 v20, v43, v25, s[2:3]
	v_max3_f32 v18, v18, v19, v20
	v_mbcnt_lo_u32_b32 v19, -1, 0
	v_mbcnt_hi_u32_b32 v19, -1, v19
	v_and_b32_e32 v20, 64, v19
	v_add_u32_e32 v20, 64, v20
	v_xor_b32_e32 v21, 32, v19
	v_cmp_lt_i32_e64 s[40:41], v21, v20
	v_cndmask_b32_e64 v21, v19, v21, s[40:41]
	v_lshlrev_b32_e32 v43, 2, v21
	ds_bpermute_b32 v21, v43, v18
	s_barrier
	s_waitcnt lgkmcnt(0)
	v_max_f32_e32 v21, v21, v21
	v_max_f32_e32 v18, v18, v21
	v_xor_b32_e32 v21, 16, v19
	v_cmp_lt_i32_e64 s[40:41], v21, v20
	v_cndmask_b32_e64 v19, v19, v21, s[40:41]
	v_lshlrev_b32_e32 v44, 2, v19
	ds_bpermute_b32 v19, v44, v18
	s_waitcnt lgkmcnt(0)
	v_max_f32_e32 v19, v19, v19
	v_max_f32_e32 v42, v18, v19
	v_sub_f32_e32 v21, v40, v42
	v_sub_f32_e32 v26, v41, v42
	v_mul_f32_e32 v21, 0x3fb8aa3b, v21
	v_mul_f32_e32 v26, 0x3fb8aa3b, v26
	v_sub_f32_e32 v18, v30, v42
	v_exp_f32_e32 v21, v21
	v_exp_f32_e32 v26, v26
	v_mul_f32_e32 v18, 0x3fb8aa3b, v18
	v_sub_f32_e32 v19, v31, v42
	v_exp_f32_e32 v18, v18
	v_mul_f32_e32 v19, 0x3fb8aa3b, v19
	v_exp_f32_e32 v19, v19
	v_cndmask_b32_e64 v28, 0, v21, s[30:31]
	v_cndmask_b32_e64 v29, 0, v26, s[34:35]
	v_sub_f32_e32 v21, v38, v42
	v_sub_f32_e32 v26, v39, v42
	v_mul_f32_e32 v21, 0x3fb8aa3b, v21
	v_mul_f32_e32 v26, 0x3fb8aa3b, v26
	v_cndmask_b32_e64 v18, 0, v18, s[26:27]
	v_exp_f32_e32 v21, v21
	v_exp_f32_e32 v26, v26
	v_add_f32_e32 v20, 0, v18
	v_cndmask_b32_e64 v19, 0, v19, s[28:29]
	v_add_f32_e32 v20, v20, v19
	v_add_f32_e32 v20, v20, v28
	;; [unrolled: 1-line block ×3, first 2 shown]
	v_cndmask_b32_e64 v20, 0, v21, s[36:37]
	v_cndmask_b32_e64 v21, 0, v26, s[38:39]
	v_sub_f32_e32 v26, v36, v42
	v_mul_f32_e32 v26, 0x3fb8aa3b, v26
	v_exp_f32_e32 v26, v26
	v_sub_f32_e32 v30, v37, v42
	v_add_f32_e32 v27, v27, v20
	v_mul_f32_e32 v30, 0x3fb8aa3b, v30
	v_exp_f32_e32 v31, v30
	v_add_f32_e32 v27, v27, v21
	v_cndmask_b32_e64 v30, 0, v26, s[20:21]
	v_add_f32_e32 v26, v27, v30
	v_sub_f32_e32 v27, v34, v42
	v_mul_f32_e32 v27, 0x3fb8aa3b, v27
	v_sub_f32_e32 v34, v35, v42
	v_exp_f32_e32 v27, v27
	v_mul_f32_e32 v34, 0x3fb8aa3b, v34
	v_sub_f32_e32 v22, v22, v42
	v_exp_f32_e32 v34, v34
	;; [unrolled: 3-line block ×3, first 2 shown]
	v_mul_f32_e32 v23, 0x3fb8aa3b, v23
	v_cndmask_b32_e64 v31, 0, v31, s[22:23]
	v_exp_f32_e32 v23, v23
	v_add_f32_e32 v35, v26, v31
	v_cndmask_b32_e64 v26, 0, v27, s[16:17]
	v_add_f32_e32 v35, v35, v26
	v_cndmask_b32_e64 v27, 0, v34, s[18:19]
	v_add_f32_e32 v35, v35, v27
	v_cndmask_b32_e64 v34, 0, v22, s[12:13]
	v_add_f32_e32 v22, v35, v34
	v_cndmask_b32_e64 v35, 0, v23, s[14:15]
	v_sub_f32_e32 v23, v32, v42
	v_mul_f32_e32 v23, 0x3fb8aa3b, v23
	v_sub_f32_e32 v32, v33, v42
	v_exp_f32_e32 v23, v23
	v_mul_f32_e32 v32, 0x3fb8aa3b, v32
	v_sub_f32_e32 v24, v24, v42
	v_exp_f32_e32 v32, v32
	;; [unrolled: 3-line block ×3, first 2 shown]
	v_mul_f32_e32 v25, 0x3fb8aa3b, v25
	v_exp_f32_e32 v25, v25
	v_add_f32_e32 v33, v22, v35
	v_cndmask_b32_e64 v22, 0, v23, s[24:25]
	v_add_f32_e32 v33, v33, v22
	v_cndmask_b32_e64 v23, 0, v32, s[10:11]
	v_add_f32_e32 v32, v33, v23
	v_cndmask_b32_e32 v24, 0, v24, vcc
	v_add_f32_e32 v32, v32, v24
	v_cndmask_b32_e64 v25, 0, v25, s[2:3]
	v_add_f32_e32 v32, v32, v25
	ds_bpermute_b32 v33, v43, v32
	v_cmp_gt_u32_e64 s[2:3], 16, v50
	s_waitcnt lgkmcnt(0)
	v_add_f32_e32 v33, v32, v33
	ds_bpermute_b32 v36, v44, v33
	v_lshlrev_b32_e32 v32, 2, v49
	s_and_saveexec_b64 s[10:11], s[2:3]
	s_cbranch_execz .LBB574_397
; %bb.396:
	s_waitcnt lgkmcnt(0)
	v_add_f32_e32 v33, v33, v36
	v_lshl_or_b32 v36, v48, 6, v32
	ds_write2st64_b32 v36, v42, v33 offset1:1
.LBB574_397:
	s_or_b64 exec, exec, s[10:11]
	s_waitcnt lgkmcnt(0)
	s_barrier
	ds_read2_b32 v[36:37], v32 offset1:16
	ds_read2_b32 v[38:39], v32 offset0:32 offset1:48
	ds_read2_b32 v[40:41], v32 offset0:64 offset1:80
	;; [unrolled: 1-line block ×3, first 2 shown]
	s_waitcnt lgkmcnt(0)
	v_max3_f32 v33, v36, s46, v37
	v_max3_f32 v33, v33, v38, v39
	v_sub_f32_e32 v36, v36, v33
	v_mul_f32_e32 v36, 0x3fb8aa3b, v36
	v_exp_f32_e32 v44, v36
	v_sub_f32_e32 v36, v37, v33
	v_mul_f32_e32 v36, 0x3fb8aa3b, v36
	v_exp_f32_e32 v37, v36
	v_sub_f32_e32 v36, v38, v33
	v_mul_f32_e32 v36, 0x3fb8aa3b, v36
	v_sub_f32_e32 v32, v39, v33
	v_exp_f32_e32 v38, v36
	v_mul_f32_e32 v32, 0x3fb8aa3b, v32
	v_exp_f32_e32 v39, v32
	v_fma_f32 v36, v44, v40, 0
	v_fmac_f32_e32 v36, v37, v41
	v_fmac_f32_e32 v36, v38, v42
	;; [unrolled: 1-line block ×3, first 2 shown]
	v_add_f32_e32 v40, 0x358637bd, v36
	v_div_scale_f32 v41, s[10:11], v40, v40, 1.0
	v_rcp_f32_e32 v42, v41
	s_barrier
	v_mov_b32_e32 v32, 0
	v_fma_f32 v43, -v41, v42, 1.0
	v_fmac_f32_e32 v42, v43, v42
	v_div_scale_f32 v43, vcc, 1.0, v40, 1.0
	v_mul_f32_e32 v45, v43, v42
	v_fma_f32 v50, -v41, v45, v43
	v_fmac_f32_e32 v45, v50, v42
	v_fma_f32 v41, -v41, v45, v43
	v_div_fmas_f32 v41, v41, v42, v45
	v_cmp_eq_u32_e32 vcc, 1, v48
	v_cndmask_b32_e32 v37, v44, v37, vcc
	v_cmp_eq_u32_e32 vcc, 2, v48
	v_cndmask_b32_e32 v37, v37, v38, vcc
	v_cmp_eq_u32_e32 vcc, 3, v48
	v_div_fixup_f32 v40, v41, v40, 1.0
	v_cndmask_b32_e32 v37, v37, v39, vcc
	v_mul_f32_e32 v38, v37, v40
	v_pk_mul_f32 v[28:29], v[38:39], v[28:29] op_sel_hi:[0,1]
	v_cvt_f16_f32_e32 v28, v28
	v_cvt_f16_f32_e32 v29, v29
	v_pk_mul_f32 v[18:19], v[38:39], v[18:19] op_sel_hi:[0,1]
	v_cvt_f16_f32_e32 v18, v18
	v_cvt_f16_f32_e32 v19, v19
	v_pack_b32_f16 v41, v28, v29
	v_pk_mul_f32 v[28:29], v[38:39], v[30:31] op_sel_hi:[0,1]
	v_pk_mul_f32 v[20:21], v[38:39], v[20:21] op_sel_hi:[0,1]
	v_cvt_f16_f32_e32 v20, v20
	v_cvt_f16_f32_e32 v21, v21
	v_cvt_f16_f32_e32 v30, v28
	v_cvt_f16_f32_e32 v29, v29
	v_pack_b32_f16 v40, v18, v19
	v_lshlrev_b32_e32 v18, 3, v46
	v_lshlrev_b32_e32 v19, 5, v49
	v_lshlrev_b32_e32 v28, 11, v48
	v_or3_b32 v28, v28, v19, v18
	v_pack_b32_f16 v20, v20, v21
	v_pack_b32_f16 v21, v30, v29
	ds_write2st64_b64 v28, v[40:41], v[20:21] offset1:1
	v_pk_mul_f32 v[20:21], v[38:39], v[34:35] op_sel_hi:[0,1]
	v_pk_mul_f32 v[26:27], v[38:39], v[26:27] op_sel_hi:[0,1]
	v_cvt_f16_f32_e32 v18, v26
	v_cvt_f16_f32_e32 v26, v27
	v_cvt_f16_f32_e32 v27, v20
	v_cvt_f16_f32_e32 v29, v21
	v_pk_mul_f32 v[20:21], v[38:39], v[24:25] op_sel_hi:[0,1]
	v_pk_mul_f32 v[22:23], v[38:39], v[22:23] op_sel_hi:[0,1]
	v_cvt_f16_f32_e32 v22, v22
	v_cvt_f16_f32_e32 v23, v23
	;; [unrolled: 1-line block ×4, first 2 shown]
	v_pack_b32_f16 v20, v18, v26
	v_pack_b32_f16 v21, v27, v29
	;; [unrolled: 1-line block ×4, first 2 shown]
	v_cmp_eq_u32_e32 vcc, 0, v0
	ds_write2st64_b64 v28, v[20:21], v[22:23] offset0:2 offset1:3
	s_and_saveexec_b64 s[10:11], vcc
	s_cbranch_execz .LBB574_399
; %bb.398:
	s_mul_i32 s7, s7, s45
	s_mul_hi_u32 s16, s6, s45
	s_add_i32 s16, s16, s7
	s_mul_i32 s7, s6, s45
	s_add_u32 s7, s7, s8
	s_addc_u32 s16, s16, 0
	s_load_dwordx4 s[12:15], s[4:5], 0x58
	s_mul_i32 s16, s16, s44
	s_mul_hi_u32 s17, s7, s44
	s_add_i32 s17, s17, s16
	s_mul_i32 s7, s7, s44
	s_add_u32 s16, s7, s9
	s_addc_u32 s17, s17, 0
	s_lshl_b64 s[16:17], s[16:17], 2
	s_waitcnt lgkmcnt(0)
	s_add_u32 s14, s14, s16
	s_addc_u32 s15, s15, s17
	s_add_u32 s12, s12, s16
	v_mov_b32_e32 v18, 0
	s_addc_u32 s13, s13, s17
	global_store_dword v18, v33, s[14:15]
	global_store_dword v18, v36, s[12:13]
.LBB574_399:
	s_or_b64 exec, exec, s[10:11]
	v_mov_b32_e32 v20, 0
	s_waitcnt vmcnt(3)
	v_cmp_ne_u16_sdwa s[12:13], v14, v20 src0_sel:BYTE_0 src1_sel:DWORD
	s_waitcnt lgkmcnt(0)
	s_barrier
	s_and_saveexec_b64 s[10:11], s[12:13]
	s_cbranch_execz .LBB574_405
; %bb.400:
	s_movk_i32 s7, 0x80
	v_cmp_ne_u16_sdwa s[14:15], v14, s7 src0_sel:BYTE_0 src1_sel:DWORD
	v_bfrev_b32_e32 v32, 1
	s_and_saveexec_b64 s[12:13], s[14:15]
	s_cbranch_execz .LBB574_404
; %bb.401:
	s_movk_i32 s7, 0x7f
	v_and_b32_e32 v18, 0x7f, v14
	v_cmp_ne_u32_e32 vcc, s7, v18
	v_mov_b32_e32 v32, 0x7f800001
	s_and_saveexec_b64 s[14:15], vcc
	s_cbranch_execz .LBB574_403
; %bb.402:
	v_and_b32_e32 v21, 7, v14
	v_ffbh_u32_e32 v22, v21
	v_min_u32_e32 v25, 32, v22
	v_subrev_u32_e32 v22, 28, v25
	v_lshlrev_b64 v[22:23], v22, v[14:15]
	v_lshrrev_b32_e32 v24, 3, v18
	v_sub_u32_e32 v23, 29, v25
	v_and_b32_e32 v22, 7, v22
	v_cmp_gt_u32_e32 vcc, 8, v18
	v_cndmask_b32_e32 v18, v24, v23, vcc
	v_cndmask_b32_e32 v21, v21, v22, vcc
	v_lshlrev_b32_e32 v22, 24, v14
	v_bfrev_b32_e32 v23, 60
	v_lshlrev_b32_e32 v21, 20, v21
	v_and_b32_e32 v22, 0x80000000, v22
	v_lshl_add_u32 v18, v18, 23, v23
	v_or3_b32 v32, v22, v18, v21
.LBB574_403:
	s_or_b64 exec, exec, s[14:15]
.LBB574_404:
	s_or_b64 exec, exec, s[12:13]
.LBB574_405:
	s_or_b64 exec, exec, s[10:11]
	v_lshrrev_b16_e32 v18, 8, v14
	v_cmp_ne_u16_e32 vcc, 0, v18
	v_mov_b32_e32 v21, 0
	s_and_saveexec_b64 s[10:11], vcc
	s_cbranch_execz .LBB574_411
; %bb.406:
	s_movk_i32 s7, 0x80
	v_cmp_ne_u16_e32 vcc, s7, v18
	v_bfrev_b32_e32 v21, 1
	s_and_saveexec_b64 s[12:13], vcc
	s_cbranch_execz .LBB574_410
; %bb.407:
	s_movk_i32 s7, 0x7f
	v_and_b32_e32 v22, 0x7f, v18
	v_cmp_ne_u32_e32 vcc, s7, v22
	v_mov_b32_e32 v21, 0x7f800001
	s_and_saveexec_b64 s[14:15], vcc
	s_cbranch_execz .LBB574_409
; %bb.408:
	v_and_b32_e32 v21, 7, v18
	v_ffbh_u32_e32 v24, v21
	v_min_u32_e32 v26, 32, v24
	v_subrev_u32_e32 v24, 28, v26
	v_lshlrev_b64 v[24:25], v24, v[18:19]
	v_lshrrev_b32_e32 v23, 3, v22
	v_sub_u32_e32 v18, 29, v26
	v_and_b32_e32 v24, 7, v24
	v_cmp_gt_u32_e32 vcc, 8, v22
	v_cndmask_b32_e32 v18, v23, v18, vcc
	v_cndmask_b32_e32 v21, v21, v24, vcc
	v_lshlrev_b32_e32 v22, 16, v14
	v_bfrev_b32_e32 v23, 60
	v_lshlrev_b32_e32 v21, 20, v21
	v_and_b32_e32 v22, 0x80000000, v22
	v_lshl_add_u32 v18, v18, 23, v23
	v_or3_b32 v21, v22, v18, v21
.LBB574_409:
	s_or_b64 exec, exec, s[14:15]
.LBB574_410:
	s_or_b64 exec, exec, s[12:13]
.LBB574_411:
	s_or_b64 exec, exec, s[10:11]
	s_movk_i32 s7, 0xff
	v_and_b32_sdwa v22, v14, s7 dst_sel:DWORD dst_unused:UNUSED_PAD src0_sel:WORD_1 src1_sel:DWORD
	v_lshrrev_b32_e32 v18, 16, v14
	v_cmp_ne_u16_e32 vcc, 0, v22
	s_and_saveexec_b64 s[10:11], vcc
	s_cbranch_execz .LBB574_417
; %bb.412:
	s_movk_i32 s7, 0x80
	v_cmp_ne_u16_e32 vcc, s7, v22
	v_bfrev_b32_e32 v20, 1
	s_and_saveexec_b64 s[12:13], vcc
	s_cbranch_execz .LBB574_416
; %bb.413:
	v_bfe_u32 v22, v14, 16, 7
	s_movk_i32 s7, 0x7f
	v_cmp_ne_u32_e32 vcc, s7, v22
	v_mov_b32_e32 v20, 0x7f800001
	s_and_saveexec_b64 s[14:15], vcc
	s_cbranch_execz .LBB574_415
; %bb.414:
	v_and_b32_e32 v20, 7, v18
	v_ffbh_u32_e32 v24, v20
	v_min_u32_e32 v26, 32, v24
	v_subrev_u32_e32 v24, 28, v26
	v_lshlrev_b64 v[24:25], v24, v[18:19]
	v_lshrrev_b32_e32 v23, 3, v22
	v_sub_u32_e32 v18, 29, v26
	v_and_b32_e32 v24, 7, v24
	v_cmp_gt_u32_e32 vcc, 8, v22
	v_mov_b32_e32 v22, 24
	v_cndmask_b32_e32 v18, v23, v18, vcc
	v_cndmask_b32_e32 v20, v20, v24, vcc
	v_lshlrev_b32_sdwa v22, v22, v14 dst_sel:DWORD dst_unused:UNUSED_PAD src0_sel:DWORD src1_sel:WORD_1
	v_bfrev_b32_e32 v23, 60
	v_lshlrev_b32_e32 v20, 20, v20
	v_and_b32_e32 v22, 0x80000000, v22
	v_lshl_add_u32 v18, v18, 23, v23
	v_or3_b32 v20, v22, v18, v20
.LBB574_415:
	s_or_b64 exec, exec, s[14:15]
.LBB574_416:
	s_or_b64 exec, exec, s[12:13]
.LBB574_417:
	s_or_b64 exec, exec, s[10:11]
	s_mov_b32 s7, 0xffffff
	v_cmp_lt_u32_e32 vcc, s7, v14
	v_mov_b32_e32 v24, 0
	v_mov_b32_e32 v22, 0
	s_and_saveexec_b64 s[10:11], vcc
	s_cbranch_execz .LBB574_423
; %bb.418:
	v_lshrrev_b32_e32 v18, 24, v14
	s_movk_i32 s7, 0x80
	v_cmp_ne_u32_e32 vcc, s7, v18
	v_bfrev_b32_e32 v22, 1
	s_and_saveexec_b64 s[12:13], vcc
	s_cbranch_execz .LBB574_422
; %bb.419:
	v_bfe_u32 v14, v14, 24, 7
	s_movk_i32 s7, 0x7f
	v_cmp_ne_u32_e32 vcc, s7, v14
	v_mov_b32_e32 v22, 0x7f800001
	s_and_saveexec_b64 s[14:15], vcc
	s_cbranch_execz .LBB574_421
; %bb.420:
	v_and_b32_e32 v25, 7, v18
	v_ffbh_u32_e32 v22, v25
	v_min_u32_e32 v27, 32, v22
	v_subrev_u32_e32 v22, 28, v27
	v_lshlrev_b64 v[22:23], v22, v[18:19]
	v_lshrrev_b32_e32 v26, 3, v14
	v_sub_u32_e32 v23, 29, v27
	v_and_b32_e32 v22, 7, v22
	v_cmp_gt_u32_e32 vcc, 8, v14
	v_cndmask_b32_e32 v14, v26, v23, vcc
	v_cndmask_b32_e32 v22, v25, v22, vcc
	v_lshlrev_b32_e32 v18, 24, v18
	v_bfrev_b32_e32 v23, 60
	v_lshlrev_b32_e32 v22, 20, v22
	v_and_b32_e32 v18, 0x80000000, v18
	v_lshl_add_u32 v14, v14, 23, v23
	v_or3_b32 v22, v18, v14, v22
.LBB574_421:
	s_or_b64 exec, exec, s[14:15]
.LBB574_422:
	s_or_b64 exec, exec, s[12:13]
.LBB574_423:
	s_or_b64 exec, exec, s[10:11]
	v_cmp_ne_u16_sdwa s[12:13], v15, v24 src0_sel:BYTE_0 src1_sel:DWORD
	s_and_saveexec_b64 s[10:11], s[12:13]
	s_cbranch_execz .LBB574_429
; %bb.424:
	s_movk_i32 s7, 0x80
	v_cmp_ne_u16_sdwa s[14:15], v15, s7 src0_sel:BYTE_0 src1_sel:DWORD
	v_bfrev_b32_e32 v24, 1
	s_and_saveexec_b64 s[12:13], s[14:15]
	s_cbranch_execz .LBB574_428
; %bb.425:
	s_movk_i32 s7, 0x7f
	v_and_b32_e32 v14, 0x7f, v15
	v_cmp_ne_u32_e32 vcc, s7, v14
	v_mov_b32_e32 v24, 0x7f800001
	s_and_saveexec_b64 s[14:15], vcc
	s_cbranch_execz .LBB574_427
; %bb.426:
	v_and_b32_e32 v23, 7, v15
	v_ffbh_u32_e32 v24, v23
	v_min_u32_e32 v27, 32, v24
	v_mov_b32_e32 v18, v15
	v_subrev_u32_e32 v24, 28, v27
	v_lshlrev_b64 v[24:25], v24, v[18:19]
	v_lshrrev_b32_e32 v26, 3, v14
	v_sub_u32_e32 v18, 29, v27
	v_and_b32_e32 v24, 7, v24
	v_cmp_gt_u32_e32 vcc, 8, v14
	v_cndmask_b32_e32 v14, v26, v18, vcc
	v_cndmask_b32_e32 v18, v23, v24, vcc
	v_lshlrev_b32_e32 v23, 24, v15
	v_bfrev_b32_e32 v24, 60
	v_lshlrev_b32_e32 v18, 20, v18
	v_and_b32_e32 v23, 0x80000000, v23
	v_lshl_add_u32 v14, v14, 23, v24
	v_or3_b32 v24, v23, v14, v18
.LBB574_427:
	s_or_b64 exec, exec, s[14:15]
.LBB574_428:
	s_or_b64 exec, exec, s[12:13]
.LBB574_429:
	s_or_b64 exec, exec, s[10:11]
	v_lshrrev_b16_e32 v14, 8, v15
	v_cmp_ne_u16_e32 vcc, 0, v14
	v_mov_b32_e32 v18, 0
	v_mov_b32_e32 v25, 0
	s_and_saveexec_b64 s[10:11], vcc
	s_cbranch_execz .LBB574_435
; %bb.430:
	s_movk_i32 s7, 0x80
	v_cmp_ne_u16_e32 vcc, s7, v14
	v_bfrev_b32_e32 v25, 1
	s_and_saveexec_b64 s[12:13], vcc
	s_cbranch_execz .LBB574_434
; %bb.431:
	s_movk_i32 s7, 0x7f
	v_and_b32_e32 v23, 0x7f, v14
	v_cmp_ne_u32_e32 vcc, s7, v23
	v_mov_b32_e32 v25, 0x7f800001
	s_and_saveexec_b64 s[14:15], vcc
	s_cbranch_execz .LBB574_433
; %bb.432:
	v_and_b32_e32 v25, 7, v14
	v_ffbh_u32_e32 v26, v25
	v_min_u32_e32 v30, 32, v26
	v_subrev_u32_e32 v26, 28, v30
	v_lshlrev_b64 v[26:27], v26, v[14:15]
	v_lshrrev_b32_e32 v29, 3, v23
	v_sub_u32_e32 v14, 29, v30
	v_and_b32_e32 v26, 7, v26
	v_cmp_gt_u32_e32 vcc, 8, v23
	v_cndmask_b32_e32 v14, v29, v14, vcc
	v_cndmask_b32_e32 v23, v25, v26, vcc
	v_lshlrev_b32_e32 v25, 16, v15
	v_bfrev_b32_e32 v26, 60
	v_lshlrev_b32_e32 v23, 20, v23
	v_and_b32_e32 v25, 0x80000000, v25
	v_lshl_add_u32 v14, v14, 23, v26
	v_or3_b32 v25, v25, v14, v23
.LBB574_433:
	s_or_b64 exec, exec, s[14:15]
.LBB574_434:
	s_or_b64 exec, exec, s[12:13]
.LBB574_435:
	s_or_b64 exec, exec, s[10:11]
	s_movk_i32 s7, 0xff
	v_and_b32_sdwa v23, v15, s7 dst_sel:DWORD dst_unused:UNUSED_PAD src0_sel:WORD_1 src1_sel:DWORD
	v_lshrrev_b32_e32 v14, 16, v15
	v_cmp_ne_u16_e32 vcc, 0, v23
	s_and_saveexec_b64 s[10:11], vcc
	s_cbranch_execz .LBB574_441
; %bb.436:
	s_movk_i32 s7, 0x80
	v_cmp_ne_u16_e32 vcc, s7, v23
	v_bfrev_b32_e32 v18, 1
	s_and_saveexec_b64 s[12:13], vcc
	s_cbranch_execz .LBB574_440
; %bb.437:
	v_bfe_u32 v23, v15, 16, 7
	s_movk_i32 s7, 0x7f
	v_cmp_ne_u32_e32 vcc, s7, v23
	v_mov_b32_e32 v18, 0x7f800001
	s_and_saveexec_b64 s[14:15], vcc
	s_cbranch_execz .LBB574_439
; %bb.438:
	v_and_b32_e32 v18, 7, v14
	v_ffbh_u32_e32 v26, v18
	v_min_u32_e32 v30, 32, v26
	v_subrev_u32_e32 v26, 28, v30
	v_lshlrev_b64 v[26:27], v26, v[14:15]
	v_lshrrev_b32_e32 v29, 3, v23
	v_sub_u32_e32 v14, 29, v30
	v_and_b32_e32 v26, 7, v26
	v_cmp_gt_u32_e32 vcc, 8, v23
	v_mov_b32_e32 v23, 24
	v_cndmask_b32_e32 v14, v29, v14, vcc
	v_cndmask_b32_e32 v18, v18, v26, vcc
	v_lshlrev_b32_sdwa v23, v23, v15 dst_sel:DWORD dst_unused:UNUSED_PAD src0_sel:DWORD src1_sel:WORD_1
	v_bfrev_b32_e32 v26, 60
	v_lshlrev_b32_e32 v18, 20, v18
	v_and_b32_e32 v23, 0x80000000, v23
	v_lshl_add_u32 v14, v14, 23, v26
	v_or3_b32 v18, v23, v14, v18
.LBB574_439:
	s_or_b64 exec, exec, s[14:15]
.LBB574_440:
	s_or_b64 exec, exec, s[12:13]
.LBB574_441:
	s_or_b64 exec, exec, s[10:11]
	s_mov_b32 s7, 0xffffff
	v_cmp_lt_u32_e32 vcc, s7, v15
	v_mov_b32_e32 v23, 0
	v_mov_b32_e32 v26, 0
	s_and_saveexec_b64 s[10:11], vcc
	s_cbranch_execz .LBB574_447
; %bb.442:
	v_lshrrev_b32_e32 v14, 24, v15
	s_movk_i32 s7, 0x80
	v_cmp_ne_u32_e32 vcc, s7, v14
	v_bfrev_b32_e32 v26, 1
	s_and_saveexec_b64 s[12:13], vcc
	s_cbranch_execz .LBB574_446
; %bb.443:
	v_bfe_u32 v15, v15, 24, 7
	s_movk_i32 s7, 0x7f
	v_cmp_ne_u32_e32 vcc, s7, v15
	v_mov_b32_e32 v26, 0x7f800001
	s_and_saveexec_b64 s[14:15], vcc
	s_cbranch_execz .LBB574_445
; %bb.444:
	v_and_b32_e32 v29, 7, v14
	v_ffbh_u32_e32 v26, v29
	v_min_u32_e32 v31, 32, v26
	v_subrev_u32_e32 v26, 28, v31
	v_lshlrev_b64 v[26:27], v26, v[14:15]
	v_lshrrev_b32_e32 v30, 3, v15
	v_sub_u32_e32 v27, 29, v31
	v_and_b32_e32 v26, 7, v26
	v_cmp_gt_u32_e32 vcc, 8, v15
	v_cndmask_b32_e32 v15, v30, v27, vcc
	v_cndmask_b32_e32 v26, v29, v26, vcc
	v_lshlrev_b32_e32 v14, 24, v14
	v_bfrev_b32_e32 v27, 60
	v_lshlrev_b32_e32 v26, 20, v26
	v_and_b32_e32 v14, 0x80000000, v14
	v_lshl_add_u32 v15, v15, 23, v27
	v_or3_b32 v26, v14, v15, v26
.LBB574_445:
	s_or_b64 exec, exec, s[14:15]
.LBB574_446:
	s_or_b64 exec, exec, s[12:13]
.LBB574_447:
	s_or_b64 exec, exec, s[10:11]
	v_cvt_pkrtz_f16_f32 v15, v20, v22
	v_lshl_or_b32 v22, v46, 9, v19
	v_cvt_pkrtz_f16_f32 v14, v32, v21
	ds_read_b128 v[30:33], v22
	v_cmp_ne_u16_sdwa s[12:13], v16, v23 src0_sel:BYTE_0 src1_sel:DWORD
	s_waitcnt lgkmcnt(0)
	v_mfma_f32_16x16x16f16 v[34:37], v[14:15], v[30:31], 0
	v_cvt_pkrtz_f16_f32 v14, v24, v25
	v_cvt_pkrtz_f16_f32 v15, v18, v26
	s_nop 1
	v_mfma_f32_16x16x16f16 v[18:21], v[14:15], v[32:33], v[34:37]
	s_and_saveexec_b64 s[10:11], s[12:13]
	s_cbranch_execz .LBB574_453
; %bb.448:
	s_movk_i32 s7, 0x80
	v_cmp_ne_u16_sdwa s[14:15], v16, s7 src0_sel:BYTE_0 src1_sel:DWORD
	v_bfrev_b32_e32 v23, 1
	s_and_saveexec_b64 s[12:13], s[14:15]
	s_cbranch_execz .LBB574_452
; %bb.449:
	s_movk_i32 s7, 0x7f
	v_and_b32_e32 v14, 0x7f, v16
	v_cmp_ne_u32_e32 vcc, s7, v14
	v_mov_b32_e32 v23, 0x7f800001
	s_and_saveexec_b64 s[14:15], vcc
	s_cbranch_execz .LBB574_451
; %bb.450:
	v_and_b32_e32 v15, 7, v16
	v_ffbh_u32_e32 v24, v15
	v_min_u32_e32 v26, 32, v24
	v_subrev_u32_e32 v24, 28, v26
	v_lshlrev_b64 v[24:25], v24, v[16:17]
	v_lshrrev_b32_e32 v23, 3, v14
	v_sub_u32_e32 v25, 29, v26
	v_and_b32_e32 v24, 7, v24
	v_cmp_gt_u32_e32 vcc, 8, v14
	v_cndmask_b32_e32 v14, v23, v25, vcc
	v_cndmask_b32_e32 v15, v15, v24, vcc
	v_lshlrev_b32_e32 v23, 24, v16
	v_bfrev_b32_e32 v24, 60
	v_lshlrev_b32_e32 v15, 20, v15
	v_and_b32_e32 v23, 0x80000000, v23
	v_lshl_add_u32 v14, v14, 23, v24
	v_or3_b32 v23, v23, v14, v15
.LBB574_451:
	s_or_b64 exec, exec, s[14:15]
.LBB574_452:
	s_or_b64 exec, exec, s[12:13]
.LBB574_453:
	s_or_b64 exec, exec, s[10:11]
	v_lshrrev_b16_e32 v14, 8, v16
	v_cmp_ne_u16_e32 vcc, 0, v14
	v_mov_b32_e32 v15, 0
	v_mov_b32_e32 v25, 0
	s_and_saveexec_b64 s[10:11], vcc
	s_cbranch_execz .LBB574_459
; %bb.454:
	s_movk_i32 s7, 0x80
	v_cmp_ne_u16_e32 vcc, s7, v14
	v_bfrev_b32_e32 v25, 1
	s_and_saveexec_b64 s[12:13], vcc
	s_cbranch_execz .LBB574_458
; %bb.455:
	s_movk_i32 s7, 0x7f
	v_and_b32_e32 v24, 0x7f, v14
	v_cmp_ne_u32_e32 vcc, s7, v24
	v_mov_b32_e32 v25, 0x7f800001
	s_and_saveexec_b64 s[14:15], vcc
	s_cbranch_execz .LBB574_457
; %bb.456:
	v_and_b32_e32 v25, 7, v14
	v_ffbh_u32_e32 v26, v25
	v_min_u32_e32 v30, 32, v26
	v_subrev_u32_e32 v26, 28, v30
	v_lshlrev_b64 v[26:27], v26, v[14:15]
	v_lshrrev_b32_e32 v29, 3, v24
	v_sub_u32_e32 v14, 29, v30
	v_and_b32_e32 v26, 7, v26
	v_cmp_gt_u32_e32 vcc, 8, v24
	v_cndmask_b32_e32 v14, v29, v14, vcc
	v_cndmask_b32_e32 v24, v25, v26, vcc
	v_lshlrev_b32_e32 v25, 16, v16
	v_bfrev_b32_e32 v26, 60
	v_lshlrev_b32_e32 v24, 20, v24
	v_and_b32_e32 v25, 0x80000000, v25
	v_lshl_add_u32 v14, v14, 23, v26
	v_or3_b32 v25, v25, v14, v24
.LBB574_457:
	s_or_b64 exec, exec, s[14:15]
.LBB574_458:
	s_or_b64 exec, exec, s[12:13]
.LBB574_459:
	s_or_b64 exec, exec, s[10:11]
	s_movk_i32 s7, 0xff
	v_and_b32_sdwa v24, v16, s7 dst_sel:DWORD dst_unused:UNUSED_PAD src0_sel:WORD_1 src1_sel:DWORD
	v_lshrrev_b32_e32 v14, 16, v16
	v_cmp_ne_u16_e32 vcc, 0, v24
	s_and_saveexec_b64 s[10:11], vcc
	s_cbranch_execz .LBB574_465
; %bb.460:
	s_movk_i32 s7, 0x80
	v_cmp_ne_u16_e32 vcc, s7, v24
	v_bfrev_b32_e32 v15, 1
	s_and_saveexec_b64 s[12:13], vcc
	s_cbranch_execz .LBB574_464
; %bb.461:
	v_bfe_u32 v24, v16, 16, 7
	s_movk_i32 s7, 0x7f
	v_cmp_ne_u32_e32 vcc, s7, v24
	v_mov_b32_e32 v15, 0x7f800001
	s_and_saveexec_b64 s[14:15], vcc
	s_cbranch_execz .LBB574_463
; %bb.462:
	v_and_b32_e32 v26, 7, v14
	v_ffbh_u32_e32 v15, v26
	v_min_u32_e32 v29, 32, v15
	v_subrev_u32_e32 v15, 28, v29
	v_lshlrev_b64 v[14:15], v15, v[14:15]
	v_lshrrev_b32_e32 v27, 3, v24
	v_sub_u32_e32 v15, 29, v29
	v_and_b32_e32 v14, 7, v14
	v_cmp_gt_u32_e32 vcc, 8, v24
	v_mov_b32_e32 v24, 24
	v_cndmask_b32_e32 v15, v27, v15, vcc
	v_cndmask_b32_e32 v14, v26, v14, vcc
	v_lshlrev_b32_sdwa v24, v24, v16 dst_sel:DWORD dst_unused:UNUSED_PAD src0_sel:DWORD src1_sel:WORD_1
	v_bfrev_b32_e32 v26, 60
	v_lshlrev_b32_e32 v14, 20, v14
	v_and_b32_e32 v24, 0x80000000, v24
	v_lshl_add_u32 v15, v15, 23, v26
	v_or3_b32 v15, v24, v15, v14
.LBB574_463:
	s_or_b64 exec, exec, s[14:15]
.LBB574_464:
	s_or_b64 exec, exec, s[12:13]
.LBB574_465:
	s_or_b64 exec, exec, s[10:11]
	s_mov_b32 s7, 0xffffff
	v_cmp_lt_u32_e32 vcc, s7, v16
	v_mov_b32_e32 v26, 0
	v_mov_b32_e32 v27, 0
	s_and_saveexec_b64 s[10:11], vcc
	s_cbranch_execz .LBB574_471
; %bb.466:
	v_lshrrev_b32_e32 v14, 24, v16
	s_movk_i32 s7, 0x80
	v_cmp_ne_u32_e32 vcc, s7, v14
	v_bfrev_b32_e32 v27, 1
	s_and_saveexec_b64 s[12:13], vcc
	s_cbranch_execz .LBB574_470
; %bb.467:
	v_bfe_u32 v16, v16, 24, 7
	s_movk_i32 s7, 0x7f
	v_cmp_ne_u32_e32 vcc, s7, v16
	v_mov_b32_e32 v27, 0x7f800001
	s_and_saveexec_b64 s[14:15], vcc
	s_cbranch_execz .LBB574_469
; %bb.468:
	v_and_b32_e32 v24, 7, v14
	v_ffbh_u32_e32 v29, v24
	v_min_u32_e32 v29, 32, v29
	v_subrev_u32_e32 v30, 28, v29
	v_lshlrev_b64 v[30:31], v30, v[14:15]
	v_lshrrev_b32_e32 v27, 3, v16
	v_sub_u32_e32 v29, 29, v29
	v_and_b32_e32 v30, 7, v30
	v_cmp_gt_u32_e32 vcc, 8, v16
	v_cndmask_b32_e32 v16, v27, v29, vcc
	v_cndmask_b32_e32 v24, v24, v30, vcc
	v_lshlrev_b32_e32 v14, 24, v14
	v_bfrev_b32_e32 v27, 60
	v_lshlrev_b32_e32 v24, 20, v24
	v_and_b32_e32 v14, 0x80000000, v14
	v_lshl_add_u32 v16, v16, 23, v27
	v_or3_b32 v27, v14, v16, v24
.LBB574_469:
	s_or_b64 exec, exec, s[14:15]
.LBB574_470:
	s_or_b64 exec, exec, s[12:13]
.LBB574_471:
	s_or_b64 exec, exec, s[10:11]
	v_cmp_ne_u16_sdwa s[12:13], v17, v26 src0_sel:BYTE_0 src1_sel:DWORD
	s_and_saveexec_b64 s[10:11], s[12:13]
	s_cbranch_execz .LBB574_477
; %bb.472:
	s_movk_i32 s7, 0x80
	v_cmp_ne_u16_sdwa s[14:15], v17, s7 src0_sel:BYTE_0 src1_sel:DWORD
	v_bfrev_b32_e32 v26, 1
	s_and_saveexec_b64 s[12:13], s[14:15]
	s_cbranch_execz .LBB574_476
; %bb.473:
	s_movk_i32 s7, 0x7f
	v_and_b32_e32 v14, 0x7f, v17
	v_cmp_ne_u32_e32 vcc, s7, v14
	v_mov_b32_e32 v26, 0x7f800001
	s_and_saveexec_b64 s[14:15], vcc
	s_cbranch_execz .LBB574_475
; %bb.474:
	v_and_b32_e32 v24, 7, v17
	v_ffbh_u32_e32 v29, v24
	v_min_u32_e32 v29, 32, v29
	v_mov_b32_e32 v16, v17
	v_subrev_u32_e32 v30, 28, v29
	v_lshlrev_b64 v[30:31], v30, v[16:17]
	v_lshrrev_b32_e32 v26, 3, v14
	v_sub_u32_e32 v16, 29, v29
	v_and_b32_e32 v29, 7, v30
	v_cmp_gt_u32_e32 vcc, 8, v14
	v_cndmask_b32_e32 v14, v26, v16, vcc
	v_cndmask_b32_e32 v16, v24, v29, vcc
	v_lshlrev_b32_e32 v24, 24, v17
	v_bfrev_b32_e32 v26, 60
	v_lshlrev_b32_e32 v16, 20, v16
	v_and_b32_e32 v24, 0x80000000, v24
	v_lshl_add_u32 v14, v14, 23, v26
	v_or3_b32 v26, v24, v14, v16
.LBB574_475:
	s_or_b64 exec, exec, s[14:15]
.LBB574_476:
	s_or_b64 exec, exec, s[12:13]
.LBB574_477:
	s_or_b64 exec, exec, s[10:11]
	v_lshrrev_b16_e32 v14, 8, v17
	v_cmp_ne_u16_e32 vcc, 0, v14
	v_mov_b32_e32 v16, 0
	v_mov_b32_e32 v29, 0
	s_and_saveexec_b64 s[10:11], vcc
	s_cbranch_execz .LBB574_483
; %bb.478:
	s_movk_i32 s7, 0x80
	v_cmp_ne_u16_e32 vcc, s7, v14
	v_bfrev_b32_e32 v29, 1
	s_and_saveexec_b64 s[12:13], vcc
	s_cbranch_execz .LBB574_482
; %bb.479:
	s_movk_i32 s7, 0x7f
	v_and_b32_e32 v24, 0x7f, v14
	v_cmp_ne_u32_e32 vcc, s7, v24
	v_mov_b32_e32 v29, 0x7f800001
	s_and_saveexec_b64 s[14:15], vcc
	s_cbranch_execz .LBB574_481
; %bb.480:
	v_and_b32_e32 v29, 7, v14
	v_ffbh_u32_e32 v30, v29
	v_min_u32_e32 v33, 32, v30
	v_subrev_u32_e32 v30, 28, v33
	v_lshlrev_b64 v[30:31], v30, v[14:15]
	v_lshrrev_b32_e32 v32, 3, v24
	v_sub_u32_e32 v14, 29, v33
	v_and_b32_e32 v30, 7, v30
	v_cmp_gt_u32_e32 vcc, 8, v24
	v_cndmask_b32_e32 v14, v32, v14, vcc
	v_cndmask_b32_e32 v24, v29, v30, vcc
	v_lshlrev_b32_e32 v29, 16, v17
	v_bfrev_b32_e32 v30, 60
	v_lshlrev_b32_e32 v24, 20, v24
	v_and_b32_e32 v29, 0x80000000, v29
	v_lshl_add_u32 v14, v14, 23, v30
	v_or3_b32 v29, v29, v14, v24
.LBB574_481:
	s_or_b64 exec, exec, s[14:15]
.LBB574_482:
	s_or_b64 exec, exec, s[12:13]
.LBB574_483:
	s_or_b64 exec, exec, s[10:11]
	s_movk_i32 s7, 0xff
	v_and_b32_sdwa v24, v17, s7 dst_sel:DWORD dst_unused:UNUSED_PAD src0_sel:WORD_1 src1_sel:DWORD
	v_lshrrev_b32_e32 v14, 16, v17
	v_cmp_ne_u16_e32 vcc, 0, v24
	s_and_saveexec_b64 s[10:11], vcc
	s_cbranch_execz .LBB574_489
; %bb.484:
	s_movk_i32 s7, 0x80
	v_cmp_ne_u16_e32 vcc, s7, v24
	v_bfrev_b32_e32 v16, 1
	s_and_saveexec_b64 s[12:13], vcc
	s_cbranch_execz .LBB574_488
; %bb.485:
	v_bfe_u32 v24, v17, 16, 7
	s_movk_i32 s7, 0x7f
	v_cmp_ne_u32_e32 vcc, s7, v24
	v_mov_b32_e32 v16, 0x7f800001
	s_and_saveexec_b64 s[14:15], vcc
	s_cbranch_execz .LBB574_487
; %bb.486:
	v_and_b32_e32 v16, 7, v14
	v_ffbh_u32_e32 v30, v16
	v_min_u32_e32 v33, 32, v30
	v_subrev_u32_e32 v30, 28, v33
	v_lshlrev_b64 v[30:31], v30, v[14:15]
	v_lshrrev_b32_e32 v32, 3, v24
	v_sub_u32_e32 v14, 29, v33
	v_and_b32_e32 v30, 7, v30
	v_cmp_gt_u32_e32 vcc, 8, v24
	v_mov_b32_e32 v24, 24
	v_cndmask_b32_e32 v14, v32, v14, vcc
	v_cndmask_b32_e32 v16, v16, v30, vcc
	v_lshlrev_b32_sdwa v24, v24, v17 dst_sel:DWORD dst_unused:UNUSED_PAD src0_sel:DWORD src1_sel:WORD_1
	v_bfrev_b32_e32 v30, 60
	v_lshlrev_b32_e32 v16, 20, v16
	v_and_b32_e32 v24, 0x80000000, v24
	v_lshl_add_u32 v14, v14, 23, v30
	v_or3_b32 v16, v24, v14, v16
.LBB574_487:
	s_or_b64 exec, exec, s[14:15]
.LBB574_488:
	s_or_b64 exec, exec, s[12:13]
.LBB574_489:
	s_or_b64 exec, exec, s[10:11]
	s_mov_b32 s7, 0xffffff
	v_cmp_lt_u32_e32 vcc, s7, v17
	v_mov_b32_e32 v24, 0
	v_mov_b32_e32 v30, 0
	s_and_saveexec_b64 s[10:11], vcc
	s_cbranch_execz .LBB574_495
; %bb.490:
	v_lshrrev_b32_e32 v14, 24, v17
	s_movk_i32 s7, 0x80
	v_cmp_ne_u32_e32 vcc, s7, v14
	v_bfrev_b32_e32 v30, 1
	s_and_saveexec_b64 s[12:13], vcc
	s_cbranch_execz .LBB574_494
; %bb.491:
	v_bfe_u32 v17, v17, 24, 7
	s_movk_i32 s7, 0x7f
	v_cmp_ne_u32_e32 vcc, s7, v17
	v_mov_b32_e32 v30, 0x7f800001
	s_and_saveexec_b64 s[14:15], vcc
	s_cbranch_execz .LBB574_493
; %bb.492:
	v_and_b32_e32 v32, 7, v14
	v_ffbh_u32_e32 v30, v32
	v_min_u32_e32 v34, 32, v30
	v_subrev_u32_e32 v30, 28, v34
	v_lshlrev_b64 v[30:31], v30, v[14:15]
	v_lshrrev_b32_e32 v33, 3, v17
	v_sub_u32_e32 v31, 29, v34
	v_and_b32_e32 v30, 7, v30
	v_cmp_gt_u32_e32 vcc, 8, v17
	v_cndmask_b32_e32 v17, v33, v31, vcc
	v_cndmask_b32_e32 v30, v32, v30, vcc
	v_lshlrev_b32_e32 v14, 24, v14
	v_bfrev_b32_e32 v31, 60
	v_lshlrev_b32_e32 v30, 20, v30
	v_and_b32_e32 v14, 0x80000000, v14
	v_lshl_add_u32 v17, v17, 23, v31
	v_or3_b32 v30, v14, v17, v30
.LBB574_493:
	s_or_b64 exec, exec, s[14:15]
.LBB574_494:
	s_or_b64 exec, exec, s[12:13]
.LBB574_495:
	s_or_b64 exec, exec, s[10:11]
	v_cvt_pkrtz_f16_f32 v14, v23, v25
	v_cvt_pkrtz_f16_f32 v15, v15, v27
	ds_read_b128 v[32:35], v22 offset:16
	s_waitcnt vmcnt(2)
	v_cmp_ne_u16_sdwa s[12:13], v10, v24 src0_sel:BYTE_0 src1_sel:DWORD
	s_waitcnt lgkmcnt(0)
	v_mfma_f32_16x16x16f16 v[18:21], v[14:15], v[32:33], v[18:21]
	v_cvt_pkrtz_f16_f32 v14, v26, v29
	v_cvt_pkrtz_f16_f32 v15, v16, v30
	s_nop 1
	v_mfma_f32_16x16x16f16 v[14:17], v[14:15], v[34:35], v[18:21]
	s_and_saveexec_b64 s[10:11], s[12:13]
	s_cbranch_execz .LBB574_501
; %bb.496:
	s_movk_i32 s7, 0x80
	v_cmp_ne_u16_sdwa s[14:15], v10, s7 src0_sel:BYTE_0 src1_sel:DWORD
	v_bfrev_b32_e32 v24, 1
	s_and_saveexec_b64 s[12:13], s[14:15]
	s_cbranch_execz .LBB574_500
; %bb.497:
	s_movk_i32 s7, 0x7f
	v_and_b32_e32 v18, 0x7f, v10
	v_cmp_ne_u32_e32 vcc, s7, v18
	v_mov_b32_e32 v24, 0x7f800001
	s_and_saveexec_b64 s[14:15], vcc
	s_cbranch_execz .LBB574_499
; %bb.498:
	v_and_b32_e32 v19, 7, v10
	v_ffbh_u32_e32 v20, v19
	v_min_u32_e32 v24, 32, v20
	v_subrev_u32_e32 v20, 28, v24
	v_lshlrev_b64 v[20:21], v20, v[10:11]
	v_lshrrev_b32_e32 v23, 3, v18
	v_sub_u32_e32 v21, 29, v24
	v_and_b32_e32 v20, 7, v20
	v_cmp_gt_u32_e32 vcc, 8, v18
	v_cndmask_b32_e32 v18, v23, v21, vcc
	v_cndmask_b32_e32 v19, v19, v20, vcc
	v_lshlrev_b32_e32 v20, 24, v10
	v_bfrev_b32_e32 v21, 60
	v_lshlrev_b32_e32 v19, 20, v19
	v_and_b32_e32 v20, 0x80000000, v20
	v_lshl_add_u32 v18, v18, 23, v21
	v_or3_b32 v24, v20, v18, v19
.LBB574_499:
	s_or_b64 exec, exec, s[14:15]
.LBB574_500:
	s_or_b64 exec, exec, s[12:13]
.LBB574_501:
	s_or_b64 exec, exec, s[10:11]
	s_nop 3
	v_lshrrev_b16_e32 v18, 8, v10
	v_cmp_ne_u16_e32 vcc, 0, v18
	v_mov_b32_e32 v19, 0
	v_mov_b32_e32 v20, 0
	s_and_saveexec_b64 s[10:11], vcc
	s_cbranch_execz .LBB574_507
; %bb.502:
	s_movk_i32 s7, 0x80
	v_cmp_ne_u16_e32 vcc, s7, v18
	v_bfrev_b32_e32 v20, 1
	s_and_saveexec_b64 s[12:13], vcc
	s_cbranch_execz .LBB574_506
; %bb.503:
	s_movk_i32 s7, 0x7f
	v_and_b32_e32 v21, 0x7f, v18
	v_cmp_ne_u32_e32 vcc, s7, v21
	v_mov_b32_e32 v20, 0x7f800001
	s_and_saveexec_b64 s[14:15], vcc
	s_cbranch_execz .LBB574_505
; %bb.504:
	v_and_b32_e32 v20, 7, v18
	v_ffbh_u32_e32 v25, v20
	v_min_u32_e32 v25, 32, v25
	v_subrev_u32_e32 v26, 28, v25
	v_lshlrev_b64 v[26:27], v26, v[18:19]
	v_lshrrev_b32_e32 v23, 3, v21
	v_sub_u32_e32 v18, 29, v25
	v_and_b32_e32 v25, 7, v26
	v_cmp_gt_u32_e32 vcc, 8, v21
	v_cndmask_b32_e32 v18, v23, v18, vcc
	v_cndmask_b32_e32 v20, v20, v25, vcc
	v_lshlrev_b32_e32 v21, 16, v10
	v_bfrev_b32_e32 v23, 60
	v_lshlrev_b32_e32 v20, 20, v20
	v_and_b32_e32 v21, 0x80000000, v21
	v_lshl_add_u32 v18, v18, 23, v23
	v_or3_b32 v20, v21, v18, v20
.LBB574_505:
	s_or_b64 exec, exec, s[14:15]
.LBB574_506:
	s_or_b64 exec, exec, s[12:13]
.LBB574_507:
	s_or_b64 exec, exec, s[10:11]
	s_movk_i32 s7, 0xff
	v_and_b32_sdwa v21, v10, s7 dst_sel:DWORD dst_unused:UNUSED_PAD src0_sel:WORD_1 src1_sel:DWORD
	v_lshrrev_b32_e32 v18, 16, v10
	v_cmp_ne_u16_e32 vcc, 0, v21
	s_and_saveexec_b64 s[10:11], vcc
	s_cbranch_execz .LBB574_513
; %bb.508:
	s_movk_i32 s7, 0x80
	v_cmp_ne_u16_e32 vcc, s7, v21
	v_bfrev_b32_e32 v19, 1
	s_and_saveexec_b64 s[12:13], vcc
	s_cbranch_execz .LBB574_512
; %bb.509:
	v_bfe_u32 v21, v10, 16, 7
	s_movk_i32 s7, 0x7f
	v_cmp_ne_u32_e32 vcc, s7, v21
	v_mov_b32_e32 v19, 0x7f800001
	s_and_saveexec_b64 s[14:15], vcc
	s_cbranch_execz .LBB574_511
; %bb.510:
	v_and_b32_e32 v23, 7, v18
	v_ffbh_u32_e32 v19, v23
	v_min_u32_e32 v26, 32, v19
	v_subrev_u32_e32 v19, 28, v26
	v_lshlrev_b64 v[18:19], v19, v[18:19]
	v_lshrrev_b32_e32 v25, 3, v21
	v_sub_u32_e32 v19, 29, v26
	v_and_b32_e32 v18, 7, v18
	v_cmp_gt_u32_e32 vcc, 8, v21
	v_mov_b32_e32 v21, 24
	v_cndmask_b32_e32 v19, v25, v19, vcc
	v_cndmask_b32_e32 v18, v23, v18, vcc
	v_lshlrev_b32_sdwa v21, v21, v10 dst_sel:DWORD dst_unused:UNUSED_PAD src0_sel:DWORD src1_sel:WORD_1
	v_bfrev_b32_e32 v23, 60
	v_lshlrev_b32_e32 v18, 20, v18
	v_and_b32_e32 v21, 0x80000000, v21
	v_lshl_add_u32 v19, v19, 23, v23
	v_or3_b32 v19, v21, v19, v18
.LBB574_511:
	s_or_b64 exec, exec, s[14:15]
.LBB574_512:
	s_or_b64 exec, exec, s[12:13]
.LBB574_513:
	s_or_b64 exec, exec, s[10:11]
	s_mov_b32 s7, 0xffffff
	v_cmp_lt_u32_e32 vcc, s7, v10
	v_mov_b32_e32 v21, 0
	v_mov_b32_e32 v23, 0
	s_and_saveexec_b64 s[10:11], vcc
	s_cbranch_execz .LBB574_519
; %bb.514:
	v_lshrrev_b32_e32 v18, 24, v10
	s_movk_i32 s7, 0x80
	v_cmp_ne_u32_e32 vcc, s7, v18
	v_bfrev_b32_e32 v23, 1
	s_and_saveexec_b64 s[12:13], vcc
	s_cbranch_execz .LBB574_518
; %bb.515:
	v_bfe_u32 v10, v10, 24, 7
	s_movk_i32 s7, 0x7f
	v_cmp_ne_u32_e32 vcc, s7, v10
	v_mov_b32_e32 v23, 0x7f800001
	s_and_saveexec_b64 s[14:15], vcc
	s_cbranch_execz .LBB574_517
; %bb.516:
	v_and_b32_e32 v23, 7, v18
	v_ffbh_u32_e32 v26, v23
	v_min_u32_e32 v29, 32, v26
	v_subrev_u32_e32 v26, 28, v29
	v_lshlrev_b64 v[26:27], v26, v[18:19]
	v_lshrrev_b32_e32 v25, 3, v10
	v_sub_u32_e32 v27, 29, v29
	v_and_b32_e32 v26, 7, v26
	v_cmp_gt_u32_e32 vcc, 8, v10
	v_cndmask_b32_e32 v10, v25, v27, vcc
	v_cndmask_b32_e32 v23, v23, v26, vcc
	v_lshlrev_b32_e32 v18, 24, v18
	v_bfrev_b32_e32 v25, 60
	v_lshlrev_b32_e32 v23, 20, v23
	v_and_b32_e32 v18, 0x80000000, v18
	v_lshl_add_u32 v10, v10, 23, v25
	v_or3_b32 v23, v18, v10, v23
.LBB574_517:
	s_or_b64 exec, exec, s[14:15]
.LBB574_518:
	s_or_b64 exec, exec, s[12:13]
.LBB574_519:
	s_or_b64 exec, exec, s[10:11]
	v_cmp_ne_u16_sdwa s[12:13], v11, v21 src0_sel:BYTE_0 src1_sel:DWORD
	s_and_saveexec_b64 s[10:11], s[12:13]
	s_cbranch_execz .LBB574_525
; %bb.520:
	s_movk_i32 s7, 0x80
	v_cmp_ne_u16_sdwa s[14:15], v11, s7 src0_sel:BYTE_0 src1_sel:DWORD
	v_bfrev_b32_e32 v21, 1
	s_and_saveexec_b64 s[12:13], s[14:15]
	s_cbranch_execz .LBB574_524
; %bb.521:
	s_movk_i32 s7, 0x7f
	v_and_b32_e32 v10, 0x7f, v11
	v_cmp_ne_u32_e32 vcc, s7, v10
	v_mov_b32_e32 v21, 0x7f800001
	s_and_saveexec_b64 s[14:15], vcc
	s_cbranch_execz .LBB574_523
; %bb.522:
	v_and_b32_e32 v21, 7, v11
	v_ffbh_u32_e32 v26, v21
	v_min_u32_e32 v29, 32, v26
	v_mov_b32_e32 v18, v11
	v_subrev_u32_e32 v26, 28, v29
	v_lshlrev_b64 v[26:27], v26, v[18:19]
	v_lshrrev_b32_e32 v25, 3, v10
	v_sub_u32_e32 v18, 29, v29
	v_and_b32_e32 v26, 7, v26
	v_cmp_gt_u32_e32 vcc, 8, v10
	v_cndmask_b32_e32 v10, v25, v18, vcc
	v_cndmask_b32_e32 v18, v21, v26, vcc
	v_lshlrev_b32_e32 v21, 24, v11
	v_bfrev_b32_e32 v25, 60
	v_lshlrev_b32_e32 v18, 20, v18
	v_and_b32_e32 v21, 0x80000000, v21
	v_lshl_add_u32 v10, v10, 23, v25
	v_or3_b32 v21, v21, v10, v18
.LBB574_523:
	s_or_b64 exec, exec, s[14:15]
.LBB574_524:
	s_or_b64 exec, exec, s[12:13]
.LBB574_525:
	s_or_b64 exec, exec, s[10:11]
	v_lshrrev_b16_e32 v10, 8, v11
	v_cmp_ne_u16_e32 vcc, 0, v10
	v_mov_b32_e32 v25, 0
	v_mov_b32_e32 v26, 0
	s_and_saveexec_b64 s[10:11], vcc
	s_cbranch_execz .LBB574_531
; %bb.526:
	s_movk_i32 s7, 0x80
	v_cmp_ne_u16_e32 vcc, s7, v10
	v_bfrev_b32_e32 v26, 1
	s_and_saveexec_b64 s[12:13], vcc
	s_cbranch_execz .LBB574_530
; %bb.527:
	s_movk_i32 s7, 0x7f
	v_and_b32_e32 v18, 0x7f, v10
	v_cmp_ne_u32_e32 vcc, s7, v18
	v_mov_b32_e32 v26, 0x7f800001
	s_and_saveexec_b64 s[14:15], vcc
	s_cbranch_execz .LBB574_529
; %bb.528:
	v_and_b32_e32 v29, 7, v10
	v_ffbh_u32_e32 v26, v29
	v_min_u32_e32 v31, 32, v26
	v_subrev_u32_e32 v26, 28, v31
	v_lshlrev_b64 v[26:27], v26, v[10:11]
	v_lshrrev_b32_e32 v30, 3, v18
	v_sub_u32_e32 v10, 29, v31
	v_and_b32_e32 v26, 7, v26
	v_cmp_gt_u32_e32 vcc, 8, v18
	v_cndmask_b32_e32 v10, v30, v10, vcc
	v_cndmask_b32_e32 v18, v29, v26, vcc
	v_lshlrev_b32_e32 v26, 16, v11
	v_bfrev_b32_e32 v27, 60
	v_lshlrev_b32_e32 v18, 20, v18
	v_and_b32_e32 v26, 0x80000000, v26
	v_lshl_add_u32 v10, v10, 23, v27
	v_or3_b32 v26, v26, v10, v18
.LBB574_529:
	s_or_b64 exec, exec, s[14:15]
.LBB574_530:
	s_or_b64 exec, exec, s[12:13]
.LBB574_531:
	s_or_b64 exec, exec, s[10:11]
	s_movk_i32 s7, 0xff
	v_and_b32_sdwa v18, v11, s7 dst_sel:DWORD dst_unused:UNUSED_PAD src0_sel:WORD_1 src1_sel:DWORD
	v_lshrrev_b32_e32 v10, 16, v11
	v_cmp_ne_u16_e32 vcc, 0, v18
	s_and_saveexec_b64 s[10:11], vcc
	s_cbranch_execz .LBB574_537
; %bb.532:
	s_movk_i32 s7, 0x80
	v_cmp_ne_u16_e32 vcc, s7, v18
	v_bfrev_b32_e32 v25, 1
	s_and_saveexec_b64 s[12:13], vcc
	s_cbranch_execz .LBB574_536
; %bb.533:
	v_bfe_u32 v18, v11, 16, 7
	s_movk_i32 s7, 0x7f
	v_cmp_ne_u32_e32 vcc, s7, v18
	v_mov_b32_e32 v25, 0x7f800001
	s_and_saveexec_b64 s[14:15], vcc
	s_cbranch_execz .LBB574_535
; %bb.534:
	v_and_b32_e32 v25, 7, v10
	v_ffbh_u32_e32 v29, v25
	v_min_u32_e32 v29, 32, v29
	v_subrev_u32_e32 v30, 28, v29
	v_lshlrev_b64 v[30:31], v30, v[10:11]
	v_sub_u32_e32 v10, 29, v29
	v_and_b32_e32 v29, 7, v30
	v_cmp_gt_u32_e32 vcc, 8, v18
	v_lshrrev_b32_e32 v27, 3, v18
	v_cndmask_b32_e32 v18, v25, v29, vcc
	v_mov_b32_e32 v25, 24
	v_cndmask_b32_e32 v10, v27, v10, vcc
	v_lshlrev_b32_sdwa v25, v25, v11 dst_sel:DWORD dst_unused:UNUSED_PAD src0_sel:DWORD src1_sel:WORD_1
	v_bfrev_b32_e32 v27, 60
	v_lshlrev_b32_e32 v18, 20, v18
	v_and_b32_e32 v25, 0x80000000, v25
	v_lshl_add_u32 v10, v10, 23, v27
	v_or3_b32 v25, v25, v10, v18
.LBB574_535:
	s_or_b64 exec, exec, s[14:15]
.LBB574_536:
	s_or_b64 exec, exec, s[12:13]
.LBB574_537:
	s_or_b64 exec, exec, s[10:11]
	s_mov_b32 s7, 0xffffff
	v_cmp_lt_u32_e32 vcc, s7, v11
	v_mov_b32_e32 v18, 0
	v_mov_b32_e32 v27, 0
	s_and_saveexec_b64 s[10:11], vcc
	s_cbranch_execz .LBB574_543
; %bb.538:
	v_lshrrev_b32_e32 v10, 24, v11
	s_movk_i32 s7, 0x80
	v_cmp_ne_u32_e32 vcc, s7, v10
	v_bfrev_b32_e32 v27, 1
	s_and_saveexec_b64 s[12:13], vcc
	s_cbranch_execz .LBB574_542
; %bb.539:
	v_bfe_u32 v11, v11, 24, 7
	s_movk_i32 s7, 0x7f
	v_cmp_ne_u32_e32 vcc, s7, v11
	v_mov_b32_e32 v27, 0x7f800001
	s_and_saveexec_b64 s[14:15], vcc
	s_cbranch_execz .LBB574_541
; %bb.540:
	v_and_b32_e32 v27, 7, v10
	v_ffbh_u32_e32 v30, v27
	v_min_u32_e32 v32, 32, v30
	v_subrev_u32_e32 v30, 28, v32
	v_lshlrev_b64 v[30:31], v30, v[10:11]
	v_lshrrev_b32_e32 v29, 3, v11
	v_sub_u32_e32 v31, 29, v32
	v_and_b32_e32 v30, 7, v30
	v_cmp_gt_u32_e32 vcc, 8, v11
	v_cndmask_b32_e32 v11, v29, v31, vcc
	v_cndmask_b32_e32 v27, v27, v30, vcc
	v_lshlrev_b32_e32 v10, 24, v10
	v_bfrev_b32_e32 v29, 60
	v_lshlrev_b32_e32 v27, 20, v27
	v_and_b32_e32 v10, 0x80000000, v10
	v_lshl_add_u32 v11, v11, 23, v29
	v_or3_b32 v27, v10, v11, v27
.LBB574_541:
	s_or_b64 exec, exec, s[14:15]
.LBB574_542:
	s_or_b64 exec, exec, s[12:13]
.LBB574_543:
	s_or_b64 exec, exec, s[10:11]
	v_cvt_pkrtz_f16_f32 v10, v24, v20
	v_cvt_pkrtz_f16_f32 v11, v19, v23
	ds_read_b128 v[30:33], v22 offset:2048
	v_cmp_ne_u16_sdwa s[12:13], v12, v18 src0_sel:BYTE_0 src1_sel:DWORD
	s_waitcnt lgkmcnt(0)
	v_mfma_f32_16x16x16f16 v[14:17], v[10:11], v[30:31], v[14:17]
	v_cvt_pkrtz_f16_f32 v10, v21, v26
	v_cvt_pkrtz_f16_f32 v11, v25, v27
	s_nop 1
	v_mfma_f32_16x16x16f16 v[14:17], v[10:11], v[32:33], v[14:17]
	s_and_saveexec_b64 s[10:11], s[12:13]
	s_cbranch_execz .LBB574_549
; %bb.544:
	s_movk_i32 s7, 0x80
	v_cmp_ne_u16_sdwa s[14:15], v12, s7 src0_sel:BYTE_0 src1_sel:DWORD
	v_bfrev_b32_e32 v18, 1
	s_and_saveexec_b64 s[12:13], s[14:15]
	s_cbranch_execz .LBB574_548
; %bb.545:
	s_movk_i32 s7, 0x7f
	v_and_b32_e32 v10, 0x7f, v12
	v_cmp_ne_u32_e32 vcc, s7, v10
	v_mov_b32_e32 v18, 0x7f800001
	s_and_saveexec_b64 s[14:15], vcc
	s_cbranch_execz .LBB574_547
; %bb.546:
	v_and_b32_e32 v11, 7, v12
	v_ffbh_u32_e32 v18, v11
	v_min_u32_e32 v21, 32, v18
	v_subrev_u32_e32 v18, 28, v21
	v_lshlrev_b64 v[18:19], v18, v[12:13]
	v_lshrrev_b32_e32 v20, 3, v10
	v_sub_u32_e32 v19, 29, v21
	v_and_b32_e32 v18, 7, v18
	v_cmp_gt_u32_e32 vcc, 8, v10
	v_cndmask_b32_e32 v10, v20, v19, vcc
	v_cndmask_b32_e32 v11, v11, v18, vcc
	v_lshlrev_b32_e32 v18, 24, v12
	v_bfrev_b32_e32 v19, 60
	v_lshlrev_b32_e32 v11, 20, v11
	v_and_b32_e32 v18, 0x80000000, v18
	v_lshl_add_u32 v10, v10, 23, v19
	v_or3_b32 v18, v18, v10, v11
.LBB574_547:
	s_or_b64 exec, exec, s[14:15]
.LBB574_548:
	s_or_b64 exec, exec, s[12:13]
.LBB574_549:
	s_or_b64 exec, exec, s[10:11]
	v_lshrrev_b16_e32 v10, 8, v12
	v_cmp_ne_u16_e32 vcc, 0, v10
	v_mov_b32_e32 v11, 0
	v_mov_b32_e32 v20, 0
	s_and_saveexec_b64 s[10:11], vcc
	s_cbranch_execz .LBB574_555
; %bb.550:
	s_movk_i32 s7, 0x80
	v_cmp_ne_u16_e32 vcc, s7, v10
	v_bfrev_b32_e32 v20, 1
	s_and_saveexec_b64 s[12:13], vcc
	s_cbranch_execz .LBB574_554
; %bb.551:
	s_movk_i32 s7, 0x7f
	v_and_b32_e32 v19, 0x7f, v10
	v_cmp_ne_u32_e32 vcc, s7, v19
	v_mov_b32_e32 v20, 0x7f800001
	s_and_saveexec_b64 s[14:15], vcc
	s_cbranch_execz .LBB574_553
; %bb.552:
	v_and_b32_e32 v23, 7, v10
	v_ffbh_u32_e32 v20, v23
	v_min_u32_e32 v25, 32, v20
	v_subrev_u32_e32 v20, 28, v25
	v_lshlrev_b64 v[20:21], v20, v[10:11]
	v_lshrrev_b32_e32 v24, 3, v19
	v_sub_u32_e32 v10, 29, v25
	v_and_b32_e32 v20, 7, v20
	v_cmp_gt_u32_e32 vcc, 8, v19
	v_cndmask_b32_e32 v10, v24, v10, vcc
	v_cndmask_b32_e32 v19, v23, v20, vcc
	v_lshlrev_b32_e32 v20, 16, v12
	v_bfrev_b32_e32 v21, 60
	v_lshlrev_b32_e32 v19, 20, v19
	v_and_b32_e32 v20, 0x80000000, v20
	v_lshl_add_u32 v10, v10, 23, v21
	v_or3_b32 v20, v20, v10, v19
.LBB574_553:
	s_or_b64 exec, exec, s[14:15]
.LBB574_554:
	s_or_b64 exec, exec, s[12:13]
.LBB574_555:
	s_or_b64 exec, exec, s[10:11]
	s_movk_i32 s7, 0xff
	v_and_b32_sdwa v19, v12, s7 dst_sel:DWORD dst_unused:UNUSED_PAD src0_sel:WORD_1 src1_sel:DWORD
	v_lshrrev_b32_e32 v10, 16, v12
	v_cmp_ne_u16_e32 vcc, 0, v19
	s_and_saveexec_b64 s[10:11], vcc
	s_cbranch_execz .LBB574_561
; %bb.556:
	s_movk_i32 s7, 0x80
	v_cmp_ne_u16_e32 vcc, s7, v19
	v_bfrev_b32_e32 v11, 1
	s_and_saveexec_b64 s[12:13], vcc
	s_cbranch_execz .LBB574_560
; %bb.557:
	v_bfe_u32 v19, v12, 16, 7
	s_movk_i32 s7, 0x7f
	v_cmp_ne_u32_e32 vcc, s7, v19
	v_mov_b32_e32 v11, 0x7f800001
	s_and_saveexec_b64 s[14:15], vcc
	s_cbranch_execz .LBB574_559
; %bb.558:
	v_and_b32_e32 v21, 7, v10
	v_ffbh_u32_e32 v11, v21
	v_min_u32_e32 v24, 32, v11
	v_subrev_u32_e32 v11, 28, v24
	v_lshlrev_b64 v[10:11], v11, v[10:11]
	v_lshrrev_b32_e32 v23, 3, v19
	v_sub_u32_e32 v11, 29, v24
	v_and_b32_e32 v10, 7, v10
	v_cmp_gt_u32_e32 vcc, 8, v19
	v_mov_b32_e32 v19, 24
	v_cndmask_b32_e32 v11, v23, v11, vcc
	v_cndmask_b32_e32 v10, v21, v10, vcc
	v_lshlrev_b32_sdwa v19, v19, v12 dst_sel:DWORD dst_unused:UNUSED_PAD src0_sel:DWORD src1_sel:WORD_1
	v_bfrev_b32_e32 v21, 60
	v_lshlrev_b32_e32 v10, 20, v10
	v_and_b32_e32 v19, 0x80000000, v19
	v_lshl_add_u32 v11, v11, 23, v21
	v_or3_b32 v11, v19, v11, v10
.LBB574_559:
	s_or_b64 exec, exec, s[14:15]
.LBB574_560:
	s_or_b64 exec, exec, s[12:13]
.LBB574_561:
	s_or_b64 exec, exec, s[10:11]
	s_mov_b32 s7, 0xffffff
	v_cmp_lt_u32_e32 vcc, s7, v12
	v_mov_b32_e32 v21, 0
	v_mov_b32_e32 v23, 0
	s_and_saveexec_b64 s[10:11], vcc
	s_cbranch_execz .LBB574_567
; %bb.562:
	v_lshrrev_b32_e32 v10, 24, v12
	s_movk_i32 s7, 0x80
	v_cmp_ne_u32_e32 vcc, s7, v10
	v_bfrev_b32_e32 v23, 1
	s_and_saveexec_b64 s[12:13], vcc
	s_cbranch_execz .LBB574_566
; %bb.563:
	v_bfe_u32 v12, v12, 24, 7
	s_movk_i32 s7, 0x7f
	v_cmp_ne_u32_e32 vcc, s7, v12
	v_mov_b32_e32 v23, 0x7f800001
	s_and_saveexec_b64 s[14:15], vcc
	s_cbranch_execz .LBB574_565
; %bb.564:
	v_and_b32_e32 v19, 7, v10
	v_ffbh_u32_e32 v24, v19
	v_min_u32_e32 v26, 32, v24
	v_subrev_u32_e32 v24, 28, v26
	v_lshlrev_b64 v[24:25], v24, v[10:11]
	v_lshrrev_b32_e32 v23, 3, v12
	v_sub_u32_e32 v25, 29, v26
	v_and_b32_e32 v24, 7, v24
	v_cmp_gt_u32_e32 vcc, 8, v12
	v_cndmask_b32_e32 v12, v23, v25, vcc
	v_cndmask_b32_e32 v19, v19, v24, vcc
	v_lshlrev_b32_e32 v10, 24, v10
	v_bfrev_b32_e32 v23, 60
	v_lshlrev_b32_e32 v19, 20, v19
	v_and_b32_e32 v10, 0x80000000, v10
	v_lshl_add_u32 v12, v12, 23, v23
	v_or3_b32 v23, v10, v12, v19
.LBB574_565:
	s_or_b64 exec, exec, s[14:15]
.LBB574_566:
	s_or_b64 exec, exec, s[12:13]
.LBB574_567:
	s_or_b64 exec, exec, s[10:11]
	v_cmp_ne_u16_sdwa s[12:13], v13, v21 src0_sel:BYTE_0 src1_sel:DWORD
	s_and_saveexec_b64 s[10:11], s[12:13]
	s_cbranch_execz .LBB574_573
; %bb.568:
	s_movk_i32 s7, 0x80
	v_cmp_ne_u16_sdwa s[14:15], v13, s7 src0_sel:BYTE_0 src1_sel:DWORD
	v_bfrev_b32_e32 v21, 1
	s_and_saveexec_b64 s[12:13], s[14:15]
	s_cbranch_execz .LBB574_572
; %bb.569:
	s_movk_i32 s7, 0x7f
	v_and_b32_e32 v10, 0x7f, v13
	v_cmp_ne_u32_e32 vcc, s7, v10
	v_mov_b32_e32 v21, 0x7f800001
	s_and_saveexec_b64 s[14:15], vcc
	s_cbranch_execz .LBB574_571
; %bb.570:
	v_and_b32_e32 v19, 7, v13
	v_ffbh_u32_e32 v24, v19
	v_min_u32_e32 v26, 32, v24
	v_mov_b32_e32 v12, v13
	v_subrev_u32_e32 v24, 28, v26
	v_lshlrev_b64 v[24:25], v24, v[12:13]
	v_lshrrev_b32_e32 v21, 3, v10
	v_sub_u32_e32 v12, 29, v26
	v_and_b32_e32 v24, 7, v24
	v_cmp_gt_u32_e32 vcc, 8, v10
	v_cndmask_b32_e32 v10, v21, v12, vcc
	v_cndmask_b32_e32 v12, v19, v24, vcc
	v_lshlrev_b32_e32 v19, 24, v13
	v_bfrev_b32_e32 v21, 60
	v_lshlrev_b32_e32 v12, 20, v12
	v_and_b32_e32 v19, 0x80000000, v19
	v_lshl_add_u32 v10, v10, 23, v21
	v_or3_b32 v21, v19, v10, v12
.LBB574_571:
	s_or_b64 exec, exec, s[14:15]
.LBB574_572:
	s_or_b64 exec, exec, s[12:13]
.LBB574_573:
	s_or_b64 exec, exec, s[10:11]
	v_lshrrev_b16_e32 v10, 8, v13
	v_cmp_ne_u16_e32 vcc, 0, v10
	v_mov_b32_e32 v12, 0
	v_mov_b32_e32 v24, 0
	s_and_saveexec_b64 s[10:11], vcc
	s_cbranch_execz .LBB574_579
; %bb.574:
	s_movk_i32 s7, 0x80
	v_cmp_ne_u16_e32 vcc, s7, v10
	v_bfrev_b32_e32 v24, 1
	s_and_saveexec_b64 s[12:13], vcc
	s_cbranch_execz .LBB574_578
; %bb.575:
	s_movk_i32 s7, 0x7f
	v_and_b32_e32 v19, 0x7f, v10
	v_cmp_ne_u32_e32 vcc, s7, v19
	v_mov_b32_e32 v24, 0x7f800001
	s_and_saveexec_b64 s[14:15], vcc
	s_cbranch_execz .LBB574_577
; %bb.576:
	v_and_b32_e32 v26, 7, v10
	v_ffbh_u32_e32 v24, v26
	v_min_u32_e32 v29, 32, v24
	v_subrev_u32_e32 v24, 28, v29
	v_lshlrev_b64 v[24:25], v24, v[10:11]
	v_lshrrev_b32_e32 v27, 3, v19
	v_sub_u32_e32 v10, 29, v29
	v_and_b32_e32 v24, 7, v24
	v_cmp_gt_u32_e32 vcc, 8, v19
	v_cndmask_b32_e32 v10, v27, v10, vcc
	v_cndmask_b32_e32 v19, v26, v24, vcc
	v_lshlrev_b32_e32 v24, 16, v13
	v_bfrev_b32_e32 v25, 60
	v_lshlrev_b32_e32 v19, 20, v19
	v_and_b32_e32 v24, 0x80000000, v24
	v_lshl_add_u32 v10, v10, 23, v25
	v_or3_b32 v24, v24, v10, v19
.LBB574_577:
	s_or_b64 exec, exec, s[14:15]
.LBB574_578:
	s_or_b64 exec, exec, s[12:13]
.LBB574_579:
	s_or_b64 exec, exec, s[10:11]
	s_movk_i32 s7, 0xff
	v_and_b32_sdwa v19, v13, s7 dst_sel:DWORD dst_unused:UNUSED_PAD src0_sel:WORD_1 src1_sel:DWORD
	v_lshrrev_b32_e32 v10, 16, v13
	v_cmp_ne_u16_e32 vcc, 0, v19
	s_and_saveexec_b64 s[10:11], vcc
	s_cbranch_execz .LBB574_585
; %bb.580:
	s_movk_i32 s7, 0x80
	v_cmp_ne_u16_e32 vcc, s7, v19
	v_bfrev_b32_e32 v12, 1
	s_and_saveexec_b64 s[12:13], vcc
	s_cbranch_execz .LBB574_584
; %bb.581:
	v_bfe_u32 v19, v13, 16, 7
	s_movk_i32 s7, 0x7f
	v_cmp_ne_u32_e32 vcc, s7, v19
	v_mov_b32_e32 v12, 0x7f800001
	s_and_saveexec_b64 s[14:15], vcc
	s_cbranch_execz .LBB574_583
; %bb.582:
	v_and_b32_e32 v12, 7, v10
	v_ffbh_u32_e32 v26, v12
	v_min_u32_e32 v29, 32, v26
	v_subrev_u32_e32 v26, 28, v29
	v_lshlrev_b64 v[26:27], v26, v[10:11]
	v_lshrrev_b32_e32 v25, 3, v19
	v_sub_u32_e32 v10, 29, v29
	v_and_b32_e32 v26, 7, v26
	v_cmp_gt_u32_e32 vcc, 8, v19
	v_mov_b32_e32 v19, 24
	v_cndmask_b32_e32 v10, v25, v10, vcc
	v_cndmask_b32_e32 v12, v12, v26, vcc
	v_lshlrev_b32_sdwa v19, v19, v13 dst_sel:DWORD dst_unused:UNUSED_PAD src0_sel:DWORD src1_sel:WORD_1
	v_bfrev_b32_e32 v25, 60
	v_lshlrev_b32_e32 v12, 20, v12
	v_and_b32_e32 v19, 0x80000000, v19
	v_lshl_add_u32 v10, v10, 23, v25
	v_or3_b32 v12, v19, v10, v12
.LBB574_583:
	s_or_b64 exec, exec, s[14:15]
.LBB574_584:
	s_or_b64 exec, exec, s[12:13]
.LBB574_585:
	s_or_b64 exec, exec, s[10:11]
	s_mov_b32 s7, 0xffffff
	v_cmp_lt_u32_e32 vcc, s7, v13
	v_mov_b32_e32 v19, 0
	v_mov_b32_e32 v25, 0
	s_and_saveexec_b64 s[10:11], vcc
	s_cbranch_execz .LBB574_591
; %bb.586:
	v_lshrrev_b32_e32 v10, 24, v13
	s_movk_i32 s7, 0x80
	v_cmp_ne_u32_e32 vcc, s7, v10
	v_bfrev_b32_e32 v25, 1
	s_and_saveexec_b64 s[12:13], vcc
	s_cbranch_execz .LBB574_590
; %bb.587:
	v_bfe_u32 v13, v13, 24, 7
	s_movk_i32 s7, 0x7f
	v_cmp_ne_u32_e32 vcc, s7, v13
	v_mov_b32_e32 v25, 0x7f800001
	s_and_saveexec_b64 s[14:15], vcc
	s_cbranch_execz .LBB574_589
; %bb.588:
	v_and_b32_e32 v25, 7, v10
	v_ffbh_u32_e32 v26, v25
	v_min_u32_e32 v30, 32, v26
	v_subrev_u32_e32 v26, 28, v30
	v_lshlrev_b64 v[26:27], v26, v[10:11]
	v_lshrrev_b32_e32 v29, 3, v13
	v_sub_u32_e32 v27, 29, v30
	v_and_b32_e32 v26, 7, v26
	v_cmp_gt_u32_e32 vcc, 8, v13
	v_cndmask_b32_e32 v13, v29, v27, vcc
	v_cndmask_b32_e32 v25, v25, v26, vcc
	v_lshlrev_b32_e32 v10, 24, v10
	v_bfrev_b32_e32 v26, 60
	v_lshlrev_b32_e32 v25, 20, v25
	v_and_b32_e32 v10, 0x80000000, v10
	v_lshl_add_u32 v13, v13, 23, v26
	v_or3_b32 v25, v10, v13, v25
.LBB574_589:
	s_or_b64 exec, exec, s[14:15]
.LBB574_590:
	s_or_b64 exec, exec, s[12:13]
.LBB574_591:
	s_or_b64 exec, exec, s[10:11]
	v_cvt_pkrtz_f16_f32 v10, v18, v20
	v_cvt_pkrtz_f16_f32 v11, v11, v23
	ds_read_b128 v[30:33], v22 offset:2064
	s_waitcnt vmcnt(1)
	v_cmp_ne_u16_sdwa s[12:13], v6, v19 src0_sel:BYTE_0 src1_sel:DWORD
	s_waitcnt lgkmcnt(0)
	v_mfma_f32_16x16x16f16 v[14:17], v[10:11], v[30:31], v[14:17]
	v_cvt_pkrtz_f16_f32 v10, v21, v24
	v_cvt_pkrtz_f16_f32 v11, v12, v25
	s_nop 1
	v_mfma_f32_16x16x16f16 v[10:13], v[10:11], v[32:33], v[14:17]
	s_and_saveexec_b64 s[10:11], s[12:13]
	s_cbranch_execz .LBB574_597
; %bb.592:
	s_movk_i32 s7, 0x80
	v_cmp_ne_u16_sdwa s[14:15], v6, s7 src0_sel:BYTE_0 src1_sel:DWORD
	v_bfrev_b32_e32 v19, 1
	s_and_saveexec_b64 s[12:13], s[14:15]
	s_cbranch_execz .LBB574_596
; %bb.593:
	s_movk_i32 s7, 0x7f
	v_and_b32_e32 v14, 0x7f, v6
	v_cmp_ne_u32_e32 vcc, s7, v14
	v_mov_b32_e32 v19, 0x7f800001
	s_and_saveexec_b64 s[14:15], vcc
	s_cbranch_execz .LBB574_595
; %bb.594:
	v_and_b32_e32 v15, 7, v6
	v_ffbh_u32_e32 v16, v15
	v_min_u32_e32 v19, 32, v16
	v_subrev_u32_e32 v16, 28, v19
	v_lshlrev_b64 v[16:17], v16, v[6:7]
	v_lshrrev_b32_e32 v18, 3, v14
	v_sub_u32_e32 v17, 29, v19
	v_and_b32_e32 v16, 7, v16
	v_cmp_gt_u32_e32 vcc, 8, v14
	v_cndmask_b32_e32 v14, v18, v17, vcc
	v_cndmask_b32_e32 v15, v15, v16, vcc
	v_lshlrev_b32_e32 v16, 24, v6
	v_bfrev_b32_e32 v17, 60
	v_lshlrev_b32_e32 v15, 20, v15
	v_and_b32_e32 v16, 0x80000000, v16
	v_lshl_add_u32 v14, v14, 23, v17
	v_or3_b32 v19, v16, v14, v15
.LBB574_595:
	s_or_b64 exec, exec, s[14:15]
.LBB574_596:
	s_or_b64 exec, exec, s[12:13]
.LBB574_597:
	s_or_b64 exec, exec, s[10:11]
	s_nop 3
	v_lshrrev_b16_e32 v14, 8, v6
	v_cmp_ne_u16_e32 vcc, 0, v14
	v_mov_b32_e32 v15, 0
	v_mov_b32_e32 v16, 0
	s_and_saveexec_b64 s[10:11], vcc
	s_cbranch_execz .LBB574_603
; %bb.598:
	s_movk_i32 s7, 0x80
	v_cmp_ne_u16_e32 vcc, s7, v14
	v_bfrev_b32_e32 v16, 1
	s_and_saveexec_b64 s[12:13], vcc
	s_cbranch_execz .LBB574_602
; %bb.599:
	s_movk_i32 s7, 0x7f
	v_and_b32_e32 v17, 0x7f, v14
	v_cmp_ne_u32_e32 vcc, s7, v17
	v_mov_b32_e32 v16, 0x7f800001
	s_and_saveexec_b64 s[14:15], vcc
	s_cbranch_execz .LBB574_601
; %bb.600:
	v_and_b32_e32 v16, 7, v14
	v_ffbh_u32_e32 v20, v16
	v_min_u32_e32 v23, 32, v20
	v_subrev_u32_e32 v20, 28, v23
	v_lshlrev_b64 v[20:21], v20, v[14:15]
	v_lshrrev_b32_e32 v18, 3, v17
	v_sub_u32_e32 v14, 29, v23
	v_and_b32_e32 v20, 7, v20
	v_cmp_gt_u32_e32 vcc, 8, v17
	v_cndmask_b32_e32 v14, v18, v14, vcc
	v_cndmask_b32_e32 v16, v16, v20, vcc
	v_lshlrev_b32_e32 v17, 16, v6
	v_bfrev_b32_e32 v18, 60
	v_lshlrev_b32_e32 v16, 20, v16
	v_and_b32_e32 v17, 0x80000000, v17
	v_lshl_add_u32 v14, v14, 23, v18
	v_or3_b32 v16, v17, v14, v16
.LBB574_601:
	s_or_b64 exec, exec, s[14:15]
.LBB574_602:
	s_or_b64 exec, exec, s[12:13]
.LBB574_603:
	s_or_b64 exec, exec, s[10:11]
	s_movk_i32 s7, 0xff
	v_and_b32_sdwa v17, v6, s7 dst_sel:DWORD dst_unused:UNUSED_PAD src0_sel:WORD_1 src1_sel:DWORD
	v_lshrrev_b32_e32 v14, 16, v6
	v_cmp_ne_u16_e32 vcc, 0, v17
	s_and_saveexec_b64 s[10:11], vcc
	s_cbranch_execz .LBB574_609
; %bb.604:
	s_movk_i32 s7, 0x80
	v_cmp_ne_u16_e32 vcc, s7, v17
	v_bfrev_b32_e32 v15, 1
	s_and_saveexec_b64 s[12:13], vcc
	s_cbranch_execz .LBB574_608
; %bb.605:
	v_bfe_u32 v17, v6, 16, 7
	s_movk_i32 s7, 0x7f
	v_cmp_ne_u32_e32 vcc, s7, v17
	v_mov_b32_e32 v15, 0x7f800001
	s_and_saveexec_b64 s[14:15], vcc
	s_cbranch_execz .LBB574_607
; %bb.606:
	v_and_b32_e32 v18, 7, v14
	v_ffbh_u32_e32 v15, v18
	v_min_u32_e32 v21, 32, v15
	v_subrev_u32_e32 v15, 28, v21
	v_lshlrev_b64 v[14:15], v15, v[14:15]
	v_lshrrev_b32_e32 v20, 3, v17
	v_sub_u32_e32 v15, 29, v21
	v_and_b32_e32 v14, 7, v14
	v_cmp_gt_u32_e32 vcc, 8, v17
	v_mov_b32_e32 v17, 24
	v_cndmask_b32_e32 v15, v20, v15, vcc
	v_cndmask_b32_e32 v14, v18, v14, vcc
	v_lshlrev_b32_sdwa v17, v17, v6 dst_sel:DWORD dst_unused:UNUSED_PAD src0_sel:DWORD src1_sel:WORD_1
	v_bfrev_b32_e32 v18, 60
	v_lshlrev_b32_e32 v14, 20, v14
	v_and_b32_e32 v17, 0x80000000, v17
	v_lshl_add_u32 v15, v15, 23, v18
	v_or3_b32 v15, v17, v15, v14
.LBB574_607:
	s_or_b64 exec, exec, s[14:15]
.LBB574_608:
	s_or_b64 exec, exec, s[12:13]
.LBB574_609:
	s_or_b64 exec, exec, s[10:11]
	s_mov_b32 s7, 0xffffff
	v_cmp_lt_u32_e32 vcc, s7, v6
	v_mov_b32_e32 v17, 0
	v_mov_b32_e32 v18, 0
	s_and_saveexec_b64 s[10:11], vcc
	s_cbranch_execz .LBB574_615
; %bb.610:
	v_lshrrev_b32_e32 v14, 24, v6
	s_movk_i32 s7, 0x80
	v_cmp_ne_u32_e32 vcc, s7, v14
	v_bfrev_b32_e32 v18, 1
	s_and_saveexec_b64 s[12:13], vcc
	s_cbranch_execz .LBB574_614
; %bb.611:
	v_bfe_u32 v6, v6, 24, 7
	s_movk_i32 s7, 0x7f
	v_cmp_ne_u32_e32 vcc, s7, v6
	v_mov_b32_e32 v18, 0x7f800001
	s_and_saveexec_b64 s[14:15], vcc
	s_cbranch_execz .LBB574_613
; %bb.612:
	v_and_b32_e32 v18, 7, v14
	v_ffbh_u32_e32 v20, v18
	v_min_u32_e32 v24, 32, v20
	v_subrev_u32_e32 v20, 28, v24
	v_lshlrev_b64 v[20:21], v20, v[14:15]
	v_lshrrev_b32_e32 v23, 3, v6
	v_sub_u32_e32 v21, 29, v24
	v_and_b32_e32 v20, 7, v20
	v_cmp_gt_u32_e32 vcc, 8, v6
	v_cndmask_b32_e32 v6, v23, v21, vcc
	v_cndmask_b32_e32 v18, v18, v20, vcc
	v_lshlrev_b32_e32 v14, 24, v14
	v_bfrev_b32_e32 v20, 60
	v_lshlrev_b32_e32 v18, 20, v18
	v_and_b32_e32 v14, 0x80000000, v14
	v_lshl_add_u32 v6, v6, 23, v20
	v_or3_b32 v18, v14, v6, v18
.LBB574_613:
	s_or_b64 exec, exec, s[14:15]
.LBB574_614:
	s_or_b64 exec, exec, s[12:13]
.LBB574_615:
	s_or_b64 exec, exec, s[10:11]
	v_cmp_ne_u16_sdwa s[12:13], v7, v17 src0_sel:BYTE_0 src1_sel:DWORD
	s_and_saveexec_b64 s[10:11], s[12:13]
	s_cbranch_execz .LBB574_621
; %bb.616:
	s_movk_i32 s7, 0x80
	v_cmp_ne_u16_sdwa s[14:15], v7, s7 src0_sel:BYTE_0 src1_sel:DWORD
	v_bfrev_b32_e32 v17, 1
	s_and_saveexec_b64 s[12:13], s[14:15]
	s_cbranch_execz .LBB574_620
; %bb.617:
	s_movk_i32 s7, 0x7f
	v_and_b32_e32 v6, 0x7f, v7
	v_cmp_ne_u32_e32 vcc, s7, v6
	v_mov_b32_e32 v17, 0x7f800001
	s_and_saveexec_b64 s[14:15], vcc
	s_cbranch_execz .LBB574_619
; %bb.618:
	v_and_b32_e32 v17, 7, v7
	v_ffbh_u32_e32 v20, v17
	v_min_u32_e32 v24, 32, v20
	v_mov_b32_e32 v14, v7
	v_subrev_u32_e32 v20, 28, v24
	v_lshlrev_b64 v[20:21], v20, v[14:15]
	v_lshrrev_b32_e32 v23, 3, v6
	v_sub_u32_e32 v14, 29, v24
	v_and_b32_e32 v20, 7, v20
	v_cmp_gt_u32_e32 vcc, 8, v6
	v_cndmask_b32_e32 v6, v23, v14, vcc
	v_cndmask_b32_e32 v14, v17, v20, vcc
	v_lshlrev_b32_e32 v17, 24, v7
	v_bfrev_b32_e32 v20, 60
	v_lshlrev_b32_e32 v14, 20, v14
	v_and_b32_e32 v17, 0x80000000, v17
	v_lshl_add_u32 v6, v6, 23, v20
	v_or3_b32 v17, v17, v6, v14
.LBB574_619:
	s_or_b64 exec, exec, s[14:15]
.LBB574_620:
	s_or_b64 exec, exec, s[12:13]
.LBB574_621:
	s_or_b64 exec, exec, s[10:11]
	v_lshrrev_b16_e32 v6, 8, v7
	v_cmp_ne_u16_e32 vcc, 0, v6
	v_mov_b32_e32 v20, 0
	v_mov_b32_e32 v21, 0
	s_and_saveexec_b64 s[10:11], vcc
	s_cbranch_execz .LBB574_627
; %bb.622:
	s_movk_i32 s7, 0x80
	v_cmp_ne_u16_e32 vcc, s7, v6
	v_bfrev_b32_e32 v21, 1
	s_and_saveexec_b64 s[12:13], vcc
	s_cbranch_execz .LBB574_626
; %bb.623:
	s_movk_i32 s7, 0x7f
	v_and_b32_e32 v14, 0x7f, v6
	v_cmp_ne_u32_e32 vcc, s7, v14
	v_mov_b32_e32 v21, 0x7f800001
	s_and_saveexec_b64 s[14:15], vcc
	s_cbranch_execz .LBB574_625
; %bb.624:
	v_and_b32_e32 v21, 7, v6
	v_ffbh_u32_e32 v24, v21
	v_min_u32_e32 v26, 32, v24
	v_subrev_u32_e32 v24, 28, v26
	v_lshlrev_b64 v[24:25], v24, v[6:7]
	v_lshrrev_b32_e32 v23, 3, v14
	v_sub_u32_e32 v6, 29, v26
	v_and_b32_e32 v24, 7, v24
	v_cmp_gt_u32_e32 vcc, 8, v14
	v_cndmask_b32_e32 v6, v23, v6, vcc
	v_cndmask_b32_e32 v14, v21, v24, vcc
	v_lshlrev_b32_e32 v21, 16, v7
	v_bfrev_b32_e32 v23, 60
	v_lshlrev_b32_e32 v14, 20, v14
	v_and_b32_e32 v21, 0x80000000, v21
	v_lshl_add_u32 v6, v6, 23, v23
	v_or3_b32 v21, v21, v6, v14
.LBB574_625:
	s_or_b64 exec, exec, s[14:15]
.LBB574_626:
	s_or_b64 exec, exec, s[12:13]
.LBB574_627:
	s_or_b64 exec, exec, s[10:11]
	s_movk_i32 s7, 0xff
	v_and_b32_sdwa v14, v7, s7 dst_sel:DWORD dst_unused:UNUSED_PAD src0_sel:WORD_1 src1_sel:DWORD
	v_lshrrev_b32_e32 v6, 16, v7
	v_cmp_ne_u16_e32 vcc, 0, v14
	s_and_saveexec_b64 s[10:11], vcc
	s_cbranch_execz .LBB574_633
; %bb.628:
	s_movk_i32 s7, 0x80
	v_cmp_ne_u16_e32 vcc, s7, v14
	v_bfrev_b32_e32 v20, 1
	s_and_saveexec_b64 s[12:13], vcc
	s_cbranch_execz .LBB574_632
; %bb.629:
	v_bfe_u32 v14, v7, 16, 7
	s_movk_i32 s7, 0x7f
	v_cmp_ne_u32_e32 vcc, s7, v14
	v_mov_b32_e32 v20, 0x7f800001
	s_and_saveexec_b64 s[14:15], vcc
	s_cbranch_execz .LBB574_631
; %bb.630:
	v_and_b32_e32 v20, 7, v6
	v_ffbh_u32_e32 v24, v20
	v_min_u32_e32 v26, 32, v24
	v_subrev_u32_e32 v24, 28, v26
	v_lshlrev_b64 v[24:25], v24, v[6:7]
	v_and_b32_e32 v24, 7, v24
	v_cmp_gt_u32_e32 vcc, 8, v14
	v_lshrrev_b32_e32 v23, 3, v14
	v_sub_u32_e32 v6, 29, v26
	v_cndmask_b32_e32 v14, v20, v24, vcc
	v_mov_b32_e32 v20, 24
	v_cndmask_b32_e32 v6, v23, v6, vcc
	v_lshlrev_b32_sdwa v20, v20, v7 dst_sel:DWORD dst_unused:UNUSED_PAD src0_sel:DWORD src1_sel:WORD_1
	v_bfrev_b32_e32 v23, 60
	v_lshlrev_b32_e32 v14, 20, v14
	v_and_b32_e32 v20, 0x80000000, v20
	v_lshl_add_u32 v6, v6, 23, v23
	v_or3_b32 v20, v20, v6, v14
.LBB574_631:
	s_or_b64 exec, exec, s[14:15]
.LBB574_632:
	s_or_b64 exec, exec, s[12:13]
.LBB574_633:
	s_or_b64 exec, exec, s[10:11]
	s_mov_b32 s7, 0xffffff
	v_cmp_lt_u32_e32 vcc, s7, v7
	v_mov_b32_e32 v14, 0
	v_mov_b32_e32 v23, 0
	s_and_saveexec_b64 s[10:11], vcc
	s_cbranch_execz .LBB574_639
; %bb.634:
	v_lshrrev_b32_e32 v6, 24, v7
	s_movk_i32 s7, 0x80
	v_cmp_ne_u32_e32 vcc, s7, v6
	v_bfrev_b32_e32 v23, 1
	s_and_saveexec_b64 s[12:13], vcc
	s_cbranch_execz .LBB574_638
; %bb.635:
	v_bfe_u32 v7, v7, 24, 7
	s_movk_i32 s7, 0x7f
	v_cmp_ne_u32_e32 vcc, s7, v7
	v_mov_b32_e32 v23, 0x7f800001
	s_and_saveexec_b64 s[14:15], vcc
	s_cbranch_execz .LBB574_637
; %bb.636:
	v_and_b32_e32 v23, 7, v6
	v_ffbh_u32_e32 v24, v23
	v_min_u32_e32 v27, 32, v24
	v_subrev_u32_e32 v24, 28, v27
	v_lshlrev_b64 v[24:25], v24, v[6:7]
	v_lshrrev_b32_e32 v26, 3, v7
	v_sub_u32_e32 v25, 29, v27
	v_and_b32_e32 v24, 7, v24
	v_cmp_gt_u32_e32 vcc, 8, v7
	v_cndmask_b32_e32 v7, v26, v25, vcc
	v_cndmask_b32_e32 v23, v23, v24, vcc
	v_lshlrev_b32_e32 v6, 24, v6
	v_bfrev_b32_e32 v24, 60
	v_lshlrev_b32_e32 v23, 20, v23
	v_and_b32_e32 v6, 0x80000000, v6
	v_lshl_add_u32 v7, v7, 23, v24
	v_or3_b32 v23, v6, v7, v23
.LBB574_637:
	s_or_b64 exec, exec, s[14:15]
.LBB574_638:
	s_or_b64 exec, exec, s[12:13]
.LBB574_639:
	s_or_b64 exec, exec, s[10:11]
	v_cvt_pkrtz_f16_f32 v6, v19, v16
	v_cvt_pkrtz_f16_f32 v7, v15, v18
	ds_read_b128 v[24:27], v22 offset:4096
	v_cmp_ne_u16_sdwa s[12:13], v8, v14 src0_sel:BYTE_0 src1_sel:DWORD
	s_waitcnt lgkmcnt(0)
	v_mfma_f32_16x16x16f16 v[10:13], v[6:7], v[24:25], v[10:13]
	v_cvt_pkrtz_f16_f32 v6, v17, v21
	v_cvt_pkrtz_f16_f32 v7, v20, v23
	s_nop 1
	v_mfma_f32_16x16x16f16 v[10:13], v[6:7], v[26:27], v[10:13]
	s_and_saveexec_b64 s[10:11], s[12:13]
	s_cbranch_execz .LBB574_645
; %bb.640:
	s_movk_i32 s7, 0x80
	v_cmp_ne_u16_sdwa s[14:15], v8, s7 src0_sel:BYTE_0 src1_sel:DWORD
	v_bfrev_b32_e32 v14, 1
	s_and_saveexec_b64 s[12:13], s[14:15]
	s_cbranch_execz .LBB574_644
; %bb.641:
	s_movk_i32 s7, 0x7f
	v_and_b32_e32 v6, 0x7f, v8
	v_cmp_ne_u32_e32 vcc, s7, v6
	v_mov_b32_e32 v14, 0x7f800001
	s_and_saveexec_b64 s[14:15], vcc
	s_cbranch_execz .LBB574_643
; %bb.642:
	v_and_b32_e32 v7, 7, v8
	v_ffbh_u32_e32 v14, v7
	v_min_u32_e32 v17, 32, v14
	v_subrev_u32_e32 v14, 28, v17
	v_lshlrev_b64 v[14:15], v14, v[8:9]
	v_lshrrev_b32_e32 v16, 3, v6
	v_sub_u32_e32 v15, 29, v17
	v_and_b32_e32 v14, 7, v14
	v_cmp_gt_u32_e32 vcc, 8, v6
	v_cndmask_b32_e32 v6, v16, v15, vcc
	v_cndmask_b32_e32 v7, v7, v14, vcc
	v_lshlrev_b32_e32 v14, 24, v8
	v_bfrev_b32_e32 v15, 60
	v_lshlrev_b32_e32 v7, 20, v7
	v_and_b32_e32 v14, 0x80000000, v14
	v_lshl_add_u32 v6, v6, 23, v15
	v_or3_b32 v14, v14, v6, v7
.LBB574_643:
	s_or_b64 exec, exec, s[14:15]
.LBB574_644:
	s_or_b64 exec, exec, s[12:13]
.LBB574_645:
	s_or_b64 exec, exec, s[10:11]
	v_lshrrev_b16_e32 v6, 8, v8
	v_cmp_ne_u16_e32 vcc, 0, v6
	v_mov_b32_e32 v7, 0
	v_mov_b32_e32 v16, 0
	s_and_saveexec_b64 s[10:11], vcc
	s_cbranch_execz .LBB574_651
; %bb.646:
	s_movk_i32 s7, 0x80
	v_cmp_ne_u16_e32 vcc, s7, v6
	v_bfrev_b32_e32 v16, 1
	s_and_saveexec_b64 s[12:13], vcc
	s_cbranch_execz .LBB574_650
; %bb.647:
	s_movk_i32 s7, 0x7f
	v_and_b32_e32 v15, 0x7f, v6
	v_cmp_ne_u32_e32 vcc, s7, v15
	v_mov_b32_e32 v16, 0x7f800001
	s_and_saveexec_b64 s[14:15], vcc
	s_cbranch_execz .LBB574_649
; %bb.648:
	v_and_b32_e32 v18, 7, v6
	v_ffbh_u32_e32 v16, v18
	v_min_u32_e32 v20, 32, v16
	v_subrev_u32_e32 v16, 28, v20
	v_lshlrev_b64 v[16:17], v16, v[6:7]
	v_lshrrev_b32_e32 v19, 3, v15
	v_sub_u32_e32 v6, 29, v20
	v_and_b32_e32 v16, 7, v16
	v_cmp_gt_u32_e32 vcc, 8, v15
	v_cndmask_b32_e32 v6, v19, v6, vcc
	v_cndmask_b32_e32 v15, v18, v16, vcc
	v_lshlrev_b32_e32 v16, 16, v8
	v_bfrev_b32_e32 v17, 60
	v_lshlrev_b32_e32 v15, 20, v15
	v_and_b32_e32 v16, 0x80000000, v16
	v_lshl_add_u32 v6, v6, 23, v17
	v_or3_b32 v16, v16, v6, v15
.LBB574_649:
	s_or_b64 exec, exec, s[14:15]
.LBB574_650:
	s_or_b64 exec, exec, s[12:13]
.LBB574_651:
	s_or_b64 exec, exec, s[10:11]
	s_movk_i32 s7, 0xff
	v_and_b32_sdwa v15, v8, s7 dst_sel:DWORD dst_unused:UNUSED_PAD src0_sel:WORD_1 src1_sel:DWORD
	v_lshrrev_b32_e32 v6, 16, v8
	v_cmp_ne_u16_e32 vcc, 0, v15
	s_and_saveexec_b64 s[10:11], vcc
	s_cbranch_execz .LBB574_657
; %bb.652:
	s_movk_i32 s7, 0x80
	v_cmp_ne_u16_e32 vcc, s7, v15
	v_bfrev_b32_e32 v7, 1
	s_and_saveexec_b64 s[12:13], vcc
	s_cbranch_execz .LBB574_656
; %bb.653:
	v_bfe_u32 v15, v8, 16, 7
	s_movk_i32 s7, 0x7f
	v_cmp_ne_u32_e32 vcc, s7, v15
	v_mov_b32_e32 v7, 0x7f800001
	s_and_saveexec_b64 s[14:15], vcc
	s_cbranch_execz .LBB574_655
; %bb.654:
	v_and_b32_e32 v17, 7, v6
	v_ffbh_u32_e32 v7, v17
	v_min_u32_e32 v19, 32, v7
	v_subrev_u32_e32 v7, 28, v19
	v_lshlrev_b64 v[6:7], v7, v[6:7]
	v_lshrrev_b32_e32 v18, 3, v15
	v_sub_u32_e32 v7, 29, v19
	v_and_b32_e32 v6, 7, v6
	v_cmp_gt_u32_e32 vcc, 8, v15
	v_mov_b32_e32 v15, 24
	v_cndmask_b32_e32 v7, v18, v7, vcc
	v_cndmask_b32_e32 v6, v17, v6, vcc
	v_lshlrev_b32_sdwa v15, v15, v8 dst_sel:DWORD dst_unused:UNUSED_PAD src0_sel:DWORD src1_sel:WORD_1
	v_bfrev_b32_e32 v17, 60
	v_lshlrev_b32_e32 v6, 20, v6
	v_and_b32_e32 v15, 0x80000000, v15
	v_lshl_add_u32 v7, v7, 23, v17
	v_or3_b32 v7, v15, v7, v6
.LBB574_655:
	s_or_b64 exec, exec, s[14:15]
.LBB574_656:
	s_or_b64 exec, exec, s[12:13]
.LBB574_657:
	s_or_b64 exec, exec, s[10:11]
	s_mov_b32 s7, 0xffffff
	v_cmp_lt_u32_e32 vcc, s7, v8
	v_mov_b32_e32 v17, 0
	v_mov_b32_e32 v18, 0
	s_and_saveexec_b64 s[10:11], vcc
	s_cbranch_execz .LBB574_663
; %bb.658:
	v_lshrrev_b32_e32 v6, 24, v8
	s_movk_i32 s7, 0x80
	v_cmp_ne_u32_e32 vcc, s7, v6
	v_bfrev_b32_e32 v18, 1
	s_and_saveexec_b64 s[12:13], vcc
	s_cbranch_execz .LBB574_662
; %bb.659:
	v_bfe_u32 v8, v8, 24, 7
	s_movk_i32 s7, 0x7f
	v_cmp_ne_u32_e32 vcc, s7, v8
	v_mov_b32_e32 v18, 0x7f800001
	s_and_saveexec_b64 s[14:15], vcc
	s_cbranch_execz .LBB574_661
; %bb.660:
	v_and_b32_e32 v15, 7, v6
	v_ffbh_u32_e32 v18, v15
	v_min_u32_e32 v21, 32, v18
	v_subrev_u32_e32 v18, 28, v21
	v_lshlrev_b64 v[18:19], v18, v[6:7]
	v_lshrrev_b32_e32 v20, 3, v8
	v_sub_u32_e32 v19, 29, v21
	v_and_b32_e32 v18, 7, v18
	v_cmp_gt_u32_e32 vcc, 8, v8
	v_cndmask_b32_e32 v8, v20, v19, vcc
	v_cndmask_b32_e32 v15, v15, v18, vcc
	v_lshlrev_b32_e32 v6, 24, v6
	v_bfrev_b32_e32 v18, 60
	v_lshlrev_b32_e32 v15, 20, v15
	v_and_b32_e32 v6, 0x80000000, v6
	v_lshl_add_u32 v8, v8, 23, v18
	v_or3_b32 v18, v6, v8, v15
.LBB574_661:
	s_or_b64 exec, exec, s[14:15]
.LBB574_662:
	s_or_b64 exec, exec, s[12:13]
.LBB574_663:
	s_or_b64 exec, exec, s[10:11]
	v_cmp_ne_u16_sdwa s[12:13], v9, v17 src0_sel:BYTE_0 src1_sel:DWORD
	s_and_saveexec_b64 s[10:11], s[12:13]
	s_cbranch_execz .LBB574_669
; %bb.664:
	s_movk_i32 s7, 0x80
	v_cmp_ne_u16_sdwa s[14:15], v9, s7 src0_sel:BYTE_0 src1_sel:DWORD
	v_bfrev_b32_e32 v17, 1
	s_and_saveexec_b64 s[12:13], s[14:15]
	s_cbranch_execz .LBB574_668
; %bb.665:
	s_movk_i32 s7, 0x7f
	v_and_b32_e32 v6, 0x7f, v9
	v_cmp_ne_u32_e32 vcc, s7, v6
	v_mov_b32_e32 v17, 0x7f800001
	s_and_saveexec_b64 s[14:15], vcc
	s_cbranch_execz .LBB574_667
; %bb.666:
	v_and_b32_e32 v15, 7, v9
	v_ffbh_u32_e32 v19, v15
	v_min_u32_e32 v19, 32, v19
	v_mov_b32_e32 v8, v9
	v_subrev_u32_e32 v20, 28, v19
	v_lshlrev_b64 v[20:21], v20, v[8:9]
	v_lshrrev_b32_e32 v17, 3, v6
	v_sub_u32_e32 v8, 29, v19
	v_and_b32_e32 v19, 7, v20
	v_cmp_gt_u32_e32 vcc, 8, v6
	v_cndmask_b32_e32 v6, v17, v8, vcc
	v_cndmask_b32_e32 v8, v15, v19, vcc
	v_lshlrev_b32_e32 v15, 24, v9
	v_bfrev_b32_e32 v17, 60
	v_lshlrev_b32_e32 v8, 20, v8
	v_and_b32_e32 v15, 0x80000000, v15
	v_lshl_add_u32 v6, v6, 23, v17
	v_or3_b32 v17, v15, v6, v8
.LBB574_667:
	s_or_b64 exec, exec, s[14:15]
.LBB574_668:
	s_or_b64 exec, exec, s[12:13]
.LBB574_669:
	s_or_b64 exec, exec, s[10:11]
	v_lshrrev_b16_e32 v6, 8, v9
	v_cmp_ne_u16_e32 vcc, 0, v6
	v_mov_b32_e32 v8, 0
	v_mov_b32_e32 v19, 0
	s_and_saveexec_b64 s[10:11], vcc
	s_cbranch_execz .LBB574_675
; %bb.670:
	s_movk_i32 s7, 0x80
	v_cmp_ne_u16_e32 vcc, s7, v6
	v_bfrev_b32_e32 v19, 1
	s_and_saveexec_b64 s[12:13], vcc
	s_cbranch_execz .LBB574_674
; %bb.671:
	s_movk_i32 s7, 0x7f
	v_and_b32_e32 v15, 0x7f, v6
	v_cmp_ne_u32_e32 vcc, s7, v15
	v_mov_b32_e32 v19, 0x7f800001
	s_and_saveexec_b64 s[14:15], vcc
	s_cbranch_execz .LBB574_673
; %bb.672:
	v_and_b32_e32 v19, 7, v6
	v_ffbh_u32_e32 v20, v19
	v_min_u32_e32 v24, 32, v20
	v_subrev_u32_e32 v20, 28, v24
	v_lshlrev_b64 v[20:21], v20, v[6:7]
	v_lshrrev_b32_e32 v23, 3, v15
	v_sub_u32_e32 v6, 29, v24
	v_and_b32_e32 v20, 7, v20
	v_cmp_gt_u32_e32 vcc, 8, v15
	v_cndmask_b32_e32 v6, v23, v6, vcc
	v_cndmask_b32_e32 v15, v19, v20, vcc
	v_lshlrev_b32_e32 v19, 16, v9
	v_bfrev_b32_e32 v20, 60
	v_lshlrev_b32_e32 v15, 20, v15
	v_and_b32_e32 v19, 0x80000000, v19
	v_lshl_add_u32 v6, v6, 23, v20
	v_or3_b32 v19, v19, v6, v15
.LBB574_673:
	s_or_b64 exec, exec, s[14:15]
.LBB574_674:
	s_or_b64 exec, exec, s[12:13]
.LBB574_675:
	s_or_b64 exec, exec, s[10:11]
	s_movk_i32 s7, 0xff
	v_and_b32_sdwa v15, v9, s7 dst_sel:DWORD dst_unused:UNUSED_PAD src0_sel:WORD_1 src1_sel:DWORD
	v_lshrrev_b32_e32 v6, 16, v9
	v_cmp_ne_u16_e32 vcc, 0, v15
	s_and_saveexec_b64 s[10:11], vcc
	s_cbranch_execz .LBB574_681
; %bb.676:
	s_movk_i32 s7, 0x80
	v_cmp_ne_u16_e32 vcc, s7, v15
	v_bfrev_b32_e32 v8, 1
	s_and_saveexec_b64 s[12:13], vcc
	s_cbranch_execz .LBB574_680
; %bb.677:
	v_bfe_u32 v15, v9, 16, 7
	s_movk_i32 s7, 0x7f
	v_cmp_ne_u32_e32 vcc, s7, v15
	v_mov_b32_e32 v8, 0x7f800001
	s_and_saveexec_b64 s[14:15], vcc
	s_cbranch_execz .LBB574_679
; %bb.678:
	v_and_b32_e32 v8, 7, v6
	v_ffbh_u32_e32 v20, v8
	v_min_u32_e32 v24, 32, v20
	v_subrev_u32_e32 v20, 28, v24
	v_lshlrev_b64 v[20:21], v20, v[6:7]
	v_lshrrev_b32_e32 v23, 3, v15
	v_sub_u32_e32 v6, 29, v24
	v_and_b32_e32 v20, 7, v20
	v_cmp_gt_u32_e32 vcc, 8, v15
	v_mov_b32_e32 v15, 24
	v_cndmask_b32_e32 v6, v23, v6, vcc
	v_cndmask_b32_e32 v8, v8, v20, vcc
	v_lshlrev_b32_sdwa v15, v15, v9 dst_sel:DWORD dst_unused:UNUSED_PAD src0_sel:DWORD src1_sel:WORD_1
	v_bfrev_b32_e32 v20, 60
	v_lshlrev_b32_e32 v8, 20, v8
	v_and_b32_e32 v15, 0x80000000, v15
	v_lshl_add_u32 v6, v6, 23, v20
	v_or3_b32 v8, v15, v6, v8
.LBB574_679:
	s_or_b64 exec, exec, s[14:15]
.LBB574_680:
	s_or_b64 exec, exec, s[12:13]
.LBB574_681:
	s_or_b64 exec, exec, s[10:11]
	s_mov_b32 s7, 0xffffff
	v_cmp_lt_u32_e32 vcc, s7, v9
	v_mov_b32_e32 v15, 0
	v_mov_b32_e32 v20, 0
	s_and_saveexec_b64 s[10:11], vcc
	s_cbranch_execz .LBB574_687
; %bb.682:
	v_lshrrev_b32_e32 v6, 24, v9
	s_movk_i32 s7, 0x80
	v_cmp_ne_u32_e32 vcc, s7, v6
	v_bfrev_b32_e32 v20, 1
	s_and_saveexec_b64 s[12:13], vcc
	s_cbranch_execz .LBB574_686
; %bb.683:
	v_bfe_u32 v9, v9, 24, 7
	s_movk_i32 s7, 0x7f
	v_cmp_ne_u32_e32 vcc, s7, v9
	v_mov_b32_e32 v20, 0x7f800001
	s_and_saveexec_b64 s[14:15], vcc
	s_cbranch_execz .LBB574_685
; %bb.684:
	v_and_b32_e32 v23, 7, v6
	v_ffbh_u32_e32 v20, v23
	v_min_u32_e32 v25, 32, v20
	v_subrev_u32_e32 v20, 28, v25
	v_lshlrev_b64 v[20:21], v20, v[6:7]
	v_lshrrev_b32_e32 v24, 3, v9
	v_sub_u32_e32 v21, 29, v25
	v_and_b32_e32 v20, 7, v20
	v_cmp_gt_u32_e32 vcc, 8, v9
	v_cndmask_b32_e32 v9, v24, v21, vcc
	v_cndmask_b32_e32 v20, v23, v20, vcc
	v_lshlrev_b32_e32 v6, 24, v6
	v_bfrev_b32_e32 v21, 60
	v_lshlrev_b32_e32 v20, 20, v20
	v_and_b32_e32 v6, 0x80000000, v6
	v_lshl_add_u32 v9, v9, 23, v21
	v_or3_b32 v20, v6, v9, v20
.LBB574_685:
	s_or_b64 exec, exec, s[14:15]
.LBB574_686:
	s_or_b64 exec, exec, s[12:13]
.LBB574_687:
	s_or_b64 exec, exec, s[10:11]
	v_cvt_pkrtz_f16_f32 v6, v14, v16
	v_cvt_pkrtz_f16_f32 v7, v7, v18
	ds_read_b128 v[24:27], v22 offset:4112
	s_waitcnt vmcnt(0)
	v_cmp_ne_u16_sdwa s[12:13], v2, v15 src0_sel:BYTE_0 src1_sel:DWORD
	s_waitcnt lgkmcnt(0)
	v_mfma_f32_16x16x16f16 v[10:13], v[6:7], v[24:25], v[10:13]
	v_cvt_pkrtz_f16_f32 v6, v17, v19
	v_cvt_pkrtz_f16_f32 v7, v8, v20
	s_nop 1
	v_mfma_f32_16x16x16f16 v[6:9], v[6:7], v[26:27], v[10:13]
	s_and_saveexec_b64 s[10:11], s[12:13]
	s_cbranch_execz .LBB574_693
; %bb.688:
	s_movk_i32 s7, 0x80
	v_cmp_ne_u16_sdwa s[14:15], v2, s7 src0_sel:BYTE_0 src1_sel:DWORD
	v_bfrev_b32_e32 v15, 1
	s_and_saveexec_b64 s[12:13], s[14:15]
	s_cbranch_execz .LBB574_692
; %bb.689:
	s_movk_i32 s7, 0x7f
	v_and_b32_e32 v10, 0x7f, v2
	v_cmp_ne_u32_e32 vcc, s7, v10
	v_mov_b32_e32 v15, 0x7f800001
	s_and_saveexec_b64 s[14:15], vcc
	s_cbranch_execz .LBB574_691
; %bb.690:
	v_and_b32_e32 v11, 7, v2
	v_ffbh_u32_e32 v12, v11
	v_min_u32_e32 v15, 32, v12
	v_subrev_u32_e32 v12, 28, v15
	v_lshlrev_b64 v[12:13], v12, v[2:3]
	v_lshrrev_b32_e32 v14, 3, v10
	v_sub_u32_e32 v13, 29, v15
	v_and_b32_e32 v12, 7, v12
	v_cmp_gt_u32_e32 vcc, 8, v10
	v_cndmask_b32_e32 v10, v14, v13, vcc
	v_cndmask_b32_e32 v11, v11, v12, vcc
	v_lshlrev_b32_e32 v12, 24, v2
	v_bfrev_b32_e32 v13, 60
	v_lshlrev_b32_e32 v11, 20, v11
	v_and_b32_e32 v12, 0x80000000, v12
	v_lshl_add_u32 v10, v10, 23, v13
	v_or3_b32 v15, v12, v10, v11
.LBB574_691:
	s_or_b64 exec, exec, s[14:15]
.LBB574_692:
	s_or_b64 exec, exec, s[12:13]
.LBB574_693:
	s_or_b64 exec, exec, s[10:11]
	s_nop 3
	v_lshrrev_b16_e32 v10, 8, v2
	v_cmp_ne_u16_e32 vcc, 0, v10
	v_mov_b32_e32 v11, 0
	v_mov_b32_e32 v12, 0
	s_and_saveexec_b64 s[10:11], vcc
	s_cbranch_execz .LBB574_699
; %bb.694:
	s_movk_i32 s7, 0x80
	v_cmp_ne_u16_e32 vcc, s7, v10
	v_bfrev_b32_e32 v12, 1
	s_and_saveexec_b64 s[12:13], vcc
	s_cbranch_execz .LBB574_698
; %bb.695:
	s_movk_i32 s7, 0x7f
	v_and_b32_e32 v13, 0x7f, v10
	v_cmp_ne_u32_e32 vcc, s7, v13
	v_mov_b32_e32 v12, 0x7f800001
	s_and_saveexec_b64 s[14:15], vcc
	s_cbranch_execz .LBB574_697
; %bb.696:
	v_and_b32_e32 v12, 7, v10
	v_ffbh_u32_e32 v16, v12
	v_min_u32_e32 v18, 32, v16
	v_subrev_u32_e32 v16, 28, v18
	v_lshlrev_b64 v[16:17], v16, v[10:11]
	v_lshrrev_b32_e32 v14, 3, v13
	v_sub_u32_e32 v10, 29, v18
	v_and_b32_e32 v16, 7, v16
	v_cmp_gt_u32_e32 vcc, 8, v13
	v_cndmask_b32_e32 v10, v14, v10, vcc
	v_cndmask_b32_e32 v12, v12, v16, vcc
	v_lshlrev_b32_e32 v13, 16, v2
	v_bfrev_b32_e32 v14, 60
	v_lshlrev_b32_e32 v12, 20, v12
	v_and_b32_e32 v13, 0x80000000, v13
	v_lshl_add_u32 v10, v10, 23, v14
	v_or3_b32 v12, v13, v10, v12
.LBB574_697:
	s_or_b64 exec, exec, s[14:15]
.LBB574_698:
	s_or_b64 exec, exec, s[12:13]
.LBB574_699:
	s_or_b64 exec, exec, s[10:11]
	s_movk_i32 s7, 0xff
	v_and_b32_sdwa v13, v2, s7 dst_sel:DWORD dst_unused:UNUSED_PAD src0_sel:WORD_1 src1_sel:DWORD
	v_lshrrev_b32_e32 v10, 16, v2
	v_cmp_ne_u16_e32 vcc, 0, v13
	s_and_saveexec_b64 s[10:11], vcc
	s_cbranch_execz .LBB574_705
; %bb.700:
	s_movk_i32 s7, 0x80
	v_cmp_ne_u16_e32 vcc, s7, v13
	v_bfrev_b32_e32 v11, 1
	s_and_saveexec_b64 s[12:13], vcc
	s_cbranch_execz .LBB574_704
; %bb.701:
	v_bfe_u32 v13, v2, 16, 7
	s_movk_i32 s7, 0x7f
	v_cmp_ne_u32_e32 vcc, s7, v13
	v_mov_b32_e32 v11, 0x7f800001
	s_and_saveexec_b64 s[14:15], vcc
	s_cbranch_execz .LBB574_703
; %bb.702:
	v_and_b32_e32 v14, 7, v10
	v_ffbh_u32_e32 v11, v14
	v_min_u32_e32 v17, 32, v11
	v_subrev_u32_e32 v11, 28, v17
	v_lshlrev_b64 v[10:11], v11, v[10:11]
	v_lshrrev_b32_e32 v16, 3, v13
	v_sub_u32_e32 v11, 29, v17
	v_and_b32_e32 v10, 7, v10
	v_cmp_gt_u32_e32 vcc, 8, v13
	v_mov_b32_e32 v13, 24
	v_cndmask_b32_e32 v11, v16, v11, vcc
	v_cndmask_b32_e32 v10, v14, v10, vcc
	v_lshlrev_b32_sdwa v13, v13, v2 dst_sel:DWORD dst_unused:UNUSED_PAD src0_sel:DWORD src1_sel:WORD_1
	v_bfrev_b32_e32 v14, 60
	v_lshlrev_b32_e32 v10, 20, v10
	v_and_b32_e32 v13, 0x80000000, v13
	v_lshl_add_u32 v11, v11, 23, v14
	v_or3_b32 v11, v13, v11, v10
.LBB574_703:
	s_or_b64 exec, exec, s[14:15]
.LBB574_704:
	s_or_b64 exec, exec, s[12:13]
.LBB574_705:
	s_or_b64 exec, exec, s[10:11]
	s_mov_b32 s7, 0xffffff
	v_cmp_lt_u32_e32 vcc, s7, v2
	v_mov_b32_e32 v13, 0
	v_mov_b32_e32 v14, 0
	s_and_saveexec_b64 s[10:11], vcc
	s_cbranch_execz .LBB574_711
; %bb.706:
	v_lshrrev_b32_e32 v10, 24, v2
	s_movk_i32 s7, 0x80
	v_cmp_ne_u32_e32 vcc, s7, v10
	v_bfrev_b32_e32 v14, 1
	s_and_saveexec_b64 s[12:13], vcc
	s_cbranch_execz .LBB574_710
; %bb.707:
	v_bfe_u32 v2, v2, 24, 7
	s_movk_i32 s7, 0x7f
	v_cmp_ne_u32_e32 vcc, s7, v2
	v_mov_b32_e32 v14, 0x7f800001
	s_and_saveexec_b64 s[14:15], vcc
	s_cbranch_execz .LBB574_709
; %bb.708:
	v_and_b32_e32 v14, 7, v10
	v_ffbh_u32_e32 v16, v14
	v_min_u32_e32 v19, 32, v16
	v_subrev_u32_e32 v16, 28, v19
	v_lshlrev_b64 v[16:17], v16, v[10:11]
	v_lshrrev_b32_e32 v18, 3, v2
	v_sub_u32_e32 v17, 29, v19
	v_and_b32_e32 v16, 7, v16
	v_cmp_gt_u32_e32 vcc, 8, v2
	v_cndmask_b32_e32 v2, v18, v17, vcc
	v_cndmask_b32_e32 v14, v14, v16, vcc
	v_lshlrev_b32_e32 v10, 24, v10
	v_bfrev_b32_e32 v16, 60
	v_lshlrev_b32_e32 v14, 20, v14
	v_and_b32_e32 v10, 0x80000000, v10
	v_lshl_add_u32 v2, v2, 23, v16
	v_or3_b32 v14, v10, v2, v14
.LBB574_709:
	s_or_b64 exec, exec, s[14:15]
.LBB574_710:
	s_or_b64 exec, exec, s[12:13]
.LBB574_711:
	s_or_b64 exec, exec, s[10:11]
	v_cmp_ne_u16_sdwa s[12:13], v3, v13 src0_sel:BYTE_0 src1_sel:DWORD
	s_and_saveexec_b64 s[10:11], s[12:13]
	s_cbranch_execz .LBB574_717
; %bb.712:
	s_movk_i32 s7, 0x80
	v_cmp_ne_u16_sdwa s[14:15], v3, s7 src0_sel:BYTE_0 src1_sel:DWORD
	v_bfrev_b32_e32 v13, 1
	s_and_saveexec_b64 s[12:13], s[14:15]
	s_cbranch_execz .LBB574_716
; %bb.713:
	s_movk_i32 s7, 0x7f
	v_and_b32_e32 v2, 0x7f, v3
	v_cmp_ne_u32_e32 vcc, s7, v2
	v_mov_b32_e32 v13, 0x7f800001
	s_and_saveexec_b64 s[14:15], vcc
	s_cbranch_execz .LBB574_715
; %bb.714:
	v_and_b32_e32 v13, 7, v3
	v_ffbh_u32_e32 v16, v13
	v_min_u32_e32 v19, 32, v16
	v_mov_b32_e32 v10, v3
	v_subrev_u32_e32 v16, 28, v19
	v_lshlrev_b64 v[16:17], v16, v[10:11]
	v_lshrrev_b32_e32 v18, 3, v2
	v_sub_u32_e32 v10, 29, v19
	v_and_b32_e32 v16, 7, v16
	v_cmp_gt_u32_e32 vcc, 8, v2
	v_cndmask_b32_e32 v2, v18, v10, vcc
	v_cndmask_b32_e32 v10, v13, v16, vcc
	v_lshlrev_b32_e32 v13, 24, v3
	v_bfrev_b32_e32 v16, 60
	v_lshlrev_b32_e32 v10, 20, v10
	v_and_b32_e32 v13, 0x80000000, v13
	v_lshl_add_u32 v2, v2, 23, v16
	v_or3_b32 v13, v13, v2, v10
.LBB574_715:
	s_or_b64 exec, exec, s[14:15]
.LBB574_716:
	s_or_b64 exec, exec, s[12:13]
.LBB574_717:
	s_or_b64 exec, exec, s[10:11]
	v_lshrrev_b16_e32 v2, 8, v3
	v_cmp_ne_u16_e32 vcc, 0, v2
	v_mov_b32_e32 v16, 0
	v_mov_b32_e32 v17, 0
	s_and_saveexec_b64 s[10:11], vcc
	s_cbranch_execz .LBB574_723
; %bb.718:
	s_movk_i32 s7, 0x80
	v_cmp_ne_u16_e32 vcc, s7, v2
	v_bfrev_b32_e32 v17, 1
	s_and_saveexec_b64 s[12:13], vcc
	s_cbranch_execz .LBB574_722
; %bb.719:
	s_movk_i32 s7, 0x7f
	v_and_b32_e32 v10, 0x7f, v2
	v_cmp_ne_u32_e32 vcc, s7, v10
	v_mov_b32_e32 v17, 0x7f800001
	s_and_saveexec_b64 s[14:15], vcc
	s_cbranch_execz .LBB574_721
; %bb.720:
	v_and_b32_e32 v17, 7, v2
	v_ffbh_u32_e32 v18, v17
	v_min_u32_e32 v21, 32, v18
	v_subrev_u32_e32 v18, 28, v21
	v_lshlrev_b64 v[18:19], v18, v[2:3]
	v_lshrrev_b32_e32 v20, 3, v10
	v_sub_u32_e32 v2, 29, v21
	v_and_b32_e32 v18, 7, v18
	v_cmp_gt_u32_e32 vcc, 8, v10
	v_cndmask_b32_e32 v2, v20, v2, vcc
	v_cndmask_b32_e32 v10, v17, v18, vcc
	v_lshlrev_b32_e32 v17, 16, v3
	v_bfrev_b32_e32 v18, 60
	v_lshlrev_b32_e32 v10, 20, v10
	v_and_b32_e32 v17, 0x80000000, v17
	v_lshl_add_u32 v2, v2, 23, v18
	v_or3_b32 v17, v17, v2, v10
.LBB574_721:
	s_or_b64 exec, exec, s[14:15]
.LBB574_722:
	s_or_b64 exec, exec, s[12:13]
.LBB574_723:
	s_or_b64 exec, exec, s[10:11]
	s_movk_i32 s7, 0xff
	v_and_b32_sdwa v10, v3, s7 dst_sel:DWORD dst_unused:UNUSED_PAD src0_sel:WORD_1 src1_sel:DWORD
	v_lshrrev_b32_e32 v2, 16, v3
	v_cmp_ne_u16_e32 vcc, 0, v10
	s_and_saveexec_b64 s[10:11], vcc
	s_cbranch_execz .LBB574_729
; %bb.724:
	s_movk_i32 s7, 0x80
	v_cmp_ne_u16_e32 vcc, s7, v10
	v_bfrev_b32_e32 v16, 1
	s_and_saveexec_b64 s[12:13], vcc
	s_cbranch_execz .LBB574_728
; %bb.725:
	v_bfe_u32 v10, v3, 16, 7
	s_movk_i32 s7, 0x7f
	v_cmp_ne_u32_e32 vcc, s7, v10
	v_mov_b32_e32 v16, 0x7f800001
	s_and_saveexec_b64 s[14:15], vcc
	s_cbranch_execz .LBB574_727
; %bb.726:
	v_and_b32_e32 v16, 7, v2
	v_ffbh_u32_e32 v18, v16
	v_min_u32_e32 v21, 32, v18
	v_subrev_u32_e32 v18, 28, v21
	v_lshlrev_b64 v[18:19], v18, v[2:3]
	v_and_b32_e32 v18, 7, v18
	v_cmp_gt_u32_e32 vcc, 8, v10
	v_lshrrev_b32_e32 v20, 3, v10
	v_sub_u32_e32 v2, 29, v21
	v_cndmask_b32_e32 v10, v16, v18, vcc
	v_mov_b32_e32 v16, 24
	v_cndmask_b32_e32 v2, v20, v2, vcc
	v_lshlrev_b32_sdwa v16, v16, v3 dst_sel:DWORD dst_unused:UNUSED_PAD src0_sel:DWORD src1_sel:WORD_1
	v_bfrev_b32_e32 v18, 60
	v_lshlrev_b32_e32 v10, 20, v10
	v_and_b32_e32 v16, 0x80000000, v16
	v_lshl_add_u32 v2, v2, 23, v18
	v_or3_b32 v16, v16, v2, v10
.LBB574_727:
	s_or_b64 exec, exec, s[14:15]
.LBB574_728:
	s_or_b64 exec, exec, s[12:13]
.LBB574_729:
	s_or_b64 exec, exec, s[10:11]
	s_mov_b32 s7, 0xffffff
	v_cmp_lt_u32_e32 vcc, s7, v3
	v_mov_b32_e32 v10, 0
	v_mov_b32_e32 v18, 0
	s_and_saveexec_b64 s[10:11], vcc
	s_cbranch_execz .LBB574_735
; %bb.730:
	v_lshrrev_b32_e32 v2, 24, v3
	s_movk_i32 s7, 0x80
	v_cmp_ne_u32_e32 vcc, s7, v2
	v_bfrev_b32_e32 v18, 1
	s_and_saveexec_b64 s[12:13], vcc
	s_cbranch_execz .LBB574_734
; %bb.731:
	v_bfe_u32 v3, v3, 24, 7
	s_movk_i32 s7, 0x7f
	v_cmp_ne_u32_e32 vcc, s7, v3
	v_mov_b32_e32 v18, 0x7f800001
	s_and_saveexec_b64 s[14:15], vcc
	s_cbranch_execz .LBB574_733
; %bb.732:
	v_and_b32_e32 v20, 7, v2
	v_ffbh_u32_e32 v18, v20
	v_min_u32_e32 v23, 32, v18
	v_subrev_u32_e32 v18, 28, v23
	v_lshlrev_b64 v[18:19], v18, v[2:3]
	v_lshrrev_b32_e32 v21, 3, v3
	v_sub_u32_e32 v19, 29, v23
	v_and_b32_e32 v18, 7, v18
	v_cmp_gt_u32_e32 vcc, 8, v3
	v_cndmask_b32_e32 v3, v21, v19, vcc
	v_cndmask_b32_e32 v18, v20, v18, vcc
	v_lshlrev_b32_e32 v2, 24, v2
	v_bfrev_b32_e32 v19, 60
	v_lshlrev_b32_e32 v18, 20, v18
	v_and_b32_e32 v2, 0x80000000, v2
	v_lshl_add_u32 v3, v3, 23, v19
	v_or3_b32 v18, v2, v3, v18
.LBB574_733:
	s_or_b64 exec, exec, s[14:15]
.LBB574_734:
	s_or_b64 exec, exec, s[12:13]
.LBB574_735:
	s_or_b64 exec, exec, s[10:11]
	v_cvt_pkrtz_f16_f32 v2, v15, v12
	v_cvt_pkrtz_f16_f32 v3, v11, v14
	ds_read_b128 v[24:27], v22 offset:6144
	v_cmp_ne_u16_sdwa s[12:13], v4, v10 src0_sel:BYTE_0 src1_sel:DWORD
	s_waitcnt lgkmcnt(0)
	v_mfma_f32_16x16x16f16 v[6:9], v[2:3], v[24:25], v[6:9]
	v_cvt_pkrtz_f16_f32 v2, v13, v17
	v_cvt_pkrtz_f16_f32 v3, v16, v18
	s_nop 1
	v_mfma_f32_16x16x16f16 v[6:9], v[2:3], v[26:27], v[6:9]
	s_and_saveexec_b64 s[10:11], s[12:13]
	s_cbranch_execz .LBB574_741
; %bb.736:
	s_movk_i32 s7, 0x80
	v_cmp_ne_u16_sdwa s[14:15], v4, s7 src0_sel:BYTE_0 src1_sel:DWORD
	v_bfrev_b32_e32 v10, 1
	s_and_saveexec_b64 s[12:13], s[14:15]
	s_cbranch_execz .LBB574_740
; %bb.737:
	s_movk_i32 s7, 0x7f
	v_and_b32_e32 v2, 0x7f, v4
	v_cmp_ne_u32_e32 vcc, s7, v2
	v_mov_b32_e32 v10, 0x7f800001
	s_and_saveexec_b64 s[14:15], vcc
	s_cbranch_execz .LBB574_739
; %bb.738:
	v_and_b32_e32 v3, 7, v4
	v_ffbh_u32_e32 v10, v3
	v_min_u32_e32 v13, 32, v10
	v_subrev_u32_e32 v10, 28, v13
	v_lshlrev_b64 v[10:11], v10, v[4:5]
	v_lshrrev_b32_e32 v12, 3, v2
	v_sub_u32_e32 v11, 29, v13
	v_and_b32_e32 v10, 7, v10
	v_cmp_gt_u32_e32 vcc, 8, v2
	v_cndmask_b32_e32 v2, v12, v11, vcc
	v_cndmask_b32_e32 v3, v3, v10, vcc
	v_lshlrev_b32_e32 v10, 24, v4
	v_bfrev_b32_e32 v11, 60
	v_lshlrev_b32_e32 v3, 20, v3
	v_and_b32_e32 v10, 0x80000000, v10
	v_lshl_add_u32 v2, v2, 23, v11
	v_or3_b32 v10, v10, v2, v3
.LBB574_739:
	s_or_b64 exec, exec, s[14:15]
.LBB574_740:
	s_or_b64 exec, exec, s[12:13]
.LBB574_741:
	s_or_b64 exec, exec, s[10:11]
	v_lshrrev_b16_e32 v2, 8, v4
	v_cmp_ne_u16_e32 vcc, 0, v2
	v_mov_b32_e32 v3, 0
	v_mov_b32_e32 v11, 0
	s_and_saveexec_b64 s[10:11], vcc
	s_cbranch_execz .LBB574_747
; %bb.742:
	s_movk_i32 s7, 0x80
	v_cmp_ne_u16_e32 vcc, s7, v2
	v_bfrev_b32_e32 v11, 1
	s_and_saveexec_b64 s[12:13], vcc
	s_cbranch_execz .LBB574_746
; %bb.743:
	s_movk_i32 s7, 0x7f
	v_and_b32_e32 v12, 0x7f, v2
	v_cmp_ne_u32_e32 vcc, s7, v12
	v_mov_b32_e32 v11, 0x7f800001
	s_and_saveexec_b64 s[14:15], vcc
	s_cbranch_execz .LBB574_745
; %bb.744:
	v_and_b32_e32 v11, 7, v2
	v_ffbh_u32_e32 v14, v11
	v_min_u32_e32 v16, 32, v14
	v_subrev_u32_e32 v14, 28, v16
	v_lshlrev_b64 v[14:15], v14, v[2:3]
	v_lshrrev_b32_e32 v13, 3, v12
	v_sub_u32_e32 v2, 29, v16
	v_and_b32_e32 v14, 7, v14
	v_cmp_gt_u32_e32 vcc, 8, v12
	v_cndmask_b32_e32 v2, v13, v2, vcc
	v_cndmask_b32_e32 v11, v11, v14, vcc
	v_lshlrev_b32_e32 v12, 16, v4
	v_bfrev_b32_e32 v13, 60
	v_lshlrev_b32_e32 v11, 20, v11
	v_and_b32_e32 v12, 0x80000000, v12
	v_lshl_add_u32 v2, v2, 23, v13
	v_or3_b32 v11, v12, v2, v11
.LBB574_745:
	s_or_b64 exec, exec, s[14:15]
.LBB574_746:
	s_or_b64 exec, exec, s[12:13]
.LBB574_747:
	s_or_b64 exec, exec, s[10:11]
	s_movk_i32 s7, 0xff
	v_and_b32_sdwa v12, v4, s7 dst_sel:DWORD dst_unused:UNUSED_PAD src0_sel:WORD_1 src1_sel:DWORD
	v_lshrrev_b32_e32 v2, 16, v4
	v_cmp_ne_u16_e32 vcc, 0, v12
	s_and_saveexec_b64 s[10:11], vcc
	s_cbranch_execz .LBB574_753
; %bb.748:
	s_movk_i32 s7, 0x80
	v_cmp_ne_u16_e32 vcc, s7, v12
	v_bfrev_b32_e32 v3, 1
	s_and_saveexec_b64 s[12:13], vcc
	s_cbranch_execz .LBB574_752
; %bb.749:
	v_bfe_u32 v12, v4, 16, 7
	s_movk_i32 s7, 0x7f
	v_cmp_ne_u32_e32 vcc, s7, v12
	v_mov_b32_e32 v3, 0x7f800001
	s_and_saveexec_b64 s[14:15], vcc
	s_cbranch_execz .LBB574_751
; %bb.750:
	v_and_b32_e32 v13, 7, v2
	v_ffbh_u32_e32 v3, v13
	v_min_u32_e32 v15, 32, v3
	v_subrev_u32_e32 v3, 28, v15
	v_lshlrev_b64 v[2:3], v3, v[2:3]
	v_lshrrev_b32_e32 v14, 3, v12
	v_sub_u32_e32 v3, 29, v15
	v_and_b32_e32 v2, 7, v2
	v_cmp_gt_u32_e32 vcc, 8, v12
	v_mov_b32_e32 v12, 24
	v_cndmask_b32_e32 v3, v14, v3, vcc
	v_cndmask_b32_e32 v2, v13, v2, vcc
	v_lshlrev_b32_sdwa v12, v12, v4 dst_sel:DWORD dst_unused:UNUSED_PAD src0_sel:DWORD src1_sel:WORD_1
	v_bfrev_b32_e32 v13, 60
	v_lshlrev_b32_e32 v2, 20, v2
	v_and_b32_e32 v12, 0x80000000, v12
	v_lshl_add_u32 v3, v3, 23, v13
	v_or3_b32 v3, v12, v3, v2
.LBB574_751:
	s_or_b64 exec, exec, s[14:15]
.LBB574_752:
	s_or_b64 exec, exec, s[12:13]
.LBB574_753:
	s_or_b64 exec, exec, s[10:11]
	s_mov_b32 s7, 0xffffff
	v_cmp_lt_u32_e32 vcc, s7, v4
	v_mov_b32_e32 v12, 0
	v_mov_b32_e32 v13, 0
	s_and_saveexec_b64 s[10:11], vcc
	s_cbranch_execz .LBB574_759
; %bb.754:
	v_lshrrev_b32_e32 v2, 24, v4
	s_movk_i32 s7, 0x80
	v_cmp_ne_u32_e32 vcc, s7, v2
	v_bfrev_b32_e32 v13, 1
	s_and_saveexec_b64 s[12:13], vcc
	s_cbranch_execz .LBB574_758
; %bb.755:
	v_bfe_u32 v4, v4, 24, 7
	s_movk_i32 s7, 0x7f
	v_cmp_ne_u32_e32 vcc, s7, v4
	v_mov_b32_e32 v13, 0x7f800001
	s_and_saveexec_b64 s[14:15], vcc
	s_cbranch_execz .LBB574_757
; %bb.756:
	v_and_b32_e32 v13, 7, v2
	v_ffbh_u32_e32 v14, v13
	v_min_u32_e32 v17, 32, v14
	v_subrev_u32_e32 v14, 28, v17
	v_lshlrev_b64 v[14:15], v14, v[2:3]
	v_lshrrev_b32_e32 v16, 3, v4
	v_sub_u32_e32 v15, 29, v17
	v_and_b32_e32 v14, 7, v14
	v_cmp_gt_u32_e32 vcc, 8, v4
	v_cndmask_b32_e32 v4, v16, v15, vcc
	v_cndmask_b32_e32 v13, v13, v14, vcc
	v_lshlrev_b32_e32 v2, 24, v2
	v_bfrev_b32_e32 v14, 60
	v_lshlrev_b32_e32 v13, 20, v13
	v_and_b32_e32 v2, 0x80000000, v2
	v_lshl_add_u32 v4, v4, 23, v14
	v_or3_b32 v13, v2, v4, v13
.LBB574_757:
	s_or_b64 exec, exec, s[14:15]
.LBB574_758:
	s_or_b64 exec, exec, s[12:13]
.LBB574_759:
	s_or_b64 exec, exec, s[10:11]
	v_cmp_ne_u16_sdwa s[12:13], v5, v12 src0_sel:BYTE_0 src1_sel:DWORD
	s_and_saveexec_b64 s[10:11], s[12:13]
	s_cbranch_execz .LBB574_765
; %bb.760:
	s_movk_i32 s7, 0x80
	v_cmp_ne_u16_sdwa s[14:15], v5, s7 src0_sel:BYTE_0 src1_sel:DWORD
	v_bfrev_b32_e32 v12, 1
	s_and_saveexec_b64 s[12:13], s[14:15]
	s_cbranch_execz .LBB574_764
; %bb.761:
	s_movk_i32 s7, 0x7f
	v_and_b32_e32 v2, 0x7f, v5
	v_cmp_ne_u32_e32 vcc, s7, v2
	v_mov_b32_e32 v12, 0x7f800001
	s_and_saveexec_b64 s[14:15], vcc
	s_cbranch_execz .LBB574_763
; %bb.762:
	v_and_b32_e32 v12, 7, v5
	v_ffbh_u32_e32 v14, v12
	v_min_u32_e32 v17, 32, v14
	v_mov_b32_e32 v4, v5
	v_subrev_u32_e32 v14, 28, v17
	v_lshlrev_b64 v[14:15], v14, v[4:5]
	v_lshrrev_b32_e32 v16, 3, v2
	v_sub_u32_e32 v4, 29, v17
	v_and_b32_e32 v14, 7, v14
	v_cmp_gt_u32_e32 vcc, 8, v2
	v_cndmask_b32_e32 v2, v16, v4, vcc
	v_cndmask_b32_e32 v4, v12, v14, vcc
	v_lshlrev_b32_e32 v12, 24, v5
	v_bfrev_b32_e32 v14, 60
	v_lshlrev_b32_e32 v4, 20, v4
	v_and_b32_e32 v12, 0x80000000, v12
	v_lshl_add_u32 v2, v2, 23, v14
	v_or3_b32 v12, v12, v2, v4
.LBB574_763:
	s_or_b64 exec, exec, s[14:15]
.LBB574_764:
	s_or_b64 exec, exec, s[12:13]
.LBB574_765:
	s_or_b64 exec, exec, s[10:11]
	v_lshrrev_b16_e32 v2, 8, v5
	v_cmp_ne_u16_e32 vcc, 0, v2
	v_mov_b32_e32 v4, 0
	v_mov_b32_e32 v14, 0
	s_and_saveexec_b64 s[10:11], vcc
	s_cbranch_execz .LBB574_771
; %bb.766:
	s_movk_i32 s7, 0x80
	v_cmp_ne_u16_e32 vcc, s7, v2
	v_bfrev_b32_e32 v14, 1
	s_and_saveexec_b64 s[12:13], vcc
	s_cbranch_execz .LBB574_770
; %bb.767:
	s_movk_i32 s7, 0x7f
	v_and_b32_e32 v15, 0x7f, v2
	v_cmp_ne_u32_e32 vcc, s7, v15
	v_mov_b32_e32 v14, 0x7f800001
	s_and_saveexec_b64 s[14:15], vcc
	s_cbranch_execz .LBB574_769
; %bb.768:
	v_and_b32_e32 v14, 7, v2
	v_ffbh_u32_e32 v16, v14
	v_min_u32_e32 v19, 32, v16
	v_subrev_u32_e32 v16, 28, v19
	v_lshlrev_b64 v[16:17], v16, v[2:3]
	v_lshrrev_b32_e32 v18, 3, v15
	v_sub_u32_e32 v2, 29, v19
	v_and_b32_e32 v16, 7, v16
	v_cmp_gt_u32_e32 vcc, 8, v15
	v_cndmask_b32_e32 v2, v18, v2, vcc
	v_cndmask_b32_e32 v14, v14, v16, vcc
	v_lshlrev_b32_e32 v15, 16, v5
	v_bfrev_b32_e32 v16, 60
	v_lshlrev_b32_e32 v14, 20, v14
	v_and_b32_e32 v15, 0x80000000, v15
	v_lshl_add_u32 v2, v2, 23, v16
	v_or3_b32 v14, v15, v2, v14
.LBB574_769:
	s_or_b64 exec, exec, s[14:15]
.LBB574_770:
	s_or_b64 exec, exec, s[12:13]
.LBB574_771:
	s_or_b64 exec, exec, s[10:11]
	s_movk_i32 s7, 0xff
	v_and_b32_sdwa v15, v5, s7 dst_sel:DWORD dst_unused:UNUSED_PAD src0_sel:WORD_1 src1_sel:DWORD
	v_lshrrev_b32_e32 v2, 16, v5
	v_cmp_ne_u16_e32 vcc, 0, v15
	s_and_saveexec_b64 s[10:11], vcc
	s_cbranch_execz .LBB574_777
; %bb.772:
	s_movk_i32 s7, 0x80
	v_cmp_ne_u16_e32 vcc, s7, v15
	v_bfrev_b32_e32 v4, 1
	s_and_saveexec_b64 s[12:13], vcc
	s_cbranch_execz .LBB574_776
; %bb.773:
	v_bfe_u32 v15, v5, 16, 7
	s_movk_i32 s7, 0x7f
	v_cmp_ne_u32_e32 vcc, s7, v15
	v_mov_b32_e32 v4, 0x7f800001
	s_and_saveexec_b64 s[14:15], vcc
	s_cbranch_execz .LBB574_775
; %bb.774:
	v_and_b32_e32 v4, 7, v2
	v_ffbh_u32_e32 v16, v4
	v_min_u32_e32 v19, 32, v16
	v_subrev_u32_e32 v16, 28, v19
	v_lshlrev_b64 v[16:17], v16, v[2:3]
	v_lshrrev_b32_e32 v18, 3, v15
	v_sub_u32_e32 v2, 29, v19
	v_and_b32_e32 v16, 7, v16
	v_cmp_gt_u32_e32 vcc, 8, v15
	v_mov_b32_e32 v15, 24
	v_cndmask_b32_e32 v2, v18, v2, vcc
	v_cndmask_b32_e32 v4, v4, v16, vcc
	v_lshlrev_b32_sdwa v15, v15, v5 dst_sel:DWORD dst_unused:UNUSED_PAD src0_sel:DWORD src1_sel:WORD_1
	v_bfrev_b32_e32 v16, 60
	v_lshlrev_b32_e32 v4, 20, v4
	v_and_b32_e32 v15, 0x80000000, v15
	v_lshl_add_u32 v2, v2, 23, v16
	v_or3_b32 v4, v15, v2, v4
.LBB574_775:
	s_or_b64 exec, exec, s[14:15]
.LBB574_776:
	s_or_b64 exec, exec, s[12:13]
.LBB574_777:
	s_or_b64 exec, exec, s[10:11]
	s_mov_b32 s7, 0xffffff
	v_cmp_lt_u32_e32 vcc, s7, v5
	v_mov_b32_e32 v15, 0
	s_and_saveexec_b64 s[10:11], vcc
	s_cbranch_execz .LBB574_783
; %bb.778:
	v_lshrrev_b32_e32 v2, 24, v5
	s_movk_i32 s7, 0x80
	v_cmp_ne_u32_e32 vcc, s7, v2
	v_bfrev_b32_e32 v15, 1
	s_and_saveexec_b64 s[12:13], vcc
	s_cbranch_execz .LBB574_782
; %bb.779:
	v_bfe_u32 v5, v5, 24, 7
	s_movk_i32 s7, 0x7f
	v_cmp_ne_u32_e32 vcc, s7, v5
	v_mov_b32_e32 v15, 0x7f800001
	s_and_saveexec_b64 s[14:15], vcc
	s_cbranch_execz .LBB574_781
; %bb.780:
	v_and_b32_e32 v15, 7, v2
	v_ffbh_u32_e32 v16, v15
	v_min_u32_e32 v19, 32, v16
	v_subrev_u32_e32 v16, 28, v19
	v_lshlrev_b64 v[16:17], v16, v[2:3]
	v_lshrrev_b32_e32 v18, 3, v5
	v_sub_u32_e32 v17, 29, v19
	v_and_b32_e32 v16, 7, v16
	v_cmp_gt_u32_e32 vcc, 8, v5
	v_cndmask_b32_e32 v5, v18, v17, vcc
	v_cndmask_b32_e32 v15, v15, v16, vcc
	v_lshlrev_b32_e32 v2, 24, v2
	v_bfrev_b32_e32 v16, 60
	v_lshlrev_b32_e32 v15, 20, v15
	v_and_b32_e32 v2, 0x80000000, v2
	v_lshl_add_u32 v5, v5, 23, v16
	v_or3_b32 v15, v2, v5, v15
.LBB574_781:
	s_or_b64 exec, exec, s[14:15]
.LBB574_782:
	s_or_b64 exec, exec, s[12:13]
.LBB574_783:
	s_or_b64 exec, exec, s[10:11]
	v_cvt_pkrtz_f16_f32 v2, v10, v11
	v_cvt_pkrtz_f16_f32 v3, v3, v13
	ds_read_b128 v[16:19], v22 offset:6160
	s_load_dword s10, s[42:43], 0x0
	v_cmp_gt_u32_e32 vcc, 64, v0
	s_waitcnt lgkmcnt(0)
	v_mfma_f32_16x16x16f16 v[6:9], v[2:3], v[16:17], v[6:9]
	v_cvt_pkrtz_f16_f32 v2, v12, v14
	v_cvt_pkrtz_f16_f32 v3, v4, v15
	s_and_b64 s[0:1], s[0:1], vcc
	s_and_b64 s[0:1], s[0:1], s[2:3]
	s_barrier
	v_mfma_f32_16x16x16f16 v[2:5], v[2:3], v[18:19], v[6:9]
	s_nop 7
	s_nop 2
	v_pk_mul_f32 v[4:5], v[4:5], s[10:11] op_sel_hi:[1,0]
	v_pk_mul_f32 v[2:3], v[2:3], s[10:11] op_sel_hi:[1,0]
	v_cvt_f16_f32_e32 v2, v2
	v_cvt_f16_f32_e32 v3, v3
	;; [unrolled: 1-line block ×4, first 2 shown]
	v_pack_b32_f16 v2, v2, v3
	v_pack_b32_f16 v3, v4, v5
	ds_write_b64 v28, v[2:3]
	s_waitcnt lgkmcnt(0)
	s_barrier
	s_and_saveexec_b64 s[2:3], s[0:1]
	s_cbranch_execz .LBB574_785
; %bb.784:
	s_load_dwordx2 s[0:1], s[4:5], 0x68
	s_mul_i32 s2, s45, s6
	s_lshl_b32 s4, s44, 6
	s_mul_hi_u32 s3, s2, s4
	s_mul_i32 s2, s2, s4
	s_lshl_b64 s[2:3], s[2:3], 1
	v_lshlrev_b32_e32 v0, 10, v0
	s_waitcnt lgkmcnt(0)
	s_add_u32 s2, s0, s2
	v_and_b32_e32 v0, 0x1800, v0
	v_lshlrev_b32_e32 v2, 5, v46
	v_and_b32_e32 v3, 16, v47
	s_addc_u32 s3, s1, s3
	s_lshl_b32 s0, s9, 6
	s_mov_b32 s1, 0
	v_or3_b32 v0, v0, v2, v3
	s_lshl_b64 s[0:1], s[0:1], 1
	ds_read_b128 v[2:5], v0
	s_add_u32 s2, s2, s0
	s_addc_u32 s3, s3, s1
	s_mul_hi_u32 s1, s4, s8
	s_mul_i32 s0, s4, s8
	s_lshl_b64 s[0:1], s[0:1], 1
	s_add_u32 s0, s2, s0
	s_addc_u32 s1, s3, s1
	s_waitcnt lgkmcnt(0)
	global_store_dwordx4 v1, v[2:5], s[0:1]
.LBB574_785:
	s_endpgm
	.section	.rodata,"a",@progbits
	.p2align	6, 0x0
	.amdhsa_kernel _Z39paged_attention_ll4mi_QKV_mfma16_kernelIDF16_hLN4vllm18Fp8KVCacheDataTypeE1EDF16_Li16ELi64ELi256ELb0ELi1EL8MFMAType0EEvPKT_PKT0_S8_ifPKiSA_SA_iPKfiiiPfSD_PS3_PT2_iSC_SC_
		.amdhsa_group_segment_fixed_size 8192
		.amdhsa_private_segment_fixed_size 0
		.amdhsa_kernarg_size 400
		.amdhsa_user_sgpr_count 6
		.amdhsa_user_sgpr_private_segment_buffer 1
		.amdhsa_user_sgpr_dispatch_ptr 0
		.amdhsa_user_sgpr_queue_ptr 0
		.amdhsa_user_sgpr_kernarg_segment_ptr 1
		.amdhsa_user_sgpr_dispatch_id 0
		.amdhsa_user_sgpr_flat_scratch_init 0
		.amdhsa_user_sgpr_kernarg_preload_length 0
		.amdhsa_user_sgpr_kernarg_preload_offset 0
		.amdhsa_user_sgpr_private_segment_size 0
		.amdhsa_uses_dynamic_stack 0
		.amdhsa_system_sgpr_private_segment_wavefront_offset 0
		.amdhsa_system_sgpr_workgroup_id_x 1
		.amdhsa_system_sgpr_workgroup_id_y 1
		.amdhsa_system_sgpr_workgroup_id_z 1
		.amdhsa_system_sgpr_workgroup_info 0
		.amdhsa_system_vgpr_workitem_id 0
		.amdhsa_next_free_vgpr 61
		.amdhsa_next_free_sgpr 47
		.amdhsa_accum_offset 64
		.amdhsa_reserve_vcc 1
		.amdhsa_reserve_flat_scratch 0
		.amdhsa_float_round_mode_32 0
		.amdhsa_float_round_mode_16_64 0
		.amdhsa_float_denorm_mode_32 3
		.amdhsa_float_denorm_mode_16_64 3
		.amdhsa_dx10_clamp 1
		.amdhsa_ieee_mode 1
		.amdhsa_fp16_overflow 0
		.amdhsa_tg_split 0
		.amdhsa_exception_fp_ieee_invalid_op 0
		.amdhsa_exception_fp_denorm_src 0
		.amdhsa_exception_fp_ieee_div_zero 0
		.amdhsa_exception_fp_ieee_overflow 0
		.amdhsa_exception_fp_ieee_underflow 0
		.amdhsa_exception_fp_ieee_inexact 0
		.amdhsa_exception_int_div_zero 0
	.end_amdhsa_kernel
	.section	.text._Z39paged_attention_ll4mi_QKV_mfma16_kernelIDF16_hLN4vllm18Fp8KVCacheDataTypeE1EDF16_Li16ELi64ELi256ELb0ELi1EL8MFMAType0EEvPKT_PKT0_S8_ifPKiSA_SA_iPKfiiiPfSD_PS3_PT2_iSC_SC_,"axG",@progbits,_Z39paged_attention_ll4mi_QKV_mfma16_kernelIDF16_hLN4vllm18Fp8KVCacheDataTypeE1EDF16_Li16ELi64ELi256ELb0ELi1EL8MFMAType0EEvPKT_PKT0_S8_ifPKiSA_SA_iPKfiiiPfSD_PS3_PT2_iSC_SC_,comdat
.Lfunc_end574:
	.size	_Z39paged_attention_ll4mi_QKV_mfma16_kernelIDF16_hLN4vllm18Fp8KVCacheDataTypeE1EDF16_Li16ELi64ELi256ELb0ELi1EL8MFMAType0EEvPKT_PKT0_S8_ifPKiSA_SA_iPKfiiiPfSD_PS3_PT2_iSC_SC_, .Lfunc_end574-_Z39paged_attention_ll4mi_QKV_mfma16_kernelIDF16_hLN4vllm18Fp8KVCacheDataTypeE1EDF16_Li16ELi64ELi256ELb0ELi1EL8MFMAType0EEvPKT_PKT0_S8_ifPKiSA_SA_iPKfiiiPfSD_PS3_PT2_iSC_SC_
                                        ; -- End function
	.section	.AMDGPU.csdata,"",@progbits
; Kernel info:
; codeLenInByte = 26752
; NumSgprs: 51
; NumVgprs: 61
; NumAgprs: 0
; TotalNumVgprs: 61
; ScratchSize: 0
; MemoryBound: 0
; FloatMode: 240
; IeeeMode: 1
; LDSByteSize: 8192 bytes/workgroup (compile time only)
; SGPRBlocks: 6
; VGPRBlocks: 7
; NumSGPRsForWavesPerEU: 51
; NumVGPRsForWavesPerEU: 61
; AccumOffset: 64
; Occupancy: 8
; WaveLimiterHint : 1
; COMPUTE_PGM_RSRC2:SCRATCH_EN: 0
; COMPUTE_PGM_RSRC2:USER_SGPR: 6
; COMPUTE_PGM_RSRC2:TRAP_HANDLER: 0
; COMPUTE_PGM_RSRC2:TGID_X_EN: 1
; COMPUTE_PGM_RSRC2:TGID_Y_EN: 1
; COMPUTE_PGM_RSRC2:TGID_Z_EN: 1
; COMPUTE_PGM_RSRC2:TIDIG_COMP_CNT: 0
; COMPUTE_PGM_RSRC3_GFX90A:ACCUM_OFFSET: 15
; COMPUTE_PGM_RSRC3_GFX90A:TG_SPLIT: 0
	.section	.text._Z39paged_attention_ll4mi_QKV_mfma16_kernelIDF16_hLN4vllm18Fp8KVCacheDataTypeE1EDF16_Li16ELi64ELi256ELb0ELi2EL8MFMAType0EEvPKT_PKT0_S8_ifPKiSA_SA_iPKfiiiPfSD_PS3_PT2_iSC_SC_,"axG",@progbits,_Z39paged_attention_ll4mi_QKV_mfma16_kernelIDF16_hLN4vllm18Fp8KVCacheDataTypeE1EDF16_Li16ELi64ELi256ELb0ELi2EL8MFMAType0EEvPKT_PKT0_S8_ifPKiSA_SA_iPKfiiiPfSD_PS3_PT2_iSC_SC_,comdat
	.protected	_Z39paged_attention_ll4mi_QKV_mfma16_kernelIDF16_hLN4vllm18Fp8KVCacheDataTypeE1EDF16_Li16ELi64ELi256ELb0ELi2EL8MFMAType0EEvPKT_PKT0_S8_ifPKiSA_SA_iPKfiiiPfSD_PS3_PT2_iSC_SC_ ; -- Begin function _Z39paged_attention_ll4mi_QKV_mfma16_kernelIDF16_hLN4vllm18Fp8KVCacheDataTypeE1EDF16_Li16ELi64ELi256ELb0ELi2EL8MFMAType0EEvPKT_PKT0_S8_ifPKiSA_SA_iPKfiiiPfSD_PS3_PT2_iSC_SC_
	.globl	_Z39paged_attention_ll4mi_QKV_mfma16_kernelIDF16_hLN4vllm18Fp8KVCacheDataTypeE1EDF16_Li16ELi64ELi256ELb0ELi2EL8MFMAType0EEvPKT_PKT0_S8_ifPKiSA_SA_iPKfiiiPfSD_PS3_PT2_iSC_SC_
	.p2align	8
	.type	_Z39paged_attention_ll4mi_QKV_mfma16_kernelIDF16_hLN4vllm18Fp8KVCacheDataTypeE1EDF16_Li16ELi64ELi256ELb0ELi2EL8MFMAType0EEvPKT_PKT0_S8_ifPKiSA_SA_iPKfiiiPfSD_PS3_PT2_iSC_SC_,@function
_Z39paged_attention_ll4mi_QKV_mfma16_kernelIDF16_hLN4vllm18Fp8KVCacheDataTypeE1EDF16_Li16ELi64ELi256ELb0ELi2EL8MFMAType0EEvPKT_PKT0_S8_ifPKiSA_SA_iPKfiiiPfSD_PS3_PT2_iSC_SC_: ; @_Z39paged_attention_ll4mi_QKV_mfma16_kernelIDF16_hLN4vllm18Fp8KVCacheDataTypeE1EDF16_Li16ELi64ELi256ELb0ELi2EL8MFMAType0EEvPKT_PKT0_S8_ifPKiSA_SA_iPKfiiiPfSD_PS3_PT2_iSC_SC_
; %bb.0:
	s_load_dwordx2 s[0:1], s[4:5], 0x30
	s_mov_b32 s24, s7
	s_mov_b64 s[10:11], 0
	s_waitcnt lgkmcnt(0)
	s_cmp_lg_u64 s[0:1], 0
	s_cselect_b64 s[2:3], -1, 0
	s_and_b64 vcc, exec, s[2:3]
	s_cbranch_vccz .LBB575_7
; %bb.1:
	s_add_i32 s12, s6, 1
	s_mov_b32 s13, 0
	s_lshl_b64 s[14:15], s[12:13], 2
	s_add_u32 s14, s0, s14
	s_mov_b32 s7, s13
	s_addc_u32 s15, s1, s15
	s_lshl_b64 s[12:13], s[6:7], 2
	s_add_u32 s12, s0, s12
	s_addc_u32 s13, s1, s13
	s_load_dword s9, s[14:15], 0x0
	s_load_dword s16, s[12:13], 0x0
	s_waitcnt lgkmcnt(0)
	s_sub_i32 s9, s9, s16
	s_cmp_eq_u32 s9, 1
	s_cselect_b64 s[12:13], -1, 0
	s_andn2_b64 vcc, exec, s[10:11]
	s_cbranch_vccnz .LBB575_3
.LBB575_2:
	s_mov_b32 s7, 0
	s_mov_b64 s[12:13], -1
.LBB575_3:
	s_andn2_b64 vcc, exec, s[12:13]
	s_cbranch_vccnz .LBB575_785
; %bb.4:
	s_load_dwordx2 s[12:13], s[4:5], 0x28
	s_lshl_b64 s[10:11], s[6:7], 2
	s_waitcnt lgkmcnt(0)
	s_add_u32 s12, s12, s10
	s_addc_u32 s13, s13, s11
	s_load_dword s33, s[12:13], 0x0
	s_lshl_b32 s20, s24, 8
	s_waitcnt lgkmcnt(0)
	s_cmp_ge_i32 s20, s33
	s_cbranch_scc1 .LBB575_785
; %bb.5:
	s_add_i32 s14, s33, 15
	s_load_dwordx2 s[12:13], s[4:5], 0x20
	s_load_dword s9, s[4:5], 0x38
	s_ashr_i32 s15, s14, 31
	v_and_b32_e32 v1, 0xcf, v0
	s_lshr_b32 s15, s15, 28
	v_add_u32_e32 v1, s20, v1
	s_add_i32 s14, s14, s15
	v_ashrrev_i32_e32 v2, 31, v1
	s_ashr_i32 s22, s14, 4
	v_lshrrev_b32_e32 v4, 28, v2
	s_add_i32 s22, s22, -1
	v_add_u32_e32 v2, v1, v4
	s_waitcnt lgkmcnt(0)
	s_mul_i32 s14, s6, s9
	s_mov_b32 s15, 0
	v_ashrrev_i32_e32 v2, 4, v2
	v_mov_b32_e32 v5, s22
	v_cmp_gt_i32_e32 vcc, s33, v1
	s_lshl_b64 s[14:15], s[14:15], 2
	v_cndmask_b32_e32 v2, v5, v2, vcc
	s_add_u32 s9, s12, s14
	v_ashrrev_i32_e32 v3, 31, v2
	s_addc_u32 s21, s13, s15
	v_lshlrev_b64 v[2:3], 2, v[2:3]
	v_mov_b32_e32 v7, s21
	v_add_co_u32_e32 v6, vcc, s9, v2
	v_or_b32_e32 v2, 16, v1
	v_addc_co_u32_e32 v7, vcc, v7, v3, vcc
	v_add_u32_e32 v3, v2, v4
	v_ashrrev_i32_e32 v3, 4, v3
	v_cmp_gt_i32_e32 vcc, s33, v2
	v_cndmask_b32_e32 v2, v5, v3, vcc
	v_ashrrev_i32_e32 v3, 31, v2
	v_lshlrev_b64 v[2:3], 2, v[2:3]
	v_mov_b32_e32 v9, s21
	v_add_co_u32_e32 v8, vcc, s9, v2
	v_or_b32_e32 v2, 32, v1
	v_addc_co_u32_e32 v9, vcc, v9, v3, vcc
	v_add_u32_e32 v3, v2, v4
	v_ashrrev_i32_e32 v3, 4, v3
	v_cmp_gt_i32_e32 vcc, s33, v2
	v_cndmask_b32_e32 v2, v5, v3, vcc
	v_ashrrev_i32_e32 v3, 31, v2
	;; [unrolled: 10-line block ×3, first 2 shown]
	v_lshlrev_b64 v[2:3], 2, v[2:3]
	v_mov_b32_e32 v1, s21
	v_add_co_u32_e32 v12, vcc, s9, v2
	v_addc_co_u32_e32 v13, vcc, v1, v3, vcc
	global_load_dword v4, v[6:7], off
	global_load_dword v5, v[8:9], off
	;; [unrolled: 1-line block ×4, first 2 shown]
	s_load_dwordx4 s[12:15], s[4:5], 0x8
	s_andn2_b64 vcc, exec, s[2:3]
	s_cbranch_vccnz .LBB575_8
; %bb.6:
	s_add_u32 s0, s0, s10
	s_addc_u32 s1, s1, s11
	s_load_dword s10, s[0:1], 0x0
	s_branch .LBB575_9
.LBB575_7:
	s_mov_b64 s[12:13], 0
	s_branch .LBB575_2
.LBB575_8:
	s_mov_b32 s10, s6
.LBB575_9:
	s_load_dwordx4 s[16:19], s[4:5], 0x48
	v_lshrrev_b32_e32 v48, 6, v0
	v_bfe_u32 v1, v0, 4, 2
	v_lshl_or_b32 v6, v48, 2, v1
	v_and_b32_e32 v49, 15, v0
	v_lshlrev_b32_e32 v7, 3, v49
	v_cmp_gt_u32_e32 vcc, 2, v6
	v_cmp_gt_u32_e64 s[0:1], 8, v49
	s_lshl_b32 s25, s8, 1
	s_and_b64 s[26:27], s[0:1], vcc
	v_lshlrev_b32_e32 v46, 1, v7
	v_lshlrev_b32_e32 v47, 4, v0
	s_and_saveexec_b64 s[2:3], s[26:27]
	s_cbranch_execz .LBB575_11
; %bb.10:
	s_load_dwordx2 s[26:27], s[4:5], 0x0
	s_waitcnt lgkmcnt(0)
	s_ashr_i32 s11, s16, 31
	s_mul_hi_u32 s19, s10, s16
	s_mul_i32 s11, s10, s11
	s_add_i32 s11, s19, s11
	s_mul_i32 s10, s10, s16
	s_lshl_b64 s[10:11], s[10:11], 1
	v_add_lshl_u32 v8, v1, s25, 6
	s_add_u32 s10, s26, s10
	v_ashrrev_i32_e32 v9, 31, v8
	s_addc_u32 s11, s27, s11
	v_lshlrev_b64 v[8:9], 1, v[8:9]
	v_mov_b32_e32 v7, s11
	v_add_co_u32_e32 v8, vcc, s10, v8
	v_addc_co_u32_e32 v7, vcc, v7, v9, vcc
	v_add_co_u32_e32 v8, vcc, v8, v46
	v_addc_co_u32_e32 v9, vcc, 0, v7, vcc
	global_load_dwordx4 v[8:11], v[8:9], off
	v_lshlrev_b32_e32 v12, 8, v49
	v_lshlrev_b32_e32 v6, 5, v6
	v_and_b32_e32 v7, 16, v47
	v_and_b32_e32 v12, 0xe00, v12
	v_or3_b32 v6, v12, v6, v7
	s_waitcnt vmcnt(0)
	ds_write_b128 v6, v[8:11]
.LBB575_11:
	s_or_b64 exec, exec, s[2:3]
	v_and_b32_e32 v12, 48, v0
	v_or_b32_e32 v13, s20, v12
	v_ashrrev_i32_e32 v6, 4, v13
	v_mov_b32_e32 v14, s22
	v_cmp_gt_i32_e32 vcc, s33, v13
	v_cndmask_b32_e32 v6, v14, v6, vcc
	v_ashrrev_i32_e32 v7, 31, v6
	v_lshlrev_b64 v[6:7], 2, v[6:7]
	v_mov_b32_e32 v8, s21
	v_add_co_u32_e32 v6, vcc, s9, v6
	v_addc_co_u32_e32 v7, vcc, v8, v7, vcc
	v_or_b32_e32 v8, 64, v13
	v_ashrrev_i32_e32 v9, 4, v8
	v_cmp_gt_i32_e32 vcc, s33, v8
	v_cndmask_b32_e32 v8, v14, v9, vcc
	v_ashrrev_i32_e32 v9, 31, v8
	v_lshlrev_b64 v[8:9], 2, v[8:9]
	v_mov_b32_e32 v10, s21
	v_add_co_u32_e32 v8, vcc, s9, v8
	v_addc_co_u32_e32 v9, vcc, v10, v9, vcc
	v_or_b32_e32 v10, 0x80, v13
	v_ashrrev_i32_e32 v11, 4, v10
	v_cmp_gt_i32_e32 vcc, s33, v10
	v_cndmask_b32_e32 v10, v14, v11, vcc
	v_ashrrev_i32_e32 v11, 31, v10
	v_lshlrev_b64 v[10:11], 2, v[10:11]
	v_mov_b32_e32 v15, s21
	v_add_co_u32_e32 v10, vcc, s9, v10
	s_load_dwordx2 s[44:45], s[4:5], 0x94
	s_load_dwordx4 s[40:43], s[4:5], 0x80
	s_waitcnt lgkmcnt(0)
	s_barrier
	v_addc_co_u32_e32 v11, vcc, v15, v11, vcc
	global_load_dword v15, v[6:7], off
	global_load_dword v16, v[8:9], off
	;; [unrolled: 1-line block ×3, first 2 shown]
	v_or_b32_e32 v6, 0xc0, v13
	v_ashrrev_i32_e32 v7, 4, v6
	v_cmp_gt_i32_e32 vcc, s33, v6
	v_cndmask_b32_e32 v6, v14, v7, vcc
	v_ashrrev_i32_e32 v7, 31, v6
	v_lshlrev_b64 v[6:7], 2, v[6:7]
	v_mov_b32_e32 v8, s21
	v_add_co_u32_e32 v6, vcc, s9, v6
	v_addc_co_u32_e32 v7, vcc, v8, v7, vcc
	global_load_dword v20, v[6:7], off
	s_mul_i32 s8, s8, s18
	s_add_u32 s2, s12, s8
	s_addc_u32 s3, s13, 0
	v_and_b32_e32 v6, 0xf0, v47
	v_mov_b32_e32 v7, s3
	v_add_co_u32_e32 v6, vcc, s2, v6
	v_addc_co_u32_e32 v7, vcc, 0, v7, vcc
	v_lshlrev_b32_e32 v8, 4, v12
	v_add_co_u32_e32 v6, vcc, v6, v8
	v_addc_co_u32_e32 v7, vcc, 0, v7, vcc
	s_waitcnt vmcnt(7)
	v_mad_i64_i32 v[8:9], s[2:3], v4, s17, v[6:7]
	s_waitcnt vmcnt(6)
	v_mad_i64_i32 v[4:5], s[2:3], v5, s17, v[6:7]
	global_load_dwordx4 v[30:33], v[8:9], off
	global_load_dwordx4 v[38:41], v[4:5], off
	s_waitcnt vmcnt(7)
	v_mad_i64_i32 v[4:5], s[2:3], v2, s17, v[6:7]
	s_waitcnt vmcnt(6)
	v_mad_i64_i32 v[2:3], s[2:3], v3, s17, v[6:7]
	global_load_dwordx4 v[34:37], v[4:5], off
	global_load_dwordx4 v[22:25], v[2:3], off
	s_add_u32 s2, s14, s8
	v_lshlrev_b32_e32 v2, 4, v49
	s_addc_u32 s3, s15, 0
	v_lshl_or_b32 v2, v48, 8, v2
	v_mov_b32_e32 v3, s3
	v_add_co_u32_e32 v2, vcc, s2, v2
	v_addc_co_u32_e32 v3, vcc, 0, v3, vcc
	v_mov_b32_e32 v43, 0
	s_movk_i32 s8, 0x80
	v_mov_b32_e32 v44, 0
	s_waitcnt vmcnt(7)
	v_mad_i64_i32 v[4:5], s[2:3], v15, s17, v[2:3]
	s_waitcnt vmcnt(6)
	v_mad_i64_i32 v[6:7], s[2:3], v16, s17, v[2:3]
	;; [unrolled: 2-line block ×3, first 2 shown]
	global_load_dwordx4 v[14:17], v[4:5], off
	global_load_dwordx4 v[10:13], v[6:7], off
	s_waitcnt vmcnt(6)
	v_mad_i64_i32 v[20:21], s[2:3], v20, s17, v[2:3]
	global_load_dwordx4 v[6:9], v[18:19], off
	global_load_dwordx4 v[2:5], v[20:21], off
	v_and_b32_e32 v18, 1, v0
	v_lshlrev_b32_e32 v18, 5, v18
	v_lshl_or_b32 v18, v1, 9, v18
	ds_read_b128 v[26:29], v18
	ds_read_b128 v[18:21], v18 offset:16
	s_load_dword s12, s[40:41], 0x0
	s_waitcnt vmcnt(7)
	v_cmp_ne_u16_sdwa s[10:11], v30, v43 src0_sel:BYTE_0 src1_sel:DWORD
	s_and_saveexec_b64 s[2:3], s[10:11]
	s_cbranch_execz .LBB575_17
; %bb.12:
	v_cmp_ne_u16_sdwa s[10:11], v30, s8 src0_sel:BYTE_0 src1_sel:DWORD
	v_bfrev_b32_e32 v44, 1
	s_and_saveexec_b64 s[8:9], s[10:11]
	s_cbranch_execz .LBB575_16
; %bb.13:
	s_movk_i32 s10, 0x7f
	v_and_b32_e32 v42, 0x7f, v30
	v_cmp_ne_u32_e32 vcc, s10, v42
	v_mov_b32_e32 v44, 0x7f800001
	s_and_saveexec_b64 s[10:11], vcc
	s_cbranch_execz .LBB575_15
; %bb.14:
	v_and_b32_e32 v50, 7, v30
	v_ffbh_u32_e32 v44, v50
	v_min_u32_e32 v52, 32, v44
	v_subrev_u32_e32 v44, 28, v52
	v_lshlrev_b64 v[44:45], v44, v[30:31]
	v_lshrrev_b32_e32 v51, 3, v42
	v_sub_u32_e32 v45, 29, v52
	v_and_b32_e32 v44, 7, v44
	v_cmp_gt_u32_e32 vcc, 8, v42
	v_cndmask_b32_e32 v42, v51, v45, vcc
	v_cndmask_b32_e32 v44, v50, v44, vcc
	v_lshlrev_b32_e32 v45, 24, v30
	v_bfrev_b32_e32 v50, 60
	v_lshlrev_b32_e32 v44, 20, v44
	v_and_b32_e32 v45, 0x80000000, v45
	v_lshl_add_u32 v42, v42, 23, v50
	v_or3_b32 v44, v45, v42, v44
.LBB575_15:
	s_or_b64 exec, exec, s[10:11]
.LBB575_16:
	s_or_b64 exec, exec, s[8:9]
.LBB575_17:
	s_or_b64 exec, exec, s[2:3]
	v_lshrrev_b16_e32 v42, 8, v30
	v_cmp_ne_u16_e32 vcc, 0, v42
	s_and_saveexec_b64 s[2:3], vcc
	s_cbranch_execz .LBB575_23
; %bb.18:
	s_movk_i32 s8, 0x80
	v_cmp_ne_u16_e32 vcc, s8, v42
	v_bfrev_b32_e32 v43, 1
	s_and_saveexec_b64 s[8:9], vcc
	s_cbranch_execz .LBB575_22
; %bb.19:
	s_movk_i32 s10, 0x7f
	v_and_b32_e32 v45, 0x7f, v42
	v_cmp_ne_u32_e32 vcc, s10, v45
	v_mov_b32_e32 v43, 0x7f800001
	s_and_saveexec_b64 s[10:11], vcc
	s_cbranch_execz .LBB575_21
; %bb.20:
	v_and_b32_e32 v50, 7, v42
	v_ffbh_u32_e32 v43, v50
	v_min_u32_e32 v52, 32, v43
	v_subrev_u32_e32 v43, 28, v52
	v_lshlrev_b64 v[42:43], v43, v[42:43]
	v_lshrrev_b32_e32 v51, 3, v45
	v_sub_u32_e32 v43, 29, v52
	v_and_b32_e32 v42, 7, v42
	v_cmp_gt_u32_e32 vcc, 8, v45
	v_cndmask_b32_e32 v43, v51, v43, vcc
	v_cndmask_b32_e32 v42, v50, v42, vcc
	v_lshlrev_b32_e32 v45, 16, v30
	v_bfrev_b32_e32 v50, 60
	v_lshlrev_b32_e32 v42, 20, v42
	v_and_b32_e32 v45, 0x80000000, v45
	v_lshl_add_u32 v43, v43, 23, v50
	v_or3_b32 v43, v45, v43, v42
.LBB575_21:
	s_or_b64 exec, exec, s[10:11]
.LBB575_22:
	s_or_b64 exec, exec, s[8:9]
.LBB575_23:
	s_or_b64 exec, exec, s[2:3]
	s_movk_i32 s2, 0xff
	v_and_b32_sdwa v51, v30, s2 dst_sel:DWORD dst_unused:UNUSED_PAD src0_sel:WORD_1 src1_sel:DWORD
	v_lshrrev_b32_e32 v42, 16, v30
	v_cmp_ne_u16_e32 vcc, 0, v51
	v_mov_b32_e32 v45, 0
	v_mov_b32_e32 v50, 0
	s_and_saveexec_b64 s[2:3], vcc
	s_cbranch_execz .LBB575_29
; %bb.24:
	s_movk_i32 s8, 0x80
	v_cmp_ne_u16_e32 vcc, s8, v51
	v_bfrev_b32_e32 v50, 1
	s_and_saveexec_b64 s[8:9], vcc
	s_cbranch_execz .LBB575_28
; %bb.25:
	v_bfe_u32 v51, v30, 16, 7
	s_movk_i32 s10, 0x7f
	v_cmp_ne_u32_e32 vcc, s10, v51
	v_mov_b32_e32 v50, 0x7f800001
	s_and_saveexec_b64 s[10:11], vcc
	s_cbranch_execz .LBB575_27
; %bb.26:
	v_and_b32_e32 v50, 7, v42
	v_ffbh_u32_e32 v52, v50
	v_min_u32_e32 v55, 32, v52
	v_subrev_u32_e32 v52, 28, v55
	v_lshlrev_b64 v[52:53], v52, v[42:43]
	v_lshrrev_b32_e32 v54, 3, v51
	v_sub_u32_e32 v42, 29, v55
	v_and_b32_e32 v52, 7, v52
	v_cmp_gt_u32_e32 vcc, 8, v51
	v_mov_b32_e32 v51, 24
	v_cndmask_b32_e32 v42, v54, v42, vcc
	v_cndmask_b32_e32 v50, v50, v52, vcc
	v_lshlrev_b32_sdwa v51, v51, v30 dst_sel:DWORD dst_unused:UNUSED_PAD src0_sel:DWORD src1_sel:WORD_1
	v_bfrev_b32_e32 v52, 60
	v_lshlrev_b32_e32 v50, 20, v50
	v_and_b32_e32 v51, 0x80000000, v51
	v_lshl_add_u32 v42, v42, 23, v52
	v_or3_b32 v50, v51, v42, v50
.LBB575_27:
	s_or_b64 exec, exec, s[10:11]
.LBB575_28:
	s_or_b64 exec, exec, s[8:9]
.LBB575_29:
	s_or_b64 exec, exec, s[2:3]
	s_mov_b32 s2, 0xffffff
	v_cmp_lt_u32_e32 vcc, s2, v30
	s_and_saveexec_b64 s[2:3], vcc
	s_cbranch_execz .LBB575_35
; %bb.30:
	v_lshrrev_b32_e32 v42, 24, v30
	s_movk_i32 s8, 0x80
	v_cmp_ne_u32_e32 vcc, s8, v42
	v_bfrev_b32_e32 v45, 1
	s_and_saveexec_b64 s[8:9], vcc
	s_cbranch_execz .LBB575_34
; %bb.31:
	v_bfe_u32 v30, v30, 24, 7
	s_movk_i32 s10, 0x7f
	v_cmp_ne_u32_e32 vcc, s10, v30
	v_mov_b32_e32 v45, 0x7f800001
	s_and_saveexec_b64 s[10:11], vcc
	s_cbranch_execz .LBB575_33
; %bb.32:
	v_and_b32_e32 v45, 7, v42
	v_ffbh_u32_e32 v52, v45
	v_min_u32_e32 v54, 32, v52
	v_subrev_u32_e32 v52, 28, v54
	v_lshlrev_b64 v[52:53], v52, v[42:43]
	v_lshrrev_b32_e32 v51, 3, v30
	v_sub_u32_e32 v53, 29, v54
	v_and_b32_e32 v52, 7, v52
	v_cmp_gt_u32_e32 vcc, 8, v30
	v_cndmask_b32_e32 v30, v51, v53, vcc
	v_cndmask_b32_e32 v45, v45, v52, vcc
	v_lshlrev_b32_e32 v42, 24, v42
	v_bfrev_b32_e32 v51, 60
	v_lshlrev_b32_e32 v45, 20, v45
	v_and_b32_e32 v42, 0x80000000, v42
	v_lshl_add_u32 v30, v30, 23, v51
	v_or3_b32 v45, v42, v30, v45
.LBB575_33:
	s_or_b64 exec, exec, s[10:11]
.LBB575_34:
	s_or_b64 exec, exec, s[8:9]
.LBB575_35:
	s_or_b64 exec, exec, s[2:3]
	v_mov_b32_e32 v42, 0
	v_cmp_ne_u16_sdwa s[8:9], v31, v42 src0_sel:BYTE_0 src1_sel:DWORD
	v_mov_b32_e32 v51, 0
	s_and_saveexec_b64 s[2:3], s[8:9]
	s_cbranch_execz .LBB575_41
; %bb.36:
	s_movk_i32 s8, 0x80
	v_cmp_ne_u16_sdwa s[10:11], v31, s8 src0_sel:BYTE_0 src1_sel:DWORD
	v_bfrev_b32_e32 v51, 1
	s_and_saveexec_b64 s[8:9], s[10:11]
	s_cbranch_execz .LBB575_40
; %bb.37:
	s_movk_i32 s10, 0x7f
	v_and_b32_e32 v30, 0x7f, v31
	v_cmp_ne_u32_e32 vcc, s10, v30
	v_mov_b32_e32 v51, 0x7f800001
	s_and_saveexec_b64 s[10:11], vcc
	s_cbranch_execz .LBB575_39
; %bb.38:
	v_and_b32_e32 v51, 7, v31
	v_ffbh_u32_e32 v53, v51
	v_min_u32_e32 v55, 32, v53
	v_mov_b32_e32 v52, v31
	v_subrev_u32_e32 v53, 28, v55
	v_lshlrev_b64 v[52:53], v53, v[52:53]
	v_lshrrev_b32_e32 v54, 3, v30
	v_sub_u32_e32 v53, 29, v55
	v_and_b32_e32 v52, 7, v52
	v_cmp_gt_u32_e32 vcc, 8, v30
	v_cndmask_b32_e32 v30, v54, v53, vcc
	v_cndmask_b32_e32 v51, v51, v52, vcc
	v_lshlrev_b32_e32 v52, 24, v31
	v_bfrev_b32_e32 v53, 60
	v_lshlrev_b32_e32 v51, 20, v51
	v_and_b32_e32 v52, 0x80000000, v52
	v_lshl_add_u32 v30, v30, 23, v53
	v_or3_b32 v51, v52, v30, v51
.LBB575_39:
	s_or_b64 exec, exec, s[10:11]
.LBB575_40:
	s_or_b64 exec, exec, s[8:9]
.LBB575_41:
	s_or_b64 exec, exec, s[2:3]
	v_lshrrev_b16_e32 v30, 8, v31
	v_cmp_ne_u16_e32 vcc, 0, v30
	s_and_saveexec_b64 s[2:3], vcc
	s_cbranch_execz .LBB575_47
; %bb.42:
	s_movk_i32 s8, 0x80
	v_cmp_ne_u16_e32 vcc, s8, v30
	v_bfrev_b32_e32 v42, 1
	s_and_saveexec_b64 s[8:9], vcc
	s_cbranch_execz .LBB575_46
; %bb.43:
	s_movk_i32 s10, 0x7f
	v_and_b32_e32 v52, 0x7f, v30
	v_cmp_ne_u32_e32 vcc, s10, v52
	v_mov_b32_e32 v42, 0x7f800001
	s_and_saveexec_b64 s[10:11], vcc
	s_cbranch_execz .LBB575_45
; %bb.44:
	v_and_b32_e32 v42, 7, v30
	v_ffbh_u32_e32 v54, v42
	v_min_u32_e32 v56, 32, v54
	v_subrev_u32_e32 v54, 28, v56
	v_lshlrev_b64 v[54:55], v54, v[30:31]
	v_lshrrev_b32_e32 v53, 3, v52
	v_sub_u32_e32 v30, 29, v56
	v_and_b32_e32 v54, 7, v54
	v_cmp_gt_u32_e32 vcc, 8, v52
	v_cndmask_b32_e32 v30, v53, v30, vcc
	v_cndmask_b32_e32 v42, v42, v54, vcc
	v_lshlrev_b32_e32 v52, 16, v31
	v_bfrev_b32_e32 v53, 60
	v_lshlrev_b32_e32 v42, 20, v42
	v_and_b32_e32 v52, 0x80000000, v52
	v_lshl_add_u32 v30, v30, 23, v53
	v_or3_b32 v42, v52, v30, v42
.LBB575_45:
	s_or_b64 exec, exec, s[10:11]
.LBB575_46:
	s_or_b64 exec, exec, s[8:9]
.LBB575_47:
	s_or_b64 exec, exec, s[2:3]
	s_movk_i32 s2, 0xff
	v_and_b32_sdwa v54, v31, s2 dst_sel:DWORD dst_unused:UNUSED_PAD src0_sel:WORD_1 src1_sel:DWORD
	v_lshrrev_b32_e32 v30, 16, v31
	v_cmp_ne_u16_e32 vcc, 0, v54
	v_mov_b32_e32 v52, 0
	v_mov_b32_e32 v53, 0
	s_and_saveexec_b64 s[2:3], vcc
	s_cbranch_execz .LBB575_53
; %bb.48:
	s_movk_i32 s8, 0x80
	v_cmp_ne_u16_e32 vcc, s8, v54
	v_bfrev_b32_e32 v53, 1
	s_and_saveexec_b64 s[8:9], vcc
	s_cbranch_execz .LBB575_52
; %bb.49:
	v_bfe_u32 v54, v31, 16, 7
	s_movk_i32 s10, 0x7f
	v_cmp_ne_u32_e32 vcc, s10, v54
	v_mov_b32_e32 v53, 0x7f800001
	s_and_saveexec_b64 s[10:11], vcc
	s_cbranch_execz .LBB575_51
; %bb.50:
	v_and_b32_e32 v53, 7, v30
	v_ffbh_u32_e32 v56, v53
	v_min_u32_e32 v58, 32, v56
	v_subrev_u32_e32 v56, 28, v58
	v_lshlrev_b64 v[56:57], v56, v[30:31]
	v_lshrrev_b32_e32 v55, 3, v54
	v_sub_u32_e32 v30, 29, v58
	v_and_b32_e32 v56, 7, v56
	v_cmp_gt_u32_e32 vcc, 8, v54
	v_mov_b32_e32 v54, 24
	v_cndmask_b32_e32 v30, v55, v30, vcc
	v_cndmask_b32_e32 v53, v53, v56, vcc
	v_lshlrev_b32_sdwa v54, v54, v31 dst_sel:DWORD dst_unused:UNUSED_PAD src0_sel:DWORD src1_sel:WORD_1
	v_bfrev_b32_e32 v55, 60
	v_lshlrev_b32_e32 v53, 20, v53
	v_and_b32_e32 v54, 0x80000000, v54
	v_lshl_add_u32 v30, v30, 23, v55
	v_or3_b32 v53, v54, v30, v53
.LBB575_51:
	s_or_b64 exec, exec, s[10:11]
.LBB575_52:
	s_or_b64 exec, exec, s[8:9]
.LBB575_53:
	s_or_b64 exec, exec, s[2:3]
	s_mov_b32 s2, 0xffffff
	v_cmp_lt_u32_e32 vcc, s2, v31
	s_and_saveexec_b64 s[2:3], vcc
	s_cbranch_execz .LBB575_59
; %bb.54:
	v_lshrrev_b32_e32 v30, 24, v31
	s_movk_i32 s8, 0x80
	v_cmp_ne_u32_e32 vcc, s8, v30
	v_bfrev_b32_e32 v52, 1
	s_and_saveexec_b64 s[8:9], vcc
	s_cbranch_execz .LBB575_58
; %bb.55:
	v_bfe_u32 v31, v31, 24, 7
	s_movk_i32 s10, 0x7f
	v_cmp_ne_u32_e32 vcc, s10, v31
	v_mov_b32_e32 v52, 0x7f800001
	s_and_saveexec_b64 s[10:11], vcc
	s_cbranch_execz .LBB575_57
; %bb.56:
	v_and_b32_e32 v52, 7, v30
	v_ffbh_u32_e32 v54, v52
	v_min_u32_e32 v57, 32, v54
	v_subrev_u32_e32 v54, 28, v57
	v_lshlrev_b64 v[54:55], v54, v[30:31]
	v_lshrrev_b32_e32 v56, 3, v31
	v_sub_u32_e32 v55, 29, v57
	v_and_b32_e32 v54, 7, v54
	v_cmp_gt_u32_e32 vcc, 8, v31
	v_cndmask_b32_e32 v31, v56, v55, vcc
	v_cndmask_b32_e32 v52, v52, v54, vcc
	v_lshlrev_b32_e32 v30, 24, v30
	v_bfrev_b32_e32 v54, 60
	v_lshlrev_b32_e32 v52, 20, v52
	v_and_b32_e32 v30, 0x80000000, v30
	v_lshl_add_u32 v31, v31, 23, v54
	v_or3_b32 v52, v30, v31, v52
.LBB575_57:
	s_or_b64 exec, exec, s[10:11]
.LBB575_58:
	s_or_b64 exec, exec, s[8:9]
.LBB575_59:
	s_or_b64 exec, exec, s[2:3]
	v_cvt_pkrtz_f16_f32 v30, v44, v43
	v_cvt_pkrtz_f16_f32 v31, v50, v45
	;; [unrolled: 1-line block ×4, first 2 shown]
	v_mov_b32_e32 v51, 0
	s_waitcnt lgkmcnt(0)
	v_mfma_f32_16x16x16f16 v[54:57], v[30:31], v[26:27], 0
	v_mov_b32_e32 v31, 0
	v_cmp_ne_u16_sdwa s[8:9], v32, v31 src0_sel:BYTE_0 src1_sel:DWORD
	v_mfma_f32_16x16x16f16 v[42:45], v[42:43], v[28:29], v[54:57]
	s_and_saveexec_b64 s[2:3], s[8:9]
	s_cbranch_execz .LBB575_65
; %bb.60:
	s_movk_i32 s8, 0x80
	v_cmp_ne_u16_sdwa s[10:11], v32, s8 src0_sel:BYTE_0 src1_sel:DWORD
	v_bfrev_b32_e32 v51, 1
	s_and_saveexec_b64 s[8:9], s[10:11]
	s_cbranch_execz .LBB575_64
; %bb.61:
	s_movk_i32 s10, 0x7f
	v_and_b32_e32 v30, 0x7f, v32
	v_cmp_ne_u32_e32 vcc, s10, v30
	v_mov_b32_e32 v51, 0x7f800001
	s_and_saveexec_b64 s[10:11], vcc
	s_cbranch_execz .LBB575_63
; %bb.62:
	v_and_b32_e32 v52, 7, v32
	v_ffbh_u32_e32 v50, v52
	v_min_u32_e32 v54, 32, v50
	v_subrev_u32_e32 v50, 28, v54
	v_lshlrev_b64 v[50:51], v50, v[32:33]
	v_lshrrev_b32_e32 v53, 3, v30
	v_sub_u32_e32 v51, 29, v54
	v_and_b32_e32 v50, 7, v50
	v_cmp_gt_u32_e32 vcc, 8, v30
	v_cndmask_b32_e32 v30, v53, v51, vcc
	v_cndmask_b32_e32 v50, v52, v50, vcc
	v_lshlrev_b32_e32 v51, 24, v32
	v_bfrev_b32_e32 v52, 60
	v_lshlrev_b32_e32 v50, 20, v50
	v_and_b32_e32 v51, 0x80000000, v51
	v_lshl_add_u32 v30, v30, 23, v52
	v_or3_b32 v51, v51, v30, v50
.LBB575_63:
	s_or_b64 exec, exec, s[10:11]
.LBB575_64:
	s_or_b64 exec, exec, s[8:9]
.LBB575_65:
	s_or_b64 exec, exec, s[2:3]
	v_lshrrev_b16_e32 v30, 8, v32
	v_cmp_ne_u16_e32 vcc, 0, v30
	v_mov_b32_e32 v52, 0
	s_and_saveexec_b64 s[2:3], vcc
	s_cbranch_execz .LBB575_71
; %bb.66:
	s_movk_i32 s8, 0x80
	v_cmp_ne_u16_e32 vcc, s8, v30
	v_bfrev_b32_e32 v52, 1
	s_and_saveexec_b64 s[8:9], vcc
	s_cbranch_execz .LBB575_70
; %bb.67:
	s_movk_i32 s10, 0x7f
	v_and_b32_e32 v50, 0x7f, v30
	v_cmp_ne_u32_e32 vcc, s10, v50
	v_mov_b32_e32 v52, 0x7f800001
	s_and_saveexec_b64 s[10:11], vcc
	s_cbranch_execz .LBB575_69
; %bb.68:
	v_and_b32_e32 v54, 7, v30
	v_ffbh_u32_e32 v52, v54
	v_min_u32_e32 v56, 32, v52
	v_subrev_u32_e32 v52, 28, v56
	v_lshlrev_b64 v[52:53], v52, v[30:31]
	v_lshrrev_b32_e32 v55, 3, v50
	v_sub_u32_e32 v30, 29, v56
	v_and_b32_e32 v52, 7, v52
	v_cmp_gt_u32_e32 vcc, 8, v50
	v_cndmask_b32_e32 v30, v55, v30, vcc
	v_cndmask_b32_e32 v50, v54, v52, vcc
	v_lshlrev_b32_e32 v52, 16, v32
	v_bfrev_b32_e32 v53, 60
	v_lshlrev_b32_e32 v50, 20, v50
	v_and_b32_e32 v52, 0x80000000, v52
	v_lshl_add_u32 v30, v30, 23, v53
	v_or3_b32 v52, v52, v30, v50
.LBB575_69:
	s_or_b64 exec, exec, s[10:11]
.LBB575_70:
	s_or_b64 exec, exec, s[8:9]
.LBB575_71:
	s_or_b64 exec, exec, s[2:3]
	s_movk_i32 s2, 0xff
	v_and_b32_sdwa v50, v32, s2 dst_sel:DWORD dst_unused:UNUSED_PAD src0_sel:WORD_1 src1_sel:DWORD
	v_lshrrev_b32_e32 v30, 16, v32
	v_cmp_ne_u16_e32 vcc, 0, v50
	s_and_saveexec_b64 s[2:3], vcc
	s_cbranch_execz .LBB575_77
; %bb.72:
	s_movk_i32 s8, 0x80
	v_cmp_ne_u16_e32 vcc, s8, v50
	v_bfrev_b32_e32 v31, 1
	s_and_saveexec_b64 s[8:9], vcc
	s_cbranch_execz .LBB575_76
; %bb.73:
	v_bfe_u32 v50, v32, 16, 7
	s_movk_i32 s10, 0x7f
	v_cmp_ne_u32_e32 vcc, s10, v50
	v_mov_b32_e32 v31, 0x7f800001
	s_and_saveexec_b64 s[10:11], vcc
	s_cbranch_execz .LBB575_75
; %bb.74:
	v_and_b32_e32 v53, 7, v30
	v_ffbh_u32_e32 v31, v53
	v_min_u32_e32 v55, 32, v31
	v_subrev_u32_e32 v31, 28, v55
	v_lshlrev_b64 v[30:31], v31, v[30:31]
	v_lshrrev_b32_e32 v54, 3, v50
	v_sub_u32_e32 v31, 29, v55
	v_and_b32_e32 v30, 7, v30
	v_cmp_gt_u32_e32 vcc, 8, v50
	v_mov_b32_e32 v50, 24
	v_cndmask_b32_e32 v31, v54, v31, vcc
	v_cndmask_b32_e32 v30, v53, v30, vcc
	v_lshlrev_b32_sdwa v50, v50, v32 dst_sel:DWORD dst_unused:UNUSED_PAD src0_sel:DWORD src1_sel:WORD_1
	v_bfrev_b32_e32 v53, 60
	v_lshlrev_b32_e32 v30, 20, v30
	v_and_b32_e32 v50, 0x80000000, v50
	v_lshl_add_u32 v31, v31, 23, v53
	v_or3_b32 v31, v50, v31, v30
.LBB575_75:
	s_or_b64 exec, exec, s[10:11]
.LBB575_76:
	s_or_b64 exec, exec, s[8:9]
.LBB575_77:
	s_or_b64 exec, exec, s[2:3]
	s_mov_b32 s2, 0xffffff
	v_cmp_lt_u32_e32 vcc, s2, v32
	v_mov_b32_e32 v53, 0
	v_mov_b32_e32 v54, 0
	s_and_saveexec_b64 s[2:3], vcc
	s_cbranch_execz .LBB575_83
; %bb.78:
	v_lshrrev_b32_e32 v30, 24, v32
	s_movk_i32 s8, 0x80
	v_cmp_ne_u32_e32 vcc, s8, v30
	v_bfrev_b32_e32 v54, 1
	s_and_saveexec_b64 s[8:9], vcc
	s_cbranch_execz .LBB575_82
; %bb.79:
	v_bfe_u32 v32, v32, 24, 7
	s_movk_i32 s10, 0x7f
	v_cmp_ne_u32_e32 vcc, s10, v32
	v_mov_b32_e32 v54, 0x7f800001
	s_and_saveexec_b64 s[10:11], vcc
	s_cbranch_execz .LBB575_81
; %bb.80:
	v_and_b32_e32 v50, 7, v30
	v_ffbh_u32_e32 v54, v50
	v_min_u32_e32 v57, 32, v54
	v_subrev_u32_e32 v54, 28, v57
	v_lshlrev_b64 v[54:55], v54, v[30:31]
	v_lshrrev_b32_e32 v56, 3, v32
	v_sub_u32_e32 v55, 29, v57
	v_and_b32_e32 v54, 7, v54
	v_cmp_gt_u32_e32 vcc, 8, v32
	v_cndmask_b32_e32 v32, v56, v55, vcc
	v_cndmask_b32_e32 v50, v50, v54, vcc
	v_lshlrev_b32_e32 v30, 24, v30
	v_bfrev_b32_e32 v54, 60
	v_lshlrev_b32_e32 v50, 20, v50
	v_and_b32_e32 v30, 0x80000000, v30
	v_lshl_add_u32 v32, v32, 23, v54
	v_or3_b32 v54, v30, v32, v50
.LBB575_81:
	s_or_b64 exec, exec, s[10:11]
.LBB575_82:
	s_or_b64 exec, exec, s[8:9]
.LBB575_83:
	s_or_b64 exec, exec, s[2:3]
	v_cmp_ne_u16_sdwa s[8:9], v33, v53 src0_sel:BYTE_0 src1_sel:DWORD
	s_and_saveexec_b64 s[2:3], s[8:9]
	s_cbranch_execz .LBB575_89
; %bb.84:
	s_movk_i32 s8, 0x80
	v_cmp_ne_u16_sdwa s[10:11], v33, s8 src0_sel:BYTE_0 src1_sel:DWORD
	v_bfrev_b32_e32 v53, 1
	s_and_saveexec_b64 s[8:9], s[10:11]
	s_cbranch_execz .LBB575_88
; %bb.85:
	s_movk_i32 s10, 0x7f
	v_and_b32_e32 v30, 0x7f, v33
	v_cmp_ne_u32_e32 vcc, s10, v30
	v_mov_b32_e32 v53, 0x7f800001
	s_and_saveexec_b64 s[10:11], vcc
	s_cbranch_execz .LBB575_87
; %bb.86:
	v_and_b32_e32 v50, 7, v33
	v_ffbh_u32_e32 v55, v50
	v_min_u32_e32 v55, 32, v55
	v_mov_b32_e32 v32, v33
	v_subrev_u32_e32 v56, 28, v55
	v_lshlrev_b64 v[56:57], v56, v[32:33]
	v_lshrrev_b32_e32 v53, 3, v30
	v_sub_u32_e32 v32, 29, v55
	v_and_b32_e32 v55, 7, v56
	v_cmp_gt_u32_e32 vcc, 8, v30
	v_cndmask_b32_e32 v30, v53, v32, vcc
	v_cndmask_b32_e32 v32, v50, v55, vcc
	v_lshlrev_b32_e32 v50, 24, v33
	v_bfrev_b32_e32 v53, 60
	v_lshlrev_b32_e32 v32, 20, v32
	v_and_b32_e32 v50, 0x80000000, v50
	v_lshl_add_u32 v30, v30, 23, v53
	v_or3_b32 v53, v50, v30, v32
.LBB575_87:
	s_or_b64 exec, exec, s[10:11]
.LBB575_88:
	s_or_b64 exec, exec, s[8:9]
.LBB575_89:
	s_or_b64 exec, exec, s[2:3]
	v_lshrrev_b16_e32 v30, 8, v33
	v_cmp_ne_u16_e32 vcc, 0, v30
	v_mov_b32_e32 v32, 0
	v_mov_b32_e32 v55, 0
	s_and_saveexec_b64 s[2:3], vcc
	s_cbranch_execz .LBB575_95
; %bb.90:
	s_movk_i32 s8, 0x80
	v_cmp_ne_u16_e32 vcc, s8, v30
	v_bfrev_b32_e32 v55, 1
	s_and_saveexec_b64 s[8:9], vcc
	s_cbranch_execz .LBB575_94
; %bb.91:
	s_movk_i32 s10, 0x7f
	v_and_b32_e32 v50, 0x7f, v30
	v_cmp_ne_u32_e32 vcc, s10, v50
	v_mov_b32_e32 v55, 0x7f800001
	s_and_saveexec_b64 s[10:11], vcc
	s_cbranch_execz .LBB575_93
; %bb.92:
	v_and_b32_e32 v55, 7, v30
	v_ffbh_u32_e32 v56, v55
	v_min_u32_e32 v59, 32, v56
	v_subrev_u32_e32 v56, 28, v59
	v_lshlrev_b64 v[56:57], v56, v[30:31]
	v_lshrrev_b32_e32 v58, 3, v50
	v_sub_u32_e32 v30, 29, v59
	v_and_b32_e32 v56, 7, v56
	v_cmp_gt_u32_e32 vcc, 8, v50
	v_cndmask_b32_e32 v30, v58, v30, vcc
	v_cndmask_b32_e32 v50, v55, v56, vcc
	v_lshlrev_b32_e32 v55, 16, v33
	v_bfrev_b32_e32 v56, 60
	v_lshlrev_b32_e32 v50, 20, v50
	v_and_b32_e32 v55, 0x80000000, v55
	v_lshl_add_u32 v30, v30, 23, v56
	v_or3_b32 v55, v55, v30, v50
.LBB575_93:
	s_or_b64 exec, exec, s[10:11]
.LBB575_94:
	s_or_b64 exec, exec, s[8:9]
.LBB575_95:
	s_or_b64 exec, exec, s[2:3]
	s_movk_i32 s2, 0xff
	v_and_b32_sdwa v50, v33, s2 dst_sel:DWORD dst_unused:UNUSED_PAD src0_sel:WORD_1 src1_sel:DWORD
	v_lshrrev_b32_e32 v30, 16, v33
	v_cmp_ne_u16_e32 vcc, 0, v50
	s_and_saveexec_b64 s[2:3], vcc
	s_cbranch_execz .LBB575_101
; %bb.96:
	s_movk_i32 s8, 0x80
	v_cmp_ne_u16_e32 vcc, s8, v50
	v_bfrev_b32_e32 v32, 1
	s_and_saveexec_b64 s[8:9], vcc
	s_cbranch_execz .LBB575_100
; %bb.97:
	v_bfe_u32 v50, v33, 16, 7
	s_movk_i32 s10, 0x7f
	v_cmp_ne_u32_e32 vcc, s10, v50
	v_mov_b32_e32 v32, 0x7f800001
	s_and_saveexec_b64 s[10:11], vcc
	s_cbranch_execz .LBB575_99
; %bb.98:
	v_and_b32_e32 v32, 7, v30
	v_ffbh_u32_e32 v56, v32
	v_min_u32_e32 v59, 32, v56
	v_subrev_u32_e32 v56, 28, v59
	v_lshlrev_b64 v[56:57], v56, v[30:31]
	v_lshrrev_b32_e32 v58, 3, v50
	v_sub_u32_e32 v30, 29, v59
	v_and_b32_e32 v56, 7, v56
	v_cmp_gt_u32_e32 vcc, 8, v50
	v_mov_b32_e32 v50, 24
	v_cndmask_b32_e32 v30, v58, v30, vcc
	v_cndmask_b32_e32 v32, v32, v56, vcc
	v_lshlrev_b32_sdwa v50, v50, v33 dst_sel:DWORD dst_unused:UNUSED_PAD src0_sel:DWORD src1_sel:WORD_1
	v_bfrev_b32_e32 v56, 60
	v_lshlrev_b32_e32 v32, 20, v32
	v_and_b32_e32 v50, 0x80000000, v50
	v_lshl_add_u32 v30, v30, 23, v56
	v_or3_b32 v32, v50, v30, v32
.LBB575_99:
	s_or_b64 exec, exec, s[10:11]
.LBB575_100:
	s_or_b64 exec, exec, s[8:9]
.LBB575_101:
	s_or_b64 exec, exec, s[2:3]
	s_mov_b32 s2, 0xffffff
	v_cmp_lt_u32_e32 vcc, s2, v33
	v_mov_b32_e32 v50, 0
	v_mov_b32_e32 v56, 0
	s_and_saveexec_b64 s[2:3], vcc
	s_cbranch_execz .LBB575_107
; %bb.102:
	v_lshrrev_b32_e32 v30, 24, v33
	s_movk_i32 s8, 0x80
	v_cmp_ne_u32_e32 vcc, s8, v30
	v_bfrev_b32_e32 v56, 1
	s_and_saveexec_b64 s[8:9], vcc
	s_cbranch_execz .LBB575_106
; %bb.103:
	v_bfe_u32 v33, v33, 24, 7
	s_movk_i32 s10, 0x7f
	v_cmp_ne_u32_e32 vcc, s10, v33
	v_mov_b32_e32 v56, 0x7f800001
	s_and_saveexec_b64 s[10:11], vcc
	s_cbranch_execz .LBB575_105
; %bb.104:
	v_and_b32_e32 v58, 7, v30
	v_ffbh_u32_e32 v56, v58
	v_min_u32_e32 v60, 32, v56
	v_subrev_u32_e32 v56, 28, v60
	v_lshlrev_b64 v[56:57], v56, v[30:31]
	v_lshrrev_b32_e32 v59, 3, v33
	v_sub_u32_e32 v57, 29, v60
	v_and_b32_e32 v56, 7, v56
	v_cmp_gt_u32_e32 vcc, 8, v33
	v_cndmask_b32_e32 v33, v59, v57, vcc
	v_cndmask_b32_e32 v56, v58, v56, vcc
	v_lshlrev_b32_e32 v30, 24, v30
	v_bfrev_b32_e32 v57, 60
	v_lshlrev_b32_e32 v56, 20, v56
	v_and_b32_e32 v30, 0x80000000, v30
	v_lshl_add_u32 v33, v33, 23, v57
	v_or3_b32 v56, v30, v33, v56
.LBB575_105:
	s_or_b64 exec, exec, s[10:11]
.LBB575_106:
	s_or_b64 exec, exec, s[8:9]
.LBB575_107:
	s_or_b64 exec, exec, s[2:3]
	v_cvt_pkrtz_f16_f32 v30, v51, v52
	v_cvt_pkrtz_f16_f32 v31, v31, v54
	s_waitcnt vmcnt(6)
	v_cmp_ne_u16_sdwa s[8:9], v38, v50 src0_sel:BYTE_0 src1_sel:DWORD
	v_mfma_f32_16x16x16f16 v[42:45], v[30:31], v[18:19], v[42:45]
	v_cvt_pkrtz_f16_f32 v30, v53, v55
	v_cvt_pkrtz_f16_f32 v31, v32, v56
	s_nop 1
	v_mfma_f32_16x16x16f16 v[30:33], v[30:31], v[20:21], v[42:45]
	s_and_saveexec_b64 s[2:3], s[8:9]
	s_cbranch_execz .LBB575_113
; %bb.108:
	s_movk_i32 s8, 0x80
	v_cmp_ne_u16_sdwa s[10:11], v38, s8 src0_sel:BYTE_0 src1_sel:DWORD
	v_bfrev_b32_e32 v50, 1
	s_and_saveexec_b64 s[8:9], s[10:11]
	s_cbranch_execz .LBB575_112
; %bb.109:
	s_movk_i32 s10, 0x7f
	v_and_b32_e32 v42, 0x7f, v38
	v_cmp_ne_u32_e32 vcc, s10, v42
	v_mov_b32_e32 v50, 0x7f800001
	s_and_saveexec_b64 s[10:11], vcc
	s_cbranch_execz .LBB575_111
; %bb.110:
	v_and_b32_e32 v43, 7, v38
	v_ffbh_u32_e32 v44, v43
	v_min_u32_e32 v51, 32, v44
	v_subrev_u32_e32 v44, 28, v51
	v_lshlrev_b64 v[44:45], v44, v[38:39]
	v_lshrrev_b32_e32 v50, 3, v42
	v_sub_u32_e32 v45, 29, v51
	v_and_b32_e32 v44, 7, v44
	v_cmp_gt_u32_e32 vcc, 8, v42
	v_cndmask_b32_e32 v42, v50, v45, vcc
	v_cndmask_b32_e32 v43, v43, v44, vcc
	v_lshlrev_b32_e32 v44, 24, v38
	v_bfrev_b32_e32 v45, 60
	v_lshlrev_b32_e32 v43, 20, v43
	v_and_b32_e32 v44, 0x80000000, v44
	v_lshl_add_u32 v42, v42, 23, v45
	v_or3_b32 v50, v44, v42, v43
.LBB575_111:
	s_or_b64 exec, exec, s[10:11]
.LBB575_112:
	s_or_b64 exec, exec, s[8:9]
.LBB575_113:
	s_or_b64 exec, exec, s[2:3]
	s_nop 3
	v_lshrrev_b16_e32 v42, 8, v38
	v_cmp_ne_u16_e32 vcc, 0, v42
	v_mov_b32_e32 v43, 0
	v_mov_b32_e32 v44, 0
	s_and_saveexec_b64 s[2:3], vcc
	s_cbranch_execz .LBB575_119
; %bb.114:
	s_movk_i32 s8, 0x80
	v_cmp_ne_u16_e32 vcc, s8, v42
	v_bfrev_b32_e32 v44, 1
	s_and_saveexec_b64 s[8:9], vcc
	s_cbranch_execz .LBB575_118
; %bb.115:
	s_movk_i32 s10, 0x7f
	v_and_b32_e32 v45, 0x7f, v42
	v_cmp_ne_u32_e32 vcc, s10, v45
	v_mov_b32_e32 v44, 0x7f800001
	s_and_saveexec_b64 s[10:11], vcc
	s_cbranch_execz .LBB575_117
; %bb.116:
	v_and_b32_e32 v44, 7, v42
	v_ffbh_u32_e32 v52, v44
	v_min_u32_e32 v54, 32, v52
	v_subrev_u32_e32 v52, 28, v54
	v_lshlrev_b64 v[52:53], v52, v[42:43]
	v_lshrrev_b32_e32 v51, 3, v45
	v_sub_u32_e32 v42, 29, v54
	v_and_b32_e32 v52, 7, v52
	v_cmp_gt_u32_e32 vcc, 8, v45
	v_cndmask_b32_e32 v42, v51, v42, vcc
	v_cndmask_b32_e32 v44, v44, v52, vcc
	v_lshlrev_b32_e32 v45, 16, v38
	v_bfrev_b32_e32 v51, 60
	v_lshlrev_b32_e32 v44, 20, v44
	v_and_b32_e32 v45, 0x80000000, v45
	v_lshl_add_u32 v42, v42, 23, v51
	v_or3_b32 v44, v45, v42, v44
.LBB575_117:
	s_or_b64 exec, exec, s[10:11]
.LBB575_118:
	s_or_b64 exec, exec, s[8:9]
.LBB575_119:
	s_or_b64 exec, exec, s[2:3]
	s_movk_i32 s2, 0xff
	v_and_b32_sdwa v45, v38, s2 dst_sel:DWORD dst_unused:UNUSED_PAD src0_sel:WORD_1 src1_sel:DWORD
	v_lshrrev_b32_e32 v42, 16, v38
	v_cmp_ne_u16_e32 vcc, 0, v45
	s_and_saveexec_b64 s[2:3], vcc
	s_cbranch_execz .LBB575_125
; %bb.120:
	s_movk_i32 s8, 0x80
	v_cmp_ne_u16_e32 vcc, s8, v45
	v_bfrev_b32_e32 v43, 1
	s_and_saveexec_b64 s[8:9], vcc
	s_cbranch_execz .LBB575_124
; %bb.121:
	v_bfe_u32 v45, v38, 16, 7
	s_movk_i32 s10, 0x7f
	v_cmp_ne_u32_e32 vcc, s10, v45
	v_mov_b32_e32 v43, 0x7f800001
	s_and_saveexec_b64 s[10:11], vcc
	s_cbranch_execz .LBB575_123
; %bb.122:
	v_and_b32_e32 v51, 7, v42
	v_ffbh_u32_e32 v43, v51
	v_min_u32_e32 v53, 32, v43
	v_subrev_u32_e32 v43, 28, v53
	v_lshlrev_b64 v[42:43], v43, v[42:43]
	v_lshrrev_b32_e32 v52, 3, v45
	v_sub_u32_e32 v43, 29, v53
	v_and_b32_e32 v42, 7, v42
	v_cmp_gt_u32_e32 vcc, 8, v45
	v_mov_b32_e32 v45, 24
	v_cndmask_b32_e32 v43, v52, v43, vcc
	v_cndmask_b32_e32 v42, v51, v42, vcc
	v_lshlrev_b32_sdwa v45, v45, v38 dst_sel:DWORD dst_unused:UNUSED_PAD src0_sel:DWORD src1_sel:WORD_1
	v_bfrev_b32_e32 v51, 60
	v_lshlrev_b32_e32 v42, 20, v42
	v_and_b32_e32 v45, 0x80000000, v45
	v_lshl_add_u32 v43, v43, 23, v51
	v_or3_b32 v43, v45, v43, v42
.LBB575_123:
	s_or_b64 exec, exec, s[10:11]
.LBB575_124:
	s_or_b64 exec, exec, s[8:9]
.LBB575_125:
	s_or_b64 exec, exec, s[2:3]
	s_mov_b32 s2, 0xffffff
	v_cmp_lt_u32_e32 vcc, s2, v38
	v_mov_b32_e32 v45, 0
	v_mov_b32_e32 v52, 0
	s_and_saveexec_b64 s[2:3], vcc
	s_cbranch_execz .LBB575_131
; %bb.126:
	v_lshrrev_b32_e32 v42, 24, v38
	s_movk_i32 s8, 0x80
	v_cmp_ne_u32_e32 vcc, s8, v42
	v_bfrev_b32_e32 v52, 1
	s_and_saveexec_b64 s[8:9], vcc
	s_cbranch_execz .LBB575_130
; %bb.127:
	v_bfe_u32 v38, v38, 24, 7
	s_movk_i32 s10, 0x7f
	v_cmp_ne_u32_e32 vcc, s10, v38
	v_mov_b32_e32 v52, 0x7f800001
	s_and_saveexec_b64 s[10:11], vcc
	s_cbranch_execz .LBB575_129
; %bb.128:
	v_and_b32_e32 v51, 7, v42
	v_ffbh_u32_e32 v52, v51
	v_min_u32_e32 v55, 32, v52
	v_subrev_u32_e32 v52, 28, v55
	v_lshlrev_b64 v[52:53], v52, v[42:43]
	v_lshrrev_b32_e32 v54, 3, v38
	v_sub_u32_e32 v53, 29, v55
	v_and_b32_e32 v52, 7, v52
	v_cmp_gt_u32_e32 vcc, 8, v38
	v_cndmask_b32_e32 v38, v54, v53, vcc
	v_cndmask_b32_e32 v51, v51, v52, vcc
	v_lshlrev_b32_e32 v42, 24, v42
	v_bfrev_b32_e32 v52, 60
	v_lshlrev_b32_e32 v51, 20, v51
	v_and_b32_e32 v42, 0x80000000, v42
	v_lshl_add_u32 v38, v38, 23, v52
	v_or3_b32 v52, v42, v38, v51
.LBB575_129:
	s_or_b64 exec, exec, s[10:11]
.LBB575_130:
	s_or_b64 exec, exec, s[8:9]
.LBB575_131:
	s_or_b64 exec, exec, s[2:3]
	v_cmp_ne_u16_sdwa s[8:9], v39, v45 src0_sel:BYTE_0 src1_sel:DWORD
	s_and_saveexec_b64 s[2:3], s[8:9]
	s_cbranch_execz .LBB575_137
; %bb.132:
	s_movk_i32 s8, 0x80
	v_cmp_ne_u16_sdwa s[10:11], v39, s8 src0_sel:BYTE_0 src1_sel:DWORD
	v_bfrev_b32_e32 v45, 1
	s_and_saveexec_b64 s[8:9], s[10:11]
	s_cbranch_execz .LBB575_136
; %bb.133:
	s_movk_i32 s10, 0x7f
	v_and_b32_e32 v38, 0x7f, v39
	v_cmp_ne_u32_e32 vcc, s10, v38
	v_mov_b32_e32 v45, 0x7f800001
	s_and_saveexec_b64 s[10:11], vcc
	s_cbranch_execz .LBB575_135
; %bb.134:
	v_and_b32_e32 v45, 7, v39
	v_ffbh_u32_e32 v53, v45
	v_min_u32_e32 v53, 32, v53
	v_mov_b32_e32 v42, v39
	v_subrev_u32_e32 v54, 28, v53
	v_lshlrev_b64 v[54:55], v54, v[42:43]
	v_lshrrev_b32_e32 v51, 3, v38
	v_sub_u32_e32 v42, 29, v53
	v_and_b32_e32 v53, 7, v54
	v_cmp_gt_u32_e32 vcc, 8, v38
	v_cndmask_b32_e32 v38, v51, v42, vcc
	v_cndmask_b32_e32 v42, v45, v53, vcc
	v_lshlrev_b32_e32 v45, 24, v39
	v_bfrev_b32_e32 v51, 60
	v_lshlrev_b32_e32 v42, 20, v42
	v_and_b32_e32 v45, 0x80000000, v45
	v_lshl_add_u32 v38, v38, 23, v51
	v_or3_b32 v45, v45, v38, v42
.LBB575_135:
	s_or_b64 exec, exec, s[10:11]
.LBB575_136:
	s_or_b64 exec, exec, s[8:9]
.LBB575_137:
	s_or_b64 exec, exec, s[2:3]
	v_lshrrev_b16_e32 v38, 8, v39
	v_cmp_ne_u16_e32 vcc, 0, v38
	v_mov_b32_e32 v42, 0
	v_mov_b32_e32 v53, 0
	s_and_saveexec_b64 s[2:3], vcc
	s_cbranch_execz .LBB575_143
; %bb.138:
	s_movk_i32 s8, 0x80
	v_cmp_ne_u16_e32 vcc, s8, v38
	v_bfrev_b32_e32 v53, 1
	s_and_saveexec_b64 s[8:9], vcc
	s_cbranch_execz .LBB575_142
; %bb.139:
	s_movk_i32 s10, 0x7f
	v_and_b32_e32 v51, 0x7f, v38
	v_cmp_ne_u32_e32 vcc, s10, v51
	v_mov_b32_e32 v53, 0x7f800001
	s_and_saveexec_b64 s[10:11], vcc
	s_cbranch_execz .LBB575_141
; %bb.140:
	v_and_b32_e32 v53, 7, v38
	v_ffbh_u32_e32 v54, v53
	v_min_u32_e32 v57, 32, v54
	v_subrev_u32_e32 v54, 28, v57
	v_lshlrev_b64 v[54:55], v54, v[38:39]
	v_lshrrev_b32_e32 v56, 3, v51
	v_sub_u32_e32 v38, 29, v57
	v_and_b32_e32 v54, 7, v54
	v_cmp_gt_u32_e32 vcc, 8, v51
	v_cndmask_b32_e32 v38, v56, v38, vcc
	v_cndmask_b32_e32 v51, v53, v54, vcc
	v_lshlrev_b32_e32 v53, 16, v39
	v_bfrev_b32_e32 v54, 60
	v_lshlrev_b32_e32 v51, 20, v51
	v_and_b32_e32 v53, 0x80000000, v53
	v_lshl_add_u32 v38, v38, 23, v54
	v_or3_b32 v53, v53, v38, v51
.LBB575_141:
	s_or_b64 exec, exec, s[10:11]
.LBB575_142:
	s_or_b64 exec, exec, s[8:9]
.LBB575_143:
	s_or_b64 exec, exec, s[2:3]
	s_movk_i32 s2, 0xff
	v_and_b32_sdwa v51, v39, s2 dst_sel:DWORD dst_unused:UNUSED_PAD src0_sel:WORD_1 src1_sel:DWORD
	v_lshrrev_b32_e32 v38, 16, v39
	v_cmp_ne_u16_e32 vcc, 0, v51
	s_and_saveexec_b64 s[2:3], vcc
	s_cbranch_execz .LBB575_149
; %bb.144:
	s_movk_i32 s8, 0x80
	v_cmp_ne_u16_e32 vcc, s8, v51
	v_bfrev_b32_e32 v42, 1
	s_and_saveexec_b64 s[8:9], vcc
	s_cbranch_execz .LBB575_148
; %bb.145:
	v_bfe_u32 v51, v39, 16, 7
	s_movk_i32 s10, 0x7f
	v_cmp_ne_u32_e32 vcc, s10, v51
	v_mov_b32_e32 v42, 0x7f800001
	s_and_saveexec_b64 s[10:11], vcc
	s_cbranch_execz .LBB575_147
; %bb.146:
	v_and_b32_e32 v42, 7, v38
	v_ffbh_u32_e32 v54, v42
	v_min_u32_e32 v57, 32, v54
	v_subrev_u32_e32 v54, 28, v57
	v_lshlrev_b64 v[54:55], v54, v[38:39]
	v_lshrrev_b32_e32 v56, 3, v51
	v_sub_u32_e32 v38, 29, v57
	v_and_b32_e32 v54, 7, v54
	v_cmp_gt_u32_e32 vcc, 8, v51
	v_mov_b32_e32 v51, 24
	v_cndmask_b32_e32 v38, v56, v38, vcc
	v_cndmask_b32_e32 v42, v42, v54, vcc
	v_lshlrev_b32_sdwa v51, v51, v39 dst_sel:DWORD dst_unused:UNUSED_PAD src0_sel:DWORD src1_sel:WORD_1
	v_bfrev_b32_e32 v54, 60
	v_lshlrev_b32_e32 v42, 20, v42
	v_and_b32_e32 v51, 0x80000000, v51
	v_lshl_add_u32 v38, v38, 23, v54
	v_or3_b32 v42, v51, v38, v42
.LBB575_147:
	s_or_b64 exec, exec, s[10:11]
.LBB575_148:
	s_or_b64 exec, exec, s[8:9]
.LBB575_149:
	s_or_b64 exec, exec, s[2:3]
	s_mov_b32 s2, 0xffffff
	v_cmp_lt_u32_e32 vcc, s2, v39
	v_mov_b32_e32 v51, 0
	v_mov_b32_e32 v54, 0
	s_and_saveexec_b64 s[2:3], vcc
	s_cbranch_execz .LBB575_155
; %bb.150:
	v_lshrrev_b32_e32 v38, 24, v39
	s_movk_i32 s8, 0x80
	v_cmp_ne_u32_e32 vcc, s8, v38
	v_bfrev_b32_e32 v54, 1
	s_and_saveexec_b64 s[8:9], vcc
	s_cbranch_execz .LBB575_154
; %bb.151:
	v_bfe_u32 v39, v39, 24, 7
	s_movk_i32 s10, 0x7f
	v_cmp_ne_u32_e32 vcc, s10, v39
	v_mov_b32_e32 v54, 0x7f800001
	s_and_saveexec_b64 s[10:11], vcc
	s_cbranch_execz .LBB575_153
; %bb.152:
	v_and_b32_e32 v56, 7, v38
	v_ffbh_u32_e32 v54, v56
	v_min_u32_e32 v58, 32, v54
	v_subrev_u32_e32 v54, 28, v58
	v_lshlrev_b64 v[54:55], v54, v[38:39]
	v_lshrrev_b32_e32 v57, 3, v39
	v_sub_u32_e32 v55, 29, v58
	v_and_b32_e32 v54, 7, v54
	v_cmp_gt_u32_e32 vcc, 8, v39
	v_cndmask_b32_e32 v39, v57, v55, vcc
	v_cndmask_b32_e32 v54, v56, v54, vcc
	v_lshlrev_b32_e32 v38, 24, v38
	v_bfrev_b32_e32 v55, 60
	v_lshlrev_b32_e32 v54, 20, v54
	v_and_b32_e32 v38, 0x80000000, v38
	v_lshl_add_u32 v39, v39, 23, v55
	v_or3_b32 v54, v38, v39, v54
.LBB575_153:
	s_or_b64 exec, exec, s[10:11]
.LBB575_154:
	s_or_b64 exec, exec, s[8:9]
.LBB575_155:
	s_or_b64 exec, exec, s[2:3]
	v_cvt_pkrtz_f16_f32 v38, v50, v44
	v_cvt_pkrtz_f16_f32 v39, v43, v52
	v_cmp_ne_u16_sdwa s[8:9], v40, v51 src0_sel:BYTE_0 src1_sel:DWORD
	s_nop 0
	v_mfma_f32_16x16x16f16 v[56:59], v[38:39], v[26:27], 0
	v_cvt_pkrtz_f16_f32 v38, v45, v53
	v_cvt_pkrtz_f16_f32 v39, v42, v54
	s_nop 1
	v_mfma_f32_16x16x16f16 v[42:45], v[38:39], v[28:29], v[56:59]
	s_and_saveexec_b64 s[2:3], s[8:9]
	s_cbranch_execz .LBB575_161
; %bb.156:
	s_movk_i32 s8, 0x80
	v_cmp_ne_u16_sdwa s[10:11], v40, s8 src0_sel:BYTE_0 src1_sel:DWORD
	v_bfrev_b32_e32 v51, 1
	s_and_saveexec_b64 s[8:9], s[10:11]
	s_cbranch_execz .LBB575_160
; %bb.157:
	s_movk_i32 s10, 0x7f
	v_and_b32_e32 v38, 0x7f, v40
	v_cmp_ne_u32_e32 vcc, s10, v38
	v_mov_b32_e32 v51, 0x7f800001
	s_and_saveexec_b64 s[10:11], vcc
	s_cbranch_execz .LBB575_159
; %bb.158:
	v_and_b32_e32 v39, 7, v40
	v_ffbh_u32_e32 v50, v39
	v_min_u32_e32 v53, 32, v50
	v_subrev_u32_e32 v50, 28, v53
	v_lshlrev_b64 v[50:51], v50, v[40:41]
	v_lshrrev_b32_e32 v52, 3, v38
	v_sub_u32_e32 v51, 29, v53
	v_and_b32_e32 v50, 7, v50
	v_cmp_gt_u32_e32 vcc, 8, v38
	v_cndmask_b32_e32 v38, v52, v51, vcc
	v_cndmask_b32_e32 v39, v39, v50, vcc
	v_lshlrev_b32_e32 v50, 24, v40
	v_bfrev_b32_e32 v51, 60
	v_lshlrev_b32_e32 v39, 20, v39
	v_and_b32_e32 v50, 0x80000000, v50
	v_lshl_add_u32 v38, v38, 23, v51
	v_or3_b32 v51, v50, v38, v39
.LBB575_159:
	s_or_b64 exec, exec, s[10:11]
.LBB575_160:
	s_or_b64 exec, exec, s[8:9]
.LBB575_161:
	s_or_b64 exec, exec, s[2:3]
	v_lshrrev_b16_e32 v38, 8, v40
	v_cmp_ne_u16_e32 vcc, 0, v38
	v_mov_b32_e32 v39, 0
	v_mov_b32_e32 v52, 0
	s_and_saveexec_b64 s[2:3], vcc
	s_cbranch_execz .LBB575_167
; %bb.162:
	s_movk_i32 s8, 0x80
	v_cmp_ne_u16_e32 vcc, s8, v38
	v_bfrev_b32_e32 v52, 1
	s_and_saveexec_b64 s[8:9], vcc
	s_cbranch_execz .LBB575_166
; %bb.163:
	s_movk_i32 s10, 0x7f
	v_and_b32_e32 v50, 0x7f, v38
	v_cmp_ne_u32_e32 vcc, s10, v50
	v_mov_b32_e32 v52, 0x7f800001
	s_and_saveexec_b64 s[10:11], vcc
	s_cbranch_execz .LBB575_165
; %bb.164:
	v_and_b32_e32 v54, 7, v38
	v_ffbh_u32_e32 v52, v54
	v_min_u32_e32 v56, 32, v52
	v_subrev_u32_e32 v52, 28, v56
	v_lshlrev_b64 v[52:53], v52, v[38:39]
	v_lshrrev_b32_e32 v55, 3, v50
	v_sub_u32_e32 v38, 29, v56
	v_and_b32_e32 v52, 7, v52
	v_cmp_gt_u32_e32 vcc, 8, v50
	v_cndmask_b32_e32 v38, v55, v38, vcc
	v_cndmask_b32_e32 v50, v54, v52, vcc
	v_lshlrev_b32_e32 v52, 16, v40
	v_bfrev_b32_e32 v53, 60
	v_lshlrev_b32_e32 v50, 20, v50
	v_and_b32_e32 v52, 0x80000000, v52
	v_lshl_add_u32 v38, v38, 23, v53
	v_or3_b32 v52, v52, v38, v50
.LBB575_165:
	s_or_b64 exec, exec, s[10:11]
.LBB575_166:
	s_or_b64 exec, exec, s[8:9]
.LBB575_167:
	s_or_b64 exec, exec, s[2:3]
	s_movk_i32 s2, 0xff
	v_and_b32_sdwa v50, v40, s2 dst_sel:DWORD dst_unused:UNUSED_PAD src0_sel:WORD_1 src1_sel:DWORD
	v_lshrrev_b32_e32 v38, 16, v40
	v_cmp_ne_u16_e32 vcc, 0, v50
	s_and_saveexec_b64 s[2:3], vcc
	s_cbranch_execz .LBB575_173
; %bb.168:
	s_movk_i32 s8, 0x80
	v_cmp_ne_u16_e32 vcc, s8, v50
	v_bfrev_b32_e32 v39, 1
	s_and_saveexec_b64 s[8:9], vcc
	s_cbranch_execz .LBB575_172
; %bb.169:
	v_bfe_u32 v50, v40, 16, 7
	s_movk_i32 s10, 0x7f
	v_cmp_ne_u32_e32 vcc, s10, v50
	v_mov_b32_e32 v39, 0x7f800001
	s_and_saveexec_b64 s[10:11], vcc
	s_cbranch_execz .LBB575_171
; %bb.170:
	v_and_b32_e32 v53, 7, v38
	v_ffbh_u32_e32 v39, v53
	v_min_u32_e32 v55, 32, v39
	v_subrev_u32_e32 v39, 28, v55
	v_lshlrev_b64 v[38:39], v39, v[38:39]
	v_lshrrev_b32_e32 v54, 3, v50
	v_sub_u32_e32 v39, 29, v55
	v_and_b32_e32 v38, 7, v38
	v_cmp_gt_u32_e32 vcc, 8, v50
	v_mov_b32_e32 v50, 24
	v_cndmask_b32_e32 v39, v54, v39, vcc
	v_cndmask_b32_e32 v38, v53, v38, vcc
	v_lshlrev_b32_sdwa v50, v50, v40 dst_sel:DWORD dst_unused:UNUSED_PAD src0_sel:DWORD src1_sel:WORD_1
	v_bfrev_b32_e32 v53, 60
	v_lshlrev_b32_e32 v38, 20, v38
	v_and_b32_e32 v50, 0x80000000, v50
	v_lshl_add_u32 v39, v39, 23, v53
	v_or3_b32 v39, v50, v39, v38
.LBB575_171:
	s_or_b64 exec, exec, s[10:11]
.LBB575_172:
	s_or_b64 exec, exec, s[8:9]
.LBB575_173:
	s_or_b64 exec, exec, s[2:3]
	s_mov_b32 s2, 0xffffff
	v_cmp_lt_u32_e32 vcc, s2, v40
	v_mov_b32_e32 v53, 0
	v_mov_b32_e32 v54, 0
	s_and_saveexec_b64 s[2:3], vcc
	s_cbranch_execz .LBB575_179
; %bb.174:
	v_lshrrev_b32_e32 v38, 24, v40
	s_movk_i32 s8, 0x80
	v_cmp_ne_u32_e32 vcc, s8, v38
	v_bfrev_b32_e32 v54, 1
	s_and_saveexec_b64 s[8:9], vcc
	s_cbranch_execz .LBB575_178
; %bb.175:
	v_bfe_u32 v40, v40, 24, 7
	s_movk_i32 s10, 0x7f
	v_cmp_ne_u32_e32 vcc, s10, v40
	v_mov_b32_e32 v54, 0x7f800001
	s_and_saveexec_b64 s[10:11], vcc
	s_cbranch_execz .LBB575_177
; %bb.176:
	v_and_b32_e32 v50, 7, v38
	v_ffbh_u32_e32 v54, v50
	v_min_u32_e32 v57, 32, v54
	v_subrev_u32_e32 v54, 28, v57
	v_lshlrev_b64 v[54:55], v54, v[38:39]
	v_lshrrev_b32_e32 v56, 3, v40
	v_sub_u32_e32 v55, 29, v57
	v_and_b32_e32 v54, 7, v54
	v_cmp_gt_u32_e32 vcc, 8, v40
	v_cndmask_b32_e32 v40, v56, v55, vcc
	v_cndmask_b32_e32 v50, v50, v54, vcc
	v_lshlrev_b32_e32 v38, 24, v38
	v_bfrev_b32_e32 v54, 60
	v_lshlrev_b32_e32 v50, 20, v50
	v_and_b32_e32 v38, 0x80000000, v38
	v_lshl_add_u32 v40, v40, 23, v54
	v_or3_b32 v54, v38, v40, v50
.LBB575_177:
	s_or_b64 exec, exec, s[10:11]
.LBB575_178:
	s_or_b64 exec, exec, s[8:9]
.LBB575_179:
	s_or_b64 exec, exec, s[2:3]
	v_cmp_ne_u16_sdwa s[8:9], v41, v53 src0_sel:BYTE_0 src1_sel:DWORD
	s_and_saveexec_b64 s[2:3], s[8:9]
	s_cbranch_execz .LBB575_185
; %bb.180:
	s_movk_i32 s8, 0x80
	v_cmp_ne_u16_sdwa s[10:11], v41, s8 src0_sel:BYTE_0 src1_sel:DWORD
	v_bfrev_b32_e32 v53, 1
	s_and_saveexec_b64 s[8:9], s[10:11]
	s_cbranch_execz .LBB575_184
; %bb.181:
	s_movk_i32 s10, 0x7f
	v_and_b32_e32 v38, 0x7f, v41
	v_cmp_ne_u32_e32 vcc, s10, v38
	v_mov_b32_e32 v53, 0x7f800001
	s_and_saveexec_b64 s[10:11], vcc
	s_cbranch_execz .LBB575_183
; %bb.182:
	v_and_b32_e32 v50, 7, v41
	v_ffbh_u32_e32 v55, v50
	v_min_u32_e32 v55, 32, v55
	v_mov_b32_e32 v40, v41
	v_subrev_u32_e32 v56, 28, v55
	v_lshlrev_b64 v[56:57], v56, v[40:41]
	v_lshrrev_b32_e32 v53, 3, v38
	v_sub_u32_e32 v40, 29, v55
	v_and_b32_e32 v55, 7, v56
	v_cmp_gt_u32_e32 vcc, 8, v38
	v_cndmask_b32_e32 v38, v53, v40, vcc
	v_cndmask_b32_e32 v40, v50, v55, vcc
	v_lshlrev_b32_e32 v50, 24, v41
	v_bfrev_b32_e32 v53, 60
	v_lshlrev_b32_e32 v40, 20, v40
	v_and_b32_e32 v50, 0x80000000, v50
	v_lshl_add_u32 v38, v38, 23, v53
	v_or3_b32 v53, v50, v38, v40
.LBB575_183:
	s_or_b64 exec, exec, s[10:11]
.LBB575_184:
	s_or_b64 exec, exec, s[8:9]
.LBB575_185:
	s_or_b64 exec, exec, s[2:3]
	v_lshrrev_b16_e32 v38, 8, v41
	v_cmp_ne_u16_e32 vcc, 0, v38
	v_mov_b32_e32 v40, 0
	v_mov_b32_e32 v55, 0
	s_and_saveexec_b64 s[2:3], vcc
	s_cbranch_execz .LBB575_191
; %bb.186:
	s_movk_i32 s8, 0x80
	v_cmp_ne_u16_e32 vcc, s8, v38
	v_bfrev_b32_e32 v55, 1
	s_and_saveexec_b64 s[8:9], vcc
	s_cbranch_execz .LBB575_190
; %bb.187:
	s_movk_i32 s10, 0x7f
	v_and_b32_e32 v50, 0x7f, v38
	v_cmp_ne_u32_e32 vcc, s10, v50
	v_mov_b32_e32 v55, 0x7f800001
	s_and_saveexec_b64 s[10:11], vcc
	s_cbranch_execz .LBB575_189
; %bb.188:
	v_and_b32_e32 v55, 7, v38
	v_ffbh_u32_e32 v56, v55
	v_min_u32_e32 v59, 32, v56
	v_subrev_u32_e32 v56, 28, v59
	v_lshlrev_b64 v[56:57], v56, v[38:39]
	v_lshrrev_b32_e32 v58, 3, v50
	v_sub_u32_e32 v38, 29, v59
	v_and_b32_e32 v56, 7, v56
	v_cmp_gt_u32_e32 vcc, 8, v50
	v_cndmask_b32_e32 v38, v58, v38, vcc
	v_cndmask_b32_e32 v50, v55, v56, vcc
	v_lshlrev_b32_e32 v55, 16, v41
	v_bfrev_b32_e32 v56, 60
	v_lshlrev_b32_e32 v50, 20, v50
	v_and_b32_e32 v55, 0x80000000, v55
	v_lshl_add_u32 v38, v38, 23, v56
	v_or3_b32 v55, v55, v38, v50
.LBB575_189:
	s_or_b64 exec, exec, s[10:11]
.LBB575_190:
	s_or_b64 exec, exec, s[8:9]
.LBB575_191:
	s_or_b64 exec, exec, s[2:3]
	s_movk_i32 s2, 0xff
	v_and_b32_sdwa v50, v41, s2 dst_sel:DWORD dst_unused:UNUSED_PAD src0_sel:WORD_1 src1_sel:DWORD
	v_lshrrev_b32_e32 v38, 16, v41
	v_cmp_ne_u16_e32 vcc, 0, v50
	s_and_saveexec_b64 s[2:3], vcc
	s_cbranch_execz .LBB575_197
; %bb.192:
	s_movk_i32 s8, 0x80
	v_cmp_ne_u16_e32 vcc, s8, v50
	v_bfrev_b32_e32 v40, 1
	s_and_saveexec_b64 s[8:9], vcc
	s_cbranch_execz .LBB575_196
; %bb.193:
	v_bfe_u32 v50, v41, 16, 7
	s_movk_i32 s10, 0x7f
	v_cmp_ne_u32_e32 vcc, s10, v50
	v_mov_b32_e32 v40, 0x7f800001
	s_and_saveexec_b64 s[10:11], vcc
	s_cbranch_execz .LBB575_195
; %bb.194:
	v_and_b32_e32 v40, 7, v38
	v_ffbh_u32_e32 v56, v40
	v_min_u32_e32 v59, 32, v56
	v_subrev_u32_e32 v56, 28, v59
	v_lshlrev_b64 v[56:57], v56, v[38:39]
	v_lshrrev_b32_e32 v58, 3, v50
	v_sub_u32_e32 v38, 29, v59
	v_and_b32_e32 v56, 7, v56
	v_cmp_gt_u32_e32 vcc, 8, v50
	v_mov_b32_e32 v50, 24
	v_cndmask_b32_e32 v38, v58, v38, vcc
	v_cndmask_b32_e32 v40, v40, v56, vcc
	v_lshlrev_b32_sdwa v50, v50, v41 dst_sel:DWORD dst_unused:UNUSED_PAD src0_sel:DWORD src1_sel:WORD_1
	v_bfrev_b32_e32 v56, 60
	v_lshlrev_b32_e32 v40, 20, v40
	v_and_b32_e32 v50, 0x80000000, v50
	v_lshl_add_u32 v38, v38, 23, v56
	v_or3_b32 v40, v50, v38, v40
.LBB575_195:
	s_or_b64 exec, exec, s[10:11]
.LBB575_196:
	s_or_b64 exec, exec, s[8:9]
.LBB575_197:
	s_or_b64 exec, exec, s[2:3]
	s_mov_b32 s2, 0xffffff
	v_cmp_lt_u32_e32 vcc, s2, v41
	v_mov_b32_e32 v50, 0
	v_mov_b32_e32 v56, 0
	s_and_saveexec_b64 s[2:3], vcc
	s_cbranch_execz .LBB575_203
; %bb.198:
	v_lshrrev_b32_e32 v38, 24, v41
	s_movk_i32 s8, 0x80
	v_cmp_ne_u32_e32 vcc, s8, v38
	v_bfrev_b32_e32 v56, 1
	s_and_saveexec_b64 s[8:9], vcc
	s_cbranch_execz .LBB575_202
; %bb.199:
	v_bfe_u32 v41, v41, 24, 7
	s_movk_i32 s10, 0x7f
	v_cmp_ne_u32_e32 vcc, s10, v41
	v_mov_b32_e32 v56, 0x7f800001
	s_and_saveexec_b64 s[10:11], vcc
	s_cbranch_execz .LBB575_201
; %bb.200:
	v_and_b32_e32 v58, 7, v38
	v_ffbh_u32_e32 v56, v58
	v_min_u32_e32 v60, 32, v56
	v_subrev_u32_e32 v56, 28, v60
	v_lshlrev_b64 v[56:57], v56, v[38:39]
	v_lshrrev_b32_e32 v59, 3, v41
	v_sub_u32_e32 v57, 29, v60
	v_and_b32_e32 v56, 7, v56
	v_cmp_gt_u32_e32 vcc, 8, v41
	v_cndmask_b32_e32 v41, v59, v57, vcc
	v_cndmask_b32_e32 v56, v58, v56, vcc
	v_lshlrev_b32_e32 v38, 24, v38
	v_bfrev_b32_e32 v57, 60
	v_lshlrev_b32_e32 v56, 20, v56
	v_and_b32_e32 v38, 0x80000000, v38
	v_lshl_add_u32 v41, v41, 23, v57
	v_or3_b32 v56, v38, v41, v56
.LBB575_201:
	s_or_b64 exec, exec, s[10:11]
.LBB575_202:
	s_or_b64 exec, exec, s[8:9]
.LBB575_203:
	s_or_b64 exec, exec, s[2:3]
	v_cvt_pkrtz_f16_f32 v38, v51, v52
	v_cvt_pkrtz_f16_f32 v39, v39, v54
	s_waitcnt vmcnt(5)
	v_cmp_ne_u16_sdwa s[8:9], v34, v50 src0_sel:BYTE_0 src1_sel:DWORD
	v_mfma_f32_16x16x16f16 v[42:45], v[38:39], v[18:19], v[42:45]
	v_cvt_pkrtz_f16_f32 v38, v53, v55
	v_cvt_pkrtz_f16_f32 v39, v40, v56
	s_nop 1
	v_mfma_f32_16x16x16f16 v[38:41], v[38:39], v[20:21], v[42:45]
	s_and_saveexec_b64 s[2:3], s[8:9]
	s_cbranch_execz .LBB575_209
; %bb.204:
	s_movk_i32 s8, 0x80
	v_cmp_ne_u16_sdwa s[10:11], v34, s8 src0_sel:BYTE_0 src1_sel:DWORD
	v_bfrev_b32_e32 v50, 1
	s_and_saveexec_b64 s[8:9], s[10:11]
	s_cbranch_execz .LBB575_208
; %bb.205:
	s_movk_i32 s10, 0x7f
	v_and_b32_e32 v42, 0x7f, v34
	v_cmp_ne_u32_e32 vcc, s10, v42
	v_mov_b32_e32 v50, 0x7f800001
	s_and_saveexec_b64 s[10:11], vcc
	s_cbranch_execz .LBB575_207
; %bb.206:
	v_and_b32_e32 v43, 7, v34
	v_ffbh_u32_e32 v44, v43
	v_min_u32_e32 v51, 32, v44
	v_subrev_u32_e32 v44, 28, v51
	v_lshlrev_b64 v[44:45], v44, v[34:35]
	v_lshrrev_b32_e32 v50, 3, v42
	v_sub_u32_e32 v45, 29, v51
	v_and_b32_e32 v44, 7, v44
	v_cmp_gt_u32_e32 vcc, 8, v42
	v_cndmask_b32_e32 v42, v50, v45, vcc
	v_cndmask_b32_e32 v43, v43, v44, vcc
	v_lshlrev_b32_e32 v44, 24, v34
	v_bfrev_b32_e32 v45, 60
	v_lshlrev_b32_e32 v43, 20, v43
	v_and_b32_e32 v44, 0x80000000, v44
	v_lshl_add_u32 v42, v42, 23, v45
	v_or3_b32 v50, v44, v42, v43
.LBB575_207:
	s_or_b64 exec, exec, s[10:11]
.LBB575_208:
	s_or_b64 exec, exec, s[8:9]
.LBB575_209:
	s_or_b64 exec, exec, s[2:3]
	s_nop 3
	v_lshrrev_b16_e32 v42, 8, v34
	v_cmp_ne_u16_e32 vcc, 0, v42
	v_mov_b32_e32 v43, 0
	v_mov_b32_e32 v44, 0
	s_and_saveexec_b64 s[2:3], vcc
	s_cbranch_execz .LBB575_215
; %bb.210:
	s_movk_i32 s8, 0x80
	v_cmp_ne_u16_e32 vcc, s8, v42
	v_bfrev_b32_e32 v44, 1
	s_and_saveexec_b64 s[8:9], vcc
	s_cbranch_execz .LBB575_214
; %bb.211:
	s_movk_i32 s10, 0x7f
	v_and_b32_e32 v45, 0x7f, v42
	v_cmp_ne_u32_e32 vcc, s10, v45
	v_mov_b32_e32 v44, 0x7f800001
	s_and_saveexec_b64 s[10:11], vcc
	s_cbranch_execz .LBB575_213
; %bb.212:
	v_and_b32_e32 v44, 7, v42
	v_ffbh_u32_e32 v52, v44
	v_min_u32_e32 v54, 32, v52
	v_subrev_u32_e32 v52, 28, v54
	v_lshlrev_b64 v[52:53], v52, v[42:43]
	v_lshrrev_b32_e32 v51, 3, v45
	v_sub_u32_e32 v42, 29, v54
	v_and_b32_e32 v52, 7, v52
	v_cmp_gt_u32_e32 vcc, 8, v45
	v_cndmask_b32_e32 v42, v51, v42, vcc
	v_cndmask_b32_e32 v44, v44, v52, vcc
	v_lshlrev_b32_e32 v45, 16, v34
	v_bfrev_b32_e32 v51, 60
	v_lshlrev_b32_e32 v44, 20, v44
	v_and_b32_e32 v45, 0x80000000, v45
	v_lshl_add_u32 v42, v42, 23, v51
	v_or3_b32 v44, v45, v42, v44
.LBB575_213:
	s_or_b64 exec, exec, s[10:11]
.LBB575_214:
	s_or_b64 exec, exec, s[8:9]
.LBB575_215:
	s_or_b64 exec, exec, s[2:3]
	s_movk_i32 s2, 0xff
	v_and_b32_sdwa v45, v34, s2 dst_sel:DWORD dst_unused:UNUSED_PAD src0_sel:WORD_1 src1_sel:DWORD
	v_lshrrev_b32_e32 v42, 16, v34
	v_cmp_ne_u16_e32 vcc, 0, v45
	s_and_saveexec_b64 s[2:3], vcc
	s_cbranch_execz .LBB575_221
; %bb.216:
	s_movk_i32 s8, 0x80
	v_cmp_ne_u16_e32 vcc, s8, v45
	v_bfrev_b32_e32 v43, 1
	s_and_saveexec_b64 s[8:9], vcc
	s_cbranch_execz .LBB575_220
; %bb.217:
	v_bfe_u32 v45, v34, 16, 7
	s_movk_i32 s10, 0x7f
	v_cmp_ne_u32_e32 vcc, s10, v45
	v_mov_b32_e32 v43, 0x7f800001
	s_and_saveexec_b64 s[10:11], vcc
	s_cbranch_execz .LBB575_219
; %bb.218:
	v_and_b32_e32 v51, 7, v42
	v_ffbh_u32_e32 v43, v51
	v_min_u32_e32 v53, 32, v43
	v_subrev_u32_e32 v43, 28, v53
	v_lshlrev_b64 v[42:43], v43, v[42:43]
	v_lshrrev_b32_e32 v52, 3, v45
	v_sub_u32_e32 v43, 29, v53
	v_and_b32_e32 v42, 7, v42
	v_cmp_gt_u32_e32 vcc, 8, v45
	v_mov_b32_e32 v45, 24
	v_cndmask_b32_e32 v43, v52, v43, vcc
	v_cndmask_b32_e32 v42, v51, v42, vcc
	v_lshlrev_b32_sdwa v45, v45, v34 dst_sel:DWORD dst_unused:UNUSED_PAD src0_sel:DWORD src1_sel:WORD_1
	v_bfrev_b32_e32 v51, 60
	v_lshlrev_b32_e32 v42, 20, v42
	v_and_b32_e32 v45, 0x80000000, v45
	v_lshl_add_u32 v43, v43, 23, v51
	v_or3_b32 v43, v45, v43, v42
.LBB575_219:
	s_or_b64 exec, exec, s[10:11]
.LBB575_220:
	s_or_b64 exec, exec, s[8:9]
.LBB575_221:
	s_or_b64 exec, exec, s[2:3]
	s_mov_b32 s2, 0xffffff
	v_cmp_lt_u32_e32 vcc, s2, v34
	v_mov_b32_e32 v45, 0
	v_mov_b32_e32 v52, 0
	s_and_saveexec_b64 s[2:3], vcc
	s_cbranch_execz .LBB575_227
; %bb.222:
	v_lshrrev_b32_e32 v42, 24, v34
	s_movk_i32 s8, 0x80
	v_cmp_ne_u32_e32 vcc, s8, v42
	v_bfrev_b32_e32 v52, 1
	s_and_saveexec_b64 s[8:9], vcc
	s_cbranch_execz .LBB575_226
; %bb.223:
	v_bfe_u32 v34, v34, 24, 7
	s_movk_i32 s10, 0x7f
	v_cmp_ne_u32_e32 vcc, s10, v34
	v_mov_b32_e32 v52, 0x7f800001
	s_and_saveexec_b64 s[10:11], vcc
	s_cbranch_execz .LBB575_225
; %bb.224:
	v_and_b32_e32 v51, 7, v42
	v_ffbh_u32_e32 v52, v51
	v_min_u32_e32 v55, 32, v52
	v_subrev_u32_e32 v52, 28, v55
	v_lshlrev_b64 v[52:53], v52, v[42:43]
	v_lshrrev_b32_e32 v54, 3, v34
	v_sub_u32_e32 v53, 29, v55
	v_and_b32_e32 v52, 7, v52
	v_cmp_gt_u32_e32 vcc, 8, v34
	v_cndmask_b32_e32 v34, v54, v53, vcc
	v_cndmask_b32_e32 v51, v51, v52, vcc
	v_lshlrev_b32_e32 v42, 24, v42
	v_bfrev_b32_e32 v52, 60
	v_lshlrev_b32_e32 v51, 20, v51
	v_and_b32_e32 v42, 0x80000000, v42
	v_lshl_add_u32 v34, v34, 23, v52
	v_or3_b32 v52, v42, v34, v51
.LBB575_225:
	s_or_b64 exec, exec, s[10:11]
.LBB575_226:
	s_or_b64 exec, exec, s[8:9]
.LBB575_227:
	s_or_b64 exec, exec, s[2:3]
	v_cmp_ne_u16_sdwa s[8:9], v35, v45 src0_sel:BYTE_0 src1_sel:DWORD
	s_and_saveexec_b64 s[2:3], s[8:9]
	s_cbranch_execz .LBB575_233
; %bb.228:
	s_movk_i32 s8, 0x80
	v_cmp_ne_u16_sdwa s[10:11], v35, s8 src0_sel:BYTE_0 src1_sel:DWORD
	v_bfrev_b32_e32 v45, 1
	s_and_saveexec_b64 s[8:9], s[10:11]
	s_cbranch_execz .LBB575_232
; %bb.229:
	s_movk_i32 s10, 0x7f
	v_and_b32_e32 v34, 0x7f, v35
	v_cmp_ne_u32_e32 vcc, s10, v34
	v_mov_b32_e32 v45, 0x7f800001
	s_and_saveexec_b64 s[10:11], vcc
	s_cbranch_execz .LBB575_231
; %bb.230:
	v_and_b32_e32 v45, 7, v35
	v_ffbh_u32_e32 v53, v45
	v_min_u32_e32 v53, 32, v53
	v_mov_b32_e32 v42, v35
	v_subrev_u32_e32 v54, 28, v53
	v_lshlrev_b64 v[54:55], v54, v[42:43]
	v_lshrrev_b32_e32 v51, 3, v34
	v_sub_u32_e32 v42, 29, v53
	v_and_b32_e32 v53, 7, v54
	v_cmp_gt_u32_e32 vcc, 8, v34
	v_cndmask_b32_e32 v34, v51, v42, vcc
	v_cndmask_b32_e32 v42, v45, v53, vcc
	v_lshlrev_b32_e32 v45, 24, v35
	v_bfrev_b32_e32 v51, 60
	v_lshlrev_b32_e32 v42, 20, v42
	v_and_b32_e32 v45, 0x80000000, v45
	v_lshl_add_u32 v34, v34, 23, v51
	v_or3_b32 v45, v45, v34, v42
.LBB575_231:
	s_or_b64 exec, exec, s[10:11]
.LBB575_232:
	s_or_b64 exec, exec, s[8:9]
.LBB575_233:
	s_or_b64 exec, exec, s[2:3]
	v_lshrrev_b16_e32 v34, 8, v35
	v_cmp_ne_u16_e32 vcc, 0, v34
	v_mov_b32_e32 v42, 0
	v_mov_b32_e32 v53, 0
	s_and_saveexec_b64 s[2:3], vcc
	s_cbranch_execz .LBB575_239
; %bb.234:
	s_movk_i32 s8, 0x80
	v_cmp_ne_u16_e32 vcc, s8, v34
	v_bfrev_b32_e32 v53, 1
	s_and_saveexec_b64 s[8:9], vcc
	s_cbranch_execz .LBB575_238
; %bb.235:
	s_movk_i32 s10, 0x7f
	v_and_b32_e32 v51, 0x7f, v34
	v_cmp_ne_u32_e32 vcc, s10, v51
	v_mov_b32_e32 v53, 0x7f800001
	s_and_saveexec_b64 s[10:11], vcc
	s_cbranch_execz .LBB575_237
; %bb.236:
	v_and_b32_e32 v53, 7, v34
	v_ffbh_u32_e32 v54, v53
	v_min_u32_e32 v57, 32, v54
	v_subrev_u32_e32 v54, 28, v57
	v_lshlrev_b64 v[54:55], v54, v[34:35]
	v_lshrrev_b32_e32 v56, 3, v51
	v_sub_u32_e32 v34, 29, v57
	v_and_b32_e32 v54, 7, v54
	v_cmp_gt_u32_e32 vcc, 8, v51
	v_cndmask_b32_e32 v34, v56, v34, vcc
	v_cndmask_b32_e32 v51, v53, v54, vcc
	v_lshlrev_b32_e32 v53, 16, v35
	v_bfrev_b32_e32 v54, 60
	v_lshlrev_b32_e32 v51, 20, v51
	v_and_b32_e32 v53, 0x80000000, v53
	v_lshl_add_u32 v34, v34, 23, v54
	v_or3_b32 v53, v53, v34, v51
.LBB575_237:
	s_or_b64 exec, exec, s[10:11]
.LBB575_238:
	s_or_b64 exec, exec, s[8:9]
.LBB575_239:
	s_or_b64 exec, exec, s[2:3]
	s_movk_i32 s2, 0xff
	v_and_b32_sdwa v51, v35, s2 dst_sel:DWORD dst_unused:UNUSED_PAD src0_sel:WORD_1 src1_sel:DWORD
	v_lshrrev_b32_e32 v34, 16, v35
	v_cmp_ne_u16_e32 vcc, 0, v51
	s_and_saveexec_b64 s[2:3], vcc
	s_cbranch_execz .LBB575_245
; %bb.240:
	s_movk_i32 s8, 0x80
	v_cmp_ne_u16_e32 vcc, s8, v51
	v_bfrev_b32_e32 v42, 1
	s_and_saveexec_b64 s[8:9], vcc
	s_cbranch_execz .LBB575_244
; %bb.241:
	v_bfe_u32 v51, v35, 16, 7
	s_movk_i32 s10, 0x7f
	v_cmp_ne_u32_e32 vcc, s10, v51
	v_mov_b32_e32 v42, 0x7f800001
	s_and_saveexec_b64 s[10:11], vcc
	s_cbranch_execz .LBB575_243
; %bb.242:
	v_and_b32_e32 v42, 7, v34
	v_ffbh_u32_e32 v54, v42
	v_min_u32_e32 v57, 32, v54
	v_subrev_u32_e32 v54, 28, v57
	v_lshlrev_b64 v[54:55], v54, v[34:35]
	v_lshrrev_b32_e32 v56, 3, v51
	v_sub_u32_e32 v34, 29, v57
	v_and_b32_e32 v54, 7, v54
	v_cmp_gt_u32_e32 vcc, 8, v51
	v_mov_b32_e32 v51, 24
	v_cndmask_b32_e32 v34, v56, v34, vcc
	v_cndmask_b32_e32 v42, v42, v54, vcc
	v_lshlrev_b32_sdwa v51, v51, v35 dst_sel:DWORD dst_unused:UNUSED_PAD src0_sel:DWORD src1_sel:WORD_1
	v_bfrev_b32_e32 v54, 60
	v_lshlrev_b32_e32 v42, 20, v42
	v_and_b32_e32 v51, 0x80000000, v51
	v_lshl_add_u32 v34, v34, 23, v54
	v_or3_b32 v42, v51, v34, v42
.LBB575_243:
	s_or_b64 exec, exec, s[10:11]
.LBB575_244:
	s_or_b64 exec, exec, s[8:9]
.LBB575_245:
	s_or_b64 exec, exec, s[2:3]
	s_mov_b32 s2, 0xffffff
	v_cmp_lt_u32_e32 vcc, s2, v35
	v_mov_b32_e32 v51, 0
	v_mov_b32_e32 v54, 0
	s_and_saveexec_b64 s[2:3], vcc
	s_cbranch_execz .LBB575_251
; %bb.246:
	v_lshrrev_b32_e32 v34, 24, v35
	s_movk_i32 s8, 0x80
	v_cmp_ne_u32_e32 vcc, s8, v34
	v_bfrev_b32_e32 v54, 1
	s_and_saveexec_b64 s[8:9], vcc
	s_cbranch_execz .LBB575_250
; %bb.247:
	v_bfe_u32 v35, v35, 24, 7
	s_movk_i32 s10, 0x7f
	v_cmp_ne_u32_e32 vcc, s10, v35
	v_mov_b32_e32 v54, 0x7f800001
	s_and_saveexec_b64 s[10:11], vcc
	s_cbranch_execz .LBB575_249
; %bb.248:
	v_and_b32_e32 v56, 7, v34
	v_ffbh_u32_e32 v54, v56
	v_min_u32_e32 v58, 32, v54
	v_subrev_u32_e32 v54, 28, v58
	v_lshlrev_b64 v[54:55], v54, v[34:35]
	v_lshrrev_b32_e32 v57, 3, v35
	v_sub_u32_e32 v55, 29, v58
	v_and_b32_e32 v54, 7, v54
	v_cmp_gt_u32_e32 vcc, 8, v35
	v_cndmask_b32_e32 v35, v57, v55, vcc
	v_cndmask_b32_e32 v54, v56, v54, vcc
	v_lshlrev_b32_e32 v34, 24, v34
	v_bfrev_b32_e32 v55, 60
	v_lshlrev_b32_e32 v54, 20, v54
	v_and_b32_e32 v34, 0x80000000, v34
	v_lshl_add_u32 v35, v35, 23, v55
	v_or3_b32 v54, v34, v35, v54
.LBB575_249:
	s_or_b64 exec, exec, s[10:11]
.LBB575_250:
	s_or_b64 exec, exec, s[8:9]
.LBB575_251:
	s_or_b64 exec, exec, s[2:3]
	v_cvt_pkrtz_f16_f32 v34, v50, v44
	v_cvt_pkrtz_f16_f32 v35, v43, v52
	v_cmp_ne_u16_sdwa s[8:9], v36, v51 src0_sel:BYTE_0 src1_sel:DWORD
	s_nop 0
	v_mfma_f32_16x16x16f16 v[56:59], v[34:35], v[26:27], 0
	v_cvt_pkrtz_f16_f32 v34, v45, v53
	v_cvt_pkrtz_f16_f32 v35, v42, v54
	s_nop 1
	v_mfma_f32_16x16x16f16 v[42:45], v[34:35], v[28:29], v[56:59]
	s_and_saveexec_b64 s[2:3], s[8:9]
	s_cbranch_execz .LBB575_257
; %bb.252:
	s_movk_i32 s8, 0x80
	v_cmp_ne_u16_sdwa s[10:11], v36, s8 src0_sel:BYTE_0 src1_sel:DWORD
	v_bfrev_b32_e32 v51, 1
	s_and_saveexec_b64 s[8:9], s[10:11]
	s_cbranch_execz .LBB575_256
; %bb.253:
	s_movk_i32 s10, 0x7f
	v_and_b32_e32 v34, 0x7f, v36
	v_cmp_ne_u32_e32 vcc, s10, v34
	v_mov_b32_e32 v51, 0x7f800001
	s_and_saveexec_b64 s[10:11], vcc
	s_cbranch_execz .LBB575_255
; %bb.254:
	v_and_b32_e32 v35, 7, v36
	v_ffbh_u32_e32 v50, v35
	v_min_u32_e32 v53, 32, v50
	v_subrev_u32_e32 v50, 28, v53
	v_lshlrev_b64 v[50:51], v50, v[36:37]
	v_lshrrev_b32_e32 v52, 3, v34
	v_sub_u32_e32 v51, 29, v53
	v_and_b32_e32 v50, 7, v50
	v_cmp_gt_u32_e32 vcc, 8, v34
	v_cndmask_b32_e32 v34, v52, v51, vcc
	v_cndmask_b32_e32 v35, v35, v50, vcc
	v_lshlrev_b32_e32 v50, 24, v36
	v_bfrev_b32_e32 v51, 60
	v_lshlrev_b32_e32 v35, 20, v35
	v_and_b32_e32 v50, 0x80000000, v50
	v_lshl_add_u32 v34, v34, 23, v51
	v_or3_b32 v51, v50, v34, v35
.LBB575_255:
	s_or_b64 exec, exec, s[10:11]
.LBB575_256:
	s_or_b64 exec, exec, s[8:9]
.LBB575_257:
	s_or_b64 exec, exec, s[2:3]
	v_lshrrev_b16_e32 v34, 8, v36
	v_cmp_ne_u16_e32 vcc, 0, v34
	v_mov_b32_e32 v35, 0
	v_mov_b32_e32 v52, 0
	s_and_saveexec_b64 s[2:3], vcc
	s_cbranch_execz .LBB575_263
; %bb.258:
	s_movk_i32 s8, 0x80
	v_cmp_ne_u16_e32 vcc, s8, v34
	v_bfrev_b32_e32 v52, 1
	s_and_saveexec_b64 s[8:9], vcc
	s_cbranch_execz .LBB575_262
; %bb.259:
	s_movk_i32 s10, 0x7f
	v_and_b32_e32 v50, 0x7f, v34
	v_cmp_ne_u32_e32 vcc, s10, v50
	v_mov_b32_e32 v52, 0x7f800001
	s_and_saveexec_b64 s[10:11], vcc
	s_cbranch_execz .LBB575_261
; %bb.260:
	v_and_b32_e32 v54, 7, v34
	v_ffbh_u32_e32 v52, v54
	v_min_u32_e32 v56, 32, v52
	v_subrev_u32_e32 v52, 28, v56
	v_lshlrev_b64 v[52:53], v52, v[34:35]
	v_lshrrev_b32_e32 v55, 3, v50
	v_sub_u32_e32 v34, 29, v56
	v_and_b32_e32 v52, 7, v52
	v_cmp_gt_u32_e32 vcc, 8, v50
	v_cndmask_b32_e32 v34, v55, v34, vcc
	v_cndmask_b32_e32 v50, v54, v52, vcc
	v_lshlrev_b32_e32 v52, 16, v36
	v_bfrev_b32_e32 v53, 60
	v_lshlrev_b32_e32 v50, 20, v50
	v_and_b32_e32 v52, 0x80000000, v52
	v_lshl_add_u32 v34, v34, 23, v53
	v_or3_b32 v52, v52, v34, v50
.LBB575_261:
	s_or_b64 exec, exec, s[10:11]
.LBB575_262:
	s_or_b64 exec, exec, s[8:9]
.LBB575_263:
	s_or_b64 exec, exec, s[2:3]
	s_movk_i32 s2, 0xff
	v_and_b32_sdwa v50, v36, s2 dst_sel:DWORD dst_unused:UNUSED_PAD src0_sel:WORD_1 src1_sel:DWORD
	v_lshrrev_b32_e32 v34, 16, v36
	v_cmp_ne_u16_e32 vcc, 0, v50
	s_and_saveexec_b64 s[2:3], vcc
	s_cbranch_execz .LBB575_269
; %bb.264:
	s_movk_i32 s8, 0x80
	v_cmp_ne_u16_e32 vcc, s8, v50
	v_bfrev_b32_e32 v35, 1
	s_and_saveexec_b64 s[8:9], vcc
	s_cbranch_execz .LBB575_268
; %bb.265:
	v_bfe_u32 v50, v36, 16, 7
	s_movk_i32 s10, 0x7f
	v_cmp_ne_u32_e32 vcc, s10, v50
	v_mov_b32_e32 v35, 0x7f800001
	s_and_saveexec_b64 s[10:11], vcc
	s_cbranch_execz .LBB575_267
; %bb.266:
	v_and_b32_e32 v53, 7, v34
	v_ffbh_u32_e32 v35, v53
	v_min_u32_e32 v55, 32, v35
	v_subrev_u32_e32 v35, 28, v55
	v_lshlrev_b64 v[34:35], v35, v[34:35]
	v_lshrrev_b32_e32 v54, 3, v50
	v_sub_u32_e32 v35, 29, v55
	v_and_b32_e32 v34, 7, v34
	v_cmp_gt_u32_e32 vcc, 8, v50
	v_mov_b32_e32 v50, 24
	v_cndmask_b32_e32 v35, v54, v35, vcc
	v_cndmask_b32_e32 v34, v53, v34, vcc
	v_lshlrev_b32_sdwa v50, v50, v36 dst_sel:DWORD dst_unused:UNUSED_PAD src0_sel:DWORD src1_sel:WORD_1
	v_bfrev_b32_e32 v53, 60
	v_lshlrev_b32_e32 v34, 20, v34
	v_and_b32_e32 v50, 0x80000000, v50
	v_lshl_add_u32 v35, v35, 23, v53
	v_or3_b32 v35, v50, v35, v34
.LBB575_267:
	s_or_b64 exec, exec, s[10:11]
.LBB575_268:
	s_or_b64 exec, exec, s[8:9]
.LBB575_269:
	s_or_b64 exec, exec, s[2:3]
	s_mov_b32 s2, 0xffffff
	v_cmp_lt_u32_e32 vcc, s2, v36
	v_mov_b32_e32 v53, 0
	v_mov_b32_e32 v54, 0
	s_and_saveexec_b64 s[2:3], vcc
	s_cbranch_execz .LBB575_275
; %bb.270:
	v_lshrrev_b32_e32 v34, 24, v36
	s_movk_i32 s8, 0x80
	v_cmp_ne_u32_e32 vcc, s8, v34
	v_bfrev_b32_e32 v54, 1
	s_and_saveexec_b64 s[8:9], vcc
	s_cbranch_execz .LBB575_274
; %bb.271:
	v_bfe_u32 v36, v36, 24, 7
	s_movk_i32 s10, 0x7f
	v_cmp_ne_u32_e32 vcc, s10, v36
	v_mov_b32_e32 v54, 0x7f800001
	s_and_saveexec_b64 s[10:11], vcc
	s_cbranch_execz .LBB575_273
; %bb.272:
	v_and_b32_e32 v50, 7, v34
	v_ffbh_u32_e32 v54, v50
	v_min_u32_e32 v57, 32, v54
	v_subrev_u32_e32 v54, 28, v57
	v_lshlrev_b64 v[54:55], v54, v[34:35]
	v_lshrrev_b32_e32 v56, 3, v36
	v_sub_u32_e32 v55, 29, v57
	v_and_b32_e32 v54, 7, v54
	v_cmp_gt_u32_e32 vcc, 8, v36
	v_cndmask_b32_e32 v36, v56, v55, vcc
	v_cndmask_b32_e32 v50, v50, v54, vcc
	v_lshlrev_b32_e32 v34, 24, v34
	v_bfrev_b32_e32 v54, 60
	v_lshlrev_b32_e32 v50, 20, v50
	v_and_b32_e32 v34, 0x80000000, v34
	v_lshl_add_u32 v36, v36, 23, v54
	v_or3_b32 v54, v34, v36, v50
.LBB575_273:
	s_or_b64 exec, exec, s[10:11]
.LBB575_274:
	s_or_b64 exec, exec, s[8:9]
.LBB575_275:
	s_or_b64 exec, exec, s[2:3]
	v_cmp_ne_u16_sdwa s[8:9], v37, v53 src0_sel:BYTE_0 src1_sel:DWORD
	s_and_saveexec_b64 s[2:3], s[8:9]
	s_cbranch_execz .LBB575_281
; %bb.276:
	s_movk_i32 s8, 0x80
	v_cmp_ne_u16_sdwa s[10:11], v37, s8 src0_sel:BYTE_0 src1_sel:DWORD
	v_bfrev_b32_e32 v53, 1
	s_and_saveexec_b64 s[8:9], s[10:11]
	s_cbranch_execz .LBB575_280
; %bb.277:
	s_movk_i32 s10, 0x7f
	v_and_b32_e32 v34, 0x7f, v37
	v_cmp_ne_u32_e32 vcc, s10, v34
	v_mov_b32_e32 v53, 0x7f800001
	s_and_saveexec_b64 s[10:11], vcc
	s_cbranch_execz .LBB575_279
; %bb.278:
	v_and_b32_e32 v50, 7, v37
	v_ffbh_u32_e32 v55, v50
	v_min_u32_e32 v55, 32, v55
	v_mov_b32_e32 v36, v37
	v_subrev_u32_e32 v56, 28, v55
	v_lshlrev_b64 v[56:57], v56, v[36:37]
	v_lshrrev_b32_e32 v53, 3, v34
	v_sub_u32_e32 v36, 29, v55
	v_and_b32_e32 v55, 7, v56
	v_cmp_gt_u32_e32 vcc, 8, v34
	v_cndmask_b32_e32 v34, v53, v36, vcc
	v_cndmask_b32_e32 v36, v50, v55, vcc
	v_lshlrev_b32_e32 v50, 24, v37
	v_bfrev_b32_e32 v53, 60
	v_lshlrev_b32_e32 v36, 20, v36
	v_and_b32_e32 v50, 0x80000000, v50
	v_lshl_add_u32 v34, v34, 23, v53
	v_or3_b32 v53, v50, v34, v36
.LBB575_279:
	s_or_b64 exec, exec, s[10:11]
.LBB575_280:
	s_or_b64 exec, exec, s[8:9]
.LBB575_281:
	s_or_b64 exec, exec, s[2:3]
	v_lshrrev_b16_e32 v34, 8, v37
	v_cmp_ne_u16_e32 vcc, 0, v34
	v_mov_b32_e32 v36, 0
	v_mov_b32_e32 v55, 0
	s_and_saveexec_b64 s[2:3], vcc
	s_cbranch_execz .LBB575_287
; %bb.282:
	s_movk_i32 s8, 0x80
	v_cmp_ne_u16_e32 vcc, s8, v34
	v_bfrev_b32_e32 v55, 1
	s_and_saveexec_b64 s[8:9], vcc
	s_cbranch_execz .LBB575_286
; %bb.283:
	s_movk_i32 s10, 0x7f
	v_and_b32_e32 v50, 0x7f, v34
	v_cmp_ne_u32_e32 vcc, s10, v50
	v_mov_b32_e32 v55, 0x7f800001
	s_and_saveexec_b64 s[10:11], vcc
	s_cbranch_execz .LBB575_285
; %bb.284:
	v_and_b32_e32 v55, 7, v34
	v_ffbh_u32_e32 v56, v55
	v_min_u32_e32 v59, 32, v56
	v_subrev_u32_e32 v56, 28, v59
	v_lshlrev_b64 v[56:57], v56, v[34:35]
	v_lshrrev_b32_e32 v58, 3, v50
	v_sub_u32_e32 v34, 29, v59
	v_and_b32_e32 v56, 7, v56
	v_cmp_gt_u32_e32 vcc, 8, v50
	v_cndmask_b32_e32 v34, v58, v34, vcc
	v_cndmask_b32_e32 v50, v55, v56, vcc
	v_lshlrev_b32_e32 v55, 16, v37
	v_bfrev_b32_e32 v56, 60
	v_lshlrev_b32_e32 v50, 20, v50
	v_and_b32_e32 v55, 0x80000000, v55
	v_lshl_add_u32 v34, v34, 23, v56
	v_or3_b32 v55, v55, v34, v50
.LBB575_285:
	s_or_b64 exec, exec, s[10:11]
.LBB575_286:
	s_or_b64 exec, exec, s[8:9]
.LBB575_287:
	s_or_b64 exec, exec, s[2:3]
	s_movk_i32 s2, 0xff
	v_and_b32_sdwa v50, v37, s2 dst_sel:DWORD dst_unused:UNUSED_PAD src0_sel:WORD_1 src1_sel:DWORD
	v_lshrrev_b32_e32 v34, 16, v37
	v_cmp_ne_u16_e32 vcc, 0, v50
	s_and_saveexec_b64 s[2:3], vcc
	s_cbranch_execz .LBB575_293
; %bb.288:
	s_movk_i32 s8, 0x80
	v_cmp_ne_u16_e32 vcc, s8, v50
	v_bfrev_b32_e32 v36, 1
	s_and_saveexec_b64 s[8:9], vcc
	s_cbranch_execz .LBB575_292
; %bb.289:
	v_bfe_u32 v50, v37, 16, 7
	s_movk_i32 s10, 0x7f
	v_cmp_ne_u32_e32 vcc, s10, v50
	v_mov_b32_e32 v36, 0x7f800001
	s_and_saveexec_b64 s[10:11], vcc
	s_cbranch_execz .LBB575_291
; %bb.290:
	v_and_b32_e32 v36, 7, v34
	v_ffbh_u32_e32 v56, v36
	v_min_u32_e32 v59, 32, v56
	v_subrev_u32_e32 v56, 28, v59
	v_lshlrev_b64 v[56:57], v56, v[34:35]
	v_lshrrev_b32_e32 v58, 3, v50
	v_sub_u32_e32 v34, 29, v59
	v_and_b32_e32 v56, 7, v56
	v_cmp_gt_u32_e32 vcc, 8, v50
	v_mov_b32_e32 v50, 24
	v_cndmask_b32_e32 v34, v58, v34, vcc
	v_cndmask_b32_e32 v36, v36, v56, vcc
	v_lshlrev_b32_sdwa v50, v50, v37 dst_sel:DWORD dst_unused:UNUSED_PAD src0_sel:DWORD src1_sel:WORD_1
	v_bfrev_b32_e32 v56, 60
	v_lshlrev_b32_e32 v36, 20, v36
	v_and_b32_e32 v50, 0x80000000, v50
	v_lshl_add_u32 v34, v34, 23, v56
	v_or3_b32 v36, v50, v34, v36
.LBB575_291:
	s_or_b64 exec, exec, s[10:11]
.LBB575_292:
	s_or_b64 exec, exec, s[8:9]
.LBB575_293:
	s_or_b64 exec, exec, s[2:3]
	s_mov_b32 s2, 0xffffff
	v_cmp_lt_u32_e32 vcc, s2, v37
	v_mov_b32_e32 v50, 0
	v_mov_b32_e32 v56, 0
	s_and_saveexec_b64 s[2:3], vcc
	s_cbranch_execz .LBB575_299
; %bb.294:
	v_lshrrev_b32_e32 v34, 24, v37
	s_movk_i32 s8, 0x80
	v_cmp_ne_u32_e32 vcc, s8, v34
	v_bfrev_b32_e32 v56, 1
	s_and_saveexec_b64 s[8:9], vcc
	s_cbranch_execz .LBB575_298
; %bb.295:
	v_bfe_u32 v37, v37, 24, 7
	s_movk_i32 s10, 0x7f
	v_cmp_ne_u32_e32 vcc, s10, v37
	v_mov_b32_e32 v56, 0x7f800001
	s_and_saveexec_b64 s[10:11], vcc
	s_cbranch_execz .LBB575_297
; %bb.296:
	v_and_b32_e32 v58, 7, v34
	v_ffbh_u32_e32 v56, v58
	v_min_u32_e32 v60, 32, v56
	v_subrev_u32_e32 v56, 28, v60
	v_lshlrev_b64 v[56:57], v56, v[34:35]
	v_lshrrev_b32_e32 v59, 3, v37
	v_sub_u32_e32 v57, 29, v60
	v_and_b32_e32 v56, 7, v56
	v_cmp_gt_u32_e32 vcc, 8, v37
	v_cndmask_b32_e32 v37, v59, v57, vcc
	v_cndmask_b32_e32 v56, v58, v56, vcc
	v_lshlrev_b32_e32 v34, 24, v34
	v_bfrev_b32_e32 v57, 60
	v_lshlrev_b32_e32 v56, 20, v56
	v_and_b32_e32 v34, 0x80000000, v34
	v_lshl_add_u32 v37, v37, 23, v57
	v_or3_b32 v56, v34, v37, v56
.LBB575_297:
	s_or_b64 exec, exec, s[10:11]
.LBB575_298:
	s_or_b64 exec, exec, s[8:9]
.LBB575_299:
	s_or_b64 exec, exec, s[2:3]
	v_cvt_pkrtz_f16_f32 v34, v51, v52
	v_cvt_pkrtz_f16_f32 v35, v35, v54
	s_waitcnt vmcnt(4)
	v_cmp_ne_u16_sdwa s[8:9], v22, v50 src0_sel:BYTE_0 src1_sel:DWORD
	v_mfma_f32_16x16x16f16 v[42:45], v[34:35], v[18:19], v[42:45]
	v_cvt_pkrtz_f16_f32 v34, v53, v55
	v_cvt_pkrtz_f16_f32 v35, v36, v56
	s_nop 1
	v_mfma_f32_16x16x16f16 v[34:37], v[34:35], v[20:21], v[42:45]
	s_and_saveexec_b64 s[2:3], s[8:9]
	s_cbranch_execz .LBB575_305
; %bb.300:
	s_movk_i32 s8, 0x80
	v_cmp_ne_u16_sdwa s[10:11], v22, s8 src0_sel:BYTE_0 src1_sel:DWORD
	v_bfrev_b32_e32 v50, 1
	s_and_saveexec_b64 s[8:9], s[10:11]
	s_cbranch_execz .LBB575_304
; %bb.301:
	s_movk_i32 s10, 0x7f
	v_and_b32_e32 v42, 0x7f, v22
	v_cmp_ne_u32_e32 vcc, s10, v42
	v_mov_b32_e32 v50, 0x7f800001
	s_and_saveexec_b64 s[10:11], vcc
	s_cbranch_execz .LBB575_303
; %bb.302:
	v_and_b32_e32 v43, 7, v22
	v_ffbh_u32_e32 v44, v43
	v_min_u32_e32 v51, 32, v44
	v_subrev_u32_e32 v44, 28, v51
	v_lshlrev_b64 v[44:45], v44, v[22:23]
	v_lshrrev_b32_e32 v50, 3, v42
	v_sub_u32_e32 v45, 29, v51
	v_and_b32_e32 v44, 7, v44
	v_cmp_gt_u32_e32 vcc, 8, v42
	v_cndmask_b32_e32 v42, v50, v45, vcc
	v_cndmask_b32_e32 v43, v43, v44, vcc
	v_lshlrev_b32_e32 v44, 24, v22
	v_bfrev_b32_e32 v45, 60
	v_lshlrev_b32_e32 v43, 20, v43
	v_and_b32_e32 v44, 0x80000000, v44
	v_lshl_add_u32 v42, v42, 23, v45
	v_or3_b32 v50, v44, v42, v43
.LBB575_303:
	s_or_b64 exec, exec, s[10:11]
.LBB575_304:
	s_or_b64 exec, exec, s[8:9]
.LBB575_305:
	s_or_b64 exec, exec, s[2:3]
	s_nop 3
	v_lshrrev_b16_e32 v42, 8, v22
	v_cmp_ne_u16_e32 vcc, 0, v42
	v_mov_b32_e32 v44, 0
	v_mov_b32_e32 v45, 0
	s_and_saveexec_b64 s[2:3], vcc
	s_cbranch_execz .LBB575_311
; %bb.306:
	s_movk_i32 s8, 0x80
	v_cmp_ne_u16_e32 vcc, s8, v42
	v_bfrev_b32_e32 v45, 1
	s_and_saveexec_b64 s[8:9], vcc
	s_cbranch_execz .LBB575_310
; %bb.307:
	s_movk_i32 s10, 0x7f
	v_and_b32_e32 v43, 0x7f, v42
	v_cmp_ne_u32_e32 vcc, s10, v43
	v_mov_b32_e32 v45, 0x7f800001
	s_and_saveexec_b64 s[10:11], vcc
	s_cbranch_execz .LBB575_309
; %bb.308:
	v_and_b32_e32 v45, 7, v42
	v_ffbh_u32_e32 v52, v45
	v_min_u32_e32 v54, 32, v52
	v_subrev_u32_e32 v52, 28, v54
	v_lshlrev_b64 v[52:53], v52, v[42:43]
	v_lshrrev_b32_e32 v51, 3, v43
	v_sub_u32_e32 v42, 29, v54
	v_and_b32_e32 v52, 7, v52
	v_cmp_gt_u32_e32 vcc, 8, v43
	v_cndmask_b32_e32 v42, v51, v42, vcc
	v_cndmask_b32_e32 v43, v45, v52, vcc
	v_lshlrev_b32_e32 v45, 16, v22
	v_bfrev_b32_e32 v51, 60
	v_lshlrev_b32_e32 v43, 20, v43
	v_and_b32_e32 v45, 0x80000000, v45
	v_lshl_add_u32 v42, v42, 23, v51
	v_or3_b32 v45, v45, v42, v43
.LBB575_309:
	s_or_b64 exec, exec, s[10:11]
.LBB575_310:
	s_or_b64 exec, exec, s[8:9]
.LBB575_311:
	s_or_b64 exec, exec, s[2:3]
	s_movk_i32 s2, 0xff
	v_and_b32_sdwa v43, v22, s2 dst_sel:DWORD dst_unused:UNUSED_PAD src0_sel:WORD_1 src1_sel:DWORD
	v_lshrrev_b32_e32 v42, 16, v22
	v_cmp_ne_u16_e32 vcc, 0, v43
	s_and_saveexec_b64 s[2:3], vcc
	s_cbranch_execz .LBB575_317
; %bb.312:
	s_movk_i32 s8, 0x80
	v_cmp_ne_u16_e32 vcc, s8, v43
	v_bfrev_b32_e32 v44, 1
	s_and_saveexec_b64 s[8:9], vcc
	s_cbranch_execz .LBB575_316
; %bb.313:
	v_bfe_u32 v43, v22, 16, 7
	s_movk_i32 s10, 0x7f
	v_cmp_ne_u32_e32 vcc, s10, v43
	v_mov_b32_e32 v44, 0x7f800001
	s_and_saveexec_b64 s[10:11], vcc
	s_cbranch_execz .LBB575_315
; %bb.314:
	v_and_b32_e32 v44, 7, v42
	v_ffbh_u32_e32 v52, v44
	v_min_u32_e32 v54, 32, v52
	v_subrev_u32_e32 v52, 28, v54
	v_lshlrev_b64 v[52:53], v52, v[42:43]
	v_and_b32_e32 v52, 7, v52
	v_cmp_gt_u32_e32 vcc, 8, v43
	v_lshrrev_b32_e32 v51, 3, v43
	v_sub_u32_e32 v42, 29, v54
	v_cndmask_b32_e32 v43, v44, v52, vcc
	v_mov_b32_e32 v44, 24
	v_cndmask_b32_e32 v42, v51, v42, vcc
	v_lshlrev_b32_sdwa v44, v44, v22 dst_sel:DWORD dst_unused:UNUSED_PAD src0_sel:DWORD src1_sel:WORD_1
	v_bfrev_b32_e32 v51, 60
	v_lshlrev_b32_e32 v43, 20, v43
	v_and_b32_e32 v44, 0x80000000, v44
	v_lshl_add_u32 v42, v42, 23, v51
	v_or3_b32 v44, v44, v42, v43
.LBB575_315:
	s_or_b64 exec, exec, s[10:11]
.LBB575_316:
	s_or_b64 exec, exec, s[8:9]
.LBB575_317:
	s_or_b64 exec, exec, s[2:3]
	s_mov_b32 s2, 0xffffff
	v_cmp_lt_u32_e32 vcc, s2, v22
	v_mov_b32_e32 v51, 0
	v_mov_b32_e32 v52, 0
	s_and_saveexec_b64 s[2:3], vcc
	s_cbranch_execz .LBB575_323
; %bb.318:
	v_lshrrev_b32_e32 v42, 24, v22
	s_movk_i32 s8, 0x80
	v_cmp_ne_u32_e32 vcc, s8, v42
	v_bfrev_b32_e32 v52, 1
	s_and_saveexec_b64 s[8:9], vcc
	s_cbranch_execz .LBB575_322
; %bb.319:
	v_bfe_u32 v22, v22, 24, 7
	s_movk_i32 s10, 0x7f
	v_cmp_ne_u32_e32 vcc, s10, v22
	v_mov_b32_e32 v52, 0x7f800001
	s_and_saveexec_b64 s[10:11], vcc
	s_cbranch_execz .LBB575_321
; %bb.320:
	v_and_b32_e32 v43, 7, v42
	v_ffbh_u32_e32 v52, v43
	v_min_u32_e32 v55, 32, v52
	v_subrev_u32_e32 v52, 28, v55
	v_lshlrev_b64 v[52:53], v52, v[42:43]
	v_lshrrev_b32_e32 v54, 3, v22
	v_sub_u32_e32 v53, 29, v55
	v_and_b32_e32 v52, 7, v52
	v_cmp_gt_u32_e32 vcc, 8, v22
	v_cndmask_b32_e32 v22, v54, v53, vcc
	v_cndmask_b32_e32 v43, v43, v52, vcc
	v_lshlrev_b32_e32 v42, 24, v42
	v_bfrev_b32_e32 v52, 60
	v_lshlrev_b32_e32 v43, 20, v43
	v_and_b32_e32 v42, 0x80000000, v42
	v_lshl_add_u32 v22, v22, 23, v52
	v_or3_b32 v52, v42, v22, v43
.LBB575_321:
	s_or_b64 exec, exec, s[10:11]
.LBB575_322:
	s_or_b64 exec, exec, s[8:9]
.LBB575_323:
	s_or_b64 exec, exec, s[2:3]
	v_cmp_ne_u16_sdwa s[8:9], v23, v51 src0_sel:BYTE_0 src1_sel:DWORD
	s_and_saveexec_b64 s[2:3], s[8:9]
	s_cbranch_execz .LBB575_329
; %bb.324:
	s_movk_i32 s8, 0x80
	v_cmp_ne_u16_sdwa s[10:11], v23, s8 src0_sel:BYTE_0 src1_sel:DWORD
	v_bfrev_b32_e32 v51, 1
	s_and_saveexec_b64 s[8:9], s[10:11]
	s_cbranch_execz .LBB575_328
; %bb.325:
	s_movk_i32 s10, 0x7f
	v_and_b32_e32 v22, 0x7f, v23
	v_cmp_ne_u32_e32 vcc, s10, v22
	v_mov_b32_e32 v51, 0x7f800001
	s_and_saveexec_b64 s[10:11], vcc
	s_cbranch_execz .LBB575_327
; %bb.326:
	v_and_b32_e32 v51, 7, v23
	v_ffbh_u32_e32 v43, v51
	v_min_u32_e32 v54, 32, v43
	v_mov_b32_e32 v42, v23
	v_subrev_u32_e32 v43, 28, v54
	v_lshlrev_b64 v[42:43], v43, v[42:43]
	v_lshrrev_b32_e32 v53, 3, v22
	v_sub_u32_e32 v43, 29, v54
	v_and_b32_e32 v42, 7, v42
	v_cmp_gt_u32_e32 vcc, 8, v22
	v_cndmask_b32_e32 v22, v53, v43, vcc
	v_cndmask_b32_e32 v42, v51, v42, vcc
	v_lshlrev_b32_e32 v43, 24, v23
	v_bfrev_b32_e32 v51, 60
	v_lshlrev_b32_e32 v42, 20, v42
	v_and_b32_e32 v43, 0x80000000, v43
	v_lshl_add_u32 v22, v22, 23, v51
	v_or3_b32 v51, v43, v22, v42
.LBB575_327:
	s_or_b64 exec, exec, s[10:11]
.LBB575_328:
	s_or_b64 exec, exec, s[8:9]
.LBB575_329:
	s_or_b64 exec, exec, s[2:3]
	v_lshrrev_b16_e32 v22, 8, v23
	v_cmp_ne_u16_e32 vcc, 0, v22
	v_mov_b32_e32 v42, 0
	v_mov_b32_e32 v53, 0
	s_and_saveexec_b64 s[2:3], vcc
	s_cbranch_execz .LBB575_335
; %bb.330:
	s_movk_i32 s8, 0x80
	v_cmp_ne_u16_e32 vcc, s8, v22
	v_bfrev_b32_e32 v53, 1
	s_and_saveexec_b64 s[8:9], vcc
	s_cbranch_execz .LBB575_334
; %bb.331:
	s_movk_i32 s10, 0x7f
	v_and_b32_e32 v43, 0x7f, v22
	v_cmp_ne_u32_e32 vcc, s10, v43
	v_mov_b32_e32 v53, 0x7f800001
	s_and_saveexec_b64 s[10:11], vcc
	s_cbranch_execz .LBB575_333
; %bb.332:
	v_and_b32_e32 v53, 7, v22
	v_ffbh_u32_e32 v54, v53
	v_min_u32_e32 v57, 32, v54
	v_subrev_u32_e32 v54, 28, v57
	v_lshlrev_b64 v[54:55], v54, v[22:23]
	v_lshrrev_b32_e32 v56, 3, v43
	v_sub_u32_e32 v22, 29, v57
	v_and_b32_e32 v54, 7, v54
	v_cmp_gt_u32_e32 vcc, 8, v43
	v_cndmask_b32_e32 v22, v56, v22, vcc
	v_cndmask_b32_e32 v43, v53, v54, vcc
	v_lshlrev_b32_e32 v53, 16, v23
	v_bfrev_b32_e32 v54, 60
	v_lshlrev_b32_e32 v43, 20, v43
	v_and_b32_e32 v53, 0x80000000, v53
	v_lshl_add_u32 v22, v22, 23, v54
	v_or3_b32 v53, v53, v22, v43
.LBB575_333:
	s_or_b64 exec, exec, s[10:11]
.LBB575_334:
	s_or_b64 exec, exec, s[8:9]
.LBB575_335:
	s_or_b64 exec, exec, s[2:3]
	s_movk_i32 s2, 0xff
	v_and_b32_sdwa v43, v23, s2 dst_sel:DWORD dst_unused:UNUSED_PAD src0_sel:WORD_1 src1_sel:DWORD
	v_lshrrev_b32_e32 v22, 16, v23
	v_cmp_ne_u16_e32 vcc, 0, v43
	s_and_saveexec_b64 s[2:3], vcc
	s_cbranch_execz .LBB575_341
; %bb.336:
	s_movk_i32 s8, 0x80
	v_cmp_ne_u16_e32 vcc, s8, v43
	v_bfrev_b32_e32 v42, 1
	s_and_saveexec_b64 s[8:9], vcc
	s_cbranch_execz .LBB575_340
; %bb.337:
	v_bfe_u32 v43, v23, 16, 7
	s_movk_i32 s10, 0x7f
	v_cmp_ne_u32_e32 vcc, s10, v43
	v_mov_b32_e32 v42, 0x7f800001
	s_and_saveexec_b64 s[10:11], vcc
	s_cbranch_execz .LBB575_339
; %bb.338:
	v_and_b32_e32 v42, 7, v22
	v_ffbh_u32_e32 v54, v42
	v_min_u32_e32 v57, 32, v54
	v_subrev_u32_e32 v54, 28, v57
	v_lshlrev_b64 v[54:55], v54, v[22:23]
	v_lshrrev_b32_e32 v56, 3, v43
	v_sub_u32_e32 v22, 29, v57
	v_and_b32_e32 v54, 7, v54
	v_cmp_gt_u32_e32 vcc, 8, v43
	v_mov_b32_e32 v43, 24
	v_cndmask_b32_e32 v22, v56, v22, vcc
	v_cndmask_b32_e32 v42, v42, v54, vcc
	v_lshlrev_b32_sdwa v43, v43, v23 dst_sel:DWORD dst_unused:UNUSED_PAD src0_sel:DWORD src1_sel:WORD_1
	v_bfrev_b32_e32 v54, 60
	v_lshlrev_b32_e32 v42, 20, v42
	v_and_b32_e32 v43, 0x80000000, v43
	v_lshl_add_u32 v22, v22, 23, v54
	v_or3_b32 v42, v43, v22, v42
.LBB575_339:
	s_or_b64 exec, exec, s[10:11]
.LBB575_340:
	s_or_b64 exec, exec, s[8:9]
.LBB575_341:
	s_or_b64 exec, exec, s[2:3]
	s_mov_b32 s2, 0xffffff
	v_cmp_lt_u32_e32 vcc, s2, v23
	v_mov_b32_e32 v43, 0
	v_mov_b32_e32 v54, 0
	s_and_saveexec_b64 s[2:3], vcc
	s_cbranch_execz .LBB575_347
; %bb.342:
	v_lshrrev_b32_e32 v22, 24, v23
	s_movk_i32 s8, 0x80
	v_cmp_ne_u32_e32 vcc, s8, v22
	v_bfrev_b32_e32 v54, 1
	s_and_saveexec_b64 s[8:9], vcc
	s_cbranch_execz .LBB575_346
; %bb.343:
	v_bfe_u32 v23, v23, 24, 7
	s_movk_i32 s10, 0x7f
	v_cmp_ne_u32_e32 vcc, s10, v23
	v_mov_b32_e32 v54, 0x7f800001
	s_and_saveexec_b64 s[10:11], vcc
	s_cbranch_execz .LBB575_345
; %bb.344:
	v_and_b32_e32 v56, 7, v22
	v_ffbh_u32_e32 v54, v56
	v_min_u32_e32 v58, 32, v54
	v_subrev_u32_e32 v54, 28, v58
	v_lshlrev_b64 v[54:55], v54, v[22:23]
	v_lshrrev_b32_e32 v57, 3, v23
	v_sub_u32_e32 v55, 29, v58
	v_and_b32_e32 v54, 7, v54
	v_cmp_gt_u32_e32 vcc, 8, v23
	v_cndmask_b32_e32 v23, v57, v55, vcc
	v_cndmask_b32_e32 v54, v56, v54, vcc
	v_lshlrev_b32_e32 v22, 24, v22
	v_bfrev_b32_e32 v55, 60
	v_lshlrev_b32_e32 v54, 20, v54
	v_and_b32_e32 v22, 0x80000000, v22
	v_lshl_add_u32 v23, v23, 23, v55
	v_or3_b32 v54, v22, v23, v54
.LBB575_345:
	s_or_b64 exec, exec, s[10:11]
.LBB575_346:
	s_or_b64 exec, exec, s[8:9]
.LBB575_347:
	s_or_b64 exec, exec, s[2:3]
	v_cvt_pkrtz_f16_f32 v22, v50, v45
	v_cvt_pkrtz_f16_f32 v23, v44, v52
	v_cmp_ne_u16_sdwa s[8:9], v24, v43 src0_sel:BYTE_0 src1_sel:DWORD
	s_nop 0
	v_mfma_f32_16x16x16f16 v[56:59], v[22:23], v[26:27], 0
	v_cvt_pkrtz_f16_f32 v22, v51, v53
	v_cvt_pkrtz_f16_f32 v23, v42, v54
	s_nop 1
	v_mfma_f32_16x16x16f16 v[26:29], v[22:23], v[28:29], v[56:59]
	s_and_saveexec_b64 s[2:3], s[8:9]
	s_cbranch_execz .LBB575_353
; %bb.348:
	s_movk_i32 s8, 0x80
	v_cmp_ne_u16_sdwa s[10:11], v24, s8 src0_sel:BYTE_0 src1_sel:DWORD
	v_bfrev_b32_e32 v43, 1
	s_and_saveexec_b64 s[8:9], s[10:11]
	s_cbranch_execz .LBB575_352
; %bb.349:
	s_movk_i32 s10, 0x7f
	v_and_b32_e32 v22, 0x7f, v24
	v_cmp_ne_u32_e32 vcc, s10, v22
	v_mov_b32_e32 v43, 0x7f800001
	s_and_saveexec_b64 s[10:11], vcc
	s_cbranch_execz .LBB575_351
; %bb.350:
	v_and_b32_e32 v23, 7, v24
	v_ffbh_u32_e32 v42, v23
	v_min_u32_e32 v45, 32, v42
	v_subrev_u32_e32 v42, 28, v45
	v_lshlrev_b64 v[42:43], v42, v[24:25]
	v_lshrrev_b32_e32 v44, 3, v22
	v_sub_u32_e32 v43, 29, v45
	v_and_b32_e32 v42, 7, v42
	v_cmp_gt_u32_e32 vcc, 8, v22
	v_cndmask_b32_e32 v22, v44, v43, vcc
	v_cndmask_b32_e32 v23, v23, v42, vcc
	v_lshlrev_b32_e32 v42, 24, v24
	v_bfrev_b32_e32 v43, 60
	v_lshlrev_b32_e32 v23, 20, v23
	v_and_b32_e32 v42, 0x80000000, v42
	v_lshl_add_u32 v22, v22, 23, v43
	v_or3_b32 v43, v42, v22, v23
.LBB575_351:
	s_or_b64 exec, exec, s[10:11]
.LBB575_352:
	s_or_b64 exec, exec, s[8:9]
.LBB575_353:
	s_or_b64 exec, exec, s[2:3]
	v_lshrrev_b16_e32 v22, 8, v24
	v_cmp_ne_u16_e32 vcc, 0, v22
	v_mov_b32_e32 v23, 0
	v_mov_b32_e32 v44, 0
	s_and_saveexec_b64 s[2:3], vcc
	s_cbranch_execz .LBB575_359
; %bb.354:
	s_movk_i32 s8, 0x80
	v_cmp_ne_u16_e32 vcc, s8, v22
	v_bfrev_b32_e32 v44, 1
	s_and_saveexec_b64 s[8:9], vcc
	s_cbranch_execz .LBB575_358
; %bb.355:
	s_movk_i32 s10, 0x7f
	v_and_b32_e32 v42, 0x7f, v22
	v_cmp_ne_u32_e32 vcc, s10, v42
	v_mov_b32_e32 v44, 0x7f800001
	s_and_saveexec_b64 s[10:11], vcc
	s_cbranch_execz .LBB575_357
; %bb.356:
	v_and_b32_e32 v50, 7, v22
	v_ffbh_u32_e32 v44, v50
	v_min_u32_e32 v52, 32, v44
	v_subrev_u32_e32 v44, 28, v52
	v_lshlrev_b64 v[44:45], v44, v[22:23]
	v_lshrrev_b32_e32 v51, 3, v42
	v_sub_u32_e32 v22, 29, v52
	v_and_b32_e32 v44, 7, v44
	v_cmp_gt_u32_e32 vcc, 8, v42
	v_cndmask_b32_e32 v22, v51, v22, vcc
	v_cndmask_b32_e32 v42, v50, v44, vcc
	v_lshlrev_b32_e32 v44, 16, v24
	v_bfrev_b32_e32 v45, 60
	v_lshlrev_b32_e32 v42, 20, v42
	v_and_b32_e32 v44, 0x80000000, v44
	v_lshl_add_u32 v22, v22, 23, v45
	v_or3_b32 v44, v44, v22, v42
.LBB575_357:
	s_or_b64 exec, exec, s[10:11]
.LBB575_358:
	s_or_b64 exec, exec, s[8:9]
.LBB575_359:
	s_or_b64 exec, exec, s[2:3]
	s_movk_i32 s2, 0xff
	v_and_b32_sdwa v42, v24, s2 dst_sel:DWORD dst_unused:UNUSED_PAD src0_sel:WORD_1 src1_sel:DWORD
	v_lshrrev_b32_e32 v22, 16, v24
	v_cmp_ne_u16_e32 vcc, 0, v42
	s_and_saveexec_b64 s[2:3], vcc
	s_cbranch_execz .LBB575_365
; %bb.360:
	s_movk_i32 s8, 0x80
	v_cmp_ne_u16_e32 vcc, s8, v42
	v_bfrev_b32_e32 v23, 1
	s_and_saveexec_b64 s[8:9], vcc
	s_cbranch_execz .LBB575_364
; %bb.361:
	v_bfe_u32 v42, v24, 16, 7
	s_movk_i32 s10, 0x7f
	v_cmp_ne_u32_e32 vcc, s10, v42
	v_mov_b32_e32 v23, 0x7f800001
	s_and_saveexec_b64 s[10:11], vcc
	s_cbranch_execz .LBB575_363
; %bb.362:
	v_and_b32_e32 v45, 7, v22
	v_ffbh_u32_e32 v23, v45
	v_min_u32_e32 v51, 32, v23
	v_subrev_u32_e32 v23, 28, v51
	v_lshlrev_b64 v[22:23], v23, v[22:23]
	v_lshrrev_b32_e32 v50, 3, v42
	v_sub_u32_e32 v23, 29, v51
	v_and_b32_e32 v22, 7, v22
	v_cmp_gt_u32_e32 vcc, 8, v42
	v_mov_b32_e32 v42, 24
	v_cndmask_b32_e32 v23, v50, v23, vcc
	v_cndmask_b32_e32 v22, v45, v22, vcc
	v_lshlrev_b32_sdwa v42, v42, v24 dst_sel:DWORD dst_unused:UNUSED_PAD src0_sel:DWORD src1_sel:WORD_1
	v_bfrev_b32_e32 v45, 60
	v_lshlrev_b32_e32 v22, 20, v22
	v_and_b32_e32 v42, 0x80000000, v42
	v_lshl_add_u32 v23, v23, 23, v45
	v_or3_b32 v23, v42, v23, v22
.LBB575_363:
	s_or_b64 exec, exec, s[10:11]
.LBB575_364:
	s_or_b64 exec, exec, s[8:9]
.LBB575_365:
	s_or_b64 exec, exec, s[2:3]
	s_mov_b32 s2, 0xffffff
	v_cmp_lt_u32_e32 vcc, s2, v24
	v_mov_b32_e32 v45, 0
	v_mov_b32_e32 v50, 0
	s_and_saveexec_b64 s[2:3], vcc
	s_cbranch_execz .LBB575_371
; %bb.366:
	v_lshrrev_b32_e32 v22, 24, v24
	s_movk_i32 s8, 0x80
	v_cmp_ne_u32_e32 vcc, s8, v22
	v_bfrev_b32_e32 v50, 1
	s_and_saveexec_b64 s[8:9], vcc
	s_cbranch_execz .LBB575_370
; %bb.367:
	v_bfe_u32 v24, v24, 24, 7
	s_movk_i32 s10, 0x7f
	v_cmp_ne_u32_e32 vcc, s10, v24
	v_mov_b32_e32 v50, 0x7f800001
	s_and_saveexec_b64 s[10:11], vcc
	s_cbranch_execz .LBB575_369
; %bb.368:
	v_and_b32_e32 v42, 7, v22
	v_ffbh_u32_e32 v50, v42
	v_min_u32_e32 v53, 32, v50
	v_subrev_u32_e32 v50, 28, v53
	v_lshlrev_b64 v[50:51], v50, v[22:23]
	v_lshrrev_b32_e32 v52, 3, v24
	v_sub_u32_e32 v51, 29, v53
	v_and_b32_e32 v50, 7, v50
	v_cmp_gt_u32_e32 vcc, 8, v24
	v_cndmask_b32_e32 v24, v52, v51, vcc
	v_cndmask_b32_e32 v42, v42, v50, vcc
	v_lshlrev_b32_e32 v22, 24, v22
	v_bfrev_b32_e32 v50, 60
	v_lshlrev_b32_e32 v42, 20, v42
	v_and_b32_e32 v22, 0x80000000, v22
	v_lshl_add_u32 v24, v24, 23, v50
	v_or3_b32 v50, v22, v24, v42
.LBB575_369:
	s_or_b64 exec, exec, s[10:11]
.LBB575_370:
	s_or_b64 exec, exec, s[8:9]
.LBB575_371:
	s_or_b64 exec, exec, s[2:3]
	v_cmp_ne_u16_sdwa s[8:9], v25, v45 src0_sel:BYTE_0 src1_sel:DWORD
	s_and_saveexec_b64 s[2:3], s[8:9]
	s_cbranch_execz .LBB575_377
; %bb.372:
	s_movk_i32 s8, 0x80
	v_cmp_ne_u16_sdwa s[10:11], v25, s8 src0_sel:BYTE_0 src1_sel:DWORD
	v_bfrev_b32_e32 v45, 1
	s_and_saveexec_b64 s[8:9], s[10:11]
	s_cbranch_execz .LBB575_376
; %bb.373:
	s_movk_i32 s10, 0x7f
	v_and_b32_e32 v22, 0x7f, v25
	v_cmp_ne_u32_e32 vcc, s10, v22
	v_mov_b32_e32 v45, 0x7f800001
	s_and_saveexec_b64 s[10:11], vcc
	s_cbranch_execz .LBB575_375
; %bb.374:
	v_and_b32_e32 v42, 7, v25
	v_ffbh_u32_e32 v51, v42
	v_min_u32_e32 v51, 32, v51
	v_mov_b32_e32 v24, v25
	v_subrev_u32_e32 v52, 28, v51
	v_lshlrev_b64 v[52:53], v52, v[24:25]
	v_lshrrev_b32_e32 v45, 3, v22
	v_sub_u32_e32 v24, 29, v51
	v_and_b32_e32 v51, 7, v52
	v_cmp_gt_u32_e32 vcc, 8, v22
	v_cndmask_b32_e32 v22, v45, v24, vcc
	v_cndmask_b32_e32 v24, v42, v51, vcc
	v_lshlrev_b32_e32 v42, 24, v25
	v_bfrev_b32_e32 v45, 60
	v_lshlrev_b32_e32 v24, 20, v24
	v_and_b32_e32 v42, 0x80000000, v42
	v_lshl_add_u32 v22, v22, 23, v45
	v_or3_b32 v45, v42, v22, v24
.LBB575_375:
	s_or_b64 exec, exec, s[10:11]
.LBB575_376:
	s_or_b64 exec, exec, s[8:9]
.LBB575_377:
	s_or_b64 exec, exec, s[2:3]
	v_lshrrev_b16_e32 v22, 8, v25
	v_cmp_ne_u16_e32 vcc, 0, v22
	v_mov_b32_e32 v24, 0
	v_mov_b32_e32 v51, 0
	s_and_saveexec_b64 s[2:3], vcc
	s_cbranch_execz .LBB575_383
; %bb.378:
	s_movk_i32 s8, 0x80
	v_cmp_ne_u16_e32 vcc, s8, v22
	v_bfrev_b32_e32 v51, 1
	s_and_saveexec_b64 s[8:9], vcc
	s_cbranch_execz .LBB575_382
; %bb.379:
	s_movk_i32 s10, 0x7f
	v_and_b32_e32 v42, 0x7f, v22
	v_cmp_ne_u32_e32 vcc, s10, v42
	v_mov_b32_e32 v51, 0x7f800001
	s_and_saveexec_b64 s[10:11], vcc
	s_cbranch_execz .LBB575_381
; %bb.380:
	v_and_b32_e32 v51, 7, v22
	v_ffbh_u32_e32 v52, v51
	v_min_u32_e32 v55, 32, v52
	v_subrev_u32_e32 v52, 28, v55
	v_lshlrev_b64 v[52:53], v52, v[22:23]
	v_lshrrev_b32_e32 v54, 3, v42
	v_sub_u32_e32 v22, 29, v55
	v_and_b32_e32 v52, 7, v52
	v_cmp_gt_u32_e32 vcc, 8, v42
	v_cndmask_b32_e32 v22, v54, v22, vcc
	v_cndmask_b32_e32 v42, v51, v52, vcc
	v_lshlrev_b32_e32 v51, 16, v25
	v_bfrev_b32_e32 v52, 60
	v_lshlrev_b32_e32 v42, 20, v42
	v_and_b32_e32 v51, 0x80000000, v51
	v_lshl_add_u32 v22, v22, 23, v52
	v_or3_b32 v51, v51, v22, v42
.LBB575_381:
	s_or_b64 exec, exec, s[10:11]
.LBB575_382:
	s_or_b64 exec, exec, s[8:9]
.LBB575_383:
	s_or_b64 exec, exec, s[2:3]
	s_movk_i32 s2, 0xff
	v_and_b32_sdwa v42, v25, s2 dst_sel:DWORD dst_unused:UNUSED_PAD src0_sel:WORD_1 src1_sel:DWORD
	v_lshrrev_b32_e32 v22, 16, v25
	v_cmp_ne_u16_e32 vcc, 0, v42
	s_and_saveexec_b64 s[2:3], vcc
	s_cbranch_execz .LBB575_389
; %bb.384:
	s_movk_i32 s8, 0x80
	v_cmp_ne_u16_e32 vcc, s8, v42
	v_bfrev_b32_e32 v24, 1
	s_and_saveexec_b64 s[8:9], vcc
	s_cbranch_execz .LBB575_388
; %bb.385:
	v_bfe_u32 v42, v25, 16, 7
	s_movk_i32 s10, 0x7f
	v_cmp_ne_u32_e32 vcc, s10, v42
	v_mov_b32_e32 v24, 0x7f800001
	s_and_saveexec_b64 s[10:11], vcc
	s_cbranch_execz .LBB575_387
; %bb.386:
	v_and_b32_e32 v24, 7, v22
	v_ffbh_u32_e32 v52, v24
	v_min_u32_e32 v55, 32, v52
	v_subrev_u32_e32 v52, 28, v55
	v_lshlrev_b64 v[52:53], v52, v[22:23]
	v_lshrrev_b32_e32 v54, 3, v42
	v_sub_u32_e32 v22, 29, v55
	v_and_b32_e32 v52, 7, v52
	v_cmp_gt_u32_e32 vcc, 8, v42
	v_mov_b32_e32 v42, 24
	v_cndmask_b32_e32 v22, v54, v22, vcc
	v_cndmask_b32_e32 v24, v24, v52, vcc
	v_lshlrev_b32_sdwa v42, v42, v25 dst_sel:DWORD dst_unused:UNUSED_PAD src0_sel:DWORD src1_sel:WORD_1
	v_bfrev_b32_e32 v52, 60
	v_lshlrev_b32_e32 v24, 20, v24
	v_and_b32_e32 v42, 0x80000000, v42
	v_lshl_add_u32 v22, v22, 23, v52
	v_or3_b32 v24, v42, v22, v24
.LBB575_387:
	s_or_b64 exec, exec, s[10:11]
.LBB575_388:
	s_or_b64 exec, exec, s[8:9]
.LBB575_389:
	s_or_b64 exec, exec, s[2:3]
	s_mov_b32 s2, 0xffffff
	v_and_b32_e32 v42, 63, v0
	v_cmp_lt_u32_e32 vcc, s2, v25
	v_mov_b32_e32 v52, 0
	s_and_saveexec_b64 s[2:3], vcc
	s_cbranch_execz .LBB575_395
; %bb.390:
	v_lshrrev_b32_e32 v22, 24, v25
	s_movk_i32 s8, 0x80
	v_cmp_ne_u32_e32 vcc, s8, v22
	v_bfrev_b32_e32 v52, 1
	s_and_saveexec_b64 s[8:9], vcc
	s_cbranch_execz .LBB575_394
; %bb.391:
	v_bfe_u32 v25, v25, 24, 7
	s_movk_i32 s10, 0x7f
	v_cmp_ne_u32_e32 vcc, s10, v25
	v_mov_b32_e32 v52, 0x7f800001
	s_and_saveexec_b64 s[10:11], vcc
	s_cbranch_execz .LBB575_393
; %bb.392:
	v_and_b32_e32 v54, 7, v22
	v_ffbh_u32_e32 v52, v54
	v_min_u32_e32 v56, 32, v52
	v_subrev_u32_e32 v52, 28, v56
	v_lshlrev_b64 v[52:53], v52, v[22:23]
	v_lshrrev_b32_e32 v55, 3, v25
	v_sub_u32_e32 v53, 29, v56
	v_and_b32_e32 v52, 7, v52
	v_cmp_gt_u32_e32 vcc, 8, v25
	v_cndmask_b32_e32 v25, v55, v53, vcc
	v_cndmask_b32_e32 v52, v54, v52, vcc
	v_lshlrev_b32_e32 v22, 24, v22
	v_bfrev_b32_e32 v53, 60
	v_lshlrev_b32_e32 v52, 20, v52
	v_and_b32_e32 v22, 0x80000000, v22
	v_lshl_add_u32 v25, v25, 23, v53
	v_or3_b32 v52, v22, v25, v52
.LBB575_393:
	s_or_b64 exec, exec, s[10:11]
.LBB575_394:
	s_or_b64 exec, exec, s[8:9]
.LBB575_395:
	s_or_b64 exec, exec, s[2:3]
	v_cvt_pkrtz_f16_f32 v54, v43, v44
	v_cvt_pkrtz_f16_f32 v55, v23, v50
	s_load_dword s2, s[4:5], 0x1c
	s_mov_b32 s46, 0xff7fffff
	s_waitcnt lgkmcnt(0)
	v_mfma_f32_16x16x16f16 v[26:29], v[54:55], v[18:19], v[26:29]
	v_cvt_pkrtz_f16_f32 v18, v45, v51
	v_cvt_pkrtz_f16_f32 v19, v24, v52
	v_mov_b32_e32 v22, s2
	v_and_b32_e32 v24, 0xc0, v0
	v_mul_f32_e32 v44, s12, v22
	v_add_u32_e32 v24, s20, v24
	v_pk_mul_f32 v[22:23], v[44:45], v[36:37] op_sel_hi:[0,1]
	v_mfma_f32_16x16x16f16 v[18:21], v[18:19], v[20:21], v[26:29]
	v_pk_mul_f32 v[34:35], v[44:45], v[34:35] op_sel_hi:[0,1]
	v_pk_mul_f32 v[36:37], v[44:45], v[40:41] op_sel_hi:[0,1]
	;; [unrolled: 1-line block ×5, first 2 shown]
	v_lshl_or_b32 v43, v1, 2, v24
	v_mov_b32_e32 v45, 0xff7fffff
	s_nop 3
	v_pk_mul_f32 v[32:33], v[44:45], v[18:19] op_sel_hi:[0,1]
	v_or_b32_e32 v19, 1, v43
	v_cmp_gt_i32_e64 s[26:27], s33, v43
	v_cmp_gt_i32_e64 s[28:29], s33, v19
	v_cndmask_b32_e64 v18, v45, v30, s[26:27]
	v_cndmask_b32_e64 v19, v45, v31, s[28:29]
	v_pk_mul_f32 v[24:25], v[44:45], v[20:21] op_sel_hi:[0,1]
	v_max3_f32 v18, v18, s46, v19
	v_or_b32_e32 v19, 2, v43
	v_or_b32_e32 v20, 3, v43
	v_cmp_gt_i32_e64 s[30:31], s33, v19
	v_cmp_gt_i32_e64 s[34:35], s33, v20
	v_cndmask_b32_e64 v19, v45, v40, s[30:31]
	v_cndmask_b32_e64 v20, v45, v41, s[34:35]
	v_max3_f32 v18, v18, v19, v20
	v_or_b32_e32 v19, 16, v43
	v_or_b32_e32 v20, 17, v43
	v_cmp_gt_i32_e64 s[36:37], s33, v19
	v_cmp_gt_i32_e64 s[38:39], s33, v20
	v_cndmask_b32_e64 v19, v45, v38, s[36:37]
	v_cndmask_b32_e64 v20, v45, v39, s[38:39]
	;; [unrolled: 7-line block ×6, first 2 shown]
	v_max3_f32 v18, v18, v19, v20
	v_or_b32_e32 v19, 50, v43
	v_or_b32_e32 v20, 51, v43
	v_cmp_gt_i32_e32 vcc, s33, v19
	v_cmp_gt_i32_e64 s[2:3], s33, v20
	v_cndmask_b32_e32 v19, v45, v24, vcc
	v_cndmask_b32_e64 v20, v45, v25, s[2:3]
	v_max3_f32 v18, v18, v19, v20
	v_mbcnt_lo_u32_b32 v19, -1, 0
	v_mbcnt_hi_u32_b32 v19, -1, v19
	v_and_b32_e32 v20, 64, v19
	v_add_u32_e32 v20, 64, v20
	v_xor_b32_e32 v21, 32, v19
	v_cmp_lt_i32_e64 s[40:41], v21, v20
	v_cndmask_b32_e64 v21, v19, v21, s[40:41]
	v_lshlrev_b32_e32 v44, 2, v21
	ds_bpermute_b32 v21, v44, v18
	s_barrier
	s_waitcnt lgkmcnt(0)
	v_max_f32_e32 v21, v21, v21
	v_max_f32_e32 v18, v18, v21
	v_xor_b32_e32 v21, 16, v19
	v_cmp_lt_i32_e64 s[40:41], v21, v20
	v_cndmask_b32_e64 v19, v19, v21, s[40:41]
	v_lshlrev_b32_e32 v45, 2, v19
	ds_bpermute_b32 v19, v45, v18
	s_waitcnt lgkmcnt(0)
	v_max_f32_e32 v19, v19, v19
	v_max_f32_e32 v43, v18, v19
	v_sub_f32_e32 v21, v40, v43
	v_sub_f32_e32 v26, v41, v43
	v_mul_f32_e32 v21, 0x3fb8aa3b, v21
	v_mul_f32_e32 v26, 0x3fb8aa3b, v26
	v_sub_f32_e32 v18, v30, v43
	v_exp_f32_e32 v21, v21
	v_exp_f32_e32 v26, v26
	v_mul_f32_e32 v18, 0x3fb8aa3b, v18
	v_sub_f32_e32 v19, v31, v43
	v_exp_f32_e32 v18, v18
	v_mul_f32_e32 v19, 0x3fb8aa3b, v19
	v_exp_f32_e32 v19, v19
	v_cndmask_b32_e64 v28, 0, v21, s[30:31]
	v_cndmask_b32_e64 v29, 0, v26, s[34:35]
	v_sub_f32_e32 v21, v38, v43
	v_sub_f32_e32 v26, v39, v43
	v_mul_f32_e32 v21, 0x3fb8aa3b, v21
	v_mul_f32_e32 v26, 0x3fb8aa3b, v26
	v_cndmask_b32_e64 v18, 0, v18, s[26:27]
	v_exp_f32_e32 v21, v21
	v_exp_f32_e32 v26, v26
	v_add_f32_e32 v20, 0, v18
	v_cndmask_b32_e64 v19, 0, v19, s[28:29]
	v_add_f32_e32 v20, v20, v19
	v_add_f32_e32 v20, v20, v28
	;; [unrolled: 1-line block ×3, first 2 shown]
	v_cndmask_b32_e64 v20, 0, v21, s[36:37]
	v_cndmask_b32_e64 v21, 0, v26, s[38:39]
	v_sub_f32_e32 v26, v36, v43
	v_mul_f32_e32 v26, 0x3fb8aa3b, v26
	v_exp_f32_e32 v26, v26
	v_sub_f32_e32 v30, v37, v43
	v_add_f32_e32 v27, v27, v20
	v_mul_f32_e32 v30, 0x3fb8aa3b, v30
	v_exp_f32_e32 v31, v30
	v_add_f32_e32 v27, v27, v21
	v_cndmask_b32_e64 v30, 0, v26, s[20:21]
	v_add_f32_e32 v26, v27, v30
	v_sub_f32_e32 v27, v34, v43
	v_mul_f32_e32 v27, 0x3fb8aa3b, v27
	v_sub_f32_e32 v34, v35, v43
	v_exp_f32_e32 v27, v27
	v_mul_f32_e32 v34, 0x3fb8aa3b, v34
	v_sub_f32_e32 v22, v22, v43
	v_exp_f32_e32 v34, v34
	v_mul_f32_e32 v22, 0x3fb8aa3b, v22
	v_sub_f32_e32 v23, v23, v43
	v_exp_f32_e32 v22, v22
	v_mul_f32_e32 v23, 0x3fb8aa3b, v23
	v_cndmask_b32_e64 v31, 0, v31, s[22:23]
	v_exp_f32_e32 v23, v23
	v_add_f32_e32 v35, v26, v31
	v_cndmask_b32_e64 v26, 0, v27, s[16:17]
	v_add_f32_e32 v35, v35, v26
	v_cndmask_b32_e64 v27, 0, v34, s[18:19]
	;; [unrolled: 2-line block ×4, first 2 shown]
	v_sub_f32_e32 v23, v32, v43
	v_mul_f32_e32 v23, 0x3fb8aa3b, v23
	v_sub_f32_e32 v32, v33, v43
	v_exp_f32_e32 v23, v23
	v_mul_f32_e32 v32, 0x3fb8aa3b, v32
	v_sub_f32_e32 v24, v24, v43
	v_exp_f32_e32 v32, v32
	;; [unrolled: 3-line block ×3, first 2 shown]
	v_mul_f32_e32 v25, 0x3fb8aa3b, v25
	v_exp_f32_e32 v25, v25
	v_add_f32_e32 v33, v22, v35
	v_cndmask_b32_e64 v22, 0, v23, s[8:9]
	v_add_f32_e32 v33, v33, v22
	v_cndmask_b32_e64 v23, 0, v32, s[10:11]
	v_add_f32_e32 v32, v33, v23
	v_cndmask_b32_e32 v24, 0, v24, vcc
	v_add_f32_e32 v32, v32, v24
	v_cndmask_b32_e64 v25, 0, v25, s[2:3]
	v_add_f32_e32 v32, v32, v25
	ds_bpermute_b32 v33, v44, v32
	v_cmp_gt_u32_e32 vcc, 16, v42
	s_waitcnt lgkmcnt(0)
	v_add_f32_e32 v33, v32, v33
	ds_bpermute_b32 v36, v45, v33
	v_lshlrev_b32_e32 v32, 2, v49
	s_and_saveexec_b64 s[2:3], vcc
	s_cbranch_execz .LBB575_397
; %bb.396:
	s_waitcnt lgkmcnt(0)
	v_add_f32_e32 v33, v33, v36
	v_lshl_or_b32 v36, v48, 6, v32
	ds_write2st64_b32 v36, v43, v33 offset1:1
.LBB575_397:
	s_or_b64 exec, exec, s[2:3]
	s_waitcnt lgkmcnt(0)
	s_barrier
	ds_read2_b32 v[36:37], v32 offset1:16
	ds_read2_b32 v[38:39], v32 offset0:32 offset1:48
	ds_read2_b32 v[40:41], v32 offset0:64 offset1:80
	ds_read2_b32 v[44:45], v32 offset0:96 offset1:112
	s_waitcnt lgkmcnt(0)
	v_max3_f32 v33, v36, s46, v37
	v_max3_f32 v33, v33, v38, v39
	v_sub_f32_e32 v36, v36, v33
	v_mul_f32_e32 v36, 0x3fb8aa3b, v36
	v_exp_f32_e32 v43, v36
	v_sub_f32_e32 v36, v37, v33
	v_mul_f32_e32 v36, 0x3fb8aa3b, v36
	v_exp_f32_e32 v37, v36
	v_sub_f32_e32 v36, v38, v33
	v_mul_f32_e32 v36, 0x3fb8aa3b, v36
	v_sub_f32_e32 v32, v39, v33
	v_exp_f32_e32 v38, v36
	v_mul_f32_e32 v32, 0x3fb8aa3b, v32
	v_exp_f32_e32 v39, v32
	v_fma_f32 v36, v43, v40, 0
	v_fmac_f32_e32 v36, v37, v41
	v_fmac_f32_e32 v36, v38, v44
	;; [unrolled: 1-line block ×3, first 2 shown]
	v_add_f32_e32 v40, 0x358637bd, v36
	v_div_scale_f32 v41, s[2:3], v40, v40, 1.0
	v_rcp_f32_e32 v44, v41
	s_barrier
	s_lshl_b32 s12, s45, 1
	v_fma_f32 v45, -v41, v44, 1.0
	v_fmac_f32_e32 v44, v45, v44
	v_div_scale_f32 v45, vcc, 1.0, v40, 1.0
	v_mul_f32_e32 v50, v45, v44
	v_fma_f32 v51, -v41, v50, v45
	v_fmac_f32_e32 v50, v51, v44
	v_fma_f32 v41, -v41, v50, v45
	v_div_fmas_f32 v41, v41, v44, v50
	v_cmp_eq_u32_e32 vcc, 1, v48
	v_cndmask_b32_e32 v37, v43, v37, vcc
	v_cmp_eq_u32_e32 vcc, 2, v48
	v_cndmask_b32_e32 v37, v37, v38, vcc
	v_cmp_eq_u32_e32 vcc, 3, v48
	v_div_fixup_f32 v40, v41, v40, 1.0
	v_cndmask_b32_e32 v37, v37, v39, vcc
	v_mul_f32_e32 v38, v37, v40
	v_pk_mul_f32 v[28:29], v[38:39], v[28:29] op_sel_hi:[0,1]
	v_cvt_f16_f32_e32 v28, v28
	v_cvt_f16_f32_e32 v29, v29
	v_pk_mul_f32 v[18:19], v[38:39], v[18:19] op_sel_hi:[0,1]
	v_cvt_f16_f32_e32 v18, v18
	v_cvt_f16_f32_e32 v19, v19
	v_pack_b32_f16 v41, v28, v29
	v_pk_mul_f32 v[28:29], v[38:39], v[30:31] op_sel_hi:[0,1]
	v_pk_mul_f32 v[20:21], v[38:39], v[20:21] op_sel_hi:[0,1]
	v_cvt_f16_f32_e32 v20, v20
	v_cvt_f16_f32_e32 v21, v21
	;; [unrolled: 1-line block ×4, first 2 shown]
	v_pack_b32_f16 v40, v18, v19
	v_lshlrev_b32_e32 v18, 3, v1
	v_lshlrev_b32_e32 v19, 5, v49
	;; [unrolled: 1-line block ×3, first 2 shown]
	v_or3_b32 v28, v28, v19, v18
	v_pack_b32_f16 v20, v20, v21
	v_pack_b32_f16 v21, v30, v29
	ds_write2st64_b64 v28, v[40:41], v[20:21] offset1:1
	v_pk_mul_f32 v[20:21], v[38:39], v[34:35] op_sel_hi:[0,1]
	v_pk_mul_f32 v[26:27], v[38:39], v[26:27] op_sel_hi:[0,1]
	v_cvt_f16_f32_e32 v18, v26
	v_cvt_f16_f32_e32 v26, v27
	;; [unrolled: 1-line block ×4, first 2 shown]
	v_pk_mul_f32 v[20:21], v[38:39], v[24:25] op_sel_hi:[0,1]
	v_pk_mul_f32 v[22:23], v[38:39], v[22:23] op_sel_hi:[0,1]
	v_cvt_f16_f32_e32 v22, v22
	v_cvt_f16_f32_e32 v23, v23
	v_cvt_f16_f32_e32 v24, v20
	v_cvt_f16_f32_e32 v25, v21
	v_mov_b32_e32 v32, 0
	v_pack_b32_f16 v20, v18, v26
	v_pack_b32_f16 v21, v27, v29
	;; [unrolled: 1-line block ×4, first 2 shown]
	v_cmp_gt_u32_e32 vcc, 2, v0
	ds_write2st64_b64 v28, v[20:21], v[22:23] offset0:2 offset1:3
	s_and_saveexec_b64 s[2:3], vcc
	s_cbranch_execz .LBB575_399
; %bb.398:
	v_or_b32_e32 v20, s25, v0
	v_mov_b32_e32 v21, 0
	v_mov_b32_e32 v18, s12
	v_mad_u64_u32 v[22:23], s[14:15], s6, v18, v[20:21]
	v_mov_b32_e32 v20, s24
	s_load_dwordx4 s[8:11], s[4:5], 0x58
	s_mul_i32 s7, s7, s12
	v_mad_u64_u32 v[20:21], s[14:15], v22, s44, v[20:21]
	v_add_u32_e32 v23, s7, v23
	v_mov_b32_e32 v18, v21
	v_mad_u64_u32 v[22:23], s[14:15], v23, s44, v[18:19]
	v_mov_b32_e32 v21, v22
	v_lshlrev_b64 v[20:21], 2, v[20:21]
	s_waitcnt lgkmcnt(0)
	v_mov_b32_e32 v18, s11
	v_add_co_u32_e32 v22, vcc, s10, v20
	v_addc_co_u32_e32 v23, vcc, v18, v21, vcc
	v_mov_b32_e32 v18, s9
	v_add_co_u32_e32 v20, vcc, s8, v20
	v_addc_co_u32_e32 v21, vcc, v18, v21, vcc
	global_store_dword v[22:23], v33, off
	global_store_dword v[20:21], v36, off
.LBB575_399:
	s_or_b64 exec, exec, s[2:3]
	v_mov_b32_e32 v20, 0
	s_waitcnt vmcnt(3)
	v_cmp_ne_u16_sdwa s[8:9], v14, v20 src0_sel:BYTE_0 src1_sel:DWORD
	s_waitcnt lgkmcnt(0)
	s_barrier
	s_and_saveexec_b64 s[2:3], s[8:9]
	s_cbranch_execz .LBB575_405
; %bb.400:
	s_movk_i32 s7, 0x80
	v_cmp_ne_u16_sdwa s[10:11], v14, s7 src0_sel:BYTE_0 src1_sel:DWORD
	v_bfrev_b32_e32 v32, 1
	s_and_saveexec_b64 s[8:9], s[10:11]
	s_cbranch_execz .LBB575_404
; %bb.401:
	s_movk_i32 s7, 0x7f
	v_and_b32_e32 v18, 0x7f, v14
	v_cmp_ne_u32_e32 vcc, s7, v18
	v_mov_b32_e32 v32, 0x7f800001
	s_and_saveexec_b64 s[10:11], vcc
	s_cbranch_execz .LBB575_403
; %bb.402:
	v_and_b32_e32 v21, 7, v14
	v_ffbh_u32_e32 v22, v21
	v_min_u32_e32 v25, 32, v22
	v_subrev_u32_e32 v22, 28, v25
	v_lshlrev_b64 v[22:23], v22, v[14:15]
	v_lshrrev_b32_e32 v24, 3, v18
	v_sub_u32_e32 v23, 29, v25
	v_and_b32_e32 v22, 7, v22
	v_cmp_gt_u32_e32 vcc, 8, v18
	v_cndmask_b32_e32 v18, v24, v23, vcc
	v_cndmask_b32_e32 v21, v21, v22, vcc
	v_lshlrev_b32_e32 v22, 24, v14
	v_bfrev_b32_e32 v23, 60
	v_lshlrev_b32_e32 v21, 20, v21
	v_and_b32_e32 v22, 0x80000000, v22
	v_lshl_add_u32 v18, v18, 23, v23
	v_or3_b32 v32, v22, v18, v21
.LBB575_403:
	s_or_b64 exec, exec, s[10:11]
.LBB575_404:
	s_or_b64 exec, exec, s[8:9]
.LBB575_405:
	s_or_b64 exec, exec, s[2:3]
	v_lshrrev_b16_e32 v18, 8, v14
	v_cmp_ne_u16_e32 vcc, 0, v18
	v_mov_b32_e32 v21, 0
	s_and_saveexec_b64 s[2:3], vcc
	s_cbranch_execz .LBB575_411
; %bb.406:
	s_movk_i32 s7, 0x80
	v_cmp_ne_u16_e32 vcc, s7, v18
	v_bfrev_b32_e32 v21, 1
	s_and_saveexec_b64 s[8:9], vcc
	s_cbranch_execz .LBB575_410
; %bb.407:
	s_movk_i32 s7, 0x7f
	v_and_b32_e32 v22, 0x7f, v18
	v_cmp_ne_u32_e32 vcc, s7, v22
	v_mov_b32_e32 v21, 0x7f800001
	s_and_saveexec_b64 s[10:11], vcc
	s_cbranch_execz .LBB575_409
; %bb.408:
	v_and_b32_e32 v21, 7, v18
	v_ffbh_u32_e32 v24, v21
	v_min_u32_e32 v26, 32, v24
	v_subrev_u32_e32 v24, 28, v26
	v_lshlrev_b64 v[24:25], v24, v[18:19]
	v_lshrrev_b32_e32 v23, 3, v22
	v_sub_u32_e32 v18, 29, v26
	v_and_b32_e32 v24, 7, v24
	v_cmp_gt_u32_e32 vcc, 8, v22
	v_cndmask_b32_e32 v18, v23, v18, vcc
	v_cndmask_b32_e32 v21, v21, v24, vcc
	v_lshlrev_b32_e32 v22, 16, v14
	v_bfrev_b32_e32 v23, 60
	v_lshlrev_b32_e32 v21, 20, v21
	v_and_b32_e32 v22, 0x80000000, v22
	v_lshl_add_u32 v18, v18, 23, v23
	v_or3_b32 v21, v22, v18, v21
.LBB575_409:
	s_or_b64 exec, exec, s[10:11]
.LBB575_410:
	s_or_b64 exec, exec, s[8:9]
.LBB575_411:
	s_or_b64 exec, exec, s[2:3]
	s_movk_i32 s2, 0xff
	v_and_b32_sdwa v22, v14, s2 dst_sel:DWORD dst_unused:UNUSED_PAD src0_sel:WORD_1 src1_sel:DWORD
	v_lshrrev_b32_e32 v18, 16, v14
	v_cmp_ne_u16_e32 vcc, 0, v22
	s_and_saveexec_b64 s[2:3], vcc
	s_cbranch_execz .LBB575_417
; %bb.412:
	s_movk_i32 s7, 0x80
	v_cmp_ne_u16_e32 vcc, s7, v22
	v_bfrev_b32_e32 v20, 1
	s_and_saveexec_b64 s[8:9], vcc
	s_cbranch_execz .LBB575_416
; %bb.413:
	v_bfe_u32 v22, v14, 16, 7
	s_movk_i32 s7, 0x7f
	v_cmp_ne_u32_e32 vcc, s7, v22
	v_mov_b32_e32 v20, 0x7f800001
	s_and_saveexec_b64 s[10:11], vcc
	s_cbranch_execz .LBB575_415
; %bb.414:
	v_and_b32_e32 v20, 7, v18
	v_ffbh_u32_e32 v24, v20
	v_min_u32_e32 v26, 32, v24
	v_subrev_u32_e32 v24, 28, v26
	v_lshlrev_b64 v[24:25], v24, v[18:19]
	v_lshrrev_b32_e32 v23, 3, v22
	v_sub_u32_e32 v18, 29, v26
	v_and_b32_e32 v24, 7, v24
	v_cmp_gt_u32_e32 vcc, 8, v22
	v_mov_b32_e32 v22, 24
	v_cndmask_b32_e32 v18, v23, v18, vcc
	v_cndmask_b32_e32 v20, v20, v24, vcc
	v_lshlrev_b32_sdwa v22, v22, v14 dst_sel:DWORD dst_unused:UNUSED_PAD src0_sel:DWORD src1_sel:WORD_1
	v_bfrev_b32_e32 v23, 60
	v_lshlrev_b32_e32 v20, 20, v20
	v_and_b32_e32 v22, 0x80000000, v22
	v_lshl_add_u32 v18, v18, 23, v23
	v_or3_b32 v20, v22, v18, v20
.LBB575_415:
	s_or_b64 exec, exec, s[10:11]
.LBB575_416:
	s_or_b64 exec, exec, s[8:9]
.LBB575_417:
	s_or_b64 exec, exec, s[2:3]
	s_mov_b32 s2, 0xffffff
	v_cmp_lt_u32_e32 vcc, s2, v14
	v_mov_b32_e32 v24, 0
	v_mov_b32_e32 v22, 0
	s_and_saveexec_b64 s[2:3], vcc
	s_cbranch_execz .LBB575_423
; %bb.418:
	v_lshrrev_b32_e32 v18, 24, v14
	s_movk_i32 s7, 0x80
	v_cmp_ne_u32_e32 vcc, s7, v18
	v_bfrev_b32_e32 v22, 1
	s_and_saveexec_b64 s[8:9], vcc
	s_cbranch_execz .LBB575_422
; %bb.419:
	v_bfe_u32 v14, v14, 24, 7
	s_movk_i32 s7, 0x7f
	v_cmp_ne_u32_e32 vcc, s7, v14
	v_mov_b32_e32 v22, 0x7f800001
	s_and_saveexec_b64 s[10:11], vcc
	s_cbranch_execz .LBB575_421
; %bb.420:
	v_and_b32_e32 v25, 7, v18
	v_ffbh_u32_e32 v22, v25
	v_min_u32_e32 v27, 32, v22
	v_subrev_u32_e32 v22, 28, v27
	v_lshlrev_b64 v[22:23], v22, v[18:19]
	v_lshrrev_b32_e32 v26, 3, v14
	v_sub_u32_e32 v23, 29, v27
	v_and_b32_e32 v22, 7, v22
	v_cmp_gt_u32_e32 vcc, 8, v14
	v_cndmask_b32_e32 v14, v26, v23, vcc
	v_cndmask_b32_e32 v22, v25, v22, vcc
	v_lshlrev_b32_e32 v18, 24, v18
	v_bfrev_b32_e32 v23, 60
	v_lshlrev_b32_e32 v22, 20, v22
	v_and_b32_e32 v18, 0x80000000, v18
	v_lshl_add_u32 v14, v14, 23, v23
	v_or3_b32 v22, v18, v14, v22
.LBB575_421:
	s_or_b64 exec, exec, s[10:11]
.LBB575_422:
	s_or_b64 exec, exec, s[8:9]
.LBB575_423:
	s_or_b64 exec, exec, s[2:3]
	v_cmp_ne_u16_sdwa s[8:9], v15, v24 src0_sel:BYTE_0 src1_sel:DWORD
	s_and_saveexec_b64 s[2:3], s[8:9]
	s_cbranch_execz .LBB575_429
; %bb.424:
	s_movk_i32 s7, 0x80
	v_cmp_ne_u16_sdwa s[10:11], v15, s7 src0_sel:BYTE_0 src1_sel:DWORD
	v_bfrev_b32_e32 v24, 1
	s_and_saveexec_b64 s[8:9], s[10:11]
	s_cbranch_execz .LBB575_428
; %bb.425:
	s_movk_i32 s7, 0x7f
	v_and_b32_e32 v14, 0x7f, v15
	v_cmp_ne_u32_e32 vcc, s7, v14
	v_mov_b32_e32 v24, 0x7f800001
	s_and_saveexec_b64 s[10:11], vcc
	s_cbranch_execz .LBB575_427
; %bb.426:
	v_and_b32_e32 v23, 7, v15
	v_ffbh_u32_e32 v24, v23
	v_min_u32_e32 v27, 32, v24
	v_mov_b32_e32 v18, v15
	v_subrev_u32_e32 v24, 28, v27
	v_lshlrev_b64 v[24:25], v24, v[18:19]
	v_lshrrev_b32_e32 v26, 3, v14
	v_sub_u32_e32 v18, 29, v27
	v_and_b32_e32 v24, 7, v24
	v_cmp_gt_u32_e32 vcc, 8, v14
	v_cndmask_b32_e32 v14, v26, v18, vcc
	v_cndmask_b32_e32 v18, v23, v24, vcc
	v_lshlrev_b32_e32 v23, 24, v15
	v_bfrev_b32_e32 v24, 60
	v_lshlrev_b32_e32 v18, 20, v18
	v_and_b32_e32 v23, 0x80000000, v23
	v_lshl_add_u32 v14, v14, 23, v24
	v_or3_b32 v24, v23, v14, v18
.LBB575_427:
	s_or_b64 exec, exec, s[10:11]
.LBB575_428:
	s_or_b64 exec, exec, s[8:9]
.LBB575_429:
	s_or_b64 exec, exec, s[2:3]
	v_lshrrev_b16_e32 v14, 8, v15
	v_cmp_ne_u16_e32 vcc, 0, v14
	v_mov_b32_e32 v18, 0
	v_mov_b32_e32 v25, 0
	s_and_saveexec_b64 s[2:3], vcc
	s_cbranch_execz .LBB575_435
; %bb.430:
	s_movk_i32 s7, 0x80
	v_cmp_ne_u16_e32 vcc, s7, v14
	v_bfrev_b32_e32 v25, 1
	s_and_saveexec_b64 s[8:9], vcc
	s_cbranch_execz .LBB575_434
; %bb.431:
	s_movk_i32 s7, 0x7f
	v_and_b32_e32 v23, 0x7f, v14
	v_cmp_ne_u32_e32 vcc, s7, v23
	v_mov_b32_e32 v25, 0x7f800001
	s_and_saveexec_b64 s[10:11], vcc
	s_cbranch_execz .LBB575_433
; %bb.432:
	v_and_b32_e32 v25, 7, v14
	v_ffbh_u32_e32 v26, v25
	v_min_u32_e32 v30, 32, v26
	v_subrev_u32_e32 v26, 28, v30
	v_lshlrev_b64 v[26:27], v26, v[14:15]
	v_lshrrev_b32_e32 v29, 3, v23
	v_sub_u32_e32 v14, 29, v30
	v_and_b32_e32 v26, 7, v26
	v_cmp_gt_u32_e32 vcc, 8, v23
	v_cndmask_b32_e32 v14, v29, v14, vcc
	v_cndmask_b32_e32 v23, v25, v26, vcc
	v_lshlrev_b32_e32 v25, 16, v15
	v_bfrev_b32_e32 v26, 60
	v_lshlrev_b32_e32 v23, 20, v23
	v_and_b32_e32 v25, 0x80000000, v25
	v_lshl_add_u32 v14, v14, 23, v26
	v_or3_b32 v25, v25, v14, v23
.LBB575_433:
	s_or_b64 exec, exec, s[10:11]
.LBB575_434:
	s_or_b64 exec, exec, s[8:9]
.LBB575_435:
	s_or_b64 exec, exec, s[2:3]
	s_movk_i32 s2, 0xff
	v_and_b32_sdwa v23, v15, s2 dst_sel:DWORD dst_unused:UNUSED_PAD src0_sel:WORD_1 src1_sel:DWORD
	v_lshrrev_b32_e32 v14, 16, v15
	v_cmp_ne_u16_e32 vcc, 0, v23
	s_and_saveexec_b64 s[2:3], vcc
	s_cbranch_execz .LBB575_441
; %bb.436:
	s_movk_i32 s7, 0x80
	v_cmp_ne_u16_e32 vcc, s7, v23
	v_bfrev_b32_e32 v18, 1
	s_and_saveexec_b64 s[8:9], vcc
	s_cbranch_execz .LBB575_440
; %bb.437:
	v_bfe_u32 v23, v15, 16, 7
	s_movk_i32 s7, 0x7f
	v_cmp_ne_u32_e32 vcc, s7, v23
	v_mov_b32_e32 v18, 0x7f800001
	s_and_saveexec_b64 s[10:11], vcc
	s_cbranch_execz .LBB575_439
; %bb.438:
	v_and_b32_e32 v18, 7, v14
	v_ffbh_u32_e32 v26, v18
	v_min_u32_e32 v30, 32, v26
	v_subrev_u32_e32 v26, 28, v30
	v_lshlrev_b64 v[26:27], v26, v[14:15]
	v_lshrrev_b32_e32 v29, 3, v23
	v_sub_u32_e32 v14, 29, v30
	v_and_b32_e32 v26, 7, v26
	v_cmp_gt_u32_e32 vcc, 8, v23
	v_mov_b32_e32 v23, 24
	v_cndmask_b32_e32 v14, v29, v14, vcc
	v_cndmask_b32_e32 v18, v18, v26, vcc
	v_lshlrev_b32_sdwa v23, v23, v15 dst_sel:DWORD dst_unused:UNUSED_PAD src0_sel:DWORD src1_sel:WORD_1
	v_bfrev_b32_e32 v26, 60
	v_lshlrev_b32_e32 v18, 20, v18
	v_and_b32_e32 v23, 0x80000000, v23
	v_lshl_add_u32 v14, v14, 23, v26
	v_or3_b32 v18, v23, v14, v18
.LBB575_439:
	s_or_b64 exec, exec, s[10:11]
.LBB575_440:
	s_or_b64 exec, exec, s[8:9]
.LBB575_441:
	s_or_b64 exec, exec, s[2:3]
	s_mov_b32 s2, 0xffffff
	v_cmp_lt_u32_e32 vcc, s2, v15
	v_mov_b32_e32 v23, 0
	v_mov_b32_e32 v26, 0
	s_and_saveexec_b64 s[2:3], vcc
	s_cbranch_execz .LBB575_447
; %bb.442:
	v_lshrrev_b32_e32 v14, 24, v15
	s_movk_i32 s7, 0x80
	v_cmp_ne_u32_e32 vcc, s7, v14
	v_bfrev_b32_e32 v26, 1
	s_and_saveexec_b64 s[8:9], vcc
	s_cbranch_execz .LBB575_446
; %bb.443:
	v_bfe_u32 v15, v15, 24, 7
	s_movk_i32 s7, 0x7f
	v_cmp_ne_u32_e32 vcc, s7, v15
	v_mov_b32_e32 v26, 0x7f800001
	s_and_saveexec_b64 s[10:11], vcc
	s_cbranch_execz .LBB575_445
; %bb.444:
	v_and_b32_e32 v29, 7, v14
	v_ffbh_u32_e32 v26, v29
	v_min_u32_e32 v31, 32, v26
	v_subrev_u32_e32 v26, 28, v31
	v_lshlrev_b64 v[26:27], v26, v[14:15]
	v_lshrrev_b32_e32 v30, 3, v15
	v_sub_u32_e32 v27, 29, v31
	v_and_b32_e32 v26, 7, v26
	v_cmp_gt_u32_e32 vcc, 8, v15
	v_cndmask_b32_e32 v15, v30, v27, vcc
	v_cndmask_b32_e32 v26, v29, v26, vcc
	v_lshlrev_b32_e32 v14, 24, v14
	v_bfrev_b32_e32 v27, 60
	v_lshlrev_b32_e32 v26, 20, v26
	v_and_b32_e32 v14, 0x80000000, v14
	v_lshl_add_u32 v15, v15, 23, v27
	v_or3_b32 v26, v14, v15, v26
.LBB575_445:
	s_or_b64 exec, exec, s[10:11]
.LBB575_446:
	s_or_b64 exec, exec, s[8:9]
.LBB575_447:
	s_or_b64 exec, exec, s[2:3]
	v_cvt_pkrtz_f16_f32 v15, v20, v22
	v_lshl_or_b32 v22, v1, 9, v19
	v_cvt_pkrtz_f16_f32 v14, v32, v21
	ds_read_b128 v[30:33], v22
	v_cmp_ne_u16_sdwa s[8:9], v16, v23 src0_sel:BYTE_0 src1_sel:DWORD
	s_waitcnt lgkmcnt(0)
	v_mfma_f32_16x16x16f16 v[34:37], v[14:15], v[30:31], 0
	v_cvt_pkrtz_f16_f32 v14, v24, v25
	v_cvt_pkrtz_f16_f32 v15, v18, v26
	s_nop 1
	v_mfma_f32_16x16x16f16 v[18:21], v[14:15], v[32:33], v[34:37]
	s_and_saveexec_b64 s[2:3], s[8:9]
	s_cbranch_execz .LBB575_453
; %bb.448:
	s_movk_i32 s7, 0x80
	v_cmp_ne_u16_sdwa s[10:11], v16, s7 src0_sel:BYTE_0 src1_sel:DWORD
	v_bfrev_b32_e32 v23, 1
	s_and_saveexec_b64 s[8:9], s[10:11]
	s_cbranch_execz .LBB575_452
; %bb.449:
	s_movk_i32 s7, 0x7f
	v_and_b32_e32 v14, 0x7f, v16
	v_cmp_ne_u32_e32 vcc, s7, v14
	v_mov_b32_e32 v23, 0x7f800001
	s_and_saveexec_b64 s[10:11], vcc
	s_cbranch_execz .LBB575_451
; %bb.450:
	v_and_b32_e32 v15, 7, v16
	v_ffbh_u32_e32 v24, v15
	v_min_u32_e32 v26, 32, v24
	v_subrev_u32_e32 v24, 28, v26
	v_lshlrev_b64 v[24:25], v24, v[16:17]
	v_lshrrev_b32_e32 v23, 3, v14
	v_sub_u32_e32 v25, 29, v26
	v_and_b32_e32 v24, 7, v24
	v_cmp_gt_u32_e32 vcc, 8, v14
	v_cndmask_b32_e32 v14, v23, v25, vcc
	v_cndmask_b32_e32 v15, v15, v24, vcc
	v_lshlrev_b32_e32 v23, 24, v16
	v_bfrev_b32_e32 v24, 60
	v_lshlrev_b32_e32 v15, 20, v15
	v_and_b32_e32 v23, 0x80000000, v23
	v_lshl_add_u32 v14, v14, 23, v24
	v_or3_b32 v23, v23, v14, v15
.LBB575_451:
	s_or_b64 exec, exec, s[10:11]
.LBB575_452:
	s_or_b64 exec, exec, s[8:9]
.LBB575_453:
	s_or_b64 exec, exec, s[2:3]
	v_lshrrev_b16_e32 v14, 8, v16
	v_cmp_ne_u16_e32 vcc, 0, v14
	v_mov_b32_e32 v15, 0
	v_mov_b32_e32 v25, 0
	s_and_saveexec_b64 s[2:3], vcc
	s_cbranch_execz .LBB575_459
; %bb.454:
	s_movk_i32 s7, 0x80
	v_cmp_ne_u16_e32 vcc, s7, v14
	v_bfrev_b32_e32 v25, 1
	s_and_saveexec_b64 s[8:9], vcc
	s_cbranch_execz .LBB575_458
; %bb.455:
	s_movk_i32 s7, 0x7f
	v_and_b32_e32 v24, 0x7f, v14
	v_cmp_ne_u32_e32 vcc, s7, v24
	v_mov_b32_e32 v25, 0x7f800001
	s_and_saveexec_b64 s[10:11], vcc
	s_cbranch_execz .LBB575_457
; %bb.456:
	v_and_b32_e32 v25, 7, v14
	v_ffbh_u32_e32 v26, v25
	v_min_u32_e32 v30, 32, v26
	v_subrev_u32_e32 v26, 28, v30
	v_lshlrev_b64 v[26:27], v26, v[14:15]
	v_lshrrev_b32_e32 v29, 3, v24
	v_sub_u32_e32 v14, 29, v30
	v_and_b32_e32 v26, 7, v26
	v_cmp_gt_u32_e32 vcc, 8, v24
	v_cndmask_b32_e32 v14, v29, v14, vcc
	v_cndmask_b32_e32 v24, v25, v26, vcc
	v_lshlrev_b32_e32 v25, 16, v16
	v_bfrev_b32_e32 v26, 60
	v_lshlrev_b32_e32 v24, 20, v24
	v_and_b32_e32 v25, 0x80000000, v25
	v_lshl_add_u32 v14, v14, 23, v26
	v_or3_b32 v25, v25, v14, v24
.LBB575_457:
	s_or_b64 exec, exec, s[10:11]
.LBB575_458:
	s_or_b64 exec, exec, s[8:9]
.LBB575_459:
	s_or_b64 exec, exec, s[2:3]
	s_movk_i32 s2, 0xff
	v_and_b32_sdwa v24, v16, s2 dst_sel:DWORD dst_unused:UNUSED_PAD src0_sel:WORD_1 src1_sel:DWORD
	v_lshrrev_b32_e32 v14, 16, v16
	v_cmp_ne_u16_e32 vcc, 0, v24
	s_and_saveexec_b64 s[2:3], vcc
	s_cbranch_execz .LBB575_465
; %bb.460:
	s_movk_i32 s7, 0x80
	v_cmp_ne_u16_e32 vcc, s7, v24
	v_bfrev_b32_e32 v15, 1
	s_and_saveexec_b64 s[8:9], vcc
	s_cbranch_execz .LBB575_464
; %bb.461:
	v_bfe_u32 v24, v16, 16, 7
	s_movk_i32 s7, 0x7f
	v_cmp_ne_u32_e32 vcc, s7, v24
	v_mov_b32_e32 v15, 0x7f800001
	s_and_saveexec_b64 s[10:11], vcc
	s_cbranch_execz .LBB575_463
; %bb.462:
	v_and_b32_e32 v26, 7, v14
	v_ffbh_u32_e32 v15, v26
	v_min_u32_e32 v29, 32, v15
	v_subrev_u32_e32 v15, 28, v29
	v_lshlrev_b64 v[14:15], v15, v[14:15]
	v_lshrrev_b32_e32 v27, 3, v24
	v_sub_u32_e32 v15, 29, v29
	v_and_b32_e32 v14, 7, v14
	v_cmp_gt_u32_e32 vcc, 8, v24
	v_mov_b32_e32 v24, 24
	v_cndmask_b32_e32 v15, v27, v15, vcc
	v_cndmask_b32_e32 v14, v26, v14, vcc
	v_lshlrev_b32_sdwa v24, v24, v16 dst_sel:DWORD dst_unused:UNUSED_PAD src0_sel:DWORD src1_sel:WORD_1
	v_bfrev_b32_e32 v26, 60
	v_lshlrev_b32_e32 v14, 20, v14
	v_and_b32_e32 v24, 0x80000000, v24
	v_lshl_add_u32 v15, v15, 23, v26
	v_or3_b32 v15, v24, v15, v14
.LBB575_463:
	s_or_b64 exec, exec, s[10:11]
.LBB575_464:
	s_or_b64 exec, exec, s[8:9]
.LBB575_465:
	s_or_b64 exec, exec, s[2:3]
	s_mov_b32 s2, 0xffffff
	v_cmp_lt_u32_e32 vcc, s2, v16
	v_mov_b32_e32 v26, 0
	v_mov_b32_e32 v27, 0
	s_and_saveexec_b64 s[2:3], vcc
	s_cbranch_execz .LBB575_471
; %bb.466:
	v_lshrrev_b32_e32 v14, 24, v16
	s_movk_i32 s7, 0x80
	v_cmp_ne_u32_e32 vcc, s7, v14
	v_bfrev_b32_e32 v27, 1
	s_and_saveexec_b64 s[8:9], vcc
	s_cbranch_execz .LBB575_470
; %bb.467:
	v_bfe_u32 v16, v16, 24, 7
	s_movk_i32 s7, 0x7f
	v_cmp_ne_u32_e32 vcc, s7, v16
	v_mov_b32_e32 v27, 0x7f800001
	s_and_saveexec_b64 s[10:11], vcc
	s_cbranch_execz .LBB575_469
; %bb.468:
	v_and_b32_e32 v24, 7, v14
	v_ffbh_u32_e32 v29, v24
	v_min_u32_e32 v29, 32, v29
	v_subrev_u32_e32 v30, 28, v29
	v_lshlrev_b64 v[30:31], v30, v[14:15]
	v_lshrrev_b32_e32 v27, 3, v16
	v_sub_u32_e32 v29, 29, v29
	v_and_b32_e32 v30, 7, v30
	v_cmp_gt_u32_e32 vcc, 8, v16
	v_cndmask_b32_e32 v16, v27, v29, vcc
	v_cndmask_b32_e32 v24, v24, v30, vcc
	v_lshlrev_b32_e32 v14, 24, v14
	v_bfrev_b32_e32 v27, 60
	v_lshlrev_b32_e32 v24, 20, v24
	v_and_b32_e32 v14, 0x80000000, v14
	v_lshl_add_u32 v16, v16, 23, v27
	v_or3_b32 v27, v14, v16, v24
.LBB575_469:
	s_or_b64 exec, exec, s[10:11]
.LBB575_470:
	s_or_b64 exec, exec, s[8:9]
.LBB575_471:
	s_or_b64 exec, exec, s[2:3]
	v_cmp_ne_u16_sdwa s[8:9], v17, v26 src0_sel:BYTE_0 src1_sel:DWORD
	s_and_saveexec_b64 s[2:3], s[8:9]
	s_cbranch_execz .LBB575_477
; %bb.472:
	s_movk_i32 s7, 0x80
	v_cmp_ne_u16_sdwa s[10:11], v17, s7 src0_sel:BYTE_0 src1_sel:DWORD
	v_bfrev_b32_e32 v26, 1
	s_and_saveexec_b64 s[8:9], s[10:11]
	s_cbranch_execz .LBB575_476
; %bb.473:
	s_movk_i32 s7, 0x7f
	v_and_b32_e32 v14, 0x7f, v17
	v_cmp_ne_u32_e32 vcc, s7, v14
	v_mov_b32_e32 v26, 0x7f800001
	s_and_saveexec_b64 s[10:11], vcc
	s_cbranch_execz .LBB575_475
; %bb.474:
	v_and_b32_e32 v24, 7, v17
	v_ffbh_u32_e32 v29, v24
	v_min_u32_e32 v29, 32, v29
	v_mov_b32_e32 v16, v17
	v_subrev_u32_e32 v30, 28, v29
	v_lshlrev_b64 v[30:31], v30, v[16:17]
	v_lshrrev_b32_e32 v26, 3, v14
	v_sub_u32_e32 v16, 29, v29
	v_and_b32_e32 v29, 7, v30
	v_cmp_gt_u32_e32 vcc, 8, v14
	v_cndmask_b32_e32 v14, v26, v16, vcc
	v_cndmask_b32_e32 v16, v24, v29, vcc
	v_lshlrev_b32_e32 v24, 24, v17
	v_bfrev_b32_e32 v26, 60
	v_lshlrev_b32_e32 v16, 20, v16
	v_and_b32_e32 v24, 0x80000000, v24
	v_lshl_add_u32 v14, v14, 23, v26
	v_or3_b32 v26, v24, v14, v16
.LBB575_475:
	s_or_b64 exec, exec, s[10:11]
.LBB575_476:
	s_or_b64 exec, exec, s[8:9]
.LBB575_477:
	s_or_b64 exec, exec, s[2:3]
	v_lshrrev_b16_e32 v14, 8, v17
	v_cmp_ne_u16_e32 vcc, 0, v14
	v_mov_b32_e32 v16, 0
	v_mov_b32_e32 v29, 0
	s_and_saveexec_b64 s[2:3], vcc
	s_cbranch_execz .LBB575_483
; %bb.478:
	s_movk_i32 s7, 0x80
	v_cmp_ne_u16_e32 vcc, s7, v14
	v_bfrev_b32_e32 v29, 1
	s_and_saveexec_b64 s[8:9], vcc
	s_cbranch_execz .LBB575_482
; %bb.479:
	s_movk_i32 s7, 0x7f
	v_and_b32_e32 v24, 0x7f, v14
	v_cmp_ne_u32_e32 vcc, s7, v24
	v_mov_b32_e32 v29, 0x7f800001
	s_and_saveexec_b64 s[10:11], vcc
	s_cbranch_execz .LBB575_481
; %bb.480:
	v_and_b32_e32 v29, 7, v14
	v_ffbh_u32_e32 v30, v29
	v_min_u32_e32 v33, 32, v30
	v_subrev_u32_e32 v30, 28, v33
	v_lshlrev_b64 v[30:31], v30, v[14:15]
	v_lshrrev_b32_e32 v32, 3, v24
	v_sub_u32_e32 v14, 29, v33
	v_and_b32_e32 v30, 7, v30
	v_cmp_gt_u32_e32 vcc, 8, v24
	v_cndmask_b32_e32 v14, v32, v14, vcc
	v_cndmask_b32_e32 v24, v29, v30, vcc
	v_lshlrev_b32_e32 v29, 16, v17
	v_bfrev_b32_e32 v30, 60
	v_lshlrev_b32_e32 v24, 20, v24
	v_and_b32_e32 v29, 0x80000000, v29
	v_lshl_add_u32 v14, v14, 23, v30
	v_or3_b32 v29, v29, v14, v24
.LBB575_481:
	s_or_b64 exec, exec, s[10:11]
.LBB575_482:
	s_or_b64 exec, exec, s[8:9]
.LBB575_483:
	s_or_b64 exec, exec, s[2:3]
	s_movk_i32 s2, 0xff
	v_and_b32_sdwa v24, v17, s2 dst_sel:DWORD dst_unused:UNUSED_PAD src0_sel:WORD_1 src1_sel:DWORD
	v_lshrrev_b32_e32 v14, 16, v17
	v_cmp_ne_u16_e32 vcc, 0, v24
	s_and_saveexec_b64 s[2:3], vcc
	s_cbranch_execz .LBB575_489
; %bb.484:
	s_movk_i32 s7, 0x80
	v_cmp_ne_u16_e32 vcc, s7, v24
	v_bfrev_b32_e32 v16, 1
	s_and_saveexec_b64 s[8:9], vcc
	s_cbranch_execz .LBB575_488
; %bb.485:
	v_bfe_u32 v24, v17, 16, 7
	s_movk_i32 s7, 0x7f
	v_cmp_ne_u32_e32 vcc, s7, v24
	v_mov_b32_e32 v16, 0x7f800001
	s_and_saveexec_b64 s[10:11], vcc
	s_cbranch_execz .LBB575_487
; %bb.486:
	v_and_b32_e32 v16, 7, v14
	v_ffbh_u32_e32 v30, v16
	v_min_u32_e32 v33, 32, v30
	v_subrev_u32_e32 v30, 28, v33
	v_lshlrev_b64 v[30:31], v30, v[14:15]
	v_lshrrev_b32_e32 v32, 3, v24
	v_sub_u32_e32 v14, 29, v33
	v_and_b32_e32 v30, 7, v30
	v_cmp_gt_u32_e32 vcc, 8, v24
	v_mov_b32_e32 v24, 24
	v_cndmask_b32_e32 v14, v32, v14, vcc
	v_cndmask_b32_e32 v16, v16, v30, vcc
	v_lshlrev_b32_sdwa v24, v24, v17 dst_sel:DWORD dst_unused:UNUSED_PAD src0_sel:DWORD src1_sel:WORD_1
	v_bfrev_b32_e32 v30, 60
	v_lshlrev_b32_e32 v16, 20, v16
	v_and_b32_e32 v24, 0x80000000, v24
	v_lshl_add_u32 v14, v14, 23, v30
	v_or3_b32 v16, v24, v14, v16
.LBB575_487:
	s_or_b64 exec, exec, s[10:11]
.LBB575_488:
	s_or_b64 exec, exec, s[8:9]
.LBB575_489:
	s_or_b64 exec, exec, s[2:3]
	s_mov_b32 s2, 0xffffff
	v_cmp_lt_u32_e32 vcc, s2, v17
	v_mov_b32_e32 v24, 0
	v_mov_b32_e32 v30, 0
	s_and_saveexec_b64 s[2:3], vcc
	s_cbranch_execz .LBB575_495
; %bb.490:
	v_lshrrev_b32_e32 v14, 24, v17
	s_movk_i32 s7, 0x80
	v_cmp_ne_u32_e32 vcc, s7, v14
	v_bfrev_b32_e32 v30, 1
	s_and_saveexec_b64 s[8:9], vcc
	s_cbranch_execz .LBB575_494
; %bb.491:
	v_bfe_u32 v17, v17, 24, 7
	s_movk_i32 s7, 0x7f
	v_cmp_ne_u32_e32 vcc, s7, v17
	v_mov_b32_e32 v30, 0x7f800001
	s_and_saveexec_b64 s[10:11], vcc
	s_cbranch_execz .LBB575_493
; %bb.492:
	v_and_b32_e32 v32, 7, v14
	v_ffbh_u32_e32 v30, v32
	v_min_u32_e32 v34, 32, v30
	v_subrev_u32_e32 v30, 28, v34
	v_lshlrev_b64 v[30:31], v30, v[14:15]
	v_lshrrev_b32_e32 v33, 3, v17
	v_sub_u32_e32 v31, 29, v34
	v_and_b32_e32 v30, 7, v30
	v_cmp_gt_u32_e32 vcc, 8, v17
	v_cndmask_b32_e32 v17, v33, v31, vcc
	v_cndmask_b32_e32 v30, v32, v30, vcc
	v_lshlrev_b32_e32 v14, 24, v14
	v_bfrev_b32_e32 v31, 60
	v_lshlrev_b32_e32 v30, 20, v30
	v_and_b32_e32 v14, 0x80000000, v14
	v_lshl_add_u32 v17, v17, 23, v31
	v_or3_b32 v30, v14, v17, v30
.LBB575_493:
	s_or_b64 exec, exec, s[10:11]
.LBB575_494:
	s_or_b64 exec, exec, s[8:9]
.LBB575_495:
	s_or_b64 exec, exec, s[2:3]
	v_cvt_pkrtz_f16_f32 v14, v23, v25
	v_cvt_pkrtz_f16_f32 v15, v15, v27
	ds_read_b128 v[32:35], v22 offset:16
	s_waitcnt vmcnt(2)
	v_cmp_ne_u16_sdwa s[8:9], v10, v24 src0_sel:BYTE_0 src1_sel:DWORD
	s_waitcnt lgkmcnt(0)
	v_mfma_f32_16x16x16f16 v[18:21], v[14:15], v[32:33], v[18:21]
	v_cvt_pkrtz_f16_f32 v14, v26, v29
	v_cvt_pkrtz_f16_f32 v15, v16, v30
	s_nop 1
	v_mfma_f32_16x16x16f16 v[14:17], v[14:15], v[34:35], v[18:21]
	s_and_saveexec_b64 s[2:3], s[8:9]
	s_cbranch_execz .LBB575_501
; %bb.496:
	s_movk_i32 s7, 0x80
	v_cmp_ne_u16_sdwa s[10:11], v10, s7 src0_sel:BYTE_0 src1_sel:DWORD
	v_bfrev_b32_e32 v24, 1
	s_and_saveexec_b64 s[8:9], s[10:11]
	s_cbranch_execz .LBB575_500
; %bb.497:
	s_movk_i32 s7, 0x7f
	v_and_b32_e32 v18, 0x7f, v10
	v_cmp_ne_u32_e32 vcc, s7, v18
	v_mov_b32_e32 v24, 0x7f800001
	s_and_saveexec_b64 s[10:11], vcc
	s_cbranch_execz .LBB575_499
; %bb.498:
	v_and_b32_e32 v19, 7, v10
	v_ffbh_u32_e32 v20, v19
	v_min_u32_e32 v24, 32, v20
	v_subrev_u32_e32 v20, 28, v24
	v_lshlrev_b64 v[20:21], v20, v[10:11]
	v_lshrrev_b32_e32 v23, 3, v18
	v_sub_u32_e32 v21, 29, v24
	v_and_b32_e32 v20, 7, v20
	v_cmp_gt_u32_e32 vcc, 8, v18
	v_cndmask_b32_e32 v18, v23, v21, vcc
	v_cndmask_b32_e32 v19, v19, v20, vcc
	v_lshlrev_b32_e32 v20, 24, v10
	v_bfrev_b32_e32 v21, 60
	v_lshlrev_b32_e32 v19, 20, v19
	v_and_b32_e32 v20, 0x80000000, v20
	v_lshl_add_u32 v18, v18, 23, v21
	v_or3_b32 v24, v20, v18, v19
.LBB575_499:
	s_or_b64 exec, exec, s[10:11]
.LBB575_500:
	s_or_b64 exec, exec, s[8:9]
.LBB575_501:
	s_or_b64 exec, exec, s[2:3]
	s_nop 3
	v_lshrrev_b16_e32 v18, 8, v10
	v_cmp_ne_u16_e32 vcc, 0, v18
	v_mov_b32_e32 v19, 0
	v_mov_b32_e32 v20, 0
	s_and_saveexec_b64 s[2:3], vcc
	s_cbranch_execz .LBB575_507
; %bb.502:
	s_movk_i32 s7, 0x80
	v_cmp_ne_u16_e32 vcc, s7, v18
	v_bfrev_b32_e32 v20, 1
	s_and_saveexec_b64 s[8:9], vcc
	s_cbranch_execz .LBB575_506
; %bb.503:
	s_movk_i32 s7, 0x7f
	v_and_b32_e32 v21, 0x7f, v18
	v_cmp_ne_u32_e32 vcc, s7, v21
	v_mov_b32_e32 v20, 0x7f800001
	s_and_saveexec_b64 s[10:11], vcc
	s_cbranch_execz .LBB575_505
; %bb.504:
	v_and_b32_e32 v20, 7, v18
	v_ffbh_u32_e32 v25, v20
	v_min_u32_e32 v25, 32, v25
	v_subrev_u32_e32 v26, 28, v25
	v_lshlrev_b64 v[26:27], v26, v[18:19]
	v_lshrrev_b32_e32 v23, 3, v21
	v_sub_u32_e32 v18, 29, v25
	v_and_b32_e32 v25, 7, v26
	v_cmp_gt_u32_e32 vcc, 8, v21
	v_cndmask_b32_e32 v18, v23, v18, vcc
	v_cndmask_b32_e32 v20, v20, v25, vcc
	v_lshlrev_b32_e32 v21, 16, v10
	v_bfrev_b32_e32 v23, 60
	v_lshlrev_b32_e32 v20, 20, v20
	v_and_b32_e32 v21, 0x80000000, v21
	v_lshl_add_u32 v18, v18, 23, v23
	v_or3_b32 v20, v21, v18, v20
.LBB575_505:
	s_or_b64 exec, exec, s[10:11]
.LBB575_506:
	s_or_b64 exec, exec, s[8:9]
.LBB575_507:
	s_or_b64 exec, exec, s[2:3]
	s_movk_i32 s2, 0xff
	v_and_b32_sdwa v21, v10, s2 dst_sel:DWORD dst_unused:UNUSED_PAD src0_sel:WORD_1 src1_sel:DWORD
	v_lshrrev_b32_e32 v18, 16, v10
	v_cmp_ne_u16_e32 vcc, 0, v21
	s_and_saveexec_b64 s[2:3], vcc
	s_cbranch_execz .LBB575_513
; %bb.508:
	s_movk_i32 s7, 0x80
	v_cmp_ne_u16_e32 vcc, s7, v21
	v_bfrev_b32_e32 v19, 1
	s_and_saveexec_b64 s[8:9], vcc
	s_cbranch_execz .LBB575_512
; %bb.509:
	v_bfe_u32 v21, v10, 16, 7
	s_movk_i32 s7, 0x7f
	v_cmp_ne_u32_e32 vcc, s7, v21
	v_mov_b32_e32 v19, 0x7f800001
	s_and_saveexec_b64 s[10:11], vcc
	s_cbranch_execz .LBB575_511
; %bb.510:
	v_and_b32_e32 v23, 7, v18
	v_ffbh_u32_e32 v19, v23
	v_min_u32_e32 v26, 32, v19
	v_subrev_u32_e32 v19, 28, v26
	v_lshlrev_b64 v[18:19], v19, v[18:19]
	v_lshrrev_b32_e32 v25, 3, v21
	v_sub_u32_e32 v19, 29, v26
	v_and_b32_e32 v18, 7, v18
	v_cmp_gt_u32_e32 vcc, 8, v21
	v_mov_b32_e32 v21, 24
	v_cndmask_b32_e32 v19, v25, v19, vcc
	v_cndmask_b32_e32 v18, v23, v18, vcc
	v_lshlrev_b32_sdwa v21, v21, v10 dst_sel:DWORD dst_unused:UNUSED_PAD src0_sel:DWORD src1_sel:WORD_1
	v_bfrev_b32_e32 v23, 60
	v_lshlrev_b32_e32 v18, 20, v18
	v_and_b32_e32 v21, 0x80000000, v21
	v_lshl_add_u32 v19, v19, 23, v23
	v_or3_b32 v19, v21, v19, v18
.LBB575_511:
	s_or_b64 exec, exec, s[10:11]
.LBB575_512:
	s_or_b64 exec, exec, s[8:9]
.LBB575_513:
	s_or_b64 exec, exec, s[2:3]
	s_mov_b32 s2, 0xffffff
	v_cmp_lt_u32_e32 vcc, s2, v10
	v_mov_b32_e32 v21, 0
	v_mov_b32_e32 v23, 0
	s_and_saveexec_b64 s[2:3], vcc
	s_cbranch_execz .LBB575_519
; %bb.514:
	v_lshrrev_b32_e32 v18, 24, v10
	s_movk_i32 s7, 0x80
	v_cmp_ne_u32_e32 vcc, s7, v18
	v_bfrev_b32_e32 v23, 1
	s_and_saveexec_b64 s[8:9], vcc
	s_cbranch_execz .LBB575_518
; %bb.515:
	v_bfe_u32 v10, v10, 24, 7
	s_movk_i32 s7, 0x7f
	v_cmp_ne_u32_e32 vcc, s7, v10
	v_mov_b32_e32 v23, 0x7f800001
	s_and_saveexec_b64 s[10:11], vcc
	s_cbranch_execz .LBB575_517
; %bb.516:
	v_and_b32_e32 v23, 7, v18
	v_ffbh_u32_e32 v26, v23
	v_min_u32_e32 v29, 32, v26
	v_subrev_u32_e32 v26, 28, v29
	v_lshlrev_b64 v[26:27], v26, v[18:19]
	v_lshrrev_b32_e32 v25, 3, v10
	v_sub_u32_e32 v27, 29, v29
	v_and_b32_e32 v26, 7, v26
	v_cmp_gt_u32_e32 vcc, 8, v10
	v_cndmask_b32_e32 v10, v25, v27, vcc
	v_cndmask_b32_e32 v23, v23, v26, vcc
	v_lshlrev_b32_e32 v18, 24, v18
	v_bfrev_b32_e32 v25, 60
	v_lshlrev_b32_e32 v23, 20, v23
	v_and_b32_e32 v18, 0x80000000, v18
	v_lshl_add_u32 v10, v10, 23, v25
	v_or3_b32 v23, v18, v10, v23
.LBB575_517:
	s_or_b64 exec, exec, s[10:11]
.LBB575_518:
	s_or_b64 exec, exec, s[8:9]
.LBB575_519:
	s_or_b64 exec, exec, s[2:3]
	v_cmp_ne_u16_sdwa s[8:9], v11, v21 src0_sel:BYTE_0 src1_sel:DWORD
	s_and_saveexec_b64 s[2:3], s[8:9]
	s_cbranch_execz .LBB575_525
; %bb.520:
	s_movk_i32 s7, 0x80
	v_cmp_ne_u16_sdwa s[10:11], v11, s7 src0_sel:BYTE_0 src1_sel:DWORD
	v_bfrev_b32_e32 v21, 1
	s_and_saveexec_b64 s[8:9], s[10:11]
	s_cbranch_execz .LBB575_524
; %bb.521:
	s_movk_i32 s7, 0x7f
	v_and_b32_e32 v10, 0x7f, v11
	v_cmp_ne_u32_e32 vcc, s7, v10
	v_mov_b32_e32 v21, 0x7f800001
	s_and_saveexec_b64 s[10:11], vcc
	s_cbranch_execz .LBB575_523
; %bb.522:
	v_and_b32_e32 v21, 7, v11
	v_ffbh_u32_e32 v26, v21
	v_min_u32_e32 v29, 32, v26
	v_mov_b32_e32 v18, v11
	v_subrev_u32_e32 v26, 28, v29
	v_lshlrev_b64 v[26:27], v26, v[18:19]
	v_lshrrev_b32_e32 v25, 3, v10
	v_sub_u32_e32 v18, 29, v29
	v_and_b32_e32 v26, 7, v26
	v_cmp_gt_u32_e32 vcc, 8, v10
	v_cndmask_b32_e32 v10, v25, v18, vcc
	v_cndmask_b32_e32 v18, v21, v26, vcc
	v_lshlrev_b32_e32 v21, 24, v11
	v_bfrev_b32_e32 v25, 60
	v_lshlrev_b32_e32 v18, 20, v18
	v_and_b32_e32 v21, 0x80000000, v21
	v_lshl_add_u32 v10, v10, 23, v25
	v_or3_b32 v21, v21, v10, v18
.LBB575_523:
	s_or_b64 exec, exec, s[10:11]
.LBB575_524:
	s_or_b64 exec, exec, s[8:9]
.LBB575_525:
	s_or_b64 exec, exec, s[2:3]
	v_lshrrev_b16_e32 v10, 8, v11
	v_cmp_ne_u16_e32 vcc, 0, v10
	v_mov_b32_e32 v25, 0
	v_mov_b32_e32 v26, 0
	s_and_saveexec_b64 s[2:3], vcc
	s_cbranch_execz .LBB575_531
; %bb.526:
	s_movk_i32 s7, 0x80
	v_cmp_ne_u16_e32 vcc, s7, v10
	v_bfrev_b32_e32 v26, 1
	s_and_saveexec_b64 s[8:9], vcc
	s_cbranch_execz .LBB575_530
; %bb.527:
	s_movk_i32 s7, 0x7f
	v_and_b32_e32 v18, 0x7f, v10
	v_cmp_ne_u32_e32 vcc, s7, v18
	v_mov_b32_e32 v26, 0x7f800001
	s_and_saveexec_b64 s[10:11], vcc
	s_cbranch_execz .LBB575_529
; %bb.528:
	v_and_b32_e32 v29, 7, v10
	v_ffbh_u32_e32 v26, v29
	v_min_u32_e32 v31, 32, v26
	v_subrev_u32_e32 v26, 28, v31
	v_lshlrev_b64 v[26:27], v26, v[10:11]
	v_lshrrev_b32_e32 v30, 3, v18
	v_sub_u32_e32 v10, 29, v31
	v_and_b32_e32 v26, 7, v26
	v_cmp_gt_u32_e32 vcc, 8, v18
	v_cndmask_b32_e32 v10, v30, v10, vcc
	v_cndmask_b32_e32 v18, v29, v26, vcc
	v_lshlrev_b32_e32 v26, 16, v11
	v_bfrev_b32_e32 v27, 60
	v_lshlrev_b32_e32 v18, 20, v18
	v_and_b32_e32 v26, 0x80000000, v26
	v_lshl_add_u32 v10, v10, 23, v27
	v_or3_b32 v26, v26, v10, v18
.LBB575_529:
	s_or_b64 exec, exec, s[10:11]
.LBB575_530:
	s_or_b64 exec, exec, s[8:9]
.LBB575_531:
	s_or_b64 exec, exec, s[2:3]
	s_movk_i32 s2, 0xff
	v_and_b32_sdwa v18, v11, s2 dst_sel:DWORD dst_unused:UNUSED_PAD src0_sel:WORD_1 src1_sel:DWORD
	v_lshrrev_b32_e32 v10, 16, v11
	v_cmp_ne_u16_e32 vcc, 0, v18
	s_and_saveexec_b64 s[2:3], vcc
	s_cbranch_execz .LBB575_537
; %bb.532:
	s_movk_i32 s7, 0x80
	v_cmp_ne_u16_e32 vcc, s7, v18
	v_bfrev_b32_e32 v25, 1
	s_and_saveexec_b64 s[8:9], vcc
	s_cbranch_execz .LBB575_536
; %bb.533:
	v_bfe_u32 v18, v11, 16, 7
	s_movk_i32 s7, 0x7f
	v_cmp_ne_u32_e32 vcc, s7, v18
	v_mov_b32_e32 v25, 0x7f800001
	s_and_saveexec_b64 s[10:11], vcc
	s_cbranch_execz .LBB575_535
; %bb.534:
	v_and_b32_e32 v25, 7, v10
	v_ffbh_u32_e32 v29, v25
	v_min_u32_e32 v29, 32, v29
	v_subrev_u32_e32 v30, 28, v29
	v_lshlrev_b64 v[30:31], v30, v[10:11]
	v_sub_u32_e32 v10, 29, v29
	v_and_b32_e32 v29, 7, v30
	v_cmp_gt_u32_e32 vcc, 8, v18
	v_lshrrev_b32_e32 v27, 3, v18
	v_cndmask_b32_e32 v18, v25, v29, vcc
	v_mov_b32_e32 v25, 24
	v_cndmask_b32_e32 v10, v27, v10, vcc
	v_lshlrev_b32_sdwa v25, v25, v11 dst_sel:DWORD dst_unused:UNUSED_PAD src0_sel:DWORD src1_sel:WORD_1
	v_bfrev_b32_e32 v27, 60
	v_lshlrev_b32_e32 v18, 20, v18
	v_and_b32_e32 v25, 0x80000000, v25
	v_lshl_add_u32 v10, v10, 23, v27
	v_or3_b32 v25, v25, v10, v18
.LBB575_535:
	s_or_b64 exec, exec, s[10:11]
.LBB575_536:
	s_or_b64 exec, exec, s[8:9]
.LBB575_537:
	s_or_b64 exec, exec, s[2:3]
	s_mov_b32 s2, 0xffffff
	v_cmp_lt_u32_e32 vcc, s2, v11
	v_mov_b32_e32 v18, 0
	v_mov_b32_e32 v27, 0
	s_and_saveexec_b64 s[2:3], vcc
	s_cbranch_execz .LBB575_543
; %bb.538:
	v_lshrrev_b32_e32 v10, 24, v11
	s_movk_i32 s7, 0x80
	v_cmp_ne_u32_e32 vcc, s7, v10
	v_bfrev_b32_e32 v27, 1
	s_and_saveexec_b64 s[8:9], vcc
	s_cbranch_execz .LBB575_542
; %bb.539:
	v_bfe_u32 v11, v11, 24, 7
	s_movk_i32 s7, 0x7f
	v_cmp_ne_u32_e32 vcc, s7, v11
	v_mov_b32_e32 v27, 0x7f800001
	s_and_saveexec_b64 s[10:11], vcc
	s_cbranch_execz .LBB575_541
; %bb.540:
	v_and_b32_e32 v27, 7, v10
	v_ffbh_u32_e32 v30, v27
	v_min_u32_e32 v32, 32, v30
	v_subrev_u32_e32 v30, 28, v32
	v_lshlrev_b64 v[30:31], v30, v[10:11]
	v_lshrrev_b32_e32 v29, 3, v11
	v_sub_u32_e32 v31, 29, v32
	v_and_b32_e32 v30, 7, v30
	v_cmp_gt_u32_e32 vcc, 8, v11
	v_cndmask_b32_e32 v11, v29, v31, vcc
	v_cndmask_b32_e32 v27, v27, v30, vcc
	v_lshlrev_b32_e32 v10, 24, v10
	v_bfrev_b32_e32 v29, 60
	v_lshlrev_b32_e32 v27, 20, v27
	v_and_b32_e32 v10, 0x80000000, v10
	v_lshl_add_u32 v11, v11, 23, v29
	v_or3_b32 v27, v10, v11, v27
.LBB575_541:
	s_or_b64 exec, exec, s[10:11]
.LBB575_542:
	s_or_b64 exec, exec, s[8:9]
.LBB575_543:
	s_or_b64 exec, exec, s[2:3]
	v_cvt_pkrtz_f16_f32 v10, v24, v20
	v_cvt_pkrtz_f16_f32 v11, v19, v23
	ds_read_b128 v[30:33], v22 offset:2048
	v_cmp_ne_u16_sdwa s[8:9], v12, v18 src0_sel:BYTE_0 src1_sel:DWORD
	s_waitcnt lgkmcnt(0)
	v_mfma_f32_16x16x16f16 v[14:17], v[10:11], v[30:31], v[14:17]
	v_cvt_pkrtz_f16_f32 v10, v21, v26
	v_cvt_pkrtz_f16_f32 v11, v25, v27
	s_nop 1
	v_mfma_f32_16x16x16f16 v[14:17], v[10:11], v[32:33], v[14:17]
	s_and_saveexec_b64 s[2:3], s[8:9]
	s_cbranch_execz .LBB575_549
; %bb.544:
	s_movk_i32 s7, 0x80
	v_cmp_ne_u16_sdwa s[10:11], v12, s7 src0_sel:BYTE_0 src1_sel:DWORD
	v_bfrev_b32_e32 v18, 1
	s_and_saveexec_b64 s[8:9], s[10:11]
	s_cbranch_execz .LBB575_548
; %bb.545:
	s_movk_i32 s7, 0x7f
	v_and_b32_e32 v10, 0x7f, v12
	v_cmp_ne_u32_e32 vcc, s7, v10
	v_mov_b32_e32 v18, 0x7f800001
	s_and_saveexec_b64 s[10:11], vcc
	s_cbranch_execz .LBB575_547
; %bb.546:
	v_and_b32_e32 v11, 7, v12
	v_ffbh_u32_e32 v18, v11
	v_min_u32_e32 v21, 32, v18
	v_subrev_u32_e32 v18, 28, v21
	v_lshlrev_b64 v[18:19], v18, v[12:13]
	v_lshrrev_b32_e32 v20, 3, v10
	v_sub_u32_e32 v19, 29, v21
	v_and_b32_e32 v18, 7, v18
	v_cmp_gt_u32_e32 vcc, 8, v10
	v_cndmask_b32_e32 v10, v20, v19, vcc
	v_cndmask_b32_e32 v11, v11, v18, vcc
	v_lshlrev_b32_e32 v18, 24, v12
	v_bfrev_b32_e32 v19, 60
	v_lshlrev_b32_e32 v11, 20, v11
	v_and_b32_e32 v18, 0x80000000, v18
	v_lshl_add_u32 v10, v10, 23, v19
	v_or3_b32 v18, v18, v10, v11
.LBB575_547:
	s_or_b64 exec, exec, s[10:11]
.LBB575_548:
	s_or_b64 exec, exec, s[8:9]
.LBB575_549:
	s_or_b64 exec, exec, s[2:3]
	v_lshrrev_b16_e32 v10, 8, v12
	v_cmp_ne_u16_e32 vcc, 0, v10
	v_mov_b32_e32 v11, 0
	v_mov_b32_e32 v20, 0
	s_and_saveexec_b64 s[2:3], vcc
	s_cbranch_execz .LBB575_555
; %bb.550:
	s_movk_i32 s7, 0x80
	v_cmp_ne_u16_e32 vcc, s7, v10
	v_bfrev_b32_e32 v20, 1
	s_and_saveexec_b64 s[8:9], vcc
	s_cbranch_execz .LBB575_554
; %bb.551:
	s_movk_i32 s7, 0x7f
	v_and_b32_e32 v19, 0x7f, v10
	v_cmp_ne_u32_e32 vcc, s7, v19
	v_mov_b32_e32 v20, 0x7f800001
	s_and_saveexec_b64 s[10:11], vcc
	s_cbranch_execz .LBB575_553
; %bb.552:
	v_and_b32_e32 v23, 7, v10
	v_ffbh_u32_e32 v20, v23
	v_min_u32_e32 v25, 32, v20
	v_subrev_u32_e32 v20, 28, v25
	v_lshlrev_b64 v[20:21], v20, v[10:11]
	v_lshrrev_b32_e32 v24, 3, v19
	v_sub_u32_e32 v10, 29, v25
	v_and_b32_e32 v20, 7, v20
	v_cmp_gt_u32_e32 vcc, 8, v19
	v_cndmask_b32_e32 v10, v24, v10, vcc
	v_cndmask_b32_e32 v19, v23, v20, vcc
	v_lshlrev_b32_e32 v20, 16, v12
	v_bfrev_b32_e32 v21, 60
	v_lshlrev_b32_e32 v19, 20, v19
	v_and_b32_e32 v20, 0x80000000, v20
	v_lshl_add_u32 v10, v10, 23, v21
	v_or3_b32 v20, v20, v10, v19
.LBB575_553:
	s_or_b64 exec, exec, s[10:11]
.LBB575_554:
	s_or_b64 exec, exec, s[8:9]
.LBB575_555:
	s_or_b64 exec, exec, s[2:3]
	s_movk_i32 s2, 0xff
	v_and_b32_sdwa v19, v12, s2 dst_sel:DWORD dst_unused:UNUSED_PAD src0_sel:WORD_1 src1_sel:DWORD
	v_lshrrev_b32_e32 v10, 16, v12
	v_cmp_ne_u16_e32 vcc, 0, v19
	s_and_saveexec_b64 s[2:3], vcc
	s_cbranch_execz .LBB575_561
; %bb.556:
	s_movk_i32 s7, 0x80
	v_cmp_ne_u16_e32 vcc, s7, v19
	v_bfrev_b32_e32 v11, 1
	s_and_saveexec_b64 s[8:9], vcc
	s_cbranch_execz .LBB575_560
; %bb.557:
	v_bfe_u32 v19, v12, 16, 7
	s_movk_i32 s7, 0x7f
	v_cmp_ne_u32_e32 vcc, s7, v19
	v_mov_b32_e32 v11, 0x7f800001
	s_and_saveexec_b64 s[10:11], vcc
	s_cbranch_execz .LBB575_559
; %bb.558:
	v_and_b32_e32 v21, 7, v10
	v_ffbh_u32_e32 v11, v21
	v_min_u32_e32 v24, 32, v11
	v_subrev_u32_e32 v11, 28, v24
	v_lshlrev_b64 v[10:11], v11, v[10:11]
	v_lshrrev_b32_e32 v23, 3, v19
	v_sub_u32_e32 v11, 29, v24
	v_and_b32_e32 v10, 7, v10
	v_cmp_gt_u32_e32 vcc, 8, v19
	v_mov_b32_e32 v19, 24
	v_cndmask_b32_e32 v11, v23, v11, vcc
	v_cndmask_b32_e32 v10, v21, v10, vcc
	v_lshlrev_b32_sdwa v19, v19, v12 dst_sel:DWORD dst_unused:UNUSED_PAD src0_sel:DWORD src1_sel:WORD_1
	v_bfrev_b32_e32 v21, 60
	v_lshlrev_b32_e32 v10, 20, v10
	v_and_b32_e32 v19, 0x80000000, v19
	v_lshl_add_u32 v11, v11, 23, v21
	v_or3_b32 v11, v19, v11, v10
.LBB575_559:
	s_or_b64 exec, exec, s[10:11]
.LBB575_560:
	s_or_b64 exec, exec, s[8:9]
.LBB575_561:
	s_or_b64 exec, exec, s[2:3]
	s_mov_b32 s2, 0xffffff
	v_cmp_lt_u32_e32 vcc, s2, v12
	v_mov_b32_e32 v21, 0
	v_mov_b32_e32 v23, 0
	s_and_saveexec_b64 s[2:3], vcc
	s_cbranch_execz .LBB575_567
; %bb.562:
	v_lshrrev_b32_e32 v10, 24, v12
	s_movk_i32 s7, 0x80
	v_cmp_ne_u32_e32 vcc, s7, v10
	v_bfrev_b32_e32 v23, 1
	s_and_saveexec_b64 s[8:9], vcc
	s_cbranch_execz .LBB575_566
; %bb.563:
	v_bfe_u32 v12, v12, 24, 7
	s_movk_i32 s7, 0x7f
	v_cmp_ne_u32_e32 vcc, s7, v12
	v_mov_b32_e32 v23, 0x7f800001
	s_and_saveexec_b64 s[10:11], vcc
	s_cbranch_execz .LBB575_565
; %bb.564:
	v_and_b32_e32 v19, 7, v10
	v_ffbh_u32_e32 v24, v19
	v_min_u32_e32 v26, 32, v24
	v_subrev_u32_e32 v24, 28, v26
	v_lshlrev_b64 v[24:25], v24, v[10:11]
	v_lshrrev_b32_e32 v23, 3, v12
	v_sub_u32_e32 v25, 29, v26
	v_and_b32_e32 v24, 7, v24
	v_cmp_gt_u32_e32 vcc, 8, v12
	v_cndmask_b32_e32 v12, v23, v25, vcc
	v_cndmask_b32_e32 v19, v19, v24, vcc
	v_lshlrev_b32_e32 v10, 24, v10
	v_bfrev_b32_e32 v23, 60
	v_lshlrev_b32_e32 v19, 20, v19
	v_and_b32_e32 v10, 0x80000000, v10
	v_lshl_add_u32 v12, v12, 23, v23
	v_or3_b32 v23, v10, v12, v19
.LBB575_565:
	s_or_b64 exec, exec, s[10:11]
.LBB575_566:
	s_or_b64 exec, exec, s[8:9]
.LBB575_567:
	s_or_b64 exec, exec, s[2:3]
	v_cmp_ne_u16_sdwa s[8:9], v13, v21 src0_sel:BYTE_0 src1_sel:DWORD
	s_and_saveexec_b64 s[2:3], s[8:9]
	s_cbranch_execz .LBB575_573
; %bb.568:
	s_movk_i32 s7, 0x80
	v_cmp_ne_u16_sdwa s[10:11], v13, s7 src0_sel:BYTE_0 src1_sel:DWORD
	v_bfrev_b32_e32 v21, 1
	s_and_saveexec_b64 s[8:9], s[10:11]
	s_cbranch_execz .LBB575_572
; %bb.569:
	s_movk_i32 s7, 0x7f
	v_and_b32_e32 v10, 0x7f, v13
	v_cmp_ne_u32_e32 vcc, s7, v10
	v_mov_b32_e32 v21, 0x7f800001
	s_and_saveexec_b64 s[10:11], vcc
	s_cbranch_execz .LBB575_571
; %bb.570:
	v_and_b32_e32 v19, 7, v13
	v_ffbh_u32_e32 v24, v19
	v_min_u32_e32 v26, 32, v24
	v_mov_b32_e32 v12, v13
	v_subrev_u32_e32 v24, 28, v26
	v_lshlrev_b64 v[24:25], v24, v[12:13]
	v_lshrrev_b32_e32 v21, 3, v10
	v_sub_u32_e32 v12, 29, v26
	v_and_b32_e32 v24, 7, v24
	v_cmp_gt_u32_e32 vcc, 8, v10
	v_cndmask_b32_e32 v10, v21, v12, vcc
	v_cndmask_b32_e32 v12, v19, v24, vcc
	v_lshlrev_b32_e32 v19, 24, v13
	v_bfrev_b32_e32 v21, 60
	v_lshlrev_b32_e32 v12, 20, v12
	v_and_b32_e32 v19, 0x80000000, v19
	v_lshl_add_u32 v10, v10, 23, v21
	v_or3_b32 v21, v19, v10, v12
.LBB575_571:
	s_or_b64 exec, exec, s[10:11]
.LBB575_572:
	s_or_b64 exec, exec, s[8:9]
.LBB575_573:
	s_or_b64 exec, exec, s[2:3]
	v_lshrrev_b16_e32 v10, 8, v13
	v_cmp_ne_u16_e32 vcc, 0, v10
	v_mov_b32_e32 v12, 0
	v_mov_b32_e32 v24, 0
	s_and_saveexec_b64 s[2:3], vcc
	s_cbranch_execz .LBB575_579
; %bb.574:
	s_movk_i32 s7, 0x80
	v_cmp_ne_u16_e32 vcc, s7, v10
	v_bfrev_b32_e32 v24, 1
	s_and_saveexec_b64 s[8:9], vcc
	s_cbranch_execz .LBB575_578
; %bb.575:
	s_movk_i32 s7, 0x7f
	v_and_b32_e32 v19, 0x7f, v10
	v_cmp_ne_u32_e32 vcc, s7, v19
	v_mov_b32_e32 v24, 0x7f800001
	s_and_saveexec_b64 s[10:11], vcc
	s_cbranch_execz .LBB575_577
; %bb.576:
	v_and_b32_e32 v26, 7, v10
	v_ffbh_u32_e32 v24, v26
	v_min_u32_e32 v29, 32, v24
	v_subrev_u32_e32 v24, 28, v29
	v_lshlrev_b64 v[24:25], v24, v[10:11]
	v_lshrrev_b32_e32 v27, 3, v19
	v_sub_u32_e32 v10, 29, v29
	v_and_b32_e32 v24, 7, v24
	v_cmp_gt_u32_e32 vcc, 8, v19
	v_cndmask_b32_e32 v10, v27, v10, vcc
	v_cndmask_b32_e32 v19, v26, v24, vcc
	v_lshlrev_b32_e32 v24, 16, v13
	v_bfrev_b32_e32 v25, 60
	v_lshlrev_b32_e32 v19, 20, v19
	v_and_b32_e32 v24, 0x80000000, v24
	v_lshl_add_u32 v10, v10, 23, v25
	v_or3_b32 v24, v24, v10, v19
.LBB575_577:
	s_or_b64 exec, exec, s[10:11]
.LBB575_578:
	s_or_b64 exec, exec, s[8:9]
.LBB575_579:
	s_or_b64 exec, exec, s[2:3]
	s_movk_i32 s2, 0xff
	v_and_b32_sdwa v19, v13, s2 dst_sel:DWORD dst_unused:UNUSED_PAD src0_sel:WORD_1 src1_sel:DWORD
	v_lshrrev_b32_e32 v10, 16, v13
	v_cmp_ne_u16_e32 vcc, 0, v19
	s_and_saveexec_b64 s[2:3], vcc
	s_cbranch_execz .LBB575_585
; %bb.580:
	s_movk_i32 s7, 0x80
	v_cmp_ne_u16_e32 vcc, s7, v19
	v_bfrev_b32_e32 v12, 1
	s_and_saveexec_b64 s[8:9], vcc
	s_cbranch_execz .LBB575_584
; %bb.581:
	v_bfe_u32 v19, v13, 16, 7
	s_movk_i32 s7, 0x7f
	v_cmp_ne_u32_e32 vcc, s7, v19
	v_mov_b32_e32 v12, 0x7f800001
	s_and_saveexec_b64 s[10:11], vcc
	s_cbranch_execz .LBB575_583
; %bb.582:
	v_and_b32_e32 v12, 7, v10
	v_ffbh_u32_e32 v26, v12
	v_min_u32_e32 v29, 32, v26
	v_subrev_u32_e32 v26, 28, v29
	v_lshlrev_b64 v[26:27], v26, v[10:11]
	v_lshrrev_b32_e32 v25, 3, v19
	v_sub_u32_e32 v10, 29, v29
	v_and_b32_e32 v26, 7, v26
	v_cmp_gt_u32_e32 vcc, 8, v19
	v_mov_b32_e32 v19, 24
	v_cndmask_b32_e32 v10, v25, v10, vcc
	v_cndmask_b32_e32 v12, v12, v26, vcc
	v_lshlrev_b32_sdwa v19, v19, v13 dst_sel:DWORD dst_unused:UNUSED_PAD src0_sel:DWORD src1_sel:WORD_1
	v_bfrev_b32_e32 v25, 60
	v_lshlrev_b32_e32 v12, 20, v12
	v_and_b32_e32 v19, 0x80000000, v19
	v_lshl_add_u32 v10, v10, 23, v25
	v_or3_b32 v12, v19, v10, v12
.LBB575_583:
	s_or_b64 exec, exec, s[10:11]
.LBB575_584:
	s_or_b64 exec, exec, s[8:9]
.LBB575_585:
	s_or_b64 exec, exec, s[2:3]
	s_mov_b32 s2, 0xffffff
	v_cmp_lt_u32_e32 vcc, s2, v13
	v_mov_b32_e32 v19, 0
	v_mov_b32_e32 v25, 0
	s_and_saveexec_b64 s[2:3], vcc
	s_cbranch_execz .LBB575_591
; %bb.586:
	v_lshrrev_b32_e32 v10, 24, v13
	s_movk_i32 s7, 0x80
	v_cmp_ne_u32_e32 vcc, s7, v10
	v_bfrev_b32_e32 v25, 1
	s_and_saveexec_b64 s[8:9], vcc
	s_cbranch_execz .LBB575_590
; %bb.587:
	v_bfe_u32 v13, v13, 24, 7
	s_movk_i32 s7, 0x7f
	v_cmp_ne_u32_e32 vcc, s7, v13
	v_mov_b32_e32 v25, 0x7f800001
	s_and_saveexec_b64 s[10:11], vcc
	s_cbranch_execz .LBB575_589
; %bb.588:
	v_and_b32_e32 v25, 7, v10
	v_ffbh_u32_e32 v26, v25
	v_min_u32_e32 v30, 32, v26
	v_subrev_u32_e32 v26, 28, v30
	v_lshlrev_b64 v[26:27], v26, v[10:11]
	v_lshrrev_b32_e32 v29, 3, v13
	v_sub_u32_e32 v27, 29, v30
	v_and_b32_e32 v26, 7, v26
	v_cmp_gt_u32_e32 vcc, 8, v13
	v_cndmask_b32_e32 v13, v29, v27, vcc
	v_cndmask_b32_e32 v25, v25, v26, vcc
	v_lshlrev_b32_e32 v10, 24, v10
	v_bfrev_b32_e32 v26, 60
	v_lshlrev_b32_e32 v25, 20, v25
	v_and_b32_e32 v10, 0x80000000, v10
	v_lshl_add_u32 v13, v13, 23, v26
	v_or3_b32 v25, v10, v13, v25
.LBB575_589:
	s_or_b64 exec, exec, s[10:11]
.LBB575_590:
	s_or_b64 exec, exec, s[8:9]
.LBB575_591:
	s_or_b64 exec, exec, s[2:3]
	v_cvt_pkrtz_f16_f32 v10, v18, v20
	v_cvt_pkrtz_f16_f32 v11, v11, v23
	ds_read_b128 v[30:33], v22 offset:2064
	s_waitcnt vmcnt(1)
	v_cmp_ne_u16_sdwa s[8:9], v6, v19 src0_sel:BYTE_0 src1_sel:DWORD
	s_waitcnt lgkmcnt(0)
	v_mfma_f32_16x16x16f16 v[14:17], v[10:11], v[30:31], v[14:17]
	v_cvt_pkrtz_f16_f32 v10, v21, v24
	v_cvt_pkrtz_f16_f32 v11, v12, v25
	s_nop 1
	v_mfma_f32_16x16x16f16 v[10:13], v[10:11], v[32:33], v[14:17]
	s_and_saveexec_b64 s[2:3], s[8:9]
	s_cbranch_execz .LBB575_597
; %bb.592:
	s_movk_i32 s7, 0x80
	v_cmp_ne_u16_sdwa s[10:11], v6, s7 src0_sel:BYTE_0 src1_sel:DWORD
	v_bfrev_b32_e32 v19, 1
	s_and_saveexec_b64 s[8:9], s[10:11]
	s_cbranch_execz .LBB575_596
; %bb.593:
	s_movk_i32 s7, 0x7f
	v_and_b32_e32 v14, 0x7f, v6
	v_cmp_ne_u32_e32 vcc, s7, v14
	v_mov_b32_e32 v19, 0x7f800001
	s_and_saveexec_b64 s[10:11], vcc
	s_cbranch_execz .LBB575_595
; %bb.594:
	v_and_b32_e32 v15, 7, v6
	v_ffbh_u32_e32 v16, v15
	v_min_u32_e32 v19, 32, v16
	v_subrev_u32_e32 v16, 28, v19
	v_lshlrev_b64 v[16:17], v16, v[6:7]
	v_lshrrev_b32_e32 v18, 3, v14
	v_sub_u32_e32 v17, 29, v19
	v_and_b32_e32 v16, 7, v16
	v_cmp_gt_u32_e32 vcc, 8, v14
	v_cndmask_b32_e32 v14, v18, v17, vcc
	v_cndmask_b32_e32 v15, v15, v16, vcc
	v_lshlrev_b32_e32 v16, 24, v6
	v_bfrev_b32_e32 v17, 60
	v_lshlrev_b32_e32 v15, 20, v15
	v_and_b32_e32 v16, 0x80000000, v16
	v_lshl_add_u32 v14, v14, 23, v17
	v_or3_b32 v19, v16, v14, v15
.LBB575_595:
	s_or_b64 exec, exec, s[10:11]
.LBB575_596:
	s_or_b64 exec, exec, s[8:9]
.LBB575_597:
	s_or_b64 exec, exec, s[2:3]
	s_nop 3
	v_lshrrev_b16_e32 v14, 8, v6
	v_cmp_ne_u16_e32 vcc, 0, v14
	v_mov_b32_e32 v15, 0
	v_mov_b32_e32 v16, 0
	s_and_saveexec_b64 s[2:3], vcc
	s_cbranch_execz .LBB575_603
; %bb.598:
	s_movk_i32 s7, 0x80
	v_cmp_ne_u16_e32 vcc, s7, v14
	v_bfrev_b32_e32 v16, 1
	s_and_saveexec_b64 s[8:9], vcc
	s_cbranch_execz .LBB575_602
; %bb.599:
	s_movk_i32 s7, 0x7f
	v_and_b32_e32 v17, 0x7f, v14
	v_cmp_ne_u32_e32 vcc, s7, v17
	v_mov_b32_e32 v16, 0x7f800001
	s_and_saveexec_b64 s[10:11], vcc
	s_cbranch_execz .LBB575_601
; %bb.600:
	v_and_b32_e32 v16, 7, v14
	v_ffbh_u32_e32 v20, v16
	v_min_u32_e32 v23, 32, v20
	v_subrev_u32_e32 v20, 28, v23
	v_lshlrev_b64 v[20:21], v20, v[14:15]
	v_lshrrev_b32_e32 v18, 3, v17
	v_sub_u32_e32 v14, 29, v23
	v_and_b32_e32 v20, 7, v20
	v_cmp_gt_u32_e32 vcc, 8, v17
	v_cndmask_b32_e32 v14, v18, v14, vcc
	v_cndmask_b32_e32 v16, v16, v20, vcc
	v_lshlrev_b32_e32 v17, 16, v6
	v_bfrev_b32_e32 v18, 60
	v_lshlrev_b32_e32 v16, 20, v16
	v_and_b32_e32 v17, 0x80000000, v17
	v_lshl_add_u32 v14, v14, 23, v18
	v_or3_b32 v16, v17, v14, v16
.LBB575_601:
	s_or_b64 exec, exec, s[10:11]
.LBB575_602:
	s_or_b64 exec, exec, s[8:9]
.LBB575_603:
	s_or_b64 exec, exec, s[2:3]
	s_movk_i32 s2, 0xff
	v_and_b32_sdwa v17, v6, s2 dst_sel:DWORD dst_unused:UNUSED_PAD src0_sel:WORD_1 src1_sel:DWORD
	v_lshrrev_b32_e32 v14, 16, v6
	v_cmp_ne_u16_e32 vcc, 0, v17
	s_and_saveexec_b64 s[2:3], vcc
	s_cbranch_execz .LBB575_609
; %bb.604:
	s_movk_i32 s7, 0x80
	v_cmp_ne_u16_e32 vcc, s7, v17
	v_bfrev_b32_e32 v15, 1
	s_and_saveexec_b64 s[8:9], vcc
	s_cbranch_execz .LBB575_608
; %bb.605:
	v_bfe_u32 v17, v6, 16, 7
	s_movk_i32 s7, 0x7f
	v_cmp_ne_u32_e32 vcc, s7, v17
	v_mov_b32_e32 v15, 0x7f800001
	s_and_saveexec_b64 s[10:11], vcc
	s_cbranch_execz .LBB575_607
; %bb.606:
	v_and_b32_e32 v18, 7, v14
	v_ffbh_u32_e32 v15, v18
	v_min_u32_e32 v21, 32, v15
	v_subrev_u32_e32 v15, 28, v21
	v_lshlrev_b64 v[14:15], v15, v[14:15]
	v_lshrrev_b32_e32 v20, 3, v17
	v_sub_u32_e32 v15, 29, v21
	v_and_b32_e32 v14, 7, v14
	v_cmp_gt_u32_e32 vcc, 8, v17
	v_mov_b32_e32 v17, 24
	v_cndmask_b32_e32 v15, v20, v15, vcc
	v_cndmask_b32_e32 v14, v18, v14, vcc
	v_lshlrev_b32_sdwa v17, v17, v6 dst_sel:DWORD dst_unused:UNUSED_PAD src0_sel:DWORD src1_sel:WORD_1
	v_bfrev_b32_e32 v18, 60
	v_lshlrev_b32_e32 v14, 20, v14
	v_and_b32_e32 v17, 0x80000000, v17
	v_lshl_add_u32 v15, v15, 23, v18
	v_or3_b32 v15, v17, v15, v14
.LBB575_607:
	s_or_b64 exec, exec, s[10:11]
.LBB575_608:
	s_or_b64 exec, exec, s[8:9]
.LBB575_609:
	s_or_b64 exec, exec, s[2:3]
	s_mov_b32 s2, 0xffffff
	v_cmp_lt_u32_e32 vcc, s2, v6
	v_mov_b32_e32 v17, 0
	v_mov_b32_e32 v18, 0
	s_and_saveexec_b64 s[2:3], vcc
	s_cbranch_execz .LBB575_615
; %bb.610:
	v_lshrrev_b32_e32 v14, 24, v6
	s_movk_i32 s7, 0x80
	v_cmp_ne_u32_e32 vcc, s7, v14
	v_bfrev_b32_e32 v18, 1
	s_and_saveexec_b64 s[8:9], vcc
	s_cbranch_execz .LBB575_614
; %bb.611:
	v_bfe_u32 v6, v6, 24, 7
	s_movk_i32 s7, 0x7f
	v_cmp_ne_u32_e32 vcc, s7, v6
	v_mov_b32_e32 v18, 0x7f800001
	s_and_saveexec_b64 s[10:11], vcc
	s_cbranch_execz .LBB575_613
; %bb.612:
	v_and_b32_e32 v18, 7, v14
	v_ffbh_u32_e32 v20, v18
	v_min_u32_e32 v24, 32, v20
	v_subrev_u32_e32 v20, 28, v24
	v_lshlrev_b64 v[20:21], v20, v[14:15]
	v_lshrrev_b32_e32 v23, 3, v6
	v_sub_u32_e32 v21, 29, v24
	v_and_b32_e32 v20, 7, v20
	v_cmp_gt_u32_e32 vcc, 8, v6
	v_cndmask_b32_e32 v6, v23, v21, vcc
	v_cndmask_b32_e32 v18, v18, v20, vcc
	v_lshlrev_b32_e32 v14, 24, v14
	v_bfrev_b32_e32 v20, 60
	v_lshlrev_b32_e32 v18, 20, v18
	v_and_b32_e32 v14, 0x80000000, v14
	v_lshl_add_u32 v6, v6, 23, v20
	v_or3_b32 v18, v14, v6, v18
.LBB575_613:
	s_or_b64 exec, exec, s[10:11]
.LBB575_614:
	s_or_b64 exec, exec, s[8:9]
.LBB575_615:
	s_or_b64 exec, exec, s[2:3]
	v_cmp_ne_u16_sdwa s[8:9], v7, v17 src0_sel:BYTE_0 src1_sel:DWORD
	s_and_saveexec_b64 s[2:3], s[8:9]
	s_cbranch_execz .LBB575_621
; %bb.616:
	s_movk_i32 s7, 0x80
	v_cmp_ne_u16_sdwa s[10:11], v7, s7 src0_sel:BYTE_0 src1_sel:DWORD
	v_bfrev_b32_e32 v17, 1
	s_and_saveexec_b64 s[8:9], s[10:11]
	s_cbranch_execz .LBB575_620
; %bb.617:
	s_movk_i32 s7, 0x7f
	v_and_b32_e32 v6, 0x7f, v7
	v_cmp_ne_u32_e32 vcc, s7, v6
	v_mov_b32_e32 v17, 0x7f800001
	s_and_saveexec_b64 s[10:11], vcc
	s_cbranch_execz .LBB575_619
; %bb.618:
	v_and_b32_e32 v17, 7, v7
	v_ffbh_u32_e32 v20, v17
	v_min_u32_e32 v24, 32, v20
	v_mov_b32_e32 v14, v7
	v_subrev_u32_e32 v20, 28, v24
	v_lshlrev_b64 v[20:21], v20, v[14:15]
	v_lshrrev_b32_e32 v23, 3, v6
	v_sub_u32_e32 v14, 29, v24
	v_and_b32_e32 v20, 7, v20
	v_cmp_gt_u32_e32 vcc, 8, v6
	v_cndmask_b32_e32 v6, v23, v14, vcc
	v_cndmask_b32_e32 v14, v17, v20, vcc
	v_lshlrev_b32_e32 v17, 24, v7
	v_bfrev_b32_e32 v20, 60
	v_lshlrev_b32_e32 v14, 20, v14
	v_and_b32_e32 v17, 0x80000000, v17
	v_lshl_add_u32 v6, v6, 23, v20
	v_or3_b32 v17, v17, v6, v14
.LBB575_619:
	s_or_b64 exec, exec, s[10:11]
.LBB575_620:
	s_or_b64 exec, exec, s[8:9]
.LBB575_621:
	s_or_b64 exec, exec, s[2:3]
	v_lshrrev_b16_e32 v6, 8, v7
	v_cmp_ne_u16_e32 vcc, 0, v6
	v_mov_b32_e32 v20, 0
	v_mov_b32_e32 v21, 0
	s_and_saveexec_b64 s[2:3], vcc
	s_cbranch_execz .LBB575_627
; %bb.622:
	s_movk_i32 s7, 0x80
	v_cmp_ne_u16_e32 vcc, s7, v6
	v_bfrev_b32_e32 v21, 1
	s_and_saveexec_b64 s[8:9], vcc
	s_cbranch_execz .LBB575_626
; %bb.623:
	s_movk_i32 s7, 0x7f
	v_and_b32_e32 v14, 0x7f, v6
	v_cmp_ne_u32_e32 vcc, s7, v14
	v_mov_b32_e32 v21, 0x7f800001
	s_and_saveexec_b64 s[10:11], vcc
	s_cbranch_execz .LBB575_625
; %bb.624:
	v_and_b32_e32 v21, 7, v6
	v_ffbh_u32_e32 v24, v21
	v_min_u32_e32 v26, 32, v24
	v_subrev_u32_e32 v24, 28, v26
	v_lshlrev_b64 v[24:25], v24, v[6:7]
	v_lshrrev_b32_e32 v23, 3, v14
	v_sub_u32_e32 v6, 29, v26
	v_and_b32_e32 v24, 7, v24
	v_cmp_gt_u32_e32 vcc, 8, v14
	v_cndmask_b32_e32 v6, v23, v6, vcc
	v_cndmask_b32_e32 v14, v21, v24, vcc
	v_lshlrev_b32_e32 v21, 16, v7
	v_bfrev_b32_e32 v23, 60
	v_lshlrev_b32_e32 v14, 20, v14
	v_and_b32_e32 v21, 0x80000000, v21
	v_lshl_add_u32 v6, v6, 23, v23
	v_or3_b32 v21, v21, v6, v14
.LBB575_625:
	s_or_b64 exec, exec, s[10:11]
.LBB575_626:
	s_or_b64 exec, exec, s[8:9]
.LBB575_627:
	s_or_b64 exec, exec, s[2:3]
	s_movk_i32 s2, 0xff
	v_and_b32_sdwa v14, v7, s2 dst_sel:DWORD dst_unused:UNUSED_PAD src0_sel:WORD_1 src1_sel:DWORD
	v_lshrrev_b32_e32 v6, 16, v7
	v_cmp_ne_u16_e32 vcc, 0, v14
	s_and_saveexec_b64 s[2:3], vcc
	s_cbranch_execz .LBB575_633
; %bb.628:
	s_movk_i32 s7, 0x80
	v_cmp_ne_u16_e32 vcc, s7, v14
	v_bfrev_b32_e32 v20, 1
	s_and_saveexec_b64 s[8:9], vcc
	s_cbranch_execz .LBB575_632
; %bb.629:
	v_bfe_u32 v14, v7, 16, 7
	s_movk_i32 s7, 0x7f
	v_cmp_ne_u32_e32 vcc, s7, v14
	v_mov_b32_e32 v20, 0x7f800001
	s_and_saveexec_b64 s[10:11], vcc
	s_cbranch_execz .LBB575_631
; %bb.630:
	v_and_b32_e32 v20, 7, v6
	v_ffbh_u32_e32 v24, v20
	v_min_u32_e32 v26, 32, v24
	v_subrev_u32_e32 v24, 28, v26
	v_lshlrev_b64 v[24:25], v24, v[6:7]
	v_and_b32_e32 v24, 7, v24
	v_cmp_gt_u32_e32 vcc, 8, v14
	v_lshrrev_b32_e32 v23, 3, v14
	v_sub_u32_e32 v6, 29, v26
	v_cndmask_b32_e32 v14, v20, v24, vcc
	v_mov_b32_e32 v20, 24
	v_cndmask_b32_e32 v6, v23, v6, vcc
	v_lshlrev_b32_sdwa v20, v20, v7 dst_sel:DWORD dst_unused:UNUSED_PAD src0_sel:DWORD src1_sel:WORD_1
	v_bfrev_b32_e32 v23, 60
	v_lshlrev_b32_e32 v14, 20, v14
	v_and_b32_e32 v20, 0x80000000, v20
	v_lshl_add_u32 v6, v6, 23, v23
	v_or3_b32 v20, v20, v6, v14
.LBB575_631:
	s_or_b64 exec, exec, s[10:11]
.LBB575_632:
	s_or_b64 exec, exec, s[8:9]
.LBB575_633:
	s_or_b64 exec, exec, s[2:3]
	s_mov_b32 s2, 0xffffff
	v_cmp_lt_u32_e32 vcc, s2, v7
	v_mov_b32_e32 v14, 0
	v_mov_b32_e32 v23, 0
	s_and_saveexec_b64 s[2:3], vcc
	s_cbranch_execz .LBB575_639
; %bb.634:
	v_lshrrev_b32_e32 v6, 24, v7
	s_movk_i32 s7, 0x80
	v_cmp_ne_u32_e32 vcc, s7, v6
	v_bfrev_b32_e32 v23, 1
	s_and_saveexec_b64 s[8:9], vcc
	s_cbranch_execz .LBB575_638
; %bb.635:
	v_bfe_u32 v7, v7, 24, 7
	s_movk_i32 s7, 0x7f
	v_cmp_ne_u32_e32 vcc, s7, v7
	v_mov_b32_e32 v23, 0x7f800001
	s_and_saveexec_b64 s[10:11], vcc
	s_cbranch_execz .LBB575_637
; %bb.636:
	v_and_b32_e32 v23, 7, v6
	v_ffbh_u32_e32 v24, v23
	v_min_u32_e32 v27, 32, v24
	v_subrev_u32_e32 v24, 28, v27
	v_lshlrev_b64 v[24:25], v24, v[6:7]
	v_lshrrev_b32_e32 v26, 3, v7
	v_sub_u32_e32 v25, 29, v27
	v_and_b32_e32 v24, 7, v24
	v_cmp_gt_u32_e32 vcc, 8, v7
	v_cndmask_b32_e32 v7, v26, v25, vcc
	v_cndmask_b32_e32 v23, v23, v24, vcc
	v_lshlrev_b32_e32 v6, 24, v6
	v_bfrev_b32_e32 v24, 60
	v_lshlrev_b32_e32 v23, 20, v23
	v_and_b32_e32 v6, 0x80000000, v6
	v_lshl_add_u32 v7, v7, 23, v24
	v_or3_b32 v23, v6, v7, v23
.LBB575_637:
	s_or_b64 exec, exec, s[10:11]
.LBB575_638:
	s_or_b64 exec, exec, s[8:9]
.LBB575_639:
	s_or_b64 exec, exec, s[2:3]
	v_cvt_pkrtz_f16_f32 v6, v19, v16
	v_cvt_pkrtz_f16_f32 v7, v15, v18
	ds_read_b128 v[24:27], v22 offset:4096
	v_cmp_ne_u16_sdwa s[8:9], v8, v14 src0_sel:BYTE_0 src1_sel:DWORD
	s_waitcnt lgkmcnt(0)
	v_mfma_f32_16x16x16f16 v[10:13], v[6:7], v[24:25], v[10:13]
	v_cvt_pkrtz_f16_f32 v6, v17, v21
	v_cvt_pkrtz_f16_f32 v7, v20, v23
	s_nop 1
	v_mfma_f32_16x16x16f16 v[10:13], v[6:7], v[26:27], v[10:13]
	s_and_saveexec_b64 s[2:3], s[8:9]
	s_cbranch_execz .LBB575_645
; %bb.640:
	s_movk_i32 s7, 0x80
	v_cmp_ne_u16_sdwa s[10:11], v8, s7 src0_sel:BYTE_0 src1_sel:DWORD
	v_bfrev_b32_e32 v14, 1
	s_and_saveexec_b64 s[8:9], s[10:11]
	s_cbranch_execz .LBB575_644
; %bb.641:
	s_movk_i32 s7, 0x7f
	v_and_b32_e32 v6, 0x7f, v8
	v_cmp_ne_u32_e32 vcc, s7, v6
	v_mov_b32_e32 v14, 0x7f800001
	s_and_saveexec_b64 s[10:11], vcc
	s_cbranch_execz .LBB575_643
; %bb.642:
	v_and_b32_e32 v7, 7, v8
	v_ffbh_u32_e32 v14, v7
	v_min_u32_e32 v17, 32, v14
	v_subrev_u32_e32 v14, 28, v17
	v_lshlrev_b64 v[14:15], v14, v[8:9]
	v_lshrrev_b32_e32 v16, 3, v6
	v_sub_u32_e32 v15, 29, v17
	v_and_b32_e32 v14, 7, v14
	v_cmp_gt_u32_e32 vcc, 8, v6
	v_cndmask_b32_e32 v6, v16, v15, vcc
	v_cndmask_b32_e32 v7, v7, v14, vcc
	v_lshlrev_b32_e32 v14, 24, v8
	v_bfrev_b32_e32 v15, 60
	v_lshlrev_b32_e32 v7, 20, v7
	v_and_b32_e32 v14, 0x80000000, v14
	v_lshl_add_u32 v6, v6, 23, v15
	v_or3_b32 v14, v14, v6, v7
.LBB575_643:
	s_or_b64 exec, exec, s[10:11]
.LBB575_644:
	s_or_b64 exec, exec, s[8:9]
.LBB575_645:
	s_or_b64 exec, exec, s[2:3]
	v_lshrrev_b16_e32 v6, 8, v8
	v_cmp_ne_u16_e32 vcc, 0, v6
	v_mov_b32_e32 v7, 0
	v_mov_b32_e32 v16, 0
	s_and_saveexec_b64 s[2:3], vcc
	s_cbranch_execz .LBB575_651
; %bb.646:
	s_movk_i32 s7, 0x80
	v_cmp_ne_u16_e32 vcc, s7, v6
	v_bfrev_b32_e32 v16, 1
	s_and_saveexec_b64 s[8:9], vcc
	s_cbranch_execz .LBB575_650
; %bb.647:
	s_movk_i32 s7, 0x7f
	v_and_b32_e32 v15, 0x7f, v6
	v_cmp_ne_u32_e32 vcc, s7, v15
	v_mov_b32_e32 v16, 0x7f800001
	s_and_saveexec_b64 s[10:11], vcc
	s_cbranch_execz .LBB575_649
; %bb.648:
	v_and_b32_e32 v18, 7, v6
	v_ffbh_u32_e32 v16, v18
	v_min_u32_e32 v20, 32, v16
	v_subrev_u32_e32 v16, 28, v20
	v_lshlrev_b64 v[16:17], v16, v[6:7]
	v_lshrrev_b32_e32 v19, 3, v15
	v_sub_u32_e32 v6, 29, v20
	v_and_b32_e32 v16, 7, v16
	v_cmp_gt_u32_e32 vcc, 8, v15
	v_cndmask_b32_e32 v6, v19, v6, vcc
	v_cndmask_b32_e32 v15, v18, v16, vcc
	v_lshlrev_b32_e32 v16, 16, v8
	v_bfrev_b32_e32 v17, 60
	v_lshlrev_b32_e32 v15, 20, v15
	v_and_b32_e32 v16, 0x80000000, v16
	v_lshl_add_u32 v6, v6, 23, v17
	v_or3_b32 v16, v16, v6, v15
.LBB575_649:
	s_or_b64 exec, exec, s[10:11]
.LBB575_650:
	s_or_b64 exec, exec, s[8:9]
.LBB575_651:
	s_or_b64 exec, exec, s[2:3]
	s_movk_i32 s2, 0xff
	v_and_b32_sdwa v15, v8, s2 dst_sel:DWORD dst_unused:UNUSED_PAD src0_sel:WORD_1 src1_sel:DWORD
	v_lshrrev_b32_e32 v6, 16, v8
	v_cmp_ne_u16_e32 vcc, 0, v15
	s_and_saveexec_b64 s[2:3], vcc
	s_cbranch_execz .LBB575_657
; %bb.652:
	s_movk_i32 s7, 0x80
	v_cmp_ne_u16_e32 vcc, s7, v15
	v_bfrev_b32_e32 v7, 1
	s_and_saveexec_b64 s[8:9], vcc
	s_cbranch_execz .LBB575_656
; %bb.653:
	v_bfe_u32 v15, v8, 16, 7
	s_movk_i32 s7, 0x7f
	v_cmp_ne_u32_e32 vcc, s7, v15
	v_mov_b32_e32 v7, 0x7f800001
	s_and_saveexec_b64 s[10:11], vcc
	s_cbranch_execz .LBB575_655
; %bb.654:
	v_and_b32_e32 v17, 7, v6
	v_ffbh_u32_e32 v7, v17
	v_min_u32_e32 v19, 32, v7
	v_subrev_u32_e32 v7, 28, v19
	v_lshlrev_b64 v[6:7], v7, v[6:7]
	v_lshrrev_b32_e32 v18, 3, v15
	v_sub_u32_e32 v7, 29, v19
	v_and_b32_e32 v6, 7, v6
	v_cmp_gt_u32_e32 vcc, 8, v15
	v_mov_b32_e32 v15, 24
	v_cndmask_b32_e32 v7, v18, v7, vcc
	v_cndmask_b32_e32 v6, v17, v6, vcc
	v_lshlrev_b32_sdwa v15, v15, v8 dst_sel:DWORD dst_unused:UNUSED_PAD src0_sel:DWORD src1_sel:WORD_1
	v_bfrev_b32_e32 v17, 60
	v_lshlrev_b32_e32 v6, 20, v6
	v_and_b32_e32 v15, 0x80000000, v15
	v_lshl_add_u32 v7, v7, 23, v17
	v_or3_b32 v7, v15, v7, v6
.LBB575_655:
	s_or_b64 exec, exec, s[10:11]
.LBB575_656:
	s_or_b64 exec, exec, s[8:9]
.LBB575_657:
	s_or_b64 exec, exec, s[2:3]
	s_mov_b32 s2, 0xffffff
	v_cmp_lt_u32_e32 vcc, s2, v8
	v_mov_b32_e32 v17, 0
	v_mov_b32_e32 v18, 0
	s_and_saveexec_b64 s[2:3], vcc
	s_cbranch_execz .LBB575_663
; %bb.658:
	v_lshrrev_b32_e32 v6, 24, v8
	s_movk_i32 s7, 0x80
	v_cmp_ne_u32_e32 vcc, s7, v6
	v_bfrev_b32_e32 v18, 1
	s_and_saveexec_b64 s[8:9], vcc
	s_cbranch_execz .LBB575_662
; %bb.659:
	v_bfe_u32 v8, v8, 24, 7
	s_movk_i32 s7, 0x7f
	v_cmp_ne_u32_e32 vcc, s7, v8
	v_mov_b32_e32 v18, 0x7f800001
	s_and_saveexec_b64 s[10:11], vcc
	s_cbranch_execz .LBB575_661
; %bb.660:
	v_and_b32_e32 v15, 7, v6
	v_ffbh_u32_e32 v18, v15
	v_min_u32_e32 v21, 32, v18
	v_subrev_u32_e32 v18, 28, v21
	v_lshlrev_b64 v[18:19], v18, v[6:7]
	v_lshrrev_b32_e32 v20, 3, v8
	v_sub_u32_e32 v19, 29, v21
	v_and_b32_e32 v18, 7, v18
	v_cmp_gt_u32_e32 vcc, 8, v8
	v_cndmask_b32_e32 v8, v20, v19, vcc
	v_cndmask_b32_e32 v15, v15, v18, vcc
	v_lshlrev_b32_e32 v6, 24, v6
	v_bfrev_b32_e32 v18, 60
	v_lshlrev_b32_e32 v15, 20, v15
	v_and_b32_e32 v6, 0x80000000, v6
	v_lshl_add_u32 v8, v8, 23, v18
	v_or3_b32 v18, v6, v8, v15
.LBB575_661:
	s_or_b64 exec, exec, s[10:11]
.LBB575_662:
	s_or_b64 exec, exec, s[8:9]
.LBB575_663:
	s_or_b64 exec, exec, s[2:3]
	v_cmp_ne_u16_sdwa s[8:9], v9, v17 src0_sel:BYTE_0 src1_sel:DWORD
	s_and_saveexec_b64 s[2:3], s[8:9]
	s_cbranch_execz .LBB575_669
; %bb.664:
	s_movk_i32 s7, 0x80
	v_cmp_ne_u16_sdwa s[10:11], v9, s7 src0_sel:BYTE_0 src1_sel:DWORD
	v_bfrev_b32_e32 v17, 1
	s_and_saveexec_b64 s[8:9], s[10:11]
	s_cbranch_execz .LBB575_668
; %bb.665:
	s_movk_i32 s7, 0x7f
	v_and_b32_e32 v6, 0x7f, v9
	v_cmp_ne_u32_e32 vcc, s7, v6
	v_mov_b32_e32 v17, 0x7f800001
	s_and_saveexec_b64 s[10:11], vcc
	s_cbranch_execz .LBB575_667
; %bb.666:
	v_and_b32_e32 v15, 7, v9
	v_ffbh_u32_e32 v19, v15
	v_min_u32_e32 v19, 32, v19
	v_mov_b32_e32 v8, v9
	v_subrev_u32_e32 v20, 28, v19
	v_lshlrev_b64 v[20:21], v20, v[8:9]
	v_lshrrev_b32_e32 v17, 3, v6
	v_sub_u32_e32 v8, 29, v19
	v_and_b32_e32 v19, 7, v20
	v_cmp_gt_u32_e32 vcc, 8, v6
	v_cndmask_b32_e32 v6, v17, v8, vcc
	v_cndmask_b32_e32 v8, v15, v19, vcc
	v_lshlrev_b32_e32 v15, 24, v9
	v_bfrev_b32_e32 v17, 60
	v_lshlrev_b32_e32 v8, 20, v8
	v_and_b32_e32 v15, 0x80000000, v15
	v_lshl_add_u32 v6, v6, 23, v17
	v_or3_b32 v17, v15, v6, v8
.LBB575_667:
	s_or_b64 exec, exec, s[10:11]
.LBB575_668:
	s_or_b64 exec, exec, s[8:9]
.LBB575_669:
	s_or_b64 exec, exec, s[2:3]
	v_lshrrev_b16_e32 v6, 8, v9
	v_cmp_ne_u16_e32 vcc, 0, v6
	v_mov_b32_e32 v8, 0
	v_mov_b32_e32 v19, 0
	s_and_saveexec_b64 s[2:3], vcc
	s_cbranch_execz .LBB575_675
; %bb.670:
	s_movk_i32 s7, 0x80
	v_cmp_ne_u16_e32 vcc, s7, v6
	v_bfrev_b32_e32 v19, 1
	s_and_saveexec_b64 s[8:9], vcc
	s_cbranch_execz .LBB575_674
; %bb.671:
	s_movk_i32 s7, 0x7f
	v_and_b32_e32 v15, 0x7f, v6
	v_cmp_ne_u32_e32 vcc, s7, v15
	v_mov_b32_e32 v19, 0x7f800001
	s_and_saveexec_b64 s[10:11], vcc
	s_cbranch_execz .LBB575_673
; %bb.672:
	v_and_b32_e32 v19, 7, v6
	v_ffbh_u32_e32 v20, v19
	v_min_u32_e32 v24, 32, v20
	v_subrev_u32_e32 v20, 28, v24
	v_lshlrev_b64 v[20:21], v20, v[6:7]
	v_lshrrev_b32_e32 v23, 3, v15
	v_sub_u32_e32 v6, 29, v24
	v_and_b32_e32 v20, 7, v20
	v_cmp_gt_u32_e32 vcc, 8, v15
	v_cndmask_b32_e32 v6, v23, v6, vcc
	v_cndmask_b32_e32 v15, v19, v20, vcc
	v_lshlrev_b32_e32 v19, 16, v9
	v_bfrev_b32_e32 v20, 60
	v_lshlrev_b32_e32 v15, 20, v15
	v_and_b32_e32 v19, 0x80000000, v19
	v_lshl_add_u32 v6, v6, 23, v20
	v_or3_b32 v19, v19, v6, v15
.LBB575_673:
	s_or_b64 exec, exec, s[10:11]
.LBB575_674:
	s_or_b64 exec, exec, s[8:9]
.LBB575_675:
	s_or_b64 exec, exec, s[2:3]
	s_movk_i32 s2, 0xff
	v_and_b32_sdwa v15, v9, s2 dst_sel:DWORD dst_unused:UNUSED_PAD src0_sel:WORD_1 src1_sel:DWORD
	v_lshrrev_b32_e32 v6, 16, v9
	v_cmp_ne_u16_e32 vcc, 0, v15
	s_and_saveexec_b64 s[2:3], vcc
	s_cbranch_execz .LBB575_681
; %bb.676:
	s_movk_i32 s7, 0x80
	v_cmp_ne_u16_e32 vcc, s7, v15
	v_bfrev_b32_e32 v8, 1
	s_and_saveexec_b64 s[8:9], vcc
	s_cbranch_execz .LBB575_680
; %bb.677:
	v_bfe_u32 v15, v9, 16, 7
	s_movk_i32 s7, 0x7f
	v_cmp_ne_u32_e32 vcc, s7, v15
	v_mov_b32_e32 v8, 0x7f800001
	s_and_saveexec_b64 s[10:11], vcc
	s_cbranch_execz .LBB575_679
; %bb.678:
	v_and_b32_e32 v8, 7, v6
	v_ffbh_u32_e32 v20, v8
	v_min_u32_e32 v24, 32, v20
	v_subrev_u32_e32 v20, 28, v24
	v_lshlrev_b64 v[20:21], v20, v[6:7]
	v_lshrrev_b32_e32 v23, 3, v15
	v_sub_u32_e32 v6, 29, v24
	v_and_b32_e32 v20, 7, v20
	v_cmp_gt_u32_e32 vcc, 8, v15
	v_mov_b32_e32 v15, 24
	v_cndmask_b32_e32 v6, v23, v6, vcc
	v_cndmask_b32_e32 v8, v8, v20, vcc
	v_lshlrev_b32_sdwa v15, v15, v9 dst_sel:DWORD dst_unused:UNUSED_PAD src0_sel:DWORD src1_sel:WORD_1
	v_bfrev_b32_e32 v20, 60
	v_lshlrev_b32_e32 v8, 20, v8
	v_and_b32_e32 v15, 0x80000000, v15
	v_lshl_add_u32 v6, v6, 23, v20
	v_or3_b32 v8, v15, v6, v8
.LBB575_679:
	s_or_b64 exec, exec, s[10:11]
.LBB575_680:
	s_or_b64 exec, exec, s[8:9]
.LBB575_681:
	s_or_b64 exec, exec, s[2:3]
	s_mov_b32 s2, 0xffffff
	v_cmp_lt_u32_e32 vcc, s2, v9
	v_mov_b32_e32 v15, 0
	v_mov_b32_e32 v20, 0
	s_and_saveexec_b64 s[2:3], vcc
	s_cbranch_execz .LBB575_687
; %bb.682:
	v_lshrrev_b32_e32 v6, 24, v9
	s_movk_i32 s7, 0x80
	v_cmp_ne_u32_e32 vcc, s7, v6
	v_bfrev_b32_e32 v20, 1
	s_and_saveexec_b64 s[8:9], vcc
	s_cbranch_execz .LBB575_686
; %bb.683:
	v_bfe_u32 v9, v9, 24, 7
	s_movk_i32 s7, 0x7f
	v_cmp_ne_u32_e32 vcc, s7, v9
	v_mov_b32_e32 v20, 0x7f800001
	s_and_saveexec_b64 s[10:11], vcc
	s_cbranch_execz .LBB575_685
; %bb.684:
	v_and_b32_e32 v23, 7, v6
	v_ffbh_u32_e32 v20, v23
	v_min_u32_e32 v25, 32, v20
	v_subrev_u32_e32 v20, 28, v25
	v_lshlrev_b64 v[20:21], v20, v[6:7]
	v_lshrrev_b32_e32 v24, 3, v9
	v_sub_u32_e32 v21, 29, v25
	v_and_b32_e32 v20, 7, v20
	v_cmp_gt_u32_e32 vcc, 8, v9
	v_cndmask_b32_e32 v9, v24, v21, vcc
	v_cndmask_b32_e32 v20, v23, v20, vcc
	v_lshlrev_b32_e32 v6, 24, v6
	v_bfrev_b32_e32 v21, 60
	v_lshlrev_b32_e32 v20, 20, v20
	v_and_b32_e32 v6, 0x80000000, v6
	v_lshl_add_u32 v9, v9, 23, v21
	v_or3_b32 v20, v6, v9, v20
.LBB575_685:
	s_or_b64 exec, exec, s[10:11]
.LBB575_686:
	s_or_b64 exec, exec, s[8:9]
.LBB575_687:
	s_or_b64 exec, exec, s[2:3]
	v_cvt_pkrtz_f16_f32 v6, v14, v16
	v_cvt_pkrtz_f16_f32 v7, v7, v18
	ds_read_b128 v[24:27], v22 offset:4112
	s_waitcnt vmcnt(0)
	v_cmp_ne_u16_sdwa s[8:9], v2, v15 src0_sel:BYTE_0 src1_sel:DWORD
	s_waitcnt lgkmcnt(0)
	v_mfma_f32_16x16x16f16 v[10:13], v[6:7], v[24:25], v[10:13]
	v_cvt_pkrtz_f16_f32 v6, v17, v19
	v_cvt_pkrtz_f16_f32 v7, v8, v20
	s_nop 1
	v_mfma_f32_16x16x16f16 v[6:9], v[6:7], v[26:27], v[10:13]
	s_and_saveexec_b64 s[2:3], s[8:9]
	s_cbranch_execz .LBB575_693
; %bb.688:
	s_movk_i32 s7, 0x80
	v_cmp_ne_u16_sdwa s[10:11], v2, s7 src0_sel:BYTE_0 src1_sel:DWORD
	v_bfrev_b32_e32 v15, 1
	s_and_saveexec_b64 s[8:9], s[10:11]
	s_cbranch_execz .LBB575_692
; %bb.689:
	s_movk_i32 s7, 0x7f
	v_and_b32_e32 v10, 0x7f, v2
	v_cmp_ne_u32_e32 vcc, s7, v10
	v_mov_b32_e32 v15, 0x7f800001
	s_and_saveexec_b64 s[10:11], vcc
	s_cbranch_execz .LBB575_691
; %bb.690:
	v_and_b32_e32 v11, 7, v2
	v_ffbh_u32_e32 v12, v11
	v_min_u32_e32 v15, 32, v12
	v_subrev_u32_e32 v12, 28, v15
	v_lshlrev_b64 v[12:13], v12, v[2:3]
	v_lshrrev_b32_e32 v14, 3, v10
	v_sub_u32_e32 v13, 29, v15
	v_and_b32_e32 v12, 7, v12
	v_cmp_gt_u32_e32 vcc, 8, v10
	v_cndmask_b32_e32 v10, v14, v13, vcc
	v_cndmask_b32_e32 v11, v11, v12, vcc
	v_lshlrev_b32_e32 v12, 24, v2
	v_bfrev_b32_e32 v13, 60
	v_lshlrev_b32_e32 v11, 20, v11
	v_and_b32_e32 v12, 0x80000000, v12
	v_lshl_add_u32 v10, v10, 23, v13
	v_or3_b32 v15, v12, v10, v11
.LBB575_691:
	s_or_b64 exec, exec, s[10:11]
.LBB575_692:
	s_or_b64 exec, exec, s[8:9]
.LBB575_693:
	s_or_b64 exec, exec, s[2:3]
	s_nop 3
	v_lshrrev_b16_e32 v10, 8, v2
	v_cmp_ne_u16_e32 vcc, 0, v10
	v_mov_b32_e32 v11, 0
	v_mov_b32_e32 v12, 0
	s_and_saveexec_b64 s[2:3], vcc
	s_cbranch_execz .LBB575_699
; %bb.694:
	s_movk_i32 s7, 0x80
	v_cmp_ne_u16_e32 vcc, s7, v10
	v_bfrev_b32_e32 v12, 1
	s_and_saveexec_b64 s[8:9], vcc
	s_cbranch_execz .LBB575_698
; %bb.695:
	s_movk_i32 s7, 0x7f
	v_and_b32_e32 v13, 0x7f, v10
	v_cmp_ne_u32_e32 vcc, s7, v13
	v_mov_b32_e32 v12, 0x7f800001
	s_and_saveexec_b64 s[10:11], vcc
	s_cbranch_execz .LBB575_697
; %bb.696:
	v_and_b32_e32 v12, 7, v10
	v_ffbh_u32_e32 v16, v12
	v_min_u32_e32 v18, 32, v16
	v_subrev_u32_e32 v16, 28, v18
	v_lshlrev_b64 v[16:17], v16, v[10:11]
	v_lshrrev_b32_e32 v14, 3, v13
	v_sub_u32_e32 v10, 29, v18
	v_and_b32_e32 v16, 7, v16
	v_cmp_gt_u32_e32 vcc, 8, v13
	v_cndmask_b32_e32 v10, v14, v10, vcc
	v_cndmask_b32_e32 v12, v12, v16, vcc
	v_lshlrev_b32_e32 v13, 16, v2
	v_bfrev_b32_e32 v14, 60
	v_lshlrev_b32_e32 v12, 20, v12
	v_and_b32_e32 v13, 0x80000000, v13
	v_lshl_add_u32 v10, v10, 23, v14
	v_or3_b32 v12, v13, v10, v12
.LBB575_697:
	s_or_b64 exec, exec, s[10:11]
.LBB575_698:
	s_or_b64 exec, exec, s[8:9]
.LBB575_699:
	s_or_b64 exec, exec, s[2:3]
	s_movk_i32 s2, 0xff
	v_and_b32_sdwa v13, v2, s2 dst_sel:DWORD dst_unused:UNUSED_PAD src0_sel:WORD_1 src1_sel:DWORD
	v_lshrrev_b32_e32 v10, 16, v2
	v_cmp_ne_u16_e32 vcc, 0, v13
	s_and_saveexec_b64 s[2:3], vcc
	s_cbranch_execz .LBB575_705
; %bb.700:
	s_movk_i32 s7, 0x80
	v_cmp_ne_u16_e32 vcc, s7, v13
	v_bfrev_b32_e32 v11, 1
	s_and_saveexec_b64 s[8:9], vcc
	s_cbranch_execz .LBB575_704
; %bb.701:
	v_bfe_u32 v13, v2, 16, 7
	s_movk_i32 s7, 0x7f
	v_cmp_ne_u32_e32 vcc, s7, v13
	v_mov_b32_e32 v11, 0x7f800001
	s_and_saveexec_b64 s[10:11], vcc
	s_cbranch_execz .LBB575_703
; %bb.702:
	v_and_b32_e32 v14, 7, v10
	v_ffbh_u32_e32 v11, v14
	v_min_u32_e32 v17, 32, v11
	v_subrev_u32_e32 v11, 28, v17
	v_lshlrev_b64 v[10:11], v11, v[10:11]
	v_lshrrev_b32_e32 v16, 3, v13
	v_sub_u32_e32 v11, 29, v17
	v_and_b32_e32 v10, 7, v10
	v_cmp_gt_u32_e32 vcc, 8, v13
	v_mov_b32_e32 v13, 24
	v_cndmask_b32_e32 v11, v16, v11, vcc
	v_cndmask_b32_e32 v10, v14, v10, vcc
	v_lshlrev_b32_sdwa v13, v13, v2 dst_sel:DWORD dst_unused:UNUSED_PAD src0_sel:DWORD src1_sel:WORD_1
	v_bfrev_b32_e32 v14, 60
	v_lshlrev_b32_e32 v10, 20, v10
	v_and_b32_e32 v13, 0x80000000, v13
	v_lshl_add_u32 v11, v11, 23, v14
	v_or3_b32 v11, v13, v11, v10
.LBB575_703:
	s_or_b64 exec, exec, s[10:11]
.LBB575_704:
	s_or_b64 exec, exec, s[8:9]
.LBB575_705:
	s_or_b64 exec, exec, s[2:3]
	s_mov_b32 s2, 0xffffff
	v_cmp_lt_u32_e32 vcc, s2, v2
	v_mov_b32_e32 v13, 0
	v_mov_b32_e32 v14, 0
	s_and_saveexec_b64 s[2:3], vcc
	s_cbranch_execz .LBB575_711
; %bb.706:
	v_lshrrev_b32_e32 v10, 24, v2
	s_movk_i32 s7, 0x80
	v_cmp_ne_u32_e32 vcc, s7, v10
	v_bfrev_b32_e32 v14, 1
	s_and_saveexec_b64 s[8:9], vcc
	s_cbranch_execz .LBB575_710
; %bb.707:
	v_bfe_u32 v2, v2, 24, 7
	s_movk_i32 s7, 0x7f
	v_cmp_ne_u32_e32 vcc, s7, v2
	v_mov_b32_e32 v14, 0x7f800001
	s_and_saveexec_b64 s[10:11], vcc
	s_cbranch_execz .LBB575_709
; %bb.708:
	v_and_b32_e32 v14, 7, v10
	v_ffbh_u32_e32 v16, v14
	v_min_u32_e32 v19, 32, v16
	v_subrev_u32_e32 v16, 28, v19
	v_lshlrev_b64 v[16:17], v16, v[10:11]
	v_lshrrev_b32_e32 v18, 3, v2
	v_sub_u32_e32 v17, 29, v19
	v_and_b32_e32 v16, 7, v16
	v_cmp_gt_u32_e32 vcc, 8, v2
	v_cndmask_b32_e32 v2, v18, v17, vcc
	v_cndmask_b32_e32 v14, v14, v16, vcc
	v_lshlrev_b32_e32 v10, 24, v10
	v_bfrev_b32_e32 v16, 60
	v_lshlrev_b32_e32 v14, 20, v14
	v_and_b32_e32 v10, 0x80000000, v10
	v_lshl_add_u32 v2, v2, 23, v16
	v_or3_b32 v14, v10, v2, v14
.LBB575_709:
	s_or_b64 exec, exec, s[10:11]
.LBB575_710:
	s_or_b64 exec, exec, s[8:9]
.LBB575_711:
	s_or_b64 exec, exec, s[2:3]
	v_cmp_ne_u16_sdwa s[8:9], v3, v13 src0_sel:BYTE_0 src1_sel:DWORD
	s_and_saveexec_b64 s[2:3], s[8:9]
	s_cbranch_execz .LBB575_717
; %bb.712:
	s_movk_i32 s7, 0x80
	v_cmp_ne_u16_sdwa s[10:11], v3, s7 src0_sel:BYTE_0 src1_sel:DWORD
	v_bfrev_b32_e32 v13, 1
	s_and_saveexec_b64 s[8:9], s[10:11]
	s_cbranch_execz .LBB575_716
; %bb.713:
	s_movk_i32 s7, 0x7f
	v_and_b32_e32 v2, 0x7f, v3
	v_cmp_ne_u32_e32 vcc, s7, v2
	v_mov_b32_e32 v13, 0x7f800001
	s_and_saveexec_b64 s[10:11], vcc
	s_cbranch_execz .LBB575_715
; %bb.714:
	v_and_b32_e32 v13, 7, v3
	v_ffbh_u32_e32 v16, v13
	v_min_u32_e32 v19, 32, v16
	v_mov_b32_e32 v10, v3
	v_subrev_u32_e32 v16, 28, v19
	v_lshlrev_b64 v[16:17], v16, v[10:11]
	v_lshrrev_b32_e32 v18, 3, v2
	v_sub_u32_e32 v10, 29, v19
	v_and_b32_e32 v16, 7, v16
	v_cmp_gt_u32_e32 vcc, 8, v2
	v_cndmask_b32_e32 v2, v18, v10, vcc
	v_cndmask_b32_e32 v10, v13, v16, vcc
	v_lshlrev_b32_e32 v13, 24, v3
	v_bfrev_b32_e32 v16, 60
	v_lshlrev_b32_e32 v10, 20, v10
	v_and_b32_e32 v13, 0x80000000, v13
	v_lshl_add_u32 v2, v2, 23, v16
	v_or3_b32 v13, v13, v2, v10
.LBB575_715:
	s_or_b64 exec, exec, s[10:11]
.LBB575_716:
	s_or_b64 exec, exec, s[8:9]
.LBB575_717:
	s_or_b64 exec, exec, s[2:3]
	v_lshrrev_b16_e32 v2, 8, v3
	v_cmp_ne_u16_e32 vcc, 0, v2
	v_mov_b32_e32 v16, 0
	v_mov_b32_e32 v17, 0
	s_and_saveexec_b64 s[2:3], vcc
	s_cbranch_execz .LBB575_723
; %bb.718:
	s_movk_i32 s7, 0x80
	v_cmp_ne_u16_e32 vcc, s7, v2
	v_bfrev_b32_e32 v17, 1
	s_and_saveexec_b64 s[8:9], vcc
	s_cbranch_execz .LBB575_722
; %bb.719:
	s_movk_i32 s7, 0x7f
	v_and_b32_e32 v10, 0x7f, v2
	v_cmp_ne_u32_e32 vcc, s7, v10
	v_mov_b32_e32 v17, 0x7f800001
	s_and_saveexec_b64 s[10:11], vcc
	s_cbranch_execz .LBB575_721
; %bb.720:
	v_and_b32_e32 v17, 7, v2
	v_ffbh_u32_e32 v18, v17
	v_min_u32_e32 v21, 32, v18
	v_subrev_u32_e32 v18, 28, v21
	v_lshlrev_b64 v[18:19], v18, v[2:3]
	v_lshrrev_b32_e32 v20, 3, v10
	v_sub_u32_e32 v2, 29, v21
	v_and_b32_e32 v18, 7, v18
	v_cmp_gt_u32_e32 vcc, 8, v10
	v_cndmask_b32_e32 v2, v20, v2, vcc
	v_cndmask_b32_e32 v10, v17, v18, vcc
	v_lshlrev_b32_e32 v17, 16, v3
	v_bfrev_b32_e32 v18, 60
	v_lshlrev_b32_e32 v10, 20, v10
	v_and_b32_e32 v17, 0x80000000, v17
	v_lshl_add_u32 v2, v2, 23, v18
	v_or3_b32 v17, v17, v2, v10
.LBB575_721:
	s_or_b64 exec, exec, s[10:11]
.LBB575_722:
	s_or_b64 exec, exec, s[8:9]
.LBB575_723:
	s_or_b64 exec, exec, s[2:3]
	s_movk_i32 s2, 0xff
	v_and_b32_sdwa v10, v3, s2 dst_sel:DWORD dst_unused:UNUSED_PAD src0_sel:WORD_1 src1_sel:DWORD
	v_lshrrev_b32_e32 v2, 16, v3
	v_cmp_ne_u16_e32 vcc, 0, v10
	s_and_saveexec_b64 s[2:3], vcc
	s_cbranch_execz .LBB575_729
; %bb.724:
	s_movk_i32 s7, 0x80
	v_cmp_ne_u16_e32 vcc, s7, v10
	v_bfrev_b32_e32 v16, 1
	s_and_saveexec_b64 s[8:9], vcc
	s_cbranch_execz .LBB575_728
; %bb.725:
	v_bfe_u32 v10, v3, 16, 7
	s_movk_i32 s7, 0x7f
	v_cmp_ne_u32_e32 vcc, s7, v10
	v_mov_b32_e32 v16, 0x7f800001
	s_and_saveexec_b64 s[10:11], vcc
	s_cbranch_execz .LBB575_727
; %bb.726:
	v_and_b32_e32 v16, 7, v2
	v_ffbh_u32_e32 v18, v16
	v_min_u32_e32 v21, 32, v18
	v_subrev_u32_e32 v18, 28, v21
	v_lshlrev_b64 v[18:19], v18, v[2:3]
	v_and_b32_e32 v18, 7, v18
	v_cmp_gt_u32_e32 vcc, 8, v10
	v_lshrrev_b32_e32 v20, 3, v10
	v_sub_u32_e32 v2, 29, v21
	v_cndmask_b32_e32 v10, v16, v18, vcc
	v_mov_b32_e32 v16, 24
	v_cndmask_b32_e32 v2, v20, v2, vcc
	v_lshlrev_b32_sdwa v16, v16, v3 dst_sel:DWORD dst_unused:UNUSED_PAD src0_sel:DWORD src1_sel:WORD_1
	v_bfrev_b32_e32 v18, 60
	v_lshlrev_b32_e32 v10, 20, v10
	v_and_b32_e32 v16, 0x80000000, v16
	v_lshl_add_u32 v2, v2, 23, v18
	v_or3_b32 v16, v16, v2, v10
.LBB575_727:
	s_or_b64 exec, exec, s[10:11]
.LBB575_728:
	s_or_b64 exec, exec, s[8:9]
.LBB575_729:
	s_or_b64 exec, exec, s[2:3]
	s_mov_b32 s2, 0xffffff
	v_cmp_lt_u32_e32 vcc, s2, v3
	v_mov_b32_e32 v10, 0
	v_mov_b32_e32 v18, 0
	s_and_saveexec_b64 s[2:3], vcc
	s_cbranch_execz .LBB575_735
; %bb.730:
	v_lshrrev_b32_e32 v2, 24, v3
	s_movk_i32 s7, 0x80
	v_cmp_ne_u32_e32 vcc, s7, v2
	v_bfrev_b32_e32 v18, 1
	s_and_saveexec_b64 s[8:9], vcc
	s_cbranch_execz .LBB575_734
; %bb.731:
	v_bfe_u32 v3, v3, 24, 7
	s_movk_i32 s7, 0x7f
	v_cmp_ne_u32_e32 vcc, s7, v3
	v_mov_b32_e32 v18, 0x7f800001
	s_and_saveexec_b64 s[10:11], vcc
	s_cbranch_execz .LBB575_733
; %bb.732:
	v_and_b32_e32 v20, 7, v2
	v_ffbh_u32_e32 v18, v20
	v_min_u32_e32 v23, 32, v18
	v_subrev_u32_e32 v18, 28, v23
	v_lshlrev_b64 v[18:19], v18, v[2:3]
	v_lshrrev_b32_e32 v21, 3, v3
	v_sub_u32_e32 v19, 29, v23
	v_and_b32_e32 v18, 7, v18
	v_cmp_gt_u32_e32 vcc, 8, v3
	v_cndmask_b32_e32 v3, v21, v19, vcc
	v_cndmask_b32_e32 v18, v20, v18, vcc
	v_lshlrev_b32_e32 v2, 24, v2
	v_bfrev_b32_e32 v19, 60
	v_lshlrev_b32_e32 v18, 20, v18
	v_and_b32_e32 v2, 0x80000000, v2
	v_lshl_add_u32 v3, v3, 23, v19
	v_or3_b32 v18, v2, v3, v18
.LBB575_733:
	s_or_b64 exec, exec, s[10:11]
.LBB575_734:
	s_or_b64 exec, exec, s[8:9]
.LBB575_735:
	s_or_b64 exec, exec, s[2:3]
	v_cvt_pkrtz_f16_f32 v2, v15, v12
	v_cvt_pkrtz_f16_f32 v3, v11, v14
	ds_read_b128 v[24:27], v22 offset:6144
	v_cmp_ne_u16_sdwa s[8:9], v4, v10 src0_sel:BYTE_0 src1_sel:DWORD
	s_waitcnt lgkmcnt(0)
	v_mfma_f32_16x16x16f16 v[6:9], v[2:3], v[24:25], v[6:9]
	v_cvt_pkrtz_f16_f32 v2, v13, v17
	v_cvt_pkrtz_f16_f32 v3, v16, v18
	s_nop 1
	v_mfma_f32_16x16x16f16 v[6:9], v[2:3], v[26:27], v[6:9]
	s_and_saveexec_b64 s[2:3], s[8:9]
	s_cbranch_execz .LBB575_741
; %bb.736:
	s_movk_i32 s7, 0x80
	v_cmp_ne_u16_sdwa s[10:11], v4, s7 src0_sel:BYTE_0 src1_sel:DWORD
	v_bfrev_b32_e32 v10, 1
	s_and_saveexec_b64 s[8:9], s[10:11]
	s_cbranch_execz .LBB575_740
; %bb.737:
	s_movk_i32 s7, 0x7f
	v_and_b32_e32 v2, 0x7f, v4
	v_cmp_ne_u32_e32 vcc, s7, v2
	v_mov_b32_e32 v10, 0x7f800001
	s_and_saveexec_b64 s[10:11], vcc
	s_cbranch_execz .LBB575_739
; %bb.738:
	v_and_b32_e32 v3, 7, v4
	v_ffbh_u32_e32 v10, v3
	v_min_u32_e32 v13, 32, v10
	v_subrev_u32_e32 v10, 28, v13
	v_lshlrev_b64 v[10:11], v10, v[4:5]
	v_lshrrev_b32_e32 v12, 3, v2
	v_sub_u32_e32 v11, 29, v13
	v_and_b32_e32 v10, 7, v10
	v_cmp_gt_u32_e32 vcc, 8, v2
	v_cndmask_b32_e32 v2, v12, v11, vcc
	v_cndmask_b32_e32 v3, v3, v10, vcc
	v_lshlrev_b32_e32 v10, 24, v4
	v_bfrev_b32_e32 v11, 60
	v_lshlrev_b32_e32 v3, 20, v3
	v_and_b32_e32 v10, 0x80000000, v10
	v_lshl_add_u32 v2, v2, 23, v11
	v_or3_b32 v10, v10, v2, v3
.LBB575_739:
	s_or_b64 exec, exec, s[10:11]
.LBB575_740:
	s_or_b64 exec, exec, s[8:9]
.LBB575_741:
	s_or_b64 exec, exec, s[2:3]
	v_lshrrev_b16_e32 v2, 8, v4
	v_cmp_ne_u16_e32 vcc, 0, v2
	v_mov_b32_e32 v3, 0
	v_mov_b32_e32 v11, 0
	s_and_saveexec_b64 s[2:3], vcc
	s_cbranch_execz .LBB575_747
; %bb.742:
	s_movk_i32 s7, 0x80
	v_cmp_ne_u16_e32 vcc, s7, v2
	v_bfrev_b32_e32 v11, 1
	s_and_saveexec_b64 s[8:9], vcc
	s_cbranch_execz .LBB575_746
; %bb.743:
	s_movk_i32 s7, 0x7f
	v_and_b32_e32 v12, 0x7f, v2
	v_cmp_ne_u32_e32 vcc, s7, v12
	v_mov_b32_e32 v11, 0x7f800001
	s_and_saveexec_b64 s[10:11], vcc
	s_cbranch_execz .LBB575_745
; %bb.744:
	v_and_b32_e32 v11, 7, v2
	v_ffbh_u32_e32 v14, v11
	v_min_u32_e32 v16, 32, v14
	v_subrev_u32_e32 v14, 28, v16
	v_lshlrev_b64 v[14:15], v14, v[2:3]
	v_lshrrev_b32_e32 v13, 3, v12
	v_sub_u32_e32 v2, 29, v16
	v_and_b32_e32 v14, 7, v14
	v_cmp_gt_u32_e32 vcc, 8, v12
	v_cndmask_b32_e32 v2, v13, v2, vcc
	v_cndmask_b32_e32 v11, v11, v14, vcc
	v_lshlrev_b32_e32 v12, 16, v4
	v_bfrev_b32_e32 v13, 60
	v_lshlrev_b32_e32 v11, 20, v11
	v_and_b32_e32 v12, 0x80000000, v12
	v_lshl_add_u32 v2, v2, 23, v13
	v_or3_b32 v11, v12, v2, v11
.LBB575_745:
	s_or_b64 exec, exec, s[10:11]
.LBB575_746:
	s_or_b64 exec, exec, s[8:9]
.LBB575_747:
	s_or_b64 exec, exec, s[2:3]
	s_movk_i32 s2, 0xff
	v_and_b32_sdwa v12, v4, s2 dst_sel:DWORD dst_unused:UNUSED_PAD src0_sel:WORD_1 src1_sel:DWORD
	v_lshrrev_b32_e32 v2, 16, v4
	v_cmp_ne_u16_e32 vcc, 0, v12
	s_and_saveexec_b64 s[2:3], vcc
	s_cbranch_execz .LBB575_753
; %bb.748:
	s_movk_i32 s7, 0x80
	v_cmp_ne_u16_e32 vcc, s7, v12
	v_bfrev_b32_e32 v3, 1
	s_and_saveexec_b64 s[8:9], vcc
	s_cbranch_execz .LBB575_752
; %bb.749:
	v_bfe_u32 v12, v4, 16, 7
	s_movk_i32 s7, 0x7f
	v_cmp_ne_u32_e32 vcc, s7, v12
	v_mov_b32_e32 v3, 0x7f800001
	s_and_saveexec_b64 s[10:11], vcc
	s_cbranch_execz .LBB575_751
; %bb.750:
	v_and_b32_e32 v13, 7, v2
	v_ffbh_u32_e32 v3, v13
	v_min_u32_e32 v15, 32, v3
	v_subrev_u32_e32 v3, 28, v15
	v_lshlrev_b64 v[2:3], v3, v[2:3]
	v_lshrrev_b32_e32 v14, 3, v12
	v_sub_u32_e32 v3, 29, v15
	v_and_b32_e32 v2, 7, v2
	v_cmp_gt_u32_e32 vcc, 8, v12
	v_mov_b32_e32 v12, 24
	v_cndmask_b32_e32 v3, v14, v3, vcc
	v_cndmask_b32_e32 v2, v13, v2, vcc
	v_lshlrev_b32_sdwa v12, v12, v4 dst_sel:DWORD dst_unused:UNUSED_PAD src0_sel:DWORD src1_sel:WORD_1
	v_bfrev_b32_e32 v13, 60
	v_lshlrev_b32_e32 v2, 20, v2
	v_and_b32_e32 v12, 0x80000000, v12
	v_lshl_add_u32 v3, v3, 23, v13
	v_or3_b32 v3, v12, v3, v2
.LBB575_751:
	s_or_b64 exec, exec, s[10:11]
.LBB575_752:
	s_or_b64 exec, exec, s[8:9]
.LBB575_753:
	s_or_b64 exec, exec, s[2:3]
	s_mov_b32 s2, 0xffffff
	v_cmp_lt_u32_e32 vcc, s2, v4
	v_mov_b32_e32 v12, 0
	v_mov_b32_e32 v13, 0
	s_and_saveexec_b64 s[2:3], vcc
	s_cbranch_execz .LBB575_759
; %bb.754:
	v_lshrrev_b32_e32 v2, 24, v4
	s_movk_i32 s7, 0x80
	v_cmp_ne_u32_e32 vcc, s7, v2
	v_bfrev_b32_e32 v13, 1
	s_and_saveexec_b64 s[8:9], vcc
	s_cbranch_execz .LBB575_758
; %bb.755:
	v_bfe_u32 v4, v4, 24, 7
	s_movk_i32 s7, 0x7f
	v_cmp_ne_u32_e32 vcc, s7, v4
	v_mov_b32_e32 v13, 0x7f800001
	s_and_saveexec_b64 s[10:11], vcc
	s_cbranch_execz .LBB575_757
; %bb.756:
	v_and_b32_e32 v13, 7, v2
	v_ffbh_u32_e32 v14, v13
	v_min_u32_e32 v17, 32, v14
	v_subrev_u32_e32 v14, 28, v17
	v_lshlrev_b64 v[14:15], v14, v[2:3]
	v_lshrrev_b32_e32 v16, 3, v4
	v_sub_u32_e32 v15, 29, v17
	v_and_b32_e32 v14, 7, v14
	v_cmp_gt_u32_e32 vcc, 8, v4
	v_cndmask_b32_e32 v4, v16, v15, vcc
	v_cndmask_b32_e32 v13, v13, v14, vcc
	v_lshlrev_b32_e32 v2, 24, v2
	v_bfrev_b32_e32 v14, 60
	v_lshlrev_b32_e32 v13, 20, v13
	v_and_b32_e32 v2, 0x80000000, v2
	v_lshl_add_u32 v4, v4, 23, v14
	v_or3_b32 v13, v2, v4, v13
.LBB575_757:
	s_or_b64 exec, exec, s[10:11]
.LBB575_758:
	s_or_b64 exec, exec, s[8:9]
.LBB575_759:
	s_or_b64 exec, exec, s[2:3]
	v_cmp_ne_u16_sdwa s[8:9], v5, v12 src0_sel:BYTE_0 src1_sel:DWORD
	s_and_saveexec_b64 s[2:3], s[8:9]
	s_cbranch_execz .LBB575_765
; %bb.760:
	s_movk_i32 s7, 0x80
	v_cmp_ne_u16_sdwa s[10:11], v5, s7 src0_sel:BYTE_0 src1_sel:DWORD
	v_bfrev_b32_e32 v12, 1
	s_and_saveexec_b64 s[8:9], s[10:11]
	s_cbranch_execz .LBB575_764
; %bb.761:
	s_movk_i32 s7, 0x7f
	v_and_b32_e32 v2, 0x7f, v5
	v_cmp_ne_u32_e32 vcc, s7, v2
	v_mov_b32_e32 v12, 0x7f800001
	s_and_saveexec_b64 s[10:11], vcc
	s_cbranch_execz .LBB575_763
; %bb.762:
	v_and_b32_e32 v12, 7, v5
	v_ffbh_u32_e32 v14, v12
	v_min_u32_e32 v17, 32, v14
	v_mov_b32_e32 v4, v5
	v_subrev_u32_e32 v14, 28, v17
	v_lshlrev_b64 v[14:15], v14, v[4:5]
	v_lshrrev_b32_e32 v16, 3, v2
	v_sub_u32_e32 v4, 29, v17
	v_and_b32_e32 v14, 7, v14
	v_cmp_gt_u32_e32 vcc, 8, v2
	v_cndmask_b32_e32 v2, v16, v4, vcc
	v_cndmask_b32_e32 v4, v12, v14, vcc
	v_lshlrev_b32_e32 v12, 24, v5
	v_bfrev_b32_e32 v14, 60
	v_lshlrev_b32_e32 v4, 20, v4
	v_and_b32_e32 v12, 0x80000000, v12
	v_lshl_add_u32 v2, v2, 23, v14
	v_or3_b32 v12, v12, v2, v4
.LBB575_763:
	s_or_b64 exec, exec, s[10:11]
.LBB575_764:
	s_or_b64 exec, exec, s[8:9]
.LBB575_765:
	s_or_b64 exec, exec, s[2:3]
	v_lshrrev_b16_e32 v2, 8, v5
	v_cmp_ne_u16_e32 vcc, 0, v2
	v_mov_b32_e32 v4, 0
	v_mov_b32_e32 v14, 0
	s_and_saveexec_b64 s[2:3], vcc
	s_cbranch_execz .LBB575_771
; %bb.766:
	s_movk_i32 s7, 0x80
	v_cmp_ne_u16_e32 vcc, s7, v2
	v_bfrev_b32_e32 v14, 1
	s_and_saveexec_b64 s[8:9], vcc
	s_cbranch_execz .LBB575_770
; %bb.767:
	s_movk_i32 s7, 0x7f
	v_and_b32_e32 v15, 0x7f, v2
	v_cmp_ne_u32_e32 vcc, s7, v15
	v_mov_b32_e32 v14, 0x7f800001
	s_and_saveexec_b64 s[10:11], vcc
	s_cbranch_execz .LBB575_769
; %bb.768:
	v_and_b32_e32 v14, 7, v2
	v_ffbh_u32_e32 v16, v14
	v_min_u32_e32 v19, 32, v16
	v_subrev_u32_e32 v16, 28, v19
	v_lshlrev_b64 v[16:17], v16, v[2:3]
	v_lshrrev_b32_e32 v18, 3, v15
	v_sub_u32_e32 v2, 29, v19
	v_and_b32_e32 v16, 7, v16
	v_cmp_gt_u32_e32 vcc, 8, v15
	v_cndmask_b32_e32 v2, v18, v2, vcc
	v_cndmask_b32_e32 v14, v14, v16, vcc
	v_lshlrev_b32_e32 v15, 16, v5
	v_bfrev_b32_e32 v16, 60
	v_lshlrev_b32_e32 v14, 20, v14
	v_and_b32_e32 v15, 0x80000000, v15
	v_lshl_add_u32 v2, v2, 23, v16
	v_or3_b32 v14, v15, v2, v14
.LBB575_769:
	s_or_b64 exec, exec, s[10:11]
.LBB575_770:
	s_or_b64 exec, exec, s[8:9]
.LBB575_771:
	s_or_b64 exec, exec, s[2:3]
	s_movk_i32 s2, 0xff
	v_and_b32_sdwa v15, v5, s2 dst_sel:DWORD dst_unused:UNUSED_PAD src0_sel:WORD_1 src1_sel:DWORD
	v_lshrrev_b32_e32 v2, 16, v5
	v_cmp_ne_u16_e32 vcc, 0, v15
	s_and_saveexec_b64 s[2:3], vcc
	s_cbranch_execz .LBB575_777
; %bb.772:
	s_movk_i32 s7, 0x80
	v_cmp_ne_u16_e32 vcc, s7, v15
	v_bfrev_b32_e32 v4, 1
	s_and_saveexec_b64 s[8:9], vcc
	s_cbranch_execz .LBB575_776
; %bb.773:
	v_bfe_u32 v15, v5, 16, 7
	s_movk_i32 s7, 0x7f
	v_cmp_ne_u32_e32 vcc, s7, v15
	v_mov_b32_e32 v4, 0x7f800001
	s_and_saveexec_b64 s[10:11], vcc
	s_cbranch_execz .LBB575_775
; %bb.774:
	v_and_b32_e32 v4, 7, v2
	v_ffbh_u32_e32 v16, v4
	v_min_u32_e32 v19, 32, v16
	v_subrev_u32_e32 v16, 28, v19
	v_lshlrev_b64 v[16:17], v16, v[2:3]
	v_lshrrev_b32_e32 v18, 3, v15
	v_sub_u32_e32 v2, 29, v19
	v_and_b32_e32 v16, 7, v16
	v_cmp_gt_u32_e32 vcc, 8, v15
	v_mov_b32_e32 v15, 24
	v_cndmask_b32_e32 v2, v18, v2, vcc
	v_cndmask_b32_e32 v4, v4, v16, vcc
	v_lshlrev_b32_sdwa v15, v15, v5 dst_sel:DWORD dst_unused:UNUSED_PAD src0_sel:DWORD src1_sel:WORD_1
	v_bfrev_b32_e32 v16, 60
	v_lshlrev_b32_e32 v4, 20, v4
	v_and_b32_e32 v15, 0x80000000, v15
	v_lshl_add_u32 v2, v2, 23, v16
	v_or3_b32 v4, v15, v2, v4
.LBB575_775:
	s_or_b64 exec, exec, s[10:11]
.LBB575_776:
	s_or_b64 exec, exec, s[8:9]
.LBB575_777:
	s_or_b64 exec, exec, s[2:3]
	s_mov_b32 s2, 0xffffff
	v_cmp_lt_u32_e32 vcc, s2, v5
	v_mov_b32_e32 v15, 0
	s_and_saveexec_b64 s[2:3], vcc
	s_cbranch_execz .LBB575_783
; %bb.778:
	v_lshrrev_b32_e32 v2, 24, v5
	s_movk_i32 s7, 0x80
	v_cmp_ne_u32_e32 vcc, s7, v2
	v_bfrev_b32_e32 v15, 1
	s_and_saveexec_b64 s[8:9], vcc
	s_cbranch_execz .LBB575_782
; %bb.779:
	v_bfe_u32 v5, v5, 24, 7
	s_movk_i32 s7, 0x7f
	v_cmp_ne_u32_e32 vcc, s7, v5
	v_mov_b32_e32 v15, 0x7f800001
	s_and_saveexec_b64 s[10:11], vcc
	s_cbranch_execz .LBB575_781
; %bb.780:
	v_and_b32_e32 v15, 7, v2
	v_ffbh_u32_e32 v16, v15
	v_min_u32_e32 v19, 32, v16
	v_subrev_u32_e32 v16, 28, v19
	v_lshlrev_b64 v[16:17], v16, v[2:3]
	v_lshrrev_b32_e32 v18, 3, v5
	v_sub_u32_e32 v17, 29, v19
	v_and_b32_e32 v16, 7, v16
	v_cmp_gt_u32_e32 vcc, 8, v5
	v_cndmask_b32_e32 v5, v18, v17, vcc
	v_cndmask_b32_e32 v15, v15, v16, vcc
	v_lshlrev_b32_e32 v2, 24, v2
	v_bfrev_b32_e32 v16, 60
	v_lshlrev_b32_e32 v15, 20, v15
	v_and_b32_e32 v2, 0x80000000, v2
	v_lshl_add_u32 v5, v5, 23, v16
	v_or3_b32 v15, v2, v5, v15
.LBB575_781:
	s_or_b64 exec, exec, s[10:11]
.LBB575_782:
	s_or_b64 exec, exec, s[8:9]
.LBB575_783:
	s_or_b64 exec, exec, s[2:3]
	v_cvt_pkrtz_f16_f32 v2, v10, v11
	v_cvt_pkrtz_f16_f32 v3, v3, v13
	ds_read_b128 v[16:19], v22 offset:6160
	s_load_dword s2, s[42:43], 0x0
	v_cmp_gt_u32_e32 vcc, 64, v0
	s_waitcnt lgkmcnt(0)
	v_mfma_f32_16x16x16f16 v[6:9], v[2:3], v[16:17], v[6:9]
	v_cvt_pkrtz_f16_f32 v2, v12, v14
	v_cvt_pkrtz_f16_f32 v3, v4, v15
	s_barrier
	s_nop 0
	v_mfma_f32_16x16x16f16 v[2:5], v[2:3], v[18:19], v[6:9]
	s_nop 7
	s_nop 2
	v_pk_mul_f32 v[4:5], v[4:5], s[2:3] op_sel_hi:[1,0]
	v_pk_mul_f32 v[2:3], v[2:3], s[2:3] op_sel_hi:[1,0]
	v_cvt_f16_f32_e32 v2, v2
	v_cvt_f16_f32_e32 v3, v3
	;; [unrolled: 1-line block ×4, first 2 shown]
	v_cmp_gt_u32_e64 s[2:3], 32, v42
	s_and_b64 s[2:3], s[2:3], vcc
	v_pack_b32_f16 v2, v2, v3
	v_pack_b32_f16 v3, v4, v5
	s_and_b64 s[0:1], s[2:3], s[0:1]
	ds_write_b64 v28, v[2:3]
	s_waitcnt lgkmcnt(0)
	s_barrier
	s_and_saveexec_b64 s[2:3], s[0:1]
	s_cbranch_execz .LBB575_785
; %bb.784:
	s_load_dwordx2 s[0:1], s[4:5], 0x68
	s_mul_i32 s2, s12, s6
	s_lshl_b32 s4, s44, 6
	s_mul_hi_u32 s3, s2, s4
	s_mul_i32 s2, s2, s4
	s_lshl_b64 s[2:3], s[2:3], 1
	v_lshlrev_b32_e32 v0, 10, v0
	s_waitcnt lgkmcnt(0)
	s_add_u32 s2, s0, s2
	v_and_b32_e32 v0, 0x1800, v0
	v_lshlrev_b32_e32 v2, 5, v1
	v_and_b32_e32 v3, 16, v47
	s_addc_u32 s3, s1, s3
	s_lshl_b32 s0, s24, 6
	s_mov_b32 s1, 0
	v_or3_b32 v0, v0, v2, v3
	s_lshl_b64 s[0:1], s[0:1], 1
	ds_read_b128 v[2:5], v0
	s_add_u32 s2, s2, s0
	v_or_b32_e32 v0, s25, v1
	s_addc_u32 s3, s3, s1
	v_mad_u64_u32 v[0:1], s[0:1], s4, v0, 0
	v_lshlrev_b64 v[0:1], 1, v[0:1]
	v_mov_b32_e32 v6, s3
	v_add_co_u32_e32 v0, vcc, s2, v0
	v_addc_co_u32_e32 v1, vcc, v6, v1, vcc
	v_add_co_u32_e32 v0, vcc, v0, v46
	v_addc_co_u32_e32 v1, vcc, 0, v1, vcc
	s_waitcnt lgkmcnt(0)
	global_store_dwordx4 v[0:1], v[2:5], off
.LBB575_785:
	s_endpgm
	.section	.rodata,"a",@progbits
	.p2align	6, 0x0
	.amdhsa_kernel _Z39paged_attention_ll4mi_QKV_mfma16_kernelIDF16_hLN4vllm18Fp8KVCacheDataTypeE1EDF16_Li16ELi64ELi256ELb0ELi2EL8MFMAType0EEvPKT_PKT0_S8_ifPKiSA_SA_iPKfiiiPfSD_PS3_PT2_iSC_SC_
		.amdhsa_group_segment_fixed_size 8192
		.amdhsa_private_segment_fixed_size 0
		.amdhsa_kernarg_size 400
		.amdhsa_user_sgpr_count 6
		.amdhsa_user_sgpr_private_segment_buffer 1
		.amdhsa_user_sgpr_dispatch_ptr 0
		.amdhsa_user_sgpr_queue_ptr 0
		.amdhsa_user_sgpr_kernarg_segment_ptr 1
		.amdhsa_user_sgpr_dispatch_id 0
		.amdhsa_user_sgpr_flat_scratch_init 0
		.amdhsa_user_sgpr_kernarg_preload_length 0
		.amdhsa_user_sgpr_kernarg_preload_offset 0
		.amdhsa_user_sgpr_private_segment_size 0
		.amdhsa_uses_dynamic_stack 0
		.amdhsa_system_sgpr_private_segment_wavefront_offset 0
		.amdhsa_system_sgpr_workgroup_id_x 1
		.amdhsa_system_sgpr_workgroup_id_y 1
		.amdhsa_system_sgpr_workgroup_id_z 1
		.amdhsa_system_sgpr_workgroup_info 0
		.amdhsa_system_vgpr_workitem_id 0
		.amdhsa_next_free_vgpr 61
		.amdhsa_next_free_sgpr 47
		.amdhsa_accum_offset 64
		.amdhsa_reserve_vcc 1
		.amdhsa_reserve_flat_scratch 0
		.amdhsa_float_round_mode_32 0
		.amdhsa_float_round_mode_16_64 0
		.amdhsa_float_denorm_mode_32 3
		.amdhsa_float_denorm_mode_16_64 3
		.amdhsa_dx10_clamp 1
		.amdhsa_ieee_mode 1
		.amdhsa_fp16_overflow 0
		.amdhsa_tg_split 0
		.amdhsa_exception_fp_ieee_invalid_op 0
		.amdhsa_exception_fp_denorm_src 0
		.amdhsa_exception_fp_ieee_div_zero 0
		.amdhsa_exception_fp_ieee_overflow 0
		.amdhsa_exception_fp_ieee_underflow 0
		.amdhsa_exception_fp_ieee_inexact 0
		.amdhsa_exception_int_div_zero 0
	.end_amdhsa_kernel
	.section	.text._Z39paged_attention_ll4mi_QKV_mfma16_kernelIDF16_hLN4vllm18Fp8KVCacheDataTypeE1EDF16_Li16ELi64ELi256ELb0ELi2EL8MFMAType0EEvPKT_PKT0_S8_ifPKiSA_SA_iPKfiiiPfSD_PS3_PT2_iSC_SC_,"axG",@progbits,_Z39paged_attention_ll4mi_QKV_mfma16_kernelIDF16_hLN4vllm18Fp8KVCacheDataTypeE1EDF16_Li16ELi64ELi256ELb0ELi2EL8MFMAType0EEvPKT_PKT0_S8_ifPKiSA_SA_iPKfiiiPfSD_PS3_PT2_iSC_SC_,comdat
.Lfunc_end575:
	.size	_Z39paged_attention_ll4mi_QKV_mfma16_kernelIDF16_hLN4vllm18Fp8KVCacheDataTypeE1EDF16_Li16ELi64ELi256ELb0ELi2EL8MFMAType0EEvPKT_PKT0_S8_ifPKiSA_SA_iPKfiiiPfSD_PS3_PT2_iSC_SC_, .Lfunc_end575-_Z39paged_attention_ll4mi_QKV_mfma16_kernelIDF16_hLN4vllm18Fp8KVCacheDataTypeE1EDF16_Li16ELi64ELi256ELb0ELi2EL8MFMAType0EEvPKT_PKT0_S8_ifPKiSA_SA_iPKfiiiPfSD_PS3_PT2_iSC_SC_
                                        ; -- End function
	.section	.AMDGPU.csdata,"",@progbits
; Kernel info:
; codeLenInByte = 26844
; NumSgprs: 51
; NumVgprs: 61
; NumAgprs: 0
; TotalNumVgprs: 61
; ScratchSize: 0
; MemoryBound: 0
; FloatMode: 240
; IeeeMode: 1
; LDSByteSize: 8192 bytes/workgroup (compile time only)
; SGPRBlocks: 6
; VGPRBlocks: 7
; NumSGPRsForWavesPerEU: 51
; NumVGPRsForWavesPerEU: 61
; AccumOffset: 64
; Occupancy: 8
; WaveLimiterHint : 1
; COMPUTE_PGM_RSRC2:SCRATCH_EN: 0
; COMPUTE_PGM_RSRC2:USER_SGPR: 6
; COMPUTE_PGM_RSRC2:TRAP_HANDLER: 0
; COMPUTE_PGM_RSRC2:TGID_X_EN: 1
; COMPUTE_PGM_RSRC2:TGID_Y_EN: 1
; COMPUTE_PGM_RSRC2:TGID_Z_EN: 1
; COMPUTE_PGM_RSRC2:TIDIG_COMP_CNT: 0
; COMPUTE_PGM_RSRC3_GFX90A:ACCUM_OFFSET: 15
; COMPUTE_PGM_RSRC3_GFX90A:TG_SPLIT: 0
	.section	.text._Z39paged_attention_ll4mi_QKV_mfma16_kernelIDF16_hLN4vllm18Fp8KVCacheDataTypeE1EDF16_Li16ELi64ELi256ELb0ELi3EL8MFMAType0EEvPKT_PKT0_S8_ifPKiSA_SA_iPKfiiiPfSD_PS3_PT2_iSC_SC_,"axG",@progbits,_Z39paged_attention_ll4mi_QKV_mfma16_kernelIDF16_hLN4vllm18Fp8KVCacheDataTypeE1EDF16_Li16ELi64ELi256ELb0ELi3EL8MFMAType0EEvPKT_PKT0_S8_ifPKiSA_SA_iPKfiiiPfSD_PS3_PT2_iSC_SC_,comdat
	.protected	_Z39paged_attention_ll4mi_QKV_mfma16_kernelIDF16_hLN4vllm18Fp8KVCacheDataTypeE1EDF16_Li16ELi64ELi256ELb0ELi3EL8MFMAType0EEvPKT_PKT0_S8_ifPKiSA_SA_iPKfiiiPfSD_PS3_PT2_iSC_SC_ ; -- Begin function _Z39paged_attention_ll4mi_QKV_mfma16_kernelIDF16_hLN4vllm18Fp8KVCacheDataTypeE1EDF16_Li16ELi64ELi256ELb0ELi3EL8MFMAType0EEvPKT_PKT0_S8_ifPKiSA_SA_iPKfiiiPfSD_PS3_PT2_iSC_SC_
	.globl	_Z39paged_attention_ll4mi_QKV_mfma16_kernelIDF16_hLN4vllm18Fp8KVCacheDataTypeE1EDF16_Li16ELi64ELi256ELb0ELi3EL8MFMAType0EEvPKT_PKT0_S8_ifPKiSA_SA_iPKfiiiPfSD_PS3_PT2_iSC_SC_
	.p2align	8
	.type	_Z39paged_attention_ll4mi_QKV_mfma16_kernelIDF16_hLN4vllm18Fp8KVCacheDataTypeE1EDF16_Li16ELi64ELi256ELb0ELi3EL8MFMAType0EEvPKT_PKT0_S8_ifPKiSA_SA_iPKfiiiPfSD_PS3_PT2_iSC_SC_,@function
_Z39paged_attention_ll4mi_QKV_mfma16_kernelIDF16_hLN4vllm18Fp8KVCacheDataTypeE1EDF16_Li16ELi64ELi256ELb0ELi3EL8MFMAType0EEvPKT_PKT0_S8_ifPKiSA_SA_iPKfiiiPfSD_PS3_PT2_iSC_SC_: ; @_Z39paged_attention_ll4mi_QKV_mfma16_kernelIDF16_hLN4vllm18Fp8KVCacheDataTypeE1EDF16_Li16ELi64ELi256ELb0ELi3EL8MFMAType0EEvPKT_PKT0_S8_ifPKiSA_SA_iPKfiiiPfSD_PS3_PT2_iSC_SC_
; %bb.0:
	s_load_dwordx2 s[0:1], s[4:5], 0x30
	s_mov_b32 s24, s7
	s_mov_b64 s[10:11], 0
	s_waitcnt lgkmcnt(0)
	s_cmp_lg_u64 s[0:1], 0
	s_cselect_b64 s[2:3], -1, 0
	s_and_b64 vcc, exec, s[2:3]
	s_cbranch_vccz .LBB576_7
; %bb.1:
	s_add_i32 s12, s6, 1
	s_mov_b32 s13, 0
	s_lshl_b64 s[14:15], s[12:13], 2
	s_add_u32 s14, s0, s14
	s_mov_b32 s7, s13
	s_addc_u32 s15, s1, s15
	s_lshl_b64 s[12:13], s[6:7], 2
	s_add_u32 s12, s0, s12
	s_addc_u32 s13, s1, s13
	s_load_dword s9, s[14:15], 0x0
	s_load_dword s16, s[12:13], 0x0
	s_waitcnt lgkmcnt(0)
	s_sub_i32 s9, s9, s16
	s_cmp_eq_u32 s9, 1
	s_cselect_b64 s[12:13], -1, 0
	s_andn2_b64 vcc, exec, s[10:11]
	s_cbranch_vccnz .LBB576_3
.LBB576_2:
	s_mov_b32 s7, 0
	s_mov_b64 s[12:13], -1
.LBB576_3:
	s_andn2_b64 vcc, exec, s[12:13]
	s_cbranch_vccnz .LBB576_785
; %bb.4:
	s_load_dwordx2 s[12:13], s[4:5], 0x28
	s_lshl_b64 s[10:11], s[6:7], 2
	s_waitcnt lgkmcnt(0)
	s_add_u32 s12, s12, s10
	s_addc_u32 s13, s13, s11
	s_load_dword s33, s[12:13], 0x0
	s_lshl_b32 s20, s24, 8
	s_waitcnt lgkmcnt(0)
	s_cmp_ge_i32 s20, s33
	s_cbranch_scc1 .LBB576_785
; %bb.5:
	s_add_i32 s14, s33, 15
	s_load_dwordx2 s[12:13], s[4:5], 0x20
	s_load_dword s9, s[4:5], 0x38
	s_ashr_i32 s15, s14, 31
	v_and_b32_e32 v1, 0xcf, v0
	s_lshr_b32 s15, s15, 28
	v_add_u32_e32 v1, s20, v1
	s_add_i32 s14, s14, s15
	v_ashrrev_i32_e32 v2, 31, v1
	s_ashr_i32 s22, s14, 4
	v_lshrrev_b32_e32 v4, 28, v2
	s_add_i32 s22, s22, -1
	v_add_u32_e32 v2, v1, v4
	s_waitcnt lgkmcnt(0)
	s_mul_i32 s14, s6, s9
	s_mov_b32 s15, 0
	v_ashrrev_i32_e32 v2, 4, v2
	v_mov_b32_e32 v5, s22
	v_cmp_gt_i32_e32 vcc, s33, v1
	s_lshl_b64 s[14:15], s[14:15], 2
	v_cndmask_b32_e32 v2, v5, v2, vcc
	s_add_u32 s9, s12, s14
	v_ashrrev_i32_e32 v3, 31, v2
	s_addc_u32 s21, s13, s15
	v_lshlrev_b64 v[2:3], 2, v[2:3]
	v_mov_b32_e32 v7, s21
	v_add_co_u32_e32 v6, vcc, s9, v2
	v_or_b32_e32 v2, 16, v1
	v_addc_co_u32_e32 v7, vcc, v7, v3, vcc
	v_add_u32_e32 v3, v2, v4
	v_ashrrev_i32_e32 v3, 4, v3
	v_cmp_gt_i32_e32 vcc, s33, v2
	v_cndmask_b32_e32 v2, v5, v3, vcc
	v_ashrrev_i32_e32 v3, 31, v2
	v_lshlrev_b64 v[2:3], 2, v[2:3]
	v_mov_b32_e32 v9, s21
	v_add_co_u32_e32 v8, vcc, s9, v2
	v_or_b32_e32 v2, 32, v1
	v_addc_co_u32_e32 v9, vcc, v9, v3, vcc
	v_add_u32_e32 v3, v2, v4
	v_ashrrev_i32_e32 v3, 4, v3
	v_cmp_gt_i32_e32 vcc, s33, v2
	v_cndmask_b32_e32 v2, v5, v3, vcc
	v_ashrrev_i32_e32 v3, 31, v2
	;; [unrolled: 10-line block ×3, first 2 shown]
	v_lshlrev_b64 v[2:3], 2, v[2:3]
	v_mov_b32_e32 v1, s21
	v_add_co_u32_e32 v12, vcc, s9, v2
	v_addc_co_u32_e32 v13, vcc, v1, v3, vcc
	global_load_dword v4, v[6:7], off
	global_load_dword v5, v[8:9], off
	;; [unrolled: 1-line block ×4, first 2 shown]
	s_load_dwordx4 s[12:15], s[4:5], 0x8
	s_andn2_b64 vcc, exec, s[2:3]
	s_cbranch_vccnz .LBB576_8
; %bb.6:
	s_add_u32 s0, s0, s10
	s_addc_u32 s1, s1, s11
	s_load_dword s10, s[0:1], 0x0
	s_branch .LBB576_9
.LBB576_7:
	s_mov_b64 s[12:13], 0
	s_branch .LBB576_2
.LBB576_8:
	s_mov_b32 s10, s6
.LBB576_9:
	s_load_dwordx4 s[16:19], s[4:5], 0x48
	v_lshrrev_b32_e32 v50, 6, v0
	v_bfe_u32 v47, v0, 4, 2
	v_lshl_or_b32 v6, v50, 2, v47
	v_and_b32_e32 v49, 15, v0
	s_mul_i32 s25, s8, 3
	v_lshlrev_b32_e32 v1, 3, v49
	v_cmp_gt_u32_e32 vcc, 3, v6
	v_cmp_gt_u32_e64 s[0:1], 8, v49
	v_add_u32_e32 v46, s25, v47
	s_and_b64 s[26:27], s[0:1], vcc
	v_lshlrev_b32_e32 v1, 1, v1
	v_lshlrev_b32_e32 v48, 4, v0
	s_and_saveexec_b64 s[2:3], s[26:27]
	s_cbranch_execz .LBB576_11
; %bb.10:
	s_load_dwordx2 s[26:27], s[4:5], 0x0
	s_waitcnt lgkmcnt(0)
	s_ashr_i32 s11, s16, 31
	s_mul_hi_u32 s19, s10, s16
	s_mul_i32 s11, s10, s11
	s_add_i32 s11, s19, s11
	s_mul_i32 s10, s10, s16
	s_lshl_b64 s[10:11], s[10:11], 1
	v_lshlrev_b32_e32 v8, 6, v46
	s_add_u32 s10, s26, s10
	v_ashrrev_i32_e32 v9, 31, v8
	s_addc_u32 s11, s27, s11
	v_lshlrev_b64 v[8:9], 1, v[8:9]
	v_mov_b32_e32 v7, s11
	v_add_co_u32_e32 v8, vcc, s10, v8
	v_addc_co_u32_e32 v7, vcc, v7, v9, vcc
	v_add_co_u32_e32 v8, vcc, v8, v1
	v_addc_co_u32_e32 v9, vcc, 0, v7, vcc
	global_load_dwordx4 v[8:11], v[8:9], off
	v_lshlrev_b32_e32 v12, 8, v49
	v_lshlrev_b32_e32 v6, 5, v6
	v_and_b32_e32 v7, 16, v48
	v_and_b32_e32 v12, 0xe00, v12
	v_or3_b32 v6, v12, v6, v7
	s_waitcnt vmcnt(0)
	ds_write_b128 v6, v[8:11]
.LBB576_11:
	s_or_b64 exec, exec, s[2:3]
	v_and_b32_e32 v12, 48, v0
	v_or_b32_e32 v13, s20, v12
	v_ashrrev_i32_e32 v6, 4, v13
	v_mov_b32_e32 v14, s22
	v_cmp_gt_i32_e32 vcc, s33, v13
	v_cndmask_b32_e32 v6, v14, v6, vcc
	v_ashrrev_i32_e32 v7, 31, v6
	v_lshlrev_b64 v[6:7], 2, v[6:7]
	v_mov_b32_e32 v8, s21
	v_add_co_u32_e32 v6, vcc, s9, v6
	v_addc_co_u32_e32 v7, vcc, v8, v7, vcc
	v_or_b32_e32 v8, 64, v13
	v_ashrrev_i32_e32 v9, 4, v8
	v_cmp_gt_i32_e32 vcc, s33, v8
	v_cndmask_b32_e32 v8, v14, v9, vcc
	v_ashrrev_i32_e32 v9, 31, v8
	v_lshlrev_b64 v[8:9], 2, v[8:9]
	v_mov_b32_e32 v10, s21
	v_add_co_u32_e32 v8, vcc, s9, v8
	v_addc_co_u32_e32 v9, vcc, v10, v9, vcc
	v_or_b32_e32 v10, 0x80, v13
	v_ashrrev_i32_e32 v11, 4, v10
	v_cmp_gt_i32_e32 vcc, s33, v10
	v_cndmask_b32_e32 v10, v14, v11, vcc
	v_ashrrev_i32_e32 v11, 31, v10
	v_lshlrev_b64 v[10:11], 2, v[10:11]
	v_mov_b32_e32 v15, s21
	v_add_co_u32_e32 v10, vcc, s9, v10
	s_load_dwordx2 s[44:45], s[4:5], 0x94
	s_load_dwordx4 s[40:43], s[4:5], 0x80
	s_waitcnt lgkmcnt(0)
	s_barrier
	v_addc_co_u32_e32 v11, vcc, v15, v11, vcc
	global_load_dword v15, v[6:7], off
	global_load_dword v16, v[8:9], off
	;; [unrolled: 1-line block ×3, first 2 shown]
	v_or_b32_e32 v6, 0xc0, v13
	v_ashrrev_i32_e32 v7, 4, v6
	v_cmp_gt_i32_e32 vcc, s33, v6
	v_cndmask_b32_e32 v6, v14, v7, vcc
	v_ashrrev_i32_e32 v7, 31, v6
	v_lshlrev_b64 v[6:7], 2, v[6:7]
	v_mov_b32_e32 v8, s21
	v_add_co_u32_e32 v6, vcc, s9, v6
	v_addc_co_u32_e32 v7, vcc, v8, v7, vcc
	global_load_dword v20, v[6:7], off
	s_mul_i32 s8, s8, s18
	s_add_u32 s2, s12, s8
	s_addc_u32 s3, s13, 0
	v_and_b32_e32 v6, 0xf0, v48
	v_mov_b32_e32 v7, s3
	v_add_co_u32_e32 v6, vcc, s2, v6
	v_addc_co_u32_e32 v7, vcc, 0, v7, vcc
	v_lshlrev_b32_e32 v8, 4, v12
	v_add_co_u32_e32 v6, vcc, v6, v8
	v_addc_co_u32_e32 v7, vcc, 0, v7, vcc
	s_waitcnt vmcnt(7)
	v_mad_i64_i32 v[8:9], s[2:3], v4, s17, v[6:7]
	s_waitcnt vmcnt(6)
	v_mad_i64_i32 v[4:5], s[2:3], v5, s17, v[6:7]
	global_load_dwordx4 v[30:33], v[8:9], off
	global_load_dwordx4 v[38:41], v[4:5], off
	s_waitcnt vmcnt(7)
	v_mad_i64_i32 v[4:5], s[2:3], v2, s17, v[6:7]
	s_waitcnt vmcnt(6)
	v_mad_i64_i32 v[2:3], s[2:3], v3, s17, v[6:7]
	global_load_dwordx4 v[34:37], v[4:5], off
	global_load_dwordx4 v[22:25], v[2:3], off
	s_add_u32 s2, s14, s8
	v_lshlrev_b32_e32 v2, 4, v49
	s_addc_u32 s3, s15, 0
	v_lshl_or_b32 v2, v50, 8, v2
	v_mov_b32_e32 v3, s3
	v_add_co_u32_e32 v2, vcc, s2, v2
	v_addc_co_u32_e32 v3, vcc, 0, v3, vcc
	v_mov_b32_e32 v43, 0
	s_movk_i32 s8, 0x80
	v_mov_b32_e32 v44, 0
	s_waitcnt vmcnt(7)
	v_mad_i64_i32 v[4:5], s[2:3], v15, s17, v[2:3]
	s_waitcnt vmcnt(6)
	v_mad_i64_i32 v[6:7], s[2:3], v16, s17, v[2:3]
	;; [unrolled: 2-line block ×3, first 2 shown]
	global_load_dwordx4 v[14:17], v[4:5], off
	global_load_dwordx4 v[10:13], v[6:7], off
	s_waitcnt vmcnt(6)
	v_mad_i64_i32 v[20:21], s[2:3], v20, s17, v[2:3]
	global_load_dwordx4 v[6:9], v[18:19], off
	global_load_dwordx4 v[2:5], v[20:21], off
	v_mul_lo_u16_e32 v18, 0x56, v49
	v_mov_b32_e32 v19, 3
	v_mul_lo_u16_sdwa v18, v18, v19 dst_sel:DWORD dst_unused:UNUSED_PAD src0_sel:BYTE_1 src1_sel:DWORD
	v_sub_u16_e32 v18, v49, v18
	v_mov_b32_e32 v19, 5
	v_lshlrev_b32_sdwa v18, v19, v18 dst_sel:DWORD dst_unused:UNUSED_PAD src0_sel:DWORD src1_sel:BYTE_0
	v_lshl_add_u32 v18, v47, 9, v18
	ds_read_b128 v[26:29], v18
	ds_read_b128 v[18:21], v18 offset:16
	s_load_dword s12, s[40:41], 0x0
	s_waitcnt vmcnt(7)
	v_cmp_ne_u16_sdwa s[10:11], v30, v43 src0_sel:BYTE_0 src1_sel:DWORD
	s_and_saveexec_b64 s[2:3], s[10:11]
	s_cbranch_execz .LBB576_17
; %bb.12:
	v_cmp_ne_u16_sdwa s[10:11], v30, s8 src0_sel:BYTE_0 src1_sel:DWORD
	v_bfrev_b32_e32 v44, 1
	s_and_saveexec_b64 s[8:9], s[10:11]
	s_cbranch_execz .LBB576_16
; %bb.13:
	s_movk_i32 s10, 0x7f
	v_and_b32_e32 v42, 0x7f, v30
	v_cmp_ne_u32_e32 vcc, s10, v42
	v_mov_b32_e32 v44, 0x7f800001
	s_and_saveexec_b64 s[10:11], vcc
	s_cbranch_execz .LBB576_15
; %bb.14:
	v_and_b32_e32 v51, 7, v30
	v_ffbh_u32_e32 v44, v51
	v_min_u32_e32 v53, 32, v44
	v_subrev_u32_e32 v44, 28, v53
	v_lshlrev_b64 v[44:45], v44, v[30:31]
	v_lshrrev_b32_e32 v52, 3, v42
	v_sub_u32_e32 v45, 29, v53
	v_and_b32_e32 v44, 7, v44
	v_cmp_gt_u32_e32 vcc, 8, v42
	v_cndmask_b32_e32 v42, v52, v45, vcc
	v_cndmask_b32_e32 v44, v51, v44, vcc
	v_lshlrev_b32_e32 v45, 24, v30
	v_bfrev_b32_e32 v51, 60
	v_lshlrev_b32_e32 v44, 20, v44
	v_and_b32_e32 v45, 0x80000000, v45
	v_lshl_add_u32 v42, v42, 23, v51
	v_or3_b32 v44, v45, v42, v44
.LBB576_15:
	s_or_b64 exec, exec, s[10:11]
.LBB576_16:
	s_or_b64 exec, exec, s[8:9]
.LBB576_17:
	s_or_b64 exec, exec, s[2:3]
	v_lshrrev_b16_e32 v42, 8, v30
	v_cmp_ne_u16_e32 vcc, 0, v42
	s_and_saveexec_b64 s[2:3], vcc
	s_cbranch_execz .LBB576_23
; %bb.18:
	s_movk_i32 s8, 0x80
	v_cmp_ne_u16_e32 vcc, s8, v42
	v_bfrev_b32_e32 v43, 1
	s_and_saveexec_b64 s[8:9], vcc
	s_cbranch_execz .LBB576_22
; %bb.19:
	s_movk_i32 s10, 0x7f
	v_and_b32_e32 v45, 0x7f, v42
	v_cmp_ne_u32_e32 vcc, s10, v45
	v_mov_b32_e32 v43, 0x7f800001
	s_and_saveexec_b64 s[10:11], vcc
	s_cbranch_execz .LBB576_21
; %bb.20:
	v_and_b32_e32 v51, 7, v42
	v_ffbh_u32_e32 v43, v51
	v_min_u32_e32 v53, 32, v43
	v_subrev_u32_e32 v43, 28, v53
	v_lshlrev_b64 v[42:43], v43, v[42:43]
	v_lshrrev_b32_e32 v52, 3, v45
	v_sub_u32_e32 v43, 29, v53
	v_and_b32_e32 v42, 7, v42
	v_cmp_gt_u32_e32 vcc, 8, v45
	v_cndmask_b32_e32 v43, v52, v43, vcc
	v_cndmask_b32_e32 v42, v51, v42, vcc
	v_lshlrev_b32_e32 v45, 16, v30
	v_bfrev_b32_e32 v51, 60
	v_lshlrev_b32_e32 v42, 20, v42
	v_and_b32_e32 v45, 0x80000000, v45
	v_lshl_add_u32 v43, v43, 23, v51
	v_or3_b32 v43, v45, v43, v42
.LBB576_21:
	s_or_b64 exec, exec, s[10:11]
.LBB576_22:
	s_or_b64 exec, exec, s[8:9]
.LBB576_23:
	s_or_b64 exec, exec, s[2:3]
	s_movk_i32 s2, 0xff
	v_and_b32_sdwa v52, v30, s2 dst_sel:DWORD dst_unused:UNUSED_PAD src0_sel:WORD_1 src1_sel:DWORD
	v_lshrrev_b32_e32 v42, 16, v30
	v_cmp_ne_u16_e32 vcc, 0, v52
	v_mov_b32_e32 v45, 0
	v_mov_b32_e32 v51, 0
	s_and_saveexec_b64 s[2:3], vcc
	s_cbranch_execz .LBB576_29
; %bb.24:
	s_movk_i32 s8, 0x80
	v_cmp_ne_u16_e32 vcc, s8, v52
	v_bfrev_b32_e32 v51, 1
	s_and_saveexec_b64 s[8:9], vcc
	s_cbranch_execz .LBB576_28
; %bb.25:
	v_bfe_u32 v52, v30, 16, 7
	s_movk_i32 s10, 0x7f
	v_cmp_ne_u32_e32 vcc, s10, v52
	v_mov_b32_e32 v51, 0x7f800001
	s_and_saveexec_b64 s[10:11], vcc
	s_cbranch_execz .LBB576_27
; %bb.26:
	v_and_b32_e32 v51, 7, v42
	v_ffbh_u32_e32 v54, v51
	v_min_u32_e32 v56, 32, v54
	v_subrev_u32_e32 v54, 28, v56
	v_lshlrev_b64 v[54:55], v54, v[42:43]
	v_lshrrev_b32_e32 v53, 3, v52
	v_sub_u32_e32 v42, 29, v56
	v_and_b32_e32 v54, 7, v54
	v_cmp_gt_u32_e32 vcc, 8, v52
	v_mov_b32_e32 v52, 24
	v_cndmask_b32_e32 v42, v53, v42, vcc
	v_cndmask_b32_e32 v51, v51, v54, vcc
	v_lshlrev_b32_sdwa v52, v52, v30 dst_sel:DWORD dst_unused:UNUSED_PAD src0_sel:DWORD src1_sel:WORD_1
	v_bfrev_b32_e32 v53, 60
	v_lshlrev_b32_e32 v51, 20, v51
	v_and_b32_e32 v52, 0x80000000, v52
	v_lshl_add_u32 v42, v42, 23, v53
	v_or3_b32 v51, v52, v42, v51
.LBB576_27:
	s_or_b64 exec, exec, s[10:11]
.LBB576_28:
	s_or_b64 exec, exec, s[8:9]
.LBB576_29:
	s_or_b64 exec, exec, s[2:3]
	s_mov_b32 s2, 0xffffff
	v_cmp_lt_u32_e32 vcc, s2, v30
	s_and_saveexec_b64 s[2:3], vcc
	s_cbranch_execz .LBB576_35
; %bb.30:
	v_lshrrev_b32_e32 v42, 24, v30
	s_movk_i32 s8, 0x80
	v_cmp_ne_u32_e32 vcc, s8, v42
	v_bfrev_b32_e32 v45, 1
	s_and_saveexec_b64 s[8:9], vcc
	s_cbranch_execz .LBB576_34
; %bb.31:
	v_bfe_u32 v30, v30, 24, 7
	s_movk_i32 s10, 0x7f
	v_cmp_ne_u32_e32 vcc, s10, v30
	v_mov_b32_e32 v45, 0x7f800001
	s_and_saveexec_b64 s[10:11], vcc
	s_cbranch_execz .LBB576_33
; %bb.32:
	v_and_b32_e32 v45, 7, v42
	v_ffbh_u32_e32 v52, v45
	v_min_u32_e32 v55, 32, v52
	v_subrev_u32_e32 v52, 28, v55
	v_lshlrev_b64 v[52:53], v52, v[42:43]
	v_lshrrev_b32_e32 v54, 3, v30
	v_sub_u32_e32 v53, 29, v55
	v_and_b32_e32 v52, 7, v52
	v_cmp_gt_u32_e32 vcc, 8, v30
	v_cndmask_b32_e32 v30, v54, v53, vcc
	v_cndmask_b32_e32 v45, v45, v52, vcc
	v_lshlrev_b32_e32 v42, 24, v42
	v_bfrev_b32_e32 v52, 60
	v_lshlrev_b32_e32 v45, 20, v45
	v_and_b32_e32 v42, 0x80000000, v42
	v_lshl_add_u32 v30, v30, 23, v52
	v_or3_b32 v45, v42, v30, v45
.LBB576_33:
	s_or_b64 exec, exec, s[10:11]
.LBB576_34:
	s_or_b64 exec, exec, s[8:9]
.LBB576_35:
	s_or_b64 exec, exec, s[2:3]
	v_mov_b32_e32 v42, 0
	v_cmp_ne_u16_sdwa s[8:9], v31, v42 src0_sel:BYTE_0 src1_sel:DWORD
	v_mov_b32_e32 v52, 0
	s_and_saveexec_b64 s[2:3], s[8:9]
	s_cbranch_execz .LBB576_41
; %bb.36:
	s_movk_i32 s8, 0x80
	v_cmp_ne_u16_sdwa s[10:11], v31, s8 src0_sel:BYTE_0 src1_sel:DWORD
	v_bfrev_b32_e32 v52, 1
	s_and_saveexec_b64 s[8:9], s[10:11]
	s_cbranch_execz .LBB576_40
; %bb.37:
	s_movk_i32 s10, 0x7f
	v_and_b32_e32 v30, 0x7f, v31
	v_cmp_ne_u32_e32 vcc, s10, v30
	v_mov_b32_e32 v52, 0x7f800001
	s_and_saveexec_b64 s[10:11], vcc
	s_cbranch_execz .LBB576_39
; %bb.38:
	v_and_b32_e32 v54, 7, v31
	v_ffbh_u32_e32 v53, v54
	v_min_u32_e32 v56, 32, v53
	v_mov_b32_e32 v52, v31
	v_subrev_u32_e32 v53, 28, v56
	v_lshlrev_b64 v[52:53], v53, v[52:53]
	v_lshrrev_b32_e32 v55, 3, v30
	v_sub_u32_e32 v53, 29, v56
	v_and_b32_e32 v52, 7, v52
	v_cmp_gt_u32_e32 vcc, 8, v30
	v_cndmask_b32_e32 v30, v55, v53, vcc
	v_cndmask_b32_e32 v52, v54, v52, vcc
	v_lshlrev_b32_e32 v53, 24, v31
	v_bfrev_b32_e32 v54, 60
	v_lshlrev_b32_e32 v52, 20, v52
	v_and_b32_e32 v53, 0x80000000, v53
	v_lshl_add_u32 v30, v30, 23, v54
	v_or3_b32 v52, v53, v30, v52
.LBB576_39:
	s_or_b64 exec, exec, s[10:11]
.LBB576_40:
	s_or_b64 exec, exec, s[8:9]
.LBB576_41:
	s_or_b64 exec, exec, s[2:3]
	v_lshrrev_b16_e32 v30, 8, v31
	v_cmp_ne_u16_e32 vcc, 0, v30
	s_and_saveexec_b64 s[2:3], vcc
	s_cbranch_execz .LBB576_47
; %bb.42:
	s_movk_i32 s8, 0x80
	v_cmp_ne_u16_e32 vcc, s8, v30
	v_bfrev_b32_e32 v42, 1
	s_and_saveexec_b64 s[8:9], vcc
	s_cbranch_execz .LBB576_46
; %bb.43:
	s_movk_i32 s10, 0x7f
	v_and_b32_e32 v53, 0x7f, v30
	v_cmp_ne_u32_e32 vcc, s10, v53
	v_mov_b32_e32 v42, 0x7f800001
	s_and_saveexec_b64 s[10:11], vcc
	s_cbranch_execz .LBB576_45
; %bb.44:
	v_and_b32_e32 v42, 7, v30
	v_ffbh_u32_e32 v54, v42
	v_min_u32_e32 v57, 32, v54
	v_subrev_u32_e32 v54, 28, v57
	v_lshlrev_b64 v[54:55], v54, v[30:31]
	v_lshrrev_b32_e32 v56, 3, v53
	v_sub_u32_e32 v30, 29, v57
	v_and_b32_e32 v54, 7, v54
	v_cmp_gt_u32_e32 vcc, 8, v53
	v_cndmask_b32_e32 v30, v56, v30, vcc
	v_cndmask_b32_e32 v42, v42, v54, vcc
	v_lshlrev_b32_e32 v53, 16, v31
	v_bfrev_b32_e32 v54, 60
	v_lshlrev_b32_e32 v42, 20, v42
	v_and_b32_e32 v53, 0x80000000, v53
	v_lshl_add_u32 v30, v30, 23, v54
	v_or3_b32 v42, v53, v30, v42
.LBB576_45:
	s_or_b64 exec, exec, s[10:11]
.LBB576_46:
	s_or_b64 exec, exec, s[8:9]
.LBB576_47:
	s_or_b64 exec, exec, s[2:3]
	s_movk_i32 s2, 0xff
	v_and_b32_sdwa v55, v31, s2 dst_sel:DWORD dst_unused:UNUSED_PAD src0_sel:WORD_1 src1_sel:DWORD
	v_lshrrev_b32_e32 v30, 16, v31
	v_cmp_ne_u16_e32 vcc, 0, v55
	v_mov_b32_e32 v53, 0
	v_mov_b32_e32 v54, 0
	s_and_saveexec_b64 s[2:3], vcc
	s_cbranch_execz .LBB576_53
; %bb.48:
	s_movk_i32 s8, 0x80
	v_cmp_ne_u16_e32 vcc, s8, v55
	v_bfrev_b32_e32 v54, 1
	s_and_saveexec_b64 s[8:9], vcc
	s_cbranch_execz .LBB576_52
; %bb.49:
	v_bfe_u32 v55, v31, 16, 7
	s_movk_i32 s10, 0x7f
	v_cmp_ne_u32_e32 vcc, s10, v55
	v_mov_b32_e32 v54, 0x7f800001
	s_and_saveexec_b64 s[10:11], vcc
	s_cbranch_execz .LBB576_51
; %bb.50:
	v_and_b32_e32 v54, 7, v30
	v_ffbh_u32_e32 v56, v54
	v_min_u32_e32 v59, 32, v56
	v_subrev_u32_e32 v56, 28, v59
	v_lshlrev_b64 v[56:57], v56, v[30:31]
	v_lshrrev_b32_e32 v58, 3, v55
	v_sub_u32_e32 v30, 29, v59
	v_and_b32_e32 v56, 7, v56
	v_cmp_gt_u32_e32 vcc, 8, v55
	v_mov_b32_e32 v55, 24
	v_cndmask_b32_e32 v30, v58, v30, vcc
	v_cndmask_b32_e32 v54, v54, v56, vcc
	v_lshlrev_b32_sdwa v55, v55, v31 dst_sel:DWORD dst_unused:UNUSED_PAD src0_sel:DWORD src1_sel:WORD_1
	v_bfrev_b32_e32 v56, 60
	v_lshlrev_b32_e32 v54, 20, v54
	v_and_b32_e32 v55, 0x80000000, v55
	v_lshl_add_u32 v30, v30, 23, v56
	v_or3_b32 v54, v55, v30, v54
.LBB576_51:
	s_or_b64 exec, exec, s[10:11]
.LBB576_52:
	s_or_b64 exec, exec, s[8:9]
.LBB576_53:
	s_or_b64 exec, exec, s[2:3]
	s_mov_b32 s2, 0xffffff
	v_cmp_lt_u32_e32 vcc, s2, v31
	s_and_saveexec_b64 s[2:3], vcc
	s_cbranch_execz .LBB576_59
; %bb.54:
	v_lshrrev_b32_e32 v30, 24, v31
	s_movk_i32 s8, 0x80
	v_cmp_ne_u32_e32 vcc, s8, v30
	v_bfrev_b32_e32 v53, 1
	s_and_saveexec_b64 s[8:9], vcc
	s_cbranch_execz .LBB576_58
; %bb.55:
	v_bfe_u32 v31, v31, 24, 7
	s_movk_i32 s10, 0x7f
	v_cmp_ne_u32_e32 vcc, s10, v31
	v_mov_b32_e32 v53, 0x7f800001
	s_and_saveexec_b64 s[10:11], vcc
	s_cbranch_execz .LBB576_57
; %bb.56:
	v_and_b32_e32 v53, 7, v30
	v_ffbh_u32_e32 v56, v53
	v_min_u32_e32 v58, 32, v56
	v_subrev_u32_e32 v56, 28, v58
	v_lshlrev_b64 v[56:57], v56, v[30:31]
	v_lshrrev_b32_e32 v55, 3, v31
	v_sub_u32_e32 v57, 29, v58
	v_and_b32_e32 v56, 7, v56
	v_cmp_gt_u32_e32 vcc, 8, v31
	v_cndmask_b32_e32 v31, v55, v57, vcc
	v_cndmask_b32_e32 v53, v53, v56, vcc
	v_lshlrev_b32_e32 v30, 24, v30
	v_bfrev_b32_e32 v55, 60
	v_lshlrev_b32_e32 v53, 20, v53
	v_and_b32_e32 v30, 0x80000000, v30
	v_lshl_add_u32 v31, v31, 23, v55
	v_or3_b32 v53, v30, v31, v53
.LBB576_57:
	s_or_b64 exec, exec, s[10:11]
.LBB576_58:
	s_or_b64 exec, exec, s[8:9]
.LBB576_59:
	s_or_b64 exec, exec, s[2:3]
	v_cvt_pkrtz_f16_f32 v30, v44, v43
	v_cvt_pkrtz_f16_f32 v31, v51, v45
	;; [unrolled: 1-line block ×4, first 2 shown]
	v_mov_b32_e32 v52, 0
	s_waitcnt lgkmcnt(0)
	v_mfma_f32_16x16x16f16 v[56:59], v[30:31], v[26:27], 0
	v_mov_b32_e32 v31, 0
	v_cmp_ne_u16_sdwa s[8:9], v32, v31 src0_sel:BYTE_0 src1_sel:DWORD
	v_mfma_f32_16x16x16f16 v[42:45], v[42:43], v[28:29], v[56:59]
	s_and_saveexec_b64 s[2:3], s[8:9]
	s_cbranch_execz .LBB576_65
; %bb.60:
	s_movk_i32 s8, 0x80
	v_cmp_ne_u16_sdwa s[10:11], v32, s8 src0_sel:BYTE_0 src1_sel:DWORD
	v_bfrev_b32_e32 v52, 1
	s_and_saveexec_b64 s[8:9], s[10:11]
	s_cbranch_execz .LBB576_64
; %bb.61:
	s_movk_i32 s10, 0x7f
	v_and_b32_e32 v30, 0x7f, v32
	v_cmp_ne_u32_e32 vcc, s10, v30
	v_mov_b32_e32 v52, 0x7f800001
	s_and_saveexec_b64 s[10:11], vcc
	s_cbranch_execz .LBB576_63
; %bb.62:
	v_and_b32_e32 v51, 7, v32
	v_ffbh_u32_e32 v52, v51
	v_min_u32_e32 v55, 32, v52
	v_subrev_u32_e32 v52, 28, v55
	v_lshlrev_b64 v[52:53], v52, v[32:33]
	v_lshrrev_b32_e32 v54, 3, v30
	v_sub_u32_e32 v53, 29, v55
	v_and_b32_e32 v52, 7, v52
	v_cmp_gt_u32_e32 vcc, 8, v30
	v_cndmask_b32_e32 v30, v54, v53, vcc
	v_cndmask_b32_e32 v51, v51, v52, vcc
	v_lshlrev_b32_e32 v52, 24, v32
	v_bfrev_b32_e32 v53, 60
	v_lshlrev_b32_e32 v51, 20, v51
	v_and_b32_e32 v52, 0x80000000, v52
	v_lshl_add_u32 v30, v30, 23, v53
	v_or3_b32 v52, v52, v30, v51
.LBB576_63:
	s_or_b64 exec, exec, s[10:11]
.LBB576_64:
	s_or_b64 exec, exec, s[8:9]
.LBB576_65:
	s_or_b64 exec, exec, s[2:3]
	v_lshrrev_b16_e32 v30, 8, v32
	v_cmp_ne_u16_e32 vcc, 0, v30
	v_mov_b32_e32 v53, 0
	s_and_saveexec_b64 s[2:3], vcc
	s_cbranch_execz .LBB576_71
; %bb.66:
	s_movk_i32 s8, 0x80
	v_cmp_ne_u16_e32 vcc, s8, v30
	v_bfrev_b32_e32 v53, 1
	s_and_saveexec_b64 s[8:9], vcc
	s_cbranch_execz .LBB576_70
; %bb.67:
	s_movk_i32 s10, 0x7f
	v_and_b32_e32 v51, 0x7f, v30
	v_cmp_ne_u32_e32 vcc, s10, v51
	v_mov_b32_e32 v53, 0x7f800001
	s_and_saveexec_b64 s[10:11], vcc
	s_cbranch_execz .LBB576_69
; %bb.68:
	v_and_b32_e32 v53, 7, v30
	v_ffbh_u32_e32 v54, v53
	v_min_u32_e32 v57, 32, v54
	v_subrev_u32_e32 v54, 28, v57
	v_lshlrev_b64 v[54:55], v54, v[30:31]
	v_lshrrev_b32_e32 v56, 3, v51
	v_sub_u32_e32 v30, 29, v57
	v_and_b32_e32 v54, 7, v54
	v_cmp_gt_u32_e32 vcc, 8, v51
	v_cndmask_b32_e32 v30, v56, v30, vcc
	v_cndmask_b32_e32 v51, v53, v54, vcc
	v_lshlrev_b32_e32 v53, 16, v32
	v_bfrev_b32_e32 v54, 60
	v_lshlrev_b32_e32 v51, 20, v51
	v_and_b32_e32 v53, 0x80000000, v53
	v_lshl_add_u32 v30, v30, 23, v54
	v_or3_b32 v53, v53, v30, v51
.LBB576_69:
	s_or_b64 exec, exec, s[10:11]
.LBB576_70:
	s_or_b64 exec, exec, s[8:9]
.LBB576_71:
	s_or_b64 exec, exec, s[2:3]
	s_movk_i32 s2, 0xff
	v_and_b32_sdwa v51, v32, s2 dst_sel:DWORD dst_unused:UNUSED_PAD src0_sel:WORD_1 src1_sel:DWORD
	v_lshrrev_b32_e32 v30, 16, v32
	v_cmp_ne_u16_e32 vcc, 0, v51
	s_and_saveexec_b64 s[2:3], vcc
	s_cbranch_execz .LBB576_77
; %bb.72:
	s_movk_i32 s8, 0x80
	v_cmp_ne_u16_e32 vcc, s8, v51
	v_bfrev_b32_e32 v31, 1
	s_and_saveexec_b64 s[8:9], vcc
	s_cbranch_execz .LBB576_76
; %bb.73:
	v_bfe_u32 v51, v32, 16, 7
	s_movk_i32 s10, 0x7f
	v_cmp_ne_u32_e32 vcc, s10, v51
	v_mov_b32_e32 v31, 0x7f800001
	s_and_saveexec_b64 s[10:11], vcc
	s_cbranch_execz .LBB576_75
; %bb.74:
	v_and_b32_e32 v54, 7, v30
	v_ffbh_u32_e32 v31, v54
	v_min_u32_e32 v56, 32, v31
	v_subrev_u32_e32 v31, 28, v56
	v_lshlrev_b64 v[30:31], v31, v[30:31]
	v_lshrrev_b32_e32 v55, 3, v51
	v_sub_u32_e32 v31, 29, v56
	v_and_b32_e32 v30, 7, v30
	v_cmp_gt_u32_e32 vcc, 8, v51
	v_mov_b32_e32 v51, 24
	v_cndmask_b32_e32 v31, v55, v31, vcc
	v_cndmask_b32_e32 v30, v54, v30, vcc
	v_lshlrev_b32_sdwa v51, v51, v32 dst_sel:DWORD dst_unused:UNUSED_PAD src0_sel:DWORD src1_sel:WORD_1
	v_bfrev_b32_e32 v54, 60
	v_lshlrev_b32_e32 v30, 20, v30
	v_and_b32_e32 v51, 0x80000000, v51
	v_lshl_add_u32 v31, v31, 23, v54
	v_or3_b32 v31, v51, v31, v30
.LBB576_75:
	s_or_b64 exec, exec, s[10:11]
.LBB576_76:
	s_or_b64 exec, exec, s[8:9]
.LBB576_77:
	s_or_b64 exec, exec, s[2:3]
	s_mov_b32 s2, 0xffffff
	v_cmp_lt_u32_e32 vcc, s2, v32
	v_mov_b32_e32 v54, 0
	v_mov_b32_e32 v55, 0
	s_and_saveexec_b64 s[2:3], vcc
	s_cbranch_execz .LBB576_83
; %bb.78:
	v_lshrrev_b32_e32 v30, 24, v32
	s_movk_i32 s8, 0x80
	v_cmp_ne_u32_e32 vcc, s8, v30
	v_bfrev_b32_e32 v55, 1
	s_and_saveexec_b64 s[8:9], vcc
	s_cbranch_execz .LBB576_82
; %bb.79:
	v_bfe_u32 v32, v32, 24, 7
	s_movk_i32 s10, 0x7f
	v_cmp_ne_u32_e32 vcc, s10, v32
	v_mov_b32_e32 v55, 0x7f800001
	s_and_saveexec_b64 s[10:11], vcc
	s_cbranch_execz .LBB576_81
; %bb.80:
	v_and_b32_e32 v51, 7, v30
	v_ffbh_u32_e32 v56, v51
	v_min_u32_e32 v58, 32, v56
	v_subrev_u32_e32 v56, 28, v58
	v_lshlrev_b64 v[56:57], v56, v[30:31]
	v_lshrrev_b32_e32 v55, 3, v32
	v_sub_u32_e32 v57, 29, v58
	v_and_b32_e32 v56, 7, v56
	v_cmp_gt_u32_e32 vcc, 8, v32
	v_cndmask_b32_e32 v32, v55, v57, vcc
	v_cndmask_b32_e32 v51, v51, v56, vcc
	v_lshlrev_b32_e32 v30, 24, v30
	v_bfrev_b32_e32 v55, 60
	v_lshlrev_b32_e32 v51, 20, v51
	v_and_b32_e32 v30, 0x80000000, v30
	v_lshl_add_u32 v32, v32, 23, v55
	v_or3_b32 v55, v30, v32, v51
.LBB576_81:
	s_or_b64 exec, exec, s[10:11]
.LBB576_82:
	s_or_b64 exec, exec, s[8:9]
.LBB576_83:
	s_or_b64 exec, exec, s[2:3]
	v_cmp_ne_u16_sdwa s[8:9], v33, v54 src0_sel:BYTE_0 src1_sel:DWORD
	s_and_saveexec_b64 s[2:3], s[8:9]
	s_cbranch_execz .LBB576_89
; %bb.84:
	s_movk_i32 s8, 0x80
	v_cmp_ne_u16_sdwa s[10:11], v33, s8 src0_sel:BYTE_0 src1_sel:DWORD
	v_bfrev_b32_e32 v54, 1
	s_and_saveexec_b64 s[8:9], s[10:11]
	s_cbranch_execz .LBB576_88
; %bb.85:
	s_movk_i32 s10, 0x7f
	v_and_b32_e32 v30, 0x7f, v33
	v_cmp_ne_u32_e32 vcc, s10, v30
	v_mov_b32_e32 v54, 0x7f800001
	s_and_saveexec_b64 s[10:11], vcc
	s_cbranch_execz .LBB576_87
; %bb.86:
	v_and_b32_e32 v51, 7, v33
	v_ffbh_u32_e32 v56, v51
	v_min_u32_e32 v58, 32, v56
	v_mov_b32_e32 v32, v33
	v_subrev_u32_e32 v56, 28, v58
	v_lshlrev_b64 v[56:57], v56, v[32:33]
	v_lshrrev_b32_e32 v54, 3, v30
	v_sub_u32_e32 v32, 29, v58
	v_and_b32_e32 v56, 7, v56
	v_cmp_gt_u32_e32 vcc, 8, v30
	v_cndmask_b32_e32 v30, v54, v32, vcc
	v_cndmask_b32_e32 v32, v51, v56, vcc
	v_lshlrev_b32_e32 v51, 24, v33
	v_bfrev_b32_e32 v54, 60
	v_lshlrev_b32_e32 v32, 20, v32
	v_and_b32_e32 v51, 0x80000000, v51
	v_lshl_add_u32 v30, v30, 23, v54
	v_or3_b32 v54, v51, v30, v32
.LBB576_87:
	s_or_b64 exec, exec, s[10:11]
.LBB576_88:
	s_or_b64 exec, exec, s[8:9]
.LBB576_89:
	s_or_b64 exec, exec, s[2:3]
	v_lshrrev_b16_e32 v30, 8, v33
	v_cmp_ne_u16_e32 vcc, 0, v30
	v_mov_b32_e32 v32, 0
	v_mov_b32_e32 v56, 0
	s_and_saveexec_b64 s[2:3], vcc
	s_cbranch_execz .LBB576_95
; %bb.90:
	s_movk_i32 s8, 0x80
	v_cmp_ne_u16_e32 vcc, s8, v30
	v_bfrev_b32_e32 v56, 1
	s_and_saveexec_b64 s[8:9], vcc
	s_cbranch_execz .LBB576_94
; %bb.91:
	s_movk_i32 s10, 0x7f
	v_and_b32_e32 v51, 0x7f, v30
	v_cmp_ne_u32_e32 vcc, s10, v51
	v_mov_b32_e32 v56, 0x7f800001
	s_and_saveexec_b64 s[10:11], vcc
	s_cbranch_execz .LBB576_93
; %bb.92:
	v_and_b32_e32 v58, 7, v30
	v_ffbh_u32_e32 v56, v58
	v_min_u32_e32 v60, 32, v56
	v_subrev_u32_e32 v56, 28, v60
	v_lshlrev_b64 v[56:57], v56, v[30:31]
	v_lshrrev_b32_e32 v59, 3, v51
	v_sub_u32_e32 v30, 29, v60
	v_and_b32_e32 v56, 7, v56
	v_cmp_gt_u32_e32 vcc, 8, v51
	v_cndmask_b32_e32 v30, v59, v30, vcc
	v_cndmask_b32_e32 v51, v58, v56, vcc
	v_lshlrev_b32_e32 v56, 16, v33
	v_bfrev_b32_e32 v57, 60
	v_lshlrev_b32_e32 v51, 20, v51
	v_and_b32_e32 v56, 0x80000000, v56
	v_lshl_add_u32 v30, v30, 23, v57
	v_or3_b32 v56, v56, v30, v51
.LBB576_93:
	s_or_b64 exec, exec, s[10:11]
.LBB576_94:
	s_or_b64 exec, exec, s[8:9]
.LBB576_95:
	s_or_b64 exec, exec, s[2:3]
	s_movk_i32 s2, 0xff
	v_and_b32_sdwa v51, v33, s2 dst_sel:DWORD dst_unused:UNUSED_PAD src0_sel:WORD_1 src1_sel:DWORD
	v_lshrrev_b32_e32 v30, 16, v33
	v_cmp_ne_u16_e32 vcc, 0, v51
	s_and_saveexec_b64 s[2:3], vcc
	s_cbranch_execz .LBB576_101
; %bb.96:
	s_movk_i32 s8, 0x80
	v_cmp_ne_u16_e32 vcc, s8, v51
	v_bfrev_b32_e32 v32, 1
	s_and_saveexec_b64 s[8:9], vcc
	s_cbranch_execz .LBB576_100
; %bb.97:
	v_bfe_u32 v51, v33, 16, 7
	s_movk_i32 s10, 0x7f
	v_cmp_ne_u32_e32 vcc, s10, v51
	v_mov_b32_e32 v32, 0x7f800001
	s_and_saveexec_b64 s[10:11], vcc
	s_cbranch_execz .LBB576_99
; %bb.98:
	v_and_b32_e32 v32, 7, v30
	v_ffbh_u32_e32 v58, v32
	v_min_u32_e32 v60, 32, v58
	v_subrev_u32_e32 v58, 28, v60
	v_lshlrev_b64 v[58:59], v58, v[30:31]
	v_lshrrev_b32_e32 v57, 3, v51
	v_sub_u32_e32 v30, 29, v60
	v_and_b32_e32 v58, 7, v58
	v_cmp_gt_u32_e32 vcc, 8, v51
	v_mov_b32_e32 v51, 24
	v_cndmask_b32_e32 v30, v57, v30, vcc
	v_cndmask_b32_e32 v32, v32, v58, vcc
	v_lshlrev_b32_sdwa v51, v51, v33 dst_sel:DWORD dst_unused:UNUSED_PAD src0_sel:DWORD src1_sel:WORD_1
	v_bfrev_b32_e32 v57, 60
	v_lshlrev_b32_e32 v32, 20, v32
	v_and_b32_e32 v51, 0x80000000, v51
	v_lshl_add_u32 v30, v30, 23, v57
	v_or3_b32 v32, v51, v30, v32
.LBB576_99:
	s_or_b64 exec, exec, s[10:11]
.LBB576_100:
	s_or_b64 exec, exec, s[8:9]
.LBB576_101:
	s_or_b64 exec, exec, s[2:3]
	s_mov_b32 s2, 0xffffff
	v_cmp_lt_u32_e32 vcc, s2, v33
	v_mov_b32_e32 v51, 0
	v_mov_b32_e32 v57, 0
	s_and_saveexec_b64 s[2:3], vcc
	s_cbranch_execz .LBB576_107
; %bb.102:
	v_lshrrev_b32_e32 v30, 24, v33
	s_movk_i32 s8, 0x80
	v_cmp_ne_u32_e32 vcc, s8, v30
	v_bfrev_b32_e32 v57, 1
	s_and_saveexec_b64 s[8:9], vcc
	s_cbranch_execz .LBB576_106
; %bb.103:
	v_bfe_u32 v33, v33, 24, 7
	s_movk_i32 s10, 0x7f
	v_cmp_ne_u32_e32 vcc, s10, v33
	v_mov_b32_e32 v57, 0x7f800001
	s_and_saveexec_b64 s[10:11], vcc
	s_cbranch_execz .LBB576_105
; %bb.104:
	v_and_b32_e32 v57, 7, v30
	v_ffbh_u32_e32 v58, v57
	v_min_u32_e32 v61, 32, v58
	v_subrev_u32_e32 v58, 28, v61
	v_lshlrev_b64 v[58:59], v58, v[30:31]
	v_lshrrev_b32_e32 v60, 3, v33
	v_sub_u32_e32 v59, 29, v61
	v_and_b32_e32 v58, 7, v58
	v_cmp_gt_u32_e32 vcc, 8, v33
	v_cndmask_b32_e32 v33, v60, v59, vcc
	v_cndmask_b32_e32 v57, v57, v58, vcc
	v_lshlrev_b32_e32 v30, 24, v30
	v_bfrev_b32_e32 v58, 60
	v_lshlrev_b32_e32 v57, 20, v57
	v_and_b32_e32 v30, 0x80000000, v30
	v_lshl_add_u32 v33, v33, 23, v58
	v_or3_b32 v57, v30, v33, v57
.LBB576_105:
	s_or_b64 exec, exec, s[10:11]
.LBB576_106:
	s_or_b64 exec, exec, s[8:9]
.LBB576_107:
	s_or_b64 exec, exec, s[2:3]
	v_cvt_pkrtz_f16_f32 v30, v52, v53
	v_cvt_pkrtz_f16_f32 v31, v31, v55
	s_waitcnt vmcnt(6)
	v_cmp_ne_u16_sdwa s[8:9], v38, v51 src0_sel:BYTE_0 src1_sel:DWORD
	v_mfma_f32_16x16x16f16 v[42:45], v[30:31], v[18:19], v[42:45]
	v_cvt_pkrtz_f16_f32 v30, v54, v56
	v_cvt_pkrtz_f16_f32 v31, v32, v57
	s_nop 1
	v_mfma_f32_16x16x16f16 v[30:33], v[30:31], v[20:21], v[42:45]
	s_and_saveexec_b64 s[2:3], s[8:9]
	s_cbranch_execz .LBB576_113
; %bb.108:
	s_movk_i32 s8, 0x80
	v_cmp_ne_u16_sdwa s[10:11], v38, s8 src0_sel:BYTE_0 src1_sel:DWORD
	v_bfrev_b32_e32 v51, 1
	s_and_saveexec_b64 s[8:9], s[10:11]
	s_cbranch_execz .LBB576_112
; %bb.109:
	s_movk_i32 s10, 0x7f
	v_and_b32_e32 v42, 0x7f, v38
	v_cmp_ne_u32_e32 vcc, s10, v42
	v_mov_b32_e32 v51, 0x7f800001
	s_and_saveexec_b64 s[10:11], vcc
	s_cbranch_execz .LBB576_111
; %bb.110:
	v_and_b32_e32 v43, 7, v38
	v_ffbh_u32_e32 v44, v43
	v_min_u32_e32 v52, 32, v44
	v_subrev_u32_e32 v44, 28, v52
	v_lshlrev_b64 v[44:45], v44, v[38:39]
	v_lshrrev_b32_e32 v51, 3, v42
	v_sub_u32_e32 v45, 29, v52
	v_and_b32_e32 v44, 7, v44
	v_cmp_gt_u32_e32 vcc, 8, v42
	v_cndmask_b32_e32 v42, v51, v45, vcc
	v_cndmask_b32_e32 v43, v43, v44, vcc
	v_lshlrev_b32_e32 v44, 24, v38
	v_bfrev_b32_e32 v45, 60
	v_lshlrev_b32_e32 v43, 20, v43
	v_and_b32_e32 v44, 0x80000000, v44
	v_lshl_add_u32 v42, v42, 23, v45
	v_or3_b32 v51, v44, v42, v43
.LBB576_111:
	s_or_b64 exec, exec, s[10:11]
.LBB576_112:
	s_or_b64 exec, exec, s[8:9]
.LBB576_113:
	s_or_b64 exec, exec, s[2:3]
	s_nop 3
	v_lshrrev_b16_e32 v42, 8, v38
	v_cmp_ne_u16_e32 vcc, 0, v42
	v_mov_b32_e32 v43, 0
	v_mov_b32_e32 v44, 0
	s_and_saveexec_b64 s[2:3], vcc
	s_cbranch_execz .LBB576_119
; %bb.114:
	s_movk_i32 s8, 0x80
	v_cmp_ne_u16_e32 vcc, s8, v42
	v_bfrev_b32_e32 v44, 1
	s_and_saveexec_b64 s[8:9], vcc
	s_cbranch_execz .LBB576_118
; %bb.115:
	s_movk_i32 s10, 0x7f
	v_and_b32_e32 v45, 0x7f, v42
	v_cmp_ne_u32_e32 vcc, s10, v45
	v_mov_b32_e32 v44, 0x7f800001
	s_and_saveexec_b64 s[10:11], vcc
	s_cbranch_execz .LBB576_117
; %bb.116:
	v_and_b32_e32 v44, 7, v42
	v_ffbh_u32_e32 v52, v44
	v_min_u32_e32 v55, 32, v52
	v_subrev_u32_e32 v52, 28, v55
	v_lshlrev_b64 v[52:53], v52, v[42:43]
	v_lshrrev_b32_e32 v54, 3, v45
	v_sub_u32_e32 v42, 29, v55
	v_and_b32_e32 v52, 7, v52
	v_cmp_gt_u32_e32 vcc, 8, v45
	v_cndmask_b32_e32 v42, v54, v42, vcc
	v_cndmask_b32_e32 v44, v44, v52, vcc
	v_lshlrev_b32_e32 v45, 16, v38
	v_bfrev_b32_e32 v52, 60
	v_lshlrev_b32_e32 v44, 20, v44
	v_and_b32_e32 v45, 0x80000000, v45
	v_lshl_add_u32 v42, v42, 23, v52
	v_or3_b32 v44, v45, v42, v44
.LBB576_117:
	s_or_b64 exec, exec, s[10:11]
.LBB576_118:
	s_or_b64 exec, exec, s[8:9]
.LBB576_119:
	s_or_b64 exec, exec, s[2:3]
	s_movk_i32 s2, 0xff
	v_and_b32_sdwa v45, v38, s2 dst_sel:DWORD dst_unused:UNUSED_PAD src0_sel:WORD_1 src1_sel:DWORD
	v_lshrrev_b32_e32 v42, 16, v38
	v_cmp_ne_u16_e32 vcc, 0, v45
	s_and_saveexec_b64 s[2:3], vcc
	s_cbranch_execz .LBB576_125
; %bb.120:
	s_movk_i32 s8, 0x80
	v_cmp_ne_u16_e32 vcc, s8, v45
	v_bfrev_b32_e32 v43, 1
	s_and_saveexec_b64 s[8:9], vcc
	s_cbranch_execz .LBB576_124
; %bb.121:
	v_bfe_u32 v45, v38, 16, 7
	s_movk_i32 s10, 0x7f
	v_cmp_ne_u32_e32 vcc, s10, v45
	v_mov_b32_e32 v43, 0x7f800001
	s_and_saveexec_b64 s[10:11], vcc
	s_cbranch_execz .LBB576_123
; %bb.122:
	v_and_b32_e32 v52, 7, v42
	v_ffbh_u32_e32 v43, v52
	v_min_u32_e32 v54, 32, v43
	v_subrev_u32_e32 v43, 28, v54
	v_lshlrev_b64 v[42:43], v43, v[42:43]
	v_lshrrev_b32_e32 v53, 3, v45
	v_sub_u32_e32 v43, 29, v54
	v_and_b32_e32 v42, 7, v42
	v_cmp_gt_u32_e32 vcc, 8, v45
	v_mov_b32_e32 v45, 24
	v_cndmask_b32_e32 v43, v53, v43, vcc
	v_cndmask_b32_e32 v42, v52, v42, vcc
	v_lshlrev_b32_sdwa v45, v45, v38 dst_sel:DWORD dst_unused:UNUSED_PAD src0_sel:DWORD src1_sel:WORD_1
	v_bfrev_b32_e32 v52, 60
	v_lshlrev_b32_e32 v42, 20, v42
	v_and_b32_e32 v45, 0x80000000, v45
	v_lshl_add_u32 v43, v43, 23, v52
	v_or3_b32 v43, v45, v43, v42
.LBB576_123:
	s_or_b64 exec, exec, s[10:11]
.LBB576_124:
	s_or_b64 exec, exec, s[8:9]
.LBB576_125:
	s_or_b64 exec, exec, s[2:3]
	s_mov_b32 s2, 0xffffff
	v_cmp_lt_u32_e32 vcc, s2, v38
	v_mov_b32_e32 v45, 0
	v_mov_b32_e32 v53, 0
	s_and_saveexec_b64 s[2:3], vcc
	s_cbranch_execz .LBB576_131
; %bb.126:
	v_lshrrev_b32_e32 v42, 24, v38
	s_movk_i32 s8, 0x80
	v_cmp_ne_u32_e32 vcc, s8, v42
	v_bfrev_b32_e32 v53, 1
	s_and_saveexec_b64 s[8:9], vcc
	s_cbranch_execz .LBB576_130
; %bb.127:
	v_bfe_u32 v38, v38, 24, 7
	s_movk_i32 s10, 0x7f
	v_cmp_ne_u32_e32 vcc, s10, v38
	v_mov_b32_e32 v53, 0x7f800001
	s_and_saveexec_b64 s[10:11], vcc
	s_cbranch_execz .LBB576_129
; %bb.128:
	v_and_b32_e32 v54, 7, v42
	v_ffbh_u32_e32 v52, v54
	v_min_u32_e32 v56, 32, v52
	v_subrev_u32_e32 v52, 28, v56
	v_lshlrev_b64 v[52:53], v52, v[42:43]
	v_lshrrev_b32_e32 v55, 3, v38
	v_sub_u32_e32 v53, 29, v56
	v_and_b32_e32 v52, 7, v52
	v_cmp_gt_u32_e32 vcc, 8, v38
	v_cndmask_b32_e32 v38, v55, v53, vcc
	v_cndmask_b32_e32 v52, v54, v52, vcc
	v_lshlrev_b32_e32 v42, 24, v42
	v_bfrev_b32_e32 v53, 60
	v_lshlrev_b32_e32 v52, 20, v52
	v_and_b32_e32 v42, 0x80000000, v42
	v_lshl_add_u32 v38, v38, 23, v53
	v_or3_b32 v53, v42, v38, v52
.LBB576_129:
	s_or_b64 exec, exec, s[10:11]
.LBB576_130:
	s_or_b64 exec, exec, s[8:9]
.LBB576_131:
	s_or_b64 exec, exec, s[2:3]
	v_cmp_ne_u16_sdwa s[8:9], v39, v45 src0_sel:BYTE_0 src1_sel:DWORD
	s_and_saveexec_b64 s[2:3], s[8:9]
	s_cbranch_execz .LBB576_137
; %bb.132:
	s_movk_i32 s8, 0x80
	v_cmp_ne_u16_sdwa s[10:11], v39, s8 src0_sel:BYTE_0 src1_sel:DWORD
	v_bfrev_b32_e32 v45, 1
	s_and_saveexec_b64 s[8:9], s[10:11]
	s_cbranch_execz .LBB576_136
; %bb.133:
	s_movk_i32 s10, 0x7f
	v_and_b32_e32 v38, 0x7f, v39
	v_cmp_ne_u32_e32 vcc, s10, v38
	v_mov_b32_e32 v45, 0x7f800001
	s_and_saveexec_b64 s[10:11], vcc
	s_cbranch_execz .LBB576_135
; %bb.134:
	v_and_b32_e32 v45, 7, v39
	v_ffbh_u32_e32 v54, v45
	v_min_u32_e32 v56, 32, v54
	v_mov_b32_e32 v42, v39
	v_subrev_u32_e32 v54, 28, v56
	v_lshlrev_b64 v[54:55], v54, v[42:43]
	v_lshrrev_b32_e32 v52, 3, v38
	v_sub_u32_e32 v42, 29, v56
	v_and_b32_e32 v54, 7, v54
	v_cmp_gt_u32_e32 vcc, 8, v38
	v_cndmask_b32_e32 v38, v52, v42, vcc
	v_cndmask_b32_e32 v42, v45, v54, vcc
	v_lshlrev_b32_e32 v45, 24, v39
	v_bfrev_b32_e32 v52, 60
	v_lshlrev_b32_e32 v42, 20, v42
	v_and_b32_e32 v45, 0x80000000, v45
	v_lshl_add_u32 v38, v38, 23, v52
	v_or3_b32 v45, v45, v38, v42
.LBB576_135:
	s_or_b64 exec, exec, s[10:11]
.LBB576_136:
	s_or_b64 exec, exec, s[8:9]
.LBB576_137:
	s_or_b64 exec, exec, s[2:3]
	v_lshrrev_b16_e32 v38, 8, v39
	v_cmp_ne_u16_e32 vcc, 0, v38
	v_mov_b32_e32 v42, 0
	v_mov_b32_e32 v54, 0
	s_and_saveexec_b64 s[2:3], vcc
	s_cbranch_execz .LBB576_143
; %bb.138:
	s_movk_i32 s8, 0x80
	v_cmp_ne_u16_e32 vcc, s8, v38
	v_bfrev_b32_e32 v54, 1
	s_and_saveexec_b64 s[8:9], vcc
	s_cbranch_execz .LBB576_142
; %bb.139:
	s_movk_i32 s10, 0x7f
	v_and_b32_e32 v52, 0x7f, v38
	v_cmp_ne_u32_e32 vcc, s10, v52
	v_mov_b32_e32 v54, 0x7f800001
	s_and_saveexec_b64 s[10:11], vcc
	s_cbranch_execz .LBB576_141
; %bb.140:
	v_and_b32_e32 v56, 7, v38
	v_ffbh_u32_e32 v54, v56
	v_min_u32_e32 v58, 32, v54
	v_subrev_u32_e32 v54, 28, v58
	v_lshlrev_b64 v[54:55], v54, v[38:39]
	v_lshrrev_b32_e32 v57, 3, v52
	v_sub_u32_e32 v38, 29, v58
	v_and_b32_e32 v54, 7, v54
	v_cmp_gt_u32_e32 vcc, 8, v52
	v_cndmask_b32_e32 v38, v57, v38, vcc
	v_cndmask_b32_e32 v52, v56, v54, vcc
	v_lshlrev_b32_e32 v54, 16, v39
	v_bfrev_b32_e32 v55, 60
	v_lshlrev_b32_e32 v52, 20, v52
	v_and_b32_e32 v54, 0x80000000, v54
	v_lshl_add_u32 v38, v38, 23, v55
	v_or3_b32 v54, v54, v38, v52
.LBB576_141:
	s_or_b64 exec, exec, s[10:11]
.LBB576_142:
	s_or_b64 exec, exec, s[8:9]
.LBB576_143:
	s_or_b64 exec, exec, s[2:3]
	s_movk_i32 s2, 0xff
	v_and_b32_sdwa v52, v39, s2 dst_sel:DWORD dst_unused:UNUSED_PAD src0_sel:WORD_1 src1_sel:DWORD
	v_lshrrev_b32_e32 v38, 16, v39
	v_cmp_ne_u16_e32 vcc, 0, v52
	s_and_saveexec_b64 s[2:3], vcc
	s_cbranch_execz .LBB576_149
; %bb.144:
	s_movk_i32 s8, 0x80
	v_cmp_ne_u16_e32 vcc, s8, v52
	v_bfrev_b32_e32 v42, 1
	s_and_saveexec_b64 s[8:9], vcc
	s_cbranch_execz .LBB576_148
; %bb.145:
	v_bfe_u32 v52, v39, 16, 7
	s_movk_i32 s10, 0x7f
	v_cmp_ne_u32_e32 vcc, s10, v52
	v_mov_b32_e32 v42, 0x7f800001
	s_and_saveexec_b64 s[10:11], vcc
	s_cbranch_execz .LBB576_147
; %bb.146:
	v_and_b32_e32 v42, 7, v38
	v_ffbh_u32_e32 v56, v42
	v_min_u32_e32 v58, 32, v56
	v_subrev_u32_e32 v56, 28, v58
	v_lshlrev_b64 v[56:57], v56, v[38:39]
	v_lshrrev_b32_e32 v55, 3, v52
	v_sub_u32_e32 v38, 29, v58
	v_and_b32_e32 v56, 7, v56
	v_cmp_gt_u32_e32 vcc, 8, v52
	v_mov_b32_e32 v52, 24
	v_cndmask_b32_e32 v38, v55, v38, vcc
	v_cndmask_b32_e32 v42, v42, v56, vcc
	v_lshlrev_b32_sdwa v52, v52, v39 dst_sel:DWORD dst_unused:UNUSED_PAD src0_sel:DWORD src1_sel:WORD_1
	v_bfrev_b32_e32 v55, 60
	v_lshlrev_b32_e32 v42, 20, v42
	v_and_b32_e32 v52, 0x80000000, v52
	v_lshl_add_u32 v38, v38, 23, v55
	v_or3_b32 v42, v52, v38, v42
.LBB576_147:
	s_or_b64 exec, exec, s[10:11]
.LBB576_148:
	s_or_b64 exec, exec, s[8:9]
.LBB576_149:
	s_or_b64 exec, exec, s[2:3]
	s_mov_b32 s2, 0xffffff
	v_cmp_lt_u32_e32 vcc, s2, v39
	v_mov_b32_e32 v52, 0
	v_mov_b32_e32 v55, 0
	s_and_saveexec_b64 s[2:3], vcc
	s_cbranch_execz .LBB576_155
; %bb.150:
	v_lshrrev_b32_e32 v38, 24, v39
	s_movk_i32 s8, 0x80
	v_cmp_ne_u32_e32 vcc, s8, v38
	v_bfrev_b32_e32 v55, 1
	s_and_saveexec_b64 s[8:9], vcc
	s_cbranch_execz .LBB576_154
; %bb.151:
	v_bfe_u32 v39, v39, 24, 7
	s_movk_i32 s10, 0x7f
	v_cmp_ne_u32_e32 vcc, s10, v39
	v_mov_b32_e32 v55, 0x7f800001
	s_and_saveexec_b64 s[10:11], vcc
	s_cbranch_execz .LBB576_153
; %bb.152:
	v_and_b32_e32 v55, 7, v38
	v_ffbh_u32_e32 v56, v55
	v_min_u32_e32 v59, 32, v56
	v_subrev_u32_e32 v56, 28, v59
	v_lshlrev_b64 v[56:57], v56, v[38:39]
	v_lshrrev_b32_e32 v58, 3, v39
	v_sub_u32_e32 v57, 29, v59
	v_and_b32_e32 v56, 7, v56
	v_cmp_gt_u32_e32 vcc, 8, v39
	v_cndmask_b32_e32 v39, v58, v57, vcc
	v_cndmask_b32_e32 v55, v55, v56, vcc
	v_lshlrev_b32_e32 v38, 24, v38
	v_bfrev_b32_e32 v56, 60
	v_lshlrev_b32_e32 v55, 20, v55
	v_and_b32_e32 v38, 0x80000000, v38
	v_lshl_add_u32 v39, v39, 23, v56
	v_or3_b32 v55, v38, v39, v55
.LBB576_153:
	s_or_b64 exec, exec, s[10:11]
.LBB576_154:
	s_or_b64 exec, exec, s[8:9]
.LBB576_155:
	s_or_b64 exec, exec, s[2:3]
	v_cvt_pkrtz_f16_f32 v38, v51, v44
	v_cvt_pkrtz_f16_f32 v39, v43, v53
	v_cmp_ne_u16_sdwa s[8:9], v40, v52 src0_sel:BYTE_0 src1_sel:DWORD
	s_nop 0
	v_mfma_f32_16x16x16f16 v[56:59], v[38:39], v[26:27], 0
	v_cvt_pkrtz_f16_f32 v38, v45, v54
	v_cvt_pkrtz_f16_f32 v39, v42, v55
	s_nop 1
	v_mfma_f32_16x16x16f16 v[42:45], v[38:39], v[28:29], v[56:59]
	s_and_saveexec_b64 s[2:3], s[8:9]
	s_cbranch_execz .LBB576_161
; %bb.156:
	s_movk_i32 s8, 0x80
	v_cmp_ne_u16_sdwa s[10:11], v40, s8 src0_sel:BYTE_0 src1_sel:DWORD
	v_bfrev_b32_e32 v52, 1
	s_and_saveexec_b64 s[8:9], s[10:11]
	s_cbranch_execz .LBB576_160
; %bb.157:
	s_movk_i32 s10, 0x7f
	v_and_b32_e32 v38, 0x7f, v40
	v_cmp_ne_u32_e32 vcc, s10, v38
	v_mov_b32_e32 v52, 0x7f800001
	s_and_saveexec_b64 s[10:11], vcc
	s_cbranch_execz .LBB576_159
; %bb.158:
	v_and_b32_e32 v39, 7, v40
	v_ffbh_u32_e32 v52, v39
	v_min_u32_e32 v54, 32, v52
	v_subrev_u32_e32 v52, 28, v54
	v_lshlrev_b64 v[52:53], v52, v[40:41]
	v_lshrrev_b32_e32 v51, 3, v38
	v_sub_u32_e32 v53, 29, v54
	v_and_b32_e32 v52, 7, v52
	v_cmp_gt_u32_e32 vcc, 8, v38
	v_cndmask_b32_e32 v38, v51, v53, vcc
	v_cndmask_b32_e32 v39, v39, v52, vcc
	v_lshlrev_b32_e32 v51, 24, v40
	v_bfrev_b32_e32 v52, 60
	v_lshlrev_b32_e32 v39, 20, v39
	v_and_b32_e32 v51, 0x80000000, v51
	v_lshl_add_u32 v38, v38, 23, v52
	v_or3_b32 v52, v51, v38, v39
.LBB576_159:
	s_or_b64 exec, exec, s[10:11]
.LBB576_160:
	s_or_b64 exec, exec, s[8:9]
.LBB576_161:
	s_or_b64 exec, exec, s[2:3]
	v_lshrrev_b16_e32 v38, 8, v40
	v_cmp_ne_u16_e32 vcc, 0, v38
	v_mov_b32_e32 v39, 0
	v_mov_b32_e32 v53, 0
	s_and_saveexec_b64 s[2:3], vcc
	s_cbranch_execz .LBB576_167
; %bb.162:
	s_movk_i32 s8, 0x80
	v_cmp_ne_u16_e32 vcc, s8, v38
	v_bfrev_b32_e32 v53, 1
	s_and_saveexec_b64 s[8:9], vcc
	s_cbranch_execz .LBB576_166
; %bb.163:
	s_movk_i32 s10, 0x7f
	v_and_b32_e32 v51, 0x7f, v38
	v_cmp_ne_u32_e32 vcc, s10, v51
	v_mov_b32_e32 v53, 0x7f800001
	s_and_saveexec_b64 s[10:11], vcc
	s_cbranch_execz .LBB576_165
; %bb.164:
	v_and_b32_e32 v53, 7, v38
	v_ffbh_u32_e32 v54, v53
	v_min_u32_e32 v57, 32, v54
	v_subrev_u32_e32 v54, 28, v57
	v_lshlrev_b64 v[54:55], v54, v[38:39]
	v_lshrrev_b32_e32 v56, 3, v51
	v_sub_u32_e32 v38, 29, v57
	v_and_b32_e32 v54, 7, v54
	v_cmp_gt_u32_e32 vcc, 8, v51
	v_cndmask_b32_e32 v38, v56, v38, vcc
	v_cndmask_b32_e32 v51, v53, v54, vcc
	v_lshlrev_b32_e32 v53, 16, v40
	v_bfrev_b32_e32 v54, 60
	v_lshlrev_b32_e32 v51, 20, v51
	v_and_b32_e32 v53, 0x80000000, v53
	v_lshl_add_u32 v38, v38, 23, v54
	v_or3_b32 v53, v53, v38, v51
.LBB576_165:
	s_or_b64 exec, exec, s[10:11]
.LBB576_166:
	s_or_b64 exec, exec, s[8:9]
.LBB576_167:
	s_or_b64 exec, exec, s[2:3]
	s_movk_i32 s2, 0xff
	v_and_b32_sdwa v51, v40, s2 dst_sel:DWORD dst_unused:UNUSED_PAD src0_sel:WORD_1 src1_sel:DWORD
	v_lshrrev_b32_e32 v38, 16, v40
	v_cmp_ne_u16_e32 vcc, 0, v51
	s_and_saveexec_b64 s[2:3], vcc
	s_cbranch_execz .LBB576_173
; %bb.168:
	s_movk_i32 s8, 0x80
	v_cmp_ne_u16_e32 vcc, s8, v51
	v_bfrev_b32_e32 v39, 1
	s_and_saveexec_b64 s[8:9], vcc
	s_cbranch_execz .LBB576_172
; %bb.169:
	v_bfe_u32 v51, v40, 16, 7
	s_movk_i32 s10, 0x7f
	v_cmp_ne_u32_e32 vcc, s10, v51
	v_mov_b32_e32 v39, 0x7f800001
	s_and_saveexec_b64 s[10:11], vcc
	s_cbranch_execz .LBB576_171
; %bb.170:
	v_and_b32_e32 v54, 7, v38
	v_ffbh_u32_e32 v39, v54
	v_min_u32_e32 v56, 32, v39
	v_subrev_u32_e32 v39, 28, v56
	v_lshlrev_b64 v[38:39], v39, v[38:39]
	v_lshrrev_b32_e32 v55, 3, v51
	v_sub_u32_e32 v39, 29, v56
	v_and_b32_e32 v38, 7, v38
	v_cmp_gt_u32_e32 vcc, 8, v51
	v_mov_b32_e32 v51, 24
	v_cndmask_b32_e32 v39, v55, v39, vcc
	v_cndmask_b32_e32 v38, v54, v38, vcc
	v_lshlrev_b32_sdwa v51, v51, v40 dst_sel:DWORD dst_unused:UNUSED_PAD src0_sel:DWORD src1_sel:WORD_1
	v_bfrev_b32_e32 v54, 60
	v_lshlrev_b32_e32 v38, 20, v38
	v_and_b32_e32 v51, 0x80000000, v51
	v_lshl_add_u32 v39, v39, 23, v54
	v_or3_b32 v39, v51, v39, v38
.LBB576_171:
	s_or_b64 exec, exec, s[10:11]
.LBB576_172:
	s_or_b64 exec, exec, s[8:9]
.LBB576_173:
	s_or_b64 exec, exec, s[2:3]
	s_mov_b32 s2, 0xffffff
	v_cmp_lt_u32_e32 vcc, s2, v40
	v_mov_b32_e32 v54, 0
	v_mov_b32_e32 v55, 0
	s_and_saveexec_b64 s[2:3], vcc
	s_cbranch_execz .LBB576_179
; %bb.174:
	v_lshrrev_b32_e32 v38, 24, v40
	s_movk_i32 s8, 0x80
	v_cmp_ne_u32_e32 vcc, s8, v38
	v_bfrev_b32_e32 v55, 1
	s_and_saveexec_b64 s[8:9], vcc
	s_cbranch_execz .LBB576_178
; %bb.175:
	v_bfe_u32 v40, v40, 24, 7
	s_movk_i32 s10, 0x7f
	v_cmp_ne_u32_e32 vcc, s10, v40
	v_mov_b32_e32 v55, 0x7f800001
	s_and_saveexec_b64 s[10:11], vcc
	s_cbranch_execz .LBB576_177
; %bb.176:
	v_and_b32_e32 v51, 7, v38
	v_ffbh_u32_e32 v56, v51
	v_min_u32_e32 v58, 32, v56
	v_subrev_u32_e32 v56, 28, v58
	v_lshlrev_b64 v[56:57], v56, v[38:39]
	v_lshrrev_b32_e32 v55, 3, v40
	v_sub_u32_e32 v57, 29, v58
	v_and_b32_e32 v56, 7, v56
	v_cmp_gt_u32_e32 vcc, 8, v40
	v_cndmask_b32_e32 v40, v55, v57, vcc
	v_cndmask_b32_e32 v51, v51, v56, vcc
	v_lshlrev_b32_e32 v38, 24, v38
	v_bfrev_b32_e32 v55, 60
	v_lshlrev_b32_e32 v51, 20, v51
	v_and_b32_e32 v38, 0x80000000, v38
	v_lshl_add_u32 v40, v40, 23, v55
	v_or3_b32 v55, v38, v40, v51
.LBB576_177:
	s_or_b64 exec, exec, s[10:11]
.LBB576_178:
	s_or_b64 exec, exec, s[8:9]
.LBB576_179:
	s_or_b64 exec, exec, s[2:3]
	v_cmp_ne_u16_sdwa s[8:9], v41, v54 src0_sel:BYTE_0 src1_sel:DWORD
	s_and_saveexec_b64 s[2:3], s[8:9]
	s_cbranch_execz .LBB576_185
; %bb.180:
	s_movk_i32 s8, 0x80
	v_cmp_ne_u16_sdwa s[10:11], v41, s8 src0_sel:BYTE_0 src1_sel:DWORD
	v_bfrev_b32_e32 v54, 1
	s_and_saveexec_b64 s[8:9], s[10:11]
	s_cbranch_execz .LBB576_184
; %bb.181:
	s_movk_i32 s10, 0x7f
	v_and_b32_e32 v38, 0x7f, v41
	v_cmp_ne_u32_e32 vcc, s10, v38
	v_mov_b32_e32 v54, 0x7f800001
	s_and_saveexec_b64 s[10:11], vcc
	s_cbranch_execz .LBB576_183
; %bb.182:
	v_and_b32_e32 v51, 7, v41
	v_ffbh_u32_e32 v56, v51
	v_min_u32_e32 v58, 32, v56
	v_mov_b32_e32 v40, v41
	v_subrev_u32_e32 v56, 28, v58
	v_lshlrev_b64 v[56:57], v56, v[40:41]
	v_lshrrev_b32_e32 v54, 3, v38
	v_sub_u32_e32 v40, 29, v58
	v_and_b32_e32 v56, 7, v56
	v_cmp_gt_u32_e32 vcc, 8, v38
	v_cndmask_b32_e32 v38, v54, v40, vcc
	v_cndmask_b32_e32 v40, v51, v56, vcc
	v_lshlrev_b32_e32 v51, 24, v41
	v_bfrev_b32_e32 v54, 60
	v_lshlrev_b32_e32 v40, 20, v40
	v_and_b32_e32 v51, 0x80000000, v51
	v_lshl_add_u32 v38, v38, 23, v54
	v_or3_b32 v54, v51, v38, v40
.LBB576_183:
	s_or_b64 exec, exec, s[10:11]
.LBB576_184:
	s_or_b64 exec, exec, s[8:9]
.LBB576_185:
	s_or_b64 exec, exec, s[2:3]
	v_lshrrev_b16_e32 v38, 8, v41
	v_cmp_ne_u16_e32 vcc, 0, v38
	v_mov_b32_e32 v40, 0
	v_mov_b32_e32 v56, 0
	s_and_saveexec_b64 s[2:3], vcc
	s_cbranch_execz .LBB576_191
; %bb.186:
	s_movk_i32 s8, 0x80
	v_cmp_ne_u16_e32 vcc, s8, v38
	v_bfrev_b32_e32 v56, 1
	s_and_saveexec_b64 s[8:9], vcc
	s_cbranch_execz .LBB576_190
; %bb.187:
	s_movk_i32 s10, 0x7f
	v_and_b32_e32 v51, 0x7f, v38
	v_cmp_ne_u32_e32 vcc, s10, v51
	v_mov_b32_e32 v56, 0x7f800001
	s_and_saveexec_b64 s[10:11], vcc
	s_cbranch_execz .LBB576_189
; %bb.188:
	v_and_b32_e32 v58, 7, v38
	v_ffbh_u32_e32 v56, v58
	v_min_u32_e32 v60, 32, v56
	v_subrev_u32_e32 v56, 28, v60
	v_lshlrev_b64 v[56:57], v56, v[38:39]
	v_lshrrev_b32_e32 v59, 3, v51
	v_sub_u32_e32 v38, 29, v60
	v_and_b32_e32 v56, 7, v56
	v_cmp_gt_u32_e32 vcc, 8, v51
	v_cndmask_b32_e32 v38, v59, v38, vcc
	v_cndmask_b32_e32 v51, v58, v56, vcc
	v_lshlrev_b32_e32 v56, 16, v41
	v_bfrev_b32_e32 v57, 60
	v_lshlrev_b32_e32 v51, 20, v51
	v_and_b32_e32 v56, 0x80000000, v56
	v_lshl_add_u32 v38, v38, 23, v57
	v_or3_b32 v56, v56, v38, v51
.LBB576_189:
	s_or_b64 exec, exec, s[10:11]
.LBB576_190:
	s_or_b64 exec, exec, s[8:9]
.LBB576_191:
	s_or_b64 exec, exec, s[2:3]
	s_movk_i32 s2, 0xff
	v_and_b32_sdwa v51, v41, s2 dst_sel:DWORD dst_unused:UNUSED_PAD src0_sel:WORD_1 src1_sel:DWORD
	v_lshrrev_b32_e32 v38, 16, v41
	v_cmp_ne_u16_e32 vcc, 0, v51
	s_and_saveexec_b64 s[2:3], vcc
	s_cbranch_execz .LBB576_197
; %bb.192:
	s_movk_i32 s8, 0x80
	v_cmp_ne_u16_e32 vcc, s8, v51
	v_bfrev_b32_e32 v40, 1
	s_and_saveexec_b64 s[8:9], vcc
	s_cbranch_execz .LBB576_196
; %bb.193:
	v_bfe_u32 v51, v41, 16, 7
	s_movk_i32 s10, 0x7f
	v_cmp_ne_u32_e32 vcc, s10, v51
	v_mov_b32_e32 v40, 0x7f800001
	s_and_saveexec_b64 s[10:11], vcc
	s_cbranch_execz .LBB576_195
; %bb.194:
	v_and_b32_e32 v40, 7, v38
	v_ffbh_u32_e32 v58, v40
	v_min_u32_e32 v60, 32, v58
	v_subrev_u32_e32 v58, 28, v60
	v_lshlrev_b64 v[58:59], v58, v[38:39]
	v_lshrrev_b32_e32 v57, 3, v51
	v_sub_u32_e32 v38, 29, v60
	v_and_b32_e32 v58, 7, v58
	v_cmp_gt_u32_e32 vcc, 8, v51
	v_mov_b32_e32 v51, 24
	v_cndmask_b32_e32 v38, v57, v38, vcc
	v_cndmask_b32_e32 v40, v40, v58, vcc
	v_lshlrev_b32_sdwa v51, v51, v41 dst_sel:DWORD dst_unused:UNUSED_PAD src0_sel:DWORD src1_sel:WORD_1
	v_bfrev_b32_e32 v57, 60
	v_lshlrev_b32_e32 v40, 20, v40
	v_and_b32_e32 v51, 0x80000000, v51
	v_lshl_add_u32 v38, v38, 23, v57
	v_or3_b32 v40, v51, v38, v40
.LBB576_195:
	s_or_b64 exec, exec, s[10:11]
.LBB576_196:
	s_or_b64 exec, exec, s[8:9]
.LBB576_197:
	s_or_b64 exec, exec, s[2:3]
	s_mov_b32 s2, 0xffffff
	v_cmp_lt_u32_e32 vcc, s2, v41
	v_mov_b32_e32 v51, 0
	v_mov_b32_e32 v57, 0
	s_and_saveexec_b64 s[2:3], vcc
	s_cbranch_execz .LBB576_203
; %bb.198:
	v_lshrrev_b32_e32 v38, 24, v41
	s_movk_i32 s8, 0x80
	v_cmp_ne_u32_e32 vcc, s8, v38
	v_bfrev_b32_e32 v57, 1
	s_and_saveexec_b64 s[8:9], vcc
	s_cbranch_execz .LBB576_202
; %bb.199:
	v_bfe_u32 v41, v41, 24, 7
	s_movk_i32 s10, 0x7f
	v_cmp_ne_u32_e32 vcc, s10, v41
	v_mov_b32_e32 v57, 0x7f800001
	s_and_saveexec_b64 s[10:11], vcc
	s_cbranch_execz .LBB576_201
; %bb.200:
	v_and_b32_e32 v57, 7, v38
	v_ffbh_u32_e32 v58, v57
	v_min_u32_e32 v61, 32, v58
	v_subrev_u32_e32 v58, 28, v61
	v_lshlrev_b64 v[58:59], v58, v[38:39]
	v_lshrrev_b32_e32 v60, 3, v41
	v_sub_u32_e32 v59, 29, v61
	v_and_b32_e32 v58, 7, v58
	v_cmp_gt_u32_e32 vcc, 8, v41
	v_cndmask_b32_e32 v41, v60, v59, vcc
	v_cndmask_b32_e32 v57, v57, v58, vcc
	v_lshlrev_b32_e32 v38, 24, v38
	v_bfrev_b32_e32 v58, 60
	v_lshlrev_b32_e32 v57, 20, v57
	v_and_b32_e32 v38, 0x80000000, v38
	v_lshl_add_u32 v41, v41, 23, v58
	v_or3_b32 v57, v38, v41, v57
.LBB576_201:
	s_or_b64 exec, exec, s[10:11]
.LBB576_202:
	s_or_b64 exec, exec, s[8:9]
.LBB576_203:
	s_or_b64 exec, exec, s[2:3]
	v_cvt_pkrtz_f16_f32 v38, v52, v53
	v_cvt_pkrtz_f16_f32 v39, v39, v55
	s_waitcnt vmcnt(5)
	v_cmp_ne_u16_sdwa s[8:9], v34, v51 src0_sel:BYTE_0 src1_sel:DWORD
	v_mfma_f32_16x16x16f16 v[42:45], v[38:39], v[18:19], v[42:45]
	v_cvt_pkrtz_f16_f32 v38, v54, v56
	v_cvt_pkrtz_f16_f32 v39, v40, v57
	s_nop 1
	v_mfma_f32_16x16x16f16 v[38:41], v[38:39], v[20:21], v[42:45]
	s_and_saveexec_b64 s[2:3], s[8:9]
	s_cbranch_execz .LBB576_209
; %bb.204:
	s_movk_i32 s8, 0x80
	v_cmp_ne_u16_sdwa s[10:11], v34, s8 src0_sel:BYTE_0 src1_sel:DWORD
	v_bfrev_b32_e32 v51, 1
	s_and_saveexec_b64 s[8:9], s[10:11]
	s_cbranch_execz .LBB576_208
; %bb.205:
	s_movk_i32 s10, 0x7f
	v_and_b32_e32 v42, 0x7f, v34
	v_cmp_ne_u32_e32 vcc, s10, v42
	v_mov_b32_e32 v51, 0x7f800001
	s_and_saveexec_b64 s[10:11], vcc
	s_cbranch_execz .LBB576_207
; %bb.206:
	v_and_b32_e32 v43, 7, v34
	v_ffbh_u32_e32 v44, v43
	v_min_u32_e32 v52, 32, v44
	v_subrev_u32_e32 v44, 28, v52
	v_lshlrev_b64 v[44:45], v44, v[34:35]
	v_lshrrev_b32_e32 v51, 3, v42
	v_sub_u32_e32 v45, 29, v52
	v_and_b32_e32 v44, 7, v44
	v_cmp_gt_u32_e32 vcc, 8, v42
	v_cndmask_b32_e32 v42, v51, v45, vcc
	v_cndmask_b32_e32 v43, v43, v44, vcc
	v_lshlrev_b32_e32 v44, 24, v34
	v_bfrev_b32_e32 v45, 60
	v_lshlrev_b32_e32 v43, 20, v43
	v_and_b32_e32 v44, 0x80000000, v44
	v_lshl_add_u32 v42, v42, 23, v45
	v_or3_b32 v51, v44, v42, v43
.LBB576_207:
	s_or_b64 exec, exec, s[10:11]
.LBB576_208:
	s_or_b64 exec, exec, s[8:9]
.LBB576_209:
	s_or_b64 exec, exec, s[2:3]
	s_nop 3
	v_lshrrev_b16_e32 v42, 8, v34
	v_cmp_ne_u16_e32 vcc, 0, v42
	v_mov_b32_e32 v43, 0
	v_mov_b32_e32 v44, 0
	s_and_saveexec_b64 s[2:3], vcc
	s_cbranch_execz .LBB576_215
; %bb.210:
	s_movk_i32 s8, 0x80
	v_cmp_ne_u16_e32 vcc, s8, v42
	v_bfrev_b32_e32 v44, 1
	s_and_saveexec_b64 s[8:9], vcc
	s_cbranch_execz .LBB576_214
; %bb.211:
	s_movk_i32 s10, 0x7f
	v_and_b32_e32 v45, 0x7f, v42
	v_cmp_ne_u32_e32 vcc, s10, v45
	v_mov_b32_e32 v44, 0x7f800001
	s_and_saveexec_b64 s[10:11], vcc
	s_cbranch_execz .LBB576_213
; %bb.212:
	v_and_b32_e32 v44, 7, v42
	v_ffbh_u32_e32 v52, v44
	v_min_u32_e32 v55, 32, v52
	v_subrev_u32_e32 v52, 28, v55
	v_lshlrev_b64 v[52:53], v52, v[42:43]
	v_lshrrev_b32_e32 v54, 3, v45
	v_sub_u32_e32 v42, 29, v55
	v_and_b32_e32 v52, 7, v52
	v_cmp_gt_u32_e32 vcc, 8, v45
	v_cndmask_b32_e32 v42, v54, v42, vcc
	v_cndmask_b32_e32 v44, v44, v52, vcc
	v_lshlrev_b32_e32 v45, 16, v34
	v_bfrev_b32_e32 v52, 60
	v_lshlrev_b32_e32 v44, 20, v44
	v_and_b32_e32 v45, 0x80000000, v45
	v_lshl_add_u32 v42, v42, 23, v52
	v_or3_b32 v44, v45, v42, v44
.LBB576_213:
	s_or_b64 exec, exec, s[10:11]
.LBB576_214:
	s_or_b64 exec, exec, s[8:9]
.LBB576_215:
	s_or_b64 exec, exec, s[2:3]
	s_movk_i32 s2, 0xff
	v_and_b32_sdwa v45, v34, s2 dst_sel:DWORD dst_unused:UNUSED_PAD src0_sel:WORD_1 src1_sel:DWORD
	v_lshrrev_b32_e32 v42, 16, v34
	v_cmp_ne_u16_e32 vcc, 0, v45
	s_and_saveexec_b64 s[2:3], vcc
	s_cbranch_execz .LBB576_221
; %bb.216:
	s_movk_i32 s8, 0x80
	v_cmp_ne_u16_e32 vcc, s8, v45
	v_bfrev_b32_e32 v43, 1
	s_and_saveexec_b64 s[8:9], vcc
	s_cbranch_execz .LBB576_220
; %bb.217:
	v_bfe_u32 v45, v34, 16, 7
	s_movk_i32 s10, 0x7f
	v_cmp_ne_u32_e32 vcc, s10, v45
	v_mov_b32_e32 v43, 0x7f800001
	s_and_saveexec_b64 s[10:11], vcc
	s_cbranch_execz .LBB576_219
; %bb.218:
	v_and_b32_e32 v52, 7, v42
	v_ffbh_u32_e32 v43, v52
	v_min_u32_e32 v54, 32, v43
	v_subrev_u32_e32 v43, 28, v54
	v_lshlrev_b64 v[42:43], v43, v[42:43]
	v_lshrrev_b32_e32 v53, 3, v45
	v_sub_u32_e32 v43, 29, v54
	v_and_b32_e32 v42, 7, v42
	v_cmp_gt_u32_e32 vcc, 8, v45
	v_mov_b32_e32 v45, 24
	v_cndmask_b32_e32 v43, v53, v43, vcc
	v_cndmask_b32_e32 v42, v52, v42, vcc
	v_lshlrev_b32_sdwa v45, v45, v34 dst_sel:DWORD dst_unused:UNUSED_PAD src0_sel:DWORD src1_sel:WORD_1
	v_bfrev_b32_e32 v52, 60
	v_lshlrev_b32_e32 v42, 20, v42
	v_and_b32_e32 v45, 0x80000000, v45
	v_lshl_add_u32 v43, v43, 23, v52
	v_or3_b32 v43, v45, v43, v42
.LBB576_219:
	s_or_b64 exec, exec, s[10:11]
.LBB576_220:
	s_or_b64 exec, exec, s[8:9]
.LBB576_221:
	s_or_b64 exec, exec, s[2:3]
	s_mov_b32 s2, 0xffffff
	v_cmp_lt_u32_e32 vcc, s2, v34
	v_mov_b32_e32 v45, 0
	v_mov_b32_e32 v53, 0
	s_and_saveexec_b64 s[2:3], vcc
	s_cbranch_execz .LBB576_227
; %bb.222:
	v_lshrrev_b32_e32 v42, 24, v34
	s_movk_i32 s8, 0x80
	v_cmp_ne_u32_e32 vcc, s8, v42
	v_bfrev_b32_e32 v53, 1
	s_and_saveexec_b64 s[8:9], vcc
	s_cbranch_execz .LBB576_226
; %bb.223:
	v_bfe_u32 v34, v34, 24, 7
	s_movk_i32 s10, 0x7f
	v_cmp_ne_u32_e32 vcc, s10, v34
	v_mov_b32_e32 v53, 0x7f800001
	s_and_saveexec_b64 s[10:11], vcc
	s_cbranch_execz .LBB576_225
; %bb.224:
	v_and_b32_e32 v54, 7, v42
	v_ffbh_u32_e32 v52, v54
	v_min_u32_e32 v56, 32, v52
	v_subrev_u32_e32 v52, 28, v56
	v_lshlrev_b64 v[52:53], v52, v[42:43]
	v_lshrrev_b32_e32 v55, 3, v34
	v_sub_u32_e32 v53, 29, v56
	v_and_b32_e32 v52, 7, v52
	v_cmp_gt_u32_e32 vcc, 8, v34
	v_cndmask_b32_e32 v34, v55, v53, vcc
	v_cndmask_b32_e32 v52, v54, v52, vcc
	v_lshlrev_b32_e32 v42, 24, v42
	v_bfrev_b32_e32 v53, 60
	v_lshlrev_b32_e32 v52, 20, v52
	v_and_b32_e32 v42, 0x80000000, v42
	v_lshl_add_u32 v34, v34, 23, v53
	v_or3_b32 v53, v42, v34, v52
.LBB576_225:
	s_or_b64 exec, exec, s[10:11]
.LBB576_226:
	s_or_b64 exec, exec, s[8:9]
.LBB576_227:
	s_or_b64 exec, exec, s[2:3]
	v_cmp_ne_u16_sdwa s[8:9], v35, v45 src0_sel:BYTE_0 src1_sel:DWORD
	s_and_saveexec_b64 s[2:3], s[8:9]
	s_cbranch_execz .LBB576_233
; %bb.228:
	s_movk_i32 s8, 0x80
	v_cmp_ne_u16_sdwa s[10:11], v35, s8 src0_sel:BYTE_0 src1_sel:DWORD
	v_bfrev_b32_e32 v45, 1
	s_and_saveexec_b64 s[8:9], s[10:11]
	s_cbranch_execz .LBB576_232
; %bb.229:
	s_movk_i32 s10, 0x7f
	v_and_b32_e32 v34, 0x7f, v35
	v_cmp_ne_u32_e32 vcc, s10, v34
	v_mov_b32_e32 v45, 0x7f800001
	s_and_saveexec_b64 s[10:11], vcc
	s_cbranch_execz .LBB576_231
; %bb.230:
	v_and_b32_e32 v45, 7, v35
	v_ffbh_u32_e32 v54, v45
	v_min_u32_e32 v56, 32, v54
	v_mov_b32_e32 v42, v35
	v_subrev_u32_e32 v54, 28, v56
	v_lshlrev_b64 v[54:55], v54, v[42:43]
	v_lshrrev_b32_e32 v52, 3, v34
	v_sub_u32_e32 v42, 29, v56
	v_and_b32_e32 v54, 7, v54
	v_cmp_gt_u32_e32 vcc, 8, v34
	v_cndmask_b32_e32 v34, v52, v42, vcc
	v_cndmask_b32_e32 v42, v45, v54, vcc
	v_lshlrev_b32_e32 v45, 24, v35
	v_bfrev_b32_e32 v52, 60
	v_lshlrev_b32_e32 v42, 20, v42
	v_and_b32_e32 v45, 0x80000000, v45
	v_lshl_add_u32 v34, v34, 23, v52
	v_or3_b32 v45, v45, v34, v42
.LBB576_231:
	s_or_b64 exec, exec, s[10:11]
.LBB576_232:
	s_or_b64 exec, exec, s[8:9]
.LBB576_233:
	s_or_b64 exec, exec, s[2:3]
	v_lshrrev_b16_e32 v34, 8, v35
	v_cmp_ne_u16_e32 vcc, 0, v34
	v_mov_b32_e32 v42, 0
	v_mov_b32_e32 v54, 0
	s_and_saveexec_b64 s[2:3], vcc
	s_cbranch_execz .LBB576_239
; %bb.234:
	s_movk_i32 s8, 0x80
	v_cmp_ne_u16_e32 vcc, s8, v34
	v_bfrev_b32_e32 v54, 1
	s_and_saveexec_b64 s[8:9], vcc
	s_cbranch_execz .LBB576_238
; %bb.235:
	s_movk_i32 s10, 0x7f
	v_and_b32_e32 v52, 0x7f, v34
	v_cmp_ne_u32_e32 vcc, s10, v52
	v_mov_b32_e32 v54, 0x7f800001
	s_and_saveexec_b64 s[10:11], vcc
	s_cbranch_execz .LBB576_237
; %bb.236:
	v_and_b32_e32 v56, 7, v34
	v_ffbh_u32_e32 v54, v56
	v_min_u32_e32 v58, 32, v54
	v_subrev_u32_e32 v54, 28, v58
	v_lshlrev_b64 v[54:55], v54, v[34:35]
	v_lshrrev_b32_e32 v57, 3, v52
	v_sub_u32_e32 v34, 29, v58
	v_and_b32_e32 v54, 7, v54
	v_cmp_gt_u32_e32 vcc, 8, v52
	v_cndmask_b32_e32 v34, v57, v34, vcc
	v_cndmask_b32_e32 v52, v56, v54, vcc
	v_lshlrev_b32_e32 v54, 16, v35
	v_bfrev_b32_e32 v55, 60
	v_lshlrev_b32_e32 v52, 20, v52
	v_and_b32_e32 v54, 0x80000000, v54
	v_lshl_add_u32 v34, v34, 23, v55
	v_or3_b32 v54, v54, v34, v52
.LBB576_237:
	s_or_b64 exec, exec, s[10:11]
.LBB576_238:
	s_or_b64 exec, exec, s[8:9]
.LBB576_239:
	s_or_b64 exec, exec, s[2:3]
	s_movk_i32 s2, 0xff
	v_and_b32_sdwa v52, v35, s2 dst_sel:DWORD dst_unused:UNUSED_PAD src0_sel:WORD_1 src1_sel:DWORD
	v_lshrrev_b32_e32 v34, 16, v35
	v_cmp_ne_u16_e32 vcc, 0, v52
	s_and_saveexec_b64 s[2:3], vcc
	s_cbranch_execz .LBB576_245
; %bb.240:
	s_movk_i32 s8, 0x80
	v_cmp_ne_u16_e32 vcc, s8, v52
	v_bfrev_b32_e32 v42, 1
	s_and_saveexec_b64 s[8:9], vcc
	s_cbranch_execz .LBB576_244
; %bb.241:
	v_bfe_u32 v52, v35, 16, 7
	s_movk_i32 s10, 0x7f
	v_cmp_ne_u32_e32 vcc, s10, v52
	v_mov_b32_e32 v42, 0x7f800001
	s_and_saveexec_b64 s[10:11], vcc
	s_cbranch_execz .LBB576_243
; %bb.242:
	v_and_b32_e32 v42, 7, v34
	v_ffbh_u32_e32 v56, v42
	v_min_u32_e32 v58, 32, v56
	v_subrev_u32_e32 v56, 28, v58
	v_lshlrev_b64 v[56:57], v56, v[34:35]
	v_lshrrev_b32_e32 v55, 3, v52
	v_sub_u32_e32 v34, 29, v58
	v_and_b32_e32 v56, 7, v56
	v_cmp_gt_u32_e32 vcc, 8, v52
	v_mov_b32_e32 v52, 24
	v_cndmask_b32_e32 v34, v55, v34, vcc
	v_cndmask_b32_e32 v42, v42, v56, vcc
	v_lshlrev_b32_sdwa v52, v52, v35 dst_sel:DWORD dst_unused:UNUSED_PAD src0_sel:DWORD src1_sel:WORD_1
	v_bfrev_b32_e32 v55, 60
	v_lshlrev_b32_e32 v42, 20, v42
	v_and_b32_e32 v52, 0x80000000, v52
	v_lshl_add_u32 v34, v34, 23, v55
	v_or3_b32 v42, v52, v34, v42
.LBB576_243:
	s_or_b64 exec, exec, s[10:11]
.LBB576_244:
	s_or_b64 exec, exec, s[8:9]
.LBB576_245:
	s_or_b64 exec, exec, s[2:3]
	s_mov_b32 s2, 0xffffff
	v_cmp_lt_u32_e32 vcc, s2, v35
	v_mov_b32_e32 v52, 0
	v_mov_b32_e32 v55, 0
	s_and_saveexec_b64 s[2:3], vcc
	s_cbranch_execz .LBB576_251
; %bb.246:
	v_lshrrev_b32_e32 v34, 24, v35
	s_movk_i32 s8, 0x80
	v_cmp_ne_u32_e32 vcc, s8, v34
	v_bfrev_b32_e32 v55, 1
	s_and_saveexec_b64 s[8:9], vcc
	s_cbranch_execz .LBB576_250
; %bb.247:
	v_bfe_u32 v35, v35, 24, 7
	s_movk_i32 s10, 0x7f
	v_cmp_ne_u32_e32 vcc, s10, v35
	v_mov_b32_e32 v55, 0x7f800001
	s_and_saveexec_b64 s[10:11], vcc
	s_cbranch_execz .LBB576_249
; %bb.248:
	v_and_b32_e32 v55, 7, v34
	v_ffbh_u32_e32 v56, v55
	v_min_u32_e32 v59, 32, v56
	v_subrev_u32_e32 v56, 28, v59
	v_lshlrev_b64 v[56:57], v56, v[34:35]
	v_lshrrev_b32_e32 v58, 3, v35
	v_sub_u32_e32 v57, 29, v59
	v_and_b32_e32 v56, 7, v56
	v_cmp_gt_u32_e32 vcc, 8, v35
	v_cndmask_b32_e32 v35, v58, v57, vcc
	v_cndmask_b32_e32 v55, v55, v56, vcc
	v_lshlrev_b32_e32 v34, 24, v34
	v_bfrev_b32_e32 v56, 60
	v_lshlrev_b32_e32 v55, 20, v55
	v_and_b32_e32 v34, 0x80000000, v34
	v_lshl_add_u32 v35, v35, 23, v56
	v_or3_b32 v55, v34, v35, v55
.LBB576_249:
	s_or_b64 exec, exec, s[10:11]
.LBB576_250:
	s_or_b64 exec, exec, s[8:9]
.LBB576_251:
	s_or_b64 exec, exec, s[2:3]
	v_cvt_pkrtz_f16_f32 v34, v51, v44
	v_cvt_pkrtz_f16_f32 v35, v43, v53
	v_cmp_ne_u16_sdwa s[8:9], v36, v52 src0_sel:BYTE_0 src1_sel:DWORD
	s_nop 0
	v_mfma_f32_16x16x16f16 v[56:59], v[34:35], v[26:27], 0
	v_cvt_pkrtz_f16_f32 v34, v45, v54
	v_cvt_pkrtz_f16_f32 v35, v42, v55
	s_nop 1
	v_mfma_f32_16x16x16f16 v[42:45], v[34:35], v[28:29], v[56:59]
	s_and_saveexec_b64 s[2:3], s[8:9]
	s_cbranch_execz .LBB576_257
; %bb.252:
	s_movk_i32 s8, 0x80
	v_cmp_ne_u16_sdwa s[10:11], v36, s8 src0_sel:BYTE_0 src1_sel:DWORD
	v_bfrev_b32_e32 v52, 1
	s_and_saveexec_b64 s[8:9], s[10:11]
	s_cbranch_execz .LBB576_256
; %bb.253:
	s_movk_i32 s10, 0x7f
	v_and_b32_e32 v34, 0x7f, v36
	v_cmp_ne_u32_e32 vcc, s10, v34
	v_mov_b32_e32 v52, 0x7f800001
	s_and_saveexec_b64 s[10:11], vcc
	s_cbranch_execz .LBB576_255
; %bb.254:
	v_and_b32_e32 v35, 7, v36
	v_ffbh_u32_e32 v52, v35
	v_min_u32_e32 v54, 32, v52
	v_subrev_u32_e32 v52, 28, v54
	v_lshlrev_b64 v[52:53], v52, v[36:37]
	v_lshrrev_b32_e32 v51, 3, v34
	v_sub_u32_e32 v53, 29, v54
	v_and_b32_e32 v52, 7, v52
	v_cmp_gt_u32_e32 vcc, 8, v34
	v_cndmask_b32_e32 v34, v51, v53, vcc
	v_cndmask_b32_e32 v35, v35, v52, vcc
	v_lshlrev_b32_e32 v51, 24, v36
	v_bfrev_b32_e32 v52, 60
	v_lshlrev_b32_e32 v35, 20, v35
	v_and_b32_e32 v51, 0x80000000, v51
	v_lshl_add_u32 v34, v34, 23, v52
	v_or3_b32 v52, v51, v34, v35
.LBB576_255:
	s_or_b64 exec, exec, s[10:11]
.LBB576_256:
	s_or_b64 exec, exec, s[8:9]
.LBB576_257:
	s_or_b64 exec, exec, s[2:3]
	v_lshrrev_b16_e32 v34, 8, v36
	v_cmp_ne_u16_e32 vcc, 0, v34
	v_mov_b32_e32 v35, 0
	v_mov_b32_e32 v53, 0
	s_and_saveexec_b64 s[2:3], vcc
	s_cbranch_execz .LBB576_263
; %bb.258:
	s_movk_i32 s8, 0x80
	v_cmp_ne_u16_e32 vcc, s8, v34
	v_bfrev_b32_e32 v53, 1
	s_and_saveexec_b64 s[8:9], vcc
	s_cbranch_execz .LBB576_262
; %bb.259:
	s_movk_i32 s10, 0x7f
	v_and_b32_e32 v51, 0x7f, v34
	v_cmp_ne_u32_e32 vcc, s10, v51
	v_mov_b32_e32 v53, 0x7f800001
	s_and_saveexec_b64 s[10:11], vcc
	s_cbranch_execz .LBB576_261
; %bb.260:
	v_and_b32_e32 v53, 7, v34
	v_ffbh_u32_e32 v54, v53
	v_min_u32_e32 v57, 32, v54
	v_subrev_u32_e32 v54, 28, v57
	v_lshlrev_b64 v[54:55], v54, v[34:35]
	v_lshrrev_b32_e32 v56, 3, v51
	v_sub_u32_e32 v34, 29, v57
	v_and_b32_e32 v54, 7, v54
	v_cmp_gt_u32_e32 vcc, 8, v51
	v_cndmask_b32_e32 v34, v56, v34, vcc
	v_cndmask_b32_e32 v51, v53, v54, vcc
	v_lshlrev_b32_e32 v53, 16, v36
	v_bfrev_b32_e32 v54, 60
	v_lshlrev_b32_e32 v51, 20, v51
	v_and_b32_e32 v53, 0x80000000, v53
	v_lshl_add_u32 v34, v34, 23, v54
	v_or3_b32 v53, v53, v34, v51
.LBB576_261:
	s_or_b64 exec, exec, s[10:11]
.LBB576_262:
	s_or_b64 exec, exec, s[8:9]
.LBB576_263:
	s_or_b64 exec, exec, s[2:3]
	s_movk_i32 s2, 0xff
	v_and_b32_sdwa v51, v36, s2 dst_sel:DWORD dst_unused:UNUSED_PAD src0_sel:WORD_1 src1_sel:DWORD
	v_lshrrev_b32_e32 v34, 16, v36
	v_cmp_ne_u16_e32 vcc, 0, v51
	s_and_saveexec_b64 s[2:3], vcc
	s_cbranch_execz .LBB576_269
; %bb.264:
	s_movk_i32 s8, 0x80
	v_cmp_ne_u16_e32 vcc, s8, v51
	v_bfrev_b32_e32 v35, 1
	s_and_saveexec_b64 s[8:9], vcc
	s_cbranch_execz .LBB576_268
; %bb.265:
	v_bfe_u32 v51, v36, 16, 7
	s_movk_i32 s10, 0x7f
	v_cmp_ne_u32_e32 vcc, s10, v51
	v_mov_b32_e32 v35, 0x7f800001
	s_and_saveexec_b64 s[10:11], vcc
	s_cbranch_execz .LBB576_267
; %bb.266:
	v_and_b32_e32 v54, 7, v34
	v_ffbh_u32_e32 v35, v54
	v_min_u32_e32 v56, 32, v35
	v_subrev_u32_e32 v35, 28, v56
	v_lshlrev_b64 v[34:35], v35, v[34:35]
	v_lshrrev_b32_e32 v55, 3, v51
	v_sub_u32_e32 v35, 29, v56
	v_and_b32_e32 v34, 7, v34
	v_cmp_gt_u32_e32 vcc, 8, v51
	v_mov_b32_e32 v51, 24
	v_cndmask_b32_e32 v35, v55, v35, vcc
	v_cndmask_b32_e32 v34, v54, v34, vcc
	v_lshlrev_b32_sdwa v51, v51, v36 dst_sel:DWORD dst_unused:UNUSED_PAD src0_sel:DWORD src1_sel:WORD_1
	v_bfrev_b32_e32 v54, 60
	v_lshlrev_b32_e32 v34, 20, v34
	v_and_b32_e32 v51, 0x80000000, v51
	v_lshl_add_u32 v35, v35, 23, v54
	v_or3_b32 v35, v51, v35, v34
.LBB576_267:
	s_or_b64 exec, exec, s[10:11]
.LBB576_268:
	s_or_b64 exec, exec, s[8:9]
.LBB576_269:
	s_or_b64 exec, exec, s[2:3]
	s_mov_b32 s2, 0xffffff
	v_cmp_lt_u32_e32 vcc, s2, v36
	v_mov_b32_e32 v54, 0
	v_mov_b32_e32 v55, 0
	s_and_saveexec_b64 s[2:3], vcc
	s_cbranch_execz .LBB576_275
; %bb.270:
	v_lshrrev_b32_e32 v34, 24, v36
	s_movk_i32 s8, 0x80
	v_cmp_ne_u32_e32 vcc, s8, v34
	v_bfrev_b32_e32 v55, 1
	s_and_saveexec_b64 s[8:9], vcc
	s_cbranch_execz .LBB576_274
; %bb.271:
	v_bfe_u32 v36, v36, 24, 7
	s_movk_i32 s10, 0x7f
	v_cmp_ne_u32_e32 vcc, s10, v36
	v_mov_b32_e32 v55, 0x7f800001
	s_and_saveexec_b64 s[10:11], vcc
	s_cbranch_execz .LBB576_273
; %bb.272:
	v_and_b32_e32 v51, 7, v34
	v_ffbh_u32_e32 v56, v51
	v_min_u32_e32 v58, 32, v56
	v_subrev_u32_e32 v56, 28, v58
	v_lshlrev_b64 v[56:57], v56, v[34:35]
	v_lshrrev_b32_e32 v55, 3, v36
	v_sub_u32_e32 v57, 29, v58
	v_and_b32_e32 v56, 7, v56
	v_cmp_gt_u32_e32 vcc, 8, v36
	v_cndmask_b32_e32 v36, v55, v57, vcc
	v_cndmask_b32_e32 v51, v51, v56, vcc
	v_lshlrev_b32_e32 v34, 24, v34
	v_bfrev_b32_e32 v55, 60
	v_lshlrev_b32_e32 v51, 20, v51
	v_and_b32_e32 v34, 0x80000000, v34
	v_lshl_add_u32 v36, v36, 23, v55
	v_or3_b32 v55, v34, v36, v51
.LBB576_273:
	s_or_b64 exec, exec, s[10:11]
.LBB576_274:
	s_or_b64 exec, exec, s[8:9]
.LBB576_275:
	s_or_b64 exec, exec, s[2:3]
	v_cmp_ne_u16_sdwa s[8:9], v37, v54 src0_sel:BYTE_0 src1_sel:DWORD
	s_and_saveexec_b64 s[2:3], s[8:9]
	s_cbranch_execz .LBB576_281
; %bb.276:
	s_movk_i32 s8, 0x80
	v_cmp_ne_u16_sdwa s[10:11], v37, s8 src0_sel:BYTE_0 src1_sel:DWORD
	v_bfrev_b32_e32 v54, 1
	s_and_saveexec_b64 s[8:9], s[10:11]
	s_cbranch_execz .LBB576_280
; %bb.277:
	s_movk_i32 s10, 0x7f
	v_and_b32_e32 v34, 0x7f, v37
	v_cmp_ne_u32_e32 vcc, s10, v34
	v_mov_b32_e32 v54, 0x7f800001
	s_and_saveexec_b64 s[10:11], vcc
	s_cbranch_execz .LBB576_279
; %bb.278:
	v_and_b32_e32 v51, 7, v37
	v_ffbh_u32_e32 v56, v51
	v_min_u32_e32 v58, 32, v56
	v_mov_b32_e32 v36, v37
	v_subrev_u32_e32 v56, 28, v58
	v_lshlrev_b64 v[56:57], v56, v[36:37]
	v_lshrrev_b32_e32 v54, 3, v34
	v_sub_u32_e32 v36, 29, v58
	v_and_b32_e32 v56, 7, v56
	v_cmp_gt_u32_e32 vcc, 8, v34
	v_cndmask_b32_e32 v34, v54, v36, vcc
	v_cndmask_b32_e32 v36, v51, v56, vcc
	v_lshlrev_b32_e32 v51, 24, v37
	v_bfrev_b32_e32 v54, 60
	v_lshlrev_b32_e32 v36, 20, v36
	v_and_b32_e32 v51, 0x80000000, v51
	v_lshl_add_u32 v34, v34, 23, v54
	v_or3_b32 v54, v51, v34, v36
.LBB576_279:
	s_or_b64 exec, exec, s[10:11]
.LBB576_280:
	s_or_b64 exec, exec, s[8:9]
.LBB576_281:
	s_or_b64 exec, exec, s[2:3]
	v_lshrrev_b16_e32 v34, 8, v37
	v_cmp_ne_u16_e32 vcc, 0, v34
	v_mov_b32_e32 v36, 0
	v_mov_b32_e32 v56, 0
	s_and_saveexec_b64 s[2:3], vcc
	s_cbranch_execz .LBB576_287
; %bb.282:
	s_movk_i32 s8, 0x80
	v_cmp_ne_u16_e32 vcc, s8, v34
	v_bfrev_b32_e32 v56, 1
	s_and_saveexec_b64 s[8:9], vcc
	s_cbranch_execz .LBB576_286
; %bb.283:
	s_movk_i32 s10, 0x7f
	v_and_b32_e32 v51, 0x7f, v34
	v_cmp_ne_u32_e32 vcc, s10, v51
	v_mov_b32_e32 v56, 0x7f800001
	s_and_saveexec_b64 s[10:11], vcc
	s_cbranch_execz .LBB576_285
; %bb.284:
	v_and_b32_e32 v58, 7, v34
	v_ffbh_u32_e32 v56, v58
	v_min_u32_e32 v60, 32, v56
	v_subrev_u32_e32 v56, 28, v60
	v_lshlrev_b64 v[56:57], v56, v[34:35]
	v_lshrrev_b32_e32 v59, 3, v51
	v_sub_u32_e32 v34, 29, v60
	v_and_b32_e32 v56, 7, v56
	v_cmp_gt_u32_e32 vcc, 8, v51
	v_cndmask_b32_e32 v34, v59, v34, vcc
	v_cndmask_b32_e32 v51, v58, v56, vcc
	v_lshlrev_b32_e32 v56, 16, v37
	v_bfrev_b32_e32 v57, 60
	v_lshlrev_b32_e32 v51, 20, v51
	v_and_b32_e32 v56, 0x80000000, v56
	v_lshl_add_u32 v34, v34, 23, v57
	v_or3_b32 v56, v56, v34, v51
.LBB576_285:
	s_or_b64 exec, exec, s[10:11]
.LBB576_286:
	s_or_b64 exec, exec, s[8:9]
.LBB576_287:
	s_or_b64 exec, exec, s[2:3]
	s_movk_i32 s2, 0xff
	v_and_b32_sdwa v51, v37, s2 dst_sel:DWORD dst_unused:UNUSED_PAD src0_sel:WORD_1 src1_sel:DWORD
	v_lshrrev_b32_e32 v34, 16, v37
	v_cmp_ne_u16_e32 vcc, 0, v51
	s_and_saveexec_b64 s[2:3], vcc
	s_cbranch_execz .LBB576_293
; %bb.288:
	s_movk_i32 s8, 0x80
	v_cmp_ne_u16_e32 vcc, s8, v51
	v_bfrev_b32_e32 v36, 1
	s_and_saveexec_b64 s[8:9], vcc
	s_cbranch_execz .LBB576_292
; %bb.289:
	v_bfe_u32 v51, v37, 16, 7
	s_movk_i32 s10, 0x7f
	v_cmp_ne_u32_e32 vcc, s10, v51
	v_mov_b32_e32 v36, 0x7f800001
	s_and_saveexec_b64 s[10:11], vcc
	s_cbranch_execz .LBB576_291
; %bb.290:
	v_and_b32_e32 v36, 7, v34
	v_ffbh_u32_e32 v58, v36
	v_min_u32_e32 v60, 32, v58
	v_subrev_u32_e32 v58, 28, v60
	v_lshlrev_b64 v[58:59], v58, v[34:35]
	v_lshrrev_b32_e32 v57, 3, v51
	v_sub_u32_e32 v34, 29, v60
	v_and_b32_e32 v58, 7, v58
	v_cmp_gt_u32_e32 vcc, 8, v51
	v_mov_b32_e32 v51, 24
	v_cndmask_b32_e32 v34, v57, v34, vcc
	v_cndmask_b32_e32 v36, v36, v58, vcc
	v_lshlrev_b32_sdwa v51, v51, v37 dst_sel:DWORD dst_unused:UNUSED_PAD src0_sel:DWORD src1_sel:WORD_1
	v_bfrev_b32_e32 v57, 60
	v_lshlrev_b32_e32 v36, 20, v36
	v_and_b32_e32 v51, 0x80000000, v51
	v_lshl_add_u32 v34, v34, 23, v57
	v_or3_b32 v36, v51, v34, v36
.LBB576_291:
	s_or_b64 exec, exec, s[10:11]
.LBB576_292:
	s_or_b64 exec, exec, s[8:9]
.LBB576_293:
	s_or_b64 exec, exec, s[2:3]
	s_mov_b32 s2, 0xffffff
	v_cmp_lt_u32_e32 vcc, s2, v37
	v_mov_b32_e32 v51, 0
	v_mov_b32_e32 v57, 0
	s_and_saveexec_b64 s[2:3], vcc
	s_cbranch_execz .LBB576_299
; %bb.294:
	v_lshrrev_b32_e32 v34, 24, v37
	s_movk_i32 s8, 0x80
	v_cmp_ne_u32_e32 vcc, s8, v34
	v_bfrev_b32_e32 v57, 1
	s_and_saveexec_b64 s[8:9], vcc
	s_cbranch_execz .LBB576_298
; %bb.295:
	v_bfe_u32 v37, v37, 24, 7
	s_movk_i32 s10, 0x7f
	v_cmp_ne_u32_e32 vcc, s10, v37
	v_mov_b32_e32 v57, 0x7f800001
	s_and_saveexec_b64 s[10:11], vcc
	s_cbranch_execz .LBB576_297
; %bb.296:
	v_and_b32_e32 v57, 7, v34
	v_ffbh_u32_e32 v58, v57
	v_min_u32_e32 v61, 32, v58
	v_subrev_u32_e32 v58, 28, v61
	v_lshlrev_b64 v[58:59], v58, v[34:35]
	v_lshrrev_b32_e32 v60, 3, v37
	v_sub_u32_e32 v59, 29, v61
	v_and_b32_e32 v58, 7, v58
	v_cmp_gt_u32_e32 vcc, 8, v37
	v_cndmask_b32_e32 v37, v60, v59, vcc
	v_cndmask_b32_e32 v57, v57, v58, vcc
	v_lshlrev_b32_e32 v34, 24, v34
	v_bfrev_b32_e32 v58, 60
	v_lshlrev_b32_e32 v57, 20, v57
	v_and_b32_e32 v34, 0x80000000, v34
	v_lshl_add_u32 v37, v37, 23, v58
	v_or3_b32 v57, v34, v37, v57
.LBB576_297:
	s_or_b64 exec, exec, s[10:11]
.LBB576_298:
	s_or_b64 exec, exec, s[8:9]
.LBB576_299:
	s_or_b64 exec, exec, s[2:3]
	v_cvt_pkrtz_f16_f32 v34, v52, v53
	v_cvt_pkrtz_f16_f32 v35, v35, v55
	s_waitcnt vmcnt(4)
	v_cmp_ne_u16_sdwa s[8:9], v22, v51 src0_sel:BYTE_0 src1_sel:DWORD
	v_mfma_f32_16x16x16f16 v[42:45], v[34:35], v[18:19], v[42:45]
	v_cvt_pkrtz_f16_f32 v34, v54, v56
	v_cvt_pkrtz_f16_f32 v35, v36, v57
	s_nop 1
	v_mfma_f32_16x16x16f16 v[34:37], v[34:35], v[20:21], v[42:45]
	s_and_saveexec_b64 s[2:3], s[8:9]
	s_cbranch_execz .LBB576_305
; %bb.300:
	s_movk_i32 s8, 0x80
	v_cmp_ne_u16_sdwa s[10:11], v22, s8 src0_sel:BYTE_0 src1_sel:DWORD
	v_bfrev_b32_e32 v51, 1
	s_and_saveexec_b64 s[8:9], s[10:11]
	s_cbranch_execz .LBB576_304
; %bb.301:
	s_movk_i32 s10, 0x7f
	v_and_b32_e32 v42, 0x7f, v22
	v_cmp_ne_u32_e32 vcc, s10, v42
	v_mov_b32_e32 v51, 0x7f800001
	s_and_saveexec_b64 s[10:11], vcc
	s_cbranch_execz .LBB576_303
; %bb.302:
	v_and_b32_e32 v43, 7, v22
	v_ffbh_u32_e32 v44, v43
	v_min_u32_e32 v52, 32, v44
	v_subrev_u32_e32 v44, 28, v52
	v_lshlrev_b64 v[44:45], v44, v[22:23]
	v_lshrrev_b32_e32 v51, 3, v42
	v_sub_u32_e32 v45, 29, v52
	v_and_b32_e32 v44, 7, v44
	v_cmp_gt_u32_e32 vcc, 8, v42
	v_cndmask_b32_e32 v42, v51, v45, vcc
	v_cndmask_b32_e32 v43, v43, v44, vcc
	v_lshlrev_b32_e32 v44, 24, v22
	v_bfrev_b32_e32 v45, 60
	v_lshlrev_b32_e32 v43, 20, v43
	v_and_b32_e32 v44, 0x80000000, v44
	v_lshl_add_u32 v42, v42, 23, v45
	v_or3_b32 v51, v44, v42, v43
.LBB576_303:
	s_or_b64 exec, exec, s[10:11]
.LBB576_304:
	s_or_b64 exec, exec, s[8:9]
.LBB576_305:
	s_or_b64 exec, exec, s[2:3]
	s_nop 3
	v_lshrrev_b16_e32 v42, 8, v22
	v_cmp_ne_u16_e32 vcc, 0, v42
	v_mov_b32_e32 v43, 0
	v_mov_b32_e32 v44, 0
	s_and_saveexec_b64 s[2:3], vcc
	s_cbranch_execz .LBB576_311
; %bb.306:
	s_movk_i32 s8, 0x80
	v_cmp_ne_u16_e32 vcc, s8, v42
	v_bfrev_b32_e32 v44, 1
	s_and_saveexec_b64 s[8:9], vcc
	s_cbranch_execz .LBB576_310
; %bb.307:
	s_movk_i32 s10, 0x7f
	v_and_b32_e32 v45, 0x7f, v42
	v_cmp_ne_u32_e32 vcc, s10, v45
	v_mov_b32_e32 v44, 0x7f800001
	s_and_saveexec_b64 s[10:11], vcc
	s_cbranch_execz .LBB576_309
; %bb.308:
	v_and_b32_e32 v44, 7, v42
	v_ffbh_u32_e32 v52, v44
	v_min_u32_e32 v55, 32, v52
	v_subrev_u32_e32 v52, 28, v55
	v_lshlrev_b64 v[52:53], v52, v[42:43]
	v_lshrrev_b32_e32 v54, 3, v45
	v_sub_u32_e32 v42, 29, v55
	v_and_b32_e32 v52, 7, v52
	v_cmp_gt_u32_e32 vcc, 8, v45
	v_cndmask_b32_e32 v42, v54, v42, vcc
	v_cndmask_b32_e32 v44, v44, v52, vcc
	v_lshlrev_b32_e32 v45, 16, v22
	v_bfrev_b32_e32 v52, 60
	v_lshlrev_b32_e32 v44, 20, v44
	v_and_b32_e32 v45, 0x80000000, v45
	v_lshl_add_u32 v42, v42, 23, v52
	v_or3_b32 v44, v45, v42, v44
.LBB576_309:
	s_or_b64 exec, exec, s[10:11]
.LBB576_310:
	s_or_b64 exec, exec, s[8:9]
.LBB576_311:
	s_or_b64 exec, exec, s[2:3]
	s_movk_i32 s2, 0xff
	v_and_b32_sdwa v45, v22, s2 dst_sel:DWORD dst_unused:UNUSED_PAD src0_sel:WORD_1 src1_sel:DWORD
	v_lshrrev_b32_e32 v42, 16, v22
	v_cmp_ne_u16_e32 vcc, 0, v45
	s_and_saveexec_b64 s[2:3], vcc
	s_cbranch_execz .LBB576_317
; %bb.312:
	s_movk_i32 s8, 0x80
	v_cmp_ne_u16_e32 vcc, s8, v45
	v_bfrev_b32_e32 v43, 1
	s_and_saveexec_b64 s[8:9], vcc
	s_cbranch_execz .LBB576_316
; %bb.313:
	v_bfe_u32 v45, v22, 16, 7
	s_movk_i32 s10, 0x7f
	v_cmp_ne_u32_e32 vcc, s10, v45
	v_mov_b32_e32 v43, 0x7f800001
	s_and_saveexec_b64 s[10:11], vcc
	s_cbranch_execz .LBB576_315
; %bb.314:
	v_and_b32_e32 v52, 7, v42
	v_ffbh_u32_e32 v43, v52
	v_min_u32_e32 v54, 32, v43
	v_subrev_u32_e32 v43, 28, v54
	v_lshlrev_b64 v[42:43], v43, v[42:43]
	v_lshrrev_b32_e32 v53, 3, v45
	v_sub_u32_e32 v43, 29, v54
	v_and_b32_e32 v42, 7, v42
	v_cmp_gt_u32_e32 vcc, 8, v45
	v_mov_b32_e32 v45, 24
	v_cndmask_b32_e32 v43, v53, v43, vcc
	v_cndmask_b32_e32 v42, v52, v42, vcc
	v_lshlrev_b32_sdwa v45, v45, v22 dst_sel:DWORD dst_unused:UNUSED_PAD src0_sel:DWORD src1_sel:WORD_1
	v_bfrev_b32_e32 v52, 60
	v_lshlrev_b32_e32 v42, 20, v42
	v_and_b32_e32 v45, 0x80000000, v45
	v_lshl_add_u32 v43, v43, 23, v52
	v_or3_b32 v43, v45, v43, v42
.LBB576_315:
	s_or_b64 exec, exec, s[10:11]
.LBB576_316:
	s_or_b64 exec, exec, s[8:9]
.LBB576_317:
	s_or_b64 exec, exec, s[2:3]
	s_mov_b32 s2, 0xffffff
	v_cmp_lt_u32_e32 vcc, s2, v22
	v_mov_b32_e32 v45, 0
	v_mov_b32_e32 v52, 0
	s_and_saveexec_b64 s[2:3], vcc
	s_cbranch_execz .LBB576_323
; %bb.318:
	v_lshrrev_b32_e32 v42, 24, v22
	s_movk_i32 s8, 0x80
	v_cmp_ne_u32_e32 vcc, s8, v42
	v_bfrev_b32_e32 v52, 1
	s_and_saveexec_b64 s[8:9], vcc
	s_cbranch_execz .LBB576_322
; %bb.319:
	v_bfe_u32 v22, v22, 24, 7
	s_movk_i32 s10, 0x7f
	v_cmp_ne_u32_e32 vcc, s10, v22
	v_mov_b32_e32 v52, 0x7f800001
	s_and_saveexec_b64 s[10:11], vcc
	s_cbranch_execz .LBB576_321
; %bb.320:
	v_and_b32_e32 v54, 7, v42
	v_ffbh_u32_e32 v52, v54
	v_min_u32_e32 v56, 32, v52
	v_subrev_u32_e32 v52, 28, v56
	v_lshlrev_b64 v[52:53], v52, v[42:43]
	v_lshrrev_b32_e32 v55, 3, v22
	v_sub_u32_e32 v53, 29, v56
	v_and_b32_e32 v52, 7, v52
	v_cmp_gt_u32_e32 vcc, 8, v22
	v_cndmask_b32_e32 v22, v55, v53, vcc
	v_cndmask_b32_e32 v52, v54, v52, vcc
	v_lshlrev_b32_e32 v42, 24, v42
	v_bfrev_b32_e32 v53, 60
	v_lshlrev_b32_e32 v52, 20, v52
	v_and_b32_e32 v42, 0x80000000, v42
	v_lshl_add_u32 v22, v22, 23, v53
	v_or3_b32 v52, v42, v22, v52
.LBB576_321:
	s_or_b64 exec, exec, s[10:11]
.LBB576_322:
	s_or_b64 exec, exec, s[8:9]
.LBB576_323:
	s_or_b64 exec, exec, s[2:3]
	v_cmp_ne_u16_sdwa s[8:9], v23, v45 src0_sel:BYTE_0 src1_sel:DWORD
	s_and_saveexec_b64 s[2:3], s[8:9]
	s_cbranch_execz .LBB576_329
; %bb.324:
	s_movk_i32 s8, 0x80
	v_cmp_ne_u16_sdwa s[10:11], v23, s8 src0_sel:BYTE_0 src1_sel:DWORD
	v_bfrev_b32_e32 v45, 1
	s_and_saveexec_b64 s[8:9], s[10:11]
	s_cbranch_execz .LBB576_328
; %bb.325:
	s_movk_i32 s10, 0x7f
	v_and_b32_e32 v22, 0x7f, v23
	v_cmp_ne_u32_e32 vcc, s10, v22
	v_mov_b32_e32 v45, 0x7f800001
	s_and_saveexec_b64 s[10:11], vcc
	s_cbranch_execz .LBB576_327
; %bb.326:
	v_and_b32_e32 v45, 7, v23
	v_ffbh_u32_e32 v54, v45
	v_min_u32_e32 v56, 32, v54
	v_mov_b32_e32 v42, v23
	v_subrev_u32_e32 v54, 28, v56
	v_lshlrev_b64 v[54:55], v54, v[42:43]
	v_lshrrev_b32_e32 v53, 3, v22
	v_sub_u32_e32 v42, 29, v56
	v_and_b32_e32 v54, 7, v54
	v_cmp_gt_u32_e32 vcc, 8, v22
	v_cndmask_b32_e32 v22, v53, v42, vcc
	v_cndmask_b32_e32 v42, v45, v54, vcc
	v_lshlrev_b32_e32 v45, 24, v23
	v_bfrev_b32_e32 v53, 60
	v_lshlrev_b32_e32 v42, 20, v42
	v_and_b32_e32 v45, 0x80000000, v45
	v_lshl_add_u32 v22, v22, 23, v53
	v_or3_b32 v45, v45, v22, v42
.LBB576_327:
	s_or_b64 exec, exec, s[10:11]
.LBB576_328:
	s_or_b64 exec, exec, s[8:9]
.LBB576_329:
	s_or_b64 exec, exec, s[2:3]
	v_lshrrev_b16_e32 v22, 8, v23
	v_cmp_ne_u16_e32 vcc, 0, v22
	v_mov_b32_e32 v53, 0
	v_mov_b32_e32 v54, 0
	s_and_saveexec_b64 s[2:3], vcc
	s_cbranch_execz .LBB576_335
; %bb.330:
	s_movk_i32 s8, 0x80
	v_cmp_ne_u16_e32 vcc, s8, v22
	v_bfrev_b32_e32 v54, 1
	s_and_saveexec_b64 s[8:9], vcc
	s_cbranch_execz .LBB576_334
; %bb.331:
	s_movk_i32 s10, 0x7f
	v_and_b32_e32 v42, 0x7f, v22
	v_cmp_ne_u32_e32 vcc, s10, v42
	v_mov_b32_e32 v54, 0x7f800001
	s_and_saveexec_b64 s[10:11], vcc
	s_cbranch_execz .LBB576_333
; %bb.332:
	v_and_b32_e32 v56, 7, v22
	v_ffbh_u32_e32 v54, v56
	v_min_u32_e32 v58, 32, v54
	v_subrev_u32_e32 v54, 28, v58
	v_lshlrev_b64 v[54:55], v54, v[22:23]
	v_lshrrev_b32_e32 v57, 3, v42
	v_sub_u32_e32 v22, 29, v58
	v_and_b32_e32 v54, 7, v54
	v_cmp_gt_u32_e32 vcc, 8, v42
	v_cndmask_b32_e32 v22, v57, v22, vcc
	v_cndmask_b32_e32 v42, v56, v54, vcc
	v_lshlrev_b32_e32 v54, 16, v23
	v_bfrev_b32_e32 v55, 60
	v_lshlrev_b32_e32 v42, 20, v42
	v_and_b32_e32 v54, 0x80000000, v54
	v_lshl_add_u32 v22, v22, 23, v55
	v_or3_b32 v54, v54, v22, v42
.LBB576_333:
	s_or_b64 exec, exec, s[10:11]
.LBB576_334:
	s_or_b64 exec, exec, s[8:9]
.LBB576_335:
	s_or_b64 exec, exec, s[2:3]
	s_movk_i32 s2, 0xff
	v_and_b32_sdwa v42, v23, s2 dst_sel:DWORD dst_unused:UNUSED_PAD src0_sel:WORD_1 src1_sel:DWORD
	v_lshrrev_b32_e32 v22, 16, v23
	v_cmp_ne_u16_e32 vcc, 0, v42
	s_and_saveexec_b64 s[2:3], vcc
	s_cbranch_execz .LBB576_341
; %bb.336:
	s_movk_i32 s8, 0x80
	v_cmp_ne_u16_e32 vcc, s8, v42
	v_bfrev_b32_e32 v53, 1
	s_and_saveexec_b64 s[8:9], vcc
	s_cbranch_execz .LBB576_340
; %bb.337:
	v_bfe_u32 v42, v23, 16, 7
	s_movk_i32 s10, 0x7f
	v_cmp_ne_u32_e32 vcc, s10, v42
	v_mov_b32_e32 v53, 0x7f800001
	s_and_saveexec_b64 s[10:11], vcc
	s_cbranch_execz .LBB576_339
; %bb.338:
	v_and_b32_e32 v53, 7, v22
	v_ffbh_u32_e32 v56, v53
	v_min_u32_e32 v58, 32, v56
	v_subrev_u32_e32 v56, 28, v58
	v_lshlrev_b64 v[56:57], v56, v[22:23]
	v_and_b32_e32 v56, 7, v56
	v_cmp_gt_u32_e32 vcc, 8, v42
	v_lshrrev_b32_e32 v55, 3, v42
	v_sub_u32_e32 v22, 29, v58
	v_cndmask_b32_e32 v42, v53, v56, vcc
	v_mov_b32_e32 v53, 24
	v_cndmask_b32_e32 v22, v55, v22, vcc
	v_lshlrev_b32_sdwa v53, v53, v23 dst_sel:DWORD dst_unused:UNUSED_PAD src0_sel:DWORD src1_sel:WORD_1
	v_bfrev_b32_e32 v55, 60
	v_lshlrev_b32_e32 v42, 20, v42
	v_and_b32_e32 v53, 0x80000000, v53
	v_lshl_add_u32 v22, v22, 23, v55
	v_or3_b32 v53, v53, v22, v42
.LBB576_339:
	s_or_b64 exec, exec, s[10:11]
.LBB576_340:
	s_or_b64 exec, exec, s[8:9]
.LBB576_341:
	s_or_b64 exec, exec, s[2:3]
	s_mov_b32 s2, 0xffffff
	v_cmp_lt_u32_e32 vcc, s2, v23
	v_mov_b32_e32 v42, 0
	v_mov_b32_e32 v55, 0
	s_and_saveexec_b64 s[2:3], vcc
	s_cbranch_execz .LBB576_347
; %bb.342:
	v_lshrrev_b32_e32 v22, 24, v23
	s_movk_i32 s8, 0x80
	v_cmp_ne_u32_e32 vcc, s8, v22
	v_bfrev_b32_e32 v55, 1
	s_and_saveexec_b64 s[8:9], vcc
	s_cbranch_execz .LBB576_346
; %bb.343:
	v_bfe_u32 v23, v23, 24, 7
	s_movk_i32 s10, 0x7f
	v_cmp_ne_u32_e32 vcc, s10, v23
	v_mov_b32_e32 v55, 0x7f800001
	s_and_saveexec_b64 s[10:11], vcc
	s_cbranch_execz .LBB576_345
; %bb.344:
	v_and_b32_e32 v55, 7, v22
	v_ffbh_u32_e32 v56, v55
	v_min_u32_e32 v59, 32, v56
	v_subrev_u32_e32 v56, 28, v59
	v_lshlrev_b64 v[56:57], v56, v[22:23]
	v_lshrrev_b32_e32 v58, 3, v23
	v_sub_u32_e32 v57, 29, v59
	v_and_b32_e32 v56, 7, v56
	v_cmp_gt_u32_e32 vcc, 8, v23
	v_cndmask_b32_e32 v23, v58, v57, vcc
	v_cndmask_b32_e32 v55, v55, v56, vcc
	v_lshlrev_b32_e32 v22, 24, v22
	v_bfrev_b32_e32 v56, 60
	v_lshlrev_b32_e32 v55, 20, v55
	v_and_b32_e32 v22, 0x80000000, v22
	v_lshl_add_u32 v23, v23, 23, v56
	v_or3_b32 v55, v22, v23, v55
.LBB576_345:
	s_or_b64 exec, exec, s[10:11]
.LBB576_346:
	s_or_b64 exec, exec, s[8:9]
.LBB576_347:
	s_or_b64 exec, exec, s[2:3]
	v_cvt_pkrtz_f16_f32 v22, v51, v44
	v_cvt_pkrtz_f16_f32 v23, v43, v52
	v_cmp_ne_u16_sdwa s[8:9], v24, v42 src0_sel:BYTE_0 src1_sel:DWORD
	s_nop 0
	v_mfma_f32_16x16x16f16 v[56:59], v[22:23], v[26:27], 0
	v_cvt_pkrtz_f16_f32 v22, v45, v54
	v_cvt_pkrtz_f16_f32 v23, v53, v55
	s_nop 1
	v_mfma_f32_16x16x16f16 v[26:29], v[22:23], v[28:29], v[56:59]
	s_and_saveexec_b64 s[2:3], s[8:9]
	s_cbranch_execz .LBB576_353
; %bb.348:
	s_movk_i32 s8, 0x80
	v_cmp_ne_u16_sdwa s[10:11], v24, s8 src0_sel:BYTE_0 src1_sel:DWORD
	v_bfrev_b32_e32 v42, 1
	s_and_saveexec_b64 s[8:9], s[10:11]
	s_cbranch_execz .LBB576_352
; %bb.349:
	s_movk_i32 s10, 0x7f
	v_and_b32_e32 v22, 0x7f, v24
	v_cmp_ne_u32_e32 vcc, s10, v22
	v_mov_b32_e32 v42, 0x7f800001
	s_and_saveexec_b64 s[10:11], vcc
	s_cbranch_execz .LBB576_351
; %bb.350:
	v_and_b32_e32 v23, 7, v24
	v_ffbh_u32_e32 v42, v23
	v_min_u32_e32 v45, 32, v42
	v_subrev_u32_e32 v42, 28, v45
	v_lshlrev_b64 v[42:43], v42, v[24:25]
	v_lshrrev_b32_e32 v44, 3, v22
	v_sub_u32_e32 v43, 29, v45
	v_and_b32_e32 v42, 7, v42
	v_cmp_gt_u32_e32 vcc, 8, v22
	v_cndmask_b32_e32 v22, v44, v43, vcc
	v_cndmask_b32_e32 v23, v23, v42, vcc
	v_lshlrev_b32_e32 v42, 24, v24
	v_bfrev_b32_e32 v43, 60
	v_lshlrev_b32_e32 v23, 20, v23
	v_and_b32_e32 v42, 0x80000000, v42
	v_lshl_add_u32 v22, v22, 23, v43
	v_or3_b32 v42, v42, v22, v23
.LBB576_351:
	s_or_b64 exec, exec, s[10:11]
.LBB576_352:
	s_or_b64 exec, exec, s[8:9]
.LBB576_353:
	s_or_b64 exec, exec, s[2:3]
	v_lshrrev_b16_e32 v22, 8, v24
	v_cmp_ne_u16_e32 vcc, 0, v22
	v_mov_b32_e32 v23, 0
	v_mov_b32_e32 v43, 0
	s_and_saveexec_b64 s[2:3], vcc
	s_cbranch_execz .LBB576_359
; %bb.354:
	s_movk_i32 s8, 0x80
	v_cmp_ne_u16_e32 vcc, s8, v22
	v_bfrev_b32_e32 v43, 1
	s_and_saveexec_b64 s[8:9], vcc
	s_cbranch_execz .LBB576_358
; %bb.355:
	s_movk_i32 s10, 0x7f
	v_and_b32_e32 v44, 0x7f, v22
	v_cmp_ne_u32_e32 vcc, s10, v44
	v_mov_b32_e32 v43, 0x7f800001
	s_and_saveexec_b64 s[10:11], vcc
	s_cbranch_execz .LBB576_357
; %bb.356:
	v_and_b32_e32 v43, 7, v22
	v_ffbh_u32_e32 v51, v43
	v_min_u32_e32 v51, 32, v51
	v_subrev_u32_e32 v52, 28, v51
	v_lshlrev_b64 v[52:53], v52, v[22:23]
	v_lshrrev_b32_e32 v45, 3, v44
	v_sub_u32_e32 v22, 29, v51
	v_and_b32_e32 v51, 7, v52
	v_cmp_gt_u32_e32 vcc, 8, v44
	v_cndmask_b32_e32 v22, v45, v22, vcc
	v_cndmask_b32_e32 v43, v43, v51, vcc
	v_lshlrev_b32_e32 v44, 16, v24
	v_bfrev_b32_e32 v45, 60
	v_lshlrev_b32_e32 v43, 20, v43
	v_and_b32_e32 v44, 0x80000000, v44
	v_lshl_add_u32 v22, v22, 23, v45
	v_or3_b32 v43, v44, v22, v43
.LBB576_357:
	s_or_b64 exec, exec, s[10:11]
.LBB576_358:
	s_or_b64 exec, exec, s[8:9]
.LBB576_359:
	s_or_b64 exec, exec, s[2:3]
	s_movk_i32 s2, 0xff
	v_and_b32_sdwa v44, v24, s2 dst_sel:DWORD dst_unused:UNUSED_PAD src0_sel:WORD_1 src1_sel:DWORD
	v_lshrrev_b32_e32 v22, 16, v24
	v_cmp_ne_u16_e32 vcc, 0, v44
	s_and_saveexec_b64 s[2:3], vcc
	s_cbranch_execz .LBB576_365
; %bb.360:
	s_movk_i32 s8, 0x80
	v_cmp_ne_u16_e32 vcc, s8, v44
	v_bfrev_b32_e32 v23, 1
	s_and_saveexec_b64 s[8:9], vcc
	s_cbranch_execz .LBB576_364
; %bb.361:
	v_bfe_u32 v44, v24, 16, 7
	s_movk_i32 s10, 0x7f
	v_cmp_ne_u32_e32 vcc, s10, v44
	v_mov_b32_e32 v23, 0x7f800001
	s_and_saveexec_b64 s[10:11], vcc
	s_cbranch_execz .LBB576_363
; %bb.362:
	v_and_b32_e32 v45, 7, v22
	v_ffbh_u32_e32 v23, v45
	v_min_u32_e32 v52, 32, v23
	v_subrev_u32_e32 v23, 28, v52
	v_lshlrev_b64 v[22:23], v23, v[22:23]
	v_lshrrev_b32_e32 v51, 3, v44
	v_sub_u32_e32 v23, 29, v52
	v_and_b32_e32 v22, 7, v22
	v_cmp_gt_u32_e32 vcc, 8, v44
	v_mov_b32_e32 v44, 24
	v_cndmask_b32_e32 v23, v51, v23, vcc
	v_cndmask_b32_e32 v22, v45, v22, vcc
	v_lshlrev_b32_sdwa v44, v44, v24 dst_sel:DWORD dst_unused:UNUSED_PAD src0_sel:DWORD src1_sel:WORD_1
	v_bfrev_b32_e32 v45, 60
	v_lshlrev_b32_e32 v22, 20, v22
	v_and_b32_e32 v44, 0x80000000, v44
	v_lshl_add_u32 v23, v23, 23, v45
	v_or3_b32 v23, v44, v23, v22
.LBB576_363:
	s_or_b64 exec, exec, s[10:11]
.LBB576_364:
	s_or_b64 exec, exec, s[8:9]
.LBB576_365:
	s_or_b64 exec, exec, s[2:3]
	s_mov_b32 s2, 0xffffff
	v_cmp_lt_u32_e32 vcc, s2, v24
	v_mov_b32_e32 v44, 0
	v_mov_b32_e32 v45, 0
	s_and_saveexec_b64 s[2:3], vcc
	s_cbranch_execz .LBB576_371
; %bb.366:
	v_lshrrev_b32_e32 v22, 24, v24
	s_movk_i32 s8, 0x80
	v_cmp_ne_u32_e32 vcc, s8, v22
	v_bfrev_b32_e32 v45, 1
	s_and_saveexec_b64 s[8:9], vcc
	s_cbranch_execz .LBB576_370
; %bb.367:
	v_bfe_u32 v24, v24, 24, 7
	s_movk_i32 s10, 0x7f
	v_cmp_ne_u32_e32 vcc, s10, v24
	v_mov_b32_e32 v45, 0x7f800001
	s_and_saveexec_b64 s[10:11], vcc
	s_cbranch_execz .LBB576_369
; %bb.368:
	v_and_b32_e32 v45, 7, v22
	v_ffbh_u32_e32 v52, v45
	v_min_u32_e32 v54, 32, v52
	v_subrev_u32_e32 v52, 28, v54
	v_lshlrev_b64 v[52:53], v52, v[22:23]
	v_lshrrev_b32_e32 v51, 3, v24
	v_sub_u32_e32 v53, 29, v54
	v_and_b32_e32 v52, 7, v52
	v_cmp_gt_u32_e32 vcc, 8, v24
	v_cndmask_b32_e32 v24, v51, v53, vcc
	v_cndmask_b32_e32 v45, v45, v52, vcc
	v_lshlrev_b32_e32 v22, 24, v22
	v_bfrev_b32_e32 v51, 60
	v_lshlrev_b32_e32 v45, 20, v45
	v_and_b32_e32 v22, 0x80000000, v22
	v_lshl_add_u32 v24, v24, 23, v51
	v_or3_b32 v45, v22, v24, v45
.LBB576_369:
	s_or_b64 exec, exec, s[10:11]
.LBB576_370:
	s_or_b64 exec, exec, s[8:9]
.LBB576_371:
	s_or_b64 exec, exec, s[2:3]
	v_cmp_ne_u16_sdwa s[8:9], v25, v44 src0_sel:BYTE_0 src1_sel:DWORD
	s_and_saveexec_b64 s[2:3], s[8:9]
	s_cbranch_execz .LBB576_377
; %bb.372:
	s_movk_i32 s8, 0x80
	v_cmp_ne_u16_sdwa s[10:11], v25, s8 src0_sel:BYTE_0 src1_sel:DWORD
	v_bfrev_b32_e32 v44, 1
	s_and_saveexec_b64 s[8:9], s[10:11]
	s_cbranch_execz .LBB576_376
; %bb.373:
	s_movk_i32 s10, 0x7f
	v_and_b32_e32 v22, 0x7f, v25
	v_cmp_ne_u32_e32 vcc, s10, v22
	v_mov_b32_e32 v44, 0x7f800001
	s_and_saveexec_b64 s[10:11], vcc
	s_cbranch_execz .LBB576_375
; %bb.374:
	v_and_b32_e32 v44, 7, v25
	v_ffbh_u32_e32 v52, v44
	v_min_u32_e32 v54, 32, v52
	v_mov_b32_e32 v24, v25
	v_subrev_u32_e32 v52, 28, v54
	v_lshlrev_b64 v[52:53], v52, v[24:25]
	v_lshrrev_b32_e32 v51, 3, v22
	v_sub_u32_e32 v24, 29, v54
	v_and_b32_e32 v52, 7, v52
	v_cmp_gt_u32_e32 vcc, 8, v22
	v_cndmask_b32_e32 v22, v51, v24, vcc
	v_cndmask_b32_e32 v24, v44, v52, vcc
	v_lshlrev_b32_e32 v44, 24, v25
	v_bfrev_b32_e32 v51, 60
	v_lshlrev_b32_e32 v24, 20, v24
	v_and_b32_e32 v44, 0x80000000, v44
	v_lshl_add_u32 v22, v22, 23, v51
	v_or3_b32 v44, v44, v22, v24
.LBB576_375:
	s_or_b64 exec, exec, s[10:11]
.LBB576_376:
	s_or_b64 exec, exec, s[8:9]
.LBB576_377:
	s_or_b64 exec, exec, s[2:3]
	v_lshrrev_b16_e32 v22, 8, v25
	v_cmp_ne_u16_e32 vcc, 0, v22
	v_mov_b32_e32 v24, 0
	v_mov_b32_e32 v52, 0
	s_and_saveexec_b64 s[2:3], vcc
	s_cbranch_execz .LBB576_383
; %bb.378:
	s_movk_i32 s8, 0x80
	v_cmp_ne_u16_e32 vcc, s8, v22
	v_bfrev_b32_e32 v52, 1
	s_and_saveexec_b64 s[8:9], vcc
	s_cbranch_execz .LBB576_382
; %bb.379:
	s_movk_i32 s10, 0x7f
	v_and_b32_e32 v51, 0x7f, v22
	v_cmp_ne_u32_e32 vcc, s10, v51
	v_mov_b32_e32 v52, 0x7f800001
	s_and_saveexec_b64 s[10:11], vcc
	s_cbranch_execz .LBB576_381
; %bb.380:
	v_and_b32_e32 v54, 7, v22
	v_ffbh_u32_e32 v52, v54
	v_min_u32_e32 v56, 32, v52
	v_subrev_u32_e32 v52, 28, v56
	v_lshlrev_b64 v[52:53], v52, v[22:23]
	v_lshrrev_b32_e32 v55, 3, v51
	v_sub_u32_e32 v22, 29, v56
	v_and_b32_e32 v52, 7, v52
	v_cmp_gt_u32_e32 vcc, 8, v51
	v_cndmask_b32_e32 v22, v55, v22, vcc
	v_cndmask_b32_e32 v51, v54, v52, vcc
	v_lshlrev_b32_e32 v52, 16, v25
	v_bfrev_b32_e32 v53, 60
	v_lshlrev_b32_e32 v51, 20, v51
	v_and_b32_e32 v52, 0x80000000, v52
	v_lshl_add_u32 v22, v22, 23, v53
	v_or3_b32 v52, v52, v22, v51
.LBB576_381:
	s_or_b64 exec, exec, s[10:11]
.LBB576_382:
	s_or_b64 exec, exec, s[8:9]
.LBB576_383:
	s_or_b64 exec, exec, s[2:3]
	s_movk_i32 s2, 0xff
	v_and_b32_sdwa v51, v25, s2 dst_sel:DWORD dst_unused:UNUSED_PAD src0_sel:WORD_1 src1_sel:DWORD
	v_lshrrev_b32_e32 v22, 16, v25
	v_cmp_ne_u16_e32 vcc, 0, v51
	s_and_saveexec_b64 s[2:3], vcc
	s_cbranch_execz .LBB576_389
; %bb.384:
	s_movk_i32 s8, 0x80
	v_cmp_ne_u16_e32 vcc, s8, v51
	v_bfrev_b32_e32 v24, 1
	s_and_saveexec_b64 s[8:9], vcc
	s_cbranch_execz .LBB576_388
; %bb.385:
	v_bfe_u32 v51, v25, 16, 7
	s_movk_i32 s10, 0x7f
	v_cmp_ne_u32_e32 vcc, s10, v51
	v_mov_b32_e32 v24, 0x7f800001
	s_and_saveexec_b64 s[10:11], vcc
	s_cbranch_execz .LBB576_387
; %bb.386:
	v_and_b32_e32 v24, 7, v22
	v_ffbh_u32_e32 v54, v24
	v_min_u32_e32 v56, 32, v54
	v_subrev_u32_e32 v54, 28, v56
	v_lshlrev_b64 v[54:55], v54, v[22:23]
	v_lshrrev_b32_e32 v53, 3, v51
	v_sub_u32_e32 v22, 29, v56
	v_and_b32_e32 v54, 7, v54
	v_cmp_gt_u32_e32 vcc, 8, v51
	v_mov_b32_e32 v51, 24
	v_cndmask_b32_e32 v22, v53, v22, vcc
	v_cndmask_b32_e32 v24, v24, v54, vcc
	v_lshlrev_b32_sdwa v51, v51, v25 dst_sel:DWORD dst_unused:UNUSED_PAD src0_sel:DWORD src1_sel:WORD_1
	v_bfrev_b32_e32 v53, 60
	v_lshlrev_b32_e32 v24, 20, v24
	v_and_b32_e32 v51, 0x80000000, v51
	v_lshl_add_u32 v22, v22, 23, v53
	v_or3_b32 v24, v51, v22, v24
.LBB576_387:
	s_or_b64 exec, exec, s[10:11]
.LBB576_388:
	s_or_b64 exec, exec, s[8:9]
.LBB576_389:
	s_or_b64 exec, exec, s[2:3]
	s_mov_b32 s2, 0xffffff
	v_and_b32_e32 v51, 63, v0
	v_cmp_lt_u32_e32 vcc, s2, v25
	v_mov_b32_e32 v53, 0
	s_and_saveexec_b64 s[2:3], vcc
	s_cbranch_execz .LBB576_395
; %bb.390:
	v_lshrrev_b32_e32 v22, 24, v25
	s_movk_i32 s8, 0x80
	v_cmp_ne_u32_e32 vcc, s8, v22
	v_bfrev_b32_e32 v53, 1
	s_and_saveexec_b64 s[8:9], vcc
	s_cbranch_execz .LBB576_394
; %bb.391:
	v_bfe_u32 v25, v25, 24, 7
	s_movk_i32 s10, 0x7f
	v_cmp_ne_u32_e32 vcc, s10, v25
	v_mov_b32_e32 v53, 0x7f800001
	s_and_saveexec_b64 s[10:11], vcc
	s_cbranch_execz .LBB576_393
; %bb.392:
	v_and_b32_e32 v53, 7, v22
	v_ffbh_u32_e32 v54, v53
	v_min_u32_e32 v57, 32, v54
	v_subrev_u32_e32 v54, 28, v57
	v_lshlrev_b64 v[54:55], v54, v[22:23]
	v_lshrrev_b32_e32 v56, 3, v25
	v_sub_u32_e32 v55, 29, v57
	v_and_b32_e32 v54, 7, v54
	v_cmp_gt_u32_e32 vcc, 8, v25
	v_cndmask_b32_e32 v25, v56, v55, vcc
	v_cndmask_b32_e32 v53, v53, v54, vcc
	v_lshlrev_b32_e32 v22, 24, v22
	v_bfrev_b32_e32 v54, 60
	v_lshlrev_b32_e32 v53, 20, v53
	v_and_b32_e32 v22, 0x80000000, v22
	v_lshl_add_u32 v25, v25, 23, v54
	v_or3_b32 v53, v22, v25, v53
.LBB576_393:
	s_or_b64 exec, exec, s[10:11]
.LBB576_394:
	s_or_b64 exec, exec, s[8:9]
.LBB576_395:
	s_or_b64 exec, exec, s[2:3]
	v_cvt_pkrtz_f16_f32 v42, v42, v43
	v_cvt_pkrtz_f16_f32 v43, v23, v45
	s_load_dword s2, s[4:5], 0x1c
	s_mov_b32 s46, 0xff7fffff
	s_waitcnt lgkmcnt(0)
	v_mfma_f32_16x16x16f16 v[26:29], v[42:43], v[18:19], v[26:29]
	v_cvt_pkrtz_f16_f32 v18, v44, v52
	v_cvt_pkrtz_f16_f32 v19, v24, v53
	v_and_b32_e32 v24, 0xc0, v0
	v_mov_b32_e32 v22, s2
	v_add_u32_e32 v24, s20, v24
	v_mul_f32_e32 v54, s12, v22
	v_lshl_or_b32 v42, v47, 2, v24
	v_mfma_f32_16x16x16f16 v[18:21], v[18:19], v[20:21], v[26:29]
	v_pk_mul_f32 v[22:23], v[54:55], v[36:37] op_sel_hi:[0,1]
	v_pk_mul_f32 v[36:37], v[54:55], v[40:41] op_sel_hi:[0,1]
	v_pk_mul_f32 v[40:41], v[54:55], v[32:33] op_sel_hi:[0,1]
	v_pk_mul_f32 v[30:31], v[54:55], v[30:31] op_sel_hi:[0,1]
	v_mov_b32_e32 v43, 0xff7fffff
	v_cmp_gt_i32_e64 s[26:27], s33, v42
	v_pk_mul_f32 v[38:39], v[54:55], v[38:39] op_sel_hi:[0,1]
	s_nop 3
	v_pk_mul_f32 v[32:33], v[54:55], v[18:19] op_sel_hi:[0,1]
	v_or_b32_e32 v19, 1, v42
	v_cmp_gt_i32_e64 s[28:29], s33, v19
	v_cndmask_b32_e64 v18, v43, v30, s[26:27]
	v_cndmask_b32_e64 v19, v43, v31, s[28:29]
	v_pk_mul_f32 v[24:25], v[54:55], v[20:21] op_sel_hi:[0,1]
	v_max3_f32 v18, v18, s46, v19
	v_or_b32_e32 v19, 2, v42
	v_or_b32_e32 v20, 3, v42
	v_cmp_gt_i32_e64 s[30:31], s33, v19
	v_cmp_gt_i32_e64 s[34:35], s33, v20
	v_cndmask_b32_e64 v19, v43, v40, s[30:31]
	v_cndmask_b32_e64 v20, v43, v41, s[34:35]
	v_max3_f32 v18, v18, v19, v20
	v_or_b32_e32 v19, 16, v42
	v_or_b32_e32 v20, 17, v42
	v_cmp_gt_i32_e64 s[36:37], s33, v19
	v_cmp_gt_i32_e64 s[38:39], s33, v20
	v_cndmask_b32_e64 v19, v43, v38, s[36:37]
	v_cndmask_b32_e64 v20, v43, v39, s[38:39]
	;; [unrolled: 7-line block ×3, first 2 shown]
	v_max3_f32 v18, v18, v19, v20
	v_or_b32_e32 v19, 32, v42
	v_or_b32_e32 v20, 33, v42
	v_pk_mul_f32 v[34:35], v[54:55], v[34:35] op_sel_hi:[0,1]
	v_cmp_gt_i32_e64 s[16:17], s33, v19
	v_cmp_gt_i32_e64 s[18:19], s33, v20
	v_cndmask_b32_e64 v19, v43, v34, s[16:17]
	v_cndmask_b32_e64 v20, v43, v35, s[18:19]
	v_max3_f32 v18, v18, v19, v20
	v_or_b32_e32 v19, 34, v42
	v_or_b32_e32 v20, 35, v42
	v_cmp_gt_i32_e64 s[12:13], s33, v19
	v_cmp_gt_i32_e64 s[14:15], s33, v20
	v_cndmask_b32_e64 v19, v43, v22, s[12:13]
	v_cndmask_b32_e64 v20, v43, v23, s[14:15]
	v_max3_f32 v18, v18, v19, v20
	v_or_b32_e32 v19, 48, v42
	v_or_b32_e32 v20, 49, v42
	;; [unrolled: 7-line block ×3, first 2 shown]
	v_cmp_gt_i32_e32 vcc, s33, v19
	v_cmp_gt_i32_e64 s[2:3], s33, v20
	v_cndmask_b32_e32 v19, v43, v24, vcc
	v_cndmask_b32_e64 v20, v43, v25, s[2:3]
	v_max3_f32 v18, v18, v19, v20
	v_mbcnt_lo_u32_b32 v19, -1, 0
	v_mbcnt_hi_u32_b32 v19, -1, v19
	v_and_b32_e32 v20, 64, v19
	v_add_u32_e32 v20, 64, v20
	v_xor_b32_e32 v21, 32, v19
	v_cmp_lt_i32_e64 s[40:41], v21, v20
	v_cndmask_b32_e64 v21, v19, v21, s[40:41]
	v_lshlrev_b32_e32 v43, 2, v21
	ds_bpermute_b32 v21, v43, v18
	s_barrier
	s_waitcnt lgkmcnt(0)
	v_max_f32_e32 v21, v21, v21
	v_max_f32_e32 v18, v18, v21
	v_xor_b32_e32 v21, 16, v19
	v_cmp_lt_i32_e64 s[40:41], v21, v20
	v_cndmask_b32_e64 v19, v19, v21, s[40:41]
	v_lshlrev_b32_e32 v44, 2, v19
	ds_bpermute_b32 v19, v44, v18
	s_waitcnt lgkmcnt(0)
	v_max_f32_e32 v19, v19, v19
	v_max_f32_e32 v42, v18, v19
	v_sub_f32_e32 v21, v40, v42
	v_sub_f32_e32 v26, v41, v42
	v_mul_f32_e32 v21, 0x3fb8aa3b, v21
	v_mul_f32_e32 v26, 0x3fb8aa3b, v26
	v_sub_f32_e32 v18, v30, v42
	v_exp_f32_e32 v21, v21
	v_exp_f32_e32 v26, v26
	v_mul_f32_e32 v18, 0x3fb8aa3b, v18
	v_sub_f32_e32 v19, v31, v42
	v_exp_f32_e32 v18, v18
	v_mul_f32_e32 v19, 0x3fb8aa3b, v19
	v_exp_f32_e32 v19, v19
	v_cndmask_b32_e64 v28, 0, v21, s[30:31]
	v_cndmask_b32_e64 v29, 0, v26, s[34:35]
	v_sub_f32_e32 v21, v38, v42
	v_sub_f32_e32 v26, v39, v42
	v_mul_f32_e32 v21, 0x3fb8aa3b, v21
	v_mul_f32_e32 v26, 0x3fb8aa3b, v26
	v_cndmask_b32_e64 v18, 0, v18, s[26:27]
	v_exp_f32_e32 v21, v21
	v_exp_f32_e32 v26, v26
	v_add_f32_e32 v20, 0, v18
	v_cndmask_b32_e64 v19, 0, v19, s[28:29]
	v_add_f32_e32 v20, v20, v19
	v_add_f32_e32 v20, v20, v28
	;; [unrolled: 1-line block ×3, first 2 shown]
	v_cndmask_b32_e64 v20, 0, v21, s[36:37]
	v_cndmask_b32_e64 v21, 0, v26, s[38:39]
	v_sub_f32_e32 v26, v36, v42
	v_mul_f32_e32 v26, 0x3fb8aa3b, v26
	v_exp_f32_e32 v26, v26
	v_sub_f32_e32 v30, v37, v42
	v_add_f32_e32 v27, v27, v20
	v_mul_f32_e32 v30, 0x3fb8aa3b, v30
	v_exp_f32_e32 v31, v30
	v_add_f32_e32 v27, v27, v21
	v_cndmask_b32_e64 v30, 0, v26, s[20:21]
	v_add_f32_e32 v26, v27, v30
	v_sub_f32_e32 v27, v34, v42
	v_mul_f32_e32 v27, 0x3fb8aa3b, v27
	v_sub_f32_e32 v34, v35, v42
	v_exp_f32_e32 v27, v27
	v_mul_f32_e32 v34, 0x3fb8aa3b, v34
	v_sub_f32_e32 v22, v22, v42
	v_exp_f32_e32 v34, v34
	;; [unrolled: 3-line block ×3, first 2 shown]
	v_mul_f32_e32 v23, 0x3fb8aa3b, v23
	v_cndmask_b32_e64 v31, 0, v31, s[22:23]
	v_exp_f32_e32 v23, v23
	v_add_f32_e32 v35, v26, v31
	v_cndmask_b32_e64 v26, 0, v27, s[16:17]
	v_add_f32_e32 v35, v35, v26
	v_cndmask_b32_e64 v27, 0, v34, s[18:19]
	;; [unrolled: 2-line block ×4, first 2 shown]
	v_sub_f32_e32 v23, v32, v42
	v_mul_f32_e32 v23, 0x3fb8aa3b, v23
	v_sub_f32_e32 v32, v33, v42
	v_exp_f32_e32 v23, v23
	v_mul_f32_e32 v32, 0x3fb8aa3b, v32
	v_sub_f32_e32 v24, v24, v42
	v_exp_f32_e32 v32, v32
	;; [unrolled: 3-line block ×3, first 2 shown]
	v_mul_f32_e32 v25, 0x3fb8aa3b, v25
	v_exp_f32_e32 v25, v25
	v_add_f32_e32 v33, v22, v35
	v_cndmask_b32_e64 v22, 0, v23, s[8:9]
	v_add_f32_e32 v33, v33, v22
	v_cndmask_b32_e64 v23, 0, v32, s[10:11]
	v_add_f32_e32 v32, v33, v23
	v_cndmask_b32_e32 v24, 0, v24, vcc
	v_add_f32_e32 v32, v32, v24
	v_cndmask_b32_e64 v25, 0, v25, s[2:3]
	v_add_f32_e32 v32, v32, v25
	ds_bpermute_b32 v33, v43, v32
	v_cmp_gt_u32_e32 vcc, 16, v51
	s_waitcnt lgkmcnt(0)
	v_add_f32_e32 v33, v32, v33
	ds_bpermute_b32 v36, v44, v33
	v_lshlrev_b32_e32 v32, 2, v49
	s_and_saveexec_b64 s[2:3], vcc
	s_cbranch_execz .LBB576_397
; %bb.396:
	s_waitcnt lgkmcnt(0)
	v_add_f32_e32 v33, v33, v36
	v_lshl_or_b32 v36, v50, 6, v32
	ds_write2st64_b32 v36, v42, v33 offset1:1
.LBB576_397:
	s_or_b64 exec, exec, s[2:3]
	s_waitcnt lgkmcnt(0)
	s_barrier
	ds_read2_b32 v[36:37], v32 offset1:16
	ds_read2_b32 v[38:39], v32 offset0:32 offset1:48
	ds_read2_b32 v[40:41], v32 offset0:64 offset1:80
	;; [unrolled: 1-line block ×3, first 2 shown]
	s_waitcnt lgkmcnt(0)
	v_max3_f32 v33, v36, s46, v37
	v_max3_f32 v33, v33, v38, v39
	v_sub_f32_e32 v36, v36, v33
	v_mul_f32_e32 v36, 0x3fb8aa3b, v36
	v_exp_f32_e32 v44, v36
	v_sub_f32_e32 v36, v37, v33
	v_mul_f32_e32 v36, 0x3fb8aa3b, v36
	v_exp_f32_e32 v37, v36
	v_sub_f32_e32 v36, v38, v33
	v_mul_f32_e32 v36, 0x3fb8aa3b, v36
	v_sub_f32_e32 v32, v39, v33
	v_exp_f32_e32 v38, v36
	v_mul_f32_e32 v32, 0x3fb8aa3b, v32
	v_exp_f32_e32 v39, v32
	v_fma_f32 v36, v44, v40, 0
	v_fmac_f32_e32 v36, v37, v41
	v_fmac_f32_e32 v36, v38, v42
	;; [unrolled: 1-line block ×3, first 2 shown]
	v_add_f32_e32 v40, 0x358637bd, v36
	v_div_scale_f32 v41, s[2:3], v40, v40, 1.0
	v_rcp_f32_e32 v42, v41
	s_barrier
	s_mul_i32 s12, s45, 3
	v_fma_f32 v43, -v41, v42, 1.0
	v_fmac_f32_e32 v42, v43, v42
	v_div_scale_f32 v43, vcc, 1.0, v40, 1.0
	v_mul_f32_e32 v45, v43, v42
	v_fma_f32 v51, -v41, v45, v43
	v_fmac_f32_e32 v45, v51, v42
	v_fma_f32 v41, -v41, v45, v43
	v_div_fmas_f32 v41, v41, v42, v45
	v_cmp_eq_u32_e32 vcc, 1, v50
	v_cndmask_b32_e32 v37, v44, v37, vcc
	v_cmp_eq_u32_e32 vcc, 2, v50
	v_cndmask_b32_e32 v37, v37, v38, vcc
	v_cmp_eq_u32_e32 vcc, 3, v50
	v_div_fixup_f32 v40, v41, v40, 1.0
	v_cndmask_b32_e32 v37, v37, v39, vcc
	v_mul_f32_e32 v38, v37, v40
	v_pk_mul_f32 v[28:29], v[38:39], v[28:29] op_sel_hi:[0,1]
	v_cvt_f16_f32_e32 v28, v28
	v_cvt_f16_f32_e32 v29, v29
	v_pk_mul_f32 v[18:19], v[38:39], v[18:19] op_sel_hi:[0,1]
	v_cvt_f16_f32_e32 v18, v18
	v_cvt_f16_f32_e32 v19, v19
	v_pack_b32_f16 v41, v28, v29
	v_pk_mul_f32 v[28:29], v[38:39], v[30:31] op_sel_hi:[0,1]
	v_pk_mul_f32 v[20:21], v[38:39], v[20:21] op_sel_hi:[0,1]
	v_cvt_f16_f32_e32 v20, v20
	v_cvt_f16_f32_e32 v21, v21
	;; [unrolled: 1-line block ×4, first 2 shown]
	v_pack_b32_f16 v40, v18, v19
	v_lshlrev_b32_e32 v18, 3, v47
	v_lshlrev_b32_e32 v19, 5, v49
	v_lshlrev_b32_e32 v28, 11, v50
	v_or3_b32 v28, v28, v19, v18
	v_pack_b32_f16 v20, v20, v21
	v_pack_b32_f16 v21, v30, v29
	ds_write2st64_b64 v28, v[40:41], v[20:21] offset1:1
	v_pk_mul_f32 v[20:21], v[38:39], v[34:35] op_sel_hi:[0,1]
	v_pk_mul_f32 v[26:27], v[38:39], v[26:27] op_sel_hi:[0,1]
	v_cvt_f16_f32_e32 v18, v26
	v_cvt_f16_f32_e32 v26, v27
	;; [unrolled: 1-line block ×4, first 2 shown]
	v_pk_mul_f32 v[20:21], v[38:39], v[24:25] op_sel_hi:[0,1]
	v_pk_mul_f32 v[22:23], v[38:39], v[22:23] op_sel_hi:[0,1]
	v_cvt_f16_f32_e32 v22, v22
	v_cvt_f16_f32_e32 v23, v23
	;; [unrolled: 1-line block ×4, first 2 shown]
	v_mov_b32_e32 v32, 0
	v_pack_b32_f16 v20, v18, v26
	v_pack_b32_f16 v21, v27, v29
	v_pack_b32_f16 v22, v22, v23
	v_pack_b32_f16 v23, v24, v25
	v_cmp_gt_u32_e32 vcc, 3, v0
	ds_write2st64_b64 v28, v[20:21], v[22:23] offset0:2 offset1:3
	s_and_saveexec_b64 s[2:3], vcc
	s_cbranch_execz .LBB576_399
; %bb.398:
	v_add_co_u32_e32 v22, vcc, s25, v49
	v_addc_co_u32_e64 v23, s[14:15], 0, 0, vcc
	v_mov_b32_e32 v18, s12
	v_mov_b32_e32 v21, 0
	v_mad_u64_u32 v[22:23], s[14:15], s6, v18, v[22:23]
	v_mov_b32_e32 v20, s24
	s_load_dwordx4 s[8:11], s[4:5], 0x58
	s_mul_i32 s7, s7, s12
	v_mad_u64_u32 v[20:21], s[14:15], v22, s44, v[20:21]
	v_add_u32_e32 v23, s7, v23
	v_mov_b32_e32 v18, v21
	v_mad_u64_u32 v[22:23], s[14:15], v23, s44, v[18:19]
	v_mov_b32_e32 v21, v22
	v_lshlrev_b64 v[20:21], 2, v[20:21]
	s_waitcnt lgkmcnt(0)
	v_mov_b32_e32 v18, s11
	v_add_co_u32_e32 v22, vcc, s10, v20
	v_addc_co_u32_e32 v23, vcc, v18, v21, vcc
	v_mov_b32_e32 v18, s9
	v_add_co_u32_e32 v20, vcc, s8, v20
	v_addc_co_u32_e32 v21, vcc, v18, v21, vcc
	global_store_dword v[22:23], v33, off
	global_store_dword v[20:21], v36, off
.LBB576_399:
	s_or_b64 exec, exec, s[2:3]
	v_mov_b32_e32 v20, 0
	s_waitcnt vmcnt(3)
	v_cmp_ne_u16_sdwa s[8:9], v14, v20 src0_sel:BYTE_0 src1_sel:DWORD
	s_waitcnt lgkmcnt(0)
	s_barrier
	s_and_saveexec_b64 s[2:3], s[8:9]
	s_cbranch_execz .LBB576_405
; %bb.400:
	s_movk_i32 s7, 0x80
	v_cmp_ne_u16_sdwa s[10:11], v14, s7 src0_sel:BYTE_0 src1_sel:DWORD
	v_bfrev_b32_e32 v32, 1
	s_and_saveexec_b64 s[8:9], s[10:11]
	s_cbranch_execz .LBB576_404
; %bb.401:
	s_movk_i32 s7, 0x7f
	v_and_b32_e32 v18, 0x7f, v14
	v_cmp_ne_u32_e32 vcc, s7, v18
	v_mov_b32_e32 v32, 0x7f800001
	s_and_saveexec_b64 s[10:11], vcc
	s_cbranch_execz .LBB576_403
; %bb.402:
	v_and_b32_e32 v21, 7, v14
	v_ffbh_u32_e32 v22, v21
	v_min_u32_e32 v25, 32, v22
	v_subrev_u32_e32 v22, 28, v25
	v_lshlrev_b64 v[22:23], v22, v[14:15]
	v_lshrrev_b32_e32 v24, 3, v18
	v_sub_u32_e32 v23, 29, v25
	v_and_b32_e32 v22, 7, v22
	v_cmp_gt_u32_e32 vcc, 8, v18
	v_cndmask_b32_e32 v18, v24, v23, vcc
	v_cndmask_b32_e32 v21, v21, v22, vcc
	v_lshlrev_b32_e32 v22, 24, v14
	v_bfrev_b32_e32 v23, 60
	v_lshlrev_b32_e32 v21, 20, v21
	v_and_b32_e32 v22, 0x80000000, v22
	v_lshl_add_u32 v18, v18, 23, v23
	v_or3_b32 v32, v22, v18, v21
.LBB576_403:
	s_or_b64 exec, exec, s[10:11]
.LBB576_404:
	s_or_b64 exec, exec, s[8:9]
.LBB576_405:
	s_or_b64 exec, exec, s[2:3]
	v_lshrrev_b16_e32 v18, 8, v14
	v_cmp_ne_u16_e32 vcc, 0, v18
	v_mov_b32_e32 v21, 0
	s_and_saveexec_b64 s[2:3], vcc
	s_cbranch_execz .LBB576_411
; %bb.406:
	s_movk_i32 s7, 0x80
	v_cmp_ne_u16_e32 vcc, s7, v18
	v_bfrev_b32_e32 v21, 1
	s_and_saveexec_b64 s[8:9], vcc
	s_cbranch_execz .LBB576_410
; %bb.407:
	s_movk_i32 s7, 0x7f
	v_and_b32_e32 v22, 0x7f, v18
	v_cmp_ne_u32_e32 vcc, s7, v22
	v_mov_b32_e32 v21, 0x7f800001
	s_and_saveexec_b64 s[10:11], vcc
	s_cbranch_execz .LBB576_409
; %bb.408:
	v_and_b32_e32 v21, 7, v18
	v_ffbh_u32_e32 v24, v21
	v_min_u32_e32 v26, 32, v24
	v_subrev_u32_e32 v24, 28, v26
	v_lshlrev_b64 v[24:25], v24, v[18:19]
	v_lshrrev_b32_e32 v23, 3, v22
	v_sub_u32_e32 v18, 29, v26
	v_and_b32_e32 v24, 7, v24
	v_cmp_gt_u32_e32 vcc, 8, v22
	v_cndmask_b32_e32 v18, v23, v18, vcc
	v_cndmask_b32_e32 v21, v21, v24, vcc
	v_lshlrev_b32_e32 v22, 16, v14
	v_bfrev_b32_e32 v23, 60
	v_lshlrev_b32_e32 v21, 20, v21
	v_and_b32_e32 v22, 0x80000000, v22
	v_lshl_add_u32 v18, v18, 23, v23
	v_or3_b32 v21, v22, v18, v21
.LBB576_409:
	s_or_b64 exec, exec, s[10:11]
.LBB576_410:
	s_or_b64 exec, exec, s[8:9]
.LBB576_411:
	s_or_b64 exec, exec, s[2:3]
	s_movk_i32 s2, 0xff
	v_and_b32_sdwa v22, v14, s2 dst_sel:DWORD dst_unused:UNUSED_PAD src0_sel:WORD_1 src1_sel:DWORD
	v_lshrrev_b32_e32 v18, 16, v14
	v_cmp_ne_u16_e32 vcc, 0, v22
	s_and_saveexec_b64 s[2:3], vcc
	s_cbranch_execz .LBB576_417
; %bb.412:
	s_movk_i32 s7, 0x80
	v_cmp_ne_u16_e32 vcc, s7, v22
	v_bfrev_b32_e32 v20, 1
	s_and_saveexec_b64 s[8:9], vcc
	s_cbranch_execz .LBB576_416
; %bb.413:
	v_bfe_u32 v22, v14, 16, 7
	s_movk_i32 s7, 0x7f
	v_cmp_ne_u32_e32 vcc, s7, v22
	v_mov_b32_e32 v20, 0x7f800001
	s_and_saveexec_b64 s[10:11], vcc
	s_cbranch_execz .LBB576_415
; %bb.414:
	v_and_b32_e32 v20, 7, v18
	v_ffbh_u32_e32 v24, v20
	v_min_u32_e32 v26, 32, v24
	v_subrev_u32_e32 v24, 28, v26
	v_lshlrev_b64 v[24:25], v24, v[18:19]
	v_lshrrev_b32_e32 v23, 3, v22
	v_sub_u32_e32 v18, 29, v26
	v_and_b32_e32 v24, 7, v24
	v_cmp_gt_u32_e32 vcc, 8, v22
	v_mov_b32_e32 v22, 24
	v_cndmask_b32_e32 v18, v23, v18, vcc
	v_cndmask_b32_e32 v20, v20, v24, vcc
	v_lshlrev_b32_sdwa v22, v22, v14 dst_sel:DWORD dst_unused:UNUSED_PAD src0_sel:DWORD src1_sel:WORD_1
	v_bfrev_b32_e32 v23, 60
	v_lshlrev_b32_e32 v20, 20, v20
	v_and_b32_e32 v22, 0x80000000, v22
	v_lshl_add_u32 v18, v18, 23, v23
	v_or3_b32 v20, v22, v18, v20
.LBB576_415:
	s_or_b64 exec, exec, s[10:11]
.LBB576_416:
	s_or_b64 exec, exec, s[8:9]
.LBB576_417:
	s_or_b64 exec, exec, s[2:3]
	s_mov_b32 s2, 0xffffff
	v_cmp_lt_u32_e32 vcc, s2, v14
	v_mov_b32_e32 v24, 0
	v_mov_b32_e32 v22, 0
	s_and_saveexec_b64 s[2:3], vcc
	s_cbranch_execz .LBB576_423
; %bb.418:
	v_lshrrev_b32_e32 v18, 24, v14
	s_movk_i32 s7, 0x80
	v_cmp_ne_u32_e32 vcc, s7, v18
	v_bfrev_b32_e32 v22, 1
	s_and_saveexec_b64 s[8:9], vcc
	s_cbranch_execz .LBB576_422
; %bb.419:
	v_bfe_u32 v14, v14, 24, 7
	s_movk_i32 s7, 0x7f
	v_cmp_ne_u32_e32 vcc, s7, v14
	v_mov_b32_e32 v22, 0x7f800001
	s_and_saveexec_b64 s[10:11], vcc
	s_cbranch_execz .LBB576_421
; %bb.420:
	v_and_b32_e32 v25, 7, v18
	v_ffbh_u32_e32 v22, v25
	v_min_u32_e32 v27, 32, v22
	v_subrev_u32_e32 v22, 28, v27
	v_lshlrev_b64 v[22:23], v22, v[18:19]
	v_lshrrev_b32_e32 v26, 3, v14
	v_sub_u32_e32 v23, 29, v27
	v_and_b32_e32 v22, 7, v22
	v_cmp_gt_u32_e32 vcc, 8, v14
	v_cndmask_b32_e32 v14, v26, v23, vcc
	v_cndmask_b32_e32 v22, v25, v22, vcc
	v_lshlrev_b32_e32 v18, 24, v18
	v_bfrev_b32_e32 v23, 60
	v_lshlrev_b32_e32 v22, 20, v22
	v_and_b32_e32 v18, 0x80000000, v18
	v_lshl_add_u32 v14, v14, 23, v23
	v_or3_b32 v22, v18, v14, v22
.LBB576_421:
	s_or_b64 exec, exec, s[10:11]
.LBB576_422:
	s_or_b64 exec, exec, s[8:9]
.LBB576_423:
	s_or_b64 exec, exec, s[2:3]
	v_cmp_ne_u16_sdwa s[8:9], v15, v24 src0_sel:BYTE_0 src1_sel:DWORD
	s_and_saveexec_b64 s[2:3], s[8:9]
	s_cbranch_execz .LBB576_429
; %bb.424:
	s_movk_i32 s7, 0x80
	v_cmp_ne_u16_sdwa s[10:11], v15, s7 src0_sel:BYTE_0 src1_sel:DWORD
	v_bfrev_b32_e32 v24, 1
	s_and_saveexec_b64 s[8:9], s[10:11]
	s_cbranch_execz .LBB576_428
; %bb.425:
	s_movk_i32 s7, 0x7f
	v_and_b32_e32 v14, 0x7f, v15
	v_cmp_ne_u32_e32 vcc, s7, v14
	v_mov_b32_e32 v24, 0x7f800001
	s_and_saveexec_b64 s[10:11], vcc
	s_cbranch_execz .LBB576_427
; %bb.426:
	v_and_b32_e32 v23, 7, v15
	v_ffbh_u32_e32 v24, v23
	v_min_u32_e32 v27, 32, v24
	v_mov_b32_e32 v18, v15
	v_subrev_u32_e32 v24, 28, v27
	v_lshlrev_b64 v[24:25], v24, v[18:19]
	v_lshrrev_b32_e32 v26, 3, v14
	v_sub_u32_e32 v18, 29, v27
	v_and_b32_e32 v24, 7, v24
	v_cmp_gt_u32_e32 vcc, 8, v14
	v_cndmask_b32_e32 v14, v26, v18, vcc
	v_cndmask_b32_e32 v18, v23, v24, vcc
	v_lshlrev_b32_e32 v23, 24, v15
	v_bfrev_b32_e32 v24, 60
	v_lshlrev_b32_e32 v18, 20, v18
	v_and_b32_e32 v23, 0x80000000, v23
	v_lshl_add_u32 v14, v14, 23, v24
	v_or3_b32 v24, v23, v14, v18
.LBB576_427:
	s_or_b64 exec, exec, s[10:11]
.LBB576_428:
	s_or_b64 exec, exec, s[8:9]
.LBB576_429:
	s_or_b64 exec, exec, s[2:3]
	v_lshrrev_b16_e32 v14, 8, v15
	v_cmp_ne_u16_e32 vcc, 0, v14
	v_mov_b32_e32 v18, 0
	v_mov_b32_e32 v25, 0
	s_and_saveexec_b64 s[2:3], vcc
	s_cbranch_execz .LBB576_435
; %bb.430:
	s_movk_i32 s7, 0x80
	v_cmp_ne_u16_e32 vcc, s7, v14
	v_bfrev_b32_e32 v25, 1
	s_and_saveexec_b64 s[8:9], vcc
	s_cbranch_execz .LBB576_434
; %bb.431:
	s_movk_i32 s7, 0x7f
	v_and_b32_e32 v23, 0x7f, v14
	v_cmp_ne_u32_e32 vcc, s7, v23
	v_mov_b32_e32 v25, 0x7f800001
	s_and_saveexec_b64 s[10:11], vcc
	s_cbranch_execz .LBB576_433
; %bb.432:
	v_and_b32_e32 v25, 7, v14
	v_ffbh_u32_e32 v26, v25
	v_min_u32_e32 v30, 32, v26
	v_subrev_u32_e32 v26, 28, v30
	v_lshlrev_b64 v[26:27], v26, v[14:15]
	v_lshrrev_b32_e32 v29, 3, v23
	v_sub_u32_e32 v14, 29, v30
	v_and_b32_e32 v26, 7, v26
	v_cmp_gt_u32_e32 vcc, 8, v23
	v_cndmask_b32_e32 v14, v29, v14, vcc
	v_cndmask_b32_e32 v23, v25, v26, vcc
	v_lshlrev_b32_e32 v25, 16, v15
	v_bfrev_b32_e32 v26, 60
	v_lshlrev_b32_e32 v23, 20, v23
	v_and_b32_e32 v25, 0x80000000, v25
	v_lshl_add_u32 v14, v14, 23, v26
	v_or3_b32 v25, v25, v14, v23
.LBB576_433:
	s_or_b64 exec, exec, s[10:11]
.LBB576_434:
	s_or_b64 exec, exec, s[8:9]
.LBB576_435:
	s_or_b64 exec, exec, s[2:3]
	s_movk_i32 s2, 0xff
	v_and_b32_sdwa v23, v15, s2 dst_sel:DWORD dst_unused:UNUSED_PAD src0_sel:WORD_1 src1_sel:DWORD
	v_lshrrev_b32_e32 v14, 16, v15
	v_cmp_ne_u16_e32 vcc, 0, v23
	s_and_saveexec_b64 s[2:3], vcc
	s_cbranch_execz .LBB576_441
; %bb.436:
	s_movk_i32 s7, 0x80
	v_cmp_ne_u16_e32 vcc, s7, v23
	v_bfrev_b32_e32 v18, 1
	s_and_saveexec_b64 s[8:9], vcc
	s_cbranch_execz .LBB576_440
; %bb.437:
	v_bfe_u32 v23, v15, 16, 7
	s_movk_i32 s7, 0x7f
	v_cmp_ne_u32_e32 vcc, s7, v23
	v_mov_b32_e32 v18, 0x7f800001
	s_and_saveexec_b64 s[10:11], vcc
	s_cbranch_execz .LBB576_439
; %bb.438:
	v_and_b32_e32 v18, 7, v14
	v_ffbh_u32_e32 v26, v18
	v_min_u32_e32 v30, 32, v26
	v_subrev_u32_e32 v26, 28, v30
	v_lshlrev_b64 v[26:27], v26, v[14:15]
	v_lshrrev_b32_e32 v29, 3, v23
	v_sub_u32_e32 v14, 29, v30
	v_and_b32_e32 v26, 7, v26
	v_cmp_gt_u32_e32 vcc, 8, v23
	v_mov_b32_e32 v23, 24
	v_cndmask_b32_e32 v14, v29, v14, vcc
	v_cndmask_b32_e32 v18, v18, v26, vcc
	v_lshlrev_b32_sdwa v23, v23, v15 dst_sel:DWORD dst_unused:UNUSED_PAD src0_sel:DWORD src1_sel:WORD_1
	v_bfrev_b32_e32 v26, 60
	v_lshlrev_b32_e32 v18, 20, v18
	v_and_b32_e32 v23, 0x80000000, v23
	v_lshl_add_u32 v14, v14, 23, v26
	v_or3_b32 v18, v23, v14, v18
.LBB576_439:
	s_or_b64 exec, exec, s[10:11]
.LBB576_440:
	s_or_b64 exec, exec, s[8:9]
.LBB576_441:
	s_or_b64 exec, exec, s[2:3]
	s_mov_b32 s2, 0xffffff
	v_cmp_lt_u32_e32 vcc, s2, v15
	v_mov_b32_e32 v23, 0
	v_mov_b32_e32 v26, 0
	s_and_saveexec_b64 s[2:3], vcc
	s_cbranch_execz .LBB576_447
; %bb.442:
	v_lshrrev_b32_e32 v14, 24, v15
	s_movk_i32 s7, 0x80
	v_cmp_ne_u32_e32 vcc, s7, v14
	v_bfrev_b32_e32 v26, 1
	s_and_saveexec_b64 s[8:9], vcc
	s_cbranch_execz .LBB576_446
; %bb.443:
	v_bfe_u32 v15, v15, 24, 7
	s_movk_i32 s7, 0x7f
	v_cmp_ne_u32_e32 vcc, s7, v15
	v_mov_b32_e32 v26, 0x7f800001
	s_and_saveexec_b64 s[10:11], vcc
	s_cbranch_execz .LBB576_445
; %bb.444:
	v_and_b32_e32 v29, 7, v14
	v_ffbh_u32_e32 v26, v29
	v_min_u32_e32 v31, 32, v26
	v_subrev_u32_e32 v26, 28, v31
	v_lshlrev_b64 v[26:27], v26, v[14:15]
	v_lshrrev_b32_e32 v30, 3, v15
	v_sub_u32_e32 v27, 29, v31
	v_and_b32_e32 v26, 7, v26
	v_cmp_gt_u32_e32 vcc, 8, v15
	v_cndmask_b32_e32 v15, v30, v27, vcc
	v_cndmask_b32_e32 v26, v29, v26, vcc
	v_lshlrev_b32_e32 v14, 24, v14
	v_bfrev_b32_e32 v27, 60
	v_lshlrev_b32_e32 v26, 20, v26
	v_and_b32_e32 v14, 0x80000000, v14
	v_lshl_add_u32 v15, v15, 23, v27
	v_or3_b32 v26, v14, v15, v26
.LBB576_445:
	s_or_b64 exec, exec, s[10:11]
.LBB576_446:
	s_or_b64 exec, exec, s[8:9]
.LBB576_447:
	s_or_b64 exec, exec, s[2:3]
	v_cvt_pkrtz_f16_f32 v15, v20, v22
	v_lshl_or_b32 v22, v47, 9, v19
	v_cvt_pkrtz_f16_f32 v14, v32, v21
	ds_read_b128 v[30:33], v22
	v_cmp_ne_u16_sdwa s[8:9], v16, v23 src0_sel:BYTE_0 src1_sel:DWORD
	s_waitcnt lgkmcnt(0)
	v_mfma_f32_16x16x16f16 v[34:37], v[14:15], v[30:31], 0
	v_cvt_pkrtz_f16_f32 v14, v24, v25
	v_cvt_pkrtz_f16_f32 v15, v18, v26
	s_nop 1
	v_mfma_f32_16x16x16f16 v[18:21], v[14:15], v[32:33], v[34:37]
	s_and_saveexec_b64 s[2:3], s[8:9]
	s_cbranch_execz .LBB576_453
; %bb.448:
	s_movk_i32 s7, 0x80
	v_cmp_ne_u16_sdwa s[10:11], v16, s7 src0_sel:BYTE_0 src1_sel:DWORD
	v_bfrev_b32_e32 v23, 1
	s_and_saveexec_b64 s[8:9], s[10:11]
	s_cbranch_execz .LBB576_452
; %bb.449:
	s_movk_i32 s7, 0x7f
	v_and_b32_e32 v14, 0x7f, v16
	v_cmp_ne_u32_e32 vcc, s7, v14
	v_mov_b32_e32 v23, 0x7f800001
	s_and_saveexec_b64 s[10:11], vcc
	s_cbranch_execz .LBB576_451
; %bb.450:
	v_and_b32_e32 v15, 7, v16
	v_ffbh_u32_e32 v24, v15
	v_min_u32_e32 v26, 32, v24
	v_subrev_u32_e32 v24, 28, v26
	v_lshlrev_b64 v[24:25], v24, v[16:17]
	v_lshrrev_b32_e32 v23, 3, v14
	v_sub_u32_e32 v25, 29, v26
	v_and_b32_e32 v24, 7, v24
	v_cmp_gt_u32_e32 vcc, 8, v14
	v_cndmask_b32_e32 v14, v23, v25, vcc
	v_cndmask_b32_e32 v15, v15, v24, vcc
	v_lshlrev_b32_e32 v23, 24, v16
	v_bfrev_b32_e32 v24, 60
	v_lshlrev_b32_e32 v15, 20, v15
	v_and_b32_e32 v23, 0x80000000, v23
	v_lshl_add_u32 v14, v14, 23, v24
	v_or3_b32 v23, v23, v14, v15
.LBB576_451:
	s_or_b64 exec, exec, s[10:11]
.LBB576_452:
	s_or_b64 exec, exec, s[8:9]
.LBB576_453:
	s_or_b64 exec, exec, s[2:3]
	v_lshrrev_b16_e32 v14, 8, v16
	v_cmp_ne_u16_e32 vcc, 0, v14
	v_mov_b32_e32 v15, 0
	v_mov_b32_e32 v25, 0
	s_and_saveexec_b64 s[2:3], vcc
	s_cbranch_execz .LBB576_459
; %bb.454:
	s_movk_i32 s7, 0x80
	v_cmp_ne_u16_e32 vcc, s7, v14
	v_bfrev_b32_e32 v25, 1
	s_and_saveexec_b64 s[8:9], vcc
	s_cbranch_execz .LBB576_458
; %bb.455:
	s_movk_i32 s7, 0x7f
	v_and_b32_e32 v24, 0x7f, v14
	v_cmp_ne_u32_e32 vcc, s7, v24
	v_mov_b32_e32 v25, 0x7f800001
	s_and_saveexec_b64 s[10:11], vcc
	s_cbranch_execz .LBB576_457
; %bb.456:
	v_and_b32_e32 v25, 7, v14
	v_ffbh_u32_e32 v26, v25
	v_min_u32_e32 v30, 32, v26
	v_subrev_u32_e32 v26, 28, v30
	v_lshlrev_b64 v[26:27], v26, v[14:15]
	v_lshrrev_b32_e32 v29, 3, v24
	v_sub_u32_e32 v14, 29, v30
	v_and_b32_e32 v26, 7, v26
	v_cmp_gt_u32_e32 vcc, 8, v24
	v_cndmask_b32_e32 v14, v29, v14, vcc
	v_cndmask_b32_e32 v24, v25, v26, vcc
	v_lshlrev_b32_e32 v25, 16, v16
	v_bfrev_b32_e32 v26, 60
	v_lshlrev_b32_e32 v24, 20, v24
	v_and_b32_e32 v25, 0x80000000, v25
	v_lshl_add_u32 v14, v14, 23, v26
	v_or3_b32 v25, v25, v14, v24
.LBB576_457:
	s_or_b64 exec, exec, s[10:11]
.LBB576_458:
	s_or_b64 exec, exec, s[8:9]
.LBB576_459:
	s_or_b64 exec, exec, s[2:3]
	s_movk_i32 s2, 0xff
	v_and_b32_sdwa v24, v16, s2 dst_sel:DWORD dst_unused:UNUSED_PAD src0_sel:WORD_1 src1_sel:DWORD
	v_lshrrev_b32_e32 v14, 16, v16
	v_cmp_ne_u16_e32 vcc, 0, v24
	s_and_saveexec_b64 s[2:3], vcc
	s_cbranch_execz .LBB576_465
; %bb.460:
	s_movk_i32 s7, 0x80
	v_cmp_ne_u16_e32 vcc, s7, v24
	v_bfrev_b32_e32 v15, 1
	s_and_saveexec_b64 s[8:9], vcc
	s_cbranch_execz .LBB576_464
; %bb.461:
	v_bfe_u32 v24, v16, 16, 7
	s_movk_i32 s7, 0x7f
	v_cmp_ne_u32_e32 vcc, s7, v24
	v_mov_b32_e32 v15, 0x7f800001
	s_and_saveexec_b64 s[10:11], vcc
	s_cbranch_execz .LBB576_463
; %bb.462:
	v_and_b32_e32 v26, 7, v14
	v_ffbh_u32_e32 v15, v26
	v_min_u32_e32 v29, 32, v15
	v_subrev_u32_e32 v15, 28, v29
	v_lshlrev_b64 v[14:15], v15, v[14:15]
	v_lshrrev_b32_e32 v27, 3, v24
	v_sub_u32_e32 v15, 29, v29
	v_and_b32_e32 v14, 7, v14
	v_cmp_gt_u32_e32 vcc, 8, v24
	v_mov_b32_e32 v24, 24
	v_cndmask_b32_e32 v15, v27, v15, vcc
	v_cndmask_b32_e32 v14, v26, v14, vcc
	v_lshlrev_b32_sdwa v24, v24, v16 dst_sel:DWORD dst_unused:UNUSED_PAD src0_sel:DWORD src1_sel:WORD_1
	v_bfrev_b32_e32 v26, 60
	v_lshlrev_b32_e32 v14, 20, v14
	v_and_b32_e32 v24, 0x80000000, v24
	v_lshl_add_u32 v15, v15, 23, v26
	v_or3_b32 v15, v24, v15, v14
.LBB576_463:
	s_or_b64 exec, exec, s[10:11]
.LBB576_464:
	s_or_b64 exec, exec, s[8:9]
.LBB576_465:
	s_or_b64 exec, exec, s[2:3]
	s_mov_b32 s2, 0xffffff
	v_cmp_lt_u32_e32 vcc, s2, v16
	v_mov_b32_e32 v26, 0
	v_mov_b32_e32 v27, 0
	s_and_saveexec_b64 s[2:3], vcc
	s_cbranch_execz .LBB576_471
; %bb.466:
	v_lshrrev_b32_e32 v14, 24, v16
	s_movk_i32 s7, 0x80
	v_cmp_ne_u32_e32 vcc, s7, v14
	v_bfrev_b32_e32 v27, 1
	s_and_saveexec_b64 s[8:9], vcc
	s_cbranch_execz .LBB576_470
; %bb.467:
	v_bfe_u32 v16, v16, 24, 7
	s_movk_i32 s7, 0x7f
	v_cmp_ne_u32_e32 vcc, s7, v16
	v_mov_b32_e32 v27, 0x7f800001
	s_and_saveexec_b64 s[10:11], vcc
	s_cbranch_execz .LBB576_469
; %bb.468:
	v_and_b32_e32 v24, 7, v14
	v_ffbh_u32_e32 v29, v24
	v_min_u32_e32 v29, 32, v29
	v_subrev_u32_e32 v30, 28, v29
	v_lshlrev_b64 v[30:31], v30, v[14:15]
	v_lshrrev_b32_e32 v27, 3, v16
	v_sub_u32_e32 v29, 29, v29
	v_and_b32_e32 v30, 7, v30
	v_cmp_gt_u32_e32 vcc, 8, v16
	v_cndmask_b32_e32 v16, v27, v29, vcc
	v_cndmask_b32_e32 v24, v24, v30, vcc
	v_lshlrev_b32_e32 v14, 24, v14
	v_bfrev_b32_e32 v27, 60
	v_lshlrev_b32_e32 v24, 20, v24
	v_and_b32_e32 v14, 0x80000000, v14
	v_lshl_add_u32 v16, v16, 23, v27
	v_or3_b32 v27, v14, v16, v24
.LBB576_469:
	s_or_b64 exec, exec, s[10:11]
.LBB576_470:
	s_or_b64 exec, exec, s[8:9]
.LBB576_471:
	s_or_b64 exec, exec, s[2:3]
	v_cmp_ne_u16_sdwa s[8:9], v17, v26 src0_sel:BYTE_0 src1_sel:DWORD
	s_and_saveexec_b64 s[2:3], s[8:9]
	s_cbranch_execz .LBB576_477
; %bb.472:
	s_movk_i32 s7, 0x80
	v_cmp_ne_u16_sdwa s[10:11], v17, s7 src0_sel:BYTE_0 src1_sel:DWORD
	v_bfrev_b32_e32 v26, 1
	s_and_saveexec_b64 s[8:9], s[10:11]
	s_cbranch_execz .LBB576_476
; %bb.473:
	s_movk_i32 s7, 0x7f
	v_and_b32_e32 v14, 0x7f, v17
	v_cmp_ne_u32_e32 vcc, s7, v14
	v_mov_b32_e32 v26, 0x7f800001
	s_and_saveexec_b64 s[10:11], vcc
	s_cbranch_execz .LBB576_475
; %bb.474:
	v_and_b32_e32 v24, 7, v17
	v_ffbh_u32_e32 v29, v24
	v_min_u32_e32 v29, 32, v29
	v_mov_b32_e32 v16, v17
	v_subrev_u32_e32 v30, 28, v29
	v_lshlrev_b64 v[30:31], v30, v[16:17]
	v_lshrrev_b32_e32 v26, 3, v14
	v_sub_u32_e32 v16, 29, v29
	v_and_b32_e32 v29, 7, v30
	v_cmp_gt_u32_e32 vcc, 8, v14
	v_cndmask_b32_e32 v14, v26, v16, vcc
	v_cndmask_b32_e32 v16, v24, v29, vcc
	v_lshlrev_b32_e32 v24, 24, v17
	v_bfrev_b32_e32 v26, 60
	v_lshlrev_b32_e32 v16, 20, v16
	v_and_b32_e32 v24, 0x80000000, v24
	v_lshl_add_u32 v14, v14, 23, v26
	v_or3_b32 v26, v24, v14, v16
.LBB576_475:
	s_or_b64 exec, exec, s[10:11]
.LBB576_476:
	s_or_b64 exec, exec, s[8:9]
.LBB576_477:
	s_or_b64 exec, exec, s[2:3]
	v_lshrrev_b16_e32 v14, 8, v17
	v_cmp_ne_u16_e32 vcc, 0, v14
	v_mov_b32_e32 v16, 0
	v_mov_b32_e32 v29, 0
	s_and_saveexec_b64 s[2:3], vcc
	s_cbranch_execz .LBB576_483
; %bb.478:
	s_movk_i32 s7, 0x80
	v_cmp_ne_u16_e32 vcc, s7, v14
	v_bfrev_b32_e32 v29, 1
	s_and_saveexec_b64 s[8:9], vcc
	s_cbranch_execz .LBB576_482
; %bb.479:
	s_movk_i32 s7, 0x7f
	v_and_b32_e32 v24, 0x7f, v14
	v_cmp_ne_u32_e32 vcc, s7, v24
	v_mov_b32_e32 v29, 0x7f800001
	s_and_saveexec_b64 s[10:11], vcc
	s_cbranch_execz .LBB576_481
; %bb.480:
	v_and_b32_e32 v29, 7, v14
	v_ffbh_u32_e32 v30, v29
	v_min_u32_e32 v33, 32, v30
	v_subrev_u32_e32 v30, 28, v33
	v_lshlrev_b64 v[30:31], v30, v[14:15]
	v_lshrrev_b32_e32 v32, 3, v24
	v_sub_u32_e32 v14, 29, v33
	v_and_b32_e32 v30, 7, v30
	v_cmp_gt_u32_e32 vcc, 8, v24
	v_cndmask_b32_e32 v14, v32, v14, vcc
	v_cndmask_b32_e32 v24, v29, v30, vcc
	v_lshlrev_b32_e32 v29, 16, v17
	v_bfrev_b32_e32 v30, 60
	v_lshlrev_b32_e32 v24, 20, v24
	v_and_b32_e32 v29, 0x80000000, v29
	v_lshl_add_u32 v14, v14, 23, v30
	v_or3_b32 v29, v29, v14, v24
.LBB576_481:
	s_or_b64 exec, exec, s[10:11]
.LBB576_482:
	s_or_b64 exec, exec, s[8:9]
.LBB576_483:
	s_or_b64 exec, exec, s[2:3]
	s_movk_i32 s2, 0xff
	v_and_b32_sdwa v24, v17, s2 dst_sel:DWORD dst_unused:UNUSED_PAD src0_sel:WORD_1 src1_sel:DWORD
	v_lshrrev_b32_e32 v14, 16, v17
	v_cmp_ne_u16_e32 vcc, 0, v24
	s_and_saveexec_b64 s[2:3], vcc
	s_cbranch_execz .LBB576_489
; %bb.484:
	s_movk_i32 s7, 0x80
	v_cmp_ne_u16_e32 vcc, s7, v24
	v_bfrev_b32_e32 v16, 1
	s_and_saveexec_b64 s[8:9], vcc
	s_cbranch_execz .LBB576_488
; %bb.485:
	v_bfe_u32 v24, v17, 16, 7
	s_movk_i32 s7, 0x7f
	v_cmp_ne_u32_e32 vcc, s7, v24
	v_mov_b32_e32 v16, 0x7f800001
	s_and_saveexec_b64 s[10:11], vcc
	s_cbranch_execz .LBB576_487
; %bb.486:
	v_and_b32_e32 v16, 7, v14
	v_ffbh_u32_e32 v30, v16
	v_min_u32_e32 v33, 32, v30
	v_subrev_u32_e32 v30, 28, v33
	v_lshlrev_b64 v[30:31], v30, v[14:15]
	v_lshrrev_b32_e32 v32, 3, v24
	v_sub_u32_e32 v14, 29, v33
	v_and_b32_e32 v30, 7, v30
	v_cmp_gt_u32_e32 vcc, 8, v24
	v_mov_b32_e32 v24, 24
	v_cndmask_b32_e32 v14, v32, v14, vcc
	v_cndmask_b32_e32 v16, v16, v30, vcc
	v_lshlrev_b32_sdwa v24, v24, v17 dst_sel:DWORD dst_unused:UNUSED_PAD src0_sel:DWORD src1_sel:WORD_1
	v_bfrev_b32_e32 v30, 60
	v_lshlrev_b32_e32 v16, 20, v16
	v_and_b32_e32 v24, 0x80000000, v24
	v_lshl_add_u32 v14, v14, 23, v30
	v_or3_b32 v16, v24, v14, v16
.LBB576_487:
	s_or_b64 exec, exec, s[10:11]
.LBB576_488:
	s_or_b64 exec, exec, s[8:9]
.LBB576_489:
	s_or_b64 exec, exec, s[2:3]
	s_mov_b32 s2, 0xffffff
	v_cmp_lt_u32_e32 vcc, s2, v17
	v_mov_b32_e32 v24, 0
	v_mov_b32_e32 v30, 0
	s_and_saveexec_b64 s[2:3], vcc
	s_cbranch_execz .LBB576_495
; %bb.490:
	v_lshrrev_b32_e32 v14, 24, v17
	s_movk_i32 s7, 0x80
	v_cmp_ne_u32_e32 vcc, s7, v14
	v_bfrev_b32_e32 v30, 1
	s_and_saveexec_b64 s[8:9], vcc
	s_cbranch_execz .LBB576_494
; %bb.491:
	v_bfe_u32 v17, v17, 24, 7
	s_movk_i32 s7, 0x7f
	v_cmp_ne_u32_e32 vcc, s7, v17
	v_mov_b32_e32 v30, 0x7f800001
	s_and_saveexec_b64 s[10:11], vcc
	s_cbranch_execz .LBB576_493
; %bb.492:
	v_and_b32_e32 v32, 7, v14
	v_ffbh_u32_e32 v30, v32
	v_min_u32_e32 v34, 32, v30
	v_subrev_u32_e32 v30, 28, v34
	v_lshlrev_b64 v[30:31], v30, v[14:15]
	v_lshrrev_b32_e32 v33, 3, v17
	v_sub_u32_e32 v31, 29, v34
	v_and_b32_e32 v30, 7, v30
	v_cmp_gt_u32_e32 vcc, 8, v17
	v_cndmask_b32_e32 v17, v33, v31, vcc
	v_cndmask_b32_e32 v30, v32, v30, vcc
	v_lshlrev_b32_e32 v14, 24, v14
	v_bfrev_b32_e32 v31, 60
	v_lshlrev_b32_e32 v30, 20, v30
	v_and_b32_e32 v14, 0x80000000, v14
	v_lshl_add_u32 v17, v17, 23, v31
	v_or3_b32 v30, v14, v17, v30
.LBB576_493:
	s_or_b64 exec, exec, s[10:11]
.LBB576_494:
	s_or_b64 exec, exec, s[8:9]
.LBB576_495:
	s_or_b64 exec, exec, s[2:3]
	v_cvt_pkrtz_f16_f32 v14, v23, v25
	v_cvt_pkrtz_f16_f32 v15, v15, v27
	ds_read_b128 v[32:35], v22 offset:16
	s_waitcnt vmcnt(2)
	v_cmp_ne_u16_sdwa s[8:9], v10, v24 src0_sel:BYTE_0 src1_sel:DWORD
	s_waitcnt lgkmcnt(0)
	v_mfma_f32_16x16x16f16 v[18:21], v[14:15], v[32:33], v[18:21]
	v_cvt_pkrtz_f16_f32 v14, v26, v29
	v_cvt_pkrtz_f16_f32 v15, v16, v30
	s_nop 1
	v_mfma_f32_16x16x16f16 v[14:17], v[14:15], v[34:35], v[18:21]
	s_and_saveexec_b64 s[2:3], s[8:9]
	s_cbranch_execz .LBB576_501
; %bb.496:
	s_movk_i32 s7, 0x80
	v_cmp_ne_u16_sdwa s[10:11], v10, s7 src0_sel:BYTE_0 src1_sel:DWORD
	v_bfrev_b32_e32 v24, 1
	s_and_saveexec_b64 s[8:9], s[10:11]
	s_cbranch_execz .LBB576_500
; %bb.497:
	s_movk_i32 s7, 0x7f
	v_and_b32_e32 v18, 0x7f, v10
	v_cmp_ne_u32_e32 vcc, s7, v18
	v_mov_b32_e32 v24, 0x7f800001
	s_and_saveexec_b64 s[10:11], vcc
	s_cbranch_execz .LBB576_499
; %bb.498:
	v_and_b32_e32 v19, 7, v10
	v_ffbh_u32_e32 v20, v19
	v_min_u32_e32 v24, 32, v20
	v_subrev_u32_e32 v20, 28, v24
	v_lshlrev_b64 v[20:21], v20, v[10:11]
	v_lshrrev_b32_e32 v23, 3, v18
	v_sub_u32_e32 v21, 29, v24
	v_and_b32_e32 v20, 7, v20
	v_cmp_gt_u32_e32 vcc, 8, v18
	v_cndmask_b32_e32 v18, v23, v21, vcc
	v_cndmask_b32_e32 v19, v19, v20, vcc
	v_lshlrev_b32_e32 v20, 24, v10
	v_bfrev_b32_e32 v21, 60
	v_lshlrev_b32_e32 v19, 20, v19
	v_and_b32_e32 v20, 0x80000000, v20
	v_lshl_add_u32 v18, v18, 23, v21
	v_or3_b32 v24, v20, v18, v19
.LBB576_499:
	s_or_b64 exec, exec, s[10:11]
.LBB576_500:
	s_or_b64 exec, exec, s[8:9]
.LBB576_501:
	s_or_b64 exec, exec, s[2:3]
	s_nop 3
	v_lshrrev_b16_e32 v18, 8, v10
	v_cmp_ne_u16_e32 vcc, 0, v18
	v_mov_b32_e32 v19, 0
	v_mov_b32_e32 v20, 0
	s_and_saveexec_b64 s[2:3], vcc
	s_cbranch_execz .LBB576_507
; %bb.502:
	s_movk_i32 s7, 0x80
	v_cmp_ne_u16_e32 vcc, s7, v18
	v_bfrev_b32_e32 v20, 1
	s_and_saveexec_b64 s[8:9], vcc
	s_cbranch_execz .LBB576_506
; %bb.503:
	s_movk_i32 s7, 0x7f
	v_and_b32_e32 v21, 0x7f, v18
	v_cmp_ne_u32_e32 vcc, s7, v21
	v_mov_b32_e32 v20, 0x7f800001
	s_and_saveexec_b64 s[10:11], vcc
	s_cbranch_execz .LBB576_505
; %bb.504:
	v_and_b32_e32 v20, 7, v18
	v_ffbh_u32_e32 v25, v20
	v_min_u32_e32 v25, 32, v25
	v_subrev_u32_e32 v26, 28, v25
	v_lshlrev_b64 v[26:27], v26, v[18:19]
	v_lshrrev_b32_e32 v23, 3, v21
	v_sub_u32_e32 v18, 29, v25
	v_and_b32_e32 v25, 7, v26
	v_cmp_gt_u32_e32 vcc, 8, v21
	v_cndmask_b32_e32 v18, v23, v18, vcc
	v_cndmask_b32_e32 v20, v20, v25, vcc
	v_lshlrev_b32_e32 v21, 16, v10
	v_bfrev_b32_e32 v23, 60
	v_lshlrev_b32_e32 v20, 20, v20
	v_and_b32_e32 v21, 0x80000000, v21
	v_lshl_add_u32 v18, v18, 23, v23
	v_or3_b32 v20, v21, v18, v20
.LBB576_505:
	s_or_b64 exec, exec, s[10:11]
.LBB576_506:
	s_or_b64 exec, exec, s[8:9]
.LBB576_507:
	s_or_b64 exec, exec, s[2:3]
	s_movk_i32 s2, 0xff
	v_and_b32_sdwa v21, v10, s2 dst_sel:DWORD dst_unused:UNUSED_PAD src0_sel:WORD_1 src1_sel:DWORD
	v_lshrrev_b32_e32 v18, 16, v10
	v_cmp_ne_u16_e32 vcc, 0, v21
	s_and_saveexec_b64 s[2:3], vcc
	s_cbranch_execz .LBB576_513
; %bb.508:
	s_movk_i32 s7, 0x80
	v_cmp_ne_u16_e32 vcc, s7, v21
	v_bfrev_b32_e32 v19, 1
	s_and_saveexec_b64 s[8:9], vcc
	s_cbranch_execz .LBB576_512
; %bb.509:
	v_bfe_u32 v21, v10, 16, 7
	s_movk_i32 s7, 0x7f
	v_cmp_ne_u32_e32 vcc, s7, v21
	v_mov_b32_e32 v19, 0x7f800001
	s_and_saveexec_b64 s[10:11], vcc
	s_cbranch_execz .LBB576_511
; %bb.510:
	v_and_b32_e32 v23, 7, v18
	v_ffbh_u32_e32 v19, v23
	v_min_u32_e32 v26, 32, v19
	v_subrev_u32_e32 v19, 28, v26
	v_lshlrev_b64 v[18:19], v19, v[18:19]
	v_lshrrev_b32_e32 v25, 3, v21
	v_sub_u32_e32 v19, 29, v26
	v_and_b32_e32 v18, 7, v18
	v_cmp_gt_u32_e32 vcc, 8, v21
	v_mov_b32_e32 v21, 24
	v_cndmask_b32_e32 v19, v25, v19, vcc
	v_cndmask_b32_e32 v18, v23, v18, vcc
	v_lshlrev_b32_sdwa v21, v21, v10 dst_sel:DWORD dst_unused:UNUSED_PAD src0_sel:DWORD src1_sel:WORD_1
	v_bfrev_b32_e32 v23, 60
	v_lshlrev_b32_e32 v18, 20, v18
	v_and_b32_e32 v21, 0x80000000, v21
	v_lshl_add_u32 v19, v19, 23, v23
	v_or3_b32 v19, v21, v19, v18
.LBB576_511:
	s_or_b64 exec, exec, s[10:11]
.LBB576_512:
	s_or_b64 exec, exec, s[8:9]
.LBB576_513:
	s_or_b64 exec, exec, s[2:3]
	s_mov_b32 s2, 0xffffff
	v_cmp_lt_u32_e32 vcc, s2, v10
	v_mov_b32_e32 v21, 0
	v_mov_b32_e32 v23, 0
	s_and_saveexec_b64 s[2:3], vcc
	s_cbranch_execz .LBB576_519
; %bb.514:
	v_lshrrev_b32_e32 v18, 24, v10
	s_movk_i32 s7, 0x80
	v_cmp_ne_u32_e32 vcc, s7, v18
	v_bfrev_b32_e32 v23, 1
	s_and_saveexec_b64 s[8:9], vcc
	s_cbranch_execz .LBB576_518
; %bb.515:
	v_bfe_u32 v10, v10, 24, 7
	s_movk_i32 s7, 0x7f
	v_cmp_ne_u32_e32 vcc, s7, v10
	v_mov_b32_e32 v23, 0x7f800001
	s_and_saveexec_b64 s[10:11], vcc
	s_cbranch_execz .LBB576_517
; %bb.516:
	v_and_b32_e32 v23, 7, v18
	v_ffbh_u32_e32 v26, v23
	v_min_u32_e32 v29, 32, v26
	v_subrev_u32_e32 v26, 28, v29
	v_lshlrev_b64 v[26:27], v26, v[18:19]
	v_lshrrev_b32_e32 v25, 3, v10
	v_sub_u32_e32 v27, 29, v29
	v_and_b32_e32 v26, 7, v26
	v_cmp_gt_u32_e32 vcc, 8, v10
	v_cndmask_b32_e32 v10, v25, v27, vcc
	v_cndmask_b32_e32 v23, v23, v26, vcc
	v_lshlrev_b32_e32 v18, 24, v18
	v_bfrev_b32_e32 v25, 60
	v_lshlrev_b32_e32 v23, 20, v23
	v_and_b32_e32 v18, 0x80000000, v18
	v_lshl_add_u32 v10, v10, 23, v25
	v_or3_b32 v23, v18, v10, v23
.LBB576_517:
	s_or_b64 exec, exec, s[10:11]
.LBB576_518:
	s_or_b64 exec, exec, s[8:9]
.LBB576_519:
	s_or_b64 exec, exec, s[2:3]
	v_cmp_ne_u16_sdwa s[8:9], v11, v21 src0_sel:BYTE_0 src1_sel:DWORD
	s_and_saveexec_b64 s[2:3], s[8:9]
	s_cbranch_execz .LBB576_525
; %bb.520:
	s_movk_i32 s7, 0x80
	v_cmp_ne_u16_sdwa s[10:11], v11, s7 src0_sel:BYTE_0 src1_sel:DWORD
	v_bfrev_b32_e32 v21, 1
	s_and_saveexec_b64 s[8:9], s[10:11]
	s_cbranch_execz .LBB576_524
; %bb.521:
	s_movk_i32 s7, 0x7f
	v_and_b32_e32 v10, 0x7f, v11
	v_cmp_ne_u32_e32 vcc, s7, v10
	v_mov_b32_e32 v21, 0x7f800001
	s_and_saveexec_b64 s[10:11], vcc
	s_cbranch_execz .LBB576_523
; %bb.522:
	v_and_b32_e32 v21, 7, v11
	v_ffbh_u32_e32 v26, v21
	v_min_u32_e32 v29, 32, v26
	v_mov_b32_e32 v18, v11
	v_subrev_u32_e32 v26, 28, v29
	v_lshlrev_b64 v[26:27], v26, v[18:19]
	v_lshrrev_b32_e32 v25, 3, v10
	v_sub_u32_e32 v18, 29, v29
	v_and_b32_e32 v26, 7, v26
	v_cmp_gt_u32_e32 vcc, 8, v10
	v_cndmask_b32_e32 v10, v25, v18, vcc
	v_cndmask_b32_e32 v18, v21, v26, vcc
	v_lshlrev_b32_e32 v21, 24, v11
	v_bfrev_b32_e32 v25, 60
	v_lshlrev_b32_e32 v18, 20, v18
	v_and_b32_e32 v21, 0x80000000, v21
	v_lshl_add_u32 v10, v10, 23, v25
	v_or3_b32 v21, v21, v10, v18
.LBB576_523:
	s_or_b64 exec, exec, s[10:11]
.LBB576_524:
	s_or_b64 exec, exec, s[8:9]
.LBB576_525:
	s_or_b64 exec, exec, s[2:3]
	v_lshrrev_b16_e32 v10, 8, v11
	v_cmp_ne_u16_e32 vcc, 0, v10
	v_mov_b32_e32 v25, 0
	v_mov_b32_e32 v26, 0
	s_and_saveexec_b64 s[2:3], vcc
	s_cbranch_execz .LBB576_531
; %bb.526:
	s_movk_i32 s7, 0x80
	v_cmp_ne_u16_e32 vcc, s7, v10
	v_bfrev_b32_e32 v26, 1
	s_and_saveexec_b64 s[8:9], vcc
	s_cbranch_execz .LBB576_530
; %bb.527:
	s_movk_i32 s7, 0x7f
	v_and_b32_e32 v18, 0x7f, v10
	v_cmp_ne_u32_e32 vcc, s7, v18
	v_mov_b32_e32 v26, 0x7f800001
	s_and_saveexec_b64 s[10:11], vcc
	s_cbranch_execz .LBB576_529
; %bb.528:
	v_and_b32_e32 v29, 7, v10
	v_ffbh_u32_e32 v26, v29
	v_min_u32_e32 v31, 32, v26
	v_subrev_u32_e32 v26, 28, v31
	v_lshlrev_b64 v[26:27], v26, v[10:11]
	v_lshrrev_b32_e32 v30, 3, v18
	v_sub_u32_e32 v10, 29, v31
	v_and_b32_e32 v26, 7, v26
	v_cmp_gt_u32_e32 vcc, 8, v18
	v_cndmask_b32_e32 v10, v30, v10, vcc
	v_cndmask_b32_e32 v18, v29, v26, vcc
	v_lshlrev_b32_e32 v26, 16, v11
	v_bfrev_b32_e32 v27, 60
	v_lshlrev_b32_e32 v18, 20, v18
	v_and_b32_e32 v26, 0x80000000, v26
	v_lshl_add_u32 v10, v10, 23, v27
	v_or3_b32 v26, v26, v10, v18
.LBB576_529:
	s_or_b64 exec, exec, s[10:11]
.LBB576_530:
	s_or_b64 exec, exec, s[8:9]
.LBB576_531:
	s_or_b64 exec, exec, s[2:3]
	s_movk_i32 s2, 0xff
	v_and_b32_sdwa v18, v11, s2 dst_sel:DWORD dst_unused:UNUSED_PAD src0_sel:WORD_1 src1_sel:DWORD
	v_lshrrev_b32_e32 v10, 16, v11
	v_cmp_ne_u16_e32 vcc, 0, v18
	s_and_saveexec_b64 s[2:3], vcc
	s_cbranch_execz .LBB576_537
; %bb.532:
	s_movk_i32 s7, 0x80
	v_cmp_ne_u16_e32 vcc, s7, v18
	v_bfrev_b32_e32 v25, 1
	s_and_saveexec_b64 s[8:9], vcc
	s_cbranch_execz .LBB576_536
; %bb.533:
	v_bfe_u32 v18, v11, 16, 7
	s_movk_i32 s7, 0x7f
	v_cmp_ne_u32_e32 vcc, s7, v18
	v_mov_b32_e32 v25, 0x7f800001
	s_and_saveexec_b64 s[10:11], vcc
	s_cbranch_execz .LBB576_535
; %bb.534:
	v_and_b32_e32 v25, 7, v10
	v_ffbh_u32_e32 v29, v25
	v_min_u32_e32 v29, 32, v29
	v_subrev_u32_e32 v30, 28, v29
	v_lshlrev_b64 v[30:31], v30, v[10:11]
	v_sub_u32_e32 v10, 29, v29
	v_and_b32_e32 v29, 7, v30
	v_cmp_gt_u32_e32 vcc, 8, v18
	v_lshrrev_b32_e32 v27, 3, v18
	v_cndmask_b32_e32 v18, v25, v29, vcc
	v_mov_b32_e32 v25, 24
	v_cndmask_b32_e32 v10, v27, v10, vcc
	v_lshlrev_b32_sdwa v25, v25, v11 dst_sel:DWORD dst_unused:UNUSED_PAD src0_sel:DWORD src1_sel:WORD_1
	v_bfrev_b32_e32 v27, 60
	v_lshlrev_b32_e32 v18, 20, v18
	v_and_b32_e32 v25, 0x80000000, v25
	v_lshl_add_u32 v10, v10, 23, v27
	v_or3_b32 v25, v25, v10, v18
.LBB576_535:
	s_or_b64 exec, exec, s[10:11]
.LBB576_536:
	s_or_b64 exec, exec, s[8:9]
.LBB576_537:
	s_or_b64 exec, exec, s[2:3]
	s_mov_b32 s2, 0xffffff
	v_cmp_lt_u32_e32 vcc, s2, v11
	v_mov_b32_e32 v18, 0
	v_mov_b32_e32 v27, 0
	s_and_saveexec_b64 s[2:3], vcc
	s_cbranch_execz .LBB576_543
; %bb.538:
	v_lshrrev_b32_e32 v10, 24, v11
	s_movk_i32 s7, 0x80
	v_cmp_ne_u32_e32 vcc, s7, v10
	v_bfrev_b32_e32 v27, 1
	s_and_saveexec_b64 s[8:9], vcc
	s_cbranch_execz .LBB576_542
; %bb.539:
	v_bfe_u32 v11, v11, 24, 7
	s_movk_i32 s7, 0x7f
	v_cmp_ne_u32_e32 vcc, s7, v11
	v_mov_b32_e32 v27, 0x7f800001
	s_and_saveexec_b64 s[10:11], vcc
	s_cbranch_execz .LBB576_541
; %bb.540:
	v_and_b32_e32 v27, 7, v10
	v_ffbh_u32_e32 v30, v27
	v_min_u32_e32 v32, 32, v30
	v_subrev_u32_e32 v30, 28, v32
	v_lshlrev_b64 v[30:31], v30, v[10:11]
	v_lshrrev_b32_e32 v29, 3, v11
	v_sub_u32_e32 v31, 29, v32
	v_and_b32_e32 v30, 7, v30
	v_cmp_gt_u32_e32 vcc, 8, v11
	v_cndmask_b32_e32 v11, v29, v31, vcc
	v_cndmask_b32_e32 v27, v27, v30, vcc
	v_lshlrev_b32_e32 v10, 24, v10
	v_bfrev_b32_e32 v29, 60
	v_lshlrev_b32_e32 v27, 20, v27
	v_and_b32_e32 v10, 0x80000000, v10
	v_lshl_add_u32 v11, v11, 23, v29
	v_or3_b32 v27, v10, v11, v27
.LBB576_541:
	s_or_b64 exec, exec, s[10:11]
.LBB576_542:
	s_or_b64 exec, exec, s[8:9]
.LBB576_543:
	s_or_b64 exec, exec, s[2:3]
	v_cvt_pkrtz_f16_f32 v10, v24, v20
	v_cvt_pkrtz_f16_f32 v11, v19, v23
	ds_read_b128 v[30:33], v22 offset:2048
	v_cmp_ne_u16_sdwa s[8:9], v12, v18 src0_sel:BYTE_0 src1_sel:DWORD
	s_waitcnt lgkmcnt(0)
	v_mfma_f32_16x16x16f16 v[14:17], v[10:11], v[30:31], v[14:17]
	v_cvt_pkrtz_f16_f32 v10, v21, v26
	v_cvt_pkrtz_f16_f32 v11, v25, v27
	s_nop 1
	v_mfma_f32_16x16x16f16 v[14:17], v[10:11], v[32:33], v[14:17]
	s_and_saveexec_b64 s[2:3], s[8:9]
	s_cbranch_execz .LBB576_549
; %bb.544:
	s_movk_i32 s7, 0x80
	v_cmp_ne_u16_sdwa s[10:11], v12, s7 src0_sel:BYTE_0 src1_sel:DWORD
	v_bfrev_b32_e32 v18, 1
	s_and_saveexec_b64 s[8:9], s[10:11]
	s_cbranch_execz .LBB576_548
; %bb.545:
	s_movk_i32 s7, 0x7f
	v_and_b32_e32 v10, 0x7f, v12
	v_cmp_ne_u32_e32 vcc, s7, v10
	v_mov_b32_e32 v18, 0x7f800001
	s_and_saveexec_b64 s[10:11], vcc
	s_cbranch_execz .LBB576_547
; %bb.546:
	v_and_b32_e32 v11, 7, v12
	v_ffbh_u32_e32 v18, v11
	v_min_u32_e32 v21, 32, v18
	v_subrev_u32_e32 v18, 28, v21
	v_lshlrev_b64 v[18:19], v18, v[12:13]
	v_lshrrev_b32_e32 v20, 3, v10
	v_sub_u32_e32 v19, 29, v21
	v_and_b32_e32 v18, 7, v18
	v_cmp_gt_u32_e32 vcc, 8, v10
	v_cndmask_b32_e32 v10, v20, v19, vcc
	v_cndmask_b32_e32 v11, v11, v18, vcc
	v_lshlrev_b32_e32 v18, 24, v12
	v_bfrev_b32_e32 v19, 60
	v_lshlrev_b32_e32 v11, 20, v11
	v_and_b32_e32 v18, 0x80000000, v18
	v_lshl_add_u32 v10, v10, 23, v19
	v_or3_b32 v18, v18, v10, v11
.LBB576_547:
	s_or_b64 exec, exec, s[10:11]
.LBB576_548:
	s_or_b64 exec, exec, s[8:9]
.LBB576_549:
	s_or_b64 exec, exec, s[2:3]
	v_lshrrev_b16_e32 v10, 8, v12
	v_cmp_ne_u16_e32 vcc, 0, v10
	v_mov_b32_e32 v11, 0
	v_mov_b32_e32 v20, 0
	s_and_saveexec_b64 s[2:3], vcc
	s_cbranch_execz .LBB576_555
; %bb.550:
	s_movk_i32 s7, 0x80
	v_cmp_ne_u16_e32 vcc, s7, v10
	v_bfrev_b32_e32 v20, 1
	s_and_saveexec_b64 s[8:9], vcc
	s_cbranch_execz .LBB576_554
; %bb.551:
	s_movk_i32 s7, 0x7f
	v_and_b32_e32 v19, 0x7f, v10
	v_cmp_ne_u32_e32 vcc, s7, v19
	v_mov_b32_e32 v20, 0x7f800001
	s_and_saveexec_b64 s[10:11], vcc
	s_cbranch_execz .LBB576_553
; %bb.552:
	v_and_b32_e32 v23, 7, v10
	v_ffbh_u32_e32 v20, v23
	v_min_u32_e32 v25, 32, v20
	v_subrev_u32_e32 v20, 28, v25
	v_lshlrev_b64 v[20:21], v20, v[10:11]
	v_lshrrev_b32_e32 v24, 3, v19
	v_sub_u32_e32 v10, 29, v25
	v_and_b32_e32 v20, 7, v20
	v_cmp_gt_u32_e32 vcc, 8, v19
	v_cndmask_b32_e32 v10, v24, v10, vcc
	v_cndmask_b32_e32 v19, v23, v20, vcc
	v_lshlrev_b32_e32 v20, 16, v12
	v_bfrev_b32_e32 v21, 60
	v_lshlrev_b32_e32 v19, 20, v19
	v_and_b32_e32 v20, 0x80000000, v20
	v_lshl_add_u32 v10, v10, 23, v21
	v_or3_b32 v20, v20, v10, v19
.LBB576_553:
	s_or_b64 exec, exec, s[10:11]
.LBB576_554:
	s_or_b64 exec, exec, s[8:9]
.LBB576_555:
	s_or_b64 exec, exec, s[2:3]
	s_movk_i32 s2, 0xff
	v_and_b32_sdwa v19, v12, s2 dst_sel:DWORD dst_unused:UNUSED_PAD src0_sel:WORD_1 src1_sel:DWORD
	v_lshrrev_b32_e32 v10, 16, v12
	v_cmp_ne_u16_e32 vcc, 0, v19
	s_and_saveexec_b64 s[2:3], vcc
	s_cbranch_execz .LBB576_561
; %bb.556:
	s_movk_i32 s7, 0x80
	v_cmp_ne_u16_e32 vcc, s7, v19
	v_bfrev_b32_e32 v11, 1
	s_and_saveexec_b64 s[8:9], vcc
	s_cbranch_execz .LBB576_560
; %bb.557:
	v_bfe_u32 v19, v12, 16, 7
	s_movk_i32 s7, 0x7f
	v_cmp_ne_u32_e32 vcc, s7, v19
	v_mov_b32_e32 v11, 0x7f800001
	s_and_saveexec_b64 s[10:11], vcc
	s_cbranch_execz .LBB576_559
; %bb.558:
	v_and_b32_e32 v21, 7, v10
	v_ffbh_u32_e32 v11, v21
	v_min_u32_e32 v24, 32, v11
	v_subrev_u32_e32 v11, 28, v24
	v_lshlrev_b64 v[10:11], v11, v[10:11]
	v_lshrrev_b32_e32 v23, 3, v19
	v_sub_u32_e32 v11, 29, v24
	v_and_b32_e32 v10, 7, v10
	v_cmp_gt_u32_e32 vcc, 8, v19
	v_mov_b32_e32 v19, 24
	v_cndmask_b32_e32 v11, v23, v11, vcc
	v_cndmask_b32_e32 v10, v21, v10, vcc
	v_lshlrev_b32_sdwa v19, v19, v12 dst_sel:DWORD dst_unused:UNUSED_PAD src0_sel:DWORD src1_sel:WORD_1
	v_bfrev_b32_e32 v21, 60
	v_lshlrev_b32_e32 v10, 20, v10
	v_and_b32_e32 v19, 0x80000000, v19
	v_lshl_add_u32 v11, v11, 23, v21
	v_or3_b32 v11, v19, v11, v10
.LBB576_559:
	s_or_b64 exec, exec, s[10:11]
.LBB576_560:
	s_or_b64 exec, exec, s[8:9]
.LBB576_561:
	s_or_b64 exec, exec, s[2:3]
	s_mov_b32 s2, 0xffffff
	v_cmp_lt_u32_e32 vcc, s2, v12
	v_mov_b32_e32 v21, 0
	v_mov_b32_e32 v23, 0
	s_and_saveexec_b64 s[2:3], vcc
	s_cbranch_execz .LBB576_567
; %bb.562:
	v_lshrrev_b32_e32 v10, 24, v12
	s_movk_i32 s7, 0x80
	v_cmp_ne_u32_e32 vcc, s7, v10
	v_bfrev_b32_e32 v23, 1
	s_and_saveexec_b64 s[8:9], vcc
	s_cbranch_execz .LBB576_566
; %bb.563:
	v_bfe_u32 v12, v12, 24, 7
	s_movk_i32 s7, 0x7f
	v_cmp_ne_u32_e32 vcc, s7, v12
	v_mov_b32_e32 v23, 0x7f800001
	s_and_saveexec_b64 s[10:11], vcc
	s_cbranch_execz .LBB576_565
; %bb.564:
	v_and_b32_e32 v19, 7, v10
	v_ffbh_u32_e32 v24, v19
	v_min_u32_e32 v26, 32, v24
	v_subrev_u32_e32 v24, 28, v26
	v_lshlrev_b64 v[24:25], v24, v[10:11]
	v_lshrrev_b32_e32 v23, 3, v12
	v_sub_u32_e32 v25, 29, v26
	v_and_b32_e32 v24, 7, v24
	v_cmp_gt_u32_e32 vcc, 8, v12
	v_cndmask_b32_e32 v12, v23, v25, vcc
	v_cndmask_b32_e32 v19, v19, v24, vcc
	v_lshlrev_b32_e32 v10, 24, v10
	v_bfrev_b32_e32 v23, 60
	v_lshlrev_b32_e32 v19, 20, v19
	v_and_b32_e32 v10, 0x80000000, v10
	v_lshl_add_u32 v12, v12, 23, v23
	v_or3_b32 v23, v10, v12, v19
.LBB576_565:
	s_or_b64 exec, exec, s[10:11]
.LBB576_566:
	s_or_b64 exec, exec, s[8:9]
.LBB576_567:
	s_or_b64 exec, exec, s[2:3]
	v_cmp_ne_u16_sdwa s[8:9], v13, v21 src0_sel:BYTE_0 src1_sel:DWORD
	s_and_saveexec_b64 s[2:3], s[8:9]
	s_cbranch_execz .LBB576_573
; %bb.568:
	s_movk_i32 s7, 0x80
	v_cmp_ne_u16_sdwa s[10:11], v13, s7 src0_sel:BYTE_0 src1_sel:DWORD
	v_bfrev_b32_e32 v21, 1
	s_and_saveexec_b64 s[8:9], s[10:11]
	s_cbranch_execz .LBB576_572
; %bb.569:
	s_movk_i32 s7, 0x7f
	v_and_b32_e32 v10, 0x7f, v13
	v_cmp_ne_u32_e32 vcc, s7, v10
	v_mov_b32_e32 v21, 0x7f800001
	s_and_saveexec_b64 s[10:11], vcc
	s_cbranch_execz .LBB576_571
; %bb.570:
	v_and_b32_e32 v19, 7, v13
	v_ffbh_u32_e32 v24, v19
	v_min_u32_e32 v26, 32, v24
	v_mov_b32_e32 v12, v13
	v_subrev_u32_e32 v24, 28, v26
	v_lshlrev_b64 v[24:25], v24, v[12:13]
	v_lshrrev_b32_e32 v21, 3, v10
	v_sub_u32_e32 v12, 29, v26
	v_and_b32_e32 v24, 7, v24
	v_cmp_gt_u32_e32 vcc, 8, v10
	v_cndmask_b32_e32 v10, v21, v12, vcc
	v_cndmask_b32_e32 v12, v19, v24, vcc
	v_lshlrev_b32_e32 v19, 24, v13
	v_bfrev_b32_e32 v21, 60
	v_lshlrev_b32_e32 v12, 20, v12
	v_and_b32_e32 v19, 0x80000000, v19
	v_lshl_add_u32 v10, v10, 23, v21
	v_or3_b32 v21, v19, v10, v12
.LBB576_571:
	s_or_b64 exec, exec, s[10:11]
.LBB576_572:
	s_or_b64 exec, exec, s[8:9]
.LBB576_573:
	s_or_b64 exec, exec, s[2:3]
	v_lshrrev_b16_e32 v10, 8, v13
	v_cmp_ne_u16_e32 vcc, 0, v10
	v_mov_b32_e32 v12, 0
	v_mov_b32_e32 v24, 0
	s_and_saveexec_b64 s[2:3], vcc
	s_cbranch_execz .LBB576_579
; %bb.574:
	s_movk_i32 s7, 0x80
	v_cmp_ne_u16_e32 vcc, s7, v10
	v_bfrev_b32_e32 v24, 1
	s_and_saveexec_b64 s[8:9], vcc
	s_cbranch_execz .LBB576_578
; %bb.575:
	s_movk_i32 s7, 0x7f
	v_and_b32_e32 v19, 0x7f, v10
	v_cmp_ne_u32_e32 vcc, s7, v19
	v_mov_b32_e32 v24, 0x7f800001
	s_and_saveexec_b64 s[10:11], vcc
	s_cbranch_execz .LBB576_577
; %bb.576:
	v_and_b32_e32 v26, 7, v10
	v_ffbh_u32_e32 v24, v26
	v_min_u32_e32 v29, 32, v24
	v_subrev_u32_e32 v24, 28, v29
	v_lshlrev_b64 v[24:25], v24, v[10:11]
	v_lshrrev_b32_e32 v27, 3, v19
	v_sub_u32_e32 v10, 29, v29
	v_and_b32_e32 v24, 7, v24
	v_cmp_gt_u32_e32 vcc, 8, v19
	v_cndmask_b32_e32 v10, v27, v10, vcc
	v_cndmask_b32_e32 v19, v26, v24, vcc
	v_lshlrev_b32_e32 v24, 16, v13
	v_bfrev_b32_e32 v25, 60
	v_lshlrev_b32_e32 v19, 20, v19
	v_and_b32_e32 v24, 0x80000000, v24
	v_lshl_add_u32 v10, v10, 23, v25
	v_or3_b32 v24, v24, v10, v19
.LBB576_577:
	s_or_b64 exec, exec, s[10:11]
.LBB576_578:
	s_or_b64 exec, exec, s[8:9]
.LBB576_579:
	s_or_b64 exec, exec, s[2:3]
	s_movk_i32 s2, 0xff
	v_and_b32_sdwa v19, v13, s2 dst_sel:DWORD dst_unused:UNUSED_PAD src0_sel:WORD_1 src1_sel:DWORD
	v_lshrrev_b32_e32 v10, 16, v13
	v_cmp_ne_u16_e32 vcc, 0, v19
	s_and_saveexec_b64 s[2:3], vcc
	s_cbranch_execz .LBB576_585
; %bb.580:
	s_movk_i32 s7, 0x80
	v_cmp_ne_u16_e32 vcc, s7, v19
	v_bfrev_b32_e32 v12, 1
	s_and_saveexec_b64 s[8:9], vcc
	s_cbranch_execz .LBB576_584
; %bb.581:
	v_bfe_u32 v19, v13, 16, 7
	s_movk_i32 s7, 0x7f
	v_cmp_ne_u32_e32 vcc, s7, v19
	v_mov_b32_e32 v12, 0x7f800001
	s_and_saveexec_b64 s[10:11], vcc
	s_cbranch_execz .LBB576_583
; %bb.582:
	v_and_b32_e32 v12, 7, v10
	v_ffbh_u32_e32 v26, v12
	v_min_u32_e32 v29, 32, v26
	v_subrev_u32_e32 v26, 28, v29
	v_lshlrev_b64 v[26:27], v26, v[10:11]
	v_lshrrev_b32_e32 v25, 3, v19
	v_sub_u32_e32 v10, 29, v29
	v_and_b32_e32 v26, 7, v26
	v_cmp_gt_u32_e32 vcc, 8, v19
	v_mov_b32_e32 v19, 24
	v_cndmask_b32_e32 v10, v25, v10, vcc
	v_cndmask_b32_e32 v12, v12, v26, vcc
	v_lshlrev_b32_sdwa v19, v19, v13 dst_sel:DWORD dst_unused:UNUSED_PAD src0_sel:DWORD src1_sel:WORD_1
	v_bfrev_b32_e32 v25, 60
	v_lshlrev_b32_e32 v12, 20, v12
	v_and_b32_e32 v19, 0x80000000, v19
	v_lshl_add_u32 v10, v10, 23, v25
	v_or3_b32 v12, v19, v10, v12
.LBB576_583:
	s_or_b64 exec, exec, s[10:11]
.LBB576_584:
	s_or_b64 exec, exec, s[8:9]
.LBB576_585:
	s_or_b64 exec, exec, s[2:3]
	s_mov_b32 s2, 0xffffff
	v_cmp_lt_u32_e32 vcc, s2, v13
	v_mov_b32_e32 v19, 0
	v_mov_b32_e32 v25, 0
	s_and_saveexec_b64 s[2:3], vcc
	s_cbranch_execz .LBB576_591
; %bb.586:
	v_lshrrev_b32_e32 v10, 24, v13
	s_movk_i32 s7, 0x80
	v_cmp_ne_u32_e32 vcc, s7, v10
	v_bfrev_b32_e32 v25, 1
	s_and_saveexec_b64 s[8:9], vcc
	s_cbranch_execz .LBB576_590
; %bb.587:
	v_bfe_u32 v13, v13, 24, 7
	s_movk_i32 s7, 0x7f
	v_cmp_ne_u32_e32 vcc, s7, v13
	v_mov_b32_e32 v25, 0x7f800001
	s_and_saveexec_b64 s[10:11], vcc
	s_cbranch_execz .LBB576_589
; %bb.588:
	v_and_b32_e32 v25, 7, v10
	v_ffbh_u32_e32 v26, v25
	v_min_u32_e32 v30, 32, v26
	v_subrev_u32_e32 v26, 28, v30
	v_lshlrev_b64 v[26:27], v26, v[10:11]
	v_lshrrev_b32_e32 v29, 3, v13
	v_sub_u32_e32 v27, 29, v30
	v_and_b32_e32 v26, 7, v26
	v_cmp_gt_u32_e32 vcc, 8, v13
	v_cndmask_b32_e32 v13, v29, v27, vcc
	v_cndmask_b32_e32 v25, v25, v26, vcc
	v_lshlrev_b32_e32 v10, 24, v10
	v_bfrev_b32_e32 v26, 60
	v_lshlrev_b32_e32 v25, 20, v25
	v_and_b32_e32 v10, 0x80000000, v10
	v_lshl_add_u32 v13, v13, 23, v26
	v_or3_b32 v25, v10, v13, v25
.LBB576_589:
	s_or_b64 exec, exec, s[10:11]
.LBB576_590:
	s_or_b64 exec, exec, s[8:9]
.LBB576_591:
	s_or_b64 exec, exec, s[2:3]
	v_cvt_pkrtz_f16_f32 v10, v18, v20
	v_cvt_pkrtz_f16_f32 v11, v11, v23
	ds_read_b128 v[30:33], v22 offset:2064
	s_waitcnt vmcnt(1)
	v_cmp_ne_u16_sdwa s[8:9], v6, v19 src0_sel:BYTE_0 src1_sel:DWORD
	s_waitcnt lgkmcnt(0)
	v_mfma_f32_16x16x16f16 v[14:17], v[10:11], v[30:31], v[14:17]
	v_cvt_pkrtz_f16_f32 v10, v21, v24
	v_cvt_pkrtz_f16_f32 v11, v12, v25
	s_nop 1
	v_mfma_f32_16x16x16f16 v[10:13], v[10:11], v[32:33], v[14:17]
	s_and_saveexec_b64 s[2:3], s[8:9]
	s_cbranch_execz .LBB576_597
; %bb.592:
	s_movk_i32 s7, 0x80
	v_cmp_ne_u16_sdwa s[10:11], v6, s7 src0_sel:BYTE_0 src1_sel:DWORD
	v_bfrev_b32_e32 v19, 1
	s_and_saveexec_b64 s[8:9], s[10:11]
	s_cbranch_execz .LBB576_596
; %bb.593:
	s_movk_i32 s7, 0x7f
	v_and_b32_e32 v14, 0x7f, v6
	v_cmp_ne_u32_e32 vcc, s7, v14
	v_mov_b32_e32 v19, 0x7f800001
	s_and_saveexec_b64 s[10:11], vcc
	s_cbranch_execz .LBB576_595
; %bb.594:
	v_and_b32_e32 v15, 7, v6
	v_ffbh_u32_e32 v16, v15
	v_min_u32_e32 v19, 32, v16
	v_subrev_u32_e32 v16, 28, v19
	v_lshlrev_b64 v[16:17], v16, v[6:7]
	v_lshrrev_b32_e32 v18, 3, v14
	v_sub_u32_e32 v17, 29, v19
	v_and_b32_e32 v16, 7, v16
	v_cmp_gt_u32_e32 vcc, 8, v14
	v_cndmask_b32_e32 v14, v18, v17, vcc
	v_cndmask_b32_e32 v15, v15, v16, vcc
	v_lshlrev_b32_e32 v16, 24, v6
	v_bfrev_b32_e32 v17, 60
	v_lshlrev_b32_e32 v15, 20, v15
	v_and_b32_e32 v16, 0x80000000, v16
	v_lshl_add_u32 v14, v14, 23, v17
	v_or3_b32 v19, v16, v14, v15
.LBB576_595:
	s_or_b64 exec, exec, s[10:11]
.LBB576_596:
	s_or_b64 exec, exec, s[8:9]
.LBB576_597:
	s_or_b64 exec, exec, s[2:3]
	s_nop 3
	v_lshrrev_b16_e32 v14, 8, v6
	v_cmp_ne_u16_e32 vcc, 0, v14
	v_mov_b32_e32 v15, 0
	v_mov_b32_e32 v16, 0
	s_and_saveexec_b64 s[2:3], vcc
	s_cbranch_execz .LBB576_603
; %bb.598:
	s_movk_i32 s7, 0x80
	v_cmp_ne_u16_e32 vcc, s7, v14
	v_bfrev_b32_e32 v16, 1
	s_and_saveexec_b64 s[8:9], vcc
	s_cbranch_execz .LBB576_602
; %bb.599:
	s_movk_i32 s7, 0x7f
	v_and_b32_e32 v17, 0x7f, v14
	v_cmp_ne_u32_e32 vcc, s7, v17
	v_mov_b32_e32 v16, 0x7f800001
	s_and_saveexec_b64 s[10:11], vcc
	s_cbranch_execz .LBB576_601
; %bb.600:
	v_and_b32_e32 v16, 7, v14
	v_ffbh_u32_e32 v20, v16
	v_min_u32_e32 v23, 32, v20
	v_subrev_u32_e32 v20, 28, v23
	v_lshlrev_b64 v[20:21], v20, v[14:15]
	v_lshrrev_b32_e32 v18, 3, v17
	v_sub_u32_e32 v14, 29, v23
	v_and_b32_e32 v20, 7, v20
	v_cmp_gt_u32_e32 vcc, 8, v17
	v_cndmask_b32_e32 v14, v18, v14, vcc
	v_cndmask_b32_e32 v16, v16, v20, vcc
	v_lshlrev_b32_e32 v17, 16, v6
	v_bfrev_b32_e32 v18, 60
	v_lshlrev_b32_e32 v16, 20, v16
	v_and_b32_e32 v17, 0x80000000, v17
	v_lshl_add_u32 v14, v14, 23, v18
	v_or3_b32 v16, v17, v14, v16
.LBB576_601:
	s_or_b64 exec, exec, s[10:11]
.LBB576_602:
	s_or_b64 exec, exec, s[8:9]
.LBB576_603:
	s_or_b64 exec, exec, s[2:3]
	s_movk_i32 s2, 0xff
	v_and_b32_sdwa v17, v6, s2 dst_sel:DWORD dst_unused:UNUSED_PAD src0_sel:WORD_1 src1_sel:DWORD
	v_lshrrev_b32_e32 v14, 16, v6
	v_cmp_ne_u16_e32 vcc, 0, v17
	s_and_saveexec_b64 s[2:3], vcc
	s_cbranch_execz .LBB576_609
; %bb.604:
	s_movk_i32 s7, 0x80
	v_cmp_ne_u16_e32 vcc, s7, v17
	v_bfrev_b32_e32 v15, 1
	s_and_saveexec_b64 s[8:9], vcc
	s_cbranch_execz .LBB576_608
; %bb.605:
	v_bfe_u32 v17, v6, 16, 7
	s_movk_i32 s7, 0x7f
	v_cmp_ne_u32_e32 vcc, s7, v17
	v_mov_b32_e32 v15, 0x7f800001
	s_and_saveexec_b64 s[10:11], vcc
	s_cbranch_execz .LBB576_607
; %bb.606:
	v_and_b32_e32 v18, 7, v14
	v_ffbh_u32_e32 v15, v18
	v_min_u32_e32 v21, 32, v15
	v_subrev_u32_e32 v15, 28, v21
	v_lshlrev_b64 v[14:15], v15, v[14:15]
	v_lshrrev_b32_e32 v20, 3, v17
	v_sub_u32_e32 v15, 29, v21
	v_and_b32_e32 v14, 7, v14
	v_cmp_gt_u32_e32 vcc, 8, v17
	v_mov_b32_e32 v17, 24
	v_cndmask_b32_e32 v15, v20, v15, vcc
	v_cndmask_b32_e32 v14, v18, v14, vcc
	v_lshlrev_b32_sdwa v17, v17, v6 dst_sel:DWORD dst_unused:UNUSED_PAD src0_sel:DWORD src1_sel:WORD_1
	v_bfrev_b32_e32 v18, 60
	v_lshlrev_b32_e32 v14, 20, v14
	v_and_b32_e32 v17, 0x80000000, v17
	v_lshl_add_u32 v15, v15, 23, v18
	v_or3_b32 v15, v17, v15, v14
.LBB576_607:
	s_or_b64 exec, exec, s[10:11]
.LBB576_608:
	s_or_b64 exec, exec, s[8:9]
.LBB576_609:
	s_or_b64 exec, exec, s[2:3]
	s_mov_b32 s2, 0xffffff
	v_cmp_lt_u32_e32 vcc, s2, v6
	v_mov_b32_e32 v17, 0
	v_mov_b32_e32 v18, 0
	s_and_saveexec_b64 s[2:3], vcc
	s_cbranch_execz .LBB576_615
; %bb.610:
	v_lshrrev_b32_e32 v14, 24, v6
	s_movk_i32 s7, 0x80
	v_cmp_ne_u32_e32 vcc, s7, v14
	v_bfrev_b32_e32 v18, 1
	s_and_saveexec_b64 s[8:9], vcc
	s_cbranch_execz .LBB576_614
; %bb.611:
	v_bfe_u32 v6, v6, 24, 7
	s_movk_i32 s7, 0x7f
	v_cmp_ne_u32_e32 vcc, s7, v6
	v_mov_b32_e32 v18, 0x7f800001
	s_and_saveexec_b64 s[10:11], vcc
	s_cbranch_execz .LBB576_613
; %bb.612:
	v_and_b32_e32 v18, 7, v14
	v_ffbh_u32_e32 v20, v18
	v_min_u32_e32 v24, 32, v20
	v_subrev_u32_e32 v20, 28, v24
	v_lshlrev_b64 v[20:21], v20, v[14:15]
	v_lshrrev_b32_e32 v23, 3, v6
	v_sub_u32_e32 v21, 29, v24
	v_and_b32_e32 v20, 7, v20
	v_cmp_gt_u32_e32 vcc, 8, v6
	v_cndmask_b32_e32 v6, v23, v21, vcc
	v_cndmask_b32_e32 v18, v18, v20, vcc
	v_lshlrev_b32_e32 v14, 24, v14
	v_bfrev_b32_e32 v20, 60
	v_lshlrev_b32_e32 v18, 20, v18
	v_and_b32_e32 v14, 0x80000000, v14
	v_lshl_add_u32 v6, v6, 23, v20
	v_or3_b32 v18, v14, v6, v18
.LBB576_613:
	s_or_b64 exec, exec, s[10:11]
.LBB576_614:
	s_or_b64 exec, exec, s[8:9]
.LBB576_615:
	s_or_b64 exec, exec, s[2:3]
	v_cmp_ne_u16_sdwa s[8:9], v7, v17 src0_sel:BYTE_0 src1_sel:DWORD
	s_and_saveexec_b64 s[2:3], s[8:9]
	s_cbranch_execz .LBB576_621
; %bb.616:
	s_movk_i32 s7, 0x80
	v_cmp_ne_u16_sdwa s[10:11], v7, s7 src0_sel:BYTE_0 src1_sel:DWORD
	v_bfrev_b32_e32 v17, 1
	s_and_saveexec_b64 s[8:9], s[10:11]
	s_cbranch_execz .LBB576_620
; %bb.617:
	s_movk_i32 s7, 0x7f
	v_and_b32_e32 v6, 0x7f, v7
	v_cmp_ne_u32_e32 vcc, s7, v6
	v_mov_b32_e32 v17, 0x7f800001
	s_and_saveexec_b64 s[10:11], vcc
	s_cbranch_execz .LBB576_619
; %bb.618:
	v_and_b32_e32 v17, 7, v7
	v_ffbh_u32_e32 v20, v17
	v_min_u32_e32 v24, 32, v20
	v_mov_b32_e32 v14, v7
	v_subrev_u32_e32 v20, 28, v24
	v_lshlrev_b64 v[20:21], v20, v[14:15]
	v_lshrrev_b32_e32 v23, 3, v6
	v_sub_u32_e32 v14, 29, v24
	v_and_b32_e32 v20, 7, v20
	v_cmp_gt_u32_e32 vcc, 8, v6
	v_cndmask_b32_e32 v6, v23, v14, vcc
	v_cndmask_b32_e32 v14, v17, v20, vcc
	v_lshlrev_b32_e32 v17, 24, v7
	v_bfrev_b32_e32 v20, 60
	v_lshlrev_b32_e32 v14, 20, v14
	v_and_b32_e32 v17, 0x80000000, v17
	v_lshl_add_u32 v6, v6, 23, v20
	v_or3_b32 v17, v17, v6, v14
.LBB576_619:
	s_or_b64 exec, exec, s[10:11]
.LBB576_620:
	s_or_b64 exec, exec, s[8:9]
.LBB576_621:
	s_or_b64 exec, exec, s[2:3]
	v_lshrrev_b16_e32 v6, 8, v7
	v_cmp_ne_u16_e32 vcc, 0, v6
	v_mov_b32_e32 v20, 0
	v_mov_b32_e32 v21, 0
	s_and_saveexec_b64 s[2:3], vcc
	s_cbranch_execz .LBB576_627
; %bb.622:
	s_movk_i32 s7, 0x80
	v_cmp_ne_u16_e32 vcc, s7, v6
	v_bfrev_b32_e32 v21, 1
	s_and_saveexec_b64 s[8:9], vcc
	s_cbranch_execz .LBB576_626
; %bb.623:
	s_movk_i32 s7, 0x7f
	v_and_b32_e32 v14, 0x7f, v6
	v_cmp_ne_u32_e32 vcc, s7, v14
	v_mov_b32_e32 v21, 0x7f800001
	s_and_saveexec_b64 s[10:11], vcc
	s_cbranch_execz .LBB576_625
; %bb.624:
	v_and_b32_e32 v21, 7, v6
	v_ffbh_u32_e32 v24, v21
	v_min_u32_e32 v26, 32, v24
	v_subrev_u32_e32 v24, 28, v26
	v_lshlrev_b64 v[24:25], v24, v[6:7]
	v_lshrrev_b32_e32 v23, 3, v14
	v_sub_u32_e32 v6, 29, v26
	v_and_b32_e32 v24, 7, v24
	v_cmp_gt_u32_e32 vcc, 8, v14
	v_cndmask_b32_e32 v6, v23, v6, vcc
	v_cndmask_b32_e32 v14, v21, v24, vcc
	v_lshlrev_b32_e32 v21, 16, v7
	v_bfrev_b32_e32 v23, 60
	v_lshlrev_b32_e32 v14, 20, v14
	v_and_b32_e32 v21, 0x80000000, v21
	v_lshl_add_u32 v6, v6, 23, v23
	v_or3_b32 v21, v21, v6, v14
.LBB576_625:
	s_or_b64 exec, exec, s[10:11]
.LBB576_626:
	s_or_b64 exec, exec, s[8:9]
.LBB576_627:
	s_or_b64 exec, exec, s[2:3]
	s_movk_i32 s2, 0xff
	v_and_b32_sdwa v14, v7, s2 dst_sel:DWORD dst_unused:UNUSED_PAD src0_sel:WORD_1 src1_sel:DWORD
	v_lshrrev_b32_e32 v6, 16, v7
	v_cmp_ne_u16_e32 vcc, 0, v14
	s_and_saveexec_b64 s[2:3], vcc
	s_cbranch_execz .LBB576_633
; %bb.628:
	s_movk_i32 s7, 0x80
	v_cmp_ne_u16_e32 vcc, s7, v14
	v_bfrev_b32_e32 v20, 1
	s_and_saveexec_b64 s[8:9], vcc
	s_cbranch_execz .LBB576_632
; %bb.629:
	v_bfe_u32 v14, v7, 16, 7
	s_movk_i32 s7, 0x7f
	v_cmp_ne_u32_e32 vcc, s7, v14
	v_mov_b32_e32 v20, 0x7f800001
	s_and_saveexec_b64 s[10:11], vcc
	s_cbranch_execz .LBB576_631
; %bb.630:
	v_and_b32_e32 v20, 7, v6
	v_ffbh_u32_e32 v24, v20
	v_min_u32_e32 v26, 32, v24
	v_subrev_u32_e32 v24, 28, v26
	v_lshlrev_b64 v[24:25], v24, v[6:7]
	v_and_b32_e32 v24, 7, v24
	v_cmp_gt_u32_e32 vcc, 8, v14
	v_lshrrev_b32_e32 v23, 3, v14
	v_sub_u32_e32 v6, 29, v26
	v_cndmask_b32_e32 v14, v20, v24, vcc
	v_mov_b32_e32 v20, 24
	v_cndmask_b32_e32 v6, v23, v6, vcc
	v_lshlrev_b32_sdwa v20, v20, v7 dst_sel:DWORD dst_unused:UNUSED_PAD src0_sel:DWORD src1_sel:WORD_1
	v_bfrev_b32_e32 v23, 60
	v_lshlrev_b32_e32 v14, 20, v14
	v_and_b32_e32 v20, 0x80000000, v20
	v_lshl_add_u32 v6, v6, 23, v23
	v_or3_b32 v20, v20, v6, v14
.LBB576_631:
	s_or_b64 exec, exec, s[10:11]
.LBB576_632:
	s_or_b64 exec, exec, s[8:9]
.LBB576_633:
	s_or_b64 exec, exec, s[2:3]
	s_mov_b32 s2, 0xffffff
	v_cmp_lt_u32_e32 vcc, s2, v7
	v_mov_b32_e32 v14, 0
	v_mov_b32_e32 v23, 0
	s_and_saveexec_b64 s[2:3], vcc
	s_cbranch_execz .LBB576_639
; %bb.634:
	v_lshrrev_b32_e32 v6, 24, v7
	s_movk_i32 s7, 0x80
	v_cmp_ne_u32_e32 vcc, s7, v6
	v_bfrev_b32_e32 v23, 1
	s_and_saveexec_b64 s[8:9], vcc
	s_cbranch_execz .LBB576_638
; %bb.635:
	v_bfe_u32 v7, v7, 24, 7
	s_movk_i32 s7, 0x7f
	v_cmp_ne_u32_e32 vcc, s7, v7
	v_mov_b32_e32 v23, 0x7f800001
	s_and_saveexec_b64 s[10:11], vcc
	s_cbranch_execz .LBB576_637
; %bb.636:
	v_and_b32_e32 v23, 7, v6
	v_ffbh_u32_e32 v24, v23
	v_min_u32_e32 v27, 32, v24
	v_subrev_u32_e32 v24, 28, v27
	v_lshlrev_b64 v[24:25], v24, v[6:7]
	v_lshrrev_b32_e32 v26, 3, v7
	v_sub_u32_e32 v25, 29, v27
	v_and_b32_e32 v24, 7, v24
	v_cmp_gt_u32_e32 vcc, 8, v7
	v_cndmask_b32_e32 v7, v26, v25, vcc
	v_cndmask_b32_e32 v23, v23, v24, vcc
	v_lshlrev_b32_e32 v6, 24, v6
	v_bfrev_b32_e32 v24, 60
	v_lshlrev_b32_e32 v23, 20, v23
	v_and_b32_e32 v6, 0x80000000, v6
	v_lshl_add_u32 v7, v7, 23, v24
	v_or3_b32 v23, v6, v7, v23
.LBB576_637:
	s_or_b64 exec, exec, s[10:11]
.LBB576_638:
	s_or_b64 exec, exec, s[8:9]
.LBB576_639:
	s_or_b64 exec, exec, s[2:3]
	v_cvt_pkrtz_f16_f32 v6, v19, v16
	v_cvt_pkrtz_f16_f32 v7, v15, v18
	ds_read_b128 v[24:27], v22 offset:4096
	v_cmp_ne_u16_sdwa s[8:9], v8, v14 src0_sel:BYTE_0 src1_sel:DWORD
	s_waitcnt lgkmcnt(0)
	v_mfma_f32_16x16x16f16 v[10:13], v[6:7], v[24:25], v[10:13]
	v_cvt_pkrtz_f16_f32 v6, v17, v21
	v_cvt_pkrtz_f16_f32 v7, v20, v23
	s_nop 1
	v_mfma_f32_16x16x16f16 v[10:13], v[6:7], v[26:27], v[10:13]
	s_and_saveexec_b64 s[2:3], s[8:9]
	s_cbranch_execz .LBB576_645
; %bb.640:
	s_movk_i32 s7, 0x80
	v_cmp_ne_u16_sdwa s[10:11], v8, s7 src0_sel:BYTE_0 src1_sel:DWORD
	v_bfrev_b32_e32 v14, 1
	s_and_saveexec_b64 s[8:9], s[10:11]
	s_cbranch_execz .LBB576_644
; %bb.641:
	s_movk_i32 s7, 0x7f
	v_and_b32_e32 v6, 0x7f, v8
	v_cmp_ne_u32_e32 vcc, s7, v6
	v_mov_b32_e32 v14, 0x7f800001
	s_and_saveexec_b64 s[10:11], vcc
	s_cbranch_execz .LBB576_643
; %bb.642:
	v_and_b32_e32 v7, 7, v8
	v_ffbh_u32_e32 v14, v7
	v_min_u32_e32 v17, 32, v14
	v_subrev_u32_e32 v14, 28, v17
	v_lshlrev_b64 v[14:15], v14, v[8:9]
	v_lshrrev_b32_e32 v16, 3, v6
	v_sub_u32_e32 v15, 29, v17
	v_and_b32_e32 v14, 7, v14
	v_cmp_gt_u32_e32 vcc, 8, v6
	v_cndmask_b32_e32 v6, v16, v15, vcc
	v_cndmask_b32_e32 v7, v7, v14, vcc
	v_lshlrev_b32_e32 v14, 24, v8
	v_bfrev_b32_e32 v15, 60
	v_lshlrev_b32_e32 v7, 20, v7
	v_and_b32_e32 v14, 0x80000000, v14
	v_lshl_add_u32 v6, v6, 23, v15
	v_or3_b32 v14, v14, v6, v7
.LBB576_643:
	s_or_b64 exec, exec, s[10:11]
.LBB576_644:
	s_or_b64 exec, exec, s[8:9]
.LBB576_645:
	s_or_b64 exec, exec, s[2:3]
	v_lshrrev_b16_e32 v6, 8, v8
	v_cmp_ne_u16_e32 vcc, 0, v6
	v_mov_b32_e32 v7, 0
	v_mov_b32_e32 v16, 0
	s_and_saveexec_b64 s[2:3], vcc
	s_cbranch_execz .LBB576_651
; %bb.646:
	s_movk_i32 s7, 0x80
	v_cmp_ne_u16_e32 vcc, s7, v6
	v_bfrev_b32_e32 v16, 1
	s_and_saveexec_b64 s[8:9], vcc
	s_cbranch_execz .LBB576_650
; %bb.647:
	s_movk_i32 s7, 0x7f
	v_and_b32_e32 v15, 0x7f, v6
	v_cmp_ne_u32_e32 vcc, s7, v15
	v_mov_b32_e32 v16, 0x7f800001
	s_and_saveexec_b64 s[10:11], vcc
	s_cbranch_execz .LBB576_649
; %bb.648:
	v_and_b32_e32 v18, 7, v6
	v_ffbh_u32_e32 v16, v18
	v_min_u32_e32 v20, 32, v16
	v_subrev_u32_e32 v16, 28, v20
	v_lshlrev_b64 v[16:17], v16, v[6:7]
	v_lshrrev_b32_e32 v19, 3, v15
	v_sub_u32_e32 v6, 29, v20
	v_and_b32_e32 v16, 7, v16
	v_cmp_gt_u32_e32 vcc, 8, v15
	v_cndmask_b32_e32 v6, v19, v6, vcc
	v_cndmask_b32_e32 v15, v18, v16, vcc
	v_lshlrev_b32_e32 v16, 16, v8
	v_bfrev_b32_e32 v17, 60
	v_lshlrev_b32_e32 v15, 20, v15
	v_and_b32_e32 v16, 0x80000000, v16
	v_lshl_add_u32 v6, v6, 23, v17
	v_or3_b32 v16, v16, v6, v15
.LBB576_649:
	s_or_b64 exec, exec, s[10:11]
.LBB576_650:
	s_or_b64 exec, exec, s[8:9]
.LBB576_651:
	s_or_b64 exec, exec, s[2:3]
	s_movk_i32 s2, 0xff
	v_and_b32_sdwa v15, v8, s2 dst_sel:DWORD dst_unused:UNUSED_PAD src0_sel:WORD_1 src1_sel:DWORD
	v_lshrrev_b32_e32 v6, 16, v8
	v_cmp_ne_u16_e32 vcc, 0, v15
	s_and_saveexec_b64 s[2:3], vcc
	s_cbranch_execz .LBB576_657
; %bb.652:
	s_movk_i32 s7, 0x80
	v_cmp_ne_u16_e32 vcc, s7, v15
	v_bfrev_b32_e32 v7, 1
	s_and_saveexec_b64 s[8:9], vcc
	s_cbranch_execz .LBB576_656
; %bb.653:
	v_bfe_u32 v15, v8, 16, 7
	s_movk_i32 s7, 0x7f
	v_cmp_ne_u32_e32 vcc, s7, v15
	v_mov_b32_e32 v7, 0x7f800001
	s_and_saveexec_b64 s[10:11], vcc
	s_cbranch_execz .LBB576_655
; %bb.654:
	v_and_b32_e32 v17, 7, v6
	v_ffbh_u32_e32 v7, v17
	v_min_u32_e32 v19, 32, v7
	v_subrev_u32_e32 v7, 28, v19
	v_lshlrev_b64 v[6:7], v7, v[6:7]
	v_lshrrev_b32_e32 v18, 3, v15
	v_sub_u32_e32 v7, 29, v19
	v_and_b32_e32 v6, 7, v6
	v_cmp_gt_u32_e32 vcc, 8, v15
	v_mov_b32_e32 v15, 24
	v_cndmask_b32_e32 v7, v18, v7, vcc
	v_cndmask_b32_e32 v6, v17, v6, vcc
	v_lshlrev_b32_sdwa v15, v15, v8 dst_sel:DWORD dst_unused:UNUSED_PAD src0_sel:DWORD src1_sel:WORD_1
	v_bfrev_b32_e32 v17, 60
	v_lshlrev_b32_e32 v6, 20, v6
	v_and_b32_e32 v15, 0x80000000, v15
	v_lshl_add_u32 v7, v7, 23, v17
	v_or3_b32 v7, v15, v7, v6
.LBB576_655:
	s_or_b64 exec, exec, s[10:11]
.LBB576_656:
	s_or_b64 exec, exec, s[8:9]
.LBB576_657:
	s_or_b64 exec, exec, s[2:3]
	s_mov_b32 s2, 0xffffff
	v_cmp_lt_u32_e32 vcc, s2, v8
	v_mov_b32_e32 v17, 0
	v_mov_b32_e32 v18, 0
	s_and_saveexec_b64 s[2:3], vcc
	s_cbranch_execz .LBB576_663
; %bb.658:
	v_lshrrev_b32_e32 v6, 24, v8
	s_movk_i32 s7, 0x80
	v_cmp_ne_u32_e32 vcc, s7, v6
	v_bfrev_b32_e32 v18, 1
	s_and_saveexec_b64 s[8:9], vcc
	s_cbranch_execz .LBB576_662
; %bb.659:
	v_bfe_u32 v8, v8, 24, 7
	s_movk_i32 s7, 0x7f
	v_cmp_ne_u32_e32 vcc, s7, v8
	v_mov_b32_e32 v18, 0x7f800001
	s_and_saveexec_b64 s[10:11], vcc
	s_cbranch_execz .LBB576_661
; %bb.660:
	v_and_b32_e32 v15, 7, v6
	v_ffbh_u32_e32 v18, v15
	v_min_u32_e32 v21, 32, v18
	v_subrev_u32_e32 v18, 28, v21
	v_lshlrev_b64 v[18:19], v18, v[6:7]
	v_lshrrev_b32_e32 v20, 3, v8
	v_sub_u32_e32 v19, 29, v21
	v_and_b32_e32 v18, 7, v18
	v_cmp_gt_u32_e32 vcc, 8, v8
	v_cndmask_b32_e32 v8, v20, v19, vcc
	v_cndmask_b32_e32 v15, v15, v18, vcc
	v_lshlrev_b32_e32 v6, 24, v6
	v_bfrev_b32_e32 v18, 60
	v_lshlrev_b32_e32 v15, 20, v15
	v_and_b32_e32 v6, 0x80000000, v6
	v_lshl_add_u32 v8, v8, 23, v18
	v_or3_b32 v18, v6, v8, v15
.LBB576_661:
	s_or_b64 exec, exec, s[10:11]
.LBB576_662:
	s_or_b64 exec, exec, s[8:9]
.LBB576_663:
	s_or_b64 exec, exec, s[2:3]
	v_cmp_ne_u16_sdwa s[8:9], v9, v17 src0_sel:BYTE_0 src1_sel:DWORD
	s_and_saveexec_b64 s[2:3], s[8:9]
	s_cbranch_execz .LBB576_669
; %bb.664:
	s_movk_i32 s7, 0x80
	v_cmp_ne_u16_sdwa s[10:11], v9, s7 src0_sel:BYTE_0 src1_sel:DWORD
	v_bfrev_b32_e32 v17, 1
	s_and_saveexec_b64 s[8:9], s[10:11]
	s_cbranch_execz .LBB576_668
; %bb.665:
	s_movk_i32 s7, 0x7f
	v_and_b32_e32 v6, 0x7f, v9
	v_cmp_ne_u32_e32 vcc, s7, v6
	v_mov_b32_e32 v17, 0x7f800001
	s_and_saveexec_b64 s[10:11], vcc
	s_cbranch_execz .LBB576_667
; %bb.666:
	v_and_b32_e32 v15, 7, v9
	v_ffbh_u32_e32 v19, v15
	v_min_u32_e32 v19, 32, v19
	v_mov_b32_e32 v8, v9
	v_subrev_u32_e32 v20, 28, v19
	v_lshlrev_b64 v[20:21], v20, v[8:9]
	v_lshrrev_b32_e32 v17, 3, v6
	v_sub_u32_e32 v8, 29, v19
	v_and_b32_e32 v19, 7, v20
	v_cmp_gt_u32_e32 vcc, 8, v6
	v_cndmask_b32_e32 v6, v17, v8, vcc
	v_cndmask_b32_e32 v8, v15, v19, vcc
	v_lshlrev_b32_e32 v15, 24, v9
	v_bfrev_b32_e32 v17, 60
	v_lshlrev_b32_e32 v8, 20, v8
	v_and_b32_e32 v15, 0x80000000, v15
	v_lshl_add_u32 v6, v6, 23, v17
	v_or3_b32 v17, v15, v6, v8
.LBB576_667:
	s_or_b64 exec, exec, s[10:11]
.LBB576_668:
	s_or_b64 exec, exec, s[8:9]
.LBB576_669:
	s_or_b64 exec, exec, s[2:3]
	v_lshrrev_b16_e32 v6, 8, v9
	v_cmp_ne_u16_e32 vcc, 0, v6
	v_mov_b32_e32 v8, 0
	v_mov_b32_e32 v19, 0
	s_and_saveexec_b64 s[2:3], vcc
	s_cbranch_execz .LBB576_675
; %bb.670:
	s_movk_i32 s7, 0x80
	v_cmp_ne_u16_e32 vcc, s7, v6
	v_bfrev_b32_e32 v19, 1
	s_and_saveexec_b64 s[8:9], vcc
	s_cbranch_execz .LBB576_674
; %bb.671:
	s_movk_i32 s7, 0x7f
	v_and_b32_e32 v15, 0x7f, v6
	v_cmp_ne_u32_e32 vcc, s7, v15
	v_mov_b32_e32 v19, 0x7f800001
	s_and_saveexec_b64 s[10:11], vcc
	s_cbranch_execz .LBB576_673
; %bb.672:
	v_and_b32_e32 v19, 7, v6
	v_ffbh_u32_e32 v20, v19
	v_min_u32_e32 v24, 32, v20
	v_subrev_u32_e32 v20, 28, v24
	v_lshlrev_b64 v[20:21], v20, v[6:7]
	v_lshrrev_b32_e32 v23, 3, v15
	v_sub_u32_e32 v6, 29, v24
	v_and_b32_e32 v20, 7, v20
	v_cmp_gt_u32_e32 vcc, 8, v15
	v_cndmask_b32_e32 v6, v23, v6, vcc
	v_cndmask_b32_e32 v15, v19, v20, vcc
	v_lshlrev_b32_e32 v19, 16, v9
	v_bfrev_b32_e32 v20, 60
	v_lshlrev_b32_e32 v15, 20, v15
	v_and_b32_e32 v19, 0x80000000, v19
	v_lshl_add_u32 v6, v6, 23, v20
	v_or3_b32 v19, v19, v6, v15
.LBB576_673:
	s_or_b64 exec, exec, s[10:11]
.LBB576_674:
	s_or_b64 exec, exec, s[8:9]
.LBB576_675:
	s_or_b64 exec, exec, s[2:3]
	s_movk_i32 s2, 0xff
	v_and_b32_sdwa v15, v9, s2 dst_sel:DWORD dst_unused:UNUSED_PAD src0_sel:WORD_1 src1_sel:DWORD
	v_lshrrev_b32_e32 v6, 16, v9
	v_cmp_ne_u16_e32 vcc, 0, v15
	s_and_saveexec_b64 s[2:3], vcc
	s_cbranch_execz .LBB576_681
; %bb.676:
	s_movk_i32 s7, 0x80
	v_cmp_ne_u16_e32 vcc, s7, v15
	v_bfrev_b32_e32 v8, 1
	s_and_saveexec_b64 s[8:9], vcc
	s_cbranch_execz .LBB576_680
; %bb.677:
	v_bfe_u32 v15, v9, 16, 7
	s_movk_i32 s7, 0x7f
	v_cmp_ne_u32_e32 vcc, s7, v15
	v_mov_b32_e32 v8, 0x7f800001
	s_and_saveexec_b64 s[10:11], vcc
	s_cbranch_execz .LBB576_679
; %bb.678:
	v_and_b32_e32 v8, 7, v6
	v_ffbh_u32_e32 v20, v8
	v_min_u32_e32 v24, 32, v20
	v_subrev_u32_e32 v20, 28, v24
	v_lshlrev_b64 v[20:21], v20, v[6:7]
	v_lshrrev_b32_e32 v23, 3, v15
	v_sub_u32_e32 v6, 29, v24
	v_and_b32_e32 v20, 7, v20
	v_cmp_gt_u32_e32 vcc, 8, v15
	v_mov_b32_e32 v15, 24
	v_cndmask_b32_e32 v6, v23, v6, vcc
	v_cndmask_b32_e32 v8, v8, v20, vcc
	v_lshlrev_b32_sdwa v15, v15, v9 dst_sel:DWORD dst_unused:UNUSED_PAD src0_sel:DWORD src1_sel:WORD_1
	v_bfrev_b32_e32 v20, 60
	v_lshlrev_b32_e32 v8, 20, v8
	v_and_b32_e32 v15, 0x80000000, v15
	v_lshl_add_u32 v6, v6, 23, v20
	v_or3_b32 v8, v15, v6, v8
.LBB576_679:
	s_or_b64 exec, exec, s[10:11]
.LBB576_680:
	s_or_b64 exec, exec, s[8:9]
.LBB576_681:
	s_or_b64 exec, exec, s[2:3]
	s_mov_b32 s2, 0xffffff
	v_cmp_lt_u32_e32 vcc, s2, v9
	v_mov_b32_e32 v15, 0
	v_mov_b32_e32 v20, 0
	s_and_saveexec_b64 s[2:3], vcc
	s_cbranch_execz .LBB576_687
; %bb.682:
	v_lshrrev_b32_e32 v6, 24, v9
	s_movk_i32 s7, 0x80
	v_cmp_ne_u32_e32 vcc, s7, v6
	v_bfrev_b32_e32 v20, 1
	s_and_saveexec_b64 s[8:9], vcc
	s_cbranch_execz .LBB576_686
; %bb.683:
	v_bfe_u32 v9, v9, 24, 7
	s_movk_i32 s7, 0x7f
	v_cmp_ne_u32_e32 vcc, s7, v9
	v_mov_b32_e32 v20, 0x7f800001
	s_and_saveexec_b64 s[10:11], vcc
	s_cbranch_execz .LBB576_685
; %bb.684:
	v_and_b32_e32 v23, 7, v6
	v_ffbh_u32_e32 v20, v23
	v_min_u32_e32 v25, 32, v20
	v_subrev_u32_e32 v20, 28, v25
	v_lshlrev_b64 v[20:21], v20, v[6:7]
	v_lshrrev_b32_e32 v24, 3, v9
	v_sub_u32_e32 v21, 29, v25
	v_and_b32_e32 v20, 7, v20
	v_cmp_gt_u32_e32 vcc, 8, v9
	v_cndmask_b32_e32 v9, v24, v21, vcc
	v_cndmask_b32_e32 v20, v23, v20, vcc
	v_lshlrev_b32_e32 v6, 24, v6
	v_bfrev_b32_e32 v21, 60
	v_lshlrev_b32_e32 v20, 20, v20
	v_and_b32_e32 v6, 0x80000000, v6
	v_lshl_add_u32 v9, v9, 23, v21
	v_or3_b32 v20, v6, v9, v20
.LBB576_685:
	s_or_b64 exec, exec, s[10:11]
.LBB576_686:
	s_or_b64 exec, exec, s[8:9]
.LBB576_687:
	s_or_b64 exec, exec, s[2:3]
	v_cvt_pkrtz_f16_f32 v6, v14, v16
	v_cvt_pkrtz_f16_f32 v7, v7, v18
	ds_read_b128 v[24:27], v22 offset:4112
	s_waitcnt vmcnt(0)
	v_cmp_ne_u16_sdwa s[8:9], v2, v15 src0_sel:BYTE_0 src1_sel:DWORD
	s_waitcnt lgkmcnt(0)
	v_mfma_f32_16x16x16f16 v[10:13], v[6:7], v[24:25], v[10:13]
	v_cvt_pkrtz_f16_f32 v6, v17, v19
	v_cvt_pkrtz_f16_f32 v7, v8, v20
	s_nop 1
	v_mfma_f32_16x16x16f16 v[6:9], v[6:7], v[26:27], v[10:13]
	s_and_saveexec_b64 s[2:3], s[8:9]
	s_cbranch_execz .LBB576_693
; %bb.688:
	s_movk_i32 s7, 0x80
	v_cmp_ne_u16_sdwa s[10:11], v2, s7 src0_sel:BYTE_0 src1_sel:DWORD
	v_bfrev_b32_e32 v15, 1
	s_and_saveexec_b64 s[8:9], s[10:11]
	s_cbranch_execz .LBB576_692
; %bb.689:
	s_movk_i32 s7, 0x7f
	v_and_b32_e32 v10, 0x7f, v2
	v_cmp_ne_u32_e32 vcc, s7, v10
	v_mov_b32_e32 v15, 0x7f800001
	s_and_saveexec_b64 s[10:11], vcc
	s_cbranch_execz .LBB576_691
; %bb.690:
	v_and_b32_e32 v11, 7, v2
	v_ffbh_u32_e32 v12, v11
	v_min_u32_e32 v15, 32, v12
	v_subrev_u32_e32 v12, 28, v15
	v_lshlrev_b64 v[12:13], v12, v[2:3]
	v_lshrrev_b32_e32 v14, 3, v10
	v_sub_u32_e32 v13, 29, v15
	v_and_b32_e32 v12, 7, v12
	v_cmp_gt_u32_e32 vcc, 8, v10
	v_cndmask_b32_e32 v10, v14, v13, vcc
	v_cndmask_b32_e32 v11, v11, v12, vcc
	v_lshlrev_b32_e32 v12, 24, v2
	v_bfrev_b32_e32 v13, 60
	v_lshlrev_b32_e32 v11, 20, v11
	v_and_b32_e32 v12, 0x80000000, v12
	v_lshl_add_u32 v10, v10, 23, v13
	v_or3_b32 v15, v12, v10, v11
.LBB576_691:
	s_or_b64 exec, exec, s[10:11]
.LBB576_692:
	s_or_b64 exec, exec, s[8:9]
.LBB576_693:
	s_or_b64 exec, exec, s[2:3]
	s_nop 3
	v_lshrrev_b16_e32 v10, 8, v2
	v_cmp_ne_u16_e32 vcc, 0, v10
	v_mov_b32_e32 v11, 0
	v_mov_b32_e32 v12, 0
	s_and_saveexec_b64 s[2:3], vcc
	s_cbranch_execz .LBB576_699
; %bb.694:
	s_movk_i32 s7, 0x80
	v_cmp_ne_u16_e32 vcc, s7, v10
	v_bfrev_b32_e32 v12, 1
	s_and_saveexec_b64 s[8:9], vcc
	s_cbranch_execz .LBB576_698
; %bb.695:
	s_movk_i32 s7, 0x7f
	v_and_b32_e32 v13, 0x7f, v10
	v_cmp_ne_u32_e32 vcc, s7, v13
	v_mov_b32_e32 v12, 0x7f800001
	s_and_saveexec_b64 s[10:11], vcc
	s_cbranch_execz .LBB576_697
; %bb.696:
	v_and_b32_e32 v12, 7, v10
	v_ffbh_u32_e32 v16, v12
	v_min_u32_e32 v18, 32, v16
	v_subrev_u32_e32 v16, 28, v18
	v_lshlrev_b64 v[16:17], v16, v[10:11]
	v_lshrrev_b32_e32 v14, 3, v13
	v_sub_u32_e32 v10, 29, v18
	v_and_b32_e32 v16, 7, v16
	v_cmp_gt_u32_e32 vcc, 8, v13
	v_cndmask_b32_e32 v10, v14, v10, vcc
	v_cndmask_b32_e32 v12, v12, v16, vcc
	v_lshlrev_b32_e32 v13, 16, v2
	v_bfrev_b32_e32 v14, 60
	v_lshlrev_b32_e32 v12, 20, v12
	v_and_b32_e32 v13, 0x80000000, v13
	v_lshl_add_u32 v10, v10, 23, v14
	v_or3_b32 v12, v13, v10, v12
.LBB576_697:
	s_or_b64 exec, exec, s[10:11]
.LBB576_698:
	s_or_b64 exec, exec, s[8:9]
.LBB576_699:
	s_or_b64 exec, exec, s[2:3]
	s_movk_i32 s2, 0xff
	v_and_b32_sdwa v13, v2, s2 dst_sel:DWORD dst_unused:UNUSED_PAD src0_sel:WORD_1 src1_sel:DWORD
	v_lshrrev_b32_e32 v10, 16, v2
	v_cmp_ne_u16_e32 vcc, 0, v13
	s_and_saveexec_b64 s[2:3], vcc
	s_cbranch_execz .LBB576_705
; %bb.700:
	s_movk_i32 s7, 0x80
	v_cmp_ne_u16_e32 vcc, s7, v13
	v_bfrev_b32_e32 v11, 1
	s_and_saveexec_b64 s[8:9], vcc
	s_cbranch_execz .LBB576_704
; %bb.701:
	v_bfe_u32 v13, v2, 16, 7
	s_movk_i32 s7, 0x7f
	v_cmp_ne_u32_e32 vcc, s7, v13
	v_mov_b32_e32 v11, 0x7f800001
	s_and_saveexec_b64 s[10:11], vcc
	s_cbranch_execz .LBB576_703
; %bb.702:
	v_and_b32_e32 v14, 7, v10
	v_ffbh_u32_e32 v11, v14
	v_min_u32_e32 v17, 32, v11
	v_subrev_u32_e32 v11, 28, v17
	v_lshlrev_b64 v[10:11], v11, v[10:11]
	v_lshrrev_b32_e32 v16, 3, v13
	v_sub_u32_e32 v11, 29, v17
	v_and_b32_e32 v10, 7, v10
	v_cmp_gt_u32_e32 vcc, 8, v13
	v_mov_b32_e32 v13, 24
	v_cndmask_b32_e32 v11, v16, v11, vcc
	v_cndmask_b32_e32 v10, v14, v10, vcc
	v_lshlrev_b32_sdwa v13, v13, v2 dst_sel:DWORD dst_unused:UNUSED_PAD src0_sel:DWORD src1_sel:WORD_1
	v_bfrev_b32_e32 v14, 60
	v_lshlrev_b32_e32 v10, 20, v10
	v_and_b32_e32 v13, 0x80000000, v13
	v_lshl_add_u32 v11, v11, 23, v14
	v_or3_b32 v11, v13, v11, v10
.LBB576_703:
	s_or_b64 exec, exec, s[10:11]
.LBB576_704:
	s_or_b64 exec, exec, s[8:9]
.LBB576_705:
	s_or_b64 exec, exec, s[2:3]
	s_mov_b32 s2, 0xffffff
	v_cmp_lt_u32_e32 vcc, s2, v2
	v_mov_b32_e32 v13, 0
	v_mov_b32_e32 v14, 0
	s_and_saveexec_b64 s[2:3], vcc
	s_cbranch_execz .LBB576_711
; %bb.706:
	v_lshrrev_b32_e32 v10, 24, v2
	s_movk_i32 s7, 0x80
	v_cmp_ne_u32_e32 vcc, s7, v10
	v_bfrev_b32_e32 v14, 1
	s_and_saveexec_b64 s[8:9], vcc
	s_cbranch_execz .LBB576_710
; %bb.707:
	v_bfe_u32 v2, v2, 24, 7
	s_movk_i32 s7, 0x7f
	v_cmp_ne_u32_e32 vcc, s7, v2
	v_mov_b32_e32 v14, 0x7f800001
	s_and_saveexec_b64 s[10:11], vcc
	s_cbranch_execz .LBB576_709
; %bb.708:
	v_and_b32_e32 v14, 7, v10
	v_ffbh_u32_e32 v16, v14
	v_min_u32_e32 v19, 32, v16
	v_subrev_u32_e32 v16, 28, v19
	v_lshlrev_b64 v[16:17], v16, v[10:11]
	v_lshrrev_b32_e32 v18, 3, v2
	v_sub_u32_e32 v17, 29, v19
	v_and_b32_e32 v16, 7, v16
	v_cmp_gt_u32_e32 vcc, 8, v2
	v_cndmask_b32_e32 v2, v18, v17, vcc
	v_cndmask_b32_e32 v14, v14, v16, vcc
	v_lshlrev_b32_e32 v10, 24, v10
	v_bfrev_b32_e32 v16, 60
	v_lshlrev_b32_e32 v14, 20, v14
	v_and_b32_e32 v10, 0x80000000, v10
	v_lshl_add_u32 v2, v2, 23, v16
	v_or3_b32 v14, v10, v2, v14
.LBB576_709:
	s_or_b64 exec, exec, s[10:11]
.LBB576_710:
	s_or_b64 exec, exec, s[8:9]
.LBB576_711:
	s_or_b64 exec, exec, s[2:3]
	v_cmp_ne_u16_sdwa s[8:9], v3, v13 src0_sel:BYTE_0 src1_sel:DWORD
	s_and_saveexec_b64 s[2:3], s[8:9]
	s_cbranch_execz .LBB576_717
; %bb.712:
	s_movk_i32 s7, 0x80
	v_cmp_ne_u16_sdwa s[10:11], v3, s7 src0_sel:BYTE_0 src1_sel:DWORD
	v_bfrev_b32_e32 v13, 1
	s_and_saveexec_b64 s[8:9], s[10:11]
	s_cbranch_execz .LBB576_716
; %bb.713:
	s_movk_i32 s7, 0x7f
	v_and_b32_e32 v2, 0x7f, v3
	v_cmp_ne_u32_e32 vcc, s7, v2
	v_mov_b32_e32 v13, 0x7f800001
	s_and_saveexec_b64 s[10:11], vcc
	s_cbranch_execz .LBB576_715
; %bb.714:
	v_and_b32_e32 v13, 7, v3
	v_ffbh_u32_e32 v16, v13
	v_min_u32_e32 v19, 32, v16
	v_mov_b32_e32 v10, v3
	v_subrev_u32_e32 v16, 28, v19
	v_lshlrev_b64 v[16:17], v16, v[10:11]
	v_lshrrev_b32_e32 v18, 3, v2
	v_sub_u32_e32 v10, 29, v19
	v_and_b32_e32 v16, 7, v16
	v_cmp_gt_u32_e32 vcc, 8, v2
	v_cndmask_b32_e32 v2, v18, v10, vcc
	v_cndmask_b32_e32 v10, v13, v16, vcc
	v_lshlrev_b32_e32 v13, 24, v3
	v_bfrev_b32_e32 v16, 60
	v_lshlrev_b32_e32 v10, 20, v10
	v_and_b32_e32 v13, 0x80000000, v13
	v_lshl_add_u32 v2, v2, 23, v16
	v_or3_b32 v13, v13, v2, v10
.LBB576_715:
	s_or_b64 exec, exec, s[10:11]
.LBB576_716:
	s_or_b64 exec, exec, s[8:9]
.LBB576_717:
	s_or_b64 exec, exec, s[2:3]
	v_lshrrev_b16_e32 v2, 8, v3
	v_cmp_ne_u16_e32 vcc, 0, v2
	v_mov_b32_e32 v16, 0
	v_mov_b32_e32 v17, 0
	s_and_saveexec_b64 s[2:3], vcc
	s_cbranch_execz .LBB576_723
; %bb.718:
	s_movk_i32 s7, 0x80
	v_cmp_ne_u16_e32 vcc, s7, v2
	v_bfrev_b32_e32 v17, 1
	s_and_saveexec_b64 s[8:9], vcc
	s_cbranch_execz .LBB576_722
; %bb.719:
	s_movk_i32 s7, 0x7f
	v_and_b32_e32 v10, 0x7f, v2
	v_cmp_ne_u32_e32 vcc, s7, v10
	v_mov_b32_e32 v17, 0x7f800001
	s_and_saveexec_b64 s[10:11], vcc
	s_cbranch_execz .LBB576_721
; %bb.720:
	v_and_b32_e32 v17, 7, v2
	v_ffbh_u32_e32 v18, v17
	v_min_u32_e32 v21, 32, v18
	v_subrev_u32_e32 v18, 28, v21
	v_lshlrev_b64 v[18:19], v18, v[2:3]
	v_lshrrev_b32_e32 v20, 3, v10
	v_sub_u32_e32 v2, 29, v21
	v_and_b32_e32 v18, 7, v18
	v_cmp_gt_u32_e32 vcc, 8, v10
	v_cndmask_b32_e32 v2, v20, v2, vcc
	v_cndmask_b32_e32 v10, v17, v18, vcc
	v_lshlrev_b32_e32 v17, 16, v3
	v_bfrev_b32_e32 v18, 60
	v_lshlrev_b32_e32 v10, 20, v10
	v_and_b32_e32 v17, 0x80000000, v17
	v_lshl_add_u32 v2, v2, 23, v18
	v_or3_b32 v17, v17, v2, v10
.LBB576_721:
	s_or_b64 exec, exec, s[10:11]
.LBB576_722:
	s_or_b64 exec, exec, s[8:9]
.LBB576_723:
	s_or_b64 exec, exec, s[2:3]
	s_movk_i32 s2, 0xff
	v_and_b32_sdwa v10, v3, s2 dst_sel:DWORD dst_unused:UNUSED_PAD src0_sel:WORD_1 src1_sel:DWORD
	v_lshrrev_b32_e32 v2, 16, v3
	v_cmp_ne_u16_e32 vcc, 0, v10
	s_and_saveexec_b64 s[2:3], vcc
	s_cbranch_execz .LBB576_729
; %bb.724:
	s_movk_i32 s7, 0x80
	v_cmp_ne_u16_e32 vcc, s7, v10
	v_bfrev_b32_e32 v16, 1
	s_and_saveexec_b64 s[8:9], vcc
	s_cbranch_execz .LBB576_728
; %bb.725:
	v_bfe_u32 v10, v3, 16, 7
	s_movk_i32 s7, 0x7f
	v_cmp_ne_u32_e32 vcc, s7, v10
	v_mov_b32_e32 v16, 0x7f800001
	s_and_saveexec_b64 s[10:11], vcc
	s_cbranch_execz .LBB576_727
; %bb.726:
	v_and_b32_e32 v16, 7, v2
	v_ffbh_u32_e32 v18, v16
	v_min_u32_e32 v21, 32, v18
	v_subrev_u32_e32 v18, 28, v21
	v_lshlrev_b64 v[18:19], v18, v[2:3]
	v_and_b32_e32 v18, 7, v18
	v_cmp_gt_u32_e32 vcc, 8, v10
	v_lshrrev_b32_e32 v20, 3, v10
	v_sub_u32_e32 v2, 29, v21
	v_cndmask_b32_e32 v10, v16, v18, vcc
	v_mov_b32_e32 v16, 24
	v_cndmask_b32_e32 v2, v20, v2, vcc
	v_lshlrev_b32_sdwa v16, v16, v3 dst_sel:DWORD dst_unused:UNUSED_PAD src0_sel:DWORD src1_sel:WORD_1
	v_bfrev_b32_e32 v18, 60
	v_lshlrev_b32_e32 v10, 20, v10
	v_and_b32_e32 v16, 0x80000000, v16
	v_lshl_add_u32 v2, v2, 23, v18
	v_or3_b32 v16, v16, v2, v10
.LBB576_727:
	s_or_b64 exec, exec, s[10:11]
.LBB576_728:
	s_or_b64 exec, exec, s[8:9]
.LBB576_729:
	s_or_b64 exec, exec, s[2:3]
	s_mov_b32 s2, 0xffffff
	v_cmp_lt_u32_e32 vcc, s2, v3
	v_mov_b32_e32 v10, 0
	v_mov_b32_e32 v18, 0
	s_and_saveexec_b64 s[2:3], vcc
	s_cbranch_execz .LBB576_735
; %bb.730:
	v_lshrrev_b32_e32 v2, 24, v3
	s_movk_i32 s7, 0x80
	v_cmp_ne_u32_e32 vcc, s7, v2
	v_bfrev_b32_e32 v18, 1
	s_and_saveexec_b64 s[8:9], vcc
	s_cbranch_execz .LBB576_734
; %bb.731:
	v_bfe_u32 v3, v3, 24, 7
	s_movk_i32 s7, 0x7f
	v_cmp_ne_u32_e32 vcc, s7, v3
	v_mov_b32_e32 v18, 0x7f800001
	s_and_saveexec_b64 s[10:11], vcc
	s_cbranch_execz .LBB576_733
; %bb.732:
	v_and_b32_e32 v20, 7, v2
	v_ffbh_u32_e32 v18, v20
	v_min_u32_e32 v23, 32, v18
	v_subrev_u32_e32 v18, 28, v23
	v_lshlrev_b64 v[18:19], v18, v[2:3]
	v_lshrrev_b32_e32 v21, 3, v3
	v_sub_u32_e32 v19, 29, v23
	v_and_b32_e32 v18, 7, v18
	v_cmp_gt_u32_e32 vcc, 8, v3
	v_cndmask_b32_e32 v3, v21, v19, vcc
	v_cndmask_b32_e32 v18, v20, v18, vcc
	v_lshlrev_b32_e32 v2, 24, v2
	v_bfrev_b32_e32 v19, 60
	v_lshlrev_b32_e32 v18, 20, v18
	v_and_b32_e32 v2, 0x80000000, v2
	v_lshl_add_u32 v3, v3, 23, v19
	v_or3_b32 v18, v2, v3, v18
.LBB576_733:
	s_or_b64 exec, exec, s[10:11]
.LBB576_734:
	s_or_b64 exec, exec, s[8:9]
.LBB576_735:
	s_or_b64 exec, exec, s[2:3]
	v_cvt_pkrtz_f16_f32 v2, v15, v12
	v_cvt_pkrtz_f16_f32 v3, v11, v14
	ds_read_b128 v[24:27], v22 offset:6144
	v_cmp_ne_u16_sdwa s[8:9], v4, v10 src0_sel:BYTE_0 src1_sel:DWORD
	s_waitcnt lgkmcnt(0)
	v_mfma_f32_16x16x16f16 v[6:9], v[2:3], v[24:25], v[6:9]
	v_cvt_pkrtz_f16_f32 v2, v13, v17
	v_cvt_pkrtz_f16_f32 v3, v16, v18
	s_nop 1
	v_mfma_f32_16x16x16f16 v[6:9], v[2:3], v[26:27], v[6:9]
	s_and_saveexec_b64 s[2:3], s[8:9]
	s_cbranch_execz .LBB576_741
; %bb.736:
	s_movk_i32 s7, 0x80
	v_cmp_ne_u16_sdwa s[10:11], v4, s7 src0_sel:BYTE_0 src1_sel:DWORD
	v_bfrev_b32_e32 v10, 1
	s_and_saveexec_b64 s[8:9], s[10:11]
	s_cbranch_execz .LBB576_740
; %bb.737:
	s_movk_i32 s7, 0x7f
	v_and_b32_e32 v2, 0x7f, v4
	v_cmp_ne_u32_e32 vcc, s7, v2
	v_mov_b32_e32 v10, 0x7f800001
	s_and_saveexec_b64 s[10:11], vcc
	s_cbranch_execz .LBB576_739
; %bb.738:
	v_and_b32_e32 v3, 7, v4
	v_ffbh_u32_e32 v10, v3
	v_min_u32_e32 v13, 32, v10
	v_subrev_u32_e32 v10, 28, v13
	v_lshlrev_b64 v[10:11], v10, v[4:5]
	v_lshrrev_b32_e32 v12, 3, v2
	v_sub_u32_e32 v11, 29, v13
	v_and_b32_e32 v10, 7, v10
	v_cmp_gt_u32_e32 vcc, 8, v2
	v_cndmask_b32_e32 v2, v12, v11, vcc
	v_cndmask_b32_e32 v3, v3, v10, vcc
	v_lshlrev_b32_e32 v10, 24, v4
	v_bfrev_b32_e32 v11, 60
	v_lshlrev_b32_e32 v3, 20, v3
	v_and_b32_e32 v10, 0x80000000, v10
	v_lshl_add_u32 v2, v2, 23, v11
	v_or3_b32 v10, v10, v2, v3
.LBB576_739:
	s_or_b64 exec, exec, s[10:11]
.LBB576_740:
	s_or_b64 exec, exec, s[8:9]
.LBB576_741:
	s_or_b64 exec, exec, s[2:3]
	v_lshrrev_b16_e32 v2, 8, v4
	v_cmp_ne_u16_e32 vcc, 0, v2
	v_mov_b32_e32 v3, 0
	v_mov_b32_e32 v11, 0
	s_and_saveexec_b64 s[2:3], vcc
	s_cbranch_execz .LBB576_747
; %bb.742:
	s_movk_i32 s7, 0x80
	v_cmp_ne_u16_e32 vcc, s7, v2
	v_bfrev_b32_e32 v11, 1
	s_and_saveexec_b64 s[8:9], vcc
	s_cbranch_execz .LBB576_746
; %bb.743:
	s_movk_i32 s7, 0x7f
	v_and_b32_e32 v12, 0x7f, v2
	v_cmp_ne_u32_e32 vcc, s7, v12
	v_mov_b32_e32 v11, 0x7f800001
	s_and_saveexec_b64 s[10:11], vcc
	s_cbranch_execz .LBB576_745
; %bb.744:
	v_and_b32_e32 v11, 7, v2
	v_ffbh_u32_e32 v14, v11
	v_min_u32_e32 v16, 32, v14
	v_subrev_u32_e32 v14, 28, v16
	v_lshlrev_b64 v[14:15], v14, v[2:3]
	v_lshrrev_b32_e32 v13, 3, v12
	v_sub_u32_e32 v2, 29, v16
	v_and_b32_e32 v14, 7, v14
	v_cmp_gt_u32_e32 vcc, 8, v12
	v_cndmask_b32_e32 v2, v13, v2, vcc
	v_cndmask_b32_e32 v11, v11, v14, vcc
	v_lshlrev_b32_e32 v12, 16, v4
	v_bfrev_b32_e32 v13, 60
	v_lshlrev_b32_e32 v11, 20, v11
	v_and_b32_e32 v12, 0x80000000, v12
	v_lshl_add_u32 v2, v2, 23, v13
	v_or3_b32 v11, v12, v2, v11
.LBB576_745:
	s_or_b64 exec, exec, s[10:11]
.LBB576_746:
	s_or_b64 exec, exec, s[8:9]
.LBB576_747:
	s_or_b64 exec, exec, s[2:3]
	s_movk_i32 s2, 0xff
	v_and_b32_sdwa v12, v4, s2 dst_sel:DWORD dst_unused:UNUSED_PAD src0_sel:WORD_1 src1_sel:DWORD
	v_lshrrev_b32_e32 v2, 16, v4
	v_cmp_ne_u16_e32 vcc, 0, v12
	s_and_saveexec_b64 s[2:3], vcc
	s_cbranch_execz .LBB576_753
; %bb.748:
	s_movk_i32 s7, 0x80
	v_cmp_ne_u16_e32 vcc, s7, v12
	v_bfrev_b32_e32 v3, 1
	s_and_saveexec_b64 s[8:9], vcc
	s_cbranch_execz .LBB576_752
; %bb.749:
	v_bfe_u32 v12, v4, 16, 7
	s_movk_i32 s7, 0x7f
	v_cmp_ne_u32_e32 vcc, s7, v12
	v_mov_b32_e32 v3, 0x7f800001
	s_and_saveexec_b64 s[10:11], vcc
	s_cbranch_execz .LBB576_751
; %bb.750:
	v_and_b32_e32 v13, 7, v2
	v_ffbh_u32_e32 v3, v13
	v_min_u32_e32 v15, 32, v3
	v_subrev_u32_e32 v3, 28, v15
	v_lshlrev_b64 v[2:3], v3, v[2:3]
	v_lshrrev_b32_e32 v14, 3, v12
	v_sub_u32_e32 v3, 29, v15
	v_and_b32_e32 v2, 7, v2
	v_cmp_gt_u32_e32 vcc, 8, v12
	v_mov_b32_e32 v12, 24
	v_cndmask_b32_e32 v3, v14, v3, vcc
	v_cndmask_b32_e32 v2, v13, v2, vcc
	v_lshlrev_b32_sdwa v12, v12, v4 dst_sel:DWORD dst_unused:UNUSED_PAD src0_sel:DWORD src1_sel:WORD_1
	v_bfrev_b32_e32 v13, 60
	v_lshlrev_b32_e32 v2, 20, v2
	v_and_b32_e32 v12, 0x80000000, v12
	v_lshl_add_u32 v3, v3, 23, v13
	v_or3_b32 v3, v12, v3, v2
.LBB576_751:
	s_or_b64 exec, exec, s[10:11]
.LBB576_752:
	s_or_b64 exec, exec, s[8:9]
.LBB576_753:
	s_or_b64 exec, exec, s[2:3]
	s_mov_b32 s2, 0xffffff
	v_cmp_lt_u32_e32 vcc, s2, v4
	v_mov_b32_e32 v12, 0
	v_mov_b32_e32 v13, 0
	s_and_saveexec_b64 s[2:3], vcc
	s_cbranch_execz .LBB576_759
; %bb.754:
	v_lshrrev_b32_e32 v2, 24, v4
	s_movk_i32 s7, 0x80
	v_cmp_ne_u32_e32 vcc, s7, v2
	v_bfrev_b32_e32 v13, 1
	s_and_saveexec_b64 s[8:9], vcc
	s_cbranch_execz .LBB576_758
; %bb.755:
	v_bfe_u32 v4, v4, 24, 7
	s_movk_i32 s7, 0x7f
	v_cmp_ne_u32_e32 vcc, s7, v4
	v_mov_b32_e32 v13, 0x7f800001
	s_and_saveexec_b64 s[10:11], vcc
	s_cbranch_execz .LBB576_757
; %bb.756:
	v_and_b32_e32 v13, 7, v2
	v_ffbh_u32_e32 v14, v13
	v_min_u32_e32 v17, 32, v14
	v_subrev_u32_e32 v14, 28, v17
	v_lshlrev_b64 v[14:15], v14, v[2:3]
	v_lshrrev_b32_e32 v16, 3, v4
	v_sub_u32_e32 v15, 29, v17
	v_and_b32_e32 v14, 7, v14
	v_cmp_gt_u32_e32 vcc, 8, v4
	v_cndmask_b32_e32 v4, v16, v15, vcc
	v_cndmask_b32_e32 v13, v13, v14, vcc
	v_lshlrev_b32_e32 v2, 24, v2
	v_bfrev_b32_e32 v14, 60
	v_lshlrev_b32_e32 v13, 20, v13
	v_and_b32_e32 v2, 0x80000000, v2
	v_lshl_add_u32 v4, v4, 23, v14
	v_or3_b32 v13, v2, v4, v13
.LBB576_757:
	s_or_b64 exec, exec, s[10:11]
.LBB576_758:
	s_or_b64 exec, exec, s[8:9]
.LBB576_759:
	s_or_b64 exec, exec, s[2:3]
	v_cmp_ne_u16_sdwa s[8:9], v5, v12 src0_sel:BYTE_0 src1_sel:DWORD
	s_and_saveexec_b64 s[2:3], s[8:9]
	s_cbranch_execz .LBB576_765
; %bb.760:
	s_movk_i32 s7, 0x80
	v_cmp_ne_u16_sdwa s[10:11], v5, s7 src0_sel:BYTE_0 src1_sel:DWORD
	v_bfrev_b32_e32 v12, 1
	s_and_saveexec_b64 s[8:9], s[10:11]
	s_cbranch_execz .LBB576_764
; %bb.761:
	s_movk_i32 s7, 0x7f
	v_and_b32_e32 v2, 0x7f, v5
	v_cmp_ne_u32_e32 vcc, s7, v2
	v_mov_b32_e32 v12, 0x7f800001
	s_and_saveexec_b64 s[10:11], vcc
	s_cbranch_execz .LBB576_763
; %bb.762:
	v_and_b32_e32 v12, 7, v5
	v_ffbh_u32_e32 v14, v12
	v_min_u32_e32 v17, 32, v14
	v_mov_b32_e32 v4, v5
	v_subrev_u32_e32 v14, 28, v17
	v_lshlrev_b64 v[14:15], v14, v[4:5]
	v_lshrrev_b32_e32 v16, 3, v2
	v_sub_u32_e32 v4, 29, v17
	v_and_b32_e32 v14, 7, v14
	v_cmp_gt_u32_e32 vcc, 8, v2
	v_cndmask_b32_e32 v2, v16, v4, vcc
	v_cndmask_b32_e32 v4, v12, v14, vcc
	v_lshlrev_b32_e32 v12, 24, v5
	v_bfrev_b32_e32 v14, 60
	v_lshlrev_b32_e32 v4, 20, v4
	v_and_b32_e32 v12, 0x80000000, v12
	v_lshl_add_u32 v2, v2, 23, v14
	v_or3_b32 v12, v12, v2, v4
.LBB576_763:
	s_or_b64 exec, exec, s[10:11]
.LBB576_764:
	s_or_b64 exec, exec, s[8:9]
.LBB576_765:
	s_or_b64 exec, exec, s[2:3]
	v_lshrrev_b16_e32 v2, 8, v5
	v_cmp_ne_u16_e32 vcc, 0, v2
	v_mov_b32_e32 v4, 0
	v_mov_b32_e32 v14, 0
	s_and_saveexec_b64 s[2:3], vcc
	s_cbranch_execz .LBB576_771
; %bb.766:
	s_movk_i32 s7, 0x80
	v_cmp_ne_u16_e32 vcc, s7, v2
	v_bfrev_b32_e32 v14, 1
	s_and_saveexec_b64 s[8:9], vcc
	s_cbranch_execz .LBB576_770
; %bb.767:
	s_movk_i32 s7, 0x7f
	v_and_b32_e32 v15, 0x7f, v2
	v_cmp_ne_u32_e32 vcc, s7, v15
	v_mov_b32_e32 v14, 0x7f800001
	s_and_saveexec_b64 s[10:11], vcc
	s_cbranch_execz .LBB576_769
; %bb.768:
	v_and_b32_e32 v14, 7, v2
	v_ffbh_u32_e32 v16, v14
	v_min_u32_e32 v19, 32, v16
	v_subrev_u32_e32 v16, 28, v19
	v_lshlrev_b64 v[16:17], v16, v[2:3]
	v_lshrrev_b32_e32 v18, 3, v15
	v_sub_u32_e32 v2, 29, v19
	v_and_b32_e32 v16, 7, v16
	v_cmp_gt_u32_e32 vcc, 8, v15
	v_cndmask_b32_e32 v2, v18, v2, vcc
	v_cndmask_b32_e32 v14, v14, v16, vcc
	v_lshlrev_b32_e32 v15, 16, v5
	v_bfrev_b32_e32 v16, 60
	v_lshlrev_b32_e32 v14, 20, v14
	v_and_b32_e32 v15, 0x80000000, v15
	v_lshl_add_u32 v2, v2, 23, v16
	v_or3_b32 v14, v15, v2, v14
.LBB576_769:
	s_or_b64 exec, exec, s[10:11]
.LBB576_770:
	s_or_b64 exec, exec, s[8:9]
.LBB576_771:
	s_or_b64 exec, exec, s[2:3]
	s_movk_i32 s2, 0xff
	v_and_b32_sdwa v15, v5, s2 dst_sel:DWORD dst_unused:UNUSED_PAD src0_sel:WORD_1 src1_sel:DWORD
	v_lshrrev_b32_e32 v2, 16, v5
	v_cmp_ne_u16_e32 vcc, 0, v15
	s_and_saveexec_b64 s[2:3], vcc
	s_cbranch_execz .LBB576_777
; %bb.772:
	s_movk_i32 s7, 0x80
	v_cmp_ne_u16_e32 vcc, s7, v15
	v_bfrev_b32_e32 v4, 1
	s_and_saveexec_b64 s[8:9], vcc
	s_cbranch_execz .LBB576_776
; %bb.773:
	v_bfe_u32 v15, v5, 16, 7
	s_movk_i32 s7, 0x7f
	v_cmp_ne_u32_e32 vcc, s7, v15
	v_mov_b32_e32 v4, 0x7f800001
	s_and_saveexec_b64 s[10:11], vcc
	s_cbranch_execz .LBB576_775
; %bb.774:
	v_and_b32_e32 v4, 7, v2
	v_ffbh_u32_e32 v16, v4
	v_min_u32_e32 v19, 32, v16
	v_subrev_u32_e32 v16, 28, v19
	v_lshlrev_b64 v[16:17], v16, v[2:3]
	v_lshrrev_b32_e32 v18, 3, v15
	v_sub_u32_e32 v2, 29, v19
	v_and_b32_e32 v16, 7, v16
	v_cmp_gt_u32_e32 vcc, 8, v15
	v_mov_b32_e32 v15, 24
	v_cndmask_b32_e32 v2, v18, v2, vcc
	v_cndmask_b32_e32 v4, v4, v16, vcc
	v_lshlrev_b32_sdwa v15, v15, v5 dst_sel:DWORD dst_unused:UNUSED_PAD src0_sel:DWORD src1_sel:WORD_1
	v_bfrev_b32_e32 v16, 60
	v_lshlrev_b32_e32 v4, 20, v4
	v_and_b32_e32 v15, 0x80000000, v15
	v_lshl_add_u32 v2, v2, 23, v16
	v_or3_b32 v4, v15, v2, v4
.LBB576_775:
	s_or_b64 exec, exec, s[10:11]
.LBB576_776:
	s_or_b64 exec, exec, s[8:9]
.LBB576_777:
	s_or_b64 exec, exec, s[2:3]
	s_mov_b32 s2, 0xffffff
	v_cmp_lt_u32_e32 vcc, s2, v5
	v_mov_b32_e32 v15, 0
	s_and_saveexec_b64 s[2:3], vcc
	s_cbranch_execz .LBB576_783
; %bb.778:
	v_lshrrev_b32_e32 v2, 24, v5
	s_movk_i32 s7, 0x80
	v_cmp_ne_u32_e32 vcc, s7, v2
	v_bfrev_b32_e32 v15, 1
	s_and_saveexec_b64 s[8:9], vcc
	s_cbranch_execz .LBB576_782
; %bb.779:
	v_bfe_u32 v5, v5, 24, 7
	s_movk_i32 s7, 0x7f
	v_cmp_ne_u32_e32 vcc, s7, v5
	v_mov_b32_e32 v15, 0x7f800001
	s_and_saveexec_b64 s[10:11], vcc
	s_cbranch_execz .LBB576_781
; %bb.780:
	v_and_b32_e32 v15, 7, v2
	v_ffbh_u32_e32 v16, v15
	v_min_u32_e32 v19, 32, v16
	v_subrev_u32_e32 v16, 28, v19
	v_lshlrev_b64 v[16:17], v16, v[2:3]
	v_lshrrev_b32_e32 v18, 3, v5
	v_sub_u32_e32 v17, 29, v19
	v_and_b32_e32 v16, 7, v16
	v_cmp_gt_u32_e32 vcc, 8, v5
	v_cndmask_b32_e32 v5, v18, v17, vcc
	v_cndmask_b32_e32 v15, v15, v16, vcc
	v_lshlrev_b32_e32 v2, 24, v2
	v_bfrev_b32_e32 v16, 60
	v_lshlrev_b32_e32 v15, 20, v15
	v_and_b32_e32 v2, 0x80000000, v2
	v_lshl_add_u32 v5, v5, 23, v16
	v_or3_b32 v15, v2, v5, v15
.LBB576_781:
	s_or_b64 exec, exec, s[10:11]
.LBB576_782:
	s_or_b64 exec, exec, s[8:9]
.LBB576_783:
	s_or_b64 exec, exec, s[2:3]
	v_cvt_pkrtz_f16_f32 v2, v10, v11
	v_cvt_pkrtz_f16_f32 v3, v3, v13
	ds_read_b128 v[16:19], v22 offset:6160
	s_load_dword s2, s[42:43], 0x0
	v_cmp_gt_u32_e32 vcc, 64, v0
	s_waitcnt lgkmcnt(0)
	v_mfma_f32_16x16x16f16 v[6:9], v[2:3], v[16:17], v[6:9]
	v_cvt_pkrtz_f16_f32 v2, v12, v14
	v_cvt_pkrtz_f16_f32 v3, v4, v15
	s_barrier
	s_nop 0
	v_mfma_f32_16x16x16f16 v[2:5], v[2:3], v[18:19], v[6:9]
	s_nop 7
	s_nop 2
	v_pk_mul_f32 v[4:5], v[4:5], s[2:3] op_sel_hi:[1,0]
	v_pk_mul_f32 v[2:3], v[2:3], s[2:3] op_sel_hi:[1,0]
	v_cvt_f16_f32_e32 v2, v2
	v_cvt_f16_f32_e32 v3, v3
	;; [unrolled: 1-line block ×4, first 2 shown]
	v_cmp_ne_u32_e64 s[2:3], 3, v47
	s_and_b64 s[2:3], s[2:3], vcc
	v_pack_b32_f16 v2, v2, v3
	v_pack_b32_f16 v3, v4, v5
	s_and_b64 s[0:1], s[2:3], s[0:1]
	ds_write_b64 v28, v[2:3]
	s_waitcnt lgkmcnt(0)
	s_barrier
	s_and_saveexec_b64 s[2:3], s[0:1]
	s_cbranch_execz .LBB576_785
; %bb.784:
	s_load_dwordx2 s[0:1], s[4:5], 0x68
	s_mul_i32 s2, s12, s6
	s_lshl_b32 s4, s44, 6
	s_mul_hi_u32 s3, s2, s4
	s_mul_i32 s2, s2, s4
	s_lshl_b64 s[2:3], s[2:3], 1
	s_waitcnt lgkmcnt(0)
	s_add_u32 s2, s0, s2
	s_addc_u32 s3, s1, s3
	s_lshl_b32 s0, s24, 6
	s_mov_b32 s1, 0
	v_lshlrev_b32_e32 v0, 10, v0
	s_lshl_b64 s[0:1], s[0:1], 1
	v_and_b32_e32 v0, 0x1800, v0
	v_lshlrev_b32_e32 v2, 5, v47
	v_and_b32_e32 v3, 16, v48
	s_add_u32 s2, s2, s0
	v_or3_b32 v0, v0, v2, v3
	s_addc_u32 s3, s3, s1
	v_mad_u64_u32 v[6:7], s[0:1], s4, v46, 0
	ds_read_b128 v[2:5], v0
	v_lshlrev_b64 v[6:7], 1, v[6:7]
	v_mov_b32_e32 v0, s3
	v_add_co_u32_e32 v6, vcc, s2, v6
	v_addc_co_u32_e32 v7, vcc, v0, v7, vcc
	v_add_co_u32_e32 v0, vcc, v6, v1
	v_addc_co_u32_e32 v1, vcc, 0, v7, vcc
	s_waitcnt lgkmcnt(0)
	global_store_dwordx4 v[0:1], v[2:5], off
.LBB576_785:
	s_endpgm
	.section	.rodata,"a",@progbits
	.p2align	6, 0x0
	.amdhsa_kernel _Z39paged_attention_ll4mi_QKV_mfma16_kernelIDF16_hLN4vllm18Fp8KVCacheDataTypeE1EDF16_Li16ELi64ELi256ELb0ELi3EL8MFMAType0EEvPKT_PKT0_S8_ifPKiSA_SA_iPKfiiiPfSD_PS3_PT2_iSC_SC_
		.amdhsa_group_segment_fixed_size 8192
		.amdhsa_private_segment_fixed_size 0
		.amdhsa_kernarg_size 400
		.amdhsa_user_sgpr_count 6
		.amdhsa_user_sgpr_private_segment_buffer 1
		.amdhsa_user_sgpr_dispatch_ptr 0
		.amdhsa_user_sgpr_queue_ptr 0
		.amdhsa_user_sgpr_kernarg_segment_ptr 1
		.amdhsa_user_sgpr_dispatch_id 0
		.amdhsa_user_sgpr_flat_scratch_init 0
		.amdhsa_user_sgpr_kernarg_preload_length 0
		.amdhsa_user_sgpr_kernarg_preload_offset 0
		.amdhsa_user_sgpr_private_segment_size 0
		.amdhsa_uses_dynamic_stack 0
		.amdhsa_system_sgpr_private_segment_wavefront_offset 0
		.amdhsa_system_sgpr_workgroup_id_x 1
		.amdhsa_system_sgpr_workgroup_id_y 1
		.amdhsa_system_sgpr_workgroup_id_z 1
		.amdhsa_system_sgpr_workgroup_info 0
		.amdhsa_system_vgpr_workitem_id 0
		.amdhsa_next_free_vgpr 62
		.amdhsa_next_free_sgpr 47
		.amdhsa_accum_offset 64
		.amdhsa_reserve_vcc 1
		.amdhsa_reserve_flat_scratch 0
		.amdhsa_float_round_mode_32 0
		.amdhsa_float_round_mode_16_64 0
		.amdhsa_float_denorm_mode_32 3
		.amdhsa_float_denorm_mode_16_64 3
		.amdhsa_dx10_clamp 1
		.amdhsa_ieee_mode 1
		.amdhsa_fp16_overflow 0
		.amdhsa_tg_split 0
		.amdhsa_exception_fp_ieee_invalid_op 0
		.amdhsa_exception_fp_denorm_src 0
		.amdhsa_exception_fp_ieee_div_zero 0
		.amdhsa_exception_fp_ieee_overflow 0
		.amdhsa_exception_fp_ieee_underflow 0
		.amdhsa_exception_fp_ieee_inexact 0
		.amdhsa_exception_int_div_zero 0
	.end_amdhsa_kernel
	.section	.text._Z39paged_attention_ll4mi_QKV_mfma16_kernelIDF16_hLN4vllm18Fp8KVCacheDataTypeE1EDF16_Li16ELi64ELi256ELb0ELi3EL8MFMAType0EEvPKT_PKT0_S8_ifPKiSA_SA_iPKfiiiPfSD_PS3_PT2_iSC_SC_,"axG",@progbits,_Z39paged_attention_ll4mi_QKV_mfma16_kernelIDF16_hLN4vllm18Fp8KVCacheDataTypeE1EDF16_Li16ELi64ELi256ELb0ELi3EL8MFMAType0EEvPKT_PKT0_S8_ifPKiSA_SA_iPKfiiiPfSD_PS3_PT2_iSC_SC_,comdat
.Lfunc_end576:
	.size	_Z39paged_attention_ll4mi_QKV_mfma16_kernelIDF16_hLN4vllm18Fp8KVCacheDataTypeE1EDF16_Li16ELi64ELi256ELb0ELi3EL8MFMAType0EEvPKT_PKT0_S8_ifPKiSA_SA_iPKfiiiPfSD_PS3_PT2_iSC_SC_, .Lfunc_end576-_Z39paged_attention_ll4mi_QKV_mfma16_kernelIDF16_hLN4vllm18Fp8KVCacheDataTypeE1EDF16_Li16ELi64ELi256ELb0ELi3EL8MFMAType0EEvPKT_PKT0_S8_ifPKiSA_SA_iPKfiiiPfSD_PS3_PT2_iSC_SC_
                                        ; -- End function
	.section	.AMDGPU.csdata,"",@progbits
; Kernel info:
; codeLenInByte = 26876
; NumSgprs: 51
; NumVgprs: 62
; NumAgprs: 0
; TotalNumVgprs: 62
; ScratchSize: 0
; MemoryBound: 0
; FloatMode: 240
; IeeeMode: 1
; LDSByteSize: 8192 bytes/workgroup (compile time only)
; SGPRBlocks: 6
; VGPRBlocks: 7
; NumSGPRsForWavesPerEU: 51
; NumVGPRsForWavesPerEU: 62
; AccumOffset: 64
; Occupancy: 8
; WaveLimiterHint : 1
; COMPUTE_PGM_RSRC2:SCRATCH_EN: 0
; COMPUTE_PGM_RSRC2:USER_SGPR: 6
; COMPUTE_PGM_RSRC2:TRAP_HANDLER: 0
; COMPUTE_PGM_RSRC2:TGID_X_EN: 1
; COMPUTE_PGM_RSRC2:TGID_Y_EN: 1
; COMPUTE_PGM_RSRC2:TGID_Z_EN: 1
; COMPUTE_PGM_RSRC2:TIDIG_COMP_CNT: 0
; COMPUTE_PGM_RSRC3_GFX90A:ACCUM_OFFSET: 15
; COMPUTE_PGM_RSRC3_GFX90A:TG_SPLIT: 0
	.section	.text._Z39paged_attention_ll4mi_QKV_mfma16_kernelIDF16_hLN4vllm18Fp8KVCacheDataTypeE1EDF16_Li16ELi64ELi256ELb0ELi4EL8MFMAType0EEvPKT_PKT0_S8_ifPKiSA_SA_iPKfiiiPfSD_PS3_PT2_iSC_SC_,"axG",@progbits,_Z39paged_attention_ll4mi_QKV_mfma16_kernelIDF16_hLN4vllm18Fp8KVCacheDataTypeE1EDF16_Li16ELi64ELi256ELb0ELi4EL8MFMAType0EEvPKT_PKT0_S8_ifPKiSA_SA_iPKfiiiPfSD_PS3_PT2_iSC_SC_,comdat
	.protected	_Z39paged_attention_ll4mi_QKV_mfma16_kernelIDF16_hLN4vllm18Fp8KVCacheDataTypeE1EDF16_Li16ELi64ELi256ELb0ELi4EL8MFMAType0EEvPKT_PKT0_S8_ifPKiSA_SA_iPKfiiiPfSD_PS3_PT2_iSC_SC_ ; -- Begin function _Z39paged_attention_ll4mi_QKV_mfma16_kernelIDF16_hLN4vllm18Fp8KVCacheDataTypeE1EDF16_Li16ELi64ELi256ELb0ELi4EL8MFMAType0EEvPKT_PKT0_S8_ifPKiSA_SA_iPKfiiiPfSD_PS3_PT2_iSC_SC_
	.globl	_Z39paged_attention_ll4mi_QKV_mfma16_kernelIDF16_hLN4vllm18Fp8KVCacheDataTypeE1EDF16_Li16ELi64ELi256ELb0ELi4EL8MFMAType0EEvPKT_PKT0_S8_ifPKiSA_SA_iPKfiiiPfSD_PS3_PT2_iSC_SC_
	.p2align	8
	.type	_Z39paged_attention_ll4mi_QKV_mfma16_kernelIDF16_hLN4vllm18Fp8KVCacheDataTypeE1EDF16_Li16ELi64ELi256ELb0ELi4EL8MFMAType0EEvPKT_PKT0_S8_ifPKiSA_SA_iPKfiiiPfSD_PS3_PT2_iSC_SC_,@function
_Z39paged_attention_ll4mi_QKV_mfma16_kernelIDF16_hLN4vllm18Fp8KVCacheDataTypeE1EDF16_Li16ELi64ELi256ELb0ELi4EL8MFMAType0EEvPKT_PKT0_S8_ifPKiSA_SA_iPKfiiiPfSD_PS3_PT2_iSC_SC_: ; @_Z39paged_attention_ll4mi_QKV_mfma16_kernelIDF16_hLN4vllm18Fp8KVCacheDataTypeE1EDF16_Li16ELi64ELi256ELb0ELi4EL8MFMAType0EEvPKT_PKT0_S8_ifPKiSA_SA_iPKfiiiPfSD_PS3_PT2_iSC_SC_
; %bb.0:
	s_load_dwordx2 s[0:1], s[4:5], 0x30
	s_mov_b32 s22, s7
	s_mov_b64 s[10:11], 0
	s_waitcnt lgkmcnt(0)
	s_cmp_lg_u64 s[0:1], 0
	s_cselect_b64 s[2:3], -1, 0
	s_and_b64 vcc, exec, s[2:3]
	s_cbranch_vccz .LBB577_7
; %bb.1:
	s_add_i32 s12, s6, 1
	s_mov_b32 s13, 0
	s_lshl_b64 s[14:15], s[12:13], 2
	s_add_u32 s14, s0, s14
	s_mov_b32 s7, s13
	s_addc_u32 s15, s1, s15
	s_lshl_b64 s[12:13], s[6:7], 2
	s_add_u32 s12, s0, s12
	s_addc_u32 s13, s1, s13
	s_load_dword s9, s[14:15], 0x0
	s_load_dword s16, s[12:13], 0x0
	s_waitcnt lgkmcnt(0)
	s_sub_i32 s9, s9, s16
	s_cmp_eq_u32 s9, 1
	s_cselect_b64 s[12:13], -1, 0
	s_andn2_b64 vcc, exec, s[10:11]
	s_cbranch_vccnz .LBB577_3
.LBB577_2:
	s_mov_b32 s7, 0
	s_mov_b64 s[12:13], -1
.LBB577_3:
	s_andn2_b64 vcc, exec, s[12:13]
	s_cbranch_vccnz .LBB577_785
; %bb.4:
	s_load_dwordx2 s[12:13], s[4:5], 0x28
	s_lshl_b64 s[10:11], s[6:7], 2
	s_waitcnt lgkmcnt(0)
	s_add_u32 s12, s12, s10
	s_addc_u32 s13, s13, s11
	s_load_dword s33, s[12:13], 0x0
	s_lshl_b32 s20, s22, 8
	s_waitcnt lgkmcnt(0)
	s_cmp_ge_i32 s20, s33
	s_cbranch_scc1 .LBB577_785
; %bb.5:
	s_add_i32 s14, s33, 15
	s_load_dwordx2 s[12:13], s[4:5], 0x20
	s_load_dword s9, s[4:5], 0x38
	s_ashr_i32 s15, s14, 31
	v_and_b32_e32 v1, 0xcf, v0
	s_lshr_b32 s15, s15, 28
	v_add_u32_e32 v1, s20, v1
	s_add_i32 s14, s14, s15
	v_ashrrev_i32_e32 v2, 31, v1
	s_ashr_i32 s24, s14, 4
	v_lshrrev_b32_e32 v4, 28, v2
	s_add_i32 s24, s24, -1
	v_add_u32_e32 v2, v1, v4
	s_waitcnt lgkmcnt(0)
	s_mul_i32 s14, s6, s9
	s_mov_b32 s15, 0
	v_ashrrev_i32_e32 v2, 4, v2
	v_mov_b32_e32 v5, s24
	v_cmp_gt_i32_e32 vcc, s33, v1
	s_lshl_b64 s[14:15], s[14:15], 2
	v_cndmask_b32_e32 v2, v5, v2, vcc
	s_add_u32 s9, s12, s14
	v_ashrrev_i32_e32 v3, 31, v2
	s_addc_u32 s21, s13, s15
	v_lshlrev_b64 v[2:3], 2, v[2:3]
	v_mov_b32_e32 v7, s21
	v_add_co_u32_e32 v6, vcc, s9, v2
	v_or_b32_e32 v2, 16, v1
	v_addc_co_u32_e32 v7, vcc, v7, v3, vcc
	v_add_u32_e32 v3, v2, v4
	v_ashrrev_i32_e32 v3, 4, v3
	v_cmp_gt_i32_e32 vcc, s33, v2
	v_cndmask_b32_e32 v2, v5, v3, vcc
	v_ashrrev_i32_e32 v3, 31, v2
	v_lshlrev_b64 v[2:3], 2, v[2:3]
	v_mov_b32_e32 v9, s21
	v_add_co_u32_e32 v8, vcc, s9, v2
	v_or_b32_e32 v2, 32, v1
	v_addc_co_u32_e32 v9, vcc, v9, v3, vcc
	v_add_u32_e32 v3, v2, v4
	v_ashrrev_i32_e32 v3, 4, v3
	v_cmp_gt_i32_e32 vcc, s33, v2
	v_cndmask_b32_e32 v2, v5, v3, vcc
	v_ashrrev_i32_e32 v3, 31, v2
	;; [unrolled: 10-line block ×3, first 2 shown]
	v_lshlrev_b64 v[2:3], 2, v[2:3]
	v_mov_b32_e32 v1, s21
	v_add_co_u32_e32 v12, vcc, s9, v2
	v_addc_co_u32_e32 v13, vcc, v1, v3, vcc
	global_load_dword v4, v[6:7], off
	global_load_dword v5, v[8:9], off
	;; [unrolled: 1-line block ×4, first 2 shown]
	s_load_dwordx4 s[12:15], s[4:5], 0x8
	s_andn2_b64 vcc, exec, s[2:3]
	s_cbranch_vccnz .LBB577_8
; %bb.6:
	s_add_u32 s0, s0, s10
	s_addc_u32 s1, s1, s11
	s_load_dword s2, s[0:1], 0x0
	s_branch .LBB577_9
.LBB577_7:
	s_mov_b64 s[12:13], 0
	s_branch .LBB577_2
.LBB577_8:
	s_mov_b32 s2, s6
.LBB577_9:
	s_load_dwordx4 s[16:19], s[4:5], 0x48
	v_and_b32_e32 v51, 15, v0
	v_bfe_u32 v49, v0, 4, 2
	s_lshl_b32 s23, s8, 2
	v_lshlrev_b32_e32 v1, 3, v51
	v_cmp_gt_u32_e32 vcc, 64, v0
	v_cmp_gt_u32_e64 s[0:1], 8, v51
	v_lshrrev_b32_e32 v50, 6, v0
	v_or_b32_e32 v46, s23, v49
	s_and_b64 s[44:45], vcc, s[0:1]
	v_lshlrev_b32_e32 v1, 1, v1
	v_lshlrev_b32_e32 v47, 5, v49
	;; [unrolled: 1-line block ×3, first 2 shown]
	s_and_saveexec_b64 s[0:1], s[44:45]
	s_cbranch_execz .LBB577_11
; %bb.10:
	s_load_dwordx2 s[10:11], s[4:5], 0x0
	s_waitcnt lgkmcnt(0)
	s_ashr_i32 s3, s16, 31
	s_mul_hi_u32 s19, s2, s16
	s_mul_i32 s3, s2, s3
	s_add_i32 s3, s19, s3
	s_mul_i32 s2, s2, s16
	s_lshl_b64 s[2:3], s[2:3], 1
	v_lshlrev_b32_e32 v6, 6, v46
	s_add_u32 s2, s10, s2
	v_ashrrev_i32_e32 v7, 31, v6
	s_addc_u32 s3, s11, s3
	v_lshlrev_b64 v[6:7], 1, v[6:7]
	v_mov_b32_e32 v8, s3
	v_add_co_u32_e32 v6, vcc, s2, v6
	v_addc_co_u32_e32 v7, vcc, v8, v7, vcc
	v_add_co_u32_e32 v6, vcc, v6, v1
	v_addc_co_u32_e32 v7, vcc, 0, v7, vcc
	global_load_dwordx4 v[6:9], v[6:7], off
	v_lshlrev_b32_e32 v12, 8, v51
	v_lshl_or_b32 v10, v50, 7, v47
	v_and_b32_e32 v11, 16, v48
	v_and_b32_e32 v12, 0xe00, v12
	v_or3_b32 v10, v12, v10, v11
	s_waitcnt vmcnt(0)
	ds_write_b128 v10, v[6:9]
.LBB577_11:
	s_or_b64 exec, exec, s[0:1]
	v_and_b32_e32 v12, 48, v0
	v_or_b32_e32 v13, s20, v12
	v_ashrrev_i32_e32 v6, 4, v13
	v_mov_b32_e32 v14, s24
	v_cmp_gt_i32_e32 vcc, s33, v13
	v_cndmask_b32_e32 v6, v14, v6, vcc
	v_ashrrev_i32_e32 v7, 31, v6
	v_lshlrev_b64 v[6:7], 2, v[6:7]
	v_mov_b32_e32 v8, s21
	v_add_co_u32_e32 v6, vcc, s9, v6
	v_addc_co_u32_e32 v7, vcc, v8, v7, vcc
	v_or_b32_e32 v8, 64, v13
	v_ashrrev_i32_e32 v9, 4, v8
	v_cmp_gt_i32_e32 vcc, s33, v8
	v_cndmask_b32_e32 v8, v14, v9, vcc
	v_ashrrev_i32_e32 v9, 31, v8
	v_lshlrev_b64 v[8:9], 2, v[8:9]
	v_mov_b32_e32 v10, s21
	v_add_co_u32_e32 v8, vcc, s9, v8
	v_addc_co_u32_e32 v9, vcc, v10, v9, vcc
	v_or_b32_e32 v10, 0x80, v13
	v_ashrrev_i32_e32 v11, 4, v10
	v_cmp_gt_i32_e32 vcc, s33, v10
	v_cndmask_b32_e32 v10, v14, v11, vcc
	v_ashrrev_i32_e32 v11, 31, v10
	v_lshlrev_b64 v[10:11], 2, v[10:11]
	v_mov_b32_e32 v15, s21
	v_add_co_u32_e32 v10, vcc, s9, v10
	s_load_dwordx2 s[46:47], s[4:5], 0x94
	s_load_dwordx4 s[40:43], s[4:5], 0x80
	s_waitcnt lgkmcnt(0)
	s_barrier
	v_addc_co_u32_e32 v11, vcc, v15, v11, vcc
	global_load_dword v15, v[6:7], off
	global_load_dword v16, v[8:9], off
	;; [unrolled: 1-line block ×3, first 2 shown]
	v_or_b32_e32 v6, 0xc0, v13
	v_ashrrev_i32_e32 v7, 4, v6
	v_cmp_gt_i32_e32 vcc, s33, v6
	v_cndmask_b32_e32 v6, v14, v7, vcc
	v_ashrrev_i32_e32 v7, 31, v6
	v_lshlrev_b64 v[6:7], 2, v[6:7]
	v_mov_b32_e32 v8, s21
	v_add_co_u32_e32 v6, vcc, s9, v6
	v_addc_co_u32_e32 v7, vcc, v8, v7, vcc
	global_load_dword v20, v[6:7], off
	s_mul_i32 s8, s8, s18
	s_add_u32 s0, s12, s8
	s_addc_u32 s1, s13, 0
	v_and_b32_e32 v6, 0xf0, v48
	v_mov_b32_e32 v7, s1
	v_add_co_u32_e32 v6, vcc, s0, v6
	v_addc_co_u32_e32 v7, vcc, 0, v7, vcc
	v_lshlrev_b32_e32 v8, 4, v12
	v_add_co_u32_e32 v6, vcc, v6, v8
	v_addc_co_u32_e32 v7, vcc, 0, v7, vcc
	s_waitcnt vmcnt(7)
	v_mad_i64_i32 v[8:9], s[0:1], v4, s17, v[6:7]
	s_waitcnt vmcnt(6)
	v_mad_i64_i32 v[4:5], s[0:1], v5, s17, v[6:7]
	global_load_dwordx4 v[30:33], v[8:9], off
	global_load_dwordx4 v[38:41], v[4:5], off
	s_waitcnt vmcnt(7)
	v_mad_i64_i32 v[4:5], s[0:1], v2, s17, v[6:7]
	s_waitcnt vmcnt(6)
	v_mad_i64_i32 v[2:3], s[0:1], v3, s17, v[6:7]
	global_load_dwordx4 v[34:37], v[4:5], off
	global_load_dwordx4 v[22:25], v[2:3], off
	s_add_u32 s0, s14, s8
	v_lshlrev_b32_e32 v2, 4, v51
	s_addc_u32 s1, s15, 0
	v_lshl_or_b32 v2, v50, 8, v2
	v_mov_b32_e32 v3, s1
	v_add_co_u32_e32 v2, vcc, s0, v2
	v_addc_co_u32_e32 v3, vcc, 0, v3, vcc
	v_mov_b32_e32 v43, 0
	s_movk_i32 s2, 0x80
	v_mov_b32_e32 v44, 0
	s_waitcnt vmcnt(7)
	v_mad_i64_i32 v[4:5], s[0:1], v15, s17, v[2:3]
	s_waitcnt vmcnt(6)
	v_mad_i64_i32 v[6:7], s[0:1], v16, s17, v[2:3]
	;; [unrolled: 2-line block ×3, first 2 shown]
	global_load_dwordx4 v[14:17], v[4:5], off
	global_load_dwordx4 v[10:13], v[6:7], off
	s_waitcnt vmcnt(6)
	v_mad_i64_i32 v[20:21], s[0:1], v20, s17, v[2:3]
	global_load_dwordx4 v[6:9], v[18:19], off
	global_load_dwordx4 v[2:5], v[20:21], off
	v_and_b32_e32 v18, 3, v0
	v_lshlrev_b32_e32 v18, 5, v18
	v_lshl_or_b32 v18, v49, 9, v18
	ds_read_b128 v[26:29], v18
	ds_read_b128 v[18:21], v18 offset:16
	s_load_dword s10, s[40:41], 0x0
	s_waitcnt vmcnt(7)
	v_cmp_ne_u16_sdwa s[8:9], v30, v43 src0_sel:BYTE_0 src1_sel:DWORD
	s_and_saveexec_b64 s[0:1], s[8:9]
	s_cbranch_execz .LBB577_17
; %bb.12:
	v_cmp_ne_u16_sdwa s[8:9], v30, s2 src0_sel:BYTE_0 src1_sel:DWORD
	v_bfrev_b32_e32 v44, 1
	s_and_saveexec_b64 s[2:3], s[8:9]
	s_cbranch_execz .LBB577_16
; %bb.13:
	s_movk_i32 s8, 0x7f
	v_and_b32_e32 v42, 0x7f, v30
	v_cmp_ne_u32_e32 vcc, s8, v42
	v_mov_b32_e32 v44, 0x7f800001
	s_and_saveexec_b64 s[8:9], vcc
	s_cbranch_execz .LBB577_15
; %bb.14:
	v_and_b32_e32 v52, 7, v30
	v_ffbh_u32_e32 v44, v52
	v_min_u32_e32 v54, 32, v44
	v_subrev_u32_e32 v44, 28, v54
	v_lshlrev_b64 v[44:45], v44, v[30:31]
	v_lshrrev_b32_e32 v53, 3, v42
	v_sub_u32_e32 v45, 29, v54
	v_and_b32_e32 v44, 7, v44
	v_cmp_gt_u32_e32 vcc, 8, v42
	v_cndmask_b32_e32 v42, v53, v45, vcc
	v_cndmask_b32_e32 v44, v52, v44, vcc
	v_lshlrev_b32_e32 v45, 24, v30
	v_bfrev_b32_e32 v52, 60
	v_lshlrev_b32_e32 v44, 20, v44
	v_and_b32_e32 v45, 0x80000000, v45
	v_lshl_add_u32 v42, v42, 23, v52
	v_or3_b32 v44, v45, v42, v44
.LBB577_15:
	s_or_b64 exec, exec, s[8:9]
.LBB577_16:
	s_or_b64 exec, exec, s[2:3]
.LBB577_17:
	s_or_b64 exec, exec, s[0:1]
	v_lshrrev_b16_e32 v42, 8, v30
	v_cmp_ne_u16_e32 vcc, 0, v42
	s_and_saveexec_b64 s[0:1], vcc
	s_cbranch_execz .LBB577_23
; %bb.18:
	s_movk_i32 s2, 0x80
	v_cmp_ne_u16_e32 vcc, s2, v42
	v_bfrev_b32_e32 v43, 1
	s_and_saveexec_b64 s[2:3], vcc
	s_cbranch_execz .LBB577_22
; %bb.19:
	s_movk_i32 s8, 0x7f
	v_and_b32_e32 v45, 0x7f, v42
	v_cmp_ne_u32_e32 vcc, s8, v45
	v_mov_b32_e32 v43, 0x7f800001
	s_and_saveexec_b64 s[8:9], vcc
	s_cbranch_execz .LBB577_21
; %bb.20:
	v_and_b32_e32 v52, 7, v42
	v_ffbh_u32_e32 v43, v52
	v_min_u32_e32 v54, 32, v43
	v_subrev_u32_e32 v43, 28, v54
	v_lshlrev_b64 v[42:43], v43, v[42:43]
	v_lshrrev_b32_e32 v53, 3, v45
	v_sub_u32_e32 v43, 29, v54
	v_and_b32_e32 v42, 7, v42
	v_cmp_gt_u32_e32 vcc, 8, v45
	v_cndmask_b32_e32 v43, v53, v43, vcc
	v_cndmask_b32_e32 v42, v52, v42, vcc
	v_lshlrev_b32_e32 v45, 16, v30
	v_bfrev_b32_e32 v52, 60
	v_lshlrev_b32_e32 v42, 20, v42
	v_and_b32_e32 v45, 0x80000000, v45
	v_lshl_add_u32 v43, v43, 23, v52
	v_or3_b32 v43, v45, v43, v42
.LBB577_21:
	s_or_b64 exec, exec, s[8:9]
.LBB577_22:
	s_or_b64 exec, exec, s[2:3]
.LBB577_23:
	s_or_b64 exec, exec, s[0:1]
	s_movk_i32 s0, 0xff
	v_and_b32_sdwa v53, v30, s0 dst_sel:DWORD dst_unused:UNUSED_PAD src0_sel:WORD_1 src1_sel:DWORD
	v_lshrrev_b32_e32 v42, 16, v30
	v_cmp_ne_u16_e32 vcc, 0, v53
	v_mov_b32_e32 v45, 0
	v_mov_b32_e32 v52, 0
	s_and_saveexec_b64 s[0:1], vcc
	s_cbranch_execz .LBB577_29
; %bb.24:
	s_movk_i32 s2, 0x80
	v_cmp_ne_u16_e32 vcc, s2, v53
	v_bfrev_b32_e32 v52, 1
	s_and_saveexec_b64 s[2:3], vcc
	s_cbranch_execz .LBB577_28
; %bb.25:
	v_bfe_u32 v53, v30, 16, 7
	s_movk_i32 s8, 0x7f
	v_cmp_ne_u32_e32 vcc, s8, v53
	v_mov_b32_e32 v52, 0x7f800001
	s_and_saveexec_b64 s[8:9], vcc
	s_cbranch_execz .LBB577_27
; %bb.26:
	v_and_b32_e32 v52, 7, v42
	v_ffbh_u32_e32 v54, v52
	v_min_u32_e32 v57, 32, v54
	v_subrev_u32_e32 v54, 28, v57
	v_lshlrev_b64 v[54:55], v54, v[42:43]
	v_lshrrev_b32_e32 v56, 3, v53
	v_sub_u32_e32 v42, 29, v57
	v_and_b32_e32 v54, 7, v54
	v_cmp_gt_u32_e32 vcc, 8, v53
	v_mov_b32_e32 v53, 24
	v_cndmask_b32_e32 v42, v56, v42, vcc
	v_cndmask_b32_e32 v52, v52, v54, vcc
	v_lshlrev_b32_sdwa v53, v53, v30 dst_sel:DWORD dst_unused:UNUSED_PAD src0_sel:DWORD src1_sel:WORD_1
	v_bfrev_b32_e32 v54, 60
	v_lshlrev_b32_e32 v52, 20, v52
	v_and_b32_e32 v53, 0x80000000, v53
	v_lshl_add_u32 v42, v42, 23, v54
	v_or3_b32 v52, v53, v42, v52
.LBB577_27:
	s_or_b64 exec, exec, s[8:9]
.LBB577_28:
	s_or_b64 exec, exec, s[2:3]
.LBB577_29:
	s_or_b64 exec, exec, s[0:1]
	s_mov_b32 s0, 0xffffff
	v_cmp_lt_u32_e32 vcc, s0, v30
	s_and_saveexec_b64 s[0:1], vcc
	s_cbranch_execz .LBB577_35
; %bb.30:
	v_lshrrev_b32_e32 v42, 24, v30
	s_movk_i32 s2, 0x80
	v_cmp_ne_u32_e32 vcc, s2, v42
	v_bfrev_b32_e32 v45, 1
	s_and_saveexec_b64 s[2:3], vcc
	s_cbranch_execz .LBB577_34
; %bb.31:
	v_bfe_u32 v30, v30, 24, 7
	s_movk_i32 s8, 0x7f
	v_cmp_ne_u32_e32 vcc, s8, v30
	v_mov_b32_e32 v45, 0x7f800001
	s_and_saveexec_b64 s[8:9], vcc
	s_cbranch_execz .LBB577_33
; %bb.32:
	v_and_b32_e32 v45, 7, v42
	v_ffbh_u32_e32 v54, v45
	v_min_u32_e32 v56, 32, v54
	v_subrev_u32_e32 v54, 28, v56
	v_lshlrev_b64 v[54:55], v54, v[42:43]
	v_lshrrev_b32_e32 v53, 3, v30
	v_sub_u32_e32 v55, 29, v56
	v_and_b32_e32 v54, 7, v54
	v_cmp_gt_u32_e32 vcc, 8, v30
	v_cndmask_b32_e32 v30, v53, v55, vcc
	v_cndmask_b32_e32 v45, v45, v54, vcc
	v_lshlrev_b32_e32 v42, 24, v42
	v_bfrev_b32_e32 v53, 60
	v_lshlrev_b32_e32 v45, 20, v45
	v_and_b32_e32 v42, 0x80000000, v42
	v_lshl_add_u32 v30, v30, 23, v53
	v_or3_b32 v45, v42, v30, v45
.LBB577_33:
	s_or_b64 exec, exec, s[8:9]
.LBB577_34:
	s_or_b64 exec, exec, s[2:3]
.LBB577_35:
	s_or_b64 exec, exec, s[0:1]
	v_mov_b32_e32 v42, 0
	v_cmp_ne_u16_sdwa s[2:3], v31, v42 src0_sel:BYTE_0 src1_sel:DWORD
	v_mov_b32_e32 v53, 0
	s_and_saveexec_b64 s[0:1], s[2:3]
	s_cbranch_execz .LBB577_41
; %bb.36:
	s_movk_i32 s2, 0x80
	v_cmp_ne_u16_sdwa s[8:9], v31, s2 src0_sel:BYTE_0 src1_sel:DWORD
	v_bfrev_b32_e32 v53, 1
	s_and_saveexec_b64 s[2:3], s[8:9]
	s_cbranch_execz .LBB577_40
; %bb.37:
	s_movk_i32 s8, 0x7f
	v_and_b32_e32 v30, 0x7f, v31
	v_cmp_ne_u32_e32 vcc, s8, v30
	v_mov_b32_e32 v53, 0x7f800001
	s_and_saveexec_b64 s[8:9], vcc
	s_cbranch_execz .LBB577_39
; %bb.38:
	v_and_b32_e32 v53, 7, v31
	v_ffbh_u32_e32 v55, v53
	v_min_u32_e32 v57, 32, v55
	v_mov_b32_e32 v54, v31
	v_subrev_u32_e32 v55, 28, v57
	v_lshlrev_b64 v[54:55], v55, v[54:55]
	v_lshrrev_b32_e32 v56, 3, v30
	v_sub_u32_e32 v55, 29, v57
	v_and_b32_e32 v54, 7, v54
	v_cmp_gt_u32_e32 vcc, 8, v30
	v_cndmask_b32_e32 v30, v56, v55, vcc
	v_cndmask_b32_e32 v53, v53, v54, vcc
	v_lshlrev_b32_e32 v54, 24, v31
	v_bfrev_b32_e32 v55, 60
	v_lshlrev_b32_e32 v53, 20, v53
	v_and_b32_e32 v54, 0x80000000, v54
	v_lshl_add_u32 v30, v30, 23, v55
	v_or3_b32 v53, v54, v30, v53
.LBB577_39:
	s_or_b64 exec, exec, s[8:9]
.LBB577_40:
	s_or_b64 exec, exec, s[2:3]
.LBB577_41:
	s_or_b64 exec, exec, s[0:1]
	v_lshrrev_b16_e32 v30, 8, v31
	v_cmp_ne_u16_e32 vcc, 0, v30
	s_and_saveexec_b64 s[0:1], vcc
	s_cbranch_execz .LBB577_47
; %bb.42:
	s_movk_i32 s2, 0x80
	v_cmp_ne_u16_e32 vcc, s2, v30
	v_bfrev_b32_e32 v42, 1
	s_and_saveexec_b64 s[2:3], vcc
	s_cbranch_execz .LBB577_46
; %bb.43:
	s_movk_i32 s8, 0x7f
	v_and_b32_e32 v54, 0x7f, v30
	v_cmp_ne_u32_e32 vcc, s8, v54
	v_mov_b32_e32 v42, 0x7f800001
	s_and_saveexec_b64 s[8:9], vcc
	s_cbranch_execz .LBB577_45
; %bb.44:
	v_and_b32_e32 v42, 7, v30
	v_ffbh_u32_e32 v56, v42
	v_min_u32_e32 v58, 32, v56
	v_subrev_u32_e32 v56, 28, v58
	v_lshlrev_b64 v[56:57], v56, v[30:31]
	v_lshrrev_b32_e32 v55, 3, v54
	v_sub_u32_e32 v30, 29, v58
	v_and_b32_e32 v56, 7, v56
	v_cmp_gt_u32_e32 vcc, 8, v54
	v_cndmask_b32_e32 v30, v55, v30, vcc
	v_cndmask_b32_e32 v42, v42, v56, vcc
	v_lshlrev_b32_e32 v54, 16, v31
	v_bfrev_b32_e32 v55, 60
	v_lshlrev_b32_e32 v42, 20, v42
	v_and_b32_e32 v54, 0x80000000, v54
	v_lshl_add_u32 v30, v30, 23, v55
	v_or3_b32 v42, v54, v30, v42
.LBB577_45:
	s_or_b64 exec, exec, s[8:9]
.LBB577_46:
	s_or_b64 exec, exec, s[2:3]
.LBB577_47:
	s_or_b64 exec, exec, s[0:1]
	s_movk_i32 s0, 0xff
	v_and_b32_sdwa v56, v31, s0 dst_sel:DWORD dst_unused:UNUSED_PAD src0_sel:WORD_1 src1_sel:DWORD
	v_lshrrev_b32_e32 v30, 16, v31
	v_cmp_ne_u16_e32 vcc, 0, v56
	v_mov_b32_e32 v54, 0
	v_mov_b32_e32 v55, 0
	s_and_saveexec_b64 s[0:1], vcc
	s_cbranch_execz .LBB577_53
; %bb.48:
	s_movk_i32 s2, 0x80
	v_cmp_ne_u16_e32 vcc, s2, v56
	v_bfrev_b32_e32 v55, 1
	s_and_saveexec_b64 s[2:3], vcc
	s_cbranch_execz .LBB577_52
; %bb.49:
	v_bfe_u32 v56, v31, 16, 7
	s_movk_i32 s8, 0x7f
	v_cmp_ne_u32_e32 vcc, s8, v56
	v_mov_b32_e32 v55, 0x7f800001
	s_and_saveexec_b64 s[8:9], vcc
	s_cbranch_execz .LBB577_51
; %bb.50:
	v_and_b32_e32 v55, 7, v30
	v_ffbh_u32_e32 v58, v55
	v_min_u32_e32 v60, 32, v58
	v_subrev_u32_e32 v58, 28, v60
	v_lshlrev_b64 v[58:59], v58, v[30:31]
	v_lshrrev_b32_e32 v57, 3, v56
	v_sub_u32_e32 v30, 29, v60
	v_and_b32_e32 v58, 7, v58
	v_cmp_gt_u32_e32 vcc, 8, v56
	v_mov_b32_e32 v56, 24
	v_cndmask_b32_e32 v30, v57, v30, vcc
	v_cndmask_b32_e32 v55, v55, v58, vcc
	v_lshlrev_b32_sdwa v56, v56, v31 dst_sel:DWORD dst_unused:UNUSED_PAD src0_sel:DWORD src1_sel:WORD_1
	v_bfrev_b32_e32 v57, 60
	v_lshlrev_b32_e32 v55, 20, v55
	v_and_b32_e32 v56, 0x80000000, v56
	v_lshl_add_u32 v30, v30, 23, v57
	v_or3_b32 v55, v56, v30, v55
.LBB577_51:
	s_or_b64 exec, exec, s[8:9]
.LBB577_52:
	s_or_b64 exec, exec, s[2:3]
.LBB577_53:
	s_or_b64 exec, exec, s[0:1]
	s_mov_b32 s0, 0xffffff
	v_cmp_lt_u32_e32 vcc, s0, v31
	s_and_saveexec_b64 s[0:1], vcc
	s_cbranch_execz .LBB577_59
; %bb.54:
	v_lshrrev_b32_e32 v30, 24, v31
	s_movk_i32 s2, 0x80
	v_cmp_ne_u32_e32 vcc, s2, v30
	v_bfrev_b32_e32 v54, 1
	s_and_saveexec_b64 s[2:3], vcc
	s_cbranch_execz .LBB577_58
; %bb.55:
	v_bfe_u32 v31, v31, 24, 7
	s_movk_i32 s8, 0x7f
	v_cmp_ne_u32_e32 vcc, s8, v31
	v_mov_b32_e32 v54, 0x7f800001
	s_and_saveexec_b64 s[8:9], vcc
	s_cbranch_execz .LBB577_57
; %bb.56:
	v_and_b32_e32 v54, 7, v30
	v_ffbh_u32_e32 v56, v54
	v_min_u32_e32 v59, 32, v56
	v_subrev_u32_e32 v56, 28, v59
	v_lshlrev_b64 v[56:57], v56, v[30:31]
	v_lshrrev_b32_e32 v58, 3, v31
	v_sub_u32_e32 v57, 29, v59
	v_and_b32_e32 v56, 7, v56
	v_cmp_gt_u32_e32 vcc, 8, v31
	v_cndmask_b32_e32 v31, v58, v57, vcc
	v_cndmask_b32_e32 v54, v54, v56, vcc
	v_lshlrev_b32_e32 v30, 24, v30
	v_bfrev_b32_e32 v56, 60
	v_lshlrev_b32_e32 v54, 20, v54
	v_and_b32_e32 v30, 0x80000000, v30
	v_lshl_add_u32 v31, v31, 23, v56
	v_or3_b32 v54, v30, v31, v54
.LBB577_57:
	s_or_b64 exec, exec, s[8:9]
.LBB577_58:
	s_or_b64 exec, exec, s[2:3]
.LBB577_59:
	s_or_b64 exec, exec, s[0:1]
	v_cvt_pkrtz_f16_f32 v30, v44, v43
	v_cvt_pkrtz_f16_f32 v31, v52, v45
	;; [unrolled: 1-line block ×4, first 2 shown]
	v_mov_b32_e32 v53, 0
	s_waitcnt lgkmcnt(0)
	v_mfma_f32_16x16x16f16 v[56:59], v[30:31], v[26:27], 0
	v_mov_b32_e32 v31, 0
	v_cmp_ne_u16_sdwa s[2:3], v32, v31 src0_sel:BYTE_0 src1_sel:DWORD
	v_mfma_f32_16x16x16f16 v[42:45], v[42:43], v[28:29], v[56:59]
	s_and_saveexec_b64 s[0:1], s[2:3]
	s_cbranch_execz .LBB577_65
; %bb.60:
	s_movk_i32 s2, 0x80
	v_cmp_ne_u16_sdwa s[8:9], v32, s2 src0_sel:BYTE_0 src1_sel:DWORD
	v_bfrev_b32_e32 v53, 1
	s_and_saveexec_b64 s[2:3], s[8:9]
	s_cbranch_execz .LBB577_64
; %bb.61:
	s_movk_i32 s8, 0x7f
	v_and_b32_e32 v30, 0x7f, v32
	v_cmp_ne_u32_e32 vcc, s8, v30
	v_mov_b32_e32 v53, 0x7f800001
	s_and_saveexec_b64 s[8:9], vcc
	s_cbranch_execz .LBB577_63
; %bb.62:
	v_and_b32_e32 v54, 7, v32
	v_ffbh_u32_e32 v52, v54
	v_min_u32_e32 v56, 32, v52
	v_subrev_u32_e32 v52, 28, v56
	v_lshlrev_b64 v[52:53], v52, v[32:33]
	v_lshrrev_b32_e32 v55, 3, v30
	v_sub_u32_e32 v53, 29, v56
	v_and_b32_e32 v52, 7, v52
	v_cmp_gt_u32_e32 vcc, 8, v30
	v_cndmask_b32_e32 v30, v55, v53, vcc
	v_cndmask_b32_e32 v52, v54, v52, vcc
	v_lshlrev_b32_e32 v53, 24, v32
	v_bfrev_b32_e32 v54, 60
	v_lshlrev_b32_e32 v52, 20, v52
	v_and_b32_e32 v53, 0x80000000, v53
	v_lshl_add_u32 v30, v30, 23, v54
	v_or3_b32 v53, v53, v30, v52
.LBB577_63:
	s_or_b64 exec, exec, s[8:9]
.LBB577_64:
	s_or_b64 exec, exec, s[2:3]
.LBB577_65:
	s_or_b64 exec, exec, s[0:1]
	v_lshrrev_b16_e32 v30, 8, v32
	v_cmp_ne_u16_e32 vcc, 0, v30
	v_mov_b32_e32 v54, 0
	s_and_saveexec_b64 s[0:1], vcc
	s_cbranch_execz .LBB577_71
; %bb.66:
	s_movk_i32 s2, 0x80
	v_cmp_ne_u16_e32 vcc, s2, v30
	v_bfrev_b32_e32 v54, 1
	s_and_saveexec_b64 s[2:3], vcc
	s_cbranch_execz .LBB577_70
; %bb.67:
	s_movk_i32 s8, 0x7f
	v_and_b32_e32 v52, 0x7f, v30
	v_cmp_ne_u32_e32 vcc, s8, v52
	v_mov_b32_e32 v54, 0x7f800001
	s_and_saveexec_b64 s[8:9], vcc
	s_cbranch_execz .LBB577_69
; %bb.68:
	v_and_b32_e32 v56, 7, v30
	v_ffbh_u32_e32 v54, v56
	v_min_u32_e32 v58, 32, v54
	v_subrev_u32_e32 v54, 28, v58
	v_lshlrev_b64 v[54:55], v54, v[30:31]
	v_lshrrev_b32_e32 v57, 3, v52
	v_sub_u32_e32 v30, 29, v58
	v_and_b32_e32 v54, 7, v54
	v_cmp_gt_u32_e32 vcc, 8, v52
	v_cndmask_b32_e32 v30, v57, v30, vcc
	v_cndmask_b32_e32 v52, v56, v54, vcc
	v_lshlrev_b32_e32 v54, 16, v32
	v_bfrev_b32_e32 v55, 60
	v_lshlrev_b32_e32 v52, 20, v52
	v_and_b32_e32 v54, 0x80000000, v54
	v_lshl_add_u32 v30, v30, 23, v55
	v_or3_b32 v54, v54, v30, v52
.LBB577_69:
	s_or_b64 exec, exec, s[8:9]
.LBB577_70:
	s_or_b64 exec, exec, s[2:3]
.LBB577_71:
	s_or_b64 exec, exec, s[0:1]
	s_movk_i32 s0, 0xff
	v_and_b32_sdwa v52, v32, s0 dst_sel:DWORD dst_unused:UNUSED_PAD src0_sel:WORD_1 src1_sel:DWORD
	v_lshrrev_b32_e32 v30, 16, v32
	v_cmp_ne_u16_e32 vcc, 0, v52
	s_and_saveexec_b64 s[0:1], vcc
	s_cbranch_execz .LBB577_77
; %bb.72:
	s_movk_i32 s2, 0x80
	v_cmp_ne_u16_e32 vcc, s2, v52
	v_bfrev_b32_e32 v31, 1
	s_and_saveexec_b64 s[2:3], vcc
	s_cbranch_execz .LBB577_76
; %bb.73:
	v_bfe_u32 v52, v32, 16, 7
	s_movk_i32 s8, 0x7f
	v_cmp_ne_u32_e32 vcc, s8, v52
	v_mov_b32_e32 v31, 0x7f800001
	s_and_saveexec_b64 s[8:9], vcc
	s_cbranch_execz .LBB577_75
; %bb.74:
	v_and_b32_e32 v55, 7, v30
	v_ffbh_u32_e32 v31, v55
	v_min_u32_e32 v57, 32, v31
	v_subrev_u32_e32 v31, 28, v57
	v_lshlrev_b64 v[30:31], v31, v[30:31]
	v_lshrrev_b32_e32 v56, 3, v52
	v_sub_u32_e32 v31, 29, v57
	v_and_b32_e32 v30, 7, v30
	v_cmp_gt_u32_e32 vcc, 8, v52
	v_mov_b32_e32 v52, 24
	v_cndmask_b32_e32 v31, v56, v31, vcc
	v_cndmask_b32_e32 v30, v55, v30, vcc
	v_lshlrev_b32_sdwa v52, v52, v32 dst_sel:DWORD dst_unused:UNUSED_PAD src0_sel:DWORD src1_sel:WORD_1
	v_bfrev_b32_e32 v55, 60
	v_lshlrev_b32_e32 v30, 20, v30
	v_and_b32_e32 v52, 0x80000000, v52
	v_lshl_add_u32 v31, v31, 23, v55
	v_or3_b32 v31, v52, v31, v30
.LBB577_75:
	s_or_b64 exec, exec, s[8:9]
.LBB577_76:
	s_or_b64 exec, exec, s[2:3]
.LBB577_77:
	s_or_b64 exec, exec, s[0:1]
	s_mov_b32 s0, 0xffffff
	v_cmp_lt_u32_e32 vcc, s0, v32
	v_mov_b32_e32 v55, 0
	v_mov_b32_e32 v56, 0
	s_and_saveexec_b64 s[0:1], vcc
	s_cbranch_execz .LBB577_83
; %bb.78:
	v_lshrrev_b32_e32 v30, 24, v32
	s_movk_i32 s2, 0x80
	v_cmp_ne_u32_e32 vcc, s2, v30
	v_bfrev_b32_e32 v56, 1
	s_and_saveexec_b64 s[2:3], vcc
	s_cbranch_execz .LBB577_82
; %bb.79:
	v_bfe_u32 v32, v32, 24, 7
	s_movk_i32 s8, 0x7f
	v_cmp_ne_u32_e32 vcc, s8, v32
	v_mov_b32_e32 v56, 0x7f800001
	s_and_saveexec_b64 s[8:9], vcc
	s_cbranch_execz .LBB577_81
; %bb.80:
	v_and_b32_e32 v52, 7, v30
	v_ffbh_u32_e32 v56, v52
	v_min_u32_e32 v59, 32, v56
	v_subrev_u32_e32 v56, 28, v59
	v_lshlrev_b64 v[56:57], v56, v[30:31]
	v_lshrrev_b32_e32 v58, 3, v32
	v_sub_u32_e32 v57, 29, v59
	v_and_b32_e32 v56, 7, v56
	v_cmp_gt_u32_e32 vcc, 8, v32
	v_cndmask_b32_e32 v32, v58, v57, vcc
	v_cndmask_b32_e32 v52, v52, v56, vcc
	v_lshlrev_b32_e32 v30, 24, v30
	v_bfrev_b32_e32 v56, 60
	v_lshlrev_b32_e32 v52, 20, v52
	v_and_b32_e32 v30, 0x80000000, v30
	v_lshl_add_u32 v32, v32, 23, v56
	v_or3_b32 v56, v30, v32, v52
.LBB577_81:
	s_or_b64 exec, exec, s[8:9]
.LBB577_82:
	s_or_b64 exec, exec, s[2:3]
.LBB577_83:
	s_or_b64 exec, exec, s[0:1]
	v_cmp_ne_u16_sdwa s[2:3], v33, v55 src0_sel:BYTE_0 src1_sel:DWORD
	s_and_saveexec_b64 s[0:1], s[2:3]
	s_cbranch_execz .LBB577_89
; %bb.84:
	s_movk_i32 s2, 0x80
	v_cmp_ne_u16_sdwa s[8:9], v33, s2 src0_sel:BYTE_0 src1_sel:DWORD
	v_bfrev_b32_e32 v55, 1
	s_and_saveexec_b64 s[2:3], s[8:9]
	s_cbranch_execz .LBB577_88
; %bb.85:
	s_movk_i32 s8, 0x7f
	v_and_b32_e32 v30, 0x7f, v33
	v_cmp_ne_u32_e32 vcc, s8, v30
	v_mov_b32_e32 v55, 0x7f800001
	s_and_saveexec_b64 s[8:9], vcc
	s_cbranch_execz .LBB577_87
; %bb.86:
	v_and_b32_e32 v52, 7, v33
	v_ffbh_u32_e32 v57, v52
	v_min_u32_e32 v57, 32, v57
	v_mov_b32_e32 v32, v33
	v_subrev_u32_e32 v58, 28, v57
	v_lshlrev_b64 v[58:59], v58, v[32:33]
	v_lshrrev_b32_e32 v55, 3, v30
	v_sub_u32_e32 v32, 29, v57
	v_and_b32_e32 v57, 7, v58
	v_cmp_gt_u32_e32 vcc, 8, v30
	v_cndmask_b32_e32 v30, v55, v32, vcc
	v_cndmask_b32_e32 v32, v52, v57, vcc
	v_lshlrev_b32_e32 v52, 24, v33
	v_bfrev_b32_e32 v55, 60
	v_lshlrev_b32_e32 v32, 20, v32
	v_and_b32_e32 v52, 0x80000000, v52
	v_lshl_add_u32 v30, v30, 23, v55
	v_or3_b32 v55, v52, v30, v32
.LBB577_87:
	s_or_b64 exec, exec, s[8:9]
.LBB577_88:
	s_or_b64 exec, exec, s[2:3]
.LBB577_89:
	s_or_b64 exec, exec, s[0:1]
	v_lshrrev_b16_e32 v30, 8, v33
	v_cmp_ne_u16_e32 vcc, 0, v30
	v_mov_b32_e32 v32, 0
	v_mov_b32_e32 v57, 0
	s_and_saveexec_b64 s[0:1], vcc
	s_cbranch_execz .LBB577_95
; %bb.90:
	s_movk_i32 s2, 0x80
	v_cmp_ne_u16_e32 vcc, s2, v30
	v_bfrev_b32_e32 v57, 1
	s_and_saveexec_b64 s[2:3], vcc
	s_cbranch_execz .LBB577_94
; %bb.91:
	s_movk_i32 s8, 0x7f
	v_and_b32_e32 v52, 0x7f, v30
	v_cmp_ne_u32_e32 vcc, s8, v52
	v_mov_b32_e32 v57, 0x7f800001
	s_and_saveexec_b64 s[8:9], vcc
	s_cbranch_execz .LBB577_93
; %bb.92:
	v_and_b32_e32 v57, 7, v30
	v_ffbh_u32_e32 v58, v57
	v_min_u32_e32 v61, 32, v58
	v_subrev_u32_e32 v58, 28, v61
	v_lshlrev_b64 v[58:59], v58, v[30:31]
	v_lshrrev_b32_e32 v60, 3, v52
	v_sub_u32_e32 v30, 29, v61
	v_and_b32_e32 v58, 7, v58
	v_cmp_gt_u32_e32 vcc, 8, v52
	v_cndmask_b32_e32 v30, v60, v30, vcc
	v_cndmask_b32_e32 v52, v57, v58, vcc
	v_lshlrev_b32_e32 v57, 16, v33
	v_bfrev_b32_e32 v58, 60
	v_lshlrev_b32_e32 v52, 20, v52
	v_and_b32_e32 v57, 0x80000000, v57
	v_lshl_add_u32 v30, v30, 23, v58
	v_or3_b32 v57, v57, v30, v52
.LBB577_93:
	s_or_b64 exec, exec, s[8:9]
.LBB577_94:
	s_or_b64 exec, exec, s[2:3]
.LBB577_95:
	s_or_b64 exec, exec, s[0:1]
	s_movk_i32 s0, 0xff
	v_and_b32_sdwa v52, v33, s0 dst_sel:DWORD dst_unused:UNUSED_PAD src0_sel:WORD_1 src1_sel:DWORD
	v_lshrrev_b32_e32 v30, 16, v33
	v_cmp_ne_u16_e32 vcc, 0, v52
	s_and_saveexec_b64 s[0:1], vcc
	s_cbranch_execz .LBB577_101
; %bb.96:
	s_movk_i32 s2, 0x80
	v_cmp_ne_u16_e32 vcc, s2, v52
	v_bfrev_b32_e32 v32, 1
	s_and_saveexec_b64 s[2:3], vcc
	s_cbranch_execz .LBB577_100
; %bb.97:
	v_bfe_u32 v52, v33, 16, 7
	s_movk_i32 s8, 0x7f
	v_cmp_ne_u32_e32 vcc, s8, v52
	v_mov_b32_e32 v32, 0x7f800001
	s_and_saveexec_b64 s[8:9], vcc
	s_cbranch_execz .LBB577_99
; %bb.98:
	v_and_b32_e32 v32, 7, v30
	v_ffbh_u32_e32 v58, v32
	v_min_u32_e32 v61, 32, v58
	v_subrev_u32_e32 v58, 28, v61
	v_lshlrev_b64 v[58:59], v58, v[30:31]
	v_lshrrev_b32_e32 v60, 3, v52
	v_sub_u32_e32 v30, 29, v61
	v_and_b32_e32 v58, 7, v58
	v_cmp_gt_u32_e32 vcc, 8, v52
	v_mov_b32_e32 v52, 24
	v_cndmask_b32_e32 v30, v60, v30, vcc
	v_cndmask_b32_e32 v32, v32, v58, vcc
	v_lshlrev_b32_sdwa v52, v52, v33 dst_sel:DWORD dst_unused:UNUSED_PAD src0_sel:DWORD src1_sel:WORD_1
	v_bfrev_b32_e32 v58, 60
	v_lshlrev_b32_e32 v32, 20, v32
	v_and_b32_e32 v52, 0x80000000, v52
	v_lshl_add_u32 v30, v30, 23, v58
	v_or3_b32 v32, v52, v30, v32
.LBB577_99:
	s_or_b64 exec, exec, s[8:9]
.LBB577_100:
	s_or_b64 exec, exec, s[2:3]
.LBB577_101:
	s_or_b64 exec, exec, s[0:1]
	s_mov_b32 s0, 0xffffff
	v_cmp_lt_u32_e32 vcc, s0, v33
	v_mov_b32_e32 v52, 0
	v_mov_b32_e32 v58, 0
	s_and_saveexec_b64 s[0:1], vcc
	s_cbranch_execz .LBB577_107
; %bb.102:
	v_lshrrev_b32_e32 v30, 24, v33
	s_movk_i32 s2, 0x80
	v_cmp_ne_u32_e32 vcc, s2, v30
	v_bfrev_b32_e32 v58, 1
	s_and_saveexec_b64 s[2:3], vcc
	s_cbranch_execz .LBB577_106
; %bb.103:
	v_bfe_u32 v33, v33, 24, 7
	s_movk_i32 s8, 0x7f
	v_cmp_ne_u32_e32 vcc, s8, v33
	v_mov_b32_e32 v58, 0x7f800001
	s_and_saveexec_b64 s[8:9], vcc
	s_cbranch_execz .LBB577_105
; %bb.104:
	v_and_b32_e32 v60, 7, v30
	v_ffbh_u32_e32 v58, v60
	v_min_u32_e32 v62, 32, v58
	v_subrev_u32_e32 v58, 28, v62
	v_lshlrev_b64 v[58:59], v58, v[30:31]
	v_lshrrev_b32_e32 v61, 3, v33
	v_sub_u32_e32 v59, 29, v62
	v_and_b32_e32 v58, 7, v58
	v_cmp_gt_u32_e32 vcc, 8, v33
	v_cndmask_b32_e32 v33, v61, v59, vcc
	v_cndmask_b32_e32 v58, v60, v58, vcc
	v_lshlrev_b32_e32 v30, 24, v30
	v_bfrev_b32_e32 v59, 60
	v_lshlrev_b32_e32 v58, 20, v58
	v_and_b32_e32 v30, 0x80000000, v30
	v_lshl_add_u32 v33, v33, 23, v59
	v_or3_b32 v58, v30, v33, v58
.LBB577_105:
	s_or_b64 exec, exec, s[8:9]
.LBB577_106:
	s_or_b64 exec, exec, s[2:3]
.LBB577_107:
	s_or_b64 exec, exec, s[0:1]
	v_cvt_pkrtz_f16_f32 v30, v53, v54
	v_cvt_pkrtz_f16_f32 v31, v31, v56
	s_waitcnt vmcnt(6)
	v_cmp_ne_u16_sdwa s[2:3], v38, v52 src0_sel:BYTE_0 src1_sel:DWORD
	v_mfma_f32_16x16x16f16 v[42:45], v[30:31], v[18:19], v[42:45]
	v_cvt_pkrtz_f16_f32 v30, v55, v57
	v_cvt_pkrtz_f16_f32 v31, v32, v58
	s_nop 1
	v_mfma_f32_16x16x16f16 v[30:33], v[30:31], v[20:21], v[42:45]
	s_and_saveexec_b64 s[0:1], s[2:3]
	s_cbranch_execz .LBB577_113
; %bb.108:
	s_movk_i32 s2, 0x80
	v_cmp_ne_u16_sdwa s[8:9], v38, s2 src0_sel:BYTE_0 src1_sel:DWORD
	v_bfrev_b32_e32 v52, 1
	s_and_saveexec_b64 s[2:3], s[8:9]
	s_cbranch_execz .LBB577_112
; %bb.109:
	s_movk_i32 s8, 0x7f
	v_and_b32_e32 v42, 0x7f, v38
	v_cmp_ne_u32_e32 vcc, s8, v42
	v_mov_b32_e32 v52, 0x7f800001
	s_and_saveexec_b64 s[8:9], vcc
	s_cbranch_execz .LBB577_111
; %bb.110:
	v_and_b32_e32 v43, 7, v38
	v_ffbh_u32_e32 v44, v43
	v_min_u32_e32 v53, 32, v44
	v_subrev_u32_e32 v44, 28, v53
	v_lshlrev_b64 v[44:45], v44, v[38:39]
	v_lshrrev_b32_e32 v52, 3, v42
	v_sub_u32_e32 v45, 29, v53
	v_and_b32_e32 v44, 7, v44
	v_cmp_gt_u32_e32 vcc, 8, v42
	v_cndmask_b32_e32 v42, v52, v45, vcc
	v_cndmask_b32_e32 v43, v43, v44, vcc
	v_lshlrev_b32_e32 v44, 24, v38
	v_bfrev_b32_e32 v45, 60
	v_lshlrev_b32_e32 v43, 20, v43
	v_and_b32_e32 v44, 0x80000000, v44
	v_lshl_add_u32 v42, v42, 23, v45
	v_or3_b32 v52, v44, v42, v43
.LBB577_111:
	s_or_b64 exec, exec, s[8:9]
.LBB577_112:
	s_or_b64 exec, exec, s[2:3]
.LBB577_113:
	s_or_b64 exec, exec, s[0:1]
	s_nop 3
	v_lshrrev_b16_e32 v42, 8, v38
	v_cmp_ne_u16_e32 vcc, 0, v42
	v_mov_b32_e32 v43, 0
	v_mov_b32_e32 v44, 0
	s_and_saveexec_b64 s[0:1], vcc
	s_cbranch_execz .LBB577_119
; %bb.114:
	s_movk_i32 s2, 0x80
	v_cmp_ne_u16_e32 vcc, s2, v42
	v_bfrev_b32_e32 v44, 1
	s_and_saveexec_b64 s[2:3], vcc
	s_cbranch_execz .LBB577_118
; %bb.115:
	s_movk_i32 s8, 0x7f
	v_and_b32_e32 v45, 0x7f, v42
	v_cmp_ne_u32_e32 vcc, s8, v45
	v_mov_b32_e32 v44, 0x7f800001
	s_and_saveexec_b64 s[8:9], vcc
	s_cbranch_execz .LBB577_117
; %bb.116:
	v_and_b32_e32 v44, 7, v42
	v_ffbh_u32_e32 v54, v44
	v_min_u32_e32 v56, 32, v54
	v_subrev_u32_e32 v54, 28, v56
	v_lshlrev_b64 v[54:55], v54, v[42:43]
	v_lshrrev_b32_e32 v53, 3, v45
	v_sub_u32_e32 v42, 29, v56
	v_and_b32_e32 v54, 7, v54
	v_cmp_gt_u32_e32 vcc, 8, v45
	v_cndmask_b32_e32 v42, v53, v42, vcc
	v_cndmask_b32_e32 v44, v44, v54, vcc
	v_lshlrev_b32_e32 v45, 16, v38
	v_bfrev_b32_e32 v53, 60
	v_lshlrev_b32_e32 v44, 20, v44
	v_and_b32_e32 v45, 0x80000000, v45
	v_lshl_add_u32 v42, v42, 23, v53
	v_or3_b32 v44, v45, v42, v44
.LBB577_117:
	s_or_b64 exec, exec, s[8:9]
.LBB577_118:
	s_or_b64 exec, exec, s[2:3]
.LBB577_119:
	s_or_b64 exec, exec, s[0:1]
	s_movk_i32 s0, 0xff
	v_and_b32_sdwa v45, v38, s0 dst_sel:DWORD dst_unused:UNUSED_PAD src0_sel:WORD_1 src1_sel:DWORD
	v_lshrrev_b32_e32 v42, 16, v38
	v_cmp_ne_u16_e32 vcc, 0, v45
	s_and_saveexec_b64 s[0:1], vcc
	s_cbranch_execz .LBB577_125
; %bb.120:
	s_movk_i32 s2, 0x80
	v_cmp_ne_u16_e32 vcc, s2, v45
	v_bfrev_b32_e32 v43, 1
	s_and_saveexec_b64 s[2:3], vcc
	s_cbranch_execz .LBB577_124
; %bb.121:
	v_bfe_u32 v45, v38, 16, 7
	s_movk_i32 s8, 0x7f
	v_cmp_ne_u32_e32 vcc, s8, v45
	v_mov_b32_e32 v43, 0x7f800001
	s_and_saveexec_b64 s[8:9], vcc
	s_cbranch_execz .LBB577_123
; %bb.122:
	v_and_b32_e32 v53, 7, v42
	v_ffbh_u32_e32 v43, v53
	v_min_u32_e32 v55, 32, v43
	v_subrev_u32_e32 v43, 28, v55
	v_lshlrev_b64 v[42:43], v43, v[42:43]
	v_lshrrev_b32_e32 v54, 3, v45
	v_sub_u32_e32 v43, 29, v55
	v_and_b32_e32 v42, 7, v42
	v_cmp_gt_u32_e32 vcc, 8, v45
	v_mov_b32_e32 v45, 24
	v_cndmask_b32_e32 v43, v54, v43, vcc
	v_cndmask_b32_e32 v42, v53, v42, vcc
	v_lshlrev_b32_sdwa v45, v45, v38 dst_sel:DWORD dst_unused:UNUSED_PAD src0_sel:DWORD src1_sel:WORD_1
	v_bfrev_b32_e32 v53, 60
	v_lshlrev_b32_e32 v42, 20, v42
	v_and_b32_e32 v45, 0x80000000, v45
	v_lshl_add_u32 v43, v43, 23, v53
	v_or3_b32 v43, v45, v43, v42
.LBB577_123:
	s_or_b64 exec, exec, s[8:9]
.LBB577_124:
	s_or_b64 exec, exec, s[2:3]
.LBB577_125:
	s_or_b64 exec, exec, s[0:1]
	s_mov_b32 s0, 0xffffff
	v_cmp_lt_u32_e32 vcc, s0, v38
	v_mov_b32_e32 v45, 0
	v_mov_b32_e32 v54, 0
	s_and_saveexec_b64 s[0:1], vcc
	s_cbranch_execz .LBB577_131
; %bb.126:
	v_lshrrev_b32_e32 v42, 24, v38
	s_movk_i32 s2, 0x80
	v_cmp_ne_u32_e32 vcc, s2, v42
	v_bfrev_b32_e32 v54, 1
	s_and_saveexec_b64 s[2:3], vcc
	s_cbranch_execz .LBB577_130
; %bb.127:
	v_bfe_u32 v38, v38, 24, 7
	s_movk_i32 s8, 0x7f
	v_cmp_ne_u32_e32 vcc, s8, v38
	v_mov_b32_e32 v54, 0x7f800001
	s_and_saveexec_b64 s[8:9], vcc
	s_cbranch_execz .LBB577_129
; %bb.128:
	v_and_b32_e32 v53, 7, v42
	v_ffbh_u32_e32 v54, v53
	v_min_u32_e32 v57, 32, v54
	v_subrev_u32_e32 v54, 28, v57
	v_lshlrev_b64 v[54:55], v54, v[42:43]
	v_lshrrev_b32_e32 v56, 3, v38
	v_sub_u32_e32 v55, 29, v57
	v_and_b32_e32 v54, 7, v54
	v_cmp_gt_u32_e32 vcc, 8, v38
	v_cndmask_b32_e32 v38, v56, v55, vcc
	v_cndmask_b32_e32 v53, v53, v54, vcc
	v_lshlrev_b32_e32 v42, 24, v42
	v_bfrev_b32_e32 v54, 60
	v_lshlrev_b32_e32 v53, 20, v53
	v_and_b32_e32 v42, 0x80000000, v42
	v_lshl_add_u32 v38, v38, 23, v54
	v_or3_b32 v54, v42, v38, v53
.LBB577_129:
	s_or_b64 exec, exec, s[8:9]
.LBB577_130:
	s_or_b64 exec, exec, s[2:3]
.LBB577_131:
	s_or_b64 exec, exec, s[0:1]
	v_cmp_ne_u16_sdwa s[2:3], v39, v45 src0_sel:BYTE_0 src1_sel:DWORD
	s_and_saveexec_b64 s[0:1], s[2:3]
	s_cbranch_execz .LBB577_137
; %bb.132:
	s_movk_i32 s2, 0x80
	v_cmp_ne_u16_sdwa s[8:9], v39, s2 src0_sel:BYTE_0 src1_sel:DWORD
	v_bfrev_b32_e32 v45, 1
	s_and_saveexec_b64 s[2:3], s[8:9]
	s_cbranch_execz .LBB577_136
; %bb.133:
	s_movk_i32 s8, 0x7f
	v_and_b32_e32 v38, 0x7f, v39
	v_cmp_ne_u32_e32 vcc, s8, v38
	v_mov_b32_e32 v45, 0x7f800001
	s_and_saveexec_b64 s[8:9], vcc
	s_cbranch_execz .LBB577_135
; %bb.134:
	v_and_b32_e32 v45, 7, v39
	v_ffbh_u32_e32 v55, v45
	v_min_u32_e32 v55, 32, v55
	v_mov_b32_e32 v42, v39
	v_subrev_u32_e32 v56, 28, v55
	v_lshlrev_b64 v[56:57], v56, v[42:43]
	v_lshrrev_b32_e32 v53, 3, v38
	v_sub_u32_e32 v42, 29, v55
	v_and_b32_e32 v55, 7, v56
	v_cmp_gt_u32_e32 vcc, 8, v38
	v_cndmask_b32_e32 v38, v53, v42, vcc
	v_cndmask_b32_e32 v42, v45, v55, vcc
	v_lshlrev_b32_e32 v45, 24, v39
	v_bfrev_b32_e32 v53, 60
	v_lshlrev_b32_e32 v42, 20, v42
	v_and_b32_e32 v45, 0x80000000, v45
	v_lshl_add_u32 v38, v38, 23, v53
	v_or3_b32 v45, v45, v38, v42
.LBB577_135:
	s_or_b64 exec, exec, s[8:9]
.LBB577_136:
	s_or_b64 exec, exec, s[2:3]
.LBB577_137:
	s_or_b64 exec, exec, s[0:1]
	v_lshrrev_b16_e32 v38, 8, v39
	v_cmp_ne_u16_e32 vcc, 0, v38
	v_mov_b32_e32 v42, 0
	v_mov_b32_e32 v55, 0
	s_and_saveexec_b64 s[0:1], vcc
	s_cbranch_execz .LBB577_143
; %bb.138:
	s_movk_i32 s2, 0x80
	v_cmp_ne_u16_e32 vcc, s2, v38
	v_bfrev_b32_e32 v55, 1
	s_and_saveexec_b64 s[2:3], vcc
	s_cbranch_execz .LBB577_142
; %bb.139:
	s_movk_i32 s8, 0x7f
	v_and_b32_e32 v53, 0x7f, v38
	v_cmp_ne_u32_e32 vcc, s8, v53
	v_mov_b32_e32 v55, 0x7f800001
	s_and_saveexec_b64 s[8:9], vcc
	s_cbranch_execz .LBB577_141
; %bb.140:
	v_and_b32_e32 v55, 7, v38
	v_ffbh_u32_e32 v56, v55
	v_min_u32_e32 v59, 32, v56
	v_subrev_u32_e32 v56, 28, v59
	v_lshlrev_b64 v[56:57], v56, v[38:39]
	v_lshrrev_b32_e32 v58, 3, v53
	v_sub_u32_e32 v38, 29, v59
	v_and_b32_e32 v56, 7, v56
	v_cmp_gt_u32_e32 vcc, 8, v53
	v_cndmask_b32_e32 v38, v58, v38, vcc
	v_cndmask_b32_e32 v53, v55, v56, vcc
	v_lshlrev_b32_e32 v55, 16, v39
	v_bfrev_b32_e32 v56, 60
	v_lshlrev_b32_e32 v53, 20, v53
	v_and_b32_e32 v55, 0x80000000, v55
	v_lshl_add_u32 v38, v38, 23, v56
	v_or3_b32 v55, v55, v38, v53
.LBB577_141:
	s_or_b64 exec, exec, s[8:9]
.LBB577_142:
	s_or_b64 exec, exec, s[2:3]
.LBB577_143:
	s_or_b64 exec, exec, s[0:1]
	s_movk_i32 s0, 0xff
	v_and_b32_sdwa v53, v39, s0 dst_sel:DWORD dst_unused:UNUSED_PAD src0_sel:WORD_1 src1_sel:DWORD
	v_lshrrev_b32_e32 v38, 16, v39
	v_cmp_ne_u16_e32 vcc, 0, v53
	s_and_saveexec_b64 s[0:1], vcc
	s_cbranch_execz .LBB577_149
; %bb.144:
	s_movk_i32 s2, 0x80
	v_cmp_ne_u16_e32 vcc, s2, v53
	v_bfrev_b32_e32 v42, 1
	s_and_saveexec_b64 s[2:3], vcc
	s_cbranch_execz .LBB577_148
; %bb.145:
	v_bfe_u32 v53, v39, 16, 7
	s_movk_i32 s8, 0x7f
	v_cmp_ne_u32_e32 vcc, s8, v53
	v_mov_b32_e32 v42, 0x7f800001
	s_and_saveexec_b64 s[8:9], vcc
	s_cbranch_execz .LBB577_147
; %bb.146:
	v_and_b32_e32 v42, 7, v38
	v_ffbh_u32_e32 v56, v42
	v_min_u32_e32 v59, 32, v56
	v_subrev_u32_e32 v56, 28, v59
	v_lshlrev_b64 v[56:57], v56, v[38:39]
	v_lshrrev_b32_e32 v58, 3, v53
	v_sub_u32_e32 v38, 29, v59
	v_and_b32_e32 v56, 7, v56
	v_cmp_gt_u32_e32 vcc, 8, v53
	v_mov_b32_e32 v53, 24
	v_cndmask_b32_e32 v38, v58, v38, vcc
	v_cndmask_b32_e32 v42, v42, v56, vcc
	v_lshlrev_b32_sdwa v53, v53, v39 dst_sel:DWORD dst_unused:UNUSED_PAD src0_sel:DWORD src1_sel:WORD_1
	v_bfrev_b32_e32 v56, 60
	v_lshlrev_b32_e32 v42, 20, v42
	v_and_b32_e32 v53, 0x80000000, v53
	v_lshl_add_u32 v38, v38, 23, v56
	v_or3_b32 v42, v53, v38, v42
.LBB577_147:
	s_or_b64 exec, exec, s[8:9]
.LBB577_148:
	s_or_b64 exec, exec, s[2:3]
.LBB577_149:
	s_or_b64 exec, exec, s[0:1]
	s_mov_b32 s0, 0xffffff
	v_cmp_lt_u32_e32 vcc, s0, v39
	v_mov_b32_e32 v53, 0
	v_mov_b32_e32 v56, 0
	s_and_saveexec_b64 s[0:1], vcc
	s_cbranch_execz .LBB577_155
; %bb.150:
	v_lshrrev_b32_e32 v38, 24, v39
	s_movk_i32 s2, 0x80
	v_cmp_ne_u32_e32 vcc, s2, v38
	v_bfrev_b32_e32 v56, 1
	s_and_saveexec_b64 s[2:3], vcc
	s_cbranch_execz .LBB577_154
; %bb.151:
	v_bfe_u32 v39, v39, 24, 7
	s_movk_i32 s8, 0x7f
	v_cmp_ne_u32_e32 vcc, s8, v39
	v_mov_b32_e32 v56, 0x7f800001
	s_and_saveexec_b64 s[8:9], vcc
	s_cbranch_execz .LBB577_153
; %bb.152:
	v_and_b32_e32 v58, 7, v38
	v_ffbh_u32_e32 v56, v58
	v_min_u32_e32 v60, 32, v56
	v_subrev_u32_e32 v56, 28, v60
	v_lshlrev_b64 v[56:57], v56, v[38:39]
	v_lshrrev_b32_e32 v59, 3, v39
	v_sub_u32_e32 v57, 29, v60
	v_and_b32_e32 v56, 7, v56
	v_cmp_gt_u32_e32 vcc, 8, v39
	v_cndmask_b32_e32 v39, v59, v57, vcc
	v_cndmask_b32_e32 v56, v58, v56, vcc
	v_lshlrev_b32_e32 v38, 24, v38
	v_bfrev_b32_e32 v57, 60
	v_lshlrev_b32_e32 v56, 20, v56
	v_and_b32_e32 v38, 0x80000000, v38
	v_lshl_add_u32 v39, v39, 23, v57
	v_or3_b32 v56, v38, v39, v56
.LBB577_153:
	s_or_b64 exec, exec, s[8:9]
.LBB577_154:
	s_or_b64 exec, exec, s[2:3]
.LBB577_155:
	s_or_b64 exec, exec, s[0:1]
	v_cvt_pkrtz_f16_f32 v38, v52, v44
	v_cvt_pkrtz_f16_f32 v39, v43, v54
	v_cmp_ne_u16_sdwa s[2:3], v40, v53 src0_sel:BYTE_0 src1_sel:DWORD
	s_nop 0
	v_mfma_f32_16x16x16f16 v[58:61], v[38:39], v[26:27], 0
	v_cvt_pkrtz_f16_f32 v38, v45, v55
	v_cvt_pkrtz_f16_f32 v39, v42, v56
	s_nop 1
	v_mfma_f32_16x16x16f16 v[42:45], v[38:39], v[28:29], v[58:61]
	s_and_saveexec_b64 s[0:1], s[2:3]
	s_cbranch_execz .LBB577_161
; %bb.156:
	s_movk_i32 s2, 0x80
	v_cmp_ne_u16_sdwa s[8:9], v40, s2 src0_sel:BYTE_0 src1_sel:DWORD
	v_bfrev_b32_e32 v53, 1
	s_and_saveexec_b64 s[2:3], s[8:9]
	s_cbranch_execz .LBB577_160
; %bb.157:
	s_movk_i32 s8, 0x7f
	v_and_b32_e32 v38, 0x7f, v40
	v_cmp_ne_u32_e32 vcc, s8, v38
	v_mov_b32_e32 v53, 0x7f800001
	s_and_saveexec_b64 s[8:9], vcc
	s_cbranch_execz .LBB577_159
; %bb.158:
	v_and_b32_e32 v39, 7, v40
	v_ffbh_u32_e32 v52, v39
	v_min_u32_e32 v55, 32, v52
	v_subrev_u32_e32 v52, 28, v55
	v_lshlrev_b64 v[52:53], v52, v[40:41]
	v_lshrrev_b32_e32 v54, 3, v38
	v_sub_u32_e32 v53, 29, v55
	v_and_b32_e32 v52, 7, v52
	v_cmp_gt_u32_e32 vcc, 8, v38
	v_cndmask_b32_e32 v38, v54, v53, vcc
	v_cndmask_b32_e32 v39, v39, v52, vcc
	v_lshlrev_b32_e32 v52, 24, v40
	v_bfrev_b32_e32 v53, 60
	v_lshlrev_b32_e32 v39, 20, v39
	v_and_b32_e32 v52, 0x80000000, v52
	v_lshl_add_u32 v38, v38, 23, v53
	v_or3_b32 v53, v52, v38, v39
.LBB577_159:
	s_or_b64 exec, exec, s[8:9]
.LBB577_160:
	s_or_b64 exec, exec, s[2:3]
.LBB577_161:
	s_or_b64 exec, exec, s[0:1]
	v_lshrrev_b16_e32 v38, 8, v40
	v_cmp_ne_u16_e32 vcc, 0, v38
	v_mov_b32_e32 v39, 0
	v_mov_b32_e32 v54, 0
	s_and_saveexec_b64 s[0:1], vcc
	s_cbranch_execz .LBB577_167
; %bb.162:
	s_movk_i32 s2, 0x80
	v_cmp_ne_u16_e32 vcc, s2, v38
	v_bfrev_b32_e32 v54, 1
	s_and_saveexec_b64 s[2:3], vcc
	s_cbranch_execz .LBB577_166
; %bb.163:
	s_movk_i32 s8, 0x7f
	v_and_b32_e32 v52, 0x7f, v38
	v_cmp_ne_u32_e32 vcc, s8, v52
	v_mov_b32_e32 v54, 0x7f800001
	s_and_saveexec_b64 s[8:9], vcc
	s_cbranch_execz .LBB577_165
; %bb.164:
	v_and_b32_e32 v56, 7, v38
	v_ffbh_u32_e32 v54, v56
	v_min_u32_e32 v58, 32, v54
	v_subrev_u32_e32 v54, 28, v58
	v_lshlrev_b64 v[54:55], v54, v[38:39]
	v_lshrrev_b32_e32 v57, 3, v52
	v_sub_u32_e32 v38, 29, v58
	v_and_b32_e32 v54, 7, v54
	v_cmp_gt_u32_e32 vcc, 8, v52
	v_cndmask_b32_e32 v38, v57, v38, vcc
	v_cndmask_b32_e32 v52, v56, v54, vcc
	v_lshlrev_b32_e32 v54, 16, v40
	v_bfrev_b32_e32 v55, 60
	v_lshlrev_b32_e32 v52, 20, v52
	v_and_b32_e32 v54, 0x80000000, v54
	v_lshl_add_u32 v38, v38, 23, v55
	v_or3_b32 v54, v54, v38, v52
.LBB577_165:
	s_or_b64 exec, exec, s[8:9]
.LBB577_166:
	s_or_b64 exec, exec, s[2:3]
.LBB577_167:
	s_or_b64 exec, exec, s[0:1]
	s_movk_i32 s0, 0xff
	v_and_b32_sdwa v52, v40, s0 dst_sel:DWORD dst_unused:UNUSED_PAD src0_sel:WORD_1 src1_sel:DWORD
	v_lshrrev_b32_e32 v38, 16, v40
	v_cmp_ne_u16_e32 vcc, 0, v52
	s_and_saveexec_b64 s[0:1], vcc
	s_cbranch_execz .LBB577_173
; %bb.168:
	s_movk_i32 s2, 0x80
	v_cmp_ne_u16_e32 vcc, s2, v52
	v_bfrev_b32_e32 v39, 1
	s_and_saveexec_b64 s[2:3], vcc
	s_cbranch_execz .LBB577_172
; %bb.169:
	v_bfe_u32 v52, v40, 16, 7
	s_movk_i32 s8, 0x7f
	v_cmp_ne_u32_e32 vcc, s8, v52
	v_mov_b32_e32 v39, 0x7f800001
	s_and_saveexec_b64 s[8:9], vcc
	s_cbranch_execz .LBB577_171
; %bb.170:
	v_and_b32_e32 v55, 7, v38
	v_ffbh_u32_e32 v39, v55
	v_min_u32_e32 v57, 32, v39
	v_subrev_u32_e32 v39, 28, v57
	v_lshlrev_b64 v[38:39], v39, v[38:39]
	v_lshrrev_b32_e32 v56, 3, v52
	v_sub_u32_e32 v39, 29, v57
	v_and_b32_e32 v38, 7, v38
	v_cmp_gt_u32_e32 vcc, 8, v52
	v_mov_b32_e32 v52, 24
	v_cndmask_b32_e32 v39, v56, v39, vcc
	v_cndmask_b32_e32 v38, v55, v38, vcc
	v_lshlrev_b32_sdwa v52, v52, v40 dst_sel:DWORD dst_unused:UNUSED_PAD src0_sel:DWORD src1_sel:WORD_1
	v_bfrev_b32_e32 v55, 60
	v_lshlrev_b32_e32 v38, 20, v38
	v_and_b32_e32 v52, 0x80000000, v52
	v_lshl_add_u32 v39, v39, 23, v55
	v_or3_b32 v39, v52, v39, v38
.LBB577_171:
	s_or_b64 exec, exec, s[8:9]
.LBB577_172:
	s_or_b64 exec, exec, s[2:3]
.LBB577_173:
	s_or_b64 exec, exec, s[0:1]
	s_mov_b32 s0, 0xffffff
	v_cmp_lt_u32_e32 vcc, s0, v40
	v_mov_b32_e32 v55, 0
	v_mov_b32_e32 v56, 0
	s_and_saveexec_b64 s[0:1], vcc
	s_cbranch_execz .LBB577_179
; %bb.174:
	v_lshrrev_b32_e32 v38, 24, v40
	s_movk_i32 s2, 0x80
	v_cmp_ne_u32_e32 vcc, s2, v38
	v_bfrev_b32_e32 v56, 1
	s_and_saveexec_b64 s[2:3], vcc
	s_cbranch_execz .LBB577_178
; %bb.175:
	v_bfe_u32 v40, v40, 24, 7
	s_movk_i32 s8, 0x7f
	v_cmp_ne_u32_e32 vcc, s8, v40
	v_mov_b32_e32 v56, 0x7f800001
	s_and_saveexec_b64 s[8:9], vcc
	s_cbranch_execz .LBB577_177
; %bb.176:
	v_and_b32_e32 v52, 7, v38
	v_ffbh_u32_e32 v56, v52
	v_min_u32_e32 v59, 32, v56
	v_subrev_u32_e32 v56, 28, v59
	v_lshlrev_b64 v[56:57], v56, v[38:39]
	v_lshrrev_b32_e32 v58, 3, v40
	v_sub_u32_e32 v57, 29, v59
	v_and_b32_e32 v56, 7, v56
	v_cmp_gt_u32_e32 vcc, 8, v40
	v_cndmask_b32_e32 v40, v58, v57, vcc
	v_cndmask_b32_e32 v52, v52, v56, vcc
	v_lshlrev_b32_e32 v38, 24, v38
	v_bfrev_b32_e32 v56, 60
	v_lshlrev_b32_e32 v52, 20, v52
	v_and_b32_e32 v38, 0x80000000, v38
	v_lshl_add_u32 v40, v40, 23, v56
	v_or3_b32 v56, v38, v40, v52
.LBB577_177:
	s_or_b64 exec, exec, s[8:9]
.LBB577_178:
	s_or_b64 exec, exec, s[2:3]
.LBB577_179:
	s_or_b64 exec, exec, s[0:1]
	v_cmp_ne_u16_sdwa s[2:3], v41, v55 src0_sel:BYTE_0 src1_sel:DWORD
	s_and_saveexec_b64 s[0:1], s[2:3]
	s_cbranch_execz .LBB577_185
; %bb.180:
	s_movk_i32 s2, 0x80
	v_cmp_ne_u16_sdwa s[8:9], v41, s2 src0_sel:BYTE_0 src1_sel:DWORD
	v_bfrev_b32_e32 v55, 1
	s_and_saveexec_b64 s[2:3], s[8:9]
	s_cbranch_execz .LBB577_184
; %bb.181:
	s_movk_i32 s8, 0x7f
	v_and_b32_e32 v38, 0x7f, v41
	v_cmp_ne_u32_e32 vcc, s8, v38
	v_mov_b32_e32 v55, 0x7f800001
	s_and_saveexec_b64 s[8:9], vcc
	s_cbranch_execz .LBB577_183
; %bb.182:
	v_and_b32_e32 v52, 7, v41
	v_ffbh_u32_e32 v57, v52
	v_min_u32_e32 v57, 32, v57
	v_mov_b32_e32 v40, v41
	v_subrev_u32_e32 v58, 28, v57
	v_lshlrev_b64 v[58:59], v58, v[40:41]
	v_lshrrev_b32_e32 v55, 3, v38
	v_sub_u32_e32 v40, 29, v57
	v_and_b32_e32 v57, 7, v58
	v_cmp_gt_u32_e32 vcc, 8, v38
	v_cndmask_b32_e32 v38, v55, v40, vcc
	v_cndmask_b32_e32 v40, v52, v57, vcc
	v_lshlrev_b32_e32 v52, 24, v41
	v_bfrev_b32_e32 v55, 60
	v_lshlrev_b32_e32 v40, 20, v40
	v_and_b32_e32 v52, 0x80000000, v52
	v_lshl_add_u32 v38, v38, 23, v55
	v_or3_b32 v55, v52, v38, v40
.LBB577_183:
	s_or_b64 exec, exec, s[8:9]
.LBB577_184:
	s_or_b64 exec, exec, s[2:3]
.LBB577_185:
	s_or_b64 exec, exec, s[0:1]
	v_lshrrev_b16_e32 v38, 8, v41
	v_cmp_ne_u16_e32 vcc, 0, v38
	v_mov_b32_e32 v40, 0
	v_mov_b32_e32 v57, 0
	s_and_saveexec_b64 s[0:1], vcc
	s_cbranch_execz .LBB577_191
; %bb.186:
	s_movk_i32 s2, 0x80
	v_cmp_ne_u16_e32 vcc, s2, v38
	v_bfrev_b32_e32 v57, 1
	s_and_saveexec_b64 s[2:3], vcc
	s_cbranch_execz .LBB577_190
; %bb.187:
	s_movk_i32 s8, 0x7f
	v_and_b32_e32 v52, 0x7f, v38
	v_cmp_ne_u32_e32 vcc, s8, v52
	v_mov_b32_e32 v57, 0x7f800001
	s_and_saveexec_b64 s[8:9], vcc
	s_cbranch_execz .LBB577_189
; %bb.188:
	v_and_b32_e32 v57, 7, v38
	v_ffbh_u32_e32 v58, v57
	v_min_u32_e32 v61, 32, v58
	v_subrev_u32_e32 v58, 28, v61
	v_lshlrev_b64 v[58:59], v58, v[38:39]
	v_lshrrev_b32_e32 v60, 3, v52
	v_sub_u32_e32 v38, 29, v61
	v_and_b32_e32 v58, 7, v58
	v_cmp_gt_u32_e32 vcc, 8, v52
	v_cndmask_b32_e32 v38, v60, v38, vcc
	v_cndmask_b32_e32 v52, v57, v58, vcc
	v_lshlrev_b32_e32 v57, 16, v41
	v_bfrev_b32_e32 v58, 60
	v_lshlrev_b32_e32 v52, 20, v52
	v_and_b32_e32 v57, 0x80000000, v57
	v_lshl_add_u32 v38, v38, 23, v58
	v_or3_b32 v57, v57, v38, v52
.LBB577_189:
	s_or_b64 exec, exec, s[8:9]
.LBB577_190:
	s_or_b64 exec, exec, s[2:3]
.LBB577_191:
	s_or_b64 exec, exec, s[0:1]
	s_movk_i32 s0, 0xff
	v_and_b32_sdwa v52, v41, s0 dst_sel:DWORD dst_unused:UNUSED_PAD src0_sel:WORD_1 src1_sel:DWORD
	v_lshrrev_b32_e32 v38, 16, v41
	v_cmp_ne_u16_e32 vcc, 0, v52
	s_and_saveexec_b64 s[0:1], vcc
	s_cbranch_execz .LBB577_197
; %bb.192:
	s_movk_i32 s2, 0x80
	v_cmp_ne_u16_e32 vcc, s2, v52
	v_bfrev_b32_e32 v40, 1
	s_and_saveexec_b64 s[2:3], vcc
	s_cbranch_execz .LBB577_196
; %bb.193:
	v_bfe_u32 v52, v41, 16, 7
	s_movk_i32 s8, 0x7f
	v_cmp_ne_u32_e32 vcc, s8, v52
	v_mov_b32_e32 v40, 0x7f800001
	s_and_saveexec_b64 s[8:9], vcc
	s_cbranch_execz .LBB577_195
; %bb.194:
	v_and_b32_e32 v40, 7, v38
	v_ffbh_u32_e32 v58, v40
	v_min_u32_e32 v61, 32, v58
	v_subrev_u32_e32 v58, 28, v61
	v_lshlrev_b64 v[58:59], v58, v[38:39]
	v_lshrrev_b32_e32 v60, 3, v52
	v_sub_u32_e32 v38, 29, v61
	v_and_b32_e32 v58, 7, v58
	v_cmp_gt_u32_e32 vcc, 8, v52
	v_mov_b32_e32 v52, 24
	v_cndmask_b32_e32 v38, v60, v38, vcc
	v_cndmask_b32_e32 v40, v40, v58, vcc
	v_lshlrev_b32_sdwa v52, v52, v41 dst_sel:DWORD dst_unused:UNUSED_PAD src0_sel:DWORD src1_sel:WORD_1
	v_bfrev_b32_e32 v58, 60
	v_lshlrev_b32_e32 v40, 20, v40
	v_and_b32_e32 v52, 0x80000000, v52
	v_lshl_add_u32 v38, v38, 23, v58
	v_or3_b32 v40, v52, v38, v40
.LBB577_195:
	s_or_b64 exec, exec, s[8:9]
.LBB577_196:
	s_or_b64 exec, exec, s[2:3]
.LBB577_197:
	s_or_b64 exec, exec, s[0:1]
	s_mov_b32 s0, 0xffffff
	v_cmp_lt_u32_e32 vcc, s0, v41
	v_mov_b32_e32 v52, 0
	v_mov_b32_e32 v58, 0
	s_and_saveexec_b64 s[0:1], vcc
	s_cbranch_execz .LBB577_203
; %bb.198:
	v_lshrrev_b32_e32 v38, 24, v41
	s_movk_i32 s2, 0x80
	v_cmp_ne_u32_e32 vcc, s2, v38
	v_bfrev_b32_e32 v58, 1
	s_and_saveexec_b64 s[2:3], vcc
	s_cbranch_execz .LBB577_202
; %bb.199:
	v_bfe_u32 v41, v41, 24, 7
	s_movk_i32 s8, 0x7f
	v_cmp_ne_u32_e32 vcc, s8, v41
	v_mov_b32_e32 v58, 0x7f800001
	s_and_saveexec_b64 s[8:9], vcc
	s_cbranch_execz .LBB577_201
; %bb.200:
	v_and_b32_e32 v60, 7, v38
	v_ffbh_u32_e32 v58, v60
	v_min_u32_e32 v62, 32, v58
	v_subrev_u32_e32 v58, 28, v62
	v_lshlrev_b64 v[58:59], v58, v[38:39]
	v_lshrrev_b32_e32 v61, 3, v41
	v_sub_u32_e32 v59, 29, v62
	v_and_b32_e32 v58, 7, v58
	v_cmp_gt_u32_e32 vcc, 8, v41
	v_cndmask_b32_e32 v41, v61, v59, vcc
	v_cndmask_b32_e32 v58, v60, v58, vcc
	v_lshlrev_b32_e32 v38, 24, v38
	v_bfrev_b32_e32 v59, 60
	v_lshlrev_b32_e32 v58, 20, v58
	v_and_b32_e32 v38, 0x80000000, v38
	v_lshl_add_u32 v41, v41, 23, v59
	v_or3_b32 v58, v38, v41, v58
.LBB577_201:
	s_or_b64 exec, exec, s[8:9]
.LBB577_202:
	s_or_b64 exec, exec, s[2:3]
.LBB577_203:
	s_or_b64 exec, exec, s[0:1]
	v_cvt_pkrtz_f16_f32 v38, v53, v54
	v_cvt_pkrtz_f16_f32 v39, v39, v56
	s_waitcnt vmcnt(5)
	v_cmp_ne_u16_sdwa s[2:3], v34, v52 src0_sel:BYTE_0 src1_sel:DWORD
	v_mfma_f32_16x16x16f16 v[42:45], v[38:39], v[18:19], v[42:45]
	v_cvt_pkrtz_f16_f32 v38, v55, v57
	v_cvt_pkrtz_f16_f32 v39, v40, v58
	s_nop 1
	v_mfma_f32_16x16x16f16 v[38:41], v[38:39], v[20:21], v[42:45]
	s_and_saveexec_b64 s[0:1], s[2:3]
	s_cbranch_execz .LBB577_209
; %bb.204:
	s_movk_i32 s2, 0x80
	v_cmp_ne_u16_sdwa s[8:9], v34, s2 src0_sel:BYTE_0 src1_sel:DWORD
	v_bfrev_b32_e32 v52, 1
	s_and_saveexec_b64 s[2:3], s[8:9]
	s_cbranch_execz .LBB577_208
; %bb.205:
	s_movk_i32 s8, 0x7f
	v_and_b32_e32 v42, 0x7f, v34
	v_cmp_ne_u32_e32 vcc, s8, v42
	v_mov_b32_e32 v52, 0x7f800001
	s_and_saveexec_b64 s[8:9], vcc
	s_cbranch_execz .LBB577_207
; %bb.206:
	v_and_b32_e32 v43, 7, v34
	v_ffbh_u32_e32 v44, v43
	v_min_u32_e32 v53, 32, v44
	v_subrev_u32_e32 v44, 28, v53
	v_lshlrev_b64 v[44:45], v44, v[34:35]
	v_lshrrev_b32_e32 v52, 3, v42
	v_sub_u32_e32 v45, 29, v53
	v_and_b32_e32 v44, 7, v44
	v_cmp_gt_u32_e32 vcc, 8, v42
	v_cndmask_b32_e32 v42, v52, v45, vcc
	v_cndmask_b32_e32 v43, v43, v44, vcc
	v_lshlrev_b32_e32 v44, 24, v34
	v_bfrev_b32_e32 v45, 60
	v_lshlrev_b32_e32 v43, 20, v43
	v_and_b32_e32 v44, 0x80000000, v44
	v_lshl_add_u32 v42, v42, 23, v45
	v_or3_b32 v52, v44, v42, v43
.LBB577_207:
	s_or_b64 exec, exec, s[8:9]
.LBB577_208:
	s_or_b64 exec, exec, s[2:3]
.LBB577_209:
	s_or_b64 exec, exec, s[0:1]
	s_nop 3
	v_lshrrev_b16_e32 v42, 8, v34
	v_cmp_ne_u16_e32 vcc, 0, v42
	v_mov_b32_e32 v43, 0
	v_mov_b32_e32 v44, 0
	s_and_saveexec_b64 s[0:1], vcc
	s_cbranch_execz .LBB577_215
; %bb.210:
	s_movk_i32 s2, 0x80
	v_cmp_ne_u16_e32 vcc, s2, v42
	v_bfrev_b32_e32 v44, 1
	s_and_saveexec_b64 s[2:3], vcc
	s_cbranch_execz .LBB577_214
; %bb.211:
	s_movk_i32 s8, 0x7f
	v_and_b32_e32 v45, 0x7f, v42
	v_cmp_ne_u32_e32 vcc, s8, v45
	v_mov_b32_e32 v44, 0x7f800001
	s_and_saveexec_b64 s[8:9], vcc
	s_cbranch_execz .LBB577_213
; %bb.212:
	v_and_b32_e32 v44, 7, v42
	v_ffbh_u32_e32 v54, v44
	v_min_u32_e32 v56, 32, v54
	v_subrev_u32_e32 v54, 28, v56
	v_lshlrev_b64 v[54:55], v54, v[42:43]
	v_lshrrev_b32_e32 v53, 3, v45
	v_sub_u32_e32 v42, 29, v56
	v_and_b32_e32 v54, 7, v54
	v_cmp_gt_u32_e32 vcc, 8, v45
	v_cndmask_b32_e32 v42, v53, v42, vcc
	v_cndmask_b32_e32 v44, v44, v54, vcc
	v_lshlrev_b32_e32 v45, 16, v34
	v_bfrev_b32_e32 v53, 60
	v_lshlrev_b32_e32 v44, 20, v44
	v_and_b32_e32 v45, 0x80000000, v45
	v_lshl_add_u32 v42, v42, 23, v53
	v_or3_b32 v44, v45, v42, v44
.LBB577_213:
	s_or_b64 exec, exec, s[8:9]
.LBB577_214:
	s_or_b64 exec, exec, s[2:3]
.LBB577_215:
	s_or_b64 exec, exec, s[0:1]
	s_movk_i32 s0, 0xff
	v_and_b32_sdwa v45, v34, s0 dst_sel:DWORD dst_unused:UNUSED_PAD src0_sel:WORD_1 src1_sel:DWORD
	v_lshrrev_b32_e32 v42, 16, v34
	v_cmp_ne_u16_e32 vcc, 0, v45
	s_and_saveexec_b64 s[0:1], vcc
	s_cbranch_execz .LBB577_221
; %bb.216:
	s_movk_i32 s2, 0x80
	v_cmp_ne_u16_e32 vcc, s2, v45
	v_bfrev_b32_e32 v43, 1
	s_and_saveexec_b64 s[2:3], vcc
	s_cbranch_execz .LBB577_220
; %bb.217:
	v_bfe_u32 v45, v34, 16, 7
	s_movk_i32 s8, 0x7f
	v_cmp_ne_u32_e32 vcc, s8, v45
	v_mov_b32_e32 v43, 0x7f800001
	s_and_saveexec_b64 s[8:9], vcc
	s_cbranch_execz .LBB577_219
; %bb.218:
	v_and_b32_e32 v53, 7, v42
	v_ffbh_u32_e32 v43, v53
	v_min_u32_e32 v55, 32, v43
	v_subrev_u32_e32 v43, 28, v55
	v_lshlrev_b64 v[42:43], v43, v[42:43]
	v_lshrrev_b32_e32 v54, 3, v45
	v_sub_u32_e32 v43, 29, v55
	v_and_b32_e32 v42, 7, v42
	v_cmp_gt_u32_e32 vcc, 8, v45
	v_mov_b32_e32 v45, 24
	v_cndmask_b32_e32 v43, v54, v43, vcc
	v_cndmask_b32_e32 v42, v53, v42, vcc
	v_lshlrev_b32_sdwa v45, v45, v34 dst_sel:DWORD dst_unused:UNUSED_PAD src0_sel:DWORD src1_sel:WORD_1
	v_bfrev_b32_e32 v53, 60
	v_lshlrev_b32_e32 v42, 20, v42
	v_and_b32_e32 v45, 0x80000000, v45
	v_lshl_add_u32 v43, v43, 23, v53
	v_or3_b32 v43, v45, v43, v42
.LBB577_219:
	s_or_b64 exec, exec, s[8:9]
.LBB577_220:
	s_or_b64 exec, exec, s[2:3]
.LBB577_221:
	s_or_b64 exec, exec, s[0:1]
	s_mov_b32 s0, 0xffffff
	v_cmp_lt_u32_e32 vcc, s0, v34
	v_mov_b32_e32 v45, 0
	v_mov_b32_e32 v54, 0
	s_and_saveexec_b64 s[0:1], vcc
	s_cbranch_execz .LBB577_227
; %bb.222:
	v_lshrrev_b32_e32 v42, 24, v34
	s_movk_i32 s2, 0x80
	v_cmp_ne_u32_e32 vcc, s2, v42
	v_bfrev_b32_e32 v54, 1
	s_and_saveexec_b64 s[2:3], vcc
	s_cbranch_execz .LBB577_226
; %bb.223:
	v_bfe_u32 v34, v34, 24, 7
	s_movk_i32 s8, 0x7f
	v_cmp_ne_u32_e32 vcc, s8, v34
	v_mov_b32_e32 v54, 0x7f800001
	s_and_saveexec_b64 s[8:9], vcc
	s_cbranch_execz .LBB577_225
; %bb.224:
	v_and_b32_e32 v53, 7, v42
	v_ffbh_u32_e32 v54, v53
	v_min_u32_e32 v57, 32, v54
	v_subrev_u32_e32 v54, 28, v57
	v_lshlrev_b64 v[54:55], v54, v[42:43]
	v_lshrrev_b32_e32 v56, 3, v34
	v_sub_u32_e32 v55, 29, v57
	v_and_b32_e32 v54, 7, v54
	v_cmp_gt_u32_e32 vcc, 8, v34
	v_cndmask_b32_e32 v34, v56, v55, vcc
	v_cndmask_b32_e32 v53, v53, v54, vcc
	v_lshlrev_b32_e32 v42, 24, v42
	v_bfrev_b32_e32 v54, 60
	v_lshlrev_b32_e32 v53, 20, v53
	v_and_b32_e32 v42, 0x80000000, v42
	v_lshl_add_u32 v34, v34, 23, v54
	v_or3_b32 v54, v42, v34, v53
.LBB577_225:
	s_or_b64 exec, exec, s[8:9]
.LBB577_226:
	s_or_b64 exec, exec, s[2:3]
.LBB577_227:
	s_or_b64 exec, exec, s[0:1]
	v_cmp_ne_u16_sdwa s[2:3], v35, v45 src0_sel:BYTE_0 src1_sel:DWORD
	s_and_saveexec_b64 s[0:1], s[2:3]
	s_cbranch_execz .LBB577_233
; %bb.228:
	s_movk_i32 s2, 0x80
	v_cmp_ne_u16_sdwa s[8:9], v35, s2 src0_sel:BYTE_0 src1_sel:DWORD
	v_bfrev_b32_e32 v45, 1
	s_and_saveexec_b64 s[2:3], s[8:9]
	s_cbranch_execz .LBB577_232
; %bb.229:
	s_movk_i32 s8, 0x7f
	v_and_b32_e32 v34, 0x7f, v35
	v_cmp_ne_u32_e32 vcc, s8, v34
	v_mov_b32_e32 v45, 0x7f800001
	s_and_saveexec_b64 s[8:9], vcc
	s_cbranch_execz .LBB577_231
; %bb.230:
	v_and_b32_e32 v45, 7, v35
	v_ffbh_u32_e32 v55, v45
	v_min_u32_e32 v55, 32, v55
	v_mov_b32_e32 v42, v35
	v_subrev_u32_e32 v56, 28, v55
	v_lshlrev_b64 v[56:57], v56, v[42:43]
	v_lshrrev_b32_e32 v53, 3, v34
	v_sub_u32_e32 v42, 29, v55
	v_and_b32_e32 v55, 7, v56
	v_cmp_gt_u32_e32 vcc, 8, v34
	v_cndmask_b32_e32 v34, v53, v42, vcc
	v_cndmask_b32_e32 v42, v45, v55, vcc
	v_lshlrev_b32_e32 v45, 24, v35
	v_bfrev_b32_e32 v53, 60
	v_lshlrev_b32_e32 v42, 20, v42
	v_and_b32_e32 v45, 0x80000000, v45
	v_lshl_add_u32 v34, v34, 23, v53
	v_or3_b32 v45, v45, v34, v42
.LBB577_231:
	s_or_b64 exec, exec, s[8:9]
.LBB577_232:
	s_or_b64 exec, exec, s[2:3]
.LBB577_233:
	s_or_b64 exec, exec, s[0:1]
	v_lshrrev_b16_e32 v34, 8, v35
	v_cmp_ne_u16_e32 vcc, 0, v34
	v_mov_b32_e32 v42, 0
	v_mov_b32_e32 v55, 0
	s_and_saveexec_b64 s[0:1], vcc
	s_cbranch_execz .LBB577_239
; %bb.234:
	s_movk_i32 s2, 0x80
	v_cmp_ne_u16_e32 vcc, s2, v34
	v_bfrev_b32_e32 v55, 1
	s_and_saveexec_b64 s[2:3], vcc
	s_cbranch_execz .LBB577_238
; %bb.235:
	s_movk_i32 s8, 0x7f
	v_and_b32_e32 v53, 0x7f, v34
	v_cmp_ne_u32_e32 vcc, s8, v53
	v_mov_b32_e32 v55, 0x7f800001
	s_and_saveexec_b64 s[8:9], vcc
	s_cbranch_execz .LBB577_237
; %bb.236:
	v_and_b32_e32 v55, 7, v34
	v_ffbh_u32_e32 v56, v55
	v_min_u32_e32 v59, 32, v56
	v_subrev_u32_e32 v56, 28, v59
	v_lshlrev_b64 v[56:57], v56, v[34:35]
	v_lshrrev_b32_e32 v58, 3, v53
	v_sub_u32_e32 v34, 29, v59
	v_and_b32_e32 v56, 7, v56
	v_cmp_gt_u32_e32 vcc, 8, v53
	v_cndmask_b32_e32 v34, v58, v34, vcc
	v_cndmask_b32_e32 v53, v55, v56, vcc
	v_lshlrev_b32_e32 v55, 16, v35
	v_bfrev_b32_e32 v56, 60
	v_lshlrev_b32_e32 v53, 20, v53
	v_and_b32_e32 v55, 0x80000000, v55
	v_lshl_add_u32 v34, v34, 23, v56
	v_or3_b32 v55, v55, v34, v53
.LBB577_237:
	s_or_b64 exec, exec, s[8:9]
.LBB577_238:
	s_or_b64 exec, exec, s[2:3]
.LBB577_239:
	s_or_b64 exec, exec, s[0:1]
	s_movk_i32 s0, 0xff
	v_and_b32_sdwa v53, v35, s0 dst_sel:DWORD dst_unused:UNUSED_PAD src0_sel:WORD_1 src1_sel:DWORD
	v_lshrrev_b32_e32 v34, 16, v35
	v_cmp_ne_u16_e32 vcc, 0, v53
	s_and_saveexec_b64 s[0:1], vcc
	s_cbranch_execz .LBB577_245
; %bb.240:
	s_movk_i32 s2, 0x80
	v_cmp_ne_u16_e32 vcc, s2, v53
	v_bfrev_b32_e32 v42, 1
	s_and_saveexec_b64 s[2:3], vcc
	s_cbranch_execz .LBB577_244
; %bb.241:
	v_bfe_u32 v53, v35, 16, 7
	s_movk_i32 s8, 0x7f
	v_cmp_ne_u32_e32 vcc, s8, v53
	v_mov_b32_e32 v42, 0x7f800001
	s_and_saveexec_b64 s[8:9], vcc
	s_cbranch_execz .LBB577_243
; %bb.242:
	v_and_b32_e32 v42, 7, v34
	v_ffbh_u32_e32 v56, v42
	v_min_u32_e32 v59, 32, v56
	v_subrev_u32_e32 v56, 28, v59
	v_lshlrev_b64 v[56:57], v56, v[34:35]
	v_lshrrev_b32_e32 v58, 3, v53
	v_sub_u32_e32 v34, 29, v59
	v_and_b32_e32 v56, 7, v56
	v_cmp_gt_u32_e32 vcc, 8, v53
	v_mov_b32_e32 v53, 24
	v_cndmask_b32_e32 v34, v58, v34, vcc
	v_cndmask_b32_e32 v42, v42, v56, vcc
	v_lshlrev_b32_sdwa v53, v53, v35 dst_sel:DWORD dst_unused:UNUSED_PAD src0_sel:DWORD src1_sel:WORD_1
	v_bfrev_b32_e32 v56, 60
	v_lshlrev_b32_e32 v42, 20, v42
	v_and_b32_e32 v53, 0x80000000, v53
	v_lshl_add_u32 v34, v34, 23, v56
	v_or3_b32 v42, v53, v34, v42
.LBB577_243:
	s_or_b64 exec, exec, s[8:9]
.LBB577_244:
	s_or_b64 exec, exec, s[2:3]
.LBB577_245:
	s_or_b64 exec, exec, s[0:1]
	s_mov_b32 s0, 0xffffff
	v_cmp_lt_u32_e32 vcc, s0, v35
	v_mov_b32_e32 v53, 0
	v_mov_b32_e32 v56, 0
	s_and_saveexec_b64 s[0:1], vcc
	s_cbranch_execz .LBB577_251
; %bb.246:
	v_lshrrev_b32_e32 v34, 24, v35
	s_movk_i32 s2, 0x80
	v_cmp_ne_u32_e32 vcc, s2, v34
	v_bfrev_b32_e32 v56, 1
	s_and_saveexec_b64 s[2:3], vcc
	s_cbranch_execz .LBB577_250
; %bb.247:
	v_bfe_u32 v35, v35, 24, 7
	s_movk_i32 s8, 0x7f
	v_cmp_ne_u32_e32 vcc, s8, v35
	v_mov_b32_e32 v56, 0x7f800001
	s_and_saveexec_b64 s[8:9], vcc
	s_cbranch_execz .LBB577_249
; %bb.248:
	v_and_b32_e32 v58, 7, v34
	v_ffbh_u32_e32 v56, v58
	v_min_u32_e32 v60, 32, v56
	v_subrev_u32_e32 v56, 28, v60
	v_lshlrev_b64 v[56:57], v56, v[34:35]
	v_lshrrev_b32_e32 v59, 3, v35
	v_sub_u32_e32 v57, 29, v60
	v_and_b32_e32 v56, 7, v56
	v_cmp_gt_u32_e32 vcc, 8, v35
	v_cndmask_b32_e32 v35, v59, v57, vcc
	v_cndmask_b32_e32 v56, v58, v56, vcc
	v_lshlrev_b32_e32 v34, 24, v34
	v_bfrev_b32_e32 v57, 60
	v_lshlrev_b32_e32 v56, 20, v56
	v_and_b32_e32 v34, 0x80000000, v34
	v_lshl_add_u32 v35, v35, 23, v57
	v_or3_b32 v56, v34, v35, v56
.LBB577_249:
	s_or_b64 exec, exec, s[8:9]
.LBB577_250:
	s_or_b64 exec, exec, s[2:3]
.LBB577_251:
	s_or_b64 exec, exec, s[0:1]
	v_cvt_pkrtz_f16_f32 v34, v52, v44
	v_cvt_pkrtz_f16_f32 v35, v43, v54
	v_cmp_ne_u16_sdwa s[2:3], v36, v53 src0_sel:BYTE_0 src1_sel:DWORD
	s_nop 0
	v_mfma_f32_16x16x16f16 v[58:61], v[34:35], v[26:27], 0
	v_cvt_pkrtz_f16_f32 v34, v45, v55
	v_cvt_pkrtz_f16_f32 v35, v42, v56
	s_nop 1
	v_mfma_f32_16x16x16f16 v[42:45], v[34:35], v[28:29], v[58:61]
	s_and_saveexec_b64 s[0:1], s[2:3]
	s_cbranch_execz .LBB577_257
; %bb.252:
	s_movk_i32 s2, 0x80
	v_cmp_ne_u16_sdwa s[8:9], v36, s2 src0_sel:BYTE_0 src1_sel:DWORD
	v_bfrev_b32_e32 v53, 1
	s_and_saveexec_b64 s[2:3], s[8:9]
	s_cbranch_execz .LBB577_256
; %bb.253:
	s_movk_i32 s8, 0x7f
	v_and_b32_e32 v34, 0x7f, v36
	v_cmp_ne_u32_e32 vcc, s8, v34
	v_mov_b32_e32 v53, 0x7f800001
	s_and_saveexec_b64 s[8:9], vcc
	s_cbranch_execz .LBB577_255
; %bb.254:
	v_and_b32_e32 v35, 7, v36
	v_ffbh_u32_e32 v52, v35
	v_min_u32_e32 v55, 32, v52
	v_subrev_u32_e32 v52, 28, v55
	v_lshlrev_b64 v[52:53], v52, v[36:37]
	v_lshrrev_b32_e32 v54, 3, v34
	v_sub_u32_e32 v53, 29, v55
	v_and_b32_e32 v52, 7, v52
	v_cmp_gt_u32_e32 vcc, 8, v34
	v_cndmask_b32_e32 v34, v54, v53, vcc
	v_cndmask_b32_e32 v35, v35, v52, vcc
	v_lshlrev_b32_e32 v52, 24, v36
	v_bfrev_b32_e32 v53, 60
	v_lshlrev_b32_e32 v35, 20, v35
	v_and_b32_e32 v52, 0x80000000, v52
	v_lshl_add_u32 v34, v34, 23, v53
	v_or3_b32 v53, v52, v34, v35
.LBB577_255:
	s_or_b64 exec, exec, s[8:9]
.LBB577_256:
	s_or_b64 exec, exec, s[2:3]
.LBB577_257:
	s_or_b64 exec, exec, s[0:1]
	v_lshrrev_b16_e32 v34, 8, v36
	v_cmp_ne_u16_e32 vcc, 0, v34
	v_mov_b32_e32 v35, 0
	v_mov_b32_e32 v54, 0
	s_and_saveexec_b64 s[0:1], vcc
	s_cbranch_execz .LBB577_263
; %bb.258:
	s_movk_i32 s2, 0x80
	v_cmp_ne_u16_e32 vcc, s2, v34
	v_bfrev_b32_e32 v54, 1
	s_and_saveexec_b64 s[2:3], vcc
	s_cbranch_execz .LBB577_262
; %bb.259:
	s_movk_i32 s8, 0x7f
	v_and_b32_e32 v52, 0x7f, v34
	v_cmp_ne_u32_e32 vcc, s8, v52
	v_mov_b32_e32 v54, 0x7f800001
	s_and_saveexec_b64 s[8:9], vcc
	s_cbranch_execz .LBB577_261
; %bb.260:
	v_and_b32_e32 v56, 7, v34
	v_ffbh_u32_e32 v54, v56
	v_min_u32_e32 v58, 32, v54
	v_subrev_u32_e32 v54, 28, v58
	v_lshlrev_b64 v[54:55], v54, v[34:35]
	v_lshrrev_b32_e32 v57, 3, v52
	v_sub_u32_e32 v34, 29, v58
	v_and_b32_e32 v54, 7, v54
	v_cmp_gt_u32_e32 vcc, 8, v52
	v_cndmask_b32_e32 v34, v57, v34, vcc
	v_cndmask_b32_e32 v52, v56, v54, vcc
	v_lshlrev_b32_e32 v54, 16, v36
	v_bfrev_b32_e32 v55, 60
	v_lshlrev_b32_e32 v52, 20, v52
	v_and_b32_e32 v54, 0x80000000, v54
	v_lshl_add_u32 v34, v34, 23, v55
	v_or3_b32 v54, v54, v34, v52
.LBB577_261:
	s_or_b64 exec, exec, s[8:9]
.LBB577_262:
	s_or_b64 exec, exec, s[2:3]
.LBB577_263:
	s_or_b64 exec, exec, s[0:1]
	s_movk_i32 s0, 0xff
	v_and_b32_sdwa v52, v36, s0 dst_sel:DWORD dst_unused:UNUSED_PAD src0_sel:WORD_1 src1_sel:DWORD
	v_lshrrev_b32_e32 v34, 16, v36
	v_cmp_ne_u16_e32 vcc, 0, v52
	s_and_saveexec_b64 s[0:1], vcc
	s_cbranch_execz .LBB577_269
; %bb.264:
	s_movk_i32 s2, 0x80
	v_cmp_ne_u16_e32 vcc, s2, v52
	v_bfrev_b32_e32 v35, 1
	s_and_saveexec_b64 s[2:3], vcc
	s_cbranch_execz .LBB577_268
; %bb.265:
	v_bfe_u32 v52, v36, 16, 7
	s_movk_i32 s8, 0x7f
	v_cmp_ne_u32_e32 vcc, s8, v52
	v_mov_b32_e32 v35, 0x7f800001
	s_and_saveexec_b64 s[8:9], vcc
	s_cbranch_execz .LBB577_267
; %bb.266:
	v_and_b32_e32 v55, 7, v34
	v_ffbh_u32_e32 v35, v55
	v_min_u32_e32 v57, 32, v35
	v_subrev_u32_e32 v35, 28, v57
	v_lshlrev_b64 v[34:35], v35, v[34:35]
	v_lshrrev_b32_e32 v56, 3, v52
	v_sub_u32_e32 v35, 29, v57
	v_and_b32_e32 v34, 7, v34
	v_cmp_gt_u32_e32 vcc, 8, v52
	v_mov_b32_e32 v52, 24
	v_cndmask_b32_e32 v35, v56, v35, vcc
	v_cndmask_b32_e32 v34, v55, v34, vcc
	v_lshlrev_b32_sdwa v52, v52, v36 dst_sel:DWORD dst_unused:UNUSED_PAD src0_sel:DWORD src1_sel:WORD_1
	v_bfrev_b32_e32 v55, 60
	v_lshlrev_b32_e32 v34, 20, v34
	v_and_b32_e32 v52, 0x80000000, v52
	v_lshl_add_u32 v35, v35, 23, v55
	v_or3_b32 v35, v52, v35, v34
.LBB577_267:
	s_or_b64 exec, exec, s[8:9]
.LBB577_268:
	s_or_b64 exec, exec, s[2:3]
.LBB577_269:
	s_or_b64 exec, exec, s[0:1]
	s_mov_b32 s0, 0xffffff
	v_cmp_lt_u32_e32 vcc, s0, v36
	v_mov_b32_e32 v55, 0
	v_mov_b32_e32 v56, 0
	s_and_saveexec_b64 s[0:1], vcc
	s_cbranch_execz .LBB577_275
; %bb.270:
	v_lshrrev_b32_e32 v34, 24, v36
	s_movk_i32 s2, 0x80
	v_cmp_ne_u32_e32 vcc, s2, v34
	v_bfrev_b32_e32 v56, 1
	s_and_saveexec_b64 s[2:3], vcc
	s_cbranch_execz .LBB577_274
; %bb.271:
	v_bfe_u32 v36, v36, 24, 7
	s_movk_i32 s8, 0x7f
	v_cmp_ne_u32_e32 vcc, s8, v36
	v_mov_b32_e32 v56, 0x7f800001
	s_and_saveexec_b64 s[8:9], vcc
	s_cbranch_execz .LBB577_273
; %bb.272:
	v_and_b32_e32 v52, 7, v34
	v_ffbh_u32_e32 v56, v52
	v_min_u32_e32 v59, 32, v56
	v_subrev_u32_e32 v56, 28, v59
	v_lshlrev_b64 v[56:57], v56, v[34:35]
	v_lshrrev_b32_e32 v58, 3, v36
	v_sub_u32_e32 v57, 29, v59
	v_and_b32_e32 v56, 7, v56
	v_cmp_gt_u32_e32 vcc, 8, v36
	v_cndmask_b32_e32 v36, v58, v57, vcc
	v_cndmask_b32_e32 v52, v52, v56, vcc
	v_lshlrev_b32_e32 v34, 24, v34
	v_bfrev_b32_e32 v56, 60
	v_lshlrev_b32_e32 v52, 20, v52
	v_and_b32_e32 v34, 0x80000000, v34
	v_lshl_add_u32 v36, v36, 23, v56
	v_or3_b32 v56, v34, v36, v52
.LBB577_273:
	s_or_b64 exec, exec, s[8:9]
.LBB577_274:
	s_or_b64 exec, exec, s[2:3]
.LBB577_275:
	s_or_b64 exec, exec, s[0:1]
	v_cmp_ne_u16_sdwa s[2:3], v37, v55 src0_sel:BYTE_0 src1_sel:DWORD
	s_and_saveexec_b64 s[0:1], s[2:3]
	s_cbranch_execz .LBB577_281
; %bb.276:
	s_movk_i32 s2, 0x80
	v_cmp_ne_u16_sdwa s[8:9], v37, s2 src0_sel:BYTE_0 src1_sel:DWORD
	v_bfrev_b32_e32 v55, 1
	s_and_saveexec_b64 s[2:3], s[8:9]
	s_cbranch_execz .LBB577_280
; %bb.277:
	s_movk_i32 s8, 0x7f
	v_and_b32_e32 v34, 0x7f, v37
	v_cmp_ne_u32_e32 vcc, s8, v34
	v_mov_b32_e32 v55, 0x7f800001
	s_and_saveexec_b64 s[8:9], vcc
	s_cbranch_execz .LBB577_279
; %bb.278:
	v_and_b32_e32 v52, 7, v37
	v_ffbh_u32_e32 v57, v52
	v_min_u32_e32 v57, 32, v57
	v_mov_b32_e32 v36, v37
	v_subrev_u32_e32 v58, 28, v57
	v_lshlrev_b64 v[58:59], v58, v[36:37]
	v_lshrrev_b32_e32 v55, 3, v34
	v_sub_u32_e32 v36, 29, v57
	v_and_b32_e32 v57, 7, v58
	v_cmp_gt_u32_e32 vcc, 8, v34
	v_cndmask_b32_e32 v34, v55, v36, vcc
	v_cndmask_b32_e32 v36, v52, v57, vcc
	v_lshlrev_b32_e32 v52, 24, v37
	v_bfrev_b32_e32 v55, 60
	v_lshlrev_b32_e32 v36, 20, v36
	v_and_b32_e32 v52, 0x80000000, v52
	v_lshl_add_u32 v34, v34, 23, v55
	v_or3_b32 v55, v52, v34, v36
.LBB577_279:
	s_or_b64 exec, exec, s[8:9]
.LBB577_280:
	s_or_b64 exec, exec, s[2:3]
.LBB577_281:
	s_or_b64 exec, exec, s[0:1]
	v_lshrrev_b16_e32 v34, 8, v37
	v_cmp_ne_u16_e32 vcc, 0, v34
	v_mov_b32_e32 v36, 0
	v_mov_b32_e32 v57, 0
	s_and_saveexec_b64 s[0:1], vcc
	s_cbranch_execz .LBB577_287
; %bb.282:
	s_movk_i32 s2, 0x80
	v_cmp_ne_u16_e32 vcc, s2, v34
	v_bfrev_b32_e32 v57, 1
	s_and_saveexec_b64 s[2:3], vcc
	s_cbranch_execz .LBB577_286
; %bb.283:
	s_movk_i32 s8, 0x7f
	v_and_b32_e32 v52, 0x7f, v34
	v_cmp_ne_u32_e32 vcc, s8, v52
	v_mov_b32_e32 v57, 0x7f800001
	s_and_saveexec_b64 s[8:9], vcc
	s_cbranch_execz .LBB577_285
; %bb.284:
	v_and_b32_e32 v57, 7, v34
	v_ffbh_u32_e32 v58, v57
	v_min_u32_e32 v61, 32, v58
	v_subrev_u32_e32 v58, 28, v61
	v_lshlrev_b64 v[58:59], v58, v[34:35]
	v_lshrrev_b32_e32 v60, 3, v52
	v_sub_u32_e32 v34, 29, v61
	v_and_b32_e32 v58, 7, v58
	v_cmp_gt_u32_e32 vcc, 8, v52
	v_cndmask_b32_e32 v34, v60, v34, vcc
	v_cndmask_b32_e32 v52, v57, v58, vcc
	v_lshlrev_b32_e32 v57, 16, v37
	v_bfrev_b32_e32 v58, 60
	v_lshlrev_b32_e32 v52, 20, v52
	v_and_b32_e32 v57, 0x80000000, v57
	v_lshl_add_u32 v34, v34, 23, v58
	v_or3_b32 v57, v57, v34, v52
.LBB577_285:
	s_or_b64 exec, exec, s[8:9]
.LBB577_286:
	s_or_b64 exec, exec, s[2:3]
.LBB577_287:
	s_or_b64 exec, exec, s[0:1]
	s_movk_i32 s0, 0xff
	v_and_b32_sdwa v52, v37, s0 dst_sel:DWORD dst_unused:UNUSED_PAD src0_sel:WORD_1 src1_sel:DWORD
	v_lshrrev_b32_e32 v34, 16, v37
	v_cmp_ne_u16_e32 vcc, 0, v52
	s_and_saveexec_b64 s[0:1], vcc
	s_cbranch_execz .LBB577_293
; %bb.288:
	s_movk_i32 s2, 0x80
	v_cmp_ne_u16_e32 vcc, s2, v52
	v_bfrev_b32_e32 v36, 1
	s_and_saveexec_b64 s[2:3], vcc
	s_cbranch_execz .LBB577_292
; %bb.289:
	v_bfe_u32 v52, v37, 16, 7
	s_movk_i32 s8, 0x7f
	v_cmp_ne_u32_e32 vcc, s8, v52
	v_mov_b32_e32 v36, 0x7f800001
	s_and_saveexec_b64 s[8:9], vcc
	s_cbranch_execz .LBB577_291
; %bb.290:
	v_and_b32_e32 v36, 7, v34
	v_ffbh_u32_e32 v58, v36
	v_min_u32_e32 v61, 32, v58
	v_subrev_u32_e32 v58, 28, v61
	v_lshlrev_b64 v[58:59], v58, v[34:35]
	v_lshrrev_b32_e32 v60, 3, v52
	v_sub_u32_e32 v34, 29, v61
	v_and_b32_e32 v58, 7, v58
	v_cmp_gt_u32_e32 vcc, 8, v52
	v_mov_b32_e32 v52, 24
	v_cndmask_b32_e32 v34, v60, v34, vcc
	v_cndmask_b32_e32 v36, v36, v58, vcc
	v_lshlrev_b32_sdwa v52, v52, v37 dst_sel:DWORD dst_unused:UNUSED_PAD src0_sel:DWORD src1_sel:WORD_1
	v_bfrev_b32_e32 v58, 60
	v_lshlrev_b32_e32 v36, 20, v36
	v_and_b32_e32 v52, 0x80000000, v52
	v_lshl_add_u32 v34, v34, 23, v58
	v_or3_b32 v36, v52, v34, v36
.LBB577_291:
	s_or_b64 exec, exec, s[8:9]
.LBB577_292:
	s_or_b64 exec, exec, s[2:3]
.LBB577_293:
	s_or_b64 exec, exec, s[0:1]
	s_mov_b32 s0, 0xffffff
	v_cmp_lt_u32_e32 vcc, s0, v37
	v_mov_b32_e32 v52, 0
	v_mov_b32_e32 v58, 0
	s_and_saveexec_b64 s[0:1], vcc
	s_cbranch_execz .LBB577_299
; %bb.294:
	v_lshrrev_b32_e32 v34, 24, v37
	s_movk_i32 s2, 0x80
	v_cmp_ne_u32_e32 vcc, s2, v34
	v_bfrev_b32_e32 v58, 1
	s_and_saveexec_b64 s[2:3], vcc
	s_cbranch_execz .LBB577_298
; %bb.295:
	v_bfe_u32 v37, v37, 24, 7
	s_movk_i32 s8, 0x7f
	v_cmp_ne_u32_e32 vcc, s8, v37
	v_mov_b32_e32 v58, 0x7f800001
	s_and_saveexec_b64 s[8:9], vcc
	s_cbranch_execz .LBB577_297
; %bb.296:
	v_and_b32_e32 v60, 7, v34
	v_ffbh_u32_e32 v58, v60
	v_min_u32_e32 v62, 32, v58
	v_subrev_u32_e32 v58, 28, v62
	v_lshlrev_b64 v[58:59], v58, v[34:35]
	v_lshrrev_b32_e32 v61, 3, v37
	v_sub_u32_e32 v59, 29, v62
	v_and_b32_e32 v58, 7, v58
	v_cmp_gt_u32_e32 vcc, 8, v37
	v_cndmask_b32_e32 v37, v61, v59, vcc
	v_cndmask_b32_e32 v58, v60, v58, vcc
	v_lshlrev_b32_e32 v34, 24, v34
	v_bfrev_b32_e32 v59, 60
	v_lshlrev_b32_e32 v58, 20, v58
	v_and_b32_e32 v34, 0x80000000, v34
	v_lshl_add_u32 v37, v37, 23, v59
	v_or3_b32 v58, v34, v37, v58
.LBB577_297:
	s_or_b64 exec, exec, s[8:9]
.LBB577_298:
	s_or_b64 exec, exec, s[2:3]
.LBB577_299:
	s_or_b64 exec, exec, s[0:1]
	v_cvt_pkrtz_f16_f32 v34, v53, v54
	v_cvt_pkrtz_f16_f32 v35, v35, v56
	s_waitcnt vmcnt(4)
	v_cmp_ne_u16_sdwa s[2:3], v22, v52 src0_sel:BYTE_0 src1_sel:DWORD
	v_mfma_f32_16x16x16f16 v[42:45], v[34:35], v[18:19], v[42:45]
	v_cvt_pkrtz_f16_f32 v34, v55, v57
	v_cvt_pkrtz_f16_f32 v35, v36, v58
	s_nop 1
	v_mfma_f32_16x16x16f16 v[34:37], v[34:35], v[20:21], v[42:45]
	s_and_saveexec_b64 s[0:1], s[2:3]
	s_cbranch_execz .LBB577_305
; %bb.300:
	s_movk_i32 s2, 0x80
	v_cmp_ne_u16_sdwa s[8:9], v22, s2 src0_sel:BYTE_0 src1_sel:DWORD
	v_bfrev_b32_e32 v52, 1
	s_and_saveexec_b64 s[2:3], s[8:9]
	s_cbranch_execz .LBB577_304
; %bb.301:
	s_movk_i32 s8, 0x7f
	v_and_b32_e32 v42, 0x7f, v22
	v_cmp_ne_u32_e32 vcc, s8, v42
	v_mov_b32_e32 v52, 0x7f800001
	s_and_saveexec_b64 s[8:9], vcc
	s_cbranch_execz .LBB577_303
; %bb.302:
	v_and_b32_e32 v43, 7, v22
	v_ffbh_u32_e32 v44, v43
	v_min_u32_e32 v53, 32, v44
	v_subrev_u32_e32 v44, 28, v53
	v_lshlrev_b64 v[44:45], v44, v[22:23]
	v_lshrrev_b32_e32 v52, 3, v42
	v_sub_u32_e32 v45, 29, v53
	v_and_b32_e32 v44, 7, v44
	v_cmp_gt_u32_e32 vcc, 8, v42
	v_cndmask_b32_e32 v42, v52, v45, vcc
	v_cndmask_b32_e32 v43, v43, v44, vcc
	v_lshlrev_b32_e32 v44, 24, v22
	v_bfrev_b32_e32 v45, 60
	v_lshlrev_b32_e32 v43, 20, v43
	v_and_b32_e32 v44, 0x80000000, v44
	v_lshl_add_u32 v42, v42, 23, v45
	v_or3_b32 v52, v44, v42, v43
.LBB577_303:
	s_or_b64 exec, exec, s[8:9]
.LBB577_304:
	s_or_b64 exec, exec, s[2:3]
.LBB577_305:
	s_or_b64 exec, exec, s[0:1]
	s_nop 3
	v_lshrrev_b16_e32 v42, 8, v22
	v_cmp_ne_u16_e32 vcc, 0, v42
	v_mov_b32_e32 v43, 0
	v_mov_b32_e32 v44, 0
	s_and_saveexec_b64 s[0:1], vcc
	s_cbranch_execz .LBB577_311
; %bb.306:
	s_movk_i32 s2, 0x80
	v_cmp_ne_u16_e32 vcc, s2, v42
	v_bfrev_b32_e32 v44, 1
	s_and_saveexec_b64 s[2:3], vcc
	s_cbranch_execz .LBB577_310
; %bb.307:
	s_movk_i32 s8, 0x7f
	v_and_b32_e32 v45, 0x7f, v42
	v_cmp_ne_u32_e32 vcc, s8, v45
	v_mov_b32_e32 v44, 0x7f800001
	s_and_saveexec_b64 s[8:9], vcc
	s_cbranch_execz .LBB577_309
; %bb.308:
	v_and_b32_e32 v44, 7, v42
	v_ffbh_u32_e32 v54, v44
	v_min_u32_e32 v56, 32, v54
	v_subrev_u32_e32 v54, 28, v56
	v_lshlrev_b64 v[54:55], v54, v[42:43]
	v_lshrrev_b32_e32 v53, 3, v45
	v_sub_u32_e32 v42, 29, v56
	v_and_b32_e32 v54, 7, v54
	v_cmp_gt_u32_e32 vcc, 8, v45
	v_cndmask_b32_e32 v42, v53, v42, vcc
	v_cndmask_b32_e32 v44, v44, v54, vcc
	v_lshlrev_b32_e32 v45, 16, v22
	v_bfrev_b32_e32 v53, 60
	v_lshlrev_b32_e32 v44, 20, v44
	v_and_b32_e32 v45, 0x80000000, v45
	v_lshl_add_u32 v42, v42, 23, v53
	v_or3_b32 v44, v45, v42, v44
.LBB577_309:
	s_or_b64 exec, exec, s[8:9]
.LBB577_310:
	s_or_b64 exec, exec, s[2:3]
.LBB577_311:
	s_or_b64 exec, exec, s[0:1]
	s_movk_i32 s0, 0xff
	v_and_b32_sdwa v45, v22, s0 dst_sel:DWORD dst_unused:UNUSED_PAD src0_sel:WORD_1 src1_sel:DWORD
	v_lshrrev_b32_e32 v42, 16, v22
	v_cmp_ne_u16_e32 vcc, 0, v45
	s_and_saveexec_b64 s[0:1], vcc
	s_cbranch_execz .LBB577_317
; %bb.312:
	s_movk_i32 s2, 0x80
	v_cmp_ne_u16_e32 vcc, s2, v45
	v_bfrev_b32_e32 v43, 1
	s_and_saveexec_b64 s[2:3], vcc
	s_cbranch_execz .LBB577_316
; %bb.313:
	v_bfe_u32 v45, v22, 16, 7
	s_movk_i32 s8, 0x7f
	v_cmp_ne_u32_e32 vcc, s8, v45
	v_mov_b32_e32 v43, 0x7f800001
	s_and_saveexec_b64 s[8:9], vcc
	s_cbranch_execz .LBB577_315
; %bb.314:
	v_and_b32_e32 v53, 7, v42
	v_ffbh_u32_e32 v43, v53
	v_min_u32_e32 v55, 32, v43
	v_subrev_u32_e32 v43, 28, v55
	v_lshlrev_b64 v[42:43], v43, v[42:43]
	v_lshrrev_b32_e32 v54, 3, v45
	v_sub_u32_e32 v43, 29, v55
	v_and_b32_e32 v42, 7, v42
	v_cmp_gt_u32_e32 vcc, 8, v45
	v_mov_b32_e32 v45, 24
	v_cndmask_b32_e32 v43, v54, v43, vcc
	v_cndmask_b32_e32 v42, v53, v42, vcc
	v_lshlrev_b32_sdwa v45, v45, v22 dst_sel:DWORD dst_unused:UNUSED_PAD src0_sel:DWORD src1_sel:WORD_1
	v_bfrev_b32_e32 v53, 60
	v_lshlrev_b32_e32 v42, 20, v42
	v_and_b32_e32 v45, 0x80000000, v45
	v_lshl_add_u32 v43, v43, 23, v53
	v_or3_b32 v43, v45, v43, v42
.LBB577_315:
	s_or_b64 exec, exec, s[8:9]
.LBB577_316:
	s_or_b64 exec, exec, s[2:3]
.LBB577_317:
	s_or_b64 exec, exec, s[0:1]
	s_mov_b32 s0, 0xffffff
	v_cmp_lt_u32_e32 vcc, s0, v22
	v_mov_b32_e32 v45, 0
	v_mov_b32_e32 v53, 0
	s_and_saveexec_b64 s[0:1], vcc
	s_cbranch_execz .LBB577_323
; %bb.318:
	v_lshrrev_b32_e32 v42, 24, v22
	s_movk_i32 s2, 0x80
	v_cmp_ne_u32_e32 vcc, s2, v42
	v_bfrev_b32_e32 v53, 1
	s_and_saveexec_b64 s[2:3], vcc
	s_cbranch_execz .LBB577_322
; %bb.319:
	v_bfe_u32 v22, v22, 24, 7
	s_movk_i32 s8, 0x7f
	v_cmp_ne_u32_e32 vcc, s8, v22
	v_mov_b32_e32 v53, 0x7f800001
	s_and_saveexec_b64 s[8:9], vcc
	s_cbranch_execz .LBB577_321
; %bb.320:
	v_and_b32_e32 v53, 7, v42
	v_ffbh_u32_e32 v54, v53
	v_min_u32_e32 v57, 32, v54
	v_subrev_u32_e32 v54, 28, v57
	v_lshlrev_b64 v[54:55], v54, v[42:43]
	v_lshrrev_b32_e32 v56, 3, v22
	v_sub_u32_e32 v55, 29, v57
	v_and_b32_e32 v54, 7, v54
	v_cmp_gt_u32_e32 vcc, 8, v22
	v_cndmask_b32_e32 v22, v56, v55, vcc
	v_cndmask_b32_e32 v53, v53, v54, vcc
	v_lshlrev_b32_e32 v42, 24, v42
	v_bfrev_b32_e32 v54, 60
	v_lshlrev_b32_e32 v53, 20, v53
	v_and_b32_e32 v42, 0x80000000, v42
	v_lshl_add_u32 v22, v22, 23, v54
	v_or3_b32 v53, v42, v22, v53
.LBB577_321:
	s_or_b64 exec, exec, s[8:9]
.LBB577_322:
	s_or_b64 exec, exec, s[2:3]
.LBB577_323:
	s_or_b64 exec, exec, s[0:1]
	v_cmp_ne_u16_sdwa s[2:3], v23, v45 src0_sel:BYTE_0 src1_sel:DWORD
	s_and_saveexec_b64 s[0:1], s[2:3]
	s_cbranch_execz .LBB577_329
; %bb.324:
	s_movk_i32 s2, 0x80
	v_cmp_ne_u16_sdwa s[8:9], v23, s2 src0_sel:BYTE_0 src1_sel:DWORD
	v_bfrev_b32_e32 v45, 1
	s_and_saveexec_b64 s[2:3], s[8:9]
	s_cbranch_execz .LBB577_328
; %bb.325:
	s_movk_i32 s8, 0x7f
	v_and_b32_e32 v22, 0x7f, v23
	v_cmp_ne_u32_e32 vcc, s8, v22
	v_mov_b32_e32 v45, 0x7f800001
	s_and_saveexec_b64 s[8:9], vcc
	s_cbranch_execz .LBB577_327
; %bb.326:
	v_and_b32_e32 v45, 7, v23
	v_ffbh_u32_e32 v54, v45
	v_min_u32_e32 v57, 32, v54
	v_mov_b32_e32 v42, v23
	v_subrev_u32_e32 v54, 28, v57
	v_lshlrev_b64 v[54:55], v54, v[42:43]
	v_lshrrev_b32_e32 v56, 3, v22
	v_sub_u32_e32 v42, 29, v57
	v_and_b32_e32 v54, 7, v54
	v_cmp_gt_u32_e32 vcc, 8, v22
	v_cndmask_b32_e32 v22, v56, v42, vcc
	v_cndmask_b32_e32 v42, v45, v54, vcc
	v_lshlrev_b32_e32 v45, 24, v23
	v_bfrev_b32_e32 v54, 60
	v_lshlrev_b32_e32 v42, 20, v42
	v_and_b32_e32 v45, 0x80000000, v45
	v_lshl_add_u32 v22, v22, 23, v54
	v_or3_b32 v45, v45, v22, v42
.LBB577_327:
	s_or_b64 exec, exec, s[8:9]
.LBB577_328:
	s_or_b64 exec, exec, s[2:3]
.LBB577_329:
	s_or_b64 exec, exec, s[0:1]
	v_lshrrev_b16_e32 v22, 8, v23
	v_cmp_ne_u16_e32 vcc, 0, v22
	v_mov_b32_e32 v54, 0
	v_mov_b32_e32 v55, 0
	s_and_saveexec_b64 s[0:1], vcc
	s_cbranch_execz .LBB577_335
; %bb.330:
	s_movk_i32 s2, 0x80
	v_cmp_ne_u16_e32 vcc, s2, v22
	v_bfrev_b32_e32 v55, 1
	s_and_saveexec_b64 s[2:3], vcc
	s_cbranch_execz .LBB577_334
; %bb.331:
	s_movk_i32 s8, 0x7f
	v_and_b32_e32 v42, 0x7f, v22
	v_cmp_ne_u32_e32 vcc, s8, v42
	v_mov_b32_e32 v55, 0x7f800001
	s_and_saveexec_b64 s[8:9], vcc
	s_cbranch_execz .LBB577_333
; %bb.332:
	v_and_b32_e32 v55, 7, v22
	v_ffbh_u32_e32 v56, v55
	v_min_u32_e32 v59, 32, v56
	v_subrev_u32_e32 v56, 28, v59
	v_lshlrev_b64 v[56:57], v56, v[22:23]
	v_lshrrev_b32_e32 v58, 3, v42
	v_sub_u32_e32 v22, 29, v59
	v_and_b32_e32 v56, 7, v56
	v_cmp_gt_u32_e32 vcc, 8, v42
	v_cndmask_b32_e32 v22, v58, v22, vcc
	v_cndmask_b32_e32 v42, v55, v56, vcc
	v_lshlrev_b32_e32 v55, 16, v23
	v_bfrev_b32_e32 v56, 60
	v_lshlrev_b32_e32 v42, 20, v42
	v_and_b32_e32 v55, 0x80000000, v55
	v_lshl_add_u32 v22, v22, 23, v56
	v_or3_b32 v55, v55, v22, v42
.LBB577_333:
	s_or_b64 exec, exec, s[8:9]
.LBB577_334:
	s_or_b64 exec, exec, s[2:3]
.LBB577_335:
	s_or_b64 exec, exec, s[0:1]
	s_movk_i32 s0, 0xff
	v_and_b32_sdwa v42, v23, s0 dst_sel:DWORD dst_unused:UNUSED_PAD src0_sel:WORD_1 src1_sel:DWORD
	v_lshrrev_b32_e32 v22, 16, v23
	v_cmp_ne_u16_e32 vcc, 0, v42
	s_and_saveexec_b64 s[0:1], vcc
	s_cbranch_execz .LBB577_341
; %bb.336:
	s_movk_i32 s2, 0x80
	v_cmp_ne_u16_e32 vcc, s2, v42
	v_bfrev_b32_e32 v54, 1
	s_and_saveexec_b64 s[2:3], vcc
	s_cbranch_execz .LBB577_340
; %bb.337:
	v_bfe_u32 v42, v23, 16, 7
	s_movk_i32 s8, 0x7f
	v_cmp_ne_u32_e32 vcc, s8, v42
	v_mov_b32_e32 v54, 0x7f800001
	s_and_saveexec_b64 s[8:9], vcc
	s_cbranch_execz .LBB577_339
; %bb.338:
	v_and_b32_e32 v54, 7, v22
	v_ffbh_u32_e32 v56, v54
	v_min_u32_e32 v59, 32, v56
	v_subrev_u32_e32 v56, 28, v59
	v_lshlrev_b64 v[56:57], v56, v[22:23]
	v_and_b32_e32 v56, 7, v56
	v_cmp_gt_u32_e32 vcc, 8, v42
	v_lshrrev_b32_e32 v58, 3, v42
	v_sub_u32_e32 v22, 29, v59
	v_cndmask_b32_e32 v42, v54, v56, vcc
	v_mov_b32_e32 v54, 24
	v_cndmask_b32_e32 v22, v58, v22, vcc
	v_lshlrev_b32_sdwa v54, v54, v23 dst_sel:DWORD dst_unused:UNUSED_PAD src0_sel:DWORD src1_sel:WORD_1
	v_bfrev_b32_e32 v56, 60
	v_lshlrev_b32_e32 v42, 20, v42
	v_and_b32_e32 v54, 0x80000000, v54
	v_lshl_add_u32 v22, v22, 23, v56
	v_or3_b32 v54, v54, v22, v42
.LBB577_339:
	s_or_b64 exec, exec, s[8:9]
.LBB577_340:
	s_or_b64 exec, exec, s[2:3]
.LBB577_341:
	s_or_b64 exec, exec, s[0:1]
	s_mov_b32 s0, 0xffffff
	v_cmp_lt_u32_e32 vcc, s0, v23
	v_mov_b32_e32 v42, 0
	v_mov_b32_e32 v56, 0
	s_and_saveexec_b64 s[0:1], vcc
	s_cbranch_execz .LBB577_347
; %bb.342:
	v_lshrrev_b32_e32 v22, 24, v23
	s_movk_i32 s2, 0x80
	v_cmp_ne_u32_e32 vcc, s2, v22
	v_bfrev_b32_e32 v56, 1
	s_and_saveexec_b64 s[2:3], vcc
	s_cbranch_execz .LBB577_346
; %bb.343:
	v_bfe_u32 v23, v23, 24, 7
	s_movk_i32 s8, 0x7f
	v_cmp_ne_u32_e32 vcc, s8, v23
	v_mov_b32_e32 v56, 0x7f800001
	s_and_saveexec_b64 s[8:9], vcc
	s_cbranch_execz .LBB577_345
; %bb.344:
	v_and_b32_e32 v58, 7, v22
	v_ffbh_u32_e32 v56, v58
	v_min_u32_e32 v60, 32, v56
	v_subrev_u32_e32 v56, 28, v60
	v_lshlrev_b64 v[56:57], v56, v[22:23]
	v_lshrrev_b32_e32 v59, 3, v23
	v_sub_u32_e32 v57, 29, v60
	v_and_b32_e32 v56, 7, v56
	v_cmp_gt_u32_e32 vcc, 8, v23
	v_cndmask_b32_e32 v23, v59, v57, vcc
	v_cndmask_b32_e32 v56, v58, v56, vcc
	v_lshlrev_b32_e32 v22, 24, v22
	v_bfrev_b32_e32 v57, 60
	v_lshlrev_b32_e32 v56, 20, v56
	v_and_b32_e32 v22, 0x80000000, v22
	v_lshl_add_u32 v23, v23, 23, v57
	v_or3_b32 v56, v22, v23, v56
.LBB577_345:
	s_or_b64 exec, exec, s[8:9]
.LBB577_346:
	s_or_b64 exec, exec, s[2:3]
.LBB577_347:
	s_or_b64 exec, exec, s[0:1]
	v_cvt_pkrtz_f16_f32 v22, v52, v44
	v_cvt_pkrtz_f16_f32 v23, v43, v53
	v_cmp_ne_u16_sdwa s[2:3], v24, v42 src0_sel:BYTE_0 src1_sel:DWORD
	s_nop 0
	v_mfma_f32_16x16x16f16 v[58:61], v[22:23], v[26:27], 0
	v_cvt_pkrtz_f16_f32 v22, v45, v55
	v_cvt_pkrtz_f16_f32 v23, v54, v56
	s_nop 1
	v_mfma_f32_16x16x16f16 v[26:29], v[22:23], v[28:29], v[58:61]
	s_and_saveexec_b64 s[0:1], s[2:3]
	s_cbranch_execz .LBB577_353
; %bb.348:
	s_movk_i32 s2, 0x80
	v_cmp_ne_u16_sdwa s[8:9], v24, s2 src0_sel:BYTE_0 src1_sel:DWORD
	v_bfrev_b32_e32 v42, 1
	s_and_saveexec_b64 s[2:3], s[8:9]
	s_cbranch_execz .LBB577_352
; %bb.349:
	s_movk_i32 s8, 0x7f
	v_and_b32_e32 v22, 0x7f, v24
	v_cmp_ne_u32_e32 vcc, s8, v22
	v_mov_b32_e32 v42, 0x7f800001
	s_and_saveexec_b64 s[8:9], vcc
	s_cbranch_execz .LBB577_351
; %bb.350:
	v_and_b32_e32 v23, 7, v24
	v_ffbh_u32_e32 v42, v23
	v_min_u32_e32 v45, 32, v42
	v_subrev_u32_e32 v42, 28, v45
	v_lshlrev_b64 v[42:43], v42, v[24:25]
	v_lshrrev_b32_e32 v44, 3, v22
	v_sub_u32_e32 v43, 29, v45
	v_and_b32_e32 v42, 7, v42
	v_cmp_gt_u32_e32 vcc, 8, v22
	v_cndmask_b32_e32 v22, v44, v43, vcc
	v_cndmask_b32_e32 v23, v23, v42, vcc
	v_lshlrev_b32_e32 v42, 24, v24
	v_bfrev_b32_e32 v43, 60
	v_lshlrev_b32_e32 v23, 20, v23
	v_and_b32_e32 v42, 0x80000000, v42
	v_lshl_add_u32 v22, v22, 23, v43
	v_or3_b32 v42, v42, v22, v23
.LBB577_351:
	s_or_b64 exec, exec, s[8:9]
.LBB577_352:
	s_or_b64 exec, exec, s[2:3]
.LBB577_353:
	s_or_b64 exec, exec, s[0:1]
	v_lshrrev_b16_e32 v22, 8, v24
	v_cmp_ne_u16_e32 vcc, 0, v22
	v_mov_b32_e32 v23, 0
	v_mov_b32_e32 v43, 0
	s_and_saveexec_b64 s[0:1], vcc
	s_cbranch_execz .LBB577_359
; %bb.354:
	s_movk_i32 s2, 0x80
	v_cmp_ne_u16_e32 vcc, s2, v22
	v_bfrev_b32_e32 v43, 1
	s_and_saveexec_b64 s[2:3], vcc
	s_cbranch_execz .LBB577_358
; %bb.355:
	s_movk_i32 s8, 0x7f
	v_and_b32_e32 v44, 0x7f, v22
	v_cmp_ne_u32_e32 vcc, s8, v44
	v_mov_b32_e32 v43, 0x7f800001
	s_and_saveexec_b64 s[8:9], vcc
	s_cbranch_execz .LBB577_357
; %bb.356:
	v_and_b32_e32 v43, 7, v22
	v_ffbh_u32_e32 v52, v43
	v_min_u32_e32 v54, 32, v52
	v_subrev_u32_e32 v52, 28, v54
	v_lshlrev_b64 v[52:53], v52, v[22:23]
	v_lshrrev_b32_e32 v45, 3, v44
	v_sub_u32_e32 v22, 29, v54
	v_and_b32_e32 v52, 7, v52
	v_cmp_gt_u32_e32 vcc, 8, v44
	v_cndmask_b32_e32 v22, v45, v22, vcc
	v_cndmask_b32_e32 v43, v43, v52, vcc
	v_lshlrev_b32_e32 v44, 16, v24
	v_bfrev_b32_e32 v45, 60
	v_lshlrev_b32_e32 v43, 20, v43
	v_and_b32_e32 v44, 0x80000000, v44
	v_lshl_add_u32 v22, v22, 23, v45
	v_or3_b32 v43, v44, v22, v43
.LBB577_357:
	s_or_b64 exec, exec, s[8:9]
.LBB577_358:
	s_or_b64 exec, exec, s[2:3]
.LBB577_359:
	s_or_b64 exec, exec, s[0:1]
	s_movk_i32 s0, 0xff
	v_and_b32_sdwa v44, v24, s0 dst_sel:DWORD dst_unused:UNUSED_PAD src0_sel:WORD_1 src1_sel:DWORD
	v_lshrrev_b32_e32 v22, 16, v24
	v_cmp_ne_u16_e32 vcc, 0, v44
	s_and_saveexec_b64 s[0:1], vcc
	s_cbranch_execz .LBB577_365
; %bb.360:
	s_movk_i32 s2, 0x80
	v_cmp_ne_u16_e32 vcc, s2, v44
	v_bfrev_b32_e32 v23, 1
	s_and_saveexec_b64 s[2:3], vcc
	s_cbranch_execz .LBB577_364
; %bb.361:
	v_bfe_u32 v44, v24, 16, 7
	s_movk_i32 s8, 0x7f
	v_cmp_ne_u32_e32 vcc, s8, v44
	v_mov_b32_e32 v23, 0x7f800001
	s_and_saveexec_b64 s[8:9], vcc
	s_cbranch_execz .LBB577_363
; %bb.362:
	v_and_b32_e32 v45, 7, v22
	v_ffbh_u32_e32 v23, v45
	v_min_u32_e32 v53, 32, v23
	v_subrev_u32_e32 v23, 28, v53
	v_lshlrev_b64 v[22:23], v23, v[22:23]
	v_lshrrev_b32_e32 v52, 3, v44
	v_sub_u32_e32 v23, 29, v53
	v_and_b32_e32 v22, 7, v22
	v_cmp_gt_u32_e32 vcc, 8, v44
	v_mov_b32_e32 v44, 24
	v_cndmask_b32_e32 v23, v52, v23, vcc
	v_cndmask_b32_e32 v22, v45, v22, vcc
	v_lshlrev_b32_sdwa v44, v44, v24 dst_sel:DWORD dst_unused:UNUSED_PAD src0_sel:DWORD src1_sel:WORD_1
	v_bfrev_b32_e32 v45, 60
	v_lshlrev_b32_e32 v22, 20, v22
	v_and_b32_e32 v44, 0x80000000, v44
	v_lshl_add_u32 v23, v23, 23, v45
	v_or3_b32 v23, v44, v23, v22
.LBB577_363:
	s_or_b64 exec, exec, s[8:9]
.LBB577_364:
	s_or_b64 exec, exec, s[2:3]
.LBB577_365:
	s_or_b64 exec, exec, s[0:1]
	s_mov_b32 s0, 0xffffff
	v_cmp_lt_u32_e32 vcc, s0, v24
	v_mov_b32_e32 v44, 0
	v_mov_b32_e32 v45, 0
	s_and_saveexec_b64 s[0:1], vcc
	s_cbranch_execz .LBB577_371
; %bb.366:
	v_lshrrev_b32_e32 v22, 24, v24
	s_movk_i32 s2, 0x80
	v_cmp_ne_u32_e32 vcc, s2, v22
	v_bfrev_b32_e32 v45, 1
	s_and_saveexec_b64 s[2:3], vcc
	s_cbranch_execz .LBB577_370
; %bb.367:
	v_bfe_u32 v24, v24, 24, 7
	s_movk_i32 s8, 0x7f
	v_cmp_ne_u32_e32 vcc, s8, v24
	v_mov_b32_e32 v45, 0x7f800001
	s_and_saveexec_b64 s[8:9], vcc
	s_cbranch_execz .LBB577_369
; %bb.368:
	v_and_b32_e32 v45, 7, v22
	v_ffbh_u32_e32 v52, v45
	v_min_u32_e32 v55, 32, v52
	v_subrev_u32_e32 v52, 28, v55
	v_lshlrev_b64 v[52:53], v52, v[22:23]
	v_lshrrev_b32_e32 v54, 3, v24
	v_sub_u32_e32 v53, 29, v55
	v_and_b32_e32 v52, 7, v52
	v_cmp_gt_u32_e32 vcc, 8, v24
	v_cndmask_b32_e32 v24, v54, v53, vcc
	v_cndmask_b32_e32 v45, v45, v52, vcc
	v_lshlrev_b32_e32 v22, 24, v22
	v_bfrev_b32_e32 v52, 60
	v_lshlrev_b32_e32 v45, 20, v45
	v_and_b32_e32 v22, 0x80000000, v22
	v_lshl_add_u32 v24, v24, 23, v52
	v_or3_b32 v45, v22, v24, v45
.LBB577_369:
	s_or_b64 exec, exec, s[8:9]
.LBB577_370:
	s_or_b64 exec, exec, s[2:3]
.LBB577_371:
	s_or_b64 exec, exec, s[0:1]
	v_cmp_ne_u16_sdwa s[2:3], v25, v44 src0_sel:BYTE_0 src1_sel:DWORD
	s_and_saveexec_b64 s[0:1], s[2:3]
	s_cbranch_execz .LBB577_377
; %bb.372:
	s_movk_i32 s2, 0x80
	v_cmp_ne_u16_sdwa s[8:9], v25, s2 src0_sel:BYTE_0 src1_sel:DWORD
	v_bfrev_b32_e32 v44, 1
	s_and_saveexec_b64 s[2:3], s[8:9]
	s_cbranch_execz .LBB577_376
; %bb.373:
	s_movk_i32 s8, 0x7f
	v_and_b32_e32 v22, 0x7f, v25
	v_cmp_ne_u32_e32 vcc, s8, v22
	v_mov_b32_e32 v44, 0x7f800001
	s_and_saveexec_b64 s[8:9], vcc
	s_cbranch_execz .LBB577_375
; %bb.374:
	v_and_b32_e32 v44, 7, v25
	v_ffbh_u32_e32 v52, v44
	v_min_u32_e32 v55, 32, v52
	v_mov_b32_e32 v24, v25
	v_subrev_u32_e32 v52, 28, v55
	v_lshlrev_b64 v[52:53], v52, v[24:25]
	v_lshrrev_b32_e32 v54, 3, v22
	v_sub_u32_e32 v24, 29, v55
	v_and_b32_e32 v52, 7, v52
	v_cmp_gt_u32_e32 vcc, 8, v22
	v_cndmask_b32_e32 v22, v54, v24, vcc
	v_cndmask_b32_e32 v24, v44, v52, vcc
	v_lshlrev_b32_e32 v44, 24, v25
	v_bfrev_b32_e32 v52, 60
	v_lshlrev_b32_e32 v24, 20, v24
	v_and_b32_e32 v44, 0x80000000, v44
	v_lshl_add_u32 v22, v22, 23, v52
	v_or3_b32 v44, v44, v22, v24
.LBB577_375:
	s_or_b64 exec, exec, s[8:9]
.LBB577_376:
	s_or_b64 exec, exec, s[2:3]
.LBB577_377:
	s_or_b64 exec, exec, s[0:1]
	v_lshrrev_b16_e32 v22, 8, v25
	v_cmp_ne_u16_e32 vcc, 0, v22
	v_mov_b32_e32 v24, 0
	v_mov_b32_e32 v53, 0
	s_and_saveexec_b64 s[0:1], vcc
	s_cbranch_execz .LBB577_383
; %bb.378:
	s_movk_i32 s2, 0x80
	v_cmp_ne_u16_e32 vcc, s2, v22
	v_bfrev_b32_e32 v53, 1
	s_and_saveexec_b64 s[2:3], vcc
	s_cbranch_execz .LBB577_382
; %bb.379:
	s_movk_i32 s8, 0x7f
	v_and_b32_e32 v52, 0x7f, v22
	v_cmp_ne_u32_e32 vcc, s8, v52
	v_mov_b32_e32 v53, 0x7f800001
	s_and_saveexec_b64 s[8:9], vcc
	s_cbranch_execz .LBB577_381
; %bb.380:
	v_and_b32_e32 v53, 7, v22
	v_ffbh_u32_e32 v54, v53
	v_min_u32_e32 v57, 32, v54
	v_subrev_u32_e32 v54, 28, v57
	v_lshlrev_b64 v[54:55], v54, v[22:23]
	v_lshrrev_b32_e32 v56, 3, v52
	v_sub_u32_e32 v22, 29, v57
	v_and_b32_e32 v54, 7, v54
	v_cmp_gt_u32_e32 vcc, 8, v52
	v_cndmask_b32_e32 v22, v56, v22, vcc
	v_cndmask_b32_e32 v52, v53, v54, vcc
	v_lshlrev_b32_e32 v53, 16, v25
	v_bfrev_b32_e32 v54, 60
	v_lshlrev_b32_e32 v52, 20, v52
	v_and_b32_e32 v53, 0x80000000, v53
	v_lshl_add_u32 v22, v22, 23, v54
	v_or3_b32 v53, v53, v22, v52
.LBB577_381:
	s_or_b64 exec, exec, s[8:9]
.LBB577_382:
	s_or_b64 exec, exec, s[2:3]
.LBB577_383:
	s_or_b64 exec, exec, s[0:1]
	s_movk_i32 s0, 0xff
	v_and_b32_sdwa v52, v25, s0 dst_sel:DWORD dst_unused:UNUSED_PAD src0_sel:WORD_1 src1_sel:DWORD
	v_lshrrev_b32_e32 v22, 16, v25
	v_cmp_ne_u16_e32 vcc, 0, v52
	s_and_saveexec_b64 s[0:1], vcc
	s_cbranch_execz .LBB577_389
; %bb.384:
	s_movk_i32 s2, 0x80
	v_cmp_ne_u16_e32 vcc, s2, v52
	v_bfrev_b32_e32 v24, 1
	s_and_saveexec_b64 s[2:3], vcc
	s_cbranch_execz .LBB577_388
; %bb.385:
	v_bfe_u32 v52, v25, 16, 7
	s_movk_i32 s8, 0x7f
	v_cmp_ne_u32_e32 vcc, s8, v52
	v_mov_b32_e32 v24, 0x7f800001
	s_and_saveexec_b64 s[8:9], vcc
	s_cbranch_execz .LBB577_387
; %bb.386:
	v_and_b32_e32 v24, 7, v22
	v_ffbh_u32_e32 v54, v24
	v_min_u32_e32 v57, 32, v54
	v_subrev_u32_e32 v54, 28, v57
	v_lshlrev_b64 v[54:55], v54, v[22:23]
	v_lshrrev_b32_e32 v56, 3, v52
	v_sub_u32_e32 v22, 29, v57
	v_and_b32_e32 v54, 7, v54
	v_cmp_gt_u32_e32 vcc, 8, v52
	v_mov_b32_e32 v52, 24
	v_cndmask_b32_e32 v22, v56, v22, vcc
	v_cndmask_b32_e32 v24, v24, v54, vcc
	v_lshlrev_b32_sdwa v52, v52, v25 dst_sel:DWORD dst_unused:UNUSED_PAD src0_sel:DWORD src1_sel:WORD_1
	v_bfrev_b32_e32 v54, 60
	v_lshlrev_b32_e32 v24, 20, v24
	v_and_b32_e32 v52, 0x80000000, v52
	v_lshl_add_u32 v22, v22, 23, v54
	v_or3_b32 v24, v52, v22, v24
.LBB577_387:
	s_or_b64 exec, exec, s[8:9]
.LBB577_388:
	s_or_b64 exec, exec, s[2:3]
.LBB577_389:
	s_or_b64 exec, exec, s[0:1]
	s_mov_b32 s0, 0xffffff
	v_and_b32_e32 v52, 63, v0
	v_cmp_lt_u32_e32 vcc, s0, v25
	v_mov_b32_e32 v54, 0
	s_and_saveexec_b64 s[0:1], vcc
	s_cbranch_execz .LBB577_395
; %bb.390:
	v_lshrrev_b32_e32 v22, 24, v25
	s_movk_i32 s2, 0x80
	v_cmp_ne_u32_e32 vcc, s2, v22
	v_bfrev_b32_e32 v54, 1
	s_and_saveexec_b64 s[2:3], vcc
	s_cbranch_execz .LBB577_394
; %bb.391:
	v_bfe_u32 v25, v25, 24, 7
	s_movk_i32 s8, 0x7f
	v_cmp_ne_u32_e32 vcc, s8, v25
	v_mov_b32_e32 v54, 0x7f800001
	s_and_saveexec_b64 s[8:9], vcc
	s_cbranch_execz .LBB577_393
; %bb.392:
	v_and_b32_e32 v56, 7, v22
	v_ffbh_u32_e32 v54, v56
	v_min_u32_e32 v58, 32, v54
	v_subrev_u32_e32 v54, 28, v58
	v_lshlrev_b64 v[54:55], v54, v[22:23]
	v_lshrrev_b32_e32 v57, 3, v25
	v_sub_u32_e32 v55, 29, v58
	v_and_b32_e32 v54, 7, v54
	v_cmp_gt_u32_e32 vcc, 8, v25
	v_cndmask_b32_e32 v25, v57, v55, vcc
	v_cndmask_b32_e32 v54, v56, v54, vcc
	v_lshlrev_b32_e32 v22, 24, v22
	v_bfrev_b32_e32 v55, 60
	v_lshlrev_b32_e32 v54, 20, v54
	v_and_b32_e32 v22, 0x80000000, v22
	v_lshl_add_u32 v25, v25, 23, v55
	v_or3_b32 v54, v22, v25, v54
.LBB577_393:
	s_or_b64 exec, exec, s[8:9]
.LBB577_394:
	s_or_b64 exec, exec, s[2:3]
.LBB577_395:
	s_or_b64 exec, exec, s[0:1]
	v_cvt_pkrtz_f16_f32 v42, v42, v43
	v_cvt_pkrtz_f16_f32 v43, v23, v45
	s_load_dword s0, s[4:5], 0x1c
	s_mov_b32 s40, 0xff7fffff
	s_waitcnt lgkmcnt(0)
	v_mfma_f32_16x16x16f16 v[26:29], v[42:43], v[18:19], v[26:29]
	v_cvt_pkrtz_f16_f32 v18, v44, v53
	v_cvt_pkrtz_f16_f32 v19, v24, v54
	v_and_b32_e32 v24, 0xc0, v0
	v_mov_b32_e32 v22, s0
	v_add_u32_e32 v24, s20, v24
	v_mul_f32_e32 v56, s10, v22
	v_lshl_or_b32 v42, v49, 2, v24
	v_mfma_f32_16x16x16f16 v[18:21], v[18:19], v[20:21], v[26:29]
	v_pk_mul_f32 v[22:23], v[56:57], v[36:37] op_sel_hi:[0,1]
	v_pk_mul_f32 v[36:37], v[56:57], v[40:41] op_sel_hi:[0,1]
	;; [unrolled: 1-line block ×4, first 2 shown]
	v_mov_b32_e32 v43, 0xff7fffff
	v_cmp_gt_i32_e64 s[24:25], s33, v42
	v_pk_mul_f32 v[38:39], v[56:57], v[38:39] op_sel_hi:[0,1]
	s_nop 3
	v_pk_mul_f32 v[32:33], v[56:57], v[18:19] op_sel_hi:[0,1]
	v_or_b32_e32 v19, 1, v42
	v_cmp_gt_i32_e64 s[26:27], s33, v19
	v_cndmask_b32_e64 v18, v43, v30, s[24:25]
	v_cndmask_b32_e64 v19, v43, v31, s[26:27]
	v_pk_mul_f32 v[24:25], v[56:57], v[20:21] op_sel_hi:[0,1]
	v_max3_f32 v18, v18, s40, v19
	v_or_b32_e32 v19, 2, v42
	v_or_b32_e32 v20, 3, v42
	v_cmp_gt_i32_e64 s[28:29], s33, v19
	v_cmp_gt_i32_e64 s[30:31], s33, v20
	v_cndmask_b32_e64 v19, v43, v40, s[28:29]
	v_cndmask_b32_e64 v20, v43, v41, s[30:31]
	v_max3_f32 v18, v18, v19, v20
	v_or_b32_e32 v19, 16, v42
	v_or_b32_e32 v20, 17, v42
	v_cmp_gt_i32_e64 s[34:35], s33, v19
	v_cmp_gt_i32_e64 s[36:37], s33, v20
	v_cndmask_b32_e64 v19, v43, v38, s[34:35]
	v_cndmask_b32_e64 v20, v43, v39, s[36:37]
	;; [unrolled: 7-line block ×3, first 2 shown]
	v_max3_f32 v18, v18, v19, v20
	v_or_b32_e32 v19, 32, v42
	v_or_b32_e32 v20, 33, v42
	v_pk_mul_f32 v[34:35], v[56:57], v[34:35] op_sel_hi:[0,1]
	v_cmp_gt_i32_e64 s[14:15], s33, v19
	v_cmp_gt_i32_e64 s[16:17], s33, v20
	v_cndmask_b32_e64 v19, v43, v34, s[14:15]
	v_cndmask_b32_e64 v20, v43, v35, s[16:17]
	v_max3_f32 v18, v18, v19, v20
	v_or_b32_e32 v19, 34, v42
	v_or_b32_e32 v20, 35, v42
	v_cmp_gt_i32_e64 s[10:11], s33, v19
	v_cmp_gt_i32_e64 s[12:13], s33, v20
	v_cndmask_b32_e64 v19, v43, v22, s[10:11]
	v_cndmask_b32_e64 v20, v43, v23, s[12:13]
	v_max3_f32 v18, v18, v19, v20
	v_or_b32_e32 v19, 48, v42
	v_or_b32_e32 v20, 49, v42
	;; [unrolled: 7-line block ×3, first 2 shown]
	v_cmp_gt_i32_e32 vcc, s33, v19
	v_cmp_gt_i32_e64 s[0:1], s33, v20
	v_cndmask_b32_e32 v19, v43, v24, vcc
	v_cndmask_b32_e64 v20, v43, v25, s[0:1]
	v_max3_f32 v18, v18, v19, v20
	v_mbcnt_lo_u32_b32 v19, -1, 0
	v_mbcnt_hi_u32_b32 v19, -1, v19
	v_and_b32_e32 v20, 64, v19
	v_add_u32_e32 v20, 64, v20
	v_xor_b32_e32 v21, 32, v19
	v_cmp_lt_i32_e64 s[38:39], v21, v20
	v_cndmask_b32_e64 v21, v19, v21, s[38:39]
	v_lshlrev_b32_e32 v43, 2, v21
	ds_bpermute_b32 v21, v43, v18
	s_barrier
	s_waitcnt lgkmcnt(0)
	v_max_f32_e32 v21, v21, v21
	v_max_f32_e32 v18, v18, v21
	v_xor_b32_e32 v21, 16, v19
	v_cmp_lt_i32_e64 s[38:39], v21, v20
	v_cndmask_b32_e64 v19, v19, v21, s[38:39]
	v_lshlrev_b32_e32 v44, 2, v19
	ds_bpermute_b32 v19, v44, v18
	s_waitcnt lgkmcnt(0)
	v_max_f32_e32 v19, v19, v19
	v_max_f32_e32 v42, v18, v19
	v_sub_f32_e32 v21, v40, v42
	v_sub_f32_e32 v26, v41, v42
	v_mul_f32_e32 v21, 0x3fb8aa3b, v21
	v_mul_f32_e32 v26, 0x3fb8aa3b, v26
	v_sub_f32_e32 v18, v30, v42
	v_exp_f32_e32 v21, v21
	v_exp_f32_e32 v26, v26
	v_mul_f32_e32 v18, 0x3fb8aa3b, v18
	v_sub_f32_e32 v19, v31, v42
	v_exp_f32_e32 v18, v18
	v_mul_f32_e32 v19, 0x3fb8aa3b, v19
	v_exp_f32_e32 v19, v19
	v_cndmask_b32_e64 v28, 0, v21, s[28:29]
	v_cndmask_b32_e64 v29, 0, v26, s[30:31]
	v_sub_f32_e32 v21, v38, v42
	v_sub_f32_e32 v26, v39, v42
	v_mul_f32_e32 v21, 0x3fb8aa3b, v21
	v_mul_f32_e32 v26, 0x3fb8aa3b, v26
	v_cndmask_b32_e64 v18, 0, v18, s[24:25]
	v_exp_f32_e32 v21, v21
	v_exp_f32_e32 v26, v26
	v_add_f32_e32 v20, 0, v18
	v_cndmask_b32_e64 v19, 0, v19, s[26:27]
	v_add_f32_e32 v20, v20, v19
	v_add_f32_e32 v20, v20, v28
	;; [unrolled: 1-line block ×3, first 2 shown]
	v_cndmask_b32_e64 v20, 0, v21, s[34:35]
	v_cndmask_b32_e64 v21, 0, v26, s[36:37]
	v_sub_f32_e32 v26, v36, v42
	v_mul_f32_e32 v26, 0x3fb8aa3b, v26
	v_exp_f32_e32 v26, v26
	v_sub_f32_e32 v30, v37, v42
	v_add_f32_e32 v27, v27, v20
	v_mul_f32_e32 v30, 0x3fb8aa3b, v30
	v_exp_f32_e32 v31, v30
	v_add_f32_e32 v27, v27, v21
	v_cndmask_b32_e64 v30, 0, v26, s[18:19]
	v_add_f32_e32 v26, v27, v30
	v_sub_f32_e32 v27, v34, v42
	v_mul_f32_e32 v27, 0x3fb8aa3b, v27
	v_sub_f32_e32 v34, v35, v42
	v_exp_f32_e32 v27, v27
	v_mul_f32_e32 v34, 0x3fb8aa3b, v34
	v_sub_f32_e32 v22, v22, v42
	v_exp_f32_e32 v34, v34
	;; [unrolled: 3-line block ×3, first 2 shown]
	v_mul_f32_e32 v23, 0x3fb8aa3b, v23
	v_cndmask_b32_e64 v31, 0, v31, s[20:21]
	v_exp_f32_e32 v23, v23
	v_add_f32_e32 v35, v26, v31
	v_cndmask_b32_e64 v26, 0, v27, s[14:15]
	v_add_f32_e32 v35, v35, v26
	v_cndmask_b32_e64 v27, 0, v34, s[16:17]
	;; [unrolled: 2-line block ×4, first 2 shown]
	v_sub_f32_e32 v23, v32, v42
	v_mul_f32_e32 v23, 0x3fb8aa3b, v23
	v_sub_f32_e32 v32, v33, v42
	v_exp_f32_e32 v23, v23
	v_mul_f32_e32 v32, 0x3fb8aa3b, v32
	v_sub_f32_e32 v24, v24, v42
	v_exp_f32_e32 v32, v32
	;; [unrolled: 3-line block ×3, first 2 shown]
	v_mul_f32_e32 v25, 0x3fb8aa3b, v25
	v_exp_f32_e32 v25, v25
	v_add_f32_e32 v33, v22, v35
	v_cndmask_b32_e64 v22, 0, v23, s[2:3]
	v_add_f32_e32 v33, v33, v22
	v_cndmask_b32_e64 v23, 0, v32, s[8:9]
	v_add_f32_e32 v32, v33, v23
	v_cndmask_b32_e32 v24, 0, v24, vcc
	v_add_f32_e32 v32, v32, v24
	v_cndmask_b32_e64 v25, 0, v25, s[0:1]
	v_add_f32_e32 v32, v32, v25
	ds_bpermute_b32 v33, v43, v32
	v_cmp_gt_u32_e32 vcc, 16, v52
	s_waitcnt lgkmcnt(0)
	v_add_f32_e32 v33, v32, v33
	ds_bpermute_b32 v36, v44, v33
	v_lshlrev_b32_e32 v32, 2, v51
	s_and_saveexec_b64 s[0:1], vcc
	s_cbranch_execz .LBB577_397
; %bb.396:
	s_waitcnt lgkmcnt(0)
	v_add_f32_e32 v33, v33, v36
	v_lshl_or_b32 v36, v50, 6, v32
	ds_write2st64_b32 v36, v42, v33 offset1:1
.LBB577_397:
	s_or_b64 exec, exec, s[0:1]
	s_waitcnt lgkmcnt(0)
	s_barrier
	ds_read2_b32 v[36:37], v32 offset1:16
	ds_read2_b32 v[38:39], v32 offset0:32 offset1:48
	ds_read2_b32 v[40:41], v32 offset0:64 offset1:80
	;; [unrolled: 1-line block ×3, first 2 shown]
	s_waitcnt lgkmcnt(0)
	v_max3_f32 v33, v36, s40, v37
	v_max3_f32 v33, v33, v38, v39
	v_sub_f32_e32 v36, v36, v33
	v_mul_f32_e32 v36, 0x3fb8aa3b, v36
	v_exp_f32_e32 v44, v36
	v_sub_f32_e32 v36, v37, v33
	v_mul_f32_e32 v36, 0x3fb8aa3b, v36
	v_exp_f32_e32 v37, v36
	v_sub_f32_e32 v36, v38, v33
	v_mul_f32_e32 v36, 0x3fb8aa3b, v36
	v_sub_f32_e32 v32, v39, v33
	v_exp_f32_e32 v38, v36
	v_mul_f32_e32 v32, 0x3fb8aa3b, v32
	v_exp_f32_e32 v39, v32
	v_fma_f32 v36, v44, v40, 0
	v_fmac_f32_e32 v36, v37, v41
	v_fmac_f32_e32 v36, v38, v42
	;; [unrolled: 1-line block ×3, first 2 shown]
	v_add_f32_e32 v40, 0x358637bd, v36
	v_div_scale_f32 v41, s[0:1], v40, v40, 1.0
	v_rcp_f32_e32 v42, v41
	s_barrier
	s_lshl_b32 s10, s47, 2
	v_fma_f32 v43, -v41, v42, 1.0
	v_fmac_f32_e32 v42, v43, v42
	v_div_scale_f32 v43, vcc, 1.0, v40, 1.0
	v_mul_f32_e32 v45, v43, v42
	v_fma_f32 v52, -v41, v45, v43
	v_fmac_f32_e32 v45, v52, v42
	v_fma_f32 v41, -v41, v45, v43
	v_div_fmas_f32 v41, v41, v42, v45
	v_cmp_eq_u32_e32 vcc, 1, v50
	v_cndmask_b32_e32 v37, v44, v37, vcc
	v_cmp_eq_u32_e32 vcc, 2, v50
	v_cndmask_b32_e32 v37, v37, v38, vcc
	v_cmp_eq_u32_e32 vcc, 3, v50
	v_div_fixup_f32 v40, v41, v40, 1.0
	v_cndmask_b32_e32 v37, v37, v39, vcc
	v_mul_f32_e32 v38, v37, v40
	v_pk_mul_f32 v[28:29], v[38:39], v[28:29] op_sel_hi:[0,1]
	v_cvt_f16_f32_e32 v28, v28
	v_cvt_f16_f32_e32 v29, v29
	v_pk_mul_f32 v[18:19], v[38:39], v[18:19] op_sel_hi:[0,1]
	v_cvt_f16_f32_e32 v18, v18
	v_cvt_f16_f32_e32 v19, v19
	v_pack_b32_f16 v41, v28, v29
	v_pk_mul_f32 v[28:29], v[38:39], v[30:31] op_sel_hi:[0,1]
	v_pk_mul_f32 v[20:21], v[38:39], v[20:21] op_sel_hi:[0,1]
	v_cvt_f16_f32_e32 v20, v20
	v_cvt_f16_f32_e32 v21, v21
	;; [unrolled: 1-line block ×4, first 2 shown]
	v_pack_b32_f16 v40, v18, v19
	v_lshlrev_b32_e32 v18, 3, v49
	v_lshlrev_b32_e32 v19, 5, v51
	;; [unrolled: 1-line block ×3, first 2 shown]
	v_or3_b32 v28, v28, v19, v18
	v_pack_b32_f16 v20, v20, v21
	v_pack_b32_f16 v21, v30, v29
	ds_write2st64_b64 v28, v[40:41], v[20:21] offset1:1
	v_pk_mul_f32 v[20:21], v[38:39], v[34:35] op_sel_hi:[0,1]
	v_pk_mul_f32 v[26:27], v[38:39], v[26:27] op_sel_hi:[0,1]
	v_cvt_f16_f32_e32 v18, v26
	v_cvt_f16_f32_e32 v26, v27
	;; [unrolled: 1-line block ×4, first 2 shown]
	v_pk_mul_f32 v[20:21], v[38:39], v[24:25] op_sel_hi:[0,1]
	v_pk_mul_f32 v[22:23], v[38:39], v[22:23] op_sel_hi:[0,1]
	v_cvt_f16_f32_e32 v22, v22
	v_cvt_f16_f32_e32 v23, v23
	;; [unrolled: 1-line block ×4, first 2 shown]
	v_mov_b32_e32 v32, 0
	v_pack_b32_f16 v20, v18, v26
	v_pack_b32_f16 v21, v27, v29
	;; [unrolled: 1-line block ×4, first 2 shown]
	v_cmp_gt_u32_e32 vcc, 4, v0
	ds_write2st64_b64 v28, v[20:21], v[22:23] offset0:2 offset1:3
	s_and_saveexec_b64 s[0:1], vcc
	s_cbranch_execz .LBB577_399
; %bb.398:
	v_or_b32_e32 v20, s23, v0
	v_mov_b32_e32 v21, 0
	v_mov_b32_e32 v18, s10
	v_mad_u64_u32 v[22:23], s[2:3], s6, v18, v[20:21]
	v_mov_b32_e32 v20, s22
	s_load_dwordx4 s[12:15], s[4:5], 0x58
	s_mul_i32 s7, s7, s10
	v_mad_u64_u32 v[20:21], s[2:3], v22, s46, v[20:21]
	v_add_u32_e32 v23, s7, v23
	v_mov_b32_e32 v18, v21
	v_mad_u64_u32 v[22:23], s[2:3], v23, s46, v[18:19]
	v_mov_b32_e32 v21, v22
	v_lshlrev_b64 v[20:21], 2, v[20:21]
	s_waitcnt lgkmcnt(0)
	v_mov_b32_e32 v18, s15
	v_add_co_u32_e32 v22, vcc, s14, v20
	v_addc_co_u32_e32 v23, vcc, v18, v21, vcc
	v_mov_b32_e32 v18, s13
	v_add_co_u32_e32 v20, vcc, s12, v20
	v_addc_co_u32_e32 v21, vcc, v18, v21, vcc
	global_store_dword v[22:23], v33, off
	global_store_dword v[20:21], v36, off
.LBB577_399:
	s_or_b64 exec, exec, s[0:1]
	v_mov_b32_e32 v20, 0
	s_waitcnt vmcnt(3)
	v_cmp_ne_u16_sdwa s[2:3], v14, v20 src0_sel:BYTE_0 src1_sel:DWORD
	s_waitcnt lgkmcnt(0)
	s_barrier
	s_and_saveexec_b64 s[0:1], s[2:3]
	s_cbranch_execz .LBB577_405
; %bb.400:
	s_movk_i32 s2, 0x80
	v_cmp_ne_u16_sdwa s[8:9], v14, s2 src0_sel:BYTE_0 src1_sel:DWORD
	v_bfrev_b32_e32 v32, 1
	s_and_saveexec_b64 s[2:3], s[8:9]
	s_cbranch_execz .LBB577_404
; %bb.401:
	s_movk_i32 s7, 0x7f
	v_and_b32_e32 v18, 0x7f, v14
	v_cmp_ne_u32_e32 vcc, s7, v18
	v_mov_b32_e32 v32, 0x7f800001
	s_and_saveexec_b64 s[8:9], vcc
	s_cbranch_execz .LBB577_403
; %bb.402:
	v_and_b32_e32 v21, 7, v14
	v_ffbh_u32_e32 v22, v21
	v_min_u32_e32 v25, 32, v22
	v_subrev_u32_e32 v22, 28, v25
	v_lshlrev_b64 v[22:23], v22, v[14:15]
	v_lshrrev_b32_e32 v24, 3, v18
	v_sub_u32_e32 v23, 29, v25
	v_and_b32_e32 v22, 7, v22
	v_cmp_gt_u32_e32 vcc, 8, v18
	v_cndmask_b32_e32 v18, v24, v23, vcc
	v_cndmask_b32_e32 v21, v21, v22, vcc
	v_lshlrev_b32_e32 v22, 24, v14
	v_bfrev_b32_e32 v23, 60
	v_lshlrev_b32_e32 v21, 20, v21
	v_and_b32_e32 v22, 0x80000000, v22
	v_lshl_add_u32 v18, v18, 23, v23
	v_or3_b32 v32, v22, v18, v21
.LBB577_403:
	s_or_b64 exec, exec, s[8:9]
.LBB577_404:
	s_or_b64 exec, exec, s[2:3]
.LBB577_405:
	s_or_b64 exec, exec, s[0:1]
	v_lshrrev_b16_e32 v18, 8, v14
	v_cmp_ne_u16_e32 vcc, 0, v18
	v_mov_b32_e32 v21, 0
	s_and_saveexec_b64 s[0:1], vcc
	s_cbranch_execz .LBB577_411
; %bb.406:
	s_movk_i32 s2, 0x80
	v_cmp_ne_u16_e32 vcc, s2, v18
	v_bfrev_b32_e32 v21, 1
	s_and_saveexec_b64 s[2:3], vcc
	s_cbranch_execz .LBB577_410
; %bb.407:
	s_movk_i32 s7, 0x7f
	v_and_b32_e32 v22, 0x7f, v18
	v_cmp_ne_u32_e32 vcc, s7, v22
	v_mov_b32_e32 v21, 0x7f800001
	s_and_saveexec_b64 s[8:9], vcc
	s_cbranch_execz .LBB577_409
; %bb.408:
	v_and_b32_e32 v21, 7, v18
	v_ffbh_u32_e32 v24, v21
	v_min_u32_e32 v26, 32, v24
	v_subrev_u32_e32 v24, 28, v26
	v_lshlrev_b64 v[24:25], v24, v[18:19]
	v_lshrrev_b32_e32 v23, 3, v22
	v_sub_u32_e32 v18, 29, v26
	v_and_b32_e32 v24, 7, v24
	v_cmp_gt_u32_e32 vcc, 8, v22
	v_cndmask_b32_e32 v18, v23, v18, vcc
	v_cndmask_b32_e32 v21, v21, v24, vcc
	v_lshlrev_b32_e32 v22, 16, v14
	v_bfrev_b32_e32 v23, 60
	v_lshlrev_b32_e32 v21, 20, v21
	v_and_b32_e32 v22, 0x80000000, v22
	v_lshl_add_u32 v18, v18, 23, v23
	v_or3_b32 v21, v22, v18, v21
.LBB577_409:
	s_or_b64 exec, exec, s[8:9]
.LBB577_410:
	s_or_b64 exec, exec, s[2:3]
.LBB577_411:
	s_or_b64 exec, exec, s[0:1]
	s_movk_i32 s0, 0xff
	v_and_b32_sdwa v22, v14, s0 dst_sel:DWORD dst_unused:UNUSED_PAD src0_sel:WORD_1 src1_sel:DWORD
	v_lshrrev_b32_e32 v18, 16, v14
	v_cmp_ne_u16_e32 vcc, 0, v22
	s_and_saveexec_b64 s[0:1], vcc
	s_cbranch_execz .LBB577_417
; %bb.412:
	s_movk_i32 s2, 0x80
	v_cmp_ne_u16_e32 vcc, s2, v22
	v_bfrev_b32_e32 v20, 1
	s_and_saveexec_b64 s[2:3], vcc
	s_cbranch_execz .LBB577_416
; %bb.413:
	v_bfe_u32 v22, v14, 16, 7
	s_movk_i32 s7, 0x7f
	v_cmp_ne_u32_e32 vcc, s7, v22
	v_mov_b32_e32 v20, 0x7f800001
	s_and_saveexec_b64 s[8:9], vcc
	s_cbranch_execz .LBB577_415
; %bb.414:
	v_and_b32_e32 v20, 7, v18
	v_ffbh_u32_e32 v24, v20
	v_min_u32_e32 v26, 32, v24
	v_subrev_u32_e32 v24, 28, v26
	v_lshlrev_b64 v[24:25], v24, v[18:19]
	v_lshrrev_b32_e32 v23, 3, v22
	v_sub_u32_e32 v18, 29, v26
	v_and_b32_e32 v24, 7, v24
	v_cmp_gt_u32_e32 vcc, 8, v22
	v_mov_b32_e32 v22, 24
	v_cndmask_b32_e32 v18, v23, v18, vcc
	v_cndmask_b32_e32 v20, v20, v24, vcc
	v_lshlrev_b32_sdwa v22, v22, v14 dst_sel:DWORD dst_unused:UNUSED_PAD src0_sel:DWORD src1_sel:WORD_1
	v_bfrev_b32_e32 v23, 60
	v_lshlrev_b32_e32 v20, 20, v20
	v_and_b32_e32 v22, 0x80000000, v22
	v_lshl_add_u32 v18, v18, 23, v23
	v_or3_b32 v20, v22, v18, v20
.LBB577_415:
	s_or_b64 exec, exec, s[8:9]
.LBB577_416:
	s_or_b64 exec, exec, s[2:3]
.LBB577_417:
	s_or_b64 exec, exec, s[0:1]
	s_mov_b32 s0, 0xffffff
	v_cmp_lt_u32_e32 vcc, s0, v14
	v_mov_b32_e32 v24, 0
	v_mov_b32_e32 v22, 0
	s_and_saveexec_b64 s[0:1], vcc
	s_cbranch_execz .LBB577_423
; %bb.418:
	v_lshrrev_b32_e32 v18, 24, v14
	s_movk_i32 s2, 0x80
	v_cmp_ne_u32_e32 vcc, s2, v18
	v_bfrev_b32_e32 v22, 1
	s_and_saveexec_b64 s[2:3], vcc
	s_cbranch_execz .LBB577_422
; %bb.419:
	v_bfe_u32 v14, v14, 24, 7
	s_movk_i32 s7, 0x7f
	v_cmp_ne_u32_e32 vcc, s7, v14
	v_mov_b32_e32 v22, 0x7f800001
	s_and_saveexec_b64 s[8:9], vcc
	s_cbranch_execz .LBB577_421
; %bb.420:
	v_and_b32_e32 v25, 7, v18
	v_ffbh_u32_e32 v22, v25
	v_min_u32_e32 v27, 32, v22
	v_subrev_u32_e32 v22, 28, v27
	v_lshlrev_b64 v[22:23], v22, v[18:19]
	v_lshrrev_b32_e32 v26, 3, v14
	v_sub_u32_e32 v23, 29, v27
	v_and_b32_e32 v22, 7, v22
	v_cmp_gt_u32_e32 vcc, 8, v14
	v_cndmask_b32_e32 v14, v26, v23, vcc
	v_cndmask_b32_e32 v22, v25, v22, vcc
	v_lshlrev_b32_e32 v18, 24, v18
	v_bfrev_b32_e32 v23, 60
	v_lshlrev_b32_e32 v22, 20, v22
	v_and_b32_e32 v18, 0x80000000, v18
	v_lshl_add_u32 v14, v14, 23, v23
	v_or3_b32 v22, v18, v14, v22
.LBB577_421:
	s_or_b64 exec, exec, s[8:9]
.LBB577_422:
	s_or_b64 exec, exec, s[2:3]
.LBB577_423:
	s_or_b64 exec, exec, s[0:1]
	v_cmp_ne_u16_sdwa s[2:3], v15, v24 src0_sel:BYTE_0 src1_sel:DWORD
	s_and_saveexec_b64 s[0:1], s[2:3]
	s_cbranch_execz .LBB577_429
; %bb.424:
	s_movk_i32 s2, 0x80
	v_cmp_ne_u16_sdwa s[8:9], v15, s2 src0_sel:BYTE_0 src1_sel:DWORD
	v_bfrev_b32_e32 v24, 1
	s_and_saveexec_b64 s[2:3], s[8:9]
	s_cbranch_execz .LBB577_428
; %bb.425:
	s_movk_i32 s7, 0x7f
	v_and_b32_e32 v14, 0x7f, v15
	v_cmp_ne_u32_e32 vcc, s7, v14
	v_mov_b32_e32 v24, 0x7f800001
	s_and_saveexec_b64 s[8:9], vcc
	s_cbranch_execz .LBB577_427
; %bb.426:
	v_and_b32_e32 v23, 7, v15
	v_ffbh_u32_e32 v24, v23
	v_min_u32_e32 v27, 32, v24
	v_mov_b32_e32 v18, v15
	v_subrev_u32_e32 v24, 28, v27
	v_lshlrev_b64 v[24:25], v24, v[18:19]
	v_lshrrev_b32_e32 v26, 3, v14
	v_sub_u32_e32 v18, 29, v27
	v_and_b32_e32 v24, 7, v24
	v_cmp_gt_u32_e32 vcc, 8, v14
	v_cndmask_b32_e32 v14, v26, v18, vcc
	v_cndmask_b32_e32 v18, v23, v24, vcc
	v_lshlrev_b32_e32 v23, 24, v15
	v_bfrev_b32_e32 v24, 60
	v_lshlrev_b32_e32 v18, 20, v18
	v_and_b32_e32 v23, 0x80000000, v23
	v_lshl_add_u32 v14, v14, 23, v24
	v_or3_b32 v24, v23, v14, v18
.LBB577_427:
	s_or_b64 exec, exec, s[8:9]
.LBB577_428:
	s_or_b64 exec, exec, s[2:3]
.LBB577_429:
	s_or_b64 exec, exec, s[0:1]
	v_lshrrev_b16_e32 v14, 8, v15
	v_cmp_ne_u16_e32 vcc, 0, v14
	v_mov_b32_e32 v18, 0
	v_mov_b32_e32 v25, 0
	s_and_saveexec_b64 s[0:1], vcc
	s_cbranch_execz .LBB577_435
; %bb.430:
	s_movk_i32 s2, 0x80
	v_cmp_ne_u16_e32 vcc, s2, v14
	v_bfrev_b32_e32 v25, 1
	s_and_saveexec_b64 s[2:3], vcc
	s_cbranch_execz .LBB577_434
; %bb.431:
	s_movk_i32 s7, 0x7f
	v_and_b32_e32 v23, 0x7f, v14
	v_cmp_ne_u32_e32 vcc, s7, v23
	v_mov_b32_e32 v25, 0x7f800001
	s_and_saveexec_b64 s[8:9], vcc
	s_cbranch_execz .LBB577_433
; %bb.432:
	v_and_b32_e32 v25, 7, v14
	v_ffbh_u32_e32 v26, v25
	v_min_u32_e32 v30, 32, v26
	v_subrev_u32_e32 v26, 28, v30
	v_lshlrev_b64 v[26:27], v26, v[14:15]
	v_lshrrev_b32_e32 v29, 3, v23
	v_sub_u32_e32 v14, 29, v30
	v_and_b32_e32 v26, 7, v26
	v_cmp_gt_u32_e32 vcc, 8, v23
	v_cndmask_b32_e32 v14, v29, v14, vcc
	v_cndmask_b32_e32 v23, v25, v26, vcc
	v_lshlrev_b32_e32 v25, 16, v15
	v_bfrev_b32_e32 v26, 60
	v_lshlrev_b32_e32 v23, 20, v23
	v_and_b32_e32 v25, 0x80000000, v25
	v_lshl_add_u32 v14, v14, 23, v26
	v_or3_b32 v25, v25, v14, v23
.LBB577_433:
	s_or_b64 exec, exec, s[8:9]
.LBB577_434:
	s_or_b64 exec, exec, s[2:3]
.LBB577_435:
	s_or_b64 exec, exec, s[0:1]
	s_movk_i32 s0, 0xff
	v_and_b32_sdwa v23, v15, s0 dst_sel:DWORD dst_unused:UNUSED_PAD src0_sel:WORD_1 src1_sel:DWORD
	v_lshrrev_b32_e32 v14, 16, v15
	v_cmp_ne_u16_e32 vcc, 0, v23
	s_and_saveexec_b64 s[0:1], vcc
	s_cbranch_execz .LBB577_441
; %bb.436:
	s_movk_i32 s2, 0x80
	v_cmp_ne_u16_e32 vcc, s2, v23
	v_bfrev_b32_e32 v18, 1
	s_and_saveexec_b64 s[2:3], vcc
	s_cbranch_execz .LBB577_440
; %bb.437:
	v_bfe_u32 v23, v15, 16, 7
	s_movk_i32 s7, 0x7f
	v_cmp_ne_u32_e32 vcc, s7, v23
	v_mov_b32_e32 v18, 0x7f800001
	s_and_saveexec_b64 s[8:9], vcc
	s_cbranch_execz .LBB577_439
; %bb.438:
	v_and_b32_e32 v18, 7, v14
	v_ffbh_u32_e32 v26, v18
	v_min_u32_e32 v30, 32, v26
	v_subrev_u32_e32 v26, 28, v30
	v_lshlrev_b64 v[26:27], v26, v[14:15]
	v_lshrrev_b32_e32 v29, 3, v23
	v_sub_u32_e32 v14, 29, v30
	v_and_b32_e32 v26, 7, v26
	v_cmp_gt_u32_e32 vcc, 8, v23
	v_mov_b32_e32 v23, 24
	v_cndmask_b32_e32 v14, v29, v14, vcc
	v_cndmask_b32_e32 v18, v18, v26, vcc
	v_lshlrev_b32_sdwa v23, v23, v15 dst_sel:DWORD dst_unused:UNUSED_PAD src0_sel:DWORD src1_sel:WORD_1
	v_bfrev_b32_e32 v26, 60
	v_lshlrev_b32_e32 v18, 20, v18
	v_and_b32_e32 v23, 0x80000000, v23
	v_lshl_add_u32 v14, v14, 23, v26
	v_or3_b32 v18, v23, v14, v18
.LBB577_439:
	s_or_b64 exec, exec, s[8:9]
.LBB577_440:
	s_or_b64 exec, exec, s[2:3]
.LBB577_441:
	s_or_b64 exec, exec, s[0:1]
	s_mov_b32 s0, 0xffffff
	v_cmp_lt_u32_e32 vcc, s0, v15
	v_mov_b32_e32 v23, 0
	v_mov_b32_e32 v26, 0
	s_and_saveexec_b64 s[0:1], vcc
	s_cbranch_execz .LBB577_447
; %bb.442:
	v_lshrrev_b32_e32 v14, 24, v15
	s_movk_i32 s2, 0x80
	v_cmp_ne_u32_e32 vcc, s2, v14
	v_bfrev_b32_e32 v26, 1
	s_and_saveexec_b64 s[2:3], vcc
	s_cbranch_execz .LBB577_446
; %bb.443:
	v_bfe_u32 v15, v15, 24, 7
	s_movk_i32 s7, 0x7f
	v_cmp_ne_u32_e32 vcc, s7, v15
	v_mov_b32_e32 v26, 0x7f800001
	s_and_saveexec_b64 s[8:9], vcc
	s_cbranch_execz .LBB577_445
; %bb.444:
	v_and_b32_e32 v29, 7, v14
	v_ffbh_u32_e32 v26, v29
	v_min_u32_e32 v31, 32, v26
	v_subrev_u32_e32 v26, 28, v31
	v_lshlrev_b64 v[26:27], v26, v[14:15]
	v_lshrrev_b32_e32 v30, 3, v15
	v_sub_u32_e32 v27, 29, v31
	v_and_b32_e32 v26, 7, v26
	v_cmp_gt_u32_e32 vcc, 8, v15
	v_cndmask_b32_e32 v15, v30, v27, vcc
	v_cndmask_b32_e32 v26, v29, v26, vcc
	v_lshlrev_b32_e32 v14, 24, v14
	v_bfrev_b32_e32 v27, 60
	v_lshlrev_b32_e32 v26, 20, v26
	v_and_b32_e32 v14, 0x80000000, v14
	v_lshl_add_u32 v15, v15, 23, v27
	v_or3_b32 v26, v14, v15, v26
.LBB577_445:
	s_or_b64 exec, exec, s[8:9]
.LBB577_446:
	s_or_b64 exec, exec, s[2:3]
.LBB577_447:
	s_or_b64 exec, exec, s[0:1]
	v_cvt_pkrtz_f16_f32 v15, v20, v22
	v_lshl_or_b32 v22, v49, 9, v19
	v_cvt_pkrtz_f16_f32 v14, v32, v21
	ds_read_b128 v[30:33], v22
	v_cmp_ne_u16_sdwa s[2:3], v16, v23 src0_sel:BYTE_0 src1_sel:DWORD
	s_waitcnt lgkmcnt(0)
	v_mfma_f32_16x16x16f16 v[34:37], v[14:15], v[30:31], 0
	v_cvt_pkrtz_f16_f32 v14, v24, v25
	v_cvt_pkrtz_f16_f32 v15, v18, v26
	s_nop 1
	v_mfma_f32_16x16x16f16 v[18:21], v[14:15], v[32:33], v[34:37]
	s_and_saveexec_b64 s[0:1], s[2:3]
	s_cbranch_execz .LBB577_453
; %bb.448:
	s_movk_i32 s2, 0x80
	v_cmp_ne_u16_sdwa s[8:9], v16, s2 src0_sel:BYTE_0 src1_sel:DWORD
	v_bfrev_b32_e32 v23, 1
	s_and_saveexec_b64 s[2:3], s[8:9]
	s_cbranch_execz .LBB577_452
; %bb.449:
	s_movk_i32 s7, 0x7f
	v_and_b32_e32 v14, 0x7f, v16
	v_cmp_ne_u32_e32 vcc, s7, v14
	v_mov_b32_e32 v23, 0x7f800001
	s_and_saveexec_b64 s[8:9], vcc
	s_cbranch_execz .LBB577_451
; %bb.450:
	v_and_b32_e32 v15, 7, v16
	v_ffbh_u32_e32 v24, v15
	v_min_u32_e32 v26, 32, v24
	v_subrev_u32_e32 v24, 28, v26
	v_lshlrev_b64 v[24:25], v24, v[16:17]
	v_lshrrev_b32_e32 v23, 3, v14
	v_sub_u32_e32 v25, 29, v26
	v_and_b32_e32 v24, 7, v24
	v_cmp_gt_u32_e32 vcc, 8, v14
	v_cndmask_b32_e32 v14, v23, v25, vcc
	v_cndmask_b32_e32 v15, v15, v24, vcc
	v_lshlrev_b32_e32 v23, 24, v16
	v_bfrev_b32_e32 v24, 60
	v_lshlrev_b32_e32 v15, 20, v15
	v_and_b32_e32 v23, 0x80000000, v23
	v_lshl_add_u32 v14, v14, 23, v24
	v_or3_b32 v23, v23, v14, v15
.LBB577_451:
	s_or_b64 exec, exec, s[8:9]
.LBB577_452:
	s_or_b64 exec, exec, s[2:3]
.LBB577_453:
	s_or_b64 exec, exec, s[0:1]
	v_lshrrev_b16_e32 v14, 8, v16
	v_cmp_ne_u16_e32 vcc, 0, v14
	v_mov_b32_e32 v15, 0
	v_mov_b32_e32 v25, 0
	s_and_saveexec_b64 s[0:1], vcc
	s_cbranch_execz .LBB577_459
; %bb.454:
	s_movk_i32 s2, 0x80
	v_cmp_ne_u16_e32 vcc, s2, v14
	v_bfrev_b32_e32 v25, 1
	s_and_saveexec_b64 s[2:3], vcc
	s_cbranch_execz .LBB577_458
; %bb.455:
	s_movk_i32 s7, 0x7f
	v_and_b32_e32 v24, 0x7f, v14
	v_cmp_ne_u32_e32 vcc, s7, v24
	v_mov_b32_e32 v25, 0x7f800001
	s_and_saveexec_b64 s[8:9], vcc
	s_cbranch_execz .LBB577_457
; %bb.456:
	v_and_b32_e32 v25, 7, v14
	v_ffbh_u32_e32 v26, v25
	v_min_u32_e32 v30, 32, v26
	v_subrev_u32_e32 v26, 28, v30
	v_lshlrev_b64 v[26:27], v26, v[14:15]
	v_lshrrev_b32_e32 v29, 3, v24
	v_sub_u32_e32 v14, 29, v30
	v_and_b32_e32 v26, 7, v26
	v_cmp_gt_u32_e32 vcc, 8, v24
	v_cndmask_b32_e32 v14, v29, v14, vcc
	v_cndmask_b32_e32 v24, v25, v26, vcc
	v_lshlrev_b32_e32 v25, 16, v16
	v_bfrev_b32_e32 v26, 60
	v_lshlrev_b32_e32 v24, 20, v24
	v_and_b32_e32 v25, 0x80000000, v25
	v_lshl_add_u32 v14, v14, 23, v26
	v_or3_b32 v25, v25, v14, v24
.LBB577_457:
	s_or_b64 exec, exec, s[8:9]
.LBB577_458:
	s_or_b64 exec, exec, s[2:3]
.LBB577_459:
	s_or_b64 exec, exec, s[0:1]
	s_movk_i32 s0, 0xff
	v_and_b32_sdwa v24, v16, s0 dst_sel:DWORD dst_unused:UNUSED_PAD src0_sel:WORD_1 src1_sel:DWORD
	v_lshrrev_b32_e32 v14, 16, v16
	v_cmp_ne_u16_e32 vcc, 0, v24
	s_and_saveexec_b64 s[0:1], vcc
	s_cbranch_execz .LBB577_465
; %bb.460:
	s_movk_i32 s2, 0x80
	v_cmp_ne_u16_e32 vcc, s2, v24
	v_bfrev_b32_e32 v15, 1
	s_and_saveexec_b64 s[2:3], vcc
	s_cbranch_execz .LBB577_464
; %bb.461:
	v_bfe_u32 v24, v16, 16, 7
	s_movk_i32 s7, 0x7f
	v_cmp_ne_u32_e32 vcc, s7, v24
	v_mov_b32_e32 v15, 0x7f800001
	s_and_saveexec_b64 s[8:9], vcc
	s_cbranch_execz .LBB577_463
; %bb.462:
	v_and_b32_e32 v26, 7, v14
	v_ffbh_u32_e32 v15, v26
	v_min_u32_e32 v29, 32, v15
	v_subrev_u32_e32 v15, 28, v29
	v_lshlrev_b64 v[14:15], v15, v[14:15]
	v_lshrrev_b32_e32 v27, 3, v24
	v_sub_u32_e32 v15, 29, v29
	v_and_b32_e32 v14, 7, v14
	v_cmp_gt_u32_e32 vcc, 8, v24
	v_mov_b32_e32 v24, 24
	v_cndmask_b32_e32 v15, v27, v15, vcc
	v_cndmask_b32_e32 v14, v26, v14, vcc
	v_lshlrev_b32_sdwa v24, v24, v16 dst_sel:DWORD dst_unused:UNUSED_PAD src0_sel:DWORD src1_sel:WORD_1
	v_bfrev_b32_e32 v26, 60
	v_lshlrev_b32_e32 v14, 20, v14
	v_and_b32_e32 v24, 0x80000000, v24
	v_lshl_add_u32 v15, v15, 23, v26
	v_or3_b32 v15, v24, v15, v14
.LBB577_463:
	s_or_b64 exec, exec, s[8:9]
.LBB577_464:
	s_or_b64 exec, exec, s[2:3]
.LBB577_465:
	s_or_b64 exec, exec, s[0:1]
	s_mov_b32 s0, 0xffffff
	v_cmp_lt_u32_e32 vcc, s0, v16
	v_mov_b32_e32 v26, 0
	v_mov_b32_e32 v27, 0
	s_and_saveexec_b64 s[0:1], vcc
	s_cbranch_execz .LBB577_471
; %bb.466:
	v_lshrrev_b32_e32 v14, 24, v16
	s_movk_i32 s2, 0x80
	v_cmp_ne_u32_e32 vcc, s2, v14
	v_bfrev_b32_e32 v27, 1
	s_and_saveexec_b64 s[2:3], vcc
	s_cbranch_execz .LBB577_470
; %bb.467:
	v_bfe_u32 v16, v16, 24, 7
	s_movk_i32 s7, 0x7f
	v_cmp_ne_u32_e32 vcc, s7, v16
	v_mov_b32_e32 v27, 0x7f800001
	s_and_saveexec_b64 s[8:9], vcc
	s_cbranch_execz .LBB577_469
; %bb.468:
	v_and_b32_e32 v24, 7, v14
	v_ffbh_u32_e32 v29, v24
	v_min_u32_e32 v29, 32, v29
	v_subrev_u32_e32 v30, 28, v29
	v_lshlrev_b64 v[30:31], v30, v[14:15]
	v_lshrrev_b32_e32 v27, 3, v16
	v_sub_u32_e32 v29, 29, v29
	v_and_b32_e32 v30, 7, v30
	v_cmp_gt_u32_e32 vcc, 8, v16
	v_cndmask_b32_e32 v16, v27, v29, vcc
	v_cndmask_b32_e32 v24, v24, v30, vcc
	v_lshlrev_b32_e32 v14, 24, v14
	v_bfrev_b32_e32 v27, 60
	v_lshlrev_b32_e32 v24, 20, v24
	v_and_b32_e32 v14, 0x80000000, v14
	v_lshl_add_u32 v16, v16, 23, v27
	v_or3_b32 v27, v14, v16, v24
.LBB577_469:
	s_or_b64 exec, exec, s[8:9]
.LBB577_470:
	s_or_b64 exec, exec, s[2:3]
.LBB577_471:
	s_or_b64 exec, exec, s[0:1]
	v_cmp_ne_u16_sdwa s[2:3], v17, v26 src0_sel:BYTE_0 src1_sel:DWORD
	s_and_saveexec_b64 s[0:1], s[2:3]
	s_cbranch_execz .LBB577_477
; %bb.472:
	s_movk_i32 s2, 0x80
	v_cmp_ne_u16_sdwa s[8:9], v17, s2 src0_sel:BYTE_0 src1_sel:DWORD
	v_bfrev_b32_e32 v26, 1
	s_and_saveexec_b64 s[2:3], s[8:9]
	s_cbranch_execz .LBB577_476
; %bb.473:
	s_movk_i32 s7, 0x7f
	v_and_b32_e32 v14, 0x7f, v17
	v_cmp_ne_u32_e32 vcc, s7, v14
	v_mov_b32_e32 v26, 0x7f800001
	s_and_saveexec_b64 s[8:9], vcc
	s_cbranch_execz .LBB577_475
; %bb.474:
	v_and_b32_e32 v24, 7, v17
	v_ffbh_u32_e32 v29, v24
	v_min_u32_e32 v29, 32, v29
	v_mov_b32_e32 v16, v17
	v_subrev_u32_e32 v30, 28, v29
	v_lshlrev_b64 v[30:31], v30, v[16:17]
	v_lshrrev_b32_e32 v26, 3, v14
	v_sub_u32_e32 v16, 29, v29
	v_and_b32_e32 v29, 7, v30
	v_cmp_gt_u32_e32 vcc, 8, v14
	v_cndmask_b32_e32 v14, v26, v16, vcc
	v_cndmask_b32_e32 v16, v24, v29, vcc
	v_lshlrev_b32_e32 v24, 24, v17
	v_bfrev_b32_e32 v26, 60
	v_lshlrev_b32_e32 v16, 20, v16
	v_and_b32_e32 v24, 0x80000000, v24
	v_lshl_add_u32 v14, v14, 23, v26
	v_or3_b32 v26, v24, v14, v16
.LBB577_475:
	s_or_b64 exec, exec, s[8:9]
.LBB577_476:
	s_or_b64 exec, exec, s[2:3]
.LBB577_477:
	s_or_b64 exec, exec, s[0:1]
	v_lshrrev_b16_e32 v14, 8, v17
	v_cmp_ne_u16_e32 vcc, 0, v14
	v_mov_b32_e32 v16, 0
	v_mov_b32_e32 v29, 0
	s_and_saveexec_b64 s[0:1], vcc
	s_cbranch_execz .LBB577_483
; %bb.478:
	s_movk_i32 s2, 0x80
	v_cmp_ne_u16_e32 vcc, s2, v14
	v_bfrev_b32_e32 v29, 1
	s_and_saveexec_b64 s[2:3], vcc
	s_cbranch_execz .LBB577_482
; %bb.479:
	s_movk_i32 s7, 0x7f
	v_and_b32_e32 v24, 0x7f, v14
	v_cmp_ne_u32_e32 vcc, s7, v24
	v_mov_b32_e32 v29, 0x7f800001
	s_and_saveexec_b64 s[8:9], vcc
	s_cbranch_execz .LBB577_481
; %bb.480:
	v_and_b32_e32 v29, 7, v14
	v_ffbh_u32_e32 v30, v29
	v_min_u32_e32 v33, 32, v30
	v_subrev_u32_e32 v30, 28, v33
	v_lshlrev_b64 v[30:31], v30, v[14:15]
	v_lshrrev_b32_e32 v32, 3, v24
	v_sub_u32_e32 v14, 29, v33
	v_and_b32_e32 v30, 7, v30
	v_cmp_gt_u32_e32 vcc, 8, v24
	v_cndmask_b32_e32 v14, v32, v14, vcc
	v_cndmask_b32_e32 v24, v29, v30, vcc
	v_lshlrev_b32_e32 v29, 16, v17
	v_bfrev_b32_e32 v30, 60
	v_lshlrev_b32_e32 v24, 20, v24
	v_and_b32_e32 v29, 0x80000000, v29
	v_lshl_add_u32 v14, v14, 23, v30
	v_or3_b32 v29, v29, v14, v24
.LBB577_481:
	s_or_b64 exec, exec, s[8:9]
.LBB577_482:
	s_or_b64 exec, exec, s[2:3]
.LBB577_483:
	s_or_b64 exec, exec, s[0:1]
	s_movk_i32 s0, 0xff
	v_and_b32_sdwa v24, v17, s0 dst_sel:DWORD dst_unused:UNUSED_PAD src0_sel:WORD_1 src1_sel:DWORD
	v_lshrrev_b32_e32 v14, 16, v17
	v_cmp_ne_u16_e32 vcc, 0, v24
	s_and_saveexec_b64 s[0:1], vcc
	s_cbranch_execz .LBB577_489
; %bb.484:
	s_movk_i32 s2, 0x80
	v_cmp_ne_u16_e32 vcc, s2, v24
	v_bfrev_b32_e32 v16, 1
	s_and_saveexec_b64 s[2:3], vcc
	s_cbranch_execz .LBB577_488
; %bb.485:
	v_bfe_u32 v24, v17, 16, 7
	s_movk_i32 s7, 0x7f
	v_cmp_ne_u32_e32 vcc, s7, v24
	v_mov_b32_e32 v16, 0x7f800001
	s_and_saveexec_b64 s[8:9], vcc
	s_cbranch_execz .LBB577_487
; %bb.486:
	v_and_b32_e32 v16, 7, v14
	v_ffbh_u32_e32 v30, v16
	v_min_u32_e32 v33, 32, v30
	v_subrev_u32_e32 v30, 28, v33
	v_lshlrev_b64 v[30:31], v30, v[14:15]
	v_lshrrev_b32_e32 v32, 3, v24
	v_sub_u32_e32 v14, 29, v33
	v_and_b32_e32 v30, 7, v30
	v_cmp_gt_u32_e32 vcc, 8, v24
	v_mov_b32_e32 v24, 24
	v_cndmask_b32_e32 v14, v32, v14, vcc
	v_cndmask_b32_e32 v16, v16, v30, vcc
	v_lshlrev_b32_sdwa v24, v24, v17 dst_sel:DWORD dst_unused:UNUSED_PAD src0_sel:DWORD src1_sel:WORD_1
	v_bfrev_b32_e32 v30, 60
	v_lshlrev_b32_e32 v16, 20, v16
	v_and_b32_e32 v24, 0x80000000, v24
	v_lshl_add_u32 v14, v14, 23, v30
	v_or3_b32 v16, v24, v14, v16
.LBB577_487:
	s_or_b64 exec, exec, s[8:9]
.LBB577_488:
	s_or_b64 exec, exec, s[2:3]
.LBB577_489:
	s_or_b64 exec, exec, s[0:1]
	s_mov_b32 s0, 0xffffff
	v_cmp_lt_u32_e32 vcc, s0, v17
	v_mov_b32_e32 v24, 0
	v_mov_b32_e32 v30, 0
	s_and_saveexec_b64 s[0:1], vcc
	s_cbranch_execz .LBB577_495
; %bb.490:
	v_lshrrev_b32_e32 v14, 24, v17
	s_movk_i32 s2, 0x80
	v_cmp_ne_u32_e32 vcc, s2, v14
	v_bfrev_b32_e32 v30, 1
	s_and_saveexec_b64 s[2:3], vcc
	s_cbranch_execz .LBB577_494
; %bb.491:
	v_bfe_u32 v17, v17, 24, 7
	s_movk_i32 s7, 0x7f
	v_cmp_ne_u32_e32 vcc, s7, v17
	v_mov_b32_e32 v30, 0x7f800001
	s_and_saveexec_b64 s[8:9], vcc
	s_cbranch_execz .LBB577_493
; %bb.492:
	v_and_b32_e32 v32, 7, v14
	v_ffbh_u32_e32 v30, v32
	v_min_u32_e32 v34, 32, v30
	v_subrev_u32_e32 v30, 28, v34
	v_lshlrev_b64 v[30:31], v30, v[14:15]
	v_lshrrev_b32_e32 v33, 3, v17
	v_sub_u32_e32 v31, 29, v34
	v_and_b32_e32 v30, 7, v30
	v_cmp_gt_u32_e32 vcc, 8, v17
	v_cndmask_b32_e32 v17, v33, v31, vcc
	v_cndmask_b32_e32 v30, v32, v30, vcc
	v_lshlrev_b32_e32 v14, 24, v14
	v_bfrev_b32_e32 v31, 60
	v_lshlrev_b32_e32 v30, 20, v30
	v_and_b32_e32 v14, 0x80000000, v14
	v_lshl_add_u32 v17, v17, 23, v31
	v_or3_b32 v30, v14, v17, v30
.LBB577_493:
	s_or_b64 exec, exec, s[8:9]
.LBB577_494:
	s_or_b64 exec, exec, s[2:3]
.LBB577_495:
	s_or_b64 exec, exec, s[0:1]
	v_cvt_pkrtz_f16_f32 v14, v23, v25
	v_cvt_pkrtz_f16_f32 v15, v15, v27
	ds_read_b128 v[32:35], v22 offset:16
	s_waitcnt vmcnt(2)
	v_cmp_ne_u16_sdwa s[2:3], v10, v24 src0_sel:BYTE_0 src1_sel:DWORD
	s_waitcnt lgkmcnt(0)
	v_mfma_f32_16x16x16f16 v[18:21], v[14:15], v[32:33], v[18:21]
	v_cvt_pkrtz_f16_f32 v14, v26, v29
	v_cvt_pkrtz_f16_f32 v15, v16, v30
	s_nop 1
	v_mfma_f32_16x16x16f16 v[14:17], v[14:15], v[34:35], v[18:21]
	s_and_saveexec_b64 s[0:1], s[2:3]
	s_cbranch_execz .LBB577_501
; %bb.496:
	s_movk_i32 s2, 0x80
	v_cmp_ne_u16_sdwa s[8:9], v10, s2 src0_sel:BYTE_0 src1_sel:DWORD
	v_bfrev_b32_e32 v24, 1
	s_and_saveexec_b64 s[2:3], s[8:9]
	s_cbranch_execz .LBB577_500
; %bb.497:
	s_movk_i32 s7, 0x7f
	v_and_b32_e32 v18, 0x7f, v10
	v_cmp_ne_u32_e32 vcc, s7, v18
	v_mov_b32_e32 v24, 0x7f800001
	s_and_saveexec_b64 s[8:9], vcc
	s_cbranch_execz .LBB577_499
; %bb.498:
	v_and_b32_e32 v19, 7, v10
	v_ffbh_u32_e32 v20, v19
	v_min_u32_e32 v24, 32, v20
	v_subrev_u32_e32 v20, 28, v24
	v_lshlrev_b64 v[20:21], v20, v[10:11]
	v_lshrrev_b32_e32 v23, 3, v18
	v_sub_u32_e32 v21, 29, v24
	v_and_b32_e32 v20, 7, v20
	v_cmp_gt_u32_e32 vcc, 8, v18
	v_cndmask_b32_e32 v18, v23, v21, vcc
	v_cndmask_b32_e32 v19, v19, v20, vcc
	v_lshlrev_b32_e32 v20, 24, v10
	v_bfrev_b32_e32 v21, 60
	v_lshlrev_b32_e32 v19, 20, v19
	v_and_b32_e32 v20, 0x80000000, v20
	v_lshl_add_u32 v18, v18, 23, v21
	v_or3_b32 v24, v20, v18, v19
.LBB577_499:
	s_or_b64 exec, exec, s[8:9]
.LBB577_500:
	s_or_b64 exec, exec, s[2:3]
.LBB577_501:
	s_or_b64 exec, exec, s[0:1]
	s_nop 3
	v_lshrrev_b16_e32 v18, 8, v10
	v_cmp_ne_u16_e32 vcc, 0, v18
	v_mov_b32_e32 v19, 0
	v_mov_b32_e32 v20, 0
	s_and_saveexec_b64 s[0:1], vcc
	s_cbranch_execz .LBB577_507
; %bb.502:
	s_movk_i32 s2, 0x80
	v_cmp_ne_u16_e32 vcc, s2, v18
	v_bfrev_b32_e32 v20, 1
	s_and_saveexec_b64 s[2:3], vcc
	s_cbranch_execz .LBB577_506
; %bb.503:
	s_movk_i32 s7, 0x7f
	v_and_b32_e32 v21, 0x7f, v18
	v_cmp_ne_u32_e32 vcc, s7, v21
	v_mov_b32_e32 v20, 0x7f800001
	s_and_saveexec_b64 s[8:9], vcc
	s_cbranch_execz .LBB577_505
; %bb.504:
	v_and_b32_e32 v20, 7, v18
	v_ffbh_u32_e32 v25, v20
	v_min_u32_e32 v25, 32, v25
	v_subrev_u32_e32 v26, 28, v25
	v_lshlrev_b64 v[26:27], v26, v[18:19]
	v_lshrrev_b32_e32 v23, 3, v21
	v_sub_u32_e32 v18, 29, v25
	v_and_b32_e32 v25, 7, v26
	v_cmp_gt_u32_e32 vcc, 8, v21
	v_cndmask_b32_e32 v18, v23, v18, vcc
	v_cndmask_b32_e32 v20, v20, v25, vcc
	v_lshlrev_b32_e32 v21, 16, v10
	v_bfrev_b32_e32 v23, 60
	v_lshlrev_b32_e32 v20, 20, v20
	v_and_b32_e32 v21, 0x80000000, v21
	v_lshl_add_u32 v18, v18, 23, v23
	v_or3_b32 v20, v21, v18, v20
.LBB577_505:
	s_or_b64 exec, exec, s[8:9]
.LBB577_506:
	s_or_b64 exec, exec, s[2:3]
.LBB577_507:
	s_or_b64 exec, exec, s[0:1]
	s_movk_i32 s0, 0xff
	v_and_b32_sdwa v21, v10, s0 dst_sel:DWORD dst_unused:UNUSED_PAD src0_sel:WORD_1 src1_sel:DWORD
	v_lshrrev_b32_e32 v18, 16, v10
	v_cmp_ne_u16_e32 vcc, 0, v21
	s_and_saveexec_b64 s[0:1], vcc
	s_cbranch_execz .LBB577_513
; %bb.508:
	s_movk_i32 s2, 0x80
	v_cmp_ne_u16_e32 vcc, s2, v21
	v_bfrev_b32_e32 v19, 1
	s_and_saveexec_b64 s[2:3], vcc
	s_cbranch_execz .LBB577_512
; %bb.509:
	v_bfe_u32 v21, v10, 16, 7
	s_movk_i32 s7, 0x7f
	v_cmp_ne_u32_e32 vcc, s7, v21
	v_mov_b32_e32 v19, 0x7f800001
	s_and_saveexec_b64 s[8:9], vcc
	s_cbranch_execz .LBB577_511
; %bb.510:
	v_and_b32_e32 v23, 7, v18
	v_ffbh_u32_e32 v19, v23
	v_min_u32_e32 v26, 32, v19
	v_subrev_u32_e32 v19, 28, v26
	v_lshlrev_b64 v[18:19], v19, v[18:19]
	v_lshrrev_b32_e32 v25, 3, v21
	v_sub_u32_e32 v19, 29, v26
	v_and_b32_e32 v18, 7, v18
	v_cmp_gt_u32_e32 vcc, 8, v21
	v_mov_b32_e32 v21, 24
	v_cndmask_b32_e32 v19, v25, v19, vcc
	v_cndmask_b32_e32 v18, v23, v18, vcc
	v_lshlrev_b32_sdwa v21, v21, v10 dst_sel:DWORD dst_unused:UNUSED_PAD src0_sel:DWORD src1_sel:WORD_1
	v_bfrev_b32_e32 v23, 60
	v_lshlrev_b32_e32 v18, 20, v18
	v_and_b32_e32 v21, 0x80000000, v21
	v_lshl_add_u32 v19, v19, 23, v23
	v_or3_b32 v19, v21, v19, v18
.LBB577_511:
	s_or_b64 exec, exec, s[8:9]
.LBB577_512:
	s_or_b64 exec, exec, s[2:3]
.LBB577_513:
	s_or_b64 exec, exec, s[0:1]
	s_mov_b32 s0, 0xffffff
	v_cmp_lt_u32_e32 vcc, s0, v10
	v_mov_b32_e32 v21, 0
	v_mov_b32_e32 v23, 0
	s_and_saveexec_b64 s[0:1], vcc
	s_cbranch_execz .LBB577_519
; %bb.514:
	v_lshrrev_b32_e32 v18, 24, v10
	s_movk_i32 s2, 0x80
	v_cmp_ne_u32_e32 vcc, s2, v18
	v_bfrev_b32_e32 v23, 1
	s_and_saveexec_b64 s[2:3], vcc
	s_cbranch_execz .LBB577_518
; %bb.515:
	v_bfe_u32 v10, v10, 24, 7
	s_movk_i32 s7, 0x7f
	v_cmp_ne_u32_e32 vcc, s7, v10
	v_mov_b32_e32 v23, 0x7f800001
	s_and_saveexec_b64 s[8:9], vcc
	s_cbranch_execz .LBB577_517
; %bb.516:
	v_and_b32_e32 v23, 7, v18
	v_ffbh_u32_e32 v26, v23
	v_min_u32_e32 v29, 32, v26
	v_subrev_u32_e32 v26, 28, v29
	v_lshlrev_b64 v[26:27], v26, v[18:19]
	v_lshrrev_b32_e32 v25, 3, v10
	v_sub_u32_e32 v27, 29, v29
	v_and_b32_e32 v26, 7, v26
	v_cmp_gt_u32_e32 vcc, 8, v10
	v_cndmask_b32_e32 v10, v25, v27, vcc
	v_cndmask_b32_e32 v23, v23, v26, vcc
	v_lshlrev_b32_e32 v18, 24, v18
	v_bfrev_b32_e32 v25, 60
	v_lshlrev_b32_e32 v23, 20, v23
	v_and_b32_e32 v18, 0x80000000, v18
	v_lshl_add_u32 v10, v10, 23, v25
	v_or3_b32 v23, v18, v10, v23
.LBB577_517:
	s_or_b64 exec, exec, s[8:9]
.LBB577_518:
	s_or_b64 exec, exec, s[2:3]
.LBB577_519:
	s_or_b64 exec, exec, s[0:1]
	v_cmp_ne_u16_sdwa s[2:3], v11, v21 src0_sel:BYTE_0 src1_sel:DWORD
	s_and_saveexec_b64 s[0:1], s[2:3]
	s_cbranch_execz .LBB577_525
; %bb.520:
	s_movk_i32 s2, 0x80
	v_cmp_ne_u16_sdwa s[8:9], v11, s2 src0_sel:BYTE_0 src1_sel:DWORD
	v_bfrev_b32_e32 v21, 1
	s_and_saveexec_b64 s[2:3], s[8:9]
	s_cbranch_execz .LBB577_524
; %bb.521:
	s_movk_i32 s7, 0x7f
	v_and_b32_e32 v10, 0x7f, v11
	v_cmp_ne_u32_e32 vcc, s7, v10
	v_mov_b32_e32 v21, 0x7f800001
	s_and_saveexec_b64 s[8:9], vcc
	s_cbranch_execz .LBB577_523
; %bb.522:
	v_and_b32_e32 v21, 7, v11
	v_ffbh_u32_e32 v26, v21
	v_min_u32_e32 v29, 32, v26
	v_mov_b32_e32 v18, v11
	v_subrev_u32_e32 v26, 28, v29
	v_lshlrev_b64 v[26:27], v26, v[18:19]
	v_lshrrev_b32_e32 v25, 3, v10
	v_sub_u32_e32 v18, 29, v29
	v_and_b32_e32 v26, 7, v26
	v_cmp_gt_u32_e32 vcc, 8, v10
	v_cndmask_b32_e32 v10, v25, v18, vcc
	v_cndmask_b32_e32 v18, v21, v26, vcc
	v_lshlrev_b32_e32 v21, 24, v11
	v_bfrev_b32_e32 v25, 60
	v_lshlrev_b32_e32 v18, 20, v18
	v_and_b32_e32 v21, 0x80000000, v21
	v_lshl_add_u32 v10, v10, 23, v25
	v_or3_b32 v21, v21, v10, v18
.LBB577_523:
	s_or_b64 exec, exec, s[8:9]
.LBB577_524:
	s_or_b64 exec, exec, s[2:3]
.LBB577_525:
	s_or_b64 exec, exec, s[0:1]
	v_lshrrev_b16_e32 v10, 8, v11
	v_cmp_ne_u16_e32 vcc, 0, v10
	v_mov_b32_e32 v25, 0
	v_mov_b32_e32 v26, 0
	s_and_saveexec_b64 s[0:1], vcc
	s_cbranch_execz .LBB577_531
; %bb.526:
	s_movk_i32 s2, 0x80
	v_cmp_ne_u16_e32 vcc, s2, v10
	v_bfrev_b32_e32 v26, 1
	s_and_saveexec_b64 s[2:3], vcc
	s_cbranch_execz .LBB577_530
; %bb.527:
	s_movk_i32 s7, 0x7f
	v_and_b32_e32 v18, 0x7f, v10
	v_cmp_ne_u32_e32 vcc, s7, v18
	v_mov_b32_e32 v26, 0x7f800001
	s_and_saveexec_b64 s[8:9], vcc
	s_cbranch_execz .LBB577_529
; %bb.528:
	v_and_b32_e32 v29, 7, v10
	v_ffbh_u32_e32 v26, v29
	v_min_u32_e32 v31, 32, v26
	v_subrev_u32_e32 v26, 28, v31
	v_lshlrev_b64 v[26:27], v26, v[10:11]
	v_lshrrev_b32_e32 v30, 3, v18
	v_sub_u32_e32 v10, 29, v31
	v_and_b32_e32 v26, 7, v26
	v_cmp_gt_u32_e32 vcc, 8, v18
	v_cndmask_b32_e32 v10, v30, v10, vcc
	v_cndmask_b32_e32 v18, v29, v26, vcc
	v_lshlrev_b32_e32 v26, 16, v11
	v_bfrev_b32_e32 v27, 60
	v_lshlrev_b32_e32 v18, 20, v18
	v_and_b32_e32 v26, 0x80000000, v26
	v_lshl_add_u32 v10, v10, 23, v27
	v_or3_b32 v26, v26, v10, v18
.LBB577_529:
	s_or_b64 exec, exec, s[8:9]
.LBB577_530:
	s_or_b64 exec, exec, s[2:3]
.LBB577_531:
	s_or_b64 exec, exec, s[0:1]
	s_movk_i32 s0, 0xff
	v_and_b32_sdwa v18, v11, s0 dst_sel:DWORD dst_unused:UNUSED_PAD src0_sel:WORD_1 src1_sel:DWORD
	v_lshrrev_b32_e32 v10, 16, v11
	v_cmp_ne_u16_e32 vcc, 0, v18
	s_and_saveexec_b64 s[0:1], vcc
	s_cbranch_execz .LBB577_537
; %bb.532:
	s_movk_i32 s2, 0x80
	v_cmp_ne_u16_e32 vcc, s2, v18
	v_bfrev_b32_e32 v25, 1
	s_and_saveexec_b64 s[2:3], vcc
	s_cbranch_execz .LBB577_536
; %bb.533:
	v_bfe_u32 v18, v11, 16, 7
	s_movk_i32 s7, 0x7f
	v_cmp_ne_u32_e32 vcc, s7, v18
	v_mov_b32_e32 v25, 0x7f800001
	s_and_saveexec_b64 s[8:9], vcc
	s_cbranch_execz .LBB577_535
; %bb.534:
	v_and_b32_e32 v25, 7, v10
	v_ffbh_u32_e32 v29, v25
	v_min_u32_e32 v29, 32, v29
	v_subrev_u32_e32 v30, 28, v29
	v_lshlrev_b64 v[30:31], v30, v[10:11]
	v_sub_u32_e32 v10, 29, v29
	v_and_b32_e32 v29, 7, v30
	v_cmp_gt_u32_e32 vcc, 8, v18
	v_lshrrev_b32_e32 v27, 3, v18
	v_cndmask_b32_e32 v18, v25, v29, vcc
	v_mov_b32_e32 v25, 24
	v_cndmask_b32_e32 v10, v27, v10, vcc
	v_lshlrev_b32_sdwa v25, v25, v11 dst_sel:DWORD dst_unused:UNUSED_PAD src0_sel:DWORD src1_sel:WORD_1
	v_bfrev_b32_e32 v27, 60
	v_lshlrev_b32_e32 v18, 20, v18
	v_and_b32_e32 v25, 0x80000000, v25
	v_lshl_add_u32 v10, v10, 23, v27
	v_or3_b32 v25, v25, v10, v18
.LBB577_535:
	s_or_b64 exec, exec, s[8:9]
.LBB577_536:
	s_or_b64 exec, exec, s[2:3]
.LBB577_537:
	s_or_b64 exec, exec, s[0:1]
	s_mov_b32 s0, 0xffffff
	v_cmp_lt_u32_e32 vcc, s0, v11
	v_mov_b32_e32 v18, 0
	v_mov_b32_e32 v27, 0
	s_and_saveexec_b64 s[0:1], vcc
	s_cbranch_execz .LBB577_543
; %bb.538:
	v_lshrrev_b32_e32 v10, 24, v11
	s_movk_i32 s2, 0x80
	v_cmp_ne_u32_e32 vcc, s2, v10
	v_bfrev_b32_e32 v27, 1
	s_and_saveexec_b64 s[2:3], vcc
	s_cbranch_execz .LBB577_542
; %bb.539:
	v_bfe_u32 v11, v11, 24, 7
	s_movk_i32 s7, 0x7f
	v_cmp_ne_u32_e32 vcc, s7, v11
	v_mov_b32_e32 v27, 0x7f800001
	s_and_saveexec_b64 s[8:9], vcc
	s_cbranch_execz .LBB577_541
; %bb.540:
	v_and_b32_e32 v27, 7, v10
	v_ffbh_u32_e32 v30, v27
	v_min_u32_e32 v32, 32, v30
	v_subrev_u32_e32 v30, 28, v32
	v_lshlrev_b64 v[30:31], v30, v[10:11]
	v_lshrrev_b32_e32 v29, 3, v11
	v_sub_u32_e32 v31, 29, v32
	v_and_b32_e32 v30, 7, v30
	v_cmp_gt_u32_e32 vcc, 8, v11
	v_cndmask_b32_e32 v11, v29, v31, vcc
	v_cndmask_b32_e32 v27, v27, v30, vcc
	v_lshlrev_b32_e32 v10, 24, v10
	v_bfrev_b32_e32 v29, 60
	v_lshlrev_b32_e32 v27, 20, v27
	v_and_b32_e32 v10, 0x80000000, v10
	v_lshl_add_u32 v11, v11, 23, v29
	v_or3_b32 v27, v10, v11, v27
.LBB577_541:
	s_or_b64 exec, exec, s[8:9]
.LBB577_542:
	s_or_b64 exec, exec, s[2:3]
.LBB577_543:
	s_or_b64 exec, exec, s[0:1]
	v_cvt_pkrtz_f16_f32 v10, v24, v20
	v_cvt_pkrtz_f16_f32 v11, v19, v23
	ds_read_b128 v[30:33], v22 offset:2048
	v_cmp_ne_u16_sdwa s[2:3], v12, v18 src0_sel:BYTE_0 src1_sel:DWORD
	s_waitcnt lgkmcnt(0)
	v_mfma_f32_16x16x16f16 v[14:17], v[10:11], v[30:31], v[14:17]
	v_cvt_pkrtz_f16_f32 v10, v21, v26
	v_cvt_pkrtz_f16_f32 v11, v25, v27
	s_nop 1
	v_mfma_f32_16x16x16f16 v[14:17], v[10:11], v[32:33], v[14:17]
	s_and_saveexec_b64 s[0:1], s[2:3]
	s_cbranch_execz .LBB577_549
; %bb.544:
	s_movk_i32 s2, 0x80
	v_cmp_ne_u16_sdwa s[8:9], v12, s2 src0_sel:BYTE_0 src1_sel:DWORD
	v_bfrev_b32_e32 v18, 1
	s_and_saveexec_b64 s[2:3], s[8:9]
	s_cbranch_execz .LBB577_548
; %bb.545:
	s_movk_i32 s7, 0x7f
	v_and_b32_e32 v10, 0x7f, v12
	v_cmp_ne_u32_e32 vcc, s7, v10
	v_mov_b32_e32 v18, 0x7f800001
	s_and_saveexec_b64 s[8:9], vcc
	s_cbranch_execz .LBB577_547
; %bb.546:
	v_and_b32_e32 v11, 7, v12
	v_ffbh_u32_e32 v18, v11
	v_min_u32_e32 v21, 32, v18
	v_subrev_u32_e32 v18, 28, v21
	v_lshlrev_b64 v[18:19], v18, v[12:13]
	v_lshrrev_b32_e32 v20, 3, v10
	v_sub_u32_e32 v19, 29, v21
	v_and_b32_e32 v18, 7, v18
	v_cmp_gt_u32_e32 vcc, 8, v10
	v_cndmask_b32_e32 v10, v20, v19, vcc
	v_cndmask_b32_e32 v11, v11, v18, vcc
	v_lshlrev_b32_e32 v18, 24, v12
	v_bfrev_b32_e32 v19, 60
	v_lshlrev_b32_e32 v11, 20, v11
	v_and_b32_e32 v18, 0x80000000, v18
	v_lshl_add_u32 v10, v10, 23, v19
	v_or3_b32 v18, v18, v10, v11
.LBB577_547:
	s_or_b64 exec, exec, s[8:9]
.LBB577_548:
	s_or_b64 exec, exec, s[2:3]
.LBB577_549:
	s_or_b64 exec, exec, s[0:1]
	v_lshrrev_b16_e32 v10, 8, v12
	v_cmp_ne_u16_e32 vcc, 0, v10
	v_mov_b32_e32 v11, 0
	v_mov_b32_e32 v20, 0
	s_and_saveexec_b64 s[0:1], vcc
	s_cbranch_execz .LBB577_555
; %bb.550:
	s_movk_i32 s2, 0x80
	v_cmp_ne_u16_e32 vcc, s2, v10
	v_bfrev_b32_e32 v20, 1
	s_and_saveexec_b64 s[2:3], vcc
	s_cbranch_execz .LBB577_554
; %bb.551:
	s_movk_i32 s7, 0x7f
	v_and_b32_e32 v19, 0x7f, v10
	v_cmp_ne_u32_e32 vcc, s7, v19
	v_mov_b32_e32 v20, 0x7f800001
	s_and_saveexec_b64 s[8:9], vcc
	s_cbranch_execz .LBB577_553
; %bb.552:
	v_and_b32_e32 v23, 7, v10
	v_ffbh_u32_e32 v20, v23
	v_min_u32_e32 v25, 32, v20
	v_subrev_u32_e32 v20, 28, v25
	v_lshlrev_b64 v[20:21], v20, v[10:11]
	v_lshrrev_b32_e32 v24, 3, v19
	v_sub_u32_e32 v10, 29, v25
	v_and_b32_e32 v20, 7, v20
	v_cmp_gt_u32_e32 vcc, 8, v19
	v_cndmask_b32_e32 v10, v24, v10, vcc
	v_cndmask_b32_e32 v19, v23, v20, vcc
	v_lshlrev_b32_e32 v20, 16, v12
	v_bfrev_b32_e32 v21, 60
	v_lshlrev_b32_e32 v19, 20, v19
	v_and_b32_e32 v20, 0x80000000, v20
	v_lshl_add_u32 v10, v10, 23, v21
	v_or3_b32 v20, v20, v10, v19
.LBB577_553:
	s_or_b64 exec, exec, s[8:9]
.LBB577_554:
	s_or_b64 exec, exec, s[2:3]
.LBB577_555:
	s_or_b64 exec, exec, s[0:1]
	s_movk_i32 s0, 0xff
	v_and_b32_sdwa v19, v12, s0 dst_sel:DWORD dst_unused:UNUSED_PAD src0_sel:WORD_1 src1_sel:DWORD
	v_lshrrev_b32_e32 v10, 16, v12
	v_cmp_ne_u16_e32 vcc, 0, v19
	s_and_saveexec_b64 s[0:1], vcc
	s_cbranch_execz .LBB577_561
; %bb.556:
	s_movk_i32 s2, 0x80
	v_cmp_ne_u16_e32 vcc, s2, v19
	v_bfrev_b32_e32 v11, 1
	s_and_saveexec_b64 s[2:3], vcc
	s_cbranch_execz .LBB577_560
; %bb.557:
	v_bfe_u32 v19, v12, 16, 7
	s_movk_i32 s7, 0x7f
	v_cmp_ne_u32_e32 vcc, s7, v19
	v_mov_b32_e32 v11, 0x7f800001
	s_and_saveexec_b64 s[8:9], vcc
	s_cbranch_execz .LBB577_559
; %bb.558:
	v_and_b32_e32 v21, 7, v10
	v_ffbh_u32_e32 v11, v21
	v_min_u32_e32 v24, 32, v11
	v_subrev_u32_e32 v11, 28, v24
	v_lshlrev_b64 v[10:11], v11, v[10:11]
	v_lshrrev_b32_e32 v23, 3, v19
	v_sub_u32_e32 v11, 29, v24
	v_and_b32_e32 v10, 7, v10
	v_cmp_gt_u32_e32 vcc, 8, v19
	v_mov_b32_e32 v19, 24
	v_cndmask_b32_e32 v11, v23, v11, vcc
	v_cndmask_b32_e32 v10, v21, v10, vcc
	v_lshlrev_b32_sdwa v19, v19, v12 dst_sel:DWORD dst_unused:UNUSED_PAD src0_sel:DWORD src1_sel:WORD_1
	v_bfrev_b32_e32 v21, 60
	v_lshlrev_b32_e32 v10, 20, v10
	v_and_b32_e32 v19, 0x80000000, v19
	v_lshl_add_u32 v11, v11, 23, v21
	v_or3_b32 v11, v19, v11, v10
.LBB577_559:
	s_or_b64 exec, exec, s[8:9]
.LBB577_560:
	s_or_b64 exec, exec, s[2:3]
.LBB577_561:
	s_or_b64 exec, exec, s[0:1]
	s_mov_b32 s0, 0xffffff
	v_cmp_lt_u32_e32 vcc, s0, v12
	v_mov_b32_e32 v21, 0
	v_mov_b32_e32 v23, 0
	s_and_saveexec_b64 s[0:1], vcc
	s_cbranch_execz .LBB577_567
; %bb.562:
	v_lshrrev_b32_e32 v10, 24, v12
	s_movk_i32 s2, 0x80
	v_cmp_ne_u32_e32 vcc, s2, v10
	v_bfrev_b32_e32 v23, 1
	s_and_saveexec_b64 s[2:3], vcc
	s_cbranch_execz .LBB577_566
; %bb.563:
	v_bfe_u32 v12, v12, 24, 7
	s_movk_i32 s7, 0x7f
	v_cmp_ne_u32_e32 vcc, s7, v12
	v_mov_b32_e32 v23, 0x7f800001
	s_and_saveexec_b64 s[8:9], vcc
	s_cbranch_execz .LBB577_565
; %bb.564:
	v_and_b32_e32 v19, 7, v10
	v_ffbh_u32_e32 v24, v19
	v_min_u32_e32 v26, 32, v24
	v_subrev_u32_e32 v24, 28, v26
	v_lshlrev_b64 v[24:25], v24, v[10:11]
	v_lshrrev_b32_e32 v23, 3, v12
	v_sub_u32_e32 v25, 29, v26
	v_and_b32_e32 v24, 7, v24
	v_cmp_gt_u32_e32 vcc, 8, v12
	v_cndmask_b32_e32 v12, v23, v25, vcc
	v_cndmask_b32_e32 v19, v19, v24, vcc
	v_lshlrev_b32_e32 v10, 24, v10
	v_bfrev_b32_e32 v23, 60
	v_lshlrev_b32_e32 v19, 20, v19
	v_and_b32_e32 v10, 0x80000000, v10
	v_lshl_add_u32 v12, v12, 23, v23
	v_or3_b32 v23, v10, v12, v19
.LBB577_565:
	s_or_b64 exec, exec, s[8:9]
.LBB577_566:
	s_or_b64 exec, exec, s[2:3]
.LBB577_567:
	s_or_b64 exec, exec, s[0:1]
	v_cmp_ne_u16_sdwa s[2:3], v13, v21 src0_sel:BYTE_0 src1_sel:DWORD
	s_and_saveexec_b64 s[0:1], s[2:3]
	s_cbranch_execz .LBB577_573
; %bb.568:
	s_movk_i32 s2, 0x80
	v_cmp_ne_u16_sdwa s[8:9], v13, s2 src0_sel:BYTE_0 src1_sel:DWORD
	v_bfrev_b32_e32 v21, 1
	s_and_saveexec_b64 s[2:3], s[8:9]
	s_cbranch_execz .LBB577_572
; %bb.569:
	s_movk_i32 s7, 0x7f
	v_and_b32_e32 v10, 0x7f, v13
	v_cmp_ne_u32_e32 vcc, s7, v10
	v_mov_b32_e32 v21, 0x7f800001
	s_and_saveexec_b64 s[8:9], vcc
	s_cbranch_execz .LBB577_571
; %bb.570:
	v_and_b32_e32 v19, 7, v13
	v_ffbh_u32_e32 v24, v19
	v_min_u32_e32 v26, 32, v24
	v_mov_b32_e32 v12, v13
	v_subrev_u32_e32 v24, 28, v26
	v_lshlrev_b64 v[24:25], v24, v[12:13]
	v_lshrrev_b32_e32 v21, 3, v10
	v_sub_u32_e32 v12, 29, v26
	v_and_b32_e32 v24, 7, v24
	v_cmp_gt_u32_e32 vcc, 8, v10
	v_cndmask_b32_e32 v10, v21, v12, vcc
	v_cndmask_b32_e32 v12, v19, v24, vcc
	v_lshlrev_b32_e32 v19, 24, v13
	v_bfrev_b32_e32 v21, 60
	v_lshlrev_b32_e32 v12, 20, v12
	v_and_b32_e32 v19, 0x80000000, v19
	v_lshl_add_u32 v10, v10, 23, v21
	v_or3_b32 v21, v19, v10, v12
.LBB577_571:
	s_or_b64 exec, exec, s[8:9]
.LBB577_572:
	s_or_b64 exec, exec, s[2:3]
.LBB577_573:
	s_or_b64 exec, exec, s[0:1]
	v_lshrrev_b16_e32 v10, 8, v13
	v_cmp_ne_u16_e32 vcc, 0, v10
	v_mov_b32_e32 v12, 0
	v_mov_b32_e32 v24, 0
	s_and_saveexec_b64 s[0:1], vcc
	s_cbranch_execz .LBB577_579
; %bb.574:
	s_movk_i32 s2, 0x80
	v_cmp_ne_u16_e32 vcc, s2, v10
	v_bfrev_b32_e32 v24, 1
	s_and_saveexec_b64 s[2:3], vcc
	s_cbranch_execz .LBB577_578
; %bb.575:
	s_movk_i32 s7, 0x7f
	v_and_b32_e32 v19, 0x7f, v10
	v_cmp_ne_u32_e32 vcc, s7, v19
	v_mov_b32_e32 v24, 0x7f800001
	s_and_saveexec_b64 s[8:9], vcc
	s_cbranch_execz .LBB577_577
; %bb.576:
	v_and_b32_e32 v26, 7, v10
	v_ffbh_u32_e32 v24, v26
	v_min_u32_e32 v29, 32, v24
	v_subrev_u32_e32 v24, 28, v29
	v_lshlrev_b64 v[24:25], v24, v[10:11]
	v_lshrrev_b32_e32 v27, 3, v19
	v_sub_u32_e32 v10, 29, v29
	v_and_b32_e32 v24, 7, v24
	v_cmp_gt_u32_e32 vcc, 8, v19
	v_cndmask_b32_e32 v10, v27, v10, vcc
	v_cndmask_b32_e32 v19, v26, v24, vcc
	v_lshlrev_b32_e32 v24, 16, v13
	v_bfrev_b32_e32 v25, 60
	v_lshlrev_b32_e32 v19, 20, v19
	v_and_b32_e32 v24, 0x80000000, v24
	v_lshl_add_u32 v10, v10, 23, v25
	v_or3_b32 v24, v24, v10, v19
.LBB577_577:
	s_or_b64 exec, exec, s[8:9]
.LBB577_578:
	s_or_b64 exec, exec, s[2:3]
.LBB577_579:
	s_or_b64 exec, exec, s[0:1]
	s_movk_i32 s0, 0xff
	v_and_b32_sdwa v19, v13, s0 dst_sel:DWORD dst_unused:UNUSED_PAD src0_sel:WORD_1 src1_sel:DWORD
	v_lshrrev_b32_e32 v10, 16, v13
	v_cmp_ne_u16_e32 vcc, 0, v19
	s_and_saveexec_b64 s[0:1], vcc
	s_cbranch_execz .LBB577_585
; %bb.580:
	s_movk_i32 s2, 0x80
	v_cmp_ne_u16_e32 vcc, s2, v19
	v_bfrev_b32_e32 v12, 1
	s_and_saveexec_b64 s[2:3], vcc
	s_cbranch_execz .LBB577_584
; %bb.581:
	v_bfe_u32 v19, v13, 16, 7
	s_movk_i32 s7, 0x7f
	v_cmp_ne_u32_e32 vcc, s7, v19
	v_mov_b32_e32 v12, 0x7f800001
	s_and_saveexec_b64 s[8:9], vcc
	s_cbranch_execz .LBB577_583
; %bb.582:
	v_and_b32_e32 v12, 7, v10
	v_ffbh_u32_e32 v26, v12
	v_min_u32_e32 v29, 32, v26
	v_subrev_u32_e32 v26, 28, v29
	v_lshlrev_b64 v[26:27], v26, v[10:11]
	v_lshrrev_b32_e32 v25, 3, v19
	v_sub_u32_e32 v10, 29, v29
	v_and_b32_e32 v26, 7, v26
	v_cmp_gt_u32_e32 vcc, 8, v19
	v_mov_b32_e32 v19, 24
	v_cndmask_b32_e32 v10, v25, v10, vcc
	v_cndmask_b32_e32 v12, v12, v26, vcc
	v_lshlrev_b32_sdwa v19, v19, v13 dst_sel:DWORD dst_unused:UNUSED_PAD src0_sel:DWORD src1_sel:WORD_1
	v_bfrev_b32_e32 v25, 60
	v_lshlrev_b32_e32 v12, 20, v12
	v_and_b32_e32 v19, 0x80000000, v19
	v_lshl_add_u32 v10, v10, 23, v25
	v_or3_b32 v12, v19, v10, v12
.LBB577_583:
	s_or_b64 exec, exec, s[8:9]
.LBB577_584:
	s_or_b64 exec, exec, s[2:3]
.LBB577_585:
	s_or_b64 exec, exec, s[0:1]
	s_mov_b32 s0, 0xffffff
	v_cmp_lt_u32_e32 vcc, s0, v13
	v_mov_b32_e32 v19, 0
	v_mov_b32_e32 v25, 0
	s_and_saveexec_b64 s[0:1], vcc
	s_cbranch_execz .LBB577_591
; %bb.586:
	v_lshrrev_b32_e32 v10, 24, v13
	s_movk_i32 s2, 0x80
	v_cmp_ne_u32_e32 vcc, s2, v10
	v_bfrev_b32_e32 v25, 1
	s_and_saveexec_b64 s[2:3], vcc
	s_cbranch_execz .LBB577_590
; %bb.587:
	v_bfe_u32 v13, v13, 24, 7
	s_movk_i32 s7, 0x7f
	v_cmp_ne_u32_e32 vcc, s7, v13
	v_mov_b32_e32 v25, 0x7f800001
	s_and_saveexec_b64 s[8:9], vcc
	s_cbranch_execz .LBB577_589
; %bb.588:
	v_and_b32_e32 v25, 7, v10
	v_ffbh_u32_e32 v26, v25
	v_min_u32_e32 v30, 32, v26
	v_subrev_u32_e32 v26, 28, v30
	v_lshlrev_b64 v[26:27], v26, v[10:11]
	v_lshrrev_b32_e32 v29, 3, v13
	v_sub_u32_e32 v27, 29, v30
	v_and_b32_e32 v26, 7, v26
	v_cmp_gt_u32_e32 vcc, 8, v13
	v_cndmask_b32_e32 v13, v29, v27, vcc
	v_cndmask_b32_e32 v25, v25, v26, vcc
	v_lshlrev_b32_e32 v10, 24, v10
	v_bfrev_b32_e32 v26, 60
	v_lshlrev_b32_e32 v25, 20, v25
	v_and_b32_e32 v10, 0x80000000, v10
	v_lshl_add_u32 v13, v13, 23, v26
	v_or3_b32 v25, v10, v13, v25
.LBB577_589:
	s_or_b64 exec, exec, s[8:9]
.LBB577_590:
	s_or_b64 exec, exec, s[2:3]
.LBB577_591:
	s_or_b64 exec, exec, s[0:1]
	v_cvt_pkrtz_f16_f32 v10, v18, v20
	v_cvt_pkrtz_f16_f32 v11, v11, v23
	ds_read_b128 v[30:33], v22 offset:2064
	s_waitcnt vmcnt(1)
	v_cmp_ne_u16_sdwa s[2:3], v6, v19 src0_sel:BYTE_0 src1_sel:DWORD
	s_waitcnt lgkmcnt(0)
	v_mfma_f32_16x16x16f16 v[14:17], v[10:11], v[30:31], v[14:17]
	v_cvt_pkrtz_f16_f32 v10, v21, v24
	v_cvt_pkrtz_f16_f32 v11, v12, v25
	s_nop 1
	v_mfma_f32_16x16x16f16 v[10:13], v[10:11], v[32:33], v[14:17]
	s_and_saveexec_b64 s[0:1], s[2:3]
	s_cbranch_execz .LBB577_597
; %bb.592:
	s_movk_i32 s2, 0x80
	v_cmp_ne_u16_sdwa s[8:9], v6, s2 src0_sel:BYTE_0 src1_sel:DWORD
	v_bfrev_b32_e32 v19, 1
	s_and_saveexec_b64 s[2:3], s[8:9]
	s_cbranch_execz .LBB577_596
; %bb.593:
	s_movk_i32 s7, 0x7f
	v_and_b32_e32 v14, 0x7f, v6
	v_cmp_ne_u32_e32 vcc, s7, v14
	v_mov_b32_e32 v19, 0x7f800001
	s_and_saveexec_b64 s[8:9], vcc
	s_cbranch_execz .LBB577_595
; %bb.594:
	v_and_b32_e32 v15, 7, v6
	v_ffbh_u32_e32 v16, v15
	v_min_u32_e32 v19, 32, v16
	v_subrev_u32_e32 v16, 28, v19
	v_lshlrev_b64 v[16:17], v16, v[6:7]
	v_lshrrev_b32_e32 v18, 3, v14
	v_sub_u32_e32 v17, 29, v19
	v_and_b32_e32 v16, 7, v16
	v_cmp_gt_u32_e32 vcc, 8, v14
	v_cndmask_b32_e32 v14, v18, v17, vcc
	v_cndmask_b32_e32 v15, v15, v16, vcc
	v_lshlrev_b32_e32 v16, 24, v6
	v_bfrev_b32_e32 v17, 60
	v_lshlrev_b32_e32 v15, 20, v15
	v_and_b32_e32 v16, 0x80000000, v16
	v_lshl_add_u32 v14, v14, 23, v17
	v_or3_b32 v19, v16, v14, v15
.LBB577_595:
	s_or_b64 exec, exec, s[8:9]
.LBB577_596:
	s_or_b64 exec, exec, s[2:3]
.LBB577_597:
	s_or_b64 exec, exec, s[0:1]
	s_nop 3
	v_lshrrev_b16_e32 v14, 8, v6
	v_cmp_ne_u16_e32 vcc, 0, v14
	v_mov_b32_e32 v15, 0
	v_mov_b32_e32 v16, 0
	s_and_saveexec_b64 s[0:1], vcc
	s_cbranch_execz .LBB577_603
; %bb.598:
	s_movk_i32 s2, 0x80
	v_cmp_ne_u16_e32 vcc, s2, v14
	v_bfrev_b32_e32 v16, 1
	s_and_saveexec_b64 s[2:3], vcc
	s_cbranch_execz .LBB577_602
; %bb.599:
	s_movk_i32 s7, 0x7f
	v_and_b32_e32 v17, 0x7f, v14
	v_cmp_ne_u32_e32 vcc, s7, v17
	v_mov_b32_e32 v16, 0x7f800001
	s_and_saveexec_b64 s[8:9], vcc
	s_cbranch_execz .LBB577_601
; %bb.600:
	v_and_b32_e32 v16, 7, v14
	v_ffbh_u32_e32 v20, v16
	v_min_u32_e32 v23, 32, v20
	v_subrev_u32_e32 v20, 28, v23
	v_lshlrev_b64 v[20:21], v20, v[14:15]
	v_lshrrev_b32_e32 v18, 3, v17
	v_sub_u32_e32 v14, 29, v23
	v_and_b32_e32 v20, 7, v20
	v_cmp_gt_u32_e32 vcc, 8, v17
	v_cndmask_b32_e32 v14, v18, v14, vcc
	v_cndmask_b32_e32 v16, v16, v20, vcc
	v_lshlrev_b32_e32 v17, 16, v6
	v_bfrev_b32_e32 v18, 60
	v_lshlrev_b32_e32 v16, 20, v16
	v_and_b32_e32 v17, 0x80000000, v17
	v_lshl_add_u32 v14, v14, 23, v18
	v_or3_b32 v16, v17, v14, v16
.LBB577_601:
	s_or_b64 exec, exec, s[8:9]
.LBB577_602:
	s_or_b64 exec, exec, s[2:3]
.LBB577_603:
	s_or_b64 exec, exec, s[0:1]
	s_movk_i32 s0, 0xff
	v_and_b32_sdwa v17, v6, s0 dst_sel:DWORD dst_unused:UNUSED_PAD src0_sel:WORD_1 src1_sel:DWORD
	v_lshrrev_b32_e32 v14, 16, v6
	v_cmp_ne_u16_e32 vcc, 0, v17
	s_and_saveexec_b64 s[0:1], vcc
	s_cbranch_execz .LBB577_609
; %bb.604:
	s_movk_i32 s2, 0x80
	v_cmp_ne_u16_e32 vcc, s2, v17
	v_bfrev_b32_e32 v15, 1
	s_and_saveexec_b64 s[2:3], vcc
	s_cbranch_execz .LBB577_608
; %bb.605:
	v_bfe_u32 v17, v6, 16, 7
	s_movk_i32 s7, 0x7f
	v_cmp_ne_u32_e32 vcc, s7, v17
	v_mov_b32_e32 v15, 0x7f800001
	s_and_saveexec_b64 s[8:9], vcc
	s_cbranch_execz .LBB577_607
; %bb.606:
	v_and_b32_e32 v18, 7, v14
	v_ffbh_u32_e32 v15, v18
	v_min_u32_e32 v21, 32, v15
	v_subrev_u32_e32 v15, 28, v21
	v_lshlrev_b64 v[14:15], v15, v[14:15]
	v_lshrrev_b32_e32 v20, 3, v17
	v_sub_u32_e32 v15, 29, v21
	v_and_b32_e32 v14, 7, v14
	v_cmp_gt_u32_e32 vcc, 8, v17
	v_mov_b32_e32 v17, 24
	v_cndmask_b32_e32 v15, v20, v15, vcc
	v_cndmask_b32_e32 v14, v18, v14, vcc
	v_lshlrev_b32_sdwa v17, v17, v6 dst_sel:DWORD dst_unused:UNUSED_PAD src0_sel:DWORD src1_sel:WORD_1
	v_bfrev_b32_e32 v18, 60
	v_lshlrev_b32_e32 v14, 20, v14
	v_and_b32_e32 v17, 0x80000000, v17
	v_lshl_add_u32 v15, v15, 23, v18
	v_or3_b32 v15, v17, v15, v14
.LBB577_607:
	s_or_b64 exec, exec, s[8:9]
.LBB577_608:
	s_or_b64 exec, exec, s[2:3]
.LBB577_609:
	s_or_b64 exec, exec, s[0:1]
	s_mov_b32 s0, 0xffffff
	v_cmp_lt_u32_e32 vcc, s0, v6
	v_mov_b32_e32 v17, 0
	v_mov_b32_e32 v18, 0
	s_and_saveexec_b64 s[0:1], vcc
	s_cbranch_execz .LBB577_615
; %bb.610:
	v_lshrrev_b32_e32 v14, 24, v6
	s_movk_i32 s2, 0x80
	v_cmp_ne_u32_e32 vcc, s2, v14
	v_bfrev_b32_e32 v18, 1
	s_and_saveexec_b64 s[2:3], vcc
	s_cbranch_execz .LBB577_614
; %bb.611:
	v_bfe_u32 v6, v6, 24, 7
	s_movk_i32 s7, 0x7f
	v_cmp_ne_u32_e32 vcc, s7, v6
	v_mov_b32_e32 v18, 0x7f800001
	s_and_saveexec_b64 s[8:9], vcc
	s_cbranch_execz .LBB577_613
; %bb.612:
	v_and_b32_e32 v18, 7, v14
	v_ffbh_u32_e32 v20, v18
	v_min_u32_e32 v24, 32, v20
	v_subrev_u32_e32 v20, 28, v24
	v_lshlrev_b64 v[20:21], v20, v[14:15]
	v_lshrrev_b32_e32 v23, 3, v6
	v_sub_u32_e32 v21, 29, v24
	v_and_b32_e32 v20, 7, v20
	v_cmp_gt_u32_e32 vcc, 8, v6
	v_cndmask_b32_e32 v6, v23, v21, vcc
	v_cndmask_b32_e32 v18, v18, v20, vcc
	v_lshlrev_b32_e32 v14, 24, v14
	v_bfrev_b32_e32 v20, 60
	v_lshlrev_b32_e32 v18, 20, v18
	v_and_b32_e32 v14, 0x80000000, v14
	v_lshl_add_u32 v6, v6, 23, v20
	v_or3_b32 v18, v14, v6, v18
.LBB577_613:
	s_or_b64 exec, exec, s[8:9]
.LBB577_614:
	s_or_b64 exec, exec, s[2:3]
.LBB577_615:
	s_or_b64 exec, exec, s[0:1]
	v_cmp_ne_u16_sdwa s[2:3], v7, v17 src0_sel:BYTE_0 src1_sel:DWORD
	s_and_saveexec_b64 s[0:1], s[2:3]
	s_cbranch_execz .LBB577_621
; %bb.616:
	s_movk_i32 s2, 0x80
	v_cmp_ne_u16_sdwa s[8:9], v7, s2 src0_sel:BYTE_0 src1_sel:DWORD
	v_bfrev_b32_e32 v17, 1
	s_and_saveexec_b64 s[2:3], s[8:9]
	s_cbranch_execz .LBB577_620
; %bb.617:
	s_movk_i32 s7, 0x7f
	v_and_b32_e32 v6, 0x7f, v7
	v_cmp_ne_u32_e32 vcc, s7, v6
	v_mov_b32_e32 v17, 0x7f800001
	s_and_saveexec_b64 s[8:9], vcc
	s_cbranch_execz .LBB577_619
; %bb.618:
	v_and_b32_e32 v17, 7, v7
	v_ffbh_u32_e32 v20, v17
	v_min_u32_e32 v24, 32, v20
	v_mov_b32_e32 v14, v7
	v_subrev_u32_e32 v20, 28, v24
	v_lshlrev_b64 v[20:21], v20, v[14:15]
	v_lshrrev_b32_e32 v23, 3, v6
	v_sub_u32_e32 v14, 29, v24
	v_and_b32_e32 v20, 7, v20
	v_cmp_gt_u32_e32 vcc, 8, v6
	v_cndmask_b32_e32 v6, v23, v14, vcc
	v_cndmask_b32_e32 v14, v17, v20, vcc
	v_lshlrev_b32_e32 v17, 24, v7
	v_bfrev_b32_e32 v20, 60
	v_lshlrev_b32_e32 v14, 20, v14
	v_and_b32_e32 v17, 0x80000000, v17
	v_lshl_add_u32 v6, v6, 23, v20
	v_or3_b32 v17, v17, v6, v14
.LBB577_619:
	s_or_b64 exec, exec, s[8:9]
.LBB577_620:
	s_or_b64 exec, exec, s[2:3]
.LBB577_621:
	s_or_b64 exec, exec, s[0:1]
	v_lshrrev_b16_e32 v6, 8, v7
	v_cmp_ne_u16_e32 vcc, 0, v6
	v_mov_b32_e32 v20, 0
	v_mov_b32_e32 v21, 0
	s_and_saveexec_b64 s[0:1], vcc
	s_cbranch_execz .LBB577_627
; %bb.622:
	s_movk_i32 s2, 0x80
	v_cmp_ne_u16_e32 vcc, s2, v6
	v_bfrev_b32_e32 v21, 1
	s_and_saveexec_b64 s[2:3], vcc
	s_cbranch_execz .LBB577_626
; %bb.623:
	s_movk_i32 s7, 0x7f
	v_and_b32_e32 v14, 0x7f, v6
	v_cmp_ne_u32_e32 vcc, s7, v14
	v_mov_b32_e32 v21, 0x7f800001
	s_and_saveexec_b64 s[8:9], vcc
	s_cbranch_execz .LBB577_625
; %bb.624:
	v_and_b32_e32 v21, 7, v6
	v_ffbh_u32_e32 v24, v21
	v_min_u32_e32 v26, 32, v24
	v_subrev_u32_e32 v24, 28, v26
	v_lshlrev_b64 v[24:25], v24, v[6:7]
	v_lshrrev_b32_e32 v23, 3, v14
	v_sub_u32_e32 v6, 29, v26
	v_and_b32_e32 v24, 7, v24
	v_cmp_gt_u32_e32 vcc, 8, v14
	v_cndmask_b32_e32 v6, v23, v6, vcc
	v_cndmask_b32_e32 v14, v21, v24, vcc
	v_lshlrev_b32_e32 v21, 16, v7
	v_bfrev_b32_e32 v23, 60
	v_lshlrev_b32_e32 v14, 20, v14
	v_and_b32_e32 v21, 0x80000000, v21
	v_lshl_add_u32 v6, v6, 23, v23
	v_or3_b32 v21, v21, v6, v14
.LBB577_625:
	s_or_b64 exec, exec, s[8:9]
.LBB577_626:
	s_or_b64 exec, exec, s[2:3]
.LBB577_627:
	s_or_b64 exec, exec, s[0:1]
	s_movk_i32 s0, 0xff
	v_and_b32_sdwa v14, v7, s0 dst_sel:DWORD dst_unused:UNUSED_PAD src0_sel:WORD_1 src1_sel:DWORD
	v_lshrrev_b32_e32 v6, 16, v7
	v_cmp_ne_u16_e32 vcc, 0, v14
	s_and_saveexec_b64 s[0:1], vcc
	s_cbranch_execz .LBB577_633
; %bb.628:
	s_movk_i32 s2, 0x80
	v_cmp_ne_u16_e32 vcc, s2, v14
	v_bfrev_b32_e32 v20, 1
	s_and_saveexec_b64 s[2:3], vcc
	s_cbranch_execz .LBB577_632
; %bb.629:
	v_bfe_u32 v14, v7, 16, 7
	s_movk_i32 s7, 0x7f
	v_cmp_ne_u32_e32 vcc, s7, v14
	v_mov_b32_e32 v20, 0x7f800001
	s_and_saveexec_b64 s[8:9], vcc
	s_cbranch_execz .LBB577_631
; %bb.630:
	v_and_b32_e32 v20, 7, v6
	v_ffbh_u32_e32 v24, v20
	v_min_u32_e32 v26, 32, v24
	v_subrev_u32_e32 v24, 28, v26
	v_lshlrev_b64 v[24:25], v24, v[6:7]
	v_and_b32_e32 v24, 7, v24
	v_cmp_gt_u32_e32 vcc, 8, v14
	v_lshrrev_b32_e32 v23, 3, v14
	v_sub_u32_e32 v6, 29, v26
	v_cndmask_b32_e32 v14, v20, v24, vcc
	v_mov_b32_e32 v20, 24
	v_cndmask_b32_e32 v6, v23, v6, vcc
	v_lshlrev_b32_sdwa v20, v20, v7 dst_sel:DWORD dst_unused:UNUSED_PAD src0_sel:DWORD src1_sel:WORD_1
	v_bfrev_b32_e32 v23, 60
	v_lshlrev_b32_e32 v14, 20, v14
	v_and_b32_e32 v20, 0x80000000, v20
	v_lshl_add_u32 v6, v6, 23, v23
	v_or3_b32 v20, v20, v6, v14
.LBB577_631:
	s_or_b64 exec, exec, s[8:9]
.LBB577_632:
	s_or_b64 exec, exec, s[2:3]
.LBB577_633:
	s_or_b64 exec, exec, s[0:1]
	s_mov_b32 s0, 0xffffff
	v_cmp_lt_u32_e32 vcc, s0, v7
	v_mov_b32_e32 v14, 0
	v_mov_b32_e32 v23, 0
	s_and_saveexec_b64 s[0:1], vcc
	s_cbranch_execz .LBB577_639
; %bb.634:
	v_lshrrev_b32_e32 v6, 24, v7
	s_movk_i32 s2, 0x80
	v_cmp_ne_u32_e32 vcc, s2, v6
	v_bfrev_b32_e32 v23, 1
	s_and_saveexec_b64 s[2:3], vcc
	s_cbranch_execz .LBB577_638
; %bb.635:
	v_bfe_u32 v7, v7, 24, 7
	s_movk_i32 s7, 0x7f
	v_cmp_ne_u32_e32 vcc, s7, v7
	v_mov_b32_e32 v23, 0x7f800001
	s_and_saveexec_b64 s[8:9], vcc
	s_cbranch_execz .LBB577_637
; %bb.636:
	v_and_b32_e32 v23, 7, v6
	v_ffbh_u32_e32 v24, v23
	v_min_u32_e32 v27, 32, v24
	v_subrev_u32_e32 v24, 28, v27
	v_lshlrev_b64 v[24:25], v24, v[6:7]
	v_lshrrev_b32_e32 v26, 3, v7
	v_sub_u32_e32 v25, 29, v27
	v_and_b32_e32 v24, 7, v24
	v_cmp_gt_u32_e32 vcc, 8, v7
	v_cndmask_b32_e32 v7, v26, v25, vcc
	v_cndmask_b32_e32 v23, v23, v24, vcc
	v_lshlrev_b32_e32 v6, 24, v6
	v_bfrev_b32_e32 v24, 60
	v_lshlrev_b32_e32 v23, 20, v23
	v_and_b32_e32 v6, 0x80000000, v6
	v_lshl_add_u32 v7, v7, 23, v24
	v_or3_b32 v23, v6, v7, v23
.LBB577_637:
	s_or_b64 exec, exec, s[8:9]
.LBB577_638:
	s_or_b64 exec, exec, s[2:3]
.LBB577_639:
	s_or_b64 exec, exec, s[0:1]
	v_cvt_pkrtz_f16_f32 v6, v19, v16
	v_cvt_pkrtz_f16_f32 v7, v15, v18
	ds_read_b128 v[24:27], v22 offset:4096
	v_cmp_ne_u16_sdwa s[2:3], v8, v14 src0_sel:BYTE_0 src1_sel:DWORD
	s_waitcnt lgkmcnt(0)
	v_mfma_f32_16x16x16f16 v[10:13], v[6:7], v[24:25], v[10:13]
	v_cvt_pkrtz_f16_f32 v6, v17, v21
	v_cvt_pkrtz_f16_f32 v7, v20, v23
	s_nop 1
	v_mfma_f32_16x16x16f16 v[10:13], v[6:7], v[26:27], v[10:13]
	s_and_saveexec_b64 s[0:1], s[2:3]
	s_cbranch_execz .LBB577_645
; %bb.640:
	s_movk_i32 s2, 0x80
	v_cmp_ne_u16_sdwa s[8:9], v8, s2 src0_sel:BYTE_0 src1_sel:DWORD
	v_bfrev_b32_e32 v14, 1
	s_and_saveexec_b64 s[2:3], s[8:9]
	s_cbranch_execz .LBB577_644
; %bb.641:
	s_movk_i32 s7, 0x7f
	v_and_b32_e32 v6, 0x7f, v8
	v_cmp_ne_u32_e32 vcc, s7, v6
	v_mov_b32_e32 v14, 0x7f800001
	s_and_saveexec_b64 s[8:9], vcc
	s_cbranch_execz .LBB577_643
; %bb.642:
	v_and_b32_e32 v7, 7, v8
	v_ffbh_u32_e32 v14, v7
	v_min_u32_e32 v17, 32, v14
	v_subrev_u32_e32 v14, 28, v17
	v_lshlrev_b64 v[14:15], v14, v[8:9]
	v_lshrrev_b32_e32 v16, 3, v6
	v_sub_u32_e32 v15, 29, v17
	v_and_b32_e32 v14, 7, v14
	v_cmp_gt_u32_e32 vcc, 8, v6
	v_cndmask_b32_e32 v6, v16, v15, vcc
	v_cndmask_b32_e32 v7, v7, v14, vcc
	v_lshlrev_b32_e32 v14, 24, v8
	v_bfrev_b32_e32 v15, 60
	v_lshlrev_b32_e32 v7, 20, v7
	v_and_b32_e32 v14, 0x80000000, v14
	v_lshl_add_u32 v6, v6, 23, v15
	v_or3_b32 v14, v14, v6, v7
.LBB577_643:
	s_or_b64 exec, exec, s[8:9]
.LBB577_644:
	s_or_b64 exec, exec, s[2:3]
.LBB577_645:
	s_or_b64 exec, exec, s[0:1]
	v_lshrrev_b16_e32 v6, 8, v8
	v_cmp_ne_u16_e32 vcc, 0, v6
	v_mov_b32_e32 v7, 0
	v_mov_b32_e32 v16, 0
	s_and_saveexec_b64 s[0:1], vcc
	s_cbranch_execz .LBB577_651
; %bb.646:
	s_movk_i32 s2, 0x80
	v_cmp_ne_u16_e32 vcc, s2, v6
	v_bfrev_b32_e32 v16, 1
	s_and_saveexec_b64 s[2:3], vcc
	s_cbranch_execz .LBB577_650
; %bb.647:
	s_movk_i32 s7, 0x7f
	v_and_b32_e32 v15, 0x7f, v6
	v_cmp_ne_u32_e32 vcc, s7, v15
	v_mov_b32_e32 v16, 0x7f800001
	s_and_saveexec_b64 s[8:9], vcc
	s_cbranch_execz .LBB577_649
; %bb.648:
	v_and_b32_e32 v18, 7, v6
	v_ffbh_u32_e32 v16, v18
	v_min_u32_e32 v20, 32, v16
	v_subrev_u32_e32 v16, 28, v20
	v_lshlrev_b64 v[16:17], v16, v[6:7]
	v_lshrrev_b32_e32 v19, 3, v15
	v_sub_u32_e32 v6, 29, v20
	v_and_b32_e32 v16, 7, v16
	v_cmp_gt_u32_e32 vcc, 8, v15
	v_cndmask_b32_e32 v6, v19, v6, vcc
	v_cndmask_b32_e32 v15, v18, v16, vcc
	v_lshlrev_b32_e32 v16, 16, v8
	v_bfrev_b32_e32 v17, 60
	v_lshlrev_b32_e32 v15, 20, v15
	v_and_b32_e32 v16, 0x80000000, v16
	v_lshl_add_u32 v6, v6, 23, v17
	v_or3_b32 v16, v16, v6, v15
.LBB577_649:
	s_or_b64 exec, exec, s[8:9]
.LBB577_650:
	s_or_b64 exec, exec, s[2:3]
.LBB577_651:
	s_or_b64 exec, exec, s[0:1]
	s_movk_i32 s0, 0xff
	v_and_b32_sdwa v15, v8, s0 dst_sel:DWORD dst_unused:UNUSED_PAD src0_sel:WORD_1 src1_sel:DWORD
	v_lshrrev_b32_e32 v6, 16, v8
	v_cmp_ne_u16_e32 vcc, 0, v15
	s_and_saveexec_b64 s[0:1], vcc
	s_cbranch_execz .LBB577_657
; %bb.652:
	s_movk_i32 s2, 0x80
	v_cmp_ne_u16_e32 vcc, s2, v15
	v_bfrev_b32_e32 v7, 1
	s_and_saveexec_b64 s[2:3], vcc
	s_cbranch_execz .LBB577_656
; %bb.653:
	v_bfe_u32 v15, v8, 16, 7
	s_movk_i32 s7, 0x7f
	v_cmp_ne_u32_e32 vcc, s7, v15
	v_mov_b32_e32 v7, 0x7f800001
	s_and_saveexec_b64 s[8:9], vcc
	s_cbranch_execz .LBB577_655
; %bb.654:
	v_and_b32_e32 v17, 7, v6
	v_ffbh_u32_e32 v7, v17
	v_min_u32_e32 v19, 32, v7
	v_subrev_u32_e32 v7, 28, v19
	v_lshlrev_b64 v[6:7], v7, v[6:7]
	v_lshrrev_b32_e32 v18, 3, v15
	v_sub_u32_e32 v7, 29, v19
	v_and_b32_e32 v6, 7, v6
	v_cmp_gt_u32_e32 vcc, 8, v15
	v_mov_b32_e32 v15, 24
	v_cndmask_b32_e32 v7, v18, v7, vcc
	v_cndmask_b32_e32 v6, v17, v6, vcc
	v_lshlrev_b32_sdwa v15, v15, v8 dst_sel:DWORD dst_unused:UNUSED_PAD src0_sel:DWORD src1_sel:WORD_1
	v_bfrev_b32_e32 v17, 60
	v_lshlrev_b32_e32 v6, 20, v6
	v_and_b32_e32 v15, 0x80000000, v15
	v_lshl_add_u32 v7, v7, 23, v17
	v_or3_b32 v7, v15, v7, v6
.LBB577_655:
	s_or_b64 exec, exec, s[8:9]
.LBB577_656:
	s_or_b64 exec, exec, s[2:3]
.LBB577_657:
	s_or_b64 exec, exec, s[0:1]
	s_mov_b32 s0, 0xffffff
	v_cmp_lt_u32_e32 vcc, s0, v8
	v_mov_b32_e32 v17, 0
	v_mov_b32_e32 v18, 0
	s_and_saveexec_b64 s[0:1], vcc
	s_cbranch_execz .LBB577_663
; %bb.658:
	v_lshrrev_b32_e32 v6, 24, v8
	s_movk_i32 s2, 0x80
	v_cmp_ne_u32_e32 vcc, s2, v6
	v_bfrev_b32_e32 v18, 1
	s_and_saveexec_b64 s[2:3], vcc
	s_cbranch_execz .LBB577_662
; %bb.659:
	v_bfe_u32 v8, v8, 24, 7
	s_movk_i32 s7, 0x7f
	v_cmp_ne_u32_e32 vcc, s7, v8
	v_mov_b32_e32 v18, 0x7f800001
	s_and_saveexec_b64 s[8:9], vcc
	s_cbranch_execz .LBB577_661
; %bb.660:
	v_and_b32_e32 v15, 7, v6
	v_ffbh_u32_e32 v18, v15
	v_min_u32_e32 v21, 32, v18
	v_subrev_u32_e32 v18, 28, v21
	v_lshlrev_b64 v[18:19], v18, v[6:7]
	v_lshrrev_b32_e32 v20, 3, v8
	v_sub_u32_e32 v19, 29, v21
	v_and_b32_e32 v18, 7, v18
	v_cmp_gt_u32_e32 vcc, 8, v8
	v_cndmask_b32_e32 v8, v20, v19, vcc
	v_cndmask_b32_e32 v15, v15, v18, vcc
	v_lshlrev_b32_e32 v6, 24, v6
	v_bfrev_b32_e32 v18, 60
	v_lshlrev_b32_e32 v15, 20, v15
	v_and_b32_e32 v6, 0x80000000, v6
	v_lshl_add_u32 v8, v8, 23, v18
	v_or3_b32 v18, v6, v8, v15
.LBB577_661:
	s_or_b64 exec, exec, s[8:9]
.LBB577_662:
	s_or_b64 exec, exec, s[2:3]
.LBB577_663:
	s_or_b64 exec, exec, s[0:1]
	v_cmp_ne_u16_sdwa s[2:3], v9, v17 src0_sel:BYTE_0 src1_sel:DWORD
	s_and_saveexec_b64 s[0:1], s[2:3]
	s_cbranch_execz .LBB577_669
; %bb.664:
	s_movk_i32 s2, 0x80
	v_cmp_ne_u16_sdwa s[8:9], v9, s2 src0_sel:BYTE_0 src1_sel:DWORD
	v_bfrev_b32_e32 v17, 1
	s_and_saveexec_b64 s[2:3], s[8:9]
	s_cbranch_execz .LBB577_668
; %bb.665:
	s_movk_i32 s7, 0x7f
	v_and_b32_e32 v6, 0x7f, v9
	v_cmp_ne_u32_e32 vcc, s7, v6
	v_mov_b32_e32 v17, 0x7f800001
	s_and_saveexec_b64 s[8:9], vcc
	s_cbranch_execz .LBB577_667
; %bb.666:
	v_and_b32_e32 v15, 7, v9
	v_ffbh_u32_e32 v19, v15
	v_min_u32_e32 v19, 32, v19
	v_mov_b32_e32 v8, v9
	v_subrev_u32_e32 v20, 28, v19
	v_lshlrev_b64 v[20:21], v20, v[8:9]
	v_lshrrev_b32_e32 v17, 3, v6
	v_sub_u32_e32 v8, 29, v19
	v_and_b32_e32 v19, 7, v20
	v_cmp_gt_u32_e32 vcc, 8, v6
	v_cndmask_b32_e32 v6, v17, v8, vcc
	v_cndmask_b32_e32 v8, v15, v19, vcc
	v_lshlrev_b32_e32 v15, 24, v9
	v_bfrev_b32_e32 v17, 60
	v_lshlrev_b32_e32 v8, 20, v8
	v_and_b32_e32 v15, 0x80000000, v15
	v_lshl_add_u32 v6, v6, 23, v17
	v_or3_b32 v17, v15, v6, v8
.LBB577_667:
	s_or_b64 exec, exec, s[8:9]
.LBB577_668:
	s_or_b64 exec, exec, s[2:3]
.LBB577_669:
	s_or_b64 exec, exec, s[0:1]
	v_lshrrev_b16_e32 v6, 8, v9
	v_cmp_ne_u16_e32 vcc, 0, v6
	v_mov_b32_e32 v8, 0
	v_mov_b32_e32 v19, 0
	s_and_saveexec_b64 s[0:1], vcc
	s_cbranch_execz .LBB577_675
; %bb.670:
	s_movk_i32 s2, 0x80
	v_cmp_ne_u16_e32 vcc, s2, v6
	v_bfrev_b32_e32 v19, 1
	s_and_saveexec_b64 s[2:3], vcc
	s_cbranch_execz .LBB577_674
; %bb.671:
	s_movk_i32 s7, 0x7f
	v_and_b32_e32 v15, 0x7f, v6
	v_cmp_ne_u32_e32 vcc, s7, v15
	v_mov_b32_e32 v19, 0x7f800001
	s_and_saveexec_b64 s[8:9], vcc
	s_cbranch_execz .LBB577_673
; %bb.672:
	v_and_b32_e32 v19, 7, v6
	v_ffbh_u32_e32 v20, v19
	v_min_u32_e32 v24, 32, v20
	v_subrev_u32_e32 v20, 28, v24
	v_lshlrev_b64 v[20:21], v20, v[6:7]
	v_lshrrev_b32_e32 v23, 3, v15
	v_sub_u32_e32 v6, 29, v24
	v_and_b32_e32 v20, 7, v20
	v_cmp_gt_u32_e32 vcc, 8, v15
	v_cndmask_b32_e32 v6, v23, v6, vcc
	v_cndmask_b32_e32 v15, v19, v20, vcc
	v_lshlrev_b32_e32 v19, 16, v9
	v_bfrev_b32_e32 v20, 60
	v_lshlrev_b32_e32 v15, 20, v15
	v_and_b32_e32 v19, 0x80000000, v19
	v_lshl_add_u32 v6, v6, 23, v20
	v_or3_b32 v19, v19, v6, v15
.LBB577_673:
	s_or_b64 exec, exec, s[8:9]
.LBB577_674:
	s_or_b64 exec, exec, s[2:3]
.LBB577_675:
	s_or_b64 exec, exec, s[0:1]
	s_movk_i32 s0, 0xff
	v_and_b32_sdwa v15, v9, s0 dst_sel:DWORD dst_unused:UNUSED_PAD src0_sel:WORD_1 src1_sel:DWORD
	v_lshrrev_b32_e32 v6, 16, v9
	v_cmp_ne_u16_e32 vcc, 0, v15
	s_and_saveexec_b64 s[0:1], vcc
	s_cbranch_execz .LBB577_681
; %bb.676:
	s_movk_i32 s2, 0x80
	v_cmp_ne_u16_e32 vcc, s2, v15
	v_bfrev_b32_e32 v8, 1
	s_and_saveexec_b64 s[2:3], vcc
	s_cbranch_execz .LBB577_680
; %bb.677:
	v_bfe_u32 v15, v9, 16, 7
	s_movk_i32 s7, 0x7f
	v_cmp_ne_u32_e32 vcc, s7, v15
	v_mov_b32_e32 v8, 0x7f800001
	s_and_saveexec_b64 s[8:9], vcc
	s_cbranch_execz .LBB577_679
; %bb.678:
	v_and_b32_e32 v8, 7, v6
	v_ffbh_u32_e32 v20, v8
	v_min_u32_e32 v24, 32, v20
	v_subrev_u32_e32 v20, 28, v24
	v_lshlrev_b64 v[20:21], v20, v[6:7]
	v_lshrrev_b32_e32 v23, 3, v15
	v_sub_u32_e32 v6, 29, v24
	v_and_b32_e32 v20, 7, v20
	v_cmp_gt_u32_e32 vcc, 8, v15
	v_mov_b32_e32 v15, 24
	v_cndmask_b32_e32 v6, v23, v6, vcc
	v_cndmask_b32_e32 v8, v8, v20, vcc
	v_lshlrev_b32_sdwa v15, v15, v9 dst_sel:DWORD dst_unused:UNUSED_PAD src0_sel:DWORD src1_sel:WORD_1
	v_bfrev_b32_e32 v20, 60
	v_lshlrev_b32_e32 v8, 20, v8
	v_and_b32_e32 v15, 0x80000000, v15
	v_lshl_add_u32 v6, v6, 23, v20
	v_or3_b32 v8, v15, v6, v8
.LBB577_679:
	s_or_b64 exec, exec, s[8:9]
.LBB577_680:
	s_or_b64 exec, exec, s[2:3]
.LBB577_681:
	s_or_b64 exec, exec, s[0:1]
	s_mov_b32 s0, 0xffffff
	v_cmp_lt_u32_e32 vcc, s0, v9
	v_mov_b32_e32 v15, 0
	v_mov_b32_e32 v20, 0
	s_and_saveexec_b64 s[0:1], vcc
	s_cbranch_execz .LBB577_687
; %bb.682:
	v_lshrrev_b32_e32 v6, 24, v9
	s_movk_i32 s2, 0x80
	v_cmp_ne_u32_e32 vcc, s2, v6
	v_bfrev_b32_e32 v20, 1
	s_and_saveexec_b64 s[2:3], vcc
	s_cbranch_execz .LBB577_686
; %bb.683:
	v_bfe_u32 v9, v9, 24, 7
	s_movk_i32 s7, 0x7f
	v_cmp_ne_u32_e32 vcc, s7, v9
	v_mov_b32_e32 v20, 0x7f800001
	s_and_saveexec_b64 s[8:9], vcc
	s_cbranch_execz .LBB577_685
; %bb.684:
	v_and_b32_e32 v23, 7, v6
	v_ffbh_u32_e32 v20, v23
	v_min_u32_e32 v25, 32, v20
	v_subrev_u32_e32 v20, 28, v25
	v_lshlrev_b64 v[20:21], v20, v[6:7]
	v_lshrrev_b32_e32 v24, 3, v9
	v_sub_u32_e32 v21, 29, v25
	v_and_b32_e32 v20, 7, v20
	v_cmp_gt_u32_e32 vcc, 8, v9
	v_cndmask_b32_e32 v9, v24, v21, vcc
	v_cndmask_b32_e32 v20, v23, v20, vcc
	v_lshlrev_b32_e32 v6, 24, v6
	v_bfrev_b32_e32 v21, 60
	v_lshlrev_b32_e32 v20, 20, v20
	v_and_b32_e32 v6, 0x80000000, v6
	v_lshl_add_u32 v9, v9, 23, v21
	v_or3_b32 v20, v6, v9, v20
.LBB577_685:
	s_or_b64 exec, exec, s[8:9]
.LBB577_686:
	s_or_b64 exec, exec, s[2:3]
.LBB577_687:
	s_or_b64 exec, exec, s[0:1]
	v_cvt_pkrtz_f16_f32 v6, v14, v16
	v_cvt_pkrtz_f16_f32 v7, v7, v18
	ds_read_b128 v[24:27], v22 offset:4112
	s_waitcnt vmcnt(0)
	v_cmp_ne_u16_sdwa s[2:3], v2, v15 src0_sel:BYTE_0 src1_sel:DWORD
	s_waitcnt lgkmcnt(0)
	v_mfma_f32_16x16x16f16 v[10:13], v[6:7], v[24:25], v[10:13]
	v_cvt_pkrtz_f16_f32 v6, v17, v19
	v_cvt_pkrtz_f16_f32 v7, v8, v20
	s_nop 1
	v_mfma_f32_16x16x16f16 v[6:9], v[6:7], v[26:27], v[10:13]
	s_and_saveexec_b64 s[0:1], s[2:3]
	s_cbranch_execz .LBB577_693
; %bb.688:
	s_movk_i32 s2, 0x80
	v_cmp_ne_u16_sdwa s[8:9], v2, s2 src0_sel:BYTE_0 src1_sel:DWORD
	v_bfrev_b32_e32 v15, 1
	s_and_saveexec_b64 s[2:3], s[8:9]
	s_cbranch_execz .LBB577_692
; %bb.689:
	s_movk_i32 s7, 0x7f
	v_and_b32_e32 v10, 0x7f, v2
	v_cmp_ne_u32_e32 vcc, s7, v10
	v_mov_b32_e32 v15, 0x7f800001
	s_and_saveexec_b64 s[8:9], vcc
	s_cbranch_execz .LBB577_691
; %bb.690:
	v_and_b32_e32 v11, 7, v2
	v_ffbh_u32_e32 v12, v11
	v_min_u32_e32 v15, 32, v12
	v_subrev_u32_e32 v12, 28, v15
	v_lshlrev_b64 v[12:13], v12, v[2:3]
	v_lshrrev_b32_e32 v14, 3, v10
	v_sub_u32_e32 v13, 29, v15
	v_and_b32_e32 v12, 7, v12
	v_cmp_gt_u32_e32 vcc, 8, v10
	v_cndmask_b32_e32 v10, v14, v13, vcc
	v_cndmask_b32_e32 v11, v11, v12, vcc
	v_lshlrev_b32_e32 v12, 24, v2
	v_bfrev_b32_e32 v13, 60
	v_lshlrev_b32_e32 v11, 20, v11
	v_and_b32_e32 v12, 0x80000000, v12
	v_lshl_add_u32 v10, v10, 23, v13
	v_or3_b32 v15, v12, v10, v11
.LBB577_691:
	s_or_b64 exec, exec, s[8:9]
.LBB577_692:
	s_or_b64 exec, exec, s[2:3]
.LBB577_693:
	s_or_b64 exec, exec, s[0:1]
	s_nop 3
	v_lshrrev_b16_e32 v10, 8, v2
	v_cmp_ne_u16_e32 vcc, 0, v10
	v_mov_b32_e32 v11, 0
	v_mov_b32_e32 v12, 0
	s_and_saveexec_b64 s[0:1], vcc
	s_cbranch_execz .LBB577_699
; %bb.694:
	s_movk_i32 s2, 0x80
	v_cmp_ne_u16_e32 vcc, s2, v10
	v_bfrev_b32_e32 v12, 1
	s_and_saveexec_b64 s[2:3], vcc
	s_cbranch_execz .LBB577_698
; %bb.695:
	s_movk_i32 s7, 0x7f
	v_and_b32_e32 v13, 0x7f, v10
	v_cmp_ne_u32_e32 vcc, s7, v13
	v_mov_b32_e32 v12, 0x7f800001
	s_and_saveexec_b64 s[8:9], vcc
	s_cbranch_execz .LBB577_697
; %bb.696:
	v_and_b32_e32 v12, 7, v10
	v_ffbh_u32_e32 v16, v12
	v_min_u32_e32 v18, 32, v16
	v_subrev_u32_e32 v16, 28, v18
	v_lshlrev_b64 v[16:17], v16, v[10:11]
	v_lshrrev_b32_e32 v14, 3, v13
	v_sub_u32_e32 v10, 29, v18
	v_and_b32_e32 v16, 7, v16
	v_cmp_gt_u32_e32 vcc, 8, v13
	v_cndmask_b32_e32 v10, v14, v10, vcc
	v_cndmask_b32_e32 v12, v12, v16, vcc
	v_lshlrev_b32_e32 v13, 16, v2
	v_bfrev_b32_e32 v14, 60
	v_lshlrev_b32_e32 v12, 20, v12
	v_and_b32_e32 v13, 0x80000000, v13
	v_lshl_add_u32 v10, v10, 23, v14
	v_or3_b32 v12, v13, v10, v12
.LBB577_697:
	s_or_b64 exec, exec, s[8:9]
.LBB577_698:
	s_or_b64 exec, exec, s[2:3]
.LBB577_699:
	s_or_b64 exec, exec, s[0:1]
	s_movk_i32 s0, 0xff
	v_and_b32_sdwa v13, v2, s0 dst_sel:DWORD dst_unused:UNUSED_PAD src0_sel:WORD_1 src1_sel:DWORD
	v_lshrrev_b32_e32 v10, 16, v2
	v_cmp_ne_u16_e32 vcc, 0, v13
	s_and_saveexec_b64 s[0:1], vcc
	s_cbranch_execz .LBB577_705
; %bb.700:
	s_movk_i32 s2, 0x80
	v_cmp_ne_u16_e32 vcc, s2, v13
	v_bfrev_b32_e32 v11, 1
	s_and_saveexec_b64 s[2:3], vcc
	s_cbranch_execz .LBB577_704
; %bb.701:
	v_bfe_u32 v13, v2, 16, 7
	s_movk_i32 s7, 0x7f
	v_cmp_ne_u32_e32 vcc, s7, v13
	v_mov_b32_e32 v11, 0x7f800001
	s_and_saveexec_b64 s[8:9], vcc
	s_cbranch_execz .LBB577_703
; %bb.702:
	v_and_b32_e32 v14, 7, v10
	v_ffbh_u32_e32 v11, v14
	v_min_u32_e32 v17, 32, v11
	v_subrev_u32_e32 v11, 28, v17
	v_lshlrev_b64 v[10:11], v11, v[10:11]
	v_lshrrev_b32_e32 v16, 3, v13
	v_sub_u32_e32 v11, 29, v17
	v_and_b32_e32 v10, 7, v10
	v_cmp_gt_u32_e32 vcc, 8, v13
	v_mov_b32_e32 v13, 24
	v_cndmask_b32_e32 v11, v16, v11, vcc
	v_cndmask_b32_e32 v10, v14, v10, vcc
	v_lshlrev_b32_sdwa v13, v13, v2 dst_sel:DWORD dst_unused:UNUSED_PAD src0_sel:DWORD src1_sel:WORD_1
	v_bfrev_b32_e32 v14, 60
	v_lshlrev_b32_e32 v10, 20, v10
	v_and_b32_e32 v13, 0x80000000, v13
	v_lshl_add_u32 v11, v11, 23, v14
	v_or3_b32 v11, v13, v11, v10
.LBB577_703:
	s_or_b64 exec, exec, s[8:9]
.LBB577_704:
	s_or_b64 exec, exec, s[2:3]
.LBB577_705:
	s_or_b64 exec, exec, s[0:1]
	s_mov_b32 s0, 0xffffff
	v_cmp_lt_u32_e32 vcc, s0, v2
	v_mov_b32_e32 v13, 0
	v_mov_b32_e32 v14, 0
	s_and_saveexec_b64 s[0:1], vcc
	s_cbranch_execz .LBB577_711
; %bb.706:
	v_lshrrev_b32_e32 v10, 24, v2
	s_movk_i32 s2, 0x80
	v_cmp_ne_u32_e32 vcc, s2, v10
	v_bfrev_b32_e32 v14, 1
	s_and_saveexec_b64 s[2:3], vcc
	s_cbranch_execz .LBB577_710
; %bb.707:
	v_bfe_u32 v2, v2, 24, 7
	s_movk_i32 s7, 0x7f
	v_cmp_ne_u32_e32 vcc, s7, v2
	v_mov_b32_e32 v14, 0x7f800001
	s_and_saveexec_b64 s[8:9], vcc
	s_cbranch_execz .LBB577_709
; %bb.708:
	v_and_b32_e32 v14, 7, v10
	v_ffbh_u32_e32 v16, v14
	v_min_u32_e32 v19, 32, v16
	v_subrev_u32_e32 v16, 28, v19
	v_lshlrev_b64 v[16:17], v16, v[10:11]
	v_lshrrev_b32_e32 v18, 3, v2
	v_sub_u32_e32 v17, 29, v19
	v_and_b32_e32 v16, 7, v16
	v_cmp_gt_u32_e32 vcc, 8, v2
	v_cndmask_b32_e32 v2, v18, v17, vcc
	v_cndmask_b32_e32 v14, v14, v16, vcc
	v_lshlrev_b32_e32 v10, 24, v10
	v_bfrev_b32_e32 v16, 60
	v_lshlrev_b32_e32 v14, 20, v14
	v_and_b32_e32 v10, 0x80000000, v10
	v_lshl_add_u32 v2, v2, 23, v16
	v_or3_b32 v14, v10, v2, v14
.LBB577_709:
	s_or_b64 exec, exec, s[8:9]
.LBB577_710:
	s_or_b64 exec, exec, s[2:3]
.LBB577_711:
	s_or_b64 exec, exec, s[0:1]
	v_cmp_ne_u16_sdwa s[2:3], v3, v13 src0_sel:BYTE_0 src1_sel:DWORD
	s_and_saveexec_b64 s[0:1], s[2:3]
	s_cbranch_execz .LBB577_717
; %bb.712:
	s_movk_i32 s2, 0x80
	v_cmp_ne_u16_sdwa s[8:9], v3, s2 src0_sel:BYTE_0 src1_sel:DWORD
	v_bfrev_b32_e32 v13, 1
	s_and_saveexec_b64 s[2:3], s[8:9]
	s_cbranch_execz .LBB577_716
; %bb.713:
	s_movk_i32 s7, 0x7f
	v_and_b32_e32 v2, 0x7f, v3
	v_cmp_ne_u32_e32 vcc, s7, v2
	v_mov_b32_e32 v13, 0x7f800001
	s_and_saveexec_b64 s[8:9], vcc
	s_cbranch_execz .LBB577_715
; %bb.714:
	v_and_b32_e32 v13, 7, v3
	v_ffbh_u32_e32 v16, v13
	v_min_u32_e32 v19, 32, v16
	v_mov_b32_e32 v10, v3
	v_subrev_u32_e32 v16, 28, v19
	v_lshlrev_b64 v[16:17], v16, v[10:11]
	v_lshrrev_b32_e32 v18, 3, v2
	v_sub_u32_e32 v10, 29, v19
	v_and_b32_e32 v16, 7, v16
	v_cmp_gt_u32_e32 vcc, 8, v2
	v_cndmask_b32_e32 v2, v18, v10, vcc
	v_cndmask_b32_e32 v10, v13, v16, vcc
	v_lshlrev_b32_e32 v13, 24, v3
	v_bfrev_b32_e32 v16, 60
	v_lshlrev_b32_e32 v10, 20, v10
	v_and_b32_e32 v13, 0x80000000, v13
	v_lshl_add_u32 v2, v2, 23, v16
	v_or3_b32 v13, v13, v2, v10
.LBB577_715:
	s_or_b64 exec, exec, s[8:9]
.LBB577_716:
	s_or_b64 exec, exec, s[2:3]
.LBB577_717:
	s_or_b64 exec, exec, s[0:1]
	v_lshrrev_b16_e32 v2, 8, v3
	v_cmp_ne_u16_e32 vcc, 0, v2
	v_mov_b32_e32 v16, 0
	v_mov_b32_e32 v17, 0
	s_and_saveexec_b64 s[0:1], vcc
	s_cbranch_execz .LBB577_723
; %bb.718:
	s_movk_i32 s2, 0x80
	v_cmp_ne_u16_e32 vcc, s2, v2
	v_bfrev_b32_e32 v17, 1
	s_and_saveexec_b64 s[2:3], vcc
	s_cbranch_execz .LBB577_722
; %bb.719:
	s_movk_i32 s7, 0x7f
	v_and_b32_e32 v10, 0x7f, v2
	v_cmp_ne_u32_e32 vcc, s7, v10
	v_mov_b32_e32 v17, 0x7f800001
	s_and_saveexec_b64 s[8:9], vcc
	s_cbranch_execz .LBB577_721
; %bb.720:
	v_and_b32_e32 v17, 7, v2
	v_ffbh_u32_e32 v18, v17
	v_min_u32_e32 v21, 32, v18
	v_subrev_u32_e32 v18, 28, v21
	v_lshlrev_b64 v[18:19], v18, v[2:3]
	v_lshrrev_b32_e32 v20, 3, v10
	v_sub_u32_e32 v2, 29, v21
	v_and_b32_e32 v18, 7, v18
	v_cmp_gt_u32_e32 vcc, 8, v10
	v_cndmask_b32_e32 v2, v20, v2, vcc
	v_cndmask_b32_e32 v10, v17, v18, vcc
	v_lshlrev_b32_e32 v17, 16, v3
	v_bfrev_b32_e32 v18, 60
	v_lshlrev_b32_e32 v10, 20, v10
	v_and_b32_e32 v17, 0x80000000, v17
	v_lshl_add_u32 v2, v2, 23, v18
	v_or3_b32 v17, v17, v2, v10
.LBB577_721:
	s_or_b64 exec, exec, s[8:9]
.LBB577_722:
	s_or_b64 exec, exec, s[2:3]
.LBB577_723:
	s_or_b64 exec, exec, s[0:1]
	s_movk_i32 s0, 0xff
	v_and_b32_sdwa v10, v3, s0 dst_sel:DWORD dst_unused:UNUSED_PAD src0_sel:WORD_1 src1_sel:DWORD
	v_lshrrev_b32_e32 v2, 16, v3
	v_cmp_ne_u16_e32 vcc, 0, v10
	s_and_saveexec_b64 s[0:1], vcc
	s_cbranch_execz .LBB577_729
; %bb.724:
	s_movk_i32 s2, 0x80
	v_cmp_ne_u16_e32 vcc, s2, v10
	v_bfrev_b32_e32 v16, 1
	s_and_saveexec_b64 s[2:3], vcc
	s_cbranch_execz .LBB577_728
; %bb.725:
	v_bfe_u32 v10, v3, 16, 7
	s_movk_i32 s7, 0x7f
	v_cmp_ne_u32_e32 vcc, s7, v10
	v_mov_b32_e32 v16, 0x7f800001
	s_and_saveexec_b64 s[8:9], vcc
	s_cbranch_execz .LBB577_727
; %bb.726:
	v_and_b32_e32 v16, 7, v2
	v_ffbh_u32_e32 v18, v16
	v_min_u32_e32 v21, 32, v18
	v_subrev_u32_e32 v18, 28, v21
	v_lshlrev_b64 v[18:19], v18, v[2:3]
	v_and_b32_e32 v18, 7, v18
	v_cmp_gt_u32_e32 vcc, 8, v10
	v_lshrrev_b32_e32 v20, 3, v10
	v_sub_u32_e32 v2, 29, v21
	v_cndmask_b32_e32 v10, v16, v18, vcc
	v_mov_b32_e32 v16, 24
	v_cndmask_b32_e32 v2, v20, v2, vcc
	v_lshlrev_b32_sdwa v16, v16, v3 dst_sel:DWORD dst_unused:UNUSED_PAD src0_sel:DWORD src1_sel:WORD_1
	v_bfrev_b32_e32 v18, 60
	v_lshlrev_b32_e32 v10, 20, v10
	v_and_b32_e32 v16, 0x80000000, v16
	v_lshl_add_u32 v2, v2, 23, v18
	v_or3_b32 v16, v16, v2, v10
.LBB577_727:
	s_or_b64 exec, exec, s[8:9]
.LBB577_728:
	s_or_b64 exec, exec, s[2:3]
.LBB577_729:
	s_or_b64 exec, exec, s[0:1]
	s_mov_b32 s0, 0xffffff
	v_cmp_lt_u32_e32 vcc, s0, v3
	v_mov_b32_e32 v10, 0
	v_mov_b32_e32 v18, 0
	s_and_saveexec_b64 s[0:1], vcc
	s_cbranch_execz .LBB577_735
; %bb.730:
	v_lshrrev_b32_e32 v2, 24, v3
	s_movk_i32 s2, 0x80
	v_cmp_ne_u32_e32 vcc, s2, v2
	v_bfrev_b32_e32 v18, 1
	s_and_saveexec_b64 s[2:3], vcc
	s_cbranch_execz .LBB577_734
; %bb.731:
	v_bfe_u32 v3, v3, 24, 7
	s_movk_i32 s7, 0x7f
	v_cmp_ne_u32_e32 vcc, s7, v3
	v_mov_b32_e32 v18, 0x7f800001
	s_and_saveexec_b64 s[8:9], vcc
	s_cbranch_execz .LBB577_733
; %bb.732:
	v_and_b32_e32 v20, 7, v2
	v_ffbh_u32_e32 v18, v20
	v_min_u32_e32 v23, 32, v18
	v_subrev_u32_e32 v18, 28, v23
	v_lshlrev_b64 v[18:19], v18, v[2:3]
	v_lshrrev_b32_e32 v21, 3, v3
	v_sub_u32_e32 v19, 29, v23
	v_and_b32_e32 v18, 7, v18
	v_cmp_gt_u32_e32 vcc, 8, v3
	v_cndmask_b32_e32 v3, v21, v19, vcc
	v_cndmask_b32_e32 v18, v20, v18, vcc
	v_lshlrev_b32_e32 v2, 24, v2
	v_bfrev_b32_e32 v19, 60
	v_lshlrev_b32_e32 v18, 20, v18
	v_and_b32_e32 v2, 0x80000000, v2
	v_lshl_add_u32 v3, v3, 23, v19
	v_or3_b32 v18, v2, v3, v18
.LBB577_733:
	s_or_b64 exec, exec, s[8:9]
.LBB577_734:
	s_or_b64 exec, exec, s[2:3]
.LBB577_735:
	s_or_b64 exec, exec, s[0:1]
	v_cvt_pkrtz_f16_f32 v2, v15, v12
	v_cvt_pkrtz_f16_f32 v3, v11, v14
	ds_read_b128 v[24:27], v22 offset:6144
	v_cmp_ne_u16_sdwa s[2:3], v4, v10 src0_sel:BYTE_0 src1_sel:DWORD
	s_waitcnt lgkmcnt(0)
	v_mfma_f32_16x16x16f16 v[6:9], v[2:3], v[24:25], v[6:9]
	v_cvt_pkrtz_f16_f32 v2, v13, v17
	v_cvt_pkrtz_f16_f32 v3, v16, v18
	s_nop 1
	v_mfma_f32_16x16x16f16 v[6:9], v[2:3], v[26:27], v[6:9]
	s_and_saveexec_b64 s[0:1], s[2:3]
	s_cbranch_execz .LBB577_741
; %bb.736:
	s_movk_i32 s2, 0x80
	v_cmp_ne_u16_sdwa s[8:9], v4, s2 src0_sel:BYTE_0 src1_sel:DWORD
	v_bfrev_b32_e32 v10, 1
	s_and_saveexec_b64 s[2:3], s[8:9]
	s_cbranch_execz .LBB577_740
; %bb.737:
	s_movk_i32 s7, 0x7f
	v_and_b32_e32 v2, 0x7f, v4
	v_cmp_ne_u32_e32 vcc, s7, v2
	v_mov_b32_e32 v10, 0x7f800001
	s_and_saveexec_b64 s[8:9], vcc
	s_cbranch_execz .LBB577_739
; %bb.738:
	v_and_b32_e32 v3, 7, v4
	v_ffbh_u32_e32 v10, v3
	v_min_u32_e32 v13, 32, v10
	v_subrev_u32_e32 v10, 28, v13
	v_lshlrev_b64 v[10:11], v10, v[4:5]
	v_lshrrev_b32_e32 v12, 3, v2
	v_sub_u32_e32 v11, 29, v13
	v_and_b32_e32 v10, 7, v10
	v_cmp_gt_u32_e32 vcc, 8, v2
	v_cndmask_b32_e32 v2, v12, v11, vcc
	v_cndmask_b32_e32 v3, v3, v10, vcc
	v_lshlrev_b32_e32 v10, 24, v4
	v_bfrev_b32_e32 v11, 60
	v_lshlrev_b32_e32 v3, 20, v3
	v_and_b32_e32 v10, 0x80000000, v10
	v_lshl_add_u32 v2, v2, 23, v11
	v_or3_b32 v10, v10, v2, v3
.LBB577_739:
	s_or_b64 exec, exec, s[8:9]
.LBB577_740:
	s_or_b64 exec, exec, s[2:3]
.LBB577_741:
	s_or_b64 exec, exec, s[0:1]
	v_lshrrev_b16_e32 v2, 8, v4
	v_cmp_ne_u16_e32 vcc, 0, v2
	v_mov_b32_e32 v3, 0
	v_mov_b32_e32 v11, 0
	s_and_saveexec_b64 s[0:1], vcc
	s_cbranch_execz .LBB577_747
; %bb.742:
	s_movk_i32 s2, 0x80
	v_cmp_ne_u16_e32 vcc, s2, v2
	v_bfrev_b32_e32 v11, 1
	s_and_saveexec_b64 s[2:3], vcc
	s_cbranch_execz .LBB577_746
; %bb.743:
	s_movk_i32 s7, 0x7f
	v_and_b32_e32 v12, 0x7f, v2
	v_cmp_ne_u32_e32 vcc, s7, v12
	v_mov_b32_e32 v11, 0x7f800001
	s_and_saveexec_b64 s[8:9], vcc
	s_cbranch_execz .LBB577_745
; %bb.744:
	v_and_b32_e32 v11, 7, v2
	v_ffbh_u32_e32 v14, v11
	v_min_u32_e32 v16, 32, v14
	v_subrev_u32_e32 v14, 28, v16
	v_lshlrev_b64 v[14:15], v14, v[2:3]
	v_lshrrev_b32_e32 v13, 3, v12
	v_sub_u32_e32 v2, 29, v16
	v_and_b32_e32 v14, 7, v14
	v_cmp_gt_u32_e32 vcc, 8, v12
	v_cndmask_b32_e32 v2, v13, v2, vcc
	v_cndmask_b32_e32 v11, v11, v14, vcc
	v_lshlrev_b32_e32 v12, 16, v4
	v_bfrev_b32_e32 v13, 60
	v_lshlrev_b32_e32 v11, 20, v11
	v_and_b32_e32 v12, 0x80000000, v12
	v_lshl_add_u32 v2, v2, 23, v13
	v_or3_b32 v11, v12, v2, v11
.LBB577_745:
	s_or_b64 exec, exec, s[8:9]
.LBB577_746:
	s_or_b64 exec, exec, s[2:3]
.LBB577_747:
	s_or_b64 exec, exec, s[0:1]
	s_movk_i32 s0, 0xff
	v_and_b32_sdwa v12, v4, s0 dst_sel:DWORD dst_unused:UNUSED_PAD src0_sel:WORD_1 src1_sel:DWORD
	v_lshrrev_b32_e32 v2, 16, v4
	v_cmp_ne_u16_e32 vcc, 0, v12
	s_and_saveexec_b64 s[0:1], vcc
	s_cbranch_execz .LBB577_753
; %bb.748:
	s_movk_i32 s2, 0x80
	v_cmp_ne_u16_e32 vcc, s2, v12
	v_bfrev_b32_e32 v3, 1
	s_and_saveexec_b64 s[2:3], vcc
	s_cbranch_execz .LBB577_752
; %bb.749:
	v_bfe_u32 v12, v4, 16, 7
	s_movk_i32 s7, 0x7f
	v_cmp_ne_u32_e32 vcc, s7, v12
	v_mov_b32_e32 v3, 0x7f800001
	s_and_saveexec_b64 s[8:9], vcc
	s_cbranch_execz .LBB577_751
; %bb.750:
	v_and_b32_e32 v13, 7, v2
	v_ffbh_u32_e32 v3, v13
	v_min_u32_e32 v15, 32, v3
	v_subrev_u32_e32 v3, 28, v15
	v_lshlrev_b64 v[2:3], v3, v[2:3]
	v_lshrrev_b32_e32 v14, 3, v12
	v_sub_u32_e32 v3, 29, v15
	v_and_b32_e32 v2, 7, v2
	v_cmp_gt_u32_e32 vcc, 8, v12
	v_mov_b32_e32 v12, 24
	v_cndmask_b32_e32 v3, v14, v3, vcc
	v_cndmask_b32_e32 v2, v13, v2, vcc
	v_lshlrev_b32_sdwa v12, v12, v4 dst_sel:DWORD dst_unused:UNUSED_PAD src0_sel:DWORD src1_sel:WORD_1
	v_bfrev_b32_e32 v13, 60
	v_lshlrev_b32_e32 v2, 20, v2
	v_and_b32_e32 v12, 0x80000000, v12
	v_lshl_add_u32 v3, v3, 23, v13
	v_or3_b32 v3, v12, v3, v2
.LBB577_751:
	s_or_b64 exec, exec, s[8:9]
.LBB577_752:
	s_or_b64 exec, exec, s[2:3]
.LBB577_753:
	s_or_b64 exec, exec, s[0:1]
	s_mov_b32 s0, 0xffffff
	v_cmp_lt_u32_e32 vcc, s0, v4
	v_mov_b32_e32 v12, 0
	v_mov_b32_e32 v13, 0
	s_and_saveexec_b64 s[0:1], vcc
	s_cbranch_execz .LBB577_759
; %bb.754:
	v_lshrrev_b32_e32 v2, 24, v4
	s_movk_i32 s2, 0x80
	v_cmp_ne_u32_e32 vcc, s2, v2
	v_bfrev_b32_e32 v13, 1
	s_and_saveexec_b64 s[2:3], vcc
	s_cbranch_execz .LBB577_758
; %bb.755:
	v_bfe_u32 v4, v4, 24, 7
	s_movk_i32 s7, 0x7f
	v_cmp_ne_u32_e32 vcc, s7, v4
	v_mov_b32_e32 v13, 0x7f800001
	s_and_saveexec_b64 s[8:9], vcc
	s_cbranch_execz .LBB577_757
; %bb.756:
	v_and_b32_e32 v13, 7, v2
	v_ffbh_u32_e32 v14, v13
	v_min_u32_e32 v17, 32, v14
	v_subrev_u32_e32 v14, 28, v17
	v_lshlrev_b64 v[14:15], v14, v[2:3]
	v_lshrrev_b32_e32 v16, 3, v4
	v_sub_u32_e32 v15, 29, v17
	v_and_b32_e32 v14, 7, v14
	v_cmp_gt_u32_e32 vcc, 8, v4
	v_cndmask_b32_e32 v4, v16, v15, vcc
	v_cndmask_b32_e32 v13, v13, v14, vcc
	v_lshlrev_b32_e32 v2, 24, v2
	v_bfrev_b32_e32 v14, 60
	v_lshlrev_b32_e32 v13, 20, v13
	v_and_b32_e32 v2, 0x80000000, v2
	v_lshl_add_u32 v4, v4, 23, v14
	v_or3_b32 v13, v2, v4, v13
.LBB577_757:
	s_or_b64 exec, exec, s[8:9]
.LBB577_758:
	s_or_b64 exec, exec, s[2:3]
.LBB577_759:
	s_or_b64 exec, exec, s[0:1]
	v_cmp_ne_u16_sdwa s[2:3], v5, v12 src0_sel:BYTE_0 src1_sel:DWORD
	s_and_saveexec_b64 s[0:1], s[2:3]
	s_cbranch_execz .LBB577_765
; %bb.760:
	s_movk_i32 s2, 0x80
	v_cmp_ne_u16_sdwa s[8:9], v5, s2 src0_sel:BYTE_0 src1_sel:DWORD
	v_bfrev_b32_e32 v12, 1
	s_and_saveexec_b64 s[2:3], s[8:9]
	s_cbranch_execz .LBB577_764
; %bb.761:
	s_movk_i32 s7, 0x7f
	v_and_b32_e32 v2, 0x7f, v5
	v_cmp_ne_u32_e32 vcc, s7, v2
	v_mov_b32_e32 v12, 0x7f800001
	s_and_saveexec_b64 s[8:9], vcc
	s_cbranch_execz .LBB577_763
; %bb.762:
	v_and_b32_e32 v12, 7, v5
	v_ffbh_u32_e32 v14, v12
	v_min_u32_e32 v17, 32, v14
	v_mov_b32_e32 v4, v5
	v_subrev_u32_e32 v14, 28, v17
	v_lshlrev_b64 v[14:15], v14, v[4:5]
	v_lshrrev_b32_e32 v16, 3, v2
	v_sub_u32_e32 v4, 29, v17
	v_and_b32_e32 v14, 7, v14
	v_cmp_gt_u32_e32 vcc, 8, v2
	v_cndmask_b32_e32 v2, v16, v4, vcc
	v_cndmask_b32_e32 v4, v12, v14, vcc
	v_lshlrev_b32_e32 v12, 24, v5
	v_bfrev_b32_e32 v14, 60
	v_lshlrev_b32_e32 v4, 20, v4
	v_and_b32_e32 v12, 0x80000000, v12
	v_lshl_add_u32 v2, v2, 23, v14
	v_or3_b32 v12, v12, v2, v4
.LBB577_763:
	s_or_b64 exec, exec, s[8:9]
.LBB577_764:
	s_or_b64 exec, exec, s[2:3]
.LBB577_765:
	s_or_b64 exec, exec, s[0:1]
	v_lshrrev_b16_e32 v2, 8, v5
	v_cmp_ne_u16_e32 vcc, 0, v2
	v_mov_b32_e32 v4, 0
	v_mov_b32_e32 v14, 0
	s_and_saveexec_b64 s[0:1], vcc
	s_cbranch_execz .LBB577_771
; %bb.766:
	s_movk_i32 s2, 0x80
	v_cmp_ne_u16_e32 vcc, s2, v2
	v_bfrev_b32_e32 v14, 1
	s_and_saveexec_b64 s[2:3], vcc
	s_cbranch_execz .LBB577_770
; %bb.767:
	s_movk_i32 s7, 0x7f
	v_and_b32_e32 v15, 0x7f, v2
	v_cmp_ne_u32_e32 vcc, s7, v15
	v_mov_b32_e32 v14, 0x7f800001
	s_and_saveexec_b64 s[8:9], vcc
	s_cbranch_execz .LBB577_769
; %bb.768:
	v_and_b32_e32 v14, 7, v2
	v_ffbh_u32_e32 v16, v14
	v_min_u32_e32 v19, 32, v16
	v_subrev_u32_e32 v16, 28, v19
	v_lshlrev_b64 v[16:17], v16, v[2:3]
	v_lshrrev_b32_e32 v18, 3, v15
	v_sub_u32_e32 v2, 29, v19
	v_and_b32_e32 v16, 7, v16
	v_cmp_gt_u32_e32 vcc, 8, v15
	v_cndmask_b32_e32 v2, v18, v2, vcc
	v_cndmask_b32_e32 v14, v14, v16, vcc
	v_lshlrev_b32_e32 v15, 16, v5
	v_bfrev_b32_e32 v16, 60
	v_lshlrev_b32_e32 v14, 20, v14
	v_and_b32_e32 v15, 0x80000000, v15
	v_lshl_add_u32 v2, v2, 23, v16
	v_or3_b32 v14, v15, v2, v14
.LBB577_769:
	s_or_b64 exec, exec, s[8:9]
.LBB577_770:
	s_or_b64 exec, exec, s[2:3]
.LBB577_771:
	s_or_b64 exec, exec, s[0:1]
	s_movk_i32 s0, 0xff
	v_and_b32_sdwa v15, v5, s0 dst_sel:DWORD dst_unused:UNUSED_PAD src0_sel:WORD_1 src1_sel:DWORD
	v_lshrrev_b32_e32 v2, 16, v5
	v_cmp_ne_u16_e32 vcc, 0, v15
	s_and_saveexec_b64 s[0:1], vcc
	s_cbranch_execz .LBB577_777
; %bb.772:
	s_movk_i32 s2, 0x80
	v_cmp_ne_u16_e32 vcc, s2, v15
	v_bfrev_b32_e32 v4, 1
	s_and_saveexec_b64 s[2:3], vcc
	s_cbranch_execz .LBB577_776
; %bb.773:
	v_bfe_u32 v15, v5, 16, 7
	s_movk_i32 s7, 0x7f
	v_cmp_ne_u32_e32 vcc, s7, v15
	v_mov_b32_e32 v4, 0x7f800001
	s_and_saveexec_b64 s[8:9], vcc
	s_cbranch_execz .LBB577_775
; %bb.774:
	v_and_b32_e32 v4, 7, v2
	v_ffbh_u32_e32 v16, v4
	v_min_u32_e32 v19, 32, v16
	v_subrev_u32_e32 v16, 28, v19
	v_lshlrev_b64 v[16:17], v16, v[2:3]
	v_lshrrev_b32_e32 v18, 3, v15
	v_sub_u32_e32 v2, 29, v19
	v_and_b32_e32 v16, 7, v16
	v_cmp_gt_u32_e32 vcc, 8, v15
	v_mov_b32_e32 v15, 24
	v_cndmask_b32_e32 v2, v18, v2, vcc
	v_cndmask_b32_e32 v4, v4, v16, vcc
	v_lshlrev_b32_sdwa v15, v15, v5 dst_sel:DWORD dst_unused:UNUSED_PAD src0_sel:DWORD src1_sel:WORD_1
	v_bfrev_b32_e32 v16, 60
	v_lshlrev_b32_e32 v4, 20, v4
	v_and_b32_e32 v15, 0x80000000, v15
	v_lshl_add_u32 v2, v2, 23, v16
	v_or3_b32 v4, v15, v2, v4
.LBB577_775:
	s_or_b64 exec, exec, s[8:9]
.LBB577_776:
	s_or_b64 exec, exec, s[2:3]
.LBB577_777:
	s_or_b64 exec, exec, s[0:1]
	s_mov_b32 s0, 0xffffff
	v_cmp_lt_u32_e32 vcc, s0, v5
	v_mov_b32_e32 v15, 0
	s_and_saveexec_b64 s[0:1], vcc
	s_cbranch_execz .LBB577_783
; %bb.778:
	v_lshrrev_b32_e32 v2, 24, v5
	s_movk_i32 s2, 0x80
	v_cmp_ne_u32_e32 vcc, s2, v2
	v_bfrev_b32_e32 v15, 1
	s_and_saveexec_b64 s[2:3], vcc
	s_cbranch_execz .LBB577_782
; %bb.779:
	v_bfe_u32 v5, v5, 24, 7
	s_movk_i32 s7, 0x7f
	v_cmp_ne_u32_e32 vcc, s7, v5
	v_mov_b32_e32 v15, 0x7f800001
	s_and_saveexec_b64 s[8:9], vcc
	s_cbranch_execz .LBB577_781
; %bb.780:
	v_and_b32_e32 v15, 7, v2
	v_ffbh_u32_e32 v16, v15
	v_min_u32_e32 v19, 32, v16
	v_subrev_u32_e32 v16, 28, v19
	v_lshlrev_b64 v[16:17], v16, v[2:3]
	v_lshrrev_b32_e32 v18, 3, v5
	v_sub_u32_e32 v17, 29, v19
	v_and_b32_e32 v16, 7, v16
	v_cmp_gt_u32_e32 vcc, 8, v5
	v_cndmask_b32_e32 v5, v18, v17, vcc
	v_cndmask_b32_e32 v15, v15, v16, vcc
	v_lshlrev_b32_e32 v2, 24, v2
	v_bfrev_b32_e32 v16, 60
	v_lshlrev_b32_e32 v15, 20, v15
	v_and_b32_e32 v2, 0x80000000, v2
	v_lshl_add_u32 v5, v5, 23, v16
	v_or3_b32 v15, v2, v5, v15
.LBB577_781:
	s_or_b64 exec, exec, s[8:9]
.LBB577_782:
	s_or_b64 exec, exec, s[2:3]
.LBB577_783:
	s_or_b64 exec, exec, s[0:1]
	v_cvt_pkrtz_f16_f32 v2, v10, v11
	v_cvt_pkrtz_f16_f32 v3, v3, v13
	ds_read_b128 v[16:19], v22 offset:6160
	s_load_dword s0, s[42:43], 0x0
	s_waitcnt lgkmcnt(0)
	v_mfma_f32_16x16x16f16 v[6:9], v[2:3], v[16:17], v[6:9]
	v_cvt_pkrtz_f16_f32 v2, v12, v14
	v_cvt_pkrtz_f16_f32 v3, v4, v15
	s_barrier
	s_nop 0
	v_mfma_f32_16x16x16f16 v[2:5], v[2:3], v[18:19], v[6:9]
	s_nop 7
	s_nop 2
	v_pk_mul_f32 v[4:5], v[4:5], s[0:1] op_sel_hi:[1,0]
	v_pk_mul_f32 v[2:3], v[2:3], s[0:1] op_sel_hi:[1,0]
	v_cvt_f16_f32_e32 v2, v2
	v_cvt_f16_f32_e32 v3, v3
	;; [unrolled: 1-line block ×4, first 2 shown]
	v_pack_b32_f16 v2, v2, v3
	v_pack_b32_f16 v3, v4, v5
	ds_write_b64 v28, v[2:3]
	s_waitcnt lgkmcnt(0)
	s_barrier
	s_and_saveexec_b64 s[0:1], s[44:45]
	s_cbranch_execz .LBB577_785
; %bb.784:
	s_load_dwordx2 s[0:1], s[4:5], 0x68
	s_lshl_b32 s4, s46, 6
	s_mul_i32 s2, s10, s6
	s_mul_hi_u32 s3, s2, s4
	s_mul_i32 s2, s2, s4
	s_lshl_b64 s[2:3], s[2:3], 1
	s_waitcnt lgkmcnt(0)
	s_add_u32 s2, s0, s2
	s_addc_u32 s3, s1, s3
	s_lshl_b32 s0, s22, 6
	s_mov_b32 s1, 0
	v_lshlrev_b32_e32 v0, 10, v0
	s_lshl_b64 s[0:1], s[0:1], 1
	v_and_b32_e32 v0, 0x1800, v0
	v_and_b32_e32 v2, 16, v48
	s_add_u32 s2, s2, s0
	v_or3_b32 v0, v0, v47, v2
	s_addc_u32 s3, s3, s1
	v_mad_u64_u32 v[6:7], s[0:1], s4, v46, 0
	ds_read_b128 v[2:5], v0
	v_lshlrev_b64 v[6:7], 1, v[6:7]
	v_mov_b32_e32 v0, s3
	v_add_co_u32_e32 v6, vcc, s2, v6
	v_addc_co_u32_e32 v7, vcc, v0, v7, vcc
	v_add_co_u32_e32 v0, vcc, v6, v1
	v_addc_co_u32_e32 v1, vcc, 0, v7, vcc
	s_waitcnt lgkmcnt(0)
	global_store_dwordx4 v[0:1], v[2:5], off
.LBB577_785:
	s_endpgm
	.section	.rodata,"a",@progbits
	.p2align	6, 0x0
	.amdhsa_kernel _Z39paged_attention_ll4mi_QKV_mfma16_kernelIDF16_hLN4vllm18Fp8KVCacheDataTypeE1EDF16_Li16ELi64ELi256ELb0ELi4EL8MFMAType0EEvPKT_PKT0_S8_ifPKiSA_SA_iPKfiiiPfSD_PS3_PT2_iSC_SC_
		.amdhsa_group_segment_fixed_size 8192
		.amdhsa_private_segment_fixed_size 0
		.amdhsa_kernarg_size 400
		.amdhsa_user_sgpr_count 6
		.amdhsa_user_sgpr_private_segment_buffer 1
		.amdhsa_user_sgpr_dispatch_ptr 0
		.amdhsa_user_sgpr_queue_ptr 0
		.amdhsa_user_sgpr_kernarg_segment_ptr 1
		.amdhsa_user_sgpr_dispatch_id 0
		.amdhsa_user_sgpr_flat_scratch_init 0
		.amdhsa_user_sgpr_kernarg_preload_length 0
		.amdhsa_user_sgpr_kernarg_preload_offset 0
		.amdhsa_user_sgpr_private_segment_size 0
		.amdhsa_uses_dynamic_stack 0
		.amdhsa_system_sgpr_private_segment_wavefront_offset 0
		.amdhsa_system_sgpr_workgroup_id_x 1
		.amdhsa_system_sgpr_workgroup_id_y 1
		.amdhsa_system_sgpr_workgroup_id_z 1
		.amdhsa_system_sgpr_workgroup_info 0
		.amdhsa_system_vgpr_workitem_id 0
		.amdhsa_next_free_vgpr 63
		.amdhsa_next_free_sgpr 48
		.amdhsa_accum_offset 64
		.amdhsa_reserve_vcc 1
		.amdhsa_reserve_flat_scratch 0
		.amdhsa_float_round_mode_32 0
		.amdhsa_float_round_mode_16_64 0
		.amdhsa_float_denorm_mode_32 3
		.amdhsa_float_denorm_mode_16_64 3
		.amdhsa_dx10_clamp 1
		.amdhsa_ieee_mode 1
		.amdhsa_fp16_overflow 0
		.amdhsa_tg_split 0
		.amdhsa_exception_fp_ieee_invalid_op 0
		.amdhsa_exception_fp_denorm_src 0
		.amdhsa_exception_fp_ieee_div_zero 0
		.amdhsa_exception_fp_ieee_overflow 0
		.amdhsa_exception_fp_ieee_underflow 0
		.amdhsa_exception_fp_ieee_inexact 0
		.amdhsa_exception_int_div_zero 0
	.end_amdhsa_kernel
	.section	.text._Z39paged_attention_ll4mi_QKV_mfma16_kernelIDF16_hLN4vllm18Fp8KVCacheDataTypeE1EDF16_Li16ELi64ELi256ELb0ELi4EL8MFMAType0EEvPKT_PKT0_S8_ifPKiSA_SA_iPKfiiiPfSD_PS3_PT2_iSC_SC_,"axG",@progbits,_Z39paged_attention_ll4mi_QKV_mfma16_kernelIDF16_hLN4vllm18Fp8KVCacheDataTypeE1EDF16_Li16ELi64ELi256ELb0ELi4EL8MFMAType0EEvPKT_PKT0_S8_ifPKiSA_SA_iPKfiiiPfSD_PS3_PT2_iSC_SC_,comdat
.Lfunc_end577:
	.size	_Z39paged_attention_ll4mi_QKV_mfma16_kernelIDF16_hLN4vllm18Fp8KVCacheDataTypeE1EDF16_Li16ELi64ELi256ELb0ELi4EL8MFMAType0EEvPKT_PKT0_S8_ifPKiSA_SA_iPKfiiiPfSD_PS3_PT2_iSC_SC_, .Lfunc_end577-_Z39paged_attention_ll4mi_QKV_mfma16_kernelIDF16_hLN4vllm18Fp8KVCacheDataTypeE1EDF16_Li16ELi64ELi256ELb0ELi4EL8MFMAType0EEvPKT_PKT0_S8_ifPKiSA_SA_iPKfiiiPfSD_PS3_PT2_iSC_SC_
                                        ; -- End function
	.section	.AMDGPU.csdata,"",@progbits
; Kernel info:
; codeLenInByte = 26816
; NumSgprs: 52
; NumVgprs: 63
; NumAgprs: 0
; TotalNumVgprs: 63
; ScratchSize: 0
; MemoryBound: 0
; FloatMode: 240
; IeeeMode: 1
; LDSByteSize: 8192 bytes/workgroup (compile time only)
; SGPRBlocks: 6
; VGPRBlocks: 7
; NumSGPRsForWavesPerEU: 52
; NumVGPRsForWavesPerEU: 63
; AccumOffset: 64
; Occupancy: 8
; WaveLimiterHint : 1
; COMPUTE_PGM_RSRC2:SCRATCH_EN: 0
; COMPUTE_PGM_RSRC2:USER_SGPR: 6
; COMPUTE_PGM_RSRC2:TRAP_HANDLER: 0
; COMPUTE_PGM_RSRC2:TGID_X_EN: 1
; COMPUTE_PGM_RSRC2:TGID_Y_EN: 1
; COMPUTE_PGM_RSRC2:TGID_Z_EN: 1
; COMPUTE_PGM_RSRC2:TIDIG_COMP_CNT: 0
; COMPUTE_PGM_RSRC3_GFX90A:ACCUM_OFFSET: 15
; COMPUTE_PGM_RSRC3_GFX90A:TG_SPLIT: 0
	.section	.text._Z39paged_attention_ll4mi_QKV_mfma16_kernelIDF16_hLN4vllm18Fp8KVCacheDataTypeE1EDF16_Li32ELi64ELi256ELb1ELi5EL8MFMAType0EEvPKT_PKT0_S8_ifPKiSA_SA_iPKfiiiPfSD_PS3_PT2_iSC_SC_,"axG",@progbits,_Z39paged_attention_ll4mi_QKV_mfma16_kernelIDF16_hLN4vllm18Fp8KVCacheDataTypeE1EDF16_Li32ELi64ELi256ELb1ELi5EL8MFMAType0EEvPKT_PKT0_S8_ifPKiSA_SA_iPKfiiiPfSD_PS3_PT2_iSC_SC_,comdat
	.protected	_Z39paged_attention_ll4mi_QKV_mfma16_kernelIDF16_hLN4vllm18Fp8KVCacheDataTypeE1EDF16_Li32ELi64ELi256ELb1ELi5EL8MFMAType0EEvPKT_PKT0_S8_ifPKiSA_SA_iPKfiiiPfSD_PS3_PT2_iSC_SC_ ; -- Begin function _Z39paged_attention_ll4mi_QKV_mfma16_kernelIDF16_hLN4vllm18Fp8KVCacheDataTypeE1EDF16_Li32ELi64ELi256ELb1ELi5EL8MFMAType0EEvPKT_PKT0_S8_ifPKiSA_SA_iPKfiiiPfSD_PS3_PT2_iSC_SC_
	.globl	_Z39paged_attention_ll4mi_QKV_mfma16_kernelIDF16_hLN4vllm18Fp8KVCacheDataTypeE1EDF16_Li32ELi64ELi256ELb1ELi5EL8MFMAType0EEvPKT_PKT0_S8_ifPKiSA_SA_iPKfiiiPfSD_PS3_PT2_iSC_SC_
	.p2align	8
	.type	_Z39paged_attention_ll4mi_QKV_mfma16_kernelIDF16_hLN4vllm18Fp8KVCacheDataTypeE1EDF16_Li32ELi64ELi256ELb1ELi5EL8MFMAType0EEvPKT_PKT0_S8_ifPKiSA_SA_iPKfiiiPfSD_PS3_PT2_iSC_SC_,@function
_Z39paged_attention_ll4mi_QKV_mfma16_kernelIDF16_hLN4vllm18Fp8KVCacheDataTypeE1EDF16_Li32ELi64ELi256ELb1ELi5EL8MFMAType0EEvPKT_PKT0_S8_ifPKiSA_SA_iPKfiiiPfSD_PS3_PT2_iSC_SC_: ; @_Z39paged_attention_ll4mi_QKV_mfma16_kernelIDF16_hLN4vllm18Fp8KVCacheDataTypeE1EDF16_Li32ELi64ELi256ELb1ELi5EL8MFMAType0EEvPKT_PKT0_S8_ifPKiSA_SA_iPKfiiiPfSD_PS3_PT2_iSC_SC_
; %bb.0:
	s_load_dwordx2 s[0:1], s[4:5], 0x30
	s_mov_b32 s24, s7
	s_mov_b64 s[10:11], 0
	s_waitcnt lgkmcnt(0)
	s_cmp_lg_u64 s[0:1], 0
	s_cselect_b64 s[2:3], -1, 0
	s_and_b64 vcc, exec, s[2:3]
	s_cbranch_vccz .LBB578_7
; %bb.1:
	s_add_i32 s12, s6, 1
	s_mov_b32 s13, 0
	s_lshl_b64 s[14:15], s[12:13], 2
	s_add_u32 s14, s0, s14
	s_mov_b32 s7, s13
	s_addc_u32 s15, s1, s15
	s_lshl_b64 s[12:13], s[6:7], 2
	s_add_u32 s12, s0, s12
	s_addc_u32 s13, s1, s13
	s_load_dword s9, s[14:15], 0x0
	s_load_dword s16, s[12:13], 0x0
	s_waitcnt lgkmcnt(0)
	s_sub_i32 s9, s9, s16
	s_cmp_eq_u32 s9, 1
	s_cselect_b64 s[12:13], -1, 0
	s_andn2_b64 vcc, exec, s[10:11]
	s_cbranch_vccnz .LBB578_3
.LBB578_2:
	s_mov_b32 s7, 0
	s_mov_b64 s[12:13], -1
.LBB578_3:
	s_andn2_b64 vcc, exec, s[12:13]
	s_cbranch_vccnz .LBB578_788
; %bb.4:
	s_load_dwordx2 s[12:13], s[4:5], 0x28
	s_lshl_b64 s[10:11], s[6:7], 2
	s_waitcnt lgkmcnt(0)
	s_add_u32 s12, s12, s10
	s_addc_u32 s13, s13, s11
	s_load_dword s33, s[12:13], 0x0
	s_lshl_b32 s18, s24, 8
	s_waitcnt lgkmcnt(0)
	s_cmp_ge_i32 s18, s33
	s_cbranch_scc1 .LBB578_788
; %bb.5:
	s_add_i32 s14, s33, 31
	s_load_dwordx2 s[12:13], s[4:5], 0x20
	s_load_dword s9, s[4:5], 0x38
	s_ashr_i32 s15, s14, 31
	v_and_b32_e32 v1, 0xcf, v0
	s_lshr_b32 s15, s15, 27
	v_add_u32_e32 v1, s18, v1
	s_add_i32 s14, s14, s15
	v_ashrrev_i32_e32 v2, 31, v1
	s_ashr_i32 s21, s14, 5
	v_lshrrev_b32_e32 v4, 27, v2
	s_add_i32 s21, s21, -1
	v_add_u32_e32 v2, v1, v4
	s_waitcnt lgkmcnt(0)
	s_mul_i32 s14, s6, s9
	s_mov_b32 s15, 0
	v_ashrrev_i32_e32 v2, 5, v2
	v_mov_b32_e32 v5, s21
	v_cmp_gt_i32_e32 vcc, s33, v1
	s_lshl_b64 s[14:15], s[14:15], 2
	v_cndmask_b32_e32 v2, v5, v2, vcc
	s_add_u32 s19, s12, s14
	v_ashrrev_i32_e32 v3, 31, v2
	s_addc_u32 s20, s13, s15
	v_lshlrev_b64 v[2:3], 2, v[2:3]
	v_mov_b32_e32 v7, s20
	v_add_co_u32_e32 v6, vcc, s19, v2
	v_or_b32_e32 v2, 16, v1
	v_addc_co_u32_e32 v7, vcc, v7, v3, vcc
	v_add_u32_e32 v3, v2, v4
	v_ashrrev_i32_e32 v3, 5, v3
	v_cmp_gt_i32_e32 vcc, s33, v2
	v_cndmask_b32_e32 v2, v5, v3, vcc
	v_ashrrev_i32_e32 v3, 31, v2
	v_lshlrev_b64 v[2:3], 2, v[2:3]
	v_mov_b32_e32 v9, s20
	v_add_co_u32_e32 v8, vcc, s19, v2
	v_or_b32_e32 v2, 32, v1
	v_addc_co_u32_e32 v9, vcc, v9, v3, vcc
	v_add_u32_e32 v3, v2, v4
	v_ashrrev_i32_e32 v3, 5, v3
	v_cmp_gt_i32_e32 vcc, s33, v2
	v_cndmask_b32_e32 v2, v5, v3, vcc
	v_ashrrev_i32_e32 v3, 31, v2
	;; [unrolled: 10-line block ×3, first 2 shown]
	v_lshlrev_b64 v[2:3], 2, v[2:3]
	v_mov_b32_e32 v1, s20
	v_add_co_u32_e32 v12, vcc, s19, v2
	v_addc_co_u32_e32 v13, vcc, v1, v3, vcc
	global_load_dword v5, v[6:7], off
	global_load_dword v4, v[8:9], off
	;; [unrolled: 1-line block ×4, first 2 shown]
	s_load_dwordx2 s[16:17], s[4:5], 0x8
	s_andn2_b64 vcc, exec, s[2:3]
	s_cbranch_vccnz .LBB578_8
; %bb.6:
	s_add_u32 s0, s0, s10
	s_addc_u32 s1, s1, s11
	s_load_dword s9, s[0:1], 0x0
	s_branch .LBB578_9
.LBB578_7:
	s_mov_b64 s[12:13], 0
	s_branch .LBB578_2
.LBB578_8:
	s_mov_b32 s9, s6
.LBB578_9:
	s_load_dwordx2 s[2:3], s[4:5], 0x10
	s_load_dwordx4 s[12:15], s[4:5], 0x48
	v_lshrrev_b32_e32 v50, 6, v0
	v_bfe_u32 v1, v0, 4, 2
	v_lshl_or_b32 v6, v50, 2, v1
	v_and_b32_e32 v49, 15, v0
	v_lshlrev_b32_e32 v7, 3, v49
	v_cmp_gt_u32_e32 vcc, 5, v6
	v_cmp_gt_u32_e64 s[0:1], 8, v49
	s_mul_i32 s25, s8, 5
	s_and_b64 s[22:23], s[0:1], vcc
	v_lshlrev_b32_e32 v46, 1, v7
	v_lshlrev_b32_e32 v47, 4, v0
	s_and_saveexec_b64 s[10:11], s[22:23]
	s_cbranch_execz .LBB578_11
; %bb.10:
	s_load_dwordx2 s[22:23], s[4:5], 0x0
	s_waitcnt lgkmcnt(0)
	s_ashr_i32 s15, s12, 31
	s_mul_hi_u32 s26, s9, s12
	s_mul_i32 s15, s9, s15
	s_add_i32 s27, s26, s15
	s_mul_i32 s26, s9, s12
	s_lshl_b64 s[26:27], s[26:27], 1
	v_add_lshl_u32 v8, v6, s25, 6
	s_add_u32 s9, s22, s26
	v_ashrrev_i32_e32 v9, 31, v8
	s_addc_u32 s12, s23, s27
	v_lshlrev_b64 v[8:9], 1, v[8:9]
	v_mov_b32_e32 v7, s12
	v_add_co_u32_e32 v8, vcc, s9, v8
	v_addc_co_u32_e32 v7, vcc, v7, v9, vcc
	v_add_co_u32_e32 v8, vcc, v8, v46
	v_addc_co_u32_e32 v9, vcc, 0, v7, vcc
	global_load_dwordx4 v[8:11], v[8:9], off
	v_lshlrev_b32_e32 v12, 8, v49
	v_lshlrev_b32_e32 v6, 5, v6
	v_and_b32_e32 v7, 16, v47
	v_and_b32_e32 v12, 0xe00, v12
	v_or3_b32 v6, v12, v6, v7
	s_waitcnt vmcnt(0)
	ds_write_b128 v6, v[8:11]
.LBB578_11:
	s_or_b64 exec, exec, s[10:11]
	s_waitcnt lgkmcnt(0)
	s_mul_i32 s10, s8, s14
	s_add_u32 s8, s16, s10
	s_addc_u32 s9, s17, 0
	v_pk_mov_b32 v[8:9], s[8:9], s[8:9] op_sel:[0,1]
	s_waitcnt vmcnt(3)
	v_mad_i64_i32 v[10:11], s[8:9], v5, s13, v[8:9]
	v_lshlrev_b32_e32 v12, 4, v49
	v_and_b32_e32 v6, 48, v0
	v_add_co_u32_e32 v5, vcc, v10, v12
	v_lshlrev_b32_e32 v7, 5, v6
	v_addc_co_u32_e32 v11, vcc, 0, v11, vcc
	v_add_co_u32_e32 v10, vcc, v5, v7
	v_addc_co_u32_e32 v11, vcc, 0, v11, vcc
	s_waitcnt vmcnt(2)
	v_mad_i64_i32 v[4:5], s[8:9], v4, s13, v[8:9]
	v_or_b32_e32 v13, 0x100, v12
	v_add_co_u32_e32 v4, vcc, v4, v13
	v_addc_co_u32_e32 v5, vcc, 0, v5, vcc
	v_add_co_u32_e32 v4, vcc, v4, v7
	v_addc_co_u32_e32 v5, vcc, 0, v5, vcc
	s_barrier
	global_load_dwordx4 v[34:37], v[10:11], off
	global_load_dwordx4 v[38:41], v[4:5], off
	s_waitcnt vmcnt(3)
	v_mad_i64_i32 v[4:5], s[8:9], v3, s13, v[8:9]
	v_add_co_u32_e32 v3, vcc, v4, v12
	v_addc_co_u32_e32 v5, vcc, 0, v5, vcc
	v_add_co_u32_e32 v4, vcc, v3, v7
	v_addc_co_u32_e32 v5, vcc, 0, v5, vcc
	s_waitcnt vmcnt(2)
	v_mad_i64_i32 v[2:3], s[8:9], v2, s13, v[8:9]
	v_add_co_u32_e32 v2, vcc, v2, v13
	v_addc_co_u32_e32 v3, vcc, 0, v3, vcc
	v_add_co_u32_e32 v2, vcc, v2, v7
	v_addc_co_u32_e32 v3, vcc, 0, v3, vcc
	global_load_dwordx4 v[30:33], v[4:5], off
	global_load_dwordx4 v[22:25], v[2:3], off
	v_mul_lo_u16_e32 v2, 52, v49
	v_mov_b32_e32 v3, 5
	v_mul_lo_u16_sdwa v2, v2, v3 dst_sel:DWORD dst_unused:UNUSED_PAD src0_sel:BYTE_1 src1_sel:DWORD
	v_sub_u16_e32 v2, v49, v2
	v_lshlrev_b32_sdwa v2, v3, v2 dst_sel:DWORD dst_unused:UNUSED_PAD src0_sel:DWORD src1_sel:BYTE_0
	v_lshl_add_u32 v2, v1, 9, v2
	ds_read_b128 v[26:29], v2
	ds_read_b128 v[18:21], v2 offset:16
	v_cmp_gt_u32_e32 vcc, 5, v49
	v_mov_b32_e32 v43, 0
	v_mov_b32_e32 v51, 0
	s_and_saveexec_b64 s[8:9], vcc
	s_cbranch_execz .LBB578_13
; %bb.12:
	s_load_dwordx2 s[14:15], s[4:5], 0x40
	v_add_u32_e32 v2, s25, v49
	v_ashrrev_i32_e32 v3, 31, v2
	v_lshlrev_b64 v[2:3], 2, v[2:3]
	s_waitcnt lgkmcnt(0)
	v_mov_b32_e32 v4, s15
	v_add_co_u32_e32 v2, vcc, s14, v2
	v_addc_co_u32_e32 v3, vcc, v4, v3, vcc
	global_load_dword v51, v[2:3], off
.LBB578_13:
	s_or_b64 exec, exec, s[8:9]
	s_ashr_i32 s8, s18, 31
	v_or_b32_e32 v8, s18, v6
	s_lshr_b32 s8, s8, 27
	v_add_u32_e32 v2, s8, v8
	v_ashrrev_i32_e32 v2, 5, v2
	v_mov_b32_e32 v9, s21
	v_cmp_gt_i32_e32 vcc, s33, v8
	v_cndmask_b32_e32 v2, v9, v2, vcc
	v_ashrrev_i32_e32 v3, 31, v2
	v_lshlrev_b64 v[2:3], 2, v[2:3]
	v_mov_b32_e32 v4, s20
	v_add_co_u32_e32 v2, vcc, s19, v2
	v_addc_co_u32_e32 v3, vcc, v4, v3, vcc
	v_or_b32_e32 v4, 64, v8
	v_add_u32_e32 v5, s8, v4
	v_ashrrev_i32_e32 v5, 5, v5
	v_cmp_gt_i32_e32 vcc, s33, v4
	v_cndmask_b32_e32 v4, v9, v5, vcc
	v_ashrrev_i32_e32 v5, 31, v4
	v_lshlrev_b64 v[4:5], 2, v[4:5]
	v_mov_b32_e32 v6, s20
	v_add_co_u32_e32 v4, vcc, s19, v4
	v_addc_co_u32_e32 v5, vcc, v6, v5, vcc
	v_or_b32_e32 v6, 0x80, v8
	v_add_u32_e32 v7, s8, v6
	v_ashrrev_i32_e32 v7, 5, v7
	v_cmp_gt_i32_e32 vcc, s33, v6
	v_cndmask_b32_e32 v6, v9, v7, vcc
	v_ashrrev_i32_e32 v7, 31, v6
	v_lshlrev_b64 v[6:7], 2, v[6:7]
	v_mov_b32_e32 v10, s20
	v_add_co_u32_e32 v6, vcc, s19, v6
	v_addc_co_u32_e32 v7, vcc, v10, v7, vcc
	global_load_dword v10, v[2:3], off
	global_load_dword v11, v[4:5], off
	;; [unrolled: 1-line block ×3, first 2 shown]
	v_or_b32_e32 v2, 0xc0, v8
	v_add_u32_e32 v3, s8, v2
	v_ashrrev_i32_e32 v3, 5, v3
	v_cmp_gt_i32_e32 vcc, s33, v2
	v_cndmask_b32_e32 v2, v9, v3, vcc
	v_ashrrev_i32_e32 v3, 31, v2
	v_lshlrev_b64 v[2:3], 2, v[2:3]
	v_mov_b32_e32 v4, s20
	v_add_co_u32_e32 v2, vcc, s19, v2
	v_addc_co_u32_e32 v3, vcc, v4, v3, vcc
	global_load_dword v13, v[2:3], off
	s_add_u32 s2, s2, s10
	v_and_b32_e32 v2, 16, v0
	s_addc_u32 s3, s3, 0
	v_lshlrev_b32_e32 v48, 5, v49
	v_mov_b32_e32 v4, s3
	v_add_co_u32_e32 v2, vcc, s2, v2
	v_lshl_or_b32 v3, v50, 9, v48
	v_addc_co_u32_e32 v4, vcc, 0, v4, vcc
	v_add_co_u32_e32 v2, vcc, v2, v3
	v_addc_co_u32_e32 v3, vcc, 0, v4, vcc
	s_movk_i32 s8, 0x80
	s_waitcnt vmcnt(7)
	v_cmp_ne_u16_sdwa s[10:11], v34, v43 src0_sel:BYTE_0 src1_sel:DWORD
	s_waitcnt vmcnt(3)
	v_mad_i64_i32 v[4:5], s[2:3], v10, s13, v[2:3]
	s_waitcnt vmcnt(2)
	v_mad_i64_i32 v[6:7], s[2:3], v11, s13, v[2:3]
	;; [unrolled: 2-line block ×4, first 2 shown]
	global_load_dwordx4 v[14:17], v[4:5], off
	global_load_dwordx4 v[10:13], v[6:7], off
	s_nop 0
	global_load_dwordx4 v[6:9], v[8:9], off
	s_nop 0
	global_load_dwordx4 v[2:5], v[2:3], off
	s_load_dwordx4 s[40:43], s[4:5], 0x80
	s_load_dwordx2 s[44:45], s[4:5], 0x94
	s_waitcnt lgkmcnt(0)
	s_load_dword s12, s[40:41], 0x0
	s_and_saveexec_b64 s[2:3], s[10:11]
	s_cbranch_execz .LBB578_19
; %bb.14:
	v_cmp_ne_u16_sdwa s[10:11], v34, s8 src0_sel:BYTE_0 src1_sel:DWORD
	v_bfrev_b32_e32 v43, 1
	s_and_saveexec_b64 s[8:9], s[10:11]
	s_cbranch_execz .LBB578_18
; %bb.15:
	s_movk_i32 s10, 0x7f
	v_and_b32_e32 v42, 0x7f, v34
	v_cmp_ne_u32_e32 vcc, s10, v42
	v_mov_b32_e32 v43, 0x7f800001
	s_and_saveexec_b64 s[10:11], vcc
	s_cbranch_execz .LBB578_17
; %bb.16:
	v_and_b32_e32 v43, 7, v34
	v_ffbh_u32_e32 v44, v43
	v_min_u32_e32 v53, 32, v44
	v_subrev_u32_e32 v44, 28, v53
	v_lshlrev_b64 v[44:45], v44, v[34:35]
	v_lshrrev_b32_e32 v52, 3, v42
	v_sub_u32_e32 v45, 29, v53
	v_and_b32_e32 v44, 7, v44
	v_cmp_gt_u32_e32 vcc, 8, v42
	v_cndmask_b32_e32 v42, v52, v45, vcc
	v_cndmask_b32_e32 v43, v43, v44, vcc
	v_lshlrev_b32_e32 v44, 24, v34
	v_bfrev_b32_e32 v45, 60
	v_lshlrev_b32_e32 v43, 20, v43
	v_and_b32_e32 v44, 0x80000000, v44
	v_lshl_add_u32 v42, v42, 23, v45
	v_or3_b32 v43, v44, v42, v43
.LBB578_17:
	s_or_b64 exec, exec, s[10:11]
.LBB578_18:
	s_or_b64 exec, exec, s[8:9]
.LBB578_19:
	s_or_b64 exec, exec, s[2:3]
	v_lshrrev_b16_e32 v42, 8, v34
	v_cmp_ne_u16_e32 vcc, 0, v42
	v_mov_b32_e32 v44, 0
	v_mov_b32_e32 v45, 0
	s_and_saveexec_b64 s[2:3], vcc
	s_cbranch_execz .LBB578_25
; %bb.20:
	s_movk_i32 s8, 0x80
	v_cmp_ne_u16_e32 vcc, s8, v42
	v_bfrev_b32_e32 v45, 1
	s_and_saveexec_b64 s[8:9], vcc
	s_cbranch_execz .LBB578_24
; %bb.21:
	s_movk_i32 s10, 0x7f
	v_and_b32_e32 v52, 0x7f, v42
	v_cmp_ne_u32_e32 vcc, s10, v52
	v_mov_b32_e32 v45, 0x7f800001
	s_and_saveexec_b64 s[10:11], vcc
	s_cbranch_execz .LBB578_23
; %bb.22:
	v_and_b32_e32 v45, 7, v42
	v_ffbh_u32_e32 v54, v45
	v_min_u32_e32 v56, 32, v54
	v_subrev_u32_e32 v54, 28, v56
	v_lshlrev_b64 v[54:55], v54, v[42:43]
	v_lshrrev_b32_e32 v53, 3, v52
	v_sub_u32_e32 v42, 29, v56
	v_and_b32_e32 v54, 7, v54
	v_cmp_gt_u32_e32 vcc, 8, v52
	v_cndmask_b32_e32 v42, v53, v42, vcc
	v_cndmask_b32_e32 v45, v45, v54, vcc
	v_lshlrev_b32_e32 v52, 16, v34
	v_bfrev_b32_e32 v53, 60
	v_lshlrev_b32_e32 v45, 20, v45
	v_and_b32_e32 v52, 0x80000000, v52
	v_lshl_add_u32 v42, v42, 23, v53
	v_or3_b32 v45, v52, v42, v45
.LBB578_23:
	s_or_b64 exec, exec, s[10:11]
.LBB578_24:
	s_or_b64 exec, exec, s[8:9]
.LBB578_25:
	s_or_b64 exec, exec, s[2:3]
	s_movk_i32 s2, 0xff
	v_and_b32_sdwa v52, v34, s2 dst_sel:DWORD dst_unused:UNUSED_PAD src0_sel:WORD_1 src1_sel:DWORD
	v_lshrrev_b32_e32 v42, 16, v34
	v_cmp_ne_u16_e32 vcc, 0, v52
	s_and_saveexec_b64 s[2:3], vcc
	s_cbranch_execz .LBB578_31
; %bb.26:
	s_movk_i32 s8, 0x80
	v_cmp_ne_u16_e32 vcc, s8, v52
	v_bfrev_b32_e32 v44, 1
	s_and_saveexec_b64 s[8:9], vcc
	s_cbranch_execz .LBB578_30
; %bb.27:
	v_bfe_u32 v52, v34, 16, 7
	s_movk_i32 s10, 0x7f
	v_cmp_ne_u32_e32 vcc, s10, v52
	v_mov_b32_e32 v44, 0x7f800001
	s_and_saveexec_b64 s[10:11], vcc
	s_cbranch_execz .LBB578_29
; %bb.28:
	v_and_b32_e32 v44, 7, v42
	v_ffbh_u32_e32 v54, v44
	v_min_u32_e32 v56, 32, v54
	v_subrev_u32_e32 v54, 28, v56
	v_lshlrev_b64 v[54:55], v54, v[42:43]
	v_lshrrev_b32_e32 v53, 3, v52
	v_sub_u32_e32 v42, 29, v56
	v_and_b32_e32 v54, 7, v54
	v_cmp_gt_u32_e32 vcc, 8, v52
	v_mov_b32_e32 v52, 24
	v_cndmask_b32_e32 v42, v53, v42, vcc
	v_cndmask_b32_e32 v44, v44, v54, vcc
	v_lshlrev_b32_sdwa v52, v52, v34 dst_sel:DWORD dst_unused:UNUSED_PAD src0_sel:DWORD src1_sel:WORD_1
	v_bfrev_b32_e32 v53, 60
	v_lshlrev_b32_e32 v44, 20, v44
	v_and_b32_e32 v52, 0x80000000, v52
	v_lshl_add_u32 v42, v42, 23, v53
	v_or3_b32 v44, v52, v42, v44
.LBB578_29:
	s_or_b64 exec, exec, s[10:11]
.LBB578_30:
	s_or_b64 exec, exec, s[8:9]
.LBB578_31:
	s_or_b64 exec, exec, s[2:3]
	s_mov_b32 s2, 0xffffff
	v_cmp_lt_u32_e32 vcc, s2, v34
	v_mov_b32_e32 v53, 0
	v_mov_b32_e32 v54, 0
	s_and_saveexec_b64 s[2:3], vcc
	s_cbranch_execz .LBB578_37
; %bb.32:
	v_lshrrev_b32_e32 v42, 24, v34
	s_movk_i32 s8, 0x80
	v_cmp_ne_u32_e32 vcc, s8, v42
	v_bfrev_b32_e32 v54, 1
	s_and_saveexec_b64 s[8:9], vcc
	s_cbranch_execz .LBB578_36
; %bb.33:
	v_bfe_u32 v34, v34, 24, 7
	s_movk_i32 s10, 0x7f
	v_cmp_ne_u32_e32 vcc, s10, v34
	v_mov_b32_e32 v54, 0x7f800001
	s_and_saveexec_b64 s[10:11], vcc
	s_cbranch_execz .LBB578_35
; %bb.34:
	v_and_b32_e32 v52, 7, v42
	v_ffbh_u32_e32 v54, v52
	v_min_u32_e32 v57, 32, v54
	v_subrev_u32_e32 v54, 28, v57
	v_lshlrev_b64 v[54:55], v54, v[42:43]
	v_lshrrev_b32_e32 v56, 3, v34
	v_sub_u32_e32 v55, 29, v57
	v_and_b32_e32 v54, 7, v54
	v_cmp_gt_u32_e32 vcc, 8, v34
	v_cndmask_b32_e32 v34, v56, v55, vcc
	v_cndmask_b32_e32 v52, v52, v54, vcc
	v_lshlrev_b32_e32 v42, 24, v42
	v_bfrev_b32_e32 v54, 60
	v_lshlrev_b32_e32 v52, 20, v52
	v_and_b32_e32 v42, 0x80000000, v42
	v_lshl_add_u32 v34, v34, 23, v54
	v_or3_b32 v54, v42, v34, v52
.LBB578_35:
	s_or_b64 exec, exec, s[10:11]
.LBB578_36:
	s_or_b64 exec, exec, s[8:9]
.LBB578_37:
	s_or_b64 exec, exec, s[2:3]
	v_cmp_ne_u16_sdwa s[8:9], v35, v53 src0_sel:BYTE_0 src1_sel:DWORD
	s_and_saveexec_b64 s[2:3], s[8:9]
	s_cbranch_execz .LBB578_43
; %bb.38:
	s_movk_i32 s8, 0x80
	v_cmp_ne_u16_sdwa s[10:11], v35, s8 src0_sel:BYTE_0 src1_sel:DWORD
	v_bfrev_b32_e32 v53, 1
	s_and_saveexec_b64 s[8:9], s[10:11]
	s_cbranch_execz .LBB578_42
; %bb.39:
	s_movk_i32 s10, 0x7f
	v_and_b32_e32 v34, 0x7f, v35
	v_cmp_ne_u32_e32 vcc, s10, v34
	v_mov_b32_e32 v53, 0x7f800001
	s_and_saveexec_b64 s[10:11], vcc
	s_cbranch_execz .LBB578_41
; %bb.40:
	v_and_b32_e32 v55, 7, v35
	v_ffbh_u32_e32 v52, v55
	v_min_u32_e32 v57, 32, v52
	v_mov_b32_e32 v42, v35
	v_subrev_u32_e32 v52, 28, v57
	v_lshlrev_b64 v[52:53], v52, v[42:43]
	v_lshrrev_b32_e32 v56, 3, v34
	v_sub_u32_e32 v42, 29, v57
	v_and_b32_e32 v52, 7, v52
	v_cmp_gt_u32_e32 vcc, 8, v34
	v_cndmask_b32_e32 v34, v56, v42, vcc
	v_cndmask_b32_e32 v42, v55, v52, vcc
	v_lshlrev_b32_e32 v52, 24, v35
	v_bfrev_b32_e32 v53, 60
	v_lshlrev_b32_e32 v42, 20, v42
	v_and_b32_e32 v52, 0x80000000, v52
	v_lshl_add_u32 v34, v34, 23, v53
	v_or3_b32 v53, v52, v34, v42
.LBB578_41:
	s_or_b64 exec, exec, s[10:11]
.LBB578_42:
	s_or_b64 exec, exec, s[8:9]
.LBB578_43:
	s_or_b64 exec, exec, s[2:3]
	v_lshrrev_b16_e32 v34, 8, v35
	v_cmp_ne_u16_e32 vcc, 0, v34
	v_mov_b32_e32 v42, 0
	v_mov_b32_e32 v55, 0
	s_and_saveexec_b64 s[2:3], vcc
	s_cbranch_execz .LBB578_49
; %bb.44:
	s_movk_i32 s8, 0x80
	v_cmp_ne_u16_e32 vcc, s8, v34
	v_bfrev_b32_e32 v55, 1
	s_and_saveexec_b64 s[8:9], vcc
	s_cbranch_execz .LBB578_48
; %bb.45:
	s_movk_i32 s10, 0x7f
	v_and_b32_e32 v52, 0x7f, v34
	v_cmp_ne_u32_e32 vcc, s10, v52
	v_mov_b32_e32 v55, 0x7f800001
	s_and_saveexec_b64 s[10:11], vcc
	s_cbranch_execz .LBB578_47
; %bb.46:
	v_and_b32_e32 v55, 7, v34
	v_ffbh_u32_e32 v56, v55
	v_min_u32_e32 v59, 32, v56
	v_subrev_u32_e32 v56, 28, v59
	v_lshlrev_b64 v[56:57], v56, v[34:35]
	v_lshrrev_b32_e32 v58, 3, v52
	v_sub_u32_e32 v34, 29, v59
	v_and_b32_e32 v56, 7, v56
	v_cmp_gt_u32_e32 vcc, 8, v52
	v_cndmask_b32_e32 v34, v58, v34, vcc
	v_cndmask_b32_e32 v52, v55, v56, vcc
	v_lshlrev_b32_e32 v55, 16, v35
	v_bfrev_b32_e32 v56, 60
	v_lshlrev_b32_e32 v52, 20, v52
	v_and_b32_e32 v55, 0x80000000, v55
	v_lshl_add_u32 v34, v34, 23, v56
	v_or3_b32 v55, v55, v34, v52
.LBB578_47:
	s_or_b64 exec, exec, s[10:11]
.LBB578_48:
	s_or_b64 exec, exec, s[8:9]
.LBB578_49:
	s_or_b64 exec, exec, s[2:3]
	s_movk_i32 s2, 0xff
	v_and_b32_sdwa v52, v35, s2 dst_sel:DWORD dst_unused:UNUSED_PAD src0_sel:WORD_1 src1_sel:DWORD
	v_lshrrev_b32_e32 v34, 16, v35
	v_cmp_ne_u16_e32 vcc, 0, v52
	s_and_saveexec_b64 s[2:3], vcc
	s_cbranch_execz .LBB578_55
; %bb.50:
	s_movk_i32 s8, 0x80
	v_cmp_ne_u16_e32 vcc, s8, v52
	v_bfrev_b32_e32 v42, 1
	s_and_saveexec_b64 s[8:9], vcc
	s_cbranch_execz .LBB578_54
; %bb.51:
	v_bfe_u32 v52, v35, 16, 7
	s_movk_i32 s10, 0x7f
	v_cmp_ne_u32_e32 vcc, s10, v52
	v_mov_b32_e32 v42, 0x7f800001
	s_and_saveexec_b64 s[10:11], vcc
	s_cbranch_execz .LBB578_53
; %bb.52:
	v_and_b32_e32 v42, 7, v34
	v_ffbh_u32_e32 v56, v42
	v_min_u32_e32 v59, 32, v56
	v_subrev_u32_e32 v56, 28, v59
	v_lshlrev_b64 v[56:57], v56, v[34:35]
	v_lshrrev_b32_e32 v58, 3, v52
	v_sub_u32_e32 v34, 29, v59
	v_and_b32_e32 v56, 7, v56
	v_cmp_gt_u32_e32 vcc, 8, v52
	v_mov_b32_e32 v52, 24
	v_cndmask_b32_e32 v34, v58, v34, vcc
	v_cndmask_b32_e32 v42, v42, v56, vcc
	v_lshlrev_b32_sdwa v52, v52, v35 dst_sel:DWORD dst_unused:UNUSED_PAD src0_sel:DWORD src1_sel:WORD_1
	v_bfrev_b32_e32 v56, 60
	v_lshlrev_b32_e32 v42, 20, v42
	v_and_b32_e32 v52, 0x80000000, v52
	v_lshl_add_u32 v34, v34, 23, v56
	v_or3_b32 v42, v52, v34, v42
.LBB578_53:
	s_or_b64 exec, exec, s[10:11]
.LBB578_54:
	s_or_b64 exec, exec, s[8:9]
.LBB578_55:
	s_or_b64 exec, exec, s[2:3]
	s_mov_b32 s2, 0xffffff
	v_cmp_lt_u32_e32 vcc, s2, v35
	v_mov_b32_e32 v52, 0
	v_mov_b32_e32 v56, 0
	s_and_saveexec_b64 s[2:3], vcc
	s_cbranch_execz .LBB578_61
; %bb.56:
	v_lshrrev_b32_e32 v34, 24, v35
	s_movk_i32 s8, 0x80
	v_cmp_ne_u32_e32 vcc, s8, v34
	v_bfrev_b32_e32 v56, 1
	s_and_saveexec_b64 s[8:9], vcc
	s_cbranch_execz .LBB578_60
; %bb.57:
	v_bfe_u32 v35, v35, 24, 7
	s_movk_i32 s10, 0x7f
	v_cmp_ne_u32_e32 vcc, s10, v35
	v_mov_b32_e32 v56, 0x7f800001
	s_and_saveexec_b64 s[10:11], vcc
	s_cbranch_execz .LBB578_59
; %bb.58:
	v_and_b32_e32 v58, 7, v34
	v_ffbh_u32_e32 v56, v58
	v_min_u32_e32 v60, 32, v56
	v_subrev_u32_e32 v56, 28, v60
	v_lshlrev_b64 v[56:57], v56, v[34:35]
	v_lshrrev_b32_e32 v59, 3, v35
	v_sub_u32_e32 v57, 29, v60
	v_and_b32_e32 v56, 7, v56
	v_cmp_gt_u32_e32 vcc, 8, v35
	v_cndmask_b32_e32 v35, v59, v57, vcc
	v_cndmask_b32_e32 v56, v58, v56, vcc
	v_lshlrev_b32_e32 v34, 24, v34
	v_bfrev_b32_e32 v57, 60
	v_lshlrev_b32_e32 v56, 20, v56
	v_and_b32_e32 v34, 0x80000000, v34
	v_lshl_add_u32 v35, v35, 23, v57
	v_or3_b32 v56, v34, v35, v56
.LBB578_59:
	s_or_b64 exec, exec, s[10:11]
.LBB578_60:
	s_or_b64 exec, exec, s[8:9]
.LBB578_61:
	s_or_b64 exec, exec, s[2:3]
	v_cvt_pkrtz_f16_f32 v34, v43, v45
	v_cvt_pkrtz_f16_f32 v35, v44, v54
	v_cmp_ne_u16_sdwa s[8:9], v36, v52 src0_sel:BYTE_0 src1_sel:DWORD
	s_nop 0
	v_mfma_f32_16x16x16f16 v[58:61], v[34:35], v[26:27], 0
	v_cvt_pkrtz_f16_f32 v34, v53, v55
	v_cvt_pkrtz_f16_f32 v35, v42, v56
	s_nop 1
	v_mfma_f32_16x16x16f16 v[42:45], v[34:35], v[28:29], v[58:61]
	s_and_saveexec_b64 s[2:3], s[8:9]
	s_cbranch_execz .LBB578_67
; %bb.62:
	s_movk_i32 s8, 0x80
	v_cmp_ne_u16_sdwa s[10:11], v36, s8 src0_sel:BYTE_0 src1_sel:DWORD
	v_bfrev_b32_e32 v52, 1
	s_and_saveexec_b64 s[8:9], s[10:11]
	s_cbranch_execz .LBB578_66
; %bb.63:
	s_movk_i32 s10, 0x7f
	v_and_b32_e32 v34, 0x7f, v36
	v_cmp_ne_u32_e32 vcc, s10, v34
	v_mov_b32_e32 v52, 0x7f800001
	s_and_saveexec_b64 s[10:11], vcc
	s_cbranch_execz .LBB578_65
; %bb.64:
	v_and_b32_e32 v35, 7, v36
	v_ffbh_u32_e32 v52, v35
	v_min_u32_e32 v55, 32, v52
	v_subrev_u32_e32 v52, 28, v55
	v_lshlrev_b64 v[52:53], v52, v[36:37]
	v_lshrrev_b32_e32 v54, 3, v34
	v_sub_u32_e32 v53, 29, v55
	v_and_b32_e32 v52, 7, v52
	v_cmp_gt_u32_e32 vcc, 8, v34
	v_cndmask_b32_e32 v34, v54, v53, vcc
	v_cndmask_b32_e32 v35, v35, v52, vcc
	v_lshlrev_b32_e32 v52, 24, v36
	v_bfrev_b32_e32 v53, 60
	v_lshlrev_b32_e32 v35, 20, v35
	v_and_b32_e32 v52, 0x80000000, v52
	v_lshl_add_u32 v34, v34, 23, v53
	v_or3_b32 v52, v52, v34, v35
.LBB578_65:
	s_or_b64 exec, exec, s[10:11]
.LBB578_66:
	s_or_b64 exec, exec, s[8:9]
.LBB578_67:
	s_or_b64 exec, exec, s[2:3]
	v_lshrrev_b16_e32 v34, 8, v36
	v_cmp_ne_u16_e32 vcc, 0, v34
	v_mov_b32_e32 v35, 0
	v_mov_b32_e32 v54, 0
	s_and_saveexec_b64 s[2:3], vcc
	s_cbranch_execz .LBB578_73
; %bb.68:
	s_movk_i32 s8, 0x80
	v_cmp_ne_u16_e32 vcc, s8, v34
	v_bfrev_b32_e32 v54, 1
	s_and_saveexec_b64 s[8:9], vcc
	s_cbranch_execz .LBB578_72
; %bb.69:
	s_movk_i32 s10, 0x7f
	v_and_b32_e32 v53, 0x7f, v34
	v_cmp_ne_u32_e32 vcc, s10, v53
	v_mov_b32_e32 v54, 0x7f800001
	s_and_saveexec_b64 s[10:11], vcc
	s_cbranch_execz .LBB578_71
; %bb.70:
	v_and_b32_e32 v56, 7, v34
	v_ffbh_u32_e32 v54, v56
	v_min_u32_e32 v58, 32, v54
	v_subrev_u32_e32 v54, 28, v58
	v_lshlrev_b64 v[54:55], v54, v[34:35]
	v_lshrrev_b32_e32 v57, 3, v53
	v_sub_u32_e32 v34, 29, v58
	v_and_b32_e32 v54, 7, v54
	v_cmp_gt_u32_e32 vcc, 8, v53
	v_cndmask_b32_e32 v34, v57, v34, vcc
	v_cndmask_b32_e32 v53, v56, v54, vcc
	v_lshlrev_b32_e32 v54, 16, v36
	v_bfrev_b32_e32 v55, 60
	v_lshlrev_b32_e32 v53, 20, v53
	v_and_b32_e32 v54, 0x80000000, v54
	v_lshl_add_u32 v34, v34, 23, v55
	v_or3_b32 v54, v54, v34, v53
.LBB578_71:
	s_or_b64 exec, exec, s[10:11]
.LBB578_72:
	s_or_b64 exec, exec, s[8:9]
.LBB578_73:
	s_or_b64 exec, exec, s[2:3]
	s_movk_i32 s2, 0xff
	v_and_b32_sdwa v53, v36, s2 dst_sel:DWORD dst_unused:UNUSED_PAD src0_sel:WORD_1 src1_sel:DWORD
	v_lshrrev_b32_e32 v34, 16, v36
	v_cmp_ne_u16_e32 vcc, 0, v53
	s_and_saveexec_b64 s[2:3], vcc
	s_cbranch_execz .LBB578_79
; %bb.74:
	s_movk_i32 s8, 0x80
	v_cmp_ne_u16_e32 vcc, s8, v53
	v_bfrev_b32_e32 v35, 1
	s_and_saveexec_b64 s[8:9], vcc
	s_cbranch_execz .LBB578_78
; %bb.75:
	v_bfe_u32 v53, v36, 16, 7
	s_movk_i32 s10, 0x7f
	v_cmp_ne_u32_e32 vcc, s10, v53
	v_mov_b32_e32 v35, 0x7f800001
	s_and_saveexec_b64 s[10:11], vcc
	s_cbranch_execz .LBB578_77
; %bb.76:
	v_and_b32_e32 v55, 7, v34
	v_ffbh_u32_e32 v35, v55
	v_min_u32_e32 v57, 32, v35
	v_subrev_u32_e32 v35, 28, v57
	v_lshlrev_b64 v[34:35], v35, v[34:35]
	v_lshrrev_b32_e32 v56, 3, v53
	v_sub_u32_e32 v35, 29, v57
	v_and_b32_e32 v34, 7, v34
	v_cmp_gt_u32_e32 vcc, 8, v53
	v_mov_b32_e32 v53, 24
	v_cndmask_b32_e32 v35, v56, v35, vcc
	v_cndmask_b32_e32 v34, v55, v34, vcc
	v_lshlrev_b32_sdwa v53, v53, v36 dst_sel:DWORD dst_unused:UNUSED_PAD src0_sel:DWORD src1_sel:WORD_1
	v_bfrev_b32_e32 v55, 60
	v_lshlrev_b32_e32 v34, 20, v34
	v_and_b32_e32 v53, 0x80000000, v53
	v_lshl_add_u32 v35, v35, 23, v55
	v_or3_b32 v35, v53, v35, v34
.LBB578_77:
	s_or_b64 exec, exec, s[10:11]
.LBB578_78:
	s_or_b64 exec, exec, s[8:9]
.LBB578_79:
	s_or_b64 exec, exec, s[2:3]
	s_mov_b32 s2, 0xffffff
	v_cmp_lt_u32_e32 vcc, s2, v36
	v_mov_b32_e32 v55, 0
	v_mov_b32_e32 v56, 0
	s_and_saveexec_b64 s[2:3], vcc
	s_cbranch_execz .LBB578_85
; %bb.80:
	v_lshrrev_b32_e32 v34, 24, v36
	s_movk_i32 s8, 0x80
	v_cmp_ne_u32_e32 vcc, s8, v34
	v_bfrev_b32_e32 v56, 1
	s_and_saveexec_b64 s[8:9], vcc
	s_cbranch_execz .LBB578_84
; %bb.81:
	v_bfe_u32 v36, v36, 24, 7
	s_movk_i32 s10, 0x7f
	v_cmp_ne_u32_e32 vcc, s10, v36
	v_mov_b32_e32 v56, 0x7f800001
	s_and_saveexec_b64 s[10:11], vcc
	s_cbranch_execz .LBB578_83
; %bb.82:
	v_and_b32_e32 v53, 7, v34
	v_ffbh_u32_e32 v56, v53
	v_min_u32_e32 v59, 32, v56
	v_subrev_u32_e32 v56, 28, v59
	v_lshlrev_b64 v[56:57], v56, v[34:35]
	v_lshrrev_b32_e32 v58, 3, v36
	v_sub_u32_e32 v57, 29, v59
	v_and_b32_e32 v56, 7, v56
	v_cmp_gt_u32_e32 vcc, 8, v36
	v_cndmask_b32_e32 v36, v58, v57, vcc
	v_cndmask_b32_e32 v53, v53, v56, vcc
	v_lshlrev_b32_e32 v34, 24, v34
	v_bfrev_b32_e32 v56, 60
	v_lshlrev_b32_e32 v53, 20, v53
	v_and_b32_e32 v34, 0x80000000, v34
	v_lshl_add_u32 v36, v36, 23, v56
	v_or3_b32 v56, v34, v36, v53
.LBB578_83:
	s_or_b64 exec, exec, s[10:11]
.LBB578_84:
	s_or_b64 exec, exec, s[8:9]
.LBB578_85:
	s_or_b64 exec, exec, s[2:3]
	v_cmp_ne_u16_sdwa s[8:9], v37, v55 src0_sel:BYTE_0 src1_sel:DWORD
	s_and_saveexec_b64 s[2:3], s[8:9]
	s_cbranch_execz .LBB578_91
; %bb.86:
	s_movk_i32 s8, 0x80
	v_cmp_ne_u16_sdwa s[10:11], v37, s8 src0_sel:BYTE_0 src1_sel:DWORD
	v_bfrev_b32_e32 v55, 1
	s_and_saveexec_b64 s[8:9], s[10:11]
	s_cbranch_execz .LBB578_90
; %bb.87:
	s_movk_i32 s10, 0x7f
	v_and_b32_e32 v34, 0x7f, v37
	v_cmp_ne_u32_e32 vcc, s10, v34
	v_mov_b32_e32 v55, 0x7f800001
	s_and_saveexec_b64 s[10:11], vcc
	s_cbranch_execz .LBB578_89
; %bb.88:
	v_and_b32_e32 v53, 7, v37
	v_ffbh_u32_e32 v57, v53
	v_min_u32_e32 v57, 32, v57
	v_mov_b32_e32 v36, v37
	v_subrev_u32_e32 v58, 28, v57
	v_lshlrev_b64 v[58:59], v58, v[36:37]
	v_lshrrev_b32_e32 v55, 3, v34
	v_sub_u32_e32 v36, 29, v57
	v_and_b32_e32 v57, 7, v58
	v_cmp_gt_u32_e32 vcc, 8, v34
	v_cndmask_b32_e32 v34, v55, v36, vcc
	v_cndmask_b32_e32 v36, v53, v57, vcc
	v_lshlrev_b32_e32 v53, 24, v37
	v_bfrev_b32_e32 v55, 60
	v_lshlrev_b32_e32 v36, 20, v36
	v_and_b32_e32 v53, 0x80000000, v53
	v_lshl_add_u32 v34, v34, 23, v55
	v_or3_b32 v55, v53, v34, v36
.LBB578_89:
	s_or_b64 exec, exec, s[10:11]
.LBB578_90:
	s_or_b64 exec, exec, s[8:9]
.LBB578_91:
	s_or_b64 exec, exec, s[2:3]
	v_lshrrev_b16_e32 v34, 8, v37
	v_cmp_ne_u16_e32 vcc, 0, v34
	v_mov_b32_e32 v36, 0
	v_mov_b32_e32 v57, 0
	s_and_saveexec_b64 s[2:3], vcc
	s_cbranch_execz .LBB578_97
; %bb.92:
	s_movk_i32 s8, 0x80
	v_cmp_ne_u16_e32 vcc, s8, v34
	v_bfrev_b32_e32 v57, 1
	s_and_saveexec_b64 s[8:9], vcc
	s_cbranch_execz .LBB578_96
; %bb.93:
	s_movk_i32 s10, 0x7f
	v_and_b32_e32 v53, 0x7f, v34
	v_cmp_ne_u32_e32 vcc, s10, v53
	v_mov_b32_e32 v57, 0x7f800001
	s_and_saveexec_b64 s[10:11], vcc
	s_cbranch_execz .LBB578_95
; %bb.94:
	v_and_b32_e32 v57, 7, v34
	v_ffbh_u32_e32 v58, v57
	v_min_u32_e32 v61, 32, v58
	v_subrev_u32_e32 v58, 28, v61
	v_lshlrev_b64 v[58:59], v58, v[34:35]
	v_lshrrev_b32_e32 v60, 3, v53
	v_sub_u32_e32 v34, 29, v61
	v_and_b32_e32 v58, 7, v58
	v_cmp_gt_u32_e32 vcc, 8, v53
	v_cndmask_b32_e32 v34, v60, v34, vcc
	v_cndmask_b32_e32 v53, v57, v58, vcc
	v_lshlrev_b32_e32 v57, 16, v37
	v_bfrev_b32_e32 v58, 60
	v_lshlrev_b32_e32 v53, 20, v53
	v_and_b32_e32 v57, 0x80000000, v57
	v_lshl_add_u32 v34, v34, 23, v58
	v_or3_b32 v57, v57, v34, v53
.LBB578_95:
	s_or_b64 exec, exec, s[10:11]
.LBB578_96:
	s_or_b64 exec, exec, s[8:9]
.LBB578_97:
	s_or_b64 exec, exec, s[2:3]
	s_movk_i32 s2, 0xff
	v_and_b32_sdwa v53, v37, s2 dst_sel:DWORD dst_unused:UNUSED_PAD src0_sel:WORD_1 src1_sel:DWORD
	v_lshrrev_b32_e32 v34, 16, v37
	v_cmp_ne_u16_e32 vcc, 0, v53
	s_and_saveexec_b64 s[2:3], vcc
	s_cbranch_execz .LBB578_103
; %bb.98:
	s_movk_i32 s8, 0x80
	v_cmp_ne_u16_e32 vcc, s8, v53
	v_bfrev_b32_e32 v36, 1
	s_and_saveexec_b64 s[8:9], vcc
	s_cbranch_execz .LBB578_102
; %bb.99:
	v_bfe_u32 v53, v37, 16, 7
	s_movk_i32 s10, 0x7f
	v_cmp_ne_u32_e32 vcc, s10, v53
	v_mov_b32_e32 v36, 0x7f800001
	s_and_saveexec_b64 s[10:11], vcc
	s_cbranch_execz .LBB578_101
; %bb.100:
	v_and_b32_e32 v36, 7, v34
	v_ffbh_u32_e32 v58, v36
	v_min_u32_e32 v61, 32, v58
	v_subrev_u32_e32 v58, 28, v61
	v_lshlrev_b64 v[58:59], v58, v[34:35]
	v_lshrrev_b32_e32 v60, 3, v53
	v_sub_u32_e32 v34, 29, v61
	v_and_b32_e32 v58, 7, v58
	v_cmp_gt_u32_e32 vcc, 8, v53
	v_mov_b32_e32 v53, 24
	v_cndmask_b32_e32 v34, v60, v34, vcc
	v_cndmask_b32_e32 v36, v36, v58, vcc
	v_lshlrev_b32_sdwa v53, v53, v37 dst_sel:DWORD dst_unused:UNUSED_PAD src0_sel:DWORD src1_sel:WORD_1
	v_bfrev_b32_e32 v58, 60
	v_lshlrev_b32_e32 v36, 20, v36
	v_and_b32_e32 v53, 0x80000000, v53
	v_lshl_add_u32 v34, v34, 23, v58
	v_or3_b32 v36, v53, v34, v36
.LBB578_101:
	s_or_b64 exec, exec, s[10:11]
.LBB578_102:
	s_or_b64 exec, exec, s[8:9]
.LBB578_103:
	s_or_b64 exec, exec, s[2:3]
	s_mov_b32 s2, 0xffffff
	v_cmp_lt_u32_e32 vcc, s2, v37
	v_mov_b32_e32 v53, 0
	v_mov_b32_e32 v58, 0
	s_and_saveexec_b64 s[2:3], vcc
	s_cbranch_execz .LBB578_109
; %bb.104:
	v_lshrrev_b32_e32 v34, 24, v37
	s_movk_i32 s8, 0x80
	v_cmp_ne_u32_e32 vcc, s8, v34
	v_bfrev_b32_e32 v58, 1
	s_and_saveexec_b64 s[8:9], vcc
	s_cbranch_execz .LBB578_108
; %bb.105:
	v_bfe_u32 v37, v37, 24, 7
	s_movk_i32 s10, 0x7f
	v_cmp_ne_u32_e32 vcc, s10, v37
	v_mov_b32_e32 v58, 0x7f800001
	s_and_saveexec_b64 s[10:11], vcc
	s_cbranch_execz .LBB578_107
; %bb.106:
	v_and_b32_e32 v60, 7, v34
	v_ffbh_u32_e32 v58, v60
	v_min_u32_e32 v62, 32, v58
	v_subrev_u32_e32 v58, 28, v62
	v_lshlrev_b64 v[58:59], v58, v[34:35]
	v_lshrrev_b32_e32 v61, 3, v37
	v_sub_u32_e32 v59, 29, v62
	v_and_b32_e32 v58, 7, v58
	v_cmp_gt_u32_e32 vcc, 8, v37
	v_cndmask_b32_e32 v37, v61, v59, vcc
	v_cndmask_b32_e32 v58, v60, v58, vcc
	v_lshlrev_b32_e32 v34, 24, v34
	v_bfrev_b32_e32 v59, 60
	v_lshlrev_b32_e32 v58, 20, v58
	v_and_b32_e32 v34, 0x80000000, v34
	v_lshl_add_u32 v37, v37, 23, v59
	v_or3_b32 v58, v34, v37, v58
.LBB578_107:
	s_or_b64 exec, exec, s[10:11]
.LBB578_108:
	s_or_b64 exec, exec, s[8:9]
.LBB578_109:
	s_or_b64 exec, exec, s[2:3]
	v_cvt_pkrtz_f16_f32 v34, v52, v54
	v_cvt_pkrtz_f16_f32 v35, v35, v56
	v_cmp_ne_u16_sdwa s[8:9], v38, v53 src0_sel:BYTE_0 src1_sel:DWORD
	s_nop 0
	v_mfma_f32_16x16x16f16 v[42:45], v[34:35], v[18:19], v[42:45]
	v_cvt_pkrtz_f16_f32 v34, v55, v57
	v_cvt_pkrtz_f16_f32 v35, v36, v58
	s_nop 1
	v_mfma_f32_16x16x16f16 v[34:37], v[34:35], v[20:21], v[42:45]
	s_and_saveexec_b64 s[2:3], s[8:9]
	s_cbranch_execz .LBB578_115
; %bb.110:
	s_movk_i32 s8, 0x80
	v_cmp_ne_u16_sdwa s[10:11], v38, s8 src0_sel:BYTE_0 src1_sel:DWORD
	v_bfrev_b32_e32 v53, 1
	s_and_saveexec_b64 s[8:9], s[10:11]
	s_cbranch_execz .LBB578_114
; %bb.111:
	s_movk_i32 s10, 0x7f
	v_and_b32_e32 v42, 0x7f, v38
	v_cmp_ne_u32_e32 vcc, s10, v42
	v_mov_b32_e32 v53, 0x7f800001
	s_and_saveexec_b64 s[10:11], vcc
	s_cbranch_execz .LBB578_113
; %bb.112:
	v_and_b32_e32 v43, 7, v38
	v_ffbh_u32_e32 v44, v43
	v_min_u32_e32 v53, 32, v44
	v_subrev_u32_e32 v44, 28, v53
	v_lshlrev_b64 v[44:45], v44, v[38:39]
	v_lshrrev_b32_e32 v52, 3, v42
	v_sub_u32_e32 v45, 29, v53
	v_and_b32_e32 v44, 7, v44
	v_cmp_gt_u32_e32 vcc, 8, v42
	v_cndmask_b32_e32 v42, v52, v45, vcc
	v_cndmask_b32_e32 v43, v43, v44, vcc
	v_lshlrev_b32_e32 v44, 24, v38
	v_bfrev_b32_e32 v45, 60
	v_lshlrev_b32_e32 v43, 20, v43
	v_and_b32_e32 v44, 0x80000000, v44
	v_lshl_add_u32 v42, v42, 23, v45
	v_or3_b32 v53, v44, v42, v43
.LBB578_113:
	s_or_b64 exec, exec, s[10:11]
.LBB578_114:
	s_or_b64 exec, exec, s[8:9]
.LBB578_115:
	s_or_b64 exec, exec, s[2:3]
	s_nop 3
	v_lshrrev_b16_e32 v42, 8, v38
	v_cmp_ne_u16_e32 vcc, 0, v42
	v_mov_b32_e32 v43, 0
	v_mov_b32_e32 v44, 0
	s_and_saveexec_b64 s[2:3], vcc
	s_cbranch_execz .LBB578_121
; %bb.116:
	s_movk_i32 s8, 0x80
	v_cmp_ne_u16_e32 vcc, s8, v42
	v_bfrev_b32_e32 v44, 1
	s_and_saveexec_b64 s[8:9], vcc
	s_cbranch_execz .LBB578_120
; %bb.117:
	s_movk_i32 s10, 0x7f
	v_and_b32_e32 v45, 0x7f, v42
	v_cmp_ne_u32_e32 vcc, s10, v45
	v_mov_b32_e32 v44, 0x7f800001
	s_and_saveexec_b64 s[10:11], vcc
	s_cbranch_execz .LBB578_119
; %bb.118:
	v_and_b32_e32 v44, 7, v42
	v_ffbh_u32_e32 v54, v44
	v_min_u32_e32 v56, 32, v54
	v_subrev_u32_e32 v54, 28, v56
	v_lshlrev_b64 v[54:55], v54, v[42:43]
	v_lshrrev_b32_e32 v52, 3, v45
	v_sub_u32_e32 v42, 29, v56
	v_and_b32_e32 v54, 7, v54
	v_cmp_gt_u32_e32 vcc, 8, v45
	v_cndmask_b32_e32 v42, v52, v42, vcc
	v_cndmask_b32_e32 v44, v44, v54, vcc
	v_lshlrev_b32_e32 v45, 16, v38
	v_bfrev_b32_e32 v52, 60
	v_lshlrev_b32_e32 v44, 20, v44
	v_and_b32_e32 v45, 0x80000000, v45
	v_lshl_add_u32 v42, v42, 23, v52
	v_or3_b32 v44, v45, v42, v44
.LBB578_119:
	s_or_b64 exec, exec, s[10:11]
.LBB578_120:
	s_or_b64 exec, exec, s[8:9]
.LBB578_121:
	s_or_b64 exec, exec, s[2:3]
	s_movk_i32 s2, 0xff
	v_and_b32_sdwa v45, v38, s2 dst_sel:DWORD dst_unused:UNUSED_PAD src0_sel:WORD_1 src1_sel:DWORD
	v_lshrrev_b32_e32 v42, 16, v38
	v_cmp_ne_u16_e32 vcc, 0, v45
	s_and_saveexec_b64 s[2:3], vcc
	s_cbranch_execz .LBB578_127
; %bb.122:
	s_movk_i32 s8, 0x80
	v_cmp_ne_u16_e32 vcc, s8, v45
	v_bfrev_b32_e32 v43, 1
	s_and_saveexec_b64 s[8:9], vcc
	s_cbranch_execz .LBB578_126
; %bb.123:
	v_bfe_u32 v45, v38, 16, 7
	s_movk_i32 s10, 0x7f
	v_cmp_ne_u32_e32 vcc, s10, v45
	v_mov_b32_e32 v43, 0x7f800001
	s_and_saveexec_b64 s[10:11], vcc
	s_cbranch_execz .LBB578_125
; %bb.124:
	v_and_b32_e32 v52, 7, v42
	v_ffbh_u32_e32 v43, v52
	v_min_u32_e32 v55, 32, v43
	v_subrev_u32_e32 v43, 28, v55
	v_lshlrev_b64 v[42:43], v43, v[42:43]
	v_lshrrev_b32_e32 v54, 3, v45
	v_sub_u32_e32 v43, 29, v55
	v_and_b32_e32 v42, 7, v42
	v_cmp_gt_u32_e32 vcc, 8, v45
	v_mov_b32_e32 v45, 24
	v_cndmask_b32_e32 v43, v54, v43, vcc
	v_cndmask_b32_e32 v42, v52, v42, vcc
	v_lshlrev_b32_sdwa v45, v45, v38 dst_sel:DWORD dst_unused:UNUSED_PAD src0_sel:DWORD src1_sel:WORD_1
	v_bfrev_b32_e32 v52, 60
	v_lshlrev_b32_e32 v42, 20, v42
	v_and_b32_e32 v45, 0x80000000, v45
	v_lshl_add_u32 v43, v43, 23, v52
	v_or3_b32 v43, v45, v43, v42
.LBB578_125:
	s_or_b64 exec, exec, s[10:11]
.LBB578_126:
	s_or_b64 exec, exec, s[8:9]
.LBB578_127:
	s_or_b64 exec, exec, s[2:3]
	s_mov_b32 s2, 0xffffff
	v_cmp_lt_u32_e32 vcc, s2, v38
	v_mov_b32_e32 v45, 0
	v_mov_b32_e32 v54, 0
	s_and_saveexec_b64 s[2:3], vcc
	s_cbranch_execz .LBB578_133
; %bb.128:
	v_lshrrev_b32_e32 v42, 24, v38
	s_movk_i32 s8, 0x80
	v_cmp_ne_u32_e32 vcc, s8, v42
	v_bfrev_b32_e32 v54, 1
	s_and_saveexec_b64 s[8:9], vcc
	s_cbranch_execz .LBB578_132
; %bb.129:
	v_bfe_u32 v38, v38, 24, 7
	s_movk_i32 s10, 0x7f
	v_cmp_ne_u32_e32 vcc, s10, v38
	v_mov_b32_e32 v54, 0x7f800001
	s_and_saveexec_b64 s[10:11], vcc
	s_cbranch_execz .LBB578_131
; %bb.130:
	v_and_b32_e32 v52, 7, v42
	v_ffbh_u32_e32 v54, v52
	v_min_u32_e32 v57, 32, v54
	v_subrev_u32_e32 v54, 28, v57
	v_lshlrev_b64 v[54:55], v54, v[42:43]
	v_lshrrev_b32_e32 v56, 3, v38
	v_sub_u32_e32 v55, 29, v57
	v_and_b32_e32 v54, 7, v54
	v_cmp_gt_u32_e32 vcc, 8, v38
	v_cndmask_b32_e32 v38, v56, v55, vcc
	v_cndmask_b32_e32 v52, v52, v54, vcc
	v_lshlrev_b32_e32 v42, 24, v42
	v_bfrev_b32_e32 v54, 60
	v_lshlrev_b32_e32 v52, 20, v52
	v_and_b32_e32 v42, 0x80000000, v42
	v_lshl_add_u32 v38, v38, 23, v54
	v_or3_b32 v54, v42, v38, v52
.LBB578_131:
	s_or_b64 exec, exec, s[10:11]
.LBB578_132:
	s_or_b64 exec, exec, s[8:9]
.LBB578_133:
	s_or_b64 exec, exec, s[2:3]
	v_cmp_ne_u16_sdwa s[8:9], v39, v45 src0_sel:BYTE_0 src1_sel:DWORD
	s_and_saveexec_b64 s[2:3], s[8:9]
	s_cbranch_execz .LBB578_139
; %bb.134:
	s_movk_i32 s8, 0x80
	v_cmp_ne_u16_sdwa s[10:11], v39, s8 src0_sel:BYTE_0 src1_sel:DWORD
	v_bfrev_b32_e32 v45, 1
	s_and_saveexec_b64 s[8:9], s[10:11]
	s_cbranch_execz .LBB578_138
; %bb.135:
	s_movk_i32 s10, 0x7f
	v_and_b32_e32 v38, 0x7f, v39
	v_cmp_ne_u32_e32 vcc, s10, v38
	v_mov_b32_e32 v45, 0x7f800001
	s_and_saveexec_b64 s[10:11], vcc
	s_cbranch_execz .LBB578_137
; %bb.136:
	v_and_b32_e32 v45, 7, v39
	v_ffbh_u32_e32 v55, v45
	v_min_u32_e32 v55, 32, v55
	v_mov_b32_e32 v42, v39
	v_subrev_u32_e32 v56, 28, v55
	v_lshlrev_b64 v[56:57], v56, v[42:43]
	v_lshrrev_b32_e32 v52, 3, v38
	v_sub_u32_e32 v42, 29, v55
	v_and_b32_e32 v55, 7, v56
	v_cmp_gt_u32_e32 vcc, 8, v38
	v_cndmask_b32_e32 v38, v52, v42, vcc
	v_cndmask_b32_e32 v42, v45, v55, vcc
	v_lshlrev_b32_e32 v45, 24, v39
	v_bfrev_b32_e32 v52, 60
	v_lshlrev_b32_e32 v42, 20, v42
	v_and_b32_e32 v45, 0x80000000, v45
	v_lshl_add_u32 v38, v38, 23, v52
	v_or3_b32 v45, v45, v38, v42
.LBB578_137:
	s_or_b64 exec, exec, s[10:11]
.LBB578_138:
	s_or_b64 exec, exec, s[8:9]
.LBB578_139:
	s_or_b64 exec, exec, s[2:3]
	v_lshrrev_b16_e32 v38, 8, v39
	v_cmp_ne_u16_e32 vcc, 0, v38
	v_mov_b32_e32 v42, 0
	v_mov_b32_e32 v55, 0
	s_and_saveexec_b64 s[2:3], vcc
	s_cbranch_execz .LBB578_145
; %bb.140:
	s_movk_i32 s8, 0x80
	v_cmp_ne_u16_e32 vcc, s8, v38
	v_bfrev_b32_e32 v55, 1
	s_and_saveexec_b64 s[8:9], vcc
	s_cbranch_execz .LBB578_144
; %bb.141:
	s_movk_i32 s10, 0x7f
	v_and_b32_e32 v52, 0x7f, v38
	v_cmp_ne_u32_e32 vcc, s10, v52
	v_mov_b32_e32 v55, 0x7f800001
	s_and_saveexec_b64 s[10:11], vcc
	s_cbranch_execz .LBB578_143
; %bb.142:
	v_and_b32_e32 v55, 7, v38
	v_ffbh_u32_e32 v56, v55
	v_min_u32_e32 v59, 32, v56
	v_subrev_u32_e32 v56, 28, v59
	v_lshlrev_b64 v[56:57], v56, v[38:39]
	v_lshrrev_b32_e32 v58, 3, v52
	v_sub_u32_e32 v38, 29, v59
	v_and_b32_e32 v56, 7, v56
	v_cmp_gt_u32_e32 vcc, 8, v52
	v_cndmask_b32_e32 v38, v58, v38, vcc
	v_cndmask_b32_e32 v52, v55, v56, vcc
	v_lshlrev_b32_e32 v55, 16, v39
	v_bfrev_b32_e32 v56, 60
	v_lshlrev_b32_e32 v52, 20, v52
	v_and_b32_e32 v55, 0x80000000, v55
	v_lshl_add_u32 v38, v38, 23, v56
	v_or3_b32 v55, v55, v38, v52
.LBB578_143:
	s_or_b64 exec, exec, s[10:11]
.LBB578_144:
	s_or_b64 exec, exec, s[8:9]
.LBB578_145:
	s_or_b64 exec, exec, s[2:3]
	s_movk_i32 s2, 0xff
	v_and_b32_sdwa v52, v39, s2 dst_sel:DWORD dst_unused:UNUSED_PAD src0_sel:WORD_1 src1_sel:DWORD
	v_lshrrev_b32_e32 v38, 16, v39
	v_cmp_ne_u16_e32 vcc, 0, v52
	s_and_saveexec_b64 s[2:3], vcc
	s_cbranch_execz .LBB578_151
; %bb.146:
	s_movk_i32 s8, 0x80
	v_cmp_ne_u16_e32 vcc, s8, v52
	v_bfrev_b32_e32 v42, 1
	s_and_saveexec_b64 s[8:9], vcc
	s_cbranch_execz .LBB578_150
; %bb.147:
	v_bfe_u32 v52, v39, 16, 7
	s_movk_i32 s10, 0x7f
	v_cmp_ne_u32_e32 vcc, s10, v52
	v_mov_b32_e32 v42, 0x7f800001
	s_and_saveexec_b64 s[10:11], vcc
	s_cbranch_execz .LBB578_149
; %bb.148:
	v_and_b32_e32 v42, 7, v38
	v_ffbh_u32_e32 v56, v42
	v_min_u32_e32 v59, 32, v56
	v_subrev_u32_e32 v56, 28, v59
	v_lshlrev_b64 v[56:57], v56, v[38:39]
	v_lshrrev_b32_e32 v58, 3, v52
	v_sub_u32_e32 v38, 29, v59
	v_and_b32_e32 v56, 7, v56
	v_cmp_gt_u32_e32 vcc, 8, v52
	v_mov_b32_e32 v52, 24
	v_cndmask_b32_e32 v38, v58, v38, vcc
	v_cndmask_b32_e32 v42, v42, v56, vcc
	v_lshlrev_b32_sdwa v52, v52, v39 dst_sel:DWORD dst_unused:UNUSED_PAD src0_sel:DWORD src1_sel:WORD_1
	v_bfrev_b32_e32 v56, 60
	v_lshlrev_b32_e32 v42, 20, v42
	v_and_b32_e32 v52, 0x80000000, v52
	v_lshl_add_u32 v38, v38, 23, v56
	v_or3_b32 v42, v52, v38, v42
.LBB578_149:
	s_or_b64 exec, exec, s[10:11]
.LBB578_150:
	s_or_b64 exec, exec, s[8:9]
.LBB578_151:
	s_or_b64 exec, exec, s[2:3]
	s_mov_b32 s2, 0xffffff
	v_cmp_lt_u32_e32 vcc, s2, v39
	v_mov_b32_e32 v52, 0
	v_mov_b32_e32 v56, 0
	s_and_saveexec_b64 s[2:3], vcc
	s_cbranch_execz .LBB578_157
; %bb.152:
	v_lshrrev_b32_e32 v38, 24, v39
	s_movk_i32 s8, 0x80
	v_cmp_ne_u32_e32 vcc, s8, v38
	v_bfrev_b32_e32 v56, 1
	s_and_saveexec_b64 s[8:9], vcc
	s_cbranch_execz .LBB578_156
; %bb.153:
	v_bfe_u32 v39, v39, 24, 7
	s_movk_i32 s10, 0x7f
	v_cmp_ne_u32_e32 vcc, s10, v39
	v_mov_b32_e32 v56, 0x7f800001
	s_and_saveexec_b64 s[10:11], vcc
	s_cbranch_execz .LBB578_155
; %bb.154:
	v_and_b32_e32 v58, 7, v38
	v_ffbh_u32_e32 v56, v58
	v_min_u32_e32 v60, 32, v56
	v_subrev_u32_e32 v56, 28, v60
	v_lshlrev_b64 v[56:57], v56, v[38:39]
	v_lshrrev_b32_e32 v59, 3, v39
	v_sub_u32_e32 v57, 29, v60
	v_and_b32_e32 v56, 7, v56
	v_cmp_gt_u32_e32 vcc, 8, v39
	v_cndmask_b32_e32 v39, v59, v57, vcc
	v_cndmask_b32_e32 v56, v58, v56, vcc
	v_lshlrev_b32_e32 v38, 24, v38
	v_bfrev_b32_e32 v57, 60
	v_lshlrev_b32_e32 v56, 20, v56
	v_and_b32_e32 v38, 0x80000000, v38
	v_lshl_add_u32 v39, v39, 23, v57
	v_or3_b32 v56, v38, v39, v56
.LBB578_155:
	s_or_b64 exec, exec, s[10:11]
.LBB578_156:
	s_or_b64 exec, exec, s[8:9]
.LBB578_157:
	s_or_b64 exec, exec, s[2:3]
	v_cvt_pkrtz_f16_f32 v38, v53, v44
	v_cvt_pkrtz_f16_f32 v39, v43, v54
	v_cmp_ne_u16_sdwa s[8:9], v40, v52 src0_sel:BYTE_0 src1_sel:DWORD
	s_nop 0
	v_mfma_f32_16x16x16f16 v[58:61], v[38:39], v[26:27], 0
	v_cvt_pkrtz_f16_f32 v38, v45, v55
	v_cvt_pkrtz_f16_f32 v39, v42, v56
	s_nop 1
	v_mfma_f32_16x16x16f16 v[42:45], v[38:39], v[28:29], v[58:61]
	s_and_saveexec_b64 s[2:3], s[8:9]
	s_cbranch_execz .LBB578_163
; %bb.158:
	s_movk_i32 s8, 0x80
	v_cmp_ne_u16_sdwa s[10:11], v40, s8 src0_sel:BYTE_0 src1_sel:DWORD
	v_bfrev_b32_e32 v52, 1
	s_and_saveexec_b64 s[8:9], s[10:11]
	s_cbranch_execz .LBB578_162
; %bb.159:
	s_movk_i32 s10, 0x7f
	v_and_b32_e32 v38, 0x7f, v40
	v_cmp_ne_u32_e32 vcc, s10, v38
	v_mov_b32_e32 v52, 0x7f800001
	s_and_saveexec_b64 s[10:11], vcc
	s_cbranch_execz .LBB578_161
; %bb.160:
	v_and_b32_e32 v39, 7, v40
	v_ffbh_u32_e32 v52, v39
	v_min_u32_e32 v55, 32, v52
	v_subrev_u32_e32 v52, 28, v55
	v_lshlrev_b64 v[52:53], v52, v[40:41]
	v_lshrrev_b32_e32 v54, 3, v38
	v_sub_u32_e32 v53, 29, v55
	v_and_b32_e32 v52, 7, v52
	v_cmp_gt_u32_e32 vcc, 8, v38
	v_cndmask_b32_e32 v38, v54, v53, vcc
	v_cndmask_b32_e32 v39, v39, v52, vcc
	v_lshlrev_b32_e32 v52, 24, v40
	v_bfrev_b32_e32 v53, 60
	v_lshlrev_b32_e32 v39, 20, v39
	v_and_b32_e32 v52, 0x80000000, v52
	v_lshl_add_u32 v38, v38, 23, v53
	v_or3_b32 v52, v52, v38, v39
.LBB578_161:
	s_or_b64 exec, exec, s[10:11]
.LBB578_162:
	s_or_b64 exec, exec, s[8:9]
.LBB578_163:
	s_or_b64 exec, exec, s[2:3]
	v_lshrrev_b16_e32 v38, 8, v40
	v_cmp_ne_u16_e32 vcc, 0, v38
	v_mov_b32_e32 v39, 0
	v_mov_b32_e32 v54, 0
	s_and_saveexec_b64 s[2:3], vcc
	s_cbranch_execz .LBB578_169
; %bb.164:
	s_movk_i32 s8, 0x80
	v_cmp_ne_u16_e32 vcc, s8, v38
	v_bfrev_b32_e32 v54, 1
	s_and_saveexec_b64 s[8:9], vcc
	s_cbranch_execz .LBB578_168
; %bb.165:
	s_movk_i32 s10, 0x7f
	v_and_b32_e32 v53, 0x7f, v38
	v_cmp_ne_u32_e32 vcc, s10, v53
	v_mov_b32_e32 v54, 0x7f800001
	s_and_saveexec_b64 s[10:11], vcc
	s_cbranch_execz .LBB578_167
; %bb.166:
	v_and_b32_e32 v56, 7, v38
	v_ffbh_u32_e32 v54, v56
	v_min_u32_e32 v58, 32, v54
	v_subrev_u32_e32 v54, 28, v58
	v_lshlrev_b64 v[54:55], v54, v[38:39]
	v_lshrrev_b32_e32 v57, 3, v53
	v_sub_u32_e32 v38, 29, v58
	v_and_b32_e32 v54, 7, v54
	v_cmp_gt_u32_e32 vcc, 8, v53
	v_cndmask_b32_e32 v38, v57, v38, vcc
	v_cndmask_b32_e32 v53, v56, v54, vcc
	v_lshlrev_b32_e32 v54, 16, v40
	v_bfrev_b32_e32 v55, 60
	v_lshlrev_b32_e32 v53, 20, v53
	v_and_b32_e32 v54, 0x80000000, v54
	v_lshl_add_u32 v38, v38, 23, v55
	v_or3_b32 v54, v54, v38, v53
.LBB578_167:
	s_or_b64 exec, exec, s[10:11]
.LBB578_168:
	s_or_b64 exec, exec, s[8:9]
.LBB578_169:
	s_or_b64 exec, exec, s[2:3]
	s_movk_i32 s2, 0xff
	v_and_b32_sdwa v53, v40, s2 dst_sel:DWORD dst_unused:UNUSED_PAD src0_sel:WORD_1 src1_sel:DWORD
	v_lshrrev_b32_e32 v38, 16, v40
	v_cmp_ne_u16_e32 vcc, 0, v53
	s_and_saveexec_b64 s[2:3], vcc
	s_cbranch_execz .LBB578_175
; %bb.170:
	s_movk_i32 s8, 0x80
	v_cmp_ne_u16_e32 vcc, s8, v53
	v_bfrev_b32_e32 v39, 1
	s_and_saveexec_b64 s[8:9], vcc
	s_cbranch_execz .LBB578_174
; %bb.171:
	v_bfe_u32 v53, v40, 16, 7
	s_movk_i32 s10, 0x7f
	v_cmp_ne_u32_e32 vcc, s10, v53
	v_mov_b32_e32 v39, 0x7f800001
	s_and_saveexec_b64 s[10:11], vcc
	s_cbranch_execz .LBB578_173
; %bb.172:
	v_and_b32_e32 v55, 7, v38
	v_ffbh_u32_e32 v39, v55
	v_min_u32_e32 v57, 32, v39
	v_subrev_u32_e32 v39, 28, v57
	v_lshlrev_b64 v[38:39], v39, v[38:39]
	v_lshrrev_b32_e32 v56, 3, v53
	v_sub_u32_e32 v39, 29, v57
	v_and_b32_e32 v38, 7, v38
	v_cmp_gt_u32_e32 vcc, 8, v53
	v_mov_b32_e32 v53, 24
	v_cndmask_b32_e32 v39, v56, v39, vcc
	v_cndmask_b32_e32 v38, v55, v38, vcc
	v_lshlrev_b32_sdwa v53, v53, v40 dst_sel:DWORD dst_unused:UNUSED_PAD src0_sel:DWORD src1_sel:WORD_1
	v_bfrev_b32_e32 v55, 60
	v_lshlrev_b32_e32 v38, 20, v38
	v_and_b32_e32 v53, 0x80000000, v53
	v_lshl_add_u32 v39, v39, 23, v55
	v_or3_b32 v39, v53, v39, v38
.LBB578_173:
	s_or_b64 exec, exec, s[10:11]
.LBB578_174:
	s_or_b64 exec, exec, s[8:9]
.LBB578_175:
	s_or_b64 exec, exec, s[2:3]
	s_mov_b32 s2, 0xffffff
	v_cmp_lt_u32_e32 vcc, s2, v40
	v_mov_b32_e32 v55, 0
	v_mov_b32_e32 v56, 0
	s_and_saveexec_b64 s[2:3], vcc
	s_cbranch_execz .LBB578_181
; %bb.176:
	v_lshrrev_b32_e32 v38, 24, v40
	s_movk_i32 s8, 0x80
	v_cmp_ne_u32_e32 vcc, s8, v38
	v_bfrev_b32_e32 v56, 1
	s_and_saveexec_b64 s[8:9], vcc
	s_cbranch_execz .LBB578_180
; %bb.177:
	v_bfe_u32 v40, v40, 24, 7
	s_movk_i32 s10, 0x7f
	v_cmp_ne_u32_e32 vcc, s10, v40
	v_mov_b32_e32 v56, 0x7f800001
	s_and_saveexec_b64 s[10:11], vcc
	s_cbranch_execz .LBB578_179
; %bb.178:
	v_and_b32_e32 v53, 7, v38
	v_ffbh_u32_e32 v56, v53
	v_min_u32_e32 v59, 32, v56
	v_subrev_u32_e32 v56, 28, v59
	v_lshlrev_b64 v[56:57], v56, v[38:39]
	v_lshrrev_b32_e32 v58, 3, v40
	v_sub_u32_e32 v57, 29, v59
	v_and_b32_e32 v56, 7, v56
	v_cmp_gt_u32_e32 vcc, 8, v40
	v_cndmask_b32_e32 v40, v58, v57, vcc
	v_cndmask_b32_e32 v53, v53, v56, vcc
	v_lshlrev_b32_e32 v38, 24, v38
	v_bfrev_b32_e32 v56, 60
	v_lshlrev_b32_e32 v53, 20, v53
	v_and_b32_e32 v38, 0x80000000, v38
	v_lshl_add_u32 v40, v40, 23, v56
	v_or3_b32 v56, v38, v40, v53
.LBB578_179:
	s_or_b64 exec, exec, s[10:11]
.LBB578_180:
	s_or_b64 exec, exec, s[8:9]
.LBB578_181:
	s_or_b64 exec, exec, s[2:3]
	v_cmp_ne_u16_sdwa s[8:9], v41, v55 src0_sel:BYTE_0 src1_sel:DWORD
	s_and_saveexec_b64 s[2:3], s[8:9]
	s_cbranch_execz .LBB578_187
; %bb.182:
	s_movk_i32 s8, 0x80
	v_cmp_ne_u16_sdwa s[10:11], v41, s8 src0_sel:BYTE_0 src1_sel:DWORD
	v_bfrev_b32_e32 v55, 1
	s_and_saveexec_b64 s[8:9], s[10:11]
	s_cbranch_execz .LBB578_186
; %bb.183:
	s_movk_i32 s10, 0x7f
	v_and_b32_e32 v38, 0x7f, v41
	v_cmp_ne_u32_e32 vcc, s10, v38
	v_mov_b32_e32 v55, 0x7f800001
	s_and_saveexec_b64 s[10:11], vcc
	s_cbranch_execz .LBB578_185
; %bb.184:
	v_and_b32_e32 v53, 7, v41
	v_ffbh_u32_e32 v57, v53
	v_min_u32_e32 v57, 32, v57
	v_mov_b32_e32 v40, v41
	v_subrev_u32_e32 v58, 28, v57
	v_lshlrev_b64 v[58:59], v58, v[40:41]
	v_lshrrev_b32_e32 v55, 3, v38
	v_sub_u32_e32 v40, 29, v57
	v_and_b32_e32 v57, 7, v58
	v_cmp_gt_u32_e32 vcc, 8, v38
	v_cndmask_b32_e32 v38, v55, v40, vcc
	v_cndmask_b32_e32 v40, v53, v57, vcc
	v_lshlrev_b32_e32 v53, 24, v41
	v_bfrev_b32_e32 v55, 60
	v_lshlrev_b32_e32 v40, 20, v40
	v_and_b32_e32 v53, 0x80000000, v53
	v_lshl_add_u32 v38, v38, 23, v55
	v_or3_b32 v55, v53, v38, v40
.LBB578_185:
	s_or_b64 exec, exec, s[10:11]
.LBB578_186:
	s_or_b64 exec, exec, s[8:9]
.LBB578_187:
	s_or_b64 exec, exec, s[2:3]
	v_lshrrev_b16_e32 v38, 8, v41
	v_cmp_ne_u16_e32 vcc, 0, v38
	v_mov_b32_e32 v40, 0
	v_mov_b32_e32 v57, 0
	s_and_saveexec_b64 s[2:3], vcc
	s_cbranch_execz .LBB578_193
; %bb.188:
	s_movk_i32 s8, 0x80
	v_cmp_ne_u16_e32 vcc, s8, v38
	v_bfrev_b32_e32 v57, 1
	s_and_saveexec_b64 s[8:9], vcc
	s_cbranch_execz .LBB578_192
; %bb.189:
	s_movk_i32 s10, 0x7f
	v_and_b32_e32 v53, 0x7f, v38
	v_cmp_ne_u32_e32 vcc, s10, v53
	v_mov_b32_e32 v57, 0x7f800001
	s_and_saveexec_b64 s[10:11], vcc
	s_cbranch_execz .LBB578_191
; %bb.190:
	v_and_b32_e32 v57, 7, v38
	v_ffbh_u32_e32 v58, v57
	v_min_u32_e32 v61, 32, v58
	v_subrev_u32_e32 v58, 28, v61
	v_lshlrev_b64 v[58:59], v58, v[38:39]
	v_lshrrev_b32_e32 v60, 3, v53
	v_sub_u32_e32 v38, 29, v61
	v_and_b32_e32 v58, 7, v58
	v_cmp_gt_u32_e32 vcc, 8, v53
	v_cndmask_b32_e32 v38, v60, v38, vcc
	v_cndmask_b32_e32 v53, v57, v58, vcc
	v_lshlrev_b32_e32 v57, 16, v41
	v_bfrev_b32_e32 v58, 60
	v_lshlrev_b32_e32 v53, 20, v53
	v_and_b32_e32 v57, 0x80000000, v57
	v_lshl_add_u32 v38, v38, 23, v58
	v_or3_b32 v57, v57, v38, v53
.LBB578_191:
	s_or_b64 exec, exec, s[10:11]
.LBB578_192:
	s_or_b64 exec, exec, s[8:9]
.LBB578_193:
	s_or_b64 exec, exec, s[2:3]
	s_movk_i32 s2, 0xff
	v_and_b32_sdwa v53, v41, s2 dst_sel:DWORD dst_unused:UNUSED_PAD src0_sel:WORD_1 src1_sel:DWORD
	v_lshrrev_b32_e32 v38, 16, v41
	v_cmp_ne_u16_e32 vcc, 0, v53
	s_and_saveexec_b64 s[2:3], vcc
	s_cbranch_execz .LBB578_199
; %bb.194:
	s_movk_i32 s8, 0x80
	v_cmp_ne_u16_e32 vcc, s8, v53
	v_bfrev_b32_e32 v40, 1
	s_and_saveexec_b64 s[8:9], vcc
	s_cbranch_execz .LBB578_198
; %bb.195:
	v_bfe_u32 v53, v41, 16, 7
	s_movk_i32 s10, 0x7f
	v_cmp_ne_u32_e32 vcc, s10, v53
	v_mov_b32_e32 v40, 0x7f800001
	s_and_saveexec_b64 s[10:11], vcc
	s_cbranch_execz .LBB578_197
; %bb.196:
	v_and_b32_e32 v40, 7, v38
	v_ffbh_u32_e32 v58, v40
	v_min_u32_e32 v61, 32, v58
	v_subrev_u32_e32 v58, 28, v61
	v_lshlrev_b64 v[58:59], v58, v[38:39]
	v_lshrrev_b32_e32 v60, 3, v53
	v_sub_u32_e32 v38, 29, v61
	v_and_b32_e32 v58, 7, v58
	v_cmp_gt_u32_e32 vcc, 8, v53
	v_mov_b32_e32 v53, 24
	v_cndmask_b32_e32 v38, v60, v38, vcc
	v_cndmask_b32_e32 v40, v40, v58, vcc
	v_lshlrev_b32_sdwa v53, v53, v41 dst_sel:DWORD dst_unused:UNUSED_PAD src0_sel:DWORD src1_sel:WORD_1
	v_bfrev_b32_e32 v58, 60
	v_lshlrev_b32_e32 v40, 20, v40
	v_and_b32_e32 v53, 0x80000000, v53
	v_lshl_add_u32 v38, v38, 23, v58
	v_or3_b32 v40, v53, v38, v40
.LBB578_197:
	s_or_b64 exec, exec, s[10:11]
.LBB578_198:
	s_or_b64 exec, exec, s[8:9]
.LBB578_199:
	s_or_b64 exec, exec, s[2:3]
	s_mov_b32 s2, 0xffffff
	v_cmp_lt_u32_e32 vcc, s2, v41
	v_mov_b32_e32 v53, 0
	v_mov_b32_e32 v58, 0
	s_and_saveexec_b64 s[2:3], vcc
	s_cbranch_execz .LBB578_205
; %bb.200:
	v_lshrrev_b32_e32 v38, 24, v41
	s_movk_i32 s8, 0x80
	v_cmp_ne_u32_e32 vcc, s8, v38
	v_bfrev_b32_e32 v58, 1
	s_and_saveexec_b64 s[8:9], vcc
	s_cbranch_execz .LBB578_204
; %bb.201:
	v_bfe_u32 v41, v41, 24, 7
	s_movk_i32 s10, 0x7f
	v_cmp_ne_u32_e32 vcc, s10, v41
	v_mov_b32_e32 v58, 0x7f800001
	s_and_saveexec_b64 s[10:11], vcc
	s_cbranch_execz .LBB578_203
; %bb.202:
	v_and_b32_e32 v60, 7, v38
	v_ffbh_u32_e32 v58, v60
	v_min_u32_e32 v62, 32, v58
	v_subrev_u32_e32 v58, 28, v62
	v_lshlrev_b64 v[58:59], v58, v[38:39]
	v_lshrrev_b32_e32 v61, 3, v41
	v_sub_u32_e32 v59, 29, v62
	v_and_b32_e32 v58, 7, v58
	v_cmp_gt_u32_e32 vcc, 8, v41
	v_cndmask_b32_e32 v41, v61, v59, vcc
	v_cndmask_b32_e32 v58, v60, v58, vcc
	v_lshlrev_b32_e32 v38, 24, v38
	v_bfrev_b32_e32 v59, 60
	v_lshlrev_b32_e32 v58, 20, v58
	v_and_b32_e32 v38, 0x80000000, v38
	v_lshl_add_u32 v41, v41, 23, v59
	v_or3_b32 v58, v38, v41, v58
.LBB578_203:
	s_or_b64 exec, exec, s[10:11]
.LBB578_204:
	s_or_b64 exec, exec, s[8:9]
.LBB578_205:
	s_or_b64 exec, exec, s[2:3]
	v_cvt_pkrtz_f16_f32 v38, v52, v54
	v_cvt_pkrtz_f16_f32 v39, v39, v56
	v_cmp_ne_u16_sdwa s[8:9], v30, v53 src0_sel:BYTE_0 src1_sel:DWORD
	s_nop 0
	v_mfma_f32_16x16x16f16 v[42:45], v[38:39], v[18:19], v[42:45]
	v_cvt_pkrtz_f16_f32 v38, v55, v57
	v_cvt_pkrtz_f16_f32 v39, v40, v58
	s_nop 1
	v_mfma_f32_16x16x16f16 v[38:41], v[38:39], v[20:21], v[42:45]
	s_and_saveexec_b64 s[2:3], s[8:9]
	s_cbranch_execz .LBB578_211
; %bb.206:
	s_movk_i32 s8, 0x80
	v_cmp_ne_u16_sdwa s[10:11], v30, s8 src0_sel:BYTE_0 src1_sel:DWORD
	v_bfrev_b32_e32 v53, 1
	s_and_saveexec_b64 s[8:9], s[10:11]
	s_cbranch_execz .LBB578_210
; %bb.207:
	s_movk_i32 s10, 0x7f
	v_and_b32_e32 v42, 0x7f, v30
	v_cmp_ne_u32_e32 vcc, s10, v42
	v_mov_b32_e32 v53, 0x7f800001
	s_and_saveexec_b64 s[10:11], vcc
	s_cbranch_execz .LBB578_209
; %bb.208:
	v_and_b32_e32 v43, 7, v30
	v_ffbh_u32_e32 v44, v43
	v_min_u32_e32 v53, 32, v44
	v_subrev_u32_e32 v44, 28, v53
	v_lshlrev_b64 v[44:45], v44, v[30:31]
	v_lshrrev_b32_e32 v52, 3, v42
	v_sub_u32_e32 v45, 29, v53
	v_and_b32_e32 v44, 7, v44
	v_cmp_gt_u32_e32 vcc, 8, v42
	v_cndmask_b32_e32 v42, v52, v45, vcc
	v_cndmask_b32_e32 v43, v43, v44, vcc
	v_lshlrev_b32_e32 v44, 24, v30
	v_bfrev_b32_e32 v45, 60
	v_lshlrev_b32_e32 v43, 20, v43
	v_and_b32_e32 v44, 0x80000000, v44
	v_lshl_add_u32 v42, v42, 23, v45
	v_or3_b32 v53, v44, v42, v43
.LBB578_209:
	s_or_b64 exec, exec, s[10:11]
.LBB578_210:
	s_or_b64 exec, exec, s[8:9]
.LBB578_211:
	s_or_b64 exec, exec, s[2:3]
	s_nop 3
	v_lshrrev_b16_e32 v42, 8, v30
	v_cmp_ne_u16_e32 vcc, 0, v42
	v_mov_b32_e32 v43, 0
	v_mov_b32_e32 v44, 0
	s_and_saveexec_b64 s[2:3], vcc
	s_cbranch_execz .LBB578_217
; %bb.212:
	s_movk_i32 s8, 0x80
	v_cmp_ne_u16_e32 vcc, s8, v42
	v_bfrev_b32_e32 v44, 1
	s_and_saveexec_b64 s[8:9], vcc
	s_cbranch_execz .LBB578_216
; %bb.213:
	s_movk_i32 s10, 0x7f
	v_and_b32_e32 v45, 0x7f, v42
	v_cmp_ne_u32_e32 vcc, s10, v45
	v_mov_b32_e32 v44, 0x7f800001
	s_and_saveexec_b64 s[10:11], vcc
	s_cbranch_execz .LBB578_215
; %bb.214:
	v_and_b32_e32 v44, 7, v42
	v_ffbh_u32_e32 v54, v44
	v_min_u32_e32 v56, 32, v54
	v_subrev_u32_e32 v54, 28, v56
	v_lshlrev_b64 v[54:55], v54, v[42:43]
	v_lshrrev_b32_e32 v52, 3, v45
	v_sub_u32_e32 v42, 29, v56
	v_and_b32_e32 v54, 7, v54
	v_cmp_gt_u32_e32 vcc, 8, v45
	v_cndmask_b32_e32 v42, v52, v42, vcc
	v_cndmask_b32_e32 v44, v44, v54, vcc
	v_lshlrev_b32_e32 v45, 16, v30
	v_bfrev_b32_e32 v52, 60
	v_lshlrev_b32_e32 v44, 20, v44
	v_and_b32_e32 v45, 0x80000000, v45
	v_lshl_add_u32 v42, v42, 23, v52
	v_or3_b32 v44, v45, v42, v44
.LBB578_215:
	s_or_b64 exec, exec, s[10:11]
.LBB578_216:
	s_or_b64 exec, exec, s[8:9]
.LBB578_217:
	s_or_b64 exec, exec, s[2:3]
	s_movk_i32 s2, 0xff
	v_and_b32_sdwa v45, v30, s2 dst_sel:DWORD dst_unused:UNUSED_PAD src0_sel:WORD_1 src1_sel:DWORD
	v_lshrrev_b32_e32 v42, 16, v30
	v_cmp_ne_u16_e32 vcc, 0, v45
	s_and_saveexec_b64 s[2:3], vcc
	s_cbranch_execz .LBB578_223
; %bb.218:
	s_movk_i32 s8, 0x80
	v_cmp_ne_u16_e32 vcc, s8, v45
	v_bfrev_b32_e32 v43, 1
	s_and_saveexec_b64 s[8:9], vcc
	s_cbranch_execz .LBB578_222
; %bb.219:
	v_bfe_u32 v45, v30, 16, 7
	s_movk_i32 s10, 0x7f
	v_cmp_ne_u32_e32 vcc, s10, v45
	v_mov_b32_e32 v43, 0x7f800001
	s_and_saveexec_b64 s[10:11], vcc
	s_cbranch_execz .LBB578_221
; %bb.220:
	v_and_b32_e32 v52, 7, v42
	v_ffbh_u32_e32 v43, v52
	v_min_u32_e32 v55, 32, v43
	v_subrev_u32_e32 v43, 28, v55
	v_lshlrev_b64 v[42:43], v43, v[42:43]
	v_lshrrev_b32_e32 v54, 3, v45
	v_sub_u32_e32 v43, 29, v55
	v_and_b32_e32 v42, 7, v42
	v_cmp_gt_u32_e32 vcc, 8, v45
	v_mov_b32_e32 v45, 24
	v_cndmask_b32_e32 v43, v54, v43, vcc
	v_cndmask_b32_e32 v42, v52, v42, vcc
	v_lshlrev_b32_sdwa v45, v45, v30 dst_sel:DWORD dst_unused:UNUSED_PAD src0_sel:DWORD src1_sel:WORD_1
	v_bfrev_b32_e32 v52, 60
	v_lshlrev_b32_e32 v42, 20, v42
	v_and_b32_e32 v45, 0x80000000, v45
	v_lshl_add_u32 v43, v43, 23, v52
	v_or3_b32 v43, v45, v43, v42
.LBB578_221:
	s_or_b64 exec, exec, s[10:11]
.LBB578_222:
	s_or_b64 exec, exec, s[8:9]
.LBB578_223:
	s_or_b64 exec, exec, s[2:3]
	s_mov_b32 s2, 0xffffff
	v_cmp_lt_u32_e32 vcc, s2, v30
	v_mov_b32_e32 v45, 0
	v_mov_b32_e32 v54, 0
	s_and_saveexec_b64 s[2:3], vcc
	s_cbranch_execz .LBB578_229
; %bb.224:
	v_lshrrev_b32_e32 v42, 24, v30
	s_movk_i32 s8, 0x80
	v_cmp_ne_u32_e32 vcc, s8, v42
	v_bfrev_b32_e32 v54, 1
	s_and_saveexec_b64 s[8:9], vcc
	s_cbranch_execz .LBB578_228
; %bb.225:
	v_bfe_u32 v30, v30, 24, 7
	s_movk_i32 s10, 0x7f
	v_cmp_ne_u32_e32 vcc, s10, v30
	v_mov_b32_e32 v54, 0x7f800001
	s_and_saveexec_b64 s[10:11], vcc
	s_cbranch_execz .LBB578_227
; %bb.226:
	v_and_b32_e32 v52, 7, v42
	v_ffbh_u32_e32 v54, v52
	v_min_u32_e32 v57, 32, v54
	v_subrev_u32_e32 v54, 28, v57
	v_lshlrev_b64 v[54:55], v54, v[42:43]
	v_lshrrev_b32_e32 v56, 3, v30
	v_sub_u32_e32 v55, 29, v57
	v_and_b32_e32 v54, 7, v54
	v_cmp_gt_u32_e32 vcc, 8, v30
	v_cndmask_b32_e32 v30, v56, v55, vcc
	v_cndmask_b32_e32 v52, v52, v54, vcc
	v_lshlrev_b32_e32 v42, 24, v42
	v_bfrev_b32_e32 v54, 60
	v_lshlrev_b32_e32 v52, 20, v52
	v_and_b32_e32 v42, 0x80000000, v42
	v_lshl_add_u32 v30, v30, 23, v54
	v_or3_b32 v54, v42, v30, v52
.LBB578_227:
	s_or_b64 exec, exec, s[10:11]
.LBB578_228:
	s_or_b64 exec, exec, s[8:9]
.LBB578_229:
	s_or_b64 exec, exec, s[2:3]
	v_cmp_ne_u16_sdwa s[8:9], v31, v45 src0_sel:BYTE_0 src1_sel:DWORD
	s_and_saveexec_b64 s[2:3], s[8:9]
	s_cbranch_execz .LBB578_235
; %bb.230:
	s_movk_i32 s8, 0x80
	v_cmp_ne_u16_sdwa s[10:11], v31, s8 src0_sel:BYTE_0 src1_sel:DWORD
	v_bfrev_b32_e32 v45, 1
	s_and_saveexec_b64 s[8:9], s[10:11]
	s_cbranch_execz .LBB578_234
; %bb.231:
	s_movk_i32 s10, 0x7f
	v_and_b32_e32 v30, 0x7f, v31
	v_cmp_ne_u32_e32 vcc, s10, v30
	v_mov_b32_e32 v45, 0x7f800001
	s_and_saveexec_b64 s[10:11], vcc
	s_cbranch_execz .LBB578_233
; %bb.232:
	v_and_b32_e32 v45, 7, v31
	v_ffbh_u32_e32 v55, v45
	v_min_u32_e32 v55, 32, v55
	v_mov_b32_e32 v42, v31
	v_subrev_u32_e32 v56, 28, v55
	v_lshlrev_b64 v[56:57], v56, v[42:43]
	v_lshrrev_b32_e32 v52, 3, v30
	v_sub_u32_e32 v42, 29, v55
	v_and_b32_e32 v55, 7, v56
	v_cmp_gt_u32_e32 vcc, 8, v30
	v_cndmask_b32_e32 v30, v52, v42, vcc
	v_cndmask_b32_e32 v42, v45, v55, vcc
	v_lshlrev_b32_e32 v45, 24, v31
	v_bfrev_b32_e32 v52, 60
	v_lshlrev_b32_e32 v42, 20, v42
	v_and_b32_e32 v45, 0x80000000, v45
	v_lshl_add_u32 v30, v30, 23, v52
	v_or3_b32 v45, v45, v30, v42
.LBB578_233:
	s_or_b64 exec, exec, s[10:11]
.LBB578_234:
	s_or_b64 exec, exec, s[8:9]
.LBB578_235:
	s_or_b64 exec, exec, s[2:3]
	v_lshrrev_b16_e32 v30, 8, v31
	v_cmp_ne_u16_e32 vcc, 0, v30
	v_mov_b32_e32 v42, 0
	v_mov_b32_e32 v55, 0
	s_and_saveexec_b64 s[2:3], vcc
	s_cbranch_execz .LBB578_241
; %bb.236:
	s_movk_i32 s8, 0x80
	v_cmp_ne_u16_e32 vcc, s8, v30
	v_bfrev_b32_e32 v55, 1
	s_and_saveexec_b64 s[8:9], vcc
	s_cbranch_execz .LBB578_240
; %bb.237:
	s_movk_i32 s10, 0x7f
	v_and_b32_e32 v52, 0x7f, v30
	v_cmp_ne_u32_e32 vcc, s10, v52
	v_mov_b32_e32 v55, 0x7f800001
	s_and_saveexec_b64 s[10:11], vcc
	s_cbranch_execz .LBB578_239
; %bb.238:
	v_and_b32_e32 v55, 7, v30
	v_ffbh_u32_e32 v56, v55
	v_min_u32_e32 v59, 32, v56
	v_subrev_u32_e32 v56, 28, v59
	v_lshlrev_b64 v[56:57], v56, v[30:31]
	v_lshrrev_b32_e32 v58, 3, v52
	v_sub_u32_e32 v30, 29, v59
	v_and_b32_e32 v56, 7, v56
	v_cmp_gt_u32_e32 vcc, 8, v52
	v_cndmask_b32_e32 v30, v58, v30, vcc
	v_cndmask_b32_e32 v52, v55, v56, vcc
	v_lshlrev_b32_e32 v55, 16, v31
	v_bfrev_b32_e32 v56, 60
	v_lshlrev_b32_e32 v52, 20, v52
	v_and_b32_e32 v55, 0x80000000, v55
	v_lshl_add_u32 v30, v30, 23, v56
	v_or3_b32 v55, v55, v30, v52
.LBB578_239:
	s_or_b64 exec, exec, s[10:11]
.LBB578_240:
	s_or_b64 exec, exec, s[8:9]
.LBB578_241:
	s_or_b64 exec, exec, s[2:3]
	s_movk_i32 s2, 0xff
	v_and_b32_sdwa v52, v31, s2 dst_sel:DWORD dst_unused:UNUSED_PAD src0_sel:WORD_1 src1_sel:DWORD
	v_lshrrev_b32_e32 v30, 16, v31
	v_cmp_ne_u16_e32 vcc, 0, v52
	s_and_saveexec_b64 s[2:3], vcc
	s_cbranch_execz .LBB578_247
; %bb.242:
	s_movk_i32 s8, 0x80
	v_cmp_ne_u16_e32 vcc, s8, v52
	v_bfrev_b32_e32 v42, 1
	s_and_saveexec_b64 s[8:9], vcc
	s_cbranch_execz .LBB578_246
; %bb.243:
	v_bfe_u32 v52, v31, 16, 7
	s_movk_i32 s10, 0x7f
	v_cmp_ne_u32_e32 vcc, s10, v52
	v_mov_b32_e32 v42, 0x7f800001
	s_and_saveexec_b64 s[10:11], vcc
	s_cbranch_execz .LBB578_245
; %bb.244:
	v_and_b32_e32 v42, 7, v30
	v_ffbh_u32_e32 v56, v42
	v_min_u32_e32 v59, 32, v56
	v_subrev_u32_e32 v56, 28, v59
	v_lshlrev_b64 v[56:57], v56, v[30:31]
	v_lshrrev_b32_e32 v58, 3, v52
	v_sub_u32_e32 v30, 29, v59
	v_and_b32_e32 v56, 7, v56
	v_cmp_gt_u32_e32 vcc, 8, v52
	v_mov_b32_e32 v52, 24
	v_cndmask_b32_e32 v30, v58, v30, vcc
	v_cndmask_b32_e32 v42, v42, v56, vcc
	v_lshlrev_b32_sdwa v52, v52, v31 dst_sel:DWORD dst_unused:UNUSED_PAD src0_sel:DWORD src1_sel:WORD_1
	v_bfrev_b32_e32 v56, 60
	v_lshlrev_b32_e32 v42, 20, v42
	v_and_b32_e32 v52, 0x80000000, v52
	v_lshl_add_u32 v30, v30, 23, v56
	v_or3_b32 v42, v52, v30, v42
.LBB578_245:
	s_or_b64 exec, exec, s[10:11]
.LBB578_246:
	s_or_b64 exec, exec, s[8:9]
.LBB578_247:
	s_or_b64 exec, exec, s[2:3]
	s_mov_b32 s2, 0xffffff
	v_cmp_lt_u32_e32 vcc, s2, v31
	v_mov_b32_e32 v52, 0
	v_mov_b32_e32 v56, 0
	s_and_saveexec_b64 s[2:3], vcc
	s_cbranch_execz .LBB578_253
; %bb.248:
	v_lshrrev_b32_e32 v30, 24, v31
	s_movk_i32 s8, 0x80
	v_cmp_ne_u32_e32 vcc, s8, v30
	v_bfrev_b32_e32 v56, 1
	s_and_saveexec_b64 s[8:9], vcc
	s_cbranch_execz .LBB578_252
; %bb.249:
	v_bfe_u32 v31, v31, 24, 7
	s_movk_i32 s10, 0x7f
	v_cmp_ne_u32_e32 vcc, s10, v31
	v_mov_b32_e32 v56, 0x7f800001
	s_and_saveexec_b64 s[10:11], vcc
	s_cbranch_execz .LBB578_251
; %bb.250:
	v_and_b32_e32 v58, 7, v30
	v_ffbh_u32_e32 v56, v58
	v_min_u32_e32 v60, 32, v56
	v_subrev_u32_e32 v56, 28, v60
	v_lshlrev_b64 v[56:57], v56, v[30:31]
	v_lshrrev_b32_e32 v59, 3, v31
	v_sub_u32_e32 v57, 29, v60
	v_and_b32_e32 v56, 7, v56
	v_cmp_gt_u32_e32 vcc, 8, v31
	v_cndmask_b32_e32 v31, v59, v57, vcc
	v_cndmask_b32_e32 v56, v58, v56, vcc
	v_lshlrev_b32_e32 v30, 24, v30
	v_bfrev_b32_e32 v57, 60
	v_lshlrev_b32_e32 v56, 20, v56
	v_and_b32_e32 v30, 0x80000000, v30
	v_lshl_add_u32 v31, v31, 23, v57
	v_or3_b32 v56, v30, v31, v56
.LBB578_251:
	s_or_b64 exec, exec, s[10:11]
.LBB578_252:
	s_or_b64 exec, exec, s[8:9]
.LBB578_253:
	s_or_b64 exec, exec, s[2:3]
	v_cvt_pkrtz_f16_f32 v30, v53, v44
	v_cvt_pkrtz_f16_f32 v31, v43, v54
	v_cmp_ne_u16_sdwa s[8:9], v32, v52 src0_sel:BYTE_0 src1_sel:DWORD
	s_nop 0
	v_mfma_f32_16x16x16f16 v[58:61], v[30:31], v[26:27], 0
	v_cvt_pkrtz_f16_f32 v30, v45, v55
	v_cvt_pkrtz_f16_f32 v31, v42, v56
	s_nop 1
	v_mfma_f32_16x16x16f16 v[42:45], v[30:31], v[28:29], v[58:61]
	s_and_saveexec_b64 s[2:3], s[8:9]
	s_cbranch_execz .LBB578_259
; %bb.254:
	s_movk_i32 s8, 0x80
	v_cmp_ne_u16_sdwa s[10:11], v32, s8 src0_sel:BYTE_0 src1_sel:DWORD
	v_bfrev_b32_e32 v52, 1
	s_and_saveexec_b64 s[8:9], s[10:11]
	s_cbranch_execz .LBB578_258
; %bb.255:
	s_movk_i32 s10, 0x7f
	v_and_b32_e32 v30, 0x7f, v32
	v_cmp_ne_u32_e32 vcc, s10, v30
	v_mov_b32_e32 v52, 0x7f800001
	s_and_saveexec_b64 s[10:11], vcc
	s_cbranch_execz .LBB578_257
; %bb.256:
	v_and_b32_e32 v31, 7, v32
	v_ffbh_u32_e32 v52, v31
	v_min_u32_e32 v55, 32, v52
	v_subrev_u32_e32 v52, 28, v55
	v_lshlrev_b64 v[52:53], v52, v[32:33]
	v_lshrrev_b32_e32 v54, 3, v30
	v_sub_u32_e32 v53, 29, v55
	v_and_b32_e32 v52, 7, v52
	v_cmp_gt_u32_e32 vcc, 8, v30
	v_cndmask_b32_e32 v30, v54, v53, vcc
	v_cndmask_b32_e32 v31, v31, v52, vcc
	v_lshlrev_b32_e32 v52, 24, v32
	v_bfrev_b32_e32 v53, 60
	v_lshlrev_b32_e32 v31, 20, v31
	v_and_b32_e32 v52, 0x80000000, v52
	v_lshl_add_u32 v30, v30, 23, v53
	v_or3_b32 v52, v52, v30, v31
.LBB578_257:
	s_or_b64 exec, exec, s[10:11]
.LBB578_258:
	s_or_b64 exec, exec, s[8:9]
.LBB578_259:
	s_or_b64 exec, exec, s[2:3]
	v_lshrrev_b16_e32 v30, 8, v32
	v_cmp_ne_u16_e32 vcc, 0, v30
	v_mov_b32_e32 v31, 0
	v_mov_b32_e32 v54, 0
	s_and_saveexec_b64 s[2:3], vcc
	s_cbranch_execz .LBB578_265
; %bb.260:
	s_movk_i32 s8, 0x80
	v_cmp_ne_u16_e32 vcc, s8, v30
	v_bfrev_b32_e32 v54, 1
	s_and_saveexec_b64 s[8:9], vcc
	s_cbranch_execz .LBB578_264
; %bb.261:
	s_movk_i32 s10, 0x7f
	v_and_b32_e32 v53, 0x7f, v30
	v_cmp_ne_u32_e32 vcc, s10, v53
	v_mov_b32_e32 v54, 0x7f800001
	s_and_saveexec_b64 s[10:11], vcc
	s_cbranch_execz .LBB578_263
; %bb.262:
	v_and_b32_e32 v56, 7, v30
	v_ffbh_u32_e32 v54, v56
	v_min_u32_e32 v58, 32, v54
	v_subrev_u32_e32 v54, 28, v58
	v_lshlrev_b64 v[54:55], v54, v[30:31]
	v_lshrrev_b32_e32 v57, 3, v53
	v_sub_u32_e32 v30, 29, v58
	v_and_b32_e32 v54, 7, v54
	v_cmp_gt_u32_e32 vcc, 8, v53
	v_cndmask_b32_e32 v30, v57, v30, vcc
	v_cndmask_b32_e32 v53, v56, v54, vcc
	v_lshlrev_b32_e32 v54, 16, v32
	v_bfrev_b32_e32 v55, 60
	v_lshlrev_b32_e32 v53, 20, v53
	v_and_b32_e32 v54, 0x80000000, v54
	v_lshl_add_u32 v30, v30, 23, v55
	v_or3_b32 v54, v54, v30, v53
.LBB578_263:
	s_or_b64 exec, exec, s[10:11]
.LBB578_264:
	s_or_b64 exec, exec, s[8:9]
.LBB578_265:
	s_or_b64 exec, exec, s[2:3]
	s_movk_i32 s2, 0xff
	v_and_b32_sdwa v53, v32, s2 dst_sel:DWORD dst_unused:UNUSED_PAD src0_sel:WORD_1 src1_sel:DWORD
	v_lshrrev_b32_e32 v30, 16, v32
	v_cmp_ne_u16_e32 vcc, 0, v53
	s_and_saveexec_b64 s[2:3], vcc
	s_cbranch_execz .LBB578_271
; %bb.266:
	s_movk_i32 s8, 0x80
	v_cmp_ne_u16_e32 vcc, s8, v53
	v_bfrev_b32_e32 v31, 1
	s_and_saveexec_b64 s[8:9], vcc
	s_cbranch_execz .LBB578_270
; %bb.267:
	v_bfe_u32 v53, v32, 16, 7
	s_movk_i32 s10, 0x7f
	v_cmp_ne_u32_e32 vcc, s10, v53
	v_mov_b32_e32 v31, 0x7f800001
	s_and_saveexec_b64 s[10:11], vcc
	s_cbranch_execz .LBB578_269
; %bb.268:
	v_and_b32_e32 v55, 7, v30
	v_ffbh_u32_e32 v31, v55
	v_min_u32_e32 v57, 32, v31
	v_subrev_u32_e32 v31, 28, v57
	v_lshlrev_b64 v[30:31], v31, v[30:31]
	v_lshrrev_b32_e32 v56, 3, v53
	v_sub_u32_e32 v31, 29, v57
	v_and_b32_e32 v30, 7, v30
	v_cmp_gt_u32_e32 vcc, 8, v53
	v_mov_b32_e32 v53, 24
	v_cndmask_b32_e32 v31, v56, v31, vcc
	v_cndmask_b32_e32 v30, v55, v30, vcc
	v_lshlrev_b32_sdwa v53, v53, v32 dst_sel:DWORD dst_unused:UNUSED_PAD src0_sel:DWORD src1_sel:WORD_1
	v_bfrev_b32_e32 v55, 60
	v_lshlrev_b32_e32 v30, 20, v30
	v_and_b32_e32 v53, 0x80000000, v53
	v_lshl_add_u32 v31, v31, 23, v55
	v_or3_b32 v31, v53, v31, v30
.LBB578_269:
	s_or_b64 exec, exec, s[10:11]
.LBB578_270:
	s_or_b64 exec, exec, s[8:9]
.LBB578_271:
	s_or_b64 exec, exec, s[2:3]
	s_mov_b32 s2, 0xffffff
	v_cmp_lt_u32_e32 vcc, s2, v32
	v_mov_b32_e32 v55, 0
	v_mov_b32_e32 v56, 0
	s_and_saveexec_b64 s[2:3], vcc
	s_cbranch_execz .LBB578_277
; %bb.272:
	v_lshrrev_b32_e32 v30, 24, v32
	s_movk_i32 s8, 0x80
	v_cmp_ne_u32_e32 vcc, s8, v30
	v_bfrev_b32_e32 v56, 1
	s_and_saveexec_b64 s[8:9], vcc
	s_cbranch_execz .LBB578_276
; %bb.273:
	v_bfe_u32 v32, v32, 24, 7
	s_movk_i32 s10, 0x7f
	v_cmp_ne_u32_e32 vcc, s10, v32
	v_mov_b32_e32 v56, 0x7f800001
	s_and_saveexec_b64 s[10:11], vcc
	s_cbranch_execz .LBB578_275
; %bb.274:
	v_and_b32_e32 v53, 7, v30
	v_ffbh_u32_e32 v56, v53
	v_min_u32_e32 v59, 32, v56
	v_subrev_u32_e32 v56, 28, v59
	v_lshlrev_b64 v[56:57], v56, v[30:31]
	v_lshrrev_b32_e32 v58, 3, v32
	v_sub_u32_e32 v57, 29, v59
	v_and_b32_e32 v56, 7, v56
	v_cmp_gt_u32_e32 vcc, 8, v32
	v_cndmask_b32_e32 v32, v58, v57, vcc
	v_cndmask_b32_e32 v53, v53, v56, vcc
	v_lshlrev_b32_e32 v30, 24, v30
	v_bfrev_b32_e32 v56, 60
	v_lshlrev_b32_e32 v53, 20, v53
	v_and_b32_e32 v30, 0x80000000, v30
	v_lshl_add_u32 v32, v32, 23, v56
	v_or3_b32 v56, v30, v32, v53
.LBB578_275:
	s_or_b64 exec, exec, s[10:11]
.LBB578_276:
	s_or_b64 exec, exec, s[8:9]
.LBB578_277:
	s_or_b64 exec, exec, s[2:3]
	v_cmp_ne_u16_sdwa s[8:9], v33, v55 src0_sel:BYTE_0 src1_sel:DWORD
	s_and_saveexec_b64 s[2:3], s[8:9]
	s_cbranch_execz .LBB578_283
; %bb.278:
	s_movk_i32 s8, 0x80
	v_cmp_ne_u16_sdwa s[10:11], v33, s8 src0_sel:BYTE_0 src1_sel:DWORD
	v_bfrev_b32_e32 v55, 1
	s_and_saveexec_b64 s[8:9], s[10:11]
	s_cbranch_execz .LBB578_282
; %bb.279:
	s_movk_i32 s10, 0x7f
	v_and_b32_e32 v30, 0x7f, v33
	v_cmp_ne_u32_e32 vcc, s10, v30
	v_mov_b32_e32 v55, 0x7f800001
	s_and_saveexec_b64 s[10:11], vcc
	s_cbranch_execz .LBB578_281
; %bb.280:
	v_and_b32_e32 v53, 7, v33
	v_ffbh_u32_e32 v57, v53
	v_min_u32_e32 v57, 32, v57
	v_mov_b32_e32 v32, v33
	v_subrev_u32_e32 v58, 28, v57
	v_lshlrev_b64 v[58:59], v58, v[32:33]
	v_lshrrev_b32_e32 v55, 3, v30
	v_sub_u32_e32 v32, 29, v57
	v_and_b32_e32 v57, 7, v58
	v_cmp_gt_u32_e32 vcc, 8, v30
	v_cndmask_b32_e32 v30, v55, v32, vcc
	v_cndmask_b32_e32 v32, v53, v57, vcc
	v_lshlrev_b32_e32 v53, 24, v33
	v_bfrev_b32_e32 v55, 60
	v_lshlrev_b32_e32 v32, 20, v32
	v_and_b32_e32 v53, 0x80000000, v53
	v_lshl_add_u32 v30, v30, 23, v55
	v_or3_b32 v55, v53, v30, v32
.LBB578_281:
	s_or_b64 exec, exec, s[10:11]
.LBB578_282:
	s_or_b64 exec, exec, s[8:9]
.LBB578_283:
	s_or_b64 exec, exec, s[2:3]
	v_lshrrev_b16_e32 v30, 8, v33
	v_cmp_ne_u16_e32 vcc, 0, v30
	v_mov_b32_e32 v32, 0
	v_mov_b32_e32 v57, 0
	s_and_saveexec_b64 s[2:3], vcc
	s_cbranch_execz .LBB578_289
; %bb.284:
	s_movk_i32 s8, 0x80
	v_cmp_ne_u16_e32 vcc, s8, v30
	v_bfrev_b32_e32 v57, 1
	s_and_saveexec_b64 s[8:9], vcc
	s_cbranch_execz .LBB578_288
; %bb.285:
	s_movk_i32 s10, 0x7f
	v_and_b32_e32 v53, 0x7f, v30
	v_cmp_ne_u32_e32 vcc, s10, v53
	v_mov_b32_e32 v57, 0x7f800001
	s_and_saveexec_b64 s[10:11], vcc
	s_cbranch_execz .LBB578_287
; %bb.286:
	v_and_b32_e32 v57, 7, v30
	v_ffbh_u32_e32 v58, v57
	v_min_u32_e32 v61, 32, v58
	v_subrev_u32_e32 v58, 28, v61
	v_lshlrev_b64 v[58:59], v58, v[30:31]
	v_lshrrev_b32_e32 v60, 3, v53
	v_sub_u32_e32 v30, 29, v61
	v_and_b32_e32 v58, 7, v58
	v_cmp_gt_u32_e32 vcc, 8, v53
	v_cndmask_b32_e32 v30, v60, v30, vcc
	v_cndmask_b32_e32 v53, v57, v58, vcc
	v_lshlrev_b32_e32 v57, 16, v33
	v_bfrev_b32_e32 v58, 60
	v_lshlrev_b32_e32 v53, 20, v53
	v_and_b32_e32 v57, 0x80000000, v57
	v_lshl_add_u32 v30, v30, 23, v58
	v_or3_b32 v57, v57, v30, v53
.LBB578_287:
	s_or_b64 exec, exec, s[10:11]
.LBB578_288:
	s_or_b64 exec, exec, s[8:9]
.LBB578_289:
	s_or_b64 exec, exec, s[2:3]
	s_movk_i32 s2, 0xff
	v_and_b32_sdwa v53, v33, s2 dst_sel:DWORD dst_unused:UNUSED_PAD src0_sel:WORD_1 src1_sel:DWORD
	v_lshrrev_b32_e32 v30, 16, v33
	v_cmp_ne_u16_e32 vcc, 0, v53
	s_and_saveexec_b64 s[2:3], vcc
	s_cbranch_execz .LBB578_295
; %bb.290:
	s_movk_i32 s8, 0x80
	v_cmp_ne_u16_e32 vcc, s8, v53
	v_bfrev_b32_e32 v32, 1
	s_and_saveexec_b64 s[8:9], vcc
	s_cbranch_execz .LBB578_294
; %bb.291:
	v_bfe_u32 v53, v33, 16, 7
	s_movk_i32 s10, 0x7f
	v_cmp_ne_u32_e32 vcc, s10, v53
	v_mov_b32_e32 v32, 0x7f800001
	s_and_saveexec_b64 s[10:11], vcc
	s_cbranch_execz .LBB578_293
; %bb.292:
	v_and_b32_e32 v32, 7, v30
	v_ffbh_u32_e32 v58, v32
	v_min_u32_e32 v61, 32, v58
	v_subrev_u32_e32 v58, 28, v61
	v_lshlrev_b64 v[58:59], v58, v[30:31]
	v_lshrrev_b32_e32 v60, 3, v53
	v_sub_u32_e32 v30, 29, v61
	v_and_b32_e32 v58, 7, v58
	v_cmp_gt_u32_e32 vcc, 8, v53
	v_mov_b32_e32 v53, 24
	v_cndmask_b32_e32 v30, v60, v30, vcc
	v_cndmask_b32_e32 v32, v32, v58, vcc
	v_lshlrev_b32_sdwa v53, v53, v33 dst_sel:DWORD dst_unused:UNUSED_PAD src0_sel:DWORD src1_sel:WORD_1
	v_bfrev_b32_e32 v58, 60
	v_lshlrev_b32_e32 v32, 20, v32
	v_and_b32_e32 v53, 0x80000000, v53
	v_lshl_add_u32 v30, v30, 23, v58
	v_or3_b32 v32, v53, v30, v32
.LBB578_293:
	s_or_b64 exec, exec, s[10:11]
.LBB578_294:
	s_or_b64 exec, exec, s[8:9]
.LBB578_295:
	s_or_b64 exec, exec, s[2:3]
	s_mov_b32 s2, 0xffffff
	v_cmp_lt_u32_e32 vcc, s2, v33
	v_mov_b32_e32 v53, 0
	v_mov_b32_e32 v58, 0
	s_and_saveexec_b64 s[2:3], vcc
	s_cbranch_execz .LBB578_301
; %bb.296:
	v_lshrrev_b32_e32 v30, 24, v33
	s_movk_i32 s8, 0x80
	v_cmp_ne_u32_e32 vcc, s8, v30
	v_bfrev_b32_e32 v58, 1
	s_and_saveexec_b64 s[8:9], vcc
	s_cbranch_execz .LBB578_300
; %bb.297:
	v_bfe_u32 v33, v33, 24, 7
	s_movk_i32 s10, 0x7f
	v_cmp_ne_u32_e32 vcc, s10, v33
	v_mov_b32_e32 v58, 0x7f800001
	s_and_saveexec_b64 s[10:11], vcc
	s_cbranch_execz .LBB578_299
; %bb.298:
	v_and_b32_e32 v60, 7, v30
	v_ffbh_u32_e32 v58, v60
	v_min_u32_e32 v62, 32, v58
	v_subrev_u32_e32 v58, 28, v62
	v_lshlrev_b64 v[58:59], v58, v[30:31]
	v_lshrrev_b32_e32 v61, 3, v33
	v_sub_u32_e32 v59, 29, v62
	v_and_b32_e32 v58, 7, v58
	v_cmp_gt_u32_e32 vcc, 8, v33
	v_cndmask_b32_e32 v33, v61, v59, vcc
	v_cndmask_b32_e32 v58, v60, v58, vcc
	v_lshlrev_b32_e32 v30, 24, v30
	v_bfrev_b32_e32 v59, 60
	v_lshlrev_b32_e32 v58, 20, v58
	v_and_b32_e32 v30, 0x80000000, v30
	v_lshl_add_u32 v33, v33, 23, v59
	v_or3_b32 v58, v30, v33, v58
.LBB578_299:
	s_or_b64 exec, exec, s[10:11]
.LBB578_300:
	s_or_b64 exec, exec, s[8:9]
.LBB578_301:
	s_or_b64 exec, exec, s[2:3]
	v_cvt_pkrtz_f16_f32 v30, v52, v54
	v_cvt_pkrtz_f16_f32 v31, v31, v56
	v_cmp_ne_u16_sdwa s[8:9], v22, v53 src0_sel:BYTE_0 src1_sel:DWORD
	s_nop 0
	v_mfma_f32_16x16x16f16 v[42:45], v[30:31], v[18:19], v[42:45]
	v_cvt_pkrtz_f16_f32 v30, v55, v57
	v_cvt_pkrtz_f16_f32 v31, v32, v58
	s_nop 1
	v_mfma_f32_16x16x16f16 v[30:33], v[30:31], v[20:21], v[42:45]
	s_and_saveexec_b64 s[2:3], s[8:9]
	s_cbranch_execz .LBB578_307
; %bb.302:
	s_movk_i32 s8, 0x80
	v_cmp_ne_u16_sdwa s[10:11], v22, s8 src0_sel:BYTE_0 src1_sel:DWORD
	v_bfrev_b32_e32 v53, 1
	s_and_saveexec_b64 s[8:9], s[10:11]
	s_cbranch_execz .LBB578_306
; %bb.303:
	s_movk_i32 s10, 0x7f
	v_and_b32_e32 v42, 0x7f, v22
	v_cmp_ne_u32_e32 vcc, s10, v42
	v_mov_b32_e32 v53, 0x7f800001
	s_and_saveexec_b64 s[10:11], vcc
	s_cbranch_execz .LBB578_305
; %bb.304:
	v_and_b32_e32 v43, 7, v22
	v_ffbh_u32_e32 v44, v43
	v_min_u32_e32 v53, 32, v44
	v_subrev_u32_e32 v44, 28, v53
	v_lshlrev_b64 v[44:45], v44, v[22:23]
	v_lshrrev_b32_e32 v52, 3, v42
	v_sub_u32_e32 v45, 29, v53
	v_and_b32_e32 v44, 7, v44
	v_cmp_gt_u32_e32 vcc, 8, v42
	v_cndmask_b32_e32 v42, v52, v45, vcc
	v_cndmask_b32_e32 v43, v43, v44, vcc
	v_lshlrev_b32_e32 v44, 24, v22
	v_bfrev_b32_e32 v45, 60
	v_lshlrev_b32_e32 v43, 20, v43
	v_and_b32_e32 v44, 0x80000000, v44
	v_lshl_add_u32 v42, v42, 23, v45
	v_or3_b32 v53, v44, v42, v43
.LBB578_305:
	s_or_b64 exec, exec, s[10:11]
.LBB578_306:
	s_or_b64 exec, exec, s[8:9]
.LBB578_307:
	s_or_b64 exec, exec, s[2:3]
	s_nop 3
	v_lshrrev_b16_e32 v42, 8, v22
	v_cmp_ne_u16_e32 vcc, 0, v42
	v_mov_b32_e32 v43, 0
	v_mov_b32_e32 v44, 0
	s_and_saveexec_b64 s[2:3], vcc
	s_cbranch_execz .LBB578_313
; %bb.308:
	s_movk_i32 s8, 0x80
	v_cmp_ne_u16_e32 vcc, s8, v42
	v_bfrev_b32_e32 v44, 1
	s_and_saveexec_b64 s[8:9], vcc
	s_cbranch_execz .LBB578_312
; %bb.309:
	s_movk_i32 s10, 0x7f
	v_and_b32_e32 v45, 0x7f, v42
	v_cmp_ne_u32_e32 vcc, s10, v45
	v_mov_b32_e32 v44, 0x7f800001
	s_and_saveexec_b64 s[10:11], vcc
	s_cbranch_execz .LBB578_311
; %bb.310:
	v_and_b32_e32 v44, 7, v42
	v_ffbh_u32_e32 v54, v44
	v_min_u32_e32 v56, 32, v54
	v_subrev_u32_e32 v54, 28, v56
	v_lshlrev_b64 v[54:55], v54, v[42:43]
	v_lshrrev_b32_e32 v52, 3, v45
	v_sub_u32_e32 v42, 29, v56
	v_and_b32_e32 v54, 7, v54
	v_cmp_gt_u32_e32 vcc, 8, v45
	v_cndmask_b32_e32 v42, v52, v42, vcc
	v_cndmask_b32_e32 v44, v44, v54, vcc
	v_lshlrev_b32_e32 v45, 16, v22
	v_bfrev_b32_e32 v52, 60
	v_lshlrev_b32_e32 v44, 20, v44
	v_and_b32_e32 v45, 0x80000000, v45
	v_lshl_add_u32 v42, v42, 23, v52
	v_or3_b32 v44, v45, v42, v44
.LBB578_311:
	s_or_b64 exec, exec, s[10:11]
.LBB578_312:
	s_or_b64 exec, exec, s[8:9]
.LBB578_313:
	s_or_b64 exec, exec, s[2:3]
	s_movk_i32 s2, 0xff
	v_and_b32_sdwa v45, v22, s2 dst_sel:DWORD dst_unused:UNUSED_PAD src0_sel:WORD_1 src1_sel:DWORD
	v_lshrrev_b32_e32 v42, 16, v22
	v_cmp_ne_u16_e32 vcc, 0, v45
	s_and_saveexec_b64 s[2:3], vcc
	s_cbranch_execz .LBB578_319
; %bb.314:
	s_movk_i32 s8, 0x80
	v_cmp_ne_u16_e32 vcc, s8, v45
	v_bfrev_b32_e32 v43, 1
	s_and_saveexec_b64 s[8:9], vcc
	s_cbranch_execz .LBB578_318
; %bb.315:
	v_bfe_u32 v45, v22, 16, 7
	s_movk_i32 s10, 0x7f
	v_cmp_ne_u32_e32 vcc, s10, v45
	v_mov_b32_e32 v43, 0x7f800001
	s_and_saveexec_b64 s[10:11], vcc
	s_cbranch_execz .LBB578_317
; %bb.316:
	v_and_b32_e32 v52, 7, v42
	v_ffbh_u32_e32 v43, v52
	v_min_u32_e32 v55, 32, v43
	v_subrev_u32_e32 v43, 28, v55
	v_lshlrev_b64 v[42:43], v43, v[42:43]
	v_lshrrev_b32_e32 v54, 3, v45
	v_sub_u32_e32 v43, 29, v55
	v_and_b32_e32 v42, 7, v42
	v_cmp_gt_u32_e32 vcc, 8, v45
	v_mov_b32_e32 v45, 24
	v_cndmask_b32_e32 v43, v54, v43, vcc
	v_cndmask_b32_e32 v42, v52, v42, vcc
	v_lshlrev_b32_sdwa v45, v45, v22 dst_sel:DWORD dst_unused:UNUSED_PAD src0_sel:DWORD src1_sel:WORD_1
	v_bfrev_b32_e32 v52, 60
	v_lshlrev_b32_e32 v42, 20, v42
	v_and_b32_e32 v45, 0x80000000, v45
	v_lshl_add_u32 v43, v43, 23, v52
	v_or3_b32 v43, v45, v43, v42
.LBB578_317:
	s_or_b64 exec, exec, s[10:11]
.LBB578_318:
	s_or_b64 exec, exec, s[8:9]
.LBB578_319:
	s_or_b64 exec, exec, s[2:3]
	s_mov_b32 s2, 0xffffff
	v_cmp_lt_u32_e32 vcc, s2, v22
	v_mov_b32_e32 v45, 0
	v_mov_b32_e32 v52, 0
	s_and_saveexec_b64 s[2:3], vcc
	s_cbranch_execz .LBB578_325
; %bb.320:
	v_lshrrev_b32_e32 v42, 24, v22
	s_movk_i32 s8, 0x80
	v_cmp_ne_u32_e32 vcc, s8, v42
	v_bfrev_b32_e32 v52, 1
	s_and_saveexec_b64 s[8:9], vcc
	s_cbranch_execz .LBB578_324
; %bb.321:
	v_bfe_u32 v22, v22, 24, 7
	s_movk_i32 s10, 0x7f
	v_cmp_ne_u32_e32 vcc, s10, v22
	v_mov_b32_e32 v52, 0x7f800001
	s_and_saveexec_b64 s[10:11], vcc
	s_cbranch_execz .LBB578_323
; %bb.322:
	v_and_b32_e32 v52, 7, v42
	v_ffbh_u32_e32 v54, v52
	v_min_u32_e32 v57, 32, v54
	v_subrev_u32_e32 v54, 28, v57
	v_lshlrev_b64 v[54:55], v54, v[42:43]
	v_lshrrev_b32_e32 v56, 3, v22
	v_sub_u32_e32 v55, 29, v57
	v_and_b32_e32 v54, 7, v54
	v_cmp_gt_u32_e32 vcc, 8, v22
	v_cndmask_b32_e32 v22, v56, v55, vcc
	v_cndmask_b32_e32 v52, v52, v54, vcc
	v_lshlrev_b32_e32 v42, 24, v42
	v_bfrev_b32_e32 v54, 60
	v_lshlrev_b32_e32 v52, 20, v52
	v_and_b32_e32 v42, 0x80000000, v42
	v_lshl_add_u32 v22, v22, 23, v54
	v_or3_b32 v52, v42, v22, v52
.LBB578_323:
	s_or_b64 exec, exec, s[10:11]
.LBB578_324:
	s_or_b64 exec, exec, s[8:9]
.LBB578_325:
	s_or_b64 exec, exec, s[2:3]
	v_cmp_ne_u16_sdwa s[8:9], v23, v45 src0_sel:BYTE_0 src1_sel:DWORD
	s_and_saveexec_b64 s[2:3], s[8:9]
	s_cbranch_execz .LBB578_331
; %bb.326:
	s_movk_i32 s8, 0x80
	v_cmp_ne_u16_sdwa s[10:11], v23, s8 src0_sel:BYTE_0 src1_sel:DWORD
	v_bfrev_b32_e32 v45, 1
	s_and_saveexec_b64 s[8:9], s[10:11]
	s_cbranch_execz .LBB578_330
; %bb.327:
	s_movk_i32 s10, 0x7f
	v_and_b32_e32 v22, 0x7f, v23
	v_cmp_ne_u32_e32 vcc, s10, v22
	v_mov_b32_e32 v45, 0x7f800001
	s_and_saveexec_b64 s[10:11], vcc
	s_cbranch_execz .LBB578_329
; %bb.328:
	v_and_b32_e32 v45, 7, v23
	v_ffbh_u32_e32 v54, v45
	v_min_u32_e32 v57, 32, v54
	v_mov_b32_e32 v42, v23
	v_subrev_u32_e32 v54, 28, v57
	v_lshlrev_b64 v[54:55], v54, v[42:43]
	v_lshrrev_b32_e32 v56, 3, v22
	v_sub_u32_e32 v42, 29, v57
	v_and_b32_e32 v54, 7, v54
	v_cmp_gt_u32_e32 vcc, 8, v22
	v_cndmask_b32_e32 v22, v56, v42, vcc
	v_cndmask_b32_e32 v42, v45, v54, vcc
	v_lshlrev_b32_e32 v45, 24, v23
	v_bfrev_b32_e32 v54, 60
	v_lshlrev_b32_e32 v42, 20, v42
	v_and_b32_e32 v45, 0x80000000, v45
	v_lshl_add_u32 v22, v22, 23, v54
	v_or3_b32 v45, v45, v22, v42
.LBB578_329:
	s_or_b64 exec, exec, s[10:11]
.LBB578_330:
	s_or_b64 exec, exec, s[8:9]
.LBB578_331:
	s_or_b64 exec, exec, s[2:3]
	v_lshrrev_b16_e32 v22, 8, v23
	v_cmp_ne_u16_e32 vcc, 0, v22
	v_mov_b32_e32 v54, 0
	v_mov_b32_e32 v55, 0
	s_and_saveexec_b64 s[2:3], vcc
	s_cbranch_execz .LBB578_337
; %bb.332:
	s_movk_i32 s8, 0x80
	v_cmp_ne_u16_e32 vcc, s8, v22
	v_bfrev_b32_e32 v55, 1
	s_and_saveexec_b64 s[8:9], vcc
	s_cbranch_execz .LBB578_336
; %bb.333:
	s_movk_i32 s10, 0x7f
	v_and_b32_e32 v42, 0x7f, v22
	v_cmp_ne_u32_e32 vcc, s10, v42
	v_mov_b32_e32 v55, 0x7f800001
	s_and_saveexec_b64 s[10:11], vcc
	s_cbranch_execz .LBB578_335
; %bb.334:
	v_and_b32_e32 v55, 7, v22
	v_ffbh_u32_e32 v56, v55
	v_min_u32_e32 v59, 32, v56
	v_subrev_u32_e32 v56, 28, v59
	v_lshlrev_b64 v[56:57], v56, v[22:23]
	v_lshrrev_b32_e32 v58, 3, v42
	v_sub_u32_e32 v22, 29, v59
	v_and_b32_e32 v56, 7, v56
	v_cmp_gt_u32_e32 vcc, 8, v42
	v_cndmask_b32_e32 v22, v58, v22, vcc
	v_cndmask_b32_e32 v42, v55, v56, vcc
	v_lshlrev_b32_e32 v55, 16, v23
	v_bfrev_b32_e32 v56, 60
	v_lshlrev_b32_e32 v42, 20, v42
	v_and_b32_e32 v55, 0x80000000, v55
	v_lshl_add_u32 v22, v22, 23, v56
	v_or3_b32 v55, v55, v22, v42
.LBB578_335:
	s_or_b64 exec, exec, s[10:11]
.LBB578_336:
	s_or_b64 exec, exec, s[8:9]
.LBB578_337:
	s_or_b64 exec, exec, s[2:3]
	s_movk_i32 s2, 0xff
	v_and_b32_sdwa v42, v23, s2 dst_sel:DWORD dst_unused:UNUSED_PAD src0_sel:WORD_1 src1_sel:DWORD
	v_lshrrev_b32_e32 v22, 16, v23
	v_cmp_ne_u16_e32 vcc, 0, v42
	s_and_saveexec_b64 s[2:3], vcc
	s_cbranch_execz .LBB578_343
; %bb.338:
	s_movk_i32 s8, 0x80
	v_cmp_ne_u16_e32 vcc, s8, v42
	v_bfrev_b32_e32 v54, 1
	s_and_saveexec_b64 s[8:9], vcc
	s_cbranch_execz .LBB578_342
; %bb.339:
	v_bfe_u32 v42, v23, 16, 7
	s_movk_i32 s10, 0x7f
	v_cmp_ne_u32_e32 vcc, s10, v42
	v_mov_b32_e32 v54, 0x7f800001
	s_and_saveexec_b64 s[10:11], vcc
	s_cbranch_execz .LBB578_341
; %bb.340:
	v_and_b32_e32 v54, 7, v22
	v_ffbh_u32_e32 v56, v54
	v_min_u32_e32 v59, 32, v56
	v_subrev_u32_e32 v56, 28, v59
	v_lshlrev_b64 v[56:57], v56, v[22:23]
	v_and_b32_e32 v56, 7, v56
	v_cmp_gt_u32_e32 vcc, 8, v42
	v_lshrrev_b32_e32 v58, 3, v42
	v_sub_u32_e32 v22, 29, v59
	v_cndmask_b32_e32 v42, v54, v56, vcc
	v_mov_b32_e32 v54, 24
	v_cndmask_b32_e32 v22, v58, v22, vcc
	v_lshlrev_b32_sdwa v54, v54, v23 dst_sel:DWORD dst_unused:UNUSED_PAD src0_sel:DWORD src1_sel:WORD_1
	v_bfrev_b32_e32 v56, 60
	v_lshlrev_b32_e32 v42, 20, v42
	v_and_b32_e32 v54, 0x80000000, v54
	v_lshl_add_u32 v22, v22, 23, v56
	v_or3_b32 v54, v54, v22, v42
.LBB578_341:
	s_or_b64 exec, exec, s[10:11]
.LBB578_342:
	s_or_b64 exec, exec, s[8:9]
.LBB578_343:
	s_or_b64 exec, exec, s[2:3]
	s_mov_b32 s2, 0xffffff
	v_cmp_lt_u32_e32 vcc, s2, v23
	v_mov_b32_e32 v42, 0
	v_mov_b32_e32 v56, 0
	s_and_saveexec_b64 s[2:3], vcc
	s_cbranch_execz .LBB578_349
; %bb.344:
	v_lshrrev_b32_e32 v22, 24, v23
	s_movk_i32 s8, 0x80
	v_cmp_ne_u32_e32 vcc, s8, v22
	v_bfrev_b32_e32 v56, 1
	s_and_saveexec_b64 s[8:9], vcc
	s_cbranch_execz .LBB578_348
; %bb.345:
	v_bfe_u32 v23, v23, 24, 7
	s_movk_i32 s10, 0x7f
	v_cmp_ne_u32_e32 vcc, s10, v23
	v_mov_b32_e32 v56, 0x7f800001
	s_and_saveexec_b64 s[10:11], vcc
	s_cbranch_execz .LBB578_347
; %bb.346:
	v_and_b32_e32 v58, 7, v22
	v_ffbh_u32_e32 v56, v58
	v_min_u32_e32 v60, 32, v56
	v_subrev_u32_e32 v56, 28, v60
	v_lshlrev_b64 v[56:57], v56, v[22:23]
	v_lshrrev_b32_e32 v59, 3, v23
	v_sub_u32_e32 v57, 29, v60
	v_and_b32_e32 v56, 7, v56
	v_cmp_gt_u32_e32 vcc, 8, v23
	v_cndmask_b32_e32 v23, v59, v57, vcc
	v_cndmask_b32_e32 v56, v58, v56, vcc
	v_lshlrev_b32_e32 v22, 24, v22
	v_bfrev_b32_e32 v57, 60
	v_lshlrev_b32_e32 v56, 20, v56
	v_and_b32_e32 v22, 0x80000000, v22
	v_lshl_add_u32 v23, v23, 23, v57
	v_or3_b32 v56, v22, v23, v56
.LBB578_347:
	s_or_b64 exec, exec, s[10:11]
.LBB578_348:
	s_or_b64 exec, exec, s[8:9]
.LBB578_349:
	s_or_b64 exec, exec, s[2:3]
	v_cvt_pkrtz_f16_f32 v22, v53, v44
	v_cvt_pkrtz_f16_f32 v23, v43, v52
	v_cmp_ne_u16_sdwa s[8:9], v24, v42 src0_sel:BYTE_0 src1_sel:DWORD
	s_nop 0
	v_mfma_f32_16x16x16f16 v[58:61], v[22:23], v[26:27], 0
	v_cvt_pkrtz_f16_f32 v22, v45, v55
	v_cvt_pkrtz_f16_f32 v23, v54, v56
	s_nop 1
	v_mfma_f32_16x16x16f16 v[26:29], v[22:23], v[28:29], v[58:61]
	s_and_saveexec_b64 s[2:3], s[8:9]
	s_cbranch_execz .LBB578_355
; %bb.350:
	s_movk_i32 s8, 0x80
	v_cmp_ne_u16_sdwa s[10:11], v24, s8 src0_sel:BYTE_0 src1_sel:DWORD
	v_bfrev_b32_e32 v42, 1
	s_and_saveexec_b64 s[8:9], s[10:11]
	s_cbranch_execz .LBB578_354
; %bb.351:
	s_movk_i32 s10, 0x7f
	v_and_b32_e32 v22, 0x7f, v24
	v_cmp_ne_u32_e32 vcc, s10, v22
	v_mov_b32_e32 v42, 0x7f800001
	s_and_saveexec_b64 s[10:11], vcc
	s_cbranch_execz .LBB578_353
; %bb.352:
	v_and_b32_e32 v23, 7, v24
	v_ffbh_u32_e32 v42, v23
	v_min_u32_e32 v45, 32, v42
	v_subrev_u32_e32 v42, 28, v45
	v_lshlrev_b64 v[42:43], v42, v[24:25]
	v_lshrrev_b32_e32 v44, 3, v22
	v_sub_u32_e32 v43, 29, v45
	v_and_b32_e32 v42, 7, v42
	v_cmp_gt_u32_e32 vcc, 8, v22
	v_cndmask_b32_e32 v22, v44, v43, vcc
	v_cndmask_b32_e32 v23, v23, v42, vcc
	v_lshlrev_b32_e32 v42, 24, v24
	v_bfrev_b32_e32 v43, 60
	v_lshlrev_b32_e32 v23, 20, v23
	v_and_b32_e32 v42, 0x80000000, v42
	v_lshl_add_u32 v22, v22, 23, v43
	v_or3_b32 v42, v42, v22, v23
.LBB578_353:
	s_or_b64 exec, exec, s[10:11]
.LBB578_354:
	s_or_b64 exec, exec, s[8:9]
.LBB578_355:
	s_or_b64 exec, exec, s[2:3]
	v_lshrrev_b16_e32 v22, 8, v24
	v_cmp_ne_u16_e32 vcc, 0, v22
	v_mov_b32_e32 v23, 0
	v_mov_b32_e32 v43, 0
	s_and_saveexec_b64 s[2:3], vcc
	s_cbranch_execz .LBB578_361
; %bb.356:
	s_movk_i32 s8, 0x80
	v_cmp_ne_u16_e32 vcc, s8, v22
	v_bfrev_b32_e32 v43, 1
	s_and_saveexec_b64 s[8:9], vcc
	s_cbranch_execz .LBB578_360
; %bb.357:
	s_movk_i32 s10, 0x7f
	v_and_b32_e32 v44, 0x7f, v22
	v_cmp_ne_u32_e32 vcc, s10, v44
	v_mov_b32_e32 v43, 0x7f800001
	s_and_saveexec_b64 s[10:11], vcc
	s_cbranch_execz .LBB578_359
; %bb.358:
	v_and_b32_e32 v43, 7, v22
	v_ffbh_u32_e32 v52, v43
	v_min_u32_e32 v54, 32, v52
	v_subrev_u32_e32 v52, 28, v54
	v_lshlrev_b64 v[52:53], v52, v[22:23]
	v_lshrrev_b32_e32 v45, 3, v44
	v_sub_u32_e32 v22, 29, v54
	v_and_b32_e32 v52, 7, v52
	v_cmp_gt_u32_e32 vcc, 8, v44
	v_cndmask_b32_e32 v22, v45, v22, vcc
	v_cndmask_b32_e32 v43, v43, v52, vcc
	v_lshlrev_b32_e32 v44, 16, v24
	v_bfrev_b32_e32 v45, 60
	v_lshlrev_b32_e32 v43, 20, v43
	v_and_b32_e32 v44, 0x80000000, v44
	v_lshl_add_u32 v22, v22, 23, v45
	v_or3_b32 v43, v44, v22, v43
.LBB578_359:
	s_or_b64 exec, exec, s[10:11]
.LBB578_360:
	s_or_b64 exec, exec, s[8:9]
.LBB578_361:
	s_or_b64 exec, exec, s[2:3]
	s_movk_i32 s2, 0xff
	v_and_b32_sdwa v44, v24, s2 dst_sel:DWORD dst_unused:UNUSED_PAD src0_sel:WORD_1 src1_sel:DWORD
	v_lshrrev_b32_e32 v22, 16, v24
	v_cmp_ne_u16_e32 vcc, 0, v44
	s_and_saveexec_b64 s[2:3], vcc
	s_cbranch_execz .LBB578_367
; %bb.362:
	s_movk_i32 s8, 0x80
	v_cmp_ne_u16_e32 vcc, s8, v44
	v_bfrev_b32_e32 v23, 1
	s_and_saveexec_b64 s[8:9], vcc
	s_cbranch_execz .LBB578_366
; %bb.363:
	v_bfe_u32 v44, v24, 16, 7
	s_movk_i32 s10, 0x7f
	v_cmp_ne_u32_e32 vcc, s10, v44
	v_mov_b32_e32 v23, 0x7f800001
	s_and_saveexec_b64 s[10:11], vcc
	s_cbranch_execz .LBB578_365
; %bb.364:
	v_and_b32_e32 v45, 7, v22
	v_ffbh_u32_e32 v23, v45
	v_min_u32_e32 v53, 32, v23
	v_subrev_u32_e32 v23, 28, v53
	v_lshlrev_b64 v[22:23], v23, v[22:23]
	v_lshrrev_b32_e32 v52, 3, v44
	v_sub_u32_e32 v23, 29, v53
	v_and_b32_e32 v22, 7, v22
	v_cmp_gt_u32_e32 vcc, 8, v44
	v_mov_b32_e32 v44, 24
	v_cndmask_b32_e32 v23, v52, v23, vcc
	v_cndmask_b32_e32 v22, v45, v22, vcc
	v_lshlrev_b32_sdwa v44, v44, v24 dst_sel:DWORD dst_unused:UNUSED_PAD src0_sel:DWORD src1_sel:WORD_1
	v_bfrev_b32_e32 v45, 60
	v_lshlrev_b32_e32 v22, 20, v22
	v_and_b32_e32 v44, 0x80000000, v44
	v_lshl_add_u32 v23, v23, 23, v45
	v_or3_b32 v23, v44, v23, v22
.LBB578_365:
	s_or_b64 exec, exec, s[10:11]
.LBB578_366:
	s_or_b64 exec, exec, s[8:9]
.LBB578_367:
	s_or_b64 exec, exec, s[2:3]
	s_mov_b32 s2, 0xffffff
	v_cmp_lt_u32_e32 vcc, s2, v24
	v_mov_b32_e32 v45, 0
	v_mov_b32_e32 v52, 0
	s_and_saveexec_b64 s[2:3], vcc
	s_cbranch_execz .LBB578_373
; %bb.368:
	v_lshrrev_b32_e32 v22, 24, v24
	s_movk_i32 s8, 0x80
	v_cmp_ne_u32_e32 vcc, s8, v22
	v_bfrev_b32_e32 v52, 1
	s_and_saveexec_b64 s[8:9], vcc
	s_cbranch_execz .LBB578_372
; %bb.369:
	v_bfe_u32 v24, v24, 24, 7
	s_movk_i32 s10, 0x7f
	v_cmp_ne_u32_e32 vcc, s10, v24
	v_mov_b32_e32 v52, 0x7f800001
	s_and_saveexec_b64 s[10:11], vcc
	s_cbranch_execz .LBB578_371
; %bb.370:
	v_and_b32_e32 v44, 7, v22
	v_ffbh_u32_e32 v52, v44
	v_min_u32_e32 v55, 32, v52
	v_subrev_u32_e32 v52, 28, v55
	v_lshlrev_b64 v[52:53], v52, v[22:23]
	v_lshrrev_b32_e32 v54, 3, v24
	v_sub_u32_e32 v53, 29, v55
	v_and_b32_e32 v52, 7, v52
	v_cmp_gt_u32_e32 vcc, 8, v24
	v_cndmask_b32_e32 v24, v54, v53, vcc
	v_cndmask_b32_e32 v44, v44, v52, vcc
	v_lshlrev_b32_e32 v22, 24, v22
	v_bfrev_b32_e32 v52, 60
	v_lshlrev_b32_e32 v44, 20, v44
	v_and_b32_e32 v22, 0x80000000, v22
	v_lshl_add_u32 v24, v24, 23, v52
	v_or3_b32 v52, v22, v24, v44
.LBB578_371:
	s_or_b64 exec, exec, s[10:11]
.LBB578_372:
	s_or_b64 exec, exec, s[8:9]
.LBB578_373:
	s_or_b64 exec, exec, s[2:3]
	v_cmp_ne_u16_sdwa s[8:9], v25, v45 src0_sel:BYTE_0 src1_sel:DWORD
	s_and_saveexec_b64 s[2:3], s[8:9]
	s_cbranch_execz .LBB578_379
; %bb.374:
	s_movk_i32 s8, 0x80
	v_cmp_ne_u16_sdwa s[10:11], v25, s8 src0_sel:BYTE_0 src1_sel:DWORD
	v_bfrev_b32_e32 v45, 1
	s_and_saveexec_b64 s[8:9], s[10:11]
	s_cbranch_execz .LBB578_378
; %bb.375:
	s_movk_i32 s10, 0x7f
	v_and_b32_e32 v22, 0x7f, v25
	v_cmp_ne_u32_e32 vcc, s10, v22
	v_mov_b32_e32 v45, 0x7f800001
	s_and_saveexec_b64 s[10:11], vcc
	s_cbranch_execz .LBB578_377
; %bb.376:
	v_and_b32_e32 v53, 7, v25
	v_ffbh_u32_e32 v44, v53
	v_min_u32_e32 v55, 32, v44
	v_mov_b32_e32 v24, v25
	v_subrev_u32_e32 v44, 28, v55
	v_lshlrev_b64 v[44:45], v44, v[24:25]
	v_lshrrev_b32_e32 v54, 3, v22
	v_sub_u32_e32 v24, 29, v55
	v_and_b32_e32 v44, 7, v44
	v_cmp_gt_u32_e32 vcc, 8, v22
	v_cndmask_b32_e32 v22, v54, v24, vcc
	v_cndmask_b32_e32 v24, v53, v44, vcc
	v_lshlrev_b32_e32 v44, 24, v25
	v_bfrev_b32_e32 v45, 60
	v_lshlrev_b32_e32 v24, 20, v24
	v_and_b32_e32 v44, 0x80000000, v44
	v_lshl_add_u32 v22, v22, 23, v45
	v_or3_b32 v45, v44, v22, v24
.LBB578_377:
	s_or_b64 exec, exec, s[10:11]
.LBB578_378:
	s_or_b64 exec, exec, s[8:9]
.LBB578_379:
	s_or_b64 exec, exec, s[2:3]
	v_lshrrev_b16_e32 v22, 8, v25
	v_cmp_ne_u16_e32 vcc, 0, v22
	v_mov_b32_e32 v53, 0
	v_mov_b32_e32 v54, 0
	s_and_saveexec_b64 s[2:3], vcc
	s_cbranch_execz .LBB578_385
; %bb.380:
	s_movk_i32 s8, 0x80
	v_cmp_ne_u16_e32 vcc, s8, v22
	v_bfrev_b32_e32 v54, 1
	s_and_saveexec_b64 s[8:9], vcc
	s_cbranch_execz .LBB578_384
; %bb.381:
	s_movk_i32 s10, 0x7f
	v_and_b32_e32 v24, 0x7f, v22
	v_cmp_ne_u32_e32 vcc, s10, v24
	v_mov_b32_e32 v54, 0x7f800001
	s_and_saveexec_b64 s[10:11], vcc
	s_cbranch_execz .LBB578_383
; %bb.382:
	v_and_b32_e32 v44, 7, v22
	v_ffbh_u32_e32 v54, v44
	v_min_u32_e32 v57, 32, v54
	v_subrev_u32_e32 v54, 28, v57
	v_lshlrev_b64 v[54:55], v54, v[22:23]
	v_lshrrev_b32_e32 v56, 3, v24
	v_sub_u32_e32 v22, 29, v57
	v_and_b32_e32 v54, 7, v54
	v_cmp_gt_u32_e32 vcc, 8, v24
	v_cndmask_b32_e32 v22, v56, v22, vcc
	v_cndmask_b32_e32 v24, v44, v54, vcc
	v_lshlrev_b32_e32 v44, 16, v25
	v_bfrev_b32_e32 v54, 60
	v_lshlrev_b32_e32 v24, 20, v24
	v_and_b32_e32 v44, 0x80000000, v44
	v_lshl_add_u32 v22, v22, 23, v54
	v_or3_b32 v54, v44, v22, v24
.LBB578_383:
	s_or_b64 exec, exec, s[10:11]
.LBB578_384:
	s_or_b64 exec, exec, s[8:9]
.LBB578_385:
	s_or_b64 exec, exec, s[2:3]
	s_movk_i32 s2, 0xff
	v_and_b32_sdwa v24, v25, s2 dst_sel:DWORD dst_unused:UNUSED_PAD src0_sel:WORD_1 src1_sel:DWORD
	v_lshrrev_b32_e32 v22, 16, v25
	v_cmp_ne_u16_e32 vcc, 0, v24
	s_and_saveexec_b64 s[2:3], vcc
	s_cbranch_execz .LBB578_391
; %bb.386:
	s_movk_i32 s8, 0x80
	v_cmp_ne_u16_e32 vcc, s8, v24
	v_bfrev_b32_e32 v53, 1
	s_and_saveexec_b64 s[8:9], vcc
	s_cbranch_execz .LBB578_390
; %bb.387:
	v_bfe_u32 v24, v25, 16, 7
	s_movk_i32 s10, 0x7f
	v_cmp_ne_u32_e32 vcc, s10, v24
	v_mov_b32_e32 v53, 0x7f800001
	s_and_saveexec_b64 s[10:11], vcc
	s_cbranch_execz .LBB578_389
; %bb.388:
	v_and_b32_e32 v44, 7, v22
	v_ffbh_u32_e32 v55, v44
	v_min_u32_e32 v55, 32, v55
	v_subrev_u32_e32 v56, 28, v55
	v_lshlrev_b64 v[56:57], v56, v[22:23]
	v_sub_u32_e32 v22, 29, v55
	v_and_b32_e32 v55, 7, v56
	v_cmp_gt_u32_e32 vcc, 8, v24
	v_lshrrev_b32_e32 v53, 3, v24
	v_cndmask_b32_e32 v24, v44, v55, vcc
	v_mov_b32_e32 v44, 24
	v_cndmask_b32_e32 v22, v53, v22, vcc
	v_lshlrev_b32_sdwa v44, v44, v25 dst_sel:DWORD dst_unused:UNUSED_PAD src0_sel:DWORD src1_sel:WORD_1
	v_bfrev_b32_e32 v53, 60
	v_lshlrev_b32_e32 v24, 20, v24
	v_and_b32_e32 v44, 0x80000000, v44
	v_lshl_add_u32 v22, v22, 23, v53
	v_or3_b32 v53, v44, v22, v24
.LBB578_389:
	s_or_b64 exec, exec, s[10:11]
.LBB578_390:
	s_or_b64 exec, exec, s[8:9]
.LBB578_391:
	s_or_b64 exec, exec, s[2:3]
	s_mov_b32 s2, 0xffffff
	v_and_b32_e32 v44, 63, v0
	v_cmp_lt_u32_e32 vcc, s2, v25
	v_mov_b32_e32 v55, 0
	s_and_saveexec_b64 s[2:3], vcc
	s_cbranch_execz .LBB578_397
; %bb.392:
	v_lshrrev_b32_e32 v22, 24, v25
	s_movk_i32 s8, 0x80
	v_cmp_ne_u32_e32 vcc, s8, v22
	v_bfrev_b32_e32 v55, 1
	s_and_saveexec_b64 s[8:9], vcc
	s_cbranch_execz .LBB578_396
; %bb.393:
	v_bfe_u32 v24, v25, 24, 7
	s_movk_i32 s10, 0x7f
	v_cmp_ne_u32_e32 vcc, s10, v24
	v_mov_b32_e32 v55, 0x7f800001
	s_and_saveexec_b64 s[10:11], vcc
	s_cbranch_execz .LBB578_395
; %bb.394:
	v_and_b32_e32 v25, 7, v22
	v_ffbh_u32_e32 v56, v25
	v_min_u32_e32 v58, 32, v56
	v_subrev_u32_e32 v56, 28, v58
	v_lshlrev_b64 v[56:57], v56, v[22:23]
	v_lshrrev_b32_e32 v55, 3, v24
	v_sub_u32_e32 v57, 29, v58
	v_and_b32_e32 v56, 7, v56
	v_cmp_gt_u32_e32 vcc, 8, v24
	v_cndmask_b32_e32 v24, v55, v57, vcc
	v_cndmask_b32_e32 v25, v25, v56, vcc
	v_lshlrev_b32_e32 v22, 24, v22
	v_bfrev_b32_e32 v55, 60
	v_lshlrev_b32_e32 v25, 20, v25
	v_and_b32_e32 v22, 0x80000000, v22
	v_lshl_add_u32 v24, v24, 23, v55
	v_or3_b32 v55, v22, v24, v25
.LBB578_395:
	s_or_b64 exec, exec, s[10:11]
.LBB578_396:
	s_or_b64 exec, exec, s[8:9]
.LBB578_397:
	s_or_b64 exec, exec, s[2:3]
	v_cvt_pkrtz_f16_f32 v42, v42, v43
	v_cvt_pkrtz_f16_f32 v43, v23, v52
	s_load_dword s2, s[4:5], 0x1c
	s_mov_b32 s46, 0xff7fffff
	s_waitcnt lgkmcnt(0)
	v_mfma_f32_16x16x16f16 v[26:29], v[42:43], v[18:19], v[26:29]
	v_cvt_pkrtz_f16_f32 v18, v45, v54
	v_cvt_pkrtz_f16_f32 v19, v53, v55
	v_mov_b32_e32 v22, s2
	v_mul_f32_e32 v52, s12, v22
	v_pk_mul_f32 v[22:23], v[52:53], v[32:33] op_sel_hi:[0,1]
	v_pk_mul_f32 v[32:33], v[52:53], v[38:39] op_sel_hi:[0,1]
	v_and_b32_e32 v38, 0xc0, v0
	v_mfma_f32_16x16x16f16 v[26:29], v[18:19], v[20:21], v[26:29]
	v_add_u32_e32 v38, s18, v38
	v_lshl_or_b32 v38, v1, 2, v38
	v_or_b32_e32 v39, 1, v38
	v_pk_mul_f32 v[24:25], v[52:53], v[30:31] op_sel_hi:[0,1]
	v_pk_mul_f32 v[30:31], v[52:53], v[40:41] op_sel_hi:[0,1]
	v_subrev_u32_e32 v40, s33, v39
	v_pk_mul_f32 v[34:35], v[52:53], v[34:35] op_sel_hi:[0,1]
	s_nop 3
	v_pk_mul_f32 v[20:21], v[52:53], v[26:27] op_sel_hi:[0,1]
	v_add_u32_e32 v27, 1, v40
	v_pk_mul_f32 v[18:19], v[52:53], v[28:29] op_sel_hi:[0,1]
	v_cvt_f32_i32_e32 v27, v27
	v_add_u32_e32 v29, 3, v40
	v_cvt_f32_i32_e32 v29, v29
	v_cvt_f32_i32_e32 v26, v40
	v_pk_mul_f32 v[36:37], v[52:53], v[36:37] op_sel_hi:[0,1]
	v_fmac_f32_e32 v35, v51, v27
	v_add_u32_e32 v27, 16, v40
	v_fmac_f32_e32 v37, v51, v29
	v_cvt_f32_i32_e32 v27, v27
	v_add_u32_e32 v29, 17, v40
	v_fma_f32 v26, v51, v26, v34
	v_cvt_f32_i32_e32 v29, v29
	v_add_u32_e32 v34, 18, v40
	v_cvt_f32_i32_e32 v34, v34
	v_fma_f32 v41, v51, v27, v32
	v_add_u32_e32 v27, 32, v40
	v_fmac_f32_e32 v33, v51, v29
	v_cvt_f32_i32_e32 v27, v27
	v_add_u32_e32 v29, 33, v40
	v_add_u32_e32 v32, 34, v40
	v_fma_f32 v30, v51, v34, v30
	v_cvt_f32_i32_e32 v29, v29
	v_cvt_f32_i32_e32 v32, v32
	v_add_u32_e32 v34, 35, v40
	v_cvt_f32_i32_e32 v34, v34
	v_fma_f32 v24, v51, v27, v24
	v_add_u32_e32 v27, 48, v40
	v_fmac_f32_e32 v25, v51, v29
	v_fma_f32 v22, v51, v32, v22
	v_cvt_f32_i32_e32 v27, v27
	v_add_u32_e32 v29, 49, v40
	v_add_u32_e32 v32, 50, v40
	v_fmac_f32_e32 v23, v51, v34
	v_cvt_f32_i32_e32 v29, v29
	v_cvt_f32_i32_e32 v32, v32
	v_add_u32_e32 v34, 51, v40
	v_add_u32_e32 v28, 2, v40
	v_cvt_f32_i32_e32 v34, v34
	v_cvt_f32_i32_e32 v28, v28
	v_fma_f32 v20, v51, v27, v20
	v_mov_b32_e32 v27, 0xff7fffff
	v_cmp_gt_i32_e64 s[26:27], s33, v38
	v_cmp_gt_i32_e64 s[28:29], s33, v39
	v_fmac_f32_e32 v21, v51, v29
	v_fma_f32 v18, v51, v32, v18
	v_cndmask_b32_e64 v29, v27, v26, s[26:27]
	v_cndmask_b32_e64 v32, v27, v35, s[28:29]
	v_fmac_f32_e32 v19, v51, v34
	v_max3_f32 v29, v29, s46, v32
	v_or_b32_e32 v32, 2, v38
	v_or_b32_e32 v34, 3, v38
	v_fma_f32 v28, v51, v28, v36
	v_cmp_gt_i32_e64 s[30:31], s33, v32
	v_cmp_gt_i32_e64 s[34:35], s33, v34
	v_add_u32_e32 v36, 19, v40
	v_cndmask_b32_e64 v32, v27, v28, s[30:31]
	v_cndmask_b32_e64 v34, v27, v37, s[34:35]
	v_cvt_f32_i32_e32 v36, v36
	v_max3_f32 v29, v29, v32, v34
	v_or_b32_e32 v32, 16, v38
	v_or_b32_e32 v34, 17, v38
	v_cmp_gt_i32_e64 s[36:37], s33, v32
	v_cmp_gt_i32_e64 s[38:39], s33, v34
	v_cndmask_b32_e64 v32, v27, v41, s[36:37]
	v_cndmask_b32_e64 v34, v27, v33, s[38:39]
	v_max3_f32 v29, v29, v32, v34
	v_or_b32_e32 v32, 18, v38
	v_or_b32_e32 v34, 19, v38
	v_fmac_f32_e32 v31, v51, v36
	v_cmp_gt_i32_e64 s[20:21], s33, v32
	v_cmp_gt_i32_e64 s[22:23], s33, v34
	v_cndmask_b32_e64 v32, v27, v30, s[20:21]
	v_cndmask_b32_e64 v34, v27, v31, s[22:23]
	v_max3_f32 v29, v29, v32, v34
	v_or_b32_e32 v32, 32, v38
	v_or_b32_e32 v34, 33, v38
	v_cmp_gt_i32_e64 s[16:17], s33, v32
	v_cmp_gt_i32_e64 s[18:19], s33, v34
	v_cndmask_b32_e64 v32, v27, v24, s[16:17]
	v_cndmask_b32_e64 v34, v27, v25, s[18:19]
	v_max3_f32 v29, v29, v32, v34
	v_or_b32_e32 v32, 34, v38
	v_or_b32_e32 v34, 35, v38
	;; [unrolled: 7-line block ×4, first 2 shown]
	v_cmp_gt_i32_e32 vcc, s33, v32
	v_cmp_gt_i32_e64 s[2:3], s33, v34
	v_cndmask_b32_e32 v32, v27, v18, vcc
	v_cndmask_b32_e64 v27, v27, v19, s[2:3]
	v_max3_f32 v27, v29, v32, v27
	v_mbcnt_lo_u32_b32 v29, -1, 0
	v_mbcnt_hi_u32_b32 v29, -1, v29
	v_and_b32_e32 v32, 64, v29
	v_add_u32_e32 v32, 64, v32
	v_xor_b32_e32 v34, 32, v29
	v_cmp_lt_i32_e64 s[40:41], v34, v32
	v_cndmask_b32_e64 v34, v29, v34, s[40:41]
	v_lshlrev_b32_e32 v36, 2, v34
	ds_bpermute_b32 v34, v36, v27
	s_barrier
	s_waitcnt lgkmcnt(0)
	v_max_f32_e32 v34, v34, v34
	v_max_f32_e32 v27, v27, v34
	v_xor_b32_e32 v34, 16, v29
	v_cmp_lt_i32_e64 s[40:41], v34, v32
	v_cndmask_b32_e64 v29, v29, v34, s[40:41]
	v_lshlrev_b32_e32 v38, 2, v29
	ds_bpermute_b32 v29, v38, v27
	s_waitcnt lgkmcnt(0)
	v_max_f32_e32 v29, v29, v29
	v_max_f32_e32 v32, v27, v29
	v_sub_f32_e32 v26, v26, v32
	v_mul_f32_e32 v26, 0x3fb8aa3b, v26
	v_sub_f32_e32 v27, v35, v32
	v_exp_f32_e32 v26, v26
	v_mul_f32_e32 v27, 0x3fb8aa3b, v27
	v_sub_f32_e32 v28, v28, v32
	v_exp_f32_e32 v27, v27
	v_mul_f32_e32 v28, 0x3fb8aa3b, v28
	v_exp_f32_e32 v28, v28
	v_cndmask_b32_e64 v26, 0, v26, s[26:27]
	v_sub_f32_e32 v34, v37, v32
	v_add_f32_e32 v29, 0, v26
	v_cndmask_b32_e64 v27, 0, v27, s[28:29]
	v_mul_f32_e32 v34, 0x3fb8aa3b, v34
	v_exp_f32_e32 v35, v34
	v_add_f32_e32 v29, v29, v27
	v_cndmask_b32_e64 v34, 0, v28, s[30:31]
	v_add_f32_e32 v28, v29, v34
	v_sub_f32_e32 v29, v41, v32
	v_mul_f32_e32 v29, 0x3fb8aa3b, v29
	v_sub_f32_e32 v33, v33, v32
	v_exp_f32_e32 v29, v29
	v_mul_f32_e32 v33, 0x3fb8aa3b, v33
	v_sub_f32_e32 v30, v30, v32
	v_exp_f32_e32 v33, v33
	;; [unrolled: 3-line block ×3, first 2 shown]
	v_mul_f32_e32 v31, 0x3fb8aa3b, v31
	v_sub_f32_e32 v24, v24, v32
	v_cndmask_b32_e64 v35, 0, v35, s[34:35]
	v_exp_f32_e32 v31, v31
	v_mul_f32_e32 v24, 0x3fb8aa3b, v24
	v_sub_f32_e32 v25, v25, v32
	v_add_f32_e32 v37, v28, v35
	v_cndmask_b32_e64 v28, 0, v29, s[36:37]
	v_exp_f32_e32 v24, v24
	v_mul_f32_e32 v25, 0x3fb8aa3b, v25
	v_sub_f32_e32 v22, v22, v32
	v_add_f32_e32 v37, v37, v28
	;; [unrolled: 5-line block ×7, first 2 shown]
	v_cndmask_b32_e64 v22, 0, v22, s[12:13]
	v_exp_f32_e32 v18, v18
	v_mul_f32_e32 v19, 0x3fb8aa3b, v19
	v_add_f32_e32 v33, v33, v22
	v_cndmask_b32_e64 v23, 0, v23, s[14:15]
	v_exp_f32_e32 v19, v19
	v_add_f32_e32 v33, v33, v23
	v_cndmask_b32_e64 v20, 0, v20, s[8:9]
	v_add_f32_e32 v33, v33, v20
	v_cndmask_b32_e64 v21, 0, v21, s[10:11]
	v_add_f32_e32 v33, v33, v21
	v_cndmask_b32_e32 v18, 0, v18, vcc
	v_add_f32_e32 v33, v33, v18
	v_cndmask_b32_e64 v19, 0, v19, s[2:3]
	v_add_f32_e32 v33, v33, v19
	ds_bpermute_b32 v36, v36, v33
	v_cmp_gt_u32_e64 s[2:3], 16, v44
	s_waitcnt lgkmcnt(0)
	v_add_f32_e32 v33, v33, v36
	ds_bpermute_b32 v37, v38, v33
	v_lshlrev_b32_e32 v36, 2, v49
	s_and_saveexec_b64 s[8:9], s[2:3]
	s_cbranch_execz .LBB578_399
; %bb.398:
	s_waitcnt lgkmcnt(0)
	v_add_f32_e32 v33, v33, v37
	v_lshl_or_b32 v37, v50, 6, v36
	ds_write2st64_b32 v37, v32, v33 offset1:1
.LBB578_399:
	s_or_b64 exec, exec, s[8:9]
	s_waitcnt lgkmcnt(0)
	s_barrier
	ds_read2_b32 v[38:39], v36 offset1:16
	ds_read2_b32 v[40:41], v36 offset0:32 offset1:48
	ds_read2_b32 v[42:43], v36 offset0:64 offset1:80
	s_mul_i32 s14, s45, 5
	s_waitcnt lgkmcnt(2)
	v_max3_f32 v32, v38, s46, v39
	s_waitcnt lgkmcnt(1)
	v_max3_f32 v33, v32, v40, v41
	v_sub_f32_e32 v32, v38, v33
	v_mul_f32_e32 v32, 0x3fb8aa3b, v32
	v_exp_f32_e32 v37, v32
	v_sub_f32_e32 v32, v39, v33
	v_mul_f32_e32 v32, 0x3fb8aa3b, v32
	v_exp_f32_e32 v44, v32
	;; [unrolled: 3-line block ×3, first 2 shown]
	ds_read2_b32 v[38:39], v36 offset0:96 offset1:112
	v_sub_f32_e32 v32, v41, v33
	v_mul_f32_e32 v32, 0x3fb8aa3b, v32
	v_exp_f32_e32 v41, v32
	s_waitcnt lgkmcnt(1)
	v_fma_f32 v36, v37, v42, 0
	v_fmac_f32_e32 v36, v44, v43
	s_waitcnt lgkmcnt(0)
	v_fmac_f32_e32 v36, v40, v38
	v_fmac_f32_e32 v36, v41, v39
	v_add_f32_e32 v38, 0x358637bd, v36
	v_div_scale_f32 v39, s[8:9], v38, v38, 1.0
	v_rcp_f32_e32 v42, v39
	s_barrier
	v_fma_f32 v43, -v39, v42, 1.0
	v_fmac_f32_e32 v42, v43, v42
	v_div_scale_f32 v43, vcc, 1.0, v38, 1.0
	v_mul_f32_e32 v45, v43, v42
	v_fma_f32 v51, -v39, v45, v43
	v_fmac_f32_e32 v45, v51, v42
	v_fma_f32 v39, -v39, v45, v43
	v_div_fmas_f32 v39, v39, v42, v45
	v_cmp_eq_u32_e32 vcc, 1, v50
	v_cndmask_b32_e32 v37, v37, v44, vcc
	v_cmp_eq_u32_e32 vcc, 2, v50
	v_cndmask_b32_e32 v37, v37, v40, vcc
	v_cmp_eq_u32_e32 vcc, 3, v50
	v_div_fixup_f32 v38, v39, v38, 1.0
	v_cndmask_b32_e32 v37, v37, v41, vcc
	v_mul_f32_e32 v38, v37, v38
	v_pk_mul_f32 v[26:27], v[38:39], v[26:27] op_sel_hi:[0,1]
	v_cvt_f16_f32_e32 v26, v26
	v_cvt_f16_f32_e32 v27, v27
	v_pk_mul_f32 v[34:35], v[38:39], v[34:35] op_sel_hi:[0,1]
	v_cvt_f16_f32_e32 v37, v34
	v_cvt_f16_f32_e32 v35, v35
	v_pack_b32_f16 v34, v26, v27
	v_pk_mul_f32 v[26:27], v[38:39], v[30:31] op_sel_hi:[0,1]
	v_pk_mul_f32 v[28:29], v[38:39], v[28:29] op_sel_hi:[0,1]
	v_cvt_f16_f32_e32 v28, v28
	v_cvt_f16_f32_e32 v29, v29
	;; [unrolled: 1-line block ×4, first 2 shown]
	v_pack_b32_f16 v35, v37, v35
	v_lshlrev_b32_e32 v37, 3, v1
	v_lshlrev_b32_e32 v26, 11, v50
	v_or3_b32 v26, v26, v48, v37
	v_pack_b32_f16 v28, v28, v29
	v_pack_b32_f16 v29, v30, v27
	v_pk_mul_f32 v[22:23], v[38:39], v[22:23] op_sel_hi:[0,1]
	v_pk_mul_f32 v[24:25], v[38:39], v[24:25] op_sel_hi:[0,1]
	;; [unrolled: 1-line block ×4, first 2 shown]
	ds_write2st64_b64 v26, v[34:35], v[28:29] offset1:1
	v_cvt_f16_f32_e32 v24, v24
	v_cvt_f16_f32_e32 v25, v25
	v_cvt_f16_f32_e32 v22, v22
	v_cvt_f16_f32_e32 v23, v23
	v_cvt_f16_f32_e32 v20, v20
	v_cvt_f16_f32_e32 v21, v21
	v_cvt_f16_f32_e32 v27, v18
	v_cvt_f16_f32_e32 v28, v19
	v_mov_b32_e32 v32, 0
	v_pack_b32_f16 v18, v24, v25
	v_pack_b32_f16 v19, v22, v23
	v_pack_b32_f16 v20, v20, v21
	v_pack_b32_f16 v21, v27, v28
	v_cmp_gt_u32_e32 vcc, 5, v0
	ds_write2st64_b64 v26, v[18:19], v[20:21] offset0:2 offset1:3
	s_and_saveexec_b64 s[8:9], vcc
	s_cbranch_execz .LBB578_401
; %bb.400:
	v_add_co_u32_e32 v20, vcc, s25, v49
	v_addc_co_u32_e64 v21, s[10:11], 0, 0, vcc
	v_mov_b32_e32 v18, s14
	v_mov_b32_e32 v19, 0
	v_mad_u64_u32 v[20:21], s[10:11], s6, v18, v[20:21]
	v_mov_b32_e32 v18, s24
	s_load_dwordx4 s[16:19], s[4:5], 0x58
	s_mul_i32 s7, s7, s14
	v_mad_u64_u32 v[18:19], s[10:11], v20, s44, v[18:19]
	v_add_u32_e32 v21, s7, v21
	v_mov_b32_e32 v20, v19
	v_mad_u64_u32 v[20:21], s[10:11], v21, s44, v[20:21]
	v_mov_b32_e32 v19, v20
	v_lshlrev_b64 v[18:19], 2, v[18:19]
	s_waitcnt lgkmcnt(0)
	v_mov_b32_e32 v21, s19
	v_add_co_u32_e32 v20, vcc, s18, v18
	v_addc_co_u32_e32 v21, vcc, v21, v19, vcc
	global_store_dword v[20:21], v33, off
	v_mov_b32_e32 v20, s17
	v_add_co_u32_e32 v18, vcc, s16, v18
	v_addc_co_u32_e32 v19, vcc, v20, v19, vcc
	global_store_dword v[18:19], v36, off
.LBB578_401:
	s_or_b64 exec, exec, s[8:9]
	v_mov_b32_e32 v19, 0
	s_waitcnt vmcnt(3)
	v_cmp_ne_u16_sdwa s[10:11], v14, v19 src0_sel:BYTE_0 src1_sel:DWORD
	s_waitcnt lgkmcnt(0)
	s_barrier
	s_and_saveexec_b64 s[8:9], s[10:11]
	s_cbranch_execz .LBB578_407
; %bb.402:
	s_movk_i32 s7, 0x80
	v_cmp_ne_u16_sdwa s[12:13], v14, s7 src0_sel:BYTE_0 src1_sel:DWORD
	v_bfrev_b32_e32 v32, 1
	s_and_saveexec_b64 s[10:11], s[12:13]
	s_cbranch_execz .LBB578_406
; %bb.403:
	s_movk_i32 s7, 0x7f
	v_and_b32_e32 v18, 0x7f, v14
	v_cmp_ne_u32_e32 vcc, s7, v18
	v_mov_b32_e32 v32, 0x7f800001
	s_and_saveexec_b64 s[12:13], vcc
	s_cbranch_execz .LBB578_405
; %bb.404:
	v_and_b32_e32 v22, 7, v14
	v_ffbh_u32_e32 v20, v22
	v_min_u32_e32 v24, 32, v20
	v_subrev_u32_e32 v20, 28, v24
	v_lshlrev_b64 v[20:21], v20, v[14:15]
	v_lshrrev_b32_e32 v23, 3, v18
	v_sub_u32_e32 v21, 29, v24
	v_and_b32_e32 v20, 7, v20
	v_cmp_gt_u32_e32 vcc, 8, v18
	v_cndmask_b32_e32 v18, v23, v21, vcc
	v_cndmask_b32_e32 v20, v22, v20, vcc
	v_lshlrev_b32_e32 v21, 24, v14
	v_bfrev_b32_e32 v22, 60
	v_lshlrev_b32_e32 v20, 20, v20
	v_and_b32_e32 v21, 0x80000000, v21
	v_lshl_add_u32 v18, v18, 23, v22
	v_or3_b32 v32, v21, v18, v20
.LBB578_405:
	s_or_b64 exec, exec, s[12:13]
.LBB578_406:
	s_or_b64 exec, exec, s[10:11]
.LBB578_407:
	s_or_b64 exec, exec, s[8:9]
	v_lshrrev_b16_e32 v18, 8, v14
	v_cmp_ne_u16_e32 vcc, 0, v18
	v_mov_b32_e32 v20, 0
	s_and_saveexec_b64 s[8:9], vcc
	s_cbranch_execz .LBB578_413
; %bb.408:
	s_movk_i32 s7, 0x80
	v_cmp_ne_u16_e32 vcc, s7, v18
	v_bfrev_b32_e32 v20, 1
	s_and_saveexec_b64 s[10:11], vcc
	s_cbranch_execz .LBB578_412
; %bb.409:
	s_movk_i32 s7, 0x7f
	v_and_b32_e32 v21, 0x7f, v18
	v_cmp_ne_u32_e32 vcc, s7, v21
	v_mov_b32_e32 v20, 0x7f800001
	s_and_saveexec_b64 s[12:13], vcc
	s_cbranch_execz .LBB578_411
; %bb.410:
	v_and_b32_e32 v20, 7, v18
	v_ffbh_u32_e32 v22, v20
	v_min_u32_e32 v25, 32, v22
	v_subrev_u32_e32 v22, 28, v25
	v_lshlrev_b64 v[22:23], v22, v[18:19]
	v_lshrrev_b32_e32 v24, 3, v21
	v_sub_u32_e32 v18, 29, v25
	v_and_b32_e32 v22, 7, v22
	v_cmp_gt_u32_e32 vcc, 8, v21
	v_cndmask_b32_e32 v18, v24, v18, vcc
	v_cndmask_b32_e32 v20, v20, v22, vcc
	v_lshlrev_b32_e32 v21, 16, v14
	v_bfrev_b32_e32 v22, 60
	v_lshlrev_b32_e32 v20, 20, v20
	v_and_b32_e32 v21, 0x80000000, v21
	v_lshl_add_u32 v18, v18, 23, v22
	v_or3_b32 v20, v21, v18, v20
.LBB578_411:
	s_or_b64 exec, exec, s[12:13]
.LBB578_412:
	s_or_b64 exec, exec, s[10:11]
.LBB578_413:
	s_or_b64 exec, exec, s[8:9]
	s_movk_i32 s7, 0xff
	v_and_b32_sdwa v21, v14, s7 dst_sel:DWORD dst_unused:UNUSED_PAD src0_sel:WORD_1 src1_sel:DWORD
	v_lshrrev_b32_e32 v18, 16, v14
	v_cmp_ne_u16_e32 vcc, 0, v21
	s_and_saveexec_b64 s[8:9], vcc
	s_cbranch_execz .LBB578_419
; %bb.414:
	s_movk_i32 s7, 0x80
	v_cmp_ne_u16_e32 vcc, s7, v21
	v_bfrev_b32_e32 v19, 1
	s_and_saveexec_b64 s[10:11], vcc
	s_cbranch_execz .LBB578_418
; %bb.415:
	v_bfe_u32 v21, v14, 16, 7
	s_movk_i32 s7, 0x7f
	v_cmp_ne_u32_e32 vcc, s7, v21
	v_mov_b32_e32 v19, 0x7f800001
	s_and_saveexec_b64 s[12:13], vcc
	s_cbranch_execz .LBB578_417
; %bb.416:
	v_and_b32_e32 v22, 7, v18
	v_ffbh_u32_e32 v19, v22
	v_min_u32_e32 v24, 32, v19
	v_subrev_u32_e32 v19, 28, v24
	v_lshlrev_b64 v[18:19], v19, v[18:19]
	v_lshrrev_b32_e32 v23, 3, v21
	v_sub_u32_e32 v19, 29, v24
	v_and_b32_e32 v18, 7, v18
	v_cmp_gt_u32_e32 vcc, 8, v21
	v_mov_b32_e32 v21, 24
	v_cndmask_b32_e32 v19, v23, v19, vcc
	v_cndmask_b32_e32 v18, v22, v18, vcc
	v_lshlrev_b32_sdwa v21, v21, v14 dst_sel:DWORD dst_unused:UNUSED_PAD src0_sel:DWORD src1_sel:WORD_1
	v_bfrev_b32_e32 v22, 60
	v_lshlrev_b32_e32 v18, 20, v18
	v_and_b32_e32 v21, 0x80000000, v21
	v_lshl_add_u32 v19, v19, 23, v22
	v_or3_b32 v19, v21, v19, v18
.LBB578_417:
	s_or_b64 exec, exec, s[12:13]
.LBB578_418:
	s_or_b64 exec, exec, s[10:11]
.LBB578_419:
	s_or_b64 exec, exec, s[8:9]
	s_mov_b32 s7, 0xffffff
	v_cmp_lt_u32_e32 vcc, s7, v14
	v_mov_b32_e32 v21, 0
	v_mov_b32_e32 v22, 0
	s_and_saveexec_b64 s[8:9], vcc
	s_cbranch_execz .LBB578_425
; %bb.420:
	v_lshrrev_b32_e32 v18, 24, v14
	s_movk_i32 s7, 0x80
	v_cmp_ne_u32_e32 vcc, s7, v18
	v_bfrev_b32_e32 v22, 1
	s_and_saveexec_b64 s[10:11], vcc
	s_cbranch_execz .LBB578_424
; %bb.421:
	v_bfe_u32 v14, v14, 24, 7
	s_movk_i32 s7, 0x7f
	v_cmp_ne_u32_e32 vcc, s7, v14
	v_mov_b32_e32 v22, 0x7f800001
	s_and_saveexec_b64 s[12:13], vcc
	s_cbranch_execz .LBB578_423
; %bb.422:
	v_and_b32_e32 v24, 7, v18
	v_ffbh_u32_e32 v22, v24
	v_min_u32_e32 v27, 32, v22
	v_subrev_u32_e32 v22, 28, v27
	v_lshlrev_b64 v[22:23], v22, v[18:19]
	v_lshrrev_b32_e32 v25, 3, v14
	v_sub_u32_e32 v23, 29, v27
	v_and_b32_e32 v22, 7, v22
	v_cmp_gt_u32_e32 vcc, 8, v14
	v_cndmask_b32_e32 v14, v25, v23, vcc
	v_cndmask_b32_e32 v22, v24, v22, vcc
	v_lshlrev_b32_e32 v18, 24, v18
	v_bfrev_b32_e32 v23, 60
	v_lshlrev_b32_e32 v22, 20, v22
	v_and_b32_e32 v18, 0x80000000, v18
	v_lshl_add_u32 v14, v14, 23, v23
	v_or3_b32 v22, v18, v14, v22
.LBB578_423:
	s_or_b64 exec, exec, s[12:13]
.LBB578_424:
	s_or_b64 exec, exec, s[10:11]
.LBB578_425:
	s_or_b64 exec, exec, s[8:9]
	v_cmp_ne_u16_sdwa s[10:11], v15, v21 src0_sel:BYTE_0 src1_sel:DWORD
	s_and_saveexec_b64 s[8:9], s[10:11]
	s_cbranch_execz .LBB578_431
; %bb.426:
	s_movk_i32 s7, 0x80
	v_cmp_ne_u16_sdwa s[12:13], v15, s7 src0_sel:BYTE_0 src1_sel:DWORD
	v_bfrev_b32_e32 v21, 1
	s_and_saveexec_b64 s[10:11], s[12:13]
	s_cbranch_execz .LBB578_430
; %bb.427:
	s_movk_i32 s7, 0x7f
	v_and_b32_e32 v14, 0x7f, v15
	v_cmp_ne_u32_e32 vcc, s7, v14
	v_mov_b32_e32 v21, 0x7f800001
	s_and_saveexec_b64 s[12:13], vcc
	s_cbranch_execz .LBB578_429
; %bb.428:
	v_and_b32_e32 v21, 7, v15
	v_ffbh_u32_e32 v24, v21
	v_min_u32_e32 v27, 32, v24
	v_mov_b32_e32 v18, v15
	v_subrev_u32_e32 v24, 28, v27
	v_lshlrev_b64 v[24:25], v24, v[18:19]
	v_lshrrev_b32_e32 v23, 3, v14
	v_sub_u32_e32 v18, 29, v27
	v_and_b32_e32 v24, 7, v24
	v_cmp_gt_u32_e32 vcc, 8, v14
	v_cndmask_b32_e32 v14, v23, v18, vcc
	v_cndmask_b32_e32 v18, v21, v24, vcc
	v_lshlrev_b32_e32 v21, 24, v15
	v_bfrev_b32_e32 v23, 60
	v_lshlrev_b32_e32 v18, 20, v18
	v_and_b32_e32 v21, 0x80000000, v21
	v_lshl_add_u32 v14, v14, 23, v23
	v_or3_b32 v21, v21, v14, v18
.LBB578_429:
	s_or_b64 exec, exec, s[12:13]
.LBB578_430:
	s_or_b64 exec, exec, s[10:11]
.LBB578_431:
	s_or_b64 exec, exec, s[8:9]
	v_lshrrev_b16_e32 v14, 8, v15
	v_cmp_ne_u16_e32 vcc, 0, v14
	v_mov_b32_e32 v18, 0
	v_mov_b32_e32 v24, 0
	s_and_saveexec_b64 s[8:9], vcc
	s_cbranch_execz .LBB578_437
; %bb.432:
	s_movk_i32 s7, 0x80
	v_cmp_ne_u16_e32 vcc, s7, v14
	v_bfrev_b32_e32 v24, 1
	s_and_saveexec_b64 s[10:11], vcc
	s_cbranch_execz .LBB578_436
; %bb.433:
	s_movk_i32 s7, 0x7f
	v_and_b32_e32 v23, 0x7f, v14
	v_cmp_ne_u32_e32 vcc, s7, v23
	v_mov_b32_e32 v24, 0x7f800001
	s_and_saveexec_b64 s[12:13], vcc
	s_cbranch_execz .LBB578_435
; %bb.434:
	v_and_b32_e32 v27, 7, v14
	v_ffbh_u32_e32 v24, v27
	v_min_u32_e32 v29, 32, v24
	v_subrev_u32_e32 v24, 28, v29
	v_lshlrev_b64 v[24:25], v24, v[14:15]
	v_lshrrev_b32_e32 v28, 3, v23
	v_sub_u32_e32 v14, 29, v29
	v_and_b32_e32 v24, 7, v24
	v_cmp_gt_u32_e32 vcc, 8, v23
	v_cndmask_b32_e32 v14, v28, v14, vcc
	v_cndmask_b32_e32 v23, v27, v24, vcc
	v_lshlrev_b32_e32 v24, 16, v15
	v_bfrev_b32_e32 v25, 60
	v_lshlrev_b32_e32 v23, 20, v23
	v_and_b32_e32 v24, 0x80000000, v24
	v_lshl_add_u32 v14, v14, 23, v25
	v_or3_b32 v24, v24, v14, v23
.LBB578_435:
	s_or_b64 exec, exec, s[12:13]
.LBB578_436:
	s_or_b64 exec, exec, s[10:11]
.LBB578_437:
	s_or_b64 exec, exec, s[8:9]
	s_movk_i32 s7, 0xff
	v_and_b32_sdwa v23, v15, s7 dst_sel:DWORD dst_unused:UNUSED_PAD src0_sel:WORD_1 src1_sel:DWORD
	v_lshrrev_b32_e32 v14, 16, v15
	v_cmp_ne_u16_e32 vcc, 0, v23
	s_and_saveexec_b64 s[8:9], vcc
	s_cbranch_execz .LBB578_443
; %bb.438:
	s_movk_i32 s7, 0x80
	v_cmp_ne_u16_e32 vcc, s7, v23
	v_bfrev_b32_e32 v18, 1
	s_and_saveexec_b64 s[10:11], vcc
	s_cbranch_execz .LBB578_442
; %bb.439:
	v_bfe_u32 v23, v15, 16, 7
	s_movk_i32 s7, 0x7f
	v_cmp_ne_u32_e32 vcc, s7, v23
	v_mov_b32_e32 v18, 0x7f800001
	s_and_saveexec_b64 s[12:13], vcc
	s_cbranch_execz .LBB578_441
; %bb.440:
	v_and_b32_e32 v18, 7, v14
	v_ffbh_u32_e32 v27, v18
	v_min_u32_e32 v27, 32, v27
	v_subrev_u32_e32 v28, 28, v27
	v_lshlrev_b64 v[28:29], v28, v[14:15]
	v_lshrrev_b32_e32 v25, 3, v23
	v_sub_u32_e32 v14, 29, v27
	v_and_b32_e32 v27, 7, v28
	v_cmp_gt_u32_e32 vcc, 8, v23
	v_mov_b32_e32 v23, 24
	v_cndmask_b32_e32 v14, v25, v14, vcc
	v_cndmask_b32_e32 v18, v18, v27, vcc
	v_lshlrev_b32_sdwa v23, v23, v15 dst_sel:DWORD dst_unused:UNUSED_PAD src0_sel:DWORD src1_sel:WORD_1
	v_bfrev_b32_e32 v25, 60
	v_lshlrev_b32_e32 v18, 20, v18
	v_and_b32_e32 v23, 0x80000000, v23
	v_lshl_add_u32 v14, v14, 23, v25
	v_or3_b32 v18, v23, v14, v18
.LBB578_441:
	s_or_b64 exec, exec, s[12:13]
.LBB578_442:
	s_or_b64 exec, exec, s[10:11]
.LBB578_443:
	s_or_b64 exec, exec, s[8:9]
	s_mov_b32 s7, 0xffffff
	v_cmp_lt_u32_e32 vcc, s7, v15
	v_mov_b32_e32 v23, 0
	v_mov_b32_e32 v25, 0
	s_and_saveexec_b64 s[8:9], vcc
	s_cbranch_execz .LBB578_449
; %bb.444:
	v_lshrrev_b32_e32 v14, 24, v15
	s_movk_i32 s7, 0x80
	v_cmp_ne_u32_e32 vcc, s7, v14
	v_bfrev_b32_e32 v25, 1
	s_and_saveexec_b64 s[10:11], vcc
	s_cbranch_execz .LBB578_448
; %bb.445:
	v_bfe_u32 v15, v15, 24, 7
	s_movk_i32 s7, 0x7f
	v_cmp_ne_u32_e32 vcc, s7, v15
	v_mov_b32_e32 v25, 0x7f800001
	s_and_saveexec_b64 s[12:13], vcc
	s_cbranch_execz .LBB578_447
; %bb.446:
	v_and_b32_e32 v25, 7, v14
	v_ffbh_u32_e32 v28, v25
	v_min_u32_e32 v30, 32, v28
	v_subrev_u32_e32 v28, 28, v30
	v_lshlrev_b64 v[28:29], v28, v[14:15]
	v_lshrrev_b32_e32 v27, 3, v15
	v_sub_u32_e32 v29, 29, v30
	v_and_b32_e32 v28, 7, v28
	v_cmp_gt_u32_e32 vcc, 8, v15
	v_cndmask_b32_e32 v15, v27, v29, vcc
	v_cndmask_b32_e32 v25, v25, v28, vcc
	v_lshlrev_b32_e32 v14, 24, v14
	v_bfrev_b32_e32 v27, 60
	v_lshlrev_b32_e32 v25, 20, v25
	v_and_b32_e32 v14, 0x80000000, v14
	v_lshl_add_u32 v15, v15, 23, v27
	v_or3_b32 v25, v14, v15, v25
.LBB578_447:
	s_or_b64 exec, exec, s[12:13]
.LBB578_448:
	s_or_b64 exec, exec, s[10:11]
.LBB578_449:
	s_or_b64 exec, exec, s[8:9]
	v_cvt_pkrtz_f16_f32 v15, v19, v22
	v_lshl_or_b32 v22, v1, 9, v48
	v_cvt_pkrtz_f16_f32 v14, v32, v20
	ds_read_b128 v[28:31], v22
	v_cmp_ne_u16_sdwa s[10:11], v16, v23 src0_sel:BYTE_0 src1_sel:DWORD
	s_waitcnt lgkmcnt(0)
	v_mfma_f32_16x16x16f16 v[32:35], v[14:15], v[28:29], 0
	v_cvt_pkrtz_f16_f32 v14, v21, v24
	v_cvt_pkrtz_f16_f32 v15, v18, v25
	s_nop 1
	v_mfma_f32_16x16x16f16 v[18:21], v[14:15], v[30:31], v[32:35]
	s_and_saveexec_b64 s[8:9], s[10:11]
	s_cbranch_execz .LBB578_455
; %bb.450:
	s_movk_i32 s7, 0x80
	v_cmp_ne_u16_sdwa s[12:13], v16, s7 src0_sel:BYTE_0 src1_sel:DWORD
	v_bfrev_b32_e32 v23, 1
	s_and_saveexec_b64 s[10:11], s[12:13]
	s_cbranch_execz .LBB578_454
; %bb.451:
	s_movk_i32 s7, 0x7f
	v_and_b32_e32 v14, 0x7f, v16
	v_cmp_ne_u32_e32 vcc, s7, v14
	v_mov_b32_e32 v23, 0x7f800001
	s_and_saveexec_b64 s[12:13], vcc
	s_cbranch_execz .LBB578_453
; %bb.452:
	v_and_b32_e32 v15, 7, v16
	v_ffbh_u32_e32 v24, v15
	v_min_u32_e32 v27, 32, v24
	v_subrev_u32_e32 v24, 28, v27
	v_lshlrev_b64 v[24:25], v24, v[16:17]
	v_lshrrev_b32_e32 v23, 3, v14
	v_sub_u32_e32 v25, 29, v27
	v_and_b32_e32 v24, 7, v24
	v_cmp_gt_u32_e32 vcc, 8, v14
	v_cndmask_b32_e32 v14, v23, v25, vcc
	v_cndmask_b32_e32 v15, v15, v24, vcc
	v_lshlrev_b32_e32 v23, 24, v16
	v_bfrev_b32_e32 v24, 60
	v_lshlrev_b32_e32 v15, 20, v15
	v_and_b32_e32 v23, 0x80000000, v23
	v_lshl_add_u32 v14, v14, 23, v24
	v_or3_b32 v23, v23, v14, v15
.LBB578_453:
	s_or_b64 exec, exec, s[12:13]
.LBB578_454:
	s_or_b64 exec, exec, s[10:11]
.LBB578_455:
	s_or_b64 exec, exec, s[8:9]
	v_lshrrev_b16_e32 v14, 8, v16
	v_cmp_ne_u16_e32 vcc, 0, v14
	v_mov_b32_e32 v15, 0
	v_mov_b32_e32 v25, 0
	s_and_saveexec_b64 s[8:9], vcc
	s_cbranch_execz .LBB578_461
; %bb.456:
	s_movk_i32 s7, 0x80
	v_cmp_ne_u16_e32 vcc, s7, v14
	v_bfrev_b32_e32 v25, 1
	s_and_saveexec_b64 s[10:11], vcc
	s_cbranch_execz .LBB578_460
; %bb.457:
	s_movk_i32 s7, 0x7f
	v_and_b32_e32 v24, 0x7f, v14
	v_cmp_ne_u32_e32 vcc, s7, v24
	v_mov_b32_e32 v25, 0x7f800001
	s_and_saveexec_b64 s[12:13], vcc
	s_cbranch_execz .LBB578_459
; %bb.458:
	v_and_b32_e32 v25, 7, v14
	v_ffbh_u32_e32 v28, v25
	v_min_u32_e32 v30, 32, v28
	v_subrev_u32_e32 v28, 28, v30
	v_lshlrev_b64 v[28:29], v28, v[14:15]
	v_lshrrev_b32_e32 v27, 3, v24
	v_sub_u32_e32 v14, 29, v30
	v_and_b32_e32 v28, 7, v28
	v_cmp_gt_u32_e32 vcc, 8, v24
	v_cndmask_b32_e32 v14, v27, v14, vcc
	v_cndmask_b32_e32 v24, v25, v28, vcc
	v_lshlrev_b32_e32 v25, 16, v16
	v_bfrev_b32_e32 v27, 60
	v_lshlrev_b32_e32 v24, 20, v24
	v_and_b32_e32 v25, 0x80000000, v25
	v_lshl_add_u32 v14, v14, 23, v27
	v_or3_b32 v25, v25, v14, v24
.LBB578_459:
	s_or_b64 exec, exec, s[12:13]
.LBB578_460:
	s_or_b64 exec, exec, s[10:11]
.LBB578_461:
	s_or_b64 exec, exec, s[8:9]
	s_movk_i32 s7, 0xff
	v_and_b32_sdwa v24, v16, s7 dst_sel:DWORD dst_unused:UNUSED_PAD src0_sel:WORD_1 src1_sel:DWORD
	v_lshrrev_b32_e32 v14, 16, v16
	v_cmp_ne_u16_e32 vcc, 0, v24
	s_and_saveexec_b64 s[8:9], vcc
	s_cbranch_execz .LBB578_467
; %bb.462:
	s_movk_i32 s7, 0x80
	v_cmp_ne_u16_e32 vcc, s7, v24
	v_bfrev_b32_e32 v15, 1
	s_and_saveexec_b64 s[10:11], vcc
	s_cbranch_execz .LBB578_466
; %bb.463:
	v_bfe_u32 v24, v16, 16, 7
	s_movk_i32 s7, 0x7f
	v_cmp_ne_u32_e32 vcc, s7, v24
	v_mov_b32_e32 v15, 0x7f800001
	s_and_saveexec_b64 s[12:13], vcc
	s_cbranch_execz .LBB578_465
; %bb.464:
	v_and_b32_e32 v27, 7, v14
	v_ffbh_u32_e32 v15, v27
	v_min_u32_e32 v29, 32, v15
	v_subrev_u32_e32 v15, 28, v29
	v_lshlrev_b64 v[14:15], v15, v[14:15]
	v_lshrrev_b32_e32 v28, 3, v24
	v_sub_u32_e32 v15, 29, v29
	v_and_b32_e32 v14, 7, v14
	v_cmp_gt_u32_e32 vcc, 8, v24
	v_mov_b32_e32 v24, 24
	v_cndmask_b32_e32 v15, v28, v15, vcc
	v_cndmask_b32_e32 v14, v27, v14, vcc
	v_lshlrev_b32_sdwa v24, v24, v16 dst_sel:DWORD dst_unused:UNUSED_PAD src0_sel:DWORD src1_sel:WORD_1
	v_bfrev_b32_e32 v27, 60
	v_lshlrev_b32_e32 v14, 20, v14
	v_and_b32_e32 v24, 0x80000000, v24
	v_lshl_add_u32 v15, v15, 23, v27
	v_or3_b32 v15, v24, v15, v14
.LBB578_465:
	s_or_b64 exec, exec, s[12:13]
.LBB578_466:
	s_or_b64 exec, exec, s[10:11]
.LBB578_467:
	s_or_b64 exec, exec, s[8:9]
	s_mov_b32 s7, 0xffffff
	v_cmp_lt_u32_e32 vcc, s7, v16
	v_mov_b32_e32 v27, 0
	v_mov_b32_e32 v28, 0
	s_and_saveexec_b64 s[8:9], vcc
	s_cbranch_execz .LBB578_473
; %bb.468:
	v_lshrrev_b32_e32 v14, 24, v16
	s_movk_i32 s7, 0x80
	v_cmp_ne_u32_e32 vcc, s7, v14
	v_bfrev_b32_e32 v28, 1
	s_and_saveexec_b64 s[10:11], vcc
	s_cbranch_execz .LBB578_472
; %bb.469:
	v_bfe_u32 v16, v16, 24, 7
	s_movk_i32 s7, 0x7f
	v_cmp_ne_u32_e32 vcc, s7, v16
	v_mov_b32_e32 v28, 0x7f800001
	s_and_saveexec_b64 s[12:13], vcc
	s_cbranch_execz .LBB578_471
; %bb.470:
	v_and_b32_e32 v24, 7, v14
	v_ffbh_u32_e32 v28, v24
	v_min_u32_e32 v31, 32, v28
	v_subrev_u32_e32 v28, 28, v31
	v_lshlrev_b64 v[28:29], v28, v[14:15]
	v_lshrrev_b32_e32 v30, 3, v16
	v_sub_u32_e32 v29, 29, v31
	v_and_b32_e32 v28, 7, v28
	v_cmp_gt_u32_e32 vcc, 8, v16
	v_cndmask_b32_e32 v16, v30, v29, vcc
	v_cndmask_b32_e32 v24, v24, v28, vcc
	v_lshlrev_b32_e32 v14, 24, v14
	v_bfrev_b32_e32 v28, 60
	v_lshlrev_b32_e32 v24, 20, v24
	v_and_b32_e32 v14, 0x80000000, v14
	v_lshl_add_u32 v16, v16, 23, v28
	v_or3_b32 v28, v14, v16, v24
.LBB578_471:
	s_or_b64 exec, exec, s[12:13]
.LBB578_472:
	s_or_b64 exec, exec, s[10:11]
.LBB578_473:
	s_or_b64 exec, exec, s[8:9]
	v_cmp_ne_u16_sdwa s[10:11], v17, v27 src0_sel:BYTE_0 src1_sel:DWORD
	s_and_saveexec_b64 s[8:9], s[10:11]
	s_cbranch_execz .LBB578_479
; %bb.474:
	s_movk_i32 s7, 0x80
	v_cmp_ne_u16_sdwa s[12:13], v17, s7 src0_sel:BYTE_0 src1_sel:DWORD
	v_bfrev_b32_e32 v27, 1
	s_and_saveexec_b64 s[10:11], s[12:13]
	s_cbranch_execz .LBB578_478
; %bb.475:
	s_movk_i32 s7, 0x7f
	v_and_b32_e32 v14, 0x7f, v17
	v_cmp_ne_u32_e32 vcc, s7, v14
	v_mov_b32_e32 v27, 0x7f800001
	s_and_saveexec_b64 s[12:13], vcc
	s_cbranch_execz .LBB578_477
; %bb.476:
	v_and_b32_e32 v24, 7, v17
	v_ffbh_u32_e32 v29, v24
	v_min_u32_e32 v29, 32, v29
	v_mov_b32_e32 v16, v17
	v_subrev_u32_e32 v30, 28, v29
	v_lshlrev_b64 v[30:31], v30, v[16:17]
	v_lshrrev_b32_e32 v27, 3, v14
	v_sub_u32_e32 v16, 29, v29
	v_and_b32_e32 v29, 7, v30
	v_cmp_gt_u32_e32 vcc, 8, v14
	v_cndmask_b32_e32 v14, v27, v16, vcc
	v_cndmask_b32_e32 v16, v24, v29, vcc
	v_lshlrev_b32_e32 v24, 24, v17
	v_bfrev_b32_e32 v27, 60
	v_lshlrev_b32_e32 v16, 20, v16
	v_and_b32_e32 v24, 0x80000000, v24
	v_lshl_add_u32 v14, v14, 23, v27
	v_or3_b32 v27, v24, v14, v16
.LBB578_477:
	s_or_b64 exec, exec, s[12:13]
.LBB578_478:
	s_or_b64 exec, exec, s[10:11]
.LBB578_479:
	s_or_b64 exec, exec, s[8:9]
	v_lshrrev_b16_e32 v14, 8, v17
	v_cmp_ne_u16_e32 vcc, 0, v14
	v_mov_b32_e32 v16, 0
	v_mov_b32_e32 v29, 0
	s_and_saveexec_b64 s[8:9], vcc
	s_cbranch_execz .LBB578_485
; %bb.480:
	s_movk_i32 s7, 0x80
	v_cmp_ne_u16_e32 vcc, s7, v14
	v_bfrev_b32_e32 v29, 1
	s_and_saveexec_b64 s[10:11], vcc
	s_cbranch_execz .LBB578_484
; %bb.481:
	s_movk_i32 s7, 0x7f
	v_and_b32_e32 v24, 0x7f, v14
	v_cmp_ne_u32_e32 vcc, s7, v24
	v_mov_b32_e32 v29, 0x7f800001
	s_and_saveexec_b64 s[12:13], vcc
	s_cbranch_execz .LBB578_483
; %bb.482:
	v_and_b32_e32 v29, 7, v14
	v_ffbh_u32_e32 v30, v29
	v_min_u32_e32 v33, 32, v30
	v_subrev_u32_e32 v30, 28, v33
	v_lshlrev_b64 v[30:31], v30, v[14:15]
	v_lshrrev_b32_e32 v32, 3, v24
	v_sub_u32_e32 v14, 29, v33
	v_and_b32_e32 v30, 7, v30
	v_cmp_gt_u32_e32 vcc, 8, v24
	v_cndmask_b32_e32 v14, v32, v14, vcc
	v_cndmask_b32_e32 v24, v29, v30, vcc
	v_lshlrev_b32_e32 v29, 16, v17
	v_bfrev_b32_e32 v30, 60
	v_lshlrev_b32_e32 v24, 20, v24
	v_and_b32_e32 v29, 0x80000000, v29
	v_lshl_add_u32 v14, v14, 23, v30
	v_or3_b32 v29, v29, v14, v24
.LBB578_483:
	s_or_b64 exec, exec, s[12:13]
.LBB578_484:
	s_or_b64 exec, exec, s[10:11]
.LBB578_485:
	s_or_b64 exec, exec, s[8:9]
	s_movk_i32 s7, 0xff
	v_and_b32_sdwa v24, v17, s7 dst_sel:DWORD dst_unused:UNUSED_PAD src0_sel:WORD_1 src1_sel:DWORD
	v_lshrrev_b32_e32 v14, 16, v17
	v_cmp_ne_u16_e32 vcc, 0, v24
	s_and_saveexec_b64 s[8:9], vcc
	s_cbranch_execz .LBB578_491
; %bb.486:
	s_movk_i32 s7, 0x80
	v_cmp_ne_u16_e32 vcc, s7, v24
	v_bfrev_b32_e32 v16, 1
	s_and_saveexec_b64 s[10:11], vcc
	s_cbranch_execz .LBB578_490
; %bb.487:
	v_bfe_u32 v24, v17, 16, 7
	s_movk_i32 s7, 0x7f
	v_cmp_ne_u32_e32 vcc, s7, v24
	v_mov_b32_e32 v16, 0x7f800001
	s_and_saveexec_b64 s[12:13], vcc
	s_cbranch_execz .LBB578_489
; %bb.488:
	v_and_b32_e32 v16, 7, v14
	v_ffbh_u32_e32 v30, v16
	v_min_u32_e32 v33, 32, v30
	v_subrev_u32_e32 v30, 28, v33
	v_lshlrev_b64 v[30:31], v30, v[14:15]
	v_lshrrev_b32_e32 v32, 3, v24
	v_sub_u32_e32 v14, 29, v33
	v_and_b32_e32 v30, 7, v30
	v_cmp_gt_u32_e32 vcc, 8, v24
	v_mov_b32_e32 v24, 24
	v_cndmask_b32_e32 v14, v32, v14, vcc
	v_cndmask_b32_e32 v16, v16, v30, vcc
	v_lshlrev_b32_sdwa v24, v24, v17 dst_sel:DWORD dst_unused:UNUSED_PAD src0_sel:DWORD src1_sel:WORD_1
	v_bfrev_b32_e32 v30, 60
	v_lshlrev_b32_e32 v16, 20, v16
	v_and_b32_e32 v24, 0x80000000, v24
	v_lshl_add_u32 v14, v14, 23, v30
	v_or3_b32 v16, v24, v14, v16
.LBB578_489:
	s_or_b64 exec, exec, s[12:13]
.LBB578_490:
	s_or_b64 exec, exec, s[10:11]
.LBB578_491:
	s_or_b64 exec, exec, s[8:9]
	s_mov_b32 s7, 0xffffff
	v_cmp_lt_u32_e32 vcc, s7, v17
	v_mov_b32_e32 v24, 0
	v_mov_b32_e32 v30, 0
	s_and_saveexec_b64 s[8:9], vcc
	s_cbranch_execz .LBB578_497
; %bb.492:
	v_lshrrev_b32_e32 v14, 24, v17
	s_movk_i32 s7, 0x80
	v_cmp_ne_u32_e32 vcc, s7, v14
	v_bfrev_b32_e32 v30, 1
	s_and_saveexec_b64 s[10:11], vcc
	s_cbranch_execz .LBB578_496
; %bb.493:
	v_bfe_u32 v17, v17, 24, 7
	s_movk_i32 s7, 0x7f
	v_cmp_ne_u32_e32 vcc, s7, v17
	v_mov_b32_e32 v30, 0x7f800001
	s_and_saveexec_b64 s[12:13], vcc
	s_cbranch_execz .LBB578_495
; %bb.494:
	v_and_b32_e32 v32, 7, v14
	v_ffbh_u32_e32 v30, v32
	v_min_u32_e32 v34, 32, v30
	v_subrev_u32_e32 v30, 28, v34
	v_lshlrev_b64 v[30:31], v30, v[14:15]
	v_lshrrev_b32_e32 v33, 3, v17
	v_sub_u32_e32 v31, 29, v34
	v_and_b32_e32 v30, 7, v30
	v_cmp_gt_u32_e32 vcc, 8, v17
	v_cndmask_b32_e32 v17, v33, v31, vcc
	v_cndmask_b32_e32 v30, v32, v30, vcc
	v_lshlrev_b32_e32 v14, 24, v14
	v_bfrev_b32_e32 v31, 60
	v_lshlrev_b32_e32 v30, 20, v30
	v_and_b32_e32 v14, 0x80000000, v14
	v_lshl_add_u32 v17, v17, 23, v31
	v_or3_b32 v30, v14, v17, v30
.LBB578_495:
	s_or_b64 exec, exec, s[12:13]
.LBB578_496:
	s_or_b64 exec, exec, s[10:11]
.LBB578_497:
	s_or_b64 exec, exec, s[8:9]
	v_cvt_pkrtz_f16_f32 v14, v23, v25
	v_cvt_pkrtz_f16_f32 v15, v15, v28
	ds_read_b128 v[32:35], v22 offset:16
	s_waitcnt vmcnt(2)
	v_cmp_ne_u16_sdwa s[10:11], v10, v24 src0_sel:BYTE_0 src1_sel:DWORD
	s_waitcnt lgkmcnt(0)
	v_mfma_f32_16x16x16f16 v[18:21], v[14:15], v[32:33], v[18:21]
	v_cvt_pkrtz_f16_f32 v14, v27, v29
	v_cvt_pkrtz_f16_f32 v15, v16, v30
	s_nop 1
	v_mfma_f32_16x16x16f16 v[14:17], v[14:15], v[34:35], v[18:21]
	s_and_saveexec_b64 s[8:9], s[10:11]
	s_cbranch_execz .LBB578_503
; %bb.498:
	s_movk_i32 s7, 0x80
	v_cmp_ne_u16_sdwa s[12:13], v10, s7 src0_sel:BYTE_0 src1_sel:DWORD
	v_bfrev_b32_e32 v24, 1
	s_and_saveexec_b64 s[10:11], s[12:13]
	s_cbranch_execz .LBB578_502
; %bb.499:
	s_movk_i32 s7, 0x7f
	v_and_b32_e32 v18, 0x7f, v10
	v_cmp_ne_u32_e32 vcc, s7, v18
	v_mov_b32_e32 v24, 0x7f800001
	s_and_saveexec_b64 s[12:13], vcc
	s_cbranch_execz .LBB578_501
; %bb.500:
	v_and_b32_e32 v19, 7, v10
	v_ffbh_u32_e32 v20, v19
	v_min_u32_e32 v24, 32, v20
	v_subrev_u32_e32 v20, 28, v24
	v_lshlrev_b64 v[20:21], v20, v[10:11]
	v_lshrrev_b32_e32 v23, 3, v18
	v_sub_u32_e32 v21, 29, v24
	v_and_b32_e32 v20, 7, v20
	v_cmp_gt_u32_e32 vcc, 8, v18
	v_cndmask_b32_e32 v18, v23, v21, vcc
	v_cndmask_b32_e32 v19, v19, v20, vcc
	v_lshlrev_b32_e32 v20, 24, v10
	v_bfrev_b32_e32 v21, 60
	v_lshlrev_b32_e32 v19, 20, v19
	v_and_b32_e32 v20, 0x80000000, v20
	v_lshl_add_u32 v18, v18, 23, v21
	v_or3_b32 v24, v20, v18, v19
.LBB578_501:
	s_or_b64 exec, exec, s[12:13]
.LBB578_502:
	s_or_b64 exec, exec, s[10:11]
.LBB578_503:
	s_or_b64 exec, exec, s[8:9]
	s_nop 3
	v_lshrrev_b16_e32 v18, 8, v10
	v_cmp_ne_u16_e32 vcc, 0, v18
	v_mov_b32_e32 v19, 0
	v_mov_b32_e32 v20, 0
	s_and_saveexec_b64 s[8:9], vcc
	s_cbranch_execz .LBB578_509
; %bb.504:
	s_movk_i32 s7, 0x80
	v_cmp_ne_u16_e32 vcc, s7, v18
	v_bfrev_b32_e32 v20, 1
	s_and_saveexec_b64 s[10:11], vcc
	s_cbranch_execz .LBB578_508
; %bb.505:
	s_movk_i32 s7, 0x7f
	v_and_b32_e32 v21, 0x7f, v18
	v_cmp_ne_u32_e32 vcc, s7, v21
	v_mov_b32_e32 v20, 0x7f800001
	s_and_saveexec_b64 s[12:13], vcc
	s_cbranch_execz .LBB578_507
; %bb.506:
	v_and_b32_e32 v20, 7, v18
	v_ffbh_u32_e32 v25, v20
	v_min_u32_e32 v25, 32, v25
	v_subrev_u32_e32 v27, 28, v25
	v_lshlrev_b64 v[28:29], v27, v[18:19]
	v_lshrrev_b32_e32 v23, 3, v21
	v_sub_u32_e32 v18, 29, v25
	v_and_b32_e32 v25, 7, v28
	v_cmp_gt_u32_e32 vcc, 8, v21
	v_cndmask_b32_e32 v18, v23, v18, vcc
	v_cndmask_b32_e32 v20, v20, v25, vcc
	v_lshlrev_b32_e32 v21, 16, v10
	v_bfrev_b32_e32 v23, 60
	v_lshlrev_b32_e32 v20, 20, v20
	v_and_b32_e32 v21, 0x80000000, v21
	v_lshl_add_u32 v18, v18, 23, v23
	v_or3_b32 v20, v21, v18, v20
.LBB578_507:
	s_or_b64 exec, exec, s[12:13]
.LBB578_508:
	s_or_b64 exec, exec, s[10:11]
.LBB578_509:
	s_or_b64 exec, exec, s[8:9]
	s_movk_i32 s7, 0xff
	v_and_b32_sdwa v21, v10, s7 dst_sel:DWORD dst_unused:UNUSED_PAD src0_sel:WORD_1 src1_sel:DWORD
	v_lshrrev_b32_e32 v18, 16, v10
	v_cmp_ne_u16_e32 vcc, 0, v21
	s_and_saveexec_b64 s[8:9], vcc
	s_cbranch_execz .LBB578_515
; %bb.510:
	s_movk_i32 s7, 0x80
	v_cmp_ne_u16_e32 vcc, s7, v21
	v_bfrev_b32_e32 v19, 1
	s_and_saveexec_b64 s[10:11], vcc
	s_cbranch_execz .LBB578_514
; %bb.511:
	v_bfe_u32 v21, v10, 16, 7
	s_movk_i32 s7, 0x7f
	v_cmp_ne_u32_e32 vcc, s7, v21
	v_mov_b32_e32 v19, 0x7f800001
	s_and_saveexec_b64 s[12:13], vcc
	s_cbranch_execz .LBB578_513
; %bb.512:
	v_and_b32_e32 v23, 7, v18
	v_ffbh_u32_e32 v19, v23
	v_min_u32_e32 v27, 32, v19
	v_subrev_u32_e32 v19, 28, v27
	v_lshlrev_b64 v[18:19], v19, v[18:19]
	v_lshrrev_b32_e32 v25, 3, v21
	v_sub_u32_e32 v19, 29, v27
	v_and_b32_e32 v18, 7, v18
	v_cmp_gt_u32_e32 vcc, 8, v21
	v_mov_b32_e32 v21, 24
	v_cndmask_b32_e32 v19, v25, v19, vcc
	v_cndmask_b32_e32 v18, v23, v18, vcc
	v_lshlrev_b32_sdwa v21, v21, v10 dst_sel:DWORD dst_unused:UNUSED_PAD src0_sel:DWORD src1_sel:WORD_1
	v_bfrev_b32_e32 v23, 60
	v_lshlrev_b32_e32 v18, 20, v18
	v_and_b32_e32 v21, 0x80000000, v21
	v_lshl_add_u32 v19, v19, 23, v23
	v_or3_b32 v19, v21, v19, v18
.LBB578_513:
	s_or_b64 exec, exec, s[12:13]
.LBB578_514:
	s_or_b64 exec, exec, s[10:11]
.LBB578_515:
	s_or_b64 exec, exec, s[8:9]
	s_mov_b32 s7, 0xffffff
	v_cmp_lt_u32_e32 vcc, s7, v10
	v_mov_b32_e32 v21, 0
	v_mov_b32_e32 v23, 0
	s_and_saveexec_b64 s[8:9], vcc
	s_cbranch_execz .LBB578_521
; %bb.516:
	v_lshrrev_b32_e32 v18, 24, v10
	s_movk_i32 s7, 0x80
	v_cmp_ne_u32_e32 vcc, s7, v18
	v_bfrev_b32_e32 v23, 1
	s_and_saveexec_b64 s[10:11], vcc
	s_cbranch_execz .LBB578_520
; %bb.517:
	v_bfe_u32 v10, v10, 24, 7
	s_movk_i32 s7, 0x7f
	v_cmp_ne_u32_e32 vcc, s7, v10
	v_mov_b32_e32 v23, 0x7f800001
	s_and_saveexec_b64 s[12:13], vcc
	s_cbranch_execz .LBB578_519
; %bb.518:
	v_and_b32_e32 v23, 7, v18
	v_ffbh_u32_e32 v27, v23
	v_min_u32_e32 v27, 32, v27
	v_subrev_u32_e32 v28, 28, v27
	v_lshlrev_b64 v[28:29], v28, v[18:19]
	v_lshrrev_b32_e32 v25, 3, v10
	v_sub_u32_e32 v27, 29, v27
	v_and_b32_e32 v28, 7, v28
	v_cmp_gt_u32_e32 vcc, 8, v10
	v_cndmask_b32_e32 v10, v25, v27, vcc
	v_cndmask_b32_e32 v23, v23, v28, vcc
	v_lshlrev_b32_e32 v18, 24, v18
	v_bfrev_b32_e32 v25, 60
	v_lshlrev_b32_e32 v23, 20, v23
	v_and_b32_e32 v18, 0x80000000, v18
	v_lshl_add_u32 v10, v10, 23, v25
	v_or3_b32 v23, v18, v10, v23
.LBB578_519:
	s_or_b64 exec, exec, s[12:13]
.LBB578_520:
	s_or_b64 exec, exec, s[10:11]
.LBB578_521:
	s_or_b64 exec, exec, s[8:9]
	v_cmp_ne_u16_sdwa s[10:11], v11, v21 src0_sel:BYTE_0 src1_sel:DWORD
	s_and_saveexec_b64 s[8:9], s[10:11]
	s_cbranch_execz .LBB578_527
; %bb.522:
	s_movk_i32 s7, 0x80
	v_cmp_ne_u16_sdwa s[12:13], v11, s7 src0_sel:BYTE_0 src1_sel:DWORD
	v_bfrev_b32_e32 v21, 1
	s_and_saveexec_b64 s[10:11], s[12:13]
	s_cbranch_execz .LBB578_526
; %bb.523:
	s_movk_i32 s7, 0x7f
	v_and_b32_e32 v10, 0x7f, v11
	v_cmp_ne_u32_e32 vcc, s7, v10
	v_mov_b32_e32 v21, 0x7f800001
	s_and_saveexec_b64 s[12:13], vcc
	s_cbranch_execz .LBB578_525
; %bb.524:
	v_and_b32_e32 v21, 7, v11
	v_ffbh_u32_e32 v27, v21
	v_min_u32_e32 v27, 32, v27
	v_mov_b32_e32 v18, v11
	v_subrev_u32_e32 v28, 28, v27
	v_lshlrev_b64 v[28:29], v28, v[18:19]
	v_lshrrev_b32_e32 v25, 3, v10
	v_sub_u32_e32 v18, 29, v27
	v_and_b32_e32 v27, 7, v28
	v_cmp_gt_u32_e32 vcc, 8, v10
	v_cndmask_b32_e32 v10, v25, v18, vcc
	v_cndmask_b32_e32 v18, v21, v27, vcc
	v_lshlrev_b32_e32 v21, 24, v11
	v_bfrev_b32_e32 v25, 60
	v_lshlrev_b32_e32 v18, 20, v18
	v_and_b32_e32 v21, 0x80000000, v21
	v_lshl_add_u32 v10, v10, 23, v25
	v_or3_b32 v21, v21, v10, v18
.LBB578_525:
	s_or_b64 exec, exec, s[12:13]
.LBB578_526:
	s_or_b64 exec, exec, s[10:11]
.LBB578_527:
	s_or_b64 exec, exec, s[8:9]
	v_lshrrev_b16_e32 v10, 8, v11
	v_cmp_ne_u16_e32 vcc, 0, v10
	v_mov_b32_e32 v25, 0
	v_mov_b32_e32 v27, 0
	s_and_saveexec_b64 s[8:9], vcc
	s_cbranch_execz .LBB578_533
; %bb.528:
	s_movk_i32 s7, 0x80
	v_cmp_ne_u16_e32 vcc, s7, v10
	v_bfrev_b32_e32 v27, 1
	s_and_saveexec_b64 s[10:11], vcc
	s_cbranch_execz .LBB578_532
; %bb.529:
	s_movk_i32 s7, 0x7f
	v_and_b32_e32 v18, 0x7f, v10
	v_cmp_ne_u32_e32 vcc, s7, v18
	v_mov_b32_e32 v27, 0x7f800001
	s_and_saveexec_b64 s[12:13], vcc
	s_cbranch_execz .LBB578_531
; %bb.530:
	v_and_b32_e32 v27, 7, v10
	v_ffbh_u32_e32 v28, v27
	v_min_u32_e32 v31, 32, v28
	v_subrev_u32_e32 v28, 28, v31
	v_lshlrev_b64 v[28:29], v28, v[10:11]
	v_lshrrev_b32_e32 v30, 3, v18
	v_sub_u32_e32 v10, 29, v31
	v_and_b32_e32 v28, 7, v28
	v_cmp_gt_u32_e32 vcc, 8, v18
	v_cndmask_b32_e32 v10, v30, v10, vcc
	v_cndmask_b32_e32 v18, v27, v28, vcc
	v_lshlrev_b32_e32 v27, 16, v11
	v_bfrev_b32_e32 v28, 60
	v_lshlrev_b32_e32 v18, 20, v18
	v_and_b32_e32 v27, 0x80000000, v27
	v_lshl_add_u32 v10, v10, 23, v28
	v_or3_b32 v27, v27, v10, v18
.LBB578_531:
	s_or_b64 exec, exec, s[12:13]
.LBB578_532:
	s_or_b64 exec, exec, s[10:11]
.LBB578_533:
	s_or_b64 exec, exec, s[8:9]
	s_movk_i32 s7, 0xff
	v_and_b32_sdwa v18, v11, s7 dst_sel:DWORD dst_unused:UNUSED_PAD src0_sel:WORD_1 src1_sel:DWORD
	v_lshrrev_b32_e32 v10, 16, v11
	v_cmp_ne_u16_e32 vcc, 0, v18
	s_and_saveexec_b64 s[8:9], vcc
	s_cbranch_execz .LBB578_539
; %bb.534:
	s_movk_i32 s7, 0x80
	v_cmp_ne_u16_e32 vcc, s7, v18
	v_bfrev_b32_e32 v25, 1
	s_and_saveexec_b64 s[10:11], vcc
	s_cbranch_execz .LBB578_538
; %bb.535:
	v_bfe_u32 v18, v11, 16, 7
	s_movk_i32 s7, 0x7f
	v_cmp_ne_u32_e32 vcc, s7, v18
	v_mov_b32_e32 v25, 0x7f800001
	s_and_saveexec_b64 s[12:13], vcc
	s_cbranch_execz .LBB578_537
; %bb.536:
	v_and_b32_e32 v25, 7, v10
	v_ffbh_u32_e32 v28, v25
	v_min_u32_e32 v31, 32, v28
	v_subrev_u32_e32 v28, 28, v31
	v_lshlrev_b64 v[28:29], v28, v[10:11]
	v_and_b32_e32 v28, 7, v28
	v_cmp_gt_u32_e32 vcc, 8, v18
	v_lshrrev_b32_e32 v30, 3, v18
	v_sub_u32_e32 v10, 29, v31
	v_cndmask_b32_e32 v18, v25, v28, vcc
	v_mov_b32_e32 v25, 24
	v_cndmask_b32_e32 v10, v30, v10, vcc
	v_lshlrev_b32_sdwa v25, v25, v11 dst_sel:DWORD dst_unused:UNUSED_PAD src0_sel:DWORD src1_sel:WORD_1
	v_bfrev_b32_e32 v28, 60
	v_lshlrev_b32_e32 v18, 20, v18
	v_and_b32_e32 v25, 0x80000000, v25
	v_lshl_add_u32 v10, v10, 23, v28
	v_or3_b32 v25, v25, v10, v18
.LBB578_537:
	s_or_b64 exec, exec, s[12:13]
.LBB578_538:
	s_or_b64 exec, exec, s[10:11]
.LBB578_539:
	s_or_b64 exec, exec, s[8:9]
	s_mov_b32 s7, 0xffffff
	v_cmp_lt_u32_e32 vcc, s7, v11
	v_mov_b32_e32 v18, 0
	v_mov_b32_e32 v28, 0
	s_and_saveexec_b64 s[8:9], vcc
	s_cbranch_execz .LBB578_545
; %bb.540:
	v_lshrrev_b32_e32 v10, 24, v11
	s_movk_i32 s7, 0x80
	v_cmp_ne_u32_e32 vcc, s7, v10
	v_bfrev_b32_e32 v28, 1
	s_and_saveexec_b64 s[10:11], vcc
	s_cbranch_execz .LBB578_544
; %bb.541:
	v_bfe_u32 v11, v11, 24, 7
	s_movk_i32 s7, 0x7f
	v_cmp_ne_u32_e32 vcc, s7, v11
	v_mov_b32_e32 v28, 0x7f800001
	s_and_saveexec_b64 s[12:13], vcc
	s_cbranch_execz .LBB578_543
; %bb.542:
	v_and_b32_e32 v30, 7, v10
	v_ffbh_u32_e32 v28, v30
	v_min_u32_e32 v32, 32, v28
	v_subrev_u32_e32 v28, 28, v32
	v_lshlrev_b64 v[28:29], v28, v[10:11]
	v_lshrrev_b32_e32 v31, 3, v11
	v_sub_u32_e32 v29, 29, v32
	v_and_b32_e32 v28, 7, v28
	v_cmp_gt_u32_e32 vcc, 8, v11
	v_cndmask_b32_e32 v11, v31, v29, vcc
	v_cndmask_b32_e32 v28, v30, v28, vcc
	v_lshlrev_b32_e32 v10, 24, v10
	v_bfrev_b32_e32 v29, 60
	v_lshlrev_b32_e32 v28, 20, v28
	v_and_b32_e32 v10, 0x80000000, v10
	v_lshl_add_u32 v11, v11, 23, v29
	v_or3_b32 v28, v10, v11, v28
.LBB578_543:
	s_or_b64 exec, exec, s[12:13]
.LBB578_544:
	s_or_b64 exec, exec, s[10:11]
.LBB578_545:
	s_or_b64 exec, exec, s[8:9]
	v_cvt_pkrtz_f16_f32 v10, v24, v20
	v_cvt_pkrtz_f16_f32 v11, v19, v23
	ds_read_b128 v[30:33], v22 offset:2048
	v_cmp_ne_u16_sdwa s[10:11], v12, v18 src0_sel:BYTE_0 src1_sel:DWORD
	s_waitcnt lgkmcnt(0)
	v_mfma_f32_16x16x16f16 v[14:17], v[10:11], v[30:31], v[14:17]
	v_cvt_pkrtz_f16_f32 v10, v21, v27
	v_cvt_pkrtz_f16_f32 v11, v25, v28
	s_nop 1
	v_mfma_f32_16x16x16f16 v[14:17], v[10:11], v[32:33], v[14:17]
	s_and_saveexec_b64 s[8:9], s[10:11]
	s_cbranch_execz .LBB578_551
; %bb.546:
	s_movk_i32 s7, 0x80
	v_cmp_ne_u16_sdwa s[12:13], v12, s7 src0_sel:BYTE_0 src1_sel:DWORD
	v_bfrev_b32_e32 v18, 1
	s_and_saveexec_b64 s[10:11], s[12:13]
	s_cbranch_execz .LBB578_550
; %bb.547:
	s_movk_i32 s7, 0x7f
	v_and_b32_e32 v10, 0x7f, v12
	v_cmp_ne_u32_e32 vcc, s7, v10
	v_mov_b32_e32 v18, 0x7f800001
	s_and_saveexec_b64 s[12:13], vcc
	s_cbranch_execz .LBB578_549
; %bb.548:
	v_and_b32_e32 v11, 7, v12
	v_ffbh_u32_e32 v18, v11
	v_min_u32_e32 v21, 32, v18
	v_subrev_u32_e32 v18, 28, v21
	v_lshlrev_b64 v[18:19], v18, v[12:13]
	v_lshrrev_b32_e32 v20, 3, v10
	v_sub_u32_e32 v19, 29, v21
	v_and_b32_e32 v18, 7, v18
	v_cmp_gt_u32_e32 vcc, 8, v10
	v_cndmask_b32_e32 v10, v20, v19, vcc
	v_cndmask_b32_e32 v11, v11, v18, vcc
	v_lshlrev_b32_e32 v18, 24, v12
	v_bfrev_b32_e32 v19, 60
	v_lshlrev_b32_e32 v11, 20, v11
	v_and_b32_e32 v18, 0x80000000, v18
	v_lshl_add_u32 v10, v10, 23, v19
	v_or3_b32 v18, v18, v10, v11
.LBB578_549:
	s_or_b64 exec, exec, s[12:13]
.LBB578_550:
	s_or_b64 exec, exec, s[10:11]
.LBB578_551:
	s_or_b64 exec, exec, s[8:9]
	v_lshrrev_b16_e32 v10, 8, v12
	v_cmp_ne_u16_e32 vcc, 0, v10
	v_mov_b32_e32 v11, 0
	v_mov_b32_e32 v20, 0
	s_and_saveexec_b64 s[8:9], vcc
	s_cbranch_execz .LBB578_557
; %bb.552:
	s_movk_i32 s7, 0x80
	v_cmp_ne_u16_e32 vcc, s7, v10
	v_bfrev_b32_e32 v20, 1
	s_and_saveexec_b64 s[10:11], vcc
	s_cbranch_execz .LBB578_556
; %bb.553:
	s_movk_i32 s7, 0x7f
	v_and_b32_e32 v19, 0x7f, v10
	v_cmp_ne_u32_e32 vcc, s7, v19
	v_mov_b32_e32 v20, 0x7f800001
	s_and_saveexec_b64 s[12:13], vcc
	s_cbranch_execz .LBB578_555
; %bb.554:
	v_and_b32_e32 v23, 7, v10
	v_ffbh_u32_e32 v20, v23
	v_min_u32_e32 v25, 32, v20
	v_subrev_u32_e32 v20, 28, v25
	v_lshlrev_b64 v[20:21], v20, v[10:11]
	v_lshrrev_b32_e32 v24, 3, v19
	v_sub_u32_e32 v10, 29, v25
	v_and_b32_e32 v20, 7, v20
	v_cmp_gt_u32_e32 vcc, 8, v19
	v_cndmask_b32_e32 v10, v24, v10, vcc
	v_cndmask_b32_e32 v19, v23, v20, vcc
	v_lshlrev_b32_e32 v20, 16, v12
	v_bfrev_b32_e32 v21, 60
	v_lshlrev_b32_e32 v19, 20, v19
	v_and_b32_e32 v20, 0x80000000, v20
	v_lshl_add_u32 v10, v10, 23, v21
	v_or3_b32 v20, v20, v10, v19
.LBB578_555:
	s_or_b64 exec, exec, s[12:13]
.LBB578_556:
	s_or_b64 exec, exec, s[10:11]
.LBB578_557:
	s_or_b64 exec, exec, s[8:9]
	s_movk_i32 s7, 0xff
	v_and_b32_sdwa v19, v12, s7 dst_sel:DWORD dst_unused:UNUSED_PAD src0_sel:WORD_1 src1_sel:DWORD
	v_lshrrev_b32_e32 v10, 16, v12
	v_cmp_ne_u16_e32 vcc, 0, v19
	s_and_saveexec_b64 s[8:9], vcc
	s_cbranch_execz .LBB578_563
; %bb.558:
	s_movk_i32 s7, 0x80
	v_cmp_ne_u16_e32 vcc, s7, v19
	v_bfrev_b32_e32 v11, 1
	s_and_saveexec_b64 s[10:11], vcc
	s_cbranch_execz .LBB578_562
; %bb.559:
	v_bfe_u32 v19, v12, 16, 7
	s_movk_i32 s7, 0x7f
	v_cmp_ne_u32_e32 vcc, s7, v19
	v_mov_b32_e32 v11, 0x7f800001
	s_and_saveexec_b64 s[12:13], vcc
	s_cbranch_execz .LBB578_561
; %bb.560:
	v_and_b32_e32 v21, 7, v10
	v_ffbh_u32_e32 v11, v21
	v_min_u32_e32 v24, 32, v11
	v_subrev_u32_e32 v11, 28, v24
	v_lshlrev_b64 v[10:11], v11, v[10:11]
	v_lshrrev_b32_e32 v23, 3, v19
	v_sub_u32_e32 v11, 29, v24
	v_and_b32_e32 v10, 7, v10
	v_cmp_gt_u32_e32 vcc, 8, v19
	v_mov_b32_e32 v19, 24
	v_cndmask_b32_e32 v11, v23, v11, vcc
	v_cndmask_b32_e32 v10, v21, v10, vcc
	v_lshlrev_b32_sdwa v19, v19, v12 dst_sel:DWORD dst_unused:UNUSED_PAD src0_sel:DWORD src1_sel:WORD_1
	v_bfrev_b32_e32 v21, 60
	v_lshlrev_b32_e32 v10, 20, v10
	v_and_b32_e32 v19, 0x80000000, v19
	v_lshl_add_u32 v11, v11, 23, v21
	v_or3_b32 v11, v19, v11, v10
.LBB578_561:
	s_or_b64 exec, exec, s[12:13]
.LBB578_562:
	s_or_b64 exec, exec, s[10:11]
.LBB578_563:
	s_or_b64 exec, exec, s[8:9]
	s_mov_b32 s7, 0xffffff
	v_cmp_lt_u32_e32 vcc, s7, v12
	v_mov_b32_e32 v21, 0
	v_mov_b32_e32 v23, 0
	s_and_saveexec_b64 s[8:9], vcc
	s_cbranch_execz .LBB578_569
; %bb.564:
	v_lshrrev_b32_e32 v10, 24, v12
	s_movk_i32 s7, 0x80
	v_cmp_ne_u32_e32 vcc, s7, v10
	v_bfrev_b32_e32 v23, 1
	s_and_saveexec_b64 s[10:11], vcc
	s_cbranch_execz .LBB578_568
; %bb.565:
	v_bfe_u32 v12, v12, 24, 7
	s_movk_i32 s7, 0x7f
	v_cmp_ne_u32_e32 vcc, s7, v12
	v_mov_b32_e32 v23, 0x7f800001
	s_and_saveexec_b64 s[12:13], vcc
	s_cbranch_execz .LBB578_567
; %bb.566:
	v_and_b32_e32 v19, 7, v10
	v_ffbh_u32_e32 v24, v19
	v_min_u32_e32 v27, 32, v24
	v_subrev_u32_e32 v24, 28, v27
	v_lshlrev_b64 v[24:25], v24, v[10:11]
	v_lshrrev_b32_e32 v23, 3, v12
	v_sub_u32_e32 v25, 29, v27
	v_and_b32_e32 v24, 7, v24
	v_cmp_gt_u32_e32 vcc, 8, v12
	v_cndmask_b32_e32 v12, v23, v25, vcc
	v_cndmask_b32_e32 v19, v19, v24, vcc
	v_lshlrev_b32_e32 v10, 24, v10
	v_bfrev_b32_e32 v23, 60
	v_lshlrev_b32_e32 v19, 20, v19
	v_and_b32_e32 v10, 0x80000000, v10
	v_lshl_add_u32 v12, v12, 23, v23
	v_or3_b32 v23, v10, v12, v19
.LBB578_567:
	s_or_b64 exec, exec, s[12:13]
.LBB578_568:
	s_or_b64 exec, exec, s[10:11]
.LBB578_569:
	s_or_b64 exec, exec, s[8:9]
	v_cmp_ne_u16_sdwa s[10:11], v13, v21 src0_sel:BYTE_0 src1_sel:DWORD
	s_and_saveexec_b64 s[8:9], s[10:11]
	s_cbranch_execz .LBB578_575
; %bb.570:
	s_movk_i32 s7, 0x80
	v_cmp_ne_u16_sdwa s[12:13], v13, s7 src0_sel:BYTE_0 src1_sel:DWORD
	v_bfrev_b32_e32 v21, 1
	s_and_saveexec_b64 s[10:11], s[12:13]
	s_cbranch_execz .LBB578_574
; %bb.571:
	s_movk_i32 s7, 0x7f
	v_and_b32_e32 v10, 0x7f, v13
	v_cmp_ne_u32_e32 vcc, s7, v10
	v_mov_b32_e32 v21, 0x7f800001
	s_and_saveexec_b64 s[12:13], vcc
	s_cbranch_execz .LBB578_573
; %bb.572:
	v_and_b32_e32 v19, 7, v13
	v_ffbh_u32_e32 v24, v19
	v_min_u32_e32 v27, 32, v24
	v_mov_b32_e32 v12, v13
	v_subrev_u32_e32 v24, 28, v27
	v_lshlrev_b64 v[24:25], v24, v[12:13]
	v_lshrrev_b32_e32 v21, 3, v10
	v_sub_u32_e32 v12, 29, v27
	v_and_b32_e32 v24, 7, v24
	v_cmp_gt_u32_e32 vcc, 8, v10
	v_cndmask_b32_e32 v10, v21, v12, vcc
	v_cndmask_b32_e32 v12, v19, v24, vcc
	v_lshlrev_b32_e32 v19, 24, v13
	v_bfrev_b32_e32 v21, 60
	v_lshlrev_b32_e32 v12, 20, v12
	v_and_b32_e32 v19, 0x80000000, v19
	v_lshl_add_u32 v10, v10, 23, v21
	v_or3_b32 v21, v19, v10, v12
.LBB578_573:
	s_or_b64 exec, exec, s[12:13]
.LBB578_574:
	s_or_b64 exec, exec, s[10:11]
.LBB578_575:
	s_or_b64 exec, exec, s[8:9]
	v_lshrrev_b16_e32 v10, 8, v13
	v_cmp_ne_u16_e32 vcc, 0, v10
	v_mov_b32_e32 v12, 0
	v_mov_b32_e32 v24, 0
	s_and_saveexec_b64 s[8:9], vcc
	s_cbranch_execz .LBB578_581
; %bb.576:
	s_movk_i32 s7, 0x80
	v_cmp_ne_u16_e32 vcc, s7, v10
	v_bfrev_b32_e32 v24, 1
	s_and_saveexec_b64 s[10:11], vcc
	s_cbranch_execz .LBB578_580
; %bb.577:
	s_movk_i32 s7, 0x7f
	v_and_b32_e32 v19, 0x7f, v10
	v_cmp_ne_u32_e32 vcc, s7, v19
	v_mov_b32_e32 v24, 0x7f800001
	s_and_saveexec_b64 s[12:13], vcc
	s_cbranch_execz .LBB578_579
; %bb.578:
	v_and_b32_e32 v27, 7, v10
	v_ffbh_u32_e32 v24, v27
	v_min_u32_e32 v29, 32, v24
	v_subrev_u32_e32 v24, 28, v29
	v_lshlrev_b64 v[24:25], v24, v[10:11]
	v_lshrrev_b32_e32 v28, 3, v19
	v_sub_u32_e32 v10, 29, v29
	v_and_b32_e32 v24, 7, v24
	v_cmp_gt_u32_e32 vcc, 8, v19
	v_cndmask_b32_e32 v10, v28, v10, vcc
	v_cndmask_b32_e32 v19, v27, v24, vcc
	v_lshlrev_b32_e32 v24, 16, v13
	v_bfrev_b32_e32 v25, 60
	v_lshlrev_b32_e32 v19, 20, v19
	v_and_b32_e32 v24, 0x80000000, v24
	v_lshl_add_u32 v10, v10, 23, v25
	v_or3_b32 v24, v24, v10, v19
.LBB578_579:
	s_or_b64 exec, exec, s[12:13]
.LBB578_580:
	s_or_b64 exec, exec, s[10:11]
.LBB578_581:
	s_or_b64 exec, exec, s[8:9]
	s_movk_i32 s7, 0xff
	v_and_b32_sdwa v19, v13, s7 dst_sel:DWORD dst_unused:UNUSED_PAD src0_sel:WORD_1 src1_sel:DWORD
	v_lshrrev_b32_e32 v10, 16, v13
	v_cmp_ne_u16_e32 vcc, 0, v19
	s_and_saveexec_b64 s[8:9], vcc
	s_cbranch_execz .LBB578_587
; %bb.582:
	s_movk_i32 s7, 0x80
	v_cmp_ne_u16_e32 vcc, s7, v19
	v_bfrev_b32_e32 v12, 1
	s_and_saveexec_b64 s[10:11], vcc
	s_cbranch_execz .LBB578_586
; %bb.583:
	v_bfe_u32 v19, v13, 16, 7
	s_movk_i32 s7, 0x7f
	v_cmp_ne_u32_e32 vcc, s7, v19
	v_mov_b32_e32 v12, 0x7f800001
	s_and_saveexec_b64 s[12:13], vcc
	s_cbranch_execz .LBB578_585
; %bb.584:
	v_and_b32_e32 v12, 7, v10
	v_ffbh_u32_e32 v27, v12
	v_min_u32_e32 v27, 32, v27
	v_subrev_u32_e32 v28, 28, v27
	v_lshlrev_b64 v[28:29], v28, v[10:11]
	v_lshrrev_b32_e32 v25, 3, v19
	v_sub_u32_e32 v10, 29, v27
	v_and_b32_e32 v27, 7, v28
	v_cmp_gt_u32_e32 vcc, 8, v19
	v_mov_b32_e32 v19, 24
	v_cndmask_b32_e32 v10, v25, v10, vcc
	v_cndmask_b32_e32 v12, v12, v27, vcc
	v_lshlrev_b32_sdwa v19, v19, v13 dst_sel:DWORD dst_unused:UNUSED_PAD src0_sel:DWORD src1_sel:WORD_1
	v_bfrev_b32_e32 v25, 60
	v_lshlrev_b32_e32 v12, 20, v12
	v_and_b32_e32 v19, 0x80000000, v19
	v_lshl_add_u32 v10, v10, 23, v25
	v_or3_b32 v12, v19, v10, v12
.LBB578_585:
	s_or_b64 exec, exec, s[12:13]
.LBB578_586:
	s_or_b64 exec, exec, s[10:11]
.LBB578_587:
	s_or_b64 exec, exec, s[8:9]
	s_mov_b32 s7, 0xffffff
	v_cmp_lt_u32_e32 vcc, s7, v13
	v_mov_b32_e32 v19, 0
	v_mov_b32_e32 v25, 0
	s_and_saveexec_b64 s[8:9], vcc
	s_cbranch_execz .LBB578_593
; %bb.588:
	v_lshrrev_b32_e32 v10, 24, v13
	s_movk_i32 s7, 0x80
	v_cmp_ne_u32_e32 vcc, s7, v10
	v_bfrev_b32_e32 v25, 1
	s_and_saveexec_b64 s[10:11], vcc
	s_cbranch_execz .LBB578_592
; %bb.589:
	v_bfe_u32 v13, v13, 24, 7
	s_movk_i32 s7, 0x7f
	v_cmp_ne_u32_e32 vcc, s7, v13
	v_mov_b32_e32 v25, 0x7f800001
	s_and_saveexec_b64 s[12:13], vcc
	s_cbranch_execz .LBB578_591
; %bb.590:
	v_and_b32_e32 v25, 7, v10
	v_ffbh_u32_e32 v28, v25
	v_min_u32_e32 v30, 32, v28
	v_subrev_u32_e32 v28, 28, v30
	v_lshlrev_b64 v[28:29], v28, v[10:11]
	v_lshrrev_b32_e32 v27, 3, v13
	v_sub_u32_e32 v29, 29, v30
	v_and_b32_e32 v28, 7, v28
	v_cmp_gt_u32_e32 vcc, 8, v13
	v_cndmask_b32_e32 v13, v27, v29, vcc
	v_cndmask_b32_e32 v25, v25, v28, vcc
	v_lshlrev_b32_e32 v10, 24, v10
	v_bfrev_b32_e32 v27, 60
	v_lshlrev_b32_e32 v25, 20, v25
	v_and_b32_e32 v10, 0x80000000, v10
	v_lshl_add_u32 v13, v13, 23, v27
	v_or3_b32 v25, v10, v13, v25
.LBB578_591:
	s_or_b64 exec, exec, s[12:13]
.LBB578_592:
	s_or_b64 exec, exec, s[10:11]
.LBB578_593:
	s_or_b64 exec, exec, s[8:9]
	v_cvt_pkrtz_f16_f32 v10, v18, v20
	v_cvt_pkrtz_f16_f32 v11, v11, v23
	ds_read_b128 v[28:31], v22 offset:2064
	s_waitcnt vmcnt(1)
	v_cmp_ne_u16_sdwa s[10:11], v6, v19 src0_sel:BYTE_0 src1_sel:DWORD
	s_waitcnt lgkmcnt(0)
	v_mfma_f32_16x16x16f16 v[14:17], v[10:11], v[28:29], v[14:17]
	v_cvt_pkrtz_f16_f32 v10, v21, v24
	v_cvt_pkrtz_f16_f32 v11, v12, v25
	s_nop 1
	v_mfma_f32_16x16x16f16 v[10:13], v[10:11], v[30:31], v[14:17]
	s_and_saveexec_b64 s[8:9], s[10:11]
	s_cbranch_execz .LBB578_599
; %bb.594:
	s_movk_i32 s7, 0x80
	v_cmp_ne_u16_sdwa s[12:13], v6, s7 src0_sel:BYTE_0 src1_sel:DWORD
	v_bfrev_b32_e32 v19, 1
	s_and_saveexec_b64 s[10:11], s[12:13]
	s_cbranch_execz .LBB578_598
; %bb.595:
	s_movk_i32 s7, 0x7f
	v_and_b32_e32 v14, 0x7f, v6
	v_cmp_ne_u32_e32 vcc, s7, v14
	v_mov_b32_e32 v19, 0x7f800001
	s_and_saveexec_b64 s[12:13], vcc
	s_cbranch_execz .LBB578_597
; %bb.596:
	v_and_b32_e32 v15, 7, v6
	v_ffbh_u32_e32 v16, v15
	v_min_u32_e32 v19, 32, v16
	v_subrev_u32_e32 v16, 28, v19
	v_lshlrev_b64 v[16:17], v16, v[6:7]
	v_lshrrev_b32_e32 v18, 3, v14
	v_sub_u32_e32 v17, 29, v19
	v_and_b32_e32 v16, 7, v16
	v_cmp_gt_u32_e32 vcc, 8, v14
	v_cndmask_b32_e32 v14, v18, v17, vcc
	v_cndmask_b32_e32 v15, v15, v16, vcc
	v_lshlrev_b32_e32 v16, 24, v6
	v_bfrev_b32_e32 v17, 60
	v_lshlrev_b32_e32 v15, 20, v15
	v_and_b32_e32 v16, 0x80000000, v16
	v_lshl_add_u32 v14, v14, 23, v17
	v_or3_b32 v19, v16, v14, v15
.LBB578_597:
	s_or_b64 exec, exec, s[12:13]
.LBB578_598:
	s_or_b64 exec, exec, s[10:11]
.LBB578_599:
	s_or_b64 exec, exec, s[8:9]
	s_nop 3
	v_lshrrev_b16_e32 v14, 8, v6
	v_cmp_ne_u16_e32 vcc, 0, v14
	v_mov_b32_e32 v15, 0
	v_mov_b32_e32 v16, 0
	s_and_saveexec_b64 s[8:9], vcc
	s_cbranch_execz .LBB578_605
; %bb.600:
	s_movk_i32 s7, 0x80
	v_cmp_ne_u16_e32 vcc, s7, v14
	v_bfrev_b32_e32 v16, 1
	s_and_saveexec_b64 s[10:11], vcc
	s_cbranch_execz .LBB578_604
; %bb.601:
	s_movk_i32 s7, 0x7f
	v_and_b32_e32 v17, 0x7f, v14
	v_cmp_ne_u32_e32 vcc, s7, v17
	v_mov_b32_e32 v16, 0x7f800001
	s_and_saveexec_b64 s[12:13], vcc
	s_cbranch_execz .LBB578_603
; %bb.602:
	v_and_b32_e32 v16, 7, v14
	v_ffbh_u32_e32 v20, v16
	v_min_u32_e32 v23, 32, v20
	v_subrev_u32_e32 v20, 28, v23
	v_lshlrev_b64 v[20:21], v20, v[14:15]
	v_lshrrev_b32_e32 v18, 3, v17
	v_sub_u32_e32 v14, 29, v23
	v_and_b32_e32 v20, 7, v20
	v_cmp_gt_u32_e32 vcc, 8, v17
	v_cndmask_b32_e32 v14, v18, v14, vcc
	v_cndmask_b32_e32 v16, v16, v20, vcc
	v_lshlrev_b32_e32 v17, 16, v6
	v_bfrev_b32_e32 v18, 60
	v_lshlrev_b32_e32 v16, 20, v16
	v_and_b32_e32 v17, 0x80000000, v17
	v_lshl_add_u32 v14, v14, 23, v18
	v_or3_b32 v16, v17, v14, v16
.LBB578_603:
	s_or_b64 exec, exec, s[12:13]
.LBB578_604:
	s_or_b64 exec, exec, s[10:11]
.LBB578_605:
	s_or_b64 exec, exec, s[8:9]
	s_movk_i32 s7, 0xff
	v_and_b32_sdwa v17, v6, s7 dst_sel:DWORD dst_unused:UNUSED_PAD src0_sel:WORD_1 src1_sel:DWORD
	v_lshrrev_b32_e32 v14, 16, v6
	v_cmp_ne_u16_e32 vcc, 0, v17
	s_and_saveexec_b64 s[8:9], vcc
	s_cbranch_execz .LBB578_611
; %bb.606:
	s_movk_i32 s7, 0x80
	v_cmp_ne_u16_e32 vcc, s7, v17
	v_bfrev_b32_e32 v15, 1
	s_and_saveexec_b64 s[10:11], vcc
	s_cbranch_execz .LBB578_610
; %bb.607:
	v_bfe_u32 v17, v6, 16, 7
	s_movk_i32 s7, 0x7f
	v_cmp_ne_u32_e32 vcc, s7, v17
	v_mov_b32_e32 v15, 0x7f800001
	s_and_saveexec_b64 s[12:13], vcc
	s_cbranch_execz .LBB578_609
; %bb.608:
	v_and_b32_e32 v18, 7, v14
	v_ffbh_u32_e32 v15, v18
	v_min_u32_e32 v21, 32, v15
	v_subrev_u32_e32 v15, 28, v21
	v_lshlrev_b64 v[14:15], v15, v[14:15]
	v_lshrrev_b32_e32 v20, 3, v17
	v_sub_u32_e32 v15, 29, v21
	v_and_b32_e32 v14, 7, v14
	v_cmp_gt_u32_e32 vcc, 8, v17
	v_mov_b32_e32 v17, 24
	v_cndmask_b32_e32 v15, v20, v15, vcc
	v_cndmask_b32_e32 v14, v18, v14, vcc
	v_lshlrev_b32_sdwa v17, v17, v6 dst_sel:DWORD dst_unused:UNUSED_PAD src0_sel:DWORD src1_sel:WORD_1
	v_bfrev_b32_e32 v18, 60
	v_lshlrev_b32_e32 v14, 20, v14
	v_and_b32_e32 v17, 0x80000000, v17
	v_lshl_add_u32 v15, v15, 23, v18
	v_or3_b32 v15, v17, v15, v14
.LBB578_609:
	s_or_b64 exec, exec, s[12:13]
.LBB578_610:
	s_or_b64 exec, exec, s[10:11]
.LBB578_611:
	s_or_b64 exec, exec, s[8:9]
	s_mov_b32 s7, 0xffffff
	v_cmp_lt_u32_e32 vcc, s7, v6
	v_mov_b32_e32 v17, 0
	v_mov_b32_e32 v18, 0
	s_and_saveexec_b64 s[8:9], vcc
	s_cbranch_execz .LBB578_617
; %bb.612:
	v_lshrrev_b32_e32 v14, 24, v6
	s_movk_i32 s7, 0x80
	v_cmp_ne_u32_e32 vcc, s7, v14
	v_bfrev_b32_e32 v18, 1
	s_and_saveexec_b64 s[10:11], vcc
	s_cbranch_execz .LBB578_616
; %bb.613:
	v_bfe_u32 v6, v6, 24, 7
	s_movk_i32 s7, 0x7f
	v_cmp_ne_u32_e32 vcc, s7, v6
	v_mov_b32_e32 v18, 0x7f800001
	s_and_saveexec_b64 s[12:13], vcc
	s_cbranch_execz .LBB578_615
; %bb.614:
	v_and_b32_e32 v18, 7, v14
	v_ffbh_u32_e32 v20, v18
	v_min_u32_e32 v24, 32, v20
	v_subrev_u32_e32 v20, 28, v24
	v_lshlrev_b64 v[20:21], v20, v[14:15]
	v_lshrrev_b32_e32 v23, 3, v6
	v_sub_u32_e32 v21, 29, v24
	v_and_b32_e32 v20, 7, v20
	v_cmp_gt_u32_e32 vcc, 8, v6
	v_cndmask_b32_e32 v6, v23, v21, vcc
	v_cndmask_b32_e32 v18, v18, v20, vcc
	v_lshlrev_b32_e32 v14, 24, v14
	v_bfrev_b32_e32 v20, 60
	v_lshlrev_b32_e32 v18, 20, v18
	v_and_b32_e32 v14, 0x80000000, v14
	v_lshl_add_u32 v6, v6, 23, v20
	v_or3_b32 v18, v14, v6, v18
.LBB578_615:
	s_or_b64 exec, exec, s[12:13]
.LBB578_616:
	s_or_b64 exec, exec, s[10:11]
.LBB578_617:
	s_or_b64 exec, exec, s[8:9]
	v_cmp_ne_u16_sdwa s[10:11], v7, v17 src0_sel:BYTE_0 src1_sel:DWORD
	s_and_saveexec_b64 s[8:9], s[10:11]
	s_cbranch_execz .LBB578_623
; %bb.618:
	s_movk_i32 s7, 0x80
	v_cmp_ne_u16_sdwa s[12:13], v7, s7 src0_sel:BYTE_0 src1_sel:DWORD
	v_bfrev_b32_e32 v17, 1
	s_and_saveexec_b64 s[10:11], s[12:13]
	s_cbranch_execz .LBB578_622
; %bb.619:
	s_movk_i32 s7, 0x7f
	v_and_b32_e32 v6, 0x7f, v7
	v_cmp_ne_u32_e32 vcc, s7, v6
	v_mov_b32_e32 v17, 0x7f800001
	s_and_saveexec_b64 s[12:13], vcc
	s_cbranch_execz .LBB578_621
; %bb.620:
	v_and_b32_e32 v17, 7, v7
	v_ffbh_u32_e32 v20, v17
	v_min_u32_e32 v24, 32, v20
	v_mov_b32_e32 v14, v7
	v_subrev_u32_e32 v20, 28, v24
	v_lshlrev_b64 v[20:21], v20, v[14:15]
	v_lshrrev_b32_e32 v23, 3, v6
	v_sub_u32_e32 v14, 29, v24
	v_and_b32_e32 v20, 7, v20
	v_cmp_gt_u32_e32 vcc, 8, v6
	v_cndmask_b32_e32 v6, v23, v14, vcc
	v_cndmask_b32_e32 v14, v17, v20, vcc
	v_lshlrev_b32_e32 v17, 24, v7
	v_bfrev_b32_e32 v20, 60
	v_lshlrev_b32_e32 v14, 20, v14
	v_and_b32_e32 v17, 0x80000000, v17
	v_lshl_add_u32 v6, v6, 23, v20
	v_or3_b32 v17, v17, v6, v14
.LBB578_621:
	s_or_b64 exec, exec, s[12:13]
.LBB578_622:
	s_or_b64 exec, exec, s[10:11]
.LBB578_623:
	s_or_b64 exec, exec, s[8:9]
	v_lshrrev_b16_e32 v6, 8, v7
	v_cmp_ne_u16_e32 vcc, 0, v6
	v_mov_b32_e32 v20, 0
	v_mov_b32_e32 v21, 0
	s_and_saveexec_b64 s[8:9], vcc
	s_cbranch_execz .LBB578_629
; %bb.624:
	s_movk_i32 s7, 0x80
	v_cmp_ne_u16_e32 vcc, s7, v6
	v_bfrev_b32_e32 v21, 1
	s_and_saveexec_b64 s[10:11], vcc
	s_cbranch_execz .LBB578_628
; %bb.625:
	s_movk_i32 s7, 0x7f
	v_and_b32_e32 v14, 0x7f, v6
	v_cmp_ne_u32_e32 vcc, s7, v14
	v_mov_b32_e32 v21, 0x7f800001
	s_and_saveexec_b64 s[12:13], vcc
	s_cbranch_execz .LBB578_627
; %bb.626:
	v_and_b32_e32 v21, 7, v6
	v_ffbh_u32_e32 v24, v21
	v_min_u32_e32 v27, 32, v24
	v_subrev_u32_e32 v24, 28, v27
	v_lshlrev_b64 v[24:25], v24, v[6:7]
	v_lshrrev_b32_e32 v23, 3, v14
	v_sub_u32_e32 v6, 29, v27
	v_and_b32_e32 v24, 7, v24
	v_cmp_gt_u32_e32 vcc, 8, v14
	v_cndmask_b32_e32 v6, v23, v6, vcc
	v_cndmask_b32_e32 v14, v21, v24, vcc
	v_lshlrev_b32_e32 v21, 16, v7
	v_bfrev_b32_e32 v23, 60
	v_lshlrev_b32_e32 v14, 20, v14
	v_and_b32_e32 v21, 0x80000000, v21
	v_lshl_add_u32 v6, v6, 23, v23
	v_or3_b32 v21, v21, v6, v14
.LBB578_627:
	s_or_b64 exec, exec, s[12:13]
.LBB578_628:
	s_or_b64 exec, exec, s[10:11]
.LBB578_629:
	s_or_b64 exec, exec, s[8:9]
	s_movk_i32 s7, 0xff
	v_and_b32_sdwa v14, v7, s7 dst_sel:DWORD dst_unused:UNUSED_PAD src0_sel:WORD_1 src1_sel:DWORD
	v_lshrrev_b32_e32 v6, 16, v7
	v_cmp_ne_u16_e32 vcc, 0, v14
	s_and_saveexec_b64 s[8:9], vcc
	s_cbranch_execz .LBB578_635
; %bb.630:
	s_movk_i32 s7, 0x80
	v_cmp_ne_u16_e32 vcc, s7, v14
	v_bfrev_b32_e32 v20, 1
	s_and_saveexec_b64 s[10:11], vcc
	s_cbranch_execz .LBB578_634
; %bb.631:
	v_bfe_u32 v14, v7, 16, 7
	s_movk_i32 s7, 0x7f
	v_cmp_ne_u32_e32 vcc, s7, v14
	v_mov_b32_e32 v20, 0x7f800001
	s_and_saveexec_b64 s[12:13], vcc
	s_cbranch_execz .LBB578_633
; %bb.632:
	v_and_b32_e32 v20, 7, v6
	v_ffbh_u32_e32 v24, v20
	v_min_u32_e32 v27, 32, v24
	v_subrev_u32_e32 v24, 28, v27
	v_lshlrev_b64 v[24:25], v24, v[6:7]
	v_and_b32_e32 v24, 7, v24
	v_cmp_gt_u32_e32 vcc, 8, v14
	v_lshrrev_b32_e32 v23, 3, v14
	v_sub_u32_e32 v6, 29, v27
	v_cndmask_b32_e32 v14, v20, v24, vcc
	v_mov_b32_e32 v20, 24
	v_cndmask_b32_e32 v6, v23, v6, vcc
	v_lshlrev_b32_sdwa v20, v20, v7 dst_sel:DWORD dst_unused:UNUSED_PAD src0_sel:DWORD src1_sel:WORD_1
	v_bfrev_b32_e32 v23, 60
	v_lshlrev_b32_e32 v14, 20, v14
	v_and_b32_e32 v20, 0x80000000, v20
	v_lshl_add_u32 v6, v6, 23, v23
	v_or3_b32 v20, v20, v6, v14
.LBB578_633:
	s_or_b64 exec, exec, s[12:13]
.LBB578_634:
	s_or_b64 exec, exec, s[10:11]
.LBB578_635:
	s_or_b64 exec, exec, s[8:9]
	s_mov_b32 s7, 0xffffff
	v_cmp_lt_u32_e32 vcc, s7, v7
	v_mov_b32_e32 v14, 0
	v_mov_b32_e32 v23, 0
	s_and_saveexec_b64 s[8:9], vcc
	s_cbranch_execz .LBB578_641
; %bb.636:
	v_lshrrev_b32_e32 v6, 24, v7
	s_movk_i32 s7, 0x80
	v_cmp_ne_u32_e32 vcc, s7, v6
	v_bfrev_b32_e32 v23, 1
	s_and_saveexec_b64 s[10:11], vcc
	s_cbranch_execz .LBB578_640
; %bb.637:
	v_bfe_u32 v7, v7, 24, 7
	s_movk_i32 s7, 0x7f
	v_cmp_ne_u32_e32 vcc, s7, v7
	v_mov_b32_e32 v23, 0x7f800001
	s_and_saveexec_b64 s[12:13], vcc
	s_cbranch_execz .LBB578_639
; %bb.638:
	v_and_b32_e32 v23, 7, v6
	v_ffbh_u32_e32 v24, v23
	v_min_u32_e32 v28, 32, v24
	v_subrev_u32_e32 v24, 28, v28
	v_lshlrev_b64 v[24:25], v24, v[6:7]
	v_lshrrev_b32_e32 v27, 3, v7
	v_sub_u32_e32 v25, 29, v28
	v_and_b32_e32 v24, 7, v24
	v_cmp_gt_u32_e32 vcc, 8, v7
	v_cndmask_b32_e32 v7, v27, v25, vcc
	v_cndmask_b32_e32 v23, v23, v24, vcc
	v_lshlrev_b32_e32 v6, 24, v6
	v_bfrev_b32_e32 v24, 60
	v_lshlrev_b32_e32 v23, 20, v23
	v_and_b32_e32 v6, 0x80000000, v6
	v_lshl_add_u32 v7, v7, 23, v24
	v_or3_b32 v23, v6, v7, v23
.LBB578_639:
	s_or_b64 exec, exec, s[12:13]
.LBB578_640:
	s_or_b64 exec, exec, s[10:11]
.LBB578_641:
	s_or_b64 exec, exec, s[8:9]
	v_cvt_pkrtz_f16_f32 v6, v19, v16
	v_cvt_pkrtz_f16_f32 v7, v15, v18
	ds_read_b128 v[28:31], v22 offset:4096
	v_cmp_ne_u16_sdwa s[10:11], v8, v14 src0_sel:BYTE_0 src1_sel:DWORD
	s_waitcnt lgkmcnt(0)
	v_mfma_f32_16x16x16f16 v[10:13], v[6:7], v[28:29], v[10:13]
	v_cvt_pkrtz_f16_f32 v6, v17, v21
	v_cvt_pkrtz_f16_f32 v7, v20, v23
	s_nop 1
	v_mfma_f32_16x16x16f16 v[10:13], v[6:7], v[30:31], v[10:13]
	s_and_saveexec_b64 s[8:9], s[10:11]
	s_cbranch_execz .LBB578_647
; %bb.642:
	s_movk_i32 s7, 0x80
	v_cmp_ne_u16_sdwa s[12:13], v8, s7 src0_sel:BYTE_0 src1_sel:DWORD
	v_bfrev_b32_e32 v14, 1
	s_and_saveexec_b64 s[10:11], s[12:13]
	s_cbranch_execz .LBB578_646
; %bb.643:
	s_movk_i32 s7, 0x7f
	v_and_b32_e32 v6, 0x7f, v8
	v_cmp_ne_u32_e32 vcc, s7, v6
	v_mov_b32_e32 v14, 0x7f800001
	s_and_saveexec_b64 s[12:13], vcc
	s_cbranch_execz .LBB578_645
; %bb.644:
	v_and_b32_e32 v7, 7, v8
	v_ffbh_u32_e32 v14, v7
	v_min_u32_e32 v17, 32, v14
	v_subrev_u32_e32 v14, 28, v17
	v_lshlrev_b64 v[14:15], v14, v[8:9]
	v_lshrrev_b32_e32 v16, 3, v6
	v_sub_u32_e32 v15, 29, v17
	v_and_b32_e32 v14, 7, v14
	v_cmp_gt_u32_e32 vcc, 8, v6
	v_cndmask_b32_e32 v6, v16, v15, vcc
	v_cndmask_b32_e32 v7, v7, v14, vcc
	v_lshlrev_b32_e32 v14, 24, v8
	v_bfrev_b32_e32 v15, 60
	v_lshlrev_b32_e32 v7, 20, v7
	v_and_b32_e32 v14, 0x80000000, v14
	v_lshl_add_u32 v6, v6, 23, v15
	v_or3_b32 v14, v14, v6, v7
.LBB578_645:
	s_or_b64 exec, exec, s[12:13]
.LBB578_646:
	s_or_b64 exec, exec, s[10:11]
.LBB578_647:
	s_or_b64 exec, exec, s[8:9]
	v_lshrrev_b16_e32 v6, 8, v8
	v_cmp_ne_u16_e32 vcc, 0, v6
	v_mov_b32_e32 v7, 0
	v_mov_b32_e32 v16, 0
	s_and_saveexec_b64 s[8:9], vcc
	s_cbranch_execz .LBB578_653
; %bb.648:
	s_movk_i32 s7, 0x80
	v_cmp_ne_u16_e32 vcc, s7, v6
	v_bfrev_b32_e32 v16, 1
	s_and_saveexec_b64 s[10:11], vcc
	s_cbranch_execz .LBB578_652
; %bb.649:
	s_movk_i32 s7, 0x7f
	v_and_b32_e32 v15, 0x7f, v6
	v_cmp_ne_u32_e32 vcc, s7, v15
	v_mov_b32_e32 v16, 0x7f800001
	s_and_saveexec_b64 s[12:13], vcc
	s_cbranch_execz .LBB578_651
; %bb.650:
	v_and_b32_e32 v18, 7, v6
	v_ffbh_u32_e32 v16, v18
	v_min_u32_e32 v20, 32, v16
	v_subrev_u32_e32 v16, 28, v20
	v_lshlrev_b64 v[16:17], v16, v[6:7]
	v_lshrrev_b32_e32 v19, 3, v15
	v_sub_u32_e32 v6, 29, v20
	v_and_b32_e32 v16, 7, v16
	v_cmp_gt_u32_e32 vcc, 8, v15
	v_cndmask_b32_e32 v6, v19, v6, vcc
	v_cndmask_b32_e32 v15, v18, v16, vcc
	v_lshlrev_b32_e32 v16, 16, v8
	v_bfrev_b32_e32 v17, 60
	v_lshlrev_b32_e32 v15, 20, v15
	v_and_b32_e32 v16, 0x80000000, v16
	v_lshl_add_u32 v6, v6, 23, v17
	v_or3_b32 v16, v16, v6, v15
.LBB578_651:
	s_or_b64 exec, exec, s[12:13]
.LBB578_652:
	s_or_b64 exec, exec, s[10:11]
.LBB578_653:
	s_or_b64 exec, exec, s[8:9]
	s_movk_i32 s7, 0xff
	v_and_b32_sdwa v15, v8, s7 dst_sel:DWORD dst_unused:UNUSED_PAD src0_sel:WORD_1 src1_sel:DWORD
	v_lshrrev_b32_e32 v6, 16, v8
	v_cmp_ne_u16_e32 vcc, 0, v15
	s_and_saveexec_b64 s[8:9], vcc
	s_cbranch_execz .LBB578_659
; %bb.654:
	s_movk_i32 s7, 0x80
	v_cmp_ne_u16_e32 vcc, s7, v15
	v_bfrev_b32_e32 v7, 1
	s_and_saveexec_b64 s[10:11], vcc
	s_cbranch_execz .LBB578_658
; %bb.655:
	v_bfe_u32 v15, v8, 16, 7
	s_movk_i32 s7, 0x7f
	v_cmp_ne_u32_e32 vcc, s7, v15
	v_mov_b32_e32 v7, 0x7f800001
	s_and_saveexec_b64 s[12:13], vcc
	s_cbranch_execz .LBB578_657
; %bb.656:
	v_and_b32_e32 v17, 7, v6
	v_ffbh_u32_e32 v7, v17
	v_min_u32_e32 v19, 32, v7
	v_subrev_u32_e32 v7, 28, v19
	v_lshlrev_b64 v[6:7], v7, v[6:7]
	v_lshrrev_b32_e32 v18, 3, v15
	v_sub_u32_e32 v7, 29, v19
	v_and_b32_e32 v6, 7, v6
	v_cmp_gt_u32_e32 vcc, 8, v15
	v_mov_b32_e32 v15, 24
	v_cndmask_b32_e32 v7, v18, v7, vcc
	v_cndmask_b32_e32 v6, v17, v6, vcc
	v_lshlrev_b32_sdwa v15, v15, v8 dst_sel:DWORD dst_unused:UNUSED_PAD src0_sel:DWORD src1_sel:WORD_1
	v_bfrev_b32_e32 v17, 60
	v_lshlrev_b32_e32 v6, 20, v6
	v_and_b32_e32 v15, 0x80000000, v15
	v_lshl_add_u32 v7, v7, 23, v17
	v_or3_b32 v7, v15, v7, v6
.LBB578_657:
	s_or_b64 exec, exec, s[12:13]
.LBB578_658:
	s_or_b64 exec, exec, s[10:11]
.LBB578_659:
	s_or_b64 exec, exec, s[8:9]
	s_mov_b32 s7, 0xffffff
	v_cmp_lt_u32_e32 vcc, s7, v8
	v_mov_b32_e32 v17, 0
	v_mov_b32_e32 v18, 0
	s_and_saveexec_b64 s[8:9], vcc
	s_cbranch_execz .LBB578_665
; %bb.660:
	v_lshrrev_b32_e32 v6, 24, v8
	s_movk_i32 s7, 0x80
	v_cmp_ne_u32_e32 vcc, s7, v6
	v_bfrev_b32_e32 v18, 1
	s_and_saveexec_b64 s[10:11], vcc
	s_cbranch_execz .LBB578_664
; %bb.661:
	v_bfe_u32 v8, v8, 24, 7
	s_movk_i32 s7, 0x7f
	v_cmp_ne_u32_e32 vcc, s7, v8
	v_mov_b32_e32 v18, 0x7f800001
	s_and_saveexec_b64 s[12:13], vcc
	s_cbranch_execz .LBB578_663
; %bb.662:
	v_and_b32_e32 v15, 7, v6
	v_ffbh_u32_e32 v18, v15
	v_min_u32_e32 v21, 32, v18
	v_subrev_u32_e32 v18, 28, v21
	v_lshlrev_b64 v[18:19], v18, v[6:7]
	v_lshrrev_b32_e32 v20, 3, v8
	v_sub_u32_e32 v19, 29, v21
	v_and_b32_e32 v18, 7, v18
	v_cmp_gt_u32_e32 vcc, 8, v8
	v_cndmask_b32_e32 v8, v20, v19, vcc
	v_cndmask_b32_e32 v15, v15, v18, vcc
	v_lshlrev_b32_e32 v6, 24, v6
	v_bfrev_b32_e32 v18, 60
	v_lshlrev_b32_e32 v15, 20, v15
	v_and_b32_e32 v6, 0x80000000, v6
	v_lshl_add_u32 v8, v8, 23, v18
	v_or3_b32 v18, v6, v8, v15
.LBB578_663:
	s_or_b64 exec, exec, s[12:13]
.LBB578_664:
	s_or_b64 exec, exec, s[10:11]
.LBB578_665:
	s_or_b64 exec, exec, s[8:9]
	v_cmp_ne_u16_sdwa s[10:11], v9, v17 src0_sel:BYTE_0 src1_sel:DWORD
	s_and_saveexec_b64 s[8:9], s[10:11]
	s_cbranch_execz .LBB578_671
; %bb.666:
	s_movk_i32 s7, 0x80
	v_cmp_ne_u16_sdwa s[12:13], v9, s7 src0_sel:BYTE_0 src1_sel:DWORD
	v_bfrev_b32_e32 v17, 1
	s_and_saveexec_b64 s[10:11], s[12:13]
	s_cbranch_execz .LBB578_670
; %bb.667:
	s_movk_i32 s7, 0x7f
	v_and_b32_e32 v6, 0x7f, v9
	v_cmp_ne_u32_e32 vcc, s7, v6
	v_mov_b32_e32 v17, 0x7f800001
	s_and_saveexec_b64 s[12:13], vcc
	s_cbranch_execz .LBB578_669
; %bb.668:
	v_and_b32_e32 v15, 7, v9
	v_ffbh_u32_e32 v19, v15
	v_min_u32_e32 v19, 32, v19
	v_mov_b32_e32 v8, v9
	v_subrev_u32_e32 v20, 28, v19
	v_lshlrev_b64 v[20:21], v20, v[8:9]
	v_lshrrev_b32_e32 v17, 3, v6
	v_sub_u32_e32 v8, 29, v19
	v_and_b32_e32 v19, 7, v20
	v_cmp_gt_u32_e32 vcc, 8, v6
	v_cndmask_b32_e32 v6, v17, v8, vcc
	v_cndmask_b32_e32 v8, v15, v19, vcc
	v_lshlrev_b32_e32 v15, 24, v9
	v_bfrev_b32_e32 v17, 60
	v_lshlrev_b32_e32 v8, 20, v8
	v_and_b32_e32 v15, 0x80000000, v15
	v_lshl_add_u32 v6, v6, 23, v17
	v_or3_b32 v17, v15, v6, v8
.LBB578_669:
	s_or_b64 exec, exec, s[12:13]
.LBB578_670:
	s_or_b64 exec, exec, s[10:11]
.LBB578_671:
	s_or_b64 exec, exec, s[8:9]
	v_lshrrev_b16_e32 v6, 8, v9
	v_cmp_ne_u16_e32 vcc, 0, v6
	v_mov_b32_e32 v8, 0
	v_mov_b32_e32 v19, 0
	s_and_saveexec_b64 s[8:9], vcc
	s_cbranch_execz .LBB578_677
; %bb.672:
	s_movk_i32 s7, 0x80
	v_cmp_ne_u16_e32 vcc, s7, v6
	v_bfrev_b32_e32 v19, 1
	s_and_saveexec_b64 s[10:11], vcc
	s_cbranch_execz .LBB578_676
; %bb.673:
	s_movk_i32 s7, 0x7f
	v_and_b32_e32 v15, 0x7f, v6
	v_cmp_ne_u32_e32 vcc, s7, v15
	v_mov_b32_e32 v19, 0x7f800001
	s_and_saveexec_b64 s[12:13], vcc
	s_cbranch_execz .LBB578_675
; %bb.674:
	v_and_b32_e32 v19, 7, v6
	v_ffbh_u32_e32 v20, v19
	v_min_u32_e32 v24, 32, v20
	v_subrev_u32_e32 v20, 28, v24
	v_lshlrev_b64 v[20:21], v20, v[6:7]
	v_lshrrev_b32_e32 v23, 3, v15
	v_sub_u32_e32 v6, 29, v24
	v_and_b32_e32 v20, 7, v20
	v_cmp_gt_u32_e32 vcc, 8, v15
	v_cndmask_b32_e32 v6, v23, v6, vcc
	v_cndmask_b32_e32 v15, v19, v20, vcc
	v_lshlrev_b32_e32 v19, 16, v9
	v_bfrev_b32_e32 v20, 60
	v_lshlrev_b32_e32 v15, 20, v15
	v_and_b32_e32 v19, 0x80000000, v19
	v_lshl_add_u32 v6, v6, 23, v20
	v_or3_b32 v19, v19, v6, v15
.LBB578_675:
	s_or_b64 exec, exec, s[12:13]
.LBB578_676:
	s_or_b64 exec, exec, s[10:11]
.LBB578_677:
	s_or_b64 exec, exec, s[8:9]
	s_movk_i32 s7, 0xff
	v_and_b32_sdwa v15, v9, s7 dst_sel:DWORD dst_unused:UNUSED_PAD src0_sel:WORD_1 src1_sel:DWORD
	v_lshrrev_b32_e32 v6, 16, v9
	v_cmp_ne_u16_e32 vcc, 0, v15
	s_and_saveexec_b64 s[8:9], vcc
	s_cbranch_execz .LBB578_683
; %bb.678:
	s_movk_i32 s7, 0x80
	v_cmp_ne_u16_e32 vcc, s7, v15
	v_bfrev_b32_e32 v8, 1
	s_and_saveexec_b64 s[10:11], vcc
	s_cbranch_execz .LBB578_682
; %bb.679:
	v_bfe_u32 v15, v9, 16, 7
	s_movk_i32 s7, 0x7f
	v_cmp_ne_u32_e32 vcc, s7, v15
	v_mov_b32_e32 v8, 0x7f800001
	s_and_saveexec_b64 s[12:13], vcc
	s_cbranch_execz .LBB578_681
; %bb.680:
	v_and_b32_e32 v8, 7, v6
	v_ffbh_u32_e32 v20, v8
	v_min_u32_e32 v24, 32, v20
	v_subrev_u32_e32 v20, 28, v24
	v_lshlrev_b64 v[20:21], v20, v[6:7]
	v_lshrrev_b32_e32 v23, 3, v15
	v_sub_u32_e32 v6, 29, v24
	v_and_b32_e32 v20, 7, v20
	v_cmp_gt_u32_e32 vcc, 8, v15
	v_mov_b32_e32 v15, 24
	v_cndmask_b32_e32 v6, v23, v6, vcc
	v_cndmask_b32_e32 v8, v8, v20, vcc
	v_lshlrev_b32_sdwa v15, v15, v9 dst_sel:DWORD dst_unused:UNUSED_PAD src0_sel:DWORD src1_sel:WORD_1
	v_bfrev_b32_e32 v20, 60
	v_lshlrev_b32_e32 v8, 20, v8
	v_and_b32_e32 v15, 0x80000000, v15
	v_lshl_add_u32 v6, v6, 23, v20
	v_or3_b32 v8, v15, v6, v8
.LBB578_681:
	s_or_b64 exec, exec, s[12:13]
.LBB578_682:
	s_or_b64 exec, exec, s[10:11]
.LBB578_683:
	s_or_b64 exec, exec, s[8:9]
	s_mov_b32 s7, 0xffffff
	v_cmp_lt_u32_e32 vcc, s7, v9
	v_mov_b32_e32 v15, 0
	v_mov_b32_e32 v20, 0
	s_and_saveexec_b64 s[8:9], vcc
	s_cbranch_execz .LBB578_689
; %bb.684:
	v_lshrrev_b32_e32 v6, 24, v9
	s_movk_i32 s7, 0x80
	v_cmp_ne_u32_e32 vcc, s7, v6
	v_bfrev_b32_e32 v20, 1
	s_and_saveexec_b64 s[10:11], vcc
	s_cbranch_execz .LBB578_688
; %bb.685:
	v_bfe_u32 v9, v9, 24, 7
	s_movk_i32 s7, 0x7f
	v_cmp_ne_u32_e32 vcc, s7, v9
	v_mov_b32_e32 v20, 0x7f800001
	s_and_saveexec_b64 s[12:13], vcc
	s_cbranch_execz .LBB578_687
; %bb.686:
	v_and_b32_e32 v23, 7, v6
	v_ffbh_u32_e32 v20, v23
	v_min_u32_e32 v25, 32, v20
	v_subrev_u32_e32 v20, 28, v25
	v_lshlrev_b64 v[20:21], v20, v[6:7]
	v_lshrrev_b32_e32 v24, 3, v9
	v_sub_u32_e32 v21, 29, v25
	v_and_b32_e32 v20, 7, v20
	v_cmp_gt_u32_e32 vcc, 8, v9
	v_cndmask_b32_e32 v9, v24, v21, vcc
	v_cndmask_b32_e32 v20, v23, v20, vcc
	v_lshlrev_b32_e32 v6, 24, v6
	v_bfrev_b32_e32 v21, 60
	v_lshlrev_b32_e32 v20, 20, v20
	v_and_b32_e32 v6, 0x80000000, v6
	v_lshl_add_u32 v9, v9, 23, v21
	v_or3_b32 v20, v6, v9, v20
.LBB578_687:
	s_or_b64 exec, exec, s[12:13]
.LBB578_688:
	s_or_b64 exec, exec, s[10:11]
.LBB578_689:
	s_or_b64 exec, exec, s[8:9]
	v_cvt_pkrtz_f16_f32 v6, v14, v16
	v_cvt_pkrtz_f16_f32 v7, v7, v18
	ds_read_b128 v[28:31], v22 offset:4112
	s_waitcnt vmcnt(0)
	v_cmp_ne_u16_sdwa s[10:11], v2, v15 src0_sel:BYTE_0 src1_sel:DWORD
	s_waitcnt lgkmcnt(0)
	v_mfma_f32_16x16x16f16 v[10:13], v[6:7], v[28:29], v[10:13]
	v_cvt_pkrtz_f16_f32 v6, v17, v19
	v_cvt_pkrtz_f16_f32 v7, v8, v20
	s_nop 1
	v_mfma_f32_16x16x16f16 v[6:9], v[6:7], v[30:31], v[10:13]
	s_and_saveexec_b64 s[8:9], s[10:11]
	s_cbranch_execz .LBB578_695
; %bb.690:
	s_movk_i32 s7, 0x80
	v_cmp_ne_u16_sdwa s[12:13], v2, s7 src0_sel:BYTE_0 src1_sel:DWORD
	v_bfrev_b32_e32 v15, 1
	s_and_saveexec_b64 s[10:11], s[12:13]
	s_cbranch_execz .LBB578_694
; %bb.691:
	s_movk_i32 s7, 0x7f
	v_and_b32_e32 v10, 0x7f, v2
	v_cmp_ne_u32_e32 vcc, s7, v10
	v_mov_b32_e32 v15, 0x7f800001
	s_and_saveexec_b64 s[12:13], vcc
	s_cbranch_execz .LBB578_693
; %bb.692:
	v_and_b32_e32 v11, 7, v2
	v_ffbh_u32_e32 v12, v11
	v_min_u32_e32 v15, 32, v12
	v_subrev_u32_e32 v12, 28, v15
	v_lshlrev_b64 v[12:13], v12, v[2:3]
	v_lshrrev_b32_e32 v14, 3, v10
	v_sub_u32_e32 v13, 29, v15
	v_and_b32_e32 v12, 7, v12
	v_cmp_gt_u32_e32 vcc, 8, v10
	v_cndmask_b32_e32 v10, v14, v13, vcc
	v_cndmask_b32_e32 v11, v11, v12, vcc
	v_lshlrev_b32_e32 v12, 24, v2
	v_bfrev_b32_e32 v13, 60
	v_lshlrev_b32_e32 v11, 20, v11
	v_and_b32_e32 v12, 0x80000000, v12
	v_lshl_add_u32 v10, v10, 23, v13
	v_or3_b32 v15, v12, v10, v11
.LBB578_693:
	s_or_b64 exec, exec, s[12:13]
.LBB578_694:
	s_or_b64 exec, exec, s[10:11]
.LBB578_695:
	s_or_b64 exec, exec, s[8:9]
	s_nop 3
	v_lshrrev_b16_e32 v10, 8, v2
	v_cmp_ne_u16_e32 vcc, 0, v10
	v_mov_b32_e32 v11, 0
	v_mov_b32_e32 v12, 0
	s_and_saveexec_b64 s[8:9], vcc
	s_cbranch_execz .LBB578_701
; %bb.696:
	s_movk_i32 s7, 0x80
	v_cmp_ne_u16_e32 vcc, s7, v10
	v_bfrev_b32_e32 v12, 1
	s_and_saveexec_b64 s[10:11], vcc
	s_cbranch_execz .LBB578_700
; %bb.697:
	s_movk_i32 s7, 0x7f
	v_and_b32_e32 v13, 0x7f, v10
	v_cmp_ne_u32_e32 vcc, s7, v13
	v_mov_b32_e32 v12, 0x7f800001
	s_and_saveexec_b64 s[12:13], vcc
	s_cbranch_execz .LBB578_699
; %bb.698:
	v_and_b32_e32 v12, 7, v10
	v_ffbh_u32_e32 v16, v12
	v_min_u32_e32 v18, 32, v16
	v_subrev_u32_e32 v16, 28, v18
	v_lshlrev_b64 v[16:17], v16, v[10:11]
	v_lshrrev_b32_e32 v14, 3, v13
	v_sub_u32_e32 v10, 29, v18
	v_and_b32_e32 v16, 7, v16
	v_cmp_gt_u32_e32 vcc, 8, v13
	v_cndmask_b32_e32 v10, v14, v10, vcc
	v_cndmask_b32_e32 v12, v12, v16, vcc
	v_lshlrev_b32_e32 v13, 16, v2
	v_bfrev_b32_e32 v14, 60
	v_lshlrev_b32_e32 v12, 20, v12
	v_and_b32_e32 v13, 0x80000000, v13
	v_lshl_add_u32 v10, v10, 23, v14
	v_or3_b32 v12, v13, v10, v12
.LBB578_699:
	s_or_b64 exec, exec, s[12:13]
.LBB578_700:
	s_or_b64 exec, exec, s[10:11]
.LBB578_701:
	s_or_b64 exec, exec, s[8:9]
	s_movk_i32 s7, 0xff
	v_and_b32_sdwa v13, v2, s7 dst_sel:DWORD dst_unused:UNUSED_PAD src0_sel:WORD_1 src1_sel:DWORD
	v_lshrrev_b32_e32 v10, 16, v2
	v_cmp_ne_u16_e32 vcc, 0, v13
	s_and_saveexec_b64 s[8:9], vcc
	s_cbranch_execz .LBB578_707
; %bb.702:
	s_movk_i32 s7, 0x80
	v_cmp_ne_u16_e32 vcc, s7, v13
	v_bfrev_b32_e32 v11, 1
	s_and_saveexec_b64 s[10:11], vcc
	s_cbranch_execz .LBB578_706
; %bb.703:
	v_bfe_u32 v13, v2, 16, 7
	s_movk_i32 s7, 0x7f
	v_cmp_ne_u32_e32 vcc, s7, v13
	v_mov_b32_e32 v11, 0x7f800001
	s_and_saveexec_b64 s[12:13], vcc
	s_cbranch_execz .LBB578_705
; %bb.704:
	v_and_b32_e32 v14, 7, v10
	v_ffbh_u32_e32 v11, v14
	v_min_u32_e32 v17, 32, v11
	v_subrev_u32_e32 v11, 28, v17
	v_lshlrev_b64 v[10:11], v11, v[10:11]
	v_lshrrev_b32_e32 v16, 3, v13
	v_sub_u32_e32 v11, 29, v17
	v_and_b32_e32 v10, 7, v10
	v_cmp_gt_u32_e32 vcc, 8, v13
	v_mov_b32_e32 v13, 24
	v_cndmask_b32_e32 v11, v16, v11, vcc
	v_cndmask_b32_e32 v10, v14, v10, vcc
	v_lshlrev_b32_sdwa v13, v13, v2 dst_sel:DWORD dst_unused:UNUSED_PAD src0_sel:DWORD src1_sel:WORD_1
	v_bfrev_b32_e32 v14, 60
	v_lshlrev_b32_e32 v10, 20, v10
	v_and_b32_e32 v13, 0x80000000, v13
	v_lshl_add_u32 v11, v11, 23, v14
	v_or3_b32 v11, v13, v11, v10
.LBB578_705:
	s_or_b64 exec, exec, s[12:13]
.LBB578_706:
	s_or_b64 exec, exec, s[10:11]
.LBB578_707:
	s_or_b64 exec, exec, s[8:9]
	s_mov_b32 s7, 0xffffff
	v_cmp_lt_u32_e32 vcc, s7, v2
	v_mov_b32_e32 v13, 0
	v_mov_b32_e32 v14, 0
	s_and_saveexec_b64 s[8:9], vcc
	s_cbranch_execz .LBB578_713
; %bb.708:
	v_lshrrev_b32_e32 v10, 24, v2
	s_movk_i32 s7, 0x80
	v_cmp_ne_u32_e32 vcc, s7, v10
	v_bfrev_b32_e32 v14, 1
	s_and_saveexec_b64 s[10:11], vcc
	s_cbranch_execz .LBB578_712
; %bb.709:
	v_bfe_u32 v2, v2, 24, 7
	s_movk_i32 s7, 0x7f
	v_cmp_ne_u32_e32 vcc, s7, v2
	v_mov_b32_e32 v14, 0x7f800001
	s_and_saveexec_b64 s[12:13], vcc
	s_cbranch_execz .LBB578_711
; %bb.710:
	v_and_b32_e32 v14, 7, v10
	v_ffbh_u32_e32 v16, v14
	v_min_u32_e32 v19, 32, v16
	v_subrev_u32_e32 v16, 28, v19
	v_lshlrev_b64 v[16:17], v16, v[10:11]
	v_lshrrev_b32_e32 v18, 3, v2
	v_sub_u32_e32 v17, 29, v19
	v_and_b32_e32 v16, 7, v16
	v_cmp_gt_u32_e32 vcc, 8, v2
	v_cndmask_b32_e32 v2, v18, v17, vcc
	v_cndmask_b32_e32 v14, v14, v16, vcc
	v_lshlrev_b32_e32 v10, 24, v10
	v_bfrev_b32_e32 v16, 60
	v_lshlrev_b32_e32 v14, 20, v14
	v_and_b32_e32 v10, 0x80000000, v10
	v_lshl_add_u32 v2, v2, 23, v16
	v_or3_b32 v14, v10, v2, v14
.LBB578_711:
	s_or_b64 exec, exec, s[12:13]
.LBB578_712:
	s_or_b64 exec, exec, s[10:11]
.LBB578_713:
	s_or_b64 exec, exec, s[8:9]
	v_cmp_ne_u16_sdwa s[10:11], v3, v13 src0_sel:BYTE_0 src1_sel:DWORD
	s_and_saveexec_b64 s[8:9], s[10:11]
	s_cbranch_execz .LBB578_719
; %bb.714:
	s_movk_i32 s7, 0x80
	v_cmp_ne_u16_sdwa s[12:13], v3, s7 src0_sel:BYTE_0 src1_sel:DWORD
	v_bfrev_b32_e32 v13, 1
	s_and_saveexec_b64 s[10:11], s[12:13]
	s_cbranch_execz .LBB578_718
; %bb.715:
	s_movk_i32 s7, 0x7f
	v_and_b32_e32 v2, 0x7f, v3
	v_cmp_ne_u32_e32 vcc, s7, v2
	v_mov_b32_e32 v13, 0x7f800001
	s_and_saveexec_b64 s[12:13], vcc
	s_cbranch_execz .LBB578_717
; %bb.716:
	v_and_b32_e32 v13, 7, v3
	v_ffbh_u32_e32 v16, v13
	v_min_u32_e32 v19, 32, v16
	v_mov_b32_e32 v10, v3
	v_subrev_u32_e32 v16, 28, v19
	v_lshlrev_b64 v[16:17], v16, v[10:11]
	v_lshrrev_b32_e32 v18, 3, v2
	v_sub_u32_e32 v10, 29, v19
	v_and_b32_e32 v16, 7, v16
	v_cmp_gt_u32_e32 vcc, 8, v2
	v_cndmask_b32_e32 v2, v18, v10, vcc
	v_cndmask_b32_e32 v10, v13, v16, vcc
	v_lshlrev_b32_e32 v13, 24, v3
	v_bfrev_b32_e32 v16, 60
	v_lshlrev_b32_e32 v10, 20, v10
	v_and_b32_e32 v13, 0x80000000, v13
	v_lshl_add_u32 v2, v2, 23, v16
	v_or3_b32 v13, v13, v2, v10
.LBB578_717:
	s_or_b64 exec, exec, s[12:13]
.LBB578_718:
	s_or_b64 exec, exec, s[10:11]
.LBB578_719:
	s_or_b64 exec, exec, s[8:9]
	v_lshrrev_b16_e32 v2, 8, v3
	v_cmp_ne_u16_e32 vcc, 0, v2
	v_mov_b32_e32 v16, 0
	v_mov_b32_e32 v17, 0
	s_and_saveexec_b64 s[8:9], vcc
	s_cbranch_execz .LBB578_725
; %bb.720:
	s_movk_i32 s7, 0x80
	v_cmp_ne_u16_e32 vcc, s7, v2
	v_bfrev_b32_e32 v17, 1
	s_and_saveexec_b64 s[10:11], vcc
	s_cbranch_execz .LBB578_724
; %bb.721:
	s_movk_i32 s7, 0x7f
	v_and_b32_e32 v10, 0x7f, v2
	v_cmp_ne_u32_e32 vcc, s7, v10
	v_mov_b32_e32 v17, 0x7f800001
	s_and_saveexec_b64 s[12:13], vcc
	s_cbranch_execz .LBB578_723
; %bb.722:
	v_and_b32_e32 v17, 7, v2
	v_ffbh_u32_e32 v18, v17
	v_min_u32_e32 v21, 32, v18
	v_subrev_u32_e32 v18, 28, v21
	v_lshlrev_b64 v[18:19], v18, v[2:3]
	v_lshrrev_b32_e32 v20, 3, v10
	v_sub_u32_e32 v2, 29, v21
	v_and_b32_e32 v18, 7, v18
	v_cmp_gt_u32_e32 vcc, 8, v10
	v_cndmask_b32_e32 v2, v20, v2, vcc
	v_cndmask_b32_e32 v10, v17, v18, vcc
	v_lshlrev_b32_e32 v17, 16, v3
	v_bfrev_b32_e32 v18, 60
	v_lshlrev_b32_e32 v10, 20, v10
	v_and_b32_e32 v17, 0x80000000, v17
	v_lshl_add_u32 v2, v2, 23, v18
	v_or3_b32 v17, v17, v2, v10
.LBB578_723:
	s_or_b64 exec, exec, s[12:13]
.LBB578_724:
	s_or_b64 exec, exec, s[10:11]
.LBB578_725:
	s_or_b64 exec, exec, s[8:9]
	s_movk_i32 s7, 0xff
	v_and_b32_sdwa v10, v3, s7 dst_sel:DWORD dst_unused:UNUSED_PAD src0_sel:WORD_1 src1_sel:DWORD
	v_lshrrev_b32_e32 v2, 16, v3
	v_cmp_ne_u16_e32 vcc, 0, v10
	s_and_saveexec_b64 s[8:9], vcc
	s_cbranch_execz .LBB578_731
; %bb.726:
	s_movk_i32 s7, 0x80
	v_cmp_ne_u16_e32 vcc, s7, v10
	v_bfrev_b32_e32 v16, 1
	s_and_saveexec_b64 s[10:11], vcc
	s_cbranch_execz .LBB578_730
; %bb.727:
	v_bfe_u32 v10, v3, 16, 7
	s_movk_i32 s7, 0x7f
	v_cmp_ne_u32_e32 vcc, s7, v10
	v_mov_b32_e32 v16, 0x7f800001
	s_and_saveexec_b64 s[12:13], vcc
	s_cbranch_execz .LBB578_729
; %bb.728:
	v_and_b32_e32 v16, 7, v2
	v_ffbh_u32_e32 v18, v16
	v_min_u32_e32 v21, 32, v18
	v_subrev_u32_e32 v18, 28, v21
	v_lshlrev_b64 v[18:19], v18, v[2:3]
	v_and_b32_e32 v18, 7, v18
	v_cmp_gt_u32_e32 vcc, 8, v10
	v_lshrrev_b32_e32 v20, 3, v10
	v_sub_u32_e32 v2, 29, v21
	v_cndmask_b32_e32 v10, v16, v18, vcc
	v_mov_b32_e32 v16, 24
	v_cndmask_b32_e32 v2, v20, v2, vcc
	v_lshlrev_b32_sdwa v16, v16, v3 dst_sel:DWORD dst_unused:UNUSED_PAD src0_sel:DWORD src1_sel:WORD_1
	v_bfrev_b32_e32 v18, 60
	v_lshlrev_b32_e32 v10, 20, v10
	v_and_b32_e32 v16, 0x80000000, v16
	v_lshl_add_u32 v2, v2, 23, v18
	v_or3_b32 v16, v16, v2, v10
.LBB578_729:
	s_or_b64 exec, exec, s[12:13]
.LBB578_730:
	s_or_b64 exec, exec, s[10:11]
.LBB578_731:
	s_or_b64 exec, exec, s[8:9]
	s_mov_b32 s7, 0xffffff
	v_cmp_lt_u32_e32 vcc, s7, v3
	v_mov_b32_e32 v10, 0
	v_mov_b32_e32 v18, 0
	s_and_saveexec_b64 s[8:9], vcc
	s_cbranch_execz .LBB578_737
; %bb.732:
	v_lshrrev_b32_e32 v2, 24, v3
	s_movk_i32 s7, 0x80
	v_cmp_ne_u32_e32 vcc, s7, v2
	v_bfrev_b32_e32 v18, 1
	s_and_saveexec_b64 s[10:11], vcc
	s_cbranch_execz .LBB578_736
; %bb.733:
	v_bfe_u32 v3, v3, 24, 7
	s_movk_i32 s7, 0x7f
	v_cmp_ne_u32_e32 vcc, s7, v3
	v_mov_b32_e32 v18, 0x7f800001
	s_and_saveexec_b64 s[12:13], vcc
	s_cbranch_execz .LBB578_735
; %bb.734:
	v_and_b32_e32 v20, 7, v2
	v_ffbh_u32_e32 v18, v20
	v_min_u32_e32 v23, 32, v18
	v_subrev_u32_e32 v18, 28, v23
	v_lshlrev_b64 v[18:19], v18, v[2:3]
	v_lshrrev_b32_e32 v21, 3, v3
	v_sub_u32_e32 v19, 29, v23
	v_and_b32_e32 v18, 7, v18
	v_cmp_gt_u32_e32 vcc, 8, v3
	v_cndmask_b32_e32 v3, v21, v19, vcc
	v_cndmask_b32_e32 v18, v20, v18, vcc
	v_lshlrev_b32_e32 v2, 24, v2
	v_bfrev_b32_e32 v19, 60
	v_lshlrev_b32_e32 v18, 20, v18
	v_and_b32_e32 v2, 0x80000000, v2
	v_lshl_add_u32 v3, v3, 23, v19
	v_or3_b32 v18, v2, v3, v18
.LBB578_735:
	s_or_b64 exec, exec, s[12:13]
.LBB578_736:
	s_or_b64 exec, exec, s[10:11]
.LBB578_737:
	s_or_b64 exec, exec, s[8:9]
	v_cvt_pkrtz_f16_f32 v2, v15, v12
	v_cvt_pkrtz_f16_f32 v3, v11, v14
	ds_read_b128 v[28:31], v22 offset:6144
	v_cmp_ne_u16_sdwa s[10:11], v4, v10 src0_sel:BYTE_0 src1_sel:DWORD
	s_waitcnt lgkmcnt(0)
	v_mfma_f32_16x16x16f16 v[6:9], v[2:3], v[28:29], v[6:9]
	v_cvt_pkrtz_f16_f32 v2, v13, v17
	v_cvt_pkrtz_f16_f32 v3, v16, v18
	s_nop 1
	v_mfma_f32_16x16x16f16 v[6:9], v[2:3], v[30:31], v[6:9]
	s_and_saveexec_b64 s[8:9], s[10:11]
	s_cbranch_execz .LBB578_743
; %bb.738:
	s_movk_i32 s7, 0x80
	v_cmp_ne_u16_sdwa s[12:13], v4, s7 src0_sel:BYTE_0 src1_sel:DWORD
	v_bfrev_b32_e32 v10, 1
	s_and_saveexec_b64 s[10:11], s[12:13]
	s_cbranch_execz .LBB578_742
; %bb.739:
	s_movk_i32 s7, 0x7f
	v_and_b32_e32 v2, 0x7f, v4
	v_cmp_ne_u32_e32 vcc, s7, v2
	v_mov_b32_e32 v10, 0x7f800001
	s_and_saveexec_b64 s[12:13], vcc
	s_cbranch_execz .LBB578_741
; %bb.740:
	v_and_b32_e32 v3, 7, v4
	v_ffbh_u32_e32 v10, v3
	v_min_u32_e32 v13, 32, v10
	v_subrev_u32_e32 v10, 28, v13
	v_lshlrev_b64 v[10:11], v10, v[4:5]
	v_lshrrev_b32_e32 v12, 3, v2
	v_sub_u32_e32 v11, 29, v13
	v_and_b32_e32 v10, 7, v10
	v_cmp_gt_u32_e32 vcc, 8, v2
	v_cndmask_b32_e32 v2, v12, v11, vcc
	v_cndmask_b32_e32 v3, v3, v10, vcc
	v_lshlrev_b32_e32 v10, 24, v4
	v_bfrev_b32_e32 v11, 60
	v_lshlrev_b32_e32 v3, 20, v3
	v_and_b32_e32 v10, 0x80000000, v10
	v_lshl_add_u32 v2, v2, 23, v11
	v_or3_b32 v10, v10, v2, v3
.LBB578_741:
	s_or_b64 exec, exec, s[12:13]
.LBB578_742:
	s_or_b64 exec, exec, s[10:11]
.LBB578_743:
	s_or_b64 exec, exec, s[8:9]
	v_lshrrev_b16_e32 v2, 8, v4
	v_cmp_ne_u16_e32 vcc, 0, v2
	v_mov_b32_e32 v3, 0
	v_mov_b32_e32 v11, 0
	s_and_saveexec_b64 s[8:9], vcc
	s_cbranch_execz .LBB578_749
; %bb.744:
	s_movk_i32 s7, 0x80
	v_cmp_ne_u16_e32 vcc, s7, v2
	v_bfrev_b32_e32 v11, 1
	s_and_saveexec_b64 s[10:11], vcc
	s_cbranch_execz .LBB578_748
; %bb.745:
	s_movk_i32 s7, 0x7f
	v_and_b32_e32 v12, 0x7f, v2
	v_cmp_ne_u32_e32 vcc, s7, v12
	v_mov_b32_e32 v11, 0x7f800001
	s_and_saveexec_b64 s[12:13], vcc
	s_cbranch_execz .LBB578_747
; %bb.746:
	v_and_b32_e32 v11, 7, v2
	v_ffbh_u32_e32 v14, v11
	v_min_u32_e32 v16, 32, v14
	v_subrev_u32_e32 v14, 28, v16
	v_lshlrev_b64 v[14:15], v14, v[2:3]
	v_lshrrev_b32_e32 v13, 3, v12
	v_sub_u32_e32 v2, 29, v16
	v_and_b32_e32 v14, 7, v14
	v_cmp_gt_u32_e32 vcc, 8, v12
	v_cndmask_b32_e32 v2, v13, v2, vcc
	v_cndmask_b32_e32 v11, v11, v14, vcc
	v_lshlrev_b32_e32 v12, 16, v4
	v_bfrev_b32_e32 v13, 60
	v_lshlrev_b32_e32 v11, 20, v11
	v_and_b32_e32 v12, 0x80000000, v12
	v_lshl_add_u32 v2, v2, 23, v13
	v_or3_b32 v11, v12, v2, v11
.LBB578_747:
	s_or_b64 exec, exec, s[12:13]
.LBB578_748:
	s_or_b64 exec, exec, s[10:11]
.LBB578_749:
	s_or_b64 exec, exec, s[8:9]
	s_movk_i32 s7, 0xff
	v_and_b32_sdwa v12, v4, s7 dst_sel:DWORD dst_unused:UNUSED_PAD src0_sel:WORD_1 src1_sel:DWORD
	v_lshrrev_b32_e32 v2, 16, v4
	v_cmp_ne_u16_e32 vcc, 0, v12
	s_and_saveexec_b64 s[8:9], vcc
	s_cbranch_execz .LBB578_755
; %bb.750:
	s_movk_i32 s7, 0x80
	v_cmp_ne_u16_e32 vcc, s7, v12
	v_bfrev_b32_e32 v3, 1
	s_and_saveexec_b64 s[10:11], vcc
	s_cbranch_execz .LBB578_754
; %bb.751:
	v_bfe_u32 v12, v4, 16, 7
	s_movk_i32 s7, 0x7f
	v_cmp_ne_u32_e32 vcc, s7, v12
	v_mov_b32_e32 v3, 0x7f800001
	s_and_saveexec_b64 s[12:13], vcc
	s_cbranch_execz .LBB578_753
; %bb.752:
	v_and_b32_e32 v13, 7, v2
	v_ffbh_u32_e32 v3, v13
	v_min_u32_e32 v15, 32, v3
	v_subrev_u32_e32 v3, 28, v15
	v_lshlrev_b64 v[2:3], v3, v[2:3]
	v_lshrrev_b32_e32 v14, 3, v12
	v_sub_u32_e32 v3, 29, v15
	v_and_b32_e32 v2, 7, v2
	v_cmp_gt_u32_e32 vcc, 8, v12
	v_mov_b32_e32 v12, 24
	v_cndmask_b32_e32 v3, v14, v3, vcc
	v_cndmask_b32_e32 v2, v13, v2, vcc
	v_lshlrev_b32_sdwa v12, v12, v4 dst_sel:DWORD dst_unused:UNUSED_PAD src0_sel:DWORD src1_sel:WORD_1
	v_bfrev_b32_e32 v13, 60
	v_lshlrev_b32_e32 v2, 20, v2
	v_and_b32_e32 v12, 0x80000000, v12
	v_lshl_add_u32 v3, v3, 23, v13
	v_or3_b32 v3, v12, v3, v2
.LBB578_753:
	s_or_b64 exec, exec, s[12:13]
.LBB578_754:
	s_or_b64 exec, exec, s[10:11]
.LBB578_755:
	s_or_b64 exec, exec, s[8:9]
	s_mov_b32 s7, 0xffffff
	v_cmp_lt_u32_e32 vcc, s7, v4
	v_mov_b32_e32 v12, 0
	v_mov_b32_e32 v13, 0
	s_and_saveexec_b64 s[8:9], vcc
	s_cbranch_execz .LBB578_761
; %bb.756:
	v_lshrrev_b32_e32 v2, 24, v4
	s_movk_i32 s7, 0x80
	v_cmp_ne_u32_e32 vcc, s7, v2
	v_bfrev_b32_e32 v13, 1
	s_and_saveexec_b64 s[10:11], vcc
	s_cbranch_execz .LBB578_760
; %bb.757:
	v_bfe_u32 v4, v4, 24, 7
	s_movk_i32 s7, 0x7f
	v_cmp_ne_u32_e32 vcc, s7, v4
	v_mov_b32_e32 v13, 0x7f800001
	s_and_saveexec_b64 s[12:13], vcc
	s_cbranch_execz .LBB578_759
; %bb.758:
	v_and_b32_e32 v13, 7, v2
	v_ffbh_u32_e32 v14, v13
	v_min_u32_e32 v17, 32, v14
	v_subrev_u32_e32 v14, 28, v17
	v_lshlrev_b64 v[14:15], v14, v[2:3]
	v_lshrrev_b32_e32 v16, 3, v4
	v_sub_u32_e32 v15, 29, v17
	v_and_b32_e32 v14, 7, v14
	v_cmp_gt_u32_e32 vcc, 8, v4
	v_cndmask_b32_e32 v4, v16, v15, vcc
	v_cndmask_b32_e32 v13, v13, v14, vcc
	v_lshlrev_b32_e32 v2, 24, v2
	v_bfrev_b32_e32 v14, 60
	v_lshlrev_b32_e32 v13, 20, v13
	v_and_b32_e32 v2, 0x80000000, v2
	v_lshl_add_u32 v4, v4, 23, v14
	v_or3_b32 v13, v2, v4, v13
.LBB578_759:
	s_or_b64 exec, exec, s[12:13]
.LBB578_760:
	s_or_b64 exec, exec, s[10:11]
.LBB578_761:
	s_or_b64 exec, exec, s[8:9]
	v_cmp_ne_u16_sdwa s[10:11], v5, v12 src0_sel:BYTE_0 src1_sel:DWORD
	s_and_saveexec_b64 s[8:9], s[10:11]
	s_cbranch_execz .LBB578_767
; %bb.762:
	s_movk_i32 s7, 0x80
	v_cmp_ne_u16_sdwa s[12:13], v5, s7 src0_sel:BYTE_0 src1_sel:DWORD
	v_bfrev_b32_e32 v12, 1
	s_and_saveexec_b64 s[10:11], s[12:13]
	s_cbranch_execz .LBB578_766
; %bb.763:
	s_movk_i32 s7, 0x7f
	v_and_b32_e32 v2, 0x7f, v5
	v_cmp_ne_u32_e32 vcc, s7, v2
	v_mov_b32_e32 v12, 0x7f800001
	s_and_saveexec_b64 s[12:13], vcc
	s_cbranch_execz .LBB578_765
; %bb.764:
	v_and_b32_e32 v12, 7, v5
	v_ffbh_u32_e32 v14, v12
	v_min_u32_e32 v17, 32, v14
	v_mov_b32_e32 v4, v5
	v_subrev_u32_e32 v14, 28, v17
	v_lshlrev_b64 v[14:15], v14, v[4:5]
	v_lshrrev_b32_e32 v16, 3, v2
	v_sub_u32_e32 v4, 29, v17
	v_and_b32_e32 v14, 7, v14
	v_cmp_gt_u32_e32 vcc, 8, v2
	v_cndmask_b32_e32 v2, v16, v4, vcc
	v_cndmask_b32_e32 v4, v12, v14, vcc
	v_lshlrev_b32_e32 v12, 24, v5
	v_bfrev_b32_e32 v14, 60
	v_lshlrev_b32_e32 v4, 20, v4
	v_and_b32_e32 v12, 0x80000000, v12
	v_lshl_add_u32 v2, v2, 23, v14
	v_or3_b32 v12, v12, v2, v4
.LBB578_765:
	s_or_b64 exec, exec, s[12:13]
.LBB578_766:
	s_or_b64 exec, exec, s[10:11]
.LBB578_767:
	s_or_b64 exec, exec, s[8:9]
	v_lshrrev_b16_e32 v2, 8, v5
	v_cmp_ne_u16_e32 vcc, 0, v2
	v_mov_b32_e32 v4, 0
	v_mov_b32_e32 v14, 0
	s_and_saveexec_b64 s[8:9], vcc
	s_cbranch_execz .LBB578_773
; %bb.768:
	s_movk_i32 s7, 0x80
	v_cmp_ne_u16_e32 vcc, s7, v2
	v_bfrev_b32_e32 v14, 1
	s_and_saveexec_b64 s[10:11], vcc
	s_cbranch_execz .LBB578_772
; %bb.769:
	s_movk_i32 s7, 0x7f
	v_and_b32_e32 v15, 0x7f, v2
	v_cmp_ne_u32_e32 vcc, s7, v15
	v_mov_b32_e32 v14, 0x7f800001
	s_and_saveexec_b64 s[12:13], vcc
	s_cbranch_execz .LBB578_771
; %bb.770:
	v_and_b32_e32 v14, 7, v2
	v_ffbh_u32_e32 v16, v14
	v_min_u32_e32 v19, 32, v16
	v_subrev_u32_e32 v16, 28, v19
	v_lshlrev_b64 v[16:17], v16, v[2:3]
	v_lshrrev_b32_e32 v18, 3, v15
	v_sub_u32_e32 v2, 29, v19
	v_and_b32_e32 v16, 7, v16
	v_cmp_gt_u32_e32 vcc, 8, v15
	v_cndmask_b32_e32 v2, v18, v2, vcc
	v_cndmask_b32_e32 v14, v14, v16, vcc
	v_lshlrev_b32_e32 v15, 16, v5
	v_bfrev_b32_e32 v16, 60
	v_lshlrev_b32_e32 v14, 20, v14
	v_and_b32_e32 v15, 0x80000000, v15
	v_lshl_add_u32 v2, v2, 23, v16
	v_or3_b32 v14, v15, v2, v14
.LBB578_771:
	s_or_b64 exec, exec, s[12:13]
.LBB578_772:
	s_or_b64 exec, exec, s[10:11]
.LBB578_773:
	s_or_b64 exec, exec, s[8:9]
	s_movk_i32 s7, 0xff
	v_and_b32_sdwa v15, v5, s7 dst_sel:DWORD dst_unused:UNUSED_PAD src0_sel:WORD_1 src1_sel:DWORD
	v_lshrrev_b32_e32 v2, 16, v5
	v_cmp_ne_u16_e32 vcc, 0, v15
	s_and_saveexec_b64 s[8:9], vcc
	s_cbranch_execz .LBB578_779
; %bb.774:
	s_movk_i32 s7, 0x80
	v_cmp_ne_u16_e32 vcc, s7, v15
	v_bfrev_b32_e32 v4, 1
	s_and_saveexec_b64 s[10:11], vcc
	s_cbranch_execz .LBB578_778
; %bb.775:
	v_bfe_u32 v15, v5, 16, 7
	s_movk_i32 s7, 0x7f
	v_cmp_ne_u32_e32 vcc, s7, v15
	v_mov_b32_e32 v4, 0x7f800001
	s_and_saveexec_b64 s[12:13], vcc
	s_cbranch_execz .LBB578_777
; %bb.776:
	v_and_b32_e32 v4, 7, v2
	v_ffbh_u32_e32 v16, v4
	v_min_u32_e32 v19, 32, v16
	v_subrev_u32_e32 v16, 28, v19
	v_lshlrev_b64 v[16:17], v16, v[2:3]
	v_lshrrev_b32_e32 v18, 3, v15
	v_sub_u32_e32 v2, 29, v19
	v_and_b32_e32 v16, 7, v16
	v_cmp_gt_u32_e32 vcc, 8, v15
	v_mov_b32_e32 v15, 24
	v_cndmask_b32_e32 v2, v18, v2, vcc
	v_cndmask_b32_e32 v4, v4, v16, vcc
	v_lshlrev_b32_sdwa v15, v15, v5 dst_sel:DWORD dst_unused:UNUSED_PAD src0_sel:DWORD src1_sel:WORD_1
	v_bfrev_b32_e32 v16, 60
	v_lshlrev_b32_e32 v4, 20, v4
	v_and_b32_e32 v15, 0x80000000, v15
	v_lshl_add_u32 v2, v2, 23, v16
	v_or3_b32 v4, v15, v2, v4
.LBB578_777:
	s_or_b64 exec, exec, s[12:13]
.LBB578_778:
	s_or_b64 exec, exec, s[10:11]
.LBB578_779:
	s_or_b64 exec, exec, s[8:9]
	s_mov_b32 s7, 0xffffff
	v_cmp_lt_u32_e32 vcc, s7, v5
	v_mov_b32_e32 v15, 0
	s_and_saveexec_b64 s[8:9], vcc
	s_cbranch_execz .LBB578_785
; %bb.780:
	v_lshrrev_b32_e32 v2, 24, v5
	s_movk_i32 s7, 0x80
	v_cmp_ne_u32_e32 vcc, s7, v2
	v_bfrev_b32_e32 v15, 1
	s_and_saveexec_b64 s[10:11], vcc
	s_cbranch_execz .LBB578_784
; %bb.781:
	v_bfe_u32 v5, v5, 24, 7
	s_movk_i32 s7, 0x7f
	v_cmp_ne_u32_e32 vcc, s7, v5
	v_mov_b32_e32 v15, 0x7f800001
	s_and_saveexec_b64 s[12:13], vcc
	s_cbranch_execz .LBB578_783
; %bb.782:
	v_and_b32_e32 v15, 7, v2
	v_ffbh_u32_e32 v16, v15
	v_min_u32_e32 v19, 32, v16
	v_subrev_u32_e32 v16, 28, v19
	v_lshlrev_b64 v[16:17], v16, v[2:3]
	v_lshrrev_b32_e32 v18, 3, v5
	v_sub_u32_e32 v17, 29, v19
	v_and_b32_e32 v16, 7, v16
	v_cmp_gt_u32_e32 vcc, 8, v5
	v_cndmask_b32_e32 v5, v18, v17, vcc
	v_cndmask_b32_e32 v15, v15, v16, vcc
	v_lshlrev_b32_e32 v2, 24, v2
	v_bfrev_b32_e32 v16, 60
	v_lshlrev_b32_e32 v15, 20, v15
	v_and_b32_e32 v2, 0x80000000, v2
	v_lshl_add_u32 v5, v5, 23, v16
	v_or3_b32 v15, v2, v5, v15
.LBB578_783:
	s_or_b64 exec, exec, s[12:13]
.LBB578_784:
	s_or_b64 exec, exec, s[10:11]
.LBB578_785:
	s_or_b64 exec, exec, s[8:9]
	v_cvt_pkrtz_f16_f32 v2, v10, v11
	v_cvt_pkrtz_f16_f32 v3, v3, v13
	ds_read_b128 v[16:19], v22 offset:6160
	s_load_dword s8, s[42:43], 0x0
	v_cmp_gt_u32_e32 vcc, 64, v0
	s_waitcnt lgkmcnt(0)
	v_mfma_f32_16x16x16f16 v[6:9], v[2:3], v[16:17], v[6:9]
	v_cvt_pkrtz_f16_f32 v2, v12, v14
	v_cvt_pkrtz_f16_f32 v3, v4, v15
	s_and_b64 s[0:1], vcc, s[0:1]
	s_barrier
	v_mfma_f32_16x16x16f16 v[2:5], v[2:3], v[18:19], v[6:9]
	s_nop 7
	s_nop 2
	v_pk_mul_f32 v[4:5], v[4:5], s[8:9] op_sel_hi:[1,0]
	v_pk_mul_f32 v[2:3], v[2:3], s[8:9] op_sel_hi:[1,0]
	v_cvt_f16_f32_e32 v2, v2
	v_cvt_f16_f32_e32 v3, v3
	;; [unrolled: 1-line block ×4, first 2 shown]
	v_pack_b32_f16 v2, v2, v3
	v_pack_b32_f16 v3, v4, v5
	ds_write_b64 v26, v[2:3]
	s_waitcnt lgkmcnt(0)
	s_barrier
	s_and_saveexec_b64 s[8:9], s[0:1]
	s_cbranch_execz .LBB578_788
; %bb.786:
	s_load_dwordx2 s[4:5], s[4:5], 0x68
	s_lshl_b32 s0, s44, 6
	s_mul_i32 s1, s14, s6
	s_mul_hi_u32 s9, s1, s0
	s_mul_i32 s8, s1, s0
	s_lshl_b64 s[8:9], s[8:9], 1
	s_waitcnt lgkmcnt(0)
	s_add_u32 s1, s4, s8
	v_lshlrev_b32_e32 v0, 10, v0
	s_mov_b32 s7, 0
	s_addc_u32 s8, s5, s9
	s_lshl_b32 s6, s24, 6
	v_and_b32_e32 v0, 0x1800, v0
	v_lshlrev_b32_e32 v2, 5, v1
	v_and_b32_e32 v3, 16, v47
	s_lshl_b64 s[4:5], s[6:7], 1
	v_or3_b32 v0, v0, v2, v3
	s_add_u32 s1, s1, s4
	s_addc_u32 s4, s8, s5
	ds_read_b128 v[4:7], v0
	v_add_u32_e32 v8, s25, v1
	v_mov_b32_e32 v3, s4
	v_add_co_u32_e32 v2, vcc, s1, v46
	v_mad_u64_u32 v[8:9], s[4:5], v8, s0, 0
	v_addc_co_u32_e32 v3, vcc, 0, v3, vcc
	v_lshlrev_b64 v[8:9], 1, v[8:9]
	v_add_co_u32_e32 v8, vcc, v2, v8
	v_addc_co_u32_e32 v9, vcc, v3, v9, vcc
	s_waitcnt lgkmcnt(0)
	global_store_dwordx4 v[8:9], v[4:7], off
	s_and_b64 exec, exec, s[2:3]
	s_cbranch_execz .LBB578_788
; %bb.787:
	ds_read_b128 v[4:7], v0 offset:128
	v_add3_u32 v0, s25, v1, 4
	v_mad_u64_u32 v[0:1], s[0:1], v0, s0, 0
	v_lshlrev_b64 v[0:1], 1, v[0:1]
	v_add_co_u32_e32 v0, vcc, v2, v0
	v_addc_co_u32_e32 v1, vcc, v3, v1, vcc
	s_waitcnt lgkmcnt(0)
	global_store_dwordx4 v[0:1], v[4:7], off
.LBB578_788:
	s_endpgm
	.section	.rodata,"a",@progbits
	.p2align	6, 0x0
	.amdhsa_kernel _Z39paged_attention_ll4mi_QKV_mfma16_kernelIDF16_hLN4vllm18Fp8KVCacheDataTypeE1EDF16_Li32ELi64ELi256ELb1ELi5EL8MFMAType0EEvPKT_PKT0_S8_ifPKiSA_SA_iPKfiiiPfSD_PS3_PT2_iSC_SC_
		.amdhsa_group_segment_fixed_size 8192
		.amdhsa_private_segment_fixed_size 0
		.amdhsa_kernarg_size 400
		.amdhsa_user_sgpr_count 6
		.amdhsa_user_sgpr_private_segment_buffer 1
		.amdhsa_user_sgpr_dispatch_ptr 0
		.amdhsa_user_sgpr_queue_ptr 0
		.amdhsa_user_sgpr_kernarg_segment_ptr 1
		.amdhsa_user_sgpr_dispatch_id 0
		.amdhsa_user_sgpr_flat_scratch_init 0
		.amdhsa_user_sgpr_kernarg_preload_length 0
		.amdhsa_user_sgpr_kernarg_preload_offset 0
		.amdhsa_user_sgpr_private_segment_size 0
		.amdhsa_uses_dynamic_stack 0
		.amdhsa_system_sgpr_private_segment_wavefront_offset 0
		.amdhsa_system_sgpr_workgroup_id_x 1
		.amdhsa_system_sgpr_workgroup_id_y 1
		.amdhsa_system_sgpr_workgroup_id_z 1
		.amdhsa_system_sgpr_workgroup_info 0
		.amdhsa_system_vgpr_workitem_id 0
		.amdhsa_next_free_vgpr 63
		.amdhsa_next_free_sgpr 47
		.amdhsa_accum_offset 64
		.amdhsa_reserve_vcc 1
		.amdhsa_reserve_flat_scratch 0
		.amdhsa_float_round_mode_32 0
		.amdhsa_float_round_mode_16_64 0
		.amdhsa_float_denorm_mode_32 3
		.amdhsa_float_denorm_mode_16_64 3
		.amdhsa_dx10_clamp 1
		.amdhsa_ieee_mode 1
		.amdhsa_fp16_overflow 0
		.amdhsa_tg_split 0
		.amdhsa_exception_fp_ieee_invalid_op 0
		.amdhsa_exception_fp_denorm_src 0
		.amdhsa_exception_fp_ieee_div_zero 0
		.amdhsa_exception_fp_ieee_overflow 0
		.amdhsa_exception_fp_ieee_underflow 0
		.amdhsa_exception_fp_ieee_inexact 0
		.amdhsa_exception_int_div_zero 0
	.end_amdhsa_kernel
	.section	.text._Z39paged_attention_ll4mi_QKV_mfma16_kernelIDF16_hLN4vllm18Fp8KVCacheDataTypeE1EDF16_Li32ELi64ELi256ELb1ELi5EL8MFMAType0EEvPKT_PKT0_S8_ifPKiSA_SA_iPKfiiiPfSD_PS3_PT2_iSC_SC_,"axG",@progbits,_Z39paged_attention_ll4mi_QKV_mfma16_kernelIDF16_hLN4vllm18Fp8KVCacheDataTypeE1EDF16_Li32ELi64ELi256ELb1ELi5EL8MFMAType0EEvPKT_PKT0_S8_ifPKiSA_SA_iPKfiiiPfSD_PS3_PT2_iSC_SC_,comdat
.Lfunc_end578:
	.size	_Z39paged_attention_ll4mi_QKV_mfma16_kernelIDF16_hLN4vllm18Fp8KVCacheDataTypeE1EDF16_Li32ELi64ELi256ELb1ELi5EL8MFMAType0EEvPKT_PKT0_S8_ifPKiSA_SA_iPKfiiiPfSD_PS3_PT2_iSC_SC_, .Lfunc_end578-_Z39paged_attention_ll4mi_QKV_mfma16_kernelIDF16_hLN4vllm18Fp8KVCacheDataTypeE1EDF16_Li32ELi64ELi256ELb1ELi5EL8MFMAType0EEvPKT_PKT0_S8_ifPKiSA_SA_iPKfiiiPfSD_PS3_PT2_iSC_SC_
                                        ; -- End function
	.section	.AMDGPU.csdata,"",@progbits
; Kernel info:
; codeLenInByte = 27336
; NumSgprs: 51
; NumVgprs: 63
; NumAgprs: 0
; TotalNumVgprs: 63
; ScratchSize: 0
; MemoryBound: 0
; FloatMode: 240
; IeeeMode: 1
; LDSByteSize: 8192 bytes/workgroup (compile time only)
; SGPRBlocks: 6
; VGPRBlocks: 7
; NumSGPRsForWavesPerEU: 51
; NumVGPRsForWavesPerEU: 63
; AccumOffset: 64
; Occupancy: 8
; WaveLimiterHint : 1
; COMPUTE_PGM_RSRC2:SCRATCH_EN: 0
; COMPUTE_PGM_RSRC2:USER_SGPR: 6
; COMPUTE_PGM_RSRC2:TRAP_HANDLER: 0
; COMPUTE_PGM_RSRC2:TGID_X_EN: 1
; COMPUTE_PGM_RSRC2:TGID_Y_EN: 1
; COMPUTE_PGM_RSRC2:TGID_Z_EN: 1
; COMPUTE_PGM_RSRC2:TIDIG_COMP_CNT: 0
; COMPUTE_PGM_RSRC3_GFX90A:ACCUM_OFFSET: 15
; COMPUTE_PGM_RSRC3_GFX90A:TG_SPLIT: 0
	.section	.text._Z39paged_attention_ll4mi_QKV_mfma16_kernelIDF16_hLN4vllm18Fp8KVCacheDataTypeE1EDF16_Li32ELi64ELi256ELb1ELi6EL8MFMAType0EEvPKT_PKT0_S8_ifPKiSA_SA_iPKfiiiPfSD_PS3_PT2_iSC_SC_,"axG",@progbits,_Z39paged_attention_ll4mi_QKV_mfma16_kernelIDF16_hLN4vllm18Fp8KVCacheDataTypeE1EDF16_Li32ELi64ELi256ELb1ELi6EL8MFMAType0EEvPKT_PKT0_S8_ifPKiSA_SA_iPKfiiiPfSD_PS3_PT2_iSC_SC_,comdat
	.protected	_Z39paged_attention_ll4mi_QKV_mfma16_kernelIDF16_hLN4vllm18Fp8KVCacheDataTypeE1EDF16_Li32ELi64ELi256ELb1ELi6EL8MFMAType0EEvPKT_PKT0_S8_ifPKiSA_SA_iPKfiiiPfSD_PS3_PT2_iSC_SC_ ; -- Begin function _Z39paged_attention_ll4mi_QKV_mfma16_kernelIDF16_hLN4vllm18Fp8KVCacheDataTypeE1EDF16_Li32ELi64ELi256ELb1ELi6EL8MFMAType0EEvPKT_PKT0_S8_ifPKiSA_SA_iPKfiiiPfSD_PS3_PT2_iSC_SC_
	.globl	_Z39paged_attention_ll4mi_QKV_mfma16_kernelIDF16_hLN4vllm18Fp8KVCacheDataTypeE1EDF16_Li32ELi64ELi256ELb1ELi6EL8MFMAType0EEvPKT_PKT0_S8_ifPKiSA_SA_iPKfiiiPfSD_PS3_PT2_iSC_SC_
	.p2align	8
	.type	_Z39paged_attention_ll4mi_QKV_mfma16_kernelIDF16_hLN4vllm18Fp8KVCacheDataTypeE1EDF16_Li32ELi64ELi256ELb1ELi6EL8MFMAType0EEvPKT_PKT0_S8_ifPKiSA_SA_iPKfiiiPfSD_PS3_PT2_iSC_SC_,@function
_Z39paged_attention_ll4mi_QKV_mfma16_kernelIDF16_hLN4vllm18Fp8KVCacheDataTypeE1EDF16_Li32ELi64ELi256ELb1ELi6EL8MFMAType0EEvPKT_PKT0_S8_ifPKiSA_SA_iPKfiiiPfSD_PS3_PT2_iSC_SC_: ; @_Z39paged_attention_ll4mi_QKV_mfma16_kernelIDF16_hLN4vllm18Fp8KVCacheDataTypeE1EDF16_Li32ELi64ELi256ELb1ELi6EL8MFMAType0EEvPKT_PKT0_S8_ifPKiSA_SA_iPKfiiiPfSD_PS3_PT2_iSC_SC_
; %bb.0:
	s_load_dwordx2 s[0:1], s[4:5], 0x30
	s_mov_b32 s24, s7
	s_mov_b64 s[10:11], 0
	s_waitcnt lgkmcnt(0)
	s_cmp_lg_u64 s[0:1], 0
	s_cselect_b64 s[2:3], -1, 0
	s_and_b64 vcc, exec, s[2:3]
	s_cbranch_vccz .LBB579_7
; %bb.1:
	s_add_i32 s12, s6, 1
	s_mov_b32 s13, 0
	s_lshl_b64 s[14:15], s[12:13], 2
	s_add_u32 s14, s0, s14
	s_mov_b32 s7, s13
	s_addc_u32 s15, s1, s15
	s_lshl_b64 s[12:13], s[6:7], 2
	s_add_u32 s12, s0, s12
	s_addc_u32 s13, s1, s13
	s_load_dword s9, s[14:15], 0x0
	s_load_dword s16, s[12:13], 0x0
	s_waitcnt lgkmcnt(0)
	s_sub_i32 s9, s9, s16
	s_cmp_eq_u32 s9, 1
	s_cselect_b64 s[12:13], -1, 0
	s_andn2_b64 vcc, exec, s[10:11]
	s_cbranch_vccnz .LBB579_3
.LBB579_2:
	s_mov_b32 s7, 0
	s_mov_b64 s[12:13], -1
.LBB579_3:
	s_andn2_b64 vcc, exec, s[12:13]
	s_cbranch_vccnz .LBB579_788
; %bb.4:
	s_load_dwordx2 s[12:13], s[4:5], 0x28
	s_lshl_b64 s[10:11], s[6:7], 2
	s_waitcnt lgkmcnt(0)
	s_add_u32 s12, s12, s10
	s_addc_u32 s13, s13, s11
	s_load_dword s33, s[12:13], 0x0
	s_lshl_b32 s18, s24, 8
	s_waitcnt lgkmcnt(0)
	s_cmp_ge_i32 s18, s33
	s_cbranch_scc1 .LBB579_788
; %bb.5:
	s_add_i32 s14, s33, 31
	s_load_dwordx2 s[12:13], s[4:5], 0x20
	s_load_dword s9, s[4:5], 0x38
	s_ashr_i32 s15, s14, 31
	v_and_b32_e32 v1, 0xcf, v0
	s_lshr_b32 s15, s15, 27
	v_add_u32_e32 v1, s18, v1
	s_add_i32 s14, s14, s15
	v_ashrrev_i32_e32 v2, 31, v1
	s_ashr_i32 s21, s14, 5
	v_lshrrev_b32_e32 v4, 27, v2
	s_add_i32 s21, s21, -1
	v_add_u32_e32 v2, v1, v4
	s_waitcnt lgkmcnt(0)
	s_mul_i32 s14, s6, s9
	s_mov_b32 s15, 0
	v_ashrrev_i32_e32 v2, 5, v2
	v_mov_b32_e32 v5, s21
	v_cmp_gt_i32_e32 vcc, s33, v1
	s_lshl_b64 s[14:15], s[14:15], 2
	v_cndmask_b32_e32 v2, v5, v2, vcc
	s_add_u32 s19, s12, s14
	v_ashrrev_i32_e32 v3, 31, v2
	s_addc_u32 s20, s13, s15
	v_lshlrev_b64 v[2:3], 2, v[2:3]
	v_mov_b32_e32 v7, s20
	v_add_co_u32_e32 v6, vcc, s19, v2
	v_or_b32_e32 v2, 16, v1
	v_addc_co_u32_e32 v7, vcc, v7, v3, vcc
	v_add_u32_e32 v3, v2, v4
	v_ashrrev_i32_e32 v3, 5, v3
	v_cmp_gt_i32_e32 vcc, s33, v2
	v_cndmask_b32_e32 v2, v5, v3, vcc
	v_ashrrev_i32_e32 v3, 31, v2
	v_lshlrev_b64 v[2:3], 2, v[2:3]
	v_mov_b32_e32 v9, s20
	v_add_co_u32_e32 v8, vcc, s19, v2
	v_or_b32_e32 v2, 32, v1
	v_addc_co_u32_e32 v9, vcc, v9, v3, vcc
	v_add_u32_e32 v3, v2, v4
	v_ashrrev_i32_e32 v3, 5, v3
	v_cmp_gt_i32_e32 vcc, s33, v2
	v_cndmask_b32_e32 v2, v5, v3, vcc
	v_ashrrev_i32_e32 v3, 31, v2
	;; [unrolled: 10-line block ×3, first 2 shown]
	v_lshlrev_b64 v[2:3], 2, v[2:3]
	v_mov_b32_e32 v1, s20
	v_add_co_u32_e32 v12, vcc, s19, v2
	v_addc_co_u32_e32 v13, vcc, v1, v3, vcc
	global_load_dword v5, v[6:7], off
	global_load_dword v4, v[8:9], off
	;; [unrolled: 1-line block ×4, first 2 shown]
	s_load_dwordx2 s[16:17], s[4:5], 0x8
	s_andn2_b64 vcc, exec, s[2:3]
	s_cbranch_vccnz .LBB579_8
; %bb.6:
	s_add_u32 s0, s0, s10
	s_addc_u32 s1, s1, s11
	s_load_dword s9, s[0:1], 0x0
	s_branch .LBB579_9
.LBB579_7:
	s_mov_b64 s[12:13], 0
	s_branch .LBB579_2
.LBB579_8:
	s_mov_b32 s9, s6
.LBB579_9:
	s_load_dwordx2 s[2:3], s[4:5], 0x10
	s_load_dwordx4 s[12:15], s[4:5], 0x48
	v_lshrrev_b32_e32 v50, 6, v0
	v_bfe_u32 v1, v0, 4, 2
	v_lshl_or_b32 v6, v50, 2, v1
	v_and_b32_e32 v49, 15, v0
	v_lshlrev_b32_e32 v7, 3, v49
	v_cmp_gt_u32_e32 vcc, 6, v6
	v_cmp_gt_u32_e64 s[0:1], 8, v49
	s_mul_i32 s25, s8, 6
	s_and_b64 s[22:23], s[0:1], vcc
	v_lshlrev_b32_e32 v46, 1, v7
	v_lshlrev_b32_e32 v47, 4, v0
	s_and_saveexec_b64 s[10:11], s[22:23]
	s_cbranch_execz .LBB579_11
; %bb.10:
	s_load_dwordx2 s[22:23], s[4:5], 0x0
	s_waitcnt lgkmcnt(0)
	s_ashr_i32 s15, s12, 31
	s_mul_hi_u32 s26, s9, s12
	s_mul_i32 s15, s9, s15
	s_add_i32 s27, s26, s15
	s_mul_i32 s26, s9, s12
	s_lshl_b64 s[26:27], s[26:27], 1
	v_add_lshl_u32 v8, v6, s25, 6
	s_add_u32 s9, s22, s26
	v_ashrrev_i32_e32 v9, 31, v8
	s_addc_u32 s12, s23, s27
	v_lshlrev_b64 v[8:9], 1, v[8:9]
	v_mov_b32_e32 v7, s12
	v_add_co_u32_e32 v8, vcc, s9, v8
	v_addc_co_u32_e32 v7, vcc, v7, v9, vcc
	v_add_co_u32_e32 v8, vcc, v8, v46
	v_addc_co_u32_e32 v9, vcc, 0, v7, vcc
	global_load_dwordx4 v[8:11], v[8:9], off
	v_lshlrev_b32_e32 v12, 8, v49
	v_lshlrev_b32_e32 v6, 5, v6
	v_and_b32_e32 v7, 16, v47
	v_and_b32_e32 v12, 0xe00, v12
	v_or3_b32 v6, v12, v6, v7
	s_waitcnt vmcnt(0)
	ds_write_b128 v6, v[8:11]
.LBB579_11:
	s_or_b64 exec, exec, s[10:11]
	s_waitcnt lgkmcnt(0)
	s_mul_i32 s10, s8, s14
	s_add_u32 s8, s16, s10
	s_addc_u32 s9, s17, 0
	v_pk_mov_b32 v[8:9], s[8:9], s[8:9] op_sel:[0,1]
	s_waitcnt vmcnt(3)
	v_mad_i64_i32 v[10:11], s[8:9], v5, s13, v[8:9]
	v_lshlrev_b32_e32 v12, 4, v49
	v_and_b32_e32 v6, 48, v0
	v_add_co_u32_e32 v5, vcc, v10, v12
	v_lshlrev_b32_e32 v7, 5, v6
	v_addc_co_u32_e32 v11, vcc, 0, v11, vcc
	v_add_co_u32_e32 v10, vcc, v5, v7
	v_addc_co_u32_e32 v11, vcc, 0, v11, vcc
	s_waitcnt vmcnt(2)
	v_mad_i64_i32 v[4:5], s[8:9], v4, s13, v[8:9]
	v_or_b32_e32 v13, 0x100, v12
	v_add_co_u32_e32 v4, vcc, v4, v13
	v_addc_co_u32_e32 v5, vcc, 0, v5, vcc
	v_add_co_u32_e32 v4, vcc, v4, v7
	v_addc_co_u32_e32 v5, vcc, 0, v5, vcc
	s_barrier
	global_load_dwordx4 v[34:37], v[10:11], off
	global_load_dwordx4 v[38:41], v[4:5], off
	s_waitcnt vmcnt(3)
	v_mad_i64_i32 v[4:5], s[8:9], v3, s13, v[8:9]
	v_add_co_u32_e32 v3, vcc, v4, v12
	v_addc_co_u32_e32 v5, vcc, 0, v5, vcc
	v_add_co_u32_e32 v4, vcc, v3, v7
	v_addc_co_u32_e32 v5, vcc, 0, v5, vcc
	s_waitcnt vmcnt(2)
	v_mad_i64_i32 v[2:3], s[8:9], v2, s13, v[8:9]
	v_add_co_u32_e32 v2, vcc, v2, v13
	v_addc_co_u32_e32 v3, vcc, 0, v3, vcc
	v_add_co_u32_e32 v2, vcc, v2, v7
	v_addc_co_u32_e32 v3, vcc, 0, v3, vcc
	global_load_dwordx4 v[30:33], v[4:5], off
	global_load_dwordx4 v[22:25], v[2:3], off
	v_mul_lo_u16_e32 v2, 43, v49
	v_mov_b32_e32 v3, 6
	v_mul_lo_u16_sdwa v2, v2, v3 dst_sel:DWORD dst_unused:UNUSED_PAD src0_sel:BYTE_1 src1_sel:DWORD
	v_sub_u16_e32 v2, v49, v2
	v_mov_b32_e32 v3, 5
	v_lshlrev_b32_sdwa v2, v3, v2 dst_sel:DWORD dst_unused:UNUSED_PAD src0_sel:DWORD src1_sel:BYTE_0
	v_lshl_add_u32 v2, v1, 9, v2
	ds_read_b128 v[26:29], v2
	ds_read_b128 v[18:21], v2 offset:16
	v_cmp_gt_u32_e32 vcc, 6, v49
	v_mov_b32_e32 v43, 0
	v_mov_b32_e32 v51, 0
	s_and_saveexec_b64 s[8:9], vcc
	s_cbranch_execz .LBB579_13
; %bb.12:
	s_load_dwordx2 s[14:15], s[4:5], 0x40
	v_add_u32_e32 v2, s25, v49
	v_ashrrev_i32_e32 v3, 31, v2
	v_lshlrev_b64 v[2:3], 2, v[2:3]
	s_waitcnt lgkmcnt(0)
	v_mov_b32_e32 v4, s15
	v_add_co_u32_e32 v2, vcc, s14, v2
	v_addc_co_u32_e32 v3, vcc, v4, v3, vcc
	global_load_dword v51, v[2:3], off
.LBB579_13:
	s_or_b64 exec, exec, s[8:9]
	s_ashr_i32 s8, s18, 31
	v_or_b32_e32 v8, s18, v6
	s_lshr_b32 s8, s8, 27
	v_add_u32_e32 v2, s8, v8
	v_ashrrev_i32_e32 v2, 5, v2
	v_mov_b32_e32 v9, s21
	v_cmp_gt_i32_e32 vcc, s33, v8
	v_cndmask_b32_e32 v2, v9, v2, vcc
	v_ashrrev_i32_e32 v3, 31, v2
	v_lshlrev_b64 v[2:3], 2, v[2:3]
	v_mov_b32_e32 v4, s20
	v_add_co_u32_e32 v2, vcc, s19, v2
	v_addc_co_u32_e32 v3, vcc, v4, v3, vcc
	v_or_b32_e32 v4, 64, v8
	v_add_u32_e32 v5, s8, v4
	v_ashrrev_i32_e32 v5, 5, v5
	v_cmp_gt_i32_e32 vcc, s33, v4
	v_cndmask_b32_e32 v4, v9, v5, vcc
	v_ashrrev_i32_e32 v5, 31, v4
	v_lshlrev_b64 v[4:5], 2, v[4:5]
	v_mov_b32_e32 v6, s20
	v_add_co_u32_e32 v4, vcc, s19, v4
	v_addc_co_u32_e32 v5, vcc, v6, v5, vcc
	v_or_b32_e32 v6, 0x80, v8
	v_add_u32_e32 v7, s8, v6
	v_ashrrev_i32_e32 v7, 5, v7
	v_cmp_gt_i32_e32 vcc, s33, v6
	v_cndmask_b32_e32 v6, v9, v7, vcc
	v_ashrrev_i32_e32 v7, 31, v6
	v_lshlrev_b64 v[6:7], 2, v[6:7]
	v_mov_b32_e32 v10, s20
	v_add_co_u32_e32 v6, vcc, s19, v6
	v_addc_co_u32_e32 v7, vcc, v10, v7, vcc
	global_load_dword v10, v[2:3], off
	global_load_dword v11, v[4:5], off
	;; [unrolled: 1-line block ×3, first 2 shown]
	v_or_b32_e32 v2, 0xc0, v8
	v_add_u32_e32 v3, s8, v2
	v_ashrrev_i32_e32 v3, 5, v3
	v_cmp_gt_i32_e32 vcc, s33, v2
	v_cndmask_b32_e32 v2, v9, v3, vcc
	v_ashrrev_i32_e32 v3, 31, v2
	v_lshlrev_b64 v[2:3], 2, v[2:3]
	v_mov_b32_e32 v4, s20
	v_add_co_u32_e32 v2, vcc, s19, v2
	v_addc_co_u32_e32 v3, vcc, v4, v3, vcc
	global_load_dword v13, v[2:3], off
	s_add_u32 s2, s2, s10
	v_and_b32_e32 v2, 16, v0
	s_addc_u32 s3, s3, 0
	v_lshlrev_b32_e32 v48, 5, v49
	v_mov_b32_e32 v4, s3
	v_add_co_u32_e32 v2, vcc, s2, v2
	v_lshl_or_b32 v3, v50, 9, v48
	v_addc_co_u32_e32 v4, vcc, 0, v4, vcc
	v_add_co_u32_e32 v2, vcc, v2, v3
	v_addc_co_u32_e32 v3, vcc, 0, v4, vcc
	s_movk_i32 s8, 0x80
	s_waitcnt vmcnt(7)
	v_cmp_ne_u16_sdwa s[10:11], v34, v43 src0_sel:BYTE_0 src1_sel:DWORD
	s_waitcnt vmcnt(3)
	v_mad_i64_i32 v[4:5], s[2:3], v10, s13, v[2:3]
	s_waitcnt vmcnt(2)
	v_mad_i64_i32 v[6:7], s[2:3], v11, s13, v[2:3]
	;; [unrolled: 2-line block ×4, first 2 shown]
	global_load_dwordx4 v[14:17], v[4:5], off
	global_load_dwordx4 v[10:13], v[6:7], off
	s_nop 0
	global_load_dwordx4 v[6:9], v[8:9], off
	s_nop 0
	global_load_dwordx4 v[2:5], v[2:3], off
	s_load_dwordx4 s[40:43], s[4:5], 0x80
	s_load_dwordx2 s[44:45], s[4:5], 0x94
	s_waitcnt lgkmcnt(0)
	s_load_dword s12, s[40:41], 0x0
	s_and_saveexec_b64 s[2:3], s[10:11]
	s_cbranch_execz .LBB579_19
; %bb.14:
	v_cmp_ne_u16_sdwa s[10:11], v34, s8 src0_sel:BYTE_0 src1_sel:DWORD
	v_bfrev_b32_e32 v43, 1
	s_and_saveexec_b64 s[8:9], s[10:11]
	s_cbranch_execz .LBB579_18
; %bb.15:
	s_movk_i32 s10, 0x7f
	v_and_b32_e32 v42, 0x7f, v34
	v_cmp_ne_u32_e32 vcc, s10, v42
	v_mov_b32_e32 v43, 0x7f800001
	s_and_saveexec_b64 s[10:11], vcc
	s_cbranch_execz .LBB579_17
; %bb.16:
	v_and_b32_e32 v43, 7, v34
	v_ffbh_u32_e32 v44, v43
	v_min_u32_e32 v53, 32, v44
	v_subrev_u32_e32 v44, 28, v53
	v_lshlrev_b64 v[44:45], v44, v[34:35]
	v_lshrrev_b32_e32 v52, 3, v42
	v_sub_u32_e32 v45, 29, v53
	v_and_b32_e32 v44, 7, v44
	v_cmp_gt_u32_e32 vcc, 8, v42
	v_cndmask_b32_e32 v42, v52, v45, vcc
	v_cndmask_b32_e32 v43, v43, v44, vcc
	v_lshlrev_b32_e32 v44, 24, v34
	v_bfrev_b32_e32 v45, 60
	v_lshlrev_b32_e32 v43, 20, v43
	v_and_b32_e32 v44, 0x80000000, v44
	v_lshl_add_u32 v42, v42, 23, v45
	v_or3_b32 v43, v44, v42, v43
.LBB579_17:
	s_or_b64 exec, exec, s[10:11]
.LBB579_18:
	s_or_b64 exec, exec, s[8:9]
.LBB579_19:
	s_or_b64 exec, exec, s[2:3]
	v_lshrrev_b16_e32 v42, 8, v34
	v_cmp_ne_u16_e32 vcc, 0, v42
	v_mov_b32_e32 v44, 0
	v_mov_b32_e32 v45, 0
	s_and_saveexec_b64 s[2:3], vcc
	s_cbranch_execz .LBB579_25
; %bb.20:
	s_movk_i32 s8, 0x80
	v_cmp_ne_u16_e32 vcc, s8, v42
	v_bfrev_b32_e32 v45, 1
	s_and_saveexec_b64 s[8:9], vcc
	s_cbranch_execz .LBB579_24
; %bb.21:
	s_movk_i32 s10, 0x7f
	v_and_b32_e32 v52, 0x7f, v42
	v_cmp_ne_u32_e32 vcc, s10, v52
	v_mov_b32_e32 v45, 0x7f800001
	s_and_saveexec_b64 s[10:11], vcc
	s_cbranch_execz .LBB579_23
; %bb.22:
	v_and_b32_e32 v45, 7, v42
	v_ffbh_u32_e32 v54, v45
	v_min_u32_e32 v56, 32, v54
	v_subrev_u32_e32 v54, 28, v56
	v_lshlrev_b64 v[54:55], v54, v[42:43]
	v_lshrrev_b32_e32 v53, 3, v52
	v_sub_u32_e32 v42, 29, v56
	v_and_b32_e32 v54, 7, v54
	v_cmp_gt_u32_e32 vcc, 8, v52
	v_cndmask_b32_e32 v42, v53, v42, vcc
	v_cndmask_b32_e32 v45, v45, v54, vcc
	v_lshlrev_b32_e32 v52, 16, v34
	v_bfrev_b32_e32 v53, 60
	v_lshlrev_b32_e32 v45, 20, v45
	v_and_b32_e32 v52, 0x80000000, v52
	v_lshl_add_u32 v42, v42, 23, v53
	v_or3_b32 v45, v52, v42, v45
.LBB579_23:
	s_or_b64 exec, exec, s[10:11]
.LBB579_24:
	s_or_b64 exec, exec, s[8:9]
.LBB579_25:
	s_or_b64 exec, exec, s[2:3]
	s_movk_i32 s2, 0xff
	v_and_b32_sdwa v52, v34, s2 dst_sel:DWORD dst_unused:UNUSED_PAD src0_sel:WORD_1 src1_sel:DWORD
	v_lshrrev_b32_e32 v42, 16, v34
	v_cmp_ne_u16_e32 vcc, 0, v52
	s_and_saveexec_b64 s[2:3], vcc
	s_cbranch_execz .LBB579_31
; %bb.26:
	s_movk_i32 s8, 0x80
	v_cmp_ne_u16_e32 vcc, s8, v52
	v_bfrev_b32_e32 v44, 1
	s_and_saveexec_b64 s[8:9], vcc
	s_cbranch_execz .LBB579_30
; %bb.27:
	v_bfe_u32 v52, v34, 16, 7
	s_movk_i32 s10, 0x7f
	v_cmp_ne_u32_e32 vcc, s10, v52
	v_mov_b32_e32 v44, 0x7f800001
	s_and_saveexec_b64 s[10:11], vcc
	s_cbranch_execz .LBB579_29
; %bb.28:
	v_and_b32_e32 v44, 7, v42
	v_ffbh_u32_e32 v54, v44
	v_min_u32_e32 v56, 32, v54
	v_subrev_u32_e32 v54, 28, v56
	v_lshlrev_b64 v[54:55], v54, v[42:43]
	v_lshrrev_b32_e32 v53, 3, v52
	v_sub_u32_e32 v42, 29, v56
	v_and_b32_e32 v54, 7, v54
	v_cmp_gt_u32_e32 vcc, 8, v52
	v_mov_b32_e32 v52, 24
	v_cndmask_b32_e32 v42, v53, v42, vcc
	v_cndmask_b32_e32 v44, v44, v54, vcc
	v_lshlrev_b32_sdwa v52, v52, v34 dst_sel:DWORD dst_unused:UNUSED_PAD src0_sel:DWORD src1_sel:WORD_1
	v_bfrev_b32_e32 v53, 60
	v_lshlrev_b32_e32 v44, 20, v44
	v_and_b32_e32 v52, 0x80000000, v52
	v_lshl_add_u32 v42, v42, 23, v53
	v_or3_b32 v44, v52, v42, v44
.LBB579_29:
	s_or_b64 exec, exec, s[10:11]
.LBB579_30:
	s_or_b64 exec, exec, s[8:9]
.LBB579_31:
	s_or_b64 exec, exec, s[2:3]
	s_mov_b32 s2, 0xffffff
	v_cmp_lt_u32_e32 vcc, s2, v34
	v_mov_b32_e32 v53, 0
	v_mov_b32_e32 v54, 0
	s_and_saveexec_b64 s[2:3], vcc
	s_cbranch_execz .LBB579_37
; %bb.32:
	v_lshrrev_b32_e32 v42, 24, v34
	s_movk_i32 s8, 0x80
	v_cmp_ne_u32_e32 vcc, s8, v42
	v_bfrev_b32_e32 v54, 1
	s_and_saveexec_b64 s[8:9], vcc
	s_cbranch_execz .LBB579_36
; %bb.33:
	v_bfe_u32 v34, v34, 24, 7
	s_movk_i32 s10, 0x7f
	v_cmp_ne_u32_e32 vcc, s10, v34
	v_mov_b32_e32 v54, 0x7f800001
	s_and_saveexec_b64 s[10:11], vcc
	s_cbranch_execz .LBB579_35
; %bb.34:
	v_and_b32_e32 v52, 7, v42
	v_ffbh_u32_e32 v54, v52
	v_min_u32_e32 v57, 32, v54
	v_subrev_u32_e32 v54, 28, v57
	v_lshlrev_b64 v[54:55], v54, v[42:43]
	v_lshrrev_b32_e32 v56, 3, v34
	v_sub_u32_e32 v55, 29, v57
	v_and_b32_e32 v54, 7, v54
	v_cmp_gt_u32_e32 vcc, 8, v34
	v_cndmask_b32_e32 v34, v56, v55, vcc
	v_cndmask_b32_e32 v52, v52, v54, vcc
	v_lshlrev_b32_e32 v42, 24, v42
	v_bfrev_b32_e32 v54, 60
	v_lshlrev_b32_e32 v52, 20, v52
	v_and_b32_e32 v42, 0x80000000, v42
	v_lshl_add_u32 v34, v34, 23, v54
	v_or3_b32 v54, v42, v34, v52
.LBB579_35:
	s_or_b64 exec, exec, s[10:11]
.LBB579_36:
	s_or_b64 exec, exec, s[8:9]
.LBB579_37:
	s_or_b64 exec, exec, s[2:3]
	v_cmp_ne_u16_sdwa s[8:9], v35, v53 src0_sel:BYTE_0 src1_sel:DWORD
	s_and_saveexec_b64 s[2:3], s[8:9]
	s_cbranch_execz .LBB579_43
; %bb.38:
	s_movk_i32 s8, 0x80
	v_cmp_ne_u16_sdwa s[10:11], v35, s8 src0_sel:BYTE_0 src1_sel:DWORD
	v_bfrev_b32_e32 v53, 1
	s_and_saveexec_b64 s[8:9], s[10:11]
	s_cbranch_execz .LBB579_42
; %bb.39:
	s_movk_i32 s10, 0x7f
	v_and_b32_e32 v34, 0x7f, v35
	v_cmp_ne_u32_e32 vcc, s10, v34
	v_mov_b32_e32 v53, 0x7f800001
	s_and_saveexec_b64 s[10:11], vcc
	s_cbranch_execz .LBB579_41
; %bb.40:
	v_and_b32_e32 v55, 7, v35
	v_ffbh_u32_e32 v52, v55
	v_min_u32_e32 v57, 32, v52
	v_mov_b32_e32 v42, v35
	v_subrev_u32_e32 v52, 28, v57
	v_lshlrev_b64 v[52:53], v52, v[42:43]
	v_lshrrev_b32_e32 v56, 3, v34
	v_sub_u32_e32 v42, 29, v57
	v_and_b32_e32 v52, 7, v52
	v_cmp_gt_u32_e32 vcc, 8, v34
	v_cndmask_b32_e32 v34, v56, v42, vcc
	v_cndmask_b32_e32 v42, v55, v52, vcc
	v_lshlrev_b32_e32 v52, 24, v35
	v_bfrev_b32_e32 v53, 60
	v_lshlrev_b32_e32 v42, 20, v42
	v_and_b32_e32 v52, 0x80000000, v52
	v_lshl_add_u32 v34, v34, 23, v53
	v_or3_b32 v53, v52, v34, v42
.LBB579_41:
	s_or_b64 exec, exec, s[10:11]
.LBB579_42:
	s_or_b64 exec, exec, s[8:9]
.LBB579_43:
	s_or_b64 exec, exec, s[2:3]
	v_lshrrev_b16_e32 v34, 8, v35
	v_cmp_ne_u16_e32 vcc, 0, v34
	v_mov_b32_e32 v42, 0
	v_mov_b32_e32 v55, 0
	s_and_saveexec_b64 s[2:3], vcc
	s_cbranch_execz .LBB579_49
; %bb.44:
	s_movk_i32 s8, 0x80
	v_cmp_ne_u16_e32 vcc, s8, v34
	v_bfrev_b32_e32 v55, 1
	s_and_saveexec_b64 s[8:9], vcc
	s_cbranch_execz .LBB579_48
; %bb.45:
	s_movk_i32 s10, 0x7f
	v_and_b32_e32 v52, 0x7f, v34
	v_cmp_ne_u32_e32 vcc, s10, v52
	v_mov_b32_e32 v55, 0x7f800001
	s_and_saveexec_b64 s[10:11], vcc
	s_cbranch_execz .LBB579_47
; %bb.46:
	v_and_b32_e32 v55, 7, v34
	v_ffbh_u32_e32 v56, v55
	v_min_u32_e32 v59, 32, v56
	v_subrev_u32_e32 v56, 28, v59
	v_lshlrev_b64 v[56:57], v56, v[34:35]
	v_lshrrev_b32_e32 v58, 3, v52
	v_sub_u32_e32 v34, 29, v59
	v_and_b32_e32 v56, 7, v56
	v_cmp_gt_u32_e32 vcc, 8, v52
	v_cndmask_b32_e32 v34, v58, v34, vcc
	v_cndmask_b32_e32 v52, v55, v56, vcc
	v_lshlrev_b32_e32 v55, 16, v35
	v_bfrev_b32_e32 v56, 60
	v_lshlrev_b32_e32 v52, 20, v52
	v_and_b32_e32 v55, 0x80000000, v55
	v_lshl_add_u32 v34, v34, 23, v56
	v_or3_b32 v55, v55, v34, v52
.LBB579_47:
	s_or_b64 exec, exec, s[10:11]
.LBB579_48:
	s_or_b64 exec, exec, s[8:9]
.LBB579_49:
	s_or_b64 exec, exec, s[2:3]
	s_movk_i32 s2, 0xff
	v_and_b32_sdwa v52, v35, s2 dst_sel:DWORD dst_unused:UNUSED_PAD src0_sel:WORD_1 src1_sel:DWORD
	v_lshrrev_b32_e32 v34, 16, v35
	v_cmp_ne_u16_e32 vcc, 0, v52
	s_and_saveexec_b64 s[2:3], vcc
	s_cbranch_execz .LBB579_55
; %bb.50:
	s_movk_i32 s8, 0x80
	v_cmp_ne_u16_e32 vcc, s8, v52
	v_bfrev_b32_e32 v42, 1
	s_and_saveexec_b64 s[8:9], vcc
	s_cbranch_execz .LBB579_54
; %bb.51:
	v_bfe_u32 v52, v35, 16, 7
	s_movk_i32 s10, 0x7f
	v_cmp_ne_u32_e32 vcc, s10, v52
	v_mov_b32_e32 v42, 0x7f800001
	s_and_saveexec_b64 s[10:11], vcc
	s_cbranch_execz .LBB579_53
; %bb.52:
	v_and_b32_e32 v42, 7, v34
	v_ffbh_u32_e32 v56, v42
	v_min_u32_e32 v59, 32, v56
	v_subrev_u32_e32 v56, 28, v59
	v_lshlrev_b64 v[56:57], v56, v[34:35]
	v_lshrrev_b32_e32 v58, 3, v52
	v_sub_u32_e32 v34, 29, v59
	v_and_b32_e32 v56, 7, v56
	v_cmp_gt_u32_e32 vcc, 8, v52
	v_mov_b32_e32 v52, 24
	v_cndmask_b32_e32 v34, v58, v34, vcc
	v_cndmask_b32_e32 v42, v42, v56, vcc
	v_lshlrev_b32_sdwa v52, v52, v35 dst_sel:DWORD dst_unused:UNUSED_PAD src0_sel:DWORD src1_sel:WORD_1
	v_bfrev_b32_e32 v56, 60
	v_lshlrev_b32_e32 v42, 20, v42
	v_and_b32_e32 v52, 0x80000000, v52
	v_lshl_add_u32 v34, v34, 23, v56
	v_or3_b32 v42, v52, v34, v42
.LBB579_53:
	s_or_b64 exec, exec, s[10:11]
.LBB579_54:
	s_or_b64 exec, exec, s[8:9]
.LBB579_55:
	s_or_b64 exec, exec, s[2:3]
	s_mov_b32 s2, 0xffffff
	v_cmp_lt_u32_e32 vcc, s2, v35
	v_mov_b32_e32 v52, 0
	v_mov_b32_e32 v56, 0
	s_and_saveexec_b64 s[2:3], vcc
	s_cbranch_execz .LBB579_61
; %bb.56:
	v_lshrrev_b32_e32 v34, 24, v35
	s_movk_i32 s8, 0x80
	v_cmp_ne_u32_e32 vcc, s8, v34
	v_bfrev_b32_e32 v56, 1
	s_and_saveexec_b64 s[8:9], vcc
	s_cbranch_execz .LBB579_60
; %bb.57:
	v_bfe_u32 v35, v35, 24, 7
	s_movk_i32 s10, 0x7f
	v_cmp_ne_u32_e32 vcc, s10, v35
	v_mov_b32_e32 v56, 0x7f800001
	s_and_saveexec_b64 s[10:11], vcc
	s_cbranch_execz .LBB579_59
; %bb.58:
	v_and_b32_e32 v58, 7, v34
	v_ffbh_u32_e32 v56, v58
	v_min_u32_e32 v60, 32, v56
	v_subrev_u32_e32 v56, 28, v60
	v_lshlrev_b64 v[56:57], v56, v[34:35]
	v_lshrrev_b32_e32 v59, 3, v35
	v_sub_u32_e32 v57, 29, v60
	v_and_b32_e32 v56, 7, v56
	v_cmp_gt_u32_e32 vcc, 8, v35
	v_cndmask_b32_e32 v35, v59, v57, vcc
	v_cndmask_b32_e32 v56, v58, v56, vcc
	v_lshlrev_b32_e32 v34, 24, v34
	v_bfrev_b32_e32 v57, 60
	v_lshlrev_b32_e32 v56, 20, v56
	v_and_b32_e32 v34, 0x80000000, v34
	v_lshl_add_u32 v35, v35, 23, v57
	v_or3_b32 v56, v34, v35, v56
.LBB579_59:
	s_or_b64 exec, exec, s[10:11]
.LBB579_60:
	s_or_b64 exec, exec, s[8:9]
.LBB579_61:
	s_or_b64 exec, exec, s[2:3]
	v_cvt_pkrtz_f16_f32 v34, v43, v45
	v_cvt_pkrtz_f16_f32 v35, v44, v54
	v_cmp_ne_u16_sdwa s[8:9], v36, v52 src0_sel:BYTE_0 src1_sel:DWORD
	s_nop 0
	v_mfma_f32_16x16x16f16 v[58:61], v[34:35], v[26:27], 0
	v_cvt_pkrtz_f16_f32 v34, v53, v55
	v_cvt_pkrtz_f16_f32 v35, v42, v56
	s_nop 1
	v_mfma_f32_16x16x16f16 v[42:45], v[34:35], v[28:29], v[58:61]
	s_and_saveexec_b64 s[2:3], s[8:9]
	s_cbranch_execz .LBB579_67
; %bb.62:
	s_movk_i32 s8, 0x80
	v_cmp_ne_u16_sdwa s[10:11], v36, s8 src0_sel:BYTE_0 src1_sel:DWORD
	v_bfrev_b32_e32 v52, 1
	s_and_saveexec_b64 s[8:9], s[10:11]
	s_cbranch_execz .LBB579_66
; %bb.63:
	s_movk_i32 s10, 0x7f
	v_and_b32_e32 v34, 0x7f, v36
	v_cmp_ne_u32_e32 vcc, s10, v34
	v_mov_b32_e32 v52, 0x7f800001
	s_and_saveexec_b64 s[10:11], vcc
	s_cbranch_execz .LBB579_65
; %bb.64:
	v_and_b32_e32 v35, 7, v36
	v_ffbh_u32_e32 v52, v35
	v_min_u32_e32 v55, 32, v52
	v_subrev_u32_e32 v52, 28, v55
	v_lshlrev_b64 v[52:53], v52, v[36:37]
	v_lshrrev_b32_e32 v54, 3, v34
	v_sub_u32_e32 v53, 29, v55
	v_and_b32_e32 v52, 7, v52
	v_cmp_gt_u32_e32 vcc, 8, v34
	v_cndmask_b32_e32 v34, v54, v53, vcc
	v_cndmask_b32_e32 v35, v35, v52, vcc
	v_lshlrev_b32_e32 v52, 24, v36
	v_bfrev_b32_e32 v53, 60
	v_lshlrev_b32_e32 v35, 20, v35
	v_and_b32_e32 v52, 0x80000000, v52
	v_lshl_add_u32 v34, v34, 23, v53
	v_or3_b32 v52, v52, v34, v35
.LBB579_65:
	s_or_b64 exec, exec, s[10:11]
.LBB579_66:
	s_or_b64 exec, exec, s[8:9]
.LBB579_67:
	s_or_b64 exec, exec, s[2:3]
	v_lshrrev_b16_e32 v34, 8, v36
	v_cmp_ne_u16_e32 vcc, 0, v34
	v_mov_b32_e32 v35, 0
	v_mov_b32_e32 v54, 0
	s_and_saveexec_b64 s[2:3], vcc
	s_cbranch_execz .LBB579_73
; %bb.68:
	s_movk_i32 s8, 0x80
	v_cmp_ne_u16_e32 vcc, s8, v34
	v_bfrev_b32_e32 v54, 1
	s_and_saveexec_b64 s[8:9], vcc
	s_cbranch_execz .LBB579_72
; %bb.69:
	s_movk_i32 s10, 0x7f
	v_and_b32_e32 v53, 0x7f, v34
	v_cmp_ne_u32_e32 vcc, s10, v53
	v_mov_b32_e32 v54, 0x7f800001
	s_and_saveexec_b64 s[10:11], vcc
	s_cbranch_execz .LBB579_71
; %bb.70:
	v_and_b32_e32 v56, 7, v34
	v_ffbh_u32_e32 v54, v56
	v_min_u32_e32 v58, 32, v54
	v_subrev_u32_e32 v54, 28, v58
	v_lshlrev_b64 v[54:55], v54, v[34:35]
	v_lshrrev_b32_e32 v57, 3, v53
	v_sub_u32_e32 v34, 29, v58
	v_and_b32_e32 v54, 7, v54
	v_cmp_gt_u32_e32 vcc, 8, v53
	v_cndmask_b32_e32 v34, v57, v34, vcc
	v_cndmask_b32_e32 v53, v56, v54, vcc
	v_lshlrev_b32_e32 v54, 16, v36
	v_bfrev_b32_e32 v55, 60
	v_lshlrev_b32_e32 v53, 20, v53
	v_and_b32_e32 v54, 0x80000000, v54
	v_lshl_add_u32 v34, v34, 23, v55
	v_or3_b32 v54, v54, v34, v53
.LBB579_71:
	s_or_b64 exec, exec, s[10:11]
.LBB579_72:
	s_or_b64 exec, exec, s[8:9]
.LBB579_73:
	s_or_b64 exec, exec, s[2:3]
	s_movk_i32 s2, 0xff
	v_and_b32_sdwa v53, v36, s2 dst_sel:DWORD dst_unused:UNUSED_PAD src0_sel:WORD_1 src1_sel:DWORD
	v_lshrrev_b32_e32 v34, 16, v36
	v_cmp_ne_u16_e32 vcc, 0, v53
	s_and_saveexec_b64 s[2:3], vcc
	s_cbranch_execz .LBB579_79
; %bb.74:
	s_movk_i32 s8, 0x80
	v_cmp_ne_u16_e32 vcc, s8, v53
	v_bfrev_b32_e32 v35, 1
	s_and_saveexec_b64 s[8:9], vcc
	s_cbranch_execz .LBB579_78
; %bb.75:
	v_bfe_u32 v53, v36, 16, 7
	s_movk_i32 s10, 0x7f
	v_cmp_ne_u32_e32 vcc, s10, v53
	v_mov_b32_e32 v35, 0x7f800001
	s_and_saveexec_b64 s[10:11], vcc
	s_cbranch_execz .LBB579_77
; %bb.76:
	v_and_b32_e32 v55, 7, v34
	v_ffbh_u32_e32 v35, v55
	v_min_u32_e32 v57, 32, v35
	v_subrev_u32_e32 v35, 28, v57
	v_lshlrev_b64 v[34:35], v35, v[34:35]
	v_lshrrev_b32_e32 v56, 3, v53
	v_sub_u32_e32 v35, 29, v57
	v_and_b32_e32 v34, 7, v34
	v_cmp_gt_u32_e32 vcc, 8, v53
	v_mov_b32_e32 v53, 24
	v_cndmask_b32_e32 v35, v56, v35, vcc
	v_cndmask_b32_e32 v34, v55, v34, vcc
	v_lshlrev_b32_sdwa v53, v53, v36 dst_sel:DWORD dst_unused:UNUSED_PAD src0_sel:DWORD src1_sel:WORD_1
	v_bfrev_b32_e32 v55, 60
	v_lshlrev_b32_e32 v34, 20, v34
	v_and_b32_e32 v53, 0x80000000, v53
	v_lshl_add_u32 v35, v35, 23, v55
	v_or3_b32 v35, v53, v35, v34
.LBB579_77:
	s_or_b64 exec, exec, s[10:11]
.LBB579_78:
	s_or_b64 exec, exec, s[8:9]
.LBB579_79:
	s_or_b64 exec, exec, s[2:3]
	s_mov_b32 s2, 0xffffff
	v_cmp_lt_u32_e32 vcc, s2, v36
	v_mov_b32_e32 v55, 0
	v_mov_b32_e32 v56, 0
	s_and_saveexec_b64 s[2:3], vcc
	s_cbranch_execz .LBB579_85
; %bb.80:
	v_lshrrev_b32_e32 v34, 24, v36
	s_movk_i32 s8, 0x80
	v_cmp_ne_u32_e32 vcc, s8, v34
	v_bfrev_b32_e32 v56, 1
	s_and_saveexec_b64 s[8:9], vcc
	s_cbranch_execz .LBB579_84
; %bb.81:
	v_bfe_u32 v36, v36, 24, 7
	s_movk_i32 s10, 0x7f
	v_cmp_ne_u32_e32 vcc, s10, v36
	v_mov_b32_e32 v56, 0x7f800001
	s_and_saveexec_b64 s[10:11], vcc
	s_cbranch_execz .LBB579_83
; %bb.82:
	v_and_b32_e32 v53, 7, v34
	v_ffbh_u32_e32 v56, v53
	v_min_u32_e32 v59, 32, v56
	v_subrev_u32_e32 v56, 28, v59
	v_lshlrev_b64 v[56:57], v56, v[34:35]
	v_lshrrev_b32_e32 v58, 3, v36
	v_sub_u32_e32 v57, 29, v59
	v_and_b32_e32 v56, 7, v56
	v_cmp_gt_u32_e32 vcc, 8, v36
	v_cndmask_b32_e32 v36, v58, v57, vcc
	v_cndmask_b32_e32 v53, v53, v56, vcc
	v_lshlrev_b32_e32 v34, 24, v34
	v_bfrev_b32_e32 v56, 60
	v_lshlrev_b32_e32 v53, 20, v53
	v_and_b32_e32 v34, 0x80000000, v34
	v_lshl_add_u32 v36, v36, 23, v56
	v_or3_b32 v56, v34, v36, v53
.LBB579_83:
	s_or_b64 exec, exec, s[10:11]
.LBB579_84:
	s_or_b64 exec, exec, s[8:9]
.LBB579_85:
	s_or_b64 exec, exec, s[2:3]
	v_cmp_ne_u16_sdwa s[8:9], v37, v55 src0_sel:BYTE_0 src1_sel:DWORD
	s_and_saveexec_b64 s[2:3], s[8:9]
	s_cbranch_execz .LBB579_91
; %bb.86:
	s_movk_i32 s8, 0x80
	v_cmp_ne_u16_sdwa s[10:11], v37, s8 src0_sel:BYTE_0 src1_sel:DWORD
	v_bfrev_b32_e32 v55, 1
	s_and_saveexec_b64 s[8:9], s[10:11]
	s_cbranch_execz .LBB579_90
; %bb.87:
	s_movk_i32 s10, 0x7f
	v_and_b32_e32 v34, 0x7f, v37
	v_cmp_ne_u32_e32 vcc, s10, v34
	v_mov_b32_e32 v55, 0x7f800001
	s_and_saveexec_b64 s[10:11], vcc
	s_cbranch_execz .LBB579_89
; %bb.88:
	v_and_b32_e32 v53, 7, v37
	v_ffbh_u32_e32 v57, v53
	v_min_u32_e32 v57, 32, v57
	v_mov_b32_e32 v36, v37
	v_subrev_u32_e32 v58, 28, v57
	v_lshlrev_b64 v[58:59], v58, v[36:37]
	v_lshrrev_b32_e32 v55, 3, v34
	v_sub_u32_e32 v36, 29, v57
	v_and_b32_e32 v57, 7, v58
	v_cmp_gt_u32_e32 vcc, 8, v34
	v_cndmask_b32_e32 v34, v55, v36, vcc
	v_cndmask_b32_e32 v36, v53, v57, vcc
	v_lshlrev_b32_e32 v53, 24, v37
	v_bfrev_b32_e32 v55, 60
	v_lshlrev_b32_e32 v36, 20, v36
	v_and_b32_e32 v53, 0x80000000, v53
	v_lshl_add_u32 v34, v34, 23, v55
	v_or3_b32 v55, v53, v34, v36
.LBB579_89:
	s_or_b64 exec, exec, s[10:11]
.LBB579_90:
	s_or_b64 exec, exec, s[8:9]
.LBB579_91:
	s_or_b64 exec, exec, s[2:3]
	v_lshrrev_b16_e32 v34, 8, v37
	v_cmp_ne_u16_e32 vcc, 0, v34
	v_mov_b32_e32 v36, 0
	v_mov_b32_e32 v57, 0
	s_and_saveexec_b64 s[2:3], vcc
	s_cbranch_execz .LBB579_97
; %bb.92:
	s_movk_i32 s8, 0x80
	v_cmp_ne_u16_e32 vcc, s8, v34
	v_bfrev_b32_e32 v57, 1
	s_and_saveexec_b64 s[8:9], vcc
	s_cbranch_execz .LBB579_96
; %bb.93:
	s_movk_i32 s10, 0x7f
	v_and_b32_e32 v53, 0x7f, v34
	v_cmp_ne_u32_e32 vcc, s10, v53
	v_mov_b32_e32 v57, 0x7f800001
	s_and_saveexec_b64 s[10:11], vcc
	s_cbranch_execz .LBB579_95
; %bb.94:
	v_and_b32_e32 v57, 7, v34
	v_ffbh_u32_e32 v58, v57
	v_min_u32_e32 v61, 32, v58
	v_subrev_u32_e32 v58, 28, v61
	v_lshlrev_b64 v[58:59], v58, v[34:35]
	v_lshrrev_b32_e32 v60, 3, v53
	v_sub_u32_e32 v34, 29, v61
	v_and_b32_e32 v58, 7, v58
	v_cmp_gt_u32_e32 vcc, 8, v53
	v_cndmask_b32_e32 v34, v60, v34, vcc
	v_cndmask_b32_e32 v53, v57, v58, vcc
	v_lshlrev_b32_e32 v57, 16, v37
	v_bfrev_b32_e32 v58, 60
	v_lshlrev_b32_e32 v53, 20, v53
	v_and_b32_e32 v57, 0x80000000, v57
	v_lshl_add_u32 v34, v34, 23, v58
	v_or3_b32 v57, v57, v34, v53
.LBB579_95:
	s_or_b64 exec, exec, s[10:11]
.LBB579_96:
	s_or_b64 exec, exec, s[8:9]
.LBB579_97:
	s_or_b64 exec, exec, s[2:3]
	s_movk_i32 s2, 0xff
	v_and_b32_sdwa v53, v37, s2 dst_sel:DWORD dst_unused:UNUSED_PAD src0_sel:WORD_1 src1_sel:DWORD
	v_lshrrev_b32_e32 v34, 16, v37
	v_cmp_ne_u16_e32 vcc, 0, v53
	s_and_saveexec_b64 s[2:3], vcc
	s_cbranch_execz .LBB579_103
; %bb.98:
	s_movk_i32 s8, 0x80
	v_cmp_ne_u16_e32 vcc, s8, v53
	v_bfrev_b32_e32 v36, 1
	s_and_saveexec_b64 s[8:9], vcc
	s_cbranch_execz .LBB579_102
; %bb.99:
	v_bfe_u32 v53, v37, 16, 7
	s_movk_i32 s10, 0x7f
	v_cmp_ne_u32_e32 vcc, s10, v53
	v_mov_b32_e32 v36, 0x7f800001
	s_and_saveexec_b64 s[10:11], vcc
	s_cbranch_execz .LBB579_101
; %bb.100:
	v_and_b32_e32 v36, 7, v34
	v_ffbh_u32_e32 v58, v36
	v_min_u32_e32 v61, 32, v58
	v_subrev_u32_e32 v58, 28, v61
	v_lshlrev_b64 v[58:59], v58, v[34:35]
	v_lshrrev_b32_e32 v60, 3, v53
	v_sub_u32_e32 v34, 29, v61
	v_and_b32_e32 v58, 7, v58
	v_cmp_gt_u32_e32 vcc, 8, v53
	v_mov_b32_e32 v53, 24
	v_cndmask_b32_e32 v34, v60, v34, vcc
	v_cndmask_b32_e32 v36, v36, v58, vcc
	v_lshlrev_b32_sdwa v53, v53, v37 dst_sel:DWORD dst_unused:UNUSED_PAD src0_sel:DWORD src1_sel:WORD_1
	v_bfrev_b32_e32 v58, 60
	v_lshlrev_b32_e32 v36, 20, v36
	v_and_b32_e32 v53, 0x80000000, v53
	v_lshl_add_u32 v34, v34, 23, v58
	v_or3_b32 v36, v53, v34, v36
.LBB579_101:
	s_or_b64 exec, exec, s[10:11]
.LBB579_102:
	s_or_b64 exec, exec, s[8:9]
.LBB579_103:
	s_or_b64 exec, exec, s[2:3]
	s_mov_b32 s2, 0xffffff
	v_cmp_lt_u32_e32 vcc, s2, v37
	v_mov_b32_e32 v53, 0
	v_mov_b32_e32 v58, 0
	s_and_saveexec_b64 s[2:3], vcc
	s_cbranch_execz .LBB579_109
; %bb.104:
	v_lshrrev_b32_e32 v34, 24, v37
	s_movk_i32 s8, 0x80
	v_cmp_ne_u32_e32 vcc, s8, v34
	v_bfrev_b32_e32 v58, 1
	s_and_saveexec_b64 s[8:9], vcc
	s_cbranch_execz .LBB579_108
; %bb.105:
	v_bfe_u32 v37, v37, 24, 7
	s_movk_i32 s10, 0x7f
	v_cmp_ne_u32_e32 vcc, s10, v37
	v_mov_b32_e32 v58, 0x7f800001
	s_and_saveexec_b64 s[10:11], vcc
	s_cbranch_execz .LBB579_107
; %bb.106:
	v_and_b32_e32 v60, 7, v34
	v_ffbh_u32_e32 v58, v60
	v_min_u32_e32 v62, 32, v58
	v_subrev_u32_e32 v58, 28, v62
	v_lshlrev_b64 v[58:59], v58, v[34:35]
	v_lshrrev_b32_e32 v61, 3, v37
	v_sub_u32_e32 v59, 29, v62
	v_and_b32_e32 v58, 7, v58
	v_cmp_gt_u32_e32 vcc, 8, v37
	v_cndmask_b32_e32 v37, v61, v59, vcc
	v_cndmask_b32_e32 v58, v60, v58, vcc
	v_lshlrev_b32_e32 v34, 24, v34
	v_bfrev_b32_e32 v59, 60
	v_lshlrev_b32_e32 v58, 20, v58
	v_and_b32_e32 v34, 0x80000000, v34
	v_lshl_add_u32 v37, v37, 23, v59
	v_or3_b32 v58, v34, v37, v58
.LBB579_107:
	s_or_b64 exec, exec, s[10:11]
.LBB579_108:
	s_or_b64 exec, exec, s[8:9]
.LBB579_109:
	s_or_b64 exec, exec, s[2:3]
	v_cvt_pkrtz_f16_f32 v34, v52, v54
	v_cvt_pkrtz_f16_f32 v35, v35, v56
	v_cmp_ne_u16_sdwa s[8:9], v38, v53 src0_sel:BYTE_0 src1_sel:DWORD
	s_nop 0
	v_mfma_f32_16x16x16f16 v[42:45], v[34:35], v[18:19], v[42:45]
	v_cvt_pkrtz_f16_f32 v34, v55, v57
	v_cvt_pkrtz_f16_f32 v35, v36, v58
	s_nop 1
	v_mfma_f32_16x16x16f16 v[34:37], v[34:35], v[20:21], v[42:45]
	s_and_saveexec_b64 s[2:3], s[8:9]
	s_cbranch_execz .LBB579_115
; %bb.110:
	s_movk_i32 s8, 0x80
	v_cmp_ne_u16_sdwa s[10:11], v38, s8 src0_sel:BYTE_0 src1_sel:DWORD
	v_bfrev_b32_e32 v53, 1
	s_and_saveexec_b64 s[8:9], s[10:11]
	s_cbranch_execz .LBB579_114
; %bb.111:
	s_movk_i32 s10, 0x7f
	v_and_b32_e32 v42, 0x7f, v38
	v_cmp_ne_u32_e32 vcc, s10, v42
	v_mov_b32_e32 v53, 0x7f800001
	s_and_saveexec_b64 s[10:11], vcc
	s_cbranch_execz .LBB579_113
; %bb.112:
	v_and_b32_e32 v43, 7, v38
	v_ffbh_u32_e32 v44, v43
	v_min_u32_e32 v53, 32, v44
	v_subrev_u32_e32 v44, 28, v53
	v_lshlrev_b64 v[44:45], v44, v[38:39]
	v_lshrrev_b32_e32 v52, 3, v42
	v_sub_u32_e32 v45, 29, v53
	v_and_b32_e32 v44, 7, v44
	v_cmp_gt_u32_e32 vcc, 8, v42
	v_cndmask_b32_e32 v42, v52, v45, vcc
	v_cndmask_b32_e32 v43, v43, v44, vcc
	v_lshlrev_b32_e32 v44, 24, v38
	v_bfrev_b32_e32 v45, 60
	v_lshlrev_b32_e32 v43, 20, v43
	v_and_b32_e32 v44, 0x80000000, v44
	v_lshl_add_u32 v42, v42, 23, v45
	v_or3_b32 v53, v44, v42, v43
.LBB579_113:
	s_or_b64 exec, exec, s[10:11]
.LBB579_114:
	s_or_b64 exec, exec, s[8:9]
.LBB579_115:
	s_or_b64 exec, exec, s[2:3]
	s_nop 3
	v_lshrrev_b16_e32 v42, 8, v38
	v_cmp_ne_u16_e32 vcc, 0, v42
	v_mov_b32_e32 v43, 0
	v_mov_b32_e32 v44, 0
	s_and_saveexec_b64 s[2:3], vcc
	s_cbranch_execz .LBB579_121
; %bb.116:
	s_movk_i32 s8, 0x80
	v_cmp_ne_u16_e32 vcc, s8, v42
	v_bfrev_b32_e32 v44, 1
	s_and_saveexec_b64 s[8:9], vcc
	s_cbranch_execz .LBB579_120
; %bb.117:
	s_movk_i32 s10, 0x7f
	v_and_b32_e32 v45, 0x7f, v42
	v_cmp_ne_u32_e32 vcc, s10, v45
	v_mov_b32_e32 v44, 0x7f800001
	s_and_saveexec_b64 s[10:11], vcc
	s_cbranch_execz .LBB579_119
; %bb.118:
	v_and_b32_e32 v44, 7, v42
	v_ffbh_u32_e32 v54, v44
	v_min_u32_e32 v56, 32, v54
	v_subrev_u32_e32 v54, 28, v56
	v_lshlrev_b64 v[54:55], v54, v[42:43]
	v_lshrrev_b32_e32 v52, 3, v45
	v_sub_u32_e32 v42, 29, v56
	v_and_b32_e32 v54, 7, v54
	v_cmp_gt_u32_e32 vcc, 8, v45
	v_cndmask_b32_e32 v42, v52, v42, vcc
	v_cndmask_b32_e32 v44, v44, v54, vcc
	v_lshlrev_b32_e32 v45, 16, v38
	v_bfrev_b32_e32 v52, 60
	v_lshlrev_b32_e32 v44, 20, v44
	v_and_b32_e32 v45, 0x80000000, v45
	v_lshl_add_u32 v42, v42, 23, v52
	v_or3_b32 v44, v45, v42, v44
.LBB579_119:
	s_or_b64 exec, exec, s[10:11]
.LBB579_120:
	s_or_b64 exec, exec, s[8:9]
.LBB579_121:
	s_or_b64 exec, exec, s[2:3]
	s_movk_i32 s2, 0xff
	v_and_b32_sdwa v45, v38, s2 dst_sel:DWORD dst_unused:UNUSED_PAD src0_sel:WORD_1 src1_sel:DWORD
	v_lshrrev_b32_e32 v42, 16, v38
	v_cmp_ne_u16_e32 vcc, 0, v45
	s_and_saveexec_b64 s[2:3], vcc
	s_cbranch_execz .LBB579_127
; %bb.122:
	s_movk_i32 s8, 0x80
	v_cmp_ne_u16_e32 vcc, s8, v45
	v_bfrev_b32_e32 v43, 1
	s_and_saveexec_b64 s[8:9], vcc
	s_cbranch_execz .LBB579_126
; %bb.123:
	v_bfe_u32 v45, v38, 16, 7
	s_movk_i32 s10, 0x7f
	v_cmp_ne_u32_e32 vcc, s10, v45
	v_mov_b32_e32 v43, 0x7f800001
	s_and_saveexec_b64 s[10:11], vcc
	s_cbranch_execz .LBB579_125
; %bb.124:
	v_and_b32_e32 v52, 7, v42
	v_ffbh_u32_e32 v43, v52
	v_min_u32_e32 v55, 32, v43
	v_subrev_u32_e32 v43, 28, v55
	v_lshlrev_b64 v[42:43], v43, v[42:43]
	v_lshrrev_b32_e32 v54, 3, v45
	v_sub_u32_e32 v43, 29, v55
	v_and_b32_e32 v42, 7, v42
	v_cmp_gt_u32_e32 vcc, 8, v45
	v_mov_b32_e32 v45, 24
	v_cndmask_b32_e32 v43, v54, v43, vcc
	v_cndmask_b32_e32 v42, v52, v42, vcc
	v_lshlrev_b32_sdwa v45, v45, v38 dst_sel:DWORD dst_unused:UNUSED_PAD src0_sel:DWORD src1_sel:WORD_1
	v_bfrev_b32_e32 v52, 60
	v_lshlrev_b32_e32 v42, 20, v42
	v_and_b32_e32 v45, 0x80000000, v45
	v_lshl_add_u32 v43, v43, 23, v52
	v_or3_b32 v43, v45, v43, v42
.LBB579_125:
	s_or_b64 exec, exec, s[10:11]
.LBB579_126:
	s_or_b64 exec, exec, s[8:9]
.LBB579_127:
	s_or_b64 exec, exec, s[2:3]
	s_mov_b32 s2, 0xffffff
	v_cmp_lt_u32_e32 vcc, s2, v38
	v_mov_b32_e32 v45, 0
	v_mov_b32_e32 v54, 0
	s_and_saveexec_b64 s[2:3], vcc
	s_cbranch_execz .LBB579_133
; %bb.128:
	v_lshrrev_b32_e32 v42, 24, v38
	s_movk_i32 s8, 0x80
	v_cmp_ne_u32_e32 vcc, s8, v42
	v_bfrev_b32_e32 v54, 1
	s_and_saveexec_b64 s[8:9], vcc
	s_cbranch_execz .LBB579_132
; %bb.129:
	v_bfe_u32 v38, v38, 24, 7
	s_movk_i32 s10, 0x7f
	v_cmp_ne_u32_e32 vcc, s10, v38
	v_mov_b32_e32 v54, 0x7f800001
	s_and_saveexec_b64 s[10:11], vcc
	s_cbranch_execz .LBB579_131
; %bb.130:
	v_and_b32_e32 v52, 7, v42
	v_ffbh_u32_e32 v54, v52
	v_min_u32_e32 v57, 32, v54
	v_subrev_u32_e32 v54, 28, v57
	v_lshlrev_b64 v[54:55], v54, v[42:43]
	v_lshrrev_b32_e32 v56, 3, v38
	v_sub_u32_e32 v55, 29, v57
	v_and_b32_e32 v54, 7, v54
	v_cmp_gt_u32_e32 vcc, 8, v38
	v_cndmask_b32_e32 v38, v56, v55, vcc
	v_cndmask_b32_e32 v52, v52, v54, vcc
	v_lshlrev_b32_e32 v42, 24, v42
	v_bfrev_b32_e32 v54, 60
	v_lshlrev_b32_e32 v52, 20, v52
	v_and_b32_e32 v42, 0x80000000, v42
	v_lshl_add_u32 v38, v38, 23, v54
	v_or3_b32 v54, v42, v38, v52
.LBB579_131:
	s_or_b64 exec, exec, s[10:11]
.LBB579_132:
	s_or_b64 exec, exec, s[8:9]
.LBB579_133:
	s_or_b64 exec, exec, s[2:3]
	v_cmp_ne_u16_sdwa s[8:9], v39, v45 src0_sel:BYTE_0 src1_sel:DWORD
	s_and_saveexec_b64 s[2:3], s[8:9]
	s_cbranch_execz .LBB579_139
; %bb.134:
	s_movk_i32 s8, 0x80
	v_cmp_ne_u16_sdwa s[10:11], v39, s8 src0_sel:BYTE_0 src1_sel:DWORD
	v_bfrev_b32_e32 v45, 1
	s_and_saveexec_b64 s[8:9], s[10:11]
	s_cbranch_execz .LBB579_138
; %bb.135:
	s_movk_i32 s10, 0x7f
	v_and_b32_e32 v38, 0x7f, v39
	v_cmp_ne_u32_e32 vcc, s10, v38
	v_mov_b32_e32 v45, 0x7f800001
	s_and_saveexec_b64 s[10:11], vcc
	s_cbranch_execz .LBB579_137
; %bb.136:
	v_and_b32_e32 v45, 7, v39
	v_ffbh_u32_e32 v55, v45
	v_min_u32_e32 v55, 32, v55
	v_mov_b32_e32 v42, v39
	v_subrev_u32_e32 v56, 28, v55
	v_lshlrev_b64 v[56:57], v56, v[42:43]
	v_lshrrev_b32_e32 v52, 3, v38
	v_sub_u32_e32 v42, 29, v55
	v_and_b32_e32 v55, 7, v56
	v_cmp_gt_u32_e32 vcc, 8, v38
	v_cndmask_b32_e32 v38, v52, v42, vcc
	v_cndmask_b32_e32 v42, v45, v55, vcc
	v_lshlrev_b32_e32 v45, 24, v39
	v_bfrev_b32_e32 v52, 60
	v_lshlrev_b32_e32 v42, 20, v42
	v_and_b32_e32 v45, 0x80000000, v45
	v_lshl_add_u32 v38, v38, 23, v52
	v_or3_b32 v45, v45, v38, v42
.LBB579_137:
	s_or_b64 exec, exec, s[10:11]
.LBB579_138:
	s_or_b64 exec, exec, s[8:9]
.LBB579_139:
	s_or_b64 exec, exec, s[2:3]
	v_lshrrev_b16_e32 v38, 8, v39
	v_cmp_ne_u16_e32 vcc, 0, v38
	v_mov_b32_e32 v42, 0
	v_mov_b32_e32 v55, 0
	s_and_saveexec_b64 s[2:3], vcc
	s_cbranch_execz .LBB579_145
; %bb.140:
	s_movk_i32 s8, 0x80
	v_cmp_ne_u16_e32 vcc, s8, v38
	v_bfrev_b32_e32 v55, 1
	s_and_saveexec_b64 s[8:9], vcc
	s_cbranch_execz .LBB579_144
; %bb.141:
	s_movk_i32 s10, 0x7f
	v_and_b32_e32 v52, 0x7f, v38
	v_cmp_ne_u32_e32 vcc, s10, v52
	v_mov_b32_e32 v55, 0x7f800001
	s_and_saveexec_b64 s[10:11], vcc
	s_cbranch_execz .LBB579_143
; %bb.142:
	v_and_b32_e32 v55, 7, v38
	v_ffbh_u32_e32 v56, v55
	v_min_u32_e32 v59, 32, v56
	v_subrev_u32_e32 v56, 28, v59
	v_lshlrev_b64 v[56:57], v56, v[38:39]
	v_lshrrev_b32_e32 v58, 3, v52
	v_sub_u32_e32 v38, 29, v59
	v_and_b32_e32 v56, 7, v56
	v_cmp_gt_u32_e32 vcc, 8, v52
	v_cndmask_b32_e32 v38, v58, v38, vcc
	v_cndmask_b32_e32 v52, v55, v56, vcc
	v_lshlrev_b32_e32 v55, 16, v39
	v_bfrev_b32_e32 v56, 60
	v_lshlrev_b32_e32 v52, 20, v52
	v_and_b32_e32 v55, 0x80000000, v55
	v_lshl_add_u32 v38, v38, 23, v56
	v_or3_b32 v55, v55, v38, v52
.LBB579_143:
	s_or_b64 exec, exec, s[10:11]
.LBB579_144:
	s_or_b64 exec, exec, s[8:9]
.LBB579_145:
	s_or_b64 exec, exec, s[2:3]
	s_movk_i32 s2, 0xff
	v_and_b32_sdwa v52, v39, s2 dst_sel:DWORD dst_unused:UNUSED_PAD src0_sel:WORD_1 src1_sel:DWORD
	v_lshrrev_b32_e32 v38, 16, v39
	v_cmp_ne_u16_e32 vcc, 0, v52
	s_and_saveexec_b64 s[2:3], vcc
	s_cbranch_execz .LBB579_151
; %bb.146:
	s_movk_i32 s8, 0x80
	v_cmp_ne_u16_e32 vcc, s8, v52
	v_bfrev_b32_e32 v42, 1
	s_and_saveexec_b64 s[8:9], vcc
	s_cbranch_execz .LBB579_150
; %bb.147:
	v_bfe_u32 v52, v39, 16, 7
	s_movk_i32 s10, 0x7f
	v_cmp_ne_u32_e32 vcc, s10, v52
	v_mov_b32_e32 v42, 0x7f800001
	s_and_saveexec_b64 s[10:11], vcc
	s_cbranch_execz .LBB579_149
; %bb.148:
	v_and_b32_e32 v42, 7, v38
	v_ffbh_u32_e32 v56, v42
	v_min_u32_e32 v59, 32, v56
	v_subrev_u32_e32 v56, 28, v59
	v_lshlrev_b64 v[56:57], v56, v[38:39]
	v_lshrrev_b32_e32 v58, 3, v52
	v_sub_u32_e32 v38, 29, v59
	v_and_b32_e32 v56, 7, v56
	v_cmp_gt_u32_e32 vcc, 8, v52
	v_mov_b32_e32 v52, 24
	v_cndmask_b32_e32 v38, v58, v38, vcc
	v_cndmask_b32_e32 v42, v42, v56, vcc
	v_lshlrev_b32_sdwa v52, v52, v39 dst_sel:DWORD dst_unused:UNUSED_PAD src0_sel:DWORD src1_sel:WORD_1
	v_bfrev_b32_e32 v56, 60
	v_lshlrev_b32_e32 v42, 20, v42
	v_and_b32_e32 v52, 0x80000000, v52
	v_lshl_add_u32 v38, v38, 23, v56
	v_or3_b32 v42, v52, v38, v42
.LBB579_149:
	s_or_b64 exec, exec, s[10:11]
.LBB579_150:
	s_or_b64 exec, exec, s[8:9]
.LBB579_151:
	s_or_b64 exec, exec, s[2:3]
	s_mov_b32 s2, 0xffffff
	v_cmp_lt_u32_e32 vcc, s2, v39
	v_mov_b32_e32 v52, 0
	v_mov_b32_e32 v56, 0
	s_and_saveexec_b64 s[2:3], vcc
	s_cbranch_execz .LBB579_157
; %bb.152:
	v_lshrrev_b32_e32 v38, 24, v39
	s_movk_i32 s8, 0x80
	v_cmp_ne_u32_e32 vcc, s8, v38
	v_bfrev_b32_e32 v56, 1
	s_and_saveexec_b64 s[8:9], vcc
	s_cbranch_execz .LBB579_156
; %bb.153:
	v_bfe_u32 v39, v39, 24, 7
	s_movk_i32 s10, 0x7f
	v_cmp_ne_u32_e32 vcc, s10, v39
	v_mov_b32_e32 v56, 0x7f800001
	s_and_saveexec_b64 s[10:11], vcc
	s_cbranch_execz .LBB579_155
; %bb.154:
	v_and_b32_e32 v58, 7, v38
	v_ffbh_u32_e32 v56, v58
	v_min_u32_e32 v60, 32, v56
	v_subrev_u32_e32 v56, 28, v60
	v_lshlrev_b64 v[56:57], v56, v[38:39]
	v_lshrrev_b32_e32 v59, 3, v39
	v_sub_u32_e32 v57, 29, v60
	v_and_b32_e32 v56, 7, v56
	v_cmp_gt_u32_e32 vcc, 8, v39
	v_cndmask_b32_e32 v39, v59, v57, vcc
	v_cndmask_b32_e32 v56, v58, v56, vcc
	v_lshlrev_b32_e32 v38, 24, v38
	v_bfrev_b32_e32 v57, 60
	v_lshlrev_b32_e32 v56, 20, v56
	v_and_b32_e32 v38, 0x80000000, v38
	v_lshl_add_u32 v39, v39, 23, v57
	v_or3_b32 v56, v38, v39, v56
.LBB579_155:
	s_or_b64 exec, exec, s[10:11]
.LBB579_156:
	s_or_b64 exec, exec, s[8:9]
.LBB579_157:
	s_or_b64 exec, exec, s[2:3]
	v_cvt_pkrtz_f16_f32 v38, v53, v44
	v_cvt_pkrtz_f16_f32 v39, v43, v54
	v_cmp_ne_u16_sdwa s[8:9], v40, v52 src0_sel:BYTE_0 src1_sel:DWORD
	s_nop 0
	v_mfma_f32_16x16x16f16 v[58:61], v[38:39], v[26:27], 0
	v_cvt_pkrtz_f16_f32 v38, v45, v55
	v_cvt_pkrtz_f16_f32 v39, v42, v56
	s_nop 1
	v_mfma_f32_16x16x16f16 v[42:45], v[38:39], v[28:29], v[58:61]
	s_and_saveexec_b64 s[2:3], s[8:9]
	s_cbranch_execz .LBB579_163
; %bb.158:
	s_movk_i32 s8, 0x80
	v_cmp_ne_u16_sdwa s[10:11], v40, s8 src0_sel:BYTE_0 src1_sel:DWORD
	v_bfrev_b32_e32 v52, 1
	s_and_saveexec_b64 s[8:9], s[10:11]
	s_cbranch_execz .LBB579_162
; %bb.159:
	s_movk_i32 s10, 0x7f
	v_and_b32_e32 v38, 0x7f, v40
	v_cmp_ne_u32_e32 vcc, s10, v38
	v_mov_b32_e32 v52, 0x7f800001
	s_and_saveexec_b64 s[10:11], vcc
	s_cbranch_execz .LBB579_161
; %bb.160:
	v_and_b32_e32 v39, 7, v40
	v_ffbh_u32_e32 v52, v39
	v_min_u32_e32 v55, 32, v52
	v_subrev_u32_e32 v52, 28, v55
	v_lshlrev_b64 v[52:53], v52, v[40:41]
	v_lshrrev_b32_e32 v54, 3, v38
	v_sub_u32_e32 v53, 29, v55
	v_and_b32_e32 v52, 7, v52
	v_cmp_gt_u32_e32 vcc, 8, v38
	v_cndmask_b32_e32 v38, v54, v53, vcc
	v_cndmask_b32_e32 v39, v39, v52, vcc
	v_lshlrev_b32_e32 v52, 24, v40
	v_bfrev_b32_e32 v53, 60
	v_lshlrev_b32_e32 v39, 20, v39
	v_and_b32_e32 v52, 0x80000000, v52
	v_lshl_add_u32 v38, v38, 23, v53
	v_or3_b32 v52, v52, v38, v39
.LBB579_161:
	s_or_b64 exec, exec, s[10:11]
.LBB579_162:
	s_or_b64 exec, exec, s[8:9]
.LBB579_163:
	s_or_b64 exec, exec, s[2:3]
	v_lshrrev_b16_e32 v38, 8, v40
	v_cmp_ne_u16_e32 vcc, 0, v38
	v_mov_b32_e32 v39, 0
	v_mov_b32_e32 v54, 0
	s_and_saveexec_b64 s[2:3], vcc
	s_cbranch_execz .LBB579_169
; %bb.164:
	s_movk_i32 s8, 0x80
	v_cmp_ne_u16_e32 vcc, s8, v38
	v_bfrev_b32_e32 v54, 1
	s_and_saveexec_b64 s[8:9], vcc
	s_cbranch_execz .LBB579_168
; %bb.165:
	s_movk_i32 s10, 0x7f
	v_and_b32_e32 v53, 0x7f, v38
	v_cmp_ne_u32_e32 vcc, s10, v53
	v_mov_b32_e32 v54, 0x7f800001
	s_and_saveexec_b64 s[10:11], vcc
	s_cbranch_execz .LBB579_167
; %bb.166:
	v_and_b32_e32 v56, 7, v38
	v_ffbh_u32_e32 v54, v56
	v_min_u32_e32 v58, 32, v54
	v_subrev_u32_e32 v54, 28, v58
	v_lshlrev_b64 v[54:55], v54, v[38:39]
	v_lshrrev_b32_e32 v57, 3, v53
	v_sub_u32_e32 v38, 29, v58
	v_and_b32_e32 v54, 7, v54
	v_cmp_gt_u32_e32 vcc, 8, v53
	v_cndmask_b32_e32 v38, v57, v38, vcc
	v_cndmask_b32_e32 v53, v56, v54, vcc
	v_lshlrev_b32_e32 v54, 16, v40
	v_bfrev_b32_e32 v55, 60
	v_lshlrev_b32_e32 v53, 20, v53
	v_and_b32_e32 v54, 0x80000000, v54
	v_lshl_add_u32 v38, v38, 23, v55
	v_or3_b32 v54, v54, v38, v53
.LBB579_167:
	s_or_b64 exec, exec, s[10:11]
.LBB579_168:
	s_or_b64 exec, exec, s[8:9]
.LBB579_169:
	s_or_b64 exec, exec, s[2:3]
	s_movk_i32 s2, 0xff
	v_and_b32_sdwa v53, v40, s2 dst_sel:DWORD dst_unused:UNUSED_PAD src0_sel:WORD_1 src1_sel:DWORD
	v_lshrrev_b32_e32 v38, 16, v40
	v_cmp_ne_u16_e32 vcc, 0, v53
	s_and_saveexec_b64 s[2:3], vcc
	s_cbranch_execz .LBB579_175
; %bb.170:
	s_movk_i32 s8, 0x80
	v_cmp_ne_u16_e32 vcc, s8, v53
	v_bfrev_b32_e32 v39, 1
	s_and_saveexec_b64 s[8:9], vcc
	s_cbranch_execz .LBB579_174
; %bb.171:
	v_bfe_u32 v53, v40, 16, 7
	s_movk_i32 s10, 0x7f
	v_cmp_ne_u32_e32 vcc, s10, v53
	v_mov_b32_e32 v39, 0x7f800001
	s_and_saveexec_b64 s[10:11], vcc
	s_cbranch_execz .LBB579_173
; %bb.172:
	v_and_b32_e32 v55, 7, v38
	v_ffbh_u32_e32 v39, v55
	v_min_u32_e32 v57, 32, v39
	v_subrev_u32_e32 v39, 28, v57
	v_lshlrev_b64 v[38:39], v39, v[38:39]
	v_lshrrev_b32_e32 v56, 3, v53
	v_sub_u32_e32 v39, 29, v57
	v_and_b32_e32 v38, 7, v38
	v_cmp_gt_u32_e32 vcc, 8, v53
	v_mov_b32_e32 v53, 24
	v_cndmask_b32_e32 v39, v56, v39, vcc
	v_cndmask_b32_e32 v38, v55, v38, vcc
	v_lshlrev_b32_sdwa v53, v53, v40 dst_sel:DWORD dst_unused:UNUSED_PAD src0_sel:DWORD src1_sel:WORD_1
	v_bfrev_b32_e32 v55, 60
	v_lshlrev_b32_e32 v38, 20, v38
	v_and_b32_e32 v53, 0x80000000, v53
	v_lshl_add_u32 v39, v39, 23, v55
	v_or3_b32 v39, v53, v39, v38
.LBB579_173:
	s_or_b64 exec, exec, s[10:11]
.LBB579_174:
	s_or_b64 exec, exec, s[8:9]
.LBB579_175:
	s_or_b64 exec, exec, s[2:3]
	s_mov_b32 s2, 0xffffff
	v_cmp_lt_u32_e32 vcc, s2, v40
	v_mov_b32_e32 v55, 0
	v_mov_b32_e32 v56, 0
	s_and_saveexec_b64 s[2:3], vcc
	s_cbranch_execz .LBB579_181
; %bb.176:
	v_lshrrev_b32_e32 v38, 24, v40
	s_movk_i32 s8, 0x80
	v_cmp_ne_u32_e32 vcc, s8, v38
	v_bfrev_b32_e32 v56, 1
	s_and_saveexec_b64 s[8:9], vcc
	s_cbranch_execz .LBB579_180
; %bb.177:
	v_bfe_u32 v40, v40, 24, 7
	s_movk_i32 s10, 0x7f
	v_cmp_ne_u32_e32 vcc, s10, v40
	v_mov_b32_e32 v56, 0x7f800001
	s_and_saveexec_b64 s[10:11], vcc
	s_cbranch_execz .LBB579_179
; %bb.178:
	v_and_b32_e32 v53, 7, v38
	v_ffbh_u32_e32 v56, v53
	v_min_u32_e32 v59, 32, v56
	v_subrev_u32_e32 v56, 28, v59
	v_lshlrev_b64 v[56:57], v56, v[38:39]
	v_lshrrev_b32_e32 v58, 3, v40
	v_sub_u32_e32 v57, 29, v59
	v_and_b32_e32 v56, 7, v56
	v_cmp_gt_u32_e32 vcc, 8, v40
	v_cndmask_b32_e32 v40, v58, v57, vcc
	v_cndmask_b32_e32 v53, v53, v56, vcc
	v_lshlrev_b32_e32 v38, 24, v38
	v_bfrev_b32_e32 v56, 60
	v_lshlrev_b32_e32 v53, 20, v53
	v_and_b32_e32 v38, 0x80000000, v38
	v_lshl_add_u32 v40, v40, 23, v56
	v_or3_b32 v56, v38, v40, v53
.LBB579_179:
	s_or_b64 exec, exec, s[10:11]
.LBB579_180:
	s_or_b64 exec, exec, s[8:9]
.LBB579_181:
	s_or_b64 exec, exec, s[2:3]
	v_cmp_ne_u16_sdwa s[8:9], v41, v55 src0_sel:BYTE_0 src1_sel:DWORD
	s_and_saveexec_b64 s[2:3], s[8:9]
	s_cbranch_execz .LBB579_187
; %bb.182:
	s_movk_i32 s8, 0x80
	v_cmp_ne_u16_sdwa s[10:11], v41, s8 src0_sel:BYTE_0 src1_sel:DWORD
	v_bfrev_b32_e32 v55, 1
	s_and_saveexec_b64 s[8:9], s[10:11]
	s_cbranch_execz .LBB579_186
; %bb.183:
	s_movk_i32 s10, 0x7f
	v_and_b32_e32 v38, 0x7f, v41
	v_cmp_ne_u32_e32 vcc, s10, v38
	v_mov_b32_e32 v55, 0x7f800001
	s_and_saveexec_b64 s[10:11], vcc
	s_cbranch_execz .LBB579_185
; %bb.184:
	v_and_b32_e32 v53, 7, v41
	v_ffbh_u32_e32 v57, v53
	v_min_u32_e32 v57, 32, v57
	v_mov_b32_e32 v40, v41
	v_subrev_u32_e32 v58, 28, v57
	v_lshlrev_b64 v[58:59], v58, v[40:41]
	v_lshrrev_b32_e32 v55, 3, v38
	v_sub_u32_e32 v40, 29, v57
	v_and_b32_e32 v57, 7, v58
	v_cmp_gt_u32_e32 vcc, 8, v38
	v_cndmask_b32_e32 v38, v55, v40, vcc
	v_cndmask_b32_e32 v40, v53, v57, vcc
	v_lshlrev_b32_e32 v53, 24, v41
	v_bfrev_b32_e32 v55, 60
	v_lshlrev_b32_e32 v40, 20, v40
	v_and_b32_e32 v53, 0x80000000, v53
	v_lshl_add_u32 v38, v38, 23, v55
	v_or3_b32 v55, v53, v38, v40
.LBB579_185:
	s_or_b64 exec, exec, s[10:11]
.LBB579_186:
	s_or_b64 exec, exec, s[8:9]
.LBB579_187:
	s_or_b64 exec, exec, s[2:3]
	v_lshrrev_b16_e32 v38, 8, v41
	v_cmp_ne_u16_e32 vcc, 0, v38
	v_mov_b32_e32 v40, 0
	v_mov_b32_e32 v57, 0
	s_and_saveexec_b64 s[2:3], vcc
	s_cbranch_execz .LBB579_193
; %bb.188:
	s_movk_i32 s8, 0x80
	v_cmp_ne_u16_e32 vcc, s8, v38
	v_bfrev_b32_e32 v57, 1
	s_and_saveexec_b64 s[8:9], vcc
	s_cbranch_execz .LBB579_192
; %bb.189:
	s_movk_i32 s10, 0x7f
	v_and_b32_e32 v53, 0x7f, v38
	v_cmp_ne_u32_e32 vcc, s10, v53
	v_mov_b32_e32 v57, 0x7f800001
	s_and_saveexec_b64 s[10:11], vcc
	s_cbranch_execz .LBB579_191
; %bb.190:
	v_and_b32_e32 v57, 7, v38
	v_ffbh_u32_e32 v58, v57
	v_min_u32_e32 v61, 32, v58
	v_subrev_u32_e32 v58, 28, v61
	v_lshlrev_b64 v[58:59], v58, v[38:39]
	v_lshrrev_b32_e32 v60, 3, v53
	v_sub_u32_e32 v38, 29, v61
	v_and_b32_e32 v58, 7, v58
	v_cmp_gt_u32_e32 vcc, 8, v53
	v_cndmask_b32_e32 v38, v60, v38, vcc
	v_cndmask_b32_e32 v53, v57, v58, vcc
	v_lshlrev_b32_e32 v57, 16, v41
	v_bfrev_b32_e32 v58, 60
	v_lshlrev_b32_e32 v53, 20, v53
	v_and_b32_e32 v57, 0x80000000, v57
	v_lshl_add_u32 v38, v38, 23, v58
	v_or3_b32 v57, v57, v38, v53
.LBB579_191:
	s_or_b64 exec, exec, s[10:11]
.LBB579_192:
	s_or_b64 exec, exec, s[8:9]
.LBB579_193:
	s_or_b64 exec, exec, s[2:3]
	s_movk_i32 s2, 0xff
	v_and_b32_sdwa v53, v41, s2 dst_sel:DWORD dst_unused:UNUSED_PAD src0_sel:WORD_1 src1_sel:DWORD
	v_lshrrev_b32_e32 v38, 16, v41
	v_cmp_ne_u16_e32 vcc, 0, v53
	s_and_saveexec_b64 s[2:3], vcc
	s_cbranch_execz .LBB579_199
; %bb.194:
	s_movk_i32 s8, 0x80
	v_cmp_ne_u16_e32 vcc, s8, v53
	v_bfrev_b32_e32 v40, 1
	s_and_saveexec_b64 s[8:9], vcc
	s_cbranch_execz .LBB579_198
; %bb.195:
	v_bfe_u32 v53, v41, 16, 7
	s_movk_i32 s10, 0x7f
	v_cmp_ne_u32_e32 vcc, s10, v53
	v_mov_b32_e32 v40, 0x7f800001
	s_and_saveexec_b64 s[10:11], vcc
	s_cbranch_execz .LBB579_197
; %bb.196:
	v_and_b32_e32 v40, 7, v38
	v_ffbh_u32_e32 v58, v40
	v_min_u32_e32 v61, 32, v58
	v_subrev_u32_e32 v58, 28, v61
	v_lshlrev_b64 v[58:59], v58, v[38:39]
	v_lshrrev_b32_e32 v60, 3, v53
	v_sub_u32_e32 v38, 29, v61
	v_and_b32_e32 v58, 7, v58
	v_cmp_gt_u32_e32 vcc, 8, v53
	v_mov_b32_e32 v53, 24
	v_cndmask_b32_e32 v38, v60, v38, vcc
	v_cndmask_b32_e32 v40, v40, v58, vcc
	v_lshlrev_b32_sdwa v53, v53, v41 dst_sel:DWORD dst_unused:UNUSED_PAD src0_sel:DWORD src1_sel:WORD_1
	v_bfrev_b32_e32 v58, 60
	v_lshlrev_b32_e32 v40, 20, v40
	v_and_b32_e32 v53, 0x80000000, v53
	v_lshl_add_u32 v38, v38, 23, v58
	v_or3_b32 v40, v53, v38, v40
.LBB579_197:
	s_or_b64 exec, exec, s[10:11]
.LBB579_198:
	s_or_b64 exec, exec, s[8:9]
.LBB579_199:
	s_or_b64 exec, exec, s[2:3]
	s_mov_b32 s2, 0xffffff
	v_cmp_lt_u32_e32 vcc, s2, v41
	v_mov_b32_e32 v53, 0
	v_mov_b32_e32 v58, 0
	s_and_saveexec_b64 s[2:3], vcc
	s_cbranch_execz .LBB579_205
; %bb.200:
	v_lshrrev_b32_e32 v38, 24, v41
	s_movk_i32 s8, 0x80
	v_cmp_ne_u32_e32 vcc, s8, v38
	v_bfrev_b32_e32 v58, 1
	s_and_saveexec_b64 s[8:9], vcc
	s_cbranch_execz .LBB579_204
; %bb.201:
	v_bfe_u32 v41, v41, 24, 7
	s_movk_i32 s10, 0x7f
	v_cmp_ne_u32_e32 vcc, s10, v41
	v_mov_b32_e32 v58, 0x7f800001
	s_and_saveexec_b64 s[10:11], vcc
	s_cbranch_execz .LBB579_203
; %bb.202:
	v_and_b32_e32 v60, 7, v38
	v_ffbh_u32_e32 v58, v60
	v_min_u32_e32 v62, 32, v58
	v_subrev_u32_e32 v58, 28, v62
	v_lshlrev_b64 v[58:59], v58, v[38:39]
	v_lshrrev_b32_e32 v61, 3, v41
	v_sub_u32_e32 v59, 29, v62
	v_and_b32_e32 v58, 7, v58
	v_cmp_gt_u32_e32 vcc, 8, v41
	v_cndmask_b32_e32 v41, v61, v59, vcc
	v_cndmask_b32_e32 v58, v60, v58, vcc
	v_lshlrev_b32_e32 v38, 24, v38
	v_bfrev_b32_e32 v59, 60
	v_lshlrev_b32_e32 v58, 20, v58
	v_and_b32_e32 v38, 0x80000000, v38
	v_lshl_add_u32 v41, v41, 23, v59
	v_or3_b32 v58, v38, v41, v58
.LBB579_203:
	s_or_b64 exec, exec, s[10:11]
.LBB579_204:
	s_or_b64 exec, exec, s[8:9]
.LBB579_205:
	s_or_b64 exec, exec, s[2:3]
	v_cvt_pkrtz_f16_f32 v38, v52, v54
	v_cvt_pkrtz_f16_f32 v39, v39, v56
	v_cmp_ne_u16_sdwa s[8:9], v30, v53 src0_sel:BYTE_0 src1_sel:DWORD
	s_nop 0
	v_mfma_f32_16x16x16f16 v[42:45], v[38:39], v[18:19], v[42:45]
	v_cvt_pkrtz_f16_f32 v38, v55, v57
	v_cvt_pkrtz_f16_f32 v39, v40, v58
	s_nop 1
	v_mfma_f32_16x16x16f16 v[38:41], v[38:39], v[20:21], v[42:45]
	s_and_saveexec_b64 s[2:3], s[8:9]
	s_cbranch_execz .LBB579_211
; %bb.206:
	s_movk_i32 s8, 0x80
	v_cmp_ne_u16_sdwa s[10:11], v30, s8 src0_sel:BYTE_0 src1_sel:DWORD
	v_bfrev_b32_e32 v53, 1
	s_and_saveexec_b64 s[8:9], s[10:11]
	s_cbranch_execz .LBB579_210
; %bb.207:
	s_movk_i32 s10, 0x7f
	v_and_b32_e32 v42, 0x7f, v30
	v_cmp_ne_u32_e32 vcc, s10, v42
	v_mov_b32_e32 v53, 0x7f800001
	s_and_saveexec_b64 s[10:11], vcc
	s_cbranch_execz .LBB579_209
; %bb.208:
	v_and_b32_e32 v43, 7, v30
	v_ffbh_u32_e32 v44, v43
	v_min_u32_e32 v53, 32, v44
	v_subrev_u32_e32 v44, 28, v53
	v_lshlrev_b64 v[44:45], v44, v[30:31]
	v_lshrrev_b32_e32 v52, 3, v42
	v_sub_u32_e32 v45, 29, v53
	v_and_b32_e32 v44, 7, v44
	v_cmp_gt_u32_e32 vcc, 8, v42
	v_cndmask_b32_e32 v42, v52, v45, vcc
	v_cndmask_b32_e32 v43, v43, v44, vcc
	v_lshlrev_b32_e32 v44, 24, v30
	v_bfrev_b32_e32 v45, 60
	v_lshlrev_b32_e32 v43, 20, v43
	v_and_b32_e32 v44, 0x80000000, v44
	v_lshl_add_u32 v42, v42, 23, v45
	v_or3_b32 v53, v44, v42, v43
.LBB579_209:
	s_or_b64 exec, exec, s[10:11]
.LBB579_210:
	s_or_b64 exec, exec, s[8:9]
.LBB579_211:
	s_or_b64 exec, exec, s[2:3]
	s_nop 3
	v_lshrrev_b16_e32 v42, 8, v30
	v_cmp_ne_u16_e32 vcc, 0, v42
	v_mov_b32_e32 v43, 0
	v_mov_b32_e32 v44, 0
	s_and_saveexec_b64 s[2:3], vcc
	s_cbranch_execz .LBB579_217
; %bb.212:
	s_movk_i32 s8, 0x80
	v_cmp_ne_u16_e32 vcc, s8, v42
	v_bfrev_b32_e32 v44, 1
	s_and_saveexec_b64 s[8:9], vcc
	s_cbranch_execz .LBB579_216
; %bb.213:
	s_movk_i32 s10, 0x7f
	v_and_b32_e32 v45, 0x7f, v42
	v_cmp_ne_u32_e32 vcc, s10, v45
	v_mov_b32_e32 v44, 0x7f800001
	s_and_saveexec_b64 s[10:11], vcc
	s_cbranch_execz .LBB579_215
; %bb.214:
	v_and_b32_e32 v44, 7, v42
	v_ffbh_u32_e32 v54, v44
	v_min_u32_e32 v56, 32, v54
	v_subrev_u32_e32 v54, 28, v56
	v_lshlrev_b64 v[54:55], v54, v[42:43]
	v_lshrrev_b32_e32 v52, 3, v45
	v_sub_u32_e32 v42, 29, v56
	v_and_b32_e32 v54, 7, v54
	v_cmp_gt_u32_e32 vcc, 8, v45
	v_cndmask_b32_e32 v42, v52, v42, vcc
	v_cndmask_b32_e32 v44, v44, v54, vcc
	v_lshlrev_b32_e32 v45, 16, v30
	v_bfrev_b32_e32 v52, 60
	v_lshlrev_b32_e32 v44, 20, v44
	v_and_b32_e32 v45, 0x80000000, v45
	v_lshl_add_u32 v42, v42, 23, v52
	v_or3_b32 v44, v45, v42, v44
.LBB579_215:
	s_or_b64 exec, exec, s[10:11]
.LBB579_216:
	s_or_b64 exec, exec, s[8:9]
.LBB579_217:
	s_or_b64 exec, exec, s[2:3]
	s_movk_i32 s2, 0xff
	v_and_b32_sdwa v45, v30, s2 dst_sel:DWORD dst_unused:UNUSED_PAD src0_sel:WORD_1 src1_sel:DWORD
	v_lshrrev_b32_e32 v42, 16, v30
	v_cmp_ne_u16_e32 vcc, 0, v45
	s_and_saveexec_b64 s[2:3], vcc
	s_cbranch_execz .LBB579_223
; %bb.218:
	s_movk_i32 s8, 0x80
	v_cmp_ne_u16_e32 vcc, s8, v45
	v_bfrev_b32_e32 v43, 1
	s_and_saveexec_b64 s[8:9], vcc
	s_cbranch_execz .LBB579_222
; %bb.219:
	v_bfe_u32 v45, v30, 16, 7
	s_movk_i32 s10, 0x7f
	v_cmp_ne_u32_e32 vcc, s10, v45
	v_mov_b32_e32 v43, 0x7f800001
	s_and_saveexec_b64 s[10:11], vcc
	s_cbranch_execz .LBB579_221
; %bb.220:
	v_and_b32_e32 v52, 7, v42
	v_ffbh_u32_e32 v43, v52
	v_min_u32_e32 v55, 32, v43
	v_subrev_u32_e32 v43, 28, v55
	v_lshlrev_b64 v[42:43], v43, v[42:43]
	v_lshrrev_b32_e32 v54, 3, v45
	v_sub_u32_e32 v43, 29, v55
	v_and_b32_e32 v42, 7, v42
	v_cmp_gt_u32_e32 vcc, 8, v45
	v_mov_b32_e32 v45, 24
	v_cndmask_b32_e32 v43, v54, v43, vcc
	v_cndmask_b32_e32 v42, v52, v42, vcc
	v_lshlrev_b32_sdwa v45, v45, v30 dst_sel:DWORD dst_unused:UNUSED_PAD src0_sel:DWORD src1_sel:WORD_1
	v_bfrev_b32_e32 v52, 60
	v_lshlrev_b32_e32 v42, 20, v42
	v_and_b32_e32 v45, 0x80000000, v45
	v_lshl_add_u32 v43, v43, 23, v52
	v_or3_b32 v43, v45, v43, v42
.LBB579_221:
	s_or_b64 exec, exec, s[10:11]
.LBB579_222:
	s_or_b64 exec, exec, s[8:9]
.LBB579_223:
	s_or_b64 exec, exec, s[2:3]
	s_mov_b32 s2, 0xffffff
	v_cmp_lt_u32_e32 vcc, s2, v30
	v_mov_b32_e32 v45, 0
	v_mov_b32_e32 v54, 0
	s_and_saveexec_b64 s[2:3], vcc
	s_cbranch_execz .LBB579_229
; %bb.224:
	v_lshrrev_b32_e32 v42, 24, v30
	s_movk_i32 s8, 0x80
	v_cmp_ne_u32_e32 vcc, s8, v42
	v_bfrev_b32_e32 v54, 1
	s_and_saveexec_b64 s[8:9], vcc
	s_cbranch_execz .LBB579_228
; %bb.225:
	v_bfe_u32 v30, v30, 24, 7
	s_movk_i32 s10, 0x7f
	v_cmp_ne_u32_e32 vcc, s10, v30
	v_mov_b32_e32 v54, 0x7f800001
	s_and_saveexec_b64 s[10:11], vcc
	s_cbranch_execz .LBB579_227
; %bb.226:
	v_and_b32_e32 v52, 7, v42
	v_ffbh_u32_e32 v54, v52
	v_min_u32_e32 v57, 32, v54
	v_subrev_u32_e32 v54, 28, v57
	v_lshlrev_b64 v[54:55], v54, v[42:43]
	v_lshrrev_b32_e32 v56, 3, v30
	v_sub_u32_e32 v55, 29, v57
	v_and_b32_e32 v54, 7, v54
	v_cmp_gt_u32_e32 vcc, 8, v30
	v_cndmask_b32_e32 v30, v56, v55, vcc
	v_cndmask_b32_e32 v52, v52, v54, vcc
	v_lshlrev_b32_e32 v42, 24, v42
	v_bfrev_b32_e32 v54, 60
	v_lshlrev_b32_e32 v52, 20, v52
	v_and_b32_e32 v42, 0x80000000, v42
	v_lshl_add_u32 v30, v30, 23, v54
	v_or3_b32 v54, v42, v30, v52
.LBB579_227:
	s_or_b64 exec, exec, s[10:11]
.LBB579_228:
	s_or_b64 exec, exec, s[8:9]
.LBB579_229:
	s_or_b64 exec, exec, s[2:3]
	v_cmp_ne_u16_sdwa s[8:9], v31, v45 src0_sel:BYTE_0 src1_sel:DWORD
	s_and_saveexec_b64 s[2:3], s[8:9]
	s_cbranch_execz .LBB579_235
; %bb.230:
	s_movk_i32 s8, 0x80
	v_cmp_ne_u16_sdwa s[10:11], v31, s8 src0_sel:BYTE_0 src1_sel:DWORD
	v_bfrev_b32_e32 v45, 1
	s_and_saveexec_b64 s[8:9], s[10:11]
	s_cbranch_execz .LBB579_234
; %bb.231:
	s_movk_i32 s10, 0x7f
	v_and_b32_e32 v30, 0x7f, v31
	v_cmp_ne_u32_e32 vcc, s10, v30
	v_mov_b32_e32 v45, 0x7f800001
	s_and_saveexec_b64 s[10:11], vcc
	s_cbranch_execz .LBB579_233
; %bb.232:
	v_and_b32_e32 v45, 7, v31
	v_ffbh_u32_e32 v55, v45
	v_min_u32_e32 v55, 32, v55
	v_mov_b32_e32 v42, v31
	v_subrev_u32_e32 v56, 28, v55
	v_lshlrev_b64 v[56:57], v56, v[42:43]
	v_lshrrev_b32_e32 v52, 3, v30
	v_sub_u32_e32 v42, 29, v55
	v_and_b32_e32 v55, 7, v56
	v_cmp_gt_u32_e32 vcc, 8, v30
	v_cndmask_b32_e32 v30, v52, v42, vcc
	v_cndmask_b32_e32 v42, v45, v55, vcc
	v_lshlrev_b32_e32 v45, 24, v31
	v_bfrev_b32_e32 v52, 60
	v_lshlrev_b32_e32 v42, 20, v42
	v_and_b32_e32 v45, 0x80000000, v45
	v_lshl_add_u32 v30, v30, 23, v52
	v_or3_b32 v45, v45, v30, v42
.LBB579_233:
	s_or_b64 exec, exec, s[10:11]
.LBB579_234:
	s_or_b64 exec, exec, s[8:9]
.LBB579_235:
	s_or_b64 exec, exec, s[2:3]
	v_lshrrev_b16_e32 v30, 8, v31
	v_cmp_ne_u16_e32 vcc, 0, v30
	v_mov_b32_e32 v42, 0
	v_mov_b32_e32 v55, 0
	s_and_saveexec_b64 s[2:3], vcc
	s_cbranch_execz .LBB579_241
; %bb.236:
	s_movk_i32 s8, 0x80
	v_cmp_ne_u16_e32 vcc, s8, v30
	v_bfrev_b32_e32 v55, 1
	s_and_saveexec_b64 s[8:9], vcc
	s_cbranch_execz .LBB579_240
; %bb.237:
	s_movk_i32 s10, 0x7f
	v_and_b32_e32 v52, 0x7f, v30
	v_cmp_ne_u32_e32 vcc, s10, v52
	v_mov_b32_e32 v55, 0x7f800001
	s_and_saveexec_b64 s[10:11], vcc
	s_cbranch_execz .LBB579_239
; %bb.238:
	v_and_b32_e32 v55, 7, v30
	v_ffbh_u32_e32 v56, v55
	v_min_u32_e32 v59, 32, v56
	v_subrev_u32_e32 v56, 28, v59
	v_lshlrev_b64 v[56:57], v56, v[30:31]
	v_lshrrev_b32_e32 v58, 3, v52
	v_sub_u32_e32 v30, 29, v59
	v_and_b32_e32 v56, 7, v56
	v_cmp_gt_u32_e32 vcc, 8, v52
	v_cndmask_b32_e32 v30, v58, v30, vcc
	v_cndmask_b32_e32 v52, v55, v56, vcc
	v_lshlrev_b32_e32 v55, 16, v31
	v_bfrev_b32_e32 v56, 60
	v_lshlrev_b32_e32 v52, 20, v52
	v_and_b32_e32 v55, 0x80000000, v55
	v_lshl_add_u32 v30, v30, 23, v56
	v_or3_b32 v55, v55, v30, v52
.LBB579_239:
	s_or_b64 exec, exec, s[10:11]
.LBB579_240:
	s_or_b64 exec, exec, s[8:9]
.LBB579_241:
	s_or_b64 exec, exec, s[2:3]
	s_movk_i32 s2, 0xff
	v_and_b32_sdwa v52, v31, s2 dst_sel:DWORD dst_unused:UNUSED_PAD src0_sel:WORD_1 src1_sel:DWORD
	v_lshrrev_b32_e32 v30, 16, v31
	v_cmp_ne_u16_e32 vcc, 0, v52
	s_and_saveexec_b64 s[2:3], vcc
	s_cbranch_execz .LBB579_247
; %bb.242:
	s_movk_i32 s8, 0x80
	v_cmp_ne_u16_e32 vcc, s8, v52
	v_bfrev_b32_e32 v42, 1
	s_and_saveexec_b64 s[8:9], vcc
	s_cbranch_execz .LBB579_246
; %bb.243:
	v_bfe_u32 v52, v31, 16, 7
	s_movk_i32 s10, 0x7f
	v_cmp_ne_u32_e32 vcc, s10, v52
	v_mov_b32_e32 v42, 0x7f800001
	s_and_saveexec_b64 s[10:11], vcc
	s_cbranch_execz .LBB579_245
; %bb.244:
	v_and_b32_e32 v42, 7, v30
	v_ffbh_u32_e32 v56, v42
	v_min_u32_e32 v59, 32, v56
	v_subrev_u32_e32 v56, 28, v59
	v_lshlrev_b64 v[56:57], v56, v[30:31]
	v_lshrrev_b32_e32 v58, 3, v52
	v_sub_u32_e32 v30, 29, v59
	v_and_b32_e32 v56, 7, v56
	v_cmp_gt_u32_e32 vcc, 8, v52
	v_mov_b32_e32 v52, 24
	v_cndmask_b32_e32 v30, v58, v30, vcc
	v_cndmask_b32_e32 v42, v42, v56, vcc
	v_lshlrev_b32_sdwa v52, v52, v31 dst_sel:DWORD dst_unused:UNUSED_PAD src0_sel:DWORD src1_sel:WORD_1
	v_bfrev_b32_e32 v56, 60
	v_lshlrev_b32_e32 v42, 20, v42
	v_and_b32_e32 v52, 0x80000000, v52
	v_lshl_add_u32 v30, v30, 23, v56
	v_or3_b32 v42, v52, v30, v42
.LBB579_245:
	s_or_b64 exec, exec, s[10:11]
.LBB579_246:
	s_or_b64 exec, exec, s[8:9]
.LBB579_247:
	s_or_b64 exec, exec, s[2:3]
	s_mov_b32 s2, 0xffffff
	v_cmp_lt_u32_e32 vcc, s2, v31
	v_mov_b32_e32 v52, 0
	v_mov_b32_e32 v56, 0
	s_and_saveexec_b64 s[2:3], vcc
	s_cbranch_execz .LBB579_253
; %bb.248:
	v_lshrrev_b32_e32 v30, 24, v31
	s_movk_i32 s8, 0x80
	v_cmp_ne_u32_e32 vcc, s8, v30
	v_bfrev_b32_e32 v56, 1
	s_and_saveexec_b64 s[8:9], vcc
	s_cbranch_execz .LBB579_252
; %bb.249:
	v_bfe_u32 v31, v31, 24, 7
	s_movk_i32 s10, 0x7f
	v_cmp_ne_u32_e32 vcc, s10, v31
	v_mov_b32_e32 v56, 0x7f800001
	s_and_saveexec_b64 s[10:11], vcc
	s_cbranch_execz .LBB579_251
; %bb.250:
	v_and_b32_e32 v58, 7, v30
	v_ffbh_u32_e32 v56, v58
	v_min_u32_e32 v60, 32, v56
	v_subrev_u32_e32 v56, 28, v60
	v_lshlrev_b64 v[56:57], v56, v[30:31]
	v_lshrrev_b32_e32 v59, 3, v31
	v_sub_u32_e32 v57, 29, v60
	v_and_b32_e32 v56, 7, v56
	v_cmp_gt_u32_e32 vcc, 8, v31
	v_cndmask_b32_e32 v31, v59, v57, vcc
	v_cndmask_b32_e32 v56, v58, v56, vcc
	v_lshlrev_b32_e32 v30, 24, v30
	v_bfrev_b32_e32 v57, 60
	v_lshlrev_b32_e32 v56, 20, v56
	v_and_b32_e32 v30, 0x80000000, v30
	v_lshl_add_u32 v31, v31, 23, v57
	v_or3_b32 v56, v30, v31, v56
.LBB579_251:
	s_or_b64 exec, exec, s[10:11]
.LBB579_252:
	s_or_b64 exec, exec, s[8:9]
.LBB579_253:
	s_or_b64 exec, exec, s[2:3]
	v_cvt_pkrtz_f16_f32 v30, v53, v44
	v_cvt_pkrtz_f16_f32 v31, v43, v54
	v_cmp_ne_u16_sdwa s[8:9], v32, v52 src0_sel:BYTE_0 src1_sel:DWORD
	s_nop 0
	v_mfma_f32_16x16x16f16 v[58:61], v[30:31], v[26:27], 0
	v_cvt_pkrtz_f16_f32 v30, v45, v55
	v_cvt_pkrtz_f16_f32 v31, v42, v56
	s_nop 1
	v_mfma_f32_16x16x16f16 v[42:45], v[30:31], v[28:29], v[58:61]
	s_and_saveexec_b64 s[2:3], s[8:9]
	s_cbranch_execz .LBB579_259
; %bb.254:
	s_movk_i32 s8, 0x80
	v_cmp_ne_u16_sdwa s[10:11], v32, s8 src0_sel:BYTE_0 src1_sel:DWORD
	v_bfrev_b32_e32 v52, 1
	s_and_saveexec_b64 s[8:9], s[10:11]
	s_cbranch_execz .LBB579_258
; %bb.255:
	s_movk_i32 s10, 0x7f
	v_and_b32_e32 v30, 0x7f, v32
	v_cmp_ne_u32_e32 vcc, s10, v30
	v_mov_b32_e32 v52, 0x7f800001
	s_and_saveexec_b64 s[10:11], vcc
	s_cbranch_execz .LBB579_257
; %bb.256:
	v_and_b32_e32 v31, 7, v32
	v_ffbh_u32_e32 v52, v31
	v_min_u32_e32 v55, 32, v52
	v_subrev_u32_e32 v52, 28, v55
	v_lshlrev_b64 v[52:53], v52, v[32:33]
	v_lshrrev_b32_e32 v54, 3, v30
	v_sub_u32_e32 v53, 29, v55
	v_and_b32_e32 v52, 7, v52
	v_cmp_gt_u32_e32 vcc, 8, v30
	v_cndmask_b32_e32 v30, v54, v53, vcc
	v_cndmask_b32_e32 v31, v31, v52, vcc
	v_lshlrev_b32_e32 v52, 24, v32
	v_bfrev_b32_e32 v53, 60
	v_lshlrev_b32_e32 v31, 20, v31
	v_and_b32_e32 v52, 0x80000000, v52
	v_lshl_add_u32 v30, v30, 23, v53
	v_or3_b32 v52, v52, v30, v31
.LBB579_257:
	s_or_b64 exec, exec, s[10:11]
.LBB579_258:
	s_or_b64 exec, exec, s[8:9]
.LBB579_259:
	s_or_b64 exec, exec, s[2:3]
	v_lshrrev_b16_e32 v30, 8, v32
	v_cmp_ne_u16_e32 vcc, 0, v30
	v_mov_b32_e32 v31, 0
	v_mov_b32_e32 v54, 0
	s_and_saveexec_b64 s[2:3], vcc
	s_cbranch_execz .LBB579_265
; %bb.260:
	s_movk_i32 s8, 0x80
	v_cmp_ne_u16_e32 vcc, s8, v30
	v_bfrev_b32_e32 v54, 1
	s_and_saveexec_b64 s[8:9], vcc
	s_cbranch_execz .LBB579_264
; %bb.261:
	s_movk_i32 s10, 0x7f
	v_and_b32_e32 v53, 0x7f, v30
	v_cmp_ne_u32_e32 vcc, s10, v53
	v_mov_b32_e32 v54, 0x7f800001
	s_and_saveexec_b64 s[10:11], vcc
	s_cbranch_execz .LBB579_263
; %bb.262:
	v_and_b32_e32 v56, 7, v30
	v_ffbh_u32_e32 v54, v56
	v_min_u32_e32 v58, 32, v54
	v_subrev_u32_e32 v54, 28, v58
	v_lshlrev_b64 v[54:55], v54, v[30:31]
	v_lshrrev_b32_e32 v57, 3, v53
	v_sub_u32_e32 v30, 29, v58
	v_and_b32_e32 v54, 7, v54
	v_cmp_gt_u32_e32 vcc, 8, v53
	v_cndmask_b32_e32 v30, v57, v30, vcc
	v_cndmask_b32_e32 v53, v56, v54, vcc
	v_lshlrev_b32_e32 v54, 16, v32
	v_bfrev_b32_e32 v55, 60
	v_lshlrev_b32_e32 v53, 20, v53
	v_and_b32_e32 v54, 0x80000000, v54
	v_lshl_add_u32 v30, v30, 23, v55
	v_or3_b32 v54, v54, v30, v53
.LBB579_263:
	s_or_b64 exec, exec, s[10:11]
.LBB579_264:
	s_or_b64 exec, exec, s[8:9]
.LBB579_265:
	s_or_b64 exec, exec, s[2:3]
	s_movk_i32 s2, 0xff
	v_and_b32_sdwa v53, v32, s2 dst_sel:DWORD dst_unused:UNUSED_PAD src0_sel:WORD_1 src1_sel:DWORD
	v_lshrrev_b32_e32 v30, 16, v32
	v_cmp_ne_u16_e32 vcc, 0, v53
	s_and_saveexec_b64 s[2:3], vcc
	s_cbranch_execz .LBB579_271
; %bb.266:
	s_movk_i32 s8, 0x80
	v_cmp_ne_u16_e32 vcc, s8, v53
	v_bfrev_b32_e32 v31, 1
	s_and_saveexec_b64 s[8:9], vcc
	s_cbranch_execz .LBB579_270
; %bb.267:
	v_bfe_u32 v53, v32, 16, 7
	s_movk_i32 s10, 0x7f
	v_cmp_ne_u32_e32 vcc, s10, v53
	v_mov_b32_e32 v31, 0x7f800001
	s_and_saveexec_b64 s[10:11], vcc
	s_cbranch_execz .LBB579_269
; %bb.268:
	v_and_b32_e32 v55, 7, v30
	v_ffbh_u32_e32 v31, v55
	v_min_u32_e32 v57, 32, v31
	v_subrev_u32_e32 v31, 28, v57
	v_lshlrev_b64 v[30:31], v31, v[30:31]
	v_lshrrev_b32_e32 v56, 3, v53
	v_sub_u32_e32 v31, 29, v57
	v_and_b32_e32 v30, 7, v30
	v_cmp_gt_u32_e32 vcc, 8, v53
	v_mov_b32_e32 v53, 24
	v_cndmask_b32_e32 v31, v56, v31, vcc
	v_cndmask_b32_e32 v30, v55, v30, vcc
	v_lshlrev_b32_sdwa v53, v53, v32 dst_sel:DWORD dst_unused:UNUSED_PAD src0_sel:DWORD src1_sel:WORD_1
	v_bfrev_b32_e32 v55, 60
	v_lshlrev_b32_e32 v30, 20, v30
	v_and_b32_e32 v53, 0x80000000, v53
	v_lshl_add_u32 v31, v31, 23, v55
	v_or3_b32 v31, v53, v31, v30
.LBB579_269:
	s_or_b64 exec, exec, s[10:11]
.LBB579_270:
	s_or_b64 exec, exec, s[8:9]
.LBB579_271:
	s_or_b64 exec, exec, s[2:3]
	s_mov_b32 s2, 0xffffff
	v_cmp_lt_u32_e32 vcc, s2, v32
	v_mov_b32_e32 v55, 0
	v_mov_b32_e32 v56, 0
	s_and_saveexec_b64 s[2:3], vcc
	s_cbranch_execz .LBB579_277
; %bb.272:
	v_lshrrev_b32_e32 v30, 24, v32
	s_movk_i32 s8, 0x80
	v_cmp_ne_u32_e32 vcc, s8, v30
	v_bfrev_b32_e32 v56, 1
	s_and_saveexec_b64 s[8:9], vcc
	s_cbranch_execz .LBB579_276
; %bb.273:
	v_bfe_u32 v32, v32, 24, 7
	s_movk_i32 s10, 0x7f
	v_cmp_ne_u32_e32 vcc, s10, v32
	v_mov_b32_e32 v56, 0x7f800001
	s_and_saveexec_b64 s[10:11], vcc
	s_cbranch_execz .LBB579_275
; %bb.274:
	v_and_b32_e32 v53, 7, v30
	v_ffbh_u32_e32 v56, v53
	v_min_u32_e32 v59, 32, v56
	v_subrev_u32_e32 v56, 28, v59
	v_lshlrev_b64 v[56:57], v56, v[30:31]
	v_lshrrev_b32_e32 v58, 3, v32
	v_sub_u32_e32 v57, 29, v59
	v_and_b32_e32 v56, 7, v56
	v_cmp_gt_u32_e32 vcc, 8, v32
	v_cndmask_b32_e32 v32, v58, v57, vcc
	v_cndmask_b32_e32 v53, v53, v56, vcc
	v_lshlrev_b32_e32 v30, 24, v30
	v_bfrev_b32_e32 v56, 60
	v_lshlrev_b32_e32 v53, 20, v53
	v_and_b32_e32 v30, 0x80000000, v30
	v_lshl_add_u32 v32, v32, 23, v56
	v_or3_b32 v56, v30, v32, v53
.LBB579_275:
	s_or_b64 exec, exec, s[10:11]
.LBB579_276:
	s_or_b64 exec, exec, s[8:9]
.LBB579_277:
	s_or_b64 exec, exec, s[2:3]
	v_cmp_ne_u16_sdwa s[8:9], v33, v55 src0_sel:BYTE_0 src1_sel:DWORD
	s_and_saveexec_b64 s[2:3], s[8:9]
	s_cbranch_execz .LBB579_283
; %bb.278:
	s_movk_i32 s8, 0x80
	v_cmp_ne_u16_sdwa s[10:11], v33, s8 src0_sel:BYTE_0 src1_sel:DWORD
	v_bfrev_b32_e32 v55, 1
	s_and_saveexec_b64 s[8:9], s[10:11]
	s_cbranch_execz .LBB579_282
; %bb.279:
	s_movk_i32 s10, 0x7f
	v_and_b32_e32 v30, 0x7f, v33
	v_cmp_ne_u32_e32 vcc, s10, v30
	v_mov_b32_e32 v55, 0x7f800001
	s_and_saveexec_b64 s[10:11], vcc
	s_cbranch_execz .LBB579_281
; %bb.280:
	v_and_b32_e32 v53, 7, v33
	v_ffbh_u32_e32 v57, v53
	v_min_u32_e32 v57, 32, v57
	v_mov_b32_e32 v32, v33
	v_subrev_u32_e32 v58, 28, v57
	v_lshlrev_b64 v[58:59], v58, v[32:33]
	v_lshrrev_b32_e32 v55, 3, v30
	v_sub_u32_e32 v32, 29, v57
	v_and_b32_e32 v57, 7, v58
	v_cmp_gt_u32_e32 vcc, 8, v30
	v_cndmask_b32_e32 v30, v55, v32, vcc
	v_cndmask_b32_e32 v32, v53, v57, vcc
	v_lshlrev_b32_e32 v53, 24, v33
	v_bfrev_b32_e32 v55, 60
	v_lshlrev_b32_e32 v32, 20, v32
	v_and_b32_e32 v53, 0x80000000, v53
	v_lshl_add_u32 v30, v30, 23, v55
	v_or3_b32 v55, v53, v30, v32
.LBB579_281:
	s_or_b64 exec, exec, s[10:11]
.LBB579_282:
	s_or_b64 exec, exec, s[8:9]
.LBB579_283:
	s_or_b64 exec, exec, s[2:3]
	v_lshrrev_b16_e32 v30, 8, v33
	v_cmp_ne_u16_e32 vcc, 0, v30
	v_mov_b32_e32 v32, 0
	v_mov_b32_e32 v57, 0
	s_and_saveexec_b64 s[2:3], vcc
	s_cbranch_execz .LBB579_289
; %bb.284:
	s_movk_i32 s8, 0x80
	v_cmp_ne_u16_e32 vcc, s8, v30
	v_bfrev_b32_e32 v57, 1
	s_and_saveexec_b64 s[8:9], vcc
	s_cbranch_execz .LBB579_288
; %bb.285:
	s_movk_i32 s10, 0x7f
	v_and_b32_e32 v53, 0x7f, v30
	v_cmp_ne_u32_e32 vcc, s10, v53
	v_mov_b32_e32 v57, 0x7f800001
	s_and_saveexec_b64 s[10:11], vcc
	s_cbranch_execz .LBB579_287
; %bb.286:
	v_and_b32_e32 v57, 7, v30
	v_ffbh_u32_e32 v58, v57
	v_min_u32_e32 v61, 32, v58
	v_subrev_u32_e32 v58, 28, v61
	v_lshlrev_b64 v[58:59], v58, v[30:31]
	v_lshrrev_b32_e32 v60, 3, v53
	v_sub_u32_e32 v30, 29, v61
	v_and_b32_e32 v58, 7, v58
	v_cmp_gt_u32_e32 vcc, 8, v53
	v_cndmask_b32_e32 v30, v60, v30, vcc
	v_cndmask_b32_e32 v53, v57, v58, vcc
	v_lshlrev_b32_e32 v57, 16, v33
	v_bfrev_b32_e32 v58, 60
	v_lshlrev_b32_e32 v53, 20, v53
	v_and_b32_e32 v57, 0x80000000, v57
	v_lshl_add_u32 v30, v30, 23, v58
	v_or3_b32 v57, v57, v30, v53
.LBB579_287:
	s_or_b64 exec, exec, s[10:11]
.LBB579_288:
	s_or_b64 exec, exec, s[8:9]
.LBB579_289:
	s_or_b64 exec, exec, s[2:3]
	s_movk_i32 s2, 0xff
	v_and_b32_sdwa v53, v33, s2 dst_sel:DWORD dst_unused:UNUSED_PAD src0_sel:WORD_1 src1_sel:DWORD
	v_lshrrev_b32_e32 v30, 16, v33
	v_cmp_ne_u16_e32 vcc, 0, v53
	s_and_saveexec_b64 s[2:3], vcc
	s_cbranch_execz .LBB579_295
; %bb.290:
	s_movk_i32 s8, 0x80
	v_cmp_ne_u16_e32 vcc, s8, v53
	v_bfrev_b32_e32 v32, 1
	s_and_saveexec_b64 s[8:9], vcc
	s_cbranch_execz .LBB579_294
; %bb.291:
	v_bfe_u32 v53, v33, 16, 7
	s_movk_i32 s10, 0x7f
	v_cmp_ne_u32_e32 vcc, s10, v53
	v_mov_b32_e32 v32, 0x7f800001
	s_and_saveexec_b64 s[10:11], vcc
	s_cbranch_execz .LBB579_293
; %bb.292:
	v_and_b32_e32 v32, 7, v30
	v_ffbh_u32_e32 v58, v32
	v_min_u32_e32 v61, 32, v58
	v_subrev_u32_e32 v58, 28, v61
	v_lshlrev_b64 v[58:59], v58, v[30:31]
	v_lshrrev_b32_e32 v60, 3, v53
	v_sub_u32_e32 v30, 29, v61
	v_and_b32_e32 v58, 7, v58
	v_cmp_gt_u32_e32 vcc, 8, v53
	v_mov_b32_e32 v53, 24
	v_cndmask_b32_e32 v30, v60, v30, vcc
	v_cndmask_b32_e32 v32, v32, v58, vcc
	v_lshlrev_b32_sdwa v53, v53, v33 dst_sel:DWORD dst_unused:UNUSED_PAD src0_sel:DWORD src1_sel:WORD_1
	v_bfrev_b32_e32 v58, 60
	v_lshlrev_b32_e32 v32, 20, v32
	v_and_b32_e32 v53, 0x80000000, v53
	v_lshl_add_u32 v30, v30, 23, v58
	v_or3_b32 v32, v53, v30, v32
.LBB579_293:
	s_or_b64 exec, exec, s[10:11]
.LBB579_294:
	s_or_b64 exec, exec, s[8:9]
.LBB579_295:
	s_or_b64 exec, exec, s[2:3]
	s_mov_b32 s2, 0xffffff
	v_cmp_lt_u32_e32 vcc, s2, v33
	v_mov_b32_e32 v53, 0
	v_mov_b32_e32 v58, 0
	s_and_saveexec_b64 s[2:3], vcc
	s_cbranch_execz .LBB579_301
; %bb.296:
	v_lshrrev_b32_e32 v30, 24, v33
	s_movk_i32 s8, 0x80
	v_cmp_ne_u32_e32 vcc, s8, v30
	v_bfrev_b32_e32 v58, 1
	s_and_saveexec_b64 s[8:9], vcc
	s_cbranch_execz .LBB579_300
; %bb.297:
	v_bfe_u32 v33, v33, 24, 7
	s_movk_i32 s10, 0x7f
	v_cmp_ne_u32_e32 vcc, s10, v33
	v_mov_b32_e32 v58, 0x7f800001
	s_and_saveexec_b64 s[10:11], vcc
	s_cbranch_execz .LBB579_299
; %bb.298:
	v_and_b32_e32 v60, 7, v30
	v_ffbh_u32_e32 v58, v60
	v_min_u32_e32 v62, 32, v58
	v_subrev_u32_e32 v58, 28, v62
	v_lshlrev_b64 v[58:59], v58, v[30:31]
	v_lshrrev_b32_e32 v61, 3, v33
	v_sub_u32_e32 v59, 29, v62
	v_and_b32_e32 v58, 7, v58
	v_cmp_gt_u32_e32 vcc, 8, v33
	v_cndmask_b32_e32 v33, v61, v59, vcc
	v_cndmask_b32_e32 v58, v60, v58, vcc
	v_lshlrev_b32_e32 v30, 24, v30
	v_bfrev_b32_e32 v59, 60
	v_lshlrev_b32_e32 v58, 20, v58
	v_and_b32_e32 v30, 0x80000000, v30
	v_lshl_add_u32 v33, v33, 23, v59
	v_or3_b32 v58, v30, v33, v58
.LBB579_299:
	s_or_b64 exec, exec, s[10:11]
.LBB579_300:
	s_or_b64 exec, exec, s[8:9]
.LBB579_301:
	s_or_b64 exec, exec, s[2:3]
	v_cvt_pkrtz_f16_f32 v30, v52, v54
	v_cvt_pkrtz_f16_f32 v31, v31, v56
	v_cmp_ne_u16_sdwa s[8:9], v22, v53 src0_sel:BYTE_0 src1_sel:DWORD
	s_nop 0
	v_mfma_f32_16x16x16f16 v[42:45], v[30:31], v[18:19], v[42:45]
	v_cvt_pkrtz_f16_f32 v30, v55, v57
	v_cvt_pkrtz_f16_f32 v31, v32, v58
	s_nop 1
	v_mfma_f32_16x16x16f16 v[30:33], v[30:31], v[20:21], v[42:45]
	s_and_saveexec_b64 s[2:3], s[8:9]
	s_cbranch_execz .LBB579_307
; %bb.302:
	s_movk_i32 s8, 0x80
	v_cmp_ne_u16_sdwa s[10:11], v22, s8 src0_sel:BYTE_0 src1_sel:DWORD
	v_bfrev_b32_e32 v53, 1
	s_and_saveexec_b64 s[8:9], s[10:11]
	s_cbranch_execz .LBB579_306
; %bb.303:
	s_movk_i32 s10, 0x7f
	v_and_b32_e32 v42, 0x7f, v22
	v_cmp_ne_u32_e32 vcc, s10, v42
	v_mov_b32_e32 v53, 0x7f800001
	s_and_saveexec_b64 s[10:11], vcc
	s_cbranch_execz .LBB579_305
; %bb.304:
	v_and_b32_e32 v43, 7, v22
	v_ffbh_u32_e32 v44, v43
	v_min_u32_e32 v53, 32, v44
	v_subrev_u32_e32 v44, 28, v53
	v_lshlrev_b64 v[44:45], v44, v[22:23]
	v_lshrrev_b32_e32 v52, 3, v42
	v_sub_u32_e32 v45, 29, v53
	v_and_b32_e32 v44, 7, v44
	v_cmp_gt_u32_e32 vcc, 8, v42
	v_cndmask_b32_e32 v42, v52, v45, vcc
	v_cndmask_b32_e32 v43, v43, v44, vcc
	v_lshlrev_b32_e32 v44, 24, v22
	v_bfrev_b32_e32 v45, 60
	v_lshlrev_b32_e32 v43, 20, v43
	v_and_b32_e32 v44, 0x80000000, v44
	v_lshl_add_u32 v42, v42, 23, v45
	v_or3_b32 v53, v44, v42, v43
.LBB579_305:
	s_or_b64 exec, exec, s[10:11]
.LBB579_306:
	s_or_b64 exec, exec, s[8:9]
.LBB579_307:
	s_or_b64 exec, exec, s[2:3]
	s_nop 3
	v_lshrrev_b16_e32 v42, 8, v22
	v_cmp_ne_u16_e32 vcc, 0, v42
	v_mov_b32_e32 v43, 0
	v_mov_b32_e32 v44, 0
	s_and_saveexec_b64 s[2:3], vcc
	s_cbranch_execz .LBB579_313
; %bb.308:
	s_movk_i32 s8, 0x80
	v_cmp_ne_u16_e32 vcc, s8, v42
	v_bfrev_b32_e32 v44, 1
	s_and_saveexec_b64 s[8:9], vcc
	s_cbranch_execz .LBB579_312
; %bb.309:
	s_movk_i32 s10, 0x7f
	v_and_b32_e32 v45, 0x7f, v42
	v_cmp_ne_u32_e32 vcc, s10, v45
	v_mov_b32_e32 v44, 0x7f800001
	s_and_saveexec_b64 s[10:11], vcc
	s_cbranch_execz .LBB579_311
; %bb.310:
	v_and_b32_e32 v44, 7, v42
	v_ffbh_u32_e32 v54, v44
	v_min_u32_e32 v56, 32, v54
	v_subrev_u32_e32 v54, 28, v56
	v_lshlrev_b64 v[54:55], v54, v[42:43]
	v_lshrrev_b32_e32 v52, 3, v45
	v_sub_u32_e32 v42, 29, v56
	v_and_b32_e32 v54, 7, v54
	v_cmp_gt_u32_e32 vcc, 8, v45
	v_cndmask_b32_e32 v42, v52, v42, vcc
	v_cndmask_b32_e32 v44, v44, v54, vcc
	v_lshlrev_b32_e32 v45, 16, v22
	v_bfrev_b32_e32 v52, 60
	v_lshlrev_b32_e32 v44, 20, v44
	v_and_b32_e32 v45, 0x80000000, v45
	v_lshl_add_u32 v42, v42, 23, v52
	v_or3_b32 v44, v45, v42, v44
.LBB579_311:
	s_or_b64 exec, exec, s[10:11]
.LBB579_312:
	s_or_b64 exec, exec, s[8:9]
.LBB579_313:
	s_or_b64 exec, exec, s[2:3]
	s_movk_i32 s2, 0xff
	v_and_b32_sdwa v45, v22, s2 dst_sel:DWORD dst_unused:UNUSED_PAD src0_sel:WORD_1 src1_sel:DWORD
	v_lshrrev_b32_e32 v42, 16, v22
	v_cmp_ne_u16_e32 vcc, 0, v45
	s_and_saveexec_b64 s[2:3], vcc
	s_cbranch_execz .LBB579_319
; %bb.314:
	s_movk_i32 s8, 0x80
	v_cmp_ne_u16_e32 vcc, s8, v45
	v_bfrev_b32_e32 v43, 1
	s_and_saveexec_b64 s[8:9], vcc
	s_cbranch_execz .LBB579_318
; %bb.315:
	v_bfe_u32 v45, v22, 16, 7
	s_movk_i32 s10, 0x7f
	v_cmp_ne_u32_e32 vcc, s10, v45
	v_mov_b32_e32 v43, 0x7f800001
	s_and_saveexec_b64 s[10:11], vcc
	s_cbranch_execz .LBB579_317
; %bb.316:
	v_and_b32_e32 v52, 7, v42
	v_ffbh_u32_e32 v43, v52
	v_min_u32_e32 v55, 32, v43
	v_subrev_u32_e32 v43, 28, v55
	v_lshlrev_b64 v[42:43], v43, v[42:43]
	v_lshrrev_b32_e32 v54, 3, v45
	v_sub_u32_e32 v43, 29, v55
	v_and_b32_e32 v42, 7, v42
	v_cmp_gt_u32_e32 vcc, 8, v45
	v_mov_b32_e32 v45, 24
	v_cndmask_b32_e32 v43, v54, v43, vcc
	v_cndmask_b32_e32 v42, v52, v42, vcc
	v_lshlrev_b32_sdwa v45, v45, v22 dst_sel:DWORD dst_unused:UNUSED_PAD src0_sel:DWORD src1_sel:WORD_1
	v_bfrev_b32_e32 v52, 60
	v_lshlrev_b32_e32 v42, 20, v42
	v_and_b32_e32 v45, 0x80000000, v45
	v_lshl_add_u32 v43, v43, 23, v52
	v_or3_b32 v43, v45, v43, v42
.LBB579_317:
	s_or_b64 exec, exec, s[10:11]
.LBB579_318:
	s_or_b64 exec, exec, s[8:9]
.LBB579_319:
	s_or_b64 exec, exec, s[2:3]
	s_mov_b32 s2, 0xffffff
	v_cmp_lt_u32_e32 vcc, s2, v22
	v_mov_b32_e32 v45, 0
	v_mov_b32_e32 v52, 0
	s_and_saveexec_b64 s[2:3], vcc
	s_cbranch_execz .LBB579_325
; %bb.320:
	v_lshrrev_b32_e32 v42, 24, v22
	s_movk_i32 s8, 0x80
	v_cmp_ne_u32_e32 vcc, s8, v42
	v_bfrev_b32_e32 v52, 1
	s_and_saveexec_b64 s[8:9], vcc
	s_cbranch_execz .LBB579_324
; %bb.321:
	v_bfe_u32 v22, v22, 24, 7
	s_movk_i32 s10, 0x7f
	v_cmp_ne_u32_e32 vcc, s10, v22
	v_mov_b32_e32 v52, 0x7f800001
	s_and_saveexec_b64 s[10:11], vcc
	s_cbranch_execz .LBB579_323
; %bb.322:
	v_and_b32_e32 v52, 7, v42
	v_ffbh_u32_e32 v54, v52
	v_min_u32_e32 v57, 32, v54
	v_subrev_u32_e32 v54, 28, v57
	v_lshlrev_b64 v[54:55], v54, v[42:43]
	v_lshrrev_b32_e32 v56, 3, v22
	v_sub_u32_e32 v55, 29, v57
	v_and_b32_e32 v54, 7, v54
	v_cmp_gt_u32_e32 vcc, 8, v22
	v_cndmask_b32_e32 v22, v56, v55, vcc
	v_cndmask_b32_e32 v52, v52, v54, vcc
	v_lshlrev_b32_e32 v42, 24, v42
	v_bfrev_b32_e32 v54, 60
	v_lshlrev_b32_e32 v52, 20, v52
	v_and_b32_e32 v42, 0x80000000, v42
	v_lshl_add_u32 v22, v22, 23, v54
	v_or3_b32 v52, v42, v22, v52
.LBB579_323:
	s_or_b64 exec, exec, s[10:11]
.LBB579_324:
	s_or_b64 exec, exec, s[8:9]
.LBB579_325:
	s_or_b64 exec, exec, s[2:3]
	v_cmp_ne_u16_sdwa s[8:9], v23, v45 src0_sel:BYTE_0 src1_sel:DWORD
	s_and_saveexec_b64 s[2:3], s[8:9]
	s_cbranch_execz .LBB579_331
; %bb.326:
	s_movk_i32 s8, 0x80
	v_cmp_ne_u16_sdwa s[10:11], v23, s8 src0_sel:BYTE_0 src1_sel:DWORD
	v_bfrev_b32_e32 v45, 1
	s_and_saveexec_b64 s[8:9], s[10:11]
	s_cbranch_execz .LBB579_330
; %bb.327:
	s_movk_i32 s10, 0x7f
	v_and_b32_e32 v22, 0x7f, v23
	v_cmp_ne_u32_e32 vcc, s10, v22
	v_mov_b32_e32 v45, 0x7f800001
	s_and_saveexec_b64 s[10:11], vcc
	s_cbranch_execz .LBB579_329
; %bb.328:
	v_and_b32_e32 v45, 7, v23
	v_ffbh_u32_e32 v54, v45
	v_min_u32_e32 v57, 32, v54
	v_mov_b32_e32 v42, v23
	v_subrev_u32_e32 v54, 28, v57
	v_lshlrev_b64 v[54:55], v54, v[42:43]
	v_lshrrev_b32_e32 v56, 3, v22
	v_sub_u32_e32 v42, 29, v57
	v_and_b32_e32 v54, 7, v54
	v_cmp_gt_u32_e32 vcc, 8, v22
	v_cndmask_b32_e32 v22, v56, v42, vcc
	v_cndmask_b32_e32 v42, v45, v54, vcc
	v_lshlrev_b32_e32 v45, 24, v23
	v_bfrev_b32_e32 v54, 60
	v_lshlrev_b32_e32 v42, 20, v42
	v_and_b32_e32 v45, 0x80000000, v45
	v_lshl_add_u32 v22, v22, 23, v54
	v_or3_b32 v45, v45, v22, v42
.LBB579_329:
	s_or_b64 exec, exec, s[10:11]
.LBB579_330:
	s_or_b64 exec, exec, s[8:9]
.LBB579_331:
	s_or_b64 exec, exec, s[2:3]
	v_lshrrev_b16_e32 v22, 8, v23
	v_cmp_ne_u16_e32 vcc, 0, v22
	v_mov_b32_e32 v54, 0
	v_mov_b32_e32 v55, 0
	s_and_saveexec_b64 s[2:3], vcc
	s_cbranch_execz .LBB579_337
; %bb.332:
	s_movk_i32 s8, 0x80
	v_cmp_ne_u16_e32 vcc, s8, v22
	v_bfrev_b32_e32 v55, 1
	s_and_saveexec_b64 s[8:9], vcc
	s_cbranch_execz .LBB579_336
; %bb.333:
	s_movk_i32 s10, 0x7f
	v_and_b32_e32 v42, 0x7f, v22
	v_cmp_ne_u32_e32 vcc, s10, v42
	v_mov_b32_e32 v55, 0x7f800001
	s_and_saveexec_b64 s[10:11], vcc
	s_cbranch_execz .LBB579_335
; %bb.334:
	v_and_b32_e32 v55, 7, v22
	v_ffbh_u32_e32 v56, v55
	v_min_u32_e32 v59, 32, v56
	v_subrev_u32_e32 v56, 28, v59
	v_lshlrev_b64 v[56:57], v56, v[22:23]
	v_lshrrev_b32_e32 v58, 3, v42
	v_sub_u32_e32 v22, 29, v59
	v_and_b32_e32 v56, 7, v56
	v_cmp_gt_u32_e32 vcc, 8, v42
	v_cndmask_b32_e32 v22, v58, v22, vcc
	v_cndmask_b32_e32 v42, v55, v56, vcc
	v_lshlrev_b32_e32 v55, 16, v23
	v_bfrev_b32_e32 v56, 60
	v_lshlrev_b32_e32 v42, 20, v42
	v_and_b32_e32 v55, 0x80000000, v55
	v_lshl_add_u32 v22, v22, 23, v56
	v_or3_b32 v55, v55, v22, v42
.LBB579_335:
	s_or_b64 exec, exec, s[10:11]
.LBB579_336:
	s_or_b64 exec, exec, s[8:9]
.LBB579_337:
	s_or_b64 exec, exec, s[2:3]
	s_movk_i32 s2, 0xff
	v_and_b32_sdwa v42, v23, s2 dst_sel:DWORD dst_unused:UNUSED_PAD src0_sel:WORD_1 src1_sel:DWORD
	v_lshrrev_b32_e32 v22, 16, v23
	v_cmp_ne_u16_e32 vcc, 0, v42
	s_and_saveexec_b64 s[2:3], vcc
	s_cbranch_execz .LBB579_343
; %bb.338:
	s_movk_i32 s8, 0x80
	v_cmp_ne_u16_e32 vcc, s8, v42
	v_bfrev_b32_e32 v54, 1
	s_and_saveexec_b64 s[8:9], vcc
	s_cbranch_execz .LBB579_342
; %bb.339:
	v_bfe_u32 v42, v23, 16, 7
	s_movk_i32 s10, 0x7f
	v_cmp_ne_u32_e32 vcc, s10, v42
	v_mov_b32_e32 v54, 0x7f800001
	s_and_saveexec_b64 s[10:11], vcc
	s_cbranch_execz .LBB579_341
; %bb.340:
	v_and_b32_e32 v54, 7, v22
	v_ffbh_u32_e32 v56, v54
	v_min_u32_e32 v59, 32, v56
	v_subrev_u32_e32 v56, 28, v59
	v_lshlrev_b64 v[56:57], v56, v[22:23]
	v_and_b32_e32 v56, 7, v56
	v_cmp_gt_u32_e32 vcc, 8, v42
	v_lshrrev_b32_e32 v58, 3, v42
	v_sub_u32_e32 v22, 29, v59
	v_cndmask_b32_e32 v42, v54, v56, vcc
	v_mov_b32_e32 v54, 24
	v_cndmask_b32_e32 v22, v58, v22, vcc
	v_lshlrev_b32_sdwa v54, v54, v23 dst_sel:DWORD dst_unused:UNUSED_PAD src0_sel:DWORD src1_sel:WORD_1
	v_bfrev_b32_e32 v56, 60
	v_lshlrev_b32_e32 v42, 20, v42
	v_and_b32_e32 v54, 0x80000000, v54
	v_lshl_add_u32 v22, v22, 23, v56
	v_or3_b32 v54, v54, v22, v42
.LBB579_341:
	s_or_b64 exec, exec, s[10:11]
.LBB579_342:
	s_or_b64 exec, exec, s[8:9]
.LBB579_343:
	s_or_b64 exec, exec, s[2:3]
	s_mov_b32 s2, 0xffffff
	v_cmp_lt_u32_e32 vcc, s2, v23
	v_mov_b32_e32 v42, 0
	v_mov_b32_e32 v56, 0
	s_and_saveexec_b64 s[2:3], vcc
	s_cbranch_execz .LBB579_349
; %bb.344:
	v_lshrrev_b32_e32 v22, 24, v23
	s_movk_i32 s8, 0x80
	v_cmp_ne_u32_e32 vcc, s8, v22
	v_bfrev_b32_e32 v56, 1
	s_and_saveexec_b64 s[8:9], vcc
	s_cbranch_execz .LBB579_348
; %bb.345:
	v_bfe_u32 v23, v23, 24, 7
	s_movk_i32 s10, 0x7f
	v_cmp_ne_u32_e32 vcc, s10, v23
	v_mov_b32_e32 v56, 0x7f800001
	s_and_saveexec_b64 s[10:11], vcc
	s_cbranch_execz .LBB579_347
; %bb.346:
	v_and_b32_e32 v58, 7, v22
	v_ffbh_u32_e32 v56, v58
	v_min_u32_e32 v60, 32, v56
	v_subrev_u32_e32 v56, 28, v60
	v_lshlrev_b64 v[56:57], v56, v[22:23]
	v_lshrrev_b32_e32 v59, 3, v23
	v_sub_u32_e32 v57, 29, v60
	v_and_b32_e32 v56, 7, v56
	v_cmp_gt_u32_e32 vcc, 8, v23
	v_cndmask_b32_e32 v23, v59, v57, vcc
	v_cndmask_b32_e32 v56, v58, v56, vcc
	v_lshlrev_b32_e32 v22, 24, v22
	v_bfrev_b32_e32 v57, 60
	v_lshlrev_b32_e32 v56, 20, v56
	v_and_b32_e32 v22, 0x80000000, v22
	v_lshl_add_u32 v23, v23, 23, v57
	v_or3_b32 v56, v22, v23, v56
.LBB579_347:
	s_or_b64 exec, exec, s[10:11]
.LBB579_348:
	s_or_b64 exec, exec, s[8:9]
.LBB579_349:
	s_or_b64 exec, exec, s[2:3]
	v_cvt_pkrtz_f16_f32 v22, v53, v44
	v_cvt_pkrtz_f16_f32 v23, v43, v52
	v_cmp_ne_u16_sdwa s[8:9], v24, v42 src0_sel:BYTE_0 src1_sel:DWORD
	s_nop 0
	v_mfma_f32_16x16x16f16 v[58:61], v[22:23], v[26:27], 0
	v_cvt_pkrtz_f16_f32 v22, v45, v55
	v_cvt_pkrtz_f16_f32 v23, v54, v56
	s_nop 1
	v_mfma_f32_16x16x16f16 v[26:29], v[22:23], v[28:29], v[58:61]
	s_and_saveexec_b64 s[2:3], s[8:9]
	s_cbranch_execz .LBB579_355
; %bb.350:
	s_movk_i32 s8, 0x80
	v_cmp_ne_u16_sdwa s[10:11], v24, s8 src0_sel:BYTE_0 src1_sel:DWORD
	v_bfrev_b32_e32 v42, 1
	s_and_saveexec_b64 s[8:9], s[10:11]
	s_cbranch_execz .LBB579_354
; %bb.351:
	s_movk_i32 s10, 0x7f
	v_and_b32_e32 v22, 0x7f, v24
	v_cmp_ne_u32_e32 vcc, s10, v22
	v_mov_b32_e32 v42, 0x7f800001
	s_and_saveexec_b64 s[10:11], vcc
	s_cbranch_execz .LBB579_353
; %bb.352:
	v_and_b32_e32 v23, 7, v24
	v_ffbh_u32_e32 v42, v23
	v_min_u32_e32 v45, 32, v42
	v_subrev_u32_e32 v42, 28, v45
	v_lshlrev_b64 v[42:43], v42, v[24:25]
	v_lshrrev_b32_e32 v44, 3, v22
	v_sub_u32_e32 v43, 29, v45
	v_and_b32_e32 v42, 7, v42
	v_cmp_gt_u32_e32 vcc, 8, v22
	v_cndmask_b32_e32 v22, v44, v43, vcc
	v_cndmask_b32_e32 v23, v23, v42, vcc
	v_lshlrev_b32_e32 v42, 24, v24
	v_bfrev_b32_e32 v43, 60
	v_lshlrev_b32_e32 v23, 20, v23
	v_and_b32_e32 v42, 0x80000000, v42
	v_lshl_add_u32 v22, v22, 23, v43
	v_or3_b32 v42, v42, v22, v23
.LBB579_353:
	s_or_b64 exec, exec, s[10:11]
.LBB579_354:
	s_or_b64 exec, exec, s[8:9]
.LBB579_355:
	s_or_b64 exec, exec, s[2:3]
	v_lshrrev_b16_e32 v22, 8, v24
	v_cmp_ne_u16_e32 vcc, 0, v22
	v_mov_b32_e32 v23, 0
	v_mov_b32_e32 v43, 0
	s_and_saveexec_b64 s[2:3], vcc
	s_cbranch_execz .LBB579_361
; %bb.356:
	s_movk_i32 s8, 0x80
	v_cmp_ne_u16_e32 vcc, s8, v22
	v_bfrev_b32_e32 v43, 1
	s_and_saveexec_b64 s[8:9], vcc
	s_cbranch_execz .LBB579_360
; %bb.357:
	s_movk_i32 s10, 0x7f
	v_and_b32_e32 v44, 0x7f, v22
	v_cmp_ne_u32_e32 vcc, s10, v44
	v_mov_b32_e32 v43, 0x7f800001
	s_and_saveexec_b64 s[10:11], vcc
	s_cbranch_execz .LBB579_359
; %bb.358:
	v_and_b32_e32 v43, 7, v22
	v_ffbh_u32_e32 v52, v43
	v_min_u32_e32 v54, 32, v52
	v_subrev_u32_e32 v52, 28, v54
	v_lshlrev_b64 v[52:53], v52, v[22:23]
	v_lshrrev_b32_e32 v45, 3, v44
	v_sub_u32_e32 v22, 29, v54
	v_and_b32_e32 v52, 7, v52
	v_cmp_gt_u32_e32 vcc, 8, v44
	v_cndmask_b32_e32 v22, v45, v22, vcc
	v_cndmask_b32_e32 v43, v43, v52, vcc
	v_lshlrev_b32_e32 v44, 16, v24
	v_bfrev_b32_e32 v45, 60
	v_lshlrev_b32_e32 v43, 20, v43
	v_and_b32_e32 v44, 0x80000000, v44
	v_lshl_add_u32 v22, v22, 23, v45
	v_or3_b32 v43, v44, v22, v43
.LBB579_359:
	s_or_b64 exec, exec, s[10:11]
.LBB579_360:
	s_or_b64 exec, exec, s[8:9]
.LBB579_361:
	s_or_b64 exec, exec, s[2:3]
	s_movk_i32 s2, 0xff
	v_and_b32_sdwa v44, v24, s2 dst_sel:DWORD dst_unused:UNUSED_PAD src0_sel:WORD_1 src1_sel:DWORD
	v_lshrrev_b32_e32 v22, 16, v24
	v_cmp_ne_u16_e32 vcc, 0, v44
	s_and_saveexec_b64 s[2:3], vcc
	s_cbranch_execz .LBB579_367
; %bb.362:
	s_movk_i32 s8, 0x80
	v_cmp_ne_u16_e32 vcc, s8, v44
	v_bfrev_b32_e32 v23, 1
	s_and_saveexec_b64 s[8:9], vcc
	s_cbranch_execz .LBB579_366
; %bb.363:
	v_bfe_u32 v44, v24, 16, 7
	s_movk_i32 s10, 0x7f
	v_cmp_ne_u32_e32 vcc, s10, v44
	v_mov_b32_e32 v23, 0x7f800001
	s_and_saveexec_b64 s[10:11], vcc
	s_cbranch_execz .LBB579_365
; %bb.364:
	v_and_b32_e32 v45, 7, v22
	v_ffbh_u32_e32 v23, v45
	v_min_u32_e32 v53, 32, v23
	v_subrev_u32_e32 v23, 28, v53
	v_lshlrev_b64 v[22:23], v23, v[22:23]
	v_lshrrev_b32_e32 v52, 3, v44
	v_sub_u32_e32 v23, 29, v53
	v_and_b32_e32 v22, 7, v22
	v_cmp_gt_u32_e32 vcc, 8, v44
	v_mov_b32_e32 v44, 24
	v_cndmask_b32_e32 v23, v52, v23, vcc
	v_cndmask_b32_e32 v22, v45, v22, vcc
	v_lshlrev_b32_sdwa v44, v44, v24 dst_sel:DWORD dst_unused:UNUSED_PAD src0_sel:DWORD src1_sel:WORD_1
	v_bfrev_b32_e32 v45, 60
	v_lshlrev_b32_e32 v22, 20, v22
	v_and_b32_e32 v44, 0x80000000, v44
	v_lshl_add_u32 v23, v23, 23, v45
	v_or3_b32 v23, v44, v23, v22
.LBB579_365:
	s_or_b64 exec, exec, s[10:11]
.LBB579_366:
	s_or_b64 exec, exec, s[8:9]
.LBB579_367:
	s_or_b64 exec, exec, s[2:3]
	s_mov_b32 s2, 0xffffff
	v_cmp_lt_u32_e32 vcc, s2, v24
	v_mov_b32_e32 v45, 0
	v_mov_b32_e32 v52, 0
	s_and_saveexec_b64 s[2:3], vcc
	s_cbranch_execz .LBB579_373
; %bb.368:
	v_lshrrev_b32_e32 v22, 24, v24
	s_movk_i32 s8, 0x80
	v_cmp_ne_u32_e32 vcc, s8, v22
	v_bfrev_b32_e32 v52, 1
	s_and_saveexec_b64 s[8:9], vcc
	s_cbranch_execz .LBB579_372
; %bb.369:
	v_bfe_u32 v24, v24, 24, 7
	s_movk_i32 s10, 0x7f
	v_cmp_ne_u32_e32 vcc, s10, v24
	v_mov_b32_e32 v52, 0x7f800001
	s_and_saveexec_b64 s[10:11], vcc
	s_cbranch_execz .LBB579_371
; %bb.370:
	v_and_b32_e32 v44, 7, v22
	v_ffbh_u32_e32 v52, v44
	v_min_u32_e32 v55, 32, v52
	v_subrev_u32_e32 v52, 28, v55
	v_lshlrev_b64 v[52:53], v52, v[22:23]
	v_lshrrev_b32_e32 v54, 3, v24
	v_sub_u32_e32 v53, 29, v55
	v_and_b32_e32 v52, 7, v52
	v_cmp_gt_u32_e32 vcc, 8, v24
	v_cndmask_b32_e32 v24, v54, v53, vcc
	v_cndmask_b32_e32 v44, v44, v52, vcc
	v_lshlrev_b32_e32 v22, 24, v22
	v_bfrev_b32_e32 v52, 60
	v_lshlrev_b32_e32 v44, 20, v44
	v_and_b32_e32 v22, 0x80000000, v22
	v_lshl_add_u32 v24, v24, 23, v52
	v_or3_b32 v52, v22, v24, v44
.LBB579_371:
	s_or_b64 exec, exec, s[10:11]
.LBB579_372:
	s_or_b64 exec, exec, s[8:9]
.LBB579_373:
	s_or_b64 exec, exec, s[2:3]
	v_cmp_ne_u16_sdwa s[8:9], v25, v45 src0_sel:BYTE_0 src1_sel:DWORD
	s_and_saveexec_b64 s[2:3], s[8:9]
	s_cbranch_execz .LBB579_379
; %bb.374:
	s_movk_i32 s8, 0x80
	v_cmp_ne_u16_sdwa s[10:11], v25, s8 src0_sel:BYTE_0 src1_sel:DWORD
	v_bfrev_b32_e32 v45, 1
	s_and_saveexec_b64 s[8:9], s[10:11]
	s_cbranch_execz .LBB579_378
; %bb.375:
	s_movk_i32 s10, 0x7f
	v_and_b32_e32 v22, 0x7f, v25
	v_cmp_ne_u32_e32 vcc, s10, v22
	v_mov_b32_e32 v45, 0x7f800001
	s_and_saveexec_b64 s[10:11], vcc
	s_cbranch_execz .LBB579_377
; %bb.376:
	v_and_b32_e32 v53, 7, v25
	v_ffbh_u32_e32 v44, v53
	v_min_u32_e32 v55, 32, v44
	v_mov_b32_e32 v24, v25
	v_subrev_u32_e32 v44, 28, v55
	v_lshlrev_b64 v[44:45], v44, v[24:25]
	v_lshrrev_b32_e32 v54, 3, v22
	v_sub_u32_e32 v24, 29, v55
	v_and_b32_e32 v44, 7, v44
	v_cmp_gt_u32_e32 vcc, 8, v22
	v_cndmask_b32_e32 v22, v54, v24, vcc
	v_cndmask_b32_e32 v24, v53, v44, vcc
	v_lshlrev_b32_e32 v44, 24, v25
	v_bfrev_b32_e32 v45, 60
	v_lshlrev_b32_e32 v24, 20, v24
	v_and_b32_e32 v44, 0x80000000, v44
	v_lshl_add_u32 v22, v22, 23, v45
	v_or3_b32 v45, v44, v22, v24
.LBB579_377:
	s_or_b64 exec, exec, s[10:11]
.LBB579_378:
	s_or_b64 exec, exec, s[8:9]
.LBB579_379:
	s_or_b64 exec, exec, s[2:3]
	v_lshrrev_b16_e32 v22, 8, v25
	v_cmp_ne_u16_e32 vcc, 0, v22
	v_mov_b32_e32 v53, 0
	v_mov_b32_e32 v54, 0
	s_and_saveexec_b64 s[2:3], vcc
	s_cbranch_execz .LBB579_385
; %bb.380:
	s_movk_i32 s8, 0x80
	v_cmp_ne_u16_e32 vcc, s8, v22
	v_bfrev_b32_e32 v54, 1
	s_and_saveexec_b64 s[8:9], vcc
	s_cbranch_execz .LBB579_384
; %bb.381:
	s_movk_i32 s10, 0x7f
	v_and_b32_e32 v24, 0x7f, v22
	v_cmp_ne_u32_e32 vcc, s10, v24
	v_mov_b32_e32 v54, 0x7f800001
	s_and_saveexec_b64 s[10:11], vcc
	s_cbranch_execz .LBB579_383
; %bb.382:
	v_and_b32_e32 v44, 7, v22
	v_ffbh_u32_e32 v54, v44
	v_min_u32_e32 v57, 32, v54
	v_subrev_u32_e32 v54, 28, v57
	v_lshlrev_b64 v[54:55], v54, v[22:23]
	v_lshrrev_b32_e32 v56, 3, v24
	v_sub_u32_e32 v22, 29, v57
	v_and_b32_e32 v54, 7, v54
	v_cmp_gt_u32_e32 vcc, 8, v24
	v_cndmask_b32_e32 v22, v56, v22, vcc
	v_cndmask_b32_e32 v24, v44, v54, vcc
	v_lshlrev_b32_e32 v44, 16, v25
	v_bfrev_b32_e32 v54, 60
	v_lshlrev_b32_e32 v24, 20, v24
	v_and_b32_e32 v44, 0x80000000, v44
	v_lshl_add_u32 v22, v22, 23, v54
	v_or3_b32 v54, v44, v22, v24
.LBB579_383:
	s_or_b64 exec, exec, s[10:11]
.LBB579_384:
	s_or_b64 exec, exec, s[8:9]
.LBB579_385:
	s_or_b64 exec, exec, s[2:3]
	s_movk_i32 s2, 0xff
	v_and_b32_sdwa v24, v25, s2 dst_sel:DWORD dst_unused:UNUSED_PAD src0_sel:WORD_1 src1_sel:DWORD
	v_lshrrev_b32_e32 v22, 16, v25
	v_cmp_ne_u16_e32 vcc, 0, v24
	s_and_saveexec_b64 s[2:3], vcc
	s_cbranch_execz .LBB579_391
; %bb.386:
	s_movk_i32 s8, 0x80
	v_cmp_ne_u16_e32 vcc, s8, v24
	v_bfrev_b32_e32 v53, 1
	s_and_saveexec_b64 s[8:9], vcc
	s_cbranch_execz .LBB579_390
; %bb.387:
	v_bfe_u32 v24, v25, 16, 7
	s_movk_i32 s10, 0x7f
	v_cmp_ne_u32_e32 vcc, s10, v24
	v_mov_b32_e32 v53, 0x7f800001
	s_and_saveexec_b64 s[10:11], vcc
	s_cbranch_execz .LBB579_389
; %bb.388:
	v_and_b32_e32 v44, 7, v22
	v_ffbh_u32_e32 v55, v44
	v_min_u32_e32 v55, 32, v55
	v_subrev_u32_e32 v56, 28, v55
	v_lshlrev_b64 v[56:57], v56, v[22:23]
	v_sub_u32_e32 v22, 29, v55
	v_and_b32_e32 v55, 7, v56
	v_cmp_gt_u32_e32 vcc, 8, v24
	v_lshrrev_b32_e32 v53, 3, v24
	v_cndmask_b32_e32 v24, v44, v55, vcc
	v_mov_b32_e32 v44, 24
	v_cndmask_b32_e32 v22, v53, v22, vcc
	v_lshlrev_b32_sdwa v44, v44, v25 dst_sel:DWORD dst_unused:UNUSED_PAD src0_sel:DWORD src1_sel:WORD_1
	v_bfrev_b32_e32 v53, 60
	v_lshlrev_b32_e32 v24, 20, v24
	v_and_b32_e32 v44, 0x80000000, v44
	v_lshl_add_u32 v22, v22, 23, v53
	v_or3_b32 v53, v44, v22, v24
.LBB579_389:
	s_or_b64 exec, exec, s[10:11]
.LBB579_390:
	s_or_b64 exec, exec, s[8:9]
.LBB579_391:
	s_or_b64 exec, exec, s[2:3]
	s_mov_b32 s2, 0xffffff
	v_and_b32_e32 v44, 63, v0
	v_cmp_lt_u32_e32 vcc, s2, v25
	v_mov_b32_e32 v55, 0
	s_and_saveexec_b64 s[2:3], vcc
	s_cbranch_execz .LBB579_397
; %bb.392:
	v_lshrrev_b32_e32 v22, 24, v25
	s_movk_i32 s8, 0x80
	v_cmp_ne_u32_e32 vcc, s8, v22
	v_bfrev_b32_e32 v55, 1
	s_and_saveexec_b64 s[8:9], vcc
	s_cbranch_execz .LBB579_396
; %bb.393:
	v_bfe_u32 v24, v25, 24, 7
	s_movk_i32 s10, 0x7f
	v_cmp_ne_u32_e32 vcc, s10, v24
	v_mov_b32_e32 v55, 0x7f800001
	s_and_saveexec_b64 s[10:11], vcc
	s_cbranch_execz .LBB579_395
; %bb.394:
	v_and_b32_e32 v25, 7, v22
	v_ffbh_u32_e32 v56, v25
	v_min_u32_e32 v58, 32, v56
	v_subrev_u32_e32 v56, 28, v58
	v_lshlrev_b64 v[56:57], v56, v[22:23]
	v_lshrrev_b32_e32 v55, 3, v24
	v_sub_u32_e32 v57, 29, v58
	v_and_b32_e32 v56, 7, v56
	v_cmp_gt_u32_e32 vcc, 8, v24
	v_cndmask_b32_e32 v24, v55, v57, vcc
	v_cndmask_b32_e32 v25, v25, v56, vcc
	v_lshlrev_b32_e32 v22, 24, v22
	v_bfrev_b32_e32 v55, 60
	v_lshlrev_b32_e32 v25, 20, v25
	v_and_b32_e32 v22, 0x80000000, v22
	v_lshl_add_u32 v24, v24, 23, v55
	v_or3_b32 v55, v22, v24, v25
.LBB579_395:
	s_or_b64 exec, exec, s[10:11]
.LBB579_396:
	s_or_b64 exec, exec, s[8:9]
.LBB579_397:
	s_or_b64 exec, exec, s[2:3]
	v_cvt_pkrtz_f16_f32 v42, v42, v43
	v_cvt_pkrtz_f16_f32 v43, v23, v52
	s_load_dword s2, s[4:5], 0x1c
	s_mov_b32 s46, 0xff7fffff
	s_waitcnt lgkmcnt(0)
	v_mfma_f32_16x16x16f16 v[26:29], v[42:43], v[18:19], v[26:29]
	v_cvt_pkrtz_f16_f32 v18, v45, v54
	v_cvt_pkrtz_f16_f32 v19, v53, v55
	v_mov_b32_e32 v22, s2
	v_mul_f32_e32 v52, s12, v22
	v_pk_mul_f32 v[22:23], v[52:53], v[32:33] op_sel_hi:[0,1]
	v_pk_mul_f32 v[32:33], v[52:53], v[38:39] op_sel_hi:[0,1]
	v_and_b32_e32 v38, 0xc0, v0
	v_mfma_f32_16x16x16f16 v[26:29], v[18:19], v[20:21], v[26:29]
	v_add_u32_e32 v38, s18, v38
	v_lshl_or_b32 v38, v1, 2, v38
	v_or_b32_e32 v39, 1, v38
	v_pk_mul_f32 v[24:25], v[52:53], v[30:31] op_sel_hi:[0,1]
	v_pk_mul_f32 v[30:31], v[52:53], v[40:41] op_sel_hi:[0,1]
	v_subrev_u32_e32 v40, s33, v39
	v_pk_mul_f32 v[34:35], v[52:53], v[34:35] op_sel_hi:[0,1]
	s_nop 3
	v_pk_mul_f32 v[20:21], v[52:53], v[26:27] op_sel_hi:[0,1]
	v_add_u32_e32 v27, 1, v40
	v_pk_mul_f32 v[18:19], v[52:53], v[28:29] op_sel_hi:[0,1]
	v_cvt_f32_i32_e32 v27, v27
	v_add_u32_e32 v29, 3, v40
	v_cvt_f32_i32_e32 v29, v29
	v_cvt_f32_i32_e32 v26, v40
	v_pk_mul_f32 v[36:37], v[52:53], v[36:37] op_sel_hi:[0,1]
	v_fmac_f32_e32 v35, v51, v27
	v_add_u32_e32 v27, 16, v40
	v_fmac_f32_e32 v37, v51, v29
	v_cvt_f32_i32_e32 v27, v27
	v_add_u32_e32 v29, 17, v40
	v_fma_f32 v26, v51, v26, v34
	v_cvt_f32_i32_e32 v29, v29
	v_add_u32_e32 v34, 18, v40
	v_cvt_f32_i32_e32 v34, v34
	v_fma_f32 v41, v51, v27, v32
	v_add_u32_e32 v27, 32, v40
	v_fmac_f32_e32 v33, v51, v29
	v_cvt_f32_i32_e32 v27, v27
	v_add_u32_e32 v29, 33, v40
	v_add_u32_e32 v32, 34, v40
	v_fma_f32 v30, v51, v34, v30
	v_cvt_f32_i32_e32 v29, v29
	v_cvt_f32_i32_e32 v32, v32
	v_add_u32_e32 v34, 35, v40
	v_cvt_f32_i32_e32 v34, v34
	v_fma_f32 v24, v51, v27, v24
	v_add_u32_e32 v27, 48, v40
	v_fmac_f32_e32 v25, v51, v29
	v_fma_f32 v22, v51, v32, v22
	v_cvt_f32_i32_e32 v27, v27
	v_add_u32_e32 v29, 49, v40
	v_add_u32_e32 v32, 50, v40
	v_fmac_f32_e32 v23, v51, v34
	v_cvt_f32_i32_e32 v29, v29
	v_cvt_f32_i32_e32 v32, v32
	v_add_u32_e32 v34, 51, v40
	v_add_u32_e32 v28, 2, v40
	v_cvt_f32_i32_e32 v34, v34
	v_cvt_f32_i32_e32 v28, v28
	v_fma_f32 v20, v51, v27, v20
	v_mov_b32_e32 v27, 0xff7fffff
	v_cmp_gt_i32_e64 s[26:27], s33, v38
	v_cmp_gt_i32_e64 s[28:29], s33, v39
	v_fmac_f32_e32 v21, v51, v29
	v_fma_f32 v18, v51, v32, v18
	v_cndmask_b32_e64 v29, v27, v26, s[26:27]
	v_cndmask_b32_e64 v32, v27, v35, s[28:29]
	v_fmac_f32_e32 v19, v51, v34
	v_max3_f32 v29, v29, s46, v32
	v_or_b32_e32 v32, 2, v38
	v_or_b32_e32 v34, 3, v38
	v_fma_f32 v28, v51, v28, v36
	v_cmp_gt_i32_e64 s[30:31], s33, v32
	v_cmp_gt_i32_e64 s[34:35], s33, v34
	v_add_u32_e32 v36, 19, v40
	v_cndmask_b32_e64 v32, v27, v28, s[30:31]
	v_cndmask_b32_e64 v34, v27, v37, s[34:35]
	v_cvt_f32_i32_e32 v36, v36
	v_max3_f32 v29, v29, v32, v34
	v_or_b32_e32 v32, 16, v38
	v_or_b32_e32 v34, 17, v38
	v_cmp_gt_i32_e64 s[36:37], s33, v32
	v_cmp_gt_i32_e64 s[38:39], s33, v34
	v_cndmask_b32_e64 v32, v27, v41, s[36:37]
	v_cndmask_b32_e64 v34, v27, v33, s[38:39]
	v_max3_f32 v29, v29, v32, v34
	v_or_b32_e32 v32, 18, v38
	v_or_b32_e32 v34, 19, v38
	v_fmac_f32_e32 v31, v51, v36
	v_cmp_gt_i32_e64 s[20:21], s33, v32
	v_cmp_gt_i32_e64 s[22:23], s33, v34
	v_cndmask_b32_e64 v32, v27, v30, s[20:21]
	v_cndmask_b32_e64 v34, v27, v31, s[22:23]
	v_max3_f32 v29, v29, v32, v34
	v_or_b32_e32 v32, 32, v38
	v_or_b32_e32 v34, 33, v38
	v_cmp_gt_i32_e64 s[16:17], s33, v32
	v_cmp_gt_i32_e64 s[18:19], s33, v34
	v_cndmask_b32_e64 v32, v27, v24, s[16:17]
	v_cndmask_b32_e64 v34, v27, v25, s[18:19]
	v_max3_f32 v29, v29, v32, v34
	v_or_b32_e32 v32, 34, v38
	v_or_b32_e32 v34, 35, v38
	;; [unrolled: 7-line block ×4, first 2 shown]
	v_cmp_gt_i32_e32 vcc, s33, v32
	v_cmp_gt_i32_e64 s[2:3], s33, v34
	v_cndmask_b32_e32 v32, v27, v18, vcc
	v_cndmask_b32_e64 v27, v27, v19, s[2:3]
	v_max3_f32 v27, v29, v32, v27
	v_mbcnt_lo_u32_b32 v29, -1, 0
	v_mbcnt_hi_u32_b32 v29, -1, v29
	v_and_b32_e32 v32, 64, v29
	v_add_u32_e32 v32, 64, v32
	v_xor_b32_e32 v34, 32, v29
	v_cmp_lt_i32_e64 s[40:41], v34, v32
	v_cndmask_b32_e64 v34, v29, v34, s[40:41]
	v_lshlrev_b32_e32 v36, 2, v34
	ds_bpermute_b32 v34, v36, v27
	s_barrier
	s_waitcnt lgkmcnt(0)
	v_max_f32_e32 v34, v34, v34
	v_max_f32_e32 v27, v27, v34
	v_xor_b32_e32 v34, 16, v29
	v_cmp_lt_i32_e64 s[40:41], v34, v32
	v_cndmask_b32_e64 v29, v29, v34, s[40:41]
	v_lshlrev_b32_e32 v38, 2, v29
	ds_bpermute_b32 v29, v38, v27
	s_waitcnt lgkmcnt(0)
	v_max_f32_e32 v29, v29, v29
	v_max_f32_e32 v32, v27, v29
	v_sub_f32_e32 v26, v26, v32
	v_mul_f32_e32 v26, 0x3fb8aa3b, v26
	v_sub_f32_e32 v27, v35, v32
	v_exp_f32_e32 v26, v26
	v_mul_f32_e32 v27, 0x3fb8aa3b, v27
	v_sub_f32_e32 v28, v28, v32
	v_exp_f32_e32 v27, v27
	v_mul_f32_e32 v28, 0x3fb8aa3b, v28
	v_exp_f32_e32 v28, v28
	v_cndmask_b32_e64 v26, 0, v26, s[26:27]
	v_sub_f32_e32 v34, v37, v32
	v_add_f32_e32 v29, 0, v26
	v_cndmask_b32_e64 v27, 0, v27, s[28:29]
	v_mul_f32_e32 v34, 0x3fb8aa3b, v34
	v_exp_f32_e32 v35, v34
	v_add_f32_e32 v29, v29, v27
	v_cndmask_b32_e64 v34, 0, v28, s[30:31]
	v_add_f32_e32 v28, v29, v34
	v_sub_f32_e32 v29, v41, v32
	v_mul_f32_e32 v29, 0x3fb8aa3b, v29
	v_sub_f32_e32 v33, v33, v32
	v_exp_f32_e32 v29, v29
	v_mul_f32_e32 v33, 0x3fb8aa3b, v33
	v_sub_f32_e32 v30, v30, v32
	v_exp_f32_e32 v33, v33
	;; [unrolled: 3-line block ×3, first 2 shown]
	v_mul_f32_e32 v31, 0x3fb8aa3b, v31
	v_sub_f32_e32 v24, v24, v32
	v_cndmask_b32_e64 v35, 0, v35, s[34:35]
	v_exp_f32_e32 v31, v31
	v_mul_f32_e32 v24, 0x3fb8aa3b, v24
	v_sub_f32_e32 v25, v25, v32
	v_add_f32_e32 v37, v28, v35
	v_cndmask_b32_e64 v28, 0, v29, s[36:37]
	v_exp_f32_e32 v24, v24
	v_mul_f32_e32 v25, 0x3fb8aa3b, v25
	v_sub_f32_e32 v22, v22, v32
	v_add_f32_e32 v37, v37, v28
	;; [unrolled: 5-line block ×7, first 2 shown]
	v_cndmask_b32_e64 v22, 0, v22, s[12:13]
	v_exp_f32_e32 v18, v18
	v_mul_f32_e32 v19, 0x3fb8aa3b, v19
	v_add_f32_e32 v33, v33, v22
	v_cndmask_b32_e64 v23, 0, v23, s[14:15]
	v_exp_f32_e32 v19, v19
	v_add_f32_e32 v33, v33, v23
	v_cndmask_b32_e64 v20, 0, v20, s[8:9]
	v_add_f32_e32 v33, v33, v20
	v_cndmask_b32_e64 v21, 0, v21, s[10:11]
	v_add_f32_e32 v33, v33, v21
	v_cndmask_b32_e32 v18, 0, v18, vcc
	v_add_f32_e32 v33, v33, v18
	v_cndmask_b32_e64 v19, 0, v19, s[2:3]
	v_add_f32_e32 v33, v33, v19
	ds_bpermute_b32 v36, v36, v33
	v_cmp_gt_u32_e32 vcc, 16, v44
	s_waitcnt lgkmcnt(0)
	v_add_f32_e32 v33, v33, v36
	ds_bpermute_b32 v37, v38, v33
	v_lshlrev_b32_e32 v36, 2, v49
	s_and_saveexec_b64 s[2:3], vcc
	s_cbranch_execz .LBB579_399
; %bb.398:
	s_waitcnt lgkmcnt(0)
	v_add_f32_e32 v33, v33, v37
	v_lshl_or_b32 v37, v50, 6, v36
	ds_write2st64_b32 v37, v32, v33 offset1:1
.LBB579_399:
	s_or_b64 exec, exec, s[2:3]
	s_waitcnt lgkmcnt(0)
	s_barrier
	ds_read2_b32 v[38:39], v36 offset1:16
	ds_read2_b32 v[40:41], v36 offset0:32 offset1:48
	ds_read2_b32 v[42:43], v36 offset0:64 offset1:80
	s_mul_i32 s12, s45, 6
	s_waitcnt lgkmcnt(2)
	v_max3_f32 v32, v38, s46, v39
	s_waitcnt lgkmcnt(1)
	v_max3_f32 v33, v32, v40, v41
	v_sub_f32_e32 v32, v38, v33
	v_mul_f32_e32 v32, 0x3fb8aa3b, v32
	v_exp_f32_e32 v37, v32
	v_sub_f32_e32 v32, v39, v33
	v_mul_f32_e32 v32, 0x3fb8aa3b, v32
	v_exp_f32_e32 v44, v32
	;; [unrolled: 3-line block ×3, first 2 shown]
	ds_read2_b32 v[38:39], v36 offset0:96 offset1:112
	v_sub_f32_e32 v32, v41, v33
	v_mul_f32_e32 v32, 0x3fb8aa3b, v32
	v_exp_f32_e32 v41, v32
	s_waitcnt lgkmcnt(1)
	v_fma_f32 v36, v37, v42, 0
	v_fmac_f32_e32 v36, v44, v43
	s_waitcnt lgkmcnt(0)
	v_fmac_f32_e32 v36, v40, v38
	v_fmac_f32_e32 v36, v41, v39
	v_add_f32_e32 v38, 0x358637bd, v36
	v_div_scale_f32 v39, s[2:3], v38, v38, 1.0
	v_rcp_f32_e32 v42, v39
	s_barrier
	v_fma_f32 v43, -v39, v42, 1.0
	v_fmac_f32_e32 v42, v43, v42
	v_div_scale_f32 v43, vcc, 1.0, v38, 1.0
	v_mul_f32_e32 v45, v43, v42
	v_fma_f32 v51, -v39, v45, v43
	v_fmac_f32_e32 v45, v51, v42
	v_fma_f32 v39, -v39, v45, v43
	v_div_fmas_f32 v39, v39, v42, v45
	v_cmp_eq_u32_e32 vcc, 1, v50
	v_cndmask_b32_e32 v37, v37, v44, vcc
	v_cmp_eq_u32_e32 vcc, 2, v50
	v_cndmask_b32_e32 v37, v37, v40, vcc
	v_cmp_eq_u32_e32 vcc, 3, v50
	v_div_fixup_f32 v38, v39, v38, 1.0
	v_cndmask_b32_e32 v37, v37, v41, vcc
	v_mul_f32_e32 v38, v37, v38
	v_pk_mul_f32 v[26:27], v[38:39], v[26:27] op_sel_hi:[0,1]
	v_cvt_f16_f32_e32 v26, v26
	v_cvt_f16_f32_e32 v27, v27
	v_pk_mul_f32 v[34:35], v[38:39], v[34:35] op_sel_hi:[0,1]
	v_cvt_f16_f32_e32 v37, v34
	v_cvt_f16_f32_e32 v35, v35
	v_pack_b32_f16 v34, v26, v27
	v_pk_mul_f32 v[26:27], v[38:39], v[30:31] op_sel_hi:[0,1]
	v_pk_mul_f32 v[28:29], v[38:39], v[28:29] op_sel_hi:[0,1]
	v_cvt_f16_f32_e32 v28, v28
	v_cvt_f16_f32_e32 v29, v29
	;; [unrolled: 1-line block ×4, first 2 shown]
	v_pack_b32_f16 v35, v37, v35
	v_lshlrev_b32_e32 v37, 3, v1
	v_lshlrev_b32_e32 v26, 11, v50
	v_or3_b32 v26, v26, v48, v37
	v_pack_b32_f16 v28, v28, v29
	v_pack_b32_f16 v29, v30, v27
	v_pk_mul_f32 v[22:23], v[38:39], v[22:23] op_sel_hi:[0,1]
	v_pk_mul_f32 v[24:25], v[38:39], v[24:25] op_sel_hi:[0,1]
	;; [unrolled: 1-line block ×4, first 2 shown]
	ds_write2st64_b64 v26, v[34:35], v[28:29] offset1:1
	v_cvt_f16_f32_e32 v24, v24
	v_cvt_f16_f32_e32 v25, v25
	;; [unrolled: 1-line block ×8, first 2 shown]
	v_mov_b32_e32 v32, 0
	v_pack_b32_f16 v18, v24, v25
	v_pack_b32_f16 v19, v22, v23
	;; [unrolled: 1-line block ×4, first 2 shown]
	v_cmp_gt_u32_e32 vcc, 6, v0
	ds_write2st64_b64 v26, v[18:19], v[20:21] offset0:2 offset1:3
	s_and_saveexec_b64 s[2:3], vcc
	s_cbranch_execz .LBB579_401
; %bb.400:
	v_add_co_u32_e32 v20, vcc, s25, v49
	v_addc_co_u32_e64 v21, s[14:15], 0, 0, vcc
	v_mov_b32_e32 v18, s12
	v_mov_b32_e32 v19, 0
	v_mad_u64_u32 v[20:21], s[14:15], s6, v18, v[20:21]
	v_mov_b32_e32 v18, s24
	s_load_dwordx4 s[8:11], s[4:5], 0x58
	s_mul_i32 s7, s7, s12
	v_mad_u64_u32 v[18:19], s[14:15], v20, s44, v[18:19]
	v_add_u32_e32 v21, s7, v21
	v_mov_b32_e32 v20, v19
	v_mad_u64_u32 v[20:21], s[14:15], v21, s44, v[20:21]
	v_mov_b32_e32 v19, v20
	v_lshlrev_b64 v[18:19], 2, v[18:19]
	s_waitcnt lgkmcnt(0)
	v_mov_b32_e32 v21, s11
	v_add_co_u32_e32 v20, vcc, s10, v18
	v_addc_co_u32_e32 v21, vcc, v21, v19, vcc
	global_store_dword v[20:21], v33, off
	v_mov_b32_e32 v20, s9
	v_add_co_u32_e32 v18, vcc, s8, v18
	v_addc_co_u32_e32 v19, vcc, v20, v19, vcc
	global_store_dword v[18:19], v36, off
.LBB579_401:
	s_or_b64 exec, exec, s[2:3]
	v_mov_b32_e32 v19, 0
	s_waitcnt vmcnt(3)
	v_cmp_ne_u16_sdwa s[8:9], v14, v19 src0_sel:BYTE_0 src1_sel:DWORD
	s_waitcnt lgkmcnt(0)
	s_barrier
	s_and_saveexec_b64 s[2:3], s[8:9]
	s_cbranch_execz .LBB579_407
; %bb.402:
	s_movk_i32 s7, 0x80
	v_cmp_ne_u16_sdwa s[10:11], v14, s7 src0_sel:BYTE_0 src1_sel:DWORD
	v_bfrev_b32_e32 v32, 1
	s_and_saveexec_b64 s[8:9], s[10:11]
	s_cbranch_execz .LBB579_406
; %bb.403:
	s_movk_i32 s7, 0x7f
	v_and_b32_e32 v18, 0x7f, v14
	v_cmp_ne_u32_e32 vcc, s7, v18
	v_mov_b32_e32 v32, 0x7f800001
	s_and_saveexec_b64 s[10:11], vcc
	s_cbranch_execz .LBB579_405
; %bb.404:
	v_and_b32_e32 v22, 7, v14
	v_ffbh_u32_e32 v20, v22
	v_min_u32_e32 v24, 32, v20
	v_subrev_u32_e32 v20, 28, v24
	v_lshlrev_b64 v[20:21], v20, v[14:15]
	v_lshrrev_b32_e32 v23, 3, v18
	v_sub_u32_e32 v21, 29, v24
	v_and_b32_e32 v20, 7, v20
	v_cmp_gt_u32_e32 vcc, 8, v18
	v_cndmask_b32_e32 v18, v23, v21, vcc
	v_cndmask_b32_e32 v20, v22, v20, vcc
	v_lshlrev_b32_e32 v21, 24, v14
	v_bfrev_b32_e32 v22, 60
	v_lshlrev_b32_e32 v20, 20, v20
	v_and_b32_e32 v21, 0x80000000, v21
	v_lshl_add_u32 v18, v18, 23, v22
	v_or3_b32 v32, v21, v18, v20
.LBB579_405:
	s_or_b64 exec, exec, s[10:11]
.LBB579_406:
	s_or_b64 exec, exec, s[8:9]
.LBB579_407:
	s_or_b64 exec, exec, s[2:3]
	v_lshrrev_b16_e32 v18, 8, v14
	v_cmp_ne_u16_e32 vcc, 0, v18
	v_mov_b32_e32 v20, 0
	s_and_saveexec_b64 s[2:3], vcc
	s_cbranch_execz .LBB579_413
; %bb.408:
	s_movk_i32 s7, 0x80
	v_cmp_ne_u16_e32 vcc, s7, v18
	v_bfrev_b32_e32 v20, 1
	s_and_saveexec_b64 s[8:9], vcc
	s_cbranch_execz .LBB579_412
; %bb.409:
	s_movk_i32 s7, 0x7f
	v_and_b32_e32 v21, 0x7f, v18
	v_cmp_ne_u32_e32 vcc, s7, v21
	v_mov_b32_e32 v20, 0x7f800001
	s_and_saveexec_b64 s[10:11], vcc
	s_cbranch_execz .LBB579_411
; %bb.410:
	v_and_b32_e32 v20, 7, v18
	v_ffbh_u32_e32 v22, v20
	v_min_u32_e32 v25, 32, v22
	v_subrev_u32_e32 v22, 28, v25
	v_lshlrev_b64 v[22:23], v22, v[18:19]
	v_lshrrev_b32_e32 v24, 3, v21
	v_sub_u32_e32 v18, 29, v25
	v_and_b32_e32 v22, 7, v22
	v_cmp_gt_u32_e32 vcc, 8, v21
	v_cndmask_b32_e32 v18, v24, v18, vcc
	v_cndmask_b32_e32 v20, v20, v22, vcc
	v_lshlrev_b32_e32 v21, 16, v14
	v_bfrev_b32_e32 v22, 60
	v_lshlrev_b32_e32 v20, 20, v20
	v_and_b32_e32 v21, 0x80000000, v21
	v_lshl_add_u32 v18, v18, 23, v22
	v_or3_b32 v20, v21, v18, v20
.LBB579_411:
	s_or_b64 exec, exec, s[10:11]
.LBB579_412:
	s_or_b64 exec, exec, s[8:9]
.LBB579_413:
	s_or_b64 exec, exec, s[2:3]
	s_movk_i32 s2, 0xff
	v_and_b32_sdwa v21, v14, s2 dst_sel:DWORD dst_unused:UNUSED_PAD src0_sel:WORD_1 src1_sel:DWORD
	v_lshrrev_b32_e32 v18, 16, v14
	v_cmp_ne_u16_e32 vcc, 0, v21
	s_and_saveexec_b64 s[2:3], vcc
	s_cbranch_execz .LBB579_419
; %bb.414:
	s_movk_i32 s7, 0x80
	v_cmp_ne_u16_e32 vcc, s7, v21
	v_bfrev_b32_e32 v19, 1
	s_and_saveexec_b64 s[8:9], vcc
	s_cbranch_execz .LBB579_418
; %bb.415:
	v_bfe_u32 v21, v14, 16, 7
	s_movk_i32 s7, 0x7f
	v_cmp_ne_u32_e32 vcc, s7, v21
	v_mov_b32_e32 v19, 0x7f800001
	s_and_saveexec_b64 s[10:11], vcc
	s_cbranch_execz .LBB579_417
; %bb.416:
	v_and_b32_e32 v22, 7, v18
	v_ffbh_u32_e32 v19, v22
	v_min_u32_e32 v24, 32, v19
	v_subrev_u32_e32 v19, 28, v24
	v_lshlrev_b64 v[18:19], v19, v[18:19]
	v_lshrrev_b32_e32 v23, 3, v21
	v_sub_u32_e32 v19, 29, v24
	v_and_b32_e32 v18, 7, v18
	v_cmp_gt_u32_e32 vcc, 8, v21
	v_mov_b32_e32 v21, 24
	v_cndmask_b32_e32 v19, v23, v19, vcc
	v_cndmask_b32_e32 v18, v22, v18, vcc
	v_lshlrev_b32_sdwa v21, v21, v14 dst_sel:DWORD dst_unused:UNUSED_PAD src0_sel:DWORD src1_sel:WORD_1
	v_bfrev_b32_e32 v22, 60
	v_lshlrev_b32_e32 v18, 20, v18
	v_and_b32_e32 v21, 0x80000000, v21
	v_lshl_add_u32 v19, v19, 23, v22
	v_or3_b32 v19, v21, v19, v18
.LBB579_417:
	s_or_b64 exec, exec, s[10:11]
.LBB579_418:
	s_or_b64 exec, exec, s[8:9]
.LBB579_419:
	s_or_b64 exec, exec, s[2:3]
	s_mov_b32 s2, 0xffffff
	v_cmp_lt_u32_e32 vcc, s2, v14
	v_mov_b32_e32 v21, 0
	v_mov_b32_e32 v22, 0
	s_and_saveexec_b64 s[2:3], vcc
	s_cbranch_execz .LBB579_425
; %bb.420:
	v_lshrrev_b32_e32 v18, 24, v14
	s_movk_i32 s7, 0x80
	v_cmp_ne_u32_e32 vcc, s7, v18
	v_bfrev_b32_e32 v22, 1
	s_and_saveexec_b64 s[8:9], vcc
	s_cbranch_execz .LBB579_424
; %bb.421:
	v_bfe_u32 v14, v14, 24, 7
	s_movk_i32 s7, 0x7f
	v_cmp_ne_u32_e32 vcc, s7, v14
	v_mov_b32_e32 v22, 0x7f800001
	s_and_saveexec_b64 s[10:11], vcc
	s_cbranch_execz .LBB579_423
; %bb.422:
	v_and_b32_e32 v24, 7, v18
	v_ffbh_u32_e32 v22, v24
	v_min_u32_e32 v27, 32, v22
	v_subrev_u32_e32 v22, 28, v27
	v_lshlrev_b64 v[22:23], v22, v[18:19]
	v_lshrrev_b32_e32 v25, 3, v14
	v_sub_u32_e32 v23, 29, v27
	v_and_b32_e32 v22, 7, v22
	v_cmp_gt_u32_e32 vcc, 8, v14
	v_cndmask_b32_e32 v14, v25, v23, vcc
	v_cndmask_b32_e32 v22, v24, v22, vcc
	v_lshlrev_b32_e32 v18, 24, v18
	v_bfrev_b32_e32 v23, 60
	v_lshlrev_b32_e32 v22, 20, v22
	v_and_b32_e32 v18, 0x80000000, v18
	v_lshl_add_u32 v14, v14, 23, v23
	v_or3_b32 v22, v18, v14, v22
.LBB579_423:
	s_or_b64 exec, exec, s[10:11]
.LBB579_424:
	s_or_b64 exec, exec, s[8:9]
.LBB579_425:
	s_or_b64 exec, exec, s[2:3]
	v_cmp_ne_u16_sdwa s[8:9], v15, v21 src0_sel:BYTE_0 src1_sel:DWORD
	s_and_saveexec_b64 s[2:3], s[8:9]
	s_cbranch_execz .LBB579_431
; %bb.426:
	s_movk_i32 s7, 0x80
	v_cmp_ne_u16_sdwa s[10:11], v15, s7 src0_sel:BYTE_0 src1_sel:DWORD
	v_bfrev_b32_e32 v21, 1
	s_and_saveexec_b64 s[8:9], s[10:11]
	s_cbranch_execz .LBB579_430
; %bb.427:
	s_movk_i32 s7, 0x7f
	v_and_b32_e32 v14, 0x7f, v15
	v_cmp_ne_u32_e32 vcc, s7, v14
	v_mov_b32_e32 v21, 0x7f800001
	s_and_saveexec_b64 s[10:11], vcc
	s_cbranch_execz .LBB579_429
; %bb.428:
	v_and_b32_e32 v21, 7, v15
	v_ffbh_u32_e32 v24, v21
	v_min_u32_e32 v27, 32, v24
	v_mov_b32_e32 v18, v15
	v_subrev_u32_e32 v24, 28, v27
	v_lshlrev_b64 v[24:25], v24, v[18:19]
	v_lshrrev_b32_e32 v23, 3, v14
	v_sub_u32_e32 v18, 29, v27
	v_and_b32_e32 v24, 7, v24
	v_cmp_gt_u32_e32 vcc, 8, v14
	v_cndmask_b32_e32 v14, v23, v18, vcc
	v_cndmask_b32_e32 v18, v21, v24, vcc
	v_lshlrev_b32_e32 v21, 24, v15
	v_bfrev_b32_e32 v23, 60
	v_lshlrev_b32_e32 v18, 20, v18
	v_and_b32_e32 v21, 0x80000000, v21
	v_lshl_add_u32 v14, v14, 23, v23
	v_or3_b32 v21, v21, v14, v18
.LBB579_429:
	s_or_b64 exec, exec, s[10:11]
.LBB579_430:
	s_or_b64 exec, exec, s[8:9]
.LBB579_431:
	s_or_b64 exec, exec, s[2:3]
	v_lshrrev_b16_e32 v14, 8, v15
	v_cmp_ne_u16_e32 vcc, 0, v14
	v_mov_b32_e32 v18, 0
	v_mov_b32_e32 v24, 0
	s_and_saveexec_b64 s[2:3], vcc
	s_cbranch_execz .LBB579_437
; %bb.432:
	s_movk_i32 s7, 0x80
	v_cmp_ne_u16_e32 vcc, s7, v14
	v_bfrev_b32_e32 v24, 1
	s_and_saveexec_b64 s[8:9], vcc
	s_cbranch_execz .LBB579_436
; %bb.433:
	s_movk_i32 s7, 0x7f
	v_and_b32_e32 v23, 0x7f, v14
	v_cmp_ne_u32_e32 vcc, s7, v23
	v_mov_b32_e32 v24, 0x7f800001
	s_and_saveexec_b64 s[10:11], vcc
	s_cbranch_execz .LBB579_435
; %bb.434:
	v_and_b32_e32 v27, 7, v14
	v_ffbh_u32_e32 v24, v27
	v_min_u32_e32 v29, 32, v24
	v_subrev_u32_e32 v24, 28, v29
	v_lshlrev_b64 v[24:25], v24, v[14:15]
	v_lshrrev_b32_e32 v28, 3, v23
	v_sub_u32_e32 v14, 29, v29
	v_and_b32_e32 v24, 7, v24
	v_cmp_gt_u32_e32 vcc, 8, v23
	v_cndmask_b32_e32 v14, v28, v14, vcc
	v_cndmask_b32_e32 v23, v27, v24, vcc
	v_lshlrev_b32_e32 v24, 16, v15
	v_bfrev_b32_e32 v25, 60
	v_lshlrev_b32_e32 v23, 20, v23
	v_and_b32_e32 v24, 0x80000000, v24
	v_lshl_add_u32 v14, v14, 23, v25
	v_or3_b32 v24, v24, v14, v23
.LBB579_435:
	s_or_b64 exec, exec, s[10:11]
.LBB579_436:
	s_or_b64 exec, exec, s[8:9]
.LBB579_437:
	s_or_b64 exec, exec, s[2:3]
	s_movk_i32 s2, 0xff
	v_and_b32_sdwa v23, v15, s2 dst_sel:DWORD dst_unused:UNUSED_PAD src0_sel:WORD_1 src1_sel:DWORD
	v_lshrrev_b32_e32 v14, 16, v15
	v_cmp_ne_u16_e32 vcc, 0, v23
	s_and_saveexec_b64 s[2:3], vcc
	s_cbranch_execz .LBB579_443
; %bb.438:
	s_movk_i32 s7, 0x80
	v_cmp_ne_u16_e32 vcc, s7, v23
	v_bfrev_b32_e32 v18, 1
	s_and_saveexec_b64 s[8:9], vcc
	s_cbranch_execz .LBB579_442
; %bb.439:
	v_bfe_u32 v23, v15, 16, 7
	s_movk_i32 s7, 0x7f
	v_cmp_ne_u32_e32 vcc, s7, v23
	v_mov_b32_e32 v18, 0x7f800001
	s_and_saveexec_b64 s[10:11], vcc
	s_cbranch_execz .LBB579_441
; %bb.440:
	v_and_b32_e32 v18, 7, v14
	v_ffbh_u32_e32 v27, v18
	v_min_u32_e32 v27, 32, v27
	v_subrev_u32_e32 v28, 28, v27
	v_lshlrev_b64 v[28:29], v28, v[14:15]
	v_lshrrev_b32_e32 v25, 3, v23
	v_sub_u32_e32 v14, 29, v27
	v_and_b32_e32 v27, 7, v28
	v_cmp_gt_u32_e32 vcc, 8, v23
	v_mov_b32_e32 v23, 24
	v_cndmask_b32_e32 v14, v25, v14, vcc
	v_cndmask_b32_e32 v18, v18, v27, vcc
	v_lshlrev_b32_sdwa v23, v23, v15 dst_sel:DWORD dst_unused:UNUSED_PAD src0_sel:DWORD src1_sel:WORD_1
	v_bfrev_b32_e32 v25, 60
	v_lshlrev_b32_e32 v18, 20, v18
	v_and_b32_e32 v23, 0x80000000, v23
	v_lshl_add_u32 v14, v14, 23, v25
	v_or3_b32 v18, v23, v14, v18
.LBB579_441:
	s_or_b64 exec, exec, s[10:11]
.LBB579_442:
	s_or_b64 exec, exec, s[8:9]
.LBB579_443:
	s_or_b64 exec, exec, s[2:3]
	s_mov_b32 s2, 0xffffff
	v_cmp_lt_u32_e32 vcc, s2, v15
	v_mov_b32_e32 v23, 0
	v_mov_b32_e32 v25, 0
	s_and_saveexec_b64 s[2:3], vcc
	s_cbranch_execz .LBB579_449
; %bb.444:
	v_lshrrev_b32_e32 v14, 24, v15
	s_movk_i32 s7, 0x80
	v_cmp_ne_u32_e32 vcc, s7, v14
	v_bfrev_b32_e32 v25, 1
	s_and_saveexec_b64 s[8:9], vcc
	s_cbranch_execz .LBB579_448
; %bb.445:
	v_bfe_u32 v15, v15, 24, 7
	s_movk_i32 s7, 0x7f
	v_cmp_ne_u32_e32 vcc, s7, v15
	v_mov_b32_e32 v25, 0x7f800001
	s_and_saveexec_b64 s[10:11], vcc
	s_cbranch_execz .LBB579_447
; %bb.446:
	v_and_b32_e32 v25, 7, v14
	v_ffbh_u32_e32 v28, v25
	v_min_u32_e32 v30, 32, v28
	v_subrev_u32_e32 v28, 28, v30
	v_lshlrev_b64 v[28:29], v28, v[14:15]
	v_lshrrev_b32_e32 v27, 3, v15
	v_sub_u32_e32 v29, 29, v30
	v_and_b32_e32 v28, 7, v28
	v_cmp_gt_u32_e32 vcc, 8, v15
	v_cndmask_b32_e32 v15, v27, v29, vcc
	v_cndmask_b32_e32 v25, v25, v28, vcc
	v_lshlrev_b32_e32 v14, 24, v14
	v_bfrev_b32_e32 v27, 60
	v_lshlrev_b32_e32 v25, 20, v25
	v_and_b32_e32 v14, 0x80000000, v14
	v_lshl_add_u32 v15, v15, 23, v27
	v_or3_b32 v25, v14, v15, v25
.LBB579_447:
	s_or_b64 exec, exec, s[10:11]
.LBB579_448:
	s_or_b64 exec, exec, s[8:9]
.LBB579_449:
	s_or_b64 exec, exec, s[2:3]
	v_cvt_pkrtz_f16_f32 v15, v19, v22
	v_lshl_or_b32 v22, v1, 9, v48
	v_cvt_pkrtz_f16_f32 v14, v32, v20
	ds_read_b128 v[28:31], v22
	v_cmp_ne_u16_sdwa s[8:9], v16, v23 src0_sel:BYTE_0 src1_sel:DWORD
	s_waitcnt lgkmcnt(0)
	v_mfma_f32_16x16x16f16 v[32:35], v[14:15], v[28:29], 0
	v_cvt_pkrtz_f16_f32 v14, v21, v24
	v_cvt_pkrtz_f16_f32 v15, v18, v25
	s_nop 1
	v_mfma_f32_16x16x16f16 v[18:21], v[14:15], v[30:31], v[32:35]
	s_and_saveexec_b64 s[2:3], s[8:9]
	s_cbranch_execz .LBB579_455
; %bb.450:
	s_movk_i32 s7, 0x80
	v_cmp_ne_u16_sdwa s[10:11], v16, s7 src0_sel:BYTE_0 src1_sel:DWORD
	v_bfrev_b32_e32 v23, 1
	s_and_saveexec_b64 s[8:9], s[10:11]
	s_cbranch_execz .LBB579_454
; %bb.451:
	s_movk_i32 s7, 0x7f
	v_and_b32_e32 v14, 0x7f, v16
	v_cmp_ne_u32_e32 vcc, s7, v14
	v_mov_b32_e32 v23, 0x7f800001
	s_and_saveexec_b64 s[10:11], vcc
	s_cbranch_execz .LBB579_453
; %bb.452:
	v_and_b32_e32 v15, 7, v16
	v_ffbh_u32_e32 v24, v15
	v_min_u32_e32 v27, 32, v24
	v_subrev_u32_e32 v24, 28, v27
	v_lshlrev_b64 v[24:25], v24, v[16:17]
	v_lshrrev_b32_e32 v23, 3, v14
	v_sub_u32_e32 v25, 29, v27
	v_and_b32_e32 v24, 7, v24
	v_cmp_gt_u32_e32 vcc, 8, v14
	v_cndmask_b32_e32 v14, v23, v25, vcc
	v_cndmask_b32_e32 v15, v15, v24, vcc
	v_lshlrev_b32_e32 v23, 24, v16
	v_bfrev_b32_e32 v24, 60
	v_lshlrev_b32_e32 v15, 20, v15
	v_and_b32_e32 v23, 0x80000000, v23
	v_lshl_add_u32 v14, v14, 23, v24
	v_or3_b32 v23, v23, v14, v15
.LBB579_453:
	s_or_b64 exec, exec, s[10:11]
.LBB579_454:
	s_or_b64 exec, exec, s[8:9]
.LBB579_455:
	s_or_b64 exec, exec, s[2:3]
	v_lshrrev_b16_e32 v14, 8, v16
	v_cmp_ne_u16_e32 vcc, 0, v14
	v_mov_b32_e32 v15, 0
	v_mov_b32_e32 v25, 0
	s_and_saveexec_b64 s[2:3], vcc
	s_cbranch_execz .LBB579_461
; %bb.456:
	s_movk_i32 s7, 0x80
	v_cmp_ne_u16_e32 vcc, s7, v14
	v_bfrev_b32_e32 v25, 1
	s_and_saveexec_b64 s[8:9], vcc
	s_cbranch_execz .LBB579_460
; %bb.457:
	s_movk_i32 s7, 0x7f
	v_and_b32_e32 v24, 0x7f, v14
	v_cmp_ne_u32_e32 vcc, s7, v24
	v_mov_b32_e32 v25, 0x7f800001
	s_and_saveexec_b64 s[10:11], vcc
	s_cbranch_execz .LBB579_459
; %bb.458:
	v_and_b32_e32 v25, 7, v14
	v_ffbh_u32_e32 v28, v25
	v_min_u32_e32 v30, 32, v28
	v_subrev_u32_e32 v28, 28, v30
	v_lshlrev_b64 v[28:29], v28, v[14:15]
	v_lshrrev_b32_e32 v27, 3, v24
	v_sub_u32_e32 v14, 29, v30
	v_and_b32_e32 v28, 7, v28
	v_cmp_gt_u32_e32 vcc, 8, v24
	v_cndmask_b32_e32 v14, v27, v14, vcc
	v_cndmask_b32_e32 v24, v25, v28, vcc
	v_lshlrev_b32_e32 v25, 16, v16
	v_bfrev_b32_e32 v27, 60
	v_lshlrev_b32_e32 v24, 20, v24
	v_and_b32_e32 v25, 0x80000000, v25
	v_lshl_add_u32 v14, v14, 23, v27
	v_or3_b32 v25, v25, v14, v24
.LBB579_459:
	s_or_b64 exec, exec, s[10:11]
.LBB579_460:
	s_or_b64 exec, exec, s[8:9]
.LBB579_461:
	s_or_b64 exec, exec, s[2:3]
	s_movk_i32 s2, 0xff
	v_and_b32_sdwa v24, v16, s2 dst_sel:DWORD dst_unused:UNUSED_PAD src0_sel:WORD_1 src1_sel:DWORD
	v_lshrrev_b32_e32 v14, 16, v16
	v_cmp_ne_u16_e32 vcc, 0, v24
	s_and_saveexec_b64 s[2:3], vcc
	s_cbranch_execz .LBB579_467
; %bb.462:
	s_movk_i32 s7, 0x80
	v_cmp_ne_u16_e32 vcc, s7, v24
	v_bfrev_b32_e32 v15, 1
	s_and_saveexec_b64 s[8:9], vcc
	s_cbranch_execz .LBB579_466
; %bb.463:
	v_bfe_u32 v24, v16, 16, 7
	s_movk_i32 s7, 0x7f
	v_cmp_ne_u32_e32 vcc, s7, v24
	v_mov_b32_e32 v15, 0x7f800001
	s_and_saveexec_b64 s[10:11], vcc
	s_cbranch_execz .LBB579_465
; %bb.464:
	v_and_b32_e32 v27, 7, v14
	v_ffbh_u32_e32 v15, v27
	v_min_u32_e32 v29, 32, v15
	v_subrev_u32_e32 v15, 28, v29
	v_lshlrev_b64 v[14:15], v15, v[14:15]
	v_lshrrev_b32_e32 v28, 3, v24
	v_sub_u32_e32 v15, 29, v29
	v_and_b32_e32 v14, 7, v14
	v_cmp_gt_u32_e32 vcc, 8, v24
	v_mov_b32_e32 v24, 24
	v_cndmask_b32_e32 v15, v28, v15, vcc
	v_cndmask_b32_e32 v14, v27, v14, vcc
	v_lshlrev_b32_sdwa v24, v24, v16 dst_sel:DWORD dst_unused:UNUSED_PAD src0_sel:DWORD src1_sel:WORD_1
	v_bfrev_b32_e32 v27, 60
	v_lshlrev_b32_e32 v14, 20, v14
	v_and_b32_e32 v24, 0x80000000, v24
	v_lshl_add_u32 v15, v15, 23, v27
	v_or3_b32 v15, v24, v15, v14
.LBB579_465:
	s_or_b64 exec, exec, s[10:11]
.LBB579_466:
	s_or_b64 exec, exec, s[8:9]
.LBB579_467:
	s_or_b64 exec, exec, s[2:3]
	s_mov_b32 s2, 0xffffff
	v_cmp_lt_u32_e32 vcc, s2, v16
	v_mov_b32_e32 v27, 0
	v_mov_b32_e32 v28, 0
	s_and_saveexec_b64 s[2:3], vcc
	s_cbranch_execz .LBB579_473
; %bb.468:
	v_lshrrev_b32_e32 v14, 24, v16
	s_movk_i32 s7, 0x80
	v_cmp_ne_u32_e32 vcc, s7, v14
	v_bfrev_b32_e32 v28, 1
	s_and_saveexec_b64 s[8:9], vcc
	s_cbranch_execz .LBB579_472
; %bb.469:
	v_bfe_u32 v16, v16, 24, 7
	s_movk_i32 s7, 0x7f
	v_cmp_ne_u32_e32 vcc, s7, v16
	v_mov_b32_e32 v28, 0x7f800001
	s_and_saveexec_b64 s[10:11], vcc
	s_cbranch_execz .LBB579_471
; %bb.470:
	v_and_b32_e32 v24, 7, v14
	v_ffbh_u32_e32 v28, v24
	v_min_u32_e32 v31, 32, v28
	v_subrev_u32_e32 v28, 28, v31
	v_lshlrev_b64 v[28:29], v28, v[14:15]
	v_lshrrev_b32_e32 v30, 3, v16
	v_sub_u32_e32 v29, 29, v31
	v_and_b32_e32 v28, 7, v28
	v_cmp_gt_u32_e32 vcc, 8, v16
	v_cndmask_b32_e32 v16, v30, v29, vcc
	v_cndmask_b32_e32 v24, v24, v28, vcc
	v_lshlrev_b32_e32 v14, 24, v14
	v_bfrev_b32_e32 v28, 60
	v_lshlrev_b32_e32 v24, 20, v24
	v_and_b32_e32 v14, 0x80000000, v14
	v_lshl_add_u32 v16, v16, 23, v28
	v_or3_b32 v28, v14, v16, v24
.LBB579_471:
	s_or_b64 exec, exec, s[10:11]
.LBB579_472:
	s_or_b64 exec, exec, s[8:9]
.LBB579_473:
	s_or_b64 exec, exec, s[2:3]
	v_cmp_ne_u16_sdwa s[8:9], v17, v27 src0_sel:BYTE_0 src1_sel:DWORD
	s_and_saveexec_b64 s[2:3], s[8:9]
	s_cbranch_execz .LBB579_479
; %bb.474:
	s_movk_i32 s7, 0x80
	v_cmp_ne_u16_sdwa s[10:11], v17, s7 src0_sel:BYTE_0 src1_sel:DWORD
	v_bfrev_b32_e32 v27, 1
	s_and_saveexec_b64 s[8:9], s[10:11]
	s_cbranch_execz .LBB579_478
; %bb.475:
	s_movk_i32 s7, 0x7f
	v_and_b32_e32 v14, 0x7f, v17
	v_cmp_ne_u32_e32 vcc, s7, v14
	v_mov_b32_e32 v27, 0x7f800001
	s_and_saveexec_b64 s[10:11], vcc
	s_cbranch_execz .LBB579_477
; %bb.476:
	v_and_b32_e32 v24, 7, v17
	v_ffbh_u32_e32 v29, v24
	v_min_u32_e32 v29, 32, v29
	v_mov_b32_e32 v16, v17
	v_subrev_u32_e32 v30, 28, v29
	v_lshlrev_b64 v[30:31], v30, v[16:17]
	v_lshrrev_b32_e32 v27, 3, v14
	v_sub_u32_e32 v16, 29, v29
	v_and_b32_e32 v29, 7, v30
	v_cmp_gt_u32_e32 vcc, 8, v14
	v_cndmask_b32_e32 v14, v27, v16, vcc
	v_cndmask_b32_e32 v16, v24, v29, vcc
	v_lshlrev_b32_e32 v24, 24, v17
	v_bfrev_b32_e32 v27, 60
	v_lshlrev_b32_e32 v16, 20, v16
	v_and_b32_e32 v24, 0x80000000, v24
	v_lshl_add_u32 v14, v14, 23, v27
	v_or3_b32 v27, v24, v14, v16
.LBB579_477:
	s_or_b64 exec, exec, s[10:11]
.LBB579_478:
	s_or_b64 exec, exec, s[8:9]
.LBB579_479:
	s_or_b64 exec, exec, s[2:3]
	v_lshrrev_b16_e32 v14, 8, v17
	v_cmp_ne_u16_e32 vcc, 0, v14
	v_mov_b32_e32 v16, 0
	v_mov_b32_e32 v29, 0
	s_and_saveexec_b64 s[2:3], vcc
	s_cbranch_execz .LBB579_485
; %bb.480:
	s_movk_i32 s7, 0x80
	v_cmp_ne_u16_e32 vcc, s7, v14
	v_bfrev_b32_e32 v29, 1
	s_and_saveexec_b64 s[8:9], vcc
	s_cbranch_execz .LBB579_484
; %bb.481:
	s_movk_i32 s7, 0x7f
	v_and_b32_e32 v24, 0x7f, v14
	v_cmp_ne_u32_e32 vcc, s7, v24
	v_mov_b32_e32 v29, 0x7f800001
	s_and_saveexec_b64 s[10:11], vcc
	s_cbranch_execz .LBB579_483
; %bb.482:
	v_and_b32_e32 v29, 7, v14
	v_ffbh_u32_e32 v30, v29
	v_min_u32_e32 v33, 32, v30
	v_subrev_u32_e32 v30, 28, v33
	v_lshlrev_b64 v[30:31], v30, v[14:15]
	v_lshrrev_b32_e32 v32, 3, v24
	v_sub_u32_e32 v14, 29, v33
	v_and_b32_e32 v30, 7, v30
	v_cmp_gt_u32_e32 vcc, 8, v24
	v_cndmask_b32_e32 v14, v32, v14, vcc
	v_cndmask_b32_e32 v24, v29, v30, vcc
	v_lshlrev_b32_e32 v29, 16, v17
	v_bfrev_b32_e32 v30, 60
	v_lshlrev_b32_e32 v24, 20, v24
	v_and_b32_e32 v29, 0x80000000, v29
	v_lshl_add_u32 v14, v14, 23, v30
	v_or3_b32 v29, v29, v14, v24
.LBB579_483:
	s_or_b64 exec, exec, s[10:11]
.LBB579_484:
	s_or_b64 exec, exec, s[8:9]
.LBB579_485:
	s_or_b64 exec, exec, s[2:3]
	s_movk_i32 s2, 0xff
	v_and_b32_sdwa v24, v17, s2 dst_sel:DWORD dst_unused:UNUSED_PAD src0_sel:WORD_1 src1_sel:DWORD
	v_lshrrev_b32_e32 v14, 16, v17
	v_cmp_ne_u16_e32 vcc, 0, v24
	s_and_saveexec_b64 s[2:3], vcc
	s_cbranch_execz .LBB579_491
; %bb.486:
	s_movk_i32 s7, 0x80
	v_cmp_ne_u16_e32 vcc, s7, v24
	v_bfrev_b32_e32 v16, 1
	s_and_saveexec_b64 s[8:9], vcc
	s_cbranch_execz .LBB579_490
; %bb.487:
	v_bfe_u32 v24, v17, 16, 7
	s_movk_i32 s7, 0x7f
	v_cmp_ne_u32_e32 vcc, s7, v24
	v_mov_b32_e32 v16, 0x7f800001
	s_and_saveexec_b64 s[10:11], vcc
	s_cbranch_execz .LBB579_489
; %bb.488:
	v_and_b32_e32 v16, 7, v14
	v_ffbh_u32_e32 v30, v16
	v_min_u32_e32 v33, 32, v30
	v_subrev_u32_e32 v30, 28, v33
	v_lshlrev_b64 v[30:31], v30, v[14:15]
	v_lshrrev_b32_e32 v32, 3, v24
	v_sub_u32_e32 v14, 29, v33
	v_and_b32_e32 v30, 7, v30
	v_cmp_gt_u32_e32 vcc, 8, v24
	v_mov_b32_e32 v24, 24
	v_cndmask_b32_e32 v14, v32, v14, vcc
	v_cndmask_b32_e32 v16, v16, v30, vcc
	v_lshlrev_b32_sdwa v24, v24, v17 dst_sel:DWORD dst_unused:UNUSED_PAD src0_sel:DWORD src1_sel:WORD_1
	v_bfrev_b32_e32 v30, 60
	v_lshlrev_b32_e32 v16, 20, v16
	v_and_b32_e32 v24, 0x80000000, v24
	v_lshl_add_u32 v14, v14, 23, v30
	v_or3_b32 v16, v24, v14, v16
.LBB579_489:
	s_or_b64 exec, exec, s[10:11]
.LBB579_490:
	s_or_b64 exec, exec, s[8:9]
.LBB579_491:
	s_or_b64 exec, exec, s[2:3]
	s_mov_b32 s2, 0xffffff
	v_cmp_lt_u32_e32 vcc, s2, v17
	v_mov_b32_e32 v24, 0
	v_mov_b32_e32 v30, 0
	s_and_saveexec_b64 s[2:3], vcc
	s_cbranch_execz .LBB579_497
; %bb.492:
	v_lshrrev_b32_e32 v14, 24, v17
	s_movk_i32 s7, 0x80
	v_cmp_ne_u32_e32 vcc, s7, v14
	v_bfrev_b32_e32 v30, 1
	s_and_saveexec_b64 s[8:9], vcc
	s_cbranch_execz .LBB579_496
; %bb.493:
	v_bfe_u32 v17, v17, 24, 7
	s_movk_i32 s7, 0x7f
	v_cmp_ne_u32_e32 vcc, s7, v17
	v_mov_b32_e32 v30, 0x7f800001
	s_and_saveexec_b64 s[10:11], vcc
	s_cbranch_execz .LBB579_495
; %bb.494:
	v_and_b32_e32 v32, 7, v14
	v_ffbh_u32_e32 v30, v32
	v_min_u32_e32 v34, 32, v30
	v_subrev_u32_e32 v30, 28, v34
	v_lshlrev_b64 v[30:31], v30, v[14:15]
	v_lshrrev_b32_e32 v33, 3, v17
	v_sub_u32_e32 v31, 29, v34
	v_and_b32_e32 v30, 7, v30
	v_cmp_gt_u32_e32 vcc, 8, v17
	v_cndmask_b32_e32 v17, v33, v31, vcc
	v_cndmask_b32_e32 v30, v32, v30, vcc
	v_lshlrev_b32_e32 v14, 24, v14
	v_bfrev_b32_e32 v31, 60
	v_lshlrev_b32_e32 v30, 20, v30
	v_and_b32_e32 v14, 0x80000000, v14
	v_lshl_add_u32 v17, v17, 23, v31
	v_or3_b32 v30, v14, v17, v30
.LBB579_495:
	s_or_b64 exec, exec, s[10:11]
.LBB579_496:
	s_or_b64 exec, exec, s[8:9]
.LBB579_497:
	s_or_b64 exec, exec, s[2:3]
	v_cvt_pkrtz_f16_f32 v14, v23, v25
	v_cvt_pkrtz_f16_f32 v15, v15, v28
	ds_read_b128 v[32:35], v22 offset:16
	s_waitcnt vmcnt(2)
	v_cmp_ne_u16_sdwa s[8:9], v10, v24 src0_sel:BYTE_0 src1_sel:DWORD
	s_waitcnt lgkmcnt(0)
	v_mfma_f32_16x16x16f16 v[18:21], v[14:15], v[32:33], v[18:21]
	v_cvt_pkrtz_f16_f32 v14, v27, v29
	v_cvt_pkrtz_f16_f32 v15, v16, v30
	s_nop 1
	v_mfma_f32_16x16x16f16 v[14:17], v[14:15], v[34:35], v[18:21]
	s_and_saveexec_b64 s[2:3], s[8:9]
	s_cbranch_execz .LBB579_503
; %bb.498:
	s_movk_i32 s7, 0x80
	v_cmp_ne_u16_sdwa s[10:11], v10, s7 src0_sel:BYTE_0 src1_sel:DWORD
	v_bfrev_b32_e32 v24, 1
	s_and_saveexec_b64 s[8:9], s[10:11]
	s_cbranch_execz .LBB579_502
; %bb.499:
	s_movk_i32 s7, 0x7f
	v_and_b32_e32 v18, 0x7f, v10
	v_cmp_ne_u32_e32 vcc, s7, v18
	v_mov_b32_e32 v24, 0x7f800001
	s_and_saveexec_b64 s[10:11], vcc
	s_cbranch_execz .LBB579_501
; %bb.500:
	v_and_b32_e32 v19, 7, v10
	v_ffbh_u32_e32 v20, v19
	v_min_u32_e32 v24, 32, v20
	v_subrev_u32_e32 v20, 28, v24
	v_lshlrev_b64 v[20:21], v20, v[10:11]
	v_lshrrev_b32_e32 v23, 3, v18
	v_sub_u32_e32 v21, 29, v24
	v_and_b32_e32 v20, 7, v20
	v_cmp_gt_u32_e32 vcc, 8, v18
	v_cndmask_b32_e32 v18, v23, v21, vcc
	v_cndmask_b32_e32 v19, v19, v20, vcc
	v_lshlrev_b32_e32 v20, 24, v10
	v_bfrev_b32_e32 v21, 60
	v_lshlrev_b32_e32 v19, 20, v19
	v_and_b32_e32 v20, 0x80000000, v20
	v_lshl_add_u32 v18, v18, 23, v21
	v_or3_b32 v24, v20, v18, v19
.LBB579_501:
	s_or_b64 exec, exec, s[10:11]
.LBB579_502:
	s_or_b64 exec, exec, s[8:9]
.LBB579_503:
	s_or_b64 exec, exec, s[2:3]
	s_nop 3
	v_lshrrev_b16_e32 v18, 8, v10
	v_cmp_ne_u16_e32 vcc, 0, v18
	v_mov_b32_e32 v19, 0
	v_mov_b32_e32 v20, 0
	s_and_saveexec_b64 s[2:3], vcc
	s_cbranch_execz .LBB579_509
; %bb.504:
	s_movk_i32 s7, 0x80
	v_cmp_ne_u16_e32 vcc, s7, v18
	v_bfrev_b32_e32 v20, 1
	s_and_saveexec_b64 s[8:9], vcc
	s_cbranch_execz .LBB579_508
; %bb.505:
	s_movk_i32 s7, 0x7f
	v_and_b32_e32 v21, 0x7f, v18
	v_cmp_ne_u32_e32 vcc, s7, v21
	v_mov_b32_e32 v20, 0x7f800001
	s_and_saveexec_b64 s[10:11], vcc
	s_cbranch_execz .LBB579_507
; %bb.506:
	v_and_b32_e32 v20, 7, v18
	v_ffbh_u32_e32 v25, v20
	v_min_u32_e32 v25, 32, v25
	v_subrev_u32_e32 v27, 28, v25
	v_lshlrev_b64 v[28:29], v27, v[18:19]
	v_lshrrev_b32_e32 v23, 3, v21
	v_sub_u32_e32 v18, 29, v25
	v_and_b32_e32 v25, 7, v28
	v_cmp_gt_u32_e32 vcc, 8, v21
	v_cndmask_b32_e32 v18, v23, v18, vcc
	v_cndmask_b32_e32 v20, v20, v25, vcc
	v_lshlrev_b32_e32 v21, 16, v10
	v_bfrev_b32_e32 v23, 60
	v_lshlrev_b32_e32 v20, 20, v20
	v_and_b32_e32 v21, 0x80000000, v21
	v_lshl_add_u32 v18, v18, 23, v23
	v_or3_b32 v20, v21, v18, v20
.LBB579_507:
	s_or_b64 exec, exec, s[10:11]
.LBB579_508:
	s_or_b64 exec, exec, s[8:9]
.LBB579_509:
	s_or_b64 exec, exec, s[2:3]
	s_movk_i32 s2, 0xff
	v_and_b32_sdwa v21, v10, s2 dst_sel:DWORD dst_unused:UNUSED_PAD src0_sel:WORD_1 src1_sel:DWORD
	v_lshrrev_b32_e32 v18, 16, v10
	v_cmp_ne_u16_e32 vcc, 0, v21
	s_and_saveexec_b64 s[2:3], vcc
	s_cbranch_execz .LBB579_515
; %bb.510:
	s_movk_i32 s7, 0x80
	v_cmp_ne_u16_e32 vcc, s7, v21
	v_bfrev_b32_e32 v19, 1
	s_and_saveexec_b64 s[8:9], vcc
	s_cbranch_execz .LBB579_514
; %bb.511:
	v_bfe_u32 v21, v10, 16, 7
	s_movk_i32 s7, 0x7f
	v_cmp_ne_u32_e32 vcc, s7, v21
	v_mov_b32_e32 v19, 0x7f800001
	s_and_saveexec_b64 s[10:11], vcc
	s_cbranch_execz .LBB579_513
; %bb.512:
	v_and_b32_e32 v23, 7, v18
	v_ffbh_u32_e32 v19, v23
	v_min_u32_e32 v27, 32, v19
	v_subrev_u32_e32 v19, 28, v27
	v_lshlrev_b64 v[18:19], v19, v[18:19]
	v_lshrrev_b32_e32 v25, 3, v21
	v_sub_u32_e32 v19, 29, v27
	v_and_b32_e32 v18, 7, v18
	v_cmp_gt_u32_e32 vcc, 8, v21
	v_mov_b32_e32 v21, 24
	v_cndmask_b32_e32 v19, v25, v19, vcc
	v_cndmask_b32_e32 v18, v23, v18, vcc
	v_lshlrev_b32_sdwa v21, v21, v10 dst_sel:DWORD dst_unused:UNUSED_PAD src0_sel:DWORD src1_sel:WORD_1
	v_bfrev_b32_e32 v23, 60
	v_lshlrev_b32_e32 v18, 20, v18
	v_and_b32_e32 v21, 0x80000000, v21
	v_lshl_add_u32 v19, v19, 23, v23
	v_or3_b32 v19, v21, v19, v18
.LBB579_513:
	s_or_b64 exec, exec, s[10:11]
.LBB579_514:
	s_or_b64 exec, exec, s[8:9]
.LBB579_515:
	s_or_b64 exec, exec, s[2:3]
	s_mov_b32 s2, 0xffffff
	v_cmp_lt_u32_e32 vcc, s2, v10
	v_mov_b32_e32 v21, 0
	v_mov_b32_e32 v23, 0
	s_and_saveexec_b64 s[2:3], vcc
	s_cbranch_execz .LBB579_521
; %bb.516:
	v_lshrrev_b32_e32 v18, 24, v10
	s_movk_i32 s7, 0x80
	v_cmp_ne_u32_e32 vcc, s7, v18
	v_bfrev_b32_e32 v23, 1
	s_and_saveexec_b64 s[8:9], vcc
	s_cbranch_execz .LBB579_520
; %bb.517:
	v_bfe_u32 v10, v10, 24, 7
	s_movk_i32 s7, 0x7f
	v_cmp_ne_u32_e32 vcc, s7, v10
	v_mov_b32_e32 v23, 0x7f800001
	s_and_saveexec_b64 s[10:11], vcc
	s_cbranch_execz .LBB579_519
; %bb.518:
	v_and_b32_e32 v23, 7, v18
	v_ffbh_u32_e32 v27, v23
	v_min_u32_e32 v27, 32, v27
	v_subrev_u32_e32 v28, 28, v27
	v_lshlrev_b64 v[28:29], v28, v[18:19]
	v_lshrrev_b32_e32 v25, 3, v10
	v_sub_u32_e32 v27, 29, v27
	v_and_b32_e32 v28, 7, v28
	v_cmp_gt_u32_e32 vcc, 8, v10
	v_cndmask_b32_e32 v10, v25, v27, vcc
	v_cndmask_b32_e32 v23, v23, v28, vcc
	v_lshlrev_b32_e32 v18, 24, v18
	v_bfrev_b32_e32 v25, 60
	v_lshlrev_b32_e32 v23, 20, v23
	v_and_b32_e32 v18, 0x80000000, v18
	v_lshl_add_u32 v10, v10, 23, v25
	v_or3_b32 v23, v18, v10, v23
.LBB579_519:
	s_or_b64 exec, exec, s[10:11]
.LBB579_520:
	s_or_b64 exec, exec, s[8:9]
.LBB579_521:
	s_or_b64 exec, exec, s[2:3]
	v_cmp_ne_u16_sdwa s[8:9], v11, v21 src0_sel:BYTE_0 src1_sel:DWORD
	s_and_saveexec_b64 s[2:3], s[8:9]
	s_cbranch_execz .LBB579_527
; %bb.522:
	s_movk_i32 s7, 0x80
	v_cmp_ne_u16_sdwa s[10:11], v11, s7 src0_sel:BYTE_0 src1_sel:DWORD
	v_bfrev_b32_e32 v21, 1
	s_and_saveexec_b64 s[8:9], s[10:11]
	s_cbranch_execz .LBB579_526
; %bb.523:
	s_movk_i32 s7, 0x7f
	v_and_b32_e32 v10, 0x7f, v11
	v_cmp_ne_u32_e32 vcc, s7, v10
	v_mov_b32_e32 v21, 0x7f800001
	s_and_saveexec_b64 s[10:11], vcc
	s_cbranch_execz .LBB579_525
; %bb.524:
	v_and_b32_e32 v21, 7, v11
	v_ffbh_u32_e32 v27, v21
	v_min_u32_e32 v27, 32, v27
	v_mov_b32_e32 v18, v11
	v_subrev_u32_e32 v28, 28, v27
	v_lshlrev_b64 v[28:29], v28, v[18:19]
	v_lshrrev_b32_e32 v25, 3, v10
	v_sub_u32_e32 v18, 29, v27
	v_and_b32_e32 v27, 7, v28
	v_cmp_gt_u32_e32 vcc, 8, v10
	v_cndmask_b32_e32 v10, v25, v18, vcc
	v_cndmask_b32_e32 v18, v21, v27, vcc
	v_lshlrev_b32_e32 v21, 24, v11
	v_bfrev_b32_e32 v25, 60
	v_lshlrev_b32_e32 v18, 20, v18
	v_and_b32_e32 v21, 0x80000000, v21
	v_lshl_add_u32 v10, v10, 23, v25
	v_or3_b32 v21, v21, v10, v18
.LBB579_525:
	s_or_b64 exec, exec, s[10:11]
.LBB579_526:
	s_or_b64 exec, exec, s[8:9]
.LBB579_527:
	s_or_b64 exec, exec, s[2:3]
	v_lshrrev_b16_e32 v10, 8, v11
	v_cmp_ne_u16_e32 vcc, 0, v10
	v_mov_b32_e32 v25, 0
	v_mov_b32_e32 v27, 0
	s_and_saveexec_b64 s[2:3], vcc
	s_cbranch_execz .LBB579_533
; %bb.528:
	s_movk_i32 s7, 0x80
	v_cmp_ne_u16_e32 vcc, s7, v10
	v_bfrev_b32_e32 v27, 1
	s_and_saveexec_b64 s[8:9], vcc
	s_cbranch_execz .LBB579_532
; %bb.529:
	s_movk_i32 s7, 0x7f
	v_and_b32_e32 v18, 0x7f, v10
	v_cmp_ne_u32_e32 vcc, s7, v18
	v_mov_b32_e32 v27, 0x7f800001
	s_and_saveexec_b64 s[10:11], vcc
	s_cbranch_execz .LBB579_531
; %bb.530:
	v_and_b32_e32 v27, 7, v10
	v_ffbh_u32_e32 v28, v27
	v_min_u32_e32 v31, 32, v28
	v_subrev_u32_e32 v28, 28, v31
	v_lshlrev_b64 v[28:29], v28, v[10:11]
	v_lshrrev_b32_e32 v30, 3, v18
	v_sub_u32_e32 v10, 29, v31
	v_and_b32_e32 v28, 7, v28
	v_cmp_gt_u32_e32 vcc, 8, v18
	v_cndmask_b32_e32 v10, v30, v10, vcc
	v_cndmask_b32_e32 v18, v27, v28, vcc
	v_lshlrev_b32_e32 v27, 16, v11
	v_bfrev_b32_e32 v28, 60
	v_lshlrev_b32_e32 v18, 20, v18
	v_and_b32_e32 v27, 0x80000000, v27
	v_lshl_add_u32 v10, v10, 23, v28
	v_or3_b32 v27, v27, v10, v18
.LBB579_531:
	s_or_b64 exec, exec, s[10:11]
.LBB579_532:
	s_or_b64 exec, exec, s[8:9]
.LBB579_533:
	s_or_b64 exec, exec, s[2:3]
	s_movk_i32 s2, 0xff
	v_and_b32_sdwa v18, v11, s2 dst_sel:DWORD dst_unused:UNUSED_PAD src0_sel:WORD_1 src1_sel:DWORD
	v_lshrrev_b32_e32 v10, 16, v11
	v_cmp_ne_u16_e32 vcc, 0, v18
	s_and_saveexec_b64 s[2:3], vcc
	s_cbranch_execz .LBB579_539
; %bb.534:
	s_movk_i32 s7, 0x80
	v_cmp_ne_u16_e32 vcc, s7, v18
	v_bfrev_b32_e32 v25, 1
	s_and_saveexec_b64 s[8:9], vcc
	s_cbranch_execz .LBB579_538
; %bb.535:
	v_bfe_u32 v18, v11, 16, 7
	s_movk_i32 s7, 0x7f
	v_cmp_ne_u32_e32 vcc, s7, v18
	v_mov_b32_e32 v25, 0x7f800001
	s_and_saveexec_b64 s[10:11], vcc
	s_cbranch_execz .LBB579_537
; %bb.536:
	v_and_b32_e32 v25, 7, v10
	v_ffbh_u32_e32 v28, v25
	v_min_u32_e32 v31, 32, v28
	v_subrev_u32_e32 v28, 28, v31
	v_lshlrev_b64 v[28:29], v28, v[10:11]
	v_and_b32_e32 v28, 7, v28
	v_cmp_gt_u32_e32 vcc, 8, v18
	v_lshrrev_b32_e32 v30, 3, v18
	v_sub_u32_e32 v10, 29, v31
	v_cndmask_b32_e32 v18, v25, v28, vcc
	v_mov_b32_e32 v25, 24
	v_cndmask_b32_e32 v10, v30, v10, vcc
	v_lshlrev_b32_sdwa v25, v25, v11 dst_sel:DWORD dst_unused:UNUSED_PAD src0_sel:DWORD src1_sel:WORD_1
	v_bfrev_b32_e32 v28, 60
	v_lshlrev_b32_e32 v18, 20, v18
	v_and_b32_e32 v25, 0x80000000, v25
	v_lshl_add_u32 v10, v10, 23, v28
	v_or3_b32 v25, v25, v10, v18
.LBB579_537:
	s_or_b64 exec, exec, s[10:11]
.LBB579_538:
	s_or_b64 exec, exec, s[8:9]
.LBB579_539:
	s_or_b64 exec, exec, s[2:3]
	s_mov_b32 s2, 0xffffff
	v_cmp_lt_u32_e32 vcc, s2, v11
	v_mov_b32_e32 v18, 0
	v_mov_b32_e32 v28, 0
	s_and_saveexec_b64 s[2:3], vcc
	s_cbranch_execz .LBB579_545
; %bb.540:
	v_lshrrev_b32_e32 v10, 24, v11
	s_movk_i32 s7, 0x80
	v_cmp_ne_u32_e32 vcc, s7, v10
	v_bfrev_b32_e32 v28, 1
	s_and_saveexec_b64 s[8:9], vcc
	s_cbranch_execz .LBB579_544
; %bb.541:
	v_bfe_u32 v11, v11, 24, 7
	s_movk_i32 s7, 0x7f
	v_cmp_ne_u32_e32 vcc, s7, v11
	v_mov_b32_e32 v28, 0x7f800001
	s_and_saveexec_b64 s[10:11], vcc
	s_cbranch_execz .LBB579_543
; %bb.542:
	v_and_b32_e32 v30, 7, v10
	v_ffbh_u32_e32 v28, v30
	v_min_u32_e32 v32, 32, v28
	v_subrev_u32_e32 v28, 28, v32
	v_lshlrev_b64 v[28:29], v28, v[10:11]
	v_lshrrev_b32_e32 v31, 3, v11
	v_sub_u32_e32 v29, 29, v32
	v_and_b32_e32 v28, 7, v28
	v_cmp_gt_u32_e32 vcc, 8, v11
	v_cndmask_b32_e32 v11, v31, v29, vcc
	v_cndmask_b32_e32 v28, v30, v28, vcc
	v_lshlrev_b32_e32 v10, 24, v10
	v_bfrev_b32_e32 v29, 60
	v_lshlrev_b32_e32 v28, 20, v28
	v_and_b32_e32 v10, 0x80000000, v10
	v_lshl_add_u32 v11, v11, 23, v29
	v_or3_b32 v28, v10, v11, v28
.LBB579_543:
	s_or_b64 exec, exec, s[10:11]
.LBB579_544:
	s_or_b64 exec, exec, s[8:9]
.LBB579_545:
	s_or_b64 exec, exec, s[2:3]
	v_cvt_pkrtz_f16_f32 v10, v24, v20
	v_cvt_pkrtz_f16_f32 v11, v19, v23
	ds_read_b128 v[30:33], v22 offset:2048
	v_cmp_ne_u16_sdwa s[8:9], v12, v18 src0_sel:BYTE_0 src1_sel:DWORD
	s_waitcnt lgkmcnt(0)
	v_mfma_f32_16x16x16f16 v[14:17], v[10:11], v[30:31], v[14:17]
	v_cvt_pkrtz_f16_f32 v10, v21, v27
	v_cvt_pkrtz_f16_f32 v11, v25, v28
	s_nop 1
	v_mfma_f32_16x16x16f16 v[14:17], v[10:11], v[32:33], v[14:17]
	s_and_saveexec_b64 s[2:3], s[8:9]
	s_cbranch_execz .LBB579_551
; %bb.546:
	s_movk_i32 s7, 0x80
	v_cmp_ne_u16_sdwa s[10:11], v12, s7 src0_sel:BYTE_0 src1_sel:DWORD
	v_bfrev_b32_e32 v18, 1
	s_and_saveexec_b64 s[8:9], s[10:11]
	s_cbranch_execz .LBB579_550
; %bb.547:
	s_movk_i32 s7, 0x7f
	v_and_b32_e32 v10, 0x7f, v12
	v_cmp_ne_u32_e32 vcc, s7, v10
	v_mov_b32_e32 v18, 0x7f800001
	s_and_saveexec_b64 s[10:11], vcc
	s_cbranch_execz .LBB579_549
; %bb.548:
	v_and_b32_e32 v11, 7, v12
	v_ffbh_u32_e32 v18, v11
	v_min_u32_e32 v21, 32, v18
	v_subrev_u32_e32 v18, 28, v21
	v_lshlrev_b64 v[18:19], v18, v[12:13]
	v_lshrrev_b32_e32 v20, 3, v10
	v_sub_u32_e32 v19, 29, v21
	v_and_b32_e32 v18, 7, v18
	v_cmp_gt_u32_e32 vcc, 8, v10
	v_cndmask_b32_e32 v10, v20, v19, vcc
	v_cndmask_b32_e32 v11, v11, v18, vcc
	v_lshlrev_b32_e32 v18, 24, v12
	v_bfrev_b32_e32 v19, 60
	v_lshlrev_b32_e32 v11, 20, v11
	v_and_b32_e32 v18, 0x80000000, v18
	v_lshl_add_u32 v10, v10, 23, v19
	v_or3_b32 v18, v18, v10, v11
.LBB579_549:
	s_or_b64 exec, exec, s[10:11]
.LBB579_550:
	s_or_b64 exec, exec, s[8:9]
.LBB579_551:
	s_or_b64 exec, exec, s[2:3]
	v_lshrrev_b16_e32 v10, 8, v12
	v_cmp_ne_u16_e32 vcc, 0, v10
	v_mov_b32_e32 v11, 0
	v_mov_b32_e32 v20, 0
	s_and_saveexec_b64 s[2:3], vcc
	s_cbranch_execz .LBB579_557
; %bb.552:
	s_movk_i32 s7, 0x80
	v_cmp_ne_u16_e32 vcc, s7, v10
	v_bfrev_b32_e32 v20, 1
	s_and_saveexec_b64 s[8:9], vcc
	s_cbranch_execz .LBB579_556
; %bb.553:
	s_movk_i32 s7, 0x7f
	v_and_b32_e32 v19, 0x7f, v10
	v_cmp_ne_u32_e32 vcc, s7, v19
	v_mov_b32_e32 v20, 0x7f800001
	s_and_saveexec_b64 s[10:11], vcc
	s_cbranch_execz .LBB579_555
; %bb.554:
	v_and_b32_e32 v23, 7, v10
	v_ffbh_u32_e32 v20, v23
	v_min_u32_e32 v25, 32, v20
	v_subrev_u32_e32 v20, 28, v25
	v_lshlrev_b64 v[20:21], v20, v[10:11]
	v_lshrrev_b32_e32 v24, 3, v19
	v_sub_u32_e32 v10, 29, v25
	v_and_b32_e32 v20, 7, v20
	v_cmp_gt_u32_e32 vcc, 8, v19
	v_cndmask_b32_e32 v10, v24, v10, vcc
	v_cndmask_b32_e32 v19, v23, v20, vcc
	v_lshlrev_b32_e32 v20, 16, v12
	v_bfrev_b32_e32 v21, 60
	v_lshlrev_b32_e32 v19, 20, v19
	v_and_b32_e32 v20, 0x80000000, v20
	v_lshl_add_u32 v10, v10, 23, v21
	v_or3_b32 v20, v20, v10, v19
.LBB579_555:
	s_or_b64 exec, exec, s[10:11]
.LBB579_556:
	s_or_b64 exec, exec, s[8:9]
.LBB579_557:
	s_or_b64 exec, exec, s[2:3]
	s_movk_i32 s2, 0xff
	v_and_b32_sdwa v19, v12, s2 dst_sel:DWORD dst_unused:UNUSED_PAD src0_sel:WORD_1 src1_sel:DWORD
	v_lshrrev_b32_e32 v10, 16, v12
	v_cmp_ne_u16_e32 vcc, 0, v19
	s_and_saveexec_b64 s[2:3], vcc
	s_cbranch_execz .LBB579_563
; %bb.558:
	s_movk_i32 s7, 0x80
	v_cmp_ne_u16_e32 vcc, s7, v19
	v_bfrev_b32_e32 v11, 1
	s_and_saveexec_b64 s[8:9], vcc
	s_cbranch_execz .LBB579_562
; %bb.559:
	v_bfe_u32 v19, v12, 16, 7
	s_movk_i32 s7, 0x7f
	v_cmp_ne_u32_e32 vcc, s7, v19
	v_mov_b32_e32 v11, 0x7f800001
	s_and_saveexec_b64 s[10:11], vcc
	s_cbranch_execz .LBB579_561
; %bb.560:
	v_and_b32_e32 v21, 7, v10
	v_ffbh_u32_e32 v11, v21
	v_min_u32_e32 v24, 32, v11
	v_subrev_u32_e32 v11, 28, v24
	v_lshlrev_b64 v[10:11], v11, v[10:11]
	v_lshrrev_b32_e32 v23, 3, v19
	v_sub_u32_e32 v11, 29, v24
	v_and_b32_e32 v10, 7, v10
	v_cmp_gt_u32_e32 vcc, 8, v19
	v_mov_b32_e32 v19, 24
	v_cndmask_b32_e32 v11, v23, v11, vcc
	v_cndmask_b32_e32 v10, v21, v10, vcc
	v_lshlrev_b32_sdwa v19, v19, v12 dst_sel:DWORD dst_unused:UNUSED_PAD src0_sel:DWORD src1_sel:WORD_1
	v_bfrev_b32_e32 v21, 60
	v_lshlrev_b32_e32 v10, 20, v10
	v_and_b32_e32 v19, 0x80000000, v19
	v_lshl_add_u32 v11, v11, 23, v21
	v_or3_b32 v11, v19, v11, v10
.LBB579_561:
	s_or_b64 exec, exec, s[10:11]
.LBB579_562:
	s_or_b64 exec, exec, s[8:9]
.LBB579_563:
	s_or_b64 exec, exec, s[2:3]
	s_mov_b32 s2, 0xffffff
	v_cmp_lt_u32_e32 vcc, s2, v12
	v_mov_b32_e32 v21, 0
	v_mov_b32_e32 v23, 0
	s_and_saveexec_b64 s[2:3], vcc
	s_cbranch_execz .LBB579_569
; %bb.564:
	v_lshrrev_b32_e32 v10, 24, v12
	s_movk_i32 s7, 0x80
	v_cmp_ne_u32_e32 vcc, s7, v10
	v_bfrev_b32_e32 v23, 1
	s_and_saveexec_b64 s[8:9], vcc
	s_cbranch_execz .LBB579_568
; %bb.565:
	v_bfe_u32 v12, v12, 24, 7
	s_movk_i32 s7, 0x7f
	v_cmp_ne_u32_e32 vcc, s7, v12
	v_mov_b32_e32 v23, 0x7f800001
	s_and_saveexec_b64 s[10:11], vcc
	s_cbranch_execz .LBB579_567
; %bb.566:
	v_and_b32_e32 v19, 7, v10
	v_ffbh_u32_e32 v24, v19
	v_min_u32_e32 v27, 32, v24
	v_subrev_u32_e32 v24, 28, v27
	v_lshlrev_b64 v[24:25], v24, v[10:11]
	v_lshrrev_b32_e32 v23, 3, v12
	v_sub_u32_e32 v25, 29, v27
	v_and_b32_e32 v24, 7, v24
	v_cmp_gt_u32_e32 vcc, 8, v12
	v_cndmask_b32_e32 v12, v23, v25, vcc
	v_cndmask_b32_e32 v19, v19, v24, vcc
	v_lshlrev_b32_e32 v10, 24, v10
	v_bfrev_b32_e32 v23, 60
	v_lshlrev_b32_e32 v19, 20, v19
	v_and_b32_e32 v10, 0x80000000, v10
	v_lshl_add_u32 v12, v12, 23, v23
	v_or3_b32 v23, v10, v12, v19
.LBB579_567:
	s_or_b64 exec, exec, s[10:11]
.LBB579_568:
	s_or_b64 exec, exec, s[8:9]
.LBB579_569:
	s_or_b64 exec, exec, s[2:3]
	v_cmp_ne_u16_sdwa s[8:9], v13, v21 src0_sel:BYTE_0 src1_sel:DWORD
	s_and_saveexec_b64 s[2:3], s[8:9]
	s_cbranch_execz .LBB579_575
; %bb.570:
	s_movk_i32 s7, 0x80
	v_cmp_ne_u16_sdwa s[10:11], v13, s7 src0_sel:BYTE_0 src1_sel:DWORD
	v_bfrev_b32_e32 v21, 1
	s_and_saveexec_b64 s[8:9], s[10:11]
	s_cbranch_execz .LBB579_574
; %bb.571:
	s_movk_i32 s7, 0x7f
	v_and_b32_e32 v10, 0x7f, v13
	v_cmp_ne_u32_e32 vcc, s7, v10
	v_mov_b32_e32 v21, 0x7f800001
	s_and_saveexec_b64 s[10:11], vcc
	s_cbranch_execz .LBB579_573
; %bb.572:
	v_and_b32_e32 v19, 7, v13
	v_ffbh_u32_e32 v24, v19
	v_min_u32_e32 v27, 32, v24
	v_mov_b32_e32 v12, v13
	v_subrev_u32_e32 v24, 28, v27
	v_lshlrev_b64 v[24:25], v24, v[12:13]
	v_lshrrev_b32_e32 v21, 3, v10
	v_sub_u32_e32 v12, 29, v27
	v_and_b32_e32 v24, 7, v24
	v_cmp_gt_u32_e32 vcc, 8, v10
	v_cndmask_b32_e32 v10, v21, v12, vcc
	v_cndmask_b32_e32 v12, v19, v24, vcc
	v_lshlrev_b32_e32 v19, 24, v13
	v_bfrev_b32_e32 v21, 60
	v_lshlrev_b32_e32 v12, 20, v12
	v_and_b32_e32 v19, 0x80000000, v19
	v_lshl_add_u32 v10, v10, 23, v21
	v_or3_b32 v21, v19, v10, v12
.LBB579_573:
	s_or_b64 exec, exec, s[10:11]
.LBB579_574:
	s_or_b64 exec, exec, s[8:9]
.LBB579_575:
	s_or_b64 exec, exec, s[2:3]
	v_lshrrev_b16_e32 v10, 8, v13
	v_cmp_ne_u16_e32 vcc, 0, v10
	v_mov_b32_e32 v12, 0
	v_mov_b32_e32 v24, 0
	s_and_saveexec_b64 s[2:3], vcc
	s_cbranch_execz .LBB579_581
; %bb.576:
	s_movk_i32 s7, 0x80
	v_cmp_ne_u16_e32 vcc, s7, v10
	v_bfrev_b32_e32 v24, 1
	s_and_saveexec_b64 s[8:9], vcc
	s_cbranch_execz .LBB579_580
; %bb.577:
	s_movk_i32 s7, 0x7f
	v_and_b32_e32 v19, 0x7f, v10
	v_cmp_ne_u32_e32 vcc, s7, v19
	v_mov_b32_e32 v24, 0x7f800001
	s_and_saveexec_b64 s[10:11], vcc
	s_cbranch_execz .LBB579_579
; %bb.578:
	v_and_b32_e32 v27, 7, v10
	v_ffbh_u32_e32 v24, v27
	v_min_u32_e32 v29, 32, v24
	v_subrev_u32_e32 v24, 28, v29
	v_lshlrev_b64 v[24:25], v24, v[10:11]
	v_lshrrev_b32_e32 v28, 3, v19
	v_sub_u32_e32 v10, 29, v29
	v_and_b32_e32 v24, 7, v24
	v_cmp_gt_u32_e32 vcc, 8, v19
	v_cndmask_b32_e32 v10, v28, v10, vcc
	v_cndmask_b32_e32 v19, v27, v24, vcc
	v_lshlrev_b32_e32 v24, 16, v13
	v_bfrev_b32_e32 v25, 60
	v_lshlrev_b32_e32 v19, 20, v19
	v_and_b32_e32 v24, 0x80000000, v24
	v_lshl_add_u32 v10, v10, 23, v25
	v_or3_b32 v24, v24, v10, v19
.LBB579_579:
	s_or_b64 exec, exec, s[10:11]
.LBB579_580:
	s_or_b64 exec, exec, s[8:9]
.LBB579_581:
	s_or_b64 exec, exec, s[2:3]
	s_movk_i32 s2, 0xff
	v_and_b32_sdwa v19, v13, s2 dst_sel:DWORD dst_unused:UNUSED_PAD src0_sel:WORD_1 src1_sel:DWORD
	v_lshrrev_b32_e32 v10, 16, v13
	v_cmp_ne_u16_e32 vcc, 0, v19
	s_and_saveexec_b64 s[2:3], vcc
	s_cbranch_execz .LBB579_587
; %bb.582:
	s_movk_i32 s7, 0x80
	v_cmp_ne_u16_e32 vcc, s7, v19
	v_bfrev_b32_e32 v12, 1
	s_and_saveexec_b64 s[8:9], vcc
	s_cbranch_execz .LBB579_586
; %bb.583:
	v_bfe_u32 v19, v13, 16, 7
	s_movk_i32 s7, 0x7f
	v_cmp_ne_u32_e32 vcc, s7, v19
	v_mov_b32_e32 v12, 0x7f800001
	s_and_saveexec_b64 s[10:11], vcc
	s_cbranch_execz .LBB579_585
; %bb.584:
	v_and_b32_e32 v12, 7, v10
	v_ffbh_u32_e32 v27, v12
	v_min_u32_e32 v27, 32, v27
	v_subrev_u32_e32 v28, 28, v27
	v_lshlrev_b64 v[28:29], v28, v[10:11]
	v_lshrrev_b32_e32 v25, 3, v19
	v_sub_u32_e32 v10, 29, v27
	v_and_b32_e32 v27, 7, v28
	v_cmp_gt_u32_e32 vcc, 8, v19
	v_mov_b32_e32 v19, 24
	v_cndmask_b32_e32 v10, v25, v10, vcc
	v_cndmask_b32_e32 v12, v12, v27, vcc
	v_lshlrev_b32_sdwa v19, v19, v13 dst_sel:DWORD dst_unused:UNUSED_PAD src0_sel:DWORD src1_sel:WORD_1
	v_bfrev_b32_e32 v25, 60
	v_lshlrev_b32_e32 v12, 20, v12
	v_and_b32_e32 v19, 0x80000000, v19
	v_lshl_add_u32 v10, v10, 23, v25
	v_or3_b32 v12, v19, v10, v12
.LBB579_585:
	s_or_b64 exec, exec, s[10:11]
.LBB579_586:
	s_or_b64 exec, exec, s[8:9]
.LBB579_587:
	s_or_b64 exec, exec, s[2:3]
	s_mov_b32 s2, 0xffffff
	v_cmp_lt_u32_e32 vcc, s2, v13
	v_mov_b32_e32 v19, 0
	v_mov_b32_e32 v25, 0
	s_and_saveexec_b64 s[2:3], vcc
	s_cbranch_execz .LBB579_593
; %bb.588:
	v_lshrrev_b32_e32 v10, 24, v13
	s_movk_i32 s7, 0x80
	v_cmp_ne_u32_e32 vcc, s7, v10
	v_bfrev_b32_e32 v25, 1
	s_and_saveexec_b64 s[8:9], vcc
	s_cbranch_execz .LBB579_592
; %bb.589:
	v_bfe_u32 v13, v13, 24, 7
	s_movk_i32 s7, 0x7f
	v_cmp_ne_u32_e32 vcc, s7, v13
	v_mov_b32_e32 v25, 0x7f800001
	s_and_saveexec_b64 s[10:11], vcc
	s_cbranch_execz .LBB579_591
; %bb.590:
	v_and_b32_e32 v25, 7, v10
	v_ffbh_u32_e32 v28, v25
	v_min_u32_e32 v30, 32, v28
	v_subrev_u32_e32 v28, 28, v30
	v_lshlrev_b64 v[28:29], v28, v[10:11]
	v_lshrrev_b32_e32 v27, 3, v13
	v_sub_u32_e32 v29, 29, v30
	v_and_b32_e32 v28, 7, v28
	v_cmp_gt_u32_e32 vcc, 8, v13
	v_cndmask_b32_e32 v13, v27, v29, vcc
	v_cndmask_b32_e32 v25, v25, v28, vcc
	v_lshlrev_b32_e32 v10, 24, v10
	v_bfrev_b32_e32 v27, 60
	v_lshlrev_b32_e32 v25, 20, v25
	v_and_b32_e32 v10, 0x80000000, v10
	v_lshl_add_u32 v13, v13, 23, v27
	v_or3_b32 v25, v10, v13, v25
.LBB579_591:
	s_or_b64 exec, exec, s[10:11]
.LBB579_592:
	s_or_b64 exec, exec, s[8:9]
.LBB579_593:
	s_or_b64 exec, exec, s[2:3]
	v_cvt_pkrtz_f16_f32 v10, v18, v20
	v_cvt_pkrtz_f16_f32 v11, v11, v23
	ds_read_b128 v[28:31], v22 offset:2064
	s_waitcnt vmcnt(1)
	v_cmp_ne_u16_sdwa s[8:9], v6, v19 src0_sel:BYTE_0 src1_sel:DWORD
	s_waitcnt lgkmcnt(0)
	v_mfma_f32_16x16x16f16 v[14:17], v[10:11], v[28:29], v[14:17]
	v_cvt_pkrtz_f16_f32 v10, v21, v24
	v_cvt_pkrtz_f16_f32 v11, v12, v25
	s_nop 1
	v_mfma_f32_16x16x16f16 v[10:13], v[10:11], v[30:31], v[14:17]
	s_and_saveexec_b64 s[2:3], s[8:9]
	s_cbranch_execz .LBB579_599
; %bb.594:
	s_movk_i32 s7, 0x80
	v_cmp_ne_u16_sdwa s[10:11], v6, s7 src0_sel:BYTE_0 src1_sel:DWORD
	v_bfrev_b32_e32 v19, 1
	s_and_saveexec_b64 s[8:9], s[10:11]
	s_cbranch_execz .LBB579_598
; %bb.595:
	s_movk_i32 s7, 0x7f
	v_and_b32_e32 v14, 0x7f, v6
	v_cmp_ne_u32_e32 vcc, s7, v14
	v_mov_b32_e32 v19, 0x7f800001
	s_and_saveexec_b64 s[10:11], vcc
	s_cbranch_execz .LBB579_597
; %bb.596:
	v_and_b32_e32 v15, 7, v6
	v_ffbh_u32_e32 v16, v15
	v_min_u32_e32 v19, 32, v16
	v_subrev_u32_e32 v16, 28, v19
	v_lshlrev_b64 v[16:17], v16, v[6:7]
	v_lshrrev_b32_e32 v18, 3, v14
	v_sub_u32_e32 v17, 29, v19
	v_and_b32_e32 v16, 7, v16
	v_cmp_gt_u32_e32 vcc, 8, v14
	v_cndmask_b32_e32 v14, v18, v17, vcc
	v_cndmask_b32_e32 v15, v15, v16, vcc
	v_lshlrev_b32_e32 v16, 24, v6
	v_bfrev_b32_e32 v17, 60
	v_lshlrev_b32_e32 v15, 20, v15
	v_and_b32_e32 v16, 0x80000000, v16
	v_lshl_add_u32 v14, v14, 23, v17
	v_or3_b32 v19, v16, v14, v15
.LBB579_597:
	s_or_b64 exec, exec, s[10:11]
.LBB579_598:
	s_or_b64 exec, exec, s[8:9]
.LBB579_599:
	s_or_b64 exec, exec, s[2:3]
	s_nop 3
	v_lshrrev_b16_e32 v14, 8, v6
	v_cmp_ne_u16_e32 vcc, 0, v14
	v_mov_b32_e32 v15, 0
	v_mov_b32_e32 v16, 0
	s_and_saveexec_b64 s[2:3], vcc
	s_cbranch_execz .LBB579_605
; %bb.600:
	s_movk_i32 s7, 0x80
	v_cmp_ne_u16_e32 vcc, s7, v14
	v_bfrev_b32_e32 v16, 1
	s_and_saveexec_b64 s[8:9], vcc
	s_cbranch_execz .LBB579_604
; %bb.601:
	s_movk_i32 s7, 0x7f
	v_and_b32_e32 v17, 0x7f, v14
	v_cmp_ne_u32_e32 vcc, s7, v17
	v_mov_b32_e32 v16, 0x7f800001
	s_and_saveexec_b64 s[10:11], vcc
	s_cbranch_execz .LBB579_603
; %bb.602:
	v_and_b32_e32 v16, 7, v14
	v_ffbh_u32_e32 v20, v16
	v_min_u32_e32 v23, 32, v20
	v_subrev_u32_e32 v20, 28, v23
	v_lshlrev_b64 v[20:21], v20, v[14:15]
	v_lshrrev_b32_e32 v18, 3, v17
	v_sub_u32_e32 v14, 29, v23
	v_and_b32_e32 v20, 7, v20
	v_cmp_gt_u32_e32 vcc, 8, v17
	v_cndmask_b32_e32 v14, v18, v14, vcc
	v_cndmask_b32_e32 v16, v16, v20, vcc
	v_lshlrev_b32_e32 v17, 16, v6
	v_bfrev_b32_e32 v18, 60
	v_lshlrev_b32_e32 v16, 20, v16
	v_and_b32_e32 v17, 0x80000000, v17
	v_lshl_add_u32 v14, v14, 23, v18
	v_or3_b32 v16, v17, v14, v16
.LBB579_603:
	s_or_b64 exec, exec, s[10:11]
.LBB579_604:
	s_or_b64 exec, exec, s[8:9]
.LBB579_605:
	s_or_b64 exec, exec, s[2:3]
	s_movk_i32 s2, 0xff
	v_and_b32_sdwa v17, v6, s2 dst_sel:DWORD dst_unused:UNUSED_PAD src0_sel:WORD_1 src1_sel:DWORD
	v_lshrrev_b32_e32 v14, 16, v6
	v_cmp_ne_u16_e32 vcc, 0, v17
	s_and_saveexec_b64 s[2:3], vcc
	s_cbranch_execz .LBB579_611
; %bb.606:
	s_movk_i32 s7, 0x80
	v_cmp_ne_u16_e32 vcc, s7, v17
	v_bfrev_b32_e32 v15, 1
	s_and_saveexec_b64 s[8:9], vcc
	s_cbranch_execz .LBB579_610
; %bb.607:
	v_bfe_u32 v17, v6, 16, 7
	s_movk_i32 s7, 0x7f
	v_cmp_ne_u32_e32 vcc, s7, v17
	v_mov_b32_e32 v15, 0x7f800001
	s_and_saveexec_b64 s[10:11], vcc
	s_cbranch_execz .LBB579_609
; %bb.608:
	v_and_b32_e32 v18, 7, v14
	v_ffbh_u32_e32 v15, v18
	v_min_u32_e32 v21, 32, v15
	v_subrev_u32_e32 v15, 28, v21
	v_lshlrev_b64 v[14:15], v15, v[14:15]
	v_lshrrev_b32_e32 v20, 3, v17
	v_sub_u32_e32 v15, 29, v21
	v_and_b32_e32 v14, 7, v14
	v_cmp_gt_u32_e32 vcc, 8, v17
	v_mov_b32_e32 v17, 24
	v_cndmask_b32_e32 v15, v20, v15, vcc
	v_cndmask_b32_e32 v14, v18, v14, vcc
	v_lshlrev_b32_sdwa v17, v17, v6 dst_sel:DWORD dst_unused:UNUSED_PAD src0_sel:DWORD src1_sel:WORD_1
	v_bfrev_b32_e32 v18, 60
	v_lshlrev_b32_e32 v14, 20, v14
	v_and_b32_e32 v17, 0x80000000, v17
	v_lshl_add_u32 v15, v15, 23, v18
	v_or3_b32 v15, v17, v15, v14
.LBB579_609:
	s_or_b64 exec, exec, s[10:11]
.LBB579_610:
	s_or_b64 exec, exec, s[8:9]
.LBB579_611:
	s_or_b64 exec, exec, s[2:3]
	s_mov_b32 s2, 0xffffff
	v_cmp_lt_u32_e32 vcc, s2, v6
	v_mov_b32_e32 v17, 0
	v_mov_b32_e32 v18, 0
	s_and_saveexec_b64 s[2:3], vcc
	s_cbranch_execz .LBB579_617
; %bb.612:
	v_lshrrev_b32_e32 v14, 24, v6
	s_movk_i32 s7, 0x80
	v_cmp_ne_u32_e32 vcc, s7, v14
	v_bfrev_b32_e32 v18, 1
	s_and_saveexec_b64 s[8:9], vcc
	s_cbranch_execz .LBB579_616
; %bb.613:
	v_bfe_u32 v6, v6, 24, 7
	s_movk_i32 s7, 0x7f
	v_cmp_ne_u32_e32 vcc, s7, v6
	v_mov_b32_e32 v18, 0x7f800001
	s_and_saveexec_b64 s[10:11], vcc
	s_cbranch_execz .LBB579_615
; %bb.614:
	v_and_b32_e32 v18, 7, v14
	v_ffbh_u32_e32 v20, v18
	v_min_u32_e32 v24, 32, v20
	v_subrev_u32_e32 v20, 28, v24
	v_lshlrev_b64 v[20:21], v20, v[14:15]
	v_lshrrev_b32_e32 v23, 3, v6
	v_sub_u32_e32 v21, 29, v24
	v_and_b32_e32 v20, 7, v20
	v_cmp_gt_u32_e32 vcc, 8, v6
	v_cndmask_b32_e32 v6, v23, v21, vcc
	v_cndmask_b32_e32 v18, v18, v20, vcc
	v_lshlrev_b32_e32 v14, 24, v14
	v_bfrev_b32_e32 v20, 60
	v_lshlrev_b32_e32 v18, 20, v18
	v_and_b32_e32 v14, 0x80000000, v14
	v_lshl_add_u32 v6, v6, 23, v20
	v_or3_b32 v18, v14, v6, v18
.LBB579_615:
	s_or_b64 exec, exec, s[10:11]
.LBB579_616:
	s_or_b64 exec, exec, s[8:9]
.LBB579_617:
	s_or_b64 exec, exec, s[2:3]
	v_cmp_ne_u16_sdwa s[8:9], v7, v17 src0_sel:BYTE_0 src1_sel:DWORD
	s_and_saveexec_b64 s[2:3], s[8:9]
	s_cbranch_execz .LBB579_623
; %bb.618:
	s_movk_i32 s7, 0x80
	v_cmp_ne_u16_sdwa s[10:11], v7, s7 src0_sel:BYTE_0 src1_sel:DWORD
	v_bfrev_b32_e32 v17, 1
	s_and_saveexec_b64 s[8:9], s[10:11]
	s_cbranch_execz .LBB579_622
; %bb.619:
	s_movk_i32 s7, 0x7f
	v_and_b32_e32 v6, 0x7f, v7
	v_cmp_ne_u32_e32 vcc, s7, v6
	v_mov_b32_e32 v17, 0x7f800001
	s_and_saveexec_b64 s[10:11], vcc
	s_cbranch_execz .LBB579_621
; %bb.620:
	v_and_b32_e32 v17, 7, v7
	v_ffbh_u32_e32 v20, v17
	v_min_u32_e32 v24, 32, v20
	v_mov_b32_e32 v14, v7
	v_subrev_u32_e32 v20, 28, v24
	v_lshlrev_b64 v[20:21], v20, v[14:15]
	v_lshrrev_b32_e32 v23, 3, v6
	v_sub_u32_e32 v14, 29, v24
	v_and_b32_e32 v20, 7, v20
	v_cmp_gt_u32_e32 vcc, 8, v6
	v_cndmask_b32_e32 v6, v23, v14, vcc
	v_cndmask_b32_e32 v14, v17, v20, vcc
	v_lshlrev_b32_e32 v17, 24, v7
	v_bfrev_b32_e32 v20, 60
	v_lshlrev_b32_e32 v14, 20, v14
	v_and_b32_e32 v17, 0x80000000, v17
	v_lshl_add_u32 v6, v6, 23, v20
	v_or3_b32 v17, v17, v6, v14
.LBB579_621:
	s_or_b64 exec, exec, s[10:11]
.LBB579_622:
	s_or_b64 exec, exec, s[8:9]
.LBB579_623:
	s_or_b64 exec, exec, s[2:3]
	v_lshrrev_b16_e32 v6, 8, v7
	v_cmp_ne_u16_e32 vcc, 0, v6
	v_mov_b32_e32 v20, 0
	v_mov_b32_e32 v21, 0
	s_and_saveexec_b64 s[2:3], vcc
	s_cbranch_execz .LBB579_629
; %bb.624:
	s_movk_i32 s7, 0x80
	v_cmp_ne_u16_e32 vcc, s7, v6
	v_bfrev_b32_e32 v21, 1
	s_and_saveexec_b64 s[8:9], vcc
	s_cbranch_execz .LBB579_628
; %bb.625:
	s_movk_i32 s7, 0x7f
	v_and_b32_e32 v14, 0x7f, v6
	v_cmp_ne_u32_e32 vcc, s7, v14
	v_mov_b32_e32 v21, 0x7f800001
	s_and_saveexec_b64 s[10:11], vcc
	s_cbranch_execz .LBB579_627
; %bb.626:
	v_and_b32_e32 v21, 7, v6
	v_ffbh_u32_e32 v24, v21
	v_min_u32_e32 v27, 32, v24
	v_subrev_u32_e32 v24, 28, v27
	v_lshlrev_b64 v[24:25], v24, v[6:7]
	v_lshrrev_b32_e32 v23, 3, v14
	v_sub_u32_e32 v6, 29, v27
	v_and_b32_e32 v24, 7, v24
	v_cmp_gt_u32_e32 vcc, 8, v14
	v_cndmask_b32_e32 v6, v23, v6, vcc
	v_cndmask_b32_e32 v14, v21, v24, vcc
	v_lshlrev_b32_e32 v21, 16, v7
	v_bfrev_b32_e32 v23, 60
	v_lshlrev_b32_e32 v14, 20, v14
	v_and_b32_e32 v21, 0x80000000, v21
	v_lshl_add_u32 v6, v6, 23, v23
	v_or3_b32 v21, v21, v6, v14
.LBB579_627:
	s_or_b64 exec, exec, s[10:11]
.LBB579_628:
	s_or_b64 exec, exec, s[8:9]
.LBB579_629:
	s_or_b64 exec, exec, s[2:3]
	s_movk_i32 s2, 0xff
	v_and_b32_sdwa v14, v7, s2 dst_sel:DWORD dst_unused:UNUSED_PAD src0_sel:WORD_1 src1_sel:DWORD
	v_lshrrev_b32_e32 v6, 16, v7
	v_cmp_ne_u16_e32 vcc, 0, v14
	s_and_saveexec_b64 s[2:3], vcc
	s_cbranch_execz .LBB579_635
; %bb.630:
	s_movk_i32 s7, 0x80
	v_cmp_ne_u16_e32 vcc, s7, v14
	v_bfrev_b32_e32 v20, 1
	s_and_saveexec_b64 s[8:9], vcc
	s_cbranch_execz .LBB579_634
; %bb.631:
	v_bfe_u32 v14, v7, 16, 7
	s_movk_i32 s7, 0x7f
	v_cmp_ne_u32_e32 vcc, s7, v14
	v_mov_b32_e32 v20, 0x7f800001
	s_and_saveexec_b64 s[10:11], vcc
	s_cbranch_execz .LBB579_633
; %bb.632:
	v_and_b32_e32 v20, 7, v6
	v_ffbh_u32_e32 v24, v20
	v_min_u32_e32 v27, 32, v24
	v_subrev_u32_e32 v24, 28, v27
	v_lshlrev_b64 v[24:25], v24, v[6:7]
	v_and_b32_e32 v24, 7, v24
	v_cmp_gt_u32_e32 vcc, 8, v14
	v_lshrrev_b32_e32 v23, 3, v14
	v_sub_u32_e32 v6, 29, v27
	v_cndmask_b32_e32 v14, v20, v24, vcc
	v_mov_b32_e32 v20, 24
	v_cndmask_b32_e32 v6, v23, v6, vcc
	v_lshlrev_b32_sdwa v20, v20, v7 dst_sel:DWORD dst_unused:UNUSED_PAD src0_sel:DWORD src1_sel:WORD_1
	v_bfrev_b32_e32 v23, 60
	v_lshlrev_b32_e32 v14, 20, v14
	v_and_b32_e32 v20, 0x80000000, v20
	v_lshl_add_u32 v6, v6, 23, v23
	v_or3_b32 v20, v20, v6, v14
.LBB579_633:
	s_or_b64 exec, exec, s[10:11]
.LBB579_634:
	s_or_b64 exec, exec, s[8:9]
.LBB579_635:
	s_or_b64 exec, exec, s[2:3]
	s_mov_b32 s2, 0xffffff
	v_cmp_lt_u32_e32 vcc, s2, v7
	v_mov_b32_e32 v14, 0
	v_mov_b32_e32 v23, 0
	s_and_saveexec_b64 s[2:3], vcc
	s_cbranch_execz .LBB579_641
; %bb.636:
	v_lshrrev_b32_e32 v6, 24, v7
	s_movk_i32 s7, 0x80
	v_cmp_ne_u32_e32 vcc, s7, v6
	v_bfrev_b32_e32 v23, 1
	s_and_saveexec_b64 s[8:9], vcc
	s_cbranch_execz .LBB579_640
; %bb.637:
	v_bfe_u32 v7, v7, 24, 7
	s_movk_i32 s7, 0x7f
	v_cmp_ne_u32_e32 vcc, s7, v7
	v_mov_b32_e32 v23, 0x7f800001
	s_and_saveexec_b64 s[10:11], vcc
	s_cbranch_execz .LBB579_639
; %bb.638:
	v_and_b32_e32 v23, 7, v6
	v_ffbh_u32_e32 v24, v23
	v_min_u32_e32 v28, 32, v24
	v_subrev_u32_e32 v24, 28, v28
	v_lshlrev_b64 v[24:25], v24, v[6:7]
	v_lshrrev_b32_e32 v27, 3, v7
	v_sub_u32_e32 v25, 29, v28
	v_and_b32_e32 v24, 7, v24
	v_cmp_gt_u32_e32 vcc, 8, v7
	v_cndmask_b32_e32 v7, v27, v25, vcc
	v_cndmask_b32_e32 v23, v23, v24, vcc
	v_lshlrev_b32_e32 v6, 24, v6
	v_bfrev_b32_e32 v24, 60
	v_lshlrev_b32_e32 v23, 20, v23
	v_and_b32_e32 v6, 0x80000000, v6
	v_lshl_add_u32 v7, v7, 23, v24
	v_or3_b32 v23, v6, v7, v23
.LBB579_639:
	s_or_b64 exec, exec, s[10:11]
.LBB579_640:
	s_or_b64 exec, exec, s[8:9]
.LBB579_641:
	s_or_b64 exec, exec, s[2:3]
	v_cvt_pkrtz_f16_f32 v6, v19, v16
	v_cvt_pkrtz_f16_f32 v7, v15, v18
	ds_read_b128 v[28:31], v22 offset:4096
	v_cmp_ne_u16_sdwa s[8:9], v8, v14 src0_sel:BYTE_0 src1_sel:DWORD
	s_waitcnt lgkmcnt(0)
	v_mfma_f32_16x16x16f16 v[10:13], v[6:7], v[28:29], v[10:13]
	v_cvt_pkrtz_f16_f32 v6, v17, v21
	v_cvt_pkrtz_f16_f32 v7, v20, v23
	s_nop 1
	v_mfma_f32_16x16x16f16 v[10:13], v[6:7], v[30:31], v[10:13]
	s_and_saveexec_b64 s[2:3], s[8:9]
	s_cbranch_execz .LBB579_647
; %bb.642:
	s_movk_i32 s7, 0x80
	v_cmp_ne_u16_sdwa s[10:11], v8, s7 src0_sel:BYTE_0 src1_sel:DWORD
	v_bfrev_b32_e32 v14, 1
	s_and_saveexec_b64 s[8:9], s[10:11]
	s_cbranch_execz .LBB579_646
; %bb.643:
	s_movk_i32 s7, 0x7f
	v_and_b32_e32 v6, 0x7f, v8
	v_cmp_ne_u32_e32 vcc, s7, v6
	v_mov_b32_e32 v14, 0x7f800001
	s_and_saveexec_b64 s[10:11], vcc
	s_cbranch_execz .LBB579_645
; %bb.644:
	v_and_b32_e32 v7, 7, v8
	v_ffbh_u32_e32 v14, v7
	v_min_u32_e32 v17, 32, v14
	v_subrev_u32_e32 v14, 28, v17
	v_lshlrev_b64 v[14:15], v14, v[8:9]
	v_lshrrev_b32_e32 v16, 3, v6
	v_sub_u32_e32 v15, 29, v17
	v_and_b32_e32 v14, 7, v14
	v_cmp_gt_u32_e32 vcc, 8, v6
	v_cndmask_b32_e32 v6, v16, v15, vcc
	v_cndmask_b32_e32 v7, v7, v14, vcc
	v_lshlrev_b32_e32 v14, 24, v8
	v_bfrev_b32_e32 v15, 60
	v_lshlrev_b32_e32 v7, 20, v7
	v_and_b32_e32 v14, 0x80000000, v14
	v_lshl_add_u32 v6, v6, 23, v15
	v_or3_b32 v14, v14, v6, v7
.LBB579_645:
	s_or_b64 exec, exec, s[10:11]
.LBB579_646:
	s_or_b64 exec, exec, s[8:9]
.LBB579_647:
	s_or_b64 exec, exec, s[2:3]
	v_lshrrev_b16_e32 v6, 8, v8
	v_cmp_ne_u16_e32 vcc, 0, v6
	v_mov_b32_e32 v7, 0
	v_mov_b32_e32 v16, 0
	s_and_saveexec_b64 s[2:3], vcc
	s_cbranch_execz .LBB579_653
; %bb.648:
	s_movk_i32 s7, 0x80
	v_cmp_ne_u16_e32 vcc, s7, v6
	v_bfrev_b32_e32 v16, 1
	s_and_saveexec_b64 s[8:9], vcc
	s_cbranch_execz .LBB579_652
; %bb.649:
	s_movk_i32 s7, 0x7f
	v_and_b32_e32 v15, 0x7f, v6
	v_cmp_ne_u32_e32 vcc, s7, v15
	v_mov_b32_e32 v16, 0x7f800001
	s_and_saveexec_b64 s[10:11], vcc
	s_cbranch_execz .LBB579_651
; %bb.650:
	v_and_b32_e32 v18, 7, v6
	v_ffbh_u32_e32 v16, v18
	v_min_u32_e32 v20, 32, v16
	v_subrev_u32_e32 v16, 28, v20
	v_lshlrev_b64 v[16:17], v16, v[6:7]
	v_lshrrev_b32_e32 v19, 3, v15
	v_sub_u32_e32 v6, 29, v20
	v_and_b32_e32 v16, 7, v16
	v_cmp_gt_u32_e32 vcc, 8, v15
	v_cndmask_b32_e32 v6, v19, v6, vcc
	v_cndmask_b32_e32 v15, v18, v16, vcc
	v_lshlrev_b32_e32 v16, 16, v8
	v_bfrev_b32_e32 v17, 60
	v_lshlrev_b32_e32 v15, 20, v15
	v_and_b32_e32 v16, 0x80000000, v16
	v_lshl_add_u32 v6, v6, 23, v17
	v_or3_b32 v16, v16, v6, v15
.LBB579_651:
	s_or_b64 exec, exec, s[10:11]
.LBB579_652:
	s_or_b64 exec, exec, s[8:9]
.LBB579_653:
	s_or_b64 exec, exec, s[2:3]
	s_movk_i32 s2, 0xff
	v_and_b32_sdwa v15, v8, s2 dst_sel:DWORD dst_unused:UNUSED_PAD src0_sel:WORD_1 src1_sel:DWORD
	v_lshrrev_b32_e32 v6, 16, v8
	v_cmp_ne_u16_e32 vcc, 0, v15
	s_and_saveexec_b64 s[2:3], vcc
	s_cbranch_execz .LBB579_659
; %bb.654:
	s_movk_i32 s7, 0x80
	v_cmp_ne_u16_e32 vcc, s7, v15
	v_bfrev_b32_e32 v7, 1
	s_and_saveexec_b64 s[8:9], vcc
	s_cbranch_execz .LBB579_658
; %bb.655:
	v_bfe_u32 v15, v8, 16, 7
	s_movk_i32 s7, 0x7f
	v_cmp_ne_u32_e32 vcc, s7, v15
	v_mov_b32_e32 v7, 0x7f800001
	s_and_saveexec_b64 s[10:11], vcc
	s_cbranch_execz .LBB579_657
; %bb.656:
	v_and_b32_e32 v17, 7, v6
	v_ffbh_u32_e32 v7, v17
	v_min_u32_e32 v19, 32, v7
	v_subrev_u32_e32 v7, 28, v19
	v_lshlrev_b64 v[6:7], v7, v[6:7]
	v_lshrrev_b32_e32 v18, 3, v15
	v_sub_u32_e32 v7, 29, v19
	v_and_b32_e32 v6, 7, v6
	v_cmp_gt_u32_e32 vcc, 8, v15
	v_mov_b32_e32 v15, 24
	v_cndmask_b32_e32 v7, v18, v7, vcc
	v_cndmask_b32_e32 v6, v17, v6, vcc
	v_lshlrev_b32_sdwa v15, v15, v8 dst_sel:DWORD dst_unused:UNUSED_PAD src0_sel:DWORD src1_sel:WORD_1
	v_bfrev_b32_e32 v17, 60
	v_lshlrev_b32_e32 v6, 20, v6
	v_and_b32_e32 v15, 0x80000000, v15
	v_lshl_add_u32 v7, v7, 23, v17
	v_or3_b32 v7, v15, v7, v6
.LBB579_657:
	s_or_b64 exec, exec, s[10:11]
.LBB579_658:
	s_or_b64 exec, exec, s[8:9]
.LBB579_659:
	s_or_b64 exec, exec, s[2:3]
	s_mov_b32 s2, 0xffffff
	v_cmp_lt_u32_e32 vcc, s2, v8
	v_mov_b32_e32 v17, 0
	v_mov_b32_e32 v18, 0
	s_and_saveexec_b64 s[2:3], vcc
	s_cbranch_execz .LBB579_665
; %bb.660:
	v_lshrrev_b32_e32 v6, 24, v8
	s_movk_i32 s7, 0x80
	v_cmp_ne_u32_e32 vcc, s7, v6
	v_bfrev_b32_e32 v18, 1
	s_and_saveexec_b64 s[8:9], vcc
	s_cbranch_execz .LBB579_664
; %bb.661:
	v_bfe_u32 v8, v8, 24, 7
	s_movk_i32 s7, 0x7f
	v_cmp_ne_u32_e32 vcc, s7, v8
	v_mov_b32_e32 v18, 0x7f800001
	s_and_saveexec_b64 s[10:11], vcc
	s_cbranch_execz .LBB579_663
; %bb.662:
	v_and_b32_e32 v15, 7, v6
	v_ffbh_u32_e32 v18, v15
	v_min_u32_e32 v21, 32, v18
	v_subrev_u32_e32 v18, 28, v21
	v_lshlrev_b64 v[18:19], v18, v[6:7]
	v_lshrrev_b32_e32 v20, 3, v8
	v_sub_u32_e32 v19, 29, v21
	v_and_b32_e32 v18, 7, v18
	v_cmp_gt_u32_e32 vcc, 8, v8
	v_cndmask_b32_e32 v8, v20, v19, vcc
	v_cndmask_b32_e32 v15, v15, v18, vcc
	v_lshlrev_b32_e32 v6, 24, v6
	v_bfrev_b32_e32 v18, 60
	v_lshlrev_b32_e32 v15, 20, v15
	v_and_b32_e32 v6, 0x80000000, v6
	v_lshl_add_u32 v8, v8, 23, v18
	v_or3_b32 v18, v6, v8, v15
.LBB579_663:
	s_or_b64 exec, exec, s[10:11]
.LBB579_664:
	s_or_b64 exec, exec, s[8:9]
.LBB579_665:
	s_or_b64 exec, exec, s[2:3]
	v_cmp_ne_u16_sdwa s[8:9], v9, v17 src0_sel:BYTE_0 src1_sel:DWORD
	s_and_saveexec_b64 s[2:3], s[8:9]
	s_cbranch_execz .LBB579_671
; %bb.666:
	s_movk_i32 s7, 0x80
	v_cmp_ne_u16_sdwa s[10:11], v9, s7 src0_sel:BYTE_0 src1_sel:DWORD
	v_bfrev_b32_e32 v17, 1
	s_and_saveexec_b64 s[8:9], s[10:11]
	s_cbranch_execz .LBB579_670
; %bb.667:
	s_movk_i32 s7, 0x7f
	v_and_b32_e32 v6, 0x7f, v9
	v_cmp_ne_u32_e32 vcc, s7, v6
	v_mov_b32_e32 v17, 0x7f800001
	s_and_saveexec_b64 s[10:11], vcc
	s_cbranch_execz .LBB579_669
; %bb.668:
	v_and_b32_e32 v15, 7, v9
	v_ffbh_u32_e32 v19, v15
	v_min_u32_e32 v19, 32, v19
	v_mov_b32_e32 v8, v9
	v_subrev_u32_e32 v20, 28, v19
	v_lshlrev_b64 v[20:21], v20, v[8:9]
	v_lshrrev_b32_e32 v17, 3, v6
	v_sub_u32_e32 v8, 29, v19
	v_and_b32_e32 v19, 7, v20
	v_cmp_gt_u32_e32 vcc, 8, v6
	v_cndmask_b32_e32 v6, v17, v8, vcc
	v_cndmask_b32_e32 v8, v15, v19, vcc
	v_lshlrev_b32_e32 v15, 24, v9
	v_bfrev_b32_e32 v17, 60
	v_lshlrev_b32_e32 v8, 20, v8
	v_and_b32_e32 v15, 0x80000000, v15
	v_lshl_add_u32 v6, v6, 23, v17
	v_or3_b32 v17, v15, v6, v8
.LBB579_669:
	s_or_b64 exec, exec, s[10:11]
.LBB579_670:
	s_or_b64 exec, exec, s[8:9]
.LBB579_671:
	s_or_b64 exec, exec, s[2:3]
	v_lshrrev_b16_e32 v6, 8, v9
	v_cmp_ne_u16_e32 vcc, 0, v6
	v_mov_b32_e32 v8, 0
	v_mov_b32_e32 v19, 0
	s_and_saveexec_b64 s[2:3], vcc
	s_cbranch_execz .LBB579_677
; %bb.672:
	s_movk_i32 s7, 0x80
	v_cmp_ne_u16_e32 vcc, s7, v6
	v_bfrev_b32_e32 v19, 1
	s_and_saveexec_b64 s[8:9], vcc
	s_cbranch_execz .LBB579_676
; %bb.673:
	s_movk_i32 s7, 0x7f
	v_and_b32_e32 v15, 0x7f, v6
	v_cmp_ne_u32_e32 vcc, s7, v15
	v_mov_b32_e32 v19, 0x7f800001
	s_and_saveexec_b64 s[10:11], vcc
	s_cbranch_execz .LBB579_675
; %bb.674:
	v_and_b32_e32 v19, 7, v6
	v_ffbh_u32_e32 v20, v19
	v_min_u32_e32 v24, 32, v20
	v_subrev_u32_e32 v20, 28, v24
	v_lshlrev_b64 v[20:21], v20, v[6:7]
	v_lshrrev_b32_e32 v23, 3, v15
	v_sub_u32_e32 v6, 29, v24
	v_and_b32_e32 v20, 7, v20
	v_cmp_gt_u32_e32 vcc, 8, v15
	v_cndmask_b32_e32 v6, v23, v6, vcc
	v_cndmask_b32_e32 v15, v19, v20, vcc
	v_lshlrev_b32_e32 v19, 16, v9
	v_bfrev_b32_e32 v20, 60
	v_lshlrev_b32_e32 v15, 20, v15
	v_and_b32_e32 v19, 0x80000000, v19
	v_lshl_add_u32 v6, v6, 23, v20
	v_or3_b32 v19, v19, v6, v15
.LBB579_675:
	s_or_b64 exec, exec, s[10:11]
.LBB579_676:
	s_or_b64 exec, exec, s[8:9]
.LBB579_677:
	s_or_b64 exec, exec, s[2:3]
	s_movk_i32 s2, 0xff
	v_and_b32_sdwa v15, v9, s2 dst_sel:DWORD dst_unused:UNUSED_PAD src0_sel:WORD_1 src1_sel:DWORD
	v_lshrrev_b32_e32 v6, 16, v9
	v_cmp_ne_u16_e32 vcc, 0, v15
	s_and_saveexec_b64 s[2:3], vcc
	s_cbranch_execz .LBB579_683
; %bb.678:
	s_movk_i32 s7, 0x80
	v_cmp_ne_u16_e32 vcc, s7, v15
	v_bfrev_b32_e32 v8, 1
	s_and_saveexec_b64 s[8:9], vcc
	s_cbranch_execz .LBB579_682
; %bb.679:
	v_bfe_u32 v15, v9, 16, 7
	s_movk_i32 s7, 0x7f
	v_cmp_ne_u32_e32 vcc, s7, v15
	v_mov_b32_e32 v8, 0x7f800001
	s_and_saveexec_b64 s[10:11], vcc
	s_cbranch_execz .LBB579_681
; %bb.680:
	v_and_b32_e32 v8, 7, v6
	v_ffbh_u32_e32 v20, v8
	v_min_u32_e32 v24, 32, v20
	v_subrev_u32_e32 v20, 28, v24
	v_lshlrev_b64 v[20:21], v20, v[6:7]
	v_lshrrev_b32_e32 v23, 3, v15
	v_sub_u32_e32 v6, 29, v24
	v_and_b32_e32 v20, 7, v20
	v_cmp_gt_u32_e32 vcc, 8, v15
	v_mov_b32_e32 v15, 24
	v_cndmask_b32_e32 v6, v23, v6, vcc
	v_cndmask_b32_e32 v8, v8, v20, vcc
	v_lshlrev_b32_sdwa v15, v15, v9 dst_sel:DWORD dst_unused:UNUSED_PAD src0_sel:DWORD src1_sel:WORD_1
	v_bfrev_b32_e32 v20, 60
	v_lshlrev_b32_e32 v8, 20, v8
	v_and_b32_e32 v15, 0x80000000, v15
	v_lshl_add_u32 v6, v6, 23, v20
	v_or3_b32 v8, v15, v6, v8
.LBB579_681:
	s_or_b64 exec, exec, s[10:11]
.LBB579_682:
	s_or_b64 exec, exec, s[8:9]
.LBB579_683:
	s_or_b64 exec, exec, s[2:3]
	s_mov_b32 s2, 0xffffff
	v_cmp_lt_u32_e32 vcc, s2, v9
	v_mov_b32_e32 v15, 0
	v_mov_b32_e32 v20, 0
	s_and_saveexec_b64 s[2:3], vcc
	s_cbranch_execz .LBB579_689
; %bb.684:
	v_lshrrev_b32_e32 v6, 24, v9
	s_movk_i32 s7, 0x80
	v_cmp_ne_u32_e32 vcc, s7, v6
	v_bfrev_b32_e32 v20, 1
	s_and_saveexec_b64 s[8:9], vcc
	s_cbranch_execz .LBB579_688
; %bb.685:
	v_bfe_u32 v9, v9, 24, 7
	s_movk_i32 s7, 0x7f
	v_cmp_ne_u32_e32 vcc, s7, v9
	v_mov_b32_e32 v20, 0x7f800001
	s_and_saveexec_b64 s[10:11], vcc
	s_cbranch_execz .LBB579_687
; %bb.686:
	v_and_b32_e32 v23, 7, v6
	v_ffbh_u32_e32 v20, v23
	v_min_u32_e32 v25, 32, v20
	v_subrev_u32_e32 v20, 28, v25
	v_lshlrev_b64 v[20:21], v20, v[6:7]
	v_lshrrev_b32_e32 v24, 3, v9
	v_sub_u32_e32 v21, 29, v25
	v_and_b32_e32 v20, 7, v20
	v_cmp_gt_u32_e32 vcc, 8, v9
	v_cndmask_b32_e32 v9, v24, v21, vcc
	v_cndmask_b32_e32 v20, v23, v20, vcc
	v_lshlrev_b32_e32 v6, 24, v6
	v_bfrev_b32_e32 v21, 60
	v_lshlrev_b32_e32 v20, 20, v20
	v_and_b32_e32 v6, 0x80000000, v6
	v_lshl_add_u32 v9, v9, 23, v21
	v_or3_b32 v20, v6, v9, v20
.LBB579_687:
	s_or_b64 exec, exec, s[10:11]
.LBB579_688:
	s_or_b64 exec, exec, s[8:9]
.LBB579_689:
	s_or_b64 exec, exec, s[2:3]
	v_cvt_pkrtz_f16_f32 v6, v14, v16
	v_cvt_pkrtz_f16_f32 v7, v7, v18
	ds_read_b128 v[28:31], v22 offset:4112
	s_waitcnt vmcnt(0)
	v_cmp_ne_u16_sdwa s[8:9], v2, v15 src0_sel:BYTE_0 src1_sel:DWORD
	s_waitcnt lgkmcnt(0)
	v_mfma_f32_16x16x16f16 v[10:13], v[6:7], v[28:29], v[10:13]
	v_cvt_pkrtz_f16_f32 v6, v17, v19
	v_cvt_pkrtz_f16_f32 v7, v8, v20
	s_nop 1
	v_mfma_f32_16x16x16f16 v[6:9], v[6:7], v[30:31], v[10:13]
	s_and_saveexec_b64 s[2:3], s[8:9]
	s_cbranch_execz .LBB579_695
; %bb.690:
	s_movk_i32 s7, 0x80
	v_cmp_ne_u16_sdwa s[10:11], v2, s7 src0_sel:BYTE_0 src1_sel:DWORD
	v_bfrev_b32_e32 v15, 1
	s_and_saveexec_b64 s[8:9], s[10:11]
	s_cbranch_execz .LBB579_694
; %bb.691:
	s_movk_i32 s7, 0x7f
	v_and_b32_e32 v10, 0x7f, v2
	v_cmp_ne_u32_e32 vcc, s7, v10
	v_mov_b32_e32 v15, 0x7f800001
	s_and_saveexec_b64 s[10:11], vcc
	s_cbranch_execz .LBB579_693
; %bb.692:
	v_and_b32_e32 v11, 7, v2
	v_ffbh_u32_e32 v12, v11
	v_min_u32_e32 v15, 32, v12
	v_subrev_u32_e32 v12, 28, v15
	v_lshlrev_b64 v[12:13], v12, v[2:3]
	v_lshrrev_b32_e32 v14, 3, v10
	v_sub_u32_e32 v13, 29, v15
	v_and_b32_e32 v12, 7, v12
	v_cmp_gt_u32_e32 vcc, 8, v10
	v_cndmask_b32_e32 v10, v14, v13, vcc
	v_cndmask_b32_e32 v11, v11, v12, vcc
	v_lshlrev_b32_e32 v12, 24, v2
	v_bfrev_b32_e32 v13, 60
	v_lshlrev_b32_e32 v11, 20, v11
	v_and_b32_e32 v12, 0x80000000, v12
	v_lshl_add_u32 v10, v10, 23, v13
	v_or3_b32 v15, v12, v10, v11
.LBB579_693:
	s_or_b64 exec, exec, s[10:11]
.LBB579_694:
	s_or_b64 exec, exec, s[8:9]
.LBB579_695:
	s_or_b64 exec, exec, s[2:3]
	s_nop 3
	v_lshrrev_b16_e32 v10, 8, v2
	v_cmp_ne_u16_e32 vcc, 0, v10
	v_mov_b32_e32 v11, 0
	v_mov_b32_e32 v12, 0
	s_and_saveexec_b64 s[2:3], vcc
	s_cbranch_execz .LBB579_701
; %bb.696:
	s_movk_i32 s7, 0x80
	v_cmp_ne_u16_e32 vcc, s7, v10
	v_bfrev_b32_e32 v12, 1
	s_and_saveexec_b64 s[8:9], vcc
	s_cbranch_execz .LBB579_700
; %bb.697:
	s_movk_i32 s7, 0x7f
	v_and_b32_e32 v13, 0x7f, v10
	v_cmp_ne_u32_e32 vcc, s7, v13
	v_mov_b32_e32 v12, 0x7f800001
	s_and_saveexec_b64 s[10:11], vcc
	s_cbranch_execz .LBB579_699
; %bb.698:
	v_and_b32_e32 v12, 7, v10
	v_ffbh_u32_e32 v16, v12
	v_min_u32_e32 v18, 32, v16
	v_subrev_u32_e32 v16, 28, v18
	v_lshlrev_b64 v[16:17], v16, v[10:11]
	v_lshrrev_b32_e32 v14, 3, v13
	v_sub_u32_e32 v10, 29, v18
	v_and_b32_e32 v16, 7, v16
	v_cmp_gt_u32_e32 vcc, 8, v13
	v_cndmask_b32_e32 v10, v14, v10, vcc
	v_cndmask_b32_e32 v12, v12, v16, vcc
	v_lshlrev_b32_e32 v13, 16, v2
	v_bfrev_b32_e32 v14, 60
	v_lshlrev_b32_e32 v12, 20, v12
	v_and_b32_e32 v13, 0x80000000, v13
	v_lshl_add_u32 v10, v10, 23, v14
	v_or3_b32 v12, v13, v10, v12
.LBB579_699:
	s_or_b64 exec, exec, s[10:11]
.LBB579_700:
	s_or_b64 exec, exec, s[8:9]
.LBB579_701:
	s_or_b64 exec, exec, s[2:3]
	s_movk_i32 s2, 0xff
	v_and_b32_sdwa v13, v2, s2 dst_sel:DWORD dst_unused:UNUSED_PAD src0_sel:WORD_1 src1_sel:DWORD
	v_lshrrev_b32_e32 v10, 16, v2
	v_cmp_ne_u16_e32 vcc, 0, v13
	s_and_saveexec_b64 s[2:3], vcc
	s_cbranch_execz .LBB579_707
; %bb.702:
	s_movk_i32 s7, 0x80
	v_cmp_ne_u16_e32 vcc, s7, v13
	v_bfrev_b32_e32 v11, 1
	s_and_saveexec_b64 s[8:9], vcc
	s_cbranch_execz .LBB579_706
; %bb.703:
	v_bfe_u32 v13, v2, 16, 7
	s_movk_i32 s7, 0x7f
	v_cmp_ne_u32_e32 vcc, s7, v13
	v_mov_b32_e32 v11, 0x7f800001
	s_and_saveexec_b64 s[10:11], vcc
	s_cbranch_execz .LBB579_705
; %bb.704:
	v_and_b32_e32 v14, 7, v10
	v_ffbh_u32_e32 v11, v14
	v_min_u32_e32 v17, 32, v11
	v_subrev_u32_e32 v11, 28, v17
	v_lshlrev_b64 v[10:11], v11, v[10:11]
	v_lshrrev_b32_e32 v16, 3, v13
	v_sub_u32_e32 v11, 29, v17
	v_and_b32_e32 v10, 7, v10
	v_cmp_gt_u32_e32 vcc, 8, v13
	v_mov_b32_e32 v13, 24
	v_cndmask_b32_e32 v11, v16, v11, vcc
	v_cndmask_b32_e32 v10, v14, v10, vcc
	v_lshlrev_b32_sdwa v13, v13, v2 dst_sel:DWORD dst_unused:UNUSED_PAD src0_sel:DWORD src1_sel:WORD_1
	v_bfrev_b32_e32 v14, 60
	v_lshlrev_b32_e32 v10, 20, v10
	v_and_b32_e32 v13, 0x80000000, v13
	v_lshl_add_u32 v11, v11, 23, v14
	v_or3_b32 v11, v13, v11, v10
.LBB579_705:
	s_or_b64 exec, exec, s[10:11]
.LBB579_706:
	s_or_b64 exec, exec, s[8:9]
.LBB579_707:
	s_or_b64 exec, exec, s[2:3]
	s_mov_b32 s2, 0xffffff
	v_cmp_lt_u32_e32 vcc, s2, v2
	v_mov_b32_e32 v13, 0
	v_mov_b32_e32 v14, 0
	s_and_saveexec_b64 s[2:3], vcc
	s_cbranch_execz .LBB579_713
; %bb.708:
	v_lshrrev_b32_e32 v10, 24, v2
	s_movk_i32 s7, 0x80
	v_cmp_ne_u32_e32 vcc, s7, v10
	v_bfrev_b32_e32 v14, 1
	s_and_saveexec_b64 s[8:9], vcc
	s_cbranch_execz .LBB579_712
; %bb.709:
	v_bfe_u32 v2, v2, 24, 7
	s_movk_i32 s7, 0x7f
	v_cmp_ne_u32_e32 vcc, s7, v2
	v_mov_b32_e32 v14, 0x7f800001
	s_and_saveexec_b64 s[10:11], vcc
	s_cbranch_execz .LBB579_711
; %bb.710:
	v_and_b32_e32 v14, 7, v10
	v_ffbh_u32_e32 v16, v14
	v_min_u32_e32 v19, 32, v16
	v_subrev_u32_e32 v16, 28, v19
	v_lshlrev_b64 v[16:17], v16, v[10:11]
	v_lshrrev_b32_e32 v18, 3, v2
	v_sub_u32_e32 v17, 29, v19
	v_and_b32_e32 v16, 7, v16
	v_cmp_gt_u32_e32 vcc, 8, v2
	v_cndmask_b32_e32 v2, v18, v17, vcc
	v_cndmask_b32_e32 v14, v14, v16, vcc
	v_lshlrev_b32_e32 v10, 24, v10
	v_bfrev_b32_e32 v16, 60
	v_lshlrev_b32_e32 v14, 20, v14
	v_and_b32_e32 v10, 0x80000000, v10
	v_lshl_add_u32 v2, v2, 23, v16
	v_or3_b32 v14, v10, v2, v14
.LBB579_711:
	s_or_b64 exec, exec, s[10:11]
.LBB579_712:
	s_or_b64 exec, exec, s[8:9]
.LBB579_713:
	s_or_b64 exec, exec, s[2:3]
	v_cmp_ne_u16_sdwa s[8:9], v3, v13 src0_sel:BYTE_0 src1_sel:DWORD
	s_and_saveexec_b64 s[2:3], s[8:9]
	s_cbranch_execz .LBB579_719
; %bb.714:
	s_movk_i32 s7, 0x80
	v_cmp_ne_u16_sdwa s[10:11], v3, s7 src0_sel:BYTE_0 src1_sel:DWORD
	v_bfrev_b32_e32 v13, 1
	s_and_saveexec_b64 s[8:9], s[10:11]
	s_cbranch_execz .LBB579_718
; %bb.715:
	s_movk_i32 s7, 0x7f
	v_and_b32_e32 v2, 0x7f, v3
	v_cmp_ne_u32_e32 vcc, s7, v2
	v_mov_b32_e32 v13, 0x7f800001
	s_and_saveexec_b64 s[10:11], vcc
	s_cbranch_execz .LBB579_717
; %bb.716:
	v_and_b32_e32 v13, 7, v3
	v_ffbh_u32_e32 v16, v13
	v_min_u32_e32 v19, 32, v16
	v_mov_b32_e32 v10, v3
	v_subrev_u32_e32 v16, 28, v19
	v_lshlrev_b64 v[16:17], v16, v[10:11]
	v_lshrrev_b32_e32 v18, 3, v2
	v_sub_u32_e32 v10, 29, v19
	v_and_b32_e32 v16, 7, v16
	v_cmp_gt_u32_e32 vcc, 8, v2
	v_cndmask_b32_e32 v2, v18, v10, vcc
	v_cndmask_b32_e32 v10, v13, v16, vcc
	v_lshlrev_b32_e32 v13, 24, v3
	v_bfrev_b32_e32 v16, 60
	v_lshlrev_b32_e32 v10, 20, v10
	v_and_b32_e32 v13, 0x80000000, v13
	v_lshl_add_u32 v2, v2, 23, v16
	v_or3_b32 v13, v13, v2, v10
.LBB579_717:
	s_or_b64 exec, exec, s[10:11]
.LBB579_718:
	s_or_b64 exec, exec, s[8:9]
.LBB579_719:
	s_or_b64 exec, exec, s[2:3]
	v_lshrrev_b16_e32 v2, 8, v3
	v_cmp_ne_u16_e32 vcc, 0, v2
	v_mov_b32_e32 v16, 0
	v_mov_b32_e32 v17, 0
	s_and_saveexec_b64 s[2:3], vcc
	s_cbranch_execz .LBB579_725
; %bb.720:
	s_movk_i32 s7, 0x80
	v_cmp_ne_u16_e32 vcc, s7, v2
	v_bfrev_b32_e32 v17, 1
	s_and_saveexec_b64 s[8:9], vcc
	s_cbranch_execz .LBB579_724
; %bb.721:
	s_movk_i32 s7, 0x7f
	v_and_b32_e32 v10, 0x7f, v2
	v_cmp_ne_u32_e32 vcc, s7, v10
	v_mov_b32_e32 v17, 0x7f800001
	s_and_saveexec_b64 s[10:11], vcc
	s_cbranch_execz .LBB579_723
; %bb.722:
	v_and_b32_e32 v17, 7, v2
	v_ffbh_u32_e32 v18, v17
	v_min_u32_e32 v21, 32, v18
	v_subrev_u32_e32 v18, 28, v21
	v_lshlrev_b64 v[18:19], v18, v[2:3]
	v_lshrrev_b32_e32 v20, 3, v10
	v_sub_u32_e32 v2, 29, v21
	v_and_b32_e32 v18, 7, v18
	v_cmp_gt_u32_e32 vcc, 8, v10
	v_cndmask_b32_e32 v2, v20, v2, vcc
	v_cndmask_b32_e32 v10, v17, v18, vcc
	v_lshlrev_b32_e32 v17, 16, v3
	v_bfrev_b32_e32 v18, 60
	v_lshlrev_b32_e32 v10, 20, v10
	v_and_b32_e32 v17, 0x80000000, v17
	v_lshl_add_u32 v2, v2, 23, v18
	v_or3_b32 v17, v17, v2, v10
.LBB579_723:
	s_or_b64 exec, exec, s[10:11]
.LBB579_724:
	s_or_b64 exec, exec, s[8:9]
.LBB579_725:
	s_or_b64 exec, exec, s[2:3]
	s_movk_i32 s2, 0xff
	v_and_b32_sdwa v10, v3, s2 dst_sel:DWORD dst_unused:UNUSED_PAD src0_sel:WORD_1 src1_sel:DWORD
	v_lshrrev_b32_e32 v2, 16, v3
	v_cmp_ne_u16_e32 vcc, 0, v10
	s_and_saveexec_b64 s[2:3], vcc
	s_cbranch_execz .LBB579_731
; %bb.726:
	s_movk_i32 s7, 0x80
	v_cmp_ne_u16_e32 vcc, s7, v10
	v_bfrev_b32_e32 v16, 1
	s_and_saveexec_b64 s[8:9], vcc
	s_cbranch_execz .LBB579_730
; %bb.727:
	v_bfe_u32 v10, v3, 16, 7
	s_movk_i32 s7, 0x7f
	v_cmp_ne_u32_e32 vcc, s7, v10
	v_mov_b32_e32 v16, 0x7f800001
	s_and_saveexec_b64 s[10:11], vcc
	s_cbranch_execz .LBB579_729
; %bb.728:
	v_and_b32_e32 v16, 7, v2
	v_ffbh_u32_e32 v18, v16
	v_min_u32_e32 v21, 32, v18
	v_subrev_u32_e32 v18, 28, v21
	v_lshlrev_b64 v[18:19], v18, v[2:3]
	v_and_b32_e32 v18, 7, v18
	v_cmp_gt_u32_e32 vcc, 8, v10
	v_lshrrev_b32_e32 v20, 3, v10
	v_sub_u32_e32 v2, 29, v21
	v_cndmask_b32_e32 v10, v16, v18, vcc
	v_mov_b32_e32 v16, 24
	v_cndmask_b32_e32 v2, v20, v2, vcc
	v_lshlrev_b32_sdwa v16, v16, v3 dst_sel:DWORD dst_unused:UNUSED_PAD src0_sel:DWORD src1_sel:WORD_1
	v_bfrev_b32_e32 v18, 60
	v_lshlrev_b32_e32 v10, 20, v10
	v_and_b32_e32 v16, 0x80000000, v16
	v_lshl_add_u32 v2, v2, 23, v18
	v_or3_b32 v16, v16, v2, v10
.LBB579_729:
	s_or_b64 exec, exec, s[10:11]
.LBB579_730:
	s_or_b64 exec, exec, s[8:9]
.LBB579_731:
	s_or_b64 exec, exec, s[2:3]
	s_mov_b32 s2, 0xffffff
	v_cmp_lt_u32_e32 vcc, s2, v3
	v_mov_b32_e32 v10, 0
	v_mov_b32_e32 v18, 0
	s_and_saveexec_b64 s[2:3], vcc
	s_cbranch_execz .LBB579_737
; %bb.732:
	v_lshrrev_b32_e32 v2, 24, v3
	s_movk_i32 s7, 0x80
	v_cmp_ne_u32_e32 vcc, s7, v2
	v_bfrev_b32_e32 v18, 1
	s_and_saveexec_b64 s[8:9], vcc
	s_cbranch_execz .LBB579_736
; %bb.733:
	v_bfe_u32 v3, v3, 24, 7
	s_movk_i32 s7, 0x7f
	v_cmp_ne_u32_e32 vcc, s7, v3
	v_mov_b32_e32 v18, 0x7f800001
	s_and_saveexec_b64 s[10:11], vcc
	s_cbranch_execz .LBB579_735
; %bb.734:
	v_and_b32_e32 v20, 7, v2
	v_ffbh_u32_e32 v18, v20
	v_min_u32_e32 v23, 32, v18
	v_subrev_u32_e32 v18, 28, v23
	v_lshlrev_b64 v[18:19], v18, v[2:3]
	v_lshrrev_b32_e32 v21, 3, v3
	v_sub_u32_e32 v19, 29, v23
	v_and_b32_e32 v18, 7, v18
	v_cmp_gt_u32_e32 vcc, 8, v3
	v_cndmask_b32_e32 v3, v21, v19, vcc
	v_cndmask_b32_e32 v18, v20, v18, vcc
	v_lshlrev_b32_e32 v2, 24, v2
	v_bfrev_b32_e32 v19, 60
	v_lshlrev_b32_e32 v18, 20, v18
	v_and_b32_e32 v2, 0x80000000, v2
	v_lshl_add_u32 v3, v3, 23, v19
	v_or3_b32 v18, v2, v3, v18
.LBB579_735:
	s_or_b64 exec, exec, s[10:11]
.LBB579_736:
	s_or_b64 exec, exec, s[8:9]
.LBB579_737:
	s_or_b64 exec, exec, s[2:3]
	v_cvt_pkrtz_f16_f32 v2, v15, v12
	v_cvt_pkrtz_f16_f32 v3, v11, v14
	ds_read_b128 v[28:31], v22 offset:6144
	v_cmp_ne_u16_sdwa s[8:9], v4, v10 src0_sel:BYTE_0 src1_sel:DWORD
	s_waitcnt lgkmcnt(0)
	v_mfma_f32_16x16x16f16 v[6:9], v[2:3], v[28:29], v[6:9]
	v_cvt_pkrtz_f16_f32 v2, v13, v17
	v_cvt_pkrtz_f16_f32 v3, v16, v18
	s_nop 1
	v_mfma_f32_16x16x16f16 v[6:9], v[2:3], v[30:31], v[6:9]
	s_and_saveexec_b64 s[2:3], s[8:9]
	s_cbranch_execz .LBB579_743
; %bb.738:
	s_movk_i32 s7, 0x80
	v_cmp_ne_u16_sdwa s[10:11], v4, s7 src0_sel:BYTE_0 src1_sel:DWORD
	v_bfrev_b32_e32 v10, 1
	s_and_saveexec_b64 s[8:9], s[10:11]
	s_cbranch_execz .LBB579_742
; %bb.739:
	s_movk_i32 s7, 0x7f
	v_and_b32_e32 v2, 0x7f, v4
	v_cmp_ne_u32_e32 vcc, s7, v2
	v_mov_b32_e32 v10, 0x7f800001
	s_and_saveexec_b64 s[10:11], vcc
	s_cbranch_execz .LBB579_741
; %bb.740:
	v_and_b32_e32 v3, 7, v4
	v_ffbh_u32_e32 v10, v3
	v_min_u32_e32 v13, 32, v10
	v_subrev_u32_e32 v10, 28, v13
	v_lshlrev_b64 v[10:11], v10, v[4:5]
	v_lshrrev_b32_e32 v12, 3, v2
	v_sub_u32_e32 v11, 29, v13
	v_and_b32_e32 v10, 7, v10
	v_cmp_gt_u32_e32 vcc, 8, v2
	v_cndmask_b32_e32 v2, v12, v11, vcc
	v_cndmask_b32_e32 v3, v3, v10, vcc
	v_lshlrev_b32_e32 v10, 24, v4
	v_bfrev_b32_e32 v11, 60
	v_lshlrev_b32_e32 v3, 20, v3
	v_and_b32_e32 v10, 0x80000000, v10
	v_lshl_add_u32 v2, v2, 23, v11
	v_or3_b32 v10, v10, v2, v3
.LBB579_741:
	s_or_b64 exec, exec, s[10:11]
.LBB579_742:
	s_or_b64 exec, exec, s[8:9]
.LBB579_743:
	s_or_b64 exec, exec, s[2:3]
	v_lshrrev_b16_e32 v2, 8, v4
	v_cmp_ne_u16_e32 vcc, 0, v2
	v_mov_b32_e32 v3, 0
	v_mov_b32_e32 v11, 0
	s_and_saveexec_b64 s[2:3], vcc
	s_cbranch_execz .LBB579_749
; %bb.744:
	s_movk_i32 s7, 0x80
	v_cmp_ne_u16_e32 vcc, s7, v2
	v_bfrev_b32_e32 v11, 1
	s_and_saveexec_b64 s[8:9], vcc
	s_cbranch_execz .LBB579_748
; %bb.745:
	s_movk_i32 s7, 0x7f
	v_and_b32_e32 v12, 0x7f, v2
	v_cmp_ne_u32_e32 vcc, s7, v12
	v_mov_b32_e32 v11, 0x7f800001
	s_and_saveexec_b64 s[10:11], vcc
	s_cbranch_execz .LBB579_747
; %bb.746:
	v_and_b32_e32 v11, 7, v2
	v_ffbh_u32_e32 v14, v11
	v_min_u32_e32 v16, 32, v14
	v_subrev_u32_e32 v14, 28, v16
	v_lshlrev_b64 v[14:15], v14, v[2:3]
	v_lshrrev_b32_e32 v13, 3, v12
	v_sub_u32_e32 v2, 29, v16
	v_and_b32_e32 v14, 7, v14
	v_cmp_gt_u32_e32 vcc, 8, v12
	v_cndmask_b32_e32 v2, v13, v2, vcc
	v_cndmask_b32_e32 v11, v11, v14, vcc
	v_lshlrev_b32_e32 v12, 16, v4
	v_bfrev_b32_e32 v13, 60
	v_lshlrev_b32_e32 v11, 20, v11
	v_and_b32_e32 v12, 0x80000000, v12
	v_lshl_add_u32 v2, v2, 23, v13
	v_or3_b32 v11, v12, v2, v11
.LBB579_747:
	s_or_b64 exec, exec, s[10:11]
.LBB579_748:
	s_or_b64 exec, exec, s[8:9]
.LBB579_749:
	s_or_b64 exec, exec, s[2:3]
	s_movk_i32 s2, 0xff
	v_and_b32_sdwa v12, v4, s2 dst_sel:DWORD dst_unused:UNUSED_PAD src0_sel:WORD_1 src1_sel:DWORD
	v_lshrrev_b32_e32 v2, 16, v4
	v_cmp_ne_u16_e32 vcc, 0, v12
	s_and_saveexec_b64 s[2:3], vcc
	s_cbranch_execz .LBB579_755
; %bb.750:
	s_movk_i32 s7, 0x80
	v_cmp_ne_u16_e32 vcc, s7, v12
	v_bfrev_b32_e32 v3, 1
	s_and_saveexec_b64 s[8:9], vcc
	s_cbranch_execz .LBB579_754
; %bb.751:
	v_bfe_u32 v12, v4, 16, 7
	s_movk_i32 s7, 0x7f
	v_cmp_ne_u32_e32 vcc, s7, v12
	v_mov_b32_e32 v3, 0x7f800001
	s_and_saveexec_b64 s[10:11], vcc
	s_cbranch_execz .LBB579_753
; %bb.752:
	v_and_b32_e32 v13, 7, v2
	v_ffbh_u32_e32 v3, v13
	v_min_u32_e32 v15, 32, v3
	v_subrev_u32_e32 v3, 28, v15
	v_lshlrev_b64 v[2:3], v3, v[2:3]
	v_lshrrev_b32_e32 v14, 3, v12
	v_sub_u32_e32 v3, 29, v15
	v_and_b32_e32 v2, 7, v2
	v_cmp_gt_u32_e32 vcc, 8, v12
	v_mov_b32_e32 v12, 24
	v_cndmask_b32_e32 v3, v14, v3, vcc
	v_cndmask_b32_e32 v2, v13, v2, vcc
	v_lshlrev_b32_sdwa v12, v12, v4 dst_sel:DWORD dst_unused:UNUSED_PAD src0_sel:DWORD src1_sel:WORD_1
	v_bfrev_b32_e32 v13, 60
	v_lshlrev_b32_e32 v2, 20, v2
	v_and_b32_e32 v12, 0x80000000, v12
	v_lshl_add_u32 v3, v3, 23, v13
	v_or3_b32 v3, v12, v3, v2
.LBB579_753:
	s_or_b64 exec, exec, s[10:11]
.LBB579_754:
	s_or_b64 exec, exec, s[8:9]
.LBB579_755:
	s_or_b64 exec, exec, s[2:3]
	s_mov_b32 s2, 0xffffff
	v_cmp_lt_u32_e32 vcc, s2, v4
	v_mov_b32_e32 v12, 0
	v_mov_b32_e32 v13, 0
	s_and_saveexec_b64 s[2:3], vcc
	s_cbranch_execz .LBB579_761
; %bb.756:
	v_lshrrev_b32_e32 v2, 24, v4
	s_movk_i32 s7, 0x80
	v_cmp_ne_u32_e32 vcc, s7, v2
	v_bfrev_b32_e32 v13, 1
	s_and_saveexec_b64 s[8:9], vcc
	s_cbranch_execz .LBB579_760
; %bb.757:
	v_bfe_u32 v4, v4, 24, 7
	s_movk_i32 s7, 0x7f
	v_cmp_ne_u32_e32 vcc, s7, v4
	v_mov_b32_e32 v13, 0x7f800001
	s_and_saveexec_b64 s[10:11], vcc
	s_cbranch_execz .LBB579_759
; %bb.758:
	v_and_b32_e32 v13, 7, v2
	v_ffbh_u32_e32 v14, v13
	v_min_u32_e32 v17, 32, v14
	v_subrev_u32_e32 v14, 28, v17
	v_lshlrev_b64 v[14:15], v14, v[2:3]
	v_lshrrev_b32_e32 v16, 3, v4
	v_sub_u32_e32 v15, 29, v17
	v_and_b32_e32 v14, 7, v14
	v_cmp_gt_u32_e32 vcc, 8, v4
	v_cndmask_b32_e32 v4, v16, v15, vcc
	v_cndmask_b32_e32 v13, v13, v14, vcc
	v_lshlrev_b32_e32 v2, 24, v2
	v_bfrev_b32_e32 v14, 60
	v_lshlrev_b32_e32 v13, 20, v13
	v_and_b32_e32 v2, 0x80000000, v2
	v_lshl_add_u32 v4, v4, 23, v14
	v_or3_b32 v13, v2, v4, v13
.LBB579_759:
	s_or_b64 exec, exec, s[10:11]
.LBB579_760:
	s_or_b64 exec, exec, s[8:9]
.LBB579_761:
	s_or_b64 exec, exec, s[2:3]
	v_cmp_ne_u16_sdwa s[8:9], v5, v12 src0_sel:BYTE_0 src1_sel:DWORD
	s_and_saveexec_b64 s[2:3], s[8:9]
	s_cbranch_execz .LBB579_767
; %bb.762:
	s_movk_i32 s7, 0x80
	v_cmp_ne_u16_sdwa s[10:11], v5, s7 src0_sel:BYTE_0 src1_sel:DWORD
	v_bfrev_b32_e32 v12, 1
	s_and_saveexec_b64 s[8:9], s[10:11]
	s_cbranch_execz .LBB579_766
; %bb.763:
	s_movk_i32 s7, 0x7f
	v_and_b32_e32 v2, 0x7f, v5
	v_cmp_ne_u32_e32 vcc, s7, v2
	v_mov_b32_e32 v12, 0x7f800001
	s_and_saveexec_b64 s[10:11], vcc
	s_cbranch_execz .LBB579_765
; %bb.764:
	v_and_b32_e32 v12, 7, v5
	v_ffbh_u32_e32 v14, v12
	v_min_u32_e32 v17, 32, v14
	v_mov_b32_e32 v4, v5
	v_subrev_u32_e32 v14, 28, v17
	v_lshlrev_b64 v[14:15], v14, v[4:5]
	v_lshrrev_b32_e32 v16, 3, v2
	v_sub_u32_e32 v4, 29, v17
	v_and_b32_e32 v14, 7, v14
	v_cmp_gt_u32_e32 vcc, 8, v2
	v_cndmask_b32_e32 v2, v16, v4, vcc
	v_cndmask_b32_e32 v4, v12, v14, vcc
	v_lshlrev_b32_e32 v12, 24, v5
	v_bfrev_b32_e32 v14, 60
	v_lshlrev_b32_e32 v4, 20, v4
	v_and_b32_e32 v12, 0x80000000, v12
	v_lshl_add_u32 v2, v2, 23, v14
	v_or3_b32 v12, v12, v2, v4
.LBB579_765:
	s_or_b64 exec, exec, s[10:11]
.LBB579_766:
	s_or_b64 exec, exec, s[8:9]
.LBB579_767:
	s_or_b64 exec, exec, s[2:3]
	v_lshrrev_b16_e32 v2, 8, v5
	v_cmp_ne_u16_e32 vcc, 0, v2
	v_mov_b32_e32 v4, 0
	v_mov_b32_e32 v14, 0
	s_and_saveexec_b64 s[2:3], vcc
	s_cbranch_execz .LBB579_773
; %bb.768:
	s_movk_i32 s7, 0x80
	v_cmp_ne_u16_e32 vcc, s7, v2
	v_bfrev_b32_e32 v14, 1
	s_and_saveexec_b64 s[8:9], vcc
	s_cbranch_execz .LBB579_772
; %bb.769:
	s_movk_i32 s7, 0x7f
	v_and_b32_e32 v15, 0x7f, v2
	v_cmp_ne_u32_e32 vcc, s7, v15
	v_mov_b32_e32 v14, 0x7f800001
	s_and_saveexec_b64 s[10:11], vcc
	s_cbranch_execz .LBB579_771
; %bb.770:
	v_and_b32_e32 v14, 7, v2
	v_ffbh_u32_e32 v16, v14
	v_min_u32_e32 v19, 32, v16
	v_subrev_u32_e32 v16, 28, v19
	v_lshlrev_b64 v[16:17], v16, v[2:3]
	v_lshrrev_b32_e32 v18, 3, v15
	v_sub_u32_e32 v2, 29, v19
	v_and_b32_e32 v16, 7, v16
	v_cmp_gt_u32_e32 vcc, 8, v15
	v_cndmask_b32_e32 v2, v18, v2, vcc
	v_cndmask_b32_e32 v14, v14, v16, vcc
	v_lshlrev_b32_e32 v15, 16, v5
	v_bfrev_b32_e32 v16, 60
	v_lshlrev_b32_e32 v14, 20, v14
	v_and_b32_e32 v15, 0x80000000, v15
	v_lshl_add_u32 v2, v2, 23, v16
	v_or3_b32 v14, v15, v2, v14
.LBB579_771:
	s_or_b64 exec, exec, s[10:11]
.LBB579_772:
	s_or_b64 exec, exec, s[8:9]
.LBB579_773:
	s_or_b64 exec, exec, s[2:3]
	s_movk_i32 s2, 0xff
	v_and_b32_sdwa v15, v5, s2 dst_sel:DWORD dst_unused:UNUSED_PAD src0_sel:WORD_1 src1_sel:DWORD
	v_lshrrev_b32_e32 v2, 16, v5
	v_cmp_ne_u16_e32 vcc, 0, v15
	s_and_saveexec_b64 s[2:3], vcc
	s_cbranch_execz .LBB579_779
; %bb.774:
	s_movk_i32 s7, 0x80
	v_cmp_ne_u16_e32 vcc, s7, v15
	v_bfrev_b32_e32 v4, 1
	s_and_saveexec_b64 s[8:9], vcc
	s_cbranch_execz .LBB579_778
; %bb.775:
	v_bfe_u32 v15, v5, 16, 7
	s_movk_i32 s7, 0x7f
	v_cmp_ne_u32_e32 vcc, s7, v15
	v_mov_b32_e32 v4, 0x7f800001
	s_and_saveexec_b64 s[10:11], vcc
	s_cbranch_execz .LBB579_777
; %bb.776:
	v_and_b32_e32 v4, 7, v2
	v_ffbh_u32_e32 v16, v4
	v_min_u32_e32 v19, 32, v16
	v_subrev_u32_e32 v16, 28, v19
	v_lshlrev_b64 v[16:17], v16, v[2:3]
	v_lshrrev_b32_e32 v18, 3, v15
	v_sub_u32_e32 v2, 29, v19
	v_and_b32_e32 v16, 7, v16
	v_cmp_gt_u32_e32 vcc, 8, v15
	v_mov_b32_e32 v15, 24
	v_cndmask_b32_e32 v2, v18, v2, vcc
	v_cndmask_b32_e32 v4, v4, v16, vcc
	v_lshlrev_b32_sdwa v15, v15, v5 dst_sel:DWORD dst_unused:UNUSED_PAD src0_sel:DWORD src1_sel:WORD_1
	v_bfrev_b32_e32 v16, 60
	v_lshlrev_b32_e32 v4, 20, v4
	v_and_b32_e32 v15, 0x80000000, v15
	v_lshl_add_u32 v2, v2, 23, v16
	v_or3_b32 v4, v15, v2, v4
.LBB579_777:
	s_or_b64 exec, exec, s[10:11]
.LBB579_778:
	s_or_b64 exec, exec, s[8:9]
.LBB579_779:
	s_or_b64 exec, exec, s[2:3]
	s_mov_b32 s2, 0xffffff
	v_cmp_lt_u32_e32 vcc, s2, v5
	v_mov_b32_e32 v15, 0
	s_and_saveexec_b64 s[2:3], vcc
	s_cbranch_execz .LBB579_785
; %bb.780:
	v_lshrrev_b32_e32 v2, 24, v5
	s_movk_i32 s7, 0x80
	v_cmp_ne_u32_e32 vcc, s7, v2
	v_bfrev_b32_e32 v15, 1
	s_and_saveexec_b64 s[8:9], vcc
	s_cbranch_execz .LBB579_784
; %bb.781:
	v_bfe_u32 v5, v5, 24, 7
	s_movk_i32 s7, 0x7f
	v_cmp_ne_u32_e32 vcc, s7, v5
	v_mov_b32_e32 v15, 0x7f800001
	s_and_saveexec_b64 s[10:11], vcc
	s_cbranch_execz .LBB579_783
; %bb.782:
	v_and_b32_e32 v15, 7, v2
	v_ffbh_u32_e32 v16, v15
	v_min_u32_e32 v19, 32, v16
	v_subrev_u32_e32 v16, 28, v19
	v_lshlrev_b64 v[16:17], v16, v[2:3]
	v_lshrrev_b32_e32 v18, 3, v5
	v_sub_u32_e32 v17, 29, v19
	v_and_b32_e32 v16, 7, v16
	v_cmp_gt_u32_e32 vcc, 8, v5
	v_cndmask_b32_e32 v5, v18, v17, vcc
	v_cndmask_b32_e32 v15, v15, v16, vcc
	v_lshlrev_b32_e32 v2, 24, v2
	v_bfrev_b32_e32 v16, 60
	v_lshlrev_b32_e32 v15, 20, v15
	v_and_b32_e32 v2, 0x80000000, v2
	v_lshl_add_u32 v5, v5, 23, v16
	v_or3_b32 v15, v2, v5, v15
.LBB579_783:
	s_or_b64 exec, exec, s[10:11]
.LBB579_784:
	s_or_b64 exec, exec, s[8:9]
.LBB579_785:
	s_or_b64 exec, exec, s[2:3]
	v_cvt_pkrtz_f16_f32 v2, v10, v11
	v_cvt_pkrtz_f16_f32 v3, v3, v13
	ds_read_b128 v[16:19], v22 offset:6160
	s_load_dword s2, s[42:43], 0x0
	v_cmp_gt_u32_e32 vcc, 64, v0
	s_waitcnt lgkmcnt(0)
	v_mfma_f32_16x16x16f16 v[6:9], v[2:3], v[16:17], v[6:9]
	v_cvt_pkrtz_f16_f32 v2, v12, v14
	v_cvt_pkrtz_f16_f32 v3, v4, v15
	s_and_b64 s[0:1], vcc, s[0:1]
	s_barrier
	v_mfma_f32_16x16x16f16 v[2:5], v[2:3], v[18:19], v[6:9]
	s_nop 7
	s_nop 2
	v_pk_mul_f32 v[4:5], v[4:5], s[2:3] op_sel_hi:[1,0]
	v_pk_mul_f32 v[2:3], v[2:3], s[2:3] op_sel_hi:[1,0]
	v_cvt_f16_f32_e32 v2, v2
	v_cvt_f16_f32_e32 v3, v3
	;; [unrolled: 1-line block ×4, first 2 shown]
	v_pack_b32_f16 v2, v2, v3
	v_pack_b32_f16 v3, v4, v5
	ds_write_b64 v26, v[2:3]
	s_waitcnt lgkmcnt(0)
	s_barrier
	s_and_saveexec_b64 s[2:3], s[0:1]
	s_cbranch_execz .LBB579_788
; %bb.786:
	s_load_dwordx2 s[2:3], s[4:5], 0x68
	s_lshl_b32 s0, s44, 6
	s_mul_i32 s1, s12, s6
	s_mul_hi_u32 s7, s1, s0
	s_mul_i32 s6, s1, s0
	s_lshl_b64 s[6:7], s[6:7], 1
	s_waitcnt lgkmcnt(0)
	s_add_u32 s1, s2, s6
	s_mov_b32 s5, 0
	s_addc_u32 s6, s3, s7
	s_lshl_b32 s4, s24, 6
	v_lshlrev_b32_e32 v0, 10, v0
	s_lshl_b64 s[2:3], s[4:5], 1
	v_and_b32_e32 v2, 0x1800, v0
	v_lshlrev_b32_e32 v3, 5, v1
	v_and_b32_e32 v4, 16, v47
	s_add_u32 s1, s1, s2
	v_or_b32_e32 v0, 4, v1
	v_or3_b32 v2, v2, v3, v4
	s_addc_u32 s2, s6, s3
	v_add_u32_e32 v1, s25, v1
	v_mov_b32_e32 v4, s2
	v_add_co_u32_e32 v3, vcc, s1, v46
	ds_read_b128 v[6:9], v2
	v_mad_u64_u32 v[10:11], s[2:3], v1, s0, 0
	v_addc_co_u32_e32 v4, vcc, 0, v4, vcc
	v_lshlrev_b64 v[10:11], 1, v[10:11]
	v_add_co_u32_e32 v10, vcc, v3, v10
	v_addc_co_u32_e32 v11, vcc, v4, v11, vcc
	v_cmp_gt_u32_e32 vcc, 6, v0
	s_waitcnt lgkmcnt(0)
	global_store_dwordx4 v[10:11], v[6:9], off
	s_and_b64 exec, exec, vcc
	s_cbranch_execz .LBB579_788
; %bb.787:
	ds_read_b128 v[6:9], v2 offset:128
	v_add_u32_e32 v0, s25, v0
	v_mad_u64_u32 v[0:1], s[0:1], v0, s0, 0
	v_lshlrev_b64 v[0:1], 1, v[0:1]
	v_add_co_u32_e32 v0, vcc, v3, v0
	v_addc_co_u32_e32 v1, vcc, v4, v1, vcc
	s_waitcnt lgkmcnt(0)
	global_store_dwordx4 v[0:1], v[6:9], off
.LBB579_788:
	s_endpgm
	.section	.rodata,"a",@progbits
	.p2align	6, 0x0
	.amdhsa_kernel _Z39paged_attention_ll4mi_QKV_mfma16_kernelIDF16_hLN4vllm18Fp8KVCacheDataTypeE1EDF16_Li32ELi64ELi256ELb1ELi6EL8MFMAType0EEvPKT_PKT0_S8_ifPKiSA_SA_iPKfiiiPfSD_PS3_PT2_iSC_SC_
		.amdhsa_group_segment_fixed_size 8192
		.amdhsa_private_segment_fixed_size 0
		.amdhsa_kernarg_size 400
		.amdhsa_user_sgpr_count 6
		.amdhsa_user_sgpr_private_segment_buffer 1
		.amdhsa_user_sgpr_dispatch_ptr 0
		.amdhsa_user_sgpr_queue_ptr 0
		.amdhsa_user_sgpr_kernarg_segment_ptr 1
		.amdhsa_user_sgpr_dispatch_id 0
		.amdhsa_user_sgpr_flat_scratch_init 0
		.amdhsa_user_sgpr_kernarg_preload_length 0
		.amdhsa_user_sgpr_kernarg_preload_offset 0
		.amdhsa_user_sgpr_private_segment_size 0
		.amdhsa_uses_dynamic_stack 0
		.amdhsa_system_sgpr_private_segment_wavefront_offset 0
		.amdhsa_system_sgpr_workgroup_id_x 1
		.amdhsa_system_sgpr_workgroup_id_y 1
		.amdhsa_system_sgpr_workgroup_id_z 1
		.amdhsa_system_sgpr_workgroup_info 0
		.amdhsa_system_vgpr_workitem_id 0
		.amdhsa_next_free_vgpr 63
		.amdhsa_next_free_sgpr 47
		.amdhsa_accum_offset 64
		.amdhsa_reserve_vcc 1
		.amdhsa_reserve_flat_scratch 0
		.amdhsa_float_round_mode_32 0
		.amdhsa_float_round_mode_16_64 0
		.amdhsa_float_denorm_mode_32 3
		.amdhsa_float_denorm_mode_16_64 3
		.amdhsa_dx10_clamp 1
		.amdhsa_ieee_mode 1
		.amdhsa_fp16_overflow 0
		.amdhsa_tg_split 0
		.amdhsa_exception_fp_ieee_invalid_op 0
		.amdhsa_exception_fp_denorm_src 0
		.amdhsa_exception_fp_ieee_div_zero 0
		.amdhsa_exception_fp_ieee_overflow 0
		.amdhsa_exception_fp_ieee_underflow 0
		.amdhsa_exception_fp_ieee_inexact 0
		.amdhsa_exception_int_div_zero 0
	.end_amdhsa_kernel
	.section	.text._Z39paged_attention_ll4mi_QKV_mfma16_kernelIDF16_hLN4vllm18Fp8KVCacheDataTypeE1EDF16_Li32ELi64ELi256ELb1ELi6EL8MFMAType0EEvPKT_PKT0_S8_ifPKiSA_SA_iPKfiiiPfSD_PS3_PT2_iSC_SC_,"axG",@progbits,_Z39paged_attention_ll4mi_QKV_mfma16_kernelIDF16_hLN4vllm18Fp8KVCacheDataTypeE1EDF16_Li32ELi64ELi256ELb1ELi6EL8MFMAType0EEvPKT_PKT0_S8_ifPKiSA_SA_iPKfiiiPfSD_PS3_PT2_iSC_SC_,comdat
.Lfunc_end579:
	.size	_Z39paged_attention_ll4mi_QKV_mfma16_kernelIDF16_hLN4vllm18Fp8KVCacheDataTypeE1EDF16_Li32ELi64ELi256ELb1ELi6EL8MFMAType0EEvPKT_PKT0_S8_ifPKiSA_SA_iPKfiiiPfSD_PS3_PT2_iSC_SC_, .Lfunc_end579-_Z39paged_attention_ll4mi_QKV_mfma16_kernelIDF16_hLN4vllm18Fp8KVCacheDataTypeE1EDF16_Li32ELi64ELi256ELb1ELi6EL8MFMAType0EEvPKT_PKT0_S8_ifPKiSA_SA_iPKfiiiPfSD_PS3_PT2_iSC_SC_
                                        ; -- End function
	.section	.AMDGPU.csdata,"",@progbits
; Kernel info:
; codeLenInByte = 27340
; NumSgprs: 51
; NumVgprs: 63
; NumAgprs: 0
; TotalNumVgprs: 63
; ScratchSize: 0
; MemoryBound: 0
; FloatMode: 240
; IeeeMode: 1
; LDSByteSize: 8192 bytes/workgroup (compile time only)
; SGPRBlocks: 6
; VGPRBlocks: 7
; NumSGPRsForWavesPerEU: 51
; NumVGPRsForWavesPerEU: 63
; AccumOffset: 64
; Occupancy: 8
; WaveLimiterHint : 1
; COMPUTE_PGM_RSRC2:SCRATCH_EN: 0
; COMPUTE_PGM_RSRC2:USER_SGPR: 6
; COMPUTE_PGM_RSRC2:TRAP_HANDLER: 0
; COMPUTE_PGM_RSRC2:TGID_X_EN: 1
; COMPUTE_PGM_RSRC2:TGID_Y_EN: 1
; COMPUTE_PGM_RSRC2:TGID_Z_EN: 1
; COMPUTE_PGM_RSRC2:TIDIG_COMP_CNT: 0
; COMPUTE_PGM_RSRC3_GFX90A:ACCUM_OFFSET: 15
; COMPUTE_PGM_RSRC3_GFX90A:TG_SPLIT: 0
	.section	.text._Z39paged_attention_ll4mi_QKV_mfma16_kernelIDF16_hLN4vllm18Fp8KVCacheDataTypeE1EDF16_Li32ELi64ELi256ELb1ELi7EL8MFMAType0EEvPKT_PKT0_S8_ifPKiSA_SA_iPKfiiiPfSD_PS3_PT2_iSC_SC_,"axG",@progbits,_Z39paged_attention_ll4mi_QKV_mfma16_kernelIDF16_hLN4vllm18Fp8KVCacheDataTypeE1EDF16_Li32ELi64ELi256ELb1ELi7EL8MFMAType0EEvPKT_PKT0_S8_ifPKiSA_SA_iPKfiiiPfSD_PS3_PT2_iSC_SC_,comdat
	.protected	_Z39paged_attention_ll4mi_QKV_mfma16_kernelIDF16_hLN4vllm18Fp8KVCacheDataTypeE1EDF16_Li32ELi64ELi256ELb1ELi7EL8MFMAType0EEvPKT_PKT0_S8_ifPKiSA_SA_iPKfiiiPfSD_PS3_PT2_iSC_SC_ ; -- Begin function _Z39paged_attention_ll4mi_QKV_mfma16_kernelIDF16_hLN4vllm18Fp8KVCacheDataTypeE1EDF16_Li32ELi64ELi256ELb1ELi7EL8MFMAType0EEvPKT_PKT0_S8_ifPKiSA_SA_iPKfiiiPfSD_PS3_PT2_iSC_SC_
	.globl	_Z39paged_attention_ll4mi_QKV_mfma16_kernelIDF16_hLN4vllm18Fp8KVCacheDataTypeE1EDF16_Li32ELi64ELi256ELb1ELi7EL8MFMAType0EEvPKT_PKT0_S8_ifPKiSA_SA_iPKfiiiPfSD_PS3_PT2_iSC_SC_
	.p2align	8
	.type	_Z39paged_attention_ll4mi_QKV_mfma16_kernelIDF16_hLN4vllm18Fp8KVCacheDataTypeE1EDF16_Li32ELi64ELi256ELb1ELi7EL8MFMAType0EEvPKT_PKT0_S8_ifPKiSA_SA_iPKfiiiPfSD_PS3_PT2_iSC_SC_,@function
_Z39paged_attention_ll4mi_QKV_mfma16_kernelIDF16_hLN4vllm18Fp8KVCacheDataTypeE1EDF16_Li32ELi64ELi256ELb1ELi7EL8MFMAType0EEvPKT_PKT0_S8_ifPKiSA_SA_iPKfiiiPfSD_PS3_PT2_iSC_SC_: ; @_Z39paged_attention_ll4mi_QKV_mfma16_kernelIDF16_hLN4vllm18Fp8KVCacheDataTypeE1EDF16_Li32ELi64ELi256ELb1ELi7EL8MFMAType0EEvPKT_PKT0_S8_ifPKiSA_SA_iPKfiiiPfSD_PS3_PT2_iSC_SC_
; %bb.0:
	s_load_dwordx2 s[0:1], s[4:5], 0x30
	s_mov_b32 s24, s7
	s_mov_b64 s[10:11], 0
	s_waitcnt lgkmcnt(0)
	s_cmp_lg_u64 s[0:1], 0
	s_cselect_b64 s[2:3], -1, 0
	s_and_b64 vcc, exec, s[2:3]
	s_cbranch_vccz .LBB580_7
; %bb.1:
	s_add_i32 s12, s6, 1
	s_mov_b32 s13, 0
	s_lshl_b64 s[14:15], s[12:13], 2
	s_add_u32 s14, s0, s14
	s_mov_b32 s7, s13
	s_addc_u32 s15, s1, s15
	s_lshl_b64 s[12:13], s[6:7], 2
	s_add_u32 s12, s0, s12
	s_addc_u32 s13, s1, s13
	s_load_dword s9, s[14:15], 0x0
	s_load_dword s16, s[12:13], 0x0
	s_waitcnt lgkmcnt(0)
	s_sub_i32 s9, s9, s16
	s_cmp_eq_u32 s9, 1
	s_cselect_b64 s[12:13], -1, 0
	s_andn2_b64 vcc, exec, s[10:11]
	s_cbranch_vccnz .LBB580_3
.LBB580_2:
	s_mov_b32 s7, 0
	s_mov_b64 s[12:13], -1
.LBB580_3:
	s_andn2_b64 vcc, exec, s[12:13]
	s_cbranch_vccnz .LBB580_788
; %bb.4:
	s_load_dwordx2 s[12:13], s[4:5], 0x28
	s_lshl_b64 s[10:11], s[6:7], 2
	s_waitcnt lgkmcnt(0)
	s_add_u32 s12, s12, s10
	s_addc_u32 s13, s13, s11
	s_load_dword s33, s[12:13], 0x0
	s_lshl_b32 s18, s24, 8
	s_waitcnt lgkmcnt(0)
	s_cmp_ge_i32 s18, s33
	s_cbranch_scc1 .LBB580_788
; %bb.5:
	s_add_i32 s14, s33, 31
	s_load_dwordx2 s[12:13], s[4:5], 0x20
	s_load_dword s9, s[4:5], 0x38
	s_ashr_i32 s15, s14, 31
	v_and_b32_e32 v1, 0xcf, v0
	s_lshr_b32 s15, s15, 27
	v_add_u32_e32 v1, s18, v1
	s_add_i32 s14, s14, s15
	v_ashrrev_i32_e32 v2, 31, v1
	s_ashr_i32 s21, s14, 5
	v_lshrrev_b32_e32 v4, 27, v2
	s_add_i32 s21, s21, -1
	v_add_u32_e32 v2, v1, v4
	s_waitcnt lgkmcnt(0)
	s_mul_i32 s14, s6, s9
	s_mov_b32 s15, 0
	v_ashrrev_i32_e32 v2, 5, v2
	v_mov_b32_e32 v5, s21
	v_cmp_gt_i32_e32 vcc, s33, v1
	s_lshl_b64 s[14:15], s[14:15], 2
	v_cndmask_b32_e32 v2, v5, v2, vcc
	s_add_u32 s19, s12, s14
	v_ashrrev_i32_e32 v3, 31, v2
	s_addc_u32 s20, s13, s15
	v_lshlrev_b64 v[2:3], 2, v[2:3]
	v_mov_b32_e32 v7, s20
	v_add_co_u32_e32 v6, vcc, s19, v2
	v_or_b32_e32 v2, 16, v1
	v_addc_co_u32_e32 v7, vcc, v7, v3, vcc
	v_add_u32_e32 v3, v2, v4
	v_ashrrev_i32_e32 v3, 5, v3
	v_cmp_gt_i32_e32 vcc, s33, v2
	v_cndmask_b32_e32 v2, v5, v3, vcc
	v_ashrrev_i32_e32 v3, 31, v2
	v_lshlrev_b64 v[2:3], 2, v[2:3]
	v_mov_b32_e32 v9, s20
	v_add_co_u32_e32 v8, vcc, s19, v2
	v_or_b32_e32 v2, 32, v1
	v_addc_co_u32_e32 v9, vcc, v9, v3, vcc
	v_add_u32_e32 v3, v2, v4
	v_ashrrev_i32_e32 v3, 5, v3
	v_cmp_gt_i32_e32 vcc, s33, v2
	v_cndmask_b32_e32 v2, v5, v3, vcc
	v_ashrrev_i32_e32 v3, 31, v2
	;; [unrolled: 10-line block ×3, first 2 shown]
	v_lshlrev_b64 v[2:3], 2, v[2:3]
	v_mov_b32_e32 v1, s20
	v_add_co_u32_e32 v12, vcc, s19, v2
	v_addc_co_u32_e32 v13, vcc, v1, v3, vcc
	global_load_dword v5, v[6:7], off
	global_load_dword v4, v[8:9], off
	;; [unrolled: 1-line block ×4, first 2 shown]
	s_load_dwordx2 s[16:17], s[4:5], 0x8
	s_andn2_b64 vcc, exec, s[2:3]
	s_cbranch_vccnz .LBB580_8
; %bb.6:
	s_add_u32 s0, s0, s10
	s_addc_u32 s1, s1, s11
	s_load_dword s9, s[0:1], 0x0
	s_branch .LBB580_9
.LBB580_7:
	s_mov_b64 s[12:13], 0
	s_branch .LBB580_2
.LBB580_8:
	s_mov_b32 s9, s6
.LBB580_9:
	s_load_dwordx2 s[2:3], s[4:5], 0x10
	s_load_dwordx4 s[12:15], s[4:5], 0x48
	v_lshrrev_b32_e32 v50, 6, v0
	v_bfe_u32 v1, v0, 4, 2
	v_lshl_or_b32 v6, v50, 2, v1
	v_and_b32_e32 v49, 15, v0
	v_lshlrev_b32_e32 v7, 3, v49
	v_cmp_gt_u32_e32 vcc, 7, v6
	v_cmp_gt_u32_e64 s[0:1], 8, v49
	s_mul_i32 s25, s8, 7
	s_and_b64 s[22:23], s[0:1], vcc
	v_lshlrev_b32_e32 v46, 1, v7
	v_lshlrev_b32_e32 v47, 4, v0
	s_and_saveexec_b64 s[10:11], s[22:23]
	s_cbranch_execz .LBB580_11
; %bb.10:
	s_load_dwordx2 s[22:23], s[4:5], 0x0
	s_waitcnt lgkmcnt(0)
	s_ashr_i32 s15, s12, 31
	s_mul_hi_u32 s26, s9, s12
	s_mul_i32 s15, s9, s15
	s_add_i32 s27, s26, s15
	s_mul_i32 s26, s9, s12
	s_lshl_b64 s[26:27], s[26:27], 1
	v_add_lshl_u32 v8, v6, s25, 6
	s_add_u32 s9, s22, s26
	v_ashrrev_i32_e32 v9, 31, v8
	s_addc_u32 s12, s23, s27
	v_lshlrev_b64 v[8:9], 1, v[8:9]
	v_mov_b32_e32 v7, s12
	v_add_co_u32_e32 v8, vcc, s9, v8
	v_addc_co_u32_e32 v7, vcc, v7, v9, vcc
	v_add_co_u32_e32 v8, vcc, v8, v46
	v_addc_co_u32_e32 v9, vcc, 0, v7, vcc
	global_load_dwordx4 v[8:11], v[8:9], off
	v_lshlrev_b32_e32 v12, 8, v49
	v_lshlrev_b32_e32 v6, 5, v6
	v_and_b32_e32 v7, 16, v47
	v_and_b32_e32 v12, 0xe00, v12
	v_or3_b32 v6, v12, v6, v7
	s_waitcnt vmcnt(0)
	ds_write_b128 v6, v[8:11]
.LBB580_11:
	s_or_b64 exec, exec, s[10:11]
	s_waitcnt lgkmcnt(0)
	s_mul_i32 s10, s8, s14
	s_add_u32 s8, s16, s10
	s_addc_u32 s9, s17, 0
	v_pk_mov_b32 v[8:9], s[8:9], s[8:9] op_sel:[0,1]
	s_waitcnt vmcnt(3)
	v_mad_i64_i32 v[10:11], s[8:9], v5, s13, v[8:9]
	v_lshlrev_b32_e32 v12, 4, v49
	v_and_b32_e32 v6, 48, v0
	v_add_co_u32_e32 v5, vcc, v10, v12
	v_lshlrev_b32_e32 v7, 5, v6
	v_addc_co_u32_e32 v11, vcc, 0, v11, vcc
	v_add_co_u32_e32 v10, vcc, v5, v7
	v_addc_co_u32_e32 v11, vcc, 0, v11, vcc
	s_waitcnt vmcnt(2)
	v_mad_i64_i32 v[4:5], s[8:9], v4, s13, v[8:9]
	v_or_b32_e32 v13, 0x100, v12
	v_add_co_u32_e32 v4, vcc, v4, v13
	v_addc_co_u32_e32 v5, vcc, 0, v5, vcc
	v_add_co_u32_e32 v4, vcc, v4, v7
	v_addc_co_u32_e32 v5, vcc, 0, v5, vcc
	s_barrier
	global_load_dwordx4 v[34:37], v[10:11], off
	global_load_dwordx4 v[38:41], v[4:5], off
	s_waitcnt vmcnt(3)
	v_mad_i64_i32 v[4:5], s[8:9], v3, s13, v[8:9]
	v_add_co_u32_e32 v3, vcc, v4, v12
	v_addc_co_u32_e32 v5, vcc, 0, v5, vcc
	v_add_co_u32_e32 v4, vcc, v3, v7
	v_addc_co_u32_e32 v5, vcc, 0, v5, vcc
	s_waitcnt vmcnt(2)
	v_mad_i64_i32 v[2:3], s[8:9], v2, s13, v[8:9]
	v_add_co_u32_e32 v2, vcc, v2, v13
	v_addc_co_u32_e32 v3, vcc, 0, v3, vcc
	v_add_co_u32_e32 v2, vcc, v2, v7
	v_addc_co_u32_e32 v3, vcc, 0, v3, vcc
	global_load_dwordx4 v[30:33], v[4:5], off
	global_load_dwordx4 v[22:25], v[2:3], off
	v_mul_lo_u16_e32 v2, 37, v49
	v_mov_b32_e32 v3, 7
	v_mul_lo_u16_sdwa v2, v2, v3 dst_sel:DWORD dst_unused:UNUSED_PAD src0_sel:BYTE_1 src1_sel:DWORD
	v_sub_u16_e32 v2, v49, v2
	v_mov_b32_e32 v3, 5
	v_lshlrev_b32_sdwa v2, v3, v2 dst_sel:DWORD dst_unused:UNUSED_PAD src0_sel:DWORD src1_sel:BYTE_0
	v_lshl_add_u32 v2, v1, 9, v2
	ds_read_b128 v[26:29], v2
	ds_read_b128 v[18:21], v2 offset:16
	v_cmp_gt_u32_e32 vcc, 7, v49
	v_mov_b32_e32 v43, 0
	v_mov_b32_e32 v51, 0
	s_and_saveexec_b64 s[8:9], vcc
	s_cbranch_execz .LBB580_13
; %bb.12:
	s_load_dwordx2 s[14:15], s[4:5], 0x40
	v_add_u32_e32 v2, s25, v49
	v_ashrrev_i32_e32 v3, 31, v2
	v_lshlrev_b64 v[2:3], 2, v[2:3]
	s_waitcnt lgkmcnt(0)
	v_mov_b32_e32 v4, s15
	v_add_co_u32_e32 v2, vcc, s14, v2
	v_addc_co_u32_e32 v3, vcc, v4, v3, vcc
	global_load_dword v51, v[2:3], off
.LBB580_13:
	s_or_b64 exec, exec, s[8:9]
	s_ashr_i32 s8, s18, 31
	v_or_b32_e32 v8, s18, v6
	s_lshr_b32 s8, s8, 27
	v_add_u32_e32 v2, s8, v8
	v_ashrrev_i32_e32 v2, 5, v2
	v_mov_b32_e32 v9, s21
	v_cmp_gt_i32_e32 vcc, s33, v8
	v_cndmask_b32_e32 v2, v9, v2, vcc
	v_ashrrev_i32_e32 v3, 31, v2
	v_lshlrev_b64 v[2:3], 2, v[2:3]
	v_mov_b32_e32 v4, s20
	v_add_co_u32_e32 v2, vcc, s19, v2
	v_addc_co_u32_e32 v3, vcc, v4, v3, vcc
	v_or_b32_e32 v4, 64, v8
	v_add_u32_e32 v5, s8, v4
	v_ashrrev_i32_e32 v5, 5, v5
	v_cmp_gt_i32_e32 vcc, s33, v4
	v_cndmask_b32_e32 v4, v9, v5, vcc
	v_ashrrev_i32_e32 v5, 31, v4
	v_lshlrev_b64 v[4:5], 2, v[4:5]
	v_mov_b32_e32 v6, s20
	v_add_co_u32_e32 v4, vcc, s19, v4
	v_addc_co_u32_e32 v5, vcc, v6, v5, vcc
	v_or_b32_e32 v6, 0x80, v8
	v_add_u32_e32 v7, s8, v6
	v_ashrrev_i32_e32 v7, 5, v7
	v_cmp_gt_i32_e32 vcc, s33, v6
	v_cndmask_b32_e32 v6, v9, v7, vcc
	v_ashrrev_i32_e32 v7, 31, v6
	v_lshlrev_b64 v[6:7], 2, v[6:7]
	v_mov_b32_e32 v10, s20
	v_add_co_u32_e32 v6, vcc, s19, v6
	v_addc_co_u32_e32 v7, vcc, v10, v7, vcc
	global_load_dword v10, v[2:3], off
	global_load_dword v11, v[4:5], off
	;; [unrolled: 1-line block ×3, first 2 shown]
	v_or_b32_e32 v2, 0xc0, v8
	v_add_u32_e32 v3, s8, v2
	v_ashrrev_i32_e32 v3, 5, v3
	v_cmp_gt_i32_e32 vcc, s33, v2
	v_cndmask_b32_e32 v2, v9, v3, vcc
	v_ashrrev_i32_e32 v3, 31, v2
	v_lshlrev_b64 v[2:3], 2, v[2:3]
	v_mov_b32_e32 v4, s20
	v_add_co_u32_e32 v2, vcc, s19, v2
	v_addc_co_u32_e32 v3, vcc, v4, v3, vcc
	global_load_dword v13, v[2:3], off
	s_add_u32 s2, s2, s10
	v_and_b32_e32 v2, 16, v0
	s_addc_u32 s3, s3, 0
	v_lshlrev_b32_e32 v48, 5, v49
	v_mov_b32_e32 v4, s3
	v_add_co_u32_e32 v2, vcc, s2, v2
	v_lshl_or_b32 v3, v50, 9, v48
	v_addc_co_u32_e32 v4, vcc, 0, v4, vcc
	v_add_co_u32_e32 v2, vcc, v2, v3
	v_addc_co_u32_e32 v3, vcc, 0, v4, vcc
	s_movk_i32 s8, 0x80
	s_waitcnt vmcnt(7)
	v_cmp_ne_u16_sdwa s[10:11], v34, v43 src0_sel:BYTE_0 src1_sel:DWORD
	s_waitcnt vmcnt(3)
	v_mad_i64_i32 v[4:5], s[2:3], v10, s13, v[2:3]
	s_waitcnt vmcnt(2)
	v_mad_i64_i32 v[6:7], s[2:3], v11, s13, v[2:3]
	;; [unrolled: 2-line block ×4, first 2 shown]
	global_load_dwordx4 v[14:17], v[4:5], off
	global_load_dwordx4 v[10:13], v[6:7], off
	s_nop 0
	global_load_dwordx4 v[6:9], v[8:9], off
	s_nop 0
	global_load_dwordx4 v[2:5], v[2:3], off
	s_load_dwordx4 s[40:43], s[4:5], 0x80
	s_load_dwordx2 s[44:45], s[4:5], 0x94
	s_waitcnt lgkmcnt(0)
	s_load_dword s12, s[40:41], 0x0
	s_and_saveexec_b64 s[2:3], s[10:11]
	s_cbranch_execz .LBB580_19
; %bb.14:
	v_cmp_ne_u16_sdwa s[10:11], v34, s8 src0_sel:BYTE_0 src1_sel:DWORD
	v_bfrev_b32_e32 v43, 1
	s_and_saveexec_b64 s[8:9], s[10:11]
	s_cbranch_execz .LBB580_18
; %bb.15:
	s_movk_i32 s10, 0x7f
	v_and_b32_e32 v42, 0x7f, v34
	v_cmp_ne_u32_e32 vcc, s10, v42
	v_mov_b32_e32 v43, 0x7f800001
	s_and_saveexec_b64 s[10:11], vcc
	s_cbranch_execz .LBB580_17
; %bb.16:
	v_and_b32_e32 v43, 7, v34
	v_ffbh_u32_e32 v44, v43
	v_min_u32_e32 v53, 32, v44
	v_subrev_u32_e32 v44, 28, v53
	v_lshlrev_b64 v[44:45], v44, v[34:35]
	v_lshrrev_b32_e32 v52, 3, v42
	v_sub_u32_e32 v45, 29, v53
	v_and_b32_e32 v44, 7, v44
	v_cmp_gt_u32_e32 vcc, 8, v42
	v_cndmask_b32_e32 v42, v52, v45, vcc
	v_cndmask_b32_e32 v43, v43, v44, vcc
	v_lshlrev_b32_e32 v44, 24, v34
	v_bfrev_b32_e32 v45, 60
	v_lshlrev_b32_e32 v43, 20, v43
	v_and_b32_e32 v44, 0x80000000, v44
	v_lshl_add_u32 v42, v42, 23, v45
	v_or3_b32 v43, v44, v42, v43
.LBB580_17:
	s_or_b64 exec, exec, s[10:11]
.LBB580_18:
	s_or_b64 exec, exec, s[8:9]
.LBB580_19:
	s_or_b64 exec, exec, s[2:3]
	v_lshrrev_b16_e32 v42, 8, v34
	v_cmp_ne_u16_e32 vcc, 0, v42
	v_mov_b32_e32 v44, 0
	v_mov_b32_e32 v45, 0
	s_and_saveexec_b64 s[2:3], vcc
	s_cbranch_execz .LBB580_25
; %bb.20:
	s_movk_i32 s8, 0x80
	v_cmp_ne_u16_e32 vcc, s8, v42
	v_bfrev_b32_e32 v45, 1
	s_and_saveexec_b64 s[8:9], vcc
	s_cbranch_execz .LBB580_24
; %bb.21:
	s_movk_i32 s10, 0x7f
	v_and_b32_e32 v52, 0x7f, v42
	v_cmp_ne_u32_e32 vcc, s10, v52
	v_mov_b32_e32 v45, 0x7f800001
	s_and_saveexec_b64 s[10:11], vcc
	s_cbranch_execz .LBB580_23
; %bb.22:
	v_and_b32_e32 v45, 7, v42
	v_ffbh_u32_e32 v54, v45
	v_min_u32_e32 v56, 32, v54
	v_subrev_u32_e32 v54, 28, v56
	v_lshlrev_b64 v[54:55], v54, v[42:43]
	v_lshrrev_b32_e32 v53, 3, v52
	v_sub_u32_e32 v42, 29, v56
	v_and_b32_e32 v54, 7, v54
	v_cmp_gt_u32_e32 vcc, 8, v52
	v_cndmask_b32_e32 v42, v53, v42, vcc
	v_cndmask_b32_e32 v45, v45, v54, vcc
	v_lshlrev_b32_e32 v52, 16, v34
	v_bfrev_b32_e32 v53, 60
	v_lshlrev_b32_e32 v45, 20, v45
	v_and_b32_e32 v52, 0x80000000, v52
	v_lshl_add_u32 v42, v42, 23, v53
	v_or3_b32 v45, v52, v42, v45
.LBB580_23:
	s_or_b64 exec, exec, s[10:11]
.LBB580_24:
	s_or_b64 exec, exec, s[8:9]
.LBB580_25:
	s_or_b64 exec, exec, s[2:3]
	s_movk_i32 s2, 0xff
	v_and_b32_sdwa v52, v34, s2 dst_sel:DWORD dst_unused:UNUSED_PAD src0_sel:WORD_1 src1_sel:DWORD
	v_lshrrev_b32_e32 v42, 16, v34
	v_cmp_ne_u16_e32 vcc, 0, v52
	s_and_saveexec_b64 s[2:3], vcc
	s_cbranch_execz .LBB580_31
; %bb.26:
	s_movk_i32 s8, 0x80
	v_cmp_ne_u16_e32 vcc, s8, v52
	v_bfrev_b32_e32 v44, 1
	s_and_saveexec_b64 s[8:9], vcc
	s_cbranch_execz .LBB580_30
; %bb.27:
	v_bfe_u32 v52, v34, 16, 7
	s_movk_i32 s10, 0x7f
	v_cmp_ne_u32_e32 vcc, s10, v52
	v_mov_b32_e32 v44, 0x7f800001
	s_and_saveexec_b64 s[10:11], vcc
	s_cbranch_execz .LBB580_29
; %bb.28:
	v_and_b32_e32 v44, 7, v42
	v_ffbh_u32_e32 v54, v44
	v_min_u32_e32 v56, 32, v54
	v_subrev_u32_e32 v54, 28, v56
	v_lshlrev_b64 v[54:55], v54, v[42:43]
	v_lshrrev_b32_e32 v53, 3, v52
	v_sub_u32_e32 v42, 29, v56
	v_and_b32_e32 v54, 7, v54
	v_cmp_gt_u32_e32 vcc, 8, v52
	v_mov_b32_e32 v52, 24
	v_cndmask_b32_e32 v42, v53, v42, vcc
	v_cndmask_b32_e32 v44, v44, v54, vcc
	v_lshlrev_b32_sdwa v52, v52, v34 dst_sel:DWORD dst_unused:UNUSED_PAD src0_sel:DWORD src1_sel:WORD_1
	v_bfrev_b32_e32 v53, 60
	v_lshlrev_b32_e32 v44, 20, v44
	v_and_b32_e32 v52, 0x80000000, v52
	v_lshl_add_u32 v42, v42, 23, v53
	v_or3_b32 v44, v52, v42, v44
.LBB580_29:
	s_or_b64 exec, exec, s[10:11]
.LBB580_30:
	s_or_b64 exec, exec, s[8:9]
.LBB580_31:
	s_or_b64 exec, exec, s[2:3]
	s_mov_b32 s2, 0xffffff
	v_cmp_lt_u32_e32 vcc, s2, v34
	v_mov_b32_e32 v53, 0
	v_mov_b32_e32 v54, 0
	s_and_saveexec_b64 s[2:3], vcc
	s_cbranch_execz .LBB580_37
; %bb.32:
	v_lshrrev_b32_e32 v42, 24, v34
	s_movk_i32 s8, 0x80
	v_cmp_ne_u32_e32 vcc, s8, v42
	v_bfrev_b32_e32 v54, 1
	s_and_saveexec_b64 s[8:9], vcc
	s_cbranch_execz .LBB580_36
; %bb.33:
	v_bfe_u32 v34, v34, 24, 7
	s_movk_i32 s10, 0x7f
	v_cmp_ne_u32_e32 vcc, s10, v34
	v_mov_b32_e32 v54, 0x7f800001
	s_and_saveexec_b64 s[10:11], vcc
	s_cbranch_execz .LBB580_35
; %bb.34:
	v_and_b32_e32 v52, 7, v42
	v_ffbh_u32_e32 v54, v52
	v_min_u32_e32 v57, 32, v54
	v_subrev_u32_e32 v54, 28, v57
	v_lshlrev_b64 v[54:55], v54, v[42:43]
	v_lshrrev_b32_e32 v56, 3, v34
	v_sub_u32_e32 v55, 29, v57
	v_and_b32_e32 v54, 7, v54
	v_cmp_gt_u32_e32 vcc, 8, v34
	v_cndmask_b32_e32 v34, v56, v55, vcc
	v_cndmask_b32_e32 v52, v52, v54, vcc
	v_lshlrev_b32_e32 v42, 24, v42
	v_bfrev_b32_e32 v54, 60
	v_lshlrev_b32_e32 v52, 20, v52
	v_and_b32_e32 v42, 0x80000000, v42
	v_lshl_add_u32 v34, v34, 23, v54
	v_or3_b32 v54, v42, v34, v52
.LBB580_35:
	s_or_b64 exec, exec, s[10:11]
.LBB580_36:
	s_or_b64 exec, exec, s[8:9]
.LBB580_37:
	s_or_b64 exec, exec, s[2:3]
	v_cmp_ne_u16_sdwa s[8:9], v35, v53 src0_sel:BYTE_0 src1_sel:DWORD
	s_and_saveexec_b64 s[2:3], s[8:9]
	s_cbranch_execz .LBB580_43
; %bb.38:
	s_movk_i32 s8, 0x80
	v_cmp_ne_u16_sdwa s[10:11], v35, s8 src0_sel:BYTE_0 src1_sel:DWORD
	v_bfrev_b32_e32 v53, 1
	s_and_saveexec_b64 s[8:9], s[10:11]
	s_cbranch_execz .LBB580_42
; %bb.39:
	s_movk_i32 s10, 0x7f
	v_and_b32_e32 v34, 0x7f, v35
	v_cmp_ne_u32_e32 vcc, s10, v34
	v_mov_b32_e32 v53, 0x7f800001
	s_and_saveexec_b64 s[10:11], vcc
	s_cbranch_execz .LBB580_41
; %bb.40:
	v_and_b32_e32 v55, 7, v35
	v_ffbh_u32_e32 v52, v55
	v_min_u32_e32 v57, 32, v52
	v_mov_b32_e32 v42, v35
	v_subrev_u32_e32 v52, 28, v57
	v_lshlrev_b64 v[52:53], v52, v[42:43]
	v_lshrrev_b32_e32 v56, 3, v34
	v_sub_u32_e32 v42, 29, v57
	v_and_b32_e32 v52, 7, v52
	v_cmp_gt_u32_e32 vcc, 8, v34
	v_cndmask_b32_e32 v34, v56, v42, vcc
	v_cndmask_b32_e32 v42, v55, v52, vcc
	v_lshlrev_b32_e32 v52, 24, v35
	v_bfrev_b32_e32 v53, 60
	v_lshlrev_b32_e32 v42, 20, v42
	v_and_b32_e32 v52, 0x80000000, v52
	v_lshl_add_u32 v34, v34, 23, v53
	v_or3_b32 v53, v52, v34, v42
.LBB580_41:
	s_or_b64 exec, exec, s[10:11]
.LBB580_42:
	s_or_b64 exec, exec, s[8:9]
.LBB580_43:
	s_or_b64 exec, exec, s[2:3]
	v_lshrrev_b16_e32 v34, 8, v35
	v_cmp_ne_u16_e32 vcc, 0, v34
	v_mov_b32_e32 v42, 0
	v_mov_b32_e32 v55, 0
	s_and_saveexec_b64 s[2:3], vcc
	s_cbranch_execz .LBB580_49
; %bb.44:
	s_movk_i32 s8, 0x80
	v_cmp_ne_u16_e32 vcc, s8, v34
	v_bfrev_b32_e32 v55, 1
	s_and_saveexec_b64 s[8:9], vcc
	s_cbranch_execz .LBB580_48
; %bb.45:
	s_movk_i32 s10, 0x7f
	v_and_b32_e32 v52, 0x7f, v34
	v_cmp_ne_u32_e32 vcc, s10, v52
	v_mov_b32_e32 v55, 0x7f800001
	s_and_saveexec_b64 s[10:11], vcc
	s_cbranch_execz .LBB580_47
; %bb.46:
	v_and_b32_e32 v55, 7, v34
	v_ffbh_u32_e32 v56, v55
	v_min_u32_e32 v59, 32, v56
	v_subrev_u32_e32 v56, 28, v59
	v_lshlrev_b64 v[56:57], v56, v[34:35]
	v_lshrrev_b32_e32 v58, 3, v52
	v_sub_u32_e32 v34, 29, v59
	v_and_b32_e32 v56, 7, v56
	v_cmp_gt_u32_e32 vcc, 8, v52
	v_cndmask_b32_e32 v34, v58, v34, vcc
	v_cndmask_b32_e32 v52, v55, v56, vcc
	v_lshlrev_b32_e32 v55, 16, v35
	v_bfrev_b32_e32 v56, 60
	v_lshlrev_b32_e32 v52, 20, v52
	v_and_b32_e32 v55, 0x80000000, v55
	v_lshl_add_u32 v34, v34, 23, v56
	v_or3_b32 v55, v55, v34, v52
.LBB580_47:
	s_or_b64 exec, exec, s[10:11]
.LBB580_48:
	s_or_b64 exec, exec, s[8:9]
.LBB580_49:
	s_or_b64 exec, exec, s[2:3]
	s_movk_i32 s2, 0xff
	v_and_b32_sdwa v52, v35, s2 dst_sel:DWORD dst_unused:UNUSED_PAD src0_sel:WORD_1 src1_sel:DWORD
	v_lshrrev_b32_e32 v34, 16, v35
	v_cmp_ne_u16_e32 vcc, 0, v52
	s_and_saveexec_b64 s[2:3], vcc
	s_cbranch_execz .LBB580_55
; %bb.50:
	s_movk_i32 s8, 0x80
	v_cmp_ne_u16_e32 vcc, s8, v52
	v_bfrev_b32_e32 v42, 1
	s_and_saveexec_b64 s[8:9], vcc
	s_cbranch_execz .LBB580_54
; %bb.51:
	v_bfe_u32 v52, v35, 16, 7
	s_movk_i32 s10, 0x7f
	v_cmp_ne_u32_e32 vcc, s10, v52
	v_mov_b32_e32 v42, 0x7f800001
	s_and_saveexec_b64 s[10:11], vcc
	s_cbranch_execz .LBB580_53
; %bb.52:
	v_and_b32_e32 v42, 7, v34
	v_ffbh_u32_e32 v56, v42
	v_min_u32_e32 v59, 32, v56
	v_subrev_u32_e32 v56, 28, v59
	v_lshlrev_b64 v[56:57], v56, v[34:35]
	v_lshrrev_b32_e32 v58, 3, v52
	v_sub_u32_e32 v34, 29, v59
	v_and_b32_e32 v56, 7, v56
	v_cmp_gt_u32_e32 vcc, 8, v52
	v_mov_b32_e32 v52, 24
	v_cndmask_b32_e32 v34, v58, v34, vcc
	v_cndmask_b32_e32 v42, v42, v56, vcc
	v_lshlrev_b32_sdwa v52, v52, v35 dst_sel:DWORD dst_unused:UNUSED_PAD src0_sel:DWORD src1_sel:WORD_1
	v_bfrev_b32_e32 v56, 60
	v_lshlrev_b32_e32 v42, 20, v42
	v_and_b32_e32 v52, 0x80000000, v52
	v_lshl_add_u32 v34, v34, 23, v56
	v_or3_b32 v42, v52, v34, v42
.LBB580_53:
	s_or_b64 exec, exec, s[10:11]
.LBB580_54:
	s_or_b64 exec, exec, s[8:9]
.LBB580_55:
	s_or_b64 exec, exec, s[2:3]
	s_mov_b32 s2, 0xffffff
	v_cmp_lt_u32_e32 vcc, s2, v35
	v_mov_b32_e32 v52, 0
	v_mov_b32_e32 v56, 0
	s_and_saveexec_b64 s[2:3], vcc
	s_cbranch_execz .LBB580_61
; %bb.56:
	v_lshrrev_b32_e32 v34, 24, v35
	s_movk_i32 s8, 0x80
	v_cmp_ne_u32_e32 vcc, s8, v34
	v_bfrev_b32_e32 v56, 1
	s_and_saveexec_b64 s[8:9], vcc
	s_cbranch_execz .LBB580_60
; %bb.57:
	v_bfe_u32 v35, v35, 24, 7
	s_movk_i32 s10, 0x7f
	v_cmp_ne_u32_e32 vcc, s10, v35
	v_mov_b32_e32 v56, 0x7f800001
	s_and_saveexec_b64 s[10:11], vcc
	s_cbranch_execz .LBB580_59
; %bb.58:
	v_and_b32_e32 v58, 7, v34
	v_ffbh_u32_e32 v56, v58
	v_min_u32_e32 v60, 32, v56
	v_subrev_u32_e32 v56, 28, v60
	v_lshlrev_b64 v[56:57], v56, v[34:35]
	v_lshrrev_b32_e32 v59, 3, v35
	v_sub_u32_e32 v57, 29, v60
	v_and_b32_e32 v56, 7, v56
	v_cmp_gt_u32_e32 vcc, 8, v35
	v_cndmask_b32_e32 v35, v59, v57, vcc
	v_cndmask_b32_e32 v56, v58, v56, vcc
	v_lshlrev_b32_e32 v34, 24, v34
	v_bfrev_b32_e32 v57, 60
	v_lshlrev_b32_e32 v56, 20, v56
	v_and_b32_e32 v34, 0x80000000, v34
	v_lshl_add_u32 v35, v35, 23, v57
	v_or3_b32 v56, v34, v35, v56
.LBB580_59:
	s_or_b64 exec, exec, s[10:11]
.LBB580_60:
	s_or_b64 exec, exec, s[8:9]
.LBB580_61:
	s_or_b64 exec, exec, s[2:3]
	v_cvt_pkrtz_f16_f32 v34, v43, v45
	v_cvt_pkrtz_f16_f32 v35, v44, v54
	v_cmp_ne_u16_sdwa s[8:9], v36, v52 src0_sel:BYTE_0 src1_sel:DWORD
	s_nop 0
	v_mfma_f32_16x16x16f16 v[58:61], v[34:35], v[26:27], 0
	v_cvt_pkrtz_f16_f32 v34, v53, v55
	v_cvt_pkrtz_f16_f32 v35, v42, v56
	s_nop 1
	v_mfma_f32_16x16x16f16 v[42:45], v[34:35], v[28:29], v[58:61]
	s_and_saveexec_b64 s[2:3], s[8:9]
	s_cbranch_execz .LBB580_67
; %bb.62:
	s_movk_i32 s8, 0x80
	v_cmp_ne_u16_sdwa s[10:11], v36, s8 src0_sel:BYTE_0 src1_sel:DWORD
	v_bfrev_b32_e32 v52, 1
	s_and_saveexec_b64 s[8:9], s[10:11]
	s_cbranch_execz .LBB580_66
; %bb.63:
	s_movk_i32 s10, 0x7f
	v_and_b32_e32 v34, 0x7f, v36
	v_cmp_ne_u32_e32 vcc, s10, v34
	v_mov_b32_e32 v52, 0x7f800001
	s_and_saveexec_b64 s[10:11], vcc
	s_cbranch_execz .LBB580_65
; %bb.64:
	v_and_b32_e32 v35, 7, v36
	v_ffbh_u32_e32 v52, v35
	v_min_u32_e32 v55, 32, v52
	v_subrev_u32_e32 v52, 28, v55
	v_lshlrev_b64 v[52:53], v52, v[36:37]
	v_lshrrev_b32_e32 v54, 3, v34
	v_sub_u32_e32 v53, 29, v55
	v_and_b32_e32 v52, 7, v52
	v_cmp_gt_u32_e32 vcc, 8, v34
	v_cndmask_b32_e32 v34, v54, v53, vcc
	v_cndmask_b32_e32 v35, v35, v52, vcc
	v_lshlrev_b32_e32 v52, 24, v36
	v_bfrev_b32_e32 v53, 60
	v_lshlrev_b32_e32 v35, 20, v35
	v_and_b32_e32 v52, 0x80000000, v52
	v_lshl_add_u32 v34, v34, 23, v53
	v_or3_b32 v52, v52, v34, v35
.LBB580_65:
	s_or_b64 exec, exec, s[10:11]
.LBB580_66:
	s_or_b64 exec, exec, s[8:9]
.LBB580_67:
	s_or_b64 exec, exec, s[2:3]
	v_lshrrev_b16_e32 v34, 8, v36
	v_cmp_ne_u16_e32 vcc, 0, v34
	v_mov_b32_e32 v35, 0
	v_mov_b32_e32 v54, 0
	s_and_saveexec_b64 s[2:3], vcc
	s_cbranch_execz .LBB580_73
; %bb.68:
	s_movk_i32 s8, 0x80
	v_cmp_ne_u16_e32 vcc, s8, v34
	v_bfrev_b32_e32 v54, 1
	s_and_saveexec_b64 s[8:9], vcc
	s_cbranch_execz .LBB580_72
; %bb.69:
	s_movk_i32 s10, 0x7f
	v_and_b32_e32 v53, 0x7f, v34
	v_cmp_ne_u32_e32 vcc, s10, v53
	v_mov_b32_e32 v54, 0x7f800001
	s_and_saveexec_b64 s[10:11], vcc
	s_cbranch_execz .LBB580_71
; %bb.70:
	v_and_b32_e32 v56, 7, v34
	v_ffbh_u32_e32 v54, v56
	v_min_u32_e32 v58, 32, v54
	v_subrev_u32_e32 v54, 28, v58
	v_lshlrev_b64 v[54:55], v54, v[34:35]
	v_lshrrev_b32_e32 v57, 3, v53
	v_sub_u32_e32 v34, 29, v58
	v_and_b32_e32 v54, 7, v54
	v_cmp_gt_u32_e32 vcc, 8, v53
	v_cndmask_b32_e32 v34, v57, v34, vcc
	v_cndmask_b32_e32 v53, v56, v54, vcc
	v_lshlrev_b32_e32 v54, 16, v36
	v_bfrev_b32_e32 v55, 60
	v_lshlrev_b32_e32 v53, 20, v53
	v_and_b32_e32 v54, 0x80000000, v54
	v_lshl_add_u32 v34, v34, 23, v55
	v_or3_b32 v54, v54, v34, v53
.LBB580_71:
	s_or_b64 exec, exec, s[10:11]
.LBB580_72:
	s_or_b64 exec, exec, s[8:9]
.LBB580_73:
	s_or_b64 exec, exec, s[2:3]
	s_movk_i32 s2, 0xff
	v_and_b32_sdwa v53, v36, s2 dst_sel:DWORD dst_unused:UNUSED_PAD src0_sel:WORD_1 src1_sel:DWORD
	v_lshrrev_b32_e32 v34, 16, v36
	v_cmp_ne_u16_e32 vcc, 0, v53
	s_and_saveexec_b64 s[2:3], vcc
	s_cbranch_execz .LBB580_79
; %bb.74:
	s_movk_i32 s8, 0x80
	v_cmp_ne_u16_e32 vcc, s8, v53
	v_bfrev_b32_e32 v35, 1
	s_and_saveexec_b64 s[8:9], vcc
	s_cbranch_execz .LBB580_78
; %bb.75:
	v_bfe_u32 v53, v36, 16, 7
	s_movk_i32 s10, 0x7f
	v_cmp_ne_u32_e32 vcc, s10, v53
	v_mov_b32_e32 v35, 0x7f800001
	s_and_saveexec_b64 s[10:11], vcc
	s_cbranch_execz .LBB580_77
; %bb.76:
	v_and_b32_e32 v55, 7, v34
	v_ffbh_u32_e32 v35, v55
	v_min_u32_e32 v57, 32, v35
	v_subrev_u32_e32 v35, 28, v57
	v_lshlrev_b64 v[34:35], v35, v[34:35]
	v_lshrrev_b32_e32 v56, 3, v53
	v_sub_u32_e32 v35, 29, v57
	v_and_b32_e32 v34, 7, v34
	v_cmp_gt_u32_e32 vcc, 8, v53
	v_mov_b32_e32 v53, 24
	v_cndmask_b32_e32 v35, v56, v35, vcc
	v_cndmask_b32_e32 v34, v55, v34, vcc
	v_lshlrev_b32_sdwa v53, v53, v36 dst_sel:DWORD dst_unused:UNUSED_PAD src0_sel:DWORD src1_sel:WORD_1
	v_bfrev_b32_e32 v55, 60
	v_lshlrev_b32_e32 v34, 20, v34
	v_and_b32_e32 v53, 0x80000000, v53
	v_lshl_add_u32 v35, v35, 23, v55
	v_or3_b32 v35, v53, v35, v34
.LBB580_77:
	s_or_b64 exec, exec, s[10:11]
.LBB580_78:
	s_or_b64 exec, exec, s[8:9]
.LBB580_79:
	s_or_b64 exec, exec, s[2:3]
	s_mov_b32 s2, 0xffffff
	v_cmp_lt_u32_e32 vcc, s2, v36
	v_mov_b32_e32 v55, 0
	v_mov_b32_e32 v56, 0
	s_and_saveexec_b64 s[2:3], vcc
	s_cbranch_execz .LBB580_85
; %bb.80:
	v_lshrrev_b32_e32 v34, 24, v36
	s_movk_i32 s8, 0x80
	v_cmp_ne_u32_e32 vcc, s8, v34
	v_bfrev_b32_e32 v56, 1
	s_and_saveexec_b64 s[8:9], vcc
	s_cbranch_execz .LBB580_84
; %bb.81:
	v_bfe_u32 v36, v36, 24, 7
	s_movk_i32 s10, 0x7f
	v_cmp_ne_u32_e32 vcc, s10, v36
	v_mov_b32_e32 v56, 0x7f800001
	s_and_saveexec_b64 s[10:11], vcc
	s_cbranch_execz .LBB580_83
; %bb.82:
	v_and_b32_e32 v53, 7, v34
	v_ffbh_u32_e32 v56, v53
	v_min_u32_e32 v59, 32, v56
	v_subrev_u32_e32 v56, 28, v59
	v_lshlrev_b64 v[56:57], v56, v[34:35]
	v_lshrrev_b32_e32 v58, 3, v36
	v_sub_u32_e32 v57, 29, v59
	v_and_b32_e32 v56, 7, v56
	v_cmp_gt_u32_e32 vcc, 8, v36
	v_cndmask_b32_e32 v36, v58, v57, vcc
	v_cndmask_b32_e32 v53, v53, v56, vcc
	v_lshlrev_b32_e32 v34, 24, v34
	v_bfrev_b32_e32 v56, 60
	v_lshlrev_b32_e32 v53, 20, v53
	v_and_b32_e32 v34, 0x80000000, v34
	v_lshl_add_u32 v36, v36, 23, v56
	v_or3_b32 v56, v34, v36, v53
.LBB580_83:
	s_or_b64 exec, exec, s[10:11]
.LBB580_84:
	s_or_b64 exec, exec, s[8:9]
.LBB580_85:
	s_or_b64 exec, exec, s[2:3]
	v_cmp_ne_u16_sdwa s[8:9], v37, v55 src0_sel:BYTE_0 src1_sel:DWORD
	s_and_saveexec_b64 s[2:3], s[8:9]
	s_cbranch_execz .LBB580_91
; %bb.86:
	s_movk_i32 s8, 0x80
	v_cmp_ne_u16_sdwa s[10:11], v37, s8 src0_sel:BYTE_0 src1_sel:DWORD
	v_bfrev_b32_e32 v55, 1
	s_and_saveexec_b64 s[8:9], s[10:11]
	s_cbranch_execz .LBB580_90
; %bb.87:
	s_movk_i32 s10, 0x7f
	v_and_b32_e32 v34, 0x7f, v37
	v_cmp_ne_u32_e32 vcc, s10, v34
	v_mov_b32_e32 v55, 0x7f800001
	s_and_saveexec_b64 s[10:11], vcc
	s_cbranch_execz .LBB580_89
; %bb.88:
	v_and_b32_e32 v53, 7, v37
	v_ffbh_u32_e32 v57, v53
	v_min_u32_e32 v57, 32, v57
	v_mov_b32_e32 v36, v37
	v_subrev_u32_e32 v58, 28, v57
	v_lshlrev_b64 v[58:59], v58, v[36:37]
	v_lshrrev_b32_e32 v55, 3, v34
	v_sub_u32_e32 v36, 29, v57
	v_and_b32_e32 v57, 7, v58
	v_cmp_gt_u32_e32 vcc, 8, v34
	v_cndmask_b32_e32 v34, v55, v36, vcc
	v_cndmask_b32_e32 v36, v53, v57, vcc
	v_lshlrev_b32_e32 v53, 24, v37
	v_bfrev_b32_e32 v55, 60
	v_lshlrev_b32_e32 v36, 20, v36
	v_and_b32_e32 v53, 0x80000000, v53
	v_lshl_add_u32 v34, v34, 23, v55
	v_or3_b32 v55, v53, v34, v36
.LBB580_89:
	s_or_b64 exec, exec, s[10:11]
.LBB580_90:
	s_or_b64 exec, exec, s[8:9]
.LBB580_91:
	s_or_b64 exec, exec, s[2:3]
	v_lshrrev_b16_e32 v34, 8, v37
	v_cmp_ne_u16_e32 vcc, 0, v34
	v_mov_b32_e32 v36, 0
	v_mov_b32_e32 v57, 0
	s_and_saveexec_b64 s[2:3], vcc
	s_cbranch_execz .LBB580_97
; %bb.92:
	s_movk_i32 s8, 0x80
	v_cmp_ne_u16_e32 vcc, s8, v34
	v_bfrev_b32_e32 v57, 1
	s_and_saveexec_b64 s[8:9], vcc
	s_cbranch_execz .LBB580_96
; %bb.93:
	s_movk_i32 s10, 0x7f
	v_and_b32_e32 v53, 0x7f, v34
	v_cmp_ne_u32_e32 vcc, s10, v53
	v_mov_b32_e32 v57, 0x7f800001
	s_and_saveexec_b64 s[10:11], vcc
	s_cbranch_execz .LBB580_95
; %bb.94:
	v_and_b32_e32 v57, 7, v34
	v_ffbh_u32_e32 v58, v57
	v_min_u32_e32 v61, 32, v58
	v_subrev_u32_e32 v58, 28, v61
	v_lshlrev_b64 v[58:59], v58, v[34:35]
	v_lshrrev_b32_e32 v60, 3, v53
	v_sub_u32_e32 v34, 29, v61
	v_and_b32_e32 v58, 7, v58
	v_cmp_gt_u32_e32 vcc, 8, v53
	v_cndmask_b32_e32 v34, v60, v34, vcc
	v_cndmask_b32_e32 v53, v57, v58, vcc
	v_lshlrev_b32_e32 v57, 16, v37
	v_bfrev_b32_e32 v58, 60
	v_lshlrev_b32_e32 v53, 20, v53
	v_and_b32_e32 v57, 0x80000000, v57
	v_lshl_add_u32 v34, v34, 23, v58
	v_or3_b32 v57, v57, v34, v53
.LBB580_95:
	s_or_b64 exec, exec, s[10:11]
.LBB580_96:
	s_or_b64 exec, exec, s[8:9]
.LBB580_97:
	s_or_b64 exec, exec, s[2:3]
	s_movk_i32 s2, 0xff
	v_and_b32_sdwa v53, v37, s2 dst_sel:DWORD dst_unused:UNUSED_PAD src0_sel:WORD_1 src1_sel:DWORD
	v_lshrrev_b32_e32 v34, 16, v37
	v_cmp_ne_u16_e32 vcc, 0, v53
	s_and_saveexec_b64 s[2:3], vcc
	s_cbranch_execz .LBB580_103
; %bb.98:
	s_movk_i32 s8, 0x80
	v_cmp_ne_u16_e32 vcc, s8, v53
	v_bfrev_b32_e32 v36, 1
	s_and_saveexec_b64 s[8:9], vcc
	s_cbranch_execz .LBB580_102
; %bb.99:
	v_bfe_u32 v53, v37, 16, 7
	s_movk_i32 s10, 0x7f
	v_cmp_ne_u32_e32 vcc, s10, v53
	v_mov_b32_e32 v36, 0x7f800001
	s_and_saveexec_b64 s[10:11], vcc
	s_cbranch_execz .LBB580_101
; %bb.100:
	v_and_b32_e32 v36, 7, v34
	v_ffbh_u32_e32 v58, v36
	v_min_u32_e32 v61, 32, v58
	v_subrev_u32_e32 v58, 28, v61
	v_lshlrev_b64 v[58:59], v58, v[34:35]
	v_lshrrev_b32_e32 v60, 3, v53
	v_sub_u32_e32 v34, 29, v61
	v_and_b32_e32 v58, 7, v58
	v_cmp_gt_u32_e32 vcc, 8, v53
	v_mov_b32_e32 v53, 24
	v_cndmask_b32_e32 v34, v60, v34, vcc
	v_cndmask_b32_e32 v36, v36, v58, vcc
	v_lshlrev_b32_sdwa v53, v53, v37 dst_sel:DWORD dst_unused:UNUSED_PAD src0_sel:DWORD src1_sel:WORD_1
	v_bfrev_b32_e32 v58, 60
	v_lshlrev_b32_e32 v36, 20, v36
	v_and_b32_e32 v53, 0x80000000, v53
	v_lshl_add_u32 v34, v34, 23, v58
	v_or3_b32 v36, v53, v34, v36
.LBB580_101:
	s_or_b64 exec, exec, s[10:11]
.LBB580_102:
	s_or_b64 exec, exec, s[8:9]
.LBB580_103:
	s_or_b64 exec, exec, s[2:3]
	s_mov_b32 s2, 0xffffff
	v_cmp_lt_u32_e32 vcc, s2, v37
	v_mov_b32_e32 v53, 0
	v_mov_b32_e32 v58, 0
	s_and_saveexec_b64 s[2:3], vcc
	s_cbranch_execz .LBB580_109
; %bb.104:
	v_lshrrev_b32_e32 v34, 24, v37
	s_movk_i32 s8, 0x80
	v_cmp_ne_u32_e32 vcc, s8, v34
	v_bfrev_b32_e32 v58, 1
	s_and_saveexec_b64 s[8:9], vcc
	s_cbranch_execz .LBB580_108
; %bb.105:
	v_bfe_u32 v37, v37, 24, 7
	s_movk_i32 s10, 0x7f
	v_cmp_ne_u32_e32 vcc, s10, v37
	v_mov_b32_e32 v58, 0x7f800001
	s_and_saveexec_b64 s[10:11], vcc
	s_cbranch_execz .LBB580_107
; %bb.106:
	v_and_b32_e32 v60, 7, v34
	v_ffbh_u32_e32 v58, v60
	v_min_u32_e32 v62, 32, v58
	v_subrev_u32_e32 v58, 28, v62
	v_lshlrev_b64 v[58:59], v58, v[34:35]
	v_lshrrev_b32_e32 v61, 3, v37
	v_sub_u32_e32 v59, 29, v62
	v_and_b32_e32 v58, 7, v58
	v_cmp_gt_u32_e32 vcc, 8, v37
	v_cndmask_b32_e32 v37, v61, v59, vcc
	v_cndmask_b32_e32 v58, v60, v58, vcc
	v_lshlrev_b32_e32 v34, 24, v34
	v_bfrev_b32_e32 v59, 60
	v_lshlrev_b32_e32 v58, 20, v58
	v_and_b32_e32 v34, 0x80000000, v34
	v_lshl_add_u32 v37, v37, 23, v59
	v_or3_b32 v58, v34, v37, v58
.LBB580_107:
	s_or_b64 exec, exec, s[10:11]
.LBB580_108:
	s_or_b64 exec, exec, s[8:9]
.LBB580_109:
	s_or_b64 exec, exec, s[2:3]
	v_cvt_pkrtz_f16_f32 v34, v52, v54
	v_cvt_pkrtz_f16_f32 v35, v35, v56
	v_cmp_ne_u16_sdwa s[8:9], v38, v53 src0_sel:BYTE_0 src1_sel:DWORD
	s_nop 0
	v_mfma_f32_16x16x16f16 v[42:45], v[34:35], v[18:19], v[42:45]
	v_cvt_pkrtz_f16_f32 v34, v55, v57
	v_cvt_pkrtz_f16_f32 v35, v36, v58
	s_nop 1
	v_mfma_f32_16x16x16f16 v[34:37], v[34:35], v[20:21], v[42:45]
	s_and_saveexec_b64 s[2:3], s[8:9]
	s_cbranch_execz .LBB580_115
; %bb.110:
	s_movk_i32 s8, 0x80
	v_cmp_ne_u16_sdwa s[10:11], v38, s8 src0_sel:BYTE_0 src1_sel:DWORD
	v_bfrev_b32_e32 v53, 1
	s_and_saveexec_b64 s[8:9], s[10:11]
	s_cbranch_execz .LBB580_114
; %bb.111:
	s_movk_i32 s10, 0x7f
	v_and_b32_e32 v42, 0x7f, v38
	v_cmp_ne_u32_e32 vcc, s10, v42
	v_mov_b32_e32 v53, 0x7f800001
	s_and_saveexec_b64 s[10:11], vcc
	s_cbranch_execz .LBB580_113
; %bb.112:
	v_and_b32_e32 v43, 7, v38
	v_ffbh_u32_e32 v44, v43
	v_min_u32_e32 v53, 32, v44
	v_subrev_u32_e32 v44, 28, v53
	v_lshlrev_b64 v[44:45], v44, v[38:39]
	v_lshrrev_b32_e32 v52, 3, v42
	v_sub_u32_e32 v45, 29, v53
	v_and_b32_e32 v44, 7, v44
	v_cmp_gt_u32_e32 vcc, 8, v42
	v_cndmask_b32_e32 v42, v52, v45, vcc
	v_cndmask_b32_e32 v43, v43, v44, vcc
	v_lshlrev_b32_e32 v44, 24, v38
	v_bfrev_b32_e32 v45, 60
	v_lshlrev_b32_e32 v43, 20, v43
	v_and_b32_e32 v44, 0x80000000, v44
	v_lshl_add_u32 v42, v42, 23, v45
	v_or3_b32 v53, v44, v42, v43
.LBB580_113:
	s_or_b64 exec, exec, s[10:11]
.LBB580_114:
	s_or_b64 exec, exec, s[8:9]
.LBB580_115:
	s_or_b64 exec, exec, s[2:3]
	s_nop 3
	v_lshrrev_b16_e32 v42, 8, v38
	v_cmp_ne_u16_e32 vcc, 0, v42
	v_mov_b32_e32 v43, 0
	v_mov_b32_e32 v44, 0
	s_and_saveexec_b64 s[2:3], vcc
	s_cbranch_execz .LBB580_121
; %bb.116:
	s_movk_i32 s8, 0x80
	v_cmp_ne_u16_e32 vcc, s8, v42
	v_bfrev_b32_e32 v44, 1
	s_and_saveexec_b64 s[8:9], vcc
	s_cbranch_execz .LBB580_120
; %bb.117:
	s_movk_i32 s10, 0x7f
	v_and_b32_e32 v45, 0x7f, v42
	v_cmp_ne_u32_e32 vcc, s10, v45
	v_mov_b32_e32 v44, 0x7f800001
	s_and_saveexec_b64 s[10:11], vcc
	s_cbranch_execz .LBB580_119
; %bb.118:
	v_and_b32_e32 v44, 7, v42
	v_ffbh_u32_e32 v54, v44
	v_min_u32_e32 v56, 32, v54
	v_subrev_u32_e32 v54, 28, v56
	v_lshlrev_b64 v[54:55], v54, v[42:43]
	v_lshrrev_b32_e32 v52, 3, v45
	v_sub_u32_e32 v42, 29, v56
	v_and_b32_e32 v54, 7, v54
	v_cmp_gt_u32_e32 vcc, 8, v45
	v_cndmask_b32_e32 v42, v52, v42, vcc
	v_cndmask_b32_e32 v44, v44, v54, vcc
	v_lshlrev_b32_e32 v45, 16, v38
	v_bfrev_b32_e32 v52, 60
	v_lshlrev_b32_e32 v44, 20, v44
	v_and_b32_e32 v45, 0x80000000, v45
	v_lshl_add_u32 v42, v42, 23, v52
	v_or3_b32 v44, v45, v42, v44
.LBB580_119:
	s_or_b64 exec, exec, s[10:11]
.LBB580_120:
	s_or_b64 exec, exec, s[8:9]
.LBB580_121:
	s_or_b64 exec, exec, s[2:3]
	s_movk_i32 s2, 0xff
	v_and_b32_sdwa v45, v38, s2 dst_sel:DWORD dst_unused:UNUSED_PAD src0_sel:WORD_1 src1_sel:DWORD
	v_lshrrev_b32_e32 v42, 16, v38
	v_cmp_ne_u16_e32 vcc, 0, v45
	s_and_saveexec_b64 s[2:3], vcc
	s_cbranch_execz .LBB580_127
; %bb.122:
	s_movk_i32 s8, 0x80
	v_cmp_ne_u16_e32 vcc, s8, v45
	v_bfrev_b32_e32 v43, 1
	s_and_saveexec_b64 s[8:9], vcc
	s_cbranch_execz .LBB580_126
; %bb.123:
	v_bfe_u32 v45, v38, 16, 7
	s_movk_i32 s10, 0x7f
	v_cmp_ne_u32_e32 vcc, s10, v45
	v_mov_b32_e32 v43, 0x7f800001
	s_and_saveexec_b64 s[10:11], vcc
	s_cbranch_execz .LBB580_125
; %bb.124:
	v_and_b32_e32 v52, 7, v42
	v_ffbh_u32_e32 v43, v52
	v_min_u32_e32 v55, 32, v43
	v_subrev_u32_e32 v43, 28, v55
	v_lshlrev_b64 v[42:43], v43, v[42:43]
	v_lshrrev_b32_e32 v54, 3, v45
	v_sub_u32_e32 v43, 29, v55
	v_and_b32_e32 v42, 7, v42
	v_cmp_gt_u32_e32 vcc, 8, v45
	v_mov_b32_e32 v45, 24
	v_cndmask_b32_e32 v43, v54, v43, vcc
	v_cndmask_b32_e32 v42, v52, v42, vcc
	v_lshlrev_b32_sdwa v45, v45, v38 dst_sel:DWORD dst_unused:UNUSED_PAD src0_sel:DWORD src1_sel:WORD_1
	v_bfrev_b32_e32 v52, 60
	v_lshlrev_b32_e32 v42, 20, v42
	v_and_b32_e32 v45, 0x80000000, v45
	v_lshl_add_u32 v43, v43, 23, v52
	v_or3_b32 v43, v45, v43, v42
.LBB580_125:
	s_or_b64 exec, exec, s[10:11]
.LBB580_126:
	s_or_b64 exec, exec, s[8:9]
.LBB580_127:
	s_or_b64 exec, exec, s[2:3]
	s_mov_b32 s2, 0xffffff
	v_cmp_lt_u32_e32 vcc, s2, v38
	v_mov_b32_e32 v45, 0
	v_mov_b32_e32 v54, 0
	s_and_saveexec_b64 s[2:3], vcc
	s_cbranch_execz .LBB580_133
; %bb.128:
	v_lshrrev_b32_e32 v42, 24, v38
	s_movk_i32 s8, 0x80
	v_cmp_ne_u32_e32 vcc, s8, v42
	v_bfrev_b32_e32 v54, 1
	s_and_saveexec_b64 s[8:9], vcc
	s_cbranch_execz .LBB580_132
; %bb.129:
	v_bfe_u32 v38, v38, 24, 7
	s_movk_i32 s10, 0x7f
	v_cmp_ne_u32_e32 vcc, s10, v38
	v_mov_b32_e32 v54, 0x7f800001
	s_and_saveexec_b64 s[10:11], vcc
	s_cbranch_execz .LBB580_131
; %bb.130:
	v_and_b32_e32 v52, 7, v42
	v_ffbh_u32_e32 v54, v52
	v_min_u32_e32 v57, 32, v54
	v_subrev_u32_e32 v54, 28, v57
	v_lshlrev_b64 v[54:55], v54, v[42:43]
	v_lshrrev_b32_e32 v56, 3, v38
	v_sub_u32_e32 v55, 29, v57
	v_and_b32_e32 v54, 7, v54
	v_cmp_gt_u32_e32 vcc, 8, v38
	v_cndmask_b32_e32 v38, v56, v55, vcc
	v_cndmask_b32_e32 v52, v52, v54, vcc
	v_lshlrev_b32_e32 v42, 24, v42
	v_bfrev_b32_e32 v54, 60
	v_lshlrev_b32_e32 v52, 20, v52
	v_and_b32_e32 v42, 0x80000000, v42
	v_lshl_add_u32 v38, v38, 23, v54
	v_or3_b32 v54, v42, v38, v52
.LBB580_131:
	s_or_b64 exec, exec, s[10:11]
.LBB580_132:
	s_or_b64 exec, exec, s[8:9]
.LBB580_133:
	s_or_b64 exec, exec, s[2:3]
	v_cmp_ne_u16_sdwa s[8:9], v39, v45 src0_sel:BYTE_0 src1_sel:DWORD
	s_and_saveexec_b64 s[2:3], s[8:9]
	s_cbranch_execz .LBB580_139
; %bb.134:
	s_movk_i32 s8, 0x80
	v_cmp_ne_u16_sdwa s[10:11], v39, s8 src0_sel:BYTE_0 src1_sel:DWORD
	v_bfrev_b32_e32 v45, 1
	s_and_saveexec_b64 s[8:9], s[10:11]
	s_cbranch_execz .LBB580_138
; %bb.135:
	s_movk_i32 s10, 0x7f
	v_and_b32_e32 v38, 0x7f, v39
	v_cmp_ne_u32_e32 vcc, s10, v38
	v_mov_b32_e32 v45, 0x7f800001
	s_and_saveexec_b64 s[10:11], vcc
	s_cbranch_execz .LBB580_137
; %bb.136:
	v_and_b32_e32 v45, 7, v39
	v_ffbh_u32_e32 v55, v45
	v_min_u32_e32 v55, 32, v55
	v_mov_b32_e32 v42, v39
	v_subrev_u32_e32 v56, 28, v55
	v_lshlrev_b64 v[56:57], v56, v[42:43]
	v_lshrrev_b32_e32 v52, 3, v38
	v_sub_u32_e32 v42, 29, v55
	v_and_b32_e32 v55, 7, v56
	v_cmp_gt_u32_e32 vcc, 8, v38
	v_cndmask_b32_e32 v38, v52, v42, vcc
	v_cndmask_b32_e32 v42, v45, v55, vcc
	v_lshlrev_b32_e32 v45, 24, v39
	v_bfrev_b32_e32 v52, 60
	v_lshlrev_b32_e32 v42, 20, v42
	v_and_b32_e32 v45, 0x80000000, v45
	v_lshl_add_u32 v38, v38, 23, v52
	v_or3_b32 v45, v45, v38, v42
.LBB580_137:
	s_or_b64 exec, exec, s[10:11]
.LBB580_138:
	s_or_b64 exec, exec, s[8:9]
.LBB580_139:
	s_or_b64 exec, exec, s[2:3]
	v_lshrrev_b16_e32 v38, 8, v39
	v_cmp_ne_u16_e32 vcc, 0, v38
	v_mov_b32_e32 v42, 0
	v_mov_b32_e32 v55, 0
	s_and_saveexec_b64 s[2:3], vcc
	s_cbranch_execz .LBB580_145
; %bb.140:
	s_movk_i32 s8, 0x80
	v_cmp_ne_u16_e32 vcc, s8, v38
	v_bfrev_b32_e32 v55, 1
	s_and_saveexec_b64 s[8:9], vcc
	s_cbranch_execz .LBB580_144
; %bb.141:
	s_movk_i32 s10, 0x7f
	v_and_b32_e32 v52, 0x7f, v38
	v_cmp_ne_u32_e32 vcc, s10, v52
	v_mov_b32_e32 v55, 0x7f800001
	s_and_saveexec_b64 s[10:11], vcc
	s_cbranch_execz .LBB580_143
; %bb.142:
	v_and_b32_e32 v55, 7, v38
	v_ffbh_u32_e32 v56, v55
	v_min_u32_e32 v59, 32, v56
	v_subrev_u32_e32 v56, 28, v59
	v_lshlrev_b64 v[56:57], v56, v[38:39]
	v_lshrrev_b32_e32 v58, 3, v52
	v_sub_u32_e32 v38, 29, v59
	v_and_b32_e32 v56, 7, v56
	v_cmp_gt_u32_e32 vcc, 8, v52
	v_cndmask_b32_e32 v38, v58, v38, vcc
	v_cndmask_b32_e32 v52, v55, v56, vcc
	v_lshlrev_b32_e32 v55, 16, v39
	v_bfrev_b32_e32 v56, 60
	v_lshlrev_b32_e32 v52, 20, v52
	v_and_b32_e32 v55, 0x80000000, v55
	v_lshl_add_u32 v38, v38, 23, v56
	v_or3_b32 v55, v55, v38, v52
.LBB580_143:
	s_or_b64 exec, exec, s[10:11]
.LBB580_144:
	s_or_b64 exec, exec, s[8:9]
.LBB580_145:
	s_or_b64 exec, exec, s[2:3]
	s_movk_i32 s2, 0xff
	v_and_b32_sdwa v52, v39, s2 dst_sel:DWORD dst_unused:UNUSED_PAD src0_sel:WORD_1 src1_sel:DWORD
	v_lshrrev_b32_e32 v38, 16, v39
	v_cmp_ne_u16_e32 vcc, 0, v52
	s_and_saveexec_b64 s[2:3], vcc
	s_cbranch_execz .LBB580_151
; %bb.146:
	s_movk_i32 s8, 0x80
	v_cmp_ne_u16_e32 vcc, s8, v52
	v_bfrev_b32_e32 v42, 1
	s_and_saveexec_b64 s[8:9], vcc
	s_cbranch_execz .LBB580_150
; %bb.147:
	v_bfe_u32 v52, v39, 16, 7
	s_movk_i32 s10, 0x7f
	v_cmp_ne_u32_e32 vcc, s10, v52
	v_mov_b32_e32 v42, 0x7f800001
	s_and_saveexec_b64 s[10:11], vcc
	s_cbranch_execz .LBB580_149
; %bb.148:
	v_and_b32_e32 v42, 7, v38
	v_ffbh_u32_e32 v56, v42
	v_min_u32_e32 v59, 32, v56
	v_subrev_u32_e32 v56, 28, v59
	v_lshlrev_b64 v[56:57], v56, v[38:39]
	v_lshrrev_b32_e32 v58, 3, v52
	v_sub_u32_e32 v38, 29, v59
	v_and_b32_e32 v56, 7, v56
	v_cmp_gt_u32_e32 vcc, 8, v52
	v_mov_b32_e32 v52, 24
	v_cndmask_b32_e32 v38, v58, v38, vcc
	v_cndmask_b32_e32 v42, v42, v56, vcc
	v_lshlrev_b32_sdwa v52, v52, v39 dst_sel:DWORD dst_unused:UNUSED_PAD src0_sel:DWORD src1_sel:WORD_1
	v_bfrev_b32_e32 v56, 60
	v_lshlrev_b32_e32 v42, 20, v42
	v_and_b32_e32 v52, 0x80000000, v52
	v_lshl_add_u32 v38, v38, 23, v56
	v_or3_b32 v42, v52, v38, v42
.LBB580_149:
	s_or_b64 exec, exec, s[10:11]
.LBB580_150:
	s_or_b64 exec, exec, s[8:9]
.LBB580_151:
	s_or_b64 exec, exec, s[2:3]
	s_mov_b32 s2, 0xffffff
	v_cmp_lt_u32_e32 vcc, s2, v39
	v_mov_b32_e32 v52, 0
	v_mov_b32_e32 v56, 0
	s_and_saveexec_b64 s[2:3], vcc
	s_cbranch_execz .LBB580_157
; %bb.152:
	v_lshrrev_b32_e32 v38, 24, v39
	s_movk_i32 s8, 0x80
	v_cmp_ne_u32_e32 vcc, s8, v38
	v_bfrev_b32_e32 v56, 1
	s_and_saveexec_b64 s[8:9], vcc
	s_cbranch_execz .LBB580_156
; %bb.153:
	v_bfe_u32 v39, v39, 24, 7
	s_movk_i32 s10, 0x7f
	v_cmp_ne_u32_e32 vcc, s10, v39
	v_mov_b32_e32 v56, 0x7f800001
	s_and_saveexec_b64 s[10:11], vcc
	s_cbranch_execz .LBB580_155
; %bb.154:
	v_and_b32_e32 v58, 7, v38
	v_ffbh_u32_e32 v56, v58
	v_min_u32_e32 v60, 32, v56
	v_subrev_u32_e32 v56, 28, v60
	v_lshlrev_b64 v[56:57], v56, v[38:39]
	v_lshrrev_b32_e32 v59, 3, v39
	v_sub_u32_e32 v57, 29, v60
	v_and_b32_e32 v56, 7, v56
	v_cmp_gt_u32_e32 vcc, 8, v39
	v_cndmask_b32_e32 v39, v59, v57, vcc
	v_cndmask_b32_e32 v56, v58, v56, vcc
	v_lshlrev_b32_e32 v38, 24, v38
	v_bfrev_b32_e32 v57, 60
	v_lshlrev_b32_e32 v56, 20, v56
	v_and_b32_e32 v38, 0x80000000, v38
	v_lshl_add_u32 v39, v39, 23, v57
	v_or3_b32 v56, v38, v39, v56
.LBB580_155:
	s_or_b64 exec, exec, s[10:11]
.LBB580_156:
	s_or_b64 exec, exec, s[8:9]
.LBB580_157:
	s_or_b64 exec, exec, s[2:3]
	v_cvt_pkrtz_f16_f32 v38, v53, v44
	v_cvt_pkrtz_f16_f32 v39, v43, v54
	v_cmp_ne_u16_sdwa s[8:9], v40, v52 src0_sel:BYTE_0 src1_sel:DWORD
	s_nop 0
	v_mfma_f32_16x16x16f16 v[58:61], v[38:39], v[26:27], 0
	v_cvt_pkrtz_f16_f32 v38, v45, v55
	v_cvt_pkrtz_f16_f32 v39, v42, v56
	s_nop 1
	v_mfma_f32_16x16x16f16 v[42:45], v[38:39], v[28:29], v[58:61]
	s_and_saveexec_b64 s[2:3], s[8:9]
	s_cbranch_execz .LBB580_163
; %bb.158:
	s_movk_i32 s8, 0x80
	v_cmp_ne_u16_sdwa s[10:11], v40, s8 src0_sel:BYTE_0 src1_sel:DWORD
	v_bfrev_b32_e32 v52, 1
	s_and_saveexec_b64 s[8:9], s[10:11]
	s_cbranch_execz .LBB580_162
; %bb.159:
	s_movk_i32 s10, 0x7f
	v_and_b32_e32 v38, 0x7f, v40
	v_cmp_ne_u32_e32 vcc, s10, v38
	v_mov_b32_e32 v52, 0x7f800001
	s_and_saveexec_b64 s[10:11], vcc
	s_cbranch_execz .LBB580_161
; %bb.160:
	v_and_b32_e32 v39, 7, v40
	v_ffbh_u32_e32 v52, v39
	v_min_u32_e32 v55, 32, v52
	v_subrev_u32_e32 v52, 28, v55
	v_lshlrev_b64 v[52:53], v52, v[40:41]
	v_lshrrev_b32_e32 v54, 3, v38
	v_sub_u32_e32 v53, 29, v55
	v_and_b32_e32 v52, 7, v52
	v_cmp_gt_u32_e32 vcc, 8, v38
	v_cndmask_b32_e32 v38, v54, v53, vcc
	v_cndmask_b32_e32 v39, v39, v52, vcc
	v_lshlrev_b32_e32 v52, 24, v40
	v_bfrev_b32_e32 v53, 60
	v_lshlrev_b32_e32 v39, 20, v39
	v_and_b32_e32 v52, 0x80000000, v52
	v_lshl_add_u32 v38, v38, 23, v53
	v_or3_b32 v52, v52, v38, v39
.LBB580_161:
	s_or_b64 exec, exec, s[10:11]
.LBB580_162:
	s_or_b64 exec, exec, s[8:9]
.LBB580_163:
	s_or_b64 exec, exec, s[2:3]
	v_lshrrev_b16_e32 v38, 8, v40
	v_cmp_ne_u16_e32 vcc, 0, v38
	v_mov_b32_e32 v39, 0
	v_mov_b32_e32 v54, 0
	s_and_saveexec_b64 s[2:3], vcc
	s_cbranch_execz .LBB580_169
; %bb.164:
	s_movk_i32 s8, 0x80
	v_cmp_ne_u16_e32 vcc, s8, v38
	v_bfrev_b32_e32 v54, 1
	s_and_saveexec_b64 s[8:9], vcc
	s_cbranch_execz .LBB580_168
; %bb.165:
	s_movk_i32 s10, 0x7f
	v_and_b32_e32 v53, 0x7f, v38
	v_cmp_ne_u32_e32 vcc, s10, v53
	v_mov_b32_e32 v54, 0x7f800001
	s_and_saveexec_b64 s[10:11], vcc
	s_cbranch_execz .LBB580_167
; %bb.166:
	v_and_b32_e32 v56, 7, v38
	v_ffbh_u32_e32 v54, v56
	v_min_u32_e32 v58, 32, v54
	v_subrev_u32_e32 v54, 28, v58
	v_lshlrev_b64 v[54:55], v54, v[38:39]
	v_lshrrev_b32_e32 v57, 3, v53
	v_sub_u32_e32 v38, 29, v58
	v_and_b32_e32 v54, 7, v54
	v_cmp_gt_u32_e32 vcc, 8, v53
	v_cndmask_b32_e32 v38, v57, v38, vcc
	v_cndmask_b32_e32 v53, v56, v54, vcc
	v_lshlrev_b32_e32 v54, 16, v40
	v_bfrev_b32_e32 v55, 60
	v_lshlrev_b32_e32 v53, 20, v53
	v_and_b32_e32 v54, 0x80000000, v54
	v_lshl_add_u32 v38, v38, 23, v55
	v_or3_b32 v54, v54, v38, v53
.LBB580_167:
	s_or_b64 exec, exec, s[10:11]
.LBB580_168:
	s_or_b64 exec, exec, s[8:9]
.LBB580_169:
	s_or_b64 exec, exec, s[2:3]
	s_movk_i32 s2, 0xff
	v_and_b32_sdwa v53, v40, s2 dst_sel:DWORD dst_unused:UNUSED_PAD src0_sel:WORD_1 src1_sel:DWORD
	v_lshrrev_b32_e32 v38, 16, v40
	v_cmp_ne_u16_e32 vcc, 0, v53
	s_and_saveexec_b64 s[2:3], vcc
	s_cbranch_execz .LBB580_175
; %bb.170:
	s_movk_i32 s8, 0x80
	v_cmp_ne_u16_e32 vcc, s8, v53
	v_bfrev_b32_e32 v39, 1
	s_and_saveexec_b64 s[8:9], vcc
	s_cbranch_execz .LBB580_174
; %bb.171:
	v_bfe_u32 v53, v40, 16, 7
	s_movk_i32 s10, 0x7f
	v_cmp_ne_u32_e32 vcc, s10, v53
	v_mov_b32_e32 v39, 0x7f800001
	s_and_saveexec_b64 s[10:11], vcc
	s_cbranch_execz .LBB580_173
; %bb.172:
	v_and_b32_e32 v55, 7, v38
	v_ffbh_u32_e32 v39, v55
	v_min_u32_e32 v57, 32, v39
	v_subrev_u32_e32 v39, 28, v57
	v_lshlrev_b64 v[38:39], v39, v[38:39]
	v_lshrrev_b32_e32 v56, 3, v53
	v_sub_u32_e32 v39, 29, v57
	v_and_b32_e32 v38, 7, v38
	v_cmp_gt_u32_e32 vcc, 8, v53
	v_mov_b32_e32 v53, 24
	v_cndmask_b32_e32 v39, v56, v39, vcc
	v_cndmask_b32_e32 v38, v55, v38, vcc
	v_lshlrev_b32_sdwa v53, v53, v40 dst_sel:DWORD dst_unused:UNUSED_PAD src0_sel:DWORD src1_sel:WORD_1
	v_bfrev_b32_e32 v55, 60
	v_lshlrev_b32_e32 v38, 20, v38
	v_and_b32_e32 v53, 0x80000000, v53
	v_lshl_add_u32 v39, v39, 23, v55
	v_or3_b32 v39, v53, v39, v38
.LBB580_173:
	s_or_b64 exec, exec, s[10:11]
.LBB580_174:
	s_or_b64 exec, exec, s[8:9]
.LBB580_175:
	s_or_b64 exec, exec, s[2:3]
	s_mov_b32 s2, 0xffffff
	v_cmp_lt_u32_e32 vcc, s2, v40
	v_mov_b32_e32 v55, 0
	v_mov_b32_e32 v56, 0
	s_and_saveexec_b64 s[2:3], vcc
	s_cbranch_execz .LBB580_181
; %bb.176:
	v_lshrrev_b32_e32 v38, 24, v40
	s_movk_i32 s8, 0x80
	v_cmp_ne_u32_e32 vcc, s8, v38
	v_bfrev_b32_e32 v56, 1
	s_and_saveexec_b64 s[8:9], vcc
	s_cbranch_execz .LBB580_180
; %bb.177:
	v_bfe_u32 v40, v40, 24, 7
	s_movk_i32 s10, 0x7f
	v_cmp_ne_u32_e32 vcc, s10, v40
	v_mov_b32_e32 v56, 0x7f800001
	s_and_saveexec_b64 s[10:11], vcc
	s_cbranch_execz .LBB580_179
; %bb.178:
	v_and_b32_e32 v53, 7, v38
	v_ffbh_u32_e32 v56, v53
	v_min_u32_e32 v59, 32, v56
	v_subrev_u32_e32 v56, 28, v59
	v_lshlrev_b64 v[56:57], v56, v[38:39]
	v_lshrrev_b32_e32 v58, 3, v40
	v_sub_u32_e32 v57, 29, v59
	v_and_b32_e32 v56, 7, v56
	v_cmp_gt_u32_e32 vcc, 8, v40
	v_cndmask_b32_e32 v40, v58, v57, vcc
	v_cndmask_b32_e32 v53, v53, v56, vcc
	v_lshlrev_b32_e32 v38, 24, v38
	v_bfrev_b32_e32 v56, 60
	v_lshlrev_b32_e32 v53, 20, v53
	v_and_b32_e32 v38, 0x80000000, v38
	v_lshl_add_u32 v40, v40, 23, v56
	v_or3_b32 v56, v38, v40, v53
.LBB580_179:
	s_or_b64 exec, exec, s[10:11]
.LBB580_180:
	s_or_b64 exec, exec, s[8:9]
.LBB580_181:
	s_or_b64 exec, exec, s[2:3]
	v_cmp_ne_u16_sdwa s[8:9], v41, v55 src0_sel:BYTE_0 src1_sel:DWORD
	s_and_saveexec_b64 s[2:3], s[8:9]
	s_cbranch_execz .LBB580_187
; %bb.182:
	s_movk_i32 s8, 0x80
	v_cmp_ne_u16_sdwa s[10:11], v41, s8 src0_sel:BYTE_0 src1_sel:DWORD
	v_bfrev_b32_e32 v55, 1
	s_and_saveexec_b64 s[8:9], s[10:11]
	s_cbranch_execz .LBB580_186
; %bb.183:
	s_movk_i32 s10, 0x7f
	v_and_b32_e32 v38, 0x7f, v41
	v_cmp_ne_u32_e32 vcc, s10, v38
	v_mov_b32_e32 v55, 0x7f800001
	s_and_saveexec_b64 s[10:11], vcc
	s_cbranch_execz .LBB580_185
; %bb.184:
	v_and_b32_e32 v53, 7, v41
	v_ffbh_u32_e32 v57, v53
	v_min_u32_e32 v57, 32, v57
	v_mov_b32_e32 v40, v41
	v_subrev_u32_e32 v58, 28, v57
	v_lshlrev_b64 v[58:59], v58, v[40:41]
	v_lshrrev_b32_e32 v55, 3, v38
	v_sub_u32_e32 v40, 29, v57
	v_and_b32_e32 v57, 7, v58
	v_cmp_gt_u32_e32 vcc, 8, v38
	v_cndmask_b32_e32 v38, v55, v40, vcc
	v_cndmask_b32_e32 v40, v53, v57, vcc
	v_lshlrev_b32_e32 v53, 24, v41
	v_bfrev_b32_e32 v55, 60
	v_lshlrev_b32_e32 v40, 20, v40
	v_and_b32_e32 v53, 0x80000000, v53
	v_lshl_add_u32 v38, v38, 23, v55
	v_or3_b32 v55, v53, v38, v40
.LBB580_185:
	s_or_b64 exec, exec, s[10:11]
.LBB580_186:
	s_or_b64 exec, exec, s[8:9]
.LBB580_187:
	s_or_b64 exec, exec, s[2:3]
	v_lshrrev_b16_e32 v38, 8, v41
	v_cmp_ne_u16_e32 vcc, 0, v38
	v_mov_b32_e32 v40, 0
	v_mov_b32_e32 v57, 0
	s_and_saveexec_b64 s[2:3], vcc
	s_cbranch_execz .LBB580_193
; %bb.188:
	s_movk_i32 s8, 0x80
	v_cmp_ne_u16_e32 vcc, s8, v38
	v_bfrev_b32_e32 v57, 1
	s_and_saveexec_b64 s[8:9], vcc
	s_cbranch_execz .LBB580_192
; %bb.189:
	s_movk_i32 s10, 0x7f
	v_and_b32_e32 v53, 0x7f, v38
	v_cmp_ne_u32_e32 vcc, s10, v53
	v_mov_b32_e32 v57, 0x7f800001
	s_and_saveexec_b64 s[10:11], vcc
	s_cbranch_execz .LBB580_191
; %bb.190:
	v_and_b32_e32 v57, 7, v38
	v_ffbh_u32_e32 v58, v57
	v_min_u32_e32 v61, 32, v58
	v_subrev_u32_e32 v58, 28, v61
	v_lshlrev_b64 v[58:59], v58, v[38:39]
	v_lshrrev_b32_e32 v60, 3, v53
	v_sub_u32_e32 v38, 29, v61
	v_and_b32_e32 v58, 7, v58
	v_cmp_gt_u32_e32 vcc, 8, v53
	v_cndmask_b32_e32 v38, v60, v38, vcc
	v_cndmask_b32_e32 v53, v57, v58, vcc
	v_lshlrev_b32_e32 v57, 16, v41
	v_bfrev_b32_e32 v58, 60
	v_lshlrev_b32_e32 v53, 20, v53
	v_and_b32_e32 v57, 0x80000000, v57
	v_lshl_add_u32 v38, v38, 23, v58
	v_or3_b32 v57, v57, v38, v53
.LBB580_191:
	s_or_b64 exec, exec, s[10:11]
.LBB580_192:
	s_or_b64 exec, exec, s[8:9]
.LBB580_193:
	s_or_b64 exec, exec, s[2:3]
	s_movk_i32 s2, 0xff
	v_and_b32_sdwa v53, v41, s2 dst_sel:DWORD dst_unused:UNUSED_PAD src0_sel:WORD_1 src1_sel:DWORD
	v_lshrrev_b32_e32 v38, 16, v41
	v_cmp_ne_u16_e32 vcc, 0, v53
	s_and_saveexec_b64 s[2:3], vcc
	s_cbranch_execz .LBB580_199
; %bb.194:
	s_movk_i32 s8, 0x80
	v_cmp_ne_u16_e32 vcc, s8, v53
	v_bfrev_b32_e32 v40, 1
	s_and_saveexec_b64 s[8:9], vcc
	s_cbranch_execz .LBB580_198
; %bb.195:
	v_bfe_u32 v53, v41, 16, 7
	s_movk_i32 s10, 0x7f
	v_cmp_ne_u32_e32 vcc, s10, v53
	v_mov_b32_e32 v40, 0x7f800001
	s_and_saveexec_b64 s[10:11], vcc
	s_cbranch_execz .LBB580_197
; %bb.196:
	v_and_b32_e32 v40, 7, v38
	v_ffbh_u32_e32 v58, v40
	v_min_u32_e32 v61, 32, v58
	v_subrev_u32_e32 v58, 28, v61
	v_lshlrev_b64 v[58:59], v58, v[38:39]
	v_lshrrev_b32_e32 v60, 3, v53
	v_sub_u32_e32 v38, 29, v61
	v_and_b32_e32 v58, 7, v58
	v_cmp_gt_u32_e32 vcc, 8, v53
	v_mov_b32_e32 v53, 24
	v_cndmask_b32_e32 v38, v60, v38, vcc
	v_cndmask_b32_e32 v40, v40, v58, vcc
	v_lshlrev_b32_sdwa v53, v53, v41 dst_sel:DWORD dst_unused:UNUSED_PAD src0_sel:DWORD src1_sel:WORD_1
	v_bfrev_b32_e32 v58, 60
	v_lshlrev_b32_e32 v40, 20, v40
	v_and_b32_e32 v53, 0x80000000, v53
	v_lshl_add_u32 v38, v38, 23, v58
	v_or3_b32 v40, v53, v38, v40
.LBB580_197:
	s_or_b64 exec, exec, s[10:11]
.LBB580_198:
	s_or_b64 exec, exec, s[8:9]
.LBB580_199:
	s_or_b64 exec, exec, s[2:3]
	s_mov_b32 s2, 0xffffff
	v_cmp_lt_u32_e32 vcc, s2, v41
	v_mov_b32_e32 v53, 0
	v_mov_b32_e32 v58, 0
	s_and_saveexec_b64 s[2:3], vcc
	s_cbranch_execz .LBB580_205
; %bb.200:
	v_lshrrev_b32_e32 v38, 24, v41
	s_movk_i32 s8, 0x80
	v_cmp_ne_u32_e32 vcc, s8, v38
	v_bfrev_b32_e32 v58, 1
	s_and_saveexec_b64 s[8:9], vcc
	s_cbranch_execz .LBB580_204
; %bb.201:
	v_bfe_u32 v41, v41, 24, 7
	s_movk_i32 s10, 0x7f
	v_cmp_ne_u32_e32 vcc, s10, v41
	v_mov_b32_e32 v58, 0x7f800001
	s_and_saveexec_b64 s[10:11], vcc
	s_cbranch_execz .LBB580_203
; %bb.202:
	v_and_b32_e32 v60, 7, v38
	v_ffbh_u32_e32 v58, v60
	v_min_u32_e32 v62, 32, v58
	v_subrev_u32_e32 v58, 28, v62
	v_lshlrev_b64 v[58:59], v58, v[38:39]
	v_lshrrev_b32_e32 v61, 3, v41
	v_sub_u32_e32 v59, 29, v62
	v_and_b32_e32 v58, 7, v58
	v_cmp_gt_u32_e32 vcc, 8, v41
	v_cndmask_b32_e32 v41, v61, v59, vcc
	v_cndmask_b32_e32 v58, v60, v58, vcc
	v_lshlrev_b32_e32 v38, 24, v38
	v_bfrev_b32_e32 v59, 60
	v_lshlrev_b32_e32 v58, 20, v58
	v_and_b32_e32 v38, 0x80000000, v38
	v_lshl_add_u32 v41, v41, 23, v59
	v_or3_b32 v58, v38, v41, v58
.LBB580_203:
	s_or_b64 exec, exec, s[10:11]
.LBB580_204:
	s_or_b64 exec, exec, s[8:9]
.LBB580_205:
	s_or_b64 exec, exec, s[2:3]
	v_cvt_pkrtz_f16_f32 v38, v52, v54
	v_cvt_pkrtz_f16_f32 v39, v39, v56
	v_cmp_ne_u16_sdwa s[8:9], v30, v53 src0_sel:BYTE_0 src1_sel:DWORD
	s_nop 0
	v_mfma_f32_16x16x16f16 v[42:45], v[38:39], v[18:19], v[42:45]
	v_cvt_pkrtz_f16_f32 v38, v55, v57
	v_cvt_pkrtz_f16_f32 v39, v40, v58
	s_nop 1
	v_mfma_f32_16x16x16f16 v[38:41], v[38:39], v[20:21], v[42:45]
	s_and_saveexec_b64 s[2:3], s[8:9]
	s_cbranch_execz .LBB580_211
; %bb.206:
	s_movk_i32 s8, 0x80
	v_cmp_ne_u16_sdwa s[10:11], v30, s8 src0_sel:BYTE_0 src1_sel:DWORD
	v_bfrev_b32_e32 v53, 1
	s_and_saveexec_b64 s[8:9], s[10:11]
	s_cbranch_execz .LBB580_210
; %bb.207:
	s_movk_i32 s10, 0x7f
	v_and_b32_e32 v42, 0x7f, v30
	v_cmp_ne_u32_e32 vcc, s10, v42
	v_mov_b32_e32 v53, 0x7f800001
	s_and_saveexec_b64 s[10:11], vcc
	s_cbranch_execz .LBB580_209
; %bb.208:
	v_and_b32_e32 v43, 7, v30
	v_ffbh_u32_e32 v44, v43
	v_min_u32_e32 v53, 32, v44
	v_subrev_u32_e32 v44, 28, v53
	v_lshlrev_b64 v[44:45], v44, v[30:31]
	v_lshrrev_b32_e32 v52, 3, v42
	v_sub_u32_e32 v45, 29, v53
	v_and_b32_e32 v44, 7, v44
	v_cmp_gt_u32_e32 vcc, 8, v42
	v_cndmask_b32_e32 v42, v52, v45, vcc
	v_cndmask_b32_e32 v43, v43, v44, vcc
	v_lshlrev_b32_e32 v44, 24, v30
	v_bfrev_b32_e32 v45, 60
	v_lshlrev_b32_e32 v43, 20, v43
	v_and_b32_e32 v44, 0x80000000, v44
	v_lshl_add_u32 v42, v42, 23, v45
	v_or3_b32 v53, v44, v42, v43
.LBB580_209:
	s_or_b64 exec, exec, s[10:11]
.LBB580_210:
	s_or_b64 exec, exec, s[8:9]
.LBB580_211:
	s_or_b64 exec, exec, s[2:3]
	s_nop 3
	v_lshrrev_b16_e32 v42, 8, v30
	v_cmp_ne_u16_e32 vcc, 0, v42
	v_mov_b32_e32 v43, 0
	v_mov_b32_e32 v44, 0
	s_and_saveexec_b64 s[2:3], vcc
	s_cbranch_execz .LBB580_217
; %bb.212:
	s_movk_i32 s8, 0x80
	v_cmp_ne_u16_e32 vcc, s8, v42
	v_bfrev_b32_e32 v44, 1
	s_and_saveexec_b64 s[8:9], vcc
	s_cbranch_execz .LBB580_216
; %bb.213:
	s_movk_i32 s10, 0x7f
	v_and_b32_e32 v45, 0x7f, v42
	v_cmp_ne_u32_e32 vcc, s10, v45
	v_mov_b32_e32 v44, 0x7f800001
	s_and_saveexec_b64 s[10:11], vcc
	s_cbranch_execz .LBB580_215
; %bb.214:
	v_and_b32_e32 v44, 7, v42
	v_ffbh_u32_e32 v54, v44
	v_min_u32_e32 v56, 32, v54
	v_subrev_u32_e32 v54, 28, v56
	v_lshlrev_b64 v[54:55], v54, v[42:43]
	v_lshrrev_b32_e32 v52, 3, v45
	v_sub_u32_e32 v42, 29, v56
	v_and_b32_e32 v54, 7, v54
	v_cmp_gt_u32_e32 vcc, 8, v45
	v_cndmask_b32_e32 v42, v52, v42, vcc
	v_cndmask_b32_e32 v44, v44, v54, vcc
	v_lshlrev_b32_e32 v45, 16, v30
	v_bfrev_b32_e32 v52, 60
	v_lshlrev_b32_e32 v44, 20, v44
	v_and_b32_e32 v45, 0x80000000, v45
	v_lshl_add_u32 v42, v42, 23, v52
	v_or3_b32 v44, v45, v42, v44
.LBB580_215:
	s_or_b64 exec, exec, s[10:11]
.LBB580_216:
	s_or_b64 exec, exec, s[8:9]
.LBB580_217:
	s_or_b64 exec, exec, s[2:3]
	s_movk_i32 s2, 0xff
	v_and_b32_sdwa v45, v30, s2 dst_sel:DWORD dst_unused:UNUSED_PAD src0_sel:WORD_1 src1_sel:DWORD
	v_lshrrev_b32_e32 v42, 16, v30
	v_cmp_ne_u16_e32 vcc, 0, v45
	s_and_saveexec_b64 s[2:3], vcc
	s_cbranch_execz .LBB580_223
; %bb.218:
	s_movk_i32 s8, 0x80
	v_cmp_ne_u16_e32 vcc, s8, v45
	v_bfrev_b32_e32 v43, 1
	s_and_saveexec_b64 s[8:9], vcc
	s_cbranch_execz .LBB580_222
; %bb.219:
	v_bfe_u32 v45, v30, 16, 7
	s_movk_i32 s10, 0x7f
	v_cmp_ne_u32_e32 vcc, s10, v45
	v_mov_b32_e32 v43, 0x7f800001
	s_and_saveexec_b64 s[10:11], vcc
	s_cbranch_execz .LBB580_221
; %bb.220:
	v_and_b32_e32 v52, 7, v42
	v_ffbh_u32_e32 v43, v52
	v_min_u32_e32 v55, 32, v43
	v_subrev_u32_e32 v43, 28, v55
	v_lshlrev_b64 v[42:43], v43, v[42:43]
	v_lshrrev_b32_e32 v54, 3, v45
	v_sub_u32_e32 v43, 29, v55
	v_and_b32_e32 v42, 7, v42
	v_cmp_gt_u32_e32 vcc, 8, v45
	v_mov_b32_e32 v45, 24
	v_cndmask_b32_e32 v43, v54, v43, vcc
	v_cndmask_b32_e32 v42, v52, v42, vcc
	v_lshlrev_b32_sdwa v45, v45, v30 dst_sel:DWORD dst_unused:UNUSED_PAD src0_sel:DWORD src1_sel:WORD_1
	v_bfrev_b32_e32 v52, 60
	v_lshlrev_b32_e32 v42, 20, v42
	v_and_b32_e32 v45, 0x80000000, v45
	v_lshl_add_u32 v43, v43, 23, v52
	v_or3_b32 v43, v45, v43, v42
.LBB580_221:
	s_or_b64 exec, exec, s[10:11]
.LBB580_222:
	s_or_b64 exec, exec, s[8:9]
.LBB580_223:
	s_or_b64 exec, exec, s[2:3]
	s_mov_b32 s2, 0xffffff
	v_cmp_lt_u32_e32 vcc, s2, v30
	v_mov_b32_e32 v45, 0
	v_mov_b32_e32 v54, 0
	s_and_saveexec_b64 s[2:3], vcc
	s_cbranch_execz .LBB580_229
; %bb.224:
	v_lshrrev_b32_e32 v42, 24, v30
	s_movk_i32 s8, 0x80
	v_cmp_ne_u32_e32 vcc, s8, v42
	v_bfrev_b32_e32 v54, 1
	s_and_saveexec_b64 s[8:9], vcc
	s_cbranch_execz .LBB580_228
; %bb.225:
	v_bfe_u32 v30, v30, 24, 7
	s_movk_i32 s10, 0x7f
	v_cmp_ne_u32_e32 vcc, s10, v30
	v_mov_b32_e32 v54, 0x7f800001
	s_and_saveexec_b64 s[10:11], vcc
	s_cbranch_execz .LBB580_227
; %bb.226:
	v_and_b32_e32 v52, 7, v42
	v_ffbh_u32_e32 v54, v52
	v_min_u32_e32 v57, 32, v54
	v_subrev_u32_e32 v54, 28, v57
	v_lshlrev_b64 v[54:55], v54, v[42:43]
	v_lshrrev_b32_e32 v56, 3, v30
	v_sub_u32_e32 v55, 29, v57
	v_and_b32_e32 v54, 7, v54
	v_cmp_gt_u32_e32 vcc, 8, v30
	v_cndmask_b32_e32 v30, v56, v55, vcc
	v_cndmask_b32_e32 v52, v52, v54, vcc
	v_lshlrev_b32_e32 v42, 24, v42
	v_bfrev_b32_e32 v54, 60
	v_lshlrev_b32_e32 v52, 20, v52
	v_and_b32_e32 v42, 0x80000000, v42
	v_lshl_add_u32 v30, v30, 23, v54
	v_or3_b32 v54, v42, v30, v52
.LBB580_227:
	s_or_b64 exec, exec, s[10:11]
.LBB580_228:
	s_or_b64 exec, exec, s[8:9]
.LBB580_229:
	s_or_b64 exec, exec, s[2:3]
	v_cmp_ne_u16_sdwa s[8:9], v31, v45 src0_sel:BYTE_0 src1_sel:DWORD
	s_and_saveexec_b64 s[2:3], s[8:9]
	s_cbranch_execz .LBB580_235
; %bb.230:
	s_movk_i32 s8, 0x80
	v_cmp_ne_u16_sdwa s[10:11], v31, s8 src0_sel:BYTE_0 src1_sel:DWORD
	v_bfrev_b32_e32 v45, 1
	s_and_saveexec_b64 s[8:9], s[10:11]
	s_cbranch_execz .LBB580_234
; %bb.231:
	s_movk_i32 s10, 0x7f
	v_and_b32_e32 v30, 0x7f, v31
	v_cmp_ne_u32_e32 vcc, s10, v30
	v_mov_b32_e32 v45, 0x7f800001
	s_and_saveexec_b64 s[10:11], vcc
	s_cbranch_execz .LBB580_233
; %bb.232:
	v_and_b32_e32 v45, 7, v31
	v_ffbh_u32_e32 v55, v45
	v_min_u32_e32 v55, 32, v55
	v_mov_b32_e32 v42, v31
	v_subrev_u32_e32 v56, 28, v55
	v_lshlrev_b64 v[56:57], v56, v[42:43]
	v_lshrrev_b32_e32 v52, 3, v30
	v_sub_u32_e32 v42, 29, v55
	v_and_b32_e32 v55, 7, v56
	v_cmp_gt_u32_e32 vcc, 8, v30
	v_cndmask_b32_e32 v30, v52, v42, vcc
	v_cndmask_b32_e32 v42, v45, v55, vcc
	v_lshlrev_b32_e32 v45, 24, v31
	v_bfrev_b32_e32 v52, 60
	v_lshlrev_b32_e32 v42, 20, v42
	v_and_b32_e32 v45, 0x80000000, v45
	v_lshl_add_u32 v30, v30, 23, v52
	v_or3_b32 v45, v45, v30, v42
.LBB580_233:
	s_or_b64 exec, exec, s[10:11]
.LBB580_234:
	s_or_b64 exec, exec, s[8:9]
.LBB580_235:
	s_or_b64 exec, exec, s[2:3]
	v_lshrrev_b16_e32 v30, 8, v31
	v_cmp_ne_u16_e32 vcc, 0, v30
	v_mov_b32_e32 v42, 0
	v_mov_b32_e32 v55, 0
	s_and_saveexec_b64 s[2:3], vcc
	s_cbranch_execz .LBB580_241
; %bb.236:
	s_movk_i32 s8, 0x80
	v_cmp_ne_u16_e32 vcc, s8, v30
	v_bfrev_b32_e32 v55, 1
	s_and_saveexec_b64 s[8:9], vcc
	s_cbranch_execz .LBB580_240
; %bb.237:
	s_movk_i32 s10, 0x7f
	v_and_b32_e32 v52, 0x7f, v30
	v_cmp_ne_u32_e32 vcc, s10, v52
	v_mov_b32_e32 v55, 0x7f800001
	s_and_saveexec_b64 s[10:11], vcc
	s_cbranch_execz .LBB580_239
; %bb.238:
	v_and_b32_e32 v55, 7, v30
	v_ffbh_u32_e32 v56, v55
	v_min_u32_e32 v59, 32, v56
	v_subrev_u32_e32 v56, 28, v59
	v_lshlrev_b64 v[56:57], v56, v[30:31]
	v_lshrrev_b32_e32 v58, 3, v52
	v_sub_u32_e32 v30, 29, v59
	v_and_b32_e32 v56, 7, v56
	v_cmp_gt_u32_e32 vcc, 8, v52
	v_cndmask_b32_e32 v30, v58, v30, vcc
	v_cndmask_b32_e32 v52, v55, v56, vcc
	v_lshlrev_b32_e32 v55, 16, v31
	v_bfrev_b32_e32 v56, 60
	v_lshlrev_b32_e32 v52, 20, v52
	v_and_b32_e32 v55, 0x80000000, v55
	v_lshl_add_u32 v30, v30, 23, v56
	v_or3_b32 v55, v55, v30, v52
.LBB580_239:
	s_or_b64 exec, exec, s[10:11]
.LBB580_240:
	s_or_b64 exec, exec, s[8:9]
.LBB580_241:
	s_or_b64 exec, exec, s[2:3]
	s_movk_i32 s2, 0xff
	v_and_b32_sdwa v52, v31, s2 dst_sel:DWORD dst_unused:UNUSED_PAD src0_sel:WORD_1 src1_sel:DWORD
	v_lshrrev_b32_e32 v30, 16, v31
	v_cmp_ne_u16_e32 vcc, 0, v52
	s_and_saveexec_b64 s[2:3], vcc
	s_cbranch_execz .LBB580_247
; %bb.242:
	s_movk_i32 s8, 0x80
	v_cmp_ne_u16_e32 vcc, s8, v52
	v_bfrev_b32_e32 v42, 1
	s_and_saveexec_b64 s[8:9], vcc
	s_cbranch_execz .LBB580_246
; %bb.243:
	v_bfe_u32 v52, v31, 16, 7
	s_movk_i32 s10, 0x7f
	v_cmp_ne_u32_e32 vcc, s10, v52
	v_mov_b32_e32 v42, 0x7f800001
	s_and_saveexec_b64 s[10:11], vcc
	s_cbranch_execz .LBB580_245
; %bb.244:
	v_and_b32_e32 v42, 7, v30
	v_ffbh_u32_e32 v56, v42
	v_min_u32_e32 v59, 32, v56
	v_subrev_u32_e32 v56, 28, v59
	v_lshlrev_b64 v[56:57], v56, v[30:31]
	v_lshrrev_b32_e32 v58, 3, v52
	v_sub_u32_e32 v30, 29, v59
	v_and_b32_e32 v56, 7, v56
	v_cmp_gt_u32_e32 vcc, 8, v52
	v_mov_b32_e32 v52, 24
	v_cndmask_b32_e32 v30, v58, v30, vcc
	v_cndmask_b32_e32 v42, v42, v56, vcc
	v_lshlrev_b32_sdwa v52, v52, v31 dst_sel:DWORD dst_unused:UNUSED_PAD src0_sel:DWORD src1_sel:WORD_1
	v_bfrev_b32_e32 v56, 60
	v_lshlrev_b32_e32 v42, 20, v42
	v_and_b32_e32 v52, 0x80000000, v52
	v_lshl_add_u32 v30, v30, 23, v56
	v_or3_b32 v42, v52, v30, v42
.LBB580_245:
	s_or_b64 exec, exec, s[10:11]
.LBB580_246:
	s_or_b64 exec, exec, s[8:9]
.LBB580_247:
	s_or_b64 exec, exec, s[2:3]
	s_mov_b32 s2, 0xffffff
	v_cmp_lt_u32_e32 vcc, s2, v31
	v_mov_b32_e32 v52, 0
	v_mov_b32_e32 v56, 0
	s_and_saveexec_b64 s[2:3], vcc
	s_cbranch_execz .LBB580_253
; %bb.248:
	v_lshrrev_b32_e32 v30, 24, v31
	s_movk_i32 s8, 0x80
	v_cmp_ne_u32_e32 vcc, s8, v30
	v_bfrev_b32_e32 v56, 1
	s_and_saveexec_b64 s[8:9], vcc
	s_cbranch_execz .LBB580_252
; %bb.249:
	v_bfe_u32 v31, v31, 24, 7
	s_movk_i32 s10, 0x7f
	v_cmp_ne_u32_e32 vcc, s10, v31
	v_mov_b32_e32 v56, 0x7f800001
	s_and_saveexec_b64 s[10:11], vcc
	s_cbranch_execz .LBB580_251
; %bb.250:
	v_and_b32_e32 v58, 7, v30
	v_ffbh_u32_e32 v56, v58
	v_min_u32_e32 v60, 32, v56
	v_subrev_u32_e32 v56, 28, v60
	v_lshlrev_b64 v[56:57], v56, v[30:31]
	v_lshrrev_b32_e32 v59, 3, v31
	v_sub_u32_e32 v57, 29, v60
	v_and_b32_e32 v56, 7, v56
	v_cmp_gt_u32_e32 vcc, 8, v31
	v_cndmask_b32_e32 v31, v59, v57, vcc
	v_cndmask_b32_e32 v56, v58, v56, vcc
	v_lshlrev_b32_e32 v30, 24, v30
	v_bfrev_b32_e32 v57, 60
	v_lshlrev_b32_e32 v56, 20, v56
	v_and_b32_e32 v30, 0x80000000, v30
	v_lshl_add_u32 v31, v31, 23, v57
	v_or3_b32 v56, v30, v31, v56
.LBB580_251:
	s_or_b64 exec, exec, s[10:11]
.LBB580_252:
	s_or_b64 exec, exec, s[8:9]
.LBB580_253:
	s_or_b64 exec, exec, s[2:3]
	v_cvt_pkrtz_f16_f32 v30, v53, v44
	v_cvt_pkrtz_f16_f32 v31, v43, v54
	v_cmp_ne_u16_sdwa s[8:9], v32, v52 src0_sel:BYTE_0 src1_sel:DWORD
	s_nop 0
	v_mfma_f32_16x16x16f16 v[58:61], v[30:31], v[26:27], 0
	v_cvt_pkrtz_f16_f32 v30, v45, v55
	v_cvt_pkrtz_f16_f32 v31, v42, v56
	s_nop 1
	v_mfma_f32_16x16x16f16 v[42:45], v[30:31], v[28:29], v[58:61]
	s_and_saveexec_b64 s[2:3], s[8:9]
	s_cbranch_execz .LBB580_259
; %bb.254:
	s_movk_i32 s8, 0x80
	v_cmp_ne_u16_sdwa s[10:11], v32, s8 src0_sel:BYTE_0 src1_sel:DWORD
	v_bfrev_b32_e32 v52, 1
	s_and_saveexec_b64 s[8:9], s[10:11]
	s_cbranch_execz .LBB580_258
; %bb.255:
	s_movk_i32 s10, 0x7f
	v_and_b32_e32 v30, 0x7f, v32
	v_cmp_ne_u32_e32 vcc, s10, v30
	v_mov_b32_e32 v52, 0x7f800001
	s_and_saveexec_b64 s[10:11], vcc
	s_cbranch_execz .LBB580_257
; %bb.256:
	v_and_b32_e32 v31, 7, v32
	v_ffbh_u32_e32 v52, v31
	v_min_u32_e32 v55, 32, v52
	v_subrev_u32_e32 v52, 28, v55
	v_lshlrev_b64 v[52:53], v52, v[32:33]
	v_lshrrev_b32_e32 v54, 3, v30
	v_sub_u32_e32 v53, 29, v55
	v_and_b32_e32 v52, 7, v52
	v_cmp_gt_u32_e32 vcc, 8, v30
	v_cndmask_b32_e32 v30, v54, v53, vcc
	v_cndmask_b32_e32 v31, v31, v52, vcc
	v_lshlrev_b32_e32 v52, 24, v32
	v_bfrev_b32_e32 v53, 60
	v_lshlrev_b32_e32 v31, 20, v31
	v_and_b32_e32 v52, 0x80000000, v52
	v_lshl_add_u32 v30, v30, 23, v53
	v_or3_b32 v52, v52, v30, v31
.LBB580_257:
	s_or_b64 exec, exec, s[10:11]
.LBB580_258:
	s_or_b64 exec, exec, s[8:9]
.LBB580_259:
	s_or_b64 exec, exec, s[2:3]
	v_lshrrev_b16_e32 v30, 8, v32
	v_cmp_ne_u16_e32 vcc, 0, v30
	v_mov_b32_e32 v31, 0
	v_mov_b32_e32 v54, 0
	s_and_saveexec_b64 s[2:3], vcc
	s_cbranch_execz .LBB580_265
; %bb.260:
	s_movk_i32 s8, 0x80
	v_cmp_ne_u16_e32 vcc, s8, v30
	v_bfrev_b32_e32 v54, 1
	s_and_saveexec_b64 s[8:9], vcc
	s_cbranch_execz .LBB580_264
; %bb.261:
	s_movk_i32 s10, 0x7f
	v_and_b32_e32 v53, 0x7f, v30
	v_cmp_ne_u32_e32 vcc, s10, v53
	v_mov_b32_e32 v54, 0x7f800001
	s_and_saveexec_b64 s[10:11], vcc
	s_cbranch_execz .LBB580_263
; %bb.262:
	v_and_b32_e32 v56, 7, v30
	v_ffbh_u32_e32 v54, v56
	v_min_u32_e32 v58, 32, v54
	v_subrev_u32_e32 v54, 28, v58
	v_lshlrev_b64 v[54:55], v54, v[30:31]
	v_lshrrev_b32_e32 v57, 3, v53
	v_sub_u32_e32 v30, 29, v58
	v_and_b32_e32 v54, 7, v54
	v_cmp_gt_u32_e32 vcc, 8, v53
	v_cndmask_b32_e32 v30, v57, v30, vcc
	v_cndmask_b32_e32 v53, v56, v54, vcc
	v_lshlrev_b32_e32 v54, 16, v32
	v_bfrev_b32_e32 v55, 60
	v_lshlrev_b32_e32 v53, 20, v53
	v_and_b32_e32 v54, 0x80000000, v54
	v_lshl_add_u32 v30, v30, 23, v55
	v_or3_b32 v54, v54, v30, v53
.LBB580_263:
	s_or_b64 exec, exec, s[10:11]
.LBB580_264:
	s_or_b64 exec, exec, s[8:9]
.LBB580_265:
	s_or_b64 exec, exec, s[2:3]
	s_movk_i32 s2, 0xff
	v_and_b32_sdwa v53, v32, s2 dst_sel:DWORD dst_unused:UNUSED_PAD src0_sel:WORD_1 src1_sel:DWORD
	v_lshrrev_b32_e32 v30, 16, v32
	v_cmp_ne_u16_e32 vcc, 0, v53
	s_and_saveexec_b64 s[2:3], vcc
	s_cbranch_execz .LBB580_271
; %bb.266:
	s_movk_i32 s8, 0x80
	v_cmp_ne_u16_e32 vcc, s8, v53
	v_bfrev_b32_e32 v31, 1
	s_and_saveexec_b64 s[8:9], vcc
	s_cbranch_execz .LBB580_270
; %bb.267:
	v_bfe_u32 v53, v32, 16, 7
	s_movk_i32 s10, 0x7f
	v_cmp_ne_u32_e32 vcc, s10, v53
	v_mov_b32_e32 v31, 0x7f800001
	s_and_saveexec_b64 s[10:11], vcc
	s_cbranch_execz .LBB580_269
; %bb.268:
	v_and_b32_e32 v55, 7, v30
	v_ffbh_u32_e32 v31, v55
	v_min_u32_e32 v57, 32, v31
	v_subrev_u32_e32 v31, 28, v57
	v_lshlrev_b64 v[30:31], v31, v[30:31]
	v_lshrrev_b32_e32 v56, 3, v53
	v_sub_u32_e32 v31, 29, v57
	v_and_b32_e32 v30, 7, v30
	v_cmp_gt_u32_e32 vcc, 8, v53
	v_mov_b32_e32 v53, 24
	v_cndmask_b32_e32 v31, v56, v31, vcc
	v_cndmask_b32_e32 v30, v55, v30, vcc
	v_lshlrev_b32_sdwa v53, v53, v32 dst_sel:DWORD dst_unused:UNUSED_PAD src0_sel:DWORD src1_sel:WORD_1
	v_bfrev_b32_e32 v55, 60
	v_lshlrev_b32_e32 v30, 20, v30
	v_and_b32_e32 v53, 0x80000000, v53
	v_lshl_add_u32 v31, v31, 23, v55
	v_or3_b32 v31, v53, v31, v30
.LBB580_269:
	s_or_b64 exec, exec, s[10:11]
.LBB580_270:
	s_or_b64 exec, exec, s[8:9]
.LBB580_271:
	s_or_b64 exec, exec, s[2:3]
	s_mov_b32 s2, 0xffffff
	v_cmp_lt_u32_e32 vcc, s2, v32
	v_mov_b32_e32 v55, 0
	v_mov_b32_e32 v56, 0
	s_and_saveexec_b64 s[2:3], vcc
	s_cbranch_execz .LBB580_277
; %bb.272:
	v_lshrrev_b32_e32 v30, 24, v32
	s_movk_i32 s8, 0x80
	v_cmp_ne_u32_e32 vcc, s8, v30
	v_bfrev_b32_e32 v56, 1
	s_and_saveexec_b64 s[8:9], vcc
	s_cbranch_execz .LBB580_276
; %bb.273:
	v_bfe_u32 v32, v32, 24, 7
	s_movk_i32 s10, 0x7f
	v_cmp_ne_u32_e32 vcc, s10, v32
	v_mov_b32_e32 v56, 0x7f800001
	s_and_saveexec_b64 s[10:11], vcc
	s_cbranch_execz .LBB580_275
; %bb.274:
	v_and_b32_e32 v53, 7, v30
	v_ffbh_u32_e32 v56, v53
	v_min_u32_e32 v59, 32, v56
	v_subrev_u32_e32 v56, 28, v59
	v_lshlrev_b64 v[56:57], v56, v[30:31]
	v_lshrrev_b32_e32 v58, 3, v32
	v_sub_u32_e32 v57, 29, v59
	v_and_b32_e32 v56, 7, v56
	v_cmp_gt_u32_e32 vcc, 8, v32
	v_cndmask_b32_e32 v32, v58, v57, vcc
	v_cndmask_b32_e32 v53, v53, v56, vcc
	v_lshlrev_b32_e32 v30, 24, v30
	v_bfrev_b32_e32 v56, 60
	v_lshlrev_b32_e32 v53, 20, v53
	v_and_b32_e32 v30, 0x80000000, v30
	v_lshl_add_u32 v32, v32, 23, v56
	v_or3_b32 v56, v30, v32, v53
.LBB580_275:
	s_or_b64 exec, exec, s[10:11]
.LBB580_276:
	s_or_b64 exec, exec, s[8:9]
.LBB580_277:
	s_or_b64 exec, exec, s[2:3]
	v_cmp_ne_u16_sdwa s[8:9], v33, v55 src0_sel:BYTE_0 src1_sel:DWORD
	s_and_saveexec_b64 s[2:3], s[8:9]
	s_cbranch_execz .LBB580_283
; %bb.278:
	s_movk_i32 s8, 0x80
	v_cmp_ne_u16_sdwa s[10:11], v33, s8 src0_sel:BYTE_0 src1_sel:DWORD
	v_bfrev_b32_e32 v55, 1
	s_and_saveexec_b64 s[8:9], s[10:11]
	s_cbranch_execz .LBB580_282
; %bb.279:
	s_movk_i32 s10, 0x7f
	v_and_b32_e32 v30, 0x7f, v33
	v_cmp_ne_u32_e32 vcc, s10, v30
	v_mov_b32_e32 v55, 0x7f800001
	s_and_saveexec_b64 s[10:11], vcc
	s_cbranch_execz .LBB580_281
; %bb.280:
	v_and_b32_e32 v53, 7, v33
	v_ffbh_u32_e32 v57, v53
	v_min_u32_e32 v57, 32, v57
	v_mov_b32_e32 v32, v33
	v_subrev_u32_e32 v58, 28, v57
	v_lshlrev_b64 v[58:59], v58, v[32:33]
	v_lshrrev_b32_e32 v55, 3, v30
	v_sub_u32_e32 v32, 29, v57
	v_and_b32_e32 v57, 7, v58
	v_cmp_gt_u32_e32 vcc, 8, v30
	v_cndmask_b32_e32 v30, v55, v32, vcc
	v_cndmask_b32_e32 v32, v53, v57, vcc
	v_lshlrev_b32_e32 v53, 24, v33
	v_bfrev_b32_e32 v55, 60
	v_lshlrev_b32_e32 v32, 20, v32
	v_and_b32_e32 v53, 0x80000000, v53
	v_lshl_add_u32 v30, v30, 23, v55
	v_or3_b32 v55, v53, v30, v32
.LBB580_281:
	s_or_b64 exec, exec, s[10:11]
.LBB580_282:
	s_or_b64 exec, exec, s[8:9]
.LBB580_283:
	s_or_b64 exec, exec, s[2:3]
	v_lshrrev_b16_e32 v30, 8, v33
	v_cmp_ne_u16_e32 vcc, 0, v30
	v_mov_b32_e32 v32, 0
	v_mov_b32_e32 v57, 0
	s_and_saveexec_b64 s[2:3], vcc
	s_cbranch_execz .LBB580_289
; %bb.284:
	s_movk_i32 s8, 0x80
	v_cmp_ne_u16_e32 vcc, s8, v30
	v_bfrev_b32_e32 v57, 1
	s_and_saveexec_b64 s[8:9], vcc
	s_cbranch_execz .LBB580_288
; %bb.285:
	s_movk_i32 s10, 0x7f
	v_and_b32_e32 v53, 0x7f, v30
	v_cmp_ne_u32_e32 vcc, s10, v53
	v_mov_b32_e32 v57, 0x7f800001
	s_and_saveexec_b64 s[10:11], vcc
	s_cbranch_execz .LBB580_287
; %bb.286:
	v_and_b32_e32 v57, 7, v30
	v_ffbh_u32_e32 v58, v57
	v_min_u32_e32 v61, 32, v58
	v_subrev_u32_e32 v58, 28, v61
	v_lshlrev_b64 v[58:59], v58, v[30:31]
	v_lshrrev_b32_e32 v60, 3, v53
	v_sub_u32_e32 v30, 29, v61
	v_and_b32_e32 v58, 7, v58
	v_cmp_gt_u32_e32 vcc, 8, v53
	v_cndmask_b32_e32 v30, v60, v30, vcc
	v_cndmask_b32_e32 v53, v57, v58, vcc
	v_lshlrev_b32_e32 v57, 16, v33
	v_bfrev_b32_e32 v58, 60
	v_lshlrev_b32_e32 v53, 20, v53
	v_and_b32_e32 v57, 0x80000000, v57
	v_lshl_add_u32 v30, v30, 23, v58
	v_or3_b32 v57, v57, v30, v53
.LBB580_287:
	s_or_b64 exec, exec, s[10:11]
.LBB580_288:
	s_or_b64 exec, exec, s[8:9]
.LBB580_289:
	s_or_b64 exec, exec, s[2:3]
	s_movk_i32 s2, 0xff
	v_and_b32_sdwa v53, v33, s2 dst_sel:DWORD dst_unused:UNUSED_PAD src0_sel:WORD_1 src1_sel:DWORD
	v_lshrrev_b32_e32 v30, 16, v33
	v_cmp_ne_u16_e32 vcc, 0, v53
	s_and_saveexec_b64 s[2:3], vcc
	s_cbranch_execz .LBB580_295
; %bb.290:
	s_movk_i32 s8, 0x80
	v_cmp_ne_u16_e32 vcc, s8, v53
	v_bfrev_b32_e32 v32, 1
	s_and_saveexec_b64 s[8:9], vcc
	s_cbranch_execz .LBB580_294
; %bb.291:
	v_bfe_u32 v53, v33, 16, 7
	s_movk_i32 s10, 0x7f
	v_cmp_ne_u32_e32 vcc, s10, v53
	v_mov_b32_e32 v32, 0x7f800001
	s_and_saveexec_b64 s[10:11], vcc
	s_cbranch_execz .LBB580_293
; %bb.292:
	v_and_b32_e32 v32, 7, v30
	v_ffbh_u32_e32 v58, v32
	v_min_u32_e32 v61, 32, v58
	v_subrev_u32_e32 v58, 28, v61
	v_lshlrev_b64 v[58:59], v58, v[30:31]
	v_lshrrev_b32_e32 v60, 3, v53
	v_sub_u32_e32 v30, 29, v61
	v_and_b32_e32 v58, 7, v58
	v_cmp_gt_u32_e32 vcc, 8, v53
	v_mov_b32_e32 v53, 24
	v_cndmask_b32_e32 v30, v60, v30, vcc
	v_cndmask_b32_e32 v32, v32, v58, vcc
	v_lshlrev_b32_sdwa v53, v53, v33 dst_sel:DWORD dst_unused:UNUSED_PAD src0_sel:DWORD src1_sel:WORD_1
	v_bfrev_b32_e32 v58, 60
	v_lshlrev_b32_e32 v32, 20, v32
	v_and_b32_e32 v53, 0x80000000, v53
	v_lshl_add_u32 v30, v30, 23, v58
	v_or3_b32 v32, v53, v30, v32
.LBB580_293:
	s_or_b64 exec, exec, s[10:11]
.LBB580_294:
	s_or_b64 exec, exec, s[8:9]
.LBB580_295:
	s_or_b64 exec, exec, s[2:3]
	s_mov_b32 s2, 0xffffff
	v_cmp_lt_u32_e32 vcc, s2, v33
	v_mov_b32_e32 v53, 0
	v_mov_b32_e32 v58, 0
	s_and_saveexec_b64 s[2:3], vcc
	s_cbranch_execz .LBB580_301
; %bb.296:
	v_lshrrev_b32_e32 v30, 24, v33
	s_movk_i32 s8, 0x80
	v_cmp_ne_u32_e32 vcc, s8, v30
	v_bfrev_b32_e32 v58, 1
	s_and_saveexec_b64 s[8:9], vcc
	s_cbranch_execz .LBB580_300
; %bb.297:
	v_bfe_u32 v33, v33, 24, 7
	s_movk_i32 s10, 0x7f
	v_cmp_ne_u32_e32 vcc, s10, v33
	v_mov_b32_e32 v58, 0x7f800001
	s_and_saveexec_b64 s[10:11], vcc
	s_cbranch_execz .LBB580_299
; %bb.298:
	v_and_b32_e32 v60, 7, v30
	v_ffbh_u32_e32 v58, v60
	v_min_u32_e32 v62, 32, v58
	v_subrev_u32_e32 v58, 28, v62
	v_lshlrev_b64 v[58:59], v58, v[30:31]
	v_lshrrev_b32_e32 v61, 3, v33
	v_sub_u32_e32 v59, 29, v62
	v_and_b32_e32 v58, 7, v58
	v_cmp_gt_u32_e32 vcc, 8, v33
	v_cndmask_b32_e32 v33, v61, v59, vcc
	v_cndmask_b32_e32 v58, v60, v58, vcc
	v_lshlrev_b32_e32 v30, 24, v30
	v_bfrev_b32_e32 v59, 60
	v_lshlrev_b32_e32 v58, 20, v58
	v_and_b32_e32 v30, 0x80000000, v30
	v_lshl_add_u32 v33, v33, 23, v59
	v_or3_b32 v58, v30, v33, v58
.LBB580_299:
	s_or_b64 exec, exec, s[10:11]
.LBB580_300:
	s_or_b64 exec, exec, s[8:9]
.LBB580_301:
	s_or_b64 exec, exec, s[2:3]
	v_cvt_pkrtz_f16_f32 v30, v52, v54
	v_cvt_pkrtz_f16_f32 v31, v31, v56
	v_cmp_ne_u16_sdwa s[8:9], v22, v53 src0_sel:BYTE_0 src1_sel:DWORD
	s_nop 0
	v_mfma_f32_16x16x16f16 v[42:45], v[30:31], v[18:19], v[42:45]
	v_cvt_pkrtz_f16_f32 v30, v55, v57
	v_cvt_pkrtz_f16_f32 v31, v32, v58
	s_nop 1
	v_mfma_f32_16x16x16f16 v[30:33], v[30:31], v[20:21], v[42:45]
	s_and_saveexec_b64 s[2:3], s[8:9]
	s_cbranch_execz .LBB580_307
; %bb.302:
	s_movk_i32 s8, 0x80
	v_cmp_ne_u16_sdwa s[10:11], v22, s8 src0_sel:BYTE_0 src1_sel:DWORD
	v_bfrev_b32_e32 v53, 1
	s_and_saveexec_b64 s[8:9], s[10:11]
	s_cbranch_execz .LBB580_306
; %bb.303:
	s_movk_i32 s10, 0x7f
	v_and_b32_e32 v42, 0x7f, v22
	v_cmp_ne_u32_e32 vcc, s10, v42
	v_mov_b32_e32 v53, 0x7f800001
	s_and_saveexec_b64 s[10:11], vcc
	s_cbranch_execz .LBB580_305
; %bb.304:
	v_and_b32_e32 v43, 7, v22
	v_ffbh_u32_e32 v44, v43
	v_min_u32_e32 v53, 32, v44
	v_subrev_u32_e32 v44, 28, v53
	v_lshlrev_b64 v[44:45], v44, v[22:23]
	v_lshrrev_b32_e32 v52, 3, v42
	v_sub_u32_e32 v45, 29, v53
	v_and_b32_e32 v44, 7, v44
	v_cmp_gt_u32_e32 vcc, 8, v42
	v_cndmask_b32_e32 v42, v52, v45, vcc
	v_cndmask_b32_e32 v43, v43, v44, vcc
	v_lshlrev_b32_e32 v44, 24, v22
	v_bfrev_b32_e32 v45, 60
	v_lshlrev_b32_e32 v43, 20, v43
	v_and_b32_e32 v44, 0x80000000, v44
	v_lshl_add_u32 v42, v42, 23, v45
	v_or3_b32 v53, v44, v42, v43
.LBB580_305:
	s_or_b64 exec, exec, s[10:11]
.LBB580_306:
	s_or_b64 exec, exec, s[8:9]
.LBB580_307:
	s_or_b64 exec, exec, s[2:3]
	s_nop 3
	v_lshrrev_b16_e32 v42, 8, v22
	v_cmp_ne_u16_e32 vcc, 0, v42
	v_mov_b32_e32 v43, 0
	v_mov_b32_e32 v44, 0
	s_and_saveexec_b64 s[2:3], vcc
	s_cbranch_execz .LBB580_313
; %bb.308:
	s_movk_i32 s8, 0x80
	v_cmp_ne_u16_e32 vcc, s8, v42
	v_bfrev_b32_e32 v44, 1
	s_and_saveexec_b64 s[8:9], vcc
	s_cbranch_execz .LBB580_312
; %bb.309:
	s_movk_i32 s10, 0x7f
	v_and_b32_e32 v45, 0x7f, v42
	v_cmp_ne_u32_e32 vcc, s10, v45
	v_mov_b32_e32 v44, 0x7f800001
	s_and_saveexec_b64 s[10:11], vcc
	s_cbranch_execz .LBB580_311
; %bb.310:
	v_and_b32_e32 v44, 7, v42
	v_ffbh_u32_e32 v54, v44
	v_min_u32_e32 v56, 32, v54
	v_subrev_u32_e32 v54, 28, v56
	v_lshlrev_b64 v[54:55], v54, v[42:43]
	v_lshrrev_b32_e32 v52, 3, v45
	v_sub_u32_e32 v42, 29, v56
	v_and_b32_e32 v54, 7, v54
	v_cmp_gt_u32_e32 vcc, 8, v45
	v_cndmask_b32_e32 v42, v52, v42, vcc
	v_cndmask_b32_e32 v44, v44, v54, vcc
	v_lshlrev_b32_e32 v45, 16, v22
	v_bfrev_b32_e32 v52, 60
	v_lshlrev_b32_e32 v44, 20, v44
	v_and_b32_e32 v45, 0x80000000, v45
	v_lshl_add_u32 v42, v42, 23, v52
	v_or3_b32 v44, v45, v42, v44
.LBB580_311:
	s_or_b64 exec, exec, s[10:11]
.LBB580_312:
	s_or_b64 exec, exec, s[8:9]
.LBB580_313:
	s_or_b64 exec, exec, s[2:3]
	s_movk_i32 s2, 0xff
	v_and_b32_sdwa v45, v22, s2 dst_sel:DWORD dst_unused:UNUSED_PAD src0_sel:WORD_1 src1_sel:DWORD
	v_lshrrev_b32_e32 v42, 16, v22
	v_cmp_ne_u16_e32 vcc, 0, v45
	s_and_saveexec_b64 s[2:3], vcc
	s_cbranch_execz .LBB580_319
; %bb.314:
	s_movk_i32 s8, 0x80
	v_cmp_ne_u16_e32 vcc, s8, v45
	v_bfrev_b32_e32 v43, 1
	s_and_saveexec_b64 s[8:9], vcc
	s_cbranch_execz .LBB580_318
; %bb.315:
	v_bfe_u32 v45, v22, 16, 7
	s_movk_i32 s10, 0x7f
	v_cmp_ne_u32_e32 vcc, s10, v45
	v_mov_b32_e32 v43, 0x7f800001
	s_and_saveexec_b64 s[10:11], vcc
	s_cbranch_execz .LBB580_317
; %bb.316:
	v_and_b32_e32 v52, 7, v42
	v_ffbh_u32_e32 v43, v52
	v_min_u32_e32 v55, 32, v43
	v_subrev_u32_e32 v43, 28, v55
	v_lshlrev_b64 v[42:43], v43, v[42:43]
	v_lshrrev_b32_e32 v54, 3, v45
	v_sub_u32_e32 v43, 29, v55
	v_and_b32_e32 v42, 7, v42
	v_cmp_gt_u32_e32 vcc, 8, v45
	v_mov_b32_e32 v45, 24
	v_cndmask_b32_e32 v43, v54, v43, vcc
	v_cndmask_b32_e32 v42, v52, v42, vcc
	v_lshlrev_b32_sdwa v45, v45, v22 dst_sel:DWORD dst_unused:UNUSED_PAD src0_sel:DWORD src1_sel:WORD_1
	v_bfrev_b32_e32 v52, 60
	v_lshlrev_b32_e32 v42, 20, v42
	v_and_b32_e32 v45, 0x80000000, v45
	v_lshl_add_u32 v43, v43, 23, v52
	v_or3_b32 v43, v45, v43, v42
.LBB580_317:
	s_or_b64 exec, exec, s[10:11]
.LBB580_318:
	s_or_b64 exec, exec, s[8:9]
.LBB580_319:
	s_or_b64 exec, exec, s[2:3]
	s_mov_b32 s2, 0xffffff
	v_cmp_lt_u32_e32 vcc, s2, v22
	v_mov_b32_e32 v45, 0
	v_mov_b32_e32 v52, 0
	s_and_saveexec_b64 s[2:3], vcc
	s_cbranch_execz .LBB580_325
; %bb.320:
	v_lshrrev_b32_e32 v42, 24, v22
	s_movk_i32 s8, 0x80
	v_cmp_ne_u32_e32 vcc, s8, v42
	v_bfrev_b32_e32 v52, 1
	s_and_saveexec_b64 s[8:9], vcc
	s_cbranch_execz .LBB580_324
; %bb.321:
	v_bfe_u32 v22, v22, 24, 7
	s_movk_i32 s10, 0x7f
	v_cmp_ne_u32_e32 vcc, s10, v22
	v_mov_b32_e32 v52, 0x7f800001
	s_and_saveexec_b64 s[10:11], vcc
	s_cbranch_execz .LBB580_323
; %bb.322:
	v_and_b32_e32 v52, 7, v42
	v_ffbh_u32_e32 v54, v52
	v_min_u32_e32 v57, 32, v54
	v_subrev_u32_e32 v54, 28, v57
	v_lshlrev_b64 v[54:55], v54, v[42:43]
	v_lshrrev_b32_e32 v56, 3, v22
	v_sub_u32_e32 v55, 29, v57
	v_and_b32_e32 v54, 7, v54
	v_cmp_gt_u32_e32 vcc, 8, v22
	v_cndmask_b32_e32 v22, v56, v55, vcc
	v_cndmask_b32_e32 v52, v52, v54, vcc
	v_lshlrev_b32_e32 v42, 24, v42
	v_bfrev_b32_e32 v54, 60
	v_lshlrev_b32_e32 v52, 20, v52
	v_and_b32_e32 v42, 0x80000000, v42
	v_lshl_add_u32 v22, v22, 23, v54
	v_or3_b32 v52, v42, v22, v52
.LBB580_323:
	s_or_b64 exec, exec, s[10:11]
.LBB580_324:
	s_or_b64 exec, exec, s[8:9]
.LBB580_325:
	s_or_b64 exec, exec, s[2:3]
	v_cmp_ne_u16_sdwa s[8:9], v23, v45 src0_sel:BYTE_0 src1_sel:DWORD
	s_and_saveexec_b64 s[2:3], s[8:9]
	s_cbranch_execz .LBB580_331
; %bb.326:
	s_movk_i32 s8, 0x80
	v_cmp_ne_u16_sdwa s[10:11], v23, s8 src0_sel:BYTE_0 src1_sel:DWORD
	v_bfrev_b32_e32 v45, 1
	s_and_saveexec_b64 s[8:9], s[10:11]
	s_cbranch_execz .LBB580_330
; %bb.327:
	s_movk_i32 s10, 0x7f
	v_and_b32_e32 v22, 0x7f, v23
	v_cmp_ne_u32_e32 vcc, s10, v22
	v_mov_b32_e32 v45, 0x7f800001
	s_and_saveexec_b64 s[10:11], vcc
	s_cbranch_execz .LBB580_329
; %bb.328:
	v_and_b32_e32 v45, 7, v23
	v_ffbh_u32_e32 v54, v45
	v_min_u32_e32 v57, 32, v54
	v_mov_b32_e32 v42, v23
	v_subrev_u32_e32 v54, 28, v57
	v_lshlrev_b64 v[54:55], v54, v[42:43]
	v_lshrrev_b32_e32 v56, 3, v22
	v_sub_u32_e32 v42, 29, v57
	v_and_b32_e32 v54, 7, v54
	v_cmp_gt_u32_e32 vcc, 8, v22
	v_cndmask_b32_e32 v22, v56, v42, vcc
	v_cndmask_b32_e32 v42, v45, v54, vcc
	v_lshlrev_b32_e32 v45, 24, v23
	v_bfrev_b32_e32 v54, 60
	v_lshlrev_b32_e32 v42, 20, v42
	v_and_b32_e32 v45, 0x80000000, v45
	v_lshl_add_u32 v22, v22, 23, v54
	v_or3_b32 v45, v45, v22, v42
.LBB580_329:
	s_or_b64 exec, exec, s[10:11]
.LBB580_330:
	s_or_b64 exec, exec, s[8:9]
.LBB580_331:
	s_or_b64 exec, exec, s[2:3]
	v_lshrrev_b16_e32 v22, 8, v23
	v_cmp_ne_u16_e32 vcc, 0, v22
	v_mov_b32_e32 v54, 0
	v_mov_b32_e32 v55, 0
	s_and_saveexec_b64 s[2:3], vcc
	s_cbranch_execz .LBB580_337
; %bb.332:
	s_movk_i32 s8, 0x80
	v_cmp_ne_u16_e32 vcc, s8, v22
	v_bfrev_b32_e32 v55, 1
	s_and_saveexec_b64 s[8:9], vcc
	s_cbranch_execz .LBB580_336
; %bb.333:
	s_movk_i32 s10, 0x7f
	v_and_b32_e32 v42, 0x7f, v22
	v_cmp_ne_u32_e32 vcc, s10, v42
	v_mov_b32_e32 v55, 0x7f800001
	s_and_saveexec_b64 s[10:11], vcc
	s_cbranch_execz .LBB580_335
; %bb.334:
	v_and_b32_e32 v55, 7, v22
	v_ffbh_u32_e32 v56, v55
	v_min_u32_e32 v59, 32, v56
	v_subrev_u32_e32 v56, 28, v59
	v_lshlrev_b64 v[56:57], v56, v[22:23]
	v_lshrrev_b32_e32 v58, 3, v42
	v_sub_u32_e32 v22, 29, v59
	v_and_b32_e32 v56, 7, v56
	v_cmp_gt_u32_e32 vcc, 8, v42
	v_cndmask_b32_e32 v22, v58, v22, vcc
	v_cndmask_b32_e32 v42, v55, v56, vcc
	v_lshlrev_b32_e32 v55, 16, v23
	v_bfrev_b32_e32 v56, 60
	v_lshlrev_b32_e32 v42, 20, v42
	v_and_b32_e32 v55, 0x80000000, v55
	v_lshl_add_u32 v22, v22, 23, v56
	v_or3_b32 v55, v55, v22, v42
.LBB580_335:
	s_or_b64 exec, exec, s[10:11]
.LBB580_336:
	s_or_b64 exec, exec, s[8:9]
.LBB580_337:
	s_or_b64 exec, exec, s[2:3]
	s_movk_i32 s2, 0xff
	v_and_b32_sdwa v42, v23, s2 dst_sel:DWORD dst_unused:UNUSED_PAD src0_sel:WORD_1 src1_sel:DWORD
	v_lshrrev_b32_e32 v22, 16, v23
	v_cmp_ne_u16_e32 vcc, 0, v42
	s_and_saveexec_b64 s[2:3], vcc
	s_cbranch_execz .LBB580_343
; %bb.338:
	s_movk_i32 s8, 0x80
	v_cmp_ne_u16_e32 vcc, s8, v42
	v_bfrev_b32_e32 v54, 1
	s_and_saveexec_b64 s[8:9], vcc
	s_cbranch_execz .LBB580_342
; %bb.339:
	v_bfe_u32 v42, v23, 16, 7
	s_movk_i32 s10, 0x7f
	v_cmp_ne_u32_e32 vcc, s10, v42
	v_mov_b32_e32 v54, 0x7f800001
	s_and_saveexec_b64 s[10:11], vcc
	s_cbranch_execz .LBB580_341
; %bb.340:
	v_and_b32_e32 v54, 7, v22
	v_ffbh_u32_e32 v56, v54
	v_min_u32_e32 v59, 32, v56
	v_subrev_u32_e32 v56, 28, v59
	v_lshlrev_b64 v[56:57], v56, v[22:23]
	v_and_b32_e32 v56, 7, v56
	v_cmp_gt_u32_e32 vcc, 8, v42
	v_lshrrev_b32_e32 v58, 3, v42
	v_sub_u32_e32 v22, 29, v59
	v_cndmask_b32_e32 v42, v54, v56, vcc
	v_mov_b32_e32 v54, 24
	v_cndmask_b32_e32 v22, v58, v22, vcc
	v_lshlrev_b32_sdwa v54, v54, v23 dst_sel:DWORD dst_unused:UNUSED_PAD src0_sel:DWORD src1_sel:WORD_1
	v_bfrev_b32_e32 v56, 60
	v_lshlrev_b32_e32 v42, 20, v42
	v_and_b32_e32 v54, 0x80000000, v54
	v_lshl_add_u32 v22, v22, 23, v56
	v_or3_b32 v54, v54, v22, v42
.LBB580_341:
	s_or_b64 exec, exec, s[10:11]
.LBB580_342:
	s_or_b64 exec, exec, s[8:9]
.LBB580_343:
	s_or_b64 exec, exec, s[2:3]
	s_mov_b32 s2, 0xffffff
	v_cmp_lt_u32_e32 vcc, s2, v23
	v_mov_b32_e32 v42, 0
	v_mov_b32_e32 v56, 0
	s_and_saveexec_b64 s[2:3], vcc
	s_cbranch_execz .LBB580_349
; %bb.344:
	v_lshrrev_b32_e32 v22, 24, v23
	s_movk_i32 s8, 0x80
	v_cmp_ne_u32_e32 vcc, s8, v22
	v_bfrev_b32_e32 v56, 1
	s_and_saveexec_b64 s[8:9], vcc
	s_cbranch_execz .LBB580_348
; %bb.345:
	v_bfe_u32 v23, v23, 24, 7
	s_movk_i32 s10, 0x7f
	v_cmp_ne_u32_e32 vcc, s10, v23
	v_mov_b32_e32 v56, 0x7f800001
	s_and_saveexec_b64 s[10:11], vcc
	s_cbranch_execz .LBB580_347
; %bb.346:
	v_and_b32_e32 v58, 7, v22
	v_ffbh_u32_e32 v56, v58
	v_min_u32_e32 v60, 32, v56
	v_subrev_u32_e32 v56, 28, v60
	v_lshlrev_b64 v[56:57], v56, v[22:23]
	v_lshrrev_b32_e32 v59, 3, v23
	v_sub_u32_e32 v57, 29, v60
	v_and_b32_e32 v56, 7, v56
	v_cmp_gt_u32_e32 vcc, 8, v23
	v_cndmask_b32_e32 v23, v59, v57, vcc
	v_cndmask_b32_e32 v56, v58, v56, vcc
	v_lshlrev_b32_e32 v22, 24, v22
	v_bfrev_b32_e32 v57, 60
	v_lshlrev_b32_e32 v56, 20, v56
	v_and_b32_e32 v22, 0x80000000, v22
	v_lshl_add_u32 v23, v23, 23, v57
	v_or3_b32 v56, v22, v23, v56
.LBB580_347:
	s_or_b64 exec, exec, s[10:11]
.LBB580_348:
	s_or_b64 exec, exec, s[8:9]
.LBB580_349:
	s_or_b64 exec, exec, s[2:3]
	v_cvt_pkrtz_f16_f32 v22, v53, v44
	v_cvt_pkrtz_f16_f32 v23, v43, v52
	v_cmp_ne_u16_sdwa s[8:9], v24, v42 src0_sel:BYTE_0 src1_sel:DWORD
	s_nop 0
	v_mfma_f32_16x16x16f16 v[58:61], v[22:23], v[26:27], 0
	v_cvt_pkrtz_f16_f32 v22, v45, v55
	v_cvt_pkrtz_f16_f32 v23, v54, v56
	s_nop 1
	v_mfma_f32_16x16x16f16 v[26:29], v[22:23], v[28:29], v[58:61]
	s_and_saveexec_b64 s[2:3], s[8:9]
	s_cbranch_execz .LBB580_355
; %bb.350:
	s_movk_i32 s8, 0x80
	v_cmp_ne_u16_sdwa s[10:11], v24, s8 src0_sel:BYTE_0 src1_sel:DWORD
	v_bfrev_b32_e32 v42, 1
	s_and_saveexec_b64 s[8:9], s[10:11]
	s_cbranch_execz .LBB580_354
; %bb.351:
	s_movk_i32 s10, 0x7f
	v_and_b32_e32 v22, 0x7f, v24
	v_cmp_ne_u32_e32 vcc, s10, v22
	v_mov_b32_e32 v42, 0x7f800001
	s_and_saveexec_b64 s[10:11], vcc
	s_cbranch_execz .LBB580_353
; %bb.352:
	v_and_b32_e32 v23, 7, v24
	v_ffbh_u32_e32 v42, v23
	v_min_u32_e32 v45, 32, v42
	v_subrev_u32_e32 v42, 28, v45
	v_lshlrev_b64 v[42:43], v42, v[24:25]
	v_lshrrev_b32_e32 v44, 3, v22
	v_sub_u32_e32 v43, 29, v45
	v_and_b32_e32 v42, 7, v42
	v_cmp_gt_u32_e32 vcc, 8, v22
	v_cndmask_b32_e32 v22, v44, v43, vcc
	v_cndmask_b32_e32 v23, v23, v42, vcc
	v_lshlrev_b32_e32 v42, 24, v24
	v_bfrev_b32_e32 v43, 60
	v_lshlrev_b32_e32 v23, 20, v23
	v_and_b32_e32 v42, 0x80000000, v42
	v_lshl_add_u32 v22, v22, 23, v43
	v_or3_b32 v42, v42, v22, v23
.LBB580_353:
	s_or_b64 exec, exec, s[10:11]
.LBB580_354:
	s_or_b64 exec, exec, s[8:9]
.LBB580_355:
	s_or_b64 exec, exec, s[2:3]
	v_lshrrev_b16_e32 v22, 8, v24
	v_cmp_ne_u16_e32 vcc, 0, v22
	v_mov_b32_e32 v23, 0
	v_mov_b32_e32 v43, 0
	s_and_saveexec_b64 s[2:3], vcc
	s_cbranch_execz .LBB580_361
; %bb.356:
	s_movk_i32 s8, 0x80
	v_cmp_ne_u16_e32 vcc, s8, v22
	v_bfrev_b32_e32 v43, 1
	s_and_saveexec_b64 s[8:9], vcc
	s_cbranch_execz .LBB580_360
; %bb.357:
	s_movk_i32 s10, 0x7f
	v_and_b32_e32 v44, 0x7f, v22
	v_cmp_ne_u32_e32 vcc, s10, v44
	v_mov_b32_e32 v43, 0x7f800001
	s_and_saveexec_b64 s[10:11], vcc
	s_cbranch_execz .LBB580_359
; %bb.358:
	v_and_b32_e32 v43, 7, v22
	v_ffbh_u32_e32 v52, v43
	v_min_u32_e32 v54, 32, v52
	v_subrev_u32_e32 v52, 28, v54
	v_lshlrev_b64 v[52:53], v52, v[22:23]
	v_lshrrev_b32_e32 v45, 3, v44
	v_sub_u32_e32 v22, 29, v54
	v_and_b32_e32 v52, 7, v52
	v_cmp_gt_u32_e32 vcc, 8, v44
	v_cndmask_b32_e32 v22, v45, v22, vcc
	v_cndmask_b32_e32 v43, v43, v52, vcc
	v_lshlrev_b32_e32 v44, 16, v24
	v_bfrev_b32_e32 v45, 60
	v_lshlrev_b32_e32 v43, 20, v43
	v_and_b32_e32 v44, 0x80000000, v44
	v_lshl_add_u32 v22, v22, 23, v45
	v_or3_b32 v43, v44, v22, v43
.LBB580_359:
	s_or_b64 exec, exec, s[10:11]
.LBB580_360:
	s_or_b64 exec, exec, s[8:9]
.LBB580_361:
	s_or_b64 exec, exec, s[2:3]
	s_movk_i32 s2, 0xff
	v_and_b32_sdwa v44, v24, s2 dst_sel:DWORD dst_unused:UNUSED_PAD src0_sel:WORD_1 src1_sel:DWORD
	v_lshrrev_b32_e32 v22, 16, v24
	v_cmp_ne_u16_e32 vcc, 0, v44
	s_and_saveexec_b64 s[2:3], vcc
	s_cbranch_execz .LBB580_367
; %bb.362:
	s_movk_i32 s8, 0x80
	v_cmp_ne_u16_e32 vcc, s8, v44
	v_bfrev_b32_e32 v23, 1
	s_and_saveexec_b64 s[8:9], vcc
	s_cbranch_execz .LBB580_366
; %bb.363:
	v_bfe_u32 v44, v24, 16, 7
	s_movk_i32 s10, 0x7f
	v_cmp_ne_u32_e32 vcc, s10, v44
	v_mov_b32_e32 v23, 0x7f800001
	s_and_saveexec_b64 s[10:11], vcc
	s_cbranch_execz .LBB580_365
; %bb.364:
	v_and_b32_e32 v45, 7, v22
	v_ffbh_u32_e32 v23, v45
	v_min_u32_e32 v53, 32, v23
	v_subrev_u32_e32 v23, 28, v53
	v_lshlrev_b64 v[22:23], v23, v[22:23]
	v_lshrrev_b32_e32 v52, 3, v44
	v_sub_u32_e32 v23, 29, v53
	v_and_b32_e32 v22, 7, v22
	v_cmp_gt_u32_e32 vcc, 8, v44
	v_mov_b32_e32 v44, 24
	v_cndmask_b32_e32 v23, v52, v23, vcc
	v_cndmask_b32_e32 v22, v45, v22, vcc
	v_lshlrev_b32_sdwa v44, v44, v24 dst_sel:DWORD dst_unused:UNUSED_PAD src0_sel:DWORD src1_sel:WORD_1
	v_bfrev_b32_e32 v45, 60
	v_lshlrev_b32_e32 v22, 20, v22
	v_and_b32_e32 v44, 0x80000000, v44
	v_lshl_add_u32 v23, v23, 23, v45
	v_or3_b32 v23, v44, v23, v22
.LBB580_365:
	s_or_b64 exec, exec, s[10:11]
.LBB580_366:
	s_or_b64 exec, exec, s[8:9]
.LBB580_367:
	s_or_b64 exec, exec, s[2:3]
	s_mov_b32 s2, 0xffffff
	v_cmp_lt_u32_e32 vcc, s2, v24
	v_mov_b32_e32 v45, 0
	v_mov_b32_e32 v52, 0
	s_and_saveexec_b64 s[2:3], vcc
	s_cbranch_execz .LBB580_373
; %bb.368:
	v_lshrrev_b32_e32 v22, 24, v24
	s_movk_i32 s8, 0x80
	v_cmp_ne_u32_e32 vcc, s8, v22
	v_bfrev_b32_e32 v52, 1
	s_and_saveexec_b64 s[8:9], vcc
	s_cbranch_execz .LBB580_372
; %bb.369:
	v_bfe_u32 v24, v24, 24, 7
	s_movk_i32 s10, 0x7f
	v_cmp_ne_u32_e32 vcc, s10, v24
	v_mov_b32_e32 v52, 0x7f800001
	s_and_saveexec_b64 s[10:11], vcc
	s_cbranch_execz .LBB580_371
; %bb.370:
	v_and_b32_e32 v44, 7, v22
	v_ffbh_u32_e32 v52, v44
	v_min_u32_e32 v55, 32, v52
	v_subrev_u32_e32 v52, 28, v55
	v_lshlrev_b64 v[52:53], v52, v[22:23]
	v_lshrrev_b32_e32 v54, 3, v24
	v_sub_u32_e32 v53, 29, v55
	v_and_b32_e32 v52, 7, v52
	v_cmp_gt_u32_e32 vcc, 8, v24
	v_cndmask_b32_e32 v24, v54, v53, vcc
	v_cndmask_b32_e32 v44, v44, v52, vcc
	v_lshlrev_b32_e32 v22, 24, v22
	v_bfrev_b32_e32 v52, 60
	v_lshlrev_b32_e32 v44, 20, v44
	v_and_b32_e32 v22, 0x80000000, v22
	v_lshl_add_u32 v24, v24, 23, v52
	v_or3_b32 v52, v22, v24, v44
.LBB580_371:
	s_or_b64 exec, exec, s[10:11]
.LBB580_372:
	s_or_b64 exec, exec, s[8:9]
.LBB580_373:
	s_or_b64 exec, exec, s[2:3]
	v_cmp_ne_u16_sdwa s[8:9], v25, v45 src0_sel:BYTE_0 src1_sel:DWORD
	s_and_saveexec_b64 s[2:3], s[8:9]
	s_cbranch_execz .LBB580_379
; %bb.374:
	s_movk_i32 s8, 0x80
	v_cmp_ne_u16_sdwa s[10:11], v25, s8 src0_sel:BYTE_0 src1_sel:DWORD
	v_bfrev_b32_e32 v45, 1
	s_and_saveexec_b64 s[8:9], s[10:11]
	s_cbranch_execz .LBB580_378
; %bb.375:
	s_movk_i32 s10, 0x7f
	v_and_b32_e32 v22, 0x7f, v25
	v_cmp_ne_u32_e32 vcc, s10, v22
	v_mov_b32_e32 v45, 0x7f800001
	s_and_saveexec_b64 s[10:11], vcc
	s_cbranch_execz .LBB580_377
; %bb.376:
	v_and_b32_e32 v53, 7, v25
	v_ffbh_u32_e32 v44, v53
	v_min_u32_e32 v55, 32, v44
	v_mov_b32_e32 v24, v25
	v_subrev_u32_e32 v44, 28, v55
	v_lshlrev_b64 v[44:45], v44, v[24:25]
	v_lshrrev_b32_e32 v54, 3, v22
	v_sub_u32_e32 v24, 29, v55
	v_and_b32_e32 v44, 7, v44
	v_cmp_gt_u32_e32 vcc, 8, v22
	v_cndmask_b32_e32 v22, v54, v24, vcc
	v_cndmask_b32_e32 v24, v53, v44, vcc
	v_lshlrev_b32_e32 v44, 24, v25
	v_bfrev_b32_e32 v45, 60
	v_lshlrev_b32_e32 v24, 20, v24
	v_and_b32_e32 v44, 0x80000000, v44
	v_lshl_add_u32 v22, v22, 23, v45
	v_or3_b32 v45, v44, v22, v24
.LBB580_377:
	s_or_b64 exec, exec, s[10:11]
.LBB580_378:
	s_or_b64 exec, exec, s[8:9]
.LBB580_379:
	s_or_b64 exec, exec, s[2:3]
	v_lshrrev_b16_e32 v22, 8, v25
	v_cmp_ne_u16_e32 vcc, 0, v22
	v_mov_b32_e32 v53, 0
	v_mov_b32_e32 v54, 0
	s_and_saveexec_b64 s[2:3], vcc
	s_cbranch_execz .LBB580_385
; %bb.380:
	s_movk_i32 s8, 0x80
	v_cmp_ne_u16_e32 vcc, s8, v22
	v_bfrev_b32_e32 v54, 1
	s_and_saveexec_b64 s[8:9], vcc
	s_cbranch_execz .LBB580_384
; %bb.381:
	s_movk_i32 s10, 0x7f
	v_and_b32_e32 v24, 0x7f, v22
	v_cmp_ne_u32_e32 vcc, s10, v24
	v_mov_b32_e32 v54, 0x7f800001
	s_and_saveexec_b64 s[10:11], vcc
	s_cbranch_execz .LBB580_383
; %bb.382:
	v_and_b32_e32 v44, 7, v22
	v_ffbh_u32_e32 v54, v44
	v_min_u32_e32 v57, 32, v54
	v_subrev_u32_e32 v54, 28, v57
	v_lshlrev_b64 v[54:55], v54, v[22:23]
	v_lshrrev_b32_e32 v56, 3, v24
	v_sub_u32_e32 v22, 29, v57
	v_and_b32_e32 v54, 7, v54
	v_cmp_gt_u32_e32 vcc, 8, v24
	v_cndmask_b32_e32 v22, v56, v22, vcc
	v_cndmask_b32_e32 v24, v44, v54, vcc
	v_lshlrev_b32_e32 v44, 16, v25
	v_bfrev_b32_e32 v54, 60
	v_lshlrev_b32_e32 v24, 20, v24
	v_and_b32_e32 v44, 0x80000000, v44
	v_lshl_add_u32 v22, v22, 23, v54
	v_or3_b32 v54, v44, v22, v24
.LBB580_383:
	s_or_b64 exec, exec, s[10:11]
.LBB580_384:
	s_or_b64 exec, exec, s[8:9]
.LBB580_385:
	s_or_b64 exec, exec, s[2:3]
	s_movk_i32 s2, 0xff
	v_and_b32_sdwa v24, v25, s2 dst_sel:DWORD dst_unused:UNUSED_PAD src0_sel:WORD_1 src1_sel:DWORD
	v_lshrrev_b32_e32 v22, 16, v25
	v_cmp_ne_u16_e32 vcc, 0, v24
	s_and_saveexec_b64 s[2:3], vcc
	s_cbranch_execz .LBB580_391
; %bb.386:
	s_movk_i32 s8, 0x80
	v_cmp_ne_u16_e32 vcc, s8, v24
	v_bfrev_b32_e32 v53, 1
	s_and_saveexec_b64 s[8:9], vcc
	s_cbranch_execz .LBB580_390
; %bb.387:
	v_bfe_u32 v24, v25, 16, 7
	s_movk_i32 s10, 0x7f
	v_cmp_ne_u32_e32 vcc, s10, v24
	v_mov_b32_e32 v53, 0x7f800001
	s_and_saveexec_b64 s[10:11], vcc
	s_cbranch_execz .LBB580_389
; %bb.388:
	v_and_b32_e32 v44, 7, v22
	v_ffbh_u32_e32 v55, v44
	v_min_u32_e32 v55, 32, v55
	v_subrev_u32_e32 v56, 28, v55
	v_lshlrev_b64 v[56:57], v56, v[22:23]
	v_sub_u32_e32 v22, 29, v55
	v_and_b32_e32 v55, 7, v56
	v_cmp_gt_u32_e32 vcc, 8, v24
	v_lshrrev_b32_e32 v53, 3, v24
	v_cndmask_b32_e32 v24, v44, v55, vcc
	v_mov_b32_e32 v44, 24
	v_cndmask_b32_e32 v22, v53, v22, vcc
	v_lshlrev_b32_sdwa v44, v44, v25 dst_sel:DWORD dst_unused:UNUSED_PAD src0_sel:DWORD src1_sel:WORD_1
	v_bfrev_b32_e32 v53, 60
	v_lshlrev_b32_e32 v24, 20, v24
	v_and_b32_e32 v44, 0x80000000, v44
	v_lshl_add_u32 v22, v22, 23, v53
	v_or3_b32 v53, v44, v22, v24
.LBB580_389:
	s_or_b64 exec, exec, s[10:11]
.LBB580_390:
	s_or_b64 exec, exec, s[8:9]
.LBB580_391:
	s_or_b64 exec, exec, s[2:3]
	s_mov_b32 s2, 0xffffff
	v_and_b32_e32 v44, 63, v0
	v_cmp_lt_u32_e32 vcc, s2, v25
	v_mov_b32_e32 v55, 0
	s_and_saveexec_b64 s[2:3], vcc
	s_cbranch_execz .LBB580_397
; %bb.392:
	v_lshrrev_b32_e32 v22, 24, v25
	s_movk_i32 s8, 0x80
	v_cmp_ne_u32_e32 vcc, s8, v22
	v_bfrev_b32_e32 v55, 1
	s_and_saveexec_b64 s[8:9], vcc
	s_cbranch_execz .LBB580_396
; %bb.393:
	v_bfe_u32 v24, v25, 24, 7
	s_movk_i32 s10, 0x7f
	v_cmp_ne_u32_e32 vcc, s10, v24
	v_mov_b32_e32 v55, 0x7f800001
	s_and_saveexec_b64 s[10:11], vcc
	s_cbranch_execz .LBB580_395
; %bb.394:
	v_and_b32_e32 v25, 7, v22
	v_ffbh_u32_e32 v56, v25
	v_min_u32_e32 v58, 32, v56
	v_subrev_u32_e32 v56, 28, v58
	v_lshlrev_b64 v[56:57], v56, v[22:23]
	v_lshrrev_b32_e32 v55, 3, v24
	v_sub_u32_e32 v57, 29, v58
	v_and_b32_e32 v56, 7, v56
	v_cmp_gt_u32_e32 vcc, 8, v24
	v_cndmask_b32_e32 v24, v55, v57, vcc
	v_cndmask_b32_e32 v25, v25, v56, vcc
	v_lshlrev_b32_e32 v22, 24, v22
	v_bfrev_b32_e32 v55, 60
	v_lshlrev_b32_e32 v25, 20, v25
	v_and_b32_e32 v22, 0x80000000, v22
	v_lshl_add_u32 v24, v24, 23, v55
	v_or3_b32 v55, v22, v24, v25
.LBB580_395:
	s_or_b64 exec, exec, s[10:11]
.LBB580_396:
	s_or_b64 exec, exec, s[8:9]
.LBB580_397:
	s_or_b64 exec, exec, s[2:3]
	v_cvt_pkrtz_f16_f32 v42, v42, v43
	v_cvt_pkrtz_f16_f32 v43, v23, v52
	s_load_dword s2, s[4:5], 0x1c
	s_mov_b32 s46, 0xff7fffff
	s_waitcnt lgkmcnt(0)
	v_mfma_f32_16x16x16f16 v[26:29], v[42:43], v[18:19], v[26:29]
	v_cvt_pkrtz_f16_f32 v18, v45, v54
	v_cvt_pkrtz_f16_f32 v19, v53, v55
	v_mov_b32_e32 v22, s2
	v_mul_f32_e32 v52, s12, v22
	v_pk_mul_f32 v[22:23], v[52:53], v[32:33] op_sel_hi:[0,1]
	v_pk_mul_f32 v[32:33], v[52:53], v[38:39] op_sel_hi:[0,1]
	v_and_b32_e32 v38, 0xc0, v0
	v_mfma_f32_16x16x16f16 v[26:29], v[18:19], v[20:21], v[26:29]
	v_add_u32_e32 v38, s18, v38
	v_lshl_or_b32 v38, v1, 2, v38
	v_or_b32_e32 v39, 1, v38
	v_pk_mul_f32 v[24:25], v[52:53], v[30:31] op_sel_hi:[0,1]
	v_pk_mul_f32 v[30:31], v[52:53], v[40:41] op_sel_hi:[0,1]
	v_subrev_u32_e32 v40, s33, v39
	v_pk_mul_f32 v[34:35], v[52:53], v[34:35] op_sel_hi:[0,1]
	s_nop 3
	v_pk_mul_f32 v[20:21], v[52:53], v[26:27] op_sel_hi:[0,1]
	v_add_u32_e32 v27, 1, v40
	v_pk_mul_f32 v[18:19], v[52:53], v[28:29] op_sel_hi:[0,1]
	v_cvt_f32_i32_e32 v27, v27
	v_add_u32_e32 v29, 3, v40
	v_cvt_f32_i32_e32 v29, v29
	v_cvt_f32_i32_e32 v26, v40
	v_pk_mul_f32 v[36:37], v[52:53], v[36:37] op_sel_hi:[0,1]
	v_fmac_f32_e32 v35, v51, v27
	v_add_u32_e32 v27, 16, v40
	v_fmac_f32_e32 v37, v51, v29
	v_cvt_f32_i32_e32 v27, v27
	v_add_u32_e32 v29, 17, v40
	v_fma_f32 v26, v51, v26, v34
	v_cvt_f32_i32_e32 v29, v29
	v_add_u32_e32 v34, 18, v40
	v_cvt_f32_i32_e32 v34, v34
	v_fma_f32 v41, v51, v27, v32
	v_add_u32_e32 v27, 32, v40
	v_fmac_f32_e32 v33, v51, v29
	v_cvt_f32_i32_e32 v27, v27
	v_add_u32_e32 v29, 33, v40
	v_add_u32_e32 v32, 34, v40
	v_fma_f32 v30, v51, v34, v30
	v_cvt_f32_i32_e32 v29, v29
	v_cvt_f32_i32_e32 v32, v32
	v_add_u32_e32 v34, 35, v40
	v_cvt_f32_i32_e32 v34, v34
	v_fma_f32 v24, v51, v27, v24
	v_add_u32_e32 v27, 48, v40
	v_fmac_f32_e32 v25, v51, v29
	v_fma_f32 v22, v51, v32, v22
	v_cvt_f32_i32_e32 v27, v27
	v_add_u32_e32 v29, 49, v40
	v_add_u32_e32 v32, 50, v40
	v_fmac_f32_e32 v23, v51, v34
	v_cvt_f32_i32_e32 v29, v29
	v_cvt_f32_i32_e32 v32, v32
	v_add_u32_e32 v34, 51, v40
	v_add_u32_e32 v28, 2, v40
	v_cvt_f32_i32_e32 v34, v34
	v_cvt_f32_i32_e32 v28, v28
	v_fma_f32 v20, v51, v27, v20
	v_mov_b32_e32 v27, 0xff7fffff
	v_cmp_gt_i32_e64 s[26:27], s33, v38
	v_cmp_gt_i32_e64 s[28:29], s33, v39
	v_fmac_f32_e32 v21, v51, v29
	v_fma_f32 v18, v51, v32, v18
	v_cndmask_b32_e64 v29, v27, v26, s[26:27]
	v_cndmask_b32_e64 v32, v27, v35, s[28:29]
	v_fmac_f32_e32 v19, v51, v34
	v_max3_f32 v29, v29, s46, v32
	v_or_b32_e32 v32, 2, v38
	v_or_b32_e32 v34, 3, v38
	v_fma_f32 v28, v51, v28, v36
	v_cmp_gt_i32_e64 s[30:31], s33, v32
	v_cmp_gt_i32_e64 s[34:35], s33, v34
	v_add_u32_e32 v36, 19, v40
	v_cndmask_b32_e64 v32, v27, v28, s[30:31]
	v_cndmask_b32_e64 v34, v27, v37, s[34:35]
	v_cvt_f32_i32_e32 v36, v36
	v_max3_f32 v29, v29, v32, v34
	v_or_b32_e32 v32, 16, v38
	v_or_b32_e32 v34, 17, v38
	v_cmp_gt_i32_e64 s[36:37], s33, v32
	v_cmp_gt_i32_e64 s[38:39], s33, v34
	v_cndmask_b32_e64 v32, v27, v41, s[36:37]
	v_cndmask_b32_e64 v34, v27, v33, s[38:39]
	v_max3_f32 v29, v29, v32, v34
	v_or_b32_e32 v32, 18, v38
	v_or_b32_e32 v34, 19, v38
	v_fmac_f32_e32 v31, v51, v36
	v_cmp_gt_i32_e64 s[20:21], s33, v32
	v_cmp_gt_i32_e64 s[22:23], s33, v34
	v_cndmask_b32_e64 v32, v27, v30, s[20:21]
	v_cndmask_b32_e64 v34, v27, v31, s[22:23]
	v_max3_f32 v29, v29, v32, v34
	v_or_b32_e32 v32, 32, v38
	v_or_b32_e32 v34, 33, v38
	v_cmp_gt_i32_e64 s[16:17], s33, v32
	v_cmp_gt_i32_e64 s[18:19], s33, v34
	v_cndmask_b32_e64 v32, v27, v24, s[16:17]
	v_cndmask_b32_e64 v34, v27, v25, s[18:19]
	v_max3_f32 v29, v29, v32, v34
	v_or_b32_e32 v32, 34, v38
	v_or_b32_e32 v34, 35, v38
	;; [unrolled: 7-line block ×4, first 2 shown]
	v_cmp_gt_i32_e32 vcc, s33, v32
	v_cmp_gt_i32_e64 s[2:3], s33, v34
	v_cndmask_b32_e32 v32, v27, v18, vcc
	v_cndmask_b32_e64 v27, v27, v19, s[2:3]
	v_max3_f32 v27, v29, v32, v27
	v_mbcnt_lo_u32_b32 v29, -1, 0
	v_mbcnt_hi_u32_b32 v29, -1, v29
	v_and_b32_e32 v32, 64, v29
	v_add_u32_e32 v32, 64, v32
	v_xor_b32_e32 v34, 32, v29
	v_cmp_lt_i32_e64 s[40:41], v34, v32
	v_cndmask_b32_e64 v34, v29, v34, s[40:41]
	v_lshlrev_b32_e32 v36, 2, v34
	ds_bpermute_b32 v34, v36, v27
	s_barrier
	s_waitcnt lgkmcnt(0)
	v_max_f32_e32 v34, v34, v34
	v_max_f32_e32 v27, v27, v34
	v_xor_b32_e32 v34, 16, v29
	v_cmp_lt_i32_e64 s[40:41], v34, v32
	v_cndmask_b32_e64 v29, v29, v34, s[40:41]
	v_lshlrev_b32_e32 v38, 2, v29
	ds_bpermute_b32 v29, v38, v27
	s_waitcnt lgkmcnt(0)
	v_max_f32_e32 v29, v29, v29
	v_max_f32_e32 v32, v27, v29
	v_sub_f32_e32 v26, v26, v32
	v_mul_f32_e32 v26, 0x3fb8aa3b, v26
	v_sub_f32_e32 v27, v35, v32
	v_exp_f32_e32 v26, v26
	v_mul_f32_e32 v27, 0x3fb8aa3b, v27
	v_sub_f32_e32 v28, v28, v32
	v_exp_f32_e32 v27, v27
	v_mul_f32_e32 v28, 0x3fb8aa3b, v28
	v_exp_f32_e32 v28, v28
	v_cndmask_b32_e64 v26, 0, v26, s[26:27]
	v_sub_f32_e32 v34, v37, v32
	v_add_f32_e32 v29, 0, v26
	v_cndmask_b32_e64 v27, 0, v27, s[28:29]
	v_mul_f32_e32 v34, 0x3fb8aa3b, v34
	v_exp_f32_e32 v35, v34
	v_add_f32_e32 v29, v29, v27
	v_cndmask_b32_e64 v34, 0, v28, s[30:31]
	v_add_f32_e32 v28, v29, v34
	v_sub_f32_e32 v29, v41, v32
	v_mul_f32_e32 v29, 0x3fb8aa3b, v29
	v_sub_f32_e32 v33, v33, v32
	v_exp_f32_e32 v29, v29
	v_mul_f32_e32 v33, 0x3fb8aa3b, v33
	v_sub_f32_e32 v30, v30, v32
	v_exp_f32_e32 v33, v33
	v_mul_f32_e32 v30, 0x3fb8aa3b, v30
	v_sub_f32_e32 v31, v31, v32
	v_exp_f32_e32 v30, v30
	v_mul_f32_e32 v31, 0x3fb8aa3b, v31
	v_sub_f32_e32 v24, v24, v32
	v_cndmask_b32_e64 v35, 0, v35, s[34:35]
	v_exp_f32_e32 v31, v31
	v_mul_f32_e32 v24, 0x3fb8aa3b, v24
	v_sub_f32_e32 v25, v25, v32
	v_add_f32_e32 v37, v28, v35
	v_cndmask_b32_e64 v28, 0, v29, s[36:37]
	v_exp_f32_e32 v24, v24
	v_mul_f32_e32 v25, 0x3fb8aa3b, v25
	v_sub_f32_e32 v22, v22, v32
	v_add_f32_e32 v37, v37, v28
	;; [unrolled: 5-line block ×7, first 2 shown]
	v_cndmask_b32_e64 v22, 0, v22, s[12:13]
	v_exp_f32_e32 v18, v18
	v_mul_f32_e32 v19, 0x3fb8aa3b, v19
	v_add_f32_e32 v33, v33, v22
	v_cndmask_b32_e64 v23, 0, v23, s[14:15]
	v_exp_f32_e32 v19, v19
	v_add_f32_e32 v33, v33, v23
	v_cndmask_b32_e64 v20, 0, v20, s[8:9]
	v_add_f32_e32 v33, v33, v20
	v_cndmask_b32_e64 v21, 0, v21, s[10:11]
	v_add_f32_e32 v33, v33, v21
	v_cndmask_b32_e32 v18, 0, v18, vcc
	v_add_f32_e32 v33, v33, v18
	v_cndmask_b32_e64 v19, 0, v19, s[2:3]
	v_add_f32_e32 v33, v33, v19
	ds_bpermute_b32 v36, v36, v33
	v_cmp_gt_u32_e32 vcc, 16, v44
	s_waitcnt lgkmcnt(0)
	v_add_f32_e32 v33, v33, v36
	ds_bpermute_b32 v37, v38, v33
	v_lshlrev_b32_e32 v36, 2, v49
	s_and_saveexec_b64 s[2:3], vcc
	s_cbranch_execz .LBB580_399
; %bb.398:
	s_waitcnt lgkmcnt(0)
	v_add_f32_e32 v33, v33, v37
	v_lshl_or_b32 v37, v50, 6, v36
	ds_write2st64_b32 v37, v32, v33 offset1:1
.LBB580_399:
	s_or_b64 exec, exec, s[2:3]
	s_waitcnt lgkmcnt(0)
	s_barrier
	ds_read2_b32 v[38:39], v36 offset1:16
	ds_read2_b32 v[40:41], v36 offset0:32 offset1:48
	ds_read2_b32 v[42:43], v36 offset0:64 offset1:80
	s_mul_i32 s12, s45, 7
	s_waitcnt lgkmcnt(2)
	v_max3_f32 v32, v38, s46, v39
	s_waitcnt lgkmcnt(1)
	v_max3_f32 v33, v32, v40, v41
	v_sub_f32_e32 v32, v38, v33
	v_mul_f32_e32 v32, 0x3fb8aa3b, v32
	v_exp_f32_e32 v37, v32
	v_sub_f32_e32 v32, v39, v33
	v_mul_f32_e32 v32, 0x3fb8aa3b, v32
	v_exp_f32_e32 v44, v32
	;; [unrolled: 3-line block ×3, first 2 shown]
	ds_read2_b32 v[38:39], v36 offset0:96 offset1:112
	v_sub_f32_e32 v32, v41, v33
	v_mul_f32_e32 v32, 0x3fb8aa3b, v32
	v_exp_f32_e32 v41, v32
	s_waitcnt lgkmcnt(1)
	v_fma_f32 v36, v37, v42, 0
	v_fmac_f32_e32 v36, v44, v43
	s_waitcnt lgkmcnt(0)
	v_fmac_f32_e32 v36, v40, v38
	v_fmac_f32_e32 v36, v41, v39
	v_add_f32_e32 v38, 0x358637bd, v36
	v_div_scale_f32 v39, s[2:3], v38, v38, 1.0
	v_rcp_f32_e32 v42, v39
	s_barrier
	v_fma_f32 v43, -v39, v42, 1.0
	v_fmac_f32_e32 v42, v43, v42
	v_div_scale_f32 v43, vcc, 1.0, v38, 1.0
	v_mul_f32_e32 v45, v43, v42
	v_fma_f32 v51, -v39, v45, v43
	v_fmac_f32_e32 v45, v51, v42
	v_fma_f32 v39, -v39, v45, v43
	v_div_fmas_f32 v39, v39, v42, v45
	v_cmp_eq_u32_e32 vcc, 1, v50
	v_cndmask_b32_e32 v37, v37, v44, vcc
	v_cmp_eq_u32_e32 vcc, 2, v50
	v_cndmask_b32_e32 v37, v37, v40, vcc
	v_cmp_eq_u32_e32 vcc, 3, v50
	v_div_fixup_f32 v38, v39, v38, 1.0
	v_cndmask_b32_e32 v37, v37, v41, vcc
	v_mul_f32_e32 v38, v37, v38
	v_pk_mul_f32 v[26:27], v[38:39], v[26:27] op_sel_hi:[0,1]
	v_cvt_f16_f32_e32 v26, v26
	v_cvt_f16_f32_e32 v27, v27
	v_pk_mul_f32 v[34:35], v[38:39], v[34:35] op_sel_hi:[0,1]
	v_cvt_f16_f32_e32 v37, v34
	v_cvt_f16_f32_e32 v35, v35
	v_pack_b32_f16 v34, v26, v27
	v_pk_mul_f32 v[26:27], v[38:39], v[30:31] op_sel_hi:[0,1]
	v_pk_mul_f32 v[28:29], v[38:39], v[28:29] op_sel_hi:[0,1]
	v_cvt_f16_f32_e32 v28, v28
	v_cvt_f16_f32_e32 v29, v29
	v_cvt_f16_f32_e32 v30, v26
	v_cvt_f16_f32_e32 v27, v27
	v_pack_b32_f16 v35, v37, v35
	v_lshlrev_b32_e32 v37, 3, v1
	v_lshlrev_b32_e32 v26, 11, v50
	v_or3_b32 v26, v26, v48, v37
	v_pack_b32_f16 v28, v28, v29
	v_pack_b32_f16 v29, v30, v27
	v_pk_mul_f32 v[22:23], v[38:39], v[22:23] op_sel_hi:[0,1]
	v_pk_mul_f32 v[24:25], v[38:39], v[24:25] op_sel_hi:[0,1]
	;; [unrolled: 1-line block ×4, first 2 shown]
	ds_write2st64_b64 v26, v[34:35], v[28:29] offset1:1
	v_cvt_f16_f32_e32 v24, v24
	v_cvt_f16_f32_e32 v25, v25
	;; [unrolled: 1-line block ×8, first 2 shown]
	v_mov_b32_e32 v32, 0
	v_pack_b32_f16 v18, v24, v25
	v_pack_b32_f16 v19, v22, v23
	;; [unrolled: 1-line block ×4, first 2 shown]
	v_cmp_gt_u32_e32 vcc, 7, v0
	ds_write2st64_b64 v26, v[18:19], v[20:21] offset0:2 offset1:3
	s_and_saveexec_b64 s[2:3], vcc
	s_cbranch_execz .LBB580_401
; %bb.400:
	v_add_co_u32_e32 v20, vcc, s25, v49
	v_addc_co_u32_e64 v21, s[14:15], 0, 0, vcc
	v_mov_b32_e32 v18, s12
	v_mov_b32_e32 v19, 0
	v_mad_u64_u32 v[20:21], s[14:15], s6, v18, v[20:21]
	v_mov_b32_e32 v18, s24
	s_load_dwordx4 s[8:11], s[4:5], 0x58
	s_mul_i32 s7, s7, s12
	v_mad_u64_u32 v[18:19], s[14:15], v20, s44, v[18:19]
	v_add_u32_e32 v21, s7, v21
	v_mov_b32_e32 v20, v19
	v_mad_u64_u32 v[20:21], s[14:15], v21, s44, v[20:21]
	v_mov_b32_e32 v19, v20
	v_lshlrev_b64 v[18:19], 2, v[18:19]
	s_waitcnt lgkmcnt(0)
	v_mov_b32_e32 v21, s11
	v_add_co_u32_e32 v20, vcc, s10, v18
	v_addc_co_u32_e32 v21, vcc, v21, v19, vcc
	global_store_dword v[20:21], v33, off
	v_mov_b32_e32 v20, s9
	v_add_co_u32_e32 v18, vcc, s8, v18
	v_addc_co_u32_e32 v19, vcc, v20, v19, vcc
	global_store_dword v[18:19], v36, off
.LBB580_401:
	s_or_b64 exec, exec, s[2:3]
	v_mov_b32_e32 v19, 0
	s_waitcnt vmcnt(3)
	v_cmp_ne_u16_sdwa s[8:9], v14, v19 src0_sel:BYTE_0 src1_sel:DWORD
	s_waitcnt lgkmcnt(0)
	s_barrier
	s_and_saveexec_b64 s[2:3], s[8:9]
	s_cbranch_execz .LBB580_407
; %bb.402:
	s_movk_i32 s7, 0x80
	v_cmp_ne_u16_sdwa s[10:11], v14, s7 src0_sel:BYTE_0 src1_sel:DWORD
	v_bfrev_b32_e32 v32, 1
	s_and_saveexec_b64 s[8:9], s[10:11]
	s_cbranch_execz .LBB580_406
; %bb.403:
	s_movk_i32 s7, 0x7f
	v_and_b32_e32 v18, 0x7f, v14
	v_cmp_ne_u32_e32 vcc, s7, v18
	v_mov_b32_e32 v32, 0x7f800001
	s_and_saveexec_b64 s[10:11], vcc
	s_cbranch_execz .LBB580_405
; %bb.404:
	v_and_b32_e32 v22, 7, v14
	v_ffbh_u32_e32 v20, v22
	v_min_u32_e32 v24, 32, v20
	v_subrev_u32_e32 v20, 28, v24
	v_lshlrev_b64 v[20:21], v20, v[14:15]
	v_lshrrev_b32_e32 v23, 3, v18
	v_sub_u32_e32 v21, 29, v24
	v_and_b32_e32 v20, 7, v20
	v_cmp_gt_u32_e32 vcc, 8, v18
	v_cndmask_b32_e32 v18, v23, v21, vcc
	v_cndmask_b32_e32 v20, v22, v20, vcc
	v_lshlrev_b32_e32 v21, 24, v14
	v_bfrev_b32_e32 v22, 60
	v_lshlrev_b32_e32 v20, 20, v20
	v_and_b32_e32 v21, 0x80000000, v21
	v_lshl_add_u32 v18, v18, 23, v22
	v_or3_b32 v32, v21, v18, v20
.LBB580_405:
	s_or_b64 exec, exec, s[10:11]
.LBB580_406:
	s_or_b64 exec, exec, s[8:9]
.LBB580_407:
	s_or_b64 exec, exec, s[2:3]
	v_lshrrev_b16_e32 v18, 8, v14
	v_cmp_ne_u16_e32 vcc, 0, v18
	v_mov_b32_e32 v20, 0
	s_and_saveexec_b64 s[2:3], vcc
	s_cbranch_execz .LBB580_413
; %bb.408:
	s_movk_i32 s7, 0x80
	v_cmp_ne_u16_e32 vcc, s7, v18
	v_bfrev_b32_e32 v20, 1
	s_and_saveexec_b64 s[8:9], vcc
	s_cbranch_execz .LBB580_412
; %bb.409:
	s_movk_i32 s7, 0x7f
	v_and_b32_e32 v21, 0x7f, v18
	v_cmp_ne_u32_e32 vcc, s7, v21
	v_mov_b32_e32 v20, 0x7f800001
	s_and_saveexec_b64 s[10:11], vcc
	s_cbranch_execz .LBB580_411
; %bb.410:
	v_and_b32_e32 v20, 7, v18
	v_ffbh_u32_e32 v22, v20
	v_min_u32_e32 v25, 32, v22
	v_subrev_u32_e32 v22, 28, v25
	v_lshlrev_b64 v[22:23], v22, v[18:19]
	v_lshrrev_b32_e32 v24, 3, v21
	v_sub_u32_e32 v18, 29, v25
	v_and_b32_e32 v22, 7, v22
	v_cmp_gt_u32_e32 vcc, 8, v21
	v_cndmask_b32_e32 v18, v24, v18, vcc
	v_cndmask_b32_e32 v20, v20, v22, vcc
	v_lshlrev_b32_e32 v21, 16, v14
	v_bfrev_b32_e32 v22, 60
	v_lshlrev_b32_e32 v20, 20, v20
	v_and_b32_e32 v21, 0x80000000, v21
	v_lshl_add_u32 v18, v18, 23, v22
	v_or3_b32 v20, v21, v18, v20
.LBB580_411:
	s_or_b64 exec, exec, s[10:11]
.LBB580_412:
	s_or_b64 exec, exec, s[8:9]
.LBB580_413:
	s_or_b64 exec, exec, s[2:3]
	s_movk_i32 s2, 0xff
	v_and_b32_sdwa v21, v14, s2 dst_sel:DWORD dst_unused:UNUSED_PAD src0_sel:WORD_1 src1_sel:DWORD
	v_lshrrev_b32_e32 v18, 16, v14
	v_cmp_ne_u16_e32 vcc, 0, v21
	s_and_saveexec_b64 s[2:3], vcc
	s_cbranch_execz .LBB580_419
; %bb.414:
	s_movk_i32 s7, 0x80
	v_cmp_ne_u16_e32 vcc, s7, v21
	v_bfrev_b32_e32 v19, 1
	s_and_saveexec_b64 s[8:9], vcc
	s_cbranch_execz .LBB580_418
; %bb.415:
	v_bfe_u32 v21, v14, 16, 7
	s_movk_i32 s7, 0x7f
	v_cmp_ne_u32_e32 vcc, s7, v21
	v_mov_b32_e32 v19, 0x7f800001
	s_and_saveexec_b64 s[10:11], vcc
	s_cbranch_execz .LBB580_417
; %bb.416:
	v_and_b32_e32 v22, 7, v18
	v_ffbh_u32_e32 v19, v22
	v_min_u32_e32 v24, 32, v19
	v_subrev_u32_e32 v19, 28, v24
	v_lshlrev_b64 v[18:19], v19, v[18:19]
	v_lshrrev_b32_e32 v23, 3, v21
	v_sub_u32_e32 v19, 29, v24
	v_and_b32_e32 v18, 7, v18
	v_cmp_gt_u32_e32 vcc, 8, v21
	v_mov_b32_e32 v21, 24
	v_cndmask_b32_e32 v19, v23, v19, vcc
	v_cndmask_b32_e32 v18, v22, v18, vcc
	v_lshlrev_b32_sdwa v21, v21, v14 dst_sel:DWORD dst_unused:UNUSED_PAD src0_sel:DWORD src1_sel:WORD_1
	v_bfrev_b32_e32 v22, 60
	v_lshlrev_b32_e32 v18, 20, v18
	v_and_b32_e32 v21, 0x80000000, v21
	v_lshl_add_u32 v19, v19, 23, v22
	v_or3_b32 v19, v21, v19, v18
.LBB580_417:
	s_or_b64 exec, exec, s[10:11]
.LBB580_418:
	s_or_b64 exec, exec, s[8:9]
.LBB580_419:
	s_or_b64 exec, exec, s[2:3]
	s_mov_b32 s2, 0xffffff
	v_cmp_lt_u32_e32 vcc, s2, v14
	v_mov_b32_e32 v21, 0
	v_mov_b32_e32 v22, 0
	s_and_saveexec_b64 s[2:3], vcc
	s_cbranch_execz .LBB580_425
; %bb.420:
	v_lshrrev_b32_e32 v18, 24, v14
	s_movk_i32 s7, 0x80
	v_cmp_ne_u32_e32 vcc, s7, v18
	v_bfrev_b32_e32 v22, 1
	s_and_saveexec_b64 s[8:9], vcc
	s_cbranch_execz .LBB580_424
; %bb.421:
	v_bfe_u32 v14, v14, 24, 7
	s_movk_i32 s7, 0x7f
	v_cmp_ne_u32_e32 vcc, s7, v14
	v_mov_b32_e32 v22, 0x7f800001
	s_and_saveexec_b64 s[10:11], vcc
	s_cbranch_execz .LBB580_423
; %bb.422:
	v_and_b32_e32 v24, 7, v18
	v_ffbh_u32_e32 v22, v24
	v_min_u32_e32 v27, 32, v22
	v_subrev_u32_e32 v22, 28, v27
	v_lshlrev_b64 v[22:23], v22, v[18:19]
	v_lshrrev_b32_e32 v25, 3, v14
	v_sub_u32_e32 v23, 29, v27
	v_and_b32_e32 v22, 7, v22
	v_cmp_gt_u32_e32 vcc, 8, v14
	v_cndmask_b32_e32 v14, v25, v23, vcc
	v_cndmask_b32_e32 v22, v24, v22, vcc
	v_lshlrev_b32_e32 v18, 24, v18
	v_bfrev_b32_e32 v23, 60
	v_lshlrev_b32_e32 v22, 20, v22
	v_and_b32_e32 v18, 0x80000000, v18
	v_lshl_add_u32 v14, v14, 23, v23
	v_or3_b32 v22, v18, v14, v22
.LBB580_423:
	s_or_b64 exec, exec, s[10:11]
.LBB580_424:
	s_or_b64 exec, exec, s[8:9]
.LBB580_425:
	s_or_b64 exec, exec, s[2:3]
	v_cmp_ne_u16_sdwa s[8:9], v15, v21 src0_sel:BYTE_0 src1_sel:DWORD
	s_and_saveexec_b64 s[2:3], s[8:9]
	s_cbranch_execz .LBB580_431
; %bb.426:
	s_movk_i32 s7, 0x80
	v_cmp_ne_u16_sdwa s[10:11], v15, s7 src0_sel:BYTE_0 src1_sel:DWORD
	v_bfrev_b32_e32 v21, 1
	s_and_saveexec_b64 s[8:9], s[10:11]
	s_cbranch_execz .LBB580_430
; %bb.427:
	s_movk_i32 s7, 0x7f
	v_and_b32_e32 v14, 0x7f, v15
	v_cmp_ne_u32_e32 vcc, s7, v14
	v_mov_b32_e32 v21, 0x7f800001
	s_and_saveexec_b64 s[10:11], vcc
	s_cbranch_execz .LBB580_429
; %bb.428:
	v_and_b32_e32 v21, 7, v15
	v_ffbh_u32_e32 v24, v21
	v_min_u32_e32 v27, 32, v24
	v_mov_b32_e32 v18, v15
	v_subrev_u32_e32 v24, 28, v27
	v_lshlrev_b64 v[24:25], v24, v[18:19]
	v_lshrrev_b32_e32 v23, 3, v14
	v_sub_u32_e32 v18, 29, v27
	v_and_b32_e32 v24, 7, v24
	v_cmp_gt_u32_e32 vcc, 8, v14
	v_cndmask_b32_e32 v14, v23, v18, vcc
	v_cndmask_b32_e32 v18, v21, v24, vcc
	v_lshlrev_b32_e32 v21, 24, v15
	v_bfrev_b32_e32 v23, 60
	v_lshlrev_b32_e32 v18, 20, v18
	v_and_b32_e32 v21, 0x80000000, v21
	v_lshl_add_u32 v14, v14, 23, v23
	v_or3_b32 v21, v21, v14, v18
.LBB580_429:
	s_or_b64 exec, exec, s[10:11]
.LBB580_430:
	s_or_b64 exec, exec, s[8:9]
.LBB580_431:
	s_or_b64 exec, exec, s[2:3]
	v_lshrrev_b16_e32 v14, 8, v15
	v_cmp_ne_u16_e32 vcc, 0, v14
	v_mov_b32_e32 v18, 0
	v_mov_b32_e32 v24, 0
	s_and_saveexec_b64 s[2:3], vcc
	s_cbranch_execz .LBB580_437
; %bb.432:
	s_movk_i32 s7, 0x80
	v_cmp_ne_u16_e32 vcc, s7, v14
	v_bfrev_b32_e32 v24, 1
	s_and_saveexec_b64 s[8:9], vcc
	s_cbranch_execz .LBB580_436
; %bb.433:
	s_movk_i32 s7, 0x7f
	v_and_b32_e32 v23, 0x7f, v14
	v_cmp_ne_u32_e32 vcc, s7, v23
	v_mov_b32_e32 v24, 0x7f800001
	s_and_saveexec_b64 s[10:11], vcc
	s_cbranch_execz .LBB580_435
; %bb.434:
	v_and_b32_e32 v27, 7, v14
	v_ffbh_u32_e32 v24, v27
	v_min_u32_e32 v29, 32, v24
	v_subrev_u32_e32 v24, 28, v29
	v_lshlrev_b64 v[24:25], v24, v[14:15]
	v_lshrrev_b32_e32 v28, 3, v23
	v_sub_u32_e32 v14, 29, v29
	v_and_b32_e32 v24, 7, v24
	v_cmp_gt_u32_e32 vcc, 8, v23
	v_cndmask_b32_e32 v14, v28, v14, vcc
	v_cndmask_b32_e32 v23, v27, v24, vcc
	v_lshlrev_b32_e32 v24, 16, v15
	v_bfrev_b32_e32 v25, 60
	v_lshlrev_b32_e32 v23, 20, v23
	v_and_b32_e32 v24, 0x80000000, v24
	v_lshl_add_u32 v14, v14, 23, v25
	v_or3_b32 v24, v24, v14, v23
.LBB580_435:
	s_or_b64 exec, exec, s[10:11]
.LBB580_436:
	s_or_b64 exec, exec, s[8:9]
.LBB580_437:
	s_or_b64 exec, exec, s[2:3]
	s_movk_i32 s2, 0xff
	v_and_b32_sdwa v23, v15, s2 dst_sel:DWORD dst_unused:UNUSED_PAD src0_sel:WORD_1 src1_sel:DWORD
	v_lshrrev_b32_e32 v14, 16, v15
	v_cmp_ne_u16_e32 vcc, 0, v23
	s_and_saveexec_b64 s[2:3], vcc
	s_cbranch_execz .LBB580_443
; %bb.438:
	s_movk_i32 s7, 0x80
	v_cmp_ne_u16_e32 vcc, s7, v23
	v_bfrev_b32_e32 v18, 1
	s_and_saveexec_b64 s[8:9], vcc
	s_cbranch_execz .LBB580_442
; %bb.439:
	v_bfe_u32 v23, v15, 16, 7
	s_movk_i32 s7, 0x7f
	v_cmp_ne_u32_e32 vcc, s7, v23
	v_mov_b32_e32 v18, 0x7f800001
	s_and_saveexec_b64 s[10:11], vcc
	s_cbranch_execz .LBB580_441
; %bb.440:
	v_and_b32_e32 v18, 7, v14
	v_ffbh_u32_e32 v27, v18
	v_min_u32_e32 v27, 32, v27
	v_subrev_u32_e32 v28, 28, v27
	v_lshlrev_b64 v[28:29], v28, v[14:15]
	v_lshrrev_b32_e32 v25, 3, v23
	v_sub_u32_e32 v14, 29, v27
	v_and_b32_e32 v27, 7, v28
	v_cmp_gt_u32_e32 vcc, 8, v23
	v_mov_b32_e32 v23, 24
	v_cndmask_b32_e32 v14, v25, v14, vcc
	v_cndmask_b32_e32 v18, v18, v27, vcc
	v_lshlrev_b32_sdwa v23, v23, v15 dst_sel:DWORD dst_unused:UNUSED_PAD src0_sel:DWORD src1_sel:WORD_1
	v_bfrev_b32_e32 v25, 60
	v_lshlrev_b32_e32 v18, 20, v18
	v_and_b32_e32 v23, 0x80000000, v23
	v_lshl_add_u32 v14, v14, 23, v25
	v_or3_b32 v18, v23, v14, v18
.LBB580_441:
	s_or_b64 exec, exec, s[10:11]
.LBB580_442:
	s_or_b64 exec, exec, s[8:9]
.LBB580_443:
	s_or_b64 exec, exec, s[2:3]
	s_mov_b32 s2, 0xffffff
	v_cmp_lt_u32_e32 vcc, s2, v15
	v_mov_b32_e32 v23, 0
	v_mov_b32_e32 v25, 0
	s_and_saveexec_b64 s[2:3], vcc
	s_cbranch_execz .LBB580_449
; %bb.444:
	v_lshrrev_b32_e32 v14, 24, v15
	s_movk_i32 s7, 0x80
	v_cmp_ne_u32_e32 vcc, s7, v14
	v_bfrev_b32_e32 v25, 1
	s_and_saveexec_b64 s[8:9], vcc
	s_cbranch_execz .LBB580_448
; %bb.445:
	v_bfe_u32 v15, v15, 24, 7
	s_movk_i32 s7, 0x7f
	v_cmp_ne_u32_e32 vcc, s7, v15
	v_mov_b32_e32 v25, 0x7f800001
	s_and_saveexec_b64 s[10:11], vcc
	s_cbranch_execz .LBB580_447
; %bb.446:
	v_and_b32_e32 v25, 7, v14
	v_ffbh_u32_e32 v28, v25
	v_min_u32_e32 v30, 32, v28
	v_subrev_u32_e32 v28, 28, v30
	v_lshlrev_b64 v[28:29], v28, v[14:15]
	v_lshrrev_b32_e32 v27, 3, v15
	v_sub_u32_e32 v29, 29, v30
	v_and_b32_e32 v28, 7, v28
	v_cmp_gt_u32_e32 vcc, 8, v15
	v_cndmask_b32_e32 v15, v27, v29, vcc
	v_cndmask_b32_e32 v25, v25, v28, vcc
	v_lshlrev_b32_e32 v14, 24, v14
	v_bfrev_b32_e32 v27, 60
	v_lshlrev_b32_e32 v25, 20, v25
	v_and_b32_e32 v14, 0x80000000, v14
	v_lshl_add_u32 v15, v15, 23, v27
	v_or3_b32 v25, v14, v15, v25
.LBB580_447:
	s_or_b64 exec, exec, s[10:11]
.LBB580_448:
	s_or_b64 exec, exec, s[8:9]
.LBB580_449:
	s_or_b64 exec, exec, s[2:3]
	v_cvt_pkrtz_f16_f32 v15, v19, v22
	v_lshl_or_b32 v22, v1, 9, v48
	v_cvt_pkrtz_f16_f32 v14, v32, v20
	ds_read_b128 v[28:31], v22
	v_cmp_ne_u16_sdwa s[8:9], v16, v23 src0_sel:BYTE_0 src1_sel:DWORD
	s_waitcnt lgkmcnt(0)
	v_mfma_f32_16x16x16f16 v[32:35], v[14:15], v[28:29], 0
	v_cvt_pkrtz_f16_f32 v14, v21, v24
	v_cvt_pkrtz_f16_f32 v15, v18, v25
	s_nop 1
	v_mfma_f32_16x16x16f16 v[18:21], v[14:15], v[30:31], v[32:35]
	s_and_saveexec_b64 s[2:3], s[8:9]
	s_cbranch_execz .LBB580_455
; %bb.450:
	s_movk_i32 s7, 0x80
	v_cmp_ne_u16_sdwa s[10:11], v16, s7 src0_sel:BYTE_0 src1_sel:DWORD
	v_bfrev_b32_e32 v23, 1
	s_and_saveexec_b64 s[8:9], s[10:11]
	s_cbranch_execz .LBB580_454
; %bb.451:
	s_movk_i32 s7, 0x7f
	v_and_b32_e32 v14, 0x7f, v16
	v_cmp_ne_u32_e32 vcc, s7, v14
	v_mov_b32_e32 v23, 0x7f800001
	s_and_saveexec_b64 s[10:11], vcc
	s_cbranch_execz .LBB580_453
; %bb.452:
	v_and_b32_e32 v15, 7, v16
	v_ffbh_u32_e32 v24, v15
	v_min_u32_e32 v27, 32, v24
	v_subrev_u32_e32 v24, 28, v27
	v_lshlrev_b64 v[24:25], v24, v[16:17]
	v_lshrrev_b32_e32 v23, 3, v14
	v_sub_u32_e32 v25, 29, v27
	v_and_b32_e32 v24, 7, v24
	v_cmp_gt_u32_e32 vcc, 8, v14
	v_cndmask_b32_e32 v14, v23, v25, vcc
	v_cndmask_b32_e32 v15, v15, v24, vcc
	v_lshlrev_b32_e32 v23, 24, v16
	v_bfrev_b32_e32 v24, 60
	v_lshlrev_b32_e32 v15, 20, v15
	v_and_b32_e32 v23, 0x80000000, v23
	v_lshl_add_u32 v14, v14, 23, v24
	v_or3_b32 v23, v23, v14, v15
.LBB580_453:
	s_or_b64 exec, exec, s[10:11]
.LBB580_454:
	s_or_b64 exec, exec, s[8:9]
.LBB580_455:
	s_or_b64 exec, exec, s[2:3]
	v_lshrrev_b16_e32 v14, 8, v16
	v_cmp_ne_u16_e32 vcc, 0, v14
	v_mov_b32_e32 v15, 0
	v_mov_b32_e32 v25, 0
	s_and_saveexec_b64 s[2:3], vcc
	s_cbranch_execz .LBB580_461
; %bb.456:
	s_movk_i32 s7, 0x80
	v_cmp_ne_u16_e32 vcc, s7, v14
	v_bfrev_b32_e32 v25, 1
	s_and_saveexec_b64 s[8:9], vcc
	s_cbranch_execz .LBB580_460
; %bb.457:
	s_movk_i32 s7, 0x7f
	v_and_b32_e32 v24, 0x7f, v14
	v_cmp_ne_u32_e32 vcc, s7, v24
	v_mov_b32_e32 v25, 0x7f800001
	s_and_saveexec_b64 s[10:11], vcc
	s_cbranch_execz .LBB580_459
; %bb.458:
	v_and_b32_e32 v25, 7, v14
	v_ffbh_u32_e32 v28, v25
	v_min_u32_e32 v30, 32, v28
	v_subrev_u32_e32 v28, 28, v30
	v_lshlrev_b64 v[28:29], v28, v[14:15]
	v_lshrrev_b32_e32 v27, 3, v24
	v_sub_u32_e32 v14, 29, v30
	v_and_b32_e32 v28, 7, v28
	v_cmp_gt_u32_e32 vcc, 8, v24
	v_cndmask_b32_e32 v14, v27, v14, vcc
	v_cndmask_b32_e32 v24, v25, v28, vcc
	v_lshlrev_b32_e32 v25, 16, v16
	v_bfrev_b32_e32 v27, 60
	v_lshlrev_b32_e32 v24, 20, v24
	v_and_b32_e32 v25, 0x80000000, v25
	v_lshl_add_u32 v14, v14, 23, v27
	v_or3_b32 v25, v25, v14, v24
.LBB580_459:
	s_or_b64 exec, exec, s[10:11]
.LBB580_460:
	s_or_b64 exec, exec, s[8:9]
.LBB580_461:
	s_or_b64 exec, exec, s[2:3]
	s_movk_i32 s2, 0xff
	v_and_b32_sdwa v24, v16, s2 dst_sel:DWORD dst_unused:UNUSED_PAD src0_sel:WORD_1 src1_sel:DWORD
	v_lshrrev_b32_e32 v14, 16, v16
	v_cmp_ne_u16_e32 vcc, 0, v24
	s_and_saveexec_b64 s[2:3], vcc
	s_cbranch_execz .LBB580_467
; %bb.462:
	s_movk_i32 s7, 0x80
	v_cmp_ne_u16_e32 vcc, s7, v24
	v_bfrev_b32_e32 v15, 1
	s_and_saveexec_b64 s[8:9], vcc
	s_cbranch_execz .LBB580_466
; %bb.463:
	v_bfe_u32 v24, v16, 16, 7
	s_movk_i32 s7, 0x7f
	v_cmp_ne_u32_e32 vcc, s7, v24
	v_mov_b32_e32 v15, 0x7f800001
	s_and_saveexec_b64 s[10:11], vcc
	s_cbranch_execz .LBB580_465
; %bb.464:
	v_and_b32_e32 v27, 7, v14
	v_ffbh_u32_e32 v15, v27
	v_min_u32_e32 v29, 32, v15
	v_subrev_u32_e32 v15, 28, v29
	v_lshlrev_b64 v[14:15], v15, v[14:15]
	v_lshrrev_b32_e32 v28, 3, v24
	v_sub_u32_e32 v15, 29, v29
	v_and_b32_e32 v14, 7, v14
	v_cmp_gt_u32_e32 vcc, 8, v24
	v_mov_b32_e32 v24, 24
	v_cndmask_b32_e32 v15, v28, v15, vcc
	v_cndmask_b32_e32 v14, v27, v14, vcc
	v_lshlrev_b32_sdwa v24, v24, v16 dst_sel:DWORD dst_unused:UNUSED_PAD src0_sel:DWORD src1_sel:WORD_1
	v_bfrev_b32_e32 v27, 60
	v_lshlrev_b32_e32 v14, 20, v14
	v_and_b32_e32 v24, 0x80000000, v24
	v_lshl_add_u32 v15, v15, 23, v27
	v_or3_b32 v15, v24, v15, v14
.LBB580_465:
	s_or_b64 exec, exec, s[10:11]
.LBB580_466:
	s_or_b64 exec, exec, s[8:9]
.LBB580_467:
	s_or_b64 exec, exec, s[2:3]
	s_mov_b32 s2, 0xffffff
	v_cmp_lt_u32_e32 vcc, s2, v16
	v_mov_b32_e32 v27, 0
	v_mov_b32_e32 v28, 0
	s_and_saveexec_b64 s[2:3], vcc
	s_cbranch_execz .LBB580_473
; %bb.468:
	v_lshrrev_b32_e32 v14, 24, v16
	s_movk_i32 s7, 0x80
	v_cmp_ne_u32_e32 vcc, s7, v14
	v_bfrev_b32_e32 v28, 1
	s_and_saveexec_b64 s[8:9], vcc
	s_cbranch_execz .LBB580_472
; %bb.469:
	v_bfe_u32 v16, v16, 24, 7
	s_movk_i32 s7, 0x7f
	v_cmp_ne_u32_e32 vcc, s7, v16
	v_mov_b32_e32 v28, 0x7f800001
	s_and_saveexec_b64 s[10:11], vcc
	s_cbranch_execz .LBB580_471
; %bb.470:
	v_and_b32_e32 v24, 7, v14
	v_ffbh_u32_e32 v28, v24
	v_min_u32_e32 v31, 32, v28
	v_subrev_u32_e32 v28, 28, v31
	v_lshlrev_b64 v[28:29], v28, v[14:15]
	v_lshrrev_b32_e32 v30, 3, v16
	v_sub_u32_e32 v29, 29, v31
	v_and_b32_e32 v28, 7, v28
	v_cmp_gt_u32_e32 vcc, 8, v16
	v_cndmask_b32_e32 v16, v30, v29, vcc
	v_cndmask_b32_e32 v24, v24, v28, vcc
	v_lshlrev_b32_e32 v14, 24, v14
	v_bfrev_b32_e32 v28, 60
	v_lshlrev_b32_e32 v24, 20, v24
	v_and_b32_e32 v14, 0x80000000, v14
	v_lshl_add_u32 v16, v16, 23, v28
	v_or3_b32 v28, v14, v16, v24
.LBB580_471:
	s_or_b64 exec, exec, s[10:11]
.LBB580_472:
	s_or_b64 exec, exec, s[8:9]
.LBB580_473:
	s_or_b64 exec, exec, s[2:3]
	v_cmp_ne_u16_sdwa s[8:9], v17, v27 src0_sel:BYTE_0 src1_sel:DWORD
	s_and_saveexec_b64 s[2:3], s[8:9]
	s_cbranch_execz .LBB580_479
; %bb.474:
	s_movk_i32 s7, 0x80
	v_cmp_ne_u16_sdwa s[10:11], v17, s7 src0_sel:BYTE_0 src1_sel:DWORD
	v_bfrev_b32_e32 v27, 1
	s_and_saveexec_b64 s[8:9], s[10:11]
	s_cbranch_execz .LBB580_478
; %bb.475:
	s_movk_i32 s7, 0x7f
	v_and_b32_e32 v14, 0x7f, v17
	v_cmp_ne_u32_e32 vcc, s7, v14
	v_mov_b32_e32 v27, 0x7f800001
	s_and_saveexec_b64 s[10:11], vcc
	s_cbranch_execz .LBB580_477
; %bb.476:
	v_and_b32_e32 v24, 7, v17
	v_ffbh_u32_e32 v29, v24
	v_min_u32_e32 v29, 32, v29
	v_mov_b32_e32 v16, v17
	v_subrev_u32_e32 v30, 28, v29
	v_lshlrev_b64 v[30:31], v30, v[16:17]
	v_lshrrev_b32_e32 v27, 3, v14
	v_sub_u32_e32 v16, 29, v29
	v_and_b32_e32 v29, 7, v30
	v_cmp_gt_u32_e32 vcc, 8, v14
	v_cndmask_b32_e32 v14, v27, v16, vcc
	v_cndmask_b32_e32 v16, v24, v29, vcc
	v_lshlrev_b32_e32 v24, 24, v17
	v_bfrev_b32_e32 v27, 60
	v_lshlrev_b32_e32 v16, 20, v16
	v_and_b32_e32 v24, 0x80000000, v24
	v_lshl_add_u32 v14, v14, 23, v27
	v_or3_b32 v27, v24, v14, v16
.LBB580_477:
	s_or_b64 exec, exec, s[10:11]
.LBB580_478:
	s_or_b64 exec, exec, s[8:9]
.LBB580_479:
	s_or_b64 exec, exec, s[2:3]
	v_lshrrev_b16_e32 v14, 8, v17
	v_cmp_ne_u16_e32 vcc, 0, v14
	v_mov_b32_e32 v16, 0
	v_mov_b32_e32 v29, 0
	s_and_saveexec_b64 s[2:3], vcc
	s_cbranch_execz .LBB580_485
; %bb.480:
	s_movk_i32 s7, 0x80
	v_cmp_ne_u16_e32 vcc, s7, v14
	v_bfrev_b32_e32 v29, 1
	s_and_saveexec_b64 s[8:9], vcc
	s_cbranch_execz .LBB580_484
; %bb.481:
	s_movk_i32 s7, 0x7f
	v_and_b32_e32 v24, 0x7f, v14
	v_cmp_ne_u32_e32 vcc, s7, v24
	v_mov_b32_e32 v29, 0x7f800001
	s_and_saveexec_b64 s[10:11], vcc
	s_cbranch_execz .LBB580_483
; %bb.482:
	v_and_b32_e32 v29, 7, v14
	v_ffbh_u32_e32 v30, v29
	v_min_u32_e32 v33, 32, v30
	v_subrev_u32_e32 v30, 28, v33
	v_lshlrev_b64 v[30:31], v30, v[14:15]
	v_lshrrev_b32_e32 v32, 3, v24
	v_sub_u32_e32 v14, 29, v33
	v_and_b32_e32 v30, 7, v30
	v_cmp_gt_u32_e32 vcc, 8, v24
	v_cndmask_b32_e32 v14, v32, v14, vcc
	v_cndmask_b32_e32 v24, v29, v30, vcc
	v_lshlrev_b32_e32 v29, 16, v17
	v_bfrev_b32_e32 v30, 60
	v_lshlrev_b32_e32 v24, 20, v24
	v_and_b32_e32 v29, 0x80000000, v29
	v_lshl_add_u32 v14, v14, 23, v30
	v_or3_b32 v29, v29, v14, v24
.LBB580_483:
	s_or_b64 exec, exec, s[10:11]
.LBB580_484:
	s_or_b64 exec, exec, s[8:9]
.LBB580_485:
	s_or_b64 exec, exec, s[2:3]
	s_movk_i32 s2, 0xff
	v_and_b32_sdwa v24, v17, s2 dst_sel:DWORD dst_unused:UNUSED_PAD src0_sel:WORD_1 src1_sel:DWORD
	v_lshrrev_b32_e32 v14, 16, v17
	v_cmp_ne_u16_e32 vcc, 0, v24
	s_and_saveexec_b64 s[2:3], vcc
	s_cbranch_execz .LBB580_491
; %bb.486:
	s_movk_i32 s7, 0x80
	v_cmp_ne_u16_e32 vcc, s7, v24
	v_bfrev_b32_e32 v16, 1
	s_and_saveexec_b64 s[8:9], vcc
	s_cbranch_execz .LBB580_490
; %bb.487:
	v_bfe_u32 v24, v17, 16, 7
	s_movk_i32 s7, 0x7f
	v_cmp_ne_u32_e32 vcc, s7, v24
	v_mov_b32_e32 v16, 0x7f800001
	s_and_saveexec_b64 s[10:11], vcc
	s_cbranch_execz .LBB580_489
; %bb.488:
	v_and_b32_e32 v16, 7, v14
	v_ffbh_u32_e32 v30, v16
	v_min_u32_e32 v33, 32, v30
	v_subrev_u32_e32 v30, 28, v33
	v_lshlrev_b64 v[30:31], v30, v[14:15]
	v_lshrrev_b32_e32 v32, 3, v24
	v_sub_u32_e32 v14, 29, v33
	v_and_b32_e32 v30, 7, v30
	v_cmp_gt_u32_e32 vcc, 8, v24
	v_mov_b32_e32 v24, 24
	v_cndmask_b32_e32 v14, v32, v14, vcc
	v_cndmask_b32_e32 v16, v16, v30, vcc
	v_lshlrev_b32_sdwa v24, v24, v17 dst_sel:DWORD dst_unused:UNUSED_PAD src0_sel:DWORD src1_sel:WORD_1
	v_bfrev_b32_e32 v30, 60
	v_lshlrev_b32_e32 v16, 20, v16
	v_and_b32_e32 v24, 0x80000000, v24
	v_lshl_add_u32 v14, v14, 23, v30
	v_or3_b32 v16, v24, v14, v16
.LBB580_489:
	s_or_b64 exec, exec, s[10:11]
.LBB580_490:
	s_or_b64 exec, exec, s[8:9]
.LBB580_491:
	s_or_b64 exec, exec, s[2:3]
	s_mov_b32 s2, 0xffffff
	v_cmp_lt_u32_e32 vcc, s2, v17
	v_mov_b32_e32 v24, 0
	v_mov_b32_e32 v30, 0
	s_and_saveexec_b64 s[2:3], vcc
	s_cbranch_execz .LBB580_497
; %bb.492:
	v_lshrrev_b32_e32 v14, 24, v17
	s_movk_i32 s7, 0x80
	v_cmp_ne_u32_e32 vcc, s7, v14
	v_bfrev_b32_e32 v30, 1
	s_and_saveexec_b64 s[8:9], vcc
	s_cbranch_execz .LBB580_496
; %bb.493:
	v_bfe_u32 v17, v17, 24, 7
	s_movk_i32 s7, 0x7f
	v_cmp_ne_u32_e32 vcc, s7, v17
	v_mov_b32_e32 v30, 0x7f800001
	s_and_saveexec_b64 s[10:11], vcc
	s_cbranch_execz .LBB580_495
; %bb.494:
	v_and_b32_e32 v32, 7, v14
	v_ffbh_u32_e32 v30, v32
	v_min_u32_e32 v34, 32, v30
	v_subrev_u32_e32 v30, 28, v34
	v_lshlrev_b64 v[30:31], v30, v[14:15]
	v_lshrrev_b32_e32 v33, 3, v17
	v_sub_u32_e32 v31, 29, v34
	v_and_b32_e32 v30, 7, v30
	v_cmp_gt_u32_e32 vcc, 8, v17
	v_cndmask_b32_e32 v17, v33, v31, vcc
	v_cndmask_b32_e32 v30, v32, v30, vcc
	v_lshlrev_b32_e32 v14, 24, v14
	v_bfrev_b32_e32 v31, 60
	v_lshlrev_b32_e32 v30, 20, v30
	v_and_b32_e32 v14, 0x80000000, v14
	v_lshl_add_u32 v17, v17, 23, v31
	v_or3_b32 v30, v14, v17, v30
.LBB580_495:
	s_or_b64 exec, exec, s[10:11]
.LBB580_496:
	s_or_b64 exec, exec, s[8:9]
.LBB580_497:
	s_or_b64 exec, exec, s[2:3]
	v_cvt_pkrtz_f16_f32 v14, v23, v25
	v_cvt_pkrtz_f16_f32 v15, v15, v28
	ds_read_b128 v[32:35], v22 offset:16
	s_waitcnt vmcnt(2)
	v_cmp_ne_u16_sdwa s[8:9], v10, v24 src0_sel:BYTE_0 src1_sel:DWORD
	s_waitcnt lgkmcnt(0)
	v_mfma_f32_16x16x16f16 v[18:21], v[14:15], v[32:33], v[18:21]
	v_cvt_pkrtz_f16_f32 v14, v27, v29
	v_cvt_pkrtz_f16_f32 v15, v16, v30
	s_nop 1
	v_mfma_f32_16x16x16f16 v[14:17], v[14:15], v[34:35], v[18:21]
	s_and_saveexec_b64 s[2:3], s[8:9]
	s_cbranch_execz .LBB580_503
; %bb.498:
	s_movk_i32 s7, 0x80
	v_cmp_ne_u16_sdwa s[10:11], v10, s7 src0_sel:BYTE_0 src1_sel:DWORD
	v_bfrev_b32_e32 v24, 1
	s_and_saveexec_b64 s[8:9], s[10:11]
	s_cbranch_execz .LBB580_502
; %bb.499:
	s_movk_i32 s7, 0x7f
	v_and_b32_e32 v18, 0x7f, v10
	v_cmp_ne_u32_e32 vcc, s7, v18
	v_mov_b32_e32 v24, 0x7f800001
	s_and_saveexec_b64 s[10:11], vcc
	s_cbranch_execz .LBB580_501
; %bb.500:
	v_and_b32_e32 v19, 7, v10
	v_ffbh_u32_e32 v20, v19
	v_min_u32_e32 v24, 32, v20
	v_subrev_u32_e32 v20, 28, v24
	v_lshlrev_b64 v[20:21], v20, v[10:11]
	v_lshrrev_b32_e32 v23, 3, v18
	v_sub_u32_e32 v21, 29, v24
	v_and_b32_e32 v20, 7, v20
	v_cmp_gt_u32_e32 vcc, 8, v18
	v_cndmask_b32_e32 v18, v23, v21, vcc
	v_cndmask_b32_e32 v19, v19, v20, vcc
	v_lshlrev_b32_e32 v20, 24, v10
	v_bfrev_b32_e32 v21, 60
	v_lshlrev_b32_e32 v19, 20, v19
	v_and_b32_e32 v20, 0x80000000, v20
	v_lshl_add_u32 v18, v18, 23, v21
	v_or3_b32 v24, v20, v18, v19
.LBB580_501:
	s_or_b64 exec, exec, s[10:11]
.LBB580_502:
	s_or_b64 exec, exec, s[8:9]
.LBB580_503:
	s_or_b64 exec, exec, s[2:3]
	s_nop 3
	v_lshrrev_b16_e32 v18, 8, v10
	v_cmp_ne_u16_e32 vcc, 0, v18
	v_mov_b32_e32 v19, 0
	v_mov_b32_e32 v20, 0
	s_and_saveexec_b64 s[2:3], vcc
	s_cbranch_execz .LBB580_509
; %bb.504:
	s_movk_i32 s7, 0x80
	v_cmp_ne_u16_e32 vcc, s7, v18
	v_bfrev_b32_e32 v20, 1
	s_and_saveexec_b64 s[8:9], vcc
	s_cbranch_execz .LBB580_508
; %bb.505:
	s_movk_i32 s7, 0x7f
	v_and_b32_e32 v21, 0x7f, v18
	v_cmp_ne_u32_e32 vcc, s7, v21
	v_mov_b32_e32 v20, 0x7f800001
	s_and_saveexec_b64 s[10:11], vcc
	s_cbranch_execz .LBB580_507
; %bb.506:
	v_and_b32_e32 v20, 7, v18
	v_ffbh_u32_e32 v25, v20
	v_min_u32_e32 v25, 32, v25
	v_subrev_u32_e32 v27, 28, v25
	v_lshlrev_b64 v[28:29], v27, v[18:19]
	v_lshrrev_b32_e32 v23, 3, v21
	v_sub_u32_e32 v18, 29, v25
	v_and_b32_e32 v25, 7, v28
	v_cmp_gt_u32_e32 vcc, 8, v21
	v_cndmask_b32_e32 v18, v23, v18, vcc
	v_cndmask_b32_e32 v20, v20, v25, vcc
	v_lshlrev_b32_e32 v21, 16, v10
	v_bfrev_b32_e32 v23, 60
	v_lshlrev_b32_e32 v20, 20, v20
	v_and_b32_e32 v21, 0x80000000, v21
	v_lshl_add_u32 v18, v18, 23, v23
	v_or3_b32 v20, v21, v18, v20
.LBB580_507:
	s_or_b64 exec, exec, s[10:11]
.LBB580_508:
	s_or_b64 exec, exec, s[8:9]
.LBB580_509:
	s_or_b64 exec, exec, s[2:3]
	s_movk_i32 s2, 0xff
	v_and_b32_sdwa v21, v10, s2 dst_sel:DWORD dst_unused:UNUSED_PAD src0_sel:WORD_1 src1_sel:DWORD
	v_lshrrev_b32_e32 v18, 16, v10
	v_cmp_ne_u16_e32 vcc, 0, v21
	s_and_saveexec_b64 s[2:3], vcc
	s_cbranch_execz .LBB580_515
; %bb.510:
	s_movk_i32 s7, 0x80
	v_cmp_ne_u16_e32 vcc, s7, v21
	v_bfrev_b32_e32 v19, 1
	s_and_saveexec_b64 s[8:9], vcc
	s_cbranch_execz .LBB580_514
; %bb.511:
	v_bfe_u32 v21, v10, 16, 7
	s_movk_i32 s7, 0x7f
	v_cmp_ne_u32_e32 vcc, s7, v21
	v_mov_b32_e32 v19, 0x7f800001
	s_and_saveexec_b64 s[10:11], vcc
	s_cbranch_execz .LBB580_513
; %bb.512:
	v_and_b32_e32 v23, 7, v18
	v_ffbh_u32_e32 v19, v23
	v_min_u32_e32 v27, 32, v19
	v_subrev_u32_e32 v19, 28, v27
	v_lshlrev_b64 v[18:19], v19, v[18:19]
	v_lshrrev_b32_e32 v25, 3, v21
	v_sub_u32_e32 v19, 29, v27
	v_and_b32_e32 v18, 7, v18
	v_cmp_gt_u32_e32 vcc, 8, v21
	v_mov_b32_e32 v21, 24
	v_cndmask_b32_e32 v19, v25, v19, vcc
	v_cndmask_b32_e32 v18, v23, v18, vcc
	v_lshlrev_b32_sdwa v21, v21, v10 dst_sel:DWORD dst_unused:UNUSED_PAD src0_sel:DWORD src1_sel:WORD_1
	v_bfrev_b32_e32 v23, 60
	v_lshlrev_b32_e32 v18, 20, v18
	v_and_b32_e32 v21, 0x80000000, v21
	v_lshl_add_u32 v19, v19, 23, v23
	v_or3_b32 v19, v21, v19, v18
.LBB580_513:
	s_or_b64 exec, exec, s[10:11]
.LBB580_514:
	s_or_b64 exec, exec, s[8:9]
.LBB580_515:
	s_or_b64 exec, exec, s[2:3]
	s_mov_b32 s2, 0xffffff
	v_cmp_lt_u32_e32 vcc, s2, v10
	v_mov_b32_e32 v21, 0
	v_mov_b32_e32 v23, 0
	s_and_saveexec_b64 s[2:3], vcc
	s_cbranch_execz .LBB580_521
; %bb.516:
	v_lshrrev_b32_e32 v18, 24, v10
	s_movk_i32 s7, 0x80
	v_cmp_ne_u32_e32 vcc, s7, v18
	v_bfrev_b32_e32 v23, 1
	s_and_saveexec_b64 s[8:9], vcc
	s_cbranch_execz .LBB580_520
; %bb.517:
	v_bfe_u32 v10, v10, 24, 7
	s_movk_i32 s7, 0x7f
	v_cmp_ne_u32_e32 vcc, s7, v10
	v_mov_b32_e32 v23, 0x7f800001
	s_and_saveexec_b64 s[10:11], vcc
	s_cbranch_execz .LBB580_519
; %bb.518:
	v_and_b32_e32 v23, 7, v18
	v_ffbh_u32_e32 v27, v23
	v_min_u32_e32 v27, 32, v27
	v_subrev_u32_e32 v28, 28, v27
	v_lshlrev_b64 v[28:29], v28, v[18:19]
	v_lshrrev_b32_e32 v25, 3, v10
	v_sub_u32_e32 v27, 29, v27
	v_and_b32_e32 v28, 7, v28
	v_cmp_gt_u32_e32 vcc, 8, v10
	v_cndmask_b32_e32 v10, v25, v27, vcc
	v_cndmask_b32_e32 v23, v23, v28, vcc
	v_lshlrev_b32_e32 v18, 24, v18
	v_bfrev_b32_e32 v25, 60
	v_lshlrev_b32_e32 v23, 20, v23
	v_and_b32_e32 v18, 0x80000000, v18
	v_lshl_add_u32 v10, v10, 23, v25
	v_or3_b32 v23, v18, v10, v23
.LBB580_519:
	s_or_b64 exec, exec, s[10:11]
.LBB580_520:
	s_or_b64 exec, exec, s[8:9]
.LBB580_521:
	s_or_b64 exec, exec, s[2:3]
	v_cmp_ne_u16_sdwa s[8:9], v11, v21 src0_sel:BYTE_0 src1_sel:DWORD
	s_and_saveexec_b64 s[2:3], s[8:9]
	s_cbranch_execz .LBB580_527
; %bb.522:
	s_movk_i32 s7, 0x80
	v_cmp_ne_u16_sdwa s[10:11], v11, s7 src0_sel:BYTE_0 src1_sel:DWORD
	v_bfrev_b32_e32 v21, 1
	s_and_saveexec_b64 s[8:9], s[10:11]
	s_cbranch_execz .LBB580_526
; %bb.523:
	s_movk_i32 s7, 0x7f
	v_and_b32_e32 v10, 0x7f, v11
	v_cmp_ne_u32_e32 vcc, s7, v10
	v_mov_b32_e32 v21, 0x7f800001
	s_and_saveexec_b64 s[10:11], vcc
	s_cbranch_execz .LBB580_525
; %bb.524:
	v_and_b32_e32 v21, 7, v11
	v_ffbh_u32_e32 v27, v21
	v_min_u32_e32 v27, 32, v27
	v_mov_b32_e32 v18, v11
	v_subrev_u32_e32 v28, 28, v27
	v_lshlrev_b64 v[28:29], v28, v[18:19]
	v_lshrrev_b32_e32 v25, 3, v10
	v_sub_u32_e32 v18, 29, v27
	v_and_b32_e32 v27, 7, v28
	v_cmp_gt_u32_e32 vcc, 8, v10
	v_cndmask_b32_e32 v10, v25, v18, vcc
	v_cndmask_b32_e32 v18, v21, v27, vcc
	v_lshlrev_b32_e32 v21, 24, v11
	v_bfrev_b32_e32 v25, 60
	v_lshlrev_b32_e32 v18, 20, v18
	v_and_b32_e32 v21, 0x80000000, v21
	v_lshl_add_u32 v10, v10, 23, v25
	v_or3_b32 v21, v21, v10, v18
.LBB580_525:
	s_or_b64 exec, exec, s[10:11]
.LBB580_526:
	s_or_b64 exec, exec, s[8:9]
.LBB580_527:
	s_or_b64 exec, exec, s[2:3]
	v_lshrrev_b16_e32 v10, 8, v11
	v_cmp_ne_u16_e32 vcc, 0, v10
	v_mov_b32_e32 v25, 0
	v_mov_b32_e32 v27, 0
	s_and_saveexec_b64 s[2:3], vcc
	s_cbranch_execz .LBB580_533
; %bb.528:
	s_movk_i32 s7, 0x80
	v_cmp_ne_u16_e32 vcc, s7, v10
	v_bfrev_b32_e32 v27, 1
	s_and_saveexec_b64 s[8:9], vcc
	s_cbranch_execz .LBB580_532
; %bb.529:
	s_movk_i32 s7, 0x7f
	v_and_b32_e32 v18, 0x7f, v10
	v_cmp_ne_u32_e32 vcc, s7, v18
	v_mov_b32_e32 v27, 0x7f800001
	s_and_saveexec_b64 s[10:11], vcc
	s_cbranch_execz .LBB580_531
; %bb.530:
	v_and_b32_e32 v27, 7, v10
	v_ffbh_u32_e32 v28, v27
	v_min_u32_e32 v31, 32, v28
	v_subrev_u32_e32 v28, 28, v31
	v_lshlrev_b64 v[28:29], v28, v[10:11]
	v_lshrrev_b32_e32 v30, 3, v18
	v_sub_u32_e32 v10, 29, v31
	v_and_b32_e32 v28, 7, v28
	v_cmp_gt_u32_e32 vcc, 8, v18
	v_cndmask_b32_e32 v10, v30, v10, vcc
	v_cndmask_b32_e32 v18, v27, v28, vcc
	v_lshlrev_b32_e32 v27, 16, v11
	v_bfrev_b32_e32 v28, 60
	v_lshlrev_b32_e32 v18, 20, v18
	v_and_b32_e32 v27, 0x80000000, v27
	v_lshl_add_u32 v10, v10, 23, v28
	v_or3_b32 v27, v27, v10, v18
.LBB580_531:
	s_or_b64 exec, exec, s[10:11]
.LBB580_532:
	s_or_b64 exec, exec, s[8:9]
.LBB580_533:
	s_or_b64 exec, exec, s[2:3]
	s_movk_i32 s2, 0xff
	v_and_b32_sdwa v18, v11, s2 dst_sel:DWORD dst_unused:UNUSED_PAD src0_sel:WORD_1 src1_sel:DWORD
	v_lshrrev_b32_e32 v10, 16, v11
	v_cmp_ne_u16_e32 vcc, 0, v18
	s_and_saveexec_b64 s[2:3], vcc
	s_cbranch_execz .LBB580_539
; %bb.534:
	s_movk_i32 s7, 0x80
	v_cmp_ne_u16_e32 vcc, s7, v18
	v_bfrev_b32_e32 v25, 1
	s_and_saveexec_b64 s[8:9], vcc
	s_cbranch_execz .LBB580_538
; %bb.535:
	v_bfe_u32 v18, v11, 16, 7
	s_movk_i32 s7, 0x7f
	v_cmp_ne_u32_e32 vcc, s7, v18
	v_mov_b32_e32 v25, 0x7f800001
	s_and_saveexec_b64 s[10:11], vcc
	s_cbranch_execz .LBB580_537
; %bb.536:
	v_and_b32_e32 v25, 7, v10
	v_ffbh_u32_e32 v28, v25
	v_min_u32_e32 v31, 32, v28
	v_subrev_u32_e32 v28, 28, v31
	v_lshlrev_b64 v[28:29], v28, v[10:11]
	v_and_b32_e32 v28, 7, v28
	v_cmp_gt_u32_e32 vcc, 8, v18
	v_lshrrev_b32_e32 v30, 3, v18
	v_sub_u32_e32 v10, 29, v31
	v_cndmask_b32_e32 v18, v25, v28, vcc
	v_mov_b32_e32 v25, 24
	v_cndmask_b32_e32 v10, v30, v10, vcc
	v_lshlrev_b32_sdwa v25, v25, v11 dst_sel:DWORD dst_unused:UNUSED_PAD src0_sel:DWORD src1_sel:WORD_1
	v_bfrev_b32_e32 v28, 60
	v_lshlrev_b32_e32 v18, 20, v18
	v_and_b32_e32 v25, 0x80000000, v25
	v_lshl_add_u32 v10, v10, 23, v28
	v_or3_b32 v25, v25, v10, v18
.LBB580_537:
	s_or_b64 exec, exec, s[10:11]
.LBB580_538:
	s_or_b64 exec, exec, s[8:9]
.LBB580_539:
	s_or_b64 exec, exec, s[2:3]
	s_mov_b32 s2, 0xffffff
	v_cmp_lt_u32_e32 vcc, s2, v11
	v_mov_b32_e32 v18, 0
	v_mov_b32_e32 v28, 0
	s_and_saveexec_b64 s[2:3], vcc
	s_cbranch_execz .LBB580_545
; %bb.540:
	v_lshrrev_b32_e32 v10, 24, v11
	s_movk_i32 s7, 0x80
	v_cmp_ne_u32_e32 vcc, s7, v10
	v_bfrev_b32_e32 v28, 1
	s_and_saveexec_b64 s[8:9], vcc
	s_cbranch_execz .LBB580_544
; %bb.541:
	v_bfe_u32 v11, v11, 24, 7
	s_movk_i32 s7, 0x7f
	v_cmp_ne_u32_e32 vcc, s7, v11
	v_mov_b32_e32 v28, 0x7f800001
	s_and_saveexec_b64 s[10:11], vcc
	s_cbranch_execz .LBB580_543
; %bb.542:
	v_and_b32_e32 v30, 7, v10
	v_ffbh_u32_e32 v28, v30
	v_min_u32_e32 v32, 32, v28
	v_subrev_u32_e32 v28, 28, v32
	v_lshlrev_b64 v[28:29], v28, v[10:11]
	v_lshrrev_b32_e32 v31, 3, v11
	v_sub_u32_e32 v29, 29, v32
	v_and_b32_e32 v28, 7, v28
	v_cmp_gt_u32_e32 vcc, 8, v11
	v_cndmask_b32_e32 v11, v31, v29, vcc
	v_cndmask_b32_e32 v28, v30, v28, vcc
	v_lshlrev_b32_e32 v10, 24, v10
	v_bfrev_b32_e32 v29, 60
	v_lshlrev_b32_e32 v28, 20, v28
	v_and_b32_e32 v10, 0x80000000, v10
	v_lshl_add_u32 v11, v11, 23, v29
	v_or3_b32 v28, v10, v11, v28
.LBB580_543:
	s_or_b64 exec, exec, s[10:11]
.LBB580_544:
	s_or_b64 exec, exec, s[8:9]
.LBB580_545:
	s_or_b64 exec, exec, s[2:3]
	v_cvt_pkrtz_f16_f32 v10, v24, v20
	v_cvt_pkrtz_f16_f32 v11, v19, v23
	ds_read_b128 v[30:33], v22 offset:2048
	v_cmp_ne_u16_sdwa s[8:9], v12, v18 src0_sel:BYTE_0 src1_sel:DWORD
	s_waitcnt lgkmcnt(0)
	v_mfma_f32_16x16x16f16 v[14:17], v[10:11], v[30:31], v[14:17]
	v_cvt_pkrtz_f16_f32 v10, v21, v27
	v_cvt_pkrtz_f16_f32 v11, v25, v28
	s_nop 1
	v_mfma_f32_16x16x16f16 v[14:17], v[10:11], v[32:33], v[14:17]
	s_and_saveexec_b64 s[2:3], s[8:9]
	s_cbranch_execz .LBB580_551
; %bb.546:
	s_movk_i32 s7, 0x80
	v_cmp_ne_u16_sdwa s[10:11], v12, s7 src0_sel:BYTE_0 src1_sel:DWORD
	v_bfrev_b32_e32 v18, 1
	s_and_saveexec_b64 s[8:9], s[10:11]
	s_cbranch_execz .LBB580_550
; %bb.547:
	s_movk_i32 s7, 0x7f
	v_and_b32_e32 v10, 0x7f, v12
	v_cmp_ne_u32_e32 vcc, s7, v10
	v_mov_b32_e32 v18, 0x7f800001
	s_and_saveexec_b64 s[10:11], vcc
	s_cbranch_execz .LBB580_549
; %bb.548:
	v_and_b32_e32 v11, 7, v12
	v_ffbh_u32_e32 v18, v11
	v_min_u32_e32 v21, 32, v18
	v_subrev_u32_e32 v18, 28, v21
	v_lshlrev_b64 v[18:19], v18, v[12:13]
	v_lshrrev_b32_e32 v20, 3, v10
	v_sub_u32_e32 v19, 29, v21
	v_and_b32_e32 v18, 7, v18
	v_cmp_gt_u32_e32 vcc, 8, v10
	v_cndmask_b32_e32 v10, v20, v19, vcc
	v_cndmask_b32_e32 v11, v11, v18, vcc
	v_lshlrev_b32_e32 v18, 24, v12
	v_bfrev_b32_e32 v19, 60
	v_lshlrev_b32_e32 v11, 20, v11
	v_and_b32_e32 v18, 0x80000000, v18
	v_lshl_add_u32 v10, v10, 23, v19
	v_or3_b32 v18, v18, v10, v11
.LBB580_549:
	s_or_b64 exec, exec, s[10:11]
.LBB580_550:
	s_or_b64 exec, exec, s[8:9]
.LBB580_551:
	s_or_b64 exec, exec, s[2:3]
	v_lshrrev_b16_e32 v10, 8, v12
	v_cmp_ne_u16_e32 vcc, 0, v10
	v_mov_b32_e32 v11, 0
	v_mov_b32_e32 v20, 0
	s_and_saveexec_b64 s[2:3], vcc
	s_cbranch_execz .LBB580_557
; %bb.552:
	s_movk_i32 s7, 0x80
	v_cmp_ne_u16_e32 vcc, s7, v10
	v_bfrev_b32_e32 v20, 1
	s_and_saveexec_b64 s[8:9], vcc
	s_cbranch_execz .LBB580_556
; %bb.553:
	s_movk_i32 s7, 0x7f
	v_and_b32_e32 v19, 0x7f, v10
	v_cmp_ne_u32_e32 vcc, s7, v19
	v_mov_b32_e32 v20, 0x7f800001
	s_and_saveexec_b64 s[10:11], vcc
	s_cbranch_execz .LBB580_555
; %bb.554:
	v_and_b32_e32 v23, 7, v10
	v_ffbh_u32_e32 v20, v23
	v_min_u32_e32 v25, 32, v20
	v_subrev_u32_e32 v20, 28, v25
	v_lshlrev_b64 v[20:21], v20, v[10:11]
	v_lshrrev_b32_e32 v24, 3, v19
	v_sub_u32_e32 v10, 29, v25
	v_and_b32_e32 v20, 7, v20
	v_cmp_gt_u32_e32 vcc, 8, v19
	v_cndmask_b32_e32 v10, v24, v10, vcc
	v_cndmask_b32_e32 v19, v23, v20, vcc
	v_lshlrev_b32_e32 v20, 16, v12
	v_bfrev_b32_e32 v21, 60
	v_lshlrev_b32_e32 v19, 20, v19
	v_and_b32_e32 v20, 0x80000000, v20
	v_lshl_add_u32 v10, v10, 23, v21
	v_or3_b32 v20, v20, v10, v19
.LBB580_555:
	s_or_b64 exec, exec, s[10:11]
.LBB580_556:
	s_or_b64 exec, exec, s[8:9]
.LBB580_557:
	s_or_b64 exec, exec, s[2:3]
	s_movk_i32 s2, 0xff
	v_and_b32_sdwa v19, v12, s2 dst_sel:DWORD dst_unused:UNUSED_PAD src0_sel:WORD_1 src1_sel:DWORD
	v_lshrrev_b32_e32 v10, 16, v12
	v_cmp_ne_u16_e32 vcc, 0, v19
	s_and_saveexec_b64 s[2:3], vcc
	s_cbranch_execz .LBB580_563
; %bb.558:
	s_movk_i32 s7, 0x80
	v_cmp_ne_u16_e32 vcc, s7, v19
	v_bfrev_b32_e32 v11, 1
	s_and_saveexec_b64 s[8:9], vcc
	s_cbranch_execz .LBB580_562
; %bb.559:
	v_bfe_u32 v19, v12, 16, 7
	s_movk_i32 s7, 0x7f
	v_cmp_ne_u32_e32 vcc, s7, v19
	v_mov_b32_e32 v11, 0x7f800001
	s_and_saveexec_b64 s[10:11], vcc
	s_cbranch_execz .LBB580_561
; %bb.560:
	v_and_b32_e32 v21, 7, v10
	v_ffbh_u32_e32 v11, v21
	v_min_u32_e32 v24, 32, v11
	v_subrev_u32_e32 v11, 28, v24
	v_lshlrev_b64 v[10:11], v11, v[10:11]
	v_lshrrev_b32_e32 v23, 3, v19
	v_sub_u32_e32 v11, 29, v24
	v_and_b32_e32 v10, 7, v10
	v_cmp_gt_u32_e32 vcc, 8, v19
	v_mov_b32_e32 v19, 24
	v_cndmask_b32_e32 v11, v23, v11, vcc
	v_cndmask_b32_e32 v10, v21, v10, vcc
	v_lshlrev_b32_sdwa v19, v19, v12 dst_sel:DWORD dst_unused:UNUSED_PAD src0_sel:DWORD src1_sel:WORD_1
	v_bfrev_b32_e32 v21, 60
	v_lshlrev_b32_e32 v10, 20, v10
	v_and_b32_e32 v19, 0x80000000, v19
	v_lshl_add_u32 v11, v11, 23, v21
	v_or3_b32 v11, v19, v11, v10
.LBB580_561:
	s_or_b64 exec, exec, s[10:11]
.LBB580_562:
	s_or_b64 exec, exec, s[8:9]
.LBB580_563:
	s_or_b64 exec, exec, s[2:3]
	s_mov_b32 s2, 0xffffff
	v_cmp_lt_u32_e32 vcc, s2, v12
	v_mov_b32_e32 v21, 0
	v_mov_b32_e32 v23, 0
	s_and_saveexec_b64 s[2:3], vcc
	s_cbranch_execz .LBB580_569
; %bb.564:
	v_lshrrev_b32_e32 v10, 24, v12
	s_movk_i32 s7, 0x80
	v_cmp_ne_u32_e32 vcc, s7, v10
	v_bfrev_b32_e32 v23, 1
	s_and_saveexec_b64 s[8:9], vcc
	s_cbranch_execz .LBB580_568
; %bb.565:
	v_bfe_u32 v12, v12, 24, 7
	s_movk_i32 s7, 0x7f
	v_cmp_ne_u32_e32 vcc, s7, v12
	v_mov_b32_e32 v23, 0x7f800001
	s_and_saveexec_b64 s[10:11], vcc
	s_cbranch_execz .LBB580_567
; %bb.566:
	v_and_b32_e32 v19, 7, v10
	v_ffbh_u32_e32 v24, v19
	v_min_u32_e32 v27, 32, v24
	v_subrev_u32_e32 v24, 28, v27
	v_lshlrev_b64 v[24:25], v24, v[10:11]
	v_lshrrev_b32_e32 v23, 3, v12
	v_sub_u32_e32 v25, 29, v27
	v_and_b32_e32 v24, 7, v24
	v_cmp_gt_u32_e32 vcc, 8, v12
	v_cndmask_b32_e32 v12, v23, v25, vcc
	v_cndmask_b32_e32 v19, v19, v24, vcc
	v_lshlrev_b32_e32 v10, 24, v10
	v_bfrev_b32_e32 v23, 60
	v_lshlrev_b32_e32 v19, 20, v19
	v_and_b32_e32 v10, 0x80000000, v10
	v_lshl_add_u32 v12, v12, 23, v23
	v_or3_b32 v23, v10, v12, v19
.LBB580_567:
	s_or_b64 exec, exec, s[10:11]
.LBB580_568:
	s_or_b64 exec, exec, s[8:9]
.LBB580_569:
	s_or_b64 exec, exec, s[2:3]
	v_cmp_ne_u16_sdwa s[8:9], v13, v21 src0_sel:BYTE_0 src1_sel:DWORD
	s_and_saveexec_b64 s[2:3], s[8:9]
	s_cbranch_execz .LBB580_575
; %bb.570:
	s_movk_i32 s7, 0x80
	v_cmp_ne_u16_sdwa s[10:11], v13, s7 src0_sel:BYTE_0 src1_sel:DWORD
	v_bfrev_b32_e32 v21, 1
	s_and_saveexec_b64 s[8:9], s[10:11]
	s_cbranch_execz .LBB580_574
; %bb.571:
	s_movk_i32 s7, 0x7f
	v_and_b32_e32 v10, 0x7f, v13
	v_cmp_ne_u32_e32 vcc, s7, v10
	v_mov_b32_e32 v21, 0x7f800001
	s_and_saveexec_b64 s[10:11], vcc
	s_cbranch_execz .LBB580_573
; %bb.572:
	v_and_b32_e32 v19, 7, v13
	v_ffbh_u32_e32 v24, v19
	v_min_u32_e32 v27, 32, v24
	v_mov_b32_e32 v12, v13
	v_subrev_u32_e32 v24, 28, v27
	v_lshlrev_b64 v[24:25], v24, v[12:13]
	v_lshrrev_b32_e32 v21, 3, v10
	v_sub_u32_e32 v12, 29, v27
	v_and_b32_e32 v24, 7, v24
	v_cmp_gt_u32_e32 vcc, 8, v10
	v_cndmask_b32_e32 v10, v21, v12, vcc
	v_cndmask_b32_e32 v12, v19, v24, vcc
	v_lshlrev_b32_e32 v19, 24, v13
	v_bfrev_b32_e32 v21, 60
	v_lshlrev_b32_e32 v12, 20, v12
	v_and_b32_e32 v19, 0x80000000, v19
	v_lshl_add_u32 v10, v10, 23, v21
	v_or3_b32 v21, v19, v10, v12
.LBB580_573:
	s_or_b64 exec, exec, s[10:11]
.LBB580_574:
	s_or_b64 exec, exec, s[8:9]
.LBB580_575:
	s_or_b64 exec, exec, s[2:3]
	v_lshrrev_b16_e32 v10, 8, v13
	v_cmp_ne_u16_e32 vcc, 0, v10
	v_mov_b32_e32 v12, 0
	v_mov_b32_e32 v24, 0
	s_and_saveexec_b64 s[2:3], vcc
	s_cbranch_execz .LBB580_581
; %bb.576:
	s_movk_i32 s7, 0x80
	v_cmp_ne_u16_e32 vcc, s7, v10
	v_bfrev_b32_e32 v24, 1
	s_and_saveexec_b64 s[8:9], vcc
	s_cbranch_execz .LBB580_580
; %bb.577:
	s_movk_i32 s7, 0x7f
	v_and_b32_e32 v19, 0x7f, v10
	v_cmp_ne_u32_e32 vcc, s7, v19
	v_mov_b32_e32 v24, 0x7f800001
	s_and_saveexec_b64 s[10:11], vcc
	s_cbranch_execz .LBB580_579
; %bb.578:
	v_and_b32_e32 v27, 7, v10
	v_ffbh_u32_e32 v24, v27
	v_min_u32_e32 v29, 32, v24
	v_subrev_u32_e32 v24, 28, v29
	v_lshlrev_b64 v[24:25], v24, v[10:11]
	v_lshrrev_b32_e32 v28, 3, v19
	v_sub_u32_e32 v10, 29, v29
	v_and_b32_e32 v24, 7, v24
	v_cmp_gt_u32_e32 vcc, 8, v19
	v_cndmask_b32_e32 v10, v28, v10, vcc
	v_cndmask_b32_e32 v19, v27, v24, vcc
	v_lshlrev_b32_e32 v24, 16, v13
	v_bfrev_b32_e32 v25, 60
	v_lshlrev_b32_e32 v19, 20, v19
	v_and_b32_e32 v24, 0x80000000, v24
	v_lshl_add_u32 v10, v10, 23, v25
	v_or3_b32 v24, v24, v10, v19
.LBB580_579:
	s_or_b64 exec, exec, s[10:11]
.LBB580_580:
	s_or_b64 exec, exec, s[8:9]
.LBB580_581:
	s_or_b64 exec, exec, s[2:3]
	s_movk_i32 s2, 0xff
	v_and_b32_sdwa v19, v13, s2 dst_sel:DWORD dst_unused:UNUSED_PAD src0_sel:WORD_1 src1_sel:DWORD
	v_lshrrev_b32_e32 v10, 16, v13
	v_cmp_ne_u16_e32 vcc, 0, v19
	s_and_saveexec_b64 s[2:3], vcc
	s_cbranch_execz .LBB580_587
; %bb.582:
	s_movk_i32 s7, 0x80
	v_cmp_ne_u16_e32 vcc, s7, v19
	v_bfrev_b32_e32 v12, 1
	s_and_saveexec_b64 s[8:9], vcc
	s_cbranch_execz .LBB580_586
; %bb.583:
	v_bfe_u32 v19, v13, 16, 7
	s_movk_i32 s7, 0x7f
	v_cmp_ne_u32_e32 vcc, s7, v19
	v_mov_b32_e32 v12, 0x7f800001
	s_and_saveexec_b64 s[10:11], vcc
	s_cbranch_execz .LBB580_585
; %bb.584:
	v_and_b32_e32 v12, 7, v10
	v_ffbh_u32_e32 v27, v12
	v_min_u32_e32 v27, 32, v27
	v_subrev_u32_e32 v28, 28, v27
	v_lshlrev_b64 v[28:29], v28, v[10:11]
	v_lshrrev_b32_e32 v25, 3, v19
	v_sub_u32_e32 v10, 29, v27
	v_and_b32_e32 v27, 7, v28
	v_cmp_gt_u32_e32 vcc, 8, v19
	v_mov_b32_e32 v19, 24
	v_cndmask_b32_e32 v10, v25, v10, vcc
	v_cndmask_b32_e32 v12, v12, v27, vcc
	v_lshlrev_b32_sdwa v19, v19, v13 dst_sel:DWORD dst_unused:UNUSED_PAD src0_sel:DWORD src1_sel:WORD_1
	v_bfrev_b32_e32 v25, 60
	v_lshlrev_b32_e32 v12, 20, v12
	v_and_b32_e32 v19, 0x80000000, v19
	v_lshl_add_u32 v10, v10, 23, v25
	v_or3_b32 v12, v19, v10, v12
.LBB580_585:
	s_or_b64 exec, exec, s[10:11]
.LBB580_586:
	s_or_b64 exec, exec, s[8:9]
.LBB580_587:
	s_or_b64 exec, exec, s[2:3]
	s_mov_b32 s2, 0xffffff
	v_cmp_lt_u32_e32 vcc, s2, v13
	v_mov_b32_e32 v19, 0
	v_mov_b32_e32 v25, 0
	s_and_saveexec_b64 s[2:3], vcc
	s_cbranch_execz .LBB580_593
; %bb.588:
	v_lshrrev_b32_e32 v10, 24, v13
	s_movk_i32 s7, 0x80
	v_cmp_ne_u32_e32 vcc, s7, v10
	v_bfrev_b32_e32 v25, 1
	s_and_saveexec_b64 s[8:9], vcc
	s_cbranch_execz .LBB580_592
; %bb.589:
	v_bfe_u32 v13, v13, 24, 7
	s_movk_i32 s7, 0x7f
	v_cmp_ne_u32_e32 vcc, s7, v13
	v_mov_b32_e32 v25, 0x7f800001
	s_and_saveexec_b64 s[10:11], vcc
	s_cbranch_execz .LBB580_591
; %bb.590:
	v_and_b32_e32 v25, 7, v10
	v_ffbh_u32_e32 v28, v25
	v_min_u32_e32 v30, 32, v28
	v_subrev_u32_e32 v28, 28, v30
	v_lshlrev_b64 v[28:29], v28, v[10:11]
	v_lshrrev_b32_e32 v27, 3, v13
	v_sub_u32_e32 v29, 29, v30
	v_and_b32_e32 v28, 7, v28
	v_cmp_gt_u32_e32 vcc, 8, v13
	v_cndmask_b32_e32 v13, v27, v29, vcc
	v_cndmask_b32_e32 v25, v25, v28, vcc
	v_lshlrev_b32_e32 v10, 24, v10
	v_bfrev_b32_e32 v27, 60
	v_lshlrev_b32_e32 v25, 20, v25
	v_and_b32_e32 v10, 0x80000000, v10
	v_lshl_add_u32 v13, v13, 23, v27
	v_or3_b32 v25, v10, v13, v25
.LBB580_591:
	s_or_b64 exec, exec, s[10:11]
.LBB580_592:
	s_or_b64 exec, exec, s[8:9]
.LBB580_593:
	s_or_b64 exec, exec, s[2:3]
	v_cvt_pkrtz_f16_f32 v10, v18, v20
	v_cvt_pkrtz_f16_f32 v11, v11, v23
	ds_read_b128 v[28:31], v22 offset:2064
	s_waitcnt vmcnt(1)
	v_cmp_ne_u16_sdwa s[8:9], v6, v19 src0_sel:BYTE_0 src1_sel:DWORD
	s_waitcnt lgkmcnt(0)
	v_mfma_f32_16x16x16f16 v[14:17], v[10:11], v[28:29], v[14:17]
	v_cvt_pkrtz_f16_f32 v10, v21, v24
	v_cvt_pkrtz_f16_f32 v11, v12, v25
	s_nop 1
	v_mfma_f32_16x16x16f16 v[10:13], v[10:11], v[30:31], v[14:17]
	s_and_saveexec_b64 s[2:3], s[8:9]
	s_cbranch_execz .LBB580_599
; %bb.594:
	s_movk_i32 s7, 0x80
	v_cmp_ne_u16_sdwa s[10:11], v6, s7 src0_sel:BYTE_0 src1_sel:DWORD
	v_bfrev_b32_e32 v19, 1
	s_and_saveexec_b64 s[8:9], s[10:11]
	s_cbranch_execz .LBB580_598
; %bb.595:
	s_movk_i32 s7, 0x7f
	v_and_b32_e32 v14, 0x7f, v6
	v_cmp_ne_u32_e32 vcc, s7, v14
	v_mov_b32_e32 v19, 0x7f800001
	s_and_saveexec_b64 s[10:11], vcc
	s_cbranch_execz .LBB580_597
; %bb.596:
	v_and_b32_e32 v15, 7, v6
	v_ffbh_u32_e32 v16, v15
	v_min_u32_e32 v19, 32, v16
	v_subrev_u32_e32 v16, 28, v19
	v_lshlrev_b64 v[16:17], v16, v[6:7]
	v_lshrrev_b32_e32 v18, 3, v14
	v_sub_u32_e32 v17, 29, v19
	v_and_b32_e32 v16, 7, v16
	v_cmp_gt_u32_e32 vcc, 8, v14
	v_cndmask_b32_e32 v14, v18, v17, vcc
	v_cndmask_b32_e32 v15, v15, v16, vcc
	v_lshlrev_b32_e32 v16, 24, v6
	v_bfrev_b32_e32 v17, 60
	v_lshlrev_b32_e32 v15, 20, v15
	v_and_b32_e32 v16, 0x80000000, v16
	v_lshl_add_u32 v14, v14, 23, v17
	v_or3_b32 v19, v16, v14, v15
.LBB580_597:
	s_or_b64 exec, exec, s[10:11]
.LBB580_598:
	s_or_b64 exec, exec, s[8:9]
.LBB580_599:
	s_or_b64 exec, exec, s[2:3]
	s_nop 3
	v_lshrrev_b16_e32 v14, 8, v6
	v_cmp_ne_u16_e32 vcc, 0, v14
	v_mov_b32_e32 v15, 0
	v_mov_b32_e32 v16, 0
	s_and_saveexec_b64 s[2:3], vcc
	s_cbranch_execz .LBB580_605
; %bb.600:
	s_movk_i32 s7, 0x80
	v_cmp_ne_u16_e32 vcc, s7, v14
	v_bfrev_b32_e32 v16, 1
	s_and_saveexec_b64 s[8:9], vcc
	s_cbranch_execz .LBB580_604
; %bb.601:
	s_movk_i32 s7, 0x7f
	v_and_b32_e32 v17, 0x7f, v14
	v_cmp_ne_u32_e32 vcc, s7, v17
	v_mov_b32_e32 v16, 0x7f800001
	s_and_saveexec_b64 s[10:11], vcc
	s_cbranch_execz .LBB580_603
; %bb.602:
	v_and_b32_e32 v16, 7, v14
	v_ffbh_u32_e32 v20, v16
	v_min_u32_e32 v23, 32, v20
	v_subrev_u32_e32 v20, 28, v23
	v_lshlrev_b64 v[20:21], v20, v[14:15]
	v_lshrrev_b32_e32 v18, 3, v17
	v_sub_u32_e32 v14, 29, v23
	v_and_b32_e32 v20, 7, v20
	v_cmp_gt_u32_e32 vcc, 8, v17
	v_cndmask_b32_e32 v14, v18, v14, vcc
	v_cndmask_b32_e32 v16, v16, v20, vcc
	v_lshlrev_b32_e32 v17, 16, v6
	v_bfrev_b32_e32 v18, 60
	v_lshlrev_b32_e32 v16, 20, v16
	v_and_b32_e32 v17, 0x80000000, v17
	v_lshl_add_u32 v14, v14, 23, v18
	v_or3_b32 v16, v17, v14, v16
.LBB580_603:
	s_or_b64 exec, exec, s[10:11]
.LBB580_604:
	s_or_b64 exec, exec, s[8:9]
.LBB580_605:
	s_or_b64 exec, exec, s[2:3]
	s_movk_i32 s2, 0xff
	v_and_b32_sdwa v17, v6, s2 dst_sel:DWORD dst_unused:UNUSED_PAD src0_sel:WORD_1 src1_sel:DWORD
	v_lshrrev_b32_e32 v14, 16, v6
	v_cmp_ne_u16_e32 vcc, 0, v17
	s_and_saveexec_b64 s[2:3], vcc
	s_cbranch_execz .LBB580_611
; %bb.606:
	s_movk_i32 s7, 0x80
	v_cmp_ne_u16_e32 vcc, s7, v17
	v_bfrev_b32_e32 v15, 1
	s_and_saveexec_b64 s[8:9], vcc
	s_cbranch_execz .LBB580_610
; %bb.607:
	v_bfe_u32 v17, v6, 16, 7
	s_movk_i32 s7, 0x7f
	v_cmp_ne_u32_e32 vcc, s7, v17
	v_mov_b32_e32 v15, 0x7f800001
	s_and_saveexec_b64 s[10:11], vcc
	s_cbranch_execz .LBB580_609
; %bb.608:
	v_and_b32_e32 v18, 7, v14
	v_ffbh_u32_e32 v15, v18
	v_min_u32_e32 v21, 32, v15
	v_subrev_u32_e32 v15, 28, v21
	v_lshlrev_b64 v[14:15], v15, v[14:15]
	v_lshrrev_b32_e32 v20, 3, v17
	v_sub_u32_e32 v15, 29, v21
	v_and_b32_e32 v14, 7, v14
	v_cmp_gt_u32_e32 vcc, 8, v17
	v_mov_b32_e32 v17, 24
	v_cndmask_b32_e32 v15, v20, v15, vcc
	v_cndmask_b32_e32 v14, v18, v14, vcc
	v_lshlrev_b32_sdwa v17, v17, v6 dst_sel:DWORD dst_unused:UNUSED_PAD src0_sel:DWORD src1_sel:WORD_1
	v_bfrev_b32_e32 v18, 60
	v_lshlrev_b32_e32 v14, 20, v14
	v_and_b32_e32 v17, 0x80000000, v17
	v_lshl_add_u32 v15, v15, 23, v18
	v_or3_b32 v15, v17, v15, v14
.LBB580_609:
	s_or_b64 exec, exec, s[10:11]
.LBB580_610:
	s_or_b64 exec, exec, s[8:9]
.LBB580_611:
	s_or_b64 exec, exec, s[2:3]
	s_mov_b32 s2, 0xffffff
	v_cmp_lt_u32_e32 vcc, s2, v6
	v_mov_b32_e32 v17, 0
	v_mov_b32_e32 v18, 0
	s_and_saveexec_b64 s[2:3], vcc
	s_cbranch_execz .LBB580_617
; %bb.612:
	v_lshrrev_b32_e32 v14, 24, v6
	s_movk_i32 s7, 0x80
	v_cmp_ne_u32_e32 vcc, s7, v14
	v_bfrev_b32_e32 v18, 1
	s_and_saveexec_b64 s[8:9], vcc
	s_cbranch_execz .LBB580_616
; %bb.613:
	v_bfe_u32 v6, v6, 24, 7
	s_movk_i32 s7, 0x7f
	v_cmp_ne_u32_e32 vcc, s7, v6
	v_mov_b32_e32 v18, 0x7f800001
	s_and_saveexec_b64 s[10:11], vcc
	s_cbranch_execz .LBB580_615
; %bb.614:
	v_and_b32_e32 v18, 7, v14
	v_ffbh_u32_e32 v20, v18
	v_min_u32_e32 v24, 32, v20
	v_subrev_u32_e32 v20, 28, v24
	v_lshlrev_b64 v[20:21], v20, v[14:15]
	v_lshrrev_b32_e32 v23, 3, v6
	v_sub_u32_e32 v21, 29, v24
	v_and_b32_e32 v20, 7, v20
	v_cmp_gt_u32_e32 vcc, 8, v6
	v_cndmask_b32_e32 v6, v23, v21, vcc
	v_cndmask_b32_e32 v18, v18, v20, vcc
	v_lshlrev_b32_e32 v14, 24, v14
	v_bfrev_b32_e32 v20, 60
	v_lshlrev_b32_e32 v18, 20, v18
	v_and_b32_e32 v14, 0x80000000, v14
	v_lshl_add_u32 v6, v6, 23, v20
	v_or3_b32 v18, v14, v6, v18
.LBB580_615:
	s_or_b64 exec, exec, s[10:11]
.LBB580_616:
	s_or_b64 exec, exec, s[8:9]
.LBB580_617:
	s_or_b64 exec, exec, s[2:3]
	v_cmp_ne_u16_sdwa s[8:9], v7, v17 src0_sel:BYTE_0 src1_sel:DWORD
	s_and_saveexec_b64 s[2:3], s[8:9]
	s_cbranch_execz .LBB580_623
; %bb.618:
	s_movk_i32 s7, 0x80
	v_cmp_ne_u16_sdwa s[10:11], v7, s7 src0_sel:BYTE_0 src1_sel:DWORD
	v_bfrev_b32_e32 v17, 1
	s_and_saveexec_b64 s[8:9], s[10:11]
	s_cbranch_execz .LBB580_622
; %bb.619:
	s_movk_i32 s7, 0x7f
	v_and_b32_e32 v6, 0x7f, v7
	v_cmp_ne_u32_e32 vcc, s7, v6
	v_mov_b32_e32 v17, 0x7f800001
	s_and_saveexec_b64 s[10:11], vcc
	s_cbranch_execz .LBB580_621
; %bb.620:
	v_and_b32_e32 v17, 7, v7
	v_ffbh_u32_e32 v20, v17
	v_min_u32_e32 v24, 32, v20
	v_mov_b32_e32 v14, v7
	v_subrev_u32_e32 v20, 28, v24
	v_lshlrev_b64 v[20:21], v20, v[14:15]
	v_lshrrev_b32_e32 v23, 3, v6
	v_sub_u32_e32 v14, 29, v24
	v_and_b32_e32 v20, 7, v20
	v_cmp_gt_u32_e32 vcc, 8, v6
	v_cndmask_b32_e32 v6, v23, v14, vcc
	v_cndmask_b32_e32 v14, v17, v20, vcc
	v_lshlrev_b32_e32 v17, 24, v7
	v_bfrev_b32_e32 v20, 60
	v_lshlrev_b32_e32 v14, 20, v14
	v_and_b32_e32 v17, 0x80000000, v17
	v_lshl_add_u32 v6, v6, 23, v20
	v_or3_b32 v17, v17, v6, v14
.LBB580_621:
	s_or_b64 exec, exec, s[10:11]
.LBB580_622:
	s_or_b64 exec, exec, s[8:9]
.LBB580_623:
	s_or_b64 exec, exec, s[2:3]
	v_lshrrev_b16_e32 v6, 8, v7
	v_cmp_ne_u16_e32 vcc, 0, v6
	v_mov_b32_e32 v20, 0
	v_mov_b32_e32 v21, 0
	s_and_saveexec_b64 s[2:3], vcc
	s_cbranch_execz .LBB580_629
; %bb.624:
	s_movk_i32 s7, 0x80
	v_cmp_ne_u16_e32 vcc, s7, v6
	v_bfrev_b32_e32 v21, 1
	s_and_saveexec_b64 s[8:9], vcc
	s_cbranch_execz .LBB580_628
; %bb.625:
	s_movk_i32 s7, 0x7f
	v_and_b32_e32 v14, 0x7f, v6
	v_cmp_ne_u32_e32 vcc, s7, v14
	v_mov_b32_e32 v21, 0x7f800001
	s_and_saveexec_b64 s[10:11], vcc
	s_cbranch_execz .LBB580_627
; %bb.626:
	v_and_b32_e32 v21, 7, v6
	v_ffbh_u32_e32 v24, v21
	v_min_u32_e32 v27, 32, v24
	v_subrev_u32_e32 v24, 28, v27
	v_lshlrev_b64 v[24:25], v24, v[6:7]
	v_lshrrev_b32_e32 v23, 3, v14
	v_sub_u32_e32 v6, 29, v27
	v_and_b32_e32 v24, 7, v24
	v_cmp_gt_u32_e32 vcc, 8, v14
	v_cndmask_b32_e32 v6, v23, v6, vcc
	v_cndmask_b32_e32 v14, v21, v24, vcc
	v_lshlrev_b32_e32 v21, 16, v7
	v_bfrev_b32_e32 v23, 60
	v_lshlrev_b32_e32 v14, 20, v14
	v_and_b32_e32 v21, 0x80000000, v21
	v_lshl_add_u32 v6, v6, 23, v23
	v_or3_b32 v21, v21, v6, v14
.LBB580_627:
	s_or_b64 exec, exec, s[10:11]
.LBB580_628:
	s_or_b64 exec, exec, s[8:9]
.LBB580_629:
	s_or_b64 exec, exec, s[2:3]
	s_movk_i32 s2, 0xff
	v_and_b32_sdwa v14, v7, s2 dst_sel:DWORD dst_unused:UNUSED_PAD src0_sel:WORD_1 src1_sel:DWORD
	v_lshrrev_b32_e32 v6, 16, v7
	v_cmp_ne_u16_e32 vcc, 0, v14
	s_and_saveexec_b64 s[2:3], vcc
	s_cbranch_execz .LBB580_635
; %bb.630:
	s_movk_i32 s7, 0x80
	v_cmp_ne_u16_e32 vcc, s7, v14
	v_bfrev_b32_e32 v20, 1
	s_and_saveexec_b64 s[8:9], vcc
	s_cbranch_execz .LBB580_634
; %bb.631:
	v_bfe_u32 v14, v7, 16, 7
	s_movk_i32 s7, 0x7f
	v_cmp_ne_u32_e32 vcc, s7, v14
	v_mov_b32_e32 v20, 0x7f800001
	s_and_saveexec_b64 s[10:11], vcc
	s_cbranch_execz .LBB580_633
; %bb.632:
	v_and_b32_e32 v20, 7, v6
	v_ffbh_u32_e32 v24, v20
	v_min_u32_e32 v27, 32, v24
	v_subrev_u32_e32 v24, 28, v27
	v_lshlrev_b64 v[24:25], v24, v[6:7]
	v_and_b32_e32 v24, 7, v24
	v_cmp_gt_u32_e32 vcc, 8, v14
	v_lshrrev_b32_e32 v23, 3, v14
	v_sub_u32_e32 v6, 29, v27
	v_cndmask_b32_e32 v14, v20, v24, vcc
	v_mov_b32_e32 v20, 24
	v_cndmask_b32_e32 v6, v23, v6, vcc
	v_lshlrev_b32_sdwa v20, v20, v7 dst_sel:DWORD dst_unused:UNUSED_PAD src0_sel:DWORD src1_sel:WORD_1
	v_bfrev_b32_e32 v23, 60
	v_lshlrev_b32_e32 v14, 20, v14
	v_and_b32_e32 v20, 0x80000000, v20
	v_lshl_add_u32 v6, v6, 23, v23
	v_or3_b32 v20, v20, v6, v14
.LBB580_633:
	s_or_b64 exec, exec, s[10:11]
.LBB580_634:
	s_or_b64 exec, exec, s[8:9]
.LBB580_635:
	s_or_b64 exec, exec, s[2:3]
	s_mov_b32 s2, 0xffffff
	v_cmp_lt_u32_e32 vcc, s2, v7
	v_mov_b32_e32 v14, 0
	v_mov_b32_e32 v23, 0
	s_and_saveexec_b64 s[2:3], vcc
	s_cbranch_execz .LBB580_641
; %bb.636:
	v_lshrrev_b32_e32 v6, 24, v7
	s_movk_i32 s7, 0x80
	v_cmp_ne_u32_e32 vcc, s7, v6
	v_bfrev_b32_e32 v23, 1
	s_and_saveexec_b64 s[8:9], vcc
	s_cbranch_execz .LBB580_640
; %bb.637:
	v_bfe_u32 v7, v7, 24, 7
	s_movk_i32 s7, 0x7f
	v_cmp_ne_u32_e32 vcc, s7, v7
	v_mov_b32_e32 v23, 0x7f800001
	s_and_saveexec_b64 s[10:11], vcc
	s_cbranch_execz .LBB580_639
; %bb.638:
	v_and_b32_e32 v23, 7, v6
	v_ffbh_u32_e32 v24, v23
	v_min_u32_e32 v28, 32, v24
	v_subrev_u32_e32 v24, 28, v28
	v_lshlrev_b64 v[24:25], v24, v[6:7]
	v_lshrrev_b32_e32 v27, 3, v7
	v_sub_u32_e32 v25, 29, v28
	v_and_b32_e32 v24, 7, v24
	v_cmp_gt_u32_e32 vcc, 8, v7
	v_cndmask_b32_e32 v7, v27, v25, vcc
	v_cndmask_b32_e32 v23, v23, v24, vcc
	v_lshlrev_b32_e32 v6, 24, v6
	v_bfrev_b32_e32 v24, 60
	v_lshlrev_b32_e32 v23, 20, v23
	v_and_b32_e32 v6, 0x80000000, v6
	v_lshl_add_u32 v7, v7, 23, v24
	v_or3_b32 v23, v6, v7, v23
.LBB580_639:
	s_or_b64 exec, exec, s[10:11]
.LBB580_640:
	s_or_b64 exec, exec, s[8:9]
.LBB580_641:
	s_or_b64 exec, exec, s[2:3]
	v_cvt_pkrtz_f16_f32 v6, v19, v16
	v_cvt_pkrtz_f16_f32 v7, v15, v18
	ds_read_b128 v[28:31], v22 offset:4096
	v_cmp_ne_u16_sdwa s[8:9], v8, v14 src0_sel:BYTE_0 src1_sel:DWORD
	s_waitcnt lgkmcnt(0)
	v_mfma_f32_16x16x16f16 v[10:13], v[6:7], v[28:29], v[10:13]
	v_cvt_pkrtz_f16_f32 v6, v17, v21
	v_cvt_pkrtz_f16_f32 v7, v20, v23
	s_nop 1
	v_mfma_f32_16x16x16f16 v[10:13], v[6:7], v[30:31], v[10:13]
	s_and_saveexec_b64 s[2:3], s[8:9]
	s_cbranch_execz .LBB580_647
; %bb.642:
	s_movk_i32 s7, 0x80
	v_cmp_ne_u16_sdwa s[10:11], v8, s7 src0_sel:BYTE_0 src1_sel:DWORD
	v_bfrev_b32_e32 v14, 1
	s_and_saveexec_b64 s[8:9], s[10:11]
	s_cbranch_execz .LBB580_646
; %bb.643:
	s_movk_i32 s7, 0x7f
	v_and_b32_e32 v6, 0x7f, v8
	v_cmp_ne_u32_e32 vcc, s7, v6
	v_mov_b32_e32 v14, 0x7f800001
	s_and_saveexec_b64 s[10:11], vcc
	s_cbranch_execz .LBB580_645
; %bb.644:
	v_and_b32_e32 v7, 7, v8
	v_ffbh_u32_e32 v14, v7
	v_min_u32_e32 v17, 32, v14
	v_subrev_u32_e32 v14, 28, v17
	v_lshlrev_b64 v[14:15], v14, v[8:9]
	v_lshrrev_b32_e32 v16, 3, v6
	v_sub_u32_e32 v15, 29, v17
	v_and_b32_e32 v14, 7, v14
	v_cmp_gt_u32_e32 vcc, 8, v6
	v_cndmask_b32_e32 v6, v16, v15, vcc
	v_cndmask_b32_e32 v7, v7, v14, vcc
	v_lshlrev_b32_e32 v14, 24, v8
	v_bfrev_b32_e32 v15, 60
	v_lshlrev_b32_e32 v7, 20, v7
	v_and_b32_e32 v14, 0x80000000, v14
	v_lshl_add_u32 v6, v6, 23, v15
	v_or3_b32 v14, v14, v6, v7
.LBB580_645:
	s_or_b64 exec, exec, s[10:11]
.LBB580_646:
	s_or_b64 exec, exec, s[8:9]
.LBB580_647:
	s_or_b64 exec, exec, s[2:3]
	v_lshrrev_b16_e32 v6, 8, v8
	v_cmp_ne_u16_e32 vcc, 0, v6
	v_mov_b32_e32 v7, 0
	v_mov_b32_e32 v16, 0
	s_and_saveexec_b64 s[2:3], vcc
	s_cbranch_execz .LBB580_653
; %bb.648:
	s_movk_i32 s7, 0x80
	v_cmp_ne_u16_e32 vcc, s7, v6
	v_bfrev_b32_e32 v16, 1
	s_and_saveexec_b64 s[8:9], vcc
	s_cbranch_execz .LBB580_652
; %bb.649:
	s_movk_i32 s7, 0x7f
	v_and_b32_e32 v15, 0x7f, v6
	v_cmp_ne_u32_e32 vcc, s7, v15
	v_mov_b32_e32 v16, 0x7f800001
	s_and_saveexec_b64 s[10:11], vcc
	s_cbranch_execz .LBB580_651
; %bb.650:
	v_and_b32_e32 v18, 7, v6
	v_ffbh_u32_e32 v16, v18
	v_min_u32_e32 v20, 32, v16
	v_subrev_u32_e32 v16, 28, v20
	v_lshlrev_b64 v[16:17], v16, v[6:7]
	v_lshrrev_b32_e32 v19, 3, v15
	v_sub_u32_e32 v6, 29, v20
	v_and_b32_e32 v16, 7, v16
	v_cmp_gt_u32_e32 vcc, 8, v15
	v_cndmask_b32_e32 v6, v19, v6, vcc
	v_cndmask_b32_e32 v15, v18, v16, vcc
	v_lshlrev_b32_e32 v16, 16, v8
	v_bfrev_b32_e32 v17, 60
	v_lshlrev_b32_e32 v15, 20, v15
	v_and_b32_e32 v16, 0x80000000, v16
	v_lshl_add_u32 v6, v6, 23, v17
	v_or3_b32 v16, v16, v6, v15
.LBB580_651:
	s_or_b64 exec, exec, s[10:11]
.LBB580_652:
	s_or_b64 exec, exec, s[8:9]
.LBB580_653:
	s_or_b64 exec, exec, s[2:3]
	s_movk_i32 s2, 0xff
	v_and_b32_sdwa v15, v8, s2 dst_sel:DWORD dst_unused:UNUSED_PAD src0_sel:WORD_1 src1_sel:DWORD
	v_lshrrev_b32_e32 v6, 16, v8
	v_cmp_ne_u16_e32 vcc, 0, v15
	s_and_saveexec_b64 s[2:3], vcc
	s_cbranch_execz .LBB580_659
; %bb.654:
	s_movk_i32 s7, 0x80
	v_cmp_ne_u16_e32 vcc, s7, v15
	v_bfrev_b32_e32 v7, 1
	s_and_saveexec_b64 s[8:9], vcc
	s_cbranch_execz .LBB580_658
; %bb.655:
	v_bfe_u32 v15, v8, 16, 7
	s_movk_i32 s7, 0x7f
	v_cmp_ne_u32_e32 vcc, s7, v15
	v_mov_b32_e32 v7, 0x7f800001
	s_and_saveexec_b64 s[10:11], vcc
	s_cbranch_execz .LBB580_657
; %bb.656:
	v_and_b32_e32 v17, 7, v6
	v_ffbh_u32_e32 v7, v17
	v_min_u32_e32 v19, 32, v7
	v_subrev_u32_e32 v7, 28, v19
	v_lshlrev_b64 v[6:7], v7, v[6:7]
	v_lshrrev_b32_e32 v18, 3, v15
	v_sub_u32_e32 v7, 29, v19
	v_and_b32_e32 v6, 7, v6
	v_cmp_gt_u32_e32 vcc, 8, v15
	v_mov_b32_e32 v15, 24
	v_cndmask_b32_e32 v7, v18, v7, vcc
	v_cndmask_b32_e32 v6, v17, v6, vcc
	v_lshlrev_b32_sdwa v15, v15, v8 dst_sel:DWORD dst_unused:UNUSED_PAD src0_sel:DWORD src1_sel:WORD_1
	v_bfrev_b32_e32 v17, 60
	v_lshlrev_b32_e32 v6, 20, v6
	v_and_b32_e32 v15, 0x80000000, v15
	v_lshl_add_u32 v7, v7, 23, v17
	v_or3_b32 v7, v15, v7, v6
.LBB580_657:
	s_or_b64 exec, exec, s[10:11]
.LBB580_658:
	s_or_b64 exec, exec, s[8:9]
.LBB580_659:
	s_or_b64 exec, exec, s[2:3]
	s_mov_b32 s2, 0xffffff
	v_cmp_lt_u32_e32 vcc, s2, v8
	v_mov_b32_e32 v17, 0
	v_mov_b32_e32 v18, 0
	s_and_saveexec_b64 s[2:3], vcc
	s_cbranch_execz .LBB580_665
; %bb.660:
	v_lshrrev_b32_e32 v6, 24, v8
	s_movk_i32 s7, 0x80
	v_cmp_ne_u32_e32 vcc, s7, v6
	v_bfrev_b32_e32 v18, 1
	s_and_saveexec_b64 s[8:9], vcc
	s_cbranch_execz .LBB580_664
; %bb.661:
	v_bfe_u32 v8, v8, 24, 7
	s_movk_i32 s7, 0x7f
	v_cmp_ne_u32_e32 vcc, s7, v8
	v_mov_b32_e32 v18, 0x7f800001
	s_and_saveexec_b64 s[10:11], vcc
	s_cbranch_execz .LBB580_663
; %bb.662:
	v_and_b32_e32 v15, 7, v6
	v_ffbh_u32_e32 v18, v15
	v_min_u32_e32 v21, 32, v18
	v_subrev_u32_e32 v18, 28, v21
	v_lshlrev_b64 v[18:19], v18, v[6:7]
	v_lshrrev_b32_e32 v20, 3, v8
	v_sub_u32_e32 v19, 29, v21
	v_and_b32_e32 v18, 7, v18
	v_cmp_gt_u32_e32 vcc, 8, v8
	v_cndmask_b32_e32 v8, v20, v19, vcc
	v_cndmask_b32_e32 v15, v15, v18, vcc
	v_lshlrev_b32_e32 v6, 24, v6
	v_bfrev_b32_e32 v18, 60
	v_lshlrev_b32_e32 v15, 20, v15
	v_and_b32_e32 v6, 0x80000000, v6
	v_lshl_add_u32 v8, v8, 23, v18
	v_or3_b32 v18, v6, v8, v15
.LBB580_663:
	s_or_b64 exec, exec, s[10:11]
.LBB580_664:
	s_or_b64 exec, exec, s[8:9]
.LBB580_665:
	s_or_b64 exec, exec, s[2:3]
	v_cmp_ne_u16_sdwa s[8:9], v9, v17 src0_sel:BYTE_0 src1_sel:DWORD
	s_and_saveexec_b64 s[2:3], s[8:9]
	s_cbranch_execz .LBB580_671
; %bb.666:
	s_movk_i32 s7, 0x80
	v_cmp_ne_u16_sdwa s[10:11], v9, s7 src0_sel:BYTE_0 src1_sel:DWORD
	v_bfrev_b32_e32 v17, 1
	s_and_saveexec_b64 s[8:9], s[10:11]
	s_cbranch_execz .LBB580_670
; %bb.667:
	s_movk_i32 s7, 0x7f
	v_and_b32_e32 v6, 0x7f, v9
	v_cmp_ne_u32_e32 vcc, s7, v6
	v_mov_b32_e32 v17, 0x7f800001
	s_and_saveexec_b64 s[10:11], vcc
	s_cbranch_execz .LBB580_669
; %bb.668:
	v_and_b32_e32 v15, 7, v9
	v_ffbh_u32_e32 v19, v15
	v_min_u32_e32 v19, 32, v19
	v_mov_b32_e32 v8, v9
	v_subrev_u32_e32 v20, 28, v19
	v_lshlrev_b64 v[20:21], v20, v[8:9]
	v_lshrrev_b32_e32 v17, 3, v6
	v_sub_u32_e32 v8, 29, v19
	v_and_b32_e32 v19, 7, v20
	v_cmp_gt_u32_e32 vcc, 8, v6
	v_cndmask_b32_e32 v6, v17, v8, vcc
	v_cndmask_b32_e32 v8, v15, v19, vcc
	v_lshlrev_b32_e32 v15, 24, v9
	v_bfrev_b32_e32 v17, 60
	v_lshlrev_b32_e32 v8, 20, v8
	v_and_b32_e32 v15, 0x80000000, v15
	v_lshl_add_u32 v6, v6, 23, v17
	v_or3_b32 v17, v15, v6, v8
.LBB580_669:
	s_or_b64 exec, exec, s[10:11]
.LBB580_670:
	s_or_b64 exec, exec, s[8:9]
.LBB580_671:
	s_or_b64 exec, exec, s[2:3]
	v_lshrrev_b16_e32 v6, 8, v9
	v_cmp_ne_u16_e32 vcc, 0, v6
	v_mov_b32_e32 v8, 0
	v_mov_b32_e32 v19, 0
	s_and_saveexec_b64 s[2:3], vcc
	s_cbranch_execz .LBB580_677
; %bb.672:
	s_movk_i32 s7, 0x80
	v_cmp_ne_u16_e32 vcc, s7, v6
	v_bfrev_b32_e32 v19, 1
	s_and_saveexec_b64 s[8:9], vcc
	s_cbranch_execz .LBB580_676
; %bb.673:
	s_movk_i32 s7, 0x7f
	v_and_b32_e32 v15, 0x7f, v6
	v_cmp_ne_u32_e32 vcc, s7, v15
	v_mov_b32_e32 v19, 0x7f800001
	s_and_saveexec_b64 s[10:11], vcc
	s_cbranch_execz .LBB580_675
; %bb.674:
	v_and_b32_e32 v19, 7, v6
	v_ffbh_u32_e32 v20, v19
	v_min_u32_e32 v24, 32, v20
	v_subrev_u32_e32 v20, 28, v24
	v_lshlrev_b64 v[20:21], v20, v[6:7]
	v_lshrrev_b32_e32 v23, 3, v15
	v_sub_u32_e32 v6, 29, v24
	v_and_b32_e32 v20, 7, v20
	v_cmp_gt_u32_e32 vcc, 8, v15
	v_cndmask_b32_e32 v6, v23, v6, vcc
	v_cndmask_b32_e32 v15, v19, v20, vcc
	v_lshlrev_b32_e32 v19, 16, v9
	v_bfrev_b32_e32 v20, 60
	v_lshlrev_b32_e32 v15, 20, v15
	v_and_b32_e32 v19, 0x80000000, v19
	v_lshl_add_u32 v6, v6, 23, v20
	v_or3_b32 v19, v19, v6, v15
.LBB580_675:
	s_or_b64 exec, exec, s[10:11]
.LBB580_676:
	s_or_b64 exec, exec, s[8:9]
.LBB580_677:
	s_or_b64 exec, exec, s[2:3]
	s_movk_i32 s2, 0xff
	v_and_b32_sdwa v15, v9, s2 dst_sel:DWORD dst_unused:UNUSED_PAD src0_sel:WORD_1 src1_sel:DWORD
	v_lshrrev_b32_e32 v6, 16, v9
	v_cmp_ne_u16_e32 vcc, 0, v15
	s_and_saveexec_b64 s[2:3], vcc
	s_cbranch_execz .LBB580_683
; %bb.678:
	s_movk_i32 s7, 0x80
	v_cmp_ne_u16_e32 vcc, s7, v15
	v_bfrev_b32_e32 v8, 1
	s_and_saveexec_b64 s[8:9], vcc
	s_cbranch_execz .LBB580_682
; %bb.679:
	v_bfe_u32 v15, v9, 16, 7
	s_movk_i32 s7, 0x7f
	v_cmp_ne_u32_e32 vcc, s7, v15
	v_mov_b32_e32 v8, 0x7f800001
	s_and_saveexec_b64 s[10:11], vcc
	s_cbranch_execz .LBB580_681
; %bb.680:
	v_and_b32_e32 v8, 7, v6
	v_ffbh_u32_e32 v20, v8
	v_min_u32_e32 v24, 32, v20
	v_subrev_u32_e32 v20, 28, v24
	v_lshlrev_b64 v[20:21], v20, v[6:7]
	v_lshrrev_b32_e32 v23, 3, v15
	v_sub_u32_e32 v6, 29, v24
	v_and_b32_e32 v20, 7, v20
	v_cmp_gt_u32_e32 vcc, 8, v15
	v_mov_b32_e32 v15, 24
	v_cndmask_b32_e32 v6, v23, v6, vcc
	v_cndmask_b32_e32 v8, v8, v20, vcc
	v_lshlrev_b32_sdwa v15, v15, v9 dst_sel:DWORD dst_unused:UNUSED_PAD src0_sel:DWORD src1_sel:WORD_1
	v_bfrev_b32_e32 v20, 60
	v_lshlrev_b32_e32 v8, 20, v8
	v_and_b32_e32 v15, 0x80000000, v15
	v_lshl_add_u32 v6, v6, 23, v20
	v_or3_b32 v8, v15, v6, v8
.LBB580_681:
	s_or_b64 exec, exec, s[10:11]
.LBB580_682:
	s_or_b64 exec, exec, s[8:9]
.LBB580_683:
	s_or_b64 exec, exec, s[2:3]
	s_mov_b32 s2, 0xffffff
	v_cmp_lt_u32_e32 vcc, s2, v9
	v_mov_b32_e32 v15, 0
	v_mov_b32_e32 v20, 0
	s_and_saveexec_b64 s[2:3], vcc
	s_cbranch_execz .LBB580_689
; %bb.684:
	v_lshrrev_b32_e32 v6, 24, v9
	s_movk_i32 s7, 0x80
	v_cmp_ne_u32_e32 vcc, s7, v6
	v_bfrev_b32_e32 v20, 1
	s_and_saveexec_b64 s[8:9], vcc
	s_cbranch_execz .LBB580_688
; %bb.685:
	v_bfe_u32 v9, v9, 24, 7
	s_movk_i32 s7, 0x7f
	v_cmp_ne_u32_e32 vcc, s7, v9
	v_mov_b32_e32 v20, 0x7f800001
	s_and_saveexec_b64 s[10:11], vcc
	s_cbranch_execz .LBB580_687
; %bb.686:
	v_and_b32_e32 v23, 7, v6
	v_ffbh_u32_e32 v20, v23
	v_min_u32_e32 v25, 32, v20
	v_subrev_u32_e32 v20, 28, v25
	v_lshlrev_b64 v[20:21], v20, v[6:7]
	v_lshrrev_b32_e32 v24, 3, v9
	v_sub_u32_e32 v21, 29, v25
	v_and_b32_e32 v20, 7, v20
	v_cmp_gt_u32_e32 vcc, 8, v9
	v_cndmask_b32_e32 v9, v24, v21, vcc
	v_cndmask_b32_e32 v20, v23, v20, vcc
	v_lshlrev_b32_e32 v6, 24, v6
	v_bfrev_b32_e32 v21, 60
	v_lshlrev_b32_e32 v20, 20, v20
	v_and_b32_e32 v6, 0x80000000, v6
	v_lshl_add_u32 v9, v9, 23, v21
	v_or3_b32 v20, v6, v9, v20
.LBB580_687:
	s_or_b64 exec, exec, s[10:11]
.LBB580_688:
	s_or_b64 exec, exec, s[8:9]
.LBB580_689:
	s_or_b64 exec, exec, s[2:3]
	v_cvt_pkrtz_f16_f32 v6, v14, v16
	v_cvt_pkrtz_f16_f32 v7, v7, v18
	ds_read_b128 v[28:31], v22 offset:4112
	s_waitcnt vmcnt(0)
	v_cmp_ne_u16_sdwa s[8:9], v2, v15 src0_sel:BYTE_0 src1_sel:DWORD
	s_waitcnt lgkmcnt(0)
	v_mfma_f32_16x16x16f16 v[10:13], v[6:7], v[28:29], v[10:13]
	v_cvt_pkrtz_f16_f32 v6, v17, v19
	v_cvt_pkrtz_f16_f32 v7, v8, v20
	s_nop 1
	v_mfma_f32_16x16x16f16 v[6:9], v[6:7], v[30:31], v[10:13]
	s_and_saveexec_b64 s[2:3], s[8:9]
	s_cbranch_execz .LBB580_695
; %bb.690:
	s_movk_i32 s7, 0x80
	v_cmp_ne_u16_sdwa s[10:11], v2, s7 src0_sel:BYTE_0 src1_sel:DWORD
	v_bfrev_b32_e32 v15, 1
	s_and_saveexec_b64 s[8:9], s[10:11]
	s_cbranch_execz .LBB580_694
; %bb.691:
	s_movk_i32 s7, 0x7f
	v_and_b32_e32 v10, 0x7f, v2
	v_cmp_ne_u32_e32 vcc, s7, v10
	v_mov_b32_e32 v15, 0x7f800001
	s_and_saveexec_b64 s[10:11], vcc
	s_cbranch_execz .LBB580_693
; %bb.692:
	v_and_b32_e32 v11, 7, v2
	v_ffbh_u32_e32 v12, v11
	v_min_u32_e32 v15, 32, v12
	v_subrev_u32_e32 v12, 28, v15
	v_lshlrev_b64 v[12:13], v12, v[2:3]
	v_lshrrev_b32_e32 v14, 3, v10
	v_sub_u32_e32 v13, 29, v15
	v_and_b32_e32 v12, 7, v12
	v_cmp_gt_u32_e32 vcc, 8, v10
	v_cndmask_b32_e32 v10, v14, v13, vcc
	v_cndmask_b32_e32 v11, v11, v12, vcc
	v_lshlrev_b32_e32 v12, 24, v2
	v_bfrev_b32_e32 v13, 60
	v_lshlrev_b32_e32 v11, 20, v11
	v_and_b32_e32 v12, 0x80000000, v12
	v_lshl_add_u32 v10, v10, 23, v13
	v_or3_b32 v15, v12, v10, v11
.LBB580_693:
	s_or_b64 exec, exec, s[10:11]
.LBB580_694:
	s_or_b64 exec, exec, s[8:9]
.LBB580_695:
	s_or_b64 exec, exec, s[2:3]
	s_nop 3
	v_lshrrev_b16_e32 v10, 8, v2
	v_cmp_ne_u16_e32 vcc, 0, v10
	v_mov_b32_e32 v11, 0
	v_mov_b32_e32 v12, 0
	s_and_saveexec_b64 s[2:3], vcc
	s_cbranch_execz .LBB580_701
; %bb.696:
	s_movk_i32 s7, 0x80
	v_cmp_ne_u16_e32 vcc, s7, v10
	v_bfrev_b32_e32 v12, 1
	s_and_saveexec_b64 s[8:9], vcc
	s_cbranch_execz .LBB580_700
; %bb.697:
	s_movk_i32 s7, 0x7f
	v_and_b32_e32 v13, 0x7f, v10
	v_cmp_ne_u32_e32 vcc, s7, v13
	v_mov_b32_e32 v12, 0x7f800001
	s_and_saveexec_b64 s[10:11], vcc
	s_cbranch_execz .LBB580_699
; %bb.698:
	v_and_b32_e32 v12, 7, v10
	v_ffbh_u32_e32 v16, v12
	v_min_u32_e32 v18, 32, v16
	v_subrev_u32_e32 v16, 28, v18
	v_lshlrev_b64 v[16:17], v16, v[10:11]
	v_lshrrev_b32_e32 v14, 3, v13
	v_sub_u32_e32 v10, 29, v18
	v_and_b32_e32 v16, 7, v16
	v_cmp_gt_u32_e32 vcc, 8, v13
	v_cndmask_b32_e32 v10, v14, v10, vcc
	v_cndmask_b32_e32 v12, v12, v16, vcc
	v_lshlrev_b32_e32 v13, 16, v2
	v_bfrev_b32_e32 v14, 60
	v_lshlrev_b32_e32 v12, 20, v12
	v_and_b32_e32 v13, 0x80000000, v13
	v_lshl_add_u32 v10, v10, 23, v14
	v_or3_b32 v12, v13, v10, v12
.LBB580_699:
	s_or_b64 exec, exec, s[10:11]
.LBB580_700:
	s_or_b64 exec, exec, s[8:9]
.LBB580_701:
	s_or_b64 exec, exec, s[2:3]
	s_movk_i32 s2, 0xff
	v_and_b32_sdwa v13, v2, s2 dst_sel:DWORD dst_unused:UNUSED_PAD src0_sel:WORD_1 src1_sel:DWORD
	v_lshrrev_b32_e32 v10, 16, v2
	v_cmp_ne_u16_e32 vcc, 0, v13
	s_and_saveexec_b64 s[2:3], vcc
	s_cbranch_execz .LBB580_707
; %bb.702:
	s_movk_i32 s7, 0x80
	v_cmp_ne_u16_e32 vcc, s7, v13
	v_bfrev_b32_e32 v11, 1
	s_and_saveexec_b64 s[8:9], vcc
	s_cbranch_execz .LBB580_706
; %bb.703:
	v_bfe_u32 v13, v2, 16, 7
	s_movk_i32 s7, 0x7f
	v_cmp_ne_u32_e32 vcc, s7, v13
	v_mov_b32_e32 v11, 0x7f800001
	s_and_saveexec_b64 s[10:11], vcc
	s_cbranch_execz .LBB580_705
; %bb.704:
	v_and_b32_e32 v14, 7, v10
	v_ffbh_u32_e32 v11, v14
	v_min_u32_e32 v17, 32, v11
	v_subrev_u32_e32 v11, 28, v17
	v_lshlrev_b64 v[10:11], v11, v[10:11]
	v_lshrrev_b32_e32 v16, 3, v13
	v_sub_u32_e32 v11, 29, v17
	v_and_b32_e32 v10, 7, v10
	v_cmp_gt_u32_e32 vcc, 8, v13
	v_mov_b32_e32 v13, 24
	v_cndmask_b32_e32 v11, v16, v11, vcc
	v_cndmask_b32_e32 v10, v14, v10, vcc
	v_lshlrev_b32_sdwa v13, v13, v2 dst_sel:DWORD dst_unused:UNUSED_PAD src0_sel:DWORD src1_sel:WORD_1
	v_bfrev_b32_e32 v14, 60
	v_lshlrev_b32_e32 v10, 20, v10
	v_and_b32_e32 v13, 0x80000000, v13
	v_lshl_add_u32 v11, v11, 23, v14
	v_or3_b32 v11, v13, v11, v10
.LBB580_705:
	s_or_b64 exec, exec, s[10:11]
.LBB580_706:
	s_or_b64 exec, exec, s[8:9]
.LBB580_707:
	s_or_b64 exec, exec, s[2:3]
	s_mov_b32 s2, 0xffffff
	v_cmp_lt_u32_e32 vcc, s2, v2
	v_mov_b32_e32 v13, 0
	v_mov_b32_e32 v14, 0
	s_and_saveexec_b64 s[2:3], vcc
	s_cbranch_execz .LBB580_713
; %bb.708:
	v_lshrrev_b32_e32 v10, 24, v2
	s_movk_i32 s7, 0x80
	v_cmp_ne_u32_e32 vcc, s7, v10
	v_bfrev_b32_e32 v14, 1
	s_and_saveexec_b64 s[8:9], vcc
	s_cbranch_execz .LBB580_712
; %bb.709:
	v_bfe_u32 v2, v2, 24, 7
	s_movk_i32 s7, 0x7f
	v_cmp_ne_u32_e32 vcc, s7, v2
	v_mov_b32_e32 v14, 0x7f800001
	s_and_saveexec_b64 s[10:11], vcc
	s_cbranch_execz .LBB580_711
; %bb.710:
	v_and_b32_e32 v14, 7, v10
	v_ffbh_u32_e32 v16, v14
	v_min_u32_e32 v19, 32, v16
	v_subrev_u32_e32 v16, 28, v19
	v_lshlrev_b64 v[16:17], v16, v[10:11]
	v_lshrrev_b32_e32 v18, 3, v2
	v_sub_u32_e32 v17, 29, v19
	v_and_b32_e32 v16, 7, v16
	v_cmp_gt_u32_e32 vcc, 8, v2
	v_cndmask_b32_e32 v2, v18, v17, vcc
	v_cndmask_b32_e32 v14, v14, v16, vcc
	v_lshlrev_b32_e32 v10, 24, v10
	v_bfrev_b32_e32 v16, 60
	v_lshlrev_b32_e32 v14, 20, v14
	v_and_b32_e32 v10, 0x80000000, v10
	v_lshl_add_u32 v2, v2, 23, v16
	v_or3_b32 v14, v10, v2, v14
.LBB580_711:
	s_or_b64 exec, exec, s[10:11]
.LBB580_712:
	s_or_b64 exec, exec, s[8:9]
.LBB580_713:
	s_or_b64 exec, exec, s[2:3]
	v_cmp_ne_u16_sdwa s[8:9], v3, v13 src0_sel:BYTE_0 src1_sel:DWORD
	s_and_saveexec_b64 s[2:3], s[8:9]
	s_cbranch_execz .LBB580_719
; %bb.714:
	s_movk_i32 s7, 0x80
	v_cmp_ne_u16_sdwa s[10:11], v3, s7 src0_sel:BYTE_0 src1_sel:DWORD
	v_bfrev_b32_e32 v13, 1
	s_and_saveexec_b64 s[8:9], s[10:11]
	s_cbranch_execz .LBB580_718
; %bb.715:
	s_movk_i32 s7, 0x7f
	v_and_b32_e32 v2, 0x7f, v3
	v_cmp_ne_u32_e32 vcc, s7, v2
	v_mov_b32_e32 v13, 0x7f800001
	s_and_saveexec_b64 s[10:11], vcc
	s_cbranch_execz .LBB580_717
; %bb.716:
	v_and_b32_e32 v13, 7, v3
	v_ffbh_u32_e32 v16, v13
	v_min_u32_e32 v19, 32, v16
	v_mov_b32_e32 v10, v3
	v_subrev_u32_e32 v16, 28, v19
	v_lshlrev_b64 v[16:17], v16, v[10:11]
	v_lshrrev_b32_e32 v18, 3, v2
	v_sub_u32_e32 v10, 29, v19
	v_and_b32_e32 v16, 7, v16
	v_cmp_gt_u32_e32 vcc, 8, v2
	v_cndmask_b32_e32 v2, v18, v10, vcc
	v_cndmask_b32_e32 v10, v13, v16, vcc
	v_lshlrev_b32_e32 v13, 24, v3
	v_bfrev_b32_e32 v16, 60
	v_lshlrev_b32_e32 v10, 20, v10
	v_and_b32_e32 v13, 0x80000000, v13
	v_lshl_add_u32 v2, v2, 23, v16
	v_or3_b32 v13, v13, v2, v10
.LBB580_717:
	s_or_b64 exec, exec, s[10:11]
.LBB580_718:
	s_or_b64 exec, exec, s[8:9]
.LBB580_719:
	s_or_b64 exec, exec, s[2:3]
	v_lshrrev_b16_e32 v2, 8, v3
	v_cmp_ne_u16_e32 vcc, 0, v2
	v_mov_b32_e32 v16, 0
	v_mov_b32_e32 v17, 0
	s_and_saveexec_b64 s[2:3], vcc
	s_cbranch_execz .LBB580_725
; %bb.720:
	s_movk_i32 s7, 0x80
	v_cmp_ne_u16_e32 vcc, s7, v2
	v_bfrev_b32_e32 v17, 1
	s_and_saveexec_b64 s[8:9], vcc
	s_cbranch_execz .LBB580_724
; %bb.721:
	s_movk_i32 s7, 0x7f
	v_and_b32_e32 v10, 0x7f, v2
	v_cmp_ne_u32_e32 vcc, s7, v10
	v_mov_b32_e32 v17, 0x7f800001
	s_and_saveexec_b64 s[10:11], vcc
	s_cbranch_execz .LBB580_723
; %bb.722:
	v_and_b32_e32 v17, 7, v2
	v_ffbh_u32_e32 v18, v17
	v_min_u32_e32 v21, 32, v18
	v_subrev_u32_e32 v18, 28, v21
	v_lshlrev_b64 v[18:19], v18, v[2:3]
	v_lshrrev_b32_e32 v20, 3, v10
	v_sub_u32_e32 v2, 29, v21
	v_and_b32_e32 v18, 7, v18
	v_cmp_gt_u32_e32 vcc, 8, v10
	v_cndmask_b32_e32 v2, v20, v2, vcc
	v_cndmask_b32_e32 v10, v17, v18, vcc
	v_lshlrev_b32_e32 v17, 16, v3
	v_bfrev_b32_e32 v18, 60
	v_lshlrev_b32_e32 v10, 20, v10
	v_and_b32_e32 v17, 0x80000000, v17
	v_lshl_add_u32 v2, v2, 23, v18
	v_or3_b32 v17, v17, v2, v10
.LBB580_723:
	s_or_b64 exec, exec, s[10:11]
.LBB580_724:
	s_or_b64 exec, exec, s[8:9]
.LBB580_725:
	s_or_b64 exec, exec, s[2:3]
	s_movk_i32 s2, 0xff
	v_and_b32_sdwa v10, v3, s2 dst_sel:DWORD dst_unused:UNUSED_PAD src0_sel:WORD_1 src1_sel:DWORD
	v_lshrrev_b32_e32 v2, 16, v3
	v_cmp_ne_u16_e32 vcc, 0, v10
	s_and_saveexec_b64 s[2:3], vcc
	s_cbranch_execz .LBB580_731
; %bb.726:
	s_movk_i32 s7, 0x80
	v_cmp_ne_u16_e32 vcc, s7, v10
	v_bfrev_b32_e32 v16, 1
	s_and_saveexec_b64 s[8:9], vcc
	s_cbranch_execz .LBB580_730
; %bb.727:
	v_bfe_u32 v10, v3, 16, 7
	s_movk_i32 s7, 0x7f
	v_cmp_ne_u32_e32 vcc, s7, v10
	v_mov_b32_e32 v16, 0x7f800001
	s_and_saveexec_b64 s[10:11], vcc
	s_cbranch_execz .LBB580_729
; %bb.728:
	v_and_b32_e32 v16, 7, v2
	v_ffbh_u32_e32 v18, v16
	v_min_u32_e32 v21, 32, v18
	v_subrev_u32_e32 v18, 28, v21
	v_lshlrev_b64 v[18:19], v18, v[2:3]
	v_and_b32_e32 v18, 7, v18
	v_cmp_gt_u32_e32 vcc, 8, v10
	v_lshrrev_b32_e32 v20, 3, v10
	v_sub_u32_e32 v2, 29, v21
	v_cndmask_b32_e32 v10, v16, v18, vcc
	v_mov_b32_e32 v16, 24
	v_cndmask_b32_e32 v2, v20, v2, vcc
	v_lshlrev_b32_sdwa v16, v16, v3 dst_sel:DWORD dst_unused:UNUSED_PAD src0_sel:DWORD src1_sel:WORD_1
	v_bfrev_b32_e32 v18, 60
	v_lshlrev_b32_e32 v10, 20, v10
	v_and_b32_e32 v16, 0x80000000, v16
	v_lshl_add_u32 v2, v2, 23, v18
	v_or3_b32 v16, v16, v2, v10
.LBB580_729:
	s_or_b64 exec, exec, s[10:11]
.LBB580_730:
	s_or_b64 exec, exec, s[8:9]
.LBB580_731:
	s_or_b64 exec, exec, s[2:3]
	s_mov_b32 s2, 0xffffff
	v_cmp_lt_u32_e32 vcc, s2, v3
	v_mov_b32_e32 v10, 0
	v_mov_b32_e32 v18, 0
	s_and_saveexec_b64 s[2:3], vcc
	s_cbranch_execz .LBB580_737
; %bb.732:
	v_lshrrev_b32_e32 v2, 24, v3
	s_movk_i32 s7, 0x80
	v_cmp_ne_u32_e32 vcc, s7, v2
	v_bfrev_b32_e32 v18, 1
	s_and_saveexec_b64 s[8:9], vcc
	s_cbranch_execz .LBB580_736
; %bb.733:
	v_bfe_u32 v3, v3, 24, 7
	s_movk_i32 s7, 0x7f
	v_cmp_ne_u32_e32 vcc, s7, v3
	v_mov_b32_e32 v18, 0x7f800001
	s_and_saveexec_b64 s[10:11], vcc
	s_cbranch_execz .LBB580_735
; %bb.734:
	v_and_b32_e32 v20, 7, v2
	v_ffbh_u32_e32 v18, v20
	v_min_u32_e32 v23, 32, v18
	v_subrev_u32_e32 v18, 28, v23
	v_lshlrev_b64 v[18:19], v18, v[2:3]
	v_lshrrev_b32_e32 v21, 3, v3
	v_sub_u32_e32 v19, 29, v23
	v_and_b32_e32 v18, 7, v18
	v_cmp_gt_u32_e32 vcc, 8, v3
	v_cndmask_b32_e32 v3, v21, v19, vcc
	v_cndmask_b32_e32 v18, v20, v18, vcc
	v_lshlrev_b32_e32 v2, 24, v2
	v_bfrev_b32_e32 v19, 60
	v_lshlrev_b32_e32 v18, 20, v18
	v_and_b32_e32 v2, 0x80000000, v2
	v_lshl_add_u32 v3, v3, 23, v19
	v_or3_b32 v18, v2, v3, v18
.LBB580_735:
	s_or_b64 exec, exec, s[10:11]
.LBB580_736:
	s_or_b64 exec, exec, s[8:9]
.LBB580_737:
	s_or_b64 exec, exec, s[2:3]
	v_cvt_pkrtz_f16_f32 v2, v15, v12
	v_cvt_pkrtz_f16_f32 v3, v11, v14
	ds_read_b128 v[28:31], v22 offset:6144
	v_cmp_ne_u16_sdwa s[8:9], v4, v10 src0_sel:BYTE_0 src1_sel:DWORD
	s_waitcnt lgkmcnt(0)
	v_mfma_f32_16x16x16f16 v[6:9], v[2:3], v[28:29], v[6:9]
	v_cvt_pkrtz_f16_f32 v2, v13, v17
	v_cvt_pkrtz_f16_f32 v3, v16, v18
	s_nop 1
	v_mfma_f32_16x16x16f16 v[6:9], v[2:3], v[30:31], v[6:9]
	s_and_saveexec_b64 s[2:3], s[8:9]
	s_cbranch_execz .LBB580_743
; %bb.738:
	s_movk_i32 s7, 0x80
	v_cmp_ne_u16_sdwa s[10:11], v4, s7 src0_sel:BYTE_0 src1_sel:DWORD
	v_bfrev_b32_e32 v10, 1
	s_and_saveexec_b64 s[8:9], s[10:11]
	s_cbranch_execz .LBB580_742
; %bb.739:
	s_movk_i32 s7, 0x7f
	v_and_b32_e32 v2, 0x7f, v4
	v_cmp_ne_u32_e32 vcc, s7, v2
	v_mov_b32_e32 v10, 0x7f800001
	s_and_saveexec_b64 s[10:11], vcc
	s_cbranch_execz .LBB580_741
; %bb.740:
	v_and_b32_e32 v3, 7, v4
	v_ffbh_u32_e32 v10, v3
	v_min_u32_e32 v13, 32, v10
	v_subrev_u32_e32 v10, 28, v13
	v_lshlrev_b64 v[10:11], v10, v[4:5]
	v_lshrrev_b32_e32 v12, 3, v2
	v_sub_u32_e32 v11, 29, v13
	v_and_b32_e32 v10, 7, v10
	v_cmp_gt_u32_e32 vcc, 8, v2
	v_cndmask_b32_e32 v2, v12, v11, vcc
	v_cndmask_b32_e32 v3, v3, v10, vcc
	v_lshlrev_b32_e32 v10, 24, v4
	v_bfrev_b32_e32 v11, 60
	v_lshlrev_b32_e32 v3, 20, v3
	v_and_b32_e32 v10, 0x80000000, v10
	v_lshl_add_u32 v2, v2, 23, v11
	v_or3_b32 v10, v10, v2, v3
.LBB580_741:
	s_or_b64 exec, exec, s[10:11]
.LBB580_742:
	s_or_b64 exec, exec, s[8:9]
.LBB580_743:
	s_or_b64 exec, exec, s[2:3]
	v_lshrrev_b16_e32 v2, 8, v4
	v_cmp_ne_u16_e32 vcc, 0, v2
	v_mov_b32_e32 v3, 0
	v_mov_b32_e32 v11, 0
	s_and_saveexec_b64 s[2:3], vcc
	s_cbranch_execz .LBB580_749
; %bb.744:
	s_movk_i32 s7, 0x80
	v_cmp_ne_u16_e32 vcc, s7, v2
	v_bfrev_b32_e32 v11, 1
	s_and_saveexec_b64 s[8:9], vcc
	s_cbranch_execz .LBB580_748
; %bb.745:
	s_movk_i32 s7, 0x7f
	v_and_b32_e32 v12, 0x7f, v2
	v_cmp_ne_u32_e32 vcc, s7, v12
	v_mov_b32_e32 v11, 0x7f800001
	s_and_saveexec_b64 s[10:11], vcc
	s_cbranch_execz .LBB580_747
; %bb.746:
	v_and_b32_e32 v11, 7, v2
	v_ffbh_u32_e32 v14, v11
	v_min_u32_e32 v16, 32, v14
	v_subrev_u32_e32 v14, 28, v16
	v_lshlrev_b64 v[14:15], v14, v[2:3]
	v_lshrrev_b32_e32 v13, 3, v12
	v_sub_u32_e32 v2, 29, v16
	v_and_b32_e32 v14, 7, v14
	v_cmp_gt_u32_e32 vcc, 8, v12
	v_cndmask_b32_e32 v2, v13, v2, vcc
	v_cndmask_b32_e32 v11, v11, v14, vcc
	v_lshlrev_b32_e32 v12, 16, v4
	v_bfrev_b32_e32 v13, 60
	v_lshlrev_b32_e32 v11, 20, v11
	v_and_b32_e32 v12, 0x80000000, v12
	v_lshl_add_u32 v2, v2, 23, v13
	v_or3_b32 v11, v12, v2, v11
.LBB580_747:
	s_or_b64 exec, exec, s[10:11]
.LBB580_748:
	s_or_b64 exec, exec, s[8:9]
.LBB580_749:
	s_or_b64 exec, exec, s[2:3]
	s_movk_i32 s2, 0xff
	v_and_b32_sdwa v12, v4, s2 dst_sel:DWORD dst_unused:UNUSED_PAD src0_sel:WORD_1 src1_sel:DWORD
	v_lshrrev_b32_e32 v2, 16, v4
	v_cmp_ne_u16_e32 vcc, 0, v12
	s_and_saveexec_b64 s[2:3], vcc
	s_cbranch_execz .LBB580_755
; %bb.750:
	s_movk_i32 s7, 0x80
	v_cmp_ne_u16_e32 vcc, s7, v12
	v_bfrev_b32_e32 v3, 1
	s_and_saveexec_b64 s[8:9], vcc
	s_cbranch_execz .LBB580_754
; %bb.751:
	v_bfe_u32 v12, v4, 16, 7
	s_movk_i32 s7, 0x7f
	v_cmp_ne_u32_e32 vcc, s7, v12
	v_mov_b32_e32 v3, 0x7f800001
	s_and_saveexec_b64 s[10:11], vcc
	s_cbranch_execz .LBB580_753
; %bb.752:
	v_and_b32_e32 v13, 7, v2
	v_ffbh_u32_e32 v3, v13
	v_min_u32_e32 v15, 32, v3
	v_subrev_u32_e32 v3, 28, v15
	v_lshlrev_b64 v[2:3], v3, v[2:3]
	v_lshrrev_b32_e32 v14, 3, v12
	v_sub_u32_e32 v3, 29, v15
	v_and_b32_e32 v2, 7, v2
	v_cmp_gt_u32_e32 vcc, 8, v12
	v_mov_b32_e32 v12, 24
	v_cndmask_b32_e32 v3, v14, v3, vcc
	v_cndmask_b32_e32 v2, v13, v2, vcc
	v_lshlrev_b32_sdwa v12, v12, v4 dst_sel:DWORD dst_unused:UNUSED_PAD src0_sel:DWORD src1_sel:WORD_1
	v_bfrev_b32_e32 v13, 60
	v_lshlrev_b32_e32 v2, 20, v2
	v_and_b32_e32 v12, 0x80000000, v12
	v_lshl_add_u32 v3, v3, 23, v13
	v_or3_b32 v3, v12, v3, v2
.LBB580_753:
	s_or_b64 exec, exec, s[10:11]
.LBB580_754:
	s_or_b64 exec, exec, s[8:9]
.LBB580_755:
	s_or_b64 exec, exec, s[2:3]
	s_mov_b32 s2, 0xffffff
	v_cmp_lt_u32_e32 vcc, s2, v4
	v_mov_b32_e32 v12, 0
	v_mov_b32_e32 v13, 0
	s_and_saveexec_b64 s[2:3], vcc
	s_cbranch_execz .LBB580_761
; %bb.756:
	v_lshrrev_b32_e32 v2, 24, v4
	s_movk_i32 s7, 0x80
	v_cmp_ne_u32_e32 vcc, s7, v2
	v_bfrev_b32_e32 v13, 1
	s_and_saveexec_b64 s[8:9], vcc
	s_cbranch_execz .LBB580_760
; %bb.757:
	v_bfe_u32 v4, v4, 24, 7
	s_movk_i32 s7, 0x7f
	v_cmp_ne_u32_e32 vcc, s7, v4
	v_mov_b32_e32 v13, 0x7f800001
	s_and_saveexec_b64 s[10:11], vcc
	s_cbranch_execz .LBB580_759
; %bb.758:
	v_and_b32_e32 v13, 7, v2
	v_ffbh_u32_e32 v14, v13
	v_min_u32_e32 v17, 32, v14
	v_subrev_u32_e32 v14, 28, v17
	v_lshlrev_b64 v[14:15], v14, v[2:3]
	v_lshrrev_b32_e32 v16, 3, v4
	v_sub_u32_e32 v15, 29, v17
	v_and_b32_e32 v14, 7, v14
	v_cmp_gt_u32_e32 vcc, 8, v4
	v_cndmask_b32_e32 v4, v16, v15, vcc
	v_cndmask_b32_e32 v13, v13, v14, vcc
	v_lshlrev_b32_e32 v2, 24, v2
	v_bfrev_b32_e32 v14, 60
	v_lshlrev_b32_e32 v13, 20, v13
	v_and_b32_e32 v2, 0x80000000, v2
	v_lshl_add_u32 v4, v4, 23, v14
	v_or3_b32 v13, v2, v4, v13
.LBB580_759:
	s_or_b64 exec, exec, s[10:11]
.LBB580_760:
	s_or_b64 exec, exec, s[8:9]
.LBB580_761:
	s_or_b64 exec, exec, s[2:3]
	v_cmp_ne_u16_sdwa s[8:9], v5, v12 src0_sel:BYTE_0 src1_sel:DWORD
	s_and_saveexec_b64 s[2:3], s[8:9]
	s_cbranch_execz .LBB580_767
; %bb.762:
	s_movk_i32 s7, 0x80
	v_cmp_ne_u16_sdwa s[10:11], v5, s7 src0_sel:BYTE_0 src1_sel:DWORD
	v_bfrev_b32_e32 v12, 1
	s_and_saveexec_b64 s[8:9], s[10:11]
	s_cbranch_execz .LBB580_766
; %bb.763:
	s_movk_i32 s7, 0x7f
	v_and_b32_e32 v2, 0x7f, v5
	v_cmp_ne_u32_e32 vcc, s7, v2
	v_mov_b32_e32 v12, 0x7f800001
	s_and_saveexec_b64 s[10:11], vcc
	s_cbranch_execz .LBB580_765
; %bb.764:
	v_and_b32_e32 v12, 7, v5
	v_ffbh_u32_e32 v14, v12
	v_min_u32_e32 v17, 32, v14
	v_mov_b32_e32 v4, v5
	v_subrev_u32_e32 v14, 28, v17
	v_lshlrev_b64 v[14:15], v14, v[4:5]
	v_lshrrev_b32_e32 v16, 3, v2
	v_sub_u32_e32 v4, 29, v17
	v_and_b32_e32 v14, 7, v14
	v_cmp_gt_u32_e32 vcc, 8, v2
	v_cndmask_b32_e32 v2, v16, v4, vcc
	v_cndmask_b32_e32 v4, v12, v14, vcc
	v_lshlrev_b32_e32 v12, 24, v5
	v_bfrev_b32_e32 v14, 60
	v_lshlrev_b32_e32 v4, 20, v4
	v_and_b32_e32 v12, 0x80000000, v12
	v_lshl_add_u32 v2, v2, 23, v14
	v_or3_b32 v12, v12, v2, v4
.LBB580_765:
	s_or_b64 exec, exec, s[10:11]
.LBB580_766:
	s_or_b64 exec, exec, s[8:9]
.LBB580_767:
	s_or_b64 exec, exec, s[2:3]
	v_lshrrev_b16_e32 v2, 8, v5
	v_cmp_ne_u16_e32 vcc, 0, v2
	v_mov_b32_e32 v4, 0
	v_mov_b32_e32 v14, 0
	s_and_saveexec_b64 s[2:3], vcc
	s_cbranch_execz .LBB580_773
; %bb.768:
	s_movk_i32 s7, 0x80
	v_cmp_ne_u16_e32 vcc, s7, v2
	v_bfrev_b32_e32 v14, 1
	s_and_saveexec_b64 s[8:9], vcc
	s_cbranch_execz .LBB580_772
; %bb.769:
	s_movk_i32 s7, 0x7f
	v_and_b32_e32 v15, 0x7f, v2
	v_cmp_ne_u32_e32 vcc, s7, v15
	v_mov_b32_e32 v14, 0x7f800001
	s_and_saveexec_b64 s[10:11], vcc
	s_cbranch_execz .LBB580_771
; %bb.770:
	v_and_b32_e32 v14, 7, v2
	v_ffbh_u32_e32 v16, v14
	v_min_u32_e32 v19, 32, v16
	v_subrev_u32_e32 v16, 28, v19
	v_lshlrev_b64 v[16:17], v16, v[2:3]
	v_lshrrev_b32_e32 v18, 3, v15
	v_sub_u32_e32 v2, 29, v19
	v_and_b32_e32 v16, 7, v16
	v_cmp_gt_u32_e32 vcc, 8, v15
	v_cndmask_b32_e32 v2, v18, v2, vcc
	v_cndmask_b32_e32 v14, v14, v16, vcc
	v_lshlrev_b32_e32 v15, 16, v5
	v_bfrev_b32_e32 v16, 60
	v_lshlrev_b32_e32 v14, 20, v14
	v_and_b32_e32 v15, 0x80000000, v15
	v_lshl_add_u32 v2, v2, 23, v16
	v_or3_b32 v14, v15, v2, v14
.LBB580_771:
	s_or_b64 exec, exec, s[10:11]
.LBB580_772:
	s_or_b64 exec, exec, s[8:9]
.LBB580_773:
	s_or_b64 exec, exec, s[2:3]
	s_movk_i32 s2, 0xff
	v_and_b32_sdwa v15, v5, s2 dst_sel:DWORD dst_unused:UNUSED_PAD src0_sel:WORD_1 src1_sel:DWORD
	v_lshrrev_b32_e32 v2, 16, v5
	v_cmp_ne_u16_e32 vcc, 0, v15
	s_and_saveexec_b64 s[2:3], vcc
	s_cbranch_execz .LBB580_779
; %bb.774:
	s_movk_i32 s7, 0x80
	v_cmp_ne_u16_e32 vcc, s7, v15
	v_bfrev_b32_e32 v4, 1
	s_and_saveexec_b64 s[8:9], vcc
	s_cbranch_execz .LBB580_778
; %bb.775:
	v_bfe_u32 v15, v5, 16, 7
	s_movk_i32 s7, 0x7f
	v_cmp_ne_u32_e32 vcc, s7, v15
	v_mov_b32_e32 v4, 0x7f800001
	s_and_saveexec_b64 s[10:11], vcc
	s_cbranch_execz .LBB580_777
; %bb.776:
	v_and_b32_e32 v4, 7, v2
	v_ffbh_u32_e32 v16, v4
	v_min_u32_e32 v19, 32, v16
	v_subrev_u32_e32 v16, 28, v19
	v_lshlrev_b64 v[16:17], v16, v[2:3]
	v_lshrrev_b32_e32 v18, 3, v15
	v_sub_u32_e32 v2, 29, v19
	v_and_b32_e32 v16, 7, v16
	v_cmp_gt_u32_e32 vcc, 8, v15
	v_mov_b32_e32 v15, 24
	v_cndmask_b32_e32 v2, v18, v2, vcc
	v_cndmask_b32_e32 v4, v4, v16, vcc
	v_lshlrev_b32_sdwa v15, v15, v5 dst_sel:DWORD dst_unused:UNUSED_PAD src0_sel:DWORD src1_sel:WORD_1
	v_bfrev_b32_e32 v16, 60
	v_lshlrev_b32_e32 v4, 20, v4
	v_and_b32_e32 v15, 0x80000000, v15
	v_lshl_add_u32 v2, v2, 23, v16
	v_or3_b32 v4, v15, v2, v4
.LBB580_777:
	s_or_b64 exec, exec, s[10:11]
.LBB580_778:
	s_or_b64 exec, exec, s[8:9]
.LBB580_779:
	s_or_b64 exec, exec, s[2:3]
	s_mov_b32 s2, 0xffffff
	v_cmp_lt_u32_e32 vcc, s2, v5
	v_mov_b32_e32 v15, 0
	s_and_saveexec_b64 s[2:3], vcc
	s_cbranch_execz .LBB580_785
; %bb.780:
	v_lshrrev_b32_e32 v2, 24, v5
	s_movk_i32 s7, 0x80
	v_cmp_ne_u32_e32 vcc, s7, v2
	v_bfrev_b32_e32 v15, 1
	s_and_saveexec_b64 s[8:9], vcc
	s_cbranch_execz .LBB580_784
; %bb.781:
	v_bfe_u32 v5, v5, 24, 7
	s_movk_i32 s7, 0x7f
	v_cmp_ne_u32_e32 vcc, s7, v5
	v_mov_b32_e32 v15, 0x7f800001
	s_and_saveexec_b64 s[10:11], vcc
	s_cbranch_execz .LBB580_783
; %bb.782:
	v_and_b32_e32 v15, 7, v2
	v_ffbh_u32_e32 v16, v15
	v_min_u32_e32 v19, 32, v16
	v_subrev_u32_e32 v16, 28, v19
	v_lshlrev_b64 v[16:17], v16, v[2:3]
	v_lshrrev_b32_e32 v18, 3, v5
	v_sub_u32_e32 v17, 29, v19
	v_and_b32_e32 v16, 7, v16
	v_cmp_gt_u32_e32 vcc, 8, v5
	v_cndmask_b32_e32 v5, v18, v17, vcc
	v_cndmask_b32_e32 v15, v15, v16, vcc
	v_lshlrev_b32_e32 v2, 24, v2
	v_bfrev_b32_e32 v16, 60
	v_lshlrev_b32_e32 v15, 20, v15
	v_and_b32_e32 v2, 0x80000000, v2
	v_lshl_add_u32 v5, v5, 23, v16
	v_or3_b32 v15, v2, v5, v15
.LBB580_783:
	s_or_b64 exec, exec, s[10:11]
.LBB580_784:
	s_or_b64 exec, exec, s[8:9]
.LBB580_785:
	s_or_b64 exec, exec, s[2:3]
	v_cvt_pkrtz_f16_f32 v2, v10, v11
	v_cvt_pkrtz_f16_f32 v3, v3, v13
	ds_read_b128 v[16:19], v22 offset:6160
	s_load_dword s2, s[42:43], 0x0
	v_cmp_gt_u32_e32 vcc, 64, v0
	s_waitcnt lgkmcnt(0)
	v_mfma_f32_16x16x16f16 v[6:9], v[2:3], v[16:17], v[6:9]
	v_cvt_pkrtz_f16_f32 v2, v12, v14
	v_cvt_pkrtz_f16_f32 v3, v4, v15
	s_and_b64 s[0:1], vcc, s[0:1]
	s_barrier
	v_mfma_f32_16x16x16f16 v[2:5], v[2:3], v[18:19], v[6:9]
	s_nop 7
	s_nop 2
	v_pk_mul_f32 v[4:5], v[4:5], s[2:3] op_sel_hi:[1,0]
	v_pk_mul_f32 v[2:3], v[2:3], s[2:3] op_sel_hi:[1,0]
	v_cvt_f16_f32_e32 v2, v2
	v_cvt_f16_f32_e32 v3, v3
	v_cvt_f16_f32_e32 v4, v4
	v_cvt_f16_f32_e32 v5, v5
	v_pack_b32_f16 v2, v2, v3
	v_pack_b32_f16 v3, v4, v5
	ds_write_b64 v26, v[2:3]
	s_waitcnt lgkmcnt(0)
	s_barrier
	s_and_saveexec_b64 s[2:3], s[0:1]
	s_cbranch_execz .LBB580_788
; %bb.786:
	s_load_dwordx2 s[2:3], s[4:5], 0x68
	s_lshl_b32 s0, s44, 6
	s_mul_i32 s1, s12, s6
	s_mul_hi_u32 s7, s1, s0
	s_mul_i32 s6, s1, s0
	s_lshl_b64 s[6:7], s[6:7], 1
	s_waitcnt lgkmcnt(0)
	s_add_u32 s1, s2, s6
	s_mov_b32 s5, 0
	s_addc_u32 s6, s3, s7
	s_lshl_b32 s4, s24, 6
	v_lshlrev_b32_e32 v0, 10, v0
	s_lshl_b64 s[2:3], s[4:5], 1
	v_and_b32_e32 v0, 0x1800, v0
	v_lshlrev_b32_e32 v2, 5, v1
	v_and_b32_e32 v3, 16, v47
	s_add_u32 s1, s1, s2
	v_or3_b32 v0, v0, v2, v3
	s_addc_u32 s2, s6, s3
	v_add_u32_e32 v8, s25, v1
	v_mov_b32_e32 v3, s2
	v_add_co_u32_e32 v2, vcc, s1, v46
	ds_read_b128 v[4:7], v0
	v_mad_u64_u32 v[8:9], s[2:3], v8, s0, 0
	v_addc_co_u32_e32 v3, vcc, 0, v3, vcc
	v_lshlrev_b64 v[8:9], 1, v[8:9]
	v_add_co_u32_e32 v8, vcc, v2, v8
	v_addc_co_u32_e32 v9, vcc, v3, v9, vcc
	v_cmp_ne_u32_e32 vcc, 3, v1
	s_waitcnt lgkmcnt(0)
	global_store_dwordx4 v[8:9], v[4:7], off
	s_and_b64 exec, exec, vcc
	s_cbranch_execz .LBB580_788
; %bb.787:
	ds_read_b128 v[4:7], v0 offset:128
	v_add3_u32 v0, s25, v1, 4
	v_mad_u64_u32 v[0:1], s[0:1], v0, s0, 0
	v_lshlrev_b64 v[0:1], 1, v[0:1]
	v_add_co_u32_e32 v0, vcc, v2, v0
	v_addc_co_u32_e32 v1, vcc, v3, v1, vcc
	s_waitcnt lgkmcnt(0)
	global_store_dwordx4 v[0:1], v[4:7], off
.LBB580_788:
	s_endpgm
	.section	.rodata,"a",@progbits
	.p2align	6, 0x0
	.amdhsa_kernel _Z39paged_attention_ll4mi_QKV_mfma16_kernelIDF16_hLN4vllm18Fp8KVCacheDataTypeE1EDF16_Li32ELi64ELi256ELb1ELi7EL8MFMAType0EEvPKT_PKT0_S8_ifPKiSA_SA_iPKfiiiPfSD_PS3_PT2_iSC_SC_
		.amdhsa_group_segment_fixed_size 8192
		.amdhsa_private_segment_fixed_size 0
		.amdhsa_kernarg_size 400
		.amdhsa_user_sgpr_count 6
		.amdhsa_user_sgpr_private_segment_buffer 1
		.amdhsa_user_sgpr_dispatch_ptr 0
		.amdhsa_user_sgpr_queue_ptr 0
		.amdhsa_user_sgpr_kernarg_segment_ptr 1
		.amdhsa_user_sgpr_dispatch_id 0
		.amdhsa_user_sgpr_flat_scratch_init 0
		.amdhsa_user_sgpr_kernarg_preload_length 0
		.amdhsa_user_sgpr_kernarg_preload_offset 0
		.amdhsa_user_sgpr_private_segment_size 0
		.amdhsa_uses_dynamic_stack 0
		.amdhsa_system_sgpr_private_segment_wavefront_offset 0
		.amdhsa_system_sgpr_workgroup_id_x 1
		.amdhsa_system_sgpr_workgroup_id_y 1
		.amdhsa_system_sgpr_workgroup_id_z 1
		.amdhsa_system_sgpr_workgroup_info 0
		.amdhsa_system_vgpr_workitem_id 0
		.amdhsa_next_free_vgpr 63
		.amdhsa_next_free_sgpr 47
		.amdhsa_accum_offset 64
		.amdhsa_reserve_vcc 1
		.amdhsa_reserve_flat_scratch 0
		.amdhsa_float_round_mode_32 0
		.amdhsa_float_round_mode_16_64 0
		.amdhsa_float_denorm_mode_32 3
		.amdhsa_float_denorm_mode_16_64 3
		.amdhsa_dx10_clamp 1
		.amdhsa_ieee_mode 1
		.amdhsa_fp16_overflow 0
		.amdhsa_tg_split 0
		.amdhsa_exception_fp_ieee_invalid_op 0
		.amdhsa_exception_fp_denorm_src 0
		.amdhsa_exception_fp_ieee_div_zero 0
		.amdhsa_exception_fp_ieee_overflow 0
		.amdhsa_exception_fp_ieee_underflow 0
		.amdhsa_exception_fp_ieee_inexact 0
		.amdhsa_exception_int_div_zero 0
	.end_amdhsa_kernel
	.section	.text._Z39paged_attention_ll4mi_QKV_mfma16_kernelIDF16_hLN4vllm18Fp8KVCacheDataTypeE1EDF16_Li32ELi64ELi256ELb1ELi7EL8MFMAType0EEvPKT_PKT0_S8_ifPKiSA_SA_iPKfiiiPfSD_PS3_PT2_iSC_SC_,"axG",@progbits,_Z39paged_attention_ll4mi_QKV_mfma16_kernelIDF16_hLN4vllm18Fp8KVCacheDataTypeE1EDF16_Li32ELi64ELi256ELb1ELi7EL8MFMAType0EEvPKT_PKT0_S8_ifPKiSA_SA_iPKfiiiPfSD_PS3_PT2_iSC_SC_,comdat
.Lfunc_end580:
	.size	_Z39paged_attention_ll4mi_QKV_mfma16_kernelIDF16_hLN4vllm18Fp8KVCacheDataTypeE1EDF16_Li32ELi64ELi256ELb1ELi7EL8MFMAType0EEvPKT_PKT0_S8_ifPKiSA_SA_iPKfiiiPfSD_PS3_PT2_iSC_SC_, .Lfunc_end580-_Z39paged_attention_ll4mi_QKV_mfma16_kernelIDF16_hLN4vllm18Fp8KVCacheDataTypeE1EDF16_Li32ELi64ELi256ELb1ELi7EL8MFMAType0EEvPKT_PKT0_S8_ifPKiSA_SA_iPKfiiiPfSD_PS3_PT2_iSC_SC_
                                        ; -- End function
	.section	.AMDGPU.csdata,"",@progbits
; Kernel info:
; codeLenInByte = 27340
; NumSgprs: 51
; NumVgprs: 63
; NumAgprs: 0
; TotalNumVgprs: 63
; ScratchSize: 0
; MemoryBound: 0
; FloatMode: 240
; IeeeMode: 1
; LDSByteSize: 8192 bytes/workgroup (compile time only)
; SGPRBlocks: 6
; VGPRBlocks: 7
; NumSGPRsForWavesPerEU: 51
; NumVGPRsForWavesPerEU: 63
; AccumOffset: 64
; Occupancy: 8
; WaveLimiterHint : 1
; COMPUTE_PGM_RSRC2:SCRATCH_EN: 0
; COMPUTE_PGM_RSRC2:USER_SGPR: 6
; COMPUTE_PGM_RSRC2:TRAP_HANDLER: 0
; COMPUTE_PGM_RSRC2:TGID_X_EN: 1
; COMPUTE_PGM_RSRC2:TGID_Y_EN: 1
; COMPUTE_PGM_RSRC2:TGID_Z_EN: 1
; COMPUTE_PGM_RSRC2:TIDIG_COMP_CNT: 0
; COMPUTE_PGM_RSRC3_GFX90A:ACCUM_OFFSET: 15
; COMPUTE_PGM_RSRC3_GFX90A:TG_SPLIT: 0
	.section	.text._Z39paged_attention_ll4mi_QKV_mfma16_kernelIDF16_hLN4vllm18Fp8KVCacheDataTypeE1EDF16_Li32ELi64ELi256ELb1ELi8EL8MFMAType0EEvPKT_PKT0_S8_ifPKiSA_SA_iPKfiiiPfSD_PS3_PT2_iSC_SC_,"axG",@progbits,_Z39paged_attention_ll4mi_QKV_mfma16_kernelIDF16_hLN4vllm18Fp8KVCacheDataTypeE1EDF16_Li32ELi64ELi256ELb1ELi8EL8MFMAType0EEvPKT_PKT0_S8_ifPKiSA_SA_iPKfiiiPfSD_PS3_PT2_iSC_SC_,comdat
	.protected	_Z39paged_attention_ll4mi_QKV_mfma16_kernelIDF16_hLN4vllm18Fp8KVCacheDataTypeE1EDF16_Li32ELi64ELi256ELb1ELi8EL8MFMAType0EEvPKT_PKT0_S8_ifPKiSA_SA_iPKfiiiPfSD_PS3_PT2_iSC_SC_ ; -- Begin function _Z39paged_attention_ll4mi_QKV_mfma16_kernelIDF16_hLN4vllm18Fp8KVCacheDataTypeE1EDF16_Li32ELi64ELi256ELb1ELi8EL8MFMAType0EEvPKT_PKT0_S8_ifPKiSA_SA_iPKfiiiPfSD_PS3_PT2_iSC_SC_
	.globl	_Z39paged_attention_ll4mi_QKV_mfma16_kernelIDF16_hLN4vllm18Fp8KVCacheDataTypeE1EDF16_Li32ELi64ELi256ELb1ELi8EL8MFMAType0EEvPKT_PKT0_S8_ifPKiSA_SA_iPKfiiiPfSD_PS3_PT2_iSC_SC_
	.p2align	8
	.type	_Z39paged_attention_ll4mi_QKV_mfma16_kernelIDF16_hLN4vllm18Fp8KVCacheDataTypeE1EDF16_Li32ELi64ELi256ELb1ELi8EL8MFMAType0EEvPKT_PKT0_S8_ifPKiSA_SA_iPKfiiiPfSD_PS3_PT2_iSC_SC_,@function
_Z39paged_attention_ll4mi_QKV_mfma16_kernelIDF16_hLN4vllm18Fp8KVCacheDataTypeE1EDF16_Li32ELi64ELi256ELb1ELi8EL8MFMAType0EEvPKT_PKT0_S8_ifPKiSA_SA_iPKfiiiPfSD_PS3_PT2_iSC_SC_: ; @_Z39paged_attention_ll4mi_QKV_mfma16_kernelIDF16_hLN4vllm18Fp8KVCacheDataTypeE1EDF16_Li32ELi64ELi256ELb1ELi8EL8MFMAType0EEvPKT_PKT0_S8_ifPKiSA_SA_iPKfiiiPfSD_PS3_PT2_iSC_SC_
; %bb.0:
	s_load_dwordx2 s[0:1], s[4:5], 0x30
	s_mov_b32 s24, s7
	s_mov_b64 s[10:11], 0
	s_waitcnt lgkmcnt(0)
	s_cmp_lg_u64 s[0:1], 0
	s_cselect_b64 s[2:3], -1, 0
	s_and_b64 vcc, exec, s[2:3]
	s_cbranch_vccz .LBB581_7
; %bb.1:
	s_add_i32 s12, s6, 1
	s_mov_b32 s13, 0
	s_lshl_b64 s[14:15], s[12:13], 2
	s_add_u32 s14, s0, s14
	s_mov_b32 s7, s13
	s_addc_u32 s15, s1, s15
	s_lshl_b64 s[12:13], s[6:7], 2
	s_add_u32 s12, s0, s12
	s_addc_u32 s13, s1, s13
	s_load_dword s9, s[14:15], 0x0
	s_load_dword s16, s[12:13], 0x0
	s_waitcnt lgkmcnt(0)
	s_sub_i32 s9, s9, s16
	s_cmp_eq_u32 s9, 1
	s_cselect_b64 s[12:13], -1, 0
	s_andn2_b64 vcc, exec, s[10:11]
	s_cbranch_vccnz .LBB581_3
.LBB581_2:
	s_mov_b32 s7, 0
	s_mov_b64 s[12:13], -1
.LBB581_3:
	s_andn2_b64 vcc, exec, s[12:13]
	s_cbranch_vccnz .LBB581_787
; %bb.4:
	s_load_dwordx2 s[12:13], s[4:5], 0x28
	s_lshl_b64 s[10:11], s[6:7], 2
	s_waitcnt lgkmcnt(0)
	s_add_u32 s12, s12, s10
	s_addc_u32 s13, s13, s11
	s_load_dword s33, s[12:13], 0x0
	s_lshl_b32 s18, s24, 8
	s_waitcnt lgkmcnt(0)
	s_cmp_ge_i32 s18, s33
	s_cbranch_scc1 .LBB581_787
; %bb.5:
	s_add_i32 s14, s33, 31
	s_load_dwordx2 s[12:13], s[4:5], 0x20
	s_load_dword s9, s[4:5], 0x38
	s_ashr_i32 s15, s14, 31
	v_and_b32_e32 v1, 0xcf, v0
	s_lshr_b32 s15, s15, 27
	v_add_u32_e32 v1, s18, v1
	s_add_i32 s14, s14, s15
	v_ashrrev_i32_e32 v2, 31, v1
	s_ashr_i32 s21, s14, 5
	v_lshrrev_b32_e32 v4, 27, v2
	s_add_i32 s21, s21, -1
	v_add_u32_e32 v2, v1, v4
	s_waitcnt lgkmcnt(0)
	s_mul_i32 s14, s6, s9
	s_mov_b32 s15, 0
	v_ashrrev_i32_e32 v2, 5, v2
	v_mov_b32_e32 v5, s21
	v_cmp_gt_i32_e32 vcc, s33, v1
	s_lshl_b64 s[14:15], s[14:15], 2
	v_cndmask_b32_e32 v2, v5, v2, vcc
	s_add_u32 s19, s12, s14
	v_ashrrev_i32_e32 v3, 31, v2
	s_addc_u32 s20, s13, s15
	v_lshlrev_b64 v[2:3], 2, v[2:3]
	v_mov_b32_e32 v7, s20
	v_add_co_u32_e32 v6, vcc, s19, v2
	v_or_b32_e32 v2, 16, v1
	v_addc_co_u32_e32 v7, vcc, v7, v3, vcc
	v_add_u32_e32 v3, v2, v4
	v_ashrrev_i32_e32 v3, 5, v3
	v_cmp_gt_i32_e32 vcc, s33, v2
	v_cndmask_b32_e32 v2, v5, v3, vcc
	v_ashrrev_i32_e32 v3, 31, v2
	v_lshlrev_b64 v[2:3], 2, v[2:3]
	v_mov_b32_e32 v9, s20
	v_add_co_u32_e32 v8, vcc, s19, v2
	v_or_b32_e32 v2, 32, v1
	v_addc_co_u32_e32 v9, vcc, v9, v3, vcc
	v_add_u32_e32 v3, v2, v4
	v_ashrrev_i32_e32 v3, 5, v3
	v_cmp_gt_i32_e32 vcc, s33, v2
	v_cndmask_b32_e32 v2, v5, v3, vcc
	v_ashrrev_i32_e32 v3, 31, v2
	;; [unrolled: 10-line block ×3, first 2 shown]
	v_lshlrev_b64 v[2:3], 2, v[2:3]
	v_mov_b32_e32 v1, s20
	v_add_co_u32_e32 v12, vcc, s19, v2
	v_addc_co_u32_e32 v13, vcc, v1, v3, vcc
	global_load_dword v5, v[6:7], off
	global_load_dword v4, v[8:9], off
	;; [unrolled: 1-line block ×4, first 2 shown]
	s_load_dwordx2 s[16:17], s[4:5], 0x8
	s_andn2_b64 vcc, exec, s[2:3]
	s_cbranch_vccnz .LBB581_8
; %bb.6:
	s_add_u32 s0, s0, s10
	s_addc_u32 s1, s1, s11
	s_load_dword s9, s[0:1], 0x0
	s_branch .LBB581_9
.LBB581_7:
	s_mov_b64 s[12:13], 0
	s_branch .LBB581_2
.LBB581_8:
	s_mov_b32 s9, s6
.LBB581_9:
	s_load_dwordx2 s[2:3], s[4:5], 0x10
	s_load_dwordx4 s[12:15], s[4:5], 0x48
	v_and_b32_e32 v50, 15, v0
	s_movk_i32 s0, 0x80
	v_lshlrev_b32_e32 v6, 3, v50
	v_cmp_gt_u32_e32 vcc, s0, v0
	v_cmp_gt_u32_e64 s[0:1], 8, v50
	v_lshrrev_b32_e32 v49, 6, v0
	v_bfe_u32 v1, v0, 4, 2
	s_lshl_b32 s25, s8, 3
	s_and_b64 s[22:23], vcc, s[0:1]
	v_lshlrev_b32_e32 v46, 1, v6
	v_lshlrev_b32_e32 v47, 4, v0
	s_and_saveexec_b64 s[10:11], s[22:23]
	s_cbranch_execz .LBB581_11
; %bb.10:
	s_load_dwordx2 s[22:23], s[4:5], 0x0
	s_waitcnt lgkmcnt(0)
	s_ashr_i32 s15, s12, 31
	s_mul_hi_u32 s26, s9, s12
	s_mul_i32 s15, s9, s15
	v_lshl_or_b32 v10, v49, 2, v1
	s_add_i32 s27, s26, s15
	s_mul_i32 s26, s9, s12
	s_lshl_b64 s[26:27], s[26:27], 1
	v_add_lshl_u32 v6, v10, s25, 6
	s_add_u32 s9, s22, s26
	v_ashrrev_i32_e32 v7, 31, v6
	s_addc_u32 s12, s23, s27
	v_lshlrev_b64 v[6:7], 1, v[6:7]
	v_mov_b32_e32 v8, s12
	v_add_co_u32_e32 v6, vcc, s9, v6
	v_addc_co_u32_e32 v7, vcc, v8, v7, vcc
	v_add_co_u32_e32 v6, vcc, v6, v46
	v_addc_co_u32_e32 v7, vcc, 0, v7, vcc
	global_load_dwordx4 v[6:9], v[6:7], off
	v_lshlrev_b32_e32 v12, 8, v50
	v_lshlrev_b32_e32 v10, 5, v10
	v_and_b32_e32 v11, 16, v47
	v_and_b32_e32 v12, 0xe00, v12
	v_or3_b32 v10, v12, v10, v11
	s_waitcnt vmcnt(0)
	ds_write_b128 v10, v[6:9]
.LBB581_11:
	s_or_b64 exec, exec, s[10:11]
	s_waitcnt lgkmcnt(0)
	s_mul_i32 s10, s8, s14
	s_add_u32 s8, s16, s10
	s_addc_u32 s9, s17, 0
	v_pk_mov_b32 v[8:9], s[8:9], s[8:9] op_sel:[0,1]
	s_waitcnt vmcnt(3)
	v_mad_i64_i32 v[10:11], s[8:9], v5, s13, v[8:9]
	v_lshlrev_b32_e32 v12, 4, v50
	v_and_b32_e32 v6, 48, v0
	v_add_co_u32_e32 v5, vcc, v10, v12
	v_lshlrev_b32_e32 v7, 5, v6
	v_addc_co_u32_e32 v11, vcc, 0, v11, vcc
	v_add_co_u32_e32 v10, vcc, v5, v7
	v_addc_co_u32_e32 v11, vcc, 0, v11, vcc
	s_waitcnt vmcnt(2)
	v_mad_i64_i32 v[4:5], s[8:9], v4, s13, v[8:9]
	v_or_b32_e32 v13, 0x100, v12
	v_add_co_u32_e32 v4, vcc, v4, v13
	v_addc_co_u32_e32 v5, vcc, 0, v5, vcc
	v_add_co_u32_e32 v4, vcc, v4, v7
	v_addc_co_u32_e32 v5, vcc, 0, v5, vcc
	s_barrier
	global_load_dwordx4 v[34:37], v[10:11], off
	global_load_dwordx4 v[38:41], v[4:5], off
	s_waitcnt vmcnt(3)
	v_mad_i64_i32 v[4:5], s[8:9], v3, s13, v[8:9]
	v_add_co_u32_e32 v3, vcc, v4, v12
	v_addc_co_u32_e32 v5, vcc, 0, v5, vcc
	v_add_co_u32_e32 v4, vcc, v3, v7
	v_addc_co_u32_e32 v5, vcc, 0, v5, vcc
	s_waitcnt vmcnt(2)
	v_mad_i64_i32 v[2:3], s[8:9], v2, s13, v[8:9]
	v_add_co_u32_e32 v2, vcc, v2, v13
	v_addc_co_u32_e32 v3, vcc, 0, v3, vcc
	v_add_co_u32_e32 v2, vcc, v2, v7
	v_addc_co_u32_e32 v3, vcc, 0, v3, vcc
	global_load_dwordx4 v[30:33], v[4:5], off
	global_load_dwordx4 v[22:25], v[2:3], off
	v_and_b32_e32 v2, 7, v0
	v_lshlrev_b32_e32 v2, 5, v2
	v_lshl_or_b32 v2, v1, 9, v2
	ds_read_b128 v[26:29], v2
	ds_read_b128 v[18:21], v2 offset:16
	v_mov_b32_e32 v43, 0
	v_mov_b32_e32 v51, 0
	s_and_saveexec_b64 s[8:9], s[0:1]
	s_cbranch_execz .LBB581_13
; %bb.12:
	s_load_dwordx2 s[14:15], s[4:5], 0x40
	v_or_b32_e32 v2, s25, v50
	v_ashrrev_i32_e32 v3, 31, v2
	v_lshlrev_b64 v[2:3], 2, v[2:3]
	s_waitcnt lgkmcnt(0)
	v_mov_b32_e32 v4, s15
	v_add_co_u32_e32 v2, vcc, s14, v2
	v_addc_co_u32_e32 v3, vcc, v4, v3, vcc
	global_load_dword v51, v[2:3], off
.LBB581_13:
	s_or_b64 exec, exec, s[8:9]
	s_ashr_i32 s8, s18, 31
	v_or_b32_e32 v8, s18, v6
	s_lshr_b32 s8, s8, 27
	v_add_u32_e32 v2, s8, v8
	v_ashrrev_i32_e32 v2, 5, v2
	v_mov_b32_e32 v9, s21
	v_cmp_gt_i32_e32 vcc, s33, v8
	v_cndmask_b32_e32 v2, v9, v2, vcc
	v_ashrrev_i32_e32 v3, 31, v2
	v_lshlrev_b64 v[2:3], 2, v[2:3]
	v_mov_b32_e32 v4, s20
	v_add_co_u32_e32 v2, vcc, s19, v2
	v_addc_co_u32_e32 v3, vcc, v4, v3, vcc
	v_or_b32_e32 v4, 64, v8
	v_add_u32_e32 v5, s8, v4
	v_ashrrev_i32_e32 v5, 5, v5
	v_cmp_gt_i32_e32 vcc, s33, v4
	v_cndmask_b32_e32 v4, v9, v5, vcc
	v_ashrrev_i32_e32 v5, 31, v4
	v_lshlrev_b64 v[4:5], 2, v[4:5]
	v_mov_b32_e32 v6, s20
	v_add_co_u32_e32 v4, vcc, s19, v4
	v_addc_co_u32_e32 v5, vcc, v6, v5, vcc
	v_or_b32_e32 v6, 0x80, v8
	v_add_u32_e32 v7, s8, v6
	v_ashrrev_i32_e32 v7, 5, v7
	v_cmp_gt_i32_e32 vcc, s33, v6
	v_cndmask_b32_e32 v6, v9, v7, vcc
	v_ashrrev_i32_e32 v7, 31, v6
	v_lshlrev_b64 v[6:7], 2, v[6:7]
	v_mov_b32_e32 v10, s20
	v_add_co_u32_e32 v6, vcc, s19, v6
	v_addc_co_u32_e32 v7, vcc, v10, v7, vcc
	global_load_dword v10, v[2:3], off
	global_load_dword v11, v[4:5], off
	;; [unrolled: 1-line block ×3, first 2 shown]
	v_or_b32_e32 v2, 0xc0, v8
	v_add_u32_e32 v3, s8, v2
	v_ashrrev_i32_e32 v3, 5, v3
	v_cmp_gt_i32_e32 vcc, s33, v2
	v_cndmask_b32_e32 v2, v9, v3, vcc
	v_ashrrev_i32_e32 v3, 31, v2
	v_lshlrev_b64 v[2:3], 2, v[2:3]
	v_mov_b32_e32 v4, s20
	v_add_co_u32_e32 v2, vcc, s19, v2
	v_addc_co_u32_e32 v3, vcc, v4, v3, vcc
	global_load_dword v13, v[2:3], off
	s_add_u32 s2, s2, s10
	v_and_b32_e32 v2, 16, v0
	s_addc_u32 s3, s3, 0
	v_lshlrev_b32_e32 v48, 5, v50
	v_mov_b32_e32 v4, s3
	v_add_co_u32_e32 v2, vcc, s2, v2
	v_lshl_or_b32 v3, v49, 9, v48
	v_addc_co_u32_e32 v4, vcc, 0, v4, vcc
	v_add_co_u32_e32 v2, vcc, v2, v3
	v_addc_co_u32_e32 v3, vcc, 0, v4, vcc
	s_movk_i32 s8, 0x80
	s_waitcnt vmcnt(7)
	v_cmp_ne_u16_sdwa s[10:11], v34, v43 src0_sel:BYTE_0 src1_sel:DWORD
	s_waitcnt vmcnt(3)
	v_mad_i64_i32 v[4:5], s[2:3], v10, s13, v[2:3]
	s_waitcnt vmcnt(2)
	v_mad_i64_i32 v[6:7], s[2:3], v11, s13, v[2:3]
	;; [unrolled: 2-line block ×4, first 2 shown]
	global_load_dwordx4 v[14:17], v[4:5], off
	global_load_dwordx4 v[10:13], v[6:7], off
	s_nop 0
	global_load_dwordx4 v[6:9], v[8:9], off
	s_nop 0
	global_load_dwordx4 v[2:5], v[2:3], off
	s_load_dwordx4 s[40:43], s[4:5], 0x80
	s_load_dwordx2 s[44:45], s[4:5], 0x94
	s_waitcnt lgkmcnt(0)
	s_load_dword s12, s[40:41], 0x0
	s_and_saveexec_b64 s[2:3], s[10:11]
	s_cbranch_execz .LBB581_19
; %bb.14:
	v_cmp_ne_u16_sdwa s[10:11], v34, s8 src0_sel:BYTE_0 src1_sel:DWORD
	v_bfrev_b32_e32 v43, 1
	s_and_saveexec_b64 s[8:9], s[10:11]
	s_cbranch_execz .LBB581_18
; %bb.15:
	s_movk_i32 s10, 0x7f
	v_and_b32_e32 v42, 0x7f, v34
	v_cmp_ne_u32_e32 vcc, s10, v42
	v_mov_b32_e32 v43, 0x7f800001
	s_and_saveexec_b64 s[10:11], vcc
	s_cbranch_execz .LBB581_17
; %bb.16:
	v_and_b32_e32 v43, 7, v34
	v_ffbh_u32_e32 v44, v43
	v_min_u32_e32 v53, 32, v44
	v_subrev_u32_e32 v44, 28, v53
	v_lshlrev_b64 v[44:45], v44, v[34:35]
	v_lshrrev_b32_e32 v52, 3, v42
	v_sub_u32_e32 v45, 29, v53
	v_and_b32_e32 v44, 7, v44
	v_cmp_gt_u32_e32 vcc, 8, v42
	v_cndmask_b32_e32 v42, v52, v45, vcc
	v_cndmask_b32_e32 v43, v43, v44, vcc
	v_lshlrev_b32_e32 v44, 24, v34
	v_bfrev_b32_e32 v45, 60
	v_lshlrev_b32_e32 v43, 20, v43
	v_and_b32_e32 v44, 0x80000000, v44
	v_lshl_add_u32 v42, v42, 23, v45
	v_or3_b32 v43, v44, v42, v43
.LBB581_17:
	s_or_b64 exec, exec, s[10:11]
.LBB581_18:
	s_or_b64 exec, exec, s[8:9]
.LBB581_19:
	s_or_b64 exec, exec, s[2:3]
	v_lshrrev_b16_e32 v42, 8, v34
	v_cmp_ne_u16_e32 vcc, 0, v42
	v_mov_b32_e32 v44, 0
	v_mov_b32_e32 v45, 0
	s_and_saveexec_b64 s[2:3], vcc
	s_cbranch_execz .LBB581_25
; %bb.20:
	s_movk_i32 s8, 0x80
	v_cmp_ne_u16_e32 vcc, s8, v42
	v_bfrev_b32_e32 v45, 1
	s_and_saveexec_b64 s[8:9], vcc
	s_cbranch_execz .LBB581_24
; %bb.21:
	s_movk_i32 s10, 0x7f
	v_and_b32_e32 v52, 0x7f, v42
	v_cmp_ne_u32_e32 vcc, s10, v52
	v_mov_b32_e32 v45, 0x7f800001
	s_and_saveexec_b64 s[10:11], vcc
	s_cbranch_execz .LBB581_23
; %bb.22:
	v_and_b32_e32 v45, 7, v42
	v_ffbh_u32_e32 v54, v45
	v_min_u32_e32 v56, 32, v54
	v_subrev_u32_e32 v54, 28, v56
	v_lshlrev_b64 v[54:55], v54, v[42:43]
	v_lshrrev_b32_e32 v53, 3, v52
	v_sub_u32_e32 v42, 29, v56
	v_and_b32_e32 v54, 7, v54
	v_cmp_gt_u32_e32 vcc, 8, v52
	v_cndmask_b32_e32 v42, v53, v42, vcc
	v_cndmask_b32_e32 v45, v45, v54, vcc
	v_lshlrev_b32_e32 v52, 16, v34
	v_bfrev_b32_e32 v53, 60
	v_lshlrev_b32_e32 v45, 20, v45
	v_and_b32_e32 v52, 0x80000000, v52
	v_lshl_add_u32 v42, v42, 23, v53
	v_or3_b32 v45, v52, v42, v45
.LBB581_23:
	s_or_b64 exec, exec, s[10:11]
.LBB581_24:
	s_or_b64 exec, exec, s[8:9]
.LBB581_25:
	s_or_b64 exec, exec, s[2:3]
	s_movk_i32 s2, 0xff
	v_and_b32_sdwa v52, v34, s2 dst_sel:DWORD dst_unused:UNUSED_PAD src0_sel:WORD_1 src1_sel:DWORD
	v_lshrrev_b32_e32 v42, 16, v34
	v_cmp_ne_u16_e32 vcc, 0, v52
	s_and_saveexec_b64 s[2:3], vcc
	s_cbranch_execz .LBB581_31
; %bb.26:
	s_movk_i32 s8, 0x80
	v_cmp_ne_u16_e32 vcc, s8, v52
	v_bfrev_b32_e32 v44, 1
	s_and_saveexec_b64 s[8:9], vcc
	s_cbranch_execz .LBB581_30
; %bb.27:
	v_bfe_u32 v52, v34, 16, 7
	s_movk_i32 s10, 0x7f
	v_cmp_ne_u32_e32 vcc, s10, v52
	v_mov_b32_e32 v44, 0x7f800001
	s_and_saveexec_b64 s[10:11], vcc
	s_cbranch_execz .LBB581_29
; %bb.28:
	v_and_b32_e32 v44, 7, v42
	v_ffbh_u32_e32 v54, v44
	v_min_u32_e32 v56, 32, v54
	v_subrev_u32_e32 v54, 28, v56
	v_lshlrev_b64 v[54:55], v54, v[42:43]
	v_lshrrev_b32_e32 v53, 3, v52
	v_sub_u32_e32 v42, 29, v56
	v_and_b32_e32 v54, 7, v54
	v_cmp_gt_u32_e32 vcc, 8, v52
	v_mov_b32_e32 v52, 24
	v_cndmask_b32_e32 v42, v53, v42, vcc
	v_cndmask_b32_e32 v44, v44, v54, vcc
	v_lshlrev_b32_sdwa v52, v52, v34 dst_sel:DWORD dst_unused:UNUSED_PAD src0_sel:DWORD src1_sel:WORD_1
	v_bfrev_b32_e32 v53, 60
	v_lshlrev_b32_e32 v44, 20, v44
	v_and_b32_e32 v52, 0x80000000, v52
	v_lshl_add_u32 v42, v42, 23, v53
	v_or3_b32 v44, v52, v42, v44
.LBB581_29:
	s_or_b64 exec, exec, s[10:11]
.LBB581_30:
	s_or_b64 exec, exec, s[8:9]
.LBB581_31:
	s_or_b64 exec, exec, s[2:3]
	s_mov_b32 s2, 0xffffff
	v_cmp_lt_u32_e32 vcc, s2, v34
	v_mov_b32_e32 v53, 0
	v_mov_b32_e32 v54, 0
	s_and_saveexec_b64 s[2:3], vcc
	s_cbranch_execz .LBB581_37
; %bb.32:
	v_lshrrev_b32_e32 v42, 24, v34
	s_movk_i32 s8, 0x80
	v_cmp_ne_u32_e32 vcc, s8, v42
	v_bfrev_b32_e32 v54, 1
	s_and_saveexec_b64 s[8:9], vcc
	s_cbranch_execz .LBB581_36
; %bb.33:
	v_bfe_u32 v34, v34, 24, 7
	s_movk_i32 s10, 0x7f
	v_cmp_ne_u32_e32 vcc, s10, v34
	v_mov_b32_e32 v54, 0x7f800001
	s_and_saveexec_b64 s[10:11], vcc
	s_cbranch_execz .LBB581_35
; %bb.34:
	v_and_b32_e32 v52, 7, v42
	v_ffbh_u32_e32 v54, v52
	v_min_u32_e32 v57, 32, v54
	v_subrev_u32_e32 v54, 28, v57
	v_lshlrev_b64 v[54:55], v54, v[42:43]
	v_lshrrev_b32_e32 v56, 3, v34
	v_sub_u32_e32 v55, 29, v57
	v_and_b32_e32 v54, 7, v54
	v_cmp_gt_u32_e32 vcc, 8, v34
	v_cndmask_b32_e32 v34, v56, v55, vcc
	v_cndmask_b32_e32 v52, v52, v54, vcc
	v_lshlrev_b32_e32 v42, 24, v42
	v_bfrev_b32_e32 v54, 60
	v_lshlrev_b32_e32 v52, 20, v52
	v_and_b32_e32 v42, 0x80000000, v42
	v_lshl_add_u32 v34, v34, 23, v54
	v_or3_b32 v54, v42, v34, v52
.LBB581_35:
	s_or_b64 exec, exec, s[10:11]
.LBB581_36:
	s_or_b64 exec, exec, s[8:9]
.LBB581_37:
	s_or_b64 exec, exec, s[2:3]
	v_cmp_ne_u16_sdwa s[8:9], v35, v53 src0_sel:BYTE_0 src1_sel:DWORD
	s_and_saveexec_b64 s[2:3], s[8:9]
	s_cbranch_execz .LBB581_43
; %bb.38:
	s_movk_i32 s8, 0x80
	v_cmp_ne_u16_sdwa s[10:11], v35, s8 src0_sel:BYTE_0 src1_sel:DWORD
	v_bfrev_b32_e32 v53, 1
	s_and_saveexec_b64 s[8:9], s[10:11]
	s_cbranch_execz .LBB581_42
; %bb.39:
	s_movk_i32 s10, 0x7f
	v_and_b32_e32 v34, 0x7f, v35
	v_cmp_ne_u32_e32 vcc, s10, v34
	v_mov_b32_e32 v53, 0x7f800001
	s_and_saveexec_b64 s[10:11], vcc
	s_cbranch_execz .LBB581_41
; %bb.40:
	v_and_b32_e32 v55, 7, v35
	v_ffbh_u32_e32 v52, v55
	v_min_u32_e32 v57, 32, v52
	v_mov_b32_e32 v42, v35
	v_subrev_u32_e32 v52, 28, v57
	v_lshlrev_b64 v[52:53], v52, v[42:43]
	v_lshrrev_b32_e32 v56, 3, v34
	v_sub_u32_e32 v42, 29, v57
	v_and_b32_e32 v52, 7, v52
	v_cmp_gt_u32_e32 vcc, 8, v34
	v_cndmask_b32_e32 v34, v56, v42, vcc
	v_cndmask_b32_e32 v42, v55, v52, vcc
	v_lshlrev_b32_e32 v52, 24, v35
	v_bfrev_b32_e32 v53, 60
	v_lshlrev_b32_e32 v42, 20, v42
	v_and_b32_e32 v52, 0x80000000, v52
	v_lshl_add_u32 v34, v34, 23, v53
	v_or3_b32 v53, v52, v34, v42
.LBB581_41:
	s_or_b64 exec, exec, s[10:11]
.LBB581_42:
	s_or_b64 exec, exec, s[8:9]
.LBB581_43:
	s_or_b64 exec, exec, s[2:3]
	v_lshrrev_b16_e32 v34, 8, v35
	v_cmp_ne_u16_e32 vcc, 0, v34
	v_mov_b32_e32 v42, 0
	v_mov_b32_e32 v55, 0
	s_and_saveexec_b64 s[2:3], vcc
	s_cbranch_execz .LBB581_49
; %bb.44:
	s_movk_i32 s8, 0x80
	v_cmp_ne_u16_e32 vcc, s8, v34
	v_bfrev_b32_e32 v55, 1
	s_and_saveexec_b64 s[8:9], vcc
	s_cbranch_execz .LBB581_48
; %bb.45:
	s_movk_i32 s10, 0x7f
	v_and_b32_e32 v52, 0x7f, v34
	v_cmp_ne_u32_e32 vcc, s10, v52
	v_mov_b32_e32 v55, 0x7f800001
	s_and_saveexec_b64 s[10:11], vcc
	s_cbranch_execz .LBB581_47
; %bb.46:
	v_and_b32_e32 v55, 7, v34
	v_ffbh_u32_e32 v56, v55
	v_min_u32_e32 v59, 32, v56
	v_subrev_u32_e32 v56, 28, v59
	v_lshlrev_b64 v[56:57], v56, v[34:35]
	v_lshrrev_b32_e32 v58, 3, v52
	v_sub_u32_e32 v34, 29, v59
	v_and_b32_e32 v56, 7, v56
	v_cmp_gt_u32_e32 vcc, 8, v52
	v_cndmask_b32_e32 v34, v58, v34, vcc
	v_cndmask_b32_e32 v52, v55, v56, vcc
	v_lshlrev_b32_e32 v55, 16, v35
	v_bfrev_b32_e32 v56, 60
	v_lshlrev_b32_e32 v52, 20, v52
	v_and_b32_e32 v55, 0x80000000, v55
	v_lshl_add_u32 v34, v34, 23, v56
	v_or3_b32 v55, v55, v34, v52
.LBB581_47:
	s_or_b64 exec, exec, s[10:11]
.LBB581_48:
	s_or_b64 exec, exec, s[8:9]
.LBB581_49:
	s_or_b64 exec, exec, s[2:3]
	s_movk_i32 s2, 0xff
	v_and_b32_sdwa v52, v35, s2 dst_sel:DWORD dst_unused:UNUSED_PAD src0_sel:WORD_1 src1_sel:DWORD
	v_lshrrev_b32_e32 v34, 16, v35
	v_cmp_ne_u16_e32 vcc, 0, v52
	s_and_saveexec_b64 s[2:3], vcc
	s_cbranch_execz .LBB581_55
; %bb.50:
	s_movk_i32 s8, 0x80
	v_cmp_ne_u16_e32 vcc, s8, v52
	v_bfrev_b32_e32 v42, 1
	s_and_saveexec_b64 s[8:9], vcc
	s_cbranch_execz .LBB581_54
; %bb.51:
	v_bfe_u32 v52, v35, 16, 7
	s_movk_i32 s10, 0x7f
	v_cmp_ne_u32_e32 vcc, s10, v52
	v_mov_b32_e32 v42, 0x7f800001
	s_and_saveexec_b64 s[10:11], vcc
	s_cbranch_execz .LBB581_53
; %bb.52:
	v_and_b32_e32 v42, 7, v34
	v_ffbh_u32_e32 v56, v42
	v_min_u32_e32 v59, 32, v56
	v_subrev_u32_e32 v56, 28, v59
	v_lshlrev_b64 v[56:57], v56, v[34:35]
	v_lshrrev_b32_e32 v58, 3, v52
	v_sub_u32_e32 v34, 29, v59
	v_and_b32_e32 v56, 7, v56
	v_cmp_gt_u32_e32 vcc, 8, v52
	v_mov_b32_e32 v52, 24
	v_cndmask_b32_e32 v34, v58, v34, vcc
	v_cndmask_b32_e32 v42, v42, v56, vcc
	v_lshlrev_b32_sdwa v52, v52, v35 dst_sel:DWORD dst_unused:UNUSED_PAD src0_sel:DWORD src1_sel:WORD_1
	v_bfrev_b32_e32 v56, 60
	v_lshlrev_b32_e32 v42, 20, v42
	v_and_b32_e32 v52, 0x80000000, v52
	v_lshl_add_u32 v34, v34, 23, v56
	v_or3_b32 v42, v52, v34, v42
.LBB581_53:
	s_or_b64 exec, exec, s[10:11]
.LBB581_54:
	s_or_b64 exec, exec, s[8:9]
.LBB581_55:
	s_or_b64 exec, exec, s[2:3]
	s_mov_b32 s2, 0xffffff
	v_cmp_lt_u32_e32 vcc, s2, v35
	v_mov_b32_e32 v52, 0
	v_mov_b32_e32 v56, 0
	s_and_saveexec_b64 s[2:3], vcc
	s_cbranch_execz .LBB581_61
; %bb.56:
	v_lshrrev_b32_e32 v34, 24, v35
	s_movk_i32 s8, 0x80
	v_cmp_ne_u32_e32 vcc, s8, v34
	v_bfrev_b32_e32 v56, 1
	s_and_saveexec_b64 s[8:9], vcc
	s_cbranch_execz .LBB581_60
; %bb.57:
	v_bfe_u32 v35, v35, 24, 7
	s_movk_i32 s10, 0x7f
	v_cmp_ne_u32_e32 vcc, s10, v35
	v_mov_b32_e32 v56, 0x7f800001
	s_and_saveexec_b64 s[10:11], vcc
	s_cbranch_execz .LBB581_59
; %bb.58:
	v_and_b32_e32 v58, 7, v34
	v_ffbh_u32_e32 v56, v58
	v_min_u32_e32 v60, 32, v56
	v_subrev_u32_e32 v56, 28, v60
	v_lshlrev_b64 v[56:57], v56, v[34:35]
	v_lshrrev_b32_e32 v59, 3, v35
	v_sub_u32_e32 v57, 29, v60
	v_and_b32_e32 v56, 7, v56
	v_cmp_gt_u32_e32 vcc, 8, v35
	v_cndmask_b32_e32 v35, v59, v57, vcc
	v_cndmask_b32_e32 v56, v58, v56, vcc
	v_lshlrev_b32_e32 v34, 24, v34
	v_bfrev_b32_e32 v57, 60
	v_lshlrev_b32_e32 v56, 20, v56
	v_and_b32_e32 v34, 0x80000000, v34
	v_lshl_add_u32 v35, v35, 23, v57
	v_or3_b32 v56, v34, v35, v56
.LBB581_59:
	s_or_b64 exec, exec, s[10:11]
.LBB581_60:
	s_or_b64 exec, exec, s[8:9]
.LBB581_61:
	s_or_b64 exec, exec, s[2:3]
	v_cvt_pkrtz_f16_f32 v34, v43, v45
	v_cvt_pkrtz_f16_f32 v35, v44, v54
	v_cmp_ne_u16_sdwa s[8:9], v36, v52 src0_sel:BYTE_0 src1_sel:DWORD
	s_nop 0
	v_mfma_f32_16x16x16f16 v[58:61], v[34:35], v[26:27], 0
	v_cvt_pkrtz_f16_f32 v34, v53, v55
	v_cvt_pkrtz_f16_f32 v35, v42, v56
	s_nop 1
	v_mfma_f32_16x16x16f16 v[42:45], v[34:35], v[28:29], v[58:61]
	s_and_saveexec_b64 s[2:3], s[8:9]
	s_cbranch_execz .LBB581_67
; %bb.62:
	s_movk_i32 s8, 0x80
	v_cmp_ne_u16_sdwa s[10:11], v36, s8 src0_sel:BYTE_0 src1_sel:DWORD
	v_bfrev_b32_e32 v52, 1
	s_and_saveexec_b64 s[8:9], s[10:11]
	s_cbranch_execz .LBB581_66
; %bb.63:
	s_movk_i32 s10, 0x7f
	v_and_b32_e32 v34, 0x7f, v36
	v_cmp_ne_u32_e32 vcc, s10, v34
	v_mov_b32_e32 v52, 0x7f800001
	s_and_saveexec_b64 s[10:11], vcc
	s_cbranch_execz .LBB581_65
; %bb.64:
	v_and_b32_e32 v35, 7, v36
	v_ffbh_u32_e32 v52, v35
	v_min_u32_e32 v55, 32, v52
	v_subrev_u32_e32 v52, 28, v55
	v_lshlrev_b64 v[52:53], v52, v[36:37]
	v_lshrrev_b32_e32 v54, 3, v34
	v_sub_u32_e32 v53, 29, v55
	v_and_b32_e32 v52, 7, v52
	v_cmp_gt_u32_e32 vcc, 8, v34
	v_cndmask_b32_e32 v34, v54, v53, vcc
	v_cndmask_b32_e32 v35, v35, v52, vcc
	v_lshlrev_b32_e32 v52, 24, v36
	v_bfrev_b32_e32 v53, 60
	v_lshlrev_b32_e32 v35, 20, v35
	v_and_b32_e32 v52, 0x80000000, v52
	v_lshl_add_u32 v34, v34, 23, v53
	v_or3_b32 v52, v52, v34, v35
.LBB581_65:
	s_or_b64 exec, exec, s[10:11]
.LBB581_66:
	s_or_b64 exec, exec, s[8:9]
.LBB581_67:
	s_or_b64 exec, exec, s[2:3]
	v_lshrrev_b16_e32 v34, 8, v36
	v_cmp_ne_u16_e32 vcc, 0, v34
	v_mov_b32_e32 v35, 0
	v_mov_b32_e32 v54, 0
	s_and_saveexec_b64 s[2:3], vcc
	s_cbranch_execz .LBB581_73
; %bb.68:
	s_movk_i32 s8, 0x80
	v_cmp_ne_u16_e32 vcc, s8, v34
	v_bfrev_b32_e32 v54, 1
	s_and_saveexec_b64 s[8:9], vcc
	s_cbranch_execz .LBB581_72
; %bb.69:
	s_movk_i32 s10, 0x7f
	v_and_b32_e32 v53, 0x7f, v34
	v_cmp_ne_u32_e32 vcc, s10, v53
	v_mov_b32_e32 v54, 0x7f800001
	s_and_saveexec_b64 s[10:11], vcc
	s_cbranch_execz .LBB581_71
; %bb.70:
	v_and_b32_e32 v56, 7, v34
	v_ffbh_u32_e32 v54, v56
	v_min_u32_e32 v58, 32, v54
	v_subrev_u32_e32 v54, 28, v58
	v_lshlrev_b64 v[54:55], v54, v[34:35]
	v_lshrrev_b32_e32 v57, 3, v53
	v_sub_u32_e32 v34, 29, v58
	v_and_b32_e32 v54, 7, v54
	v_cmp_gt_u32_e32 vcc, 8, v53
	v_cndmask_b32_e32 v34, v57, v34, vcc
	v_cndmask_b32_e32 v53, v56, v54, vcc
	v_lshlrev_b32_e32 v54, 16, v36
	v_bfrev_b32_e32 v55, 60
	v_lshlrev_b32_e32 v53, 20, v53
	v_and_b32_e32 v54, 0x80000000, v54
	v_lshl_add_u32 v34, v34, 23, v55
	v_or3_b32 v54, v54, v34, v53
.LBB581_71:
	s_or_b64 exec, exec, s[10:11]
.LBB581_72:
	s_or_b64 exec, exec, s[8:9]
.LBB581_73:
	s_or_b64 exec, exec, s[2:3]
	s_movk_i32 s2, 0xff
	v_and_b32_sdwa v53, v36, s2 dst_sel:DWORD dst_unused:UNUSED_PAD src0_sel:WORD_1 src1_sel:DWORD
	v_lshrrev_b32_e32 v34, 16, v36
	v_cmp_ne_u16_e32 vcc, 0, v53
	s_and_saveexec_b64 s[2:3], vcc
	s_cbranch_execz .LBB581_79
; %bb.74:
	s_movk_i32 s8, 0x80
	v_cmp_ne_u16_e32 vcc, s8, v53
	v_bfrev_b32_e32 v35, 1
	s_and_saveexec_b64 s[8:9], vcc
	s_cbranch_execz .LBB581_78
; %bb.75:
	v_bfe_u32 v53, v36, 16, 7
	s_movk_i32 s10, 0x7f
	v_cmp_ne_u32_e32 vcc, s10, v53
	v_mov_b32_e32 v35, 0x7f800001
	s_and_saveexec_b64 s[10:11], vcc
	s_cbranch_execz .LBB581_77
; %bb.76:
	v_and_b32_e32 v55, 7, v34
	v_ffbh_u32_e32 v35, v55
	v_min_u32_e32 v57, 32, v35
	v_subrev_u32_e32 v35, 28, v57
	v_lshlrev_b64 v[34:35], v35, v[34:35]
	v_lshrrev_b32_e32 v56, 3, v53
	v_sub_u32_e32 v35, 29, v57
	v_and_b32_e32 v34, 7, v34
	v_cmp_gt_u32_e32 vcc, 8, v53
	v_mov_b32_e32 v53, 24
	v_cndmask_b32_e32 v35, v56, v35, vcc
	v_cndmask_b32_e32 v34, v55, v34, vcc
	v_lshlrev_b32_sdwa v53, v53, v36 dst_sel:DWORD dst_unused:UNUSED_PAD src0_sel:DWORD src1_sel:WORD_1
	v_bfrev_b32_e32 v55, 60
	v_lshlrev_b32_e32 v34, 20, v34
	v_and_b32_e32 v53, 0x80000000, v53
	v_lshl_add_u32 v35, v35, 23, v55
	v_or3_b32 v35, v53, v35, v34
.LBB581_77:
	s_or_b64 exec, exec, s[10:11]
.LBB581_78:
	s_or_b64 exec, exec, s[8:9]
.LBB581_79:
	s_or_b64 exec, exec, s[2:3]
	s_mov_b32 s2, 0xffffff
	v_cmp_lt_u32_e32 vcc, s2, v36
	v_mov_b32_e32 v55, 0
	v_mov_b32_e32 v56, 0
	s_and_saveexec_b64 s[2:3], vcc
	s_cbranch_execz .LBB581_85
; %bb.80:
	v_lshrrev_b32_e32 v34, 24, v36
	s_movk_i32 s8, 0x80
	v_cmp_ne_u32_e32 vcc, s8, v34
	v_bfrev_b32_e32 v56, 1
	s_and_saveexec_b64 s[8:9], vcc
	s_cbranch_execz .LBB581_84
; %bb.81:
	v_bfe_u32 v36, v36, 24, 7
	s_movk_i32 s10, 0x7f
	v_cmp_ne_u32_e32 vcc, s10, v36
	v_mov_b32_e32 v56, 0x7f800001
	s_and_saveexec_b64 s[10:11], vcc
	s_cbranch_execz .LBB581_83
; %bb.82:
	v_and_b32_e32 v53, 7, v34
	v_ffbh_u32_e32 v56, v53
	v_min_u32_e32 v59, 32, v56
	v_subrev_u32_e32 v56, 28, v59
	v_lshlrev_b64 v[56:57], v56, v[34:35]
	v_lshrrev_b32_e32 v58, 3, v36
	v_sub_u32_e32 v57, 29, v59
	v_and_b32_e32 v56, 7, v56
	v_cmp_gt_u32_e32 vcc, 8, v36
	v_cndmask_b32_e32 v36, v58, v57, vcc
	v_cndmask_b32_e32 v53, v53, v56, vcc
	v_lshlrev_b32_e32 v34, 24, v34
	v_bfrev_b32_e32 v56, 60
	v_lshlrev_b32_e32 v53, 20, v53
	v_and_b32_e32 v34, 0x80000000, v34
	v_lshl_add_u32 v36, v36, 23, v56
	v_or3_b32 v56, v34, v36, v53
.LBB581_83:
	s_or_b64 exec, exec, s[10:11]
.LBB581_84:
	s_or_b64 exec, exec, s[8:9]
.LBB581_85:
	s_or_b64 exec, exec, s[2:3]
	v_cmp_ne_u16_sdwa s[8:9], v37, v55 src0_sel:BYTE_0 src1_sel:DWORD
	s_and_saveexec_b64 s[2:3], s[8:9]
	s_cbranch_execz .LBB581_91
; %bb.86:
	s_movk_i32 s8, 0x80
	v_cmp_ne_u16_sdwa s[10:11], v37, s8 src0_sel:BYTE_0 src1_sel:DWORD
	v_bfrev_b32_e32 v55, 1
	s_and_saveexec_b64 s[8:9], s[10:11]
	s_cbranch_execz .LBB581_90
; %bb.87:
	s_movk_i32 s10, 0x7f
	v_and_b32_e32 v34, 0x7f, v37
	v_cmp_ne_u32_e32 vcc, s10, v34
	v_mov_b32_e32 v55, 0x7f800001
	s_and_saveexec_b64 s[10:11], vcc
	s_cbranch_execz .LBB581_89
; %bb.88:
	v_and_b32_e32 v53, 7, v37
	v_ffbh_u32_e32 v57, v53
	v_min_u32_e32 v57, 32, v57
	v_mov_b32_e32 v36, v37
	v_subrev_u32_e32 v58, 28, v57
	v_lshlrev_b64 v[58:59], v58, v[36:37]
	v_lshrrev_b32_e32 v55, 3, v34
	v_sub_u32_e32 v36, 29, v57
	v_and_b32_e32 v57, 7, v58
	v_cmp_gt_u32_e32 vcc, 8, v34
	v_cndmask_b32_e32 v34, v55, v36, vcc
	v_cndmask_b32_e32 v36, v53, v57, vcc
	v_lshlrev_b32_e32 v53, 24, v37
	v_bfrev_b32_e32 v55, 60
	v_lshlrev_b32_e32 v36, 20, v36
	v_and_b32_e32 v53, 0x80000000, v53
	v_lshl_add_u32 v34, v34, 23, v55
	v_or3_b32 v55, v53, v34, v36
.LBB581_89:
	s_or_b64 exec, exec, s[10:11]
.LBB581_90:
	s_or_b64 exec, exec, s[8:9]
.LBB581_91:
	s_or_b64 exec, exec, s[2:3]
	v_lshrrev_b16_e32 v34, 8, v37
	v_cmp_ne_u16_e32 vcc, 0, v34
	v_mov_b32_e32 v36, 0
	v_mov_b32_e32 v57, 0
	s_and_saveexec_b64 s[2:3], vcc
	s_cbranch_execz .LBB581_97
; %bb.92:
	s_movk_i32 s8, 0x80
	v_cmp_ne_u16_e32 vcc, s8, v34
	v_bfrev_b32_e32 v57, 1
	s_and_saveexec_b64 s[8:9], vcc
	s_cbranch_execz .LBB581_96
; %bb.93:
	s_movk_i32 s10, 0x7f
	v_and_b32_e32 v53, 0x7f, v34
	v_cmp_ne_u32_e32 vcc, s10, v53
	v_mov_b32_e32 v57, 0x7f800001
	s_and_saveexec_b64 s[10:11], vcc
	s_cbranch_execz .LBB581_95
; %bb.94:
	v_and_b32_e32 v57, 7, v34
	v_ffbh_u32_e32 v58, v57
	v_min_u32_e32 v61, 32, v58
	v_subrev_u32_e32 v58, 28, v61
	v_lshlrev_b64 v[58:59], v58, v[34:35]
	v_lshrrev_b32_e32 v60, 3, v53
	v_sub_u32_e32 v34, 29, v61
	v_and_b32_e32 v58, 7, v58
	v_cmp_gt_u32_e32 vcc, 8, v53
	v_cndmask_b32_e32 v34, v60, v34, vcc
	v_cndmask_b32_e32 v53, v57, v58, vcc
	v_lshlrev_b32_e32 v57, 16, v37
	v_bfrev_b32_e32 v58, 60
	v_lshlrev_b32_e32 v53, 20, v53
	v_and_b32_e32 v57, 0x80000000, v57
	v_lshl_add_u32 v34, v34, 23, v58
	v_or3_b32 v57, v57, v34, v53
.LBB581_95:
	s_or_b64 exec, exec, s[10:11]
.LBB581_96:
	s_or_b64 exec, exec, s[8:9]
.LBB581_97:
	s_or_b64 exec, exec, s[2:3]
	s_movk_i32 s2, 0xff
	v_and_b32_sdwa v53, v37, s2 dst_sel:DWORD dst_unused:UNUSED_PAD src0_sel:WORD_1 src1_sel:DWORD
	v_lshrrev_b32_e32 v34, 16, v37
	v_cmp_ne_u16_e32 vcc, 0, v53
	s_and_saveexec_b64 s[2:3], vcc
	s_cbranch_execz .LBB581_103
; %bb.98:
	s_movk_i32 s8, 0x80
	v_cmp_ne_u16_e32 vcc, s8, v53
	v_bfrev_b32_e32 v36, 1
	s_and_saveexec_b64 s[8:9], vcc
	s_cbranch_execz .LBB581_102
; %bb.99:
	v_bfe_u32 v53, v37, 16, 7
	s_movk_i32 s10, 0x7f
	v_cmp_ne_u32_e32 vcc, s10, v53
	v_mov_b32_e32 v36, 0x7f800001
	s_and_saveexec_b64 s[10:11], vcc
	s_cbranch_execz .LBB581_101
; %bb.100:
	v_and_b32_e32 v36, 7, v34
	v_ffbh_u32_e32 v58, v36
	v_min_u32_e32 v61, 32, v58
	v_subrev_u32_e32 v58, 28, v61
	v_lshlrev_b64 v[58:59], v58, v[34:35]
	v_lshrrev_b32_e32 v60, 3, v53
	v_sub_u32_e32 v34, 29, v61
	v_and_b32_e32 v58, 7, v58
	v_cmp_gt_u32_e32 vcc, 8, v53
	v_mov_b32_e32 v53, 24
	v_cndmask_b32_e32 v34, v60, v34, vcc
	v_cndmask_b32_e32 v36, v36, v58, vcc
	v_lshlrev_b32_sdwa v53, v53, v37 dst_sel:DWORD dst_unused:UNUSED_PAD src0_sel:DWORD src1_sel:WORD_1
	v_bfrev_b32_e32 v58, 60
	v_lshlrev_b32_e32 v36, 20, v36
	v_and_b32_e32 v53, 0x80000000, v53
	v_lshl_add_u32 v34, v34, 23, v58
	v_or3_b32 v36, v53, v34, v36
.LBB581_101:
	s_or_b64 exec, exec, s[10:11]
.LBB581_102:
	s_or_b64 exec, exec, s[8:9]
.LBB581_103:
	s_or_b64 exec, exec, s[2:3]
	s_mov_b32 s2, 0xffffff
	v_cmp_lt_u32_e32 vcc, s2, v37
	v_mov_b32_e32 v53, 0
	v_mov_b32_e32 v58, 0
	s_and_saveexec_b64 s[2:3], vcc
	s_cbranch_execz .LBB581_109
; %bb.104:
	v_lshrrev_b32_e32 v34, 24, v37
	s_movk_i32 s8, 0x80
	v_cmp_ne_u32_e32 vcc, s8, v34
	v_bfrev_b32_e32 v58, 1
	s_and_saveexec_b64 s[8:9], vcc
	s_cbranch_execz .LBB581_108
; %bb.105:
	v_bfe_u32 v37, v37, 24, 7
	s_movk_i32 s10, 0x7f
	v_cmp_ne_u32_e32 vcc, s10, v37
	v_mov_b32_e32 v58, 0x7f800001
	s_and_saveexec_b64 s[10:11], vcc
	s_cbranch_execz .LBB581_107
; %bb.106:
	v_and_b32_e32 v60, 7, v34
	v_ffbh_u32_e32 v58, v60
	v_min_u32_e32 v62, 32, v58
	v_subrev_u32_e32 v58, 28, v62
	v_lshlrev_b64 v[58:59], v58, v[34:35]
	v_lshrrev_b32_e32 v61, 3, v37
	v_sub_u32_e32 v59, 29, v62
	v_and_b32_e32 v58, 7, v58
	v_cmp_gt_u32_e32 vcc, 8, v37
	v_cndmask_b32_e32 v37, v61, v59, vcc
	v_cndmask_b32_e32 v58, v60, v58, vcc
	v_lshlrev_b32_e32 v34, 24, v34
	v_bfrev_b32_e32 v59, 60
	v_lshlrev_b32_e32 v58, 20, v58
	v_and_b32_e32 v34, 0x80000000, v34
	v_lshl_add_u32 v37, v37, 23, v59
	v_or3_b32 v58, v34, v37, v58
.LBB581_107:
	s_or_b64 exec, exec, s[10:11]
.LBB581_108:
	s_or_b64 exec, exec, s[8:9]
.LBB581_109:
	s_or_b64 exec, exec, s[2:3]
	v_cvt_pkrtz_f16_f32 v34, v52, v54
	v_cvt_pkrtz_f16_f32 v35, v35, v56
	v_cmp_ne_u16_sdwa s[8:9], v38, v53 src0_sel:BYTE_0 src1_sel:DWORD
	s_nop 0
	v_mfma_f32_16x16x16f16 v[42:45], v[34:35], v[18:19], v[42:45]
	v_cvt_pkrtz_f16_f32 v34, v55, v57
	v_cvt_pkrtz_f16_f32 v35, v36, v58
	s_nop 1
	v_mfma_f32_16x16x16f16 v[34:37], v[34:35], v[20:21], v[42:45]
	s_and_saveexec_b64 s[2:3], s[8:9]
	s_cbranch_execz .LBB581_115
; %bb.110:
	s_movk_i32 s8, 0x80
	v_cmp_ne_u16_sdwa s[10:11], v38, s8 src0_sel:BYTE_0 src1_sel:DWORD
	v_bfrev_b32_e32 v53, 1
	s_and_saveexec_b64 s[8:9], s[10:11]
	s_cbranch_execz .LBB581_114
; %bb.111:
	s_movk_i32 s10, 0x7f
	v_and_b32_e32 v42, 0x7f, v38
	v_cmp_ne_u32_e32 vcc, s10, v42
	v_mov_b32_e32 v53, 0x7f800001
	s_and_saveexec_b64 s[10:11], vcc
	s_cbranch_execz .LBB581_113
; %bb.112:
	v_and_b32_e32 v43, 7, v38
	v_ffbh_u32_e32 v44, v43
	v_min_u32_e32 v53, 32, v44
	v_subrev_u32_e32 v44, 28, v53
	v_lshlrev_b64 v[44:45], v44, v[38:39]
	v_lshrrev_b32_e32 v52, 3, v42
	v_sub_u32_e32 v45, 29, v53
	v_and_b32_e32 v44, 7, v44
	v_cmp_gt_u32_e32 vcc, 8, v42
	v_cndmask_b32_e32 v42, v52, v45, vcc
	v_cndmask_b32_e32 v43, v43, v44, vcc
	v_lshlrev_b32_e32 v44, 24, v38
	v_bfrev_b32_e32 v45, 60
	v_lshlrev_b32_e32 v43, 20, v43
	v_and_b32_e32 v44, 0x80000000, v44
	v_lshl_add_u32 v42, v42, 23, v45
	v_or3_b32 v53, v44, v42, v43
.LBB581_113:
	s_or_b64 exec, exec, s[10:11]
.LBB581_114:
	s_or_b64 exec, exec, s[8:9]
.LBB581_115:
	s_or_b64 exec, exec, s[2:3]
	s_nop 3
	v_lshrrev_b16_e32 v42, 8, v38
	v_cmp_ne_u16_e32 vcc, 0, v42
	v_mov_b32_e32 v43, 0
	v_mov_b32_e32 v44, 0
	s_and_saveexec_b64 s[2:3], vcc
	s_cbranch_execz .LBB581_121
; %bb.116:
	s_movk_i32 s8, 0x80
	v_cmp_ne_u16_e32 vcc, s8, v42
	v_bfrev_b32_e32 v44, 1
	s_and_saveexec_b64 s[8:9], vcc
	s_cbranch_execz .LBB581_120
; %bb.117:
	s_movk_i32 s10, 0x7f
	v_and_b32_e32 v45, 0x7f, v42
	v_cmp_ne_u32_e32 vcc, s10, v45
	v_mov_b32_e32 v44, 0x7f800001
	s_and_saveexec_b64 s[10:11], vcc
	s_cbranch_execz .LBB581_119
; %bb.118:
	v_and_b32_e32 v44, 7, v42
	v_ffbh_u32_e32 v54, v44
	v_min_u32_e32 v56, 32, v54
	v_subrev_u32_e32 v54, 28, v56
	v_lshlrev_b64 v[54:55], v54, v[42:43]
	v_lshrrev_b32_e32 v52, 3, v45
	v_sub_u32_e32 v42, 29, v56
	v_and_b32_e32 v54, 7, v54
	v_cmp_gt_u32_e32 vcc, 8, v45
	v_cndmask_b32_e32 v42, v52, v42, vcc
	v_cndmask_b32_e32 v44, v44, v54, vcc
	v_lshlrev_b32_e32 v45, 16, v38
	v_bfrev_b32_e32 v52, 60
	v_lshlrev_b32_e32 v44, 20, v44
	v_and_b32_e32 v45, 0x80000000, v45
	v_lshl_add_u32 v42, v42, 23, v52
	v_or3_b32 v44, v45, v42, v44
.LBB581_119:
	s_or_b64 exec, exec, s[10:11]
.LBB581_120:
	s_or_b64 exec, exec, s[8:9]
.LBB581_121:
	s_or_b64 exec, exec, s[2:3]
	s_movk_i32 s2, 0xff
	v_and_b32_sdwa v45, v38, s2 dst_sel:DWORD dst_unused:UNUSED_PAD src0_sel:WORD_1 src1_sel:DWORD
	v_lshrrev_b32_e32 v42, 16, v38
	v_cmp_ne_u16_e32 vcc, 0, v45
	s_and_saveexec_b64 s[2:3], vcc
	s_cbranch_execz .LBB581_127
; %bb.122:
	s_movk_i32 s8, 0x80
	v_cmp_ne_u16_e32 vcc, s8, v45
	v_bfrev_b32_e32 v43, 1
	s_and_saveexec_b64 s[8:9], vcc
	s_cbranch_execz .LBB581_126
; %bb.123:
	v_bfe_u32 v45, v38, 16, 7
	s_movk_i32 s10, 0x7f
	v_cmp_ne_u32_e32 vcc, s10, v45
	v_mov_b32_e32 v43, 0x7f800001
	s_and_saveexec_b64 s[10:11], vcc
	s_cbranch_execz .LBB581_125
; %bb.124:
	v_and_b32_e32 v52, 7, v42
	v_ffbh_u32_e32 v43, v52
	v_min_u32_e32 v55, 32, v43
	v_subrev_u32_e32 v43, 28, v55
	v_lshlrev_b64 v[42:43], v43, v[42:43]
	v_lshrrev_b32_e32 v54, 3, v45
	v_sub_u32_e32 v43, 29, v55
	v_and_b32_e32 v42, 7, v42
	v_cmp_gt_u32_e32 vcc, 8, v45
	v_mov_b32_e32 v45, 24
	v_cndmask_b32_e32 v43, v54, v43, vcc
	v_cndmask_b32_e32 v42, v52, v42, vcc
	v_lshlrev_b32_sdwa v45, v45, v38 dst_sel:DWORD dst_unused:UNUSED_PAD src0_sel:DWORD src1_sel:WORD_1
	v_bfrev_b32_e32 v52, 60
	v_lshlrev_b32_e32 v42, 20, v42
	v_and_b32_e32 v45, 0x80000000, v45
	v_lshl_add_u32 v43, v43, 23, v52
	v_or3_b32 v43, v45, v43, v42
.LBB581_125:
	s_or_b64 exec, exec, s[10:11]
.LBB581_126:
	s_or_b64 exec, exec, s[8:9]
.LBB581_127:
	s_or_b64 exec, exec, s[2:3]
	s_mov_b32 s2, 0xffffff
	v_cmp_lt_u32_e32 vcc, s2, v38
	v_mov_b32_e32 v45, 0
	v_mov_b32_e32 v54, 0
	s_and_saveexec_b64 s[2:3], vcc
	s_cbranch_execz .LBB581_133
; %bb.128:
	v_lshrrev_b32_e32 v42, 24, v38
	s_movk_i32 s8, 0x80
	v_cmp_ne_u32_e32 vcc, s8, v42
	v_bfrev_b32_e32 v54, 1
	s_and_saveexec_b64 s[8:9], vcc
	s_cbranch_execz .LBB581_132
; %bb.129:
	v_bfe_u32 v38, v38, 24, 7
	s_movk_i32 s10, 0x7f
	v_cmp_ne_u32_e32 vcc, s10, v38
	v_mov_b32_e32 v54, 0x7f800001
	s_and_saveexec_b64 s[10:11], vcc
	s_cbranch_execz .LBB581_131
; %bb.130:
	v_and_b32_e32 v52, 7, v42
	v_ffbh_u32_e32 v54, v52
	v_min_u32_e32 v57, 32, v54
	v_subrev_u32_e32 v54, 28, v57
	v_lshlrev_b64 v[54:55], v54, v[42:43]
	v_lshrrev_b32_e32 v56, 3, v38
	v_sub_u32_e32 v55, 29, v57
	v_and_b32_e32 v54, 7, v54
	v_cmp_gt_u32_e32 vcc, 8, v38
	v_cndmask_b32_e32 v38, v56, v55, vcc
	v_cndmask_b32_e32 v52, v52, v54, vcc
	v_lshlrev_b32_e32 v42, 24, v42
	v_bfrev_b32_e32 v54, 60
	v_lshlrev_b32_e32 v52, 20, v52
	v_and_b32_e32 v42, 0x80000000, v42
	v_lshl_add_u32 v38, v38, 23, v54
	v_or3_b32 v54, v42, v38, v52
.LBB581_131:
	s_or_b64 exec, exec, s[10:11]
.LBB581_132:
	s_or_b64 exec, exec, s[8:9]
.LBB581_133:
	s_or_b64 exec, exec, s[2:3]
	v_cmp_ne_u16_sdwa s[8:9], v39, v45 src0_sel:BYTE_0 src1_sel:DWORD
	s_and_saveexec_b64 s[2:3], s[8:9]
	s_cbranch_execz .LBB581_139
; %bb.134:
	s_movk_i32 s8, 0x80
	v_cmp_ne_u16_sdwa s[10:11], v39, s8 src0_sel:BYTE_0 src1_sel:DWORD
	v_bfrev_b32_e32 v45, 1
	s_and_saveexec_b64 s[8:9], s[10:11]
	s_cbranch_execz .LBB581_138
; %bb.135:
	s_movk_i32 s10, 0x7f
	v_and_b32_e32 v38, 0x7f, v39
	v_cmp_ne_u32_e32 vcc, s10, v38
	v_mov_b32_e32 v45, 0x7f800001
	s_and_saveexec_b64 s[10:11], vcc
	s_cbranch_execz .LBB581_137
; %bb.136:
	v_and_b32_e32 v45, 7, v39
	v_ffbh_u32_e32 v55, v45
	v_min_u32_e32 v55, 32, v55
	v_mov_b32_e32 v42, v39
	v_subrev_u32_e32 v56, 28, v55
	v_lshlrev_b64 v[56:57], v56, v[42:43]
	v_lshrrev_b32_e32 v52, 3, v38
	v_sub_u32_e32 v42, 29, v55
	v_and_b32_e32 v55, 7, v56
	v_cmp_gt_u32_e32 vcc, 8, v38
	v_cndmask_b32_e32 v38, v52, v42, vcc
	v_cndmask_b32_e32 v42, v45, v55, vcc
	v_lshlrev_b32_e32 v45, 24, v39
	v_bfrev_b32_e32 v52, 60
	v_lshlrev_b32_e32 v42, 20, v42
	v_and_b32_e32 v45, 0x80000000, v45
	v_lshl_add_u32 v38, v38, 23, v52
	v_or3_b32 v45, v45, v38, v42
.LBB581_137:
	s_or_b64 exec, exec, s[10:11]
.LBB581_138:
	s_or_b64 exec, exec, s[8:9]
.LBB581_139:
	s_or_b64 exec, exec, s[2:3]
	v_lshrrev_b16_e32 v38, 8, v39
	v_cmp_ne_u16_e32 vcc, 0, v38
	v_mov_b32_e32 v42, 0
	v_mov_b32_e32 v55, 0
	s_and_saveexec_b64 s[2:3], vcc
	s_cbranch_execz .LBB581_145
; %bb.140:
	s_movk_i32 s8, 0x80
	v_cmp_ne_u16_e32 vcc, s8, v38
	v_bfrev_b32_e32 v55, 1
	s_and_saveexec_b64 s[8:9], vcc
	s_cbranch_execz .LBB581_144
; %bb.141:
	s_movk_i32 s10, 0x7f
	v_and_b32_e32 v52, 0x7f, v38
	v_cmp_ne_u32_e32 vcc, s10, v52
	v_mov_b32_e32 v55, 0x7f800001
	s_and_saveexec_b64 s[10:11], vcc
	s_cbranch_execz .LBB581_143
; %bb.142:
	v_and_b32_e32 v55, 7, v38
	v_ffbh_u32_e32 v56, v55
	v_min_u32_e32 v59, 32, v56
	v_subrev_u32_e32 v56, 28, v59
	v_lshlrev_b64 v[56:57], v56, v[38:39]
	v_lshrrev_b32_e32 v58, 3, v52
	v_sub_u32_e32 v38, 29, v59
	v_and_b32_e32 v56, 7, v56
	v_cmp_gt_u32_e32 vcc, 8, v52
	v_cndmask_b32_e32 v38, v58, v38, vcc
	v_cndmask_b32_e32 v52, v55, v56, vcc
	v_lshlrev_b32_e32 v55, 16, v39
	v_bfrev_b32_e32 v56, 60
	v_lshlrev_b32_e32 v52, 20, v52
	v_and_b32_e32 v55, 0x80000000, v55
	v_lshl_add_u32 v38, v38, 23, v56
	v_or3_b32 v55, v55, v38, v52
.LBB581_143:
	s_or_b64 exec, exec, s[10:11]
.LBB581_144:
	s_or_b64 exec, exec, s[8:9]
.LBB581_145:
	s_or_b64 exec, exec, s[2:3]
	s_movk_i32 s2, 0xff
	v_and_b32_sdwa v52, v39, s2 dst_sel:DWORD dst_unused:UNUSED_PAD src0_sel:WORD_1 src1_sel:DWORD
	v_lshrrev_b32_e32 v38, 16, v39
	v_cmp_ne_u16_e32 vcc, 0, v52
	s_and_saveexec_b64 s[2:3], vcc
	s_cbranch_execz .LBB581_151
; %bb.146:
	s_movk_i32 s8, 0x80
	v_cmp_ne_u16_e32 vcc, s8, v52
	v_bfrev_b32_e32 v42, 1
	s_and_saveexec_b64 s[8:9], vcc
	s_cbranch_execz .LBB581_150
; %bb.147:
	v_bfe_u32 v52, v39, 16, 7
	s_movk_i32 s10, 0x7f
	v_cmp_ne_u32_e32 vcc, s10, v52
	v_mov_b32_e32 v42, 0x7f800001
	s_and_saveexec_b64 s[10:11], vcc
	s_cbranch_execz .LBB581_149
; %bb.148:
	v_and_b32_e32 v42, 7, v38
	v_ffbh_u32_e32 v56, v42
	v_min_u32_e32 v59, 32, v56
	v_subrev_u32_e32 v56, 28, v59
	v_lshlrev_b64 v[56:57], v56, v[38:39]
	v_lshrrev_b32_e32 v58, 3, v52
	v_sub_u32_e32 v38, 29, v59
	v_and_b32_e32 v56, 7, v56
	v_cmp_gt_u32_e32 vcc, 8, v52
	v_mov_b32_e32 v52, 24
	v_cndmask_b32_e32 v38, v58, v38, vcc
	v_cndmask_b32_e32 v42, v42, v56, vcc
	v_lshlrev_b32_sdwa v52, v52, v39 dst_sel:DWORD dst_unused:UNUSED_PAD src0_sel:DWORD src1_sel:WORD_1
	v_bfrev_b32_e32 v56, 60
	v_lshlrev_b32_e32 v42, 20, v42
	v_and_b32_e32 v52, 0x80000000, v52
	v_lshl_add_u32 v38, v38, 23, v56
	v_or3_b32 v42, v52, v38, v42
.LBB581_149:
	s_or_b64 exec, exec, s[10:11]
.LBB581_150:
	s_or_b64 exec, exec, s[8:9]
.LBB581_151:
	s_or_b64 exec, exec, s[2:3]
	s_mov_b32 s2, 0xffffff
	v_cmp_lt_u32_e32 vcc, s2, v39
	v_mov_b32_e32 v52, 0
	v_mov_b32_e32 v56, 0
	s_and_saveexec_b64 s[2:3], vcc
	s_cbranch_execz .LBB581_157
; %bb.152:
	v_lshrrev_b32_e32 v38, 24, v39
	s_movk_i32 s8, 0x80
	v_cmp_ne_u32_e32 vcc, s8, v38
	v_bfrev_b32_e32 v56, 1
	s_and_saveexec_b64 s[8:9], vcc
	s_cbranch_execz .LBB581_156
; %bb.153:
	v_bfe_u32 v39, v39, 24, 7
	s_movk_i32 s10, 0x7f
	v_cmp_ne_u32_e32 vcc, s10, v39
	v_mov_b32_e32 v56, 0x7f800001
	s_and_saveexec_b64 s[10:11], vcc
	s_cbranch_execz .LBB581_155
; %bb.154:
	v_and_b32_e32 v58, 7, v38
	v_ffbh_u32_e32 v56, v58
	v_min_u32_e32 v60, 32, v56
	v_subrev_u32_e32 v56, 28, v60
	v_lshlrev_b64 v[56:57], v56, v[38:39]
	v_lshrrev_b32_e32 v59, 3, v39
	v_sub_u32_e32 v57, 29, v60
	v_and_b32_e32 v56, 7, v56
	v_cmp_gt_u32_e32 vcc, 8, v39
	v_cndmask_b32_e32 v39, v59, v57, vcc
	v_cndmask_b32_e32 v56, v58, v56, vcc
	v_lshlrev_b32_e32 v38, 24, v38
	v_bfrev_b32_e32 v57, 60
	v_lshlrev_b32_e32 v56, 20, v56
	v_and_b32_e32 v38, 0x80000000, v38
	v_lshl_add_u32 v39, v39, 23, v57
	v_or3_b32 v56, v38, v39, v56
.LBB581_155:
	s_or_b64 exec, exec, s[10:11]
.LBB581_156:
	s_or_b64 exec, exec, s[8:9]
.LBB581_157:
	s_or_b64 exec, exec, s[2:3]
	v_cvt_pkrtz_f16_f32 v38, v53, v44
	v_cvt_pkrtz_f16_f32 v39, v43, v54
	v_cmp_ne_u16_sdwa s[8:9], v40, v52 src0_sel:BYTE_0 src1_sel:DWORD
	s_nop 0
	v_mfma_f32_16x16x16f16 v[58:61], v[38:39], v[26:27], 0
	v_cvt_pkrtz_f16_f32 v38, v45, v55
	v_cvt_pkrtz_f16_f32 v39, v42, v56
	s_nop 1
	v_mfma_f32_16x16x16f16 v[42:45], v[38:39], v[28:29], v[58:61]
	s_and_saveexec_b64 s[2:3], s[8:9]
	s_cbranch_execz .LBB581_163
; %bb.158:
	s_movk_i32 s8, 0x80
	v_cmp_ne_u16_sdwa s[10:11], v40, s8 src0_sel:BYTE_0 src1_sel:DWORD
	v_bfrev_b32_e32 v52, 1
	s_and_saveexec_b64 s[8:9], s[10:11]
	s_cbranch_execz .LBB581_162
; %bb.159:
	s_movk_i32 s10, 0x7f
	v_and_b32_e32 v38, 0x7f, v40
	v_cmp_ne_u32_e32 vcc, s10, v38
	v_mov_b32_e32 v52, 0x7f800001
	s_and_saveexec_b64 s[10:11], vcc
	s_cbranch_execz .LBB581_161
; %bb.160:
	v_and_b32_e32 v39, 7, v40
	v_ffbh_u32_e32 v52, v39
	v_min_u32_e32 v55, 32, v52
	v_subrev_u32_e32 v52, 28, v55
	v_lshlrev_b64 v[52:53], v52, v[40:41]
	v_lshrrev_b32_e32 v54, 3, v38
	v_sub_u32_e32 v53, 29, v55
	v_and_b32_e32 v52, 7, v52
	v_cmp_gt_u32_e32 vcc, 8, v38
	v_cndmask_b32_e32 v38, v54, v53, vcc
	v_cndmask_b32_e32 v39, v39, v52, vcc
	v_lshlrev_b32_e32 v52, 24, v40
	v_bfrev_b32_e32 v53, 60
	v_lshlrev_b32_e32 v39, 20, v39
	v_and_b32_e32 v52, 0x80000000, v52
	v_lshl_add_u32 v38, v38, 23, v53
	v_or3_b32 v52, v52, v38, v39
.LBB581_161:
	s_or_b64 exec, exec, s[10:11]
.LBB581_162:
	s_or_b64 exec, exec, s[8:9]
.LBB581_163:
	s_or_b64 exec, exec, s[2:3]
	v_lshrrev_b16_e32 v38, 8, v40
	v_cmp_ne_u16_e32 vcc, 0, v38
	v_mov_b32_e32 v39, 0
	v_mov_b32_e32 v54, 0
	s_and_saveexec_b64 s[2:3], vcc
	s_cbranch_execz .LBB581_169
; %bb.164:
	s_movk_i32 s8, 0x80
	v_cmp_ne_u16_e32 vcc, s8, v38
	v_bfrev_b32_e32 v54, 1
	s_and_saveexec_b64 s[8:9], vcc
	s_cbranch_execz .LBB581_168
; %bb.165:
	s_movk_i32 s10, 0x7f
	v_and_b32_e32 v53, 0x7f, v38
	v_cmp_ne_u32_e32 vcc, s10, v53
	v_mov_b32_e32 v54, 0x7f800001
	s_and_saveexec_b64 s[10:11], vcc
	s_cbranch_execz .LBB581_167
; %bb.166:
	v_and_b32_e32 v56, 7, v38
	v_ffbh_u32_e32 v54, v56
	v_min_u32_e32 v58, 32, v54
	v_subrev_u32_e32 v54, 28, v58
	v_lshlrev_b64 v[54:55], v54, v[38:39]
	v_lshrrev_b32_e32 v57, 3, v53
	v_sub_u32_e32 v38, 29, v58
	v_and_b32_e32 v54, 7, v54
	v_cmp_gt_u32_e32 vcc, 8, v53
	v_cndmask_b32_e32 v38, v57, v38, vcc
	v_cndmask_b32_e32 v53, v56, v54, vcc
	v_lshlrev_b32_e32 v54, 16, v40
	v_bfrev_b32_e32 v55, 60
	v_lshlrev_b32_e32 v53, 20, v53
	v_and_b32_e32 v54, 0x80000000, v54
	v_lshl_add_u32 v38, v38, 23, v55
	v_or3_b32 v54, v54, v38, v53
.LBB581_167:
	s_or_b64 exec, exec, s[10:11]
.LBB581_168:
	s_or_b64 exec, exec, s[8:9]
.LBB581_169:
	s_or_b64 exec, exec, s[2:3]
	s_movk_i32 s2, 0xff
	v_and_b32_sdwa v53, v40, s2 dst_sel:DWORD dst_unused:UNUSED_PAD src0_sel:WORD_1 src1_sel:DWORD
	v_lshrrev_b32_e32 v38, 16, v40
	v_cmp_ne_u16_e32 vcc, 0, v53
	s_and_saveexec_b64 s[2:3], vcc
	s_cbranch_execz .LBB581_175
; %bb.170:
	s_movk_i32 s8, 0x80
	v_cmp_ne_u16_e32 vcc, s8, v53
	v_bfrev_b32_e32 v39, 1
	s_and_saveexec_b64 s[8:9], vcc
	s_cbranch_execz .LBB581_174
; %bb.171:
	v_bfe_u32 v53, v40, 16, 7
	s_movk_i32 s10, 0x7f
	v_cmp_ne_u32_e32 vcc, s10, v53
	v_mov_b32_e32 v39, 0x7f800001
	s_and_saveexec_b64 s[10:11], vcc
	s_cbranch_execz .LBB581_173
; %bb.172:
	v_and_b32_e32 v55, 7, v38
	v_ffbh_u32_e32 v39, v55
	v_min_u32_e32 v57, 32, v39
	v_subrev_u32_e32 v39, 28, v57
	v_lshlrev_b64 v[38:39], v39, v[38:39]
	v_lshrrev_b32_e32 v56, 3, v53
	v_sub_u32_e32 v39, 29, v57
	v_and_b32_e32 v38, 7, v38
	v_cmp_gt_u32_e32 vcc, 8, v53
	v_mov_b32_e32 v53, 24
	v_cndmask_b32_e32 v39, v56, v39, vcc
	v_cndmask_b32_e32 v38, v55, v38, vcc
	v_lshlrev_b32_sdwa v53, v53, v40 dst_sel:DWORD dst_unused:UNUSED_PAD src0_sel:DWORD src1_sel:WORD_1
	v_bfrev_b32_e32 v55, 60
	v_lshlrev_b32_e32 v38, 20, v38
	v_and_b32_e32 v53, 0x80000000, v53
	v_lshl_add_u32 v39, v39, 23, v55
	v_or3_b32 v39, v53, v39, v38
.LBB581_173:
	s_or_b64 exec, exec, s[10:11]
.LBB581_174:
	s_or_b64 exec, exec, s[8:9]
.LBB581_175:
	s_or_b64 exec, exec, s[2:3]
	s_mov_b32 s2, 0xffffff
	v_cmp_lt_u32_e32 vcc, s2, v40
	v_mov_b32_e32 v55, 0
	v_mov_b32_e32 v56, 0
	s_and_saveexec_b64 s[2:3], vcc
	s_cbranch_execz .LBB581_181
; %bb.176:
	v_lshrrev_b32_e32 v38, 24, v40
	s_movk_i32 s8, 0x80
	v_cmp_ne_u32_e32 vcc, s8, v38
	v_bfrev_b32_e32 v56, 1
	s_and_saveexec_b64 s[8:9], vcc
	s_cbranch_execz .LBB581_180
; %bb.177:
	v_bfe_u32 v40, v40, 24, 7
	s_movk_i32 s10, 0x7f
	v_cmp_ne_u32_e32 vcc, s10, v40
	v_mov_b32_e32 v56, 0x7f800001
	s_and_saveexec_b64 s[10:11], vcc
	s_cbranch_execz .LBB581_179
; %bb.178:
	v_and_b32_e32 v53, 7, v38
	v_ffbh_u32_e32 v56, v53
	v_min_u32_e32 v59, 32, v56
	v_subrev_u32_e32 v56, 28, v59
	v_lshlrev_b64 v[56:57], v56, v[38:39]
	v_lshrrev_b32_e32 v58, 3, v40
	v_sub_u32_e32 v57, 29, v59
	v_and_b32_e32 v56, 7, v56
	v_cmp_gt_u32_e32 vcc, 8, v40
	v_cndmask_b32_e32 v40, v58, v57, vcc
	v_cndmask_b32_e32 v53, v53, v56, vcc
	v_lshlrev_b32_e32 v38, 24, v38
	v_bfrev_b32_e32 v56, 60
	v_lshlrev_b32_e32 v53, 20, v53
	v_and_b32_e32 v38, 0x80000000, v38
	v_lshl_add_u32 v40, v40, 23, v56
	v_or3_b32 v56, v38, v40, v53
.LBB581_179:
	s_or_b64 exec, exec, s[10:11]
.LBB581_180:
	s_or_b64 exec, exec, s[8:9]
.LBB581_181:
	s_or_b64 exec, exec, s[2:3]
	v_cmp_ne_u16_sdwa s[8:9], v41, v55 src0_sel:BYTE_0 src1_sel:DWORD
	s_and_saveexec_b64 s[2:3], s[8:9]
	s_cbranch_execz .LBB581_187
; %bb.182:
	s_movk_i32 s8, 0x80
	v_cmp_ne_u16_sdwa s[10:11], v41, s8 src0_sel:BYTE_0 src1_sel:DWORD
	v_bfrev_b32_e32 v55, 1
	s_and_saveexec_b64 s[8:9], s[10:11]
	s_cbranch_execz .LBB581_186
; %bb.183:
	s_movk_i32 s10, 0x7f
	v_and_b32_e32 v38, 0x7f, v41
	v_cmp_ne_u32_e32 vcc, s10, v38
	v_mov_b32_e32 v55, 0x7f800001
	s_and_saveexec_b64 s[10:11], vcc
	s_cbranch_execz .LBB581_185
; %bb.184:
	v_and_b32_e32 v53, 7, v41
	v_ffbh_u32_e32 v57, v53
	v_min_u32_e32 v57, 32, v57
	v_mov_b32_e32 v40, v41
	v_subrev_u32_e32 v58, 28, v57
	v_lshlrev_b64 v[58:59], v58, v[40:41]
	v_lshrrev_b32_e32 v55, 3, v38
	v_sub_u32_e32 v40, 29, v57
	v_and_b32_e32 v57, 7, v58
	v_cmp_gt_u32_e32 vcc, 8, v38
	v_cndmask_b32_e32 v38, v55, v40, vcc
	v_cndmask_b32_e32 v40, v53, v57, vcc
	v_lshlrev_b32_e32 v53, 24, v41
	v_bfrev_b32_e32 v55, 60
	v_lshlrev_b32_e32 v40, 20, v40
	v_and_b32_e32 v53, 0x80000000, v53
	v_lshl_add_u32 v38, v38, 23, v55
	v_or3_b32 v55, v53, v38, v40
.LBB581_185:
	s_or_b64 exec, exec, s[10:11]
.LBB581_186:
	s_or_b64 exec, exec, s[8:9]
.LBB581_187:
	s_or_b64 exec, exec, s[2:3]
	v_lshrrev_b16_e32 v38, 8, v41
	v_cmp_ne_u16_e32 vcc, 0, v38
	v_mov_b32_e32 v40, 0
	v_mov_b32_e32 v57, 0
	s_and_saveexec_b64 s[2:3], vcc
	s_cbranch_execz .LBB581_193
; %bb.188:
	s_movk_i32 s8, 0x80
	v_cmp_ne_u16_e32 vcc, s8, v38
	v_bfrev_b32_e32 v57, 1
	s_and_saveexec_b64 s[8:9], vcc
	s_cbranch_execz .LBB581_192
; %bb.189:
	s_movk_i32 s10, 0x7f
	v_and_b32_e32 v53, 0x7f, v38
	v_cmp_ne_u32_e32 vcc, s10, v53
	v_mov_b32_e32 v57, 0x7f800001
	s_and_saveexec_b64 s[10:11], vcc
	s_cbranch_execz .LBB581_191
; %bb.190:
	v_and_b32_e32 v57, 7, v38
	v_ffbh_u32_e32 v58, v57
	v_min_u32_e32 v61, 32, v58
	v_subrev_u32_e32 v58, 28, v61
	v_lshlrev_b64 v[58:59], v58, v[38:39]
	v_lshrrev_b32_e32 v60, 3, v53
	v_sub_u32_e32 v38, 29, v61
	v_and_b32_e32 v58, 7, v58
	v_cmp_gt_u32_e32 vcc, 8, v53
	v_cndmask_b32_e32 v38, v60, v38, vcc
	v_cndmask_b32_e32 v53, v57, v58, vcc
	v_lshlrev_b32_e32 v57, 16, v41
	v_bfrev_b32_e32 v58, 60
	v_lshlrev_b32_e32 v53, 20, v53
	v_and_b32_e32 v57, 0x80000000, v57
	v_lshl_add_u32 v38, v38, 23, v58
	v_or3_b32 v57, v57, v38, v53
.LBB581_191:
	s_or_b64 exec, exec, s[10:11]
.LBB581_192:
	s_or_b64 exec, exec, s[8:9]
.LBB581_193:
	s_or_b64 exec, exec, s[2:3]
	s_movk_i32 s2, 0xff
	v_and_b32_sdwa v53, v41, s2 dst_sel:DWORD dst_unused:UNUSED_PAD src0_sel:WORD_1 src1_sel:DWORD
	v_lshrrev_b32_e32 v38, 16, v41
	v_cmp_ne_u16_e32 vcc, 0, v53
	s_and_saveexec_b64 s[2:3], vcc
	s_cbranch_execz .LBB581_199
; %bb.194:
	s_movk_i32 s8, 0x80
	v_cmp_ne_u16_e32 vcc, s8, v53
	v_bfrev_b32_e32 v40, 1
	s_and_saveexec_b64 s[8:9], vcc
	s_cbranch_execz .LBB581_198
; %bb.195:
	v_bfe_u32 v53, v41, 16, 7
	s_movk_i32 s10, 0x7f
	v_cmp_ne_u32_e32 vcc, s10, v53
	v_mov_b32_e32 v40, 0x7f800001
	s_and_saveexec_b64 s[10:11], vcc
	s_cbranch_execz .LBB581_197
; %bb.196:
	v_and_b32_e32 v40, 7, v38
	v_ffbh_u32_e32 v58, v40
	v_min_u32_e32 v61, 32, v58
	v_subrev_u32_e32 v58, 28, v61
	v_lshlrev_b64 v[58:59], v58, v[38:39]
	v_lshrrev_b32_e32 v60, 3, v53
	v_sub_u32_e32 v38, 29, v61
	v_and_b32_e32 v58, 7, v58
	v_cmp_gt_u32_e32 vcc, 8, v53
	v_mov_b32_e32 v53, 24
	v_cndmask_b32_e32 v38, v60, v38, vcc
	v_cndmask_b32_e32 v40, v40, v58, vcc
	v_lshlrev_b32_sdwa v53, v53, v41 dst_sel:DWORD dst_unused:UNUSED_PAD src0_sel:DWORD src1_sel:WORD_1
	v_bfrev_b32_e32 v58, 60
	v_lshlrev_b32_e32 v40, 20, v40
	v_and_b32_e32 v53, 0x80000000, v53
	v_lshl_add_u32 v38, v38, 23, v58
	v_or3_b32 v40, v53, v38, v40
.LBB581_197:
	s_or_b64 exec, exec, s[10:11]
.LBB581_198:
	s_or_b64 exec, exec, s[8:9]
.LBB581_199:
	s_or_b64 exec, exec, s[2:3]
	s_mov_b32 s2, 0xffffff
	v_cmp_lt_u32_e32 vcc, s2, v41
	v_mov_b32_e32 v53, 0
	v_mov_b32_e32 v58, 0
	s_and_saveexec_b64 s[2:3], vcc
	s_cbranch_execz .LBB581_205
; %bb.200:
	v_lshrrev_b32_e32 v38, 24, v41
	s_movk_i32 s8, 0x80
	v_cmp_ne_u32_e32 vcc, s8, v38
	v_bfrev_b32_e32 v58, 1
	s_and_saveexec_b64 s[8:9], vcc
	s_cbranch_execz .LBB581_204
; %bb.201:
	v_bfe_u32 v41, v41, 24, 7
	s_movk_i32 s10, 0x7f
	v_cmp_ne_u32_e32 vcc, s10, v41
	v_mov_b32_e32 v58, 0x7f800001
	s_and_saveexec_b64 s[10:11], vcc
	s_cbranch_execz .LBB581_203
; %bb.202:
	v_and_b32_e32 v60, 7, v38
	v_ffbh_u32_e32 v58, v60
	v_min_u32_e32 v62, 32, v58
	v_subrev_u32_e32 v58, 28, v62
	v_lshlrev_b64 v[58:59], v58, v[38:39]
	v_lshrrev_b32_e32 v61, 3, v41
	v_sub_u32_e32 v59, 29, v62
	v_and_b32_e32 v58, 7, v58
	v_cmp_gt_u32_e32 vcc, 8, v41
	v_cndmask_b32_e32 v41, v61, v59, vcc
	v_cndmask_b32_e32 v58, v60, v58, vcc
	v_lshlrev_b32_e32 v38, 24, v38
	v_bfrev_b32_e32 v59, 60
	v_lshlrev_b32_e32 v58, 20, v58
	v_and_b32_e32 v38, 0x80000000, v38
	v_lshl_add_u32 v41, v41, 23, v59
	v_or3_b32 v58, v38, v41, v58
.LBB581_203:
	s_or_b64 exec, exec, s[10:11]
.LBB581_204:
	s_or_b64 exec, exec, s[8:9]
.LBB581_205:
	s_or_b64 exec, exec, s[2:3]
	v_cvt_pkrtz_f16_f32 v38, v52, v54
	v_cvt_pkrtz_f16_f32 v39, v39, v56
	v_cmp_ne_u16_sdwa s[8:9], v30, v53 src0_sel:BYTE_0 src1_sel:DWORD
	s_nop 0
	v_mfma_f32_16x16x16f16 v[42:45], v[38:39], v[18:19], v[42:45]
	v_cvt_pkrtz_f16_f32 v38, v55, v57
	v_cvt_pkrtz_f16_f32 v39, v40, v58
	s_nop 1
	v_mfma_f32_16x16x16f16 v[38:41], v[38:39], v[20:21], v[42:45]
	s_and_saveexec_b64 s[2:3], s[8:9]
	s_cbranch_execz .LBB581_211
; %bb.206:
	s_movk_i32 s8, 0x80
	v_cmp_ne_u16_sdwa s[10:11], v30, s8 src0_sel:BYTE_0 src1_sel:DWORD
	v_bfrev_b32_e32 v53, 1
	s_and_saveexec_b64 s[8:9], s[10:11]
	s_cbranch_execz .LBB581_210
; %bb.207:
	s_movk_i32 s10, 0x7f
	v_and_b32_e32 v42, 0x7f, v30
	v_cmp_ne_u32_e32 vcc, s10, v42
	v_mov_b32_e32 v53, 0x7f800001
	s_and_saveexec_b64 s[10:11], vcc
	s_cbranch_execz .LBB581_209
; %bb.208:
	v_and_b32_e32 v43, 7, v30
	v_ffbh_u32_e32 v44, v43
	v_min_u32_e32 v53, 32, v44
	v_subrev_u32_e32 v44, 28, v53
	v_lshlrev_b64 v[44:45], v44, v[30:31]
	v_lshrrev_b32_e32 v52, 3, v42
	v_sub_u32_e32 v45, 29, v53
	v_and_b32_e32 v44, 7, v44
	v_cmp_gt_u32_e32 vcc, 8, v42
	v_cndmask_b32_e32 v42, v52, v45, vcc
	v_cndmask_b32_e32 v43, v43, v44, vcc
	v_lshlrev_b32_e32 v44, 24, v30
	v_bfrev_b32_e32 v45, 60
	v_lshlrev_b32_e32 v43, 20, v43
	v_and_b32_e32 v44, 0x80000000, v44
	v_lshl_add_u32 v42, v42, 23, v45
	v_or3_b32 v53, v44, v42, v43
.LBB581_209:
	s_or_b64 exec, exec, s[10:11]
.LBB581_210:
	s_or_b64 exec, exec, s[8:9]
.LBB581_211:
	s_or_b64 exec, exec, s[2:3]
	s_nop 3
	v_lshrrev_b16_e32 v42, 8, v30
	v_cmp_ne_u16_e32 vcc, 0, v42
	v_mov_b32_e32 v43, 0
	v_mov_b32_e32 v44, 0
	s_and_saveexec_b64 s[2:3], vcc
	s_cbranch_execz .LBB581_217
; %bb.212:
	s_movk_i32 s8, 0x80
	v_cmp_ne_u16_e32 vcc, s8, v42
	v_bfrev_b32_e32 v44, 1
	s_and_saveexec_b64 s[8:9], vcc
	s_cbranch_execz .LBB581_216
; %bb.213:
	s_movk_i32 s10, 0x7f
	v_and_b32_e32 v45, 0x7f, v42
	v_cmp_ne_u32_e32 vcc, s10, v45
	v_mov_b32_e32 v44, 0x7f800001
	s_and_saveexec_b64 s[10:11], vcc
	s_cbranch_execz .LBB581_215
; %bb.214:
	v_and_b32_e32 v44, 7, v42
	v_ffbh_u32_e32 v54, v44
	v_min_u32_e32 v56, 32, v54
	v_subrev_u32_e32 v54, 28, v56
	v_lshlrev_b64 v[54:55], v54, v[42:43]
	v_lshrrev_b32_e32 v52, 3, v45
	v_sub_u32_e32 v42, 29, v56
	v_and_b32_e32 v54, 7, v54
	v_cmp_gt_u32_e32 vcc, 8, v45
	v_cndmask_b32_e32 v42, v52, v42, vcc
	v_cndmask_b32_e32 v44, v44, v54, vcc
	v_lshlrev_b32_e32 v45, 16, v30
	v_bfrev_b32_e32 v52, 60
	v_lshlrev_b32_e32 v44, 20, v44
	v_and_b32_e32 v45, 0x80000000, v45
	v_lshl_add_u32 v42, v42, 23, v52
	v_or3_b32 v44, v45, v42, v44
.LBB581_215:
	s_or_b64 exec, exec, s[10:11]
.LBB581_216:
	s_or_b64 exec, exec, s[8:9]
.LBB581_217:
	s_or_b64 exec, exec, s[2:3]
	s_movk_i32 s2, 0xff
	v_and_b32_sdwa v45, v30, s2 dst_sel:DWORD dst_unused:UNUSED_PAD src0_sel:WORD_1 src1_sel:DWORD
	v_lshrrev_b32_e32 v42, 16, v30
	v_cmp_ne_u16_e32 vcc, 0, v45
	s_and_saveexec_b64 s[2:3], vcc
	s_cbranch_execz .LBB581_223
; %bb.218:
	s_movk_i32 s8, 0x80
	v_cmp_ne_u16_e32 vcc, s8, v45
	v_bfrev_b32_e32 v43, 1
	s_and_saveexec_b64 s[8:9], vcc
	s_cbranch_execz .LBB581_222
; %bb.219:
	v_bfe_u32 v45, v30, 16, 7
	s_movk_i32 s10, 0x7f
	v_cmp_ne_u32_e32 vcc, s10, v45
	v_mov_b32_e32 v43, 0x7f800001
	s_and_saveexec_b64 s[10:11], vcc
	s_cbranch_execz .LBB581_221
; %bb.220:
	v_and_b32_e32 v52, 7, v42
	v_ffbh_u32_e32 v43, v52
	v_min_u32_e32 v55, 32, v43
	v_subrev_u32_e32 v43, 28, v55
	v_lshlrev_b64 v[42:43], v43, v[42:43]
	v_lshrrev_b32_e32 v54, 3, v45
	v_sub_u32_e32 v43, 29, v55
	v_and_b32_e32 v42, 7, v42
	v_cmp_gt_u32_e32 vcc, 8, v45
	v_mov_b32_e32 v45, 24
	v_cndmask_b32_e32 v43, v54, v43, vcc
	v_cndmask_b32_e32 v42, v52, v42, vcc
	v_lshlrev_b32_sdwa v45, v45, v30 dst_sel:DWORD dst_unused:UNUSED_PAD src0_sel:DWORD src1_sel:WORD_1
	v_bfrev_b32_e32 v52, 60
	v_lshlrev_b32_e32 v42, 20, v42
	v_and_b32_e32 v45, 0x80000000, v45
	v_lshl_add_u32 v43, v43, 23, v52
	v_or3_b32 v43, v45, v43, v42
.LBB581_221:
	s_or_b64 exec, exec, s[10:11]
.LBB581_222:
	s_or_b64 exec, exec, s[8:9]
.LBB581_223:
	s_or_b64 exec, exec, s[2:3]
	s_mov_b32 s2, 0xffffff
	v_cmp_lt_u32_e32 vcc, s2, v30
	v_mov_b32_e32 v45, 0
	v_mov_b32_e32 v54, 0
	s_and_saveexec_b64 s[2:3], vcc
	s_cbranch_execz .LBB581_229
; %bb.224:
	v_lshrrev_b32_e32 v42, 24, v30
	s_movk_i32 s8, 0x80
	v_cmp_ne_u32_e32 vcc, s8, v42
	v_bfrev_b32_e32 v54, 1
	s_and_saveexec_b64 s[8:9], vcc
	s_cbranch_execz .LBB581_228
; %bb.225:
	v_bfe_u32 v30, v30, 24, 7
	s_movk_i32 s10, 0x7f
	v_cmp_ne_u32_e32 vcc, s10, v30
	v_mov_b32_e32 v54, 0x7f800001
	s_and_saveexec_b64 s[10:11], vcc
	s_cbranch_execz .LBB581_227
; %bb.226:
	v_and_b32_e32 v52, 7, v42
	v_ffbh_u32_e32 v54, v52
	v_min_u32_e32 v57, 32, v54
	v_subrev_u32_e32 v54, 28, v57
	v_lshlrev_b64 v[54:55], v54, v[42:43]
	v_lshrrev_b32_e32 v56, 3, v30
	v_sub_u32_e32 v55, 29, v57
	v_and_b32_e32 v54, 7, v54
	v_cmp_gt_u32_e32 vcc, 8, v30
	v_cndmask_b32_e32 v30, v56, v55, vcc
	v_cndmask_b32_e32 v52, v52, v54, vcc
	v_lshlrev_b32_e32 v42, 24, v42
	v_bfrev_b32_e32 v54, 60
	v_lshlrev_b32_e32 v52, 20, v52
	v_and_b32_e32 v42, 0x80000000, v42
	v_lshl_add_u32 v30, v30, 23, v54
	v_or3_b32 v54, v42, v30, v52
.LBB581_227:
	s_or_b64 exec, exec, s[10:11]
.LBB581_228:
	s_or_b64 exec, exec, s[8:9]
.LBB581_229:
	s_or_b64 exec, exec, s[2:3]
	v_cmp_ne_u16_sdwa s[8:9], v31, v45 src0_sel:BYTE_0 src1_sel:DWORD
	s_and_saveexec_b64 s[2:3], s[8:9]
	s_cbranch_execz .LBB581_235
; %bb.230:
	s_movk_i32 s8, 0x80
	v_cmp_ne_u16_sdwa s[10:11], v31, s8 src0_sel:BYTE_0 src1_sel:DWORD
	v_bfrev_b32_e32 v45, 1
	s_and_saveexec_b64 s[8:9], s[10:11]
	s_cbranch_execz .LBB581_234
; %bb.231:
	s_movk_i32 s10, 0x7f
	v_and_b32_e32 v30, 0x7f, v31
	v_cmp_ne_u32_e32 vcc, s10, v30
	v_mov_b32_e32 v45, 0x7f800001
	s_and_saveexec_b64 s[10:11], vcc
	s_cbranch_execz .LBB581_233
; %bb.232:
	v_and_b32_e32 v45, 7, v31
	v_ffbh_u32_e32 v55, v45
	v_min_u32_e32 v55, 32, v55
	v_mov_b32_e32 v42, v31
	v_subrev_u32_e32 v56, 28, v55
	v_lshlrev_b64 v[56:57], v56, v[42:43]
	v_lshrrev_b32_e32 v52, 3, v30
	v_sub_u32_e32 v42, 29, v55
	v_and_b32_e32 v55, 7, v56
	v_cmp_gt_u32_e32 vcc, 8, v30
	v_cndmask_b32_e32 v30, v52, v42, vcc
	v_cndmask_b32_e32 v42, v45, v55, vcc
	v_lshlrev_b32_e32 v45, 24, v31
	v_bfrev_b32_e32 v52, 60
	v_lshlrev_b32_e32 v42, 20, v42
	v_and_b32_e32 v45, 0x80000000, v45
	v_lshl_add_u32 v30, v30, 23, v52
	v_or3_b32 v45, v45, v30, v42
.LBB581_233:
	s_or_b64 exec, exec, s[10:11]
.LBB581_234:
	s_or_b64 exec, exec, s[8:9]
.LBB581_235:
	s_or_b64 exec, exec, s[2:3]
	v_lshrrev_b16_e32 v30, 8, v31
	v_cmp_ne_u16_e32 vcc, 0, v30
	v_mov_b32_e32 v42, 0
	v_mov_b32_e32 v55, 0
	s_and_saveexec_b64 s[2:3], vcc
	s_cbranch_execz .LBB581_241
; %bb.236:
	s_movk_i32 s8, 0x80
	v_cmp_ne_u16_e32 vcc, s8, v30
	v_bfrev_b32_e32 v55, 1
	s_and_saveexec_b64 s[8:9], vcc
	s_cbranch_execz .LBB581_240
; %bb.237:
	s_movk_i32 s10, 0x7f
	v_and_b32_e32 v52, 0x7f, v30
	v_cmp_ne_u32_e32 vcc, s10, v52
	v_mov_b32_e32 v55, 0x7f800001
	s_and_saveexec_b64 s[10:11], vcc
	s_cbranch_execz .LBB581_239
; %bb.238:
	v_and_b32_e32 v55, 7, v30
	v_ffbh_u32_e32 v56, v55
	v_min_u32_e32 v59, 32, v56
	v_subrev_u32_e32 v56, 28, v59
	v_lshlrev_b64 v[56:57], v56, v[30:31]
	v_lshrrev_b32_e32 v58, 3, v52
	v_sub_u32_e32 v30, 29, v59
	v_and_b32_e32 v56, 7, v56
	v_cmp_gt_u32_e32 vcc, 8, v52
	v_cndmask_b32_e32 v30, v58, v30, vcc
	v_cndmask_b32_e32 v52, v55, v56, vcc
	v_lshlrev_b32_e32 v55, 16, v31
	v_bfrev_b32_e32 v56, 60
	v_lshlrev_b32_e32 v52, 20, v52
	v_and_b32_e32 v55, 0x80000000, v55
	v_lshl_add_u32 v30, v30, 23, v56
	v_or3_b32 v55, v55, v30, v52
.LBB581_239:
	s_or_b64 exec, exec, s[10:11]
.LBB581_240:
	s_or_b64 exec, exec, s[8:9]
.LBB581_241:
	s_or_b64 exec, exec, s[2:3]
	s_movk_i32 s2, 0xff
	v_and_b32_sdwa v52, v31, s2 dst_sel:DWORD dst_unused:UNUSED_PAD src0_sel:WORD_1 src1_sel:DWORD
	v_lshrrev_b32_e32 v30, 16, v31
	v_cmp_ne_u16_e32 vcc, 0, v52
	s_and_saveexec_b64 s[2:3], vcc
	s_cbranch_execz .LBB581_247
; %bb.242:
	s_movk_i32 s8, 0x80
	v_cmp_ne_u16_e32 vcc, s8, v52
	v_bfrev_b32_e32 v42, 1
	s_and_saveexec_b64 s[8:9], vcc
	s_cbranch_execz .LBB581_246
; %bb.243:
	v_bfe_u32 v52, v31, 16, 7
	s_movk_i32 s10, 0x7f
	v_cmp_ne_u32_e32 vcc, s10, v52
	v_mov_b32_e32 v42, 0x7f800001
	s_and_saveexec_b64 s[10:11], vcc
	s_cbranch_execz .LBB581_245
; %bb.244:
	v_and_b32_e32 v42, 7, v30
	v_ffbh_u32_e32 v56, v42
	v_min_u32_e32 v59, 32, v56
	v_subrev_u32_e32 v56, 28, v59
	v_lshlrev_b64 v[56:57], v56, v[30:31]
	v_lshrrev_b32_e32 v58, 3, v52
	v_sub_u32_e32 v30, 29, v59
	v_and_b32_e32 v56, 7, v56
	v_cmp_gt_u32_e32 vcc, 8, v52
	v_mov_b32_e32 v52, 24
	v_cndmask_b32_e32 v30, v58, v30, vcc
	v_cndmask_b32_e32 v42, v42, v56, vcc
	v_lshlrev_b32_sdwa v52, v52, v31 dst_sel:DWORD dst_unused:UNUSED_PAD src0_sel:DWORD src1_sel:WORD_1
	v_bfrev_b32_e32 v56, 60
	v_lshlrev_b32_e32 v42, 20, v42
	v_and_b32_e32 v52, 0x80000000, v52
	v_lshl_add_u32 v30, v30, 23, v56
	v_or3_b32 v42, v52, v30, v42
.LBB581_245:
	s_or_b64 exec, exec, s[10:11]
.LBB581_246:
	s_or_b64 exec, exec, s[8:9]
.LBB581_247:
	s_or_b64 exec, exec, s[2:3]
	s_mov_b32 s2, 0xffffff
	v_cmp_lt_u32_e32 vcc, s2, v31
	v_mov_b32_e32 v52, 0
	v_mov_b32_e32 v56, 0
	s_and_saveexec_b64 s[2:3], vcc
	s_cbranch_execz .LBB581_253
; %bb.248:
	v_lshrrev_b32_e32 v30, 24, v31
	s_movk_i32 s8, 0x80
	v_cmp_ne_u32_e32 vcc, s8, v30
	v_bfrev_b32_e32 v56, 1
	s_and_saveexec_b64 s[8:9], vcc
	s_cbranch_execz .LBB581_252
; %bb.249:
	v_bfe_u32 v31, v31, 24, 7
	s_movk_i32 s10, 0x7f
	v_cmp_ne_u32_e32 vcc, s10, v31
	v_mov_b32_e32 v56, 0x7f800001
	s_and_saveexec_b64 s[10:11], vcc
	s_cbranch_execz .LBB581_251
; %bb.250:
	v_and_b32_e32 v58, 7, v30
	v_ffbh_u32_e32 v56, v58
	v_min_u32_e32 v60, 32, v56
	v_subrev_u32_e32 v56, 28, v60
	v_lshlrev_b64 v[56:57], v56, v[30:31]
	v_lshrrev_b32_e32 v59, 3, v31
	v_sub_u32_e32 v57, 29, v60
	v_and_b32_e32 v56, 7, v56
	v_cmp_gt_u32_e32 vcc, 8, v31
	v_cndmask_b32_e32 v31, v59, v57, vcc
	v_cndmask_b32_e32 v56, v58, v56, vcc
	v_lshlrev_b32_e32 v30, 24, v30
	v_bfrev_b32_e32 v57, 60
	v_lshlrev_b32_e32 v56, 20, v56
	v_and_b32_e32 v30, 0x80000000, v30
	v_lshl_add_u32 v31, v31, 23, v57
	v_or3_b32 v56, v30, v31, v56
.LBB581_251:
	s_or_b64 exec, exec, s[10:11]
.LBB581_252:
	s_or_b64 exec, exec, s[8:9]
.LBB581_253:
	s_or_b64 exec, exec, s[2:3]
	v_cvt_pkrtz_f16_f32 v30, v53, v44
	v_cvt_pkrtz_f16_f32 v31, v43, v54
	v_cmp_ne_u16_sdwa s[8:9], v32, v52 src0_sel:BYTE_0 src1_sel:DWORD
	s_nop 0
	v_mfma_f32_16x16x16f16 v[58:61], v[30:31], v[26:27], 0
	v_cvt_pkrtz_f16_f32 v30, v45, v55
	v_cvt_pkrtz_f16_f32 v31, v42, v56
	s_nop 1
	v_mfma_f32_16x16x16f16 v[42:45], v[30:31], v[28:29], v[58:61]
	s_and_saveexec_b64 s[2:3], s[8:9]
	s_cbranch_execz .LBB581_259
; %bb.254:
	s_movk_i32 s8, 0x80
	v_cmp_ne_u16_sdwa s[10:11], v32, s8 src0_sel:BYTE_0 src1_sel:DWORD
	v_bfrev_b32_e32 v52, 1
	s_and_saveexec_b64 s[8:9], s[10:11]
	s_cbranch_execz .LBB581_258
; %bb.255:
	s_movk_i32 s10, 0x7f
	v_and_b32_e32 v30, 0x7f, v32
	v_cmp_ne_u32_e32 vcc, s10, v30
	v_mov_b32_e32 v52, 0x7f800001
	s_and_saveexec_b64 s[10:11], vcc
	s_cbranch_execz .LBB581_257
; %bb.256:
	v_and_b32_e32 v31, 7, v32
	v_ffbh_u32_e32 v52, v31
	v_min_u32_e32 v55, 32, v52
	v_subrev_u32_e32 v52, 28, v55
	v_lshlrev_b64 v[52:53], v52, v[32:33]
	v_lshrrev_b32_e32 v54, 3, v30
	v_sub_u32_e32 v53, 29, v55
	v_and_b32_e32 v52, 7, v52
	v_cmp_gt_u32_e32 vcc, 8, v30
	v_cndmask_b32_e32 v30, v54, v53, vcc
	v_cndmask_b32_e32 v31, v31, v52, vcc
	v_lshlrev_b32_e32 v52, 24, v32
	v_bfrev_b32_e32 v53, 60
	v_lshlrev_b32_e32 v31, 20, v31
	v_and_b32_e32 v52, 0x80000000, v52
	v_lshl_add_u32 v30, v30, 23, v53
	v_or3_b32 v52, v52, v30, v31
.LBB581_257:
	s_or_b64 exec, exec, s[10:11]
.LBB581_258:
	s_or_b64 exec, exec, s[8:9]
.LBB581_259:
	s_or_b64 exec, exec, s[2:3]
	v_lshrrev_b16_e32 v30, 8, v32
	v_cmp_ne_u16_e32 vcc, 0, v30
	v_mov_b32_e32 v31, 0
	v_mov_b32_e32 v54, 0
	s_and_saveexec_b64 s[2:3], vcc
	s_cbranch_execz .LBB581_265
; %bb.260:
	s_movk_i32 s8, 0x80
	v_cmp_ne_u16_e32 vcc, s8, v30
	v_bfrev_b32_e32 v54, 1
	s_and_saveexec_b64 s[8:9], vcc
	s_cbranch_execz .LBB581_264
; %bb.261:
	s_movk_i32 s10, 0x7f
	v_and_b32_e32 v53, 0x7f, v30
	v_cmp_ne_u32_e32 vcc, s10, v53
	v_mov_b32_e32 v54, 0x7f800001
	s_and_saveexec_b64 s[10:11], vcc
	s_cbranch_execz .LBB581_263
; %bb.262:
	v_and_b32_e32 v56, 7, v30
	v_ffbh_u32_e32 v54, v56
	v_min_u32_e32 v58, 32, v54
	v_subrev_u32_e32 v54, 28, v58
	v_lshlrev_b64 v[54:55], v54, v[30:31]
	v_lshrrev_b32_e32 v57, 3, v53
	v_sub_u32_e32 v30, 29, v58
	v_and_b32_e32 v54, 7, v54
	v_cmp_gt_u32_e32 vcc, 8, v53
	v_cndmask_b32_e32 v30, v57, v30, vcc
	v_cndmask_b32_e32 v53, v56, v54, vcc
	v_lshlrev_b32_e32 v54, 16, v32
	v_bfrev_b32_e32 v55, 60
	v_lshlrev_b32_e32 v53, 20, v53
	v_and_b32_e32 v54, 0x80000000, v54
	v_lshl_add_u32 v30, v30, 23, v55
	v_or3_b32 v54, v54, v30, v53
.LBB581_263:
	s_or_b64 exec, exec, s[10:11]
.LBB581_264:
	s_or_b64 exec, exec, s[8:9]
.LBB581_265:
	s_or_b64 exec, exec, s[2:3]
	s_movk_i32 s2, 0xff
	v_and_b32_sdwa v53, v32, s2 dst_sel:DWORD dst_unused:UNUSED_PAD src0_sel:WORD_1 src1_sel:DWORD
	v_lshrrev_b32_e32 v30, 16, v32
	v_cmp_ne_u16_e32 vcc, 0, v53
	s_and_saveexec_b64 s[2:3], vcc
	s_cbranch_execz .LBB581_271
; %bb.266:
	s_movk_i32 s8, 0x80
	v_cmp_ne_u16_e32 vcc, s8, v53
	v_bfrev_b32_e32 v31, 1
	s_and_saveexec_b64 s[8:9], vcc
	s_cbranch_execz .LBB581_270
; %bb.267:
	v_bfe_u32 v53, v32, 16, 7
	s_movk_i32 s10, 0x7f
	v_cmp_ne_u32_e32 vcc, s10, v53
	v_mov_b32_e32 v31, 0x7f800001
	s_and_saveexec_b64 s[10:11], vcc
	s_cbranch_execz .LBB581_269
; %bb.268:
	v_and_b32_e32 v55, 7, v30
	v_ffbh_u32_e32 v31, v55
	v_min_u32_e32 v57, 32, v31
	v_subrev_u32_e32 v31, 28, v57
	v_lshlrev_b64 v[30:31], v31, v[30:31]
	v_lshrrev_b32_e32 v56, 3, v53
	v_sub_u32_e32 v31, 29, v57
	v_and_b32_e32 v30, 7, v30
	v_cmp_gt_u32_e32 vcc, 8, v53
	v_mov_b32_e32 v53, 24
	v_cndmask_b32_e32 v31, v56, v31, vcc
	v_cndmask_b32_e32 v30, v55, v30, vcc
	v_lshlrev_b32_sdwa v53, v53, v32 dst_sel:DWORD dst_unused:UNUSED_PAD src0_sel:DWORD src1_sel:WORD_1
	v_bfrev_b32_e32 v55, 60
	v_lshlrev_b32_e32 v30, 20, v30
	v_and_b32_e32 v53, 0x80000000, v53
	v_lshl_add_u32 v31, v31, 23, v55
	v_or3_b32 v31, v53, v31, v30
.LBB581_269:
	s_or_b64 exec, exec, s[10:11]
.LBB581_270:
	s_or_b64 exec, exec, s[8:9]
.LBB581_271:
	s_or_b64 exec, exec, s[2:3]
	s_mov_b32 s2, 0xffffff
	v_cmp_lt_u32_e32 vcc, s2, v32
	v_mov_b32_e32 v55, 0
	v_mov_b32_e32 v56, 0
	s_and_saveexec_b64 s[2:3], vcc
	s_cbranch_execz .LBB581_277
; %bb.272:
	v_lshrrev_b32_e32 v30, 24, v32
	s_movk_i32 s8, 0x80
	v_cmp_ne_u32_e32 vcc, s8, v30
	v_bfrev_b32_e32 v56, 1
	s_and_saveexec_b64 s[8:9], vcc
	s_cbranch_execz .LBB581_276
; %bb.273:
	v_bfe_u32 v32, v32, 24, 7
	s_movk_i32 s10, 0x7f
	v_cmp_ne_u32_e32 vcc, s10, v32
	v_mov_b32_e32 v56, 0x7f800001
	s_and_saveexec_b64 s[10:11], vcc
	s_cbranch_execz .LBB581_275
; %bb.274:
	v_and_b32_e32 v53, 7, v30
	v_ffbh_u32_e32 v56, v53
	v_min_u32_e32 v59, 32, v56
	v_subrev_u32_e32 v56, 28, v59
	v_lshlrev_b64 v[56:57], v56, v[30:31]
	v_lshrrev_b32_e32 v58, 3, v32
	v_sub_u32_e32 v57, 29, v59
	v_and_b32_e32 v56, 7, v56
	v_cmp_gt_u32_e32 vcc, 8, v32
	v_cndmask_b32_e32 v32, v58, v57, vcc
	v_cndmask_b32_e32 v53, v53, v56, vcc
	v_lshlrev_b32_e32 v30, 24, v30
	v_bfrev_b32_e32 v56, 60
	v_lshlrev_b32_e32 v53, 20, v53
	v_and_b32_e32 v30, 0x80000000, v30
	v_lshl_add_u32 v32, v32, 23, v56
	v_or3_b32 v56, v30, v32, v53
.LBB581_275:
	s_or_b64 exec, exec, s[10:11]
.LBB581_276:
	s_or_b64 exec, exec, s[8:9]
.LBB581_277:
	s_or_b64 exec, exec, s[2:3]
	v_cmp_ne_u16_sdwa s[8:9], v33, v55 src0_sel:BYTE_0 src1_sel:DWORD
	s_and_saveexec_b64 s[2:3], s[8:9]
	s_cbranch_execz .LBB581_283
; %bb.278:
	s_movk_i32 s8, 0x80
	v_cmp_ne_u16_sdwa s[10:11], v33, s8 src0_sel:BYTE_0 src1_sel:DWORD
	v_bfrev_b32_e32 v55, 1
	s_and_saveexec_b64 s[8:9], s[10:11]
	s_cbranch_execz .LBB581_282
; %bb.279:
	s_movk_i32 s10, 0x7f
	v_and_b32_e32 v30, 0x7f, v33
	v_cmp_ne_u32_e32 vcc, s10, v30
	v_mov_b32_e32 v55, 0x7f800001
	s_and_saveexec_b64 s[10:11], vcc
	s_cbranch_execz .LBB581_281
; %bb.280:
	v_and_b32_e32 v53, 7, v33
	v_ffbh_u32_e32 v57, v53
	v_min_u32_e32 v57, 32, v57
	v_mov_b32_e32 v32, v33
	v_subrev_u32_e32 v58, 28, v57
	v_lshlrev_b64 v[58:59], v58, v[32:33]
	v_lshrrev_b32_e32 v55, 3, v30
	v_sub_u32_e32 v32, 29, v57
	v_and_b32_e32 v57, 7, v58
	v_cmp_gt_u32_e32 vcc, 8, v30
	v_cndmask_b32_e32 v30, v55, v32, vcc
	v_cndmask_b32_e32 v32, v53, v57, vcc
	v_lshlrev_b32_e32 v53, 24, v33
	v_bfrev_b32_e32 v55, 60
	v_lshlrev_b32_e32 v32, 20, v32
	v_and_b32_e32 v53, 0x80000000, v53
	v_lshl_add_u32 v30, v30, 23, v55
	v_or3_b32 v55, v53, v30, v32
.LBB581_281:
	s_or_b64 exec, exec, s[10:11]
.LBB581_282:
	s_or_b64 exec, exec, s[8:9]
.LBB581_283:
	s_or_b64 exec, exec, s[2:3]
	v_lshrrev_b16_e32 v30, 8, v33
	v_cmp_ne_u16_e32 vcc, 0, v30
	v_mov_b32_e32 v32, 0
	v_mov_b32_e32 v57, 0
	s_and_saveexec_b64 s[2:3], vcc
	s_cbranch_execz .LBB581_289
; %bb.284:
	s_movk_i32 s8, 0x80
	v_cmp_ne_u16_e32 vcc, s8, v30
	v_bfrev_b32_e32 v57, 1
	s_and_saveexec_b64 s[8:9], vcc
	s_cbranch_execz .LBB581_288
; %bb.285:
	s_movk_i32 s10, 0x7f
	v_and_b32_e32 v53, 0x7f, v30
	v_cmp_ne_u32_e32 vcc, s10, v53
	v_mov_b32_e32 v57, 0x7f800001
	s_and_saveexec_b64 s[10:11], vcc
	s_cbranch_execz .LBB581_287
; %bb.286:
	v_and_b32_e32 v57, 7, v30
	v_ffbh_u32_e32 v58, v57
	v_min_u32_e32 v61, 32, v58
	v_subrev_u32_e32 v58, 28, v61
	v_lshlrev_b64 v[58:59], v58, v[30:31]
	v_lshrrev_b32_e32 v60, 3, v53
	v_sub_u32_e32 v30, 29, v61
	v_and_b32_e32 v58, 7, v58
	v_cmp_gt_u32_e32 vcc, 8, v53
	v_cndmask_b32_e32 v30, v60, v30, vcc
	v_cndmask_b32_e32 v53, v57, v58, vcc
	v_lshlrev_b32_e32 v57, 16, v33
	v_bfrev_b32_e32 v58, 60
	v_lshlrev_b32_e32 v53, 20, v53
	v_and_b32_e32 v57, 0x80000000, v57
	v_lshl_add_u32 v30, v30, 23, v58
	v_or3_b32 v57, v57, v30, v53
.LBB581_287:
	s_or_b64 exec, exec, s[10:11]
.LBB581_288:
	s_or_b64 exec, exec, s[8:9]
.LBB581_289:
	s_or_b64 exec, exec, s[2:3]
	s_movk_i32 s2, 0xff
	v_and_b32_sdwa v53, v33, s2 dst_sel:DWORD dst_unused:UNUSED_PAD src0_sel:WORD_1 src1_sel:DWORD
	v_lshrrev_b32_e32 v30, 16, v33
	v_cmp_ne_u16_e32 vcc, 0, v53
	s_and_saveexec_b64 s[2:3], vcc
	s_cbranch_execz .LBB581_295
; %bb.290:
	s_movk_i32 s8, 0x80
	v_cmp_ne_u16_e32 vcc, s8, v53
	v_bfrev_b32_e32 v32, 1
	s_and_saveexec_b64 s[8:9], vcc
	s_cbranch_execz .LBB581_294
; %bb.291:
	v_bfe_u32 v53, v33, 16, 7
	s_movk_i32 s10, 0x7f
	v_cmp_ne_u32_e32 vcc, s10, v53
	v_mov_b32_e32 v32, 0x7f800001
	s_and_saveexec_b64 s[10:11], vcc
	s_cbranch_execz .LBB581_293
; %bb.292:
	v_and_b32_e32 v32, 7, v30
	v_ffbh_u32_e32 v58, v32
	v_min_u32_e32 v61, 32, v58
	v_subrev_u32_e32 v58, 28, v61
	v_lshlrev_b64 v[58:59], v58, v[30:31]
	v_lshrrev_b32_e32 v60, 3, v53
	v_sub_u32_e32 v30, 29, v61
	v_and_b32_e32 v58, 7, v58
	v_cmp_gt_u32_e32 vcc, 8, v53
	v_mov_b32_e32 v53, 24
	v_cndmask_b32_e32 v30, v60, v30, vcc
	v_cndmask_b32_e32 v32, v32, v58, vcc
	v_lshlrev_b32_sdwa v53, v53, v33 dst_sel:DWORD dst_unused:UNUSED_PAD src0_sel:DWORD src1_sel:WORD_1
	v_bfrev_b32_e32 v58, 60
	v_lshlrev_b32_e32 v32, 20, v32
	v_and_b32_e32 v53, 0x80000000, v53
	v_lshl_add_u32 v30, v30, 23, v58
	v_or3_b32 v32, v53, v30, v32
.LBB581_293:
	s_or_b64 exec, exec, s[10:11]
.LBB581_294:
	s_or_b64 exec, exec, s[8:9]
.LBB581_295:
	s_or_b64 exec, exec, s[2:3]
	s_mov_b32 s2, 0xffffff
	v_cmp_lt_u32_e32 vcc, s2, v33
	v_mov_b32_e32 v53, 0
	v_mov_b32_e32 v58, 0
	s_and_saveexec_b64 s[2:3], vcc
	s_cbranch_execz .LBB581_301
; %bb.296:
	v_lshrrev_b32_e32 v30, 24, v33
	s_movk_i32 s8, 0x80
	v_cmp_ne_u32_e32 vcc, s8, v30
	v_bfrev_b32_e32 v58, 1
	s_and_saveexec_b64 s[8:9], vcc
	s_cbranch_execz .LBB581_300
; %bb.297:
	v_bfe_u32 v33, v33, 24, 7
	s_movk_i32 s10, 0x7f
	v_cmp_ne_u32_e32 vcc, s10, v33
	v_mov_b32_e32 v58, 0x7f800001
	s_and_saveexec_b64 s[10:11], vcc
	s_cbranch_execz .LBB581_299
; %bb.298:
	v_and_b32_e32 v60, 7, v30
	v_ffbh_u32_e32 v58, v60
	v_min_u32_e32 v62, 32, v58
	v_subrev_u32_e32 v58, 28, v62
	v_lshlrev_b64 v[58:59], v58, v[30:31]
	v_lshrrev_b32_e32 v61, 3, v33
	v_sub_u32_e32 v59, 29, v62
	v_and_b32_e32 v58, 7, v58
	v_cmp_gt_u32_e32 vcc, 8, v33
	v_cndmask_b32_e32 v33, v61, v59, vcc
	v_cndmask_b32_e32 v58, v60, v58, vcc
	v_lshlrev_b32_e32 v30, 24, v30
	v_bfrev_b32_e32 v59, 60
	v_lshlrev_b32_e32 v58, 20, v58
	v_and_b32_e32 v30, 0x80000000, v30
	v_lshl_add_u32 v33, v33, 23, v59
	v_or3_b32 v58, v30, v33, v58
.LBB581_299:
	s_or_b64 exec, exec, s[10:11]
.LBB581_300:
	s_or_b64 exec, exec, s[8:9]
.LBB581_301:
	s_or_b64 exec, exec, s[2:3]
	v_cvt_pkrtz_f16_f32 v30, v52, v54
	v_cvt_pkrtz_f16_f32 v31, v31, v56
	v_cmp_ne_u16_sdwa s[8:9], v22, v53 src0_sel:BYTE_0 src1_sel:DWORD
	s_nop 0
	v_mfma_f32_16x16x16f16 v[42:45], v[30:31], v[18:19], v[42:45]
	v_cvt_pkrtz_f16_f32 v30, v55, v57
	v_cvt_pkrtz_f16_f32 v31, v32, v58
	s_nop 1
	v_mfma_f32_16x16x16f16 v[30:33], v[30:31], v[20:21], v[42:45]
	s_and_saveexec_b64 s[2:3], s[8:9]
	s_cbranch_execz .LBB581_307
; %bb.302:
	s_movk_i32 s8, 0x80
	v_cmp_ne_u16_sdwa s[10:11], v22, s8 src0_sel:BYTE_0 src1_sel:DWORD
	v_bfrev_b32_e32 v53, 1
	s_and_saveexec_b64 s[8:9], s[10:11]
	s_cbranch_execz .LBB581_306
; %bb.303:
	s_movk_i32 s10, 0x7f
	v_and_b32_e32 v42, 0x7f, v22
	v_cmp_ne_u32_e32 vcc, s10, v42
	v_mov_b32_e32 v53, 0x7f800001
	s_and_saveexec_b64 s[10:11], vcc
	s_cbranch_execz .LBB581_305
; %bb.304:
	v_and_b32_e32 v43, 7, v22
	v_ffbh_u32_e32 v44, v43
	v_min_u32_e32 v53, 32, v44
	v_subrev_u32_e32 v44, 28, v53
	v_lshlrev_b64 v[44:45], v44, v[22:23]
	v_lshrrev_b32_e32 v52, 3, v42
	v_sub_u32_e32 v45, 29, v53
	v_and_b32_e32 v44, 7, v44
	v_cmp_gt_u32_e32 vcc, 8, v42
	v_cndmask_b32_e32 v42, v52, v45, vcc
	v_cndmask_b32_e32 v43, v43, v44, vcc
	v_lshlrev_b32_e32 v44, 24, v22
	v_bfrev_b32_e32 v45, 60
	v_lshlrev_b32_e32 v43, 20, v43
	v_and_b32_e32 v44, 0x80000000, v44
	v_lshl_add_u32 v42, v42, 23, v45
	v_or3_b32 v53, v44, v42, v43
.LBB581_305:
	s_or_b64 exec, exec, s[10:11]
.LBB581_306:
	s_or_b64 exec, exec, s[8:9]
.LBB581_307:
	s_or_b64 exec, exec, s[2:3]
	s_nop 3
	v_lshrrev_b16_e32 v42, 8, v22
	v_cmp_ne_u16_e32 vcc, 0, v42
	v_mov_b32_e32 v43, 0
	v_mov_b32_e32 v44, 0
	s_and_saveexec_b64 s[2:3], vcc
	s_cbranch_execz .LBB581_313
; %bb.308:
	s_movk_i32 s8, 0x80
	v_cmp_ne_u16_e32 vcc, s8, v42
	v_bfrev_b32_e32 v44, 1
	s_and_saveexec_b64 s[8:9], vcc
	s_cbranch_execz .LBB581_312
; %bb.309:
	s_movk_i32 s10, 0x7f
	v_and_b32_e32 v45, 0x7f, v42
	v_cmp_ne_u32_e32 vcc, s10, v45
	v_mov_b32_e32 v44, 0x7f800001
	s_and_saveexec_b64 s[10:11], vcc
	s_cbranch_execz .LBB581_311
; %bb.310:
	v_and_b32_e32 v44, 7, v42
	v_ffbh_u32_e32 v54, v44
	v_min_u32_e32 v56, 32, v54
	v_subrev_u32_e32 v54, 28, v56
	v_lshlrev_b64 v[54:55], v54, v[42:43]
	v_lshrrev_b32_e32 v52, 3, v45
	v_sub_u32_e32 v42, 29, v56
	v_and_b32_e32 v54, 7, v54
	v_cmp_gt_u32_e32 vcc, 8, v45
	v_cndmask_b32_e32 v42, v52, v42, vcc
	v_cndmask_b32_e32 v44, v44, v54, vcc
	v_lshlrev_b32_e32 v45, 16, v22
	v_bfrev_b32_e32 v52, 60
	v_lshlrev_b32_e32 v44, 20, v44
	v_and_b32_e32 v45, 0x80000000, v45
	v_lshl_add_u32 v42, v42, 23, v52
	v_or3_b32 v44, v45, v42, v44
.LBB581_311:
	s_or_b64 exec, exec, s[10:11]
.LBB581_312:
	s_or_b64 exec, exec, s[8:9]
.LBB581_313:
	s_or_b64 exec, exec, s[2:3]
	s_movk_i32 s2, 0xff
	v_and_b32_sdwa v45, v22, s2 dst_sel:DWORD dst_unused:UNUSED_PAD src0_sel:WORD_1 src1_sel:DWORD
	v_lshrrev_b32_e32 v42, 16, v22
	v_cmp_ne_u16_e32 vcc, 0, v45
	s_and_saveexec_b64 s[2:3], vcc
	s_cbranch_execz .LBB581_319
; %bb.314:
	s_movk_i32 s8, 0x80
	v_cmp_ne_u16_e32 vcc, s8, v45
	v_bfrev_b32_e32 v43, 1
	s_and_saveexec_b64 s[8:9], vcc
	s_cbranch_execz .LBB581_318
; %bb.315:
	v_bfe_u32 v45, v22, 16, 7
	s_movk_i32 s10, 0x7f
	v_cmp_ne_u32_e32 vcc, s10, v45
	v_mov_b32_e32 v43, 0x7f800001
	s_and_saveexec_b64 s[10:11], vcc
	s_cbranch_execz .LBB581_317
; %bb.316:
	v_and_b32_e32 v52, 7, v42
	v_ffbh_u32_e32 v43, v52
	v_min_u32_e32 v55, 32, v43
	v_subrev_u32_e32 v43, 28, v55
	v_lshlrev_b64 v[42:43], v43, v[42:43]
	v_lshrrev_b32_e32 v54, 3, v45
	v_sub_u32_e32 v43, 29, v55
	v_and_b32_e32 v42, 7, v42
	v_cmp_gt_u32_e32 vcc, 8, v45
	v_mov_b32_e32 v45, 24
	v_cndmask_b32_e32 v43, v54, v43, vcc
	v_cndmask_b32_e32 v42, v52, v42, vcc
	v_lshlrev_b32_sdwa v45, v45, v22 dst_sel:DWORD dst_unused:UNUSED_PAD src0_sel:DWORD src1_sel:WORD_1
	v_bfrev_b32_e32 v52, 60
	v_lshlrev_b32_e32 v42, 20, v42
	v_and_b32_e32 v45, 0x80000000, v45
	v_lshl_add_u32 v43, v43, 23, v52
	v_or3_b32 v43, v45, v43, v42
.LBB581_317:
	s_or_b64 exec, exec, s[10:11]
.LBB581_318:
	s_or_b64 exec, exec, s[8:9]
.LBB581_319:
	s_or_b64 exec, exec, s[2:3]
	s_mov_b32 s2, 0xffffff
	v_cmp_lt_u32_e32 vcc, s2, v22
	v_mov_b32_e32 v45, 0
	v_mov_b32_e32 v52, 0
	s_and_saveexec_b64 s[2:3], vcc
	s_cbranch_execz .LBB581_325
; %bb.320:
	v_lshrrev_b32_e32 v42, 24, v22
	s_movk_i32 s8, 0x80
	v_cmp_ne_u32_e32 vcc, s8, v42
	v_bfrev_b32_e32 v52, 1
	s_and_saveexec_b64 s[8:9], vcc
	s_cbranch_execz .LBB581_324
; %bb.321:
	v_bfe_u32 v22, v22, 24, 7
	s_movk_i32 s10, 0x7f
	v_cmp_ne_u32_e32 vcc, s10, v22
	v_mov_b32_e32 v52, 0x7f800001
	s_and_saveexec_b64 s[10:11], vcc
	s_cbranch_execz .LBB581_323
; %bb.322:
	v_and_b32_e32 v52, 7, v42
	v_ffbh_u32_e32 v54, v52
	v_min_u32_e32 v57, 32, v54
	v_subrev_u32_e32 v54, 28, v57
	v_lshlrev_b64 v[54:55], v54, v[42:43]
	v_lshrrev_b32_e32 v56, 3, v22
	v_sub_u32_e32 v55, 29, v57
	v_and_b32_e32 v54, 7, v54
	v_cmp_gt_u32_e32 vcc, 8, v22
	v_cndmask_b32_e32 v22, v56, v55, vcc
	v_cndmask_b32_e32 v52, v52, v54, vcc
	v_lshlrev_b32_e32 v42, 24, v42
	v_bfrev_b32_e32 v54, 60
	v_lshlrev_b32_e32 v52, 20, v52
	v_and_b32_e32 v42, 0x80000000, v42
	v_lshl_add_u32 v22, v22, 23, v54
	v_or3_b32 v52, v42, v22, v52
.LBB581_323:
	s_or_b64 exec, exec, s[10:11]
.LBB581_324:
	s_or_b64 exec, exec, s[8:9]
.LBB581_325:
	s_or_b64 exec, exec, s[2:3]
	v_cmp_ne_u16_sdwa s[8:9], v23, v45 src0_sel:BYTE_0 src1_sel:DWORD
	s_and_saveexec_b64 s[2:3], s[8:9]
	s_cbranch_execz .LBB581_331
; %bb.326:
	s_movk_i32 s8, 0x80
	v_cmp_ne_u16_sdwa s[10:11], v23, s8 src0_sel:BYTE_0 src1_sel:DWORD
	v_bfrev_b32_e32 v45, 1
	s_and_saveexec_b64 s[8:9], s[10:11]
	s_cbranch_execz .LBB581_330
; %bb.327:
	s_movk_i32 s10, 0x7f
	v_and_b32_e32 v22, 0x7f, v23
	v_cmp_ne_u32_e32 vcc, s10, v22
	v_mov_b32_e32 v45, 0x7f800001
	s_and_saveexec_b64 s[10:11], vcc
	s_cbranch_execz .LBB581_329
; %bb.328:
	v_and_b32_e32 v45, 7, v23
	v_ffbh_u32_e32 v54, v45
	v_min_u32_e32 v57, 32, v54
	v_mov_b32_e32 v42, v23
	v_subrev_u32_e32 v54, 28, v57
	v_lshlrev_b64 v[54:55], v54, v[42:43]
	v_lshrrev_b32_e32 v56, 3, v22
	v_sub_u32_e32 v42, 29, v57
	v_and_b32_e32 v54, 7, v54
	v_cmp_gt_u32_e32 vcc, 8, v22
	v_cndmask_b32_e32 v22, v56, v42, vcc
	v_cndmask_b32_e32 v42, v45, v54, vcc
	v_lshlrev_b32_e32 v45, 24, v23
	v_bfrev_b32_e32 v54, 60
	v_lshlrev_b32_e32 v42, 20, v42
	v_and_b32_e32 v45, 0x80000000, v45
	v_lshl_add_u32 v22, v22, 23, v54
	v_or3_b32 v45, v45, v22, v42
.LBB581_329:
	s_or_b64 exec, exec, s[10:11]
.LBB581_330:
	s_or_b64 exec, exec, s[8:9]
.LBB581_331:
	s_or_b64 exec, exec, s[2:3]
	v_lshrrev_b16_e32 v22, 8, v23
	v_cmp_ne_u16_e32 vcc, 0, v22
	v_mov_b32_e32 v54, 0
	v_mov_b32_e32 v55, 0
	s_and_saveexec_b64 s[2:3], vcc
	s_cbranch_execz .LBB581_337
; %bb.332:
	s_movk_i32 s8, 0x80
	v_cmp_ne_u16_e32 vcc, s8, v22
	v_bfrev_b32_e32 v55, 1
	s_and_saveexec_b64 s[8:9], vcc
	s_cbranch_execz .LBB581_336
; %bb.333:
	s_movk_i32 s10, 0x7f
	v_and_b32_e32 v42, 0x7f, v22
	v_cmp_ne_u32_e32 vcc, s10, v42
	v_mov_b32_e32 v55, 0x7f800001
	s_and_saveexec_b64 s[10:11], vcc
	s_cbranch_execz .LBB581_335
; %bb.334:
	v_and_b32_e32 v55, 7, v22
	v_ffbh_u32_e32 v56, v55
	v_min_u32_e32 v59, 32, v56
	v_subrev_u32_e32 v56, 28, v59
	v_lshlrev_b64 v[56:57], v56, v[22:23]
	v_lshrrev_b32_e32 v58, 3, v42
	v_sub_u32_e32 v22, 29, v59
	v_and_b32_e32 v56, 7, v56
	v_cmp_gt_u32_e32 vcc, 8, v42
	v_cndmask_b32_e32 v22, v58, v22, vcc
	v_cndmask_b32_e32 v42, v55, v56, vcc
	v_lshlrev_b32_e32 v55, 16, v23
	v_bfrev_b32_e32 v56, 60
	v_lshlrev_b32_e32 v42, 20, v42
	v_and_b32_e32 v55, 0x80000000, v55
	v_lshl_add_u32 v22, v22, 23, v56
	v_or3_b32 v55, v55, v22, v42
.LBB581_335:
	s_or_b64 exec, exec, s[10:11]
.LBB581_336:
	s_or_b64 exec, exec, s[8:9]
.LBB581_337:
	s_or_b64 exec, exec, s[2:3]
	s_movk_i32 s2, 0xff
	v_and_b32_sdwa v42, v23, s2 dst_sel:DWORD dst_unused:UNUSED_PAD src0_sel:WORD_1 src1_sel:DWORD
	v_lshrrev_b32_e32 v22, 16, v23
	v_cmp_ne_u16_e32 vcc, 0, v42
	s_and_saveexec_b64 s[2:3], vcc
	s_cbranch_execz .LBB581_343
; %bb.338:
	s_movk_i32 s8, 0x80
	v_cmp_ne_u16_e32 vcc, s8, v42
	v_bfrev_b32_e32 v54, 1
	s_and_saveexec_b64 s[8:9], vcc
	s_cbranch_execz .LBB581_342
; %bb.339:
	v_bfe_u32 v42, v23, 16, 7
	s_movk_i32 s10, 0x7f
	v_cmp_ne_u32_e32 vcc, s10, v42
	v_mov_b32_e32 v54, 0x7f800001
	s_and_saveexec_b64 s[10:11], vcc
	s_cbranch_execz .LBB581_341
; %bb.340:
	v_and_b32_e32 v54, 7, v22
	v_ffbh_u32_e32 v56, v54
	v_min_u32_e32 v59, 32, v56
	v_subrev_u32_e32 v56, 28, v59
	v_lshlrev_b64 v[56:57], v56, v[22:23]
	v_and_b32_e32 v56, 7, v56
	v_cmp_gt_u32_e32 vcc, 8, v42
	v_lshrrev_b32_e32 v58, 3, v42
	v_sub_u32_e32 v22, 29, v59
	v_cndmask_b32_e32 v42, v54, v56, vcc
	v_mov_b32_e32 v54, 24
	v_cndmask_b32_e32 v22, v58, v22, vcc
	v_lshlrev_b32_sdwa v54, v54, v23 dst_sel:DWORD dst_unused:UNUSED_PAD src0_sel:DWORD src1_sel:WORD_1
	v_bfrev_b32_e32 v56, 60
	v_lshlrev_b32_e32 v42, 20, v42
	v_and_b32_e32 v54, 0x80000000, v54
	v_lshl_add_u32 v22, v22, 23, v56
	v_or3_b32 v54, v54, v22, v42
.LBB581_341:
	s_or_b64 exec, exec, s[10:11]
.LBB581_342:
	s_or_b64 exec, exec, s[8:9]
.LBB581_343:
	s_or_b64 exec, exec, s[2:3]
	s_mov_b32 s2, 0xffffff
	v_cmp_lt_u32_e32 vcc, s2, v23
	v_mov_b32_e32 v42, 0
	v_mov_b32_e32 v56, 0
	s_and_saveexec_b64 s[2:3], vcc
	s_cbranch_execz .LBB581_349
; %bb.344:
	v_lshrrev_b32_e32 v22, 24, v23
	s_movk_i32 s8, 0x80
	v_cmp_ne_u32_e32 vcc, s8, v22
	v_bfrev_b32_e32 v56, 1
	s_and_saveexec_b64 s[8:9], vcc
	s_cbranch_execz .LBB581_348
; %bb.345:
	v_bfe_u32 v23, v23, 24, 7
	s_movk_i32 s10, 0x7f
	v_cmp_ne_u32_e32 vcc, s10, v23
	v_mov_b32_e32 v56, 0x7f800001
	s_and_saveexec_b64 s[10:11], vcc
	s_cbranch_execz .LBB581_347
; %bb.346:
	v_and_b32_e32 v58, 7, v22
	v_ffbh_u32_e32 v56, v58
	v_min_u32_e32 v60, 32, v56
	v_subrev_u32_e32 v56, 28, v60
	v_lshlrev_b64 v[56:57], v56, v[22:23]
	v_lshrrev_b32_e32 v59, 3, v23
	v_sub_u32_e32 v57, 29, v60
	v_and_b32_e32 v56, 7, v56
	v_cmp_gt_u32_e32 vcc, 8, v23
	v_cndmask_b32_e32 v23, v59, v57, vcc
	v_cndmask_b32_e32 v56, v58, v56, vcc
	v_lshlrev_b32_e32 v22, 24, v22
	v_bfrev_b32_e32 v57, 60
	v_lshlrev_b32_e32 v56, 20, v56
	v_and_b32_e32 v22, 0x80000000, v22
	v_lshl_add_u32 v23, v23, 23, v57
	v_or3_b32 v56, v22, v23, v56
.LBB581_347:
	s_or_b64 exec, exec, s[10:11]
.LBB581_348:
	s_or_b64 exec, exec, s[8:9]
.LBB581_349:
	s_or_b64 exec, exec, s[2:3]
	v_cvt_pkrtz_f16_f32 v22, v53, v44
	v_cvt_pkrtz_f16_f32 v23, v43, v52
	v_cmp_ne_u16_sdwa s[8:9], v24, v42 src0_sel:BYTE_0 src1_sel:DWORD
	s_nop 0
	v_mfma_f32_16x16x16f16 v[58:61], v[22:23], v[26:27], 0
	v_cvt_pkrtz_f16_f32 v22, v45, v55
	v_cvt_pkrtz_f16_f32 v23, v54, v56
	s_nop 1
	v_mfma_f32_16x16x16f16 v[26:29], v[22:23], v[28:29], v[58:61]
	s_and_saveexec_b64 s[2:3], s[8:9]
	s_cbranch_execz .LBB581_355
; %bb.350:
	s_movk_i32 s8, 0x80
	v_cmp_ne_u16_sdwa s[10:11], v24, s8 src0_sel:BYTE_0 src1_sel:DWORD
	v_bfrev_b32_e32 v42, 1
	s_and_saveexec_b64 s[8:9], s[10:11]
	s_cbranch_execz .LBB581_354
; %bb.351:
	s_movk_i32 s10, 0x7f
	v_and_b32_e32 v22, 0x7f, v24
	v_cmp_ne_u32_e32 vcc, s10, v22
	v_mov_b32_e32 v42, 0x7f800001
	s_and_saveexec_b64 s[10:11], vcc
	s_cbranch_execz .LBB581_353
; %bb.352:
	v_and_b32_e32 v23, 7, v24
	v_ffbh_u32_e32 v42, v23
	v_min_u32_e32 v45, 32, v42
	v_subrev_u32_e32 v42, 28, v45
	v_lshlrev_b64 v[42:43], v42, v[24:25]
	v_lshrrev_b32_e32 v44, 3, v22
	v_sub_u32_e32 v43, 29, v45
	v_and_b32_e32 v42, 7, v42
	v_cmp_gt_u32_e32 vcc, 8, v22
	v_cndmask_b32_e32 v22, v44, v43, vcc
	v_cndmask_b32_e32 v23, v23, v42, vcc
	v_lshlrev_b32_e32 v42, 24, v24
	v_bfrev_b32_e32 v43, 60
	v_lshlrev_b32_e32 v23, 20, v23
	v_and_b32_e32 v42, 0x80000000, v42
	v_lshl_add_u32 v22, v22, 23, v43
	v_or3_b32 v42, v42, v22, v23
.LBB581_353:
	s_or_b64 exec, exec, s[10:11]
.LBB581_354:
	s_or_b64 exec, exec, s[8:9]
.LBB581_355:
	s_or_b64 exec, exec, s[2:3]
	v_lshrrev_b16_e32 v22, 8, v24
	v_cmp_ne_u16_e32 vcc, 0, v22
	v_mov_b32_e32 v23, 0
	v_mov_b32_e32 v43, 0
	s_and_saveexec_b64 s[2:3], vcc
	s_cbranch_execz .LBB581_361
; %bb.356:
	s_movk_i32 s8, 0x80
	v_cmp_ne_u16_e32 vcc, s8, v22
	v_bfrev_b32_e32 v43, 1
	s_and_saveexec_b64 s[8:9], vcc
	s_cbranch_execz .LBB581_360
; %bb.357:
	s_movk_i32 s10, 0x7f
	v_and_b32_e32 v44, 0x7f, v22
	v_cmp_ne_u32_e32 vcc, s10, v44
	v_mov_b32_e32 v43, 0x7f800001
	s_and_saveexec_b64 s[10:11], vcc
	s_cbranch_execz .LBB581_359
; %bb.358:
	v_and_b32_e32 v43, 7, v22
	v_ffbh_u32_e32 v52, v43
	v_min_u32_e32 v54, 32, v52
	v_subrev_u32_e32 v52, 28, v54
	v_lshlrev_b64 v[52:53], v52, v[22:23]
	v_lshrrev_b32_e32 v45, 3, v44
	v_sub_u32_e32 v22, 29, v54
	v_and_b32_e32 v52, 7, v52
	v_cmp_gt_u32_e32 vcc, 8, v44
	v_cndmask_b32_e32 v22, v45, v22, vcc
	v_cndmask_b32_e32 v43, v43, v52, vcc
	v_lshlrev_b32_e32 v44, 16, v24
	v_bfrev_b32_e32 v45, 60
	v_lshlrev_b32_e32 v43, 20, v43
	v_and_b32_e32 v44, 0x80000000, v44
	v_lshl_add_u32 v22, v22, 23, v45
	v_or3_b32 v43, v44, v22, v43
.LBB581_359:
	s_or_b64 exec, exec, s[10:11]
.LBB581_360:
	s_or_b64 exec, exec, s[8:9]
.LBB581_361:
	s_or_b64 exec, exec, s[2:3]
	s_movk_i32 s2, 0xff
	v_and_b32_sdwa v44, v24, s2 dst_sel:DWORD dst_unused:UNUSED_PAD src0_sel:WORD_1 src1_sel:DWORD
	v_lshrrev_b32_e32 v22, 16, v24
	v_cmp_ne_u16_e32 vcc, 0, v44
	s_and_saveexec_b64 s[2:3], vcc
	s_cbranch_execz .LBB581_367
; %bb.362:
	s_movk_i32 s8, 0x80
	v_cmp_ne_u16_e32 vcc, s8, v44
	v_bfrev_b32_e32 v23, 1
	s_and_saveexec_b64 s[8:9], vcc
	s_cbranch_execz .LBB581_366
; %bb.363:
	v_bfe_u32 v44, v24, 16, 7
	s_movk_i32 s10, 0x7f
	v_cmp_ne_u32_e32 vcc, s10, v44
	v_mov_b32_e32 v23, 0x7f800001
	s_and_saveexec_b64 s[10:11], vcc
	s_cbranch_execz .LBB581_365
; %bb.364:
	v_and_b32_e32 v45, 7, v22
	v_ffbh_u32_e32 v23, v45
	v_min_u32_e32 v53, 32, v23
	v_subrev_u32_e32 v23, 28, v53
	v_lshlrev_b64 v[22:23], v23, v[22:23]
	v_lshrrev_b32_e32 v52, 3, v44
	v_sub_u32_e32 v23, 29, v53
	v_and_b32_e32 v22, 7, v22
	v_cmp_gt_u32_e32 vcc, 8, v44
	v_mov_b32_e32 v44, 24
	v_cndmask_b32_e32 v23, v52, v23, vcc
	v_cndmask_b32_e32 v22, v45, v22, vcc
	v_lshlrev_b32_sdwa v44, v44, v24 dst_sel:DWORD dst_unused:UNUSED_PAD src0_sel:DWORD src1_sel:WORD_1
	v_bfrev_b32_e32 v45, 60
	v_lshlrev_b32_e32 v22, 20, v22
	v_and_b32_e32 v44, 0x80000000, v44
	v_lshl_add_u32 v23, v23, 23, v45
	v_or3_b32 v23, v44, v23, v22
.LBB581_365:
	s_or_b64 exec, exec, s[10:11]
.LBB581_366:
	s_or_b64 exec, exec, s[8:9]
.LBB581_367:
	s_or_b64 exec, exec, s[2:3]
	s_mov_b32 s2, 0xffffff
	v_cmp_lt_u32_e32 vcc, s2, v24
	v_mov_b32_e32 v45, 0
	v_mov_b32_e32 v52, 0
	s_and_saveexec_b64 s[2:3], vcc
	s_cbranch_execz .LBB581_373
; %bb.368:
	v_lshrrev_b32_e32 v22, 24, v24
	s_movk_i32 s8, 0x80
	v_cmp_ne_u32_e32 vcc, s8, v22
	v_bfrev_b32_e32 v52, 1
	s_and_saveexec_b64 s[8:9], vcc
	s_cbranch_execz .LBB581_372
; %bb.369:
	v_bfe_u32 v24, v24, 24, 7
	s_movk_i32 s10, 0x7f
	v_cmp_ne_u32_e32 vcc, s10, v24
	v_mov_b32_e32 v52, 0x7f800001
	s_and_saveexec_b64 s[10:11], vcc
	s_cbranch_execz .LBB581_371
; %bb.370:
	v_and_b32_e32 v44, 7, v22
	v_ffbh_u32_e32 v52, v44
	v_min_u32_e32 v55, 32, v52
	v_subrev_u32_e32 v52, 28, v55
	v_lshlrev_b64 v[52:53], v52, v[22:23]
	v_lshrrev_b32_e32 v54, 3, v24
	v_sub_u32_e32 v53, 29, v55
	v_and_b32_e32 v52, 7, v52
	v_cmp_gt_u32_e32 vcc, 8, v24
	v_cndmask_b32_e32 v24, v54, v53, vcc
	v_cndmask_b32_e32 v44, v44, v52, vcc
	v_lshlrev_b32_e32 v22, 24, v22
	v_bfrev_b32_e32 v52, 60
	v_lshlrev_b32_e32 v44, 20, v44
	v_and_b32_e32 v22, 0x80000000, v22
	v_lshl_add_u32 v24, v24, 23, v52
	v_or3_b32 v52, v22, v24, v44
.LBB581_371:
	s_or_b64 exec, exec, s[10:11]
.LBB581_372:
	s_or_b64 exec, exec, s[8:9]
.LBB581_373:
	s_or_b64 exec, exec, s[2:3]
	v_cmp_ne_u16_sdwa s[8:9], v25, v45 src0_sel:BYTE_0 src1_sel:DWORD
	s_and_saveexec_b64 s[2:3], s[8:9]
	s_cbranch_execz .LBB581_379
; %bb.374:
	s_movk_i32 s8, 0x80
	v_cmp_ne_u16_sdwa s[10:11], v25, s8 src0_sel:BYTE_0 src1_sel:DWORD
	v_bfrev_b32_e32 v45, 1
	s_and_saveexec_b64 s[8:9], s[10:11]
	s_cbranch_execz .LBB581_378
; %bb.375:
	s_movk_i32 s10, 0x7f
	v_and_b32_e32 v22, 0x7f, v25
	v_cmp_ne_u32_e32 vcc, s10, v22
	v_mov_b32_e32 v45, 0x7f800001
	s_and_saveexec_b64 s[10:11], vcc
	s_cbranch_execz .LBB581_377
; %bb.376:
	v_and_b32_e32 v53, 7, v25
	v_ffbh_u32_e32 v44, v53
	v_min_u32_e32 v55, 32, v44
	v_mov_b32_e32 v24, v25
	v_subrev_u32_e32 v44, 28, v55
	v_lshlrev_b64 v[44:45], v44, v[24:25]
	v_lshrrev_b32_e32 v54, 3, v22
	v_sub_u32_e32 v24, 29, v55
	v_and_b32_e32 v44, 7, v44
	v_cmp_gt_u32_e32 vcc, 8, v22
	v_cndmask_b32_e32 v22, v54, v24, vcc
	v_cndmask_b32_e32 v24, v53, v44, vcc
	v_lshlrev_b32_e32 v44, 24, v25
	v_bfrev_b32_e32 v45, 60
	v_lshlrev_b32_e32 v24, 20, v24
	v_and_b32_e32 v44, 0x80000000, v44
	v_lshl_add_u32 v22, v22, 23, v45
	v_or3_b32 v45, v44, v22, v24
.LBB581_377:
	s_or_b64 exec, exec, s[10:11]
.LBB581_378:
	s_or_b64 exec, exec, s[8:9]
.LBB581_379:
	s_or_b64 exec, exec, s[2:3]
	v_lshrrev_b16_e32 v22, 8, v25
	v_cmp_ne_u16_e32 vcc, 0, v22
	v_mov_b32_e32 v53, 0
	v_mov_b32_e32 v54, 0
	s_and_saveexec_b64 s[2:3], vcc
	s_cbranch_execz .LBB581_385
; %bb.380:
	s_movk_i32 s8, 0x80
	v_cmp_ne_u16_e32 vcc, s8, v22
	v_bfrev_b32_e32 v54, 1
	s_and_saveexec_b64 s[8:9], vcc
	s_cbranch_execz .LBB581_384
; %bb.381:
	s_movk_i32 s10, 0x7f
	v_and_b32_e32 v24, 0x7f, v22
	v_cmp_ne_u32_e32 vcc, s10, v24
	v_mov_b32_e32 v54, 0x7f800001
	s_and_saveexec_b64 s[10:11], vcc
	s_cbranch_execz .LBB581_383
; %bb.382:
	v_and_b32_e32 v44, 7, v22
	v_ffbh_u32_e32 v54, v44
	v_min_u32_e32 v57, 32, v54
	v_subrev_u32_e32 v54, 28, v57
	v_lshlrev_b64 v[54:55], v54, v[22:23]
	v_lshrrev_b32_e32 v56, 3, v24
	v_sub_u32_e32 v22, 29, v57
	v_and_b32_e32 v54, 7, v54
	v_cmp_gt_u32_e32 vcc, 8, v24
	v_cndmask_b32_e32 v22, v56, v22, vcc
	v_cndmask_b32_e32 v24, v44, v54, vcc
	v_lshlrev_b32_e32 v44, 16, v25
	v_bfrev_b32_e32 v54, 60
	v_lshlrev_b32_e32 v24, 20, v24
	v_and_b32_e32 v44, 0x80000000, v44
	v_lshl_add_u32 v22, v22, 23, v54
	v_or3_b32 v54, v44, v22, v24
.LBB581_383:
	s_or_b64 exec, exec, s[10:11]
.LBB581_384:
	s_or_b64 exec, exec, s[8:9]
.LBB581_385:
	s_or_b64 exec, exec, s[2:3]
	s_movk_i32 s2, 0xff
	v_and_b32_sdwa v24, v25, s2 dst_sel:DWORD dst_unused:UNUSED_PAD src0_sel:WORD_1 src1_sel:DWORD
	v_lshrrev_b32_e32 v22, 16, v25
	v_cmp_ne_u16_e32 vcc, 0, v24
	s_and_saveexec_b64 s[2:3], vcc
	s_cbranch_execz .LBB581_391
; %bb.386:
	s_movk_i32 s8, 0x80
	v_cmp_ne_u16_e32 vcc, s8, v24
	v_bfrev_b32_e32 v53, 1
	s_and_saveexec_b64 s[8:9], vcc
	s_cbranch_execz .LBB581_390
; %bb.387:
	v_bfe_u32 v24, v25, 16, 7
	s_movk_i32 s10, 0x7f
	v_cmp_ne_u32_e32 vcc, s10, v24
	v_mov_b32_e32 v53, 0x7f800001
	s_and_saveexec_b64 s[10:11], vcc
	s_cbranch_execz .LBB581_389
; %bb.388:
	v_and_b32_e32 v44, 7, v22
	v_ffbh_u32_e32 v55, v44
	v_min_u32_e32 v55, 32, v55
	v_subrev_u32_e32 v56, 28, v55
	v_lshlrev_b64 v[56:57], v56, v[22:23]
	v_sub_u32_e32 v22, 29, v55
	v_and_b32_e32 v55, 7, v56
	v_cmp_gt_u32_e32 vcc, 8, v24
	v_lshrrev_b32_e32 v53, 3, v24
	v_cndmask_b32_e32 v24, v44, v55, vcc
	v_mov_b32_e32 v44, 24
	v_cndmask_b32_e32 v22, v53, v22, vcc
	v_lshlrev_b32_sdwa v44, v44, v25 dst_sel:DWORD dst_unused:UNUSED_PAD src0_sel:DWORD src1_sel:WORD_1
	v_bfrev_b32_e32 v53, 60
	v_lshlrev_b32_e32 v24, 20, v24
	v_and_b32_e32 v44, 0x80000000, v44
	v_lshl_add_u32 v22, v22, 23, v53
	v_or3_b32 v53, v44, v22, v24
.LBB581_389:
	s_or_b64 exec, exec, s[10:11]
.LBB581_390:
	s_or_b64 exec, exec, s[8:9]
.LBB581_391:
	s_or_b64 exec, exec, s[2:3]
	s_mov_b32 s2, 0xffffff
	v_and_b32_e32 v44, 63, v0
	v_cmp_lt_u32_e32 vcc, s2, v25
	v_mov_b32_e32 v55, 0
	s_and_saveexec_b64 s[2:3], vcc
	s_cbranch_execz .LBB581_397
; %bb.392:
	v_lshrrev_b32_e32 v22, 24, v25
	s_movk_i32 s8, 0x80
	v_cmp_ne_u32_e32 vcc, s8, v22
	v_bfrev_b32_e32 v55, 1
	s_and_saveexec_b64 s[8:9], vcc
	s_cbranch_execz .LBB581_396
; %bb.393:
	v_bfe_u32 v24, v25, 24, 7
	s_movk_i32 s10, 0x7f
	v_cmp_ne_u32_e32 vcc, s10, v24
	v_mov_b32_e32 v55, 0x7f800001
	s_and_saveexec_b64 s[10:11], vcc
	s_cbranch_execz .LBB581_395
; %bb.394:
	v_and_b32_e32 v25, 7, v22
	v_ffbh_u32_e32 v56, v25
	v_min_u32_e32 v58, 32, v56
	v_subrev_u32_e32 v56, 28, v58
	v_lshlrev_b64 v[56:57], v56, v[22:23]
	v_lshrrev_b32_e32 v55, 3, v24
	v_sub_u32_e32 v57, 29, v58
	v_and_b32_e32 v56, 7, v56
	v_cmp_gt_u32_e32 vcc, 8, v24
	v_cndmask_b32_e32 v24, v55, v57, vcc
	v_cndmask_b32_e32 v25, v25, v56, vcc
	v_lshlrev_b32_e32 v22, 24, v22
	v_bfrev_b32_e32 v55, 60
	v_lshlrev_b32_e32 v25, 20, v25
	v_and_b32_e32 v22, 0x80000000, v22
	v_lshl_add_u32 v24, v24, 23, v55
	v_or3_b32 v55, v22, v24, v25
.LBB581_395:
	s_or_b64 exec, exec, s[10:11]
.LBB581_396:
	s_or_b64 exec, exec, s[8:9]
.LBB581_397:
	s_or_b64 exec, exec, s[2:3]
	v_cvt_pkrtz_f16_f32 v42, v42, v43
	v_cvt_pkrtz_f16_f32 v43, v23, v52
	s_load_dword s2, s[4:5], 0x1c
	s_mov_b32 s46, 0xff7fffff
	s_waitcnt lgkmcnt(0)
	v_mfma_f32_16x16x16f16 v[26:29], v[42:43], v[18:19], v[26:29]
	v_cvt_pkrtz_f16_f32 v18, v45, v54
	v_cvt_pkrtz_f16_f32 v19, v53, v55
	v_mov_b32_e32 v22, s2
	v_mul_f32_e32 v52, s12, v22
	v_pk_mul_f32 v[22:23], v[52:53], v[32:33] op_sel_hi:[0,1]
	v_pk_mul_f32 v[32:33], v[52:53], v[38:39] op_sel_hi:[0,1]
	v_and_b32_e32 v38, 0xc0, v0
	v_mfma_f32_16x16x16f16 v[26:29], v[18:19], v[20:21], v[26:29]
	v_add_u32_e32 v38, s18, v38
	v_lshl_or_b32 v38, v1, 2, v38
	v_or_b32_e32 v39, 1, v38
	v_pk_mul_f32 v[24:25], v[52:53], v[30:31] op_sel_hi:[0,1]
	v_pk_mul_f32 v[30:31], v[52:53], v[40:41] op_sel_hi:[0,1]
	v_subrev_u32_e32 v40, s33, v39
	v_pk_mul_f32 v[34:35], v[52:53], v[34:35] op_sel_hi:[0,1]
	s_nop 3
	v_pk_mul_f32 v[20:21], v[52:53], v[26:27] op_sel_hi:[0,1]
	v_add_u32_e32 v27, 1, v40
	v_pk_mul_f32 v[18:19], v[52:53], v[28:29] op_sel_hi:[0,1]
	v_cvt_f32_i32_e32 v27, v27
	v_add_u32_e32 v29, 3, v40
	v_cvt_f32_i32_e32 v29, v29
	v_cvt_f32_i32_e32 v26, v40
	v_pk_mul_f32 v[36:37], v[52:53], v[36:37] op_sel_hi:[0,1]
	v_fmac_f32_e32 v35, v51, v27
	v_add_u32_e32 v27, 16, v40
	v_fmac_f32_e32 v37, v51, v29
	v_cvt_f32_i32_e32 v27, v27
	v_add_u32_e32 v29, 17, v40
	v_fma_f32 v26, v51, v26, v34
	v_cvt_f32_i32_e32 v29, v29
	v_add_u32_e32 v34, 18, v40
	v_cvt_f32_i32_e32 v34, v34
	v_fma_f32 v41, v51, v27, v32
	v_add_u32_e32 v27, 32, v40
	v_fmac_f32_e32 v33, v51, v29
	v_cvt_f32_i32_e32 v27, v27
	v_add_u32_e32 v29, 33, v40
	v_add_u32_e32 v32, 34, v40
	v_fma_f32 v30, v51, v34, v30
	v_cvt_f32_i32_e32 v29, v29
	v_cvt_f32_i32_e32 v32, v32
	v_add_u32_e32 v34, 35, v40
	v_cvt_f32_i32_e32 v34, v34
	v_fma_f32 v24, v51, v27, v24
	v_add_u32_e32 v27, 48, v40
	v_fmac_f32_e32 v25, v51, v29
	v_fma_f32 v22, v51, v32, v22
	v_cvt_f32_i32_e32 v27, v27
	v_add_u32_e32 v29, 49, v40
	v_add_u32_e32 v32, 50, v40
	v_fmac_f32_e32 v23, v51, v34
	v_cvt_f32_i32_e32 v29, v29
	v_cvt_f32_i32_e32 v32, v32
	v_add_u32_e32 v34, 51, v40
	v_add_u32_e32 v28, 2, v40
	v_cvt_f32_i32_e32 v34, v34
	v_cvt_f32_i32_e32 v28, v28
	v_fma_f32 v20, v51, v27, v20
	v_mov_b32_e32 v27, 0xff7fffff
	v_cmp_gt_i32_e64 s[26:27], s33, v38
	v_cmp_gt_i32_e64 s[28:29], s33, v39
	v_fmac_f32_e32 v21, v51, v29
	v_fma_f32 v18, v51, v32, v18
	v_cndmask_b32_e64 v29, v27, v26, s[26:27]
	v_cndmask_b32_e64 v32, v27, v35, s[28:29]
	v_fmac_f32_e32 v19, v51, v34
	v_max3_f32 v29, v29, s46, v32
	v_or_b32_e32 v32, 2, v38
	v_or_b32_e32 v34, 3, v38
	v_fma_f32 v28, v51, v28, v36
	v_cmp_gt_i32_e64 s[30:31], s33, v32
	v_cmp_gt_i32_e64 s[34:35], s33, v34
	v_add_u32_e32 v36, 19, v40
	v_cndmask_b32_e64 v32, v27, v28, s[30:31]
	v_cndmask_b32_e64 v34, v27, v37, s[34:35]
	v_cvt_f32_i32_e32 v36, v36
	v_max3_f32 v29, v29, v32, v34
	v_or_b32_e32 v32, 16, v38
	v_or_b32_e32 v34, 17, v38
	v_cmp_gt_i32_e64 s[36:37], s33, v32
	v_cmp_gt_i32_e64 s[38:39], s33, v34
	v_cndmask_b32_e64 v32, v27, v41, s[36:37]
	v_cndmask_b32_e64 v34, v27, v33, s[38:39]
	v_max3_f32 v29, v29, v32, v34
	v_or_b32_e32 v32, 18, v38
	v_or_b32_e32 v34, 19, v38
	v_fmac_f32_e32 v31, v51, v36
	v_cmp_gt_i32_e64 s[20:21], s33, v32
	v_cmp_gt_i32_e64 s[22:23], s33, v34
	v_cndmask_b32_e64 v32, v27, v30, s[20:21]
	v_cndmask_b32_e64 v34, v27, v31, s[22:23]
	v_max3_f32 v29, v29, v32, v34
	v_or_b32_e32 v32, 32, v38
	v_or_b32_e32 v34, 33, v38
	v_cmp_gt_i32_e64 s[16:17], s33, v32
	v_cmp_gt_i32_e64 s[18:19], s33, v34
	v_cndmask_b32_e64 v32, v27, v24, s[16:17]
	v_cndmask_b32_e64 v34, v27, v25, s[18:19]
	v_max3_f32 v29, v29, v32, v34
	v_or_b32_e32 v32, 34, v38
	v_or_b32_e32 v34, 35, v38
	;; [unrolled: 7-line block ×4, first 2 shown]
	v_cmp_gt_i32_e32 vcc, s33, v32
	v_cmp_gt_i32_e64 s[2:3], s33, v34
	v_cndmask_b32_e32 v32, v27, v18, vcc
	v_cndmask_b32_e64 v27, v27, v19, s[2:3]
	v_max3_f32 v27, v29, v32, v27
	v_mbcnt_lo_u32_b32 v29, -1, 0
	v_mbcnt_hi_u32_b32 v29, -1, v29
	v_and_b32_e32 v32, 64, v29
	v_add_u32_e32 v32, 64, v32
	v_xor_b32_e32 v34, 32, v29
	v_cmp_lt_i32_e64 s[40:41], v34, v32
	v_cndmask_b32_e64 v34, v29, v34, s[40:41]
	v_lshlrev_b32_e32 v36, 2, v34
	ds_bpermute_b32 v34, v36, v27
	s_barrier
	s_waitcnt lgkmcnt(0)
	v_max_f32_e32 v34, v34, v34
	v_max_f32_e32 v27, v27, v34
	v_xor_b32_e32 v34, 16, v29
	v_cmp_lt_i32_e64 s[40:41], v34, v32
	v_cndmask_b32_e64 v29, v29, v34, s[40:41]
	v_lshlrev_b32_e32 v38, 2, v29
	ds_bpermute_b32 v29, v38, v27
	s_waitcnt lgkmcnt(0)
	v_max_f32_e32 v29, v29, v29
	v_max_f32_e32 v32, v27, v29
	v_sub_f32_e32 v26, v26, v32
	v_mul_f32_e32 v26, 0x3fb8aa3b, v26
	v_sub_f32_e32 v27, v35, v32
	v_exp_f32_e32 v26, v26
	v_mul_f32_e32 v27, 0x3fb8aa3b, v27
	v_sub_f32_e32 v28, v28, v32
	v_exp_f32_e32 v27, v27
	v_mul_f32_e32 v28, 0x3fb8aa3b, v28
	v_exp_f32_e32 v28, v28
	v_cndmask_b32_e64 v26, 0, v26, s[26:27]
	v_sub_f32_e32 v34, v37, v32
	v_add_f32_e32 v29, 0, v26
	v_cndmask_b32_e64 v27, 0, v27, s[28:29]
	v_mul_f32_e32 v34, 0x3fb8aa3b, v34
	v_exp_f32_e32 v35, v34
	v_add_f32_e32 v29, v29, v27
	v_cndmask_b32_e64 v34, 0, v28, s[30:31]
	v_add_f32_e32 v28, v29, v34
	v_sub_f32_e32 v29, v41, v32
	v_mul_f32_e32 v29, 0x3fb8aa3b, v29
	v_sub_f32_e32 v33, v33, v32
	v_exp_f32_e32 v29, v29
	v_mul_f32_e32 v33, 0x3fb8aa3b, v33
	v_sub_f32_e32 v30, v30, v32
	v_exp_f32_e32 v33, v33
	;; [unrolled: 3-line block ×3, first 2 shown]
	v_mul_f32_e32 v31, 0x3fb8aa3b, v31
	v_sub_f32_e32 v24, v24, v32
	v_cndmask_b32_e64 v35, 0, v35, s[34:35]
	v_exp_f32_e32 v31, v31
	v_mul_f32_e32 v24, 0x3fb8aa3b, v24
	v_sub_f32_e32 v25, v25, v32
	v_add_f32_e32 v37, v28, v35
	v_cndmask_b32_e64 v28, 0, v29, s[36:37]
	v_exp_f32_e32 v24, v24
	v_mul_f32_e32 v25, 0x3fb8aa3b, v25
	v_sub_f32_e32 v22, v22, v32
	v_add_f32_e32 v37, v37, v28
	;; [unrolled: 5-line block ×7, first 2 shown]
	v_cndmask_b32_e64 v22, 0, v22, s[12:13]
	v_exp_f32_e32 v18, v18
	v_mul_f32_e32 v19, 0x3fb8aa3b, v19
	v_add_f32_e32 v33, v33, v22
	v_cndmask_b32_e64 v23, 0, v23, s[14:15]
	v_exp_f32_e32 v19, v19
	v_add_f32_e32 v33, v33, v23
	v_cndmask_b32_e64 v20, 0, v20, s[8:9]
	v_add_f32_e32 v33, v33, v20
	v_cndmask_b32_e64 v21, 0, v21, s[10:11]
	v_add_f32_e32 v33, v33, v21
	v_cndmask_b32_e32 v18, 0, v18, vcc
	v_add_f32_e32 v33, v33, v18
	v_cndmask_b32_e64 v19, 0, v19, s[2:3]
	v_add_f32_e32 v33, v33, v19
	ds_bpermute_b32 v36, v36, v33
	v_cmp_gt_u32_e32 vcc, 16, v44
	s_waitcnt lgkmcnt(0)
	v_add_f32_e32 v33, v33, v36
	ds_bpermute_b32 v37, v38, v33
	v_lshlrev_b32_e32 v36, 2, v50
	s_and_saveexec_b64 s[2:3], vcc
	s_cbranch_execz .LBB581_399
; %bb.398:
	s_waitcnt lgkmcnt(0)
	v_add_f32_e32 v33, v33, v37
	v_lshl_or_b32 v37, v49, 6, v36
	ds_write2st64_b32 v37, v32, v33 offset1:1
.LBB581_399:
	s_or_b64 exec, exec, s[2:3]
	s_waitcnt lgkmcnt(0)
	s_barrier
	ds_read2_b32 v[38:39], v36 offset1:16
	ds_read2_b32 v[40:41], v36 offset0:32 offset1:48
	ds_read2_b32 v[42:43], v36 offset0:64 offset1:80
	s_lshl_b32 s12, s45, 3
	s_waitcnt lgkmcnt(2)
	v_max3_f32 v32, v38, s46, v39
	s_waitcnt lgkmcnt(1)
	v_max3_f32 v33, v32, v40, v41
	v_sub_f32_e32 v32, v38, v33
	v_mul_f32_e32 v32, 0x3fb8aa3b, v32
	v_exp_f32_e32 v37, v32
	v_sub_f32_e32 v32, v39, v33
	v_mul_f32_e32 v32, 0x3fb8aa3b, v32
	v_exp_f32_e32 v44, v32
	;; [unrolled: 3-line block ×3, first 2 shown]
	ds_read2_b32 v[38:39], v36 offset0:96 offset1:112
	v_sub_f32_e32 v32, v41, v33
	v_mul_f32_e32 v32, 0x3fb8aa3b, v32
	v_exp_f32_e32 v41, v32
	s_waitcnt lgkmcnt(1)
	v_fma_f32 v36, v37, v42, 0
	v_fmac_f32_e32 v36, v44, v43
	s_waitcnt lgkmcnt(0)
	v_fmac_f32_e32 v36, v40, v38
	v_fmac_f32_e32 v36, v41, v39
	v_add_f32_e32 v38, 0x358637bd, v36
	v_div_scale_f32 v39, s[2:3], v38, v38, 1.0
	v_rcp_f32_e32 v42, v39
	s_barrier
	v_fma_f32 v43, -v39, v42, 1.0
	v_fmac_f32_e32 v42, v43, v42
	v_div_scale_f32 v43, vcc, 1.0, v38, 1.0
	v_mul_f32_e32 v45, v43, v42
	v_fma_f32 v50, -v39, v45, v43
	v_fmac_f32_e32 v45, v50, v42
	v_fma_f32 v39, -v39, v45, v43
	v_div_fmas_f32 v39, v39, v42, v45
	v_cmp_eq_u32_e32 vcc, 1, v49
	v_cndmask_b32_e32 v37, v37, v44, vcc
	v_cmp_eq_u32_e32 vcc, 2, v49
	v_cndmask_b32_e32 v37, v37, v40, vcc
	v_cmp_eq_u32_e32 vcc, 3, v49
	v_div_fixup_f32 v38, v39, v38, 1.0
	v_cndmask_b32_e32 v37, v37, v41, vcc
	v_mul_f32_e32 v38, v37, v38
	v_pk_mul_f32 v[26:27], v[38:39], v[26:27] op_sel_hi:[0,1]
	v_cvt_f16_f32_e32 v26, v26
	v_cvt_f16_f32_e32 v27, v27
	v_pk_mul_f32 v[34:35], v[38:39], v[34:35] op_sel_hi:[0,1]
	v_cvt_f16_f32_e32 v37, v34
	v_cvt_f16_f32_e32 v35, v35
	v_pack_b32_f16 v34, v26, v27
	v_pk_mul_f32 v[26:27], v[38:39], v[30:31] op_sel_hi:[0,1]
	v_pk_mul_f32 v[28:29], v[38:39], v[28:29] op_sel_hi:[0,1]
	v_cvt_f16_f32_e32 v28, v28
	v_cvt_f16_f32_e32 v29, v29
	;; [unrolled: 1-line block ×4, first 2 shown]
	v_pack_b32_f16 v35, v37, v35
	v_lshlrev_b32_e32 v37, 3, v1
	v_lshlrev_b32_e32 v26, 11, v49
	v_or3_b32 v26, v26, v48, v37
	v_pack_b32_f16 v28, v28, v29
	v_pack_b32_f16 v29, v30, v27
	v_pk_mul_f32 v[22:23], v[38:39], v[22:23] op_sel_hi:[0,1]
	v_pk_mul_f32 v[24:25], v[38:39], v[24:25] op_sel_hi:[0,1]
	;; [unrolled: 1-line block ×4, first 2 shown]
	ds_write2st64_b64 v26, v[34:35], v[28:29] offset1:1
	v_cvt_f16_f32_e32 v24, v24
	v_cvt_f16_f32_e32 v25, v25
	;; [unrolled: 1-line block ×8, first 2 shown]
	v_mov_b32_e32 v32, 0
	v_pack_b32_f16 v18, v24, v25
	v_pack_b32_f16 v19, v22, v23
	;; [unrolled: 1-line block ×4, first 2 shown]
	v_cmp_gt_u32_e32 vcc, 8, v0
	ds_write2st64_b64 v26, v[18:19], v[20:21] offset0:2 offset1:3
	s_and_saveexec_b64 s[2:3], vcc
	s_cbranch_execz .LBB581_401
; %bb.400:
	v_or_b32_e32 v18, s25, v0
	v_mov_b32_e32 v19, 0
	v_mov_b32_e32 v20, s12
	v_mad_u64_u32 v[20:21], s[14:15], s6, v20, v[18:19]
	v_mov_b32_e32 v18, s24
	s_load_dwordx4 s[8:11], s[4:5], 0x58
	s_mul_i32 s7, s7, s12
	v_mad_u64_u32 v[18:19], s[14:15], v20, s44, v[18:19]
	v_add_u32_e32 v21, s7, v21
	v_mov_b32_e32 v20, v19
	v_mad_u64_u32 v[20:21], s[14:15], v21, s44, v[20:21]
	v_mov_b32_e32 v19, v20
	v_lshlrev_b64 v[18:19], 2, v[18:19]
	s_waitcnt lgkmcnt(0)
	v_mov_b32_e32 v21, s11
	v_add_co_u32_e32 v20, vcc, s10, v18
	v_addc_co_u32_e32 v21, vcc, v21, v19, vcc
	global_store_dword v[20:21], v33, off
	v_mov_b32_e32 v20, s9
	v_add_co_u32_e32 v18, vcc, s8, v18
	v_addc_co_u32_e32 v19, vcc, v20, v19, vcc
	global_store_dword v[18:19], v36, off
.LBB581_401:
	s_or_b64 exec, exec, s[2:3]
	v_mov_b32_e32 v19, 0
	s_waitcnt vmcnt(3)
	v_cmp_ne_u16_sdwa s[8:9], v14, v19 src0_sel:BYTE_0 src1_sel:DWORD
	s_waitcnt lgkmcnt(0)
	s_barrier
	s_and_saveexec_b64 s[2:3], s[8:9]
	s_cbranch_execz .LBB581_407
; %bb.402:
	s_movk_i32 s7, 0x80
	v_cmp_ne_u16_sdwa s[10:11], v14, s7 src0_sel:BYTE_0 src1_sel:DWORD
	v_bfrev_b32_e32 v32, 1
	s_and_saveexec_b64 s[8:9], s[10:11]
	s_cbranch_execz .LBB581_406
; %bb.403:
	s_movk_i32 s7, 0x7f
	v_and_b32_e32 v18, 0x7f, v14
	v_cmp_ne_u32_e32 vcc, s7, v18
	v_mov_b32_e32 v32, 0x7f800001
	s_and_saveexec_b64 s[10:11], vcc
	s_cbranch_execz .LBB581_405
; %bb.404:
	v_and_b32_e32 v22, 7, v14
	v_ffbh_u32_e32 v20, v22
	v_min_u32_e32 v24, 32, v20
	v_subrev_u32_e32 v20, 28, v24
	v_lshlrev_b64 v[20:21], v20, v[14:15]
	v_lshrrev_b32_e32 v23, 3, v18
	v_sub_u32_e32 v21, 29, v24
	v_and_b32_e32 v20, 7, v20
	v_cmp_gt_u32_e32 vcc, 8, v18
	v_cndmask_b32_e32 v18, v23, v21, vcc
	v_cndmask_b32_e32 v20, v22, v20, vcc
	v_lshlrev_b32_e32 v21, 24, v14
	v_bfrev_b32_e32 v22, 60
	v_lshlrev_b32_e32 v20, 20, v20
	v_and_b32_e32 v21, 0x80000000, v21
	v_lshl_add_u32 v18, v18, 23, v22
	v_or3_b32 v32, v21, v18, v20
.LBB581_405:
	s_or_b64 exec, exec, s[10:11]
.LBB581_406:
	s_or_b64 exec, exec, s[8:9]
.LBB581_407:
	s_or_b64 exec, exec, s[2:3]
	v_lshrrev_b16_e32 v18, 8, v14
	v_cmp_ne_u16_e32 vcc, 0, v18
	v_mov_b32_e32 v20, 0
	s_and_saveexec_b64 s[2:3], vcc
	s_cbranch_execz .LBB581_413
; %bb.408:
	s_movk_i32 s7, 0x80
	v_cmp_ne_u16_e32 vcc, s7, v18
	v_bfrev_b32_e32 v20, 1
	s_and_saveexec_b64 s[8:9], vcc
	s_cbranch_execz .LBB581_412
; %bb.409:
	s_movk_i32 s7, 0x7f
	v_and_b32_e32 v21, 0x7f, v18
	v_cmp_ne_u32_e32 vcc, s7, v21
	v_mov_b32_e32 v20, 0x7f800001
	s_and_saveexec_b64 s[10:11], vcc
	s_cbranch_execz .LBB581_411
; %bb.410:
	v_and_b32_e32 v20, 7, v18
	v_ffbh_u32_e32 v22, v20
	v_min_u32_e32 v25, 32, v22
	v_subrev_u32_e32 v22, 28, v25
	v_lshlrev_b64 v[22:23], v22, v[18:19]
	v_lshrrev_b32_e32 v24, 3, v21
	v_sub_u32_e32 v18, 29, v25
	v_and_b32_e32 v22, 7, v22
	v_cmp_gt_u32_e32 vcc, 8, v21
	v_cndmask_b32_e32 v18, v24, v18, vcc
	v_cndmask_b32_e32 v20, v20, v22, vcc
	v_lshlrev_b32_e32 v21, 16, v14
	v_bfrev_b32_e32 v22, 60
	v_lshlrev_b32_e32 v20, 20, v20
	v_and_b32_e32 v21, 0x80000000, v21
	v_lshl_add_u32 v18, v18, 23, v22
	v_or3_b32 v20, v21, v18, v20
.LBB581_411:
	s_or_b64 exec, exec, s[10:11]
.LBB581_412:
	s_or_b64 exec, exec, s[8:9]
.LBB581_413:
	s_or_b64 exec, exec, s[2:3]
	s_movk_i32 s2, 0xff
	v_and_b32_sdwa v21, v14, s2 dst_sel:DWORD dst_unused:UNUSED_PAD src0_sel:WORD_1 src1_sel:DWORD
	v_lshrrev_b32_e32 v18, 16, v14
	v_cmp_ne_u16_e32 vcc, 0, v21
	s_and_saveexec_b64 s[2:3], vcc
	s_cbranch_execz .LBB581_419
; %bb.414:
	s_movk_i32 s7, 0x80
	v_cmp_ne_u16_e32 vcc, s7, v21
	v_bfrev_b32_e32 v19, 1
	s_and_saveexec_b64 s[8:9], vcc
	s_cbranch_execz .LBB581_418
; %bb.415:
	v_bfe_u32 v21, v14, 16, 7
	s_movk_i32 s7, 0x7f
	v_cmp_ne_u32_e32 vcc, s7, v21
	v_mov_b32_e32 v19, 0x7f800001
	s_and_saveexec_b64 s[10:11], vcc
	s_cbranch_execz .LBB581_417
; %bb.416:
	v_and_b32_e32 v22, 7, v18
	v_ffbh_u32_e32 v19, v22
	v_min_u32_e32 v24, 32, v19
	v_subrev_u32_e32 v19, 28, v24
	v_lshlrev_b64 v[18:19], v19, v[18:19]
	v_lshrrev_b32_e32 v23, 3, v21
	v_sub_u32_e32 v19, 29, v24
	v_and_b32_e32 v18, 7, v18
	v_cmp_gt_u32_e32 vcc, 8, v21
	v_mov_b32_e32 v21, 24
	v_cndmask_b32_e32 v19, v23, v19, vcc
	v_cndmask_b32_e32 v18, v22, v18, vcc
	v_lshlrev_b32_sdwa v21, v21, v14 dst_sel:DWORD dst_unused:UNUSED_PAD src0_sel:DWORD src1_sel:WORD_1
	v_bfrev_b32_e32 v22, 60
	v_lshlrev_b32_e32 v18, 20, v18
	v_and_b32_e32 v21, 0x80000000, v21
	v_lshl_add_u32 v19, v19, 23, v22
	v_or3_b32 v19, v21, v19, v18
.LBB581_417:
	s_or_b64 exec, exec, s[10:11]
.LBB581_418:
	s_or_b64 exec, exec, s[8:9]
.LBB581_419:
	s_or_b64 exec, exec, s[2:3]
	s_mov_b32 s2, 0xffffff
	v_cmp_lt_u32_e32 vcc, s2, v14
	v_mov_b32_e32 v21, 0
	v_mov_b32_e32 v22, 0
	s_and_saveexec_b64 s[2:3], vcc
	s_cbranch_execz .LBB581_425
; %bb.420:
	v_lshrrev_b32_e32 v18, 24, v14
	s_movk_i32 s7, 0x80
	v_cmp_ne_u32_e32 vcc, s7, v18
	v_bfrev_b32_e32 v22, 1
	s_and_saveexec_b64 s[8:9], vcc
	s_cbranch_execz .LBB581_424
; %bb.421:
	v_bfe_u32 v14, v14, 24, 7
	s_movk_i32 s7, 0x7f
	v_cmp_ne_u32_e32 vcc, s7, v14
	v_mov_b32_e32 v22, 0x7f800001
	s_and_saveexec_b64 s[10:11], vcc
	s_cbranch_execz .LBB581_423
; %bb.422:
	v_and_b32_e32 v24, 7, v18
	v_ffbh_u32_e32 v22, v24
	v_min_u32_e32 v27, 32, v22
	v_subrev_u32_e32 v22, 28, v27
	v_lshlrev_b64 v[22:23], v22, v[18:19]
	v_lshrrev_b32_e32 v25, 3, v14
	v_sub_u32_e32 v23, 29, v27
	v_and_b32_e32 v22, 7, v22
	v_cmp_gt_u32_e32 vcc, 8, v14
	v_cndmask_b32_e32 v14, v25, v23, vcc
	v_cndmask_b32_e32 v22, v24, v22, vcc
	v_lshlrev_b32_e32 v18, 24, v18
	v_bfrev_b32_e32 v23, 60
	v_lshlrev_b32_e32 v22, 20, v22
	v_and_b32_e32 v18, 0x80000000, v18
	v_lshl_add_u32 v14, v14, 23, v23
	v_or3_b32 v22, v18, v14, v22
.LBB581_423:
	s_or_b64 exec, exec, s[10:11]
.LBB581_424:
	s_or_b64 exec, exec, s[8:9]
.LBB581_425:
	s_or_b64 exec, exec, s[2:3]
	v_cmp_ne_u16_sdwa s[8:9], v15, v21 src0_sel:BYTE_0 src1_sel:DWORD
	s_and_saveexec_b64 s[2:3], s[8:9]
	s_cbranch_execz .LBB581_431
; %bb.426:
	s_movk_i32 s7, 0x80
	v_cmp_ne_u16_sdwa s[10:11], v15, s7 src0_sel:BYTE_0 src1_sel:DWORD
	v_bfrev_b32_e32 v21, 1
	s_and_saveexec_b64 s[8:9], s[10:11]
	s_cbranch_execz .LBB581_430
; %bb.427:
	s_movk_i32 s7, 0x7f
	v_and_b32_e32 v14, 0x7f, v15
	v_cmp_ne_u32_e32 vcc, s7, v14
	v_mov_b32_e32 v21, 0x7f800001
	s_and_saveexec_b64 s[10:11], vcc
	s_cbranch_execz .LBB581_429
; %bb.428:
	v_and_b32_e32 v21, 7, v15
	v_ffbh_u32_e32 v24, v21
	v_min_u32_e32 v27, 32, v24
	v_mov_b32_e32 v18, v15
	v_subrev_u32_e32 v24, 28, v27
	v_lshlrev_b64 v[24:25], v24, v[18:19]
	v_lshrrev_b32_e32 v23, 3, v14
	v_sub_u32_e32 v18, 29, v27
	v_and_b32_e32 v24, 7, v24
	v_cmp_gt_u32_e32 vcc, 8, v14
	v_cndmask_b32_e32 v14, v23, v18, vcc
	v_cndmask_b32_e32 v18, v21, v24, vcc
	v_lshlrev_b32_e32 v21, 24, v15
	v_bfrev_b32_e32 v23, 60
	v_lshlrev_b32_e32 v18, 20, v18
	v_and_b32_e32 v21, 0x80000000, v21
	v_lshl_add_u32 v14, v14, 23, v23
	v_or3_b32 v21, v21, v14, v18
.LBB581_429:
	s_or_b64 exec, exec, s[10:11]
.LBB581_430:
	s_or_b64 exec, exec, s[8:9]
.LBB581_431:
	s_or_b64 exec, exec, s[2:3]
	v_lshrrev_b16_e32 v14, 8, v15
	v_cmp_ne_u16_e32 vcc, 0, v14
	v_mov_b32_e32 v18, 0
	v_mov_b32_e32 v24, 0
	s_and_saveexec_b64 s[2:3], vcc
	s_cbranch_execz .LBB581_437
; %bb.432:
	s_movk_i32 s7, 0x80
	v_cmp_ne_u16_e32 vcc, s7, v14
	v_bfrev_b32_e32 v24, 1
	s_and_saveexec_b64 s[8:9], vcc
	s_cbranch_execz .LBB581_436
; %bb.433:
	s_movk_i32 s7, 0x7f
	v_and_b32_e32 v23, 0x7f, v14
	v_cmp_ne_u32_e32 vcc, s7, v23
	v_mov_b32_e32 v24, 0x7f800001
	s_and_saveexec_b64 s[10:11], vcc
	s_cbranch_execz .LBB581_435
; %bb.434:
	v_and_b32_e32 v27, 7, v14
	v_ffbh_u32_e32 v24, v27
	v_min_u32_e32 v29, 32, v24
	v_subrev_u32_e32 v24, 28, v29
	v_lshlrev_b64 v[24:25], v24, v[14:15]
	v_lshrrev_b32_e32 v28, 3, v23
	v_sub_u32_e32 v14, 29, v29
	v_and_b32_e32 v24, 7, v24
	v_cmp_gt_u32_e32 vcc, 8, v23
	v_cndmask_b32_e32 v14, v28, v14, vcc
	v_cndmask_b32_e32 v23, v27, v24, vcc
	v_lshlrev_b32_e32 v24, 16, v15
	v_bfrev_b32_e32 v25, 60
	v_lshlrev_b32_e32 v23, 20, v23
	v_and_b32_e32 v24, 0x80000000, v24
	v_lshl_add_u32 v14, v14, 23, v25
	v_or3_b32 v24, v24, v14, v23
.LBB581_435:
	s_or_b64 exec, exec, s[10:11]
.LBB581_436:
	s_or_b64 exec, exec, s[8:9]
.LBB581_437:
	s_or_b64 exec, exec, s[2:3]
	s_movk_i32 s2, 0xff
	v_and_b32_sdwa v23, v15, s2 dst_sel:DWORD dst_unused:UNUSED_PAD src0_sel:WORD_1 src1_sel:DWORD
	v_lshrrev_b32_e32 v14, 16, v15
	v_cmp_ne_u16_e32 vcc, 0, v23
	s_and_saveexec_b64 s[2:3], vcc
	s_cbranch_execz .LBB581_443
; %bb.438:
	s_movk_i32 s7, 0x80
	v_cmp_ne_u16_e32 vcc, s7, v23
	v_bfrev_b32_e32 v18, 1
	s_and_saveexec_b64 s[8:9], vcc
	s_cbranch_execz .LBB581_442
; %bb.439:
	v_bfe_u32 v23, v15, 16, 7
	s_movk_i32 s7, 0x7f
	v_cmp_ne_u32_e32 vcc, s7, v23
	v_mov_b32_e32 v18, 0x7f800001
	s_and_saveexec_b64 s[10:11], vcc
	s_cbranch_execz .LBB581_441
; %bb.440:
	v_and_b32_e32 v18, 7, v14
	v_ffbh_u32_e32 v27, v18
	v_min_u32_e32 v27, 32, v27
	v_subrev_u32_e32 v28, 28, v27
	v_lshlrev_b64 v[28:29], v28, v[14:15]
	v_lshrrev_b32_e32 v25, 3, v23
	v_sub_u32_e32 v14, 29, v27
	v_and_b32_e32 v27, 7, v28
	v_cmp_gt_u32_e32 vcc, 8, v23
	v_mov_b32_e32 v23, 24
	v_cndmask_b32_e32 v14, v25, v14, vcc
	v_cndmask_b32_e32 v18, v18, v27, vcc
	v_lshlrev_b32_sdwa v23, v23, v15 dst_sel:DWORD dst_unused:UNUSED_PAD src0_sel:DWORD src1_sel:WORD_1
	v_bfrev_b32_e32 v25, 60
	v_lshlrev_b32_e32 v18, 20, v18
	v_and_b32_e32 v23, 0x80000000, v23
	v_lshl_add_u32 v14, v14, 23, v25
	v_or3_b32 v18, v23, v14, v18
.LBB581_441:
	s_or_b64 exec, exec, s[10:11]
.LBB581_442:
	s_or_b64 exec, exec, s[8:9]
.LBB581_443:
	s_or_b64 exec, exec, s[2:3]
	s_mov_b32 s2, 0xffffff
	v_cmp_lt_u32_e32 vcc, s2, v15
	v_mov_b32_e32 v23, 0
	v_mov_b32_e32 v25, 0
	s_and_saveexec_b64 s[2:3], vcc
	s_cbranch_execz .LBB581_449
; %bb.444:
	v_lshrrev_b32_e32 v14, 24, v15
	s_movk_i32 s7, 0x80
	v_cmp_ne_u32_e32 vcc, s7, v14
	v_bfrev_b32_e32 v25, 1
	s_and_saveexec_b64 s[8:9], vcc
	s_cbranch_execz .LBB581_448
; %bb.445:
	v_bfe_u32 v15, v15, 24, 7
	s_movk_i32 s7, 0x7f
	v_cmp_ne_u32_e32 vcc, s7, v15
	v_mov_b32_e32 v25, 0x7f800001
	s_and_saveexec_b64 s[10:11], vcc
	s_cbranch_execz .LBB581_447
; %bb.446:
	v_and_b32_e32 v25, 7, v14
	v_ffbh_u32_e32 v28, v25
	v_min_u32_e32 v30, 32, v28
	v_subrev_u32_e32 v28, 28, v30
	v_lshlrev_b64 v[28:29], v28, v[14:15]
	v_lshrrev_b32_e32 v27, 3, v15
	v_sub_u32_e32 v29, 29, v30
	v_and_b32_e32 v28, 7, v28
	v_cmp_gt_u32_e32 vcc, 8, v15
	v_cndmask_b32_e32 v15, v27, v29, vcc
	v_cndmask_b32_e32 v25, v25, v28, vcc
	v_lshlrev_b32_e32 v14, 24, v14
	v_bfrev_b32_e32 v27, 60
	v_lshlrev_b32_e32 v25, 20, v25
	v_and_b32_e32 v14, 0x80000000, v14
	v_lshl_add_u32 v15, v15, 23, v27
	v_or3_b32 v25, v14, v15, v25
.LBB581_447:
	s_or_b64 exec, exec, s[10:11]
.LBB581_448:
	s_or_b64 exec, exec, s[8:9]
.LBB581_449:
	s_or_b64 exec, exec, s[2:3]
	v_cvt_pkrtz_f16_f32 v15, v19, v22
	v_lshl_or_b32 v22, v1, 9, v48
	v_cvt_pkrtz_f16_f32 v14, v32, v20
	ds_read_b128 v[28:31], v22
	v_cmp_ne_u16_sdwa s[8:9], v16, v23 src0_sel:BYTE_0 src1_sel:DWORD
	s_waitcnt lgkmcnt(0)
	v_mfma_f32_16x16x16f16 v[32:35], v[14:15], v[28:29], 0
	v_cvt_pkrtz_f16_f32 v14, v21, v24
	v_cvt_pkrtz_f16_f32 v15, v18, v25
	s_nop 1
	v_mfma_f32_16x16x16f16 v[18:21], v[14:15], v[30:31], v[32:35]
	s_and_saveexec_b64 s[2:3], s[8:9]
	s_cbranch_execz .LBB581_455
; %bb.450:
	s_movk_i32 s7, 0x80
	v_cmp_ne_u16_sdwa s[10:11], v16, s7 src0_sel:BYTE_0 src1_sel:DWORD
	v_bfrev_b32_e32 v23, 1
	s_and_saveexec_b64 s[8:9], s[10:11]
	s_cbranch_execz .LBB581_454
; %bb.451:
	s_movk_i32 s7, 0x7f
	v_and_b32_e32 v14, 0x7f, v16
	v_cmp_ne_u32_e32 vcc, s7, v14
	v_mov_b32_e32 v23, 0x7f800001
	s_and_saveexec_b64 s[10:11], vcc
	s_cbranch_execz .LBB581_453
; %bb.452:
	v_and_b32_e32 v15, 7, v16
	v_ffbh_u32_e32 v24, v15
	v_min_u32_e32 v27, 32, v24
	v_subrev_u32_e32 v24, 28, v27
	v_lshlrev_b64 v[24:25], v24, v[16:17]
	v_lshrrev_b32_e32 v23, 3, v14
	v_sub_u32_e32 v25, 29, v27
	v_and_b32_e32 v24, 7, v24
	v_cmp_gt_u32_e32 vcc, 8, v14
	v_cndmask_b32_e32 v14, v23, v25, vcc
	v_cndmask_b32_e32 v15, v15, v24, vcc
	v_lshlrev_b32_e32 v23, 24, v16
	v_bfrev_b32_e32 v24, 60
	v_lshlrev_b32_e32 v15, 20, v15
	v_and_b32_e32 v23, 0x80000000, v23
	v_lshl_add_u32 v14, v14, 23, v24
	v_or3_b32 v23, v23, v14, v15
.LBB581_453:
	s_or_b64 exec, exec, s[10:11]
.LBB581_454:
	s_or_b64 exec, exec, s[8:9]
.LBB581_455:
	s_or_b64 exec, exec, s[2:3]
	v_lshrrev_b16_e32 v14, 8, v16
	v_cmp_ne_u16_e32 vcc, 0, v14
	v_mov_b32_e32 v15, 0
	v_mov_b32_e32 v25, 0
	s_and_saveexec_b64 s[2:3], vcc
	s_cbranch_execz .LBB581_461
; %bb.456:
	s_movk_i32 s7, 0x80
	v_cmp_ne_u16_e32 vcc, s7, v14
	v_bfrev_b32_e32 v25, 1
	s_and_saveexec_b64 s[8:9], vcc
	s_cbranch_execz .LBB581_460
; %bb.457:
	s_movk_i32 s7, 0x7f
	v_and_b32_e32 v24, 0x7f, v14
	v_cmp_ne_u32_e32 vcc, s7, v24
	v_mov_b32_e32 v25, 0x7f800001
	s_and_saveexec_b64 s[10:11], vcc
	s_cbranch_execz .LBB581_459
; %bb.458:
	v_and_b32_e32 v25, 7, v14
	v_ffbh_u32_e32 v28, v25
	v_min_u32_e32 v30, 32, v28
	v_subrev_u32_e32 v28, 28, v30
	v_lshlrev_b64 v[28:29], v28, v[14:15]
	v_lshrrev_b32_e32 v27, 3, v24
	v_sub_u32_e32 v14, 29, v30
	v_and_b32_e32 v28, 7, v28
	v_cmp_gt_u32_e32 vcc, 8, v24
	v_cndmask_b32_e32 v14, v27, v14, vcc
	v_cndmask_b32_e32 v24, v25, v28, vcc
	v_lshlrev_b32_e32 v25, 16, v16
	v_bfrev_b32_e32 v27, 60
	v_lshlrev_b32_e32 v24, 20, v24
	v_and_b32_e32 v25, 0x80000000, v25
	v_lshl_add_u32 v14, v14, 23, v27
	v_or3_b32 v25, v25, v14, v24
.LBB581_459:
	s_or_b64 exec, exec, s[10:11]
.LBB581_460:
	s_or_b64 exec, exec, s[8:9]
.LBB581_461:
	s_or_b64 exec, exec, s[2:3]
	s_movk_i32 s2, 0xff
	v_and_b32_sdwa v24, v16, s2 dst_sel:DWORD dst_unused:UNUSED_PAD src0_sel:WORD_1 src1_sel:DWORD
	v_lshrrev_b32_e32 v14, 16, v16
	v_cmp_ne_u16_e32 vcc, 0, v24
	s_and_saveexec_b64 s[2:3], vcc
	s_cbranch_execz .LBB581_467
; %bb.462:
	s_movk_i32 s7, 0x80
	v_cmp_ne_u16_e32 vcc, s7, v24
	v_bfrev_b32_e32 v15, 1
	s_and_saveexec_b64 s[8:9], vcc
	s_cbranch_execz .LBB581_466
; %bb.463:
	v_bfe_u32 v24, v16, 16, 7
	s_movk_i32 s7, 0x7f
	v_cmp_ne_u32_e32 vcc, s7, v24
	v_mov_b32_e32 v15, 0x7f800001
	s_and_saveexec_b64 s[10:11], vcc
	s_cbranch_execz .LBB581_465
; %bb.464:
	v_and_b32_e32 v27, 7, v14
	v_ffbh_u32_e32 v15, v27
	v_min_u32_e32 v29, 32, v15
	v_subrev_u32_e32 v15, 28, v29
	v_lshlrev_b64 v[14:15], v15, v[14:15]
	v_lshrrev_b32_e32 v28, 3, v24
	v_sub_u32_e32 v15, 29, v29
	v_and_b32_e32 v14, 7, v14
	v_cmp_gt_u32_e32 vcc, 8, v24
	v_mov_b32_e32 v24, 24
	v_cndmask_b32_e32 v15, v28, v15, vcc
	v_cndmask_b32_e32 v14, v27, v14, vcc
	v_lshlrev_b32_sdwa v24, v24, v16 dst_sel:DWORD dst_unused:UNUSED_PAD src0_sel:DWORD src1_sel:WORD_1
	v_bfrev_b32_e32 v27, 60
	v_lshlrev_b32_e32 v14, 20, v14
	v_and_b32_e32 v24, 0x80000000, v24
	v_lshl_add_u32 v15, v15, 23, v27
	v_or3_b32 v15, v24, v15, v14
.LBB581_465:
	s_or_b64 exec, exec, s[10:11]
.LBB581_466:
	s_or_b64 exec, exec, s[8:9]
.LBB581_467:
	s_or_b64 exec, exec, s[2:3]
	s_mov_b32 s2, 0xffffff
	v_cmp_lt_u32_e32 vcc, s2, v16
	v_mov_b32_e32 v27, 0
	v_mov_b32_e32 v28, 0
	s_and_saveexec_b64 s[2:3], vcc
	s_cbranch_execz .LBB581_473
; %bb.468:
	v_lshrrev_b32_e32 v14, 24, v16
	s_movk_i32 s7, 0x80
	v_cmp_ne_u32_e32 vcc, s7, v14
	v_bfrev_b32_e32 v28, 1
	s_and_saveexec_b64 s[8:9], vcc
	s_cbranch_execz .LBB581_472
; %bb.469:
	v_bfe_u32 v16, v16, 24, 7
	s_movk_i32 s7, 0x7f
	v_cmp_ne_u32_e32 vcc, s7, v16
	v_mov_b32_e32 v28, 0x7f800001
	s_and_saveexec_b64 s[10:11], vcc
	s_cbranch_execz .LBB581_471
; %bb.470:
	v_and_b32_e32 v24, 7, v14
	v_ffbh_u32_e32 v28, v24
	v_min_u32_e32 v31, 32, v28
	v_subrev_u32_e32 v28, 28, v31
	v_lshlrev_b64 v[28:29], v28, v[14:15]
	v_lshrrev_b32_e32 v30, 3, v16
	v_sub_u32_e32 v29, 29, v31
	v_and_b32_e32 v28, 7, v28
	v_cmp_gt_u32_e32 vcc, 8, v16
	v_cndmask_b32_e32 v16, v30, v29, vcc
	v_cndmask_b32_e32 v24, v24, v28, vcc
	v_lshlrev_b32_e32 v14, 24, v14
	v_bfrev_b32_e32 v28, 60
	v_lshlrev_b32_e32 v24, 20, v24
	v_and_b32_e32 v14, 0x80000000, v14
	v_lshl_add_u32 v16, v16, 23, v28
	v_or3_b32 v28, v14, v16, v24
.LBB581_471:
	s_or_b64 exec, exec, s[10:11]
.LBB581_472:
	s_or_b64 exec, exec, s[8:9]
.LBB581_473:
	s_or_b64 exec, exec, s[2:3]
	v_cmp_ne_u16_sdwa s[8:9], v17, v27 src0_sel:BYTE_0 src1_sel:DWORD
	s_and_saveexec_b64 s[2:3], s[8:9]
	s_cbranch_execz .LBB581_479
; %bb.474:
	s_movk_i32 s7, 0x80
	v_cmp_ne_u16_sdwa s[10:11], v17, s7 src0_sel:BYTE_0 src1_sel:DWORD
	v_bfrev_b32_e32 v27, 1
	s_and_saveexec_b64 s[8:9], s[10:11]
	s_cbranch_execz .LBB581_478
; %bb.475:
	s_movk_i32 s7, 0x7f
	v_and_b32_e32 v14, 0x7f, v17
	v_cmp_ne_u32_e32 vcc, s7, v14
	v_mov_b32_e32 v27, 0x7f800001
	s_and_saveexec_b64 s[10:11], vcc
	s_cbranch_execz .LBB581_477
; %bb.476:
	v_and_b32_e32 v24, 7, v17
	v_ffbh_u32_e32 v29, v24
	v_min_u32_e32 v29, 32, v29
	v_mov_b32_e32 v16, v17
	v_subrev_u32_e32 v30, 28, v29
	v_lshlrev_b64 v[30:31], v30, v[16:17]
	v_lshrrev_b32_e32 v27, 3, v14
	v_sub_u32_e32 v16, 29, v29
	v_and_b32_e32 v29, 7, v30
	v_cmp_gt_u32_e32 vcc, 8, v14
	v_cndmask_b32_e32 v14, v27, v16, vcc
	v_cndmask_b32_e32 v16, v24, v29, vcc
	v_lshlrev_b32_e32 v24, 24, v17
	v_bfrev_b32_e32 v27, 60
	v_lshlrev_b32_e32 v16, 20, v16
	v_and_b32_e32 v24, 0x80000000, v24
	v_lshl_add_u32 v14, v14, 23, v27
	v_or3_b32 v27, v24, v14, v16
.LBB581_477:
	s_or_b64 exec, exec, s[10:11]
.LBB581_478:
	s_or_b64 exec, exec, s[8:9]
.LBB581_479:
	s_or_b64 exec, exec, s[2:3]
	v_lshrrev_b16_e32 v14, 8, v17
	v_cmp_ne_u16_e32 vcc, 0, v14
	v_mov_b32_e32 v16, 0
	v_mov_b32_e32 v29, 0
	s_and_saveexec_b64 s[2:3], vcc
	s_cbranch_execz .LBB581_485
; %bb.480:
	s_movk_i32 s7, 0x80
	v_cmp_ne_u16_e32 vcc, s7, v14
	v_bfrev_b32_e32 v29, 1
	s_and_saveexec_b64 s[8:9], vcc
	s_cbranch_execz .LBB581_484
; %bb.481:
	s_movk_i32 s7, 0x7f
	v_and_b32_e32 v24, 0x7f, v14
	v_cmp_ne_u32_e32 vcc, s7, v24
	v_mov_b32_e32 v29, 0x7f800001
	s_and_saveexec_b64 s[10:11], vcc
	s_cbranch_execz .LBB581_483
; %bb.482:
	v_and_b32_e32 v29, 7, v14
	v_ffbh_u32_e32 v30, v29
	v_min_u32_e32 v33, 32, v30
	v_subrev_u32_e32 v30, 28, v33
	v_lshlrev_b64 v[30:31], v30, v[14:15]
	v_lshrrev_b32_e32 v32, 3, v24
	v_sub_u32_e32 v14, 29, v33
	v_and_b32_e32 v30, 7, v30
	v_cmp_gt_u32_e32 vcc, 8, v24
	v_cndmask_b32_e32 v14, v32, v14, vcc
	v_cndmask_b32_e32 v24, v29, v30, vcc
	v_lshlrev_b32_e32 v29, 16, v17
	v_bfrev_b32_e32 v30, 60
	v_lshlrev_b32_e32 v24, 20, v24
	v_and_b32_e32 v29, 0x80000000, v29
	v_lshl_add_u32 v14, v14, 23, v30
	v_or3_b32 v29, v29, v14, v24
.LBB581_483:
	s_or_b64 exec, exec, s[10:11]
.LBB581_484:
	s_or_b64 exec, exec, s[8:9]
.LBB581_485:
	s_or_b64 exec, exec, s[2:3]
	s_movk_i32 s2, 0xff
	v_and_b32_sdwa v24, v17, s2 dst_sel:DWORD dst_unused:UNUSED_PAD src0_sel:WORD_1 src1_sel:DWORD
	v_lshrrev_b32_e32 v14, 16, v17
	v_cmp_ne_u16_e32 vcc, 0, v24
	s_and_saveexec_b64 s[2:3], vcc
	s_cbranch_execz .LBB581_491
; %bb.486:
	s_movk_i32 s7, 0x80
	v_cmp_ne_u16_e32 vcc, s7, v24
	v_bfrev_b32_e32 v16, 1
	s_and_saveexec_b64 s[8:9], vcc
	s_cbranch_execz .LBB581_490
; %bb.487:
	v_bfe_u32 v24, v17, 16, 7
	s_movk_i32 s7, 0x7f
	v_cmp_ne_u32_e32 vcc, s7, v24
	v_mov_b32_e32 v16, 0x7f800001
	s_and_saveexec_b64 s[10:11], vcc
	s_cbranch_execz .LBB581_489
; %bb.488:
	v_and_b32_e32 v16, 7, v14
	v_ffbh_u32_e32 v30, v16
	v_min_u32_e32 v33, 32, v30
	v_subrev_u32_e32 v30, 28, v33
	v_lshlrev_b64 v[30:31], v30, v[14:15]
	v_lshrrev_b32_e32 v32, 3, v24
	v_sub_u32_e32 v14, 29, v33
	v_and_b32_e32 v30, 7, v30
	v_cmp_gt_u32_e32 vcc, 8, v24
	v_mov_b32_e32 v24, 24
	v_cndmask_b32_e32 v14, v32, v14, vcc
	v_cndmask_b32_e32 v16, v16, v30, vcc
	v_lshlrev_b32_sdwa v24, v24, v17 dst_sel:DWORD dst_unused:UNUSED_PAD src0_sel:DWORD src1_sel:WORD_1
	v_bfrev_b32_e32 v30, 60
	v_lshlrev_b32_e32 v16, 20, v16
	v_and_b32_e32 v24, 0x80000000, v24
	v_lshl_add_u32 v14, v14, 23, v30
	v_or3_b32 v16, v24, v14, v16
.LBB581_489:
	s_or_b64 exec, exec, s[10:11]
.LBB581_490:
	s_or_b64 exec, exec, s[8:9]
.LBB581_491:
	s_or_b64 exec, exec, s[2:3]
	s_mov_b32 s2, 0xffffff
	v_cmp_lt_u32_e32 vcc, s2, v17
	v_mov_b32_e32 v24, 0
	v_mov_b32_e32 v30, 0
	s_and_saveexec_b64 s[2:3], vcc
	s_cbranch_execz .LBB581_497
; %bb.492:
	v_lshrrev_b32_e32 v14, 24, v17
	s_movk_i32 s7, 0x80
	v_cmp_ne_u32_e32 vcc, s7, v14
	v_bfrev_b32_e32 v30, 1
	s_and_saveexec_b64 s[8:9], vcc
	s_cbranch_execz .LBB581_496
; %bb.493:
	v_bfe_u32 v17, v17, 24, 7
	s_movk_i32 s7, 0x7f
	v_cmp_ne_u32_e32 vcc, s7, v17
	v_mov_b32_e32 v30, 0x7f800001
	s_and_saveexec_b64 s[10:11], vcc
	s_cbranch_execz .LBB581_495
; %bb.494:
	v_and_b32_e32 v32, 7, v14
	v_ffbh_u32_e32 v30, v32
	v_min_u32_e32 v34, 32, v30
	v_subrev_u32_e32 v30, 28, v34
	v_lshlrev_b64 v[30:31], v30, v[14:15]
	v_lshrrev_b32_e32 v33, 3, v17
	v_sub_u32_e32 v31, 29, v34
	v_and_b32_e32 v30, 7, v30
	v_cmp_gt_u32_e32 vcc, 8, v17
	v_cndmask_b32_e32 v17, v33, v31, vcc
	v_cndmask_b32_e32 v30, v32, v30, vcc
	v_lshlrev_b32_e32 v14, 24, v14
	v_bfrev_b32_e32 v31, 60
	v_lshlrev_b32_e32 v30, 20, v30
	v_and_b32_e32 v14, 0x80000000, v14
	v_lshl_add_u32 v17, v17, 23, v31
	v_or3_b32 v30, v14, v17, v30
.LBB581_495:
	s_or_b64 exec, exec, s[10:11]
.LBB581_496:
	s_or_b64 exec, exec, s[8:9]
.LBB581_497:
	s_or_b64 exec, exec, s[2:3]
	v_cvt_pkrtz_f16_f32 v14, v23, v25
	v_cvt_pkrtz_f16_f32 v15, v15, v28
	ds_read_b128 v[32:35], v22 offset:16
	s_waitcnt vmcnt(2)
	v_cmp_ne_u16_sdwa s[8:9], v10, v24 src0_sel:BYTE_0 src1_sel:DWORD
	s_waitcnt lgkmcnt(0)
	v_mfma_f32_16x16x16f16 v[18:21], v[14:15], v[32:33], v[18:21]
	v_cvt_pkrtz_f16_f32 v14, v27, v29
	v_cvt_pkrtz_f16_f32 v15, v16, v30
	s_nop 1
	v_mfma_f32_16x16x16f16 v[14:17], v[14:15], v[34:35], v[18:21]
	s_and_saveexec_b64 s[2:3], s[8:9]
	s_cbranch_execz .LBB581_503
; %bb.498:
	s_movk_i32 s7, 0x80
	v_cmp_ne_u16_sdwa s[10:11], v10, s7 src0_sel:BYTE_0 src1_sel:DWORD
	v_bfrev_b32_e32 v24, 1
	s_and_saveexec_b64 s[8:9], s[10:11]
	s_cbranch_execz .LBB581_502
; %bb.499:
	s_movk_i32 s7, 0x7f
	v_and_b32_e32 v18, 0x7f, v10
	v_cmp_ne_u32_e32 vcc, s7, v18
	v_mov_b32_e32 v24, 0x7f800001
	s_and_saveexec_b64 s[10:11], vcc
	s_cbranch_execz .LBB581_501
; %bb.500:
	v_and_b32_e32 v19, 7, v10
	v_ffbh_u32_e32 v20, v19
	v_min_u32_e32 v24, 32, v20
	v_subrev_u32_e32 v20, 28, v24
	v_lshlrev_b64 v[20:21], v20, v[10:11]
	v_lshrrev_b32_e32 v23, 3, v18
	v_sub_u32_e32 v21, 29, v24
	v_and_b32_e32 v20, 7, v20
	v_cmp_gt_u32_e32 vcc, 8, v18
	v_cndmask_b32_e32 v18, v23, v21, vcc
	v_cndmask_b32_e32 v19, v19, v20, vcc
	v_lshlrev_b32_e32 v20, 24, v10
	v_bfrev_b32_e32 v21, 60
	v_lshlrev_b32_e32 v19, 20, v19
	v_and_b32_e32 v20, 0x80000000, v20
	v_lshl_add_u32 v18, v18, 23, v21
	v_or3_b32 v24, v20, v18, v19
.LBB581_501:
	s_or_b64 exec, exec, s[10:11]
.LBB581_502:
	s_or_b64 exec, exec, s[8:9]
.LBB581_503:
	s_or_b64 exec, exec, s[2:3]
	s_nop 3
	v_lshrrev_b16_e32 v18, 8, v10
	v_cmp_ne_u16_e32 vcc, 0, v18
	v_mov_b32_e32 v19, 0
	v_mov_b32_e32 v20, 0
	s_and_saveexec_b64 s[2:3], vcc
	s_cbranch_execz .LBB581_509
; %bb.504:
	s_movk_i32 s7, 0x80
	v_cmp_ne_u16_e32 vcc, s7, v18
	v_bfrev_b32_e32 v20, 1
	s_and_saveexec_b64 s[8:9], vcc
	s_cbranch_execz .LBB581_508
; %bb.505:
	s_movk_i32 s7, 0x7f
	v_and_b32_e32 v21, 0x7f, v18
	v_cmp_ne_u32_e32 vcc, s7, v21
	v_mov_b32_e32 v20, 0x7f800001
	s_and_saveexec_b64 s[10:11], vcc
	s_cbranch_execz .LBB581_507
; %bb.506:
	v_and_b32_e32 v20, 7, v18
	v_ffbh_u32_e32 v25, v20
	v_min_u32_e32 v25, 32, v25
	v_subrev_u32_e32 v27, 28, v25
	v_lshlrev_b64 v[28:29], v27, v[18:19]
	v_lshrrev_b32_e32 v23, 3, v21
	v_sub_u32_e32 v18, 29, v25
	v_and_b32_e32 v25, 7, v28
	v_cmp_gt_u32_e32 vcc, 8, v21
	v_cndmask_b32_e32 v18, v23, v18, vcc
	v_cndmask_b32_e32 v20, v20, v25, vcc
	v_lshlrev_b32_e32 v21, 16, v10
	v_bfrev_b32_e32 v23, 60
	v_lshlrev_b32_e32 v20, 20, v20
	v_and_b32_e32 v21, 0x80000000, v21
	v_lshl_add_u32 v18, v18, 23, v23
	v_or3_b32 v20, v21, v18, v20
.LBB581_507:
	s_or_b64 exec, exec, s[10:11]
.LBB581_508:
	s_or_b64 exec, exec, s[8:9]
.LBB581_509:
	s_or_b64 exec, exec, s[2:3]
	s_movk_i32 s2, 0xff
	v_and_b32_sdwa v21, v10, s2 dst_sel:DWORD dst_unused:UNUSED_PAD src0_sel:WORD_1 src1_sel:DWORD
	v_lshrrev_b32_e32 v18, 16, v10
	v_cmp_ne_u16_e32 vcc, 0, v21
	s_and_saveexec_b64 s[2:3], vcc
	s_cbranch_execz .LBB581_515
; %bb.510:
	s_movk_i32 s7, 0x80
	v_cmp_ne_u16_e32 vcc, s7, v21
	v_bfrev_b32_e32 v19, 1
	s_and_saveexec_b64 s[8:9], vcc
	s_cbranch_execz .LBB581_514
; %bb.511:
	v_bfe_u32 v21, v10, 16, 7
	s_movk_i32 s7, 0x7f
	v_cmp_ne_u32_e32 vcc, s7, v21
	v_mov_b32_e32 v19, 0x7f800001
	s_and_saveexec_b64 s[10:11], vcc
	s_cbranch_execz .LBB581_513
; %bb.512:
	v_and_b32_e32 v23, 7, v18
	v_ffbh_u32_e32 v19, v23
	v_min_u32_e32 v27, 32, v19
	v_subrev_u32_e32 v19, 28, v27
	v_lshlrev_b64 v[18:19], v19, v[18:19]
	v_lshrrev_b32_e32 v25, 3, v21
	v_sub_u32_e32 v19, 29, v27
	v_and_b32_e32 v18, 7, v18
	v_cmp_gt_u32_e32 vcc, 8, v21
	v_mov_b32_e32 v21, 24
	v_cndmask_b32_e32 v19, v25, v19, vcc
	v_cndmask_b32_e32 v18, v23, v18, vcc
	v_lshlrev_b32_sdwa v21, v21, v10 dst_sel:DWORD dst_unused:UNUSED_PAD src0_sel:DWORD src1_sel:WORD_1
	v_bfrev_b32_e32 v23, 60
	v_lshlrev_b32_e32 v18, 20, v18
	v_and_b32_e32 v21, 0x80000000, v21
	v_lshl_add_u32 v19, v19, 23, v23
	v_or3_b32 v19, v21, v19, v18
.LBB581_513:
	s_or_b64 exec, exec, s[10:11]
.LBB581_514:
	s_or_b64 exec, exec, s[8:9]
.LBB581_515:
	s_or_b64 exec, exec, s[2:3]
	s_mov_b32 s2, 0xffffff
	v_cmp_lt_u32_e32 vcc, s2, v10
	v_mov_b32_e32 v21, 0
	v_mov_b32_e32 v23, 0
	s_and_saveexec_b64 s[2:3], vcc
	s_cbranch_execz .LBB581_521
; %bb.516:
	v_lshrrev_b32_e32 v18, 24, v10
	s_movk_i32 s7, 0x80
	v_cmp_ne_u32_e32 vcc, s7, v18
	v_bfrev_b32_e32 v23, 1
	s_and_saveexec_b64 s[8:9], vcc
	s_cbranch_execz .LBB581_520
; %bb.517:
	v_bfe_u32 v10, v10, 24, 7
	s_movk_i32 s7, 0x7f
	v_cmp_ne_u32_e32 vcc, s7, v10
	v_mov_b32_e32 v23, 0x7f800001
	s_and_saveexec_b64 s[10:11], vcc
	s_cbranch_execz .LBB581_519
; %bb.518:
	v_and_b32_e32 v23, 7, v18
	v_ffbh_u32_e32 v27, v23
	v_min_u32_e32 v27, 32, v27
	v_subrev_u32_e32 v28, 28, v27
	v_lshlrev_b64 v[28:29], v28, v[18:19]
	v_lshrrev_b32_e32 v25, 3, v10
	v_sub_u32_e32 v27, 29, v27
	v_and_b32_e32 v28, 7, v28
	v_cmp_gt_u32_e32 vcc, 8, v10
	v_cndmask_b32_e32 v10, v25, v27, vcc
	v_cndmask_b32_e32 v23, v23, v28, vcc
	v_lshlrev_b32_e32 v18, 24, v18
	v_bfrev_b32_e32 v25, 60
	v_lshlrev_b32_e32 v23, 20, v23
	v_and_b32_e32 v18, 0x80000000, v18
	v_lshl_add_u32 v10, v10, 23, v25
	v_or3_b32 v23, v18, v10, v23
.LBB581_519:
	s_or_b64 exec, exec, s[10:11]
.LBB581_520:
	s_or_b64 exec, exec, s[8:9]
.LBB581_521:
	s_or_b64 exec, exec, s[2:3]
	v_cmp_ne_u16_sdwa s[8:9], v11, v21 src0_sel:BYTE_0 src1_sel:DWORD
	s_and_saveexec_b64 s[2:3], s[8:9]
	s_cbranch_execz .LBB581_527
; %bb.522:
	s_movk_i32 s7, 0x80
	v_cmp_ne_u16_sdwa s[10:11], v11, s7 src0_sel:BYTE_0 src1_sel:DWORD
	v_bfrev_b32_e32 v21, 1
	s_and_saveexec_b64 s[8:9], s[10:11]
	s_cbranch_execz .LBB581_526
; %bb.523:
	s_movk_i32 s7, 0x7f
	v_and_b32_e32 v10, 0x7f, v11
	v_cmp_ne_u32_e32 vcc, s7, v10
	v_mov_b32_e32 v21, 0x7f800001
	s_and_saveexec_b64 s[10:11], vcc
	s_cbranch_execz .LBB581_525
; %bb.524:
	v_and_b32_e32 v21, 7, v11
	v_ffbh_u32_e32 v27, v21
	v_min_u32_e32 v27, 32, v27
	v_mov_b32_e32 v18, v11
	v_subrev_u32_e32 v28, 28, v27
	v_lshlrev_b64 v[28:29], v28, v[18:19]
	v_lshrrev_b32_e32 v25, 3, v10
	v_sub_u32_e32 v18, 29, v27
	v_and_b32_e32 v27, 7, v28
	v_cmp_gt_u32_e32 vcc, 8, v10
	v_cndmask_b32_e32 v10, v25, v18, vcc
	v_cndmask_b32_e32 v18, v21, v27, vcc
	v_lshlrev_b32_e32 v21, 24, v11
	v_bfrev_b32_e32 v25, 60
	v_lshlrev_b32_e32 v18, 20, v18
	v_and_b32_e32 v21, 0x80000000, v21
	v_lshl_add_u32 v10, v10, 23, v25
	v_or3_b32 v21, v21, v10, v18
.LBB581_525:
	s_or_b64 exec, exec, s[10:11]
.LBB581_526:
	s_or_b64 exec, exec, s[8:9]
.LBB581_527:
	s_or_b64 exec, exec, s[2:3]
	v_lshrrev_b16_e32 v10, 8, v11
	v_cmp_ne_u16_e32 vcc, 0, v10
	v_mov_b32_e32 v25, 0
	v_mov_b32_e32 v27, 0
	s_and_saveexec_b64 s[2:3], vcc
	s_cbranch_execz .LBB581_533
; %bb.528:
	s_movk_i32 s7, 0x80
	v_cmp_ne_u16_e32 vcc, s7, v10
	v_bfrev_b32_e32 v27, 1
	s_and_saveexec_b64 s[8:9], vcc
	s_cbranch_execz .LBB581_532
; %bb.529:
	s_movk_i32 s7, 0x7f
	v_and_b32_e32 v18, 0x7f, v10
	v_cmp_ne_u32_e32 vcc, s7, v18
	v_mov_b32_e32 v27, 0x7f800001
	s_and_saveexec_b64 s[10:11], vcc
	s_cbranch_execz .LBB581_531
; %bb.530:
	v_and_b32_e32 v27, 7, v10
	v_ffbh_u32_e32 v28, v27
	v_min_u32_e32 v31, 32, v28
	v_subrev_u32_e32 v28, 28, v31
	v_lshlrev_b64 v[28:29], v28, v[10:11]
	v_lshrrev_b32_e32 v30, 3, v18
	v_sub_u32_e32 v10, 29, v31
	v_and_b32_e32 v28, 7, v28
	v_cmp_gt_u32_e32 vcc, 8, v18
	v_cndmask_b32_e32 v10, v30, v10, vcc
	v_cndmask_b32_e32 v18, v27, v28, vcc
	v_lshlrev_b32_e32 v27, 16, v11
	v_bfrev_b32_e32 v28, 60
	v_lshlrev_b32_e32 v18, 20, v18
	v_and_b32_e32 v27, 0x80000000, v27
	v_lshl_add_u32 v10, v10, 23, v28
	v_or3_b32 v27, v27, v10, v18
.LBB581_531:
	s_or_b64 exec, exec, s[10:11]
.LBB581_532:
	s_or_b64 exec, exec, s[8:9]
.LBB581_533:
	s_or_b64 exec, exec, s[2:3]
	s_movk_i32 s2, 0xff
	v_and_b32_sdwa v18, v11, s2 dst_sel:DWORD dst_unused:UNUSED_PAD src0_sel:WORD_1 src1_sel:DWORD
	v_lshrrev_b32_e32 v10, 16, v11
	v_cmp_ne_u16_e32 vcc, 0, v18
	s_and_saveexec_b64 s[2:3], vcc
	s_cbranch_execz .LBB581_539
; %bb.534:
	s_movk_i32 s7, 0x80
	v_cmp_ne_u16_e32 vcc, s7, v18
	v_bfrev_b32_e32 v25, 1
	s_and_saveexec_b64 s[8:9], vcc
	s_cbranch_execz .LBB581_538
; %bb.535:
	v_bfe_u32 v18, v11, 16, 7
	s_movk_i32 s7, 0x7f
	v_cmp_ne_u32_e32 vcc, s7, v18
	v_mov_b32_e32 v25, 0x7f800001
	s_and_saveexec_b64 s[10:11], vcc
	s_cbranch_execz .LBB581_537
; %bb.536:
	v_and_b32_e32 v25, 7, v10
	v_ffbh_u32_e32 v28, v25
	v_min_u32_e32 v31, 32, v28
	v_subrev_u32_e32 v28, 28, v31
	v_lshlrev_b64 v[28:29], v28, v[10:11]
	v_and_b32_e32 v28, 7, v28
	v_cmp_gt_u32_e32 vcc, 8, v18
	v_lshrrev_b32_e32 v30, 3, v18
	v_sub_u32_e32 v10, 29, v31
	v_cndmask_b32_e32 v18, v25, v28, vcc
	v_mov_b32_e32 v25, 24
	v_cndmask_b32_e32 v10, v30, v10, vcc
	v_lshlrev_b32_sdwa v25, v25, v11 dst_sel:DWORD dst_unused:UNUSED_PAD src0_sel:DWORD src1_sel:WORD_1
	v_bfrev_b32_e32 v28, 60
	v_lshlrev_b32_e32 v18, 20, v18
	v_and_b32_e32 v25, 0x80000000, v25
	v_lshl_add_u32 v10, v10, 23, v28
	v_or3_b32 v25, v25, v10, v18
.LBB581_537:
	s_or_b64 exec, exec, s[10:11]
.LBB581_538:
	s_or_b64 exec, exec, s[8:9]
.LBB581_539:
	s_or_b64 exec, exec, s[2:3]
	s_mov_b32 s2, 0xffffff
	v_cmp_lt_u32_e32 vcc, s2, v11
	v_mov_b32_e32 v18, 0
	v_mov_b32_e32 v28, 0
	s_and_saveexec_b64 s[2:3], vcc
	s_cbranch_execz .LBB581_545
; %bb.540:
	v_lshrrev_b32_e32 v10, 24, v11
	s_movk_i32 s7, 0x80
	v_cmp_ne_u32_e32 vcc, s7, v10
	v_bfrev_b32_e32 v28, 1
	s_and_saveexec_b64 s[8:9], vcc
	s_cbranch_execz .LBB581_544
; %bb.541:
	v_bfe_u32 v11, v11, 24, 7
	s_movk_i32 s7, 0x7f
	v_cmp_ne_u32_e32 vcc, s7, v11
	v_mov_b32_e32 v28, 0x7f800001
	s_and_saveexec_b64 s[10:11], vcc
	s_cbranch_execz .LBB581_543
; %bb.542:
	v_and_b32_e32 v30, 7, v10
	v_ffbh_u32_e32 v28, v30
	v_min_u32_e32 v32, 32, v28
	v_subrev_u32_e32 v28, 28, v32
	v_lshlrev_b64 v[28:29], v28, v[10:11]
	v_lshrrev_b32_e32 v31, 3, v11
	v_sub_u32_e32 v29, 29, v32
	v_and_b32_e32 v28, 7, v28
	v_cmp_gt_u32_e32 vcc, 8, v11
	v_cndmask_b32_e32 v11, v31, v29, vcc
	v_cndmask_b32_e32 v28, v30, v28, vcc
	v_lshlrev_b32_e32 v10, 24, v10
	v_bfrev_b32_e32 v29, 60
	v_lshlrev_b32_e32 v28, 20, v28
	v_and_b32_e32 v10, 0x80000000, v10
	v_lshl_add_u32 v11, v11, 23, v29
	v_or3_b32 v28, v10, v11, v28
.LBB581_543:
	s_or_b64 exec, exec, s[10:11]
.LBB581_544:
	s_or_b64 exec, exec, s[8:9]
.LBB581_545:
	s_or_b64 exec, exec, s[2:3]
	v_cvt_pkrtz_f16_f32 v10, v24, v20
	v_cvt_pkrtz_f16_f32 v11, v19, v23
	ds_read_b128 v[30:33], v22 offset:2048
	v_cmp_ne_u16_sdwa s[8:9], v12, v18 src0_sel:BYTE_0 src1_sel:DWORD
	s_waitcnt lgkmcnt(0)
	v_mfma_f32_16x16x16f16 v[14:17], v[10:11], v[30:31], v[14:17]
	v_cvt_pkrtz_f16_f32 v10, v21, v27
	v_cvt_pkrtz_f16_f32 v11, v25, v28
	s_nop 1
	v_mfma_f32_16x16x16f16 v[14:17], v[10:11], v[32:33], v[14:17]
	s_and_saveexec_b64 s[2:3], s[8:9]
	s_cbranch_execz .LBB581_551
; %bb.546:
	s_movk_i32 s7, 0x80
	v_cmp_ne_u16_sdwa s[10:11], v12, s7 src0_sel:BYTE_0 src1_sel:DWORD
	v_bfrev_b32_e32 v18, 1
	s_and_saveexec_b64 s[8:9], s[10:11]
	s_cbranch_execz .LBB581_550
; %bb.547:
	s_movk_i32 s7, 0x7f
	v_and_b32_e32 v10, 0x7f, v12
	v_cmp_ne_u32_e32 vcc, s7, v10
	v_mov_b32_e32 v18, 0x7f800001
	s_and_saveexec_b64 s[10:11], vcc
	s_cbranch_execz .LBB581_549
; %bb.548:
	v_and_b32_e32 v11, 7, v12
	v_ffbh_u32_e32 v18, v11
	v_min_u32_e32 v21, 32, v18
	v_subrev_u32_e32 v18, 28, v21
	v_lshlrev_b64 v[18:19], v18, v[12:13]
	v_lshrrev_b32_e32 v20, 3, v10
	v_sub_u32_e32 v19, 29, v21
	v_and_b32_e32 v18, 7, v18
	v_cmp_gt_u32_e32 vcc, 8, v10
	v_cndmask_b32_e32 v10, v20, v19, vcc
	v_cndmask_b32_e32 v11, v11, v18, vcc
	v_lshlrev_b32_e32 v18, 24, v12
	v_bfrev_b32_e32 v19, 60
	v_lshlrev_b32_e32 v11, 20, v11
	v_and_b32_e32 v18, 0x80000000, v18
	v_lshl_add_u32 v10, v10, 23, v19
	v_or3_b32 v18, v18, v10, v11
.LBB581_549:
	s_or_b64 exec, exec, s[10:11]
.LBB581_550:
	s_or_b64 exec, exec, s[8:9]
.LBB581_551:
	s_or_b64 exec, exec, s[2:3]
	v_lshrrev_b16_e32 v10, 8, v12
	v_cmp_ne_u16_e32 vcc, 0, v10
	v_mov_b32_e32 v11, 0
	v_mov_b32_e32 v20, 0
	s_and_saveexec_b64 s[2:3], vcc
	s_cbranch_execz .LBB581_557
; %bb.552:
	s_movk_i32 s7, 0x80
	v_cmp_ne_u16_e32 vcc, s7, v10
	v_bfrev_b32_e32 v20, 1
	s_and_saveexec_b64 s[8:9], vcc
	s_cbranch_execz .LBB581_556
; %bb.553:
	s_movk_i32 s7, 0x7f
	v_and_b32_e32 v19, 0x7f, v10
	v_cmp_ne_u32_e32 vcc, s7, v19
	v_mov_b32_e32 v20, 0x7f800001
	s_and_saveexec_b64 s[10:11], vcc
	s_cbranch_execz .LBB581_555
; %bb.554:
	v_and_b32_e32 v23, 7, v10
	v_ffbh_u32_e32 v20, v23
	v_min_u32_e32 v25, 32, v20
	v_subrev_u32_e32 v20, 28, v25
	v_lshlrev_b64 v[20:21], v20, v[10:11]
	v_lshrrev_b32_e32 v24, 3, v19
	v_sub_u32_e32 v10, 29, v25
	v_and_b32_e32 v20, 7, v20
	v_cmp_gt_u32_e32 vcc, 8, v19
	v_cndmask_b32_e32 v10, v24, v10, vcc
	v_cndmask_b32_e32 v19, v23, v20, vcc
	v_lshlrev_b32_e32 v20, 16, v12
	v_bfrev_b32_e32 v21, 60
	v_lshlrev_b32_e32 v19, 20, v19
	v_and_b32_e32 v20, 0x80000000, v20
	v_lshl_add_u32 v10, v10, 23, v21
	v_or3_b32 v20, v20, v10, v19
.LBB581_555:
	s_or_b64 exec, exec, s[10:11]
.LBB581_556:
	s_or_b64 exec, exec, s[8:9]
.LBB581_557:
	s_or_b64 exec, exec, s[2:3]
	s_movk_i32 s2, 0xff
	v_and_b32_sdwa v19, v12, s2 dst_sel:DWORD dst_unused:UNUSED_PAD src0_sel:WORD_1 src1_sel:DWORD
	v_lshrrev_b32_e32 v10, 16, v12
	v_cmp_ne_u16_e32 vcc, 0, v19
	s_and_saveexec_b64 s[2:3], vcc
	s_cbranch_execz .LBB581_563
; %bb.558:
	s_movk_i32 s7, 0x80
	v_cmp_ne_u16_e32 vcc, s7, v19
	v_bfrev_b32_e32 v11, 1
	s_and_saveexec_b64 s[8:9], vcc
	s_cbranch_execz .LBB581_562
; %bb.559:
	v_bfe_u32 v19, v12, 16, 7
	s_movk_i32 s7, 0x7f
	v_cmp_ne_u32_e32 vcc, s7, v19
	v_mov_b32_e32 v11, 0x7f800001
	s_and_saveexec_b64 s[10:11], vcc
	s_cbranch_execz .LBB581_561
; %bb.560:
	v_and_b32_e32 v21, 7, v10
	v_ffbh_u32_e32 v11, v21
	v_min_u32_e32 v24, 32, v11
	v_subrev_u32_e32 v11, 28, v24
	v_lshlrev_b64 v[10:11], v11, v[10:11]
	v_lshrrev_b32_e32 v23, 3, v19
	v_sub_u32_e32 v11, 29, v24
	v_and_b32_e32 v10, 7, v10
	v_cmp_gt_u32_e32 vcc, 8, v19
	v_mov_b32_e32 v19, 24
	v_cndmask_b32_e32 v11, v23, v11, vcc
	v_cndmask_b32_e32 v10, v21, v10, vcc
	v_lshlrev_b32_sdwa v19, v19, v12 dst_sel:DWORD dst_unused:UNUSED_PAD src0_sel:DWORD src1_sel:WORD_1
	v_bfrev_b32_e32 v21, 60
	v_lshlrev_b32_e32 v10, 20, v10
	v_and_b32_e32 v19, 0x80000000, v19
	v_lshl_add_u32 v11, v11, 23, v21
	v_or3_b32 v11, v19, v11, v10
.LBB581_561:
	s_or_b64 exec, exec, s[10:11]
.LBB581_562:
	s_or_b64 exec, exec, s[8:9]
.LBB581_563:
	s_or_b64 exec, exec, s[2:3]
	s_mov_b32 s2, 0xffffff
	v_cmp_lt_u32_e32 vcc, s2, v12
	v_mov_b32_e32 v21, 0
	v_mov_b32_e32 v23, 0
	s_and_saveexec_b64 s[2:3], vcc
	s_cbranch_execz .LBB581_569
; %bb.564:
	v_lshrrev_b32_e32 v10, 24, v12
	s_movk_i32 s7, 0x80
	v_cmp_ne_u32_e32 vcc, s7, v10
	v_bfrev_b32_e32 v23, 1
	s_and_saveexec_b64 s[8:9], vcc
	s_cbranch_execz .LBB581_568
; %bb.565:
	v_bfe_u32 v12, v12, 24, 7
	s_movk_i32 s7, 0x7f
	v_cmp_ne_u32_e32 vcc, s7, v12
	v_mov_b32_e32 v23, 0x7f800001
	s_and_saveexec_b64 s[10:11], vcc
	s_cbranch_execz .LBB581_567
; %bb.566:
	v_and_b32_e32 v19, 7, v10
	v_ffbh_u32_e32 v24, v19
	v_min_u32_e32 v27, 32, v24
	v_subrev_u32_e32 v24, 28, v27
	v_lshlrev_b64 v[24:25], v24, v[10:11]
	v_lshrrev_b32_e32 v23, 3, v12
	v_sub_u32_e32 v25, 29, v27
	v_and_b32_e32 v24, 7, v24
	v_cmp_gt_u32_e32 vcc, 8, v12
	v_cndmask_b32_e32 v12, v23, v25, vcc
	v_cndmask_b32_e32 v19, v19, v24, vcc
	v_lshlrev_b32_e32 v10, 24, v10
	v_bfrev_b32_e32 v23, 60
	v_lshlrev_b32_e32 v19, 20, v19
	v_and_b32_e32 v10, 0x80000000, v10
	v_lshl_add_u32 v12, v12, 23, v23
	v_or3_b32 v23, v10, v12, v19
.LBB581_567:
	s_or_b64 exec, exec, s[10:11]
.LBB581_568:
	s_or_b64 exec, exec, s[8:9]
.LBB581_569:
	s_or_b64 exec, exec, s[2:3]
	v_cmp_ne_u16_sdwa s[8:9], v13, v21 src0_sel:BYTE_0 src1_sel:DWORD
	s_and_saveexec_b64 s[2:3], s[8:9]
	s_cbranch_execz .LBB581_575
; %bb.570:
	s_movk_i32 s7, 0x80
	v_cmp_ne_u16_sdwa s[10:11], v13, s7 src0_sel:BYTE_0 src1_sel:DWORD
	v_bfrev_b32_e32 v21, 1
	s_and_saveexec_b64 s[8:9], s[10:11]
	s_cbranch_execz .LBB581_574
; %bb.571:
	s_movk_i32 s7, 0x7f
	v_and_b32_e32 v10, 0x7f, v13
	v_cmp_ne_u32_e32 vcc, s7, v10
	v_mov_b32_e32 v21, 0x7f800001
	s_and_saveexec_b64 s[10:11], vcc
	s_cbranch_execz .LBB581_573
; %bb.572:
	v_and_b32_e32 v19, 7, v13
	v_ffbh_u32_e32 v24, v19
	v_min_u32_e32 v27, 32, v24
	v_mov_b32_e32 v12, v13
	v_subrev_u32_e32 v24, 28, v27
	v_lshlrev_b64 v[24:25], v24, v[12:13]
	v_lshrrev_b32_e32 v21, 3, v10
	v_sub_u32_e32 v12, 29, v27
	v_and_b32_e32 v24, 7, v24
	v_cmp_gt_u32_e32 vcc, 8, v10
	v_cndmask_b32_e32 v10, v21, v12, vcc
	v_cndmask_b32_e32 v12, v19, v24, vcc
	v_lshlrev_b32_e32 v19, 24, v13
	v_bfrev_b32_e32 v21, 60
	v_lshlrev_b32_e32 v12, 20, v12
	v_and_b32_e32 v19, 0x80000000, v19
	v_lshl_add_u32 v10, v10, 23, v21
	v_or3_b32 v21, v19, v10, v12
.LBB581_573:
	s_or_b64 exec, exec, s[10:11]
.LBB581_574:
	s_or_b64 exec, exec, s[8:9]
.LBB581_575:
	s_or_b64 exec, exec, s[2:3]
	v_lshrrev_b16_e32 v10, 8, v13
	v_cmp_ne_u16_e32 vcc, 0, v10
	v_mov_b32_e32 v12, 0
	v_mov_b32_e32 v24, 0
	s_and_saveexec_b64 s[2:3], vcc
	s_cbranch_execz .LBB581_581
; %bb.576:
	s_movk_i32 s7, 0x80
	v_cmp_ne_u16_e32 vcc, s7, v10
	v_bfrev_b32_e32 v24, 1
	s_and_saveexec_b64 s[8:9], vcc
	s_cbranch_execz .LBB581_580
; %bb.577:
	s_movk_i32 s7, 0x7f
	v_and_b32_e32 v19, 0x7f, v10
	v_cmp_ne_u32_e32 vcc, s7, v19
	v_mov_b32_e32 v24, 0x7f800001
	s_and_saveexec_b64 s[10:11], vcc
	s_cbranch_execz .LBB581_579
; %bb.578:
	v_and_b32_e32 v27, 7, v10
	v_ffbh_u32_e32 v24, v27
	v_min_u32_e32 v29, 32, v24
	v_subrev_u32_e32 v24, 28, v29
	v_lshlrev_b64 v[24:25], v24, v[10:11]
	v_lshrrev_b32_e32 v28, 3, v19
	v_sub_u32_e32 v10, 29, v29
	v_and_b32_e32 v24, 7, v24
	v_cmp_gt_u32_e32 vcc, 8, v19
	v_cndmask_b32_e32 v10, v28, v10, vcc
	v_cndmask_b32_e32 v19, v27, v24, vcc
	v_lshlrev_b32_e32 v24, 16, v13
	v_bfrev_b32_e32 v25, 60
	v_lshlrev_b32_e32 v19, 20, v19
	v_and_b32_e32 v24, 0x80000000, v24
	v_lshl_add_u32 v10, v10, 23, v25
	v_or3_b32 v24, v24, v10, v19
.LBB581_579:
	s_or_b64 exec, exec, s[10:11]
.LBB581_580:
	s_or_b64 exec, exec, s[8:9]
.LBB581_581:
	s_or_b64 exec, exec, s[2:3]
	s_movk_i32 s2, 0xff
	v_and_b32_sdwa v19, v13, s2 dst_sel:DWORD dst_unused:UNUSED_PAD src0_sel:WORD_1 src1_sel:DWORD
	v_lshrrev_b32_e32 v10, 16, v13
	v_cmp_ne_u16_e32 vcc, 0, v19
	s_and_saveexec_b64 s[2:3], vcc
	s_cbranch_execz .LBB581_587
; %bb.582:
	s_movk_i32 s7, 0x80
	v_cmp_ne_u16_e32 vcc, s7, v19
	v_bfrev_b32_e32 v12, 1
	s_and_saveexec_b64 s[8:9], vcc
	s_cbranch_execz .LBB581_586
; %bb.583:
	v_bfe_u32 v19, v13, 16, 7
	s_movk_i32 s7, 0x7f
	v_cmp_ne_u32_e32 vcc, s7, v19
	v_mov_b32_e32 v12, 0x7f800001
	s_and_saveexec_b64 s[10:11], vcc
	s_cbranch_execz .LBB581_585
; %bb.584:
	v_and_b32_e32 v12, 7, v10
	v_ffbh_u32_e32 v27, v12
	v_min_u32_e32 v27, 32, v27
	v_subrev_u32_e32 v28, 28, v27
	v_lshlrev_b64 v[28:29], v28, v[10:11]
	v_lshrrev_b32_e32 v25, 3, v19
	v_sub_u32_e32 v10, 29, v27
	v_and_b32_e32 v27, 7, v28
	v_cmp_gt_u32_e32 vcc, 8, v19
	v_mov_b32_e32 v19, 24
	v_cndmask_b32_e32 v10, v25, v10, vcc
	v_cndmask_b32_e32 v12, v12, v27, vcc
	v_lshlrev_b32_sdwa v19, v19, v13 dst_sel:DWORD dst_unused:UNUSED_PAD src0_sel:DWORD src1_sel:WORD_1
	v_bfrev_b32_e32 v25, 60
	v_lshlrev_b32_e32 v12, 20, v12
	v_and_b32_e32 v19, 0x80000000, v19
	v_lshl_add_u32 v10, v10, 23, v25
	v_or3_b32 v12, v19, v10, v12
.LBB581_585:
	s_or_b64 exec, exec, s[10:11]
.LBB581_586:
	s_or_b64 exec, exec, s[8:9]
.LBB581_587:
	s_or_b64 exec, exec, s[2:3]
	s_mov_b32 s2, 0xffffff
	v_cmp_lt_u32_e32 vcc, s2, v13
	v_mov_b32_e32 v19, 0
	v_mov_b32_e32 v25, 0
	s_and_saveexec_b64 s[2:3], vcc
	s_cbranch_execz .LBB581_593
; %bb.588:
	v_lshrrev_b32_e32 v10, 24, v13
	s_movk_i32 s7, 0x80
	v_cmp_ne_u32_e32 vcc, s7, v10
	v_bfrev_b32_e32 v25, 1
	s_and_saveexec_b64 s[8:9], vcc
	s_cbranch_execz .LBB581_592
; %bb.589:
	v_bfe_u32 v13, v13, 24, 7
	s_movk_i32 s7, 0x7f
	v_cmp_ne_u32_e32 vcc, s7, v13
	v_mov_b32_e32 v25, 0x7f800001
	s_and_saveexec_b64 s[10:11], vcc
	s_cbranch_execz .LBB581_591
; %bb.590:
	v_and_b32_e32 v25, 7, v10
	v_ffbh_u32_e32 v28, v25
	v_min_u32_e32 v30, 32, v28
	v_subrev_u32_e32 v28, 28, v30
	v_lshlrev_b64 v[28:29], v28, v[10:11]
	v_lshrrev_b32_e32 v27, 3, v13
	v_sub_u32_e32 v29, 29, v30
	v_and_b32_e32 v28, 7, v28
	v_cmp_gt_u32_e32 vcc, 8, v13
	v_cndmask_b32_e32 v13, v27, v29, vcc
	v_cndmask_b32_e32 v25, v25, v28, vcc
	v_lshlrev_b32_e32 v10, 24, v10
	v_bfrev_b32_e32 v27, 60
	v_lshlrev_b32_e32 v25, 20, v25
	v_and_b32_e32 v10, 0x80000000, v10
	v_lshl_add_u32 v13, v13, 23, v27
	v_or3_b32 v25, v10, v13, v25
.LBB581_591:
	s_or_b64 exec, exec, s[10:11]
.LBB581_592:
	s_or_b64 exec, exec, s[8:9]
.LBB581_593:
	s_or_b64 exec, exec, s[2:3]
	v_cvt_pkrtz_f16_f32 v10, v18, v20
	v_cvt_pkrtz_f16_f32 v11, v11, v23
	ds_read_b128 v[28:31], v22 offset:2064
	s_waitcnt vmcnt(1)
	v_cmp_ne_u16_sdwa s[8:9], v6, v19 src0_sel:BYTE_0 src1_sel:DWORD
	s_waitcnt lgkmcnt(0)
	v_mfma_f32_16x16x16f16 v[14:17], v[10:11], v[28:29], v[14:17]
	v_cvt_pkrtz_f16_f32 v10, v21, v24
	v_cvt_pkrtz_f16_f32 v11, v12, v25
	s_nop 1
	v_mfma_f32_16x16x16f16 v[10:13], v[10:11], v[30:31], v[14:17]
	s_and_saveexec_b64 s[2:3], s[8:9]
	s_cbranch_execz .LBB581_599
; %bb.594:
	s_movk_i32 s7, 0x80
	v_cmp_ne_u16_sdwa s[10:11], v6, s7 src0_sel:BYTE_0 src1_sel:DWORD
	v_bfrev_b32_e32 v19, 1
	s_and_saveexec_b64 s[8:9], s[10:11]
	s_cbranch_execz .LBB581_598
; %bb.595:
	s_movk_i32 s7, 0x7f
	v_and_b32_e32 v14, 0x7f, v6
	v_cmp_ne_u32_e32 vcc, s7, v14
	v_mov_b32_e32 v19, 0x7f800001
	s_and_saveexec_b64 s[10:11], vcc
	s_cbranch_execz .LBB581_597
; %bb.596:
	v_and_b32_e32 v15, 7, v6
	v_ffbh_u32_e32 v16, v15
	v_min_u32_e32 v19, 32, v16
	v_subrev_u32_e32 v16, 28, v19
	v_lshlrev_b64 v[16:17], v16, v[6:7]
	v_lshrrev_b32_e32 v18, 3, v14
	v_sub_u32_e32 v17, 29, v19
	v_and_b32_e32 v16, 7, v16
	v_cmp_gt_u32_e32 vcc, 8, v14
	v_cndmask_b32_e32 v14, v18, v17, vcc
	v_cndmask_b32_e32 v15, v15, v16, vcc
	v_lshlrev_b32_e32 v16, 24, v6
	v_bfrev_b32_e32 v17, 60
	v_lshlrev_b32_e32 v15, 20, v15
	v_and_b32_e32 v16, 0x80000000, v16
	v_lshl_add_u32 v14, v14, 23, v17
	v_or3_b32 v19, v16, v14, v15
.LBB581_597:
	s_or_b64 exec, exec, s[10:11]
.LBB581_598:
	s_or_b64 exec, exec, s[8:9]
.LBB581_599:
	s_or_b64 exec, exec, s[2:3]
	s_nop 3
	v_lshrrev_b16_e32 v14, 8, v6
	v_cmp_ne_u16_e32 vcc, 0, v14
	v_mov_b32_e32 v15, 0
	v_mov_b32_e32 v16, 0
	s_and_saveexec_b64 s[2:3], vcc
	s_cbranch_execz .LBB581_605
; %bb.600:
	s_movk_i32 s7, 0x80
	v_cmp_ne_u16_e32 vcc, s7, v14
	v_bfrev_b32_e32 v16, 1
	s_and_saveexec_b64 s[8:9], vcc
	s_cbranch_execz .LBB581_604
; %bb.601:
	s_movk_i32 s7, 0x7f
	v_and_b32_e32 v17, 0x7f, v14
	v_cmp_ne_u32_e32 vcc, s7, v17
	v_mov_b32_e32 v16, 0x7f800001
	s_and_saveexec_b64 s[10:11], vcc
	s_cbranch_execz .LBB581_603
; %bb.602:
	v_and_b32_e32 v16, 7, v14
	v_ffbh_u32_e32 v20, v16
	v_min_u32_e32 v23, 32, v20
	v_subrev_u32_e32 v20, 28, v23
	v_lshlrev_b64 v[20:21], v20, v[14:15]
	v_lshrrev_b32_e32 v18, 3, v17
	v_sub_u32_e32 v14, 29, v23
	v_and_b32_e32 v20, 7, v20
	v_cmp_gt_u32_e32 vcc, 8, v17
	v_cndmask_b32_e32 v14, v18, v14, vcc
	v_cndmask_b32_e32 v16, v16, v20, vcc
	v_lshlrev_b32_e32 v17, 16, v6
	v_bfrev_b32_e32 v18, 60
	v_lshlrev_b32_e32 v16, 20, v16
	v_and_b32_e32 v17, 0x80000000, v17
	v_lshl_add_u32 v14, v14, 23, v18
	v_or3_b32 v16, v17, v14, v16
.LBB581_603:
	s_or_b64 exec, exec, s[10:11]
.LBB581_604:
	s_or_b64 exec, exec, s[8:9]
.LBB581_605:
	s_or_b64 exec, exec, s[2:3]
	s_movk_i32 s2, 0xff
	v_and_b32_sdwa v17, v6, s2 dst_sel:DWORD dst_unused:UNUSED_PAD src0_sel:WORD_1 src1_sel:DWORD
	v_lshrrev_b32_e32 v14, 16, v6
	v_cmp_ne_u16_e32 vcc, 0, v17
	s_and_saveexec_b64 s[2:3], vcc
	s_cbranch_execz .LBB581_611
; %bb.606:
	s_movk_i32 s7, 0x80
	v_cmp_ne_u16_e32 vcc, s7, v17
	v_bfrev_b32_e32 v15, 1
	s_and_saveexec_b64 s[8:9], vcc
	s_cbranch_execz .LBB581_610
; %bb.607:
	v_bfe_u32 v17, v6, 16, 7
	s_movk_i32 s7, 0x7f
	v_cmp_ne_u32_e32 vcc, s7, v17
	v_mov_b32_e32 v15, 0x7f800001
	s_and_saveexec_b64 s[10:11], vcc
	s_cbranch_execz .LBB581_609
; %bb.608:
	v_and_b32_e32 v18, 7, v14
	v_ffbh_u32_e32 v15, v18
	v_min_u32_e32 v21, 32, v15
	v_subrev_u32_e32 v15, 28, v21
	v_lshlrev_b64 v[14:15], v15, v[14:15]
	v_lshrrev_b32_e32 v20, 3, v17
	v_sub_u32_e32 v15, 29, v21
	v_and_b32_e32 v14, 7, v14
	v_cmp_gt_u32_e32 vcc, 8, v17
	v_mov_b32_e32 v17, 24
	v_cndmask_b32_e32 v15, v20, v15, vcc
	v_cndmask_b32_e32 v14, v18, v14, vcc
	v_lshlrev_b32_sdwa v17, v17, v6 dst_sel:DWORD dst_unused:UNUSED_PAD src0_sel:DWORD src1_sel:WORD_1
	v_bfrev_b32_e32 v18, 60
	v_lshlrev_b32_e32 v14, 20, v14
	v_and_b32_e32 v17, 0x80000000, v17
	v_lshl_add_u32 v15, v15, 23, v18
	v_or3_b32 v15, v17, v15, v14
.LBB581_609:
	s_or_b64 exec, exec, s[10:11]
.LBB581_610:
	s_or_b64 exec, exec, s[8:9]
.LBB581_611:
	s_or_b64 exec, exec, s[2:3]
	s_mov_b32 s2, 0xffffff
	v_cmp_lt_u32_e32 vcc, s2, v6
	v_mov_b32_e32 v17, 0
	v_mov_b32_e32 v18, 0
	s_and_saveexec_b64 s[2:3], vcc
	s_cbranch_execz .LBB581_617
; %bb.612:
	v_lshrrev_b32_e32 v14, 24, v6
	s_movk_i32 s7, 0x80
	v_cmp_ne_u32_e32 vcc, s7, v14
	v_bfrev_b32_e32 v18, 1
	s_and_saveexec_b64 s[8:9], vcc
	s_cbranch_execz .LBB581_616
; %bb.613:
	v_bfe_u32 v6, v6, 24, 7
	s_movk_i32 s7, 0x7f
	v_cmp_ne_u32_e32 vcc, s7, v6
	v_mov_b32_e32 v18, 0x7f800001
	s_and_saveexec_b64 s[10:11], vcc
	s_cbranch_execz .LBB581_615
; %bb.614:
	v_and_b32_e32 v18, 7, v14
	v_ffbh_u32_e32 v20, v18
	v_min_u32_e32 v24, 32, v20
	v_subrev_u32_e32 v20, 28, v24
	v_lshlrev_b64 v[20:21], v20, v[14:15]
	v_lshrrev_b32_e32 v23, 3, v6
	v_sub_u32_e32 v21, 29, v24
	v_and_b32_e32 v20, 7, v20
	v_cmp_gt_u32_e32 vcc, 8, v6
	v_cndmask_b32_e32 v6, v23, v21, vcc
	v_cndmask_b32_e32 v18, v18, v20, vcc
	v_lshlrev_b32_e32 v14, 24, v14
	v_bfrev_b32_e32 v20, 60
	v_lshlrev_b32_e32 v18, 20, v18
	v_and_b32_e32 v14, 0x80000000, v14
	v_lshl_add_u32 v6, v6, 23, v20
	v_or3_b32 v18, v14, v6, v18
.LBB581_615:
	s_or_b64 exec, exec, s[10:11]
.LBB581_616:
	s_or_b64 exec, exec, s[8:9]
.LBB581_617:
	s_or_b64 exec, exec, s[2:3]
	v_cmp_ne_u16_sdwa s[8:9], v7, v17 src0_sel:BYTE_0 src1_sel:DWORD
	s_and_saveexec_b64 s[2:3], s[8:9]
	s_cbranch_execz .LBB581_623
; %bb.618:
	s_movk_i32 s7, 0x80
	v_cmp_ne_u16_sdwa s[10:11], v7, s7 src0_sel:BYTE_0 src1_sel:DWORD
	v_bfrev_b32_e32 v17, 1
	s_and_saveexec_b64 s[8:9], s[10:11]
	s_cbranch_execz .LBB581_622
; %bb.619:
	s_movk_i32 s7, 0x7f
	v_and_b32_e32 v6, 0x7f, v7
	v_cmp_ne_u32_e32 vcc, s7, v6
	v_mov_b32_e32 v17, 0x7f800001
	s_and_saveexec_b64 s[10:11], vcc
	s_cbranch_execz .LBB581_621
; %bb.620:
	v_and_b32_e32 v17, 7, v7
	v_ffbh_u32_e32 v20, v17
	v_min_u32_e32 v24, 32, v20
	v_mov_b32_e32 v14, v7
	v_subrev_u32_e32 v20, 28, v24
	v_lshlrev_b64 v[20:21], v20, v[14:15]
	v_lshrrev_b32_e32 v23, 3, v6
	v_sub_u32_e32 v14, 29, v24
	v_and_b32_e32 v20, 7, v20
	v_cmp_gt_u32_e32 vcc, 8, v6
	v_cndmask_b32_e32 v6, v23, v14, vcc
	v_cndmask_b32_e32 v14, v17, v20, vcc
	v_lshlrev_b32_e32 v17, 24, v7
	v_bfrev_b32_e32 v20, 60
	v_lshlrev_b32_e32 v14, 20, v14
	v_and_b32_e32 v17, 0x80000000, v17
	v_lshl_add_u32 v6, v6, 23, v20
	v_or3_b32 v17, v17, v6, v14
.LBB581_621:
	s_or_b64 exec, exec, s[10:11]
.LBB581_622:
	s_or_b64 exec, exec, s[8:9]
.LBB581_623:
	s_or_b64 exec, exec, s[2:3]
	v_lshrrev_b16_e32 v6, 8, v7
	v_cmp_ne_u16_e32 vcc, 0, v6
	v_mov_b32_e32 v20, 0
	v_mov_b32_e32 v21, 0
	s_and_saveexec_b64 s[2:3], vcc
	s_cbranch_execz .LBB581_629
; %bb.624:
	s_movk_i32 s7, 0x80
	v_cmp_ne_u16_e32 vcc, s7, v6
	v_bfrev_b32_e32 v21, 1
	s_and_saveexec_b64 s[8:9], vcc
	s_cbranch_execz .LBB581_628
; %bb.625:
	s_movk_i32 s7, 0x7f
	v_and_b32_e32 v14, 0x7f, v6
	v_cmp_ne_u32_e32 vcc, s7, v14
	v_mov_b32_e32 v21, 0x7f800001
	s_and_saveexec_b64 s[10:11], vcc
	s_cbranch_execz .LBB581_627
; %bb.626:
	v_and_b32_e32 v21, 7, v6
	v_ffbh_u32_e32 v24, v21
	v_min_u32_e32 v27, 32, v24
	v_subrev_u32_e32 v24, 28, v27
	v_lshlrev_b64 v[24:25], v24, v[6:7]
	v_lshrrev_b32_e32 v23, 3, v14
	v_sub_u32_e32 v6, 29, v27
	v_and_b32_e32 v24, 7, v24
	v_cmp_gt_u32_e32 vcc, 8, v14
	v_cndmask_b32_e32 v6, v23, v6, vcc
	v_cndmask_b32_e32 v14, v21, v24, vcc
	v_lshlrev_b32_e32 v21, 16, v7
	v_bfrev_b32_e32 v23, 60
	v_lshlrev_b32_e32 v14, 20, v14
	v_and_b32_e32 v21, 0x80000000, v21
	v_lshl_add_u32 v6, v6, 23, v23
	v_or3_b32 v21, v21, v6, v14
.LBB581_627:
	s_or_b64 exec, exec, s[10:11]
.LBB581_628:
	s_or_b64 exec, exec, s[8:9]
.LBB581_629:
	s_or_b64 exec, exec, s[2:3]
	s_movk_i32 s2, 0xff
	v_and_b32_sdwa v14, v7, s2 dst_sel:DWORD dst_unused:UNUSED_PAD src0_sel:WORD_1 src1_sel:DWORD
	v_lshrrev_b32_e32 v6, 16, v7
	v_cmp_ne_u16_e32 vcc, 0, v14
	s_and_saveexec_b64 s[2:3], vcc
	s_cbranch_execz .LBB581_635
; %bb.630:
	s_movk_i32 s7, 0x80
	v_cmp_ne_u16_e32 vcc, s7, v14
	v_bfrev_b32_e32 v20, 1
	s_and_saveexec_b64 s[8:9], vcc
	s_cbranch_execz .LBB581_634
; %bb.631:
	v_bfe_u32 v14, v7, 16, 7
	s_movk_i32 s7, 0x7f
	v_cmp_ne_u32_e32 vcc, s7, v14
	v_mov_b32_e32 v20, 0x7f800001
	s_and_saveexec_b64 s[10:11], vcc
	s_cbranch_execz .LBB581_633
; %bb.632:
	v_and_b32_e32 v20, 7, v6
	v_ffbh_u32_e32 v24, v20
	v_min_u32_e32 v27, 32, v24
	v_subrev_u32_e32 v24, 28, v27
	v_lshlrev_b64 v[24:25], v24, v[6:7]
	v_and_b32_e32 v24, 7, v24
	v_cmp_gt_u32_e32 vcc, 8, v14
	v_lshrrev_b32_e32 v23, 3, v14
	v_sub_u32_e32 v6, 29, v27
	v_cndmask_b32_e32 v14, v20, v24, vcc
	v_mov_b32_e32 v20, 24
	v_cndmask_b32_e32 v6, v23, v6, vcc
	v_lshlrev_b32_sdwa v20, v20, v7 dst_sel:DWORD dst_unused:UNUSED_PAD src0_sel:DWORD src1_sel:WORD_1
	v_bfrev_b32_e32 v23, 60
	v_lshlrev_b32_e32 v14, 20, v14
	v_and_b32_e32 v20, 0x80000000, v20
	v_lshl_add_u32 v6, v6, 23, v23
	v_or3_b32 v20, v20, v6, v14
.LBB581_633:
	s_or_b64 exec, exec, s[10:11]
.LBB581_634:
	s_or_b64 exec, exec, s[8:9]
.LBB581_635:
	s_or_b64 exec, exec, s[2:3]
	s_mov_b32 s2, 0xffffff
	v_cmp_lt_u32_e32 vcc, s2, v7
	v_mov_b32_e32 v14, 0
	v_mov_b32_e32 v23, 0
	s_and_saveexec_b64 s[2:3], vcc
	s_cbranch_execz .LBB581_641
; %bb.636:
	v_lshrrev_b32_e32 v6, 24, v7
	s_movk_i32 s7, 0x80
	v_cmp_ne_u32_e32 vcc, s7, v6
	v_bfrev_b32_e32 v23, 1
	s_and_saveexec_b64 s[8:9], vcc
	s_cbranch_execz .LBB581_640
; %bb.637:
	v_bfe_u32 v7, v7, 24, 7
	s_movk_i32 s7, 0x7f
	v_cmp_ne_u32_e32 vcc, s7, v7
	v_mov_b32_e32 v23, 0x7f800001
	s_and_saveexec_b64 s[10:11], vcc
	s_cbranch_execz .LBB581_639
; %bb.638:
	v_and_b32_e32 v23, 7, v6
	v_ffbh_u32_e32 v24, v23
	v_min_u32_e32 v28, 32, v24
	v_subrev_u32_e32 v24, 28, v28
	v_lshlrev_b64 v[24:25], v24, v[6:7]
	v_lshrrev_b32_e32 v27, 3, v7
	v_sub_u32_e32 v25, 29, v28
	v_and_b32_e32 v24, 7, v24
	v_cmp_gt_u32_e32 vcc, 8, v7
	v_cndmask_b32_e32 v7, v27, v25, vcc
	v_cndmask_b32_e32 v23, v23, v24, vcc
	v_lshlrev_b32_e32 v6, 24, v6
	v_bfrev_b32_e32 v24, 60
	v_lshlrev_b32_e32 v23, 20, v23
	v_and_b32_e32 v6, 0x80000000, v6
	v_lshl_add_u32 v7, v7, 23, v24
	v_or3_b32 v23, v6, v7, v23
.LBB581_639:
	s_or_b64 exec, exec, s[10:11]
.LBB581_640:
	s_or_b64 exec, exec, s[8:9]
.LBB581_641:
	s_or_b64 exec, exec, s[2:3]
	v_cvt_pkrtz_f16_f32 v6, v19, v16
	v_cvt_pkrtz_f16_f32 v7, v15, v18
	ds_read_b128 v[28:31], v22 offset:4096
	v_cmp_ne_u16_sdwa s[8:9], v8, v14 src0_sel:BYTE_0 src1_sel:DWORD
	s_waitcnt lgkmcnt(0)
	v_mfma_f32_16x16x16f16 v[10:13], v[6:7], v[28:29], v[10:13]
	v_cvt_pkrtz_f16_f32 v6, v17, v21
	v_cvt_pkrtz_f16_f32 v7, v20, v23
	s_nop 1
	v_mfma_f32_16x16x16f16 v[10:13], v[6:7], v[30:31], v[10:13]
	s_and_saveexec_b64 s[2:3], s[8:9]
	s_cbranch_execz .LBB581_647
; %bb.642:
	s_movk_i32 s7, 0x80
	v_cmp_ne_u16_sdwa s[10:11], v8, s7 src0_sel:BYTE_0 src1_sel:DWORD
	v_bfrev_b32_e32 v14, 1
	s_and_saveexec_b64 s[8:9], s[10:11]
	s_cbranch_execz .LBB581_646
; %bb.643:
	s_movk_i32 s7, 0x7f
	v_and_b32_e32 v6, 0x7f, v8
	v_cmp_ne_u32_e32 vcc, s7, v6
	v_mov_b32_e32 v14, 0x7f800001
	s_and_saveexec_b64 s[10:11], vcc
	s_cbranch_execz .LBB581_645
; %bb.644:
	v_and_b32_e32 v7, 7, v8
	v_ffbh_u32_e32 v14, v7
	v_min_u32_e32 v17, 32, v14
	v_subrev_u32_e32 v14, 28, v17
	v_lshlrev_b64 v[14:15], v14, v[8:9]
	v_lshrrev_b32_e32 v16, 3, v6
	v_sub_u32_e32 v15, 29, v17
	v_and_b32_e32 v14, 7, v14
	v_cmp_gt_u32_e32 vcc, 8, v6
	v_cndmask_b32_e32 v6, v16, v15, vcc
	v_cndmask_b32_e32 v7, v7, v14, vcc
	v_lshlrev_b32_e32 v14, 24, v8
	v_bfrev_b32_e32 v15, 60
	v_lshlrev_b32_e32 v7, 20, v7
	v_and_b32_e32 v14, 0x80000000, v14
	v_lshl_add_u32 v6, v6, 23, v15
	v_or3_b32 v14, v14, v6, v7
.LBB581_645:
	s_or_b64 exec, exec, s[10:11]
.LBB581_646:
	s_or_b64 exec, exec, s[8:9]
.LBB581_647:
	s_or_b64 exec, exec, s[2:3]
	v_lshrrev_b16_e32 v6, 8, v8
	v_cmp_ne_u16_e32 vcc, 0, v6
	v_mov_b32_e32 v7, 0
	v_mov_b32_e32 v16, 0
	s_and_saveexec_b64 s[2:3], vcc
	s_cbranch_execz .LBB581_653
; %bb.648:
	s_movk_i32 s7, 0x80
	v_cmp_ne_u16_e32 vcc, s7, v6
	v_bfrev_b32_e32 v16, 1
	s_and_saveexec_b64 s[8:9], vcc
	s_cbranch_execz .LBB581_652
; %bb.649:
	s_movk_i32 s7, 0x7f
	v_and_b32_e32 v15, 0x7f, v6
	v_cmp_ne_u32_e32 vcc, s7, v15
	v_mov_b32_e32 v16, 0x7f800001
	s_and_saveexec_b64 s[10:11], vcc
	s_cbranch_execz .LBB581_651
; %bb.650:
	v_and_b32_e32 v18, 7, v6
	v_ffbh_u32_e32 v16, v18
	v_min_u32_e32 v20, 32, v16
	v_subrev_u32_e32 v16, 28, v20
	v_lshlrev_b64 v[16:17], v16, v[6:7]
	v_lshrrev_b32_e32 v19, 3, v15
	v_sub_u32_e32 v6, 29, v20
	v_and_b32_e32 v16, 7, v16
	v_cmp_gt_u32_e32 vcc, 8, v15
	v_cndmask_b32_e32 v6, v19, v6, vcc
	v_cndmask_b32_e32 v15, v18, v16, vcc
	v_lshlrev_b32_e32 v16, 16, v8
	v_bfrev_b32_e32 v17, 60
	v_lshlrev_b32_e32 v15, 20, v15
	v_and_b32_e32 v16, 0x80000000, v16
	v_lshl_add_u32 v6, v6, 23, v17
	v_or3_b32 v16, v16, v6, v15
.LBB581_651:
	s_or_b64 exec, exec, s[10:11]
.LBB581_652:
	s_or_b64 exec, exec, s[8:9]
.LBB581_653:
	s_or_b64 exec, exec, s[2:3]
	s_movk_i32 s2, 0xff
	v_and_b32_sdwa v15, v8, s2 dst_sel:DWORD dst_unused:UNUSED_PAD src0_sel:WORD_1 src1_sel:DWORD
	v_lshrrev_b32_e32 v6, 16, v8
	v_cmp_ne_u16_e32 vcc, 0, v15
	s_and_saveexec_b64 s[2:3], vcc
	s_cbranch_execz .LBB581_659
; %bb.654:
	s_movk_i32 s7, 0x80
	v_cmp_ne_u16_e32 vcc, s7, v15
	v_bfrev_b32_e32 v7, 1
	s_and_saveexec_b64 s[8:9], vcc
	s_cbranch_execz .LBB581_658
; %bb.655:
	v_bfe_u32 v15, v8, 16, 7
	s_movk_i32 s7, 0x7f
	v_cmp_ne_u32_e32 vcc, s7, v15
	v_mov_b32_e32 v7, 0x7f800001
	s_and_saveexec_b64 s[10:11], vcc
	s_cbranch_execz .LBB581_657
; %bb.656:
	v_and_b32_e32 v17, 7, v6
	v_ffbh_u32_e32 v7, v17
	v_min_u32_e32 v19, 32, v7
	v_subrev_u32_e32 v7, 28, v19
	v_lshlrev_b64 v[6:7], v7, v[6:7]
	v_lshrrev_b32_e32 v18, 3, v15
	v_sub_u32_e32 v7, 29, v19
	v_and_b32_e32 v6, 7, v6
	v_cmp_gt_u32_e32 vcc, 8, v15
	v_mov_b32_e32 v15, 24
	v_cndmask_b32_e32 v7, v18, v7, vcc
	v_cndmask_b32_e32 v6, v17, v6, vcc
	v_lshlrev_b32_sdwa v15, v15, v8 dst_sel:DWORD dst_unused:UNUSED_PAD src0_sel:DWORD src1_sel:WORD_1
	v_bfrev_b32_e32 v17, 60
	v_lshlrev_b32_e32 v6, 20, v6
	v_and_b32_e32 v15, 0x80000000, v15
	v_lshl_add_u32 v7, v7, 23, v17
	v_or3_b32 v7, v15, v7, v6
.LBB581_657:
	s_or_b64 exec, exec, s[10:11]
.LBB581_658:
	s_or_b64 exec, exec, s[8:9]
.LBB581_659:
	s_or_b64 exec, exec, s[2:3]
	s_mov_b32 s2, 0xffffff
	v_cmp_lt_u32_e32 vcc, s2, v8
	v_mov_b32_e32 v17, 0
	v_mov_b32_e32 v18, 0
	s_and_saveexec_b64 s[2:3], vcc
	s_cbranch_execz .LBB581_665
; %bb.660:
	v_lshrrev_b32_e32 v6, 24, v8
	s_movk_i32 s7, 0x80
	v_cmp_ne_u32_e32 vcc, s7, v6
	v_bfrev_b32_e32 v18, 1
	s_and_saveexec_b64 s[8:9], vcc
	s_cbranch_execz .LBB581_664
; %bb.661:
	v_bfe_u32 v8, v8, 24, 7
	s_movk_i32 s7, 0x7f
	v_cmp_ne_u32_e32 vcc, s7, v8
	v_mov_b32_e32 v18, 0x7f800001
	s_and_saveexec_b64 s[10:11], vcc
	s_cbranch_execz .LBB581_663
; %bb.662:
	v_and_b32_e32 v15, 7, v6
	v_ffbh_u32_e32 v18, v15
	v_min_u32_e32 v21, 32, v18
	v_subrev_u32_e32 v18, 28, v21
	v_lshlrev_b64 v[18:19], v18, v[6:7]
	v_lshrrev_b32_e32 v20, 3, v8
	v_sub_u32_e32 v19, 29, v21
	v_and_b32_e32 v18, 7, v18
	v_cmp_gt_u32_e32 vcc, 8, v8
	v_cndmask_b32_e32 v8, v20, v19, vcc
	v_cndmask_b32_e32 v15, v15, v18, vcc
	v_lshlrev_b32_e32 v6, 24, v6
	v_bfrev_b32_e32 v18, 60
	v_lshlrev_b32_e32 v15, 20, v15
	v_and_b32_e32 v6, 0x80000000, v6
	v_lshl_add_u32 v8, v8, 23, v18
	v_or3_b32 v18, v6, v8, v15
.LBB581_663:
	s_or_b64 exec, exec, s[10:11]
.LBB581_664:
	s_or_b64 exec, exec, s[8:9]
.LBB581_665:
	s_or_b64 exec, exec, s[2:3]
	v_cmp_ne_u16_sdwa s[8:9], v9, v17 src0_sel:BYTE_0 src1_sel:DWORD
	s_and_saveexec_b64 s[2:3], s[8:9]
	s_cbranch_execz .LBB581_671
; %bb.666:
	s_movk_i32 s7, 0x80
	v_cmp_ne_u16_sdwa s[10:11], v9, s7 src0_sel:BYTE_0 src1_sel:DWORD
	v_bfrev_b32_e32 v17, 1
	s_and_saveexec_b64 s[8:9], s[10:11]
	s_cbranch_execz .LBB581_670
; %bb.667:
	s_movk_i32 s7, 0x7f
	v_and_b32_e32 v6, 0x7f, v9
	v_cmp_ne_u32_e32 vcc, s7, v6
	v_mov_b32_e32 v17, 0x7f800001
	s_and_saveexec_b64 s[10:11], vcc
	s_cbranch_execz .LBB581_669
; %bb.668:
	v_and_b32_e32 v15, 7, v9
	v_ffbh_u32_e32 v19, v15
	v_min_u32_e32 v19, 32, v19
	v_mov_b32_e32 v8, v9
	v_subrev_u32_e32 v20, 28, v19
	v_lshlrev_b64 v[20:21], v20, v[8:9]
	v_lshrrev_b32_e32 v17, 3, v6
	v_sub_u32_e32 v8, 29, v19
	v_and_b32_e32 v19, 7, v20
	v_cmp_gt_u32_e32 vcc, 8, v6
	v_cndmask_b32_e32 v6, v17, v8, vcc
	v_cndmask_b32_e32 v8, v15, v19, vcc
	v_lshlrev_b32_e32 v15, 24, v9
	v_bfrev_b32_e32 v17, 60
	v_lshlrev_b32_e32 v8, 20, v8
	v_and_b32_e32 v15, 0x80000000, v15
	v_lshl_add_u32 v6, v6, 23, v17
	v_or3_b32 v17, v15, v6, v8
.LBB581_669:
	s_or_b64 exec, exec, s[10:11]
.LBB581_670:
	s_or_b64 exec, exec, s[8:9]
.LBB581_671:
	s_or_b64 exec, exec, s[2:3]
	v_lshrrev_b16_e32 v6, 8, v9
	v_cmp_ne_u16_e32 vcc, 0, v6
	v_mov_b32_e32 v8, 0
	v_mov_b32_e32 v19, 0
	s_and_saveexec_b64 s[2:3], vcc
	s_cbranch_execz .LBB581_677
; %bb.672:
	s_movk_i32 s7, 0x80
	v_cmp_ne_u16_e32 vcc, s7, v6
	v_bfrev_b32_e32 v19, 1
	s_and_saveexec_b64 s[8:9], vcc
	s_cbranch_execz .LBB581_676
; %bb.673:
	s_movk_i32 s7, 0x7f
	v_and_b32_e32 v15, 0x7f, v6
	v_cmp_ne_u32_e32 vcc, s7, v15
	v_mov_b32_e32 v19, 0x7f800001
	s_and_saveexec_b64 s[10:11], vcc
	s_cbranch_execz .LBB581_675
; %bb.674:
	v_and_b32_e32 v19, 7, v6
	v_ffbh_u32_e32 v20, v19
	v_min_u32_e32 v24, 32, v20
	v_subrev_u32_e32 v20, 28, v24
	v_lshlrev_b64 v[20:21], v20, v[6:7]
	v_lshrrev_b32_e32 v23, 3, v15
	v_sub_u32_e32 v6, 29, v24
	v_and_b32_e32 v20, 7, v20
	v_cmp_gt_u32_e32 vcc, 8, v15
	v_cndmask_b32_e32 v6, v23, v6, vcc
	v_cndmask_b32_e32 v15, v19, v20, vcc
	v_lshlrev_b32_e32 v19, 16, v9
	v_bfrev_b32_e32 v20, 60
	v_lshlrev_b32_e32 v15, 20, v15
	v_and_b32_e32 v19, 0x80000000, v19
	v_lshl_add_u32 v6, v6, 23, v20
	v_or3_b32 v19, v19, v6, v15
.LBB581_675:
	s_or_b64 exec, exec, s[10:11]
.LBB581_676:
	s_or_b64 exec, exec, s[8:9]
.LBB581_677:
	s_or_b64 exec, exec, s[2:3]
	s_movk_i32 s2, 0xff
	v_and_b32_sdwa v15, v9, s2 dst_sel:DWORD dst_unused:UNUSED_PAD src0_sel:WORD_1 src1_sel:DWORD
	v_lshrrev_b32_e32 v6, 16, v9
	v_cmp_ne_u16_e32 vcc, 0, v15
	s_and_saveexec_b64 s[2:3], vcc
	s_cbranch_execz .LBB581_683
; %bb.678:
	s_movk_i32 s7, 0x80
	v_cmp_ne_u16_e32 vcc, s7, v15
	v_bfrev_b32_e32 v8, 1
	s_and_saveexec_b64 s[8:9], vcc
	s_cbranch_execz .LBB581_682
; %bb.679:
	v_bfe_u32 v15, v9, 16, 7
	s_movk_i32 s7, 0x7f
	v_cmp_ne_u32_e32 vcc, s7, v15
	v_mov_b32_e32 v8, 0x7f800001
	s_and_saveexec_b64 s[10:11], vcc
	s_cbranch_execz .LBB581_681
; %bb.680:
	v_and_b32_e32 v8, 7, v6
	v_ffbh_u32_e32 v20, v8
	v_min_u32_e32 v24, 32, v20
	v_subrev_u32_e32 v20, 28, v24
	v_lshlrev_b64 v[20:21], v20, v[6:7]
	v_lshrrev_b32_e32 v23, 3, v15
	v_sub_u32_e32 v6, 29, v24
	v_and_b32_e32 v20, 7, v20
	v_cmp_gt_u32_e32 vcc, 8, v15
	v_mov_b32_e32 v15, 24
	v_cndmask_b32_e32 v6, v23, v6, vcc
	v_cndmask_b32_e32 v8, v8, v20, vcc
	v_lshlrev_b32_sdwa v15, v15, v9 dst_sel:DWORD dst_unused:UNUSED_PAD src0_sel:DWORD src1_sel:WORD_1
	v_bfrev_b32_e32 v20, 60
	v_lshlrev_b32_e32 v8, 20, v8
	v_and_b32_e32 v15, 0x80000000, v15
	v_lshl_add_u32 v6, v6, 23, v20
	v_or3_b32 v8, v15, v6, v8
.LBB581_681:
	s_or_b64 exec, exec, s[10:11]
.LBB581_682:
	s_or_b64 exec, exec, s[8:9]
.LBB581_683:
	s_or_b64 exec, exec, s[2:3]
	s_mov_b32 s2, 0xffffff
	v_cmp_lt_u32_e32 vcc, s2, v9
	v_mov_b32_e32 v15, 0
	v_mov_b32_e32 v20, 0
	s_and_saveexec_b64 s[2:3], vcc
	s_cbranch_execz .LBB581_689
; %bb.684:
	v_lshrrev_b32_e32 v6, 24, v9
	s_movk_i32 s7, 0x80
	v_cmp_ne_u32_e32 vcc, s7, v6
	v_bfrev_b32_e32 v20, 1
	s_and_saveexec_b64 s[8:9], vcc
	s_cbranch_execz .LBB581_688
; %bb.685:
	v_bfe_u32 v9, v9, 24, 7
	s_movk_i32 s7, 0x7f
	v_cmp_ne_u32_e32 vcc, s7, v9
	v_mov_b32_e32 v20, 0x7f800001
	s_and_saveexec_b64 s[10:11], vcc
	s_cbranch_execz .LBB581_687
; %bb.686:
	v_and_b32_e32 v23, 7, v6
	v_ffbh_u32_e32 v20, v23
	v_min_u32_e32 v25, 32, v20
	v_subrev_u32_e32 v20, 28, v25
	v_lshlrev_b64 v[20:21], v20, v[6:7]
	v_lshrrev_b32_e32 v24, 3, v9
	v_sub_u32_e32 v21, 29, v25
	v_and_b32_e32 v20, 7, v20
	v_cmp_gt_u32_e32 vcc, 8, v9
	v_cndmask_b32_e32 v9, v24, v21, vcc
	v_cndmask_b32_e32 v20, v23, v20, vcc
	v_lshlrev_b32_e32 v6, 24, v6
	v_bfrev_b32_e32 v21, 60
	v_lshlrev_b32_e32 v20, 20, v20
	v_and_b32_e32 v6, 0x80000000, v6
	v_lshl_add_u32 v9, v9, 23, v21
	v_or3_b32 v20, v6, v9, v20
.LBB581_687:
	s_or_b64 exec, exec, s[10:11]
.LBB581_688:
	s_or_b64 exec, exec, s[8:9]
.LBB581_689:
	s_or_b64 exec, exec, s[2:3]
	v_cvt_pkrtz_f16_f32 v6, v14, v16
	v_cvt_pkrtz_f16_f32 v7, v7, v18
	ds_read_b128 v[28:31], v22 offset:4112
	s_waitcnt vmcnt(0)
	v_cmp_ne_u16_sdwa s[8:9], v2, v15 src0_sel:BYTE_0 src1_sel:DWORD
	s_waitcnt lgkmcnt(0)
	v_mfma_f32_16x16x16f16 v[10:13], v[6:7], v[28:29], v[10:13]
	v_cvt_pkrtz_f16_f32 v6, v17, v19
	v_cvt_pkrtz_f16_f32 v7, v8, v20
	s_nop 1
	v_mfma_f32_16x16x16f16 v[6:9], v[6:7], v[30:31], v[10:13]
	s_and_saveexec_b64 s[2:3], s[8:9]
	s_cbranch_execz .LBB581_695
; %bb.690:
	s_movk_i32 s7, 0x80
	v_cmp_ne_u16_sdwa s[10:11], v2, s7 src0_sel:BYTE_0 src1_sel:DWORD
	v_bfrev_b32_e32 v15, 1
	s_and_saveexec_b64 s[8:9], s[10:11]
	s_cbranch_execz .LBB581_694
; %bb.691:
	s_movk_i32 s7, 0x7f
	v_and_b32_e32 v10, 0x7f, v2
	v_cmp_ne_u32_e32 vcc, s7, v10
	v_mov_b32_e32 v15, 0x7f800001
	s_and_saveexec_b64 s[10:11], vcc
	s_cbranch_execz .LBB581_693
; %bb.692:
	v_and_b32_e32 v11, 7, v2
	v_ffbh_u32_e32 v12, v11
	v_min_u32_e32 v15, 32, v12
	v_subrev_u32_e32 v12, 28, v15
	v_lshlrev_b64 v[12:13], v12, v[2:3]
	v_lshrrev_b32_e32 v14, 3, v10
	v_sub_u32_e32 v13, 29, v15
	v_and_b32_e32 v12, 7, v12
	v_cmp_gt_u32_e32 vcc, 8, v10
	v_cndmask_b32_e32 v10, v14, v13, vcc
	v_cndmask_b32_e32 v11, v11, v12, vcc
	v_lshlrev_b32_e32 v12, 24, v2
	v_bfrev_b32_e32 v13, 60
	v_lshlrev_b32_e32 v11, 20, v11
	v_and_b32_e32 v12, 0x80000000, v12
	v_lshl_add_u32 v10, v10, 23, v13
	v_or3_b32 v15, v12, v10, v11
.LBB581_693:
	s_or_b64 exec, exec, s[10:11]
.LBB581_694:
	s_or_b64 exec, exec, s[8:9]
.LBB581_695:
	s_or_b64 exec, exec, s[2:3]
	s_nop 3
	v_lshrrev_b16_e32 v10, 8, v2
	v_cmp_ne_u16_e32 vcc, 0, v10
	v_mov_b32_e32 v11, 0
	v_mov_b32_e32 v12, 0
	s_and_saveexec_b64 s[2:3], vcc
	s_cbranch_execz .LBB581_701
; %bb.696:
	s_movk_i32 s7, 0x80
	v_cmp_ne_u16_e32 vcc, s7, v10
	v_bfrev_b32_e32 v12, 1
	s_and_saveexec_b64 s[8:9], vcc
	s_cbranch_execz .LBB581_700
; %bb.697:
	s_movk_i32 s7, 0x7f
	v_and_b32_e32 v13, 0x7f, v10
	v_cmp_ne_u32_e32 vcc, s7, v13
	v_mov_b32_e32 v12, 0x7f800001
	s_and_saveexec_b64 s[10:11], vcc
	s_cbranch_execz .LBB581_699
; %bb.698:
	v_and_b32_e32 v12, 7, v10
	v_ffbh_u32_e32 v16, v12
	v_min_u32_e32 v18, 32, v16
	v_subrev_u32_e32 v16, 28, v18
	v_lshlrev_b64 v[16:17], v16, v[10:11]
	v_lshrrev_b32_e32 v14, 3, v13
	v_sub_u32_e32 v10, 29, v18
	v_and_b32_e32 v16, 7, v16
	v_cmp_gt_u32_e32 vcc, 8, v13
	v_cndmask_b32_e32 v10, v14, v10, vcc
	v_cndmask_b32_e32 v12, v12, v16, vcc
	v_lshlrev_b32_e32 v13, 16, v2
	v_bfrev_b32_e32 v14, 60
	v_lshlrev_b32_e32 v12, 20, v12
	v_and_b32_e32 v13, 0x80000000, v13
	v_lshl_add_u32 v10, v10, 23, v14
	v_or3_b32 v12, v13, v10, v12
.LBB581_699:
	s_or_b64 exec, exec, s[10:11]
.LBB581_700:
	s_or_b64 exec, exec, s[8:9]
.LBB581_701:
	s_or_b64 exec, exec, s[2:3]
	s_movk_i32 s2, 0xff
	v_and_b32_sdwa v13, v2, s2 dst_sel:DWORD dst_unused:UNUSED_PAD src0_sel:WORD_1 src1_sel:DWORD
	v_lshrrev_b32_e32 v10, 16, v2
	v_cmp_ne_u16_e32 vcc, 0, v13
	s_and_saveexec_b64 s[2:3], vcc
	s_cbranch_execz .LBB581_707
; %bb.702:
	s_movk_i32 s7, 0x80
	v_cmp_ne_u16_e32 vcc, s7, v13
	v_bfrev_b32_e32 v11, 1
	s_and_saveexec_b64 s[8:9], vcc
	s_cbranch_execz .LBB581_706
; %bb.703:
	v_bfe_u32 v13, v2, 16, 7
	s_movk_i32 s7, 0x7f
	v_cmp_ne_u32_e32 vcc, s7, v13
	v_mov_b32_e32 v11, 0x7f800001
	s_and_saveexec_b64 s[10:11], vcc
	s_cbranch_execz .LBB581_705
; %bb.704:
	v_and_b32_e32 v14, 7, v10
	v_ffbh_u32_e32 v11, v14
	v_min_u32_e32 v17, 32, v11
	v_subrev_u32_e32 v11, 28, v17
	v_lshlrev_b64 v[10:11], v11, v[10:11]
	v_lshrrev_b32_e32 v16, 3, v13
	v_sub_u32_e32 v11, 29, v17
	v_and_b32_e32 v10, 7, v10
	v_cmp_gt_u32_e32 vcc, 8, v13
	v_mov_b32_e32 v13, 24
	v_cndmask_b32_e32 v11, v16, v11, vcc
	v_cndmask_b32_e32 v10, v14, v10, vcc
	v_lshlrev_b32_sdwa v13, v13, v2 dst_sel:DWORD dst_unused:UNUSED_PAD src0_sel:DWORD src1_sel:WORD_1
	v_bfrev_b32_e32 v14, 60
	v_lshlrev_b32_e32 v10, 20, v10
	v_and_b32_e32 v13, 0x80000000, v13
	v_lshl_add_u32 v11, v11, 23, v14
	v_or3_b32 v11, v13, v11, v10
.LBB581_705:
	s_or_b64 exec, exec, s[10:11]
.LBB581_706:
	s_or_b64 exec, exec, s[8:9]
.LBB581_707:
	s_or_b64 exec, exec, s[2:3]
	s_mov_b32 s2, 0xffffff
	v_cmp_lt_u32_e32 vcc, s2, v2
	v_mov_b32_e32 v13, 0
	v_mov_b32_e32 v14, 0
	s_and_saveexec_b64 s[2:3], vcc
	s_cbranch_execz .LBB581_713
; %bb.708:
	v_lshrrev_b32_e32 v10, 24, v2
	s_movk_i32 s7, 0x80
	v_cmp_ne_u32_e32 vcc, s7, v10
	v_bfrev_b32_e32 v14, 1
	s_and_saveexec_b64 s[8:9], vcc
	s_cbranch_execz .LBB581_712
; %bb.709:
	v_bfe_u32 v2, v2, 24, 7
	s_movk_i32 s7, 0x7f
	v_cmp_ne_u32_e32 vcc, s7, v2
	v_mov_b32_e32 v14, 0x7f800001
	s_and_saveexec_b64 s[10:11], vcc
	s_cbranch_execz .LBB581_711
; %bb.710:
	v_and_b32_e32 v14, 7, v10
	v_ffbh_u32_e32 v16, v14
	v_min_u32_e32 v19, 32, v16
	v_subrev_u32_e32 v16, 28, v19
	v_lshlrev_b64 v[16:17], v16, v[10:11]
	v_lshrrev_b32_e32 v18, 3, v2
	v_sub_u32_e32 v17, 29, v19
	v_and_b32_e32 v16, 7, v16
	v_cmp_gt_u32_e32 vcc, 8, v2
	v_cndmask_b32_e32 v2, v18, v17, vcc
	v_cndmask_b32_e32 v14, v14, v16, vcc
	v_lshlrev_b32_e32 v10, 24, v10
	v_bfrev_b32_e32 v16, 60
	v_lshlrev_b32_e32 v14, 20, v14
	v_and_b32_e32 v10, 0x80000000, v10
	v_lshl_add_u32 v2, v2, 23, v16
	v_or3_b32 v14, v10, v2, v14
.LBB581_711:
	s_or_b64 exec, exec, s[10:11]
.LBB581_712:
	s_or_b64 exec, exec, s[8:9]
.LBB581_713:
	s_or_b64 exec, exec, s[2:3]
	v_cmp_ne_u16_sdwa s[8:9], v3, v13 src0_sel:BYTE_0 src1_sel:DWORD
	s_and_saveexec_b64 s[2:3], s[8:9]
	s_cbranch_execz .LBB581_719
; %bb.714:
	s_movk_i32 s7, 0x80
	v_cmp_ne_u16_sdwa s[10:11], v3, s7 src0_sel:BYTE_0 src1_sel:DWORD
	v_bfrev_b32_e32 v13, 1
	s_and_saveexec_b64 s[8:9], s[10:11]
	s_cbranch_execz .LBB581_718
; %bb.715:
	s_movk_i32 s7, 0x7f
	v_and_b32_e32 v2, 0x7f, v3
	v_cmp_ne_u32_e32 vcc, s7, v2
	v_mov_b32_e32 v13, 0x7f800001
	s_and_saveexec_b64 s[10:11], vcc
	s_cbranch_execz .LBB581_717
; %bb.716:
	v_and_b32_e32 v13, 7, v3
	v_ffbh_u32_e32 v16, v13
	v_min_u32_e32 v19, 32, v16
	v_mov_b32_e32 v10, v3
	v_subrev_u32_e32 v16, 28, v19
	v_lshlrev_b64 v[16:17], v16, v[10:11]
	v_lshrrev_b32_e32 v18, 3, v2
	v_sub_u32_e32 v10, 29, v19
	v_and_b32_e32 v16, 7, v16
	v_cmp_gt_u32_e32 vcc, 8, v2
	v_cndmask_b32_e32 v2, v18, v10, vcc
	v_cndmask_b32_e32 v10, v13, v16, vcc
	v_lshlrev_b32_e32 v13, 24, v3
	v_bfrev_b32_e32 v16, 60
	v_lshlrev_b32_e32 v10, 20, v10
	v_and_b32_e32 v13, 0x80000000, v13
	v_lshl_add_u32 v2, v2, 23, v16
	v_or3_b32 v13, v13, v2, v10
.LBB581_717:
	s_or_b64 exec, exec, s[10:11]
.LBB581_718:
	s_or_b64 exec, exec, s[8:9]
.LBB581_719:
	s_or_b64 exec, exec, s[2:3]
	v_lshrrev_b16_e32 v2, 8, v3
	v_cmp_ne_u16_e32 vcc, 0, v2
	v_mov_b32_e32 v16, 0
	v_mov_b32_e32 v17, 0
	s_and_saveexec_b64 s[2:3], vcc
	s_cbranch_execz .LBB581_725
; %bb.720:
	s_movk_i32 s7, 0x80
	v_cmp_ne_u16_e32 vcc, s7, v2
	v_bfrev_b32_e32 v17, 1
	s_and_saveexec_b64 s[8:9], vcc
	s_cbranch_execz .LBB581_724
; %bb.721:
	s_movk_i32 s7, 0x7f
	v_and_b32_e32 v10, 0x7f, v2
	v_cmp_ne_u32_e32 vcc, s7, v10
	v_mov_b32_e32 v17, 0x7f800001
	s_and_saveexec_b64 s[10:11], vcc
	s_cbranch_execz .LBB581_723
; %bb.722:
	v_and_b32_e32 v17, 7, v2
	v_ffbh_u32_e32 v18, v17
	v_min_u32_e32 v21, 32, v18
	v_subrev_u32_e32 v18, 28, v21
	v_lshlrev_b64 v[18:19], v18, v[2:3]
	v_lshrrev_b32_e32 v20, 3, v10
	v_sub_u32_e32 v2, 29, v21
	v_and_b32_e32 v18, 7, v18
	v_cmp_gt_u32_e32 vcc, 8, v10
	v_cndmask_b32_e32 v2, v20, v2, vcc
	v_cndmask_b32_e32 v10, v17, v18, vcc
	v_lshlrev_b32_e32 v17, 16, v3
	v_bfrev_b32_e32 v18, 60
	v_lshlrev_b32_e32 v10, 20, v10
	v_and_b32_e32 v17, 0x80000000, v17
	v_lshl_add_u32 v2, v2, 23, v18
	v_or3_b32 v17, v17, v2, v10
.LBB581_723:
	s_or_b64 exec, exec, s[10:11]
.LBB581_724:
	s_or_b64 exec, exec, s[8:9]
.LBB581_725:
	s_or_b64 exec, exec, s[2:3]
	s_movk_i32 s2, 0xff
	v_and_b32_sdwa v10, v3, s2 dst_sel:DWORD dst_unused:UNUSED_PAD src0_sel:WORD_1 src1_sel:DWORD
	v_lshrrev_b32_e32 v2, 16, v3
	v_cmp_ne_u16_e32 vcc, 0, v10
	s_and_saveexec_b64 s[2:3], vcc
	s_cbranch_execz .LBB581_731
; %bb.726:
	s_movk_i32 s7, 0x80
	v_cmp_ne_u16_e32 vcc, s7, v10
	v_bfrev_b32_e32 v16, 1
	s_and_saveexec_b64 s[8:9], vcc
	s_cbranch_execz .LBB581_730
; %bb.727:
	v_bfe_u32 v10, v3, 16, 7
	s_movk_i32 s7, 0x7f
	v_cmp_ne_u32_e32 vcc, s7, v10
	v_mov_b32_e32 v16, 0x7f800001
	s_and_saveexec_b64 s[10:11], vcc
	s_cbranch_execz .LBB581_729
; %bb.728:
	v_and_b32_e32 v16, 7, v2
	v_ffbh_u32_e32 v18, v16
	v_min_u32_e32 v21, 32, v18
	v_subrev_u32_e32 v18, 28, v21
	v_lshlrev_b64 v[18:19], v18, v[2:3]
	v_and_b32_e32 v18, 7, v18
	v_cmp_gt_u32_e32 vcc, 8, v10
	v_lshrrev_b32_e32 v20, 3, v10
	v_sub_u32_e32 v2, 29, v21
	v_cndmask_b32_e32 v10, v16, v18, vcc
	v_mov_b32_e32 v16, 24
	v_cndmask_b32_e32 v2, v20, v2, vcc
	v_lshlrev_b32_sdwa v16, v16, v3 dst_sel:DWORD dst_unused:UNUSED_PAD src0_sel:DWORD src1_sel:WORD_1
	v_bfrev_b32_e32 v18, 60
	v_lshlrev_b32_e32 v10, 20, v10
	v_and_b32_e32 v16, 0x80000000, v16
	v_lshl_add_u32 v2, v2, 23, v18
	v_or3_b32 v16, v16, v2, v10
.LBB581_729:
	s_or_b64 exec, exec, s[10:11]
.LBB581_730:
	s_or_b64 exec, exec, s[8:9]
.LBB581_731:
	s_or_b64 exec, exec, s[2:3]
	s_mov_b32 s2, 0xffffff
	v_cmp_lt_u32_e32 vcc, s2, v3
	v_mov_b32_e32 v10, 0
	v_mov_b32_e32 v18, 0
	s_and_saveexec_b64 s[2:3], vcc
	s_cbranch_execz .LBB581_737
; %bb.732:
	v_lshrrev_b32_e32 v2, 24, v3
	s_movk_i32 s7, 0x80
	v_cmp_ne_u32_e32 vcc, s7, v2
	v_bfrev_b32_e32 v18, 1
	s_and_saveexec_b64 s[8:9], vcc
	s_cbranch_execz .LBB581_736
; %bb.733:
	v_bfe_u32 v3, v3, 24, 7
	s_movk_i32 s7, 0x7f
	v_cmp_ne_u32_e32 vcc, s7, v3
	v_mov_b32_e32 v18, 0x7f800001
	s_and_saveexec_b64 s[10:11], vcc
	s_cbranch_execz .LBB581_735
; %bb.734:
	v_and_b32_e32 v20, 7, v2
	v_ffbh_u32_e32 v18, v20
	v_min_u32_e32 v23, 32, v18
	v_subrev_u32_e32 v18, 28, v23
	v_lshlrev_b64 v[18:19], v18, v[2:3]
	v_lshrrev_b32_e32 v21, 3, v3
	v_sub_u32_e32 v19, 29, v23
	v_and_b32_e32 v18, 7, v18
	v_cmp_gt_u32_e32 vcc, 8, v3
	v_cndmask_b32_e32 v3, v21, v19, vcc
	v_cndmask_b32_e32 v18, v20, v18, vcc
	v_lshlrev_b32_e32 v2, 24, v2
	v_bfrev_b32_e32 v19, 60
	v_lshlrev_b32_e32 v18, 20, v18
	v_and_b32_e32 v2, 0x80000000, v2
	v_lshl_add_u32 v3, v3, 23, v19
	v_or3_b32 v18, v2, v3, v18
.LBB581_735:
	s_or_b64 exec, exec, s[10:11]
.LBB581_736:
	s_or_b64 exec, exec, s[8:9]
.LBB581_737:
	s_or_b64 exec, exec, s[2:3]
	v_cvt_pkrtz_f16_f32 v2, v15, v12
	v_cvt_pkrtz_f16_f32 v3, v11, v14
	ds_read_b128 v[28:31], v22 offset:6144
	v_cmp_ne_u16_sdwa s[8:9], v4, v10 src0_sel:BYTE_0 src1_sel:DWORD
	s_waitcnt lgkmcnt(0)
	v_mfma_f32_16x16x16f16 v[6:9], v[2:3], v[28:29], v[6:9]
	v_cvt_pkrtz_f16_f32 v2, v13, v17
	v_cvt_pkrtz_f16_f32 v3, v16, v18
	s_nop 1
	v_mfma_f32_16x16x16f16 v[6:9], v[2:3], v[30:31], v[6:9]
	s_and_saveexec_b64 s[2:3], s[8:9]
	s_cbranch_execz .LBB581_743
; %bb.738:
	s_movk_i32 s7, 0x80
	v_cmp_ne_u16_sdwa s[10:11], v4, s7 src0_sel:BYTE_0 src1_sel:DWORD
	v_bfrev_b32_e32 v10, 1
	s_and_saveexec_b64 s[8:9], s[10:11]
	s_cbranch_execz .LBB581_742
; %bb.739:
	s_movk_i32 s7, 0x7f
	v_and_b32_e32 v2, 0x7f, v4
	v_cmp_ne_u32_e32 vcc, s7, v2
	v_mov_b32_e32 v10, 0x7f800001
	s_and_saveexec_b64 s[10:11], vcc
	s_cbranch_execz .LBB581_741
; %bb.740:
	v_and_b32_e32 v3, 7, v4
	v_ffbh_u32_e32 v10, v3
	v_min_u32_e32 v13, 32, v10
	v_subrev_u32_e32 v10, 28, v13
	v_lshlrev_b64 v[10:11], v10, v[4:5]
	v_lshrrev_b32_e32 v12, 3, v2
	v_sub_u32_e32 v11, 29, v13
	v_and_b32_e32 v10, 7, v10
	v_cmp_gt_u32_e32 vcc, 8, v2
	v_cndmask_b32_e32 v2, v12, v11, vcc
	v_cndmask_b32_e32 v3, v3, v10, vcc
	v_lshlrev_b32_e32 v10, 24, v4
	v_bfrev_b32_e32 v11, 60
	v_lshlrev_b32_e32 v3, 20, v3
	v_and_b32_e32 v10, 0x80000000, v10
	v_lshl_add_u32 v2, v2, 23, v11
	v_or3_b32 v10, v10, v2, v3
.LBB581_741:
	s_or_b64 exec, exec, s[10:11]
.LBB581_742:
	s_or_b64 exec, exec, s[8:9]
.LBB581_743:
	s_or_b64 exec, exec, s[2:3]
	v_lshrrev_b16_e32 v2, 8, v4
	v_cmp_ne_u16_e32 vcc, 0, v2
	v_mov_b32_e32 v3, 0
	v_mov_b32_e32 v11, 0
	s_and_saveexec_b64 s[2:3], vcc
	s_cbranch_execz .LBB581_749
; %bb.744:
	s_movk_i32 s7, 0x80
	v_cmp_ne_u16_e32 vcc, s7, v2
	v_bfrev_b32_e32 v11, 1
	s_and_saveexec_b64 s[8:9], vcc
	s_cbranch_execz .LBB581_748
; %bb.745:
	s_movk_i32 s7, 0x7f
	v_and_b32_e32 v12, 0x7f, v2
	v_cmp_ne_u32_e32 vcc, s7, v12
	v_mov_b32_e32 v11, 0x7f800001
	s_and_saveexec_b64 s[10:11], vcc
	s_cbranch_execz .LBB581_747
; %bb.746:
	v_and_b32_e32 v11, 7, v2
	v_ffbh_u32_e32 v14, v11
	v_min_u32_e32 v16, 32, v14
	v_subrev_u32_e32 v14, 28, v16
	v_lshlrev_b64 v[14:15], v14, v[2:3]
	v_lshrrev_b32_e32 v13, 3, v12
	v_sub_u32_e32 v2, 29, v16
	v_and_b32_e32 v14, 7, v14
	v_cmp_gt_u32_e32 vcc, 8, v12
	v_cndmask_b32_e32 v2, v13, v2, vcc
	v_cndmask_b32_e32 v11, v11, v14, vcc
	v_lshlrev_b32_e32 v12, 16, v4
	v_bfrev_b32_e32 v13, 60
	v_lshlrev_b32_e32 v11, 20, v11
	v_and_b32_e32 v12, 0x80000000, v12
	v_lshl_add_u32 v2, v2, 23, v13
	v_or3_b32 v11, v12, v2, v11
.LBB581_747:
	s_or_b64 exec, exec, s[10:11]
.LBB581_748:
	s_or_b64 exec, exec, s[8:9]
.LBB581_749:
	s_or_b64 exec, exec, s[2:3]
	s_movk_i32 s2, 0xff
	v_and_b32_sdwa v12, v4, s2 dst_sel:DWORD dst_unused:UNUSED_PAD src0_sel:WORD_1 src1_sel:DWORD
	v_lshrrev_b32_e32 v2, 16, v4
	v_cmp_ne_u16_e32 vcc, 0, v12
	s_and_saveexec_b64 s[2:3], vcc
	s_cbranch_execz .LBB581_755
; %bb.750:
	s_movk_i32 s7, 0x80
	v_cmp_ne_u16_e32 vcc, s7, v12
	v_bfrev_b32_e32 v3, 1
	s_and_saveexec_b64 s[8:9], vcc
	s_cbranch_execz .LBB581_754
; %bb.751:
	v_bfe_u32 v12, v4, 16, 7
	s_movk_i32 s7, 0x7f
	v_cmp_ne_u32_e32 vcc, s7, v12
	v_mov_b32_e32 v3, 0x7f800001
	s_and_saveexec_b64 s[10:11], vcc
	s_cbranch_execz .LBB581_753
; %bb.752:
	v_and_b32_e32 v13, 7, v2
	v_ffbh_u32_e32 v3, v13
	v_min_u32_e32 v15, 32, v3
	v_subrev_u32_e32 v3, 28, v15
	v_lshlrev_b64 v[2:3], v3, v[2:3]
	v_lshrrev_b32_e32 v14, 3, v12
	v_sub_u32_e32 v3, 29, v15
	v_and_b32_e32 v2, 7, v2
	v_cmp_gt_u32_e32 vcc, 8, v12
	v_mov_b32_e32 v12, 24
	v_cndmask_b32_e32 v3, v14, v3, vcc
	v_cndmask_b32_e32 v2, v13, v2, vcc
	v_lshlrev_b32_sdwa v12, v12, v4 dst_sel:DWORD dst_unused:UNUSED_PAD src0_sel:DWORD src1_sel:WORD_1
	v_bfrev_b32_e32 v13, 60
	v_lshlrev_b32_e32 v2, 20, v2
	v_and_b32_e32 v12, 0x80000000, v12
	v_lshl_add_u32 v3, v3, 23, v13
	v_or3_b32 v3, v12, v3, v2
.LBB581_753:
	s_or_b64 exec, exec, s[10:11]
.LBB581_754:
	s_or_b64 exec, exec, s[8:9]
.LBB581_755:
	s_or_b64 exec, exec, s[2:3]
	s_mov_b32 s2, 0xffffff
	v_cmp_lt_u32_e32 vcc, s2, v4
	v_mov_b32_e32 v12, 0
	v_mov_b32_e32 v13, 0
	s_and_saveexec_b64 s[2:3], vcc
	s_cbranch_execz .LBB581_761
; %bb.756:
	v_lshrrev_b32_e32 v2, 24, v4
	s_movk_i32 s7, 0x80
	v_cmp_ne_u32_e32 vcc, s7, v2
	v_bfrev_b32_e32 v13, 1
	s_and_saveexec_b64 s[8:9], vcc
	s_cbranch_execz .LBB581_760
; %bb.757:
	v_bfe_u32 v4, v4, 24, 7
	s_movk_i32 s7, 0x7f
	v_cmp_ne_u32_e32 vcc, s7, v4
	v_mov_b32_e32 v13, 0x7f800001
	s_and_saveexec_b64 s[10:11], vcc
	s_cbranch_execz .LBB581_759
; %bb.758:
	v_and_b32_e32 v13, 7, v2
	v_ffbh_u32_e32 v14, v13
	v_min_u32_e32 v17, 32, v14
	v_subrev_u32_e32 v14, 28, v17
	v_lshlrev_b64 v[14:15], v14, v[2:3]
	v_lshrrev_b32_e32 v16, 3, v4
	v_sub_u32_e32 v15, 29, v17
	v_and_b32_e32 v14, 7, v14
	v_cmp_gt_u32_e32 vcc, 8, v4
	v_cndmask_b32_e32 v4, v16, v15, vcc
	v_cndmask_b32_e32 v13, v13, v14, vcc
	v_lshlrev_b32_e32 v2, 24, v2
	v_bfrev_b32_e32 v14, 60
	v_lshlrev_b32_e32 v13, 20, v13
	v_and_b32_e32 v2, 0x80000000, v2
	v_lshl_add_u32 v4, v4, 23, v14
	v_or3_b32 v13, v2, v4, v13
.LBB581_759:
	s_or_b64 exec, exec, s[10:11]
.LBB581_760:
	s_or_b64 exec, exec, s[8:9]
.LBB581_761:
	s_or_b64 exec, exec, s[2:3]
	v_cmp_ne_u16_sdwa s[8:9], v5, v12 src0_sel:BYTE_0 src1_sel:DWORD
	s_and_saveexec_b64 s[2:3], s[8:9]
	s_cbranch_execz .LBB581_767
; %bb.762:
	s_movk_i32 s7, 0x80
	v_cmp_ne_u16_sdwa s[10:11], v5, s7 src0_sel:BYTE_0 src1_sel:DWORD
	v_bfrev_b32_e32 v12, 1
	s_and_saveexec_b64 s[8:9], s[10:11]
	s_cbranch_execz .LBB581_766
; %bb.763:
	s_movk_i32 s7, 0x7f
	v_and_b32_e32 v2, 0x7f, v5
	v_cmp_ne_u32_e32 vcc, s7, v2
	v_mov_b32_e32 v12, 0x7f800001
	s_and_saveexec_b64 s[10:11], vcc
	s_cbranch_execz .LBB581_765
; %bb.764:
	v_and_b32_e32 v12, 7, v5
	v_ffbh_u32_e32 v14, v12
	v_min_u32_e32 v17, 32, v14
	v_mov_b32_e32 v4, v5
	v_subrev_u32_e32 v14, 28, v17
	v_lshlrev_b64 v[14:15], v14, v[4:5]
	v_lshrrev_b32_e32 v16, 3, v2
	v_sub_u32_e32 v4, 29, v17
	v_and_b32_e32 v14, 7, v14
	v_cmp_gt_u32_e32 vcc, 8, v2
	v_cndmask_b32_e32 v2, v16, v4, vcc
	v_cndmask_b32_e32 v4, v12, v14, vcc
	v_lshlrev_b32_e32 v12, 24, v5
	v_bfrev_b32_e32 v14, 60
	v_lshlrev_b32_e32 v4, 20, v4
	v_and_b32_e32 v12, 0x80000000, v12
	v_lshl_add_u32 v2, v2, 23, v14
	v_or3_b32 v12, v12, v2, v4
.LBB581_765:
	s_or_b64 exec, exec, s[10:11]
.LBB581_766:
	s_or_b64 exec, exec, s[8:9]
.LBB581_767:
	s_or_b64 exec, exec, s[2:3]
	v_lshrrev_b16_e32 v2, 8, v5
	v_cmp_ne_u16_e32 vcc, 0, v2
	v_mov_b32_e32 v4, 0
	v_mov_b32_e32 v14, 0
	s_and_saveexec_b64 s[2:3], vcc
	s_cbranch_execz .LBB581_773
; %bb.768:
	s_movk_i32 s7, 0x80
	v_cmp_ne_u16_e32 vcc, s7, v2
	v_bfrev_b32_e32 v14, 1
	s_and_saveexec_b64 s[8:9], vcc
	s_cbranch_execz .LBB581_772
; %bb.769:
	s_movk_i32 s7, 0x7f
	v_and_b32_e32 v15, 0x7f, v2
	v_cmp_ne_u32_e32 vcc, s7, v15
	v_mov_b32_e32 v14, 0x7f800001
	s_and_saveexec_b64 s[10:11], vcc
	s_cbranch_execz .LBB581_771
; %bb.770:
	v_and_b32_e32 v14, 7, v2
	v_ffbh_u32_e32 v16, v14
	v_min_u32_e32 v19, 32, v16
	v_subrev_u32_e32 v16, 28, v19
	v_lshlrev_b64 v[16:17], v16, v[2:3]
	v_lshrrev_b32_e32 v18, 3, v15
	v_sub_u32_e32 v2, 29, v19
	v_and_b32_e32 v16, 7, v16
	v_cmp_gt_u32_e32 vcc, 8, v15
	v_cndmask_b32_e32 v2, v18, v2, vcc
	v_cndmask_b32_e32 v14, v14, v16, vcc
	v_lshlrev_b32_e32 v15, 16, v5
	v_bfrev_b32_e32 v16, 60
	v_lshlrev_b32_e32 v14, 20, v14
	v_and_b32_e32 v15, 0x80000000, v15
	v_lshl_add_u32 v2, v2, 23, v16
	v_or3_b32 v14, v15, v2, v14
.LBB581_771:
	s_or_b64 exec, exec, s[10:11]
.LBB581_772:
	s_or_b64 exec, exec, s[8:9]
.LBB581_773:
	s_or_b64 exec, exec, s[2:3]
	s_movk_i32 s2, 0xff
	v_and_b32_sdwa v15, v5, s2 dst_sel:DWORD dst_unused:UNUSED_PAD src0_sel:WORD_1 src1_sel:DWORD
	v_lshrrev_b32_e32 v2, 16, v5
	v_cmp_ne_u16_e32 vcc, 0, v15
	s_and_saveexec_b64 s[2:3], vcc
	s_cbranch_execz .LBB581_779
; %bb.774:
	s_movk_i32 s7, 0x80
	v_cmp_ne_u16_e32 vcc, s7, v15
	v_bfrev_b32_e32 v4, 1
	s_and_saveexec_b64 s[8:9], vcc
	s_cbranch_execz .LBB581_778
; %bb.775:
	v_bfe_u32 v15, v5, 16, 7
	s_movk_i32 s7, 0x7f
	v_cmp_ne_u32_e32 vcc, s7, v15
	v_mov_b32_e32 v4, 0x7f800001
	s_and_saveexec_b64 s[10:11], vcc
	s_cbranch_execz .LBB581_777
; %bb.776:
	v_and_b32_e32 v4, 7, v2
	v_ffbh_u32_e32 v16, v4
	v_min_u32_e32 v19, 32, v16
	v_subrev_u32_e32 v16, 28, v19
	v_lshlrev_b64 v[16:17], v16, v[2:3]
	v_lshrrev_b32_e32 v18, 3, v15
	v_sub_u32_e32 v2, 29, v19
	v_and_b32_e32 v16, 7, v16
	v_cmp_gt_u32_e32 vcc, 8, v15
	v_mov_b32_e32 v15, 24
	v_cndmask_b32_e32 v2, v18, v2, vcc
	v_cndmask_b32_e32 v4, v4, v16, vcc
	v_lshlrev_b32_sdwa v15, v15, v5 dst_sel:DWORD dst_unused:UNUSED_PAD src0_sel:DWORD src1_sel:WORD_1
	v_bfrev_b32_e32 v16, 60
	v_lshlrev_b32_e32 v4, 20, v4
	v_and_b32_e32 v15, 0x80000000, v15
	v_lshl_add_u32 v2, v2, 23, v16
	v_or3_b32 v4, v15, v2, v4
.LBB581_777:
	s_or_b64 exec, exec, s[10:11]
.LBB581_778:
	s_or_b64 exec, exec, s[8:9]
.LBB581_779:
	s_or_b64 exec, exec, s[2:3]
	s_mov_b32 s2, 0xffffff
	v_cmp_lt_u32_e32 vcc, s2, v5
	v_mov_b32_e32 v15, 0
	s_and_saveexec_b64 s[2:3], vcc
	s_cbranch_execz .LBB581_785
; %bb.780:
	v_lshrrev_b32_e32 v2, 24, v5
	s_movk_i32 s7, 0x80
	v_cmp_ne_u32_e32 vcc, s7, v2
	v_bfrev_b32_e32 v15, 1
	s_and_saveexec_b64 s[8:9], vcc
	s_cbranch_execz .LBB581_784
; %bb.781:
	v_bfe_u32 v5, v5, 24, 7
	s_movk_i32 s7, 0x7f
	v_cmp_ne_u32_e32 vcc, s7, v5
	v_mov_b32_e32 v15, 0x7f800001
	s_and_saveexec_b64 s[10:11], vcc
	s_cbranch_execz .LBB581_783
; %bb.782:
	v_and_b32_e32 v15, 7, v2
	v_ffbh_u32_e32 v16, v15
	v_min_u32_e32 v19, 32, v16
	v_subrev_u32_e32 v16, 28, v19
	v_lshlrev_b64 v[16:17], v16, v[2:3]
	v_lshrrev_b32_e32 v18, 3, v5
	v_sub_u32_e32 v17, 29, v19
	v_and_b32_e32 v16, 7, v16
	v_cmp_gt_u32_e32 vcc, 8, v5
	v_cndmask_b32_e32 v5, v18, v17, vcc
	v_cndmask_b32_e32 v15, v15, v16, vcc
	v_lshlrev_b32_e32 v2, 24, v2
	v_bfrev_b32_e32 v16, 60
	v_lshlrev_b32_e32 v15, 20, v15
	v_and_b32_e32 v2, 0x80000000, v2
	v_lshl_add_u32 v5, v5, 23, v16
	v_or3_b32 v15, v2, v5, v15
.LBB581_783:
	s_or_b64 exec, exec, s[10:11]
.LBB581_784:
	s_or_b64 exec, exec, s[8:9]
.LBB581_785:
	s_or_b64 exec, exec, s[2:3]
	v_cvt_pkrtz_f16_f32 v2, v10, v11
	v_cvt_pkrtz_f16_f32 v3, v3, v13
	ds_read_b128 v[16:19], v22 offset:6160
	s_load_dword s2, s[42:43], 0x0
	v_cmp_gt_u32_e32 vcc, 64, v0
	s_waitcnt lgkmcnt(0)
	v_mfma_f32_16x16x16f16 v[6:9], v[2:3], v[16:17], v[6:9]
	v_cvt_pkrtz_f16_f32 v2, v12, v14
	v_cvt_pkrtz_f16_f32 v3, v4, v15
	s_and_b64 s[0:1], vcc, s[0:1]
	s_barrier
	v_mfma_f32_16x16x16f16 v[2:5], v[2:3], v[18:19], v[6:9]
	s_nop 7
	s_nop 2
	v_pk_mul_f32 v[4:5], v[4:5], s[2:3] op_sel_hi:[1,0]
	v_pk_mul_f32 v[2:3], v[2:3], s[2:3] op_sel_hi:[1,0]
	v_cvt_f16_f32_e32 v2, v2
	v_cvt_f16_f32_e32 v3, v3
	v_cvt_f16_f32_e32 v4, v4
	v_cvt_f16_f32_e32 v5, v5
	v_pack_b32_f16 v2, v2, v3
	v_pack_b32_f16 v3, v4, v5
	ds_write_b64 v26, v[2:3]
	s_waitcnt lgkmcnt(0)
	s_barrier
	s_and_saveexec_b64 s[2:3], s[0:1]
	s_cbranch_execz .LBB581_787
; %bb.786:
	s_load_dwordx2 s[0:1], s[4:5], 0x68
	s_lshl_b32 s4, s44, 6
	s_mul_i32 s2, s12, s6
	s_mul_hi_u32 s3, s2, s4
	s_mul_i32 s2, s2, s4
	s_lshl_b64 s[2:3], s[2:3], 1
	s_waitcnt lgkmcnt(0)
	s_add_u32 s2, s0, s2
	s_addc_u32 s3, s1, s3
	s_lshl_b32 s0, s24, 6
	s_mov_b32 s1, 0
	v_lshlrev_b32_e32 v0, 10, v0
	s_lshl_b64 s[0:1], s[0:1], 1
	v_and_b32_e32 v0, 0x1800, v0
	v_lshlrev_b32_e32 v2, 5, v1
	v_and_b32_e32 v3, 16, v47
	s_add_u32 s0, s2, s0
	v_or3_b32 v0, v0, v2, v3
	s_addc_u32 s1, s3, s1
	ds_read_b128 v[2:5], v0
	ds_read_b128 v[6:9], v0 offset:128
	v_mov_b32_e32 v0, s1
	v_add_co_u32_e32 v10, vcc, s0, v46
	v_or_b32_e32 v12, s25, v1
	v_addc_co_u32_e32 v11, vcc, 0, v0, vcc
	v_mad_u64_u32 v[0:1], s[0:1], v12, s4, 0
	v_lshlrev_b64 v[0:1], 1, v[0:1]
	v_add_co_u32_e32 v0, vcc, v10, v0
	v_addc_co_u32_e32 v1, vcc, v11, v1, vcc
	s_waitcnt lgkmcnt(1)
	global_store_dwordx4 v[0:1], v[2:5], off
	v_or_b32_e32 v0, 4, v12
	v_mad_u64_u32 v[0:1], s[0:1], v0, s4, 0
	v_lshlrev_b64 v[0:1], 1, v[0:1]
	v_add_co_u32_e32 v0, vcc, v10, v0
	v_addc_co_u32_e32 v1, vcc, v11, v1, vcc
	s_waitcnt lgkmcnt(0)
	global_store_dwordx4 v[0:1], v[6:9], off
.LBB581_787:
	s_endpgm
	.section	.rodata,"a",@progbits
	.p2align	6, 0x0
	.amdhsa_kernel _Z39paged_attention_ll4mi_QKV_mfma16_kernelIDF16_hLN4vllm18Fp8KVCacheDataTypeE1EDF16_Li32ELi64ELi256ELb1ELi8EL8MFMAType0EEvPKT_PKT0_S8_ifPKiSA_SA_iPKfiiiPfSD_PS3_PT2_iSC_SC_
		.amdhsa_group_segment_fixed_size 8192
		.amdhsa_private_segment_fixed_size 0
		.amdhsa_kernarg_size 400
		.amdhsa_user_sgpr_count 6
		.amdhsa_user_sgpr_private_segment_buffer 1
		.amdhsa_user_sgpr_dispatch_ptr 0
		.amdhsa_user_sgpr_queue_ptr 0
		.amdhsa_user_sgpr_kernarg_segment_ptr 1
		.amdhsa_user_sgpr_dispatch_id 0
		.amdhsa_user_sgpr_flat_scratch_init 0
		.amdhsa_user_sgpr_kernarg_preload_length 0
		.amdhsa_user_sgpr_kernarg_preload_offset 0
		.amdhsa_user_sgpr_private_segment_size 0
		.amdhsa_uses_dynamic_stack 0
		.amdhsa_system_sgpr_private_segment_wavefront_offset 0
		.amdhsa_system_sgpr_workgroup_id_x 1
		.amdhsa_system_sgpr_workgroup_id_y 1
		.amdhsa_system_sgpr_workgroup_id_z 1
		.amdhsa_system_sgpr_workgroup_info 0
		.amdhsa_system_vgpr_workitem_id 0
		.amdhsa_next_free_vgpr 63
		.amdhsa_next_free_sgpr 47
		.amdhsa_accum_offset 64
		.amdhsa_reserve_vcc 1
		.amdhsa_reserve_flat_scratch 0
		.amdhsa_float_round_mode_32 0
		.amdhsa_float_round_mode_16_64 0
		.amdhsa_float_denorm_mode_32 3
		.amdhsa_float_denorm_mode_16_64 3
		.amdhsa_dx10_clamp 1
		.amdhsa_ieee_mode 1
		.amdhsa_fp16_overflow 0
		.amdhsa_tg_split 0
		.amdhsa_exception_fp_ieee_invalid_op 0
		.amdhsa_exception_fp_denorm_src 0
		.amdhsa_exception_fp_ieee_div_zero 0
		.amdhsa_exception_fp_ieee_overflow 0
		.amdhsa_exception_fp_ieee_underflow 0
		.amdhsa_exception_fp_ieee_inexact 0
		.amdhsa_exception_int_div_zero 0
	.end_amdhsa_kernel
	.section	.text._Z39paged_attention_ll4mi_QKV_mfma16_kernelIDF16_hLN4vllm18Fp8KVCacheDataTypeE1EDF16_Li32ELi64ELi256ELb1ELi8EL8MFMAType0EEvPKT_PKT0_S8_ifPKiSA_SA_iPKfiiiPfSD_PS3_PT2_iSC_SC_,"axG",@progbits,_Z39paged_attention_ll4mi_QKV_mfma16_kernelIDF16_hLN4vllm18Fp8KVCacheDataTypeE1EDF16_Li32ELi64ELi256ELb1ELi8EL8MFMAType0EEvPKT_PKT0_S8_ifPKiSA_SA_iPKfiiiPfSD_PS3_PT2_iSC_SC_,comdat
.Lfunc_end581:
	.size	_Z39paged_attention_ll4mi_QKV_mfma16_kernelIDF16_hLN4vllm18Fp8KVCacheDataTypeE1EDF16_Li32ELi64ELi256ELb1ELi8EL8MFMAType0EEvPKT_PKT0_S8_ifPKiSA_SA_iPKfiiiPfSD_PS3_PT2_iSC_SC_, .Lfunc_end581-_Z39paged_attention_ll4mi_QKV_mfma16_kernelIDF16_hLN4vllm18Fp8KVCacheDataTypeE1EDF16_Li32ELi64ELi256ELb1ELi8EL8MFMAType0EEvPKT_PKT0_S8_ifPKiSA_SA_iPKfiiiPfSD_PS3_PT2_iSC_SC_
                                        ; -- End function
	.section	.AMDGPU.csdata,"",@progbits
; Kernel info:
; codeLenInByte = 27292
; NumSgprs: 51
; NumVgprs: 63
; NumAgprs: 0
; TotalNumVgprs: 63
; ScratchSize: 0
; MemoryBound: 0
; FloatMode: 240
; IeeeMode: 1
; LDSByteSize: 8192 bytes/workgroup (compile time only)
; SGPRBlocks: 6
; VGPRBlocks: 7
; NumSGPRsForWavesPerEU: 51
; NumVGPRsForWavesPerEU: 63
; AccumOffset: 64
; Occupancy: 8
; WaveLimiterHint : 1
; COMPUTE_PGM_RSRC2:SCRATCH_EN: 0
; COMPUTE_PGM_RSRC2:USER_SGPR: 6
; COMPUTE_PGM_RSRC2:TRAP_HANDLER: 0
; COMPUTE_PGM_RSRC2:TGID_X_EN: 1
; COMPUTE_PGM_RSRC2:TGID_Y_EN: 1
; COMPUTE_PGM_RSRC2:TGID_Z_EN: 1
; COMPUTE_PGM_RSRC2:TIDIG_COMP_CNT: 0
; COMPUTE_PGM_RSRC3_GFX90A:ACCUM_OFFSET: 15
; COMPUTE_PGM_RSRC3_GFX90A:TG_SPLIT: 0
	.section	.text._Z39paged_attention_ll4mi_QKV_mfma16_kernelIDF16_hLN4vllm18Fp8KVCacheDataTypeE1EDF16_Li32ELi64ELi256ELb1ELi9EL8MFMAType0EEvPKT_PKT0_S8_ifPKiSA_SA_iPKfiiiPfSD_PS3_PT2_iSC_SC_,"axG",@progbits,_Z39paged_attention_ll4mi_QKV_mfma16_kernelIDF16_hLN4vllm18Fp8KVCacheDataTypeE1EDF16_Li32ELi64ELi256ELb1ELi9EL8MFMAType0EEvPKT_PKT0_S8_ifPKiSA_SA_iPKfiiiPfSD_PS3_PT2_iSC_SC_,comdat
	.protected	_Z39paged_attention_ll4mi_QKV_mfma16_kernelIDF16_hLN4vllm18Fp8KVCacheDataTypeE1EDF16_Li32ELi64ELi256ELb1ELi9EL8MFMAType0EEvPKT_PKT0_S8_ifPKiSA_SA_iPKfiiiPfSD_PS3_PT2_iSC_SC_ ; -- Begin function _Z39paged_attention_ll4mi_QKV_mfma16_kernelIDF16_hLN4vllm18Fp8KVCacheDataTypeE1EDF16_Li32ELi64ELi256ELb1ELi9EL8MFMAType0EEvPKT_PKT0_S8_ifPKiSA_SA_iPKfiiiPfSD_PS3_PT2_iSC_SC_
	.globl	_Z39paged_attention_ll4mi_QKV_mfma16_kernelIDF16_hLN4vllm18Fp8KVCacheDataTypeE1EDF16_Li32ELi64ELi256ELb1ELi9EL8MFMAType0EEvPKT_PKT0_S8_ifPKiSA_SA_iPKfiiiPfSD_PS3_PT2_iSC_SC_
	.p2align	8
	.type	_Z39paged_attention_ll4mi_QKV_mfma16_kernelIDF16_hLN4vllm18Fp8KVCacheDataTypeE1EDF16_Li32ELi64ELi256ELb1ELi9EL8MFMAType0EEvPKT_PKT0_S8_ifPKiSA_SA_iPKfiiiPfSD_PS3_PT2_iSC_SC_,@function
_Z39paged_attention_ll4mi_QKV_mfma16_kernelIDF16_hLN4vllm18Fp8KVCacheDataTypeE1EDF16_Li32ELi64ELi256ELb1ELi9EL8MFMAType0EEvPKT_PKT0_S8_ifPKiSA_SA_iPKfiiiPfSD_PS3_PT2_iSC_SC_: ; @_Z39paged_attention_ll4mi_QKV_mfma16_kernelIDF16_hLN4vllm18Fp8KVCacheDataTypeE1EDF16_Li32ELi64ELi256ELb1ELi9EL8MFMAType0EEvPKT_PKT0_S8_ifPKiSA_SA_iPKfiiiPfSD_PS3_PT2_iSC_SC_
; %bb.0:
	s_load_dwordx2 s[0:1], s[4:5], 0x30
	s_mov_b32 s24, s7
	s_mov_b64 s[10:11], 0
	s_waitcnt lgkmcnt(0)
	s_cmp_lg_u64 s[0:1], 0
	s_cselect_b64 s[2:3], -1, 0
	s_and_b64 vcc, exec, s[2:3]
	s_cbranch_vccz .LBB582_7
; %bb.1:
	s_add_i32 s12, s6, 1
	s_mov_b32 s13, 0
	s_lshl_b64 s[14:15], s[12:13], 2
	s_add_u32 s14, s0, s14
	s_mov_b32 s7, s13
	s_addc_u32 s15, s1, s15
	s_lshl_b64 s[12:13], s[6:7], 2
	s_add_u32 s12, s0, s12
	s_addc_u32 s13, s1, s13
	s_load_dword s9, s[14:15], 0x0
	s_load_dword s16, s[12:13], 0x0
	s_waitcnt lgkmcnt(0)
	s_sub_i32 s9, s9, s16
	s_cmp_eq_u32 s9, 1
	s_cselect_b64 s[12:13], -1, 0
	s_andn2_b64 vcc, exec, s[10:11]
	s_cbranch_vccnz .LBB582_3
.LBB582_2:
	s_mov_b32 s7, 0
	s_mov_b64 s[12:13], -1
.LBB582_3:
	s_andn2_b64 vcc, exec, s[12:13]
	s_cbranch_vccnz .LBB582_788
; %bb.4:
	s_load_dwordx2 s[12:13], s[4:5], 0x28
	s_lshl_b64 s[10:11], s[6:7], 2
	s_waitcnt lgkmcnt(0)
	s_add_u32 s12, s12, s10
	s_addc_u32 s13, s13, s11
	s_load_dword s33, s[12:13], 0x0
	s_lshl_b32 s18, s24, 8
	s_waitcnt lgkmcnt(0)
	s_cmp_ge_i32 s18, s33
	s_cbranch_scc1 .LBB582_788
; %bb.5:
	s_add_i32 s14, s33, 31
	s_load_dwordx2 s[12:13], s[4:5], 0x20
	s_load_dword s9, s[4:5], 0x38
	s_ashr_i32 s15, s14, 31
	v_and_b32_e32 v1, 0xcf, v0
	s_lshr_b32 s15, s15, 27
	v_add_u32_e32 v1, s18, v1
	s_add_i32 s14, s14, s15
	v_ashrrev_i32_e32 v2, 31, v1
	s_ashr_i32 s21, s14, 5
	v_lshrrev_b32_e32 v4, 27, v2
	s_add_i32 s21, s21, -1
	v_add_u32_e32 v2, v1, v4
	s_waitcnt lgkmcnt(0)
	s_mul_i32 s14, s6, s9
	s_mov_b32 s15, 0
	v_ashrrev_i32_e32 v2, 5, v2
	v_mov_b32_e32 v5, s21
	v_cmp_gt_i32_e32 vcc, s33, v1
	s_lshl_b64 s[14:15], s[14:15], 2
	v_cndmask_b32_e32 v2, v5, v2, vcc
	s_add_u32 s19, s12, s14
	v_ashrrev_i32_e32 v3, 31, v2
	s_addc_u32 s20, s13, s15
	v_lshlrev_b64 v[2:3], 2, v[2:3]
	v_mov_b32_e32 v7, s20
	v_add_co_u32_e32 v6, vcc, s19, v2
	v_or_b32_e32 v2, 16, v1
	v_addc_co_u32_e32 v7, vcc, v7, v3, vcc
	v_add_u32_e32 v3, v2, v4
	v_ashrrev_i32_e32 v3, 5, v3
	v_cmp_gt_i32_e32 vcc, s33, v2
	v_cndmask_b32_e32 v2, v5, v3, vcc
	v_ashrrev_i32_e32 v3, 31, v2
	v_lshlrev_b64 v[2:3], 2, v[2:3]
	v_mov_b32_e32 v9, s20
	v_add_co_u32_e32 v8, vcc, s19, v2
	v_or_b32_e32 v2, 32, v1
	v_addc_co_u32_e32 v9, vcc, v9, v3, vcc
	v_add_u32_e32 v3, v2, v4
	v_ashrrev_i32_e32 v3, 5, v3
	v_cmp_gt_i32_e32 vcc, s33, v2
	v_cndmask_b32_e32 v2, v5, v3, vcc
	v_ashrrev_i32_e32 v3, 31, v2
	;; [unrolled: 10-line block ×3, first 2 shown]
	v_lshlrev_b64 v[2:3], 2, v[2:3]
	v_mov_b32_e32 v1, s20
	v_add_co_u32_e32 v12, vcc, s19, v2
	v_addc_co_u32_e32 v13, vcc, v1, v3, vcc
	global_load_dword v5, v[6:7], off
	global_load_dword v4, v[8:9], off
	;; [unrolled: 1-line block ×4, first 2 shown]
	s_load_dwordx2 s[16:17], s[4:5], 0x8
	s_andn2_b64 vcc, exec, s[2:3]
	s_cbranch_vccnz .LBB582_8
; %bb.6:
	s_add_u32 s0, s0, s10
	s_addc_u32 s1, s1, s11
	s_load_dword s9, s[0:1], 0x0
	s_branch .LBB582_9
.LBB582_7:
	s_mov_b64 s[12:13], 0
	s_branch .LBB582_2
.LBB582_8:
	s_mov_b32 s9, s6
.LBB582_9:
	s_load_dwordx2 s[2:3], s[4:5], 0x10
	s_load_dwordx4 s[12:15], s[4:5], 0x48
	v_lshrrev_b32_e32 v50, 6, v0
	v_bfe_u32 v1, v0, 4, 2
	v_lshl_or_b32 v6, v50, 2, v1
	v_and_b32_e32 v49, 15, v0
	v_lshlrev_b32_e32 v7, 3, v49
	v_cmp_gt_u32_e32 vcc, 9, v6
	v_cmp_gt_u32_e64 s[0:1], 8, v49
	s_mul_i32 s25, s8, 9
	s_and_b64 s[22:23], s[0:1], vcc
	v_lshlrev_b32_e32 v46, 1, v7
	v_lshlrev_b32_e32 v47, 4, v0
	s_and_saveexec_b64 s[10:11], s[22:23]
	s_cbranch_execz .LBB582_11
; %bb.10:
	s_load_dwordx2 s[22:23], s[4:5], 0x0
	s_waitcnt lgkmcnt(0)
	s_ashr_i32 s15, s12, 31
	s_mul_hi_u32 s26, s9, s12
	s_mul_i32 s15, s9, s15
	s_add_i32 s27, s26, s15
	s_mul_i32 s26, s9, s12
	s_lshl_b64 s[26:27], s[26:27], 1
	v_add_lshl_u32 v8, v6, s25, 6
	s_add_u32 s9, s22, s26
	v_ashrrev_i32_e32 v9, 31, v8
	s_addc_u32 s12, s23, s27
	v_lshlrev_b64 v[8:9], 1, v[8:9]
	v_mov_b32_e32 v7, s12
	v_add_co_u32_e32 v8, vcc, s9, v8
	v_addc_co_u32_e32 v7, vcc, v7, v9, vcc
	v_add_co_u32_e32 v8, vcc, v8, v46
	v_addc_co_u32_e32 v9, vcc, 0, v7, vcc
	global_load_dwordx4 v[8:11], v[8:9], off
	v_lshlrev_b32_e32 v12, 8, v49
	v_lshlrev_b32_e32 v6, 5, v6
	v_and_b32_e32 v7, 16, v47
	v_and_b32_e32 v12, 0xe00, v12
	v_or3_b32 v6, v12, v6, v7
	s_waitcnt vmcnt(0)
	ds_write_b128 v6, v[8:11]
.LBB582_11:
	s_or_b64 exec, exec, s[10:11]
	s_waitcnt lgkmcnt(0)
	s_mul_i32 s10, s8, s14
	s_add_u32 s8, s16, s10
	s_addc_u32 s9, s17, 0
	v_pk_mov_b32 v[8:9], s[8:9], s[8:9] op_sel:[0,1]
	s_waitcnt vmcnt(3)
	v_mad_i64_i32 v[10:11], s[8:9], v5, s13, v[8:9]
	v_lshlrev_b32_e32 v12, 4, v49
	v_and_b32_e32 v6, 48, v0
	v_add_co_u32_e32 v5, vcc, v10, v12
	v_lshlrev_b32_e32 v7, 5, v6
	v_addc_co_u32_e32 v11, vcc, 0, v11, vcc
	v_add_co_u32_e32 v10, vcc, v5, v7
	v_addc_co_u32_e32 v11, vcc, 0, v11, vcc
	s_waitcnt vmcnt(2)
	v_mad_i64_i32 v[4:5], s[8:9], v4, s13, v[8:9]
	v_or_b32_e32 v13, 0x100, v12
	v_add_co_u32_e32 v4, vcc, v4, v13
	v_addc_co_u32_e32 v5, vcc, 0, v5, vcc
	v_add_co_u32_e32 v4, vcc, v4, v7
	v_addc_co_u32_e32 v5, vcc, 0, v5, vcc
	s_barrier
	global_load_dwordx4 v[34:37], v[10:11], off
	global_load_dwordx4 v[38:41], v[4:5], off
	s_waitcnt vmcnt(3)
	v_mad_i64_i32 v[4:5], s[8:9], v3, s13, v[8:9]
	v_add_co_u32_e32 v3, vcc, v4, v12
	v_addc_co_u32_e32 v5, vcc, 0, v5, vcc
	v_add_co_u32_e32 v4, vcc, v3, v7
	v_addc_co_u32_e32 v5, vcc, 0, v5, vcc
	s_waitcnt vmcnt(2)
	v_mad_i64_i32 v[2:3], s[8:9], v2, s13, v[8:9]
	v_add_co_u32_e32 v2, vcc, v2, v13
	v_addc_co_u32_e32 v3, vcc, 0, v3, vcc
	v_add_co_u32_e32 v2, vcc, v2, v7
	v_addc_co_u32_e32 v3, vcc, 0, v3, vcc
	global_load_dwordx4 v[30:33], v[4:5], off
	global_load_dwordx4 v[22:25], v[2:3], off
	v_add_u32_e32 v2, -9, v49
	v_cmp_gt_u32_e32 vcc, 9, v49
	v_cndmask_b32_e32 v2, v2, v49, vcc
	v_lshlrev_b32_e32 v2, 5, v2
	v_lshl_add_u32 v2, v1, 9, v2
	ds_read_b128 v[26:29], v2
	ds_read_b128 v[18:21], v2 offset:16
	v_mov_b32_e32 v43, 0
	v_mov_b32_e32 v51, 0
	s_and_saveexec_b64 s[8:9], vcc
	s_cbranch_execz .LBB582_13
; %bb.12:
	s_load_dwordx2 s[14:15], s[4:5], 0x40
	v_add_u32_e32 v2, s25, v49
	v_ashrrev_i32_e32 v3, 31, v2
	v_lshlrev_b64 v[2:3], 2, v[2:3]
	s_waitcnt lgkmcnt(0)
	v_mov_b32_e32 v4, s15
	v_add_co_u32_e32 v2, vcc, s14, v2
	v_addc_co_u32_e32 v3, vcc, v4, v3, vcc
	global_load_dword v51, v[2:3], off
.LBB582_13:
	s_or_b64 exec, exec, s[8:9]
	s_ashr_i32 s8, s18, 31
	v_or_b32_e32 v8, s18, v6
	s_lshr_b32 s8, s8, 27
	v_add_u32_e32 v2, s8, v8
	v_ashrrev_i32_e32 v2, 5, v2
	v_mov_b32_e32 v9, s21
	v_cmp_gt_i32_e32 vcc, s33, v8
	v_cndmask_b32_e32 v2, v9, v2, vcc
	v_ashrrev_i32_e32 v3, 31, v2
	v_lshlrev_b64 v[2:3], 2, v[2:3]
	v_mov_b32_e32 v4, s20
	v_add_co_u32_e32 v2, vcc, s19, v2
	v_addc_co_u32_e32 v3, vcc, v4, v3, vcc
	v_or_b32_e32 v4, 64, v8
	v_add_u32_e32 v5, s8, v4
	v_ashrrev_i32_e32 v5, 5, v5
	v_cmp_gt_i32_e32 vcc, s33, v4
	v_cndmask_b32_e32 v4, v9, v5, vcc
	v_ashrrev_i32_e32 v5, 31, v4
	v_lshlrev_b64 v[4:5], 2, v[4:5]
	v_mov_b32_e32 v6, s20
	v_add_co_u32_e32 v4, vcc, s19, v4
	v_addc_co_u32_e32 v5, vcc, v6, v5, vcc
	v_or_b32_e32 v6, 0x80, v8
	v_add_u32_e32 v7, s8, v6
	v_ashrrev_i32_e32 v7, 5, v7
	v_cmp_gt_i32_e32 vcc, s33, v6
	v_cndmask_b32_e32 v6, v9, v7, vcc
	v_ashrrev_i32_e32 v7, 31, v6
	v_lshlrev_b64 v[6:7], 2, v[6:7]
	v_mov_b32_e32 v10, s20
	v_add_co_u32_e32 v6, vcc, s19, v6
	v_addc_co_u32_e32 v7, vcc, v10, v7, vcc
	global_load_dword v10, v[2:3], off
	global_load_dword v11, v[4:5], off
	;; [unrolled: 1-line block ×3, first 2 shown]
	v_or_b32_e32 v2, 0xc0, v8
	v_add_u32_e32 v3, s8, v2
	v_ashrrev_i32_e32 v3, 5, v3
	v_cmp_gt_i32_e32 vcc, s33, v2
	v_cndmask_b32_e32 v2, v9, v3, vcc
	v_ashrrev_i32_e32 v3, 31, v2
	v_lshlrev_b64 v[2:3], 2, v[2:3]
	v_mov_b32_e32 v4, s20
	v_add_co_u32_e32 v2, vcc, s19, v2
	v_addc_co_u32_e32 v3, vcc, v4, v3, vcc
	global_load_dword v13, v[2:3], off
	s_add_u32 s2, s2, s10
	v_and_b32_e32 v2, 16, v0
	s_addc_u32 s3, s3, 0
	v_lshlrev_b32_e32 v48, 5, v49
	v_mov_b32_e32 v4, s3
	v_add_co_u32_e32 v2, vcc, s2, v2
	v_lshl_or_b32 v3, v50, 9, v48
	v_addc_co_u32_e32 v4, vcc, 0, v4, vcc
	v_add_co_u32_e32 v2, vcc, v2, v3
	v_addc_co_u32_e32 v3, vcc, 0, v4, vcc
	s_movk_i32 s8, 0x80
	s_waitcnt vmcnt(7)
	v_cmp_ne_u16_sdwa s[10:11], v34, v43 src0_sel:BYTE_0 src1_sel:DWORD
	s_waitcnt vmcnt(3)
	v_mad_i64_i32 v[4:5], s[2:3], v10, s13, v[2:3]
	s_waitcnt vmcnt(2)
	v_mad_i64_i32 v[6:7], s[2:3], v11, s13, v[2:3]
	;; [unrolled: 2-line block ×4, first 2 shown]
	global_load_dwordx4 v[14:17], v[4:5], off
	global_load_dwordx4 v[10:13], v[6:7], off
	s_nop 0
	global_load_dwordx4 v[6:9], v[8:9], off
	s_nop 0
	global_load_dwordx4 v[2:5], v[2:3], off
	s_load_dwordx4 s[40:43], s[4:5], 0x80
	s_load_dwordx2 s[44:45], s[4:5], 0x94
	s_waitcnt lgkmcnt(0)
	s_load_dword s12, s[40:41], 0x0
	s_and_saveexec_b64 s[2:3], s[10:11]
	s_cbranch_execz .LBB582_19
; %bb.14:
	v_cmp_ne_u16_sdwa s[10:11], v34, s8 src0_sel:BYTE_0 src1_sel:DWORD
	v_bfrev_b32_e32 v43, 1
	s_and_saveexec_b64 s[8:9], s[10:11]
	s_cbranch_execz .LBB582_18
; %bb.15:
	s_movk_i32 s10, 0x7f
	v_and_b32_e32 v42, 0x7f, v34
	v_cmp_ne_u32_e32 vcc, s10, v42
	v_mov_b32_e32 v43, 0x7f800001
	s_and_saveexec_b64 s[10:11], vcc
	s_cbranch_execz .LBB582_17
; %bb.16:
	v_and_b32_e32 v43, 7, v34
	v_ffbh_u32_e32 v44, v43
	v_min_u32_e32 v53, 32, v44
	v_subrev_u32_e32 v44, 28, v53
	v_lshlrev_b64 v[44:45], v44, v[34:35]
	v_lshrrev_b32_e32 v52, 3, v42
	v_sub_u32_e32 v45, 29, v53
	v_and_b32_e32 v44, 7, v44
	v_cmp_gt_u32_e32 vcc, 8, v42
	v_cndmask_b32_e32 v42, v52, v45, vcc
	v_cndmask_b32_e32 v43, v43, v44, vcc
	v_lshlrev_b32_e32 v44, 24, v34
	v_bfrev_b32_e32 v45, 60
	v_lshlrev_b32_e32 v43, 20, v43
	v_and_b32_e32 v44, 0x80000000, v44
	v_lshl_add_u32 v42, v42, 23, v45
	v_or3_b32 v43, v44, v42, v43
.LBB582_17:
	s_or_b64 exec, exec, s[10:11]
.LBB582_18:
	s_or_b64 exec, exec, s[8:9]
.LBB582_19:
	s_or_b64 exec, exec, s[2:3]
	v_lshrrev_b16_e32 v42, 8, v34
	v_cmp_ne_u16_e32 vcc, 0, v42
	v_mov_b32_e32 v44, 0
	v_mov_b32_e32 v45, 0
	s_and_saveexec_b64 s[2:3], vcc
	s_cbranch_execz .LBB582_25
; %bb.20:
	s_movk_i32 s8, 0x80
	v_cmp_ne_u16_e32 vcc, s8, v42
	v_bfrev_b32_e32 v45, 1
	s_and_saveexec_b64 s[8:9], vcc
	s_cbranch_execz .LBB582_24
; %bb.21:
	s_movk_i32 s10, 0x7f
	v_and_b32_e32 v52, 0x7f, v42
	v_cmp_ne_u32_e32 vcc, s10, v52
	v_mov_b32_e32 v45, 0x7f800001
	s_and_saveexec_b64 s[10:11], vcc
	s_cbranch_execz .LBB582_23
; %bb.22:
	v_and_b32_e32 v45, 7, v42
	v_ffbh_u32_e32 v54, v45
	v_min_u32_e32 v56, 32, v54
	v_subrev_u32_e32 v54, 28, v56
	v_lshlrev_b64 v[54:55], v54, v[42:43]
	v_lshrrev_b32_e32 v53, 3, v52
	v_sub_u32_e32 v42, 29, v56
	v_and_b32_e32 v54, 7, v54
	v_cmp_gt_u32_e32 vcc, 8, v52
	v_cndmask_b32_e32 v42, v53, v42, vcc
	v_cndmask_b32_e32 v45, v45, v54, vcc
	v_lshlrev_b32_e32 v52, 16, v34
	v_bfrev_b32_e32 v53, 60
	v_lshlrev_b32_e32 v45, 20, v45
	v_and_b32_e32 v52, 0x80000000, v52
	v_lshl_add_u32 v42, v42, 23, v53
	v_or3_b32 v45, v52, v42, v45
.LBB582_23:
	s_or_b64 exec, exec, s[10:11]
.LBB582_24:
	s_or_b64 exec, exec, s[8:9]
.LBB582_25:
	s_or_b64 exec, exec, s[2:3]
	s_movk_i32 s2, 0xff
	v_and_b32_sdwa v52, v34, s2 dst_sel:DWORD dst_unused:UNUSED_PAD src0_sel:WORD_1 src1_sel:DWORD
	v_lshrrev_b32_e32 v42, 16, v34
	v_cmp_ne_u16_e32 vcc, 0, v52
	s_and_saveexec_b64 s[2:3], vcc
	s_cbranch_execz .LBB582_31
; %bb.26:
	s_movk_i32 s8, 0x80
	v_cmp_ne_u16_e32 vcc, s8, v52
	v_bfrev_b32_e32 v44, 1
	s_and_saveexec_b64 s[8:9], vcc
	s_cbranch_execz .LBB582_30
; %bb.27:
	v_bfe_u32 v52, v34, 16, 7
	s_movk_i32 s10, 0x7f
	v_cmp_ne_u32_e32 vcc, s10, v52
	v_mov_b32_e32 v44, 0x7f800001
	s_and_saveexec_b64 s[10:11], vcc
	s_cbranch_execz .LBB582_29
; %bb.28:
	v_and_b32_e32 v44, 7, v42
	v_ffbh_u32_e32 v54, v44
	v_min_u32_e32 v56, 32, v54
	v_subrev_u32_e32 v54, 28, v56
	v_lshlrev_b64 v[54:55], v54, v[42:43]
	v_lshrrev_b32_e32 v53, 3, v52
	v_sub_u32_e32 v42, 29, v56
	v_and_b32_e32 v54, 7, v54
	v_cmp_gt_u32_e32 vcc, 8, v52
	v_mov_b32_e32 v52, 24
	v_cndmask_b32_e32 v42, v53, v42, vcc
	v_cndmask_b32_e32 v44, v44, v54, vcc
	v_lshlrev_b32_sdwa v52, v52, v34 dst_sel:DWORD dst_unused:UNUSED_PAD src0_sel:DWORD src1_sel:WORD_1
	v_bfrev_b32_e32 v53, 60
	v_lshlrev_b32_e32 v44, 20, v44
	v_and_b32_e32 v52, 0x80000000, v52
	v_lshl_add_u32 v42, v42, 23, v53
	v_or3_b32 v44, v52, v42, v44
.LBB582_29:
	s_or_b64 exec, exec, s[10:11]
.LBB582_30:
	s_or_b64 exec, exec, s[8:9]
.LBB582_31:
	s_or_b64 exec, exec, s[2:3]
	s_mov_b32 s2, 0xffffff
	v_cmp_lt_u32_e32 vcc, s2, v34
	v_mov_b32_e32 v53, 0
	v_mov_b32_e32 v54, 0
	s_and_saveexec_b64 s[2:3], vcc
	s_cbranch_execz .LBB582_37
; %bb.32:
	v_lshrrev_b32_e32 v42, 24, v34
	s_movk_i32 s8, 0x80
	v_cmp_ne_u32_e32 vcc, s8, v42
	v_bfrev_b32_e32 v54, 1
	s_and_saveexec_b64 s[8:9], vcc
	s_cbranch_execz .LBB582_36
; %bb.33:
	v_bfe_u32 v34, v34, 24, 7
	s_movk_i32 s10, 0x7f
	v_cmp_ne_u32_e32 vcc, s10, v34
	v_mov_b32_e32 v54, 0x7f800001
	s_and_saveexec_b64 s[10:11], vcc
	s_cbranch_execz .LBB582_35
; %bb.34:
	v_and_b32_e32 v52, 7, v42
	v_ffbh_u32_e32 v54, v52
	v_min_u32_e32 v57, 32, v54
	v_subrev_u32_e32 v54, 28, v57
	v_lshlrev_b64 v[54:55], v54, v[42:43]
	v_lshrrev_b32_e32 v56, 3, v34
	v_sub_u32_e32 v55, 29, v57
	v_and_b32_e32 v54, 7, v54
	v_cmp_gt_u32_e32 vcc, 8, v34
	v_cndmask_b32_e32 v34, v56, v55, vcc
	v_cndmask_b32_e32 v52, v52, v54, vcc
	v_lshlrev_b32_e32 v42, 24, v42
	v_bfrev_b32_e32 v54, 60
	v_lshlrev_b32_e32 v52, 20, v52
	v_and_b32_e32 v42, 0x80000000, v42
	v_lshl_add_u32 v34, v34, 23, v54
	v_or3_b32 v54, v42, v34, v52
.LBB582_35:
	s_or_b64 exec, exec, s[10:11]
.LBB582_36:
	s_or_b64 exec, exec, s[8:9]
.LBB582_37:
	s_or_b64 exec, exec, s[2:3]
	v_cmp_ne_u16_sdwa s[8:9], v35, v53 src0_sel:BYTE_0 src1_sel:DWORD
	s_and_saveexec_b64 s[2:3], s[8:9]
	s_cbranch_execz .LBB582_43
; %bb.38:
	s_movk_i32 s8, 0x80
	v_cmp_ne_u16_sdwa s[10:11], v35, s8 src0_sel:BYTE_0 src1_sel:DWORD
	v_bfrev_b32_e32 v53, 1
	s_and_saveexec_b64 s[8:9], s[10:11]
	s_cbranch_execz .LBB582_42
; %bb.39:
	s_movk_i32 s10, 0x7f
	v_and_b32_e32 v34, 0x7f, v35
	v_cmp_ne_u32_e32 vcc, s10, v34
	v_mov_b32_e32 v53, 0x7f800001
	s_and_saveexec_b64 s[10:11], vcc
	s_cbranch_execz .LBB582_41
; %bb.40:
	v_and_b32_e32 v55, 7, v35
	v_ffbh_u32_e32 v52, v55
	v_min_u32_e32 v57, 32, v52
	v_mov_b32_e32 v42, v35
	v_subrev_u32_e32 v52, 28, v57
	v_lshlrev_b64 v[52:53], v52, v[42:43]
	v_lshrrev_b32_e32 v56, 3, v34
	v_sub_u32_e32 v42, 29, v57
	v_and_b32_e32 v52, 7, v52
	v_cmp_gt_u32_e32 vcc, 8, v34
	v_cndmask_b32_e32 v34, v56, v42, vcc
	v_cndmask_b32_e32 v42, v55, v52, vcc
	v_lshlrev_b32_e32 v52, 24, v35
	v_bfrev_b32_e32 v53, 60
	v_lshlrev_b32_e32 v42, 20, v42
	v_and_b32_e32 v52, 0x80000000, v52
	v_lshl_add_u32 v34, v34, 23, v53
	v_or3_b32 v53, v52, v34, v42
.LBB582_41:
	s_or_b64 exec, exec, s[10:11]
.LBB582_42:
	s_or_b64 exec, exec, s[8:9]
.LBB582_43:
	s_or_b64 exec, exec, s[2:3]
	v_lshrrev_b16_e32 v34, 8, v35
	v_cmp_ne_u16_e32 vcc, 0, v34
	v_mov_b32_e32 v42, 0
	v_mov_b32_e32 v55, 0
	s_and_saveexec_b64 s[2:3], vcc
	s_cbranch_execz .LBB582_49
; %bb.44:
	s_movk_i32 s8, 0x80
	v_cmp_ne_u16_e32 vcc, s8, v34
	v_bfrev_b32_e32 v55, 1
	s_and_saveexec_b64 s[8:9], vcc
	s_cbranch_execz .LBB582_48
; %bb.45:
	s_movk_i32 s10, 0x7f
	v_and_b32_e32 v52, 0x7f, v34
	v_cmp_ne_u32_e32 vcc, s10, v52
	v_mov_b32_e32 v55, 0x7f800001
	s_and_saveexec_b64 s[10:11], vcc
	s_cbranch_execz .LBB582_47
; %bb.46:
	v_and_b32_e32 v55, 7, v34
	v_ffbh_u32_e32 v56, v55
	v_min_u32_e32 v59, 32, v56
	v_subrev_u32_e32 v56, 28, v59
	v_lshlrev_b64 v[56:57], v56, v[34:35]
	v_lshrrev_b32_e32 v58, 3, v52
	v_sub_u32_e32 v34, 29, v59
	v_and_b32_e32 v56, 7, v56
	v_cmp_gt_u32_e32 vcc, 8, v52
	v_cndmask_b32_e32 v34, v58, v34, vcc
	v_cndmask_b32_e32 v52, v55, v56, vcc
	v_lshlrev_b32_e32 v55, 16, v35
	v_bfrev_b32_e32 v56, 60
	v_lshlrev_b32_e32 v52, 20, v52
	v_and_b32_e32 v55, 0x80000000, v55
	v_lshl_add_u32 v34, v34, 23, v56
	v_or3_b32 v55, v55, v34, v52
.LBB582_47:
	s_or_b64 exec, exec, s[10:11]
.LBB582_48:
	s_or_b64 exec, exec, s[8:9]
.LBB582_49:
	s_or_b64 exec, exec, s[2:3]
	s_movk_i32 s2, 0xff
	v_and_b32_sdwa v52, v35, s2 dst_sel:DWORD dst_unused:UNUSED_PAD src0_sel:WORD_1 src1_sel:DWORD
	v_lshrrev_b32_e32 v34, 16, v35
	v_cmp_ne_u16_e32 vcc, 0, v52
	s_and_saveexec_b64 s[2:3], vcc
	s_cbranch_execz .LBB582_55
; %bb.50:
	s_movk_i32 s8, 0x80
	v_cmp_ne_u16_e32 vcc, s8, v52
	v_bfrev_b32_e32 v42, 1
	s_and_saveexec_b64 s[8:9], vcc
	s_cbranch_execz .LBB582_54
; %bb.51:
	v_bfe_u32 v52, v35, 16, 7
	s_movk_i32 s10, 0x7f
	v_cmp_ne_u32_e32 vcc, s10, v52
	v_mov_b32_e32 v42, 0x7f800001
	s_and_saveexec_b64 s[10:11], vcc
	s_cbranch_execz .LBB582_53
; %bb.52:
	v_and_b32_e32 v42, 7, v34
	v_ffbh_u32_e32 v56, v42
	v_min_u32_e32 v59, 32, v56
	v_subrev_u32_e32 v56, 28, v59
	v_lshlrev_b64 v[56:57], v56, v[34:35]
	v_lshrrev_b32_e32 v58, 3, v52
	v_sub_u32_e32 v34, 29, v59
	v_and_b32_e32 v56, 7, v56
	v_cmp_gt_u32_e32 vcc, 8, v52
	v_mov_b32_e32 v52, 24
	v_cndmask_b32_e32 v34, v58, v34, vcc
	v_cndmask_b32_e32 v42, v42, v56, vcc
	v_lshlrev_b32_sdwa v52, v52, v35 dst_sel:DWORD dst_unused:UNUSED_PAD src0_sel:DWORD src1_sel:WORD_1
	v_bfrev_b32_e32 v56, 60
	v_lshlrev_b32_e32 v42, 20, v42
	v_and_b32_e32 v52, 0x80000000, v52
	v_lshl_add_u32 v34, v34, 23, v56
	v_or3_b32 v42, v52, v34, v42
.LBB582_53:
	s_or_b64 exec, exec, s[10:11]
.LBB582_54:
	s_or_b64 exec, exec, s[8:9]
.LBB582_55:
	s_or_b64 exec, exec, s[2:3]
	s_mov_b32 s2, 0xffffff
	v_cmp_lt_u32_e32 vcc, s2, v35
	v_mov_b32_e32 v52, 0
	v_mov_b32_e32 v56, 0
	s_and_saveexec_b64 s[2:3], vcc
	s_cbranch_execz .LBB582_61
; %bb.56:
	v_lshrrev_b32_e32 v34, 24, v35
	s_movk_i32 s8, 0x80
	v_cmp_ne_u32_e32 vcc, s8, v34
	v_bfrev_b32_e32 v56, 1
	s_and_saveexec_b64 s[8:9], vcc
	s_cbranch_execz .LBB582_60
; %bb.57:
	v_bfe_u32 v35, v35, 24, 7
	s_movk_i32 s10, 0x7f
	v_cmp_ne_u32_e32 vcc, s10, v35
	v_mov_b32_e32 v56, 0x7f800001
	s_and_saveexec_b64 s[10:11], vcc
	s_cbranch_execz .LBB582_59
; %bb.58:
	v_and_b32_e32 v58, 7, v34
	v_ffbh_u32_e32 v56, v58
	v_min_u32_e32 v60, 32, v56
	v_subrev_u32_e32 v56, 28, v60
	v_lshlrev_b64 v[56:57], v56, v[34:35]
	v_lshrrev_b32_e32 v59, 3, v35
	v_sub_u32_e32 v57, 29, v60
	v_and_b32_e32 v56, 7, v56
	v_cmp_gt_u32_e32 vcc, 8, v35
	v_cndmask_b32_e32 v35, v59, v57, vcc
	v_cndmask_b32_e32 v56, v58, v56, vcc
	v_lshlrev_b32_e32 v34, 24, v34
	v_bfrev_b32_e32 v57, 60
	v_lshlrev_b32_e32 v56, 20, v56
	v_and_b32_e32 v34, 0x80000000, v34
	v_lshl_add_u32 v35, v35, 23, v57
	v_or3_b32 v56, v34, v35, v56
.LBB582_59:
	s_or_b64 exec, exec, s[10:11]
.LBB582_60:
	s_or_b64 exec, exec, s[8:9]
.LBB582_61:
	s_or_b64 exec, exec, s[2:3]
	v_cvt_pkrtz_f16_f32 v34, v43, v45
	v_cvt_pkrtz_f16_f32 v35, v44, v54
	v_cmp_ne_u16_sdwa s[8:9], v36, v52 src0_sel:BYTE_0 src1_sel:DWORD
	s_nop 0
	v_mfma_f32_16x16x16f16 v[58:61], v[34:35], v[26:27], 0
	v_cvt_pkrtz_f16_f32 v34, v53, v55
	v_cvt_pkrtz_f16_f32 v35, v42, v56
	s_nop 1
	v_mfma_f32_16x16x16f16 v[42:45], v[34:35], v[28:29], v[58:61]
	s_and_saveexec_b64 s[2:3], s[8:9]
	s_cbranch_execz .LBB582_67
; %bb.62:
	s_movk_i32 s8, 0x80
	v_cmp_ne_u16_sdwa s[10:11], v36, s8 src0_sel:BYTE_0 src1_sel:DWORD
	v_bfrev_b32_e32 v52, 1
	s_and_saveexec_b64 s[8:9], s[10:11]
	s_cbranch_execz .LBB582_66
; %bb.63:
	s_movk_i32 s10, 0x7f
	v_and_b32_e32 v34, 0x7f, v36
	v_cmp_ne_u32_e32 vcc, s10, v34
	v_mov_b32_e32 v52, 0x7f800001
	s_and_saveexec_b64 s[10:11], vcc
	s_cbranch_execz .LBB582_65
; %bb.64:
	v_and_b32_e32 v35, 7, v36
	v_ffbh_u32_e32 v52, v35
	v_min_u32_e32 v55, 32, v52
	v_subrev_u32_e32 v52, 28, v55
	v_lshlrev_b64 v[52:53], v52, v[36:37]
	v_lshrrev_b32_e32 v54, 3, v34
	v_sub_u32_e32 v53, 29, v55
	v_and_b32_e32 v52, 7, v52
	v_cmp_gt_u32_e32 vcc, 8, v34
	v_cndmask_b32_e32 v34, v54, v53, vcc
	v_cndmask_b32_e32 v35, v35, v52, vcc
	v_lshlrev_b32_e32 v52, 24, v36
	v_bfrev_b32_e32 v53, 60
	v_lshlrev_b32_e32 v35, 20, v35
	v_and_b32_e32 v52, 0x80000000, v52
	v_lshl_add_u32 v34, v34, 23, v53
	v_or3_b32 v52, v52, v34, v35
.LBB582_65:
	s_or_b64 exec, exec, s[10:11]
.LBB582_66:
	s_or_b64 exec, exec, s[8:9]
.LBB582_67:
	s_or_b64 exec, exec, s[2:3]
	v_lshrrev_b16_e32 v34, 8, v36
	v_cmp_ne_u16_e32 vcc, 0, v34
	v_mov_b32_e32 v35, 0
	v_mov_b32_e32 v54, 0
	s_and_saveexec_b64 s[2:3], vcc
	s_cbranch_execz .LBB582_73
; %bb.68:
	s_movk_i32 s8, 0x80
	v_cmp_ne_u16_e32 vcc, s8, v34
	v_bfrev_b32_e32 v54, 1
	s_and_saveexec_b64 s[8:9], vcc
	s_cbranch_execz .LBB582_72
; %bb.69:
	s_movk_i32 s10, 0x7f
	v_and_b32_e32 v53, 0x7f, v34
	v_cmp_ne_u32_e32 vcc, s10, v53
	v_mov_b32_e32 v54, 0x7f800001
	s_and_saveexec_b64 s[10:11], vcc
	s_cbranch_execz .LBB582_71
; %bb.70:
	v_and_b32_e32 v56, 7, v34
	v_ffbh_u32_e32 v54, v56
	v_min_u32_e32 v58, 32, v54
	v_subrev_u32_e32 v54, 28, v58
	v_lshlrev_b64 v[54:55], v54, v[34:35]
	v_lshrrev_b32_e32 v57, 3, v53
	v_sub_u32_e32 v34, 29, v58
	v_and_b32_e32 v54, 7, v54
	v_cmp_gt_u32_e32 vcc, 8, v53
	v_cndmask_b32_e32 v34, v57, v34, vcc
	v_cndmask_b32_e32 v53, v56, v54, vcc
	v_lshlrev_b32_e32 v54, 16, v36
	v_bfrev_b32_e32 v55, 60
	v_lshlrev_b32_e32 v53, 20, v53
	v_and_b32_e32 v54, 0x80000000, v54
	v_lshl_add_u32 v34, v34, 23, v55
	v_or3_b32 v54, v54, v34, v53
.LBB582_71:
	s_or_b64 exec, exec, s[10:11]
.LBB582_72:
	s_or_b64 exec, exec, s[8:9]
.LBB582_73:
	s_or_b64 exec, exec, s[2:3]
	s_movk_i32 s2, 0xff
	v_and_b32_sdwa v53, v36, s2 dst_sel:DWORD dst_unused:UNUSED_PAD src0_sel:WORD_1 src1_sel:DWORD
	v_lshrrev_b32_e32 v34, 16, v36
	v_cmp_ne_u16_e32 vcc, 0, v53
	s_and_saveexec_b64 s[2:3], vcc
	s_cbranch_execz .LBB582_79
; %bb.74:
	s_movk_i32 s8, 0x80
	v_cmp_ne_u16_e32 vcc, s8, v53
	v_bfrev_b32_e32 v35, 1
	s_and_saveexec_b64 s[8:9], vcc
	s_cbranch_execz .LBB582_78
; %bb.75:
	v_bfe_u32 v53, v36, 16, 7
	s_movk_i32 s10, 0x7f
	v_cmp_ne_u32_e32 vcc, s10, v53
	v_mov_b32_e32 v35, 0x7f800001
	s_and_saveexec_b64 s[10:11], vcc
	s_cbranch_execz .LBB582_77
; %bb.76:
	v_and_b32_e32 v55, 7, v34
	v_ffbh_u32_e32 v35, v55
	v_min_u32_e32 v57, 32, v35
	v_subrev_u32_e32 v35, 28, v57
	v_lshlrev_b64 v[34:35], v35, v[34:35]
	v_lshrrev_b32_e32 v56, 3, v53
	v_sub_u32_e32 v35, 29, v57
	v_and_b32_e32 v34, 7, v34
	v_cmp_gt_u32_e32 vcc, 8, v53
	v_mov_b32_e32 v53, 24
	v_cndmask_b32_e32 v35, v56, v35, vcc
	v_cndmask_b32_e32 v34, v55, v34, vcc
	v_lshlrev_b32_sdwa v53, v53, v36 dst_sel:DWORD dst_unused:UNUSED_PAD src0_sel:DWORD src1_sel:WORD_1
	v_bfrev_b32_e32 v55, 60
	v_lshlrev_b32_e32 v34, 20, v34
	v_and_b32_e32 v53, 0x80000000, v53
	v_lshl_add_u32 v35, v35, 23, v55
	v_or3_b32 v35, v53, v35, v34
.LBB582_77:
	s_or_b64 exec, exec, s[10:11]
.LBB582_78:
	s_or_b64 exec, exec, s[8:9]
.LBB582_79:
	s_or_b64 exec, exec, s[2:3]
	s_mov_b32 s2, 0xffffff
	v_cmp_lt_u32_e32 vcc, s2, v36
	v_mov_b32_e32 v55, 0
	v_mov_b32_e32 v56, 0
	s_and_saveexec_b64 s[2:3], vcc
	s_cbranch_execz .LBB582_85
; %bb.80:
	v_lshrrev_b32_e32 v34, 24, v36
	s_movk_i32 s8, 0x80
	v_cmp_ne_u32_e32 vcc, s8, v34
	v_bfrev_b32_e32 v56, 1
	s_and_saveexec_b64 s[8:9], vcc
	s_cbranch_execz .LBB582_84
; %bb.81:
	v_bfe_u32 v36, v36, 24, 7
	s_movk_i32 s10, 0x7f
	v_cmp_ne_u32_e32 vcc, s10, v36
	v_mov_b32_e32 v56, 0x7f800001
	s_and_saveexec_b64 s[10:11], vcc
	s_cbranch_execz .LBB582_83
; %bb.82:
	v_and_b32_e32 v53, 7, v34
	v_ffbh_u32_e32 v56, v53
	v_min_u32_e32 v59, 32, v56
	v_subrev_u32_e32 v56, 28, v59
	v_lshlrev_b64 v[56:57], v56, v[34:35]
	v_lshrrev_b32_e32 v58, 3, v36
	v_sub_u32_e32 v57, 29, v59
	v_and_b32_e32 v56, 7, v56
	v_cmp_gt_u32_e32 vcc, 8, v36
	v_cndmask_b32_e32 v36, v58, v57, vcc
	v_cndmask_b32_e32 v53, v53, v56, vcc
	v_lshlrev_b32_e32 v34, 24, v34
	v_bfrev_b32_e32 v56, 60
	v_lshlrev_b32_e32 v53, 20, v53
	v_and_b32_e32 v34, 0x80000000, v34
	v_lshl_add_u32 v36, v36, 23, v56
	v_or3_b32 v56, v34, v36, v53
.LBB582_83:
	s_or_b64 exec, exec, s[10:11]
.LBB582_84:
	s_or_b64 exec, exec, s[8:9]
.LBB582_85:
	s_or_b64 exec, exec, s[2:3]
	v_cmp_ne_u16_sdwa s[8:9], v37, v55 src0_sel:BYTE_0 src1_sel:DWORD
	s_and_saveexec_b64 s[2:3], s[8:9]
	s_cbranch_execz .LBB582_91
; %bb.86:
	s_movk_i32 s8, 0x80
	v_cmp_ne_u16_sdwa s[10:11], v37, s8 src0_sel:BYTE_0 src1_sel:DWORD
	v_bfrev_b32_e32 v55, 1
	s_and_saveexec_b64 s[8:9], s[10:11]
	s_cbranch_execz .LBB582_90
; %bb.87:
	s_movk_i32 s10, 0x7f
	v_and_b32_e32 v34, 0x7f, v37
	v_cmp_ne_u32_e32 vcc, s10, v34
	v_mov_b32_e32 v55, 0x7f800001
	s_and_saveexec_b64 s[10:11], vcc
	s_cbranch_execz .LBB582_89
; %bb.88:
	v_and_b32_e32 v53, 7, v37
	v_ffbh_u32_e32 v57, v53
	v_min_u32_e32 v57, 32, v57
	v_mov_b32_e32 v36, v37
	v_subrev_u32_e32 v58, 28, v57
	v_lshlrev_b64 v[58:59], v58, v[36:37]
	v_lshrrev_b32_e32 v55, 3, v34
	v_sub_u32_e32 v36, 29, v57
	v_and_b32_e32 v57, 7, v58
	v_cmp_gt_u32_e32 vcc, 8, v34
	v_cndmask_b32_e32 v34, v55, v36, vcc
	v_cndmask_b32_e32 v36, v53, v57, vcc
	v_lshlrev_b32_e32 v53, 24, v37
	v_bfrev_b32_e32 v55, 60
	v_lshlrev_b32_e32 v36, 20, v36
	v_and_b32_e32 v53, 0x80000000, v53
	v_lshl_add_u32 v34, v34, 23, v55
	v_or3_b32 v55, v53, v34, v36
.LBB582_89:
	s_or_b64 exec, exec, s[10:11]
.LBB582_90:
	s_or_b64 exec, exec, s[8:9]
.LBB582_91:
	s_or_b64 exec, exec, s[2:3]
	v_lshrrev_b16_e32 v34, 8, v37
	v_cmp_ne_u16_e32 vcc, 0, v34
	v_mov_b32_e32 v36, 0
	v_mov_b32_e32 v57, 0
	s_and_saveexec_b64 s[2:3], vcc
	s_cbranch_execz .LBB582_97
; %bb.92:
	s_movk_i32 s8, 0x80
	v_cmp_ne_u16_e32 vcc, s8, v34
	v_bfrev_b32_e32 v57, 1
	s_and_saveexec_b64 s[8:9], vcc
	s_cbranch_execz .LBB582_96
; %bb.93:
	s_movk_i32 s10, 0x7f
	v_and_b32_e32 v53, 0x7f, v34
	v_cmp_ne_u32_e32 vcc, s10, v53
	v_mov_b32_e32 v57, 0x7f800001
	s_and_saveexec_b64 s[10:11], vcc
	s_cbranch_execz .LBB582_95
; %bb.94:
	v_and_b32_e32 v57, 7, v34
	v_ffbh_u32_e32 v58, v57
	v_min_u32_e32 v61, 32, v58
	v_subrev_u32_e32 v58, 28, v61
	v_lshlrev_b64 v[58:59], v58, v[34:35]
	v_lshrrev_b32_e32 v60, 3, v53
	v_sub_u32_e32 v34, 29, v61
	v_and_b32_e32 v58, 7, v58
	v_cmp_gt_u32_e32 vcc, 8, v53
	v_cndmask_b32_e32 v34, v60, v34, vcc
	v_cndmask_b32_e32 v53, v57, v58, vcc
	v_lshlrev_b32_e32 v57, 16, v37
	v_bfrev_b32_e32 v58, 60
	v_lshlrev_b32_e32 v53, 20, v53
	v_and_b32_e32 v57, 0x80000000, v57
	v_lshl_add_u32 v34, v34, 23, v58
	v_or3_b32 v57, v57, v34, v53
.LBB582_95:
	s_or_b64 exec, exec, s[10:11]
.LBB582_96:
	s_or_b64 exec, exec, s[8:9]
.LBB582_97:
	s_or_b64 exec, exec, s[2:3]
	s_movk_i32 s2, 0xff
	v_and_b32_sdwa v53, v37, s2 dst_sel:DWORD dst_unused:UNUSED_PAD src0_sel:WORD_1 src1_sel:DWORD
	v_lshrrev_b32_e32 v34, 16, v37
	v_cmp_ne_u16_e32 vcc, 0, v53
	s_and_saveexec_b64 s[2:3], vcc
	s_cbranch_execz .LBB582_103
; %bb.98:
	s_movk_i32 s8, 0x80
	v_cmp_ne_u16_e32 vcc, s8, v53
	v_bfrev_b32_e32 v36, 1
	s_and_saveexec_b64 s[8:9], vcc
	s_cbranch_execz .LBB582_102
; %bb.99:
	v_bfe_u32 v53, v37, 16, 7
	s_movk_i32 s10, 0x7f
	v_cmp_ne_u32_e32 vcc, s10, v53
	v_mov_b32_e32 v36, 0x7f800001
	s_and_saveexec_b64 s[10:11], vcc
	s_cbranch_execz .LBB582_101
; %bb.100:
	v_and_b32_e32 v36, 7, v34
	v_ffbh_u32_e32 v58, v36
	v_min_u32_e32 v61, 32, v58
	v_subrev_u32_e32 v58, 28, v61
	v_lshlrev_b64 v[58:59], v58, v[34:35]
	v_lshrrev_b32_e32 v60, 3, v53
	v_sub_u32_e32 v34, 29, v61
	v_and_b32_e32 v58, 7, v58
	v_cmp_gt_u32_e32 vcc, 8, v53
	v_mov_b32_e32 v53, 24
	v_cndmask_b32_e32 v34, v60, v34, vcc
	v_cndmask_b32_e32 v36, v36, v58, vcc
	v_lshlrev_b32_sdwa v53, v53, v37 dst_sel:DWORD dst_unused:UNUSED_PAD src0_sel:DWORD src1_sel:WORD_1
	v_bfrev_b32_e32 v58, 60
	v_lshlrev_b32_e32 v36, 20, v36
	v_and_b32_e32 v53, 0x80000000, v53
	v_lshl_add_u32 v34, v34, 23, v58
	v_or3_b32 v36, v53, v34, v36
.LBB582_101:
	s_or_b64 exec, exec, s[10:11]
.LBB582_102:
	s_or_b64 exec, exec, s[8:9]
.LBB582_103:
	s_or_b64 exec, exec, s[2:3]
	s_mov_b32 s2, 0xffffff
	v_cmp_lt_u32_e32 vcc, s2, v37
	v_mov_b32_e32 v53, 0
	v_mov_b32_e32 v58, 0
	s_and_saveexec_b64 s[2:3], vcc
	s_cbranch_execz .LBB582_109
; %bb.104:
	v_lshrrev_b32_e32 v34, 24, v37
	s_movk_i32 s8, 0x80
	v_cmp_ne_u32_e32 vcc, s8, v34
	v_bfrev_b32_e32 v58, 1
	s_and_saveexec_b64 s[8:9], vcc
	s_cbranch_execz .LBB582_108
; %bb.105:
	v_bfe_u32 v37, v37, 24, 7
	s_movk_i32 s10, 0x7f
	v_cmp_ne_u32_e32 vcc, s10, v37
	v_mov_b32_e32 v58, 0x7f800001
	s_and_saveexec_b64 s[10:11], vcc
	s_cbranch_execz .LBB582_107
; %bb.106:
	v_and_b32_e32 v60, 7, v34
	v_ffbh_u32_e32 v58, v60
	v_min_u32_e32 v62, 32, v58
	v_subrev_u32_e32 v58, 28, v62
	v_lshlrev_b64 v[58:59], v58, v[34:35]
	v_lshrrev_b32_e32 v61, 3, v37
	v_sub_u32_e32 v59, 29, v62
	v_and_b32_e32 v58, 7, v58
	v_cmp_gt_u32_e32 vcc, 8, v37
	v_cndmask_b32_e32 v37, v61, v59, vcc
	v_cndmask_b32_e32 v58, v60, v58, vcc
	v_lshlrev_b32_e32 v34, 24, v34
	v_bfrev_b32_e32 v59, 60
	v_lshlrev_b32_e32 v58, 20, v58
	v_and_b32_e32 v34, 0x80000000, v34
	v_lshl_add_u32 v37, v37, 23, v59
	v_or3_b32 v58, v34, v37, v58
.LBB582_107:
	s_or_b64 exec, exec, s[10:11]
.LBB582_108:
	s_or_b64 exec, exec, s[8:9]
.LBB582_109:
	s_or_b64 exec, exec, s[2:3]
	v_cvt_pkrtz_f16_f32 v34, v52, v54
	v_cvt_pkrtz_f16_f32 v35, v35, v56
	v_cmp_ne_u16_sdwa s[8:9], v38, v53 src0_sel:BYTE_0 src1_sel:DWORD
	s_nop 0
	v_mfma_f32_16x16x16f16 v[42:45], v[34:35], v[18:19], v[42:45]
	v_cvt_pkrtz_f16_f32 v34, v55, v57
	v_cvt_pkrtz_f16_f32 v35, v36, v58
	s_nop 1
	v_mfma_f32_16x16x16f16 v[34:37], v[34:35], v[20:21], v[42:45]
	s_and_saveexec_b64 s[2:3], s[8:9]
	s_cbranch_execz .LBB582_115
; %bb.110:
	s_movk_i32 s8, 0x80
	v_cmp_ne_u16_sdwa s[10:11], v38, s8 src0_sel:BYTE_0 src1_sel:DWORD
	v_bfrev_b32_e32 v53, 1
	s_and_saveexec_b64 s[8:9], s[10:11]
	s_cbranch_execz .LBB582_114
; %bb.111:
	s_movk_i32 s10, 0x7f
	v_and_b32_e32 v42, 0x7f, v38
	v_cmp_ne_u32_e32 vcc, s10, v42
	v_mov_b32_e32 v53, 0x7f800001
	s_and_saveexec_b64 s[10:11], vcc
	s_cbranch_execz .LBB582_113
; %bb.112:
	v_and_b32_e32 v43, 7, v38
	v_ffbh_u32_e32 v44, v43
	v_min_u32_e32 v53, 32, v44
	v_subrev_u32_e32 v44, 28, v53
	v_lshlrev_b64 v[44:45], v44, v[38:39]
	v_lshrrev_b32_e32 v52, 3, v42
	v_sub_u32_e32 v45, 29, v53
	v_and_b32_e32 v44, 7, v44
	v_cmp_gt_u32_e32 vcc, 8, v42
	v_cndmask_b32_e32 v42, v52, v45, vcc
	v_cndmask_b32_e32 v43, v43, v44, vcc
	v_lshlrev_b32_e32 v44, 24, v38
	v_bfrev_b32_e32 v45, 60
	v_lshlrev_b32_e32 v43, 20, v43
	v_and_b32_e32 v44, 0x80000000, v44
	v_lshl_add_u32 v42, v42, 23, v45
	v_or3_b32 v53, v44, v42, v43
.LBB582_113:
	s_or_b64 exec, exec, s[10:11]
.LBB582_114:
	s_or_b64 exec, exec, s[8:9]
.LBB582_115:
	s_or_b64 exec, exec, s[2:3]
	s_nop 3
	v_lshrrev_b16_e32 v42, 8, v38
	v_cmp_ne_u16_e32 vcc, 0, v42
	v_mov_b32_e32 v43, 0
	v_mov_b32_e32 v44, 0
	s_and_saveexec_b64 s[2:3], vcc
	s_cbranch_execz .LBB582_121
; %bb.116:
	s_movk_i32 s8, 0x80
	v_cmp_ne_u16_e32 vcc, s8, v42
	v_bfrev_b32_e32 v44, 1
	s_and_saveexec_b64 s[8:9], vcc
	s_cbranch_execz .LBB582_120
; %bb.117:
	s_movk_i32 s10, 0x7f
	v_and_b32_e32 v45, 0x7f, v42
	v_cmp_ne_u32_e32 vcc, s10, v45
	v_mov_b32_e32 v44, 0x7f800001
	s_and_saveexec_b64 s[10:11], vcc
	s_cbranch_execz .LBB582_119
; %bb.118:
	v_and_b32_e32 v44, 7, v42
	v_ffbh_u32_e32 v54, v44
	v_min_u32_e32 v56, 32, v54
	v_subrev_u32_e32 v54, 28, v56
	v_lshlrev_b64 v[54:55], v54, v[42:43]
	v_lshrrev_b32_e32 v52, 3, v45
	v_sub_u32_e32 v42, 29, v56
	v_and_b32_e32 v54, 7, v54
	v_cmp_gt_u32_e32 vcc, 8, v45
	v_cndmask_b32_e32 v42, v52, v42, vcc
	v_cndmask_b32_e32 v44, v44, v54, vcc
	v_lshlrev_b32_e32 v45, 16, v38
	v_bfrev_b32_e32 v52, 60
	v_lshlrev_b32_e32 v44, 20, v44
	v_and_b32_e32 v45, 0x80000000, v45
	v_lshl_add_u32 v42, v42, 23, v52
	v_or3_b32 v44, v45, v42, v44
.LBB582_119:
	s_or_b64 exec, exec, s[10:11]
.LBB582_120:
	s_or_b64 exec, exec, s[8:9]
.LBB582_121:
	s_or_b64 exec, exec, s[2:3]
	s_movk_i32 s2, 0xff
	v_and_b32_sdwa v45, v38, s2 dst_sel:DWORD dst_unused:UNUSED_PAD src0_sel:WORD_1 src1_sel:DWORD
	v_lshrrev_b32_e32 v42, 16, v38
	v_cmp_ne_u16_e32 vcc, 0, v45
	s_and_saveexec_b64 s[2:3], vcc
	s_cbranch_execz .LBB582_127
; %bb.122:
	s_movk_i32 s8, 0x80
	v_cmp_ne_u16_e32 vcc, s8, v45
	v_bfrev_b32_e32 v43, 1
	s_and_saveexec_b64 s[8:9], vcc
	s_cbranch_execz .LBB582_126
; %bb.123:
	v_bfe_u32 v45, v38, 16, 7
	s_movk_i32 s10, 0x7f
	v_cmp_ne_u32_e32 vcc, s10, v45
	v_mov_b32_e32 v43, 0x7f800001
	s_and_saveexec_b64 s[10:11], vcc
	s_cbranch_execz .LBB582_125
; %bb.124:
	v_and_b32_e32 v52, 7, v42
	v_ffbh_u32_e32 v43, v52
	v_min_u32_e32 v55, 32, v43
	v_subrev_u32_e32 v43, 28, v55
	v_lshlrev_b64 v[42:43], v43, v[42:43]
	v_lshrrev_b32_e32 v54, 3, v45
	v_sub_u32_e32 v43, 29, v55
	v_and_b32_e32 v42, 7, v42
	v_cmp_gt_u32_e32 vcc, 8, v45
	v_mov_b32_e32 v45, 24
	v_cndmask_b32_e32 v43, v54, v43, vcc
	v_cndmask_b32_e32 v42, v52, v42, vcc
	v_lshlrev_b32_sdwa v45, v45, v38 dst_sel:DWORD dst_unused:UNUSED_PAD src0_sel:DWORD src1_sel:WORD_1
	v_bfrev_b32_e32 v52, 60
	v_lshlrev_b32_e32 v42, 20, v42
	v_and_b32_e32 v45, 0x80000000, v45
	v_lshl_add_u32 v43, v43, 23, v52
	v_or3_b32 v43, v45, v43, v42
.LBB582_125:
	s_or_b64 exec, exec, s[10:11]
.LBB582_126:
	s_or_b64 exec, exec, s[8:9]
.LBB582_127:
	s_or_b64 exec, exec, s[2:3]
	s_mov_b32 s2, 0xffffff
	v_cmp_lt_u32_e32 vcc, s2, v38
	v_mov_b32_e32 v45, 0
	v_mov_b32_e32 v54, 0
	s_and_saveexec_b64 s[2:3], vcc
	s_cbranch_execz .LBB582_133
; %bb.128:
	v_lshrrev_b32_e32 v42, 24, v38
	s_movk_i32 s8, 0x80
	v_cmp_ne_u32_e32 vcc, s8, v42
	v_bfrev_b32_e32 v54, 1
	s_and_saveexec_b64 s[8:9], vcc
	s_cbranch_execz .LBB582_132
; %bb.129:
	v_bfe_u32 v38, v38, 24, 7
	s_movk_i32 s10, 0x7f
	v_cmp_ne_u32_e32 vcc, s10, v38
	v_mov_b32_e32 v54, 0x7f800001
	s_and_saveexec_b64 s[10:11], vcc
	s_cbranch_execz .LBB582_131
; %bb.130:
	v_and_b32_e32 v52, 7, v42
	v_ffbh_u32_e32 v54, v52
	v_min_u32_e32 v57, 32, v54
	v_subrev_u32_e32 v54, 28, v57
	v_lshlrev_b64 v[54:55], v54, v[42:43]
	v_lshrrev_b32_e32 v56, 3, v38
	v_sub_u32_e32 v55, 29, v57
	v_and_b32_e32 v54, 7, v54
	v_cmp_gt_u32_e32 vcc, 8, v38
	v_cndmask_b32_e32 v38, v56, v55, vcc
	v_cndmask_b32_e32 v52, v52, v54, vcc
	v_lshlrev_b32_e32 v42, 24, v42
	v_bfrev_b32_e32 v54, 60
	v_lshlrev_b32_e32 v52, 20, v52
	v_and_b32_e32 v42, 0x80000000, v42
	v_lshl_add_u32 v38, v38, 23, v54
	v_or3_b32 v54, v42, v38, v52
.LBB582_131:
	s_or_b64 exec, exec, s[10:11]
.LBB582_132:
	s_or_b64 exec, exec, s[8:9]
.LBB582_133:
	s_or_b64 exec, exec, s[2:3]
	v_cmp_ne_u16_sdwa s[8:9], v39, v45 src0_sel:BYTE_0 src1_sel:DWORD
	s_and_saveexec_b64 s[2:3], s[8:9]
	s_cbranch_execz .LBB582_139
; %bb.134:
	s_movk_i32 s8, 0x80
	v_cmp_ne_u16_sdwa s[10:11], v39, s8 src0_sel:BYTE_0 src1_sel:DWORD
	v_bfrev_b32_e32 v45, 1
	s_and_saveexec_b64 s[8:9], s[10:11]
	s_cbranch_execz .LBB582_138
; %bb.135:
	s_movk_i32 s10, 0x7f
	v_and_b32_e32 v38, 0x7f, v39
	v_cmp_ne_u32_e32 vcc, s10, v38
	v_mov_b32_e32 v45, 0x7f800001
	s_and_saveexec_b64 s[10:11], vcc
	s_cbranch_execz .LBB582_137
; %bb.136:
	v_and_b32_e32 v45, 7, v39
	v_ffbh_u32_e32 v55, v45
	v_min_u32_e32 v55, 32, v55
	v_mov_b32_e32 v42, v39
	v_subrev_u32_e32 v56, 28, v55
	v_lshlrev_b64 v[56:57], v56, v[42:43]
	v_lshrrev_b32_e32 v52, 3, v38
	v_sub_u32_e32 v42, 29, v55
	v_and_b32_e32 v55, 7, v56
	v_cmp_gt_u32_e32 vcc, 8, v38
	v_cndmask_b32_e32 v38, v52, v42, vcc
	v_cndmask_b32_e32 v42, v45, v55, vcc
	v_lshlrev_b32_e32 v45, 24, v39
	v_bfrev_b32_e32 v52, 60
	v_lshlrev_b32_e32 v42, 20, v42
	v_and_b32_e32 v45, 0x80000000, v45
	v_lshl_add_u32 v38, v38, 23, v52
	v_or3_b32 v45, v45, v38, v42
.LBB582_137:
	s_or_b64 exec, exec, s[10:11]
.LBB582_138:
	s_or_b64 exec, exec, s[8:9]
.LBB582_139:
	s_or_b64 exec, exec, s[2:3]
	v_lshrrev_b16_e32 v38, 8, v39
	v_cmp_ne_u16_e32 vcc, 0, v38
	v_mov_b32_e32 v42, 0
	v_mov_b32_e32 v55, 0
	s_and_saveexec_b64 s[2:3], vcc
	s_cbranch_execz .LBB582_145
; %bb.140:
	s_movk_i32 s8, 0x80
	v_cmp_ne_u16_e32 vcc, s8, v38
	v_bfrev_b32_e32 v55, 1
	s_and_saveexec_b64 s[8:9], vcc
	s_cbranch_execz .LBB582_144
; %bb.141:
	s_movk_i32 s10, 0x7f
	v_and_b32_e32 v52, 0x7f, v38
	v_cmp_ne_u32_e32 vcc, s10, v52
	v_mov_b32_e32 v55, 0x7f800001
	s_and_saveexec_b64 s[10:11], vcc
	s_cbranch_execz .LBB582_143
; %bb.142:
	v_and_b32_e32 v55, 7, v38
	v_ffbh_u32_e32 v56, v55
	v_min_u32_e32 v59, 32, v56
	v_subrev_u32_e32 v56, 28, v59
	v_lshlrev_b64 v[56:57], v56, v[38:39]
	v_lshrrev_b32_e32 v58, 3, v52
	v_sub_u32_e32 v38, 29, v59
	v_and_b32_e32 v56, 7, v56
	v_cmp_gt_u32_e32 vcc, 8, v52
	v_cndmask_b32_e32 v38, v58, v38, vcc
	v_cndmask_b32_e32 v52, v55, v56, vcc
	v_lshlrev_b32_e32 v55, 16, v39
	v_bfrev_b32_e32 v56, 60
	v_lshlrev_b32_e32 v52, 20, v52
	v_and_b32_e32 v55, 0x80000000, v55
	v_lshl_add_u32 v38, v38, 23, v56
	v_or3_b32 v55, v55, v38, v52
.LBB582_143:
	s_or_b64 exec, exec, s[10:11]
.LBB582_144:
	s_or_b64 exec, exec, s[8:9]
.LBB582_145:
	s_or_b64 exec, exec, s[2:3]
	s_movk_i32 s2, 0xff
	v_and_b32_sdwa v52, v39, s2 dst_sel:DWORD dst_unused:UNUSED_PAD src0_sel:WORD_1 src1_sel:DWORD
	v_lshrrev_b32_e32 v38, 16, v39
	v_cmp_ne_u16_e32 vcc, 0, v52
	s_and_saveexec_b64 s[2:3], vcc
	s_cbranch_execz .LBB582_151
; %bb.146:
	s_movk_i32 s8, 0x80
	v_cmp_ne_u16_e32 vcc, s8, v52
	v_bfrev_b32_e32 v42, 1
	s_and_saveexec_b64 s[8:9], vcc
	s_cbranch_execz .LBB582_150
; %bb.147:
	v_bfe_u32 v52, v39, 16, 7
	s_movk_i32 s10, 0x7f
	v_cmp_ne_u32_e32 vcc, s10, v52
	v_mov_b32_e32 v42, 0x7f800001
	s_and_saveexec_b64 s[10:11], vcc
	s_cbranch_execz .LBB582_149
; %bb.148:
	v_and_b32_e32 v42, 7, v38
	v_ffbh_u32_e32 v56, v42
	v_min_u32_e32 v59, 32, v56
	v_subrev_u32_e32 v56, 28, v59
	v_lshlrev_b64 v[56:57], v56, v[38:39]
	v_lshrrev_b32_e32 v58, 3, v52
	v_sub_u32_e32 v38, 29, v59
	v_and_b32_e32 v56, 7, v56
	v_cmp_gt_u32_e32 vcc, 8, v52
	v_mov_b32_e32 v52, 24
	v_cndmask_b32_e32 v38, v58, v38, vcc
	v_cndmask_b32_e32 v42, v42, v56, vcc
	v_lshlrev_b32_sdwa v52, v52, v39 dst_sel:DWORD dst_unused:UNUSED_PAD src0_sel:DWORD src1_sel:WORD_1
	v_bfrev_b32_e32 v56, 60
	v_lshlrev_b32_e32 v42, 20, v42
	v_and_b32_e32 v52, 0x80000000, v52
	v_lshl_add_u32 v38, v38, 23, v56
	v_or3_b32 v42, v52, v38, v42
.LBB582_149:
	s_or_b64 exec, exec, s[10:11]
.LBB582_150:
	s_or_b64 exec, exec, s[8:9]
.LBB582_151:
	s_or_b64 exec, exec, s[2:3]
	s_mov_b32 s2, 0xffffff
	v_cmp_lt_u32_e32 vcc, s2, v39
	v_mov_b32_e32 v52, 0
	v_mov_b32_e32 v56, 0
	s_and_saveexec_b64 s[2:3], vcc
	s_cbranch_execz .LBB582_157
; %bb.152:
	v_lshrrev_b32_e32 v38, 24, v39
	s_movk_i32 s8, 0x80
	v_cmp_ne_u32_e32 vcc, s8, v38
	v_bfrev_b32_e32 v56, 1
	s_and_saveexec_b64 s[8:9], vcc
	s_cbranch_execz .LBB582_156
; %bb.153:
	v_bfe_u32 v39, v39, 24, 7
	s_movk_i32 s10, 0x7f
	v_cmp_ne_u32_e32 vcc, s10, v39
	v_mov_b32_e32 v56, 0x7f800001
	s_and_saveexec_b64 s[10:11], vcc
	s_cbranch_execz .LBB582_155
; %bb.154:
	v_and_b32_e32 v58, 7, v38
	v_ffbh_u32_e32 v56, v58
	v_min_u32_e32 v60, 32, v56
	v_subrev_u32_e32 v56, 28, v60
	v_lshlrev_b64 v[56:57], v56, v[38:39]
	v_lshrrev_b32_e32 v59, 3, v39
	v_sub_u32_e32 v57, 29, v60
	v_and_b32_e32 v56, 7, v56
	v_cmp_gt_u32_e32 vcc, 8, v39
	v_cndmask_b32_e32 v39, v59, v57, vcc
	v_cndmask_b32_e32 v56, v58, v56, vcc
	v_lshlrev_b32_e32 v38, 24, v38
	v_bfrev_b32_e32 v57, 60
	v_lshlrev_b32_e32 v56, 20, v56
	v_and_b32_e32 v38, 0x80000000, v38
	v_lshl_add_u32 v39, v39, 23, v57
	v_or3_b32 v56, v38, v39, v56
.LBB582_155:
	s_or_b64 exec, exec, s[10:11]
.LBB582_156:
	s_or_b64 exec, exec, s[8:9]
.LBB582_157:
	s_or_b64 exec, exec, s[2:3]
	v_cvt_pkrtz_f16_f32 v38, v53, v44
	v_cvt_pkrtz_f16_f32 v39, v43, v54
	v_cmp_ne_u16_sdwa s[8:9], v40, v52 src0_sel:BYTE_0 src1_sel:DWORD
	s_nop 0
	v_mfma_f32_16x16x16f16 v[58:61], v[38:39], v[26:27], 0
	v_cvt_pkrtz_f16_f32 v38, v45, v55
	v_cvt_pkrtz_f16_f32 v39, v42, v56
	s_nop 1
	v_mfma_f32_16x16x16f16 v[42:45], v[38:39], v[28:29], v[58:61]
	s_and_saveexec_b64 s[2:3], s[8:9]
	s_cbranch_execz .LBB582_163
; %bb.158:
	s_movk_i32 s8, 0x80
	v_cmp_ne_u16_sdwa s[10:11], v40, s8 src0_sel:BYTE_0 src1_sel:DWORD
	v_bfrev_b32_e32 v52, 1
	s_and_saveexec_b64 s[8:9], s[10:11]
	s_cbranch_execz .LBB582_162
; %bb.159:
	s_movk_i32 s10, 0x7f
	v_and_b32_e32 v38, 0x7f, v40
	v_cmp_ne_u32_e32 vcc, s10, v38
	v_mov_b32_e32 v52, 0x7f800001
	s_and_saveexec_b64 s[10:11], vcc
	s_cbranch_execz .LBB582_161
; %bb.160:
	v_and_b32_e32 v39, 7, v40
	v_ffbh_u32_e32 v52, v39
	v_min_u32_e32 v55, 32, v52
	v_subrev_u32_e32 v52, 28, v55
	v_lshlrev_b64 v[52:53], v52, v[40:41]
	v_lshrrev_b32_e32 v54, 3, v38
	v_sub_u32_e32 v53, 29, v55
	v_and_b32_e32 v52, 7, v52
	v_cmp_gt_u32_e32 vcc, 8, v38
	v_cndmask_b32_e32 v38, v54, v53, vcc
	v_cndmask_b32_e32 v39, v39, v52, vcc
	v_lshlrev_b32_e32 v52, 24, v40
	v_bfrev_b32_e32 v53, 60
	v_lshlrev_b32_e32 v39, 20, v39
	v_and_b32_e32 v52, 0x80000000, v52
	v_lshl_add_u32 v38, v38, 23, v53
	v_or3_b32 v52, v52, v38, v39
.LBB582_161:
	s_or_b64 exec, exec, s[10:11]
.LBB582_162:
	s_or_b64 exec, exec, s[8:9]
.LBB582_163:
	s_or_b64 exec, exec, s[2:3]
	v_lshrrev_b16_e32 v38, 8, v40
	v_cmp_ne_u16_e32 vcc, 0, v38
	v_mov_b32_e32 v39, 0
	v_mov_b32_e32 v54, 0
	s_and_saveexec_b64 s[2:3], vcc
	s_cbranch_execz .LBB582_169
; %bb.164:
	s_movk_i32 s8, 0x80
	v_cmp_ne_u16_e32 vcc, s8, v38
	v_bfrev_b32_e32 v54, 1
	s_and_saveexec_b64 s[8:9], vcc
	s_cbranch_execz .LBB582_168
; %bb.165:
	s_movk_i32 s10, 0x7f
	v_and_b32_e32 v53, 0x7f, v38
	v_cmp_ne_u32_e32 vcc, s10, v53
	v_mov_b32_e32 v54, 0x7f800001
	s_and_saveexec_b64 s[10:11], vcc
	s_cbranch_execz .LBB582_167
; %bb.166:
	v_and_b32_e32 v56, 7, v38
	v_ffbh_u32_e32 v54, v56
	v_min_u32_e32 v58, 32, v54
	v_subrev_u32_e32 v54, 28, v58
	v_lshlrev_b64 v[54:55], v54, v[38:39]
	v_lshrrev_b32_e32 v57, 3, v53
	v_sub_u32_e32 v38, 29, v58
	v_and_b32_e32 v54, 7, v54
	v_cmp_gt_u32_e32 vcc, 8, v53
	v_cndmask_b32_e32 v38, v57, v38, vcc
	v_cndmask_b32_e32 v53, v56, v54, vcc
	v_lshlrev_b32_e32 v54, 16, v40
	v_bfrev_b32_e32 v55, 60
	v_lshlrev_b32_e32 v53, 20, v53
	v_and_b32_e32 v54, 0x80000000, v54
	v_lshl_add_u32 v38, v38, 23, v55
	v_or3_b32 v54, v54, v38, v53
.LBB582_167:
	s_or_b64 exec, exec, s[10:11]
.LBB582_168:
	s_or_b64 exec, exec, s[8:9]
.LBB582_169:
	s_or_b64 exec, exec, s[2:3]
	s_movk_i32 s2, 0xff
	v_and_b32_sdwa v53, v40, s2 dst_sel:DWORD dst_unused:UNUSED_PAD src0_sel:WORD_1 src1_sel:DWORD
	v_lshrrev_b32_e32 v38, 16, v40
	v_cmp_ne_u16_e32 vcc, 0, v53
	s_and_saveexec_b64 s[2:3], vcc
	s_cbranch_execz .LBB582_175
; %bb.170:
	s_movk_i32 s8, 0x80
	v_cmp_ne_u16_e32 vcc, s8, v53
	v_bfrev_b32_e32 v39, 1
	s_and_saveexec_b64 s[8:9], vcc
	s_cbranch_execz .LBB582_174
; %bb.171:
	v_bfe_u32 v53, v40, 16, 7
	s_movk_i32 s10, 0x7f
	v_cmp_ne_u32_e32 vcc, s10, v53
	v_mov_b32_e32 v39, 0x7f800001
	s_and_saveexec_b64 s[10:11], vcc
	s_cbranch_execz .LBB582_173
; %bb.172:
	v_and_b32_e32 v55, 7, v38
	v_ffbh_u32_e32 v39, v55
	v_min_u32_e32 v57, 32, v39
	v_subrev_u32_e32 v39, 28, v57
	v_lshlrev_b64 v[38:39], v39, v[38:39]
	v_lshrrev_b32_e32 v56, 3, v53
	v_sub_u32_e32 v39, 29, v57
	v_and_b32_e32 v38, 7, v38
	v_cmp_gt_u32_e32 vcc, 8, v53
	v_mov_b32_e32 v53, 24
	v_cndmask_b32_e32 v39, v56, v39, vcc
	v_cndmask_b32_e32 v38, v55, v38, vcc
	v_lshlrev_b32_sdwa v53, v53, v40 dst_sel:DWORD dst_unused:UNUSED_PAD src0_sel:DWORD src1_sel:WORD_1
	v_bfrev_b32_e32 v55, 60
	v_lshlrev_b32_e32 v38, 20, v38
	v_and_b32_e32 v53, 0x80000000, v53
	v_lshl_add_u32 v39, v39, 23, v55
	v_or3_b32 v39, v53, v39, v38
.LBB582_173:
	s_or_b64 exec, exec, s[10:11]
.LBB582_174:
	s_or_b64 exec, exec, s[8:9]
.LBB582_175:
	s_or_b64 exec, exec, s[2:3]
	s_mov_b32 s2, 0xffffff
	v_cmp_lt_u32_e32 vcc, s2, v40
	v_mov_b32_e32 v55, 0
	v_mov_b32_e32 v56, 0
	s_and_saveexec_b64 s[2:3], vcc
	s_cbranch_execz .LBB582_181
; %bb.176:
	v_lshrrev_b32_e32 v38, 24, v40
	s_movk_i32 s8, 0x80
	v_cmp_ne_u32_e32 vcc, s8, v38
	v_bfrev_b32_e32 v56, 1
	s_and_saveexec_b64 s[8:9], vcc
	s_cbranch_execz .LBB582_180
; %bb.177:
	v_bfe_u32 v40, v40, 24, 7
	s_movk_i32 s10, 0x7f
	v_cmp_ne_u32_e32 vcc, s10, v40
	v_mov_b32_e32 v56, 0x7f800001
	s_and_saveexec_b64 s[10:11], vcc
	s_cbranch_execz .LBB582_179
; %bb.178:
	v_and_b32_e32 v53, 7, v38
	v_ffbh_u32_e32 v56, v53
	v_min_u32_e32 v59, 32, v56
	v_subrev_u32_e32 v56, 28, v59
	v_lshlrev_b64 v[56:57], v56, v[38:39]
	v_lshrrev_b32_e32 v58, 3, v40
	v_sub_u32_e32 v57, 29, v59
	v_and_b32_e32 v56, 7, v56
	v_cmp_gt_u32_e32 vcc, 8, v40
	v_cndmask_b32_e32 v40, v58, v57, vcc
	v_cndmask_b32_e32 v53, v53, v56, vcc
	v_lshlrev_b32_e32 v38, 24, v38
	v_bfrev_b32_e32 v56, 60
	v_lshlrev_b32_e32 v53, 20, v53
	v_and_b32_e32 v38, 0x80000000, v38
	v_lshl_add_u32 v40, v40, 23, v56
	v_or3_b32 v56, v38, v40, v53
.LBB582_179:
	s_or_b64 exec, exec, s[10:11]
.LBB582_180:
	s_or_b64 exec, exec, s[8:9]
.LBB582_181:
	s_or_b64 exec, exec, s[2:3]
	v_cmp_ne_u16_sdwa s[8:9], v41, v55 src0_sel:BYTE_0 src1_sel:DWORD
	s_and_saveexec_b64 s[2:3], s[8:9]
	s_cbranch_execz .LBB582_187
; %bb.182:
	s_movk_i32 s8, 0x80
	v_cmp_ne_u16_sdwa s[10:11], v41, s8 src0_sel:BYTE_0 src1_sel:DWORD
	v_bfrev_b32_e32 v55, 1
	s_and_saveexec_b64 s[8:9], s[10:11]
	s_cbranch_execz .LBB582_186
; %bb.183:
	s_movk_i32 s10, 0x7f
	v_and_b32_e32 v38, 0x7f, v41
	v_cmp_ne_u32_e32 vcc, s10, v38
	v_mov_b32_e32 v55, 0x7f800001
	s_and_saveexec_b64 s[10:11], vcc
	s_cbranch_execz .LBB582_185
; %bb.184:
	v_and_b32_e32 v53, 7, v41
	v_ffbh_u32_e32 v57, v53
	v_min_u32_e32 v57, 32, v57
	v_mov_b32_e32 v40, v41
	v_subrev_u32_e32 v58, 28, v57
	v_lshlrev_b64 v[58:59], v58, v[40:41]
	v_lshrrev_b32_e32 v55, 3, v38
	v_sub_u32_e32 v40, 29, v57
	v_and_b32_e32 v57, 7, v58
	v_cmp_gt_u32_e32 vcc, 8, v38
	v_cndmask_b32_e32 v38, v55, v40, vcc
	v_cndmask_b32_e32 v40, v53, v57, vcc
	v_lshlrev_b32_e32 v53, 24, v41
	v_bfrev_b32_e32 v55, 60
	v_lshlrev_b32_e32 v40, 20, v40
	v_and_b32_e32 v53, 0x80000000, v53
	v_lshl_add_u32 v38, v38, 23, v55
	v_or3_b32 v55, v53, v38, v40
.LBB582_185:
	s_or_b64 exec, exec, s[10:11]
.LBB582_186:
	s_or_b64 exec, exec, s[8:9]
.LBB582_187:
	s_or_b64 exec, exec, s[2:3]
	v_lshrrev_b16_e32 v38, 8, v41
	v_cmp_ne_u16_e32 vcc, 0, v38
	v_mov_b32_e32 v40, 0
	v_mov_b32_e32 v57, 0
	s_and_saveexec_b64 s[2:3], vcc
	s_cbranch_execz .LBB582_193
; %bb.188:
	s_movk_i32 s8, 0x80
	v_cmp_ne_u16_e32 vcc, s8, v38
	v_bfrev_b32_e32 v57, 1
	s_and_saveexec_b64 s[8:9], vcc
	s_cbranch_execz .LBB582_192
; %bb.189:
	s_movk_i32 s10, 0x7f
	v_and_b32_e32 v53, 0x7f, v38
	v_cmp_ne_u32_e32 vcc, s10, v53
	v_mov_b32_e32 v57, 0x7f800001
	s_and_saveexec_b64 s[10:11], vcc
	s_cbranch_execz .LBB582_191
; %bb.190:
	v_and_b32_e32 v57, 7, v38
	v_ffbh_u32_e32 v58, v57
	v_min_u32_e32 v61, 32, v58
	v_subrev_u32_e32 v58, 28, v61
	v_lshlrev_b64 v[58:59], v58, v[38:39]
	v_lshrrev_b32_e32 v60, 3, v53
	v_sub_u32_e32 v38, 29, v61
	v_and_b32_e32 v58, 7, v58
	v_cmp_gt_u32_e32 vcc, 8, v53
	v_cndmask_b32_e32 v38, v60, v38, vcc
	v_cndmask_b32_e32 v53, v57, v58, vcc
	v_lshlrev_b32_e32 v57, 16, v41
	v_bfrev_b32_e32 v58, 60
	v_lshlrev_b32_e32 v53, 20, v53
	v_and_b32_e32 v57, 0x80000000, v57
	v_lshl_add_u32 v38, v38, 23, v58
	v_or3_b32 v57, v57, v38, v53
.LBB582_191:
	s_or_b64 exec, exec, s[10:11]
.LBB582_192:
	s_or_b64 exec, exec, s[8:9]
.LBB582_193:
	s_or_b64 exec, exec, s[2:3]
	s_movk_i32 s2, 0xff
	v_and_b32_sdwa v53, v41, s2 dst_sel:DWORD dst_unused:UNUSED_PAD src0_sel:WORD_1 src1_sel:DWORD
	v_lshrrev_b32_e32 v38, 16, v41
	v_cmp_ne_u16_e32 vcc, 0, v53
	s_and_saveexec_b64 s[2:3], vcc
	s_cbranch_execz .LBB582_199
; %bb.194:
	s_movk_i32 s8, 0x80
	v_cmp_ne_u16_e32 vcc, s8, v53
	v_bfrev_b32_e32 v40, 1
	s_and_saveexec_b64 s[8:9], vcc
	s_cbranch_execz .LBB582_198
; %bb.195:
	v_bfe_u32 v53, v41, 16, 7
	s_movk_i32 s10, 0x7f
	v_cmp_ne_u32_e32 vcc, s10, v53
	v_mov_b32_e32 v40, 0x7f800001
	s_and_saveexec_b64 s[10:11], vcc
	s_cbranch_execz .LBB582_197
; %bb.196:
	v_and_b32_e32 v40, 7, v38
	v_ffbh_u32_e32 v58, v40
	v_min_u32_e32 v61, 32, v58
	v_subrev_u32_e32 v58, 28, v61
	v_lshlrev_b64 v[58:59], v58, v[38:39]
	v_lshrrev_b32_e32 v60, 3, v53
	v_sub_u32_e32 v38, 29, v61
	v_and_b32_e32 v58, 7, v58
	v_cmp_gt_u32_e32 vcc, 8, v53
	v_mov_b32_e32 v53, 24
	v_cndmask_b32_e32 v38, v60, v38, vcc
	v_cndmask_b32_e32 v40, v40, v58, vcc
	v_lshlrev_b32_sdwa v53, v53, v41 dst_sel:DWORD dst_unused:UNUSED_PAD src0_sel:DWORD src1_sel:WORD_1
	v_bfrev_b32_e32 v58, 60
	v_lshlrev_b32_e32 v40, 20, v40
	v_and_b32_e32 v53, 0x80000000, v53
	v_lshl_add_u32 v38, v38, 23, v58
	v_or3_b32 v40, v53, v38, v40
.LBB582_197:
	s_or_b64 exec, exec, s[10:11]
.LBB582_198:
	s_or_b64 exec, exec, s[8:9]
.LBB582_199:
	s_or_b64 exec, exec, s[2:3]
	s_mov_b32 s2, 0xffffff
	v_cmp_lt_u32_e32 vcc, s2, v41
	v_mov_b32_e32 v53, 0
	v_mov_b32_e32 v58, 0
	s_and_saveexec_b64 s[2:3], vcc
	s_cbranch_execz .LBB582_205
; %bb.200:
	v_lshrrev_b32_e32 v38, 24, v41
	s_movk_i32 s8, 0x80
	v_cmp_ne_u32_e32 vcc, s8, v38
	v_bfrev_b32_e32 v58, 1
	s_and_saveexec_b64 s[8:9], vcc
	s_cbranch_execz .LBB582_204
; %bb.201:
	v_bfe_u32 v41, v41, 24, 7
	s_movk_i32 s10, 0x7f
	v_cmp_ne_u32_e32 vcc, s10, v41
	v_mov_b32_e32 v58, 0x7f800001
	s_and_saveexec_b64 s[10:11], vcc
	s_cbranch_execz .LBB582_203
; %bb.202:
	v_and_b32_e32 v60, 7, v38
	v_ffbh_u32_e32 v58, v60
	v_min_u32_e32 v62, 32, v58
	v_subrev_u32_e32 v58, 28, v62
	v_lshlrev_b64 v[58:59], v58, v[38:39]
	v_lshrrev_b32_e32 v61, 3, v41
	v_sub_u32_e32 v59, 29, v62
	v_and_b32_e32 v58, 7, v58
	v_cmp_gt_u32_e32 vcc, 8, v41
	v_cndmask_b32_e32 v41, v61, v59, vcc
	v_cndmask_b32_e32 v58, v60, v58, vcc
	v_lshlrev_b32_e32 v38, 24, v38
	v_bfrev_b32_e32 v59, 60
	v_lshlrev_b32_e32 v58, 20, v58
	v_and_b32_e32 v38, 0x80000000, v38
	v_lshl_add_u32 v41, v41, 23, v59
	v_or3_b32 v58, v38, v41, v58
.LBB582_203:
	s_or_b64 exec, exec, s[10:11]
.LBB582_204:
	s_or_b64 exec, exec, s[8:9]
.LBB582_205:
	s_or_b64 exec, exec, s[2:3]
	v_cvt_pkrtz_f16_f32 v38, v52, v54
	v_cvt_pkrtz_f16_f32 v39, v39, v56
	v_cmp_ne_u16_sdwa s[8:9], v30, v53 src0_sel:BYTE_0 src1_sel:DWORD
	s_nop 0
	v_mfma_f32_16x16x16f16 v[42:45], v[38:39], v[18:19], v[42:45]
	v_cvt_pkrtz_f16_f32 v38, v55, v57
	v_cvt_pkrtz_f16_f32 v39, v40, v58
	s_nop 1
	v_mfma_f32_16x16x16f16 v[38:41], v[38:39], v[20:21], v[42:45]
	s_and_saveexec_b64 s[2:3], s[8:9]
	s_cbranch_execz .LBB582_211
; %bb.206:
	s_movk_i32 s8, 0x80
	v_cmp_ne_u16_sdwa s[10:11], v30, s8 src0_sel:BYTE_0 src1_sel:DWORD
	v_bfrev_b32_e32 v53, 1
	s_and_saveexec_b64 s[8:9], s[10:11]
	s_cbranch_execz .LBB582_210
; %bb.207:
	s_movk_i32 s10, 0x7f
	v_and_b32_e32 v42, 0x7f, v30
	v_cmp_ne_u32_e32 vcc, s10, v42
	v_mov_b32_e32 v53, 0x7f800001
	s_and_saveexec_b64 s[10:11], vcc
	s_cbranch_execz .LBB582_209
; %bb.208:
	v_and_b32_e32 v43, 7, v30
	v_ffbh_u32_e32 v44, v43
	v_min_u32_e32 v53, 32, v44
	v_subrev_u32_e32 v44, 28, v53
	v_lshlrev_b64 v[44:45], v44, v[30:31]
	v_lshrrev_b32_e32 v52, 3, v42
	v_sub_u32_e32 v45, 29, v53
	v_and_b32_e32 v44, 7, v44
	v_cmp_gt_u32_e32 vcc, 8, v42
	v_cndmask_b32_e32 v42, v52, v45, vcc
	v_cndmask_b32_e32 v43, v43, v44, vcc
	v_lshlrev_b32_e32 v44, 24, v30
	v_bfrev_b32_e32 v45, 60
	v_lshlrev_b32_e32 v43, 20, v43
	v_and_b32_e32 v44, 0x80000000, v44
	v_lshl_add_u32 v42, v42, 23, v45
	v_or3_b32 v53, v44, v42, v43
.LBB582_209:
	s_or_b64 exec, exec, s[10:11]
.LBB582_210:
	s_or_b64 exec, exec, s[8:9]
.LBB582_211:
	s_or_b64 exec, exec, s[2:3]
	s_nop 3
	v_lshrrev_b16_e32 v42, 8, v30
	v_cmp_ne_u16_e32 vcc, 0, v42
	v_mov_b32_e32 v43, 0
	v_mov_b32_e32 v44, 0
	s_and_saveexec_b64 s[2:3], vcc
	s_cbranch_execz .LBB582_217
; %bb.212:
	s_movk_i32 s8, 0x80
	v_cmp_ne_u16_e32 vcc, s8, v42
	v_bfrev_b32_e32 v44, 1
	s_and_saveexec_b64 s[8:9], vcc
	s_cbranch_execz .LBB582_216
; %bb.213:
	s_movk_i32 s10, 0x7f
	v_and_b32_e32 v45, 0x7f, v42
	v_cmp_ne_u32_e32 vcc, s10, v45
	v_mov_b32_e32 v44, 0x7f800001
	s_and_saveexec_b64 s[10:11], vcc
	s_cbranch_execz .LBB582_215
; %bb.214:
	v_and_b32_e32 v44, 7, v42
	v_ffbh_u32_e32 v54, v44
	v_min_u32_e32 v56, 32, v54
	v_subrev_u32_e32 v54, 28, v56
	v_lshlrev_b64 v[54:55], v54, v[42:43]
	v_lshrrev_b32_e32 v52, 3, v45
	v_sub_u32_e32 v42, 29, v56
	v_and_b32_e32 v54, 7, v54
	v_cmp_gt_u32_e32 vcc, 8, v45
	v_cndmask_b32_e32 v42, v52, v42, vcc
	v_cndmask_b32_e32 v44, v44, v54, vcc
	v_lshlrev_b32_e32 v45, 16, v30
	v_bfrev_b32_e32 v52, 60
	v_lshlrev_b32_e32 v44, 20, v44
	v_and_b32_e32 v45, 0x80000000, v45
	v_lshl_add_u32 v42, v42, 23, v52
	v_or3_b32 v44, v45, v42, v44
.LBB582_215:
	s_or_b64 exec, exec, s[10:11]
.LBB582_216:
	s_or_b64 exec, exec, s[8:9]
.LBB582_217:
	s_or_b64 exec, exec, s[2:3]
	s_movk_i32 s2, 0xff
	v_and_b32_sdwa v45, v30, s2 dst_sel:DWORD dst_unused:UNUSED_PAD src0_sel:WORD_1 src1_sel:DWORD
	v_lshrrev_b32_e32 v42, 16, v30
	v_cmp_ne_u16_e32 vcc, 0, v45
	s_and_saveexec_b64 s[2:3], vcc
	s_cbranch_execz .LBB582_223
; %bb.218:
	s_movk_i32 s8, 0x80
	v_cmp_ne_u16_e32 vcc, s8, v45
	v_bfrev_b32_e32 v43, 1
	s_and_saveexec_b64 s[8:9], vcc
	s_cbranch_execz .LBB582_222
; %bb.219:
	v_bfe_u32 v45, v30, 16, 7
	s_movk_i32 s10, 0x7f
	v_cmp_ne_u32_e32 vcc, s10, v45
	v_mov_b32_e32 v43, 0x7f800001
	s_and_saveexec_b64 s[10:11], vcc
	s_cbranch_execz .LBB582_221
; %bb.220:
	v_and_b32_e32 v52, 7, v42
	v_ffbh_u32_e32 v43, v52
	v_min_u32_e32 v55, 32, v43
	v_subrev_u32_e32 v43, 28, v55
	v_lshlrev_b64 v[42:43], v43, v[42:43]
	v_lshrrev_b32_e32 v54, 3, v45
	v_sub_u32_e32 v43, 29, v55
	v_and_b32_e32 v42, 7, v42
	v_cmp_gt_u32_e32 vcc, 8, v45
	v_mov_b32_e32 v45, 24
	v_cndmask_b32_e32 v43, v54, v43, vcc
	v_cndmask_b32_e32 v42, v52, v42, vcc
	v_lshlrev_b32_sdwa v45, v45, v30 dst_sel:DWORD dst_unused:UNUSED_PAD src0_sel:DWORD src1_sel:WORD_1
	v_bfrev_b32_e32 v52, 60
	v_lshlrev_b32_e32 v42, 20, v42
	v_and_b32_e32 v45, 0x80000000, v45
	v_lshl_add_u32 v43, v43, 23, v52
	v_or3_b32 v43, v45, v43, v42
.LBB582_221:
	s_or_b64 exec, exec, s[10:11]
.LBB582_222:
	s_or_b64 exec, exec, s[8:9]
.LBB582_223:
	s_or_b64 exec, exec, s[2:3]
	s_mov_b32 s2, 0xffffff
	v_cmp_lt_u32_e32 vcc, s2, v30
	v_mov_b32_e32 v45, 0
	v_mov_b32_e32 v54, 0
	s_and_saveexec_b64 s[2:3], vcc
	s_cbranch_execz .LBB582_229
; %bb.224:
	v_lshrrev_b32_e32 v42, 24, v30
	s_movk_i32 s8, 0x80
	v_cmp_ne_u32_e32 vcc, s8, v42
	v_bfrev_b32_e32 v54, 1
	s_and_saveexec_b64 s[8:9], vcc
	s_cbranch_execz .LBB582_228
; %bb.225:
	v_bfe_u32 v30, v30, 24, 7
	s_movk_i32 s10, 0x7f
	v_cmp_ne_u32_e32 vcc, s10, v30
	v_mov_b32_e32 v54, 0x7f800001
	s_and_saveexec_b64 s[10:11], vcc
	s_cbranch_execz .LBB582_227
; %bb.226:
	v_and_b32_e32 v52, 7, v42
	v_ffbh_u32_e32 v54, v52
	v_min_u32_e32 v57, 32, v54
	v_subrev_u32_e32 v54, 28, v57
	v_lshlrev_b64 v[54:55], v54, v[42:43]
	v_lshrrev_b32_e32 v56, 3, v30
	v_sub_u32_e32 v55, 29, v57
	v_and_b32_e32 v54, 7, v54
	v_cmp_gt_u32_e32 vcc, 8, v30
	v_cndmask_b32_e32 v30, v56, v55, vcc
	v_cndmask_b32_e32 v52, v52, v54, vcc
	v_lshlrev_b32_e32 v42, 24, v42
	v_bfrev_b32_e32 v54, 60
	v_lshlrev_b32_e32 v52, 20, v52
	v_and_b32_e32 v42, 0x80000000, v42
	v_lshl_add_u32 v30, v30, 23, v54
	v_or3_b32 v54, v42, v30, v52
.LBB582_227:
	s_or_b64 exec, exec, s[10:11]
.LBB582_228:
	s_or_b64 exec, exec, s[8:9]
.LBB582_229:
	s_or_b64 exec, exec, s[2:3]
	v_cmp_ne_u16_sdwa s[8:9], v31, v45 src0_sel:BYTE_0 src1_sel:DWORD
	s_and_saveexec_b64 s[2:3], s[8:9]
	s_cbranch_execz .LBB582_235
; %bb.230:
	s_movk_i32 s8, 0x80
	v_cmp_ne_u16_sdwa s[10:11], v31, s8 src0_sel:BYTE_0 src1_sel:DWORD
	v_bfrev_b32_e32 v45, 1
	s_and_saveexec_b64 s[8:9], s[10:11]
	s_cbranch_execz .LBB582_234
; %bb.231:
	s_movk_i32 s10, 0x7f
	v_and_b32_e32 v30, 0x7f, v31
	v_cmp_ne_u32_e32 vcc, s10, v30
	v_mov_b32_e32 v45, 0x7f800001
	s_and_saveexec_b64 s[10:11], vcc
	s_cbranch_execz .LBB582_233
; %bb.232:
	v_and_b32_e32 v45, 7, v31
	v_ffbh_u32_e32 v55, v45
	v_min_u32_e32 v55, 32, v55
	v_mov_b32_e32 v42, v31
	v_subrev_u32_e32 v56, 28, v55
	v_lshlrev_b64 v[56:57], v56, v[42:43]
	v_lshrrev_b32_e32 v52, 3, v30
	v_sub_u32_e32 v42, 29, v55
	v_and_b32_e32 v55, 7, v56
	v_cmp_gt_u32_e32 vcc, 8, v30
	v_cndmask_b32_e32 v30, v52, v42, vcc
	v_cndmask_b32_e32 v42, v45, v55, vcc
	v_lshlrev_b32_e32 v45, 24, v31
	v_bfrev_b32_e32 v52, 60
	v_lshlrev_b32_e32 v42, 20, v42
	v_and_b32_e32 v45, 0x80000000, v45
	v_lshl_add_u32 v30, v30, 23, v52
	v_or3_b32 v45, v45, v30, v42
.LBB582_233:
	s_or_b64 exec, exec, s[10:11]
.LBB582_234:
	s_or_b64 exec, exec, s[8:9]
.LBB582_235:
	s_or_b64 exec, exec, s[2:3]
	v_lshrrev_b16_e32 v30, 8, v31
	v_cmp_ne_u16_e32 vcc, 0, v30
	v_mov_b32_e32 v42, 0
	v_mov_b32_e32 v55, 0
	s_and_saveexec_b64 s[2:3], vcc
	s_cbranch_execz .LBB582_241
; %bb.236:
	s_movk_i32 s8, 0x80
	v_cmp_ne_u16_e32 vcc, s8, v30
	v_bfrev_b32_e32 v55, 1
	s_and_saveexec_b64 s[8:9], vcc
	s_cbranch_execz .LBB582_240
; %bb.237:
	s_movk_i32 s10, 0x7f
	v_and_b32_e32 v52, 0x7f, v30
	v_cmp_ne_u32_e32 vcc, s10, v52
	v_mov_b32_e32 v55, 0x7f800001
	s_and_saveexec_b64 s[10:11], vcc
	s_cbranch_execz .LBB582_239
; %bb.238:
	v_and_b32_e32 v55, 7, v30
	v_ffbh_u32_e32 v56, v55
	v_min_u32_e32 v59, 32, v56
	v_subrev_u32_e32 v56, 28, v59
	v_lshlrev_b64 v[56:57], v56, v[30:31]
	v_lshrrev_b32_e32 v58, 3, v52
	v_sub_u32_e32 v30, 29, v59
	v_and_b32_e32 v56, 7, v56
	v_cmp_gt_u32_e32 vcc, 8, v52
	v_cndmask_b32_e32 v30, v58, v30, vcc
	v_cndmask_b32_e32 v52, v55, v56, vcc
	v_lshlrev_b32_e32 v55, 16, v31
	v_bfrev_b32_e32 v56, 60
	v_lshlrev_b32_e32 v52, 20, v52
	v_and_b32_e32 v55, 0x80000000, v55
	v_lshl_add_u32 v30, v30, 23, v56
	v_or3_b32 v55, v55, v30, v52
.LBB582_239:
	s_or_b64 exec, exec, s[10:11]
.LBB582_240:
	s_or_b64 exec, exec, s[8:9]
.LBB582_241:
	s_or_b64 exec, exec, s[2:3]
	s_movk_i32 s2, 0xff
	v_and_b32_sdwa v52, v31, s2 dst_sel:DWORD dst_unused:UNUSED_PAD src0_sel:WORD_1 src1_sel:DWORD
	v_lshrrev_b32_e32 v30, 16, v31
	v_cmp_ne_u16_e32 vcc, 0, v52
	s_and_saveexec_b64 s[2:3], vcc
	s_cbranch_execz .LBB582_247
; %bb.242:
	s_movk_i32 s8, 0x80
	v_cmp_ne_u16_e32 vcc, s8, v52
	v_bfrev_b32_e32 v42, 1
	s_and_saveexec_b64 s[8:9], vcc
	s_cbranch_execz .LBB582_246
; %bb.243:
	v_bfe_u32 v52, v31, 16, 7
	s_movk_i32 s10, 0x7f
	v_cmp_ne_u32_e32 vcc, s10, v52
	v_mov_b32_e32 v42, 0x7f800001
	s_and_saveexec_b64 s[10:11], vcc
	s_cbranch_execz .LBB582_245
; %bb.244:
	v_and_b32_e32 v42, 7, v30
	v_ffbh_u32_e32 v56, v42
	v_min_u32_e32 v59, 32, v56
	v_subrev_u32_e32 v56, 28, v59
	v_lshlrev_b64 v[56:57], v56, v[30:31]
	v_lshrrev_b32_e32 v58, 3, v52
	v_sub_u32_e32 v30, 29, v59
	v_and_b32_e32 v56, 7, v56
	v_cmp_gt_u32_e32 vcc, 8, v52
	v_mov_b32_e32 v52, 24
	v_cndmask_b32_e32 v30, v58, v30, vcc
	v_cndmask_b32_e32 v42, v42, v56, vcc
	v_lshlrev_b32_sdwa v52, v52, v31 dst_sel:DWORD dst_unused:UNUSED_PAD src0_sel:DWORD src1_sel:WORD_1
	v_bfrev_b32_e32 v56, 60
	v_lshlrev_b32_e32 v42, 20, v42
	v_and_b32_e32 v52, 0x80000000, v52
	v_lshl_add_u32 v30, v30, 23, v56
	v_or3_b32 v42, v52, v30, v42
.LBB582_245:
	s_or_b64 exec, exec, s[10:11]
.LBB582_246:
	s_or_b64 exec, exec, s[8:9]
.LBB582_247:
	s_or_b64 exec, exec, s[2:3]
	s_mov_b32 s2, 0xffffff
	v_cmp_lt_u32_e32 vcc, s2, v31
	v_mov_b32_e32 v52, 0
	v_mov_b32_e32 v56, 0
	s_and_saveexec_b64 s[2:3], vcc
	s_cbranch_execz .LBB582_253
; %bb.248:
	v_lshrrev_b32_e32 v30, 24, v31
	s_movk_i32 s8, 0x80
	v_cmp_ne_u32_e32 vcc, s8, v30
	v_bfrev_b32_e32 v56, 1
	s_and_saveexec_b64 s[8:9], vcc
	s_cbranch_execz .LBB582_252
; %bb.249:
	v_bfe_u32 v31, v31, 24, 7
	s_movk_i32 s10, 0x7f
	v_cmp_ne_u32_e32 vcc, s10, v31
	v_mov_b32_e32 v56, 0x7f800001
	s_and_saveexec_b64 s[10:11], vcc
	s_cbranch_execz .LBB582_251
; %bb.250:
	v_and_b32_e32 v58, 7, v30
	v_ffbh_u32_e32 v56, v58
	v_min_u32_e32 v60, 32, v56
	v_subrev_u32_e32 v56, 28, v60
	v_lshlrev_b64 v[56:57], v56, v[30:31]
	v_lshrrev_b32_e32 v59, 3, v31
	v_sub_u32_e32 v57, 29, v60
	v_and_b32_e32 v56, 7, v56
	v_cmp_gt_u32_e32 vcc, 8, v31
	v_cndmask_b32_e32 v31, v59, v57, vcc
	v_cndmask_b32_e32 v56, v58, v56, vcc
	v_lshlrev_b32_e32 v30, 24, v30
	v_bfrev_b32_e32 v57, 60
	v_lshlrev_b32_e32 v56, 20, v56
	v_and_b32_e32 v30, 0x80000000, v30
	v_lshl_add_u32 v31, v31, 23, v57
	v_or3_b32 v56, v30, v31, v56
.LBB582_251:
	s_or_b64 exec, exec, s[10:11]
.LBB582_252:
	s_or_b64 exec, exec, s[8:9]
.LBB582_253:
	s_or_b64 exec, exec, s[2:3]
	v_cvt_pkrtz_f16_f32 v30, v53, v44
	v_cvt_pkrtz_f16_f32 v31, v43, v54
	v_cmp_ne_u16_sdwa s[8:9], v32, v52 src0_sel:BYTE_0 src1_sel:DWORD
	s_nop 0
	v_mfma_f32_16x16x16f16 v[58:61], v[30:31], v[26:27], 0
	v_cvt_pkrtz_f16_f32 v30, v45, v55
	v_cvt_pkrtz_f16_f32 v31, v42, v56
	s_nop 1
	v_mfma_f32_16x16x16f16 v[42:45], v[30:31], v[28:29], v[58:61]
	s_and_saveexec_b64 s[2:3], s[8:9]
	s_cbranch_execz .LBB582_259
; %bb.254:
	s_movk_i32 s8, 0x80
	v_cmp_ne_u16_sdwa s[10:11], v32, s8 src0_sel:BYTE_0 src1_sel:DWORD
	v_bfrev_b32_e32 v52, 1
	s_and_saveexec_b64 s[8:9], s[10:11]
	s_cbranch_execz .LBB582_258
; %bb.255:
	s_movk_i32 s10, 0x7f
	v_and_b32_e32 v30, 0x7f, v32
	v_cmp_ne_u32_e32 vcc, s10, v30
	v_mov_b32_e32 v52, 0x7f800001
	s_and_saveexec_b64 s[10:11], vcc
	s_cbranch_execz .LBB582_257
; %bb.256:
	v_and_b32_e32 v31, 7, v32
	v_ffbh_u32_e32 v52, v31
	v_min_u32_e32 v55, 32, v52
	v_subrev_u32_e32 v52, 28, v55
	v_lshlrev_b64 v[52:53], v52, v[32:33]
	v_lshrrev_b32_e32 v54, 3, v30
	v_sub_u32_e32 v53, 29, v55
	v_and_b32_e32 v52, 7, v52
	v_cmp_gt_u32_e32 vcc, 8, v30
	v_cndmask_b32_e32 v30, v54, v53, vcc
	v_cndmask_b32_e32 v31, v31, v52, vcc
	v_lshlrev_b32_e32 v52, 24, v32
	v_bfrev_b32_e32 v53, 60
	v_lshlrev_b32_e32 v31, 20, v31
	v_and_b32_e32 v52, 0x80000000, v52
	v_lshl_add_u32 v30, v30, 23, v53
	v_or3_b32 v52, v52, v30, v31
.LBB582_257:
	s_or_b64 exec, exec, s[10:11]
.LBB582_258:
	s_or_b64 exec, exec, s[8:9]
.LBB582_259:
	s_or_b64 exec, exec, s[2:3]
	v_lshrrev_b16_e32 v30, 8, v32
	v_cmp_ne_u16_e32 vcc, 0, v30
	v_mov_b32_e32 v31, 0
	v_mov_b32_e32 v54, 0
	s_and_saveexec_b64 s[2:3], vcc
	s_cbranch_execz .LBB582_265
; %bb.260:
	s_movk_i32 s8, 0x80
	v_cmp_ne_u16_e32 vcc, s8, v30
	v_bfrev_b32_e32 v54, 1
	s_and_saveexec_b64 s[8:9], vcc
	s_cbranch_execz .LBB582_264
; %bb.261:
	s_movk_i32 s10, 0x7f
	v_and_b32_e32 v53, 0x7f, v30
	v_cmp_ne_u32_e32 vcc, s10, v53
	v_mov_b32_e32 v54, 0x7f800001
	s_and_saveexec_b64 s[10:11], vcc
	s_cbranch_execz .LBB582_263
; %bb.262:
	v_and_b32_e32 v56, 7, v30
	v_ffbh_u32_e32 v54, v56
	v_min_u32_e32 v58, 32, v54
	v_subrev_u32_e32 v54, 28, v58
	v_lshlrev_b64 v[54:55], v54, v[30:31]
	v_lshrrev_b32_e32 v57, 3, v53
	v_sub_u32_e32 v30, 29, v58
	v_and_b32_e32 v54, 7, v54
	v_cmp_gt_u32_e32 vcc, 8, v53
	v_cndmask_b32_e32 v30, v57, v30, vcc
	v_cndmask_b32_e32 v53, v56, v54, vcc
	v_lshlrev_b32_e32 v54, 16, v32
	v_bfrev_b32_e32 v55, 60
	v_lshlrev_b32_e32 v53, 20, v53
	v_and_b32_e32 v54, 0x80000000, v54
	v_lshl_add_u32 v30, v30, 23, v55
	v_or3_b32 v54, v54, v30, v53
.LBB582_263:
	s_or_b64 exec, exec, s[10:11]
.LBB582_264:
	s_or_b64 exec, exec, s[8:9]
.LBB582_265:
	s_or_b64 exec, exec, s[2:3]
	s_movk_i32 s2, 0xff
	v_and_b32_sdwa v53, v32, s2 dst_sel:DWORD dst_unused:UNUSED_PAD src0_sel:WORD_1 src1_sel:DWORD
	v_lshrrev_b32_e32 v30, 16, v32
	v_cmp_ne_u16_e32 vcc, 0, v53
	s_and_saveexec_b64 s[2:3], vcc
	s_cbranch_execz .LBB582_271
; %bb.266:
	s_movk_i32 s8, 0x80
	v_cmp_ne_u16_e32 vcc, s8, v53
	v_bfrev_b32_e32 v31, 1
	s_and_saveexec_b64 s[8:9], vcc
	s_cbranch_execz .LBB582_270
; %bb.267:
	v_bfe_u32 v53, v32, 16, 7
	s_movk_i32 s10, 0x7f
	v_cmp_ne_u32_e32 vcc, s10, v53
	v_mov_b32_e32 v31, 0x7f800001
	s_and_saveexec_b64 s[10:11], vcc
	s_cbranch_execz .LBB582_269
; %bb.268:
	v_and_b32_e32 v55, 7, v30
	v_ffbh_u32_e32 v31, v55
	v_min_u32_e32 v57, 32, v31
	v_subrev_u32_e32 v31, 28, v57
	v_lshlrev_b64 v[30:31], v31, v[30:31]
	v_lshrrev_b32_e32 v56, 3, v53
	v_sub_u32_e32 v31, 29, v57
	v_and_b32_e32 v30, 7, v30
	v_cmp_gt_u32_e32 vcc, 8, v53
	v_mov_b32_e32 v53, 24
	v_cndmask_b32_e32 v31, v56, v31, vcc
	v_cndmask_b32_e32 v30, v55, v30, vcc
	v_lshlrev_b32_sdwa v53, v53, v32 dst_sel:DWORD dst_unused:UNUSED_PAD src0_sel:DWORD src1_sel:WORD_1
	v_bfrev_b32_e32 v55, 60
	v_lshlrev_b32_e32 v30, 20, v30
	v_and_b32_e32 v53, 0x80000000, v53
	v_lshl_add_u32 v31, v31, 23, v55
	v_or3_b32 v31, v53, v31, v30
.LBB582_269:
	s_or_b64 exec, exec, s[10:11]
.LBB582_270:
	s_or_b64 exec, exec, s[8:9]
.LBB582_271:
	s_or_b64 exec, exec, s[2:3]
	s_mov_b32 s2, 0xffffff
	v_cmp_lt_u32_e32 vcc, s2, v32
	v_mov_b32_e32 v55, 0
	v_mov_b32_e32 v56, 0
	s_and_saveexec_b64 s[2:3], vcc
	s_cbranch_execz .LBB582_277
; %bb.272:
	v_lshrrev_b32_e32 v30, 24, v32
	s_movk_i32 s8, 0x80
	v_cmp_ne_u32_e32 vcc, s8, v30
	v_bfrev_b32_e32 v56, 1
	s_and_saveexec_b64 s[8:9], vcc
	s_cbranch_execz .LBB582_276
; %bb.273:
	v_bfe_u32 v32, v32, 24, 7
	s_movk_i32 s10, 0x7f
	v_cmp_ne_u32_e32 vcc, s10, v32
	v_mov_b32_e32 v56, 0x7f800001
	s_and_saveexec_b64 s[10:11], vcc
	s_cbranch_execz .LBB582_275
; %bb.274:
	v_and_b32_e32 v53, 7, v30
	v_ffbh_u32_e32 v56, v53
	v_min_u32_e32 v59, 32, v56
	v_subrev_u32_e32 v56, 28, v59
	v_lshlrev_b64 v[56:57], v56, v[30:31]
	v_lshrrev_b32_e32 v58, 3, v32
	v_sub_u32_e32 v57, 29, v59
	v_and_b32_e32 v56, 7, v56
	v_cmp_gt_u32_e32 vcc, 8, v32
	v_cndmask_b32_e32 v32, v58, v57, vcc
	v_cndmask_b32_e32 v53, v53, v56, vcc
	v_lshlrev_b32_e32 v30, 24, v30
	v_bfrev_b32_e32 v56, 60
	v_lshlrev_b32_e32 v53, 20, v53
	v_and_b32_e32 v30, 0x80000000, v30
	v_lshl_add_u32 v32, v32, 23, v56
	v_or3_b32 v56, v30, v32, v53
.LBB582_275:
	s_or_b64 exec, exec, s[10:11]
.LBB582_276:
	s_or_b64 exec, exec, s[8:9]
.LBB582_277:
	s_or_b64 exec, exec, s[2:3]
	v_cmp_ne_u16_sdwa s[8:9], v33, v55 src0_sel:BYTE_0 src1_sel:DWORD
	s_and_saveexec_b64 s[2:3], s[8:9]
	s_cbranch_execz .LBB582_283
; %bb.278:
	s_movk_i32 s8, 0x80
	v_cmp_ne_u16_sdwa s[10:11], v33, s8 src0_sel:BYTE_0 src1_sel:DWORD
	v_bfrev_b32_e32 v55, 1
	s_and_saveexec_b64 s[8:9], s[10:11]
	s_cbranch_execz .LBB582_282
; %bb.279:
	s_movk_i32 s10, 0x7f
	v_and_b32_e32 v30, 0x7f, v33
	v_cmp_ne_u32_e32 vcc, s10, v30
	v_mov_b32_e32 v55, 0x7f800001
	s_and_saveexec_b64 s[10:11], vcc
	s_cbranch_execz .LBB582_281
; %bb.280:
	v_and_b32_e32 v53, 7, v33
	v_ffbh_u32_e32 v57, v53
	v_min_u32_e32 v57, 32, v57
	v_mov_b32_e32 v32, v33
	v_subrev_u32_e32 v58, 28, v57
	v_lshlrev_b64 v[58:59], v58, v[32:33]
	v_lshrrev_b32_e32 v55, 3, v30
	v_sub_u32_e32 v32, 29, v57
	v_and_b32_e32 v57, 7, v58
	v_cmp_gt_u32_e32 vcc, 8, v30
	v_cndmask_b32_e32 v30, v55, v32, vcc
	v_cndmask_b32_e32 v32, v53, v57, vcc
	v_lshlrev_b32_e32 v53, 24, v33
	v_bfrev_b32_e32 v55, 60
	v_lshlrev_b32_e32 v32, 20, v32
	v_and_b32_e32 v53, 0x80000000, v53
	v_lshl_add_u32 v30, v30, 23, v55
	v_or3_b32 v55, v53, v30, v32
.LBB582_281:
	s_or_b64 exec, exec, s[10:11]
.LBB582_282:
	s_or_b64 exec, exec, s[8:9]
.LBB582_283:
	s_or_b64 exec, exec, s[2:3]
	v_lshrrev_b16_e32 v30, 8, v33
	v_cmp_ne_u16_e32 vcc, 0, v30
	v_mov_b32_e32 v32, 0
	v_mov_b32_e32 v57, 0
	s_and_saveexec_b64 s[2:3], vcc
	s_cbranch_execz .LBB582_289
; %bb.284:
	s_movk_i32 s8, 0x80
	v_cmp_ne_u16_e32 vcc, s8, v30
	v_bfrev_b32_e32 v57, 1
	s_and_saveexec_b64 s[8:9], vcc
	s_cbranch_execz .LBB582_288
; %bb.285:
	s_movk_i32 s10, 0x7f
	v_and_b32_e32 v53, 0x7f, v30
	v_cmp_ne_u32_e32 vcc, s10, v53
	v_mov_b32_e32 v57, 0x7f800001
	s_and_saveexec_b64 s[10:11], vcc
	s_cbranch_execz .LBB582_287
; %bb.286:
	v_and_b32_e32 v57, 7, v30
	v_ffbh_u32_e32 v58, v57
	v_min_u32_e32 v61, 32, v58
	v_subrev_u32_e32 v58, 28, v61
	v_lshlrev_b64 v[58:59], v58, v[30:31]
	v_lshrrev_b32_e32 v60, 3, v53
	v_sub_u32_e32 v30, 29, v61
	v_and_b32_e32 v58, 7, v58
	v_cmp_gt_u32_e32 vcc, 8, v53
	v_cndmask_b32_e32 v30, v60, v30, vcc
	v_cndmask_b32_e32 v53, v57, v58, vcc
	v_lshlrev_b32_e32 v57, 16, v33
	v_bfrev_b32_e32 v58, 60
	v_lshlrev_b32_e32 v53, 20, v53
	v_and_b32_e32 v57, 0x80000000, v57
	v_lshl_add_u32 v30, v30, 23, v58
	v_or3_b32 v57, v57, v30, v53
.LBB582_287:
	s_or_b64 exec, exec, s[10:11]
.LBB582_288:
	s_or_b64 exec, exec, s[8:9]
.LBB582_289:
	s_or_b64 exec, exec, s[2:3]
	s_movk_i32 s2, 0xff
	v_and_b32_sdwa v53, v33, s2 dst_sel:DWORD dst_unused:UNUSED_PAD src0_sel:WORD_1 src1_sel:DWORD
	v_lshrrev_b32_e32 v30, 16, v33
	v_cmp_ne_u16_e32 vcc, 0, v53
	s_and_saveexec_b64 s[2:3], vcc
	s_cbranch_execz .LBB582_295
; %bb.290:
	s_movk_i32 s8, 0x80
	v_cmp_ne_u16_e32 vcc, s8, v53
	v_bfrev_b32_e32 v32, 1
	s_and_saveexec_b64 s[8:9], vcc
	s_cbranch_execz .LBB582_294
; %bb.291:
	v_bfe_u32 v53, v33, 16, 7
	s_movk_i32 s10, 0x7f
	v_cmp_ne_u32_e32 vcc, s10, v53
	v_mov_b32_e32 v32, 0x7f800001
	s_and_saveexec_b64 s[10:11], vcc
	s_cbranch_execz .LBB582_293
; %bb.292:
	v_and_b32_e32 v32, 7, v30
	v_ffbh_u32_e32 v58, v32
	v_min_u32_e32 v61, 32, v58
	v_subrev_u32_e32 v58, 28, v61
	v_lshlrev_b64 v[58:59], v58, v[30:31]
	v_lshrrev_b32_e32 v60, 3, v53
	v_sub_u32_e32 v30, 29, v61
	v_and_b32_e32 v58, 7, v58
	v_cmp_gt_u32_e32 vcc, 8, v53
	v_mov_b32_e32 v53, 24
	v_cndmask_b32_e32 v30, v60, v30, vcc
	v_cndmask_b32_e32 v32, v32, v58, vcc
	v_lshlrev_b32_sdwa v53, v53, v33 dst_sel:DWORD dst_unused:UNUSED_PAD src0_sel:DWORD src1_sel:WORD_1
	v_bfrev_b32_e32 v58, 60
	v_lshlrev_b32_e32 v32, 20, v32
	v_and_b32_e32 v53, 0x80000000, v53
	v_lshl_add_u32 v30, v30, 23, v58
	v_or3_b32 v32, v53, v30, v32
.LBB582_293:
	s_or_b64 exec, exec, s[10:11]
.LBB582_294:
	s_or_b64 exec, exec, s[8:9]
.LBB582_295:
	s_or_b64 exec, exec, s[2:3]
	s_mov_b32 s2, 0xffffff
	v_cmp_lt_u32_e32 vcc, s2, v33
	v_mov_b32_e32 v53, 0
	v_mov_b32_e32 v58, 0
	s_and_saveexec_b64 s[2:3], vcc
	s_cbranch_execz .LBB582_301
; %bb.296:
	v_lshrrev_b32_e32 v30, 24, v33
	s_movk_i32 s8, 0x80
	v_cmp_ne_u32_e32 vcc, s8, v30
	v_bfrev_b32_e32 v58, 1
	s_and_saveexec_b64 s[8:9], vcc
	s_cbranch_execz .LBB582_300
; %bb.297:
	v_bfe_u32 v33, v33, 24, 7
	s_movk_i32 s10, 0x7f
	v_cmp_ne_u32_e32 vcc, s10, v33
	v_mov_b32_e32 v58, 0x7f800001
	s_and_saveexec_b64 s[10:11], vcc
	s_cbranch_execz .LBB582_299
; %bb.298:
	v_and_b32_e32 v60, 7, v30
	v_ffbh_u32_e32 v58, v60
	v_min_u32_e32 v62, 32, v58
	v_subrev_u32_e32 v58, 28, v62
	v_lshlrev_b64 v[58:59], v58, v[30:31]
	v_lshrrev_b32_e32 v61, 3, v33
	v_sub_u32_e32 v59, 29, v62
	v_and_b32_e32 v58, 7, v58
	v_cmp_gt_u32_e32 vcc, 8, v33
	v_cndmask_b32_e32 v33, v61, v59, vcc
	v_cndmask_b32_e32 v58, v60, v58, vcc
	v_lshlrev_b32_e32 v30, 24, v30
	v_bfrev_b32_e32 v59, 60
	v_lshlrev_b32_e32 v58, 20, v58
	v_and_b32_e32 v30, 0x80000000, v30
	v_lshl_add_u32 v33, v33, 23, v59
	v_or3_b32 v58, v30, v33, v58
.LBB582_299:
	s_or_b64 exec, exec, s[10:11]
.LBB582_300:
	s_or_b64 exec, exec, s[8:9]
.LBB582_301:
	s_or_b64 exec, exec, s[2:3]
	v_cvt_pkrtz_f16_f32 v30, v52, v54
	v_cvt_pkrtz_f16_f32 v31, v31, v56
	v_cmp_ne_u16_sdwa s[8:9], v22, v53 src0_sel:BYTE_0 src1_sel:DWORD
	s_nop 0
	v_mfma_f32_16x16x16f16 v[42:45], v[30:31], v[18:19], v[42:45]
	v_cvt_pkrtz_f16_f32 v30, v55, v57
	v_cvt_pkrtz_f16_f32 v31, v32, v58
	s_nop 1
	v_mfma_f32_16x16x16f16 v[30:33], v[30:31], v[20:21], v[42:45]
	s_and_saveexec_b64 s[2:3], s[8:9]
	s_cbranch_execz .LBB582_307
; %bb.302:
	s_movk_i32 s8, 0x80
	v_cmp_ne_u16_sdwa s[10:11], v22, s8 src0_sel:BYTE_0 src1_sel:DWORD
	v_bfrev_b32_e32 v53, 1
	s_and_saveexec_b64 s[8:9], s[10:11]
	s_cbranch_execz .LBB582_306
; %bb.303:
	s_movk_i32 s10, 0x7f
	v_and_b32_e32 v42, 0x7f, v22
	v_cmp_ne_u32_e32 vcc, s10, v42
	v_mov_b32_e32 v53, 0x7f800001
	s_and_saveexec_b64 s[10:11], vcc
	s_cbranch_execz .LBB582_305
; %bb.304:
	v_and_b32_e32 v43, 7, v22
	v_ffbh_u32_e32 v44, v43
	v_min_u32_e32 v53, 32, v44
	v_subrev_u32_e32 v44, 28, v53
	v_lshlrev_b64 v[44:45], v44, v[22:23]
	v_lshrrev_b32_e32 v52, 3, v42
	v_sub_u32_e32 v45, 29, v53
	v_and_b32_e32 v44, 7, v44
	v_cmp_gt_u32_e32 vcc, 8, v42
	v_cndmask_b32_e32 v42, v52, v45, vcc
	v_cndmask_b32_e32 v43, v43, v44, vcc
	v_lshlrev_b32_e32 v44, 24, v22
	v_bfrev_b32_e32 v45, 60
	v_lshlrev_b32_e32 v43, 20, v43
	v_and_b32_e32 v44, 0x80000000, v44
	v_lshl_add_u32 v42, v42, 23, v45
	v_or3_b32 v53, v44, v42, v43
.LBB582_305:
	s_or_b64 exec, exec, s[10:11]
.LBB582_306:
	s_or_b64 exec, exec, s[8:9]
.LBB582_307:
	s_or_b64 exec, exec, s[2:3]
	s_nop 3
	v_lshrrev_b16_e32 v42, 8, v22
	v_cmp_ne_u16_e32 vcc, 0, v42
	v_mov_b32_e32 v43, 0
	v_mov_b32_e32 v44, 0
	s_and_saveexec_b64 s[2:3], vcc
	s_cbranch_execz .LBB582_313
; %bb.308:
	s_movk_i32 s8, 0x80
	v_cmp_ne_u16_e32 vcc, s8, v42
	v_bfrev_b32_e32 v44, 1
	s_and_saveexec_b64 s[8:9], vcc
	s_cbranch_execz .LBB582_312
; %bb.309:
	s_movk_i32 s10, 0x7f
	v_and_b32_e32 v45, 0x7f, v42
	v_cmp_ne_u32_e32 vcc, s10, v45
	v_mov_b32_e32 v44, 0x7f800001
	s_and_saveexec_b64 s[10:11], vcc
	s_cbranch_execz .LBB582_311
; %bb.310:
	v_and_b32_e32 v44, 7, v42
	v_ffbh_u32_e32 v54, v44
	v_min_u32_e32 v56, 32, v54
	v_subrev_u32_e32 v54, 28, v56
	v_lshlrev_b64 v[54:55], v54, v[42:43]
	v_lshrrev_b32_e32 v52, 3, v45
	v_sub_u32_e32 v42, 29, v56
	v_and_b32_e32 v54, 7, v54
	v_cmp_gt_u32_e32 vcc, 8, v45
	v_cndmask_b32_e32 v42, v52, v42, vcc
	v_cndmask_b32_e32 v44, v44, v54, vcc
	v_lshlrev_b32_e32 v45, 16, v22
	v_bfrev_b32_e32 v52, 60
	v_lshlrev_b32_e32 v44, 20, v44
	v_and_b32_e32 v45, 0x80000000, v45
	v_lshl_add_u32 v42, v42, 23, v52
	v_or3_b32 v44, v45, v42, v44
.LBB582_311:
	s_or_b64 exec, exec, s[10:11]
.LBB582_312:
	s_or_b64 exec, exec, s[8:9]
.LBB582_313:
	s_or_b64 exec, exec, s[2:3]
	s_movk_i32 s2, 0xff
	v_and_b32_sdwa v45, v22, s2 dst_sel:DWORD dst_unused:UNUSED_PAD src0_sel:WORD_1 src1_sel:DWORD
	v_lshrrev_b32_e32 v42, 16, v22
	v_cmp_ne_u16_e32 vcc, 0, v45
	s_and_saveexec_b64 s[2:3], vcc
	s_cbranch_execz .LBB582_319
; %bb.314:
	s_movk_i32 s8, 0x80
	v_cmp_ne_u16_e32 vcc, s8, v45
	v_bfrev_b32_e32 v43, 1
	s_and_saveexec_b64 s[8:9], vcc
	s_cbranch_execz .LBB582_318
; %bb.315:
	v_bfe_u32 v45, v22, 16, 7
	s_movk_i32 s10, 0x7f
	v_cmp_ne_u32_e32 vcc, s10, v45
	v_mov_b32_e32 v43, 0x7f800001
	s_and_saveexec_b64 s[10:11], vcc
	s_cbranch_execz .LBB582_317
; %bb.316:
	v_and_b32_e32 v52, 7, v42
	v_ffbh_u32_e32 v43, v52
	v_min_u32_e32 v55, 32, v43
	v_subrev_u32_e32 v43, 28, v55
	v_lshlrev_b64 v[42:43], v43, v[42:43]
	v_lshrrev_b32_e32 v54, 3, v45
	v_sub_u32_e32 v43, 29, v55
	v_and_b32_e32 v42, 7, v42
	v_cmp_gt_u32_e32 vcc, 8, v45
	v_mov_b32_e32 v45, 24
	v_cndmask_b32_e32 v43, v54, v43, vcc
	v_cndmask_b32_e32 v42, v52, v42, vcc
	v_lshlrev_b32_sdwa v45, v45, v22 dst_sel:DWORD dst_unused:UNUSED_PAD src0_sel:DWORD src1_sel:WORD_1
	v_bfrev_b32_e32 v52, 60
	v_lshlrev_b32_e32 v42, 20, v42
	v_and_b32_e32 v45, 0x80000000, v45
	v_lshl_add_u32 v43, v43, 23, v52
	v_or3_b32 v43, v45, v43, v42
.LBB582_317:
	s_or_b64 exec, exec, s[10:11]
.LBB582_318:
	s_or_b64 exec, exec, s[8:9]
.LBB582_319:
	s_or_b64 exec, exec, s[2:3]
	s_mov_b32 s2, 0xffffff
	v_cmp_lt_u32_e32 vcc, s2, v22
	v_mov_b32_e32 v45, 0
	v_mov_b32_e32 v52, 0
	s_and_saveexec_b64 s[2:3], vcc
	s_cbranch_execz .LBB582_325
; %bb.320:
	v_lshrrev_b32_e32 v42, 24, v22
	s_movk_i32 s8, 0x80
	v_cmp_ne_u32_e32 vcc, s8, v42
	v_bfrev_b32_e32 v52, 1
	s_and_saveexec_b64 s[8:9], vcc
	s_cbranch_execz .LBB582_324
; %bb.321:
	v_bfe_u32 v22, v22, 24, 7
	s_movk_i32 s10, 0x7f
	v_cmp_ne_u32_e32 vcc, s10, v22
	v_mov_b32_e32 v52, 0x7f800001
	s_and_saveexec_b64 s[10:11], vcc
	s_cbranch_execz .LBB582_323
; %bb.322:
	v_and_b32_e32 v52, 7, v42
	v_ffbh_u32_e32 v54, v52
	v_min_u32_e32 v57, 32, v54
	v_subrev_u32_e32 v54, 28, v57
	v_lshlrev_b64 v[54:55], v54, v[42:43]
	v_lshrrev_b32_e32 v56, 3, v22
	v_sub_u32_e32 v55, 29, v57
	v_and_b32_e32 v54, 7, v54
	v_cmp_gt_u32_e32 vcc, 8, v22
	v_cndmask_b32_e32 v22, v56, v55, vcc
	v_cndmask_b32_e32 v52, v52, v54, vcc
	v_lshlrev_b32_e32 v42, 24, v42
	v_bfrev_b32_e32 v54, 60
	v_lshlrev_b32_e32 v52, 20, v52
	v_and_b32_e32 v42, 0x80000000, v42
	v_lshl_add_u32 v22, v22, 23, v54
	v_or3_b32 v52, v42, v22, v52
.LBB582_323:
	s_or_b64 exec, exec, s[10:11]
.LBB582_324:
	s_or_b64 exec, exec, s[8:9]
.LBB582_325:
	s_or_b64 exec, exec, s[2:3]
	v_cmp_ne_u16_sdwa s[8:9], v23, v45 src0_sel:BYTE_0 src1_sel:DWORD
	s_and_saveexec_b64 s[2:3], s[8:9]
	s_cbranch_execz .LBB582_331
; %bb.326:
	s_movk_i32 s8, 0x80
	v_cmp_ne_u16_sdwa s[10:11], v23, s8 src0_sel:BYTE_0 src1_sel:DWORD
	v_bfrev_b32_e32 v45, 1
	s_and_saveexec_b64 s[8:9], s[10:11]
	s_cbranch_execz .LBB582_330
; %bb.327:
	s_movk_i32 s10, 0x7f
	v_and_b32_e32 v22, 0x7f, v23
	v_cmp_ne_u32_e32 vcc, s10, v22
	v_mov_b32_e32 v45, 0x7f800001
	s_and_saveexec_b64 s[10:11], vcc
	s_cbranch_execz .LBB582_329
; %bb.328:
	v_and_b32_e32 v45, 7, v23
	v_ffbh_u32_e32 v54, v45
	v_min_u32_e32 v57, 32, v54
	v_mov_b32_e32 v42, v23
	v_subrev_u32_e32 v54, 28, v57
	v_lshlrev_b64 v[54:55], v54, v[42:43]
	v_lshrrev_b32_e32 v56, 3, v22
	v_sub_u32_e32 v42, 29, v57
	v_and_b32_e32 v54, 7, v54
	v_cmp_gt_u32_e32 vcc, 8, v22
	v_cndmask_b32_e32 v22, v56, v42, vcc
	v_cndmask_b32_e32 v42, v45, v54, vcc
	v_lshlrev_b32_e32 v45, 24, v23
	v_bfrev_b32_e32 v54, 60
	v_lshlrev_b32_e32 v42, 20, v42
	v_and_b32_e32 v45, 0x80000000, v45
	v_lshl_add_u32 v22, v22, 23, v54
	v_or3_b32 v45, v45, v22, v42
.LBB582_329:
	s_or_b64 exec, exec, s[10:11]
.LBB582_330:
	s_or_b64 exec, exec, s[8:9]
.LBB582_331:
	s_or_b64 exec, exec, s[2:3]
	v_lshrrev_b16_e32 v22, 8, v23
	v_cmp_ne_u16_e32 vcc, 0, v22
	v_mov_b32_e32 v54, 0
	v_mov_b32_e32 v55, 0
	s_and_saveexec_b64 s[2:3], vcc
	s_cbranch_execz .LBB582_337
; %bb.332:
	s_movk_i32 s8, 0x80
	v_cmp_ne_u16_e32 vcc, s8, v22
	v_bfrev_b32_e32 v55, 1
	s_and_saveexec_b64 s[8:9], vcc
	s_cbranch_execz .LBB582_336
; %bb.333:
	s_movk_i32 s10, 0x7f
	v_and_b32_e32 v42, 0x7f, v22
	v_cmp_ne_u32_e32 vcc, s10, v42
	v_mov_b32_e32 v55, 0x7f800001
	s_and_saveexec_b64 s[10:11], vcc
	s_cbranch_execz .LBB582_335
; %bb.334:
	v_and_b32_e32 v55, 7, v22
	v_ffbh_u32_e32 v56, v55
	v_min_u32_e32 v59, 32, v56
	v_subrev_u32_e32 v56, 28, v59
	v_lshlrev_b64 v[56:57], v56, v[22:23]
	v_lshrrev_b32_e32 v58, 3, v42
	v_sub_u32_e32 v22, 29, v59
	v_and_b32_e32 v56, 7, v56
	v_cmp_gt_u32_e32 vcc, 8, v42
	v_cndmask_b32_e32 v22, v58, v22, vcc
	v_cndmask_b32_e32 v42, v55, v56, vcc
	v_lshlrev_b32_e32 v55, 16, v23
	v_bfrev_b32_e32 v56, 60
	v_lshlrev_b32_e32 v42, 20, v42
	v_and_b32_e32 v55, 0x80000000, v55
	v_lshl_add_u32 v22, v22, 23, v56
	v_or3_b32 v55, v55, v22, v42
.LBB582_335:
	s_or_b64 exec, exec, s[10:11]
.LBB582_336:
	s_or_b64 exec, exec, s[8:9]
.LBB582_337:
	s_or_b64 exec, exec, s[2:3]
	s_movk_i32 s2, 0xff
	v_and_b32_sdwa v42, v23, s2 dst_sel:DWORD dst_unused:UNUSED_PAD src0_sel:WORD_1 src1_sel:DWORD
	v_lshrrev_b32_e32 v22, 16, v23
	v_cmp_ne_u16_e32 vcc, 0, v42
	s_and_saveexec_b64 s[2:3], vcc
	s_cbranch_execz .LBB582_343
; %bb.338:
	s_movk_i32 s8, 0x80
	v_cmp_ne_u16_e32 vcc, s8, v42
	v_bfrev_b32_e32 v54, 1
	s_and_saveexec_b64 s[8:9], vcc
	s_cbranch_execz .LBB582_342
; %bb.339:
	v_bfe_u32 v42, v23, 16, 7
	s_movk_i32 s10, 0x7f
	v_cmp_ne_u32_e32 vcc, s10, v42
	v_mov_b32_e32 v54, 0x7f800001
	s_and_saveexec_b64 s[10:11], vcc
	s_cbranch_execz .LBB582_341
; %bb.340:
	v_and_b32_e32 v54, 7, v22
	v_ffbh_u32_e32 v56, v54
	v_min_u32_e32 v59, 32, v56
	v_subrev_u32_e32 v56, 28, v59
	v_lshlrev_b64 v[56:57], v56, v[22:23]
	v_and_b32_e32 v56, 7, v56
	v_cmp_gt_u32_e32 vcc, 8, v42
	v_lshrrev_b32_e32 v58, 3, v42
	v_sub_u32_e32 v22, 29, v59
	v_cndmask_b32_e32 v42, v54, v56, vcc
	v_mov_b32_e32 v54, 24
	v_cndmask_b32_e32 v22, v58, v22, vcc
	v_lshlrev_b32_sdwa v54, v54, v23 dst_sel:DWORD dst_unused:UNUSED_PAD src0_sel:DWORD src1_sel:WORD_1
	v_bfrev_b32_e32 v56, 60
	v_lshlrev_b32_e32 v42, 20, v42
	v_and_b32_e32 v54, 0x80000000, v54
	v_lshl_add_u32 v22, v22, 23, v56
	v_or3_b32 v54, v54, v22, v42
.LBB582_341:
	s_or_b64 exec, exec, s[10:11]
.LBB582_342:
	s_or_b64 exec, exec, s[8:9]
.LBB582_343:
	s_or_b64 exec, exec, s[2:3]
	s_mov_b32 s2, 0xffffff
	v_cmp_lt_u32_e32 vcc, s2, v23
	v_mov_b32_e32 v42, 0
	v_mov_b32_e32 v56, 0
	s_and_saveexec_b64 s[2:3], vcc
	s_cbranch_execz .LBB582_349
; %bb.344:
	v_lshrrev_b32_e32 v22, 24, v23
	s_movk_i32 s8, 0x80
	v_cmp_ne_u32_e32 vcc, s8, v22
	v_bfrev_b32_e32 v56, 1
	s_and_saveexec_b64 s[8:9], vcc
	s_cbranch_execz .LBB582_348
; %bb.345:
	v_bfe_u32 v23, v23, 24, 7
	s_movk_i32 s10, 0x7f
	v_cmp_ne_u32_e32 vcc, s10, v23
	v_mov_b32_e32 v56, 0x7f800001
	s_and_saveexec_b64 s[10:11], vcc
	s_cbranch_execz .LBB582_347
; %bb.346:
	v_and_b32_e32 v58, 7, v22
	v_ffbh_u32_e32 v56, v58
	v_min_u32_e32 v60, 32, v56
	v_subrev_u32_e32 v56, 28, v60
	v_lshlrev_b64 v[56:57], v56, v[22:23]
	v_lshrrev_b32_e32 v59, 3, v23
	v_sub_u32_e32 v57, 29, v60
	v_and_b32_e32 v56, 7, v56
	v_cmp_gt_u32_e32 vcc, 8, v23
	v_cndmask_b32_e32 v23, v59, v57, vcc
	v_cndmask_b32_e32 v56, v58, v56, vcc
	v_lshlrev_b32_e32 v22, 24, v22
	v_bfrev_b32_e32 v57, 60
	v_lshlrev_b32_e32 v56, 20, v56
	v_and_b32_e32 v22, 0x80000000, v22
	v_lshl_add_u32 v23, v23, 23, v57
	v_or3_b32 v56, v22, v23, v56
.LBB582_347:
	s_or_b64 exec, exec, s[10:11]
.LBB582_348:
	s_or_b64 exec, exec, s[8:9]
.LBB582_349:
	s_or_b64 exec, exec, s[2:3]
	v_cvt_pkrtz_f16_f32 v22, v53, v44
	v_cvt_pkrtz_f16_f32 v23, v43, v52
	v_cmp_ne_u16_sdwa s[8:9], v24, v42 src0_sel:BYTE_0 src1_sel:DWORD
	s_nop 0
	v_mfma_f32_16x16x16f16 v[58:61], v[22:23], v[26:27], 0
	v_cvt_pkrtz_f16_f32 v22, v45, v55
	v_cvt_pkrtz_f16_f32 v23, v54, v56
	s_nop 1
	v_mfma_f32_16x16x16f16 v[26:29], v[22:23], v[28:29], v[58:61]
	s_and_saveexec_b64 s[2:3], s[8:9]
	s_cbranch_execz .LBB582_355
; %bb.350:
	s_movk_i32 s8, 0x80
	v_cmp_ne_u16_sdwa s[10:11], v24, s8 src0_sel:BYTE_0 src1_sel:DWORD
	v_bfrev_b32_e32 v42, 1
	s_and_saveexec_b64 s[8:9], s[10:11]
	s_cbranch_execz .LBB582_354
; %bb.351:
	s_movk_i32 s10, 0x7f
	v_and_b32_e32 v22, 0x7f, v24
	v_cmp_ne_u32_e32 vcc, s10, v22
	v_mov_b32_e32 v42, 0x7f800001
	s_and_saveexec_b64 s[10:11], vcc
	s_cbranch_execz .LBB582_353
; %bb.352:
	v_and_b32_e32 v23, 7, v24
	v_ffbh_u32_e32 v42, v23
	v_min_u32_e32 v45, 32, v42
	v_subrev_u32_e32 v42, 28, v45
	v_lshlrev_b64 v[42:43], v42, v[24:25]
	v_lshrrev_b32_e32 v44, 3, v22
	v_sub_u32_e32 v43, 29, v45
	v_and_b32_e32 v42, 7, v42
	v_cmp_gt_u32_e32 vcc, 8, v22
	v_cndmask_b32_e32 v22, v44, v43, vcc
	v_cndmask_b32_e32 v23, v23, v42, vcc
	v_lshlrev_b32_e32 v42, 24, v24
	v_bfrev_b32_e32 v43, 60
	v_lshlrev_b32_e32 v23, 20, v23
	v_and_b32_e32 v42, 0x80000000, v42
	v_lshl_add_u32 v22, v22, 23, v43
	v_or3_b32 v42, v42, v22, v23
.LBB582_353:
	s_or_b64 exec, exec, s[10:11]
.LBB582_354:
	s_or_b64 exec, exec, s[8:9]
.LBB582_355:
	s_or_b64 exec, exec, s[2:3]
	v_lshrrev_b16_e32 v22, 8, v24
	v_cmp_ne_u16_e32 vcc, 0, v22
	v_mov_b32_e32 v23, 0
	v_mov_b32_e32 v43, 0
	s_and_saveexec_b64 s[2:3], vcc
	s_cbranch_execz .LBB582_361
; %bb.356:
	s_movk_i32 s8, 0x80
	v_cmp_ne_u16_e32 vcc, s8, v22
	v_bfrev_b32_e32 v43, 1
	s_and_saveexec_b64 s[8:9], vcc
	s_cbranch_execz .LBB582_360
; %bb.357:
	s_movk_i32 s10, 0x7f
	v_and_b32_e32 v44, 0x7f, v22
	v_cmp_ne_u32_e32 vcc, s10, v44
	v_mov_b32_e32 v43, 0x7f800001
	s_and_saveexec_b64 s[10:11], vcc
	s_cbranch_execz .LBB582_359
; %bb.358:
	v_and_b32_e32 v43, 7, v22
	v_ffbh_u32_e32 v52, v43
	v_min_u32_e32 v54, 32, v52
	v_subrev_u32_e32 v52, 28, v54
	v_lshlrev_b64 v[52:53], v52, v[22:23]
	v_lshrrev_b32_e32 v45, 3, v44
	v_sub_u32_e32 v22, 29, v54
	v_and_b32_e32 v52, 7, v52
	v_cmp_gt_u32_e32 vcc, 8, v44
	v_cndmask_b32_e32 v22, v45, v22, vcc
	v_cndmask_b32_e32 v43, v43, v52, vcc
	v_lshlrev_b32_e32 v44, 16, v24
	v_bfrev_b32_e32 v45, 60
	v_lshlrev_b32_e32 v43, 20, v43
	v_and_b32_e32 v44, 0x80000000, v44
	v_lshl_add_u32 v22, v22, 23, v45
	v_or3_b32 v43, v44, v22, v43
.LBB582_359:
	s_or_b64 exec, exec, s[10:11]
.LBB582_360:
	s_or_b64 exec, exec, s[8:9]
.LBB582_361:
	s_or_b64 exec, exec, s[2:3]
	s_movk_i32 s2, 0xff
	v_and_b32_sdwa v44, v24, s2 dst_sel:DWORD dst_unused:UNUSED_PAD src0_sel:WORD_1 src1_sel:DWORD
	v_lshrrev_b32_e32 v22, 16, v24
	v_cmp_ne_u16_e32 vcc, 0, v44
	s_and_saveexec_b64 s[2:3], vcc
	s_cbranch_execz .LBB582_367
; %bb.362:
	s_movk_i32 s8, 0x80
	v_cmp_ne_u16_e32 vcc, s8, v44
	v_bfrev_b32_e32 v23, 1
	s_and_saveexec_b64 s[8:9], vcc
	s_cbranch_execz .LBB582_366
; %bb.363:
	v_bfe_u32 v44, v24, 16, 7
	s_movk_i32 s10, 0x7f
	v_cmp_ne_u32_e32 vcc, s10, v44
	v_mov_b32_e32 v23, 0x7f800001
	s_and_saveexec_b64 s[10:11], vcc
	s_cbranch_execz .LBB582_365
; %bb.364:
	v_and_b32_e32 v45, 7, v22
	v_ffbh_u32_e32 v23, v45
	v_min_u32_e32 v53, 32, v23
	v_subrev_u32_e32 v23, 28, v53
	v_lshlrev_b64 v[22:23], v23, v[22:23]
	v_lshrrev_b32_e32 v52, 3, v44
	v_sub_u32_e32 v23, 29, v53
	v_and_b32_e32 v22, 7, v22
	v_cmp_gt_u32_e32 vcc, 8, v44
	v_mov_b32_e32 v44, 24
	v_cndmask_b32_e32 v23, v52, v23, vcc
	v_cndmask_b32_e32 v22, v45, v22, vcc
	v_lshlrev_b32_sdwa v44, v44, v24 dst_sel:DWORD dst_unused:UNUSED_PAD src0_sel:DWORD src1_sel:WORD_1
	v_bfrev_b32_e32 v45, 60
	v_lshlrev_b32_e32 v22, 20, v22
	v_and_b32_e32 v44, 0x80000000, v44
	v_lshl_add_u32 v23, v23, 23, v45
	v_or3_b32 v23, v44, v23, v22
.LBB582_365:
	s_or_b64 exec, exec, s[10:11]
.LBB582_366:
	s_or_b64 exec, exec, s[8:9]
.LBB582_367:
	s_or_b64 exec, exec, s[2:3]
	s_mov_b32 s2, 0xffffff
	v_cmp_lt_u32_e32 vcc, s2, v24
	v_mov_b32_e32 v45, 0
	v_mov_b32_e32 v52, 0
	s_and_saveexec_b64 s[2:3], vcc
	s_cbranch_execz .LBB582_373
; %bb.368:
	v_lshrrev_b32_e32 v22, 24, v24
	s_movk_i32 s8, 0x80
	v_cmp_ne_u32_e32 vcc, s8, v22
	v_bfrev_b32_e32 v52, 1
	s_and_saveexec_b64 s[8:9], vcc
	s_cbranch_execz .LBB582_372
; %bb.369:
	v_bfe_u32 v24, v24, 24, 7
	s_movk_i32 s10, 0x7f
	v_cmp_ne_u32_e32 vcc, s10, v24
	v_mov_b32_e32 v52, 0x7f800001
	s_and_saveexec_b64 s[10:11], vcc
	s_cbranch_execz .LBB582_371
; %bb.370:
	v_and_b32_e32 v44, 7, v22
	v_ffbh_u32_e32 v52, v44
	v_min_u32_e32 v55, 32, v52
	v_subrev_u32_e32 v52, 28, v55
	v_lshlrev_b64 v[52:53], v52, v[22:23]
	v_lshrrev_b32_e32 v54, 3, v24
	v_sub_u32_e32 v53, 29, v55
	v_and_b32_e32 v52, 7, v52
	v_cmp_gt_u32_e32 vcc, 8, v24
	v_cndmask_b32_e32 v24, v54, v53, vcc
	v_cndmask_b32_e32 v44, v44, v52, vcc
	v_lshlrev_b32_e32 v22, 24, v22
	v_bfrev_b32_e32 v52, 60
	v_lshlrev_b32_e32 v44, 20, v44
	v_and_b32_e32 v22, 0x80000000, v22
	v_lshl_add_u32 v24, v24, 23, v52
	v_or3_b32 v52, v22, v24, v44
.LBB582_371:
	s_or_b64 exec, exec, s[10:11]
.LBB582_372:
	s_or_b64 exec, exec, s[8:9]
.LBB582_373:
	s_or_b64 exec, exec, s[2:3]
	v_cmp_ne_u16_sdwa s[8:9], v25, v45 src0_sel:BYTE_0 src1_sel:DWORD
	s_and_saveexec_b64 s[2:3], s[8:9]
	s_cbranch_execz .LBB582_379
; %bb.374:
	s_movk_i32 s8, 0x80
	v_cmp_ne_u16_sdwa s[10:11], v25, s8 src0_sel:BYTE_0 src1_sel:DWORD
	v_bfrev_b32_e32 v45, 1
	s_and_saveexec_b64 s[8:9], s[10:11]
	s_cbranch_execz .LBB582_378
; %bb.375:
	s_movk_i32 s10, 0x7f
	v_and_b32_e32 v22, 0x7f, v25
	v_cmp_ne_u32_e32 vcc, s10, v22
	v_mov_b32_e32 v45, 0x7f800001
	s_and_saveexec_b64 s[10:11], vcc
	s_cbranch_execz .LBB582_377
; %bb.376:
	v_and_b32_e32 v53, 7, v25
	v_ffbh_u32_e32 v44, v53
	v_min_u32_e32 v55, 32, v44
	v_mov_b32_e32 v24, v25
	v_subrev_u32_e32 v44, 28, v55
	v_lshlrev_b64 v[44:45], v44, v[24:25]
	v_lshrrev_b32_e32 v54, 3, v22
	v_sub_u32_e32 v24, 29, v55
	v_and_b32_e32 v44, 7, v44
	v_cmp_gt_u32_e32 vcc, 8, v22
	v_cndmask_b32_e32 v22, v54, v24, vcc
	v_cndmask_b32_e32 v24, v53, v44, vcc
	v_lshlrev_b32_e32 v44, 24, v25
	v_bfrev_b32_e32 v45, 60
	v_lshlrev_b32_e32 v24, 20, v24
	v_and_b32_e32 v44, 0x80000000, v44
	v_lshl_add_u32 v22, v22, 23, v45
	v_or3_b32 v45, v44, v22, v24
.LBB582_377:
	s_or_b64 exec, exec, s[10:11]
.LBB582_378:
	s_or_b64 exec, exec, s[8:9]
.LBB582_379:
	s_or_b64 exec, exec, s[2:3]
	v_lshrrev_b16_e32 v22, 8, v25
	v_cmp_ne_u16_e32 vcc, 0, v22
	v_mov_b32_e32 v53, 0
	v_mov_b32_e32 v54, 0
	s_and_saveexec_b64 s[2:3], vcc
	s_cbranch_execz .LBB582_385
; %bb.380:
	s_movk_i32 s8, 0x80
	v_cmp_ne_u16_e32 vcc, s8, v22
	v_bfrev_b32_e32 v54, 1
	s_and_saveexec_b64 s[8:9], vcc
	s_cbranch_execz .LBB582_384
; %bb.381:
	s_movk_i32 s10, 0x7f
	v_and_b32_e32 v24, 0x7f, v22
	v_cmp_ne_u32_e32 vcc, s10, v24
	v_mov_b32_e32 v54, 0x7f800001
	s_and_saveexec_b64 s[10:11], vcc
	s_cbranch_execz .LBB582_383
; %bb.382:
	v_and_b32_e32 v44, 7, v22
	v_ffbh_u32_e32 v54, v44
	v_min_u32_e32 v57, 32, v54
	v_subrev_u32_e32 v54, 28, v57
	v_lshlrev_b64 v[54:55], v54, v[22:23]
	v_lshrrev_b32_e32 v56, 3, v24
	v_sub_u32_e32 v22, 29, v57
	v_and_b32_e32 v54, 7, v54
	v_cmp_gt_u32_e32 vcc, 8, v24
	v_cndmask_b32_e32 v22, v56, v22, vcc
	v_cndmask_b32_e32 v24, v44, v54, vcc
	v_lshlrev_b32_e32 v44, 16, v25
	v_bfrev_b32_e32 v54, 60
	v_lshlrev_b32_e32 v24, 20, v24
	v_and_b32_e32 v44, 0x80000000, v44
	v_lshl_add_u32 v22, v22, 23, v54
	v_or3_b32 v54, v44, v22, v24
.LBB582_383:
	s_or_b64 exec, exec, s[10:11]
.LBB582_384:
	s_or_b64 exec, exec, s[8:9]
.LBB582_385:
	s_or_b64 exec, exec, s[2:3]
	s_movk_i32 s2, 0xff
	v_and_b32_sdwa v24, v25, s2 dst_sel:DWORD dst_unused:UNUSED_PAD src0_sel:WORD_1 src1_sel:DWORD
	v_lshrrev_b32_e32 v22, 16, v25
	v_cmp_ne_u16_e32 vcc, 0, v24
	s_and_saveexec_b64 s[2:3], vcc
	s_cbranch_execz .LBB582_391
; %bb.386:
	s_movk_i32 s8, 0x80
	v_cmp_ne_u16_e32 vcc, s8, v24
	v_bfrev_b32_e32 v53, 1
	s_and_saveexec_b64 s[8:9], vcc
	s_cbranch_execz .LBB582_390
; %bb.387:
	v_bfe_u32 v24, v25, 16, 7
	s_movk_i32 s10, 0x7f
	v_cmp_ne_u32_e32 vcc, s10, v24
	v_mov_b32_e32 v53, 0x7f800001
	s_and_saveexec_b64 s[10:11], vcc
	s_cbranch_execz .LBB582_389
; %bb.388:
	v_and_b32_e32 v44, 7, v22
	v_ffbh_u32_e32 v55, v44
	v_min_u32_e32 v55, 32, v55
	v_subrev_u32_e32 v56, 28, v55
	v_lshlrev_b64 v[56:57], v56, v[22:23]
	v_sub_u32_e32 v22, 29, v55
	v_and_b32_e32 v55, 7, v56
	v_cmp_gt_u32_e32 vcc, 8, v24
	v_lshrrev_b32_e32 v53, 3, v24
	v_cndmask_b32_e32 v24, v44, v55, vcc
	v_mov_b32_e32 v44, 24
	v_cndmask_b32_e32 v22, v53, v22, vcc
	v_lshlrev_b32_sdwa v44, v44, v25 dst_sel:DWORD dst_unused:UNUSED_PAD src0_sel:DWORD src1_sel:WORD_1
	v_bfrev_b32_e32 v53, 60
	v_lshlrev_b32_e32 v24, 20, v24
	v_and_b32_e32 v44, 0x80000000, v44
	v_lshl_add_u32 v22, v22, 23, v53
	v_or3_b32 v53, v44, v22, v24
.LBB582_389:
	s_or_b64 exec, exec, s[10:11]
.LBB582_390:
	s_or_b64 exec, exec, s[8:9]
.LBB582_391:
	s_or_b64 exec, exec, s[2:3]
	s_mov_b32 s2, 0xffffff
	v_and_b32_e32 v44, 63, v0
	v_cmp_lt_u32_e32 vcc, s2, v25
	v_mov_b32_e32 v55, 0
	s_and_saveexec_b64 s[2:3], vcc
	s_cbranch_execz .LBB582_397
; %bb.392:
	v_lshrrev_b32_e32 v22, 24, v25
	s_movk_i32 s8, 0x80
	v_cmp_ne_u32_e32 vcc, s8, v22
	v_bfrev_b32_e32 v55, 1
	s_and_saveexec_b64 s[8:9], vcc
	s_cbranch_execz .LBB582_396
; %bb.393:
	v_bfe_u32 v24, v25, 24, 7
	s_movk_i32 s10, 0x7f
	v_cmp_ne_u32_e32 vcc, s10, v24
	v_mov_b32_e32 v55, 0x7f800001
	s_and_saveexec_b64 s[10:11], vcc
	s_cbranch_execz .LBB582_395
; %bb.394:
	v_and_b32_e32 v25, 7, v22
	v_ffbh_u32_e32 v56, v25
	v_min_u32_e32 v58, 32, v56
	v_subrev_u32_e32 v56, 28, v58
	v_lshlrev_b64 v[56:57], v56, v[22:23]
	v_lshrrev_b32_e32 v55, 3, v24
	v_sub_u32_e32 v57, 29, v58
	v_and_b32_e32 v56, 7, v56
	v_cmp_gt_u32_e32 vcc, 8, v24
	v_cndmask_b32_e32 v24, v55, v57, vcc
	v_cndmask_b32_e32 v25, v25, v56, vcc
	v_lshlrev_b32_e32 v22, 24, v22
	v_bfrev_b32_e32 v55, 60
	v_lshlrev_b32_e32 v25, 20, v25
	v_and_b32_e32 v22, 0x80000000, v22
	v_lshl_add_u32 v24, v24, 23, v55
	v_or3_b32 v55, v22, v24, v25
.LBB582_395:
	s_or_b64 exec, exec, s[10:11]
.LBB582_396:
	s_or_b64 exec, exec, s[8:9]
.LBB582_397:
	s_or_b64 exec, exec, s[2:3]
	v_cvt_pkrtz_f16_f32 v42, v42, v43
	v_cvt_pkrtz_f16_f32 v43, v23, v52
	s_load_dword s2, s[4:5], 0x1c
	s_mov_b32 s46, 0xff7fffff
	s_waitcnt lgkmcnt(0)
	v_mfma_f32_16x16x16f16 v[26:29], v[42:43], v[18:19], v[26:29]
	v_cvt_pkrtz_f16_f32 v18, v45, v54
	v_cvt_pkrtz_f16_f32 v19, v53, v55
	v_mov_b32_e32 v22, s2
	v_mul_f32_e32 v52, s12, v22
	v_pk_mul_f32 v[22:23], v[52:53], v[32:33] op_sel_hi:[0,1]
	v_pk_mul_f32 v[32:33], v[52:53], v[38:39] op_sel_hi:[0,1]
	v_and_b32_e32 v38, 0xc0, v0
	v_mfma_f32_16x16x16f16 v[26:29], v[18:19], v[20:21], v[26:29]
	v_add_u32_e32 v38, s18, v38
	v_lshl_or_b32 v38, v1, 2, v38
	v_or_b32_e32 v39, 1, v38
	v_pk_mul_f32 v[24:25], v[52:53], v[30:31] op_sel_hi:[0,1]
	v_pk_mul_f32 v[30:31], v[52:53], v[40:41] op_sel_hi:[0,1]
	v_subrev_u32_e32 v40, s33, v39
	v_pk_mul_f32 v[34:35], v[52:53], v[34:35] op_sel_hi:[0,1]
	s_nop 3
	v_pk_mul_f32 v[20:21], v[52:53], v[26:27] op_sel_hi:[0,1]
	v_add_u32_e32 v27, 1, v40
	v_pk_mul_f32 v[18:19], v[52:53], v[28:29] op_sel_hi:[0,1]
	v_cvt_f32_i32_e32 v27, v27
	v_add_u32_e32 v29, 3, v40
	v_cvt_f32_i32_e32 v29, v29
	v_cvt_f32_i32_e32 v26, v40
	v_pk_mul_f32 v[36:37], v[52:53], v[36:37] op_sel_hi:[0,1]
	v_fmac_f32_e32 v35, v51, v27
	v_add_u32_e32 v27, 16, v40
	v_fmac_f32_e32 v37, v51, v29
	v_cvt_f32_i32_e32 v27, v27
	v_add_u32_e32 v29, 17, v40
	v_fma_f32 v26, v51, v26, v34
	v_cvt_f32_i32_e32 v29, v29
	v_add_u32_e32 v34, 18, v40
	v_cvt_f32_i32_e32 v34, v34
	v_fma_f32 v41, v51, v27, v32
	v_add_u32_e32 v27, 32, v40
	v_fmac_f32_e32 v33, v51, v29
	v_cvt_f32_i32_e32 v27, v27
	v_add_u32_e32 v29, 33, v40
	v_add_u32_e32 v32, 34, v40
	v_fma_f32 v30, v51, v34, v30
	v_cvt_f32_i32_e32 v29, v29
	v_cvt_f32_i32_e32 v32, v32
	v_add_u32_e32 v34, 35, v40
	v_cvt_f32_i32_e32 v34, v34
	v_fma_f32 v24, v51, v27, v24
	v_add_u32_e32 v27, 48, v40
	v_fmac_f32_e32 v25, v51, v29
	v_fma_f32 v22, v51, v32, v22
	v_cvt_f32_i32_e32 v27, v27
	v_add_u32_e32 v29, 49, v40
	v_add_u32_e32 v32, 50, v40
	v_fmac_f32_e32 v23, v51, v34
	v_cvt_f32_i32_e32 v29, v29
	v_cvt_f32_i32_e32 v32, v32
	v_add_u32_e32 v34, 51, v40
	v_add_u32_e32 v28, 2, v40
	v_cvt_f32_i32_e32 v34, v34
	v_cvt_f32_i32_e32 v28, v28
	v_fma_f32 v20, v51, v27, v20
	v_mov_b32_e32 v27, 0xff7fffff
	v_cmp_gt_i32_e64 s[26:27], s33, v38
	v_cmp_gt_i32_e64 s[28:29], s33, v39
	v_fmac_f32_e32 v21, v51, v29
	v_fma_f32 v18, v51, v32, v18
	v_cndmask_b32_e64 v29, v27, v26, s[26:27]
	v_cndmask_b32_e64 v32, v27, v35, s[28:29]
	v_fmac_f32_e32 v19, v51, v34
	v_max3_f32 v29, v29, s46, v32
	v_or_b32_e32 v32, 2, v38
	v_or_b32_e32 v34, 3, v38
	v_fma_f32 v28, v51, v28, v36
	v_cmp_gt_i32_e64 s[30:31], s33, v32
	v_cmp_gt_i32_e64 s[34:35], s33, v34
	v_add_u32_e32 v36, 19, v40
	v_cndmask_b32_e64 v32, v27, v28, s[30:31]
	v_cndmask_b32_e64 v34, v27, v37, s[34:35]
	v_cvt_f32_i32_e32 v36, v36
	v_max3_f32 v29, v29, v32, v34
	v_or_b32_e32 v32, 16, v38
	v_or_b32_e32 v34, 17, v38
	v_cmp_gt_i32_e64 s[36:37], s33, v32
	v_cmp_gt_i32_e64 s[38:39], s33, v34
	v_cndmask_b32_e64 v32, v27, v41, s[36:37]
	v_cndmask_b32_e64 v34, v27, v33, s[38:39]
	v_max3_f32 v29, v29, v32, v34
	v_or_b32_e32 v32, 18, v38
	v_or_b32_e32 v34, 19, v38
	v_fmac_f32_e32 v31, v51, v36
	v_cmp_gt_i32_e64 s[20:21], s33, v32
	v_cmp_gt_i32_e64 s[22:23], s33, v34
	v_cndmask_b32_e64 v32, v27, v30, s[20:21]
	v_cndmask_b32_e64 v34, v27, v31, s[22:23]
	v_max3_f32 v29, v29, v32, v34
	v_or_b32_e32 v32, 32, v38
	v_or_b32_e32 v34, 33, v38
	v_cmp_gt_i32_e64 s[16:17], s33, v32
	v_cmp_gt_i32_e64 s[18:19], s33, v34
	v_cndmask_b32_e64 v32, v27, v24, s[16:17]
	v_cndmask_b32_e64 v34, v27, v25, s[18:19]
	v_max3_f32 v29, v29, v32, v34
	v_or_b32_e32 v32, 34, v38
	v_or_b32_e32 v34, 35, v38
	;; [unrolled: 7-line block ×4, first 2 shown]
	v_cmp_gt_i32_e32 vcc, s33, v32
	v_cmp_gt_i32_e64 s[2:3], s33, v34
	v_cndmask_b32_e32 v32, v27, v18, vcc
	v_cndmask_b32_e64 v27, v27, v19, s[2:3]
	v_max3_f32 v27, v29, v32, v27
	v_mbcnt_lo_u32_b32 v29, -1, 0
	v_mbcnt_hi_u32_b32 v29, -1, v29
	v_and_b32_e32 v32, 64, v29
	v_add_u32_e32 v32, 64, v32
	v_xor_b32_e32 v34, 32, v29
	v_cmp_lt_i32_e64 s[40:41], v34, v32
	v_cndmask_b32_e64 v34, v29, v34, s[40:41]
	v_lshlrev_b32_e32 v36, 2, v34
	ds_bpermute_b32 v34, v36, v27
	s_barrier
	s_waitcnt lgkmcnt(0)
	v_max_f32_e32 v34, v34, v34
	v_max_f32_e32 v27, v27, v34
	v_xor_b32_e32 v34, 16, v29
	v_cmp_lt_i32_e64 s[40:41], v34, v32
	v_cndmask_b32_e64 v29, v29, v34, s[40:41]
	v_lshlrev_b32_e32 v38, 2, v29
	ds_bpermute_b32 v29, v38, v27
	s_waitcnt lgkmcnt(0)
	v_max_f32_e32 v29, v29, v29
	v_max_f32_e32 v32, v27, v29
	v_sub_f32_e32 v26, v26, v32
	v_mul_f32_e32 v26, 0x3fb8aa3b, v26
	v_sub_f32_e32 v27, v35, v32
	v_exp_f32_e32 v26, v26
	v_mul_f32_e32 v27, 0x3fb8aa3b, v27
	v_sub_f32_e32 v28, v28, v32
	v_exp_f32_e32 v27, v27
	v_mul_f32_e32 v28, 0x3fb8aa3b, v28
	v_exp_f32_e32 v28, v28
	v_cndmask_b32_e64 v26, 0, v26, s[26:27]
	v_sub_f32_e32 v34, v37, v32
	v_add_f32_e32 v29, 0, v26
	v_cndmask_b32_e64 v27, 0, v27, s[28:29]
	v_mul_f32_e32 v34, 0x3fb8aa3b, v34
	v_exp_f32_e32 v35, v34
	v_add_f32_e32 v29, v29, v27
	v_cndmask_b32_e64 v34, 0, v28, s[30:31]
	v_add_f32_e32 v28, v29, v34
	v_sub_f32_e32 v29, v41, v32
	v_mul_f32_e32 v29, 0x3fb8aa3b, v29
	v_sub_f32_e32 v33, v33, v32
	v_exp_f32_e32 v29, v29
	v_mul_f32_e32 v33, 0x3fb8aa3b, v33
	v_sub_f32_e32 v30, v30, v32
	v_exp_f32_e32 v33, v33
	;; [unrolled: 3-line block ×3, first 2 shown]
	v_mul_f32_e32 v31, 0x3fb8aa3b, v31
	v_sub_f32_e32 v24, v24, v32
	v_cndmask_b32_e64 v35, 0, v35, s[34:35]
	v_exp_f32_e32 v31, v31
	v_mul_f32_e32 v24, 0x3fb8aa3b, v24
	v_sub_f32_e32 v25, v25, v32
	v_add_f32_e32 v37, v28, v35
	v_cndmask_b32_e64 v28, 0, v29, s[36:37]
	v_exp_f32_e32 v24, v24
	v_mul_f32_e32 v25, 0x3fb8aa3b, v25
	v_sub_f32_e32 v22, v22, v32
	v_add_f32_e32 v37, v37, v28
	;; [unrolled: 5-line block ×7, first 2 shown]
	v_cndmask_b32_e64 v22, 0, v22, s[12:13]
	v_exp_f32_e32 v18, v18
	v_mul_f32_e32 v19, 0x3fb8aa3b, v19
	v_add_f32_e32 v33, v33, v22
	v_cndmask_b32_e64 v23, 0, v23, s[14:15]
	v_exp_f32_e32 v19, v19
	v_add_f32_e32 v33, v33, v23
	v_cndmask_b32_e64 v20, 0, v20, s[8:9]
	v_add_f32_e32 v33, v33, v20
	v_cndmask_b32_e64 v21, 0, v21, s[10:11]
	v_add_f32_e32 v33, v33, v21
	v_cndmask_b32_e32 v18, 0, v18, vcc
	v_add_f32_e32 v33, v33, v18
	v_cndmask_b32_e64 v19, 0, v19, s[2:3]
	v_add_f32_e32 v33, v33, v19
	ds_bpermute_b32 v36, v36, v33
	v_cmp_gt_u32_e64 s[2:3], 16, v44
	s_waitcnt lgkmcnt(0)
	v_add_f32_e32 v33, v33, v36
	ds_bpermute_b32 v37, v38, v33
	v_lshlrev_b32_e32 v36, 2, v49
	s_and_saveexec_b64 s[8:9], s[2:3]
	s_cbranch_execz .LBB582_399
; %bb.398:
	s_waitcnt lgkmcnt(0)
	v_add_f32_e32 v33, v33, v37
	v_lshl_or_b32 v37, v50, 6, v36
	ds_write2st64_b32 v37, v32, v33 offset1:1
.LBB582_399:
	s_or_b64 exec, exec, s[8:9]
	s_waitcnt lgkmcnt(0)
	s_barrier
	ds_read2_b32 v[38:39], v36 offset1:16
	ds_read2_b32 v[40:41], v36 offset0:32 offset1:48
	ds_read2_b32 v[42:43], v36 offset0:64 offset1:80
	s_mul_i32 s14, s45, 9
	s_waitcnt lgkmcnt(2)
	v_max3_f32 v32, v38, s46, v39
	s_waitcnt lgkmcnt(1)
	v_max3_f32 v33, v32, v40, v41
	v_sub_f32_e32 v32, v38, v33
	v_mul_f32_e32 v32, 0x3fb8aa3b, v32
	v_exp_f32_e32 v37, v32
	v_sub_f32_e32 v32, v39, v33
	v_mul_f32_e32 v32, 0x3fb8aa3b, v32
	v_exp_f32_e32 v44, v32
	;; [unrolled: 3-line block ×3, first 2 shown]
	ds_read2_b32 v[38:39], v36 offset0:96 offset1:112
	v_sub_f32_e32 v32, v41, v33
	v_mul_f32_e32 v32, 0x3fb8aa3b, v32
	v_exp_f32_e32 v41, v32
	s_waitcnt lgkmcnt(1)
	v_fma_f32 v36, v37, v42, 0
	v_fmac_f32_e32 v36, v44, v43
	s_waitcnt lgkmcnt(0)
	v_fmac_f32_e32 v36, v40, v38
	v_fmac_f32_e32 v36, v41, v39
	v_add_f32_e32 v38, 0x358637bd, v36
	v_div_scale_f32 v39, s[8:9], v38, v38, 1.0
	v_rcp_f32_e32 v42, v39
	s_barrier
	v_fma_f32 v43, -v39, v42, 1.0
	v_fmac_f32_e32 v42, v43, v42
	v_div_scale_f32 v43, vcc, 1.0, v38, 1.0
	v_mul_f32_e32 v45, v43, v42
	v_fma_f32 v51, -v39, v45, v43
	v_fmac_f32_e32 v45, v51, v42
	v_fma_f32 v39, -v39, v45, v43
	v_div_fmas_f32 v39, v39, v42, v45
	v_cmp_eq_u32_e32 vcc, 1, v50
	v_cndmask_b32_e32 v37, v37, v44, vcc
	v_cmp_eq_u32_e32 vcc, 2, v50
	v_cndmask_b32_e32 v37, v37, v40, vcc
	v_cmp_eq_u32_e32 vcc, 3, v50
	v_div_fixup_f32 v38, v39, v38, 1.0
	v_cndmask_b32_e32 v37, v37, v41, vcc
	v_mul_f32_e32 v38, v37, v38
	v_pk_mul_f32 v[26:27], v[38:39], v[26:27] op_sel_hi:[0,1]
	v_cvt_f16_f32_e32 v26, v26
	v_cvt_f16_f32_e32 v27, v27
	v_pk_mul_f32 v[34:35], v[38:39], v[34:35] op_sel_hi:[0,1]
	v_cvt_f16_f32_e32 v37, v34
	v_cvt_f16_f32_e32 v35, v35
	v_pack_b32_f16 v34, v26, v27
	v_pk_mul_f32 v[26:27], v[38:39], v[30:31] op_sel_hi:[0,1]
	v_pk_mul_f32 v[28:29], v[38:39], v[28:29] op_sel_hi:[0,1]
	v_cvt_f16_f32_e32 v28, v28
	v_cvt_f16_f32_e32 v29, v29
	;; [unrolled: 1-line block ×4, first 2 shown]
	v_pack_b32_f16 v35, v37, v35
	v_lshlrev_b32_e32 v37, 3, v1
	v_lshlrev_b32_e32 v26, 11, v50
	v_or3_b32 v26, v26, v48, v37
	v_pack_b32_f16 v28, v28, v29
	v_pack_b32_f16 v29, v30, v27
	v_pk_mul_f32 v[22:23], v[38:39], v[22:23] op_sel_hi:[0,1]
	v_pk_mul_f32 v[24:25], v[38:39], v[24:25] op_sel_hi:[0,1]
	;; [unrolled: 1-line block ×4, first 2 shown]
	ds_write2st64_b64 v26, v[34:35], v[28:29] offset1:1
	v_cvt_f16_f32_e32 v24, v24
	v_cvt_f16_f32_e32 v25, v25
	v_cvt_f16_f32_e32 v22, v22
	v_cvt_f16_f32_e32 v23, v23
	v_cvt_f16_f32_e32 v20, v20
	v_cvt_f16_f32_e32 v21, v21
	v_cvt_f16_f32_e32 v27, v18
	v_cvt_f16_f32_e32 v28, v19
	v_mov_b32_e32 v32, 0
	v_pack_b32_f16 v18, v24, v25
	v_pack_b32_f16 v19, v22, v23
	;; [unrolled: 1-line block ×4, first 2 shown]
	v_cmp_gt_u32_e32 vcc, 9, v0
	ds_write2st64_b64 v26, v[18:19], v[20:21] offset0:2 offset1:3
	s_and_saveexec_b64 s[8:9], vcc
	s_cbranch_execz .LBB582_401
; %bb.400:
	v_add_co_u32_e32 v20, vcc, s25, v49
	v_addc_co_u32_e64 v21, s[10:11], 0, 0, vcc
	v_mov_b32_e32 v18, s14
	v_mov_b32_e32 v19, 0
	v_mad_u64_u32 v[20:21], s[10:11], s6, v18, v[20:21]
	v_mov_b32_e32 v18, s24
	s_load_dwordx4 s[16:19], s[4:5], 0x58
	s_mul_i32 s7, s7, s14
	v_mad_u64_u32 v[18:19], s[10:11], v20, s44, v[18:19]
	v_add_u32_e32 v21, s7, v21
	v_mov_b32_e32 v20, v19
	v_mad_u64_u32 v[20:21], s[10:11], v21, s44, v[20:21]
	v_mov_b32_e32 v19, v20
	v_lshlrev_b64 v[18:19], 2, v[18:19]
	s_waitcnt lgkmcnt(0)
	v_mov_b32_e32 v21, s19
	v_add_co_u32_e32 v20, vcc, s18, v18
	v_addc_co_u32_e32 v21, vcc, v21, v19, vcc
	global_store_dword v[20:21], v33, off
	v_mov_b32_e32 v20, s17
	v_add_co_u32_e32 v18, vcc, s16, v18
	v_addc_co_u32_e32 v19, vcc, v20, v19, vcc
	global_store_dword v[18:19], v36, off
.LBB582_401:
	s_or_b64 exec, exec, s[8:9]
	v_mov_b32_e32 v19, 0
	s_waitcnt vmcnt(3)
	v_cmp_ne_u16_sdwa s[10:11], v14, v19 src0_sel:BYTE_0 src1_sel:DWORD
	s_waitcnt lgkmcnt(0)
	s_barrier
	s_and_saveexec_b64 s[8:9], s[10:11]
	s_cbranch_execz .LBB582_407
; %bb.402:
	s_movk_i32 s7, 0x80
	v_cmp_ne_u16_sdwa s[12:13], v14, s7 src0_sel:BYTE_0 src1_sel:DWORD
	v_bfrev_b32_e32 v32, 1
	s_and_saveexec_b64 s[10:11], s[12:13]
	s_cbranch_execz .LBB582_406
; %bb.403:
	s_movk_i32 s7, 0x7f
	v_and_b32_e32 v18, 0x7f, v14
	v_cmp_ne_u32_e32 vcc, s7, v18
	v_mov_b32_e32 v32, 0x7f800001
	s_and_saveexec_b64 s[12:13], vcc
	s_cbranch_execz .LBB582_405
; %bb.404:
	v_and_b32_e32 v22, 7, v14
	v_ffbh_u32_e32 v20, v22
	v_min_u32_e32 v24, 32, v20
	v_subrev_u32_e32 v20, 28, v24
	v_lshlrev_b64 v[20:21], v20, v[14:15]
	v_lshrrev_b32_e32 v23, 3, v18
	v_sub_u32_e32 v21, 29, v24
	v_and_b32_e32 v20, 7, v20
	v_cmp_gt_u32_e32 vcc, 8, v18
	v_cndmask_b32_e32 v18, v23, v21, vcc
	v_cndmask_b32_e32 v20, v22, v20, vcc
	v_lshlrev_b32_e32 v21, 24, v14
	v_bfrev_b32_e32 v22, 60
	v_lshlrev_b32_e32 v20, 20, v20
	v_and_b32_e32 v21, 0x80000000, v21
	v_lshl_add_u32 v18, v18, 23, v22
	v_or3_b32 v32, v21, v18, v20
.LBB582_405:
	s_or_b64 exec, exec, s[12:13]
.LBB582_406:
	s_or_b64 exec, exec, s[10:11]
.LBB582_407:
	s_or_b64 exec, exec, s[8:9]
	v_lshrrev_b16_e32 v18, 8, v14
	v_cmp_ne_u16_e32 vcc, 0, v18
	v_mov_b32_e32 v20, 0
	s_and_saveexec_b64 s[8:9], vcc
	s_cbranch_execz .LBB582_413
; %bb.408:
	s_movk_i32 s7, 0x80
	v_cmp_ne_u16_e32 vcc, s7, v18
	v_bfrev_b32_e32 v20, 1
	s_and_saveexec_b64 s[10:11], vcc
	s_cbranch_execz .LBB582_412
; %bb.409:
	s_movk_i32 s7, 0x7f
	v_and_b32_e32 v21, 0x7f, v18
	v_cmp_ne_u32_e32 vcc, s7, v21
	v_mov_b32_e32 v20, 0x7f800001
	s_and_saveexec_b64 s[12:13], vcc
	s_cbranch_execz .LBB582_411
; %bb.410:
	v_and_b32_e32 v20, 7, v18
	v_ffbh_u32_e32 v22, v20
	v_min_u32_e32 v25, 32, v22
	v_subrev_u32_e32 v22, 28, v25
	v_lshlrev_b64 v[22:23], v22, v[18:19]
	v_lshrrev_b32_e32 v24, 3, v21
	v_sub_u32_e32 v18, 29, v25
	v_and_b32_e32 v22, 7, v22
	v_cmp_gt_u32_e32 vcc, 8, v21
	v_cndmask_b32_e32 v18, v24, v18, vcc
	v_cndmask_b32_e32 v20, v20, v22, vcc
	v_lshlrev_b32_e32 v21, 16, v14
	v_bfrev_b32_e32 v22, 60
	v_lshlrev_b32_e32 v20, 20, v20
	v_and_b32_e32 v21, 0x80000000, v21
	v_lshl_add_u32 v18, v18, 23, v22
	v_or3_b32 v20, v21, v18, v20
.LBB582_411:
	s_or_b64 exec, exec, s[12:13]
.LBB582_412:
	s_or_b64 exec, exec, s[10:11]
.LBB582_413:
	s_or_b64 exec, exec, s[8:9]
	s_movk_i32 s7, 0xff
	v_and_b32_sdwa v21, v14, s7 dst_sel:DWORD dst_unused:UNUSED_PAD src0_sel:WORD_1 src1_sel:DWORD
	v_lshrrev_b32_e32 v18, 16, v14
	v_cmp_ne_u16_e32 vcc, 0, v21
	s_and_saveexec_b64 s[8:9], vcc
	s_cbranch_execz .LBB582_419
; %bb.414:
	s_movk_i32 s7, 0x80
	v_cmp_ne_u16_e32 vcc, s7, v21
	v_bfrev_b32_e32 v19, 1
	s_and_saveexec_b64 s[10:11], vcc
	s_cbranch_execz .LBB582_418
; %bb.415:
	v_bfe_u32 v21, v14, 16, 7
	s_movk_i32 s7, 0x7f
	v_cmp_ne_u32_e32 vcc, s7, v21
	v_mov_b32_e32 v19, 0x7f800001
	s_and_saveexec_b64 s[12:13], vcc
	s_cbranch_execz .LBB582_417
; %bb.416:
	v_and_b32_e32 v22, 7, v18
	v_ffbh_u32_e32 v19, v22
	v_min_u32_e32 v24, 32, v19
	v_subrev_u32_e32 v19, 28, v24
	v_lshlrev_b64 v[18:19], v19, v[18:19]
	v_lshrrev_b32_e32 v23, 3, v21
	v_sub_u32_e32 v19, 29, v24
	v_and_b32_e32 v18, 7, v18
	v_cmp_gt_u32_e32 vcc, 8, v21
	v_mov_b32_e32 v21, 24
	v_cndmask_b32_e32 v19, v23, v19, vcc
	v_cndmask_b32_e32 v18, v22, v18, vcc
	v_lshlrev_b32_sdwa v21, v21, v14 dst_sel:DWORD dst_unused:UNUSED_PAD src0_sel:DWORD src1_sel:WORD_1
	v_bfrev_b32_e32 v22, 60
	v_lshlrev_b32_e32 v18, 20, v18
	v_and_b32_e32 v21, 0x80000000, v21
	v_lshl_add_u32 v19, v19, 23, v22
	v_or3_b32 v19, v21, v19, v18
.LBB582_417:
	s_or_b64 exec, exec, s[12:13]
.LBB582_418:
	s_or_b64 exec, exec, s[10:11]
.LBB582_419:
	s_or_b64 exec, exec, s[8:9]
	s_mov_b32 s7, 0xffffff
	v_cmp_lt_u32_e32 vcc, s7, v14
	v_mov_b32_e32 v21, 0
	v_mov_b32_e32 v22, 0
	s_and_saveexec_b64 s[8:9], vcc
	s_cbranch_execz .LBB582_425
; %bb.420:
	v_lshrrev_b32_e32 v18, 24, v14
	s_movk_i32 s7, 0x80
	v_cmp_ne_u32_e32 vcc, s7, v18
	v_bfrev_b32_e32 v22, 1
	s_and_saveexec_b64 s[10:11], vcc
	s_cbranch_execz .LBB582_424
; %bb.421:
	v_bfe_u32 v14, v14, 24, 7
	s_movk_i32 s7, 0x7f
	v_cmp_ne_u32_e32 vcc, s7, v14
	v_mov_b32_e32 v22, 0x7f800001
	s_and_saveexec_b64 s[12:13], vcc
	s_cbranch_execz .LBB582_423
; %bb.422:
	v_and_b32_e32 v24, 7, v18
	v_ffbh_u32_e32 v22, v24
	v_min_u32_e32 v27, 32, v22
	v_subrev_u32_e32 v22, 28, v27
	v_lshlrev_b64 v[22:23], v22, v[18:19]
	v_lshrrev_b32_e32 v25, 3, v14
	v_sub_u32_e32 v23, 29, v27
	v_and_b32_e32 v22, 7, v22
	v_cmp_gt_u32_e32 vcc, 8, v14
	v_cndmask_b32_e32 v14, v25, v23, vcc
	v_cndmask_b32_e32 v22, v24, v22, vcc
	v_lshlrev_b32_e32 v18, 24, v18
	v_bfrev_b32_e32 v23, 60
	v_lshlrev_b32_e32 v22, 20, v22
	v_and_b32_e32 v18, 0x80000000, v18
	v_lshl_add_u32 v14, v14, 23, v23
	v_or3_b32 v22, v18, v14, v22
.LBB582_423:
	s_or_b64 exec, exec, s[12:13]
.LBB582_424:
	s_or_b64 exec, exec, s[10:11]
.LBB582_425:
	s_or_b64 exec, exec, s[8:9]
	v_cmp_ne_u16_sdwa s[10:11], v15, v21 src0_sel:BYTE_0 src1_sel:DWORD
	s_and_saveexec_b64 s[8:9], s[10:11]
	s_cbranch_execz .LBB582_431
; %bb.426:
	s_movk_i32 s7, 0x80
	v_cmp_ne_u16_sdwa s[12:13], v15, s7 src0_sel:BYTE_0 src1_sel:DWORD
	v_bfrev_b32_e32 v21, 1
	s_and_saveexec_b64 s[10:11], s[12:13]
	s_cbranch_execz .LBB582_430
; %bb.427:
	s_movk_i32 s7, 0x7f
	v_and_b32_e32 v14, 0x7f, v15
	v_cmp_ne_u32_e32 vcc, s7, v14
	v_mov_b32_e32 v21, 0x7f800001
	s_and_saveexec_b64 s[12:13], vcc
	s_cbranch_execz .LBB582_429
; %bb.428:
	v_and_b32_e32 v21, 7, v15
	v_ffbh_u32_e32 v24, v21
	v_min_u32_e32 v27, 32, v24
	v_mov_b32_e32 v18, v15
	v_subrev_u32_e32 v24, 28, v27
	v_lshlrev_b64 v[24:25], v24, v[18:19]
	v_lshrrev_b32_e32 v23, 3, v14
	v_sub_u32_e32 v18, 29, v27
	v_and_b32_e32 v24, 7, v24
	v_cmp_gt_u32_e32 vcc, 8, v14
	v_cndmask_b32_e32 v14, v23, v18, vcc
	v_cndmask_b32_e32 v18, v21, v24, vcc
	v_lshlrev_b32_e32 v21, 24, v15
	v_bfrev_b32_e32 v23, 60
	v_lshlrev_b32_e32 v18, 20, v18
	v_and_b32_e32 v21, 0x80000000, v21
	v_lshl_add_u32 v14, v14, 23, v23
	v_or3_b32 v21, v21, v14, v18
.LBB582_429:
	s_or_b64 exec, exec, s[12:13]
.LBB582_430:
	s_or_b64 exec, exec, s[10:11]
.LBB582_431:
	s_or_b64 exec, exec, s[8:9]
	v_lshrrev_b16_e32 v14, 8, v15
	v_cmp_ne_u16_e32 vcc, 0, v14
	v_mov_b32_e32 v18, 0
	v_mov_b32_e32 v24, 0
	s_and_saveexec_b64 s[8:9], vcc
	s_cbranch_execz .LBB582_437
; %bb.432:
	s_movk_i32 s7, 0x80
	v_cmp_ne_u16_e32 vcc, s7, v14
	v_bfrev_b32_e32 v24, 1
	s_and_saveexec_b64 s[10:11], vcc
	s_cbranch_execz .LBB582_436
; %bb.433:
	s_movk_i32 s7, 0x7f
	v_and_b32_e32 v23, 0x7f, v14
	v_cmp_ne_u32_e32 vcc, s7, v23
	v_mov_b32_e32 v24, 0x7f800001
	s_and_saveexec_b64 s[12:13], vcc
	s_cbranch_execz .LBB582_435
; %bb.434:
	v_and_b32_e32 v27, 7, v14
	v_ffbh_u32_e32 v24, v27
	v_min_u32_e32 v29, 32, v24
	v_subrev_u32_e32 v24, 28, v29
	v_lshlrev_b64 v[24:25], v24, v[14:15]
	v_lshrrev_b32_e32 v28, 3, v23
	v_sub_u32_e32 v14, 29, v29
	v_and_b32_e32 v24, 7, v24
	v_cmp_gt_u32_e32 vcc, 8, v23
	v_cndmask_b32_e32 v14, v28, v14, vcc
	v_cndmask_b32_e32 v23, v27, v24, vcc
	v_lshlrev_b32_e32 v24, 16, v15
	v_bfrev_b32_e32 v25, 60
	v_lshlrev_b32_e32 v23, 20, v23
	v_and_b32_e32 v24, 0x80000000, v24
	v_lshl_add_u32 v14, v14, 23, v25
	v_or3_b32 v24, v24, v14, v23
.LBB582_435:
	s_or_b64 exec, exec, s[12:13]
.LBB582_436:
	s_or_b64 exec, exec, s[10:11]
.LBB582_437:
	s_or_b64 exec, exec, s[8:9]
	s_movk_i32 s7, 0xff
	v_and_b32_sdwa v23, v15, s7 dst_sel:DWORD dst_unused:UNUSED_PAD src0_sel:WORD_1 src1_sel:DWORD
	v_lshrrev_b32_e32 v14, 16, v15
	v_cmp_ne_u16_e32 vcc, 0, v23
	s_and_saveexec_b64 s[8:9], vcc
	s_cbranch_execz .LBB582_443
; %bb.438:
	s_movk_i32 s7, 0x80
	v_cmp_ne_u16_e32 vcc, s7, v23
	v_bfrev_b32_e32 v18, 1
	s_and_saveexec_b64 s[10:11], vcc
	s_cbranch_execz .LBB582_442
; %bb.439:
	v_bfe_u32 v23, v15, 16, 7
	s_movk_i32 s7, 0x7f
	v_cmp_ne_u32_e32 vcc, s7, v23
	v_mov_b32_e32 v18, 0x7f800001
	s_and_saveexec_b64 s[12:13], vcc
	s_cbranch_execz .LBB582_441
; %bb.440:
	v_and_b32_e32 v18, 7, v14
	v_ffbh_u32_e32 v27, v18
	v_min_u32_e32 v27, 32, v27
	v_subrev_u32_e32 v28, 28, v27
	v_lshlrev_b64 v[28:29], v28, v[14:15]
	v_lshrrev_b32_e32 v25, 3, v23
	v_sub_u32_e32 v14, 29, v27
	v_and_b32_e32 v27, 7, v28
	v_cmp_gt_u32_e32 vcc, 8, v23
	v_mov_b32_e32 v23, 24
	v_cndmask_b32_e32 v14, v25, v14, vcc
	v_cndmask_b32_e32 v18, v18, v27, vcc
	v_lshlrev_b32_sdwa v23, v23, v15 dst_sel:DWORD dst_unused:UNUSED_PAD src0_sel:DWORD src1_sel:WORD_1
	v_bfrev_b32_e32 v25, 60
	v_lshlrev_b32_e32 v18, 20, v18
	v_and_b32_e32 v23, 0x80000000, v23
	v_lshl_add_u32 v14, v14, 23, v25
	v_or3_b32 v18, v23, v14, v18
.LBB582_441:
	s_or_b64 exec, exec, s[12:13]
.LBB582_442:
	s_or_b64 exec, exec, s[10:11]
.LBB582_443:
	s_or_b64 exec, exec, s[8:9]
	s_mov_b32 s7, 0xffffff
	v_cmp_lt_u32_e32 vcc, s7, v15
	v_mov_b32_e32 v23, 0
	v_mov_b32_e32 v25, 0
	s_and_saveexec_b64 s[8:9], vcc
	s_cbranch_execz .LBB582_449
; %bb.444:
	v_lshrrev_b32_e32 v14, 24, v15
	s_movk_i32 s7, 0x80
	v_cmp_ne_u32_e32 vcc, s7, v14
	v_bfrev_b32_e32 v25, 1
	s_and_saveexec_b64 s[10:11], vcc
	s_cbranch_execz .LBB582_448
; %bb.445:
	v_bfe_u32 v15, v15, 24, 7
	s_movk_i32 s7, 0x7f
	v_cmp_ne_u32_e32 vcc, s7, v15
	v_mov_b32_e32 v25, 0x7f800001
	s_and_saveexec_b64 s[12:13], vcc
	s_cbranch_execz .LBB582_447
; %bb.446:
	v_and_b32_e32 v25, 7, v14
	v_ffbh_u32_e32 v28, v25
	v_min_u32_e32 v30, 32, v28
	v_subrev_u32_e32 v28, 28, v30
	v_lshlrev_b64 v[28:29], v28, v[14:15]
	v_lshrrev_b32_e32 v27, 3, v15
	v_sub_u32_e32 v29, 29, v30
	v_and_b32_e32 v28, 7, v28
	v_cmp_gt_u32_e32 vcc, 8, v15
	v_cndmask_b32_e32 v15, v27, v29, vcc
	v_cndmask_b32_e32 v25, v25, v28, vcc
	v_lshlrev_b32_e32 v14, 24, v14
	v_bfrev_b32_e32 v27, 60
	v_lshlrev_b32_e32 v25, 20, v25
	v_and_b32_e32 v14, 0x80000000, v14
	v_lshl_add_u32 v15, v15, 23, v27
	v_or3_b32 v25, v14, v15, v25
.LBB582_447:
	s_or_b64 exec, exec, s[12:13]
.LBB582_448:
	s_or_b64 exec, exec, s[10:11]
.LBB582_449:
	s_or_b64 exec, exec, s[8:9]
	v_cvt_pkrtz_f16_f32 v15, v19, v22
	v_lshl_or_b32 v22, v1, 9, v48
	v_cvt_pkrtz_f16_f32 v14, v32, v20
	ds_read_b128 v[28:31], v22
	v_cmp_ne_u16_sdwa s[10:11], v16, v23 src0_sel:BYTE_0 src1_sel:DWORD
	s_waitcnt lgkmcnt(0)
	v_mfma_f32_16x16x16f16 v[32:35], v[14:15], v[28:29], 0
	v_cvt_pkrtz_f16_f32 v14, v21, v24
	v_cvt_pkrtz_f16_f32 v15, v18, v25
	s_nop 1
	v_mfma_f32_16x16x16f16 v[18:21], v[14:15], v[30:31], v[32:35]
	s_and_saveexec_b64 s[8:9], s[10:11]
	s_cbranch_execz .LBB582_455
; %bb.450:
	s_movk_i32 s7, 0x80
	v_cmp_ne_u16_sdwa s[12:13], v16, s7 src0_sel:BYTE_0 src1_sel:DWORD
	v_bfrev_b32_e32 v23, 1
	s_and_saveexec_b64 s[10:11], s[12:13]
	s_cbranch_execz .LBB582_454
; %bb.451:
	s_movk_i32 s7, 0x7f
	v_and_b32_e32 v14, 0x7f, v16
	v_cmp_ne_u32_e32 vcc, s7, v14
	v_mov_b32_e32 v23, 0x7f800001
	s_and_saveexec_b64 s[12:13], vcc
	s_cbranch_execz .LBB582_453
; %bb.452:
	v_and_b32_e32 v15, 7, v16
	v_ffbh_u32_e32 v24, v15
	v_min_u32_e32 v27, 32, v24
	v_subrev_u32_e32 v24, 28, v27
	v_lshlrev_b64 v[24:25], v24, v[16:17]
	v_lshrrev_b32_e32 v23, 3, v14
	v_sub_u32_e32 v25, 29, v27
	v_and_b32_e32 v24, 7, v24
	v_cmp_gt_u32_e32 vcc, 8, v14
	v_cndmask_b32_e32 v14, v23, v25, vcc
	v_cndmask_b32_e32 v15, v15, v24, vcc
	v_lshlrev_b32_e32 v23, 24, v16
	v_bfrev_b32_e32 v24, 60
	v_lshlrev_b32_e32 v15, 20, v15
	v_and_b32_e32 v23, 0x80000000, v23
	v_lshl_add_u32 v14, v14, 23, v24
	v_or3_b32 v23, v23, v14, v15
.LBB582_453:
	s_or_b64 exec, exec, s[12:13]
.LBB582_454:
	s_or_b64 exec, exec, s[10:11]
.LBB582_455:
	s_or_b64 exec, exec, s[8:9]
	v_lshrrev_b16_e32 v14, 8, v16
	v_cmp_ne_u16_e32 vcc, 0, v14
	v_mov_b32_e32 v15, 0
	v_mov_b32_e32 v25, 0
	s_and_saveexec_b64 s[8:9], vcc
	s_cbranch_execz .LBB582_461
; %bb.456:
	s_movk_i32 s7, 0x80
	v_cmp_ne_u16_e32 vcc, s7, v14
	v_bfrev_b32_e32 v25, 1
	s_and_saveexec_b64 s[10:11], vcc
	s_cbranch_execz .LBB582_460
; %bb.457:
	s_movk_i32 s7, 0x7f
	v_and_b32_e32 v24, 0x7f, v14
	v_cmp_ne_u32_e32 vcc, s7, v24
	v_mov_b32_e32 v25, 0x7f800001
	s_and_saveexec_b64 s[12:13], vcc
	s_cbranch_execz .LBB582_459
; %bb.458:
	v_and_b32_e32 v25, 7, v14
	v_ffbh_u32_e32 v28, v25
	v_min_u32_e32 v30, 32, v28
	v_subrev_u32_e32 v28, 28, v30
	v_lshlrev_b64 v[28:29], v28, v[14:15]
	v_lshrrev_b32_e32 v27, 3, v24
	v_sub_u32_e32 v14, 29, v30
	v_and_b32_e32 v28, 7, v28
	v_cmp_gt_u32_e32 vcc, 8, v24
	v_cndmask_b32_e32 v14, v27, v14, vcc
	v_cndmask_b32_e32 v24, v25, v28, vcc
	v_lshlrev_b32_e32 v25, 16, v16
	v_bfrev_b32_e32 v27, 60
	v_lshlrev_b32_e32 v24, 20, v24
	v_and_b32_e32 v25, 0x80000000, v25
	v_lshl_add_u32 v14, v14, 23, v27
	v_or3_b32 v25, v25, v14, v24
.LBB582_459:
	s_or_b64 exec, exec, s[12:13]
.LBB582_460:
	s_or_b64 exec, exec, s[10:11]
.LBB582_461:
	s_or_b64 exec, exec, s[8:9]
	s_movk_i32 s7, 0xff
	v_and_b32_sdwa v24, v16, s7 dst_sel:DWORD dst_unused:UNUSED_PAD src0_sel:WORD_1 src1_sel:DWORD
	v_lshrrev_b32_e32 v14, 16, v16
	v_cmp_ne_u16_e32 vcc, 0, v24
	s_and_saveexec_b64 s[8:9], vcc
	s_cbranch_execz .LBB582_467
; %bb.462:
	s_movk_i32 s7, 0x80
	v_cmp_ne_u16_e32 vcc, s7, v24
	v_bfrev_b32_e32 v15, 1
	s_and_saveexec_b64 s[10:11], vcc
	s_cbranch_execz .LBB582_466
; %bb.463:
	v_bfe_u32 v24, v16, 16, 7
	s_movk_i32 s7, 0x7f
	v_cmp_ne_u32_e32 vcc, s7, v24
	v_mov_b32_e32 v15, 0x7f800001
	s_and_saveexec_b64 s[12:13], vcc
	s_cbranch_execz .LBB582_465
; %bb.464:
	v_and_b32_e32 v27, 7, v14
	v_ffbh_u32_e32 v15, v27
	v_min_u32_e32 v29, 32, v15
	v_subrev_u32_e32 v15, 28, v29
	v_lshlrev_b64 v[14:15], v15, v[14:15]
	v_lshrrev_b32_e32 v28, 3, v24
	v_sub_u32_e32 v15, 29, v29
	v_and_b32_e32 v14, 7, v14
	v_cmp_gt_u32_e32 vcc, 8, v24
	v_mov_b32_e32 v24, 24
	v_cndmask_b32_e32 v15, v28, v15, vcc
	v_cndmask_b32_e32 v14, v27, v14, vcc
	v_lshlrev_b32_sdwa v24, v24, v16 dst_sel:DWORD dst_unused:UNUSED_PAD src0_sel:DWORD src1_sel:WORD_1
	v_bfrev_b32_e32 v27, 60
	v_lshlrev_b32_e32 v14, 20, v14
	v_and_b32_e32 v24, 0x80000000, v24
	v_lshl_add_u32 v15, v15, 23, v27
	v_or3_b32 v15, v24, v15, v14
.LBB582_465:
	s_or_b64 exec, exec, s[12:13]
.LBB582_466:
	s_or_b64 exec, exec, s[10:11]
.LBB582_467:
	s_or_b64 exec, exec, s[8:9]
	s_mov_b32 s7, 0xffffff
	v_cmp_lt_u32_e32 vcc, s7, v16
	v_mov_b32_e32 v27, 0
	v_mov_b32_e32 v28, 0
	s_and_saveexec_b64 s[8:9], vcc
	s_cbranch_execz .LBB582_473
; %bb.468:
	v_lshrrev_b32_e32 v14, 24, v16
	s_movk_i32 s7, 0x80
	v_cmp_ne_u32_e32 vcc, s7, v14
	v_bfrev_b32_e32 v28, 1
	s_and_saveexec_b64 s[10:11], vcc
	s_cbranch_execz .LBB582_472
; %bb.469:
	v_bfe_u32 v16, v16, 24, 7
	s_movk_i32 s7, 0x7f
	v_cmp_ne_u32_e32 vcc, s7, v16
	v_mov_b32_e32 v28, 0x7f800001
	s_and_saveexec_b64 s[12:13], vcc
	s_cbranch_execz .LBB582_471
; %bb.470:
	v_and_b32_e32 v24, 7, v14
	v_ffbh_u32_e32 v28, v24
	v_min_u32_e32 v31, 32, v28
	v_subrev_u32_e32 v28, 28, v31
	v_lshlrev_b64 v[28:29], v28, v[14:15]
	v_lshrrev_b32_e32 v30, 3, v16
	v_sub_u32_e32 v29, 29, v31
	v_and_b32_e32 v28, 7, v28
	v_cmp_gt_u32_e32 vcc, 8, v16
	v_cndmask_b32_e32 v16, v30, v29, vcc
	v_cndmask_b32_e32 v24, v24, v28, vcc
	v_lshlrev_b32_e32 v14, 24, v14
	v_bfrev_b32_e32 v28, 60
	v_lshlrev_b32_e32 v24, 20, v24
	v_and_b32_e32 v14, 0x80000000, v14
	v_lshl_add_u32 v16, v16, 23, v28
	v_or3_b32 v28, v14, v16, v24
.LBB582_471:
	s_or_b64 exec, exec, s[12:13]
.LBB582_472:
	s_or_b64 exec, exec, s[10:11]
.LBB582_473:
	s_or_b64 exec, exec, s[8:9]
	v_cmp_ne_u16_sdwa s[10:11], v17, v27 src0_sel:BYTE_0 src1_sel:DWORD
	s_and_saveexec_b64 s[8:9], s[10:11]
	s_cbranch_execz .LBB582_479
; %bb.474:
	s_movk_i32 s7, 0x80
	v_cmp_ne_u16_sdwa s[12:13], v17, s7 src0_sel:BYTE_0 src1_sel:DWORD
	v_bfrev_b32_e32 v27, 1
	s_and_saveexec_b64 s[10:11], s[12:13]
	s_cbranch_execz .LBB582_478
; %bb.475:
	s_movk_i32 s7, 0x7f
	v_and_b32_e32 v14, 0x7f, v17
	v_cmp_ne_u32_e32 vcc, s7, v14
	v_mov_b32_e32 v27, 0x7f800001
	s_and_saveexec_b64 s[12:13], vcc
	s_cbranch_execz .LBB582_477
; %bb.476:
	v_and_b32_e32 v24, 7, v17
	v_ffbh_u32_e32 v29, v24
	v_min_u32_e32 v29, 32, v29
	v_mov_b32_e32 v16, v17
	v_subrev_u32_e32 v30, 28, v29
	v_lshlrev_b64 v[30:31], v30, v[16:17]
	v_lshrrev_b32_e32 v27, 3, v14
	v_sub_u32_e32 v16, 29, v29
	v_and_b32_e32 v29, 7, v30
	v_cmp_gt_u32_e32 vcc, 8, v14
	v_cndmask_b32_e32 v14, v27, v16, vcc
	v_cndmask_b32_e32 v16, v24, v29, vcc
	v_lshlrev_b32_e32 v24, 24, v17
	v_bfrev_b32_e32 v27, 60
	v_lshlrev_b32_e32 v16, 20, v16
	v_and_b32_e32 v24, 0x80000000, v24
	v_lshl_add_u32 v14, v14, 23, v27
	v_or3_b32 v27, v24, v14, v16
.LBB582_477:
	s_or_b64 exec, exec, s[12:13]
.LBB582_478:
	s_or_b64 exec, exec, s[10:11]
.LBB582_479:
	s_or_b64 exec, exec, s[8:9]
	v_lshrrev_b16_e32 v14, 8, v17
	v_cmp_ne_u16_e32 vcc, 0, v14
	v_mov_b32_e32 v16, 0
	v_mov_b32_e32 v29, 0
	s_and_saveexec_b64 s[8:9], vcc
	s_cbranch_execz .LBB582_485
; %bb.480:
	s_movk_i32 s7, 0x80
	v_cmp_ne_u16_e32 vcc, s7, v14
	v_bfrev_b32_e32 v29, 1
	s_and_saveexec_b64 s[10:11], vcc
	s_cbranch_execz .LBB582_484
; %bb.481:
	s_movk_i32 s7, 0x7f
	v_and_b32_e32 v24, 0x7f, v14
	v_cmp_ne_u32_e32 vcc, s7, v24
	v_mov_b32_e32 v29, 0x7f800001
	s_and_saveexec_b64 s[12:13], vcc
	s_cbranch_execz .LBB582_483
; %bb.482:
	v_and_b32_e32 v29, 7, v14
	v_ffbh_u32_e32 v30, v29
	v_min_u32_e32 v33, 32, v30
	v_subrev_u32_e32 v30, 28, v33
	v_lshlrev_b64 v[30:31], v30, v[14:15]
	v_lshrrev_b32_e32 v32, 3, v24
	v_sub_u32_e32 v14, 29, v33
	v_and_b32_e32 v30, 7, v30
	v_cmp_gt_u32_e32 vcc, 8, v24
	v_cndmask_b32_e32 v14, v32, v14, vcc
	v_cndmask_b32_e32 v24, v29, v30, vcc
	v_lshlrev_b32_e32 v29, 16, v17
	v_bfrev_b32_e32 v30, 60
	v_lshlrev_b32_e32 v24, 20, v24
	v_and_b32_e32 v29, 0x80000000, v29
	v_lshl_add_u32 v14, v14, 23, v30
	v_or3_b32 v29, v29, v14, v24
.LBB582_483:
	s_or_b64 exec, exec, s[12:13]
.LBB582_484:
	s_or_b64 exec, exec, s[10:11]
.LBB582_485:
	s_or_b64 exec, exec, s[8:9]
	s_movk_i32 s7, 0xff
	v_and_b32_sdwa v24, v17, s7 dst_sel:DWORD dst_unused:UNUSED_PAD src0_sel:WORD_1 src1_sel:DWORD
	v_lshrrev_b32_e32 v14, 16, v17
	v_cmp_ne_u16_e32 vcc, 0, v24
	s_and_saveexec_b64 s[8:9], vcc
	s_cbranch_execz .LBB582_491
; %bb.486:
	s_movk_i32 s7, 0x80
	v_cmp_ne_u16_e32 vcc, s7, v24
	v_bfrev_b32_e32 v16, 1
	s_and_saveexec_b64 s[10:11], vcc
	s_cbranch_execz .LBB582_490
; %bb.487:
	v_bfe_u32 v24, v17, 16, 7
	s_movk_i32 s7, 0x7f
	v_cmp_ne_u32_e32 vcc, s7, v24
	v_mov_b32_e32 v16, 0x7f800001
	s_and_saveexec_b64 s[12:13], vcc
	s_cbranch_execz .LBB582_489
; %bb.488:
	v_and_b32_e32 v16, 7, v14
	v_ffbh_u32_e32 v30, v16
	v_min_u32_e32 v33, 32, v30
	v_subrev_u32_e32 v30, 28, v33
	v_lshlrev_b64 v[30:31], v30, v[14:15]
	v_lshrrev_b32_e32 v32, 3, v24
	v_sub_u32_e32 v14, 29, v33
	v_and_b32_e32 v30, 7, v30
	v_cmp_gt_u32_e32 vcc, 8, v24
	v_mov_b32_e32 v24, 24
	v_cndmask_b32_e32 v14, v32, v14, vcc
	v_cndmask_b32_e32 v16, v16, v30, vcc
	v_lshlrev_b32_sdwa v24, v24, v17 dst_sel:DWORD dst_unused:UNUSED_PAD src0_sel:DWORD src1_sel:WORD_1
	v_bfrev_b32_e32 v30, 60
	v_lshlrev_b32_e32 v16, 20, v16
	v_and_b32_e32 v24, 0x80000000, v24
	v_lshl_add_u32 v14, v14, 23, v30
	v_or3_b32 v16, v24, v14, v16
.LBB582_489:
	s_or_b64 exec, exec, s[12:13]
.LBB582_490:
	s_or_b64 exec, exec, s[10:11]
.LBB582_491:
	s_or_b64 exec, exec, s[8:9]
	s_mov_b32 s7, 0xffffff
	v_cmp_lt_u32_e32 vcc, s7, v17
	v_mov_b32_e32 v24, 0
	v_mov_b32_e32 v30, 0
	s_and_saveexec_b64 s[8:9], vcc
	s_cbranch_execz .LBB582_497
; %bb.492:
	v_lshrrev_b32_e32 v14, 24, v17
	s_movk_i32 s7, 0x80
	v_cmp_ne_u32_e32 vcc, s7, v14
	v_bfrev_b32_e32 v30, 1
	s_and_saveexec_b64 s[10:11], vcc
	s_cbranch_execz .LBB582_496
; %bb.493:
	v_bfe_u32 v17, v17, 24, 7
	s_movk_i32 s7, 0x7f
	v_cmp_ne_u32_e32 vcc, s7, v17
	v_mov_b32_e32 v30, 0x7f800001
	s_and_saveexec_b64 s[12:13], vcc
	s_cbranch_execz .LBB582_495
; %bb.494:
	v_and_b32_e32 v32, 7, v14
	v_ffbh_u32_e32 v30, v32
	v_min_u32_e32 v34, 32, v30
	v_subrev_u32_e32 v30, 28, v34
	v_lshlrev_b64 v[30:31], v30, v[14:15]
	v_lshrrev_b32_e32 v33, 3, v17
	v_sub_u32_e32 v31, 29, v34
	v_and_b32_e32 v30, 7, v30
	v_cmp_gt_u32_e32 vcc, 8, v17
	v_cndmask_b32_e32 v17, v33, v31, vcc
	v_cndmask_b32_e32 v30, v32, v30, vcc
	v_lshlrev_b32_e32 v14, 24, v14
	v_bfrev_b32_e32 v31, 60
	v_lshlrev_b32_e32 v30, 20, v30
	v_and_b32_e32 v14, 0x80000000, v14
	v_lshl_add_u32 v17, v17, 23, v31
	v_or3_b32 v30, v14, v17, v30
.LBB582_495:
	s_or_b64 exec, exec, s[12:13]
.LBB582_496:
	s_or_b64 exec, exec, s[10:11]
.LBB582_497:
	s_or_b64 exec, exec, s[8:9]
	v_cvt_pkrtz_f16_f32 v14, v23, v25
	v_cvt_pkrtz_f16_f32 v15, v15, v28
	ds_read_b128 v[32:35], v22 offset:16
	s_waitcnt vmcnt(2)
	v_cmp_ne_u16_sdwa s[10:11], v10, v24 src0_sel:BYTE_0 src1_sel:DWORD
	s_waitcnt lgkmcnt(0)
	v_mfma_f32_16x16x16f16 v[18:21], v[14:15], v[32:33], v[18:21]
	v_cvt_pkrtz_f16_f32 v14, v27, v29
	v_cvt_pkrtz_f16_f32 v15, v16, v30
	s_nop 1
	v_mfma_f32_16x16x16f16 v[14:17], v[14:15], v[34:35], v[18:21]
	s_and_saveexec_b64 s[8:9], s[10:11]
	s_cbranch_execz .LBB582_503
; %bb.498:
	s_movk_i32 s7, 0x80
	v_cmp_ne_u16_sdwa s[12:13], v10, s7 src0_sel:BYTE_0 src1_sel:DWORD
	v_bfrev_b32_e32 v24, 1
	s_and_saveexec_b64 s[10:11], s[12:13]
	s_cbranch_execz .LBB582_502
; %bb.499:
	s_movk_i32 s7, 0x7f
	v_and_b32_e32 v18, 0x7f, v10
	v_cmp_ne_u32_e32 vcc, s7, v18
	v_mov_b32_e32 v24, 0x7f800001
	s_and_saveexec_b64 s[12:13], vcc
	s_cbranch_execz .LBB582_501
; %bb.500:
	v_and_b32_e32 v19, 7, v10
	v_ffbh_u32_e32 v20, v19
	v_min_u32_e32 v24, 32, v20
	v_subrev_u32_e32 v20, 28, v24
	v_lshlrev_b64 v[20:21], v20, v[10:11]
	v_lshrrev_b32_e32 v23, 3, v18
	v_sub_u32_e32 v21, 29, v24
	v_and_b32_e32 v20, 7, v20
	v_cmp_gt_u32_e32 vcc, 8, v18
	v_cndmask_b32_e32 v18, v23, v21, vcc
	v_cndmask_b32_e32 v19, v19, v20, vcc
	v_lshlrev_b32_e32 v20, 24, v10
	v_bfrev_b32_e32 v21, 60
	v_lshlrev_b32_e32 v19, 20, v19
	v_and_b32_e32 v20, 0x80000000, v20
	v_lshl_add_u32 v18, v18, 23, v21
	v_or3_b32 v24, v20, v18, v19
.LBB582_501:
	s_or_b64 exec, exec, s[12:13]
.LBB582_502:
	s_or_b64 exec, exec, s[10:11]
.LBB582_503:
	s_or_b64 exec, exec, s[8:9]
	s_nop 3
	v_lshrrev_b16_e32 v18, 8, v10
	v_cmp_ne_u16_e32 vcc, 0, v18
	v_mov_b32_e32 v19, 0
	v_mov_b32_e32 v20, 0
	s_and_saveexec_b64 s[8:9], vcc
	s_cbranch_execz .LBB582_509
; %bb.504:
	s_movk_i32 s7, 0x80
	v_cmp_ne_u16_e32 vcc, s7, v18
	v_bfrev_b32_e32 v20, 1
	s_and_saveexec_b64 s[10:11], vcc
	s_cbranch_execz .LBB582_508
; %bb.505:
	s_movk_i32 s7, 0x7f
	v_and_b32_e32 v21, 0x7f, v18
	v_cmp_ne_u32_e32 vcc, s7, v21
	v_mov_b32_e32 v20, 0x7f800001
	s_and_saveexec_b64 s[12:13], vcc
	s_cbranch_execz .LBB582_507
; %bb.506:
	v_and_b32_e32 v20, 7, v18
	v_ffbh_u32_e32 v25, v20
	v_min_u32_e32 v25, 32, v25
	v_subrev_u32_e32 v27, 28, v25
	v_lshlrev_b64 v[28:29], v27, v[18:19]
	v_lshrrev_b32_e32 v23, 3, v21
	v_sub_u32_e32 v18, 29, v25
	v_and_b32_e32 v25, 7, v28
	v_cmp_gt_u32_e32 vcc, 8, v21
	v_cndmask_b32_e32 v18, v23, v18, vcc
	v_cndmask_b32_e32 v20, v20, v25, vcc
	v_lshlrev_b32_e32 v21, 16, v10
	v_bfrev_b32_e32 v23, 60
	v_lshlrev_b32_e32 v20, 20, v20
	v_and_b32_e32 v21, 0x80000000, v21
	v_lshl_add_u32 v18, v18, 23, v23
	v_or3_b32 v20, v21, v18, v20
.LBB582_507:
	s_or_b64 exec, exec, s[12:13]
.LBB582_508:
	s_or_b64 exec, exec, s[10:11]
.LBB582_509:
	s_or_b64 exec, exec, s[8:9]
	s_movk_i32 s7, 0xff
	v_and_b32_sdwa v21, v10, s7 dst_sel:DWORD dst_unused:UNUSED_PAD src0_sel:WORD_1 src1_sel:DWORD
	v_lshrrev_b32_e32 v18, 16, v10
	v_cmp_ne_u16_e32 vcc, 0, v21
	s_and_saveexec_b64 s[8:9], vcc
	s_cbranch_execz .LBB582_515
; %bb.510:
	s_movk_i32 s7, 0x80
	v_cmp_ne_u16_e32 vcc, s7, v21
	v_bfrev_b32_e32 v19, 1
	s_and_saveexec_b64 s[10:11], vcc
	s_cbranch_execz .LBB582_514
; %bb.511:
	v_bfe_u32 v21, v10, 16, 7
	s_movk_i32 s7, 0x7f
	v_cmp_ne_u32_e32 vcc, s7, v21
	v_mov_b32_e32 v19, 0x7f800001
	s_and_saveexec_b64 s[12:13], vcc
	s_cbranch_execz .LBB582_513
; %bb.512:
	v_and_b32_e32 v23, 7, v18
	v_ffbh_u32_e32 v19, v23
	v_min_u32_e32 v27, 32, v19
	v_subrev_u32_e32 v19, 28, v27
	v_lshlrev_b64 v[18:19], v19, v[18:19]
	v_lshrrev_b32_e32 v25, 3, v21
	v_sub_u32_e32 v19, 29, v27
	v_and_b32_e32 v18, 7, v18
	v_cmp_gt_u32_e32 vcc, 8, v21
	v_mov_b32_e32 v21, 24
	v_cndmask_b32_e32 v19, v25, v19, vcc
	v_cndmask_b32_e32 v18, v23, v18, vcc
	v_lshlrev_b32_sdwa v21, v21, v10 dst_sel:DWORD dst_unused:UNUSED_PAD src0_sel:DWORD src1_sel:WORD_1
	v_bfrev_b32_e32 v23, 60
	v_lshlrev_b32_e32 v18, 20, v18
	v_and_b32_e32 v21, 0x80000000, v21
	v_lshl_add_u32 v19, v19, 23, v23
	v_or3_b32 v19, v21, v19, v18
.LBB582_513:
	s_or_b64 exec, exec, s[12:13]
.LBB582_514:
	s_or_b64 exec, exec, s[10:11]
.LBB582_515:
	s_or_b64 exec, exec, s[8:9]
	s_mov_b32 s7, 0xffffff
	v_cmp_lt_u32_e32 vcc, s7, v10
	v_mov_b32_e32 v21, 0
	v_mov_b32_e32 v23, 0
	s_and_saveexec_b64 s[8:9], vcc
	s_cbranch_execz .LBB582_521
; %bb.516:
	v_lshrrev_b32_e32 v18, 24, v10
	s_movk_i32 s7, 0x80
	v_cmp_ne_u32_e32 vcc, s7, v18
	v_bfrev_b32_e32 v23, 1
	s_and_saveexec_b64 s[10:11], vcc
	s_cbranch_execz .LBB582_520
; %bb.517:
	v_bfe_u32 v10, v10, 24, 7
	s_movk_i32 s7, 0x7f
	v_cmp_ne_u32_e32 vcc, s7, v10
	v_mov_b32_e32 v23, 0x7f800001
	s_and_saveexec_b64 s[12:13], vcc
	s_cbranch_execz .LBB582_519
; %bb.518:
	v_and_b32_e32 v23, 7, v18
	v_ffbh_u32_e32 v27, v23
	v_min_u32_e32 v27, 32, v27
	v_subrev_u32_e32 v28, 28, v27
	v_lshlrev_b64 v[28:29], v28, v[18:19]
	v_lshrrev_b32_e32 v25, 3, v10
	v_sub_u32_e32 v27, 29, v27
	v_and_b32_e32 v28, 7, v28
	v_cmp_gt_u32_e32 vcc, 8, v10
	v_cndmask_b32_e32 v10, v25, v27, vcc
	v_cndmask_b32_e32 v23, v23, v28, vcc
	v_lshlrev_b32_e32 v18, 24, v18
	v_bfrev_b32_e32 v25, 60
	v_lshlrev_b32_e32 v23, 20, v23
	v_and_b32_e32 v18, 0x80000000, v18
	v_lshl_add_u32 v10, v10, 23, v25
	v_or3_b32 v23, v18, v10, v23
.LBB582_519:
	s_or_b64 exec, exec, s[12:13]
.LBB582_520:
	s_or_b64 exec, exec, s[10:11]
.LBB582_521:
	s_or_b64 exec, exec, s[8:9]
	v_cmp_ne_u16_sdwa s[10:11], v11, v21 src0_sel:BYTE_0 src1_sel:DWORD
	s_and_saveexec_b64 s[8:9], s[10:11]
	s_cbranch_execz .LBB582_527
; %bb.522:
	s_movk_i32 s7, 0x80
	v_cmp_ne_u16_sdwa s[12:13], v11, s7 src0_sel:BYTE_0 src1_sel:DWORD
	v_bfrev_b32_e32 v21, 1
	s_and_saveexec_b64 s[10:11], s[12:13]
	s_cbranch_execz .LBB582_526
; %bb.523:
	s_movk_i32 s7, 0x7f
	v_and_b32_e32 v10, 0x7f, v11
	v_cmp_ne_u32_e32 vcc, s7, v10
	v_mov_b32_e32 v21, 0x7f800001
	s_and_saveexec_b64 s[12:13], vcc
	s_cbranch_execz .LBB582_525
; %bb.524:
	v_and_b32_e32 v21, 7, v11
	v_ffbh_u32_e32 v27, v21
	v_min_u32_e32 v27, 32, v27
	v_mov_b32_e32 v18, v11
	v_subrev_u32_e32 v28, 28, v27
	v_lshlrev_b64 v[28:29], v28, v[18:19]
	v_lshrrev_b32_e32 v25, 3, v10
	v_sub_u32_e32 v18, 29, v27
	v_and_b32_e32 v27, 7, v28
	v_cmp_gt_u32_e32 vcc, 8, v10
	v_cndmask_b32_e32 v10, v25, v18, vcc
	v_cndmask_b32_e32 v18, v21, v27, vcc
	v_lshlrev_b32_e32 v21, 24, v11
	v_bfrev_b32_e32 v25, 60
	v_lshlrev_b32_e32 v18, 20, v18
	v_and_b32_e32 v21, 0x80000000, v21
	v_lshl_add_u32 v10, v10, 23, v25
	v_or3_b32 v21, v21, v10, v18
.LBB582_525:
	s_or_b64 exec, exec, s[12:13]
.LBB582_526:
	s_or_b64 exec, exec, s[10:11]
.LBB582_527:
	s_or_b64 exec, exec, s[8:9]
	v_lshrrev_b16_e32 v10, 8, v11
	v_cmp_ne_u16_e32 vcc, 0, v10
	v_mov_b32_e32 v25, 0
	v_mov_b32_e32 v27, 0
	s_and_saveexec_b64 s[8:9], vcc
	s_cbranch_execz .LBB582_533
; %bb.528:
	s_movk_i32 s7, 0x80
	v_cmp_ne_u16_e32 vcc, s7, v10
	v_bfrev_b32_e32 v27, 1
	s_and_saveexec_b64 s[10:11], vcc
	s_cbranch_execz .LBB582_532
; %bb.529:
	s_movk_i32 s7, 0x7f
	v_and_b32_e32 v18, 0x7f, v10
	v_cmp_ne_u32_e32 vcc, s7, v18
	v_mov_b32_e32 v27, 0x7f800001
	s_and_saveexec_b64 s[12:13], vcc
	s_cbranch_execz .LBB582_531
; %bb.530:
	v_and_b32_e32 v27, 7, v10
	v_ffbh_u32_e32 v28, v27
	v_min_u32_e32 v31, 32, v28
	v_subrev_u32_e32 v28, 28, v31
	v_lshlrev_b64 v[28:29], v28, v[10:11]
	v_lshrrev_b32_e32 v30, 3, v18
	v_sub_u32_e32 v10, 29, v31
	v_and_b32_e32 v28, 7, v28
	v_cmp_gt_u32_e32 vcc, 8, v18
	v_cndmask_b32_e32 v10, v30, v10, vcc
	v_cndmask_b32_e32 v18, v27, v28, vcc
	v_lshlrev_b32_e32 v27, 16, v11
	v_bfrev_b32_e32 v28, 60
	v_lshlrev_b32_e32 v18, 20, v18
	v_and_b32_e32 v27, 0x80000000, v27
	v_lshl_add_u32 v10, v10, 23, v28
	v_or3_b32 v27, v27, v10, v18
.LBB582_531:
	s_or_b64 exec, exec, s[12:13]
.LBB582_532:
	s_or_b64 exec, exec, s[10:11]
.LBB582_533:
	s_or_b64 exec, exec, s[8:9]
	s_movk_i32 s7, 0xff
	v_and_b32_sdwa v18, v11, s7 dst_sel:DWORD dst_unused:UNUSED_PAD src0_sel:WORD_1 src1_sel:DWORD
	v_lshrrev_b32_e32 v10, 16, v11
	v_cmp_ne_u16_e32 vcc, 0, v18
	s_and_saveexec_b64 s[8:9], vcc
	s_cbranch_execz .LBB582_539
; %bb.534:
	s_movk_i32 s7, 0x80
	v_cmp_ne_u16_e32 vcc, s7, v18
	v_bfrev_b32_e32 v25, 1
	s_and_saveexec_b64 s[10:11], vcc
	s_cbranch_execz .LBB582_538
; %bb.535:
	v_bfe_u32 v18, v11, 16, 7
	s_movk_i32 s7, 0x7f
	v_cmp_ne_u32_e32 vcc, s7, v18
	v_mov_b32_e32 v25, 0x7f800001
	s_and_saveexec_b64 s[12:13], vcc
	s_cbranch_execz .LBB582_537
; %bb.536:
	v_and_b32_e32 v25, 7, v10
	v_ffbh_u32_e32 v28, v25
	v_min_u32_e32 v31, 32, v28
	v_subrev_u32_e32 v28, 28, v31
	v_lshlrev_b64 v[28:29], v28, v[10:11]
	v_and_b32_e32 v28, 7, v28
	v_cmp_gt_u32_e32 vcc, 8, v18
	v_lshrrev_b32_e32 v30, 3, v18
	v_sub_u32_e32 v10, 29, v31
	v_cndmask_b32_e32 v18, v25, v28, vcc
	v_mov_b32_e32 v25, 24
	v_cndmask_b32_e32 v10, v30, v10, vcc
	v_lshlrev_b32_sdwa v25, v25, v11 dst_sel:DWORD dst_unused:UNUSED_PAD src0_sel:DWORD src1_sel:WORD_1
	v_bfrev_b32_e32 v28, 60
	v_lshlrev_b32_e32 v18, 20, v18
	v_and_b32_e32 v25, 0x80000000, v25
	v_lshl_add_u32 v10, v10, 23, v28
	v_or3_b32 v25, v25, v10, v18
.LBB582_537:
	s_or_b64 exec, exec, s[12:13]
.LBB582_538:
	s_or_b64 exec, exec, s[10:11]
.LBB582_539:
	s_or_b64 exec, exec, s[8:9]
	s_mov_b32 s7, 0xffffff
	v_cmp_lt_u32_e32 vcc, s7, v11
	v_mov_b32_e32 v18, 0
	v_mov_b32_e32 v28, 0
	s_and_saveexec_b64 s[8:9], vcc
	s_cbranch_execz .LBB582_545
; %bb.540:
	v_lshrrev_b32_e32 v10, 24, v11
	s_movk_i32 s7, 0x80
	v_cmp_ne_u32_e32 vcc, s7, v10
	v_bfrev_b32_e32 v28, 1
	s_and_saveexec_b64 s[10:11], vcc
	s_cbranch_execz .LBB582_544
; %bb.541:
	v_bfe_u32 v11, v11, 24, 7
	s_movk_i32 s7, 0x7f
	v_cmp_ne_u32_e32 vcc, s7, v11
	v_mov_b32_e32 v28, 0x7f800001
	s_and_saveexec_b64 s[12:13], vcc
	s_cbranch_execz .LBB582_543
; %bb.542:
	v_and_b32_e32 v30, 7, v10
	v_ffbh_u32_e32 v28, v30
	v_min_u32_e32 v32, 32, v28
	v_subrev_u32_e32 v28, 28, v32
	v_lshlrev_b64 v[28:29], v28, v[10:11]
	v_lshrrev_b32_e32 v31, 3, v11
	v_sub_u32_e32 v29, 29, v32
	v_and_b32_e32 v28, 7, v28
	v_cmp_gt_u32_e32 vcc, 8, v11
	v_cndmask_b32_e32 v11, v31, v29, vcc
	v_cndmask_b32_e32 v28, v30, v28, vcc
	v_lshlrev_b32_e32 v10, 24, v10
	v_bfrev_b32_e32 v29, 60
	v_lshlrev_b32_e32 v28, 20, v28
	v_and_b32_e32 v10, 0x80000000, v10
	v_lshl_add_u32 v11, v11, 23, v29
	v_or3_b32 v28, v10, v11, v28
.LBB582_543:
	s_or_b64 exec, exec, s[12:13]
.LBB582_544:
	s_or_b64 exec, exec, s[10:11]
.LBB582_545:
	s_or_b64 exec, exec, s[8:9]
	v_cvt_pkrtz_f16_f32 v10, v24, v20
	v_cvt_pkrtz_f16_f32 v11, v19, v23
	ds_read_b128 v[30:33], v22 offset:2048
	v_cmp_ne_u16_sdwa s[10:11], v12, v18 src0_sel:BYTE_0 src1_sel:DWORD
	s_waitcnt lgkmcnt(0)
	v_mfma_f32_16x16x16f16 v[14:17], v[10:11], v[30:31], v[14:17]
	v_cvt_pkrtz_f16_f32 v10, v21, v27
	v_cvt_pkrtz_f16_f32 v11, v25, v28
	s_nop 1
	v_mfma_f32_16x16x16f16 v[14:17], v[10:11], v[32:33], v[14:17]
	s_and_saveexec_b64 s[8:9], s[10:11]
	s_cbranch_execz .LBB582_551
; %bb.546:
	s_movk_i32 s7, 0x80
	v_cmp_ne_u16_sdwa s[12:13], v12, s7 src0_sel:BYTE_0 src1_sel:DWORD
	v_bfrev_b32_e32 v18, 1
	s_and_saveexec_b64 s[10:11], s[12:13]
	s_cbranch_execz .LBB582_550
; %bb.547:
	s_movk_i32 s7, 0x7f
	v_and_b32_e32 v10, 0x7f, v12
	v_cmp_ne_u32_e32 vcc, s7, v10
	v_mov_b32_e32 v18, 0x7f800001
	s_and_saveexec_b64 s[12:13], vcc
	s_cbranch_execz .LBB582_549
; %bb.548:
	v_and_b32_e32 v11, 7, v12
	v_ffbh_u32_e32 v18, v11
	v_min_u32_e32 v21, 32, v18
	v_subrev_u32_e32 v18, 28, v21
	v_lshlrev_b64 v[18:19], v18, v[12:13]
	v_lshrrev_b32_e32 v20, 3, v10
	v_sub_u32_e32 v19, 29, v21
	v_and_b32_e32 v18, 7, v18
	v_cmp_gt_u32_e32 vcc, 8, v10
	v_cndmask_b32_e32 v10, v20, v19, vcc
	v_cndmask_b32_e32 v11, v11, v18, vcc
	v_lshlrev_b32_e32 v18, 24, v12
	v_bfrev_b32_e32 v19, 60
	v_lshlrev_b32_e32 v11, 20, v11
	v_and_b32_e32 v18, 0x80000000, v18
	v_lshl_add_u32 v10, v10, 23, v19
	v_or3_b32 v18, v18, v10, v11
.LBB582_549:
	s_or_b64 exec, exec, s[12:13]
.LBB582_550:
	s_or_b64 exec, exec, s[10:11]
.LBB582_551:
	s_or_b64 exec, exec, s[8:9]
	v_lshrrev_b16_e32 v10, 8, v12
	v_cmp_ne_u16_e32 vcc, 0, v10
	v_mov_b32_e32 v11, 0
	v_mov_b32_e32 v20, 0
	s_and_saveexec_b64 s[8:9], vcc
	s_cbranch_execz .LBB582_557
; %bb.552:
	s_movk_i32 s7, 0x80
	v_cmp_ne_u16_e32 vcc, s7, v10
	v_bfrev_b32_e32 v20, 1
	s_and_saveexec_b64 s[10:11], vcc
	s_cbranch_execz .LBB582_556
; %bb.553:
	s_movk_i32 s7, 0x7f
	v_and_b32_e32 v19, 0x7f, v10
	v_cmp_ne_u32_e32 vcc, s7, v19
	v_mov_b32_e32 v20, 0x7f800001
	s_and_saveexec_b64 s[12:13], vcc
	s_cbranch_execz .LBB582_555
; %bb.554:
	v_and_b32_e32 v23, 7, v10
	v_ffbh_u32_e32 v20, v23
	v_min_u32_e32 v25, 32, v20
	v_subrev_u32_e32 v20, 28, v25
	v_lshlrev_b64 v[20:21], v20, v[10:11]
	v_lshrrev_b32_e32 v24, 3, v19
	v_sub_u32_e32 v10, 29, v25
	v_and_b32_e32 v20, 7, v20
	v_cmp_gt_u32_e32 vcc, 8, v19
	v_cndmask_b32_e32 v10, v24, v10, vcc
	v_cndmask_b32_e32 v19, v23, v20, vcc
	v_lshlrev_b32_e32 v20, 16, v12
	v_bfrev_b32_e32 v21, 60
	v_lshlrev_b32_e32 v19, 20, v19
	v_and_b32_e32 v20, 0x80000000, v20
	v_lshl_add_u32 v10, v10, 23, v21
	v_or3_b32 v20, v20, v10, v19
.LBB582_555:
	s_or_b64 exec, exec, s[12:13]
.LBB582_556:
	s_or_b64 exec, exec, s[10:11]
.LBB582_557:
	s_or_b64 exec, exec, s[8:9]
	s_movk_i32 s7, 0xff
	v_and_b32_sdwa v19, v12, s7 dst_sel:DWORD dst_unused:UNUSED_PAD src0_sel:WORD_1 src1_sel:DWORD
	v_lshrrev_b32_e32 v10, 16, v12
	v_cmp_ne_u16_e32 vcc, 0, v19
	s_and_saveexec_b64 s[8:9], vcc
	s_cbranch_execz .LBB582_563
; %bb.558:
	s_movk_i32 s7, 0x80
	v_cmp_ne_u16_e32 vcc, s7, v19
	v_bfrev_b32_e32 v11, 1
	s_and_saveexec_b64 s[10:11], vcc
	s_cbranch_execz .LBB582_562
; %bb.559:
	v_bfe_u32 v19, v12, 16, 7
	s_movk_i32 s7, 0x7f
	v_cmp_ne_u32_e32 vcc, s7, v19
	v_mov_b32_e32 v11, 0x7f800001
	s_and_saveexec_b64 s[12:13], vcc
	s_cbranch_execz .LBB582_561
; %bb.560:
	v_and_b32_e32 v21, 7, v10
	v_ffbh_u32_e32 v11, v21
	v_min_u32_e32 v24, 32, v11
	v_subrev_u32_e32 v11, 28, v24
	v_lshlrev_b64 v[10:11], v11, v[10:11]
	v_lshrrev_b32_e32 v23, 3, v19
	v_sub_u32_e32 v11, 29, v24
	v_and_b32_e32 v10, 7, v10
	v_cmp_gt_u32_e32 vcc, 8, v19
	v_mov_b32_e32 v19, 24
	v_cndmask_b32_e32 v11, v23, v11, vcc
	v_cndmask_b32_e32 v10, v21, v10, vcc
	v_lshlrev_b32_sdwa v19, v19, v12 dst_sel:DWORD dst_unused:UNUSED_PAD src0_sel:DWORD src1_sel:WORD_1
	v_bfrev_b32_e32 v21, 60
	v_lshlrev_b32_e32 v10, 20, v10
	v_and_b32_e32 v19, 0x80000000, v19
	v_lshl_add_u32 v11, v11, 23, v21
	v_or3_b32 v11, v19, v11, v10
.LBB582_561:
	s_or_b64 exec, exec, s[12:13]
.LBB582_562:
	s_or_b64 exec, exec, s[10:11]
.LBB582_563:
	s_or_b64 exec, exec, s[8:9]
	s_mov_b32 s7, 0xffffff
	v_cmp_lt_u32_e32 vcc, s7, v12
	v_mov_b32_e32 v21, 0
	v_mov_b32_e32 v23, 0
	s_and_saveexec_b64 s[8:9], vcc
	s_cbranch_execz .LBB582_569
; %bb.564:
	v_lshrrev_b32_e32 v10, 24, v12
	s_movk_i32 s7, 0x80
	v_cmp_ne_u32_e32 vcc, s7, v10
	v_bfrev_b32_e32 v23, 1
	s_and_saveexec_b64 s[10:11], vcc
	s_cbranch_execz .LBB582_568
; %bb.565:
	v_bfe_u32 v12, v12, 24, 7
	s_movk_i32 s7, 0x7f
	v_cmp_ne_u32_e32 vcc, s7, v12
	v_mov_b32_e32 v23, 0x7f800001
	s_and_saveexec_b64 s[12:13], vcc
	s_cbranch_execz .LBB582_567
; %bb.566:
	v_and_b32_e32 v19, 7, v10
	v_ffbh_u32_e32 v24, v19
	v_min_u32_e32 v27, 32, v24
	v_subrev_u32_e32 v24, 28, v27
	v_lshlrev_b64 v[24:25], v24, v[10:11]
	v_lshrrev_b32_e32 v23, 3, v12
	v_sub_u32_e32 v25, 29, v27
	v_and_b32_e32 v24, 7, v24
	v_cmp_gt_u32_e32 vcc, 8, v12
	v_cndmask_b32_e32 v12, v23, v25, vcc
	v_cndmask_b32_e32 v19, v19, v24, vcc
	v_lshlrev_b32_e32 v10, 24, v10
	v_bfrev_b32_e32 v23, 60
	v_lshlrev_b32_e32 v19, 20, v19
	v_and_b32_e32 v10, 0x80000000, v10
	v_lshl_add_u32 v12, v12, 23, v23
	v_or3_b32 v23, v10, v12, v19
.LBB582_567:
	s_or_b64 exec, exec, s[12:13]
.LBB582_568:
	s_or_b64 exec, exec, s[10:11]
.LBB582_569:
	s_or_b64 exec, exec, s[8:9]
	v_cmp_ne_u16_sdwa s[10:11], v13, v21 src0_sel:BYTE_0 src1_sel:DWORD
	s_and_saveexec_b64 s[8:9], s[10:11]
	s_cbranch_execz .LBB582_575
; %bb.570:
	s_movk_i32 s7, 0x80
	v_cmp_ne_u16_sdwa s[12:13], v13, s7 src0_sel:BYTE_0 src1_sel:DWORD
	v_bfrev_b32_e32 v21, 1
	s_and_saveexec_b64 s[10:11], s[12:13]
	s_cbranch_execz .LBB582_574
; %bb.571:
	s_movk_i32 s7, 0x7f
	v_and_b32_e32 v10, 0x7f, v13
	v_cmp_ne_u32_e32 vcc, s7, v10
	v_mov_b32_e32 v21, 0x7f800001
	s_and_saveexec_b64 s[12:13], vcc
	s_cbranch_execz .LBB582_573
; %bb.572:
	v_and_b32_e32 v19, 7, v13
	v_ffbh_u32_e32 v24, v19
	v_min_u32_e32 v27, 32, v24
	v_mov_b32_e32 v12, v13
	v_subrev_u32_e32 v24, 28, v27
	v_lshlrev_b64 v[24:25], v24, v[12:13]
	v_lshrrev_b32_e32 v21, 3, v10
	v_sub_u32_e32 v12, 29, v27
	v_and_b32_e32 v24, 7, v24
	v_cmp_gt_u32_e32 vcc, 8, v10
	v_cndmask_b32_e32 v10, v21, v12, vcc
	v_cndmask_b32_e32 v12, v19, v24, vcc
	v_lshlrev_b32_e32 v19, 24, v13
	v_bfrev_b32_e32 v21, 60
	v_lshlrev_b32_e32 v12, 20, v12
	v_and_b32_e32 v19, 0x80000000, v19
	v_lshl_add_u32 v10, v10, 23, v21
	v_or3_b32 v21, v19, v10, v12
.LBB582_573:
	s_or_b64 exec, exec, s[12:13]
.LBB582_574:
	s_or_b64 exec, exec, s[10:11]
.LBB582_575:
	s_or_b64 exec, exec, s[8:9]
	v_lshrrev_b16_e32 v10, 8, v13
	v_cmp_ne_u16_e32 vcc, 0, v10
	v_mov_b32_e32 v12, 0
	v_mov_b32_e32 v24, 0
	s_and_saveexec_b64 s[8:9], vcc
	s_cbranch_execz .LBB582_581
; %bb.576:
	s_movk_i32 s7, 0x80
	v_cmp_ne_u16_e32 vcc, s7, v10
	v_bfrev_b32_e32 v24, 1
	s_and_saveexec_b64 s[10:11], vcc
	s_cbranch_execz .LBB582_580
; %bb.577:
	s_movk_i32 s7, 0x7f
	v_and_b32_e32 v19, 0x7f, v10
	v_cmp_ne_u32_e32 vcc, s7, v19
	v_mov_b32_e32 v24, 0x7f800001
	s_and_saveexec_b64 s[12:13], vcc
	s_cbranch_execz .LBB582_579
; %bb.578:
	v_and_b32_e32 v27, 7, v10
	v_ffbh_u32_e32 v24, v27
	v_min_u32_e32 v29, 32, v24
	v_subrev_u32_e32 v24, 28, v29
	v_lshlrev_b64 v[24:25], v24, v[10:11]
	v_lshrrev_b32_e32 v28, 3, v19
	v_sub_u32_e32 v10, 29, v29
	v_and_b32_e32 v24, 7, v24
	v_cmp_gt_u32_e32 vcc, 8, v19
	v_cndmask_b32_e32 v10, v28, v10, vcc
	v_cndmask_b32_e32 v19, v27, v24, vcc
	v_lshlrev_b32_e32 v24, 16, v13
	v_bfrev_b32_e32 v25, 60
	v_lshlrev_b32_e32 v19, 20, v19
	v_and_b32_e32 v24, 0x80000000, v24
	v_lshl_add_u32 v10, v10, 23, v25
	v_or3_b32 v24, v24, v10, v19
.LBB582_579:
	s_or_b64 exec, exec, s[12:13]
.LBB582_580:
	s_or_b64 exec, exec, s[10:11]
.LBB582_581:
	s_or_b64 exec, exec, s[8:9]
	s_movk_i32 s7, 0xff
	v_and_b32_sdwa v19, v13, s7 dst_sel:DWORD dst_unused:UNUSED_PAD src0_sel:WORD_1 src1_sel:DWORD
	v_lshrrev_b32_e32 v10, 16, v13
	v_cmp_ne_u16_e32 vcc, 0, v19
	s_and_saveexec_b64 s[8:9], vcc
	s_cbranch_execz .LBB582_587
; %bb.582:
	s_movk_i32 s7, 0x80
	v_cmp_ne_u16_e32 vcc, s7, v19
	v_bfrev_b32_e32 v12, 1
	s_and_saveexec_b64 s[10:11], vcc
	s_cbranch_execz .LBB582_586
; %bb.583:
	v_bfe_u32 v19, v13, 16, 7
	s_movk_i32 s7, 0x7f
	v_cmp_ne_u32_e32 vcc, s7, v19
	v_mov_b32_e32 v12, 0x7f800001
	s_and_saveexec_b64 s[12:13], vcc
	s_cbranch_execz .LBB582_585
; %bb.584:
	v_and_b32_e32 v12, 7, v10
	v_ffbh_u32_e32 v27, v12
	v_min_u32_e32 v27, 32, v27
	v_subrev_u32_e32 v28, 28, v27
	v_lshlrev_b64 v[28:29], v28, v[10:11]
	v_lshrrev_b32_e32 v25, 3, v19
	v_sub_u32_e32 v10, 29, v27
	v_and_b32_e32 v27, 7, v28
	v_cmp_gt_u32_e32 vcc, 8, v19
	v_mov_b32_e32 v19, 24
	v_cndmask_b32_e32 v10, v25, v10, vcc
	v_cndmask_b32_e32 v12, v12, v27, vcc
	v_lshlrev_b32_sdwa v19, v19, v13 dst_sel:DWORD dst_unused:UNUSED_PAD src0_sel:DWORD src1_sel:WORD_1
	v_bfrev_b32_e32 v25, 60
	v_lshlrev_b32_e32 v12, 20, v12
	v_and_b32_e32 v19, 0x80000000, v19
	v_lshl_add_u32 v10, v10, 23, v25
	v_or3_b32 v12, v19, v10, v12
.LBB582_585:
	s_or_b64 exec, exec, s[12:13]
.LBB582_586:
	s_or_b64 exec, exec, s[10:11]
.LBB582_587:
	s_or_b64 exec, exec, s[8:9]
	s_mov_b32 s7, 0xffffff
	v_cmp_lt_u32_e32 vcc, s7, v13
	v_mov_b32_e32 v19, 0
	v_mov_b32_e32 v25, 0
	s_and_saveexec_b64 s[8:9], vcc
	s_cbranch_execz .LBB582_593
; %bb.588:
	v_lshrrev_b32_e32 v10, 24, v13
	s_movk_i32 s7, 0x80
	v_cmp_ne_u32_e32 vcc, s7, v10
	v_bfrev_b32_e32 v25, 1
	s_and_saveexec_b64 s[10:11], vcc
	s_cbranch_execz .LBB582_592
; %bb.589:
	v_bfe_u32 v13, v13, 24, 7
	s_movk_i32 s7, 0x7f
	v_cmp_ne_u32_e32 vcc, s7, v13
	v_mov_b32_e32 v25, 0x7f800001
	s_and_saveexec_b64 s[12:13], vcc
	s_cbranch_execz .LBB582_591
; %bb.590:
	v_and_b32_e32 v25, 7, v10
	v_ffbh_u32_e32 v28, v25
	v_min_u32_e32 v30, 32, v28
	v_subrev_u32_e32 v28, 28, v30
	v_lshlrev_b64 v[28:29], v28, v[10:11]
	v_lshrrev_b32_e32 v27, 3, v13
	v_sub_u32_e32 v29, 29, v30
	v_and_b32_e32 v28, 7, v28
	v_cmp_gt_u32_e32 vcc, 8, v13
	v_cndmask_b32_e32 v13, v27, v29, vcc
	v_cndmask_b32_e32 v25, v25, v28, vcc
	v_lshlrev_b32_e32 v10, 24, v10
	v_bfrev_b32_e32 v27, 60
	v_lshlrev_b32_e32 v25, 20, v25
	v_and_b32_e32 v10, 0x80000000, v10
	v_lshl_add_u32 v13, v13, 23, v27
	v_or3_b32 v25, v10, v13, v25
.LBB582_591:
	s_or_b64 exec, exec, s[12:13]
.LBB582_592:
	s_or_b64 exec, exec, s[10:11]
.LBB582_593:
	s_or_b64 exec, exec, s[8:9]
	v_cvt_pkrtz_f16_f32 v10, v18, v20
	v_cvt_pkrtz_f16_f32 v11, v11, v23
	ds_read_b128 v[28:31], v22 offset:2064
	s_waitcnt vmcnt(1)
	v_cmp_ne_u16_sdwa s[10:11], v6, v19 src0_sel:BYTE_0 src1_sel:DWORD
	s_waitcnt lgkmcnt(0)
	v_mfma_f32_16x16x16f16 v[14:17], v[10:11], v[28:29], v[14:17]
	v_cvt_pkrtz_f16_f32 v10, v21, v24
	v_cvt_pkrtz_f16_f32 v11, v12, v25
	s_nop 1
	v_mfma_f32_16x16x16f16 v[10:13], v[10:11], v[30:31], v[14:17]
	s_and_saveexec_b64 s[8:9], s[10:11]
	s_cbranch_execz .LBB582_599
; %bb.594:
	s_movk_i32 s7, 0x80
	v_cmp_ne_u16_sdwa s[12:13], v6, s7 src0_sel:BYTE_0 src1_sel:DWORD
	v_bfrev_b32_e32 v19, 1
	s_and_saveexec_b64 s[10:11], s[12:13]
	s_cbranch_execz .LBB582_598
; %bb.595:
	s_movk_i32 s7, 0x7f
	v_and_b32_e32 v14, 0x7f, v6
	v_cmp_ne_u32_e32 vcc, s7, v14
	v_mov_b32_e32 v19, 0x7f800001
	s_and_saveexec_b64 s[12:13], vcc
	s_cbranch_execz .LBB582_597
; %bb.596:
	v_and_b32_e32 v15, 7, v6
	v_ffbh_u32_e32 v16, v15
	v_min_u32_e32 v19, 32, v16
	v_subrev_u32_e32 v16, 28, v19
	v_lshlrev_b64 v[16:17], v16, v[6:7]
	v_lshrrev_b32_e32 v18, 3, v14
	v_sub_u32_e32 v17, 29, v19
	v_and_b32_e32 v16, 7, v16
	v_cmp_gt_u32_e32 vcc, 8, v14
	v_cndmask_b32_e32 v14, v18, v17, vcc
	v_cndmask_b32_e32 v15, v15, v16, vcc
	v_lshlrev_b32_e32 v16, 24, v6
	v_bfrev_b32_e32 v17, 60
	v_lshlrev_b32_e32 v15, 20, v15
	v_and_b32_e32 v16, 0x80000000, v16
	v_lshl_add_u32 v14, v14, 23, v17
	v_or3_b32 v19, v16, v14, v15
.LBB582_597:
	s_or_b64 exec, exec, s[12:13]
.LBB582_598:
	s_or_b64 exec, exec, s[10:11]
.LBB582_599:
	s_or_b64 exec, exec, s[8:9]
	s_nop 3
	v_lshrrev_b16_e32 v14, 8, v6
	v_cmp_ne_u16_e32 vcc, 0, v14
	v_mov_b32_e32 v15, 0
	v_mov_b32_e32 v16, 0
	s_and_saveexec_b64 s[8:9], vcc
	s_cbranch_execz .LBB582_605
; %bb.600:
	s_movk_i32 s7, 0x80
	v_cmp_ne_u16_e32 vcc, s7, v14
	v_bfrev_b32_e32 v16, 1
	s_and_saveexec_b64 s[10:11], vcc
	s_cbranch_execz .LBB582_604
; %bb.601:
	s_movk_i32 s7, 0x7f
	v_and_b32_e32 v17, 0x7f, v14
	v_cmp_ne_u32_e32 vcc, s7, v17
	v_mov_b32_e32 v16, 0x7f800001
	s_and_saveexec_b64 s[12:13], vcc
	s_cbranch_execz .LBB582_603
; %bb.602:
	v_and_b32_e32 v16, 7, v14
	v_ffbh_u32_e32 v20, v16
	v_min_u32_e32 v23, 32, v20
	v_subrev_u32_e32 v20, 28, v23
	v_lshlrev_b64 v[20:21], v20, v[14:15]
	v_lshrrev_b32_e32 v18, 3, v17
	v_sub_u32_e32 v14, 29, v23
	v_and_b32_e32 v20, 7, v20
	v_cmp_gt_u32_e32 vcc, 8, v17
	v_cndmask_b32_e32 v14, v18, v14, vcc
	v_cndmask_b32_e32 v16, v16, v20, vcc
	v_lshlrev_b32_e32 v17, 16, v6
	v_bfrev_b32_e32 v18, 60
	v_lshlrev_b32_e32 v16, 20, v16
	v_and_b32_e32 v17, 0x80000000, v17
	v_lshl_add_u32 v14, v14, 23, v18
	v_or3_b32 v16, v17, v14, v16
.LBB582_603:
	s_or_b64 exec, exec, s[12:13]
.LBB582_604:
	s_or_b64 exec, exec, s[10:11]
.LBB582_605:
	s_or_b64 exec, exec, s[8:9]
	s_movk_i32 s7, 0xff
	v_and_b32_sdwa v17, v6, s7 dst_sel:DWORD dst_unused:UNUSED_PAD src0_sel:WORD_1 src1_sel:DWORD
	v_lshrrev_b32_e32 v14, 16, v6
	v_cmp_ne_u16_e32 vcc, 0, v17
	s_and_saveexec_b64 s[8:9], vcc
	s_cbranch_execz .LBB582_611
; %bb.606:
	s_movk_i32 s7, 0x80
	v_cmp_ne_u16_e32 vcc, s7, v17
	v_bfrev_b32_e32 v15, 1
	s_and_saveexec_b64 s[10:11], vcc
	s_cbranch_execz .LBB582_610
; %bb.607:
	v_bfe_u32 v17, v6, 16, 7
	s_movk_i32 s7, 0x7f
	v_cmp_ne_u32_e32 vcc, s7, v17
	v_mov_b32_e32 v15, 0x7f800001
	s_and_saveexec_b64 s[12:13], vcc
	s_cbranch_execz .LBB582_609
; %bb.608:
	v_and_b32_e32 v18, 7, v14
	v_ffbh_u32_e32 v15, v18
	v_min_u32_e32 v21, 32, v15
	v_subrev_u32_e32 v15, 28, v21
	v_lshlrev_b64 v[14:15], v15, v[14:15]
	v_lshrrev_b32_e32 v20, 3, v17
	v_sub_u32_e32 v15, 29, v21
	v_and_b32_e32 v14, 7, v14
	v_cmp_gt_u32_e32 vcc, 8, v17
	v_mov_b32_e32 v17, 24
	v_cndmask_b32_e32 v15, v20, v15, vcc
	v_cndmask_b32_e32 v14, v18, v14, vcc
	v_lshlrev_b32_sdwa v17, v17, v6 dst_sel:DWORD dst_unused:UNUSED_PAD src0_sel:DWORD src1_sel:WORD_1
	v_bfrev_b32_e32 v18, 60
	v_lshlrev_b32_e32 v14, 20, v14
	v_and_b32_e32 v17, 0x80000000, v17
	v_lshl_add_u32 v15, v15, 23, v18
	v_or3_b32 v15, v17, v15, v14
.LBB582_609:
	s_or_b64 exec, exec, s[12:13]
.LBB582_610:
	s_or_b64 exec, exec, s[10:11]
.LBB582_611:
	s_or_b64 exec, exec, s[8:9]
	s_mov_b32 s7, 0xffffff
	v_cmp_lt_u32_e32 vcc, s7, v6
	v_mov_b32_e32 v17, 0
	v_mov_b32_e32 v18, 0
	s_and_saveexec_b64 s[8:9], vcc
	s_cbranch_execz .LBB582_617
; %bb.612:
	v_lshrrev_b32_e32 v14, 24, v6
	s_movk_i32 s7, 0x80
	v_cmp_ne_u32_e32 vcc, s7, v14
	v_bfrev_b32_e32 v18, 1
	s_and_saveexec_b64 s[10:11], vcc
	s_cbranch_execz .LBB582_616
; %bb.613:
	v_bfe_u32 v6, v6, 24, 7
	s_movk_i32 s7, 0x7f
	v_cmp_ne_u32_e32 vcc, s7, v6
	v_mov_b32_e32 v18, 0x7f800001
	s_and_saveexec_b64 s[12:13], vcc
	s_cbranch_execz .LBB582_615
; %bb.614:
	v_and_b32_e32 v18, 7, v14
	v_ffbh_u32_e32 v20, v18
	v_min_u32_e32 v24, 32, v20
	v_subrev_u32_e32 v20, 28, v24
	v_lshlrev_b64 v[20:21], v20, v[14:15]
	v_lshrrev_b32_e32 v23, 3, v6
	v_sub_u32_e32 v21, 29, v24
	v_and_b32_e32 v20, 7, v20
	v_cmp_gt_u32_e32 vcc, 8, v6
	v_cndmask_b32_e32 v6, v23, v21, vcc
	v_cndmask_b32_e32 v18, v18, v20, vcc
	v_lshlrev_b32_e32 v14, 24, v14
	v_bfrev_b32_e32 v20, 60
	v_lshlrev_b32_e32 v18, 20, v18
	v_and_b32_e32 v14, 0x80000000, v14
	v_lshl_add_u32 v6, v6, 23, v20
	v_or3_b32 v18, v14, v6, v18
.LBB582_615:
	s_or_b64 exec, exec, s[12:13]
.LBB582_616:
	s_or_b64 exec, exec, s[10:11]
.LBB582_617:
	s_or_b64 exec, exec, s[8:9]
	v_cmp_ne_u16_sdwa s[10:11], v7, v17 src0_sel:BYTE_0 src1_sel:DWORD
	s_and_saveexec_b64 s[8:9], s[10:11]
	s_cbranch_execz .LBB582_623
; %bb.618:
	s_movk_i32 s7, 0x80
	v_cmp_ne_u16_sdwa s[12:13], v7, s7 src0_sel:BYTE_0 src1_sel:DWORD
	v_bfrev_b32_e32 v17, 1
	s_and_saveexec_b64 s[10:11], s[12:13]
	s_cbranch_execz .LBB582_622
; %bb.619:
	s_movk_i32 s7, 0x7f
	v_and_b32_e32 v6, 0x7f, v7
	v_cmp_ne_u32_e32 vcc, s7, v6
	v_mov_b32_e32 v17, 0x7f800001
	s_and_saveexec_b64 s[12:13], vcc
	s_cbranch_execz .LBB582_621
; %bb.620:
	v_and_b32_e32 v17, 7, v7
	v_ffbh_u32_e32 v20, v17
	v_min_u32_e32 v24, 32, v20
	v_mov_b32_e32 v14, v7
	v_subrev_u32_e32 v20, 28, v24
	v_lshlrev_b64 v[20:21], v20, v[14:15]
	v_lshrrev_b32_e32 v23, 3, v6
	v_sub_u32_e32 v14, 29, v24
	v_and_b32_e32 v20, 7, v20
	v_cmp_gt_u32_e32 vcc, 8, v6
	v_cndmask_b32_e32 v6, v23, v14, vcc
	v_cndmask_b32_e32 v14, v17, v20, vcc
	v_lshlrev_b32_e32 v17, 24, v7
	v_bfrev_b32_e32 v20, 60
	v_lshlrev_b32_e32 v14, 20, v14
	v_and_b32_e32 v17, 0x80000000, v17
	v_lshl_add_u32 v6, v6, 23, v20
	v_or3_b32 v17, v17, v6, v14
.LBB582_621:
	s_or_b64 exec, exec, s[12:13]
.LBB582_622:
	s_or_b64 exec, exec, s[10:11]
.LBB582_623:
	s_or_b64 exec, exec, s[8:9]
	v_lshrrev_b16_e32 v6, 8, v7
	v_cmp_ne_u16_e32 vcc, 0, v6
	v_mov_b32_e32 v20, 0
	v_mov_b32_e32 v21, 0
	s_and_saveexec_b64 s[8:9], vcc
	s_cbranch_execz .LBB582_629
; %bb.624:
	s_movk_i32 s7, 0x80
	v_cmp_ne_u16_e32 vcc, s7, v6
	v_bfrev_b32_e32 v21, 1
	s_and_saveexec_b64 s[10:11], vcc
	s_cbranch_execz .LBB582_628
; %bb.625:
	s_movk_i32 s7, 0x7f
	v_and_b32_e32 v14, 0x7f, v6
	v_cmp_ne_u32_e32 vcc, s7, v14
	v_mov_b32_e32 v21, 0x7f800001
	s_and_saveexec_b64 s[12:13], vcc
	s_cbranch_execz .LBB582_627
; %bb.626:
	v_and_b32_e32 v21, 7, v6
	v_ffbh_u32_e32 v24, v21
	v_min_u32_e32 v27, 32, v24
	v_subrev_u32_e32 v24, 28, v27
	v_lshlrev_b64 v[24:25], v24, v[6:7]
	v_lshrrev_b32_e32 v23, 3, v14
	v_sub_u32_e32 v6, 29, v27
	v_and_b32_e32 v24, 7, v24
	v_cmp_gt_u32_e32 vcc, 8, v14
	v_cndmask_b32_e32 v6, v23, v6, vcc
	v_cndmask_b32_e32 v14, v21, v24, vcc
	v_lshlrev_b32_e32 v21, 16, v7
	v_bfrev_b32_e32 v23, 60
	v_lshlrev_b32_e32 v14, 20, v14
	v_and_b32_e32 v21, 0x80000000, v21
	v_lshl_add_u32 v6, v6, 23, v23
	v_or3_b32 v21, v21, v6, v14
.LBB582_627:
	s_or_b64 exec, exec, s[12:13]
.LBB582_628:
	s_or_b64 exec, exec, s[10:11]
.LBB582_629:
	s_or_b64 exec, exec, s[8:9]
	s_movk_i32 s7, 0xff
	v_and_b32_sdwa v14, v7, s7 dst_sel:DWORD dst_unused:UNUSED_PAD src0_sel:WORD_1 src1_sel:DWORD
	v_lshrrev_b32_e32 v6, 16, v7
	v_cmp_ne_u16_e32 vcc, 0, v14
	s_and_saveexec_b64 s[8:9], vcc
	s_cbranch_execz .LBB582_635
; %bb.630:
	s_movk_i32 s7, 0x80
	v_cmp_ne_u16_e32 vcc, s7, v14
	v_bfrev_b32_e32 v20, 1
	s_and_saveexec_b64 s[10:11], vcc
	s_cbranch_execz .LBB582_634
; %bb.631:
	v_bfe_u32 v14, v7, 16, 7
	s_movk_i32 s7, 0x7f
	v_cmp_ne_u32_e32 vcc, s7, v14
	v_mov_b32_e32 v20, 0x7f800001
	s_and_saveexec_b64 s[12:13], vcc
	s_cbranch_execz .LBB582_633
; %bb.632:
	v_and_b32_e32 v20, 7, v6
	v_ffbh_u32_e32 v24, v20
	v_min_u32_e32 v27, 32, v24
	v_subrev_u32_e32 v24, 28, v27
	v_lshlrev_b64 v[24:25], v24, v[6:7]
	v_and_b32_e32 v24, 7, v24
	v_cmp_gt_u32_e32 vcc, 8, v14
	v_lshrrev_b32_e32 v23, 3, v14
	v_sub_u32_e32 v6, 29, v27
	v_cndmask_b32_e32 v14, v20, v24, vcc
	v_mov_b32_e32 v20, 24
	v_cndmask_b32_e32 v6, v23, v6, vcc
	v_lshlrev_b32_sdwa v20, v20, v7 dst_sel:DWORD dst_unused:UNUSED_PAD src0_sel:DWORD src1_sel:WORD_1
	v_bfrev_b32_e32 v23, 60
	v_lshlrev_b32_e32 v14, 20, v14
	v_and_b32_e32 v20, 0x80000000, v20
	v_lshl_add_u32 v6, v6, 23, v23
	v_or3_b32 v20, v20, v6, v14
.LBB582_633:
	s_or_b64 exec, exec, s[12:13]
.LBB582_634:
	s_or_b64 exec, exec, s[10:11]
.LBB582_635:
	s_or_b64 exec, exec, s[8:9]
	s_mov_b32 s7, 0xffffff
	v_cmp_lt_u32_e32 vcc, s7, v7
	v_mov_b32_e32 v14, 0
	v_mov_b32_e32 v23, 0
	s_and_saveexec_b64 s[8:9], vcc
	s_cbranch_execz .LBB582_641
; %bb.636:
	v_lshrrev_b32_e32 v6, 24, v7
	s_movk_i32 s7, 0x80
	v_cmp_ne_u32_e32 vcc, s7, v6
	v_bfrev_b32_e32 v23, 1
	s_and_saveexec_b64 s[10:11], vcc
	s_cbranch_execz .LBB582_640
; %bb.637:
	v_bfe_u32 v7, v7, 24, 7
	s_movk_i32 s7, 0x7f
	v_cmp_ne_u32_e32 vcc, s7, v7
	v_mov_b32_e32 v23, 0x7f800001
	s_and_saveexec_b64 s[12:13], vcc
	s_cbranch_execz .LBB582_639
; %bb.638:
	v_and_b32_e32 v23, 7, v6
	v_ffbh_u32_e32 v24, v23
	v_min_u32_e32 v28, 32, v24
	v_subrev_u32_e32 v24, 28, v28
	v_lshlrev_b64 v[24:25], v24, v[6:7]
	v_lshrrev_b32_e32 v27, 3, v7
	v_sub_u32_e32 v25, 29, v28
	v_and_b32_e32 v24, 7, v24
	v_cmp_gt_u32_e32 vcc, 8, v7
	v_cndmask_b32_e32 v7, v27, v25, vcc
	v_cndmask_b32_e32 v23, v23, v24, vcc
	v_lshlrev_b32_e32 v6, 24, v6
	v_bfrev_b32_e32 v24, 60
	v_lshlrev_b32_e32 v23, 20, v23
	v_and_b32_e32 v6, 0x80000000, v6
	v_lshl_add_u32 v7, v7, 23, v24
	v_or3_b32 v23, v6, v7, v23
.LBB582_639:
	s_or_b64 exec, exec, s[12:13]
.LBB582_640:
	s_or_b64 exec, exec, s[10:11]
.LBB582_641:
	s_or_b64 exec, exec, s[8:9]
	v_cvt_pkrtz_f16_f32 v6, v19, v16
	v_cvt_pkrtz_f16_f32 v7, v15, v18
	ds_read_b128 v[28:31], v22 offset:4096
	v_cmp_ne_u16_sdwa s[10:11], v8, v14 src0_sel:BYTE_0 src1_sel:DWORD
	s_waitcnt lgkmcnt(0)
	v_mfma_f32_16x16x16f16 v[10:13], v[6:7], v[28:29], v[10:13]
	v_cvt_pkrtz_f16_f32 v6, v17, v21
	v_cvt_pkrtz_f16_f32 v7, v20, v23
	s_nop 1
	v_mfma_f32_16x16x16f16 v[10:13], v[6:7], v[30:31], v[10:13]
	s_and_saveexec_b64 s[8:9], s[10:11]
	s_cbranch_execz .LBB582_647
; %bb.642:
	s_movk_i32 s7, 0x80
	v_cmp_ne_u16_sdwa s[12:13], v8, s7 src0_sel:BYTE_0 src1_sel:DWORD
	v_bfrev_b32_e32 v14, 1
	s_and_saveexec_b64 s[10:11], s[12:13]
	s_cbranch_execz .LBB582_646
; %bb.643:
	s_movk_i32 s7, 0x7f
	v_and_b32_e32 v6, 0x7f, v8
	v_cmp_ne_u32_e32 vcc, s7, v6
	v_mov_b32_e32 v14, 0x7f800001
	s_and_saveexec_b64 s[12:13], vcc
	s_cbranch_execz .LBB582_645
; %bb.644:
	v_and_b32_e32 v7, 7, v8
	v_ffbh_u32_e32 v14, v7
	v_min_u32_e32 v17, 32, v14
	v_subrev_u32_e32 v14, 28, v17
	v_lshlrev_b64 v[14:15], v14, v[8:9]
	v_lshrrev_b32_e32 v16, 3, v6
	v_sub_u32_e32 v15, 29, v17
	v_and_b32_e32 v14, 7, v14
	v_cmp_gt_u32_e32 vcc, 8, v6
	v_cndmask_b32_e32 v6, v16, v15, vcc
	v_cndmask_b32_e32 v7, v7, v14, vcc
	v_lshlrev_b32_e32 v14, 24, v8
	v_bfrev_b32_e32 v15, 60
	v_lshlrev_b32_e32 v7, 20, v7
	v_and_b32_e32 v14, 0x80000000, v14
	v_lshl_add_u32 v6, v6, 23, v15
	v_or3_b32 v14, v14, v6, v7
.LBB582_645:
	s_or_b64 exec, exec, s[12:13]
.LBB582_646:
	s_or_b64 exec, exec, s[10:11]
.LBB582_647:
	s_or_b64 exec, exec, s[8:9]
	v_lshrrev_b16_e32 v6, 8, v8
	v_cmp_ne_u16_e32 vcc, 0, v6
	v_mov_b32_e32 v7, 0
	v_mov_b32_e32 v16, 0
	s_and_saveexec_b64 s[8:9], vcc
	s_cbranch_execz .LBB582_653
; %bb.648:
	s_movk_i32 s7, 0x80
	v_cmp_ne_u16_e32 vcc, s7, v6
	v_bfrev_b32_e32 v16, 1
	s_and_saveexec_b64 s[10:11], vcc
	s_cbranch_execz .LBB582_652
; %bb.649:
	s_movk_i32 s7, 0x7f
	v_and_b32_e32 v15, 0x7f, v6
	v_cmp_ne_u32_e32 vcc, s7, v15
	v_mov_b32_e32 v16, 0x7f800001
	s_and_saveexec_b64 s[12:13], vcc
	s_cbranch_execz .LBB582_651
; %bb.650:
	v_and_b32_e32 v18, 7, v6
	v_ffbh_u32_e32 v16, v18
	v_min_u32_e32 v20, 32, v16
	v_subrev_u32_e32 v16, 28, v20
	v_lshlrev_b64 v[16:17], v16, v[6:7]
	v_lshrrev_b32_e32 v19, 3, v15
	v_sub_u32_e32 v6, 29, v20
	v_and_b32_e32 v16, 7, v16
	v_cmp_gt_u32_e32 vcc, 8, v15
	v_cndmask_b32_e32 v6, v19, v6, vcc
	v_cndmask_b32_e32 v15, v18, v16, vcc
	v_lshlrev_b32_e32 v16, 16, v8
	v_bfrev_b32_e32 v17, 60
	v_lshlrev_b32_e32 v15, 20, v15
	v_and_b32_e32 v16, 0x80000000, v16
	v_lshl_add_u32 v6, v6, 23, v17
	v_or3_b32 v16, v16, v6, v15
.LBB582_651:
	s_or_b64 exec, exec, s[12:13]
.LBB582_652:
	s_or_b64 exec, exec, s[10:11]
.LBB582_653:
	s_or_b64 exec, exec, s[8:9]
	s_movk_i32 s7, 0xff
	v_and_b32_sdwa v15, v8, s7 dst_sel:DWORD dst_unused:UNUSED_PAD src0_sel:WORD_1 src1_sel:DWORD
	v_lshrrev_b32_e32 v6, 16, v8
	v_cmp_ne_u16_e32 vcc, 0, v15
	s_and_saveexec_b64 s[8:9], vcc
	s_cbranch_execz .LBB582_659
; %bb.654:
	s_movk_i32 s7, 0x80
	v_cmp_ne_u16_e32 vcc, s7, v15
	v_bfrev_b32_e32 v7, 1
	s_and_saveexec_b64 s[10:11], vcc
	s_cbranch_execz .LBB582_658
; %bb.655:
	v_bfe_u32 v15, v8, 16, 7
	s_movk_i32 s7, 0x7f
	v_cmp_ne_u32_e32 vcc, s7, v15
	v_mov_b32_e32 v7, 0x7f800001
	s_and_saveexec_b64 s[12:13], vcc
	s_cbranch_execz .LBB582_657
; %bb.656:
	v_and_b32_e32 v17, 7, v6
	v_ffbh_u32_e32 v7, v17
	v_min_u32_e32 v19, 32, v7
	v_subrev_u32_e32 v7, 28, v19
	v_lshlrev_b64 v[6:7], v7, v[6:7]
	v_lshrrev_b32_e32 v18, 3, v15
	v_sub_u32_e32 v7, 29, v19
	v_and_b32_e32 v6, 7, v6
	v_cmp_gt_u32_e32 vcc, 8, v15
	v_mov_b32_e32 v15, 24
	v_cndmask_b32_e32 v7, v18, v7, vcc
	v_cndmask_b32_e32 v6, v17, v6, vcc
	v_lshlrev_b32_sdwa v15, v15, v8 dst_sel:DWORD dst_unused:UNUSED_PAD src0_sel:DWORD src1_sel:WORD_1
	v_bfrev_b32_e32 v17, 60
	v_lshlrev_b32_e32 v6, 20, v6
	v_and_b32_e32 v15, 0x80000000, v15
	v_lshl_add_u32 v7, v7, 23, v17
	v_or3_b32 v7, v15, v7, v6
.LBB582_657:
	s_or_b64 exec, exec, s[12:13]
.LBB582_658:
	s_or_b64 exec, exec, s[10:11]
.LBB582_659:
	s_or_b64 exec, exec, s[8:9]
	s_mov_b32 s7, 0xffffff
	v_cmp_lt_u32_e32 vcc, s7, v8
	v_mov_b32_e32 v17, 0
	v_mov_b32_e32 v18, 0
	s_and_saveexec_b64 s[8:9], vcc
	s_cbranch_execz .LBB582_665
; %bb.660:
	v_lshrrev_b32_e32 v6, 24, v8
	s_movk_i32 s7, 0x80
	v_cmp_ne_u32_e32 vcc, s7, v6
	v_bfrev_b32_e32 v18, 1
	s_and_saveexec_b64 s[10:11], vcc
	s_cbranch_execz .LBB582_664
; %bb.661:
	v_bfe_u32 v8, v8, 24, 7
	s_movk_i32 s7, 0x7f
	v_cmp_ne_u32_e32 vcc, s7, v8
	v_mov_b32_e32 v18, 0x7f800001
	s_and_saveexec_b64 s[12:13], vcc
	s_cbranch_execz .LBB582_663
; %bb.662:
	v_and_b32_e32 v15, 7, v6
	v_ffbh_u32_e32 v18, v15
	v_min_u32_e32 v21, 32, v18
	v_subrev_u32_e32 v18, 28, v21
	v_lshlrev_b64 v[18:19], v18, v[6:7]
	v_lshrrev_b32_e32 v20, 3, v8
	v_sub_u32_e32 v19, 29, v21
	v_and_b32_e32 v18, 7, v18
	v_cmp_gt_u32_e32 vcc, 8, v8
	v_cndmask_b32_e32 v8, v20, v19, vcc
	v_cndmask_b32_e32 v15, v15, v18, vcc
	v_lshlrev_b32_e32 v6, 24, v6
	v_bfrev_b32_e32 v18, 60
	v_lshlrev_b32_e32 v15, 20, v15
	v_and_b32_e32 v6, 0x80000000, v6
	v_lshl_add_u32 v8, v8, 23, v18
	v_or3_b32 v18, v6, v8, v15
.LBB582_663:
	s_or_b64 exec, exec, s[12:13]
.LBB582_664:
	s_or_b64 exec, exec, s[10:11]
.LBB582_665:
	s_or_b64 exec, exec, s[8:9]
	v_cmp_ne_u16_sdwa s[10:11], v9, v17 src0_sel:BYTE_0 src1_sel:DWORD
	s_and_saveexec_b64 s[8:9], s[10:11]
	s_cbranch_execz .LBB582_671
; %bb.666:
	s_movk_i32 s7, 0x80
	v_cmp_ne_u16_sdwa s[12:13], v9, s7 src0_sel:BYTE_0 src1_sel:DWORD
	v_bfrev_b32_e32 v17, 1
	s_and_saveexec_b64 s[10:11], s[12:13]
	s_cbranch_execz .LBB582_670
; %bb.667:
	s_movk_i32 s7, 0x7f
	v_and_b32_e32 v6, 0x7f, v9
	v_cmp_ne_u32_e32 vcc, s7, v6
	v_mov_b32_e32 v17, 0x7f800001
	s_and_saveexec_b64 s[12:13], vcc
	s_cbranch_execz .LBB582_669
; %bb.668:
	v_and_b32_e32 v15, 7, v9
	v_ffbh_u32_e32 v19, v15
	v_min_u32_e32 v19, 32, v19
	v_mov_b32_e32 v8, v9
	v_subrev_u32_e32 v20, 28, v19
	v_lshlrev_b64 v[20:21], v20, v[8:9]
	v_lshrrev_b32_e32 v17, 3, v6
	v_sub_u32_e32 v8, 29, v19
	v_and_b32_e32 v19, 7, v20
	v_cmp_gt_u32_e32 vcc, 8, v6
	v_cndmask_b32_e32 v6, v17, v8, vcc
	v_cndmask_b32_e32 v8, v15, v19, vcc
	v_lshlrev_b32_e32 v15, 24, v9
	v_bfrev_b32_e32 v17, 60
	v_lshlrev_b32_e32 v8, 20, v8
	v_and_b32_e32 v15, 0x80000000, v15
	v_lshl_add_u32 v6, v6, 23, v17
	v_or3_b32 v17, v15, v6, v8
.LBB582_669:
	s_or_b64 exec, exec, s[12:13]
.LBB582_670:
	s_or_b64 exec, exec, s[10:11]
.LBB582_671:
	s_or_b64 exec, exec, s[8:9]
	v_lshrrev_b16_e32 v6, 8, v9
	v_cmp_ne_u16_e32 vcc, 0, v6
	v_mov_b32_e32 v8, 0
	v_mov_b32_e32 v19, 0
	s_and_saveexec_b64 s[8:9], vcc
	s_cbranch_execz .LBB582_677
; %bb.672:
	s_movk_i32 s7, 0x80
	v_cmp_ne_u16_e32 vcc, s7, v6
	v_bfrev_b32_e32 v19, 1
	s_and_saveexec_b64 s[10:11], vcc
	s_cbranch_execz .LBB582_676
; %bb.673:
	s_movk_i32 s7, 0x7f
	v_and_b32_e32 v15, 0x7f, v6
	v_cmp_ne_u32_e32 vcc, s7, v15
	v_mov_b32_e32 v19, 0x7f800001
	s_and_saveexec_b64 s[12:13], vcc
	s_cbranch_execz .LBB582_675
; %bb.674:
	v_and_b32_e32 v19, 7, v6
	v_ffbh_u32_e32 v20, v19
	v_min_u32_e32 v24, 32, v20
	v_subrev_u32_e32 v20, 28, v24
	v_lshlrev_b64 v[20:21], v20, v[6:7]
	v_lshrrev_b32_e32 v23, 3, v15
	v_sub_u32_e32 v6, 29, v24
	v_and_b32_e32 v20, 7, v20
	v_cmp_gt_u32_e32 vcc, 8, v15
	v_cndmask_b32_e32 v6, v23, v6, vcc
	v_cndmask_b32_e32 v15, v19, v20, vcc
	v_lshlrev_b32_e32 v19, 16, v9
	v_bfrev_b32_e32 v20, 60
	v_lshlrev_b32_e32 v15, 20, v15
	v_and_b32_e32 v19, 0x80000000, v19
	v_lshl_add_u32 v6, v6, 23, v20
	v_or3_b32 v19, v19, v6, v15
.LBB582_675:
	s_or_b64 exec, exec, s[12:13]
.LBB582_676:
	s_or_b64 exec, exec, s[10:11]
.LBB582_677:
	s_or_b64 exec, exec, s[8:9]
	s_movk_i32 s7, 0xff
	v_and_b32_sdwa v15, v9, s7 dst_sel:DWORD dst_unused:UNUSED_PAD src0_sel:WORD_1 src1_sel:DWORD
	v_lshrrev_b32_e32 v6, 16, v9
	v_cmp_ne_u16_e32 vcc, 0, v15
	s_and_saveexec_b64 s[8:9], vcc
	s_cbranch_execz .LBB582_683
; %bb.678:
	s_movk_i32 s7, 0x80
	v_cmp_ne_u16_e32 vcc, s7, v15
	v_bfrev_b32_e32 v8, 1
	s_and_saveexec_b64 s[10:11], vcc
	s_cbranch_execz .LBB582_682
; %bb.679:
	v_bfe_u32 v15, v9, 16, 7
	s_movk_i32 s7, 0x7f
	v_cmp_ne_u32_e32 vcc, s7, v15
	v_mov_b32_e32 v8, 0x7f800001
	s_and_saveexec_b64 s[12:13], vcc
	s_cbranch_execz .LBB582_681
; %bb.680:
	v_and_b32_e32 v8, 7, v6
	v_ffbh_u32_e32 v20, v8
	v_min_u32_e32 v24, 32, v20
	v_subrev_u32_e32 v20, 28, v24
	v_lshlrev_b64 v[20:21], v20, v[6:7]
	v_lshrrev_b32_e32 v23, 3, v15
	v_sub_u32_e32 v6, 29, v24
	v_and_b32_e32 v20, 7, v20
	v_cmp_gt_u32_e32 vcc, 8, v15
	v_mov_b32_e32 v15, 24
	v_cndmask_b32_e32 v6, v23, v6, vcc
	v_cndmask_b32_e32 v8, v8, v20, vcc
	v_lshlrev_b32_sdwa v15, v15, v9 dst_sel:DWORD dst_unused:UNUSED_PAD src0_sel:DWORD src1_sel:WORD_1
	v_bfrev_b32_e32 v20, 60
	v_lshlrev_b32_e32 v8, 20, v8
	v_and_b32_e32 v15, 0x80000000, v15
	v_lshl_add_u32 v6, v6, 23, v20
	v_or3_b32 v8, v15, v6, v8
.LBB582_681:
	s_or_b64 exec, exec, s[12:13]
.LBB582_682:
	s_or_b64 exec, exec, s[10:11]
.LBB582_683:
	s_or_b64 exec, exec, s[8:9]
	s_mov_b32 s7, 0xffffff
	v_cmp_lt_u32_e32 vcc, s7, v9
	v_mov_b32_e32 v15, 0
	v_mov_b32_e32 v20, 0
	s_and_saveexec_b64 s[8:9], vcc
	s_cbranch_execz .LBB582_689
; %bb.684:
	v_lshrrev_b32_e32 v6, 24, v9
	s_movk_i32 s7, 0x80
	v_cmp_ne_u32_e32 vcc, s7, v6
	v_bfrev_b32_e32 v20, 1
	s_and_saveexec_b64 s[10:11], vcc
	s_cbranch_execz .LBB582_688
; %bb.685:
	v_bfe_u32 v9, v9, 24, 7
	s_movk_i32 s7, 0x7f
	v_cmp_ne_u32_e32 vcc, s7, v9
	v_mov_b32_e32 v20, 0x7f800001
	s_and_saveexec_b64 s[12:13], vcc
	s_cbranch_execz .LBB582_687
; %bb.686:
	v_and_b32_e32 v23, 7, v6
	v_ffbh_u32_e32 v20, v23
	v_min_u32_e32 v25, 32, v20
	v_subrev_u32_e32 v20, 28, v25
	v_lshlrev_b64 v[20:21], v20, v[6:7]
	v_lshrrev_b32_e32 v24, 3, v9
	v_sub_u32_e32 v21, 29, v25
	v_and_b32_e32 v20, 7, v20
	v_cmp_gt_u32_e32 vcc, 8, v9
	v_cndmask_b32_e32 v9, v24, v21, vcc
	v_cndmask_b32_e32 v20, v23, v20, vcc
	v_lshlrev_b32_e32 v6, 24, v6
	v_bfrev_b32_e32 v21, 60
	v_lshlrev_b32_e32 v20, 20, v20
	v_and_b32_e32 v6, 0x80000000, v6
	v_lshl_add_u32 v9, v9, 23, v21
	v_or3_b32 v20, v6, v9, v20
.LBB582_687:
	s_or_b64 exec, exec, s[12:13]
.LBB582_688:
	s_or_b64 exec, exec, s[10:11]
.LBB582_689:
	s_or_b64 exec, exec, s[8:9]
	v_cvt_pkrtz_f16_f32 v6, v14, v16
	v_cvt_pkrtz_f16_f32 v7, v7, v18
	ds_read_b128 v[28:31], v22 offset:4112
	s_waitcnt vmcnt(0)
	v_cmp_ne_u16_sdwa s[10:11], v2, v15 src0_sel:BYTE_0 src1_sel:DWORD
	s_waitcnt lgkmcnt(0)
	v_mfma_f32_16x16x16f16 v[10:13], v[6:7], v[28:29], v[10:13]
	v_cvt_pkrtz_f16_f32 v6, v17, v19
	v_cvt_pkrtz_f16_f32 v7, v8, v20
	s_nop 1
	v_mfma_f32_16x16x16f16 v[6:9], v[6:7], v[30:31], v[10:13]
	s_and_saveexec_b64 s[8:9], s[10:11]
	s_cbranch_execz .LBB582_695
; %bb.690:
	s_movk_i32 s7, 0x80
	v_cmp_ne_u16_sdwa s[12:13], v2, s7 src0_sel:BYTE_0 src1_sel:DWORD
	v_bfrev_b32_e32 v15, 1
	s_and_saveexec_b64 s[10:11], s[12:13]
	s_cbranch_execz .LBB582_694
; %bb.691:
	s_movk_i32 s7, 0x7f
	v_and_b32_e32 v10, 0x7f, v2
	v_cmp_ne_u32_e32 vcc, s7, v10
	v_mov_b32_e32 v15, 0x7f800001
	s_and_saveexec_b64 s[12:13], vcc
	s_cbranch_execz .LBB582_693
; %bb.692:
	v_and_b32_e32 v11, 7, v2
	v_ffbh_u32_e32 v12, v11
	v_min_u32_e32 v15, 32, v12
	v_subrev_u32_e32 v12, 28, v15
	v_lshlrev_b64 v[12:13], v12, v[2:3]
	v_lshrrev_b32_e32 v14, 3, v10
	v_sub_u32_e32 v13, 29, v15
	v_and_b32_e32 v12, 7, v12
	v_cmp_gt_u32_e32 vcc, 8, v10
	v_cndmask_b32_e32 v10, v14, v13, vcc
	v_cndmask_b32_e32 v11, v11, v12, vcc
	v_lshlrev_b32_e32 v12, 24, v2
	v_bfrev_b32_e32 v13, 60
	v_lshlrev_b32_e32 v11, 20, v11
	v_and_b32_e32 v12, 0x80000000, v12
	v_lshl_add_u32 v10, v10, 23, v13
	v_or3_b32 v15, v12, v10, v11
.LBB582_693:
	s_or_b64 exec, exec, s[12:13]
.LBB582_694:
	s_or_b64 exec, exec, s[10:11]
.LBB582_695:
	s_or_b64 exec, exec, s[8:9]
	s_nop 3
	v_lshrrev_b16_e32 v10, 8, v2
	v_cmp_ne_u16_e32 vcc, 0, v10
	v_mov_b32_e32 v11, 0
	v_mov_b32_e32 v12, 0
	s_and_saveexec_b64 s[8:9], vcc
	s_cbranch_execz .LBB582_701
; %bb.696:
	s_movk_i32 s7, 0x80
	v_cmp_ne_u16_e32 vcc, s7, v10
	v_bfrev_b32_e32 v12, 1
	s_and_saveexec_b64 s[10:11], vcc
	s_cbranch_execz .LBB582_700
; %bb.697:
	s_movk_i32 s7, 0x7f
	v_and_b32_e32 v13, 0x7f, v10
	v_cmp_ne_u32_e32 vcc, s7, v13
	v_mov_b32_e32 v12, 0x7f800001
	s_and_saveexec_b64 s[12:13], vcc
	s_cbranch_execz .LBB582_699
; %bb.698:
	v_and_b32_e32 v12, 7, v10
	v_ffbh_u32_e32 v16, v12
	v_min_u32_e32 v18, 32, v16
	v_subrev_u32_e32 v16, 28, v18
	v_lshlrev_b64 v[16:17], v16, v[10:11]
	v_lshrrev_b32_e32 v14, 3, v13
	v_sub_u32_e32 v10, 29, v18
	v_and_b32_e32 v16, 7, v16
	v_cmp_gt_u32_e32 vcc, 8, v13
	v_cndmask_b32_e32 v10, v14, v10, vcc
	v_cndmask_b32_e32 v12, v12, v16, vcc
	v_lshlrev_b32_e32 v13, 16, v2
	v_bfrev_b32_e32 v14, 60
	v_lshlrev_b32_e32 v12, 20, v12
	v_and_b32_e32 v13, 0x80000000, v13
	v_lshl_add_u32 v10, v10, 23, v14
	v_or3_b32 v12, v13, v10, v12
.LBB582_699:
	s_or_b64 exec, exec, s[12:13]
.LBB582_700:
	s_or_b64 exec, exec, s[10:11]
.LBB582_701:
	s_or_b64 exec, exec, s[8:9]
	s_movk_i32 s7, 0xff
	v_and_b32_sdwa v13, v2, s7 dst_sel:DWORD dst_unused:UNUSED_PAD src0_sel:WORD_1 src1_sel:DWORD
	v_lshrrev_b32_e32 v10, 16, v2
	v_cmp_ne_u16_e32 vcc, 0, v13
	s_and_saveexec_b64 s[8:9], vcc
	s_cbranch_execz .LBB582_707
; %bb.702:
	s_movk_i32 s7, 0x80
	v_cmp_ne_u16_e32 vcc, s7, v13
	v_bfrev_b32_e32 v11, 1
	s_and_saveexec_b64 s[10:11], vcc
	s_cbranch_execz .LBB582_706
; %bb.703:
	v_bfe_u32 v13, v2, 16, 7
	s_movk_i32 s7, 0x7f
	v_cmp_ne_u32_e32 vcc, s7, v13
	v_mov_b32_e32 v11, 0x7f800001
	s_and_saveexec_b64 s[12:13], vcc
	s_cbranch_execz .LBB582_705
; %bb.704:
	v_and_b32_e32 v14, 7, v10
	v_ffbh_u32_e32 v11, v14
	v_min_u32_e32 v17, 32, v11
	v_subrev_u32_e32 v11, 28, v17
	v_lshlrev_b64 v[10:11], v11, v[10:11]
	v_lshrrev_b32_e32 v16, 3, v13
	v_sub_u32_e32 v11, 29, v17
	v_and_b32_e32 v10, 7, v10
	v_cmp_gt_u32_e32 vcc, 8, v13
	v_mov_b32_e32 v13, 24
	v_cndmask_b32_e32 v11, v16, v11, vcc
	v_cndmask_b32_e32 v10, v14, v10, vcc
	v_lshlrev_b32_sdwa v13, v13, v2 dst_sel:DWORD dst_unused:UNUSED_PAD src0_sel:DWORD src1_sel:WORD_1
	v_bfrev_b32_e32 v14, 60
	v_lshlrev_b32_e32 v10, 20, v10
	v_and_b32_e32 v13, 0x80000000, v13
	v_lshl_add_u32 v11, v11, 23, v14
	v_or3_b32 v11, v13, v11, v10
.LBB582_705:
	s_or_b64 exec, exec, s[12:13]
.LBB582_706:
	s_or_b64 exec, exec, s[10:11]
.LBB582_707:
	s_or_b64 exec, exec, s[8:9]
	s_mov_b32 s7, 0xffffff
	v_cmp_lt_u32_e32 vcc, s7, v2
	v_mov_b32_e32 v13, 0
	v_mov_b32_e32 v14, 0
	s_and_saveexec_b64 s[8:9], vcc
	s_cbranch_execz .LBB582_713
; %bb.708:
	v_lshrrev_b32_e32 v10, 24, v2
	s_movk_i32 s7, 0x80
	v_cmp_ne_u32_e32 vcc, s7, v10
	v_bfrev_b32_e32 v14, 1
	s_and_saveexec_b64 s[10:11], vcc
	s_cbranch_execz .LBB582_712
; %bb.709:
	v_bfe_u32 v2, v2, 24, 7
	s_movk_i32 s7, 0x7f
	v_cmp_ne_u32_e32 vcc, s7, v2
	v_mov_b32_e32 v14, 0x7f800001
	s_and_saveexec_b64 s[12:13], vcc
	s_cbranch_execz .LBB582_711
; %bb.710:
	v_and_b32_e32 v14, 7, v10
	v_ffbh_u32_e32 v16, v14
	v_min_u32_e32 v19, 32, v16
	v_subrev_u32_e32 v16, 28, v19
	v_lshlrev_b64 v[16:17], v16, v[10:11]
	v_lshrrev_b32_e32 v18, 3, v2
	v_sub_u32_e32 v17, 29, v19
	v_and_b32_e32 v16, 7, v16
	v_cmp_gt_u32_e32 vcc, 8, v2
	v_cndmask_b32_e32 v2, v18, v17, vcc
	v_cndmask_b32_e32 v14, v14, v16, vcc
	v_lshlrev_b32_e32 v10, 24, v10
	v_bfrev_b32_e32 v16, 60
	v_lshlrev_b32_e32 v14, 20, v14
	v_and_b32_e32 v10, 0x80000000, v10
	v_lshl_add_u32 v2, v2, 23, v16
	v_or3_b32 v14, v10, v2, v14
.LBB582_711:
	s_or_b64 exec, exec, s[12:13]
.LBB582_712:
	s_or_b64 exec, exec, s[10:11]
.LBB582_713:
	s_or_b64 exec, exec, s[8:9]
	v_cmp_ne_u16_sdwa s[10:11], v3, v13 src0_sel:BYTE_0 src1_sel:DWORD
	s_and_saveexec_b64 s[8:9], s[10:11]
	s_cbranch_execz .LBB582_719
; %bb.714:
	s_movk_i32 s7, 0x80
	v_cmp_ne_u16_sdwa s[12:13], v3, s7 src0_sel:BYTE_0 src1_sel:DWORD
	v_bfrev_b32_e32 v13, 1
	s_and_saveexec_b64 s[10:11], s[12:13]
	s_cbranch_execz .LBB582_718
; %bb.715:
	s_movk_i32 s7, 0x7f
	v_and_b32_e32 v2, 0x7f, v3
	v_cmp_ne_u32_e32 vcc, s7, v2
	v_mov_b32_e32 v13, 0x7f800001
	s_and_saveexec_b64 s[12:13], vcc
	s_cbranch_execz .LBB582_717
; %bb.716:
	v_and_b32_e32 v13, 7, v3
	v_ffbh_u32_e32 v16, v13
	v_min_u32_e32 v19, 32, v16
	v_mov_b32_e32 v10, v3
	v_subrev_u32_e32 v16, 28, v19
	v_lshlrev_b64 v[16:17], v16, v[10:11]
	v_lshrrev_b32_e32 v18, 3, v2
	v_sub_u32_e32 v10, 29, v19
	v_and_b32_e32 v16, 7, v16
	v_cmp_gt_u32_e32 vcc, 8, v2
	v_cndmask_b32_e32 v2, v18, v10, vcc
	v_cndmask_b32_e32 v10, v13, v16, vcc
	v_lshlrev_b32_e32 v13, 24, v3
	v_bfrev_b32_e32 v16, 60
	v_lshlrev_b32_e32 v10, 20, v10
	v_and_b32_e32 v13, 0x80000000, v13
	v_lshl_add_u32 v2, v2, 23, v16
	v_or3_b32 v13, v13, v2, v10
.LBB582_717:
	s_or_b64 exec, exec, s[12:13]
.LBB582_718:
	s_or_b64 exec, exec, s[10:11]
.LBB582_719:
	s_or_b64 exec, exec, s[8:9]
	v_lshrrev_b16_e32 v2, 8, v3
	v_cmp_ne_u16_e32 vcc, 0, v2
	v_mov_b32_e32 v16, 0
	v_mov_b32_e32 v17, 0
	s_and_saveexec_b64 s[8:9], vcc
	s_cbranch_execz .LBB582_725
; %bb.720:
	s_movk_i32 s7, 0x80
	v_cmp_ne_u16_e32 vcc, s7, v2
	v_bfrev_b32_e32 v17, 1
	s_and_saveexec_b64 s[10:11], vcc
	s_cbranch_execz .LBB582_724
; %bb.721:
	s_movk_i32 s7, 0x7f
	v_and_b32_e32 v10, 0x7f, v2
	v_cmp_ne_u32_e32 vcc, s7, v10
	v_mov_b32_e32 v17, 0x7f800001
	s_and_saveexec_b64 s[12:13], vcc
	s_cbranch_execz .LBB582_723
; %bb.722:
	v_and_b32_e32 v17, 7, v2
	v_ffbh_u32_e32 v18, v17
	v_min_u32_e32 v21, 32, v18
	v_subrev_u32_e32 v18, 28, v21
	v_lshlrev_b64 v[18:19], v18, v[2:3]
	v_lshrrev_b32_e32 v20, 3, v10
	v_sub_u32_e32 v2, 29, v21
	v_and_b32_e32 v18, 7, v18
	v_cmp_gt_u32_e32 vcc, 8, v10
	v_cndmask_b32_e32 v2, v20, v2, vcc
	v_cndmask_b32_e32 v10, v17, v18, vcc
	v_lshlrev_b32_e32 v17, 16, v3
	v_bfrev_b32_e32 v18, 60
	v_lshlrev_b32_e32 v10, 20, v10
	v_and_b32_e32 v17, 0x80000000, v17
	v_lshl_add_u32 v2, v2, 23, v18
	v_or3_b32 v17, v17, v2, v10
.LBB582_723:
	s_or_b64 exec, exec, s[12:13]
.LBB582_724:
	s_or_b64 exec, exec, s[10:11]
.LBB582_725:
	s_or_b64 exec, exec, s[8:9]
	s_movk_i32 s7, 0xff
	v_and_b32_sdwa v10, v3, s7 dst_sel:DWORD dst_unused:UNUSED_PAD src0_sel:WORD_1 src1_sel:DWORD
	v_lshrrev_b32_e32 v2, 16, v3
	v_cmp_ne_u16_e32 vcc, 0, v10
	s_and_saveexec_b64 s[8:9], vcc
	s_cbranch_execz .LBB582_731
; %bb.726:
	s_movk_i32 s7, 0x80
	v_cmp_ne_u16_e32 vcc, s7, v10
	v_bfrev_b32_e32 v16, 1
	s_and_saveexec_b64 s[10:11], vcc
	s_cbranch_execz .LBB582_730
; %bb.727:
	v_bfe_u32 v10, v3, 16, 7
	s_movk_i32 s7, 0x7f
	v_cmp_ne_u32_e32 vcc, s7, v10
	v_mov_b32_e32 v16, 0x7f800001
	s_and_saveexec_b64 s[12:13], vcc
	s_cbranch_execz .LBB582_729
; %bb.728:
	v_and_b32_e32 v16, 7, v2
	v_ffbh_u32_e32 v18, v16
	v_min_u32_e32 v21, 32, v18
	v_subrev_u32_e32 v18, 28, v21
	v_lshlrev_b64 v[18:19], v18, v[2:3]
	v_and_b32_e32 v18, 7, v18
	v_cmp_gt_u32_e32 vcc, 8, v10
	v_lshrrev_b32_e32 v20, 3, v10
	v_sub_u32_e32 v2, 29, v21
	v_cndmask_b32_e32 v10, v16, v18, vcc
	v_mov_b32_e32 v16, 24
	v_cndmask_b32_e32 v2, v20, v2, vcc
	v_lshlrev_b32_sdwa v16, v16, v3 dst_sel:DWORD dst_unused:UNUSED_PAD src0_sel:DWORD src1_sel:WORD_1
	v_bfrev_b32_e32 v18, 60
	v_lshlrev_b32_e32 v10, 20, v10
	v_and_b32_e32 v16, 0x80000000, v16
	v_lshl_add_u32 v2, v2, 23, v18
	v_or3_b32 v16, v16, v2, v10
.LBB582_729:
	s_or_b64 exec, exec, s[12:13]
.LBB582_730:
	s_or_b64 exec, exec, s[10:11]
.LBB582_731:
	s_or_b64 exec, exec, s[8:9]
	s_mov_b32 s7, 0xffffff
	v_cmp_lt_u32_e32 vcc, s7, v3
	v_mov_b32_e32 v10, 0
	v_mov_b32_e32 v18, 0
	s_and_saveexec_b64 s[8:9], vcc
	s_cbranch_execz .LBB582_737
; %bb.732:
	v_lshrrev_b32_e32 v2, 24, v3
	s_movk_i32 s7, 0x80
	v_cmp_ne_u32_e32 vcc, s7, v2
	v_bfrev_b32_e32 v18, 1
	s_and_saveexec_b64 s[10:11], vcc
	s_cbranch_execz .LBB582_736
; %bb.733:
	v_bfe_u32 v3, v3, 24, 7
	s_movk_i32 s7, 0x7f
	v_cmp_ne_u32_e32 vcc, s7, v3
	v_mov_b32_e32 v18, 0x7f800001
	s_and_saveexec_b64 s[12:13], vcc
	s_cbranch_execz .LBB582_735
; %bb.734:
	v_and_b32_e32 v20, 7, v2
	v_ffbh_u32_e32 v18, v20
	v_min_u32_e32 v23, 32, v18
	v_subrev_u32_e32 v18, 28, v23
	v_lshlrev_b64 v[18:19], v18, v[2:3]
	v_lshrrev_b32_e32 v21, 3, v3
	v_sub_u32_e32 v19, 29, v23
	v_and_b32_e32 v18, 7, v18
	v_cmp_gt_u32_e32 vcc, 8, v3
	v_cndmask_b32_e32 v3, v21, v19, vcc
	v_cndmask_b32_e32 v18, v20, v18, vcc
	v_lshlrev_b32_e32 v2, 24, v2
	v_bfrev_b32_e32 v19, 60
	v_lshlrev_b32_e32 v18, 20, v18
	v_and_b32_e32 v2, 0x80000000, v2
	v_lshl_add_u32 v3, v3, 23, v19
	v_or3_b32 v18, v2, v3, v18
.LBB582_735:
	s_or_b64 exec, exec, s[12:13]
.LBB582_736:
	s_or_b64 exec, exec, s[10:11]
.LBB582_737:
	s_or_b64 exec, exec, s[8:9]
	v_cvt_pkrtz_f16_f32 v2, v15, v12
	v_cvt_pkrtz_f16_f32 v3, v11, v14
	ds_read_b128 v[28:31], v22 offset:6144
	v_cmp_ne_u16_sdwa s[10:11], v4, v10 src0_sel:BYTE_0 src1_sel:DWORD
	s_waitcnt lgkmcnt(0)
	v_mfma_f32_16x16x16f16 v[6:9], v[2:3], v[28:29], v[6:9]
	v_cvt_pkrtz_f16_f32 v2, v13, v17
	v_cvt_pkrtz_f16_f32 v3, v16, v18
	s_nop 1
	v_mfma_f32_16x16x16f16 v[6:9], v[2:3], v[30:31], v[6:9]
	s_and_saveexec_b64 s[8:9], s[10:11]
	s_cbranch_execz .LBB582_743
; %bb.738:
	s_movk_i32 s7, 0x80
	v_cmp_ne_u16_sdwa s[12:13], v4, s7 src0_sel:BYTE_0 src1_sel:DWORD
	v_bfrev_b32_e32 v10, 1
	s_and_saveexec_b64 s[10:11], s[12:13]
	s_cbranch_execz .LBB582_742
; %bb.739:
	s_movk_i32 s7, 0x7f
	v_and_b32_e32 v2, 0x7f, v4
	v_cmp_ne_u32_e32 vcc, s7, v2
	v_mov_b32_e32 v10, 0x7f800001
	s_and_saveexec_b64 s[12:13], vcc
	s_cbranch_execz .LBB582_741
; %bb.740:
	v_and_b32_e32 v3, 7, v4
	v_ffbh_u32_e32 v10, v3
	v_min_u32_e32 v13, 32, v10
	v_subrev_u32_e32 v10, 28, v13
	v_lshlrev_b64 v[10:11], v10, v[4:5]
	v_lshrrev_b32_e32 v12, 3, v2
	v_sub_u32_e32 v11, 29, v13
	v_and_b32_e32 v10, 7, v10
	v_cmp_gt_u32_e32 vcc, 8, v2
	v_cndmask_b32_e32 v2, v12, v11, vcc
	v_cndmask_b32_e32 v3, v3, v10, vcc
	v_lshlrev_b32_e32 v10, 24, v4
	v_bfrev_b32_e32 v11, 60
	v_lshlrev_b32_e32 v3, 20, v3
	v_and_b32_e32 v10, 0x80000000, v10
	v_lshl_add_u32 v2, v2, 23, v11
	v_or3_b32 v10, v10, v2, v3
.LBB582_741:
	s_or_b64 exec, exec, s[12:13]
.LBB582_742:
	s_or_b64 exec, exec, s[10:11]
.LBB582_743:
	s_or_b64 exec, exec, s[8:9]
	v_lshrrev_b16_e32 v2, 8, v4
	v_cmp_ne_u16_e32 vcc, 0, v2
	v_mov_b32_e32 v3, 0
	v_mov_b32_e32 v11, 0
	s_and_saveexec_b64 s[8:9], vcc
	s_cbranch_execz .LBB582_749
; %bb.744:
	s_movk_i32 s7, 0x80
	v_cmp_ne_u16_e32 vcc, s7, v2
	v_bfrev_b32_e32 v11, 1
	s_and_saveexec_b64 s[10:11], vcc
	s_cbranch_execz .LBB582_748
; %bb.745:
	s_movk_i32 s7, 0x7f
	v_and_b32_e32 v12, 0x7f, v2
	v_cmp_ne_u32_e32 vcc, s7, v12
	v_mov_b32_e32 v11, 0x7f800001
	s_and_saveexec_b64 s[12:13], vcc
	s_cbranch_execz .LBB582_747
; %bb.746:
	v_and_b32_e32 v11, 7, v2
	v_ffbh_u32_e32 v14, v11
	v_min_u32_e32 v16, 32, v14
	v_subrev_u32_e32 v14, 28, v16
	v_lshlrev_b64 v[14:15], v14, v[2:3]
	v_lshrrev_b32_e32 v13, 3, v12
	v_sub_u32_e32 v2, 29, v16
	v_and_b32_e32 v14, 7, v14
	v_cmp_gt_u32_e32 vcc, 8, v12
	v_cndmask_b32_e32 v2, v13, v2, vcc
	v_cndmask_b32_e32 v11, v11, v14, vcc
	v_lshlrev_b32_e32 v12, 16, v4
	v_bfrev_b32_e32 v13, 60
	v_lshlrev_b32_e32 v11, 20, v11
	v_and_b32_e32 v12, 0x80000000, v12
	v_lshl_add_u32 v2, v2, 23, v13
	v_or3_b32 v11, v12, v2, v11
.LBB582_747:
	s_or_b64 exec, exec, s[12:13]
.LBB582_748:
	s_or_b64 exec, exec, s[10:11]
.LBB582_749:
	s_or_b64 exec, exec, s[8:9]
	s_movk_i32 s7, 0xff
	v_and_b32_sdwa v12, v4, s7 dst_sel:DWORD dst_unused:UNUSED_PAD src0_sel:WORD_1 src1_sel:DWORD
	v_lshrrev_b32_e32 v2, 16, v4
	v_cmp_ne_u16_e32 vcc, 0, v12
	s_and_saveexec_b64 s[8:9], vcc
	s_cbranch_execz .LBB582_755
; %bb.750:
	s_movk_i32 s7, 0x80
	v_cmp_ne_u16_e32 vcc, s7, v12
	v_bfrev_b32_e32 v3, 1
	s_and_saveexec_b64 s[10:11], vcc
	s_cbranch_execz .LBB582_754
; %bb.751:
	v_bfe_u32 v12, v4, 16, 7
	s_movk_i32 s7, 0x7f
	v_cmp_ne_u32_e32 vcc, s7, v12
	v_mov_b32_e32 v3, 0x7f800001
	s_and_saveexec_b64 s[12:13], vcc
	s_cbranch_execz .LBB582_753
; %bb.752:
	v_and_b32_e32 v13, 7, v2
	v_ffbh_u32_e32 v3, v13
	v_min_u32_e32 v15, 32, v3
	v_subrev_u32_e32 v3, 28, v15
	v_lshlrev_b64 v[2:3], v3, v[2:3]
	v_lshrrev_b32_e32 v14, 3, v12
	v_sub_u32_e32 v3, 29, v15
	v_and_b32_e32 v2, 7, v2
	v_cmp_gt_u32_e32 vcc, 8, v12
	v_mov_b32_e32 v12, 24
	v_cndmask_b32_e32 v3, v14, v3, vcc
	v_cndmask_b32_e32 v2, v13, v2, vcc
	v_lshlrev_b32_sdwa v12, v12, v4 dst_sel:DWORD dst_unused:UNUSED_PAD src0_sel:DWORD src1_sel:WORD_1
	v_bfrev_b32_e32 v13, 60
	v_lshlrev_b32_e32 v2, 20, v2
	v_and_b32_e32 v12, 0x80000000, v12
	v_lshl_add_u32 v3, v3, 23, v13
	v_or3_b32 v3, v12, v3, v2
.LBB582_753:
	s_or_b64 exec, exec, s[12:13]
.LBB582_754:
	s_or_b64 exec, exec, s[10:11]
.LBB582_755:
	s_or_b64 exec, exec, s[8:9]
	s_mov_b32 s7, 0xffffff
	v_cmp_lt_u32_e32 vcc, s7, v4
	v_mov_b32_e32 v12, 0
	v_mov_b32_e32 v13, 0
	s_and_saveexec_b64 s[8:9], vcc
	s_cbranch_execz .LBB582_761
; %bb.756:
	v_lshrrev_b32_e32 v2, 24, v4
	s_movk_i32 s7, 0x80
	v_cmp_ne_u32_e32 vcc, s7, v2
	v_bfrev_b32_e32 v13, 1
	s_and_saveexec_b64 s[10:11], vcc
	s_cbranch_execz .LBB582_760
; %bb.757:
	v_bfe_u32 v4, v4, 24, 7
	s_movk_i32 s7, 0x7f
	v_cmp_ne_u32_e32 vcc, s7, v4
	v_mov_b32_e32 v13, 0x7f800001
	s_and_saveexec_b64 s[12:13], vcc
	s_cbranch_execz .LBB582_759
; %bb.758:
	v_and_b32_e32 v13, 7, v2
	v_ffbh_u32_e32 v14, v13
	v_min_u32_e32 v17, 32, v14
	v_subrev_u32_e32 v14, 28, v17
	v_lshlrev_b64 v[14:15], v14, v[2:3]
	v_lshrrev_b32_e32 v16, 3, v4
	v_sub_u32_e32 v15, 29, v17
	v_and_b32_e32 v14, 7, v14
	v_cmp_gt_u32_e32 vcc, 8, v4
	v_cndmask_b32_e32 v4, v16, v15, vcc
	v_cndmask_b32_e32 v13, v13, v14, vcc
	v_lshlrev_b32_e32 v2, 24, v2
	v_bfrev_b32_e32 v14, 60
	v_lshlrev_b32_e32 v13, 20, v13
	v_and_b32_e32 v2, 0x80000000, v2
	v_lshl_add_u32 v4, v4, 23, v14
	v_or3_b32 v13, v2, v4, v13
.LBB582_759:
	s_or_b64 exec, exec, s[12:13]
.LBB582_760:
	s_or_b64 exec, exec, s[10:11]
.LBB582_761:
	s_or_b64 exec, exec, s[8:9]
	v_cmp_ne_u16_sdwa s[10:11], v5, v12 src0_sel:BYTE_0 src1_sel:DWORD
	s_and_saveexec_b64 s[8:9], s[10:11]
	s_cbranch_execz .LBB582_767
; %bb.762:
	s_movk_i32 s7, 0x80
	v_cmp_ne_u16_sdwa s[12:13], v5, s7 src0_sel:BYTE_0 src1_sel:DWORD
	v_bfrev_b32_e32 v12, 1
	s_and_saveexec_b64 s[10:11], s[12:13]
	s_cbranch_execz .LBB582_766
; %bb.763:
	s_movk_i32 s7, 0x7f
	v_and_b32_e32 v2, 0x7f, v5
	v_cmp_ne_u32_e32 vcc, s7, v2
	v_mov_b32_e32 v12, 0x7f800001
	s_and_saveexec_b64 s[12:13], vcc
	s_cbranch_execz .LBB582_765
; %bb.764:
	v_and_b32_e32 v12, 7, v5
	v_ffbh_u32_e32 v14, v12
	v_min_u32_e32 v17, 32, v14
	v_mov_b32_e32 v4, v5
	v_subrev_u32_e32 v14, 28, v17
	v_lshlrev_b64 v[14:15], v14, v[4:5]
	v_lshrrev_b32_e32 v16, 3, v2
	v_sub_u32_e32 v4, 29, v17
	v_and_b32_e32 v14, 7, v14
	v_cmp_gt_u32_e32 vcc, 8, v2
	v_cndmask_b32_e32 v2, v16, v4, vcc
	v_cndmask_b32_e32 v4, v12, v14, vcc
	v_lshlrev_b32_e32 v12, 24, v5
	v_bfrev_b32_e32 v14, 60
	v_lshlrev_b32_e32 v4, 20, v4
	v_and_b32_e32 v12, 0x80000000, v12
	v_lshl_add_u32 v2, v2, 23, v14
	v_or3_b32 v12, v12, v2, v4
.LBB582_765:
	s_or_b64 exec, exec, s[12:13]
.LBB582_766:
	s_or_b64 exec, exec, s[10:11]
.LBB582_767:
	s_or_b64 exec, exec, s[8:9]
	v_lshrrev_b16_e32 v2, 8, v5
	v_cmp_ne_u16_e32 vcc, 0, v2
	v_mov_b32_e32 v4, 0
	v_mov_b32_e32 v14, 0
	s_and_saveexec_b64 s[8:9], vcc
	s_cbranch_execz .LBB582_773
; %bb.768:
	s_movk_i32 s7, 0x80
	v_cmp_ne_u16_e32 vcc, s7, v2
	v_bfrev_b32_e32 v14, 1
	s_and_saveexec_b64 s[10:11], vcc
	s_cbranch_execz .LBB582_772
; %bb.769:
	s_movk_i32 s7, 0x7f
	v_and_b32_e32 v15, 0x7f, v2
	v_cmp_ne_u32_e32 vcc, s7, v15
	v_mov_b32_e32 v14, 0x7f800001
	s_and_saveexec_b64 s[12:13], vcc
	s_cbranch_execz .LBB582_771
; %bb.770:
	v_and_b32_e32 v14, 7, v2
	v_ffbh_u32_e32 v16, v14
	v_min_u32_e32 v19, 32, v16
	v_subrev_u32_e32 v16, 28, v19
	v_lshlrev_b64 v[16:17], v16, v[2:3]
	v_lshrrev_b32_e32 v18, 3, v15
	v_sub_u32_e32 v2, 29, v19
	v_and_b32_e32 v16, 7, v16
	v_cmp_gt_u32_e32 vcc, 8, v15
	v_cndmask_b32_e32 v2, v18, v2, vcc
	v_cndmask_b32_e32 v14, v14, v16, vcc
	v_lshlrev_b32_e32 v15, 16, v5
	v_bfrev_b32_e32 v16, 60
	v_lshlrev_b32_e32 v14, 20, v14
	v_and_b32_e32 v15, 0x80000000, v15
	v_lshl_add_u32 v2, v2, 23, v16
	v_or3_b32 v14, v15, v2, v14
.LBB582_771:
	s_or_b64 exec, exec, s[12:13]
.LBB582_772:
	s_or_b64 exec, exec, s[10:11]
.LBB582_773:
	s_or_b64 exec, exec, s[8:9]
	s_movk_i32 s7, 0xff
	v_and_b32_sdwa v15, v5, s7 dst_sel:DWORD dst_unused:UNUSED_PAD src0_sel:WORD_1 src1_sel:DWORD
	v_lshrrev_b32_e32 v2, 16, v5
	v_cmp_ne_u16_e32 vcc, 0, v15
	s_and_saveexec_b64 s[8:9], vcc
	s_cbranch_execz .LBB582_779
; %bb.774:
	s_movk_i32 s7, 0x80
	v_cmp_ne_u16_e32 vcc, s7, v15
	v_bfrev_b32_e32 v4, 1
	s_and_saveexec_b64 s[10:11], vcc
	s_cbranch_execz .LBB582_778
; %bb.775:
	v_bfe_u32 v15, v5, 16, 7
	s_movk_i32 s7, 0x7f
	v_cmp_ne_u32_e32 vcc, s7, v15
	v_mov_b32_e32 v4, 0x7f800001
	s_and_saveexec_b64 s[12:13], vcc
	s_cbranch_execz .LBB582_777
; %bb.776:
	v_and_b32_e32 v4, 7, v2
	v_ffbh_u32_e32 v16, v4
	v_min_u32_e32 v19, 32, v16
	v_subrev_u32_e32 v16, 28, v19
	v_lshlrev_b64 v[16:17], v16, v[2:3]
	v_lshrrev_b32_e32 v18, 3, v15
	v_sub_u32_e32 v2, 29, v19
	v_and_b32_e32 v16, 7, v16
	v_cmp_gt_u32_e32 vcc, 8, v15
	v_mov_b32_e32 v15, 24
	v_cndmask_b32_e32 v2, v18, v2, vcc
	v_cndmask_b32_e32 v4, v4, v16, vcc
	v_lshlrev_b32_sdwa v15, v15, v5 dst_sel:DWORD dst_unused:UNUSED_PAD src0_sel:DWORD src1_sel:WORD_1
	v_bfrev_b32_e32 v16, 60
	v_lshlrev_b32_e32 v4, 20, v4
	v_and_b32_e32 v15, 0x80000000, v15
	v_lshl_add_u32 v2, v2, 23, v16
	v_or3_b32 v4, v15, v2, v4
.LBB582_777:
	s_or_b64 exec, exec, s[12:13]
.LBB582_778:
	s_or_b64 exec, exec, s[10:11]
.LBB582_779:
	s_or_b64 exec, exec, s[8:9]
	s_mov_b32 s7, 0xffffff
	v_cmp_lt_u32_e32 vcc, s7, v5
	v_mov_b32_e32 v15, 0
	s_and_saveexec_b64 s[8:9], vcc
	s_cbranch_execz .LBB582_785
; %bb.780:
	v_lshrrev_b32_e32 v2, 24, v5
	s_movk_i32 s7, 0x80
	v_cmp_ne_u32_e32 vcc, s7, v2
	v_bfrev_b32_e32 v15, 1
	s_and_saveexec_b64 s[10:11], vcc
	s_cbranch_execz .LBB582_784
; %bb.781:
	v_bfe_u32 v5, v5, 24, 7
	s_movk_i32 s7, 0x7f
	v_cmp_ne_u32_e32 vcc, s7, v5
	v_mov_b32_e32 v15, 0x7f800001
	s_and_saveexec_b64 s[12:13], vcc
	s_cbranch_execz .LBB582_783
; %bb.782:
	v_and_b32_e32 v15, 7, v2
	v_ffbh_u32_e32 v16, v15
	v_min_u32_e32 v19, 32, v16
	v_subrev_u32_e32 v16, 28, v19
	v_lshlrev_b64 v[16:17], v16, v[2:3]
	v_lshrrev_b32_e32 v18, 3, v5
	v_sub_u32_e32 v17, 29, v19
	v_and_b32_e32 v16, 7, v16
	v_cmp_gt_u32_e32 vcc, 8, v5
	v_cndmask_b32_e32 v5, v18, v17, vcc
	v_cndmask_b32_e32 v15, v15, v16, vcc
	v_lshlrev_b32_e32 v2, 24, v2
	v_bfrev_b32_e32 v16, 60
	v_lshlrev_b32_e32 v15, 20, v15
	v_and_b32_e32 v2, 0x80000000, v2
	v_lshl_add_u32 v5, v5, 23, v16
	v_or3_b32 v15, v2, v5, v15
.LBB582_783:
	s_or_b64 exec, exec, s[12:13]
.LBB582_784:
	s_or_b64 exec, exec, s[10:11]
.LBB582_785:
	s_or_b64 exec, exec, s[8:9]
	v_cvt_pkrtz_f16_f32 v2, v10, v11
	v_cvt_pkrtz_f16_f32 v3, v3, v13
	ds_read_b128 v[16:19], v22 offset:6160
	s_load_dword s8, s[42:43], 0x0
	v_cmp_gt_u32_e32 vcc, 64, v0
	s_waitcnt lgkmcnt(0)
	v_mfma_f32_16x16x16f16 v[6:9], v[2:3], v[16:17], v[6:9]
	v_cvt_pkrtz_f16_f32 v2, v12, v14
	v_cvt_pkrtz_f16_f32 v3, v4, v15
	s_and_b64 s[0:1], vcc, s[0:1]
	s_barrier
	v_mfma_f32_16x16x16f16 v[2:5], v[2:3], v[18:19], v[6:9]
	s_nop 7
	s_nop 2
	v_pk_mul_f32 v[4:5], v[4:5], s[8:9] op_sel_hi:[1,0]
	v_pk_mul_f32 v[2:3], v[2:3], s[8:9] op_sel_hi:[1,0]
	v_cvt_f16_f32_e32 v2, v2
	v_cvt_f16_f32_e32 v3, v3
	;; [unrolled: 1-line block ×4, first 2 shown]
	v_pack_b32_f16 v2, v2, v3
	v_pack_b32_f16 v3, v4, v5
	ds_write_b64 v26, v[2:3]
	s_waitcnt lgkmcnt(0)
	s_barrier
	s_and_saveexec_b64 s[8:9], s[0:1]
	s_cbranch_execz .LBB582_788
; %bb.786:
	s_load_dwordx2 s[4:5], s[4:5], 0x68
	s_lshl_b32 s0, s44, 6
	s_mul_i32 s1, s14, s6
	s_mul_hi_u32 s9, s1, s0
	s_mul_i32 s8, s1, s0
	s_lshl_b64 s[8:9], s[8:9], 1
	s_waitcnt lgkmcnt(0)
	s_add_u32 s1, s4, s8
	v_lshlrev_b32_e32 v0, 10, v0
	s_mov_b32 s7, 0
	s_addc_u32 s8, s5, s9
	s_lshl_b32 s6, s24, 6
	v_and_b32_e32 v0, 0x1800, v0
	v_lshlrev_b32_e32 v2, 5, v1
	v_and_b32_e32 v3, 16, v47
	s_lshl_b64 s[4:5], s[6:7], 1
	v_or3_b32 v0, v0, v2, v3
	s_add_u32 s1, s1, s4
	s_addc_u32 s4, s8, s5
	ds_read_b128 v[4:7], v0 offset:128
	ds_read_b128 v[8:11], v0
	v_add_u32_e32 v14, s25, v1
	v_mov_b32_e32 v3, s4
	v_add_co_u32_e32 v2, vcc, s1, v46
	v_mad_u64_u32 v[12:13], s[4:5], v14, s0, 0
	v_addc_co_u32_e32 v3, vcc, 0, v3, vcc
	v_lshlrev_b64 v[12:13], 1, v[12:13]
	v_add_co_u32_e32 v12, vcc, v2, v12
	v_addc_co_u32_e32 v13, vcc, v3, v13, vcc
	s_waitcnt lgkmcnt(0)
	global_store_dwordx4 v[12:13], v[8:11], off
	s_nop 0
	v_add_u32_e32 v8, 4, v14
	v_mad_u64_u32 v[8:9], s[4:5], v8, s0, 0
	v_lshlrev_b64 v[8:9], 1, v[8:9]
	v_add_co_u32_e32 v8, vcc, v2, v8
	v_addc_co_u32_e32 v9, vcc, v3, v9, vcc
	global_store_dwordx4 v[8:9], v[4:7], off
	s_and_b64 exec, exec, s[2:3]
	s_cbranch_execz .LBB582_788
; %bb.787:
	ds_read_b128 v[4:7], v0 offset:256
	v_add3_u32 v0, s25, v1, 8
	v_mad_u64_u32 v[0:1], s[0:1], v0, s0, 0
	v_lshlrev_b64 v[0:1], 1, v[0:1]
	v_add_co_u32_e32 v0, vcc, v2, v0
	v_addc_co_u32_e32 v1, vcc, v3, v1, vcc
	s_waitcnt lgkmcnt(0)
	global_store_dwordx4 v[0:1], v[4:7], off
.LBB582_788:
	s_endpgm
	.section	.rodata,"a",@progbits
	.p2align	6, 0x0
	.amdhsa_kernel _Z39paged_attention_ll4mi_QKV_mfma16_kernelIDF16_hLN4vllm18Fp8KVCacheDataTypeE1EDF16_Li32ELi64ELi256ELb1ELi9EL8MFMAType0EEvPKT_PKT0_S8_ifPKiSA_SA_iPKfiiiPfSD_PS3_PT2_iSC_SC_
		.amdhsa_group_segment_fixed_size 8192
		.amdhsa_private_segment_fixed_size 0
		.amdhsa_kernarg_size 400
		.amdhsa_user_sgpr_count 6
		.amdhsa_user_sgpr_private_segment_buffer 1
		.amdhsa_user_sgpr_dispatch_ptr 0
		.amdhsa_user_sgpr_queue_ptr 0
		.amdhsa_user_sgpr_kernarg_segment_ptr 1
		.amdhsa_user_sgpr_dispatch_id 0
		.amdhsa_user_sgpr_flat_scratch_init 0
		.amdhsa_user_sgpr_kernarg_preload_length 0
		.amdhsa_user_sgpr_kernarg_preload_offset 0
		.amdhsa_user_sgpr_private_segment_size 0
		.amdhsa_uses_dynamic_stack 0
		.amdhsa_system_sgpr_private_segment_wavefront_offset 0
		.amdhsa_system_sgpr_workgroup_id_x 1
		.amdhsa_system_sgpr_workgroup_id_y 1
		.amdhsa_system_sgpr_workgroup_id_z 1
		.amdhsa_system_sgpr_workgroup_info 0
		.amdhsa_system_vgpr_workitem_id 0
		.amdhsa_next_free_vgpr 63
		.amdhsa_next_free_sgpr 47
		.amdhsa_accum_offset 64
		.amdhsa_reserve_vcc 1
		.amdhsa_reserve_flat_scratch 0
		.amdhsa_float_round_mode_32 0
		.amdhsa_float_round_mode_16_64 0
		.amdhsa_float_denorm_mode_32 3
		.amdhsa_float_denorm_mode_16_64 3
		.amdhsa_dx10_clamp 1
		.amdhsa_ieee_mode 1
		.amdhsa_fp16_overflow 0
		.amdhsa_tg_split 0
		.amdhsa_exception_fp_ieee_invalid_op 0
		.amdhsa_exception_fp_denorm_src 0
		.amdhsa_exception_fp_ieee_div_zero 0
		.amdhsa_exception_fp_ieee_overflow 0
		.amdhsa_exception_fp_ieee_underflow 0
		.amdhsa_exception_fp_ieee_inexact 0
		.amdhsa_exception_int_div_zero 0
	.end_amdhsa_kernel
	.section	.text._Z39paged_attention_ll4mi_QKV_mfma16_kernelIDF16_hLN4vllm18Fp8KVCacheDataTypeE1EDF16_Li32ELi64ELi256ELb1ELi9EL8MFMAType0EEvPKT_PKT0_S8_ifPKiSA_SA_iPKfiiiPfSD_PS3_PT2_iSC_SC_,"axG",@progbits,_Z39paged_attention_ll4mi_QKV_mfma16_kernelIDF16_hLN4vllm18Fp8KVCacheDataTypeE1EDF16_Li32ELi64ELi256ELb1ELi9EL8MFMAType0EEvPKT_PKT0_S8_ifPKiSA_SA_iPKfiiiPfSD_PS3_PT2_iSC_SC_,comdat
.Lfunc_end582:
	.size	_Z39paged_attention_ll4mi_QKV_mfma16_kernelIDF16_hLN4vllm18Fp8KVCacheDataTypeE1EDF16_Li32ELi64ELi256ELb1ELi9EL8MFMAType0EEvPKT_PKT0_S8_ifPKiSA_SA_iPKfiiiPfSD_PS3_PT2_iSC_SC_, .Lfunc_end582-_Z39paged_attention_ll4mi_QKV_mfma16_kernelIDF16_hLN4vllm18Fp8KVCacheDataTypeE1EDF16_Li32ELi64ELi256ELb1ELi9EL8MFMAType0EEvPKT_PKT0_S8_ifPKiSA_SA_iPKfiiiPfSD_PS3_PT2_iSC_SC_
                                        ; -- End function
	.section	.AMDGPU.csdata,"",@progbits
; Kernel info:
; codeLenInByte = 27368
; NumSgprs: 51
; NumVgprs: 63
; NumAgprs: 0
; TotalNumVgprs: 63
; ScratchSize: 0
; MemoryBound: 0
; FloatMode: 240
; IeeeMode: 1
; LDSByteSize: 8192 bytes/workgroup (compile time only)
; SGPRBlocks: 6
; VGPRBlocks: 7
; NumSGPRsForWavesPerEU: 51
; NumVGPRsForWavesPerEU: 63
; AccumOffset: 64
; Occupancy: 8
; WaveLimiterHint : 1
; COMPUTE_PGM_RSRC2:SCRATCH_EN: 0
; COMPUTE_PGM_RSRC2:USER_SGPR: 6
; COMPUTE_PGM_RSRC2:TRAP_HANDLER: 0
; COMPUTE_PGM_RSRC2:TGID_X_EN: 1
; COMPUTE_PGM_RSRC2:TGID_Y_EN: 1
; COMPUTE_PGM_RSRC2:TGID_Z_EN: 1
; COMPUTE_PGM_RSRC2:TIDIG_COMP_CNT: 0
; COMPUTE_PGM_RSRC3_GFX90A:ACCUM_OFFSET: 15
; COMPUTE_PGM_RSRC3_GFX90A:TG_SPLIT: 0
	.section	.text._Z39paged_attention_ll4mi_QKV_mfma16_kernelIDF16_hLN4vllm18Fp8KVCacheDataTypeE1EDF16_Li32ELi64ELi256ELb1ELi10EL8MFMAType0EEvPKT_PKT0_S8_ifPKiSA_SA_iPKfiiiPfSD_PS3_PT2_iSC_SC_,"axG",@progbits,_Z39paged_attention_ll4mi_QKV_mfma16_kernelIDF16_hLN4vllm18Fp8KVCacheDataTypeE1EDF16_Li32ELi64ELi256ELb1ELi10EL8MFMAType0EEvPKT_PKT0_S8_ifPKiSA_SA_iPKfiiiPfSD_PS3_PT2_iSC_SC_,comdat
	.protected	_Z39paged_attention_ll4mi_QKV_mfma16_kernelIDF16_hLN4vllm18Fp8KVCacheDataTypeE1EDF16_Li32ELi64ELi256ELb1ELi10EL8MFMAType0EEvPKT_PKT0_S8_ifPKiSA_SA_iPKfiiiPfSD_PS3_PT2_iSC_SC_ ; -- Begin function _Z39paged_attention_ll4mi_QKV_mfma16_kernelIDF16_hLN4vllm18Fp8KVCacheDataTypeE1EDF16_Li32ELi64ELi256ELb1ELi10EL8MFMAType0EEvPKT_PKT0_S8_ifPKiSA_SA_iPKfiiiPfSD_PS3_PT2_iSC_SC_
	.globl	_Z39paged_attention_ll4mi_QKV_mfma16_kernelIDF16_hLN4vllm18Fp8KVCacheDataTypeE1EDF16_Li32ELi64ELi256ELb1ELi10EL8MFMAType0EEvPKT_PKT0_S8_ifPKiSA_SA_iPKfiiiPfSD_PS3_PT2_iSC_SC_
	.p2align	8
	.type	_Z39paged_attention_ll4mi_QKV_mfma16_kernelIDF16_hLN4vllm18Fp8KVCacheDataTypeE1EDF16_Li32ELi64ELi256ELb1ELi10EL8MFMAType0EEvPKT_PKT0_S8_ifPKiSA_SA_iPKfiiiPfSD_PS3_PT2_iSC_SC_,@function
_Z39paged_attention_ll4mi_QKV_mfma16_kernelIDF16_hLN4vllm18Fp8KVCacheDataTypeE1EDF16_Li32ELi64ELi256ELb1ELi10EL8MFMAType0EEvPKT_PKT0_S8_ifPKiSA_SA_iPKfiiiPfSD_PS3_PT2_iSC_SC_: ; @_Z39paged_attention_ll4mi_QKV_mfma16_kernelIDF16_hLN4vllm18Fp8KVCacheDataTypeE1EDF16_Li32ELi64ELi256ELb1ELi10EL8MFMAType0EEvPKT_PKT0_S8_ifPKiSA_SA_iPKfiiiPfSD_PS3_PT2_iSC_SC_
; %bb.0:
	s_load_dwordx2 s[0:1], s[4:5], 0x30
	s_mov_b32 s24, s7
	s_mov_b64 s[10:11], 0
	s_waitcnt lgkmcnt(0)
	s_cmp_lg_u64 s[0:1], 0
	s_cselect_b64 s[2:3], -1, 0
	s_and_b64 vcc, exec, s[2:3]
	s_cbranch_vccz .LBB583_7
; %bb.1:
	s_add_i32 s12, s6, 1
	s_mov_b32 s13, 0
	s_lshl_b64 s[14:15], s[12:13], 2
	s_add_u32 s14, s0, s14
	s_mov_b32 s7, s13
	s_addc_u32 s15, s1, s15
	s_lshl_b64 s[12:13], s[6:7], 2
	s_add_u32 s12, s0, s12
	s_addc_u32 s13, s1, s13
	s_load_dword s9, s[14:15], 0x0
	s_load_dword s16, s[12:13], 0x0
	s_waitcnt lgkmcnt(0)
	s_sub_i32 s9, s9, s16
	s_cmp_eq_u32 s9, 1
	s_cselect_b64 s[12:13], -1, 0
	s_andn2_b64 vcc, exec, s[10:11]
	s_cbranch_vccnz .LBB583_3
.LBB583_2:
	s_mov_b32 s7, 0
	s_mov_b64 s[12:13], -1
.LBB583_3:
	s_andn2_b64 vcc, exec, s[12:13]
	s_cbranch_vccnz .LBB583_788
; %bb.4:
	s_load_dwordx2 s[12:13], s[4:5], 0x28
	s_lshl_b64 s[10:11], s[6:7], 2
	s_waitcnt lgkmcnt(0)
	s_add_u32 s12, s12, s10
	s_addc_u32 s13, s13, s11
	s_load_dword s33, s[12:13], 0x0
	s_lshl_b32 s18, s24, 8
	s_waitcnt lgkmcnt(0)
	s_cmp_ge_i32 s18, s33
	s_cbranch_scc1 .LBB583_788
; %bb.5:
	s_add_i32 s14, s33, 31
	s_load_dwordx2 s[12:13], s[4:5], 0x20
	s_load_dword s9, s[4:5], 0x38
	s_ashr_i32 s15, s14, 31
	v_and_b32_e32 v1, 0xcf, v0
	s_lshr_b32 s15, s15, 27
	v_add_u32_e32 v1, s18, v1
	s_add_i32 s14, s14, s15
	v_ashrrev_i32_e32 v2, 31, v1
	s_ashr_i32 s21, s14, 5
	v_lshrrev_b32_e32 v4, 27, v2
	s_add_i32 s21, s21, -1
	v_add_u32_e32 v2, v1, v4
	s_waitcnt lgkmcnt(0)
	s_mul_i32 s14, s6, s9
	s_mov_b32 s15, 0
	v_ashrrev_i32_e32 v2, 5, v2
	v_mov_b32_e32 v5, s21
	v_cmp_gt_i32_e32 vcc, s33, v1
	s_lshl_b64 s[14:15], s[14:15], 2
	v_cndmask_b32_e32 v2, v5, v2, vcc
	s_add_u32 s19, s12, s14
	v_ashrrev_i32_e32 v3, 31, v2
	s_addc_u32 s20, s13, s15
	v_lshlrev_b64 v[2:3], 2, v[2:3]
	v_mov_b32_e32 v7, s20
	v_add_co_u32_e32 v6, vcc, s19, v2
	v_or_b32_e32 v2, 16, v1
	v_addc_co_u32_e32 v7, vcc, v7, v3, vcc
	v_add_u32_e32 v3, v2, v4
	v_ashrrev_i32_e32 v3, 5, v3
	v_cmp_gt_i32_e32 vcc, s33, v2
	v_cndmask_b32_e32 v2, v5, v3, vcc
	v_ashrrev_i32_e32 v3, 31, v2
	v_lshlrev_b64 v[2:3], 2, v[2:3]
	v_mov_b32_e32 v9, s20
	v_add_co_u32_e32 v8, vcc, s19, v2
	v_or_b32_e32 v2, 32, v1
	v_addc_co_u32_e32 v9, vcc, v9, v3, vcc
	v_add_u32_e32 v3, v2, v4
	v_ashrrev_i32_e32 v3, 5, v3
	v_cmp_gt_i32_e32 vcc, s33, v2
	v_cndmask_b32_e32 v2, v5, v3, vcc
	v_ashrrev_i32_e32 v3, 31, v2
	;; [unrolled: 10-line block ×3, first 2 shown]
	v_lshlrev_b64 v[2:3], 2, v[2:3]
	v_mov_b32_e32 v1, s20
	v_add_co_u32_e32 v12, vcc, s19, v2
	v_addc_co_u32_e32 v13, vcc, v1, v3, vcc
	global_load_dword v5, v[6:7], off
	global_load_dword v4, v[8:9], off
	;; [unrolled: 1-line block ×4, first 2 shown]
	s_load_dwordx2 s[16:17], s[4:5], 0x8
	s_andn2_b64 vcc, exec, s[2:3]
	s_cbranch_vccnz .LBB583_8
; %bb.6:
	s_add_u32 s0, s0, s10
	s_addc_u32 s1, s1, s11
	s_load_dword s9, s[0:1], 0x0
	s_branch .LBB583_9
.LBB583_7:
	s_mov_b64 s[12:13], 0
	s_branch .LBB583_2
.LBB583_8:
	s_mov_b32 s9, s6
.LBB583_9:
	s_load_dwordx2 s[2:3], s[4:5], 0x10
	s_load_dwordx4 s[12:15], s[4:5], 0x48
	v_lshrrev_b32_e32 v50, 6, v0
	v_bfe_u32 v1, v0, 4, 2
	v_lshl_or_b32 v6, v50, 2, v1
	v_and_b32_e32 v49, 15, v0
	v_lshlrev_b32_e32 v7, 3, v49
	v_cmp_gt_u32_e32 vcc, 10, v6
	v_cmp_gt_u32_e64 s[0:1], 8, v49
	s_mul_i32 s25, s8, 10
	s_and_b64 s[22:23], s[0:1], vcc
	v_lshlrev_b32_e32 v46, 1, v7
	v_lshlrev_b32_e32 v47, 4, v0
	s_and_saveexec_b64 s[10:11], s[22:23]
	s_cbranch_execz .LBB583_11
; %bb.10:
	s_load_dwordx2 s[22:23], s[4:5], 0x0
	s_waitcnt lgkmcnt(0)
	s_ashr_i32 s15, s12, 31
	s_mul_hi_u32 s26, s9, s12
	s_mul_i32 s15, s9, s15
	s_add_i32 s27, s26, s15
	s_mul_i32 s26, s9, s12
	s_lshl_b64 s[26:27], s[26:27], 1
	v_add_lshl_u32 v8, v6, s25, 6
	s_add_u32 s9, s22, s26
	v_ashrrev_i32_e32 v9, 31, v8
	s_addc_u32 s12, s23, s27
	v_lshlrev_b64 v[8:9], 1, v[8:9]
	v_mov_b32_e32 v7, s12
	v_add_co_u32_e32 v8, vcc, s9, v8
	v_addc_co_u32_e32 v7, vcc, v7, v9, vcc
	v_add_co_u32_e32 v8, vcc, v8, v46
	v_addc_co_u32_e32 v9, vcc, 0, v7, vcc
	global_load_dwordx4 v[8:11], v[8:9], off
	v_lshlrev_b32_e32 v12, 8, v49
	v_lshlrev_b32_e32 v6, 5, v6
	v_and_b32_e32 v7, 16, v47
	v_and_b32_e32 v12, 0xe00, v12
	v_or3_b32 v6, v12, v6, v7
	s_waitcnt vmcnt(0)
	ds_write_b128 v6, v[8:11]
.LBB583_11:
	s_or_b64 exec, exec, s[10:11]
	s_waitcnt lgkmcnt(0)
	s_mul_i32 s10, s8, s14
	s_add_u32 s8, s16, s10
	s_addc_u32 s9, s17, 0
	v_pk_mov_b32 v[8:9], s[8:9], s[8:9] op_sel:[0,1]
	s_waitcnt vmcnt(3)
	v_mad_i64_i32 v[10:11], s[8:9], v5, s13, v[8:9]
	v_lshlrev_b32_e32 v12, 4, v49
	v_and_b32_e32 v6, 48, v0
	v_add_co_u32_e32 v5, vcc, v10, v12
	v_lshlrev_b32_e32 v7, 5, v6
	v_addc_co_u32_e32 v11, vcc, 0, v11, vcc
	v_add_co_u32_e32 v10, vcc, v5, v7
	v_addc_co_u32_e32 v11, vcc, 0, v11, vcc
	s_waitcnt vmcnt(2)
	v_mad_i64_i32 v[4:5], s[8:9], v4, s13, v[8:9]
	v_or_b32_e32 v13, 0x100, v12
	v_add_co_u32_e32 v4, vcc, v4, v13
	v_addc_co_u32_e32 v5, vcc, 0, v5, vcc
	v_add_co_u32_e32 v4, vcc, v4, v7
	v_addc_co_u32_e32 v5, vcc, 0, v5, vcc
	s_barrier
	global_load_dwordx4 v[34:37], v[10:11], off
	global_load_dwordx4 v[38:41], v[4:5], off
	s_waitcnt vmcnt(3)
	v_mad_i64_i32 v[4:5], s[8:9], v3, s13, v[8:9]
	v_add_co_u32_e32 v3, vcc, v4, v12
	v_addc_co_u32_e32 v5, vcc, 0, v5, vcc
	v_add_co_u32_e32 v4, vcc, v3, v7
	v_addc_co_u32_e32 v5, vcc, 0, v5, vcc
	s_waitcnt vmcnt(2)
	v_mad_i64_i32 v[2:3], s[8:9], v2, s13, v[8:9]
	v_add_co_u32_e32 v2, vcc, v2, v13
	v_addc_co_u32_e32 v3, vcc, 0, v3, vcc
	v_add_co_u32_e32 v2, vcc, v2, v7
	v_addc_co_u32_e32 v3, vcc, 0, v3, vcc
	global_load_dwordx4 v[30:33], v[4:5], off
	global_load_dwordx4 v[22:25], v[2:3], off
	v_add_u32_e32 v2, -10, v49
	v_cmp_gt_u32_e32 vcc, 10, v49
	v_cndmask_b32_e32 v2, v2, v49, vcc
	v_lshlrev_b32_e32 v2, 5, v2
	v_lshl_add_u32 v2, v1, 9, v2
	ds_read_b128 v[26:29], v2
	ds_read_b128 v[18:21], v2 offset:16
	v_mov_b32_e32 v43, 0
	v_mov_b32_e32 v51, 0
	s_and_saveexec_b64 s[8:9], vcc
	s_cbranch_execz .LBB583_13
; %bb.12:
	s_load_dwordx2 s[14:15], s[4:5], 0x40
	v_add_u32_e32 v2, s25, v49
	v_ashrrev_i32_e32 v3, 31, v2
	v_lshlrev_b64 v[2:3], 2, v[2:3]
	s_waitcnt lgkmcnt(0)
	v_mov_b32_e32 v4, s15
	v_add_co_u32_e32 v2, vcc, s14, v2
	v_addc_co_u32_e32 v3, vcc, v4, v3, vcc
	global_load_dword v51, v[2:3], off
.LBB583_13:
	s_or_b64 exec, exec, s[8:9]
	s_ashr_i32 s8, s18, 31
	v_or_b32_e32 v8, s18, v6
	s_lshr_b32 s8, s8, 27
	v_add_u32_e32 v2, s8, v8
	v_ashrrev_i32_e32 v2, 5, v2
	v_mov_b32_e32 v9, s21
	v_cmp_gt_i32_e32 vcc, s33, v8
	v_cndmask_b32_e32 v2, v9, v2, vcc
	v_ashrrev_i32_e32 v3, 31, v2
	v_lshlrev_b64 v[2:3], 2, v[2:3]
	v_mov_b32_e32 v4, s20
	v_add_co_u32_e32 v2, vcc, s19, v2
	v_addc_co_u32_e32 v3, vcc, v4, v3, vcc
	v_or_b32_e32 v4, 64, v8
	v_add_u32_e32 v5, s8, v4
	v_ashrrev_i32_e32 v5, 5, v5
	v_cmp_gt_i32_e32 vcc, s33, v4
	v_cndmask_b32_e32 v4, v9, v5, vcc
	v_ashrrev_i32_e32 v5, 31, v4
	v_lshlrev_b64 v[4:5], 2, v[4:5]
	v_mov_b32_e32 v6, s20
	v_add_co_u32_e32 v4, vcc, s19, v4
	v_addc_co_u32_e32 v5, vcc, v6, v5, vcc
	v_or_b32_e32 v6, 0x80, v8
	v_add_u32_e32 v7, s8, v6
	v_ashrrev_i32_e32 v7, 5, v7
	v_cmp_gt_i32_e32 vcc, s33, v6
	v_cndmask_b32_e32 v6, v9, v7, vcc
	v_ashrrev_i32_e32 v7, 31, v6
	v_lshlrev_b64 v[6:7], 2, v[6:7]
	v_mov_b32_e32 v10, s20
	v_add_co_u32_e32 v6, vcc, s19, v6
	v_addc_co_u32_e32 v7, vcc, v10, v7, vcc
	global_load_dword v10, v[2:3], off
	global_load_dword v11, v[4:5], off
	;; [unrolled: 1-line block ×3, first 2 shown]
	v_or_b32_e32 v2, 0xc0, v8
	v_add_u32_e32 v3, s8, v2
	v_ashrrev_i32_e32 v3, 5, v3
	v_cmp_gt_i32_e32 vcc, s33, v2
	v_cndmask_b32_e32 v2, v9, v3, vcc
	v_ashrrev_i32_e32 v3, 31, v2
	v_lshlrev_b64 v[2:3], 2, v[2:3]
	v_mov_b32_e32 v4, s20
	v_add_co_u32_e32 v2, vcc, s19, v2
	v_addc_co_u32_e32 v3, vcc, v4, v3, vcc
	global_load_dword v13, v[2:3], off
	s_add_u32 s2, s2, s10
	v_and_b32_e32 v2, 16, v0
	s_addc_u32 s3, s3, 0
	v_lshlrev_b32_e32 v48, 5, v49
	v_mov_b32_e32 v4, s3
	v_add_co_u32_e32 v2, vcc, s2, v2
	v_lshl_or_b32 v3, v50, 9, v48
	v_addc_co_u32_e32 v4, vcc, 0, v4, vcc
	v_add_co_u32_e32 v2, vcc, v2, v3
	v_addc_co_u32_e32 v3, vcc, 0, v4, vcc
	s_movk_i32 s8, 0x80
	s_waitcnt vmcnt(7)
	v_cmp_ne_u16_sdwa s[10:11], v34, v43 src0_sel:BYTE_0 src1_sel:DWORD
	s_waitcnt vmcnt(3)
	v_mad_i64_i32 v[4:5], s[2:3], v10, s13, v[2:3]
	s_waitcnt vmcnt(2)
	v_mad_i64_i32 v[6:7], s[2:3], v11, s13, v[2:3]
	;; [unrolled: 2-line block ×4, first 2 shown]
	global_load_dwordx4 v[14:17], v[4:5], off
	global_load_dwordx4 v[10:13], v[6:7], off
	s_nop 0
	global_load_dwordx4 v[6:9], v[8:9], off
	s_nop 0
	global_load_dwordx4 v[2:5], v[2:3], off
	s_load_dwordx4 s[40:43], s[4:5], 0x80
	s_load_dwordx2 s[44:45], s[4:5], 0x94
	s_waitcnt lgkmcnt(0)
	s_load_dword s12, s[40:41], 0x0
	s_and_saveexec_b64 s[2:3], s[10:11]
	s_cbranch_execz .LBB583_19
; %bb.14:
	v_cmp_ne_u16_sdwa s[10:11], v34, s8 src0_sel:BYTE_0 src1_sel:DWORD
	v_bfrev_b32_e32 v43, 1
	s_and_saveexec_b64 s[8:9], s[10:11]
	s_cbranch_execz .LBB583_18
; %bb.15:
	s_movk_i32 s10, 0x7f
	v_and_b32_e32 v42, 0x7f, v34
	v_cmp_ne_u32_e32 vcc, s10, v42
	v_mov_b32_e32 v43, 0x7f800001
	s_and_saveexec_b64 s[10:11], vcc
	s_cbranch_execz .LBB583_17
; %bb.16:
	v_and_b32_e32 v43, 7, v34
	v_ffbh_u32_e32 v44, v43
	v_min_u32_e32 v53, 32, v44
	v_subrev_u32_e32 v44, 28, v53
	v_lshlrev_b64 v[44:45], v44, v[34:35]
	v_lshrrev_b32_e32 v52, 3, v42
	v_sub_u32_e32 v45, 29, v53
	v_and_b32_e32 v44, 7, v44
	v_cmp_gt_u32_e32 vcc, 8, v42
	v_cndmask_b32_e32 v42, v52, v45, vcc
	v_cndmask_b32_e32 v43, v43, v44, vcc
	v_lshlrev_b32_e32 v44, 24, v34
	v_bfrev_b32_e32 v45, 60
	v_lshlrev_b32_e32 v43, 20, v43
	v_and_b32_e32 v44, 0x80000000, v44
	v_lshl_add_u32 v42, v42, 23, v45
	v_or3_b32 v43, v44, v42, v43
.LBB583_17:
	s_or_b64 exec, exec, s[10:11]
.LBB583_18:
	s_or_b64 exec, exec, s[8:9]
.LBB583_19:
	s_or_b64 exec, exec, s[2:3]
	v_lshrrev_b16_e32 v42, 8, v34
	v_cmp_ne_u16_e32 vcc, 0, v42
	v_mov_b32_e32 v44, 0
	v_mov_b32_e32 v45, 0
	s_and_saveexec_b64 s[2:3], vcc
	s_cbranch_execz .LBB583_25
; %bb.20:
	s_movk_i32 s8, 0x80
	v_cmp_ne_u16_e32 vcc, s8, v42
	v_bfrev_b32_e32 v45, 1
	s_and_saveexec_b64 s[8:9], vcc
	s_cbranch_execz .LBB583_24
; %bb.21:
	s_movk_i32 s10, 0x7f
	v_and_b32_e32 v52, 0x7f, v42
	v_cmp_ne_u32_e32 vcc, s10, v52
	v_mov_b32_e32 v45, 0x7f800001
	s_and_saveexec_b64 s[10:11], vcc
	s_cbranch_execz .LBB583_23
; %bb.22:
	v_and_b32_e32 v45, 7, v42
	v_ffbh_u32_e32 v54, v45
	v_min_u32_e32 v56, 32, v54
	v_subrev_u32_e32 v54, 28, v56
	v_lshlrev_b64 v[54:55], v54, v[42:43]
	v_lshrrev_b32_e32 v53, 3, v52
	v_sub_u32_e32 v42, 29, v56
	v_and_b32_e32 v54, 7, v54
	v_cmp_gt_u32_e32 vcc, 8, v52
	v_cndmask_b32_e32 v42, v53, v42, vcc
	v_cndmask_b32_e32 v45, v45, v54, vcc
	v_lshlrev_b32_e32 v52, 16, v34
	v_bfrev_b32_e32 v53, 60
	v_lshlrev_b32_e32 v45, 20, v45
	v_and_b32_e32 v52, 0x80000000, v52
	v_lshl_add_u32 v42, v42, 23, v53
	v_or3_b32 v45, v52, v42, v45
.LBB583_23:
	s_or_b64 exec, exec, s[10:11]
.LBB583_24:
	s_or_b64 exec, exec, s[8:9]
.LBB583_25:
	s_or_b64 exec, exec, s[2:3]
	s_movk_i32 s2, 0xff
	v_and_b32_sdwa v52, v34, s2 dst_sel:DWORD dst_unused:UNUSED_PAD src0_sel:WORD_1 src1_sel:DWORD
	v_lshrrev_b32_e32 v42, 16, v34
	v_cmp_ne_u16_e32 vcc, 0, v52
	s_and_saveexec_b64 s[2:3], vcc
	s_cbranch_execz .LBB583_31
; %bb.26:
	s_movk_i32 s8, 0x80
	v_cmp_ne_u16_e32 vcc, s8, v52
	v_bfrev_b32_e32 v44, 1
	s_and_saveexec_b64 s[8:9], vcc
	s_cbranch_execz .LBB583_30
; %bb.27:
	v_bfe_u32 v52, v34, 16, 7
	s_movk_i32 s10, 0x7f
	v_cmp_ne_u32_e32 vcc, s10, v52
	v_mov_b32_e32 v44, 0x7f800001
	s_and_saveexec_b64 s[10:11], vcc
	s_cbranch_execz .LBB583_29
; %bb.28:
	v_and_b32_e32 v44, 7, v42
	v_ffbh_u32_e32 v54, v44
	v_min_u32_e32 v56, 32, v54
	v_subrev_u32_e32 v54, 28, v56
	v_lshlrev_b64 v[54:55], v54, v[42:43]
	v_lshrrev_b32_e32 v53, 3, v52
	v_sub_u32_e32 v42, 29, v56
	v_and_b32_e32 v54, 7, v54
	v_cmp_gt_u32_e32 vcc, 8, v52
	v_mov_b32_e32 v52, 24
	v_cndmask_b32_e32 v42, v53, v42, vcc
	v_cndmask_b32_e32 v44, v44, v54, vcc
	v_lshlrev_b32_sdwa v52, v52, v34 dst_sel:DWORD dst_unused:UNUSED_PAD src0_sel:DWORD src1_sel:WORD_1
	v_bfrev_b32_e32 v53, 60
	v_lshlrev_b32_e32 v44, 20, v44
	v_and_b32_e32 v52, 0x80000000, v52
	v_lshl_add_u32 v42, v42, 23, v53
	v_or3_b32 v44, v52, v42, v44
.LBB583_29:
	s_or_b64 exec, exec, s[10:11]
.LBB583_30:
	s_or_b64 exec, exec, s[8:9]
.LBB583_31:
	s_or_b64 exec, exec, s[2:3]
	s_mov_b32 s2, 0xffffff
	v_cmp_lt_u32_e32 vcc, s2, v34
	v_mov_b32_e32 v53, 0
	v_mov_b32_e32 v54, 0
	s_and_saveexec_b64 s[2:3], vcc
	s_cbranch_execz .LBB583_37
; %bb.32:
	v_lshrrev_b32_e32 v42, 24, v34
	s_movk_i32 s8, 0x80
	v_cmp_ne_u32_e32 vcc, s8, v42
	v_bfrev_b32_e32 v54, 1
	s_and_saveexec_b64 s[8:9], vcc
	s_cbranch_execz .LBB583_36
; %bb.33:
	v_bfe_u32 v34, v34, 24, 7
	s_movk_i32 s10, 0x7f
	v_cmp_ne_u32_e32 vcc, s10, v34
	v_mov_b32_e32 v54, 0x7f800001
	s_and_saveexec_b64 s[10:11], vcc
	s_cbranch_execz .LBB583_35
; %bb.34:
	v_and_b32_e32 v52, 7, v42
	v_ffbh_u32_e32 v54, v52
	v_min_u32_e32 v57, 32, v54
	v_subrev_u32_e32 v54, 28, v57
	v_lshlrev_b64 v[54:55], v54, v[42:43]
	v_lshrrev_b32_e32 v56, 3, v34
	v_sub_u32_e32 v55, 29, v57
	v_and_b32_e32 v54, 7, v54
	v_cmp_gt_u32_e32 vcc, 8, v34
	v_cndmask_b32_e32 v34, v56, v55, vcc
	v_cndmask_b32_e32 v52, v52, v54, vcc
	v_lshlrev_b32_e32 v42, 24, v42
	v_bfrev_b32_e32 v54, 60
	v_lshlrev_b32_e32 v52, 20, v52
	v_and_b32_e32 v42, 0x80000000, v42
	v_lshl_add_u32 v34, v34, 23, v54
	v_or3_b32 v54, v42, v34, v52
.LBB583_35:
	s_or_b64 exec, exec, s[10:11]
.LBB583_36:
	s_or_b64 exec, exec, s[8:9]
.LBB583_37:
	s_or_b64 exec, exec, s[2:3]
	v_cmp_ne_u16_sdwa s[8:9], v35, v53 src0_sel:BYTE_0 src1_sel:DWORD
	s_and_saveexec_b64 s[2:3], s[8:9]
	s_cbranch_execz .LBB583_43
; %bb.38:
	s_movk_i32 s8, 0x80
	v_cmp_ne_u16_sdwa s[10:11], v35, s8 src0_sel:BYTE_0 src1_sel:DWORD
	v_bfrev_b32_e32 v53, 1
	s_and_saveexec_b64 s[8:9], s[10:11]
	s_cbranch_execz .LBB583_42
; %bb.39:
	s_movk_i32 s10, 0x7f
	v_and_b32_e32 v34, 0x7f, v35
	v_cmp_ne_u32_e32 vcc, s10, v34
	v_mov_b32_e32 v53, 0x7f800001
	s_and_saveexec_b64 s[10:11], vcc
	s_cbranch_execz .LBB583_41
; %bb.40:
	v_and_b32_e32 v55, 7, v35
	v_ffbh_u32_e32 v52, v55
	v_min_u32_e32 v57, 32, v52
	v_mov_b32_e32 v42, v35
	v_subrev_u32_e32 v52, 28, v57
	v_lshlrev_b64 v[52:53], v52, v[42:43]
	v_lshrrev_b32_e32 v56, 3, v34
	v_sub_u32_e32 v42, 29, v57
	v_and_b32_e32 v52, 7, v52
	v_cmp_gt_u32_e32 vcc, 8, v34
	v_cndmask_b32_e32 v34, v56, v42, vcc
	v_cndmask_b32_e32 v42, v55, v52, vcc
	v_lshlrev_b32_e32 v52, 24, v35
	v_bfrev_b32_e32 v53, 60
	v_lshlrev_b32_e32 v42, 20, v42
	v_and_b32_e32 v52, 0x80000000, v52
	v_lshl_add_u32 v34, v34, 23, v53
	v_or3_b32 v53, v52, v34, v42
.LBB583_41:
	s_or_b64 exec, exec, s[10:11]
.LBB583_42:
	s_or_b64 exec, exec, s[8:9]
.LBB583_43:
	s_or_b64 exec, exec, s[2:3]
	v_lshrrev_b16_e32 v34, 8, v35
	v_cmp_ne_u16_e32 vcc, 0, v34
	v_mov_b32_e32 v42, 0
	v_mov_b32_e32 v55, 0
	s_and_saveexec_b64 s[2:3], vcc
	s_cbranch_execz .LBB583_49
; %bb.44:
	s_movk_i32 s8, 0x80
	v_cmp_ne_u16_e32 vcc, s8, v34
	v_bfrev_b32_e32 v55, 1
	s_and_saveexec_b64 s[8:9], vcc
	s_cbranch_execz .LBB583_48
; %bb.45:
	s_movk_i32 s10, 0x7f
	v_and_b32_e32 v52, 0x7f, v34
	v_cmp_ne_u32_e32 vcc, s10, v52
	v_mov_b32_e32 v55, 0x7f800001
	s_and_saveexec_b64 s[10:11], vcc
	s_cbranch_execz .LBB583_47
; %bb.46:
	v_and_b32_e32 v55, 7, v34
	v_ffbh_u32_e32 v56, v55
	v_min_u32_e32 v59, 32, v56
	v_subrev_u32_e32 v56, 28, v59
	v_lshlrev_b64 v[56:57], v56, v[34:35]
	v_lshrrev_b32_e32 v58, 3, v52
	v_sub_u32_e32 v34, 29, v59
	v_and_b32_e32 v56, 7, v56
	v_cmp_gt_u32_e32 vcc, 8, v52
	v_cndmask_b32_e32 v34, v58, v34, vcc
	v_cndmask_b32_e32 v52, v55, v56, vcc
	v_lshlrev_b32_e32 v55, 16, v35
	v_bfrev_b32_e32 v56, 60
	v_lshlrev_b32_e32 v52, 20, v52
	v_and_b32_e32 v55, 0x80000000, v55
	v_lshl_add_u32 v34, v34, 23, v56
	v_or3_b32 v55, v55, v34, v52
.LBB583_47:
	s_or_b64 exec, exec, s[10:11]
.LBB583_48:
	s_or_b64 exec, exec, s[8:9]
.LBB583_49:
	s_or_b64 exec, exec, s[2:3]
	s_movk_i32 s2, 0xff
	v_and_b32_sdwa v52, v35, s2 dst_sel:DWORD dst_unused:UNUSED_PAD src0_sel:WORD_1 src1_sel:DWORD
	v_lshrrev_b32_e32 v34, 16, v35
	v_cmp_ne_u16_e32 vcc, 0, v52
	s_and_saveexec_b64 s[2:3], vcc
	s_cbranch_execz .LBB583_55
; %bb.50:
	s_movk_i32 s8, 0x80
	v_cmp_ne_u16_e32 vcc, s8, v52
	v_bfrev_b32_e32 v42, 1
	s_and_saveexec_b64 s[8:9], vcc
	s_cbranch_execz .LBB583_54
; %bb.51:
	v_bfe_u32 v52, v35, 16, 7
	s_movk_i32 s10, 0x7f
	v_cmp_ne_u32_e32 vcc, s10, v52
	v_mov_b32_e32 v42, 0x7f800001
	s_and_saveexec_b64 s[10:11], vcc
	s_cbranch_execz .LBB583_53
; %bb.52:
	v_and_b32_e32 v42, 7, v34
	v_ffbh_u32_e32 v56, v42
	v_min_u32_e32 v59, 32, v56
	v_subrev_u32_e32 v56, 28, v59
	v_lshlrev_b64 v[56:57], v56, v[34:35]
	v_lshrrev_b32_e32 v58, 3, v52
	v_sub_u32_e32 v34, 29, v59
	v_and_b32_e32 v56, 7, v56
	v_cmp_gt_u32_e32 vcc, 8, v52
	v_mov_b32_e32 v52, 24
	v_cndmask_b32_e32 v34, v58, v34, vcc
	v_cndmask_b32_e32 v42, v42, v56, vcc
	v_lshlrev_b32_sdwa v52, v52, v35 dst_sel:DWORD dst_unused:UNUSED_PAD src0_sel:DWORD src1_sel:WORD_1
	v_bfrev_b32_e32 v56, 60
	v_lshlrev_b32_e32 v42, 20, v42
	v_and_b32_e32 v52, 0x80000000, v52
	v_lshl_add_u32 v34, v34, 23, v56
	v_or3_b32 v42, v52, v34, v42
.LBB583_53:
	s_or_b64 exec, exec, s[10:11]
.LBB583_54:
	s_or_b64 exec, exec, s[8:9]
.LBB583_55:
	s_or_b64 exec, exec, s[2:3]
	s_mov_b32 s2, 0xffffff
	v_cmp_lt_u32_e32 vcc, s2, v35
	v_mov_b32_e32 v52, 0
	v_mov_b32_e32 v56, 0
	s_and_saveexec_b64 s[2:3], vcc
	s_cbranch_execz .LBB583_61
; %bb.56:
	v_lshrrev_b32_e32 v34, 24, v35
	s_movk_i32 s8, 0x80
	v_cmp_ne_u32_e32 vcc, s8, v34
	v_bfrev_b32_e32 v56, 1
	s_and_saveexec_b64 s[8:9], vcc
	s_cbranch_execz .LBB583_60
; %bb.57:
	v_bfe_u32 v35, v35, 24, 7
	s_movk_i32 s10, 0x7f
	v_cmp_ne_u32_e32 vcc, s10, v35
	v_mov_b32_e32 v56, 0x7f800001
	s_and_saveexec_b64 s[10:11], vcc
	s_cbranch_execz .LBB583_59
; %bb.58:
	v_and_b32_e32 v58, 7, v34
	v_ffbh_u32_e32 v56, v58
	v_min_u32_e32 v60, 32, v56
	v_subrev_u32_e32 v56, 28, v60
	v_lshlrev_b64 v[56:57], v56, v[34:35]
	v_lshrrev_b32_e32 v59, 3, v35
	v_sub_u32_e32 v57, 29, v60
	v_and_b32_e32 v56, 7, v56
	v_cmp_gt_u32_e32 vcc, 8, v35
	v_cndmask_b32_e32 v35, v59, v57, vcc
	v_cndmask_b32_e32 v56, v58, v56, vcc
	v_lshlrev_b32_e32 v34, 24, v34
	v_bfrev_b32_e32 v57, 60
	v_lshlrev_b32_e32 v56, 20, v56
	v_and_b32_e32 v34, 0x80000000, v34
	v_lshl_add_u32 v35, v35, 23, v57
	v_or3_b32 v56, v34, v35, v56
.LBB583_59:
	s_or_b64 exec, exec, s[10:11]
.LBB583_60:
	s_or_b64 exec, exec, s[8:9]
.LBB583_61:
	s_or_b64 exec, exec, s[2:3]
	v_cvt_pkrtz_f16_f32 v34, v43, v45
	v_cvt_pkrtz_f16_f32 v35, v44, v54
	v_cmp_ne_u16_sdwa s[8:9], v36, v52 src0_sel:BYTE_0 src1_sel:DWORD
	s_nop 0
	v_mfma_f32_16x16x16f16 v[58:61], v[34:35], v[26:27], 0
	v_cvt_pkrtz_f16_f32 v34, v53, v55
	v_cvt_pkrtz_f16_f32 v35, v42, v56
	s_nop 1
	v_mfma_f32_16x16x16f16 v[42:45], v[34:35], v[28:29], v[58:61]
	s_and_saveexec_b64 s[2:3], s[8:9]
	s_cbranch_execz .LBB583_67
; %bb.62:
	s_movk_i32 s8, 0x80
	v_cmp_ne_u16_sdwa s[10:11], v36, s8 src0_sel:BYTE_0 src1_sel:DWORD
	v_bfrev_b32_e32 v52, 1
	s_and_saveexec_b64 s[8:9], s[10:11]
	s_cbranch_execz .LBB583_66
; %bb.63:
	s_movk_i32 s10, 0x7f
	v_and_b32_e32 v34, 0x7f, v36
	v_cmp_ne_u32_e32 vcc, s10, v34
	v_mov_b32_e32 v52, 0x7f800001
	s_and_saveexec_b64 s[10:11], vcc
	s_cbranch_execz .LBB583_65
; %bb.64:
	v_and_b32_e32 v35, 7, v36
	v_ffbh_u32_e32 v52, v35
	v_min_u32_e32 v55, 32, v52
	v_subrev_u32_e32 v52, 28, v55
	v_lshlrev_b64 v[52:53], v52, v[36:37]
	v_lshrrev_b32_e32 v54, 3, v34
	v_sub_u32_e32 v53, 29, v55
	v_and_b32_e32 v52, 7, v52
	v_cmp_gt_u32_e32 vcc, 8, v34
	v_cndmask_b32_e32 v34, v54, v53, vcc
	v_cndmask_b32_e32 v35, v35, v52, vcc
	v_lshlrev_b32_e32 v52, 24, v36
	v_bfrev_b32_e32 v53, 60
	v_lshlrev_b32_e32 v35, 20, v35
	v_and_b32_e32 v52, 0x80000000, v52
	v_lshl_add_u32 v34, v34, 23, v53
	v_or3_b32 v52, v52, v34, v35
.LBB583_65:
	s_or_b64 exec, exec, s[10:11]
.LBB583_66:
	s_or_b64 exec, exec, s[8:9]
.LBB583_67:
	s_or_b64 exec, exec, s[2:3]
	v_lshrrev_b16_e32 v34, 8, v36
	v_cmp_ne_u16_e32 vcc, 0, v34
	v_mov_b32_e32 v35, 0
	v_mov_b32_e32 v54, 0
	s_and_saveexec_b64 s[2:3], vcc
	s_cbranch_execz .LBB583_73
; %bb.68:
	s_movk_i32 s8, 0x80
	v_cmp_ne_u16_e32 vcc, s8, v34
	v_bfrev_b32_e32 v54, 1
	s_and_saveexec_b64 s[8:9], vcc
	s_cbranch_execz .LBB583_72
; %bb.69:
	s_movk_i32 s10, 0x7f
	v_and_b32_e32 v53, 0x7f, v34
	v_cmp_ne_u32_e32 vcc, s10, v53
	v_mov_b32_e32 v54, 0x7f800001
	s_and_saveexec_b64 s[10:11], vcc
	s_cbranch_execz .LBB583_71
; %bb.70:
	v_and_b32_e32 v56, 7, v34
	v_ffbh_u32_e32 v54, v56
	v_min_u32_e32 v58, 32, v54
	v_subrev_u32_e32 v54, 28, v58
	v_lshlrev_b64 v[54:55], v54, v[34:35]
	v_lshrrev_b32_e32 v57, 3, v53
	v_sub_u32_e32 v34, 29, v58
	v_and_b32_e32 v54, 7, v54
	v_cmp_gt_u32_e32 vcc, 8, v53
	v_cndmask_b32_e32 v34, v57, v34, vcc
	v_cndmask_b32_e32 v53, v56, v54, vcc
	v_lshlrev_b32_e32 v54, 16, v36
	v_bfrev_b32_e32 v55, 60
	v_lshlrev_b32_e32 v53, 20, v53
	v_and_b32_e32 v54, 0x80000000, v54
	v_lshl_add_u32 v34, v34, 23, v55
	v_or3_b32 v54, v54, v34, v53
.LBB583_71:
	s_or_b64 exec, exec, s[10:11]
.LBB583_72:
	s_or_b64 exec, exec, s[8:9]
.LBB583_73:
	s_or_b64 exec, exec, s[2:3]
	s_movk_i32 s2, 0xff
	v_and_b32_sdwa v53, v36, s2 dst_sel:DWORD dst_unused:UNUSED_PAD src0_sel:WORD_1 src1_sel:DWORD
	v_lshrrev_b32_e32 v34, 16, v36
	v_cmp_ne_u16_e32 vcc, 0, v53
	s_and_saveexec_b64 s[2:3], vcc
	s_cbranch_execz .LBB583_79
; %bb.74:
	s_movk_i32 s8, 0x80
	v_cmp_ne_u16_e32 vcc, s8, v53
	v_bfrev_b32_e32 v35, 1
	s_and_saveexec_b64 s[8:9], vcc
	s_cbranch_execz .LBB583_78
; %bb.75:
	v_bfe_u32 v53, v36, 16, 7
	s_movk_i32 s10, 0x7f
	v_cmp_ne_u32_e32 vcc, s10, v53
	v_mov_b32_e32 v35, 0x7f800001
	s_and_saveexec_b64 s[10:11], vcc
	s_cbranch_execz .LBB583_77
; %bb.76:
	v_and_b32_e32 v55, 7, v34
	v_ffbh_u32_e32 v35, v55
	v_min_u32_e32 v57, 32, v35
	v_subrev_u32_e32 v35, 28, v57
	v_lshlrev_b64 v[34:35], v35, v[34:35]
	v_lshrrev_b32_e32 v56, 3, v53
	v_sub_u32_e32 v35, 29, v57
	v_and_b32_e32 v34, 7, v34
	v_cmp_gt_u32_e32 vcc, 8, v53
	v_mov_b32_e32 v53, 24
	v_cndmask_b32_e32 v35, v56, v35, vcc
	v_cndmask_b32_e32 v34, v55, v34, vcc
	v_lshlrev_b32_sdwa v53, v53, v36 dst_sel:DWORD dst_unused:UNUSED_PAD src0_sel:DWORD src1_sel:WORD_1
	v_bfrev_b32_e32 v55, 60
	v_lshlrev_b32_e32 v34, 20, v34
	v_and_b32_e32 v53, 0x80000000, v53
	v_lshl_add_u32 v35, v35, 23, v55
	v_or3_b32 v35, v53, v35, v34
.LBB583_77:
	s_or_b64 exec, exec, s[10:11]
.LBB583_78:
	s_or_b64 exec, exec, s[8:9]
.LBB583_79:
	s_or_b64 exec, exec, s[2:3]
	s_mov_b32 s2, 0xffffff
	v_cmp_lt_u32_e32 vcc, s2, v36
	v_mov_b32_e32 v55, 0
	v_mov_b32_e32 v56, 0
	s_and_saveexec_b64 s[2:3], vcc
	s_cbranch_execz .LBB583_85
; %bb.80:
	v_lshrrev_b32_e32 v34, 24, v36
	s_movk_i32 s8, 0x80
	v_cmp_ne_u32_e32 vcc, s8, v34
	v_bfrev_b32_e32 v56, 1
	s_and_saveexec_b64 s[8:9], vcc
	s_cbranch_execz .LBB583_84
; %bb.81:
	v_bfe_u32 v36, v36, 24, 7
	s_movk_i32 s10, 0x7f
	v_cmp_ne_u32_e32 vcc, s10, v36
	v_mov_b32_e32 v56, 0x7f800001
	s_and_saveexec_b64 s[10:11], vcc
	s_cbranch_execz .LBB583_83
; %bb.82:
	v_and_b32_e32 v53, 7, v34
	v_ffbh_u32_e32 v56, v53
	v_min_u32_e32 v59, 32, v56
	v_subrev_u32_e32 v56, 28, v59
	v_lshlrev_b64 v[56:57], v56, v[34:35]
	v_lshrrev_b32_e32 v58, 3, v36
	v_sub_u32_e32 v57, 29, v59
	v_and_b32_e32 v56, 7, v56
	v_cmp_gt_u32_e32 vcc, 8, v36
	v_cndmask_b32_e32 v36, v58, v57, vcc
	v_cndmask_b32_e32 v53, v53, v56, vcc
	v_lshlrev_b32_e32 v34, 24, v34
	v_bfrev_b32_e32 v56, 60
	v_lshlrev_b32_e32 v53, 20, v53
	v_and_b32_e32 v34, 0x80000000, v34
	v_lshl_add_u32 v36, v36, 23, v56
	v_or3_b32 v56, v34, v36, v53
.LBB583_83:
	s_or_b64 exec, exec, s[10:11]
.LBB583_84:
	s_or_b64 exec, exec, s[8:9]
.LBB583_85:
	s_or_b64 exec, exec, s[2:3]
	v_cmp_ne_u16_sdwa s[8:9], v37, v55 src0_sel:BYTE_0 src1_sel:DWORD
	s_and_saveexec_b64 s[2:3], s[8:9]
	s_cbranch_execz .LBB583_91
; %bb.86:
	s_movk_i32 s8, 0x80
	v_cmp_ne_u16_sdwa s[10:11], v37, s8 src0_sel:BYTE_0 src1_sel:DWORD
	v_bfrev_b32_e32 v55, 1
	s_and_saveexec_b64 s[8:9], s[10:11]
	s_cbranch_execz .LBB583_90
; %bb.87:
	s_movk_i32 s10, 0x7f
	v_and_b32_e32 v34, 0x7f, v37
	v_cmp_ne_u32_e32 vcc, s10, v34
	v_mov_b32_e32 v55, 0x7f800001
	s_and_saveexec_b64 s[10:11], vcc
	s_cbranch_execz .LBB583_89
; %bb.88:
	v_and_b32_e32 v53, 7, v37
	v_ffbh_u32_e32 v57, v53
	v_min_u32_e32 v57, 32, v57
	v_mov_b32_e32 v36, v37
	v_subrev_u32_e32 v58, 28, v57
	v_lshlrev_b64 v[58:59], v58, v[36:37]
	v_lshrrev_b32_e32 v55, 3, v34
	v_sub_u32_e32 v36, 29, v57
	v_and_b32_e32 v57, 7, v58
	v_cmp_gt_u32_e32 vcc, 8, v34
	v_cndmask_b32_e32 v34, v55, v36, vcc
	v_cndmask_b32_e32 v36, v53, v57, vcc
	v_lshlrev_b32_e32 v53, 24, v37
	v_bfrev_b32_e32 v55, 60
	v_lshlrev_b32_e32 v36, 20, v36
	v_and_b32_e32 v53, 0x80000000, v53
	v_lshl_add_u32 v34, v34, 23, v55
	v_or3_b32 v55, v53, v34, v36
.LBB583_89:
	s_or_b64 exec, exec, s[10:11]
.LBB583_90:
	s_or_b64 exec, exec, s[8:9]
.LBB583_91:
	s_or_b64 exec, exec, s[2:3]
	v_lshrrev_b16_e32 v34, 8, v37
	v_cmp_ne_u16_e32 vcc, 0, v34
	v_mov_b32_e32 v36, 0
	v_mov_b32_e32 v57, 0
	s_and_saveexec_b64 s[2:3], vcc
	s_cbranch_execz .LBB583_97
; %bb.92:
	s_movk_i32 s8, 0x80
	v_cmp_ne_u16_e32 vcc, s8, v34
	v_bfrev_b32_e32 v57, 1
	s_and_saveexec_b64 s[8:9], vcc
	s_cbranch_execz .LBB583_96
; %bb.93:
	s_movk_i32 s10, 0x7f
	v_and_b32_e32 v53, 0x7f, v34
	v_cmp_ne_u32_e32 vcc, s10, v53
	v_mov_b32_e32 v57, 0x7f800001
	s_and_saveexec_b64 s[10:11], vcc
	s_cbranch_execz .LBB583_95
; %bb.94:
	v_and_b32_e32 v57, 7, v34
	v_ffbh_u32_e32 v58, v57
	v_min_u32_e32 v61, 32, v58
	v_subrev_u32_e32 v58, 28, v61
	v_lshlrev_b64 v[58:59], v58, v[34:35]
	v_lshrrev_b32_e32 v60, 3, v53
	v_sub_u32_e32 v34, 29, v61
	v_and_b32_e32 v58, 7, v58
	v_cmp_gt_u32_e32 vcc, 8, v53
	v_cndmask_b32_e32 v34, v60, v34, vcc
	v_cndmask_b32_e32 v53, v57, v58, vcc
	v_lshlrev_b32_e32 v57, 16, v37
	v_bfrev_b32_e32 v58, 60
	v_lshlrev_b32_e32 v53, 20, v53
	v_and_b32_e32 v57, 0x80000000, v57
	v_lshl_add_u32 v34, v34, 23, v58
	v_or3_b32 v57, v57, v34, v53
.LBB583_95:
	s_or_b64 exec, exec, s[10:11]
.LBB583_96:
	s_or_b64 exec, exec, s[8:9]
.LBB583_97:
	s_or_b64 exec, exec, s[2:3]
	s_movk_i32 s2, 0xff
	v_and_b32_sdwa v53, v37, s2 dst_sel:DWORD dst_unused:UNUSED_PAD src0_sel:WORD_1 src1_sel:DWORD
	v_lshrrev_b32_e32 v34, 16, v37
	v_cmp_ne_u16_e32 vcc, 0, v53
	s_and_saveexec_b64 s[2:3], vcc
	s_cbranch_execz .LBB583_103
; %bb.98:
	s_movk_i32 s8, 0x80
	v_cmp_ne_u16_e32 vcc, s8, v53
	v_bfrev_b32_e32 v36, 1
	s_and_saveexec_b64 s[8:9], vcc
	s_cbranch_execz .LBB583_102
; %bb.99:
	v_bfe_u32 v53, v37, 16, 7
	s_movk_i32 s10, 0x7f
	v_cmp_ne_u32_e32 vcc, s10, v53
	v_mov_b32_e32 v36, 0x7f800001
	s_and_saveexec_b64 s[10:11], vcc
	s_cbranch_execz .LBB583_101
; %bb.100:
	v_and_b32_e32 v36, 7, v34
	v_ffbh_u32_e32 v58, v36
	v_min_u32_e32 v61, 32, v58
	v_subrev_u32_e32 v58, 28, v61
	v_lshlrev_b64 v[58:59], v58, v[34:35]
	v_lshrrev_b32_e32 v60, 3, v53
	v_sub_u32_e32 v34, 29, v61
	v_and_b32_e32 v58, 7, v58
	v_cmp_gt_u32_e32 vcc, 8, v53
	v_mov_b32_e32 v53, 24
	v_cndmask_b32_e32 v34, v60, v34, vcc
	v_cndmask_b32_e32 v36, v36, v58, vcc
	v_lshlrev_b32_sdwa v53, v53, v37 dst_sel:DWORD dst_unused:UNUSED_PAD src0_sel:DWORD src1_sel:WORD_1
	v_bfrev_b32_e32 v58, 60
	v_lshlrev_b32_e32 v36, 20, v36
	v_and_b32_e32 v53, 0x80000000, v53
	v_lshl_add_u32 v34, v34, 23, v58
	v_or3_b32 v36, v53, v34, v36
.LBB583_101:
	s_or_b64 exec, exec, s[10:11]
.LBB583_102:
	s_or_b64 exec, exec, s[8:9]
.LBB583_103:
	s_or_b64 exec, exec, s[2:3]
	s_mov_b32 s2, 0xffffff
	v_cmp_lt_u32_e32 vcc, s2, v37
	v_mov_b32_e32 v53, 0
	v_mov_b32_e32 v58, 0
	s_and_saveexec_b64 s[2:3], vcc
	s_cbranch_execz .LBB583_109
; %bb.104:
	v_lshrrev_b32_e32 v34, 24, v37
	s_movk_i32 s8, 0x80
	v_cmp_ne_u32_e32 vcc, s8, v34
	v_bfrev_b32_e32 v58, 1
	s_and_saveexec_b64 s[8:9], vcc
	s_cbranch_execz .LBB583_108
; %bb.105:
	v_bfe_u32 v37, v37, 24, 7
	s_movk_i32 s10, 0x7f
	v_cmp_ne_u32_e32 vcc, s10, v37
	v_mov_b32_e32 v58, 0x7f800001
	s_and_saveexec_b64 s[10:11], vcc
	s_cbranch_execz .LBB583_107
; %bb.106:
	v_and_b32_e32 v60, 7, v34
	v_ffbh_u32_e32 v58, v60
	v_min_u32_e32 v62, 32, v58
	v_subrev_u32_e32 v58, 28, v62
	v_lshlrev_b64 v[58:59], v58, v[34:35]
	v_lshrrev_b32_e32 v61, 3, v37
	v_sub_u32_e32 v59, 29, v62
	v_and_b32_e32 v58, 7, v58
	v_cmp_gt_u32_e32 vcc, 8, v37
	v_cndmask_b32_e32 v37, v61, v59, vcc
	v_cndmask_b32_e32 v58, v60, v58, vcc
	v_lshlrev_b32_e32 v34, 24, v34
	v_bfrev_b32_e32 v59, 60
	v_lshlrev_b32_e32 v58, 20, v58
	v_and_b32_e32 v34, 0x80000000, v34
	v_lshl_add_u32 v37, v37, 23, v59
	v_or3_b32 v58, v34, v37, v58
.LBB583_107:
	s_or_b64 exec, exec, s[10:11]
.LBB583_108:
	s_or_b64 exec, exec, s[8:9]
.LBB583_109:
	s_or_b64 exec, exec, s[2:3]
	v_cvt_pkrtz_f16_f32 v34, v52, v54
	v_cvt_pkrtz_f16_f32 v35, v35, v56
	v_cmp_ne_u16_sdwa s[8:9], v38, v53 src0_sel:BYTE_0 src1_sel:DWORD
	s_nop 0
	v_mfma_f32_16x16x16f16 v[42:45], v[34:35], v[18:19], v[42:45]
	v_cvt_pkrtz_f16_f32 v34, v55, v57
	v_cvt_pkrtz_f16_f32 v35, v36, v58
	s_nop 1
	v_mfma_f32_16x16x16f16 v[34:37], v[34:35], v[20:21], v[42:45]
	s_and_saveexec_b64 s[2:3], s[8:9]
	s_cbranch_execz .LBB583_115
; %bb.110:
	s_movk_i32 s8, 0x80
	v_cmp_ne_u16_sdwa s[10:11], v38, s8 src0_sel:BYTE_0 src1_sel:DWORD
	v_bfrev_b32_e32 v53, 1
	s_and_saveexec_b64 s[8:9], s[10:11]
	s_cbranch_execz .LBB583_114
; %bb.111:
	s_movk_i32 s10, 0x7f
	v_and_b32_e32 v42, 0x7f, v38
	v_cmp_ne_u32_e32 vcc, s10, v42
	v_mov_b32_e32 v53, 0x7f800001
	s_and_saveexec_b64 s[10:11], vcc
	s_cbranch_execz .LBB583_113
; %bb.112:
	v_and_b32_e32 v43, 7, v38
	v_ffbh_u32_e32 v44, v43
	v_min_u32_e32 v53, 32, v44
	v_subrev_u32_e32 v44, 28, v53
	v_lshlrev_b64 v[44:45], v44, v[38:39]
	v_lshrrev_b32_e32 v52, 3, v42
	v_sub_u32_e32 v45, 29, v53
	v_and_b32_e32 v44, 7, v44
	v_cmp_gt_u32_e32 vcc, 8, v42
	v_cndmask_b32_e32 v42, v52, v45, vcc
	v_cndmask_b32_e32 v43, v43, v44, vcc
	v_lshlrev_b32_e32 v44, 24, v38
	v_bfrev_b32_e32 v45, 60
	v_lshlrev_b32_e32 v43, 20, v43
	v_and_b32_e32 v44, 0x80000000, v44
	v_lshl_add_u32 v42, v42, 23, v45
	v_or3_b32 v53, v44, v42, v43
.LBB583_113:
	s_or_b64 exec, exec, s[10:11]
.LBB583_114:
	s_or_b64 exec, exec, s[8:9]
.LBB583_115:
	s_or_b64 exec, exec, s[2:3]
	s_nop 3
	v_lshrrev_b16_e32 v42, 8, v38
	v_cmp_ne_u16_e32 vcc, 0, v42
	v_mov_b32_e32 v43, 0
	v_mov_b32_e32 v44, 0
	s_and_saveexec_b64 s[2:3], vcc
	s_cbranch_execz .LBB583_121
; %bb.116:
	s_movk_i32 s8, 0x80
	v_cmp_ne_u16_e32 vcc, s8, v42
	v_bfrev_b32_e32 v44, 1
	s_and_saveexec_b64 s[8:9], vcc
	s_cbranch_execz .LBB583_120
; %bb.117:
	s_movk_i32 s10, 0x7f
	v_and_b32_e32 v45, 0x7f, v42
	v_cmp_ne_u32_e32 vcc, s10, v45
	v_mov_b32_e32 v44, 0x7f800001
	s_and_saveexec_b64 s[10:11], vcc
	s_cbranch_execz .LBB583_119
; %bb.118:
	v_and_b32_e32 v44, 7, v42
	v_ffbh_u32_e32 v54, v44
	v_min_u32_e32 v56, 32, v54
	v_subrev_u32_e32 v54, 28, v56
	v_lshlrev_b64 v[54:55], v54, v[42:43]
	v_lshrrev_b32_e32 v52, 3, v45
	v_sub_u32_e32 v42, 29, v56
	v_and_b32_e32 v54, 7, v54
	v_cmp_gt_u32_e32 vcc, 8, v45
	v_cndmask_b32_e32 v42, v52, v42, vcc
	v_cndmask_b32_e32 v44, v44, v54, vcc
	v_lshlrev_b32_e32 v45, 16, v38
	v_bfrev_b32_e32 v52, 60
	v_lshlrev_b32_e32 v44, 20, v44
	v_and_b32_e32 v45, 0x80000000, v45
	v_lshl_add_u32 v42, v42, 23, v52
	v_or3_b32 v44, v45, v42, v44
.LBB583_119:
	s_or_b64 exec, exec, s[10:11]
.LBB583_120:
	s_or_b64 exec, exec, s[8:9]
.LBB583_121:
	s_or_b64 exec, exec, s[2:3]
	s_movk_i32 s2, 0xff
	v_and_b32_sdwa v45, v38, s2 dst_sel:DWORD dst_unused:UNUSED_PAD src0_sel:WORD_1 src1_sel:DWORD
	v_lshrrev_b32_e32 v42, 16, v38
	v_cmp_ne_u16_e32 vcc, 0, v45
	s_and_saveexec_b64 s[2:3], vcc
	s_cbranch_execz .LBB583_127
; %bb.122:
	s_movk_i32 s8, 0x80
	v_cmp_ne_u16_e32 vcc, s8, v45
	v_bfrev_b32_e32 v43, 1
	s_and_saveexec_b64 s[8:9], vcc
	s_cbranch_execz .LBB583_126
; %bb.123:
	v_bfe_u32 v45, v38, 16, 7
	s_movk_i32 s10, 0x7f
	v_cmp_ne_u32_e32 vcc, s10, v45
	v_mov_b32_e32 v43, 0x7f800001
	s_and_saveexec_b64 s[10:11], vcc
	s_cbranch_execz .LBB583_125
; %bb.124:
	v_and_b32_e32 v52, 7, v42
	v_ffbh_u32_e32 v43, v52
	v_min_u32_e32 v55, 32, v43
	v_subrev_u32_e32 v43, 28, v55
	v_lshlrev_b64 v[42:43], v43, v[42:43]
	v_lshrrev_b32_e32 v54, 3, v45
	v_sub_u32_e32 v43, 29, v55
	v_and_b32_e32 v42, 7, v42
	v_cmp_gt_u32_e32 vcc, 8, v45
	v_mov_b32_e32 v45, 24
	v_cndmask_b32_e32 v43, v54, v43, vcc
	v_cndmask_b32_e32 v42, v52, v42, vcc
	v_lshlrev_b32_sdwa v45, v45, v38 dst_sel:DWORD dst_unused:UNUSED_PAD src0_sel:DWORD src1_sel:WORD_1
	v_bfrev_b32_e32 v52, 60
	v_lshlrev_b32_e32 v42, 20, v42
	v_and_b32_e32 v45, 0x80000000, v45
	v_lshl_add_u32 v43, v43, 23, v52
	v_or3_b32 v43, v45, v43, v42
.LBB583_125:
	s_or_b64 exec, exec, s[10:11]
.LBB583_126:
	s_or_b64 exec, exec, s[8:9]
.LBB583_127:
	s_or_b64 exec, exec, s[2:3]
	s_mov_b32 s2, 0xffffff
	v_cmp_lt_u32_e32 vcc, s2, v38
	v_mov_b32_e32 v45, 0
	v_mov_b32_e32 v54, 0
	s_and_saveexec_b64 s[2:3], vcc
	s_cbranch_execz .LBB583_133
; %bb.128:
	v_lshrrev_b32_e32 v42, 24, v38
	s_movk_i32 s8, 0x80
	v_cmp_ne_u32_e32 vcc, s8, v42
	v_bfrev_b32_e32 v54, 1
	s_and_saveexec_b64 s[8:9], vcc
	s_cbranch_execz .LBB583_132
; %bb.129:
	v_bfe_u32 v38, v38, 24, 7
	s_movk_i32 s10, 0x7f
	v_cmp_ne_u32_e32 vcc, s10, v38
	v_mov_b32_e32 v54, 0x7f800001
	s_and_saveexec_b64 s[10:11], vcc
	s_cbranch_execz .LBB583_131
; %bb.130:
	v_and_b32_e32 v52, 7, v42
	v_ffbh_u32_e32 v54, v52
	v_min_u32_e32 v57, 32, v54
	v_subrev_u32_e32 v54, 28, v57
	v_lshlrev_b64 v[54:55], v54, v[42:43]
	v_lshrrev_b32_e32 v56, 3, v38
	v_sub_u32_e32 v55, 29, v57
	v_and_b32_e32 v54, 7, v54
	v_cmp_gt_u32_e32 vcc, 8, v38
	v_cndmask_b32_e32 v38, v56, v55, vcc
	v_cndmask_b32_e32 v52, v52, v54, vcc
	v_lshlrev_b32_e32 v42, 24, v42
	v_bfrev_b32_e32 v54, 60
	v_lshlrev_b32_e32 v52, 20, v52
	v_and_b32_e32 v42, 0x80000000, v42
	v_lshl_add_u32 v38, v38, 23, v54
	v_or3_b32 v54, v42, v38, v52
.LBB583_131:
	s_or_b64 exec, exec, s[10:11]
.LBB583_132:
	s_or_b64 exec, exec, s[8:9]
.LBB583_133:
	s_or_b64 exec, exec, s[2:3]
	v_cmp_ne_u16_sdwa s[8:9], v39, v45 src0_sel:BYTE_0 src1_sel:DWORD
	s_and_saveexec_b64 s[2:3], s[8:9]
	s_cbranch_execz .LBB583_139
; %bb.134:
	s_movk_i32 s8, 0x80
	v_cmp_ne_u16_sdwa s[10:11], v39, s8 src0_sel:BYTE_0 src1_sel:DWORD
	v_bfrev_b32_e32 v45, 1
	s_and_saveexec_b64 s[8:9], s[10:11]
	s_cbranch_execz .LBB583_138
; %bb.135:
	s_movk_i32 s10, 0x7f
	v_and_b32_e32 v38, 0x7f, v39
	v_cmp_ne_u32_e32 vcc, s10, v38
	v_mov_b32_e32 v45, 0x7f800001
	s_and_saveexec_b64 s[10:11], vcc
	s_cbranch_execz .LBB583_137
; %bb.136:
	v_and_b32_e32 v45, 7, v39
	v_ffbh_u32_e32 v55, v45
	v_min_u32_e32 v55, 32, v55
	v_mov_b32_e32 v42, v39
	v_subrev_u32_e32 v56, 28, v55
	v_lshlrev_b64 v[56:57], v56, v[42:43]
	v_lshrrev_b32_e32 v52, 3, v38
	v_sub_u32_e32 v42, 29, v55
	v_and_b32_e32 v55, 7, v56
	v_cmp_gt_u32_e32 vcc, 8, v38
	v_cndmask_b32_e32 v38, v52, v42, vcc
	v_cndmask_b32_e32 v42, v45, v55, vcc
	v_lshlrev_b32_e32 v45, 24, v39
	v_bfrev_b32_e32 v52, 60
	v_lshlrev_b32_e32 v42, 20, v42
	v_and_b32_e32 v45, 0x80000000, v45
	v_lshl_add_u32 v38, v38, 23, v52
	v_or3_b32 v45, v45, v38, v42
.LBB583_137:
	s_or_b64 exec, exec, s[10:11]
.LBB583_138:
	s_or_b64 exec, exec, s[8:9]
.LBB583_139:
	s_or_b64 exec, exec, s[2:3]
	v_lshrrev_b16_e32 v38, 8, v39
	v_cmp_ne_u16_e32 vcc, 0, v38
	v_mov_b32_e32 v42, 0
	v_mov_b32_e32 v55, 0
	s_and_saveexec_b64 s[2:3], vcc
	s_cbranch_execz .LBB583_145
; %bb.140:
	s_movk_i32 s8, 0x80
	v_cmp_ne_u16_e32 vcc, s8, v38
	v_bfrev_b32_e32 v55, 1
	s_and_saveexec_b64 s[8:9], vcc
	s_cbranch_execz .LBB583_144
; %bb.141:
	s_movk_i32 s10, 0x7f
	v_and_b32_e32 v52, 0x7f, v38
	v_cmp_ne_u32_e32 vcc, s10, v52
	v_mov_b32_e32 v55, 0x7f800001
	s_and_saveexec_b64 s[10:11], vcc
	s_cbranch_execz .LBB583_143
; %bb.142:
	v_and_b32_e32 v55, 7, v38
	v_ffbh_u32_e32 v56, v55
	v_min_u32_e32 v59, 32, v56
	v_subrev_u32_e32 v56, 28, v59
	v_lshlrev_b64 v[56:57], v56, v[38:39]
	v_lshrrev_b32_e32 v58, 3, v52
	v_sub_u32_e32 v38, 29, v59
	v_and_b32_e32 v56, 7, v56
	v_cmp_gt_u32_e32 vcc, 8, v52
	v_cndmask_b32_e32 v38, v58, v38, vcc
	v_cndmask_b32_e32 v52, v55, v56, vcc
	v_lshlrev_b32_e32 v55, 16, v39
	v_bfrev_b32_e32 v56, 60
	v_lshlrev_b32_e32 v52, 20, v52
	v_and_b32_e32 v55, 0x80000000, v55
	v_lshl_add_u32 v38, v38, 23, v56
	v_or3_b32 v55, v55, v38, v52
.LBB583_143:
	s_or_b64 exec, exec, s[10:11]
.LBB583_144:
	s_or_b64 exec, exec, s[8:9]
.LBB583_145:
	s_or_b64 exec, exec, s[2:3]
	s_movk_i32 s2, 0xff
	v_and_b32_sdwa v52, v39, s2 dst_sel:DWORD dst_unused:UNUSED_PAD src0_sel:WORD_1 src1_sel:DWORD
	v_lshrrev_b32_e32 v38, 16, v39
	v_cmp_ne_u16_e32 vcc, 0, v52
	s_and_saveexec_b64 s[2:3], vcc
	s_cbranch_execz .LBB583_151
; %bb.146:
	s_movk_i32 s8, 0x80
	v_cmp_ne_u16_e32 vcc, s8, v52
	v_bfrev_b32_e32 v42, 1
	s_and_saveexec_b64 s[8:9], vcc
	s_cbranch_execz .LBB583_150
; %bb.147:
	v_bfe_u32 v52, v39, 16, 7
	s_movk_i32 s10, 0x7f
	v_cmp_ne_u32_e32 vcc, s10, v52
	v_mov_b32_e32 v42, 0x7f800001
	s_and_saveexec_b64 s[10:11], vcc
	s_cbranch_execz .LBB583_149
; %bb.148:
	v_and_b32_e32 v42, 7, v38
	v_ffbh_u32_e32 v56, v42
	v_min_u32_e32 v59, 32, v56
	v_subrev_u32_e32 v56, 28, v59
	v_lshlrev_b64 v[56:57], v56, v[38:39]
	v_lshrrev_b32_e32 v58, 3, v52
	v_sub_u32_e32 v38, 29, v59
	v_and_b32_e32 v56, 7, v56
	v_cmp_gt_u32_e32 vcc, 8, v52
	v_mov_b32_e32 v52, 24
	v_cndmask_b32_e32 v38, v58, v38, vcc
	v_cndmask_b32_e32 v42, v42, v56, vcc
	v_lshlrev_b32_sdwa v52, v52, v39 dst_sel:DWORD dst_unused:UNUSED_PAD src0_sel:DWORD src1_sel:WORD_1
	v_bfrev_b32_e32 v56, 60
	v_lshlrev_b32_e32 v42, 20, v42
	v_and_b32_e32 v52, 0x80000000, v52
	v_lshl_add_u32 v38, v38, 23, v56
	v_or3_b32 v42, v52, v38, v42
.LBB583_149:
	s_or_b64 exec, exec, s[10:11]
.LBB583_150:
	s_or_b64 exec, exec, s[8:9]
.LBB583_151:
	s_or_b64 exec, exec, s[2:3]
	s_mov_b32 s2, 0xffffff
	v_cmp_lt_u32_e32 vcc, s2, v39
	v_mov_b32_e32 v52, 0
	v_mov_b32_e32 v56, 0
	s_and_saveexec_b64 s[2:3], vcc
	s_cbranch_execz .LBB583_157
; %bb.152:
	v_lshrrev_b32_e32 v38, 24, v39
	s_movk_i32 s8, 0x80
	v_cmp_ne_u32_e32 vcc, s8, v38
	v_bfrev_b32_e32 v56, 1
	s_and_saveexec_b64 s[8:9], vcc
	s_cbranch_execz .LBB583_156
; %bb.153:
	v_bfe_u32 v39, v39, 24, 7
	s_movk_i32 s10, 0x7f
	v_cmp_ne_u32_e32 vcc, s10, v39
	v_mov_b32_e32 v56, 0x7f800001
	s_and_saveexec_b64 s[10:11], vcc
	s_cbranch_execz .LBB583_155
; %bb.154:
	v_and_b32_e32 v58, 7, v38
	v_ffbh_u32_e32 v56, v58
	v_min_u32_e32 v60, 32, v56
	v_subrev_u32_e32 v56, 28, v60
	v_lshlrev_b64 v[56:57], v56, v[38:39]
	v_lshrrev_b32_e32 v59, 3, v39
	v_sub_u32_e32 v57, 29, v60
	v_and_b32_e32 v56, 7, v56
	v_cmp_gt_u32_e32 vcc, 8, v39
	v_cndmask_b32_e32 v39, v59, v57, vcc
	v_cndmask_b32_e32 v56, v58, v56, vcc
	v_lshlrev_b32_e32 v38, 24, v38
	v_bfrev_b32_e32 v57, 60
	v_lshlrev_b32_e32 v56, 20, v56
	v_and_b32_e32 v38, 0x80000000, v38
	v_lshl_add_u32 v39, v39, 23, v57
	v_or3_b32 v56, v38, v39, v56
.LBB583_155:
	s_or_b64 exec, exec, s[10:11]
.LBB583_156:
	s_or_b64 exec, exec, s[8:9]
.LBB583_157:
	s_or_b64 exec, exec, s[2:3]
	v_cvt_pkrtz_f16_f32 v38, v53, v44
	v_cvt_pkrtz_f16_f32 v39, v43, v54
	v_cmp_ne_u16_sdwa s[8:9], v40, v52 src0_sel:BYTE_0 src1_sel:DWORD
	s_nop 0
	v_mfma_f32_16x16x16f16 v[58:61], v[38:39], v[26:27], 0
	v_cvt_pkrtz_f16_f32 v38, v45, v55
	v_cvt_pkrtz_f16_f32 v39, v42, v56
	s_nop 1
	v_mfma_f32_16x16x16f16 v[42:45], v[38:39], v[28:29], v[58:61]
	s_and_saveexec_b64 s[2:3], s[8:9]
	s_cbranch_execz .LBB583_163
; %bb.158:
	s_movk_i32 s8, 0x80
	v_cmp_ne_u16_sdwa s[10:11], v40, s8 src0_sel:BYTE_0 src1_sel:DWORD
	v_bfrev_b32_e32 v52, 1
	s_and_saveexec_b64 s[8:9], s[10:11]
	s_cbranch_execz .LBB583_162
; %bb.159:
	s_movk_i32 s10, 0x7f
	v_and_b32_e32 v38, 0x7f, v40
	v_cmp_ne_u32_e32 vcc, s10, v38
	v_mov_b32_e32 v52, 0x7f800001
	s_and_saveexec_b64 s[10:11], vcc
	s_cbranch_execz .LBB583_161
; %bb.160:
	v_and_b32_e32 v39, 7, v40
	v_ffbh_u32_e32 v52, v39
	v_min_u32_e32 v55, 32, v52
	v_subrev_u32_e32 v52, 28, v55
	v_lshlrev_b64 v[52:53], v52, v[40:41]
	v_lshrrev_b32_e32 v54, 3, v38
	v_sub_u32_e32 v53, 29, v55
	v_and_b32_e32 v52, 7, v52
	v_cmp_gt_u32_e32 vcc, 8, v38
	v_cndmask_b32_e32 v38, v54, v53, vcc
	v_cndmask_b32_e32 v39, v39, v52, vcc
	v_lshlrev_b32_e32 v52, 24, v40
	v_bfrev_b32_e32 v53, 60
	v_lshlrev_b32_e32 v39, 20, v39
	v_and_b32_e32 v52, 0x80000000, v52
	v_lshl_add_u32 v38, v38, 23, v53
	v_or3_b32 v52, v52, v38, v39
.LBB583_161:
	s_or_b64 exec, exec, s[10:11]
.LBB583_162:
	s_or_b64 exec, exec, s[8:9]
.LBB583_163:
	s_or_b64 exec, exec, s[2:3]
	v_lshrrev_b16_e32 v38, 8, v40
	v_cmp_ne_u16_e32 vcc, 0, v38
	v_mov_b32_e32 v39, 0
	v_mov_b32_e32 v54, 0
	s_and_saveexec_b64 s[2:3], vcc
	s_cbranch_execz .LBB583_169
; %bb.164:
	s_movk_i32 s8, 0x80
	v_cmp_ne_u16_e32 vcc, s8, v38
	v_bfrev_b32_e32 v54, 1
	s_and_saveexec_b64 s[8:9], vcc
	s_cbranch_execz .LBB583_168
; %bb.165:
	s_movk_i32 s10, 0x7f
	v_and_b32_e32 v53, 0x7f, v38
	v_cmp_ne_u32_e32 vcc, s10, v53
	v_mov_b32_e32 v54, 0x7f800001
	s_and_saveexec_b64 s[10:11], vcc
	s_cbranch_execz .LBB583_167
; %bb.166:
	v_and_b32_e32 v56, 7, v38
	v_ffbh_u32_e32 v54, v56
	v_min_u32_e32 v58, 32, v54
	v_subrev_u32_e32 v54, 28, v58
	v_lshlrev_b64 v[54:55], v54, v[38:39]
	v_lshrrev_b32_e32 v57, 3, v53
	v_sub_u32_e32 v38, 29, v58
	v_and_b32_e32 v54, 7, v54
	v_cmp_gt_u32_e32 vcc, 8, v53
	v_cndmask_b32_e32 v38, v57, v38, vcc
	v_cndmask_b32_e32 v53, v56, v54, vcc
	v_lshlrev_b32_e32 v54, 16, v40
	v_bfrev_b32_e32 v55, 60
	v_lshlrev_b32_e32 v53, 20, v53
	v_and_b32_e32 v54, 0x80000000, v54
	v_lshl_add_u32 v38, v38, 23, v55
	v_or3_b32 v54, v54, v38, v53
.LBB583_167:
	s_or_b64 exec, exec, s[10:11]
.LBB583_168:
	s_or_b64 exec, exec, s[8:9]
.LBB583_169:
	s_or_b64 exec, exec, s[2:3]
	s_movk_i32 s2, 0xff
	v_and_b32_sdwa v53, v40, s2 dst_sel:DWORD dst_unused:UNUSED_PAD src0_sel:WORD_1 src1_sel:DWORD
	v_lshrrev_b32_e32 v38, 16, v40
	v_cmp_ne_u16_e32 vcc, 0, v53
	s_and_saveexec_b64 s[2:3], vcc
	s_cbranch_execz .LBB583_175
; %bb.170:
	s_movk_i32 s8, 0x80
	v_cmp_ne_u16_e32 vcc, s8, v53
	v_bfrev_b32_e32 v39, 1
	s_and_saveexec_b64 s[8:9], vcc
	s_cbranch_execz .LBB583_174
; %bb.171:
	v_bfe_u32 v53, v40, 16, 7
	s_movk_i32 s10, 0x7f
	v_cmp_ne_u32_e32 vcc, s10, v53
	v_mov_b32_e32 v39, 0x7f800001
	s_and_saveexec_b64 s[10:11], vcc
	s_cbranch_execz .LBB583_173
; %bb.172:
	v_and_b32_e32 v55, 7, v38
	v_ffbh_u32_e32 v39, v55
	v_min_u32_e32 v57, 32, v39
	v_subrev_u32_e32 v39, 28, v57
	v_lshlrev_b64 v[38:39], v39, v[38:39]
	v_lshrrev_b32_e32 v56, 3, v53
	v_sub_u32_e32 v39, 29, v57
	v_and_b32_e32 v38, 7, v38
	v_cmp_gt_u32_e32 vcc, 8, v53
	v_mov_b32_e32 v53, 24
	v_cndmask_b32_e32 v39, v56, v39, vcc
	v_cndmask_b32_e32 v38, v55, v38, vcc
	v_lshlrev_b32_sdwa v53, v53, v40 dst_sel:DWORD dst_unused:UNUSED_PAD src0_sel:DWORD src1_sel:WORD_1
	v_bfrev_b32_e32 v55, 60
	v_lshlrev_b32_e32 v38, 20, v38
	v_and_b32_e32 v53, 0x80000000, v53
	v_lshl_add_u32 v39, v39, 23, v55
	v_or3_b32 v39, v53, v39, v38
.LBB583_173:
	s_or_b64 exec, exec, s[10:11]
.LBB583_174:
	s_or_b64 exec, exec, s[8:9]
.LBB583_175:
	s_or_b64 exec, exec, s[2:3]
	s_mov_b32 s2, 0xffffff
	v_cmp_lt_u32_e32 vcc, s2, v40
	v_mov_b32_e32 v55, 0
	v_mov_b32_e32 v56, 0
	s_and_saveexec_b64 s[2:3], vcc
	s_cbranch_execz .LBB583_181
; %bb.176:
	v_lshrrev_b32_e32 v38, 24, v40
	s_movk_i32 s8, 0x80
	v_cmp_ne_u32_e32 vcc, s8, v38
	v_bfrev_b32_e32 v56, 1
	s_and_saveexec_b64 s[8:9], vcc
	s_cbranch_execz .LBB583_180
; %bb.177:
	v_bfe_u32 v40, v40, 24, 7
	s_movk_i32 s10, 0x7f
	v_cmp_ne_u32_e32 vcc, s10, v40
	v_mov_b32_e32 v56, 0x7f800001
	s_and_saveexec_b64 s[10:11], vcc
	s_cbranch_execz .LBB583_179
; %bb.178:
	v_and_b32_e32 v53, 7, v38
	v_ffbh_u32_e32 v56, v53
	v_min_u32_e32 v59, 32, v56
	v_subrev_u32_e32 v56, 28, v59
	v_lshlrev_b64 v[56:57], v56, v[38:39]
	v_lshrrev_b32_e32 v58, 3, v40
	v_sub_u32_e32 v57, 29, v59
	v_and_b32_e32 v56, 7, v56
	v_cmp_gt_u32_e32 vcc, 8, v40
	v_cndmask_b32_e32 v40, v58, v57, vcc
	v_cndmask_b32_e32 v53, v53, v56, vcc
	v_lshlrev_b32_e32 v38, 24, v38
	v_bfrev_b32_e32 v56, 60
	v_lshlrev_b32_e32 v53, 20, v53
	v_and_b32_e32 v38, 0x80000000, v38
	v_lshl_add_u32 v40, v40, 23, v56
	v_or3_b32 v56, v38, v40, v53
.LBB583_179:
	s_or_b64 exec, exec, s[10:11]
.LBB583_180:
	s_or_b64 exec, exec, s[8:9]
.LBB583_181:
	s_or_b64 exec, exec, s[2:3]
	v_cmp_ne_u16_sdwa s[8:9], v41, v55 src0_sel:BYTE_0 src1_sel:DWORD
	s_and_saveexec_b64 s[2:3], s[8:9]
	s_cbranch_execz .LBB583_187
; %bb.182:
	s_movk_i32 s8, 0x80
	v_cmp_ne_u16_sdwa s[10:11], v41, s8 src0_sel:BYTE_0 src1_sel:DWORD
	v_bfrev_b32_e32 v55, 1
	s_and_saveexec_b64 s[8:9], s[10:11]
	s_cbranch_execz .LBB583_186
; %bb.183:
	s_movk_i32 s10, 0x7f
	v_and_b32_e32 v38, 0x7f, v41
	v_cmp_ne_u32_e32 vcc, s10, v38
	v_mov_b32_e32 v55, 0x7f800001
	s_and_saveexec_b64 s[10:11], vcc
	s_cbranch_execz .LBB583_185
; %bb.184:
	v_and_b32_e32 v53, 7, v41
	v_ffbh_u32_e32 v57, v53
	v_min_u32_e32 v57, 32, v57
	v_mov_b32_e32 v40, v41
	v_subrev_u32_e32 v58, 28, v57
	v_lshlrev_b64 v[58:59], v58, v[40:41]
	v_lshrrev_b32_e32 v55, 3, v38
	v_sub_u32_e32 v40, 29, v57
	v_and_b32_e32 v57, 7, v58
	v_cmp_gt_u32_e32 vcc, 8, v38
	v_cndmask_b32_e32 v38, v55, v40, vcc
	v_cndmask_b32_e32 v40, v53, v57, vcc
	v_lshlrev_b32_e32 v53, 24, v41
	v_bfrev_b32_e32 v55, 60
	v_lshlrev_b32_e32 v40, 20, v40
	v_and_b32_e32 v53, 0x80000000, v53
	v_lshl_add_u32 v38, v38, 23, v55
	v_or3_b32 v55, v53, v38, v40
.LBB583_185:
	s_or_b64 exec, exec, s[10:11]
.LBB583_186:
	s_or_b64 exec, exec, s[8:9]
.LBB583_187:
	s_or_b64 exec, exec, s[2:3]
	v_lshrrev_b16_e32 v38, 8, v41
	v_cmp_ne_u16_e32 vcc, 0, v38
	v_mov_b32_e32 v40, 0
	v_mov_b32_e32 v57, 0
	s_and_saveexec_b64 s[2:3], vcc
	s_cbranch_execz .LBB583_193
; %bb.188:
	s_movk_i32 s8, 0x80
	v_cmp_ne_u16_e32 vcc, s8, v38
	v_bfrev_b32_e32 v57, 1
	s_and_saveexec_b64 s[8:9], vcc
	s_cbranch_execz .LBB583_192
; %bb.189:
	s_movk_i32 s10, 0x7f
	v_and_b32_e32 v53, 0x7f, v38
	v_cmp_ne_u32_e32 vcc, s10, v53
	v_mov_b32_e32 v57, 0x7f800001
	s_and_saveexec_b64 s[10:11], vcc
	s_cbranch_execz .LBB583_191
; %bb.190:
	v_and_b32_e32 v57, 7, v38
	v_ffbh_u32_e32 v58, v57
	v_min_u32_e32 v61, 32, v58
	v_subrev_u32_e32 v58, 28, v61
	v_lshlrev_b64 v[58:59], v58, v[38:39]
	v_lshrrev_b32_e32 v60, 3, v53
	v_sub_u32_e32 v38, 29, v61
	v_and_b32_e32 v58, 7, v58
	v_cmp_gt_u32_e32 vcc, 8, v53
	v_cndmask_b32_e32 v38, v60, v38, vcc
	v_cndmask_b32_e32 v53, v57, v58, vcc
	v_lshlrev_b32_e32 v57, 16, v41
	v_bfrev_b32_e32 v58, 60
	v_lshlrev_b32_e32 v53, 20, v53
	v_and_b32_e32 v57, 0x80000000, v57
	v_lshl_add_u32 v38, v38, 23, v58
	v_or3_b32 v57, v57, v38, v53
.LBB583_191:
	s_or_b64 exec, exec, s[10:11]
.LBB583_192:
	s_or_b64 exec, exec, s[8:9]
.LBB583_193:
	s_or_b64 exec, exec, s[2:3]
	s_movk_i32 s2, 0xff
	v_and_b32_sdwa v53, v41, s2 dst_sel:DWORD dst_unused:UNUSED_PAD src0_sel:WORD_1 src1_sel:DWORD
	v_lshrrev_b32_e32 v38, 16, v41
	v_cmp_ne_u16_e32 vcc, 0, v53
	s_and_saveexec_b64 s[2:3], vcc
	s_cbranch_execz .LBB583_199
; %bb.194:
	s_movk_i32 s8, 0x80
	v_cmp_ne_u16_e32 vcc, s8, v53
	v_bfrev_b32_e32 v40, 1
	s_and_saveexec_b64 s[8:9], vcc
	s_cbranch_execz .LBB583_198
; %bb.195:
	v_bfe_u32 v53, v41, 16, 7
	s_movk_i32 s10, 0x7f
	v_cmp_ne_u32_e32 vcc, s10, v53
	v_mov_b32_e32 v40, 0x7f800001
	s_and_saveexec_b64 s[10:11], vcc
	s_cbranch_execz .LBB583_197
; %bb.196:
	v_and_b32_e32 v40, 7, v38
	v_ffbh_u32_e32 v58, v40
	v_min_u32_e32 v61, 32, v58
	v_subrev_u32_e32 v58, 28, v61
	v_lshlrev_b64 v[58:59], v58, v[38:39]
	v_lshrrev_b32_e32 v60, 3, v53
	v_sub_u32_e32 v38, 29, v61
	v_and_b32_e32 v58, 7, v58
	v_cmp_gt_u32_e32 vcc, 8, v53
	v_mov_b32_e32 v53, 24
	v_cndmask_b32_e32 v38, v60, v38, vcc
	v_cndmask_b32_e32 v40, v40, v58, vcc
	v_lshlrev_b32_sdwa v53, v53, v41 dst_sel:DWORD dst_unused:UNUSED_PAD src0_sel:DWORD src1_sel:WORD_1
	v_bfrev_b32_e32 v58, 60
	v_lshlrev_b32_e32 v40, 20, v40
	v_and_b32_e32 v53, 0x80000000, v53
	v_lshl_add_u32 v38, v38, 23, v58
	v_or3_b32 v40, v53, v38, v40
.LBB583_197:
	s_or_b64 exec, exec, s[10:11]
.LBB583_198:
	s_or_b64 exec, exec, s[8:9]
.LBB583_199:
	s_or_b64 exec, exec, s[2:3]
	s_mov_b32 s2, 0xffffff
	v_cmp_lt_u32_e32 vcc, s2, v41
	v_mov_b32_e32 v53, 0
	v_mov_b32_e32 v58, 0
	s_and_saveexec_b64 s[2:3], vcc
	s_cbranch_execz .LBB583_205
; %bb.200:
	v_lshrrev_b32_e32 v38, 24, v41
	s_movk_i32 s8, 0x80
	v_cmp_ne_u32_e32 vcc, s8, v38
	v_bfrev_b32_e32 v58, 1
	s_and_saveexec_b64 s[8:9], vcc
	s_cbranch_execz .LBB583_204
; %bb.201:
	v_bfe_u32 v41, v41, 24, 7
	s_movk_i32 s10, 0x7f
	v_cmp_ne_u32_e32 vcc, s10, v41
	v_mov_b32_e32 v58, 0x7f800001
	s_and_saveexec_b64 s[10:11], vcc
	s_cbranch_execz .LBB583_203
; %bb.202:
	v_and_b32_e32 v60, 7, v38
	v_ffbh_u32_e32 v58, v60
	v_min_u32_e32 v62, 32, v58
	v_subrev_u32_e32 v58, 28, v62
	v_lshlrev_b64 v[58:59], v58, v[38:39]
	v_lshrrev_b32_e32 v61, 3, v41
	v_sub_u32_e32 v59, 29, v62
	v_and_b32_e32 v58, 7, v58
	v_cmp_gt_u32_e32 vcc, 8, v41
	v_cndmask_b32_e32 v41, v61, v59, vcc
	v_cndmask_b32_e32 v58, v60, v58, vcc
	v_lshlrev_b32_e32 v38, 24, v38
	v_bfrev_b32_e32 v59, 60
	v_lshlrev_b32_e32 v58, 20, v58
	v_and_b32_e32 v38, 0x80000000, v38
	v_lshl_add_u32 v41, v41, 23, v59
	v_or3_b32 v58, v38, v41, v58
.LBB583_203:
	s_or_b64 exec, exec, s[10:11]
.LBB583_204:
	s_or_b64 exec, exec, s[8:9]
.LBB583_205:
	s_or_b64 exec, exec, s[2:3]
	v_cvt_pkrtz_f16_f32 v38, v52, v54
	v_cvt_pkrtz_f16_f32 v39, v39, v56
	v_cmp_ne_u16_sdwa s[8:9], v30, v53 src0_sel:BYTE_0 src1_sel:DWORD
	s_nop 0
	v_mfma_f32_16x16x16f16 v[42:45], v[38:39], v[18:19], v[42:45]
	v_cvt_pkrtz_f16_f32 v38, v55, v57
	v_cvt_pkrtz_f16_f32 v39, v40, v58
	s_nop 1
	v_mfma_f32_16x16x16f16 v[38:41], v[38:39], v[20:21], v[42:45]
	s_and_saveexec_b64 s[2:3], s[8:9]
	s_cbranch_execz .LBB583_211
; %bb.206:
	s_movk_i32 s8, 0x80
	v_cmp_ne_u16_sdwa s[10:11], v30, s8 src0_sel:BYTE_0 src1_sel:DWORD
	v_bfrev_b32_e32 v53, 1
	s_and_saveexec_b64 s[8:9], s[10:11]
	s_cbranch_execz .LBB583_210
; %bb.207:
	s_movk_i32 s10, 0x7f
	v_and_b32_e32 v42, 0x7f, v30
	v_cmp_ne_u32_e32 vcc, s10, v42
	v_mov_b32_e32 v53, 0x7f800001
	s_and_saveexec_b64 s[10:11], vcc
	s_cbranch_execz .LBB583_209
; %bb.208:
	v_and_b32_e32 v43, 7, v30
	v_ffbh_u32_e32 v44, v43
	v_min_u32_e32 v53, 32, v44
	v_subrev_u32_e32 v44, 28, v53
	v_lshlrev_b64 v[44:45], v44, v[30:31]
	v_lshrrev_b32_e32 v52, 3, v42
	v_sub_u32_e32 v45, 29, v53
	v_and_b32_e32 v44, 7, v44
	v_cmp_gt_u32_e32 vcc, 8, v42
	v_cndmask_b32_e32 v42, v52, v45, vcc
	v_cndmask_b32_e32 v43, v43, v44, vcc
	v_lshlrev_b32_e32 v44, 24, v30
	v_bfrev_b32_e32 v45, 60
	v_lshlrev_b32_e32 v43, 20, v43
	v_and_b32_e32 v44, 0x80000000, v44
	v_lshl_add_u32 v42, v42, 23, v45
	v_or3_b32 v53, v44, v42, v43
.LBB583_209:
	s_or_b64 exec, exec, s[10:11]
.LBB583_210:
	s_or_b64 exec, exec, s[8:9]
.LBB583_211:
	s_or_b64 exec, exec, s[2:3]
	s_nop 3
	v_lshrrev_b16_e32 v42, 8, v30
	v_cmp_ne_u16_e32 vcc, 0, v42
	v_mov_b32_e32 v43, 0
	v_mov_b32_e32 v44, 0
	s_and_saveexec_b64 s[2:3], vcc
	s_cbranch_execz .LBB583_217
; %bb.212:
	s_movk_i32 s8, 0x80
	v_cmp_ne_u16_e32 vcc, s8, v42
	v_bfrev_b32_e32 v44, 1
	s_and_saveexec_b64 s[8:9], vcc
	s_cbranch_execz .LBB583_216
; %bb.213:
	s_movk_i32 s10, 0x7f
	v_and_b32_e32 v45, 0x7f, v42
	v_cmp_ne_u32_e32 vcc, s10, v45
	v_mov_b32_e32 v44, 0x7f800001
	s_and_saveexec_b64 s[10:11], vcc
	s_cbranch_execz .LBB583_215
; %bb.214:
	v_and_b32_e32 v44, 7, v42
	v_ffbh_u32_e32 v54, v44
	v_min_u32_e32 v56, 32, v54
	v_subrev_u32_e32 v54, 28, v56
	v_lshlrev_b64 v[54:55], v54, v[42:43]
	v_lshrrev_b32_e32 v52, 3, v45
	v_sub_u32_e32 v42, 29, v56
	v_and_b32_e32 v54, 7, v54
	v_cmp_gt_u32_e32 vcc, 8, v45
	v_cndmask_b32_e32 v42, v52, v42, vcc
	v_cndmask_b32_e32 v44, v44, v54, vcc
	v_lshlrev_b32_e32 v45, 16, v30
	v_bfrev_b32_e32 v52, 60
	v_lshlrev_b32_e32 v44, 20, v44
	v_and_b32_e32 v45, 0x80000000, v45
	v_lshl_add_u32 v42, v42, 23, v52
	v_or3_b32 v44, v45, v42, v44
.LBB583_215:
	s_or_b64 exec, exec, s[10:11]
.LBB583_216:
	s_or_b64 exec, exec, s[8:9]
.LBB583_217:
	s_or_b64 exec, exec, s[2:3]
	s_movk_i32 s2, 0xff
	v_and_b32_sdwa v45, v30, s2 dst_sel:DWORD dst_unused:UNUSED_PAD src0_sel:WORD_1 src1_sel:DWORD
	v_lshrrev_b32_e32 v42, 16, v30
	v_cmp_ne_u16_e32 vcc, 0, v45
	s_and_saveexec_b64 s[2:3], vcc
	s_cbranch_execz .LBB583_223
; %bb.218:
	s_movk_i32 s8, 0x80
	v_cmp_ne_u16_e32 vcc, s8, v45
	v_bfrev_b32_e32 v43, 1
	s_and_saveexec_b64 s[8:9], vcc
	s_cbranch_execz .LBB583_222
; %bb.219:
	v_bfe_u32 v45, v30, 16, 7
	s_movk_i32 s10, 0x7f
	v_cmp_ne_u32_e32 vcc, s10, v45
	v_mov_b32_e32 v43, 0x7f800001
	s_and_saveexec_b64 s[10:11], vcc
	s_cbranch_execz .LBB583_221
; %bb.220:
	v_and_b32_e32 v52, 7, v42
	v_ffbh_u32_e32 v43, v52
	v_min_u32_e32 v55, 32, v43
	v_subrev_u32_e32 v43, 28, v55
	v_lshlrev_b64 v[42:43], v43, v[42:43]
	v_lshrrev_b32_e32 v54, 3, v45
	v_sub_u32_e32 v43, 29, v55
	v_and_b32_e32 v42, 7, v42
	v_cmp_gt_u32_e32 vcc, 8, v45
	v_mov_b32_e32 v45, 24
	v_cndmask_b32_e32 v43, v54, v43, vcc
	v_cndmask_b32_e32 v42, v52, v42, vcc
	v_lshlrev_b32_sdwa v45, v45, v30 dst_sel:DWORD dst_unused:UNUSED_PAD src0_sel:DWORD src1_sel:WORD_1
	v_bfrev_b32_e32 v52, 60
	v_lshlrev_b32_e32 v42, 20, v42
	v_and_b32_e32 v45, 0x80000000, v45
	v_lshl_add_u32 v43, v43, 23, v52
	v_or3_b32 v43, v45, v43, v42
.LBB583_221:
	s_or_b64 exec, exec, s[10:11]
.LBB583_222:
	s_or_b64 exec, exec, s[8:9]
.LBB583_223:
	s_or_b64 exec, exec, s[2:3]
	s_mov_b32 s2, 0xffffff
	v_cmp_lt_u32_e32 vcc, s2, v30
	v_mov_b32_e32 v45, 0
	v_mov_b32_e32 v54, 0
	s_and_saveexec_b64 s[2:3], vcc
	s_cbranch_execz .LBB583_229
; %bb.224:
	v_lshrrev_b32_e32 v42, 24, v30
	s_movk_i32 s8, 0x80
	v_cmp_ne_u32_e32 vcc, s8, v42
	v_bfrev_b32_e32 v54, 1
	s_and_saveexec_b64 s[8:9], vcc
	s_cbranch_execz .LBB583_228
; %bb.225:
	v_bfe_u32 v30, v30, 24, 7
	s_movk_i32 s10, 0x7f
	v_cmp_ne_u32_e32 vcc, s10, v30
	v_mov_b32_e32 v54, 0x7f800001
	s_and_saveexec_b64 s[10:11], vcc
	s_cbranch_execz .LBB583_227
; %bb.226:
	v_and_b32_e32 v52, 7, v42
	v_ffbh_u32_e32 v54, v52
	v_min_u32_e32 v57, 32, v54
	v_subrev_u32_e32 v54, 28, v57
	v_lshlrev_b64 v[54:55], v54, v[42:43]
	v_lshrrev_b32_e32 v56, 3, v30
	v_sub_u32_e32 v55, 29, v57
	v_and_b32_e32 v54, 7, v54
	v_cmp_gt_u32_e32 vcc, 8, v30
	v_cndmask_b32_e32 v30, v56, v55, vcc
	v_cndmask_b32_e32 v52, v52, v54, vcc
	v_lshlrev_b32_e32 v42, 24, v42
	v_bfrev_b32_e32 v54, 60
	v_lshlrev_b32_e32 v52, 20, v52
	v_and_b32_e32 v42, 0x80000000, v42
	v_lshl_add_u32 v30, v30, 23, v54
	v_or3_b32 v54, v42, v30, v52
.LBB583_227:
	s_or_b64 exec, exec, s[10:11]
.LBB583_228:
	s_or_b64 exec, exec, s[8:9]
.LBB583_229:
	s_or_b64 exec, exec, s[2:3]
	v_cmp_ne_u16_sdwa s[8:9], v31, v45 src0_sel:BYTE_0 src1_sel:DWORD
	s_and_saveexec_b64 s[2:3], s[8:9]
	s_cbranch_execz .LBB583_235
; %bb.230:
	s_movk_i32 s8, 0x80
	v_cmp_ne_u16_sdwa s[10:11], v31, s8 src0_sel:BYTE_0 src1_sel:DWORD
	v_bfrev_b32_e32 v45, 1
	s_and_saveexec_b64 s[8:9], s[10:11]
	s_cbranch_execz .LBB583_234
; %bb.231:
	s_movk_i32 s10, 0x7f
	v_and_b32_e32 v30, 0x7f, v31
	v_cmp_ne_u32_e32 vcc, s10, v30
	v_mov_b32_e32 v45, 0x7f800001
	s_and_saveexec_b64 s[10:11], vcc
	s_cbranch_execz .LBB583_233
; %bb.232:
	v_and_b32_e32 v45, 7, v31
	v_ffbh_u32_e32 v55, v45
	v_min_u32_e32 v55, 32, v55
	v_mov_b32_e32 v42, v31
	v_subrev_u32_e32 v56, 28, v55
	v_lshlrev_b64 v[56:57], v56, v[42:43]
	v_lshrrev_b32_e32 v52, 3, v30
	v_sub_u32_e32 v42, 29, v55
	v_and_b32_e32 v55, 7, v56
	v_cmp_gt_u32_e32 vcc, 8, v30
	v_cndmask_b32_e32 v30, v52, v42, vcc
	v_cndmask_b32_e32 v42, v45, v55, vcc
	v_lshlrev_b32_e32 v45, 24, v31
	v_bfrev_b32_e32 v52, 60
	v_lshlrev_b32_e32 v42, 20, v42
	v_and_b32_e32 v45, 0x80000000, v45
	v_lshl_add_u32 v30, v30, 23, v52
	v_or3_b32 v45, v45, v30, v42
.LBB583_233:
	s_or_b64 exec, exec, s[10:11]
.LBB583_234:
	s_or_b64 exec, exec, s[8:9]
.LBB583_235:
	s_or_b64 exec, exec, s[2:3]
	v_lshrrev_b16_e32 v30, 8, v31
	v_cmp_ne_u16_e32 vcc, 0, v30
	v_mov_b32_e32 v42, 0
	v_mov_b32_e32 v55, 0
	s_and_saveexec_b64 s[2:3], vcc
	s_cbranch_execz .LBB583_241
; %bb.236:
	s_movk_i32 s8, 0x80
	v_cmp_ne_u16_e32 vcc, s8, v30
	v_bfrev_b32_e32 v55, 1
	s_and_saveexec_b64 s[8:9], vcc
	s_cbranch_execz .LBB583_240
; %bb.237:
	s_movk_i32 s10, 0x7f
	v_and_b32_e32 v52, 0x7f, v30
	v_cmp_ne_u32_e32 vcc, s10, v52
	v_mov_b32_e32 v55, 0x7f800001
	s_and_saveexec_b64 s[10:11], vcc
	s_cbranch_execz .LBB583_239
; %bb.238:
	v_and_b32_e32 v55, 7, v30
	v_ffbh_u32_e32 v56, v55
	v_min_u32_e32 v59, 32, v56
	v_subrev_u32_e32 v56, 28, v59
	v_lshlrev_b64 v[56:57], v56, v[30:31]
	v_lshrrev_b32_e32 v58, 3, v52
	v_sub_u32_e32 v30, 29, v59
	v_and_b32_e32 v56, 7, v56
	v_cmp_gt_u32_e32 vcc, 8, v52
	v_cndmask_b32_e32 v30, v58, v30, vcc
	v_cndmask_b32_e32 v52, v55, v56, vcc
	v_lshlrev_b32_e32 v55, 16, v31
	v_bfrev_b32_e32 v56, 60
	v_lshlrev_b32_e32 v52, 20, v52
	v_and_b32_e32 v55, 0x80000000, v55
	v_lshl_add_u32 v30, v30, 23, v56
	v_or3_b32 v55, v55, v30, v52
.LBB583_239:
	s_or_b64 exec, exec, s[10:11]
.LBB583_240:
	s_or_b64 exec, exec, s[8:9]
.LBB583_241:
	s_or_b64 exec, exec, s[2:3]
	s_movk_i32 s2, 0xff
	v_and_b32_sdwa v52, v31, s2 dst_sel:DWORD dst_unused:UNUSED_PAD src0_sel:WORD_1 src1_sel:DWORD
	v_lshrrev_b32_e32 v30, 16, v31
	v_cmp_ne_u16_e32 vcc, 0, v52
	s_and_saveexec_b64 s[2:3], vcc
	s_cbranch_execz .LBB583_247
; %bb.242:
	s_movk_i32 s8, 0x80
	v_cmp_ne_u16_e32 vcc, s8, v52
	v_bfrev_b32_e32 v42, 1
	s_and_saveexec_b64 s[8:9], vcc
	s_cbranch_execz .LBB583_246
; %bb.243:
	v_bfe_u32 v52, v31, 16, 7
	s_movk_i32 s10, 0x7f
	v_cmp_ne_u32_e32 vcc, s10, v52
	v_mov_b32_e32 v42, 0x7f800001
	s_and_saveexec_b64 s[10:11], vcc
	s_cbranch_execz .LBB583_245
; %bb.244:
	v_and_b32_e32 v42, 7, v30
	v_ffbh_u32_e32 v56, v42
	v_min_u32_e32 v59, 32, v56
	v_subrev_u32_e32 v56, 28, v59
	v_lshlrev_b64 v[56:57], v56, v[30:31]
	v_lshrrev_b32_e32 v58, 3, v52
	v_sub_u32_e32 v30, 29, v59
	v_and_b32_e32 v56, 7, v56
	v_cmp_gt_u32_e32 vcc, 8, v52
	v_mov_b32_e32 v52, 24
	v_cndmask_b32_e32 v30, v58, v30, vcc
	v_cndmask_b32_e32 v42, v42, v56, vcc
	v_lshlrev_b32_sdwa v52, v52, v31 dst_sel:DWORD dst_unused:UNUSED_PAD src0_sel:DWORD src1_sel:WORD_1
	v_bfrev_b32_e32 v56, 60
	v_lshlrev_b32_e32 v42, 20, v42
	v_and_b32_e32 v52, 0x80000000, v52
	v_lshl_add_u32 v30, v30, 23, v56
	v_or3_b32 v42, v52, v30, v42
.LBB583_245:
	s_or_b64 exec, exec, s[10:11]
.LBB583_246:
	s_or_b64 exec, exec, s[8:9]
.LBB583_247:
	s_or_b64 exec, exec, s[2:3]
	s_mov_b32 s2, 0xffffff
	v_cmp_lt_u32_e32 vcc, s2, v31
	v_mov_b32_e32 v52, 0
	v_mov_b32_e32 v56, 0
	s_and_saveexec_b64 s[2:3], vcc
	s_cbranch_execz .LBB583_253
; %bb.248:
	v_lshrrev_b32_e32 v30, 24, v31
	s_movk_i32 s8, 0x80
	v_cmp_ne_u32_e32 vcc, s8, v30
	v_bfrev_b32_e32 v56, 1
	s_and_saveexec_b64 s[8:9], vcc
	s_cbranch_execz .LBB583_252
; %bb.249:
	v_bfe_u32 v31, v31, 24, 7
	s_movk_i32 s10, 0x7f
	v_cmp_ne_u32_e32 vcc, s10, v31
	v_mov_b32_e32 v56, 0x7f800001
	s_and_saveexec_b64 s[10:11], vcc
	s_cbranch_execz .LBB583_251
; %bb.250:
	v_and_b32_e32 v58, 7, v30
	v_ffbh_u32_e32 v56, v58
	v_min_u32_e32 v60, 32, v56
	v_subrev_u32_e32 v56, 28, v60
	v_lshlrev_b64 v[56:57], v56, v[30:31]
	v_lshrrev_b32_e32 v59, 3, v31
	v_sub_u32_e32 v57, 29, v60
	v_and_b32_e32 v56, 7, v56
	v_cmp_gt_u32_e32 vcc, 8, v31
	v_cndmask_b32_e32 v31, v59, v57, vcc
	v_cndmask_b32_e32 v56, v58, v56, vcc
	v_lshlrev_b32_e32 v30, 24, v30
	v_bfrev_b32_e32 v57, 60
	v_lshlrev_b32_e32 v56, 20, v56
	v_and_b32_e32 v30, 0x80000000, v30
	v_lshl_add_u32 v31, v31, 23, v57
	v_or3_b32 v56, v30, v31, v56
.LBB583_251:
	s_or_b64 exec, exec, s[10:11]
.LBB583_252:
	s_or_b64 exec, exec, s[8:9]
.LBB583_253:
	s_or_b64 exec, exec, s[2:3]
	v_cvt_pkrtz_f16_f32 v30, v53, v44
	v_cvt_pkrtz_f16_f32 v31, v43, v54
	v_cmp_ne_u16_sdwa s[8:9], v32, v52 src0_sel:BYTE_0 src1_sel:DWORD
	s_nop 0
	v_mfma_f32_16x16x16f16 v[58:61], v[30:31], v[26:27], 0
	v_cvt_pkrtz_f16_f32 v30, v45, v55
	v_cvt_pkrtz_f16_f32 v31, v42, v56
	s_nop 1
	v_mfma_f32_16x16x16f16 v[42:45], v[30:31], v[28:29], v[58:61]
	s_and_saveexec_b64 s[2:3], s[8:9]
	s_cbranch_execz .LBB583_259
; %bb.254:
	s_movk_i32 s8, 0x80
	v_cmp_ne_u16_sdwa s[10:11], v32, s8 src0_sel:BYTE_0 src1_sel:DWORD
	v_bfrev_b32_e32 v52, 1
	s_and_saveexec_b64 s[8:9], s[10:11]
	s_cbranch_execz .LBB583_258
; %bb.255:
	s_movk_i32 s10, 0x7f
	v_and_b32_e32 v30, 0x7f, v32
	v_cmp_ne_u32_e32 vcc, s10, v30
	v_mov_b32_e32 v52, 0x7f800001
	s_and_saveexec_b64 s[10:11], vcc
	s_cbranch_execz .LBB583_257
; %bb.256:
	v_and_b32_e32 v31, 7, v32
	v_ffbh_u32_e32 v52, v31
	v_min_u32_e32 v55, 32, v52
	v_subrev_u32_e32 v52, 28, v55
	v_lshlrev_b64 v[52:53], v52, v[32:33]
	v_lshrrev_b32_e32 v54, 3, v30
	v_sub_u32_e32 v53, 29, v55
	v_and_b32_e32 v52, 7, v52
	v_cmp_gt_u32_e32 vcc, 8, v30
	v_cndmask_b32_e32 v30, v54, v53, vcc
	v_cndmask_b32_e32 v31, v31, v52, vcc
	v_lshlrev_b32_e32 v52, 24, v32
	v_bfrev_b32_e32 v53, 60
	v_lshlrev_b32_e32 v31, 20, v31
	v_and_b32_e32 v52, 0x80000000, v52
	v_lshl_add_u32 v30, v30, 23, v53
	v_or3_b32 v52, v52, v30, v31
.LBB583_257:
	s_or_b64 exec, exec, s[10:11]
.LBB583_258:
	s_or_b64 exec, exec, s[8:9]
.LBB583_259:
	s_or_b64 exec, exec, s[2:3]
	v_lshrrev_b16_e32 v30, 8, v32
	v_cmp_ne_u16_e32 vcc, 0, v30
	v_mov_b32_e32 v31, 0
	v_mov_b32_e32 v54, 0
	s_and_saveexec_b64 s[2:3], vcc
	s_cbranch_execz .LBB583_265
; %bb.260:
	s_movk_i32 s8, 0x80
	v_cmp_ne_u16_e32 vcc, s8, v30
	v_bfrev_b32_e32 v54, 1
	s_and_saveexec_b64 s[8:9], vcc
	s_cbranch_execz .LBB583_264
; %bb.261:
	s_movk_i32 s10, 0x7f
	v_and_b32_e32 v53, 0x7f, v30
	v_cmp_ne_u32_e32 vcc, s10, v53
	v_mov_b32_e32 v54, 0x7f800001
	s_and_saveexec_b64 s[10:11], vcc
	s_cbranch_execz .LBB583_263
; %bb.262:
	v_and_b32_e32 v56, 7, v30
	v_ffbh_u32_e32 v54, v56
	v_min_u32_e32 v58, 32, v54
	v_subrev_u32_e32 v54, 28, v58
	v_lshlrev_b64 v[54:55], v54, v[30:31]
	v_lshrrev_b32_e32 v57, 3, v53
	v_sub_u32_e32 v30, 29, v58
	v_and_b32_e32 v54, 7, v54
	v_cmp_gt_u32_e32 vcc, 8, v53
	v_cndmask_b32_e32 v30, v57, v30, vcc
	v_cndmask_b32_e32 v53, v56, v54, vcc
	v_lshlrev_b32_e32 v54, 16, v32
	v_bfrev_b32_e32 v55, 60
	v_lshlrev_b32_e32 v53, 20, v53
	v_and_b32_e32 v54, 0x80000000, v54
	v_lshl_add_u32 v30, v30, 23, v55
	v_or3_b32 v54, v54, v30, v53
.LBB583_263:
	s_or_b64 exec, exec, s[10:11]
.LBB583_264:
	s_or_b64 exec, exec, s[8:9]
.LBB583_265:
	s_or_b64 exec, exec, s[2:3]
	s_movk_i32 s2, 0xff
	v_and_b32_sdwa v53, v32, s2 dst_sel:DWORD dst_unused:UNUSED_PAD src0_sel:WORD_1 src1_sel:DWORD
	v_lshrrev_b32_e32 v30, 16, v32
	v_cmp_ne_u16_e32 vcc, 0, v53
	s_and_saveexec_b64 s[2:3], vcc
	s_cbranch_execz .LBB583_271
; %bb.266:
	s_movk_i32 s8, 0x80
	v_cmp_ne_u16_e32 vcc, s8, v53
	v_bfrev_b32_e32 v31, 1
	s_and_saveexec_b64 s[8:9], vcc
	s_cbranch_execz .LBB583_270
; %bb.267:
	v_bfe_u32 v53, v32, 16, 7
	s_movk_i32 s10, 0x7f
	v_cmp_ne_u32_e32 vcc, s10, v53
	v_mov_b32_e32 v31, 0x7f800001
	s_and_saveexec_b64 s[10:11], vcc
	s_cbranch_execz .LBB583_269
; %bb.268:
	v_and_b32_e32 v55, 7, v30
	v_ffbh_u32_e32 v31, v55
	v_min_u32_e32 v57, 32, v31
	v_subrev_u32_e32 v31, 28, v57
	v_lshlrev_b64 v[30:31], v31, v[30:31]
	v_lshrrev_b32_e32 v56, 3, v53
	v_sub_u32_e32 v31, 29, v57
	v_and_b32_e32 v30, 7, v30
	v_cmp_gt_u32_e32 vcc, 8, v53
	v_mov_b32_e32 v53, 24
	v_cndmask_b32_e32 v31, v56, v31, vcc
	v_cndmask_b32_e32 v30, v55, v30, vcc
	v_lshlrev_b32_sdwa v53, v53, v32 dst_sel:DWORD dst_unused:UNUSED_PAD src0_sel:DWORD src1_sel:WORD_1
	v_bfrev_b32_e32 v55, 60
	v_lshlrev_b32_e32 v30, 20, v30
	v_and_b32_e32 v53, 0x80000000, v53
	v_lshl_add_u32 v31, v31, 23, v55
	v_or3_b32 v31, v53, v31, v30
.LBB583_269:
	s_or_b64 exec, exec, s[10:11]
.LBB583_270:
	s_or_b64 exec, exec, s[8:9]
.LBB583_271:
	s_or_b64 exec, exec, s[2:3]
	s_mov_b32 s2, 0xffffff
	v_cmp_lt_u32_e32 vcc, s2, v32
	v_mov_b32_e32 v55, 0
	v_mov_b32_e32 v56, 0
	s_and_saveexec_b64 s[2:3], vcc
	s_cbranch_execz .LBB583_277
; %bb.272:
	v_lshrrev_b32_e32 v30, 24, v32
	s_movk_i32 s8, 0x80
	v_cmp_ne_u32_e32 vcc, s8, v30
	v_bfrev_b32_e32 v56, 1
	s_and_saveexec_b64 s[8:9], vcc
	s_cbranch_execz .LBB583_276
; %bb.273:
	v_bfe_u32 v32, v32, 24, 7
	s_movk_i32 s10, 0x7f
	v_cmp_ne_u32_e32 vcc, s10, v32
	v_mov_b32_e32 v56, 0x7f800001
	s_and_saveexec_b64 s[10:11], vcc
	s_cbranch_execz .LBB583_275
; %bb.274:
	v_and_b32_e32 v53, 7, v30
	v_ffbh_u32_e32 v56, v53
	v_min_u32_e32 v59, 32, v56
	v_subrev_u32_e32 v56, 28, v59
	v_lshlrev_b64 v[56:57], v56, v[30:31]
	v_lshrrev_b32_e32 v58, 3, v32
	v_sub_u32_e32 v57, 29, v59
	v_and_b32_e32 v56, 7, v56
	v_cmp_gt_u32_e32 vcc, 8, v32
	v_cndmask_b32_e32 v32, v58, v57, vcc
	v_cndmask_b32_e32 v53, v53, v56, vcc
	v_lshlrev_b32_e32 v30, 24, v30
	v_bfrev_b32_e32 v56, 60
	v_lshlrev_b32_e32 v53, 20, v53
	v_and_b32_e32 v30, 0x80000000, v30
	v_lshl_add_u32 v32, v32, 23, v56
	v_or3_b32 v56, v30, v32, v53
.LBB583_275:
	s_or_b64 exec, exec, s[10:11]
.LBB583_276:
	s_or_b64 exec, exec, s[8:9]
.LBB583_277:
	s_or_b64 exec, exec, s[2:3]
	v_cmp_ne_u16_sdwa s[8:9], v33, v55 src0_sel:BYTE_0 src1_sel:DWORD
	s_and_saveexec_b64 s[2:3], s[8:9]
	s_cbranch_execz .LBB583_283
; %bb.278:
	s_movk_i32 s8, 0x80
	v_cmp_ne_u16_sdwa s[10:11], v33, s8 src0_sel:BYTE_0 src1_sel:DWORD
	v_bfrev_b32_e32 v55, 1
	s_and_saveexec_b64 s[8:9], s[10:11]
	s_cbranch_execz .LBB583_282
; %bb.279:
	s_movk_i32 s10, 0x7f
	v_and_b32_e32 v30, 0x7f, v33
	v_cmp_ne_u32_e32 vcc, s10, v30
	v_mov_b32_e32 v55, 0x7f800001
	s_and_saveexec_b64 s[10:11], vcc
	s_cbranch_execz .LBB583_281
; %bb.280:
	v_and_b32_e32 v53, 7, v33
	v_ffbh_u32_e32 v57, v53
	v_min_u32_e32 v57, 32, v57
	v_mov_b32_e32 v32, v33
	v_subrev_u32_e32 v58, 28, v57
	v_lshlrev_b64 v[58:59], v58, v[32:33]
	v_lshrrev_b32_e32 v55, 3, v30
	v_sub_u32_e32 v32, 29, v57
	v_and_b32_e32 v57, 7, v58
	v_cmp_gt_u32_e32 vcc, 8, v30
	v_cndmask_b32_e32 v30, v55, v32, vcc
	v_cndmask_b32_e32 v32, v53, v57, vcc
	v_lshlrev_b32_e32 v53, 24, v33
	v_bfrev_b32_e32 v55, 60
	v_lshlrev_b32_e32 v32, 20, v32
	v_and_b32_e32 v53, 0x80000000, v53
	v_lshl_add_u32 v30, v30, 23, v55
	v_or3_b32 v55, v53, v30, v32
.LBB583_281:
	s_or_b64 exec, exec, s[10:11]
.LBB583_282:
	s_or_b64 exec, exec, s[8:9]
.LBB583_283:
	s_or_b64 exec, exec, s[2:3]
	v_lshrrev_b16_e32 v30, 8, v33
	v_cmp_ne_u16_e32 vcc, 0, v30
	v_mov_b32_e32 v32, 0
	v_mov_b32_e32 v57, 0
	s_and_saveexec_b64 s[2:3], vcc
	s_cbranch_execz .LBB583_289
; %bb.284:
	s_movk_i32 s8, 0x80
	v_cmp_ne_u16_e32 vcc, s8, v30
	v_bfrev_b32_e32 v57, 1
	s_and_saveexec_b64 s[8:9], vcc
	s_cbranch_execz .LBB583_288
; %bb.285:
	s_movk_i32 s10, 0x7f
	v_and_b32_e32 v53, 0x7f, v30
	v_cmp_ne_u32_e32 vcc, s10, v53
	v_mov_b32_e32 v57, 0x7f800001
	s_and_saveexec_b64 s[10:11], vcc
	s_cbranch_execz .LBB583_287
; %bb.286:
	v_and_b32_e32 v57, 7, v30
	v_ffbh_u32_e32 v58, v57
	v_min_u32_e32 v61, 32, v58
	v_subrev_u32_e32 v58, 28, v61
	v_lshlrev_b64 v[58:59], v58, v[30:31]
	v_lshrrev_b32_e32 v60, 3, v53
	v_sub_u32_e32 v30, 29, v61
	v_and_b32_e32 v58, 7, v58
	v_cmp_gt_u32_e32 vcc, 8, v53
	v_cndmask_b32_e32 v30, v60, v30, vcc
	v_cndmask_b32_e32 v53, v57, v58, vcc
	v_lshlrev_b32_e32 v57, 16, v33
	v_bfrev_b32_e32 v58, 60
	v_lshlrev_b32_e32 v53, 20, v53
	v_and_b32_e32 v57, 0x80000000, v57
	v_lshl_add_u32 v30, v30, 23, v58
	v_or3_b32 v57, v57, v30, v53
.LBB583_287:
	s_or_b64 exec, exec, s[10:11]
.LBB583_288:
	s_or_b64 exec, exec, s[8:9]
.LBB583_289:
	s_or_b64 exec, exec, s[2:3]
	s_movk_i32 s2, 0xff
	v_and_b32_sdwa v53, v33, s2 dst_sel:DWORD dst_unused:UNUSED_PAD src0_sel:WORD_1 src1_sel:DWORD
	v_lshrrev_b32_e32 v30, 16, v33
	v_cmp_ne_u16_e32 vcc, 0, v53
	s_and_saveexec_b64 s[2:3], vcc
	s_cbranch_execz .LBB583_295
; %bb.290:
	s_movk_i32 s8, 0x80
	v_cmp_ne_u16_e32 vcc, s8, v53
	v_bfrev_b32_e32 v32, 1
	s_and_saveexec_b64 s[8:9], vcc
	s_cbranch_execz .LBB583_294
; %bb.291:
	v_bfe_u32 v53, v33, 16, 7
	s_movk_i32 s10, 0x7f
	v_cmp_ne_u32_e32 vcc, s10, v53
	v_mov_b32_e32 v32, 0x7f800001
	s_and_saveexec_b64 s[10:11], vcc
	s_cbranch_execz .LBB583_293
; %bb.292:
	v_and_b32_e32 v32, 7, v30
	v_ffbh_u32_e32 v58, v32
	v_min_u32_e32 v61, 32, v58
	v_subrev_u32_e32 v58, 28, v61
	v_lshlrev_b64 v[58:59], v58, v[30:31]
	v_lshrrev_b32_e32 v60, 3, v53
	v_sub_u32_e32 v30, 29, v61
	v_and_b32_e32 v58, 7, v58
	v_cmp_gt_u32_e32 vcc, 8, v53
	v_mov_b32_e32 v53, 24
	v_cndmask_b32_e32 v30, v60, v30, vcc
	v_cndmask_b32_e32 v32, v32, v58, vcc
	v_lshlrev_b32_sdwa v53, v53, v33 dst_sel:DWORD dst_unused:UNUSED_PAD src0_sel:DWORD src1_sel:WORD_1
	v_bfrev_b32_e32 v58, 60
	v_lshlrev_b32_e32 v32, 20, v32
	v_and_b32_e32 v53, 0x80000000, v53
	v_lshl_add_u32 v30, v30, 23, v58
	v_or3_b32 v32, v53, v30, v32
.LBB583_293:
	s_or_b64 exec, exec, s[10:11]
.LBB583_294:
	s_or_b64 exec, exec, s[8:9]
.LBB583_295:
	s_or_b64 exec, exec, s[2:3]
	s_mov_b32 s2, 0xffffff
	v_cmp_lt_u32_e32 vcc, s2, v33
	v_mov_b32_e32 v53, 0
	v_mov_b32_e32 v58, 0
	s_and_saveexec_b64 s[2:3], vcc
	s_cbranch_execz .LBB583_301
; %bb.296:
	v_lshrrev_b32_e32 v30, 24, v33
	s_movk_i32 s8, 0x80
	v_cmp_ne_u32_e32 vcc, s8, v30
	v_bfrev_b32_e32 v58, 1
	s_and_saveexec_b64 s[8:9], vcc
	s_cbranch_execz .LBB583_300
; %bb.297:
	v_bfe_u32 v33, v33, 24, 7
	s_movk_i32 s10, 0x7f
	v_cmp_ne_u32_e32 vcc, s10, v33
	v_mov_b32_e32 v58, 0x7f800001
	s_and_saveexec_b64 s[10:11], vcc
	s_cbranch_execz .LBB583_299
; %bb.298:
	v_and_b32_e32 v60, 7, v30
	v_ffbh_u32_e32 v58, v60
	v_min_u32_e32 v62, 32, v58
	v_subrev_u32_e32 v58, 28, v62
	v_lshlrev_b64 v[58:59], v58, v[30:31]
	v_lshrrev_b32_e32 v61, 3, v33
	v_sub_u32_e32 v59, 29, v62
	v_and_b32_e32 v58, 7, v58
	v_cmp_gt_u32_e32 vcc, 8, v33
	v_cndmask_b32_e32 v33, v61, v59, vcc
	v_cndmask_b32_e32 v58, v60, v58, vcc
	v_lshlrev_b32_e32 v30, 24, v30
	v_bfrev_b32_e32 v59, 60
	v_lshlrev_b32_e32 v58, 20, v58
	v_and_b32_e32 v30, 0x80000000, v30
	v_lshl_add_u32 v33, v33, 23, v59
	v_or3_b32 v58, v30, v33, v58
.LBB583_299:
	s_or_b64 exec, exec, s[10:11]
.LBB583_300:
	s_or_b64 exec, exec, s[8:9]
.LBB583_301:
	s_or_b64 exec, exec, s[2:3]
	v_cvt_pkrtz_f16_f32 v30, v52, v54
	v_cvt_pkrtz_f16_f32 v31, v31, v56
	v_cmp_ne_u16_sdwa s[8:9], v22, v53 src0_sel:BYTE_0 src1_sel:DWORD
	s_nop 0
	v_mfma_f32_16x16x16f16 v[42:45], v[30:31], v[18:19], v[42:45]
	v_cvt_pkrtz_f16_f32 v30, v55, v57
	v_cvt_pkrtz_f16_f32 v31, v32, v58
	s_nop 1
	v_mfma_f32_16x16x16f16 v[30:33], v[30:31], v[20:21], v[42:45]
	s_and_saveexec_b64 s[2:3], s[8:9]
	s_cbranch_execz .LBB583_307
; %bb.302:
	s_movk_i32 s8, 0x80
	v_cmp_ne_u16_sdwa s[10:11], v22, s8 src0_sel:BYTE_0 src1_sel:DWORD
	v_bfrev_b32_e32 v53, 1
	s_and_saveexec_b64 s[8:9], s[10:11]
	s_cbranch_execz .LBB583_306
; %bb.303:
	s_movk_i32 s10, 0x7f
	v_and_b32_e32 v42, 0x7f, v22
	v_cmp_ne_u32_e32 vcc, s10, v42
	v_mov_b32_e32 v53, 0x7f800001
	s_and_saveexec_b64 s[10:11], vcc
	s_cbranch_execz .LBB583_305
; %bb.304:
	v_and_b32_e32 v43, 7, v22
	v_ffbh_u32_e32 v44, v43
	v_min_u32_e32 v53, 32, v44
	v_subrev_u32_e32 v44, 28, v53
	v_lshlrev_b64 v[44:45], v44, v[22:23]
	v_lshrrev_b32_e32 v52, 3, v42
	v_sub_u32_e32 v45, 29, v53
	v_and_b32_e32 v44, 7, v44
	v_cmp_gt_u32_e32 vcc, 8, v42
	v_cndmask_b32_e32 v42, v52, v45, vcc
	v_cndmask_b32_e32 v43, v43, v44, vcc
	v_lshlrev_b32_e32 v44, 24, v22
	v_bfrev_b32_e32 v45, 60
	v_lshlrev_b32_e32 v43, 20, v43
	v_and_b32_e32 v44, 0x80000000, v44
	v_lshl_add_u32 v42, v42, 23, v45
	v_or3_b32 v53, v44, v42, v43
.LBB583_305:
	s_or_b64 exec, exec, s[10:11]
.LBB583_306:
	s_or_b64 exec, exec, s[8:9]
.LBB583_307:
	s_or_b64 exec, exec, s[2:3]
	s_nop 3
	v_lshrrev_b16_e32 v42, 8, v22
	v_cmp_ne_u16_e32 vcc, 0, v42
	v_mov_b32_e32 v43, 0
	v_mov_b32_e32 v44, 0
	s_and_saveexec_b64 s[2:3], vcc
	s_cbranch_execz .LBB583_313
; %bb.308:
	s_movk_i32 s8, 0x80
	v_cmp_ne_u16_e32 vcc, s8, v42
	v_bfrev_b32_e32 v44, 1
	s_and_saveexec_b64 s[8:9], vcc
	s_cbranch_execz .LBB583_312
; %bb.309:
	s_movk_i32 s10, 0x7f
	v_and_b32_e32 v45, 0x7f, v42
	v_cmp_ne_u32_e32 vcc, s10, v45
	v_mov_b32_e32 v44, 0x7f800001
	s_and_saveexec_b64 s[10:11], vcc
	s_cbranch_execz .LBB583_311
; %bb.310:
	v_and_b32_e32 v44, 7, v42
	v_ffbh_u32_e32 v54, v44
	v_min_u32_e32 v56, 32, v54
	v_subrev_u32_e32 v54, 28, v56
	v_lshlrev_b64 v[54:55], v54, v[42:43]
	v_lshrrev_b32_e32 v52, 3, v45
	v_sub_u32_e32 v42, 29, v56
	v_and_b32_e32 v54, 7, v54
	v_cmp_gt_u32_e32 vcc, 8, v45
	v_cndmask_b32_e32 v42, v52, v42, vcc
	v_cndmask_b32_e32 v44, v44, v54, vcc
	v_lshlrev_b32_e32 v45, 16, v22
	v_bfrev_b32_e32 v52, 60
	v_lshlrev_b32_e32 v44, 20, v44
	v_and_b32_e32 v45, 0x80000000, v45
	v_lshl_add_u32 v42, v42, 23, v52
	v_or3_b32 v44, v45, v42, v44
.LBB583_311:
	s_or_b64 exec, exec, s[10:11]
.LBB583_312:
	s_or_b64 exec, exec, s[8:9]
.LBB583_313:
	s_or_b64 exec, exec, s[2:3]
	s_movk_i32 s2, 0xff
	v_and_b32_sdwa v45, v22, s2 dst_sel:DWORD dst_unused:UNUSED_PAD src0_sel:WORD_1 src1_sel:DWORD
	v_lshrrev_b32_e32 v42, 16, v22
	v_cmp_ne_u16_e32 vcc, 0, v45
	s_and_saveexec_b64 s[2:3], vcc
	s_cbranch_execz .LBB583_319
; %bb.314:
	s_movk_i32 s8, 0x80
	v_cmp_ne_u16_e32 vcc, s8, v45
	v_bfrev_b32_e32 v43, 1
	s_and_saveexec_b64 s[8:9], vcc
	s_cbranch_execz .LBB583_318
; %bb.315:
	v_bfe_u32 v45, v22, 16, 7
	s_movk_i32 s10, 0x7f
	v_cmp_ne_u32_e32 vcc, s10, v45
	v_mov_b32_e32 v43, 0x7f800001
	s_and_saveexec_b64 s[10:11], vcc
	s_cbranch_execz .LBB583_317
; %bb.316:
	v_and_b32_e32 v52, 7, v42
	v_ffbh_u32_e32 v43, v52
	v_min_u32_e32 v55, 32, v43
	v_subrev_u32_e32 v43, 28, v55
	v_lshlrev_b64 v[42:43], v43, v[42:43]
	v_lshrrev_b32_e32 v54, 3, v45
	v_sub_u32_e32 v43, 29, v55
	v_and_b32_e32 v42, 7, v42
	v_cmp_gt_u32_e32 vcc, 8, v45
	v_mov_b32_e32 v45, 24
	v_cndmask_b32_e32 v43, v54, v43, vcc
	v_cndmask_b32_e32 v42, v52, v42, vcc
	v_lshlrev_b32_sdwa v45, v45, v22 dst_sel:DWORD dst_unused:UNUSED_PAD src0_sel:DWORD src1_sel:WORD_1
	v_bfrev_b32_e32 v52, 60
	v_lshlrev_b32_e32 v42, 20, v42
	v_and_b32_e32 v45, 0x80000000, v45
	v_lshl_add_u32 v43, v43, 23, v52
	v_or3_b32 v43, v45, v43, v42
.LBB583_317:
	s_or_b64 exec, exec, s[10:11]
.LBB583_318:
	s_or_b64 exec, exec, s[8:9]
.LBB583_319:
	s_or_b64 exec, exec, s[2:3]
	s_mov_b32 s2, 0xffffff
	v_cmp_lt_u32_e32 vcc, s2, v22
	v_mov_b32_e32 v45, 0
	v_mov_b32_e32 v52, 0
	s_and_saveexec_b64 s[2:3], vcc
	s_cbranch_execz .LBB583_325
; %bb.320:
	v_lshrrev_b32_e32 v42, 24, v22
	s_movk_i32 s8, 0x80
	v_cmp_ne_u32_e32 vcc, s8, v42
	v_bfrev_b32_e32 v52, 1
	s_and_saveexec_b64 s[8:9], vcc
	s_cbranch_execz .LBB583_324
; %bb.321:
	v_bfe_u32 v22, v22, 24, 7
	s_movk_i32 s10, 0x7f
	v_cmp_ne_u32_e32 vcc, s10, v22
	v_mov_b32_e32 v52, 0x7f800001
	s_and_saveexec_b64 s[10:11], vcc
	s_cbranch_execz .LBB583_323
; %bb.322:
	v_and_b32_e32 v52, 7, v42
	v_ffbh_u32_e32 v54, v52
	v_min_u32_e32 v57, 32, v54
	v_subrev_u32_e32 v54, 28, v57
	v_lshlrev_b64 v[54:55], v54, v[42:43]
	v_lshrrev_b32_e32 v56, 3, v22
	v_sub_u32_e32 v55, 29, v57
	v_and_b32_e32 v54, 7, v54
	v_cmp_gt_u32_e32 vcc, 8, v22
	v_cndmask_b32_e32 v22, v56, v55, vcc
	v_cndmask_b32_e32 v52, v52, v54, vcc
	v_lshlrev_b32_e32 v42, 24, v42
	v_bfrev_b32_e32 v54, 60
	v_lshlrev_b32_e32 v52, 20, v52
	v_and_b32_e32 v42, 0x80000000, v42
	v_lshl_add_u32 v22, v22, 23, v54
	v_or3_b32 v52, v42, v22, v52
.LBB583_323:
	s_or_b64 exec, exec, s[10:11]
.LBB583_324:
	s_or_b64 exec, exec, s[8:9]
.LBB583_325:
	s_or_b64 exec, exec, s[2:3]
	v_cmp_ne_u16_sdwa s[8:9], v23, v45 src0_sel:BYTE_0 src1_sel:DWORD
	s_and_saveexec_b64 s[2:3], s[8:9]
	s_cbranch_execz .LBB583_331
; %bb.326:
	s_movk_i32 s8, 0x80
	v_cmp_ne_u16_sdwa s[10:11], v23, s8 src0_sel:BYTE_0 src1_sel:DWORD
	v_bfrev_b32_e32 v45, 1
	s_and_saveexec_b64 s[8:9], s[10:11]
	s_cbranch_execz .LBB583_330
; %bb.327:
	s_movk_i32 s10, 0x7f
	v_and_b32_e32 v22, 0x7f, v23
	v_cmp_ne_u32_e32 vcc, s10, v22
	v_mov_b32_e32 v45, 0x7f800001
	s_and_saveexec_b64 s[10:11], vcc
	s_cbranch_execz .LBB583_329
; %bb.328:
	v_and_b32_e32 v45, 7, v23
	v_ffbh_u32_e32 v54, v45
	v_min_u32_e32 v57, 32, v54
	v_mov_b32_e32 v42, v23
	v_subrev_u32_e32 v54, 28, v57
	v_lshlrev_b64 v[54:55], v54, v[42:43]
	v_lshrrev_b32_e32 v56, 3, v22
	v_sub_u32_e32 v42, 29, v57
	v_and_b32_e32 v54, 7, v54
	v_cmp_gt_u32_e32 vcc, 8, v22
	v_cndmask_b32_e32 v22, v56, v42, vcc
	v_cndmask_b32_e32 v42, v45, v54, vcc
	v_lshlrev_b32_e32 v45, 24, v23
	v_bfrev_b32_e32 v54, 60
	v_lshlrev_b32_e32 v42, 20, v42
	v_and_b32_e32 v45, 0x80000000, v45
	v_lshl_add_u32 v22, v22, 23, v54
	v_or3_b32 v45, v45, v22, v42
.LBB583_329:
	s_or_b64 exec, exec, s[10:11]
.LBB583_330:
	s_or_b64 exec, exec, s[8:9]
.LBB583_331:
	s_or_b64 exec, exec, s[2:3]
	v_lshrrev_b16_e32 v22, 8, v23
	v_cmp_ne_u16_e32 vcc, 0, v22
	v_mov_b32_e32 v54, 0
	v_mov_b32_e32 v55, 0
	s_and_saveexec_b64 s[2:3], vcc
	s_cbranch_execz .LBB583_337
; %bb.332:
	s_movk_i32 s8, 0x80
	v_cmp_ne_u16_e32 vcc, s8, v22
	v_bfrev_b32_e32 v55, 1
	s_and_saveexec_b64 s[8:9], vcc
	s_cbranch_execz .LBB583_336
; %bb.333:
	s_movk_i32 s10, 0x7f
	v_and_b32_e32 v42, 0x7f, v22
	v_cmp_ne_u32_e32 vcc, s10, v42
	v_mov_b32_e32 v55, 0x7f800001
	s_and_saveexec_b64 s[10:11], vcc
	s_cbranch_execz .LBB583_335
; %bb.334:
	v_and_b32_e32 v55, 7, v22
	v_ffbh_u32_e32 v56, v55
	v_min_u32_e32 v59, 32, v56
	v_subrev_u32_e32 v56, 28, v59
	v_lshlrev_b64 v[56:57], v56, v[22:23]
	v_lshrrev_b32_e32 v58, 3, v42
	v_sub_u32_e32 v22, 29, v59
	v_and_b32_e32 v56, 7, v56
	v_cmp_gt_u32_e32 vcc, 8, v42
	v_cndmask_b32_e32 v22, v58, v22, vcc
	v_cndmask_b32_e32 v42, v55, v56, vcc
	v_lshlrev_b32_e32 v55, 16, v23
	v_bfrev_b32_e32 v56, 60
	v_lshlrev_b32_e32 v42, 20, v42
	v_and_b32_e32 v55, 0x80000000, v55
	v_lshl_add_u32 v22, v22, 23, v56
	v_or3_b32 v55, v55, v22, v42
.LBB583_335:
	s_or_b64 exec, exec, s[10:11]
.LBB583_336:
	s_or_b64 exec, exec, s[8:9]
.LBB583_337:
	s_or_b64 exec, exec, s[2:3]
	s_movk_i32 s2, 0xff
	v_and_b32_sdwa v42, v23, s2 dst_sel:DWORD dst_unused:UNUSED_PAD src0_sel:WORD_1 src1_sel:DWORD
	v_lshrrev_b32_e32 v22, 16, v23
	v_cmp_ne_u16_e32 vcc, 0, v42
	s_and_saveexec_b64 s[2:3], vcc
	s_cbranch_execz .LBB583_343
; %bb.338:
	s_movk_i32 s8, 0x80
	v_cmp_ne_u16_e32 vcc, s8, v42
	v_bfrev_b32_e32 v54, 1
	s_and_saveexec_b64 s[8:9], vcc
	s_cbranch_execz .LBB583_342
; %bb.339:
	v_bfe_u32 v42, v23, 16, 7
	s_movk_i32 s10, 0x7f
	v_cmp_ne_u32_e32 vcc, s10, v42
	v_mov_b32_e32 v54, 0x7f800001
	s_and_saveexec_b64 s[10:11], vcc
	s_cbranch_execz .LBB583_341
; %bb.340:
	v_and_b32_e32 v54, 7, v22
	v_ffbh_u32_e32 v56, v54
	v_min_u32_e32 v59, 32, v56
	v_subrev_u32_e32 v56, 28, v59
	v_lshlrev_b64 v[56:57], v56, v[22:23]
	v_and_b32_e32 v56, 7, v56
	v_cmp_gt_u32_e32 vcc, 8, v42
	v_lshrrev_b32_e32 v58, 3, v42
	v_sub_u32_e32 v22, 29, v59
	v_cndmask_b32_e32 v42, v54, v56, vcc
	v_mov_b32_e32 v54, 24
	v_cndmask_b32_e32 v22, v58, v22, vcc
	v_lshlrev_b32_sdwa v54, v54, v23 dst_sel:DWORD dst_unused:UNUSED_PAD src0_sel:DWORD src1_sel:WORD_1
	v_bfrev_b32_e32 v56, 60
	v_lshlrev_b32_e32 v42, 20, v42
	v_and_b32_e32 v54, 0x80000000, v54
	v_lshl_add_u32 v22, v22, 23, v56
	v_or3_b32 v54, v54, v22, v42
.LBB583_341:
	s_or_b64 exec, exec, s[10:11]
.LBB583_342:
	s_or_b64 exec, exec, s[8:9]
.LBB583_343:
	s_or_b64 exec, exec, s[2:3]
	s_mov_b32 s2, 0xffffff
	v_cmp_lt_u32_e32 vcc, s2, v23
	v_mov_b32_e32 v42, 0
	v_mov_b32_e32 v56, 0
	s_and_saveexec_b64 s[2:3], vcc
	s_cbranch_execz .LBB583_349
; %bb.344:
	v_lshrrev_b32_e32 v22, 24, v23
	s_movk_i32 s8, 0x80
	v_cmp_ne_u32_e32 vcc, s8, v22
	v_bfrev_b32_e32 v56, 1
	s_and_saveexec_b64 s[8:9], vcc
	s_cbranch_execz .LBB583_348
; %bb.345:
	v_bfe_u32 v23, v23, 24, 7
	s_movk_i32 s10, 0x7f
	v_cmp_ne_u32_e32 vcc, s10, v23
	v_mov_b32_e32 v56, 0x7f800001
	s_and_saveexec_b64 s[10:11], vcc
	s_cbranch_execz .LBB583_347
; %bb.346:
	v_and_b32_e32 v58, 7, v22
	v_ffbh_u32_e32 v56, v58
	v_min_u32_e32 v60, 32, v56
	v_subrev_u32_e32 v56, 28, v60
	v_lshlrev_b64 v[56:57], v56, v[22:23]
	v_lshrrev_b32_e32 v59, 3, v23
	v_sub_u32_e32 v57, 29, v60
	v_and_b32_e32 v56, 7, v56
	v_cmp_gt_u32_e32 vcc, 8, v23
	v_cndmask_b32_e32 v23, v59, v57, vcc
	v_cndmask_b32_e32 v56, v58, v56, vcc
	v_lshlrev_b32_e32 v22, 24, v22
	v_bfrev_b32_e32 v57, 60
	v_lshlrev_b32_e32 v56, 20, v56
	v_and_b32_e32 v22, 0x80000000, v22
	v_lshl_add_u32 v23, v23, 23, v57
	v_or3_b32 v56, v22, v23, v56
.LBB583_347:
	s_or_b64 exec, exec, s[10:11]
.LBB583_348:
	s_or_b64 exec, exec, s[8:9]
.LBB583_349:
	s_or_b64 exec, exec, s[2:3]
	v_cvt_pkrtz_f16_f32 v22, v53, v44
	v_cvt_pkrtz_f16_f32 v23, v43, v52
	v_cmp_ne_u16_sdwa s[8:9], v24, v42 src0_sel:BYTE_0 src1_sel:DWORD
	s_nop 0
	v_mfma_f32_16x16x16f16 v[58:61], v[22:23], v[26:27], 0
	v_cvt_pkrtz_f16_f32 v22, v45, v55
	v_cvt_pkrtz_f16_f32 v23, v54, v56
	s_nop 1
	v_mfma_f32_16x16x16f16 v[26:29], v[22:23], v[28:29], v[58:61]
	s_and_saveexec_b64 s[2:3], s[8:9]
	s_cbranch_execz .LBB583_355
; %bb.350:
	s_movk_i32 s8, 0x80
	v_cmp_ne_u16_sdwa s[10:11], v24, s8 src0_sel:BYTE_0 src1_sel:DWORD
	v_bfrev_b32_e32 v42, 1
	s_and_saveexec_b64 s[8:9], s[10:11]
	s_cbranch_execz .LBB583_354
; %bb.351:
	s_movk_i32 s10, 0x7f
	v_and_b32_e32 v22, 0x7f, v24
	v_cmp_ne_u32_e32 vcc, s10, v22
	v_mov_b32_e32 v42, 0x7f800001
	s_and_saveexec_b64 s[10:11], vcc
	s_cbranch_execz .LBB583_353
; %bb.352:
	v_and_b32_e32 v23, 7, v24
	v_ffbh_u32_e32 v42, v23
	v_min_u32_e32 v45, 32, v42
	v_subrev_u32_e32 v42, 28, v45
	v_lshlrev_b64 v[42:43], v42, v[24:25]
	v_lshrrev_b32_e32 v44, 3, v22
	v_sub_u32_e32 v43, 29, v45
	v_and_b32_e32 v42, 7, v42
	v_cmp_gt_u32_e32 vcc, 8, v22
	v_cndmask_b32_e32 v22, v44, v43, vcc
	v_cndmask_b32_e32 v23, v23, v42, vcc
	v_lshlrev_b32_e32 v42, 24, v24
	v_bfrev_b32_e32 v43, 60
	v_lshlrev_b32_e32 v23, 20, v23
	v_and_b32_e32 v42, 0x80000000, v42
	v_lshl_add_u32 v22, v22, 23, v43
	v_or3_b32 v42, v42, v22, v23
.LBB583_353:
	s_or_b64 exec, exec, s[10:11]
.LBB583_354:
	s_or_b64 exec, exec, s[8:9]
.LBB583_355:
	s_or_b64 exec, exec, s[2:3]
	v_lshrrev_b16_e32 v22, 8, v24
	v_cmp_ne_u16_e32 vcc, 0, v22
	v_mov_b32_e32 v23, 0
	v_mov_b32_e32 v43, 0
	s_and_saveexec_b64 s[2:3], vcc
	s_cbranch_execz .LBB583_361
; %bb.356:
	s_movk_i32 s8, 0x80
	v_cmp_ne_u16_e32 vcc, s8, v22
	v_bfrev_b32_e32 v43, 1
	s_and_saveexec_b64 s[8:9], vcc
	s_cbranch_execz .LBB583_360
; %bb.357:
	s_movk_i32 s10, 0x7f
	v_and_b32_e32 v44, 0x7f, v22
	v_cmp_ne_u32_e32 vcc, s10, v44
	v_mov_b32_e32 v43, 0x7f800001
	s_and_saveexec_b64 s[10:11], vcc
	s_cbranch_execz .LBB583_359
; %bb.358:
	v_and_b32_e32 v43, 7, v22
	v_ffbh_u32_e32 v52, v43
	v_min_u32_e32 v54, 32, v52
	v_subrev_u32_e32 v52, 28, v54
	v_lshlrev_b64 v[52:53], v52, v[22:23]
	v_lshrrev_b32_e32 v45, 3, v44
	v_sub_u32_e32 v22, 29, v54
	v_and_b32_e32 v52, 7, v52
	v_cmp_gt_u32_e32 vcc, 8, v44
	v_cndmask_b32_e32 v22, v45, v22, vcc
	v_cndmask_b32_e32 v43, v43, v52, vcc
	v_lshlrev_b32_e32 v44, 16, v24
	v_bfrev_b32_e32 v45, 60
	v_lshlrev_b32_e32 v43, 20, v43
	v_and_b32_e32 v44, 0x80000000, v44
	v_lshl_add_u32 v22, v22, 23, v45
	v_or3_b32 v43, v44, v22, v43
.LBB583_359:
	s_or_b64 exec, exec, s[10:11]
.LBB583_360:
	s_or_b64 exec, exec, s[8:9]
.LBB583_361:
	s_or_b64 exec, exec, s[2:3]
	s_movk_i32 s2, 0xff
	v_and_b32_sdwa v44, v24, s2 dst_sel:DWORD dst_unused:UNUSED_PAD src0_sel:WORD_1 src1_sel:DWORD
	v_lshrrev_b32_e32 v22, 16, v24
	v_cmp_ne_u16_e32 vcc, 0, v44
	s_and_saveexec_b64 s[2:3], vcc
	s_cbranch_execz .LBB583_367
; %bb.362:
	s_movk_i32 s8, 0x80
	v_cmp_ne_u16_e32 vcc, s8, v44
	v_bfrev_b32_e32 v23, 1
	s_and_saveexec_b64 s[8:9], vcc
	s_cbranch_execz .LBB583_366
; %bb.363:
	v_bfe_u32 v44, v24, 16, 7
	s_movk_i32 s10, 0x7f
	v_cmp_ne_u32_e32 vcc, s10, v44
	v_mov_b32_e32 v23, 0x7f800001
	s_and_saveexec_b64 s[10:11], vcc
	s_cbranch_execz .LBB583_365
; %bb.364:
	v_and_b32_e32 v45, 7, v22
	v_ffbh_u32_e32 v23, v45
	v_min_u32_e32 v53, 32, v23
	v_subrev_u32_e32 v23, 28, v53
	v_lshlrev_b64 v[22:23], v23, v[22:23]
	v_lshrrev_b32_e32 v52, 3, v44
	v_sub_u32_e32 v23, 29, v53
	v_and_b32_e32 v22, 7, v22
	v_cmp_gt_u32_e32 vcc, 8, v44
	v_mov_b32_e32 v44, 24
	v_cndmask_b32_e32 v23, v52, v23, vcc
	v_cndmask_b32_e32 v22, v45, v22, vcc
	v_lshlrev_b32_sdwa v44, v44, v24 dst_sel:DWORD dst_unused:UNUSED_PAD src0_sel:DWORD src1_sel:WORD_1
	v_bfrev_b32_e32 v45, 60
	v_lshlrev_b32_e32 v22, 20, v22
	v_and_b32_e32 v44, 0x80000000, v44
	v_lshl_add_u32 v23, v23, 23, v45
	v_or3_b32 v23, v44, v23, v22
.LBB583_365:
	s_or_b64 exec, exec, s[10:11]
.LBB583_366:
	s_or_b64 exec, exec, s[8:9]
.LBB583_367:
	s_or_b64 exec, exec, s[2:3]
	s_mov_b32 s2, 0xffffff
	v_cmp_lt_u32_e32 vcc, s2, v24
	v_mov_b32_e32 v45, 0
	v_mov_b32_e32 v52, 0
	s_and_saveexec_b64 s[2:3], vcc
	s_cbranch_execz .LBB583_373
; %bb.368:
	v_lshrrev_b32_e32 v22, 24, v24
	s_movk_i32 s8, 0x80
	v_cmp_ne_u32_e32 vcc, s8, v22
	v_bfrev_b32_e32 v52, 1
	s_and_saveexec_b64 s[8:9], vcc
	s_cbranch_execz .LBB583_372
; %bb.369:
	v_bfe_u32 v24, v24, 24, 7
	s_movk_i32 s10, 0x7f
	v_cmp_ne_u32_e32 vcc, s10, v24
	v_mov_b32_e32 v52, 0x7f800001
	s_and_saveexec_b64 s[10:11], vcc
	s_cbranch_execz .LBB583_371
; %bb.370:
	v_and_b32_e32 v44, 7, v22
	v_ffbh_u32_e32 v52, v44
	v_min_u32_e32 v55, 32, v52
	v_subrev_u32_e32 v52, 28, v55
	v_lshlrev_b64 v[52:53], v52, v[22:23]
	v_lshrrev_b32_e32 v54, 3, v24
	v_sub_u32_e32 v53, 29, v55
	v_and_b32_e32 v52, 7, v52
	v_cmp_gt_u32_e32 vcc, 8, v24
	v_cndmask_b32_e32 v24, v54, v53, vcc
	v_cndmask_b32_e32 v44, v44, v52, vcc
	v_lshlrev_b32_e32 v22, 24, v22
	v_bfrev_b32_e32 v52, 60
	v_lshlrev_b32_e32 v44, 20, v44
	v_and_b32_e32 v22, 0x80000000, v22
	v_lshl_add_u32 v24, v24, 23, v52
	v_or3_b32 v52, v22, v24, v44
.LBB583_371:
	s_or_b64 exec, exec, s[10:11]
.LBB583_372:
	s_or_b64 exec, exec, s[8:9]
.LBB583_373:
	s_or_b64 exec, exec, s[2:3]
	v_cmp_ne_u16_sdwa s[8:9], v25, v45 src0_sel:BYTE_0 src1_sel:DWORD
	s_and_saveexec_b64 s[2:3], s[8:9]
	s_cbranch_execz .LBB583_379
; %bb.374:
	s_movk_i32 s8, 0x80
	v_cmp_ne_u16_sdwa s[10:11], v25, s8 src0_sel:BYTE_0 src1_sel:DWORD
	v_bfrev_b32_e32 v45, 1
	s_and_saveexec_b64 s[8:9], s[10:11]
	s_cbranch_execz .LBB583_378
; %bb.375:
	s_movk_i32 s10, 0x7f
	v_and_b32_e32 v22, 0x7f, v25
	v_cmp_ne_u32_e32 vcc, s10, v22
	v_mov_b32_e32 v45, 0x7f800001
	s_and_saveexec_b64 s[10:11], vcc
	s_cbranch_execz .LBB583_377
; %bb.376:
	v_and_b32_e32 v53, 7, v25
	v_ffbh_u32_e32 v44, v53
	v_min_u32_e32 v55, 32, v44
	v_mov_b32_e32 v24, v25
	v_subrev_u32_e32 v44, 28, v55
	v_lshlrev_b64 v[44:45], v44, v[24:25]
	v_lshrrev_b32_e32 v54, 3, v22
	v_sub_u32_e32 v24, 29, v55
	v_and_b32_e32 v44, 7, v44
	v_cmp_gt_u32_e32 vcc, 8, v22
	v_cndmask_b32_e32 v22, v54, v24, vcc
	v_cndmask_b32_e32 v24, v53, v44, vcc
	v_lshlrev_b32_e32 v44, 24, v25
	v_bfrev_b32_e32 v45, 60
	v_lshlrev_b32_e32 v24, 20, v24
	v_and_b32_e32 v44, 0x80000000, v44
	v_lshl_add_u32 v22, v22, 23, v45
	v_or3_b32 v45, v44, v22, v24
.LBB583_377:
	s_or_b64 exec, exec, s[10:11]
.LBB583_378:
	s_or_b64 exec, exec, s[8:9]
.LBB583_379:
	s_or_b64 exec, exec, s[2:3]
	v_lshrrev_b16_e32 v22, 8, v25
	v_cmp_ne_u16_e32 vcc, 0, v22
	v_mov_b32_e32 v53, 0
	v_mov_b32_e32 v54, 0
	s_and_saveexec_b64 s[2:3], vcc
	s_cbranch_execz .LBB583_385
; %bb.380:
	s_movk_i32 s8, 0x80
	v_cmp_ne_u16_e32 vcc, s8, v22
	v_bfrev_b32_e32 v54, 1
	s_and_saveexec_b64 s[8:9], vcc
	s_cbranch_execz .LBB583_384
; %bb.381:
	s_movk_i32 s10, 0x7f
	v_and_b32_e32 v24, 0x7f, v22
	v_cmp_ne_u32_e32 vcc, s10, v24
	v_mov_b32_e32 v54, 0x7f800001
	s_and_saveexec_b64 s[10:11], vcc
	s_cbranch_execz .LBB583_383
; %bb.382:
	v_and_b32_e32 v44, 7, v22
	v_ffbh_u32_e32 v54, v44
	v_min_u32_e32 v57, 32, v54
	v_subrev_u32_e32 v54, 28, v57
	v_lshlrev_b64 v[54:55], v54, v[22:23]
	v_lshrrev_b32_e32 v56, 3, v24
	v_sub_u32_e32 v22, 29, v57
	v_and_b32_e32 v54, 7, v54
	v_cmp_gt_u32_e32 vcc, 8, v24
	v_cndmask_b32_e32 v22, v56, v22, vcc
	v_cndmask_b32_e32 v24, v44, v54, vcc
	v_lshlrev_b32_e32 v44, 16, v25
	v_bfrev_b32_e32 v54, 60
	v_lshlrev_b32_e32 v24, 20, v24
	v_and_b32_e32 v44, 0x80000000, v44
	v_lshl_add_u32 v22, v22, 23, v54
	v_or3_b32 v54, v44, v22, v24
.LBB583_383:
	s_or_b64 exec, exec, s[10:11]
.LBB583_384:
	s_or_b64 exec, exec, s[8:9]
.LBB583_385:
	s_or_b64 exec, exec, s[2:3]
	s_movk_i32 s2, 0xff
	v_and_b32_sdwa v24, v25, s2 dst_sel:DWORD dst_unused:UNUSED_PAD src0_sel:WORD_1 src1_sel:DWORD
	v_lshrrev_b32_e32 v22, 16, v25
	v_cmp_ne_u16_e32 vcc, 0, v24
	s_and_saveexec_b64 s[2:3], vcc
	s_cbranch_execz .LBB583_391
; %bb.386:
	s_movk_i32 s8, 0x80
	v_cmp_ne_u16_e32 vcc, s8, v24
	v_bfrev_b32_e32 v53, 1
	s_and_saveexec_b64 s[8:9], vcc
	s_cbranch_execz .LBB583_390
; %bb.387:
	v_bfe_u32 v24, v25, 16, 7
	s_movk_i32 s10, 0x7f
	v_cmp_ne_u32_e32 vcc, s10, v24
	v_mov_b32_e32 v53, 0x7f800001
	s_and_saveexec_b64 s[10:11], vcc
	s_cbranch_execz .LBB583_389
; %bb.388:
	v_and_b32_e32 v44, 7, v22
	v_ffbh_u32_e32 v55, v44
	v_min_u32_e32 v55, 32, v55
	v_subrev_u32_e32 v56, 28, v55
	v_lshlrev_b64 v[56:57], v56, v[22:23]
	v_sub_u32_e32 v22, 29, v55
	v_and_b32_e32 v55, 7, v56
	v_cmp_gt_u32_e32 vcc, 8, v24
	v_lshrrev_b32_e32 v53, 3, v24
	v_cndmask_b32_e32 v24, v44, v55, vcc
	v_mov_b32_e32 v44, 24
	v_cndmask_b32_e32 v22, v53, v22, vcc
	v_lshlrev_b32_sdwa v44, v44, v25 dst_sel:DWORD dst_unused:UNUSED_PAD src0_sel:DWORD src1_sel:WORD_1
	v_bfrev_b32_e32 v53, 60
	v_lshlrev_b32_e32 v24, 20, v24
	v_and_b32_e32 v44, 0x80000000, v44
	v_lshl_add_u32 v22, v22, 23, v53
	v_or3_b32 v53, v44, v22, v24
.LBB583_389:
	s_or_b64 exec, exec, s[10:11]
.LBB583_390:
	s_or_b64 exec, exec, s[8:9]
.LBB583_391:
	s_or_b64 exec, exec, s[2:3]
	s_mov_b32 s2, 0xffffff
	v_and_b32_e32 v44, 63, v0
	v_cmp_lt_u32_e32 vcc, s2, v25
	v_mov_b32_e32 v55, 0
	s_and_saveexec_b64 s[2:3], vcc
	s_cbranch_execz .LBB583_397
; %bb.392:
	v_lshrrev_b32_e32 v22, 24, v25
	s_movk_i32 s8, 0x80
	v_cmp_ne_u32_e32 vcc, s8, v22
	v_bfrev_b32_e32 v55, 1
	s_and_saveexec_b64 s[8:9], vcc
	s_cbranch_execz .LBB583_396
; %bb.393:
	v_bfe_u32 v24, v25, 24, 7
	s_movk_i32 s10, 0x7f
	v_cmp_ne_u32_e32 vcc, s10, v24
	v_mov_b32_e32 v55, 0x7f800001
	s_and_saveexec_b64 s[10:11], vcc
	s_cbranch_execz .LBB583_395
; %bb.394:
	v_and_b32_e32 v25, 7, v22
	v_ffbh_u32_e32 v56, v25
	v_min_u32_e32 v58, 32, v56
	v_subrev_u32_e32 v56, 28, v58
	v_lshlrev_b64 v[56:57], v56, v[22:23]
	v_lshrrev_b32_e32 v55, 3, v24
	v_sub_u32_e32 v57, 29, v58
	v_and_b32_e32 v56, 7, v56
	v_cmp_gt_u32_e32 vcc, 8, v24
	v_cndmask_b32_e32 v24, v55, v57, vcc
	v_cndmask_b32_e32 v25, v25, v56, vcc
	v_lshlrev_b32_e32 v22, 24, v22
	v_bfrev_b32_e32 v55, 60
	v_lshlrev_b32_e32 v25, 20, v25
	v_and_b32_e32 v22, 0x80000000, v22
	v_lshl_add_u32 v24, v24, 23, v55
	v_or3_b32 v55, v22, v24, v25
.LBB583_395:
	s_or_b64 exec, exec, s[10:11]
.LBB583_396:
	s_or_b64 exec, exec, s[8:9]
.LBB583_397:
	s_or_b64 exec, exec, s[2:3]
	v_cvt_pkrtz_f16_f32 v42, v42, v43
	v_cvt_pkrtz_f16_f32 v43, v23, v52
	s_load_dword s2, s[4:5], 0x1c
	s_mov_b32 s46, 0xff7fffff
	s_waitcnt lgkmcnt(0)
	v_mfma_f32_16x16x16f16 v[26:29], v[42:43], v[18:19], v[26:29]
	v_cvt_pkrtz_f16_f32 v18, v45, v54
	v_cvt_pkrtz_f16_f32 v19, v53, v55
	v_mov_b32_e32 v22, s2
	v_mul_f32_e32 v52, s12, v22
	v_pk_mul_f32 v[22:23], v[52:53], v[32:33] op_sel_hi:[0,1]
	v_pk_mul_f32 v[32:33], v[52:53], v[38:39] op_sel_hi:[0,1]
	v_and_b32_e32 v38, 0xc0, v0
	v_mfma_f32_16x16x16f16 v[26:29], v[18:19], v[20:21], v[26:29]
	v_add_u32_e32 v38, s18, v38
	v_lshl_or_b32 v38, v1, 2, v38
	v_or_b32_e32 v39, 1, v38
	v_pk_mul_f32 v[24:25], v[52:53], v[30:31] op_sel_hi:[0,1]
	v_pk_mul_f32 v[30:31], v[52:53], v[40:41] op_sel_hi:[0,1]
	v_subrev_u32_e32 v40, s33, v39
	v_pk_mul_f32 v[34:35], v[52:53], v[34:35] op_sel_hi:[0,1]
	s_nop 3
	v_pk_mul_f32 v[20:21], v[52:53], v[26:27] op_sel_hi:[0,1]
	v_add_u32_e32 v27, 1, v40
	v_pk_mul_f32 v[18:19], v[52:53], v[28:29] op_sel_hi:[0,1]
	v_cvt_f32_i32_e32 v27, v27
	v_add_u32_e32 v29, 3, v40
	v_cvt_f32_i32_e32 v29, v29
	v_cvt_f32_i32_e32 v26, v40
	v_pk_mul_f32 v[36:37], v[52:53], v[36:37] op_sel_hi:[0,1]
	v_fmac_f32_e32 v35, v51, v27
	v_add_u32_e32 v27, 16, v40
	v_fmac_f32_e32 v37, v51, v29
	v_cvt_f32_i32_e32 v27, v27
	v_add_u32_e32 v29, 17, v40
	v_fma_f32 v26, v51, v26, v34
	v_cvt_f32_i32_e32 v29, v29
	v_add_u32_e32 v34, 18, v40
	v_cvt_f32_i32_e32 v34, v34
	v_fma_f32 v41, v51, v27, v32
	v_add_u32_e32 v27, 32, v40
	v_fmac_f32_e32 v33, v51, v29
	v_cvt_f32_i32_e32 v27, v27
	v_add_u32_e32 v29, 33, v40
	v_add_u32_e32 v32, 34, v40
	v_fma_f32 v30, v51, v34, v30
	v_cvt_f32_i32_e32 v29, v29
	v_cvt_f32_i32_e32 v32, v32
	v_add_u32_e32 v34, 35, v40
	v_cvt_f32_i32_e32 v34, v34
	v_fma_f32 v24, v51, v27, v24
	v_add_u32_e32 v27, 48, v40
	v_fmac_f32_e32 v25, v51, v29
	v_fma_f32 v22, v51, v32, v22
	v_cvt_f32_i32_e32 v27, v27
	v_add_u32_e32 v29, 49, v40
	v_add_u32_e32 v32, 50, v40
	v_fmac_f32_e32 v23, v51, v34
	v_cvt_f32_i32_e32 v29, v29
	v_cvt_f32_i32_e32 v32, v32
	v_add_u32_e32 v34, 51, v40
	v_add_u32_e32 v28, 2, v40
	v_cvt_f32_i32_e32 v34, v34
	v_cvt_f32_i32_e32 v28, v28
	v_fma_f32 v20, v51, v27, v20
	v_mov_b32_e32 v27, 0xff7fffff
	v_cmp_gt_i32_e64 s[26:27], s33, v38
	v_cmp_gt_i32_e64 s[28:29], s33, v39
	v_fmac_f32_e32 v21, v51, v29
	v_fma_f32 v18, v51, v32, v18
	v_cndmask_b32_e64 v29, v27, v26, s[26:27]
	v_cndmask_b32_e64 v32, v27, v35, s[28:29]
	v_fmac_f32_e32 v19, v51, v34
	v_max3_f32 v29, v29, s46, v32
	v_or_b32_e32 v32, 2, v38
	v_or_b32_e32 v34, 3, v38
	v_fma_f32 v28, v51, v28, v36
	v_cmp_gt_i32_e64 s[30:31], s33, v32
	v_cmp_gt_i32_e64 s[34:35], s33, v34
	v_add_u32_e32 v36, 19, v40
	v_cndmask_b32_e64 v32, v27, v28, s[30:31]
	v_cndmask_b32_e64 v34, v27, v37, s[34:35]
	v_cvt_f32_i32_e32 v36, v36
	v_max3_f32 v29, v29, v32, v34
	v_or_b32_e32 v32, 16, v38
	v_or_b32_e32 v34, 17, v38
	v_cmp_gt_i32_e64 s[36:37], s33, v32
	v_cmp_gt_i32_e64 s[38:39], s33, v34
	v_cndmask_b32_e64 v32, v27, v41, s[36:37]
	v_cndmask_b32_e64 v34, v27, v33, s[38:39]
	v_max3_f32 v29, v29, v32, v34
	v_or_b32_e32 v32, 18, v38
	v_or_b32_e32 v34, 19, v38
	v_fmac_f32_e32 v31, v51, v36
	v_cmp_gt_i32_e64 s[20:21], s33, v32
	v_cmp_gt_i32_e64 s[22:23], s33, v34
	v_cndmask_b32_e64 v32, v27, v30, s[20:21]
	v_cndmask_b32_e64 v34, v27, v31, s[22:23]
	v_max3_f32 v29, v29, v32, v34
	v_or_b32_e32 v32, 32, v38
	v_or_b32_e32 v34, 33, v38
	v_cmp_gt_i32_e64 s[16:17], s33, v32
	v_cmp_gt_i32_e64 s[18:19], s33, v34
	v_cndmask_b32_e64 v32, v27, v24, s[16:17]
	v_cndmask_b32_e64 v34, v27, v25, s[18:19]
	v_max3_f32 v29, v29, v32, v34
	v_or_b32_e32 v32, 34, v38
	v_or_b32_e32 v34, 35, v38
	;; [unrolled: 7-line block ×4, first 2 shown]
	v_cmp_gt_i32_e32 vcc, s33, v32
	v_cmp_gt_i32_e64 s[2:3], s33, v34
	v_cndmask_b32_e32 v32, v27, v18, vcc
	v_cndmask_b32_e64 v27, v27, v19, s[2:3]
	v_max3_f32 v27, v29, v32, v27
	v_mbcnt_lo_u32_b32 v29, -1, 0
	v_mbcnt_hi_u32_b32 v29, -1, v29
	v_and_b32_e32 v32, 64, v29
	v_add_u32_e32 v32, 64, v32
	v_xor_b32_e32 v34, 32, v29
	v_cmp_lt_i32_e64 s[40:41], v34, v32
	v_cndmask_b32_e64 v34, v29, v34, s[40:41]
	v_lshlrev_b32_e32 v36, 2, v34
	ds_bpermute_b32 v34, v36, v27
	s_barrier
	s_waitcnt lgkmcnt(0)
	v_max_f32_e32 v34, v34, v34
	v_max_f32_e32 v27, v27, v34
	v_xor_b32_e32 v34, 16, v29
	v_cmp_lt_i32_e64 s[40:41], v34, v32
	v_cndmask_b32_e64 v29, v29, v34, s[40:41]
	v_lshlrev_b32_e32 v38, 2, v29
	ds_bpermute_b32 v29, v38, v27
	s_waitcnt lgkmcnt(0)
	v_max_f32_e32 v29, v29, v29
	v_max_f32_e32 v32, v27, v29
	v_sub_f32_e32 v26, v26, v32
	v_mul_f32_e32 v26, 0x3fb8aa3b, v26
	v_sub_f32_e32 v27, v35, v32
	v_exp_f32_e32 v26, v26
	v_mul_f32_e32 v27, 0x3fb8aa3b, v27
	v_sub_f32_e32 v28, v28, v32
	v_exp_f32_e32 v27, v27
	v_mul_f32_e32 v28, 0x3fb8aa3b, v28
	v_exp_f32_e32 v28, v28
	v_cndmask_b32_e64 v26, 0, v26, s[26:27]
	v_sub_f32_e32 v34, v37, v32
	v_add_f32_e32 v29, 0, v26
	v_cndmask_b32_e64 v27, 0, v27, s[28:29]
	v_mul_f32_e32 v34, 0x3fb8aa3b, v34
	v_exp_f32_e32 v35, v34
	v_add_f32_e32 v29, v29, v27
	v_cndmask_b32_e64 v34, 0, v28, s[30:31]
	v_add_f32_e32 v28, v29, v34
	v_sub_f32_e32 v29, v41, v32
	v_mul_f32_e32 v29, 0x3fb8aa3b, v29
	v_sub_f32_e32 v33, v33, v32
	v_exp_f32_e32 v29, v29
	v_mul_f32_e32 v33, 0x3fb8aa3b, v33
	v_sub_f32_e32 v30, v30, v32
	v_exp_f32_e32 v33, v33
	;; [unrolled: 3-line block ×3, first 2 shown]
	v_mul_f32_e32 v31, 0x3fb8aa3b, v31
	v_sub_f32_e32 v24, v24, v32
	v_cndmask_b32_e64 v35, 0, v35, s[34:35]
	v_exp_f32_e32 v31, v31
	v_mul_f32_e32 v24, 0x3fb8aa3b, v24
	v_sub_f32_e32 v25, v25, v32
	v_add_f32_e32 v37, v28, v35
	v_cndmask_b32_e64 v28, 0, v29, s[36:37]
	v_exp_f32_e32 v24, v24
	v_mul_f32_e32 v25, 0x3fb8aa3b, v25
	v_sub_f32_e32 v22, v22, v32
	v_add_f32_e32 v37, v37, v28
	;; [unrolled: 5-line block ×7, first 2 shown]
	v_cndmask_b32_e64 v22, 0, v22, s[12:13]
	v_exp_f32_e32 v18, v18
	v_mul_f32_e32 v19, 0x3fb8aa3b, v19
	v_add_f32_e32 v33, v33, v22
	v_cndmask_b32_e64 v23, 0, v23, s[14:15]
	v_exp_f32_e32 v19, v19
	v_add_f32_e32 v33, v33, v23
	v_cndmask_b32_e64 v20, 0, v20, s[8:9]
	v_add_f32_e32 v33, v33, v20
	v_cndmask_b32_e64 v21, 0, v21, s[10:11]
	v_add_f32_e32 v33, v33, v21
	v_cndmask_b32_e32 v18, 0, v18, vcc
	v_add_f32_e32 v33, v33, v18
	v_cndmask_b32_e64 v19, 0, v19, s[2:3]
	v_add_f32_e32 v33, v33, v19
	ds_bpermute_b32 v36, v36, v33
	v_cmp_gt_u32_e32 vcc, 16, v44
	s_waitcnt lgkmcnt(0)
	v_add_f32_e32 v33, v33, v36
	ds_bpermute_b32 v37, v38, v33
	v_lshlrev_b32_e32 v36, 2, v49
	s_and_saveexec_b64 s[2:3], vcc
	s_cbranch_execz .LBB583_399
; %bb.398:
	s_waitcnt lgkmcnt(0)
	v_add_f32_e32 v33, v33, v37
	v_lshl_or_b32 v37, v50, 6, v36
	ds_write2st64_b32 v37, v32, v33 offset1:1
.LBB583_399:
	s_or_b64 exec, exec, s[2:3]
	s_waitcnt lgkmcnt(0)
	s_barrier
	ds_read2_b32 v[38:39], v36 offset1:16
	ds_read2_b32 v[40:41], v36 offset0:32 offset1:48
	ds_read2_b32 v[42:43], v36 offset0:64 offset1:80
	s_mul_i32 s12, s45, 10
	s_waitcnt lgkmcnt(2)
	v_max3_f32 v32, v38, s46, v39
	s_waitcnt lgkmcnt(1)
	v_max3_f32 v33, v32, v40, v41
	v_sub_f32_e32 v32, v38, v33
	v_mul_f32_e32 v32, 0x3fb8aa3b, v32
	v_exp_f32_e32 v37, v32
	v_sub_f32_e32 v32, v39, v33
	v_mul_f32_e32 v32, 0x3fb8aa3b, v32
	v_exp_f32_e32 v44, v32
	;; [unrolled: 3-line block ×3, first 2 shown]
	ds_read2_b32 v[38:39], v36 offset0:96 offset1:112
	v_sub_f32_e32 v32, v41, v33
	v_mul_f32_e32 v32, 0x3fb8aa3b, v32
	v_exp_f32_e32 v41, v32
	s_waitcnt lgkmcnt(1)
	v_fma_f32 v36, v37, v42, 0
	v_fmac_f32_e32 v36, v44, v43
	s_waitcnt lgkmcnt(0)
	v_fmac_f32_e32 v36, v40, v38
	v_fmac_f32_e32 v36, v41, v39
	v_add_f32_e32 v38, 0x358637bd, v36
	v_div_scale_f32 v39, s[2:3], v38, v38, 1.0
	v_rcp_f32_e32 v42, v39
	s_barrier
	v_fma_f32 v43, -v39, v42, 1.0
	v_fmac_f32_e32 v42, v43, v42
	v_div_scale_f32 v43, vcc, 1.0, v38, 1.0
	v_mul_f32_e32 v45, v43, v42
	v_fma_f32 v51, -v39, v45, v43
	v_fmac_f32_e32 v45, v51, v42
	v_fma_f32 v39, -v39, v45, v43
	v_div_fmas_f32 v39, v39, v42, v45
	v_cmp_eq_u32_e32 vcc, 1, v50
	v_cndmask_b32_e32 v37, v37, v44, vcc
	v_cmp_eq_u32_e32 vcc, 2, v50
	v_cndmask_b32_e32 v37, v37, v40, vcc
	v_cmp_eq_u32_e32 vcc, 3, v50
	v_div_fixup_f32 v38, v39, v38, 1.0
	v_cndmask_b32_e32 v37, v37, v41, vcc
	v_mul_f32_e32 v38, v37, v38
	v_pk_mul_f32 v[26:27], v[38:39], v[26:27] op_sel_hi:[0,1]
	v_cvt_f16_f32_e32 v26, v26
	v_cvt_f16_f32_e32 v27, v27
	v_pk_mul_f32 v[34:35], v[38:39], v[34:35] op_sel_hi:[0,1]
	v_cvt_f16_f32_e32 v37, v34
	v_cvt_f16_f32_e32 v35, v35
	v_pack_b32_f16 v34, v26, v27
	v_pk_mul_f32 v[26:27], v[38:39], v[30:31] op_sel_hi:[0,1]
	v_pk_mul_f32 v[28:29], v[38:39], v[28:29] op_sel_hi:[0,1]
	v_cvt_f16_f32_e32 v28, v28
	v_cvt_f16_f32_e32 v29, v29
	;; [unrolled: 1-line block ×4, first 2 shown]
	v_pack_b32_f16 v35, v37, v35
	v_lshlrev_b32_e32 v37, 3, v1
	v_lshlrev_b32_e32 v26, 11, v50
	v_or3_b32 v26, v26, v48, v37
	v_pack_b32_f16 v28, v28, v29
	v_pack_b32_f16 v29, v30, v27
	v_pk_mul_f32 v[22:23], v[38:39], v[22:23] op_sel_hi:[0,1]
	v_pk_mul_f32 v[24:25], v[38:39], v[24:25] op_sel_hi:[0,1]
	;; [unrolled: 1-line block ×4, first 2 shown]
	ds_write2st64_b64 v26, v[34:35], v[28:29] offset1:1
	v_cvt_f16_f32_e32 v24, v24
	v_cvt_f16_f32_e32 v25, v25
	;; [unrolled: 1-line block ×8, first 2 shown]
	v_mov_b32_e32 v32, 0
	v_pack_b32_f16 v18, v24, v25
	v_pack_b32_f16 v19, v22, v23
	;; [unrolled: 1-line block ×4, first 2 shown]
	v_cmp_gt_u32_e32 vcc, 10, v0
	ds_write2st64_b64 v26, v[18:19], v[20:21] offset0:2 offset1:3
	s_and_saveexec_b64 s[2:3], vcc
	s_cbranch_execz .LBB583_401
; %bb.400:
	v_add_co_u32_e32 v20, vcc, s25, v49
	v_addc_co_u32_e64 v21, s[14:15], 0, 0, vcc
	v_mov_b32_e32 v18, s12
	v_mov_b32_e32 v19, 0
	v_mad_u64_u32 v[20:21], s[14:15], s6, v18, v[20:21]
	v_mov_b32_e32 v18, s24
	s_load_dwordx4 s[8:11], s[4:5], 0x58
	s_mul_i32 s7, s7, s12
	v_mad_u64_u32 v[18:19], s[14:15], v20, s44, v[18:19]
	v_add_u32_e32 v21, s7, v21
	v_mov_b32_e32 v20, v19
	v_mad_u64_u32 v[20:21], s[14:15], v21, s44, v[20:21]
	v_mov_b32_e32 v19, v20
	v_lshlrev_b64 v[18:19], 2, v[18:19]
	s_waitcnt lgkmcnt(0)
	v_mov_b32_e32 v21, s11
	v_add_co_u32_e32 v20, vcc, s10, v18
	v_addc_co_u32_e32 v21, vcc, v21, v19, vcc
	global_store_dword v[20:21], v33, off
	v_mov_b32_e32 v20, s9
	v_add_co_u32_e32 v18, vcc, s8, v18
	v_addc_co_u32_e32 v19, vcc, v20, v19, vcc
	global_store_dword v[18:19], v36, off
.LBB583_401:
	s_or_b64 exec, exec, s[2:3]
	v_mov_b32_e32 v19, 0
	s_waitcnt vmcnt(3)
	v_cmp_ne_u16_sdwa s[8:9], v14, v19 src0_sel:BYTE_0 src1_sel:DWORD
	s_waitcnt lgkmcnt(0)
	s_barrier
	s_and_saveexec_b64 s[2:3], s[8:9]
	s_cbranch_execz .LBB583_407
; %bb.402:
	s_movk_i32 s7, 0x80
	v_cmp_ne_u16_sdwa s[10:11], v14, s7 src0_sel:BYTE_0 src1_sel:DWORD
	v_bfrev_b32_e32 v32, 1
	s_and_saveexec_b64 s[8:9], s[10:11]
	s_cbranch_execz .LBB583_406
; %bb.403:
	s_movk_i32 s7, 0x7f
	v_and_b32_e32 v18, 0x7f, v14
	v_cmp_ne_u32_e32 vcc, s7, v18
	v_mov_b32_e32 v32, 0x7f800001
	s_and_saveexec_b64 s[10:11], vcc
	s_cbranch_execz .LBB583_405
; %bb.404:
	v_and_b32_e32 v22, 7, v14
	v_ffbh_u32_e32 v20, v22
	v_min_u32_e32 v24, 32, v20
	v_subrev_u32_e32 v20, 28, v24
	v_lshlrev_b64 v[20:21], v20, v[14:15]
	v_lshrrev_b32_e32 v23, 3, v18
	v_sub_u32_e32 v21, 29, v24
	v_and_b32_e32 v20, 7, v20
	v_cmp_gt_u32_e32 vcc, 8, v18
	v_cndmask_b32_e32 v18, v23, v21, vcc
	v_cndmask_b32_e32 v20, v22, v20, vcc
	v_lshlrev_b32_e32 v21, 24, v14
	v_bfrev_b32_e32 v22, 60
	v_lshlrev_b32_e32 v20, 20, v20
	v_and_b32_e32 v21, 0x80000000, v21
	v_lshl_add_u32 v18, v18, 23, v22
	v_or3_b32 v32, v21, v18, v20
.LBB583_405:
	s_or_b64 exec, exec, s[10:11]
.LBB583_406:
	s_or_b64 exec, exec, s[8:9]
.LBB583_407:
	s_or_b64 exec, exec, s[2:3]
	v_lshrrev_b16_e32 v18, 8, v14
	v_cmp_ne_u16_e32 vcc, 0, v18
	v_mov_b32_e32 v20, 0
	s_and_saveexec_b64 s[2:3], vcc
	s_cbranch_execz .LBB583_413
; %bb.408:
	s_movk_i32 s7, 0x80
	v_cmp_ne_u16_e32 vcc, s7, v18
	v_bfrev_b32_e32 v20, 1
	s_and_saveexec_b64 s[8:9], vcc
	s_cbranch_execz .LBB583_412
; %bb.409:
	s_movk_i32 s7, 0x7f
	v_and_b32_e32 v21, 0x7f, v18
	v_cmp_ne_u32_e32 vcc, s7, v21
	v_mov_b32_e32 v20, 0x7f800001
	s_and_saveexec_b64 s[10:11], vcc
	s_cbranch_execz .LBB583_411
; %bb.410:
	v_and_b32_e32 v20, 7, v18
	v_ffbh_u32_e32 v22, v20
	v_min_u32_e32 v25, 32, v22
	v_subrev_u32_e32 v22, 28, v25
	v_lshlrev_b64 v[22:23], v22, v[18:19]
	v_lshrrev_b32_e32 v24, 3, v21
	v_sub_u32_e32 v18, 29, v25
	v_and_b32_e32 v22, 7, v22
	v_cmp_gt_u32_e32 vcc, 8, v21
	v_cndmask_b32_e32 v18, v24, v18, vcc
	v_cndmask_b32_e32 v20, v20, v22, vcc
	v_lshlrev_b32_e32 v21, 16, v14
	v_bfrev_b32_e32 v22, 60
	v_lshlrev_b32_e32 v20, 20, v20
	v_and_b32_e32 v21, 0x80000000, v21
	v_lshl_add_u32 v18, v18, 23, v22
	v_or3_b32 v20, v21, v18, v20
.LBB583_411:
	s_or_b64 exec, exec, s[10:11]
.LBB583_412:
	s_or_b64 exec, exec, s[8:9]
.LBB583_413:
	s_or_b64 exec, exec, s[2:3]
	s_movk_i32 s2, 0xff
	v_and_b32_sdwa v21, v14, s2 dst_sel:DWORD dst_unused:UNUSED_PAD src0_sel:WORD_1 src1_sel:DWORD
	v_lshrrev_b32_e32 v18, 16, v14
	v_cmp_ne_u16_e32 vcc, 0, v21
	s_and_saveexec_b64 s[2:3], vcc
	s_cbranch_execz .LBB583_419
; %bb.414:
	s_movk_i32 s7, 0x80
	v_cmp_ne_u16_e32 vcc, s7, v21
	v_bfrev_b32_e32 v19, 1
	s_and_saveexec_b64 s[8:9], vcc
	s_cbranch_execz .LBB583_418
; %bb.415:
	v_bfe_u32 v21, v14, 16, 7
	s_movk_i32 s7, 0x7f
	v_cmp_ne_u32_e32 vcc, s7, v21
	v_mov_b32_e32 v19, 0x7f800001
	s_and_saveexec_b64 s[10:11], vcc
	s_cbranch_execz .LBB583_417
; %bb.416:
	v_and_b32_e32 v22, 7, v18
	v_ffbh_u32_e32 v19, v22
	v_min_u32_e32 v24, 32, v19
	v_subrev_u32_e32 v19, 28, v24
	v_lshlrev_b64 v[18:19], v19, v[18:19]
	v_lshrrev_b32_e32 v23, 3, v21
	v_sub_u32_e32 v19, 29, v24
	v_and_b32_e32 v18, 7, v18
	v_cmp_gt_u32_e32 vcc, 8, v21
	v_mov_b32_e32 v21, 24
	v_cndmask_b32_e32 v19, v23, v19, vcc
	v_cndmask_b32_e32 v18, v22, v18, vcc
	v_lshlrev_b32_sdwa v21, v21, v14 dst_sel:DWORD dst_unused:UNUSED_PAD src0_sel:DWORD src1_sel:WORD_1
	v_bfrev_b32_e32 v22, 60
	v_lshlrev_b32_e32 v18, 20, v18
	v_and_b32_e32 v21, 0x80000000, v21
	v_lshl_add_u32 v19, v19, 23, v22
	v_or3_b32 v19, v21, v19, v18
.LBB583_417:
	s_or_b64 exec, exec, s[10:11]
.LBB583_418:
	s_or_b64 exec, exec, s[8:9]
.LBB583_419:
	s_or_b64 exec, exec, s[2:3]
	s_mov_b32 s2, 0xffffff
	v_cmp_lt_u32_e32 vcc, s2, v14
	v_mov_b32_e32 v21, 0
	v_mov_b32_e32 v22, 0
	s_and_saveexec_b64 s[2:3], vcc
	s_cbranch_execz .LBB583_425
; %bb.420:
	v_lshrrev_b32_e32 v18, 24, v14
	s_movk_i32 s7, 0x80
	v_cmp_ne_u32_e32 vcc, s7, v18
	v_bfrev_b32_e32 v22, 1
	s_and_saveexec_b64 s[8:9], vcc
	s_cbranch_execz .LBB583_424
; %bb.421:
	v_bfe_u32 v14, v14, 24, 7
	s_movk_i32 s7, 0x7f
	v_cmp_ne_u32_e32 vcc, s7, v14
	v_mov_b32_e32 v22, 0x7f800001
	s_and_saveexec_b64 s[10:11], vcc
	s_cbranch_execz .LBB583_423
; %bb.422:
	v_and_b32_e32 v24, 7, v18
	v_ffbh_u32_e32 v22, v24
	v_min_u32_e32 v27, 32, v22
	v_subrev_u32_e32 v22, 28, v27
	v_lshlrev_b64 v[22:23], v22, v[18:19]
	v_lshrrev_b32_e32 v25, 3, v14
	v_sub_u32_e32 v23, 29, v27
	v_and_b32_e32 v22, 7, v22
	v_cmp_gt_u32_e32 vcc, 8, v14
	v_cndmask_b32_e32 v14, v25, v23, vcc
	v_cndmask_b32_e32 v22, v24, v22, vcc
	v_lshlrev_b32_e32 v18, 24, v18
	v_bfrev_b32_e32 v23, 60
	v_lshlrev_b32_e32 v22, 20, v22
	v_and_b32_e32 v18, 0x80000000, v18
	v_lshl_add_u32 v14, v14, 23, v23
	v_or3_b32 v22, v18, v14, v22
.LBB583_423:
	s_or_b64 exec, exec, s[10:11]
.LBB583_424:
	s_or_b64 exec, exec, s[8:9]
.LBB583_425:
	s_or_b64 exec, exec, s[2:3]
	v_cmp_ne_u16_sdwa s[8:9], v15, v21 src0_sel:BYTE_0 src1_sel:DWORD
	s_and_saveexec_b64 s[2:3], s[8:9]
	s_cbranch_execz .LBB583_431
; %bb.426:
	s_movk_i32 s7, 0x80
	v_cmp_ne_u16_sdwa s[10:11], v15, s7 src0_sel:BYTE_0 src1_sel:DWORD
	v_bfrev_b32_e32 v21, 1
	s_and_saveexec_b64 s[8:9], s[10:11]
	s_cbranch_execz .LBB583_430
; %bb.427:
	s_movk_i32 s7, 0x7f
	v_and_b32_e32 v14, 0x7f, v15
	v_cmp_ne_u32_e32 vcc, s7, v14
	v_mov_b32_e32 v21, 0x7f800001
	s_and_saveexec_b64 s[10:11], vcc
	s_cbranch_execz .LBB583_429
; %bb.428:
	v_and_b32_e32 v21, 7, v15
	v_ffbh_u32_e32 v24, v21
	v_min_u32_e32 v27, 32, v24
	v_mov_b32_e32 v18, v15
	v_subrev_u32_e32 v24, 28, v27
	v_lshlrev_b64 v[24:25], v24, v[18:19]
	v_lshrrev_b32_e32 v23, 3, v14
	v_sub_u32_e32 v18, 29, v27
	v_and_b32_e32 v24, 7, v24
	v_cmp_gt_u32_e32 vcc, 8, v14
	v_cndmask_b32_e32 v14, v23, v18, vcc
	v_cndmask_b32_e32 v18, v21, v24, vcc
	v_lshlrev_b32_e32 v21, 24, v15
	v_bfrev_b32_e32 v23, 60
	v_lshlrev_b32_e32 v18, 20, v18
	v_and_b32_e32 v21, 0x80000000, v21
	v_lshl_add_u32 v14, v14, 23, v23
	v_or3_b32 v21, v21, v14, v18
.LBB583_429:
	s_or_b64 exec, exec, s[10:11]
.LBB583_430:
	s_or_b64 exec, exec, s[8:9]
.LBB583_431:
	s_or_b64 exec, exec, s[2:3]
	v_lshrrev_b16_e32 v14, 8, v15
	v_cmp_ne_u16_e32 vcc, 0, v14
	v_mov_b32_e32 v18, 0
	v_mov_b32_e32 v24, 0
	s_and_saveexec_b64 s[2:3], vcc
	s_cbranch_execz .LBB583_437
; %bb.432:
	s_movk_i32 s7, 0x80
	v_cmp_ne_u16_e32 vcc, s7, v14
	v_bfrev_b32_e32 v24, 1
	s_and_saveexec_b64 s[8:9], vcc
	s_cbranch_execz .LBB583_436
; %bb.433:
	s_movk_i32 s7, 0x7f
	v_and_b32_e32 v23, 0x7f, v14
	v_cmp_ne_u32_e32 vcc, s7, v23
	v_mov_b32_e32 v24, 0x7f800001
	s_and_saveexec_b64 s[10:11], vcc
	s_cbranch_execz .LBB583_435
; %bb.434:
	v_and_b32_e32 v27, 7, v14
	v_ffbh_u32_e32 v24, v27
	v_min_u32_e32 v29, 32, v24
	v_subrev_u32_e32 v24, 28, v29
	v_lshlrev_b64 v[24:25], v24, v[14:15]
	v_lshrrev_b32_e32 v28, 3, v23
	v_sub_u32_e32 v14, 29, v29
	v_and_b32_e32 v24, 7, v24
	v_cmp_gt_u32_e32 vcc, 8, v23
	v_cndmask_b32_e32 v14, v28, v14, vcc
	v_cndmask_b32_e32 v23, v27, v24, vcc
	v_lshlrev_b32_e32 v24, 16, v15
	v_bfrev_b32_e32 v25, 60
	v_lshlrev_b32_e32 v23, 20, v23
	v_and_b32_e32 v24, 0x80000000, v24
	v_lshl_add_u32 v14, v14, 23, v25
	v_or3_b32 v24, v24, v14, v23
.LBB583_435:
	s_or_b64 exec, exec, s[10:11]
.LBB583_436:
	s_or_b64 exec, exec, s[8:9]
.LBB583_437:
	s_or_b64 exec, exec, s[2:3]
	s_movk_i32 s2, 0xff
	v_and_b32_sdwa v23, v15, s2 dst_sel:DWORD dst_unused:UNUSED_PAD src0_sel:WORD_1 src1_sel:DWORD
	v_lshrrev_b32_e32 v14, 16, v15
	v_cmp_ne_u16_e32 vcc, 0, v23
	s_and_saveexec_b64 s[2:3], vcc
	s_cbranch_execz .LBB583_443
; %bb.438:
	s_movk_i32 s7, 0x80
	v_cmp_ne_u16_e32 vcc, s7, v23
	v_bfrev_b32_e32 v18, 1
	s_and_saveexec_b64 s[8:9], vcc
	s_cbranch_execz .LBB583_442
; %bb.439:
	v_bfe_u32 v23, v15, 16, 7
	s_movk_i32 s7, 0x7f
	v_cmp_ne_u32_e32 vcc, s7, v23
	v_mov_b32_e32 v18, 0x7f800001
	s_and_saveexec_b64 s[10:11], vcc
	s_cbranch_execz .LBB583_441
; %bb.440:
	v_and_b32_e32 v18, 7, v14
	v_ffbh_u32_e32 v27, v18
	v_min_u32_e32 v27, 32, v27
	v_subrev_u32_e32 v28, 28, v27
	v_lshlrev_b64 v[28:29], v28, v[14:15]
	v_lshrrev_b32_e32 v25, 3, v23
	v_sub_u32_e32 v14, 29, v27
	v_and_b32_e32 v27, 7, v28
	v_cmp_gt_u32_e32 vcc, 8, v23
	v_mov_b32_e32 v23, 24
	v_cndmask_b32_e32 v14, v25, v14, vcc
	v_cndmask_b32_e32 v18, v18, v27, vcc
	v_lshlrev_b32_sdwa v23, v23, v15 dst_sel:DWORD dst_unused:UNUSED_PAD src0_sel:DWORD src1_sel:WORD_1
	v_bfrev_b32_e32 v25, 60
	v_lshlrev_b32_e32 v18, 20, v18
	v_and_b32_e32 v23, 0x80000000, v23
	v_lshl_add_u32 v14, v14, 23, v25
	v_or3_b32 v18, v23, v14, v18
.LBB583_441:
	s_or_b64 exec, exec, s[10:11]
.LBB583_442:
	s_or_b64 exec, exec, s[8:9]
.LBB583_443:
	s_or_b64 exec, exec, s[2:3]
	s_mov_b32 s2, 0xffffff
	v_cmp_lt_u32_e32 vcc, s2, v15
	v_mov_b32_e32 v23, 0
	v_mov_b32_e32 v25, 0
	s_and_saveexec_b64 s[2:3], vcc
	s_cbranch_execz .LBB583_449
; %bb.444:
	v_lshrrev_b32_e32 v14, 24, v15
	s_movk_i32 s7, 0x80
	v_cmp_ne_u32_e32 vcc, s7, v14
	v_bfrev_b32_e32 v25, 1
	s_and_saveexec_b64 s[8:9], vcc
	s_cbranch_execz .LBB583_448
; %bb.445:
	v_bfe_u32 v15, v15, 24, 7
	s_movk_i32 s7, 0x7f
	v_cmp_ne_u32_e32 vcc, s7, v15
	v_mov_b32_e32 v25, 0x7f800001
	s_and_saveexec_b64 s[10:11], vcc
	s_cbranch_execz .LBB583_447
; %bb.446:
	v_and_b32_e32 v25, 7, v14
	v_ffbh_u32_e32 v28, v25
	v_min_u32_e32 v30, 32, v28
	v_subrev_u32_e32 v28, 28, v30
	v_lshlrev_b64 v[28:29], v28, v[14:15]
	v_lshrrev_b32_e32 v27, 3, v15
	v_sub_u32_e32 v29, 29, v30
	v_and_b32_e32 v28, 7, v28
	v_cmp_gt_u32_e32 vcc, 8, v15
	v_cndmask_b32_e32 v15, v27, v29, vcc
	v_cndmask_b32_e32 v25, v25, v28, vcc
	v_lshlrev_b32_e32 v14, 24, v14
	v_bfrev_b32_e32 v27, 60
	v_lshlrev_b32_e32 v25, 20, v25
	v_and_b32_e32 v14, 0x80000000, v14
	v_lshl_add_u32 v15, v15, 23, v27
	v_or3_b32 v25, v14, v15, v25
.LBB583_447:
	s_or_b64 exec, exec, s[10:11]
.LBB583_448:
	s_or_b64 exec, exec, s[8:9]
.LBB583_449:
	s_or_b64 exec, exec, s[2:3]
	v_cvt_pkrtz_f16_f32 v15, v19, v22
	v_lshl_or_b32 v22, v1, 9, v48
	v_cvt_pkrtz_f16_f32 v14, v32, v20
	ds_read_b128 v[28:31], v22
	v_cmp_ne_u16_sdwa s[8:9], v16, v23 src0_sel:BYTE_0 src1_sel:DWORD
	s_waitcnt lgkmcnt(0)
	v_mfma_f32_16x16x16f16 v[32:35], v[14:15], v[28:29], 0
	v_cvt_pkrtz_f16_f32 v14, v21, v24
	v_cvt_pkrtz_f16_f32 v15, v18, v25
	s_nop 1
	v_mfma_f32_16x16x16f16 v[18:21], v[14:15], v[30:31], v[32:35]
	s_and_saveexec_b64 s[2:3], s[8:9]
	s_cbranch_execz .LBB583_455
; %bb.450:
	s_movk_i32 s7, 0x80
	v_cmp_ne_u16_sdwa s[10:11], v16, s7 src0_sel:BYTE_0 src1_sel:DWORD
	v_bfrev_b32_e32 v23, 1
	s_and_saveexec_b64 s[8:9], s[10:11]
	s_cbranch_execz .LBB583_454
; %bb.451:
	s_movk_i32 s7, 0x7f
	v_and_b32_e32 v14, 0x7f, v16
	v_cmp_ne_u32_e32 vcc, s7, v14
	v_mov_b32_e32 v23, 0x7f800001
	s_and_saveexec_b64 s[10:11], vcc
	s_cbranch_execz .LBB583_453
; %bb.452:
	v_and_b32_e32 v15, 7, v16
	v_ffbh_u32_e32 v24, v15
	v_min_u32_e32 v27, 32, v24
	v_subrev_u32_e32 v24, 28, v27
	v_lshlrev_b64 v[24:25], v24, v[16:17]
	v_lshrrev_b32_e32 v23, 3, v14
	v_sub_u32_e32 v25, 29, v27
	v_and_b32_e32 v24, 7, v24
	v_cmp_gt_u32_e32 vcc, 8, v14
	v_cndmask_b32_e32 v14, v23, v25, vcc
	v_cndmask_b32_e32 v15, v15, v24, vcc
	v_lshlrev_b32_e32 v23, 24, v16
	v_bfrev_b32_e32 v24, 60
	v_lshlrev_b32_e32 v15, 20, v15
	v_and_b32_e32 v23, 0x80000000, v23
	v_lshl_add_u32 v14, v14, 23, v24
	v_or3_b32 v23, v23, v14, v15
.LBB583_453:
	s_or_b64 exec, exec, s[10:11]
.LBB583_454:
	s_or_b64 exec, exec, s[8:9]
.LBB583_455:
	s_or_b64 exec, exec, s[2:3]
	v_lshrrev_b16_e32 v14, 8, v16
	v_cmp_ne_u16_e32 vcc, 0, v14
	v_mov_b32_e32 v15, 0
	v_mov_b32_e32 v25, 0
	s_and_saveexec_b64 s[2:3], vcc
	s_cbranch_execz .LBB583_461
; %bb.456:
	s_movk_i32 s7, 0x80
	v_cmp_ne_u16_e32 vcc, s7, v14
	v_bfrev_b32_e32 v25, 1
	s_and_saveexec_b64 s[8:9], vcc
	s_cbranch_execz .LBB583_460
; %bb.457:
	s_movk_i32 s7, 0x7f
	v_and_b32_e32 v24, 0x7f, v14
	v_cmp_ne_u32_e32 vcc, s7, v24
	v_mov_b32_e32 v25, 0x7f800001
	s_and_saveexec_b64 s[10:11], vcc
	s_cbranch_execz .LBB583_459
; %bb.458:
	v_and_b32_e32 v25, 7, v14
	v_ffbh_u32_e32 v28, v25
	v_min_u32_e32 v30, 32, v28
	v_subrev_u32_e32 v28, 28, v30
	v_lshlrev_b64 v[28:29], v28, v[14:15]
	v_lshrrev_b32_e32 v27, 3, v24
	v_sub_u32_e32 v14, 29, v30
	v_and_b32_e32 v28, 7, v28
	v_cmp_gt_u32_e32 vcc, 8, v24
	v_cndmask_b32_e32 v14, v27, v14, vcc
	v_cndmask_b32_e32 v24, v25, v28, vcc
	v_lshlrev_b32_e32 v25, 16, v16
	v_bfrev_b32_e32 v27, 60
	v_lshlrev_b32_e32 v24, 20, v24
	v_and_b32_e32 v25, 0x80000000, v25
	v_lshl_add_u32 v14, v14, 23, v27
	v_or3_b32 v25, v25, v14, v24
.LBB583_459:
	s_or_b64 exec, exec, s[10:11]
.LBB583_460:
	s_or_b64 exec, exec, s[8:9]
.LBB583_461:
	s_or_b64 exec, exec, s[2:3]
	s_movk_i32 s2, 0xff
	v_and_b32_sdwa v24, v16, s2 dst_sel:DWORD dst_unused:UNUSED_PAD src0_sel:WORD_1 src1_sel:DWORD
	v_lshrrev_b32_e32 v14, 16, v16
	v_cmp_ne_u16_e32 vcc, 0, v24
	s_and_saveexec_b64 s[2:3], vcc
	s_cbranch_execz .LBB583_467
; %bb.462:
	s_movk_i32 s7, 0x80
	v_cmp_ne_u16_e32 vcc, s7, v24
	v_bfrev_b32_e32 v15, 1
	s_and_saveexec_b64 s[8:9], vcc
	s_cbranch_execz .LBB583_466
; %bb.463:
	v_bfe_u32 v24, v16, 16, 7
	s_movk_i32 s7, 0x7f
	v_cmp_ne_u32_e32 vcc, s7, v24
	v_mov_b32_e32 v15, 0x7f800001
	s_and_saveexec_b64 s[10:11], vcc
	s_cbranch_execz .LBB583_465
; %bb.464:
	v_and_b32_e32 v27, 7, v14
	v_ffbh_u32_e32 v15, v27
	v_min_u32_e32 v29, 32, v15
	v_subrev_u32_e32 v15, 28, v29
	v_lshlrev_b64 v[14:15], v15, v[14:15]
	v_lshrrev_b32_e32 v28, 3, v24
	v_sub_u32_e32 v15, 29, v29
	v_and_b32_e32 v14, 7, v14
	v_cmp_gt_u32_e32 vcc, 8, v24
	v_mov_b32_e32 v24, 24
	v_cndmask_b32_e32 v15, v28, v15, vcc
	v_cndmask_b32_e32 v14, v27, v14, vcc
	v_lshlrev_b32_sdwa v24, v24, v16 dst_sel:DWORD dst_unused:UNUSED_PAD src0_sel:DWORD src1_sel:WORD_1
	v_bfrev_b32_e32 v27, 60
	v_lshlrev_b32_e32 v14, 20, v14
	v_and_b32_e32 v24, 0x80000000, v24
	v_lshl_add_u32 v15, v15, 23, v27
	v_or3_b32 v15, v24, v15, v14
.LBB583_465:
	s_or_b64 exec, exec, s[10:11]
.LBB583_466:
	s_or_b64 exec, exec, s[8:9]
.LBB583_467:
	s_or_b64 exec, exec, s[2:3]
	s_mov_b32 s2, 0xffffff
	v_cmp_lt_u32_e32 vcc, s2, v16
	v_mov_b32_e32 v27, 0
	v_mov_b32_e32 v28, 0
	s_and_saveexec_b64 s[2:3], vcc
	s_cbranch_execz .LBB583_473
; %bb.468:
	v_lshrrev_b32_e32 v14, 24, v16
	s_movk_i32 s7, 0x80
	v_cmp_ne_u32_e32 vcc, s7, v14
	v_bfrev_b32_e32 v28, 1
	s_and_saveexec_b64 s[8:9], vcc
	s_cbranch_execz .LBB583_472
; %bb.469:
	v_bfe_u32 v16, v16, 24, 7
	s_movk_i32 s7, 0x7f
	v_cmp_ne_u32_e32 vcc, s7, v16
	v_mov_b32_e32 v28, 0x7f800001
	s_and_saveexec_b64 s[10:11], vcc
	s_cbranch_execz .LBB583_471
; %bb.470:
	v_and_b32_e32 v24, 7, v14
	v_ffbh_u32_e32 v28, v24
	v_min_u32_e32 v31, 32, v28
	v_subrev_u32_e32 v28, 28, v31
	v_lshlrev_b64 v[28:29], v28, v[14:15]
	v_lshrrev_b32_e32 v30, 3, v16
	v_sub_u32_e32 v29, 29, v31
	v_and_b32_e32 v28, 7, v28
	v_cmp_gt_u32_e32 vcc, 8, v16
	v_cndmask_b32_e32 v16, v30, v29, vcc
	v_cndmask_b32_e32 v24, v24, v28, vcc
	v_lshlrev_b32_e32 v14, 24, v14
	v_bfrev_b32_e32 v28, 60
	v_lshlrev_b32_e32 v24, 20, v24
	v_and_b32_e32 v14, 0x80000000, v14
	v_lshl_add_u32 v16, v16, 23, v28
	v_or3_b32 v28, v14, v16, v24
.LBB583_471:
	s_or_b64 exec, exec, s[10:11]
.LBB583_472:
	s_or_b64 exec, exec, s[8:9]
.LBB583_473:
	s_or_b64 exec, exec, s[2:3]
	v_cmp_ne_u16_sdwa s[8:9], v17, v27 src0_sel:BYTE_0 src1_sel:DWORD
	s_and_saveexec_b64 s[2:3], s[8:9]
	s_cbranch_execz .LBB583_479
; %bb.474:
	s_movk_i32 s7, 0x80
	v_cmp_ne_u16_sdwa s[10:11], v17, s7 src0_sel:BYTE_0 src1_sel:DWORD
	v_bfrev_b32_e32 v27, 1
	s_and_saveexec_b64 s[8:9], s[10:11]
	s_cbranch_execz .LBB583_478
; %bb.475:
	s_movk_i32 s7, 0x7f
	v_and_b32_e32 v14, 0x7f, v17
	v_cmp_ne_u32_e32 vcc, s7, v14
	v_mov_b32_e32 v27, 0x7f800001
	s_and_saveexec_b64 s[10:11], vcc
	s_cbranch_execz .LBB583_477
; %bb.476:
	v_and_b32_e32 v24, 7, v17
	v_ffbh_u32_e32 v29, v24
	v_min_u32_e32 v29, 32, v29
	v_mov_b32_e32 v16, v17
	v_subrev_u32_e32 v30, 28, v29
	v_lshlrev_b64 v[30:31], v30, v[16:17]
	v_lshrrev_b32_e32 v27, 3, v14
	v_sub_u32_e32 v16, 29, v29
	v_and_b32_e32 v29, 7, v30
	v_cmp_gt_u32_e32 vcc, 8, v14
	v_cndmask_b32_e32 v14, v27, v16, vcc
	v_cndmask_b32_e32 v16, v24, v29, vcc
	v_lshlrev_b32_e32 v24, 24, v17
	v_bfrev_b32_e32 v27, 60
	v_lshlrev_b32_e32 v16, 20, v16
	v_and_b32_e32 v24, 0x80000000, v24
	v_lshl_add_u32 v14, v14, 23, v27
	v_or3_b32 v27, v24, v14, v16
.LBB583_477:
	s_or_b64 exec, exec, s[10:11]
.LBB583_478:
	s_or_b64 exec, exec, s[8:9]
.LBB583_479:
	s_or_b64 exec, exec, s[2:3]
	v_lshrrev_b16_e32 v14, 8, v17
	v_cmp_ne_u16_e32 vcc, 0, v14
	v_mov_b32_e32 v16, 0
	v_mov_b32_e32 v29, 0
	s_and_saveexec_b64 s[2:3], vcc
	s_cbranch_execz .LBB583_485
; %bb.480:
	s_movk_i32 s7, 0x80
	v_cmp_ne_u16_e32 vcc, s7, v14
	v_bfrev_b32_e32 v29, 1
	s_and_saveexec_b64 s[8:9], vcc
	s_cbranch_execz .LBB583_484
; %bb.481:
	s_movk_i32 s7, 0x7f
	v_and_b32_e32 v24, 0x7f, v14
	v_cmp_ne_u32_e32 vcc, s7, v24
	v_mov_b32_e32 v29, 0x7f800001
	s_and_saveexec_b64 s[10:11], vcc
	s_cbranch_execz .LBB583_483
; %bb.482:
	v_and_b32_e32 v29, 7, v14
	v_ffbh_u32_e32 v30, v29
	v_min_u32_e32 v33, 32, v30
	v_subrev_u32_e32 v30, 28, v33
	v_lshlrev_b64 v[30:31], v30, v[14:15]
	v_lshrrev_b32_e32 v32, 3, v24
	v_sub_u32_e32 v14, 29, v33
	v_and_b32_e32 v30, 7, v30
	v_cmp_gt_u32_e32 vcc, 8, v24
	v_cndmask_b32_e32 v14, v32, v14, vcc
	v_cndmask_b32_e32 v24, v29, v30, vcc
	v_lshlrev_b32_e32 v29, 16, v17
	v_bfrev_b32_e32 v30, 60
	v_lshlrev_b32_e32 v24, 20, v24
	v_and_b32_e32 v29, 0x80000000, v29
	v_lshl_add_u32 v14, v14, 23, v30
	v_or3_b32 v29, v29, v14, v24
.LBB583_483:
	s_or_b64 exec, exec, s[10:11]
.LBB583_484:
	s_or_b64 exec, exec, s[8:9]
.LBB583_485:
	s_or_b64 exec, exec, s[2:3]
	s_movk_i32 s2, 0xff
	v_and_b32_sdwa v24, v17, s2 dst_sel:DWORD dst_unused:UNUSED_PAD src0_sel:WORD_1 src1_sel:DWORD
	v_lshrrev_b32_e32 v14, 16, v17
	v_cmp_ne_u16_e32 vcc, 0, v24
	s_and_saveexec_b64 s[2:3], vcc
	s_cbranch_execz .LBB583_491
; %bb.486:
	s_movk_i32 s7, 0x80
	v_cmp_ne_u16_e32 vcc, s7, v24
	v_bfrev_b32_e32 v16, 1
	s_and_saveexec_b64 s[8:9], vcc
	s_cbranch_execz .LBB583_490
; %bb.487:
	v_bfe_u32 v24, v17, 16, 7
	s_movk_i32 s7, 0x7f
	v_cmp_ne_u32_e32 vcc, s7, v24
	v_mov_b32_e32 v16, 0x7f800001
	s_and_saveexec_b64 s[10:11], vcc
	s_cbranch_execz .LBB583_489
; %bb.488:
	v_and_b32_e32 v16, 7, v14
	v_ffbh_u32_e32 v30, v16
	v_min_u32_e32 v33, 32, v30
	v_subrev_u32_e32 v30, 28, v33
	v_lshlrev_b64 v[30:31], v30, v[14:15]
	v_lshrrev_b32_e32 v32, 3, v24
	v_sub_u32_e32 v14, 29, v33
	v_and_b32_e32 v30, 7, v30
	v_cmp_gt_u32_e32 vcc, 8, v24
	v_mov_b32_e32 v24, 24
	v_cndmask_b32_e32 v14, v32, v14, vcc
	v_cndmask_b32_e32 v16, v16, v30, vcc
	v_lshlrev_b32_sdwa v24, v24, v17 dst_sel:DWORD dst_unused:UNUSED_PAD src0_sel:DWORD src1_sel:WORD_1
	v_bfrev_b32_e32 v30, 60
	v_lshlrev_b32_e32 v16, 20, v16
	v_and_b32_e32 v24, 0x80000000, v24
	v_lshl_add_u32 v14, v14, 23, v30
	v_or3_b32 v16, v24, v14, v16
.LBB583_489:
	s_or_b64 exec, exec, s[10:11]
.LBB583_490:
	s_or_b64 exec, exec, s[8:9]
.LBB583_491:
	s_or_b64 exec, exec, s[2:3]
	s_mov_b32 s2, 0xffffff
	v_cmp_lt_u32_e32 vcc, s2, v17
	v_mov_b32_e32 v24, 0
	v_mov_b32_e32 v30, 0
	s_and_saveexec_b64 s[2:3], vcc
	s_cbranch_execz .LBB583_497
; %bb.492:
	v_lshrrev_b32_e32 v14, 24, v17
	s_movk_i32 s7, 0x80
	v_cmp_ne_u32_e32 vcc, s7, v14
	v_bfrev_b32_e32 v30, 1
	s_and_saveexec_b64 s[8:9], vcc
	s_cbranch_execz .LBB583_496
; %bb.493:
	v_bfe_u32 v17, v17, 24, 7
	s_movk_i32 s7, 0x7f
	v_cmp_ne_u32_e32 vcc, s7, v17
	v_mov_b32_e32 v30, 0x7f800001
	s_and_saveexec_b64 s[10:11], vcc
	s_cbranch_execz .LBB583_495
; %bb.494:
	v_and_b32_e32 v32, 7, v14
	v_ffbh_u32_e32 v30, v32
	v_min_u32_e32 v34, 32, v30
	v_subrev_u32_e32 v30, 28, v34
	v_lshlrev_b64 v[30:31], v30, v[14:15]
	v_lshrrev_b32_e32 v33, 3, v17
	v_sub_u32_e32 v31, 29, v34
	v_and_b32_e32 v30, 7, v30
	v_cmp_gt_u32_e32 vcc, 8, v17
	v_cndmask_b32_e32 v17, v33, v31, vcc
	v_cndmask_b32_e32 v30, v32, v30, vcc
	v_lshlrev_b32_e32 v14, 24, v14
	v_bfrev_b32_e32 v31, 60
	v_lshlrev_b32_e32 v30, 20, v30
	v_and_b32_e32 v14, 0x80000000, v14
	v_lshl_add_u32 v17, v17, 23, v31
	v_or3_b32 v30, v14, v17, v30
.LBB583_495:
	s_or_b64 exec, exec, s[10:11]
.LBB583_496:
	s_or_b64 exec, exec, s[8:9]
.LBB583_497:
	s_or_b64 exec, exec, s[2:3]
	v_cvt_pkrtz_f16_f32 v14, v23, v25
	v_cvt_pkrtz_f16_f32 v15, v15, v28
	ds_read_b128 v[32:35], v22 offset:16
	s_waitcnt vmcnt(2)
	v_cmp_ne_u16_sdwa s[8:9], v10, v24 src0_sel:BYTE_0 src1_sel:DWORD
	s_waitcnt lgkmcnt(0)
	v_mfma_f32_16x16x16f16 v[18:21], v[14:15], v[32:33], v[18:21]
	v_cvt_pkrtz_f16_f32 v14, v27, v29
	v_cvt_pkrtz_f16_f32 v15, v16, v30
	s_nop 1
	v_mfma_f32_16x16x16f16 v[14:17], v[14:15], v[34:35], v[18:21]
	s_and_saveexec_b64 s[2:3], s[8:9]
	s_cbranch_execz .LBB583_503
; %bb.498:
	s_movk_i32 s7, 0x80
	v_cmp_ne_u16_sdwa s[10:11], v10, s7 src0_sel:BYTE_0 src1_sel:DWORD
	v_bfrev_b32_e32 v24, 1
	s_and_saveexec_b64 s[8:9], s[10:11]
	s_cbranch_execz .LBB583_502
; %bb.499:
	s_movk_i32 s7, 0x7f
	v_and_b32_e32 v18, 0x7f, v10
	v_cmp_ne_u32_e32 vcc, s7, v18
	v_mov_b32_e32 v24, 0x7f800001
	s_and_saveexec_b64 s[10:11], vcc
	s_cbranch_execz .LBB583_501
; %bb.500:
	v_and_b32_e32 v19, 7, v10
	v_ffbh_u32_e32 v20, v19
	v_min_u32_e32 v24, 32, v20
	v_subrev_u32_e32 v20, 28, v24
	v_lshlrev_b64 v[20:21], v20, v[10:11]
	v_lshrrev_b32_e32 v23, 3, v18
	v_sub_u32_e32 v21, 29, v24
	v_and_b32_e32 v20, 7, v20
	v_cmp_gt_u32_e32 vcc, 8, v18
	v_cndmask_b32_e32 v18, v23, v21, vcc
	v_cndmask_b32_e32 v19, v19, v20, vcc
	v_lshlrev_b32_e32 v20, 24, v10
	v_bfrev_b32_e32 v21, 60
	v_lshlrev_b32_e32 v19, 20, v19
	v_and_b32_e32 v20, 0x80000000, v20
	v_lshl_add_u32 v18, v18, 23, v21
	v_or3_b32 v24, v20, v18, v19
.LBB583_501:
	s_or_b64 exec, exec, s[10:11]
.LBB583_502:
	s_or_b64 exec, exec, s[8:9]
.LBB583_503:
	s_or_b64 exec, exec, s[2:3]
	s_nop 3
	v_lshrrev_b16_e32 v18, 8, v10
	v_cmp_ne_u16_e32 vcc, 0, v18
	v_mov_b32_e32 v19, 0
	v_mov_b32_e32 v20, 0
	s_and_saveexec_b64 s[2:3], vcc
	s_cbranch_execz .LBB583_509
; %bb.504:
	s_movk_i32 s7, 0x80
	v_cmp_ne_u16_e32 vcc, s7, v18
	v_bfrev_b32_e32 v20, 1
	s_and_saveexec_b64 s[8:9], vcc
	s_cbranch_execz .LBB583_508
; %bb.505:
	s_movk_i32 s7, 0x7f
	v_and_b32_e32 v21, 0x7f, v18
	v_cmp_ne_u32_e32 vcc, s7, v21
	v_mov_b32_e32 v20, 0x7f800001
	s_and_saveexec_b64 s[10:11], vcc
	s_cbranch_execz .LBB583_507
; %bb.506:
	v_and_b32_e32 v20, 7, v18
	v_ffbh_u32_e32 v25, v20
	v_min_u32_e32 v25, 32, v25
	v_subrev_u32_e32 v27, 28, v25
	v_lshlrev_b64 v[28:29], v27, v[18:19]
	v_lshrrev_b32_e32 v23, 3, v21
	v_sub_u32_e32 v18, 29, v25
	v_and_b32_e32 v25, 7, v28
	v_cmp_gt_u32_e32 vcc, 8, v21
	v_cndmask_b32_e32 v18, v23, v18, vcc
	v_cndmask_b32_e32 v20, v20, v25, vcc
	v_lshlrev_b32_e32 v21, 16, v10
	v_bfrev_b32_e32 v23, 60
	v_lshlrev_b32_e32 v20, 20, v20
	v_and_b32_e32 v21, 0x80000000, v21
	v_lshl_add_u32 v18, v18, 23, v23
	v_or3_b32 v20, v21, v18, v20
.LBB583_507:
	s_or_b64 exec, exec, s[10:11]
.LBB583_508:
	s_or_b64 exec, exec, s[8:9]
.LBB583_509:
	s_or_b64 exec, exec, s[2:3]
	s_movk_i32 s2, 0xff
	v_and_b32_sdwa v21, v10, s2 dst_sel:DWORD dst_unused:UNUSED_PAD src0_sel:WORD_1 src1_sel:DWORD
	v_lshrrev_b32_e32 v18, 16, v10
	v_cmp_ne_u16_e32 vcc, 0, v21
	s_and_saveexec_b64 s[2:3], vcc
	s_cbranch_execz .LBB583_515
; %bb.510:
	s_movk_i32 s7, 0x80
	v_cmp_ne_u16_e32 vcc, s7, v21
	v_bfrev_b32_e32 v19, 1
	s_and_saveexec_b64 s[8:9], vcc
	s_cbranch_execz .LBB583_514
; %bb.511:
	v_bfe_u32 v21, v10, 16, 7
	s_movk_i32 s7, 0x7f
	v_cmp_ne_u32_e32 vcc, s7, v21
	v_mov_b32_e32 v19, 0x7f800001
	s_and_saveexec_b64 s[10:11], vcc
	s_cbranch_execz .LBB583_513
; %bb.512:
	v_and_b32_e32 v23, 7, v18
	v_ffbh_u32_e32 v19, v23
	v_min_u32_e32 v27, 32, v19
	v_subrev_u32_e32 v19, 28, v27
	v_lshlrev_b64 v[18:19], v19, v[18:19]
	v_lshrrev_b32_e32 v25, 3, v21
	v_sub_u32_e32 v19, 29, v27
	v_and_b32_e32 v18, 7, v18
	v_cmp_gt_u32_e32 vcc, 8, v21
	v_mov_b32_e32 v21, 24
	v_cndmask_b32_e32 v19, v25, v19, vcc
	v_cndmask_b32_e32 v18, v23, v18, vcc
	v_lshlrev_b32_sdwa v21, v21, v10 dst_sel:DWORD dst_unused:UNUSED_PAD src0_sel:DWORD src1_sel:WORD_1
	v_bfrev_b32_e32 v23, 60
	v_lshlrev_b32_e32 v18, 20, v18
	v_and_b32_e32 v21, 0x80000000, v21
	v_lshl_add_u32 v19, v19, 23, v23
	v_or3_b32 v19, v21, v19, v18
.LBB583_513:
	s_or_b64 exec, exec, s[10:11]
.LBB583_514:
	s_or_b64 exec, exec, s[8:9]
.LBB583_515:
	s_or_b64 exec, exec, s[2:3]
	s_mov_b32 s2, 0xffffff
	v_cmp_lt_u32_e32 vcc, s2, v10
	v_mov_b32_e32 v21, 0
	v_mov_b32_e32 v23, 0
	s_and_saveexec_b64 s[2:3], vcc
	s_cbranch_execz .LBB583_521
; %bb.516:
	v_lshrrev_b32_e32 v18, 24, v10
	s_movk_i32 s7, 0x80
	v_cmp_ne_u32_e32 vcc, s7, v18
	v_bfrev_b32_e32 v23, 1
	s_and_saveexec_b64 s[8:9], vcc
	s_cbranch_execz .LBB583_520
; %bb.517:
	v_bfe_u32 v10, v10, 24, 7
	s_movk_i32 s7, 0x7f
	v_cmp_ne_u32_e32 vcc, s7, v10
	v_mov_b32_e32 v23, 0x7f800001
	s_and_saveexec_b64 s[10:11], vcc
	s_cbranch_execz .LBB583_519
; %bb.518:
	v_and_b32_e32 v23, 7, v18
	v_ffbh_u32_e32 v27, v23
	v_min_u32_e32 v27, 32, v27
	v_subrev_u32_e32 v28, 28, v27
	v_lshlrev_b64 v[28:29], v28, v[18:19]
	v_lshrrev_b32_e32 v25, 3, v10
	v_sub_u32_e32 v27, 29, v27
	v_and_b32_e32 v28, 7, v28
	v_cmp_gt_u32_e32 vcc, 8, v10
	v_cndmask_b32_e32 v10, v25, v27, vcc
	v_cndmask_b32_e32 v23, v23, v28, vcc
	v_lshlrev_b32_e32 v18, 24, v18
	v_bfrev_b32_e32 v25, 60
	v_lshlrev_b32_e32 v23, 20, v23
	v_and_b32_e32 v18, 0x80000000, v18
	v_lshl_add_u32 v10, v10, 23, v25
	v_or3_b32 v23, v18, v10, v23
.LBB583_519:
	s_or_b64 exec, exec, s[10:11]
.LBB583_520:
	s_or_b64 exec, exec, s[8:9]
.LBB583_521:
	s_or_b64 exec, exec, s[2:3]
	v_cmp_ne_u16_sdwa s[8:9], v11, v21 src0_sel:BYTE_0 src1_sel:DWORD
	s_and_saveexec_b64 s[2:3], s[8:9]
	s_cbranch_execz .LBB583_527
; %bb.522:
	s_movk_i32 s7, 0x80
	v_cmp_ne_u16_sdwa s[10:11], v11, s7 src0_sel:BYTE_0 src1_sel:DWORD
	v_bfrev_b32_e32 v21, 1
	s_and_saveexec_b64 s[8:9], s[10:11]
	s_cbranch_execz .LBB583_526
; %bb.523:
	s_movk_i32 s7, 0x7f
	v_and_b32_e32 v10, 0x7f, v11
	v_cmp_ne_u32_e32 vcc, s7, v10
	v_mov_b32_e32 v21, 0x7f800001
	s_and_saveexec_b64 s[10:11], vcc
	s_cbranch_execz .LBB583_525
; %bb.524:
	v_and_b32_e32 v21, 7, v11
	v_ffbh_u32_e32 v27, v21
	v_min_u32_e32 v27, 32, v27
	v_mov_b32_e32 v18, v11
	v_subrev_u32_e32 v28, 28, v27
	v_lshlrev_b64 v[28:29], v28, v[18:19]
	v_lshrrev_b32_e32 v25, 3, v10
	v_sub_u32_e32 v18, 29, v27
	v_and_b32_e32 v27, 7, v28
	v_cmp_gt_u32_e32 vcc, 8, v10
	v_cndmask_b32_e32 v10, v25, v18, vcc
	v_cndmask_b32_e32 v18, v21, v27, vcc
	v_lshlrev_b32_e32 v21, 24, v11
	v_bfrev_b32_e32 v25, 60
	v_lshlrev_b32_e32 v18, 20, v18
	v_and_b32_e32 v21, 0x80000000, v21
	v_lshl_add_u32 v10, v10, 23, v25
	v_or3_b32 v21, v21, v10, v18
.LBB583_525:
	s_or_b64 exec, exec, s[10:11]
.LBB583_526:
	s_or_b64 exec, exec, s[8:9]
.LBB583_527:
	s_or_b64 exec, exec, s[2:3]
	v_lshrrev_b16_e32 v10, 8, v11
	v_cmp_ne_u16_e32 vcc, 0, v10
	v_mov_b32_e32 v25, 0
	v_mov_b32_e32 v27, 0
	s_and_saveexec_b64 s[2:3], vcc
	s_cbranch_execz .LBB583_533
; %bb.528:
	s_movk_i32 s7, 0x80
	v_cmp_ne_u16_e32 vcc, s7, v10
	v_bfrev_b32_e32 v27, 1
	s_and_saveexec_b64 s[8:9], vcc
	s_cbranch_execz .LBB583_532
; %bb.529:
	s_movk_i32 s7, 0x7f
	v_and_b32_e32 v18, 0x7f, v10
	v_cmp_ne_u32_e32 vcc, s7, v18
	v_mov_b32_e32 v27, 0x7f800001
	s_and_saveexec_b64 s[10:11], vcc
	s_cbranch_execz .LBB583_531
; %bb.530:
	v_and_b32_e32 v27, 7, v10
	v_ffbh_u32_e32 v28, v27
	v_min_u32_e32 v31, 32, v28
	v_subrev_u32_e32 v28, 28, v31
	v_lshlrev_b64 v[28:29], v28, v[10:11]
	v_lshrrev_b32_e32 v30, 3, v18
	v_sub_u32_e32 v10, 29, v31
	v_and_b32_e32 v28, 7, v28
	v_cmp_gt_u32_e32 vcc, 8, v18
	v_cndmask_b32_e32 v10, v30, v10, vcc
	v_cndmask_b32_e32 v18, v27, v28, vcc
	v_lshlrev_b32_e32 v27, 16, v11
	v_bfrev_b32_e32 v28, 60
	v_lshlrev_b32_e32 v18, 20, v18
	v_and_b32_e32 v27, 0x80000000, v27
	v_lshl_add_u32 v10, v10, 23, v28
	v_or3_b32 v27, v27, v10, v18
.LBB583_531:
	s_or_b64 exec, exec, s[10:11]
.LBB583_532:
	s_or_b64 exec, exec, s[8:9]
.LBB583_533:
	s_or_b64 exec, exec, s[2:3]
	s_movk_i32 s2, 0xff
	v_and_b32_sdwa v18, v11, s2 dst_sel:DWORD dst_unused:UNUSED_PAD src0_sel:WORD_1 src1_sel:DWORD
	v_lshrrev_b32_e32 v10, 16, v11
	v_cmp_ne_u16_e32 vcc, 0, v18
	s_and_saveexec_b64 s[2:3], vcc
	s_cbranch_execz .LBB583_539
; %bb.534:
	s_movk_i32 s7, 0x80
	v_cmp_ne_u16_e32 vcc, s7, v18
	v_bfrev_b32_e32 v25, 1
	s_and_saveexec_b64 s[8:9], vcc
	s_cbranch_execz .LBB583_538
; %bb.535:
	v_bfe_u32 v18, v11, 16, 7
	s_movk_i32 s7, 0x7f
	v_cmp_ne_u32_e32 vcc, s7, v18
	v_mov_b32_e32 v25, 0x7f800001
	s_and_saveexec_b64 s[10:11], vcc
	s_cbranch_execz .LBB583_537
; %bb.536:
	v_and_b32_e32 v25, 7, v10
	v_ffbh_u32_e32 v28, v25
	v_min_u32_e32 v31, 32, v28
	v_subrev_u32_e32 v28, 28, v31
	v_lshlrev_b64 v[28:29], v28, v[10:11]
	v_and_b32_e32 v28, 7, v28
	v_cmp_gt_u32_e32 vcc, 8, v18
	v_lshrrev_b32_e32 v30, 3, v18
	v_sub_u32_e32 v10, 29, v31
	v_cndmask_b32_e32 v18, v25, v28, vcc
	v_mov_b32_e32 v25, 24
	v_cndmask_b32_e32 v10, v30, v10, vcc
	v_lshlrev_b32_sdwa v25, v25, v11 dst_sel:DWORD dst_unused:UNUSED_PAD src0_sel:DWORD src1_sel:WORD_1
	v_bfrev_b32_e32 v28, 60
	v_lshlrev_b32_e32 v18, 20, v18
	v_and_b32_e32 v25, 0x80000000, v25
	v_lshl_add_u32 v10, v10, 23, v28
	v_or3_b32 v25, v25, v10, v18
.LBB583_537:
	s_or_b64 exec, exec, s[10:11]
.LBB583_538:
	s_or_b64 exec, exec, s[8:9]
.LBB583_539:
	s_or_b64 exec, exec, s[2:3]
	s_mov_b32 s2, 0xffffff
	v_cmp_lt_u32_e32 vcc, s2, v11
	v_mov_b32_e32 v18, 0
	v_mov_b32_e32 v28, 0
	s_and_saveexec_b64 s[2:3], vcc
	s_cbranch_execz .LBB583_545
; %bb.540:
	v_lshrrev_b32_e32 v10, 24, v11
	s_movk_i32 s7, 0x80
	v_cmp_ne_u32_e32 vcc, s7, v10
	v_bfrev_b32_e32 v28, 1
	s_and_saveexec_b64 s[8:9], vcc
	s_cbranch_execz .LBB583_544
; %bb.541:
	v_bfe_u32 v11, v11, 24, 7
	s_movk_i32 s7, 0x7f
	v_cmp_ne_u32_e32 vcc, s7, v11
	v_mov_b32_e32 v28, 0x7f800001
	s_and_saveexec_b64 s[10:11], vcc
	s_cbranch_execz .LBB583_543
; %bb.542:
	v_and_b32_e32 v30, 7, v10
	v_ffbh_u32_e32 v28, v30
	v_min_u32_e32 v32, 32, v28
	v_subrev_u32_e32 v28, 28, v32
	v_lshlrev_b64 v[28:29], v28, v[10:11]
	v_lshrrev_b32_e32 v31, 3, v11
	v_sub_u32_e32 v29, 29, v32
	v_and_b32_e32 v28, 7, v28
	v_cmp_gt_u32_e32 vcc, 8, v11
	v_cndmask_b32_e32 v11, v31, v29, vcc
	v_cndmask_b32_e32 v28, v30, v28, vcc
	v_lshlrev_b32_e32 v10, 24, v10
	v_bfrev_b32_e32 v29, 60
	v_lshlrev_b32_e32 v28, 20, v28
	v_and_b32_e32 v10, 0x80000000, v10
	v_lshl_add_u32 v11, v11, 23, v29
	v_or3_b32 v28, v10, v11, v28
.LBB583_543:
	s_or_b64 exec, exec, s[10:11]
.LBB583_544:
	s_or_b64 exec, exec, s[8:9]
.LBB583_545:
	s_or_b64 exec, exec, s[2:3]
	v_cvt_pkrtz_f16_f32 v10, v24, v20
	v_cvt_pkrtz_f16_f32 v11, v19, v23
	ds_read_b128 v[30:33], v22 offset:2048
	v_cmp_ne_u16_sdwa s[8:9], v12, v18 src0_sel:BYTE_0 src1_sel:DWORD
	s_waitcnt lgkmcnt(0)
	v_mfma_f32_16x16x16f16 v[14:17], v[10:11], v[30:31], v[14:17]
	v_cvt_pkrtz_f16_f32 v10, v21, v27
	v_cvt_pkrtz_f16_f32 v11, v25, v28
	s_nop 1
	v_mfma_f32_16x16x16f16 v[14:17], v[10:11], v[32:33], v[14:17]
	s_and_saveexec_b64 s[2:3], s[8:9]
	s_cbranch_execz .LBB583_551
; %bb.546:
	s_movk_i32 s7, 0x80
	v_cmp_ne_u16_sdwa s[10:11], v12, s7 src0_sel:BYTE_0 src1_sel:DWORD
	v_bfrev_b32_e32 v18, 1
	s_and_saveexec_b64 s[8:9], s[10:11]
	s_cbranch_execz .LBB583_550
; %bb.547:
	s_movk_i32 s7, 0x7f
	v_and_b32_e32 v10, 0x7f, v12
	v_cmp_ne_u32_e32 vcc, s7, v10
	v_mov_b32_e32 v18, 0x7f800001
	s_and_saveexec_b64 s[10:11], vcc
	s_cbranch_execz .LBB583_549
; %bb.548:
	v_and_b32_e32 v11, 7, v12
	v_ffbh_u32_e32 v18, v11
	v_min_u32_e32 v21, 32, v18
	v_subrev_u32_e32 v18, 28, v21
	v_lshlrev_b64 v[18:19], v18, v[12:13]
	v_lshrrev_b32_e32 v20, 3, v10
	v_sub_u32_e32 v19, 29, v21
	v_and_b32_e32 v18, 7, v18
	v_cmp_gt_u32_e32 vcc, 8, v10
	v_cndmask_b32_e32 v10, v20, v19, vcc
	v_cndmask_b32_e32 v11, v11, v18, vcc
	v_lshlrev_b32_e32 v18, 24, v12
	v_bfrev_b32_e32 v19, 60
	v_lshlrev_b32_e32 v11, 20, v11
	v_and_b32_e32 v18, 0x80000000, v18
	v_lshl_add_u32 v10, v10, 23, v19
	v_or3_b32 v18, v18, v10, v11
.LBB583_549:
	s_or_b64 exec, exec, s[10:11]
.LBB583_550:
	s_or_b64 exec, exec, s[8:9]
.LBB583_551:
	s_or_b64 exec, exec, s[2:3]
	v_lshrrev_b16_e32 v10, 8, v12
	v_cmp_ne_u16_e32 vcc, 0, v10
	v_mov_b32_e32 v11, 0
	v_mov_b32_e32 v20, 0
	s_and_saveexec_b64 s[2:3], vcc
	s_cbranch_execz .LBB583_557
; %bb.552:
	s_movk_i32 s7, 0x80
	v_cmp_ne_u16_e32 vcc, s7, v10
	v_bfrev_b32_e32 v20, 1
	s_and_saveexec_b64 s[8:9], vcc
	s_cbranch_execz .LBB583_556
; %bb.553:
	s_movk_i32 s7, 0x7f
	v_and_b32_e32 v19, 0x7f, v10
	v_cmp_ne_u32_e32 vcc, s7, v19
	v_mov_b32_e32 v20, 0x7f800001
	s_and_saveexec_b64 s[10:11], vcc
	s_cbranch_execz .LBB583_555
; %bb.554:
	v_and_b32_e32 v23, 7, v10
	v_ffbh_u32_e32 v20, v23
	v_min_u32_e32 v25, 32, v20
	v_subrev_u32_e32 v20, 28, v25
	v_lshlrev_b64 v[20:21], v20, v[10:11]
	v_lshrrev_b32_e32 v24, 3, v19
	v_sub_u32_e32 v10, 29, v25
	v_and_b32_e32 v20, 7, v20
	v_cmp_gt_u32_e32 vcc, 8, v19
	v_cndmask_b32_e32 v10, v24, v10, vcc
	v_cndmask_b32_e32 v19, v23, v20, vcc
	v_lshlrev_b32_e32 v20, 16, v12
	v_bfrev_b32_e32 v21, 60
	v_lshlrev_b32_e32 v19, 20, v19
	v_and_b32_e32 v20, 0x80000000, v20
	v_lshl_add_u32 v10, v10, 23, v21
	v_or3_b32 v20, v20, v10, v19
.LBB583_555:
	s_or_b64 exec, exec, s[10:11]
.LBB583_556:
	s_or_b64 exec, exec, s[8:9]
.LBB583_557:
	s_or_b64 exec, exec, s[2:3]
	s_movk_i32 s2, 0xff
	v_and_b32_sdwa v19, v12, s2 dst_sel:DWORD dst_unused:UNUSED_PAD src0_sel:WORD_1 src1_sel:DWORD
	v_lshrrev_b32_e32 v10, 16, v12
	v_cmp_ne_u16_e32 vcc, 0, v19
	s_and_saveexec_b64 s[2:3], vcc
	s_cbranch_execz .LBB583_563
; %bb.558:
	s_movk_i32 s7, 0x80
	v_cmp_ne_u16_e32 vcc, s7, v19
	v_bfrev_b32_e32 v11, 1
	s_and_saveexec_b64 s[8:9], vcc
	s_cbranch_execz .LBB583_562
; %bb.559:
	v_bfe_u32 v19, v12, 16, 7
	s_movk_i32 s7, 0x7f
	v_cmp_ne_u32_e32 vcc, s7, v19
	v_mov_b32_e32 v11, 0x7f800001
	s_and_saveexec_b64 s[10:11], vcc
	s_cbranch_execz .LBB583_561
; %bb.560:
	v_and_b32_e32 v21, 7, v10
	v_ffbh_u32_e32 v11, v21
	v_min_u32_e32 v24, 32, v11
	v_subrev_u32_e32 v11, 28, v24
	v_lshlrev_b64 v[10:11], v11, v[10:11]
	v_lshrrev_b32_e32 v23, 3, v19
	v_sub_u32_e32 v11, 29, v24
	v_and_b32_e32 v10, 7, v10
	v_cmp_gt_u32_e32 vcc, 8, v19
	v_mov_b32_e32 v19, 24
	v_cndmask_b32_e32 v11, v23, v11, vcc
	v_cndmask_b32_e32 v10, v21, v10, vcc
	v_lshlrev_b32_sdwa v19, v19, v12 dst_sel:DWORD dst_unused:UNUSED_PAD src0_sel:DWORD src1_sel:WORD_1
	v_bfrev_b32_e32 v21, 60
	v_lshlrev_b32_e32 v10, 20, v10
	v_and_b32_e32 v19, 0x80000000, v19
	v_lshl_add_u32 v11, v11, 23, v21
	v_or3_b32 v11, v19, v11, v10
.LBB583_561:
	s_or_b64 exec, exec, s[10:11]
.LBB583_562:
	s_or_b64 exec, exec, s[8:9]
.LBB583_563:
	s_or_b64 exec, exec, s[2:3]
	s_mov_b32 s2, 0xffffff
	v_cmp_lt_u32_e32 vcc, s2, v12
	v_mov_b32_e32 v21, 0
	v_mov_b32_e32 v23, 0
	s_and_saveexec_b64 s[2:3], vcc
	s_cbranch_execz .LBB583_569
; %bb.564:
	v_lshrrev_b32_e32 v10, 24, v12
	s_movk_i32 s7, 0x80
	v_cmp_ne_u32_e32 vcc, s7, v10
	v_bfrev_b32_e32 v23, 1
	s_and_saveexec_b64 s[8:9], vcc
	s_cbranch_execz .LBB583_568
; %bb.565:
	v_bfe_u32 v12, v12, 24, 7
	s_movk_i32 s7, 0x7f
	v_cmp_ne_u32_e32 vcc, s7, v12
	v_mov_b32_e32 v23, 0x7f800001
	s_and_saveexec_b64 s[10:11], vcc
	s_cbranch_execz .LBB583_567
; %bb.566:
	v_and_b32_e32 v19, 7, v10
	v_ffbh_u32_e32 v24, v19
	v_min_u32_e32 v27, 32, v24
	v_subrev_u32_e32 v24, 28, v27
	v_lshlrev_b64 v[24:25], v24, v[10:11]
	v_lshrrev_b32_e32 v23, 3, v12
	v_sub_u32_e32 v25, 29, v27
	v_and_b32_e32 v24, 7, v24
	v_cmp_gt_u32_e32 vcc, 8, v12
	v_cndmask_b32_e32 v12, v23, v25, vcc
	v_cndmask_b32_e32 v19, v19, v24, vcc
	v_lshlrev_b32_e32 v10, 24, v10
	v_bfrev_b32_e32 v23, 60
	v_lshlrev_b32_e32 v19, 20, v19
	v_and_b32_e32 v10, 0x80000000, v10
	v_lshl_add_u32 v12, v12, 23, v23
	v_or3_b32 v23, v10, v12, v19
.LBB583_567:
	s_or_b64 exec, exec, s[10:11]
.LBB583_568:
	s_or_b64 exec, exec, s[8:9]
.LBB583_569:
	s_or_b64 exec, exec, s[2:3]
	v_cmp_ne_u16_sdwa s[8:9], v13, v21 src0_sel:BYTE_0 src1_sel:DWORD
	s_and_saveexec_b64 s[2:3], s[8:9]
	s_cbranch_execz .LBB583_575
; %bb.570:
	s_movk_i32 s7, 0x80
	v_cmp_ne_u16_sdwa s[10:11], v13, s7 src0_sel:BYTE_0 src1_sel:DWORD
	v_bfrev_b32_e32 v21, 1
	s_and_saveexec_b64 s[8:9], s[10:11]
	s_cbranch_execz .LBB583_574
; %bb.571:
	s_movk_i32 s7, 0x7f
	v_and_b32_e32 v10, 0x7f, v13
	v_cmp_ne_u32_e32 vcc, s7, v10
	v_mov_b32_e32 v21, 0x7f800001
	s_and_saveexec_b64 s[10:11], vcc
	s_cbranch_execz .LBB583_573
; %bb.572:
	v_and_b32_e32 v19, 7, v13
	v_ffbh_u32_e32 v24, v19
	v_min_u32_e32 v27, 32, v24
	v_mov_b32_e32 v12, v13
	v_subrev_u32_e32 v24, 28, v27
	v_lshlrev_b64 v[24:25], v24, v[12:13]
	v_lshrrev_b32_e32 v21, 3, v10
	v_sub_u32_e32 v12, 29, v27
	v_and_b32_e32 v24, 7, v24
	v_cmp_gt_u32_e32 vcc, 8, v10
	v_cndmask_b32_e32 v10, v21, v12, vcc
	v_cndmask_b32_e32 v12, v19, v24, vcc
	v_lshlrev_b32_e32 v19, 24, v13
	v_bfrev_b32_e32 v21, 60
	v_lshlrev_b32_e32 v12, 20, v12
	v_and_b32_e32 v19, 0x80000000, v19
	v_lshl_add_u32 v10, v10, 23, v21
	v_or3_b32 v21, v19, v10, v12
.LBB583_573:
	s_or_b64 exec, exec, s[10:11]
.LBB583_574:
	s_or_b64 exec, exec, s[8:9]
.LBB583_575:
	s_or_b64 exec, exec, s[2:3]
	v_lshrrev_b16_e32 v10, 8, v13
	v_cmp_ne_u16_e32 vcc, 0, v10
	v_mov_b32_e32 v12, 0
	v_mov_b32_e32 v24, 0
	s_and_saveexec_b64 s[2:3], vcc
	s_cbranch_execz .LBB583_581
; %bb.576:
	s_movk_i32 s7, 0x80
	v_cmp_ne_u16_e32 vcc, s7, v10
	v_bfrev_b32_e32 v24, 1
	s_and_saveexec_b64 s[8:9], vcc
	s_cbranch_execz .LBB583_580
; %bb.577:
	s_movk_i32 s7, 0x7f
	v_and_b32_e32 v19, 0x7f, v10
	v_cmp_ne_u32_e32 vcc, s7, v19
	v_mov_b32_e32 v24, 0x7f800001
	s_and_saveexec_b64 s[10:11], vcc
	s_cbranch_execz .LBB583_579
; %bb.578:
	v_and_b32_e32 v27, 7, v10
	v_ffbh_u32_e32 v24, v27
	v_min_u32_e32 v29, 32, v24
	v_subrev_u32_e32 v24, 28, v29
	v_lshlrev_b64 v[24:25], v24, v[10:11]
	v_lshrrev_b32_e32 v28, 3, v19
	v_sub_u32_e32 v10, 29, v29
	v_and_b32_e32 v24, 7, v24
	v_cmp_gt_u32_e32 vcc, 8, v19
	v_cndmask_b32_e32 v10, v28, v10, vcc
	v_cndmask_b32_e32 v19, v27, v24, vcc
	v_lshlrev_b32_e32 v24, 16, v13
	v_bfrev_b32_e32 v25, 60
	v_lshlrev_b32_e32 v19, 20, v19
	v_and_b32_e32 v24, 0x80000000, v24
	v_lshl_add_u32 v10, v10, 23, v25
	v_or3_b32 v24, v24, v10, v19
.LBB583_579:
	s_or_b64 exec, exec, s[10:11]
.LBB583_580:
	s_or_b64 exec, exec, s[8:9]
.LBB583_581:
	s_or_b64 exec, exec, s[2:3]
	s_movk_i32 s2, 0xff
	v_and_b32_sdwa v19, v13, s2 dst_sel:DWORD dst_unused:UNUSED_PAD src0_sel:WORD_1 src1_sel:DWORD
	v_lshrrev_b32_e32 v10, 16, v13
	v_cmp_ne_u16_e32 vcc, 0, v19
	s_and_saveexec_b64 s[2:3], vcc
	s_cbranch_execz .LBB583_587
; %bb.582:
	s_movk_i32 s7, 0x80
	v_cmp_ne_u16_e32 vcc, s7, v19
	v_bfrev_b32_e32 v12, 1
	s_and_saveexec_b64 s[8:9], vcc
	s_cbranch_execz .LBB583_586
; %bb.583:
	v_bfe_u32 v19, v13, 16, 7
	s_movk_i32 s7, 0x7f
	v_cmp_ne_u32_e32 vcc, s7, v19
	v_mov_b32_e32 v12, 0x7f800001
	s_and_saveexec_b64 s[10:11], vcc
	s_cbranch_execz .LBB583_585
; %bb.584:
	v_and_b32_e32 v12, 7, v10
	v_ffbh_u32_e32 v27, v12
	v_min_u32_e32 v27, 32, v27
	v_subrev_u32_e32 v28, 28, v27
	v_lshlrev_b64 v[28:29], v28, v[10:11]
	v_lshrrev_b32_e32 v25, 3, v19
	v_sub_u32_e32 v10, 29, v27
	v_and_b32_e32 v27, 7, v28
	v_cmp_gt_u32_e32 vcc, 8, v19
	v_mov_b32_e32 v19, 24
	v_cndmask_b32_e32 v10, v25, v10, vcc
	v_cndmask_b32_e32 v12, v12, v27, vcc
	v_lshlrev_b32_sdwa v19, v19, v13 dst_sel:DWORD dst_unused:UNUSED_PAD src0_sel:DWORD src1_sel:WORD_1
	v_bfrev_b32_e32 v25, 60
	v_lshlrev_b32_e32 v12, 20, v12
	v_and_b32_e32 v19, 0x80000000, v19
	v_lshl_add_u32 v10, v10, 23, v25
	v_or3_b32 v12, v19, v10, v12
.LBB583_585:
	s_or_b64 exec, exec, s[10:11]
.LBB583_586:
	s_or_b64 exec, exec, s[8:9]
.LBB583_587:
	s_or_b64 exec, exec, s[2:3]
	s_mov_b32 s2, 0xffffff
	v_cmp_lt_u32_e32 vcc, s2, v13
	v_mov_b32_e32 v19, 0
	v_mov_b32_e32 v25, 0
	s_and_saveexec_b64 s[2:3], vcc
	s_cbranch_execz .LBB583_593
; %bb.588:
	v_lshrrev_b32_e32 v10, 24, v13
	s_movk_i32 s7, 0x80
	v_cmp_ne_u32_e32 vcc, s7, v10
	v_bfrev_b32_e32 v25, 1
	s_and_saveexec_b64 s[8:9], vcc
	s_cbranch_execz .LBB583_592
; %bb.589:
	v_bfe_u32 v13, v13, 24, 7
	s_movk_i32 s7, 0x7f
	v_cmp_ne_u32_e32 vcc, s7, v13
	v_mov_b32_e32 v25, 0x7f800001
	s_and_saveexec_b64 s[10:11], vcc
	s_cbranch_execz .LBB583_591
; %bb.590:
	v_and_b32_e32 v25, 7, v10
	v_ffbh_u32_e32 v28, v25
	v_min_u32_e32 v30, 32, v28
	v_subrev_u32_e32 v28, 28, v30
	v_lshlrev_b64 v[28:29], v28, v[10:11]
	v_lshrrev_b32_e32 v27, 3, v13
	v_sub_u32_e32 v29, 29, v30
	v_and_b32_e32 v28, 7, v28
	v_cmp_gt_u32_e32 vcc, 8, v13
	v_cndmask_b32_e32 v13, v27, v29, vcc
	v_cndmask_b32_e32 v25, v25, v28, vcc
	v_lshlrev_b32_e32 v10, 24, v10
	v_bfrev_b32_e32 v27, 60
	v_lshlrev_b32_e32 v25, 20, v25
	v_and_b32_e32 v10, 0x80000000, v10
	v_lshl_add_u32 v13, v13, 23, v27
	v_or3_b32 v25, v10, v13, v25
.LBB583_591:
	s_or_b64 exec, exec, s[10:11]
.LBB583_592:
	s_or_b64 exec, exec, s[8:9]
.LBB583_593:
	s_or_b64 exec, exec, s[2:3]
	v_cvt_pkrtz_f16_f32 v10, v18, v20
	v_cvt_pkrtz_f16_f32 v11, v11, v23
	ds_read_b128 v[28:31], v22 offset:2064
	s_waitcnt vmcnt(1)
	v_cmp_ne_u16_sdwa s[8:9], v6, v19 src0_sel:BYTE_0 src1_sel:DWORD
	s_waitcnt lgkmcnt(0)
	v_mfma_f32_16x16x16f16 v[14:17], v[10:11], v[28:29], v[14:17]
	v_cvt_pkrtz_f16_f32 v10, v21, v24
	v_cvt_pkrtz_f16_f32 v11, v12, v25
	s_nop 1
	v_mfma_f32_16x16x16f16 v[10:13], v[10:11], v[30:31], v[14:17]
	s_and_saveexec_b64 s[2:3], s[8:9]
	s_cbranch_execz .LBB583_599
; %bb.594:
	s_movk_i32 s7, 0x80
	v_cmp_ne_u16_sdwa s[10:11], v6, s7 src0_sel:BYTE_0 src1_sel:DWORD
	v_bfrev_b32_e32 v19, 1
	s_and_saveexec_b64 s[8:9], s[10:11]
	s_cbranch_execz .LBB583_598
; %bb.595:
	s_movk_i32 s7, 0x7f
	v_and_b32_e32 v14, 0x7f, v6
	v_cmp_ne_u32_e32 vcc, s7, v14
	v_mov_b32_e32 v19, 0x7f800001
	s_and_saveexec_b64 s[10:11], vcc
	s_cbranch_execz .LBB583_597
; %bb.596:
	v_and_b32_e32 v15, 7, v6
	v_ffbh_u32_e32 v16, v15
	v_min_u32_e32 v19, 32, v16
	v_subrev_u32_e32 v16, 28, v19
	v_lshlrev_b64 v[16:17], v16, v[6:7]
	v_lshrrev_b32_e32 v18, 3, v14
	v_sub_u32_e32 v17, 29, v19
	v_and_b32_e32 v16, 7, v16
	v_cmp_gt_u32_e32 vcc, 8, v14
	v_cndmask_b32_e32 v14, v18, v17, vcc
	v_cndmask_b32_e32 v15, v15, v16, vcc
	v_lshlrev_b32_e32 v16, 24, v6
	v_bfrev_b32_e32 v17, 60
	v_lshlrev_b32_e32 v15, 20, v15
	v_and_b32_e32 v16, 0x80000000, v16
	v_lshl_add_u32 v14, v14, 23, v17
	v_or3_b32 v19, v16, v14, v15
.LBB583_597:
	s_or_b64 exec, exec, s[10:11]
.LBB583_598:
	s_or_b64 exec, exec, s[8:9]
.LBB583_599:
	s_or_b64 exec, exec, s[2:3]
	s_nop 3
	v_lshrrev_b16_e32 v14, 8, v6
	v_cmp_ne_u16_e32 vcc, 0, v14
	v_mov_b32_e32 v15, 0
	v_mov_b32_e32 v16, 0
	s_and_saveexec_b64 s[2:3], vcc
	s_cbranch_execz .LBB583_605
; %bb.600:
	s_movk_i32 s7, 0x80
	v_cmp_ne_u16_e32 vcc, s7, v14
	v_bfrev_b32_e32 v16, 1
	s_and_saveexec_b64 s[8:9], vcc
	s_cbranch_execz .LBB583_604
; %bb.601:
	s_movk_i32 s7, 0x7f
	v_and_b32_e32 v17, 0x7f, v14
	v_cmp_ne_u32_e32 vcc, s7, v17
	v_mov_b32_e32 v16, 0x7f800001
	s_and_saveexec_b64 s[10:11], vcc
	s_cbranch_execz .LBB583_603
; %bb.602:
	v_and_b32_e32 v16, 7, v14
	v_ffbh_u32_e32 v20, v16
	v_min_u32_e32 v23, 32, v20
	v_subrev_u32_e32 v20, 28, v23
	v_lshlrev_b64 v[20:21], v20, v[14:15]
	v_lshrrev_b32_e32 v18, 3, v17
	v_sub_u32_e32 v14, 29, v23
	v_and_b32_e32 v20, 7, v20
	v_cmp_gt_u32_e32 vcc, 8, v17
	v_cndmask_b32_e32 v14, v18, v14, vcc
	v_cndmask_b32_e32 v16, v16, v20, vcc
	v_lshlrev_b32_e32 v17, 16, v6
	v_bfrev_b32_e32 v18, 60
	v_lshlrev_b32_e32 v16, 20, v16
	v_and_b32_e32 v17, 0x80000000, v17
	v_lshl_add_u32 v14, v14, 23, v18
	v_or3_b32 v16, v17, v14, v16
.LBB583_603:
	s_or_b64 exec, exec, s[10:11]
.LBB583_604:
	s_or_b64 exec, exec, s[8:9]
.LBB583_605:
	s_or_b64 exec, exec, s[2:3]
	s_movk_i32 s2, 0xff
	v_and_b32_sdwa v17, v6, s2 dst_sel:DWORD dst_unused:UNUSED_PAD src0_sel:WORD_1 src1_sel:DWORD
	v_lshrrev_b32_e32 v14, 16, v6
	v_cmp_ne_u16_e32 vcc, 0, v17
	s_and_saveexec_b64 s[2:3], vcc
	s_cbranch_execz .LBB583_611
; %bb.606:
	s_movk_i32 s7, 0x80
	v_cmp_ne_u16_e32 vcc, s7, v17
	v_bfrev_b32_e32 v15, 1
	s_and_saveexec_b64 s[8:9], vcc
	s_cbranch_execz .LBB583_610
; %bb.607:
	v_bfe_u32 v17, v6, 16, 7
	s_movk_i32 s7, 0x7f
	v_cmp_ne_u32_e32 vcc, s7, v17
	v_mov_b32_e32 v15, 0x7f800001
	s_and_saveexec_b64 s[10:11], vcc
	s_cbranch_execz .LBB583_609
; %bb.608:
	v_and_b32_e32 v18, 7, v14
	v_ffbh_u32_e32 v15, v18
	v_min_u32_e32 v21, 32, v15
	v_subrev_u32_e32 v15, 28, v21
	v_lshlrev_b64 v[14:15], v15, v[14:15]
	v_lshrrev_b32_e32 v20, 3, v17
	v_sub_u32_e32 v15, 29, v21
	v_and_b32_e32 v14, 7, v14
	v_cmp_gt_u32_e32 vcc, 8, v17
	v_mov_b32_e32 v17, 24
	v_cndmask_b32_e32 v15, v20, v15, vcc
	v_cndmask_b32_e32 v14, v18, v14, vcc
	v_lshlrev_b32_sdwa v17, v17, v6 dst_sel:DWORD dst_unused:UNUSED_PAD src0_sel:DWORD src1_sel:WORD_1
	v_bfrev_b32_e32 v18, 60
	v_lshlrev_b32_e32 v14, 20, v14
	v_and_b32_e32 v17, 0x80000000, v17
	v_lshl_add_u32 v15, v15, 23, v18
	v_or3_b32 v15, v17, v15, v14
.LBB583_609:
	s_or_b64 exec, exec, s[10:11]
.LBB583_610:
	s_or_b64 exec, exec, s[8:9]
.LBB583_611:
	s_or_b64 exec, exec, s[2:3]
	s_mov_b32 s2, 0xffffff
	v_cmp_lt_u32_e32 vcc, s2, v6
	v_mov_b32_e32 v17, 0
	v_mov_b32_e32 v18, 0
	s_and_saveexec_b64 s[2:3], vcc
	s_cbranch_execz .LBB583_617
; %bb.612:
	v_lshrrev_b32_e32 v14, 24, v6
	s_movk_i32 s7, 0x80
	v_cmp_ne_u32_e32 vcc, s7, v14
	v_bfrev_b32_e32 v18, 1
	s_and_saveexec_b64 s[8:9], vcc
	s_cbranch_execz .LBB583_616
; %bb.613:
	v_bfe_u32 v6, v6, 24, 7
	s_movk_i32 s7, 0x7f
	v_cmp_ne_u32_e32 vcc, s7, v6
	v_mov_b32_e32 v18, 0x7f800001
	s_and_saveexec_b64 s[10:11], vcc
	s_cbranch_execz .LBB583_615
; %bb.614:
	v_and_b32_e32 v18, 7, v14
	v_ffbh_u32_e32 v20, v18
	v_min_u32_e32 v24, 32, v20
	v_subrev_u32_e32 v20, 28, v24
	v_lshlrev_b64 v[20:21], v20, v[14:15]
	v_lshrrev_b32_e32 v23, 3, v6
	v_sub_u32_e32 v21, 29, v24
	v_and_b32_e32 v20, 7, v20
	v_cmp_gt_u32_e32 vcc, 8, v6
	v_cndmask_b32_e32 v6, v23, v21, vcc
	v_cndmask_b32_e32 v18, v18, v20, vcc
	v_lshlrev_b32_e32 v14, 24, v14
	v_bfrev_b32_e32 v20, 60
	v_lshlrev_b32_e32 v18, 20, v18
	v_and_b32_e32 v14, 0x80000000, v14
	v_lshl_add_u32 v6, v6, 23, v20
	v_or3_b32 v18, v14, v6, v18
.LBB583_615:
	s_or_b64 exec, exec, s[10:11]
.LBB583_616:
	s_or_b64 exec, exec, s[8:9]
.LBB583_617:
	s_or_b64 exec, exec, s[2:3]
	v_cmp_ne_u16_sdwa s[8:9], v7, v17 src0_sel:BYTE_0 src1_sel:DWORD
	s_and_saveexec_b64 s[2:3], s[8:9]
	s_cbranch_execz .LBB583_623
; %bb.618:
	s_movk_i32 s7, 0x80
	v_cmp_ne_u16_sdwa s[10:11], v7, s7 src0_sel:BYTE_0 src1_sel:DWORD
	v_bfrev_b32_e32 v17, 1
	s_and_saveexec_b64 s[8:9], s[10:11]
	s_cbranch_execz .LBB583_622
; %bb.619:
	s_movk_i32 s7, 0x7f
	v_and_b32_e32 v6, 0x7f, v7
	v_cmp_ne_u32_e32 vcc, s7, v6
	v_mov_b32_e32 v17, 0x7f800001
	s_and_saveexec_b64 s[10:11], vcc
	s_cbranch_execz .LBB583_621
; %bb.620:
	v_and_b32_e32 v17, 7, v7
	v_ffbh_u32_e32 v20, v17
	v_min_u32_e32 v24, 32, v20
	v_mov_b32_e32 v14, v7
	v_subrev_u32_e32 v20, 28, v24
	v_lshlrev_b64 v[20:21], v20, v[14:15]
	v_lshrrev_b32_e32 v23, 3, v6
	v_sub_u32_e32 v14, 29, v24
	v_and_b32_e32 v20, 7, v20
	v_cmp_gt_u32_e32 vcc, 8, v6
	v_cndmask_b32_e32 v6, v23, v14, vcc
	v_cndmask_b32_e32 v14, v17, v20, vcc
	v_lshlrev_b32_e32 v17, 24, v7
	v_bfrev_b32_e32 v20, 60
	v_lshlrev_b32_e32 v14, 20, v14
	v_and_b32_e32 v17, 0x80000000, v17
	v_lshl_add_u32 v6, v6, 23, v20
	v_or3_b32 v17, v17, v6, v14
.LBB583_621:
	s_or_b64 exec, exec, s[10:11]
.LBB583_622:
	s_or_b64 exec, exec, s[8:9]
.LBB583_623:
	s_or_b64 exec, exec, s[2:3]
	v_lshrrev_b16_e32 v6, 8, v7
	v_cmp_ne_u16_e32 vcc, 0, v6
	v_mov_b32_e32 v20, 0
	v_mov_b32_e32 v21, 0
	s_and_saveexec_b64 s[2:3], vcc
	s_cbranch_execz .LBB583_629
; %bb.624:
	s_movk_i32 s7, 0x80
	v_cmp_ne_u16_e32 vcc, s7, v6
	v_bfrev_b32_e32 v21, 1
	s_and_saveexec_b64 s[8:9], vcc
	s_cbranch_execz .LBB583_628
; %bb.625:
	s_movk_i32 s7, 0x7f
	v_and_b32_e32 v14, 0x7f, v6
	v_cmp_ne_u32_e32 vcc, s7, v14
	v_mov_b32_e32 v21, 0x7f800001
	s_and_saveexec_b64 s[10:11], vcc
	s_cbranch_execz .LBB583_627
; %bb.626:
	v_and_b32_e32 v21, 7, v6
	v_ffbh_u32_e32 v24, v21
	v_min_u32_e32 v27, 32, v24
	v_subrev_u32_e32 v24, 28, v27
	v_lshlrev_b64 v[24:25], v24, v[6:7]
	v_lshrrev_b32_e32 v23, 3, v14
	v_sub_u32_e32 v6, 29, v27
	v_and_b32_e32 v24, 7, v24
	v_cmp_gt_u32_e32 vcc, 8, v14
	v_cndmask_b32_e32 v6, v23, v6, vcc
	v_cndmask_b32_e32 v14, v21, v24, vcc
	v_lshlrev_b32_e32 v21, 16, v7
	v_bfrev_b32_e32 v23, 60
	v_lshlrev_b32_e32 v14, 20, v14
	v_and_b32_e32 v21, 0x80000000, v21
	v_lshl_add_u32 v6, v6, 23, v23
	v_or3_b32 v21, v21, v6, v14
.LBB583_627:
	s_or_b64 exec, exec, s[10:11]
.LBB583_628:
	s_or_b64 exec, exec, s[8:9]
.LBB583_629:
	s_or_b64 exec, exec, s[2:3]
	s_movk_i32 s2, 0xff
	v_and_b32_sdwa v14, v7, s2 dst_sel:DWORD dst_unused:UNUSED_PAD src0_sel:WORD_1 src1_sel:DWORD
	v_lshrrev_b32_e32 v6, 16, v7
	v_cmp_ne_u16_e32 vcc, 0, v14
	s_and_saveexec_b64 s[2:3], vcc
	s_cbranch_execz .LBB583_635
; %bb.630:
	s_movk_i32 s7, 0x80
	v_cmp_ne_u16_e32 vcc, s7, v14
	v_bfrev_b32_e32 v20, 1
	s_and_saveexec_b64 s[8:9], vcc
	s_cbranch_execz .LBB583_634
; %bb.631:
	v_bfe_u32 v14, v7, 16, 7
	s_movk_i32 s7, 0x7f
	v_cmp_ne_u32_e32 vcc, s7, v14
	v_mov_b32_e32 v20, 0x7f800001
	s_and_saveexec_b64 s[10:11], vcc
	s_cbranch_execz .LBB583_633
; %bb.632:
	v_and_b32_e32 v20, 7, v6
	v_ffbh_u32_e32 v24, v20
	v_min_u32_e32 v27, 32, v24
	v_subrev_u32_e32 v24, 28, v27
	v_lshlrev_b64 v[24:25], v24, v[6:7]
	v_and_b32_e32 v24, 7, v24
	v_cmp_gt_u32_e32 vcc, 8, v14
	v_lshrrev_b32_e32 v23, 3, v14
	v_sub_u32_e32 v6, 29, v27
	v_cndmask_b32_e32 v14, v20, v24, vcc
	v_mov_b32_e32 v20, 24
	v_cndmask_b32_e32 v6, v23, v6, vcc
	v_lshlrev_b32_sdwa v20, v20, v7 dst_sel:DWORD dst_unused:UNUSED_PAD src0_sel:DWORD src1_sel:WORD_1
	v_bfrev_b32_e32 v23, 60
	v_lshlrev_b32_e32 v14, 20, v14
	v_and_b32_e32 v20, 0x80000000, v20
	v_lshl_add_u32 v6, v6, 23, v23
	v_or3_b32 v20, v20, v6, v14
.LBB583_633:
	s_or_b64 exec, exec, s[10:11]
.LBB583_634:
	s_or_b64 exec, exec, s[8:9]
.LBB583_635:
	s_or_b64 exec, exec, s[2:3]
	s_mov_b32 s2, 0xffffff
	v_cmp_lt_u32_e32 vcc, s2, v7
	v_mov_b32_e32 v14, 0
	v_mov_b32_e32 v23, 0
	s_and_saveexec_b64 s[2:3], vcc
	s_cbranch_execz .LBB583_641
; %bb.636:
	v_lshrrev_b32_e32 v6, 24, v7
	s_movk_i32 s7, 0x80
	v_cmp_ne_u32_e32 vcc, s7, v6
	v_bfrev_b32_e32 v23, 1
	s_and_saveexec_b64 s[8:9], vcc
	s_cbranch_execz .LBB583_640
; %bb.637:
	v_bfe_u32 v7, v7, 24, 7
	s_movk_i32 s7, 0x7f
	v_cmp_ne_u32_e32 vcc, s7, v7
	v_mov_b32_e32 v23, 0x7f800001
	s_and_saveexec_b64 s[10:11], vcc
	s_cbranch_execz .LBB583_639
; %bb.638:
	v_and_b32_e32 v23, 7, v6
	v_ffbh_u32_e32 v24, v23
	v_min_u32_e32 v28, 32, v24
	v_subrev_u32_e32 v24, 28, v28
	v_lshlrev_b64 v[24:25], v24, v[6:7]
	v_lshrrev_b32_e32 v27, 3, v7
	v_sub_u32_e32 v25, 29, v28
	v_and_b32_e32 v24, 7, v24
	v_cmp_gt_u32_e32 vcc, 8, v7
	v_cndmask_b32_e32 v7, v27, v25, vcc
	v_cndmask_b32_e32 v23, v23, v24, vcc
	v_lshlrev_b32_e32 v6, 24, v6
	v_bfrev_b32_e32 v24, 60
	v_lshlrev_b32_e32 v23, 20, v23
	v_and_b32_e32 v6, 0x80000000, v6
	v_lshl_add_u32 v7, v7, 23, v24
	v_or3_b32 v23, v6, v7, v23
.LBB583_639:
	s_or_b64 exec, exec, s[10:11]
.LBB583_640:
	s_or_b64 exec, exec, s[8:9]
.LBB583_641:
	s_or_b64 exec, exec, s[2:3]
	v_cvt_pkrtz_f16_f32 v6, v19, v16
	v_cvt_pkrtz_f16_f32 v7, v15, v18
	ds_read_b128 v[28:31], v22 offset:4096
	v_cmp_ne_u16_sdwa s[8:9], v8, v14 src0_sel:BYTE_0 src1_sel:DWORD
	s_waitcnt lgkmcnt(0)
	v_mfma_f32_16x16x16f16 v[10:13], v[6:7], v[28:29], v[10:13]
	v_cvt_pkrtz_f16_f32 v6, v17, v21
	v_cvt_pkrtz_f16_f32 v7, v20, v23
	s_nop 1
	v_mfma_f32_16x16x16f16 v[10:13], v[6:7], v[30:31], v[10:13]
	s_and_saveexec_b64 s[2:3], s[8:9]
	s_cbranch_execz .LBB583_647
; %bb.642:
	s_movk_i32 s7, 0x80
	v_cmp_ne_u16_sdwa s[10:11], v8, s7 src0_sel:BYTE_0 src1_sel:DWORD
	v_bfrev_b32_e32 v14, 1
	s_and_saveexec_b64 s[8:9], s[10:11]
	s_cbranch_execz .LBB583_646
; %bb.643:
	s_movk_i32 s7, 0x7f
	v_and_b32_e32 v6, 0x7f, v8
	v_cmp_ne_u32_e32 vcc, s7, v6
	v_mov_b32_e32 v14, 0x7f800001
	s_and_saveexec_b64 s[10:11], vcc
	s_cbranch_execz .LBB583_645
; %bb.644:
	v_and_b32_e32 v7, 7, v8
	v_ffbh_u32_e32 v14, v7
	v_min_u32_e32 v17, 32, v14
	v_subrev_u32_e32 v14, 28, v17
	v_lshlrev_b64 v[14:15], v14, v[8:9]
	v_lshrrev_b32_e32 v16, 3, v6
	v_sub_u32_e32 v15, 29, v17
	v_and_b32_e32 v14, 7, v14
	v_cmp_gt_u32_e32 vcc, 8, v6
	v_cndmask_b32_e32 v6, v16, v15, vcc
	v_cndmask_b32_e32 v7, v7, v14, vcc
	v_lshlrev_b32_e32 v14, 24, v8
	v_bfrev_b32_e32 v15, 60
	v_lshlrev_b32_e32 v7, 20, v7
	v_and_b32_e32 v14, 0x80000000, v14
	v_lshl_add_u32 v6, v6, 23, v15
	v_or3_b32 v14, v14, v6, v7
.LBB583_645:
	s_or_b64 exec, exec, s[10:11]
.LBB583_646:
	s_or_b64 exec, exec, s[8:9]
.LBB583_647:
	s_or_b64 exec, exec, s[2:3]
	v_lshrrev_b16_e32 v6, 8, v8
	v_cmp_ne_u16_e32 vcc, 0, v6
	v_mov_b32_e32 v7, 0
	v_mov_b32_e32 v16, 0
	s_and_saveexec_b64 s[2:3], vcc
	s_cbranch_execz .LBB583_653
; %bb.648:
	s_movk_i32 s7, 0x80
	v_cmp_ne_u16_e32 vcc, s7, v6
	v_bfrev_b32_e32 v16, 1
	s_and_saveexec_b64 s[8:9], vcc
	s_cbranch_execz .LBB583_652
; %bb.649:
	s_movk_i32 s7, 0x7f
	v_and_b32_e32 v15, 0x7f, v6
	v_cmp_ne_u32_e32 vcc, s7, v15
	v_mov_b32_e32 v16, 0x7f800001
	s_and_saveexec_b64 s[10:11], vcc
	s_cbranch_execz .LBB583_651
; %bb.650:
	v_and_b32_e32 v18, 7, v6
	v_ffbh_u32_e32 v16, v18
	v_min_u32_e32 v20, 32, v16
	v_subrev_u32_e32 v16, 28, v20
	v_lshlrev_b64 v[16:17], v16, v[6:7]
	v_lshrrev_b32_e32 v19, 3, v15
	v_sub_u32_e32 v6, 29, v20
	v_and_b32_e32 v16, 7, v16
	v_cmp_gt_u32_e32 vcc, 8, v15
	v_cndmask_b32_e32 v6, v19, v6, vcc
	v_cndmask_b32_e32 v15, v18, v16, vcc
	v_lshlrev_b32_e32 v16, 16, v8
	v_bfrev_b32_e32 v17, 60
	v_lshlrev_b32_e32 v15, 20, v15
	v_and_b32_e32 v16, 0x80000000, v16
	v_lshl_add_u32 v6, v6, 23, v17
	v_or3_b32 v16, v16, v6, v15
.LBB583_651:
	s_or_b64 exec, exec, s[10:11]
.LBB583_652:
	s_or_b64 exec, exec, s[8:9]
.LBB583_653:
	s_or_b64 exec, exec, s[2:3]
	s_movk_i32 s2, 0xff
	v_and_b32_sdwa v15, v8, s2 dst_sel:DWORD dst_unused:UNUSED_PAD src0_sel:WORD_1 src1_sel:DWORD
	v_lshrrev_b32_e32 v6, 16, v8
	v_cmp_ne_u16_e32 vcc, 0, v15
	s_and_saveexec_b64 s[2:3], vcc
	s_cbranch_execz .LBB583_659
; %bb.654:
	s_movk_i32 s7, 0x80
	v_cmp_ne_u16_e32 vcc, s7, v15
	v_bfrev_b32_e32 v7, 1
	s_and_saveexec_b64 s[8:9], vcc
	s_cbranch_execz .LBB583_658
; %bb.655:
	v_bfe_u32 v15, v8, 16, 7
	s_movk_i32 s7, 0x7f
	v_cmp_ne_u32_e32 vcc, s7, v15
	v_mov_b32_e32 v7, 0x7f800001
	s_and_saveexec_b64 s[10:11], vcc
	s_cbranch_execz .LBB583_657
; %bb.656:
	v_and_b32_e32 v17, 7, v6
	v_ffbh_u32_e32 v7, v17
	v_min_u32_e32 v19, 32, v7
	v_subrev_u32_e32 v7, 28, v19
	v_lshlrev_b64 v[6:7], v7, v[6:7]
	v_lshrrev_b32_e32 v18, 3, v15
	v_sub_u32_e32 v7, 29, v19
	v_and_b32_e32 v6, 7, v6
	v_cmp_gt_u32_e32 vcc, 8, v15
	v_mov_b32_e32 v15, 24
	v_cndmask_b32_e32 v7, v18, v7, vcc
	v_cndmask_b32_e32 v6, v17, v6, vcc
	v_lshlrev_b32_sdwa v15, v15, v8 dst_sel:DWORD dst_unused:UNUSED_PAD src0_sel:DWORD src1_sel:WORD_1
	v_bfrev_b32_e32 v17, 60
	v_lshlrev_b32_e32 v6, 20, v6
	v_and_b32_e32 v15, 0x80000000, v15
	v_lshl_add_u32 v7, v7, 23, v17
	v_or3_b32 v7, v15, v7, v6
.LBB583_657:
	s_or_b64 exec, exec, s[10:11]
.LBB583_658:
	s_or_b64 exec, exec, s[8:9]
.LBB583_659:
	s_or_b64 exec, exec, s[2:3]
	s_mov_b32 s2, 0xffffff
	v_cmp_lt_u32_e32 vcc, s2, v8
	v_mov_b32_e32 v17, 0
	v_mov_b32_e32 v18, 0
	s_and_saveexec_b64 s[2:3], vcc
	s_cbranch_execz .LBB583_665
; %bb.660:
	v_lshrrev_b32_e32 v6, 24, v8
	s_movk_i32 s7, 0x80
	v_cmp_ne_u32_e32 vcc, s7, v6
	v_bfrev_b32_e32 v18, 1
	s_and_saveexec_b64 s[8:9], vcc
	s_cbranch_execz .LBB583_664
; %bb.661:
	v_bfe_u32 v8, v8, 24, 7
	s_movk_i32 s7, 0x7f
	v_cmp_ne_u32_e32 vcc, s7, v8
	v_mov_b32_e32 v18, 0x7f800001
	s_and_saveexec_b64 s[10:11], vcc
	s_cbranch_execz .LBB583_663
; %bb.662:
	v_and_b32_e32 v15, 7, v6
	v_ffbh_u32_e32 v18, v15
	v_min_u32_e32 v21, 32, v18
	v_subrev_u32_e32 v18, 28, v21
	v_lshlrev_b64 v[18:19], v18, v[6:7]
	v_lshrrev_b32_e32 v20, 3, v8
	v_sub_u32_e32 v19, 29, v21
	v_and_b32_e32 v18, 7, v18
	v_cmp_gt_u32_e32 vcc, 8, v8
	v_cndmask_b32_e32 v8, v20, v19, vcc
	v_cndmask_b32_e32 v15, v15, v18, vcc
	v_lshlrev_b32_e32 v6, 24, v6
	v_bfrev_b32_e32 v18, 60
	v_lshlrev_b32_e32 v15, 20, v15
	v_and_b32_e32 v6, 0x80000000, v6
	v_lshl_add_u32 v8, v8, 23, v18
	v_or3_b32 v18, v6, v8, v15
.LBB583_663:
	s_or_b64 exec, exec, s[10:11]
.LBB583_664:
	s_or_b64 exec, exec, s[8:9]
.LBB583_665:
	s_or_b64 exec, exec, s[2:3]
	v_cmp_ne_u16_sdwa s[8:9], v9, v17 src0_sel:BYTE_0 src1_sel:DWORD
	s_and_saveexec_b64 s[2:3], s[8:9]
	s_cbranch_execz .LBB583_671
; %bb.666:
	s_movk_i32 s7, 0x80
	v_cmp_ne_u16_sdwa s[10:11], v9, s7 src0_sel:BYTE_0 src1_sel:DWORD
	v_bfrev_b32_e32 v17, 1
	s_and_saveexec_b64 s[8:9], s[10:11]
	s_cbranch_execz .LBB583_670
; %bb.667:
	s_movk_i32 s7, 0x7f
	v_and_b32_e32 v6, 0x7f, v9
	v_cmp_ne_u32_e32 vcc, s7, v6
	v_mov_b32_e32 v17, 0x7f800001
	s_and_saveexec_b64 s[10:11], vcc
	s_cbranch_execz .LBB583_669
; %bb.668:
	v_and_b32_e32 v15, 7, v9
	v_ffbh_u32_e32 v19, v15
	v_min_u32_e32 v19, 32, v19
	v_mov_b32_e32 v8, v9
	v_subrev_u32_e32 v20, 28, v19
	v_lshlrev_b64 v[20:21], v20, v[8:9]
	v_lshrrev_b32_e32 v17, 3, v6
	v_sub_u32_e32 v8, 29, v19
	v_and_b32_e32 v19, 7, v20
	v_cmp_gt_u32_e32 vcc, 8, v6
	v_cndmask_b32_e32 v6, v17, v8, vcc
	v_cndmask_b32_e32 v8, v15, v19, vcc
	v_lshlrev_b32_e32 v15, 24, v9
	v_bfrev_b32_e32 v17, 60
	v_lshlrev_b32_e32 v8, 20, v8
	v_and_b32_e32 v15, 0x80000000, v15
	v_lshl_add_u32 v6, v6, 23, v17
	v_or3_b32 v17, v15, v6, v8
.LBB583_669:
	s_or_b64 exec, exec, s[10:11]
.LBB583_670:
	s_or_b64 exec, exec, s[8:9]
.LBB583_671:
	s_or_b64 exec, exec, s[2:3]
	v_lshrrev_b16_e32 v6, 8, v9
	v_cmp_ne_u16_e32 vcc, 0, v6
	v_mov_b32_e32 v8, 0
	v_mov_b32_e32 v19, 0
	s_and_saveexec_b64 s[2:3], vcc
	s_cbranch_execz .LBB583_677
; %bb.672:
	s_movk_i32 s7, 0x80
	v_cmp_ne_u16_e32 vcc, s7, v6
	v_bfrev_b32_e32 v19, 1
	s_and_saveexec_b64 s[8:9], vcc
	s_cbranch_execz .LBB583_676
; %bb.673:
	s_movk_i32 s7, 0x7f
	v_and_b32_e32 v15, 0x7f, v6
	v_cmp_ne_u32_e32 vcc, s7, v15
	v_mov_b32_e32 v19, 0x7f800001
	s_and_saveexec_b64 s[10:11], vcc
	s_cbranch_execz .LBB583_675
; %bb.674:
	v_and_b32_e32 v19, 7, v6
	v_ffbh_u32_e32 v20, v19
	v_min_u32_e32 v24, 32, v20
	v_subrev_u32_e32 v20, 28, v24
	v_lshlrev_b64 v[20:21], v20, v[6:7]
	v_lshrrev_b32_e32 v23, 3, v15
	v_sub_u32_e32 v6, 29, v24
	v_and_b32_e32 v20, 7, v20
	v_cmp_gt_u32_e32 vcc, 8, v15
	v_cndmask_b32_e32 v6, v23, v6, vcc
	v_cndmask_b32_e32 v15, v19, v20, vcc
	v_lshlrev_b32_e32 v19, 16, v9
	v_bfrev_b32_e32 v20, 60
	v_lshlrev_b32_e32 v15, 20, v15
	v_and_b32_e32 v19, 0x80000000, v19
	v_lshl_add_u32 v6, v6, 23, v20
	v_or3_b32 v19, v19, v6, v15
.LBB583_675:
	s_or_b64 exec, exec, s[10:11]
.LBB583_676:
	s_or_b64 exec, exec, s[8:9]
.LBB583_677:
	s_or_b64 exec, exec, s[2:3]
	s_movk_i32 s2, 0xff
	v_and_b32_sdwa v15, v9, s2 dst_sel:DWORD dst_unused:UNUSED_PAD src0_sel:WORD_1 src1_sel:DWORD
	v_lshrrev_b32_e32 v6, 16, v9
	v_cmp_ne_u16_e32 vcc, 0, v15
	s_and_saveexec_b64 s[2:3], vcc
	s_cbranch_execz .LBB583_683
; %bb.678:
	s_movk_i32 s7, 0x80
	v_cmp_ne_u16_e32 vcc, s7, v15
	v_bfrev_b32_e32 v8, 1
	s_and_saveexec_b64 s[8:9], vcc
	s_cbranch_execz .LBB583_682
; %bb.679:
	v_bfe_u32 v15, v9, 16, 7
	s_movk_i32 s7, 0x7f
	v_cmp_ne_u32_e32 vcc, s7, v15
	v_mov_b32_e32 v8, 0x7f800001
	s_and_saveexec_b64 s[10:11], vcc
	s_cbranch_execz .LBB583_681
; %bb.680:
	v_and_b32_e32 v8, 7, v6
	v_ffbh_u32_e32 v20, v8
	v_min_u32_e32 v24, 32, v20
	v_subrev_u32_e32 v20, 28, v24
	v_lshlrev_b64 v[20:21], v20, v[6:7]
	v_lshrrev_b32_e32 v23, 3, v15
	v_sub_u32_e32 v6, 29, v24
	v_and_b32_e32 v20, 7, v20
	v_cmp_gt_u32_e32 vcc, 8, v15
	v_mov_b32_e32 v15, 24
	v_cndmask_b32_e32 v6, v23, v6, vcc
	v_cndmask_b32_e32 v8, v8, v20, vcc
	v_lshlrev_b32_sdwa v15, v15, v9 dst_sel:DWORD dst_unused:UNUSED_PAD src0_sel:DWORD src1_sel:WORD_1
	v_bfrev_b32_e32 v20, 60
	v_lshlrev_b32_e32 v8, 20, v8
	v_and_b32_e32 v15, 0x80000000, v15
	v_lshl_add_u32 v6, v6, 23, v20
	v_or3_b32 v8, v15, v6, v8
.LBB583_681:
	s_or_b64 exec, exec, s[10:11]
.LBB583_682:
	s_or_b64 exec, exec, s[8:9]
.LBB583_683:
	s_or_b64 exec, exec, s[2:3]
	s_mov_b32 s2, 0xffffff
	v_cmp_lt_u32_e32 vcc, s2, v9
	v_mov_b32_e32 v15, 0
	v_mov_b32_e32 v20, 0
	s_and_saveexec_b64 s[2:3], vcc
	s_cbranch_execz .LBB583_689
; %bb.684:
	v_lshrrev_b32_e32 v6, 24, v9
	s_movk_i32 s7, 0x80
	v_cmp_ne_u32_e32 vcc, s7, v6
	v_bfrev_b32_e32 v20, 1
	s_and_saveexec_b64 s[8:9], vcc
	s_cbranch_execz .LBB583_688
; %bb.685:
	v_bfe_u32 v9, v9, 24, 7
	s_movk_i32 s7, 0x7f
	v_cmp_ne_u32_e32 vcc, s7, v9
	v_mov_b32_e32 v20, 0x7f800001
	s_and_saveexec_b64 s[10:11], vcc
	s_cbranch_execz .LBB583_687
; %bb.686:
	v_and_b32_e32 v23, 7, v6
	v_ffbh_u32_e32 v20, v23
	v_min_u32_e32 v25, 32, v20
	v_subrev_u32_e32 v20, 28, v25
	v_lshlrev_b64 v[20:21], v20, v[6:7]
	v_lshrrev_b32_e32 v24, 3, v9
	v_sub_u32_e32 v21, 29, v25
	v_and_b32_e32 v20, 7, v20
	v_cmp_gt_u32_e32 vcc, 8, v9
	v_cndmask_b32_e32 v9, v24, v21, vcc
	v_cndmask_b32_e32 v20, v23, v20, vcc
	v_lshlrev_b32_e32 v6, 24, v6
	v_bfrev_b32_e32 v21, 60
	v_lshlrev_b32_e32 v20, 20, v20
	v_and_b32_e32 v6, 0x80000000, v6
	v_lshl_add_u32 v9, v9, 23, v21
	v_or3_b32 v20, v6, v9, v20
.LBB583_687:
	s_or_b64 exec, exec, s[10:11]
.LBB583_688:
	s_or_b64 exec, exec, s[8:9]
.LBB583_689:
	s_or_b64 exec, exec, s[2:3]
	v_cvt_pkrtz_f16_f32 v6, v14, v16
	v_cvt_pkrtz_f16_f32 v7, v7, v18
	ds_read_b128 v[28:31], v22 offset:4112
	s_waitcnt vmcnt(0)
	v_cmp_ne_u16_sdwa s[8:9], v2, v15 src0_sel:BYTE_0 src1_sel:DWORD
	s_waitcnt lgkmcnt(0)
	v_mfma_f32_16x16x16f16 v[10:13], v[6:7], v[28:29], v[10:13]
	v_cvt_pkrtz_f16_f32 v6, v17, v19
	v_cvt_pkrtz_f16_f32 v7, v8, v20
	s_nop 1
	v_mfma_f32_16x16x16f16 v[6:9], v[6:7], v[30:31], v[10:13]
	s_and_saveexec_b64 s[2:3], s[8:9]
	s_cbranch_execz .LBB583_695
; %bb.690:
	s_movk_i32 s7, 0x80
	v_cmp_ne_u16_sdwa s[10:11], v2, s7 src0_sel:BYTE_0 src1_sel:DWORD
	v_bfrev_b32_e32 v15, 1
	s_and_saveexec_b64 s[8:9], s[10:11]
	s_cbranch_execz .LBB583_694
; %bb.691:
	s_movk_i32 s7, 0x7f
	v_and_b32_e32 v10, 0x7f, v2
	v_cmp_ne_u32_e32 vcc, s7, v10
	v_mov_b32_e32 v15, 0x7f800001
	s_and_saveexec_b64 s[10:11], vcc
	s_cbranch_execz .LBB583_693
; %bb.692:
	v_and_b32_e32 v11, 7, v2
	v_ffbh_u32_e32 v12, v11
	v_min_u32_e32 v15, 32, v12
	v_subrev_u32_e32 v12, 28, v15
	v_lshlrev_b64 v[12:13], v12, v[2:3]
	v_lshrrev_b32_e32 v14, 3, v10
	v_sub_u32_e32 v13, 29, v15
	v_and_b32_e32 v12, 7, v12
	v_cmp_gt_u32_e32 vcc, 8, v10
	v_cndmask_b32_e32 v10, v14, v13, vcc
	v_cndmask_b32_e32 v11, v11, v12, vcc
	v_lshlrev_b32_e32 v12, 24, v2
	v_bfrev_b32_e32 v13, 60
	v_lshlrev_b32_e32 v11, 20, v11
	v_and_b32_e32 v12, 0x80000000, v12
	v_lshl_add_u32 v10, v10, 23, v13
	v_or3_b32 v15, v12, v10, v11
.LBB583_693:
	s_or_b64 exec, exec, s[10:11]
.LBB583_694:
	s_or_b64 exec, exec, s[8:9]
.LBB583_695:
	s_or_b64 exec, exec, s[2:3]
	s_nop 3
	v_lshrrev_b16_e32 v10, 8, v2
	v_cmp_ne_u16_e32 vcc, 0, v10
	v_mov_b32_e32 v11, 0
	v_mov_b32_e32 v12, 0
	s_and_saveexec_b64 s[2:3], vcc
	s_cbranch_execz .LBB583_701
; %bb.696:
	s_movk_i32 s7, 0x80
	v_cmp_ne_u16_e32 vcc, s7, v10
	v_bfrev_b32_e32 v12, 1
	s_and_saveexec_b64 s[8:9], vcc
	s_cbranch_execz .LBB583_700
; %bb.697:
	s_movk_i32 s7, 0x7f
	v_and_b32_e32 v13, 0x7f, v10
	v_cmp_ne_u32_e32 vcc, s7, v13
	v_mov_b32_e32 v12, 0x7f800001
	s_and_saveexec_b64 s[10:11], vcc
	s_cbranch_execz .LBB583_699
; %bb.698:
	v_and_b32_e32 v12, 7, v10
	v_ffbh_u32_e32 v16, v12
	v_min_u32_e32 v18, 32, v16
	v_subrev_u32_e32 v16, 28, v18
	v_lshlrev_b64 v[16:17], v16, v[10:11]
	v_lshrrev_b32_e32 v14, 3, v13
	v_sub_u32_e32 v10, 29, v18
	v_and_b32_e32 v16, 7, v16
	v_cmp_gt_u32_e32 vcc, 8, v13
	v_cndmask_b32_e32 v10, v14, v10, vcc
	v_cndmask_b32_e32 v12, v12, v16, vcc
	v_lshlrev_b32_e32 v13, 16, v2
	v_bfrev_b32_e32 v14, 60
	v_lshlrev_b32_e32 v12, 20, v12
	v_and_b32_e32 v13, 0x80000000, v13
	v_lshl_add_u32 v10, v10, 23, v14
	v_or3_b32 v12, v13, v10, v12
.LBB583_699:
	s_or_b64 exec, exec, s[10:11]
.LBB583_700:
	s_or_b64 exec, exec, s[8:9]
.LBB583_701:
	s_or_b64 exec, exec, s[2:3]
	s_movk_i32 s2, 0xff
	v_and_b32_sdwa v13, v2, s2 dst_sel:DWORD dst_unused:UNUSED_PAD src0_sel:WORD_1 src1_sel:DWORD
	v_lshrrev_b32_e32 v10, 16, v2
	v_cmp_ne_u16_e32 vcc, 0, v13
	s_and_saveexec_b64 s[2:3], vcc
	s_cbranch_execz .LBB583_707
; %bb.702:
	s_movk_i32 s7, 0x80
	v_cmp_ne_u16_e32 vcc, s7, v13
	v_bfrev_b32_e32 v11, 1
	s_and_saveexec_b64 s[8:9], vcc
	s_cbranch_execz .LBB583_706
; %bb.703:
	v_bfe_u32 v13, v2, 16, 7
	s_movk_i32 s7, 0x7f
	v_cmp_ne_u32_e32 vcc, s7, v13
	v_mov_b32_e32 v11, 0x7f800001
	s_and_saveexec_b64 s[10:11], vcc
	s_cbranch_execz .LBB583_705
; %bb.704:
	v_and_b32_e32 v14, 7, v10
	v_ffbh_u32_e32 v11, v14
	v_min_u32_e32 v17, 32, v11
	v_subrev_u32_e32 v11, 28, v17
	v_lshlrev_b64 v[10:11], v11, v[10:11]
	v_lshrrev_b32_e32 v16, 3, v13
	v_sub_u32_e32 v11, 29, v17
	v_and_b32_e32 v10, 7, v10
	v_cmp_gt_u32_e32 vcc, 8, v13
	v_mov_b32_e32 v13, 24
	v_cndmask_b32_e32 v11, v16, v11, vcc
	v_cndmask_b32_e32 v10, v14, v10, vcc
	v_lshlrev_b32_sdwa v13, v13, v2 dst_sel:DWORD dst_unused:UNUSED_PAD src0_sel:DWORD src1_sel:WORD_1
	v_bfrev_b32_e32 v14, 60
	v_lshlrev_b32_e32 v10, 20, v10
	v_and_b32_e32 v13, 0x80000000, v13
	v_lshl_add_u32 v11, v11, 23, v14
	v_or3_b32 v11, v13, v11, v10
.LBB583_705:
	s_or_b64 exec, exec, s[10:11]
.LBB583_706:
	s_or_b64 exec, exec, s[8:9]
.LBB583_707:
	s_or_b64 exec, exec, s[2:3]
	s_mov_b32 s2, 0xffffff
	v_cmp_lt_u32_e32 vcc, s2, v2
	v_mov_b32_e32 v13, 0
	v_mov_b32_e32 v14, 0
	s_and_saveexec_b64 s[2:3], vcc
	s_cbranch_execz .LBB583_713
; %bb.708:
	v_lshrrev_b32_e32 v10, 24, v2
	s_movk_i32 s7, 0x80
	v_cmp_ne_u32_e32 vcc, s7, v10
	v_bfrev_b32_e32 v14, 1
	s_and_saveexec_b64 s[8:9], vcc
	s_cbranch_execz .LBB583_712
; %bb.709:
	v_bfe_u32 v2, v2, 24, 7
	s_movk_i32 s7, 0x7f
	v_cmp_ne_u32_e32 vcc, s7, v2
	v_mov_b32_e32 v14, 0x7f800001
	s_and_saveexec_b64 s[10:11], vcc
	s_cbranch_execz .LBB583_711
; %bb.710:
	v_and_b32_e32 v14, 7, v10
	v_ffbh_u32_e32 v16, v14
	v_min_u32_e32 v19, 32, v16
	v_subrev_u32_e32 v16, 28, v19
	v_lshlrev_b64 v[16:17], v16, v[10:11]
	v_lshrrev_b32_e32 v18, 3, v2
	v_sub_u32_e32 v17, 29, v19
	v_and_b32_e32 v16, 7, v16
	v_cmp_gt_u32_e32 vcc, 8, v2
	v_cndmask_b32_e32 v2, v18, v17, vcc
	v_cndmask_b32_e32 v14, v14, v16, vcc
	v_lshlrev_b32_e32 v10, 24, v10
	v_bfrev_b32_e32 v16, 60
	v_lshlrev_b32_e32 v14, 20, v14
	v_and_b32_e32 v10, 0x80000000, v10
	v_lshl_add_u32 v2, v2, 23, v16
	v_or3_b32 v14, v10, v2, v14
.LBB583_711:
	s_or_b64 exec, exec, s[10:11]
.LBB583_712:
	s_or_b64 exec, exec, s[8:9]
.LBB583_713:
	s_or_b64 exec, exec, s[2:3]
	v_cmp_ne_u16_sdwa s[8:9], v3, v13 src0_sel:BYTE_0 src1_sel:DWORD
	s_and_saveexec_b64 s[2:3], s[8:9]
	s_cbranch_execz .LBB583_719
; %bb.714:
	s_movk_i32 s7, 0x80
	v_cmp_ne_u16_sdwa s[10:11], v3, s7 src0_sel:BYTE_0 src1_sel:DWORD
	v_bfrev_b32_e32 v13, 1
	s_and_saveexec_b64 s[8:9], s[10:11]
	s_cbranch_execz .LBB583_718
; %bb.715:
	s_movk_i32 s7, 0x7f
	v_and_b32_e32 v2, 0x7f, v3
	v_cmp_ne_u32_e32 vcc, s7, v2
	v_mov_b32_e32 v13, 0x7f800001
	s_and_saveexec_b64 s[10:11], vcc
	s_cbranch_execz .LBB583_717
; %bb.716:
	v_and_b32_e32 v13, 7, v3
	v_ffbh_u32_e32 v16, v13
	v_min_u32_e32 v19, 32, v16
	v_mov_b32_e32 v10, v3
	v_subrev_u32_e32 v16, 28, v19
	v_lshlrev_b64 v[16:17], v16, v[10:11]
	v_lshrrev_b32_e32 v18, 3, v2
	v_sub_u32_e32 v10, 29, v19
	v_and_b32_e32 v16, 7, v16
	v_cmp_gt_u32_e32 vcc, 8, v2
	v_cndmask_b32_e32 v2, v18, v10, vcc
	v_cndmask_b32_e32 v10, v13, v16, vcc
	v_lshlrev_b32_e32 v13, 24, v3
	v_bfrev_b32_e32 v16, 60
	v_lshlrev_b32_e32 v10, 20, v10
	v_and_b32_e32 v13, 0x80000000, v13
	v_lshl_add_u32 v2, v2, 23, v16
	v_or3_b32 v13, v13, v2, v10
.LBB583_717:
	s_or_b64 exec, exec, s[10:11]
.LBB583_718:
	s_or_b64 exec, exec, s[8:9]
.LBB583_719:
	s_or_b64 exec, exec, s[2:3]
	v_lshrrev_b16_e32 v2, 8, v3
	v_cmp_ne_u16_e32 vcc, 0, v2
	v_mov_b32_e32 v16, 0
	v_mov_b32_e32 v17, 0
	s_and_saveexec_b64 s[2:3], vcc
	s_cbranch_execz .LBB583_725
; %bb.720:
	s_movk_i32 s7, 0x80
	v_cmp_ne_u16_e32 vcc, s7, v2
	v_bfrev_b32_e32 v17, 1
	s_and_saveexec_b64 s[8:9], vcc
	s_cbranch_execz .LBB583_724
; %bb.721:
	s_movk_i32 s7, 0x7f
	v_and_b32_e32 v10, 0x7f, v2
	v_cmp_ne_u32_e32 vcc, s7, v10
	v_mov_b32_e32 v17, 0x7f800001
	s_and_saveexec_b64 s[10:11], vcc
	s_cbranch_execz .LBB583_723
; %bb.722:
	v_and_b32_e32 v17, 7, v2
	v_ffbh_u32_e32 v18, v17
	v_min_u32_e32 v21, 32, v18
	v_subrev_u32_e32 v18, 28, v21
	v_lshlrev_b64 v[18:19], v18, v[2:3]
	v_lshrrev_b32_e32 v20, 3, v10
	v_sub_u32_e32 v2, 29, v21
	v_and_b32_e32 v18, 7, v18
	v_cmp_gt_u32_e32 vcc, 8, v10
	v_cndmask_b32_e32 v2, v20, v2, vcc
	v_cndmask_b32_e32 v10, v17, v18, vcc
	v_lshlrev_b32_e32 v17, 16, v3
	v_bfrev_b32_e32 v18, 60
	v_lshlrev_b32_e32 v10, 20, v10
	v_and_b32_e32 v17, 0x80000000, v17
	v_lshl_add_u32 v2, v2, 23, v18
	v_or3_b32 v17, v17, v2, v10
.LBB583_723:
	s_or_b64 exec, exec, s[10:11]
.LBB583_724:
	s_or_b64 exec, exec, s[8:9]
.LBB583_725:
	s_or_b64 exec, exec, s[2:3]
	s_movk_i32 s2, 0xff
	v_and_b32_sdwa v10, v3, s2 dst_sel:DWORD dst_unused:UNUSED_PAD src0_sel:WORD_1 src1_sel:DWORD
	v_lshrrev_b32_e32 v2, 16, v3
	v_cmp_ne_u16_e32 vcc, 0, v10
	s_and_saveexec_b64 s[2:3], vcc
	s_cbranch_execz .LBB583_731
; %bb.726:
	s_movk_i32 s7, 0x80
	v_cmp_ne_u16_e32 vcc, s7, v10
	v_bfrev_b32_e32 v16, 1
	s_and_saveexec_b64 s[8:9], vcc
	s_cbranch_execz .LBB583_730
; %bb.727:
	v_bfe_u32 v10, v3, 16, 7
	s_movk_i32 s7, 0x7f
	v_cmp_ne_u32_e32 vcc, s7, v10
	v_mov_b32_e32 v16, 0x7f800001
	s_and_saveexec_b64 s[10:11], vcc
	s_cbranch_execz .LBB583_729
; %bb.728:
	v_and_b32_e32 v16, 7, v2
	v_ffbh_u32_e32 v18, v16
	v_min_u32_e32 v21, 32, v18
	v_subrev_u32_e32 v18, 28, v21
	v_lshlrev_b64 v[18:19], v18, v[2:3]
	v_and_b32_e32 v18, 7, v18
	v_cmp_gt_u32_e32 vcc, 8, v10
	v_lshrrev_b32_e32 v20, 3, v10
	v_sub_u32_e32 v2, 29, v21
	v_cndmask_b32_e32 v10, v16, v18, vcc
	v_mov_b32_e32 v16, 24
	v_cndmask_b32_e32 v2, v20, v2, vcc
	v_lshlrev_b32_sdwa v16, v16, v3 dst_sel:DWORD dst_unused:UNUSED_PAD src0_sel:DWORD src1_sel:WORD_1
	v_bfrev_b32_e32 v18, 60
	v_lshlrev_b32_e32 v10, 20, v10
	v_and_b32_e32 v16, 0x80000000, v16
	v_lshl_add_u32 v2, v2, 23, v18
	v_or3_b32 v16, v16, v2, v10
.LBB583_729:
	s_or_b64 exec, exec, s[10:11]
.LBB583_730:
	s_or_b64 exec, exec, s[8:9]
.LBB583_731:
	s_or_b64 exec, exec, s[2:3]
	s_mov_b32 s2, 0xffffff
	v_cmp_lt_u32_e32 vcc, s2, v3
	v_mov_b32_e32 v10, 0
	v_mov_b32_e32 v18, 0
	s_and_saveexec_b64 s[2:3], vcc
	s_cbranch_execz .LBB583_737
; %bb.732:
	v_lshrrev_b32_e32 v2, 24, v3
	s_movk_i32 s7, 0x80
	v_cmp_ne_u32_e32 vcc, s7, v2
	v_bfrev_b32_e32 v18, 1
	s_and_saveexec_b64 s[8:9], vcc
	s_cbranch_execz .LBB583_736
; %bb.733:
	v_bfe_u32 v3, v3, 24, 7
	s_movk_i32 s7, 0x7f
	v_cmp_ne_u32_e32 vcc, s7, v3
	v_mov_b32_e32 v18, 0x7f800001
	s_and_saveexec_b64 s[10:11], vcc
	s_cbranch_execz .LBB583_735
; %bb.734:
	v_and_b32_e32 v20, 7, v2
	v_ffbh_u32_e32 v18, v20
	v_min_u32_e32 v23, 32, v18
	v_subrev_u32_e32 v18, 28, v23
	v_lshlrev_b64 v[18:19], v18, v[2:3]
	v_lshrrev_b32_e32 v21, 3, v3
	v_sub_u32_e32 v19, 29, v23
	v_and_b32_e32 v18, 7, v18
	v_cmp_gt_u32_e32 vcc, 8, v3
	v_cndmask_b32_e32 v3, v21, v19, vcc
	v_cndmask_b32_e32 v18, v20, v18, vcc
	v_lshlrev_b32_e32 v2, 24, v2
	v_bfrev_b32_e32 v19, 60
	v_lshlrev_b32_e32 v18, 20, v18
	v_and_b32_e32 v2, 0x80000000, v2
	v_lshl_add_u32 v3, v3, 23, v19
	v_or3_b32 v18, v2, v3, v18
.LBB583_735:
	s_or_b64 exec, exec, s[10:11]
.LBB583_736:
	s_or_b64 exec, exec, s[8:9]
.LBB583_737:
	s_or_b64 exec, exec, s[2:3]
	v_cvt_pkrtz_f16_f32 v2, v15, v12
	v_cvt_pkrtz_f16_f32 v3, v11, v14
	ds_read_b128 v[28:31], v22 offset:6144
	v_cmp_ne_u16_sdwa s[8:9], v4, v10 src0_sel:BYTE_0 src1_sel:DWORD
	s_waitcnt lgkmcnt(0)
	v_mfma_f32_16x16x16f16 v[6:9], v[2:3], v[28:29], v[6:9]
	v_cvt_pkrtz_f16_f32 v2, v13, v17
	v_cvt_pkrtz_f16_f32 v3, v16, v18
	s_nop 1
	v_mfma_f32_16x16x16f16 v[6:9], v[2:3], v[30:31], v[6:9]
	s_and_saveexec_b64 s[2:3], s[8:9]
	s_cbranch_execz .LBB583_743
; %bb.738:
	s_movk_i32 s7, 0x80
	v_cmp_ne_u16_sdwa s[10:11], v4, s7 src0_sel:BYTE_0 src1_sel:DWORD
	v_bfrev_b32_e32 v10, 1
	s_and_saveexec_b64 s[8:9], s[10:11]
	s_cbranch_execz .LBB583_742
; %bb.739:
	s_movk_i32 s7, 0x7f
	v_and_b32_e32 v2, 0x7f, v4
	v_cmp_ne_u32_e32 vcc, s7, v2
	v_mov_b32_e32 v10, 0x7f800001
	s_and_saveexec_b64 s[10:11], vcc
	s_cbranch_execz .LBB583_741
; %bb.740:
	v_and_b32_e32 v3, 7, v4
	v_ffbh_u32_e32 v10, v3
	v_min_u32_e32 v13, 32, v10
	v_subrev_u32_e32 v10, 28, v13
	v_lshlrev_b64 v[10:11], v10, v[4:5]
	v_lshrrev_b32_e32 v12, 3, v2
	v_sub_u32_e32 v11, 29, v13
	v_and_b32_e32 v10, 7, v10
	v_cmp_gt_u32_e32 vcc, 8, v2
	v_cndmask_b32_e32 v2, v12, v11, vcc
	v_cndmask_b32_e32 v3, v3, v10, vcc
	v_lshlrev_b32_e32 v10, 24, v4
	v_bfrev_b32_e32 v11, 60
	v_lshlrev_b32_e32 v3, 20, v3
	v_and_b32_e32 v10, 0x80000000, v10
	v_lshl_add_u32 v2, v2, 23, v11
	v_or3_b32 v10, v10, v2, v3
.LBB583_741:
	s_or_b64 exec, exec, s[10:11]
.LBB583_742:
	s_or_b64 exec, exec, s[8:9]
.LBB583_743:
	s_or_b64 exec, exec, s[2:3]
	v_lshrrev_b16_e32 v2, 8, v4
	v_cmp_ne_u16_e32 vcc, 0, v2
	v_mov_b32_e32 v3, 0
	v_mov_b32_e32 v11, 0
	s_and_saveexec_b64 s[2:3], vcc
	s_cbranch_execz .LBB583_749
; %bb.744:
	s_movk_i32 s7, 0x80
	v_cmp_ne_u16_e32 vcc, s7, v2
	v_bfrev_b32_e32 v11, 1
	s_and_saveexec_b64 s[8:9], vcc
	s_cbranch_execz .LBB583_748
; %bb.745:
	s_movk_i32 s7, 0x7f
	v_and_b32_e32 v12, 0x7f, v2
	v_cmp_ne_u32_e32 vcc, s7, v12
	v_mov_b32_e32 v11, 0x7f800001
	s_and_saveexec_b64 s[10:11], vcc
	s_cbranch_execz .LBB583_747
; %bb.746:
	v_and_b32_e32 v11, 7, v2
	v_ffbh_u32_e32 v14, v11
	v_min_u32_e32 v16, 32, v14
	v_subrev_u32_e32 v14, 28, v16
	v_lshlrev_b64 v[14:15], v14, v[2:3]
	v_lshrrev_b32_e32 v13, 3, v12
	v_sub_u32_e32 v2, 29, v16
	v_and_b32_e32 v14, 7, v14
	v_cmp_gt_u32_e32 vcc, 8, v12
	v_cndmask_b32_e32 v2, v13, v2, vcc
	v_cndmask_b32_e32 v11, v11, v14, vcc
	v_lshlrev_b32_e32 v12, 16, v4
	v_bfrev_b32_e32 v13, 60
	v_lshlrev_b32_e32 v11, 20, v11
	v_and_b32_e32 v12, 0x80000000, v12
	v_lshl_add_u32 v2, v2, 23, v13
	v_or3_b32 v11, v12, v2, v11
.LBB583_747:
	s_or_b64 exec, exec, s[10:11]
.LBB583_748:
	s_or_b64 exec, exec, s[8:9]
.LBB583_749:
	s_or_b64 exec, exec, s[2:3]
	s_movk_i32 s2, 0xff
	v_and_b32_sdwa v12, v4, s2 dst_sel:DWORD dst_unused:UNUSED_PAD src0_sel:WORD_1 src1_sel:DWORD
	v_lshrrev_b32_e32 v2, 16, v4
	v_cmp_ne_u16_e32 vcc, 0, v12
	s_and_saveexec_b64 s[2:3], vcc
	s_cbranch_execz .LBB583_755
; %bb.750:
	s_movk_i32 s7, 0x80
	v_cmp_ne_u16_e32 vcc, s7, v12
	v_bfrev_b32_e32 v3, 1
	s_and_saveexec_b64 s[8:9], vcc
	s_cbranch_execz .LBB583_754
; %bb.751:
	v_bfe_u32 v12, v4, 16, 7
	s_movk_i32 s7, 0x7f
	v_cmp_ne_u32_e32 vcc, s7, v12
	v_mov_b32_e32 v3, 0x7f800001
	s_and_saveexec_b64 s[10:11], vcc
	s_cbranch_execz .LBB583_753
; %bb.752:
	v_and_b32_e32 v13, 7, v2
	v_ffbh_u32_e32 v3, v13
	v_min_u32_e32 v15, 32, v3
	v_subrev_u32_e32 v3, 28, v15
	v_lshlrev_b64 v[2:3], v3, v[2:3]
	v_lshrrev_b32_e32 v14, 3, v12
	v_sub_u32_e32 v3, 29, v15
	v_and_b32_e32 v2, 7, v2
	v_cmp_gt_u32_e32 vcc, 8, v12
	v_mov_b32_e32 v12, 24
	v_cndmask_b32_e32 v3, v14, v3, vcc
	v_cndmask_b32_e32 v2, v13, v2, vcc
	v_lshlrev_b32_sdwa v12, v12, v4 dst_sel:DWORD dst_unused:UNUSED_PAD src0_sel:DWORD src1_sel:WORD_1
	v_bfrev_b32_e32 v13, 60
	v_lshlrev_b32_e32 v2, 20, v2
	v_and_b32_e32 v12, 0x80000000, v12
	v_lshl_add_u32 v3, v3, 23, v13
	v_or3_b32 v3, v12, v3, v2
.LBB583_753:
	s_or_b64 exec, exec, s[10:11]
.LBB583_754:
	s_or_b64 exec, exec, s[8:9]
.LBB583_755:
	s_or_b64 exec, exec, s[2:3]
	s_mov_b32 s2, 0xffffff
	v_cmp_lt_u32_e32 vcc, s2, v4
	v_mov_b32_e32 v12, 0
	v_mov_b32_e32 v13, 0
	s_and_saveexec_b64 s[2:3], vcc
	s_cbranch_execz .LBB583_761
; %bb.756:
	v_lshrrev_b32_e32 v2, 24, v4
	s_movk_i32 s7, 0x80
	v_cmp_ne_u32_e32 vcc, s7, v2
	v_bfrev_b32_e32 v13, 1
	s_and_saveexec_b64 s[8:9], vcc
	s_cbranch_execz .LBB583_760
; %bb.757:
	v_bfe_u32 v4, v4, 24, 7
	s_movk_i32 s7, 0x7f
	v_cmp_ne_u32_e32 vcc, s7, v4
	v_mov_b32_e32 v13, 0x7f800001
	s_and_saveexec_b64 s[10:11], vcc
	s_cbranch_execz .LBB583_759
; %bb.758:
	v_and_b32_e32 v13, 7, v2
	v_ffbh_u32_e32 v14, v13
	v_min_u32_e32 v17, 32, v14
	v_subrev_u32_e32 v14, 28, v17
	v_lshlrev_b64 v[14:15], v14, v[2:3]
	v_lshrrev_b32_e32 v16, 3, v4
	v_sub_u32_e32 v15, 29, v17
	v_and_b32_e32 v14, 7, v14
	v_cmp_gt_u32_e32 vcc, 8, v4
	v_cndmask_b32_e32 v4, v16, v15, vcc
	v_cndmask_b32_e32 v13, v13, v14, vcc
	v_lshlrev_b32_e32 v2, 24, v2
	v_bfrev_b32_e32 v14, 60
	v_lshlrev_b32_e32 v13, 20, v13
	v_and_b32_e32 v2, 0x80000000, v2
	v_lshl_add_u32 v4, v4, 23, v14
	v_or3_b32 v13, v2, v4, v13
.LBB583_759:
	s_or_b64 exec, exec, s[10:11]
.LBB583_760:
	s_or_b64 exec, exec, s[8:9]
.LBB583_761:
	s_or_b64 exec, exec, s[2:3]
	v_cmp_ne_u16_sdwa s[8:9], v5, v12 src0_sel:BYTE_0 src1_sel:DWORD
	s_and_saveexec_b64 s[2:3], s[8:9]
	s_cbranch_execz .LBB583_767
; %bb.762:
	s_movk_i32 s7, 0x80
	v_cmp_ne_u16_sdwa s[10:11], v5, s7 src0_sel:BYTE_0 src1_sel:DWORD
	v_bfrev_b32_e32 v12, 1
	s_and_saveexec_b64 s[8:9], s[10:11]
	s_cbranch_execz .LBB583_766
; %bb.763:
	s_movk_i32 s7, 0x7f
	v_and_b32_e32 v2, 0x7f, v5
	v_cmp_ne_u32_e32 vcc, s7, v2
	v_mov_b32_e32 v12, 0x7f800001
	s_and_saveexec_b64 s[10:11], vcc
	s_cbranch_execz .LBB583_765
; %bb.764:
	v_and_b32_e32 v12, 7, v5
	v_ffbh_u32_e32 v14, v12
	v_min_u32_e32 v17, 32, v14
	v_mov_b32_e32 v4, v5
	v_subrev_u32_e32 v14, 28, v17
	v_lshlrev_b64 v[14:15], v14, v[4:5]
	v_lshrrev_b32_e32 v16, 3, v2
	v_sub_u32_e32 v4, 29, v17
	v_and_b32_e32 v14, 7, v14
	v_cmp_gt_u32_e32 vcc, 8, v2
	v_cndmask_b32_e32 v2, v16, v4, vcc
	v_cndmask_b32_e32 v4, v12, v14, vcc
	v_lshlrev_b32_e32 v12, 24, v5
	v_bfrev_b32_e32 v14, 60
	v_lshlrev_b32_e32 v4, 20, v4
	v_and_b32_e32 v12, 0x80000000, v12
	v_lshl_add_u32 v2, v2, 23, v14
	v_or3_b32 v12, v12, v2, v4
.LBB583_765:
	s_or_b64 exec, exec, s[10:11]
.LBB583_766:
	s_or_b64 exec, exec, s[8:9]
.LBB583_767:
	s_or_b64 exec, exec, s[2:3]
	v_lshrrev_b16_e32 v2, 8, v5
	v_cmp_ne_u16_e32 vcc, 0, v2
	v_mov_b32_e32 v4, 0
	v_mov_b32_e32 v14, 0
	s_and_saveexec_b64 s[2:3], vcc
	s_cbranch_execz .LBB583_773
; %bb.768:
	s_movk_i32 s7, 0x80
	v_cmp_ne_u16_e32 vcc, s7, v2
	v_bfrev_b32_e32 v14, 1
	s_and_saveexec_b64 s[8:9], vcc
	s_cbranch_execz .LBB583_772
; %bb.769:
	s_movk_i32 s7, 0x7f
	v_and_b32_e32 v15, 0x7f, v2
	v_cmp_ne_u32_e32 vcc, s7, v15
	v_mov_b32_e32 v14, 0x7f800001
	s_and_saveexec_b64 s[10:11], vcc
	s_cbranch_execz .LBB583_771
; %bb.770:
	v_and_b32_e32 v14, 7, v2
	v_ffbh_u32_e32 v16, v14
	v_min_u32_e32 v19, 32, v16
	v_subrev_u32_e32 v16, 28, v19
	v_lshlrev_b64 v[16:17], v16, v[2:3]
	v_lshrrev_b32_e32 v18, 3, v15
	v_sub_u32_e32 v2, 29, v19
	v_and_b32_e32 v16, 7, v16
	v_cmp_gt_u32_e32 vcc, 8, v15
	v_cndmask_b32_e32 v2, v18, v2, vcc
	v_cndmask_b32_e32 v14, v14, v16, vcc
	v_lshlrev_b32_e32 v15, 16, v5
	v_bfrev_b32_e32 v16, 60
	v_lshlrev_b32_e32 v14, 20, v14
	v_and_b32_e32 v15, 0x80000000, v15
	v_lshl_add_u32 v2, v2, 23, v16
	v_or3_b32 v14, v15, v2, v14
.LBB583_771:
	s_or_b64 exec, exec, s[10:11]
.LBB583_772:
	s_or_b64 exec, exec, s[8:9]
.LBB583_773:
	s_or_b64 exec, exec, s[2:3]
	s_movk_i32 s2, 0xff
	v_and_b32_sdwa v15, v5, s2 dst_sel:DWORD dst_unused:UNUSED_PAD src0_sel:WORD_1 src1_sel:DWORD
	v_lshrrev_b32_e32 v2, 16, v5
	v_cmp_ne_u16_e32 vcc, 0, v15
	s_and_saveexec_b64 s[2:3], vcc
	s_cbranch_execz .LBB583_779
; %bb.774:
	s_movk_i32 s7, 0x80
	v_cmp_ne_u16_e32 vcc, s7, v15
	v_bfrev_b32_e32 v4, 1
	s_and_saveexec_b64 s[8:9], vcc
	s_cbranch_execz .LBB583_778
; %bb.775:
	v_bfe_u32 v15, v5, 16, 7
	s_movk_i32 s7, 0x7f
	v_cmp_ne_u32_e32 vcc, s7, v15
	v_mov_b32_e32 v4, 0x7f800001
	s_and_saveexec_b64 s[10:11], vcc
	s_cbranch_execz .LBB583_777
; %bb.776:
	v_and_b32_e32 v4, 7, v2
	v_ffbh_u32_e32 v16, v4
	v_min_u32_e32 v19, 32, v16
	v_subrev_u32_e32 v16, 28, v19
	v_lshlrev_b64 v[16:17], v16, v[2:3]
	v_lshrrev_b32_e32 v18, 3, v15
	v_sub_u32_e32 v2, 29, v19
	v_and_b32_e32 v16, 7, v16
	v_cmp_gt_u32_e32 vcc, 8, v15
	v_mov_b32_e32 v15, 24
	v_cndmask_b32_e32 v2, v18, v2, vcc
	v_cndmask_b32_e32 v4, v4, v16, vcc
	v_lshlrev_b32_sdwa v15, v15, v5 dst_sel:DWORD dst_unused:UNUSED_PAD src0_sel:DWORD src1_sel:WORD_1
	v_bfrev_b32_e32 v16, 60
	v_lshlrev_b32_e32 v4, 20, v4
	v_and_b32_e32 v15, 0x80000000, v15
	v_lshl_add_u32 v2, v2, 23, v16
	v_or3_b32 v4, v15, v2, v4
.LBB583_777:
	s_or_b64 exec, exec, s[10:11]
.LBB583_778:
	s_or_b64 exec, exec, s[8:9]
.LBB583_779:
	s_or_b64 exec, exec, s[2:3]
	s_mov_b32 s2, 0xffffff
	v_cmp_lt_u32_e32 vcc, s2, v5
	v_mov_b32_e32 v15, 0
	s_and_saveexec_b64 s[2:3], vcc
	s_cbranch_execz .LBB583_785
; %bb.780:
	v_lshrrev_b32_e32 v2, 24, v5
	s_movk_i32 s7, 0x80
	v_cmp_ne_u32_e32 vcc, s7, v2
	v_bfrev_b32_e32 v15, 1
	s_and_saveexec_b64 s[8:9], vcc
	s_cbranch_execz .LBB583_784
; %bb.781:
	v_bfe_u32 v5, v5, 24, 7
	s_movk_i32 s7, 0x7f
	v_cmp_ne_u32_e32 vcc, s7, v5
	v_mov_b32_e32 v15, 0x7f800001
	s_and_saveexec_b64 s[10:11], vcc
	s_cbranch_execz .LBB583_783
; %bb.782:
	v_and_b32_e32 v15, 7, v2
	v_ffbh_u32_e32 v16, v15
	v_min_u32_e32 v19, 32, v16
	v_subrev_u32_e32 v16, 28, v19
	v_lshlrev_b64 v[16:17], v16, v[2:3]
	v_lshrrev_b32_e32 v18, 3, v5
	v_sub_u32_e32 v17, 29, v19
	v_and_b32_e32 v16, 7, v16
	v_cmp_gt_u32_e32 vcc, 8, v5
	v_cndmask_b32_e32 v5, v18, v17, vcc
	v_cndmask_b32_e32 v15, v15, v16, vcc
	v_lshlrev_b32_e32 v2, 24, v2
	v_bfrev_b32_e32 v16, 60
	v_lshlrev_b32_e32 v15, 20, v15
	v_and_b32_e32 v2, 0x80000000, v2
	v_lshl_add_u32 v5, v5, 23, v16
	v_or3_b32 v15, v2, v5, v15
.LBB583_783:
	s_or_b64 exec, exec, s[10:11]
.LBB583_784:
	s_or_b64 exec, exec, s[8:9]
.LBB583_785:
	s_or_b64 exec, exec, s[2:3]
	v_cvt_pkrtz_f16_f32 v2, v10, v11
	v_cvt_pkrtz_f16_f32 v3, v3, v13
	ds_read_b128 v[16:19], v22 offset:6160
	s_load_dword s2, s[42:43], 0x0
	v_cmp_gt_u32_e32 vcc, 64, v0
	s_waitcnt lgkmcnt(0)
	v_mfma_f32_16x16x16f16 v[6:9], v[2:3], v[16:17], v[6:9]
	v_cvt_pkrtz_f16_f32 v2, v12, v14
	v_cvt_pkrtz_f16_f32 v3, v4, v15
	s_and_b64 s[0:1], vcc, s[0:1]
	s_barrier
	v_mfma_f32_16x16x16f16 v[2:5], v[2:3], v[18:19], v[6:9]
	s_nop 7
	s_nop 2
	v_pk_mul_f32 v[4:5], v[4:5], s[2:3] op_sel_hi:[1,0]
	v_pk_mul_f32 v[2:3], v[2:3], s[2:3] op_sel_hi:[1,0]
	v_cvt_f16_f32_e32 v2, v2
	v_cvt_f16_f32_e32 v3, v3
	;; [unrolled: 1-line block ×4, first 2 shown]
	v_pack_b32_f16 v2, v2, v3
	v_pack_b32_f16 v3, v4, v5
	ds_write_b64 v26, v[2:3]
	s_waitcnt lgkmcnt(0)
	s_barrier
	s_and_saveexec_b64 s[2:3], s[0:1]
	s_cbranch_execz .LBB583_788
; %bb.786:
	s_load_dwordx2 s[2:3], s[4:5], 0x68
	s_lshl_b32 s0, s44, 6
	s_mul_i32 s1, s12, s6
	s_mul_hi_u32 s7, s1, s0
	s_mul_i32 s6, s1, s0
	s_lshl_b64 s[6:7], s[6:7], 1
	s_waitcnt lgkmcnt(0)
	s_add_u32 s1, s2, s6
	v_lshlrev_b32_e32 v0, 10, v0
	s_mov_b32 s5, 0
	s_addc_u32 s6, s3, s7
	s_lshl_b32 s4, s24, 6
	v_and_b32_e32 v0, 0x1800, v0
	v_lshlrev_b32_e32 v2, 5, v1
	v_and_b32_e32 v3, 16, v47
	s_lshl_b64 s[2:3], s[4:5], 1
	v_or3_b32 v0, v0, v2, v3
	s_add_u32 s1, s1, s2
	v_or_b32_e32 v2, 8, v1
	s_addc_u32 s2, s6, s3
	ds_read_b128 v[6:9], v0 offset:128
	ds_read_b128 v[10:13], v0
	v_add_u32_e32 v1, s25, v1
	v_mov_b32_e32 v4, s2
	v_add_co_u32_e32 v3, vcc, s1, v46
	v_mad_u64_u32 v[14:15], s[2:3], v1, s0, 0
	v_addc_co_u32_e32 v4, vcc, 0, v4, vcc
	v_lshlrev_b64 v[14:15], 1, v[14:15]
	v_add_co_u32_e32 v14, vcc, v3, v14
	v_addc_co_u32_e32 v15, vcc, v4, v15, vcc
	v_add_u32_e32 v1, 4, v1
	s_waitcnt lgkmcnt(0)
	global_store_dwordx4 v[14:15], v[10:13], off
	s_nop 0
	v_mad_u64_u32 v[10:11], s[2:3], v1, s0, 0
	v_lshlrev_b64 v[10:11], 1, v[10:11]
	v_add_co_u32_e32 v10, vcc, v3, v10
	v_addc_co_u32_e32 v11, vcc, v4, v11, vcc
	v_cmp_gt_u32_e32 vcc, 10, v2
	global_store_dwordx4 v[10:11], v[6:9], off
	s_and_b64 exec, exec, vcc
	s_cbranch_execz .LBB583_788
; %bb.787:
	ds_read_b128 v[6:9], v0 offset:256
	v_add_u32_e32 v0, s25, v2
	v_mad_u64_u32 v[0:1], s[0:1], v0, s0, 0
	v_lshlrev_b64 v[0:1], 1, v[0:1]
	v_add_co_u32_e32 v0, vcc, v3, v0
	v_addc_co_u32_e32 v1, vcc, v4, v1, vcc
	s_waitcnt lgkmcnt(0)
	global_store_dwordx4 v[0:1], v[6:9], off
.LBB583_788:
	s_endpgm
	.section	.rodata,"a",@progbits
	.p2align	6, 0x0
	.amdhsa_kernel _Z39paged_attention_ll4mi_QKV_mfma16_kernelIDF16_hLN4vllm18Fp8KVCacheDataTypeE1EDF16_Li32ELi64ELi256ELb1ELi10EL8MFMAType0EEvPKT_PKT0_S8_ifPKiSA_SA_iPKfiiiPfSD_PS3_PT2_iSC_SC_
		.amdhsa_group_segment_fixed_size 8192
		.amdhsa_private_segment_fixed_size 0
		.amdhsa_kernarg_size 400
		.amdhsa_user_sgpr_count 6
		.amdhsa_user_sgpr_private_segment_buffer 1
		.amdhsa_user_sgpr_dispatch_ptr 0
		.amdhsa_user_sgpr_queue_ptr 0
		.amdhsa_user_sgpr_kernarg_segment_ptr 1
		.amdhsa_user_sgpr_dispatch_id 0
		.amdhsa_user_sgpr_flat_scratch_init 0
		.amdhsa_user_sgpr_kernarg_preload_length 0
		.amdhsa_user_sgpr_kernarg_preload_offset 0
		.amdhsa_user_sgpr_private_segment_size 0
		.amdhsa_uses_dynamic_stack 0
		.amdhsa_system_sgpr_private_segment_wavefront_offset 0
		.amdhsa_system_sgpr_workgroup_id_x 1
		.amdhsa_system_sgpr_workgroup_id_y 1
		.amdhsa_system_sgpr_workgroup_id_z 1
		.amdhsa_system_sgpr_workgroup_info 0
		.amdhsa_system_vgpr_workitem_id 0
		.amdhsa_next_free_vgpr 63
		.amdhsa_next_free_sgpr 47
		.amdhsa_accum_offset 64
		.amdhsa_reserve_vcc 1
		.amdhsa_reserve_flat_scratch 0
		.amdhsa_float_round_mode_32 0
		.amdhsa_float_round_mode_16_64 0
		.amdhsa_float_denorm_mode_32 3
		.amdhsa_float_denorm_mode_16_64 3
		.amdhsa_dx10_clamp 1
		.amdhsa_ieee_mode 1
		.amdhsa_fp16_overflow 0
		.amdhsa_tg_split 0
		.amdhsa_exception_fp_ieee_invalid_op 0
		.amdhsa_exception_fp_denorm_src 0
		.amdhsa_exception_fp_ieee_div_zero 0
		.amdhsa_exception_fp_ieee_overflow 0
		.amdhsa_exception_fp_ieee_underflow 0
		.amdhsa_exception_fp_ieee_inexact 0
		.amdhsa_exception_int_div_zero 0
	.end_amdhsa_kernel
	.section	.text._Z39paged_attention_ll4mi_QKV_mfma16_kernelIDF16_hLN4vllm18Fp8KVCacheDataTypeE1EDF16_Li32ELi64ELi256ELb1ELi10EL8MFMAType0EEvPKT_PKT0_S8_ifPKiSA_SA_iPKfiiiPfSD_PS3_PT2_iSC_SC_,"axG",@progbits,_Z39paged_attention_ll4mi_QKV_mfma16_kernelIDF16_hLN4vllm18Fp8KVCacheDataTypeE1EDF16_Li32ELi64ELi256ELb1ELi10EL8MFMAType0EEvPKT_PKT0_S8_ifPKiSA_SA_iPKfiiiPfSD_PS3_PT2_iSC_SC_,comdat
.Lfunc_end583:
	.size	_Z39paged_attention_ll4mi_QKV_mfma16_kernelIDF16_hLN4vllm18Fp8KVCacheDataTypeE1EDF16_Li32ELi64ELi256ELb1ELi10EL8MFMAType0EEvPKT_PKT0_S8_ifPKiSA_SA_iPKfiiiPfSD_PS3_PT2_iSC_SC_, .Lfunc_end583-_Z39paged_attention_ll4mi_QKV_mfma16_kernelIDF16_hLN4vllm18Fp8KVCacheDataTypeE1EDF16_Li32ELi64ELi256ELb1ELi10EL8MFMAType0EEvPKT_PKT0_S8_ifPKiSA_SA_iPKfiiiPfSD_PS3_PT2_iSC_SC_
                                        ; -- End function
	.section	.AMDGPU.csdata,"",@progbits
; Kernel info:
; codeLenInByte = 27368
; NumSgprs: 51
; NumVgprs: 63
; NumAgprs: 0
; TotalNumVgprs: 63
; ScratchSize: 0
; MemoryBound: 0
; FloatMode: 240
; IeeeMode: 1
; LDSByteSize: 8192 bytes/workgroup (compile time only)
; SGPRBlocks: 6
; VGPRBlocks: 7
; NumSGPRsForWavesPerEU: 51
; NumVGPRsForWavesPerEU: 63
; AccumOffset: 64
; Occupancy: 8
; WaveLimiterHint : 1
; COMPUTE_PGM_RSRC2:SCRATCH_EN: 0
; COMPUTE_PGM_RSRC2:USER_SGPR: 6
; COMPUTE_PGM_RSRC2:TRAP_HANDLER: 0
; COMPUTE_PGM_RSRC2:TGID_X_EN: 1
; COMPUTE_PGM_RSRC2:TGID_Y_EN: 1
; COMPUTE_PGM_RSRC2:TGID_Z_EN: 1
; COMPUTE_PGM_RSRC2:TIDIG_COMP_CNT: 0
; COMPUTE_PGM_RSRC3_GFX90A:ACCUM_OFFSET: 15
; COMPUTE_PGM_RSRC3_GFX90A:TG_SPLIT: 0
	.section	.text._Z39paged_attention_ll4mi_QKV_mfma16_kernelIDF16_hLN4vllm18Fp8KVCacheDataTypeE1EDF16_Li32ELi64ELi256ELb1ELi11EL8MFMAType0EEvPKT_PKT0_S8_ifPKiSA_SA_iPKfiiiPfSD_PS3_PT2_iSC_SC_,"axG",@progbits,_Z39paged_attention_ll4mi_QKV_mfma16_kernelIDF16_hLN4vllm18Fp8KVCacheDataTypeE1EDF16_Li32ELi64ELi256ELb1ELi11EL8MFMAType0EEvPKT_PKT0_S8_ifPKiSA_SA_iPKfiiiPfSD_PS3_PT2_iSC_SC_,comdat
	.protected	_Z39paged_attention_ll4mi_QKV_mfma16_kernelIDF16_hLN4vllm18Fp8KVCacheDataTypeE1EDF16_Li32ELi64ELi256ELb1ELi11EL8MFMAType0EEvPKT_PKT0_S8_ifPKiSA_SA_iPKfiiiPfSD_PS3_PT2_iSC_SC_ ; -- Begin function _Z39paged_attention_ll4mi_QKV_mfma16_kernelIDF16_hLN4vllm18Fp8KVCacheDataTypeE1EDF16_Li32ELi64ELi256ELb1ELi11EL8MFMAType0EEvPKT_PKT0_S8_ifPKiSA_SA_iPKfiiiPfSD_PS3_PT2_iSC_SC_
	.globl	_Z39paged_attention_ll4mi_QKV_mfma16_kernelIDF16_hLN4vllm18Fp8KVCacheDataTypeE1EDF16_Li32ELi64ELi256ELb1ELi11EL8MFMAType0EEvPKT_PKT0_S8_ifPKiSA_SA_iPKfiiiPfSD_PS3_PT2_iSC_SC_
	.p2align	8
	.type	_Z39paged_attention_ll4mi_QKV_mfma16_kernelIDF16_hLN4vllm18Fp8KVCacheDataTypeE1EDF16_Li32ELi64ELi256ELb1ELi11EL8MFMAType0EEvPKT_PKT0_S8_ifPKiSA_SA_iPKfiiiPfSD_PS3_PT2_iSC_SC_,@function
_Z39paged_attention_ll4mi_QKV_mfma16_kernelIDF16_hLN4vllm18Fp8KVCacheDataTypeE1EDF16_Li32ELi64ELi256ELb1ELi11EL8MFMAType0EEvPKT_PKT0_S8_ifPKiSA_SA_iPKfiiiPfSD_PS3_PT2_iSC_SC_: ; @_Z39paged_attention_ll4mi_QKV_mfma16_kernelIDF16_hLN4vllm18Fp8KVCacheDataTypeE1EDF16_Li32ELi64ELi256ELb1ELi11EL8MFMAType0EEvPKT_PKT0_S8_ifPKiSA_SA_iPKfiiiPfSD_PS3_PT2_iSC_SC_
; %bb.0:
	s_load_dwordx2 s[0:1], s[4:5], 0x30
	s_mov_b32 s24, s7
	s_mov_b64 s[10:11], 0
	s_waitcnt lgkmcnt(0)
	s_cmp_lg_u64 s[0:1], 0
	s_cselect_b64 s[2:3], -1, 0
	s_and_b64 vcc, exec, s[2:3]
	s_cbranch_vccz .LBB584_7
; %bb.1:
	s_add_i32 s12, s6, 1
	s_mov_b32 s13, 0
	s_lshl_b64 s[14:15], s[12:13], 2
	s_add_u32 s14, s0, s14
	s_mov_b32 s7, s13
	s_addc_u32 s15, s1, s15
	s_lshl_b64 s[12:13], s[6:7], 2
	s_add_u32 s12, s0, s12
	s_addc_u32 s13, s1, s13
	s_load_dword s9, s[14:15], 0x0
	s_load_dword s16, s[12:13], 0x0
	s_waitcnt lgkmcnt(0)
	s_sub_i32 s9, s9, s16
	s_cmp_eq_u32 s9, 1
	s_cselect_b64 s[12:13], -1, 0
	s_andn2_b64 vcc, exec, s[10:11]
	s_cbranch_vccnz .LBB584_3
.LBB584_2:
	s_mov_b32 s7, 0
	s_mov_b64 s[12:13], -1
.LBB584_3:
	s_andn2_b64 vcc, exec, s[12:13]
	s_cbranch_vccnz .LBB584_788
; %bb.4:
	s_load_dwordx2 s[12:13], s[4:5], 0x28
	s_lshl_b64 s[10:11], s[6:7], 2
	s_waitcnt lgkmcnt(0)
	s_add_u32 s12, s12, s10
	s_addc_u32 s13, s13, s11
	s_load_dword s33, s[12:13], 0x0
	s_lshl_b32 s18, s24, 8
	s_waitcnt lgkmcnt(0)
	s_cmp_ge_i32 s18, s33
	s_cbranch_scc1 .LBB584_788
; %bb.5:
	s_add_i32 s14, s33, 31
	s_load_dwordx2 s[12:13], s[4:5], 0x20
	s_load_dword s9, s[4:5], 0x38
	s_ashr_i32 s15, s14, 31
	v_and_b32_e32 v1, 0xcf, v0
	s_lshr_b32 s15, s15, 27
	v_add_u32_e32 v1, s18, v1
	s_add_i32 s14, s14, s15
	v_ashrrev_i32_e32 v2, 31, v1
	s_ashr_i32 s21, s14, 5
	v_lshrrev_b32_e32 v4, 27, v2
	s_add_i32 s21, s21, -1
	v_add_u32_e32 v2, v1, v4
	s_waitcnt lgkmcnt(0)
	s_mul_i32 s14, s6, s9
	s_mov_b32 s15, 0
	v_ashrrev_i32_e32 v2, 5, v2
	v_mov_b32_e32 v5, s21
	v_cmp_gt_i32_e32 vcc, s33, v1
	s_lshl_b64 s[14:15], s[14:15], 2
	v_cndmask_b32_e32 v2, v5, v2, vcc
	s_add_u32 s19, s12, s14
	v_ashrrev_i32_e32 v3, 31, v2
	s_addc_u32 s20, s13, s15
	v_lshlrev_b64 v[2:3], 2, v[2:3]
	v_mov_b32_e32 v7, s20
	v_add_co_u32_e32 v6, vcc, s19, v2
	v_or_b32_e32 v2, 16, v1
	v_addc_co_u32_e32 v7, vcc, v7, v3, vcc
	v_add_u32_e32 v3, v2, v4
	v_ashrrev_i32_e32 v3, 5, v3
	v_cmp_gt_i32_e32 vcc, s33, v2
	v_cndmask_b32_e32 v2, v5, v3, vcc
	v_ashrrev_i32_e32 v3, 31, v2
	v_lshlrev_b64 v[2:3], 2, v[2:3]
	v_mov_b32_e32 v9, s20
	v_add_co_u32_e32 v8, vcc, s19, v2
	v_or_b32_e32 v2, 32, v1
	v_addc_co_u32_e32 v9, vcc, v9, v3, vcc
	v_add_u32_e32 v3, v2, v4
	v_ashrrev_i32_e32 v3, 5, v3
	v_cmp_gt_i32_e32 vcc, s33, v2
	v_cndmask_b32_e32 v2, v5, v3, vcc
	v_ashrrev_i32_e32 v3, 31, v2
	;; [unrolled: 10-line block ×3, first 2 shown]
	v_lshlrev_b64 v[2:3], 2, v[2:3]
	v_mov_b32_e32 v1, s20
	v_add_co_u32_e32 v12, vcc, s19, v2
	v_addc_co_u32_e32 v13, vcc, v1, v3, vcc
	global_load_dword v5, v[6:7], off
	global_load_dword v4, v[8:9], off
	;; [unrolled: 1-line block ×4, first 2 shown]
	s_load_dwordx2 s[16:17], s[4:5], 0x8
	s_andn2_b64 vcc, exec, s[2:3]
	s_cbranch_vccnz .LBB584_8
; %bb.6:
	s_add_u32 s0, s0, s10
	s_addc_u32 s1, s1, s11
	s_load_dword s9, s[0:1], 0x0
	s_branch .LBB584_9
.LBB584_7:
	s_mov_b64 s[12:13], 0
	s_branch .LBB584_2
.LBB584_8:
	s_mov_b32 s9, s6
.LBB584_9:
	s_load_dwordx2 s[2:3], s[4:5], 0x10
	s_load_dwordx4 s[12:15], s[4:5], 0x48
	v_lshrrev_b32_e32 v50, 6, v0
	v_bfe_u32 v1, v0, 4, 2
	v_lshl_or_b32 v6, v50, 2, v1
	v_and_b32_e32 v49, 15, v0
	v_lshlrev_b32_e32 v7, 3, v49
	v_cmp_gt_u32_e32 vcc, 11, v6
	v_cmp_gt_u32_e64 s[0:1], 8, v49
	s_mul_i32 s25, s8, 11
	s_and_b64 s[22:23], s[0:1], vcc
	v_lshlrev_b32_e32 v46, 1, v7
	v_lshlrev_b32_e32 v47, 4, v0
	s_and_saveexec_b64 s[10:11], s[22:23]
	s_cbranch_execz .LBB584_11
; %bb.10:
	s_load_dwordx2 s[22:23], s[4:5], 0x0
	s_waitcnt lgkmcnt(0)
	s_ashr_i32 s15, s12, 31
	s_mul_hi_u32 s26, s9, s12
	s_mul_i32 s15, s9, s15
	s_add_i32 s27, s26, s15
	s_mul_i32 s26, s9, s12
	s_lshl_b64 s[26:27], s[26:27], 1
	v_add_lshl_u32 v8, v6, s25, 6
	s_add_u32 s9, s22, s26
	v_ashrrev_i32_e32 v9, 31, v8
	s_addc_u32 s12, s23, s27
	v_lshlrev_b64 v[8:9], 1, v[8:9]
	v_mov_b32_e32 v7, s12
	v_add_co_u32_e32 v8, vcc, s9, v8
	v_addc_co_u32_e32 v7, vcc, v7, v9, vcc
	v_add_co_u32_e32 v8, vcc, v8, v46
	v_addc_co_u32_e32 v9, vcc, 0, v7, vcc
	global_load_dwordx4 v[8:11], v[8:9], off
	v_lshlrev_b32_e32 v12, 8, v49
	v_lshlrev_b32_e32 v6, 5, v6
	v_and_b32_e32 v7, 16, v47
	v_and_b32_e32 v12, 0xe00, v12
	v_or3_b32 v6, v12, v6, v7
	s_waitcnt vmcnt(0)
	ds_write_b128 v6, v[8:11]
.LBB584_11:
	s_or_b64 exec, exec, s[10:11]
	s_waitcnt lgkmcnt(0)
	s_mul_i32 s10, s8, s14
	s_add_u32 s8, s16, s10
	s_addc_u32 s9, s17, 0
	v_pk_mov_b32 v[8:9], s[8:9], s[8:9] op_sel:[0,1]
	s_waitcnt vmcnt(3)
	v_mad_i64_i32 v[10:11], s[8:9], v5, s13, v[8:9]
	v_lshlrev_b32_e32 v12, 4, v49
	v_and_b32_e32 v6, 48, v0
	v_add_co_u32_e32 v5, vcc, v10, v12
	v_lshlrev_b32_e32 v7, 5, v6
	v_addc_co_u32_e32 v11, vcc, 0, v11, vcc
	v_add_co_u32_e32 v10, vcc, v5, v7
	v_addc_co_u32_e32 v11, vcc, 0, v11, vcc
	s_waitcnt vmcnt(2)
	v_mad_i64_i32 v[4:5], s[8:9], v4, s13, v[8:9]
	v_or_b32_e32 v13, 0x100, v12
	v_add_co_u32_e32 v4, vcc, v4, v13
	v_addc_co_u32_e32 v5, vcc, 0, v5, vcc
	v_add_co_u32_e32 v4, vcc, v4, v7
	v_addc_co_u32_e32 v5, vcc, 0, v5, vcc
	s_barrier
	global_load_dwordx4 v[34:37], v[10:11], off
	global_load_dwordx4 v[38:41], v[4:5], off
	s_waitcnt vmcnt(3)
	v_mad_i64_i32 v[4:5], s[8:9], v3, s13, v[8:9]
	v_add_co_u32_e32 v3, vcc, v4, v12
	v_addc_co_u32_e32 v5, vcc, 0, v5, vcc
	v_add_co_u32_e32 v4, vcc, v3, v7
	v_addc_co_u32_e32 v5, vcc, 0, v5, vcc
	s_waitcnt vmcnt(2)
	v_mad_i64_i32 v[2:3], s[8:9], v2, s13, v[8:9]
	v_add_co_u32_e32 v2, vcc, v2, v13
	v_addc_co_u32_e32 v3, vcc, 0, v3, vcc
	v_add_co_u32_e32 v2, vcc, v2, v7
	v_addc_co_u32_e32 v3, vcc, 0, v3, vcc
	global_load_dwordx4 v[30:33], v[4:5], off
	global_load_dwordx4 v[22:25], v[2:3], off
	v_add_u32_e32 v2, -11, v49
	v_cmp_gt_u32_e32 vcc, 11, v49
	v_cndmask_b32_e32 v2, v2, v49, vcc
	v_lshlrev_b32_e32 v2, 5, v2
	v_lshl_add_u32 v2, v1, 9, v2
	ds_read_b128 v[26:29], v2
	ds_read_b128 v[18:21], v2 offset:16
	v_mov_b32_e32 v43, 0
	v_mov_b32_e32 v51, 0
	s_and_saveexec_b64 s[8:9], vcc
	s_cbranch_execz .LBB584_13
; %bb.12:
	s_load_dwordx2 s[14:15], s[4:5], 0x40
	v_add_u32_e32 v2, s25, v49
	v_ashrrev_i32_e32 v3, 31, v2
	v_lshlrev_b64 v[2:3], 2, v[2:3]
	s_waitcnt lgkmcnt(0)
	v_mov_b32_e32 v4, s15
	v_add_co_u32_e32 v2, vcc, s14, v2
	v_addc_co_u32_e32 v3, vcc, v4, v3, vcc
	global_load_dword v51, v[2:3], off
.LBB584_13:
	s_or_b64 exec, exec, s[8:9]
	s_ashr_i32 s8, s18, 31
	v_or_b32_e32 v8, s18, v6
	s_lshr_b32 s8, s8, 27
	v_add_u32_e32 v2, s8, v8
	v_ashrrev_i32_e32 v2, 5, v2
	v_mov_b32_e32 v9, s21
	v_cmp_gt_i32_e32 vcc, s33, v8
	v_cndmask_b32_e32 v2, v9, v2, vcc
	v_ashrrev_i32_e32 v3, 31, v2
	v_lshlrev_b64 v[2:3], 2, v[2:3]
	v_mov_b32_e32 v4, s20
	v_add_co_u32_e32 v2, vcc, s19, v2
	v_addc_co_u32_e32 v3, vcc, v4, v3, vcc
	v_or_b32_e32 v4, 64, v8
	v_add_u32_e32 v5, s8, v4
	v_ashrrev_i32_e32 v5, 5, v5
	v_cmp_gt_i32_e32 vcc, s33, v4
	v_cndmask_b32_e32 v4, v9, v5, vcc
	v_ashrrev_i32_e32 v5, 31, v4
	v_lshlrev_b64 v[4:5], 2, v[4:5]
	v_mov_b32_e32 v6, s20
	v_add_co_u32_e32 v4, vcc, s19, v4
	v_addc_co_u32_e32 v5, vcc, v6, v5, vcc
	v_or_b32_e32 v6, 0x80, v8
	v_add_u32_e32 v7, s8, v6
	v_ashrrev_i32_e32 v7, 5, v7
	v_cmp_gt_i32_e32 vcc, s33, v6
	v_cndmask_b32_e32 v6, v9, v7, vcc
	v_ashrrev_i32_e32 v7, 31, v6
	v_lshlrev_b64 v[6:7], 2, v[6:7]
	v_mov_b32_e32 v10, s20
	v_add_co_u32_e32 v6, vcc, s19, v6
	v_addc_co_u32_e32 v7, vcc, v10, v7, vcc
	global_load_dword v10, v[2:3], off
	global_load_dword v11, v[4:5], off
	global_load_dword v12, v[6:7], off
	v_or_b32_e32 v2, 0xc0, v8
	v_add_u32_e32 v3, s8, v2
	v_ashrrev_i32_e32 v3, 5, v3
	v_cmp_gt_i32_e32 vcc, s33, v2
	v_cndmask_b32_e32 v2, v9, v3, vcc
	v_ashrrev_i32_e32 v3, 31, v2
	v_lshlrev_b64 v[2:3], 2, v[2:3]
	v_mov_b32_e32 v4, s20
	v_add_co_u32_e32 v2, vcc, s19, v2
	v_addc_co_u32_e32 v3, vcc, v4, v3, vcc
	global_load_dword v13, v[2:3], off
	s_add_u32 s2, s2, s10
	v_and_b32_e32 v2, 16, v0
	s_addc_u32 s3, s3, 0
	v_lshlrev_b32_e32 v48, 5, v49
	v_mov_b32_e32 v4, s3
	v_add_co_u32_e32 v2, vcc, s2, v2
	v_lshl_or_b32 v3, v50, 9, v48
	v_addc_co_u32_e32 v4, vcc, 0, v4, vcc
	v_add_co_u32_e32 v2, vcc, v2, v3
	v_addc_co_u32_e32 v3, vcc, 0, v4, vcc
	s_movk_i32 s8, 0x80
	s_waitcnt vmcnt(7)
	v_cmp_ne_u16_sdwa s[10:11], v34, v43 src0_sel:BYTE_0 src1_sel:DWORD
	s_waitcnt vmcnt(3)
	v_mad_i64_i32 v[4:5], s[2:3], v10, s13, v[2:3]
	s_waitcnt vmcnt(2)
	v_mad_i64_i32 v[6:7], s[2:3], v11, s13, v[2:3]
	;; [unrolled: 2-line block ×4, first 2 shown]
	global_load_dwordx4 v[14:17], v[4:5], off
	global_load_dwordx4 v[10:13], v[6:7], off
	s_nop 0
	global_load_dwordx4 v[6:9], v[8:9], off
	s_nop 0
	global_load_dwordx4 v[2:5], v[2:3], off
	s_load_dwordx4 s[40:43], s[4:5], 0x80
	s_load_dwordx2 s[44:45], s[4:5], 0x94
	s_waitcnt lgkmcnt(0)
	s_load_dword s12, s[40:41], 0x0
	s_and_saveexec_b64 s[2:3], s[10:11]
	s_cbranch_execz .LBB584_19
; %bb.14:
	v_cmp_ne_u16_sdwa s[10:11], v34, s8 src0_sel:BYTE_0 src1_sel:DWORD
	v_bfrev_b32_e32 v43, 1
	s_and_saveexec_b64 s[8:9], s[10:11]
	s_cbranch_execz .LBB584_18
; %bb.15:
	s_movk_i32 s10, 0x7f
	v_and_b32_e32 v42, 0x7f, v34
	v_cmp_ne_u32_e32 vcc, s10, v42
	v_mov_b32_e32 v43, 0x7f800001
	s_and_saveexec_b64 s[10:11], vcc
	s_cbranch_execz .LBB584_17
; %bb.16:
	v_and_b32_e32 v43, 7, v34
	v_ffbh_u32_e32 v44, v43
	v_min_u32_e32 v53, 32, v44
	v_subrev_u32_e32 v44, 28, v53
	v_lshlrev_b64 v[44:45], v44, v[34:35]
	v_lshrrev_b32_e32 v52, 3, v42
	v_sub_u32_e32 v45, 29, v53
	v_and_b32_e32 v44, 7, v44
	v_cmp_gt_u32_e32 vcc, 8, v42
	v_cndmask_b32_e32 v42, v52, v45, vcc
	v_cndmask_b32_e32 v43, v43, v44, vcc
	v_lshlrev_b32_e32 v44, 24, v34
	v_bfrev_b32_e32 v45, 60
	v_lshlrev_b32_e32 v43, 20, v43
	v_and_b32_e32 v44, 0x80000000, v44
	v_lshl_add_u32 v42, v42, 23, v45
	v_or3_b32 v43, v44, v42, v43
.LBB584_17:
	s_or_b64 exec, exec, s[10:11]
.LBB584_18:
	s_or_b64 exec, exec, s[8:9]
.LBB584_19:
	s_or_b64 exec, exec, s[2:3]
	v_lshrrev_b16_e32 v42, 8, v34
	v_cmp_ne_u16_e32 vcc, 0, v42
	v_mov_b32_e32 v44, 0
	v_mov_b32_e32 v45, 0
	s_and_saveexec_b64 s[2:3], vcc
	s_cbranch_execz .LBB584_25
; %bb.20:
	s_movk_i32 s8, 0x80
	v_cmp_ne_u16_e32 vcc, s8, v42
	v_bfrev_b32_e32 v45, 1
	s_and_saveexec_b64 s[8:9], vcc
	s_cbranch_execz .LBB584_24
; %bb.21:
	s_movk_i32 s10, 0x7f
	v_and_b32_e32 v52, 0x7f, v42
	v_cmp_ne_u32_e32 vcc, s10, v52
	v_mov_b32_e32 v45, 0x7f800001
	s_and_saveexec_b64 s[10:11], vcc
	s_cbranch_execz .LBB584_23
; %bb.22:
	v_and_b32_e32 v45, 7, v42
	v_ffbh_u32_e32 v54, v45
	v_min_u32_e32 v56, 32, v54
	v_subrev_u32_e32 v54, 28, v56
	v_lshlrev_b64 v[54:55], v54, v[42:43]
	v_lshrrev_b32_e32 v53, 3, v52
	v_sub_u32_e32 v42, 29, v56
	v_and_b32_e32 v54, 7, v54
	v_cmp_gt_u32_e32 vcc, 8, v52
	v_cndmask_b32_e32 v42, v53, v42, vcc
	v_cndmask_b32_e32 v45, v45, v54, vcc
	v_lshlrev_b32_e32 v52, 16, v34
	v_bfrev_b32_e32 v53, 60
	v_lshlrev_b32_e32 v45, 20, v45
	v_and_b32_e32 v52, 0x80000000, v52
	v_lshl_add_u32 v42, v42, 23, v53
	v_or3_b32 v45, v52, v42, v45
.LBB584_23:
	s_or_b64 exec, exec, s[10:11]
.LBB584_24:
	s_or_b64 exec, exec, s[8:9]
.LBB584_25:
	s_or_b64 exec, exec, s[2:3]
	s_movk_i32 s2, 0xff
	v_and_b32_sdwa v52, v34, s2 dst_sel:DWORD dst_unused:UNUSED_PAD src0_sel:WORD_1 src1_sel:DWORD
	v_lshrrev_b32_e32 v42, 16, v34
	v_cmp_ne_u16_e32 vcc, 0, v52
	s_and_saveexec_b64 s[2:3], vcc
	s_cbranch_execz .LBB584_31
; %bb.26:
	s_movk_i32 s8, 0x80
	v_cmp_ne_u16_e32 vcc, s8, v52
	v_bfrev_b32_e32 v44, 1
	s_and_saveexec_b64 s[8:9], vcc
	s_cbranch_execz .LBB584_30
; %bb.27:
	v_bfe_u32 v52, v34, 16, 7
	s_movk_i32 s10, 0x7f
	v_cmp_ne_u32_e32 vcc, s10, v52
	v_mov_b32_e32 v44, 0x7f800001
	s_and_saveexec_b64 s[10:11], vcc
	s_cbranch_execz .LBB584_29
; %bb.28:
	v_and_b32_e32 v44, 7, v42
	v_ffbh_u32_e32 v54, v44
	v_min_u32_e32 v56, 32, v54
	v_subrev_u32_e32 v54, 28, v56
	v_lshlrev_b64 v[54:55], v54, v[42:43]
	v_lshrrev_b32_e32 v53, 3, v52
	v_sub_u32_e32 v42, 29, v56
	v_and_b32_e32 v54, 7, v54
	v_cmp_gt_u32_e32 vcc, 8, v52
	v_mov_b32_e32 v52, 24
	v_cndmask_b32_e32 v42, v53, v42, vcc
	v_cndmask_b32_e32 v44, v44, v54, vcc
	v_lshlrev_b32_sdwa v52, v52, v34 dst_sel:DWORD dst_unused:UNUSED_PAD src0_sel:DWORD src1_sel:WORD_1
	v_bfrev_b32_e32 v53, 60
	v_lshlrev_b32_e32 v44, 20, v44
	v_and_b32_e32 v52, 0x80000000, v52
	v_lshl_add_u32 v42, v42, 23, v53
	v_or3_b32 v44, v52, v42, v44
.LBB584_29:
	s_or_b64 exec, exec, s[10:11]
.LBB584_30:
	s_or_b64 exec, exec, s[8:9]
.LBB584_31:
	s_or_b64 exec, exec, s[2:3]
	s_mov_b32 s2, 0xffffff
	v_cmp_lt_u32_e32 vcc, s2, v34
	v_mov_b32_e32 v53, 0
	v_mov_b32_e32 v54, 0
	s_and_saveexec_b64 s[2:3], vcc
	s_cbranch_execz .LBB584_37
; %bb.32:
	v_lshrrev_b32_e32 v42, 24, v34
	s_movk_i32 s8, 0x80
	v_cmp_ne_u32_e32 vcc, s8, v42
	v_bfrev_b32_e32 v54, 1
	s_and_saveexec_b64 s[8:9], vcc
	s_cbranch_execz .LBB584_36
; %bb.33:
	v_bfe_u32 v34, v34, 24, 7
	s_movk_i32 s10, 0x7f
	v_cmp_ne_u32_e32 vcc, s10, v34
	v_mov_b32_e32 v54, 0x7f800001
	s_and_saveexec_b64 s[10:11], vcc
	s_cbranch_execz .LBB584_35
; %bb.34:
	v_and_b32_e32 v52, 7, v42
	v_ffbh_u32_e32 v54, v52
	v_min_u32_e32 v57, 32, v54
	v_subrev_u32_e32 v54, 28, v57
	v_lshlrev_b64 v[54:55], v54, v[42:43]
	v_lshrrev_b32_e32 v56, 3, v34
	v_sub_u32_e32 v55, 29, v57
	v_and_b32_e32 v54, 7, v54
	v_cmp_gt_u32_e32 vcc, 8, v34
	v_cndmask_b32_e32 v34, v56, v55, vcc
	v_cndmask_b32_e32 v52, v52, v54, vcc
	v_lshlrev_b32_e32 v42, 24, v42
	v_bfrev_b32_e32 v54, 60
	v_lshlrev_b32_e32 v52, 20, v52
	v_and_b32_e32 v42, 0x80000000, v42
	v_lshl_add_u32 v34, v34, 23, v54
	v_or3_b32 v54, v42, v34, v52
.LBB584_35:
	s_or_b64 exec, exec, s[10:11]
.LBB584_36:
	s_or_b64 exec, exec, s[8:9]
.LBB584_37:
	s_or_b64 exec, exec, s[2:3]
	v_cmp_ne_u16_sdwa s[8:9], v35, v53 src0_sel:BYTE_0 src1_sel:DWORD
	s_and_saveexec_b64 s[2:3], s[8:9]
	s_cbranch_execz .LBB584_43
; %bb.38:
	s_movk_i32 s8, 0x80
	v_cmp_ne_u16_sdwa s[10:11], v35, s8 src0_sel:BYTE_0 src1_sel:DWORD
	v_bfrev_b32_e32 v53, 1
	s_and_saveexec_b64 s[8:9], s[10:11]
	s_cbranch_execz .LBB584_42
; %bb.39:
	s_movk_i32 s10, 0x7f
	v_and_b32_e32 v34, 0x7f, v35
	v_cmp_ne_u32_e32 vcc, s10, v34
	v_mov_b32_e32 v53, 0x7f800001
	s_and_saveexec_b64 s[10:11], vcc
	s_cbranch_execz .LBB584_41
; %bb.40:
	v_and_b32_e32 v55, 7, v35
	v_ffbh_u32_e32 v52, v55
	v_min_u32_e32 v57, 32, v52
	v_mov_b32_e32 v42, v35
	v_subrev_u32_e32 v52, 28, v57
	v_lshlrev_b64 v[52:53], v52, v[42:43]
	v_lshrrev_b32_e32 v56, 3, v34
	v_sub_u32_e32 v42, 29, v57
	v_and_b32_e32 v52, 7, v52
	v_cmp_gt_u32_e32 vcc, 8, v34
	v_cndmask_b32_e32 v34, v56, v42, vcc
	v_cndmask_b32_e32 v42, v55, v52, vcc
	v_lshlrev_b32_e32 v52, 24, v35
	v_bfrev_b32_e32 v53, 60
	v_lshlrev_b32_e32 v42, 20, v42
	v_and_b32_e32 v52, 0x80000000, v52
	v_lshl_add_u32 v34, v34, 23, v53
	v_or3_b32 v53, v52, v34, v42
.LBB584_41:
	s_or_b64 exec, exec, s[10:11]
.LBB584_42:
	s_or_b64 exec, exec, s[8:9]
.LBB584_43:
	s_or_b64 exec, exec, s[2:3]
	v_lshrrev_b16_e32 v34, 8, v35
	v_cmp_ne_u16_e32 vcc, 0, v34
	v_mov_b32_e32 v42, 0
	v_mov_b32_e32 v55, 0
	s_and_saveexec_b64 s[2:3], vcc
	s_cbranch_execz .LBB584_49
; %bb.44:
	s_movk_i32 s8, 0x80
	v_cmp_ne_u16_e32 vcc, s8, v34
	v_bfrev_b32_e32 v55, 1
	s_and_saveexec_b64 s[8:9], vcc
	s_cbranch_execz .LBB584_48
; %bb.45:
	s_movk_i32 s10, 0x7f
	v_and_b32_e32 v52, 0x7f, v34
	v_cmp_ne_u32_e32 vcc, s10, v52
	v_mov_b32_e32 v55, 0x7f800001
	s_and_saveexec_b64 s[10:11], vcc
	s_cbranch_execz .LBB584_47
; %bb.46:
	v_and_b32_e32 v55, 7, v34
	v_ffbh_u32_e32 v56, v55
	v_min_u32_e32 v59, 32, v56
	v_subrev_u32_e32 v56, 28, v59
	v_lshlrev_b64 v[56:57], v56, v[34:35]
	v_lshrrev_b32_e32 v58, 3, v52
	v_sub_u32_e32 v34, 29, v59
	v_and_b32_e32 v56, 7, v56
	v_cmp_gt_u32_e32 vcc, 8, v52
	v_cndmask_b32_e32 v34, v58, v34, vcc
	v_cndmask_b32_e32 v52, v55, v56, vcc
	v_lshlrev_b32_e32 v55, 16, v35
	v_bfrev_b32_e32 v56, 60
	v_lshlrev_b32_e32 v52, 20, v52
	v_and_b32_e32 v55, 0x80000000, v55
	v_lshl_add_u32 v34, v34, 23, v56
	v_or3_b32 v55, v55, v34, v52
.LBB584_47:
	s_or_b64 exec, exec, s[10:11]
.LBB584_48:
	s_or_b64 exec, exec, s[8:9]
.LBB584_49:
	s_or_b64 exec, exec, s[2:3]
	s_movk_i32 s2, 0xff
	v_and_b32_sdwa v52, v35, s2 dst_sel:DWORD dst_unused:UNUSED_PAD src0_sel:WORD_1 src1_sel:DWORD
	v_lshrrev_b32_e32 v34, 16, v35
	v_cmp_ne_u16_e32 vcc, 0, v52
	s_and_saveexec_b64 s[2:3], vcc
	s_cbranch_execz .LBB584_55
; %bb.50:
	s_movk_i32 s8, 0x80
	v_cmp_ne_u16_e32 vcc, s8, v52
	v_bfrev_b32_e32 v42, 1
	s_and_saveexec_b64 s[8:9], vcc
	s_cbranch_execz .LBB584_54
; %bb.51:
	v_bfe_u32 v52, v35, 16, 7
	s_movk_i32 s10, 0x7f
	v_cmp_ne_u32_e32 vcc, s10, v52
	v_mov_b32_e32 v42, 0x7f800001
	s_and_saveexec_b64 s[10:11], vcc
	s_cbranch_execz .LBB584_53
; %bb.52:
	v_and_b32_e32 v42, 7, v34
	v_ffbh_u32_e32 v56, v42
	v_min_u32_e32 v59, 32, v56
	v_subrev_u32_e32 v56, 28, v59
	v_lshlrev_b64 v[56:57], v56, v[34:35]
	v_lshrrev_b32_e32 v58, 3, v52
	v_sub_u32_e32 v34, 29, v59
	v_and_b32_e32 v56, 7, v56
	v_cmp_gt_u32_e32 vcc, 8, v52
	v_mov_b32_e32 v52, 24
	v_cndmask_b32_e32 v34, v58, v34, vcc
	v_cndmask_b32_e32 v42, v42, v56, vcc
	v_lshlrev_b32_sdwa v52, v52, v35 dst_sel:DWORD dst_unused:UNUSED_PAD src0_sel:DWORD src1_sel:WORD_1
	v_bfrev_b32_e32 v56, 60
	v_lshlrev_b32_e32 v42, 20, v42
	v_and_b32_e32 v52, 0x80000000, v52
	v_lshl_add_u32 v34, v34, 23, v56
	v_or3_b32 v42, v52, v34, v42
.LBB584_53:
	s_or_b64 exec, exec, s[10:11]
.LBB584_54:
	s_or_b64 exec, exec, s[8:9]
.LBB584_55:
	s_or_b64 exec, exec, s[2:3]
	s_mov_b32 s2, 0xffffff
	v_cmp_lt_u32_e32 vcc, s2, v35
	v_mov_b32_e32 v52, 0
	v_mov_b32_e32 v56, 0
	s_and_saveexec_b64 s[2:3], vcc
	s_cbranch_execz .LBB584_61
; %bb.56:
	v_lshrrev_b32_e32 v34, 24, v35
	s_movk_i32 s8, 0x80
	v_cmp_ne_u32_e32 vcc, s8, v34
	v_bfrev_b32_e32 v56, 1
	s_and_saveexec_b64 s[8:9], vcc
	s_cbranch_execz .LBB584_60
; %bb.57:
	v_bfe_u32 v35, v35, 24, 7
	s_movk_i32 s10, 0x7f
	v_cmp_ne_u32_e32 vcc, s10, v35
	v_mov_b32_e32 v56, 0x7f800001
	s_and_saveexec_b64 s[10:11], vcc
	s_cbranch_execz .LBB584_59
; %bb.58:
	v_and_b32_e32 v58, 7, v34
	v_ffbh_u32_e32 v56, v58
	v_min_u32_e32 v60, 32, v56
	v_subrev_u32_e32 v56, 28, v60
	v_lshlrev_b64 v[56:57], v56, v[34:35]
	v_lshrrev_b32_e32 v59, 3, v35
	v_sub_u32_e32 v57, 29, v60
	v_and_b32_e32 v56, 7, v56
	v_cmp_gt_u32_e32 vcc, 8, v35
	v_cndmask_b32_e32 v35, v59, v57, vcc
	v_cndmask_b32_e32 v56, v58, v56, vcc
	v_lshlrev_b32_e32 v34, 24, v34
	v_bfrev_b32_e32 v57, 60
	v_lshlrev_b32_e32 v56, 20, v56
	v_and_b32_e32 v34, 0x80000000, v34
	v_lshl_add_u32 v35, v35, 23, v57
	v_or3_b32 v56, v34, v35, v56
.LBB584_59:
	s_or_b64 exec, exec, s[10:11]
.LBB584_60:
	s_or_b64 exec, exec, s[8:9]
.LBB584_61:
	s_or_b64 exec, exec, s[2:3]
	v_cvt_pkrtz_f16_f32 v34, v43, v45
	v_cvt_pkrtz_f16_f32 v35, v44, v54
	v_cmp_ne_u16_sdwa s[8:9], v36, v52 src0_sel:BYTE_0 src1_sel:DWORD
	s_nop 0
	v_mfma_f32_16x16x16f16 v[58:61], v[34:35], v[26:27], 0
	v_cvt_pkrtz_f16_f32 v34, v53, v55
	v_cvt_pkrtz_f16_f32 v35, v42, v56
	s_nop 1
	v_mfma_f32_16x16x16f16 v[42:45], v[34:35], v[28:29], v[58:61]
	s_and_saveexec_b64 s[2:3], s[8:9]
	s_cbranch_execz .LBB584_67
; %bb.62:
	s_movk_i32 s8, 0x80
	v_cmp_ne_u16_sdwa s[10:11], v36, s8 src0_sel:BYTE_0 src1_sel:DWORD
	v_bfrev_b32_e32 v52, 1
	s_and_saveexec_b64 s[8:9], s[10:11]
	s_cbranch_execz .LBB584_66
; %bb.63:
	s_movk_i32 s10, 0x7f
	v_and_b32_e32 v34, 0x7f, v36
	v_cmp_ne_u32_e32 vcc, s10, v34
	v_mov_b32_e32 v52, 0x7f800001
	s_and_saveexec_b64 s[10:11], vcc
	s_cbranch_execz .LBB584_65
; %bb.64:
	v_and_b32_e32 v35, 7, v36
	v_ffbh_u32_e32 v52, v35
	v_min_u32_e32 v55, 32, v52
	v_subrev_u32_e32 v52, 28, v55
	v_lshlrev_b64 v[52:53], v52, v[36:37]
	v_lshrrev_b32_e32 v54, 3, v34
	v_sub_u32_e32 v53, 29, v55
	v_and_b32_e32 v52, 7, v52
	v_cmp_gt_u32_e32 vcc, 8, v34
	v_cndmask_b32_e32 v34, v54, v53, vcc
	v_cndmask_b32_e32 v35, v35, v52, vcc
	v_lshlrev_b32_e32 v52, 24, v36
	v_bfrev_b32_e32 v53, 60
	v_lshlrev_b32_e32 v35, 20, v35
	v_and_b32_e32 v52, 0x80000000, v52
	v_lshl_add_u32 v34, v34, 23, v53
	v_or3_b32 v52, v52, v34, v35
.LBB584_65:
	s_or_b64 exec, exec, s[10:11]
.LBB584_66:
	s_or_b64 exec, exec, s[8:9]
.LBB584_67:
	s_or_b64 exec, exec, s[2:3]
	v_lshrrev_b16_e32 v34, 8, v36
	v_cmp_ne_u16_e32 vcc, 0, v34
	v_mov_b32_e32 v35, 0
	v_mov_b32_e32 v54, 0
	s_and_saveexec_b64 s[2:3], vcc
	s_cbranch_execz .LBB584_73
; %bb.68:
	s_movk_i32 s8, 0x80
	v_cmp_ne_u16_e32 vcc, s8, v34
	v_bfrev_b32_e32 v54, 1
	s_and_saveexec_b64 s[8:9], vcc
	s_cbranch_execz .LBB584_72
; %bb.69:
	s_movk_i32 s10, 0x7f
	v_and_b32_e32 v53, 0x7f, v34
	v_cmp_ne_u32_e32 vcc, s10, v53
	v_mov_b32_e32 v54, 0x7f800001
	s_and_saveexec_b64 s[10:11], vcc
	s_cbranch_execz .LBB584_71
; %bb.70:
	v_and_b32_e32 v56, 7, v34
	v_ffbh_u32_e32 v54, v56
	v_min_u32_e32 v58, 32, v54
	v_subrev_u32_e32 v54, 28, v58
	v_lshlrev_b64 v[54:55], v54, v[34:35]
	v_lshrrev_b32_e32 v57, 3, v53
	v_sub_u32_e32 v34, 29, v58
	v_and_b32_e32 v54, 7, v54
	v_cmp_gt_u32_e32 vcc, 8, v53
	v_cndmask_b32_e32 v34, v57, v34, vcc
	v_cndmask_b32_e32 v53, v56, v54, vcc
	v_lshlrev_b32_e32 v54, 16, v36
	v_bfrev_b32_e32 v55, 60
	v_lshlrev_b32_e32 v53, 20, v53
	v_and_b32_e32 v54, 0x80000000, v54
	v_lshl_add_u32 v34, v34, 23, v55
	v_or3_b32 v54, v54, v34, v53
.LBB584_71:
	s_or_b64 exec, exec, s[10:11]
.LBB584_72:
	s_or_b64 exec, exec, s[8:9]
.LBB584_73:
	s_or_b64 exec, exec, s[2:3]
	s_movk_i32 s2, 0xff
	v_and_b32_sdwa v53, v36, s2 dst_sel:DWORD dst_unused:UNUSED_PAD src0_sel:WORD_1 src1_sel:DWORD
	v_lshrrev_b32_e32 v34, 16, v36
	v_cmp_ne_u16_e32 vcc, 0, v53
	s_and_saveexec_b64 s[2:3], vcc
	s_cbranch_execz .LBB584_79
; %bb.74:
	s_movk_i32 s8, 0x80
	v_cmp_ne_u16_e32 vcc, s8, v53
	v_bfrev_b32_e32 v35, 1
	s_and_saveexec_b64 s[8:9], vcc
	s_cbranch_execz .LBB584_78
; %bb.75:
	v_bfe_u32 v53, v36, 16, 7
	s_movk_i32 s10, 0x7f
	v_cmp_ne_u32_e32 vcc, s10, v53
	v_mov_b32_e32 v35, 0x7f800001
	s_and_saveexec_b64 s[10:11], vcc
	s_cbranch_execz .LBB584_77
; %bb.76:
	v_and_b32_e32 v55, 7, v34
	v_ffbh_u32_e32 v35, v55
	v_min_u32_e32 v57, 32, v35
	v_subrev_u32_e32 v35, 28, v57
	v_lshlrev_b64 v[34:35], v35, v[34:35]
	v_lshrrev_b32_e32 v56, 3, v53
	v_sub_u32_e32 v35, 29, v57
	v_and_b32_e32 v34, 7, v34
	v_cmp_gt_u32_e32 vcc, 8, v53
	v_mov_b32_e32 v53, 24
	v_cndmask_b32_e32 v35, v56, v35, vcc
	v_cndmask_b32_e32 v34, v55, v34, vcc
	v_lshlrev_b32_sdwa v53, v53, v36 dst_sel:DWORD dst_unused:UNUSED_PAD src0_sel:DWORD src1_sel:WORD_1
	v_bfrev_b32_e32 v55, 60
	v_lshlrev_b32_e32 v34, 20, v34
	v_and_b32_e32 v53, 0x80000000, v53
	v_lshl_add_u32 v35, v35, 23, v55
	v_or3_b32 v35, v53, v35, v34
.LBB584_77:
	s_or_b64 exec, exec, s[10:11]
.LBB584_78:
	s_or_b64 exec, exec, s[8:9]
.LBB584_79:
	s_or_b64 exec, exec, s[2:3]
	s_mov_b32 s2, 0xffffff
	v_cmp_lt_u32_e32 vcc, s2, v36
	v_mov_b32_e32 v55, 0
	v_mov_b32_e32 v56, 0
	s_and_saveexec_b64 s[2:3], vcc
	s_cbranch_execz .LBB584_85
; %bb.80:
	v_lshrrev_b32_e32 v34, 24, v36
	s_movk_i32 s8, 0x80
	v_cmp_ne_u32_e32 vcc, s8, v34
	v_bfrev_b32_e32 v56, 1
	s_and_saveexec_b64 s[8:9], vcc
	s_cbranch_execz .LBB584_84
; %bb.81:
	v_bfe_u32 v36, v36, 24, 7
	s_movk_i32 s10, 0x7f
	v_cmp_ne_u32_e32 vcc, s10, v36
	v_mov_b32_e32 v56, 0x7f800001
	s_and_saveexec_b64 s[10:11], vcc
	s_cbranch_execz .LBB584_83
; %bb.82:
	v_and_b32_e32 v53, 7, v34
	v_ffbh_u32_e32 v56, v53
	v_min_u32_e32 v59, 32, v56
	v_subrev_u32_e32 v56, 28, v59
	v_lshlrev_b64 v[56:57], v56, v[34:35]
	v_lshrrev_b32_e32 v58, 3, v36
	v_sub_u32_e32 v57, 29, v59
	v_and_b32_e32 v56, 7, v56
	v_cmp_gt_u32_e32 vcc, 8, v36
	v_cndmask_b32_e32 v36, v58, v57, vcc
	v_cndmask_b32_e32 v53, v53, v56, vcc
	v_lshlrev_b32_e32 v34, 24, v34
	v_bfrev_b32_e32 v56, 60
	v_lshlrev_b32_e32 v53, 20, v53
	v_and_b32_e32 v34, 0x80000000, v34
	v_lshl_add_u32 v36, v36, 23, v56
	v_or3_b32 v56, v34, v36, v53
.LBB584_83:
	s_or_b64 exec, exec, s[10:11]
.LBB584_84:
	s_or_b64 exec, exec, s[8:9]
.LBB584_85:
	s_or_b64 exec, exec, s[2:3]
	v_cmp_ne_u16_sdwa s[8:9], v37, v55 src0_sel:BYTE_0 src1_sel:DWORD
	s_and_saveexec_b64 s[2:3], s[8:9]
	s_cbranch_execz .LBB584_91
; %bb.86:
	s_movk_i32 s8, 0x80
	v_cmp_ne_u16_sdwa s[10:11], v37, s8 src0_sel:BYTE_0 src1_sel:DWORD
	v_bfrev_b32_e32 v55, 1
	s_and_saveexec_b64 s[8:9], s[10:11]
	s_cbranch_execz .LBB584_90
; %bb.87:
	s_movk_i32 s10, 0x7f
	v_and_b32_e32 v34, 0x7f, v37
	v_cmp_ne_u32_e32 vcc, s10, v34
	v_mov_b32_e32 v55, 0x7f800001
	s_and_saveexec_b64 s[10:11], vcc
	s_cbranch_execz .LBB584_89
; %bb.88:
	v_and_b32_e32 v53, 7, v37
	v_ffbh_u32_e32 v57, v53
	v_min_u32_e32 v57, 32, v57
	v_mov_b32_e32 v36, v37
	v_subrev_u32_e32 v58, 28, v57
	v_lshlrev_b64 v[58:59], v58, v[36:37]
	v_lshrrev_b32_e32 v55, 3, v34
	v_sub_u32_e32 v36, 29, v57
	v_and_b32_e32 v57, 7, v58
	v_cmp_gt_u32_e32 vcc, 8, v34
	v_cndmask_b32_e32 v34, v55, v36, vcc
	v_cndmask_b32_e32 v36, v53, v57, vcc
	v_lshlrev_b32_e32 v53, 24, v37
	v_bfrev_b32_e32 v55, 60
	v_lshlrev_b32_e32 v36, 20, v36
	v_and_b32_e32 v53, 0x80000000, v53
	v_lshl_add_u32 v34, v34, 23, v55
	v_or3_b32 v55, v53, v34, v36
.LBB584_89:
	s_or_b64 exec, exec, s[10:11]
.LBB584_90:
	s_or_b64 exec, exec, s[8:9]
.LBB584_91:
	s_or_b64 exec, exec, s[2:3]
	v_lshrrev_b16_e32 v34, 8, v37
	v_cmp_ne_u16_e32 vcc, 0, v34
	v_mov_b32_e32 v36, 0
	v_mov_b32_e32 v57, 0
	s_and_saveexec_b64 s[2:3], vcc
	s_cbranch_execz .LBB584_97
; %bb.92:
	s_movk_i32 s8, 0x80
	v_cmp_ne_u16_e32 vcc, s8, v34
	v_bfrev_b32_e32 v57, 1
	s_and_saveexec_b64 s[8:9], vcc
	s_cbranch_execz .LBB584_96
; %bb.93:
	s_movk_i32 s10, 0x7f
	v_and_b32_e32 v53, 0x7f, v34
	v_cmp_ne_u32_e32 vcc, s10, v53
	v_mov_b32_e32 v57, 0x7f800001
	s_and_saveexec_b64 s[10:11], vcc
	s_cbranch_execz .LBB584_95
; %bb.94:
	v_and_b32_e32 v57, 7, v34
	v_ffbh_u32_e32 v58, v57
	v_min_u32_e32 v61, 32, v58
	v_subrev_u32_e32 v58, 28, v61
	v_lshlrev_b64 v[58:59], v58, v[34:35]
	v_lshrrev_b32_e32 v60, 3, v53
	v_sub_u32_e32 v34, 29, v61
	v_and_b32_e32 v58, 7, v58
	v_cmp_gt_u32_e32 vcc, 8, v53
	v_cndmask_b32_e32 v34, v60, v34, vcc
	v_cndmask_b32_e32 v53, v57, v58, vcc
	v_lshlrev_b32_e32 v57, 16, v37
	v_bfrev_b32_e32 v58, 60
	v_lshlrev_b32_e32 v53, 20, v53
	v_and_b32_e32 v57, 0x80000000, v57
	v_lshl_add_u32 v34, v34, 23, v58
	v_or3_b32 v57, v57, v34, v53
.LBB584_95:
	s_or_b64 exec, exec, s[10:11]
.LBB584_96:
	s_or_b64 exec, exec, s[8:9]
.LBB584_97:
	s_or_b64 exec, exec, s[2:3]
	s_movk_i32 s2, 0xff
	v_and_b32_sdwa v53, v37, s2 dst_sel:DWORD dst_unused:UNUSED_PAD src0_sel:WORD_1 src1_sel:DWORD
	v_lshrrev_b32_e32 v34, 16, v37
	v_cmp_ne_u16_e32 vcc, 0, v53
	s_and_saveexec_b64 s[2:3], vcc
	s_cbranch_execz .LBB584_103
; %bb.98:
	s_movk_i32 s8, 0x80
	v_cmp_ne_u16_e32 vcc, s8, v53
	v_bfrev_b32_e32 v36, 1
	s_and_saveexec_b64 s[8:9], vcc
	s_cbranch_execz .LBB584_102
; %bb.99:
	v_bfe_u32 v53, v37, 16, 7
	s_movk_i32 s10, 0x7f
	v_cmp_ne_u32_e32 vcc, s10, v53
	v_mov_b32_e32 v36, 0x7f800001
	s_and_saveexec_b64 s[10:11], vcc
	s_cbranch_execz .LBB584_101
; %bb.100:
	v_and_b32_e32 v36, 7, v34
	v_ffbh_u32_e32 v58, v36
	v_min_u32_e32 v61, 32, v58
	v_subrev_u32_e32 v58, 28, v61
	v_lshlrev_b64 v[58:59], v58, v[34:35]
	v_lshrrev_b32_e32 v60, 3, v53
	v_sub_u32_e32 v34, 29, v61
	v_and_b32_e32 v58, 7, v58
	v_cmp_gt_u32_e32 vcc, 8, v53
	v_mov_b32_e32 v53, 24
	v_cndmask_b32_e32 v34, v60, v34, vcc
	v_cndmask_b32_e32 v36, v36, v58, vcc
	v_lshlrev_b32_sdwa v53, v53, v37 dst_sel:DWORD dst_unused:UNUSED_PAD src0_sel:DWORD src1_sel:WORD_1
	v_bfrev_b32_e32 v58, 60
	v_lshlrev_b32_e32 v36, 20, v36
	v_and_b32_e32 v53, 0x80000000, v53
	v_lshl_add_u32 v34, v34, 23, v58
	v_or3_b32 v36, v53, v34, v36
.LBB584_101:
	s_or_b64 exec, exec, s[10:11]
.LBB584_102:
	s_or_b64 exec, exec, s[8:9]
.LBB584_103:
	s_or_b64 exec, exec, s[2:3]
	s_mov_b32 s2, 0xffffff
	v_cmp_lt_u32_e32 vcc, s2, v37
	v_mov_b32_e32 v53, 0
	v_mov_b32_e32 v58, 0
	s_and_saveexec_b64 s[2:3], vcc
	s_cbranch_execz .LBB584_109
; %bb.104:
	v_lshrrev_b32_e32 v34, 24, v37
	s_movk_i32 s8, 0x80
	v_cmp_ne_u32_e32 vcc, s8, v34
	v_bfrev_b32_e32 v58, 1
	s_and_saveexec_b64 s[8:9], vcc
	s_cbranch_execz .LBB584_108
; %bb.105:
	v_bfe_u32 v37, v37, 24, 7
	s_movk_i32 s10, 0x7f
	v_cmp_ne_u32_e32 vcc, s10, v37
	v_mov_b32_e32 v58, 0x7f800001
	s_and_saveexec_b64 s[10:11], vcc
	s_cbranch_execz .LBB584_107
; %bb.106:
	v_and_b32_e32 v60, 7, v34
	v_ffbh_u32_e32 v58, v60
	v_min_u32_e32 v62, 32, v58
	v_subrev_u32_e32 v58, 28, v62
	v_lshlrev_b64 v[58:59], v58, v[34:35]
	v_lshrrev_b32_e32 v61, 3, v37
	v_sub_u32_e32 v59, 29, v62
	v_and_b32_e32 v58, 7, v58
	v_cmp_gt_u32_e32 vcc, 8, v37
	v_cndmask_b32_e32 v37, v61, v59, vcc
	v_cndmask_b32_e32 v58, v60, v58, vcc
	v_lshlrev_b32_e32 v34, 24, v34
	v_bfrev_b32_e32 v59, 60
	v_lshlrev_b32_e32 v58, 20, v58
	v_and_b32_e32 v34, 0x80000000, v34
	v_lshl_add_u32 v37, v37, 23, v59
	v_or3_b32 v58, v34, v37, v58
.LBB584_107:
	s_or_b64 exec, exec, s[10:11]
.LBB584_108:
	s_or_b64 exec, exec, s[8:9]
.LBB584_109:
	s_or_b64 exec, exec, s[2:3]
	v_cvt_pkrtz_f16_f32 v34, v52, v54
	v_cvt_pkrtz_f16_f32 v35, v35, v56
	v_cmp_ne_u16_sdwa s[8:9], v38, v53 src0_sel:BYTE_0 src1_sel:DWORD
	s_nop 0
	v_mfma_f32_16x16x16f16 v[42:45], v[34:35], v[18:19], v[42:45]
	v_cvt_pkrtz_f16_f32 v34, v55, v57
	v_cvt_pkrtz_f16_f32 v35, v36, v58
	s_nop 1
	v_mfma_f32_16x16x16f16 v[34:37], v[34:35], v[20:21], v[42:45]
	s_and_saveexec_b64 s[2:3], s[8:9]
	s_cbranch_execz .LBB584_115
; %bb.110:
	s_movk_i32 s8, 0x80
	v_cmp_ne_u16_sdwa s[10:11], v38, s8 src0_sel:BYTE_0 src1_sel:DWORD
	v_bfrev_b32_e32 v53, 1
	s_and_saveexec_b64 s[8:9], s[10:11]
	s_cbranch_execz .LBB584_114
; %bb.111:
	s_movk_i32 s10, 0x7f
	v_and_b32_e32 v42, 0x7f, v38
	v_cmp_ne_u32_e32 vcc, s10, v42
	v_mov_b32_e32 v53, 0x7f800001
	s_and_saveexec_b64 s[10:11], vcc
	s_cbranch_execz .LBB584_113
; %bb.112:
	v_and_b32_e32 v43, 7, v38
	v_ffbh_u32_e32 v44, v43
	v_min_u32_e32 v53, 32, v44
	v_subrev_u32_e32 v44, 28, v53
	v_lshlrev_b64 v[44:45], v44, v[38:39]
	v_lshrrev_b32_e32 v52, 3, v42
	v_sub_u32_e32 v45, 29, v53
	v_and_b32_e32 v44, 7, v44
	v_cmp_gt_u32_e32 vcc, 8, v42
	v_cndmask_b32_e32 v42, v52, v45, vcc
	v_cndmask_b32_e32 v43, v43, v44, vcc
	v_lshlrev_b32_e32 v44, 24, v38
	v_bfrev_b32_e32 v45, 60
	v_lshlrev_b32_e32 v43, 20, v43
	v_and_b32_e32 v44, 0x80000000, v44
	v_lshl_add_u32 v42, v42, 23, v45
	v_or3_b32 v53, v44, v42, v43
.LBB584_113:
	s_or_b64 exec, exec, s[10:11]
.LBB584_114:
	s_or_b64 exec, exec, s[8:9]
.LBB584_115:
	s_or_b64 exec, exec, s[2:3]
	s_nop 3
	v_lshrrev_b16_e32 v42, 8, v38
	v_cmp_ne_u16_e32 vcc, 0, v42
	v_mov_b32_e32 v43, 0
	v_mov_b32_e32 v44, 0
	s_and_saveexec_b64 s[2:3], vcc
	s_cbranch_execz .LBB584_121
; %bb.116:
	s_movk_i32 s8, 0x80
	v_cmp_ne_u16_e32 vcc, s8, v42
	v_bfrev_b32_e32 v44, 1
	s_and_saveexec_b64 s[8:9], vcc
	s_cbranch_execz .LBB584_120
; %bb.117:
	s_movk_i32 s10, 0x7f
	v_and_b32_e32 v45, 0x7f, v42
	v_cmp_ne_u32_e32 vcc, s10, v45
	v_mov_b32_e32 v44, 0x7f800001
	s_and_saveexec_b64 s[10:11], vcc
	s_cbranch_execz .LBB584_119
; %bb.118:
	v_and_b32_e32 v44, 7, v42
	v_ffbh_u32_e32 v54, v44
	v_min_u32_e32 v56, 32, v54
	v_subrev_u32_e32 v54, 28, v56
	v_lshlrev_b64 v[54:55], v54, v[42:43]
	v_lshrrev_b32_e32 v52, 3, v45
	v_sub_u32_e32 v42, 29, v56
	v_and_b32_e32 v54, 7, v54
	v_cmp_gt_u32_e32 vcc, 8, v45
	v_cndmask_b32_e32 v42, v52, v42, vcc
	v_cndmask_b32_e32 v44, v44, v54, vcc
	v_lshlrev_b32_e32 v45, 16, v38
	v_bfrev_b32_e32 v52, 60
	v_lshlrev_b32_e32 v44, 20, v44
	v_and_b32_e32 v45, 0x80000000, v45
	v_lshl_add_u32 v42, v42, 23, v52
	v_or3_b32 v44, v45, v42, v44
.LBB584_119:
	s_or_b64 exec, exec, s[10:11]
.LBB584_120:
	s_or_b64 exec, exec, s[8:9]
.LBB584_121:
	s_or_b64 exec, exec, s[2:3]
	s_movk_i32 s2, 0xff
	v_and_b32_sdwa v45, v38, s2 dst_sel:DWORD dst_unused:UNUSED_PAD src0_sel:WORD_1 src1_sel:DWORD
	v_lshrrev_b32_e32 v42, 16, v38
	v_cmp_ne_u16_e32 vcc, 0, v45
	s_and_saveexec_b64 s[2:3], vcc
	s_cbranch_execz .LBB584_127
; %bb.122:
	s_movk_i32 s8, 0x80
	v_cmp_ne_u16_e32 vcc, s8, v45
	v_bfrev_b32_e32 v43, 1
	s_and_saveexec_b64 s[8:9], vcc
	s_cbranch_execz .LBB584_126
; %bb.123:
	v_bfe_u32 v45, v38, 16, 7
	s_movk_i32 s10, 0x7f
	v_cmp_ne_u32_e32 vcc, s10, v45
	v_mov_b32_e32 v43, 0x7f800001
	s_and_saveexec_b64 s[10:11], vcc
	s_cbranch_execz .LBB584_125
; %bb.124:
	v_and_b32_e32 v52, 7, v42
	v_ffbh_u32_e32 v43, v52
	v_min_u32_e32 v55, 32, v43
	v_subrev_u32_e32 v43, 28, v55
	v_lshlrev_b64 v[42:43], v43, v[42:43]
	v_lshrrev_b32_e32 v54, 3, v45
	v_sub_u32_e32 v43, 29, v55
	v_and_b32_e32 v42, 7, v42
	v_cmp_gt_u32_e32 vcc, 8, v45
	v_mov_b32_e32 v45, 24
	v_cndmask_b32_e32 v43, v54, v43, vcc
	v_cndmask_b32_e32 v42, v52, v42, vcc
	v_lshlrev_b32_sdwa v45, v45, v38 dst_sel:DWORD dst_unused:UNUSED_PAD src0_sel:DWORD src1_sel:WORD_1
	v_bfrev_b32_e32 v52, 60
	v_lshlrev_b32_e32 v42, 20, v42
	v_and_b32_e32 v45, 0x80000000, v45
	v_lshl_add_u32 v43, v43, 23, v52
	v_or3_b32 v43, v45, v43, v42
.LBB584_125:
	s_or_b64 exec, exec, s[10:11]
.LBB584_126:
	s_or_b64 exec, exec, s[8:9]
.LBB584_127:
	s_or_b64 exec, exec, s[2:3]
	s_mov_b32 s2, 0xffffff
	v_cmp_lt_u32_e32 vcc, s2, v38
	v_mov_b32_e32 v45, 0
	v_mov_b32_e32 v54, 0
	s_and_saveexec_b64 s[2:3], vcc
	s_cbranch_execz .LBB584_133
; %bb.128:
	v_lshrrev_b32_e32 v42, 24, v38
	s_movk_i32 s8, 0x80
	v_cmp_ne_u32_e32 vcc, s8, v42
	v_bfrev_b32_e32 v54, 1
	s_and_saveexec_b64 s[8:9], vcc
	s_cbranch_execz .LBB584_132
; %bb.129:
	v_bfe_u32 v38, v38, 24, 7
	s_movk_i32 s10, 0x7f
	v_cmp_ne_u32_e32 vcc, s10, v38
	v_mov_b32_e32 v54, 0x7f800001
	s_and_saveexec_b64 s[10:11], vcc
	s_cbranch_execz .LBB584_131
; %bb.130:
	v_and_b32_e32 v52, 7, v42
	v_ffbh_u32_e32 v54, v52
	v_min_u32_e32 v57, 32, v54
	v_subrev_u32_e32 v54, 28, v57
	v_lshlrev_b64 v[54:55], v54, v[42:43]
	v_lshrrev_b32_e32 v56, 3, v38
	v_sub_u32_e32 v55, 29, v57
	v_and_b32_e32 v54, 7, v54
	v_cmp_gt_u32_e32 vcc, 8, v38
	v_cndmask_b32_e32 v38, v56, v55, vcc
	v_cndmask_b32_e32 v52, v52, v54, vcc
	v_lshlrev_b32_e32 v42, 24, v42
	v_bfrev_b32_e32 v54, 60
	v_lshlrev_b32_e32 v52, 20, v52
	v_and_b32_e32 v42, 0x80000000, v42
	v_lshl_add_u32 v38, v38, 23, v54
	v_or3_b32 v54, v42, v38, v52
.LBB584_131:
	s_or_b64 exec, exec, s[10:11]
.LBB584_132:
	s_or_b64 exec, exec, s[8:9]
.LBB584_133:
	s_or_b64 exec, exec, s[2:3]
	v_cmp_ne_u16_sdwa s[8:9], v39, v45 src0_sel:BYTE_0 src1_sel:DWORD
	s_and_saveexec_b64 s[2:3], s[8:9]
	s_cbranch_execz .LBB584_139
; %bb.134:
	s_movk_i32 s8, 0x80
	v_cmp_ne_u16_sdwa s[10:11], v39, s8 src0_sel:BYTE_0 src1_sel:DWORD
	v_bfrev_b32_e32 v45, 1
	s_and_saveexec_b64 s[8:9], s[10:11]
	s_cbranch_execz .LBB584_138
; %bb.135:
	s_movk_i32 s10, 0x7f
	v_and_b32_e32 v38, 0x7f, v39
	v_cmp_ne_u32_e32 vcc, s10, v38
	v_mov_b32_e32 v45, 0x7f800001
	s_and_saveexec_b64 s[10:11], vcc
	s_cbranch_execz .LBB584_137
; %bb.136:
	v_and_b32_e32 v45, 7, v39
	v_ffbh_u32_e32 v55, v45
	v_min_u32_e32 v55, 32, v55
	v_mov_b32_e32 v42, v39
	v_subrev_u32_e32 v56, 28, v55
	v_lshlrev_b64 v[56:57], v56, v[42:43]
	v_lshrrev_b32_e32 v52, 3, v38
	v_sub_u32_e32 v42, 29, v55
	v_and_b32_e32 v55, 7, v56
	v_cmp_gt_u32_e32 vcc, 8, v38
	v_cndmask_b32_e32 v38, v52, v42, vcc
	v_cndmask_b32_e32 v42, v45, v55, vcc
	v_lshlrev_b32_e32 v45, 24, v39
	v_bfrev_b32_e32 v52, 60
	v_lshlrev_b32_e32 v42, 20, v42
	v_and_b32_e32 v45, 0x80000000, v45
	v_lshl_add_u32 v38, v38, 23, v52
	v_or3_b32 v45, v45, v38, v42
.LBB584_137:
	s_or_b64 exec, exec, s[10:11]
.LBB584_138:
	s_or_b64 exec, exec, s[8:9]
.LBB584_139:
	s_or_b64 exec, exec, s[2:3]
	v_lshrrev_b16_e32 v38, 8, v39
	v_cmp_ne_u16_e32 vcc, 0, v38
	v_mov_b32_e32 v42, 0
	v_mov_b32_e32 v55, 0
	s_and_saveexec_b64 s[2:3], vcc
	s_cbranch_execz .LBB584_145
; %bb.140:
	s_movk_i32 s8, 0x80
	v_cmp_ne_u16_e32 vcc, s8, v38
	v_bfrev_b32_e32 v55, 1
	s_and_saveexec_b64 s[8:9], vcc
	s_cbranch_execz .LBB584_144
; %bb.141:
	s_movk_i32 s10, 0x7f
	v_and_b32_e32 v52, 0x7f, v38
	v_cmp_ne_u32_e32 vcc, s10, v52
	v_mov_b32_e32 v55, 0x7f800001
	s_and_saveexec_b64 s[10:11], vcc
	s_cbranch_execz .LBB584_143
; %bb.142:
	v_and_b32_e32 v55, 7, v38
	v_ffbh_u32_e32 v56, v55
	v_min_u32_e32 v59, 32, v56
	v_subrev_u32_e32 v56, 28, v59
	v_lshlrev_b64 v[56:57], v56, v[38:39]
	v_lshrrev_b32_e32 v58, 3, v52
	v_sub_u32_e32 v38, 29, v59
	v_and_b32_e32 v56, 7, v56
	v_cmp_gt_u32_e32 vcc, 8, v52
	v_cndmask_b32_e32 v38, v58, v38, vcc
	v_cndmask_b32_e32 v52, v55, v56, vcc
	v_lshlrev_b32_e32 v55, 16, v39
	v_bfrev_b32_e32 v56, 60
	v_lshlrev_b32_e32 v52, 20, v52
	v_and_b32_e32 v55, 0x80000000, v55
	v_lshl_add_u32 v38, v38, 23, v56
	v_or3_b32 v55, v55, v38, v52
.LBB584_143:
	s_or_b64 exec, exec, s[10:11]
.LBB584_144:
	s_or_b64 exec, exec, s[8:9]
.LBB584_145:
	s_or_b64 exec, exec, s[2:3]
	s_movk_i32 s2, 0xff
	v_and_b32_sdwa v52, v39, s2 dst_sel:DWORD dst_unused:UNUSED_PAD src0_sel:WORD_1 src1_sel:DWORD
	v_lshrrev_b32_e32 v38, 16, v39
	v_cmp_ne_u16_e32 vcc, 0, v52
	s_and_saveexec_b64 s[2:3], vcc
	s_cbranch_execz .LBB584_151
; %bb.146:
	s_movk_i32 s8, 0x80
	v_cmp_ne_u16_e32 vcc, s8, v52
	v_bfrev_b32_e32 v42, 1
	s_and_saveexec_b64 s[8:9], vcc
	s_cbranch_execz .LBB584_150
; %bb.147:
	v_bfe_u32 v52, v39, 16, 7
	s_movk_i32 s10, 0x7f
	v_cmp_ne_u32_e32 vcc, s10, v52
	v_mov_b32_e32 v42, 0x7f800001
	s_and_saveexec_b64 s[10:11], vcc
	s_cbranch_execz .LBB584_149
; %bb.148:
	v_and_b32_e32 v42, 7, v38
	v_ffbh_u32_e32 v56, v42
	v_min_u32_e32 v59, 32, v56
	v_subrev_u32_e32 v56, 28, v59
	v_lshlrev_b64 v[56:57], v56, v[38:39]
	v_lshrrev_b32_e32 v58, 3, v52
	v_sub_u32_e32 v38, 29, v59
	v_and_b32_e32 v56, 7, v56
	v_cmp_gt_u32_e32 vcc, 8, v52
	v_mov_b32_e32 v52, 24
	v_cndmask_b32_e32 v38, v58, v38, vcc
	v_cndmask_b32_e32 v42, v42, v56, vcc
	v_lshlrev_b32_sdwa v52, v52, v39 dst_sel:DWORD dst_unused:UNUSED_PAD src0_sel:DWORD src1_sel:WORD_1
	v_bfrev_b32_e32 v56, 60
	v_lshlrev_b32_e32 v42, 20, v42
	v_and_b32_e32 v52, 0x80000000, v52
	v_lshl_add_u32 v38, v38, 23, v56
	v_or3_b32 v42, v52, v38, v42
.LBB584_149:
	s_or_b64 exec, exec, s[10:11]
.LBB584_150:
	s_or_b64 exec, exec, s[8:9]
.LBB584_151:
	s_or_b64 exec, exec, s[2:3]
	s_mov_b32 s2, 0xffffff
	v_cmp_lt_u32_e32 vcc, s2, v39
	v_mov_b32_e32 v52, 0
	v_mov_b32_e32 v56, 0
	s_and_saveexec_b64 s[2:3], vcc
	s_cbranch_execz .LBB584_157
; %bb.152:
	v_lshrrev_b32_e32 v38, 24, v39
	s_movk_i32 s8, 0x80
	v_cmp_ne_u32_e32 vcc, s8, v38
	v_bfrev_b32_e32 v56, 1
	s_and_saveexec_b64 s[8:9], vcc
	s_cbranch_execz .LBB584_156
; %bb.153:
	v_bfe_u32 v39, v39, 24, 7
	s_movk_i32 s10, 0x7f
	v_cmp_ne_u32_e32 vcc, s10, v39
	v_mov_b32_e32 v56, 0x7f800001
	s_and_saveexec_b64 s[10:11], vcc
	s_cbranch_execz .LBB584_155
; %bb.154:
	v_and_b32_e32 v58, 7, v38
	v_ffbh_u32_e32 v56, v58
	v_min_u32_e32 v60, 32, v56
	v_subrev_u32_e32 v56, 28, v60
	v_lshlrev_b64 v[56:57], v56, v[38:39]
	v_lshrrev_b32_e32 v59, 3, v39
	v_sub_u32_e32 v57, 29, v60
	v_and_b32_e32 v56, 7, v56
	v_cmp_gt_u32_e32 vcc, 8, v39
	v_cndmask_b32_e32 v39, v59, v57, vcc
	v_cndmask_b32_e32 v56, v58, v56, vcc
	v_lshlrev_b32_e32 v38, 24, v38
	v_bfrev_b32_e32 v57, 60
	v_lshlrev_b32_e32 v56, 20, v56
	v_and_b32_e32 v38, 0x80000000, v38
	v_lshl_add_u32 v39, v39, 23, v57
	v_or3_b32 v56, v38, v39, v56
.LBB584_155:
	s_or_b64 exec, exec, s[10:11]
.LBB584_156:
	s_or_b64 exec, exec, s[8:9]
.LBB584_157:
	s_or_b64 exec, exec, s[2:3]
	v_cvt_pkrtz_f16_f32 v38, v53, v44
	v_cvt_pkrtz_f16_f32 v39, v43, v54
	v_cmp_ne_u16_sdwa s[8:9], v40, v52 src0_sel:BYTE_0 src1_sel:DWORD
	s_nop 0
	v_mfma_f32_16x16x16f16 v[58:61], v[38:39], v[26:27], 0
	v_cvt_pkrtz_f16_f32 v38, v45, v55
	v_cvt_pkrtz_f16_f32 v39, v42, v56
	s_nop 1
	v_mfma_f32_16x16x16f16 v[42:45], v[38:39], v[28:29], v[58:61]
	s_and_saveexec_b64 s[2:3], s[8:9]
	s_cbranch_execz .LBB584_163
; %bb.158:
	s_movk_i32 s8, 0x80
	v_cmp_ne_u16_sdwa s[10:11], v40, s8 src0_sel:BYTE_0 src1_sel:DWORD
	v_bfrev_b32_e32 v52, 1
	s_and_saveexec_b64 s[8:9], s[10:11]
	s_cbranch_execz .LBB584_162
; %bb.159:
	s_movk_i32 s10, 0x7f
	v_and_b32_e32 v38, 0x7f, v40
	v_cmp_ne_u32_e32 vcc, s10, v38
	v_mov_b32_e32 v52, 0x7f800001
	s_and_saveexec_b64 s[10:11], vcc
	s_cbranch_execz .LBB584_161
; %bb.160:
	v_and_b32_e32 v39, 7, v40
	v_ffbh_u32_e32 v52, v39
	v_min_u32_e32 v55, 32, v52
	v_subrev_u32_e32 v52, 28, v55
	v_lshlrev_b64 v[52:53], v52, v[40:41]
	v_lshrrev_b32_e32 v54, 3, v38
	v_sub_u32_e32 v53, 29, v55
	v_and_b32_e32 v52, 7, v52
	v_cmp_gt_u32_e32 vcc, 8, v38
	v_cndmask_b32_e32 v38, v54, v53, vcc
	v_cndmask_b32_e32 v39, v39, v52, vcc
	v_lshlrev_b32_e32 v52, 24, v40
	v_bfrev_b32_e32 v53, 60
	v_lshlrev_b32_e32 v39, 20, v39
	v_and_b32_e32 v52, 0x80000000, v52
	v_lshl_add_u32 v38, v38, 23, v53
	v_or3_b32 v52, v52, v38, v39
.LBB584_161:
	s_or_b64 exec, exec, s[10:11]
.LBB584_162:
	s_or_b64 exec, exec, s[8:9]
.LBB584_163:
	s_or_b64 exec, exec, s[2:3]
	v_lshrrev_b16_e32 v38, 8, v40
	v_cmp_ne_u16_e32 vcc, 0, v38
	v_mov_b32_e32 v39, 0
	v_mov_b32_e32 v54, 0
	s_and_saveexec_b64 s[2:3], vcc
	s_cbranch_execz .LBB584_169
; %bb.164:
	s_movk_i32 s8, 0x80
	v_cmp_ne_u16_e32 vcc, s8, v38
	v_bfrev_b32_e32 v54, 1
	s_and_saveexec_b64 s[8:9], vcc
	s_cbranch_execz .LBB584_168
; %bb.165:
	s_movk_i32 s10, 0x7f
	v_and_b32_e32 v53, 0x7f, v38
	v_cmp_ne_u32_e32 vcc, s10, v53
	v_mov_b32_e32 v54, 0x7f800001
	s_and_saveexec_b64 s[10:11], vcc
	s_cbranch_execz .LBB584_167
; %bb.166:
	v_and_b32_e32 v56, 7, v38
	v_ffbh_u32_e32 v54, v56
	v_min_u32_e32 v58, 32, v54
	v_subrev_u32_e32 v54, 28, v58
	v_lshlrev_b64 v[54:55], v54, v[38:39]
	v_lshrrev_b32_e32 v57, 3, v53
	v_sub_u32_e32 v38, 29, v58
	v_and_b32_e32 v54, 7, v54
	v_cmp_gt_u32_e32 vcc, 8, v53
	v_cndmask_b32_e32 v38, v57, v38, vcc
	v_cndmask_b32_e32 v53, v56, v54, vcc
	v_lshlrev_b32_e32 v54, 16, v40
	v_bfrev_b32_e32 v55, 60
	v_lshlrev_b32_e32 v53, 20, v53
	v_and_b32_e32 v54, 0x80000000, v54
	v_lshl_add_u32 v38, v38, 23, v55
	v_or3_b32 v54, v54, v38, v53
.LBB584_167:
	s_or_b64 exec, exec, s[10:11]
.LBB584_168:
	s_or_b64 exec, exec, s[8:9]
.LBB584_169:
	s_or_b64 exec, exec, s[2:3]
	s_movk_i32 s2, 0xff
	v_and_b32_sdwa v53, v40, s2 dst_sel:DWORD dst_unused:UNUSED_PAD src0_sel:WORD_1 src1_sel:DWORD
	v_lshrrev_b32_e32 v38, 16, v40
	v_cmp_ne_u16_e32 vcc, 0, v53
	s_and_saveexec_b64 s[2:3], vcc
	s_cbranch_execz .LBB584_175
; %bb.170:
	s_movk_i32 s8, 0x80
	v_cmp_ne_u16_e32 vcc, s8, v53
	v_bfrev_b32_e32 v39, 1
	s_and_saveexec_b64 s[8:9], vcc
	s_cbranch_execz .LBB584_174
; %bb.171:
	v_bfe_u32 v53, v40, 16, 7
	s_movk_i32 s10, 0x7f
	v_cmp_ne_u32_e32 vcc, s10, v53
	v_mov_b32_e32 v39, 0x7f800001
	s_and_saveexec_b64 s[10:11], vcc
	s_cbranch_execz .LBB584_173
; %bb.172:
	v_and_b32_e32 v55, 7, v38
	v_ffbh_u32_e32 v39, v55
	v_min_u32_e32 v57, 32, v39
	v_subrev_u32_e32 v39, 28, v57
	v_lshlrev_b64 v[38:39], v39, v[38:39]
	v_lshrrev_b32_e32 v56, 3, v53
	v_sub_u32_e32 v39, 29, v57
	v_and_b32_e32 v38, 7, v38
	v_cmp_gt_u32_e32 vcc, 8, v53
	v_mov_b32_e32 v53, 24
	v_cndmask_b32_e32 v39, v56, v39, vcc
	v_cndmask_b32_e32 v38, v55, v38, vcc
	v_lshlrev_b32_sdwa v53, v53, v40 dst_sel:DWORD dst_unused:UNUSED_PAD src0_sel:DWORD src1_sel:WORD_1
	v_bfrev_b32_e32 v55, 60
	v_lshlrev_b32_e32 v38, 20, v38
	v_and_b32_e32 v53, 0x80000000, v53
	v_lshl_add_u32 v39, v39, 23, v55
	v_or3_b32 v39, v53, v39, v38
.LBB584_173:
	s_or_b64 exec, exec, s[10:11]
.LBB584_174:
	s_or_b64 exec, exec, s[8:9]
.LBB584_175:
	s_or_b64 exec, exec, s[2:3]
	s_mov_b32 s2, 0xffffff
	v_cmp_lt_u32_e32 vcc, s2, v40
	v_mov_b32_e32 v55, 0
	v_mov_b32_e32 v56, 0
	s_and_saveexec_b64 s[2:3], vcc
	s_cbranch_execz .LBB584_181
; %bb.176:
	v_lshrrev_b32_e32 v38, 24, v40
	s_movk_i32 s8, 0x80
	v_cmp_ne_u32_e32 vcc, s8, v38
	v_bfrev_b32_e32 v56, 1
	s_and_saveexec_b64 s[8:9], vcc
	s_cbranch_execz .LBB584_180
; %bb.177:
	v_bfe_u32 v40, v40, 24, 7
	s_movk_i32 s10, 0x7f
	v_cmp_ne_u32_e32 vcc, s10, v40
	v_mov_b32_e32 v56, 0x7f800001
	s_and_saveexec_b64 s[10:11], vcc
	s_cbranch_execz .LBB584_179
; %bb.178:
	v_and_b32_e32 v53, 7, v38
	v_ffbh_u32_e32 v56, v53
	v_min_u32_e32 v59, 32, v56
	v_subrev_u32_e32 v56, 28, v59
	v_lshlrev_b64 v[56:57], v56, v[38:39]
	v_lshrrev_b32_e32 v58, 3, v40
	v_sub_u32_e32 v57, 29, v59
	v_and_b32_e32 v56, 7, v56
	v_cmp_gt_u32_e32 vcc, 8, v40
	v_cndmask_b32_e32 v40, v58, v57, vcc
	v_cndmask_b32_e32 v53, v53, v56, vcc
	v_lshlrev_b32_e32 v38, 24, v38
	v_bfrev_b32_e32 v56, 60
	v_lshlrev_b32_e32 v53, 20, v53
	v_and_b32_e32 v38, 0x80000000, v38
	v_lshl_add_u32 v40, v40, 23, v56
	v_or3_b32 v56, v38, v40, v53
.LBB584_179:
	s_or_b64 exec, exec, s[10:11]
.LBB584_180:
	s_or_b64 exec, exec, s[8:9]
.LBB584_181:
	s_or_b64 exec, exec, s[2:3]
	v_cmp_ne_u16_sdwa s[8:9], v41, v55 src0_sel:BYTE_0 src1_sel:DWORD
	s_and_saveexec_b64 s[2:3], s[8:9]
	s_cbranch_execz .LBB584_187
; %bb.182:
	s_movk_i32 s8, 0x80
	v_cmp_ne_u16_sdwa s[10:11], v41, s8 src0_sel:BYTE_0 src1_sel:DWORD
	v_bfrev_b32_e32 v55, 1
	s_and_saveexec_b64 s[8:9], s[10:11]
	s_cbranch_execz .LBB584_186
; %bb.183:
	s_movk_i32 s10, 0x7f
	v_and_b32_e32 v38, 0x7f, v41
	v_cmp_ne_u32_e32 vcc, s10, v38
	v_mov_b32_e32 v55, 0x7f800001
	s_and_saveexec_b64 s[10:11], vcc
	s_cbranch_execz .LBB584_185
; %bb.184:
	v_and_b32_e32 v53, 7, v41
	v_ffbh_u32_e32 v57, v53
	v_min_u32_e32 v57, 32, v57
	v_mov_b32_e32 v40, v41
	v_subrev_u32_e32 v58, 28, v57
	v_lshlrev_b64 v[58:59], v58, v[40:41]
	v_lshrrev_b32_e32 v55, 3, v38
	v_sub_u32_e32 v40, 29, v57
	v_and_b32_e32 v57, 7, v58
	v_cmp_gt_u32_e32 vcc, 8, v38
	v_cndmask_b32_e32 v38, v55, v40, vcc
	v_cndmask_b32_e32 v40, v53, v57, vcc
	v_lshlrev_b32_e32 v53, 24, v41
	v_bfrev_b32_e32 v55, 60
	v_lshlrev_b32_e32 v40, 20, v40
	v_and_b32_e32 v53, 0x80000000, v53
	v_lshl_add_u32 v38, v38, 23, v55
	v_or3_b32 v55, v53, v38, v40
.LBB584_185:
	s_or_b64 exec, exec, s[10:11]
.LBB584_186:
	s_or_b64 exec, exec, s[8:9]
.LBB584_187:
	s_or_b64 exec, exec, s[2:3]
	v_lshrrev_b16_e32 v38, 8, v41
	v_cmp_ne_u16_e32 vcc, 0, v38
	v_mov_b32_e32 v40, 0
	v_mov_b32_e32 v57, 0
	s_and_saveexec_b64 s[2:3], vcc
	s_cbranch_execz .LBB584_193
; %bb.188:
	s_movk_i32 s8, 0x80
	v_cmp_ne_u16_e32 vcc, s8, v38
	v_bfrev_b32_e32 v57, 1
	s_and_saveexec_b64 s[8:9], vcc
	s_cbranch_execz .LBB584_192
; %bb.189:
	s_movk_i32 s10, 0x7f
	v_and_b32_e32 v53, 0x7f, v38
	v_cmp_ne_u32_e32 vcc, s10, v53
	v_mov_b32_e32 v57, 0x7f800001
	s_and_saveexec_b64 s[10:11], vcc
	s_cbranch_execz .LBB584_191
; %bb.190:
	v_and_b32_e32 v57, 7, v38
	v_ffbh_u32_e32 v58, v57
	v_min_u32_e32 v61, 32, v58
	v_subrev_u32_e32 v58, 28, v61
	v_lshlrev_b64 v[58:59], v58, v[38:39]
	v_lshrrev_b32_e32 v60, 3, v53
	v_sub_u32_e32 v38, 29, v61
	v_and_b32_e32 v58, 7, v58
	v_cmp_gt_u32_e32 vcc, 8, v53
	v_cndmask_b32_e32 v38, v60, v38, vcc
	v_cndmask_b32_e32 v53, v57, v58, vcc
	v_lshlrev_b32_e32 v57, 16, v41
	v_bfrev_b32_e32 v58, 60
	v_lshlrev_b32_e32 v53, 20, v53
	v_and_b32_e32 v57, 0x80000000, v57
	v_lshl_add_u32 v38, v38, 23, v58
	v_or3_b32 v57, v57, v38, v53
.LBB584_191:
	s_or_b64 exec, exec, s[10:11]
.LBB584_192:
	s_or_b64 exec, exec, s[8:9]
.LBB584_193:
	s_or_b64 exec, exec, s[2:3]
	s_movk_i32 s2, 0xff
	v_and_b32_sdwa v53, v41, s2 dst_sel:DWORD dst_unused:UNUSED_PAD src0_sel:WORD_1 src1_sel:DWORD
	v_lshrrev_b32_e32 v38, 16, v41
	v_cmp_ne_u16_e32 vcc, 0, v53
	s_and_saveexec_b64 s[2:3], vcc
	s_cbranch_execz .LBB584_199
; %bb.194:
	s_movk_i32 s8, 0x80
	v_cmp_ne_u16_e32 vcc, s8, v53
	v_bfrev_b32_e32 v40, 1
	s_and_saveexec_b64 s[8:9], vcc
	s_cbranch_execz .LBB584_198
; %bb.195:
	v_bfe_u32 v53, v41, 16, 7
	s_movk_i32 s10, 0x7f
	v_cmp_ne_u32_e32 vcc, s10, v53
	v_mov_b32_e32 v40, 0x7f800001
	s_and_saveexec_b64 s[10:11], vcc
	s_cbranch_execz .LBB584_197
; %bb.196:
	v_and_b32_e32 v40, 7, v38
	v_ffbh_u32_e32 v58, v40
	v_min_u32_e32 v61, 32, v58
	v_subrev_u32_e32 v58, 28, v61
	v_lshlrev_b64 v[58:59], v58, v[38:39]
	v_lshrrev_b32_e32 v60, 3, v53
	v_sub_u32_e32 v38, 29, v61
	v_and_b32_e32 v58, 7, v58
	v_cmp_gt_u32_e32 vcc, 8, v53
	v_mov_b32_e32 v53, 24
	v_cndmask_b32_e32 v38, v60, v38, vcc
	v_cndmask_b32_e32 v40, v40, v58, vcc
	v_lshlrev_b32_sdwa v53, v53, v41 dst_sel:DWORD dst_unused:UNUSED_PAD src0_sel:DWORD src1_sel:WORD_1
	v_bfrev_b32_e32 v58, 60
	v_lshlrev_b32_e32 v40, 20, v40
	v_and_b32_e32 v53, 0x80000000, v53
	v_lshl_add_u32 v38, v38, 23, v58
	v_or3_b32 v40, v53, v38, v40
.LBB584_197:
	s_or_b64 exec, exec, s[10:11]
.LBB584_198:
	s_or_b64 exec, exec, s[8:9]
.LBB584_199:
	s_or_b64 exec, exec, s[2:3]
	s_mov_b32 s2, 0xffffff
	v_cmp_lt_u32_e32 vcc, s2, v41
	v_mov_b32_e32 v53, 0
	v_mov_b32_e32 v58, 0
	s_and_saveexec_b64 s[2:3], vcc
	s_cbranch_execz .LBB584_205
; %bb.200:
	v_lshrrev_b32_e32 v38, 24, v41
	s_movk_i32 s8, 0x80
	v_cmp_ne_u32_e32 vcc, s8, v38
	v_bfrev_b32_e32 v58, 1
	s_and_saveexec_b64 s[8:9], vcc
	s_cbranch_execz .LBB584_204
; %bb.201:
	v_bfe_u32 v41, v41, 24, 7
	s_movk_i32 s10, 0x7f
	v_cmp_ne_u32_e32 vcc, s10, v41
	v_mov_b32_e32 v58, 0x7f800001
	s_and_saveexec_b64 s[10:11], vcc
	s_cbranch_execz .LBB584_203
; %bb.202:
	v_and_b32_e32 v60, 7, v38
	v_ffbh_u32_e32 v58, v60
	v_min_u32_e32 v62, 32, v58
	v_subrev_u32_e32 v58, 28, v62
	v_lshlrev_b64 v[58:59], v58, v[38:39]
	v_lshrrev_b32_e32 v61, 3, v41
	v_sub_u32_e32 v59, 29, v62
	v_and_b32_e32 v58, 7, v58
	v_cmp_gt_u32_e32 vcc, 8, v41
	v_cndmask_b32_e32 v41, v61, v59, vcc
	v_cndmask_b32_e32 v58, v60, v58, vcc
	v_lshlrev_b32_e32 v38, 24, v38
	v_bfrev_b32_e32 v59, 60
	v_lshlrev_b32_e32 v58, 20, v58
	v_and_b32_e32 v38, 0x80000000, v38
	v_lshl_add_u32 v41, v41, 23, v59
	v_or3_b32 v58, v38, v41, v58
.LBB584_203:
	s_or_b64 exec, exec, s[10:11]
.LBB584_204:
	s_or_b64 exec, exec, s[8:9]
.LBB584_205:
	s_or_b64 exec, exec, s[2:3]
	v_cvt_pkrtz_f16_f32 v38, v52, v54
	v_cvt_pkrtz_f16_f32 v39, v39, v56
	v_cmp_ne_u16_sdwa s[8:9], v30, v53 src0_sel:BYTE_0 src1_sel:DWORD
	s_nop 0
	v_mfma_f32_16x16x16f16 v[42:45], v[38:39], v[18:19], v[42:45]
	v_cvt_pkrtz_f16_f32 v38, v55, v57
	v_cvt_pkrtz_f16_f32 v39, v40, v58
	s_nop 1
	v_mfma_f32_16x16x16f16 v[38:41], v[38:39], v[20:21], v[42:45]
	s_and_saveexec_b64 s[2:3], s[8:9]
	s_cbranch_execz .LBB584_211
; %bb.206:
	s_movk_i32 s8, 0x80
	v_cmp_ne_u16_sdwa s[10:11], v30, s8 src0_sel:BYTE_0 src1_sel:DWORD
	v_bfrev_b32_e32 v53, 1
	s_and_saveexec_b64 s[8:9], s[10:11]
	s_cbranch_execz .LBB584_210
; %bb.207:
	s_movk_i32 s10, 0x7f
	v_and_b32_e32 v42, 0x7f, v30
	v_cmp_ne_u32_e32 vcc, s10, v42
	v_mov_b32_e32 v53, 0x7f800001
	s_and_saveexec_b64 s[10:11], vcc
	s_cbranch_execz .LBB584_209
; %bb.208:
	v_and_b32_e32 v43, 7, v30
	v_ffbh_u32_e32 v44, v43
	v_min_u32_e32 v53, 32, v44
	v_subrev_u32_e32 v44, 28, v53
	v_lshlrev_b64 v[44:45], v44, v[30:31]
	v_lshrrev_b32_e32 v52, 3, v42
	v_sub_u32_e32 v45, 29, v53
	v_and_b32_e32 v44, 7, v44
	v_cmp_gt_u32_e32 vcc, 8, v42
	v_cndmask_b32_e32 v42, v52, v45, vcc
	v_cndmask_b32_e32 v43, v43, v44, vcc
	v_lshlrev_b32_e32 v44, 24, v30
	v_bfrev_b32_e32 v45, 60
	v_lshlrev_b32_e32 v43, 20, v43
	v_and_b32_e32 v44, 0x80000000, v44
	v_lshl_add_u32 v42, v42, 23, v45
	v_or3_b32 v53, v44, v42, v43
.LBB584_209:
	s_or_b64 exec, exec, s[10:11]
.LBB584_210:
	s_or_b64 exec, exec, s[8:9]
.LBB584_211:
	s_or_b64 exec, exec, s[2:3]
	s_nop 3
	v_lshrrev_b16_e32 v42, 8, v30
	v_cmp_ne_u16_e32 vcc, 0, v42
	v_mov_b32_e32 v43, 0
	v_mov_b32_e32 v44, 0
	s_and_saveexec_b64 s[2:3], vcc
	s_cbranch_execz .LBB584_217
; %bb.212:
	s_movk_i32 s8, 0x80
	v_cmp_ne_u16_e32 vcc, s8, v42
	v_bfrev_b32_e32 v44, 1
	s_and_saveexec_b64 s[8:9], vcc
	s_cbranch_execz .LBB584_216
; %bb.213:
	s_movk_i32 s10, 0x7f
	v_and_b32_e32 v45, 0x7f, v42
	v_cmp_ne_u32_e32 vcc, s10, v45
	v_mov_b32_e32 v44, 0x7f800001
	s_and_saveexec_b64 s[10:11], vcc
	s_cbranch_execz .LBB584_215
; %bb.214:
	v_and_b32_e32 v44, 7, v42
	v_ffbh_u32_e32 v54, v44
	v_min_u32_e32 v56, 32, v54
	v_subrev_u32_e32 v54, 28, v56
	v_lshlrev_b64 v[54:55], v54, v[42:43]
	v_lshrrev_b32_e32 v52, 3, v45
	v_sub_u32_e32 v42, 29, v56
	v_and_b32_e32 v54, 7, v54
	v_cmp_gt_u32_e32 vcc, 8, v45
	v_cndmask_b32_e32 v42, v52, v42, vcc
	v_cndmask_b32_e32 v44, v44, v54, vcc
	v_lshlrev_b32_e32 v45, 16, v30
	v_bfrev_b32_e32 v52, 60
	v_lshlrev_b32_e32 v44, 20, v44
	v_and_b32_e32 v45, 0x80000000, v45
	v_lshl_add_u32 v42, v42, 23, v52
	v_or3_b32 v44, v45, v42, v44
.LBB584_215:
	s_or_b64 exec, exec, s[10:11]
.LBB584_216:
	s_or_b64 exec, exec, s[8:9]
.LBB584_217:
	s_or_b64 exec, exec, s[2:3]
	s_movk_i32 s2, 0xff
	v_and_b32_sdwa v45, v30, s2 dst_sel:DWORD dst_unused:UNUSED_PAD src0_sel:WORD_1 src1_sel:DWORD
	v_lshrrev_b32_e32 v42, 16, v30
	v_cmp_ne_u16_e32 vcc, 0, v45
	s_and_saveexec_b64 s[2:3], vcc
	s_cbranch_execz .LBB584_223
; %bb.218:
	s_movk_i32 s8, 0x80
	v_cmp_ne_u16_e32 vcc, s8, v45
	v_bfrev_b32_e32 v43, 1
	s_and_saveexec_b64 s[8:9], vcc
	s_cbranch_execz .LBB584_222
; %bb.219:
	v_bfe_u32 v45, v30, 16, 7
	s_movk_i32 s10, 0x7f
	v_cmp_ne_u32_e32 vcc, s10, v45
	v_mov_b32_e32 v43, 0x7f800001
	s_and_saveexec_b64 s[10:11], vcc
	s_cbranch_execz .LBB584_221
; %bb.220:
	v_and_b32_e32 v52, 7, v42
	v_ffbh_u32_e32 v43, v52
	v_min_u32_e32 v55, 32, v43
	v_subrev_u32_e32 v43, 28, v55
	v_lshlrev_b64 v[42:43], v43, v[42:43]
	v_lshrrev_b32_e32 v54, 3, v45
	v_sub_u32_e32 v43, 29, v55
	v_and_b32_e32 v42, 7, v42
	v_cmp_gt_u32_e32 vcc, 8, v45
	v_mov_b32_e32 v45, 24
	v_cndmask_b32_e32 v43, v54, v43, vcc
	v_cndmask_b32_e32 v42, v52, v42, vcc
	v_lshlrev_b32_sdwa v45, v45, v30 dst_sel:DWORD dst_unused:UNUSED_PAD src0_sel:DWORD src1_sel:WORD_1
	v_bfrev_b32_e32 v52, 60
	v_lshlrev_b32_e32 v42, 20, v42
	v_and_b32_e32 v45, 0x80000000, v45
	v_lshl_add_u32 v43, v43, 23, v52
	v_or3_b32 v43, v45, v43, v42
.LBB584_221:
	s_or_b64 exec, exec, s[10:11]
.LBB584_222:
	s_or_b64 exec, exec, s[8:9]
.LBB584_223:
	s_or_b64 exec, exec, s[2:3]
	s_mov_b32 s2, 0xffffff
	v_cmp_lt_u32_e32 vcc, s2, v30
	v_mov_b32_e32 v45, 0
	v_mov_b32_e32 v54, 0
	s_and_saveexec_b64 s[2:3], vcc
	s_cbranch_execz .LBB584_229
; %bb.224:
	v_lshrrev_b32_e32 v42, 24, v30
	s_movk_i32 s8, 0x80
	v_cmp_ne_u32_e32 vcc, s8, v42
	v_bfrev_b32_e32 v54, 1
	s_and_saveexec_b64 s[8:9], vcc
	s_cbranch_execz .LBB584_228
; %bb.225:
	v_bfe_u32 v30, v30, 24, 7
	s_movk_i32 s10, 0x7f
	v_cmp_ne_u32_e32 vcc, s10, v30
	v_mov_b32_e32 v54, 0x7f800001
	s_and_saveexec_b64 s[10:11], vcc
	s_cbranch_execz .LBB584_227
; %bb.226:
	v_and_b32_e32 v52, 7, v42
	v_ffbh_u32_e32 v54, v52
	v_min_u32_e32 v57, 32, v54
	v_subrev_u32_e32 v54, 28, v57
	v_lshlrev_b64 v[54:55], v54, v[42:43]
	v_lshrrev_b32_e32 v56, 3, v30
	v_sub_u32_e32 v55, 29, v57
	v_and_b32_e32 v54, 7, v54
	v_cmp_gt_u32_e32 vcc, 8, v30
	v_cndmask_b32_e32 v30, v56, v55, vcc
	v_cndmask_b32_e32 v52, v52, v54, vcc
	v_lshlrev_b32_e32 v42, 24, v42
	v_bfrev_b32_e32 v54, 60
	v_lshlrev_b32_e32 v52, 20, v52
	v_and_b32_e32 v42, 0x80000000, v42
	v_lshl_add_u32 v30, v30, 23, v54
	v_or3_b32 v54, v42, v30, v52
.LBB584_227:
	s_or_b64 exec, exec, s[10:11]
.LBB584_228:
	s_or_b64 exec, exec, s[8:9]
.LBB584_229:
	s_or_b64 exec, exec, s[2:3]
	v_cmp_ne_u16_sdwa s[8:9], v31, v45 src0_sel:BYTE_0 src1_sel:DWORD
	s_and_saveexec_b64 s[2:3], s[8:9]
	s_cbranch_execz .LBB584_235
; %bb.230:
	s_movk_i32 s8, 0x80
	v_cmp_ne_u16_sdwa s[10:11], v31, s8 src0_sel:BYTE_0 src1_sel:DWORD
	v_bfrev_b32_e32 v45, 1
	s_and_saveexec_b64 s[8:9], s[10:11]
	s_cbranch_execz .LBB584_234
; %bb.231:
	s_movk_i32 s10, 0x7f
	v_and_b32_e32 v30, 0x7f, v31
	v_cmp_ne_u32_e32 vcc, s10, v30
	v_mov_b32_e32 v45, 0x7f800001
	s_and_saveexec_b64 s[10:11], vcc
	s_cbranch_execz .LBB584_233
; %bb.232:
	v_and_b32_e32 v45, 7, v31
	v_ffbh_u32_e32 v55, v45
	v_min_u32_e32 v55, 32, v55
	v_mov_b32_e32 v42, v31
	v_subrev_u32_e32 v56, 28, v55
	v_lshlrev_b64 v[56:57], v56, v[42:43]
	v_lshrrev_b32_e32 v52, 3, v30
	v_sub_u32_e32 v42, 29, v55
	v_and_b32_e32 v55, 7, v56
	v_cmp_gt_u32_e32 vcc, 8, v30
	v_cndmask_b32_e32 v30, v52, v42, vcc
	v_cndmask_b32_e32 v42, v45, v55, vcc
	v_lshlrev_b32_e32 v45, 24, v31
	v_bfrev_b32_e32 v52, 60
	v_lshlrev_b32_e32 v42, 20, v42
	v_and_b32_e32 v45, 0x80000000, v45
	v_lshl_add_u32 v30, v30, 23, v52
	v_or3_b32 v45, v45, v30, v42
.LBB584_233:
	s_or_b64 exec, exec, s[10:11]
.LBB584_234:
	s_or_b64 exec, exec, s[8:9]
.LBB584_235:
	s_or_b64 exec, exec, s[2:3]
	v_lshrrev_b16_e32 v30, 8, v31
	v_cmp_ne_u16_e32 vcc, 0, v30
	v_mov_b32_e32 v42, 0
	v_mov_b32_e32 v55, 0
	s_and_saveexec_b64 s[2:3], vcc
	s_cbranch_execz .LBB584_241
; %bb.236:
	s_movk_i32 s8, 0x80
	v_cmp_ne_u16_e32 vcc, s8, v30
	v_bfrev_b32_e32 v55, 1
	s_and_saveexec_b64 s[8:9], vcc
	s_cbranch_execz .LBB584_240
; %bb.237:
	s_movk_i32 s10, 0x7f
	v_and_b32_e32 v52, 0x7f, v30
	v_cmp_ne_u32_e32 vcc, s10, v52
	v_mov_b32_e32 v55, 0x7f800001
	s_and_saveexec_b64 s[10:11], vcc
	s_cbranch_execz .LBB584_239
; %bb.238:
	v_and_b32_e32 v55, 7, v30
	v_ffbh_u32_e32 v56, v55
	v_min_u32_e32 v59, 32, v56
	v_subrev_u32_e32 v56, 28, v59
	v_lshlrev_b64 v[56:57], v56, v[30:31]
	v_lshrrev_b32_e32 v58, 3, v52
	v_sub_u32_e32 v30, 29, v59
	v_and_b32_e32 v56, 7, v56
	v_cmp_gt_u32_e32 vcc, 8, v52
	v_cndmask_b32_e32 v30, v58, v30, vcc
	v_cndmask_b32_e32 v52, v55, v56, vcc
	v_lshlrev_b32_e32 v55, 16, v31
	v_bfrev_b32_e32 v56, 60
	v_lshlrev_b32_e32 v52, 20, v52
	v_and_b32_e32 v55, 0x80000000, v55
	v_lshl_add_u32 v30, v30, 23, v56
	v_or3_b32 v55, v55, v30, v52
.LBB584_239:
	s_or_b64 exec, exec, s[10:11]
.LBB584_240:
	s_or_b64 exec, exec, s[8:9]
.LBB584_241:
	s_or_b64 exec, exec, s[2:3]
	s_movk_i32 s2, 0xff
	v_and_b32_sdwa v52, v31, s2 dst_sel:DWORD dst_unused:UNUSED_PAD src0_sel:WORD_1 src1_sel:DWORD
	v_lshrrev_b32_e32 v30, 16, v31
	v_cmp_ne_u16_e32 vcc, 0, v52
	s_and_saveexec_b64 s[2:3], vcc
	s_cbranch_execz .LBB584_247
; %bb.242:
	s_movk_i32 s8, 0x80
	v_cmp_ne_u16_e32 vcc, s8, v52
	v_bfrev_b32_e32 v42, 1
	s_and_saveexec_b64 s[8:9], vcc
	s_cbranch_execz .LBB584_246
; %bb.243:
	v_bfe_u32 v52, v31, 16, 7
	s_movk_i32 s10, 0x7f
	v_cmp_ne_u32_e32 vcc, s10, v52
	v_mov_b32_e32 v42, 0x7f800001
	s_and_saveexec_b64 s[10:11], vcc
	s_cbranch_execz .LBB584_245
; %bb.244:
	v_and_b32_e32 v42, 7, v30
	v_ffbh_u32_e32 v56, v42
	v_min_u32_e32 v59, 32, v56
	v_subrev_u32_e32 v56, 28, v59
	v_lshlrev_b64 v[56:57], v56, v[30:31]
	v_lshrrev_b32_e32 v58, 3, v52
	v_sub_u32_e32 v30, 29, v59
	v_and_b32_e32 v56, 7, v56
	v_cmp_gt_u32_e32 vcc, 8, v52
	v_mov_b32_e32 v52, 24
	v_cndmask_b32_e32 v30, v58, v30, vcc
	v_cndmask_b32_e32 v42, v42, v56, vcc
	v_lshlrev_b32_sdwa v52, v52, v31 dst_sel:DWORD dst_unused:UNUSED_PAD src0_sel:DWORD src1_sel:WORD_1
	v_bfrev_b32_e32 v56, 60
	v_lshlrev_b32_e32 v42, 20, v42
	v_and_b32_e32 v52, 0x80000000, v52
	v_lshl_add_u32 v30, v30, 23, v56
	v_or3_b32 v42, v52, v30, v42
.LBB584_245:
	s_or_b64 exec, exec, s[10:11]
.LBB584_246:
	s_or_b64 exec, exec, s[8:9]
.LBB584_247:
	s_or_b64 exec, exec, s[2:3]
	s_mov_b32 s2, 0xffffff
	v_cmp_lt_u32_e32 vcc, s2, v31
	v_mov_b32_e32 v52, 0
	v_mov_b32_e32 v56, 0
	s_and_saveexec_b64 s[2:3], vcc
	s_cbranch_execz .LBB584_253
; %bb.248:
	v_lshrrev_b32_e32 v30, 24, v31
	s_movk_i32 s8, 0x80
	v_cmp_ne_u32_e32 vcc, s8, v30
	v_bfrev_b32_e32 v56, 1
	s_and_saveexec_b64 s[8:9], vcc
	s_cbranch_execz .LBB584_252
; %bb.249:
	v_bfe_u32 v31, v31, 24, 7
	s_movk_i32 s10, 0x7f
	v_cmp_ne_u32_e32 vcc, s10, v31
	v_mov_b32_e32 v56, 0x7f800001
	s_and_saveexec_b64 s[10:11], vcc
	s_cbranch_execz .LBB584_251
; %bb.250:
	v_and_b32_e32 v58, 7, v30
	v_ffbh_u32_e32 v56, v58
	v_min_u32_e32 v60, 32, v56
	v_subrev_u32_e32 v56, 28, v60
	v_lshlrev_b64 v[56:57], v56, v[30:31]
	v_lshrrev_b32_e32 v59, 3, v31
	v_sub_u32_e32 v57, 29, v60
	v_and_b32_e32 v56, 7, v56
	v_cmp_gt_u32_e32 vcc, 8, v31
	v_cndmask_b32_e32 v31, v59, v57, vcc
	v_cndmask_b32_e32 v56, v58, v56, vcc
	v_lshlrev_b32_e32 v30, 24, v30
	v_bfrev_b32_e32 v57, 60
	v_lshlrev_b32_e32 v56, 20, v56
	v_and_b32_e32 v30, 0x80000000, v30
	v_lshl_add_u32 v31, v31, 23, v57
	v_or3_b32 v56, v30, v31, v56
.LBB584_251:
	s_or_b64 exec, exec, s[10:11]
.LBB584_252:
	s_or_b64 exec, exec, s[8:9]
.LBB584_253:
	s_or_b64 exec, exec, s[2:3]
	v_cvt_pkrtz_f16_f32 v30, v53, v44
	v_cvt_pkrtz_f16_f32 v31, v43, v54
	v_cmp_ne_u16_sdwa s[8:9], v32, v52 src0_sel:BYTE_0 src1_sel:DWORD
	s_nop 0
	v_mfma_f32_16x16x16f16 v[58:61], v[30:31], v[26:27], 0
	v_cvt_pkrtz_f16_f32 v30, v45, v55
	v_cvt_pkrtz_f16_f32 v31, v42, v56
	s_nop 1
	v_mfma_f32_16x16x16f16 v[42:45], v[30:31], v[28:29], v[58:61]
	s_and_saveexec_b64 s[2:3], s[8:9]
	s_cbranch_execz .LBB584_259
; %bb.254:
	s_movk_i32 s8, 0x80
	v_cmp_ne_u16_sdwa s[10:11], v32, s8 src0_sel:BYTE_0 src1_sel:DWORD
	v_bfrev_b32_e32 v52, 1
	s_and_saveexec_b64 s[8:9], s[10:11]
	s_cbranch_execz .LBB584_258
; %bb.255:
	s_movk_i32 s10, 0x7f
	v_and_b32_e32 v30, 0x7f, v32
	v_cmp_ne_u32_e32 vcc, s10, v30
	v_mov_b32_e32 v52, 0x7f800001
	s_and_saveexec_b64 s[10:11], vcc
	s_cbranch_execz .LBB584_257
; %bb.256:
	v_and_b32_e32 v31, 7, v32
	v_ffbh_u32_e32 v52, v31
	v_min_u32_e32 v55, 32, v52
	v_subrev_u32_e32 v52, 28, v55
	v_lshlrev_b64 v[52:53], v52, v[32:33]
	v_lshrrev_b32_e32 v54, 3, v30
	v_sub_u32_e32 v53, 29, v55
	v_and_b32_e32 v52, 7, v52
	v_cmp_gt_u32_e32 vcc, 8, v30
	v_cndmask_b32_e32 v30, v54, v53, vcc
	v_cndmask_b32_e32 v31, v31, v52, vcc
	v_lshlrev_b32_e32 v52, 24, v32
	v_bfrev_b32_e32 v53, 60
	v_lshlrev_b32_e32 v31, 20, v31
	v_and_b32_e32 v52, 0x80000000, v52
	v_lshl_add_u32 v30, v30, 23, v53
	v_or3_b32 v52, v52, v30, v31
.LBB584_257:
	s_or_b64 exec, exec, s[10:11]
.LBB584_258:
	s_or_b64 exec, exec, s[8:9]
.LBB584_259:
	s_or_b64 exec, exec, s[2:3]
	v_lshrrev_b16_e32 v30, 8, v32
	v_cmp_ne_u16_e32 vcc, 0, v30
	v_mov_b32_e32 v31, 0
	v_mov_b32_e32 v54, 0
	s_and_saveexec_b64 s[2:3], vcc
	s_cbranch_execz .LBB584_265
; %bb.260:
	s_movk_i32 s8, 0x80
	v_cmp_ne_u16_e32 vcc, s8, v30
	v_bfrev_b32_e32 v54, 1
	s_and_saveexec_b64 s[8:9], vcc
	s_cbranch_execz .LBB584_264
; %bb.261:
	s_movk_i32 s10, 0x7f
	v_and_b32_e32 v53, 0x7f, v30
	v_cmp_ne_u32_e32 vcc, s10, v53
	v_mov_b32_e32 v54, 0x7f800001
	s_and_saveexec_b64 s[10:11], vcc
	s_cbranch_execz .LBB584_263
; %bb.262:
	v_and_b32_e32 v56, 7, v30
	v_ffbh_u32_e32 v54, v56
	v_min_u32_e32 v58, 32, v54
	v_subrev_u32_e32 v54, 28, v58
	v_lshlrev_b64 v[54:55], v54, v[30:31]
	v_lshrrev_b32_e32 v57, 3, v53
	v_sub_u32_e32 v30, 29, v58
	v_and_b32_e32 v54, 7, v54
	v_cmp_gt_u32_e32 vcc, 8, v53
	v_cndmask_b32_e32 v30, v57, v30, vcc
	v_cndmask_b32_e32 v53, v56, v54, vcc
	v_lshlrev_b32_e32 v54, 16, v32
	v_bfrev_b32_e32 v55, 60
	v_lshlrev_b32_e32 v53, 20, v53
	v_and_b32_e32 v54, 0x80000000, v54
	v_lshl_add_u32 v30, v30, 23, v55
	v_or3_b32 v54, v54, v30, v53
.LBB584_263:
	s_or_b64 exec, exec, s[10:11]
.LBB584_264:
	s_or_b64 exec, exec, s[8:9]
.LBB584_265:
	s_or_b64 exec, exec, s[2:3]
	s_movk_i32 s2, 0xff
	v_and_b32_sdwa v53, v32, s2 dst_sel:DWORD dst_unused:UNUSED_PAD src0_sel:WORD_1 src1_sel:DWORD
	v_lshrrev_b32_e32 v30, 16, v32
	v_cmp_ne_u16_e32 vcc, 0, v53
	s_and_saveexec_b64 s[2:3], vcc
	s_cbranch_execz .LBB584_271
; %bb.266:
	s_movk_i32 s8, 0x80
	v_cmp_ne_u16_e32 vcc, s8, v53
	v_bfrev_b32_e32 v31, 1
	s_and_saveexec_b64 s[8:9], vcc
	s_cbranch_execz .LBB584_270
; %bb.267:
	v_bfe_u32 v53, v32, 16, 7
	s_movk_i32 s10, 0x7f
	v_cmp_ne_u32_e32 vcc, s10, v53
	v_mov_b32_e32 v31, 0x7f800001
	s_and_saveexec_b64 s[10:11], vcc
	s_cbranch_execz .LBB584_269
; %bb.268:
	v_and_b32_e32 v55, 7, v30
	v_ffbh_u32_e32 v31, v55
	v_min_u32_e32 v57, 32, v31
	v_subrev_u32_e32 v31, 28, v57
	v_lshlrev_b64 v[30:31], v31, v[30:31]
	v_lshrrev_b32_e32 v56, 3, v53
	v_sub_u32_e32 v31, 29, v57
	v_and_b32_e32 v30, 7, v30
	v_cmp_gt_u32_e32 vcc, 8, v53
	v_mov_b32_e32 v53, 24
	v_cndmask_b32_e32 v31, v56, v31, vcc
	v_cndmask_b32_e32 v30, v55, v30, vcc
	v_lshlrev_b32_sdwa v53, v53, v32 dst_sel:DWORD dst_unused:UNUSED_PAD src0_sel:DWORD src1_sel:WORD_1
	v_bfrev_b32_e32 v55, 60
	v_lshlrev_b32_e32 v30, 20, v30
	v_and_b32_e32 v53, 0x80000000, v53
	v_lshl_add_u32 v31, v31, 23, v55
	v_or3_b32 v31, v53, v31, v30
.LBB584_269:
	s_or_b64 exec, exec, s[10:11]
.LBB584_270:
	s_or_b64 exec, exec, s[8:9]
.LBB584_271:
	s_or_b64 exec, exec, s[2:3]
	s_mov_b32 s2, 0xffffff
	v_cmp_lt_u32_e32 vcc, s2, v32
	v_mov_b32_e32 v55, 0
	v_mov_b32_e32 v56, 0
	s_and_saveexec_b64 s[2:3], vcc
	s_cbranch_execz .LBB584_277
; %bb.272:
	v_lshrrev_b32_e32 v30, 24, v32
	s_movk_i32 s8, 0x80
	v_cmp_ne_u32_e32 vcc, s8, v30
	v_bfrev_b32_e32 v56, 1
	s_and_saveexec_b64 s[8:9], vcc
	s_cbranch_execz .LBB584_276
; %bb.273:
	v_bfe_u32 v32, v32, 24, 7
	s_movk_i32 s10, 0x7f
	v_cmp_ne_u32_e32 vcc, s10, v32
	v_mov_b32_e32 v56, 0x7f800001
	s_and_saveexec_b64 s[10:11], vcc
	s_cbranch_execz .LBB584_275
; %bb.274:
	v_and_b32_e32 v53, 7, v30
	v_ffbh_u32_e32 v56, v53
	v_min_u32_e32 v59, 32, v56
	v_subrev_u32_e32 v56, 28, v59
	v_lshlrev_b64 v[56:57], v56, v[30:31]
	v_lshrrev_b32_e32 v58, 3, v32
	v_sub_u32_e32 v57, 29, v59
	v_and_b32_e32 v56, 7, v56
	v_cmp_gt_u32_e32 vcc, 8, v32
	v_cndmask_b32_e32 v32, v58, v57, vcc
	v_cndmask_b32_e32 v53, v53, v56, vcc
	v_lshlrev_b32_e32 v30, 24, v30
	v_bfrev_b32_e32 v56, 60
	v_lshlrev_b32_e32 v53, 20, v53
	v_and_b32_e32 v30, 0x80000000, v30
	v_lshl_add_u32 v32, v32, 23, v56
	v_or3_b32 v56, v30, v32, v53
.LBB584_275:
	s_or_b64 exec, exec, s[10:11]
.LBB584_276:
	s_or_b64 exec, exec, s[8:9]
.LBB584_277:
	s_or_b64 exec, exec, s[2:3]
	v_cmp_ne_u16_sdwa s[8:9], v33, v55 src0_sel:BYTE_0 src1_sel:DWORD
	s_and_saveexec_b64 s[2:3], s[8:9]
	s_cbranch_execz .LBB584_283
; %bb.278:
	s_movk_i32 s8, 0x80
	v_cmp_ne_u16_sdwa s[10:11], v33, s8 src0_sel:BYTE_0 src1_sel:DWORD
	v_bfrev_b32_e32 v55, 1
	s_and_saveexec_b64 s[8:9], s[10:11]
	s_cbranch_execz .LBB584_282
; %bb.279:
	s_movk_i32 s10, 0x7f
	v_and_b32_e32 v30, 0x7f, v33
	v_cmp_ne_u32_e32 vcc, s10, v30
	v_mov_b32_e32 v55, 0x7f800001
	s_and_saveexec_b64 s[10:11], vcc
	s_cbranch_execz .LBB584_281
; %bb.280:
	v_and_b32_e32 v53, 7, v33
	v_ffbh_u32_e32 v57, v53
	v_min_u32_e32 v57, 32, v57
	v_mov_b32_e32 v32, v33
	v_subrev_u32_e32 v58, 28, v57
	v_lshlrev_b64 v[58:59], v58, v[32:33]
	v_lshrrev_b32_e32 v55, 3, v30
	v_sub_u32_e32 v32, 29, v57
	v_and_b32_e32 v57, 7, v58
	v_cmp_gt_u32_e32 vcc, 8, v30
	v_cndmask_b32_e32 v30, v55, v32, vcc
	v_cndmask_b32_e32 v32, v53, v57, vcc
	v_lshlrev_b32_e32 v53, 24, v33
	v_bfrev_b32_e32 v55, 60
	v_lshlrev_b32_e32 v32, 20, v32
	v_and_b32_e32 v53, 0x80000000, v53
	v_lshl_add_u32 v30, v30, 23, v55
	v_or3_b32 v55, v53, v30, v32
.LBB584_281:
	s_or_b64 exec, exec, s[10:11]
.LBB584_282:
	s_or_b64 exec, exec, s[8:9]
.LBB584_283:
	s_or_b64 exec, exec, s[2:3]
	v_lshrrev_b16_e32 v30, 8, v33
	v_cmp_ne_u16_e32 vcc, 0, v30
	v_mov_b32_e32 v32, 0
	v_mov_b32_e32 v57, 0
	s_and_saveexec_b64 s[2:3], vcc
	s_cbranch_execz .LBB584_289
; %bb.284:
	s_movk_i32 s8, 0x80
	v_cmp_ne_u16_e32 vcc, s8, v30
	v_bfrev_b32_e32 v57, 1
	s_and_saveexec_b64 s[8:9], vcc
	s_cbranch_execz .LBB584_288
; %bb.285:
	s_movk_i32 s10, 0x7f
	v_and_b32_e32 v53, 0x7f, v30
	v_cmp_ne_u32_e32 vcc, s10, v53
	v_mov_b32_e32 v57, 0x7f800001
	s_and_saveexec_b64 s[10:11], vcc
	s_cbranch_execz .LBB584_287
; %bb.286:
	v_and_b32_e32 v57, 7, v30
	v_ffbh_u32_e32 v58, v57
	v_min_u32_e32 v61, 32, v58
	v_subrev_u32_e32 v58, 28, v61
	v_lshlrev_b64 v[58:59], v58, v[30:31]
	v_lshrrev_b32_e32 v60, 3, v53
	v_sub_u32_e32 v30, 29, v61
	v_and_b32_e32 v58, 7, v58
	v_cmp_gt_u32_e32 vcc, 8, v53
	v_cndmask_b32_e32 v30, v60, v30, vcc
	v_cndmask_b32_e32 v53, v57, v58, vcc
	v_lshlrev_b32_e32 v57, 16, v33
	v_bfrev_b32_e32 v58, 60
	v_lshlrev_b32_e32 v53, 20, v53
	v_and_b32_e32 v57, 0x80000000, v57
	v_lshl_add_u32 v30, v30, 23, v58
	v_or3_b32 v57, v57, v30, v53
.LBB584_287:
	s_or_b64 exec, exec, s[10:11]
.LBB584_288:
	s_or_b64 exec, exec, s[8:9]
.LBB584_289:
	s_or_b64 exec, exec, s[2:3]
	s_movk_i32 s2, 0xff
	v_and_b32_sdwa v53, v33, s2 dst_sel:DWORD dst_unused:UNUSED_PAD src0_sel:WORD_1 src1_sel:DWORD
	v_lshrrev_b32_e32 v30, 16, v33
	v_cmp_ne_u16_e32 vcc, 0, v53
	s_and_saveexec_b64 s[2:3], vcc
	s_cbranch_execz .LBB584_295
; %bb.290:
	s_movk_i32 s8, 0x80
	v_cmp_ne_u16_e32 vcc, s8, v53
	v_bfrev_b32_e32 v32, 1
	s_and_saveexec_b64 s[8:9], vcc
	s_cbranch_execz .LBB584_294
; %bb.291:
	v_bfe_u32 v53, v33, 16, 7
	s_movk_i32 s10, 0x7f
	v_cmp_ne_u32_e32 vcc, s10, v53
	v_mov_b32_e32 v32, 0x7f800001
	s_and_saveexec_b64 s[10:11], vcc
	s_cbranch_execz .LBB584_293
; %bb.292:
	v_and_b32_e32 v32, 7, v30
	v_ffbh_u32_e32 v58, v32
	v_min_u32_e32 v61, 32, v58
	v_subrev_u32_e32 v58, 28, v61
	v_lshlrev_b64 v[58:59], v58, v[30:31]
	v_lshrrev_b32_e32 v60, 3, v53
	v_sub_u32_e32 v30, 29, v61
	v_and_b32_e32 v58, 7, v58
	v_cmp_gt_u32_e32 vcc, 8, v53
	v_mov_b32_e32 v53, 24
	v_cndmask_b32_e32 v30, v60, v30, vcc
	v_cndmask_b32_e32 v32, v32, v58, vcc
	v_lshlrev_b32_sdwa v53, v53, v33 dst_sel:DWORD dst_unused:UNUSED_PAD src0_sel:DWORD src1_sel:WORD_1
	v_bfrev_b32_e32 v58, 60
	v_lshlrev_b32_e32 v32, 20, v32
	v_and_b32_e32 v53, 0x80000000, v53
	v_lshl_add_u32 v30, v30, 23, v58
	v_or3_b32 v32, v53, v30, v32
.LBB584_293:
	s_or_b64 exec, exec, s[10:11]
.LBB584_294:
	s_or_b64 exec, exec, s[8:9]
.LBB584_295:
	s_or_b64 exec, exec, s[2:3]
	s_mov_b32 s2, 0xffffff
	v_cmp_lt_u32_e32 vcc, s2, v33
	v_mov_b32_e32 v53, 0
	v_mov_b32_e32 v58, 0
	s_and_saveexec_b64 s[2:3], vcc
	s_cbranch_execz .LBB584_301
; %bb.296:
	v_lshrrev_b32_e32 v30, 24, v33
	s_movk_i32 s8, 0x80
	v_cmp_ne_u32_e32 vcc, s8, v30
	v_bfrev_b32_e32 v58, 1
	s_and_saveexec_b64 s[8:9], vcc
	s_cbranch_execz .LBB584_300
; %bb.297:
	v_bfe_u32 v33, v33, 24, 7
	s_movk_i32 s10, 0x7f
	v_cmp_ne_u32_e32 vcc, s10, v33
	v_mov_b32_e32 v58, 0x7f800001
	s_and_saveexec_b64 s[10:11], vcc
	s_cbranch_execz .LBB584_299
; %bb.298:
	v_and_b32_e32 v60, 7, v30
	v_ffbh_u32_e32 v58, v60
	v_min_u32_e32 v62, 32, v58
	v_subrev_u32_e32 v58, 28, v62
	v_lshlrev_b64 v[58:59], v58, v[30:31]
	v_lshrrev_b32_e32 v61, 3, v33
	v_sub_u32_e32 v59, 29, v62
	v_and_b32_e32 v58, 7, v58
	v_cmp_gt_u32_e32 vcc, 8, v33
	v_cndmask_b32_e32 v33, v61, v59, vcc
	v_cndmask_b32_e32 v58, v60, v58, vcc
	v_lshlrev_b32_e32 v30, 24, v30
	v_bfrev_b32_e32 v59, 60
	v_lshlrev_b32_e32 v58, 20, v58
	v_and_b32_e32 v30, 0x80000000, v30
	v_lshl_add_u32 v33, v33, 23, v59
	v_or3_b32 v58, v30, v33, v58
.LBB584_299:
	s_or_b64 exec, exec, s[10:11]
.LBB584_300:
	s_or_b64 exec, exec, s[8:9]
.LBB584_301:
	s_or_b64 exec, exec, s[2:3]
	v_cvt_pkrtz_f16_f32 v30, v52, v54
	v_cvt_pkrtz_f16_f32 v31, v31, v56
	v_cmp_ne_u16_sdwa s[8:9], v22, v53 src0_sel:BYTE_0 src1_sel:DWORD
	s_nop 0
	v_mfma_f32_16x16x16f16 v[42:45], v[30:31], v[18:19], v[42:45]
	v_cvt_pkrtz_f16_f32 v30, v55, v57
	v_cvt_pkrtz_f16_f32 v31, v32, v58
	s_nop 1
	v_mfma_f32_16x16x16f16 v[30:33], v[30:31], v[20:21], v[42:45]
	s_and_saveexec_b64 s[2:3], s[8:9]
	s_cbranch_execz .LBB584_307
; %bb.302:
	s_movk_i32 s8, 0x80
	v_cmp_ne_u16_sdwa s[10:11], v22, s8 src0_sel:BYTE_0 src1_sel:DWORD
	v_bfrev_b32_e32 v53, 1
	s_and_saveexec_b64 s[8:9], s[10:11]
	s_cbranch_execz .LBB584_306
; %bb.303:
	s_movk_i32 s10, 0x7f
	v_and_b32_e32 v42, 0x7f, v22
	v_cmp_ne_u32_e32 vcc, s10, v42
	v_mov_b32_e32 v53, 0x7f800001
	s_and_saveexec_b64 s[10:11], vcc
	s_cbranch_execz .LBB584_305
; %bb.304:
	v_and_b32_e32 v43, 7, v22
	v_ffbh_u32_e32 v44, v43
	v_min_u32_e32 v53, 32, v44
	v_subrev_u32_e32 v44, 28, v53
	v_lshlrev_b64 v[44:45], v44, v[22:23]
	v_lshrrev_b32_e32 v52, 3, v42
	v_sub_u32_e32 v45, 29, v53
	v_and_b32_e32 v44, 7, v44
	v_cmp_gt_u32_e32 vcc, 8, v42
	v_cndmask_b32_e32 v42, v52, v45, vcc
	v_cndmask_b32_e32 v43, v43, v44, vcc
	v_lshlrev_b32_e32 v44, 24, v22
	v_bfrev_b32_e32 v45, 60
	v_lshlrev_b32_e32 v43, 20, v43
	v_and_b32_e32 v44, 0x80000000, v44
	v_lshl_add_u32 v42, v42, 23, v45
	v_or3_b32 v53, v44, v42, v43
.LBB584_305:
	s_or_b64 exec, exec, s[10:11]
.LBB584_306:
	s_or_b64 exec, exec, s[8:9]
.LBB584_307:
	s_or_b64 exec, exec, s[2:3]
	s_nop 3
	v_lshrrev_b16_e32 v42, 8, v22
	v_cmp_ne_u16_e32 vcc, 0, v42
	v_mov_b32_e32 v43, 0
	v_mov_b32_e32 v44, 0
	s_and_saveexec_b64 s[2:3], vcc
	s_cbranch_execz .LBB584_313
; %bb.308:
	s_movk_i32 s8, 0x80
	v_cmp_ne_u16_e32 vcc, s8, v42
	v_bfrev_b32_e32 v44, 1
	s_and_saveexec_b64 s[8:9], vcc
	s_cbranch_execz .LBB584_312
; %bb.309:
	s_movk_i32 s10, 0x7f
	v_and_b32_e32 v45, 0x7f, v42
	v_cmp_ne_u32_e32 vcc, s10, v45
	v_mov_b32_e32 v44, 0x7f800001
	s_and_saveexec_b64 s[10:11], vcc
	s_cbranch_execz .LBB584_311
; %bb.310:
	v_and_b32_e32 v44, 7, v42
	v_ffbh_u32_e32 v54, v44
	v_min_u32_e32 v56, 32, v54
	v_subrev_u32_e32 v54, 28, v56
	v_lshlrev_b64 v[54:55], v54, v[42:43]
	v_lshrrev_b32_e32 v52, 3, v45
	v_sub_u32_e32 v42, 29, v56
	v_and_b32_e32 v54, 7, v54
	v_cmp_gt_u32_e32 vcc, 8, v45
	v_cndmask_b32_e32 v42, v52, v42, vcc
	v_cndmask_b32_e32 v44, v44, v54, vcc
	v_lshlrev_b32_e32 v45, 16, v22
	v_bfrev_b32_e32 v52, 60
	v_lshlrev_b32_e32 v44, 20, v44
	v_and_b32_e32 v45, 0x80000000, v45
	v_lshl_add_u32 v42, v42, 23, v52
	v_or3_b32 v44, v45, v42, v44
.LBB584_311:
	s_or_b64 exec, exec, s[10:11]
.LBB584_312:
	s_or_b64 exec, exec, s[8:9]
.LBB584_313:
	s_or_b64 exec, exec, s[2:3]
	s_movk_i32 s2, 0xff
	v_and_b32_sdwa v45, v22, s2 dst_sel:DWORD dst_unused:UNUSED_PAD src0_sel:WORD_1 src1_sel:DWORD
	v_lshrrev_b32_e32 v42, 16, v22
	v_cmp_ne_u16_e32 vcc, 0, v45
	s_and_saveexec_b64 s[2:3], vcc
	s_cbranch_execz .LBB584_319
; %bb.314:
	s_movk_i32 s8, 0x80
	v_cmp_ne_u16_e32 vcc, s8, v45
	v_bfrev_b32_e32 v43, 1
	s_and_saveexec_b64 s[8:9], vcc
	s_cbranch_execz .LBB584_318
; %bb.315:
	v_bfe_u32 v45, v22, 16, 7
	s_movk_i32 s10, 0x7f
	v_cmp_ne_u32_e32 vcc, s10, v45
	v_mov_b32_e32 v43, 0x7f800001
	s_and_saveexec_b64 s[10:11], vcc
	s_cbranch_execz .LBB584_317
; %bb.316:
	v_and_b32_e32 v52, 7, v42
	v_ffbh_u32_e32 v43, v52
	v_min_u32_e32 v55, 32, v43
	v_subrev_u32_e32 v43, 28, v55
	v_lshlrev_b64 v[42:43], v43, v[42:43]
	v_lshrrev_b32_e32 v54, 3, v45
	v_sub_u32_e32 v43, 29, v55
	v_and_b32_e32 v42, 7, v42
	v_cmp_gt_u32_e32 vcc, 8, v45
	v_mov_b32_e32 v45, 24
	v_cndmask_b32_e32 v43, v54, v43, vcc
	v_cndmask_b32_e32 v42, v52, v42, vcc
	v_lshlrev_b32_sdwa v45, v45, v22 dst_sel:DWORD dst_unused:UNUSED_PAD src0_sel:DWORD src1_sel:WORD_1
	v_bfrev_b32_e32 v52, 60
	v_lshlrev_b32_e32 v42, 20, v42
	v_and_b32_e32 v45, 0x80000000, v45
	v_lshl_add_u32 v43, v43, 23, v52
	v_or3_b32 v43, v45, v43, v42
.LBB584_317:
	s_or_b64 exec, exec, s[10:11]
.LBB584_318:
	s_or_b64 exec, exec, s[8:9]
.LBB584_319:
	s_or_b64 exec, exec, s[2:3]
	s_mov_b32 s2, 0xffffff
	v_cmp_lt_u32_e32 vcc, s2, v22
	v_mov_b32_e32 v45, 0
	v_mov_b32_e32 v52, 0
	s_and_saveexec_b64 s[2:3], vcc
	s_cbranch_execz .LBB584_325
; %bb.320:
	v_lshrrev_b32_e32 v42, 24, v22
	s_movk_i32 s8, 0x80
	v_cmp_ne_u32_e32 vcc, s8, v42
	v_bfrev_b32_e32 v52, 1
	s_and_saveexec_b64 s[8:9], vcc
	s_cbranch_execz .LBB584_324
; %bb.321:
	v_bfe_u32 v22, v22, 24, 7
	s_movk_i32 s10, 0x7f
	v_cmp_ne_u32_e32 vcc, s10, v22
	v_mov_b32_e32 v52, 0x7f800001
	s_and_saveexec_b64 s[10:11], vcc
	s_cbranch_execz .LBB584_323
; %bb.322:
	v_and_b32_e32 v52, 7, v42
	v_ffbh_u32_e32 v54, v52
	v_min_u32_e32 v57, 32, v54
	v_subrev_u32_e32 v54, 28, v57
	v_lshlrev_b64 v[54:55], v54, v[42:43]
	v_lshrrev_b32_e32 v56, 3, v22
	v_sub_u32_e32 v55, 29, v57
	v_and_b32_e32 v54, 7, v54
	v_cmp_gt_u32_e32 vcc, 8, v22
	v_cndmask_b32_e32 v22, v56, v55, vcc
	v_cndmask_b32_e32 v52, v52, v54, vcc
	v_lshlrev_b32_e32 v42, 24, v42
	v_bfrev_b32_e32 v54, 60
	v_lshlrev_b32_e32 v52, 20, v52
	v_and_b32_e32 v42, 0x80000000, v42
	v_lshl_add_u32 v22, v22, 23, v54
	v_or3_b32 v52, v42, v22, v52
.LBB584_323:
	s_or_b64 exec, exec, s[10:11]
.LBB584_324:
	s_or_b64 exec, exec, s[8:9]
.LBB584_325:
	s_or_b64 exec, exec, s[2:3]
	v_cmp_ne_u16_sdwa s[8:9], v23, v45 src0_sel:BYTE_0 src1_sel:DWORD
	s_and_saveexec_b64 s[2:3], s[8:9]
	s_cbranch_execz .LBB584_331
; %bb.326:
	s_movk_i32 s8, 0x80
	v_cmp_ne_u16_sdwa s[10:11], v23, s8 src0_sel:BYTE_0 src1_sel:DWORD
	v_bfrev_b32_e32 v45, 1
	s_and_saveexec_b64 s[8:9], s[10:11]
	s_cbranch_execz .LBB584_330
; %bb.327:
	s_movk_i32 s10, 0x7f
	v_and_b32_e32 v22, 0x7f, v23
	v_cmp_ne_u32_e32 vcc, s10, v22
	v_mov_b32_e32 v45, 0x7f800001
	s_and_saveexec_b64 s[10:11], vcc
	s_cbranch_execz .LBB584_329
; %bb.328:
	v_and_b32_e32 v45, 7, v23
	v_ffbh_u32_e32 v54, v45
	v_min_u32_e32 v57, 32, v54
	v_mov_b32_e32 v42, v23
	v_subrev_u32_e32 v54, 28, v57
	v_lshlrev_b64 v[54:55], v54, v[42:43]
	v_lshrrev_b32_e32 v56, 3, v22
	v_sub_u32_e32 v42, 29, v57
	v_and_b32_e32 v54, 7, v54
	v_cmp_gt_u32_e32 vcc, 8, v22
	v_cndmask_b32_e32 v22, v56, v42, vcc
	v_cndmask_b32_e32 v42, v45, v54, vcc
	v_lshlrev_b32_e32 v45, 24, v23
	v_bfrev_b32_e32 v54, 60
	v_lshlrev_b32_e32 v42, 20, v42
	v_and_b32_e32 v45, 0x80000000, v45
	v_lshl_add_u32 v22, v22, 23, v54
	v_or3_b32 v45, v45, v22, v42
.LBB584_329:
	s_or_b64 exec, exec, s[10:11]
.LBB584_330:
	s_or_b64 exec, exec, s[8:9]
.LBB584_331:
	s_or_b64 exec, exec, s[2:3]
	v_lshrrev_b16_e32 v22, 8, v23
	v_cmp_ne_u16_e32 vcc, 0, v22
	v_mov_b32_e32 v54, 0
	v_mov_b32_e32 v55, 0
	s_and_saveexec_b64 s[2:3], vcc
	s_cbranch_execz .LBB584_337
; %bb.332:
	s_movk_i32 s8, 0x80
	v_cmp_ne_u16_e32 vcc, s8, v22
	v_bfrev_b32_e32 v55, 1
	s_and_saveexec_b64 s[8:9], vcc
	s_cbranch_execz .LBB584_336
; %bb.333:
	s_movk_i32 s10, 0x7f
	v_and_b32_e32 v42, 0x7f, v22
	v_cmp_ne_u32_e32 vcc, s10, v42
	v_mov_b32_e32 v55, 0x7f800001
	s_and_saveexec_b64 s[10:11], vcc
	s_cbranch_execz .LBB584_335
; %bb.334:
	v_and_b32_e32 v55, 7, v22
	v_ffbh_u32_e32 v56, v55
	v_min_u32_e32 v59, 32, v56
	v_subrev_u32_e32 v56, 28, v59
	v_lshlrev_b64 v[56:57], v56, v[22:23]
	v_lshrrev_b32_e32 v58, 3, v42
	v_sub_u32_e32 v22, 29, v59
	v_and_b32_e32 v56, 7, v56
	v_cmp_gt_u32_e32 vcc, 8, v42
	v_cndmask_b32_e32 v22, v58, v22, vcc
	v_cndmask_b32_e32 v42, v55, v56, vcc
	v_lshlrev_b32_e32 v55, 16, v23
	v_bfrev_b32_e32 v56, 60
	v_lshlrev_b32_e32 v42, 20, v42
	v_and_b32_e32 v55, 0x80000000, v55
	v_lshl_add_u32 v22, v22, 23, v56
	v_or3_b32 v55, v55, v22, v42
.LBB584_335:
	s_or_b64 exec, exec, s[10:11]
.LBB584_336:
	s_or_b64 exec, exec, s[8:9]
.LBB584_337:
	s_or_b64 exec, exec, s[2:3]
	s_movk_i32 s2, 0xff
	v_and_b32_sdwa v42, v23, s2 dst_sel:DWORD dst_unused:UNUSED_PAD src0_sel:WORD_1 src1_sel:DWORD
	v_lshrrev_b32_e32 v22, 16, v23
	v_cmp_ne_u16_e32 vcc, 0, v42
	s_and_saveexec_b64 s[2:3], vcc
	s_cbranch_execz .LBB584_343
; %bb.338:
	s_movk_i32 s8, 0x80
	v_cmp_ne_u16_e32 vcc, s8, v42
	v_bfrev_b32_e32 v54, 1
	s_and_saveexec_b64 s[8:9], vcc
	s_cbranch_execz .LBB584_342
; %bb.339:
	v_bfe_u32 v42, v23, 16, 7
	s_movk_i32 s10, 0x7f
	v_cmp_ne_u32_e32 vcc, s10, v42
	v_mov_b32_e32 v54, 0x7f800001
	s_and_saveexec_b64 s[10:11], vcc
	s_cbranch_execz .LBB584_341
; %bb.340:
	v_and_b32_e32 v54, 7, v22
	v_ffbh_u32_e32 v56, v54
	v_min_u32_e32 v59, 32, v56
	v_subrev_u32_e32 v56, 28, v59
	v_lshlrev_b64 v[56:57], v56, v[22:23]
	v_and_b32_e32 v56, 7, v56
	v_cmp_gt_u32_e32 vcc, 8, v42
	v_lshrrev_b32_e32 v58, 3, v42
	v_sub_u32_e32 v22, 29, v59
	v_cndmask_b32_e32 v42, v54, v56, vcc
	v_mov_b32_e32 v54, 24
	v_cndmask_b32_e32 v22, v58, v22, vcc
	v_lshlrev_b32_sdwa v54, v54, v23 dst_sel:DWORD dst_unused:UNUSED_PAD src0_sel:DWORD src1_sel:WORD_1
	v_bfrev_b32_e32 v56, 60
	v_lshlrev_b32_e32 v42, 20, v42
	v_and_b32_e32 v54, 0x80000000, v54
	v_lshl_add_u32 v22, v22, 23, v56
	v_or3_b32 v54, v54, v22, v42
.LBB584_341:
	s_or_b64 exec, exec, s[10:11]
.LBB584_342:
	s_or_b64 exec, exec, s[8:9]
.LBB584_343:
	s_or_b64 exec, exec, s[2:3]
	s_mov_b32 s2, 0xffffff
	v_cmp_lt_u32_e32 vcc, s2, v23
	v_mov_b32_e32 v42, 0
	v_mov_b32_e32 v56, 0
	s_and_saveexec_b64 s[2:3], vcc
	s_cbranch_execz .LBB584_349
; %bb.344:
	v_lshrrev_b32_e32 v22, 24, v23
	s_movk_i32 s8, 0x80
	v_cmp_ne_u32_e32 vcc, s8, v22
	v_bfrev_b32_e32 v56, 1
	s_and_saveexec_b64 s[8:9], vcc
	s_cbranch_execz .LBB584_348
; %bb.345:
	v_bfe_u32 v23, v23, 24, 7
	s_movk_i32 s10, 0x7f
	v_cmp_ne_u32_e32 vcc, s10, v23
	v_mov_b32_e32 v56, 0x7f800001
	s_and_saveexec_b64 s[10:11], vcc
	s_cbranch_execz .LBB584_347
; %bb.346:
	v_and_b32_e32 v58, 7, v22
	v_ffbh_u32_e32 v56, v58
	v_min_u32_e32 v60, 32, v56
	v_subrev_u32_e32 v56, 28, v60
	v_lshlrev_b64 v[56:57], v56, v[22:23]
	v_lshrrev_b32_e32 v59, 3, v23
	v_sub_u32_e32 v57, 29, v60
	v_and_b32_e32 v56, 7, v56
	v_cmp_gt_u32_e32 vcc, 8, v23
	v_cndmask_b32_e32 v23, v59, v57, vcc
	v_cndmask_b32_e32 v56, v58, v56, vcc
	v_lshlrev_b32_e32 v22, 24, v22
	v_bfrev_b32_e32 v57, 60
	v_lshlrev_b32_e32 v56, 20, v56
	v_and_b32_e32 v22, 0x80000000, v22
	v_lshl_add_u32 v23, v23, 23, v57
	v_or3_b32 v56, v22, v23, v56
.LBB584_347:
	s_or_b64 exec, exec, s[10:11]
.LBB584_348:
	s_or_b64 exec, exec, s[8:9]
.LBB584_349:
	s_or_b64 exec, exec, s[2:3]
	v_cvt_pkrtz_f16_f32 v22, v53, v44
	v_cvt_pkrtz_f16_f32 v23, v43, v52
	v_cmp_ne_u16_sdwa s[8:9], v24, v42 src0_sel:BYTE_0 src1_sel:DWORD
	s_nop 0
	v_mfma_f32_16x16x16f16 v[58:61], v[22:23], v[26:27], 0
	v_cvt_pkrtz_f16_f32 v22, v45, v55
	v_cvt_pkrtz_f16_f32 v23, v54, v56
	s_nop 1
	v_mfma_f32_16x16x16f16 v[26:29], v[22:23], v[28:29], v[58:61]
	s_and_saveexec_b64 s[2:3], s[8:9]
	s_cbranch_execz .LBB584_355
; %bb.350:
	s_movk_i32 s8, 0x80
	v_cmp_ne_u16_sdwa s[10:11], v24, s8 src0_sel:BYTE_0 src1_sel:DWORD
	v_bfrev_b32_e32 v42, 1
	s_and_saveexec_b64 s[8:9], s[10:11]
	s_cbranch_execz .LBB584_354
; %bb.351:
	s_movk_i32 s10, 0x7f
	v_and_b32_e32 v22, 0x7f, v24
	v_cmp_ne_u32_e32 vcc, s10, v22
	v_mov_b32_e32 v42, 0x7f800001
	s_and_saveexec_b64 s[10:11], vcc
	s_cbranch_execz .LBB584_353
; %bb.352:
	v_and_b32_e32 v23, 7, v24
	v_ffbh_u32_e32 v42, v23
	v_min_u32_e32 v45, 32, v42
	v_subrev_u32_e32 v42, 28, v45
	v_lshlrev_b64 v[42:43], v42, v[24:25]
	v_lshrrev_b32_e32 v44, 3, v22
	v_sub_u32_e32 v43, 29, v45
	v_and_b32_e32 v42, 7, v42
	v_cmp_gt_u32_e32 vcc, 8, v22
	v_cndmask_b32_e32 v22, v44, v43, vcc
	v_cndmask_b32_e32 v23, v23, v42, vcc
	v_lshlrev_b32_e32 v42, 24, v24
	v_bfrev_b32_e32 v43, 60
	v_lshlrev_b32_e32 v23, 20, v23
	v_and_b32_e32 v42, 0x80000000, v42
	v_lshl_add_u32 v22, v22, 23, v43
	v_or3_b32 v42, v42, v22, v23
.LBB584_353:
	s_or_b64 exec, exec, s[10:11]
.LBB584_354:
	s_or_b64 exec, exec, s[8:9]
.LBB584_355:
	s_or_b64 exec, exec, s[2:3]
	v_lshrrev_b16_e32 v22, 8, v24
	v_cmp_ne_u16_e32 vcc, 0, v22
	v_mov_b32_e32 v23, 0
	v_mov_b32_e32 v43, 0
	s_and_saveexec_b64 s[2:3], vcc
	s_cbranch_execz .LBB584_361
; %bb.356:
	s_movk_i32 s8, 0x80
	v_cmp_ne_u16_e32 vcc, s8, v22
	v_bfrev_b32_e32 v43, 1
	s_and_saveexec_b64 s[8:9], vcc
	s_cbranch_execz .LBB584_360
; %bb.357:
	s_movk_i32 s10, 0x7f
	v_and_b32_e32 v44, 0x7f, v22
	v_cmp_ne_u32_e32 vcc, s10, v44
	v_mov_b32_e32 v43, 0x7f800001
	s_and_saveexec_b64 s[10:11], vcc
	s_cbranch_execz .LBB584_359
; %bb.358:
	v_and_b32_e32 v43, 7, v22
	v_ffbh_u32_e32 v52, v43
	v_min_u32_e32 v54, 32, v52
	v_subrev_u32_e32 v52, 28, v54
	v_lshlrev_b64 v[52:53], v52, v[22:23]
	v_lshrrev_b32_e32 v45, 3, v44
	v_sub_u32_e32 v22, 29, v54
	v_and_b32_e32 v52, 7, v52
	v_cmp_gt_u32_e32 vcc, 8, v44
	v_cndmask_b32_e32 v22, v45, v22, vcc
	v_cndmask_b32_e32 v43, v43, v52, vcc
	v_lshlrev_b32_e32 v44, 16, v24
	v_bfrev_b32_e32 v45, 60
	v_lshlrev_b32_e32 v43, 20, v43
	v_and_b32_e32 v44, 0x80000000, v44
	v_lshl_add_u32 v22, v22, 23, v45
	v_or3_b32 v43, v44, v22, v43
.LBB584_359:
	s_or_b64 exec, exec, s[10:11]
.LBB584_360:
	s_or_b64 exec, exec, s[8:9]
.LBB584_361:
	s_or_b64 exec, exec, s[2:3]
	s_movk_i32 s2, 0xff
	v_and_b32_sdwa v44, v24, s2 dst_sel:DWORD dst_unused:UNUSED_PAD src0_sel:WORD_1 src1_sel:DWORD
	v_lshrrev_b32_e32 v22, 16, v24
	v_cmp_ne_u16_e32 vcc, 0, v44
	s_and_saveexec_b64 s[2:3], vcc
	s_cbranch_execz .LBB584_367
; %bb.362:
	s_movk_i32 s8, 0x80
	v_cmp_ne_u16_e32 vcc, s8, v44
	v_bfrev_b32_e32 v23, 1
	s_and_saveexec_b64 s[8:9], vcc
	s_cbranch_execz .LBB584_366
; %bb.363:
	v_bfe_u32 v44, v24, 16, 7
	s_movk_i32 s10, 0x7f
	v_cmp_ne_u32_e32 vcc, s10, v44
	v_mov_b32_e32 v23, 0x7f800001
	s_and_saveexec_b64 s[10:11], vcc
	s_cbranch_execz .LBB584_365
; %bb.364:
	v_and_b32_e32 v45, 7, v22
	v_ffbh_u32_e32 v23, v45
	v_min_u32_e32 v53, 32, v23
	v_subrev_u32_e32 v23, 28, v53
	v_lshlrev_b64 v[22:23], v23, v[22:23]
	v_lshrrev_b32_e32 v52, 3, v44
	v_sub_u32_e32 v23, 29, v53
	v_and_b32_e32 v22, 7, v22
	v_cmp_gt_u32_e32 vcc, 8, v44
	v_mov_b32_e32 v44, 24
	v_cndmask_b32_e32 v23, v52, v23, vcc
	v_cndmask_b32_e32 v22, v45, v22, vcc
	v_lshlrev_b32_sdwa v44, v44, v24 dst_sel:DWORD dst_unused:UNUSED_PAD src0_sel:DWORD src1_sel:WORD_1
	v_bfrev_b32_e32 v45, 60
	v_lshlrev_b32_e32 v22, 20, v22
	v_and_b32_e32 v44, 0x80000000, v44
	v_lshl_add_u32 v23, v23, 23, v45
	v_or3_b32 v23, v44, v23, v22
.LBB584_365:
	s_or_b64 exec, exec, s[10:11]
.LBB584_366:
	s_or_b64 exec, exec, s[8:9]
.LBB584_367:
	s_or_b64 exec, exec, s[2:3]
	s_mov_b32 s2, 0xffffff
	v_cmp_lt_u32_e32 vcc, s2, v24
	v_mov_b32_e32 v45, 0
	v_mov_b32_e32 v52, 0
	s_and_saveexec_b64 s[2:3], vcc
	s_cbranch_execz .LBB584_373
; %bb.368:
	v_lshrrev_b32_e32 v22, 24, v24
	s_movk_i32 s8, 0x80
	v_cmp_ne_u32_e32 vcc, s8, v22
	v_bfrev_b32_e32 v52, 1
	s_and_saveexec_b64 s[8:9], vcc
	s_cbranch_execz .LBB584_372
; %bb.369:
	v_bfe_u32 v24, v24, 24, 7
	s_movk_i32 s10, 0x7f
	v_cmp_ne_u32_e32 vcc, s10, v24
	v_mov_b32_e32 v52, 0x7f800001
	s_and_saveexec_b64 s[10:11], vcc
	s_cbranch_execz .LBB584_371
; %bb.370:
	v_and_b32_e32 v44, 7, v22
	v_ffbh_u32_e32 v52, v44
	v_min_u32_e32 v55, 32, v52
	v_subrev_u32_e32 v52, 28, v55
	v_lshlrev_b64 v[52:53], v52, v[22:23]
	v_lshrrev_b32_e32 v54, 3, v24
	v_sub_u32_e32 v53, 29, v55
	v_and_b32_e32 v52, 7, v52
	v_cmp_gt_u32_e32 vcc, 8, v24
	v_cndmask_b32_e32 v24, v54, v53, vcc
	v_cndmask_b32_e32 v44, v44, v52, vcc
	v_lshlrev_b32_e32 v22, 24, v22
	v_bfrev_b32_e32 v52, 60
	v_lshlrev_b32_e32 v44, 20, v44
	v_and_b32_e32 v22, 0x80000000, v22
	v_lshl_add_u32 v24, v24, 23, v52
	v_or3_b32 v52, v22, v24, v44
.LBB584_371:
	s_or_b64 exec, exec, s[10:11]
.LBB584_372:
	s_or_b64 exec, exec, s[8:9]
.LBB584_373:
	s_or_b64 exec, exec, s[2:3]
	v_cmp_ne_u16_sdwa s[8:9], v25, v45 src0_sel:BYTE_0 src1_sel:DWORD
	s_and_saveexec_b64 s[2:3], s[8:9]
	s_cbranch_execz .LBB584_379
; %bb.374:
	s_movk_i32 s8, 0x80
	v_cmp_ne_u16_sdwa s[10:11], v25, s8 src0_sel:BYTE_0 src1_sel:DWORD
	v_bfrev_b32_e32 v45, 1
	s_and_saveexec_b64 s[8:9], s[10:11]
	s_cbranch_execz .LBB584_378
; %bb.375:
	s_movk_i32 s10, 0x7f
	v_and_b32_e32 v22, 0x7f, v25
	v_cmp_ne_u32_e32 vcc, s10, v22
	v_mov_b32_e32 v45, 0x7f800001
	s_and_saveexec_b64 s[10:11], vcc
	s_cbranch_execz .LBB584_377
; %bb.376:
	v_and_b32_e32 v53, 7, v25
	v_ffbh_u32_e32 v44, v53
	v_min_u32_e32 v55, 32, v44
	v_mov_b32_e32 v24, v25
	v_subrev_u32_e32 v44, 28, v55
	v_lshlrev_b64 v[44:45], v44, v[24:25]
	v_lshrrev_b32_e32 v54, 3, v22
	v_sub_u32_e32 v24, 29, v55
	v_and_b32_e32 v44, 7, v44
	v_cmp_gt_u32_e32 vcc, 8, v22
	v_cndmask_b32_e32 v22, v54, v24, vcc
	v_cndmask_b32_e32 v24, v53, v44, vcc
	v_lshlrev_b32_e32 v44, 24, v25
	v_bfrev_b32_e32 v45, 60
	v_lshlrev_b32_e32 v24, 20, v24
	v_and_b32_e32 v44, 0x80000000, v44
	v_lshl_add_u32 v22, v22, 23, v45
	v_or3_b32 v45, v44, v22, v24
.LBB584_377:
	s_or_b64 exec, exec, s[10:11]
.LBB584_378:
	s_or_b64 exec, exec, s[8:9]
.LBB584_379:
	s_or_b64 exec, exec, s[2:3]
	v_lshrrev_b16_e32 v22, 8, v25
	v_cmp_ne_u16_e32 vcc, 0, v22
	v_mov_b32_e32 v53, 0
	v_mov_b32_e32 v54, 0
	s_and_saveexec_b64 s[2:3], vcc
	s_cbranch_execz .LBB584_385
; %bb.380:
	s_movk_i32 s8, 0x80
	v_cmp_ne_u16_e32 vcc, s8, v22
	v_bfrev_b32_e32 v54, 1
	s_and_saveexec_b64 s[8:9], vcc
	s_cbranch_execz .LBB584_384
; %bb.381:
	s_movk_i32 s10, 0x7f
	v_and_b32_e32 v24, 0x7f, v22
	v_cmp_ne_u32_e32 vcc, s10, v24
	v_mov_b32_e32 v54, 0x7f800001
	s_and_saveexec_b64 s[10:11], vcc
	s_cbranch_execz .LBB584_383
; %bb.382:
	v_and_b32_e32 v44, 7, v22
	v_ffbh_u32_e32 v54, v44
	v_min_u32_e32 v57, 32, v54
	v_subrev_u32_e32 v54, 28, v57
	v_lshlrev_b64 v[54:55], v54, v[22:23]
	v_lshrrev_b32_e32 v56, 3, v24
	v_sub_u32_e32 v22, 29, v57
	v_and_b32_e32 v54, 7, v54
	v_cmp_gt_u32_e32 vcc, 8, v24
	v_cndmask_b32_e32 v22, v56, v22, vcc
	v_cndmask_b32_e32 v24, v44, v54, vcc
	v_lshlrev_b32_e32 v44, 16, v25
	v_bfrev_b32_e32 v54, 60
	v_lshlrev_b32_e32 v24, 20, v24
	v_and_b32_e32 v44, 0x80000000, v44
	v_lshl_add_u32 v22, v22, 23, v54
	v_or3_b32 v54, v44, v22, v24
.LBB584_383:
	s_or_b64 exec, exec, s[10:11]
.LBB584_384:
	s_or_b64 exec, exec, s[8:9]
.LBB584_385:
	s_or_b64 exec, exec, s[2:3]
	s_movk_i32 s2, 0xff
	v_and_b32_sdwa v24, v25, s2 dst_sel:DWORD dst_unused:UNUSED_PAD src0_sel:WORD_1 src1_sel:DWORD
	v_lshrrev_b32_e32 v22, 16, v25
	v_cmp_ne_u16_e32 vcc, 0, v24
	s_and_saveexec_b64 s[2:3], vcc
	s_cbranch_execz .LBB584_391
; %bb.386:
	s_movk_i32 s8, 0x80
	v_cmp_ne_u16_e32 vcc, s8, v24
	v_bfrev_b32_e32 v53, 1
	s_and_saveexec_b64 s[8:9], vcc
	s_cbranch_execz .LBB584_390
; %bb.387:
	v_bfe_u32 v24, v25, 16, 7
	s_movk_i32 s10, 0x7f
	v_cmp_ne_u32_e32 vcc, s10, v24
	v_mov_b32_e32 v53, 0x7f800001
	s_and_saveexec_b64 s[10:11], vcc
	s_cbranch_execz .LBB584_389
; %bb.388:
	v_and_b32_e32 v44, 7, v22
	v_ffbh_u32_e32 v55, v44
	v_min_u32_e32 v55, 32, v55
	v_subrev_u32_e32 v56, 28, v55
	v_lshlrev_b64 v[56:57], v56, v[22:23]
	v_sub_u32_e32 v22, 29, v55
	v_and_b32_e32 v55, 7, v56
	v_cmp_gt_u32_e32 vcc, 8, v24
	v_lshrrev_b32_e32 v53, 3, v24
	v_cndmask_b32_e32 v24, v44, v55, vcc
	v_mov_b32_e32 v44, 24
	v_cndmask_b32_e32 v22, v53, v22, vcc
	v_lshlrev_b32_sdwa v44, v44, v25 dst_sel:DWORD dst_unused:UNUSED_PAD src0_sel:DWORD src1_sel:WORD_1
	v_bfrev_b32_e32 v53, 60
	v_lshlrev_b32_e32 v24, 20, v24
	v_and_b32_e32 v44, 0x80000000, v44
	v_lshl_add_u32 v22, v22, 23, v53
	v_or3_b32 v53, v44, v22, v24
.LBB584_389:
	s_or_b64 exec, exec, s[10:11]
.LBB584_390:
	s_or_b64 exec, exec, s[8:9]
.LBB584_391:
	s_or_b64 exec, exec, s[2:3]
	s_mov_b32 s2, 0xffffff
	v_and_b32_e32 v44, 63, v0
	v_cmp_lt_u32_e32 vcc, s2, v25
	v_mov_b32_e32 v55, 0
	s_and_saveexec_b64 s[2:3], vcc
	s_cbranch_execz .LBB584_397
; %bb.392:
	v_lshrrev_b32_e32 v22, 24, v25
	s_movk_i32 s8, 0x80
	v_cmp_ne_u32_e32 vcc, s8, v22
	v_bfrev_b32_e32 v55, 1
	s_and_saveexec_b64 s[8:9], vcc
	s_cbranch_execz .LBB584_396
; %bb.393:
	v_bfe_u32 v24, v25, 24, 7
	s_movk_i32 s10, 0x7f
	v_cmp_ne_u32_e32 vcc, s10, v24
	v_mov_b32_e32 v55, 0x7f800001
	s_and_saveexec_b64 s[10:11], vcc
	s_cbranch_execz .LBB584_395
; %bb.394:
	v_and_b32_e32 v25, 7, v22
	v_ffbh_u32_e32 v56, v25
	v_min_u32_e32 v58, 32, v56
	v_subrev_u32_e32 v56, 28, v58
	v_lshlrev_b64 v[56:57], v56, v[22:23]
	v_lshrrev_b32_e32 v55, 3, v24
	v_sub_u32_e32 v57, 29, v58
	v_and_b32_e32 v56, 7, v56
	v_cmp_gt_u32_e32 vcc, 8, v24
	v_cndmask_b32_e32 v24, v55, v57, vcc
	v_cndmask_b32_e32 v25, v25, v56, vcc
	v_lshlrev_b32_e32 v22, 24, v22
	v_bfrev_b32_e32 v55, 60
	v_lshlrev_b32_e32 v25, 20, v25
	v_and_b32_e32 v22, 0x80000000, v22
	v_lshl_add_u32 v24, v24, 23, v55
	v_or3_b32 v55, v22, v24, v25
.LBB584_395:
	s_or_b64 exec, exec, s[10:11]
.LBB584_396:
	s_or_b64 exec, exec, s[8:9]
.LBB584_397:
	s_or_b64 exec, exec, s[2:3]
	v_cvt_pkrtz_f16_f32 v42, v42, v43
	v_cvt_pkrtz_f16_f32 v43, v23, v52
	s_load_dword s2, s[4:5], 0x1c
	s_mov_b32 s46, 0xff7fffff
	s_waitcnt lgkmcnt(0)
	v_mfma_f32_16x16x16f16 v[26:29], v[42:43], v[18:19], v[26:29]
	v_cvt_pkrtz_f16_f32 v18, v45, v54
	v_cvt_pkrtz_f16_f32 v19, v53, v55
	v_mov_b32_e32 v22, s2
	v_mul_f32_e32 v52, s12, v22
	v_pk_mul_f32 v[22:23], v[52:53], v[32:33] op_sel_hi:[0,1]
	v_pk_mul_f32 v[32:33], v[52:53], v[38:39] op_sel_hi:[0,1]
	v_and_b32_e32 v38, 0xc0, v0
	v_mfma_f32_16x16x16f16 v[26:29], v[18:19], v[20:21], v[26:29]
	v_add_u32_e32 v38, s18, v38
	v_lshl_or_b32 v38, v1, 2, v38
	v_or_b32_e32 v39, 1, v38
	v_pk_mul_f32 v[24:25], v[52:53], v[30:31] op_sel_hi:[0,1]
	v_pk_mul_f32 v[30:31], v[52:53], v[40:41] op_sel_hi:[0,1]
	v_subrev_u32_e32 v40, s33, v39
	v_pk_mul_f32 v[34:35], v[52:53], v[34:35] op_sel_hi:[0,1]
	s_nop 3
	v_pk_mul_f32 v[20:21], v[52:53], v[26:27] op_sel_hi:[0,1]
	v_add_u32_e32 v27, 1, v40
	v_pk_mul_f32 v[18:19], v[52:53], v[28:29] op_sel_hi:[0,1]
	v_cvt_f32_i32_e32 v27, v27
	v_add_u32_e32 v29, 3, v40
	v_cvt_f32_i32_e32 v29, v29
	v_cvt_f32_i32_e32 v26, v40
	v_pk_mul_f32 v[36:37], v[52:53], v[36:37] op_sel_hi:[0,1]
	v_fmac_f32_e32 v35, v51, v27
	v_add_u32_e32 v27, 16, v40
	v_fmac_f32_e32 v37, v51, v29
	v_cvt_f32_i32_e32 v27, v27
	v_add_u32_e32 v29, 17, v40
	v_fma_f32 v26, v51, v26, v34
	v_cvt_f32_i32_e32 v29, v29
	v_add_u32_e32 v34, 18, v40
	v_cvt_f32_i32_e32 v34, v34
	v_fma_f32 v41, v51, v27, v32
	v_add_u32_e32 v27, 32, v40
	v_fmac_f32_e32 v33, v51, v29
	v_cvt_f32_i32_e32 v27, v27
	v_add_u32_e32 v29, 33, v40
	v_add_u32_e32 v32, 34, v40
	v_fma_f32 v30, v51, v34, v30
	v_cvt_f32_i32_e32 v29, v29
	v_cvt_f32_i32_e32 v32, v32
	v_add_u32_e32 v34, 35, v40
	v_cvt_f32_i32_e32 v34, v34
	v_fma_f32 v24, v51, v27, v24
	v_add_u32_e32 v27, 48, v40
	v_fmac_f32_e32 v25, v51, v29
	v_fma_f32 v22, v51, v32, v22
	v_cvt_f32_i32_e32 v27, v27
	v_add_u32_e32 v29, 49, v40
	v_add_u32_e32 v32, 50, v40
	v_fmac_f32_e32 v23, v51, v34
	v_cvt_f32_i32_e32 v29, v29
	v_cvt_f32_i32_e32 v32, v32
	v_add_u32_e32 v34, 51, v40
	v_add_u32_e32 v28, 2, v40
	v_cvt_f32_i32_e32 v34, v34
	v_cvt_f32_i32_e32 v28, v28
	v_fma_f32 v20, v51, v27, v20
	v_mov_b32_e32 v27, 0xff7fffff
	v_cmp_gt_i32_e64 s[26:27], s33, v38
	v_cmp_gt_i32_e64 s[28:29], s33, v39
	v_fmac_f32_e32 v21, v51, v29
	v_fma_f32 v18, v51, v32, v18
	v_cndmask_b32_e64 v29, v27, v26, s[26:27]
	v_cndmask_b32_e64 v32, v27, v35, s[28:29]
	v_fmac_f32_e32 v19, v51, v34
	v_max3_f32 v29, v29, s46, v32
	v_or_b32_e32 v32, 2, v38
	v_or_b32_e32 v34, 3, v38
	v_fma_f32 v28, v51, v28, v36
	v_cmp_gt_i32_e64 s[30:31], s33, v32
	v_cmp_gt_i32_e64 s[34:35], s33, v34
	v_add_u32_e32 v36, 19, v40
	v_cndmask_b32_e64 v32, v27, v28, s[30:31]
	v_cndmask_b32_e64 v34, v27, v37, s[34:35]
	v_cvt_f32_i32_e32 v36, v36
	v_max3_f32 v29, v29, v32, v34
	v_or_b32_e32 v32, 16, v38
	v_or_b32_e32 v34, 17, v38
	v_cmp_gt_i32_e64 s[36:37], s33, v32
	v_cmp_gt_i32_e64 s[38:39], s33, v34
	v_cndmask_b32_e64 v32, v27, v41, s[36:37]
	v_cndmask_b32_e64 v34, v27, v33, s[38:39]
	v_max3_f32 v29, v29, v32, v34
	v_or_b32_e32 v32, 18, v38
	v_or_b32_e32 v34, 19, v38
	v_fmac_f32_e32 v31, v51, v36
	v_cmp_gt_i32_e64 s[20:21], s33, v32
	v_cmp_gt_i32_e64 s[22:23], s33, v34
	v_cndmask_b32_e64 v32, v27, v30, s[20:21]
	v_cndmask_b32_e64 v34, v27, v31, s[22:23]
	v_max3_f32 v29, v29, v32, v34
	v_or_b32_e32 v32, 32, v38
	v_or_b32_e32 v34, 33, v38
	v_cmp_gt_i32_e64 s[16:17], s33, v32
	v_cmp_gt_i32_e64 s[18:19], s33, v34
	v_cndmask_b32_e64 v32, v27, v24, s[16:17]
	v_cndmask_b32_e64 v34, v27, v25, s[18:19]
	v_max3_f32 v29, v29, v32, v34
	v_or_b32_e32 v32, 34, v38
	v_or_b32_e32 v34, 35, v38
	;; [unrolled: 7-line block ×4, first 2 shown]
	v_cmp_gt_i32_e32 vcc, s33, v32
	v_cmp_gt_i32_e64 s[2:3], s33, v34
	v_cndmask_b32_e32 v32, v27, v18, vcc
	v_cndmask_b32_e64 v27, v27, v19, s[2:3]
	v_max3_f32 v27, v29, v32, v27
	v_mbcnt_lo_u32_b32 v29, -1, 0
	v_mbcnt_hi_u32_b32 v29, -1, v29
	v_and_b32_e32 v32, 64, v29
	v_add_u32_e32 v32, 64, v32
	v_xor_b32_e32 v34, 32, v29
	v_cmp_lt_i32_e64 s[40:41], v34, v32
	v_cndmask_b32_e64 v34, v29, v34, s[40:41]
	v_lshlrev_b32_e32 v36, 2, v34
	ds_bpermute_b32 v34, v36, v27
	s_barrier
	s_waitcnt lgkmcnt(0)
	v_max_f32_e32 v34, v34, v34
	v_max_f32_e32 v27, v27, v34
	v_xor_b32_e32 v34, 16, v29
	v_cmp_lt_i32_e64 s[40:41], v34, v32
	v_cndmask_b32_e64 v29, v29, v34, s[40:41]
	v_lshlrev_b32_e32 v38, 2, v29
	ds_bpermute_b32 v29, v38, v27
	s_waitcnt lgkmcnt(0)
	v_max_f32_e32 v29, v29, v29
	v_max_f32_e32 v32, v27, v29
	v_sub_f32_e32 v26, v26, v32
	v_mul_f32_e32 v26, 0x3fb8aa3b, v26
	v_sub_f32_e32 v27, v35, v32
	v_exp_f32_e32 v26, v26
	v_mul_f32_e32 v27, 0x3fb8aa3b, v27
	v_sub_f32_e32 v28, v28, v32
	v_exp_f32_e32 v27, v27
	v_mul_f32_e32 v28, 0x3fb8aa3b, v28
	v_exp_f32_e32 v28, v28
	v_cndmask_b32_e64 v26, 0, v26, s[26:27]
	v_sub_f32_e32 v34, v37, v32
	v_add_f32_e32 v29, 0, v26
	v_cndmask_b32_e64 v27, 0, v27, s[28:29]
	v_mul_f32_e32 v34, 0x3fb8aa3b, v34
	v_exp_f32_e32 v35, v34
	v_add_f32_e32 v29, v29, v27
	v_cndmask_b32_e64 v34, 0, v28, s[30:31]
	v_add_f32_e32 v28, v29, v34
	v_sub_f32_e32 v29, v41, v32
	v_mul_f32_e32 v29, 0x3fb8aa3b, v29
	v_sub_f32_e32 v33, v33, v32
	v_exp_f32_e32 v29, v29
	v_mul_f32_e32 v33, 0x3fb8aa3b, v33
	v_sub_f32_e32 v30, v30, v32
	v_exp_f32_e32 v33, v33
	;; [unrolled: 3-line block ×3, first 2 shown]
	v_mul_f32_e32 v31, 0x3fb8aa3b, v31
	v_sub_f32_e32 v24, v24, v32
	v_cndmask_b32_e64 v35, 0, v35, s[34:35]
	v_exp_f32_e32 v31, v31
	v_mul_f32_e32 v24, 0x3fb8aa3b, v24
	v_sub_f32_e32 v25, v25, v32
	v_add_f32_e32 v37, v28, v35
	v_cndmask_b32_e64 v28, 0, v29, s[36:37]
	v_exp_f32_e32 v24, v24
	v_mul_f32_e32 v25, 0x3fb8aa3b, v25
	v_sub_f32_e32 v22, v22, v32
	v_add_f32_e32 v37, v37, v28
	;; [unrolled: 5-line block ×7, first 2 shown]
	v_cndmask_b32_e64 v22, 0, v22, s[12:13]
	v_exp_f32_e32 v18, v18
	v_mul_f32_e32 v19, 0x3fb8aa3b, v19
	v_add_f32_e32 v33, v33, v22
	v_cndmask_b32_e64 v23, 0, v23, s[14:15]
	v_exp_f32_e32 v19, v19
	v_add_f32_e32 v33, v33, v23
	v_cndmask_b32_e64 v20, 0, v20, s[8:9]
	v_add_f32_e32 v33, v33, v20
	v_cndmask_b32_e64 v21, 0, v21, s[10:11]
	v_add_f32_e32 v33, v33, v21
	v_cndmask_b32_e32 v18, 0, v18, vcc
	v_add_f32_e32 v33, v33, v18
	v_cndmask_b32_e64 v19, 0, v19, s[2:3]
	v_add_f32_e32 v33, v33, v19
	ds_bpermute_b32 v36, v36, v33
	v_cmp_gt_u32_e32 vcc, 16, v44
	s_waitcnt lgkmcnt(0)
	v_add_f32_e32 v33, v33, v36
	ds_bpermute_b32 v37, v38, v33
	v_lshlrev_b32_e32 v36, 2, v49
	s_and_saveexec_b64 s[2:3], vcc
	s_cbranch_execz .LBB584_399
; %bb.398:
	s_waitcnt lgkmcnt(0)
	v_add_f32_e32 v33, v33, v37
	v_lshl_or_b32 v37, v50, 6, v36
	ds_write2st64_b32 v37, v32, v33 offset1:1
.LBB584_399:
	s_or_b64 exec, exec, s[2:3]
	s_waitcnt lgkmcnt(0)
	s_barrier
	ds_read2_b32 v[38:39], v36 offset1:16
	ds_read2_b32 v[40:41], v36 offset0:32 offset1:48
	ds_read2_b32 v[42:43], v36 offset0:64 offset1:80
	s_mul_i32 s12, s45, 11
	s_waitcnt lgkmcnt(2)
	v_max3_f32 v32, v38, s46, v39
	s_waitcnt lgkmcnt(1)
	v_max3_f32 v33, v32, v40, v41
	v_sub_f32_e32 v32, v38, v33
	v_mul_f32_e32 v32, 0x3fb8aa3b, v32
	v_exp_f32_e32 v37, v32
	v_sub_f32_e32 v32, v39, v33
	v_mul_f32_e32 v32, 0x3fb8aa3b, v32
	v_exp_f32_e32 v44, v32
	;; [unrolled: 3-line block ×3, first 2 shown]
	ds_read2_b32 v[38:39], v36 offset0:96 offset1:112
	v_sub_f32_e32 v32, v41, v33
	v_mul_f32_e32 v32, 0x3fb8aa3b, v32
	v_exp_f32_e32 v41, v32
	s_waitcnt lgkmcnt(1)
	v_fma_f32 v36, v37, v42, 0
	v_fmac_f32_e32 v36, v44, v43
	s_waitcnt lgkmcnt(0)
	v_fmac_f32_e32 v36, v40, v38
	v_fmac_f32_e32 v36, v41, v39
	v_add_f32_e32 v38, 0x358637bd, v36
	v_div_scale_f32 v39, s[2:3], v38, v38, 1.0
	v_rcp_f32_e32 v42, v39
	s_barrier
	v_fma_f32 v43, -v39, v42, 1.0
	v_fmac_f32_e32 v42, v43, v42
	v_div_scale_f32 v43, vcc, 1.0, v38, 1.0
	v_mul_f32_e32 v45, v43, v42
	v_fma_f32 v51, -v39, v45, v43
	v_fmac_f32_e32 v45, v51, v42
	v_fma_f32 v39, -v39, v45, v43
	v_div_fmas_f32 v39, v39, v42, v45
	v_cmp_eq_u32_e32 vcc, 1, v50
	v_cndmask_b32_e32 v37, v37, v44, vcc
	v_cmp_eq_u32_e32 vcc, 2, v50
	v_cndmask_b32_e32 v37, v37, v40, vcc
	v_cmp_eq_u32_e32 vcc, 3, v50
	v_div_fixup_f32 v38, v39, v38, 1.0
	v_cndmask_b32_e32 v37, v37, v41, vcc
	v_mul_f32_e32 v38, v37, v38
	v_pk_mul_f32 v[26:27], v[38:39], v[26:27] op_sel_hi:[0,1]
	v_cvt_f16_f32_e32 v26, v26
	v_cvt_f16_f32_e32 v27, v27
	v_pk_mul_f32 v[34:35], v[38:39], v[34:35] op_sel_hi:[0,1]
	v_cvt_f16_f32_e32 v37, v34
	v_cvt_f16_f32_e32 v35, v35
	v_pack_b32_f16 v34, v26, v27
	v_pk_mul_f32 v[26:27], v[38:39], v[30:31] op_sel_hi:[0,1]
	v_pk_mul_f32 v[28:29], v[38:39], v[28:29] op_sel_hi:[0,1]
	v_cvt_f16_f32_e32 v28, v28
	v_cvt_f16_f32_e32 v29, v29
	;; [unrolled: 1-line block ×4, first 2 shown]
	v_pack_b32_f16 v35, v37, v35
	v_lshlrev_b32_e32 v37, 3, v1
	v_lshlrev_b32_e32 v26, 11, v50
	v_or3_b32 v26, v26, v48, v37
	v_pack_b32_f16 v28, v28, v29
	v_pack_b32_f16 v29, v30, v27
	v_pk_mul_f32 v[22:23], v[38:39], v[22:23] op_sel_hi:[0,1]
	v_pk_mul_f32 v[24:25], v[38:39], v[24:25] op_sel_hi:[0,1]
	;; [unrolled: 1-line block ×4, first 2 shown]
	ds_write2st64_b64 v26, v[34:35], v[28:29] offset1:1
	v_cvt_f16_f32_e32 v24, v24
	v_cvt_f16_f32_e32 v25, v25
	;; [unrolled: 1-line block ×8, first 2 shown]
	v_mov_b32_e32 v32, 0
	v_pack_b32_f16 v18, v24, v25
	v_pack_b32_f16 v19, v22, v23
	;; [unrolled: 1-line block ×4, first 2 shown]
	v_cmp_gt_u32_e32 vcc, 11, v0
	ds_write2st64_b64 v26, v[18:19], v[20:21] offset0:2 offset1:3
	s_and_saveexec_b64 s[2:3], vcc
	s_cbranch_execz .LBB584_401
; %bb.400:
	v_add_co_u32_e32 v20, vcc, s25, v49
	v_addc_co_u32_e64 v21, s[14:15], 0, 0, vcc
	v_mov_b32_e32 v18, s12
	v_mov_b32_e32 v19, 0
	v_mad_u64_u32 v[20:21], s[14:15], s6, v18, v[20:21]
	v_mov_b32_e32 v18, s24
	s_load_dwordx4 s[8:11], s[4:5], 0x58
	s_mul_i32 s7, s7, s12
	v_mad_u64_u32 v[18:19], s[14:15], v20, s44, v[18:19]
	v_add_u32_e32 v21, s7, v21
	v_mov_b32_e32 v20, v19
	v_mad_u64_u32 v[20:21], s[14:15], v21, s44, v[20:21]
	v_mov_b32_e32 v19, v20
	v_lshlrev_b64 v[18:19], 2, v[18:19]
	s_waitcnt lgkmcnt(0)
	v_mov_b32_e32 v21, s11
	v_add_co_u32_e32 v20, vcc, s10, v18
	v_addc_co_u32_e32 v21, vcc, v21, v19, vcc
	global_store_dword v[20:21], v33, off
	v_mov_b32_e32 v20, s9
	v_add_co_u32_e32 v18, vcc, s8, v18
	v_addc_co_u32_e32 v19, vcc, v20, v19, vcc
	global_store_dword v[18:19], v36, off
.LBB584_401:
	s_or_b64 exec, exec, s[2:3]
	v_mov_b32_e32 v19, 0
	s_waitcnt vmcnt(3)
	v_cmp_ne_u16_sdwa s[8:9], v14, v19 src0_sel:BYTE_0 src1_sel:DWORD
	s_waitcnt lgkmcnt(0)
	s_barrier
	s_and_saveexec_b64 s[2:3], s[8:9]
	s_cbranch_execz .LBB584_407
; %bb.402:
	s_movk_i32 s7, 0x80
	v_cmp_ne_u16_sdwa s[10:11], v14, s7 src0_sel:BYTE_0 src1_sel:DWORD
	v_bfrev_b32_e32 v32, 1
	s_and_saveexec_b64 s[8:9], s[10:11]
	s_cbranch_execz .LBB584_406
; %bb.403:
	s_movk_i32 s7, 0x7f
	v_and_b32_e32 v18, 0x7f, v14
	v_cmp_ne_u32_e32 vcc, s7, v18
	v_mov_b32_e32 v32, 0x7f800001
	s_and_saveexec_b64 s[10:11], vcc
	s_cbranch_execz .LBB584_405
; %bb.404:
	v_and_b32_e32 v22, 7, v14
	v_ffbh_u32_e32 v20, v22
	v_min_u32_e32 v24, 32, v20
	v_subrev_u32_e32 v20, 28, v24
	v_lshlrev_b64 v[20:21], v20, v[14:15]
	v_lshrrev_b32_e32 v23, 3, v18
	v_sub_u32_e32 v21, 29, v24
	v_and_b32_e32 v20, 7, v20
	v_cmp_gt_u32_e32 vcc, 8, v18
	v_cndmask_b32_e32 v18, v23, v21, vcc
	v_cndmask_b32_e32 v20, v22, v20, vcc
	v_lshlrev_b32_e32 v21, 24, v14
	v_bfrev_b32_e32 v22, 60
	v_lshlrev_b32_e32 v20, 20, v20
	v_and_b32_e32 v21, 0x80000000, v21
	v_lshl_add_u32 v18, v18, 23, v22
	v_or3_b32 v32, v21, v18, v20
.LBB584_405:
	s_or_b64 exec, exec, s[10:11]
.LBB584_406:
	s_or_b64 exec, exec, s[8:9]
.LBB584_407:
	s_or_b64 exec, exec, s[2:3]
	v_lshrrev_b16_e32 v18, 8, v14
	v_cmp_ne_u16_e32 vcc, 0, v18
	v_mov_b32_e32 v20, 0
	s_and_saveexec_b64 s[2:3], vcc
	s_cbranch_execz .LBB584_413
; %bb.408:
	s_movk_i32 s7, 0x80
	v_cmp_ne_u16_e32 vcc, s7, v18
	v_bfrev_b32_e32 v20, 1
	s_and_saveexec_b64 s[8:9], vcc
	s_cbranch_execz .LBB584_412
; %bb.409:
	s_movk_i32 s7, 0x7f
	v_and_b32_e32 v21, 0x7f, v18
	v_cmp_ne_u32_e32 vcc, s7, v21
	v_mov_b32_e32 v20, 0x7f800001
	s_and_saveexec_b64 s[10:11], vcc
	s_cbranch_execz .LBB584_411
; %bb.410:
	v_and_b32_e32 v20, 7, v18
	v_ffbh_u32_e32 v22, v20
	v_min_u32_e32 v25, 32, v22
	v_subrev_u32_e32 v22, 28, v25
	v_lshlrev_b64 v[22:23], v22, v[18:19]
	v_lshrrev_b32_e32 v24, 3, v21
	v_sub_u32_e32 v18, 29, v25
	v_and_b32_e32 v22, 7, v22
	v_cmp_gt_u32_e32 vcc, 8, v21
	v_cndmask_b32_e32 v18, v24, v18, vcc
	v_cndmask_b32_e32 v20, v20, v22, vcc
	v_lshlrev_b32_e32 v21, 16, v14
	v_bfrev_b32_e32 v22, 60
	v_lshlrev_b32_e32 v20, 20, v20
	v_and_b32_e32 v21, 0x80000000, v21
	v_lshl_add_u32 v18, v18, 23, v22
	v_or3_b32 v20, v21, v18, v20
.LBB584_411:
	s_or_b64 exec, exec, s[10:11]
.LBB584_412:
	s_or_b64 exec, exec, s[8:9]
.LBB584_413:
	s_or_b64 exec, exec, s[2:3]
	s_movk_i32 s2, 0xff
	v_and_b32_sdwa v21, v14, s2 dst_sel:DWORD dst_unused:UNUSED_PAD src0_sel:WORD_1 src1_sel:DWORD
	v_lshrrev_b32_e32 v18, 16, v14
	v_cmp_ne_u16_e32 vcc, 0, v21
	s_and_saveexec_b64 s[2:3], vcc
	s_cbranch_execz .LBB584_419
; %bb.414:
	s_movk_i32 s7, 0x80
	v_cmp_ne_u16_e32 vcc, s7, v21
	v_bfrev_b32_e32 v19, 1
	s_and_saveexec_b64 s[8:9], vcc
	s_cbranch_execz .LBB584_418
; %bb.415:
	v_bfe_u32 v21, v14, 16, 7
	s_movk_i32 s7, 0x7f
	v_cmp_ne_u32_e32 vcc, s7, v21
	v_mov_b32_e32 v19, 0x7f800001
	s_and_saveexec_b64 s[10:11], vcc
	s_cbranch_execz .LBB584_417
; %bb.416:
	v_and_b32_e32 v22, 7, v18
	v_ffbh_u32_e32 v19, v22
	v_min_u32_e32 v24, 32, v19
	v_subrev_u32_e32 v19, 28, v24
	v_lshlrev_b64 v[18:19], v19, v[18:19]
	v_lshrrev_b32_e32 v23, 3, v21
	v_sub_u32_e32 v19, 29, v24
	v_and_b32_e32 v18, 7, v18
	v_cmp_gt_u32_e32 vcc, 8, v21
	v_mov_b32_e32 v21, 24
	v_cndmask_b32_e32 v19, v23, v19, vcc
	v_cndmask_b32_e32 v18, v22, v18, vcc
	v_lshlrev_b32_sdwa v21, v21, v14 dst_sel:DWORD dst_unused:UNUSED_PAD src0_sel:DWORD src1_sel:WORD_1
	v_bfrev_b32_e32 v22, 60
	v_lshlrev_b32_e32 v18, 20, v18
	v_and_b32_e32 v21, 0x80000000, v21
	v_lshl_add_u32 v19, v19, 23, v22
	v_or3_b32 v19, v21, v19, v18
.LBB584_417:
	s_or_b64 exec, exec, s[10:11]
.LBB584_418:
	s_or_b64 exec, exec, s[8:9]
.LBB584_419:
	s_or_b64 exec, exec, s[2:3]
	s_mov_b32 s2, 0xffffff
	v_cmp_lt_u32_e32 vcc, s2, v14
	v_mov_b32_e32 v21, 0
	v_mov_b32_e32 v22, 0
	s_and_saveexec_b64 s[2:3], vcc
	s_cbranch_execz .LBB584_425
; %bb.420:
	v_lshrrev_b32_e32 v18, 24, v14
	s_movk_i32 s7, 0x80
	v_cmp_ne_u32_e32 vcc, s7, v18
	v_bfrev_b32_e32 v22, 1
	s_and_saveexec_b64 s[8:9], vcc
	s_cbranch_execz .LBB584_424
; %bb.421:
	v_bfe_u32 v14, v14, 24, 7
	s_movk_i32 s7, 0x7f
	v_cmp_ne_u32_e32 vcc, s7, v14
	v_mov_b32_e32 v22, 0x7f800001
	s_and_saveexec_b64 s[10:11], vcc
	s_cbranch_execz .LBB584_423
; %bb.422:
	v_and_b32_e32 v24, 7, v18
	v_ffbh_u32_e32 v22, v24
	v_min_u32_e32 v27, 32, v22
	v_subrev_u32_e32 v22, 28, v27
	v_lshlrev_b64 v[22:23], v22, v[18:19]
	v_lshrrev_b32_e32 v25, 3, v14
	v_sub_u32_e32 v23, 29, v27
	v_and_b32_e32 v22, 7, v22
	v_cmp_gt_u32_e32 vcc, 8, v14
	v_cndmask_b32_e32 v14, v25, v23, vcc
	v_cndmask_b32_e32 v22, v24, v22, vcc
	v_lshlrev_b32_e32 v18, 24, v18
	v_bfrev_b32_e32 v23, 60
	v_lshlrev_b32_e32 v22, 20, v22
	v_and_b32_e32 v18, 0x80000000, v18
	v_lshl_add_u32 v14, v14, 23, v23
	v_or3_b32 v22, v18, v14, v22
.LBB584_423:
	s_or_b64 exec, exec, s[10:11]
.LBB584_424:
	s_or_b64 exec, exec, s[8:9]
.LBB584_425:
	s_or_b64 exec, exec, s[2:3]
	v_cmp_ne_u16_sdwa s[8:9], v15, v21 src0_sel:BYTE_0 src1_sel:DWORD
	s_and_saveexec_b64 s[2:3], s[8:9]
	s_cbranch_execz .LBB584_431
; %bb.426:
	s_movk_i32 s7, 0x80
	v_cmp_ne_u16_sdwa s[10:11], v15, s7 src0_sel:BYTE_0 src1_sel:DWORD
	v_bfrev_b32_e32 v21, 1
	s_and_saveexec_b64 s[8:9], s[10:11]
	s_cbranch_execz .LBB584_430
; %bb.427:
	s_movk_i32 s7, 0x7f
	v_and_b32_e32 v14, 0x7f, v15
	v_cmp_ne_u32_e32 vcc, s7, v14
	v_mov_b32_e32 v21, 0x7f800001
	s_and_saveexec_b64 s[10:11], vcc
	s_cbranch_execz .LBB584_429
; %bb.428:
	v_and_b32_e32 v21, 7, v15
	v_ffbh_u32_e32 v24, v21
	v_min_u32_e32 v27, 32, v24
	v_mov_b32_e32 v18, v15
	v_subrev_u32_e32 v24, 28, v27
	v_lshlrev_b64 v[24:25], v24, v[18:19]
	v_lshrrev_b32_e32 v23, 3, v14
	v_sub_u32_e32 v18, 29, v27
	v_and_b32_e32 v24, 7, v24
	v_cmp_gt_u32_e32 vcc, 8, v14
	v_cndmask_b32_e32 v14, v23, v18, vcc
	v_cndmask_b32_e32 v18, v21, v24, vcc
	v_lshlrev_b32_e32 v21, 24, v15
	v_bfrev_b32_e32 v23, 60
	v_lshlrev_b32_e32 v18, 20, v18
	v_and_b32_e32 v21, 0x80000000, v21
	v_lshl_add_u32 v14, v14, 23, v23
	v_or3_b32 v21, v21, v14, v18
.LBB584_429:
	s_or_b64 exec, exec, s[10:11]
.LBB584_430:
	s_or_b64 exec, exec, s[8:9]
.LBB584_431:
	s_or_b64 exec, exec, s[2:3]
	v_lshrrev_b16_e32 v14, 8, v15
	v_cmp_ne_u16_e32 vcc, 0, v14
	v_mov_b32_e32 v18, 0
	v_mov_b32_e32 v24, 0
	s_and_saveexec_b64 s[2:3], vcc
	s_cbranch_execz .LBB584_437
; %bb.432:
	s_movk_i32 s7, 0x80
	v_cmp_ne_u16_e32 vcc, s7, v14
	v_bfrev_b32_e32 v24, 1
	s_and_saveexec_b64 s[8:9], vcc
	s_cbranch_execz .LBB584_436
; %bb.433:
	s_movk_i32 s7, 0x7f
	v_and_b32_e32 v23, 0x7f, v14
	v_cmp_ne_u32_e32 vcc, s7, v23
	v_mov_b32_e32 v24, 0x7f800001
	s_and_saveexec_b64 s[10:11], vcc
	s_cbranch_execz .LBB584_435
; %bb.434:
	v_and_b32_e32 v27, 7, v14
	v_ffbh_u32_e32 v24, v27
	v_min_u32_e32 v29, 32, v24
	v_subrev_u32_e32 v24, 28, v29
	v_lshlrev_b64 v[24:25], v24, v[14:15]
	v_lshrrev_b32_e32 v28, 3, v23
	v_sub_u32_e32 v14, 29, v29
	v_and_b32_e32 v24, 7, v24
	v_cmp_gt_u32_e32 vcc, 8, v23
	v_cndmask_b32_e32 v14, v28, v14, vcc
	v_cndmask_b32_e32 v23, v27, v24, vcc
	v_lshlrev_b32_e32 v24, 16, v15
	v_bfrev_b32_e32 v25, 60
	v_lshlrev_b32_e32 v23, 20, v23
	v_and_b32_e32 v24, 0x80000000, v24
	v_lshl_add_u32 v14, v14, 23, v25
	v_or3_b32 v24, v24, v14, v23
.LBB584_435:
	s_or_b64 exec, exec, s[10:11]
.LBB584_436:
	s_or_b64 exec, exec, s[8:9]
.LBB584_437:
	s_or_b64 exec, exec, s[2:3]
	s_movk_i32 s2, 0xff
	v_and_b32_sdwa v23, v15, s2 dst_sel:DWORD dst_unused:UNUSED_PAD src0_sel:WORD_1 src1_sel:DWORD
	v_lshrrev_b32_e32 v14, 16, v15
	v_cmp_ne_u16_e32 vcc, 0, v23
	s_and_saveexec_b64 s[2:3], vcc
	s_cbranch_execz .LBB584_443
; %bb.438:
	s_movk_i32 s7, 0x80
	v_cmp_ne_u16_e32 vcc, s7, v23
	v_bfrev_b32_e32 v18, 1
	s_and_saveexec_b64 s[8:9], vcc
	s_cbranch_execz .LBB584_442
; %bb.439:
	v_bfe_u32 v23, v15, 16, 7
	s_movk_i32 s7, 0x7f
	v_cmp_ne_u32_e32 vcc, s7, v23
	v_mov_b32_e32 v18, 0x7f800001
	s_and_saveexec_b64 s[10:11], vcc
	s_cbranch_execz .LBB584_441
; %bb.440:
	v_and_b32_e32 v18, 7, v14
	v_ffbh_u32_e32 v27, v18
	v_min_u32_e32 v27, 32, v27
	v_subrev_u32_e32 v28, 28, v27
	v_lshlrev_b64 v[28:29], v28, v[14:15]
	v_lshrrev_b32_e32 v25, 3, v23
	v_sub_u32_e32 v14, 29, v27
	v_and_b32_e32 v27, 7, v28
	v_cmp_gt_u32_e32 vcc, 8, v23
	v_mov_b32_e32 v23, 24
	v_cndmask_b32_e32 v14, v25, v14, vcc
	v_cndmask_b32_e32 v18, v18, v27, vcc
	v_lshlrev_b32_sdwa v23, v23, v15 dst_sel:DWORD dst_unused:UNUSED_PAD src0_sel:DWORD src1_sel:WORD_1
	v_bfrev_b32_e32 v25, 60
	v_lshlrev_b32_e32 v18, 20, v18
	v_and_b32_e32 v23, 0x80000000, v23
	v_lshl_add_u32 v14, v14, 23, v25
	v_or3_b32 v18, v23, v14, v18
.LBB584_441:
	s_or_b64 exec, exec, s[10:11]
.LBB584_442:
	s_or_b64 exec, exec, s[8:9]
.LBB584_443:
	s_or_b64 exec, exec, s[2:3]
	s_mov_b32 s2, 0xffffff
	v_cmp_lt_u32_e32 vcc, s2, v15
	v_mov_b32_e32 v23, 0
	v_mov_b32_e32 v25, 0
	s_and_saveexec_b64 s[2:3], vcc
	s_cbranch_execz .LBB584_449
; %bb.444:
	v_lshrrev_b32_e32 v14, 24, v15
	s_movk_i32 s7, 0x80
	v_cmp_ne_u32_e32 vcc, s7, v14
	v_bfrev_b32_e32 v25, 1
	s_and_saveexec_b64 s[8:9], vcc
	s_cbranch_execz .LBB584_448
; %bb.445:
	v_bfe_u32 v15, v15, 24, 7
	s_movk_i32 s7, 0x7f
	v_cmp_ne_u32_e32 vcc, s7, v15
	v_mov_b32_e32 v25, 0x7f800001
	s_and_saveexec_b64 s[10:11], vcc
	s_cbranch_execz .LBB584_447
; %bb.446:
	v_and_b32_e32 v25, 7, v14
	v_ffbh_u32_e32 v28, v25
	v_min_u32_e32 v30, 32, v28
	v_subrev_u32_e32 v28, 28, v30
	v_lshlrev_b64 v[28:29], v28, v[14:15]
	v_lshrrev_b32_e32 v27, 3, v15
	v_sub_u32_e32 v29, 29, v30
	v_and_b32_e32 v28, 7, v28
	v_cmp_gt_u32_e32 vcc, 8, v15
	v_cndmask_b32_e32 v15, v27, v29, vcc
	v_cndmask_b32_e32 v25, v25, v28, vcc
	v_lshlrev_b32_e32 v14, 24, v14
	v_bfrev_b32_e32 v27, 60
	v_lshlrev_b32_e32 v25, 20, v25
	v_and_b32_e32 v14, 0x80000000, v14
	v_lshl_add_u32 v15, v15, 23, v27
	v_or3_b32 v25, v14, v15, v25
.LBB584_447:
	s_or_b64 exec, exec, s[10:11]
.LBB584_448:
	s_or_b64 exec, exec, s[8:9]
.LBB584_449:
	s_or_b64 exec, exec, s[2:3]
	v_cvt_pkrtz_f16_f32 v15, v19, v22
	v_lshl_or_b32 v22, v1, 9, v48
	v_cvt_pkrtz_f16_f32 v14, v32, v20
	ds_read_b128 v[28:31], v22
	v_cmp_ne_u16_sdwa s[8:9], v16, v23 src0_sel:BYTE_0 src1_sel:DWORD
	s_waitcnt lgkmcnt(0)
	v_mfma_f32_16x16x16f16 v[32:35], v[14:15], v[28:29], 0
	v_cvt_pkrtz_f16_f32 v14, v21, v24
	v_cvt_pkrtz_f16_f32 v15, v18, v25
	s_nop 1
	v_mfma_f32_16x16x16f16 v[18:21], v[14:15], v[30:31], v[32:35]
	s_and_saveexec_b64 s[2:3], s[8:9]
	s_cbranch_execz .LBB584_455
; %bb.450:
	s_movk_i32 s7, 0x80
	v_cmp_ne_u16_sdwa s[10:11], v16, s7 src0_sel:BYTE_0 src1_sel:DWORD
	v_bfrev_b32_e32 v23, 1
	s_and_saveexec_b64 s[8:9], s[10:11]
	s_cbranch_execz .LBB584_454
; %bb.451:
	s_movk_i32 s7, 0x7f
	v_and_b32_e32 v14, 0x7f, v16
	v_cmp_ne_u32_e32 vcc, s7, v14
	v_mov_b32_e32 v23, 0x7f800001
	s_and_saveexec_b64 s[10:11], vcc
	s_cbranch_execz .LBB584_453
; %bb.452:
	v_and_b32_e32 v15, 7, v16
	v_ffbh_u32_e32 v24, v15
	v_min_u32_e32 v27, 32, v24
	v_subrev_u32_e32 v24, 28, v27
	v_lshlrev_b64 v[24:25], v24, v[16:17]
	v_lshrrev_b32_e32 v23, 3, v14
	v_sub_u32_e32 v25, 29, v27
	v_and_b32_e32 v24, 7, v24
	v_cmp_gt_u32_e32 vcc, 8, v14
	v_cndmask_b32_e32 v14, v23, v25, vcc
	v_cndmask_b32_e32 v15, v15, v24, vcc
	v_lshlrev_b32_e32 v23, 24, v16
	v_bfrev_b32_e32 v24, 60
	v_lshlrev_b32_e32 v15, 20, v15
	v_and_b32_e32 v23, 0x80000000, v23
	v_lshl_add_u32 v14, v14, 23, v24
	v_or3_b32 v23, v23, v14, v15
.LBB584_453:
	s_or_b64 exec, exec, s[10:11]
.LBB584_454:
	s_or_b64 exec, exec, s[8:9]
.LBB584_455:
	s_or_b64 exec, exec, s[2:3]
	v_lshrrev_b16_e32 v14, 8, v16
	v_cmp_ne_u16_e32 vcc, 0, v14
	v_mov_b32_e32 v15, 0
	v_mov_b32_e32 v25, 0
	s_and_saveexec_b64 s[2:3], vcc
	s_cbranch_execz .LBB584_461
; %bb.456:
	s_movk_i32 s7, 0x80
	v_cmp_ne_u16_e32 vcc, s7, v14
	v_bfrev_b32_e32 v25, 1
	s_and_saveexec_b64 s[8:9], vcc
	s_cbranch_execz .LBB584_460
; %bb.457:
	s_movk_i32 s7, 0x7f
	v_and_b32_e32 v24, 0x7f, v14
	v_cmp_ne_u32_e32 vcc, s7, v24
	v_mov_b32_e32 v25, 0x7f800001
	s_and_saveexec_b64 s[10:11], vcc
	s_cbranch_execz .LBB584_459
; %bb.458:
	v_and_b32_e32 v25, 7, v14
	v_ffbh_u32_e32 v28, v25
	v_min_u32_e32 v30, 32, v28
	v_subrev_u32_e32 v28, 28, v30
	v_lshlrev_b64 v[28:29], v28, v[14:15]
	v_lshrrev_b32_e32 v27, 3, v24
	v_sub_u32_e32 v14, 29, v30
	v_and_b32_e32 v28, 7, v28
	v_cmp_gt_u32_e32 vcc, 8, v24
	v_cndmask_b32_e32 v14, v27, v14, vcc
	v_cndmask_b32_e32 v24, v25, v28, vcc
	v_lshlrev_b32_e32 v25, 16, v16
	v_bfrev_b32_e32 v27, 60
	v_lshlrev_b32_e32 v24, 20, v24
	v_and_b32_e32 v25, 0x80000000, v25
	v_lshl_add_u32 v14, v14, 23, v27
	v_or3_b32 v25, v25, v14, v24
.LBB584_459:
	s_or_b64 exec, exec, s[10:11]
.LBB584_460:
	s_or_b64 exec, exec, s[8:9]
.LBB584_461:
	s_or_b64 exec, exec, s[2:3]
	s_movk_i32 s2, 0xff
	v_and_b32_sdwa v24, v16, s2 dst_sel:DWORD dst_unused:UNUSED_PAD src0_sel:WORD_1 src1_sel:DWORD
	v_lshrrev_b32_e32 v14, 16, v16
	v_cmp_ne_u16_e32 vcc, 0, v24
	s_and_saveexec_b64 s[2:3], vcc
	s_cbranch_execz .LBB584_467
; %bb.462:
	s_movk_i32 s7, 0x80
	v_cmp_ne_u16_e32 vcc, s7, v24
	v_bfrev_b32_e32 v15, 1
	s_and_saveexec_b64 s[8:9], vcc
	s_cbranch_execz .LBB584_466
; %bb.463:
	v_bfe_u32 v24, v16, 16, 7
	s_movk_i32 s7, 0x7f
	v_cmp_ne_u32_e32 vcc, s7, v24
	v_mov_b32_e32 v15, 0x7f800001
	s_and_saveexec_b64 s[10:11], vcc
	s_cbranch_execz .LBB584_465
; %bb.464:
	v_and_b32_e32 v27, 7, v14
	v_ffbh_u32_e32 v15, v27
	v_min_u32_e32 v29, 32, v15
	v_subrev_u32_e32 v15, 28, v29
	v_lshlrev_b64 v[14:15], v15, v[14:15]
	v_lshrrev_b32_e32 v28, 3, v24
	v_sub_u32_e32 v15, 29, v29
	v_and_b32_e32 v14, 7, v14
	v_cmp_gt_u32_e32 vcc, 8, v24
	v_mov_b32_e32 v24, 24
	v_cndmask_b32_e32 v15, v28, v15, vcc
	v_cndmask_b32_e32 v14, v27, v14, vcc
	v_lshlrev_b32_sdwa v24, v24, v16 dst_sel:DWORD dst_unused:UNUSED_PAD src0_sel:DWORD src1_sel:WORD_1
	v_bfrev_b32_e32 v27, 60
	v_lshlrev_b32_e32 v14, 20, v14
	v_and_b32_e32 v24, 0x80000000, v24
	v_lshl_add_u32 v15, v15, 23, v27
	v_or3_b32 v15, v24, v15, v14
.LBB584_465:
	s_or_b64 exec, exec, s[10:11]
.LBB584_466:
	s_or_b64 exec, exec, s[8:9]
.LBB584_467:
	s_or_b64 exec, exec, s[2:3]
	s_mov_b32 s2, 0xffffff
	v_cmp_lt_u32_e32 vcc, s2, v16
	v_mov_b32_e32 v27, 0
	v_mov_b32_e32 v28, 0
	s_and_saveexec_b64 s[2:3], vcc
	s_cbranch_execz .LBB584_473
; %bb.468:
	v_lshrrev_b32_e32 v14, 24, v16
	s_movk_i32 s7, 0x80
	v_cmp_ne_u32_e32 vcc, s7, v14
	v_bfrev_b32_e32 v28, 1
	s_and_saveexec_b64 s[8:9], vcc
	s_cbranch_execz .LBB584_472
; %bb.469:
	v_bfe_u32 v16, v16, 24, 7
	s_movk_i32 s7, 0x7f
	v_cmp_ne_u32_e32 vcc, s7, v16
	v_mov_b32_e32 v28, 0x7f800001
	s_and_saveexec_b64 s[10:11], vcc
	s_cbranch_execz .LBB584_471
; %bb.470:
	v_and_b32_e32 v24, 7, v14
	v_ffbh_u32_e32 v28, v24
	v_min_u32_e32 v31, 32, v28
	v_subrev_u32_e32 v28, 28, v31
	v_lshlrev_b64 v[28:29], v28, v[14:15]
	v_lshrrev_b32_e32 v30, 3, v16
	v_sub_u32_e32 v29, 29, v31
	v_and_b32_e32 v28, 7, v28
	v_cmp_gt_u32_e32 vcc, 8, v16
	v_cndmask_b32_e32 v16, v30, v29, vcc
	v_cndmask_b32_e32 v24, v24, v28, vcc
	v_lshlrev_b32_e32 v14, 24, v14
	v_bfrev_b32_e32 v28, 60
	v_lshlrev_b32_e32 v24, 20, v24
	v_and_b32_e32 v14, 0x80000000, v14
	v_lshl_add_u32 v16, v16, 23, v28
	v_or3_b32 v28, v14, v16, v24
.LBB584_471:
	s_or_b64 exec, exec, s[10:11]
.LBB584_472:
	s_or_b64 exec, exec, s[8:9]
.LBB584_473:
	s_or_b64 exec, exec, s[2:3]
	v_cmp_ne_u16_sdwa s[8:9], v17, v27 src0_sel:BYTE_0 src1_sel:DWORD
	s_and_saveexec_b64 s[2:3], s[8:9]
	s_cbranch_execz .LBB584_479
; %bb.474:
	s_movk_i32 s7, 0x80
	v_cmp_ne_u16_sdwa s[10:11], v17, s7 src0_sel:BYTE_0 src1_sel:DWORD
	v_bfrev_b32_e32 v27, 1
	s_and_saveexec_b64 s[8:9], s[10:11]
	s_cbranch_execz .LBB584_478
; %bb.475:
	s_movk_i32 s7, 0x7f
	v_and_b32_e32 v14, 0x7f, v17
	v_cmp_ne_u32_e32 vcc, s7, v14
	v_mov_b32_e32 v27, 0x7f800001
	s_and_saveexec_b64 s[10:11], vcc
	s_cbranch_execz .LBB584_477
; %bb.476:
	v_and_b32_e32 v24, 7, v17
	v_ffbh_u32_e32 v29, v24
	v_min_u32_e32 v29, 32, v29
	v_mov_b32_e32 v16, v17
	v_subrev_u32_e32 v30, 28, v29
	v_lshlrev_b64 v[30:31], v30, v[16:17]
	v_lshrrev_b32_e32 v27, 3, v14
	v_sub_u32_e32 v16, 29, v29
	v_and_b32_e32 v29, 7, v30
	v_cmp_gt_u32_e32 vcc, 8, v14
	v_cndmask_b32_e32 v14, v27, v16, vcc
	v_cndmask_b32_e32 v16, v24, v29, vcc
	v_lshlrev_b32_e32 v24, 24, v17
	v_bfrev_b32_e32 v27, 60
	v_lshlrev_b32_e32 v16, 20, v16
	v_and_b32_e32 v24, 0x80000000, v24
	v_lshl_add_u32 v14, v14, 23, v27
	v_or3_b32 v27, v24, v14, v16
.LBB584_477:
	s_or_b64 exec, exec, s[10:11]
.LBB584_478:
	s_or_b64 exec, exec, s[8:9]
.LBB584_479:
	s_or_b64 exec, exec, s[2:3]
	v_lshrrev_b16_e32 v14, 8, v17
	v_cmp_ne_u16_e32 vcc, 0, v14
	v_mov_b32_e32 v16, 0
	v_mov_b32_e32 v29, 0
	s_and_saveexec_b64 s[2:3], vcc
	s_cbranch_execz .LBB584_485
; %bb.480:
	s_movk_i32 s7, 0x80
	v_cmp_ne_u16_e32 vcc, s7, v14
	v_bfrev_b32_e32 v29, 1
	s_and_saveexec_b64 s[8:9], vcc
	s_cbranch_execz .LBB584_484
; %bb.481:
	s_movk_i32 s7, 0x7f
	v_and_b32_e32 v24, 0x7f, v14
	v_cmp_ne_u32_e32 vcc, s7, v24
	v_mov_b32_e32 v29, 0x7f800001
	s_and_saveexec_b64 s[10:11], vcc
	s_cbranch_execz .LBB584_483
; %bb.482:
	v_and_b32_e32 v29, 7, v14
	v_ffbh_u32_e32 v30, v29
	v_min_u32_e32 v33, 32, v30
	v_subrev_u32_e32 v30, 28, v33
	v_lshlrev_b64 v[30:31], v30, v[14:15]
	v_lshrrev_b32_e32 v32, 3, v24
	v_sub_u32_e32 v14, 29, v33
	v_and_b32_e32 v30, 7, v30
	v_cmp_gt_u32_e32 vcc, 8, v24
	v_cndmask_b32_e32 v14, v32, v14, vcc
	v_cndmask_b32_e32 v24, v29, v30, vcc
	v_lshlrev_b32_e32 v29, 16, v17
	v_bfrev_b32_e32 v30, 60
	v_lshlrev_b32_e32 v24, 20, v24
	v_and_b32_e32 v29, 0x80000000, v29
	v_lshl_add_u32 v14, v14, 23, v30
	v_or3_b32 v29, v29, v14, v24
.LBB584_483:
	s_or_b64 exec, exec, s[10:11]
.LBB584_484:
	s_or_b64 exec, exec, s[8:9]
.LBB584_485:
	s_or_b64 exec, exec, s[2:3]
	s_movk_i32 s2, 0xff
	v_and_b32_sdwa v24, v17, s2 dst_sel:DWORD dst_unused:UNUSED_PAD src0_sel:WORD_1 src1_sel:DWORD
	v_lshrrev_b32_e32 v14, 16, v17
	v_cmp_ne_u16_e32 vcc, 0, v24
	s_and_saveexec_b64 s[2:3], vcc
	s_cbranch_execz .LBB584_491
; %bb.486:
	s_movk_i32 s7, 0x80
	v_cmp_ne_u16_e32 vcc, s7, v24
	v_bfrev_b32_e32 v16, 1
	s_and_saveexec_b64 s[8:9], vcc
	s_cbranch_execz .LBB584_490
; %bb.487:
	v_bfe_u32 v24, v17, 16, 7
	s_movk_i32 s7, 0x7f
	v_cmp_ne_u32_e32 vcc, s7, v24
	v_mov_b32_e32 v16, 0x7f800001
	s_and_saveexec_b64 s[10:11], vcc
	s_cbranch_execz .LBB584_489
; %bb.488:
	v_and_b32_e32 v16, 7, v14
	v_ffbh_u32_e32 v30, v16
	v_min_u32_e32 v33, 32, v30
	v_subrev_u32_e32 v30, 28, v33
	v_lshlrev_b64 v[30:31], v30, v[14:15]
	v_lshrrev_b32_e32 v32, 3, v24
	v_sub_u32_e32 v14, 29, v33
	v_and_b32_e32 v30, 7, v30
	v_cmp_gt_u32_e32 vcc, 8, v24
	v_mov_b32_e32 v24, 24
	v_cndmask_b32_e32 v14, v32, v14, vcc
	v_cndmask_b32_e32 v16, v16, v30, vcc
	v_lshlrev_b32_sdwa v24, v24, v17 dst_sel:DWORD dst_unused:UNUSED_PAD src0_sel:DWORD src1_sel:WORD_1
	v_bfrev_b32_e32 v30, 60
	v_lshlrev_b32_e32 v16, 20, v16
	v_and_b32_e32 v24, 0x80000000, v24
	v_lshl_add_u32 v14, v14, 23, v30
	v_or3_b32 v16, v24, v14, v16
.LBB584_489:
	s_or_b64 exec, exec, s[10:11]
.LBB584_490:
	s_or_b64 exec, exec, s[8:9]
.LBB584_491:
	s_or_b64 exec, exec, s[2:3]
	s_mov_b32 s2, 0xffffff
	v_cmp_lt_u32_e32 vcc, s2, v17
	v_mov_b32_e32 v24, 0
	v_mov_b32_e32 v30, 0
	s_and_saveexec_b64 s[2:3], vcc
	s_cbranch_execz .LBB584_497
; %bb.492:
	v_lshrrev_b32_e32 v14, 24, v17
	s_movk_i32 s7, 0x80
	v_cmp_ne_u32_e32 vcc, s7, v14
	v_bfrev_b32_e32 v30, 1
	s_and_saveexec_b64 s[8:9], vcc
	s_cbranch_execz .LBB584_496
; %bb.493:
	v_bfe_u32 v17, v17, 24, 7
	s_movk_i32 s7, 0x7f
	v_cmp_ne_u32_e32 vcc, s7, v17
	v_mov_b32_e32 v30, 0x7f800001
	s_and_saveexec_b64 s[10:11], vcc
	s_cbranch_execz .LBB584_495
; %bb.494:
	v_and_b32_e32 v32, 7, v14
	v_ffbh_u32_e32 v30, v32
	v_min_u32_e32 v34, 32, v30
	v_subrev_u32_e32 v30, 28, v34
	v_lshlrev_b64 v[30:31], v30, v[14:15]
	v_lshrrev_b32_e32 v33, 3, v17
	v_sub_u32_e32 v31, 29, v34
	v_and_b32_e32 v30, 7, v30
	v_cmp_gt_u32_e32 vcc, 8, v17
	v_cndmask_b32_e32 v17, v33, v31, vcc
	v_cndmask_b32_e32 v30, v32, v30, vcc
	v_lshlrev_b32_e32 v14, 24, v14
	v_bfrev_b32_e32 v31, 60
	v_lshlrev_b32_e32 v30, 20, v30
	v_and_b32_e32 v14, 0x80000000, v14
	v_lshl_add_u32 v17, v17, 23, v31
	v_or3_b32 v30, v14, v17, v30
.LBB584_495:
	s_or_b64 exec, exec, s[10:11]
.LBB584_496:
	s_or_b64 exec, exec, s[8:9]
.LBB584_497:
	s_or_b64 exec, exec, s[2:3]
	v_cvt_pkrtz_f16_f32 v14, v23, v25
	v_cvt_pkrtz_f16_f32 v15, v15, v28
	ds_read_b128 v[32:35], v22 offset:16
	s_waitcnt vmcnt(2)
	v_cmp_ne_u16_sdwa s[8:9], v10, v24 src0_sel:BYTE_0 src1_sel:DWORD
	s_waitcnt lgkmcnt(0)
	v_mfma_f32_16x16x16f16 v[18:21], v[14:15], v[32:33], v[18:21]
	v_cvt_pkrtz_f16_f32 v14, v27, v29
	v_cvt_pkrtz_f16_f32 v15, v16, v30
	s_nop 1
	v_mfma_f32_16x16x16f16 v[14:17], v[14:15], v[34:35], v[18:21]
	s_and_saveexec_b64 s[2:3], s[8:9]
	s_cbranch_execz .LBB584_503
; %bb.498:
	s_movk_i32 s7, 0x80
	v_cmp_ne_u16_sdwa s[10:11], v10, s7 src0_sel:BYTE_0 src1_sel:DWORD
	v_bfrev_b32_e32 v24, 1
	s_and_saveexec_b64 s[8:9], s[10:11]
	s_cbranch_execz .LBB584_502
; %bb.499:
	s_movk_i32 s7, 0x7f
	v_and_b32_e32 v18, 0x7f, v10
	v_cmp_ne_u32_e32 vcc, s7, v18
	v_mov_b32_e32 v24, 0x7f800001
	s_and_saveexec_b64 s[10:11], vcc
	s_cbranch_execz .LBB584_501
; %bb.500:
	v_and_b32_e32 v19, 7, v10
	v_ffbh_u32_e32 v20, v19
	v_min_u32_e32 v24, 32, v20
	v_subrev_u32_e32 v20, 28, v24
	v_lshlrev_b64 v[20:21], v20, v[10:11]
	v_lshrrev_b32_e32 v23, 3, v18
	v_sub_u32_e32 v21, 29, v24
	v_and_b32_e32 v20, 7, v20
	v_cmp_gt_u32_e32 vcc, 8, v18
	v_cndmask_b32_e32 v18, v23, v21, vcc
	v_cndmask_b32_e32 v19, v19, v20, vcc
	v_lshlrev_b32_e32 v20, 24, v10
	v_bfrev_b32_e32 v21, 60
	v_lshlrev_b32_e32 v19, 20, v19
	v_and_b32_e32 v20, 0x80000000, v20
	v_lshl_add_u32 v18, v18, 23, v21
	v_or3_b32 v24, v20, v18, v19
.LBB584_501:
	s_or_b64 exec, exec, s[10:11]
.LBB584_502:
	s_or_b64 exec, exec, s[8:9]
.LBB584_503:
	s_or_b64 exec, exec, s[2:3]
	s_nop 3
	v_lshrrev_b16_e32 v18, 8, v10
	v_cmp_ne_u16_e32 vcc, 0, v18
	v_mov_b32_e32 v19, 0
	v_mov_b32_e32 v20, 0
	s_and_saveexec_b64 s[2:3], vcc
	s_cbranch_execz .LBB584_509
; %bb.504:
	s_movk_i32 s7, 0x80
	v_cmp_ne_u16_e32 vcc, s7, v18
	v_bfrev_b32_e32 v20, 1
	s_and_saveexec_b64 s[8:9], vcc
	s_cbranch_execz .LBB584_508
; %bb.505:
	s_movk_i32 s7, 0x7f
	v_and_b32_e32 v21, 0x7f, v18
	v_cmp_ne_u32_e32 vcc, s7, v21
	v_mov_b32_e32 v20, 0x7f800001
	s_and_saveexec_b64 s[10:11], vcc
	s_cbranch_execz .LBB584_507
; %bb.506:
	v_and_b32_e32 v20, 7, v18
	v_ffbh_u32_e32 v25, v20
	v_min_u32_e32 v25, 32, v25
	v_subrev_u32_e32 v27, 28, v25
	v_lshlrev_b64 v[28:29], v27, v[18:19]
	v_lshrrev_b32_e32 v23, 3, v21
	v_sub_u32_e32 v18, 29, v25
	v_and_b32_e32 v25, 7, v28
	v_cmp_gt_u32_e32 vcc, 8, v21
	v_cndmask_b32_e32 v18, v23, v18, vcc
	v_cndmask_b32_e32 v20, v20, v25, vcc
	v_lshlrev_b32_e32 v21, 16, v10
	v_bfrev_b32_e32 v23, 60
	v_lshlrev_b32_e32 v20, 20, v20
	v_and_b32_e32 v21, 0x80000000, v21
	v_lshl_add_u32 v18, v18, 23, v23
	v_or3_b32 v20, v21, v18, v20
.LBB584_507:
	s_or_b64 exec, exec, s[10:11]
.LBB584_508:
	s_or_b64 exec, exec, s[8:9]
.LBB584_509:
	s_or_b64 exec, exec, s[2:3]
	s_movk_i32 s2, 0xff
	v_and_b32_sdwa v21, v10, s2 dst_sel:DWORD dst_unused:UNUSED_PAD src0_sel:WORD_1 src1_sel:DWORD
	v_lshrrev_b32_e32 v18, 16, v10
	v_cmp_ne_u16_e32 vcc, 0, v21
	s_and_saveexec_b64 s[2:3], vcc
	s_cbranch_execz .LBB584_515
; %bb.510:
	s_movk_i32 s7, 0x80
	v_cmp_ne_u16_e32 vcc, s7, v21
	v_bfrev_b32_e32 v19, 1
	s_and_saveexec_b64 s[8:9], vcc
	s_cbranch_execz .LBB584_514
; %bb.511:
	v_bfe_u32 v21, v10, 16, 7
	s_movk_i32 s7, 0x7f
	v_cmp_ne_u32_e32 vcc, s7, v21
	v_mov_b32_e32 v19, 0x7f800001
	s_and_saveexec_b64 s[10:11], vcc
	s_cbranch_execz .LBB584_513
; %bb.512:
	v_and_b32_e32 v23, 7, v18
	v_ffbh_u32_e32 v19, v23
	v_min_u32_e32 v27, 32, v19
	v_subrev_u32_e32 v19, 28, v27
	v_lshlrev_b64 v[18:19], v19, v[18:19]
	v_lshrrev_b32_e32 v25, 3, v21
	v_sub_u32_e32 v19, 29, v27
	v_and_b32_e32 v18, 7, v18
	v_cmp_gt_u32_e32 vcc, 8, v21
	v_mov_b32_e32 v21, 24
	v_cndmask_b32_e32 v19, v25, v19, vcc
	v_cndmask_b32_e32 v18, v23, v18, vcc
	v_lshlrev_b32_sdwa v21, v21, v10 dst_sel:DWORD dst_unused:UNUSED_PAD src0_sel:DWORD src1_sel:WORD_1
	v_bfrev_b32_e32 v23, 60
	v_lshlrev_b32_e32 v18, 20, v18
	v_and_b32_e32 v21, 0x80000000, v21
	v_lshl_add_u32 v19, v19, 23, v23
	v_or3_b32 v19, v21, v19, v18
.LBB584_513:
	s_or_b64 exec, exec, s[10:11]
.LBB584_514:
	s_or_b64 exec, exec, s[8:9]
.LBB584_515:
	s_or_b64 exec, exec, s[2:3]
	s_mov_b32 s2, 0xffffff
	v_cmp_lt_u32_e32 vcc, s2, v10
	v_mov_b32_e32 v21, 0
	v_mov_b32_e32 v23, 0
	s_and_saveexec_b64 s[2:3], vcc
	s_cbranch_execz .LBB584_521
; %bb.516:
	v_lshrrev_b32_e32 v18, 24, v10
	s_movk_i32 s7, 0x80
	v_cmp_ne_u32_e32 vcc, s7, v18
	v_bfrev_b32_e32 v23, 1
	s_and_saveexec_b64 s[8:9], vcc
	s_cbranch_execz .LBB584_520
; %bb.517:
	v_bfe_u32 v10, v10, 24, 7
	s_movk_i32 s7, 0x7f
	v_cmp_ne_u32_e32 vcc, s7, v10
	v_mov_b32_e32 v23, 0x7f800001
	s_and_saveexec_b64 s[10:11], vcc
	s_cbranch_execz .LBB584_519
; %bb.518:
	v_and_b32_e32 v23, 7, v18
	v_ffbh_u32_e32 v27, v23
	v_min_u32_e32 v27, 32, v27
	v_subrev_u32_e32 v28, 28, v27
	v_lshlrev_b64 v[28:29], v28, v[18:19]
	v_lshrrev_b32_e32 v25, 3, v10
	v_sub_u32_e32 v27, 29, v27
	v_and_b32_e32 v28, 7, v28
	v_cmp_gt_u32_e32 vcc, 8, v10
	v_cndmask_b32_e32 v10, v25, v27, vcc
	v_cndmask_b32_e32 v23, v23, v28, vcc
	v_lshlrev_b32_e32 v18, 24, v18
	v_bfrev_b32_e32 v25, 60
	v_lshlrev_b32_e32 v23, 20, v23
	v_and_b32_e32 v18, 0x80000000, v18
	v_lshl_add_u32 v10, v10, 23, v25
	v_or3_b32 v23, v18, v10, v23
.LBB584_519:
	s_or_b64 exec, exec, s[10:11]
.LBB584_520:
	s_or_b64 exec, exec, s[8:9]
.LBB584_521:
	s_or_b64 exec, exec, s[2:3]
	v_cmp_ne_u16_sdwa s[8:9], v11, v21 src0_sel:BYTE_0 src1_sel:DWORD
	s_and_saveexec_b64 s[2:3], s[8:9]
	s_cbranch_execz .LBB584_527
; %bb.522:
	s_movk_i32 s7, 0x80
	v_cmp_ne_u16_sdwa s[10:11], v11, s7 src0_sel:BYTE_0 src1_sel:DWORD
	v_bfrev_b32_e32 v21, 1
	s_and_saveexec_b64 s[8:9], s[10:11]
	s_cbranch_execz .LBB584_526
; %bb.523:
	s_movk_i32 s7, 0x7f
	v_and_b32_e32 v10, 0x7f, v11
	v_cmp_ne_u32_e32 vcc, s7, v10
	v_mov_b32_e32 v21, 0x7f800001
	s_and_saveexec_b64 s[10:11], vcc
	s_cbranch_execz .LBB584_525
; %bb.524:
	v_and_b32_e32 v21, 7, v11
	v_ffbh_u32_e32 v27, v21
	v_min_u32_e32 v27, 32, v27
	v_mov_b32_e32 v18, v11
	v_subrev_u32_e32 v28, 28, v27
	v_lshlrev_b64 v[28:29], v28, v[18:19]
	v_lshrrev_b32_e32 v25, 3, v10
	v_sub_u32_e32 v18, 29, v27
	v_and_b32_e32 v27, 7, v28
	v_cmp_gt_u32_e32 vcc, 8, v10
	v_cndmask_b32_e32 v10, v25, v18, vcc
	v_cndmask_b32_e32 v18, v21, v27, vcc
	v_lshlrev_b32_e32 v21, 24, v11
	v_bfrev_b32_e32 v25, 60
	v_lshlrev_b32_e32 v18, 20, v18
	v_and_b32_e32 v21, 0x80000000, v21
	v_lshl_add_u32 v10, v10, 23, v25
	v_or3_b32 v21, v21, v10, v18
.LBB584_525:
	s_or_b64 exec, exec, s[10:11]
.LBB584_526:
	s_or_b64 exec, exec, s[8:9]
.LBB584_527:
	s_or_b64 exec, exec, s[2:3]
	v_lshrrev_b16_e32 v10, 8, v11
	v_cmp_ne_u16_e32 vcc, 0, v10
	v_mov_b32_e32 v25, 0
	v_mov_b32_e32 v27, 0
	s_and_saveexec_b64 s[2:3], vcc
	s_cbranch_execz .LBB584_533
; %bb.528:
	s_movk_i32 s7, 0x80
	v_cmp_ne_u16_e32 vcc, s7, v10
	v_bfrev_b32_e32 v27, 1
	s_and_saveexec_b64 s[8:9], vcc
	s_cbranch_execz .LBB584_532
; %bb.529:
	s_movk_i32 s7, 0x7f
	v_and_b32_e32 v18, 0x7f, v10
	v_cmp_ne_u32_e32 vcc, s7, v18
	v_mov_b32_e32 v27, 0x7f800001
	s_and_saveexec_b64 s[10:11], vcc
	s_cbranch_execz .LBB584_531
; %bb.530:
	v_and_b32_e32 v27, 7, v10
	v_ffbh_u32_e32 v28, v27
	v_min_u32_e32 v31, 32, v28
	v_subrev_u32_e32 v28, 28, v31
	v_lshlrev_b64 v[28:29], v28, v[10:11]
	v_lshrrev_b32_e32 v30, 3, v18
	v_sub_u32_e32 v10, 29, v31
	v_and_b32_e32 v28, 7, v28
	v_cmp_gt_u32_e32 vcc, 8, v18
	v_cndmask_b32_e32 v10, v30, v10, vcc
	v_cndmask_b32_e32 v18, v27, v28, vcc
	v_lshlrev_b32_e32 v27, 16, v11
	v_bfrev_b32_e32 v28, 60
	v_lshlrev_b32_e32 v18, 20, v18
	v_and_b32_e32 v27, 0x80000000, v27
	v_lshl_add_u32 v10, v10, 23, v28
	v_or3_b32 v27, v27, v10, v18
.LBB584_531:
	s_or_b64 exec, exec, s[10:11]
.LBB584_532:
	s_or_b64 exec, exec, s[8:9]
.LBB584_533:
	s_or_b64 exec, exec, s[2:3]
	s_movk_i32 s2, 0xff
	v_and_b32_sdwa v18, v11, s2 dst_sel:DWORD dst_unused:UNUSED_PAD src0_sel:WORD_1 src1_sel:DWORD
	v_lshrrev_b32_e32 v10, 16, v11
	v_cmp_ne_u16_e32 vcc, 0, v18
	s_and_saveexec_b64 s[2:3], vcc
	s_cbranch_execz .LBB584_539
; %bb.534:
	s_movk_i32 s7, 0x80
	v_cmp_ne_u16_e32 vcc, s7, v18
	v_bfrev_b32_e32 v25, 1
	s_and_saveexec_b64 s[8:9], vcc
	s_cbranch_execz .LBB584_538
; %bb.535:
	v_bfe_u32 v18, v11, 16, 7
	s_movk_i32 s7, 0x7f
	v_cmp_ne_u32_e32 vcc, s7, v18
	v_mov_b32_e32 v25, 0x7f800001
	s_and_saveexec_b64 s[10:11], vcc
	s_cbranch_execz .LBB584_537
; %bb.536:
	v_and_b32_e32 v25, 7, v10
	v_ffbh_u32_e32 v28, v25
	v_min_u32_e32 v31, 32, v28
	v_subrev_u32_e32 v28, 28, v31
	v_lshlrev_b64 v[28:29], v28, v[10:11]
	v_and_b32_e32 v28, 7, v28
	v_cmp_gt_u32_e32 vcc, 8, v18
	v_lshrrev_b32_e32 v30, 3, v18
	v_sub_u32_e32 v10, 29, v31
	v_cndmask_b32_e32 v18, v25, v28, vcc
	v_mov_b32_e32 v25, 24
	v_cndmask_b32_e32 v10, v30, v10, vcc
	v_lshlrev_b32_sdwa v25, v25, v11 dst_sel:DWORD dst_unused:UNUSED_PAD src0_sel:DWORD src1_sel:WORD_1
	v_bfrev_b32_e32 v28, 60
	v_lshlrev_b32_e32 v18, 20, v18
	v_and_b32_e32 v25, 0x80000000, v25
	v_lshl_add_u32 v10, v10, 23, v28
	v_or3_b32 v25, v25, v10, v18
.LBB584_537:
	s_or_b64 exec, exec, s[10:11]
.LBB584_538:
	s_or_b64 exec, exec, s[8:9]
.LBB584_539:
	s_or_b64 exec, exec, s[2:3]
	s_mov_b32 s2, 0xffffff
	v_cmp_lt_u32_e32 vcc, s2, v11
	v_mov_b32_e32 v18, 0
	v_mov_b32_e32 v28, 0
	s_and_saveexec_b64 s[2:3], vcc
	s_cbranch_execz .LBB584_545
; %bb.540:
	v_lshrrev_b32_e32 v10, 24, v11
	s_movk_i32 s7, 0x80
	v_cmp_ne_u32_e32 vcc, s7, v10
	v_bfrev_b32_e32 v28, 1
	s_and_saveexec_b64 s[8:9], vcc
	s_cbranch_execz .LBB584_544
; %bb.541:
	v_bfe_u32 v11, v11, 24, 7
	s_movk_i32 s7, 0x7f
	v_cmp_ne_u32_e32 vcc, s7, v11
	v_mov_b32_e32 v28, 0x7f800001
	s_and_saveexec_b64 s[10:11], vcc
	s_cbranch_execz .LBB584_543
; %bb.542:
	v_and_b32_e32 v30, 7, v10
	v_ffbh_u32_e32 v28, v30
	v_min_u32_e32 v32, 32, v28
	v_subrev_u32_e32 v28, 28, v32
	v_lshlrev_b64 v[28:29], v28, v[10:11]
	v_lshrrev_b32_e32 v31, 3, v11
	v_sub_u32_e32 v29, 29, v32
	v_and_b32_e32 v28, 7, v28
	v_cmp_gt_u32_e32 vcc, 8, v11
	v_cndmask_b32_e32 v11, v31, v29, vcc
	v_cndmask_b32_e32 v28, v30, v28, vcc
	v_lshlrev_b32_e32 v10, 24, v10
	v_bfrev_b32_e32 v29, 60
	v_lshlrev_b32_e32 v28, 20, v28
	v_and_b32_e32 v10, 0x80000000, v10
	v_lshl_add_u32 v11, v11, 23, v29
	v_or3_b32 v28, v10, v11, v28
.LBB584_543:
	s_or_b64 exec, exec, s[10:11]
.LBB584_544:
	s_or_b64 exec, exec, s[8:9]
.LBB584_545:
	s_or_b64 exec, exec, s[2:3]
	v_cvt_pkrtz_f16_f32 v10, v24, v20
	v_cvt_pkrtz_f16_f32 v11, v19, v23
	ds_read_b128 v[30:33], v22 offset:2048
	v_cmp_ne_u16_sdwa s[8:9], v12, v18 src0_sel:BYTE_0 src1_sel:DWORD
	s_waitcnt lgkmcnt(0)
	v_mfma_f32_16x16x16f16 v[14:17], v[10:11], v[30:31], v[14:17]
	v_cvt_pkrtz_f16_f32 v10, v21, v27
	v_cvt_pkrtz_f16_f32 v11, v25, v28
	s_nop 1
	v_mfma_f32_16x16x16f16 v[14:17], v[10:11], v[32:33], v[14:17]
	s_and_saveexec_b64 s[2:3], s[8:9]
	s_cbranch_execz .LBB584_551
; %bb.546:
	s_movk_i32 s7, 0x80
	v_cmp_ne_u16_sdwa s[10:11], v12, s7 src0_sel:BYTE_0 src1_sel:DWORD
	v_bfrev_b32_e32 v18, 1
	s_and_saveexec_b64 s[8:9], s[10:11]
	s_cbranch_execz .LBB584_550
; %bb.547:
	s_movk_i32 s7, 0x7f
	v_and_b32_e32 v10, 0x7f, v12
	v_cmp_ne_u32_e32 vcc, s7, v10
	v_mov_b32_e32 v18, 0x7f800001
	s_and_saveexec_b64 s[10:11], vcc
	s_cbranch_execz .LBB584_549
; %bb.548:
	v_and_b32_e32 v11, 7, v12
	v_ffbh_u32_e32 v18, v11
	v_min_u32_e32 v21, 32, v18
	v_subrev_u32_e32 v18, 28, v21
	v_lshlrev_b64 v[18:19], v18, v[12:13]
	v_lshrrev_b32_e32 v20, 3, v10
	v_sub_u32_e32 v19, 29, v21
	v_and_b32_e32 v18, 7, v18
	v_cmp_gt_u32_e32 vcc, 8, v10
	v_cndmask_b32_e32 v10, v20, v19, vcc
	v_cndmask_b32_e32 v11, v11, v18, vcc
	v_lshlrev_b32_e32 v18, 24, v12
	v_bfrev_b32_e32 v19, 60
	v_lshlrev_b32_e32 v11, 20, v11
	v_and_b32_e32 v18, 0x80000000, v18
	v_lshl_add_u32 v10, v10, 23, v19
	v_or3_b32 v18, v18, v10, v11
.LBB584_549:
	s_or_b64 exec, exec, s[10:11]
.LBB584_550:
	s_or_b64 exec, exec, s[8:9]
.LBB584_551:
	s_or_b64 exec, exec, s[2:3]
	v_lshrrev_b16_e32 v10, 8, v12
	v_cmp_ne_u16_e32 vcc, 0, v10
	v_mov_b32_e32 v11, 0
	v_mov_b32_e32 v20, 0
	s_and_saveexec_b64 s[2:3], vcc
	s_cbranch_execz .LBB584_557
; %bb.552:
	s_movk_i32 s7, 0x80
	v_cmp_ne_u16_e32 vcc, s7, v10
	v_bfrev_b32_e32 v20, 1
	s_and_saveexec_b64 s[8:9], vcc
	s_cbranch_execz .LBB584_556
; %bb.553:
	s_movk_i32 s7, 0x7f
	v_and_b32_e32 v19, 0x7f, v10
	v_cmp_ne_u32_e32 vcc, s7, v19
	v_mov_b32_e32 v20, 0x7f800001
	s_and_saveexec_b64 s[10:11], vcc
	s_cbranch_execz .LBB584_555
; %bb.554:
	v_and_b32_e32 v23, 7, v10
	v_ffbh_u32_e32 v20, v23
	v_min_u32_e32 v25, 32, v20
	v_subrev_u32_e32 v20, 28, v25
	v_lshlrev_b64 v[20:21], v20, v[10:11]
	v_lshrrev_b32_e32 v24, 3, v19
	v_sub_u32_e32 v10, 29, v25
	v_and_b32_e32 v20, 7, v20
	v_cmp_gt_u32_e32 vcc, 8, v19
	v_cndmask_b32_e32 v10, v24, v10, vcc
	v_cndmask_b32_e32 v19, v23, v20, vcc
	v_lshlrev_b32_e32 v20, 16, v12
	v_bfrev_b32_e32 v21, 60
	v_lshlrev_b32_e32 v19, 20, v19
	v_and_b32_e32 v20, 0x80000000, v20
	v_lshl_add_u32 v10, v10, 23, v21
	v_or3_b32 v20, v20, v10, v19
.LBB584_555:
	s_or_b64 exec, exec, s[10:11]
.LBB584_556:
	s_or_b64 exec, exec, s[8:9]
.LBB584_557:
	s_or_b64 exec, exec, s[2:3]
	s_movk_i32 s2, 0xff
	v_and_b32_sdwa v19, v12, s2 dst_sel:DWORD dst_unused:UNUSED_PAD src0_sel:WORD_1 src1_sel:DWORD
	v_lshrrev_b32_e32 v10, 16, v12
	v_cmp_ne_u16_e32 vcc, 0, v19
	s_and_saveexec_b64 s[2:3], vcc
	s_cbranch_execz .LBB584_563
; %bb.558:
	s_movk_i32 s7, 0x80
	v_cmp_ne_u16_e32 vcc, s7, v19
	v_bfrev_b32_e32 v11, 1
	s_and_saveexec_b64 s[8:9], vcc
	s_cbranch_execz .LBB584_562
; %bb.559:
	v_bfe_u32 v19, v12, 16, 7
	s_movk_i32 s7, 0x7f
	v_cmp_ne_u32_e32 vcc, s7, v19
	v_mov_b32_e32 v11, 0x7f800001
	s_and_saveexec_b64 s[10:11], vcc
	s_cbranch_execz .LBB584_561
; %bb.560:
	v_and_b32_e32 v21, 7, v10
	v_ffbh_u32_e32 v11, v21
	v_min_u32_e32 v24, 32, v11
	v_subrev_u32_e32 v11, 28, v24
	v_lshlrev_b64 v[10:11], v11, v[10:11]
	v_lshrrev_b32_e32 v23, 3, v19
	v_sub_u32_e32 v11, 29, v24
	v_and_b32_e32 v10, 7, v10
	v_cmp_gt_u32_e32 vcc, 8, v19
	v_mov_b32_e32 v19, 24
	v_cndmask_b32_e32 v11, v23, v11, vcc
	v_cndmask_b32_e32 v10, v21, v10, vcc
	v_lshlrev_b32_sdwa v19, v19, v12 dst_sel:DWORD dst_unused:UNUSED_PAD src0_sel:DWORD src1_sel:WORD_1
	v_bfrev_b32_e32 v21, 60
	v_lshlrev_b32_e32 v10, 20, v10
	v_and_b32_e32 v19, 0x80000000, v19
	v_lshl_add_u32 v11, v11, 23, v21
	v_or3_b32 v11, v19, v11, v10
.LBB584_561:
	s_or_b64 exec, exec, s[10:11]
.LBB584_562:
	s_or_b64 exec, exec, s[8:9]
.LBB584_563:
	s_or_b64 exec, exec, s[2:3]
	s_mov_b32 s2, 0xffffff
	v_cmp_lt_u32_e32 vcc, s2, v12
	v_mov_b32_e32 v21, 0
	v_mov_b32_e32 v23, 0
	s_and_saveexec_b64 s[2:3], vcc
	s_cbranch_execz .LBB584_569
; %bb.564:
	v_lshrrev_b32_e32 v10, 24, v12
	s_movk_i32 s7, 0x80
	v_cmp_ne_u32_e32 vcc, s7, v10
	v_bfrev_b32_e32 v23, 1
	s_and_saveexec_b64 s[8:9], vcc
	s_cbranch_execz .LBB584_568
; %bb.565:
	v_bfe_u32 v12, v12, 24, 7
	s_movk_i32 s7, 0x7f
	v_cmp_ne_u32_e32 vcc, s7, v12
	v_mov_b32_e32 v23, 0x7f800001
	s_and_saveexec_b64 s[10:11], vcc
	s_cbranch_execz .LBB584_567
; %bb.566:
	v_and_b32_e32 v19, 7, v10
	v_ffbh_u32_e32 v24, v19
	v_min_u32_e32 v27, 32, v24
	v_subrev_u32_e32 v24, 28, v27
	v_lshlrev_b64 v[24:25], v24, v[10:11]
	v_lshrrev_b32_e32 v23, 3, v12
	v_sub_u32_e32 v25, 29, v27
	v_and_b32_e32 v24, 7, v24
	v_cmp_gt_u32_e32 vcc, 8, v12
	v_cndmask_b32_e32 v12, v23, v25, vcc
	v_cndmask_b32_e32 v19, v19, v24, vcc
	v_lshlrev_b32_e32 v10, 24, v10
	v_bfrev_b32_e32 v23, 60
	v_lshlrev_b32_e32 v19, 20, v19
	v_and_b32_e32 v10, 0x80000000, v10
	v_lshl_add_u32 v12, v12, 23, v23
	v_or3_b32 v23, v10, v12, v19
.LBB584_567:
	s_or_b64 exec, exec, s[10:11]
.LBB584_568:
	s_or_b64 exec, exec, s[8:9]
.LBB584_569:
	s_or_b64 exec, exec, s[2:3]
	v_cmp_ne_u16_sdwa s[8:9], v13, v21 src0_sel:BYTE_0 src1_sel:DWORD
	s_and_saveexec_b64 s[2:3], s[8:9]
	s_cbranch_execz .LBB584_575
; %bb.570:
	s_movk_i32 s7, 0x80
	v_cmp_ne_u16_sdwa s[10:11], v13, s7 src0_sel:BYTE_0 src1_sel:DWORD
	v_bfrev_b32_e32 v21, 1
	s_and_saveexec_b64 s[8:9], s[10:11]
	s_cbranch_execz .LBB584_574
; %bb.571:
	s_movk_i32 s7, 0x7f
	v_and_b32_e32 v10, 0x7f, v13
	v_cmp_ne_u32_e32 vcc, s7, v10
	v_mov_b32_e32 v21, 0x7f800001
	s_and_saveexec_b64 s[10:11], vcc
	s_cbranch_execz .LBB584_573
; %bb.572:
	v_and_b32_e32 v19, 7, v13
	v_ffbh_u32_e32 v24, v19
	v_min_u32_e32 v27, 32, v24
	v_mov_b32_e32 v12, v13
	v_subrev_u32_e32 v24, 28, v27
	v_lshlrev_b64 v[24:25], v24, v[12:13]
	v_lshrrev_b32_e32 v21, 3, v10
	v_sub_u32_e32 v12, 29, v27
	v_and_b32_e32 v24, 7, v24
	v_cmp_gt_u32_e32 vcc, 8, v10
	v_cndmask_b32_e32 v10, v21, v12, vcc
	v_cndmask_b32_e32 v12, v19, v24, vcc
	v_lshlrev_b32_e32 v19, 24, v13
	v_bfrev_b32_e32 v21, 60
	v_lshlrev_b32_e32 v12, 20, v12
	v_and_b32_e32 v19, 0x80000000, v19
	v_lshl_add_u32 v10, v10, 23, v21
	v_or3_b32 v21, v19, v10, v12
.LBB584_573:
	s_or_b64 exec, exec, s[10:11]
.LBB584_574:
	s_or_b64 exec, exec, s[8:9]
.LBB584_575:
	s_or_b64 exec, exec, s[2:3]
	v_lshrrev_b16_e32 v10, 8, v13
	v_cmp_ne_u16_e32 vcc, 0, v10
	v_mov_b32_e32 v12, 0
	v_mov_b32_e32 v24, 0
	s_and_saveexec_b64 s[2:3], vcc
	s_cbranch_execz .LBB584_581
; %bb.576:
	s_movk_i32 s7, 0x80
	v_cmp_ne_u16_e32 vcc, s7, v10
	v_bfrev_b32_e32 v24, 1
	s_and_saveexec_b64 s[8:9], vcc
	s_cbranch_execz .LBB584_580
; %bb.577:
	s_movk_i32 s7, 0x7f
	v_and_b32_e32 v19, 0x7f, v10
	v_cmp_ne_u32_e32 vcc, s7, v19
	v_mov_b32_e32 v24, 0x7f800001
	s_and_saveexec_b64 s[10:11], vcc
	s_cbranch_execz .LBB584_579
; %bb.578:
	v_and_b32_e32 v27, 7, v10
	v_ffbh_u32_e32 v24, v27
	v_min_u32_e32 v29, 32, v24
	v_subrev_u32_e32 v24, 28, v29
	v_lshlrev_b64 v[24:25], v24, v[10:11]
	v_lshrrev_b32_e32 v28, 3, v19
	v_sub_u32_e32 v10, 29, v29
	v_and_b32_e32 v24, 7, v24
	v_cmp_gt_u32_e32 vcc, 8, v19
	v_cndmask_b32_e32 v10, v28, v10, vcc
	v_cndmask_b32_e32 v19, v27, v24, vcc
	v_lshlrev_b32_e32 v24, 16, v13
	v_bfrev_b32_e32 v25, 60
	v_lshlrev_b32_e32 v19, 20, v19
	v_and_b32_e32 v24, 0x80000000, v24
	v_lshl_add_u32 v10, v10, 23, v25
	v_or3_b32 v24, v24, v10, v19
.LBB584_579:
	s_or_b64 exec, exec, s[10:11]
.LBB584_580:
	s_or_b64 exec, exec, s[8:9]
.LBB584_581:
	s_or_b64 exec, exec, s[2:3]
	s_movk_i32 s2, 0xff
	v_and_b32_sdwa v19, v13, s2 dst_sel:DWORD dst_unused:UNUSED_PAD src0_sel:WORD_1 src1_sel:DWORD
	v_lshrrev_b32_e32 v10, 16, v13
	v_cmp_ne_u16_e32 vcc, 0, v19
	s_and_saveexec_b64 s[2:3], vcc
	s_cbranch_execz .LBB584_587
; %bb.582:
	s_movk_i32 s7, 0x80
	v_cmp_ne_u16_e32 vcc, s7, v19
	v_bfrev_b32_e32 v12, 1
	s_and_saveexec_b64 s[8:9], vcc
	s_cbranch_execz .LBB584_586
; %bb.583:
	v_bfe_u32 v19, v13, 16, 7
	s_movk_i32 s7, 0x7f
	v_cmp_ne_u32_e32 vcc, s7, v19
	v_mov_b32_e32 v12, 0x7f800001
	s_and_saveexec_b64 s[10:11], vcc
	s_cbranch_execz .LBB584_585
; %bb.584:
	v_and_b32_e32 v12, 7, v10
	v_ffbh_u32_e32 v27, v12
	v_min_u32_e32 v27, 32, v27
	v_subrev_u32_e32 v28, 28, v27
	v_lshlrev_b64 v[28:29], v28, v[10:11]
	v_lshrrev_b32_e32 v25, 3, v19
	v_sub_u32_e32 v10, 29, v27
	v_and_b32_e32 v27, 7, v28
	v_cmp_gt_u32_e32 vcc, 8, v19
	v_mov_b32_e32 v19, 24
	v_cndmask_b32_e32 v10, v25, v10, vcc
	v_cndmask_b32_e32 v12, v12, v27, vcc
	v_lshlrev_b32_sdwa v19, v19, v13 dst_sel:DWORD dst_unused:UNUSED_PAD src0_sel:DWORD src1_sel:WORD_1
	v_bfrev_b32_e32 v25, 60
	v_lshlrev_b32_e32 v12, 20, v12
	v_and_b32_e32 v19, 0x80000000, v19
	v_lshl_add_u32 v10, v10, 23, v25
	v_or3_b32 v12, v19, v10, v12
.LBB584_585:
	s_or_b64 exec, exec, s[10:11]
.LBB584_586:
	s_or_b64 exec, exec, s[8:9]
.LBB584_587:
	s_or_b64 exec, exec, s[2:3]
	s_mov_b32 s2, 0xffffff
	v_cmp_lt_u32_e32 vcc, s2, v13
	v_mov_b32_e32 v19, 0
	v_mov_b32_e32 v25, 0
	s_and_saveexec_b64 s[2:3], vcc
	s_cbranch_execz .LBB584_593
; %bb.588:
	v_lshrrev_b32_e32 v10, 24, v13
	s_movk_i32 s7, 0x80
	v_cmp_ne_u32_e32 vcc, s7, v10
	v_bfrev_b32_e32 v25, 1
	s_and_saveexec_b64 s[8:9], vcc
	s_cbranch_execz .LBB584_592
; %bb.589:
	v_bfe_u32 v13, v13, 24, 7
	s_movk_i32 s7, 0x7f
	v_cmp_ne_u32_e32 vcc, s7, v13
	v_mov_b32_e32 v25, 0x7f800001
	s_and_saveexec_b64 s[10:11], vcc
	s_cbranch_execz .LBB584_591
; %bb.590:
	v_and_b32_e32 v25, 7, v10
	v_ffbh_u32_e32 v28, v25
	v_min_u32_e32 v30, 32, v28
	v_subrev_u32_e32 v28, 28, v30
	v_lshlrev_b64 v[28:29], v28, v[10:11]
	v_lshrrev_b32_e32 v27, 3, v13
	v_sub_u32_e32 v29, 29, v30
	v_and_b32_e32 v28, 7, v28
	v_cmp_gt_u32_e32 vcc, 8, v13
	v_cndmask_b32_e32 v13, v27, v29, vcc
	v_cndmask_b32_e32 v25, v25, v28, vcc
	v_lshlrev_b32_e32 v10, 24, v10
	v_bfrev_b32_e32 v27, 60
	v_lshlrev_b32_e32 v25, 20, v25
	v_and_b32_e32 v10, 0x80000000, v10
	v_lshl_add_u32 v13, v13, 23, v27
	v_or3_b32 v25, v10, v13, v25
.LBB584_591:
	s_or_b64 exec, exec, s[10:11]
.LBB584_592:
	s_or_b64 exec, exec, s[8:9]
.LBB584_593:
	s_or_b64 exec, exec, s[2:3]
	v_cvt_pkrtz_f16_f32 v10, v18, v20
	v_cvt_pkrtz_f16_f32 v11, v11, v23
	ds_read_b128 v[28:31], v22 offset:2064
	s_waitcnt vmcnt(1)
	v_cmp_ne_u16_sdwa s[8:9], v6, v19 src0_sel:BYTE_0 src1_sel:DWORD
	s_waitcnt lgkmcnt(0)
	v_mfma_f32_16x16x16f16 v[14:17], v[10:11], v[28:29], v[14:17]
	v_cvt_pkrtz_f16_f32 v10, v21, v24
	v_cvt_pkrtz_f16_f32 v11, v12, v25
	s_nop 1
	v_mfma_f32_16x16x16f16 v[10:13], v[10:11], v[30:31], v[14:17]
	s_and_saveexec_b64 s[2:3], s[8:9]
	s_cbranch_execz .LBB584_599
; %bb.594:
	s_movk_i32 s7, 0x80
	v_cmp_ne_u16_sdwa s[10:11], v6, s7 src0_sel:BYTE_0 src1_sel:DWORD
	v_bfrev_b32_e32 v19, 1
	s_and_saveexec_b64 s[8:9], s[10:11]
	s_cbranch_execz .LBB584_598
; %bb.595:
	s_movk_i32 s7, 0x7f
	v_and_b32_e32 v14, 0x7f, v6
	v_cmp_ne_u32_e32 vcc, s7, v14
	v_mov_b32_e32 v19, 0x7f800001
	s_and_saveexec_b64 s[10:11], vcc
	s_cbranch_execz .LBB584_597
; %bb.596:
	v_and_b32_e32 v15, 7, v6
	v_ffbh_u32_e32 v16, v15
	v_min_u32_e32 v19, 32, v16
	v_subrev_u32_e32 v16, 28, v19
	v_lshlrev_b64 v[16:17], v16, v[6:7]
	v_lshrrev_b32_e32 v18, 3, v14
	v_sub_u32_e32 v17, 29, v19
	v_and_b32_e32 v16, 7, v16
	v_cmp_gt_u32_e32 vcc, 8, v14
	v_cndmask_b32_e32 v14, v18, v17, vcc
	v_cndmask_b32_e32 v15, v15, v16, vcc
	v_lshlrev_b32_e32 v16, 24, v6
	v_bfrev_b32_e32 v17, 60
	v_lshlrev_b32_e32 v15, 20, v15
	v_and_b32_e32 v16, 0x80000000, v16
	v_lshl_add_u32 v14, v14, 23, v17
	v_or3_b32 v19, v16, v14, v15
.LBB584_597:
	s_or_b64 exec, exec, s[10:11]
.LBB584_598:
	s_or_b64 exec, exec, s[8:9]
.LBB584_599:
	s_or_b64 exec, exec, s[2:3]
	s_nop 3
	v_lshrrev_b16_e32 v14, 8, v6
	v_cmp_ne_u16_e32 vcc, 0, v14
	v_mov_b32_e32 v15, 0
	v_mov_b32_e32 v16, 0
	s_and_saveexec_b64 s[2:3], vcc
	s_cbranch_execz .LBB584_605
; %bb.600:
	s_movk_i32 s7, 0x80
	v_cmp_ne_u16_e32 vcc, s7, v14
	v_bfrev_b32_e32 v16, 1
	s_and_saveexec_b64 s[8:9], vcc
	s_cbranch_execz .LBB584_604
; %bb.601:
	s_movk_i32 s7, 0x7f
	v_and_b32_e32 v17, 0x7f, v14
	v_cmp_ne_u32_e32 vcc, s7, v17
	v_mov_b32_e32 v16, 0x7f800001
	s_and_saveexec_b64 s[10:11], vcc
	s_cbranch_execz .LBB584_603
; %bb.602:
	v_and_b32_e32 v16, 7, v14
	v_ffbh_u32_e32 v20, v16
	v_min_u32_e32 v23, 32, v20
	v_subrev_u32_e32 v20, 28, v23
	v_lshlrev_b64 v[20:21], v20, v[14:15]
	v_lshrrev_b32_e32 v18, 3, v17
	v_sub_u32_e32 v14, 29, v23
	v_and_b32_e32 v20, 7, v20
	v_cmp_gt_u32_e32 vcc, 8, v17
	v_cndmask_b32_e32 v14, v18, v14, vcc
	v_cndmask_b32_e32 v16, v16, v20, vcc
	v_lshlrev_b32_e32 v17, 16, v6
	v_bfrev_b32_e32 v18, 60
	v_lshlrev_b32_e32 v16, 20, v16
	v_and_b32_e32 v17, 0x80000000, v17
	v_lshl_add_u32 v14, v14, 23, v18
	v_or3_b32 v16, v17, v14, v16
.LBB584_603:
	s_or_b64 exec, exec, s[10:11]
.LBB584_604:
	s_or_b64 exec, exec, s[8:9]
.LBB584_605:
	s_or_b64 exec, exec, s[2:3]
	s_movk_i32 s2, 0xff
	v_and_b32_sdwa v17, v6, s2 dst_sel:DWORD dst_unused:UNUSED_PAD src0_sel:WORD_1 src1_sel:DWORD
	v_lshrrev_b32_e32 v14, 16, v6
	v_cmp_ne_u16_e32 vcc, 0, v17
	s_and_saveexec_b64 s[2:3], vcc
	s_cbranch_execz .LBB584_611
; %bb.606:
	s_movk_i32 s7, 0x80
	v_cmp_ne_u16_e32 vcc, s7, v17
	v_bfrev_b32_e32 v15, 1
	s_and_saveexec_b64 s[8:9], vcc
	s_cbranch_execz .LBB584_610
; %bb.607:
	v_bfe_u32 v17, v6, 16, 7
	s_movk_i32 s7, 0x7f
	v_cmp_ne_u32_e32 vcc, s7, v17
	v_mov_b32_e32 v15, 0x7f800001
	s_and_saveexec_b64 s[10:11], vcc
	s_cbranch_execz .LBB584_609
; %bb.608:
	v_and_b32_e32 v18, 7, v14
	v_ffbh_u32_e32 v15, v18
	v_min_u32_e32 v21, 32, v15
	v_subrev_u32_e32 v15, 28, v21
	v_lshlrev_b64 v[14:15], v15, v[14:15]
	v_lshrrev_b32_e32 v20, 3, v17
	v_sub_u32_e32 v15, 29, v21
	v_and_b32_e32 v14, 7, v14
	v_cmp_gt_u32_e32 vcc, 8, v17
	v_mov_b32_e32 v17, 24
	v_cndmask_b32_e32 v15, v20, v15, vcc
	v_cndmask_b32_e32 v14, v18, v14, vcc
	v_lshlrev_b32_sdwa v17, v17, v6 dst_sel:DWORD dst_unused:UNUSED_PAD src0_sel:DWORD src1_sel:WORD_1
	v_bfrev_b32_e32 v18, 60
	v_lshlrev_b32_e32 v14, 20, v14
	v_and_b32_e32 v17, 0x80000000, v17
	v_lshl_add_u32 v15, v15, 23, v18
	v_or3_b32 v15, v17, v15, v14
.LBB584_609:
	s_or_b64 exec, exec, s[10:11]
.LBB584_610:
	s_or_b64 exec, exec, s[8:9]
.LBB584_611:
	s_or_b64 exec, exec, s[2:3]
	s_mov_b32 s2, 0xffffff
	v_cmp_lt_u32_e32 vcc, s2, v6
	v_mov_b32_e32 v17, 0
	v_mov_b32_e32 v18, 0
	s_and_saveexec_b64 s[2:3], vcc
	s_cbranch_execz .LBB584_617
; %bb.612:
	v_lshrrev_b32_e32 v14, 24, v6
	s_movk_i32 s7, 0x80
	v_cmp_ne_u32_e32 vcc, s7, v14
	v_bfrev_b32_e32 v18, 1
	s_and_saveexec_b64 s[8:9], vcc
	s_cbranch_execz .LBB584_616
; %bb.613:
	v_bfe_u32 v6, v6, 24, 7
	s_movk_i32 s7, 0x7f
	v_cmp_ne_u32_e32 vcc, s7, v6
	v_mov_b32_e32 v18, 0x7f800001
	s_and_saveexec_b64 s[10:11], vcc
	s_cbranch_execz .LBB584_615
; %bb.614:
	v_and_b32_e32 v18, 7, v14
	v_ffbh_u32_e32 v20, v18
	v_min_u32_e32 v24, 32, v20
	v_subrev_u32_e32 v20, 28, v24
	v_lshlrev_b64 v[20:21], v20, v[14:15]
	v_lshrrev_b32_e32 v23, 3, v6
	v_sub_u32_e32 v21, 29, v24
	v_and_b32_e32 v20, 7, v20
	v_cmp_gt_u32_e32 vcc, 8, v6
	v_cndmask_b32_e32 v6, v23, v21, vcc
	v_cndmask_b32_e32 v18, v18, v20, vcc
	v_lshlrev_b32_e32 v14, 24, v14
	v_bfrev_b32_e32 v20, 60
	v_lshlrev_b32_e32 v18, 20, v18
	v_and_b32_e32 v14, 0x80000000, v14
	v_lshl_add_u32 v6, v6, 23, v20
	v_or3_b32 v18, v14, v6, v18
.LBB584_615:
	s_or_b64 exec, exec, s[10:11]
.LBB584_616:
	s_or_b64 exec, exec, s[8:9]
.LBB584_617:
	s_or_b64 exec, exec, s[2:3]
	v_cmp_ne_u16_sdwa s[8:9], v7, v17 src0_sel:BYTE_0 src1_sel:DWORD
	s_and_saveexec_b64 s[2:3], s[8:9]
	s_cbranch_execz .LBB584_623
; %bb.618:
	s_movk_i32 s7, 0x80
	v_cmp_ne_u16_sdwa s[10:11], v7, s7 src0_sel:BYTE_0 src1_sel:DWORD
	v_bfrev_b32_e32 v17, 1
	s_and_saveexec_b64 s[8:9], s[10:11]
	s_cbranch_execz .LBB584_622
; %bb.619:
	s_movk_i32 s7, 0x7f
	v_and_b32_e32 v6, 0x7f, v7
	v_cmp_ne_u32_e32 vcc, s7, v6
	v_mov_b32_e32 v17, 0x7f800001
	s_and_saveexec_b64 s[10:11], vcc
	s_cbranch_execz .LBB584_621
; %bb.620:
	v_and_b32_e32 v17, 7, v7
	v_ffbh_u32_e32 v20, v17
	v_min_u32_e32 v24, 32, v20
	v_mov_b32_e32 v14, v7
	v_subrev_u32_e32 v20, 28, v24
	v_lshlrev_b64 v[20:21], v20, v[14:15]
	v_lshrrev_b32_e32 v23, 3, v6
	v_sub_u32_e32 v14, 29, v24
	v_and_b32_e32 v20, 7, v20
	v_cmp_gt_u32_e32 vcc, 8, v6
	v_cndmask_b32_e32 v6, v23, v14, vcc
	v_cndmask_b32_e32 v14, v17, v20, vcc
	v_lshlrev_b32_e32 v17, 24, v7
	v_bfrev_b32_e32 v20, 60
	v_lshlrev_b32_e32 v14, 20, v14
	v_and_b32_e32 v17, 0x80000000, v17
	v_lshl_add_u32 v6, v6, 23, v20
	v_or3_b32 v17, v17, v6, v14
.LBB584_621:
	s_or_b64 exec, exec, s[10:11]
.LBB584_622:
	s_or_b64 exec, exec, s[8:9]
.LBB584_623:
	s_or_b64 exec, exec, s[2:3]
	v_lshrrev_b16_e32 v6, 8, v7
	v_cmp_ne_u16_e32 vcc, 0, v6
	v_mov_b32_e32 v20, 0
	v_mov_b32_e32 v21, 0
	s_and_saveexec_b64 s[2:3], vcc
	s_cbranch_execz .LBB584_629
; %bb.624:
	s_movk_i32 s7, 0x80
	v_cmp_ne_u16_e32 vcc, s7, v6
	v_bfrev_b32_e32 v21, 1
	s_and_saveexec_b64 s[8:9], vcc
	s_cbranch_execz .LBB584_628
; %bb.625:
	s_movk_i32 s7, 0x7f
	v_and_b32_e32 v14, 0x7f, v6
	v_cmp_ne_u32_e32 vcc, s7, v14
	v_mov_b32_e32 v21, 0x7f800001
	s_and_saveexec_b64 s[10:11], vcc
	s_cbranch_execz .LBB584_627
; %bb.626:
	v_and_b32_e32 v21, 7, v6
	v_ffbh_u32_e32 v24, v21
	v_min_u32_e32 v27, 32, v24
	v_subrev_u32_e32 v24, 28, v27
	v_lshlrev_b64 v[24:25], v24, v[6:7]
	v_lshrrev_b32_e32 v23, 3, v14
	v_sub_u32_e32 v6, 29, v27
	v_and_b32_e32 v24, 7, v24
	v_cmp_gt_u32_e32 vcc, 8, v14
	v_cndmask_b32_e32 v6, v23, v6, vcc
	v_cndmask_b32_e32 v14, v21, v24, vcc
	v_lshlrev_b32_e32 v21, 16, v7
	v_bfrev_b32_e32 v23, 60
	v_lshlrev_b32_e32 v14, 20, v14
	v_and_b32_e32 v21, 0x80000000, v21
	v_lshl_add_u32 v6, v6, 23, v23
	v_or3_b32 v21, v21, v6, v14
.LBB584_627:
	s_or_b64 exec, exec, s[10:11]
.LBB584_628:
	s_or_b64 exec, exec, s[8:9]
.LBB584_629:
	s_or_b64 exec, exec, s[2:3]
	s_movk_i32 s2, 0xff
	v_and_b32_sdwa v14, v7, s2 dst_sel:DWORD dst_unused:UNUSED_PAD src0_sel:WORD_1 src1_sel:DWORD
	v_lshrrev_b32_e32 v6, 16, v7
	v_cmp_ne_u16_e32 vcc, 0, v14
	s_and_saveexec_b64 s[2:3], vcc
	s_cbranch_execz .LBB584_635
; %bb.630:
	s_movk_i32 s7, 0x80
	v_cmp_ne_u16_e32 vcc, s7, v14
	v_bfrev_b32_e32 v20, 1
	s_and_saveexec_b64 s[8:9], vcc
	s_cbranch_execz .LBB584_634
; %bb.631:
	v_bfe_u32 v14, v7, 16, 7
	s_movk_i32 s7, 0x7f
	v_cmp_ne_u32_e32 vcc, s7, v14
	v_mov_b32_e32 v20, 0x7f800001
	s_and_saveexec_b64 s[10:11], vcc
	s_cbranch_execz .LBB584_633
; %bb.632:
	v_and_b32_e32 v20, 7, v6
	v_ffbh_u32_e32 v24, v20
	v_min_u32_e32 v27, 32, v24
	v_subrev_u32_e32 v24, 28, v27
	v_lshlrev_b64 v[24:25], v24, v[6:7]
	v_and_b32_e32 v24, 7, v24
	v_cmp_gt_u32_e32 vcc, 8, v14
	v_lshrrev_b32_e32 v23, 3, v14
	v_sub_u32_e32 v6, 29, v27
	v_cndmask_b32_e32 v14, v20, v24, vcc
	v_mov_b32_e32 v20, 24
	v_cndmask_b32_e32 v6, v23, v6, vcc
	v_lshlrev_b32_sdwa v20, v20, v7 dst_sel:DWORD dst_unused:UNUSED_PAD src0_sel:DWORD src1_sel:WORD_1
	v_bfrev_b32_e32 v23, 60
	v_lshlrev_b32_e32 v14, 20, v14
	v_and_b32_e32 v20, 0x80000000, v20
	v_lshl_add_u32 v6, v6, 23, v23
	v_or3_b32 v20, v20, v6, v14
.LBB584_633:
	s_or_b64 exec, exec, s[10:11]
.LBB584_634:
	s_or_b64 exec, exec, s[8:9]
.LBB584_635:
	s_or_b64 exec, exec, s[2:3]
	s_mov_b32 s2, 0xffffff
	v_cmp_lt_u32_e32 vcc, s2, v7
	v_mov_b32_e32 v14, 0
	v_mov_b32_e32 v23, 0
	s_and_saveexec_b64 s[2:3], vcc
	s_cbranch_execz .LBB584_641
; %bb.636:
	v_lshrrev_b32_e32 v6, 24, v7
	s_movk_i32 s7, 0x80
	v_cmp_ne_u32_e32 vcc, s7, v6
	v_bfrev_b32_e32 v23, 1
	s_and_saveexec_b64 s[8:9], vcc
	s_cbranch_execz .LBB584_640
; %bb.637:
	v_bfe_u32 v7, v7, 24, 7
	s_movk_i32 s7, 0x7f
	v_cmp_ne_u32_e32 vcc, s7, v7
	v_mov_b32_e32 v23, 0x7f800001
	s_and_saveexec_b64 s[10:11], vcc
	s_cbranch_execz .LBB584_639
; %bb.638:
	v_and_b32_e32 v23, 7, v6
	v_ffbh_u32_e32 v24, v23
	v_min_u32_e32 v28, 32, v24
	v_subrev_u32_e32 v24, 28, v28
	v_lshlrev_b64 v[24:25], v24, v[6:7]
	v_lshrrev_b32_e32 v27, 3, v7
	v_sub_u32_e32 v25, 29, v28
	v_and_b32_e32 v24, 7, v24
	v_cmp_gt_u32_e32 vcc, 8, v7
	v_cndmask_b32_e32 v7, v27, v25, vcc
	v_cndmask_b32_e32 v23, v23, v24, vcc
	v_lshlrev_b32_e32 v6, 24, v6
	v_bfrev_b32_e32 v24, 60
	v_lshlrev_b32_e32 v23, 20, v23
	v_and_b32_e32 v6, 0x80000000, v6
	v_lshl_add_u32 v7, v7, 23, v24
	v_or3_b32 v23, v6, v7, v23
.LBB584_639:
	s_or_b64 exec, exec, s[10:11]
.LBB584_640:
	s_or_b64 exec, exec, s[8:9]
.LBB584_641:
	s_or_b64 exec, exec, s[2:3]
	v_cvt_pkrtz_f16_f32 v6, v19, v16
	v_cvt_pkrtz_f16_f32 v7, v15, v18
	ds_read_b128 v[28:31], v22 offset:4096
	v_cmp_ne_u16_sdwa s[8:9], v8, v14 src0_sel:BYTE_0 src1_sel:DWORD
	s_waitcnt lgkmcnt(0)
	v_mfma_f32_16x16x16f16 v[10:13], v[6:7], v[28:29], v[10:13]
	v_cvt_pkrtz_f16_f32 v6, v17, v21
	v_cvt_pkrtz_f16_f32 v7, v20, v23
	s_nop 1
	v_mfma_f32_16x16x16f16 v[10:13], v[6:7], v[30:31], v[10:13]
	s_and_saveexec_b64 s[2:3], s[8:9]
	s_cbranch_execz .LBB584_647
; %bb.642:
	s_movk_i32 s7, 0x80
	v_cmp_ne_u16_sdwa s[10:11], v8, s7 src0_sel:BYTE_0 src1_sel:DWORD
	v_bfrev_b32_e32 v14, 1
	s_and_saveexec_b64 s[8:9], s[10:11]
	s_cbranch_execz .LBB584_646
; %bb.643:
	s_movk_i32 s7, 0x7f
	v_and_b32_e32 v6, 0x7f, v8
	v_cmp_ne_u32_e32 vcc, s7, v6
	v_mov_b32_e32 v14, 0x7f800001
	s_and_saveexec_b64 s[10:11], vcc
	s_cbranch_execz .LBB584_645
; %bb.644:
	v_and_b32_e32 v7, 7, v8
	v_ffbh_u32_e32 v14, v7
	v_min_u32_e32 v17, 32, v14
	v_subrev_u32_e32 v14, 28, v17
	v_lshlrev_b64 v[14:15], v14, v[8:9]
	v_lshrrev_b32_e32 v16, 3, v6
	v_sub_u32_e32 v15, 29, v17
	v_and_b32_e32 v14, 7, v14
	v_cmp_gt_u32_e32 vcc, 8, v6
	v_cndmask_b32_e32 v6, v16, v15, vcc
	v_cndmask_b32_e32 v7, v7, v14, vcc
	v_lshlrev_b32_e32 v14, 24, v8
	v_bfrev_b32_e32 v15, 60
	v_lshlrev_b32_e32 v7, 20, v7
	v_and_b32_e32 v14, 0x80000000, v14
	v_lshl_add_u32 v6, v6, 23, v15
	v_or3_b32 v14, v14, v6, v7
.LBB584_645:
	s_or_b64 exec, exec, s[10:11]
.LBB584_646:
	s_or_b64 exec, exec, s[8:9]
.LBB584_647:
	s_or_b64 exec, exec, s[2:3]
	v_lshrrev_b16_e32 v6, 8, v8
	v_cmp_ne_u16_e32 vcc, 0, v6
	v_mov_b32_e32 v7, 0
	v_mov_b32_e32 v16, 0
	s_and_saveexec_b64 s[2:3], vcc
	s_cbranch_execz .LBB584_653
; %bb.648:
	s_movk_i32 s7, 0x80
	v_cmp_ne_u16_e32 vcc, s7, v6
	v_bfrev_b32_e32 v16, 1
	s_and_saveexec_b64 s[8:9], vcc
	s_cbranch_execz .LBB584_652
; %bb.649:
	s_movk_i32 s7, 0x7f
	v_and_b32_e32 v15, 0x7f, v6
	v_cmp_ne_u32_e32 vcc, s7, v15
	v_mov_b32_e32 v16, 0x7f800001
	s_and_saveexec_b64 s[10:11], vcc
	s_cbranch_execz .LBB584_651
; %bb.650:
	v_and_b32_e32 v18, 7, v6
	v_ffbh_u32_e32 v16, v18
	v_min_u32_e32 v20, 32, v16
	v_subrev_u32_e32 v16, 28, v20
	v_lshlrev_b64 v[16:17], v16, v[6:7]
	v_lshrrev_b32_e32 v19, 3, v15
	v_sub_u32_e32 v6, 29, v20
	v_and_b32_e32 v16, 7, v16
	v_cmp_gt_u32_e32 vcc, 8, v15
	v_cndmask_b32_e32 v6, v19, v6, vcc
	v_cndmask_b32_e32 v15, v18, v16, vcc
	v_lshlrev_b32_e32 v16, 16, v8
	v_bfrev_b32_e32 v17, 60
	v_lshlrev_b32_e32 v15, 20, v15
	v_and_b32_e32 v16, 0x80000000, v16
	v_lshl_add_u32 v6, v6, 23, v17
	v_or3_b32 v16, v16, v6, v15
.LBB584_651:
	s_or_b64 exec, exec, s[10:11]
.LBB584_652:
	s_or_b64 exec, exec, s[8:9]
.LBB584_653:
	s_or_b64 exec, exec, s[2:3]
	s_movk_i32 s2, 0xff
	v_and_b32_sdwa v15, v8, s2 dst_sel:DWORD dst_unused:UNUSED_PAD src0_sel:WORD_1 src1_sel:DWORD
	v_lshrrev_b32_e32 v6, 16, v8
	v_cmp_ne_u16_e32 vcc, 0, v15
	s_and_saveexec_b64 s[2:3], vcc
	s_cbranch_execz .LBB584_659
; %bb.654:
	s_movk_i32 s7, 0x80
	v_cmp_ne_u16_e32 vcc, s7, v15
	v_bfrev_b32_e32 v7, 1
	s_and_saveexec_b64 s[8:9], vcc
	s_cbranch_execz .LBB584_658
; %bb.655:
	v_bfe_u32 v15, v8, 16, 7
	s_movk_i32 s7, 0x7f
	v_cmp_ne_u32_e32 vcc, s7, v15
	v_mov_b32_e32 v7, 0x7f800001
	s_and_saveexec_b64 s[10:11], vcc
	s_cbranch_execz .LBB584_657
; %bb.656:
	v_and_b32_e32 v17, 7, v6
	v_ffbh_u32_e32 v7, v17
	v_min_u32_e32 v19, 32, v7
	v_subrev_u32_e32 v7, 28, v19
	v_lshlrev_b64 v[6:7], v7, v[6:7]
	v_lshrrev_b32_e32 v18, 3, v15
	v_sub_u32_e32 v7, 29, v19
	v_and_b32_e32 v6, 7, v6
	v_cmp_gt_u32_e32 vcc, 8, v15
	v_mov_b32_e32 v15, 24
	v_cndmask_b32_e32 v7, v18, v7, vcc
	v_cndmask_b32_e32 v6, v17, v6, vcc
	v_lshlrev_b32_sdwa v15, v15, v8 dst_sel:DWORD dst_unused:UNUSED_PAD src0_sel:DWORD src1_sel:WORD_1
	v_bfrev_b32_e32 v17, 60
	v_lshlrev_b32_e32 v6, 20, v6
	v_and_b32_e32 v15, 0x80000000, v15
	v_lshl_add_u32 v7, v7, 23, v17
	v_or3_b32 v7, v15, v7, v6
.LBB584_657:
	s_or_b64 exec, exec, s[10:11]
.LBB584_658:
	s_or_b64 exec, exec, s[8:9]
.LBB584_659:
	s_or_b64 exec, exec, s[2:3]
	s_mov_b32 s2, 0xffffff
	v_cmp_lt_u32_e32 vcc, s2, v8
	v_mov_b32_e32 v17, 0
	v_mov_b32_e32 v18, 0
	s_and_saveexec_b64 s[2:3], vcc
	s_cbranch_execz .LBB584_665
; %bb.660:
	v_lshrrev_b32_e32 v6, 24, v8
	s_movk_i32 s7, 0x80
	v_cmp_ne_u32_e32 vcc, s7, v6
	v_bfrev_b32_e32 v18, 1
	s_and_saveexec_b64 s[8:9], vcc
	s_cbranch_execz .LBB584_664
; %bb.661:
	v_bfe_u32 v8, v8, 24, 7
	s_movk_i32 s7, 0x7f
	v_cmp_ne_u32_e32 vcc, s7, v8
	v_mov_b32_e32 v18, 0x7f800001
	s_and_saveexec_b64 s[10:11], vcc
	s_cbranch_execz .LBB584_663
; %bb.662:
	v_and_b32_e32 v15, 7, v6
	v_ffbh_u32_e32 v18, v15
	v_min_u32_e32 v21, 32, v18
	v_subrev_u32_e32 v18, 28, v21
	v_lshlrev_b64 v[18:19], v18, v[6:7]
	v_lshrrev_b32_e32 v20, 3, v8
	v_sub_u32_e32 v19, 29, v21
	v_and_b32_e32 v18, 7, v18
	v_cmp_gt_u32_e32 vcc, 8, v8
	v_cndmask_b32_e32 v8, v20, v19, vcc
	v_cndmask_b32_e32 v15, v15, v18, vcc
	v_lshlrev_b32_e32 v6, 24, v6
	v_bfrev_b32_e32 v18, 60
	v_lshlrev_b32_e32 v15, 20, v15
	v_and_b32_e32 v6, 0x80000000, v6
	v_lshl_add_u32 v8, v8, 23, v18
	v_or3_b32 v18, v6, v8, v15
.LBB584_663:
	s_or_b64 exec, exec, s[10:11]
.LBB584_664:
	s_or_b64 exec, exec, s[8:9]
.LBB584_665:
	s_or_b64 exec, exec, s[2:3]
	v_cmp_ne_u16_sdwa s[8:9], v9, v17 src0_sel:BYTE_0 src1_sel:DWORD
	s_and_saveexec_b64 s[2:3], s[8:9]
	s_cbranch_execz .LBB584_671
; %bb.666:
	s_movk_i32 s7, 0x80
	v_cmp_ne_u16_sdwa s[10:11], v9, s7 src0_sel:BYTE_0 src1_sel:DWORD
	v_bfrev_b32_e32 v17, 1
	s_and_saveexec_b64 s[8:9], s[10:11]
	s_cbranch_execz .LBB584_670
; %bb.667:
	s_movk_i32 s7, 0x7f
	v_and_b32_e32 v6, 0x7f, v9
	v_cmp_ne_u32_e32 vcc, s7, v6
	v_mov_b32_e32 v17, 0x7f800001
	s_and_saveexec_b64 s[10:11], vcc
	s_cbranch_execz .LBB584_669
; %bb.668:
	v_and_b32_e32 v15, 7, v9
	v_ffbh_u32_e32 v19, v15
	v_min_u32_e32 v19, 32, v19
	v_mov_b32_e32 v8, v9
	v_subrev_u32_e32 v20, 28, v19
	v_lshlrev_b64 v[20:21], v20, v[8:9]
	v_lshrrev_b32_e32 v17, 3, v6
	v_sub_u32_e32 v8, 29, v19
	v_and_b32_e32 v19, 7, v20
	v_cmp_gt_u32_e32 vcc, 8, v6
	v_cndmask_b32_e32 v6, v17, v8, vcc
	v_cndmask_b32_e32 v8, v15, v19, vcc
	v_lshlrev_b32_e32 v15, 24, v9
	v_bfrev_b32_e32 v17, 60
	v_lshlrev_b32_e32 v8, 20, v8
	v_and_b32_e32 v15, 0x80000000, v15
	v_lshl_add_u32 v6, v6, 23, v17
	v_or3_b32 v17, v15, v6, v8
.LBB584_669:
	s_or_b64 exec, exec, s[10:11]
.LBB584_670:
	s_or_b64 exec, exec, s[8:9]
.LBB584_671:
	s_or_b64 exec, exec, s[2:3]
	v_lshrrev_b16_e32 v6, 8, v9
	v_cmp_ne_u16_e32 vcc, 0, v6
	v_mov_b32_e32 v8, 0
	v_mov_b32_e32 v19, 0
	s_and_saveexec_b64 s[2:3], vcc
	s_cbranch_execz .LBB584_677
; %bb.672:
	s_movk_i32 s7, 0x80
	v_cmp_ne_u16_e32 vcc, s7, v6
	v_bfrev_b32_e32 v19, 1
	s_and_saveexec_b64 s[8:9], vcc
	s_cbranch_execz .LBB584_676
; %bb.673:
	s_movk_i32 s7, 0x7f
	v_and_b32_e32 v15, 0x7f, v6
	v_cmp_ne_u32_e32 vcc, s7, v15
	v_mov_b32_e32 v19, 0x7f800001
	s_and_saveexec_b64 s[10:11], vcc
	s_cbranch_execz .LBB584_675
; %bb.674:
	v_and_b32_e32 v19, 7, v6
	v_ffbh_u32_e32 v20, v19
	v_min_u32_e32 v24, 32, v20
	v_subrev_u32_e32 v20, 28, v24
	v_lshlrev_b64 v[20:21], v20, v[6:7]
	v_lshrrev_b32_e32 v23, 3, v15
	v_sub_u32_e32 v6, 29, v24
	v_and_b32_e32 v20, 7, v20
	v_cmp_gt_u32_e32 vcc, 8, v15
	v_cndmask_b32_e32 v6, v23, v6, vcc
	v_cndmask_b32_e32 v15, v19, v20, vcc
	v_lshlrev_b32_e32 v19, 16, v9
	v_bfrev_b32_e32 v20, 60
	v_lshlrev_b32_e32 v15, 20, v15
	v_and_b32_e32 v19, 0x80000000, v19
	v_lshl_add_u32 v6, v6, 23, v20
	v_or3_b32 v19, v19, v6, v15
.LBB584_675:
	s_or_b64 exec, exec, s[10:11]
.LBB584_676:
	s_or_b64 exec, exec, s[8:9]
.LBB584_677:
	s_or_b64 exec, exec, s[2:3]
	s_movk_i32 s2, 0xff
	v_and_b32_sdwa v15, v9, s2 dst_sel:DWORD dst_unused:UNUSED_PAD src0_sel:WORD_1 src1_sel:DWORD
	v_lshrrev_b32_e32 v6, 16, v9
	v_cmp_ne_u16_e32 vcc, 0, v15
	s_and_saveexec_b64 s[2:3], vcc
	s_cbranch_execz .LBB584_683
; %bb.678:
	s_movk_i32 s7, 0x80
	v_cmp_ne_u16_e32 vcc, s7, v15
	v_bfrev_b32_e32 v8, 1
	s_and_saveexec_b64 s[8:9], vcc
	s_cbranch_execz .LBB584_682
; %bb.679:
	v_bfe_u32 v15, v9, 16, 7
	s_movk_i32 s7, 0x7f
	v_cmp_ne_u32_e32 vcc, s7, v15
	v_mov_b32_e32 v8, 0x7f800001
	s_and_saveexec_b64 s[10:11], vcc
	s_cbranch_execz .LBB584_681
; %bb.680:
	v_and_b32_e32 v8, 7, v6
	v_ffbh_u32_e32 v20, v8
	v_min_u32_e32 v24, 32, v20
	v_subrev_u32_e32 v20, 28, v24
	v_lshlrev_b64 v[20:21], v20, v[6:7]
	v_lshrrev_b32_e32 v23, 3, v15
	v_sub_u32_e32 v6, 29, v24
	v_and_b32_e32 v20, 7, v20
	v_cmp_gt_u32_e32 vcc, 8, v15
	v_mov_b32_e32 v15, 24
	v_cndmask_b32_e32 v6, v23, v6, vcc
	v_cndmask_b32_e32 v8, v8, v20, vcc
	v_lshlrev_b32_sdwa v15, v15, v9 dst_sel:DWORD dst_unused:UNUSED_PAD src0_sel:DWORD src1_sel:WORD_1
	v_bfrev_b32_e32 v20, 60
	v_lshlrev_b32_e32 v8, 20, v8
	v_and_b32_e32 v15, 0x80000000, v15
	v_lshl_add_u32 v6, v6, 23, v20
	v_or3_b32 v8, v15, v6, v8
.LBB584_681:
	s_or_b64 exec, exec, s[10:11]
.LBB584_682:
	s_or_b64 exec, exec, s[8:9]
.LBB584_683:
	s_or_b64 exec, exec, s[2:3]
	s_mov_b32 s2, 0xffffff
	v_cmp_lt_u32_e32 vcc, s2, v9
	v_mov_b32_e32 v15, 0
	v_mov_b32_e32 v20, 0
	s_and_saveexec_b64 s[2:3], vcc
	s_cbranch_execz .LBB584_689
; %bb.684:
	v_lshrrev_b32_e32 v6, 24, v9
	s_movk_i32 s7, 0x80
	v_cmp_ne_u32_e32 vcc, s7, v6
	v_bfrev_b32_e32 v20, 1
	s_and_saveexec_b64 s[8:9], vcc
	s_cbranch_execz .LBB584_688
; %bb.685:
	v_bfe_u32 v9, v9, 24, 7
	s_movk_i32 s7, 0x7f
	v_cmp_ne_u32_e32 vcc, s7, v9
	v_mov_b32_e32 v20, 0x7f800001
	s_and_saveexec_b64 s[10:11], vcc
	s_cbranch_execz .LBB584_687
; %bb.686:
	v_and_b32_e32 v23, 7, v6
	v_ffbh_u32_e32 v20, v23
	v_min_u32_e32 v25, 32, v20
	v_subrev_u32_e32 v20, 28, v25
	v_lshlrev_b64 v[20:21], v20, v[6:7]
	v_lshrrev_b32_e32 v24, 3, v9
	v_sub_u32_e32 v21, 29, v25
	v_and_b32_e32 v20, 7, v20
	v_cmp_gt_u32_e32 vcc, 8, v9
	v_cndmask_b32_e32 v9, v24, v21, vcc
	v_cndmask_b32_e32 v20, v23, v20, vcc
	v_lshlrev_b32_e32 v6, 24, v6
	v_bfrev_b32_e32 v21, 60
	v_lshlrev_b32_e32 v20, 20, v20
	v_and_b32_e32 v6, 0x80000000, v6
	v_lshl_add_u32 v9, v9, 23, v21
	v_or3_b32 v20, v6, v9, v20
.LBB584_687:
	s_or_b64 exec, exec, s[10:11]
.LBB584_688:
	s_or_b64 exec, exec, s[8:9]
.LBB584_689:
	s_or_b64 exec, exec, s[2:3]
	v_cvt_pkrtz_f16_f32 v6, v14, v16
	v_cvt_pkrtz_f16_f32 v7, v7, v18
	ds_read_b128 v[28:31], v22 offset:4112
	s_waitcnt vmcnt(0)
	v_cmp_ne_u16_sdwa s[8:9], v2, v15 src0_sel:BYTE_0 src1_sel:DWORD
	s_waitcnt lgkmcnt(0)
	v_mfma_f32_16x16x16f16 v[10:13], v[6:7], v[28:29], v[10:13]
	v_cvt_pkrtz_f16_f32 v6, v17, v19
	v_cvt_pkrtz_f16_f32 v7, v8, v20
	s_nop 1
	v_mfma_f32_16x16x16f16 v[6:9], v[6:7], v[30:31], v[10:13]
	s_and_saveexec_b64 s[2:3], s[8:9]
	s_cbranch_execz .LBB584_695
; %bb.690:
	s_movk_i32 s7, 0x80
	v_cmp_ne_u16_sdwa s[10:11], v2, s7 src0_sel:BYTE_0 src1_sel:DWORD
	v_bfrev_b32_e32 v15, 1
	s_and_saveexec_b64 s[8:9], s[10:11]
	s_cbranch_execz .LBB584_694
; %bb.691:
	s_movk_i32 s7, 0x7f
	v_and_b32_e32 v10, 0x7f, v2
	v_cmp_ne_u32_e32 vcc, s7, v10
	v_mov_b32_e32 v15, 0x7f800001
	s_and_saveexec_b64 s[10:11], vcc
	s_cbranch_execz .LBB584_693
; %bb.692:
	v_and_b32_e32 v11, 7, v2
	v_ffbh_u32_e32 v12, v11
	v_min_u32_e32 v15, 32, v12
	v_subrev_u32_e32 v12, 28, v15
	v_lshlrev_b64 v[12:13], v12, v[2:3]
	v_lshrrev_b32_e32 v14, 3, v10
	v_sub_u32_e32 v13, 29, v15
	v_and_b32_e32 v12, 7, v12
	v_cmp_gt_u32_e32 vcc, 8, v10
	v_cndmask_b32_e32 v10, v14, v13, vcc
	v_cndmask_b32_e32 v11, v11, v12, vcc
	v_lshlrev_b32_e32 v12, 24, v2
	v_bfrev_b32_e32 v13, 60
	v_lshlrev_b32_e32 v11, 20, v11
	v_and_b32_e32 v12, 0x80000000, v12
	v_lshl_add_u32 v10, v10, 23, v13
	v_or3_b32 v15, v12, v10, v11
.LBB584_693:
	s_or_b64 exec, exec, s[10:11]
.LBB584_694:
	s_or_b64 exec, exec, s[8:9]
.LBB584_695:
	s_or_b64 exec, exec, s[2:3]
	s_nop 3
	v_lshrrev_b16_e32 v10, 8, v2
	v_cmp_ne_u16_e32 vcc, 0, v10
	v_mov_b32_e32 v11, 0
	v_mov_b32_e32 v12, 0
	s_and_saveexec_b64 s[2:3], vcc
	s_cbranch_execz .LBB584_701
; %bb.696:
	s_movk_i32 s7, 0x80
	v_cmp_ne_u16_e32 vcc, s7, v10
	v_bfrev_b32_e32 v12, 1
	s_and_saveexec_b64 s[8:9], vcc
	s_cbranch_execz .LBB584_700
; %bb.697:
	s_movk_i32 s7, 0x7f
	v_and_b32_e32 v13, 0x7f, v10
	v_cmp_ne_u32_e32 vcc, s7, v13
	v_mov_b32_e32 v12, 0x7f800001
	s_and_saveexec_b64 s[10:11], vcc
	s_cbranch_execz .LBB584_699
; %bb.698:
	v_and_b32_e32 v12, 7, v10
	v_ffbh_u32_e32 v16, v12
	v_min_u32_e32 v18, 32, v16
	v_subrev_u32_e32 v16, 28, v18
	v_lshlrev_b64 v[16:17], v16, v[10:11]
	v_lshrrev_b32_e32 v14, 3, v13
	v_sub_u32_e32 v10, 29, v18
	v_and_b32_e32 v16, 7, v16
	v_cmp_gt_u32_e32 vcc, 8, v13
	v_cndmask_b32_e32 v10, v14, v10, vcc
	v_cndmask_b32_e32 v12, v12, v16, vcc
	v_lshlrev_b32_e32 v13, 16, v2
	v_bfrev_b32_e32 v14, 60
	v_lshlrev_b32_e32 v12, 20, v12
	v_and_b32_e32 v13, 0x80000000, v13
	v_lshl_add_u32 v10, v10, 23, v14
	v_or3_b32 v12, v13, v10, v12
.LBB584_699:
	s_or_b64 exec, exec, s[10:11]
.LBB584_700:
	s_or_b64 exec, exec, s[8:9]
.LBB584_701:
	s_or_b64 exec, exec, s[2:3]
	s_movk_i32 s2, 0xff
	v_and_b32_sdwa v13, v2, s2 dst_sel:DWORD dst_unused:UNUSED_PAD src0_sel:WORD_1 src1_sel:DWORD
	v_lshrrev_b32_e32 v10, 16, v2
	v_cmp_ne_u16_e32 vcc, 0, v13
	s_and_saveexec_b64 s[2:3], vcc
	s_cbranch_execz .LBB584_707
; %bb.702:
	s_movk_i32 s7, 0x80
	v_cmp_ne_u16_e32 vcc, s7, v13
	v_bfrev_b32_e32 v11, 1
	s_and_saveexec_b64 s[8:9], vcc
	s_cbranch_execz .LBB584_706
; %bb.703:
	v_bfe_u32 v13, v2, 16, 7
	s_movk_i32 s7, 0x7f
	v_cmp_ne_u32_e32 vcc, s7, v13
	v_mov_b32_e32 v11, 0x7f800001
	s_and_saveexec_b64 s[10:11], vcc
	s_cbranch_execz .LBB584_705
; %bb.704:
	v_and_b32_e32 v14, 7, v10
	v_ffbh_u32_e32 v11, v14
	v_min_u32_e32 v17, 32, v11
	v_subrev_u32_e32 v11, 28, v17
	v_lshlrev_b64 v[10:11], v11, v[10:11]
	v_lshrrev_b32_e32 v16, 3, v13
	v_sub_u32_e32 v11, 29, v17
	v_and_b32_e32 v10, 7, v10
	v_cmp_gt_u32_e32 vcc, 8, v13
	v_mov_b32_e32 v13, 24
	v_cndmask_b32_e32 v11, v16, v11, vcc
	v_cndmask_b32_e32 v10, v14, v10, vcc
	v_lshlrev_b32_sdwa v13, v13, v2 dst_sel:DWORD dst_unused:UNUSED_PAD src0_sel:DWORD src1_sel:WORD_1
	v_bfrev_b32_e32 v14, 60
	v_lshlrev_b32_e32 v10, 20, v10
	v_and_b32_e32 v13, 0x80000000, v13
	v_lshl_add_u32 v11, v11, 23, v14
	v_or3_b32 v11, v13, v11, v10
.LBB584_705:
	s_or_b64 exec, exec, s[10:11]
.LBB584_706:
	s_or_b64 exec, exec, s[8:9]
.LBB584_707:
	s_or_b64 exec, exec, s[2:3]
	s_mov_b32 s2, 0xffffff
	v_cmp_lt_u32_e32 vcc, s2, v2
	v_mov_b32_e32 v13, 0
	v_mov_b32_e32 v14, 0
	s_and_saveexec_b64 s[2:3], vcc
	s_cbranch_execz .LBB584_713
; %bb.708:
	v_lshrrev_b32_e32 v10, 24, v2
	s_movk_i32 s7, 0x80
	v_cmp_ne_u32_e32 vcc, s7, v10
	v_bfrev_b32_e32 v14, 1
	s_and_saveexec_b64 s[8:9], vcc
	s_cbranch_execz .LBB584_712
; %bb.709:
	v_bfe_u32 v2, v2, 24, 7
	s_movk_i32 s7, 0x7f
	v_cmp_ne_u32_e32 vcc, s7, v2
	v_mov_b32_e32 v14, 0x7f800001
	s_and_saveexec_b64 s[10:11], vcc
	s_cbranch_execz .LBB584_711
; %bb.710:
	v_and_b32_e32 v14, 7, v10
	v_ffbh_u32_e32 v16, v14
	v_min_u32_e32 v19, 32, v16
	v_subrev_u32_e32 v16, 28, v19
	v_lshlrev_b64 v[16:17], v16, v[10:11]
	v_lshrrev_b32_e32 v18, 3, v2
	v_sub_u32_e32 v17, 29, v19
	v_and_b32_e32 v16, 7, v16
	v_cmp_gt_u32_e32 vcc, 8, v2
	v_cndmask_b32_e32 v2, v18, v17, vcc
	v_cndmask_b32_e32 v14, v14, v16, vcc
	v_lshlrev_b32_e32 v10, 24, v10
	v_bfrev_b32_e32 v16, 60
	v_lshlrev_b32_e32 v14, 20, v14
	v_and_b32_e32 v10, 0x80000000, v10
	v_lshl_add_u32 v2, v2, 23, v16
	v_or3_b32 v14, v10, v2, v14
.LBB584_711:
	s_or_b64 exec, exec, s[10:11]
.LBB584_712:
	s_or_b64 exec, exec, s[8:9]
.LBB584_713:
	s_or_b64 exec, exec, s[2:3]
	v_cmp_ne_u16_sdwa s[8:9], v3, v13 src0_sel:BYTE_0 src1_sel:DWORD
	s_and_saveexec_b64 s[2:3], s[8:9]
	s_cbranch_execz .LBB584_719
; %bb.714:
	s_movk_i32 s7, 0x80
	v_cmp_ne_u16_sdwa s[10:11], v3, s7 src0_sel:BYTE_0 src1_sel:DWORD
	v_bfrev_b32_e32 v13, 1
	s_and_saveexec_b64 s[8:9], s[10:11]
	s_cbranch_execz .LBB584_718
; %bb.715:
	s_movk_i32 s7, 0x7f
	v_and_b32_e32 v2, 0x7f, v3
	v_cmp_ne_u32_e32 vcc, s7, v2
	v_mov_b32_e32 v13, 0x7f800001
	s_and_saveexec_b64 s[10:11], vcc
	s_cbranch_execz .LBB584_717
; %bb.716:
	v_and_b32_e32 v13, 7, v3
	v_ffbh_u32_e32 v16, v13
	v_min_u32_e32 v19, 32, v16
	v_mov_b32_e32 v10, v3
	v_subrev_u32_e32 v16, 28, v19
	v_lshlrev_b64 v[16:17], v16, v[10:11]
	v_lshrrev_b32_e32 v18, 3, v2
	v_sub_u32_e32 v10, 29, v19
	v_and_b32_e32 v16, 7, v16
	v_cmp_gt_u32_e32 vcc, 8, v2
	v_cndmask_b32_e32 v2, v18, v10, vcc
	v_cndmask_b32_e32 v10, v13, v16, vcc
	v_lshlrev_b32_e32 v13, 24, v3
	v_bfrev_b32_e32 v16, 60
	v_lshlrev_b32_e32 v10, 20, v10
	v_and_b32_e32 v13, 0x80000000, v13
	v_lshl_add_u32 v2, v2, 23, v16
	v_or3_b32 v13, v13, v2, v10
.LBB584_717:
	s_or_b64 exec, exec, s[10:11]
.LBB584_718:
	s_or_b64 exec, exec, s[8:9]
.LBB584_719:
	s_or_b64 exec, exec, s[2:3]
	v_lshrrev_b16_e32 v2, 8, v3
	v_cmp_ne_u16_e32 vcc, 0, v2
	v_mov_b32_e32 v16, 0
	v_mov_b32_e32 v17, 0
	s_and_saveexec_b64 s[2:3], vcc
	s_cbranch_execz .LBB584_725
; %bb.720:
	s_movk_i32 s7, 0x80
	v_cmp_ne_u16_e32 vcc, s7, v2
	v_bfrev_b32_e32 v17, 1
	s_and_saveexec_b64 s[8:9], vcc
	s_cbranch_execz .LBB584_724
; %bb.721:
	s_movk_i32 s7, 0x7f
	v_and_b32_e32 v10, 0x7f, v2
	v_cmp_ne_u32_e32 vcc, s7, v10
	v_mov_b32_e32 v17, 0x7f800001
	s_and_saveexec_b64 s[10:11], vcc
	s_cbranch_execz .LBB584_723
; %bb.722:
	v_and_b32_e32 v17, 7, v2
	v_ffbh_u32_e32 v18, v17
	v_min_u32_e32 v21, 32, v18
	v_subrev_u32_e32 v18, 28, v21
	v_lshlrev_b64 v[18:19], v18, v[2:3]
	v_lshrrev_b32_e32 v20, 3, v10
	v_sub_u32_e32 v2, 29, v21
	v_and_b32_e32 v18, 7, v18
	v_cmp_gt_u32_e32 vcc, 8, v10
	v_cndmask_b32_e32 v2, v20, v2, vcc
	v_cndmask_b32_e32 v10, v17, v18, vcc
	v_lshlrev_b32_e32 v17, 16, v3
	v_bfrev_b32_e32 v18, 60
	v_lshlrev_b32_e32 v10, 20, v10
	v_and_b32_e32 v17, 0x80000000, v17
	v_lshl_add_u32 v2, v2, 23, v18
	v_or3_b32 v17, v17, v2, v10
.LBB584_723:
	s_or_b64 exec, exec, s[10:11]
.LBB584_724:
	s_or_b64 exec, exec, s[8:9]
.LBB584_725:
	s_or_b64 exec, exec, s[2:3]
	s_movk_i32 s2, 0xff
	v_and_b32_sdwa v10, v3, s2 dst_sel:DWORD dst_unused:UNUSED_PAD src0_sel:WORD_1 src1_sel:DWORD
	v_lshrrev_b32_e32 v2, 16, v3
	v_cmp_ne_u16_e32 vcc, 0, v10
	s_and_saveexec_b64 s[2:3], vcc
	s_cbranch_execz .LBB584_731
; %bb.726:
	s_movk_i32 s7, 0x80
	v_cmp_ne_u16_e32 vcc, s7, v10
	v_bfrev_b32_e32 v16, 1
	s_and_saveexec_b64 s[8:9], vcc
	s_cbranch_execz .LBB584_730
; %bb.727:
	v_bfe_u32 v10, v3, 16, 7
	s_movk_i32 s7, 0x7f
	v_cmp_ne_u32_e32 vcc, s7, v10
	v_mov_b32_e32 v16, 0x7f800001
	s_and_saveexec_b64 s[10:11], vcc
	s_cbranch_execz .LBB584_729
; %bb.728:
	v_and_b32_e32 v16, 7, v2
	v_ffbh_u32_e32 v18, v16
	v_min_u32_e32 v21, 32, v18
	v_subrev_u32_e32 v18, 28, v21
	v_lshlrev_b64 v[18:19], v18, v[2:3]
	v_and_b32_e32 v18, 7, v18
	v_cmp_gt_u32_e32 vcc, 8, v10
	v_lshrrev_b32_e32 v20, 3, v10
	v_sub_u32_e32 v2, 29, v21
	v_cndmask_b32_e32 v10, v16, v18, vcc
	v_mov_b32_e32 v16, 24
	v_cndmask_b32_e32 v2, v20, v2, vcc
	v_lshlrev_b32_sdwa v16, v16, v3 dst_sel:DWORD dst_unused:UNUSED_PAD src0_sel:DWORD src1_sel:WORD_1
	v_bfrev_b32_e32 v18, 60
	v_lshlrev_b32_e32 v10, 20, v10
	v_and_b32_e32 v16, 0x80000000, v16
	v_lshl_add_u32 v2, v2, 23, v18
	v_or3_b32 v16, v16, v2, v10
.LBB584_729:
	s_or_b64 exec, exec, s[10:11]
.LBB584_730:
	s_or_b64 exec, exec, s[8:9]
.LBB584_731:
	s_or_b64 exec, exec, s[2:3]
	s_mov_b32 s2, 0xffffff
	v_cmp_lt_u32_e32 vcc, s2, v3
	v_mov_b32_e32 v10, 0
	v_mov_b32_e32 v18, 0
	s_and_saveexec_b64 s[2:3], vcc
	s_cbranch_execz .LBB584_737
; %bb.732:
	v_lshrrev_b32_e32 v2, 24, v3
	s_movk_i32 s7, 0x80
	v_cmp_ne_u32_e32 vcc, s7, v2
	v_bfrev_b32_e32 v18, 1
	s_and_saveexec_b64 s[8:9], vcc
	s_cbranch_execz .LBB584_736
; %bb.733:
	v_bfe_u32 v3, v3, 24, 7
	s_movk_i32 s7, 0x7f
	v_cmp_ne_u32_e32 vcc, s7, v3
	v_mov_b32_e32 v18, 0x7f800001
	s_and_saveexec_b64 s[10:11], vcc
	s_cbranch_execz .LBB584_735
; %bb.734:
	v_and_b32_e32 v20, 7, v2
	v_ffbh_u32_e32 v18, v20
	v_min_u32_e32 v23, 32, v18
	v_subrev_u32_e32 v18, 28, v23
	v_lshlrev_b64 v[18:19], v18, v[2:3]
	v_lshrrev_b32_e32 v21, 3, v3
	v_sub_u32_e32 v19, 29, v23
	v_and_b32_e32 v18, 7, v18
	v_cmp_gt_u32_e32 vcc, 8, v3
	v_cndmask_b32_e32 v3, v21, v19, vcc
	v_cndmask_b32_e32 v18, v20, v18, vcc
	v_lshlrev_b32_e32 v2, 24, v2
	v_bfrev_b32_e32 v19, 60
	v_lshlrev_b32_e32 v18, 20, v18
	v_and_b32_e32 v2, 0x80000000, v2
	v_lshl_add_u32 v3, v3, 23, v19
	v_or3_b32 v18, v2, v3, v18
.LBB584_735:
	s_or_b64 exec, exec, s[10:11]
.LBB584_736:
	s_or_b64 exec, exec, s[8:9]
.LBB584_737:
	s_or_b64 exec, exec, s[2:3]
	v_cvt_pkrtz_f16_f32 v2, v15, v12
	v_cvt_pkrtz_f16_f32 v3, v11, v14
	ds_read_b128 v[28:31], v22 offset:6144
	v_cmp_ne_u16_sdwa s[8:9], v4, v10 src0_sel:BYTE_0 src1_sel:DWORD
	s_waitcnt lgkmcnt(0)
	v_mfma_f32_16x16x16f16 v[6:9], v[2:3], v[28:29], v[6:9]
	v_cvt_pkrtz_f16_f32 v2, v13, v17
	v_cvt_pkrtz_f16_f32 v3, v16, v18
	s_nop 1
	v_mfma_f32_16x16x16f16 v[6:9], v[2:3], v[30:31], v[6:9]
	s_and_saveexec_b64 s[2:3], s[8:9]
	s_cbranch_execz .LBB584_743
; %bb.738:
	s_movk_i32 s7, 0x80
	v_cmp_ne_u16_sdwa s[10:11], v4, s7 src0_sel:BYTE_0 src1_sel:DWORD
	v_bfrev_b32_e32 v10, 1
	s_and_saveexec_b64 s[8:9], s[10:11]
	s_cbranch_execz .LBB584_742
; %bb.739:
	s_movk_i32 s7, 0x7f
	v_and_b32_e32 v2, 0x7f, v4
	v_cmp_ne_u32_e32 vcc, s7, v2
	v_mov_b32_e32 v10, 0x7f800001
	s_and_saveexec_b64 s[10:11], vcc
	s_cbranch_execz .LBB584_741
; %bb.740:
	v_and_b32_e32 v3, 7, v4
	v_ffbh_u32_e32 v10, v3
	v_min_u32_e32 v13, 32, v10
	v_subrev_u32_e32 v10, 28, v13
	v_lshlrev_b64 v[10:11], v10, v[4:5]
	v_lshrrev_b32_e32 v12, 3, v2
	v_sub_u32_e32 v11, 29, v13
	v_and_b32_e32 v10, 7, v10
	v_cmp_gt_u32_e32 vcc, 8, v2
	v_cndmask_b32_e32 v2, v12, v11, vcc
	v_cndmask_b32_e32 v3, v3, v10, vcc
	v_lshlrev_b32_e32 v10, 24, v4
	v_bfrev_b32_e32 v11, 60
	v_lshlrev_b32_e32 v3, 20, v3
	v_and_b32_e32 v10, 0x80000000, v10
	v_lshl_add_u32 v2, v2, 23, v11
	v_or3_b32 v10, v10, v2, v3
.LBB584_741:
	s_or_b64 exec, exec, s[10:11]
.LBB584_742:
	s_or_b64 exec, exec, s[8:9]
.LBB584_743:
	s_or_b64 exec, exec, s[2:3]
	v_lshrrev_b16_e32 v2, 8, v4
	v_cmp_ne_u16_e32 vcc, 0, v2
	v_mov_b32_e32 v3, 0
	v_mov_b32_e32 v11, 0
	s_and_saveexec_b64 s[2:3], vcc
	s_cbranch_execz .LBB584_749
; %bb.744:
	s_movk_i32 s7, 0x80
	v_cmp_ne_u16_e32 vcc, s7, v2
	v_bfrev_b32_e32 v11, 1
	s_and_saveexec_b64 s[8:9], vcc
	s_cbranch_execz .LBB584_748
; %bb.745:
	s_movk_i32 s7, 0x7f
	v_and_b32_e32 v12, 0x7f, v2
	v_cmp_ne_u32_e32 vcc, s7, v12
	v_mov_b32_e32 v11, 0x7f800001
	s_and_saveexec_b64 s[10:11], vcc
	s_cbranch_execz .LBB584_747
; %bb.746:
	v_and_b32_e32 v11, 7, v2
	v_ffbh_u32_e32 v14, v11
	v_min_u32_e32 v16, 32, v14
	v_subrev_u32_e32 v14, 28, v16
	v_lshlrev_b64 v[14:15], v14, v[2:3]
	v_lshrrev_b32_e32 v13, 3, v12
	v_sub_u32_e32 v2, 29, v16
	v_and_b32_e32 v14, 7, v14
	v_cmp_gt_u32_e32 vcc, 8, v12
	v_cndmask_b32_e32 v2, v13, v2, vcc
	v_cndmask_b32_e32 v11, v11, v14, vcc
	v_lshlrev_b32_e32 v12, 16, v4
	v_bfrev_b32_e32 v13, 60
	v_lshlrev_b32_e32 v11, 20, v11
	v_and_b32_e32 v12, 0x80000000, v12
	v_lshl_add_u32 v2, v2, 23, v13
	v_or3_b32 v11, v12, v2, v11
.LBB584_747:
	s_or_b64 exec, exec, s[10:11]
.LBB584_748:
	s_or_b64 exec, exec, s[8:9]
.LBB584_749:
	s_or_b64 exec, exec, s[2:3]
	s_movk_i32 s2, 0xff
	v_and_b32_sdwa v12, v4, s2 dst_sel:DWORD dst_unused:UNUSED_PAD src0_sel:WORD_1 src1_sel:DWORD
	v_lshrrev_b32_e32 v2, 16, v4
	v_cmp_ne_u16_e32 vcc, 0, v12
	s_and_saveexec_b64 s[2:3], vcc
	s_cbranch_execz .LBB584_755
; %bb.750:
	s_movk_i32 s7, 0x80
	v_cmp_ne_u16_e32 vcc, s7, v12
	v_bfrev_b32_e32 v3, 1
	s_and_saveexec_b64 s[8:9], vcc
	s_cbranch_execz .LBB584_754
; %bb.751:
	v_bfe_u32 v12, v4, 16, 7
	s_movk_i32 s7, 0x7f
	v_cmp_ne_u32_e32 vcc, s7, v12
	v_mov_b32_e32 v3, 0x7f800001
	s_and_saveexec_b64 s[10:11], vcc
	s_cbranch_execz .LBB584_753
; %bb.752:
	v_and_b32_e32 v13, 7, v2
	v_ffbh_u32_e32 v3, v13
	v_min_u32_e32 v15, 32, v3
	v_subrev_u32_e32 v3, 28, v15
	v_lshlrev_b64 v[2:3], v3, v[2:3]
	v_lshrrev_b32_e32 v14, 3, v12
	v_sub_u32_e32 v3, 29, v15
	v_and_b32_e32 v2, 7, v2
	v_cmp_gt_u32_e32 vcc, 8, v12
	v_mov_b32_e32 v12, 24
	v_cndmask_b32_e32 v3, v14, v3, vcc
	v_cndmask_b32_e32 v2, v13, v2, vcc
	v_lshlrev_b32_sdwa v12, v12, v4 dst_sel:DWORD dst_unused:UNUSED_PAD src0_sel:DWORD src1_sel:WORD_1
	v_bfrev_b32_e32 v13, 60
	v_lshlrev_b32_e32 v2, 20, v2
	v_and_b32_e32 v12, 0x80000000, v12
	v_lshl_add_u32 v3, v3, 23, v13
	v_or3_b32 v3, v12, v3, v2
.LBB584_753:
	s_or_b64 exec, exec, s[10:11]
.LBB584_754:
	s_or_b64 exec, exec, s[8:9]
.LBB584_755:
	s_or_b64 exec, exec, s[2:3]
	s_mov_b32 s2, 0xffffff
	v_cmp_lt_u32_e32 vcc, s2, v4
	v_mov_b32_e32 v12, 0
	v_mov_b32_e32 v13, 0
	s_and_saveexec_b64 s[2:3], vcc
	s_cbranch_execz .LBB584_761
; %bb.756:
	v_lshrrev_b32_e32 v2, 24, v4
	s_movk_i32 s7, 0x80
	v_cmp_ne_u32_e32 vcc, s7, v2
	v_bfrev_b32_e32 v13, 1
	s_and_saveexec_b64 s[8:9], vcc
	s_cbranch_execz .LBB584_760
; %bb.757:
	v_bfe_u32 v4, v4, 24, 7
	s_movk_i32 s7, 0x7f
	v_cmp_ne_u32_e32 vcc, s7, v4
	v_mov_b32_e32 v13, 0x7f800001
	s_and_saveexec_b64 s[10:11], vcc
	s_cbranch_execz .LBB584_759
; %bb.758:
	v_and_b32_e32 v13, 7, v2
	v_ffbh_u32_e32 v14, v13
	v_min_u32_e32 v17, 32, v14
	v_subrev_u32_e32 v14, 28, v17
	v_lshlrev_b64 v[14:15], v14, v[2:3]
	v_lshrrev_b32_e32 v16, 3, v4
	v_sub_u32_e32 v15, 29, v17
	v_and_b32_e32 v14, 7, v14
	v_cmp_gt_u32_e32 vcc, 8, v4
	v_cndmask_b32_e32 v4, v16, v15, vcc
	v_cndmask_b32_e32 v13, v13, v14, vcc
	v_lshlrev_b32_e32 v2, 24, v2
	v_bfrev_b32_e32 v14, 60
	v_lshlrev_b32_e32 v13, 20, v13
	v_and_b32_e32 v2, 0x80000000, v2
	v_lshl_add_u32 v4, v4, 23, v14
	v_or3_b32 v13, v2, v4, v13
.LBB584_759:
	s_or_b64 exec, exec, s[10:11]
.LBB584_760:
	s_or_b64 exec, exec, s[8:9]
.LBB584_761:
	s_or_b64 exec, exec, s[2:3]
	v_cmp_ne_u16_sdwa s[8:9], v5, v12 src0_sel:BYTE_0 src1_sel:DWORD
	s_and_saveexec_b64 s[2:3], s[8:9]
	s_cbranch_execz .LBB584_767
; %bb.762:
	s_movk_i32 s7, 0x80
	v_cmp_ne_u16_sdwa s[10:11], v5, s7 src0_sel:BYTE_0 src1_sel:DWORD
	v_bfrev_b32_e32 v12, 1
	s_and_saveexec_b64 s[8:9], s[10:11]
	s_cbranch_execz .LBB584_766
; %bb.763:
	s_movk_i32 s7, 0x7f
	v_and_b32_e32 v2, 0x7f, v5
	v_cmp_ne_u32_e32 vcc, s7, v2
	v_mov_b32_e32 v12, 0x7f800001
	s_and_saveexec_b64 s[10:11], vcc
	s_cbranch_execz .LBB584_765
; %bb.764:
	v_and_b32_e32 v12, 7, v5
	v_ffbh_u32_e32 v14, v12
	v_min_u32_e32 v17, 32, v14
	v_mov_b32_e32 v4, v5
	v_subrev_u32_e32 v14, 28, v17
	v_lshlrev_b64 v[14:15], v14, v[4:5]
	v_lshrrev_b32_e32 v16, 3, v2
	v_sub_u32_e32 v4, 29, v17
	v_and_b32_e32 v14, 7, v14
	v_cmp_gt_u32_e32 vcc, 8, v2
	v_cndmask_b32_e32 v2, v16, v4, vcc
	v_cndmask_b32_e32 v4, v12, v14, vcc
	v_lshlrev_b32_e32 v12, 24, v5
	v_bfrev_b32_e32 v14, 60
	v_lshlrev_b32_e32 v4, 20, v4
	v_and_b32_e32 v12, 0x80000000, v12
	v_lshl_add_u32 v2, v2, 23, v14
	v_or3_b32 v12, v12, v2, v4
.LBB584_765:
	s_or_b64 exec, exec, s[10:11]
.LBB584_766:
	s_or_b64 exec, exec, s[8:9]
.LBB584_767:
	s_or_b64 exec, exec, s[2:3]
	v_lshrrev_b16_e32 v2, 8, v5
	v_cmp_ne_u16_e32 vcc, 0, v2
	v_mov_b32_e32 v4, 0
	v_mov_b32_e32 v14, 0
	s_and_saveexec_b64 s[2:3], vcc
	s_cbranch_execz .LBB584_773
; %bb.768:
	s_movk_i32 s7, 0x80
	v_cmp_ne_u16_e32 vcc, s7, v2
	v_bfrev_b32_e32 v14, 1
	s_and_saveexec_b64 s[8:9], vcc
	s_cbranch_execz .LBB584_772
; %bb.769:
	s_movk_i32 s7, 0x7f
	v_and_b32_e32 v15, 0x7f, v2
	v_cmp_ne_u32_e32 vcc, s7, v15
	v_mov_b32_e32 v14, 0x7f800001
	s_and_saveexec_b64 s[10:11], vcc
	s_cbranch_execz .LBB584_771
; %bb.770:
	v_and_b32_e32 v14, 7, v2
	v_ffbh_u32_e32 v16, v14
	v_min_u32_e32 v19, 32, v16
	v_subrev_u32_e32 v16, 28, v19
	v_lshlrev_b64 v[16:17], v16, v[2:3]
	v_lshrrev_b32_e32 v18, 3, v15
	v_sub_u32_e32 v2, 29, v19
	v_and_b32_e32 v16, 7, v16
	v_cmp_gt_u32_e32 vcc, 8, v15
	v_cndmask_b32_e32 v2, v18, v2, vcc
	v_cndmask_b32_e32 v14, v14, v16, vcc
	v_lshlrev_b32_e32 v15, 16, v5
	v_bfrev_b32_e32 v16, 60
	v_lshlrev_b32_e32 v14, 20, v14
	v_and_b32_e32 v15, 0x80000000, v15
	v_lshl_add_u32 v2, v2, 23, v16
	v_or3_b32 v14, v15, v2, v14
.LBB584_771:
	s_or_b64 exec, exec, s[10:11]
.LBB584_772:
	s_or_b64 exec, exec, s[8:9]
.LBB584_773:
	s_or_b64 exec, exec, s[2:3]
	s_movk_i32 s2, 0xff
	v_and_b32_sdwa v15, v5, s2 dst_sel:DWORD dst_unused:UNUSED_PAD src0_sel:WORD_1 src1_sel:DWORD
	v_lshrrev_b32_e32 v2, 16, v5
	v_cmp_ne_u16_e32 vcc, 0, v15
	s_and_saveexec_b64 s[2:3], vcc
	s_cbranch_execz .LBB584_779
; %bb.774:
	s_movk_i32 s7, 0x80
	v_cmp_ne_u16_e32 vcc, s7, v15
	v_bfrev_b32_e32 v4, 1
	s_and_saveexec_b64 s[8:9], vcc
	s_cbranch_execz .LBB584_778
; %bb.775:
	v_bfe_u32 v15, v5, 16, 7
	s_movk_i32 s7, 0x7f
	v_cmp_ne_u32_e32 vcc, s7, v15
	v_mov_b32_e32 v4, 0x7f800001
	s_and_saveexec_b64 s[10:11], vcc
	s_cbranch_execz .LBB584_777
; %bb.776:
	v_and_b32_e32 v4, 7, v2
	v_ffbh_u32_e32 v16, v4
	v_min_u32_e32 v19, 32, v16
	v_subrev_u32_e32 v16, 28, v19
	v_lshlrev_b64 v[16:17], v16, v[2:3]
	v_lshrrev_b32_e32 v18, 3, v15
	v_sub_u32_e32 v2, 29, v19
	v_and_b32_e32 v16, 7, v16
	v_cmp_gt_u32_e32 vcc, 8, v15
	v_mov_b32_e32 v15, 24
	v_cndmask_b32_e32 v2, v18, v2, vcc
	v_cndmask_b32_e32 v4, v4, v16, vcc
	v_lshlrev_b32_sdwa v15, v15, v5 dst_sel:DWORD dst_unused:UNUSED_PAD src0_sel:DWORD src1_sel:WORD_1
	v_bfrev_b32_e32 v16, 60
	v_lshlrev_b32_e32 v4, 20, v4
	v_and_b32_e32 v15, 0x80000000, v15
	v_lshl_add_u32 v2, v2, 23, v16
	v_or3_b32 v4, v15, v2, v4
.LBB584_777:
	s_or_b64 exec, exec, s[10:11]
.LBB584_778:
	s_or_b64 exec, exec, s[8:9]
.LBB584_779:
	s_or_b64 exec, exec, s[2:3]
	s_mov_b32 s2, 0xffffff
	v_cmp_lt_u32_e32 vcc, s2, v5
	v_mov_b32_e32 v15, 0
	s_and_saveexec_b64 s[2:3], vcc
	s_cbranch_execz .LBB584_785
; %bb.780:
	v_lshrrev_b32_e32 v2, 24, v5
	s_movk_i32 s7, 0x80
	v_cmp_ne_u32_e32 vcc, s7, v2
	v_bfrev_b32_e32 v15, 1
	s_and_saveexec_b64 s[8:9], vcc
	s_cbranch_execz .LBB584_784
; %bb.781:
	v_bfe_u32 v5, v5, 24, 7
	s_movk_i32 s7, 0x7f
	v_cmp_ne_u32_e32 vcc, s7, v5
	v_mov_b32_e32 v15, 0x7f800001
	s_and_saveexec_b64 s[10:11], vcc
	s_cbranch_execz .LBB584_783
; %bb.782:
	v_and_b32_e32 v15, 7, v2
	v_ffbh_u32_e32 v16, v15
	v_min_u32_e32 v19, 32, v16
	v_subrev_u32_e32 v16, 28, v19
	v_lshlrev_b64 v[16:17], v16, v[2:3]
	v_lshrrev_b32_e32 v18, 3, v5
	v_sub_u32_e32 v17, 29, v19
	v_and_b32_e32 v16, 7, v16
	v_cmp_gt_u32_e32 vcc, 8, v5
	v_cndmask_b32_e32 v5, v18, v17, vcc
	v_cndmask_b32_e32 v15, v15, v16, vcc
	v_lshlrev_b32_e32 v2, 24, v2
	v_bfrev_b32_e32 v16, 60
	v_lshlrev_b32_e32 v15, 20, v15
	v_and_b32_e32 v2, 0x80000000, v2
	v_lshl_add_u32 v5, v5, 23, v16
	v_or3_b32 v15, v2, v5, v15
.LBB584_783:
	s_or_b64 exec, exec, s[10:11]
.LBB584_784:
	s_or_b64 exec, exec, s[8:9]
.LBB584_785:
	s_or_b64 exec, exec, s[2:3]
	v_cvt_pkrtz_f16_f32 v2, v10, v11
	v_cvt_pkrtz_f16_f32 v3, v3, v13
	ds_read_b128 v[16:19], v22 offset:6160
	s_load_dword s2, s[42:43], 0x0
	v_cmp_gt_u32_e32 vcc, 64, v0
	s_waitcnt lgkmcnt(0)
	v_mfma_f32_16x16x16f16 v[6:9], v[2:3], v[16:17], v[6:9]
	v_cvt_pkrtz_f16_f32 v2, v12, v14
	v_cvt_pkrtz_f16_f32 v3, v4, v15
	s_and_b64 s[0:1], vcc, s[0:1]
	s_barrier
	v_mfma_f32_16x16x16f16 v[2:5], v[2:3], v[18:19], v[6:9]
	s_nop 7
	s_nop 2
	v_pk_mul_f32 v[4:5], v[4:5], s[2:3] op_sel_hi:[1,0]
	v_pk_mul_f32 v[2:3], v[2:3], s[2:3] op_sel_hi:[1,0]
	v_cvt_f16_f32_e32 v2, v2
	v_cvt_f16_f32_e32 v3, v3
	;; [unrolled: 1-line block ×4, first 2 shown]
	v_pack_b32_f16 v2, v2, v3
	v_pack_b32_f16 v3, v4, v5
	ds_write_b64 v26, v[2:3]
	s_waitcnt lgkmcnt(0)
	s_barrier
	s_and_saveexec_b64 s[2:3], s[0:1]
	s_cbranch_execz .LBB584_788
; %bb.786:
	s_load_dwordx2 s[2:3], s[4:5], 0x68
	s_lshl_b32 s0, s44, 6
	s_mul_i32 s1, s12, s6
	s_mul_hi_u32 s7, s1, s0
	s_mul_i32 s6, s1, s0
	s_lshl_b64 s[6:7], s[6:7], 1
	s_waitcnt lgkmcnt(0)
	s_add_u32 s1, s2, s6
	v_lshlrev_b32_e32 v0, 10, v0
	s_mov_b32 s5, 0
	s_addc_u32 s6, s3, s7
	s_lshl_b32 s4, s24, 6
	v_and_b32_e32 v0, 0x1800, v0
	v_lshlrev_b32_e32 v2, 5, v1
	v_and_b32_e32 v3, 16, v47
	s_lshl_b64 s[2:3], s[4:5], 1
	v_or3_b32 v0, v0, v2, v3
	s_add_u32 s1, s1, s2
	s_addc_u32 s2, s6, s3
	ds_read_b128 v[4:7], v0 offset:128
	ds_read_b128 v[8:11], v0
	v_add_u32_e32 v14, s25, v1
	v_mov_b32_e32 v3, s2
	v_add_co_u32_e32 v2, vcc, s1, v46
	v_mad_u64_u32 v[12:13], s[2:3], v14, s0, 0
	v_addc_co_u32_e32 v3, vcc, 0, v3, vcc
	v_lshlrev_b64 v[12:13], 1, v[12:13]
	v_add_co_u32_e32 v12, vcc, v2, v12
	v_addc_co_u32_e32 v13, vcc, v3, v13, vcc
	s_waitcnt lgkmcnt(0)
	global_store_dwordx4 v[12:13], v[8:11], off
	s_nop 0
	v_add_u32_e32 v8, 4, v14
	v_mad_u64_u32 v[8:9], s[2:3], v8, s0, 0
	v_lshlrev_b64 v[8:9], 1, v[8:9]
	v_add_co_u32_e32 v8, vcc, v2, v8
	v_addc_co_u32_e32 v9, vcc, v3, v9, vcc
	v_cmp_ne_u32_e32 vcc, 3, v1
	global_store_dwordx4 v[8:9], v[4:7], off
	s_and_b64 exec, exec, vcc
	s_cbranch_execz .LBB584_788
; %bb.787:
	ds_read_b128 v[4:7], v0 offset:256
	v_add3_u32 v0, s25, v1, 8
	v_mad_u64_u32 v[0:1], s[0:1], v0, s0, 0
	v_lshlrev_b64 v[0:1], 1, v[0:1]
	v_add_co_u32_e32 v0, vcc, v2, v0
	v_addc_co_u32_e32 v1, vcc, v3, v1, vcc
	s_waitcnt lgkmcnt(0)
	global_store_dwordx4 v[0:1], v[4:7], off
.LBB584_788:
	s_endpgm
	.section	.rodata,"a",@progbits
	.p2align	6, 0x0
	.amdhsa_kernel _Z39paged_attention_ll4mi_QKV_mfma16_kernelIDF16_hLN4vllm18Fp8KVCacheDataTypeE1EDF16_Li32ELi64ELi256ELb1ELi11EL8MFMAType0EEvPKT_PKT0_S8_ifPKiSA_SA_iPKfiiiPfSD_PS3_PT2_iSC_SC_
		.amdhsa_group_segment_fixed_size 8192
		.amdhsa_private_segment_fixed_size 0
		.amdhsa_kernarg_size 400
		.amdhsa_user_sgpr_count 6
		.amdhsa_user_sgpr_private_segment_buffer 1
		.amdhsa_user_sgpr_dispatch_ptr 0
		.amdhsa_user_sgpr_queue_ptr 0
		.amdhsa_user_sgpr_kernarg_segment_ptr 1
		.amdhsa_user_sgpr_dispatch_id 0
		.amdhsa_user_sgpr_flat_scratch_init 0
		.amdhsa_user_sgpr_kernarg_preload_length 0
		.amdhsa_user_sgpr_kernarg_preload_offset 0
		.amdhsa_user_sgpr_private_segment_size 0
		.amdhsa_uses_dynamic_stack 0
		.amdhsa_system_sgpr_private_segment_wavefront_offset 0
		.amdhsa_system_sgpr_workgroup_id_x 1
		.amdhsa_system_sgpr_workgroup_id_y 1
		.amdhsa_system_sgpr_workgroup_id_z 1
		.amdhsa_system_sgpr_workgroup_info 0
		.amdhsa_system_vgpr_workitem_id 0
		.amdhsa_next_free_vgpr 63
		.amdhsa_next_free_sgpr 47
		.amdhsa_accum_offset 64
		.amdhsa_reserve_vcc 1
		.amdhsa_reserve_flat_scratch 0
		.amdhsa_float_round_mode_32 0
		.amdhsa_float_round_mode_16_64 0
		.amdhsa_float_denorm_mode_32 3
		.amdhsa_float_denorm_mode_16_64 3
		.amdhsa_dx10_clamp 1
		.amdhsa_ieee_mode 1
		.amdhsa_fp16_overflow 0
		.amdhsa_tg_split 0
		.amdhsa_exception_fp_ieee_invalid_op 0
		.amdhsa_exception_fp_denorm_src 0
		.amdhsa_exception_fp_ieee_div_zero 0
		.amdhsa_exception_fp_ieee_overflow 0
		.amdhsa_exception_fp_ieee_underflow 0
		.amdhsa_exception_fp_ieee_inexact 0
		.amdhsa_exception_int_div_zero 0
	.end_amdhsa_kernel
	.section	.text._Z39paged_attention_ll4mi_QKV_mfma16_kernelIDF16_hLN4vllm18Fp8KVCacheDataTypeE1EDF16_Li32ELi64ELi256ELb1ELi11EL8MFMAType0EEvPKT_PKT0_S8_ifPKiSA_SA_iPKfiiiPfSD_PS3_PT2_iSC_SC_,"axG",@progbits,_Z39paged_attention_ll4mi_QKV_mfma16_kernelIDF16_hLN4vllm18Fp8KVCacheDataTypeE1EDF16_Li32ELi64ELi256ELb1ELi11EL8MFMAType0EEvPKT_PKT0_S8_ifPKiSA_SA_iPKfiiiPfSD_PS3_PT2_iSC_SC_,comdat
.Lfunc_end584:
	.size	_Z39paged_attention_ll4mi_QKV_mfma16_kernelIDF16_hLN4vllm18Fp8KVCacheDataTypeE1EDF16_Li32ELi64ELi256ELb1ELi11EL8MFMAType0EEvPKT_PKT0_S8_ifPKiSA_SA_iPKfiiiPfSD_PS3_PT2_iSC_SC_, .Lfunc_end584-_Z39paged_attention_ll4mi_QKV_mfma16_kernelIDF16_hLN4vllm18Fp8KVCacheDataTypeE1EDF16_Li32ELi64ELi256ELb1ELi11EL8MFMAType0EEvPKT_PKT0_S8_ifPKiSA_SA_iPKfiiiPfSD_PS3_PT2_iSC_SC_
                                        ; -- End function
	.section	.AMDGPU.csdata,"",@progbits
; Kernel info:
; codeLenInByte = 27368
; NumSgprs: 51
; NumVgprs: 63
; NumAgprs: 0
; TotalNumVgprs: 63
; ScratchSize: 0
; MemoryBound: 0
; FloatMode: 240
; IeeeMode: 1
; LDSByteSize: 8192 bytes/workgroup (compile time only)
; SGPRBlocks: 6
; VGPRBlocks: 7
; NumSGPRsForWavesPerEU: 51
; NumVGPRsForWavesPerEU: 63
; AccumOffset: 64
; Occupancy: 8
; WaveLimiterHint : 1
; COMPUTE_PGM_RSRC2:SCRATCH_EN: 0
; COMPUTE_PGM_RSRC2:USER_SGPR: 6
; COMPUTE_PGM_RSRC2:TRAP_HANDLER: 0
; COMPUTE_PGM_RSRC2:TGID_X_EN: 1
; COMPUTE_PGM_RSRC2:TGID_Y_EN: 1
; COMPUTE_PGM_RSRC2:TGID_Z_EN: 1
; COMPUTE_PGM_RSRC2:TIDIG_COMP_CNT: 0
; COMPUTE_PGM_RSRC3_GFX90A:ACCUM_OFFSET: 15
; COMPUTE_PGM_RSRC3_GFX90A:TG_SPLIT: 0
	.section	.text._Z39paged_attention_ll4mi_QKV_mfma16_kernelIDF16_hLN4vllm18Fp8KVCacheDataTypeE1EDF16_Li32ELi64ELi256ELb1ELi12EL8MFMAType0EEvPKT_PKT0_S8_ifPKiSA_SA_iPKfiiiPfSD_PS3_PT2_iSC_SC_,"axG",@progbits,_Z39paged_attention_ll4mi_QKV_mfma16_kernelIDF16_hLN4vllm18Fp8KVCacheDataTypeE1EDF16_Li32ELi64ELi256ELb1ELi12EL8MFMAType0EEvPKT_PKT0_S8_ifPKiSA_SA_iPKfiiiPfSD_PS3_PT2_iSC_SC_,comdat
	.protected	_Z39paged_attention_ll4mi_QKV_mfma16_kernelIDF16_hLN4vllm18Fp8KVCacheDataTypeE1EDF16_Li32ELi64ELi256ELb1ELi12EL8MFMAType0EEvPKT_PKT0_S8_ifPKiSA_SA_iPKfiiiPfSD_PS3_PT2_iSC_SC_ ; -- Begin function _Z39paged_attention_ll4mi_QKV_mfma16_kernelIDF16_hLN4vllm18Fp8KVCacheDataTypeE1EDF16_Li32ELi64ELi256ELb1ELi12EL8MFMAType0EEvPKT_PKT0_S8_ifPKiSA_SA_iPKfiiiPfSD_PS3_PT2_iSC_SC_
	.globl	_Z39paged_attention_ll4mi_QKV_mfma16_kernelIDF16_hLN4vllm18Fp8KVCacheDataTypeE1EDF16_Li32ELi64ELi256ELb1ELi12EL8MFMAType0EEvPKT_PKT0_S8_ifPKiSA_SA_iPKfiiiPfSD_PS3_PT2_iSC_SC_
	.p2align	8
	.type	_Z39paged_attention_ll4mi_QKV_mfma16_kernelIDF16_hLN4vllm18Fp8KVCacheDataTypeE1EDF16_Li32ELi64ELi256ELb1ELi12EL8MFMAType0EEvPKT_PKT0_S8_ifPKiSA_SA_iPKfiiiPfSD_PS3_PT2_iSC_SC_,@function
_Z39paged_attention_ll4mi_QKV_mfma16_kernelIDF16_hLN4vllm18Fp8KVCacheDataTypeE1EDF16_Li32ELi64ELi256ELb1ELi12EL8MFMAType0EEvPKT_PKT0_S8_ifPKiSA_SA_iPKfiiiPfSD_PS3_PT2_iSC_SC_: ; @_Z39paged_attention_ll4mi_QKV_mfma16_kernelIDF16_hLN4vllm18Fp8KVCacheDataTypeE1EDF16_Li32ELi64ELi256ELb1ELi12EL8MFMAType0EEvPKT_PKT0_S8_ifPKiSA_SA_iPKfiiiPfSD_PS3_PT2_iSC_SC_
; %bb.0:
	s_load_dwordx2 s[0:1], s[4:5], 0x30
	s_mov_b32 s24, s7
	s_mov_b64 s[10:11], 0
	s_waitcnt lgkmcnt(0)
	s_cmp_lg_u64 s[0:1], 0
	s_cselect_b64 s[2:3], -1, 0
	s_and_b64 vcc, exec, s[2:3]
	s_cbranch_vccz .LBB585_7
; %bb.1:
	s_add_i32 s12, s6, 1
	s_mov_b32 s13, 0
	s_lshl_b64 s[14:15], s[12:13], 2
	s_add_u32 s14, s0, s14
	s_mov_b32 s7, s13
	s_addc_u32 s15, s1, s15
	s_lshl_b64 s[12:13], s[6:7], 2
	s_add_u32 s12, s0, s12
	s_addc_u32 s13, s1, s13
	s_load_dword s9, s[14:15], 0x0
	s_load_dword s16, s[12:13], 0x0
	s_waitcnt lgkmcnt(0)
	s_sub_i32 s9, s9, s16
	s_cmp_eq_u32 s9, 1
	s_cselect_b64 s[12:13], -1, 0
	s_andn2_b64 vcc, exec, s[10:11]
	s_cbranch_vccnz .LBB585_3
.LBB585_2:
	s_mov_b32 s7, 0
	s_mov_b64 s[12:13], -1
.LBB585_3:
	s_andn2_b64 vcc, exec, s[12:13]
	s_cbranch_vccnz .LBB585_787
; %bb.4:
	s_load_dwordx2 s[12:13], s[4:5], 0x28
	s_lshl_b64 s[10:11], s[6:7], 2
	s_waitcnt lgkmcnt(0)
	s_add_u32 s12, s12, s10
	s_addc_u32 s13, s13, s11
	s_load_dword s33, s[12:13], 0x0
	s_lshl_b32 s18, s24, 8
	s_waitcnt lgkmcnt(0)
	s_cmp_ge_i32 s18, s33
	s_cbranch_scc1 .LBB585_787
; %bb.5:
	s_add_i32 s14, s33, 31
	s_load_dwordx2 s[12:13], s[4:5], 0x20
	s_load_dword s9, s[4:5], 0x38
	s_ashr_i32 s15, s14, 31
	v_and_b32_e32 v1, 0xcf, v0
	s_lshr_b32 s15, s15, 27
	v_add_u32_e32 v1, s18, v1
	s_add_i32 s14, s14, s15
	v_ashrrev_i32_e32 v2, 31, v1
	s_ashr_i32 s21, s14, 5
	v_lshrrev_b32_e32 v4, 27, v2
	s_add_i32 s21, s21, -1
	v_add_u32_e32 v2, v1, v4
	s_waitcnt lgkmcnt(0)
	s_mul_i32 s14, s6, s9
	s_mov_b32 s15, 0
	v_ashrrev_i32_e32 v2, 5, v2
	v_mov_b32_e32 v5, s21
	v_cmp_gt_i32_e32 vcc, s33, v1
	s_lshl_b64 s[14:15], s[14:15], 2
	v_cndmask_b32_e32 v2, v5, v2, vcc
	s_add_u32 s19, s12, s14
	v_ashrrev_i32_e32 v3, 31, v2
	s_addc_u32 s20, s13, s15
	v_lshlrev_b64 v[2:3], 2, v[2:3]
	v_mov_b32_e32 v7, s20
	v_add_co_u32_e32 v6, vcc, s19, v2
	v_or_b32_e32 v2, 16, v1
	v_addc_co_u32_e32 v7, vcc, v7, v3, vcc
	v_add_u32_e32 v3, v2, v4
	v_ashrrev_i32_e32 v3, 5, v3
	v_cmp_gt_i32_e32 vcc, s33, v2
	v_cndmask_b32_e32 v2, v5, v3, vcc
	v_ashrrev_i32_e32 v3, 31, v2
	v_lshlrev_b64 v[2:3], 2, v[2:3]
	v_mov_b32_e32 v9, s20
	v_add_co_u32_e32 v8, vcc, s19, v2
	v_or_b32_e32 v2, 32, v1
	v_addc_co_u32_e32 v9, vcc, v9, v3, vcc
	v_add_u32_e32 v3, v2, v4
	v_ashrrev_i32_e32 v3, 5, v3
	v_cmp_gt_i32_e32 vcc, s33, v2
	v_cndmask_b32_e32 v2, v5, v3, vcc
	v_ashrrev_i32_e32 v3, 31, v2
	v_lshlrev_b64 v[2:3], 2, v[2:3]
	v_mov_b32_e32 v11, s20
	v_add_co_u32_e32 v10, vcc, s19, v2
	v_or_b32_e32 v1, 48, v1
	v_addc_co_u32_e32 v11, vcc, v11, v3, vcc
	v_add_u32_e32 v2, v1, v4
	v_ashrrev_i32_e32 v2, 5, v2
	v_cmp_gt_i32_e32 vcc, s33, v1
	v_cndmask_b32_e32 v2, v5, v2, vcc
	v_ashrrev_i32_e32 v3, 31, v2
	v_lshlrev_b64 v[2:3], 2, v[2:3]
	v_mov_b32_e32 v1, s20
	v_add_co_u32_e32 v12, vcc, s19, v2
	v_addc_co_u32_e32 v13, vcc, v1, v3, vcc
	global_load_dword v5, v[6:7], off
	global_load_dword v4, v[8:9], off
	;; [unrolled: 1-line block ×4, first 2 shown]
	s_load_dwordx2 s[16:17], s[4:5], 0x8
	s_andn2_b64 vcc, exec, s[2:3]
	s_cbranch_vccnz .LBB585_8
; %bb.6:
	s_add_u32 s0, s0, s10
	s_addc_u32 s1, s1, s11
	s_load_dword s9, s[0:1], 0x0
	s_branch .LBB585_9
.LBB585_7:
	s_mov_b64 s[12:13], 0
	s_branch .LBB585_2
.LBB585_8:
	s_mov_b32 s9, s6
.LBB585_9:
	s_load_dwordx2 s[2:3], s[4:5], 0x10
	s_load_dwordx4 s[12:15], s[4:5], 0x48
	v_and_b32_e32 v49, 15, v0
	s_movk_i32 s0, 0xc0
	v_lshlrev_b32_e32 v6, 3, v49
	v_cmp_gt_u32_e32 vcc, s0, v0
	v_cmp_gt_u32_e64 s[0:1], 8, v49
	v_lshrrev_b32_e32 v50, 6, v0
	v_bfe_u32 v1, v0, 4, 2
	s_mul_i32 s25, s8, 12
	s_and_b64 s[22:23], vcc, s[0:1]
	v_lshlrev_b32_e32 v46, 1, v6
	v_lshlrev_b32_e32 v47, 4, v0
	s_and_saveexec_b64 s[10:11], s[22:23]
	s_cbranch_execz .LBB585_11
; %bb.10:
	s_load_dwordx2 s[22:23], s[4:5], 0x0
	s_waitcnt lgkmcnt(0)
	s_ashr_i32 s15, s12, 31
	s_mul_hi_u32 s26, s9, s12
	s_mul_i32 s15, s9, s15
	v_lshl_or_b32 v10, v50, 2, v1
	s_add_i32 s27, s26, s15
	s_mul_i32 s26, s9, s12
	s_lshl_b64 s[26:27], s[26:27], 1
	v_add_lshl_u32 v6, v10, s25, 6
	s_add_u32 s9, s22, s26
	v_ashrrev_i32_e32 v7, 31, v6
	s_addc_u32 s12, s23, s27
	v_lshlrev_b64 v[6:7], 1, v[6:7]
	v_mov_b32_e32 v8, s12
	v_add_co_u32_e32 v6, vcc, s9, v6
	v_addc_co_u32_e32 v7, vcc, v8, v7, vcc
	v_add_co_u32_e32 v6, vcc, v6, v46
	v_addc_co_u32_e32 v7, vcc, 0, v7, vcc
	global_load_dwordx4 v[6:9], v[6:7], off
	v_lshlrev_b32_e32 v12, 8, v49
	v_lshlrev_b32_e32 v10, 5, v10
	v_and_b32_e32 v11, 16, v47
	v_and_b32_e32 v12, 0xe00, v12
	v_or3_b32 v10, v12, v10, v11
	s_waitcnt vmcnt(0)
	ds_write_b128 v10, v[6:9]
.LBB585_11:
	s_or_b64 exec, exec, s[10:11]
	s_waitcnt lgkmcnt(0)
	s_mul_i32 s10, s8, s14
	s_add_u32 s8, s16, s10
	s_addc_u32 s9, s17, 0
	v_pk_mov_b32 v[8:9], s[8:9], s[8:9] op_sel:[0,1]
	s_waitcnt vmcnt(3)
	v_mad_i64_i32 v[10:11], s[8:9], v5, s13, v[8:9]
	v_lshlrev_b32_e32 v12, 4, v49
	v_and_b32_e32 v6, 48, v0
	v_add_co_u32_e32 v5, vcc, v10, v12
	v_lshlrev_b32_e32 v7, 5, v6
	v_addc_co_u32_e32 v11, vcc, 0, v11, vcc
	v_add_co_u32_e32 v10, vcc, v5, v7
	v_addc_co_u32_e32 v11, vcc, 0, v11, vcc
	s_waitcnt vmcnt(2)
	v_mad_i64_i32 v[4:5], s[8:9], v4, s13, v[8:9]
	v_or_b32_e32 v13, 0x100, v12
	v_add_co_u32_e32 v4, vcc, v4, v13
	v_addc_co_u32_e32 v5, vcc, 0, v5, vcc
	v_add_co_u32_e32 v4, vcc, v4, v7
	v_addc_co_u32_e32 v5, vcc, 0, v5, vcc
	s_barrier
	global_load_dwordx4 v[34:37], v[10:11], off
	global_load_dwordx4 v[38:41], v[4:5], off
	s_waitcnt vmcnt(3)
	v_mad_i64_i32 v[4:5], s[8:9], v3, s13, v[8:9]
	v_add_co_u32_e32 v3, vcc, v4, v12
	v_addc_co_u32_e32 v5, vcc, 0, v5, vcc
	v_add_co_u32_e32 v4, vcc, v3, v7
	v_addc_co_u32_e32 v5, vcc, 0, v5, vcc
	s_waitcnt vmcnt(2)
	v_mad_i64_i32 v[2:3], s[8:9], v2, s13, v[8:9]
	v_add_co_u32_e32 v2, vcc, v2, v13
	v_addc_co_u32_e32 v3, vcc, 0, v3, vcc
	v_add_co_u32_e32 v2, vcc, v2, v7
	v_addc_co_u32_e32 v3, vcc, 0, v3, vcc
	global_load_dwordx4 v[30:33], v[4:5], off
	global_load_dwordx4 v[22:25], v[2:3], off
	v_add_u32_e32 v2, -12, v49
	v_cmp_gt_u32_e32 vcc, 12, v49
	v_cndmask_b32_e32 v2, v2, v49, vcc
	v_lshlrev_b32_e32 v2, 5, v2
	v_lshl_add_u32 v2, v1, 9, v2
	ds_read_b128 v[26:29], v2
	ds_read_b128 v[18:21], v2 offset:16
	v_mov_b32_e32 v43, 0
	v_mov_b32_e32 v51, 0
	s_and_saveexec_b64 s[8:9], vcc
	s_cbranch_execz .LBB585_13
; %bb.12:
	s_load_dwordx2 s[14:15], s[4:5], 0x40
	v_add_u32_e32 v2, s25, v49
	v_ashrrev_i32_e32 v3, 31, v2
	v_lshlrev_b64 v[2:3], 2, v[2:3]
	s_waitcnt lgkmcnt(0)
	v_mov_b32_e32 v4, s15
	v_add_co_u32_e32 v2, vcc, s14, v2
	v_addc_co_u32_e32 v3, vcc, v4, v3, vcc
	global_load_dword v51, v[2:3], off
.LBB585_13:
	s_or_b64 exec, exec, s[8:9]
	s_ashr_i32 s8, s18, 31
	v_or_b32_e32 v8, s18, v6
	s_lshr_b32 s8, s8, 27
	v_add_u32_e32 v2, s8, v8
	v_ashrrev_i32_e32 v2, 5, v2
	v_mov_b32_e32 v9, s21
	v_cmp_gt_i32_e32 vcc, s33, v8
	v_cndmask_b32_e32 v2, v9, v2, vcc
	v_ashrrev_i32_e32 v3, 31, v2
	v_lshlrev_b64 v[2:3], 2, v[2:3]
	v_mov_b32_e32 v4, s20
	v_add_co_u32_e32 v2, vcc, s19, v2
	v_addc_co_u32_e32 v3, vcc, v4, v3, vcc
	v_or_b32_e32 v4, 64, v8
	v_add_u32_e32 v5, s8, v4
	v_ashrrev_i32_e32 v5, 5, v5
	v_cmp_gt_i32_e32 vcc, s33, v4
	v_cndmask_b32_e32 v4, v9, v5, vcc
	v_ashrrev_i32_e32 v5, 31, v4
	v_lshlrev_b64 v[4:5], 2, v[4:5]
	v_mov_b32_e32 v6, s20
	v_add_co_u32_e32 v4, vcc, s19, v4
	v_addc_co_u32_e32 v5, vcc, v6, v5, vcc
	v_or_b32_e32 v6, 0x80, v8
	v_add_u32_e32 v7, s8, v6
	v_ashrrev_i32_e32 v7, 5, v7
	v_cmp_gt_i32_e32 vcc, s33, v6
	v_cndmask_b32_e32 v6, v9, v7, vcc
	v_ashrrev_i32_e32 v7, 31, v6
	v_lshlrev_b64 v[6:7], 2, v[6:7]
	v_mov_b32_e32 v10, s20
	v_add_co_u32_e32 v6, vcc, s19, v6
	v_addc_co_u32_e32 v7, vcc, v10, v7, vcc
	global_load_dword v10, v[2:3], off
	global_load_dword v11, v[4:5], off
	;; [unrolled: 1-line block ×3, first 2 shown]
	v_or_b32_e32 v2, 0xc0, v8
	v_add_u32_e32 v3, s8, v2
	v_ashrrev_i32_e32 v3, 5, v3
	v_cmp_gt_i32_e32 vcc, s33, v2
	v_cndmask_b32_e32 v2, v9, v3, vcc
	v_ashrrev_i32_e32 v3, 31, v2
	v_lshlrev_b64 v[2:3], 2, v[2:3]
	v_mov_b32_e32 v4, s20
	v_add_co_u32_e32 v2, vcc, s19, v2
	v_addc_co_u32_e32 v3, vcc, v4, v3, vcc
	global_load_dword v13, v[2:3], off
	s_add_u32 s2, s2, s10
	v_and_b32_e32 v2, 16, v0
	s_addc_u32 s3, s3, 0
	v_lshlrev_b32_e32 v48, 5, v49
	v_mov_b32_e32 v4, s3
	v_add_co_u32_e32 v2, vcc, s2, v2
	v_lshl_or_b32 v3, v50, 9, v48
	v_addc_co_u32_e32 v4, vcc, 0, v4, vcc
	v_add_co_u32_e32 v2, vcc, v2, v3
	v_addc_co_u32_e32 v3, vcc, 0, v4, vcc
	s_movk_i32 s8, 0x80
	s_waitcnt vmcnt(7)
	v_cmp_ne_u16_sdwa s[10:11], v34, v43 src0_sel:BYTE_0 src1_sel:DWORD
	s_waitcnt vmcnt(3)
	v_mad_i64_i32 v[4:5], s[2:3], v10, s13, v[2:3]
	s_waitcnt vmcnt(2)
	v_mad_i64_i32 v[6:7], s[2:3], v11, s13, v[2:3]
	;; [unrolled: 2-line block ×4, first 2 shown]
	global_load_dwordx4 v[14:17], v[4:5], off
	global_load_dwordx4 v[10:13], v[6:7], off
	s_nop 0
	global_load_dwordx4 v[6:9], v[8:9], off
	s_nop 0
	global_load_dwordx4 v[2:5], v[2:3], off
	s_load_dwordx4 s[40:43], s[4:5], 0x80
	s_load_dwordx2 s[44:45], s[4:5], 0x94
	s_waitcnt lgkmcnt(0)
	s_load_dword s12, s[40:41], 0x0
	s_and_saveexec_b64 s[2:3], s[10:11]
	s_cbranch_execz .LBB585_19
; %bb.14:
	v_cmp_ne_u16_sdwa s[10:11], v34, s8 src0_sel:BYTE_0 src1_sel:DWORD
	v_bfrev_b32_e32 v43, 1
	s_and_saveexec_b64 s[8:9], s[10:11]
	s_cbranch_execz .LBB585_18
; %bb.15:
	s_movk_i32 s10, 0x7f
	v_and_b32_e32 v42, 0x7f, v34
	v_cmp_ne_u32_e32 vcc, s10, v42
	v_mov_b32_e32 v43, 0x7f800001
	s_and_saveexec_b64 s[10:11], vcc
	s_cbranch_execz .LBB585_17
; %bb.16:
	v_and_b32_e32 v43, 7, v34
	v_ffbh_u32_e32 v44, v43
	v_min_u32_e32 v53, 32, v44
	v_subrev_u32_e32 v44, 28, v53
	v_lshlrev_b64 v[44:45], v44, v[34:35]
	v_lshrrev_b32_e32 v52, 3, v42
	v_sub_u32_e32 v45, 29, v53
	v_and_b32_e32 v44, 7, v44
	v_cmp_gt_u32_e32 vcc, 8, v42
	v_cndmask_b32_e32 v42, v52, v45, vcc
	v_cndmask_b32_e32 v43, v43, v44, vcc
	v_lshlrev_b32_e32 v44, 24, v34
	v_bfrev_b32_e32 v45, 60
	v_lshlrev_b32_e32 v43, 20, v43
	v_and_b32_e32 v44, 0x80000000, v44
	v_lshl_add_u32 v42, v42, 23, v45
	v_or3_b32 v43, v44, v42, v43
.LBB585_17:
	s_or_b64 exec, exec, s[10:11]
.LBB585_18:
	s_or_b64 exec, exec, s[8:9]
.LBB585_19:
	s_or_b64 exec, exec, s[2:3]
	v_lshrrev_b16_e32 v42, 8, v34
	v_cmp_ne_u16_e32 vcc, 0, v42
	v_mov_b32_e32 v44, 0
	v_mov_b32_e32 v45, 0
	s_and_saveexec_b64 s[2:3], vcc
	s_cbranch_execz .LBB585_25
; %bb.20:
	s_movk_i32 s8, 0x80
	v_cmp_ne_u16_e32 vcc, s8, v42
	v_bfrev_b32_e32 v45, 1
	s_and_saveexec_b64 s[8:9], vcc
	s_cbranch_execz .LBB585_24
; %bb.21:
	s_movk_i32 s10, 0x7f
	v_and_b32_e32 v52, 0x7f, v42
	v_cmp_ne_u32_e32 vcc, s10, v52
	v_mov_b32_e32 v45, 0x7f800001
	s_and_saveexec_b64 s[10:11], vcc
	s_cbranch_execz .LBB585_23
; %bb.22:
	v_and_b32_e32 v45, 7, v42
	v_ffbh_u32_e32 v54, v45
	v_min_u32_e32 v56, 32, v54
	v_subrev_u32_e32 v54, 28, v56
	v_lshlrev_b64 v[54:55], v54, v[42:43]
	v_lshrrev_b32_e32 v53, 3, v52
	v_sub_u32_e32 v42, 29, v56
	v_and_b32_e32 v54, 7, v54
	v_cmp_gt_u32_e32 vcc, 8, v52
	v_cndmask_b32_e32 v42, v53, v42, vcc
	v_cndmask_b32_e32 v45, v45, v54, vcc
	v_lshlrev_b32_e32 v52, 16, v34
	v_bfrev_b32_e32 v53, 60
	v_lshlrev_b32_e32 v45, 20, v45
	v_and_b32_e32 v52, 0x80000000, v52
	v_lshl_add_u32 v42, v42, 23, v53
	v_or3_b32 v45, v52, v42, v45
.LBB585_23:
	s_or_b64 exec, exec, s[10:11]
.LBB585_24:
	s_or_b64 exec, exec, s[8:9]
.LBB585_25:
	s_or_b64 exec, exec, s[2:3]
	s_movk_i32 s2, 0xff
	v_and_b32_sdwa v52, v34, s2 dst_sel:DWORD dst_unused:UNUSED_PAD src0_sel:WORD_1 src1_sel:DWORD
	v_lshrrev_b32_e32 v42, 16, v34
	v_cmp_ne_u16_e32 vcc, 0, v52
	s_and_saveexec_b64 s[2:3], vcc
	s_cbranch_execz .LBB585_31
; %bb.26:
	s_movk_i32 s8, 0x80
	v_cmp_ne_u16_e32 vcc, s8, v52
	v_bfrev_b32_e32 v44, 1
	s_and_saveexec_b64 s[8:9], vcc
	s_cbranch_execz .LBB585_30
; %bb.27:
	v_bfe_u32 v52, v34, 16, 7
	s_movk_i32 s10, 0x7f
	v_cmp_ne_u32_e32 vcc, s10, v52
	v_mov_b32_e32 v44, 0x7f800001
	s_and_saveexec_b64 s[10:11], vcc
	s_cbranch_execz .LBB585_29
; %bb.28:
	v_and_b32_e32 v44, 7, v42
	v_ffbh_u32_e32 v54, v44
	v_min_u32_e32 v56, 32, v54
	v_subrev_u32_e32 v54, 28, v56
	v_lshlrev_b64 v[54:55], v54, v[42:43]
	v_lshrrev_b32_e32 v53, 3, v52
	v_sub_u32_e32 v42, 29, v56
	v_and_b32_e32 v54, 7, v54
	v_cmp_gt_u32_e32 vcc, 8, v52
	v_mov_b32_e32 v52, 24
	v_cndmask_b32_e32 v42, v53, v42, vcc
	v_cndmask_b32_e32 v44, v44, v54, vcc
	v_lshlrev_b32_sdwa v52, v52, v34 dst_sel:DWORD dst_unused:UNUSED_PAD src0_sel:DWORD src1_sel:WORD_1
	v_bfrev_b32_e32 v53, 60
	v_lshlrev_b32_e32 v44, 20, v44
	v_and_b32_e32 v52, 0x80000000, v52
	v_lshl_add_u32 v42, v42, 23, v53
	v_or3_b32 v44, v52, v42, v44
.LBB585_29:
	s_or_b64 exec, exec, s[10:11]
.LBB585_30:
	s_or_b64 exec, exec, s[8:9]
.LBB585_31:
	s_or_b64 exec, exec, s[2:3]
	s_mov_b32 s2, 0xffffff
	v_cmp_lt_u32_e32 vcc, s2, v34
	v_mov_b32_e32 v53, 0
	v_mov_b32_e32 v54, 0
	s_and_saveexec_b64 s[2:3], vcc
	s_cbranch_execz .LBB585_37
; %bb.32:
	v_lshrrev_b32_e32 v42, 24, v34
	s_movk_i32 s8, 0x80
	v_cmp_ne_u32_e32 vcc, s8, v42
	v_bfrev_b32_e32 v54, 1
	s_and_saveexec_b64 s[8:9], vcc
	s_cbranch_execz .LBB585_36
; %bb.33:
	v_bfe_u32 v34, v34, 24, 7
	s_movk_i32 s10, 0x7f
	v_cmp_ne_u32_e32 vcc, s10, v34
	v_mov_b32_e32 v54, 0x7f800001
	s_and_saveexec_b64 s[10:11], vcc
	s_cbranch_execz .LBB585_35
; %bb.34:
	v_and_b32_e32 v52, 7, v42
	v_ffbh_u32_e32 v54, v52
	v_min_u32_e32 v57, 32, v54
	v_subrev_u32_e32 v54, 28, v57
	v_lshlrev_b64 v[54:55], v54, v[42:43]
	v_lshrrev_b32_e32 v56, 3, v34
	v_sub_u32_e32 v55, 29, v57
	v_and_b32_e32 v54, 7, v54
	v_cmp_gt_u32_e32 vcc, 8, v34
	v_cndmask_b32_e32 v34, v56, v55, vcc
	v_cndmask_b32_e32 v52, v52, v54, vcc
	v_lshlrev_b32_e32 v42, 24, v42
	v_bfrev_b32_e32 v54, 60
	v_lshlrev_b32_e32 v52, 20, v52
	v_and_b32_e32 v42, 0x80000000, v42
	v_lshl_add_u32 v34, v34, 23, v54
	v_or3_b32 v54, v42, v34, v52
.LBB585_35:
	s_or_b64 exec, exec, s[10:11]
.LBB585_36:
	s_or_b64 exec, exec, s[8:9]
.LBB585_37:
	s_or_b64 exec, exec, s[2:3]
	v_cmp_ne_u16_sdwa s[8:9], v35, v53 src0_sel:BYTE_0 src1_sel:DWORD
	s_and_saveexec_b64 s[2:3], s[8:9]
	s_cbranch_execz .LBB585_43
; %bb.38:
	s_movk_i32 s8, 0x80
	v_cmp_ne_u16_sdwa s[10:11], v35, s8 src0_sel:BYTE_0 src1_sel:DWORD
	v_bfrev_b32_e32 v53, 1
	s_and_saveexec_b64 s[8:9], s[10:11]
	s_cbranch_execz .LBB585_42
; %bb.39:
	s_movk_i32 s10, 0x7f
	v_and_b32_e32 v34, 0x7f, v35
	v_cmp_ne_u32_e32 vcc, s10, v34
	v_mov_b32_e32 v53, 0x7f800001
	s_and_saveexec_b64 s[10:11], vcc
	s_cbranch_execz .LBB585_41
; %bb.40:
	v_and_b32_e32 v55, 7, v35
	v_ffbh_u32_e32 v52, v55
	v_min_u32_e32 v57, 32, v52
	v_mov_b32_e32 v42, v35
	v_subrev_u32_e32 v52, 28, v57
	v_lshlrev_b64 v[52:53], v52, v[42:43]
	v_lshrrev_b32_e32 v56, 3, v34
	v_sub_u32_e32 v42, 29, v57
	v_and_b32_e32 v52, 7, v52
	v_cmp_gt_u32_e32 vcc, 8, v34
	v_cndmask_b32_e32 v34, v56, v42, vcc
	v_cndmask_b32_e32 v42, v55, v52, vcc
	v_lshlrev_b32_e32 v52, 24, v35
	v_bfrev_b32_e32 v53, 60
	v_lshlrev_b32_e32 v42, 20, v42
	v_and_b32_e32 v52, 0x80000000, v52
	v_lshl_add_u32 v34, v34, 23, v53
	v_or3_b32 v53, v52, v34, v42
.LBB585_41:
	s_or_b64 exec, exec, s[10:11]
.LBB585_42:
	s_or_b64 exec, exec, s[8:9]
.LBB585_43:
	s_or_b64 exec, exec, s[2:3]
	v_lshrrev_b16_e32 v34, 8, v35
	v_cmp_ne_u16_e32 vcc, 0, v34
	v_mov_b32_e32 v42, 0
	v_mov_b32_e32 v55, 0
	s_and_saveexec_b64 s[2:3], vcc
	s_cbranch_execz .LBB585_49
; %bb.44:
	s_movk_i32 s8, 0x80
	v_cmp_ne_u16_e32 vcc, s8, v34
	v_bfrev_b32_e32 v55, 1
	s_and_saveexec_b64 s[8:9], vcc
	s_cbranch_execz .LBB585_48
; %bb.45:
	s_movk_i32 s10, 0x7f
	v_and_b32_e32 v52, 0x7f, v34
	v_cmp_ne_u32_e32 vcc, s10, v52
	v_mov_b32_e32 v55, 0x7f800001
	s_and_saveexec_b64 s[10:11], vcc
	s_cbranch_execz .LBB585_47
; %bb.46:
	v_and_b32_e32 v55, 7, v34
	v_ffbh_u32_e32 v56, v55
	v_min_u32_e32 v59, 32, v56
	v_subrev_u32_e32 v56, 28, v59
	v_lshlrev_b64 v[56:57], v56, v[34:35]
	v_lshrrev_b32_e32 v58, 3, v52
	v_sub_u32_e32 v34, 29, v59
	v_and_b32_e32 v56, 7, v56
	v_cmp_gt_u32_e32 vcc, 8, v52
	v_cndmask_b32_e32 v34, v58, v34, vcc
	v_cndmask_b32_e32 v52, v55, v56, vcc
	v_lshlrev_b32_e32 v55, 16, v35
	v_bfrev_b32_e32 v56, 60
	v_lshlrev_b32_e32 v52, 20, v52
	v_and_b32_e32 v55, 0x80000000, v55
	v_lshl_add_u32 v34, v34, 23, v56
	v_or3_b32 v55, v55, v34, v52
.LBB585_47:
	s_or_b64 exec, exec, s[10:11]
.LBB585_48:
	s_or_b64 exec, exec, s[8:9]
.LBB585_49:
	s_or_b64 exec, exec, s[2:3]
	s_movk_i32 s2, 0xff
	v_and_b32_sdwa v52, v35, s2 dst_sel:DWORD dst_unused:UNUSED_PAD src0_sel:WORD_1 src1_sel:DWORD
	v_lshrrev_b32_e32 v34, 16, v35
	v_cmp_ne_u16_e32 vcc, 0, v52
	s_and_saveexec_b64 s[2:3], vcc
	s_cbranch_execz .LBB585_55
; %bb.50:
	s_movk_i32 s8, 0x80
	v_cmp_ne_u16_e32 vcc, s8, v52
	v_bfrev_b32_e32 v42, 1
	s_and_saveexec_b64 s[8:9], vcc
	s_cbranch_execz .LBB585_54
; %bb.51:
	v_bfe_u32 v52, v35, 16, 7
	s_movk_i32 s10, 0x7f
	v_cmp_ne_u32_e32 vcc, s10, v52
	v_mov_b32_e32 v42, 0x7f800001
	s_and_saveexec_b64 s[10:11], vcc
	s_cbranch_execz .LBB585_53
; %bb.52:
	v_and_b32_e32 v42, 7, v34
	v_ffbh_u32_e32 v56, v42
	v_min_u32_e32 v59, 32, v56
	v_subrev_u32_e32 v56, 28, v59
	v_lshlrev_b64 v[56:57], v56, v[34:35]
	v_lshrrev_b32_e32 v58, 3, v52
	v_sub_u32_e32 v34, 29, v59
	v_and_b32_e32 v56, 7, v56
	v_cmp_gt_u32_e32 vcc, 8, v52
	v_mov_b32_e32 v52, 24
	v_cndmask_b32_e32 v34, v58, v34, vcc
	v_cndmask_b32_e32 v42, v42, v56, vcc
	v_lshlrev_b32_sdwa v52, v52, v35 dst_sel:DWORD dst_unused:UNUSED_PAD src0_sel:DWORD src1_sel:WORD_1
	v_bfrev_b32_e32 v56, 60
	v_lshlrev_b32_e32 v42, 20, v42
	v_and_b32_e32 v52, 0x80000000, v52
	v_lshl_add_u32 v34, v34, 23, v56
	v_or3_b32 v42, v52, v34, v42
.LBB585_53:
	s_or_b64 exec, exec, s[10:11]
.LBB585_54:
	s_or_b64 exec, exec, s[8:9]
.LBB585_55:
	s_or_b64 exec, exec, s[2:3]
	s_mov_b32 s2, 0xffffff
	v_cmp_lt_u32_e32 vcc, s2, v35
	v_mov_b32_e32 v52, 0
	v_mov_b32_e32 v56, 0
	s_and_saveexec_b64 s[2:3], vcc
	s_cbranch_execz .LBB585_61
; %bb.56:
	v_lshrrev_b32_e32 v34, 24, v35
	s_movk_i32 s8, 0x80
	v_cmp_ne_u32_e32 vcc, s8, v34
	v_bfrev_b32_e32 v56, 1
	s_and_saveexec_b64 s[8:9], vcc
	s_cbranch_execz .LBB585_60
; %bb.57:
	v_bfe_u32 v35, v35, 24, 7
	s_movk_i32 s10, 0x7f
	v_cmp_ne_u32_e32 vcc, s10, v35
	v_mov_b32_e32 v56, 0x7f800001
	s_and_saveexec_b64 s[10:11], vcc
	s_cbranch_execz .LBB585_59
; %bb.58:
	v_and_b32_e32 v58, 7, v34
	v_ffbh_u32_e32 v56, v58
	v_min_u32_e32 v60, 32, v56
	v_subrev_u32_e32 v56, 28, v60
	v_lshlrev_b64 v[56:57], v56, v[34:35]
	v_lshrrev_b32_e32 v59, 3, v35
	v_sub_u32_e32 v57, 29, v60
	v_and_b32_e32 v56, 7, v56
	v_cmp_gt_u32_e32 vcc, 8, v35
	v_cndmask_b32_e32 v35, v59, v57, vcc
	v_cndmask_b32_e32 v56, v58, v56, vcc
	v_lshlrev_b32_e32 v34, 24, v34
	v_bfrev_b32_e32 v57, 60
	v_lshlrev_b32_e32 v56, 20, v56
	v_and_b32_e32 v34, 0x80000000, v34
	v_lshl_add_u32 v35, v35, 23, v57
	v_or3_b32 v56, v34, v35, v56
.LBB585_59:
	s_or_b64 exec, exec, s[10:11]
.LBB585_60:
	s_or_b64 exec, exec, s[8:9]
.LBB585_61:
	s_or_b64 exec, exec, s[2:3]
	v_cvt_pkrtz_f16_f32 v34, v43, v45
	v_cvt_pkrtz_f16_f32 v35, v44, v54
	v_cmp_ne_u16_sdwa s[8:9], v36, v52 src0_sel:BYTE_0 src1_sel:DWORD
	s_nop 0
	v_mfma_f32_16x16x16f16 v[58:61], v[34:35], v[26:27], 0
	v_cvt_pkrtz_f16_f32 v34, v53, v55
	v_cvt_pkrtz_f16_f32 v35, v42, v56
	s_nop 1
	v_mfma_f32_16x16x16f16 v[42:45], v[34:35], v[28:29], v[58:61]
	s_and_saveexec_b64 s[2:3], s[8:9]
	s_cbranch_execz .LBB585_67
; %bb.62:
	s_movk_i32 s8, 0x80
	v_cmp_ne_u16_sdwa s[10:11], v36, s8 src0_sel:BYTE_0 src1_sel:DWORD
	v_bfrev_b32_e32 v52, 1
	s_and_saveexec_b64 s[8:9], s[10:11]
	s_cbranch_execz .LBB585_66
; %bb.63:
	s_movk_i32 s10, 0x7f
	v_and_b32_e32 v34, 0x7f, v36
	v_cmp_ne_u32_e32 vcc, s10, v34
	v_mov_b32_e32 v52, 0x7f800001
	s_and_saveexec_b64 s[10:11], vcc
	s_cbranch_execz .LBB585_65
; %bb.64:
	v_and_b32_e32 v35, 7, v36
	v_ffbh_u32_e32 v52, v35
	v_min_u32_e32 v55, 32, v52
	v_subrev_u32_e32 v52, 28, v55
	v_lshlrev_b64 v[52:53], v52, v[36:37]
	v_lshrrev_b32_e32 v54, 3, v34
	v_sub_u32_e32 v53, 29, v55
	v_and_b32_e32 v52, 7, v52
	v_cmp_gt_u32_e32 vcc, 8, v34
	v_cndmask_b32_e32 v34, v54, v53, vcc
	v_cndmask_b32_e32 v35, v35, v52, vcc
	v_lshlrev_b32_e32 v52, 24, v36
	v_bfrev_b32_e32 v53, 60
	v_lshlrev_b32_e32 v35, 20, v35
	v_and_b32_e32 v52, 0x80000000, v52
	v_lshl_add_u32 v34, v34, 23, v53
	v_or3_b32 v52, v52, v34, v35
.LBB585_65:
	s_or_b64 exec, exec, s[10:11]
.LBB585_66:
	s_or_b64 exec, exec, s[8:9]
.LBB585_67:
	s_or_b64 exec, exec, s[2:3]
	v_lshrrev_b16_e32 v34, 8, v36
	v_cmp_ne_u16_e32 vcc, 0, v34
	v_mov_b32_e32 v35, 0
	v_mov_b32_e32 v54, 0
	s_and_saveexec_b64 s[2:3], vcc
	s_cbranch_execz .LBB585_73
; %bb.68:
	s_movk_i32 s8, 0x80
	v_cmp_ne_u16_e32 vcc, s8, v34
	v_bfrev_b32_e32 v54, 1
	s_and_saveexec_b64 s[8:9], vcc
	s_cbranch_execz .LBB585_72
; %bb.69:
	s_movk_i32 s10, 0x7f
	v_and_b32_e32 v53, 0x7f, v34
	v_cmp_ne_u32_e32 vcc, s10, v53
	v_mov_b32_e32 v54, 0x7f800001
	s_and_saveexec_b64 s[10:11], vcc
	s_cbranch_execz .LBB585_71
; %bb.70:
	v_and_b32_e32 v56, 7, v34
	v_ffbh_u32_e32 v54, v56
	v_min_u32_e32 v58, 32, v54
	v_subrev_u32_e32 v54, 28, v58
	v_lshlrev_b64 v[54:55], v54, v[34:35]
	v_lshrrev_b32_e32 v57, 3, v53
	v_sub_u32_e32 v34, 29, v58
	v_and_b32_e32 v54, 7, v54
	v_cmp_gt_u32_e32 vcc, 8, v53
	v_cndmask_b32_e32 v34, v57, v34, vcc
	v_cndmask_b32_e32 v53, v56, v54, vcc
	v_lshlrev_b32_e32 v54, 16, v36
	v_bfrev_b32_e32 v55, 60
	v_lshlrev_b32_e32 v53, 20, v53
	v_and_b32_e32 v54, 0x80000000, v54
	v_lshl_add_u32 v34, v34, 23, v55
	v_or3_b32 v54, v54, v34, v53
.LBB585_71:
	s_or_b64 exec, exec, s[10:11]
.LBB585_72:
	s_or_b64 exec, exec, s[8:9]
.LBB585_73:
	s_or_b64 exec, exec, s[2:3]
	s_movk_i32 s2, 0xff
	v_and_b32_sdwa v53, v36, s2 dst_sel:DWORD dst_unused:UNUSED_PAD src0_sel:WORD_1 src1_sel:DWORD
	v_lshrrev_b32_e32 v34, 16, v36
	v_cmp_ne_u16_e32 vcc, 0, v53
	s_and_saveexec_b64 s[2:3], vcc
	s_cbranch_execz .LBB585_79
; %bb.74:
	s_movk_i32 s8, 0x80
	v_cmp_ne_u16_e32 vcc, s8, v53
	v_bfrev_b32_e32 v35, 1
	s_and_saveexec_b64 s[8:9], vcc
	s_cbranch_execz .LBB585_78
; %bb.75:
	v_bfe_u32 v53, v36, 16, 7
	s_movk_i32 s10, 0x7f
	v_cmp_ne_u32_e32 vcc, s10, v53
	v_mov_b32_e32 v35, 0x7f800001
	s_and_saveexec_b64 s[10:11], vcc
	s_cbranch_execz .LBB585_77
; %bb.76:
	v_and_b32_e32 v55, 7, v34
	v_ffbh_u32_e32 v35, v55
	v_min_u32_e32 v57, 32, v35
	v_subrev_u32_e32 v35, 28, v57
	v_lshlrev_b64 v[34:35], v35, v[34:35]
	v_lshrrev_b32_e32 v56, 3, v53
	v_sub_u32_e32 v35, 29, v57
	v_and_b32_e32 v34, 7, v34
	v_cmp_gt_u32_e32 vcc, 8, v53
	v_mov_b32_e32 v53, 24
	v_cndmask_b32_e32 v35, v56, v35, vcc
	v_cndmask_b32_e32 v34, v55, v34, vcc
	v_lshlrev_b32_sdwa v53, v53, v36 dst_sel:DWORD dst_unused:UNUSED_PAD src0_sel:DWORD src1_sel:WORD_1
	v_bfrev_b32_e32 v55, 60
	v_lshlrev_b32_e32 v34, 20, v34
	v_and_b32_e32 v53, 0x80000000, v53
	v_lshl_add_u32 v35, v35, 23, v55
	v_or3_b32 v35, v53, v35, v34
.LBB585_77:
	s_or_b64 exec, exec, s[10:11]
.LBB585_78:
	s_or_b64 exec, exec, s[8:9]
.LBB585_79:
	s_or_b64 exec, exec, s[2:3]
	s_mov_b32 s2, 0xffffff
	v_cmp_lt_u32_e32 vcc, s2, v36
	v_mov_b32_e32 v55, 0
	v_mov_b32_e32 v56, 0
	s_and_saveexec_b64 s[2:3], vcc
	s_cbranch_execz .LBB585_85
; %bb.80:
	v_lshrrev_b32_e32 v34, 24, v36
	s_movk_i32 s8, 0x80
	v_cmp_ne_u32_e32 vcc, s8, v34
	v_bfrev_b32_e32 v56, 1
	s_and_saveexec_b64 s[8:9], vcc
	s_cbranch_execz .LBB585_84
; %bb.81:
	v_bfe_u32 v36, v36, 24, 7
	s_movk_i32 s10, 0x7f
	v_cmp_ne_u32_e32 vcc, s10, v36
	v_mov_b32_e32 v56, 0x7f800001
	s_and_saveexec_b64 s[10:11], vcc
	s_cbranch_execz .LBB585_83
; %bb.82:
	v_and_b32_e32 v53, 7, v34
	v_ffbh_u32_e32 v56, v53
	v_min_u32_e32 v59, 32, v56
	v_subrev_u32_e32 v56, 28, v59
	v_lshlrev_b64 v[56:57], v56, v[34:35]
	v_lshrrev_b32_e32 v58, 3, v36
	v_sub_u32_e32 v57, 29, v59
	v_and_b32_e32 v56, 7, v56
	v_cmp_gt_u32_e32 vcc, 8, v36
	v_cndmask_b32_e32 v36, v58, v57, vcc
	v_cndmask_b32_e32 v53, v53, v56, vcc
	v_lshlrev_b32_e32 v34, 24, v34
	v_bfrev_b32_e32 v56, 60
	v_lshlrev_b32_e32 v53, 20, v53
	v_and_b32_e32 v34, 0x80000000, v34
	v_lshl_add_u32 v36, v36, 23, v56
	v_or3_b32 v56, v34, v36, v53
.LBB585_83:
	s_or_b64 exec, exec, s[10:11]
.LBB585_84:
	s_or_b64 exec, exec, s[8:9]
.LBB585_85:
	s_or_b64 exec, exec, s[2:3]
	v_cmp_ne_u16_sdwa s[8:9], v37, v55 src0_sel:BYTE_0 src1_sel:DWORD
	s_and_saveexec_b64 s[2:3], s[8:9]
	s_cbranch_execz .LBB585_91
; %bb.86:
	s_movk_i32 s8, 0x80
	v_cmp_ne_u16_sdwa s[10:11], v37, s8 src0_sel:BYTE_0 src1_sel:DWORD
	v_bfrev_b32_e32 v55, 1
	s_and_saveexec_b64 s[8:9], s[10:11]
	s_cbranch_execz .LBB585_90
; %bb.87:
	s_movk_i32 s10, 0x7f
	v_and_b32_e32 v34, 0x7f, v37
	v_cmp_ne_u32_e32 vcc, s10, v34
	v_mov_b32_e32 v55, 0x7f800001
	s_and_saveexec_b64 s[10:11], vcc
	s_cbranch_execz .LBB585_89
; %bb.88:
	v_and_b32_e32 v53, 7, v37
	v_ffbh_u32_e32 v57, v53
	v_min_u32_e32 v57, 32, v57
	v_mov_b32_e32 v36, v37
	v_subrev_u32_e32 v58, 28, v57
	v_lshlrev_b64 v[58:59], v58, v[36:37]
	v_lshrrev_b32_e32 v55, 3, v34
	v_sub_u32_e32 v36, 29, v57
	v_and_b32_e32 v57, 7, v58
	v_cmp_gt_u32_e32 vcc, 8, v34
	v_cndmask_b32_e32 v34, v55, v36, vcc
	v_cndmask_b32_e32 v36, v53, v57, vcc
	v_lshlrev_b32_e32 v53, 24, v37
	v_bfrev_b32_e32 v55, 60
	v_lshlrev_b32_e32 v36, 20, v36
	v_and_b32_e32 v53, 0x80000000, v53
	v_lshl_add_u32 v34, v34, 23, v55
	v_or3_b32 v55, v53, v34, v36
.LBB585_89:
	s_or_b64 exec, exec, s[10:11]
.LBB585_90:
	s_or_b64 exec, exec, s[8:9]
.LBB585_91:
	s_or_b64 exec, exec, s[2:3]
	v_lshrrev_b16_e32 v34, 8, v37
	v_cmp_ne_u16_e32 vcc, 0, v34
	v_mov_b32_e32 v36, 0
	v_mov_b32_e32 v57, 0
	s_and_saveexec_b64 s[2:3], vcc
	s_cbranch_execz .LBB585_97
; %bb.92:
	s_movk_i32 s8, 0x80
	v_cmp_ne_u16_e32 vcc, s8, v34
	v_bfrev_b32_e32 v57, 1
	s_and_saveexec_b64 s[8:9], vcc
	s_cbranch_execz .LBB585_96
; %bb.93:
	s_movk_i32 s10, 0x7f
	v_and_b32_e32 v53, 0x7f, v34
	v_cmp_ne_u32_e32 vcc, s10, v53
	v_mov_b32_e32 v57, 0x7f800001
	s_and_saveexec_b64 s[10:11], vcc
	s_cbranch_execz .LBB585_95
; %bb.94:
	v_and_b32_e32 v57, 7, v34
	v_ffbh_u32_e32 v58, v57
	v_min_u32_e32 v61, 32, v58
	v_subrev_u32_e32 v58, 28, v61
	v_lshlrev_b64 v[58:59], v58, v[34:35]
	v_lshrrev_b32_e32 v60, 3, v53
	v_sub_u32_e32 v34, 29, v61
	v_and_b32_e32 v58, 7, v58
	v_cmp_gt_u32_e32 vcc, 8, v53
	v_cndmask_b32_e32 v34, v60, v34, vcc
	v_cndmask_b32_e32 v53, v57, v58, vcc
	v_lshlrev_b32_e32 v57, 16, v37
	v_bfrev_b32_e32 v58, 60
	v_lshlrev_b32_e32 v53, 20, v53
	v_and_b32_e32 v57, 0x80000000, v57
	v_lshl_add_u32 v34, v34, 23, v58
	v_or3_b32 v57, v57, v34, v53
.LBB585_95:
	s_or_b64 exec, exec, s[10:11]
.LBB585_96:
	s_or_b64 exec, exec, s[8:9]
.LBB585_97:
	s_or_b64 exec, exec, s[2:3]
	s_movk_i32 s2, 0xff
	v_and_b32_sdwa v53, v37, s2 dst_sel:DWORD dst_unused:UNUSED_PAD src0_sel:WORD_1 src1_sel:DWORD
	v_lshrrev_b32_e32 v34, 16, v37
	v_cmp_ne_u16_e32 vcc, 0, v53
	s_and_saveexec_b64 s[2:3], vcc
	s_cbranch_execz .LBB585_103
; %bb.98:
	s_movk_i32 s8, 0x80
	v_cmp_ne_u16_e32 vcc, s8, v53
	v_bfrev_b32_e32 v36, 1
	s_and_saveexec_b64 s[8:9], vcc
	s_cbranch_execz .LBB585_102
; %bb.99:
	v_bfe_u32 v53, v37, 16, 7
	s_movk_i32 s10, 0x7f
	v_cmp_ne_u32_e32 vcc, s10, v53
	v_mov_b32_e32 v36, 0x7f800001
	s_and_saveexec_b64 s[10:11], vcc
	s_cbranch_execz .LBB585_101
; %bb.100:
	v_and_b32_e32 v36, 7, v34
	v_ffbh_u32_e32 v58, v36
	v_min_u32_e32 v61, 32, v58
	v_subrev_u32_e32 v58, 28, v61
	v_lshlrev_b64 v[58:59], v58, v[34:35]
	v_lshrrev_b32_e32 v60, 3, v53
	v_sub_u32_e32 v34, 29, v61
	v_and_b32_e32 v58, 7, v58
	v_cmp_gt_u32_e32 vcc, 8, v53
	v_mov_b32_e32 v53, 24
	v_cndmask_b32_e32 v34, v60, v34, vcc
	v_cndmask_b32_e32 v36, v36, v58, vcc
	v_lshlrev_b32_sdwa v53, v53, v37 dst_sel:DWORD dst_unused:UNUSED_PAD src0_sel:DWORD src1_sel:WORD_1
	v_bfrev_b32_e32 v58, 60
	v_lshlrev_b32_e32 v36, 20, v36
	v_and_b32_e32 v53, 0x80000000, v53
	v_lshl_add_u32 v34, v34, 23, v58
	v_or3_b32 v36, v53, v34, v36
.LBB585_101:
	s_or_b64 exec, exec, s[10:11]
.LBB585_102:
	s_or_b64 exec, exec, s[8:9]
.LBB585_103:
	s_or_b64 exec, exec, s[2:3]
	s_mov_b32 s2, 0xffffff
	v_cmp_lt_u32_e32 vcc, s2, v37
	v_mov_b32_e32 v53, 0
	v_mov_b32_e32 v58, 0
	s_and_saveexec_b64 s[2:3], vcc
	s_cbranch_execz .LBB585_109
; %bb.104:
	v_lshrrev_b32_e32 v34, 24, v37
	s_movk_i32 s8, 0x80
	v_cmp_ne_u32_e32 vcc, s8, v34
	v_bfrev_b32_e32 v58, 1
	s_and_saveexec_b64 s[8:9], vcc
	s_cbranch_execz .LBB585_108
; %bb.105:
	v_bfe_u32 v37, v37, 24, 7
	s_movk_i32 s10, 0x7f
	v_cmp_ne_u32_e32 vcc, s10, v37
	v_mov_b32_e32 v58, 0x7f800001
	s_and_saveexec_b64 s[10:11], vcc
	s_cbranch_execz .LBB585_107
; %bb.106:
	v_and_b32_e32 v60, 7, v34
	v_ffbh_u32_e32 v58, v60
	v_min_u32_e32 v62, 32, v58
	v_subrev_u32_e32 v58, 28, v62
	v_lshlrev_b64 v[58:59], v58, v[34:35]
	v_lshrrev_b32_e32 v61, 3, v37
	v_sub_u32_e32 v59, 29, v62
	v_and_b32_e32 v58, 7, v58
	v_cmp_gt_u32_e32 vcc, 8, v37
	v_cndmask_b32_e32 v37, v61, v59, vcc
	v_cndmask_b32_e32 v58, v60, v58, vcc
	v_lshlrev_b32_e32 v34, 24, v34
	v_bfrev_b32_e32 v59, 60
	v_lshlrev_b32_e32 v58, 20, v58
	v_and_b32_e32 v34, 0x80000000, v34
	v_lshl_add_u32 v37, v37, 23, v59
	v_or3_b32 v58, v34, v37, v58
.LBB585_107:
	s_or_b64 exec, exec, s[10:11]
.LBB585_108:
	s_or_b64 exec, exec, s[8:9]
.LBB585_109:
	s_or_b64 exec, exec, s[2:3]
	v_cvt_pkrtz_f16_f32 v34, v52, v54
	v_cvt_pkrtz_f16_f32 v35, v35, v56
	v_cmp_ne_u16_sdwa s[8:9], v38, v53 src0_sel:BYTE_0 src1_sel:DWORD
	s_nop 0
	v_mfma_f32_16x16x16f16 v[42:45], v[34:35], v[18:19], v[42:45]
	v_cvt_pkrtz_f16_f32 v34, v55, v57
	v_cvt_pkrtz_f16_f32 v35, v36, v58
	s_nop 1
	v_mfma_f32_16x16x16f16 v[34:37], v[34:35], v[20:21], v[42:45]
	s_and_saveexec_b64 s[2:3], s[8:9]
	s_cbranch_execz .LBB585_115
; %bb.110:
	s_movk_i32 s8, 0x80
	v_cmp_ne_u16_sdwa s[10:11], v38, s8 src0_sel:BYTE_0 src1_sel:DWORD
	v_bfrev_b32_e32 v53, 1
	s_and_saveexec_b64 s[8:9], s[10:11]
	s_cbranch_execz .LBB585_114
; %bb.111:
	s_movk_i32 s10, 0x7f
	v_and_b32_e32 v42, 0x7f, v38
	v_cmp_ne_u32_e32 vcc, s10, v42
	v_mov_b32_e32 v53, 0x7f800001
	s_and_saveexec_b64 s[10:11], vcc
	s_cbranch_execz .LBB585_113
; %bb.112:
	v_and_b32_e32 v43, 7, v38
	v_ffbh_u32_e32 v44, v43
	v_min_u32_e32 v53, 32, v44
	v_subrev_u32_e32 v44, 28, v53
	v_lshlrev_b64 v[44:45], v44, v[38:39]
	v_lshrrev_b32_e32 v52, 3, v42
	v_sub_u32_e32 v45, 29, v53
	v_and_b32_e32 v44, 7, v44
	v_cmp_gt_u32_e32 vcc, 8, v42
	v_cndmask_b32_e32 v42, v52, v45, vcc
	v_cndmask_b32_e32 v43, v43, v44, vcc
	v_lshlrev_b32_e32 v44, 24, v38
	v_bfrev_b32_e32 v45, 60
	v_lshlrev_b32_e32 v43, 20, v43
	v_and_b32_e32 v44, 0x80000000, v44
	v_lshl_add_u32 v42, v42, 23, v45
	v_or3_b32 v53, v44, v42, v43
.LBB585_113:
	s_or_b64 exec, exec, s[10:11]
.LBB585_114:
	s_or_b64 exec, exec, s[8:9]
.LBB585_115:
	s_or_b64 exec, exec, s[2:3]
	s_nop 3
	v_lshrrev_b16_e32 v42, 8, v38
	v_cmp_ne_u16_e32 vcc, 0, v42
	v_mov_b32_e32 v43, 0
	v_mov_b32_e32 v44, 0
	s_and_saveexec_b64 s[2:3], vcc
	s_cbranch_execz .LBB585_121
; %bb.116:
	s_movk_i32 s8, 0x80
	v_cmp_ne_u16_e32 vcc, s8, v42
	v_bfrev_b32_e32 v44, 1
	s_and_saveexec_b64 s[8:9], vcc
	s_cbranch_execz .LBB585_120
; %bb.117:
	s_movk_i32 s10, 0x7f
	v_and_b32_e32 v45, 0x7f, v42
	v_cmp_ne_u32_e32 vcc, s10, v45
	v_mov_b32_e32 v44, 0x7f800001
	s_and_saveexec_b64 s[10:11], vcc
	s_cbranch_execz .LBB585_119
; %bb.118:
	v_and_b32_e32 v44, 7, v42
	v_ffbh_u32_e32 v54, v44
	v_min_u32_e32 v56, 32, v54
	v_subrev_u32_e32 v54, 28, v56
	v_lshlrev_b64 v[54:55], v54, v[42:43]
	v_lshrrev_b32_e32 v52, 3, v45
	v_sub_u32_e32 v42, 29, v56
	v_and_b32_e32 v54, 7, v54
	v_cmp_gt_u32_e32 vcc, 8, v45
	v_cndmask_b32_e32 v42, v52, v42, vcc
	v_cndmask_b32_e32 v44, v44, v54, vcc
	v_lshlrev_b32_e32 v45, 16, v38
	v_bfrev_b32_e32 v52, 60
	v_lshlrev_b32_e32 v44, 20, v44
	v_and_b32_e32 v45, 0x80000000, v45
	v_lshl_add_u32 v42, v42, 23, v52
	v_or3_b32 v44, v45, v42, v44
.LBB585_119:
	s_or_b64 exec, exec, s[10:11]
.LBB585_120:
	s_or_b64 exec, exec, s[8:9]
.LBB585_121:
	s_or_b64 exec, exec, s[2:3]
	s_movk_i32 s2, 0xff
	v_and_b32_sdwa v45, v38, s2 dst_sel:DWORD dst_unused:UNUSED_PAD src0_sel:WORD_1 src1_sel:DWORD
	v_lshrrev_b32_e32 v42, 16, v38
	v_cmp_ne_u16_e32 vcc, 0, v45
	s_and_saveexec_b64 s[2:3], vcc
	s_cbranch_execz .LBB585_127
; %bb.122:
	s_movk_i32 s8, 0x80
	v_cmp_ne_u16_e32 vcc, s8, v45
	v_bfrev_b32_e32 v43, 1
	s_and_saveexec_b64 s[8:9], vcc
	s_cbranch_execz .LBB585_126
; %bb.123:
	v_bfe_u32 v45, v38, 16, 7
	s_movk_i32 s10, 0x7f
	v_cmp_ne_u32_e32 vcc, s10, v45
	v_mov_b32_e32 v43, 0x7f800001
	s_and_saveexec_b64 s[10:11], vcc
	s_cbranch_execz .LBB585_125
; %bb.124:
	v_and_b32_e32 v52, 7, v42
	v_ffbh_u32_e32 v43, v52
	v_min_u32_e32 v55, 32, v43
	v_subrev_u32_e32 v43, 28, v55
	v_lshlrev_b64 v[42:43], v43, v[42:43]
	v_lshrrev_b32_e32 v54, 3, v45
	v_sub_u32_e32 v43, 29, v55
	v_and_b32_e32 v42, 7, v42
	v_cmp_gt_u32_e32 vcc, 8, v45
	v_mov_b32_e32 v45, 24
	v_cndmask_b32_e32 v43, v54, v43, vcc
	v_cndmask_b32_e32 v42, v52, v42, vcc
	v_lshlrev_b32_sdwa v45, v45, v38 dst_sel:DWORD dst_unused:UNUSED_PAD src0_sel:DWORD src1_sel:WORD_1
	v_bfrev_b32_e32 v52, 60
	v_lshlrev_b32_e32 v42, 20, v42
	v_and_b32_e32 v45, 0x80000000, v45
	v_lshl_add_u32 v43, v43, 23, v52
	v_or3_b32 v43, v45, v43, v42
.LBB585_125:
	s_or_b64 exec, exec, s[10:11]
.LBB585_126:
	s_or_b64 exec, exec, s[8:9]
.LBB585_127:
	s_or_b64 exec, exec, s[2:3]
	s_mov_b32 s2, 0xffffff
	v_cmp_lt_u32_e32 vcc, s2, v38
	v_mov_b32_e32 v45, 0
	v_mov_b32_e32 v54, 0
	s_and_saveexec_b64 s[2:3], vcc
	s_cbranch_execz .LBB585_133
; %bb.128:
	v_lshrrev_b32_e32 v42, 24, v38
	s_movk_i32 s8, 0x80
	v_cmp_ne_u32_e32 vcc, s8, v42
	v_bfrev_b32_e32 v54, 1
	s_and_saveexec_b64 s[8:9], vcc
	s_cbranch_execz .LBB585_132
; %bb.129:
	v_bfe_u32 v38, v38, 24, 7
	s_movk_i32 s10, 0x7f
	v_cmp_ne_u32_e32 vcc, s10, v38
	v_mov_b32_e32 v54, 0x7f800001
	s_and_saveexec_b64 s[10:11], vcc
	s_cbranch_execz .LBB585_131
; %bb.130:
	v_and_b32_e32 v52, 7, v42
	v_ffbh_u32_e32 v54, v52
	v_min_u32_e32 v57, 32, v54
	v_subrev_u32_e32 v54, 28, v57
	v_lshlrev_b64 v[54:55], v54, v[42:43]
	v_lshrrev_b32_e32 v56, 3, v38
	v_sub_u32_e32 v55, 29, v57
	v_and_b32_e32 v54, 7, v54
	v_cmp_gt_u32_e32 vcc, 8, v38
	v_cndmask_b32_e32 v38, v56, v55, vcc
	v_cndmask_b32_e32 v52, v52, v54, vcc
	v_lshlrev_b32_e32 v42, 24, v42
	v_bfrev_b32_e32 v54, 60
	v_lshlrev_b32_e32 v52, 20, v52
	v_and_b32_e32 v42, 0x80000000, v42
	v_lshl_add_u32 v38, v38, 23, v54
	v_or3_b32 v54, v42, v38, v52
.LBB585_131:
	s_or_b64 exec, exec, s[10:11]
.LBB585_132:
	s_or_b64 exec, exec, s[8:9]
.LBB585_133:
	s_or_b64 exec, exec, s[2:3]
	v_cmp_ne_u16_sdwa s[8:9], v39, v45 src0_sel:BYTE_0 src1_sel:DWORD
	s_and_saveexec_b64 s[2:3], s[8:9]
	s_cbranch_execz .LBB585_139
; %bb.134:
	s_movk_i32 s8, 0x80
	v_cmp_ne_u16_sdwa s[10:11], v39, s8 src0_sel:BYTE_0 src1_sel:DWORD
	v_bfrev_b32_e32 v45, 1
	s_and_saveexec_b64 s[8:9], s[10:11]
	s_cbranch_execz .LBB585_138
; %bb.135:
	s_movk_i32 s10, 0x7f
	v_and_b32_e32 v38, 0x7f, v39
	v_cmp_ne_u32_e32 vcc, s10, v38
	v_mov_b32_e32 v45, 0x7f800001
	s_and_saveexec_b64 s[10:11], vcc
	s_cbranch_execz .LBB585_137
; %bb.136:
	v_and_b32_e32 v45, 7, v39
	v_ffbh_u32_e32 v55, v45
	v_min_u32_e32 v55, 32, v55
	v_mov_b32_e32 v42, v39
	v_subrev_u32_e32 v56, 28, v55
	v_lshlrev_b64 v[56:57], v56, v[42:43]
	v_lshrrev_b32_e32 v52, 3, v38
	v_sub_u32_e32 v42, 29, v55
	v_and_b32_e32 v55, 7, v56
	v_cmp_gt_u32_e32 vcc, 8, v38
	v_cndmask_b32_e32 v38, v52, v42, vcc
	v_cndmask_b32_e32 v42, v45, v55, vcc
	v_lshlrev_b32_e32 v45, 24, v39
	v_bfrev_b32_e32 v52, 60
	v_lshlrev_b32_e32 v42, 20, v42
	v_and_b32_e32 v45, 0x80000000, v45
	v_lshl_add_u32 v38, v38, 23, v52
	v_or3_b32 v45, v45, v38, v42
.LBB585_137:
	s_or_b64 exec, exec, s[10:11]
.LBB585_138:
	s_or_b64 exec, exec, s[8:9]
.LBB585_139:
	s_or_b64 exec, exec, s[2:3]
	v_lshrrev_b16_e32 v38, 8, v39
	v_cmp_ne_u16_e32 vcc, 0, v38
	v_mov_b32_e32 v42, 0
	v_mov_b32_e32 v55, 0
	s_and_saveexec_b64 s[2:3], vcc
	s_cbranch_execz .LBB585_145
; %bb.140:
	s_movk_i32 s8, 0x80
	v_cmp_ne_u16_e32 vcc, s8, v38
	v_bfrev_b32_e32 v55, 1
	s_and_saveexec_b64 s[8:9], vcc
	s_cbranch_execz .LBB585_144
; %bb.141:
	s_movk_i32 s10, 0x7f
	v_and_b32_e32 v52, 0x7f, v38
	v_cmp_ne_u32_e32 vcc, s10, v52
	v_mov_b32_e32 v55, 0x7f800001
	s_and_saveexec_b64 s[10:11], vcc
	s_cbranch_execz .LBB585_143
; %bb.142:
	v_and_b32_e32 v55, 7, v38
	v_ffbh_u32_e32 v56, v55
	v_min_u32_e32 v59, 32, v56
	v_subrev_u32_e32 v56, 28, v59
	v_lshlrev_b64 v[56:57], v56, v[38:39]
	v_lshrrev_b32_e32 v58, 3, v52
	v_sub_u32_e32 v38, 29, v59
	v_and_b32_e32 v56, 7, v56
	v_cmp_gt_u32_e32 vcc, 8, v52
	v_cndmask_b32_e32 v38, v58, v38, vcc
	v_cndmask_b32_e32 v52, v55, v56, vcc
	v_lshlrev_b32_e32 v55, 16, v39
	v_bfrev_b32_e32 v56, 60
	v_lshlrev_b32_e32 v52, 20, v52
	v_and_b32_e32 v55, 0x80000000, v55
	v_lshl_add_u32 v38, v38, 23, v56
	v_or3_b32 v55, v55, v38, v52
.LBB585_143:
	s_or_b64 exec, exec, s[10:11]
.LBB585_144:
	s_or_b64 exec, exec, s[8:9]
.LBB585_145:
	s_or_b64 exec, exec, s[2:3]
	s_movk_i32 s2, 0xff
	v_and_b32_sdwa v52, v39, s2 dst_sel:DWORD dst_unused:UNUSED_PAD src0_sel:WORD_1 src1_sel:DWORD
	v_lshrrev_b32_e32 v38, 16, v39
	v_cmp_ne_u16_e32 vcc, 0, v52
	s_and_saveexec_b64 s[2:3], vcc
	s_cbranch_execz .LBB585_151
; %bb.146:
	s_movk_i32 s8, 0x80
	v_cmp_ne_u16_e32 vcc, s8, v52
	v_bfrev_b32_e32 v42, 1
	s_and_saveexec_b64 s[8:9], vcc
	s_cbranch_execz .LBB585_150
; %bb.147:
	v_bfe_u32 v52, v39, 16, 7
	s_movk_i32 s10, 0x7f
	v_cmp_ne_u32_e32 vcc, s10, v52
	v_mov_b32_e32 v42, 0x7f800001
	s_and_saveexec_b64 s[10:11], vcc
	s_cbranch_execz .LBB585_149
; %bb.148:
	v_and_b32_e32 v42, 7, v38
	v_ffbh_u32_e32 v56, v42
	v_min_u32_e32 v59, 32, v56
	v_subrev_u32_e32 v56, 28, v59
	v_lshlrev_b64 v[56:57], v56, v[38:39]
	v_lshrrev_b32_e32 v58, 3, v52
	v_sub_u32_e32 v38, 29, v59
	v_and_b32_e32 v56, 7, v56
	v_cmp_gt_u32_e32 vcc, 8, v52
	v_mov_b32_e32 v52, 24
	v_cndmask_b32_e32 v38, v58, v38, vcc
	v_cndmask_b32_e32 v42, v42, v56, vcc
	v_lshlrev_b32_sdwa v52, v52, v39 dst_sel:DWORD dst_unused:UNUSED_PAD src0_sel:DWORD src1_sel:WORD_1
	v_bfrev_b32_e32 v56, 60
	v_lshlrev_b32_e32 v42, 20, v42
	v_and_b32_e32 v52, 0x80000000, v52
	v_lshl_add_u32 v38, v38, 23, v56
	v_or3_b32 v42, v52, v38, v42
.LBB585_149:
	s_or_b64 exec, exec, s[10:11]
.LBB585_150:
	s_or_b64 exec, exec, s[8:9]
.LBB585_151:
	s_or_b64 exec, exec, s[2:3]
	s_mov_b32 s2, 0xffffff
	v_cmp_lt_u32_e32 vcc, s2, v39
	v_mov_b32_e32 v52, 0
	v_mov_b32_e32 v56, 0
	s_and_saveexec_b64 s[2:3], vcc
	s_cbranch_execz .LBB585_157
; %bb.152:
	v_lshrrev_b32_e32 v38, 24, v39
	s_movk_i32 s8, 0x80
	v_cmp_ne_u32_e32 vcc, s8, v38
	v_bfrev_b32_e32 v56, 1
	s_and_saveexec_b64 s[8:9], vcc
	s_cbranch_execz .LBB585_156
; %bb.153:
	v_bfe_u32 v39, v39, 24, 7
	s_movk_i32 s10, 0x7f
	v_cmp_ne_u32_e32 vcc, s10, v39
	v_mov_b32_e32 v56, 0x7f800001
	s_and_saveexec_b64 s[10:11], vcc
	s_cbranch_execz .LBB585_155
; %bb.154:
	v_and_b32_e32 v58, 7, v38
	v_ffbh_u32_e32 v56, v58
	v_min_u32_e32 v60, 32, v56
	v_subrev_u32_e32 v56, 28, v60
	v_lshlrev_b64 v[56:57], v56, v[38:39]
	v_lshrrev_b32_e32 v59, 3, v39
	v_sub_u32_e32 v57, 29, v60
	v_and_b32_e32 v56, 7, v56
	v_cmp_gt_u32_e32 vcc, 8, v39
	v_cndmask_b32_e32 v39, v59, v57, vcc
	v_cndmask_b32_e32 v56, v58, v56, vcc
	v_lshlrev_b32_e32 v38, 24, v38
	v_bfrev_b32_e32 v57, 60
	v_lshlrev_b32_e32 v56, 20, v56
	v_and_b32_e32 v38, 0x80000000, v38
	v_lshl_add_u32 v39, v39, 23, v57
	v_or3_b32 v56, v38, v39, v56
.LBB585_155:
	s_or_b64 exec, exec, s[10:11]
.LBB585_156:
	s_or_b64 exec, exec, s[8:9]
.LBB585_157:
	s_or_b64 exec, exec, s[2:3]
	v_cvt_pkrtz_f16_f32 v38, v53, v44
	v_cvt_pkrtz_f16_f32 v39, v43, v54
	v_cmp_ne_u16_sdwa s[8:9], v40, v52 src0_sel:BYTE_0 src1_sel:DWORD
	s_nop 0
	v_mfma_f32_16x16x16f16 v[58:61], v[38:39], v[26:27], 0
	v_cvt_pkrtz_f16_f32 v38, v45, v55
	v_cvt_pkrtz_f16_f32 v39, v42, v56
	s_nop 1
	v_mfma_f32_16x16x16f16 v[42:45], v[38:39], v[28:29], v[58:61]
	s_and_saveexec_b64 s[2:3], s[8:9]
	s_cbranch_execz .LBB585_163
; %bb.158:
	s_movk_i32 s8, 0x80
	v_cmp_ne_u16_sdwa s[10:11], v40, s8 src0_sel:BYTE_0 src1_sel:DWORD
	v_bfrev_b32_e32 v52, 1
	s_and_saveexec_b64 s[8:9], s[10:11]
	s_cbranch_execz .LBB585_162
; %bb.159:
	s_movk_i32 s10, 0x7f
	v_and_b32_e32 v38, 0x7f, v40
	v_cmp_ne_u32_e32 vcc, s10, v38
	v_mov_b32_e32 v52, 0x7f800001
	s_and_saveexec_b64 s[10:11], vcc
	s_cbranch_execz .LBB585_161
; %bb.160:
	v_and_b32_e32 v39, 7, v40
	v_ffbh_u32_e32 v52, v39
	v_min_u32_e32 v55, 32, v52
	v_subrev_u32_e32 v52, 28, v55
	v_lshlrev_b64 v[52:53], v52, v[40:41]
	v_lshrrev_b32_e32 v54, 3, v38
	v_sub_u32_e32 v53, 29, v55
	v_and_b32_e32 v52, 7, v52
	v_cmp_gt_u32_e32 vcc, 8, v38
	v_cndmask_b32_e32 v38, v54, v53, vcc
	v_cndmask_b32_e32 v39, v39, v52, vcc
	v_lshlrev_b32_e32 v52, 24, v40
	v_bfrev_b32_e32 v53, 60
	v_lshlrev_b32_e32 v39, 20, v39
	v_and_b32_e32 v52, 0x80000000, v52
	v_lshl_add_u32 v38, v38, 23, v53
	v_or3_b32 v52, v52, v38, v39
.LBB585_161:
	s_or_b64 exec, exec, s[10:11]
.LBB585_162:
	s_or_b64 exec, exec, s[8:9]
.LBB585_163:
	s_or_b64 exec, exec, s[2:3]
	v_lshrrev_b16_e32 v38, 8, v40
	v_cmp_ne_u16_e32 vcc, 0, v38
	v_mov_b32_e32 v39, 0
	v_mov_b32_e32 v54, 0
	s_and_saveexec_b64 s[2:3], vcc
	s_cbranch_execz .LBB585_169
; %bb.164:
	s_movk_i32 s8, 0x80
	v_cmp_ne_u16_e32 vcc, s8, v38
	v_bfrev_b32_e32 v54, 1
	s_and_saveexec_b64 s[8:9], vcc
	s_cbranch_execz .LBB585_168
; %bb.165:
	s_movk_i32 s10, 0x7f
	v_and_b32_e32 v53, 0x7f, v38
	v_cmp_ne_u32_e32 vcc, s10, v53
	v_mov_b32_e32 v54, 0x7f800001
	s_and_saveexec_b64 s[10:11], vcc
	s_cbranch_execz .LBB585_167
; %bb.166:
	v_and_b32_e32 v56, 7, v38
	v_ffbh_u32_e32 v54, v56
	v_min_u32_e32 v58, 32, v54
	v_subrev_u32_e32 v54, 28, v58
	v_lshlrev_b64 v[54:55], v54, v[38:39]
	v_lshrrev_b32_e32 v57, 3, v53
	v_sub_u32_e32 v38, 29, v58
	v_and_b32_e32 v54, 7, v54
	v_cmp_gt_u32_e32 vcc, 8, v53
	v_cndmask_b32_e32 v38, v57, v38, vcc
	v_cndmask_b32_e32 v53, v56, v54, vcc
	v_lshlrev_b32_e32 v54, 16, v40
	v_bfrev_b32_e32 v55, 60
	v_lshlrev_b32_e32 v53, 20, v53
	v_and_b32_e32 v54, 0x80000000, v54
	v_lshl_add_u32 v38, v38, 23, v55
	v_or3_b32 v54, v54, v38, v53
.LBB585_167:
	s_or_b64 exec, exec, s[10:11]
.LBB585_168:
	s_or_b64 exec, exec, s[8:9]
.LBB585_169:
	s_or_b64 exec, exec, s[2:3]
	s_movk_i32 s2, 0xff
	v_and_b32_sdwa v53, v40, s2 dst_sel:DWORD dst_unused:UNUSED_PAD src0_sel:WORD_1 src1_sel:DWORD
	v_lshrrev_b32_e32 v38, 16, v40
	v_cmp_ne_u16_e32 vcc, 0, v53
	s_and_saveexec_b64 s[2:3], vcc
	s_cbranch_execz .LBB585_175
; %bb.170:
	s_movk_i32 s8, 0x80
	v_cmp_ne_u16_e32 vcc, s8, v53
	v_bfrev_b32_e32 v39, 1
	s_and_saveexec_b64 s[8:9], vcc
	s_cbranch_execz .LBB585_174
; %bb.171:
	v_bfe_u32 v53, v40, 16, 7
	s_movk_i32 s10, 0x7f
	v_cmp_ne_u32_e32 vcc, s10, v53
	v_mov_b32_e32 v39, 0x7f800001
	s_and_saveexec_b64 s[10:11], vcc
	s_cbranch_execz .LBB585_173
; %bb.172:
	v_and_b32_e32 v55, 7, v38
	v_ffbh_u32_e32 v39, v55
	v_min_u32_e32 v57, 32, v39
	v_subrev_u32_e32 v39, 28, v57
	v_lshlrev_b64 v[38:39], v39, v[38:39]
	v_lshrrev_b32_e32 v56, 3, v53
	v_sub_u32_e32 v39, 29, v57
	v_and_b32_e32 v38, 7, v38
	v_cmp_gt_u32_e32 vcc, 8, v53
	v_mov_b32_e32 v53, 24
	v_cndmask_b32_e32 v39, v56, v39, vcc
	v_cndmask_b32_e32 v38, v55, v38, vcc
	v_lshlrev_b32_sdwa v53, v53, v40 dst_sel:DWORD dst_unused:UNUSED_PAD src0_sel:DWORD src1_sel:WORD_1
	v_bfrev_b32_e32 v55, 60
	v_lshlrev_b32_e32 v38, 20, v38
	v_and_b32_e32 v53, 0x80000000, v53
	v_lshl_add_u32 v39, v39, 23, v55
	v_or3_b32 v39, v53, v39, v38
.LBB585_173:
	s_or_b64 exec, exec, s[10:11]
.LBB585_174:
	s_or_b64 exec, exec, s[8:9]
.LBB585_175:
	s_or_b64 exec, exec, s[2:3]
	s_mov_b32 s2, 0xffffff
	v_cmp_lt_u32_e32 vcc, s2, v40
	v_mov_b32_e32 v55, 0
	v_mov_b32_e32 v56, 0
	s_and_saveexec_b64 s[2:3], vcc
	s_cbranch_execz .LBB585_181
; %bb.176:
	v_lshrrev_b32_e32 v38, 24, v40
	s_movk_i32 s8, 0x80
	v_cmp_ne_u32_e32 vcc, s8, v38
	v_bfrev_b32_e32 v56, 1
	s_and_saveexec_b64 s[8:9], vcc
	s_cbranch_execz .LBB585_180
; %bb.177:
	v_bfe_u32 v40, v40, 24, 7
	s_movk_i32 s10, 0x7f
	v_cmp_ne_u32_e32 vcc, s10, v40
	v_mov_b32_e32 v56, 0x7f800001
	s_and_saveexec_b64 s[10:11], vcc
	s_cbranch_execz .LBB585_179
; %bb.178:
	v_and_b32_e32 v53, 7, v38
	v_ffbh_u32_e32 v56, v53
	v_min_u32_e32 v59, 32, v56
	v_subrev_u32_e32 v56, 28, v59
	v_lshlrev_b64 v[56:57], v56, v[38:39]
	v_lshrrev_b32_e32 v58, 3, v40
	v_sub_u32_e32 v57, 29, v59
	v_and_b32_e32 v56, 7, v56
	v_cmp_gt_u32_e32 vcc, 8, v40
	v_cndmask_b32_e32 v40, v58, v57, vcc
	v_cndmask_b32_e32 v53, v53, v56, vcc
	v_lshlrev_b32_e32 v38, 24, v38
	v_bfrev_b32_e32 v56, 60
	v_lshlrev_b32_e32 v53, 20, v53
	v_and_b32_e32 v38, 0x80000000, v38
	v_lshl_add_u32 v40, v40, 23, v56
	v_or3_b32 v56, v38, v40, v53
.LBB585_179:
	s_or_b64 exec, exec, s[10:11]
.LBB585_180:
	s_or_b64 exec, exec, s[8:9]
.LBB585_181:
	s_or_b64 exec, exec, s[2:3]
	v_cmp_ne_u16_sdwa s[8:9], v41, v55 src0_sel:BYTE_0 src1_sel:DWORD
	s_and_saveexec_b64 s[2:3], s[8:9]
	s_cbranch_execz .LBB585_187
; %bb.182:
	s_movk_i32 s8, 0x80
	v_cmp_ne_u16_sdwa s[10:11], v41, s8 src0_sel:BYTE_0 src1_sel:DWORD
	v_bfrev_b32_e32 v55, 1
	s_and_saveexec_b64 s[8:9], s[10:11]
	s_cbranch_execz .LBB585_186
; %bb.183:
	s_movk_i32 s10, 0x7f
	v_and_b32_e32 v38, 0x7f, v41
	v_cmp_ne_u32_e32 vcc, s10, v38
	v_mov_b32_e32 v55, 0x7f800001
	s_and_saveexec_b64 s[10:11], vcc
	s_cbranch_execz .LBB585_185
; %bb.184:
	v_and_b32_e32 v53, 7, v41
	v_ffbh_u32_e32 v57, v53
	v_min_u32_e32 v57, 32, v57
	v_mov_b32_e32 v40, v41
	v_subrev_u32_e32 v58, 28, v57
	v_lshlrev_b64 v[58:59], v58, v[40:41]
	v_lshrrev_b32_e32 v55, 3, v38
	v_sub_u32_e32 v40, 29, v57
	v_and_b32_e32 v57, 7, v58
	v_cmp_gt_u32_e32 vcc, 8, v38
	v_cndmask_b32_e32 v38, v55, v40, vcc
	v_cndmask_b32_e32 v40, v53, v57, vcc
	v_lshlrev_b32_e32 v53, 24, v41
	v_bfrev_b32_e32 v55, 60
	v_lshlrev_b32_e32 v40, 20, v40
	v_and_b32_e32 v53, 0x80000000, v53
	v_lshl_add_u32 v38, v38, 23, v55
	v_or3_b32 v55, v53, v38, v40
.LBB585_185:
	s_or_b64 exec, exec, s[10:11]
.LBB585_186:
	s_or_b64 exec, exec, s[8:9]
.LBB585_187:
	s_or_b64 exec, exec, s[2:3]
	v_lshrrev_b16_e32 v38, 8, v41
	v_cmp_ne_u16_e32 vcc, 0, v38
	v_mov_b32_e32 v40, 0
	v_mov_b32_e32 v57, 0
	s_and_saveexec_b64 s[2:3], vcc
	s_cbranch_execz .LBB585_193
; %bb.188:
	s_movk_i32 s8, 0x80
	v_cmp_ne_u16_e32 vcc, s8, v38
	v_bfrev_b32_e32 v57, 1
	s_and_saveexec_b64 s[8:9], vcc
	s_cbranch_execz .LBB585_192
; %bb.189:
	s_movk_i32 s10, 0x7f
	v_and_b32_e32 v53, 0x7f, v38
	v_cmp_ne_u32_e32 vcc, s10, v53
	v_mov_b32_e32 v57, 0x7f800001
	s_and_saveexec_b64 s[10:11], vcc
	s_cbranch_execz .LBB585_191
; %bb.190:
	v_and_b32_e32 v57, 7, v38
	v_ffbh_u32_e32 v58, v57
	v_min_u32_e32 v61, 32, v58
	v_subrev_u32_e32 v58, 28, v61
	v_lshlrev_b64 v[58:59], v58, v[38:39]
	v_lshrrev_b32_e32 v60, 3, v53
	v_sub_u32_e32 v38, 29, v61
	v_and_b32_e32 v58, 7, v58
	v_cmp_gt_u32_e32 vcc, 8, v53
	v_cndmask_b32_e32 v38, v60, v38, vcc
	v_cndmask_b32_e32 v53, v57, v58, vcc
	v_lshlrev_b32_e32 v57, 16, v41
	v_bfrev_b32_e32 v58, 60
	v_lshlrev_b32_e32 v53, 20, v53
	v_and_b32_e32 v57, 0x80000000, v57
	v_lshl_add_u32 v38, v38, 23, v58
	v_or3_b32 v57, v57, v38, v53
.LBB585_191:
	s_or_b64 exec, exec, s[10:11]
.LBB585_192:
	s_or_b64 exec, exec, s[8:9]
.LBB585_193:
	s_or_b64 exec, exec, s[2:3]
	s_movk_i32 s2, 0xff
	v_and_b32_sdwa v53, v41, s2 dst_sel:DWORD dst_unused:UNUSED_PAD src0_sel:WORD_1 src1_sel:DWORD
	v_lshrrev_b32_e32 v38, 16, v41
	v_cmp_ne_u16_e32 vcc, 0, v53
	s_and_saveexec_b64 s[2:3], vcc
	s_cbranch_execz .LBB585_199
; %bb.194:
	s_movk_i32 s8, 0x80
	v_cmp_ne_u16_e32 vcc, s8, v53
	v_bfrev_b32_e32 v40, 1
	s_and_saveexec_b64 s[8:9], vcc
	s_cbranch_execz .LBB585_198
; %bb.195:
	v_bfe_u32 v53, v41, 16, 7
	s_movk_i32 s10, 0x7f
	v_cmp_ne_u32_e32 vcc, s10, v53
	v_mov_b32_e32 v40, 0x7f800001
	s_and_saveexec_b64 s[10:11], vcc
	s_cbranch_execz .LBB585_197
; %bb.196:
	v_and_b32_e32 v40, 7, v38
	v_ffbh_u32_e32 v58, v40
	v_min_u32_e32 v61, 32, v58
	v_subrev_u32_e32 v58, 28, v61
	v_lshlrev_b64 v[58:59], v58, v[38:39]
	v_lshrrev_b32_e32 v60, 3, v53
	v_sub_u32_e32 v38, 29, v61
	v_and_b32_e32 v58, 7, v58
	v_cmp_gt_u32_e32 vcc, 8, v53
	v_mov_b32_e32 v53, 24
	v_cndmask_b32_e32 v38, v60, v38, vcc
	v_cndmask_b32_e32 v40, v40, v58, vcc
	v_lshlrev_b32_sdwa v53, v53, v41 dst_sel:DWORD dst_unused:UNUSED_PAD src0_sel:DWORD src1_sel:WORD_1
	v_bfrev_b32_e32 v58, 60
	v_lshlrev_b32_e32 v40, 20, v40
	v_and_b32_e32 v53, 0x80000000, v53
	v_lshl_add_u32 v38, v38, 23, v58
	v_or3_b32 v40, v53, v38, v40
.LBB585_197:
	s_or_b64 exec, exec, s[10:11]
.LBB585_198:
	s_or_b64 exec, exec, s[8:9]
.LBB585_199:
	s_or_b64 exec, exec, s[2:3]
	s_mov_b32 s2, 0xffffff
	v_cmp_lt_u32_e32 vcc, s2, v41
	v_mov_b32_e32 v53, 0
	v_mov_b32_e32 v58, 0
	s_and_saveexec_b64 s[2:3], vcc
	s_cbranch_execz .LBB585_205
; %bb.200:
	v_lshrrev_b32_e32 v38, 24, v41
	s_movk_i32 s8, 0x80
	v_cmp_ne_u32_e32 vcc, s8, v38
	v_bfrev_b32_e32 v58, 1
	s_and_saveexec_b64 s[8:9], vcc
	s_cbranch_execz .LBB585_204
; %bb.201:
	v_bfe_u32 v41, v41, 24, 7
	s_movk_i32 s10, 0x7f
	v_cmp_ne_u32_e32 vcc, s10, v41
	v_mov_b32_e32 v58, 0x7f800001
	s_and_saveexec_b64 s[10:11], vcc
	s_cbranch_execz .LBB585_203
; %bb.202:
	v_and_b32_e32 v60, 7, v38
	v_ffbh_u32_e32 v58, v60
	v_min_u32_e32 v62, 32, v58
	v_subrev_u32_e32 v58, 28, v62
	v_lshlrev_b64 v[58:59], v58, v[38:39]
	v_lshrrev_b32_e32 v61, 3, v41
	v_sub_u32_e32 v59, 29, v62
	v_and_b32_e32 v58, 7, v58
	v_cmp_gt_u32_e32 vcc, 8, v41
	v_cndmask_b32_e32 v41, v61, v59, vcc
	v_cndmask_b32_e32 v58, v60, v58, vcc
	v_lshlrev_b32_e32 v38, 24, v38
	v_bfrev_b32_e32 v59, 60
	v_lshlrev_b32_e32 v58, 20, v58
	v_and_b32_e32 v38, 0x80000000, v38
	v_lshl_add_u32 v41, v41, 23, v59
	v_or3_b32 v58, v38, v41, v58
.LBB585_203:
	s_or_b64 exec, exec, s[10:11]
.LBB585_204:
	s_or_b64 exec, exec, s[8:9]
.LBB585_205:
	s_or_b64 exec, exec, s[2:3]
	v_cvt_pkrtz_f16_f32 v38, v52, v54
	v_cvt_pkrtz_f16_f32 v39, v39, v56
	v_cmp_ne_u16_sdwa s[8:9], v30, v53 src0_sel:BYTE_0 src1_sel:DWORD
	s_nop 0
	v_mfma_f32_16x16x16f16 v[42:45], v[38:39], v[18:19], v[42:45]
	v_cvt_pkrtz_f16_f32 v38, v55, v57
	v_cvt_pkrtz_f16_f32 v39, v40, v58
	s_nop 1
	v_mfma_f32_16x16x16f16 v[38:41], v[38:39], v[20:21], v[42:45]
	s_and_saveexec_b64 s[2:3], s[8:9]
	s_cbranch_execz .LBB585_211
; %bb.206:
	s_movk_i32 s8, 0x80
	v_cmp_ne_u16_sdwa s[10:11], v30, s8 src0_sel:BYTE_0 src1_sel:DWORD
	v_bfrev_b32_e32 v53, 1
	s_and_saveexec_b64 s[8:9], s[10:11]
	s_cbranch_execz .LBB585_210
; %bb.207:
	s_movk_i32 s10, 0x7f
	v_and_b32_e32 v42, 0x7f, v30
	v_cmp_ne_u32_e32 vcc, s10, v42
	v_mov_b32_e32 v53, 0x7f800001
	s_and_saveexec_b64 s[10:11], vcc
	s_cbranch_execz .LBB585_209
; %bb.208:
	v_and_b32_e32 v43, 7, v30
	v_ffbh_u32_e32 v44, v43
	v_min_u32_e32 v53, 32, v44
	v_subrev_u32_e32 v44, 28, v53
	v_lshlrev_b64 v[44:45], v44, v[30:31]
	v_lshrrev_b32_e32 v52, 3, v42
	v_sub_u32_e32 v45, 29, v53
	v_and_b32_e32 v44, 7, v44
	v_cmp_gt_u32_e32 vcc, 8, v42
	v_cndmask_b32_e32 v42, v52, v45, vcc
	v_cndmask_b32_e32 v43, v43, v44, vcc
	v_lshlrev_b32_e32 v44, 24, v30
	v_bfrev_b32_e32 v45, 60
	v_lshlrev_b32_e32 v43, 20, v43
	v_and_b32_e32 v44, 0x80000000, v44
	v_lshl_add_u32 v42, v42, 23, v45
	v_or3_b32 v53, v44, v42, v43
.LBB585_209:
	s_or_b64 exec, exec, s[10:11]
.LBB585_210:
	s_or_b64 exec, exec, s[8:9]
.LBB585_211:
	s_or_b64 exec, exec, s[2:3]
	s_nop 3
	v_lshrrev_b16_e32 v42, 8, v30
	v_cmp_ne_u16_e32 vcc, 0, v42
	v_mov_b32_e32 v43, 0
	v_mov_b32_e32 v44, 0
	s_and_saveexec_b64 s[2:3], vcc
	s_cbranch_execz .LBB585_217
; %bb.212:
	s_movk_i32 s8, 0x80
	v_cmp_ne_u16_e32 vcc, s8, v42
	v_bfrev_b32_e32 v44, 1
	s_and_saveexec_b64 s[8:9], vcc
	s_cbranch_execz .LBB585_216
; %bb.213:
	s_movk_i32 s10, 0x7f
	v_and_b32_e32 v45, 0x7f, v42
	v_cmp_ne_u32_e32 vcc, s10, v45
	v_mov_b32_e32 v44, 0x7f800001
	s_and_saveexec_b64 s[10:11], vcc
	s_cbranch_execz .LBB585_215
; %bb.214:
	v_and_b32_e32 v44, 7, v42
	v_ffbh_u32_e32 v54, v44
	v_min_u32_e32 v56, 32, v54
	v_subrev_u32_e32 v54, 28, v56
	v_lshlrev_b64 v[54:55], v54, v[42:43]
	v_lshrrev_b32_e32 v52, 3, v45
	v_sub_u32_e32 v42, 29, v56
	v_and_b32_e32 v54, 7, v54
	v_cmp_gt_u32_e32 vcc, 8, v45
	v_cndmask_b32_e32 v42, v52, v42, vcc
	v_cndmask_b32_e32 v44, v44, v54, vcc
	v_lshlrev_b32_e32 v45, 16, v30
	v_bfrev_b32_e32 v52, 60
	v_lshlrev_b32_e32 v44, 20, v44
	v_and_b32_e32 v45, 0x80000000, v45
	v_lshl_add_u32 v42, v42, 23, v52
	v_or3_b32 v44, v45, v42, v44
.LBB585_215:
	s_or_b64 exec, exec, s[10:11]
.LBB585_216:
	s_or_b64 exec, exec, s[8:9]
.LBB585_217:
	s_or_b64 exec, exec, s[2:3]
	s_movk_i32 s2, 0xff
	v_and_b32_sdwa v45, v30, s2 dst_sel:DWORD dst_unused:UNUSED_PAD src0_sel:WORD_1 src1_sel:DWORD
	v_lshrrev_b32_e32 v42, 16, v30
	v_cmp_ne_u16_e32 vcc, 0, v45
	s_and_saveexec_b64 s[2:3], vcc
	s_cbranch_execz .LBB585_223
; %bb.218:
	s_movk_i32 s8, 0x80
	v_cmp_ne_u16_e32 vcc, s8, v45
	v_bfrev_b32_e32 v43, 1
	s_and_saveexec_b64 s[8:9], vcc
	s_cbranch_execz .LBB585_222
; %bb.219:
	v_bfe_u32 v45, v30, 16, 7
	s_movk_i32 s10, 0x7f
	v_cmp_ne_u32_e32 vcc, s10, v45
	v_mov_b32_e32 v43, 0x7f800001
	s_and_saveexec_b64 s[10:11], vcc
	s_cbranch_execz .LBB585_221
; %bb.220:
	v_and_b32_e32 v52, 7, v42
	v_ffbh_u32_e32 v43, v52
	v_min_u32_e32 v55, 32, v43
	v_subrev_u32_e32 v43, 28, v55
	v_lshlrev_b64 v[42:43], v43, v[42:43]
	v_lshrrev_b32_e32 v54, 3, v45
	v_sub_u32_e32 v43, 29, v55
	v_and_b32_e32 v42, 7, v42
	v_cmp_gt_u32_e32 vcc, 8, v45
	v_mov_b32_e32 v45, 24
	v_cndmask_b32_e32 v43, v54, v43, vcc
	v_cndmask_b32_e32 v42, v52, v42, vcc
	v_lshlrev_b32_sdwa v45, v45, v30 dst_sel:DWORD dst_unused:UNUSED_PAD src0_sel:DWORD src1_sel:WORD_1
	v_bfrev_b32_e32 v52, 60
	v_lshlrev_b32_e32 v42, 20, v42
	v_and_b32_e32 v45, 0x80000000, v45
	v_lshl_add_u32 v43, v43, 23, v52
	v_or3_b32 v43, v45, v43, v42
.LBB585_221:
	s_or_b64 exec, exec, s[10:11]
.LBB585_222:
	s_or_b64 exec, exec, s[8:9]
.LBB585_223:
	s_or_b64 exec, exec, s[2:3]
	s_mov_b32 s2, 0xffffff
	v_cmp_lt_u32_e32 vcc, s2, v30
	v_mov_b32_e32 v45, 0
	v_mov_b32_e32 v54, 0
	s_and_saveexec_b64 s[2:3], vcc
	s_cbranch_execz .LBB585_229
; %bb.224:
	v_lshrrev_b32_e32 v42, 24, v30
	s_movk_i32 s8, 0x80
	v_cmp_ne_u32_e32 vcc, s8, v42
	v_bfrev_b32_e32 v54, 1
	s_and_saveexec_b64 s[8:9], vcc
	s_cbranch_execz .LBB585_228
; %bb.225:
	v_bfe_u32 v30, v30, 24, 7
	s_movk_i32 s10, 0x7f
	v_cmp_ne_u32_e32 vcc, s10, v30
	v_mov_b32_e32 v54, 0x7f800001
	s_and_saveexec_b64 s[10:11], vcc
	s_cbranch_execz .LBB585_227
; %bb.226:
	v_and_b32_e32 v52, 7, v42
	v_ffbh_u32_e32 v54, v52
	v_min_u32_e32 v57, 32, v54
	v_subrev_u32_e32 v54, 28, v57
	v_lshlrev_b64 v[54:55], v54, v[42:43]
	v_lshrrev_b32_e32 v56, 3, v30
	v_sub_u32_e32 v55, 29, v57
	v_and_b32_e32 v54, 7, v54
	v_cmp_gt_u32_e32 vcc, 8, v30
	v_cndmask_b32_e32 v30, v56, v55, vcc
	v_cndmask_b32_e32 v52, v52, v54, vcc
	v_lshlrev_b32_e32 v42, 24, v42
	v_bfrev_b32_e32 v54, 60
	v_lshlrev_b32_e32 v52, 20, v52
	v_and_b32_e32 v42, 0x80000000, v42
	v_lshl_add_u32 v30, v30, 23, v54
	v_or3_b32 v54, v42, v30, v52
.LBB585_227:
	s_or_b64 exec, exec, s[10:11]
.LBB585_228:
	s_or_b64 exec, exec, s[8:9]
.LBB585_229:
	s_or_b64 exec, exec, s[2:3]
	v_cmp_ne_u16_sdwa s[8:9], v31, v45 src0_sel:BYTE_0 src1_sel:DWORD
	s_and_saveexec_b64 s[2:3], s[8:9]
	s_cbranch_execz .LBB585_235
; %bb.230:
	s_movk_i32 s8, 0x80
	v_cmp_ne_u16_sdwa s[10:11], v31, s8 src0_sel:BYTE_0 src1_sel:DWORD
	v_bfrev_b32_e32 v45, 1
	s_and_saveexec_b64 s[8:9], s[10:11]
	s_cbranch_execz .LBB585_234
; %bb.231:
	s_movk_i32 s10, 0x7f
	v_and_b32_e32 v30, 0x7f, v31
	v_cmp_ne_u32_e32 vcc, s10, v30
	v_mov_b32_e32 v45, 0x7f800001
	s_and_saveexec_b64 s[10:11], vcc
	s_cbranch_execz .LBB585_233
; %bb.232:
	v_and_b32_e32 v45, 7, v31
	v_ffbh_u32_e32 v55, v45
	v_min_u32_e32 v55, 32, v55
	v_mov_b32_e32 v42, v31
	v_subrev_u32_e32 v56, 28, v55
	v_lshlrev_b64 v[56:57], v56, v[42:43]
	v_lshrrev_b32_e32 v52, 3, v30
	v_sub_u32_e32 v42, 29, v55
	v_and_b32_e32 v55, 7, v56
	v_cmp_gt_u32_e32 vcc, 8, v30
	v_cndmask_b32_e32 v30, v52, v42, vcc
	v_cndmask_b32_e32 v42, v45, v55, vcc
	v_lshlrev_b32_e32 v45, 24, v31
	v_bfrev_b32_e32 v52, 60
	v_lshlrev_b32_e32 v42, 20, v42
	v_and_b32_e32 v45, 0x80000000, v45
	v_lshl_add_u32 v30, v30, 23, v52
	v_or3_b32 v45, v45, v30, v42
.LBB585_233:
	s_or_b64 exec, exec, s[10:11]
.LBB585_234:
	s_or_b64 exec, exec, s[8:9]
.LBB585_235:
	s_or_b64 exec, exec, s[2:3]
	v_lshrrev_b16_e32 v30, 8, v31
	v_cmp_ne_u16_e32 vcc, 0, v30
	v_mov_b32_e32 v42, 0
	v_mov_b32_e32 v55, 0
	s_and_saveexec_b64 s[2:3], vcc
	s_cbranch_execz .LBB585_241
; %bb.236:
	s_movk_i32 s8, 0x80
	v_cmp_ne_u16_e32 vcc, s8, v30
	v_bfrev_b32_e32 v55, 1
	s_and_saveexec_b64 s[8:9], vcc
	s_cbranch_execz .LBB585_240
; %bb.237:
	s_movk_i32 s10, 0x7f
	v_and_b32_e32 v52, 0x7f, v30
	v_cmp_ne_u32_e32 vcc, s10, v52
	v_mov_b32_e32 v55, 0x7f800001
	s_and_saveexec_b64 s[10:11], vcc
	s_cbranch_execz .LBB585_239
; %bb.238:
	v_and_b32_e32 v55, 7, v30
	v_ffbh_u32_e32 v56, v55
	v_min_u32_e32 v59, 32, v56
	v_subrev_u32_e32 v56, 28, v59
	v_lshlrev_b64 v[56:57], v56, v[30:31]
	v_lshrrev_b32_e32 v58, 3, v52
	v_sub_u32_e32 v30, 29, v59
	v_and_b32_e32 v56, 7, v56
	v_cmp_gt_u32_e32 vcc, 8, v52
	v_cndmask_b32_e32 v30, v58, v30, vcc
	v_cndmask_b32_e32 v52, v55, v56, vcc
	v_lshlrev_b32_e32 v55, 16, v31
	v_bfrev_b32_e32 v56, 60
	v_lshlrev_b32_e32 v52, 20, v52
	v_and_b32_e32 v55, 0x80000000, v55
	v_lshl_add_u32 v30, v30, 23, v56
	v_or3_b32 v55, v55, v30, v52
.LBB585_239:
	s_or_b64 exec, exec, s[10:11]
.LBB585_240:
	s_or_b64 exec, exec, s[8:9]
.LBB585_241:
	s_or_b64 exec, exec, s[2:3]
	s_movk_i32 s2, 0xff
	v_and_b32_sdwa v52, v31, s2 dst_sel:DWORD dst_unused:UNUSED_PAD src0_sel:WORD_1 src1_sel:DWORD
	v_lshrrev_b32_e32 v30, 16, v31
	v_cmp_ne_u16_e32 vcc, 0, v52
	s_and_saveexec_b64 s[2:3], vcc
	s_cbranch_execz .LBB585_247
; %bb.242:
	s_movk_i32 s8, 0x80
	v_cmp_ne_u16_e32 vcc, s8, v52
	v_bfrev_b32_e32 v42, 1
	s_and_saveexec_b64 s[8:9], vcc
	s_cbranch_execz .LBB585_246
; %bb.243:
	v_bfe_u32 v52, v31, 16, 7
	s_movk_i32 s10, 0x7f
	v_cmp_ne_u32_e32 vcc, s10, v52
	v_mov_b32_e32 v42, 0x7f800001
	s_and_saveexec_b64 s[10:11], vcc
	s_cbranch_execz .LBB585_245
; %bb.244:
	v_and_b32_e32 v42, 7, v30
	v_ffbh_u32_e32 v56, v42
	v_min_u32_e32 v59, 32, v56
	v_subrev_u32_e32 v56, 28, v59
	v_lshlrev_b64 v[56:57], v56, v[30:31]
	v_lshrrev_b32_e32 v58, 3, v52
	v_sub_u32_e32 v30, 29, v59
	v_and_b32_e32 v56, 7, v56
	v_cmp_gt_u32_e32 vcc, 8, v52
	v_mov_b32_e32 v52, 24
	v_cndmask_b32_e32 v30, v58, v30, vcc
	v_cndmask_b32_e32 v42, v42, v56, vcc
	v_lshlrev_b32_sdwa v52, v52, v31 dst_sel:DWORD dst_unused:UNUSED_PAD src0_sel:DWORD src1_sel:WORD_1
	v_bfrev_b32_e32 v56, 60
	v_lshlrev_b32_e32 v42, 20, v42
	v_and_b32_e32 v52, 0x80000000, v52
	v_lshl_add_u32 v30, v30, 23, v56
	v_or3_b32 v42, v52, v30, v42
.LBB585_245:
	s_or_b64 exec, exec, s[10:11]
.LBB585_246:
	s_or_b64 exec, exec, s[8:9]
.LBB585_247:
	s_or_b64 exec, exec, s[2:3]
	s_mov_b32 s2, 0xffffff
	v_cmp_lt_u32_e32 vcc, s2, v31
	v_mov_b32_e32 v52, 0
	v_mov_b32_e32 v56, 0
	s_and_saveexec_b64 s[2:3], vcc
	s_cbranch_execz .LBB585_253
; %bb.248:
	v_lshrrev_b32_e32 v30, 24, v31
	s_movk_i32 s8, 0x80
	v_cmp_ne_u32_e32 vcc, s8, v30
	v_bfrev_b32_e32 v56, 1
	s_and_saveexec_b64 s[8:9], vcc
	s_cbranch_execz .LBB585_252
; %bb.249:
	v_bfe_u32 v31, v31, 24, 7
	s_movk_i32 s10, 0x7f
	v_cmp_ne_u32_e32 vcc, s10, v31
	v_mov_b32_e32 v56, 0x7f800001
	s_and_saveexec_b64 s[10:11], vcc
	s_cbranch_execz .LBB585_251
; %bb.250:
	v_and_b32_e32 v58, 7, v30
	v_ffbh_u32_e32 v56, v58
	v_min_u32_e32 v60, 32, v56
	v_subrev_u32_e32 v56, 28, v60
	v_lshlrev_b64 v[56:57], v56, v[30:31]
	v_lshrrev_b32_e32 v59, 3, v31
	v_sub_u32_e32 v57, 29, v60
	v_and_b32_e32 v56, 7, v56
	v_cmp_gt_u32_e32 vcc, 8, v31
	v_cndmask_b32_e32 v31, v59, v57, vcc
	v_cndmask_b32_e32 v56, v58, v56, vcc
	v_lshlrev_b32_e32 v30, 24, v30
	v_bfrev_b32_e32 v57, 60
	v_lshlrev_b32_e32 v56, 20, v56
	v_and_b32_e32 v30, 0x80000000, v30
	v_lshl_add_u32 v31, v31, 23, v57
	v_or3_b32 v56, v30, v31, v56
.LBB585_251:
	s_or_b64 exec, exec, s[10:11]
.LBB585_252:
	s_or_b64 exec, exec, s[8:9]
.LBB585_253:
	s_or_b64 exec, exec, s[2:3]
	v_cvt_pkrtz_f16_f32 v30, v53, v44
	v_cvt_pkrtz_f16_f32 v31, v43, v54
	v_cmp_ne_u16_sdwa s[8:9], v32, v52 src0_sel:BYTE_0 src1_sel:DWORD
	s_nop 0
	v_mfma_f32_16x16x16f16 v[58:61], v[30:31], v[26:27], 0
	v_cvt_pkrtz_f16_f32 v30, v45, v55
	v_cvt_pkrtz_f16_f32 v31, v42, v56
	s_nop 1
	v_mfma_f32_16x16x16f16 v[42:45], v[30:31], v[28:29], v[58:61]
	s_and_saveexec_b64 s[2:3], s[8:9]
	s_cbranch_execz .LBB585_259
; %bb.254:
	s_movk_i32 s8, 0x80
	v_cmp_ne_u16_sdwa s[10:11], v32, s8 src0_sel:BYTE_0 src1_sel:DWORD
	v_bfrev_b32_e32 v52, 1
	s_and_saveexec_b64 s[8:9], s[10:11]
	s_cbranch_execz .LBB585_258
; %bb.255:
	s_movk_i32 s10, 0x7f
	v_and_b32_e32 v30, 0x7f, v32
	v_cmp_ne_u32_e32 vcc, s10, v30
	v_mov_b32_e32 v52, 0x7f800001
	s_and_saveexec_b64 s[10:11], vcc
	s_cbranch_execz .LBB585_257
; %bb.256:
	v_and_b32_e32 v31, 7, v32
	v_ffbh_u32_e32 v52, v31
	v_min_u32_e32 v55, 32, v52
	v_subrev_u32_e32 v52, 28, v55
	v_lshlrev_b64 v[52:53], v52, v[32:33]
	v_lshrrev_b32_e32 v54, 3, v30
	v_sub_u32_e32 v53, 29, v55
	v_and_b32_e32 v52, 7, v52
	v_cmp_gt_u32_e32 vcc, 8, v30
	v_cndmask_b32_e32 v30, v54, v53, vcc
	v_cndmask_b32_e32 v31, v31, v52, vcc
	v_lshlrev_b32_e32 v52, 24, v32
	v_bfrev_b32_e32 v53, 60
	v_lshlrev_b32_e32 v31, 20, v31
	v_and_b32_e32 v52, 0x80000000, v52
	v_lshl_add_u32 v30, v30, 23, v53
	v_or3_b32 v52, v52, v30, v31
.LBB585_257:
	s_or_b64 exec, exec, s[10:11]
.LBB585_258:
	s_or_b64 exec, exec, s[8:9]
.LBB585_259:
	s_or_b64 exec, exec, s[2:3]
	v_lshrrev_b16_e32 v30, 8, v32
	v_cmp_ne_u16_e32 vcc, 0, v30
	v_mov_b32_e32 v31, 0
	v_mov_b32_e32 v54, 0
	s_and_saveexec_b64 s[2:3], vcc
	s_cbranch_execz .LBB585_265
; %bb.260:
	s_movk_i32 s8, 0x80
	v_cmp_ne_u16_e32 vcc, s8, v30
	v_bfrev_b32_e32 v54, 1
	s_and_saveexec_b64 s[8:9], vcc
	s_cbranch_execz .LBB585_264
; %bb.261:
	s_movk_i32 s10, 0x7f
	v_and_b32_e32 v53, 0x7f, v30
	v_cmp_ne_u32_e32 vcc, s10, v53
	v_mov_b32_e32 v54, 0x7f800001
	s_and_saveexec_b64 s[10:11], vcc
	s_cbranch_execz .LBB585_263
; %bb.262:
	v_and_b32_e32 v56, 7, v30
	v_ffbh_u32_e32 v54, v56
	v_min_u32_e32 v58, 32, v54
	v_subrev_u32_e32 v54, 28, v58
	v_lshlrev_b64 v[54:55], v54, v[30:31]
	v_lshrrev_b32_e32 v57, 3, v53
	v_sub_u32_e32 v30, 29, v58
	v_and_b32_e32 v54, 7, v54
	v_cmp_gt_u32_e32 vcc, 8, v53
	v_cndmask_b32_e32 v30, v57, v30, vcc
	v_cndmask_b32_e32 v53, v56, v54, vcc
	v_lshlrev_b32_e32 v54, 16, v32
	v_bfrev_b32_e32 v55, 60
	v_lshlrev_b32_e32 v53, 20, v53
	v_and_b32_e32 v54, 0x80000000, v54
	v_lshl_add_u32 v30, v30, 23, v55
	v_or3_b32 v54, v54, v30, v53
.LBB585_263:
	s_or_b64 exec, exec, s[10:11]
.LBB585_264:
	s_or_b64 exec, exec, s[8:9]
.LBB585_265:
	s_or_b64 exec, exec, s[2:3]
	s_movk_i32 s2, 0xff
	v_and_b32_sdwa v53, v32, s2 dst_sel:DWORD dst_unused:UNUSED_PAD src0_sel:WORD_1 src1_sel:DWORD
	v_lshrrev_b32_e32 v30, 16, v32
	v_cmp_ne_u16_e32 vcc, 0, v53
	s_and_saveexec_b64 s[2:3], vcc
	s_cbranch_execz .LBB585_271
; %bb.266:
	s_movk_i32 s8, 0x80
	v_cmp_ne_u16_e32 vcc, s8, v53
	v_bfrev_b32_e32 v31, 1
	s_and_saveexec_b64 s[8:9], vcc
	s_cbranch_execz .LBB585_270
; %bb.267:
	v_bfe_u32 v53, v32, 16, 7
	s_movk_i32 s10, 0x7f
	v_cmp_ne_u32_e32 vcc, s10, v53
	v_mov_b32_e32 v31, 0x7f800001
	s_and_saveexec_b64 s[10:11], vcc
	s_cbranch_execz .LBB585_269
; %bb.268:
	v_and_b32_e32 v55, 7, v30
	v_ffbh_u32_e32 v31, v55
	v_min_u32_e32 v57, 32, v31
	v_subrev_u32_e32 v31, 28, v57
	v_lshlrev_b64 v[30:31], v31, v[30:31]
	v_lshrrev_b32_e32 v56, 3, v53
	v_sub_u32_e32 v31, 29, v57
	v_and_b32_e32 v30, 7, v30
	v_cmp_gt_u32_e32 vcc, 8, v53
	v_mov_b32_e32 v53, 24
	v_cndmask_b32_e32 v31, v56, v31, vcc
	v_cndmask_b32_e32 v30, v55, v30, vcc
	v_lshlrev_b32_sdwa v53, v53, v32 dst_sel:DWORD dst_unused:UNUSED_PAD src0_sel:DWORD src1_sel:WORD_1
	v_bfrev_b32_e32 v55, 60
	v_lshlrev_b32_e32 v30, 20, v30
	v_and_b32_e32 v53, 0x80000000, v53
	v_lshl_add_u32 v31, v31, 23, v55
	v_or3_b32 v31, v53, v31, v30
.LBB585_269:
	s_or_b64 exec, exec, s[10:11]
.LBB585_270:
	s_or_b64 exec, exec, s[8:9]
.LBB585_271:
	s_or_b64 exec, exec, s[2:3]
	s_mov_b32 s2, 0xffffff
	v_cmp_lt_u32_e32 vcc, s2, v32
	v_mov_b32_e32 v55, 0
	v_mov_b32_e32 v56, 0
	s_and_saveexec_b64 s[2:3], vcc
	s_cbranch_execz .LBB585_277
; %bb.272:
	v_lshrrev_b32_e32 v30, 24, v32
	s_movk_i32 s8, 0x80
	v_cmp_ne_u32_e32 vcc, s8, v30
	v_bfrev_b32_e32 v56, 1
	s_and_saveexec_b64 s[8:9], vcc
	s_cbranch_execz .LBB585_276
; %bb.273:
	v_bfe_u32 v32, v32, 24, 7
	s_movk_i32 s10, 0x7f
	v_cmp_ne_u32_e32 vcc, s10, v32
	v_mov_b32_e32 v56, 0x7f800001
	s_and_saveexec_b64 s[10:11], vcc
	s_cbranch_execz .LBB585_275
; %bb.274:
	v_and_b32_e32 v53, 7, v30
	v_ffbh_u32_e32 v56, v53
	v_min_u32_e32 v59, 32, v56
	v_subrev_u32_e32 v56, 28, v59
	v_lshlrev_b64 v[56:57], v56, v[30:31]
	v_lshrrev_b32_e32 v58, 3, v32
	v_sub_u32_e32 v57, 29, v59
	v_and_b32_e32 v56, 7, v56
	v_cmp_gt_u32_e32 vcc, 8, v32
	v_cndmask_b32_e32 v32, v58, v57, vcc
	v_cndmask_b32_e32 v53, v53, v56, vcc
	v_lshlrev_b32_e32 v30, 24, v30
	v_bfrev_b32_e32 v56, 60
	v_lshlrev_b32_e32 v53, 20, v53
	v_and_b32_e32 v30, 0x80000000, v30
	v_lshl_add_u32 v32, v32, 23, v56
	v_or3_b32 v56, v30, v32, v53
.LBB585_275:
	s_or_b64 exec, exec, s[10:11]
.LBB585_276:
	s_or_b64 exec, exec, s[8:9]
.LBB585_277:
	s_or_b64 exec, exec, s[2:3]
	v_cmp_ne_u16_sdwa s[8:9], v33, v55 src0_sel:BYTE_0 src1_sel:DWORD
	s_and_saveexec_b64 s[2:3], s[8:9]
	s_cbranch_execz .LBB585_283
; %bb.278:
	s_movk_i32 s8, 0x80
	v_cmp_ne_u16_sdwa s[10:11], v33, s8 src0_sel:BYTE_0 src1_sel:DWORD
	v_bfrev_b32_e32 v55, 1
	s_and_saveexec_b64 s[8:9], s[10:11]
	s_cbranch_execz .LBB585_282
; %bb.279:
	s_movk_i32 s10, 0x7f
	v_and_b32_e32 v30, 0x7f, v33
	v_cmp_ne_u32_e32 vcc, s10, v30
	v_mov_b32_e32 v55, 0x7f800001
	s_and_saveexec_b64 s[10:11], vcc
	s_cbranch_execz .LBB585_281
; %bb.280:
	v_and_b32_e32 v53, 7, v33
	v_ffbh_u32_e32 v57, v53
	v_min_u32_e32 v57, 32, v57
	v_mov_b32_e32 v32, v33
	v_subrev_u32_e32 v58, 28, v57
	v_lshlrev_b64 v[58:59], v58, v[32:33]
	v_lshrrev_b32_e32 v55, 3, v30
	v_sub_u32_e32 v32, 29, v57
	v_and_b32_e32 v57, 7, v58
	v_cmp_gt_u32_e32 vcc, 8, v30
	v_cndmask_b32_e32 v30, v55, v32, vcc
	v_cndmask_b32_e32 v32, v53, v57, vcc
	v_lshlrev_b32_e32 v53, 24, v33
	v_bfrev_b32_e32 v55, 60
	v_lshlrev_b32_e32 v32, 20, v32
	v_and_b32_e32 v53, 0x80000000, v53
	v_lshl_add_u32 v30, v30, 23, v55
	v_or3_b32 v55, v53, v30, v32
.LBB585_281:
	s_or_b64 exec, exec, s[10:11]
.LBB585_282:
	s_or_b64 exec, exec, s[8:9]
.LBB585_283:
	s_or_b64 exec, exec, s[2:3]
	v_lshrrev_b16_e32 v30, 8, v33
	v_cmp_ne_u16_e32 vcc, 0, v30
	v_mov_b32_e32 v32, 0
	v_mov_b32_e32 v57, 0
	s_and_saveexec_b64 s[2:3], vcc
	s_cbranch_execz .LBB585_289
; %bb.284:
	s_movk_i32 s8, 0x80
	v_cmp_ne_u16_e32 vcc, s8, v30
	v_bfrev_b32_e32 v57, 1
	s_and_saveexec_b64 s[8:9], vcc
	s_cbranch_execz .LBB585_288
; %bb.285:
	s_movk_i32 s10, 0x7f
	v_and_b32_e32 v53, 0x7f, v30
	v_cmp_ne_u32_e32 vcc, s10, v53
	v_mov_b32_e32 v57, 0x7f800001
	s_and_saveexec_b64 s[10:11], vcc
	s_cbranch_execz .LBB585_287
; %bb.286:
	v_and_b32_e32 v57, 7, v30
	v_ffbh_u32_e32 v58, v57
	v_min_u32_e32 v61, 32, v58
	v_subrev_u32_e32 v58, 28, v61
	v_lshlrev_b64 v[58:59], v58, v[30:31]
	v_lshrrev_b32_e32 v60, 3, v53
	v_sub_u32_e32 v30, 29, v61
	v_and_b32_e32 v58, 7, v58
	v_cmp_gt_u32_e32 vcc, 8, v53
	v_cndmask_b32_e32 v30, v60, v30, vcc
	v_cndmask_b32_e32 v53, v57, v58, vcc
	v_lshlrev_b32_e32 v57, 16, v33
	v_bfrev_b32_e32 v58, 60
	v_lshlrev_b32_e32 v53, 20, v53
	v_and_b32_e32 v57, 0x80000000, v57
	v_lshl_add_u32 v30, v30, 23, v58
	v_or3_b32 v57, v57, v30, v53
.LBB585_287:
	s_or_b64 exec, exec, s[10:11]
.LBB585_288:
	s_or_b64 exec, exec, s[8:9]
.LBB585_289:
	s_or_b64 exec, exec, s[2:3]
	s_movk_i32 s2, 0xff
	v_and_b32_sdwa v53, v33, s2 dst_sel:DWORD dst_unused:UNUSED_PAD src0_sel:WORD_1 src1_sel:DWORD
	v_lshrrev_b32_e32 v30, 16, v33
	v_cmp_ne_u16_e32 vcc, 0, v53
	s_and_saveexec_b64 s[2:3], vcc
	s_cbranch_execz .LBB585_295
; %bb.290:
	s_movk_i32 s8, 0x80
	v_cmp_ne_u16_e32 vcc, s8, v53
	v_bfrev_b32_e32 v32, 1
	s_and_saveexec_b64 s[8:9], vcc
	s_cbranch_execz .LBB585_294
; %bb.291:
	v_bfe_u32 v53, v33, 16, 7
	s_movk_i32 s10, 0x7f
	v_cmp_ne_u32_e32 vcc, s10, v53
	v_mov_b32_e32 v32, 0x7f800001
	s_and_saveexec_b64 s[10:11], vcc
	s_cbranch_execz .LBB585_293
; %bb.292:
	v_and_b32_e32 v32, 7, v30
	v_ffbh_u32_e32 v58, v32
	v_min_u32_e32 v61, 32, v58
	v_subrev_u32_e32 v58, 28, v61
	v_lshlrev_b64 v[58:59], v58, v[30:31]
	v_lshrrev_b32_e32 v60, 3, v53
	v_sub_u32_e32 v30, 29, v61
	v_and_b32_e32 v58, 7, v58
	v_cmp_gt_u32_e32 vcc, 8, v53
	v_mov_b32_e32 v53, 24
	v_cndmask_b32_e32 v30, v60, v30, vcc
	v_cndmask_b32_e32 v32, v32, v58, vcc
	v_lshlrev_b32_sdwa v53, v53, v33 dst_sel:DWORD dst_unused:UNUSED_PAD src0_sel:DWORD src1_sel:WORD_1
	v_bfrev_b32_e32 v58, 60
	v_lshlrev_b32_e32 v32, 20, v32
	v_and_b32_e32 v53, 0x80000000, v53
	v_lshl_add_u32 v30, v30, 23, v58
	v_or3_b32 v32, v53, v30, v32
.LBB585_293:
	s_or_b64 exec, exec, s[10:11]
.LBB585_294:
	s_or_b64 exec, exec, s[8:9]
.LBB585_295:
	s_or_b64 exec, exec, s[2:3]
	s_mov_b32 s2, 0xffffff
	v_cmp_lt_u32_e32 vcc, s2, v33
	v_mov_b32_e32 v53, 0
	v_mov_b32_e32 v58, 0
	s_and_saveexec_b64 s[2:3], vcc
	s_cbranch_execz .LBB585_301
; %bb.296:
	v_lshrrev_b32_e32 v30, 24, v33
	s_movk_i32 s8, 0x80
	v_cmp_ne_u32_e32 vcc, s8, v30
	v_bfrev_b32_e32 v58, 1
	s_and_saveexec_b64 s[8:9], vcc
	s_cbranch_execz .LBB585_300
; %bb.297:
	v_bfe_u32 v33, v33, 24, 7
	s_movk_i32 s10, 0x7f
	v_cmp_ne_u32_e32 vcc, s10, v33
	v_mov_b32_e32 v58, 0x7f800001
	s_and_saveexec_b64 s[10:11], vcc
	s_cbranch_execz .LBB585_299
; %bb.298:
	v_and_b32_e32 v60, 7, v30
	v_ffbh_u32_e32 v58, v60
	v_min_u32_e32 v62, 32, v58
	v_subrev_u32_e32 v58, 28, v62
	v_lshlrev_b64 v[58:59], v58, v[30:31]
	v_lshrrev_b32_e32 v61, 3, v33
	v_sub_u32_e32 v59, 29, v62
	v_and_b32_e32 v58, 7, v58
	v_cmp_gt_u32_e32 vcc, 8, v33
	v_cndmask_b32_e32 v33, v61, v59, vcc
	v_cndmask_b32_e32 v58, v60, v58, vcc
	v_lshlrev_b32_e32 v30, 24, v30
	v_bfrev_b32_e32 v59, 60
	v_lshlrev_b32_e32 v58, 20, v58
	v_and_b32_e32 v30, 0x80000000, v30
	v_lshl_add_u32 v33, v33, 23, v59
	v_or3_b32 v58, v30, v33, v58
.LBB585_299:
	s_or_b64 exec, exec, s[10:11]
.LBB585_300:
	s_or_b64 exec, exec, s[8:9]
.LBB585_301:
	s_or_b64 exec, exec, s[2:3]
	v_cvt_pkrtz_f16_f32 v30, v52, v54
	v_cvt_pkrtz_f16_f32 v31, v31, v56
	v_cmp_ne_u16_sdwa s[8:9], v22, v53 src0_sel:BYTE_0 src1_sel:DWORD
	s_nop 0
	v_mfma_f32_16x16x16f16 v[42:45], v[30:31], v[18:19], v[42:45]
	v_cvt_pkrtz_f16_f32 v30, v55, v57
	v_cvt_pkrtz_f16_f32 v31, v32, v58
	s_nop 1
	v_mfma_f32_16x16x16f16 v[30:33], v[30:31], v[20:21], v[42:45]
	s_and_saveexec_b64 s[2:3], s[8:9]
	s_cbranch_execz .LBB585_307
; %bb.302:
	s_movk_i32 s8, 0x80
	v_cmp_ne_u16_sdwa s[10:11], v22, s8 src0_sel:BYTE_0 src1_sel:DWORD
	v_bfrev_b32_e32 v53, 1
	s_and_saveexec_b64 s[8:9], s[10:11]
	s_cbranch_execz .LBB585_306
; %bb.303:
	s_movk_i32 s10, 0x7f
	v_and_b32_e32 v42, 0x7f, v22
	v_cmp_ne_u32_e32 vcc, s10, v42
	v_mov_b32_e32 v53, 0x7f800001
	s_and_saveexec_b64 s[10:11], vcc
	s_cbranch_execz .LBB585_305
; %bb.304:
	v_and_b32_e32 v43, 7, v22
	v_ffbh_u32_e32 v44, v43
	v_min_u32_e32 v53, 32, v44
	v_subrev_u32_e32 v44, 28, v53
	v_lshlrev_b64 v[44:45], v44, v[22:23]
	v_lshrrev_b32_e32 v52, 3, v42
	v_sub_u32_e32 v45, 29, v53
	v_and_b32_e32 v44, 7, v44
	v_cmp_gt_u32_e32 vcc, 8, v42
	v_cndmask_b32_e32 v42, v52, v45, vcc
	v_cndmask_b32_e32 v43, v43, v44, vcc
	v_lshlrev_b32_e32 v44, 24, v22
	v_bfrev_b32_e32 v45, 60
	v_lshlrev_b32_e32 v43, 20, v43
	v_and_b32_e32 v44, 0x80000000, v44
	v_lshl_add_u32 v42, v42, 23, v45
	v_or3_b32 v53, v44, v42, v43
.LBB585_305:
	s_or_b64 exec, exec, s[10:11]
.LBB585_306:
	s_or_b64 exec, exec, s[8:9]
.LBB585_307:
	s_or_b64 exec, exec, s[2:3]
	s_nop 3
	v_lshrrev_b16_e32 v42, 8, v22
	v_cmp_ne_u16_e32 vcc, 0, v42
	v_mov_b32_e32 v43, 0
	v_mov_b32_e32 v44, 0
	s_and_saveexec_b64 s[2:3], vcc
	s_cbranch_execz .LBB585_313
; %bb.308:
	s_movk_i32 s8, 0x80
	v_cmp_ne_u16_e32 vcc, s8, v42
	v_bfrev_b32_e32 v44, 1
	s_and_saveexec_b64 s[8:9], vcc
	s_cbranch_execz .LBB585_312
; %bb.309:
	s_movk_i32 s10, 0x7f
	v_and_b32_e32 v45, 0x7f, v42
	v_cmp_ne_u32_e32 vcc, s10, v45
	v_mov_b32_e32 v44, 0x7f800001
	s_and_saveexec_b64 s[10:11], vcc
	s_cbranch_execz .LBB585_311
; %bb.310:
	v_and_b32_e32 v44, 7, v42
	v_ffbh_u32_e32 v54, v44
	v_min_u32_e32 v56, 32, v54
	v_subrev_u32_e32 v54, 28, v56
	v_lshlrev_b64 v[54:55], v54, v[42:43]
	v_lshrrev_b32_e32 v52, 3, v45
	v_sub_u32_e32 v42, 29, v56
	v_and_b32_e32 v54, 7, v54
	v_cmp_gt_u32_e32 vcc, 8, v45
	v_cndmask_b32_e32 v42, v52, v42, vcc
	v_cndmask_b32_e32 v44, v44, v54, vcc
	v_lshlrev_b32_e32 v45, 16, v22
	v_bfrev_b32_e32 v52, 60
	v_lshlrev_b32_e32 v44, 20, v44
	v_and_b32_e32 v45, 0x80000000, v45
	v_lshl_add_u32 v42, v42, 23, v52
	v_or3_b32 v44, v45, v42, v44
.LBB585_311:
	s_or_b64 exec, exec, s[10:11]
.LBB585_312:
	s_or_b64 exec, exec, s[8:9]
.LBB585_313:
	s_or_b64 exec, exec, s[2:3]
	s_movk_i32 s2, 0xff
	v_and_b32_sdwa v45, v22, s2 dst_sel:DWORD dst_unused:UNUSED_PAD src0_sel:WORD_1 src1_sel:DWORD
	v_lshrrev_b32_e32 v42, 16, v22
	v_cmp_ne_u16_e32 vcc, 0, v45
	s_and_saveexec_b64 s[2:3], vcc
	s_cbranch_execz .LBB585_319
; %bb.314:
	s_movk_i32 s8, 0x80
	v_cmp_ne_u16_e32 vcc, s8, v45
	v_bfrev_b32_e32 v43, 1
	s_and_saveexec_b64 s[8:9], vcc
	s_cbranch_execz .LBB585_318
; %bb.315:
	v_bfe_u32 v45, v22, 16, 7
	s_movk_i32 s10, 0x7f
	v_cmp_ne_u32_e32 vcc, s10, v45
	v_mov_b32_e32 v43, 0x7f800001
	s_and_saveexec_b64 s[10:11], vcc
	s_cbranch_execz .LBB585_317
; %bb.316:
	v_and_b32_e32 v52, 7, v42
	v_ffbh_u32_e32 v43, v52
	v_min_u32_e32 v55, 32, v43
	v_subrev_u32_e32 v43, 28, v55
	v_lshlrev_b64 v[42:43], v43, v[42:43]
	v_lshrrev_b32_e32 v54, 3, v45
	v_sub_u32_e32 v43, 29, v55
	v_and_b32_e32 v42, 7, v42
	v_cmp_gt_u32_e32 vcc, 8, v45
	v_mov_b32_e32 v45, 24
	v_cndmask_b32_e32 v43, v54, v43, vcc
	v_cndmask_b32_e32 v42, v52, v42, vcc
	v_lshlrev_b32_sdwa v45, v45, v22 dst_sel:DWORD dst_unused:UNUSED_PAD src0_sel:DWORD src1_sel:WORD_1
	v_bfrev_b32_e32 v52, 60
	v_lshlrev_b32_e32 v42, 20, v42
	v_and_b32_e32 v45, 0x80000000, v45
	v_lshl_add_u32 v43, v43, 23, v52
	v_or3_b32 v43, v45, v43, v42
.LBB585_317:
	s_or_b64 exec, exec, s[10:11]
.LBB585_318:
	s_or_b64 exec, exec, s[8:9]
.LBB585_319:
	s_or_b64 exec, exec, s[2:3]
	s_mov_b32 s2, 0xffffff
	v_cmp_lt_u32_e32 vcc, s2, v22
	v_mov_b32_e32 v45, 0
	v_mov_b32_e32 v52, 0
	s_and_saveexec_b64 s[2:3], vcc
	s_cbranch_execz .LBB585_325
; %bb.320:
	v_lshrrev_b32_e32 v42, 24, v22
	s_movk_i32 s8, 0x80
	v_cmp_ne_u32_e32 vcc, s8, v42
	v_bfrev_b32_e32 v52, 1
	s_and_saveexec_b64 s[8:9], vcc
	s_cbranch_execz .LBB585_324
; %bb.321:
	v_bfe_u32 v22, v22, 24, 7
	s_movk_i32 s10, 0x7f
	v_cmp_ne_u32_e32 vcc, s10, v22
	v_mov_b32_e32 v52, 0x7f800001
	s_and_saveexec_b64 s[10:11], vcc
	s_cbranch_execz .LBB585_323
; %bb.322:
	v_and_b32_e32 v52, 7, v42
	v_ffbh_u32_e32 v54, v52
	v_min_u32_e32 v57, 32, v54
	v_subrev_u32_e32 v54, 28, v57
	v_lshlrev_b64 v[54:55], v54, v[42:43]
	v_lshrrev_b32_e32 v56, 3, v22
	v_sub_u32_e32 v55, 29, v57
	v_and_b32_e32 v54, 7, v54
	v_cmp_gt_u32_e32 vcc, 8, v22
	v_cndmask_b32_e32 v22, v56, v55, vcc
	v_cndmask_b32_e32 v52, v52, v54, vcc
	v_lshlrev_b32_e32 v42, 24, v42
	v_bfrev_b32_e32 v54, 60
	v_lshlrev_b32_e32 v52, 20, v52
	v_and_b32_e32 v42, 0x80000000, v42
	v_lshl_add_u32 v22, v22, 23, v54
	v_or3_b32 v52, v42, v22, v52
.LBB585_323:
	s_or_b64 exec, exec, s[10:11]
.LBB585_324:
	s_or_b64 exec, exec, s[8:9]
.LBB585_325:
	s_or_b64 exec, exec, s[2:3]
	v_cmp_ne_u16_sdwa s[8:9], v23, v45 src0_sel:BYTE_0 src1_sel:DWORD
	s_and_saveexec_b64 s[2:3], s[8:9]
	s_cbranch_execz .LBB585_331
; %bb.326:
	s_movk_i32 s8, 0x80
	v_cmp_ne_u16_sdwa s[10:11], v23, s8 src0_sel:BYTE_0 src1_sel:DWORD
	v_bfrev_b32_e32 v45, 1
	s_and_saveexec_b64 s[8:9], s[10:11]
	s_cbranch_execz .LBB585_330
; %bb.327:
	s_movk_i32 s10, 0x7f
	v_and_b32_e32 v22, 0x7f, v23
	v_cmp_ne_u32_e32 vcc, s10, v22
	v_mov_b32_e32 v45, 0x7f800001
	s_and_saveexec_b64 s[10:11], vcc
	s_cbranch_execz .LBB585_329
; %bb.328:
	v_and_b32_e32 v45, 7, v23
	v_ffbh_u32_e32 v54, v45
	v_min_u32_e32 v57, 32, v54
	v_mov_b32_e32 v42, v23
	v_subrev_u32_e32 v54, 28, v57
	v_lshlrev_b64 v[54:55], v54, v[42:43]
	v_lshrrev_b32_e32 v56, 3, v22
	v_sub_u32_e32 v42, 29, v57
	v_and_b32_e32 v54, 7, v54
	v_cmp_gt_u32_e32 vcc, 8, v22
	v_cndmask_b32_e32 v22, v56, v42, vcc
	v_cndmask_b32_e32 v42, v45, v54, vcc
	v_lshlrev_b32_e32 v45, 24, v23
	v_bfrev_b32_e32 v54, 60
	v_lshlrev_b32_e32 v42, 20, v42
	v_and_b32_e32 v45, 0x80000000, v45
	v_lshl_add_u32 v22, v22, 23, v54
	v_or3_b32 v45, v45, v22, v42
.LBB585_329:
	s_or_b64 exec, exec, s[10:11]
.LBB585_330:
	s_or_b64 exec, exec, s[8:9]
.LBB585_331:
	s_or_b64 exec, exec, s[2:3]
	v_lshrrev_b16_e32 v22, 8, v23
	v_cmp_ne_u16_e32 vcc, 0, v22
	v_mov_b32_e32 v54, 0
	v_mov_b32_e32 v55, 0
	s_and_saveexec_b64 s[2:3], vcc
	s_cbranch_execz .LBB585_337
; %bb.332:
	s_movk_i32 s8, 0x80
	v_cmp_ne_u16_e32 vcc, s8, v22
	v_bfrev_b32_e32 v55, 1
	s_and_saveexec_b64 s[8:9], vcc
	s_cbranch_execz .LBB585_336
; %bb.333:
	s_movk_i32 s10, 0x7f
	v_and_b32_e32 v42, 0x7f, v22
	v_cmp_ne_u32_e32 vcc, s10, v42
	v_mov_b32_e32 v55, 0x7f800001
	s_and_saveexec_b64 s[10:11], vcc
	s_cbranch_execz .LBB585_335
; %bb.334:
	v_and_b32_e32 v55, 7, v22
	v_ffbh_u32_e32 v56, v55
	v_min_u32_e32 v59, 32, v56
	v_subrev_u32_e32 v56, 28, v59
	v_lshlrev_b64 v[56:57], v56, v[22:23]
	v_lshrrev_b32_e32 v58, 3, v42
	v_sub_u32_e32 v22, 29, v59
	v_and_b32_e32 v56, 7, v56
	v_cmp_gt_u32_e32 vcc, 8, v42
	v_cndmask_b32_e32 v22, v58, v22, vcc
	v_cndmask_b32_e32 v42, v55, v56, vcc
	v_lshlrev_b32_e32 v55, 16, v23
	v_bfrev_b32_e32 v56, 60
	v_lshlrev_b32_e32 v42, 20, v42
	v_and_b32_e32 v55, 0x80000000, v55
	v_lshl_add_u32 v22, v22, 23, v56
	v_or3_b32 v55, v55, v22, v42
.LBB585_335:
	s_or_b64 exec, exec, s[10:11]
.LBB585_336:
	s_or_b64 exec, exec, s[8:9]
.LBB585_337:
	s_or_b64 exec, exec, s[2:3]
	s_movk_i32 s2, 0xff
	v_and_b32_sdwa v42, v23, s2 dst_sel:DWORD dst_unused:UNUSED_PAD src0_sel:WORD_1 src1_sel:DWORD
	v_lshrrev_b32_e32 v22, 16, v23
	v_cmp_ne_u16_e32 vcc, 0, v42
	s_and_saveexec_b64 s[2:3], vcc
	s_cbranch_execz .LBB585_343
; %bb.338:
	s_movk_i32 s8, 0x80
	v_cmp_ne_u16_e32 vcc, s8, v42
	v_bfrev_b32_e32 v54, 1
	s_and_saveexec_b64 s[8:9], vcc
	s_cbranch_execz .LBB585_342
; %bb.339:
	v_bfe_u32 v42, v23, 16, 7
	s_movk_i32 s10, 0x7f
	v_cmp_ne_u32_e32 vcc, s10, v42
	v_mov_b32_e32 v54, 0x7f800001
	s_and_saveexec_b64 s[10:11], vcc
	s_cbranch_execz .LBB585_341
; %bb.340:
	v_and_b32_e32 v54, 7, v22
	v_ffbh_u32_e32 v56, v54
	v_min_u32_e32 v59, 32, v56
	v_subrev_u32_e32 v56, 28, v59
	v_lshlrev_b64 v[56:57], v56, v[22:23]
	v_and_b32_e32 v56, 7, v56
	v_cmp_gt_u32_e32 vcc, 8, v42
	v_lshrrev_b32_e32 v58, 3, v42
	v_sub_u32_e32 v22, 29, v59
	v_cndmask_b32_e32 v42, v54, v56, vcc
	v_mov_b32_e32 v54, 24
	v_cndmask_b32_e32 v22, v58, v22, vcc
	v_lshlrev_b32_sdwa v54, v54, v23 dst_sel:DWORD dst_unused:UNUSED_PAD src0_sel:DWORD src1_sel:WORD_1
	v_bfrev_b32_e32 v56, 60
	v_lshlrev_b32_e32 v42, 20, v42
	v_and_b32_e32 v54, 0x80000000, v54
	v_lshl_add_u32 v22, v22, 23, v56
	v_or3_b32 v54, v54, v22, v42
.LBB585_341:
	s_or_b64 exec, exec, s[10:11]
.LBB585_342:
	s_or_b64 exec, exec, s[8:9]
.LBB585_343:
	s_or_b64 exec, exec, s[2:3]
	s_mov_b32 s2, 0xffffff
	v_cmp_lt_u32_e32 vcc, s2, v23
	v_mov_b32_e32 v42, 0
	v_mov_b32_e32 v56, 0
	s_and_saveexec_b64 s[2:3], vcc
	s_cbranch_execz .LBB585_349
; %bb.344:
	v_lshrrev_b32_e32 v22, 24, v23
	s_movk_i32 s8, 0x80
	v_cmp_ne_u32_e32 vcc, s8, v22
	v_bfrev_b32_e32 v56, 1
	s_and_saveexec_b64 s[8:9], vcc
	s_cbranch_execz .LBB585_348
; %bb.345:
	v_bfe_u32 v23, v23, 24, 7
	s_movk_i32 s10, 0x7f
	v_cmp_ne_u32_e32 vcc, s10, v23
	v_mov_b32_e32 v56, 0x7f800001
	s_and_saveexec_b64 s[10:11], vcc
	s_cbranch_execz .LBB585_347
; %bb.346:
	v_and_b32_e32 v58, 7, v22
	v_ffbh_u32_e32 v56, v58
	v_min_u32_e32 v60, 32, v56
	v_subrev_u32_e32 v56, 28, v60
	v_lshlrev_b64 v[56:57], v56, v[22:23]
	v_lshrrev_b32_e32 v59, 3, v23
	v_sub_u32_e32 v57, 29, v60
	v_and_b32_e32 v56, 7, v56
	v_cmp_gt_u32_e32 vcc, 8, v23
	v_cndmask_b32_e32 v23, v59, v57, vcc
	v_cndmask_b32_e32 v56, v58, v56, vcc
	v_lshlrev_b32_e32 v22, 24, v22
	v_bfrev_b32_e32 v57, 60
	v_lshlrev_b32_e32 v56, 20, v56
	v_and_b32_e32 v22, 0x80000000, v22
	v_lshl_add_u32 v23, v23, 23, v57
	v_or3_b32 v56, v22, v23, v56
.LBB585_347:
	s_or_b64 exec, exec, s[10:11]
.LBB585_348:
	s_or_b64 exec, exec, s[8:9]
.LBB585_349:
	s_or_b64 exec, exec, s[2:3]
	v_cvt_pkrtz_f16_f32 v22, v53, v44
	v_cvt_pkrtz_f16_f32 v23, v43, v52
	v_cmp_ne_u16_sdwa s[8:9], v24, v42 src0_sel:BYTE_0 src1_sel:DWORD
	s_nop 0
	v_mfma_f32_16x16x16f16 v[58:61], v[22:23], v[26:27], 0
	v_cvt_pkrtz_f16_f32 v22, v45, v55
	v_cvt_pkrtz_f16_f32 v23, v54, v56
	s_nop 1
	v_mfma_f32_16x16x16f16 v[26:29], v[22:23], v[28:29], v[58:61]
	s_and_saveexec_b64 s[2:3], s[8:9]
	s_cbranch_execz .LBB585_355
; %bb.350:
	s_movk_i32 s8, 0x80
	v_cmp_ne_u16_sdwa s[10:11], v24, s8 src0_sel:BYTE_0 src1_sel:DWORD
	v_bfrev_b32_e32 v42, 1
	s_and_saveexec_b64 s[8:9], s[10:11]
	s_cbranch_execz .LBB585_354
; %bb.351:
	s_movk_i32 s10, 0x7f
	v_and_b32_e32 v22, 0x7f, v24
	v_cmp_ne_u32_e32 vcc, s10, v22
	v_mov_b32_e32 v42, 0x7f800001
	s_and_saveexec_b64 s[10:11], vcc
	s_cbranch_execz .LBB585_353
; %bb.352:
	v_and_b32_e32 v23, 7, v24
	v_ffbh_u32_e32 v42, v23
	v_min_u32_e32 v45, 32, v42
	v_subrev_u32_e32 v42, 28, v45
	v_lshlrev_b64 v[42:43], v42, v[24:25]
	v_lshrrev_b32_e32 v44, 3, v22
	v_sub_u32_e32 v43, 29, v45
	v_and_b32_e32 v42, 7, v42
	v_cmp_gt_u32_e32 vcc, 8, v22
	v_cndmask_b32_e32 v22, v44, v43, vcc
	v_cndmask_b32_e32 v23, v23, v42, vcc
	v_lshlrev_b32_e32 v42, 24, v24
	v_bfrev_b32_e32 v43, 60
	v_lshlrev_b32_e32 v23, 20, v23
	v_and_b32_e32 v42, 0x80000000, v42
	v_lshl_add_u32 v22, v22, 23, v43
	v_or3_b32 v42, v42, v22, v23
.LBB585_353:
	s_or_b64 exec, exec, s[10:11]
.LBB585_354:
	s_or_b64 exec, exec, s[8:9]
.LBB585_355:
	s_or_b64 exec, exec, s[2:3]
	v_lshrrev_b16_e32 v22, 8, v24
	v_cmp_ne_u16_e32 vcc, 0, v22
	v_mov_b32_e32 v23, 0
	v_mov_b32_e32 v43, 0
	s_and_saveexec_b64 s[2:3], vcc
	s_cbranch_execz .LBB585_361
; %bb.356:
	s_movk_i32 s8, 0x80
	v_cmp_ne_u16_e32 vcc, s8, v22
	v_bfrev_b32_e32 v43, 1
	s_and_saveexec_b64 s[8:9], vcc
	s_cbranch_execz .LBB585_360
; %bb.357:
	s_movk_i32 s10, 0x7f
	v_and_b32_e32 v44, 0x7f, v22
	v_cmp_ne_u32_e32 vcc, s10, v44
	v_mov_b32_e32 v43, 0x7f800001
	s_and_saveexec_b64 s[10:11], vcc
	s_cbranch_execz .LBB585_359
; %bb.358:
	v_and_b32_e32 v43, 7, v22
	v_ffbh_u32_e32 v52, v43
	v_min_u32_e32 v54, 32, v52
	v_subrev_u32_e32 v52, 28, v54
	v_lshlrev_b64 v[52:53], v52, v[22:23]
	v_lshrrev_b32_e32 v45, 3, v44
	v_sub_u32_e32 v22, 29, v54
	v_and_b32_e32 v52, 7, v52
	v_cmp_gt_u32_e32 vcc, 8, v44
	v_cndmask_b32_e32 v22, v45, v22, vcc
	v_cndmask_b32_e32 v43, v43, v52, vcc
	v_lshlrev_b32_e32 v44, 16, v24
	v_bfrev_b32_e32 v45, 60
	v_lshlrev_b32_e32 v43, 20, v43
	v_and_b32_e32 v44, 0x80000000, v44
	v_lshl_add_u32 v22, v22, 23, v45
	v_or3_b32 v43, v44, v22, v43
.LBB585_359:
	s_or_b64 exec, exec, s[10:11]
.LBB585_360:
	s_or_b64 exec, exec, s[8:9]
.LBB585_361:
	s_or_b64 exec, exec, s[2:3]
	s_movk_i32 s2, 0xff
	v_and_b32_sdwa v44, v24, s2 dst_sel:DWORD dst_unused:UNUSED_PAD src0_sel:WORD_1 src1_sel:DWORD
	v_lshrrev_b32_e32 v22, 16, v24
	v_cmp_ne_u16_e32 vcc, 0, v44
	s_and_saveexec_b64 s[2:3], vcc
	s_cbranch_execz .LBB585_367
; %bb.362:
	s_movk_i32 s8, 0x80
	v_cmp_ne_u16_e32 vcc, s8, v44
	v_bfrev_b32_e32 v23, 1
	s_and_saveexec_b64 s[8:9], vcc
	s_cbranch_execz .LBB585_366
; %bb.363:
	v_bfe_u32 v44, v24, 16, 7
	s_movk_i32 s10, 0x7f
	v_cmp_ne_u32_e32 vcc, s10, v44
	v_mov_b32_e32 v23, 0x7f800001
	s_and_saveexec_b64 s[10:11], vcc
	s_cbranch_execz .LBB585_365
; %bb.364:
	v_and_b32_e32 v45, 7, v22
	v_ffbh_u32_e32 v23, v45
	v_min_u32_e32 v53, 32, v23
	v_subrev_u32_e32 v23, 28, v53
	v_lshlrev_b64 v[22:23], v23, v[22:23]
	v_lshrrev_b32_e32 v52, 3, v44
	v_sub_u32_e32 v23, 29, v53
	v_and_b32_e32 v22, 7, v22
	v_cmp_gt_u32_e32 vcc, 8, v44
	v_mov_b32_e32 v44, 24
	v_cndmask_b32_e32 v23, v52, v23, vcc
	v_cndmask_b32_e32 v22, v45, v22, vcc
	v_lshlrev_b32_sdwa v44, v44, v24 dst_sel:DWORD dst_unused:UNUSED_PAD src0_sel:DWORD src1_sel:WORD_1
	v_bfrev_b32_e32 v45, 60
	v_lshlrev_b32_e32 v22, 20, v22
	v_and_b32_e32 v44, 0x80000000, v44
	v_lshl_add_u32 v23, v23, 23, v45
	v_or3_b32 v23, v44, v23, v22
.LBB585_365:
	s_or_b64 exec, exec, s[10:11]
.LBB585_366:
	s_or_b64 exec, exec, s[8:9]
.LBB585_367:
	s_or_b64 exec, exec, s[2:3]
	s_mov_b32 s2, 0xffffff
	v_cmp_lt_u32_e32 vcc, s2, v24
	v_mov_b32_e32 v45, 0
	v_mov_b32_e32 v52, 0
	s_and_saveexec_b64 s[2:3], vcc
	s_cbranch_execz .LBB585_373
; %bb.368:
	v_lshrrev_b32_e32 v22, 24, v24
	s_movk_i32 s8, 0x80
	v_cmp_ne_u32_e32 vcc, s8, v22
	v_bfrev_b32_e32 v52, 1
	s_and_saveexec_b64 s[8:9], vcc
	s_cbranch_execz .LBB585_372
; %bb.369:
	v_bfe_u32 v24, v24, 24, 7
	s_movk_i32 s10, 0x7f
	v_cmp_ne_u32_e32 vcc, s10, v24
	v_mov_b32_e32 v52, 0x7f800001
	s_and_saveexec_b64 s[10:11], vcc
	s_cbranch_execz .LBB585_371
; %bb.370:
	v_and_b32_e32 v44, 7, v22
	v_ffbh_u32_e32 v52, v44
	v_min_u32_e32 v55, 32, v52
	v_subrev_u32_e32 v52, 28, v55
	v_lshlrev_b64 v[52:53], v52, v[22:23]
	v_lshrrev_b32_e32 v54, 3, v24
	v_sub_u32_e32 v53, 29, v55
	v_and_b32_e32 v52, 7, v52
	v_cmp_gt_u32_e32 vcc, 8, v24
	v_cndmask_b32_e32 v24, v54, v53, vcc
	v_cndmask_b32_e32 v44, v44, v52, vcc
	v_lshlrev_b32_e32 v22, 24, v22
	v_bfrev_b32_e32 v52, 60
	v_lshlrev_b32_e32 v44, 20, v44
	v_and_b32_e32 v22, 0x80000000, v22
	v_lshl_add_u32 v24, v24, 23, v52
	v_or3_b32 v52, v22, v24, v44
.LBB585_371:
	s_or_b64 exec, exec, s[10:11]
.LBB585_372:
	s_or_b64 exec, exec, s[8:9]
.LBB585_373:
	s_or_b64 exec, exec, s[2:3]
	v_cmp_ne_u16_sdwa s[8:9], v25, v45 src0_sel:BYTE_0 src1_sel:DWORD
	s_and_saveexec_b64 s[2:3], s[8:9]
	s_cbranch_execz .LBB585_379
; %bb.374:
	s_movk_i32 s8, 0x80
	v_cmp_ne_u16_sdwa s[10:11], v25, s8 src0_sel:BYTE_0 src1_sel:DWORD
	v_bfrev_b32_e32 v45, 1
	s_and_saveexec_b64 s[8:9], s[10:11]
	s_cbranch_execz .LBB585_378
; %bb.375:
	s_movk_i32 s10, 0x7f
	v_and_b32_e32 v22, 0x7f, v25
	v_cmp_ne_u32_e32 vcc, s10, v22
	v_mov_b32_e32 v45, 0x7f800001
	s_and_saveexec_b64 s[10:11], vcc
	s_cbranch_execz .LBB585_377
; %bb.376:
	v_and_b32_e32 v53, 7, v25
	v_ffbh_u32_e32 v44, v53
	v_min_u32_e32 v55, 32, v44
	v_mov_b32_e32 v24, v25
	v_subrev_u32_e32 v44, 28, v55
	v_lshlrev_b64 v[44:45], v44, v[24:25]
	v_lshrrev_b32_e32 v54, 3, v22
	v_sub_u32_e32 v24, 29, v55
	v_and_b32_e32 v44, 7, v44
	v_cmp_gt_u32_e32 vcc, 8, v22
	v_cndmask_b32_e32 v22, v54, v24, vcc
	v_cndmask_b32_e32 v24, v53, v44, vcc
	v_lshlrev_b32_e32 v44, 24, v25
	v_bfrev_b32_e32 v45, 60
	v_lshlrev_b32_e32 v24, 20, v24
	v_and_b32_e32 v44, 0x80000000, v44
	v_lshl_add_u32 v22, v22, 23, v45
	v_or3_b32 v45, v44, v22, v24
.LBB585_377:
	s_or_b64 exec, exec, s[10:11]
.LBB585_378:
	s_or_b64 exec, exec, s[8:9]
.LBB585_379:
	s_or_b64 exec, exec, s[2:3]
	v_lshrrev_b16_e32 v22, 8, v25
	v_cmp_ne_u16_e32 vcc, 0, v22
	v_mov_b32_e32 v53, 0
	v_mov_b32_e32 v54, 0
	s_and_saveexec_b64 s[2:3], vcc
	s_cbranch_execz .LBB585_385
; %bb.380:
	s_movk_i32 s8, 0x80
	v_cmp_ne_u16_e32 vcc, s8, v22
	v_bfrev_b32_e32 v54, 1
	s_and_saveexec_b64 s[8:9], vcc
	s_cbranch_execz .LBB585_384
; %bb.381:
	s_movk_i32 s10, 0x7f
	v_and_b32_e32 v24, 0x7f, v22
	v_cmp_ne_u32_e32 vcc, s10, v24
	v_mov_b32_e32 v54, 0x7f800001
	s_and_saveexec_b64 s[10:11], vcc
	s_cbranch_execz .LBB585_383
; %bb.382:
	v_and_b32_e32 v44, 7, v22
	v_ffbh_u32_e32 v54, v44
	v_min_u32_e32 v57, 32, v54
	v_subrev_u32_e32 v54, 28, v57
	v_lshlrev_b64 v[54:55], v54, v[22:23]
	v_lshrrev_b32_e32 v56, 3, v24
	v_sub_u32_e32 v22, 29, v57
	v_and_b32_e32 v54, 7, v54
	v_cmp_gt_u32_e32 vcc, 8, v24
	v_cndmask_b32_e32 v22, v56, v22, vcc
	v_cndmask_b32_e32 v24, v44, v54, vcc
	v_lshlrev_b32_e32 v44, 16, v25
	v_bfrev_b32_e32 v54, 60
	v_lshlrev_b32_e32 v24, 20, v24
	v_and_b32_e32 v44, 0x80000000, v44
	v_lshl_add_u32 v22, v22, 23, v54
	v_or3_b32 v54, v44, v22, v24
.LBB585_383:
	s_or_b64 exec, exec, s[10:11]
.LBB585_384:
	s_or_b64 exec, exec, s[8:9]
.LBB585_385:
	s_or_b64 exec, exec, s[2:3]
	s_movk_i32 s2, 0xff
	v_and_b32_sdwa v24, v25, s2 dst_sel:DWORD dst_unused:UNUSED_PAD src0_sel:WORD_1 src1_sel:DWORD
	v_lshrrev_b32_e32 v22, 16, v25
	v_cmp_ne_u16_e32 vcc, 0, v24
	s_and_saveexec_b64 s[2:3], vcc
	s_cbranch_execz .LBB585_391
; %bb.386:
	s_movk_i32 s8, 0x80
	v_cmp_ne_u16_e32 vcc, s8, v24
	v_bfrev_b32_e32 v53, 1
	s_and_saveexec_b64 s[8:9], vcc
	s_cbranch_execz .LBB585_390
; %bb.387:
	v_bfe_u32 v24, v25, 16, 7
	s_movk_i32 s10, 0x7f
	v_cmp_ne_u32_e32 vcc, s10, v24
	v_mov_b32_e32 v53, 0x7f800001
	s_and_saveexec_b64 s[10:11], vcc
	s_cbranch_execz .LBB585_389
; %bb.388:
	v_and_b32_e32 v44, 7, v22
	v_ffbh_u32_e32 v55, v44
	v_min_u32_e32 v55, 32, v55
	v_subrev_u32_e32 v56, 28, v55
	v_lshlrev_b64 v[56:57], v56, v[22:23]
	v_sub_u32_e32 v22, 29, v55
	v_and_b32_e32 v55, 7, v56
	v_cmp_gt_u32_e32 vcc, 8, v24
	v_lshrrev_b32_e32 v53, 3, v24
	v_cndmask_b32_e32 v24, v44, v55, vcc
	v_mov_b32_e32 v44, 24
	v_cndmask_b32_e32 v22, v53, v22, vcc
	v_lshlrev_b32_sdwa v44, v44, v25 dst_sel:DWORD dst_unused:UNUSED_PAD src0_sel:DWORD src1_sel:WORD_1
	v_bfrev_b32_e32 v53, 60
	v_lshlrev_b32_e32 v24, 20, v24
	v_and_b32_e32 v44, 0x80000000, v44
	v_lshl_add_u32 v22, v22, 23, v53
	v_or3_b32 v53, v44, v22, v24
.LBB585_389:
	s_or_b64 exec, exec, s[10:11]
.LBB585_390:
	s_or_b64 exec, exec, s[8:9]
.LBB585_391:
	s_or_b64 exec, exec, s[2:3]
	s_mov_b32 s2, 0xffffff
	v_and_b32_e32 v44, 63, v0
	v_cmp_lt_u32_e32 vcc, s2, v25
	v_mov_b32_e32 v55, 0
	s_and_saveexec_b64 s[2:3], vcc
	s_cbranch_execz .LBB585_397
; %bb.392:
	v_lshrrev_b32_e32 v22, 24, v25
	s_movk_i32 s8, 0x80
	v_cmp_ne_u32_e32 vcc, s8, v22
	v_bfrev_b32_e32 v55, 1
	s_and_saveexec_b64 s[8:9], vcc
	s_cbranch_execz .LBB585_396
; %bb.393:
	v_bfe_u32 v24, v25, 24, 7
	s_movk_i32 s10, 0x7f
	v_cmp_ne_u32_e32 vcc, s10, v24
	v_mov_b32_e32 v55, 0x7f800001
	s_and_saveexec_b64 s[10:11], vcc
	s_cbranch_execz .LBB585_395
; %bb.394:
	v_and_b32_e32 v25, 7, v22
	v_ffbh_u32_e32 v56, v25
	v_min_u32_e32 v58, 32, v56
	v_subrev_u32_e32 v56, 28, v58
	v_lshlrev_b64 v[56:57], v56, v[22:23]
	v_lshrrev_b32_e32 v55, 3, v24
	v_sub_u32_e32 v57, 29, v58
	v_and_b32_e32 v56, 7, v56
	v_cmp_gt_u32_e32 vcc, 8, v24
	v_cndmask_b32_e32 v24, v55, v57, vcc
	v_cndmask_b32_e32 v25, v25, v56, vcc
	v_lshlrev_b32_e32 v22, 24, v22
	v_bfrev_b32_e32 v55, 60
	v_lshlrev_b32_e32 v25, 20, v25
	v_and_b32_e32 v22, 0x80000000, v22
	v_lshl_add_u32 v24, v24, 23, v55
	v_or3_b32 v55, v22, v24, v25
.LBB585_395:
	s_or_b64 exec, exec, s[10:11]
.LBB585_396:
	s_or_b64 exec, exec, s[8:9]
.LBB585_397:
	s_or_b64 exec, exec, s[2:3]
	v_cvt_pkrtz_f16_f32 v42, v42, v43
	v_cvt_pkrtz_f16_f32 v43, v23, v52
	s_load_dword s2, s[4:5], 0x1c
	s_mov_b32 s46, 0xff7fffff
	s_waitcnt lgkmcnt(0)
	v_mfma_f32_16x16x16f16 v[26:29], v[42:43], v[18:19], v[26:29]
	v_cvt_pkrtz_f16_f32 v18, v45, v54
	v_cvt_pkrtz_f16_f32 v19, v53, v55
	v_mov_b32_e32 v22, s2
	v_mul_f32_e32 v52, s12, v22
	v_pk_mul_f32 v[22:23], v[52:53], v[32:33] op_sel_hi:[0,1]
	v_pk_mul_f32 v[32:33], v[52:53], v[38:39] op_sel_hi:[0,1]
	v_and_b32_e32 v38, 0xc0, v0
	v_mfma_f32_16x16x16f16 v[26:29], v[18:19], v[20:21], v[26:29]
	v_add_u32_e32 v38, s18, v38
	v_lshl_or_b32 v38, v1, 2, v38
	v_or_b32_e32 v39, 1, v38
	v_pk_mul_f32 v[24:25], v[52:53], v[30:31] op_sel_hi:[0,1]
	v_pk_mul_f32 v[30:31], v[52:53], v[40:41] op_sel_hi:[0,1]
	v_subrev_u32_e32 v40, s33, v39
	v_pk_mul_f32 v[34:35], v[52:53], v[34:35] op_sel_hi:[0,1]
	s_nop 3
	v_pk_mul_f32 v[20:21], v[52:53], v[26:27] op_sel_hi:[0,1]
	v_add_u32_e32 v27, 1, v40
	v_pk_mul_f32 v[18:19], v[52:53], v[28:29] op_sel_hi:[0,1]
	v_cvt_f32_i32_e32 v27, v27
	v_add_u32_e32 v29, 3, v40
	v_cvt_f32_i32_e32 v29, v29
	v_cvt_f32_i32_e32 v26, v40
	v_pk_mul_f32 v[36:37], v[52:53], v[36:37] op_sel_hi:[0,1]
	v_fmac_f32_e32 v35, v51, v27
	v_add_u32_e32 v27, 16, v40
	v_fmac_f32_e32 v37, v51, v29
	v_cvt_f32_i32_e32 v27, v27
	v_add_u32_e32 v29, 17, v40
	v_fma_f32 v26, v51, v26, v34
	v_cvt_f32_i32_e32 v29, v29
	v_add_u32_e32 v34, 18, v40
	v_cvt_f32_i32_e32 v34, v34
	v_fma_f32 v41, v51, v27, v32
	v_add_u32_e32 v27, 32, v40
	v_fmac_f32_e32 v33, v51, v29
	v_cvt_f32_i32_e32 v27, v27
	v_add_u32_e32 v29, 33, v40
	v_add_u32_e32 v32, 34, v40
	v_fma_f32 v30, v51, v34, v30
	v_cvt_f32_i32_e32 v29, v29
	v_cvt_f32_i32_e32 v32, v32
	v_add_u32_e32 v34, 35, v40
	v_cvt_f32_i32_e32 v34, v34
	v_fma_f32 v24, v51, v27, v24
	v_add_u32_e32 v27, 48, v40
	v_fmac_f32_e32 v25, v51, v29
	v_fma_f32 v22, v51, v32, v22
	v_cvt_f32_i32_e32 v27, v27
	v_add_u32_e32 v29, 49, v40
	v_add_u32_e32 v32, 50, v40
	v_fmac_f32_e32 v23, v51, v34
	v_cvt_f32_i32_e32 v29, v29
	v_cvt_f32_i32_e32 v32, v32
	v_add_u32_e32 v34, 51, v40
	v_add_u32_e32 v28, 2, v40
	v_cvt_f32_i32_e32 v34, v34
	v_cvt_f32_i32_e32 v28, v28
	v_fma_f32 v20, v51, v27, v20
	v_mov_b32_e32 v27, 0xff7fffff
	v_cmp_gt_i32_e64 s[26:27], s33, v38
	v_cmp_gt_i32_e64 s[28:29], s33, v39
	v_fmac_f32_e32 v21, v51, v29
	v_fma_f32 v18, v51, v32, v18
	v_cndmask_b32_e64 v29, v27, v26, s[26:27]
	v_cndmask_b32_e64 v32, v27, v35, s[28:29]
	v_fmac_f32_e32 v19, v51, v34
	v_max3_f32 v29, v29, s46, v32
	v_or_b32_e32 v32, 2, v38
	v_or_b32_e32 v34, 3, v38
	v_fma_f32 v28, v51, v28, v36
	v_cmp_gt_i32_e64 s[30:31], s33, v32
	v_cmp_gt_i32_e64 s[34:35], s33, v34
	v_add_u32_e32 v36, 19, v40
	v_cndmask_b32_e64 v32, v27, v28, s[30:31]
	v_cndmask_b32_e64 v34, v27, v37, s[34:35]
	v_cvt_f32_i32_e32 v36, v36
	v_max3_f32 v29, v29, v32, v34
	v_or_b32_e32 v32, 16, v38
	v_or_b32_e32 v34, 17, v38
	v_cmp_gt_i32_e64 s[36:37], s33, v32
	v_cmp_gt_i32_e64 s[38:39], s33, v34
	v_cndmask_b32_e64 v32, v27, v41, s[36:37]
	v_cndmask_b32_e64 v34, v27, v33, s[38:39]
	v_max3_f32 v29, v29, v32, v34
	v_or_b32_e32 v32, 18, v38
	v_or_b32_e32 v34, 19, v38
	v_fmac_f32_e32 v31, v51, v36
	v_cmp_gt_i32_e64 s[20:21], s33, v32
	v_cmp_gt_i32_e64 s[22:23], s33, v34
	v_cndmask_b32_e64 v32, v27, v30, s[20:21]
	v_cndmask_b32_e64 v34, v27, v31, s[22:23]
	v_max3_f32 v29, v29, v32, v34
	v_or_b32_e32 v32, 32, v38
	v_or_b32_e32 v34, 33, v38
	v_cmp_gt_i32_e64 s[16:17], s33, v32
	v_cmp_gt_i32_e64 s[18:19], s33, v34
	v_cndmask_b32_e64 v32, v27, v24, s[16:17]
	v_cndmask_b32_e64 v34, v27, v25, s[18:19]
	v_max3_f32 v29, v29, v32, v34
	v_or_b32_e32 v32, 34, v38
	v_or_b32_e32 v34, 35, v38
	;; [unrolled: 7-line block ×4, first 2 shown]
	v_cmp_gt_i32_e32 vcc, s33, v32
	v_cmp_gt_i32_e64 s[2:3], s33, v34
	v_cndmask_b32_e32 v32, v27, v18, vcc
	v_cndmask_b32_e64 v27, v27, v19, s[2:3]
	v_max3_f32 v27, v29, v32, v27
	v_mbcnt_lo_u32_b32 v29, -1, 0
	v_mbcnt_hi_u32_b32 v29, -1, v29
	v_and_b32_e32 v32, 64, v29
	v_add_u32_e32 v32, 64, v32
	v_xor_b32_e32 v34, 32, v29
	v_cmp_lt_i32_e64 s[40:41], v34, v32
	v_cndmask_b32_e64 v34, v29, v34, s[40:41]
	v_lshlrev_b32_e32 v36, 2, v34
	ds_bpermute_b32 v34, v36, v27
	s_barrier
	s_waitcnt lgkmcnt(0)
	v_max_f32_e32 v34, v34, v34
	v_max_f32_e32 v27, v27, v34
	v_xor_b32_e32 v34, 16, v29
	v_cmp_lt_i32_e64 s[40:41], v34, v32
	v_cndmask_b32_e64 v29, v29, v34, s[40:41]
	v_lshlrev_b32_e32 v38, 2, v29
	ds_bpermute_b32 v29, v38, v27
	s_waitcnt lgkmcnt(0)
	v_max_f32_e32 v29, v29, v29
	v_max_f32_e32 v32, v27, v29
	v_sub_f32_e32 v26, v26, v32
	v_mul_f32_e32 v26, 0x3fb8aa3b, v26
	v_sub_f32_e32 v27, v35, v32
	v_exp_f32_e32 v26, v26
	v_mul_f32_e32 v27, 0x3fb8aa3b, v27
	v_sub_f32_e32 v28, v28, v32
	v_exp_f32_e32 v27, v27
	v_mul_f32_e32 v28, 0x3fb8aa3b, v28
	v_exp_f32_e32 v28, v28
	v_cndmask_b32_e64 v26, 0, v26, s[26:27]
	v_sub_f32_e32 v34, v37, v32
	v_add_f32_e32 v29, 0, v26
	v_cndmask_b32_e64 v27, 0, v27, s[28:29]
	v_mul_f32_e32 v34, 0x3fb8aa3b, v34
	v_exp_f32_e32 v35, v34
	v_add_f32_e32 v29, v29, v27
	v_cndmask_b32_e64 v34, 0, v28, s[30:31]
	v_add_f32_e32 v28, v29, v34
	v_sub_f32_e32 v29, v41, v32
	v_mul_f32_e32 v29, 0x3fb8aa3b, v29
	v_sub_f32_e32 v33, v33, v32
	v_exp_f32_e32 v29, v29
	v_mul_f32_e32 v33, 0x3fb8aa3b, v33
	v_sub_f32_e32 v30, v30, v32
	v_exp_f32_e32 v33, v33
	;; [unrolled: 3-line block ×3, first 2 shown]
	v_mul_f32_e32 v31, 0x3fb8aa3b, v31
	v_sub_f32_e32 v24, v24, v32
	v_cndmask_b32_e64 v35, 0, v35, s[34:35]
	v_exp_f32_e32 v31, v31
	v_mul_f32_e32 v24, 0x3fb8aa3b, v24
	v_sub_f32_e32 v25, v25, v32
	v_add_f32_e32 v37, v28, v35
	v_cndmask_b32_e64 v28, 0, v29, s[36:37]
	v_exp_f32_e32 v24, v24
	v_mul_f32_e32 v25, 0x3fb8aa3b, v25
	v_sub_f32_e32 v22, v22, v32
	v_add_f32_e32 v37, v37, v28
	;; [unrolled: 5-line block ×7, first 2 shown]
	v_cndmask_b32_e64 v22, 0, v22, s[12:13]
	v_exp_f32_e32 v18, v18
	v_mul_f32_e32 v19, 0x3fb8aa3b, v19
	v_add_f32_e32 v33, v33, v22
	v_cndmask_b32_e64 v23, 0, v23, s[14:15]
	v_exp_f32_e32 v19, v19
	v_add_f32_e32 v33, v33, v23
	v_cndmask_b32_e64 v20, 0, v20, s[8:9]
	v_add_f32_e32 v33, v33, v20
	v_cndmask_b32_e64 v21, 0, v21, s[10:11]
	v_add_f32_e32 v33, v33, v21
	v_cndmask_b32_e32 v18, 0, v18, vcc
	v_add_f32_e32 v33, v33, v18
	v_cndmask_b32_e64 v19, 0, v19, s[2:3]
	v_add_f32_e32 v33, v33, v19
	ds_bpermute_b32 v36, v36, v33
	v_cmp_gt_u32_e32 vcc, 16, v44
	s_waitcnt lgkmcnt(0)
	v_add_f32_e32 v33, v33, v36
	ds_bpermute_b32 v37, v38, v33
	v_lshlrev_b32_e32 v36, 2, v49
	s_and_saveexec_b64 s[2:3], vcc
	s_cbranch_execz .LBB585_399
; %bb.398:
	s_waitcnt lgkmcnt(0)
	v_add_f32_e32 v33, v33, v37
	v_lshl_or_b32 v37, v50, 6, v36
	ds_write2st64_b32 v37, v32, v33 offset1:1
.LBB585_399:
	s_or_b64 exec, exec, s[2:3]
	s_waitcnt lgkmcnt(0)
	s_barrier
	ds_read2_b32 v[38:39], v36 offset1:16
	ds_read2_b32 v[40:41], v36 offset0:32 offset1:48
	ds_read2_b32 v[42:43], v36 offset0:64 offset1:80
	s_mul_i32 s12, s45, 12
	s_waitcnt lgkmcnt(2)
	v_max3_f32 v32, v38, s46, v39
	s_waitcnt lgkmcnt(1)
	v_max3_f32 v33, v32, v40, v41
	v_sub_f32_e32 v32, v38, v33
	v_mul_f32_e32 v32, 0x3fb8aa3b, v32
	v_exp_f32_e32 v37, v32
	v_sub_f32_e32 v32, v39, v33
	v_mul_f32_e32 v32, 0x3fb8aa3b, v32
	v_exp_f32_e32 v44, v32
	;; [unrolled: 3-line block ×3, first 2 shown]
	ds_read2_b32 v[38:39], v36 offset0:96 offset1:112
	v_sub_f32_e32 v32, v41, v33
	v_mul_f32_e32 v32, 0x3fb8aa3b, v32
	v_exp_f32_e32 v41, v32
	s_waitcnt lgkmcnt(1)
	v_fma_f32 v36, v37, v42, 0
	v_fmac_f32_e32 v36, v44, v43
	s_waitcnt lgkmcnt(0)
	v_fmac_f32_e32 v36, v40, v38
	v_fmac_f32_e32 v36, v41, v39
	v_add_f32_e32 v38, 0x358637bd, v36
	v_div_scale_f32 v39, s[2:3], v38, v38, 1.0
	v_rcp_f32_e32 v42, v39
	s_barrier
	v_fma_f32 v43, -v39, v42, 1.0
	v_fmac_f32_e32 v42, v43, v42
	v_div_scale_f32 v43, vcc, 1.0, v38, 1.0
	v_mul_f32_e32 v45, v43, v42
	v_fma_f32 v51, -v39, v45, v43
	v_fmac_f32_e32 v45, v51, v42
	v_fma_f32 v39, -v39, v45, v43
	v_div_fmas_f32 v39, v39, v42, v45
	v_cmp_eq_u32_e32 vcc, 1, v50
	v_cndmask_b32_e32 v37, v37, v44, vcc
	v_cmp_eq_u32_e32 vcc, 2, v50
	v_cndmask_b32_e32 v37, v37, v40, vcc
	v_cmp_eq_u32_e32 vcc, 3, v50
	v_div_fixup_f32 v38, v39, v38, 1.0
	v_cndmask_b32_e32 v37, v37, v41, vcc
	v_mul_f32_e32 v38, v37, v38
	v_pk_mul_f32 v[26:27], v[38:39], v[26:27] op_sel_hi:[0,1]
	v_cvt_f16_f32_e32 v26, v26
	v_cvt_f16_f32_e32 v27, v27
	v_pk_mul_f32 v[34:35], v[38:39], v[34:35] op_sel_hi:[0,1]
	v_cvt_f16_f32_e32 v37, v34
	v_cvt_f16_f32_e32 v35, v35
	v_pack_b32_f16 v34, v26, v27
	v_pk_mul_f32 v[26:27], v[38:39], v[30:31] op_sel_hi:[0,1]
	v_pk_mul_f32 v[28:29], v[38:39], v[28:29] op_sel_hi:[0,1]
	v_cvt_f16_f32_e32 v28, v28
	v_cvt_f16_f32_e32 v29, v29
	;; [unrolled: 1-line block ×4, first 2 shown]
	v_pack_b32_f16 v35, v37, v35
	v_lshlrev_b32_e32 v37, 3, v1
	v_lshlrev_b32_e32 v26, 11, v50
	v_or3_b32 v26, v26, v48, v37
	v_pack_b32_f16 v28, v28, v29
	v_pack_b32_f16 v29, v30, v27
	v_pk_mul_f32 v[22:23], v[38:39], v[22:23] op_sel_hi:[0,1]
	v_pk_mul_f32 v[24:25], v[38:39], v[24:25] op_sel_hi:[0,1]
	;; [unrolled: 1-line block ×4, first 2 shown]
	ds_write2st64_b64 v26, v[34:35], v[28:29] offset1:1
	v_cvt_f16_f32_e32 v24, v24
	v_cvt_f16_f32_e32 v25, v25
	;; [unrolled: 1-line block ×8, first 2 shown]
	v_mov_b32_e32 v32, 0
	v_pack_b32_f16 v18, v24, v25
	v_pack_b32_f16 v19, v22, v23
	;; [unrolled: 1-line block ×4, first 2 shown]
	v_cmp_gt_u32_e32 vcc, 12, v0
	ds_write2st64_b64 v26, v[18:19], v[20:21] offset0:2 offset1:3
	s_and_saveexec_b64 s[2:3], vcc
	s_cbranch_execz .LBB585_401
; %bb.400:
	v_add_co_u32_e32 v20, vcc, s25, v49
	v_addc_co_u32_e64 v21, s[14:15], 0, 0, vcc
	v_mov_b32_e32 v18, s12
	v_mov_b32_e32 v19, 0
	v_mad_u64_u32 v[20:21], s[14:15], s6, v18, v[20:21]
	v_mov_b32_e32 v18, s24
	s_load_dwordx4 s[8:11], s[4:5], 0x58
	s_mul_i32 s7, s7, s12
	v_mad_u64_u32 v[18:19], s[14:15], v20, s44, v[18:19]
	v_add_u32_e32 v21, s7, v21
	v_mov_b32_e32 v20, v19
	v_mad_u64_u32 v[20:21], s[14:15], v21, s44, v[20:21]
	v_mov_b32_e32 v19, v20
	v_lshlrev_b64 v[18:19], 2, v[18:19]
	s_waitcnt lgkmcnt(0)
	v_mov_b32_e32 v21, s11
	v_add_co_u32_e32 v20, vcc, s10, v18
	v_addc_co_u32_e32 v21, vcc, v21, v19, vcc
	global_store_dword v[20:21], v33, off
	v_mov_b32_e32 v20, s9
	v_add_co_u32_e32 v18, vcc, s8, v18
	v_addc_co_u32_e32 v19, vcc, v20, v19, vcc
	global_store_dword v[18:19], v36, off
.LBB585_401:
	s_or_b64 exec, exec, s[2:3]
	v_mov_b32_e32 v19, 0
	s_waitcnt vmcnt(3)
	v_cmp_ne_u16_sdwa s[8:9], v14, v19 src0_sel:BYTE_0 src1_sel:DWORD
	s_waitcnt lgkmcnt(0)
	s_barrier
	s_and_saveexec_b64 s[2:3], s[8:9]
	s_cbranch_execz .LBB585_407
; %bb.402:
	s_movk_i32 s7, 0x80
	v_cmp_ne_u16_sdwa s[10:11], v14, s7 src0_sel:BYTE_0 src1_sel:DWORD
	v_bfrev_b32_e32 v32, 1
	s_and_saveexec_b64 s[8:9], s[10:11]
	s_cbranch_execz .LBB585_406
; %bb.403:
	s_movk_i32 s7, 0x7f
	v_and_b32_e32 v18, 0x7f, v14
	v_cmp_ne_u32_e32 vcc, s7, v18
	v_mov_b32_e32 v32, 0x7f800001
	s_and_saveexec_b64 s[10:11], vcc
	s_cbranch_execz .LBB585_405
; %bb.404:
	v_and_b32_e32 v22, 7, v14
	v_ffbh_u32_e32 v20, v22
	v_min_u32_e32 v24, 32, v20
	v_subrev_u32_e32 v20, 28, v24
	v_lshlrev_b64 v[20:21], v20, v[14:15]
	v_lshrrev_b32_e32 v23, 3, v18
	v_sub_u32_e32 v21, 29, v24
	v_and_b32_e32 v20, 7, v20
	v_cmp_gt_u32_e32 vcc, 8, v18
	v_cndmask_b32_e32 v18, v23, v21, vcc
	v_cndmask_b32_e32 v20, v22, v20, vcc
	v_lshlrev_b32_e32 v21, 24, v14
	v_bfrev_b32_e32 v22, 60
	v_lshlrev_b32_e32 v20, 20, v20
	v_and_b32_e32 v21, 0x80000000, v21
	v_lshl_add_u32 v18, v18, 23, v22
	v_or3_b32 v32, v21, v18, v20
.LBB585_405:
	s_or_b64 exec, exec, s[10:11]
.LBB585_406:
	s_or_b64 exec, exec, s[8:9]
.LBB585_407:
	s_or_b64 exec, exec, s[2:3]
	v_lshrrev_b16_e32 v18, 8, v14
	v_cmp_ne_u16_e32 vcc, 0, v18
	v_mov_b32_e32 v20, 0
	s_and_saveexec_b64 s[2:3], vcc
	s_cbranch_execz .LBB585_413
; %bb.408:
	s_movk_i32 s7, 0x80
	v_cmp_ne_u16_e32 vcc, s7, v18
	v_bfrev_b32_e32 v20, 1
	s_and_saveexec_b64 s[8:9], vcc
	s_cbranch_execz .LBB585_412
; %bb.409:
	s_movk_i32 s7, 0x7f
	v_and_b32_e32 v21, 0x7f, v18
	v_cmp_ne_u32_e32 vcc, s7, v21
	v_mov_b32_e32 v20, 0x7f800001
	s_and_saveexec_b64 s[10:11], vcc
	s_cbranch_execz .LBB585_411
; %bb.410:
	v_and_b32_e32 v20, 7, v18
	v_ffbh_u32_e32 v22, v20
	v_min_u32_e32 v25, 32, v22
	v_subrev_u32_e32 v22, 28, v25
	v_lshlrev_b64 v[22:23], v22, v[18:19]
	v_lshrrev_b32_e32 v24, 3, v21
	v_sub_u32_e32 v18, 29, v25
	v_and_b32_e32 v22, 7, v22
	v_cmp_gt_u32_e32 vcc, 8, v21
	v_cndmask_b32_e32 v18, v24, v18, vcc
	v_cndmask_b32_e32 v20, v20, v22, vcc
	v_lshlrev_b32_e32 v21, 16, v14
	v_bfrev_b32_e32 v22, 60
	v_lshlrev_b32_e32 v20, 20, v20
	v_and_b32_e32 v21, 0x80000000, v21
	v_lshl_add_u32 v18, v18, 23, v22
	v_or3_b32 v20, v21, v18, v20
.LBB585_411:
	s_or_b64 exec, exec, s[10:11]
.LBB585_412:
	s_or_b64 exec, exec, s[8:9]
.LBB585_413:
	s_or_b64 exec, exec, s[2:3]
	s_movk_i32 s2, 0xff
	v_and_b32_sdwa v21, v14, s2 dst_sel:DWORD dst_unused:UNUSED_PAD src0_sel:WORD_1 src1_sel:DWORD
	v_lshrrev_b32_e32 v18, 16, v14
	v_cmp_ne_u16_e32 vcc, 0, v21
	s_and_saveexec_b64 s[2:3], vcc
	s_cbranch_execz .LBB585_419
; %bb.414:
	s_movk_i32 s7, 0x80
	v_cmp_ne_u16_e32 vcc, s7, v21
	v_bfrev_b32_e32 v19, 1
	s_and_saveexec_b64 s[8:9], vcc
	s_cbranch_execz .LBB585_418
; %bb.415:
	v_bfe_u32 v21, v14, 16, 7
	s_movk_i32 s7, 0x7f
	v_cmp_ne_u32_e32 vcc, s7, v21
	v_mov_b32_e32 v19, 0x7f800001
	s_and_saveexec_b64 s[10:11], vcc
	s_cbranch_execz .LBB585_417
; %bb.416:
	v_and_b32_e32 v22, 7, v18
	v_ffbh_u32_e32 v19, v22
	v_min_u32_e32 v24, 32, v19
	v_subrev_u32_e32 v19, 28, v24
	v_lshlrev_b64 v[18:19], v19, v[18:19]
	v_lshrrev_b32_e32 v23, 3, v21
	v_sub_u32_e32 v19, 29, v24
	v_and_b32_e32 v18, 7, v18
	v_cmp_gt_u32_e32 vcc, 8, v21
	v_mov_b32_e32 v21, 24
	v_cndmask_b32_e32 v19, v23, v19, vcc
	v_cndmask_b32_e32 v18, v22, v18, vcc
	v_lshlrev_b32_sdwa v21, v21, v14 dst_sel:DWORD dst_unused:UNUSED_PAD src0_sel:DWORD src1_sel:WORD_1
	v_bfrev_b32_e32 v22, 60
	v_lshlrev_b32_e32 v18, 20, v18
	v_and_b32_e32 v21, 0x80000000, v21
	v_lshl_add_u32 v19, v19, 23, v22
	v_or3_b32 v19, v21, v19, v18
.LBB585_417:
	s_or_b64 exec, exec, s[10:11]
.LBB585_418:
	s_or_b64 exec, exec, s[8:9]
.LBB585_419:
	s_or_b64 exec, exec, s[2:3]
	s_mov_b32 s2, 0xffffff
	v_cmp_lt_u32_e32 vcc, s2, v14
	v_mov_b32_e32 v21, 0
	v_mov_b32_e32 v22, 0
	s_and_saveexec_b64 s[2:3], vcc
	s_cbranch_execz .LBB585_425
; %bb.420:
	v_lshrrev_b32_e32 v18, 24, v14
	s_movk_i32 s7, 0x80
	v_cmp_ne_u32_e32 vcc, s7, v18
	v_bfrev_b32_e32 v22, 1
	s_and_saveexec_b64 s[8:9], vcc
	s_cbranch_execz .LBB585_424
; %bb.421:
	v_bfe_u32 v14, v14, 24, 7
	s_movk_i32 s7, 0x7f
	v_cmp_ne_u32_e32 vcc, s7, v14
	v_mov_b32_e32 v22, 0x7f800001
	s_and_saveexec_b64 s[10:11], vcc
	s_cbranch_execz .LBB585_423
; %bb.422:
	v_and_b32_e32 v24, 7, v18
	v_ffbh_u32_e32 v22, v24
	v_min_u32_e32 v27, 32, v22
	v_subrev_u32_e32 v22, 28, v27
	v_lshlrev_b64 v[22:23], v22, v[18:19]
	v_lshrrev_b32_e32 v25, 3, v14
	v_sub_u32_e32 v23, 29, v27
	v_and_b32_e32 v22, 7, v22
	v_cmp_gt_u32_e32 vcc, 8, v14
	v_cndmask_b32_e32 v14, v25, v23, vcc
	v_cndmask_b32_e32 v22, v24, v22, vcc
	v_lshlrev_b32_e32 v18, 24, v18
	v_bfrev_b32_e32 v23, 60
	v_lshlrev_b32_e32 v22, 20, v22
	v_and_b32_e32 v18, 0x80000000, v18
	v_lshl_add_u32 v14, v14, 23, v23
	v_or3_b32 v22, v18, v14, v22
.LBB585_423:
	s_or_b64 exec, exec, s[10:11]
.LBB585_424:
	s_or_b64 exec, exec, s[8:9]
.LBB585_425:
	s_or_b64 exec, exec, s[2:3]
	v_cmp_ne_u16_sdwa s[8:9], v15, v21 src0_sel:BYTE_0 src1_sel:DWORD
	s_and_saveexec_b64 s[2:3], s[8:9]
	s_cbranch_execz .LBB585_431
; %bb.426:
	s_movk_i32 s7, 0x80
	v_cmp_ne_u16_sdwa s[10:11], v15, s7 src0_sel:BYTE_0 src1_sel:DWORD
	v_bfrev_b32_e32 v21, 1
	s_and_saveexec_b64 s[8:9], s[10:11]
	s_cbranch_execz .LBB585_430
; %bb.427:
	s_movk_i32 s7, 0x7f
	v_and_b32_e32 v14, 0x7f, v15
	v_cmp_ne_u32_e32 vcc, s7, v14
	v_mov_b32_e32 v21, 0x7f800001
	s_and_saveexec_b64 s[10:11], vcc
	s_cbranch_execz .LBB585_429
; %bb.428:
	v_and_b32_e32 v21, 7, v15
	v_ffbh_u32_e32 v24, v21
	v_min_u32_e32 v27, 32, v24
	v_mov_b32_e32 v18, v15
	v_subrev_u32_e32 v24, 28, v27
	v_lshlrev_b64 v[24:25], v24, v[18:19]
	v_lshrrev_b32_e32 v23, 3, v14
	v_sub_u32_e32 v18, 29, v27
	v_and_b32_e32 v24, 7, v24
	v_cmp_gt_u32_e32 vcc, 8, v14
	v_cndmask_b32_e32 v14, v23, v18, vcc
	v_cndmask_b32_e32 v18, v21, v24, vcc
	v_lshlrev_b32_e32 v21, 24, v15
	v_bfrev_b32_e32 v23, 60
	v_lshlrev_b32_e32 v18, 20, v18
	v_and_b32_e32 v21, 0x80000000, v21
	v_lshl_add_u32 v14, v14, 23, v23
	v_or3_b32 v21, v21, v14, v18
.LBB585_429:
	s_or_b64 exec, exec, s[10:11]
.LBB585_430:
	s_or_b64 exec, exec, s[8:9]
.LBB585_431:
	s_or_b64 exec, exec, s[2:3]
	v_lshrrev_b16_e32 v14, 8, v15
	v_cmp_ne_u16_e32 vcc, 0, v14
	v_mov_b32_e32 v18, 0
	v_mov_b32_e32 v24, 0
	s_and_saveexec_b64 s[2:3], vcc
	s_cbranch_execz .LBB585_437
; %bb.432:
	s_movk_i32 s7, 0x80
	v_cmp_ne_u16_e32 vcc, s7, v14
	v_bfrev_b32_e32 v24, 1
	s_and_saveexec_b64 s[8:9], vcc
	s_cbranch_execz .LBB585_436
; %bb.433:
	s_movk_i32 s7, 0x7f
	v_and_b32_e32 v23, 0x7f, v14
	v_cmp_ne_u32_e32 vcc, s7, v23
	v_mov_b32_e32 v24, 0x7f800001
	s_and_saveexec_b64 s[10:11], vcc
	s_cbranch_execz .LBB585_435
; %bb.434:
	v_and_b32_e32 v27, 7, v14
	v_ffbh_u32_e32 v24, v27
	v_min_u32_e32 v29, 32, v24
	v_subrev_u32_e32 v24, 28, v29
	v_lshlrev_b64 v[24:25], v24, v[14:15]
	v_lshrrev_b32_e32 v28, 3, v23
	v_sub_u32_e32 v14, 29, v29
	v_and_b32_e32 v24, 7, v24
	v_cmp_gt_u32_e32 vcc, 8, v23
	v_cndmask_b32_e32 v14, v28, v14, vcc
	v_cndmask_b32_e32 v23, v27, v24, vcc
	v_lshlrev_b32_e32 v24, 16, v15
	v_bfrev_b32_e32 v25, 60
	v_lshlrev_b32_e32 v23, 20, v23
	v_and_b32_e32 v24, 0x80000000, v24
	v_lshl_add_u32 v14, v14, 23, v25
	v_or3_b32 v24, v24, v14, v23
.LBB585_435:
	s_or_b64 exec, exec, s[10:11]
.LBB585_436:
	s_or_b64 exec, exec, s[8:9]
.LBB585_437:
	s_or_b64 exec, exec, s[2:3]
	s_movk_i32 s2, 0xff
	v_and_b32_sdwa v23, v15, s2 dst_sel:DWORD dst_unused:UNUSED_PAD src0_sel:WORD_1 src1_sel:DWORD
	v_lshrrev_b32_e32 v14, 16, v15
	v_cmp_ne_u16_e32 vcc, 0, v23
	s_and_saveexec_b64 s[2:3], vcc
	s_cbranch_execz .LBB585_443
; %bb.438:
	s_movk_i32 s7, 0x80
	v_cmp_ne_u16_e32 vcc, s7, v23
	v_bfrev_b32_e32 v18, 1
	s_and_saveexec_b64 s[8:9], vcc
	s_cbranch_execz .LBB585_442
; %bb.439:
	v_bfe_u32 v23, v15, 16, 7
	s_movk_i32 s7, 0x7f
	v_cmp_ne_u32_e32 vcc, s7, v23
	v_mov_b32_e32 v18, 0x7f800001
	s_and_saveexec_b64 s[10:11], vcc
	s_cbranch_execz .LBB585_441
; %bb.440:
	v_and_b32_e32 v18, 7, v14
	v_ffbh_u32_e32 v27, v18
	v_min_u32_e32 v27, 32, v27
	v_subrev_u32_e32 v28, 28, v27
	v_lshlrev_b64 v[28:29], v28, v[14:15]
	v_lshrrev_b32_e32 v25, 3, v23
	v_sub_u32_e32 v14, 29, v27
	v_and_b32_e32 v27, 7, v28
	v_cmp_gt_u32_e32 vcc, 8, v23
	v_mov_b32_e32 v23, 24
	v_cndmask_b32_e32 v14, v25, v14, vcc
	v_cndmask_b32_e32 v18, v18, v27, vcc
	v_lshlrev_b32_sdwa v23, v23, v15 dst_sel:DWORD dst_unused:UNUSED_PAD src0_sel:DWORD src1_sel:WORD_1
	v_bfrev_b32_e32 v25, 60
	v_lshlrev_b32_e32 v18, 20, v18
	v_and_b32_e32 v23, 0x80000000, v23
	v_lshl_add_u32 v14, v14, 23, v25
	v_or3_b32 v18, v23, v14, v18
.LBB585_441:
	s_or_b64 exec, exec, s[10:11]
.LBB585_442:
	s_or_b64 exec, exec, s[8:9]
.LBB585_443:
	s_or_b64 exec, exec, s[2:3]
	s_mov_b32 s2, 0xffffff
	v_cmp_lt_u32_e32 vcc, s2, v15
	v_mov_b32_e32 v23, 0
	v_mov_b32_e32 v25, 0
	s_and_saveexec_b64 s[2:3], vcc
	s_cbranch_execz .LBB585_449
; %bb.444:
	v_lshrrev_b32_e32 v14, 24, v15
	s_movk_i32 s7, 0x80
	v_cmp_ne_u32_e32 vcc, s7, v14
	v_bfrev_b32_e32 v25, 1
	s_and_saveexec_b64 s[8:9], vcc
	s_cbranch_execz .LBB585_448
; %bb.445:
	v_bfe_u32 v15, v15, 24, 7
	s_movk_i32 s7, 0x7f
	v_cmp_ne_u32_e32 vcc, s7, v15
	v_mov_b32_e32 v25, 0x7f800001
	s_and_saveexec_b64 s[10:11], vcc
	s_cbranch_execz .LBB585_447
; %bb.446:
	v_and_b32_e32 v25, 7, v14
	v_ffbh_u32_e32 v28, v25
	v_min_u32_e32 v30, 32, v28
	v_subrev_u32_e32 v28, 28, v30
	v_lshlrev_b64 v[28:29], v28, v[14:15]
	v_lshrrev_b32_e32 v27, 3, v15
	v_sub_u32_e32 v29, 29, v30
	v_and_b32_e32 v28, 7, v28
	v_cmp_gt_u32_e32 vcc, 8, v15
	v_cndmask_b32_e32 v15, v27, v29, vcc
	v_cndmask_b32_e32 v25, v25, v28, vcc
	v_lshlrev_b32_e32 v14, 24, v14
	v_bfrev_b32_e32 v27, 60
	v_lshlrev_b32_e32 v25, 20, v25
	v_and_b32_e32 v14, 0x80000000, v14
	v_lshl_add_u32 v15, v15, 23, v27
	v_or3_b32 v25, v14, v15, v25
.LBB585_447:
	s_or_b64 exec, exec, s[10:11]
.LBB585_448:
	s_or_b64 exec, exec, s[8:9]
.LBB585_449:
	s_or_b64 exec, exec, s[2:3]
	v_cvt_pkrtz_f16_f32 v15, v19, v22
	v_lshl_or_b32 v22, v1, 9, v48
	v_cvt_pkrtz_f16_f32 v14, v32, v20
	ds_read_b128 v[28:31], v22
	v_cmp_ne_u16_sdwa s[8:9], v16, v23 src0_sel:BYTE_0 src1_sel:DWORD
	s_waitcnt lgkmcnt(0)
	v_mfma_f32_16x16x16f16 v[32:35], v[14:15], v[28:29], 0
	v_cvt_pkrtz_f16_f32 v14, v21, v24
	v_cvt_pkrtz_f16_f32 v15, v18, v25
	s_nop 1
	v_mfma_f32_16x16x16f16 v[18:21], v[14:15], v[30:31], v[32:35]
	s_and_saveexec_b64 s[2:3], s[8:9]
	s_cbranch_execz .LBB585_455
; %bb.450:
	s_movk_i32 s7, 0x80
	v_cmp_ne_u16_sdwa s[10:11], v16, s7 src0_sel:BYTE_0 src1_sel:DWORD
	v_bfrev_b32_e32 v23, 1
	s_and_saveexec_b64 s[8:9], s[10:11]
	s_cbranch_execz .LBB585_454
; %bb.451:
	s_movk_i32 s7, 0x7f
	v_and_b32_e32 v14, 0x7f, v16
	v_cmp_ne_u32_e32 vcc, s7, v14
	v_mov_b32_e32 v23, 0x7f800001
	s_and_saveexec_b64 s[10:11], vcc
	s_cbranch_execz .LBB585_453
; %bb.452:
	v_and_b32_e32 v15, 7, v16
	v_ffbh_u32_e32 v24, v15
	v_min_u32_e32 v27, 32, v24
	v_subrev_u32_e32 v24, 28, v27
	v_lshlrev_b64 v[24:25], v24, v[16:17]
	v_lshrrev_b32_e32 v23, 3, v14
	v_sub_u32_e32 v25, 29, v27
	v_and_b32_e32 v24, 7, v24
	v_cmp_gt_u32_e32 vcc, 8, v14
	v_cndmask_b32_e32 v14, v23, v25, vcc
	v_cndmask_b32_e32 v15, v15, v24, vcc
	v_lshlrev_b32_e32 v23, 24, v16
	v_bfrev_b32_e32 v24, 60
	v_lshlrev_b32_e32 v15, 20, v15
	v_and_b32_e32 v23, 0x80000000, v23
	v_lshl_add_u32 v14, v14, 23, v24
	v_or3_b32 v23, v23, v14, v15
.LBB585_453:
	s_or_b64 exec, exec, s[10:11]
.LBB585_454:
	s_or_b64 exec, exec, s[8:9]
.LBB585_455:
	s_or_b64 exec, exec, s[2:3]
	v_lshrrev_b16_e32 v14, 8, v16
	v_cmp_ne_u16_e32 vcc, 0, v14
	v_mov_b32_e32 v15, 0
	v_mov_b32_e32 v25, 0
	s_and_saveexec_b64 s[2:3], vcc
	s_cbranch_execz .LBB585_461
; %bb.456:
	s_movk_i32 s7, 0x80
	v_cmp_ne_u16_e32 vcc, s7, v14
	v_bfrev_b32_e32 v25, 1
	s_and_saveexec_b64 s[8:9], vcc
	s_cbranch_execz .LBB585_460
; %bb.457:
	s_movk_i32 s7, 0x7f
	v_and_b32_e32 v24, 0x7f, v14
	v_cmp_ne_u32_e32 vcc, s7, v24
	v_mov_b32_e32 v25, 0x7f800001
	s_and_saveexec_b64 s[10:11], vcc
	s_cbranch_execz .LBB585_459
; %bb.458:
	v_and_b32_e32 v25, 7, v14
	v_ffbh_u32_e32 v28, v25
	v_min_u32_e32 v30, 32, v28
	v_subrev_u32_e32 v28, 28, v30
	v_lshlrev_b64 v[28:29], v28, v[14:15]
	v_lshrrev_b32_e32 v27, 3, v24
	v_sub_u32_e32 v14, 29, v30
	v_and_b32_e32 v28, 7, v28
	v_cmp_gt_u32_e32 vcc, 8, v24
	v_cndmask_b32_e32 v14, v27, v14, vcc
	v_cndmask_b32_e32 v24, v25, v28, vcc
	v_lshlrev_b32_e32 v25, 16, v16
	v_bfrev_b32_e32 v27, 60
	v_lshlrev_b32_e32 v24, 20, v24
	v_and_b32_e32 v25, 0x80000000, v25
	v_lshl_add_u32 v14, v14, 23, v27
	v_or3_b32 v25, v25, v14, v24
.LBB585_459:
	s_or_b64 exec, exec, s[10:11]
.LBB585_460:
	s_or_b64 exec, exec, s[8:9]
.LBB585_461:
	s_or_b64 exec, exec, s[2:3]
	s_movk_i32 s2, 0xff
	v_and_b32_sdwa v24, v16, s2 dst_sel:DWORD dst_unused:UNUSED_PAD src0_sel:WORD_1 src1_sel:DWORD
	v_lshrrev_b32_e32 v14, 16, v16
	v_cmp_ne_u16_e32 vcc, 0, v24
	s_and_saveexec_b64 s[2:3], vcc
	s_cbranch_execz .LBB585_467
; %bb.462:
	s_movk_i32 s7, 0x80
	v_cmp_ne_u16_e32 vcc, s7, v24
	v_bfrev_b32_e32 v15, 1
	s_and_saveexec_b64 s[8:9], vcc
	s_cbranch_execz .LBB585_466
; %bb.463:
	v_bfe_u32 v24, v16, 16, 7
	s_movk_i32 s7, 0x7f
	v_cmp_ne_u32_e32 vcc, s7, v24
	v_mov_b32_e32 v15, 0x7f800001
	s_and_saveexec_b64 s[10:11], vcc
	s_cbranch_execz .LBB585_465
; %bb.464:
	v_and_b32_e32 v27, 7, v14
	v_ffbh_u32_e32 v15, v27
	v_min_u32_e32 v29, 32, v15
	v_subrev_u32_e32 v15, 28, v29
	v_lshlrev_b64 v[14:15], v15, v[14:15]
	v_lshrrev_b32_e32 v28, 3, v24
	v_sub_u32_e32 v15, 29, v29
	v_and_b32_e32 v14, 7, v14
	v_cmp_gt_u32_e32 vcc, 8, v24
	v_mov_b32_e32 v24, 24
	v_cndmask_b32_e32 v15, v28, v15, vcc
	v_cndmask_b32_e32 v14, v27, v14, vcc
	v_lshlrev_b32_sdwa v24, v24, v16 dst_sel:DWORD dst_unused:UNUSED_PAD src0_sel:DWORD src1_sel:WORD_1
	v_bfrev_b32_e32 v27, 60
	v_lshlrev_b32_e32 v14, 20, v14
	v_and_b32_e32 v24, 0x80000000, v24
	v_lshl_add_u32 v15, v15, 23, v27
	v_or3_b32 v15, v24, v15, v14
.LBB585_465:
	s_or_b64 exec, exec, s[10:11]
.LBB585_466:
	s_or_b64 exec, exec, s[8:9]
.LBB585_467:
	s_or_b64 exec, exec, s[2:3]
	s_mov_b32 s2, 0xffffff
	v_cmp_lt_u32_e32 vcc, s2, v16
	v_mov_b32_e32 v27, 0
	v_mov_b32_e32 v28, 0
	s_and_saveexec_b64 s[2:3], vcc
	s_cbranch_execz .LBB585_473
; %bb.468:
	v_lshrrev_b32_e32 v14, 24, v16
	s_movk_i32 s7, 0x80
	v_cmp_ne_u32_e32 vcc, s7, v14
	v_bfrev_b32_e32 v28, 1
	s_and_saveexec_b64 s[8:9], vcc
	s_cbranch_execz .LBB585_472
; %bb.469:
	v_bfe_u32 v16, v16, 24, 7
	s_movk_i32 s7, 0x7f
	v_cmp_ne_u32_e32 vcc, s7, v16
	v_mov_b32_e32 v28, 0x7f800001
	s_and_saveexec_b64 s[10:11], vcc
	s_cbranch_execz .LBB585_471
; %bb.470:
	v_and_b32_e32 v24, 7, v14
	v_ffbh_u32_e32 v28, v24
	v_min_u32_e32 v31, 32, v28
	v_subrev_u32_e32 v28, 28, v31
	v_lshlrev_b64 v[28:29], v28, v[14:15]
	v_lshrrev_b32_e32 v30, 3, v16
	v_sub_u32_e32 v29, 29, v31
	v_and_b32_e32 v28, 7, v28
	v_cmp_gt_u32_e32 vcc, 8, v16
	v_cndmask_b32_e32 v16, v30, v29, vcc
	v_cndmask_b32_e32 v24, v24, v28, vcc
	v_lshlrev_b32_e32 v14, 24, v14
	v_bfrev_b32_e32 v28, 60
	v_lshlrev_b32_e32 v24, 20, v24
	v_and_b32_e32 v14, 0x80000000, v14
	v_lshl_add_u32 v16, v16, 23, v28
	v_or3_b32 v28, v14, v16, v24
.LBB585_471:
	s_or_b64 exec, exec, s[10:11]
.LBB585_472:
	s_or_b64 exec, exec, s[8:9]
.LBB585_473:
	s_or_b64 exec, exec, s[2:3]
	v_cmp_ne_u16_sdwa s[8:9], v17, v27 src0_sel:BYTE_0 src1_sel:DWORD
	s_and_saveexec_b64 s[2:3], s[8:9]
	s_cbranch_execz .LBB585_479
; %bb.474:
	s_movk_i32 s7, 0x80
	v_cmp_ne_u16_sdwa s[10:11], v17, s7 src0_sel:BYTE_0 src1_sel:DWORD
	v_bfrev_b32_e32 v27, 1
	s_and_saveexec_b64 s[8:9], s[10:11]
	s_cbranch_execz .LBB585_478
; %bb.475:
	s_movk_i32 s7, 0x7f
	v_and_b32_e32 v14, 0x7f, v17
	v_cmp_ne_u32_e32 vcc, s7, v14
	v_mov_b32_e32 v27, 0x7f800001
	s_and_saveexec_b64 s[10:11], vcc
	s_cbranch_execz .LBB585_477
; %bb.476:
	v_and_b32_e32 v24, 7, v17
	v_ffbh_u32_e32 v29, v24
	v_min_u32_e32 v29, 32, v29
	v_mov_b32_e32 v16, v17
	v_subrev_u32_e32 v30, 28, v29
	v_lshlrev_b64 v[30:31], v30, v[16:17]
	v_lshrrev_b32_e32 v27, 3, v14
	v_sub_u32_e32 v16, 29, v29
	v_and_b32_e32 v29, 7, v30
	v_cmp_gt_u32_e32 vcc, 8, v14
	v_cndmask_b32_e32 v14, v27, v16, vcc
	v_cndmask_b32_e32 v16, v24, v29, vcc
	v_lshlrev_b32_e32 v24, 24, v17
	v_bfrev_b32_e32 v27, 60
	v_lshlrev_b32_e32 v16, 20, v16
	v_and_b32_e32 v24, 0x80000000, v24
	v_lshl_add_u32 v14, v14, 23, v27
	v_or3_b32 v27, v24, v14, v16
.LBB585_477:
	s_or_b64 exec, exec, s[10:11]
.LBB585_478:
	s_or_b64 exec, exec, s[8:9]
.LBB585_479:
	s_or_b64 exec, exec, s[2:3]
	v_lshrrev_b16_e32 v14, 8, v17
	v_cmp_ne_u16_e32 vcc, 0, v14
	v_mov_b32_e32 v16, 0
	v_mov_b32_e32 v29, 0
	s_and_saveexec_b64 s[2:3], vcc
	s_cbranch_execz .LBB585_485
; %bb.480:
	s_movk_i32 s7, 0x80
	v_cmp_ne_u16_e32 vcc, s7, v14
	v_bfrev_b32_e32 v29, 1
	s_and_saveexec_b64 s[8:9], vcc
	s_cbranch_execz .LBB585_484
; %bb.481:
	s_movk_i32 s7, 0x7f
	v_and_b32_e32 v24, 0x7f, v14
	v_cmp_ne_u32_e32 vcc, s7, v24
	v_mov_b32_e32 v29, 0x7f800001
	s_and_saveexec_b64 s[10:11], vcc
	s_cbranch_execz .LBB585_483
; %bb.482:
	v_and_b32_e32 v29, 7, v14
	v_ffbh_u32_e32 v30, v29
	v_min_u32_e32 v33, 32, v30
	v_subrev_u32_e32 v30, 28, v33
	v_lshlrev_b64 v[30:31], v30, v[14:15]
	v_lshrrev_b32_e32 v32, 3, v24
	v_sub_u32_e32 v14, 29, v33
	v_and_b32_e32 v30, 7, v30
	v_cmp_gt_u32_e32 vcc, 8, v24
	v_cndmask_b32_e32 v14, v32, v14, vcc
	v_cndmask_b32_e32 v24, v29, v30, vcc
	v_lshlrev_b32_e32 v29, 16, v17
	v_bfrev_b32_e32 v30, 60
	v_lshlrev_b32_e32 v24, 20, v24
	v_and_b32_e32 v29, 0x80000000, v29
	v_lshl_add_u32 v14, v14, 23, v30
	v_or3_b32 v29, v29, v14, v24
.LBB585_483:
	s_or_b64 exec, exec, s[10:11]
.LBB585_484:
	s_or_b64 exec, exec, s[8:9]
.LBB585_485:
	s_or_b64 exec, exec, s[2:3]
	s_movk_i32 s2, 0xff
	v_and_b32_sdwa v24, v17, s2 dst_sel:DWORD dst_unused:UNUSED_PAD src0_sel:WORD_1 src1_sel:DWORD
	v_lshrrev_b32_e32 v14, 16, v17
	v_cmp_ne_u16_e32 vcc, 0, v24
	s_and_saveexec_b64 s[2:3], vcc
	s_cbranch_execz .LBB585_491
; %bb.486:
	s_movk_i32 s7, 0x80
	v_cmp_ne_u16_e32 vcc, s7, v24
	v_bfrev_b32_e32 v16, 1
	s_and_saveexec_b64 s[8:9], vcc
	s_cbranch_execz .LBB585_490
; %bb.487:
	v_bfe_u32 v24, v17, 16, 7
	s_movk_i32 s7, 0x7f
	v_cmp_ne_u32_e32 vcc, s7, v24
	v_mov_b32_e32 v16, 0x7f800001
	s_and_saveexec_b64 s[10:11], vcc
	s_cbranch_execz .LBB585_489
; %bb.488:
	v_and_b32_e32 v16, 7, v14
	v_ffbh_u32_e32 v30, v16
	v_min_u32_e32 v33, 32, v30
	v_subrev_u32_e32 v30, 28, v33
	v_lshlrev_b64 v[30:31], v30, v[14:15]
	v_lshrrev_b32_e32 v32, 3, v24
	v_sub_u32_e32 v14, 29, v33
	v_and_b32_e32 v30, 7, v30
	v_cmp_gt_u32_e32 vcc, 8, v24
	v_mov_b32_e32 v24, 24
	v_cndmask_b32_e32 v14, v32, v14, vcc
	v_cndmask_b32_e32 v16, v16, v30, vcc
	v_lshlrev_b32_sdwa v24, v24, v17 dst_sel:DWORD dst_unused:UNUSED_PAD src0_sel:DWORD src1_sel:WORD_1
	v_bfrev_b32_e32 v30, 60
	v_lshlrev_b32_e32 v16, 20, v16
	v_and_b32_e32 v24, 0x80000000, v24
	v_lshl_add_u32 v14, v14, 23, v30
	v_or3_b32 v16, v24, v14, v16
.LBB585_489:
	s_or_b64 exec, exec, s[10:11]
.LBB585_490:
	s_or_b64 exec, exec, s[8:9]
.LBB585_491:
	s_or_b64 exec, exec, s[2:3]
	s_mov_b32 s2, 0xffffff
	v_cmp_lt_u32_e32 vcc, s2, v17
	v_mov_b32_e32 v24, 0
	v_mov_b32_e32 v30, 0
	s_and_saveexec_b64 s[2:3], vcc
	s_cbranch_execz .LBB585_497
; %bb.492:
	v_lshrrev_b32_e32 v14, 24, v17
	s_movk_i32 s7, 0x80
	v_cmp_ne_u32_e32 vcc, s7, v14
	v_bfrev_b32_e32 v30, 1
	s_and_saveexec_b64 s[8:9], vcc
	s_cbranch_execz .LBB585_496
; %bb.493:
	v_bfe_u32 v17, v17, 24, 7
	s_movk_i32 s7, 0x7f
	v_cmp_ne_u32_e32 vcc, s7, v17
	v_mov_b32_e32 v30, 0x7f800001
	s_and_saveexec_b64 s[10:11], vcc
	s_cbranch_execz .LBB585_495
; %bb.494:
	v_and_b32_e32 v32, 7, v14
	v_ffbh_u32_e32 v30, v32
	v_min_u32_e32 v34, 32, v30
	v_subrev_u32_e32 v30, 28, v34
	v_lshlrev_b64 v[30:31], v30, v[14:15]
	v_lshrrev_b32_e32 v33, 3, v17
	v_sub_u32_e32 v31, 29, v34
	v_and_b32_e32 v30, 7, v30
	v_cmp_gt_u32_e32 vcc, 8, v17
	v_cndmask_b32_e32 v17, v33, v31, vcc
	v_cndmask_b32_e32 v30, v32, v30, vcc
	v_lshlrev_b32_e32 v14, 24, v14
	v_bfrev_b32_e32 v31, 60
	v_lshlrev_b32_e32 v30, 20, v30
	v_and_b32_e32 v14, 0x80000000, v14
	v_lshl_add_u32 v17, v17, 23, v31
	v_or3_b32 v30, v14, v17, v30
.LBB585_495:
	s_or_b64 exec, exec, s[10:11]
.LBB585_496:
	s_or_b64 exec, exec, s[8:9]
.LBB585_497:
	s_or_b64 exec, exec, s[2:3]
	v_cvt_pkrtz_f16_f32 v14, v23, v25
	v_cvt_pkrtz_f16_f32 v15, v15, v28
	ds_read_b128 v[32:35], v22 offset:16
	s_waitcnt vmcnt(2)
	v_cmp_ne_u16_sdwa s[8:9], v10, v24 src0_sel:BYTE_0 src1_sel:DWORD
	s_waitcnt lgkmcnt(0)
	v_mfma_f32_16x16x16f16 v[18:21], v[14:15], v[32:33], v[18:21]
	v_cvt_pkrtz_f16_f32 v14, v27, v29
	v_cvt_pkrtz_f16_f32 v15, v16, v30
	s_nop 1
	v_mfma_f32_16x16x16f16 v[14:17], v[14:15], v[34:35], v[18:21]
	s_and_saveexec_b64 s[2:3], s[8:9]
	s_cbranch_execz .LBB585_503
; %bb.498:
	s_movk_i32 s7, 0x80
	v_cmp_ne_u16_sdwa s[10:11], v10, s7 src0_sel:BYTE_0 src1_sel:DWORD
	v_bfrev_b32_e32 v24, 1
	s_and_saveexec_b64 s[8:9], s[10:11]
	s_cbranch_execz .LBB585_502
; %bb.499:
	s_movk_i32 s7, 0x7f
	v_and_b32_e32 v18, 0x7f, v10
	v_cmp_ne_u32_e32 vcc, s7, v18
	v_mov_b32_e32 v24, 0x7f800001
	s_and_saveexec_b64 s[10:11], vcc
	s_cbranch_execz .LBB585_501
; %bb.500:
	v_and_b32_e32 v19, 7, v10
	v_ffbh_u32_e32 v20, v19
	v_min_u32_e32 v24, 32, v20
	v_subrev_u32_e32 v20, 28, v24
	v_lshlrev_b64 v[20:21], v20, v[10:11]
	v_lshrrev_b32_e32 v23, 3, v18
	v_sub_u32_e32 v21, 29, v24
	v_and_b32_e32 v20, 7, v20
	v_cmp_gt_u32_e32 vcc, 8, v18
	v_cndmask_b32_e32 v18, v23, v21, vcc
	v_cndmask_b32_e32 v19, v19, v20, vcc
	v_lshlrev_b32_e32 v20, 24, v10
	v_bfrev_b32_e32 v21, 60
	v_lshlrev_b32_e32 v19, 20, v19
	v_and_b32_e32 v20, 0x80000000, v20
	v_lshl_add_u32 v18, v18, 23, v21
	v_or3_b32 v24, v20, v18, v19
.LBB585_501:
	s_or_b64 exec, exec, s[10:11]
.LBB585_502:
	s_or_b64 exec, exec, s[8:9]
.LBB585_503:
	s_or_b64 exec, exec, s[2:3]
	s_nop 3
	v_lshrrev_b16_e32 v18, 8, v10
	v_cmp_ne_u16_e32 vcc, 0, v18
	v_mov_b32_e32 v19, 0
	v_mov_b32_e32 v20, 0
	s_and_saveexec_b64 s[2:3], vcc
	s_cbranch_execz .LBB585_509
; %bb.504:
	s_movk_i32 s7, 0x80
	v_cmp_ne_u16_e32 vcc, s7, v18
	v_bfrev_b32_e32 v20, 1
	s_and_saveexec_b64 s[8:9], vcc
	s_cbranch_execz .LBB585_508
; %bb.505:
	s_movk_i32 s7, 0x7f
	v_and_b32_e32 v21, 0x7f, v18
	v_cmp_ne_u32_e32 vcc, s7, v21
	v_mov_b32_e32 v20, 0x7f800001
	s_and_saveexec_b64 s[10:11], vcc
	s_cbranch_execz .LBB585_507
; %bb.506:
	v_and_b32_e32 v20, 7, v18
	v_ffbh_u32_e32 v25, v20
	v_min_u32_e32 v25, 32, v25
	v_subrev_u32_e32 v27, 28, v25
	v_lshlrev_b64 v[28:29], v27, v[18:19]
	v_lshrrev_b32_e32 v23, 3, v21
	v_sub_u32_e32 v18, 29, v25
	v_and_b32_e32 v25, 7, v28
	v_cmp_gt_u32_e32 vcc, 8, v21
	v_cndmask_b32_e32 v18, v23, v18, vcc
	v_cndmask_b32_e32 v20, v20, v25, vcc
	v_lshlrev_b32_e32 v21, 16, v10
	v_bfrev_b32_e32 v23, 60
	v_lshlrev_b32_e32 v20, 20, v20
	v_and_b32_e32 v21, 0x80000000, v21
	v_lshl_add_u32 v18, v18, 23, v23
	v_or3_b32 v20, v21, v18, v20
.LBB585_507:
	s_or_b64 exec, exec, s[10:11]
.LBB585_508:
	s_or_b64 exec, exec, s[8:9]
.LBB585_509:
	s_or_b64 exec, exec, s[2:3]
	s_movk_i32 s2, 0xff
	v_and_b32_sdwa v21, v10, s2 dst_sel:DWORD dst_unused:UNUSED_PAD src0_sel:WORD_1 src1_sel:DWORD
	v_lshrrev_b32_e32 v18, 16, v10
	v_cmp_ne_u16_e32 vcc, 0, v21
	s_and_saveexec_b64 s[2:3], vcc
	s_cbranch_execz .LBB585_515
; %bb.510:
	s_movk_i32 s7, 0x80
	v_cmp_ne_u16_e32 vcc, s7, v21
	v_bfrev_b32_e32 v19, 1
	s_and_saveexec_b64 s[8:9], vcc
	s_cbranch_execz .LBB585_514
; %bb.511:
	v_bfe_u32 v21, v10, 16, 7
	s_movk_i32 s7, 0x7f
	v_cmp_ne_u32_e32 vcc, s7, v21
	v_mov_b32_e32 v19, 0x7f800001
	s_and_saveexec_b64 s[10:11], vcc
	s_cbranch_execz .LBB585_513
; %bb.512:
	v_and_b32_e32 v23, 7, v18
	v_ffbh_u32_e32 v19, v23
	v_min_u32_e32 v27, 32, v19
	v_subrev_u32_e32 v19, 28, v27
	v_lshlrev_b64 v[18:19], v19, v[18:19]
	v_lshrrev_b32_e32 v25, 3, v21
	v_sub_u32_e32 v19, 29, v27
	v_and_b32_e32 v18, 7, v18
	v_cmp_gt_u32_e32 vcc, 8, v21
	v_mov_b32_e32 v21, 24
	v_cndmask_b32_e32 v19, v25, v19, vcc
	v_cndmask_b32_e32 v18, v23, v18, vcc
	v_lshlrev_b32_sdwa v21, v21, v10 dst_sel:DWORD dst_unused:UNUSED_PAD src0_sel:DWORD src1_sel:WORD_1
	v_bfrev_b32_e32 v23, 60
	v_lshlrev_b32_e32 v18, 20, v18
	v_and_b32_e32 v21, 0x80000000, v21
	v_lshl_add_u32 v19, v19, 23, v23
	v_or3_b32 v19, v21, v19, v18
.LBB585_513:
	s_or_b64 exec, exec, s[10:11]
.LBB585_514:
	s_or_b64 exec, exec, s[8:9]
.LBB585_515:
	s_or_b64 exec, exec, s[2:3]
	s_mov_b32 s2, 0xffffff
	v_cmp_lt_u32_e32 vcc, s2, v10
	v_mov_b32_e32 v21, 0
	v_mov_b32_e32 v23, 0
	s_and_saveexec_b64 s[2:3], vcc
	s_cbranch_execz .LBB585_521
; %bb.516:
	v_lshrrev_b32_e32 v18, 24, v10
	s_movk_i32 s7, 0x80
	v_cmp_ne_u32_e32 vcc, s7, v18
	v_bfrev_b32_e32 v23, 1
	s_and_saveexec_b64 s[8:9], vcc
	s_cbranch_execz .LBB585_520
; %bb.517:
	v_bfe_u32 v10, v10, 24, 7
	s_movk_i32 s7, 0x7f
	v_cmp_ne_u32_e32 vcc, s7, v10
	v_mov_b32_e32 v23, 0x7f800001
	s_and_saveexec_b64 s[10:11], vcc
	s_cbranch_execz .LBB585_519
; %bb.518:
	v_and_b32_e32 v23, 7, v18
	v_ffbh_u32_e32 v27, v23
	v_min_u32_e32 v27, 32, v27
	v_subrev_u32_e32 v28, 28, v27
	v_lshlrev_b64 v[28:29], v28, v[18:19]
	v_lshrrev_b32_e32 v25, 3, v10
	v_sub_u32_e32 v27, 29, v27
	v_and_b32_e32 v28, 7, v28
	v_cmp_gt_u32_e32 vcc, 8, v10
	v_cndmask_b32_e32 v10, v25, v27, vcc
	v_cndmask_b32_e32 v23, v23, v28, vcc
	v_lshlrev_b32_e32 v18, 24, v18
	v_bfrev_b32_e32 v25, 60
	v_lshlrev_b32_e32 v23, 20, v23
	v_and_b32_e32 v18, 0x80000000, v18
	v_lshl_add_u32 v10, v10, 23, v25
	v_or3_b32 v23, v18, v10, v23
.LBB585_519:
	s_or_b64 exec, exec, s[10:11]
.LBB585_520:
	s_or_b64 exec, exec, s[8:9]
.LBB585_521:
	s_or_b64 exec, exec, s[2:3]
	v_cmp_ne_u16_sdwa s[8:9], v11, v21 src0_sel:BYTE_0 src1_sel:DWORD
	s_and_saveexec_b64 s[2:3], s[8:9]
	s_cbranch_execz .LBB585_527
; %bb.522:
	s_movk_i32 s7, 0x80
	v_cmp_ne_u16_sdwa s[10:11], v11, s7 src0_sel:BYTE_0 src1_sel:DWORD
	v_bfrev_b32_e32 v21, 1
	s_and_saveexec_b64 s[8:9], s[10:11]
	s_cbranch_execz .LBB585_526
; %bb.523:
	s_movk_i32 s7, 0x7f
	v_and_b32_e32 v10, 0x7f, v11
	v_cmp_ne_u32_e32 vcc, s7, v10
	v_mov_b32_e32 v21, 0x7f800001
	s_and_saveexec_b64 s[10:11], vcc
	s_cbranch_execz .LBB585_525
; %bb.524:
	v_and_b32_e32 v21, 7, v11
	v_ffbh_u32_e32 v27, v21
	v_min_u32_e32 v27, 32, v27
	v_mov_b32_e32 v18, v11
	v_subrev_u32_e32 v28, 28, v27
	v_lshlrev_b64 v[28:29], v28, v[18:19]
	v_lshrrev_b32_e32 v25, 3, v10
	v_sub_u32_e32 v18, 29, v27
	v_and_b32_e32 v27, 7, v28
	v_cmp_gt_u32_e32 vcc, 8, v10
	v_cndmask_b32_e32 v10, v25, v18, vcc
	v_cndmask_b32_e32 v18, v21, v27, vcc
	v_lshlrev_b32_e32 v21, 24, v11
	v_bfrev_b32_e32 v25, 60
	v_lshlrev_b32_e32 v18, 20, v18
	v_and_b32_e32 v21, 0x80000000, v21
	v_lshl_add_u32 v10, v10, 23, v25
	v_or3_b32 v21, v21, v10, v18
.LBB585_525:
	s_or_b64 exec, exec, s[10:11]
.LBB585_526:
	s_or_b64 exec, exec, s[8:9]
.LBB585_527:
	s_or_b64 exec, exec, s[2:3]
	v_lshrrev_b16_e32 v10, 8, v11
	v_cmp_ne_u16_e32 vcc, 0, v10
	v_mov_b32_e32 v25, 0
	v_mov_b32_e32 v27, 0
	s_and_saveexec_b64 s[2:3], vcc
	s_cbranch_execz .LBB585_533
; %bb.528:
	s_movk_i32 s7, 0x80
	v_cmp_ne_u16_e32 vcc, s7, v10
	v_bfrev_b32_e32 v27, 1
	s_and_saveexec_b64 s[8:9], vcc
	s_cbranch_execz .LBB585_532
; %bb.529:
	s_movk_i32 s7, 0x7f
	v_and_b32_e32 v18, 0x7f, v10
	v_cmp_ne_u32_e32 vcc, s7, v18
	v_mov_b32_e32 v27, 0x7f800001
	s_and_saveexec_b64 s[10:11], vcc
	s_cbranch_execz .LBB585_531
; %bb.530:
	v_and_b32_e32 v27, 7, v10
	v_ffbh_u32_e32 v28, v27
	v_min_u32_e32 v31, 32, v28
	v_subrev_u32_e32 v28, 28, v31
	v_lshlrev_b64 v[28:29], v28, v[10:11]
	v_lshrrev_b32_e32 v30, 3, v18
	v_sub_u32_e32 v10, 29, v31
	v_and_b32_e32 v28, 7, v28
	v_cmp_gt_u32_e32 vcc, 8, v18
	v_cndmask_b32_e32 v10, v30, v10, vcc
	v_cndmask_b32_e32 v18, v27, v28, vcc
	v_lshlrev_b32_e32 v27, 16, v11
	v_bfrev_b32_e32 v28, 60
	v_lshlrev_b32_e32 v18, 20, v18
	v_and_b32_e32 v27, 0x80000000, v27
	v_lshl_add_u32 v10, v10, 23, v28
	v_or3_b32 v27, v27, v10, v18
.LBB585_531:
	s_or_b64 exec, exec, s[10:11]
.LBB585_532:
	s_or_b64 exec, exec, s[8:9]
.LBB585_533:
	s_or_b64 exec, exec, s[2:3]
	s_movk_i32 s2, 0xff
	v_and_b32_sdwa v18, v11, s2 dst_sel:DWORD dst_unused:UNUSED_PAD src0_sel:WORD_1 src1_sel:DWORD
	v_lshrrev_b32_e32 v10, 16, v11
	v_cmp_ne_u16_e32 vcc, 0, v18
	s_and_saveexec_b64 s[2:3], vcc
	s_cbranch_execz .LBB585_539
; %bb.534:
	s_movk_i32 s7, 0x80
	v_cmp_ne_u16_e32 vcc, s7, v18
	v_bfrev_b32_e32 v25, 1
	s_and_saveexec_b64 s[8:9], vcc
	s_cbranch_execz .LBB585_538
; %bb.535:
	v_bfe_u32 v18, v11, 16, 7
	s_movk_i32 s7, 0x7f
	v_cmp_ne_u32_e32 vcc, s7, v18
	v_mov_b32_e32 v25, 0x7f800001
	s_and_saveexec_b64 s[10:11], vcc
	s_cbranch_execz .LBB585_537
; %bb.536:
	v_and_b32_e32 v25, 7, v10
	v_ffbh_u32_e32 v28, v25
	v_min_u32_e32 v31, 32, v28
	v_subrev_u32_e32 v28, 28, v31
	v_lshlrev_b64 v[28:29], v28, v[10:11]
	v_and_b32_e32 v28, 7, v28
	v_cmp_gt_u32_e32 vcc, 8, v18
	v_lshrrev_b32_e32 v30, 3, v18
	v_sub_u32_e32 v10, 29, v31
	v_cndmask_b32_e32 v18, v25, v28, vcc
	v_mov_b32_e32 v25, 24
	v_cndmask_b32_e32 v10, v30, v10, vcc
	v_lshlrev_b32_sdwa v25, v25, v11 dst_sel:DWORD dst_unused:UNUSED_PAD src0_sel:DWORD src1_sel:WORD_1
	v_bfrev_b32_e32 v28, 60
	v_lshlrev_b32_e32 v18, 20, v18
	v_and_b32_e32 v25, 0x80000000, v25
	v_lshl_add_u32 v10, v10, 23, v28
	v_or3_b32 v25, v25, v10, v18
.LBB585_537:
	s_or_b64 exec, exec, s[10:11]
.LBB585_538:
	s_or_b64 exec, exec, s[8:9]
.LBB585_539:
	s_or_b64 exec, exec, s[2:3]
	s_mov_b32 s2, 0xffffff
	v_cmp_lt_u32_e32 vcc, s2, v11
	v_mov_b32_e32 v18, 0
	v_mov_b32_e32 v28, 0
	s_and_saveexec_b64 s[2:3], vcc
	s_cbranch_execz .LBB585_545
; %bb.540:
	v_lshrrev_b32_e32 v10, 24, v11
	s_movk_i32 s7, 0x80
	v_cmp_ne_u32_e32 vcc, s7, v10
	v_bfrev_b32_e32 v28, 1
	s_and_saveexec_b64 s[8:9], vcc
	s_cbranch_execz .LBB585_544
; %bb.541:
	v_bfe_u32 v11, v11, 24, 7
	s_movk_i32 s7, 0x7f
	v_cmp_ne_u32_e32 vcc, s7, v11
	v_mov_b32_e32 v28, 0x7f800001
	s_and_saveexec_b64 s[10:11], vcc
	s_cbranch_execz .LBB585_543
; %bb.542:
	v_and_b32_e32 v30, 7, v10
	v_ffbh_u32_e32 v28, v30
	v_min_u32_e32 v32, 32, v28
	v_subrev_u32_e32 v28, 28, v32
	v_lshlrev_b64 v[28:29], v28, v[10:11]
	v_lshrrev_b32_e32 v31, 3, v11
	v_sub_u32_e32 v29, 29, v32
	v_and_b32_e32 v28, 7, v28
	v_cmp_gt_u32_e32 vcc, 8, v11
	v_cndmask_b32_e32 v11, v31, v29, vcc
	v_cndmask_b32_e32 v28, v30, v28, vcc
	v_lshlrev_b32_e32 v10, 24, v10
	v_bfrev_b32_e32 v29, 60
	v_lshlrev_b32_e32 v28, 20, v28
	v_and_b32_e32 v10, 0x80000000, v10
	v_lshl_add_u32 v11, v11, 23, v29
	v_or3_b32 v28, v10, v11, v28
.LBB585_543:
	s_or_b64 exec, exec, s[10:11]
.LBB585_544:
	s_or_b64 exec, exec, s[8:9]
.LBB585_545:
	s_or_b64 exec, exec, s[2:3]
	v_cvt_pkrtz_f16_f32 v10, v24, v20
	v_cvt_pkrtz_f16_f32 v11, v19, v23
	ds_read_b128 v[30:33], v22 offset:2048
	v_cmp_ne_u16_sdwa s[8:9], v12, v18 src0_sel:BYTE_0 src1_sel:DWORD
	s_waitcnt lgkmcnt(0)
	v_mfma_f32_16x16x16f16 v[14:17], v[10:11], v[30:31], v[14:17]
	v_cvt_pkrtz_f16_f32 v10, v21, v27
	v_cvt_pkrtz_f16_f32 v11, v25, v28
	s_nop 1
	v_mfma_f32_16x16x16f16 v[14:17], v[10:11], v[32:33], v[14:17]
	s_and_saveexec_b64 s[2:3], s[8:9]
	s_cbranch_execz .LBB585_551
; %bb.546:
	s_movk_i32 s7, 0x80
	v_cmp_ne_u16_sdwa s[10:11], v12, s7 src0_sel:BYTE_0 src1_sel:DWORD
	v_bfrev_b32_e32 v18, 1
	s_and_saveexec_b64 s[8:9], s[10:11]
	s_cbranch_execz .LBB585_550
; %bb.547:
	s_movk_i32 s7, 0x7f
	v_and_b32_e32 v10, 0x7f, v12
	v_cmp_ne_u32_e32 vcc, s7, v10
	v_mov_b32_e32 v18, 0x7f800001
	s_and_saveexec_b64 s[10:11], vcc
	s_cbranch_execz .LBB585_549
; %bb.548:
	v_and_b32_e32 v11, 7, v12
	v_ffbh_u32_e32 v18, v11
	v_min_u32_e32 v21, 32, v18
	v_subrev_u32_e32 v18, 28, v21
	v_lshlrev_b64 v[18:19], v18, v[12:13]
	v_lshrrev_b32_e32 v20, 3, v10
	v_sub_u32_e32 v19, 29, v21
	v_and_b32_e32 v18, 7, v18
	v_cmp_gt_u32_e32 vcc, 8, v10
	v_cndmask_b32_e32 v10, v20, v19, vcc
	v_cndmask_b32_e32 v11, v11, v18, vcc
	v_lshlrev_b32_e32 v18, 24, v12
	v_bfrev_b32_e32 v19, 60
	v_lshlrev_b32_e32 v11, 20, v11
	v_and_b32_e32 v18, 0x80000000, v18
	v_lshl_add_u32 v10, v10, 23, v19
	v_or3_b32 v18, v18, v10, v11
.LBB585_549:
	s_or_b64 exec, exec, s[10:11]
.LBB585_550:
	s_or_b64 exec, exec, s[8:9]
.LBB585_551:
	s_or_b64 exec, exec, s[2:3]
	v_lshrrev_b16_e32 v10, 8, v12
	v_cmp_ne_u16_e32 vcc, 0, v10
	v_mov_b32_e32 v11, 0
	v_mov_b32_e32 v20, 0
	s_and_saveexec_b64 s[2:3], vcc
	s_cbranch_execz .LBB585_557
; %bb.552:
	s_movk_i32 s7, 0x80
	v_cmp_ne_u16_e32 vcc, s7, v10
	v_bfrev_b32_e32 v20, 1
	s_and_saveexec_b64 s[8:9], vcc
	s_cbranch_execz .LBB585_556
; %bb.553:
	s_movk_i32 s7, 0x7f
	v_and_b32_e32 v19, 0x7f, v10
	v_cmp_ne_u32_e32 vcc, s7, v19
	v_mov_b32_e32 v20, 0x7f800001
	s_and_saveexec_b64 s[10:11], vcc
	s_cbranch_execz .LBB585_555
; %bb.554:
	v_and_b32_e32 v23, 7, v10
	v_ffbh_u32_e32 v20, v23
	v_min_u32_e32 v25, 32, v20
	v_subrev_u32_e32 v20, 28, v25
	v_lshlrev_b64 v[20:21], v20, v[10:11]
	v_lshrrev_b32_e32 v24, 3, v19
	v_sub_u32_e32 v10, 29, v25
	v_and_b32_e32 v20, 7, v20
	v_cmp_gt_u32_e32 vcc, 8, v19
	v_cndmask_b32_e32 v10, v24, v10, vcc
	v_cndmask_b32_e32 v19, v23, v20, vcc
	v_lshlrev_b32_e32 v20, 16, v12
	v_bfrev_b32_e32 v21, 60
	v_lshlrev_b32_e32 v19, 20, v19
	v_and_b32_e32 v20, 0x80000000, v20
	v_lshl_add_u32 v10, v10, 23, v21
	v_or3_b32 v20, v20, v10, v19
.LBB585_555:
	s_or_b64 exec, exec, s[10:11]
.LBB585_556:
	s_or_b64 exec, exec, s[8:9]
.LBB585_557:
	s_or_b64 exec, exec, s[2:3]
	s_movk_i32 s2, 0xff
	v_and_b32_sdwa v19, v12, s2 dst_sel:DWORD dst_unused:UNUSED_PAD src0_sel:WORD_1 src1_sel:DWORD
	v_lshrrev_b32_e32 v10, 16, v12
	v_cmp_ne_u16_e32 vcc, 0, v19
	s_and_saveexec_b64 s[2:3], vcc
	s_cbranch_execz .LBB585_563
; %bb.558:
	s_movk_i32 s7, 0x80
	v_cmp_ne_u16_e32 vcc, s7, v19
	v_bfrev_b32_e32 v11, 1
	s_and_saveexec_b64 s[8:9], vcc
	s_cbranch_execz .LBB585_562
; %bb.559:
	v_bfe_u32 v19, v12, 16, 7
	s_movk_i32 s7, 0x7f
	v_cmp_ne_u32_e32 vcc, s7, v19
	v_mov_b32_e32 v11, 0x7f800001
	s_and_saveexec_b64 s[10:11], vcc
	s_cbranch_execz .LBB585_561
; %bb.560:
	v_and_b32_e32 v21, 7, v10
	v_ffbh_u32_e32 v11, v21
	v_min_u32_e32 v24, 32, v11
	v_subrev_u32_e32 v11, 28, v24
	v_lshlrev_b64 v[10:11], v11, v[10:11]
	v_lshrrev_b32_e32 v23, 3, v19
	v_sub_u32_e32 v11, 29, v24
	v_and_b32_e32 v10, 7, v10
	v_cmp_gt_u32_e32 vcc, 8, v19
	v_mov_b32_e32 v19, 24
	v_cndmask_b32_e32 v11, v23, v11, vcc
	v_cndmask_b32_e32 v10, v21, v10, vcc
	v_lshlrev_b32_sdwa v19, v19, v12 dst_sel:DWORD dst_unused:UNUSED_PAD src0_sel:DWORD src1_sel:WORD_1
	v_bfrev_b32_e32 v21, 60
	v_lshlrev_b32_e32 v10, 20, v10
	v_and_b32_e32 v19, 0x80000000, v19
	v_lshl_add_u32 v11, v11, 23, v21
	v_or3_b32 v11, v19, v11, v10
.LBB585_561:
	s_or_b64 exec, exec, s[10:11]
.LBB585_562:
	s_or_b64 exec, exec, s[8:9]
.LBB585_563:
	s_or_b64 exec, exec, s[2:3]
	s_mov_b32 s2, 0xffffff
	v_cmp_lt_u32_e32 vcc, s2, v12
	v_mov_b32_e32 v21, 0
	v_mov_b32_e32 v23, 0
	s_and_saveexec_b64 s[2:3], vcc
	s_cbranch_execz .LBB585_569
; %bb.564:
	v_lshrrev_b32_e32 v10, 24, v12
	s_movk_i32 s7, 0x80
	v_cmp_ne_u32_e32 vcc, s7, v10
	v_bfrev_b32_e32 v23, 1
	s_and_saveexec_b64 s[8:9], vcc
	s_cbranch_execz .LBB585_568
; %bb.565:
	v_bfe_u32 v12, v12, 24, 7
	s_movk_i32 s7, 0x7f
	v_cmp_ne_u32_e32 vcc, s7, v12
	v_mov_b32_e32 v23, 0x7f800001
	s_and_saveexec_b64 s[10:11], vcc
	s_cbranch_execz .LBB585_567
; %bb.566:
	v_and_b32_e32 v19, 7, v10
	v_ffbh_u32_e32 v24, v19
	v_min_u32_e32 v27, 32, v24
	v_subrev_u32_e32 v24, 28, v27
	v_lshlrev_b64 v[24:25], v24, v[10:11]
	v_lshrrev_b32_e32 v23, 3, v12
	v_sub_u32_e32 v25, 29, v27
	v_and_b32_e32 v24, 7, v24
	v_cmp_gt_u32_e32 vcc, 8, v12
	v_cndmask_b32_e32 v12, v23, v25, vcc
	v_cndmask_b32_e32 v19, v19, v24, vcc
	v_lshlrev_b32_e32 v10, 24, v10
	v_bfrev_b32_e32 v23, 60
	v_lshlrev_b32_e32 v19, 20, v19
	v_and_b32_e32 v10, 0x80000000, v10
	v_lshl_add_u32 v12, v12, 23, v23
	v_or3_b32 v23, v10, v12, v19
.LBB585_567:
	s_or_b64 exec, exec, s[10:11]
.LBB585_568:
	s_or_b64 exec, exec, s[8:9]
.LBB585_569:
	s_or_b64 exec, exec, s[2:3]
	v_cmp_ne_u16_sdwa s[8:9], v13, v21 src0_sel:BYTE_0 src1_sel:DWORD
	s_and_saveexec_b64 s[2:3], s[8:9]
	s_cbranch_execz .LBB585_575
; %bb.570:
	s_movk_i32 s7, 0x80
	v_cmp_ne_u16_sdwa s[10:11], v13, s7 src0_sel:BYTE_0 src1_sel:DWORD
	v_bfrev_b32_e32 v21, 1
	s_and_saveexec_b64 s[8:9], s[10:11]
	s_cbranch_execz .LBB585_574
; %bb.571:
	s_movk_i32 s7, 0x7f
	v_and_b32_e32 v10, 0x7f, v13
	v_cmp_ne_u32_e32 vcc, s7, v10
	v_mov_b32_e32 v21, 0x7f800001
	s_and_saveexec_b64 s[10:11], vcc
	s_cbranch_execz .LBB585_573
; %bb.572:
	v_and_b32_e32 v19, 7, v13
	v_ffbh_u32_e32 v24, v19
	v_min_u32_e32 v27, 32, v24
	v_mov_b32_e32 v12, v13
	v_subrev_u32_e32 v24, 28, v27
	v_lshlrev_b64 v[24:25], v24, v[12:13]
	v_lshrrev_b32_e32 v21, 3, v10
	v_sub_u32_e32 v12, 29, v27
	v_and_b32_e32 v24, 7, v24
	v_cmp_gt_u32_e32 vcc, 8, v10
	v_cndmask_b32_e32 v10, v21, v12, vcc
	v_cndmask_b32_e32 v12, v19, v24, vcc
	v_lshlrev_b32_e32 v19, 24, v13
	v_bfrev_b32_e32 v21, 60
	v_lshlrev_b32_e32 v12, 20, v12
	v_and_b32_e32 v19, 0x80000000, v19
	v_lshl_add_u32 v10, v10, 23, v21
	v_or3_b32 v21, v19, v10, v12
.LBB585_573:
	s_or_b64 exec, exec, s[10:11]
.LBB585_574:
	s_or_b64 exec, exec, s[8:9]
.LBB585_575:
	s_or_b64 exec, exec, s[2:3]
	v_lshrrev_b16_e32 v10, 8, v13
	v_cmp_ne_u16_e32 vcc, 0, v10
	v_mov_b32_e32 v12, 0
	v_mov_b32_e32 v24, 0
	s_and_saveexec_b64 s[2:3], vcc
	s_cbranch_execz .LBB585_581
; %bb.576:
	s_movk_i32 s7, 0x80
	v_cmp_ne_u16_e32 vcc, s7, v10
	v_bfrev_b32_e32 v24, 1
	s_and_saveexec_b64 s[8:9], vcc
	s_cbranch_execz .LBB585_580
; %bb.577:
	s_movk_i32 s7, 0x7f
	v_and_b32_e32 v19, 0x7f, v10
	v_cmp_ne_u32_e32 vcc, s7, v19
	v_mov_b32_e32 v24, 0x7f800001
	s_and_saveexec_b64 s[10:11], vcc
	s_cbranch_execz .LBB585_579
; %bb.578:
	v_and_b32_e32 v27, 7, v10
	v_ffbh_u32_e32 v24, v27
	v_min_u32_e32 v29, 32, v24
	v_subrev_u32_e32 v24, 28, v29
	v_lshlrev_b64 v[24:25], v24, v[10:11]
	v_lshrrev_b32_e32 v28, 3, v19
	v_sub_u32_e32 v10, 29, v29
	v_and_b32_e32 v24, 7, v24
	v_cmp_gt_u32_e32 vcc, 8, v19
	v_cndmask_b32_e32 v10, v28, v10, vcc
	v_cndmask_b32_e32 v19, v27, v24, vcc
	v_lshlrev_b32_e32 v24, 16, v13
	v_bfrev_b32_e32 v25, 60
	v_lshlrev_b32_e32 v19, 20, v19
	v_and_b32_e32 v24, 0x80000000, v24
	v_lshl_add_u32 v10, v10, 23, v25
	v_or3_b32 v24, v24, v10, v19
.LBB585_579:
	s_or_b64 exec, exec, s[10:11]
.LBB585_580:
	s_or_b64 exec, exec, s[8:9]
.LBB585_581:
	s_or_b64 exec, exec, s[2:3]
	s_movk_i32 s2, 0xff
	v_and_b32_sdwa v19, v13, s2 dst_sel:DWORD dst_unused:UNUSED_PAD src0_sel:WORD_1 src1_sel:DWORD
	v_lshrrev_b32_e32 v10, 16, v13
	v_cmp_ne_u16_e32 vcc, 0, v19
	s_and_saveexec_b64 s[2:3], vcc
	s_cbranch_execz .LBB585_587
; %bb.582:
	s_movk_i32 s7, 0x80
	v_cmp_ne_u16_e32 vcc, s7, v19
	v_bfrev_b32_e32 v12, 1
	s_and_saveexec_b64 s[8:9], vcc
	s_cbranch_execz .LBB585_586
; %bb.583:
	v_bfe_u32 v19, v13, 16, 7
	s_movk_i32 s7, 0x7f
	v_cmp_ne_u32_e32 vcc, s7, v19
	v_mov_b32_e32 v12, 0x7f800001
	s_and_saveexec_b64 s[10:11], vcc
	s_cbranch_execz .LBB585_585
; %bb.584:
	v_and_b32_e32 v12, 7, v10
	v_ffbh_u32_e32 v27, v12
	v_min_u32_e32 v27, 32, v27
	v_subrev_u32_e32 v28, 28, v27
	v_lshlrev_b64 v[28:29], v28, v[10:11]
	v_lshrrev_b32_e32 v25, 3, v19
	v_sub_u32_e32 v10, 29, v27
	v_and_b32_e32 v27, 7, v28
	v_cmp_gt_u32_e32 vcc, 8, v19
	v_mov_b32_e32 v19, 24
	v_cndmask_b32_e32 v10, v25, v10, vcc
	v_cndmask_b32_e32 v12, v12, v27, vcc
	v_lshlrev_b32_sdwa v19, v19, v13 dst_sel:DWORD dst_unused:UNUSED_PAD src0_sel:DWORD src1_sel:WORD_1
	v_bfrev_b32_e32 v25, 60
	v_lshlrev_b32_e32 v12, 20, v12
	v_and_b32_e32 v19, 0x80000000, v19
	v_lshl_add_u32 v10, v10, 23, v25
	v_or3_b32 v12, v19, v10, v12
.LBB585_585:
	s_or_b64 exec, exec, s[10:11]
.LBB585_586:
	s_or_b64 exec, exec, s[8:9]
.LBB585_587:
	s_or_b64 exec, exec, s[2:3]
	s_mov_b32 s2, 0xffffff
	v_cmp_lt_u32_e32 vcc, s2, v13
	v_mov_b32_e32 v19, 0
	v_mov_b32_e32 v25, 0
	s_and_saveexec_b64 s[2:3], vcc
	s_cbranch_execz .LBB585_593
; %bb.588:
	v_lshrrev_b32_e32 v10, 24, v13
	s_movk_i32 s7, 0x80
	v_cmp_ne_u32_e32 vcc, s7, v10
	v_bfrev_b32_e32 v25, 1
	s_and_saveexec_b64 s[8:9], vcc
	s_cbranch_execz .LBB585_592
; %bb.589:
	v_bfe_u32 v13, v13, 24, 7
	s_movk_i32 s7, 0x7f
	v_cmp_ne_u32_e32 vcc, s7, v13
	v_mov_b32_e32 v25, 0x7f800001
	s_and_saveexec_b64 s[10:11], vcc
	s_cbranch_execz .LBB585_591
; %bb.590:
	v_and_b32_e32 v25, 7, v10
	v_ffbh_u32_e32 v28, v25
	v_min_u32_e32 v30, 32, v28
	v_subrev_u32_e32 v28, 28, v30
	v_lshlrev_b64 v[28:29], v28, v[10:11]
	v_lshrrev_b32_e32 v27, 3, v13
	v_sub_u32_e32 v29, 29, v30
	v_and_b32_e32 v28, 7, v28
	v_cmp_gt_u32_e32 vcc, 8, v13
	v_cndmask_b32_e32 v13, v27, v29, vcc
	v_cndmask_b32_e32 v25, v25, v28, vcc
	v_lshlrev_b32_e32 v10, 24, v10
	v_bfrev_b32_e32 v27, 60
	v_lshlrev_b32_e32 v25, 20, v25
	v_and_b32_e32 v10, 0x80000000, v10
	v_lshl_add_u32 v13, v13, 23, v27
	v_or3_b32 v25, v10, v13, v25
.LBB585_591:
	s_or_b64 exec, exec, s[10:11]
.LBB585_592:
	s_or_b64 exec, exec, s[8:9]
.LBB585_593:
	s_or_b64 exec, exec, s[2:3]
	v_cvt_pkrtz_f16_f32 v10, v18, v20
	v_cvt_pkrtz_f16_f32 v11, v11, v23
	ds_read_b128 v[28:31], v22 offset:2064
	s_waitcnt vmcnt(1)
	v_cmp_ne_u16_sdwa s[8:9], v6, v19 src0_sel:BYTE_0 src1_sel:DWORD
	s_waitcnt lgkmcnt(0)
	v_mfma_f32_16x16x16f16 v[14:17], v[10:11], v[28:29], v[14:17]
	v_cvt_pkrtz_f16_f32 v10, v21, v24
	v_cvt_pkrtz_f16_f32 v11, v12, v25
	s_nop 1
	v_mfma_f32_16x16x16f16 v[10:13], v[10:11], v[30:31], v[14:17]
	s_and_saveexec_b64 s[2:3], s[8:9]
	s_cbranch_execz .LBB585_599
; %bb.594:
	s_movk_i32 s7, 0x80
	v_cmp_ne_u16_sdwa s[10:11], v6, s7 src0_sel:BYTE_0 src1_sel:DWORD
	v_bfrev_b32_e32 v19, 1
	s_and_saveexec_b64 s[8:9], s[10:11]
	s_cbranch_execz .LBB585_598
; %bb.595:
	s_movk_i32 s7, 0x7f
	v_and_b32_e32 v14, 0x7f, v6
	v_cmp_ne_u32_e32 vcc, s7, v14
	v_mov_b32_e32 v19, 0x7f800001
	s_and_saveexec_b64 s[10:11], vcc
	s_cbranch_execz .LBB585_597
; %bb.596:
	v_and_b32_e32 v15, 7, v6
	v_ffbh_u32_e32 v16, v15
	v_min_u32_e32 v19, 32, v16
	v_subrev_u32_e32 v16, 28, v19
	v_lshlrev_b64 v[16:17], v16, v[6:7]
	v_lshrrev_b32_e32 v18, 3, v14
	v_sub_u32_e32 v17, 29, v19
	v_and_b32_e32 v16, 7, v16
	v_cmp_gt_u32_e32 vcc, 8, v14
	v_cndmask_b32_e32 v14, v18, v17, vcc
	v_cndmask_b32_e32 v15, v15, v16, vcc
	v_lshlrev_b32_e32 v16, 24, v6
	v_bfrev_b32_e32 v17, 60
	v_lshlrev_b32_e32 v15, 20, v15
	v_and_b32_e32 v16, 0x80000000, v16
	v_lshl_add_u32 v14, v14, 23, v17
	v_or3_b32 v19, v16, v14, v15
.LBB585_597:
	s_or_b64 exec, exec, s[10:11]
.LBB585_598:
	s_or_b64 exec, exec, s[8:9]
.LBB585_599:
	s_or_b64 exec, exec, s[2:3]
	s_nop 3
	v_lshrrev_b16_e32 v14, 8, v6
	v_cmp_ne_u16_e32 vcc, 0, v14
	v_mov_b32_e32 v15, 0
	v_mov_b32_e32 v16, 0
	s_and_saveexec_b64 s[2:3], vcc
	s_cbranch_execz .LBB585_605
; %bb.600:
	s_movk_i32 s7, 0x80
	v_cmp_ne_u16_e32 vcc, s7, v14
	v_bfrev_b32_e32 v16, 1
	s_and_saveexec_b64 s[8:9], vcc
	s_cbranch_execz .LBB585_604
; %bb.601:
	s_movk_i32 s7, 0x7f
	v_and_b32_e32 v17, 0x7f, v14
	v_cmp_ne_u32_e32 vcc, s7, v17
	v_mov_b32_e32 v16, 0x7f800001
	s_and_saveexec_b64 s[10:11], vcc
	s_cbranch_execz .LBB585_603
; %bb.602:
	v_and_b32_e32 v16, 7, v14
	v_ffbh_u32_e32 v20, v16
	v_min_u32_e32 v23, 32, v20
	v_subrev_u32_e32 v20, 28, v23
	v_lshlrev_b64 v[20:21], v20, v[14:15]
	v_lshrrev_b32_e32 v18, 3, v17
	v_sub_u32_e32 v14, 29, v23
	v_and_b32_e32 v20, 7, v20
	v_cmp_gt_u32_e32 vcc, 8, v17
	v_cndmask_b32_e32 v14, v18, v14, vcc
	v_cndmask_b32_e32 v16, v16, v20, vcc
	v_lshlrev_b32_e32 v17, 16, v6
	v_bfrev_b32_e32 v18, 60
	v_lshlrev_b32_e32 v16, 20, v16
	v_and_b32_e32 v17, 0x80000000, v17
	v_lshl_add_u32 v14, v14, 23, v18
	v_or3_b32 v16, v17, v14, v16
.LBB585_603:
	s_or_b64 exec, exec, s[10:11]
.LBB585_604:
	s_or_b64 exec, exec, s[8:9]
.LBB585_605:
	s_or_b64 exec, exec, s[2:3]
	s_movk_i32 s2, 0xff
	v_and_b32_sdwa v17, v6, s2 dst_sel:DWORD dst_unused:UNUSED_PAD src0_sel:WORD_1 src1_sel:DWORD
	v_lshrrev_b32_e32 v14, 16, v6
	v_cmp_ne_u16_e32 vcc, 0, v17
	s_and_saveexec_b64 s[2:3], vcc
	s_cbranch_execz .LBB585_611
; %bb.606:
	s_movk_i32 s7, 0x80
	v_cmp_ne_u16_e32 vcc, s7, v17
	v_bfrev_b32_e32 v15, 1
	s_and_saveexec_b64 s[8:9], vcc
	s_cbranch_execz .LBB585_610
; %bb.607:
	v_bfe_u32 v17, v6, 16, 7
	s_movk_i32 s7, 0x7f
	v_cmp_ne_u32_e32 vcc, s7, v17
	v_mov_b32_e32 v15, 0x7f800001
	s_and_saveexec_b64 s[10:11], vcc
	s_cbranch_execz .LBB585_609
; %bb.608:
	v_and_b32_e32 v18, 7, v14
	v_ffbh_u32_e32 v15, v18
	v_min_u32_e32 v21, 32, v15
	v_subrev_u32_e32 v15, 28, v21
	v_lshlrev_b64 v[14:15], v15, v[14:15]
	v_lshrrev_b32_e32 v20, 3, v17
	v_sub_u32_e32 v15, 29, v21
	v_and_b32_e32 v14, 7, v14
	v_cmp_gt_u32_e32 vcc, 8, v17
	v_mov_b32_e32 v17, 24
	v_cndmask_b32_e32 v15, v20, v15, vcc
	v_cndmask_b32_e32 v14, v18, v14, vcc
	v_lshlrev_b32_sdwa v17, v17, v6 dst_sel:DWORD dst_unused:UNUSED_PAD src0_sel:DWORD src1_sel:WORD_1
	v_bfrev_b32_e32 v18, 60
	v_lshlrev_b32_e32 v14, 20, v14
	v_and_b32_e32 v17, 0x80000000, v17
	v_lshl_add_u32 v15, v15, 23, v18
	v_or3_b32 v15, v17, v15, v14
.LBB585_609:
	s_or_b64 exec, exec, s[10:11]
.LBB585_610:
	s_or_b64 exec, exec, s[8:9]
.LBB585_611:
	s_or_b64 exec, exec, s[2:3]
	s_mov_b32 s2, 0xffffff
	v_cmp_lt_u32_e32 vcc, s2, v6
	v_mov_b32_e32 v17, 0
	v_mov_b32_e32 v18, 0
	s_and_saveexec_b64 s[2:3], vcc
	s_cbranch_execz .LBB585_617
; %bb.612:
	v_lshrrev_b32_e32 v14, 24, v6
	s_movk_i32 s7, 0x80
	v_cmp_ne_u32_e32 vcc, s7, v14
	v_bfrev_b32_e32 v18, 1
	s_and_saveexec_b64 s[8:9], vcc
	s_cbranch_execz .LBB585_616
; %bb.613:
	v_bfe_u32 v6, v6, 24, 7
	s_movk_i32 s7, 0x7f
	v_cmp_ne_u32_e32 vcc, s7, v6
	v_mov_b32_e32 v18, 0x7f800001
	s_and_saveexec_b64 s[10:11], vcc
	s_cbranch_execz .LBB585_615
; %bb.614:
	v_and_b32_e32 v18, 7, v14
	v_ffbh_u32_e32 v20, v18
	v_min_u32_e32 v24, 32, v20
	v_subrev_u32_e32 v20, 28, v24
	v_lshlrev_b64 v[20:21], v20, v[14:15]
	v_lshrrev_b32_e32 v23, 3, v6
	v_sub_u32_e32 v21, 29, v24
	v_and_b32_e32 v20, 7, v20
	v_cmp_gt_u32_e32 vcc, 8, v6
	v_cndmask_b32_e32 v6, v23, v21, vcc
	v_cndmask_b32_e32 v18, v18, v20, vcc
	v_lshlrev_b32_e32 v14, 24, v14
	v_bfrev_b32_e32 v20, 60
	v_lshlrev_b32_e32 v18, 20, v18
	v_and_b32_e32 v14, 0x80000000, v14
	v_lshl_add_u32 v6, v6, 23, v20
	v_or3_b32 v18, v14, v6, v18
.LBB585_615:
	s_or_b64 exec, exec, s[10:11]
.LBB585_616:
	s_or_b64 exec, exec, s[8:9]
.LBB585_617:
	s_or_b64 exec, exec, s[2:3]
	v_cmp_ne_u16_sdwa s[8:9], v7, v17 src0_sel:BYTE_0 src1_sel:DWORD
	s_and_saveexec_b64 s[2:3], s[8:9]
	s_cbranch_execz .LBB585_623
; %bb.618:
	s_movk_i32 s7, 0x80
	v_cmp_ne_u16_sdwa s[10:11], v7, s7 src0_sel:BYTE_0 src1_sel:DWORD
	v_bfrev_b32_e32 v17, 1
	s_and_saveexec_b64 s[8:9], s[10:11]
	s_cbranch_execz .LBB585_622
; %bb.619:
	s_movk_i32 s7, 0x7f
	v_and_b32_e32 v6, 0x7f, v7
	v_cmp_ne_u32_e32 vcc, s7, v6
	v_mov_b32_e32 v17, 0x7f800001
	s_and_saveexec_b64 s[10:11], vcc
	s_cbranch_execz .LBB585_621
; %bb.620:
	v_and_b32_e32 v17, 7, v7
	v_ffbh_u32_e32 v20, v17
	v_min_u32_e32 v24, 32, v20
	v_mov_b32_e32 v14, v7
	v_subrev_u32_e32 v20, 28, v24
	v_lshlrev_b64 v[20:21], v20, v[14:15]
	v_lshrrev_b32_e32 v23, 3, v6
	v_sub_u32_e32 v14, 29, v24
	v_and_b32_e32 v20, 7, v20
	v_cmp_gt_u32_e32 vcc, 8, v6
	v_cndmask_b32_e32 v6, v23, v14, vcc
	v_cndmask_b32_e32 v14, v17, v20, vcc
	v_lshlrev_b32_e32 v17, 24, v7
	v_bfrev_b32_e32 v20, 60
	v_lshlrev_b32_e32 v14, 20, v14
	v_and_b32_e32 v17, 0x80000000, v17
	v_lshl_add_u32 v6, v6, 23, v20
	v_or3_b32 v17, v17, v6, v14
.LBB585_621:
	s_or_b64 exec, exec, s[10:11]
.LBB585_622:
	s_or_b64 exec, exec, s[8:9]
.LBB585_623:
	s_or_b64 exec, exec, s[2:3]
	v_lshrrev_b16_e32 v6, 8, v7
	v_cmp_ne_u16_e32 vcc, 0, v6
	v_mov_b32_e32 v20, 0
	v_mov_b32_e32 v21, 0
	s_and_saveexec_b64 s[2:3], vcc
	s_cbranch_execz .LBB585_629
; %bb.624:
	s_movk_i32 s7, 0x80
	v_cmp_ne_u16_e32 vcc, s7, v6
	v_bfrev_b32_e32 v21, 1
	s_and_saveexec_b64 s[8:9], vcc
	s_cbranch_execz .LBB585_628
; %bb.625:
	s_movk_i32 s7, 0x7f
	v_and_b32_e32 v14, 0x7f, v6
	v_cmp_ne_u32_e32 vcc, s7, v14
	v_mov_b32_e32 v21, 0x7f800001
	s_and_saveexec_b64 s[10:11], vcc
	s_cbranch_execz .LBB585_627
; %bb.626:
	v_and_b32_e32 v21, 7, v6
	v_ffbh_u32_e32 v24, v21
	v_min_u32_e32 v27, 32, v24
	v_subrev_u32_e32 v24, 28, v27
	v_lshlrev_b64 v[24:25], v24, v[6:7]
	v_lshrrev_b32_e32 v23, 3, v14
	v_sub_u32_e32 v6, 29, v27
	v_and_b32_e32 v24, 7, v24
	v_cmp_gt_u32_e32 vcc, 8, v14
	v_cndmask_b32_e32 v6, v23, v6, vcc
	v_cndmask_b32_e32 v14, v21, v24, vcc
	v_lshlrev_b32_e32 v21, 16, v7
	v_bfrev_b32_e32 v23, 60
	v_lshlrev_b32_e32 v14, 20, v14
	v_and_b32_e32 v21, 0x80000000, v21
	v_lshl_add_u32 v6, v6, 23, v23
	v_or3_b32 v21, v21, v6, v14
.LBB585_627:
	s_or_b64 exec, exec, s[10:11]
.LBB585_628:
	s_or_b64 exec, exec, s[8:9]
.LBB585_629:
	s_or_b64 exec, exec, s[2:3]
	s_movk_i32 s2, 0xff
	v_and_b32_sdwa v14, v7, s2 dst_sel:DWORD dst_unused:UNUSED_PAD src0_sel:WORD_1 src1_sel:DWORD
	v_lshrrev_b32_e32 v6, 16, v7
	v_cmp_ne_u16_e32 vcc, 0, v14
	s_and_saveexec_b64 s[2:3], vcc
	s_cbranch_execz .LBB585_635
; %bb.630:
	s_movk_i32 s7, 0x80
	v_cmp_ne_u16_e32 vcc, s7, v14
	v_bfrev_b32_e32 v20, 1
	s_and_saveexec_b64 s[8:9], vcc
	s_cbranch_execz .LBB585_634
; %bb.631:
	v_bfe_u32 v14, v7, 16, 7
	s_movk_i32 s7, 0x7f
	v_cmp_ne_u32_e32 vcc, s7, v14
	v_mov_b32_e32 v20, 0x7f800001
	s_and_saveexec_b64 s[10:11], vcc
	s_cbranch_execz .LBB585_633
; %bb.632:
	v_and_b32_e32 v20, 7, v6
	v_ffbh_u32_e32 v24, v20
	v_min_u32_e32 v27, 32, v24
	v_subrev_u32_e32 v24, 28, v27
	v_lshlrev_b64 v[24:25], v24, v[6:7]
	v_and_b32_e32 v24, 7, v24
	v_cmp_gt_u32_e32 vcc, 8, v14
	v_lshrrev_b32_e32 v23, 3, v14
	v_sub_u32_e32 v6, 29, v27
	v_cndmask_b32_e32 v14, v20, v24, vcc
	v_mov_b32_e32 v20, 24
	v_cndmask_b32_e32 v6, v23, v6, vcc
	v_lshlrev_b32_sdwa v20, v20, v7 dst_sel:DWORD dst_unused:UNUSED_PAD src0_sel:DWORD src1_sel:WORD_1
	v_bfrev_b32_e32 v23, 60
	v_lshlrev_b32_e32 v14, 20, v14
	v_and_b32_e32 v20, 0x80000000, v20
	v_lshl_add_u32 v6, v6, 23, v23
	v_or3_b32 v20, v20, v6, v14
.LBB585_633:
	s_or_b64 exec, exec, s[10:11]
.LBB585_634:
	s_or_b64 exec, exec, s[8:9]
.LBB585_635:
	s_or_b64 exec, exec, s[2:3]
	s_mov_b32 s2, 0xffffff
	v_cmp_lt_u32_e32 vcc, s2, v7
	v_mov_b32_e32 v14, 0
	v_mov_b32_e32 v23, 0
	s_and_saveexec_b64 s[2:3], vcc
	s_cbranch_execz .LBB585_641
; %bb.636:
	v_lshrrev_b32_e32 v6, 24, v7
	s_movk_i32 s7, 0x80
	v_cmp_ne_u32_e32 vcc, s7, v6
	v_bfrev_b32_e32 v23, 1
	s_and_saveexec_b64 s[8:9], vcc
	s_cbranch_execz .LBB585_640
; %bb.637:
	v_bfe_u32 v7, v7, 24, 7
	s_movk_i32 s7, 0x7f
	v_cmp_ne_u32_e32 vcc, s7, v7
	v_mov_b32_e32 v23, 0x7f800001
	s_and_saveexec_b64 s[10:11], vcc
	s_cbranch_execz .LBB585_639
; %bb.638:
	v_and_b32_e32 v23, 7, v6
	v_ffbh_u32_e32 v24, v23
	v_min_u32_e32 v28, 32, v24
	v_subrev_u32_e32 v24, 28, v28
	v_lshlrev_b64 v[24:25], v24, v[6:7]
	v_lshrrev_b32_e32 v27, 3, v7
	v_sub_u32_e32 v25, 29, v28
	v_and_b32_e32 v24, 7, v24
	v_cmp_gt_u32_e32 vcc, 8, v7
	v_cndmask_b32_e32 v7, v27, v25, vcc
	v_cndmask_b32_e32 v23, v23, v24, vcc
	v_lshlrev_b32_e32 v6, 24, v6
	v_bfrev_b32_e32 v24, 60
	v_lshlrev_b32_e32 v23, 20, v23
	v_and_b32_e32 v6, 0x80000000, v6
	v_lshl_add_u32 v7, v7, 23, v24
	v_or3_b32 v23, v6, v7, v23
.LBB585_639:
	s_or_b64 exec, exec, s[10:11]
.LBB585_640:
	s_or_b64 exec, exec, s[8:9]
.LBB585_641:
	s_or_b64 exec, exec, s[2:3]
	v_cvt_pkrtz_f16_f32 v6, v19, v16
	v_cvt_pkrtz_f16_f32 v7, v15, v18
	ds_read_b128 v[28:31], v22 offset:4096
	v_cmp_ne_u16_sdwa s[8:9], v8, v14 src0_sel:BYTE_0 src1_sel:DWORD
	s_waitcnt lgkmcnt(0)
	v_mfma_f32_16x16x16f16 v[10:13], v[6:7], v[28:29], v[10:13]
	v_cvt_pkrtz_f16_f32 v6, v17, v21
	v_cvt_pkrtz_f16_f32 v7, v20, v23
	s_nop 1
	v_mfma_f32_16x16x16f16 v[10:13], v[6:7], v[30:31], v[10:13]
	s_and_saveexec_b64 s[2:3], s[8:9]
	s_cbranch_execz .LBB585_647
; %bb.642:
	s_movk_i32 s7, 0x80
	v_cmp_ne_u16_sdwa s[10:11], v8, s7 src0_sel:BYTE_0 src1_sel:DWORD
	v_bfrev_b32_e32 v14, 1
	s_and_saveexec_b64 s[8:9], s[10:11]
	s_cbranch_execz .LBB585_646
; %bb.643:
	s_movk_i32 s7, 0x7f
	v_and_b32_e32 v6, 0x7f, v8
	v_cmp_ne_u32_e32 vcc, s7, v6
	v_mov_b32_e32 v14, 0x7f800001
	s_and_saveexec_b64 s[10:11], vcc
	s_cbranch_execz .LBB585_645
; %bb.644:
	v_and_b32_e32 v7, 7, v8
	v_ffbh_u32_e32 v14, v7
	v_min_u32_e32 v17, 32, v14
	v_subrev_u32_e32 v14, 28, v17
	v_lshlrev_b64 v[14:15], v14, v[8:9]
	v_lshrrev_b32_e32 v16, 3, v6
	v_sub_u32_e32 v15, 29, v17
	v_and_b32_e32 v14, 7, v14
	v_cmp_gt_u32_e32 vcc, 8, v6
	v_cndmask_b32_e32 v6, v16, v15, vcc
	v_cndmask_b32_e32 v7, v7, v14, vcc
	v_lshlrev_b32_e32 v14, 24, v8
	v_bfrev_b32_e32 v15, 60
	v_lshlrev_b32_e32 v7, 20, v7
	v_and_b32_e32 v14, 0x80000000, v14
	v_lshl_add_u32 v6, v6, 23, v15
	v_or3_b32 v14, v14, v6, v7
.LBB585_645:
	s_or_b64 exec, exec, s[10:11]
.LBB585_646:
	s_or_b64 exec, exec, s[8:9]
.LBB585_647:
	s_or_b64 exec, exec, s[2:3]
	v_lshrrev_b16_e32 v6, 8, v8
	v_cmp_ne_u16_e32 vcc, 0, v6
	v_mov_b32_e32 v7, 0
	v_mov_b32_e32 v16, 0
	s_and_saveexec_b64 s[2:3], vcc
	s_cbranch_execz .LBB585_653
; %bb.648:
	s_movk_i32 s7, 0x80
	v_cmp_ne_u16_e32 vcc, s7, v6
	v_bfrev_b32_e32 v16, 1
	s_and_saveexec_b64 s[8:9], vcc
	s_cbranch_execz .LBB585_652
; %bb.649:
	s_movk_i32 s7, 0x7f
	v_and_b32_e32 v15, 0x7f, v6
	v_cmp_ne_u32_e32 vcc, s7, v15
	v_mov_b32_e32 v16, 0x7f800001
	s_and_saveexec_b64 s[10:11], vcc
	s_cbranch_execz .LBB585_651
; %bb.650:
	v_and_b32_e32 v18, 7, v6
	v_ffbh_u32_e32 v16, v18
	v_min_u32_e32 v20, 32, v16
	v_subrev_u32_e32 v16, 28, v20
	v_lshlrev_b64 v[16:17], v16, v[6:7]
	v_lshrrev_b32_e32 v19, 3, v15
	v_sub_u32_e32 v6, 29, v20
	v_and_b32_e32 v16, 7, v16
	v_cmp_gt_u32_e32 vcc, 8, v15
	v_cndmask_b32_e32 v6, v19, v6, vcc
	v_cndmask_b32_e32 v15, v18, v16, vcc
	v_lshlrev_b32_e32 v16, 16, v8
	v_bfrev_b32_e32 v17, 60
	v_lshlrev_b32_e32 v15, 20, v15
	v_and_b32_e32 v16, 0x80000000, v16
	v_lshl_add_u32 v6, v6, 23, v17
	v_or3_b32 v16, v16, v6, v15
.LBB585_651:
	s_or_b64 exec, exec, s[10:11]
.LBB585_652:
	s_or_b64 exec, exec, s[8:9]
.LBB585_653:
	s_or_b64 exec, exec, s[2:3]
	s_movk_i32 s2, 0xff
	v_and_b32_sdwa v15, v8, s2 dst_sel:DWORD dst_unused:UNUSED_PAD src0_sel:WORD_1 src1_sel:DWORD
	v_lshrrev_b32_e32 v6, 16, v8
	v_cmp_ne_u16_e32 vcc, 0, v15
	s_and_saveexec_b64 s[2:3], vcc
	s_cbranch_execz .LBB585_659
; %bb.654:
	s_movk_i32 s7, 0x80
	v_cmp_ne_u16_e32 vcc, s7, v15
	v_bfrev_b32_e32 v7, 1
	s_and_saveexec_b64 s[8:9], vcc
	s_cbranch_execz .LBB585_658
; %bb.655:
	v_bfe_u32 v15, v8, 16, 7
	s_movk_i32 s7, 0x7f
	v_cmp_ne_u32_e32 vcc, s7, v15
	v_mov_b32_e32 v7, 0x7f800001
	s_and_saveexec_b64 s[10:11], vcc
	s_cbranch_execz .LBB585_657
; %bb.656:
	v_and_b32_e32 v17, 7, v6
	v_ffbh_u32_e32 v7, v17
	v_min_u32_e32 v19, 32, v7
	v_subrev_u32_e32 v7, 28, v19
	v_lshlrev_b64 v[6:7], v7, v[6:7]
	v_lshrrev_b32_e32 v18, 3, v15
	v_sub_u32_e32 v7, 29, v19
	v_and_b32_e32 v6, 7, v6
	v_cmp_gt_u32_e32 vcc, 8, v15
	v_mov_b32_e32 v15, 24
	v_cndmask_b32_e32 v7, v18, v7, vcc
	v_cndmask_b32_e32 v6, v17, v6, vcc
	v_lshlrev_b32_sdwa v15, v15, v8 dst_sel:DWORD dst_unused:UNUSED_PAD src0_sel:DWORD src1_sel:WORD_1
	v_bfrev_b32_e32 v17, 60
	v_lshlrev_b32_e32 v6, 20, v6
	v_and_b32_e32 v15, 0x80000000, v15
	v_lshl_add_u32 v7, v7, 23, v17
	v_or3_b32 v7, v15, v7, v6
.LBB585_657:
	s_or_b64 exec, exec, s[10:11]
.LBB585_658:
	s_or_b64 exec, exec, s[8:9]
.LBB585_659:
	s_or_b64 exec, exec, s[2:3]
	s_mov_b32 s2, 0xffffff
	v_cmp_lt_u32_e32 vcc, s2, v8
	v_mov_b32_e32 v17, 0
	v_mov_b32_e32 v18, 0
	s_and_saveexec_b64 s[2:3], vcc
	s_cbranch_execz .LBB585_665
; %bb.660:
	v_lshrrev_b32_e32 v6, 24, v8
	s_movk_i32 s7, 0x80
	v_cmp_ne_u32_e32 vcc, s7, v6
	v_bfrev_b32_e32 v18, 1
	s_and_saveexec_b64 s[8:9], vcc
	s_cbranch_execz .LBB585_664
; %bb.661:
	v_bfe_u32 v8, v8, 24, 7
	s_movk_i32 s7, 0x7f
	v_cmp_ne_u32_e32 vcc, s7, v8
	v_mov_b32_e32 v18, 0x7f800001
	s_and_saveexec_b64 s[10:11], vcc
	s_cbranch_execz .LBB585_663
; %bb.662:
	v_and_b32_e32 v15, 7, v6
	v_ffbh_u32_e32 v18, v15
	v_min_u32_e32 v21, 32, v18
	v_subrev_u32_e32 v18, 28, v21
	v_lshlrev_b64 v[18:19], v18, v[6:7]
	v_lshrrev_b32_e32 v20, 3, v8
	v_sub_u32_e32 v19, 29, v21
	v_and_b32_e32 v18, 7, v18
	v_cmp_gt_u32_e32 vcc, 8, v8
	v_cndmask_b32_e32 v8, v20, v19, vcc
	v_cndmask_b32_e32 v15, v15, v18, vcc
	v_lshlrev_b32_e32 v6, 24, v6
	v_bfrev_b32_e32 v18, 60
	v_lshlrev_b32_e32 v15, 20, v15
	v_and_b32_e32 v6, 0x80000000, v6
	v_lshl_add_u32 v8, v8, 23, v18
	v_or3_b32 v18, v6, v8, v15
.LBB585_663:
	s_or_b64 exec, exec, s[10:11]
.LBB585_664:
	s_or_b64 exec, exec, s[8:9]
.LBB585_665:
	s_or_b64 exec, exec, s[2:3]
	v_cmp_ne_u16_sdwa s[8:9], v9, v17 src0_sel:BYTE_0 src1_sel:DWORD
	s_and_saveexec_b64 s[2:3], s[8:9]
	s_cbranch_execz .LBB585_671
; %bb.666:
	s_movk_i32 s7, 0x80
	v_cmp_ne_u16_sdwa s[10:11], v9, s7 src0_sel:BYTE_0 src1_sel:DWORD
	v_bfrev_b32_e32 v17, 1
	s_and_saveexec_b64 s[8:9], s[10:11]
	s_cbranch_execz .LBB585_670
; %bb.667:
	s_movk_i32 s7, 0x7f
	v_and_b32_e32 v6, 0x7f, v9
	v_cmp_ne_u32_e32 vcc, s7, v6
	v_mov_b32_e32 v17, 0x7f800001
	s_and_saveexec_b64 s[10:11], vcc
	s_cbranch_execz .LBB585_669
; %bb.668:
	v_and_b32_e32 v15, 7, v9
	v_ffbh_u32_e32 v19, v15
	v_min_u32_e32 v19, 32, v19
	v_mov_b32_e32 v8, v9
	v_subrev_u32_e32 v20, 28, v19
	v_lshlrev_b64 v[20:21], v20, v[8:9]
	v_lshrrev_b32_e32 v17, 3, v6
	v_sub_u32_e32 v8, 29, v19
	v_and_b32_e32 v19, 7, v20
	v_cmp_gt_u32_e32 vcc, 8, v6
	v_cndmask_b32_e32 v6, v17, v8, vcc
	v_cndmask_b32_e32 v8, v15, v19, vcc
	v_lshlrev_b32_e32 v15, 24, v9
	v_bfrev_b32_e32 v17, 60
	v_lshlrev_b32_e32 v8, 20, v8
	v_and_b32_e32 v15, 0x80000000, v15
	v_lshl_add_u32 v6, v6, 23, v17
	v_or3_b32 v17, v15, v6, v8
.LBB585_669:
	s_or_b64 exec, exec, s[10:11]
.LBB585_670:
	s_or_b64 exec, exec, s[8:9]
.LBB585_671:
	s_or_b64 exec, exec, s[2:3]
	v_lshrrev_b16_e32 v6, 8, v9
	v_cmp_ne_u16_e32 vcc, 0, v6
	v_mov_b32_e32 v8, 0
	v_mov_b32_e32 v19, 0
	s_and_saveexec_b64 s[2:3], vcc
	s_cbranch_execz .LBB585_677
; %bb.672:
	s_movk_i32 s7, 0x80
	v_cmp_ne_u16_e32 vcc, s7, v6
	v_bfrev_b32_e32 v19, 1
	s_and_saveexec_b64 s[8:9], vcc
	s_cbranch_execz .LBB585_676
; %bb.673:
	s_movk_i32 s7, 0x7f
	v_and_b32_e32 v15, 0x7f, v6
	v_cmp_ne_u32_e32 vcc, s7, v15
	v_mov_b32_e32 v19, 0x7f800001
	s_and_saveexec_b64 s[10:11], vcc
	s_cbranch_execz .LBB585_675
; %bb.674:
	v_and_b32_e32 v19, 7, v6
	v_ffbh_u32_e32 v20, v19
	v_min_u32_e32 v24, 32, v20
	v_subrev_u32_e32 v20, 28, v24
	v_lshlrev_b64 v[20:21], v20, v[6:7]
	v_lshrrev_b32_e32 v23, 3, v15
	v_sub_u32_e32 v6, 29, v24
	v_and_b32_e32 v20, 7, v20
	v_cmp_gt_u32_e32 vcc, 8, v15
	v_cndmask_b32_e32 v6, v23, v6, vcc
	v_cndmask_b32_e32 v15, v19, v20, vcc
	v_lshlrev_b32_e32 v19, 16, v9
	v_bfrev_b32_e32 v20, 60
	v_lshlrev_b32_e32 v15, 20, v15
	v_and_b32_e32 v19, 0x80000000, v19
	v_lshl_add_u32 v6, v6, 23, v20
	v_or3_b32 v19, v19, v6, v15
.LBB585_675:
	s_or_b64 exec, exec, s[10:11]
.LBB585_676:
	s_or_b64 exec, exec, s[8:9]
.LBB585_677:
	s_or_b64 exec, exec, s[2:3]
	s_movk_i32 s2, 0xff
	v_and_b32_sdwa v15, v9, s2 dst_sel:DWORD dst_unused:UNUSED_PAD src0_sel:WORD_1 src1_sel:DWORD
	v_lshrrev_b32_e32 v6, 16, v9
	v_cmp_ne_u16_e32 vcc, 0, v15
	s_and_saveexec_b64 s[2:3], vcc
	s_cbranch_execz .LBB585_683
; %bb.678:
	s_movk_i32 s7, 0x80
	v_cmp_ne_u16_e32 vcc, s7, v15
	v_bfrev_b32_e32 v8, 1
	s_and_saveexec_b64 s[8:9], vcc
	s_cbranch_execz .LBB585_682
; %bb.679:
	v_bfe_u32 v15, v9, 16, 7
	s_movk_i32 s7, 0x7f
	v_cmp_ne_u32_e32 vcc, s7, v15
	v_mov_b32_e32 v8, 0x7f800001
	s_and_saveexec_b64 s[10:11], vcc
	s_cbranch_execz .LBB585_681
; %bb.680:
	v_and_b32_e32 v8, 7, v6
	v_ffbh_u32_e32 v20, v8
	v_min_u32_e32 v24, 32, v20
	v_subrev_u32_e32 v20, 28, v24
	v_lshlrev_b64 v[20:21], v20, v[6:7]
	v_lshrrev_b32_e32 v23, 3, v15
	v_sub_u32_e32 v6, 29, v24
	v_and_b32_e32 v20, 7, v20
	v_cmp_gt_u32_e32 vcc, 8, v15
	v_mov_b32_e32 v15, 24
	v_cndmask_b32_e32 v6, v23, v6, vcc
	v_cndmask_b32_e32 v8, v8, v20, vcc
	v_lshlrev_b32_sdwa v15, v15, v9 dst_sel:DWORD dst_unused:UNUSED_PAD src0_sel:DWORD src1_sel:WORD_1
	v_bfrev_b32_e32 v20, 60
	v_lshlrev_b32_e32 v8, 20, v8
	v_and_b32_e32 v15, 0x80000000, v15
	v_lshl_add_u32 v6, v6, 23, v20
	v_or3_b32 v8, v15, v6, v8
.LBB585_681:
	s_or_b64 exec, exec, s[10:11]
.LBB585_682:
	s_or_b64 exec, exec, s[8:9]
.LBB585_683:
	s_or_b64 exec, exec, s[2:3]
	s_mov_b32 s2, 0xffffff
	v_cmp_lt_u32_e32 vcc, s2, v9
	v_mov_b32_e32 v15, 0
	v_mov_b32_e32 v20, 0
	s_and_saveexec_b64 s[2:3], vcc
	s_cbranch_execz .LBB585_689
; %bb.684:
	v_lshrrev_b32_e32 v6, 24, v9
	s_movk_i32 s7, 0x80
	v_cmp_ne_u32_e32 vcc, s7, v6
	v_bfrev_b32_e32 v20, 1
	s_and_saveexec_b64 s[8:9], vcc
	s_cbranch_execz .LBB585_688
; %bb.685:
	v_bfe_u32 v9, v9, 24, 7
	s_movk_i32 s7, 0x7f
	v_cmp_ne_u32_e32 vcc, s7, v9
	v_mov_b32_e32 v20, 0x7f800001
	s_and_saveexec_b64 s[10:11], vcc
	s_cbranch_execz .LBB585_687
; %bb.686:
	v_and_b32_e32 v23, 7, v6
	v_ffbh_u32_e32 v20, v23
	v_min_u32_e32 v25, 32, v20
	v_subrev_u32_e32 v20, 28, v25
	v_lshlrev_b64 v[20:21], v20, v[6:7]
	v_lshrrev_b32_e32 v24, 3, v9
	v_sub_u32_e32 v21, 29, v25
	v_and_b32_e32 v20, 7, v20
	v_cmp_gt_u32_e32 vcc, 8, v9
	v_cndmask_b32_e32 v9, v24, v21, vcc
	v_cndmask_b32_e32 v20, v23, v20, vcc
	v_lshlrev_b32_e32 v6, 24, v6
	v_bfrev_b32_e32 v21, 60
	v_lshlrev_b32_e32 v20, 20, v20
	v_and_b32_e32 v6, 0x80000000, v6
	v_lshl_add_u32 v9, v9, 23, v21
	v_or3_b32 v20, v6, v9, v20
.LBB585_687:
	s_or_b64 exec, exec, s[10:11]
.LBB585_688:
	s_or_b64 exec, exec, s[8:9]
.LBB585_689:
	s_or_b64 exec, exec, s[2:3]
	v_cvt_pkrtz_f16_f32 v6, v14, v16
	v_cvt_pkrtz_f16_f32 v7, v7, v18
	ds_read_b128 v[28:31], v22 offset:4112
	s_waitcnt vmcnt(0)
	v_cmp_ne_u16_sdwa s[8:9], v2, v15 src0_sel:BYTE_0 src1_sel:DWORD
	s_waitcnt lgkmcnt(0)
	v_mfma_f32_16x16x16f16 v[10:13], v[6:7], v[28:29], v[10:13]
	v_cvt_pkrtz_f16_f32 v6, v17, v19
	v_cvt_pkrtz_f16_f32 v7, v8, v20
	s_nop 1
	v_mfma_f32_16x16x16f16 v[6:9], v[6:7], v[30:31], v[10:13]
	s_and_saveexec_b64 s[2:3], s[8:9]
	s_cbranch_execz .LBB585_695
; %bb.690:
	s_movk_i32 s7, 0x80
	v_cmp_ne_u16_sdwa s[10:11], v2, s7 src0_sel:BYTE_0 src1_sel:DWORD
	v_bfrev_b32_e32 v15, 1
	s_and_saveexec_b64 s[8:9], s[10:11]
	s_cbranch_execz .LBB585_694
; %bb.691:
	s_movk_i32 s7, 0x7f
	v_and_b32_e32 v10, 0x7f, v2
	v_cmp_ne_u32_e32 vcc, s7, v10
	v_mov_b32_e32 v15, 0x7f800001
	s_and_saveexec_b64 s[10:11], vcc
	s_cbranch_execz .LBB585_693
; %bb.692:
	v_and_b32_e32 v11, 7, v2
	v_ffbh_u32_e32 v12, v11
	v_min_u32_e32 v15, 32, v12
	v_subrev_u32_e32 v12, 28, v15
	v_lshlrev_b64 v[12:13], v12, v[2:3]
	v_lshrrev_b32_e32 v14, 3, v10
	v_sub_u32_e32 v13, 29, v15
	v_and_b32_e32 v12, 7, v12
	v_cmp_gt_u32_e32 vcc, 8, v10
	v_cndmask_b32_e32 v10, v14, v13, vcc
	v_cndmask_b32_e32 v11, v11, v12, vcc
	v_lshlrev_b32_e32 v12, 24, v2
	v_bfrev_b32_e32 v13, 60
	v_lshlrev_b32_e32 v11, 20, v11
	v_and_b32_e32 v12, 0x80000000, v12
	v_lshl_add_u32 v10, v10, 23, v13
	v_or3_b32 v15, v12, v10, v11
.LBB585_693:
	s_or_b64 exec, exec, s[10:11]
.LBB585_694:
	s_or_b64 exec, exec, s[8:9]
.LBB585_695:
	s_or_b64 exec, exec, s[2:3]
	s_nop 3
	v_lshrrev_b16_e32 v10, 8, v2
	v_cmp_ne_u16_e32 vcc, 0, v10
	v_mov_b32_e32 v11, 0
	v_mov_b32_e32 v12, 0
	s_and_saveexec_b64 s[2:3], vcc
	s_cbranch_execz .LBB585_701
; %bb.696:
	s_movk_i32 s7, 0x80
	v_cmp_ne_u16_e32 vcc, s7, v10
	v_bfrev_b32_e32 v12, 1
	s_and_saveexec_b64 s[8:9], vcc
	s_cbranch_execz .LBB585_700
; %bb.697:
	s_movk_i32 s7, 0x7f
	v_and_b32_e32 v13, 0x7f, v10
	v_cmp_ne_u32_e32 vcc, s7, v13
	v_mov_b32_e32 v12, 0x7f800001
	s_and_saveexec_b64 s[10:11], vcc
	s_cbranch_execz .LBB585_699
; %bb.698:
	v_and_b32_e32 v12, 7, v10
	v_ffbh_u32_e32 v16, v12
	v_min_u32_e32 v18, 32, v16
	v_subrev_u32_e32 v16, 28, v18
	v_lshlrev_b64 v[16:17], v16, v[10:11]
	v_lshrrev_b32_e32 v14, 3, v13
	v_sub_u32_e32 v10, 29, v18
	v_and_b32_e32 v16, 7, v16
	v_cmp_gt_u32_e32 vcc, 8, v13
	v_cndmask_b32_e32 v10, v14, v10, vcc
	v_cndmask_b32_e32 v12, v12, v16, vcc
	v_lshlrev_b32_e32 v13, 16, v2
	v_bfrev_b32_e32 v14, 60
	v_lshlrev_b32_e32 v12, 20, v12
	v_and_b32_e32 v13, 0x80000000, v13
	v_lshl_add_u32 v10, v10, 23, v14
	v_or3_b32 v12, v13, v10, v12
.LBB585_699:
	s_or_b64 exec, exec, s[10:11]
.LBB585_700:
	s_or_b64 exec, exec, s[8:9]
.LBB585_701:
	s_or_b64 exec, exec, s[2:3]
	s_movk_i32 s2, 0xff
	v_and_b32_sdwa v13, v2, s2 dst_sel:DWORD dst_unused:UNUSED_PAD src0_sel:WORD_1 src1_sel:DWORD
	v_lshrrev_b32_e32 v10, 16, v2
	v_cmp_ne_u16_e32 vcc, 0, v13
	s_and_saveexec_b64 s[2:3], vcc
	s_cbranch_execz .LBB585_707
; %bb.702:
	s_movk_i32 s7, 0x80
	v_cmp_ne_u16_e32 vcc, s7, v13
	v_bfrev_b32_e32 v11, 1
	s_and_saveexec_b64 s[8:9], vcc
	s_cbranch_execz .LBB585_706
; %bb.703:
	v_bfe_u32 v13, v2, 16, 7
	s_movk_i32 s7, 0x7f
	v_cmp_ne_u32_e32 vcc, s7, v13
	v_mov_b32_e32 v11, 0x7f800001
	s_and_saveexec_b64 s[10:11], vcc
	s_cbranch_execz .LBB585_705
; %bb.704:
	v_and_b32_e32 v14, 7, v10
	v_ffbh_u32_e32 v11, v14
	v_min_u32_e32 v17, 32, v11
	v_subrev_u32_e32 v11, 28, v17
	v_lshlrev_b64 v[10:11], v11, v[10:11]
	v_lshrrev_b32_e32 v16, 3, v13
	v_sub_u32_e32 v11, 29, v17
	v_and_b32_e32 v10, 7, v10
	v_cmp_gt_u32_e32 vcc, 8, v13
	v_mov_b32_e32 v13, 24
	v_cndmask_b32_e32 v11, v16, v11, vcc
	v_cndmask_b32_e32 v10, v14, v10, vcc
	v_lshlrev_b32_sdwa v13, v13, v2 dst_sel:DWORD dst_unused:UNUSED_PAD src0_sel:DWORD src1_sel:WORD_1
	v_bfrev_b32_e32 v14, 60
	v_lshlrev_b32_e32 v10, 20, v10
	v_and_b32_e32 v13, 0x80000000, v13
	v_lshl_add_u32 v11, v11, 23, v14
	v_or3_b32 v11, v13, v11, v10
.LBB585_705:
	s_or_b64 exec, exec, s[10:11]
.LBB585_706:
	s_or_b64 exec, exec, s[8:9]
.LBB585_707:
	s_or_b64 exec, exec, s[2:3]
	s_mov_b32 s2, 0xffffff
	v_cmp_lt_u32_e32 vcc, s2, v2
	v_mov_b32_e32 v13, 0
	v_mov_b32_e32 v14, 0
	s_and_saveexec_b64 s[2:3], vcc
	s_cbranch_execz .LBB585_713
; %bb.708:
	v_lshrrev_b32_e32 v10, 24, v2
	s_movk_i32 s7, 0x80
	v_cmp_ne_u32_e32 vcc, s7, v10
	v_bfrev_b32_e32 v14, 1
	s_and_saveexec_b64 s[8:9], vcc
	s_cbranch_execz .LBB585_712
; %bb.709:
	v_bfe_u32 v2, v2, 24, 7
	s_movk_i32 s7, 0x7f
	v_cmp_ne_u32_e32 vcc, s7, v2
	v_mov_b32_e32 v14, 0x7f800001
	s_and_saveexec_b64 s[10:11], vcc
	s_cbranch_execz .LBB585_711
; %bb.710:
	v_and_b32_e32 v14, 7, v10
	v_ffbh_u32_e32 v16, v14
	v_min_u32_e32 v19, 32, v16
	v_subrev_u32_e32 v16, 28, v19
	v_lshlrev_b64 v[16:17], v16, v[10:11]
	v_lshrrev_b32_e32 v18, 3, v2
	v_sub_u32_e32 v17, 29, v19
	v_and_b32_e32 v16, 7, v16
	v_cmp_gt_u32_e32 vcc, 8, v2
	v_cndmask_b32_e32 v2, v18, v17, vcc
	v_cndmask_b32_e32 v14, v14, v16, vcc
	v_lshlrev_b32_e32 v10, 24, v10
	v_bfrev_b32_e32 v16, 60
	v_lshlrev_b32_e32 v14, 20, v14
	v_and_b32_e32 v10, 0x80000000, v10
	v_lshl_add_u32 v2, v2, 23, v16
	v_or3_b32 v14, v10, v2, v14
.LBB585_711:
	s_or_b64 exec, exec, s[10:11]
.LBB585_712:
	s_or_b64 exec, exec, s[8:9]
.LBB585_713:
	s_or_b64 exec, exec, s[2:3]
	v_cmp_ne_u16_sdwa s[8:9], v3, v13 src0_sel:BYTE_0 src1_sel:DWORD
	s_and_saveexec_b64 s[2:3], s[8:9]
	s_cbranch_execz .LBB585_719
; %bb.714:
	s_movk_i32 s7, 0x80
	v_cmp_ne_u16_sdwa s[10:11], v3, s7 src0_sel:BYTE_0 src1_sel:DWORD
	v_bfrev_b32_e32 v13, 1
	s_and_saveexec_b64 s[8:9], s[10:11]
	s_cbranch_execz .LBB585_718
; %bb.715:
	s_movk_i32 s7, 0x7f
	v_and_b32_e32 v2, 0x7f, v3
	v_cmp_ne_u32_e32 vcc, s7, v2
	v_mov_b32_e32 v13, 0x7f800001
	s_and_saveexec_b64 s[10:11], vcc
	s_cbranch_execz .LBB585_717
; %bb.716:
	v_and_b32_e32 v13, 7, v3
	v_ffbh_u32_e32 v16, v13
	v_min_u32_e32 v19, 32, v16
	v_mov_b32_e32 v10, v3
	v_subrev_u32_e32 v16, 28, v19
	v_lshlrev_b64 v[16:17], v16, v[10:11]
	v_lshrrev_b32_e32 v18, 3, v2
	v_sub_u32_e32 v10, 29, v19
	v_and_b32_e32 v16, 7, v16
	v_cmp_gt_u32_e32 vcc, 8, v2
	v_cndmask_b32_e32 v2, v18, v10, vcc
	v_cndmask_b32_e32 v10, v13, v16, vcc
	v_lshlrev_b32_e32 v13, 24, v3
	v_bfrev_b32_e32 v16, 60
	v_lshlrev_b32_e32 v10, 20, v10
	v_and_b32_e32 v13, 0x80000000, v13
	v_lshl_add_u32 v2, v2, 23, v16
	v_or3_b32 v13, v13, v2, v10
.LBB585_717:
	s_or_b64 exec, exec, s[10:11]
.LBB585_718:
	s_or_b64 exec, exec, s[8:9]
.LBB585_719:
	s_or_b64 exec, exec, s[2:3]
	v_lshrrev_b16_e32 v2, 8, v3
	v_cmp_ne_u16_e32 vcc, 0, v2
	v_mov_b32_e32 v16, 0
	v_mov_b32_e32 v17, 0
	s_and_saveexec_b64 s[2:3], vcc
	s_cbranch_execz .LBB585_725
; %bb.720:
	s_movk_i32 s7, 0x80
	v_cmp_ne_u16_e32 vcc, s7, v2
	v_bfrev_b32_e32 v17, 1
	s_and_saveexec_b64 s[8:9], vcc
	s_cbranch_execz .LBB585_724
; %bb.721:
	s_movk_i32 s7, 0x7f
	v_and_b32_e32 v10, 0x7f, v2
	v_cmp_ne_u32_e32 vcc, s7, v10
	v_mov_b32_e32 v17, 0x7f800001
	s_and_saveexec_b64 s[10:11], vcc
	s_cbranch_execz .LBB585_723
; %bb.722:
	v_and_b32_e32 v17, 7, v2
	v_ffbh_u32_e32 v18, v17
	v_min_u32_e32 v21, 32, v18
	v_subrev_u32_e32 v18, 28, v21
	v_lshlrev_b64 v[18:19], v18, v[2:3]
	v_lshrrev_b32_e32 v20, 3, v10
	v_sub_u32_e32 v2, 29, v21
	v_and_b32_e32 v18, 7, v18
	v_cmp_gt_u32_e32 vcc, 8, v10
	v_cndmask_b32_e32 v2, v20, v2, vcc
	v_cndmask_b32_e32 v10, v17, v18, vcc
	v_lshlrev_b32_e32 v17, 16, v3
	v_bfrev_b32_e32 v18, 60
	v_lshlrev_b32_e32 v10, 20, v10
	v_and_b32_e32 v17, 0x80000000, v17
	v_lshl_add_u32 v2, v2, 23, v18
	v_or3_b32 v17, v17, v2, v10
.LBB585_723:
	s_or_b64 exec, exec, s[10:11]
.LBB585_724:
	s_or_b64 exec, exec, s[8:9]
.LBB585_725:
	s_or_b64 exec, exec, s[2:3]
	s_movk_i32 s2, 0xff
	v_and_b32_sdwa v10, v3, s2 dst_sel:DWORD dst_unused:UNUSED_PAD src0_sel:WORD_1 src1_sel:DWORD
	v_lshrrev_b32_e32 v2, 16, v3
	v_cmp_ne_u16_e32 vcc, 0, v10
	s_and_saveexec_b64 s[2:3], vcc
	s_cbranch_execz .LBB585_731
; %bb.726:
	s_movk_i32 s7, 0x80
	v_cmp_ne_u16_e32 vcc, s7, v10
	v_bfrev_b32_e32 v16, 1
	s_and_saveexec_b64 s[8:9], vcc
	s_cbranch_execz .LBB585_730
; %bb.727:
	v_bfe_u32 v10, v3, 16, 7
	s_movk_i32 s7, 0x7f
	v_cmp_ne_u32_e32 vcc, s7, v10
	v_mov_b32_e32 v16, 0x7f800001
	s_and_saveexec_b64 s[10:11], vcc
	s_cbranch_execz .LBB585_729
; %bb.728:
	v_and_b32_e32 v16, 7, v2
	v_ffbh_u32_e32 v18, v16
	v_min_u32_e32 v21, 32, v18
	v_subrev_u32_e32 v18, 28, v21
	v_lshlrev_b64 v[18:19], v18, v[2:3]
	v_and_b32_e32 v18, 7, v18
	v_cmp_gt_u32_e32 vcc, 8, v10
	v_lshrrev_b32_e32 v20, 3, v10
	v_sub_u32_e32 v2, 29, v21
	v_cndmask_b32_e32 v10, v16, v18, vcc
	v_mov_b32_e32 v16, 24
	v_cndmask_b32_e32 v2, v20, v2, vcc
	v_lshlrev_b32_sdwa v16, v16, v3 dst_sel:DWORD dst_unused:UNUSED_PAD src0_sel:DWORD src1_sel:WORD_1
	v_bfrev_b32_e32 v18, 60
	v_lshlrev_b32_e32 v10, 20, v10
	v_and_b32_e32 v16, 0x80000000, v16
	v_lshl_add_u32 v2, v2, 23, v18
	v_or3_b32 v16, v16, v2, v10
.LBB585_729:
	s_or_b64 exec, exec, s[10:11]
.LBB585_730:
	s_or_b64 exec, exec, s[8:9]
.LBB585_731:
	s_or_b64 exec, exec, s[2:3]
	s_mov_b32 s2, 0xffffff
	v_cmp_lt_u32_e32 vcc, s2, v3
	v_mov_b32_e32 v10, 0
	v_mov_b32_e32 v18, 0
	s_and_saveexec_b64 s[2:3], vcc
	s_cbranch_execz .LBB585_737
; %bb.732:
	v_lshrrev_b32_e32 v2, 24, v3
	s_movk_i32 s7, 0x80
	v_cmp_ne_u32_e32 vcc, s7, v2
	v_bfrev_b32_e32 v18, 1
	s_and_saveexec_b64 s[8:9], vcc
	s_cbranch_execz .LBB585_736
; %bb.733:
	v_bfe_u32 v3, v3, 24, 7
	s_movk_i32 s7, 0x7f
	v_cmp_ne_u32_e32 vcc, s7, v3
	v_mov_b32_e32 v18, 0x7f800001
	s_and_saveexec_b64 s[10:11], vcc
	s_cbranch_execz .LBB585_735
; %bb.734:
	v_and_b32_e32 v20, 7, v2
	v_ffbh_u32_e32 v18, v20
	v_min_u32_e32 v23, 32, v18
	v_subrev_u32_e32 v18, 28, v23
	v_lshlrev_b64 v[18:19], v18, v[2:3]
	v_lshrrev_b32_e32 v21, 3, v3
	v_sub_u32_e32 v19, 29, v23
	v_and_b32_e32 v18, 7, v18
	v_cmp_gt_u32_e32 vcc, 8, v3
	v_cndmask_b32_e32 v3, v21, v19, vcc
	v_cndmask_b32_e32 v18, v20, v18, vcc
	v_lshlrev_b32_e32 v2, 24, v2
	v_bfrev_b32_e32 v19, 60
	v_lshlrev_b32_e32 v18, 20, v18
	v_and_b32_e32 v2, 0x80000000, v2
	v_lshl_add_u32 v3, v3, 23, v19
	v_or3_b32 v18, v2, v3, v18
.LBB585_735:
	s_or_b64 exec, exec, s[10:11]
.LBB585_736:
	s_or_b64 exec, exec, s[8:9]
.LBB585_737:
	s_or_b64 exec, exec, s[2:3]
	v_cvt_pkrtz_f16_f32 v2, v15, v12
	v_cvt_pkrtz_f16_f32 v3, v11, v14
	ds_read_b128 v[28:31], v22 offset:6144
	v_cmp_ne_u16_sdwa s[8:9], v4, v10 src0_sel:BYTE_0 src1_sel:DWORD
	s_waitcnt lgkmcnt(0)
	v_mfma_f32_16x16x16f16 v[6:9], v[2:3], v[28:29], v[6:9]
	v_cvt_pkrtz_f16_f32 v2, v13, v17
	v_cvt_pkrtz_f16_f32 v3, v16, v18
	s_nop 1
	v_mfma_f32_16x16x16f16 v[6:9], v[2:3], v[30:31], v[6:9]
	s_and_saveexec_b64 s[2:3], s[8:9]
	s_cbranch_execz .LBB585_743
; %bb.738:
	s_movk_i32 s7, 0x80
	v_cmp_ne_u16_sdwa s[10:11], v4, s7 src0_sel:BYTE_0 src1_sel:DWORD
	v_bfrev_b32_e32 v10, 1
	s_and_saveexec_b64 s[8:9], s[10:11]
	s_cbranch_execz .LBB585_742
; %bb.739:
	s_movk_i32 s7, 0x7f
	v_and_b32_e32 v2, 0x7f, v4
	v_cmp_ne_u32_e32 vcc, s7, v2
	v_mov_b32_e32 v10, 0x7f800001
	s_and_saveexec_b64 s[10:11], vcc
	s_cbranch_execz .LBB585_741
; %bb.740:
	v_and_b32_e32 v3, 7, v4
	v_ffbh_u32_e32 v10, v3
	v_min_u32_e32 v13, 32, v10
	v_subrev_u32_e32 v10, 28, v13
	v_lshlrev_b64 v[10:11], v10, v[4:5]
	v_lshrrev_b32_e32 v12, 3, v2
	v_sub_u32_e32 v11, 29, v13
	v_and_b32_e32 v10, 7, v10
	v_cmp_gt_u32_e32 vcc, 8, v2
	v_cndmask_b32_e32 v2, v12, v11, vcc
	v_cndmask_b32_e32 v3, v3, v10, vcc
	v_lshlrev_b32_e32 v10, 24, v4
	v_bfrev_b32_e32 v11, 60
	v_lshlrev_b32_e32 v3, 20, v3
	v_and_b32_e32 v10, 0x80000000, v10
	v_lshl_add_u32 v2, v2, 23, v11
	v_or3_b32 v10, v10, v2, v3
.LBB585_741:
	s_or_b64 exec, exec, s[10:11]
.LBB585_742:
	s_or_b64 exec, exec, s[8:9]
.LBB585_743:
	s_or_b64 exec, exec, s[2:3]
	v_lshrrev_b16_e32 v2, 8, v4
	v_cmp_ne_u16_e32 vcc, 0, v2
	v_mov_b32_e32 v3, 0
	v_mov_b32_e32 v11, 0
	s_and_saveexec_b64 s[2:3], vcc
	s_cbranch_execz .LBB585_749
; %bb.744:
	s_movk_i32 s7, 0x80
	v_cmp_ne_u16_e32 vcc, s7, v2
	v_bfrev_b32_e32 v11, 1
	s_and_saveexec_b64 s[8:9], vcc
	s_cbranch_execz .LBB585_748
; %bb.745:
	s_movk_i32 s7, 0x7f
	v_and_b32_e32 v12, 0x7f, v2
	v_cmp_ne_u32_e32 vcc, s7, v12
	v_mov_b32_e32 v11, 0x7f800001
	s_and_saveexec_b64 s[10:11], vcc
	s_cbranch_execz .LBB585_747
; %bb.746:
	v_and_b32_e32 v11, 7, v2
	v_ffbh_u32_e32 v14, v11
	v_min_u32_e32 v16, 32, v14
	v_subrev_u32_e32 v14, 28, v16
	v_lshlrev_b64 v[14:15], v14, v[2:3]
	v_lshrrev_b32_e32 v13, 3, v12
	v_sub_u32_e32 v2, 29, v16
	v_and_b32_e32 v14, 7, v14
	v_cmp_gt_u32_e32 vcc, 8, v12
	v_cndmask_b32_e32 v2, v13, v2, vcc
	v_cndmask_b32_e32 v11, v11, v14, vcc
	v_lshlrev_b32_e32 v12, 16, v4
	v_bfrev_b32_e32 v13, 60
	v_lshlrev_b32_e32 v11, 20, v11
	v_and_b32_e32 v12, 0x80000000, v12
	v_lshl_add_u32 v2, v2, 23, v13
	v_or3_b32 v11, v12, v2, v11
.LBB585_747:
	s_or_b64 exec, exec, s[10:11]
.LBB585_748:
	s_or_b64 exec, exec, s[8:9]
.LBB585_749:
	s_or_b64 exec, exec, s[2:3]
	s_movk_i32 s2, 0xff
	v_and_b32_sdwa v12, v4, s2 dst_sel:DWORD dst_unused:UNUSED_PAD src0_sel:WORD_1 src1_sel:DWORD
	v_lshrrev_b32_e32 v2, 16, v4
	v_cmp_ne_u16_e32 vcc, 0, v12
	s_and_saveexec_b64 s[2:3], vcc
	s_cbranch_execz .LBB585_755
; %bb.750:
	s_movk_i32 s7, 0x80
	v_cmp_ne_u16_e32 vcc, s7, v12
	v_bfrev_b32_e32 v3, 1
	s_and_saveexec_b64 s[8:9], vcc
	s_cbranch_execz .LBB585_754
; %bb.751:
	v_bfe_u32 v12, v4, 16, 7
	s_movk_i32 s7, 0x7f
	v_cmp_ne_u32_e32 vcc, s7, v12
	v_mov_b32_e32 v3, 0x7f800001
	s_and_saveexec_b64 s[10:11], vcc
	s_cbranch_execz .LBB585_753
; %bb.752:
	v_and_b32_e32 v13, 7, v2
	v_ffbh_u32_e32 v3, v13
	v_min_u32_e32 v15, 32, v3
	v_subrev_u32_e32 v3, 28, v15
	v_lshlrev_b64 v[2:3], v3, v[2:3]
	v_lshrrev_b32_e32 v14, 3, v12
	v_sub_u32_e32 v3, 29, v15
	v_and_b32_e32 v2, 7, v2
	v_cmp_gt_u32_e32 vcc, 8, v12
	v_mov_b32_e32 v12, 24
	v_cndmask_b32_e32 v3, v14, v3, vcc
	v_cndmask_b32_e32 v2, v13, v2, vcc
	v_lshlrev_b32_sdwa v12, v12, v4 dst_sel:DWORD dst_unused:UNUSED_PAD src0_sel:DWORD src1_sel:WORD_1
	v_bfrev_b32_e32 v13, 60
	v_lshlrev_b32_e32 v2, 20, v2
	v_and_b32_e32 v12, 0x80000000, v12
	v_lshl_add_u32 v3, v3, 23, v13
	v_or3_b32 v3, v12, v3, v2
.LBB585_753:
	s_or_b64 exec, exec, s[10:11]
.LBB585_754:
	s_or_b64 exec, exec, s[8:9]
.LBB585_755:
	s_or_b64 exec, exec, s[2:3]
	s_mov_b32 s2, 0xffffff
	v_cmp_lt_u32_e32 vcc, s2, v4
	v_mov_b32_e32 v12, 0
	v_mov_b32_e32 v13, 0
	s_and_saveexec_b64 s[2:3], vcc
	s_cbranch_execz .LBB585_761
; %bb.756:
	v_lshrrev_b32_e32 v2, 24, v4
	s_movk_i32 s7, 0x80
	v_cmp_ne_u32_e32 vcc, s7, v2
	v_bfrev_b32_e32 v13, 1
	s_and_saveexec_b64 s[8:9], vcc
	s_cbranch_execz .LBB585_760
; %bb.757:
	v_bfe_u32 v4, v4, 24, 7
	s_movk_i32 s7, 0x7f
	v_cmp_ne_u32_e32 vcc, s7, v4
	v_mov_b32_e32 v13, 0x7f800001
	s_and_saveexec_b64 s[10:11], vcc
	s_cbranch_execz .LBB585_759
; %bb.758:
	v_and_b32_e32 v13, 7, v2
	v_ffbh_u32_e32 v14, v13
	v_min_u32_e32 v17, 32, v14
	v_subrev_u32_e32 v14, 28, v17
	v_lshlrev_b64 v[14:15], v14, v[2:3]
	v_lshrrev_b32_e32 v16, 3, v4
	v_sub_u32_e32 v15, 29, v17
	v_and_b32_e32 v14, 7, v14
	v_cmp_gt_u32_e32 vcc, 8, v4
	v_cndmask_b32_e32 v4, v16, v15, vcc
	v_cndmask_b32_e32 v13, v13, v14, vcc
	v_lshlrev_b32_e32 v2, 24, v2
	v_bfrev_b32_e32 v14, 60
	v_lshlrev_b32_e32 v13, 20, v13
	v_and_b32_e32 v2, 0x80000000, v2
	v_lshl_add_u32 v4, v4, 23, v14
	v_or3_b32 v13, v2, v4, v13
.LBB585_759:
	s_or_b64 exec, exec, s[10:11]
.LBB585_760:
	s_or_b64 exec, exec, s[8:9]
.LBB585_761:
	s_or_b64 exec, exec, s[2:3]
	v_cmp_ne_u16_sdwa s[8:9], v5, v12 src0_sel:BYTE_0 src1_sel:DWORD
	s_and_saveexec_b64 s[2:3], s[8:9]
	s_cbranch_execz .LBB585_767
; %bb.762:
	s_movk_i32 s7, 0x80
	v_cmp_ne_u16_sdwa s[10:11], v5, s7 src0_sel:BYTE_0 src1_sel:DWORD
	v_bfrev_b32_e32 v12, 1
	s_and_saveexec_b64 s[8:9], s[10:11]
	s_cbranch_execz .LBB585_766
; %bb.763:
	s_movk_i32 s7, 0x7f
	v_and_b32_e32 v2, 0x7f, v5
	v_cmp_ne_u32_e32 vcc, s7, v2
	v_mov_b32_e32 v12, 0x7f800001
	s_and_saveexec_b64 s[10:11], vcc
	s_cbranch_execz .LBB585_765
; %bb.764:
	v_and_b32_e32 v12, 7, v5
	v_ffbh_u32_e32 v14, v12
	v_min_u32_e32 v17, 32, v14
	v_mov_b32_e32 v4, v5
	v_subrev_u32_e32 v14, 28, v17
	v_lshlrev_b64 v[14:15], v14, v[4:5]
	v_lshrrev_b32_e32 v16, 3, v2
	v_sub_u32_e32 v4, 29, v17
	v_and_b32_e32 v14, 7, v14
	v_cmp_gt_u32_e32 vcc, 8, v2
	v_cndmask_b32_e32 v2, v16, v4, vcc
	v_cndmask_b32_e32 v4, v12, v14, vcc
	v_lshlrev_b32_e32 v12, 24, v5
	v_bfrev_b32_e32 v14, 60
	v_lshlrev_b32_e32 v4, 20, v4
	v_and_b32_e32 v12, 0x80000000, v12
	v_lshl_add_u32 v2, v2, 23, v14
	v_or3_b32 v12, v12, v2, v4
.LBB585_765:
	s_or_b64 exec, exec, s[10:11]
.LBB585_766:
	s_or_b64 exec, exec, s[8:9]
.LBB585_767:
	s_or_b64 exec, exec, s[2:3]
	v_lshrrev_b16_e32 v2, 8, v5
	v_cmp_ne_u16_e32 vcc, 0, v2
	v_mov_b32_e32 v4, 0
	v_mov_b32_e32 v14, 0
	s_and_saveexec_b64 s[2:3], vcc
	s_cbranch_execz .LBB585_773
; %bb.768:
	s_movk_i32 s7, 0x80
	v_cmp_ne_u16_e32 vcc, s7, v2
	v_bfrev_b32_e32 v14, 1
	s_and_saveexec_b64 s[8:9], vcc
	s_cbranch_execz .LBB585_772
; %bb.769:
	s_movk_i32 s7, 0x7f
	v_and_b32_e32 v15, 0x7f, v2
	v_cmp_ne_u32_e32 vcc, s7, v15
	v_mov_b32_e32 v14, 0x7f800001
	s_and_saveexec_b64 s[10:11], vcc
	s_cbranch_execz .LBB585_771
; %bb.770:
	v_and_b32_e32 v14, 7, v2
	v_ffbh_u32_e32 v16, v14
	v_min_u32_e32 v19, 32, v16
	v_subrev_u32_e32 v16, 28, v19
	v_lshlrev_b64 v[16:17], v16, v[2:3]
	v_lshrrev_b32_e32 v18, 3, v15
	v_sub_u32_e32 v2, 29, v19
	v_and_b32_e32 v16, 7, v16
	v_cmp_gt_u32_e32 vcc, 8, v15
	v_cndmask_b32_e32 v2, v18, v2, vcc
	v_cndmask_b32_e32 v14, v14, v16, vcc
	v_lshlrev_b32_e32 v15, 16, v5
	v_bfrev_b32_e32 v16, 60
	v_lshlrev_b32_e32 v14, 20, v14
	v_and_b32_e32 v15, 0x80000000, v15
	v_lshl_add_u32 v2, v2, 23, v16
	v_or3_b32 v14, v15, v2, v14
.LBB585_771:
	s_or_b64 exec, exec, s[10:11]
.LBB585_772:
	s_or_b64 exec, exec, s[8:9]
.LBB585_773:
	s_or_b64 exec, exec, s[2:3]
	s_movk_i32 s2, 0xff
	v_and_b32_sdwa v15, v5, s2 dst_sel:DWORD dst_unused:UNUSED_PAD src0_sel:WORD_1 src1_sel:DWORD
	v_lshrrev_b32_e32 v2, 16, v5
	v_cmp_ne_u16_e32 vcc, 0, v15
	s_and_saveexec_b64 s[2:3], vcc
	s_cbranch_execz .LBB585_779
; %bb.774:
	s_movk_i32 s7, 0x80
	v_cmp_ne_u16_e32 vcc, s7, v15
	v_bfrev_b32_e32 v4, 1
	s_and_saveexec_b64 s[8:9], vcc
	s_cbranch_execz .LBB585_778
; %bb.775:
	v_bfe_u32 v15, v5, 16, 7
	s_movk_i32 s7, 0x7f
	v_cmp_ne_u32_e32 vcc, s7, v15
	v_mov_b32_e32 v4, 0x7f800001
	s_and_saveexec_b64 s[10:11], vcc
	s_cbranch_execz .LBB585_777
; %bb.776:
	v_and_b32_e32 v4, 7, v2
	v_ffbh_u32_e32 v16, v4
	v_min_u32_e32 v19, 32, v16
	v_subrev_u32_e32 v16, 28, v19
	v_lshlrev_b64 v[16:17], v16, v[2:3]
	v_lshrrev_b32_e32 v18, 3, v15
	v_sub_u32_e32 v2, 29, v19
	v_and_b32_e32 v16, 7, v16
	v_cmp_gt_u32_e32 vcc, 8, v15
	v_mov_b32_e32 v15, 24
	v_cndmask_b32_e32 v2, v18, v2, vcc
	v_cndmask_b32_e32 v4, v4, v16, vcc
	v_lshlrev_b32_sdwa v15, v15, v5 dst_sel:DWORD dst_unused:UNUSED_PAD src0_sel:DWORD src1_sel:WORD_1
	v_bfrev_b32_e32 v16, 60
	v_lshlrev_b32_e32 v4, 20, v4
	v_and_b32_e32 v15, 0x80000000, v15
	v_lshl_add_u32 v2, v2, 23, v16
	v_or3_b32 v4, v15, v2, v4
.LBB585_777:
	s_or_b64 exec, exec, s[10:11]
.LBB585_778:
	s_or_b64 exec, exec, s[8:9]
.LBB585_779:
	s_or_b64 exec, exec, s[2:3]
	s_mov_b32 s2, 0xffffff
	v_cmp_lt_u32_e32 vcc, s2, v5
	v_mov_b32_e32 v15, 0
	s_and_saveexec_b64 s[2:3], vcc
	s_cbranch_execz .LBB585_785
; %bb.780:
	v_lshrrev_b32_e32 v2, 24, v5
	s_movk_i32 s7, 0x80
	v_cmp_ne_u32_e32 vcc, s7, v2
	v_bfrev_b32_e32 v15, 1
	s_and_saveexec_b64 s[8:9], vcc
	s_cbranch_execz .LBB585_784
; %bb.781:
	v_bfe_u32 v5, v5, 24, 7
	s_movk_i32 s7, 0x7f
	v_cmp_ne_u32_e32 vcc, s7, v5
	v_mov_b32_e32 v15, 0x7f800001
	s_and_saveexec_b64 s[10:11], vcc
	s_cbranch_execz .LBB585_783
; %bb.782:
	v_and_b32_e32 v15, 7, v2
	v_ffbh_u32_e32 v16, v15
	v_min_u32_e32 v19, 32, v16
	v_subrev_u32_e32 v16, 28, v19
	v_lshlrev_b64 v[16:17], v16, v[2:3]
	v_lshrrev_b32_e32 v18, 3, v5
	v_sub_u32_e32 v17, 29, v19
	v_and_b32_e32 v16, 7, v16
	v_cmp_gt_u32_e32 vcc, 8, v5
	v_cndmask_b32_e32 v5, v18, v17, vcc
	v_cndmask_b32_e32 v15, v15, v16, vcc
	v_lshlrev_b32_e32 v2, 24, v2
	v_bfrev_b32_e32 v16, 60
	v_lshlrev_b32_e32 v15, 20, v15
	v_and_b32_e32 v2, 0x80000000, v2
	v_lshl_add_u32 v5, v5, 23, v16
	v_or3_b32 v15, v2, v5, v15
.LBB585_783:
	s_or_b64 exec, exec, s[10:11]
.LBB585_784:
	s_or_b64 exec, exec, s[8:9]
.LBB585_785:
	s_or_b64 exec, exec, s[2:3]
	v_cvt_pkrtz_f16_f32 v2, v10, v11
	v_cvt_pkrtz_f16_f32 v3, v3, v13
	ds_read_b128 v[16:19], v22 offset:6160
	s_load_dword s2, s[42:43], 0x0
	v_cmp_gt_u32_e32 vcc, 64, v0
	s_waitcnt lgkmcnt(0)
	v_mfma_f32_16x16x16f16 v[6:9], v[2:3], v[16:17], v[6:9]
	v_cvt_pkrtz_f16_f32 v2, v12, v14
	v_cvt_pkrtz_f16_f32 v3, v4, v15
	s_and_b64 s[0:1], vcc, s[0:1]
	s_barrier
	v_mfma_f32_16x16x16f16 v[2:5], v[2:3], v[18:19], v[6:9]
	s_nop 7
	s_nop 2
	v_pk_mul_f32 v[4:5], v[4:5], s[2:3] op_sel_hi:[1,0]
	v_pk_mul_f32 v[2:3], v[2:3], s[2:3] op_sel_hi:[1,0]
	v_cvt_f16_f32_e32 v2, v2
	v_cvt_f16_f32_e32 v3, v3
	;; [unrolled: 1-line block ×4, first 2 shown]
	v_pack_b32_f16 v2, v2, v3
	v_pack_b32_f16 v3, v4, v5
	ds_write_b64 v26, v[2:3]
	s_waitcnt lgkmcnt(0)
	s_barrier
	s_and_saveexec_b64 s[2:3], s[0:1]
	s_cbranch_execz .LBB585_787
; %bb.786:
	s_load_dwordx2 s[0:1], s[4:5], 0x68
	s_lshl_b32 s4, s44, 6
	s_mul_i32 s2, s12, s6
	s_mul_hi_u32 s3, s2, s4
	s_mul_i32 s2, s2, s4
	s_lshl_b64 s[2:3], s[2:3], 1
	s_waitcnt lgkmcnt(0)
	s_add_u32 s2, s0, s2
	s_addc_u32 s3, s1, s3
	s_lshl_b32 s0, s24, 6
	s_mov_b32 s1, 0
	v_lshlrev_b32_e32 v0, 10, v0
	s_lshl_b64 s[0:1], s[0:1], 1
	v_and_b32_e32 v0, 0x1800, v0
	v_lshlrev_b32_e32 v2, 5, v1
	v_and_b32_e32 v3, 16, v47
	s_add_u32 s0, s2, s0
	v_or3_b32 v0, v0, v2, v3
	s_addc_u32 s1, s3, s1
	ds_read_b128 v[2:5], v0
	ds_read_b128 v[6:9], v0 offset:128
	ds_read_b128 v[10:13], v0 offset:256
	v_or_b32_e32 v14, s25, v1
	v_mov_b32_e32 v0, s1
	v_add_co_u32_e32 v15, vcc, s0, v46
	v_addc_co_u32_e32 v16, vcc, 0, v0, vcc
	v_mad_u64_u32 v[0:1], s[0:1], v14, s4, 0
	v_lshlrev_b64 v[0:1], 1, v[0:1]
	v_add_co_u32_e32 v0, vcc, v15, v0
	v_addc_co_u32_e32 v1, vcc, v16, v1, vcc
	s_waitcnt lgkmcnt(2)
	global_store_dwordx4 v[0:1], v[2:5], off
	v_add_u32_e32 v0, 4, v14
	v_mad_u64_u32 v[0:1], s[0:1], v0, s4, 0
	v_lshlrev_b64 v[0:1], 1, v[0:1]
	v_add_co_u32_e32 v0, vcc, v15, v0
	v_addc_co_u32_e32 v1, vcc, v16, v1, vcc
	s_waitcnt lgkmcnt(1)
	global_store_dwordx4 v[0:1], v[6:9], off
	v_add_u32_e32 v0, 8, v14
	v_mad_u64_u32 v[0:1], s[0:1], v0, s4, 0
	v_lshlrev_b64 v[0:1], 1, v[0:1]
	v_add_co_u32_e32 v0, vcc, v15, v0
	v_addc_co_u32_e32 v1, vcc, v16, v1, vcc
	s_waitcnt lgkmcnt(0)
	global_store_dwordx4 v[0:1], v[10:13], off
.LBB585_787:
	s_endpgm
	.section	.rodata,"a",@progbits
	.p2align	6, 0x0
	.amdhsa_kernel _Z39paged_attention_ll4mi_QKV_mfma16_kernelIDF16_hLN4vllm18Fp8KVCacheDataTypeE1EDF16_Li32ELi64ELi256ELb1ELi12EL8MFMAType0EEvPKT_PKT0_S8_ifPKiSA_SA_iPKfiiiPfSD_PS3_PT2_iSC_SC_
		.amdhsa_group_segment_fixed_size 8192
		.amdhsa_private_segment_fixed_size 0
		.amdhsa_kernarg_size 400
		.amdhsa_user_sgpr_count 6
		.amdhsa_user_sgpr_private_segment_buffer 1
		.amdhsa_user_sgpr_dispatch_ptr 0
		.amdhsa_user_sgpr_queue_ptr 0
		.amdhsa_user_sgpr_kernarg_segment_ptr 1
		.amdhsa_user_sgpr_dispatch_id 0
		.amdhsa_user_sgpr_flat_scratch_init 0
		.amdhsa_user_sgpr_kernarg_preload_length 0
		.amdhsa_user_sgpr_kernarg_preload_offset 0
		.amdhsa_user_sgpr_private_segment_size 0
		.amdhsa_uses_dynamic_stack 0
		.amdhsa_system_sgpr_private_segment_wavefront_offset 0
		.amdhsa_system_sgpr_workgroup_id_x 1
		.amdhsa_system_sgpr_workgroup_id_y 1
		.amdhsa_system_sgpr_workgroup_id_z 1
		.amdhsa_system_sgpr_workgroup_info 0
		.amdhsa_system_vgpr_workitem_id 0
		.amdhsa_next_free_vgpr 63
		.amdhsa_next_free_sgpr 47
		.amdhsa_accum_offset 64
		.amdhsa_reserve_vcc 1
		.amdhsa_reserve_flat_scratch 0
		.amdhsa_float_round_mode_32 0
		.amdhsa_float_round_mode_16_64 0
		.amdhsa_float_denorm_mode_32 3
		.amdhsa_float_denorm_mode_16_64 3
		.amdhsa_dx10_clamp 1
		.amdhsa_ieee_mode 1
		.amdhsa_fp16_overflow 0
		.amdhsa_tg_split 0
		.amdhsa_exception_fp_ieee_invalid_op 0
		.amdhsa_exception_fp_denorm_src 0
		.amdhsa_exception_fp_ieee_div_zero 0
		.amdhsa_exception_fp_ieee_overflow 0
		.amdhsa_exception_fp_ieee_underflow 0
		.amdhsa_exception_fp_ieee_inexact 0
		.amdhsa_exception_int_div_zero 0
	.end_amdhsa_kernel
	.section	.text._Z39paged_attention_ll4mi_QKV_mfma16_kernelIDF16_hLN4vllm18Fp8KVCacheDataTypeE1EDF16_Li32ELi64ELi256ELb1ELi12EL8MFMAType0EEvPKT_PKT0_S8_ifPKiSA_SA_iPKfiiiPfSD_PS3_PT2_iSC_SC_,"axG",@progbits,_Z39paged_attention_ll4mi_QKV_mfma16_kernelIDF16_hLN4vllm18Fp8KVCacheDataTypeE1EDF16_Li32ELi64ELi256ELb1ELi12EL8MFMAType0EEvPKT_PKT0_S8_ifPKiSA_SA_iPKfiiiPfSD_PS3_PT2_iSC_SC_,comdat
.Lfunc_end585:
	.size	_Z39paged_attention_ll4mi_QKV_mfma16_kernelIDF16_hLN4vllm18Fp8KVCacheDataTypeE1EDF16_Li32ELi64ELi256ELb1ELi12EL8MFMAType0EEvPKT_PKT0_S8_ifPKiSA_SA_iPKfiiiPfSD_PS3_PT2_iSC_SC_, .Lfunc_end585-_Z39paged_attention_ll4mi_QKV_mfma16_kernelIDF16_hLN4vllm18Fp8KVCacheDataTypeE1EDF16_Li32ELi64ELi256ELb1ELi12EL8MFMAType0EEvPKT_PKT0_S8_ifPKiSA_SA_iPKfiiiPfSD_PS3_PT2_iSC_SC_
                                        ; -- End function
	.section	.AMDGPU.csdata,"",@progbits
; Kernel info:
; codeLenInByte = 27356
; NumSgprs: 51
; NumVgprs: 63
; NumAgprs: 0
; TotalNumVgprs: 63
; ScratchSize: 0
; MemoryBound: 0
; FloatMode: 240
; IeeeMode: 1
; LDSByteSize: 8192 bytes/workgroup (compile time only)
; SGPRBlocks: 6
; VGPRBlocks: 7
; NumSGPRsForWavesPerEU: 51
; NumVGPRsForWavesPerEU: 63
; AccumOffset: 64
; Occupancy: 8
; WaveLimiterHint : 1
; COMPUTE_PGM_RSRC2:SCRATCH_EN: 0
; COMPUTE_PGM_RSRC2:USER_SGPR: 6
; COMPUTE_PGM_RSRC2:TRAP_HANDLER: 0
; COMPUTE_PGM_RSRC2:TGID_X_EN: 1
; COMPUTE_PGM_RSRC2:TGID_Y_EN: 1
; COMPUTE_PGM_RSRC2:TGID_Z_EN: 1
; COMPUTE_PGM_RSRC2:TIDIG_COMP_CNT: 0
; COMPUTE_PGM_RSRC3_GFX90A:ACCUM_OFFSET: 15
; COMPUTE_PGM_RSRC3_GFX90A:TG_SPLIT: 0
	.section	.text._Z39paged_attention_ll4mi_QKV_mfma16_kernelIDF16_hLN4vllm18Fp8KVCacheDataTypeE1EDF16_Li32ELi64ELi256ELb1ELi13EL8MFMAType0EEvPKT_PKT0_S8_ifPKiSA_SA_iPKfiiiPfSD_PS3_PT2_iSC_SC_,"axG",@progbits,_Z39paged_attention_ll4mi_QKV_mfma16_kernelIDF16_hLN4vllm18Fp8KVCacheDataTypeE1EDF16_Li32ELi64ELi256ELb1ELi13EL8MFMAType0EEvPKT_PKT0_S8_ifPKiSA_SA_iPKfiiiPfSD_PS3_PT2_iSC_SC_,comdat
	.protected	_Z39paged_attention_ll4mi_QKV_mfma16_kernelIDF16_hLN4vllm18Fp8KVCacheDataTypeE1EDF16_Li32ELi64ELi256ELb1ELi13EL8MFMAType0EEvPKT_PKT0_S8_ifPKiSA_SA_iPKfiiiPfSD_PS3_PT2_iSC_SC_ ; -- Begin function _Z39paged_attention_ll4mi_QKV_mfma16_kernelIDF16_hLN4vllm18Fp8KVCacheDataTypeE1EDF16_Li32ELi64ELi256ELb1ELi13EL8MFMAType0EEvPKT_PKT0_S8_ifPKiSA_SA_iPKfiiiPfSD_PS3_PT2_iSC_SC_
	.globl	_Z39paged_attention_ll4mi_QKV_mfma16_kernelIDF16_hLN4vllm18Fp8KVCacheDataTypeE1EDF16_Li32ELi64ELi256ELb1ELi13EL8MFMAType0EEvPKT_PKT0_S8_ifPKiSA_SA_iPKfiiiPfSD_PS3_PT2_iSC_SC_
	.p2align	8
	.type	_Z39paged_attention_ll4mi_QKV_mfma16_kernelIDF16_hLN4vllm18Fp8KVCacheDataTypeE1EDF16_Li32ELi64ELi256ELb1ELi13EL8MFMAType0EEvPKT_PKT0_S8_ifPKiSA_SA_iPKfiiiPfSD_PS3_PT2_iSC_SC_,@function
_Z39paged_attention_ll4mi_QKV_mfma16_kernelIDF16_hLN4vllm18Fp8KVCacheDataTypeE1EDF16_Li32ELi64ELi256ELb1ELi13EL8MFMAType0EEvPKT_PKT0_S8_ifPKiSA_SA_iPKfiiiPfSD_PS3_PT2_iSC_SC_: ; @_Z39paged_attention_ll4mi_QKV_mfma16_kernelIDF16_hLN4vllm18Fp8KVCacheDataTypeE1EDF16_Li32ELi64ELi256ELb1ELi13EL8MFMAType0EEvPKT_PKT0_S8_ifPKiSA_SA_iPKfiiiPfSD_PS3_PT2_iSC_SC_
; %bb.0:
	s_load_dwordx2 s[0:1], s[4:5], 0x30
	s_mov_b32 s24, s7
	s_mov_b64 s[10:11], 0
	s_waitcnt lgkmcnt(0)
	s_cmp_lg_u64 s[0:1], 0
	s_cselect_b64 s[2:3], -1, 0
	s_and_b64 vcc, exec, s[2:3]
	s_cbranch_vccz .LBB586_7
; %bb.1:
	s_add_i32 s12, s6, 1
	s_mov_b32 s13, 0
	s_lshl_b64 s[14:15], s[12:13], 2
	s_add_u32 s14, s0, s14
	s_mov_b32 s7, s13
	s_addc_u32 s15, s1, s15
	s_lshl_b64 s[12:13], s[6:7], 2
	s_add_u32 s12, s0, s12
	s_addc_u32 s13, s1, s13
	s_load_dword s9, s[14:15], 0x0
	s_load_dword s16, s[12:13], 0x0
	s_waitcnt lgkmcnt(0)
	s_sub_i32 s9, s9, s16
	s_cmp_eq_u32 s9, 1
	s_cselect_b64 s[12:13], -1, 0
	s_andn2_b64 vcc, exec, s[10:11]
	s_cbranch_vccnz .LBB586_3
.LBB586_2:
	s_mov_b32 s7, 0
	s_mov_b64 s[12:13], -1
.LBB586_3:
	s_andn2_b64 vcc, exec, s[12:13]
	s_cbranch_vccnz .LBB586_788
; %bb.4:
	s_load_dwordx2 s[12:13], s[4:5], 0x28
	s_lshl_b64 s[10:11], s[6:7], 2
	s_waitcnt lgkmcnt(0)
	s_add_u32 s12, s12, s10
	s_addc_u32 s13, s13, s11
	s_load_dword s33, s[12:13], 0x0
	s_lshl_b32 s18, s24, 8
	s_waitcnt lgkmcnt(0)
	s_cmp_ge_i32 s18, s33
	s_cbranch_scc1 .LBB586_788
; %bb.5:
	s_add_i32 s14, s33, 31
	s_load_dwordx2 s[12:13], s[4:5], 0x20
	s_load_dword s9, s[4:5], 0x38
	s_ashr_i32 s15, s14, 31
	v_and_b32_e32 v1, 0xcf, v0
	s_lshr_b32 s15, s15, 27
	v_add_u32_e32 v1, s18, v1
	s_add_i32 s14, s14, s15
	v_ashrrev_i32_e32 v2, 31, v1
	s_ashr_i32 s21, s14, 5
	v_lshrrev_b32_e32 v4, 27, v2
	s_add_i32 s21, s21, -1
	v_add_u32_e32 v2, v1, v4
	s_waitcnt lgkmcnt(0)
	s_mul_i32 s14, s6, s9
	s_mov_b32 s15, 0
	v_ashrrev_i32_e32 v2, 5, v2
	v_mov_b32_e32 v5, s21
	v_cmp_gt_i32_e32 vcc, s33, v1
	s_lshl_b64 s[14:15], s[14:15], 2
	v_cndmask_b32_e32 v2, v5, v2, vcc
	s_add_u32 s19, s12, s14
	v_ashrrev_i32_e32 v3, 31, v2
	s_addc_u32 s20, s13, s15
	v_lshlrev_b64 v[2:3], 2, v[2:3]
	v_mov_b32_e32 v7, s20
	v_add_co_u32_e32 v6, vcc, s19, v2
	v_or_b32_e32 v2, 16, v1
	v_addc_co_u32_e32 v7, vcc, v7, v3, vcc
	v_add_u32_e32 v3, v2, v4
	v_ashrrev_i32_e32 v3, 5, v3
	v_cmp_gt_i32_e32 vcc, s33, v2
	v_cndmask_b32_e32 v2, v5, v3, vcc
	v_ashrrev_i32_e32 v3, 31, v2
	v_lshlrev_b64 v[2:3], 2, v[2:3]
	v_mov_b32_e32 v9, s20
	v_add_co_u32_e32 v8, vcc, s19, v2
	v_or_b32_e32 v2, 32, v1
	v_addc_co_u32_e32 v9, vcc, v9, v3, vcc
	v_add_u32_e32 v3, v2, v4
	v_ashrrev_i32_e32 v3, 5, v3
	v_cmp_gt_i32_e32 vcc, s33, v2
	v_cndmask_b32_e32 v2, v5, v3, vcc
	v_ashrrev_i32_e32 v3, 31, v2
	;; [unrolled: 10-line block ×3, first 2 shown]
	v_lshlrev_b64 v[2:3], 2, v[2:3]
	v_mov_b32_e32 v1, s20
	v_add_co_u32_e32 v12, vcc, s19, v2
	v_addc_co_u32_e32 v13, vcc, v1, v3, vcc
	global_load_dword v5, v[6:7], off
	global_load_dword v4, v[8:9], off
	;; [unrolled: 1-line block ×4, first 2 shown]
	s_load_dwordx2 s[16:17], s[4:5], 0x8
	s_andn2_b64 vcc, exec, s[2:3]
	s_cbranch_vccnz .LBB586_8
; %bb.6:
	s_add_u32 s0, s0, s10
	s_addc_u32 s1, s1, s11
	s_load_dword s9, s[0:1], 0x0
	s_branch .LBB586_9
.LBB586_7:
	s_mov_b64 s[12:13], 0
	s_branch .LBB586_2
.LBB586_8:
	s_mov_b32 s9, s6
.LBB586_9:
	s_load_dwordx2 s[2:3], s[4:5], 0x10
	s_load_dwordx4 s[12:15], s[4:5], 0x48
	v_lshrrev_b32_e32 v50, 6, v0
	v_bfe_u32 v1, v0, 4, 2
	v_lshl_or_b32 v6, v50, 2, v1
	v_and_b32_e32 v49, 15, v0
	v_lshlrev_b32_e32 v7, 3, v49
	v_cmp_gt_u32_e32 vcc, 13, v6
	v_cmp_gt_u32_e64 s[0:1], 8, v49
	s_mul_i32 s25, s8, 13
	s_and_b64 s[22:23], s[0:1], vcc
	v_lshlrev_b32_e32 v46, 1, v7
	v_lshlrev_b32_e32 v47, 4, v0
	s_and_saveexec_b64 s[10:11], s[22:23]
	s_cbranch_execz .LBB586_11
; %bb.10:
	s_load_dwordx2 s[22:23], s[4:5], 0x0
	s_waitcnt lgkmcnt(0)
	s_ashr_i32 s15, s12, 31
	s_mul_hi_u32 s26, s9, s12
	s_mul_i32 s15, s9, s15
	s_add_i32 s27, s26, s15
	s_mul_i32 s26, s9, s12
	s_lshl_b64 s[26:27], s[26:27], 1
	v_add_lshl_u32 v8, v6, s25, 6
	s_add_u32 s9, s22, s26
	v_ashrrev_i32_e32 v9, 31, v8
	s_addc_u32 s12, s23, s27
	v_lshlrev_b64 v[8:9], 1, v[8:9]
	v_mov_b32_e32 v7, s12
	v_add_co_u32_e32 v8, vcc, s9, v8
	v_addc_co_u32_e32 v7, vcc, v7, v9, vcc
	v_add_co_u32_e32 v8, vcc, v8, v46
	v_addc_co_u32_e32 v9, vcc, 0, v7, vcc
	global_load_dwordx4 v[8:11], v[8:9], off
	v_lshlrev_b32_e32 v12, 8, v49
	v_lshlrev_b32_e32 v6, 5, v6
	v_and_b32_e32 v7, 16, v47
	v_and_b32_e32 v12, 0xe00, v12
	v_or3_b32 v6, v12, v6, v7
	s_waitcnt vmcnt(0)
	ds_write_b128 v6, v[8:11]
.LBB586_11:
	s_or_b64 exec, exec, s[10:11]
	s_waitcnt lgkmcnt(0)
	s_mul_i32 s10, s8, s14
	s_add_u32 s8, s16, s10
	s_addc_u32 s9, s17, 0
	v_pk_mov_b32 v[8:9], s[8:9], s[8:9] op_sel:[0,1]
	s_waitcnt vmcnt(3)
	v_mad_i64_i32 v[10:11], s[8:9], v5, s13, v[8:9]
	v_lshlrev_b32_e32 v12, 4, v49
	v_and_b32_e32 v6, 48, v0
	v_add_co_u32_e32 v5, vcc, v10, v12
	v_lshlrev_b32_e32 v7, 5, v6
	v_addc_co_u32_e32 v11, vcc, 0, v11, vcc
	v_add_co_u32_e32 v10, vcc, v5, v7
	v_addc_co_u32_e32 v11, vcc, 0, v11, vcc
	s_waitcnt vmcnt(2)
	v_mad_i64_i32 v[4:5], s[8:9], v4, s13, v[8:9]
	v_or_b32_e32 v13, 0x100, v12
	v_add_co_u32_e32 v4, vcc, v4, v13
	v_addc_co_u32_e32 v5, vcc, 0, v5, vcc
	v_add_co_u32_e32 v4, vcc, v4, v7
	v_addc_co_u32_e32 v5, vcc, 0, v5, vcc
	s_barrier
	global_load_dwordx4 v[34:37], v[10:11], off
	global_load_dwordx4 v[38:41], v[4:5], off
	s_waitcnt vmcnt(3)
	v_mad_i64_i32 v[4:5], s[8:9], v3, s13, v[8:9]
	v_add_co_u32_e32 v3, vcc, v4, v12
	v_addc_co_u32_e32 v5, vcc, 0, v5, vcc
	v_add_co_u32_e32 v4, vcc, v3, v7
	v_addc_co_u32_e32 v5, vcc, 0, v5, vcc
	s_waitcnt vmcnt(2)
	v_mad_i64_i32 v[2:3], s[8:9], v2, s13, v[8:9]
	v_add_co_u32_e32 v2, vcc, v2, v13
	v_addc_co_u32_e32 v3, vcc, 0, v3, vcc
	v_add_co_u32_e32 v2, vcc, v2, v7
	v_addc_co_u32_e32 v3, vcc, 0, v3, vcc
	global_load_dwordx4 v[30:33], v[4:5], off
	global_load_dwordx4 v[22:25], v[2:3], off
	v_add_u32_e32 v2, -13, v49
	v_cmp_gt_u32_e32 vcc, 13, v49
	v_cndmask_b32_e32 v2, v2, v49, vcc
	v_lshlrev_b32_e32 v2, 5, v2
	v_lshl_add_u32 v2, v1, 9, v2
	ds_read_b128 v[26:29], v2
	ds_read_b128 v[18:21], v2 offset:16
	v_mov_b32_e32 v43, 0
	v_mov_b32_e32 v51, 0
	s_and_saveexec_b64 s[8:9], vcc
	s_cbranch_execz .LBB586_13
; %bb.12:
	s_load_dwordx2 s[14:15], s[4:5], 0x40
	v_add_u32_e32 v2, s25, v49
	v_ashrrev_i32_e32 v3, 31, v2
	v_lshlrev_b64 v[2:3], 2, v[2:3]
	s_waitcnt lgkmcnt(0)
	v_mov_b32_e32 v4, s15
	v_add_co_u32_e32 v2, vcc, s14, v2
	v_addc_co_u32_e32 v3, vcc, v4, v3, vcc
	global_load_dword v51, v[2:3], off
.LBB586_13:
	s_or_b64 exec, exec, s[8:9]
	s_ashr_i32 s8, s18, 31
	v_or_b32_e32 v8, s18, v6
	s_lshr_b32 s8, s8, 27
	v_add_u32_e32 v2, s8, v8
	v_ashrrev_i32_e32 v2, 5, v2
	v_mov_b32_e32 v9, s21
	v_cmp_gt_i32_e32 vcc, s33, v8
	v_cndmask_b32_e32 v2, v9, v2, vcc
	v_ashrrev_i32_e32 v3, 31, v2
	v_lshlrev_b64 v[2:3], 2, v[2:3]
	v_mov_b32_e32 v4, s20
	v_add_co_u32_e32 v2, vcc, s19, v2
	v_addc_co_u32_e32 v3, vcc, v4, v3, vcc
	v_or_b32_e32 v4, 64, v8
	v_add_u32_e32 v5, s8, v4
	v_ashrrev_i32_e32 v5, 5, v5
	v_cmp_gt_i32_e32 vcc, s33, v4
	v_cndmask_b32_e32 v4, v9, v5, vcc
	v_ashrrev_i32_e32 v5, 31, v4
	v_lshlrev_b64 v[4:5], 2, v[4:5]
	v_mov_b32_e32 v6, s20
	v_add_co_u32_e32 v4, vcc, s19, v4
	v_addc_co_u32_e32 v5, vcc, v6, v5, vcc
	v_or_b32_e32 v6, 0x80, v8
	v_add_u32_e32 v7, s8, v6
	v_ashrrev_i32_e32 v7, 5, v7
	v_cmp_gt_i32_e32 vcc, s33, v6
	v_cndmask_b32_e32 v6, v9, v7, vcc
	v_ashrrev_i32_e32 v7, 31, v6
	v_lshlrev_b64 v[6:7], 2, v[6:7]
	v_mov_b32_e32 v10, s20
	v_add_co_u32_e32 v6, vcc, s19, v6
	v_addc_co_u32_e32 v7, vcc, v10, v7, vcc
	global_load_dword v10, v[2:3], off
	global_load_dword v11, v[4:5], off
	;; [unrolled: 1-line block ×3, first 2 shown]
	v_or_b32_e32 v2, 0xc0, v8
	v_add_u32_e32 v3, s8, v2
	v_ashrrev_i32_e32 v3, 5, v3
	v_cmp_gt_i32_e32 vcc, s33, v2
	v_cndmask_b32_e32 v2, v9, v3, vcc
	v_ashrrev_i32_e32 v3, 31, v2
	v_lshlrev_b64 v[2:3], 2, v[2:3]
	v_mov_b32_e32 v4, s20
	v_add_co_u32_e32 v2, vcc, s19, v2
	v_addc_co_u32_e32 v3, vcc, v4, v3, vcc
	global_load_dword v13, v[2:3], off
	s_add_u32 s2, s2, s10
	v_and_b32_e32 v2, 16, v0
	s_addc_u32 s3, s3, 0
	v_lshlrev_b32_e32 v48, 5, v49
	v_mov_b32_e32 v4, s3
	v_add_co_u32_e32 v2, vcc, s2, v2
	v_lshl_or_b32 v3, v50, 9, v48
	v_addc_co_u32_e32 v4, vcc, 0, v4, vcc
	v_add_co_u32_e32 v2, vcc, v2, v3
	v_addc_co_u32_e32 v3, vcc, 0, v4, vcc
	s_movk_i32 s8, 0x80
	s_waitcnt vmcnt(7)
	v_cmp_ne_u16_sdwa s[10:11], v34, v43 src0_sel:BYTE_0 src1_sel:DWORD
	s_waitcnt vmcnt(3)
	v_mad_i64_i32 v[4:5], s[2:3], v10, s13, v[2:3]
	s_waitcnt vmcnt(2)
	v_mad_i64_i32 v[6:7], s[2:3], v11, s13, v[2:3]
	;; [unrolled: 2-line block ×4, first 2 shown]
	global_load_dwordx4 v[14:17], v[4:5], off
	global_load_dwordx4 v[10:13], v[6:7], off
	s_nop 0
	global_load_dwordx4 v[6:9], v[8:9], off
	s_nop 0
	global_load_dwordx4 v[2:5], v[2:3], off
	s_load_dwordx4 s[40:43], s[4:5], 0x80
	s_load_dwordx2 s[44:45], s[4:5], 0x94
	s_waitcnt lgkmcnt(0)
	s_load_dword s12, s[40:41], 0x0
	s_and_saveexec_b64 s[2:3], s[10:11]
	s_cbranch_execz .LBB586_19
; %bb.14:
	v_cmp_ne_u16_sdwa s[10:11], v34, s8 src0_sel:BYTE_0 src1_sel:DWORD
	v_bfrev_b32_e32 v43, 1
	s_and_saveexec_b64 s[8:9], s[10:11]
	s_cbranch_execz .LBB586_18
; %bb.15:
	s_movk_i32 s10, 0x7f
	v_and_b32_e32 v42, 0x7f, v34
	v_cmp_ne_u32_e32 vcc, s10, v42
	v_mov_b32_e32 v43, 0x7f800001
	s_and_saveexec_b64 s[10:11], vcc
	s_cbranch_execz .LBB586_17
; %bb.16:
	v_and_b32_e32 v43, 7, v34
	v_ffbh_u32_e32 v44, v43
	v_min_u32_e32 v53, 32, v44
	v_subrev_u32_e32 v44, 28, v53
	v_lshlrev_b64 v[44:45], v44, v[34:35]
	v_lshrrev_b32_e32 v52, 3, v42
	v_sub_u32_e32 v45, 29, v53
	v_and_b32_e32 v44, 7, v44
	v_cmp_gt_u32_e32 vcc, 8, v42
	v_cndmask_b32_e32 v42, v52, v45, vcc
	v_cndmask_b32_e32 v43, v43, v44, vcc
	v_lshlrev_b32_e32 v44, 24, v34
	v_bfrev_b32_e32 v45, 60
	v_lshlrev_b32_e32 v43, 20, v43
	v_and_b32_e32 v44, 0x80000000, v44
	v_lshl_add_u32 v42, v42, 23, v45
	v_or3_b32 v43, v44, v42, v43
.LBB586_17:
	s_or_b64 exec, exec, s[10:11]
.LBB586_18:
	s_or_b64 exec, exec, s[8:9]
.LBB586_19:
	s_or_b64 exec, exec, s[2:3]
	v_lshrrev_b16_e32 v42, 8, v34
	v_cmp_ne_u16_e32 vcc, 0, v42
	v_mov_b32_e32 v44, 0
	v_mov_b32_e32 v45, 0
	s_and_saveexec_b64 s[2:3], vcc
	s_cbranch_execz .LBB586_25
; %bb.20:
	s_movk_i32 s8, 0x80
	v_cmp_ne_u16_e32 vcc, s8, v42
	v_bfrev_b32_e32 v45, 1
	s_and_saveexec_b64 s[8:9], vcc
	s_cbranch_execz .LBB586_24
; %bb.21:
	s_movk_i32 s10, 0x7f
	v_and_b32_e32 v52, 0x7f, v42
	v_cmp_ne_u32_e32 vcc, s10, v52
	v_mov_b32_e32 v45, 0x7f800001
	s_and_saveexec_b64 s[10:11], vcc
	s_cbranch_execz .LBB586_23
; %bb.22:
	v_and_b32_e32 v45, 7, v42
	v_ffbh_u32_e32 v54, v45
	v_min_u32_e32 v56, 32, v54
	v_subrev_u32_e32 v54, 28, v56
	v_lshlrev_b64 v[54:55], v54, v[42:43]
	v_lshrrev_b32_e32 v53, 3, v52
	v_sub_u32_e32 v42, 29, v56
	v_and_b32_e32 v54, 7, v54
	v_cmp_gt_u32_e32 vcc, 8, v52
	v_cndmask_b32_e32 v42, v53, v42, vcc
	v_cndmask_b32_e32 v45, v45, v54, vcc
	v_lshlrev_b32_e32 v52, 16, v34
	v_bfrev_b32_e32 v53, 60
	v_lshlrev_b32_e32 v45, 20, v45
	v_and_b32_e32 v52, 0x80000000, v52
	v_lshl_add_u32 v42, v42, 23, v53
	v_or3_b32 v45, v52, v42, v45
.LBB586_23:
	s_or_b64 exec, exec, s[10:11]
.LBB586_24:
	s_or_b64 exec, exec, s[8:9]
.LBB586_25:
	s_or_b64 exec, exec, s[2:3]
	s_movk_i32 s2, 0xff
	v_and_b32_sdwa v52, v34, s2 dst_sel:DWORD dst_unused:UNUSED_PAD src0_sel:WORD_1 src1_sel:DWORD
	v_lshrrev_b32_e32 v42, 16, v34
	v_cmp_ne_u16_e32 vcc, 0, v52
	s_and_saveexec_b64 s[2:3], vcc
	s_cbranch_execz .LBB586_31
; %bb.26:
	s_movk_i32 s8, 0x80
	v_cmp_ne_u16_e32 vcc, s8, v52
	v_bfrev_b32_e32 v44, 1
	s_and_saveexec_b64 s[8:9], vcc
	s_cbranch_execz .LBB586_30
; %bb.27:
	v_bfe_u32 v52, v34, 16, 7
	s_movk_i32 s10, 0x7f
	v_cmp_ne_u32_e32 vcc, s10, v52
	v_mov_b32_e32 v44, 0x7f800001
	s_and_saveexec_b64 s[10:11], vcc
	s_cbranch_execz .LBB586_29
; %bb.28:
	v_and_b32_e32 v44, 7, v42
	v_ffbh_u32_e32 v54, v44
	v_min_u32_e32 v56, 32, v54
	v_subrev_u32_e32 v54, 28, v56
	v_lshlrev_b64 v[54:55], v54, v[42:43]
	v_lshrrev_b32_e32 v53, 3, v52
	v_sub_u32_e32 v42, 29, v56
	v_and_b32_e32 v54, 7, v54
	v_cmp_gt_u32_e32 vcc, 8, v52
	v_mov_b32_e32 v52, 24
	v_cndmask_b32_e32 v42, v53, v42, vcc
	v_cndmask_b32_e32 v44, v44, v54, vcc
	v_lshlrev_b32_sdwa v52, v52, v34 dst_sel:DWORD dst_unused:UNUSED_PAD src0_sel:DWORD src1_sel:WORD_1
	v_bfrev_b32_e32 v53, 60
	v_lshlrev_b32_e32 v44, 20, v44
	v_and_b32_e32 v52, 0x80000000, v52
	v_lshl_add_u32 v42, v42, 23, v53
	v_or3_b32 v44, v52, v42, v44
.LBB586_29:
	s_or_b64 exec, exec, s[10:11]
.LBB586_30:
	s_or_b64 exec, exec, s[8:9]
.LBB586_31:
	s_or_b64 exec, exec, s[2:3]
	s_mov_b32 s2, 0xffffff
	v_cmp_lt_u32_e32 vcc, s2, v34
	v_mov_b32_e32 v53, 0
	v_mov_b32_e32 v54, 0
	s_and_saveexec_b64 s[2:3], vcc
	s_cbranch_execz .LBB586_37
; %bb.32:
	v_lshrrev_b32_e32 v42, 24, v34
	s_movk_i32 s8, 0x80
	v_cmp_ne_u32_e32 vcc, s8, v42
	v_bfrev_b32_e32 v54, 1
	s_and_saveexec_b64 s[8:9], vcc
	s_cbranch_execz .LBB586_36
; %bb.33:
	v_bfe_u32 v34, v34, 24, 7
	s_movk_i32 s10, 0x7f
	v_cmp_ne_u32_e32 vcc, s10, v34
	v_mov_b32_e32 v54, 0x7f800001
	s_and_saveexec_b64 s[10:11], vcc
	s_cbranch_execz .LBB586_35
; %bb.34:
	v_and_b32_e32 v52, 7, v42
	v_ffbh_u32_e32 v54, v52
	v_min_u32_e32 v57, 32, v54
	v_subrev_u32_e32 v54, 28, v57
	v_lshlrev_b64 v[54:55], v54, v[42:43]
	v_lshrrev_b32_e32 v56, 3, v34
	v_sub_u32_e32 v55, 29, v57
	v_and_b32_e32 v54, 7, v54
	v_cmp_gt_u32_e32 vcc, 8, v34
	v_cndmask_b32_e32 v34, v56, v55, vcc
	v_cndmask_b32_e32 v52, v52, v54, vcc
	v_lshlrev_b32_e32 v42, 24, v42
	v_bfrev_b32_e32 v54, 60
	v_lshlrev_b32_e32 v52, 20, v52
	v_and_b32_e32 v42, 0x80000000, v42
	v_lshl_add_u32 v34, v34, 23, v54
	v_or3_b32 v54, v42, v34, v52
.LBB586_35:
	s_or_b64 exec, exec, s[10:11]
.LBB586_36:
	s_or_b64 exec, exec, s[8:9]
.LBB586_37:
	s_or_b64 exec, exec, s[2:3]
	v_cmp_ne_u16_sdwa s[8:9], v35, v53 src0_sel:BYTE_0 src1_sel:DWORD
	s_and_saveexec_b64 s[2:3], s[8:9]
	s_cbranch_execz .LBB586_43
; %bb.38:
	s_movk_i32 s8, 0x80
	v_cmp_ne_u16_sdwa s[10:11], v35, s8 src0_sel:BYTE_0 src1_sel:DWORD
	v_bfrev_b32_e32 v53, 1
	s_and_saveexec_b64 s[8:9], s[10:11]
	s_cbranch_execz .LBB586_42
; %bb.39:
	s_movk_i32 s10, 0x7f
	v_and_b32_e32 v34, 0x7f, v35
	v_cmp_ne_u32_e32 vcc, s10, v34
	v_mov_b32_e32 v53, 0x7f800001
	s_and_saveexec_b64 s[10:11], vcc
	s_cbranch_execz .LBB586_41
; %bb.40:
	v_and_b32_e32 v55, 7, v35
	v_ffbh_u32_e32 v52, v55
	v_min_u32_e32 v57, 32, v52
	v_mov_b32_e32 v42, v35
	v_subrev_u32_e32 v52, 28, v57
	v_lshlrev_b64 v[52:53], v52, v[42:43]
	v_lshrrev_b32_e32 v56, 3, v34
	v_sub_u32_e32 v42, 29, v57
	v_and_b32_e32 v52, 7, v52
	v_cmp_gt_u32_e32 vcc, 8, v34
	v_cndmask_b32_e32 v34, v56, v42, vcc
	v_cndmask_b32_e32 v42, v55, v52, vcc
	v_lshlrev_b32_e32 v52, 24, v35
	v_bfrev_b32_e32 v53, 60
	v_lshlrev_b32_e32 v42, 20, v42
	v_and_b32_e32 v52, 0x80000000, v52
	v_lshl_add_u32 v34, v34, 23, v53
	v_or3_b32 v53, v52, v34, v42
.LBB586_41:
	s_or_b64 exec, exec, s[10:11]
.LBB586_42:
	s_or_b64 exec, exec, s[8:9]
.LBB586_43:
	s_or_b64 exec, exec, s[2:3]
	v_lshrrev_b16_e32 v34, 8, v35
	v_cmp_ne_u16_e32 vcc, 0, v34
	v_mov_b32_e32 v42, 0
	v_mov_b32_e32 v55, 0
	s_and_saveexec_b64 s[2:3], vcc
	s_cbranch_execz .LBB586_49
; %bb.44:
	s_movk_i32 s8, 0x80
	v_cmp_ne_u16_e32 vcc, s8, v34
	v_bfrev_b32_e32 v55, 1
	s_and_saveexec_b64 s[8:9], vcc
	s_cbranch_execz .LBB586_48
; %bb.45:
	s_movk_i32 s10, 0x7f
	v_and_b32_e32 v52, 0x7f, v34
	v_cmp_ne_u32_e32 vcc, s10, v52
	v_mov_b32_e32 v55, 0x7f800001
	s_and_saveexec_b64 s[10:11], vcc
	s_cbranch_execz .LBB586_47
; %bb.46:
	v_and_b32_e32 v55, 7, v34
	v_ffbh_u32_e32 v56, v55
	v_min_u32_e32 v59, 32, v56
	v_subrev_u32_e32 v56, 28, v59
	v_lshlrev_b64 v[56:57], v56, v[34:35]
	v_lshrrev_b32_e32 v58, 3, v52
	v_sub_u32_e32 v34, 29, v59
	v_and_b32_e32 v56, 7, v56
	v_cmp_gt_u32_e32 vcc, 8, v52
	v_cndmask_b32_e32 v34, v58, v34, vcc
	v_cndmask_b32_e32 v52, v55, v56, vcc
	v_lshlrev_b32_e32 v55, 16, v35
	v_bfrev_b32_e32 v56, 60
	v_lshlrev_b32_e32 v52, 20, v52
	v_and_b32_e32 v55, 0x80000000, v55
	v_lshl_add_u32 v34, v34, 23, v56
	v_or3_b32 v55, v55, v34, v52
.LBB586_47:
	s_or_b64 exec, exec, s[10:11]
.LBB586_48:
	s_or_b64 exec, exec, s[8:9]
.LBB586_49:
	s_or_b64 exec, exec, s[2:3]
	s_movk_i32 s2, 0xff
	v_and_b32_sdwa v52, v35, s2 dst_sel:DWORD dst_unused:UNUSED_PAD src0_sel:WORD_1 src1_sel:DWORD
	v_lshrrev_b32_e32 v34, 16, v35
	v_cmp_ne_u16_e32 vcc, 0, v52
	s_and_saveexec_b64 s[2:3], vcc
	s_cbranch_execz .LBB586_55
; %bb.50:
	s_movk_i32 s8, 0x80
	v_cmp_ne_u16_e32 vcc, s8, v52
	v_bfrev_b32_e32 v42, 1
	s_and_saveexec_b64 s[8:9], vcc
	s_cbranch_execz .LBB586_54
; %bb.51:
	v_bfe_u32 v52, v35, 16, 7
	s_movk_i32 s10, 0x7f
	v_cmp_ne_u32_e32 vcc, s10, v52
	v_mov_b32_e32 v42, 0x7f800001
	s_and_saveexec_b64 s[10:11], vcc
	s_cbranch_execz .LBB586_53
; %bb.52:
	v_and_b32_e32 v42, 7, v34
	v_ffbh_u32_e32 v56, v42
	v_min_u32_e32 v59, 32, v56
	v_subrev_u32_e32 v56, 28, v59
	v_lshlrev_b64 v[56:57], v56, v[34:35]
	v_lshrrev_b32_e32 v58, 3, v52
	v_sub_u32_e32 v34, 29, v59
	v_and_b32_e32 v56, 7, v56
	v_cmp_gt_u32_e32 vcc, 8, v52
	v_mov_b32_e32 v52, 24
	v_cndmask_b32_e32 v34, v58, v34, vcc
	v_cndmask_b32_e32 v42, v42, v56, vcc
	v_lshlrev_b32_sdwa v52, v52, v35 dst_sel:DWORD dst_unused:UNUSED_PAD src0_sel:DWORD src1_sel:WORD_1
	v_bfrev_b32_e32 v56, 60
	v_lshlrev_b32_e32 v42, 20, v42
	v_and_b32_e32 v52, 0x80000000, v52
	v_lshl_add_u32 v34, v34, 23, v56
	v_or3_b32 v42, v52, v34, v42
.LBB586_53:
	s_or_b64 exec, exec, s[10:11]
.LBB586_54:
	s_or_b64 exec, exec, s[8:9]
.LBB586_55:
	s_or_b64 exec, exec, s[2:3]
	s_mov_b32 s2, 0xffffff
	v_cmp_lt_u32_e32 vcc, s2, v35
	v_mov_b32_e32 v52, 0
	v_mov_b32_e32 v56, 0
	s_and_saveexec_b64 s[2:3], vcc
	s_cbranch_execz .LBB586_61
; %bb.56:
	v_lshrrev_b32_e32 v34, 24, v35
	s_movk_i32 s8, 0x80
	v_cmp_ne_u32_e32 vcc, s8, v34
	v_bfrev_b32_e32 v56, 1
	s_and_saveexec_b64 s[8:9], vcc
	s_cbranch_execz .LBB586_60
; %bb.57:
	v_bfe_u32 v35, v35, 24, 7
	s_movk_i32 s10, 0x7f
	v_cmp_ne_u32_e32 vcc, s10, v35
	v_mov_b32_e32 v56, 0x7f800001
	s_and_saveexec_b64 s[10:11], vcc
	s_cbranch_execz .LBB586_59
; %bb.58:
	v_and_b32_e32 v58, 7, v34
	v_ffbh_u32_e32 v56, v58
	v_min_u32_e32 v60, 32, v56
	v_subrev_u32_e32 v56, 28, v60
	v_lshlrev_b64 v[56:57], v56, v[34:35]
	v_lshrrev_b32_e32 v59, 3, v35
	v_sub_u32_e32 v57, 29, v60
	v_and_b32_e32 v56, 7, v56
	v_cmp_gt_u32_e32 vcc, 8, v35
	v_cndmask_b32_e32 v35, v59, v57, vcc
	v_cndmask_b32_e32 v56, v58, v56, vcc
	v_lshlrev_b32_e32 v34, 24, v34
	v_bfrev_b32_e32 v57, 60
	v_lshlrev_b32_e32 v56, 20, v56
	v_and_b32_e32 v34, 0x80000000, v34
	v_lshl_add_u32 v35, v35, 23, v57
	v_or3_b32 v56, v34, v35, v56
.LBB586_59:
	s_or_b64 exec, exec, s[10:11]
.LBB586_60:
	s_or_b64 exec, exec, s[8:9]
.LBB586_61:
	s_or_b64 exec, exec, s[2:3]
	v_cvt_pkrtz_f16_f32 v34, v43, v45
	v_cvt_pkrtz_f16_f32 v35, v44, v54
	v_cmp_ne_u16_sdwa s[8:9], v36, v52 src0_sel:BYTE_0 src1_sel:DWORD
	s_nop 0
	v_mfma_f32_16x16x16f16 v[58:61], v[34:35], v[26:27], 0
	v_cvt_pkrtz_f16_f32 v34, v53, v55
	v_cvt_pkrtz_f16_f32 v35, v42, v56
	s_nop 1
	v_mfma_f32_16x16x16f16 v[42:45], v[34:35], v[28:29], v[58:61]
	s_and_saveexec_b64 s[2:3], s[8:9]
	s_cbranch_execz .LBB586_67
; %bb.62:
	s_movk_i32 s8, 0x80
	v_cmp_ne_u16_sdwa s[10:11], v36, s8 src0_sel:BYTE_0 src1_sel:DWORD
	v_bfrev_b32_e32 v52, 1
	s_and_saveexec_b64 s[8:9], s[10:11]
	s_cbranch_execz .LBB586_66
; %bb.63:
	s_movk_i32 s10, 0x7f
	v_and_b32_e32 v34, 0x7f, v36
	v_cmp_ne_u32_e32 vcc, s10, v34
	v_mov_b32_e32 v52, 0x7f800001
	s_and_saveexec_b64 s[10:11], vcc
	s_cbranch_execz .LBB586_65
; %bb.64:
	v_and_b32_e32 v35, 7, v36
	v_ffbh_u32_e32 v52, v35
	v_min_u32_e32 v55, 32, v52
	v_subrev_u32_e32 v52, 28, v55
	v_lshlrev_b64 v[52:53], v52, v[36:37]
	v_lshrrev_b32_e32 v54, 3, v34
	v_sub_u32_e32 v53, 29, v55
	v_and_b32_e32 v52, 7, v52
	v_cmp_gt_u32_e32 vcc, 8, v34
	v_cndmask_b32_e32 v34, v54, v53, vcc
	v_cndmask_b32_e32 v35, v35, v52, vcc
	v_lshlrev_b32_e32 v52, 24, v36
	v_bfrev_b32_e32 v53, 60
	v_lshlrev_b32_e32 v35, 20, v35
	v_and_b32_e32 v52, 0x80000000, v52
	v_lshl_add_u32 v34, v34, 23, v53
	v_or3_b32 v52, v52, v34, v35
.LBB586_65:
	s_or_b64 exec, exec, s[10:11]
.LBB586_66:
	s_or_b64 exec, exec, s[8:9]
.LBB586_67:
	s_or_b64 exec, exec, s[2:3]
	v_lshrrev_b16_e32 v34, 8, v36
	v_cmp_ne_u16_e32 vcc, 0, v34
	v_mov_b32_e32 v35, 0
	v_mov_b32_e32 v54, 0
	s_and_saveexec_b64 s[2:3], vcc
	s_cbranch_execz .LBB586_73
; %bb.68:
	s_movk_i32 s8, 0x80
	v_cmp_ne_u16_e32 vcc, s8, v34
	v_bfrev_b32_e32 v54, 1
	s_and_saveexec_b64 s[8:9], vcc
	s_cbranch_execz .LBB586_72
; %bb.69:
	s_movk_i32 s10, 0x7f
	v_and_b32_e32 v53, 0x7f, v34
	v_cmp_ne_u32_e32 vcc, s10, v53
	v_mov_b32_e32 v54, 0x7f800001
	s_and_saveexec_b64 s[10:11], vcc
	s_cbranch_execz .LBB586_71
; %bb.70:
	v_and_b32_e32 v56, 7, v34
	v_ffbh_u32_e32 v54, v56
	v_min_u32_e32 v58, 32, v54
	v_subrev_u32_e32 v54, 28, v58
	v_lshlrev_b64 v[54:55], v54, v[34:35]
	v_lshrrev_b32_e32 v57, 3, v53
	v_sub_u32_e32 v34, 29, v58
	v_and_b32_e32 v54, 7, v54
	v_cmp_gt_u32_e32 vcc, 8, v53
	v_cndmask_b32_e32 v34, v57, v34, vcc
	v_cndmask_b32_e32 v53, v56, v54, vcc
	v_lshlrev_b32_e32 v54, 16, v36
	v_bfrev_b32_e32 v55, 60
	v_lshlrev_b32_e32 v53, 20, v53
	v_and_b32_e32 v54, 0x80000000, v54
	v_lshl_add_u32 v34, v34, 23, v55
	v_or3_b32 v54, v54, v34, v53
.LBB586_71:
	s_or_b64 exec, exec, s[10:11]
.LBB586_72:
	s_or_b64 exec, exec, s[8:9]
.LBB586_73:
	s_or_b64 exec, exec, s[2:3]
	s_movk_i32 s2, 0xff
	v_and_b32_sdwa v53, v36, s2 dst_sel:DWORD dst_unused:UNUSED_PAD src0_sel:WORD_1 src1_sel:DWORD
	v_lshrrev_b32_e32 v34, 16, v36
	v_cmp_ne_u16_e32 vcc, 0, v53
	s_and_saveexec_b64 s[2:3], vcc
	s_cbranch_execz .LBB586_79
; %bb.74:
	s_movk_i32 s8, 0x80
	v_cmp_ne_u16_e32 vcc, s8, v53
	v_bfrev_b32_e32 v35, 1
	s_and_saveexec_b64 s[8:9], vcc
	s_cbranch_execz .LBB586_78
; %bb.75:
	v_bfe_u32 v53, v36, 16, 7
	s_movk_i32 s10, 0x7f
	v_cmp_ne_u32_e32 vcc, s10, v53
	v_mov_b32_e32 v35, 0x7f800001
	s_and_saveexec_b64 s[10:11], vcc
	s_cbranch_execz .LBB586_77
; %bb.76:
	v_and_b32_e32 v55, 7, v34
	v_ffbh_u32_e32 v35, v55
	v_min_u32_e32 v57, 32, v35
	v_subrev_u32_e32 v35, 28, v57
	v_lshlrev_b64 v[34:35], v35, v[34:35]
	v_lshrrev_b32_e32 v56, 3, v53
	v_sub_u32_e32 v35, 29, v57
	v_and_b32_e32 v34, 7, v34
	v_cmp_gt_u32_e32 vcc, 8, v53
	v_mov_b32_e32 v53, 24
	v_cndmask_b32_e32 v35, v56, v35, vcc
	v_cndmask_b32_e32 v34, v55, v34, vcc
	v_lshlrev_b32_sdwa v53, v53, v36 dst_sel:DWORD dst_unused:UNUSED_PAD src0_sel:DWORD src1_sel:WORD_1
	v_bfrev_b32_e32 v55, 60
	v_lshlrev_b32_e32 v34, 20, v34
	v_and_b32_e32 v53, 0x80000000, v53
	v_lshl_add_u32 v35, v35, 23, v55
	v_or3_b32 v35, v53, v35, v34
.LBB586_77:
	s_or_b64 exec, exec, s[10:11]
.LBB586_78:
	s_or_b64 exec, exec, s[8:9]
.LBB586_79:
	s_or_b64 exec, exec, s[2:3]
	s_mov_b32 s2, 0xffffff
	v_cmp_lt_u32_e32 vcc, s2, v36
	v_mov_b32_e32 v55, 0
	v_mov_b32_e32 v56, 0
	s_and_saveexec_b64 s[2:3], vcc
	s_cbranch_execz .LBB586_85
; %bb.80:
	v_lshrrev_b32_e32 v34, 24, v36
	s_movk_i32 s8, 0x80
	v_cmp_ne_u32_e32 vcc, s8, v34
	v_bfrev_b32_e32 v56, 1
	s_and_saveexec_b64 s[8:9], vcc
	s_cbranch_execz .LBB586_84
; %bb.81:
	v_bfe_u32 v36, v36, 24, 7
	s_movk_i32 s10, 0x7f
	v_cmp_ne_u32_e32 vcc, s10, v36
	v_mov_b32_e32 v56, 0x7f800001
	s_and_saveexec_b64 s[10:11], vcc
	s_cbranch_execz .LBB586_83
; %bb.82:
	v_and_b32_e32 v53, 7, v34
	v_ffbh_u32_e32 v56, v53
	v_min_u32_e32 v59, 32, v56
	v_subrev_u32_e32 v56, 28, v59
	v_lshlrev_b64 v[56:57], v56, v[34:35]
	v_lshrrev_b32_e32 v58, 3, v36
	v_sub_u32_e32 v57, 29, v59
	v_and_b32_e32 v56, 7, v56
	v_cmp_gt_u32_e32 vcc, 8, v36
	v_cndmask_b32_e32 v36, v58, v57, vcc
	v_cndmask_b32_e32 v53, v53, v56, vcc
	v_lshlrev_b32_e32 v34, 24, v34
	v_bfrev_b32_e32 v56, 60
	v_lshlrev_b32_e32 v53, 20, v53
	v_and_b32_e32 v34, 0x80000000, v34
	v_lshl_add_u32 v36, v36, 23, v56
	v_or3_b32 v56, v34, v36, v53
.LBB586_83:
	s_or_b64 exec, exec, s[10:11]
.LBB586_84:
	s_or_b64 exec, exec, s[8:9]
.LBB586_85:
	s_or_b64 exec, exec, s[2:3]
	v_cmp_ne_u16_sdwa s[8:9], v37, v55 src0_sel:BYTE_0 src1_sel:DWORD
	s_and_saveexec_b64 s[2:3], s[8:9]
	s_cbranch_execz .LBB586_91
; %bb.86:
	s_movk_i32 s8, 0x80
	v_cmp_ne_u16_sdwa s[10:11], v37, s8 src0_sel:BYTE_0 src1_sel:DWORD
	v_bfrev_b32_e32 v55, 1
	s_and_saveexec_b64 s[8:9], s[10:11]
	s_cbranch_execz .LBB586_90
; %bb.87:
	s_movk_i32 s10, 0x7f
	v_and_b32_e32 v34, 0x7f, v37
	v_cmp_ne_u32_e32 vcc, s10, v34
	v_mov_b32_e32 v55, 0x7f800001
	s_and_saveexec_b64 s[10:11], vcc
	s_cbranch_execz .LBB586_89
; %bb.88:
	v_and_b32_e32 v53, 7, v37
	v_ffbh_u32_e32 v57, v53
	v_min_u32_e32 v57, 32, v57
	v_mov_b32_e32 v36, v37
	v_subrev_u32_e32 v58, 28, v57
	v_lshlrev_b64 v[58:59], v58, v[36:37]
	v_lshrrev_b32_e32 v55, 3, v34
	v_sub_u32_e32 v36, 29, v57
	v_and_b32_e32 v57, 7, v58
	v_cmp_gt_u32_e32 vcc, 8, v34
	v_cndmask_b32_e32 v34, v55, v36, vcc
	v_cndmask_b32_e32 v36, v53, v57, vcc
	v_lshlrev_b32_e32 v53, 24, v37
	v_bfrev_b32_e32 v55, 60
	v_lshlrev_b32_e32 v36, 20, v36
	v_and_b32_e32 v53, 0x80000000, v53
	v_lshl_add_u32 v34, v34, 23, v55
	v_or3_b32 v55, v53, v34, v36
.LBB586_89:
	s_or_b64 exec, exec, s[10:11]
.LBB586_90:
	s_or_b64 exec, exec, s[8:9]
.LBB586_91:
	s_or_b64 exec, exec, s[2:3]
	v_lshrrev_b16_e32 v34, 8, v37
	v_cmp_ne_u16_e32 vcc, 0, v34
	v_mov_b32_e32 v36, 0
	v_mov_b32_e32 v57, 0
	s_and_saveexec_b64 s[2:3], vcc
	s_cbranch_execz .LBB586_97
; %bb.92:
	s_movk_i32 s8, 0x80
	v_cmp_ne_u16_e32 vcc, s8, v34
	v_bfrev_b32_e32 v57, 1
	s_and_saveexec_b64 s[8:9], vcc
	s_cbranch_execz .LBB586_96
; %bb.93:
	s_movk_i32 s10, 0x7f
	v_and_b32_e32 v53, 0x7f, v34
	v_cmp_ne_u32_e32 vcc, s10, v53
	v_mov_b32_e32 v57, 0x7f800001
	s_and_saveexec_b64 s[10:11], vcc
	s_cbranch_execz .LBB586_95
; %bb.94:
	v_and_b32_e32 v57, 7, v34
	v_ffbh_u32_e32 v58, v57
	v_min_u32_e32 v61, 32, v58
	v_subrev_u32_e32 v58, 28, v61
	v_lshlrev_b64 v[58:59], v58, v[34:35]
	v_lshrrev_b32_e32 v60, 3, v53
	v_sub_u32_e32 v34, 29, v61
	v_and_b32_e32 v58, 7, v58
	v_cmp_gt_u32_e32 vcc, 8, v53
	v_cndmask_b32_e32 v34, v60, v34, vcc
	v_cndmask_b32_e32 v53, v57, v58, vcc
	v_lshlrev_b32_e32 v57, 16, v37
	v_bfrev_b32_e32 v58, 60
	v_lshlrev_b32_e32 v53, 20, v53
	v_and_b32_e32 v57, 0x80000000, v57
	v_lshl_add_u32 v34, v34, 23, v58
	v_or3_b32 v57, v57, v34, v53
.LBB586_95:
	s_or_b64 exec, exec, s[10:11]
.LBB586_96:
	s_or_b64 exec, exec, s[8:9]
.LBB586_97:
	s_or_b64 exec, exec, s[2:3]
	s_movk_i32 s2, 0xff
	v_and_b32_sdwa v53, v37, s2 dst_sel:DWORD dst_unused:UNUSED_PAD src0_sel:WORD_1 src1_sel:DWORD
	v_lshrrev_b32_e32 v34, 16, v37
	v_cmp_ne_u16_e32 vcc, 0, v53
	s_and_saveexec_b64 s[2:3], vcc
	s_cbranch_execz .LBB586_103
; %bb.98:
	s_movk_i32 s8, 0x80
	v_cmp_ne_u16_e32 vcc, s8, v53
	v_bfrev_b32_e32 v36, 1
	s_and_saveexec_b64 s[8:9], vcc
	s_cbranch_execz .LBB586_102
; %bb.99:
	v_bfe_u32 v53, v37, 16, 7
	s_movk_i32 s10, 0x7f
	v_cmp_ne_u32_e32 vcc, s10, v53
	v_mov_b32_e32 v36, 0x7f800001
	s_and_saveexec_b64 s[10:11], vcc
	s_cbranch_execz .LBB586_101
; %bb.100:
	v_and_b32_e32 v36, 7, v34
	v_ffbh_u32_e32 v58, v36
	v_min_u32_e32 v61, 32, v58
	v_subrev_u32_e32 v58, 28, v61
	v_lshlrev_b64 v[58:59], v58, v[34:35]
	v_lshrrev_b32_e32 v60, 3, v53
	v_sub_u32_e32 v34, 29, v61
	v_and_b32_e32 v58, 7, v58
	v_cmp_gt_u32_e32 vcc, 8, v53
	v_mov_b32_e32 v53, 24
	v_cndmask_b32_e32 v34, v60, v34, vcc
	v_cndmask_b32_e32 v36, v36, v58, vcc
	v_lshlrev_b32_sdwa v53, v53, v37 dst_sel:DWORD dst_unused:UNUSED_PAD src0_sel:DWORD src1_sel:WORD_1
	v_bfrev_b32_e32 v58, 60
	v_lshlrev_b32_e32 v36, 20, v36
	v_and_b32_e32 v53, 0x80000000, v53
	v_lshl_add_u32 v34, v34, 23, v58
	v_or3_b32 v36, v53, v34, v36
.LBB586_101:
	s_or_b64 exec, exec, s[10:11]
.LBB586_102:
	s_or_b64 exec, exec, s[8:9]
.LBB586_103:
	s_or_b64 exec, exec, s[2:3]
	s_mov_b32 s2, 0xffffff
	v_cmp_lt_u32_e32 vcc, s2, v37
	v_mov_b32_e32 v53, 0
	v_mov_b32_e32 v58, 0
	s_and_saveexec_b64 s[2:3], vcc
	s_cbranch_execz .LBB586_109
; %bb.104:
	v_lshrrev_b32_e32 v34, 24, v37
	s_movk_i32 s8, 0x80
	v_cmp_ne_u32_e32 vcc, s8, v34
	v_bfrev_b32_e32 v58, 1
	s_and_saveexec_b64 s[8:9], vcc
	s_cbranch_execz .LBB586_108
; %bb.105:
	v_bfe_u32 v37, v37, 24, 7
	s_movk_i32 s10, 0x7f
	v_cmp_ne_u32_e32 vcc, s10, v37
	v_mov_b32_e32 v58, 0x7f800001
	s_and_saveexec_b64 s[10:11], vcc
	s_cbranch_execz .LBB586_107
; %bb.106:
	v_and_b32_e32 v60, 7, v34
	v_ffbh_u32_e32 v58, v60
	v_min_u32_e32 v62, 32, v58
	v_subrev_u32_e32 v58, 28, v62
	v_lshlrev_b64 v[58:59], v58, v[34:35]
	v_lshrrev_b32_e32 v61, 3, v37
	v_sub_u32_e32 v59, 29, v62
	v_and_b32_e32 v58, 7, v58
	v_cmp_gt_u32_e32 vcc, 8, v37
	v_cndmask_b32_e32 v37, v61, v59, vcc
	v_cndmask_b32_e32 v58, v60, v58, vcc
	v_lshlrev_b32_e32 v34, 24, v34
	v_bfrev_b32_e32 v59, 60
	v_lshlrev_b32_e32 v58, 20, v58
	v_and_b32_e32 v34, 0x80000000, v34
	v_lshl_add_u32 v37, v37, 23, v59
	v_or3_b32 v58, v34, v37, v58
.LBB586_107:
	s_or_b64 exec, exec, s[10:11]
.LBB586_108:
	s_or_b64 exec, exec, s[8:9]
.LBB586_109:
	s_or_b64 exec, exec, s[2:3]
	v_cvt_pkrtz_f16_f32 v34, v52, v54
	v_cvt_pkrtz_f16_f32 v35, v35, v56
	v_cmp_ne_u16_sdwa s[8:9], v38, v53 src0_sel:BYTE_0 src1_sel:DWORD
	s_nop 0
	v_mfma_f32_16x16x16f16 v[42:45], v[34:35], v[18:19], v[42:45]
	v_cvt_pkrtz_f16_f32 v34, v55, v57
	v_cvt_pkrtz_f16_f32 v35, v36, v58
	s_nop 1
	v_mfma_f32_16x16x16f16 v[34:37], v[34:35], v[20:21], v[42:45]
	s_and_saveexec_b64 s[2:3], s[8:9]
	s_cbranch_execz .LBB586_115
; %bb.110:
	s_movk_i32 s8, 0x80
	v_cmp_ne_u16_sdwa s[10:11], v38, s8 src0_sel:BYTE_0 src1_sel:DWORD
	v_bfrev_b32_e32 v53, 1
	s_and_saveexec_b64 s[8:9], s[10:11]
	s_cbranch_execz .LBB586_114
; %bb.111:
	s_movk_i32 s10, 0x7f
	v_and_b32_e32 v42, 0x7f, v38
	v_cmp_ne_u32_e32 vcc, s10, v42
	v_mov_b32_e32 v53, 0x7f800001
	s_and_saveexec_b64 s[10:11], vcc
	s_cbranch_execz .LBB586_113
; %bb.112:
	v_and_b32_e32 v43, 7, v38
	v_ffbh_u32_e32 v44, v43
	v_min_u32_e32 v53, 32, v44
	v_subrev_u32_e32 v44, 28, v53
	v_lshlrev_b64 v[44:45], v44, v[38:39]
	v_lshrrev_b32_e32 v52, 3, v42
	v_sub_u32_e32 v45, 29, v53
	v_and_b32_e32 v44, 7, v44
	v_cmp_gt_u32_e32 vcc, 8, v42
	v_cndmask_b32_e32 v42, v52, v45, vcc
	v_cndmask_b32_e32 v43, v43, v44, vcc
	v_lshlrev_b32_e32 v44, 24, v38
	v_bfrev_b32_e32 v45, 60
	v_lshlrev_b32_e32 v43, 20, v43
	v_and_b32_e32 v44, 0x80000000, v44
	v_lshl_add_u32 v42, v42, 23, v45
	v_or3_b32 v53, v44, v42, v43
.LBB586_113:
	s_or_b64 exec, exec, s[10:11]
.LBB586_114:
	s_or_b64 exec, exec, s[8:9]
.LBB586_115:
	s_or_b64 exec, exec, s[2:3]
	s_nop 3
	v_lshrrev_b16_e32 v42, 8, v38
	v_cmp_ne_u16_e32 vcc, 0, v42
	v_mov_b32_e32 v43, 0
	v_mov_b32_e32 v44, 0
	s_and_saveexec_b64 s[2:3], vcc
	s_cbranch_execz .LBB586_121
; %bb.116:
	s_movk_i32 s8, 0x80
	v_cmp_ne_u16_e32 vcc, s8, v42
	v_bfrev_b32_e32 v44, 1
	s_and_saveexec_b64 s[8:9], vcc
	s_cbranch_execz .LBB586_120
; %bb.117:
	s_movk_i32 s10, 0x7f
	v_and_b32_e32 v45, 0x7f, v42
	v_cmp_ne_u32_e32 vcc, s10, v45
	v_mov_b32_e32 v44, 0x7f800001
	s_and_saveexec_b64 s[10:11], vcc
	s_cbranch_execz .LBB586_119
; %bb.118:
	v_and_b32_e32 v44, 7, v42
	v_ffbh_u32_e32 v54, v44
	v_min_u32_e32 v56, 32, v54
	v_subrev_u32_e32 v54, 28, v56
	v_lshlrev_b64 v[54:55], v54, v[42:43]
	v_lshrrev_b32_e32 v52, 3, v45
	v_sub_u32_e32 v42, 29, v56
	v_and_b32_e32 v54, 7, v54
	v_cmp_gt_u32_e32 vcc, 8, v45
	v_cndmask_b32_e32 v42, v52, v42, vcc
	v_cndmask_b32_e32 v44, v44, v54, vcc
	v_lshlrev_b32_e32 v45, 16, v38
	v_bfrev_b32_e32 v52, 60
	v_lshlrev_b32_e32 v44, 20, v44
	v_and_b32_e32 v45, 0x80000000, v45
	v_lshl_add_u32 v42, v42, 23, v52
	v_or3_b32 v44, v45, v42, v44
.LBB586_119:
	s_or_b64 exec, exec, s[10:11]
.LBB586_120:
	s_or_b64 exec, exec, s[8:9]
.LBB586_121:
	s_or_b64 exec, exec, s[2:3]
	s_movk_i32 s2, 0xff
	v_and_b32_sdwa v45, v38, s2 dst_sel:DWORD dst_unused:UNUSED_PAD src0_sel:WORD_1 src1_sel:DWORD
	v_lshrrev_b32_e32 v42, 16, v38
	v_cmp_ne_u16_e32 vcc, 0, v45
	s_and_saveexec_b64 s[2:3], vcc
	s_cbranch_execz .LBB586_127
; %bb.122:
	s_movk_i32 s8, 0x80
	v_cmp_ne_u16_e32 vcc, s8, v45
	v_bfrev_b32_e32 v43, 1
	s_and_saveexec_b64 s[8:9], vcc
	s_cbranch_execz .LBB586_126
; %bb.123:
	v_bfe_u32 v45, v38, 16, 7
	s_movk_i32 s10, 0x7f
	v_cmp_ne_u32_e32 vcc, s10, v45
	v_mov_b32_e32 v43, 0x7f800001
	s_and_saveexec_b64 s[10:11], vcc
	s_cbranch_execz .LBB586_125
; %bb.124:
	v_and_b32_e32 v52, 7, v42
	v_ffbh_u32_e32 v43, v52
	v_min_u32_e32 v55, 32, v43
	v_subrev_u32_e32 v43, 28, v55
	v_lshlrev_b64 v[42:43], v43, v[42:43]
	v_lshrrev_b32_e32 v54, 3, v45
	v_sub_u32_e32 v43, 29, v55
	v_and_b32_e32 v42, 7, v42
	v_cmp_gt_u32_e32 vcc, 8, v45
	v_mov_b32_e32 v45, 24
	v_cndmask_b32_e32 v43, v54, v43, vcc
	v_cndmask_b32_e32 v42, v52, v42, vcc
	v_lshlrev_b32_sdwa v45, v45, v38 dst_sel:DWORD dst_unused:UNUSED_PAD src0_sel:DWORD src1_sel:WORD_1
	v_bfrev_b32_e32 v52, 60
	v_lshlrev_b32_e32 v42, 20, v42
	v_and_b32_e32 v45, 0x80000000, v45
	v_lshl_add_u32 v43, v43, 23, v52
	v_or3_b32 v43, v45, v43, v42
.LBB586_125:
	s_or_b64 exec, exec, s[10:11]
.LBB586_126:
	s_or_b64 exec, exec, s[8:9]
.LBB586_127:
	s_or_b64 exec, exec, s[2:3]
	s_mov_b32 s2, 0xffffff
	v_cmp_lt_u32_e32 vcc, s2, v38
	v_mov_b32_e32 v45, 0
	v_mov_b32_e32 v54, 0
	s_and_saveexec_b64 s[2:3], vcc
	s_cbranch_execz .LBB586_133
; %bb.128:
	v_lshrrev_b32_e32 v42, 24, v38
	s_movk_i32 s8, 0x80
	v_cmp_ne_u32_e32 vcc, s8, v42
	v_bfrev_b32_e32 v54, 1
	s_and_saveexec_b64 s[8:9], vcc
	s_cbranch_execz .LBB586_132
; %bb.129:
	v_bfe_u32 v38, v38, 24, 7
	s_movk_i32 s10, 0x7f
	v_cmp_ne_u32_e32 vcc, s10, v38
	v_mov_b32_e32 v54, 0x7f800001
	s_and_saveexec_b64 s[10:11], vcc
	s_cbranch_execz .LBB586_131
; %bb.130:
	v_and_b32_e32 v52, 7, v42
	v_ffbh_u32_e32 v54, v52
	v_min_u32_e32 v57, 32, v54
	v_subrev_u32_e32 v54, 28, v57
	v_lshlrev_b64 v[54:55], v54, v[42:43]
	v_lshrrev_b32_e32 v56, 3, v38
	v_sub_u32_e32 v55, 29, v57
	v_and_b32_e32 v54, 7, v54
	v_cmp_gt_u32_e32 vcc, 8, v38
	v_cndmask_b32_e32 v38, v56, v55, vcc
	v_cndmask_b32_e32 v52, v52, v54, vcc
	v_lshlrev_b32_e32 v42, 24, v42
	v_bfrev_b32_e32 v54, 60
	v_lshlrev_b32_e32 v52, 20, v52
	v_and_b32_e32 v42, 0x80000000, v42
	v_lshl_add_u32 v38, v38, 23, v54
	v_or3_b32 v54, v42, v38, v52
.LBB586_131:
	s_or_b64 exec, exec, s[10:11]
.LBB586_132:
	s_or_b64 exec, exec, s[8:9]
.LBB586_133:
	s_or_b64 exec, exec, s[2:3]
	v_cmp_ne_u16_sdwa s[8:9], v39, v45 src0_sel:BYTE_0 src1_sel:DWORD
	s_and_saveexec_b64 s[2:3], s[8:9]
	s_cbranch_execz .LBB586_139
; %bb.134:
	s_movk_i32 s8, 0x80
	v_cmp_ne_u16_sdwa s[10:11], v39, s8 src0_sel:BYTE_0 src1_sel:DWORD
	v_bfrev_b32_e32 v45, 1
	s_and_saveexec_b64 s[8:9], s[10:11]
	s_cbranch_execz .LBB586_138
; %bb.135:
	s_movk_i32 s10, 0x7f
	v_and_b32_e32 v38, 0x7f, v39
	v_cmp_ne_u32_e32 vcc, s10, v38
	v_mov_b32_e32 v45, 0x7f800001
	s_and_saveexec_b64 s[10:11], vcc
	s_cbranch_execz .LBB586_137
; %bb.136:
	v_and_b32_e32 v45, 7, v39
	v_ffbh_u32_e32 v55, v45
	v_min_u32_e32 v55, 32, v55
	v_mov_b32_e32 v42, v39
	v_subrev_u32_e32 v56, 28, v55
	v_lshlrev_b64 v[56:57], v56, v[42:43]
	v_lshrrev_b32_e32 v52, 3, v38
	v_sub_u32_e32 v42, 29, v55
	v_and_b32_e32 v55, 7, v56
	v_cmp_gt_u32_e32 vcc, 8, v38
	v_cndmask_b32_e32 v38, v52, v42, vcc
	v_cndmask_b32_e32 v42, v45, v55, vcc
	v_lshlrev_b32_e32 v45, 24, v39
	v_bfrev_b32_e32 v52, 60
	v_lshlrev_b32_e32 v42, 20, v42
	v_and_b32_e32 v45, 0x80000000, v45
	v_lshl_add_u32 v38, v38, 23, v52
	v_or3_b32 v45, v45, v38, v42
.LBB586_137:
	s_or_b64 exec, exec, s[10:11]
.LBB586_138:
	s_or_b64 exec, exec, s[8:9]
.LBB586_139:
	s_or_b64 exec, exec, s[2:3]
	v_lshrrev_b16_e32 v38, 8, v39
	v_cmp_ne_u16_e32 vcc, 0, v38
	v_mov_b32_e32 v42, 0
	v_mov_b32_e32 v55, 0
	s_and_saveexec_b64 s[2:3], vcc
	s_cbranch_execz .LBB586_145
; %bb.140:
	s_movk_i32 s8, 0x80
	v_cmp_ne_u16_e32 vcc, s8, v38
	v_bfrev_b32_e32 v55, 1
	s_and_saveexec_b64 s[8:9], vcc
	s_cbranch_execz .LBB586_144
; %bb.141:
	s_movk_i32 s10, 0x7f
	v_and_b32_e32 v52, 0x7f, v38
	v_cmp_ne_u32_e32 vcc, s10, v52
	v_mov_b32_e32 v55, 0x7f800001
	s_and_saveexec_b64 s[10:11], vcc
	s_cbranch_execz .LBB586_143
; %bb.142:
	v_and_b32_e32 v55, 7, v38
	v_ffbh_u32_e32 v56, v55
	v_min_u32_e32 v59, 32, v56
	v_subrev_u32_e32 v56, 28, v59
	v_lshlrev_b64 v[56:57], v56, v[38:39]
	v_lshrrev_b32_e32 v58, 3, v52
	v_sub_u32_e32 v38, 29, v59
	v_and_b32_e32 v56, 7, v56
	v_cmp_gt_u32_e32 vcc, 8, v52
	v_cndmask_b32_e32 v38, v58, v38, vcc
	v_cndmask_b32_e32 v52, v55, v56, vcc
	v_lshlrev_b32_e32 v55, 16, v39
	v_bfrev_b32_e32 v56, 60
	v_lshlrev_b32_e32 v52, 20, v52
	v_and_b32_e32 v55, 0x80000000, v55
	v_lshl_add_u32 v38, v38, 23, v56
	v_or3_b32 v55, v55, v38, v52
.LBB586_143:
	s_or_b64 exec, exec, s[10:11]
.LBB586_144:
	s_or_b64 exec, exec, s[8:9]
.LBB586_145:
	s_or_b64 exec, exec, s[2:3]
	s_movk_i32 s2, 0xff
	v_and_b32_sdwa v52, v39, s2 dst_sel:DWORD dst_unused:UNUSED_PAD src0_sel:WORD_1 src1_sel:DWORD
	v_lshrrev_b32_e32 v38, 16, v39
	v_cmp_ne_u16_e32 vcc, 0, v52
	s_and_saveexec_b64 s[2:3], vcc
	s_cbranch_execz .LBB586_151
; %bb.146:
	s_movk_i32 s8, 0x80
	v_cmp_ne_u16_e32 vcc, s8, v52
	v_bfrev_b32_e32 v42, 1
	s_and_saveexec_b64 s[8:9], vcc
	s_cbranch_execz .LBB586_150
; %bb.147:
	v_bfe_u32 v52, v39, 16, 7
	s_movk_i32 s10, 0x7f
	v_cmp_ne_u32_e32 vcc, s10, v52
	v_mov_b32_e32 v42, 0x7f800001
	s_and_saveexec_b64 s[10:11], vcc
	s_cbranch_execz .LBB586_149
; %bb.148:
	v_and_b32_e32 v42, 7, v38
	v_ffbh_u32_e32 v56, v42
	v_min_u32_e32 v59, 32, v56
	v_subrev_u32_e32 v56, 28, v59
	v_lshlrev_b64 v[56:57], v56, v[38:39]
	v_lshrrev_b32_e32 v58, 3, v52
	v_sub_u32_e32 v38, 29, v59
	v_and_b32_e32 v56, 7, v56
	v_cmp_gt_u32_e32 vcc, 8, v52
	v_mov_b32_e32 v52, 24
	v_cndmask_b32_e32 v38, v58, v38, vcc
	v_cndmask_b32_e32 v42, v42, v56, vcc
	v_lshlrev_b32_sdwa v52, v52, v39 dst_sel:DWORD dst_unused:UNUSED_PAD src0_sel:DWORD src1_sel:WORD_1
	v_bfrev_b32_e32 v56, 60
	v_lshlrev_b32_e32 v42, 20, v42
	v_and_b32_e32 v52, 0x80000000, v52
	v_lshl_add_u32 v38, v38, 23, v56
	v_or3_b32 v42, v52, v38, v42
.LBB586_149:
	s_or_b64 exec, exec, s[10:11]
.LBB586_150:
	s_or_b64 exec, exec, s[8:9]
.LBB586_151:
	s_or_b64 exec, exec, s[2:3]
	s_mov_b32 s2, 0xffffff
	v_cmp_lt_u32_e32 vcc, s2, v39
	v_mov_b32_e32 v52, 0
	v_mov_b32_e32 v56, 0
	s_and_saveexec_b64 s[2:3], vcc
	s_cbranch_execz .LBB586_157
; %bb.152:
	v_lshrrev_b32_e32 v38, 24, v39
	s_movk_i32 s8, 0x80
	v_cmp_ne_u32_e32 vcc, s8, v38
	v_bfrev_b32_e32 v56, 1
	s_and_saveexec_b64 s[8:9], vcc
	s_cbranch_execz .LBB586_156
; %bb.153:
	v_bfe_u32 v39, v39, 24, 7
	s_movk_i32 s10, 0x7f
	v_cmp_ne_u32_e32 vcc, s10, v39
	v_mov_b32_e32 v56, 0x7f800001
	s_and_saveexec_b64 s[10:11], vcc
	s_cbranch_execz .LBB586_155
; %bb.154:
	v_and_b32_e32 v58, 7, v38
	v_ffbh_u32_e32 v56, v58
	v_min_u32_e32 v60, 32, v56
	v_subrev_u32_e32 v56, 28, v60
	v_lshlrev_b64 v[56:57], v56, v[38:39]
	v_lshrrev_b32_e32 v59, 3, v39
	v_sub_u32_e32 v57, 29, v60
	v_and_b32_e32 v56, 7, v56
	v_cmp_gt_u32_e32 vcc, 8, v39
	v_cndmask_b32_e32 v39, v59, v57, vcc
	v_cndmask_b32_e32 v56, v58, v56, vcc
	v_lshlrev_b32_e32 v38, 24, v38
	v_bfrev_b32_e32 v57, 60
	v_lshlrev_b32_e32 v56, 20, v56
	v_and_b32_e32 v38, 0x80000000, v38
	v_lshl_add_u32 v39, v39, 23, v57
	v_or3_b32 v56, v38, v39, v56
.LBB586_155:
	s_or_b64 exec, exec, s[10:11]
.LBB586_156:
	s_or_b64 exec, exec, s[8:9]
.LBB586_157:
	s_or_b64 exec, exec, s[2:3]
	v_cvt_pkrtz_f16_f32 v38, v53, v44
	v_cvt_pkrtz_f16_f32 v39, v43, v54
	v_cmp_ne_u16_sdwa s[8:9], v40, v52 src0_sel:BYTE_0 src1_sel:DWORD
	s_nop 0
	v_mfma_f32_16x16x16f16 v[58:61], v[38:39], v[26:27], 0
	v_cvt_pkrtz_f16_f32 v38, v45, v55
	v_cvt_pkrtz_f16_f32 v39, v42, v56
	s_nop 1
	v_mfma_f32_16x16x16f16 v[42:45], v[38:39], v[28:29], v[58:61]
	s_and_saveexec_b64 s[2:3], s[8:9]
	s_cbranch_execz .LBB586_163
; %bb.158:
	s_movk_i32 s8, 0x80
	v_cmp_ne_u16_sdwa s[10:11], v40, s8 src0_sel:BYTE_0 src1_sel:DWORD
	v_bfrev_b32_e32 v52, 1
	s_and_saveexec_b64 s[8:9], s[10:11]
	s_cbranch_execz .LBB586_162
; %bb.159:
	s_movk_i32 s10, 0x7f
	v_and_b32_e32 v38, 0x7f, v40
	v_cmp_ne_u32_e32 vcc, s10, v38
	v_mov_b32_e32 v52, 0x7f800001
	s_and_saveexec_b64 s[10:11], vcc
	s_cbranch_execz .LBB586_161
; %bb.160:
	v_and_b32_e32 v39, 7, v40
	v_ffbh_u32_e32 v52, v39
	v_min_u32_e32 v55, 32, v52
	v_subrev_u32_e32 v52, 28, v55
	v_lshlrev_b64 v[52:53], v52, v[40:41]
	v_lshrrev_b32_e32 v54, 3, v38
	v_sub_u32_e32 v53, 29, v55
	v_and_b32_e32 v52, 7, v52
	v_cmp_gt_u32_e32 vcc, 8, v38
	v_cndmask_b32_e32 v38, v54, v53, vcc
	v_cndmask_b32_e32 v39, v39, v52, vcc
	v_lshlrev_b32_e32 v52, 24, v40
	v_bfrev_b32_e32 v53, 60
	v_lshlrev_b32_e32 v39, 20, v39
	v_and_b32_e32 v52, 0x80000000, v52
	v_lshl_add_u32 v38, v38, 23, v53
	v_or3_b32 v52, v52, v38, v39
.LBB586_161:
	s_or_b64 exec, exec, s[10:11]
.LBB586_162:
	s_or_b64 exec, exec, s[8:9]
.LBB586_163:
	s_or_b64 exec, exec, s[2:3]
	v_lshrrev_b16_e32 v38, 8, v40
	v_cmp_ne_u16_e32 vcc, 0, v38
	v_mov_b32_e32 v39, 0
	v_mov_b32_e32 v54, 0
	s_and_saveexec_b64 s[2:3], vcc
	s_cbranch_execz .LBB586_169
; %bb.164:
	s_movk_i32 s8, 0x80
	v_cmp_ne_u16_e32 vcc, s8, v38
	v_bfrev_b32_e32 v54, 1
	s_and_saveexec_b64 s[8:9], vcc
	s_cbranch_execz .LBB586_168
; %bb.165:
	s_movk_i32 s10, 0x7f
	v_and_b32_e32 v53, 0x7f, v38
	v_cmp_ne_u32_e32 vcc, s10, v53
	v_mov_b32_e32 v54, 0x7f800001
	s_and_saveexec_b64 s[10:11], vcc
	s_cbranch_execz .LBB586_167
; %bb.166:
	v_and_b32_e32 v56, 7, v38
	v_ffbh_u32_e32 v54, v56
	v_min_u32_e32 v58, 32, v54
	v_subrev_u32_e32 v54, 28, v58
	v_lshlrev_b64 v[54:55], v54, v[38:39]
	v_lshrrev_b32_e32 v57, 3, v53
	v_sub_u32_e32 v38, 29, v58
	v_and_b32_e32 v54, 7, v54
	v_cmp_gt_u32_e32 vcc, 8, v53
	v_cndmask_b32_e32 v38, v57, v38, vcc
	v_cndmask_b32_e32 v53, v56, v54, vcc
	v_lshlrev_b32_e32 v54, 16, v40
	v_bfrev_b32_e32 v55, 60
	v_lshlrev_b32_e32 v53, 20, v53
	v_and_b32_e32 v54, 0x80000000, v54
	v_lshl_add_u32 v38, v38, 23, v55
	v_or3_b32 v54, v54, v38, v53
.LBB586_167:
	s_or_b64 exec, exec, s[10:11]
.LBB586_168:
	s_or_b64 exec, exec, s[8:9]
.LBB586_169:
	s_or_b64 exec, exec, s[2:3]
	s_movk_i32 s2, 0xff
	v_and_b32_sdwa v53, v40, s2 dst_sel:DWORD dst_unused:UNUSED_PAD src0_sel:WORD_1 src1_sel:DWORD
	v_lshrrev_b32_e32 v38, 16, v40
	v_cmp_ne_u16_e32 vcc, 0, v53
	s_and_saveexec_b64 s[2:3], vcc
	s_cbranch_execz .LBB586_175
; %bb.170:
	s_movk_i32 s8, 0x80
	v_cmp_ne_u16_e32 vcc, s8, v53
	v_bfrev_b32_e32 v39, 1
	s_and_saveexec_b64 s[8:9], vcc
	s_cbranch_execz .LBB586_174
; %bb.171:
	v_bfe_u32 v53, v40, 16, 7
	s_movk_i32 s10, 0x7f
	v_cmp_ne_u32_e32 vcc, s10, v53
	v_mov_b32_e32 v39, 0x7f800001
	s_and_saveexec_b64 s[10:11], vcc
	s_cbranch_execz .LBB586_173
; %bb.172:
	v_and_b32_e32 v55, 7, v38
	v_ffbh_u32_e32 v39, v55
	v_min_u32_e32 v57, 32, v39
	v_subrev_u32_e32 v39, 28, v57
	v_lshlrev_b64 v[38:39], v39, v[38:39]
	v_lshrrev_b32_e32 v56, 3, v53
	v_sub_u32_e32 v39, 29, v57
	v_and_b32_e32 v38, 7, v38
	v_cmp_gt_u32_e32 vcc, 8, v53
	v_mov_b32_e32 v53, 24
	v_cndmask_b32_e32 v39, v56, v39, vcc
	v_cndmask_b32_e32 v38, v55, v38, vcc
	v_lshlrev_b32_sdwa v53, v53, v40 dst_sel:DWORD dst_unused:UNUSED_PAD src0_sel:DWORD src1_sel:WORD_1
	v_bfrev_b32_e32 v55, 60
	v_lshlrev_b32_e32 v38, 20, v38
	v_and_b32_e32 v53, 0x80000000, v53
	v_lshl_add_u32 v39, v39, 23, v55
	v_or3_b32 v39, v53, v39, v38
.LBB586_173:
	s_or_b64 exec, exec, s[10:11]
.LBB586_174:
	s_or_b64 exec, exec, s[8:9]
.LBB586_175:
	s_or_b64 exec, exec, s[2:3]
	s_mov_b32 s2, 0xffffff
	v_cmp_lt_u32_e32 vcc, s2, v40
	v_mov_b32_e32 v55, 0
	v_mov_b32_e32 v56, 0
	s_and_saveexec_b64 s[2:3], vcc
	s_cbranch_execz .LBB586_181
; %bb.176:
	v_lshrrev_b32_e32 v38, 24, v40
	s_movk_i32 s8, 0x80
	v_cmp_ne_u32_e32 vcc, s8, v38
	v_bfrev_b32_e32 v56, 1
	s_and_saveexec_b64 s[8:9], vcc
	s_cbranch_execz .LBB586_180
; %bb.177:
	v_bfe_u32 v40, v40, 24, 7
	s_movk_i32 s10, 0x7f
	v_cmp_ne_u32_e32 vcc, s10, v40
	v_mov_b32_e32 v56, 0x7f800001
	s_and_saveexec_b64 s[10:11], vcc
	s_cbranch_execz .LBB586_179
; %bb.178:
	v_and_b32_e32 v53, 7, v38
	v_ffbh_u32_e32 v56, v53
	v_min_u32_e32 v59, 32, v56
	v_subrev_u32_e32 v56, 28, v59
	v_lshlrev_b64 v[56:57], v56, v[38:39]
	v_lshrrev_b32_e32 v58, 3, v40
	v_sub_u32_e32 v57, 29, v59
	v_and_b32_e32 v56, 7, v56
	v_cmp_gt_u32_e32 vcc, 8, v40
	v_cndmask_b32_e32 v40, v58, v57, vcc
	v_cndmask_b32_e32 v53, v53, v56, vcc
	v_lshlrev_b32_e32 v38, 24, v38
	v_bfrev_b32_e32 v56, 60
	v_lshlrev_b32_e32 v53, 20, v53
	v_and_b32_e32 v38, 0x80000000, v38
	v_lshl_add_u32 v40, v40, 23, v56
	v_or3_b32 v56, v38, v40, v53
.LBB586_179:
	s_or_b64 exec, exec, s[10:11]
.LBB586_180:
	s_or_b64 exec, exec, s[8:9]
.LBB586_181:
	s_or_b64 exec, exec, s[2:3]
	v_cmp_ne_u16_sdwa s[8:9], v41, v55 src0_sel:BYTE_0 src1_sel:DWORD
	s_and_saveexec_b64 s[2:3], s[8:9]
	s_cbranch_execz .LBB586_187
; %bb.182:
	s_movk_i32 s8, 0x80
	v_cmp_ne_u16_sdwa s[10:11], v41, s8 src0_sel:BYTE_0 src1_sel:DWORD
	v_bfrev_b32_e32 v55, 1
	s_and_saveexec_b64 s[8:9], s[10:11]
	s_cbranch_execz .LBB586_186
; %bb.183:
	s_movk_i32 s10, 0x7f
	v_and_b32_e32 v38, 0x7f, v41
	v_cmp_ne_u32_e32 vcc, s10, v38
	v_mov_b32_e32 v55, 0x7f800001
	s_and_saveexec_b64 s[10:11], vcc
	s_cbranch_execz .LBB586_185
; %bb.184:
	v_and_b32_e32 v53, 7, v41
	v_ffbh_u32_e32 v57, v53
	v_min_u32_e32 v57, 32, v57
	v_mov_b32_e32 v40, v41
	v_subrev_u32_e32 v58, 28, v57
	v_lshlrev_b64 v[58:59], v58, v[40:41]
	v_lshrrev_b32_e32 v55, 3, v38
	v_sub_u32_e32 v40, 29, v57
	v_and_b32_e32 v57, 7, v58
	v_cmp_gt_u32_e32 vcc, 8, v38
	v_cndmask_b32_e32 v38, v55, v40, vcc
	v_cndmask_b32_e32 v40, v53, v57, vcc
	v_lshlrev_b32_e32 v53, 24, v41
	v_bfrev_b32_e32 v55, 60
	v_lshlrev_b32_e32 v40, 20, v40
	v_and_b32_e32 v53, 0x80000000, v53
	v_lshl_add_u32 v38, v38, 23, v55
	v_or3_b32 v55, v53, v38, v40
.LBB586_185:
	s_or_b64 exec, exec, s[10:11]
.LBB586_186:
	s_or_b64 exec, exec, s[8:9]
.LBB586_187:
	s_or_b64 exec, exec, s[2:3]
	v_lshrrev_b16_e32 v38, 8, v41
	v_cmp_ne_u16_e32 vcc, 0, v38
	v_mov_b32_e32 v40, 0
	v_mov_b32_e32 v57, 0
	s_and_saveexec_b64 s[2:3], vcc
	s_cbranch_execz .LBB586_193
; %bb.188:
	s_movk_i32 s8, 0x80
	v_cmp_ne_u16_e32 vcc, s8, v38
	v_bfrev_b32_e32 v57, 1
	s_and_saveexec_b64 s[8:9], vcc
	s_cbranch_execz .LBB586_192
; %bb.189:
	s_movk_i32 s10, 0x7f
	v_and_b32_e32 v53, 0x7f, v38
	v_cmp_ne_u32_e32 vcc, s10, v53
	v_mov_b32_e32 v57, 0x7f800001
	s_and_saveexec_b64 s[10:11], vcc
	s_cbranch_execz .LBB586_191
; %bb.190:
	v_and_b32_e32 v57, 7, v38
	v_ffbh_u32_e32 v58, v57
	v_min_u32_e32 v61, 32, v58
	v_subrev_u32_e32 v58, 28, v61
	v_lshlrev_b64 v[58:59], v58, v[38:39]
	v_lshrrev_b32_e32 v60, 3, v53
	v_sub_u32_e32 v38, 29, v61
	v_and_b32_e32 v58, 7, v58
	v_cmp_gt_u32_e32 vcc, 8, v53
	v_cndmask_b32_e32 v38, v60, v38, vcc
	v_cndmask_b32_e32 v53, v57, v58, vcc
	v_lshlrev_b32_e32 v57, 16, v41
	v_bfrev_b32_e32 v58, 60
	v_lshlrev_b32_e32 v53, 20, v53
	v_and_b32_e32 v57, 0x80000000, v57
	v_lshl_add_u32 v38, v38, 23, v58
	v_or3_b32 v57, v57, v38, v53
.LBB586_191:
	s_or_b64 exec, exec, s[10:11]
.LBB586_192:
	s_or_b64 exec, exec, s[8:9]
.LBB586_193:
	s_or_b64 exec, exec, s[2:3]
	s_movk_i32 s2, 0xff
	v_and_b32_sdwa v53, v41, s2 dst_sel:DWORD dst_unused:UNUSED_PAD src0_sel:WORD_1 src1_sel:DWORD
	v_lshrrev_b32_e32 v38, 16, v41
	v_cmp_ne_u16_e32 vcc, 0, v53
	s_and_saveexec_b64 s[2:3], vcc
	s_cbranch_execz .LBB586_199
; %bb.194:
	s_movk_i32 s8, 0x80
	v_cmp_ne_u16_e32 vcc, s8, v53
	v_bfrev_b32_e32 v40, 1
	s_and_saveexec_b64 s[8:9], vcc
	s_cbranch_execz .LBB586_198
; %bb.195:
	v_bfe_u32 v53, v41, 16, 7
	s_movk_i32 s10, 0x7f
	v_cmp_ne_u32_e32 vcc, s10, v53
	v_mov_b32_e32 v40, 0x7f800001
	s_and_saveexec_b64 s[10:11], vcc
	s_cbranch_execz .LBB586_197
; %bb.196:
	v_and_b32_e32 v40, 7, v38
	v_ffbh_u32_e32 v58, v40
	v_min_u32_e32 v61, 32, v58
	v_subrev_u32_e32 v58, 28, v61
	v_lshlrev_b64 v[58:59], v58, v[38:39]
	v_lshrrev_b32_e32 v60, 3, v53
	v_sub_u32_e32 v38, 29, v61
	v_and_b32_e32 v58, 7, v58
	v_cmp_gt_u32_e32 vcc, 8, v53
	v_mov_b32_e32 v53, 24
	v_cndmask_b32_e32 v38, v60, v38, vcc
	v_cndmask_b32_e32 v40, v40, v58, vcc
	v_lshlrev_b32_sdwa v53, v53, v41 dst_sel:DWORD dst_unused:UNUSED_PAD src0_sel:DWORD src1_sel:WORD_1
	v_bfrev_b32_e32 v58, 60
	v_lshlrev_b32_e32 v40, 20, v40
	v_and_b32_e32 v53, 0x80000000, v53
	v_lshl_add_u32 v38, v38, 23, v58
	v_or3_b32 v40, v53, v38, v40
.LBB586_197:
	s_or_b64 exec, exec, s[10:11]
.LBB586_198:
	s_or_b64 exec, exec, s[8:9]
.LBB586_199:
	s_or_b64 exec, exec, s[2:3]
	s_mov_b32 s2, 0xffffff
	v_cmp_lt_u32_e32 vcc, s2, v41
	v_mov_b32_e32 v53, 0
	v_mov_b32_e32 v58, 0
	s_and_saveexec_b64 s[2:3], vcc
	s_cbranch_execz .LBB586_205
; %bb.200:
	v_lshrrev_b32_e32 v38, 24, v41
	s_movk_i32 s8, 0x80
	v_cmp_ne_u32_e32 vcc, s8, v38
	v_bfrev_b32_e32 v58, 1
	s_and_saveexec_b64 s[8:9], vcc
	s_cbranch_execz .LBB586_204
; %bb.201:
	v_bfe_u32 v41, v41, 24, 7
	s_movk_i32 s10, 0x7f
	v_cmp_ne_u32_e32 vcc, s10, v41
	v_mov_b32_e32 v58, 0x7f800001
	s_and_saveexec_b64 s[10:11], vcc
	s_cbranch_execz .LBB586_203
; %bb.202:
	v_and_b32_e32 v60, 7, v38
	v_ffbh_u32_e32 v58, v60
	v_min_u32_e32 v62, 32, v58
	v_subrev_u32_e32 v58, 28, v62
	v_lshlrev_b64 v[58:59], v58, v[38:39]
	v_lshrrev_b32_e32 v61, 3, v41
	v_sub_u32_e32 v59, 29, v62
	v_and_b32_e32 v58, 7, v58
	v_cmp_gt_u32_e32 vcc, 8, v41
	v_cndmask_b32_e32 v41, v61, v59, vcc
	v_cndmask_b32_e32 v58, v60, v58, vcc
	v_lshlrev_b32_e32 v38, 24, v38
	v_bfrev_b32_e32 v59, 60
	v_lshlrev_b32_e32 v58, 20, v58
	v_and_b32_e32 v38, 0x80000000, v38
	v_lshl_add_u32 v41, v41, 23, v59
	v_or3_b32 v58, v38, v41, v58
.LBB586_203:
	s_or_b64 exec, exec, s[10:11]
.LBB586_204:
	s_or_b64 exec, exec, s[8:9]
.LBB586_205:
	s_or_b64 exec, exec, s[2:3]
	v_cvt_pkrtz_f16_f32 v38, v52, v54
	v_cvt_pkrtz_f16_f32 v39, v39, v56
	v_cmp_ne_u16_sdwa s[8:9], v30, v53 src0_sel:BYTE_0 src1_sel:DWORD
	s_nop 0
	v_mfma_f32_16x16x16f16 v[42:45], v[38:39], v[18:19], v[42:45]
	v_cvt_pkrtz_f16_f32 v38, v55, v57
	v_cvt_pkrtz_f16_f32 v39, v40, v58
	s_nop 1
	v_mfma_f32_16x16x16f16 v[38:41], v[38:39], v[20:21], v[42:45]
	s_and_saveexec_b64 s[2:3], s[8:9]
	s_cbranch_execz .LBB586_211
; %bb.206:
	s_movk_i32 s8, 0x80
	v_cmp_ne_u16_sdwa s[10:11], v30, s8 src0_sel:BYTE_0 src1_sel:DWORD
	v_bfrev_b32_e32 v53, 1
	s_and_saveexec_b64 s[8:9], s[10:11]
	s_cbranch_execz .LBB586_210
; %bb.207:
	s_movk_i32 s10, 0x7f
	v_and_b32_e32 v42, 0x7f, v30
	v_cmp_ne_u32_e32 vcc, s10, v42
	v_mov_b32_e32 v53, 0x7f800001
	s_and_saveexec_b64 s[10:11], vcc
	s_cbranch_execz .LBB586_209
; %bb.208:
	v_and_b32_e32 v43, 7, v30
	v_ffbh_u32_e32 v44, v43
	v_min_u32_e32 v53, 32, v44
	v_subrev_u32_e32 v44, 28, v53
	v_lshlrev_b64 v[44:45], v44, v[30:31]
	v_lshrrev_b32_e32 v52, 3, v42
	v_sub_u32_e32 v45, 29, v53
	v_and_b32_e32 v44, 7, v44
	v_cmp_gt_u32_e32 vcc, 8, v42
	v_cndmask_b32_e32 v42, v52, v45, vcc
	v_cndmask_b32_e32 v43, v43, v44, vcc
	v_lshlrev_b32_e32 v44, 24, v30
	v_bfrev_b32_e32 v45, 60
	v_lshlrev_b32_e32 v43, 20, v43
	v_and_b32_e32 v44, 0x80000000, v44
	v_lshl_add_u32 v42, v42, 23, v45
	v_or3_b32 v53, v44, v42, v43
.LBB586_209:
	s_or_b64 exec, exec, s[10:11]
.LBB586_210:
	s_or_b64 exec, exec, s[8:9]
.LBB586_211:
	s_or_b64 exec, exec, s[2:3]
	s_nop 3
	v_lshrrev_b16_e32 v42, 8, v30
	v_cmp_ne_u16_e32 vcc, 0, v42
	v_mov_b32_e32 v43, 0
	v_mov_b32_e32 v44, 0
	s_and_saveexec_b64 s[2:3], vcc
	s_cbranch_execz .LBB586_217
; %bb.212:
	s_movk_i32 s8, 0x80
	v_cmp_ne_u16_e32 vcc, s8, v42
	v_bfrev_b32_e32 v44, 1
	s_and_saveexec_b64 s[8:9], vcc
	s_cbranch_execz .LBB586_216
; %bb.213:
	s_movk_i32 s10, 0x7f
	v_and_b32_e32 v45, 0x7f, v42
	v_cmp_ne_u32_e32 vcc, s10, v45
	v_mov_b32_e32 v44, 0x7f800001
	s_and_saveexec_b64 s[10:11], vcc
	s_cbranch_execz .LBB586_215
; %bb.214:
	v_and_b32_e32 v44, 7, v42
	v_ffbh_u32_e32 v54, v44
	v_min_u32_e32 v56, 32, v54
	v_subrev_u32_e32 v54, 28, v56
	v_lshlrev_b64 v[54:55], v54, v[42:43]
	v_lshrrev_b32_e32 v52, 3, v45
	v_sub_u32_e32 v42, 29, v56
	v_and_b32_e32 v54, 7, v54
	v_cmp_gt_u32_e32 vcc, 8, v45
	v_cndmask_b32_e32 v42, v52, v42, vcc
	v_cndmask_b32_e32 v44, v44, v54, vcc
	v_lshlrev_b32_e32 v45, 16, v30
	v_bfrev_b32_e32 v52, 60
	v_lshlrev_b32_e32 v44, 20, v44
	v_and_b32_e32 v45, 0x80000000, v45
	v_lshl_add_u32 v42, v42, 23, v52
	v_or3_b32 v44, v45, v42, v44
.LBB586_215:
	s_or_b64 exec, exec, s[10:11]
.LBB586_216:
	s_or_b64 exec, exec, s[8:9]
.LBB586_217:
	s_or_b64 exec, exec, s[2:3]
	s_movk_i32 s2, 0xff
	v_and_b32_sdwa v45, v30, s2 dst_sel:DWORD dst_unused:UNUSED_PAD src0_sel:WORD_1 src1_sel:DWORD
	v_lshrrev_b32_e32 v42, 16, v30
	v_cmp_ne_u16_e32 vcc, 0, v45
	s_and_saveexec_b64 s[2:3], vcc
	s_cbranch_execz .LBB586_223
; %bb.218:
	s_movk_i32 s8, 0x80
	v_cmp_ne_u16_e32 vcc, s8, v45
	v_bfrev_b32_e32 v43, 1
	s_and_saveexec_b64 s[8:9], vcc
	s_cbranch_execz .LBB586_222
; %bb.219:
	v_bfe_u32 v45, v30, 16, 7
	s_movk_i32 s10, 0x7f
	v_cmp_ne_u32_e32 vcc, s10, v45
	v_mov_b32_e32 v43, 0x7f800001
	s_and_saveexec_b64 s[10:11], vcc
	s_cbranch_execz .LBB586_221
; %bb.220:
	v_and_b32_e32 v52, 7, v42
	v_ffbh_u32_e32 v43, v52
	v_min_u32_e32 v55, 32, v43
	v_subrev_u32_e32 v43, 28, v55
	v_lshlrev_b64 v[42:43], v43, v[42:43]
	v_lshrrev_b32_e32 v54, 3, v45
	v_sub_u32_e32 v43, 29, v55
	v_and_b32_e32 v42, 7, v42
	v_cmp_gt_u32_e32 vcc, 8, v45
	v_mov_b32_e32 v45, 24
	v_cndmask_b32_e32 v43, v54, v43, vcc
	v_cndmask_b32_e32 v42, v52, v42, vcc
	v_lshlrev_b32_sdwa v45, v45, v30 dst_sel:DWORD dst_unused:UNUSED_PAD src0_sel:DWORD src1_sel:WORD_1
	v_bfrev_b32_e32 v52, 60
	v_lshlrev_b32_e32 v42, 20, v42
	v_and_b32_e32 v45, 0x80000000, v45
	v_lshl_add_u32 v43, v43, 23, v52
	v_or3_b32 v43, v45, v43, v42
.LBB586_221:
	s_or_b64 exec, exec, s[10:11]
.LBB586_222:
	s_or_b64 exec, exec, s[8:9]
.LBB586_223:
	s_or_b64 exec, exec, s[2:3]
	s_mov_b32 s2, 0xffffff
	v_cmp_lt_u32_e32 vcc, s2, v30
	v_mov_b32_e32 v45, 0
	v_mov_b32_e32 v54, 0
	s_and_saveexec_b64 s[2:3], vcc
	s_cbranch_execz .LBB586_229
; %bb.224:
	v_lshrrev_b32_e32 v42, 24, v30
	s_movk_i32 s8, 0x80
	v_cmp_ne_u32_e32 vcc, s8, v42
	v_bfrev_b32_e32 v54, 1
	s_and_saveexec_b64 s[8:9], vcc
	s_cbranch_execz .LBB586_228
; %bb.225:
	v_bfe_u32 v30, v30, 24, 7
	s_movk_i32 s10, 0x7f
	v_cmp_ne_u32_e32 vcc, s10, v30
	v_mov_b32_e32 v54, 0x7f800001
	s_and_saveexec_b64 s[10:11], vcc
	s_cbranch_execz .LBB586_227
; %bb.226:
	v_and_b32_e32 v52, 7, v42
	v_ffbh_u32_e32 v54, v52
	v_min_u32_e32 v57, 32, v54
	v_subrev_u32_e32 v54, 28, v57
	v_lshlrev_b64 v[54:55], v54, v[42:43]
	v_lshrrev_b32_e32 v56, 3, v30
	v_sub_u32_e32 v55, 29, v57
	v_and_b32_e32 v54, 7, v54
	v_cmp_gt_u32_e32 vcc, 8, v30
	v_cndmask_b32_e32 v30, v56, v55, vcc
	v_cndmask_b32_e32 v52, v52, v54, vcc
	v_lshlrev_b32_e32 v42, 24, v42
	v_bfrev_b32_e32 v54, 60
	v_lshlrev_b32_e32 v52, 20, v52
	v_and_b32_e32 v42, 0x80000000, v42
	v_lshl_add_u32 v30, v30, 23, v54
	v_or3_b32 v54, v42, v30, v52
.LBB586_227:
	s_or_b64 exec, exec, s[10:11]
.LBB586_228:
	s_or_b64 exec, exec, s[8:9]
.LBB586_229:
	s_or_b64 exec, exec, s[2:3]
	v_cmp_ne_u16_sdwa s[8:9], v31, v45 src0_sel:BYTE_0 src1_sel:DWORD
	s_and_saveexec_b64 s[2:3], s[8:9]
	s_cbranch_execz .LBB586_235
; %bb.230:
	s_movk_i32 s8, 0x80
	v_cmp_ne_u16_sdwa s[10:11], v31, s8 src0_sel:BYTE_0 src1_sel:DWORD
	v_bfrev_b32_e32 v45, 1
	s_and_saveexec_b64 s[8:9], s[10:11]
	s_cbranch_execz .LBB586_234
; %bb.231:
	s_movk_i32 s10, 0x7f
	v_and_b32_e32 v30, 0x7f, v31
	v_cmp_ne_u32_e32 vcc, s10, v30
	v_mov_b32_e32 v45, 0x7f800001
	s_and_saveexec_b64 s[10:11], vcc
	s_cbranch_execz .LBB586_233
; %bb.232:
	v_and_b32_e32 v45, 7, v31
	v_ffbh_u32_e32 v55, v45
	v_min_u32_e32 v55, 32, v55
	v_mov_b32_e32 v42, v31
	v_subrev_u32_e32 v56, 28, v55
	v_lshlrev_b64 v[56:57], v56, v[42:43]
	v_lshrrev_b32_e32 v52, 3, v30
	v_sub_u32_e32 v42, 29, v55
	v_and_b32_e32 v55, 7, v56
	v_cmp_gt_u32_e32 vcc, 8, v30
	v_cndmask_b32_e32 v30, v52, v42, vcc
	v_cndmask_b32_e32 v42, v45, v55, vcc
	v_lshlrev_b32_e32 v45, 24, v31
	v_bfrev_b32_e32 v52, 60
	v_lshlrev_b32_e32 v42, 20, v42
	v_and_b32_e32 v45, 0x80000000, v45
	v_lshl_add_u32 v30, v30, 23, v52
	v_or3_b32 v45, v45, v30, v42
.LBB586_233:
	s_or_b64 exec, exec, s[10:11]
.LBB586_234:
	s_or_b64 exec, exec, s[8:9]
.LBB586_235:
	s_or_b64 exec, exec, s[2:3]
	v_lshrrev_b16_e32 v30, 8, v31
	v_cmp_ne_u16_e32 vcc, 0, v30
	v_mov_b32_e32 v42, 0
	v_mov_b32_e32 v55, 0
	s_and_saveexec_b64 s[2:3], vcc
	s_cbranch_execz .LBB586_241
; %bb.236:
	s_movk_i32 s8, 0x80
	v_cmp_ne_u16_e32 vcc, s8, v30
	v_bfrev_b32_e32 v55, 1
	s_and_saveexec_b64 s[8:9], vcc
	s_cbranch_execz .LBB586_240
; %bb.237:
	s_movk_i32 s10, 0x7f
	v_and_b32_e32 v52, 0x7f, v30
	v_cmp_ne_u32_e32 vcc, s10, v52
	v_mov_b32_e32 v55, 0x7f800001
	s_and_saveexec_b64 s[10:11], vcc
	s_cbranch_execz .LBB586_239
; %bb.238:
	v_and_b32_e32 v55, 7, v30
	v_ffbh_u32_e32 v56, v55
	v_min_u32_e32 v59, 32, v56
	v_subrev_u32_e32 v56, 28, v59
	v_lshlrev_b64 v[56:57], v56, v[30:31]
	v_lshrrev_b32_e32 v58, 3, v52
	v_sub_u32_e32 v30, 29, v59
	v_and_b32_e32 v56, 7, v56
	v_cmp_gt_u32_e32 vcc, 8, v52
	v_cndmask_b32_e32 v30, v58, v30, vcc
	v_cndmask_b32_e32 v52, v55, v56, vcc
	v_lshlrev_b32_e32 v55, 16, v31
	v_bfrev_b32_e32 v56, 60
	v_lshlrev_b32_e32 v52, 20, v52
	v_and_b32_e32 v55, 0x80000000, v55
	v_lshl_add_u32 v30, v30, 23, v56
	v_or3_b32 v55, v55, v30, v52
.LBB586_239:
	s_or_b64 exec, exec, s[10:11]
.LBB586_240:
	s_or_b64 exec, exec, s[8:9]
.LBB586_241:
	s_or_b64 exec, exec, s[2:3]
	s_movk_i32 s2, 0xff
	v_and_b32_sdwa v52, v31, s2 dst_sel:DWORD dst_unused:UNUSED_PAD src0_sel:WORD_1 src1_sel:DWORD
	v_lshrrev_b32_e32 v30, 16, v31
	v_cmp_ne_u16_e32 vcc, 0, v52
	s_and_saveexec_b64 s[2:3], vcc
	s_cbranch_execz .LBB586_247
; %bb.242:
	s_movk_i32 s8, 0x80
	v_cmp_ne_u16_e32 vcc, s8, v52
	v_bfrev_b32_e32 v42, 1
	s_and_saveexec_b64 s[8:9], vcc
	s_cbranch_execz .LBB586_246
; %bb.243:
	v_bfe_u32 v52, v31, 16, 7
	s_movk_i32 s10, 0x7f
	v_cmp_ne_u32_e32 vcc, s10, v52
	v_mov_b32_e32 v42, 0x7f800001
	s_and_saveexec_b64 s[10:11], vcc
	s_cbranch_execz .LBB586_245
; %bb.244:
	v_and_b32_e32 v42, 7, v30
	v_ffbh_u32_e32 v56, v42
	v_min_u32_e32 v59, 32, v56
	v_subrev_u32_e32 v56, 28, v59
	v_lshlrev_b64 v[56:57], v56, v[30:31]
	v_lshrrev_b32_e32 v58, 3, v52
	v_sub_u32_e32 v30, 29, v59
	v_and_b32_e32 v56, 7, v56
	v_cmp_gt_u32_e32 vcc, 8, v52
	v_mov_b32_e32 v52, 24
	v_cndmask_b32_e32 v30, v58, v30, vcc
	v_cndmask_b32_e32 v42, v42, v56, vcc
	v_lshlrev_b32_sdwa v52, v52, v31 dst_sel:DWORD dst_unused:UNUSED_PAD src0_sel:DWORD src1_sel:WORD_1
	v_bfrev_b32_e32 v56, 60
	v_lshlrev_b32_e32 v42, 20, v42
	v_and_b32_e32 v52, 0x80000000, v52
	v_lshl_add_u32 v30, v30, 23, v56
	v_or3_b32 v42, v52, v30, v42
.LBB586_245:
	s_or_b64 exec, exec, s[10:11]
.LBB586_246:
	s_or_b64 exec, exec, s[8:9]
.LBB586_247:
	s_or_b64 exec, exec, s[2:3]
	s_mov_b32 s2, 0xffffff
	v_cmp_lt_u32_e32 vcc, s2, v31
	v_mov_b32_e32 v52, 0
	v_mov_b32_e32 v56, 0
	s_and_saveexec_b64 s[2:3], vcc
	s_cbranch_execz .LBB586_253
; %bb.248:
	v_lshrrev_b32_e32 v30, 24, v31
	s_movk_i32 s8, 0x80
	v_cmp_ne_u32_e32 vcc, s8, v30
	v_bfrev_b32_e32 v56, 1
	s_and_saveexec_b64 s[8:9], vcc
	s_cbranch_execz .LBB586_252
; %bb.249:
	v_bfe_u32 v31, v31, 24, 7
	s_movk_i32 s10, 0x7f
	v_cmp_ne_u32_e32 vcc, s10, v31
	v_mov_b32_e32 v56, 0x7f800001
	s_and_saveexec_b64 s[10:11], vcc
	s_cbranch_execz .LBB586_251
; %bb.250:
	v_and_b32_e32 v58, 7, v30
	v_ffbh_u32_e32 v56, v58
	v_min_u32_e32 v60, 32, v56
	v_subrev_u32_e32 v56, 28, v60
	v_lshlrev_b64 v[56:57], v56, v[30:31]
	v_lshrrev_b32_e32 v59, 3, v31
	v_sub_u32_e32 v57, 29, v60
	v_and_b32_e32 v56, 7, v56
	v_cmp_gt_u32_e32 vcc, 8, v31
	v_cndmask_b32_e32 v31, v59, v57, vcc
	v_cndmask_b32_e32 v56, v58, v56, vcc
	v_lshlrev_b32_e32 v30, 24, v30
	v_bfrev_b32_e32 v57, 60
	v_lshlrev_b32_e32 v56, 20, v56
	v_and_b32_e32 v30, 0x80000000, v30
	v_lshl_add_u32 v31, v31, 23, v57
	v_or3_b32 v56, v30, v31, v56
.LBB586_251:
	s_or_b64 exec, exec, s[10:11]
.LBB586_252:
	s_or_b64 exec, exec, s[8:9]
.LBB586_253:
	s_or_b64 exec, exec, s[2:3]
	v_cvt_pkrtz_f16_f32 v30, v53, v44
	v_cvt_pkrtz_f16_f32 v31, v43, v54
	v_cmp_ne_u16_sdwa s[8:9], v32, v52 src0_sel:BYTE_0 src1_sel:DWORD
	s_nop 0
	v_mfma_f32_16x16x16f16 v[58:61], v[30:31], v[26:27], 0
	v_cvt_pkrtz_f16_f32 v30, v45, v55
	v_cvt_pkrtz_f16_f32 v31, v42, v56
	s_nop 1
	v_mfma_f32_16x16x16f16 v[42:45], v[30:31], v[28:29], v[58:61]
	s_and_saveexec_b64 s[2:3], s[8:9]
	s_cbranch_execz .LBB586_259
; %bb.254:
	s_movk_i32 s8, 0x80
	v_cmp_ne_u16_sdwa s[10:11], v32, s8 src0_sel:BYTE_0 src1_sel:DWORD
	v_bfrev_b32_e32 v52, 1
	s_and_saveexec_b64 s[8:9], s[10:11]
	s_cbranch_execz .LBB586_258
; %bb.255:
	s_movk_i32 s10, 0x7f
	v_and_b32_e32 v30, 0x7f, v32
	v_cmp_ne_u32_e32 vcc, s10, v30
	v_mov_b32_e32 v52, 0x7f800001
	s_and_saveexec_b64 s[10:11], vcc
	s_cbranch_execz .LBB586_257
; %bb.256:
	v_and_b32_e32 v31, 7, v32
	v_ffbh_u32_e32 v52, v31
	v_min_u32_e32 v55, 32, v52
	v_subrev_u32_e32 v52, 28, v55
	v_lshlrev_b64 v[52:53], v52, v[32:33]
	v_lshrrev_b32_e32 v54, 3, v30
	v_sub_u32_e32 v53, 29, v55
	v_and_b32_e32 v52, 7, v52
	v_cmp_gt_u32_e32 vcc, 8, v30
	v_cndmask_b32_e32 v30, v54, v53, vcc
	v_cndmask_b32_e32 v31, v31, v52, vcc
	v_lshlrev_b32_e32 v52, 24, v32
	v_bfrev_b32_e32 v53, 60
	v_lshlrev_b32_e32 v31, 20, v31
	v_and_b32_e32 v52, 0x80000000, v52
	v_lshl_add_u32 v30, v30, 23, v53
	v_or3_b32 v52, v52, v30, v31
.LBB586_257:
	s_or_b64 exec, exec, s[10:11]
.LBB586_258:
	s_or_b64 exec, exec, s[8:9]
.LBB586_259:
	s_or_b64 exec, exec, s[2:3]
	v_lshrrev_b16_e32 v30, 8, v32
	v_cmp_ne_u16_e32 vcc, 0, v30
	v_mov_b32_e32 v31, 0
	v_mov_b32_e32 v54, 0
	s_and_saveexec_b64 s[2:3], vcc
	s_cbranch_execz .LBB586_265
; %bb.260:
	s_movk_i32 s8, 0x80
	v_cmp_ne_u16_e32 vcc, s8, v30
	v_bfrev_b32_e32 v54, 1
	s_and_saveexec_b64 s[8:9], vcc
	s_cbranch_execz .LBB586_264
; %bb.261:
	s_movk_i32 s10, 0x7f
	v_and_b32_e32 v53, 0x7f, v30
	v_cmp_ne_u32_e32 vcc, s10, v53
	v_mov_b32_e32 v54, 0x7f800001
	s_and_saveexec_b64 s[10:11], vcc
	s_cbranch_execz .LBB586_263
; %bb.262:
	v_and_b32_e32 v56, 7, v30
	v_ffbh_u32_e32 v54, v56
	v_min_u32_e32 v58, 32, v54
	v_subrev_u32_e32 v54, 28, v58
	v_lshlrev_b64 v[54:55], v54, v[30:31]
	v_lshrrev_b32_e32 v57, 3, v53
	v_sub_u32_e32 v30, 29, v58
	v_and_b32_e32 v54, 7, v54
	v_cmp_gt_u32_e32 vcc, 8, v53
	v_cndmask_b32_e32 v30, v57, v30, vcc
	v_cndmask_b32_e32 v53, v56, v54, vcc
	v_lshlrev_b32_e32 v54, 16, v32
	v_bfrev_b32_e32 v55, 60
	v_lshlrev_b32_e32 v53, 20, v53
	v_and_b32_e32 v54, 0x80000000, v54
	v_lshl_add_u32 v30, v30, 23, v55
	v_or3_b32 v54, v54, v30, v53
.LBB586_263:
	s_or_b64 exec, exec, s[10:11]
.LBB586_264:
	s_or_b64 exec, exec, s[8:9]
.LBB586_265:
	s_or_b64 exec, exec, s[2:3]
	s_movk_i32 s2, 0xff
	v_and_b32_sdwa v53, v32, s2 dst_sel:DWORD dst_unused:UNUSED_PAD src0_sel:WORD_1 src1_sel:DWORD
	v_lshrrev_b32_e32 v30, 16, v32
	v_cmp_ne_u16_e32 vcc, 0, v53
	s_and_saveexec_b64 s[2:3], vcc
	s_cbranch_execz .LBB586_271
; %bb.266:
	s_movk_i32 s8, 0x80
	v_cmp_ne_u16_e32 vcc, s8, v53
	v_bfrev_b32_e32 v31, 1
	s_and_saveexec_b64 s[8:9], vcc
	s_cbranch_execz .LBB586_270
; %bb.267:
	v_bfe_u32 v53, v32, 16, 7
	s_movk_i32 s10, 0x7f
	v_cmp_ne_u32_e32 vcc, s10, v53
	v_mov_b32_e32 v31, 0x7f800001
	s_and_saveexec_b64 s[10:11], vcc
	s_cbranch_execz .LBB586_269
; %bb.268:
	v_and_b32_e32 v55, 7, v30
	v_ffbh_u32_e32 v31, v55
	v_min_u32_e32 v57, 32, v31
	v_subrev_u32_e32 v31, 28, v57
	v_lshlrev_b64 v[30:31], v31, v[30:31]
	v_lshrrev_b32_e32 v56, 3, v53
	v_sub_u32_e32 v31, 29, v57
	v_and_b32_e32 v30, 7, v30
	v_cmp_gt_u32_e32 vcc, 8, v53
	v_mov_b32_e32 v53, 24
	v_cndmask_b32_e32 v31, v56, v31, vcc
	v_cndmask_b32_e32 v30, v55, v30, vcc
	v_lshlrev_b32_sdwa v53, v53, v32 dst_sel:DWORD dst_unused:UNUSED_PAD src0_sel:DWORD src1_sel:WORD_1
	v_bfrev_b32_e32 v55, 60
	v_lshlrev_b32_e32 v30, 20, v30
	v_and_b32_e32 v53, 0x80000000, v53
	v_lshl_add_u32 v31, v31, 23, v55
	v_or3_b32 v31, v53, v31, v30
.LBB586_269:
	s_or_b64 exec, exec, s[10:11]
.LBB586_270:
	s_or_b64 exec, exec, s[8:9]
.LBB586_271:
	s_or_b64 exec, exec, s[2:3]
	s_mov_b32 s2, 0xffffff
	v_cmp_lt_u32_e32 vcc, s2, v32
	v_mov_b32_e32 v55, 0
	v_mov_b32_e32 v56, 0
	s_and_saveexec_b64 s[2:3], vcc
	s_cbranch_execz .LBB586_277
; %bb.272:
	v_lshrrev_b32_e32 v30, 24, v32
	s_movk_i32 s8, 0x80
	v_cmp_ne_u32_e32 vcc, s8, v30
	v_bfrev_b32_e32 v56, 1
	s_and_saveexec_b64 s[8:9], vcc
	s_cbranch_execz .LBB586_276
; %bb.273:
	v_bfe_u32 v32, v32, 24, 7
	s_movk_i32 s10, 0x7f
	v_cmp_ne_u32_e32 vcc, s10, v32
	v_mov_b32_e32 v56, 0x7f800001
	s_and_saveexec_b64 s[10:11], vcc
	s_cbranch_execz .LBB586_275
; %bb.274:
	v_and_b32_e32 v53, 7, v30
	v_ffbh_u32_e32 v56, v53
	v_min_u32_e32 v59, 32, v56
	v_subrev_u32_e32 v56, 28, v59
	v_lshlrev_b64 v[56:57], v56, v[30:31]
	v_lshrrev_b32_e32 v58, 3, v32
	v_sub_u32_e32 v57, 29, v59
	v_and_b32_e32 v56, 7, v56
	v_cmp_gt_u32_e32 vcc, 8, v32
	v_cndmask_b32_e32 v32, v58, v57, vcc
	v_cndmask_b32_e32 v53, v53, v56, vcc
	v_lshlrev_b32_e32 v30, 24, v30
	v_bfrev_b32_e32 v56, 60
	v_lshlrev_b32_e32 v53, 20, v53
	v_and_b32_e32 v30, 0x80000000, v30
	v_lshl_add_u32 v32, v32, 23, v56
	v_or3_b32 v56, v30, v32, v53
.LBB586_275:
	s_or_b64 exec, exec, s[10:11]
.LBB586_276:
	s_or_b64 exec, exec, s[8:9]
.LBB586_277:
	s_or_b64 exec, exec, s[2:3]
	v_cmp_ne_u16_sdwa s[8:9], v33, v55 src0_sel:BYTE_0 src1_sel:DWORD
	s_and_saveexec_b64 s[2:3], s[8:9]
	s_cbranch_execz .LBB586_283
; %bb.278:
	s_movk_i32 s8, 0x80
	v_cmp_ne_u16_sdwa s[10:11], v33, s8 src0_sel:BYTE_0 src1_sel:DWORD
	v_bfrev_b32_e32 v55, 1
	s_and_saveexec_b64 s[8:9], s[10:11]
	s_cbranch_execz .LBB586_282
; %bb.279:
	s_movk_i32 s10, 0x7f
	v_and_b32_e32 v30, 0x7f, v33
	v_cmp_ne_u32_e32 vcc, s10, v30
	v_mov_b32_e32 v55, 0x7f800001
	s_and_saveexec_b64 s[10:11], vcc
	s_cbranch_execz .LBB586_281
; %bb.280:
	v_and_b32_e32 v53, 7, v33
	v_ffbh_u32_e32 v57, v53
	v_min_u32_e32 v57, 32, v57
	v_mov_b32_e32 v32, v33
	v_subrev_u32_e32 v58, 28, v57
	v_lshlrev_b64 v[58:59], v58, v[32:33]
	v_lshrrev_b32_e32 v55, 3, v30
	v_sub_u32_e32 v32, 29, v57
	v_and_b32_e32 v57, 7, v58
	v_cmp_gt_u32_e32 vcc, 8, v30
	v_cndmask_b32_e32 v30, v55, v32, vcc
	v_cndmask_b32_e32 v32, v53, v57, vcc
	v_lshlrev_b32_e32 v53, 24, v33
	v_bfrev_b32_e32 v55, 60
	v_lshlrev_b32_e32 v32, 20, v32
	v_and_b32_e32 v53, 0x80000000, v53
	v_lshl_add_u32 v30, v30, 23, v55
	v_or3_b32 v55, v53, v30, v32
.LBB586_281:
	s_or_b64 exec, exec, s[10:11]
.LBB586_282:
	s_or_b64 exec, exec, s[8:9]
.LBB586_283:
	s_or_b64 exec, exec, s[2:3]
	v_lshrrev_b16_e32 v30, 8, v33
	v_cmp_ne_u16_e32 vcc, 0, v30
	v_mov_b32_e32 v32, 0
	v_mov_b32_e32 v57, 0
	s_and_saveexec_b64 s[2:3], vcc
	s_cbranch_execz .LBB586_289
; %bb.284:
	s_movk_i32 s8, 0x80
	v_cmp_ne_u16_e32 vcc, s8, v30
	v_bfrev_b32_e32 v57, 1
	s_and_saveexec_b64 s[8:9], vcc
	s_cbranch_execz .LBB586_288
; %bb.285:
	s_movk_i32 s10, 0x7f
	v_and_b32_e32 v53, 0x7f, v30
	v_cmp_ne_u32_e32 vcc, s10, v53
	v_mov_b32_e32 v57, 0x7f800001
	s_and_saveexec_b64 s[10:11], vcc
	s_cbranch_execz .LBB586_287
; %bb.286:
	v_and_b32_e32 v57, 7, v30
	v_ffbh_u32_e32 v58, v57
	v_min_u32_e32 v61, 32, v58
	v_subrev_u32_e32 v58, 28, v61
	v_lshlrev_b64 v[58:59], v58, v[30:31]
	v_lshrrev_b32_e32 v60, 3, v53
	v_sub_u32_e32 v30, 29, v61
	v_and_b32_e32 v58, 7, v58
	v_cmp_gt_u32_e32 vcc, 8, v53
	v_cndmask_b32_e32 v30, v60, v30, vcc
	v_cndmask_b32_e32 v53, v57, v58, vcc
	v_lshlrev_b32_e32 v57, 16, v33
	v_bfrev_b32_e32 v58, 60
	v_lshlrev_b32_e32 v53, 20, v53
	v_and_b32_e32 v57, 0x80000000, v57
	v_lshl_add_u32 v30, v30, 23, v58
	v_or3_b32 v57, v57, v30, v53
.LBB586_287:
	s_or_b64 exec, exec, s[10:11]
.LBB586_288:
	s_or_b64 exec, exec, s[8:9]
.LBB586_289:
	s_or_b64 exec, exec, s[2:3]
	s_movk_i32 s2, 0xff
	v_and_b32_sdwa v53, v33, s2 dst_sel:DWORD dst_unused:UNUSED_PAD src0_sel:WORD_1 src1_sel:DWORD
	v_lshrrev_b32_e32 v30, 16, v33
	v_cmp_ne_u16_e32 vcc, 0, v53
	s_and_saveexec_b64 s[2:3], vcc
	s_cbranch_execz .LBB586_295
; %bb.290:
	s_movk_i32 s8, 0x80
	v_cmp_ne_u16_e32 vcc, s8, v53
	v_bfrev_b32_e32 v32, 1
	s_and_saveexec_b64 s[8:9], vcc
	s_cbranch_execz .LBB586_294
; %bb.291:
	v_bfe_u32 v53, v33, 16, 7
	s_movk_i32 s10, 0x7f
	v_cmp_ne_u32_e32 vcc, s10, v53
	v_mov_b32_e32 v32, 0x7f800001
	s_and_saveexec_b64 s[10:11], vcc
	s_cbranch_execz .LBB586_293
; %bb.292:
	v_and_b32_e32 v32, 7, v30
	v_ffbh_u32_e32 v58, v32
	v_min_u32_e32 v61, 32, v58
	v_subrev_u32_e32 v58, 28, v61
	v_lshlrev_b64 v[58:59], v58, v[30:31]
	v_lshrrev_b32_e32 v60, 3, v53
	v_sub_u32_e32 v30, 29, v61
	v_and_b32_e32 v58, 7, v58
	v_cmp_gt_u32_e32 vcc, 8, v53
	v_mov_b32_e32 v53, 24
	v_cndmask_b32_e32 v30, v60, v30, vcc
	v_cndmask_b32_e32 v32, v32, v58, vcc
	v_lshlrev_b32_sdwa v53, v53, v33 dst_sel:DWORD dst_unused:UNUSED_PAD src0_sel:DWORD src1_sel:WORD_1
	v_bfrev_b32_e32 v58, 60
	v_lshlrev_b32_e32 v32, 20, v32
	v_and_b32_e32 v53, 0x80000000, v53
	v_lshl_add_u32 v30, v30, 23, v58
	v_or3_b32 v32, v53, v30, v32
.LBB586_293:
	s_or_b64 exec, exec, s[10:11]
.LBB586_294:
	s_or_b64 exec, exec, s[8:9]
.LBB586_295:
	s_or_b64 exec, exec, s[2:3]
	s_mov_b32 s2, 0xffffff
	v_cmp_lt_u32_e32 vcc, s2, v33
	v_mov_b32_e32 v53, 0
	v_mov_b32_e32 v58, 0
	s_and_saveexec_b64 s[2:3], vcc
	s_cbranch_execz .LBB586_301
; %bb.296:
	v_lshrrev_b32_e32 v30, 24, v33
	s_movk_i32 s8, 0x80
	v_cmp_ne_u32_e32 vcc, s8, v30
	v_bfrev_b32_e32 v58, 1
	s_and_saveexec_b64 s[8:9], vcc
	s_cbranch_execz .LBB586_300
; %bb.297:
	v_bfe_u32 v33, v33, 24, 7
	s_movk_i32 s10, 0x7f
	v_cmp_ne_u32_e32 vcc, s10, v33
	v_mov_b32_e32 v58, 0x7f800001
	s_and_saveexec_b64 s[10:11], vcc
	s_cbranch_execz .LBB586_299
; %bb.298:
	v_and_b32_e32 v60, 7, v30
	v_ffbh_u32_e32 v58, v60
	v_min_u32_e32 v62, 32, v58
	v_subrev_u32_e32 v58, 28, v62
	v_lshlrev_b64 v[58:59], v58, v[30:31]
	v_lshrrev_b32_e32 v61, 3, v33
	v_sub_u32_e32 v59, 29, v62
	v_and_b32_e32 v58, 7, v58
	v_cmp_gt_u32_e32 vcc, 8, v33
	v_cndmask_b32_e32 v33, v61, v59, vcc
	v_cndmask_b32_e32 v58, v60, v58, vcc
	v_lshlrev_b32_e32 v30, 24, v30
	v_bfrev_b32_e32 v59, 60
	v_lshlrev_b32_e32 v58, 20, v58
	v_and_b32_e32 v30, 0x80000000, v30
	v_lshl_add_u32 v33, v33, 23, v59
	v_or3_b32 v58, v30, v33, v58
.LBB586_299:
	s_or_b64 exec, exec, s[10:11]
.LBB586_300:
	s_or_b64 exec, exec, s[8:9]
.LBB586_301:
	s_or_b64 exec, exec, s[2:3]
	v_cvt_pkrtz_f16_f32 v30, v52, v54
	v_cvt_pkrtz_f16_f32 v31, v31, v56
	v_cmp_ne_u16_sdwa s[8:9], v22, v53 src0_sel:BYTE_0 src1_sel:DWORD
	s_nop 0
	v_mfma_f32_16x16x16f16 v[42:45], v[30:31], v[18:19], v[42:45]
	v_cvt_pkrtz_f16_f32 v30, v55, v57
	v_cvt_pkrtz_f16_f32 v31, v32, v58
	s_nop 1
	v_mfma_f32_16x16x16f16 v[30:33], v[30:31], v[20:21], v[42:45]
	s_and_saveexec_b64 s[2:3], s[8:9]
	s_cbranch_execz .LBB586_307
; %bb.302:
	s_movk_i32 s8, 0x80
	v_cmp_ne_u16_sdwa s[10:11], v22, s8 src0_sel:BYTE_0 src1_sel:DWORD
	v_bfrev_b32_e32 v53, 1
	s_and_saveexec_b64 s[8:9], s[10:11]
	s_cbranch_execz .LBB586_306
; %bb.303:
	s_movk_i32 s10, 0x7f
	v_and_b32_e32 v42, 0x7f, v22
	v_cmp_ne_u32_e32 vcc, s10, v42
	v_mov_b32_e32 v53, 0x7f800001
	s_and_saveexec_b64 s[10:11], vcc
	s_cbranch_execz .LBB586_305
; %bb.304:
	v_and_b32_e32 v43, 7, v22
	v_ffbh_u32_e32 v44, v43
	v_min_u32_e32 v53, 32, v44
	v_subrev_u32_e32 v44, 28, v53
	v_lshlrev_b64 v[44:45], v44, v[22:23]
	v_lshrrev_b32_e32 v52, 3, v42
	v_sub_u32_e32 v45, 29, v53
	v_and_b32_e32 v44, 7, v44
	v_cmp_gt_u32_e32 vcc, 8, v42
	v_cndmask_b32_e32 v42, v52, v45, vcc
	v_cndmask_b32_e32 v43, v43, v44, vcc
	v_lshlrev_b32_e32 v44, 24, v22
	v_bfrev_b32_e32 v45, 60
	v_lshlrev_b32_e32 v43, 20, v43
	v_and_b32_e32 v44, 0x80000000, v44
	v_lshl_add_u32 v42, v42, 23, v45
	v_or3_b32 v53, v44, v42, v43
.LBB586_305:
	s_or_b64 exec, exec, s[10:11]
.LBB586_306:
	s_or_b64 exec, exec, s[8:9]
.LBB586_307:
	s_or_b64 exec, exec, s[2:3]
	s_nop 3
	v_lshrrev_b16_e32 v42, 8, v22
	v_cmp_ne_u16_e32 vcc, 0, v42
	v_mov_b32_e32 v43, 0
	v_mov_b32_e32 v44, 0
	s_and_saveexec_b64 s[2:3], vcc
	s_cbranch_execz .LBB586_313
; %bb.308:
	s_movk_i32 s8, 0x80
	v_cmp_ne_u16_e32 vcc, s8, v42
	v_bfrev_b32_e32 v44, 1
	s_and_saveexec_b64 s[8:9], vcc
	s_cbranch_execz .LBB586_312
; %bb.309:
	s_movk_i32 s10, 0x7f
	v_and_b32_e32 v45, 0x7f, v42
	v_cmp_ne_u32_e32 vcc, s10, v45
	v_mov_b32_e32 v44, 0x7f800001
	s_and_saveexec_b64 s[10:11], vcc
	s_cbranch_execz .LBB586_311
; %bb.310:
	v_and_b32_e32 v44, 7, v42
	v_ffbh_u32_e32 v54, v44
	v_min_u32_e32 v56, 32, v54
	v_subrev_u32_e32 v54, 28, v56
	v_lshlrev_b64 v[54:55], v54, v[42:43]
	v_lshrrev_b32_e32 v52, 3, v45
	v_sub_u32_e32 v42, 29, v56
	v_and_b32_e32 v54, 7, v54
	v_cmp_gt_u32_e32 vcc, 8, v45
	v_cndmask_b32_e32 v42, v52, v42, vcc
	v_cndmask_b32_e32 v44, v44, v54, vcc
	v_lshlrev_b32_e32 v45, 16, v22
	v_bfrev_b32_e32 v52, 60
	v_lshlrev_b32_e32 v44, 20, v44
	v_and_b32_e32 v45, 0x80000000, v45
	v_lshl_add_u32 v42, v42, 23, v52
	v_or3_b32 v44, v45, v42, v44
.LBB586_311:
	s_or_b64 exec, exec, s[10:11]
.LBB586_312:
	s_or_b64 exec, exec, s[8:9]
.LBB586_313:
	s_or_b64 exec, exec, s[2:3]
	s_movk_i32 s2, 0xff
	v_and_b32_sdwa v45, v22, s2 dst_sel:DWORD dst_unused:UNUSED_PAD src0_sel:WORD_1 src1_sel:DWORD
	v_lshrrev_b32_e32 v42, 16, v22
	v_cmp_ne_u16_e32 vcc, 0, v45
	s_and_saveexec_b64 s[2:3], vcc
	s_cbranch_execz .LBB586_319
; %bb.314:
	s_movk_i32 s8, 0x80
	v_cmp_ne_u16_e32 vcc, s8, v45
	v_bfrev_b32_e32 v43, 1
	s_and_saveexec_b64 s[8:9], vcc
	s_cbranch_execz .LBB586_318
; %bb.315:
	v_bfe_u32 v45, v22, 16, 7
	s_movk_i32 s10, 0x7f
	v_cmp_ne_u32_e32 vcc, s10, v45
	v_mov_b32_e32 v43, 0x7f800001
	s_and_saveexec_b64 s[10:11], vcc
	s_cbranch_execz .LBB586_317
; %bb.316:
	v_and_b32_e32 v52, 7, v42
	v_ffbh_u32_e32 v43, v52
	v_min_u32_e32 v55, 32, v43
	v_subrev_u32_e32 v43, 28, v55
	v_lshlrev_b64 v[42:43], v43, v[42:43]
	v_lshrrev_b32_e32 v54, 3, v45
	v_sub_u32_e32 v43, 29, v55
	v_and_b32_e32 v42, 7, v42
	v_cmp_gt_u32_e32 vcc, 8, v45
	v_mov_b32_e32 v45, 24
	v_cndmask_b32_e32 v43, v54, v43, vcc
	v_cndmask_b32_e32 v42, v52, v42, vcc
	v_lshlrev_b32_sdwa v45, v45, v22 dst_sel:DWORD dst_unused:UNUSED_PAD src0_sel:DWORD src1_sel:WORD_1
	v_bfrev_b32_e32 v52, 60
	v_lshlrev_b32_e32 v42, 20, v42
	v_and_b32_e32 v45, 0x80000000, v45
	v_lshl_add_u32 v43, v43, 23, v52
	v_or3_b32 v43, v45, v43, v42
.LBB586_317:
	s_or_b64 exec, exec, s[10:11]
.LBB586_318:
	s_or_b64 exec, exec, s[8:9]
.LBB586_319:
	s_or_b64 exec, exec, s[2:3]
	s_mov_b32 s2, 0xffffff
	v_cmp_lt_u32_e32 vcc, s2, v22
	v_mov_b32_e32 v45, 0
	v_mov_b32_e32 v52, 0
	s_and_saveexec_b64 s[2:3], vcc
	s_cbranch_execz .LBB586_325
; %bb.320:
	v_lshrrev_b32_e32 v42, 24, v22
	s_movk_i32 s8, 0x80
	v_cmp_ne_u32_e32 vcc, s8, v42
	v_bfrev_b32_e32 v52, 1
	s_and_saveexec_b64 s[8:9], vcc
	s_cbranch_execz .LBB586_324
; %bb.321:
	v_bfe_u32 v22, v22, 24, 7
	s_movk_i32 s10, 0x7f
	v_cmp_ne_u32_e32 vcc, s10, v22
	v_mov_b32_e32 v52, 0x7f800001
	s_and_saveexec_b64 s[10:11], vcc
	s_cbranch_execz .LBB586_323
; %bb.322:
	v_and_b32_e32 v52, 7, v42
	v_ffbh_u32_e32 v54, v52
	v_min_u32_e32 v57, 32, v54
	v_subrev_u32_e32 v54, 28, v57
	v_lshlrev_b64 v[54:55], v54, v[42:43]
	v_lshrrev_b32_e32 v56, 3, v22
	v_sub_u32_e32 v55, 29, v57
	v_and_b32_e32 v54, 7, v54
	v_cmp_gt_u32_e32 vcc, 8, v22
	v_cndmask_b32_e32 v22, v56, v55, vcc
	v_cndmask_b32_e32 v52, v52, v54, vcc
	v_lshlrev_b32_e32 v42, 24, v42
	v_bfrev_b32_e32 v54, 60
	v_lshlrev_b32_e32 v52, 20, v52
	v_and_b32_e32 v42, 0x80000000, v42
	v_lshl_add_u32 v22, v22, 23, v54
	v_or3_b32 v52, v42, v22, v52
.LBB586_323:
	s_or_b64 exec, exec, s[10:11]
.LBB586_324:
	s_or_b64 exec, exec, s[8:9]
.LBB586_325:
	s_or_b64 exec, exec, s[2:3]
	v_cmp_ne_u16_sdwa s[8:9], v23, v45 src0_sel:BYTE_0 src1_sel:DWORD
	s_and_saveexec_b64 s[2:3], s[8:9]
	s_cbranch_execz .LBB586_331
; %bb.326:
	s_movk_i32 s8, 0x80
	v_cmp_ne_u16_sdwa s[10:11], v23, s8 src0_sel:BYTE_0 src1_sel:DWORD
	v_bfrev_b32_e32 v45, 1
	s_and_saveexec_b64 s[8:9], s[10:11]
	s_cbranch_execz .LBB586_330
; %bb.327:
	s_movk_i32 s10, 0x7f
	v_and_b32_e32 v22, 0x7f, v23
	v_cmp_ne_u32_e32 vcc, s10, v22
	v_mov_b32_e32 v45, 0x7f800001
	s_and_saveexec_b64 s[10:11], vcc
	s_cbranch_execz .LBB586_329
; %bb.328:
	v_and_b32_e32 v45, 7, v23
	v_ffbh_u32_e32 v54, v45
	v_min_u32_e32 v57, 32, v54
	v_mov_b32_e32 v42, v23
	v_subrev_u32_e32 v54, 28, v57
	v_lshlrev_b64 v[54:55], v54, v[42:43]
	v_lshrrev_b32_e32 v56, 3, v22
	v_sub_u32_e32 v42, 29, v57
	v_and_b32_e32 v54, 7, v54
	v_cmp_gt_u32_e32 vcc, 8, v22
	v_cndmask_b32_e32 v22, v56, v42, vcc
	v_cndmask_b32_e32 v42, v45, v54, vcc
	v_lshlrev_b32_e32 v45, 24, v23
	v_bfrev_b32_e32 v54, 60
	v_lshlrev_b32_e32 v42, 20, v42
	v_and_b32_e32 v45, 0x80000000, v45
	v_lshl_add_u32 v22, v22, 23, v54
	v_or3_b32 v45, v45, v22, v42
.LBB586_329:
	s_or_b64 exec, exec, s[10:11]
.LBB586_330:
	s_or_b64 exec, exec, s[8:9]
.LBB586_331:
	s_or_b64 exec, exec, s[2:3]
	v_lshrrev_b16_e32 v22, 8, v23
	v_cmp_ne_u16_e32 vcc, 0, v22
	v_mov_b32_e32 v54, 0
	v_mov_b32_e32 v55, 0
	s_and_saveexec_b64 s[2:3], vcc
	s_cbranch_execz .LBB586_337
; %bb.332:
	s_movk_i32 s8, 0x80
	v_cmp_ne_u16_e32 vcc, s8, v22
	v_bfrev_b32_e32 v55, 1
	s_and_saveexec_b64 s[8:9], vcc
	s_cbranch_execz .LBB586_336
; %bb.333:
	s_movk_i32 s10, 0x7f
	v_and_b32_e32 v42, 0x7f, v22
	v_cmp_ne_u32_e32 vcc, s10, v42
	v_mov_b32_e32 v55, 0x7f800001
	s_and_saveexec_b64 s[10:11], vcc
	s_cbranch_execz .LBB586_335
; %bb.334:
	v_and_b32_e32 v55, 7, v22
	v_ffbh_u32_e32 v56, v55
	v_min_u32_e32 v59, 32, v56
	v_subrev_u32_e32 v56, 28, v59
	v_lshlrev_b64 v[56:57], v56, v[22:23]
	v_lshrrev_b32_e32 v58, 3, v42
	v_sub_u32_e32 v22, 29, v59
	v_and_b32_e32 v56, 7, v56
	v_cmp_gt_u32_e32 vcc, 8, v42
	v_cndmask_b32_e32 v22, v58, v22, vcc
	v_cndmask_b32_e32 v42, v55, v56, vcc
	v_lshlrev_b32_e32 v55, 16, v23
	v_bfrev_b32_e32 v56, 60
	v_lshlrev_b32_e32 v42, 20, v42
	v_and_b32_e32 v55, 0x80000000, v55
	v_lshl_add_u32 v22, v22, 23, v56
	v_or3_b32 v55, v55, v22, v42
.LBB586_335:
	s_or_b64 exec, exec, s[10:11]
.LBB586_336:
	s_or_b64 exec, exec, s[8:9]
.LBB586_337:
	s_or_b64 exec, exec, s[2:3]
	s_movk_i32 s2, 0xff
	v_and_b32_sdwa v42, v23, s2 dst_sel:DWORD dst_unused:UNUSED_PAD src0_sel:WORD_1 src1_sel:DWORD
	v_lshrrev_b32_e32 v22, 16, v23
	v_cmp_ne_u16_e32 vcc, 0, v42
	s_and_saveexec_b64 s[2:3], vcc
	s_cbranch_execz .LBB586_343
; %bb.338:
	s_movk_i32 s8, 0x80
	v_cmp_ne_u16_e32 vcc, s8, v42
	v_bfrev_b32_e32 v54, 1
	s_and_saveexec_b64 s[8:9], vcc
	s_cbranch_execz .LBB586_342
; %bb.339:
	v_bfe_u32 v42, v23, 16, 7
	s_movk_i32 s10, 0x7f
	v_cmp_ne_u32_e32 vcc, s10, v42
	v_mov_b32_e32 v54, 0x7f800001
	s_and_saveexec_b64 s[10:11], vcc
	s_cbranch_execz .LBB586_341
; %bb.340:
	v_and_b32_e32 v54, 7, v22
	v_ffbh_u32_e32 v56, v54
	v_min_u32_e32 v59, 32, v56
	v_subrev_u32_e32 v56, 28, v59
	v_lshlrev_b64 v[56:57], v56, v[22:23]
	v_and_b32_e32 v56, 7, v56
	v_cmp_gt_u32_e32 vcc, 8, v42
	v_lshrrev_b32_e32 v58, 3, v42
	v_sub_u32_e32 v22, 29, v59
	v_cndmask_b32_e32 v42, v54, v56, vcc
	v_mov_b32_e32 v54, 24
	v_cndmask_b32_e32 v22, v58, v22, vcc
	v_lshlrev_b32_sdwa v54, v54, v23 dst_sel:DWORD dst_unused:UNUSED_PAD src0_sel:DWORD src1_sel:WORD_1
	v_bfrev_b32_e32 v56, 60
	v_lshlrev_b32_e32 v42, 20, v42
	v_and_b32_e32 v54, 0x80000000, v54
	v_lshl_add_u32 v22, v22, 23, v56
	v_or3_b32 v54, v54, v22, v42
.LBB586_341:
	s_or_b64 exec, exec, s[10:11]
.LBB586_342:
	s_or_b64 exec, exec, s[8:9]
.LBB586_343:
	s_or_b64 exec, exec, s[2:3]
	s_mov_b32 s2, 0xffffff
	v_cmp_lt_u32_e32 vcc, s2, v23
	v_mov_b32_e32 v42, 0
	v_mov_b32_e32 v56, 0
	s_and_saveexec_b64 s[2:3], vcc
	s_cbranch_execz .LBB586_349
; %bb.344:
	v_lshrrev_b32_e32 v22, 24, v23
	s_movk_i32 s8, 0x80
	v_cmp_ne_u32_e32 vcc, s8, v22
	v_bfrev_b32_e32 v56, 1
	s_and_saveexec_b64 s[8:9], vcc
	s_cbranch_execz .LBB586_348
; %bb.345:
	v_bfe_u32 v23, v23, 24, 7
	s_movk_i32 s10, 0x7f
	v_cmp_ne_u32_e32 vcc, s10, v23
	v_mov_b32_e32 v56, 0x7f800001
	s_and_saveexec_b64 s[10:11], vcc
	s_cbranch_execz .LBB586_347
; %bb.346:
	v_and_b32_e32 v58, 7, v22
	v_ffbh_u32_e32 v56, v58
	v_min_u32_e32 v60, 32, v56
	v_subrev_u32_e32 v56, 28, v60
	v_lshlrev_b64 v[56:57], v56, v[22:23]
	v_lshrrev_b32_e32 v59, 3, v23
	v_sub_u32_e32 v57, 29, v60
	v_and_b32_e32 v56, 7, v56
	v_cmp_gt_u32_e32 vcc, 8, v23
	v_cndmask_b32_e32 v23, v59, v57, vcc
	v_cndmask_b32_e32 v56, v58, v56, vcc
	v_lshlrev_b32_e32 v22, 24, v22
	v_bfrev_b32_e32 v57, 60
	v_lshlrev_b32_e32 v56, 20, v56
	v_and_b32_e32 v22, 0x80000000, v22
	v_lshl_add_u32 v23, v23, 23, v57
	v_or3_b32 v56, v22, v23, v56
.LBB586_347:
	s_or_b64 exec, exec, s[10:11]
.LBB586_348:
	s_or_b64 exec, exec, s[8:9]
.LBB586_349:
	s_or_b64 exec, exec, s[2:3]
	v_cvt_pkrtz_f16_f32 v22, v53, v44
	v_cvt_pkrtz_f16_f32 v23, v43, v52
	v_cmp_ne_u16_sdwa s[8:9], v24, v42 src0_sel:BYTE_0 src1_sel:DWORD
	s_nop 0
	v_mfma_f32_16x16x16f16 v[58:61], v[22:23], v[26:27], 0
	v_cvt_pkrtz_f16_f32 v22, v45, v55
	v_cvt_pkrtz_f16_f32 v23, v54, v56
	s_nop 1
	v_mfma_f32_16x16x16f16 v[26:29], v[22:23], v[28:29], v[58:61]
	s_and_saveexec_b64 s[2:3], s[8:9]
	s_cbranch_execz .LBB586_355
; %bb.350:
	s_movk_i32 s8, 0x80
	v_cmp_ne_u16_sdwa s[10:11], v24, s8 src0_sel:BYTE_0 src1_sel:DWORD
	v_bfrev_b32_e32 v42, 1
	s_and_saveexec_b64 s[8:9], s[10:11]
	s_cbranch_execz .LBB586_354
; %bb.351:
	s_movk_i32 s10, 0x7f
	v_and_b32_e32 v22, 0x7f, v24
	v_cmp_ne_u32_e32 vcc, s10, v22
	v_mov_b32_e32 v42, 0x7f800001
	s_and_saveexec_b64 s[10:11], vcc
	s_cbranch_execz .LBB586_353
; %bb.352:
	v_and_b32_e32 v23, 7, v24
	v_ffbh_u32_e32 v42, v23
	v_min_u32_e32 v45, 32, v42
	v_subrev_u32_e32 v42, 28, v45
	v_lshlrev_b64 v[42:43], v42, v[24:25]
	v_lshrrev_b32_e32 v44, 3, v22
	v_sub_u32_e32 v43, 29, v45
	v_and_b32_e32 v42, 7, v42
	v_cmp_gt_u32_e32 vcc, 8, v22
	v_cndmask_b32_e32 v22, v44, v43, vcc
	v_cndmask_b32_e32 v23, v23, v42, vcc
	v_lshlrev_b32_e32 v42, 24, v24
	v_bfrev_b32_e32 v43, 60
	v_lshlrev_b32_e32 v23, 20, v23
	v_and_b32_e32 v42, 0x80000000, v42
	v_lshl_add_u32 v22, v22, 23, v43
	v_or3_b32 v42, v42, v22, v23
.LBB586_353:
	s_or_b64 exec, exec, s[10:11]
.LBB586_354:
	s_or_b64 exec, exec, s[8:9]
.LBB586_355:
	s_or_b64 exec, exec, s[2:3]
	v_lshrrev_b16_e32 v22, 8, v24
	v_cmp_ne_u16_e32 vcc, 0, v22
	v_mov_b32_e32 v23, 0
	v_mov_b32_e32 v43, 0
	s_and_saveexec_b64 s[2:3], vcc
	s_cbranch_execz .LBB586_361
; %bb.356:
	s_movk_i32 s8, 0x80
	v_cmp_ne_u16_e32 vcc, s8, v22
	v_bfrev_b32_e32 v43, 1
	s_and_saveexec_b64 s[8:9], vcc
	s_cbranch_execz .LBB586_360
; %bb.357:
	s_movk_i32 s10, 0x7f
	v_and_b32_e32 v44, 0x7f, v22
	v_cmp_ne_u32_e32 vcc, s10, v44
	v_mov_b32_e32 v43, 0x7f800001
	s_and_saveexec_b64 s[10:11], vcc
	s_cbranch_execz .LBB586_359
; %bb.358:
	v_and_b32_e32 v43, 7, v22
	v_ffbh_u32_e32 v52, v43
	v_min_u32_e32 v54, 32, v52
	v_subrev_u32_e32 v52, 28, v54
	v_lshlrev_b64 v[52:53], v52, v[22:23]
	v_lshrrev_b32_e32 v45, 3, v44
	v_sub_u32_e32 v22, 29, v54
	v_and_b32_e32 v52, 7, v52
	v_cmp_gt_u32_e32 vcc, 8, v44
	v_cndmask_b32_e32 v22, v45, v22, vcc
	v_cndmask_b32_e32 v43, v43, v52, vcc
	v_lshlrev_b32_e32 v44, 16, v24
	v_bfrev_b32_e32 v45, 60
	v_lshlrev_b32_e32 v43, 20, v43
	v_and_b32_e32 v44, 0x80000000, v44
	v_lshl_add_u32 v22, v22, 23, v45
	v_or3_b32 v43, v44, v22, v43
.LBB586_359:
	s_or_b64 exec, exec, s[10:11]
.LBB586_360:
	s_or_b64 exec, exec, s[8:9]
.LBB586_361:
	s_or_b64 exec, exec, s[2:3]
	s_movk_i32 s2, 0xff
	v_and_b32_sdwa v44, v24, s2 dst_sel:DWORD dst_unused:UNUSED_PAD src0_sel:WORD_1 src1_sel:DWORD
	v_lshrrev_b32_e32 v22, 16, v24
	v_cmp_ne_u16_e32 vcc, 0, v44
	s_and_saveexec_b64 s[2:3], vcc
	s_cbranch_execz .LBB586_367
; %bb.362:
	s_movk_i32 s8, 0x80
	v_cmp_ne_u16_e32 vcc, s8, v44
	v_bfrev_b32_e32 v23, 1
	s_and_saveexec_b64 s[8:9], vcc
	s_cbranch_execz .LBB586_366
; %bb.363:
	v_bfe_u32 v44, v24, 16, 7
	s_movk_i32 s10, 0x7f
	v_cmp_ne_u32_e32 vcc, s10, v44
	v_mov_b32_e32 v23, 0x7f800001
	s_and_saveexec_b64 s[10:11], vcc
	s_cbranch_execz .LBB586_365
; %bb.364:
	v_and_b32_e32 v45, 7, v22
	v_ffbh_u32_e32 v23, v45
	v_min_u32_e32 v53, 32, v23
	v_subrev_u32_e32 v23, 28, v53
	v_lshlrev_b64 v[22:23], v23, v[22:23]
	v_lshrrev_b32_e32 v52, 3, v44
	v_sub_u32_e32 v23, 29, v53
	v_and_b32_e32 v22, 7, v22
	v_cmp_gt_u32_e32 vcc, 8, v44
	v_mov_b32_e32 v44, 24
	v_cndmask_b32_e32 v23, v52, v23, vcc
	v_cndmask_b32_e32 v22, v45, v22, vcc
	v_lshlrev_b32_sdwa v44, v44, v24 dst_sel:DWORD dst_unused:UNUSED_PAD src0_sel:DWORD src1_sel:WORD_1
	v_bfrev_b32_e32 v45, 60
	v_lshlrev_b32_e32 v22, 20, v22
	v_and_b32_e32 v44, 0x80000000, v44
	v_lshl_add_u32 v23, v23, 23, v45
	v_or3_b32 v23, v44, v23, v22
.LBB586_365:
	s_or_b64 exec, exec, s[10:11]
.LBB586_366:
	s_or_b64 exec, exec, s[8:9]
.LBB586_367:
	s_or_b64 exec, exec, s[2:3]
	s_mov_b32 s2, 0xffffff
	v_cmp_lt_u32_e32 vcc, s2, v24
	v_mov_b32_e32 v45, 0
	v_mov_b32_e32 v52, 0
	s_and_saveexec_b64 s[2:3], vcc
	s_cbranch_execz .LBB586_373
; %bb.368:
	v_lshrrev_b32_e32 v22, 24, v24
	s_movk_i32 s8, 0x80
	v_cmp_ne_u32_e32 vcc, s8, v22
	v_bfrev_b32_e32 v52, 1
	s_and_saveexec_b64 s[8:9], vcc
	s_cbranch_execz .LBB586_372
; %bb.369:
	v_bfe_u32 v24, v24, 24, 7
	s_movk_i32 s10, 0x7f
	v_cmp_ne_u32_e32 vcc, s10, v24
	v_mov_b32_e32 v52, 0x7f800001
	s_and_saveexec_b64 s[10:11], vcc
	s_cbranch_execz .LBB586_371
; %bb.370:
	v_and_b32_e32 v44, 7, v22
	v_ffbh_u32_e32 v52, v44
	v_min_u32_e32 v55, 32, v52
	v_subrev_u32_e32 v52, 28, v55
	v_lshlrev_b64 v[52:53], v52, v[22:23]
	v_lshrrev_b32_e32 v54, 3, v24
	v_sub_u32_e32 v53, 29, v55
	v_and_b32_e32 v52, 7, v52
	v_cmp_gt_u32_e32 vcc, 8, v24
	v_cndmask_b32_e32 v24, v54, v53, vcc
	v_cndmask_b32_e32 v44, v44, v52, vcc
	v_lshlrev_b32_e32 v22, 24, v22
	v_bfrev_b32_e32 v52, 60
	v_lshlrev_b32_e32 v44, 20, v44
	v_and_b32_e32 v22, 0x80000000, v22
	v_lshl_add_u32 v24, v24, 23, v52
	v_or3_b32 v52, v22, v24, v44
.LBB586_371:
	s_or_b64 exec, exec, s[10:11]
.LBB586_372:
	s_or_b64 exec, exec, s[8:9]
.LBB586_373:
	s_or_b64 exec, exec, s[2:3]
	v_cmp_ne_u16_sdwa s[8:9], v25, v45 src0_sel:BYTE_0 src1_sel:DWORD
	s_and_saveexec_b64 s[2:3], s[8:9]
	s_cbranch_execz .LBB586_379
; %bb.374:
	s_movk_i32 s8, 0x80
	v_cmp_ne_u16_sdwa s[10:11], v25, s8 src0_sel:BYTE_0 src1_sel:DWORD
	v_bfrev_b32_e32 v45, 1
	s_and_saveexec_b64 s[8:9], s[10:11]
	s_cbranch_execz .LBB586_378
; %bb.375:
	s_movk_i32 s10, 0x7f
	v_and_b32_e32 v22, 0x7f, v25
	v_cmp_ne_u32_e32 vcc, s10, v22
	v_mov_b32_e32 v45, 0x7f800001
	s_and_saveexec_b64 s[10:11], vcc
	s_cbranch_execz .LBB586_377
; %bb.376:
	v_and_b32_e32 v53, 7, v25
	v_ffbh_u32_e32 v44, v53
	v_min_u32_e32 v55, 32, v44
	v_mov_b32_e32 v24, v25
	v_subrev_u32_e32 v44, 28, v55
	v_lshlrev_b64 v[44:45], v44, v[24:25]
	v_lshrrev_b32_e32 v54, 3, v22
	v_sub_u32_e32 v24, 29, v55
	v_and_b32_e32 v44, 7, v44
	v_cmp_gt_u32_e32 vcc, 8, v22
	v_cndmask_b32_e32 v22, v54, v24, vcc
	v_cndmask_b32_e32 v24, v53, v44, vcc
	v_lshlrev_b32_e32 v44, 24, v25
	v_bfrev_b32_e32 v45, 60
	v_lshlrev_b32_e32 v24, 20, v24
	v_and_b32_e32 v44, 0x80000000, v44
	v_lshl_add_u32 v22, v22, 23, v45
	v_or3_b32 v45, v44, v22, v24
.LBB586_377:
	s_or_b64 exec, exec, s[10:11]
.LBB586_378:
	s_or_b64 exec, exec, s[8:9]
.LBB586_379:
	s_or_b64 exec, exec, s[2:3]
	v_lshrrev_b16_e32 v22, 8, v25
	v_cmp_ne_u16_e32 vcc, 0, v22
	v_mov_b32_e32 v53, 0
	v_mov_b32_e32 v54, 0
	s_and_saveexec_b64 s[2:3], vcc
	s_cbranch_execz .LBB586_385
; %bb.380:
	s_movk_i32 s8, 0x80
	v_cmp_ne_u16_e32 vcc, s8, v22
	v_bfrev_b32_e32 v54, 1
	s_and_saveexec_b64 s[8:9], vcc
	s_cbranch_execz .LBB586_384
; %bb.381:
	s_movk_i32 s10, 0x7f
	v_and_b32_e32 v24, 0x7f, v22
	v_cmp_ne_u32_e32 vcc, s10, v24
	v_mov_b32_e32 v54, 0x7f800001
	s_and_saveexec_b64 s[10:11], vcc
	s_cbranch_execz .LBB586_383
; %bb.382:
	v_and_b32_e32 v44, 7, v22
	v_ffbh_u32_e32 v54, v44
	v_min_u32_e32 v57, 32, v54
	v_subrev_u32_e32 v54, 28, v57
	v_lshlrev_b64 v[54:55], v54, v[22:23]
	v_lshrrev_b32_e32 v56, 3, v24
	v_sub_u32_e32 v22, 29, v57
	v_and_b32_e32 v54, 7, v54
	v_cmp_gt_u32_e32 vcc, 8, v24
	v_cndmask_b32_e32 v22, v56, v22, vcc
	v_cndmask_b32_e32 v24, v44, v54, vcc
	v_lshlrev_b32_e32 v44, 16, v25
	v_bfrev_b32_e32 v54, 60
	v_lshlrev_b32_e32 v24, 20, v24
	v_and_b32_e32 v44, 0x80000000, v44
	v_lshl_add_u32 v22, v22, 23, v54
	v_or3_b32 v54, v44, v22, v24
.LBB586_383:
	s_or_b64 exec, exec, s[10:11]
.LBB586_384:
	s_or_b64 exec, exec, s[8:9]
.LBB586_385:
	s_or_b64 exec, exec, s[2:3]
	s_movk_i32 s2, 0xff
	v_and_b32_sdwa v24, v25, s2 dst_sel:DWORD dst_unused:UNUSED_PAD src0_sel:WORD_1 src1_sel:DWORD
	v_lshrrev_b32_e32 v22, 16, v25
	v_cmp_ne_u16_e32 vcc, 0, v24
	s_and_saveexec_b64 s[2:3], vcc
	s_cbranch_execz .LBB586_391
; %bb.386:
	s_movk_i32 s8, 0x80
	v_cmp_ne_u16_e32 vcc, s8, v24
	v_bfrev_b32_e32 v53, 1
	s_and_saveexec_b64 s[8:9], vcc
	s_cbranch_execz .LBB586_390
; %bb.387:
	v_bfe_u32 v24, v25, 16, 7
	s_movk_i32 s10, 0x7f
	v_cmp_ne_u32_e32 vcc, s10, v24
	v_mov_b32_e32 v53, 0x7f800001
	s_and_saveexec_b64 s[10:11], vcc
	s_cbranch_execz .LBB586_389
; %bb.388:
	v_and_b32_e32 v44, 7, v22
	v_ffbh_u32_e32 v55, v44
	v_min_u32_e32 v55, 32, v55
	v_subrev_u32_e32 v56, 28, v55
	v_lshlrev_b64 v[56:57], v56, v[22:23]
	v_sub_u32_e32 v22, 29, v55
	v_and_b32_e32 v55, 7, v56
	v_cmp_gt_u32_e32 vcc, 8, v24
	v_lshrrev_b32_e32 v53, 3, v24
	v_cndmask_b32_e32 v24, v44, v55, vcc
	v_mov_b32_e32 v44, 24
	v_cndmask_b32_e32 v22, v53, v22, vcc
	v_lshlrev_b32_sdwa v44, v44, v25 dst_sel:DWORD dst_unused:UNUSED_PAD src0_sel:DWORD src1_sel:WORD_1
	v_bfrev_b32_e32 v53, 60
	v_lshlrev_b32_e32 v24, 20, v24
	v_and_b32_e32 v44, 0x80000000, v44
	v_lshl_add_u32 v22, v22, 23, v53
	v_or3_b32 v53, v44, v22, v24
.LBB586_389:
	s_or_b64 exec, exec, s[10:11]
.LBB586_390:
	s_or_b64 exec, exec, s[8:9]
.LBB586_391:
	s_or_b64 exec, exec, s[2:3]
	s_mov_b32 s2, 0xffffff
	v_and_b32_e32 v44, 63, v0
	v_cmp_lt_u32_e32 vcc, s2, v25
	v_mov_b32_e32 v55, 0
	s_and_saveexec_b64 s[2:3], vcc
	s_cbranch_execz .LBB586_397
; %bb.392:
	v_lshrrev_b32_e32 v22, 24, v25
	s_movk_i32 s8, 0x80
	v_cmp_ne_u32_e32 vcc, s8, v22
	v_bfrev_b32_e32 v55, 1
	s_and_saveexec_b64 s[8:9], vcc
	s_cbranch_execz .LBB586_396
; %bb.393:
	v_bfe_u32 v24, v25, 24, 7
	s_movk_i32 s10, 0x7f
	v_cmp_ne_u32_e32 vcc, s10, v24
	v_mov_b32_e32 v55, 0x7f800001
	s_and_saveexec_b64 s[10:11], vcc
	s_cbranch_execz .LBB586_395
; %bb.394:
	v_and_b32_e32 v25, 7, v22
	v_ffbh_u32_e32 v56, v25
	v_min_u32_e32 v58, 32, v56
	v_subrev_u32_e32 v56, 28, v58
	v_lshlrev_b64 v[56:57], v56, v[22:23]
	v_lshrrev_b32_e32 v55, 3, v24
	v_sub_u32_e32 v57, 29, v58
	v_and_b32_e32 v56, 7, v56
	v_cmp_gt_u32_e32 vcc, 8, v24
	v_cndmask_b32_e32 v24, v55, v57, vcc
	v_cndmask_b32_e32 v25, v25, v56, vcc
	v_lshlrev_b32_e32 v22, 24, v22
	v_bfrev_b32_e32 v55, 60
	v_lshlrev_b32_e32 v25, 20, v25
	v_and_b32_e32 v22, 0x80000000, v22
	v_lshl_add_u32 v24, v24, 23, v55
	v_or3_b32 v55, v22, v24, v25
.LBB586_395:
	s_or_b64 exec, exec, s[10:11]
.LBB586_396:
	s_or_b64 exec, exec, s[8:9]
.LBB586_397:
	s_or_b64 exec, exec, s[2:3]
	v_cvt_pkrtz_f16_f32 v42, v42, v43
	v_cvt_pkrtz_f16_f32 v43, v23, v52
	s_load_dword s2, s[4:5], 0x1c
	s_mov_b32 s46, 0xff7fffff
	s_waitcnt lgkmcnt(0)
	v_mfma_f32_16x16x16f16 v[26:29], v[42:43], v[18:19], v[26:29]
	v_cvt_pkrtz_f16_f32 v18, v45, v54
	v_cvt_pkrtz_f16_f32 v19, v53, v55
	v_mov_b32_e32 v22, s2
	v_mul_f32_e32 v52, s12, v22
	v_pk_mul_f32 v[22:23], v[52:53], v[32:33] op_sel_hi:[0,1]
	v_pk_mul_f32 v[32:33], v[52:53], v[38:39] op_sel_hi:[0,1]
	v_and_b32_e32 v38, 0xc0, v0
	v_mfma_f32_16x16x16f16 v[26:29], v[18:19], v[20:21], v[26:29]
	v_add_u32_e32 v38, s18, v38
	v_lshl_or_b32 v38, v1, 2, v38
	v_or_b32_e32 v39, 1, v38
	v_pk_mul_f32 v[24:25], v[52:53], v[30:31] op_sel_hi:[0,1]
	v_pk_mul_f32 v[30:31], v[52:53], v[40:41] op_sel_hi:[0,1]
	v_subrev_u32_e32 v40, s33, v39
	v_pk_mul_f32 v[34:35], v[52:53], v[34:35] op_sel_hi:[0,1]
	s_nop 3
	v_pk_mul_f32 v[20:21], v[52:53], v[26:27] op_sel_hi:[0,1]
	v_add_u32_e32 v27, 1, v40
	v_pk_mul_f32 v[18:19], v[52:53], v[28:29] op_sel_hi:[0,1]
	v_cvt_f32_i32_e32 v27, v27
	v_add_u32_e32 v29, 3, v40
	v_cvt_f32_i32_e32 v29, v29
	v_cvt_f32_i32_e32 v26, v40
	v_pk_mul_f32 v[36:37], v[52:53], v[36:37] op_sel_hi:[0,1]
	v_fmac_f32_e32 v35, v51, v27
	v_add_u32_e32 v27, 16, v40
	v_fmac_f32_e32 v37, v51, v29
	v_cvt_f32_i32_e32 v27, v27
	v_add_u32_e32 v29, 17, v40
	v_fma_f32 v26, v51, v26, v34
	v_cvt_f32_i32_e32 v29, v29
	v_add_u32_e32 v34, 18, v40
	v_cvt_f32_i32_e32 v34, v34
	v_fma_f32 v41, v51, v27, v32
	v_add_u32_e32 v27, 32, v40
	v_fmac_f32_e32 v33, v51, v29
	v_cvt_f32_i32_e32 v27, v27
	v_add_u32_e32 v29, 33, v40
	v_add_u32_e32 v32, 34, v40
	v_fma_f32 v30, v51, v34, v30
	v_cvt_f32_i32_e32 v29, v29
	v_cvt_f32_i32_e32 v32, v32
	v_add_u32_e32 v34, 35, v40
	v_cvt_f32_i32_e32 v34, v34
	v_fma_f32 v24, v51, v27, v24
	v_add_u32_e32 v27, 48, v40
	v_fmac_f32_e32 v25, v51, v29
	v_fma_f32 v22, v51, v32, v22
	v_cvt_f32_i32_e32 v27, v27
	v_add_u32_e32 v29, 49, v40
	v_add_u32_e32 v32, 50, v40
	v_fmac_f32_e32 v23, v51, v34
	v_cvt_f32_i32_e32 v29, v29
	v_cvt_f32_i32_e32 v32, v32
	v_add_u32_e32 v34, 51, v40
	v_add_u32_e32 v28, 2, v40
	v_cvt_f32_i32_e32 v34, v34
	v_cvt_f32_i32_e32 v28, v28
	v_fma_f32 v20, v51, v27, v20
	v_mov_b32_e32 v27, 0xff7fffff
	v_cmp_gt_i32_e64 s[26:27], s33, v38
	v_cmp_gt_i32_e64 s[28:29], s33, v39
	v_fmac_f32_e32 v21, v51, v29
	v_fma_f32 v18, v51, v32, v18
	v_cndmask_b32_e64 v29, v27, v26, s[26:27]
	v_cndmask_b32_e64 v32, v27, v35, s[28:29]
	v_fmac_f32_e32 v19, v51, v34
	v_max3_f32 v29, v29, s46, v32
	v_or_b32_e32 v32, 2, v38
	v_or_b32_e32 v34, 3, v38
	v_fma_f32 v28, v51, v28, v36
	v_cmp_gt_i32_e64 s[30:31], s33, v32
	v_cmp_gt_i32_e64 s[34:35], s33, v34
	v_add_u32_e32 v36, 19, v40
	v_cndmask_b32_e64 v32, v27, v28, s[30:31]
	v_cndmask_b32_e64 v34, v27, v37, s[34:35]
	v_cvt_f32_i32_e32 v36, v36
	v_max3_f32 v29, v29, v32, v34
	v_or_b32_e32 v32, 16, v38
	v_or_b32_e32 v34, 17, v38
	v_cmp_gt_i32_e64 s[36:37], s33, v32
	v_cmp_gt_i32_e64 s[38:39], s33, v34
	v_cndmask_b32_e64 v32, v27, v41, s[36:37]
	v_cndmask_b32_e64 v34, v27, v33, s[38:39]
	v_max3_f32 v29, v29, v32, v34
	v_or_b32_e32 v32, 18, v38
	v_or_b32_e32 v34, 19, v38
	v_fmac_f32_e32 v31, v51, v36
	v_cmp_gt_i32_e64 s[20:21], s33, v32
	v_cmp_gt_i32_e64 s[22:23], s33, v34
	v_cndmask_b32_e64 v32, v27, v30, s[20:21]
	v_cndmask_b32_e64 v34, v27, v31, s[22:23]
	v_max3_f32 v29, v29, v32, v34
	v_or_b32_e32 v32, 32, v38
	v_or_b32_e32 v34, 33, v38
	v_cmp_gt_i32_e64 s[16:17], s33, v32
	v_cmp_gt_i32_e64 s[18:19], s33, v34
	v_cndmask_b32_e64 v32, v27, v24, s[16:17]
	v_cndmask_b32_e64 v34, v27, v25, s[18:19]
	v_max3_f32 v29, v29, v32, v34
	v_or_b32_e32 v32, 34, v38
	v_or_b32_e32 v34, 35, v38
	;; [unrolled: 7-line block ×4, first 2 shown]
	v_cmp_gt_i32_e32 vcc, s33, v32
	v_cmp_gt_i32_e64 s[2:3], s33, v34
	v_cndmask_b32_e32 v32, v27, v18, vcc
	v_cndmask_b32_e64 v27, v27, v19, s[2:3]
	v_max3_f32 v27, v29, v32, v27
	v_mbcnt_lo_u32_b32 v29, -1, 0
	v_mbcnt_hi_u32_b32 v29, -1, v29
	v_and_b32_e32 v32, 64, v29
	v_add_u32_e32 v32, 64, v32
	v_xor_b32_e32 v34, 32, v29
	v_cmp_lt_i32_e64 s[40:41], v34, v32
	v_cndmask_b32_e64 v34, v29, v34, s[40:41]
	v_lshlrev_b32_e32 v36, 2, v34
	ds_bpermute_b32 v34, v36, v27
	s_barrier
	s_waitcnt lgkmcnt(0)
	v_max_f32_e32 v34, v34, v34
	v_max_f32_e32 v27, v27, v34
	v_xor_b32_e32 v34, 16, v29
	v_cmp_lt_i32_e64 s[40:41], v34, v32
	v_cndmask_b32_e64 v29, v29, v34, s[40:41]
	v_lshlrev_b32_e32 v38, 2, v29
	ds_bpermute_b32 v29, v38, v27
	s_waitcnt lgkmcnt(0)
	v_max_f32_e32 v29, v29, v29
	v_max_f32_e32 v32, v27, v29
	v_sub_f32_e32 v26, v26, v32
	v_mul_f32_e32 v26, 0x3fb8aa3b, v26
	v_sub_f32_e32 v27, v35, v32
	v_exp_f32_e32 v26, v26
	v_mul_f32_e32 v27, 0x3fb8aa3b, v27
	v_sub_f32_e32 v28, v28, v32
	v_exp_f32_e32 v27, v27
	v_mul_f32_e32 v28, 0x3fb8aa3b, v28
	v_exp_f32_e32 v28, v28
	v_cndmask_b32_e64 v26, 0, v26, s[26:27]
	v_sub_f32_e32 v34, v37, v32
	v_add_f32_e32 v29, 0, v26
	v_cndmask_b32_e64 v27, 0, v27, s[28:29]
	v_mul_f32_e32 v34, 0x3fb8aa3b, v34
	v_exp_f32_e32 v35, v34
	v_add_f32_e32 v29, v29, v27
	v_cndmask_b32_e64 v34, 0, v28, s[30:31]
	v_add_f32_e32 v28, v29, v34
	v_sub_f32_e32 v29, v41, v32
	v_mul_f32_e32 v29, 0x3fb8aa3b, v29
	v_sub_f32_e32 v33, v33, v32
	v_exp_f32_e32 v29, v29
	v_mul_f32_e32 v33, 0x3fb8aa3b, v33
	v_sub_f32_e32 v30, v30, v32
	v_exp_f32_e32 v33, v33
	;; [unrolled: 3-line block ×3, first 2 shown]
	v_mul_f32_e32 v31, 0x3fb8aa3b, v31
	v_sub_f32_e32 v24, v24, v32
	v_cndmask_b32_e64 v35, 0, v35, s[34:35]
	v_exp_f32_e32 v31, v31
	v_mul_f32_e32 v24, 0x3fb8aa3b, v24
	v_sub_f32_e32 v25, v25, v32
	v_add_f32_e32 v37, v28, v35
	v_cndmask_b32_e64 v28, 0, v29, s[36:37]
	v_exp_f32_e32 v24, v24
	v_mul_f32_e32 v25, 0x3fb8aa3b, v25
	v_sub_f32_e32 v22, v22, v32
	v_add_f32_e32 v37, v37, v28
	;; [unrolled: 5-line block ×7, first 2 shown]
	v_cndmask_b32_e64 v22, 0, v22, s[12:13]
	v_exp_f32_e32 v18, v18
	v_mul_f32_e32 v19, 0x3fb8aa3b, v19
	v_add_f32_e32 v33, v33, v22
	v_cndmask_b32_e64 v23, 0, v23, s[14:15]
	v_exp_f32_e32 v19, v19
	v_add_f32_e32 v33, v33, v23
	v_cndmask_b32_e64 v20, 0, v20, s[8:9]
	v_add_f32_e32 v33, v33, v20
	v_cndmask_b32_e64 v21, 0, v21, s[10:11]
	v_add_f32_e32 v33, v33, v21
	v_cndmask_b32_e32 v18, 0, v18, vcc
	v_add_f32_e32 v33, v33, v18
	v_cndmask_b32_e64 v19, 0, v19, s[2:3]
	v_add_f32_e32 v33, v33, v19
	ds_bpermute_b32 v36, v36, v33
	v_cmp_gt_u32_e64 s[2:3], 16, v44
	s_waitcnt lgkmcnt(0)
	v_add_f32_e32 v33, v33, v36
	ds_bpermute_b32 v37, v38, v33
	v_lshlrev_b32_e32 v36, 2, v49
	s_and_saveexec_b64 s[8:9], s[2:3]
	s_cbranch_execz .LBB586_399
; %bb.398:
	s_waitcnt lgkmcnt(0)
	v_add_f32_e32 v33, v33, v37
	v_lshl_or_b32 v37, v50, 6, v36
	ds_write2st64_b32 v37, v32, v33 offset1:1
.LBB586_399:
	s_or_b64 exec, exec, s[8:9]
	s_waitcnt lgkmcnt(0)
	s_barrier
	ds_read2_b32 v[38:39], v36 offset1:16
	ds_read2_b32 v[40:41], v36 offset0:32 offset1:48
	ds_read2_b32 v[42:43], v36 offset0:64 offset1:80
	s_mul_i32 s14, s45, 13
	s_waitcnt lgkmcnt(2)
	v_max3_f32 v32, v38, s46, v39
	s_waitcnt lgkmcnt(1)
	v_max3_f32 v33, v32, v40, v41
	v_sub_f32_e32 v32, v38, v33
	v_mul_f32_e32 v32, 0x3fb8aa3b, v32
	v_exp_f32_e32 v37, v32
	v_sub_f32_e32 v32, v39, v33
	v_mul_f32_e32 v32, 0x3fb8aa3b, v32
	v_exp_f32_e32 v44, v32
	;; [unrolled: 3-line block ×3, first 2 shown]
	ds_read2_b32 v[38:39], v36 offset0:96 offset1:112
	v_sub_f32_e32 v32, v41, v33
	v_mul_f32_e32 v32, 0x3fb8aa3b, v32
	v_exp_f32_e32 v41, v32
	s_waitcnt lgkmcnt(1)
	v_fma_f32 v36, v37, v42, 0
	v_fmac_f32_e32 v36, v44, v43
	s_waitcnt lgkmcnt(0)
	v_fmac_f32_e32 v36, v40, v38
	v_fmac_f32_e32 v36, v41, v39
	v_add_f32_e32 v38, 0x358637bd, v36
	v_div_scale_f32 v39, s[8:9], v38, v38, 1.0
	v_rcp_f32_e32 v42, v39
	s_barrier
	v_fma_f32 v43, -v39, v42, 1.0
	v_fmac_f32_e32 v42, v43, v42
	v_div_scale_f32 v43, vcc, 1.0, v38, 1.0
	v_mul_f32_e32 v45, v43, v42
	v_fma_f32 v51, -v39, v45, v43
	v_fmac_f32_e32 v45, v51, v42
	v_fma_f32 v39, -v39, v45, v43
	v_div_fmas_f32 v39, v39, v42, v45
	v_cmp_eq_u32_e32 vcc, 1, v50
	v_cndmask_b32_e32 v37, v37, v44, vcc
	v_cmp_eq_u32_e32 vcc, 2, v50
	v_cndmask_b32_e32 v37, v37, v40, vcc
	v_cmp_eq_u32_e32 vcc, 3, v50
	v_div_fixup_f32 v38, v39, v38, 1.0
	v_cndmask_b32_e32 v37, v37, v41, vcc
	v_mul_f32_e32 v38, v37, v38
	v_pk_mul_f32 v[26:27], v[38:39], v[26:27] op_sel_hi:[0,1]
	v_cvt_f16_f32_e32 v26, v26
	v_cvt_f16_f32_e32 v27, v27
	v_pk_mul_f32 v[34:35], v[38:39], v[34:35] op_sel_hi:[0,1]
	v_cvt_f16_f32_e32 v37, v34
	v_cvt_f16_f32_e32 v35, v35
	v_pack_b32_f16 v34, v26, v27
	v_pk_mul_f32 v[26:27], v[38:39], v[30:31] op_sel_hi:[0,1]
	v_pk_mul_f32 v[28:29], v[38:39], v[28:29] op_sel_hi:[0,1]
	v_cvt_f16_f32_e32 v28, v28
	v_cvt_f16_f32_e32 v29, v29
	;; [unrolled: 1-line block ×4, first 2 shown]
	v_pack_b32_f16 v35, v37, v35
	v_lshlrev_b32_e32 v37, 3, v1
	v_lshlrev_b32_e32 v26, 11, v50
	v_or3_b32 v26, v26, v48, v37
	v_pack_b32_f16 v28, v28, v29
	v_pack_b32_f16 v29, v30, v27
	v_pk_mul_f32 v[22:23], v[38:39], v[22:23] op_sel_hi:[0,1]
	v_pk_mul_f32 v[24:25], v[38:39], v[24:25] op_sel_hi:[0,1]
	;; [unrolled: 1-line block ×4, first 2 shown]
	ds_write2st64_b64 v26, v[34:35], v[28:29] offset1:1
	v_cvt_f16_f32_e32 v24, v24
	v_cvt_f16_f32_e32 v25, v25
	;; [unrolled: 1-line block ×8, first 2 shown]
	v_mov_b32_e32 v32, 0
	v_pack_b32_f16 v18, v24, v25
	v_pack_b32_f16 v19, v22, v23
	;; [unrolled: 1-line block ×4, first 2 shown]
	v_cmp_gt_u32_e32 vcc, 13, v0
	ds_write2st64_b64 v26, v[18:19], v[20:21] offset0:2 offset1:3
	s_and_saveexec_b64 s[8:9], vcc
	s_cbranch_execz .LBB586_401
; %bb.400:
	v_add_co_u32_e32 v20, vcc, s25, v49
	v_addc_co_u32_e64 v21, s[10:11], 0, 0, vcc
	v_mov_b32_e32 v18, s14
	v_mov_b32_e32 v19, 0
	v_mad_u64_u32 v[20:21], s[10:11], s6, v18, v[20:21]
	v_mov_b32_e32 v18, s24
	s_load_dwordx4 s[16:19], s[4:5], 0x58
	s_mul_i32 s7, s7, s14
	v_mad_u64_u32 v[18:19], s[10:11], v20, s44, v[18:19]
	v_add_u32_e32 v21, s7, v21
	v_mov_b32_e32 v20, v19
	v_mad_u64_u32 v[20:21], s[10:11], v21, s44, v[20:21]
	v_mov_b32_e32 v19, v20
	v_lshlrev_b64 v[18:19], 2, v[18:19]
	s_waitcnt lgkmcnt(0)
	v_mov_b32_e32 v21, s19
	v_add_co_u32_e32 v20, vcc, s18, v18
	v_addc_co_u32_e32 v21, vcc, v21, v19, vcc
	global_store_dword v[20:21], v33, off
	v_mov_b32_e32 v20, s17
	v_add_co_u32_e32 v18, vcc, s16, v18
	v_addc_co_u32_e32 v19, vcc, v20, v19, vcc
	global_store_dword v[18:19], v36, off
.LBB586_401:
	s_or_b64 exec, exec, s[8:9]
	v_mov_b32_e32 v19, 0
	s_waitcnt vmcnt(3)
	v_cmp_ne_u16_sdwa s[10:11], v14, v19 src0_sel:BYTE_0 src1_sel:DWORD
	s_waitcnt lgkmcnt(0)
	s_barrier
	s_and_saveexec_b64 s[8:9], s[10:11]
	s_cbranch_execz .LBB586_407
; %bb.402:
	s_movk_i32 s7, 0x80
	v_cmp_ne_u16_sdwa s[12:13], v14, s7 src0_sel:BYTE_0 src1_sel:DWORD
	v_bfrev_b32_e32 v32, 1
	s_and_saveexec_b64 s[10:11], s[12:13]
	s_cbranch_execz .LBB586_406
; %bb.403:
	s_movk_i32 s7, 0x7f
	v_and_b32_e32 v18, 0x7f, v14
	v_cmp_ne_u32_e32 vcc, s7, v18
	v_mov_b32_e32 v32, 0x7f800001
	s_and_saveexec_b64 s[12:13], vcc
	s_cbranch_execz .LBB586_405
; %bb.404:
	v_and_b32_e32 v22, 7, v14
	v_ffbh_u32_e32 v20, v22
	v_min_u32_e32 v24, 32, v20
	v_subrev_u32_e32 v20, 28, v24
	v_lshlrev_b64 v[20:21], v20, v[14:15]
	v_lshrrev_b32_e32 v23, 3, v18
	v_sub_u32_e32 v21, 29, v24
	v_and_b32_e32 v20, 7, v20
	v_cmp_gt_u32_e32 vcc, 8, v18
	v_cndmask_b32_e32 v18, v23, v21, vcc
	v_cndmask_b32_e32 v20, v22, v20, vcc
	v_lshlrev_b32_e32 v21, 24, v14
	v_bfrev_b32_e32 v22, 60
	v_lshlrev_b32_e32 v20, 20, v20
	v_and_b32_e32 v21, 0x80000000, v21
	v_lshl_add_u32 v18, v18, 23, v22
	v_or3_b32 v32, v21, v18, v20
.LBB586_405:
	s_or_b64 exec, exec, s[12:13]
.LBB586_406:
	s_or_b64 exec, exec, s[10:11]
.LBB586_407:
	s_or_b64 exec, exec, s[8:9]
	v_lshrrev_b16_e32 v18, 8, v14
	v_cmp_ne_u16_e32 vcc, 0, v18
	v_mov_b32_e32 v20, 0
	s_and_saveexec_b64 s[8:9], vcc
	s_cbranch_execz .LBB586_413
; %bb.408:
	s_movk_i32 s7, 0x80
	v_cmp_ne_u16_e32 vcc, s7, v18
	v_bfrev_b32_e32 v20, 1
	s_and_saveexec_b64 s[10:11], vcc
	s_cbranch_execz .LBB586_412
; %bb.409:
	s_movk_i32 s7, 0x7f
	v_and_b32_e32 v21, 0x7f, v18
	v_cmp_ne_u32_e32 vcc, s7, v21
	v_mov_b32_e32 v20, 0x7f800001
	s_and_saveexec_b64 s[12:13], vcc
	s_cbranch_execz .LBB586_411
; %bb.410:
	v_and_b32_e32 v20, 7, v18
	v_ffbh_u32_e32 v22, v20
	v_min_u32_e32 v25, 32, v22
	v_subrev_u32_e32 v22, 28, v25
	v_lshlrev_b64 v[22:23], v22, v[18:19]
	v_lshrrev_b32_e32 v24, 3, v21
	v_sub_u32_e32 v18, 29, v25
	v_and_b32_e32 v22, 7, v22
	v_cmp_gt_u32_e32 vcc, 8, v21
	v_cndmask_b32_e32 v18, v24, v18, vcc
	v_cndmask_b32_e32 v20, v20, v22, vcc
	v_lshlrev_b32_e32 v21, 16, v14
	v_bfrev_b32_e32 v22, 60
	v_lshlrev_b32_e32 v20, 20, v20
	v_and_b32_e32 v21, 0x80000000, v21
	v_lshl_add_u32 v18, v18, 23, v22
	v_or3_b32 v20, v21, v18, v20
.LBB586_411:
	s_or_b64 exec, exec, s[12:13]
.LBB586_412:
	s_or_b64 exec, exec, s[10:11]
.LBB586_413:
	s_or_b64 exec, exec, s[8:9]
	s_movk_i32 s7, 0xff
	v_and_b32_sdwa v21, v14, s7 dst_sel:DWORD dst_unused:UNUSED_PAD src0_sel:WORD_1 src1_sel:DWORD
	v_lshrrev_b32_e32 v18, 16, v14
	v_cmp_ne_u16_e32 vcc, 0, v21
	s_and_saveexec_b64 s[8:9], vcc
	s_cbranch_execz .LBB586_419
; %bb.414:
	s_movk_i32 s7, 0x80
	v_cmp_ne_u16_e32 vcc, s7, v21
	v_bfrev_b32_e32 v19, 1
	s_and_saveexec_b64 s[10:11], vcc
	s_cbranch_execz .LBB586_418
; %bb.415:
	v_bfe_u32 v21, v14, 16, 7
	s_movk_i32 s7, 0x7f
	v_cmp_ne_u32_e32 vcc, s7, v21
	v_mov_b32_e32 v19, 0x7f800001
	s_and_saveexec_b64 s[12:13], vcc
	s_cbranch_execz .LBB586_417
; %bb.416:
	v_and_b32_e32 v22, 7, v18
	v_ffbh_u32_e32 v19, v22
	v_min_u32_e32 v24, 32, v19
	v_subrev_u32_e32 v19, 28, v24
	v_lshlrev_b64 v[18:19], v19, v[18:19]
	v_lshrrev_b32_e32 v23, 3, v21
	v_sub_u32_e32 v19, 29, v24
	v_and_b32_e32 v18, 7, v18
	v_cmp_gt_u32_e32 vcc, 8, v21
	v_mov_b32_e32 v21, 24
	v_cndmask_b32_e32 v19, v23, v19, vcc
	v_cndmask_b32_e32 v18, v22, v18, vcc
	v_lshlrev_b32_sdwa v21, v21, v14 dst_sel:DWORD dst_unused:UNUSED_PAD src0_sel:DWORD src1_sel:WORD_1
	v_bfrev_b32_e32 v22, 60
	v_lshlrev_b32_e32 v18, 20, v18
	v_and_b32_e32 v21, 0x80000000, v21
	v_lshl_add_u32 v19, v19, 23, v22
	v_or3_b32 v19, v21, v19, v18
.LBB586_417:
	s_or_b64 exec, exec, s[12:13]
.LBB586_418:
	s_or_b64 exec, exec, s[10:11]
.LBB586_419:
	s_or_b64 exec, exec, s[8:9]
	s_mov_b32 s7, 0xffffff
	v_cmp_lt_u32_e32 vcc, s7, v14
	v_mov_b32_e32 v21, 0
	v_mov_b32_e32 v22, 0
	s_and_saveexec_b64 s[8:9], vcc
	s_cbranch_execz .LBB586_425
; %bb.420:
	v_lshrrev_b32_e32 v18, 24, v14
	s_movk_i32 s7, 0x80
	v_cmp_ne_u32_e32 vcc, s7, v18
	v_bfrev_b32_e32 v22, 1
	s_and_saveexec_b64 s[10:11], vcc
	s_cbranch_execz .LBB586_424
; %bb.421:
	v_bfe_u32 v14, v14, 24, 7
	s_movk_i32 s7, 0x7f
	v_cmp_ne_u32_e32 vcc, s7, v14
	v_mov_b32_e32 v22, 0x7f800001
	s_and_saveexec_b64 s[12:13], vcc
	s_cbranch_execz .LBB586_423
; %bb.422:
	v_and_b32_e32 v24, 7, v18
	v_ffbh_u32_e32 v22, v24
	v_min_u32_e32 v27, 32, v22
	v_subrev_u32_e32 v22, 28, v27
	v_lshlrev_b64 v[22:23], v22, v[18:19]
	v_lshrrev_b32_e32 v25, 3, v14
	v_sub_u32_e32 v23, 29, v27
	v_and_b32_e32 v22, 7, v22
	v_cmp_gt_u32_e32 vcc, 8, v14
	v_cndmask_b32_e32 v14, v25, v23, vcc
	v_cndmask_b32_e32 v22, v24, v22, vcc
	v_lshlrev_b32_e32 v18, 24, v18
	v_bfrev_b32_e32 v23, 60
	v_lshlrev_b32_e32 v22, 20, v22
	v_and_b32_e32 v18, 0x80000000, v18
	v_lshl_add_u32 v14, v14, 23, v23
	v_or3_b32 v22, v18, v14, v22
.LBB586_423:
	s_or_b64 exec, exec, s[12:13]
.LBB586_424:
	s_or_b64 exec, exec, s[10:11]
.LBB586_425:
	s_or_b64 exec, exec, s[8:9]
	v_cmp_ne_u16_sdwa s[10:11], v15, v21 src0_sel:BYTE_0 src1_sel:DWORD
	s_and_saveexec_b64 s[8:9], s[10:11]
	s_cbranch_execz .LBB586_431
; %bb.426:
	s_movk_i32 s7, 0x80
	v_cmp_ne_u16_sdwa s[12:13], v15, s7 src0_sel:BYTE_0 src1_sel:DWORD
	v_bfrev_b32_e32 v21, 1
	s_and_saveexec_b64 s[10:11], s[12:13]
	s_cbranch_execz .LBB586_430
; %bb.427:
	s_movk_i32 s7, 0x7f
	v_and_b32_e32 v14, 0x7f, v15
	v_cmp_ne_u32_e32 vcc, s7, v14
	v_mov_b32_e32 v21, 0x7f800001
	s_and_saveexec_b64 s[12:13], vcc
	s_cbranch_execz .LBB586_429
; %bb.428:
	v_and_b32_e32 v21, 7, v15
	v_ffbh_u32_e32 v24, v21
	v_min_u32_e32 v27, 32, v24
	v_mov_b32_e32 v18, v15
	v_subrev_u32_e32 v24, 28, v27
	v_lshlrev_b64 v[24:25], v24, v[18:19]
	v_lshrrev_b32_e32 v23, 3, v14
	v_sub_u32_e32 v18, 29, v27
	v_and_b32_e32 v24, 7, v24
	v_cmp_gt_u32_e32 vcc, 8, v14
	v_cndmask_b32_e32 v14, v23, v18, vcc
	v_cndmask_b32_e32 v18, v21, v24, vcc
	v_lshlrev_b32_e32 v21, 24, v15
	v_bfrev_b32_e32 v23, 60
	v_lshlrev_b32_e32 v18, 20, v18
	v_and_b32_e32 v21, 0x80000000, v21
	v_lshl_add_u32 v14, v14, 23, v23
	v_or3_b32 v21, v21, v14, v18
.LBB586_429:
	s_or_b64 exec, exec, s[12:13]
.LBB586_430:
	s_or_b64 exec, exec, s[10:11]
.LBB586_431:
	s_or_b64 exec, exec, s[8:9]
	v_lshrrev_b16_e32 v14, 8, v15
	v_cmp_ne_u16_e32 vcc, 0, v14
	v_mov_b32_e32 v18, 0
	v_mov_b32_e32 v24, 0
	s_and_saveexec_b64 s[8:9], vcc
	s_cbranch_execz .LBB586_437
; %bb.432:
	s_movk_i32 s7, 0x80
	v_cmp_ne_u16_e32 vcc, s7, v14
	v_bfrev_b32_e32 v24, 1
	s_and_saveexec_b64 s[10:11], vcc
	s_cbranch_execz .LBB586_436
; %bb.433:
	s_movk_i32 s7, 0x7f
	v_and_b32_e32 v23, 0x7f, v14
	v_cmp_ne_u32_e32 vcc, s7, v23
	v_mov_b32_e32 v24, 0x7f800001
	s_and_saveexec_b64 s[12:13], vcc
	s_cbranch_execz .LBB586_435
; %bb.434:
	v_and_b32_e32 v27, 7, v14
	v_ffbh_u32_e32 v24, v27
	v_min_u32_e32 v29, 32, v24
	v_subrev_u32_e32 v24, 28, v29
	v_lshlrev_b64 v[24:25], v24, v[14:15]
	v_lshrrev_b32_e32 v28, 3, v23
	v_sub_u32_e32 v14, 29, v29
	v_and_b32_e32 v24, 7, v24
	v_cmp_gt_u32_e32 vcc, 8, v23
	v_cndmask_b32_e32 v14, v28, v14, vcc
	v_cndmask_b32_e32 v23, v27, v24, vcc
	v_lshlrev_b32_e32 v24, 16, v15
	v_bfrev_b32_e32 v25, 60
	v_lshlrev_b32_e32 v23, 20, v23
	v_and_b32_e32 v24, 0x80000000, v24
	v_lshl_add_u32 v14, v14, 23, v25
	v_or3_b32 v24, v24, v14, v23
.LBB586_435:
	s_or_b64 exec, exec, s[12:13]
.LBB586_436:
	s_or_b64 exec, exec, s[10:11]
.LBB586_437:
	s_or_b64 exec, exec, s[8:9]
	s_movk_i32 s7, 0xff
	v_and_b32_sdwa v23, v15, s7 dst_sel:DWORD dst_unused:UNUSED_PAD src0_sel:WORD_1 src1_sel:DWORD
	v_lshrrev_b32_e32 v14, 16, v15
	v_cmp_ne_u16_e32 vcc, 0, v23
	s_and_saveexec_b64 s[8:9], vcc
	s_cbranch_execz .LBB586_443
; %bb.438:
	s_movk_i32 s7, 0x80
	v_cmp_ne_u16_e32 vcc, s7, v23
	v_bfrev_b32_e32 v18, 1
	s_and_saveexec_b64 s[10:11], vcc
	s_cbranch_execz .LBB586_442
; %bb.439:
	v_bfe_u32 v23, v15, 16, 7
	s_movk_i32 s7, 0x7f
	v_cmp_ne_u32_e32 vcc, s7, v23
	v_mov_b32_e32 v18, 0x7f800001
	s_and_saveexec_b64 s[12:13], vcc
	s_cbranch_execz .LBB586_441
; %bb.440:
	v_and_b32_e32 v18, 7, v14
	v_ffbh_u32_e32 v27, v18
	v_min_u32_e32 v27, 32, v27
	v_subrev_u32_e32 v28, 28, v27
	v_lshlrev_b64 v[28:29], v28, v[14:15]
	v_lshrrev_b32_e32 v25, 3, v23
	v_sub_u32_e32 v14, 29, v27
	v_and_b32_e32 v27, 7, v28
	v_cmp_gt_u32_e32 vcc, 8, v23
	v_mov_b32_e32 v23, 24
	v_cndmask_b32_e32 v14, v25, v14, vcc
	v_cndmask_b32_e32 v18, v18, v27, vcc
	v_lshlrev_b32_sdwa v23, v23, v15 dst_sel:DWORD dst_unused:UNUSED_PAD src0_sel:DWORD src1_sel:WORD_1
	v_bfrev_b32_e32 v25, 60
	v_lshlrev_b32_e32 v18, 20, v18
	v_and_b32_e32 v23, 0x80000000, v23
	v_lshl_add_u32 v14, v14, 23, v25
	v_or3_b32 v18, v23, v14, v18
.LBB586_441:
	s_or_b64 exec, exec, s[12:13]
.LBB586_442:
	s_or_b64 exec, exec, s[10:11]
.LBB586_443:
	s_or_b64 exec, exec, s[8:9]
	s_mov_b32 s7, 0xffffff
	v_cmp_lt_u32_e32 vcc, s7, v15
	v_mov_b32_e32 v23, 0
	v_mov_b32_e32 v25, 0
	s_and_saveexec_b64 s[8:9], vcc
	s_cbranch_execz .LBB586_449
; %bb.444:
	v_lshrrev_b32_e32 v14, 24, v15
	s_movk_i32 s7, 0x80
	v_cmp_ne_u32_e32 vcc, s7, v14
	v_bfrev_b32_e32 v25, 1
	s_and_saveexec_b64 s[10:11], vcc
	s_cbranch_execz .LBB586_448
; %bb.445:
	v_bfe_u32 v15, v15, 24, 7
	s_movk_i32 s7, 0x7f
	v_cmp_ne_u32_e32 vcc, s7, v15
	v_mov_b32_e32 v25, 0x7f800001
	s_and_saveexec_b64 s[12:13], vcc
	s_cbranch_execz .LBB586_447
; %bb.446:
	v_and_b32_e32 v25, 7, v14
	v_ffbh_u32_e32 v28, v25
	v_min_u32_e32 v30, 32, v28
	v_subrev_u32_e32 v28, 28, v30
	v_lshlrev_b64 v[28:29], v28, v[14:15]
	v_lshrrev_b32_e32 v27, 3, v15
	v_sub_u32_e32 v29, 29, v30
	v_and_b32_e32 v28, 7, v28
	v_cmp_gt_u32_e32 vcc, 8, v15
	v_cndmask_b32_e32 v15, v27, v29, vcc
	v_cndmask_b32_e32 v25, v25, v28, vcc
	v_lshlrev_b32_e32 v14, 24, v14
	v_bfrev_b32_e32 v27, 60
	v_lshlrev_b32_e32 v25, 20, v25
	v_and_b32_e32 v14, 0x80000000, v14
	v_lshl_add_u32 v15, v15, 23, v27
	v_or3_b32 v25, v14, v15, v25
.LBB586_447:
	s_or_b64 exec, exec, s[12:13]
.LBB586_448:
	s_or_b64 exec, exec, s[10:11]
.LBB586_449:
	s_or_b64 exec, exec, s[8:9]
	v_cvt_pkrtz_f16_f32 v15, v19, v22
	v_lshl_or_b32 v22, v1, 9, v48
	v_cvt_pkrtz_f16_f32 v14, v32, v20
	ds_read_b128 v[28:31], v22
	v_cmp_ne_u16_sdwa s[10:11], v16, v23 src0_sel:BYTE_0 src1_sel:DWORD
	s_waitcnt lgkmcnt(0)
	v_mfma_f32_16x16x16f16 v[32:35], v[14:15], v[28:29], 0
	v_cvt_pkrtz_f16_f32 v14, v21, v24
	v_cvt_pkrtz_f16_f32 v15, v18, v25
	s_nop 1
	v_mfma_f32_16x16x16f16 v[18:21], v[14:15], v[30:31], v[32:35]
	s_and_saveexec_b64 s[8:9], s[10:11]
	s_cbranch_execz .LBB586_455
; %bb.450:
	s_movk_i32 s7, 0x80
	v_cmp_ne_u16_sdwa s[12:13], v16, s7 src0_sel:BYTE_0 src1_sel:DWORD
	v_bfrev_b32_e32 v23, 1
	s_and_saveexec_b64 s[10:11], s[12:13]
	s_cbranch_execz .LBB586_454
; %bb.451:
	s_movk_i32 s7, 0x7f
	v_and_b32_e32 v14, 0x7f, v16
	v_cmp_ne_u32_e32 vcc, s7, v14
	v_mov_b32_e32 v23, 0x7f800001
	s_and_saveexec_b64 s[12:13], vcc
	s_cbranch_execz .LBB586_453
; %bb.452:
	v_and_b32_e32 v15, 7, v16
	v_ffbh_u32_e32 v24, v15
	v_min_u32_e32 v27, 32, v24
	v_subrev_u32_e32 v24, 28, v27
	v_lshlrev_b64 v[24:25], v24, v[16:17]
	v_lshrrev_b32_e32 v23, 3, v14
	v_sub_u32_e32 v25, 29, v27
	v_and_b32_e32 v24, 7, v24
	v_cmp_gt_u32_e32 vcc, 8, v14
	v_cndmask_b32_e32 v14, v23, v25, vcc
	v_cndmask_b32_e32 v15, v15, v24, vcc
	v_lshlrev_b32_e32 v23, 24, v16
	v_bfrev_b32_e32 v24, 60
	v_lshlrev_b32_e32 v15, 20, v15
	v_and_b32_e32 v23, 0x80000000, v23
	v_lshl_add_u32 v14, v14, 23, v24
	v_or3_b32 v23, v23, v14, v15
.LBB586_453:
	s_or_b64 exec, exec, s[12:13]
.LBB586_454:
	s_or_b64 exec, exec, s[10:11]
.LBB586_455:
	s_or_b64 exec, exec, s[8:9]
	v_lshrrev_b16_e32 v14, 8, v16
	v_cmp_ne_u16_e32 vcc, 0, v14
	v_mov_b32_e32 v15, 0
	v_mov_b32_e32 v25, 0
	s_and_saveexec_b64 s[8:9], vcc
	s_cbranch_execz .LBB586_461
; %bb.456:
	s_movk_i32 s7, 0x80
	v_cmp_ne_u16_e32 vcc, s7, v14
	v_bfrev_b32_e32 v25, 1
	s_and_saveexec_b64 s[10:11], vcc
	s_cbranch_execz .LBB586_460
; %bb.457:
	s_movk_i32 s7, 0x7f
	v_and_b32_e32 v24, 0x7f, v14
	v_cmp_ne_u32_e32 vcc, s7, v24
	v_mov_b32_e32 v25, 0x7f800001
	s_and_saveexec_b64 s[12:13], vcc
	s_cbranch_execz .LBB586_459
; %bb.458:
	v_and_b32_e32 v25, 7, v14
	v_ffbh_u32_e32 v28, v25
	v_min_u32_e32 v30, 32, v28
	v_subrev_u32_e32 v28, 28, v30
	v_lshlrev_b64 v[28:29], v28, v[14:15]
	v_lshrrev_b32_e32 v27, 3, v24
	v_sub_u32_e32 v14, 29, v30
	v_and_b32_e32 v28, 7, v28
	v_cmp_gt_u32_e32 vcc, 8, v24
	v_cndmask_b32_e32 v14, v27, v14, vcc
	v_cndmask_b32_e32 v24, v25, v28, vcc
	v_lshlrev_b32_e32 v25, 16, v16
	v_bfrev_b32_e32 v27, 60
	v_lshlrev_b32_e32 v24, 20, v24
	v_and_b32_e32 v25, 0x80000000, v25
	v_lshl_add_u32 v14, v14, 23, v27
	v_or3_b32 v25, v25, v14, v24
.LBB586_459:
	s_or_b64 exec, exec, s[12:13]
.LBB586_460:
	s_or_b64 exec, exec, s[10:11]
.LBB586_461:
	s_or_b64 exec, exec, s[8:9]
	s_movk_i32 s7, 0xff
	v_and_b32_sdwa v24, v16, s7 dst_sel:DWORD dst_unused:UNUSED_PAD src0_sel:WORD_1 src1_sel:DWORD
	v_lshrrev_b32_e32 v14, 16, v16
	v_cmp_ne_u16_e32 vcc, 0, v24
	s_and_saveexec_b64 s[8:9], vcc
	s_cbranch_execz .LBB586_467
; %bb.462:
	s_movk_i32 s7, 0x80
	v_cmp_ne_u16_e32 vcc, s7, v24
	v_bfrev_b32_e32 v15, 1
	s_and_saveexec_b64 s[10:11], vcc
	s_cbranch_execz .LBB586_466
; %bb.463:
	v_bfe_u32 v24, v16, 16, 7
	s_movk_i32 s7, 0x7f
	v_cmp_ne_u32_e32 vcc, s7, v24
	v_mov_b32_e32 v15, 0x7f800001
	s_and_saveexec_b64 s[12:13], vcc
	s_cbranch_execz .LBB586_465
; %bb.464:
	v_and_b32_e32 v27, 7, v14
	v_ffbh_u32_e32 v15, v27
	v_min_u32_e32 v29, 32, v15
	v_subrev_u32_e32 v15, 28, v29
	v_lshlrev_b64 v[14:15], v15, v[14:15]
	v_lshrrev_b32_e32 v28, 3, v24
	v_sub_u32_e32 v15, 29, v29
	v_and_b32_e32 v14, 7, v14
	v_cmp_gt_u32_e32 vcc, 8, v24
	v_mov_b32_e32 v24, 24
	v_cndmask_b32_e32 v15, v28, v15, vcc
	v_cndmask_b32_e32 v14, v27, v14, vcc
	v_lshlrev_b32_sdwa v24, v24, v16 dst_sel:DWORD dst_unused:UNUSED_PAD src0_sel:DWORD src1_sel:WORD_1
	v_bfrev_b32_e32 v27, 60
	v_lshlrev_b32_e32 v14, 20, v14
	v_and_b32_e32 v24, 0x80000000, v24
	v_lshl_add_u32 v15, v15, 23, v27
	v_or3_b32 v15, v24, v15, v14
.LBB586_465:
	s_or_b64 exec, exec, s[12:13]
.LBB586_466:
	s_or_b64 exec, exec, s[10:11]
.LBB586_467:
	s_or_b64 exec, exec, s[8:9]
	s_mov_b32 s7, 0xffffff
	v_cmp_lt_u32_e32 vcc, s7, v16
	v_mov_b32_e32 v27, 0
	v_mov_b32_e32 v28, 0
	s_and_saveexec_b64 s[8:9], vcc
	s_cbranch_execz .LBB586_473
; %bb.468:
	v_lshrrev_b32_e32 v14, 24, v16
	s_movk_i32 s7, 0x80
	v_cmp_ne_u32_e32 vcc, s7, v14
	v_bfrev_b32_e32 v28, 1
	s_and_saveexec_b64 s[10:11], vcc
	s_cbranch_execz .LBB586_472
; %bb.469:
	v_bfe_u32 v16, v16, 24, 7
	s_movk_i32 s7, 0x7f
	v_cmp_ne_u32_e32 vcc, s7, v16
	v_mov_b32_e32 v28, 0x7f800001
	s_and_saveexec_b64 s[12:13], vcc
	s_cbranch_execz .LBB586_471
; %bb.470:
	v_and_b32_e32 v24, 7, v14
	v_ffbh_u32_e32 v28, v24
	v_min_u32_e32 v31, 32, v28
	v_subrev_u32_e32 v28, 28, v31
	v_lshlrev_b64 v[28:29], v28, v[14:15]
	v_lshrrev_b32_e32 v30, 3, v16
	v_sub_u32_e32 v29, 29, v31
	v_and_b32_e32 v28, 7, v28
	v_cmp_gt_u32_e32 vcc, 8, v16
	v_cndmask_b32_e32 v16, v30, v29, vcc
	v_cndmask_b32_e32 v24, v24, v28, vcc
	v_lshlrev_b32_e32 v14, 24, v14
	v_bfrev_b32_e32 v28, 60
	v_lshlrev_b32_e32 v24, 20, v24
	v_and_b32_e32 v14, 0x80000000, v14
	v_lshl_add_u32 v16, v16, 23, v28
	v_or3_b32 v28, v14, v16, v24
.LBB586_471:
	s_or_b64 exec, exec, s[12:13]
.LBB586_472:
	s_or_b64 exec, exec, s[10:11]
.LBB586_473:
	s_or_b64 exec, exec, s[8:9]
	v_cmp_ne_u16_sdwa s[10:11], v17, v27 src0_sel:BYTE_0 src1_sel:DWORD
	s_and_saveexec_b64 s[8:9], s[10:11]
	s_cbranch_execz .LBB586_479
; %bb.474:
	s_movk_i32 s7, 0x80
	v_cmp_ne_u16_sdwa s[12:13], v17, s7 src0_sel:BYTE_0 src1_sel:DWORD
	v_bfrev_b32_e32 v27, 1
	s_and_saveexec_b64 s[10:11], s[12:13]
	s_cbranch_execz .LBB586_478
; %bb.475:
	s_movk_i32 s7, 0x7f
	v_and_b32_e32 v14, 0x7f, v17
	v_cmp_ne_u32_e32 vcc, s7, v14
	v_mov_b32_e32 v27, 0x7f800001
	s_and_saveexec_b64 s[12:13], vcc
	s_cbranch_execz .LBB586_477
; %bb.476:
	v_and_b32_e32 v24, 7, v17
	v_ffbh_u32_e32 v29, v24
	v_min_u32_e32 v29, 32, v29
	v_mov_b32_e32 v16, v17
	v_subrev_u32_e32 v30, 28, v29
	v_lshlrev_b64 v[30:31], v30, v[16:17]
	v_lshrrev_b32_e32 v27, 3, v14
	v_sub_u32_e32 v16, 29, v29
	v_and_b32_e32 v29, 7, v30
	v_cmp_gt_u32_e32 vcc, 8, v14
	v_cndmask_b32_e32 v14, v27, v16, vcc
	v_cndmask_b32_e32 v16, v24, v29, vcc
	v_lshlrev_b32_e32 v24, 24, v17
	v_bfrev_b32_e32 v27, 60
	v_lshlrev_b32_e32 v16, 20, v16
	v_and_b32_e32 v24, 0x80000000, v24
	v_lshl_add_u32 v14, v14, 23, v27
	v_or3_b32 v27, v24, v14, v16
.LBB586_477:
	s_or_b64 exec, exec, s[12:13]
.LBB586_478:
	s_or_b64 exec, exec, s[10:11]
.LBB586_479:
	s_or_b64 exec, exec, s[8:9]
	v_lshrrev_b16_e32 v14, 8, v17
	v_cmp_ne_u16_e32 vcc, 0, v14
	v_mov_b32_e32 v16, 0
	v_mov_b32_e32 v29, 0
	s_and_saveexec_b64 s[8:9], vcc
	s_cbranch_execz .LBB586_485
; %bb.480:
	s_movk_i32 s7, 0x80
	v_cmp_ne_u16_e32 vcc, s7, v14
	v_bfrev_b32_e32 v29, 1
	s_and_saveexec_b64 s[10:11], vcc
	s_cbranch_execz .LBB586_484
; %bb.481:
	s_movk_i32 s7, 0x7f
	v_and_b32_e32 v24, 0x7f, v14
	v_cmp_ne_u32_e32 vcc, s7, v24
	v_mov_b32_e32 v29, 0x7f800001
	s_and_saveexec_b64 s[12:13], vcc
	s_cbranch_execz .LBB586_483
; %bb.482:
	v_and_b32_e32 v29, 7, v14
	v_ffbh_u32_e32 v30, v29
	v_min_u32_e32 v33, 32, v30
	v_subrev_u32_e32 v30, 28, v33
	v_lshlrev_b64 v[30:31], v30, v[14:15]
	v_lshrrev_b32_e32 v32, 3, v24
	v_sub_u32_e32 v14, 29, v33
	v_and_b32_e32 v30, 7, v30
	v_cmp_gt_u32_e32 vcc, 8, v24
	v_cndmask_b32_e32 v14, v32, v14, vcc
	v_cndmask_b32_e32 v24, v29, v30, vcc
	v_lshlrev_b32_e32 v29, 16, v17
	v_bfrev_b32_e32 v30, 60
	v_lshlrev_b32_e32 v24, 20, v24
	v_and_b32_e32 v29, 0x80000000, v29
	v_lshl_add_u32 v14, v14, 23, v30
	v_or3_b32 v29, v29, v14, v24
.LBB586_483:
	s_or_b64 exec, exec, s[12:13]
.LBB586_484:
	s_or_b64 exec, exec, s[10:11]
.LBB586_485:
	s_or_b64 exec, exec, s[8:9]
	s_movk_i32 s7, 0xff
	v_and_b32_sdwa v24, v17, s7 dst_sel:DWORD dst_unused:UNUSED_PAD src0_sel:WORD_1 src1_sel:DWORD
	v_lshrrev_b32_e32 v14, 16, v17
	v_cmp_ne_u16_e32 vcc, 0, v24
	s_and_saveexec_b64 s[8:9], vcc
	s_cbranch_execz .LBB586_491
; %bb.486:
	s_movk_i32 s7, 0x80
	v_cmp_ne_u16_e32 vcc, s7, v24
	v_bfrev_b32_e32 v16, 1
	s_and_saveexec_b64 s[10:11], vcc
	s_cbranch_execz .LBB586_490
; %bb.487:
	v_bfe_u32 v24, v17, 16, 7
	s_movk_i32 s7, 0x7f
	v_cmp_ne_u32_e32 vcc, s7, v24
	v_mov_b32_e32 v16, 0x7f800001
	s_and_saveexec_b64 s[12:13], vcc
	s_cbranch_execz .LBB586_489
; %bb.488:
	v_and_b32_e32 v16, 7, v14
	v_ffbh_u32_e32 v30, v16
	v_min_u32_e32 v33, 32, v30
	v_subrev_u32_e32 v30, 28, v33
	v_lshlrev_b64 v[30:31], v30, v[14:15]
	v_lshrrev_b32_e32 v32, 3, v24
	v_sub_u32_e32 v14, 29, v33
	v_and_b32_e32 v30, 7, v30
	v_cmp_gt_u32_e32 vcc, 8, v24
	v_mov_b32_e32 v24, 24
	v_cndmask_b32_e32 v14, v32, v14, vcc
	v_cndmask_b32_e32 v16, v16, v30, vcc
	v_lshlrev_b32_sdwa v24, v24, v17 dst_sel:DWORD dst_unused:UNUSED_PAD src0_sel:DWORD src1_sel:WORD_1
	v_bfrev_b32_e32 v30, 60
	v_lshlrev_b32_e32 v16, 20, v16
	v_and_b32_e32 v24, 0x80000000, v24
	v_lshl_add_u32 v14, v14, 23, v30
	v_or3_b32 v16, v24, v14, v16
.LBB586_489:
	s_or_b64 exec, exec, s[12:13]
.LBB586_490:
	s_or_b64 exec, exec, s[10:11]
.LBB586_491:
	s_or_b64 exec, exec, s[8:9]
	s_mov_b32 s7, 0xffffff
	v_cmp_lt_u32_e32 vcc, s7, v17
	v_mov_b32_e32 v24, 0
	v_mov_b32_e32 v30, 0
	s_and_saveexec_b64 s[8:9], vcc
	s_cbranch_execz .LBB586_497
; %bb.492:
	v_lshrrev_b32_e32 v14, 24, v17
	s_movk_i32 s7, 0x80
	v_cmp_ne_u32_e32 vcc, s7, v14
	v_bfrev_b32_e32 v30, 1
	s_and_saveexec_b64 s[10:11], vcc
	s_cbranch_execz .LBB586_496
; %bb.493:
	v_bfe_u32 v17, v17, 24, 7
	s_movk_i32 s7, 0x7f
	v_cmp_ne_u32_e32 vcc, s7, v17
	v_mov_b32_e32 v30, 0x7f800001
	s_and_saveexec_b64 s[12:13], vcc
	s_cbranch_execz .LBB586_495
; %bb.494:
	v_and_b32_e32 v32, 7, v14
	v_ffbh_u32_e32 v30, v32
	v_min_u32_e32 v34, 32, v30
	v_subrev_u32_e32 v30, 28, v34
	v_lshlrev_b64 v[30:31], v30, v[14:15]
	v_lshrrev_b32_e32 v33, 3, v17
	v_sub_u32_e32 v31, 29, v34
	v_and_b32_e32 v30, 7, v30
	v_cmp_gt_u32_e32 vcc, 8, v17
	v_cndmask_b32_e32 v17, v33, v31, vcc
	v_cndmask_b32_e32 v30, v32, v30, vcc
	v_lshlrev_b32_e32 v14, 24, v14
	v_bfrev_b32_e32 v31, 60
	v_lshlrev_b32_e32 v30, 20, v30
	v_and_b32_e32 v14, 0x80000000, v14
	v_lshl_add_u32 v17, v17, 23, v31
	v_or3_b32 v30, v14, v17, v30
.LBB586_495:
	s_or_b64 exec, exec, s[12:13]
.LBB586_496:
	s_or_b64 exec, exec, s[10:11]
.LBB586_497:
	s_or_b64 exec, exec, s[8:9]
	v_cvt_pkrtz_f16_f32 v14, v23, v25
	v_cvt_pkrtz_f16_f32 v15, v15, v28
	ds_read_b128 v[32:35], v22 offset:16
	s_waitcnt vmcnt(2)
	v_cmp_ne_u16_sdwa s[10:11], v10, v24 src0_sel:BYTE_0 src1_sel:DWORD
	s_waitcnt lgkmcnt(0)
	v_mfma_f32_16x16x16f16 v[18:21], v[14:15], v[32:33], v[18:21]
	v_cvt_pkrtz_f16_f32 v14, v27, v29
	v_cvt_pkrtz_f16_f32 v15, v16, v30
	s_nop 1
	v_mfma_f32_16x16x16f16 v[14:17], v[14:15], v[34:35], v[18:21]
	s_and_saveexec_b64 s[8:9], s[10:11]
	s_cbranch_execz .LBB586_503
; %bb.498:
	s_movk_i32 s7, 0x80
	v_cmp_ne_u16_sdwa s[12:13], v10, s7 src0_sel:BYTE_0 src1_sel:DWORD
	v_bfrev_b32_e32 v24, 1
	s_and_saveexec_b64 s[10:11], s[12:13]
	s_cbranch_execz .LBB586_502
; %bb.499:
	s_movk_i32 s7, 0x7f
	v_and_b32_e32 v18, 0x7f, v10
	v_cmp_ne_u32_e32 vcc, s7, v18
	v_mov_b32_e32 v24, 0x7f800001
	s_and_saveexec_b64 s[12:13], vcc
	s_cbranch_execz .LBB586_501
; %bb.500:
	v_and_b32_e32 v19, 7, v10
	v_ffbh_u32_e32 v20, v19
	v_min_u32_e32 v24, 32, v20
	v_subrev_u32_e32 v20, 28, v24
	v_lshlrev_b64 v[20:21], v20, v[10:11]
	v_lshrrev_b32_e32 v23, 3, v18
	v_sub_u32_e32 v21, 29, v24
	v_and_b32_e32 v20, 7, v20
	v_cmp_gt_u32_e32 vcc, 8, v18
	v_cndmask_b32_e32 v18, v23, v21, vcc
	v_cndmask_b32_e32 v19, v19, v20, vcc
	v_lshlrev_b32_e32 v20, 24, v10
	v_bfrev_b32_e32 v21, 60
	v_lshlrev_b32_e32 v19, 20, v19
	v_and_b32_e32 v20, 0x80000000, v20
	v_lshl_add_u32 v18, v18, 23, v21
	v_or3_b32 v24, v20, v18, v19
.LBB586_501:
	s_or_b64 exec, exec, s[12:13]
.LBB586_502:
	s_or_b64 exec, exec, s[10:11]
.LBB586_503:
	s_or_b64 exec, exec, s[8:9]
	s_nop 3
	v_lshrrev_b16_e32 v18, 8, v10
	v_cmp_ne_u16_e32 vcc, 0, v18
	v_mov_b32_e32 v19, 0
	v_mov_b32_e32 v20, 0
	s_and_saveexec_b64 s[8:9], vcc
	s_cbranch_execz .LBB586_509
; %bb.504:
	s_movk_i32 s7, 0x80
	v_cmp_ne_u16_e32 vcc, s7, v18
	v_bfrev_b32_e32 v20, 1
	s_and_saveexec_b64 s[10:11], vcc
	s_cbranch_execz .LBB586_508
; %bb.505:
	s_movk_i32 s7, 0x7f
	v_and_b32_e32 v21, 0x7f, v18
	v_cmp_ne_u32_e32 vcc, s7, v21
	v_mov_b32_e32 v20, 0x7f800001
	s_and_saveexec_b64 s[12:13], vcc
	s_cbranch_execz .LBB586_507
; %bb.506:
	v_and_b32_e32 v20, 7, v18
	v_ffbh_u32_e32 v25, v20
	v_min_u32_e32 v25, 32, v25
	v_subrev_u32_e32 v27, 28, v25
	v_lshlrev_b64 v[28:29], v27, v[18:19]
	v_lshrrev_b32_e32 v23, 3, v21
	v_sub_u32_e32 v18, 29, v25
	v_and_b32_e32 v25, 7, v28
	v_cmp_gt_u32_e32 vcc, 8, v21
	v_cndmask_b32_e32 v18, v23, v18, vcc
	v_cndmask_b32_e32 v20, v20, v25, vcc
	v_lshlrev_b32_e32 v21, 16, v10
	v_bfrev_b32_e32 v23, 60
	v_lshlrev_b32_e32 v20, 20, v20
	v_and_b32_e32 v21, 0x80000000, v21
	v_lshl_add_u32 v18, v18, 23, v23
	v_or3_b32 v20, v21, v18, v20
.LBB586_507:
	s_or_b64 exec, exec, s[12:13]
.LBB586_508:
	s_or_b64 exec, exec, s[10:11]
.LBB586_509:
	s_or_b64 exec, exec, s[8:9]
	s_movk_i32 s7, 0xff
	v_and_b32_sdwa v21, v10, s7 dst_sel:DWORD dst_unused:UNUSED_PAD src0_sel:WORD_1 src1_sel:DWORD
	v_lshrrev_b32_e32 v18, 16, v10
	v_cmp_ne_u16_e32 vcc, 0, v21
	s_and_saveexec_b64 s[8:9], vcc
	s_cbranch_execz .LBB586_515
; %bb.510:
	s_movk_i32 s7, 0x80
	v_cmp_ne_u16_e32 vcc, s7, v21
	v_bfrev_b32_e32 v19, 1
	s_and_saveexec_b64 s[10:11], vcc
	s_cbranch_execz .LBB586_514
; %bb.511:
	v_bfe_u32 v21, v10, 16, 7
	s_movk_i32 s7, 0x7f
	v_cmp_ne_u32_e32 vcc, s7, v21
	v_mov_b32_e32 v19, 0x7f800001
	s_and_saveexec_b64 s[12:13], vcc
	s_cbranch_execz .LBB586_513
; %bb.512:
	v_and_b32_e32 v23, 7, v18
	v_ffbh_u32_e32 v19, v23
	v_min_u32_e32 v27, 32, v19
	v_subrev_u32_e32 v19, 28, v27
	v_lshlrev_b64 v[18:19], v19, v[18:19]
	v_lshrrev_b32_e32 v25, 3, v21
	v_sub_u32_e32 v19, 29, v27
	v_and_b32_e32 v18, 7, v18
	v_cmp_gt_u32_e32 vcc, 8, v21
	v_mov_b32_e32 v21, 24
	v_cndmask_b32_e32 v19, v25, v19, vcc
	v_cndmask_b32_e32 v18, v23, v18, vcc
	v_lshlrev_b32_sdwa v21, v21, v10 dst_sel:DWORD dst_unused:UNUSED_PAD src0_sel:DWORD src1_sel:WORD_1
	v_bfrev_b32_e32 v23, 60
	v_lshlrev_b32_e32 v18, 20, v18
	v_and_b32_e32 v21, 0x80000000, v21
	v_lshl_add_u32 v19, v19, 23, v23
	v_or3_b32 v19, v21, v19, v18
.LBB586_513:
	s_or_b64 exec, exec, s[12:13]
.LBB586_514:
	s_or_b64 exec, exec, s[10:11]
.LBB586_515:
	s_or_b64 exec, exec, s[8:9]
	s_mov_b32 s7, 0xffffff
	v_cmp_lt_u32_e32 vcc, s7, v10
	v_mov_b32_e32 v21, 0
	v_mov_b32_e32 v23, 0
	s_and_saveexec_b64 s[8:9], vcc
	s_cbranch_execz .LBB586_521
; %bb.516:
	v_lshrrev_b32_e32 v18, 24, v10
	s_movk_i32 s7, 0x80
	v_cmp_ne_u32_e32 vcc, s7, v18
	v_bfrev_b32_e32 v23, 1
	s_and_saveexec_b64 s[10:11], vcc
	s_cbranch_execz .LBB586_520
; %bb.517:
	v_bfe_u32 v10, v10, 24, 7
	s_movk_i32 s7, 0x7f
	v_cmp_ne_u32_e32 vcc, s7, v10
	v_mov_b32_e32 v23, 0x7f800001
	s_and_saveexec_b64 s[12:13], vcc
	s_cbranch_execz .LBB586_519
; %bb.518:
	v_and_b32_e32 v23, 7, v18
	v_ffbh_u32_e32 v27, v23
	v_min_u32_e32 v27, 32, v27
	v_subrev_u32_e32 v28, 28, v27
	v_lshlrev_b64 v[28:29], v28, v[18:19]
	v_lshrrev_b32_e32 v25, 3, v10
	v_sub_u32_e32 v27, 29, v27
	v_and_b32_e32 v28, 7, v28
	v_cmp_gt_u32_e32 vcc, 8, v10
	v_cndmask_b32_e32 v10, v25, v27, vcc
	v_cndmask_b32_e32 v23, v23, v28, vcc
	v_lshlrev_b32_e32 v18, 24, v18
	v_bfrev_b32_e32 v25, 60
	v_lshlrev_b32_e32 v23, 20, v23
	v_and_b32_e32 v18, 0x80000000, v18
	v_lshl_add_u32 v10, v10, 23, v25
	v_or3_b32 v23, v18, v10, v23
.LBB586_519:
	s_or_b64 exec, exec, s[12:13]
.LBB586_520:
	s_or_b64 exec, exec, s[10:11]
.LBB586_521:
	s_or_b64 exec, exec, s[8:9]
	v_cmp_ne_u16_sdwa s[10:11], v11, v21 src0_sel:BYTE_0 src1_sel:DWORD
	s_and_saveexec_b64 s[8:9], s[10:11]
	s_cbranch_execz .LBB586_527
; %bb.522:
	s_movk_i32 s7, 0x80
	v_cmp_ne_u16_sdwa s[12:13], v11, s7 src0_sel:BYTE_0 src1_sel:DWORD
	v_bfrev_b32_e32 v21, 1
	s_and_saveexec_b64 s[10:11], s[12:13]
	s_cbranch_execz .LBB586_526
; %bb.523:
	s_movk_i32 s7, 0x7f
	v_and_b32_e32 v10, 0x7f, v11
	v_cmp_ne_u32_e32 vcc, s7, v10
	v_mov_b32_e32 v21, 0x7f800001
	s_and_saveexec_b64 s[12:13], vcc
	s_cbranch_execz .LBB586_525
; %bb.524:
	v_and_b32_e32 v21, 7, v11
	v_ffbh_u32_e32 v27, v21
	v_min_u32_e32 v27, 32, v27
	v_mov_b32_e32 v18, v11
	v_subrev_u32_e32 v28, 28, v27
	v_lshlrev_b64 v[28:29], v28, v[18:19]
	v_lshrrev_b32_e32 v25, 3, v10
	v_sub_u32_e32 v18, 29, v27
	v_and_b32_e32 v27, 7, v28
	v_cmp_gt_u32_e32 vcc, 8, v10
	v_cndmask_b32_e32 v10, v25, v18, vcc
	v_cndmask_b32_e32 v18, v21, v27, vcc
	v_lshlrev_b32_e32 v21, 24, v11
	v_bfrev_b32_e32 v25, 60
	v_lshlrev_b32_e32 v18, 20, v18
	v_and_b32_e32 v21, 0x80000000, v21
	v_lshl_add_u32 v10, v10, 23, v25
	v_or3_b32 v21, v21, v10, v18
.LBB586_525:
	s_or_b64 exec, exec, s[12:13]
.LBB586_526:
	s_or_b64 exec, exec, s[10:11]
.LBB586_527:
	s_or_b64 exec, exec, s[8:9]
	v_lshrrev_b16_e32 v10, 8, v11
	v_cmp_ne_u16_e32 vcc, 0, v10
	v_mov_b32_e32 v25, 0
	v_mov_b32_e32 v27, 0
	s_and_saveexec_b64 s[8:9], vcc
	s_cbranch_execz .LBB586_533
; %bb.528:
	s_movk_i32 s7, 0x80
	v_cmp_ne_u16_e32 vcc, s7, v10
	v_bfrev_b32_e32 v27, 1
	s_and_saveexec_b64 s[10:11], vcc
	s_cbranch_execz .LBB586_532
; %bb.529:
	s_movk_i32 s7, 0x7f
	v_and_b32_e32 v18, 0x7f, v10
	v_cmp_ne_u32_e32 vcc, s7, v18
	v_mov_b32_e32 v27, 0x7f800001
	s_and_saveexec_b64 s[12:13], vcc
	s_cbranch_execz .LBB586_531
; %bb.530:
	v_and_b32_e32 v27, 7, v10
	v_ffbh_u32_e32 v28, v27
	v_min_u32_e32 v31, 32, v28
	v_subrev_u32_e32 v28, 28, v31
	v_lshlrev_b64 v[28:29], v28, v[10:11]
	v_lshrrev_b32_e32 v30, 3, v18
	v_sub_u32_e32 v10, 29, v31
	v_and_b32_e32 v28, 7, v28
	v_cmp_gt_u32_e32 vcc, 8, v18
	v_cndmask_b32_e32 v10, v30, v10, vcc
	v_cndmask_b32_e32 v18, v27, v28, vcc
	v_lshlrev_b32_e32 v27, 16, v11
	v_bfrev_b32_e32 v28, 60
	v_lshlrev_b32_e32 v18, 20, v18
	v_and_b32_e32 v27, 0x80000000, v27
	v_lshl_add_u32 v10, v10, 23, v28
	v_or3_b32 v27, v27, v10, v18
.LBB586_531:
	s_or_b64 exec, exec, s[12:13]
.LBB586_532:
	s_or_b64 exec, exec, s[10:11]
.LBB586_533:
	s_or_b64 exec, exec, s[8:9]
	s_movk_i32 s7, 0xff
	v_and_b32_sdwa v18, v11, s7 dst_sel:DWORD dst_unused:UNUSED_PAD src0_sel:WORD_1 src1_sel:DWORD
	v_lshrrev_b32_e32 v10, 16, v11
	v_cmp_ne_u16_e32 vcc, 0, v18
	s_and_saveexec_b64 s[8:9], vcc
	s_cbranch_execz .LBB586_539
; %bb.534:
	s_movk_i32 s7, 0x80
	v_cmp_ne_u16_e32 vcc, s7, v18
	v_bfrev_b32_e32 v25, 1
	s_and_saveexec_b64 s[10:11], vcc
	s_cbranch_execz .LBB586_538
; %bb.535:
	v_bfe_u32 v18, v11, 16, 7
	s_movk_i32 s7, 0x7f
	v_cmp_ne_u32_e32 vcc, s7, v18
	v_mov_b32_e32 v25, 0x7f800001
	s_and_saveexec_b64 s[12:13], vcc
	s_cbranch_execz .LBB586_537
; %bb.536:
	v_and_b32_e32 v25, 7, v10
	v_ffbh_u32_e32 v28, v25
	v_min_u32_e32 v31, 32, v28
	v_subrev_u32_e32 v28, 28, v31
	v_lshlrev_b64 v[28:29], v28, v[10:11]
	v_and_b32_e32 v28, 7, v28
	v_cmp_gt_u32_e32 vcc, 8, v18
	v_lshrrev_b32_e32 v30, 3, v18
	v_sub_u32_e32 v10, 29, v31
	v_cndmask_b32_e32 v18, v25, v28, vcc
	v_mov_b32_e32 v25, 24
	v_cndmask_b32_e32 v10, v30, v10, vcc
	v_lshlrev_b32_sdwa v25, v25, v11 dst_sel:DWORD dst_unused:UNUSED_PAD src0_sel:DWORD src1_sel:WORD_1
	v_bfrev_b32_e32 v28, 60
	v_lshlrev_b32_e32 v18, 20, v18
	v_and_b32_e32 v25, 0x80000000, v25
	v_lshl_add_u32 v10, v10, 23, v28
	v_or3_b32 v25, v25, v10, v18
.LBB586_537:
	s_or_b64 exec, exec, s[12:13]
.LBB586_538:
	s_or_b64 exec, exec, s[10:11]
.LBB586_539:
	s_or_b64 exec, exec, s[8:9]
	s_mov_b32 s7, 0xffffff
	v_cmp_lt_u32_e32 vcc, s7, v11
	v_mov_b32_e32 v18, 0
	v_mov_b32_e32 v28, 0
	s_and_saveexec_b64 s[8:9], vcc
	s_cbranch_execz .LBB586_545
; %bb.540:
	v_lshrrev_b32_e32 v10, 24, v11
	s_movk_i32 s7, 0x80
	v_cmp_ne_u32_e32 vcc, s7, v10
	v_bfrev_b32_e32 v28, 1
	s_and_saveexec_b64 s[10:11], vcc
	s_cbranch_execz .LBB586_544
; %bb.541:
	v_bfe_u32 v11, v11, 24, 7
	s_movk_i32 s7, 0x7f
	v_cmp_ne_u32_e32 vcc, s7, v11
	v_mov_b32_e32 v28, 0x7f800001
	s_and_saveexec_b64 s[12:13], vcc
	s_cbranch_execz .LBB586_543
; %bb.542:
	v_and_b32_e32 v30, 7, v10
	v_ffbh_u32_e32 v28, v30
	v_min_u32_e32 v32, 32, v28
	v_subrev_u32_e32 v28, 28, v32
	v_lshlrev_b64 v[28:29], v28, v[10:11]
	v_lshrrev_b32_e32 v31, 3, v11
	v_sub_u32_e32 v29, 29, v32
	v_and_b32_e32 v28, 7, v28
	v_cmp_gt_u32_e32 vcc, 8, v11
	v_cndmask_b32_e32 v11, v31, v29, vcc
	v_cndmask_b32_e32 v28, v30, v28, vcc
	v_lshlrev_b32_e32 v10, 24, v10
	v_bfrev_b32_e32 v29, 60
	v_lshlrev_b32_e32 v28, 20, v28
	v_and_b32_e32 v10, 0x80000000, v10
	v_lshl_add_u32 v11, v11, 23, v29
	v_or3_b32 v28, v10, v11, v28
.LBB586_543:
	s_or_b64 exec, exec, s[12:13]
.LBB586_544:
	s_or_b64 exec, exec, s[10:11]
.LBB586_545:
	s_or_b64 exec, exec, s[8:9]
	v_cvt_pkrtz_f16_f32 v10, v24, v20
	v_cvt_pkrtz_f16_f32 v11, v19, v23
	ds_read_b128 v[30:33], v22 offset:2048
	v_cmp_ne_u16_sdwa s[10:11], v12, v18 src0_sel:BYTE_0 src1_sel:DWORD
	s_waitcnt lgkmcnt(0)
	v_mfma_f32_16x16x16f16 v[14:17], v[10:11], v[30:31], v[14:17]
	v_cvt_pkrtz_f16_f32 v10, v21, v27
	v_cvt_pkrtz_f16_f32 v11, v25, v28
	s_nop 1
	v_mfma_f32_16x16x16f16 v[14:17], v[10:11], v[32:33], v[14:17]
	s_and_saveexec_b64 s[8:9], s[10:11]
	s_cbranch_execz .LBB586_551
; %bb.546:
	s_movk_i32 s7, 0x80
	v_cmp_ne_u16_sdwa s[12:13], v12, s7 src0_sel:BYTE_0 src1_sel:DWORD
	v_bfrev_b32_e32 v18, 1
	s_and_saveexec_b64 s[10:11], s[12:13]
	s_cbranch_execz .LBB586_550
; %bb.547:
	s_movk_i32 s7, 0x7f
	v_and_b32_e32 v10, 0x7f, v12
	v_cmp_ne_u32_e32 vcc, s7, v10
	v_mov_b32_e32 v18, 0x7f800001
	s_and_saveexec_b64 s[12:13], vcc
	s_cbranch_execz .LBB586_549
; %bb.548:
	v_and_b32_e32 v11, 7, v12
	v_ffbh_u32_e32 v18, v11
	v_min_u32_e32 v21, 32, v18
	v_subrev_u32_e32 v18, 28, v21
	v_lshlrev_b64 v[18:19], v18, v[12:13]
	v_lshrrev_b32_e32 v20, 3, v10
	v_sub_u32_e32 v19, 29, v21
	v_and_b32_e32 v18, 7, v18
	v_cmp_gt_u32_e32 vcc, 8, v10
	v_cndmask_b32_e32 v10, v20, v19, vcc
	v_cndmask_b32_e32 v11, v11, v18, vcc
	v_lshlrev_b32_e32 v18, 24, v12
	v_bfrev_b32_e32 v19, 60
	v_lshlrev_b32_e32 v11, 20, v11
	v_and_b32_e32 v18, 0x80000000, v18
	v_lshl_add_u32 v10, v10, 23, v19
	v_or3_b32 v18, v18, v10, v11
.LBB586_549:
	s_or_b64 exec, exec, s[12:13]
.LBB586_550:
	s_or_b64 exec, exec, s[10:11]
.LBB586_551:
	s_or_b64 exec, exec, s[8:9]
	v_lshrrev_b16_e32 v10, 8, v12
	v_cmp_ne_u16_e32 vcc, 0, v10
	v_mov_b32_e32 v11, 0
	v_mov_b32_e32 v20, 0
	s_and_saveexec_b64 s[8:9], vcc
	s_cbranch_execz .LBB586_557
; %bb.552:
	s_movk_i32 s7, 0x80
	v_cmp_ne_u16_e32 vcc, s7, v10
	v_bfrev_b32_e32 v20, 1
	s_and_saveexec_b64 s[10:11], vcc
	s_cbranch_execz .LBB586_556
; %bb.553:
	s_movk_i32 s7, 0x7f
	v_and_b32_e32 v19, 0x7f, v10
	v_cmp_ne_u32_e32 vcc, s7, v19
	v_mov_b32_e32 v20, 0x7f800001
	s_and_saveexec_b64 s[12:13], vcc
	s_cbranch_execz .LBB586_555
; %bb.554:
	v_and_b32_e32 v23, 7, v10
	v_ffbh_u32_e32 v20, v23
	v_min_u32_e32 v25, 32, v20
	v_subrev_u32_e32 v20, 28, v25
	v_lshlrev_b64 v[20:21], v20, v[10:11]
	v_lshrrev_b32_e32 v24, 3, v19
	v_sub_u32_e32 v10, 29, v25
	v_and_b32_e32 v20, 7, v20
	v_cmp_gt_u32_e32 vcc, 8, v19
	v_cndmask_b32_e32 v10, v24, v10, vcc
	v_cndmask_b32_e32 v19, v23, v20, vcc
	v_lshlrev_b32_e32 v20, 16, v12
	v_bfrev_b32_e32 v21, 60
	v_lshlrev_b32_e32 v19, 20, v19
	v_and_b32_e32 v20, 0x80000000, v20
	v_lshl_add_u32 v10, v10, 23, v21
	v_or3_b32 v20, v20, v10, v19
.LBB586_555:
	s_or_b64 exec, exec, s[12:13]
.LBB586_556:
	s_or_b64 exec, exec, s[10:11]
.LBB586_557:
	s_or_b64 exec, exec, s[8:9]
	s_movk_i32 s7, 0xff
	v_and_b32_sdwa v19, v12, s7 dst_sel:DWORD dst_unused:UNUSED_PAD src0_sel:WORD_1 src1_sel:DWORD
	v_lshrrev_b32_e32 v10, 16, v12
	v_cmp_ne_u16_e32 vcc, 0, v19
	s_and_saveexec_b64 s[8:9], vcc
	s_cbranch_execz .LBB586_563
; %bb.558:
	s_movk_i32 s7, 0x80
	v_cmp_ne_u16_e32 vcc, s7, v19
	v_bfrev_b32_e32 v11, 1
	s_and_saveexec_b64 s[10:11], vcc
	s_cbranch_execz .LBB586_562
; %bb.559:
	v_bfe_u32 v19, v12, 16, 7
	s_movk_i32 s7, 0x7f
	v_cmp_ne_u32_e32 vcc, s7, v19
	v_mov_b32_e32 v11, 0x7f800001
	s_and_saveexec_b64 s[12:13], vcc
	s_cbranch_execz .LBB586_561
; %bb.560:
	v_and_b32_e32 v21, 7, v10
	v_ffbh_u32_e32 v11, v21
	v_min_u32_e32 v24, 32, v11
	v_subrev_u32_e32 v11, 28, v24
	v_lshlrev_b64 v[10:11], v11, v[10:11]
	v_lshrrev_b32_e32 v23, 3, v19
	v_sub_u32_e32 v11, 29, v24
	v_and_b32_e32 v10, 7, v10
	v_cmp_gt_u32_e32 vcc, 8, v19
	v_mov_b32_e32 v19, 24
	v_cndmask_b32_e32 v11, v23, v11, vcc
	v_cndmask_b32_e32 v10, v21, v10, vcc
	v_lshlrev_b32_sdwa v19, v19, v12 dst_sel:DWORD dst_unused:UNUSED_PAD src0_sel:DWORD src1_sel:WORD_1
	v_bfrev_b32_e32 v21, 60
	v_lshlrev_b32_e32 v10, 20, v10
	v_and_b32_e32 v19, 0x80000000, v19
	v_lshl_add_u32 v11, v11, 23, v21
	v_or3_b32 v11, v19, v11, v10
.LBB586_561:
	s_or_b64 exec, exec, s[12:13]
.LBB586_562:
	s_or_b64 exec, exec, s[10:11]
.LBB586_563:
	s_or_b64 exec, exec, s[8:9]
	s_mov_b32 s7, 0xffffff
	v_cmp_lt_u32_e32 vcc, s7, v12
	v_mov_b32_e32 v21, 0
	v_mov_b32_e32 v23, 0
	s_and_saveexec_b64 s[8:9], vcc
	s_cbranch_execz .LBB586_569
; %bb.564:
	v_lshrrev_b32_e32 v10, 24, v12
	s_movk_i32 s7, 0x80
	v_cmp_ne_u32_e32 vcc, s7, v10
	v_bfrev_b32_e32 v23, 1
	s_and_saveexec_b64 s[10:11], vcc
	s_cbranch_execz .LBB586_568
; %bb.565:
	v_bfe_u32 v12, v12, 24, 7
	s_movk_i32 s7, 0x7f
	v_cmp_ne_u32_e32 vcc, s7, v12
	v_mov_b32_e32 v23, 0x7f800001
	s_and_saveexec_b64 s[12:13], vcc
	s_cbranch_execz .LBB586_567
; %bb.566:
	v_and_b32_e32 v19, 7, v10
	v_ffbh_u32_e32 v24, v19
	v_min_u32_e32 v27, 32, v24
	v_subrev_u32_e32 v24, 28, v27
	v_lshlrev_b64 v[24:25], v24, v[10:11]
	v_lshrrev_b32_e32 v23, 3, v12
	v_sub_u32_e32 v25, 29, v27
	v_and_b32_e32 v24, 7, v24
	v_cmp_gt_u32_e32 vcc, 8, v12
	v_cndmask_b32_e32 v12, v23, v25, vcc
	v_cndmask_b32_e32 v19, v19, v24, vcc
	v_lshlrev_b32_e32 v10, 24, v10
	v_bfrev_b32_e32 v23, 60
	v_lshlrev_b32_e32 v19, 20, v19
	v_and_b32_e32 v10, 0x80000000, v10
	v_lshl_add_u32 v12, v12, 23, v23
	v_or3_b32 v23, v10, v12, v19
.LBB586_567:
	s_or_b64 exec, exec, s[12:13]
.LBB586_568:
	s_or_b64 exec, exec, s[10:11]
.LBB586_569:
	s_or_b64 exec, exec, s[8:9]
	v_cmp_ne_u16_sdwa s[10:11], v13, v21 src0_sel:BYTE_0 src1_sel:DWORD
	s_and_saveexec_b64 s[8:9], s[10:11]
	s_cbranch_execz .LBB586_575
; %bb.570:
	s_movk_i32 s7, 0x80
	v_cmp_ne_u16_sdwa s[12:13], v13, s7 src0_sel:BYTE_0 src1_sel:DWORD
	v_bfrev_b32_e32 v21, 1
	s_and_saveexec_b64 s[10:11], s[12:13]
	s_cbranch_execz .LBB586_574
; %bb.571:
	s_movk_i32 s7, 0x7f
	v_and_b32_e32 v10, 0x7f, v13
	v_cmp_ne_u32_e32 vcc, s7, v10
	v_mov_b32_e32 v21, 0x7f800001
	s_and_saveexec_b64 s[12:13], vcc
	s_cbranch_execz .LBB586_573
; %bb.572:
	v_and_b32_e32 v19, 7, v13
	v_ffbh_u32_e32 v24, v19
	v_min_u32_e32 v27, 32, v24
	v_mov_b32_e32 v12, v13
	v_subrev_u32_e32 v24, 28, v27
	v_lshlrev_b64 v[24:25], v24, v[12:13]
	v_lshrrev_b32_e32 v21, 3, v10
	v_sub_u32_e32 v12, 29, v27
	v_and_b32_e32 v24, 7, v24
	v_cmp_gt_u32_e32 vcc, 8, v10
	v_cndmask_b32_e32 v10, v21, v12, vcc
	v_cndmask_b32_e32 v12, v19, v24, vcc
	v_lshlrev_b32_e32 v19, 24, v13
	v_bfrev_b32_e32 v21, 60
	v_lshlrev_b32_e32 v12, 20, v12
	v_and_b32_e32 v19, 0x80000000, v19
	v_lshl_add_u32 v10, v10, 23, v21
	v_or3_b32 v21, v19, v10, v12
.LBB586_573:
	s_or_b64 exec, exec, s[12:13]
.LBB586_574:
	s_or_b64 exec, exec, s[10:11]
.LBB586_575:
	s_or_b64 exec, exec, s[8:9]
	v_lshrrev_b16_e32 v10, 8, v13
	v_cmp_ne_u16_e32 vcc, 0, v10
	v_mov_b32_e32 v12, 0
	v_mov_b32_e32 v24, 0
	s_and_saveexec_b64 s[8:9], vcc
	s_cbranch_execz .LBB586_581
; %bb.576:
	s_movk_i32 s7, 0x80
	v_cmp_ne_u16_e32 vcc, s7, v10
	v_bfrev_b32_e32 v24, 1
	s_and_saveexec_b64 s[10:11], vcc
	s_cbranch_execz .LBB586_580
; %bb.577:
	s_movk_i32 s7, 0x7f
	v_and_b32_e32 v19, 0x7f, v10
	v_cmp_ne_u32_e32 vcc, s7, v19
	v_mov_b32_e32 v24, 0x7f800001
	s_and_saveexec_b64 s[12:13], vcc
	s_cbranch_execz .LBB586_579
; %bb.578:
	v_and_b32_e32 v27, 7, v10
	v_ffbh_u32_e32 v24, v27
	v_min_u32_e32 v29, 32, v24
	v_subrev_u32_e32 v24, 28, v29
	v_lshlrev_b64 v[24:25], v24, v[10:11]
	v_lshrrev_b32_e32 v28, 3, v19
	v_sub_u32_e32 v10, 29, v29
	v_and_b32_e32 v24, 7, v24
	v_cmp_gt_u32_e32 vcc, 8, v19
	v_cndmask_b32_e32 v10, v28, v10, vcc
	v_cndmask_b32_e32 v19, v27, v24, vcc
	v_lshlrev_b32_e32 v24, 16, v13
	v_bfrev_b32_e32 v25, 60
	v_lshlrev_b32_e32 v19, 20, v19
	v_and_b32_e32 v24, 0x80000000, v24
	v_lshl_add_u32 v10, v10, 23, v25
	v_or3_b32 v24, v24, v10, v19
.LBB586_579:
	s_or_b64 exec, exec, s[12:13]
.LBB586_580:
	s_or_b64 exec, exec, s[10:11]
.LBB586_581:
	s_or_b64 exec, exec, s[8:9]
	s_movk_i32 s7, 0xff
	v_and_b32_sdwa v19, v13, s7 dst_sel:DWORD dst_unused:UNUSED_PAD src0_sel:WORD_1 src1_sel:DWORD
	v_lshrrev_b32_e32 v10, 16, v13
	v_cmp_ne_u16_e32 vcc, 0, v19
	s_and_saveexec_b64 s[8:9], vcc
	s_cbranch_execz .LBB586_587
; %bb.582:
	s_movk_i32 s7, 0x80
	v_cmp_ne_u16_e32 vcc, s7, v19
	v_bfrev_b32_e32 v12, 1
	s_and_saveexec_b64 s[10:11], vcc
	s_cbranch_execz .LBB586_586
; %bb.583:
	v_bfe_u32 v19, v13, 16, 7
	s_movk_i32 s7, 0x7f
	v_cmp_ne_u32_e32 vcc, s7, v19
	v_mov_b32_e32 v12, 0x7f800001
	s_and_saveexec_b64 s[12:13], vcc
	s_cbranch_execz .LBB586_585
; %bb.584:
	v_and_b32_e32 v12, 7, v10
	v_ffbh_u32_e32 v27, v12
	v_min_u32_e32 v27, 32, v27
	v_subrev_u32_e32 v28, 28, v27
	v_lshlrev_b64 v[28:29], v28, v[10:11]
	v_lshrrev_b32_e32 v25, 3, v19
	v_sub_u32_e32 v10, 29, v27
	v_and_b32_e32 v27, 7, v28
	v_cmp_gt_u32_e32 vcc, 8, v19
	v_mov_b32_e32 v19, 24
	v_cndmask_b32_e32 v10, v25, v10, vcc
	v_cndmask_b32_e32 v12, v12, v27, vcc
	v_lshlrev_b32_sdwa v19, v19, v13 dst_sel:DWORD dst_unused:UNUSED_PAD src0_sel:DWORD src1_sel:WORD_1
	v_bfrev_b32_e32 v25, 60
	v_lshlrev_b32_e32 v12, 20, v12
	v_and_b32_e32 v19, 0x80000000, v19
	v_lshl_add_u32 v10, v10, 23, v25
	v_or3_b32 v12, v19, v10, v12
.LBB586_585:
	s_or_b64 exec, exec, s[12:13]
.LBB586_586:
	s_or_b64 exec, exec, s[10:11]
.LBB586_587:
	s_or_b64 exec, exec, s[8:9]
	s_mov_b32 s7, 0xffffff
	v_cmp_lt_u32_e32 vcc, s7, v13
	v_mov_b32_e32 v19, 0
	v_mov_b32_e32 v25, 0
	s_and_saveexec_b64 s[8:9], vcc
	s_cbranch_execz .LBB586_593
; %bb.588:
	v_lshrrev_b32_e32 v10, 24, v13
	s_movk_i32 s7, 0x80
	v_cmp_ne_u32_e32 vcc, s7, v10
	v_bfrev_b32_e32 v25, 1
	s_and_saveexec_b64 s[10:11], vcc
	s_cbranch_execz .LBB586_592
; %bb.589:
	v_bfe_u32 v13, v13, 24, 7
	s_movk_i32 s7, 0x7f
	v_cmp_ne_u32_e32 vcc, s7, v13
	v_mov_b32_e32 v25, 0x7f800001
	s_and_saveexec_b64 s[12:13], vcc
	s_cbranch_execz .LBB586_591
; %bb.590:
	v_and_b32_e32 v25, 7, v10
	v_ffbh_u32_e32 v28, v25
	v_min_u32_e32 v30, 32, v28
	v_subrev_u32_e32 v28, 28, v30
	v_lshlrev_b64 v[28:29], v28, v[10:11]
	v_lshrrev_b32_e32 v27, 3, v13
	v_sub_u32_e32 v29, 29, v30
	v_and_b32_e32 v28, 7, v28
	v_cmp_gt_u32_e32 vcc, 8, v13
	v_cndmask_b32_e32 v13, v27, v29, vcc
	v_cndmask_b32_e32 v25, v25, v28, vcc
	v_lshlrev_b32_e32 v10, 24, v10
	v_bfrev_b32_e32 v27, 60
	v_lshlrev_b32_e32 v25, 20, v25
	v_and_b32_e32 v10, 0x80000000, v10
	v_lshl_add_u32 v13, v13, 23, v27
	v_or3_b32 v25, v10, v13, v25
.LBB586_591:
	s_or_b64 exec, exec, s[12:13]
.LBB586_592:
	s_or_b64 exec, exec, s[10:11]
.LBB586_593:
	s_or_b64 exec, exec, s[8:9]
	v_cvt_pkrtz_f16_f32 v10, v18, v20
	v_cvt_pkrtz_f16_f32 v11, v11, v23
	ds_read_b128 v[28:31], v22 offset:2064
	s_waitcnt vmcnt(1)
	v_cmp_ne_u16_sdwa s[10:11], v6, v19 src0_sel:BYTE_0 src1_sel:DWORD
	s_waitcnt lgkmcnt(0)
	v_mfma_f32_16x16x16f16 v[14:17], v[10:11], v[28:29], v[14:17]
	v_cvt_pkrtz_f16_f32 v10, v21, v24
	v_cvt_pkrtz_f16_f32 v11, v12, v25
	s_nop 1
	v_mfma_f32_16x16x16f16 v[10:13], v[10:11], v[30:31], v[14:17]
	s_and_saveexec_b64 s[8:9], s[10:11]
	s_cbranch_execz .LBB586_599
; %bb.594:
	s_movk_i32 s7, 0x80
	v_cmp_ne_u16_sdwa s[12:13], v6, s7 src0_sel:BYTE_0 src1_sel:DWORD
	v_bfrev_b32_e32 v19, 1
	s_and_saveexec_b64 s[10:11], s[12:13]
	s_cbranch_execz .LBB586_598
; %bb.595:
	s_movk_i32 s7, 0x7f
	v_and_b32_e32 v14, 0x7f, v6
	v_cmp_ne_u32_e32 vcc, s7, v14
	v_mov_b32_e32 v19, 0x7f800001
	s_and_saveexec_b64 s[12:13], vcc
	s_cbranch_execz .LBB586_597
; %bb.596:
	v_and_b32_e32 v15, 7, v6
	v_ffbh_u32_e32 v16, v15
	v_min_u32_e32 v19, 32, v16
	v_subrev_u32_e32 v16, 28, v19
	v_lshlrev_b64 v[16:17], v16, v[6:7]
	v_lshrrev_b32_e32 v18, 3, v14
	v_sub_u32_e32 v17, 29, v19
	v_and_b32_e32 v16, 7, v16
	v_cmp_gt_u32_e32 vcc, 8, v14
	v_cndmask_b32_e32 v14, v18, v17, vcc
	v_cndmask_b32_e32 v15, v15, v16, vcc
	v_lshlrev_b32_e32 v16, 24, v6
	v_bfrev_b32_e32 v17, 60
	v_lshlrev_b32_e32 v15, 20, v15
	v_and_b32_e32 v16, 0x80000000, v16
	v_lshl_add_u32 v14, v14, 23, v17
	v_or3_b32 v19, v16, v14, v15
.LBB586_597:
	s_or_b64 exec, exec, s[12:13]
.LBB586_598:
	s_or_b64 exec, exec, s[10:11]
.LBB586_599:
	s_or_b64 exec, exec, s[8:9]
	s_nop 3
	v_lshrrev_b16_e32 v14, 8, v6
	v_cmp_ne_u16_e32 vcc, 0, v14
	v_mov_b32_e32 v15, 0
	v_mov_b32_e32 v16, 0
	s_and_saveexec_b64 s[8:9], vcc
	s_cbranch_execz .LBB586_605
; %bb.600:
	s_movk_i32 s7, 0x80
	v_cmp_ne_u16_e32 vcc, s7, v14
	v_bfrev_b32_e32 v16, 1
	s_and_saveexec_b64 s[10:11], vcc
	s_cbranch_execz .LBB586_604
; %bb.601:
	s_movk_i32 s7, 0x7f
	v_and_b32_e32 v17, 0x7f, v14
	v_cmp_ne_u32_e32 vcc, s7, v17
	v_mov_b32_e32 v16, 0x7f800001
	s_and_saveexec_b64 s[12:13], vcc
	s_cbranch_execz .LBB586_603
; %bb.602:
	v_and_b32_e32 v16, 7, v14
	v_ffbh_u32_e32 v20, v16
	v_min_u32_e32 v23, 32, v20
	v_subrev_u32_e32 v20, 28, v23
	v_lshlrev_b64 v[20:21], v20, v[14:15]
	v_lshrrev_b32_e32 v18, 3, v17
	v_sub_u32_e32 v14, 29, v23
	v_and_b32_e32 v20, 7, v20
	v_cmp_gt_u32_e32 vcc, 8, v17
	v_cndmask_b32_e32 v14, v18, v14, vcc
	v_cndmask_b32_e32 v16, v16, v20, vcc
	v_lshlrev_b32_e32 v17, 16, v6
	v_bfrev_b32_e32 v18, 60
	v_lshlrev_b32_e32 v16, 20, v16
	v_and_b32_e32 v17, 0x80000000, v17
	v_lshl_add_u32 v14, v14, 23, v18
	v_or3_b32 v16, v17, v14, v16
.LBB586_603:
	s_or_b64 exec, exec, s[12:13]
.LBB586_604:
	s_or_b64 exec, exec, s[10:11]
.LBB586_605:
	s_or_b64 exec, exec, s[8:9]
	s_movk_i32 s7, 0xff
	v_and_b32_sdwa v17, v6, s7 dst_sel:DWORD dst_unused:UNUSED_PAD src0_sel:WORD_1 src1_sel:DWORD
	v_lshrrev_b32_e32 v14, 16, v6
	v_cmp_ne_u16_e32 vcc, 0, v17
	s_and_saveexec_b64 s[8:9], vcc
	s_cbranch_execz .LBB586_611
; %bb.606:
	s_movk_i32 s7, 0x80
	v_cmp_ne_u16_e32 vcc, s7, v17
	v_bfrev_b32_e32 v15, 1
	s_and_saveexec_b64 s[10:11], vcc
	s_cbranch_execz .LBB586_610
; %bb.607:
	v_bfe_u32 v17, v6, 16, 7
	s_movk_i32 s7, 0x7f
	v_cmp_ne_u32_e32 vcc, s7, v17
	v_mov_b32_e32 v15, 0x7f800001
	s_and_saveexec_b64 s[12:13], vcc
	s_cbranch_execz .LBB586_609
; %bb.608:
	v_and_b32_e32 v18, 7, v14
	v_ffbh_u32_e32 v15, v18
	v_min_u32_e32 v21, 32, v15
	v_subrev_u32_e32 v15, 28, v21
	v_lshlrev_b64 v[14:15], v15, v[14:15]
	v_lshrrev_b32_e32 v20, 3, v17
	v_sub_u32_e32 v15, 29, v21
	v_and_b32_e32 v14, 7, v14
	v_cmp_gt_u32_e32 vcc, 8, v17
	v_mov_b32_e32 v17, 24
	v_cndmask_b32_e32 v15, v20, v15, vcc
	v_cndmask_b32_e32 v14, v18, v14, vcc
	v_lshlrev_b32_sdwa v17, v17, v6 dst_sel:DWORD dst_unused:UNUSED_PAD src0_sel:DWORD src1_sel:WORD_1
	v_bfrev_b32_e32 v18, 60
	v_lshlrev_b32_e32 v14, 20, v14
	v_and_b32_e32 v17, 0x80000000, v17
	v_lshl_add_u32 v15, v15, 23, v18
	v_or3_b32 v15, v17, v15, v14
.LBB586_609:
	s_or_b64 exec, exec, s[12:13]
.LBB586_610:
	s_or_b64 exec, exec, s[10:11]
.LBB586_611:
	s_or_b64 exec, exec, s[8:9]
	s_mov_b32 s7, 0xffffff
	v_cmp_lt_u32_e32 vcc, s7, v6
	v_mov_b32_e32 v17, 0
	v_mov_b32_e32 v18, 0
	s_and_saveexec_b64 s[8:9], vcc
	s_cbranch_execz .LBB586_617
; %bb.612:
	v_lshrrev_b32_e32 v14, 24, v6
	s_movk_i32 s7, 0x80
	v_cmp_ne_u32_e32 vcc, s7, v14
	v_bfrev_b32_e32 v18, 1
	s_and_saveexec_b64 s[10:11], vcc
	s_cbranch_execz .LBB586_616
; %bb.613:
	v_bfe_u32 v6, v6, 24, 7
	s_movk_i32 s7, 0x7f
	v_cmp_ne_u32_e32 vcc, s7, v6
	v_mov_b32_e32 v18, 0x7f800001
	s_and_saveexec_b64 s[12:13], vcc
	s_cbranch_execz .LBB586_615
; %bb.614:
	v_and_b32_e32 v18, 7, v14
	v_ffbh_u32_e32 v20, v18
	v_min_u32_e32 v24, 32, v20
	v_subrev_u32_e32 v20, 28, v24
	v_lshlrev_b64 v[20:21], v20, v[14:15]
	v_lshrrev_b32_e32 v23, 3, v6
	v_sub_u32_e32 v21, 29, v24
	v_and_b32_e32 v20, 7, v20
	v_cmp_gt_u32_e32 vcc, 8, v6
	v_cndmask_b32_e32 v6, v23, v21, vcc
	v_cndmask_b32_e32 v18, v18, v20, vcc
	v_lshlrev_b32_e32 v14, 24, v14
	v_bfrev_b32_e32 v20, 60
	v_lshlrev_b32_e32 v18, 20, v18
	v_and_b32_e32 v14, 0x80000000, v14
	v_lshl_add_u32 v6, v6, 23, v20
	v_or3_b32 v18, v14, v6, v18
.LBB586_615:
	s_or_b64 exec, exec, s[12:13]
.LBB586_616:
	s_or_b64 exec, exec, s[10:11]
.LBB586_617:
	s_or_b64 exec, exec, s[8:9]
	v_cmp_ne_u16_sdwa s[10:11], v7, v17 src0_sel:BYTE_0 src1_sel:DWORD
	s_and_saveexec_b64 s[8:9], s[10:11]
	s_cbranch_execz .LBB586_623
; %bb.618:
	s_movk_i32 s7, 0x80
	v_cmp_ne_u16_sdwa s[12:13], v7, s7 src0_sel:BYTE_0 src1_sel:DWORD
	v_bfrev_b32_e32 v17, 1
	s_and_saveexec_b64 s[10:11], s[12:13]
	s_cbranch_execz .LBB586_622
; %bb.619:
	s_movk_i32 s7, 0x7f
	v_and_b32_e32 v6, 0x7f, v7
	v_cmp_ne_u32_e32 vcc, s7, v6
	v_mov_b32_e32 v17, 0x7f800001
	s_and_saveexec_b64 s[12:13], vcc
	s_cbranch_execz .LBB586_621
; %bb.620:
	v_and_b32_e32 v17, 7, v7
	v_ffbh_u32_e32 v20, v17
	v_min_u32_e32 v24, 32, v20
	v_mov_b32_e32 v14, v7
	v_subrev_u32_e32 v20, 28, v24
	v_lshlrev_b64 v[20:21], v20, v[14:15]
	v_lshrrev_b32_e32 v23, 3, v6
	v_sub_u32_e32 v14, 29, v24
	v_and_b32_e32 v20, 7, v20
	v_cmp_gt_u32_e32 vcc, 8, v6
	v_cndmask_b32_e32 v6, v23, v14, vcc
	v_cndmask_b32_e32 v14, v17, v20, vcc
	v_lshlrev_b32_e32 v17, 24, v7
	v_bfrev_b32_e32 v20, 60
	v_lshlrev_b32_e32 v14, 20, v14
	v_and_b32_e32 v17, 0x80000000, v17
	v_lshl_add_u32 v6, v6, 23, v20
	v_or3_b32 v17, v17, v6, v14
.LBB586_621:
	s_or_b64 exec, exec, s[12:13]
.LBB586_622:
	s_or_b64 exec, exec, s[10:11]
.LBB586_623:
	s_or_b64 exec, exec, s[8:9]
	v_lshrrev_b16_e32 v6, 8, v7
	v_cmp_ne_u16_e32 vcc, 0, v6
	v_mov_b32_e32 v20, 0
	v_mov_b32_e32 v21, 0
	s_and_saveexec_b64 s[8:9], vcc
	s_cbranch_execz .LBB586_629
; %bb.624:
	s_movk_i32 s7, 0x80
	v_cmp_ne_u16_e32 vcc, s7, v6
	v_bfrev_b32_e32 v21, 1
	s_and_saveexec_b64 s[10:11], vcc
	s_cbranch_execz .LBB586_628
; %bb.625:
	s_movk_i32 s7, 0x7f
	v_and_b32_e32 v14, 0x7f, v6
	v_cmp_ne_u32_e32 vcc, s7, v14
	v_mov_b32_e32 v21, 0x7f800001
	s_and_saveexec_b64 s[12:13], vcc
	s_cbranch_execz .LBB586_627
; %bb.626:
	v_and_b32_e32 v21, 7, v6
	v_ffbh_u32_e32 v24, v21
	v_min_u32_e32 v27, 32, v24
	v_subrev_u32_e32 v24, 28, v27
	v_lshlrev_b64 v[24:25], v24, v[6:7]
	v_lshrrev_b32_e32 v23, 3, v14
	v_sub_u32_e32 v6, 29, v27
	v_and_b32_e32 v24, 7, v24
	v_cmp_gt_u32_e32 vcc, 8, v14
	v_cndmask_b32_e32 v6, v23, v6, vcc
	v_cndmask_b32_e32 v14, v21, v24, vcc
	v_lshlrev_b32_e32 v21, 16, v7
	v_bfrev_b32_e32 v23, 60
	v_lshlrev_b32_e32 v14, 20, v14
	v_and_b32_e32 v21, 0x80000000, v21
	v_lshl_add_u32 v6, v6, 23, v23
	v_or3_b32 v21, v21, v6, v14
.LBB586_627:
	s_or_b64 exec, exec, s[12:13]
.LBB586_628:
	s_or_b64 exec, exec, s[10:11]
.LBB586_629:
	s_or_b64 exec, exec, s[8:9]
	s_movk_i32 s7, 0xff
	v_and_b32_sdwa v14, v7, s7 dst_sel:DWORD dst_unused:UNUSED_PAD src0_sel:WORD_1 src1_sel:DWORD
	v_lshrrev_b32_e32 v6, 16, v7
	v_cmp_ne_u16_e32 vcc, 0, v14
	s_and_saveexec_b64 s[8:9], vcc
	s_cbranch_execz .LBB586_635
; %bb.630:
	s_movk_i32 s7, 0x80
	v_cmp_ne_u16_e32 vcc, s7, v14
	v_bfrev_b32_e32 v20, 1
	s_and_saveexec_b64 s[10:11], vcc
	s_cbranch_execz .LBB586_634
; %bb.631:
	v_bfe_u32 v14, v7, 16, 7
	s_movk_i32 s7, 0x7f
	v_cmp_ne_u32_e32 vcc, s7, v14
	v_mov_b32_e32 v20, 0x7f800001
	s_and_saveexec_b64 s[12:13], vcc
	s_cbranch_execz .LBB586_633
; %bb.632:
	v_and_b32_e32 v20, 7, v6
	v_ffbh_u32_e32 v24, v20
	v_min_u32_e32 v27, 32, v24
	v_subrev_u32_e32 v24, 28, v27
	v_lshlrev_b64 v[24:25], v24, v[6:7]
	v_and_b32_e32 v24, 7, v24
	v_cmp_gt_u32_e32 vcc, 8, v14
	v_lshrrev_b32_e32 v23, 3, v14
	v_sub_u32_e32 v6, 29, v27
	v_cndmask_b32_e32 v14, v20, v24, vcc
	v_mov_b32_e32 v20, 24
	v_cndmask_b32_e32 v6, v23, v6, vcc
	v_lshlrev_b32_sdwa v20, v20, v7 dst_sel:DWORD dst_unused:UNUSED_PAD src0_sel:DWORD src1_sel:WORD_1
	v_bfrev_b32_e32 v23, 60
	v_lshlrev_b32_e32 v14, 20, v14
	v_and_b32_e32 v20, 0x80000000, v20
	v_lshl_add_u32 v6, v6, 23, v23
	v_or3_b32 v20, v20, v6, v14
.LBB586_633:
	s_or_b64 exec, exec, s[12:13]
.LBB586_634:
	s_or_b64 exec, exec, s[10:11]
.LBB586_635:
	s_or_b64 exec, exec, s[8:9]
	s_mov_b32 s7, 0xffffff
	v_cmp_lt_u32_e32 vcc, s7, v7
	v_mov_b32_e32 v14, 0
	v_mov_b32_e32 v23, 0
	s_and_saveexec_b64 s[8:9], vcc
	s_cbranch_execz .LBB586_641
; %bb.636:
	v_lshrrev_b32_e32 v6, 24, v7
	s_movk_i32 s7, 0x80
	v_cmp_ne_u32_e32 vcc, s7, v6
	v_bfrev_b32_e32 v23, 1
	s_and_saveexec_b64 s[10:11], vcc
	s_cbranch_execz .LBB586_640
; %bb.637:
	v_bfe_u32 v7, v7, 24, 7
	s_movk_i32 s7, 0x7f
	v_cmp_ne_u32_e32 vcc, s7, v7
	v_mov_b32_e32 v23, 0x7f800001
	s_and_saveexec_b64 s[12:13], vcc
	s_cbranch_execz .LBB586_639
; %bb.638:
	v_and_b32_e32 v23, 7, v6
	v_ffbh_u32_e32 v24, v23
	v_min_u32_e32 v28, 32, v24
	v_subrev_u32_e32 v24, 28, v28
	v_lshlrev_b64 v[24:25], v24, v[6:7]
	v_lshrrev_b32_e32 v27, 3, v7
	v_sub_u32_e32 v25, 29, v28
	v_and_b32_e32 v24, 7, v24
	v_cmp_gt_u32_e32 vcc, 8, v7
	v_cndmask_b32_e32 v7, v27, v25, vcc
	v_cndmask_b32_e32 v23, v23, v24, vcc
	v_lshlrev_b32_e32 v6, 24, v6
	v_bfrev_b32_e32 v24, 60
	v_lshlrev_b32_e32 v23, 20, v23
	v_and_b32_e32 v6, 0x80000000, v6
	v_lshl_add_u32 v7, v7, 23, v24
	v_or3_b32 v23, v6, v7, v23
.LBB586_639:
	s_or_b64 exec, exec, s[12:13]
.LBB586_640:
	s_or_b64 exec, exec, s[10:11]
.LBB586_641:
	s_or_b64 exec, exec, s[8:9]
	v_cvt_pkrtz_f16_f32 v6, v19, v16
	v_cvt_pkrtz_f16_f32 v7, v15, v18
	ds_read_b128 v[28:31], v22 offset:4096
	v_cmp_ne_u16_sdwa s[10:11], v8, v14 src0_sel:BYTE_0 src1_sel:DWORD
	s_waitcnt lgkmcnt(0)
	v_mfma_f32_16x16x16f16 v[10:13], v[6:7], v[28:29], v[10:13]
	v_cvt_pkrtz_f16_f32 v6, v17, v21
	v_cvt_pkrtz_f16_f32 v7, v20, v23
	s_nop 1
	v_mfma_f32_16x16x16f16 v[10:13], v[6:7], v[30:31], v[10:13]
	s_and_saveexec_b64 s[8:9], s[10:11]
	s_cbranch_execz .LBB586_647
; %bb.642:
	s_movk_i32 s7, 0x80
	v_cmp_ne_u16_sdwa s[12:13], v8, s7 src0_sel:BYTE_0 src1_sel:DWORD
	v_bfrev_b32_e32 v14, 1
	s_and_saveexec_b64 s[10:11], s[12:13]
	s_cbranch_execz .LBB586_646
; %bb.643:
	s_movk_i32 s7, 0x7f
	v_and_b32_e32 v6, 0x7f, v8
	v_cmp_ne_u32_e32 vcc, s7, v6
	v_mov_b32_e32 v14, 0x7f800001
	s_and_saveexec_b64 s[12:13], vcc
	s_cbranch_execz .LBB586_645
; %bb.644:
	v_and_b32_e32 v7, 7, v8
	v_ffbh_u32_e32 v14, v7
	v_min_u32_e32 v17, 32, v14
	v_subrev_u32_e32 v14, 28, v17
	v_lshlrev_b64 v[14:15], v14, v[8:9]
	v_lshrrev_b32_e32 v16, 3, v6
	v_sub_u32_e32 v15, 29, v17
	v_and_b32_e32 v14, 7, v14
	v_cmp_gt_u32_e32 vcc, 8, v6
	v_cndmask_b32_e32 v6, v16, v15, vcc
	v_cndmask_b32_e32 v7, v7, v14, vcc
	v_lshlrev_b32_e32 v14, 24, v8
	v_bfrev_b32_e32 v15, 60
	v_lshlrev_b32_e32 v7, 20, v7
	v_and_b32_e32 v14, 0x80000000, v14
	v_lshl_add_u32 v6, v6, 23, v15
	v_or3_b32 v14, v14, v6, v7
.LBB586_645:
	s_or_b64 exec, exec, s[12:13]
.LBB586_646:
	s_or_b64 exec, exec, s[10:11]
.LBB586_647:
	s_or_b64 exec, exec, s[8:9]
	v_lshrrev_b16_e32 v6, 8, v8
	v_cmp_ne_u16_e32 vcc, 0, v6
	v_mov_b32_e32 v7, 0
	v_mov_b32_e32 v16, 0
	s_and_saveexec_b64 s[8:9], vcc
	s_cbranch_execz .LBB586_653
; %bb.648:
	s_movk_i32 s7, 0x80
	v_cmp_ne_u16_e32 vcc, s7, v6
	v_bfrev_b32_e32 v16, 1
	s_and_saveexec_b64 s[10:11], vcc
	s_cbranch_execz .LBB586_652
; %bb.649:
	s_movk_i32 s7, 0x7f
	v_and_b32_e32 v15, 0x7f, v6
	v_cmp_ne_u32_e32 vcc, s7, v15
	v_mov_b32_e32 v16, 0x7f800001
	s_and_saveexec_b64 s[12:13], vcc
	s_cbranch_execz .LBB586_651
; %bb.650:
	v_and_b32_e32 v18, 7, v6
	v_ffbh_u32_e32 v16, v18
	v_min_u32_e32 v20, 32, v16
	v_subrev_u32_e32 v16, 28, v20
	v_lshlrev_b64 v[16:17], v16, v[6:7]
	v_lshrrev_b32_e32 v19, 3, v15
	v_sub_u32_e32 v6, 29, v20
	v_and_b32_e32 v16, 7, v16
	v_cmp_gt_u32_e32 vcc, 8, v15
	v_cndmask_b32_e32 v6, v19, v6, vcc
	v_cndmask_b32_e32 v15, v18, v16, vcc
	v_lshlrev_b32_e32 v16, 16, v8
	v_bfrev_b32_e32 v17, 60
	v_lshlrev_b32_e32 v15, 20, v15
	v_and_b32_e32 v16, 0x80000000, v16
	v_lshl_add_u32 v6, v6, 23, v17
	v_or3_b32 v16, v16, v6, v15
.LBB586_651:
	s_or_b64 exec, exec, s[12:13]
.LBB586_652:
	s_or_b64 exec, exec, s[10:11]
.LBB586_653:
	s_or_b64 exec, exec, s[8:9]
	s_movk_i32 s7, 0xff
	v_and_b32_sdwa v15, v8, s7 dst_sel:DWORD dst_unused:UNUSED_PAD src0_sel:WORD_1 src1_sel:DWORD
	v_lshrrev_b32_e32 v6, 16, v8
	v_cmp_ne_u16_e32 vcc, 0, v15
	s_and_saveexec_b64 s[8:9], vcc
	s_cbranch_execz .LBB586_659
; %bb.654:
	s_movk_i32 s7, 0x80
	v_cmp_ne_u16_e32 vcc, s7, v15
	v_bfrev_b32_e32 v7, 1
	s_and_saveexec_b64 s[10:11], vcc
	s_cbranch_execz .LBB586_658
; %bb.655:
	v_bfe_u32 v15, v8, 16, 7
	s_movk_i32 s7, 0x7f
	v_cmp_ne_u32_e32 vcc, s7, v15
	v_mov_b32_e32 v7, 0x7f800001
	s_and_saveexec_b64 s[12:13], vcc
	s_cbranch_execz .LBB586_657
; %bb.656:
	v_and_b32_e32 v17, 7, v6
	v_ffbh_u32_e32 v7, v17
	v_min_u32_e32 v19, 32, v7
	v_subrev_u32_e32 v7, 28, v19
	v_lshlrev_b64 v[6:7], v7, v[6:7]
	v_lshrrev_b32_e32 v18, 3, v15
	v_sub_u32_e32 v7, 29, v19
	v_and_b32_e32 v6, 7, v6
	v_cmp_gt_u32_e32 vcc, 8, v15
	v_mov_b32_e32 v15, 24
	v_cndmask_b32_e32 v7, v18, v7, vcc
	v_cndmask_b32_e32 v6, v17, v6, vcc
	v_lshlrev_b32_sdwa v15, v15, v8 dst_sel:DWORD dst_unused:UNUSED_PAD src0_sel:DWORD src1_sel:WORD_1
	v_bfrev_b32_e32 v17, 60
	v_lshlrev_b32_e32 v6, 20, v6
	v_and_b32_e32 v15, 0x80000000, v15
	v_lshl_add_u32 v7, v7, 23, v17
	v_or3_b32 v7, v15, v7, v6
.LBB586_657:
	s_or_b64 exec, exec, s[12:13]
.LBB586_658:
	s_or_b64 exec, exec, s[10:11]
.LBB586_659:
	s_or_b64 exec, exec, s[8:9]
	s_mov_b32 s7, 0xffffff
	v_cmp_lt_u32_e32 vcc, s7, v8
	v_mov_b32_e32 v17, 0
	v_mov_b32_e32 v18, 0
	s_and_saveexec_b64 s[8:9], vcc
	s_cbranch_execz .LBB586_665
; %bb.660:
	v_lshrrev_b32_e32 v6, 24, v8
	s_movk_i32 s7, 0x80
	v_cmp_ne_u32_e32 vcc, s7, v6
	v_bfrev_b32_e32 v18, 1
	s_and_saveexec_b64 s[10:11], vcc
	s_cbranch_execz .LBB586_664
; %bb.661:
	v_bfe_u32 v8, v8, 24, 7
	s_movk_i32 s7, 0x7f
	v_cmp_ne_u32_e32 vcc, s7, v8
	v_mov_b32_e32 v18, 0x7f800001
	s_and_saveexec_b64 s[12:13], vcc
	s_cbranch_execz .LBB586_663
; %bb.662:
	v_and_b32_e32 v15, 7, v6
	v_ffbh_u32_e32 v18, v15
	v_min_u32_e32 v21, 32, v18
	v_subrev_u32_e32 v18, 28, v21
	v_lshlrev_b64 v[18:19], v18, v[6:7]
	v_lshrrev_b32_e32 v20, 3, v8
	v_sub_u32_e32 v19, 29, v21
	v_and_b32_e32 v18, 7, v18
	v_cmp_gt_u32_e32 vcc, 8, v8
	v_cndmask_b32_e32 v8, v20, v19, vcc
	v_cndmask_b32_e32 v15, v15, v18, vcc
	v_lshlrev_b32_e32 v6, 24, v6
	v_bfrev_b32_e32 v18, 60
	v_lshlrev_b32_e32 v15, 20, v15
	v_and_b32_e32 v6, 0x80000000, v6
	v_lshl_add_u32 v8, v8, 23, v18
	v_or3_b32 v18, v6, v8, v15
.LBB586_663:
	s_or_b64 exec, exec, s[12:13]
.LBB586_664:
	s_or_b64 exec, exec, s[10:11]
.LBB586_665:
	s_or_b64 exec, exec, s[8:9]
	v_cmp_ne_u16_sdwa s[10:11], v9, v17 src0_sel:BYTE_0 src1_sel:DWORD
	s_and_saveexec_b64 s[8:9], s[10:11]
	s_cbranch_execz .LBB586_671
; %bb.666:
	s_movk_i32 s7, 0x80
	v_cmp_ne_u16_sdwa s[12:13], v9, s7 src0_sel:BYTE_0 src1_sel:DWORD
	v_bfrev_b32_e32 v17, 1
	s_and_saveexec_b64 s[10:11], s[12:13]
	s_cbranch_execz .LBB586_670
; %bb.667:
	s_movk_i32 s7, 0x7f
	v_and_b32_e32 v6, 0x7f, v9
	v_cmp_ne_u32_e32 vcc, s7, v6
	v_mov_b32_e32 v17, 0x7f800001
	s_and_saveexec_b64 s[12:13], vcc
	s_cbranch_execz .LBB586_669
; %bb.668:
	v_and_b32_e32 v15, 7, v9
	v_ffbh_u32_e32 v19, v15
	v_min_u32_e32 v19, 32, v19
	v_mov_b32_e32 v8, v9
	v_subrev_u32_e32 v20, 28, v19
	v_lshlrev_b64 v[20:21], v20, v[8:9]
	v_lshrrev_b32_e32 v17, 3, v6
	v_sub_u32_e32 v8, 29, v19
	v_and_b32_e32 v19, 7, v20
	v_cmp_gt_u32_e32 vcc, 8, v6
	v_cndmask_b32_e32 v6, v17, v8, vcc
	v_cndmask_b32_e32 v8, v15, v19, vcc
	v_lshlrev_b32_e32 v15, 24, v9
	v_bfrev_b32_e32 v17, 60
	v_lshlrev_b32_e32 v8, 20, v8
	v_and_b32_e32 v15, 0x80000000, v15
	v_lshl_add_u32 v6, v6, 23, v17
	v_or3_b32 v17, v15, v6, v8
.LBB586_669:
	s_or_b64 exec, exec, s[12:13]
.LBB586_670:
	s_or_b64 exec, exec, s[10:11]
.LBB586_671:
	s_or_b64 exec, exec, s[8:9]
	v_lshrrev_b16_e32 v6, 8, v9
	v_cmp_ne_u16_e32 vcc, 0, v6
	v_mov_b32_e32 v8, 0
	v_mov_b32_e32 v19, 0
	s_and_saveexec_b64 s[8:9], vcc
	s_cbranch_execz .LBB586_677
; %bb.672:
	s_movk_i32 s7, 0x80
	v_cmp_ne_u16_e32 vcc, s7, v6
	v_bfrev_b32_e32 v19, 1
	s_and_saveexec_b64 s[10:11], vcc
	s_cbranch_execz .LBB586_676
; %bb.673:
	s_movk_i32 s7, 0x7f
	v_and_b32_e32 v15, 0x7f, v6
	v_cmp_ne_u32_e32 vcc, s7, v15
	v_mov_b32_e32 v19, 0x7f800001
	s_and_saveexec_b64 s[12:13], vcc
	s_cbranch_execz .LBB586_675
; %bb.674:
	v_and_b32_e32 v19, 7, v6
	v_ffbh_u32_e32 v20, v19
	v_min_u32_e32 v24, 32, v20
	v_subrev_u32_e32 v20, 28, v24
	v_lshlrev_b64 v[20:21], v20, v[6:7]
	v_lshrrev_b32_e32 v23, 3, v15
	v_sub_u32_e32 v6, 29, v24
	v_and_b32_e32 v20, 7, v20
	v_cmp_gt_u32_e32 vcc, 8, v15
	v_cndmask_b32_e32 v6, v23, v6, vcc
	v_cndmask_b32_e32 v15, v19, v20, vcc
	v_lshlrev_b32_e32 v19, 16, v9
	v_bfrev_b32_e32 v20, 60
	v_lshlrev_b32_e32 v15, 20, v15
	v_and_b32_e32 v19, 0x80000000, v19
	v_lshl_add_u32 v6, v6, 23, v20
	v_or3_b32 v19, v19, v6, v15
.LBB586_675:
	s_or_b64 exec, exec, s[12:13]
.LBB586_676:
	s_or_b64 exec, exec, s[10:11]
.LBB586_677:
	s_or_b64 exec, exec, s[8:9]
	s_movk_i32 s7, 0xff
	v_and_b32_sdwa v15, v9, s7 dst_sel:DWORD dst_unused:UNUSED_PAD src0_sel:WORD_1 src1_sel:DWORD
	v_lshrrev_b32_e32 v6, 16, v9
	v_cmp_ne_u16_e32 vcc, 0, v15
	s_and_saveexec_b64 s[8:9], vcc
	s_cbranch_execz .LBB586_683
; %bb.678:
	s_movk_i32 s7, 0x80
	v_cmp_ne_u16_e32 vcc, s7, v15
	v_bfrev_b32_e32 v8, 1
	s_and_saveexec_b64 s[10:11], vcc
	s_cbranch_execz .LBB586_682
; %bb.679:
	v_bfe_u32 v15, v9, 16, 7
	s_movk_i32 s7, 0x7f
	v_cmp_ne_u32_e32 vcc, s7, v15
	v_mov_b32_e32 v8, 0x7f800001
	s_and_saveexec_b64 s[12:13], vcc
	s_cbranch_execz .LBB586_681
; %bb.680:
	v_and_b32_e32 v8, 7, v6
	v_ffbh_u32_e32 v20, v8
	v_min_u32_e32 v24, 32, v20
	v_subrev_u32_e32 v20, 28, v24
	v_lshlrev_b64 v[20:21], v20, v[6:7]
	v_lshrrev_b32_e32 v23, 3, v15
	v_sub_u32_e32 v6, 29, v24
	v_and_b32_e32 v20, 7, v20
	v_cmp_gt_u32_e32 vcc, 8, v15
	v_mov_b32_e32 v15, 24
	v_cndmask_b32_e32 v6, v23, v6, vcc
	v_cndmask_b32_e32 v8, v8, v20, vcc
	v_lshlrev_b32_sdwa v15, v15, v9 dst_sel:DWORD dst_unused:UNUSED_PAD src0_sel:DWORD src1_sel:WORD_1
	v_bfrev_b32_e32 v20, 60
	v_lshlrev_b32_e32 v8, 20, v8
	v_and_b32_e32 v15, 0x80000000, v15
	v_lshl_add_u32 v6, v6, 23, v20
	v_or3_b32 v8, v15, v6, v8
.LBB586_681:
	s_or_b64 exec, exec, s[12:13]
.LBB586_682:
	s_or_b64 exec, exec, s[10:11]
.LBB586_683:
	s_or_b64 exec, exec, s[8:9]
	s_mov_b32 s7, 0xffffff
	v_cmp_lt_u32_e32 vcc, s7, v9
	v_mov_b32_e32 v15, 0
	v_mov_b32_e32 v20, 0
	s_and_saveexec_b64 s[8:9], vcc
	s_cbranch_execz .LBB586_689
; %bb.684:
	v_lshrrev_b32_e32 v6, 24, v9
	s_movk_i32 s7, 0x80
	v_cmp_ne_u32_e32 vcc, s7, v6
	v_bfrev_b32_e32 v20, 1
	s_and_saveexec_b64 s[10:11], vcc
	s_cbranch_execz .LBB586_688
; %bb.685:
	v_bfe_u32 v9, v9, 24, 7
	s_movk_i32 s7, 0x7f
	v_cmp_ne_u32_e32 vcc, s7, v9
	v_mov_b32_e32 v20, 0x7f800001
	s_and_saveexec_b64 s[12:13], vcc
	s_cbranch_execz .LBB586_687
; %bb.686:
	v_and_b32_e32 v23, 7, v6
	v_ffbh_u32_e32 v20, v23
	v_min_u32_e32 v25, 32, v20
	v_subrev_u32_e32 v20, 28, v25
	v_lshlrev_b64 v[20:21], v20, v[6:7]
	v_lshrrev_b32_e32 v24, 3, v9
	v_sub_u32_e32 v21, 29, v25
	v_and_b32_e32 v20, 7, v20
	v_cmp_gt_u32_e32 vcc, 8, v9
	v_cndmask_b32_e32 v9, v24, v21, vcc
	v_cndmask_b32_e32 v20, v23, v20, vcc
	v_lshlrev_b32_e32 v6, 24, v6
	v_bfrev_b32_e32 v21, 60
	v_lshlrev_b32_e32 v20, 20, v20
	v_and_b32_e32 v6, 0x80000000, v6
	v_lshl_add_u32 v9, v9, 23, v21
	v_or3_b32 v20, v6, v9, v20
.LBB586_687:
	s_or_b64 exec, exec, s[12:13]
.LBB586_688:
	s_or_b64 exec, exec, s[10:11]
.LBB586_689:
	s_or_b64 exec, exec, s[8:9]
	v_cvt_pkrtz_f16_f32 v6, v14, v16
	v_cvt_pkrtz_f16_f32 v7, v7, v18
	ds_read_b128 v[28:31], v22 offset:4112
	s_waitcnt vmcnt(0)
	v_cmp_ne_u16_sdwa s[10:11], v2, v15 src0_sel:BYTE_0 src1_sel:DWORD
	s_waitcnt lgkmcnt(0)
	v_mfma_f32_16x16x16f16 v[10:13], v[6:7], v[28:29], v[10:13]
	v_cvt_pkrtz_f16_f32 v6, v17, v19
	v_cvt_pkrtz_f16_f32 v7, v8, v20
	s_nop 1
	v_mfma_f32_16x16x16f16 v[6:9], v[6:7], v[30:31], v[10:13]
	s_and_saveexec_b64 s[8:9], s[10:11]
	s_cbranch_execz .LBB586_695
; %bb.690:
	s_movk_i32 s7, 0x80
	v_cmp_ne_u16_sdwa s[12:13], v2, s7 src0_sel:BYTE_0 src1_sel:DWORD
	v_bfrev_b32_e32 v15, 1
	s_and_saveexec_b64 s[10:11], s[12:13]
	s_cbranch_execz .LBB586_694
; %bb.691:
	s_movk_i32 s7, 0x7f
	v_and_b32_e32 v10, 0x7f, v2
	v_cmp_ne_u32_e32 vcc, s7, v10
	v_mov_b32_e32 v15, 0x7f800001
	s_and_saveexec_b64 s[12:13], vcc
	s_cbranch_execz .LBB586_693
; %bb.692:
	v_and_b32_e32 v11, 7, v2
	v_ffbh_u32_e32 v12, v11
	v_min_u32_e32 v15, 32, v12
	v_subrev_u32_e32 v12, 28, v15
	v_lshlrev_b64 v[12:13], v12, v[2:3]
	v_lshrrev_b32_e32 v14, 3, v10
	v_sub_u32_e32 v13, 29, v15
	v_and_b32_e32 v12, 7, v12
	v_cmp_gt_u32_e32 vcc, 8, v10
	v_cndmask_b32_e32 v10, v14, v13, vcc
	v_cndmask_b32_e32 v11, v11, v12, vcc
	v_lshlrev_b32_e32 v12, 24, v2
	v_bfrev_b32_e32 v13, 60
	v_lshlrev_b32_e32 v11, 20, v11
	v_and_b32_e32 v12, 0x80000000, v12
	v_lshl_add_u32 v10, v10, 23, v13
	v_or3_b32 v15, v12, v10, v11
.LBB586_693:
	s_or_b64 exec, exec, s[12:13]
.LBB586_694:
	s_or_b64 exec, exec, s[10:11]
.LBB586_695:
	s_or_b64 exec, exec, s[8:9]
	s_nop 3
	v_lshrrev_b16_e32 v10, 8, v2
	v_cmp_ne_u16_e32 vcc, 0, v10
	v_mov_b32_e32 v11, 0
	v_mov_b32_e32 v12, 0
	s_and_saveexec_b64 s[8:9], vcc
	s_cbranch_execz .LBB586_701
; %bb.696:
	s_movk_i32 s7, 0x80
	v_cmp_ne_u16_e32 vcc, s7, v10
	v_bfrev_b32_e32 v12, 1
	s_and_saveexec_b64 s[10:11], vcc
	s_cbranch_execz .LBB586_700
; %bb.697:
	s_movk_i32 s7, 0x7f
	v_and_b32_e32 v13, 0x7f, v10
	v_cmp_ne_u32_e32 vcc, s7, v13
	v_mov_b32_e32 v12, 0x7f800001
	s_and_saveexec_b64 s[12:13], vcc
	s_cbranch_execz .LBB586_699
; %bb.698:
	v_and_b32_e32 v12, 7, v10
	v_ffbh_u32_e32 v16, v12
	v_min_u32_e32 v18, 32, v16
	v_subrev_u32_e32 v16, 28, v18
	v_lshlrev_b64 v[16:17], v16, v[10:11]
	v_lshrrev_b32_e32 v14, 3, v13
	v_sub_u32_e32 v10, 29, v18
	v_and_b32_e32 v16, 7, v16
	v_cmp_gt_u32_e32 vcc, 8, v13
	v_cndmask_b32_e32 v10, v14, v10, vcc
	v_cndmask_b32_e32 v12, v12, v16, vcc
	v_lshlrev_b32_e32 v13, 16, v2
	v_bfrev_b32_e32 v14, 60
	v_lshlrev_b32_e32 v12, 20, v12
	v_and_b32_e32 v13, 0x80000000, v13
	v_lshl_add_u32 v10, v10, 23, v14
	v_or3_b32 v12, v13, v10, v12
.LBB586_699:
	s_or_b64 exec, exec, s[12:13]
.LBB586_700:
	s_or_b64 exec, exec, s[10:11]
.LBB586_701:
	s_or_b64 exec, exec, s[8:9]
	s_movk_i32 s7, 0xff
	v_and_b32_sdwa v13, v2, s7 dst_sel:DWORD dst_unused:UNUSED_PAD src0_sel:WORD_1 src1_sel:DWORD
	v_lshrrev_b32_e32 v10, 16, v2
	v_cmp_ne_u16_e32 vcc, 0, v13
	s_and_saveexec_b64 s[8:9], vcc
	s_cbranch_execz .LBB586_707
; %bb.702:
	s_movk_i32 s7, 0x80
	v_cmp_ne_u16_e32 vcc, s7, v13
	v_bfrev_b32_e32 v11, 1
	s_and_saveexec_b64 s[10:11], vcc
	s_cbranch_execz .LBB586_706
; %bb.703:
	v_bfe_u32 v13, v2, 16, 7
	s_movk_i32 s7, 0x7f
	v_cmp_ne_u32_e32 vcc, s7, v13
	v_mov_b32_e32 v11, 0x7f800001
	s_and_saveexec_b64 s[12:13], vcc
	s_cbranch_execz .LBB586_705
; %bb.704:
	v_and_b32_e32 v14, 7, v10
	v_ffbh_u32_e32 v11, v14
	v_min_u32_e32 v17, 32, v11
	v_subrev_u32_e32 v11, 28, v17
	v_lshlrev_b64 v[10:11], v11, v[10:11]
	v_lshrrev_b32_e32 v16, 3, v13
	v_sub_u32_e32 v11, 29, v17
	v_and_b32_e32 v10, 7, v10
	v_cmp_gt_u32_e32 vcc, 8, v13
	v_mov_b32_e32 v13, 24
	v_cndmask_b32_e32 v11, v16, v11, vcc
	v_cndmask_b32_e32 v10, v14, v10, vcc
	v_lshlrev_b32_sdwa v13, v13, v2 dst_sel:DWORD dst_unused:UNUSED_PAD src0_sel:DWORD src1_sel:WORD_1
	v_bfrev_b32_e32 v14, 60
	v_lshlrev_b32_e32 v10, 20, v10
	v_and_b32_e32 v13, 0x80000000, v13
	v_lshl_add_u32 v11, v11, 23, v14
	v_or3_b32 v11, v13, v11, v10
.LBB586_705:
	s_or_b64 exec, exec, s[12:13]
.LBB586_706:
	s_or_b64 exec, exec, s[10:11]
.LBB586_707:
	s_or_b64 exec, exec, s[8:9]
	s_mov_b32 s7, 0xffffff
	v_cmp_lt_u32_e32 vcc, s7, v2
	v_mov_b32_e32 v13, 0
	v_mov_b32_e32 v14, 0
	s_and_saveexec_b64 s[8:9], vcc
	s_cbranch_execz .LBB586_713
; %bb.708:
	v_lshrrev_b32_e32 v10, 24, v2
	s_movk_i32 s7, 0x80
	v_cmp_ne_u32_e32 vcc, s7, v10
	v_bfrev_b32_e32 v14, 1
	s_and_saveexec_b64 s[10:11], vcc
	s_cbranch_execz .LBB586_712
; %bb.709:
	v_bfe_u32 v2, v2, 24, 7
	s_movk_i32 s7, 0x7f
	v_cmp_ne_u32_e32 vcc, s7, v2
	v_mov_b32_e32 v14, 0x7f800001
	s_and_saveexec_b64 s[12:13], vcc
	s_cbranch_execz .LBB586_711
; %bb.710:
	v_and_b32_e32 v14, 7, v10
	v_ffbh_u32_e32 v16, v14
	v_min_u32_e32 v19, 32, v16
	v_subrev_u32_e32 v16, 28, v19
	v_lshlrev_b64 v[16:17], v16, v[10:11]
	v_lshrrev_b32_e32 v18, 3, v2
	v_sub_u32_e32 v17, 29, v19
	v_and_b32_e32 v16, 7, v16
	v_cmp_gt_u32_e32 vcc, 8, v2
	v_cndmask_b32_e32 v2, v18, v17, vcc
	v_cndmask_b32_e32 v14, v14, v16, vcc
	v_lshlrev_b32_e32 v10, 24, v10
	v_bfrev_b32_e32 v16, 60
	v_lshlrev_b32_e32 v14, 20, v14
	v_and_b32_e32 v10, 0x80000000, v10
	v_lshl_add_u32 v2, v2, 23, v16
	v_or3_b32 v14, v10, v2, v14
.LBB586_711:
	s_or_b64 exec, exec, s[12:13]
.LBB586_712:
	s_or_b64 exec, exec, s[10:11]
.LBB586_713:
	s_or_b64 exec, exec, s[8:9]
	v_cmp_ne_u16_sdwa s[10:11], v3, v13 src0_sel:BYTE_0 src1_sel:DWORD
	s_and_saveexec_b64 s[8:9], s[10:11]
	s_cbranch_execz .LBB586_719
; %bb.714:
	s_movk_i32 s7, 0x80
	v_cmp_ne_u16_sdwa s[12:13], v3, s7 src0_sel:BYTE_0 src1_sel:DWORD
	v_bfrev_b32_e32 v13, 1
	s_and_saveexec_b64 s[10:11], s[12:13]
	s_cbranch_execz .LBB586_718
; %bb.715:
	s_movk_i32 s7, 0x7f
	v_and_b32_e32 v2, 0x7f, v3
	v_cmp_ne_u32_e32 vcc, s7, v2
	v_mov_b32_e32 v13, 0x7f800001
	s_and_saveexec_b64 s[12:13], vcc
	s_cbranch_execz .LBB586_717
; %bb.716:
	v_and_b32_e32 v13, 7, v3
	v_ffbh_u32_e32 v16, v13
	v_min_u32_e32 v19, 32, v16
	v_mov_b32_e32 v10, v3
	v_subrev_u32_e32 v16, 28, v19
	v_lshlrev_b64 v[16:17], v16, v[10:11]
	v_lshrrev_b32_e32 v18, 3, v2
	v_sub_u32_e32 v10, 29, v19
	v_and_b32_e32 v16, 7, v16
	v_cmp_gt_u32_e32 vcc, 8, v2
	v_cndmask_b32_e32 v2, v18, v10, vcc
	v_cndmask_b32_e32 v10, v13, v16, vcc
	v_lshlrev_b32_e32 v13, 24, v3
	v_bfrev_b32_e32 v16, 60
	v_lshlrev_b32_e32 v10, 20, v10
	v_and_b32_e32 v13, 0x80000000, v13
	v_lshl_add_u32 v2, v2, 23, v16
	v_or3_b32 v13, v13, v2, v10
.LBB586_717:
	s_or_b64 exec, exec, s[12:13]
.LBB586_718:
	s_or_b64 exec, exec, s[10:11]
.LBB586_719:
	s_or_b64 exec, exec, s[8:9]
	v_lshrrev_b16_e32 v2, 8, v3
	v_cmp_ne_u16_e32 vcc, 0, v2
	v_mov_b32_e32 v16, 0
	v_mov_b32_e32 v17, 0
	s_and_saveexec_b64 s[8:9], vcc
	s_cbranch_execz .LBB586_725
; %bb.720:
	s_movk_i32 s7, 0x80
	v_cmp_ne_u16_e32 vcc, s7, v2
	v_bfrev_b32_e32 v17, 1
	s_and_saveexec_b64 s[10:11], vcc
	s_cbranch_execz .LBB586_724
; %bb.721:
	s_movk_i32 s7, 0x7f
	v_and_b32_e32 v10, 0x7f, v2
	v_cmp_ne_u32_e32 vcc, s7, v10
	v_mov_b32_e32 v17, 0x7f800001
	s_and_saveexec_b64 s[12:13], vcc
	s_cbranch_execz .LBB586_723
; %bb.722:
	v_and_b32_e32 v17, 7, v2
	v_ffbh_u32_e32 v18, v17
	v_min_u32_e32 v21, 32, v18
	v_subrev_u32_e32 v18, 28, v21
	v_lshlrev_b64 v[18:19], v18, v[2:3]
	v_lshrrev_b32_e32 v20, 3, v10
	v_sub_u32_e32 v2, 29, v21
	v_and_b32_e32 v18, 7, v18
	v_cmp_gt_u32_e32 vcc, 8, v10
	v_cndmask_b32_e32 v2, v20, v2, vcc
	v_cndmask_b32_e32 v10, v17, v18, vcc
	v_lshlrev_b32_e32 v17, 16, v3
	v_bfrev_b32_e32 v18, 60
	v_lshlrev_b32_e32 v10, 20, v10
	v_and_b32_e32 v17, 0x80000000, v17
	v_lshl_add_u32 v2, v2, 23, v18
	v_or3_b32 v17, v17, v2, v10
.LBB586_723:
	s_or_b64 exec, exec, s[12:13]
.LBB586_724:
	s_or_b64 exec, exec, s[10:11]
.LBB586_725:
	s_or_b64 exec, exec, s[8:9]
	s_movk_i32 s7, 0xff
	v_and_b32_sdwa v10, v3, s7 dst_sel:DWORD dst_unused:UNUSED_PAD src0_sel:WORD_1 src1_sel:DWORD
	v_lshrrev_b32_e32 v2, 16, v3
	v_cmp_ne_u16_e32 vcc, 0, v10
	s_and_saveexec_b64 s[8:9], vcc
	s_cbranch_execz .LBB586_731
; %bb.726:
	s_movk_i32 s7, 0x80
	v_cmp_ne_u16_e32 vcc, s7, v10
	v_bfrev_b32_e32 v16, 1
	s_and_saveexec_b64 s[10:11], vcc
	s_cbranch_execz .LBB586_730
; %bb.727:
	v_bfe_u32 v10, v3, 16, 7
	s_movk_i32 s7, 0x7f
	v_cmp_ne_u32_e32 vcc, s7, v10
	v_mov_b32_e32 v16, 0x7f800001
	s_and_saveexec_b64 s[12:13], vcc
	s_cbranch_execz .LBB586_729
; %bb.728:
	v_and_b32_e32 v16, 7, v2
	v_ffbh_u32_e32 v18, v16
	v_min_u32_e32 v21, 32, v18
	v_subrev_u32_e32 v18, 28, v21
	v_lshlrev_b64 v[18:19], v18, v[2:3]
	v_and_b32_e32 v18, 7, v18
	v_cmp_gt_u32_e32 vcc, 8, v10
	v_lshrrev_b32_e32 v20, 3, v10
	v_sub_u32_e32 v2, 29, v21
	v_cndmask_b32_e32 v10, v16, v18, vcc
	v_mov_b32_e32 v16, 24
	v_cndmask_b32_e32 v2, v20, v2, vcc
	v_lshlrev_b32_sdwa v16, v16, v3 dst_sel:DWORD dst_unused:UNUSED_PAD src0_sel:DWORD src1_sel:WORD_1
	v_bfrev_b32_e32 v18, 60
	v_lshlrev_b32_e32 v10, 20, v10
	v_and_b32_e32 v16, 0x80000000, v16
	v_lshl_add_u32 v2, v2, 23, v18
	v_or3_b32 v16, v16, v2, v10
.LBB586_729:
	s_or_b64 exec, exec, s[12:13]
.LBB586_730:
	s_or_b64 exec, exec, s[10:11]
.LBB586_731:
	s_or_b64 exec, exec, s[8:9]
	s_mov_b32 s7, 0xffffff
	v_cmp_lt_u32_e32 vcc, s7, v3
	v_mov_b32_e32 v10, 0
	v_mov_b32_e32 v18, 0
	s_and_saveexec_b64 s[8:9], vcc
	s_cbranch_execz .LBB586_737
; %bb.732:
	v_lshrrev_b32_e32 v2, 24, v3
	s_movk_i32 s7, 0x80
	v_cmp_ne_u32_e32 vcc, s7, v2
	v_bfrev_b32_e32 v18, 1
	s_and_saveexec_b64 s[10:11], vcc
	s_cbranch_execz .LBB586_736
; %bb.733:
	v_bfe_u32 v3, v3, 24, 7
	s_movk_i32 s7, 0x7f
	v_cmp_ne_u32_e32 vcc, s7, v3
	v_mov_b32_e32 v18, 0x7f800001
	s_and_saveexec_b64 s[12:13], vcc
	s_cbranch_execz .LBB586_735
; %bb.734:
	v_and_b32_e32 v20, 7, v2
	v_ffbh_u32_e32 v18, v20
	v_min_u32_e32 v23, 32, v18
	v_subrev_u32_e32 v18, 28, v23
	v_lshlrev_b64 v[18:19], v18, v[2:3]
	v_lshrrev_b32_e32 v21, 3, v3
	v_sub_u32_e32 v19, 29, v23
	v_and_b32_e32 v18, 7, v18
	v_cmp_gt_u32_e32 vcc, 8, v3
	v_cndmask_b32_e32 v3, v21, v19, vcc
	v_cndmask_b32_e32 v18, v20, v18, vcc
	v_lshlrev_b32_e32 v2, 24, v2
	v_bfrev_b32_e32 v19, 60
	v_lshlrev_b32_e32 v18, 20, v18
	v_and_b32_e32 v2, 0x80000000, v2
	v_lshl_add_u32 v3, v3, 23, v19
	v_or3_b32 v18, v2, v3, v18
.LBB586_735:
	s_or_b64 exec, exec, s[12:13]
.LBB586_736:
	s_or_b64 exec, exec, s[10:11]
.LBB586_737:
	s_or_b64 exec, exec, s[8:9]
	v_cvt_pkrtz_f16_f32 v2, v15, v12
	v_cvt_pkrtz_f16_f32 v3, v11, v14
	ds_read_b128 v[28:31], v22 offset:6144
	v_cmp_ne_u16_sdwa s[10:11], v4, v10 src0_sel:BYTE_0 src1_sel:DWORD
	s_waitcnt lgkmcnt(0)
	v_mfma_f32_16x16x16f16 v[6:9], v[2:3], v[28:29], v[6:9]
	v_cvt_pkrtz_f16_f32 v2, v13, v17
	v_cvt_pkrtz_f16_f32 v3, v16, v18
	s_nop 1
	v_mfma_f32_16x16x16f16 v[6:9], v[2:3], v[30:31], v[6:9]
	s_and_saveexec_b64 s[8:9], s[10:11]
	s_cbranch_execz .LBB586_743
; %bb.738:
	s_movk_i32 s7, 0x80
	v_cmp_ne_u16_sdwa s[12:13], v4, s7 src0_sel:BYTE_0 src1_sel:DWORD
	v_bfrev_b32_e32 v10, 1
	s_and_saveexec_b64 s[10:11], s[12:13]
	s_cbranch_execz .LBB586_742
; %bb.739:
	s_movk_i32 s7, 0x7f
	v_and_b32_e32 v2, 0x7f, v4
	v_cmp_ne_u32_e32 vcc, s7, v2
	v_mov_b32_e32 v10, 0x7f800001
	s_and_saveexec_b64 s[12:13], vcc
	s_cbranch_execz .LBB586_741
; %bb.740:
	v_and_b32_e32 v3, 7, v4
	v_ffbh_u32_e32 v10, v3
	v_min_u32_e32 v13, 32, v10
	v_subrev_u32_e32 v10, 28, v13
	v_lshlrev_b64 v[10:11], v10, v[4:5]
	v_lshrrev_b32_e32 v12, 3, v2
	v_sub_u32_e32 v11, 29, v13
	v_and_b32_e32 v10, 7, v10
	v_cmp_gt_u32_e32 vcc, 8, v2
	v_cndmask_b32_e32 v2, v12, v11, vcc
	v_cndmask_b32_e32 v3, v3, v10, vcc
	v_lshlrev_b32_e32 v10, 24, v4
	v_bfrev_b32_e32 v11, 60
	v_lshlrev_b32_e32 v3, 20, v3
	v_and_b32_e32 v10, 0x80000000, v10
	v_lshl_add_u32 v2, v2, 23, v11
	v_or3_b32 v10, v10, v2, v3
.LBB586_741:
	s_or_b64 exec, exec, s[12:13]
.LBB586_742:
	s_or_b64 exec, exec, s[10:11]
.LBB586_743:
	s_or_b64 exec, exec, s[8:9]
	v_lshrrev_b16_e32 v2, 8, v4
	v_cmp_ne_u16_e32 vcc, 0, v2
	v_mov_b32_e32 v3, 0
	v_mov_b32_e32 v11, 0
	s_and_saveexec_b64 s[8:9], vcc
	s_cbranch_execz .LBB586_749
; %bb.744:
	s_movk_i32 s7, 0x80
	v_cmp_ne_u16_e32 vcc, s7, v2
	v_bfrev_b32_e32 v11, 1
	s_and_saveexec_b64 s[10:11], vcc
	s_cbranch_execz .LBB586_748
; %bb.745:
	s_movk_i32 s7, 0x7f
	v_and_b32_e32 v12, 0x7f, v2
	v_cmp_ne_u32_e32 vcc, s7, v12
	v_mov_b32_e32 v11, 0x7f800001
	s_and_saveexec_b64 s[12:13], vcc
	s_cbranch_execz .LBB586_747
; %bb.746:
	v_and_b32_e32 v11, 7, v2
	v_ffbh_u32_e32 v14, v11
	v_min_u32_e32 v16, 32, v14
	v_subrev_u32_e32 v14, 28, v16
	v_lshlrev_b64 v[14:15], v14, v[2:3]
	v_lshrrev_b32_e32 v13, 3, v12
	v_sub_u32_e32 v2, 29, v16
	v_and_b32_e32 v14, 7, v14
	v_cmp_gt_u32_e32 vcc, 8, v12
	v_cndmask_b32_e32 v2, v13, v2, vcc
	v_cndmask_b32_e32 v11, v11, v14, vcc
	v_lshlrev_b32_e32 v12, 16, v4
	v_bfrev_b32_e32 v13, 60
	v_lshlrev_b32_e32 v11, 20, v11
	v_and_b32_e32 v12, 0x80000000, v12
	v_lshl_add_u32 v2, v2, 23, v13
	v_or3_b32 v11, v12, v2, v11
.LBB586_747:
	s_or_b64 exec, exec, s[12:13]
.LBB586_748:
	s_or_b64 exec, exec, s[10:11]
.LBB586_749:
	s_or_b64 exec, exec, s[8:9]
	s_movk_i32 s7, 0xff
	v_and_b32_sdwa v12, v4, s7 dst_sel:DWORD dst_unused:UNUSED_PAD src0_sel:WORD_1 src1_sel:DWORD
	v_lshrrev_b32_e32 v2, 16, v4
	v_cmp_ne_u16_e32 vcc, 0, v12
	s_and_saveexec_b64 s[8:9], vcc
	s_cbranch_execz .LBB586_755
; %bb.750:
	s_movk_i32 s7, 0x80
	v_cmp_ne_u16_e32 vcc, s7, v12
	v_bfrev_b32_e32 v3, 1
	s_and_saveexec_b64 s[10:11], vcc
	s_cbranch_execz .LBB586_754
; %bb.751:
	v_bfe_u32 v12, v4, 16, 7
	s_movk_i32 s7, 0x7f
	v_cmp_ne_u32_e32 vcc, s7, v12
	v_mov_b32_e32 v3, 0x7f800001
	s_and_saveexec_b64 s[12:13], vcc
	s_cbranch_execz .LBB586_753
; %bb.752:
	v_and_b32_e32 v13, 7, v2
	v_ffbh_u32_e32 v3, v13
	v_min_u32_e32 v15, 32, v3
	v_subrev_u32_e32 v3, 28, v15
	v_lshlrev_b64 v[2:3], v3, v[2:3]
	v_lshrrev_b32_e32 v14, 3, v12
	v_sub_u32_e32 v3, 29, v15
	v_and_b32_e32 v2, 7, v2
	v_cmp_gt_u32_e32 vcc, 8, v12
	v_mov_b32_e32 v12, 24
	v_cndmask_b32_e32 v3, v14, v3, vcc
	v_cndmask_b32_e32 v2, v13, v2, vcc
	v_lshlrev_b32_sdwa v12, v12, v4 dst_sel:DWORD dst_unused:UNUSED_PAD src0_sel:DWORD src1_sel:WORD_1
	v_bfrev_b32_e32 v13, 60
	v_lshlrev_b32_e32 v2, 20, v2
	v_and_b32_e32 v12, 0x80000000, v12
	v_lshl_add_u32 v3, v3, 23, v13
	v_or3_b32 v3, v12, v3, v2
.LBB586_753:
	s_or_b64 exec, exec, s[12:13]
.LBB586_754:
	s_or_b64 exec, exec, s[10:11]
.LBB586_755:
	s_or_b64 exec, exec, s[8:9]
	s_mov_b32 s7, 0xffffff
	v_cmp_lt_u32_e32 vcc, s7, v4
	v_mov_b32_e32 v12, 0
	v_mov_b32_e32 v13, 0
	s_and_saveexec_b64 s[8:9], vcc
	s_cbranch_execz .LBB586_761
; %bb.756:
	v_lshrrev_b32_e32 v2, 24, v4
	s_movk_i32 s7, 0x80
	v_cmp_ne_u32_e32 vcc, s7, v2
	v_bfrev_b32_e32 v13, 1
	s_and_saveexec_b64 s[10:11], vcc
	s_cbranch_execz .LBB586_760
; %bb.757:
	v_bfe_u32 v4, v4, 24, 7
	s_movk_i32 s7, 0x7f
	v_cmp_ne_u32_e32 vcc, s7, v4
	v_mov_b32_e32 v13, 0x7f800001
	s_and_saveexec_b64 s[12:13], vcc
	s_cbranch_execz .LBB586_759
; %bb.758:
	v_and_b32_e32 v13, 7, v2
	v_ffbh_u32_e32 v14, v13
	v_min_u32_e32 v17, 32, v14
	v_subrev_u32_e32 v14, 28, v17
	v_lshlrev_b64 v[14:15], v14, v[2:3]
	v_lshrrev_b32_e32 v16, 3, v4
	v_sub_u32_e32 v15, 29, v17
	v_and_b32_e32 v14, 7, v14
	v_cmp_gt_u32_e32 vcc, 8, v4
	v_cndmask_b32_e32 v4, v16, v15, vcc
	v_cndmask_b32_e32 v13, v13, v14, vcc
	v_lshlrev_b32_e32 v2, 24, v2
	v_bfrev_b32_e32 v14, 60
	v_lshlrev_b32_e32 v13, 20, v13
	v_and_b32_e32 v2, 0x80000000, v2
	v_lshl_add_u32 v4, v4, 23, v14
	v_or3_b32 v13, v2, v4, v13
.LBB586_759:
	s_or_b64 exec, exec, s[12:13]
.LBB586_760:
	s_or_b64 exec, exec, s[10:11]
.LBB586_761:
	s_or_b64 exec, exec, s[8:9]
	v_cmp_ne_u16_sdwa s[10:11], v5, v12 src0_sel:BYTE_0 src1_sel:DWORD
	s_and_saveexec_b64 s[8:9], s[10:11]
	s_cbranch_execz .LBB586_767
; %bb.762:
	s_movk_i32 s7, 0x80
	v_cmp_ne_u16_sdwa s[12:13], v5, s7 src0_sel:BYTE_0 src1_sel:DWORD
	v_bfrev_b32_e32 v12, 1
	s_and_saveexec_b64 s[10:11], s[12:13]
	s_cbranch_execz .LBB586_766
; %bb.763:
	s_movk_i32 s7, 0x7f
	v_and_b32_e32 v2, 0x7f, v5
	v_cmp_ne_u32_e32 vcc, s7, v2
	v_mov_b32_e32 v12, 0x7f800001
	s_and_saveexec_b64 s[12:13], vcc
	s_cbranch_execz .LBB586_765
; %bb.764:
	v_and_b32_e32 v12, 7, v5
	v_ffbh_u32_e32 v14, v12
	v_min_u32_e32 v17, 32, v14
	v_mov_b32_e32 v4, v5
	v_subrev_u32_e32 v14, 28, v17
	v_lshlrev_b64 v[14:15], v14, v[4:5]
	v_lshrrev_b32_e32 v16, 3, v2
	v_sub_u32_e32 v4, 29, v17
	v_and_b32_e32 v14, 7, v14
	v_cmp_gt_u32_e32 vcc, 8, v2
	v_cndmask_b32_e32 v2, v16, v4, vcc
	v_cndmask_b32_e32 v4, v12, v14, vcc
	v_lshlrev_b32_e32 v12, 24, v5
	v_bfrev_b32_e32 v14, 60
	v_lshlrev_b32_e32 v4, 20, v4
	v_and_b32_e32 v12, 0x80000000, v12
	v_lshl_add_u32 v2, v2, 23, v14
	v_or3_b32 v12, v12, v2, v4
.LBB586_765:
	s_or_b64 exec, exec, s[12:13]
.LBB586_766:
	s_or_b64 exec, exec, s[10:11]
.LBB586_767:
	s_or_b64 exec, exec, s[8:9]
	v_lshrrev_b16_e32 v2, 8, v5
	v_cmp_ne_u16_e32 vcc, 0, v2
	v_mov_b32_e32 v4, 0
	v_mov_b32_e32 v14, 0
	s_and_saveexec_b64 s[8:9], vcc
	s_cbranch_execz .LBB586_773
; %bb.768:
	s_movk_i32 s7, 0x80
	v_cmp_ne_u16_e32 vcc, s7, v2
	v_bfrev_b32_e32 v14, 1
	s_and_saveexec_b64 s[10:11], vcc
	s_cbranch_execz .LBB586_772
; %bb.769:
	s_movk_i32 s7, 0x7f
	v_and_b32_e32 v15, 0x7f, v2
	v_cmp_ne_u32_e32 vcc, s7, v15
	v_mov_b32_e32 v14, 0x7f800001
	s_and_saveexec_b64 s[12:13], vcc
	s_cbranch_execz .LBB586_771
; %bb.770:
	v_and_b32_e32 v14, 7, v2
	v_ffbh_u32_e32 v16, v14
	v_min_u32_e32 v19, 32, v16
	v_subrev_u32_e32 v16, 28, v19
	v_lshlrev_b64 v[16:17], v16, v[2:3]
	v_lshrrev_b32_e32 v18, 3, v15
	v_sub_u32_e32 v2, 29, v19
	v_and_b32_e32 v16, 7, v16
	v_cmp_gt_u32_e32 vcc, 8, v15
	v_cndmask_b32_e32 v2, v18, v2, vcc
	v_cndmask_b32_e32 v14, v14, v16, vcc
	v_lshlrev_b32_e32 v15, 16, v5
	v_bfrev_b32_e32 v16, 60
	v_lshlrev_b32_e32 v14, 20, v14
	v_and_b32_e32 v15, 0x80000000, v15
	v_lshl_add_u32 v2, v2, 23, v16
	v_or3_b32 v14, v15, v2, v14
.LBB586_771:
	s_or_b64 exec, exec, s[12:13]
.LBB586_772:
	s_or_b64 exec, exec, s[10:11]
.LBB586_773:
	s_or_b64 exec, exec, s[8:9]
	s_movk_i32 s7, 0xff
	v_and_b32_sdwa v15, v5, s7 dst_sel:DWORD dst_unused:UNUSED_PAD src0_sel:WORD_1 src1_sel:DWORD
	v_lshrrev_b32_e32 v2, 16, v5
	v_cmp_ne_u16_e32 vcc, 0, v15
	s_and_saveexec_b64 s[8:9], vcc
	s_cbranch_execz .LBB586_779
; %bb.774:
	s_movk_i32 s7, 0x80
	v_cmp_ne_u16_e32 vcc, s7, v15
	v_bfrev_b32_e32 v4, 1
	s_and_saveexec_b64 s[10:11], vcc
	s_cbranch_execz .LBB586_778
; %bb.775:
	v_bfe_u32 v15, v5, 16, 7
	s_movk_i32 s7, 0x7f
	v_cmp_ne_u32_e32 vcc, s7, v15
	v_mov_b32_e32 v4, 0x7f800001
	s_and_saveexec_b64 s[12:13], vcc
	s_cbranch_execz .LBB586_777
; %bb.776:
	v_and_b32_e32 v4, 7, v2
	v_ffbh_u32_e32 v16, v4
	v_min_u32_e32 v19, 32, v16
	v_subrev_u32_e32 v16, 28, v19
	v_lshlrev_b64 v[16:17], v16, v[2:3]
	v_lshrrev_b32_e32 v18, 3, v15
	v_sub_u32_e32 v2, 29, v19
	v_and_b32_e32 v16, 7, v16
	v_cmp_gt_u32_e32 vcc, 8, v15
	v_mov_b32_e32 v15, 24
	v_cndmask_b32_e32 v2, v18, v2, vcc
	v_cndmask_b32_e32 v4, v4, v16, vcc
	v_lshlrev_b32_sdwa v15, v15, v5 dst_sel:DWORD dst_unused:UNUSED_PAD src0_sel:DWORD src1_sel:WORD_1
	v_bfrev_b32_e32 v16, 60
	v_lshlrev_b32_e32 v4, 20, v4
	v_and_b32_e32 v15, 0x80000000, v15
	v_lshl_add_u32 v2, v2, 23, v16
	v_or3_b32 v4, v15, v2, v4
.LBB586_777:
	s_or_b64 exec, exec, s[12:13]
.LBB586_778:
	s_or_b64 exec, exec, s[10:11]
.LBB586_779:
	s_or_b64 exec, exec, s[8:9]
	s_mov_b32 s7, 0xffffff
	v_cmp_lt_u32_e32 vcc, s7, v5
	v_mov_b32_e32 v15, 0
	s_and_saveexec_b64 s[8:9], vcc
	s_cbranch_execz .LBB586_785
; %bb.780:
	v_lshrrev_b32_e32 v2, 24, v5
	s_movk_i32 s7, 0x80
	v_cmp_ne_u32_e32 vcc, s7, v2
	v_bfrev_b32_e32 v15, 1
	s_and_saveexec_b64 s[10:11], vcc
	s_cbranch_execz .LBB586_784
; %bb.781:
	v_bfe_u32 v5, v5, 24, 7
	s_movk_i32 s7, 0x7f
	v_cmp_ne_u32_e32 vcc, s7, v5
	v_mov_b32_e32 v15, 0x7f800001
	s_and_saveexec_b64 s[12:13], vcc
	s_cbranch_execz .LBB586_783
; %bb.782:
	v_and_b32_e32 v15, 7, v2
	v_ffbh_u32_e32 v16, v15
	v_min_u32_e32 v19, 32, v16
	v_subrev_u32_e32 v16, 28, v19
	v_lshlrev_b64 v[16:17], v16, v[2:3]
	v_lshrrev_b32_e32 v18, 3, v5
	v_sub_u32_e32 v17, 29, v19
	v_and_b32_e32 v16, 7, v16
	v_cmp_gt_u32_e32 vcc, 8, v5
	v_cndmask_b32_e32 v5, v18, v17, vcc
	v_cndmask_b32_e32 v15, v15, v16, vcc
	v_lshlrev_b32_e32 v2, 24, v2
	v_bfrev_b32_e32 v16, 60
	v_lshlrev_b32_e32 v15, 20, v15
	v_and_b32_e32 v2, 0x80000000, v2
	v_lshl_add_u32 v5, v5, 23, v16
	v_or3_b32 v15, v2, v5, v15
.LBB586_783:
	s_or_b64 exec, exec, s[12:13]
.LBB586_784:
	s_or_b64 exec, exec, s[10:11]
.LBB586_785:
	s_or_b64 exec, exec, s[8:9]
	v_cvt_pkrtz_f16_f32 v2, v10, v11
	v_cvt_pkrtz_f16_f32 v3, v3, v13
	ds_read_b128 v[16:19], v22 offset:6160
	s_load_dword s8, s[42:43], 0x0
	v_cmp_gt_u32_e32 vcc, 64, v0
	s_waitcnt lgkmcnt(0)
	v_mfma_f32_16x16x16f16 v[6:9], v[2:3], v[16:17], v[6:9]
	v_cvt_pkrtz_f16_f32 v2, v12, v14
	v_cvt_pkrtz_f16_f32 v3, v4, v15
	s_and_b64 s[0:1], vcc, s[0:1]
	s_barrier
	v_mfma_f32_16x16x16f16 v[2:5], v[2:3], v[18:19], v[6:9]
	s_nop 7
	s_nop 2
	v_pk_mul_f32 v[4:5], v[4:5], s[8:9] op_sel_hi:[1,0]
	v_pk_mul_f32 v[2:3], v[2:3], s[8:9] op_sel_hi:[1,0]
	v_cvt_f16_f32_e32 v2, v2
	v_cvt_f16_f32_e32 v3, v3
	;; [unrolled: 1-line block ×4, first 2 shown]
	v_pack_b32_f16 v2, v2, v3
	v_pack_b32_f16 v3, v4, v5
	ds_write_b64 v26, v[2:3]
	s_waitcnt lgkmcnt(0)
	s_barrier
	s_and_saveexec_b64 s[8:9], s[0:1]
	s_cbranch_execz .LBB586_788
; %bb.786:
	s_load_dwordx2 s[4:5], s[4:5], 0x68
	s_lshl_b32 s0, s44, 6
	s_mul_i32 s1, s14, s6
	s_mul_hi_u32 s9, s1, s0
	s_mul_i32 s8, s1, s0
	s_lshl_b64 s[8:9], s[8:9], 1
	s_waitcnt lgkmcnt(0)
	s_add_u32 s1, s4, s8
	v_lshlrev_b32_e32 v0, 10, v0
	s_mov_b32 s7, 0
	s_addc_u32 s8, s5, s9
	s_lshl_b32 s6, s24, 6
	v_and_b32_e32 v0, 0x1800, v0
	v_lshlrev_b32_e32 v2, 5, v1
	v_and_b32_e32 v3, 16, v47
	s_lshl_b64 s[4:5], s[6:7], 1
	v_or3_b32 v0, v0, v2, v3
	s_add_u32 s1, s1, s4
	ds_read_b128 v[4:7], v0 offset:256
	s_addc_u32 s4, s8, s5
	ds_read_b128 v[8:11], v0 offset:128
	ds_read_b128 v[12:15], v0
	v_add_u32_e32 v18, s25, v1
	v_mov_b32_e32 v3, s4
	v_add_co_u32_e32 v2, vcc, s1, v46
	v_mad_u64_u32 v[16:17], s[4:5], v18, s0, 0
	v_addc_co_u32_e32 v3, vcc, 0, v3, vcc
	v_lshlrev_b64 v[16:17], 1, v[16:17]
	v_add_co_u32_e32 v16, vcc, v2, v16
	v_addc_co_u32_e32 v17, vcc, v3, v17, vcc
	s_waitcnt lgkmcnt(0)
	global_store_dwordx4 v[16:17], v[12:15], off
	s_nop 0
	v_add_u32_e32 v12, 4, v18
	v_mad_u64_u32 v[12:13], s[4:5], v12, s0, 0
	v_lshlrev_b64 v[12:13], 1, v[12:13]
	v_add_co_u32_e32 v12, vcc, v2, v12
	v_addc_co_u32_e32 v13, vcc, v3, v13, vcc
	global_store_dwordx4 v[12:13], v[8:11], off
	s_nop 0
	v_add_u32_e32 v8, 8, v18
	v_mad_u64_u32 v[8:9], s[4:5], v8, s0, 0
	v_lshlrev_b64 v[8:9], 1, v[8:9]
	v_add_co_u32_e32 v8, vcc, v2, v8
	v_addc_co_u32_e32 v9, vcc, v3, v9, vcc
	global_store_dwordx4 v[8:9], v[4:7], off
	s_and_b64 exec, exec, s[2:3]
	s_cbranch_execz .LBB586_788
; %bb.787:
	ds_read_b128 v[4:7], v0 offset:384
	v_add3_u32 v0, s25, v1, 12
	v_mad_u64_u32 v[0:1], s[0:1], v0, s0, 0
	v_lshlrev_b64 v[0:1], 1, v[0:1]
	v_add_co_u32_e32 v0, vcc, v2, v0
	v_addc_co_u32_e32 v1, vcc, v3, v1, vcc
	s_waitcnt lgkmcnt(0)
	global_store_dwordx4 v[0:1], v[4:7], off
.LBB586_788:
	s_endpgm
	.section	.rodata,"a",@progbits
	.p2align	6, 0x0
	.amdhsa_kernel _Z39paged_attention_ll4mi_QKV_mfma16_kernelIDF16_hLN4vllm18Fp8KVCacheDataTypeE1EDF16_Li32ELi64ELi256ELb1ELi13EL8MFMAType0EEvPKT_PKT0_S8_ifPKiSA_SA_iPKfiiiPfSD_PS3_PT2_iSC_SC_
		.amdhsa_group_segment_fixed_size 8192
		.amdhsa_private_segment_fixed_size 0
		.amdhsa_kernarg_size 400
		.amdhsa_user_sgpr_count 6
		.amdhsa_user_sgpr_private_segment_buffer 1
		.amdhsa_user_sgpr_dispatch_ptr 0
		.amdhsa_user_sgpr_queue_ptr 0
		.amdhsa_user_sgpr_kernarg_segment_ptr 1
		.amdhsa_user_sgpr_dispatch_id 0
		.amdhsa_user_sgpr_flat_scratch_init 0
		.amdhsa_user_sgpr_kernarg_preload_length 0
		.amdhsa_user_sgpr_kernarg_preload_offset 0
		.amdhsa_user_sgpr_private_segment_size 0
		.amdhsa_uses_dynamic_stack 0
		.amdhsa_system_sgpr_private_segment_wavefront_offset 0
		.amdhsa_system_sgpr_workgroup_id_x 1
		.amdhsa_system_sgpr_workgroup_id_y 1
		.amdhsa_system_sgpr_workgroup_id_z 1
		.amdhsa_system_sgpr_workgroup_info 0
		.amdhsa_system_vgpr_workitem_id 0
		.amdhsa_next_free_vgpr 63
		.amdhsa_next_free_sgpr 47
		.amdhsa_accum_offset 64
		.amdhsa_reserve_vcc 1
		.amdhsa_reserve_flat_scratch 0
		.amdhsa_float_round_mode_32 0
		.amdhsa_float_round_mode_16_64 0
		.amdhsa_float_denorm_mode_32 3
		.amdhsa_float_denorm_mode_16_64 3
		.amdhsa_dx10_clamp 1
		.amdhsa_ieee_mode 1
		.amdhsa_fp16_overflow 0
		.amdhsa_tg_split 0
		.amdhsa_exception_fp_ieee_invalid_op 0
		.amdhsa_exception_fp_denorm_src 0
		.amdhsa_exception_fp_ieee_div_zero 0
		.amdhsa_exception_fp_ieee_overflow 0
		.amdhsa_exception_fp_ieee_underflow 0
		.amdhsa_exception_fp_ieee_inexact 0
		.amdhsa_exception_int_div_zero 0
	.end_amdhsa_kernel
	.section	.text._Z39paged_attention_ll4mi_QKV_mfma16_kernelIDF16_hLN4vllm18Fp8KVCacheDataTypeE1EDF16_Li32ELi64ELi256ELb1ELi13EL8MFMAType0EEvPKT_PKT0_S8_ifPKiSA_SA_iPKfiiiPfSD_PS3_PT2_iSC_SC_,"axG",@progbits,_Z39paged_attention_ll4mi_QKV_mfma16_kernelIDF16_hLN4vllm18Fp8KVCacheDataTypeE1EDF16_Li32ELi64ELi256ELb1ELi13EL8MFMAType0EEvPKT_PKT0_S8_ifPKiSA_SA_iPKfiiiPfSD_PS3_PT2_iSC_SC_,comdat
.Lfunc_end586:
	.size	_Z39paged_attention_ll4mi_QKV_mfma16_kernelIDF16_hLN4vllm18Fp8KVCacheDataTypeE1EDF16_Li32ELi64ELi256ELb1ELi13EL8MFMAType0EEvPKT_PKT0_S8_ifPKiSA_SA_iPKfiiiPfSD_PS3_PT2_iSC_SC_, .Lfunc_end586-_Z39paged_attention_ll4mi_QKV_mfma16_kernelIDF16_hLN4vllm18Fp8KVCacheDataTypeE1EDF16_Li32ELi64ELi256ELb1ELi13EL8MFMAType0EEvPKT_PKT0_S8_ifPKiSA_SA_iPKfiiiPfSD_PS3_PT2_iSC_SC_
                                        ; -- End function
	.section	.AMDGPU.csdata,"",@progbits
; Kernel info:
; codeLenInByte = 27416
; NumSgprs: 51
; NumVgprs: 63
; NumAgprs: 0
; TotalNumVgprs: 63
; ScratchSize: 0
; MemoryBound: 0
; FloatMode: 240
; IeeeMode: 1
; LDSByteSize: 8192 bytes/workgroup (compile time only)
; SGPRBlocks: 6
; VGPRBlocks: 7
; NumSGPRsForWavesPerEU: 51
; NumVGPRsForWavesPerEU: 63
; AccumOffset: 64
; Occupancy: 8
; WaveLimiterHint : 1
; COMPUTE_PGM_RSRC2:SCRATCH_EN: 0
; COMPUTE_PGM_RSRC2:USER_SGPR: 6
; COMPUTE_PGM_RSRC2:TRAP_HANDLER: 0
; COMPUTE_PGM_RSRC2:TGID_X_EN: 1
; COMPUTE_PGM_RSRC2:TGID_Y_EN: 1
; COMPUTE_PGM_RSRC2:TGID_Z_EN: 1
; COMPUTE_PGM_RSRC2:TIDIG_COMP_CNT: 0
; COMPUTE_PGM_RSRC3_GFX90A:ACCUM_OFFSET: 15
; COMPUTE_PGM_RSRC3_GFX90A:TG_SPLIT: 0
	.section	.text._Z39paged_attention_ll4mi_QKV_mfma16_kernelIDF16_hLN4vllm18Fp8KVCacheDataTypeE1EDF16_Li32ELi64ELi256ELb1ELi14EL8MFMAType0EEvPKT_PKT0_S8_ifPKiSA_SA_iPKfiiiPfSD_PS3_PT2_iSC_SC_,"axG",@progbits,_Z39paged_attention_ll4mi_QKV_mfma16_kernelIDF16_hLN4vllm18Fp8KVCacheDataTypeE1EDF16_Li32ELi64ELi256ELb1ELi14EL8MFMAType0EEvPKT_PKT0_S8_ifPKiSA_SA_iPKfiiiPfSD_PS3_PT2_iSC_SC_,comdat
	.protected	_Z39paged_attention_ll4mi_QKV_mfma16_kernelIDF16_hLN4vllm18Fp8KVCacheDataTypeE1EDF16_Li32ELi64ELi256ELb1ELi14EL8MFMAType0EEvPKT_PKT0_S8_ifPKiSA_SA_iPKfiiiPfSD_PS3_PT2_iSC_SC_ ; -- Begin function _Z39paged_attention_ll4mi_QKV_mfma16_kernelIDF16_hLN4vllm18Fp8KVCacheDataTypeE1EDF16_Li32ELi64ELi256ELb1ELi14EL8MFMAType0EEvPKT_PKT0_S8_ifPKiSA_SA_iPKfiiiPfSD_PS3_PT2_iSC_SC_
	.globl	_Z39paged_attention_ll4mi_QKV_mfma16_kernelIDF16_hLN4vllm18Fp8KVCacheDataTypeE1EDF16_Li32ELi64ELi256ELb1ELi14EL8MFMAType0EEvPKT_PKT0_S8_ifPKiSA_SA_iPKfiiiPfSD_PS3_PT2_iSC_SC_
	.p2align	8
	.type	_Z39paged_attention_ll4mi_QKV_mfma16_kernelIDF16_hLN4vllm18Fp8KVCacheDataTypeE1EDF16_Li32ELi64ELi256ELb1ELi14EL8MFMAType0EEvPKT_PKT0_S8_ifPKiSA_SA_iPKfiiiPfSD_PS3_PT2_iSC_SC_,@function
_Z39paged_attention_ll4mi_QKV_mfma16_kernelIDF16_hLN4vllm18Fp8KVCacheDataTypeE1EDF16_Li32ELi64ELi256ELb1ELi14EL8MFMAType0EEvPKT_PKT0_S8_ifPKiSA_SA_iPKfiiiPfSD_PS3_PT2_iSC_SC_: ; @_Z39paged_attention_ll4mi_QKV_mfma16_kernelIDF16_hLN4vllm18Fp8KVCacheDataTypeE1EDF16_Li32ELi64ELi256ELb1ELi14EL8MFMAType0EEvPKT_PKT0_S8_ifPKiSA_SA_iPKfiiiPfSD_PS3_PT2_iSC_SC_
; %bb.0:
	s_load_dwordx2 s[0:1], s[4:5], 0x30
	s_mov_b32 s24, s7
	s_mov_b64 s[10:11], 0
	s_waitcnt lgkmcnt(0)
	s_cmp_lg_u64 s[0:1], 0
	s_cselect_b64 s[2:3], -1, 0
	s_and_b64 vcc, exec, s[2:3]
	s_cbranch_vccz .LBB587_7
; %bb.1:
	s_add_i32 s12, s6, 1
	s_mov_b32 s13, 0
	s_lshl_b64 s[14:15], s[12:13], 2
	s_add_u32 s14, s0, s14
	s_mov_b32 s7, s13
	s_addc_u32 s15, s1, s15
	s_lshl_b64 s[12:13], s[6:7], 2
	s_add_u32 s12, s0, s12
	s_addc_u32 s13, s1, s13
	s_load_dword s9, s[14:15], 0x0
	s_load_dword s16, s[12:13], 0x0
	s_waitcnt lgkmcnt(0)
	s_sub_i32 s9, s9, s16
	s_cmp_eq_u32 s9, 1
	s_cselect_b64 s[12:13], -1, 0
	s_andn2_b64 vcc, exec, s[10:11]
	s_cbranch_vccnz .LBB587_3
.LBB587_2:
	s_mov_b32 s7, 0
	s_mov_b64 s[12:13], -1
.LBB587_3:
	s_andn2_b64 vcc, exec, s[12:13]
	s_cbranch_vccnz .LBB587_788
; %bb.4:
	s_load_dwordx2 s[12:13], s[4:5], 0x28
	s_lshl_b64 s[10:11], s[6:7], 2
	s_waitcnt lgkmcnt(0)
	s_add_u32 s12, s12, s10
	s_addc_u32 s13, s13, s11
	s_load_dword s33, s[12:13], 0x0
	s_lshl_b32 s18, s24, 8
	s_waitcnt lgkmcnt(0)
	s_cmp_ge_i32 s18, s33
	s_cbranch_scc1 .LBB587_788
; %bb.5:
	s_add_i32 s14, s33, 31
	s_load_dwordx2 s[12:13], s[4:5], 0x20
	s_load_dword s9, s[4:5], 0x38
	s_ashr_i32 s15, s14, 31
	v_and_b32_e32 v1, 0xcf, v0
	s_lshr_b32 s15, s15, 27
	v_add_u32_e32 v1, s18, v1
	s_add_i32 s14, s14, s15
	v_ashrrev_i32_e32 v2, 31, v1
	s_ashr_i32 s21, s14, 5
	v_lshrrev_b32_e32 v4, 27, v2
	s_add_i32 s21, s21, -1
	v_add_u32_e32 v2, v1, v4
	s_waitcnt lgkmcnt(0)
	s_mul_i32 s14, s6, s9
	s_mov_b32 s15, 0
	v_ashrrev_i32_e32 v2, 5, v2
	v_mov_b32_e32 v5, s21
	v_cmp_gt_i32_e32 vcc, s33, v1
	s_lshl_b64 s[14:15], s[14:15], 2
	v_cndmask_b32_e32 v2, v5, v2, vcc
	s_add_u32 s19, s12, s14
	v_ashrrev_i32_e32 v3, 31, v2
	s_addc_u32 s20, s13, s15
	v_lshlrev_b64 v[2:3], 2, v[2:3]
	v_mov_b32_e32 v7, s20
	v_add_co_u32_e32 v6, vcc, s19, v2
	v_or_b32_e32 v2, 16, v1
	v_addc_co_u32_e32 v7, vcc, v7, v3, vcc
	v_add_u32_e32 v3, v2, v4
	v_ashrrev_i32_e32 v3, 5, v3
	v_cmp_gt_i32_e32 vcc, s33, v2
	v_cndmask_b32_e32 v2, v5, v3, vcc
	v_ashrrev_i32_e32 v3, 31, v2
	v_lshlrev_b64 v[2:3], 2, v[2:3]
	v_mov_b32_e32 v9, s20
	v_add_co_u32_e32 v8, vcc, s19, v2
	v_or_b32_e32 v2, 32, v1
	v_addc_co_u32_e32 v9, vcc, v9, v3, vcc
	v_add_u32_e32 v3, v2, v4
	v_ashrrev_i32_e32 v3, 5, v3
	v_cmp_gt_i32_e32 vcc, s33, v2
	v_cndmask_b32_e32 v2, v5, v3, vcc
	v_ashrrev_i32_e32 v3, 31, v2
	;; [unrolled: 10-line block ×3, first 2 shown]
	v_lshlrev_b64 v[2:3], 2, v[2:3]
	v_mov_b32_e32 v1, s20
	v_add_co_u32_e32 v12, vcc, s19, v2
	v_addc_co_u32_e32 v13, vcc, v1, v3, vcc
	global_load_dword v5, v[6:7], off
	global_load_dword v4, v[8:9], off
	;; [unrolled: 1-line block ×4, first 2 shown]
	s_load_dwordx2 s[16:17], s[4:5], 0x8
	s_andn2_b64 vcc, exec, s[2:3]
	s_cbranch_vccnz .LBB587_8
; %bb.6:
	s_add_u32 s0, s0, s10
	s_addc_u32 s1, s1, s11
	s_load_dword s9, s[0:1], 0x0
	s_branch .LBB587_9
.LBB587_7:
	s_mov_b64 s[12:13], 0
	s_branch .LBB587_2
.LBB587_8:
	s_mov_b32 s9, s6
.LBB587_9:
	s_load_dwordx2 s[2:3], s[4:5], 0x10
	s_load_dwordx4 s[12:15], s[4:5], 0x48
	v_lshrrev_b32_e32 v50, 6, v0
	v_bfe_u32 v1, v0, 4, 2
	v_lshl_or_b32 v6, v50, 2, v1
	v_and_b32_e32 v49, 15, v0
	v_lshlrev_b32_e32 v7, 3, v49
	v_cmp_gt_u32_e32 vcc, 14, v6
	v_cmp_gt_u32_e64 s[0:1], 8, v49
	s_mul_i32 s25, s8, 14
	s_and_b64 s[22:23], s[0:1], vcc
	v_lshlrev_b32_e32 v46, 1, v7
	v_lshlrev_b32_e32 v47, 4, v0
	s_and_saveexec_b64 s[10:11], s[22:23]
	s_cbranch_execz .LBB587_11
; %bb.10:
	s_load_dwordx2 s[22:23], s[4:5], 0x0
	s_waitcnt lgkmcnt(0)
	s_ashr_i32 s15, s12, 31
	s_mul_hi_u32 s26, s9, s12
	s_mul_i32 s15, s9, s15
	s_add_i32 s27, s26, s15
	s_mul_i32 s26, s9, s12
	s_lshl_b64 s[26:27], s[26:27], 1
	v_add_lshl_u32 v8, v6, s25, 6
	s_add_u32 s9, s22, s26
	v_ashrrev_i32_e32 v9, 31, v8
	s_addc_u32 s12, s23, s27
	v_lshlrev_b64 v[8:9], 1, v[8:9]
	v_mov_b32_e32 v7, s12
	v_add_co_u32_e32 v8, vcc, s9, v8
	v_addc_co_u32_e32 v7, vcc, v7, v9, vcc
	v_add_co_u32_e32 v8, vcc, v8, v46
	v_addc_co_u32_e32 v9, vcc, 0, v7, vcc
	global_load_dwordx4 v[8:11], v[8:9], off
	v_lshlrev_b32_e32 v12, 8, v49
	v_lshlrev_b32_e32 v6, 5, v6
	v_and_b32_e32 v7, 16, v47
	v_and_b32_e32 v12, 0xe00, v12
	v_or3_b32 v6, v12, v6, v7
	s_waitcnt vmcnt(0)
	ds_write_b128 v6, v[8:11]
.LBB587_11:
	s_or_b64 exec, exec, s[10:11]
	s_waitcnt lgkmcnt(0)
	s_mul_i32 s10, s8, s14
	s_add_u32 s8, s16, s10
	s_addc_u32 s9, s17, 0
	v_pk_mov_b32 v[8:9], s[8:9], s[8:9] op_sel:[0,1]
	s_waitcnt vmcnt(3)
	v_mad_i64_i32 v[10:11], s[8:9], v5, s13, v[8:9]
	v_lshlrev_b32_e32 v12, 4, v49
	v_and_b32_e32 v6, 48, v0
	v_add_co_u32_e32 v5, vcc, v10, v12
	v_lshlrev_b32_e32 v7, 5, v6
	v_addc_co_u32_e32 v11, vcc, 0, v11, vcc
	v_add_co_u32_e32 v10, vcc, v5, v7
	v_addc_co_u32_e32 v11, vcc, 0, v11, vcc
	s_waitcnt vmcnt(2)
	v_mad_i64_i32 v[4:5], s[8:9], v4, s13, v[8:9]
	v_or_b32_e32 v13, 0x100, v12
	v_add_co_u32_e32 v4, vcc, v4, v13
	v_addc_co_u32_e32 v5, vcc, 0, v5, vcc
	v_add_co_u32_e32 v4, vcc, v4, v7
	v_addc_co_u32_e32 v5, vcc, 0, v5, vcc
	s_barrier
	global_load_dwordx4 v[34:37], v[10:11], off
	global_load_dwordx4 v[38:41], v[4:5], off
	s_waitcnt vmcnt(3)
	v_mad_i64_i32 v[4:5], s[8:9], v3, s13, v[8:9]
	v_add_co_u32_e32 v3, vcc, v4, v12
	v_addc_co_u32_e32 v5, vcc, 0, v5, vcc
	v_add_co_u32_e32 v4, vcc, v3, v7
	v_addc_co_u32_e32 v5, vcc, 0, v5, vcc
	s_waitcnt vmcnt(2)
	v_mad_i64_i32 v[2:3], s[8:9], v2, s13, v[8:9]
	v_add_co_u32_e32 v2, vcc, v2, v13
	v_addc_co_u32_e32 v3, vcc, 0, v3, vcc
	v_add_co_u32_e32 v2, vcc, v2, v7
	v_addc_co_u32_e32 v3, vcc, 0, v3, vcc
	global_load_dwordx4 v[30:33], v[4:5], off
	global_load_dwordx4 v[22:25], v[2:3], off
	v_add_u32_e32 v2, -14, v49
	v_cmp_gt_u32_e32 vcc, 14, v49
	v_cndmask_b32_e32 v2, v2, v49, vcc
	v_lshlrev_b32_e32 v2, 5, v2
	v_lshl_add_u32 v2, v1, 9, v2
	ds_read_b128 v[26:29], v2
	ds_read_b128 v[18:21], v2 offset:16
	v_mov_b32_e32 v43, 0
	v_mov_b32_e32 v51, 0
	s_and_saveexec_b64 s[8:9], vcc
	s_cbranch_execz .LBB587_13
; %bb.12:
	s_load_dwordx2 s[14:15], s[4:5], 0x40
	v_add_u32_e32 v2, s25, v49
	v_ashrrev_i32_e32 v3, 31, v2
	v_lshlrev_b64 v[2:3], 2, v[2:3]
	s_waitcnt lgkmcnt(0)
	v_mov_b32_e32 v4, s15
	v_add_co_u32_e32 v2, vcc, s14, v2
	v_addc_co_u32_e32 v3, vcc, v4, v3, vcc
	global_load_dword v51, v[2:3], off
.LBB587_13:
	s_or_b64 exec, exec, s[8:9]
	s_ashr_i32 s8, s18, 31
	v_or_b32_e32 v8, s18, v6
	s_lshr_b32 s8, s8, 27
	v_add_u32_e32 v2, s8, v8
	v_ashrrev_i32_e32 v2, 5, v2
	v_mov_b32_e32 v9, s21
	v_cmp_gt_i32_e32 vcc, s33, v8
	v_cndmask_b32_e32 v2, v9, v2, vcc
	v_ashrrev_i32_e32 v3, 31, v2
	v_lshlrev_b64 v[2:3], 2, v[2:3]
	v_mov_b32_e32 v4, s20
	v_add_co_u32_e32 v2, vcc, s19, v2
	v_addc_co_u32_e32 v3, vcc, v4, v3, vcc
	v_or_b32_e32 v4, 64, v8
	v_add_u32_e32 v5, s8, v4
	v_ashrrev_i32_e32 v5, 5, v5
	v_cmp_gt_i32_e32 vcc, s33, v4
	v_cndmask_b32_e32 v4, v9, v5, vcc
	v_ashrrev_i32_e32 v5, 31, v4
	v_lshlrev_b64 v[4:5], 2, v[4:5]
	v_mov_b32_e32 v6, s20
	v_add_co_u32_e32 v4, vcc, s19, v4
	v_addc_co_u32_e32 v5, vcc, v6, v5, vcc
	v_or_b32_e32 v6, 0x80, v8
	v_add_u32_e32 v7, s8, v6
	v_ashrrev_i32_e32 v7, 5, v7
	v_cmp_gt_i32_e32 vcc, s33, v6
	v_cndmask_b32_e32 v6, v9, v7, vcc
	v_ashrrev_i32_e32 v7, 31, v6
	v_lshlrev_b64 v[6:7], 2, v[6:7]
	v_mov_b32_e32 v10, s20
	v_add_co_u32_e32 v6, vcc, s19, v6
	v_addc_co_u32_e32 v7, vcc, v10, v7, vcc
	global_load_dword v10, v[2:3], off
	global_load_dword v11, v[4:5], off
	;; [unrolled: 1-line block ×3, first 2 shown]
	v_or_b32_e32 v2, 0xc0, v8
	v_add_u32_e32 v3, s8, v2
	v_ashrrev_i32_e32 v3, 5, v3
	v_cmp_gt_i32_e32 vcc, s33, v2
	v_cndmask_b32_e32 v2, v9, v3, vcc
	v_ashrrev_i32_e32 v3, 31, v2
	v_lshlrev_b64 v[2:3], 2, v[2:3]
	v_mov_b32_e32 v4, s20
	v_add_co_u32_e32 v2, vcc, s19, v2
	v_addc_co_u32_e32 v3, vcc, v4, v3, vcc
	global_load_dword v13, v[2:3], off
	s_add_u32 s2, s2, s10
	v_and_b32_e32 v2, 16, v0
	s_addc_u32 s3, s3, 0
	v_lshlrev_b32_e32 v48, 5, v49
	v_mov_b32_e32 v4, s3
	v_add_co_u32_e32 v2, vcc, s2, v2
	v_lshl_or_b32 v3, v50, 9, v48
	v_addc_co_u32_e32 v4, vcc, 0, v4, vcc
	v_add_co_u32_e32 v2, vcc, v2, v3
	v_addc_co_u32_e32 v3, vcc, 0, v4, vcc
	s_movk_i32 s8, 0x80
	s_waitcnt vmcnt(7)
	v_cmp_ne_u16_sdwa s[10:11], v34, v43 src0_sel:BYTE_0 src1_sel:DWORD
	s_waitcnt vmcnt(3)
	v_mad_i64_i32 v[4:5], s[2:3], v10, s13, v[2:3]
	s_waitcnt vmcnt(2)
	v_mad_i64_i32 v[6:7], s[2:3], v11, s13, v[2:3]
	;; [unrolled: 2-line block ×4, first 2 shown]
	global_load_dwordx4 v[14:17], v[4:5], off
	global_load_dwordx4 v[10:13], v[6:7], off
	s_nop 0
	global_load_dwordx4 v[6:9], v[8:9], off
	s_nop 0
	global_load_dwordx4 v[2:5], v[2:3], off
	s_load_dwordx4 s[40:43], s[4:5], 0x80
	s_load_dwordx2 s[44:45], s[4:5], 0x94
	s_waitcnt lgkmcnt(0)
	s_load_dword s12, s[40:41], 0x0
	s_and_saveexec_b64 s[2:3], s[10:11]
	s_cbranch_execz .LBB587_19
; %bb.14:
	v_cmp_ne_u16_sdwa s[10:11], v34, s8 src0_sel:BYTE_0 src1_sel:DWORD
	v_bfrev_b32_e32 v43, 1
	s_and_saveexec_b64 s[8:9], s[10:11]
	s_cbranch_execz .LBB587_18
; %bb.15:
	s_movk_i32 s10, 0x7f
	v_and_b32_e32 v42, 0x7f, v34
	v_cmp_ne_u32_e32 vcc, s10, v42
	v_mov_b32_e32 v43, 0x7f800001
	s_and_saveexec_b64 s[10:11], vcc
	s_cbranch_execz .LBB587_17
; %bb.16:
	v_and_b32_e32 v43, 7, v34
	v_ffbh_u32_e32 v44, v43
	v_min_u32_e32 v53, 32, v44
	v_subrev_u32_e32 v44, 28, v53
	v_lshlrev_b64 v[44:45], v44, v[34:35]
	v_lshrrev_b32_e32 v52, 3, v42
	v_sub_u32_e32 v45, 29, v53
	v_and_b32_e32 v44, 7, v44
	v_cmp_gt_u32_e32 vcc, 8, v42
	v_cndmask_b32_e32 v42, v52, v45, vcc
	v_cndmask_b32_e32 v43, v43, v44, vcc
	v_lshlrev_b32_e32 v44, 24, v34
	v_bfrev_b32_e32 v45, 60
	v_lshlrev_b32_e32 v43, 20, v43
	v_and_b32_e32 v44, 0x80000000, v44
	v_lshl_add_u32 v42, v42, 23, v45
	v_or3_b32 v43, v44, v42, v43
.LBB587_17:
	s_or_b64 exec, exec, s[10:11]
.LBB587_18:
	s_or_b64 exec, exec, s[8:9]
.LBB587_19:
	s_or_b64 exec, exec, s[2:3]
	v_lshrrev_b16_e32 v42, 8, v34
	v_cmp_ne_u16_e32 vcc, 0, v42
	v_mov_b32_e32 v44, 0
	v_mov_b32_e32 v45, 0
	s_and_saveexec_b64 s[2:3], vcc
	s_cbranch_execz .LBB587_25
; %bb.20:
	s_movk_i32 s8, 0x80
	v_cmp_ne_u16_e32 vcc, s8, v42
	v_bfrev_b32_e32 v45, 1
	s_and_saveexec_b64 s[8:9], vcc
	s_cbranch_execz .LBB587_24
; %bb.21:
	s_movk_i32 s10, 0x7f
	v_and_b32_e32 v52, 0x7f, v42
	v_cmp_ne_u32_e32 vcc, s10, v52
	v_mov_b32_e32 v45, 0x7f800001
	s_and_saveexec_b64 s[10:11], vcc
	s_cbranch_execz .LBB587_23
; %bb.22:
	v_and_b32_e32 v45, 7, v42
	v_ffbh_u32_e32 v54, v45
	v_min_u32_e32 v56, 32, v54
	v_subrev_u32_e32 v54, 28, v56
	v_lshlrev_b64 v[54:55], v54, v[42:43]
	v_lshrrev_b32_e32 v53, 3, v52
	v_sub_u32_e32 v42, 29, v56
	v_and_b32_e32 v54, 7, v54
	v_cmp_gt_u32_e32 vcc, 8, v52
	v_cndmask_b32_e32 v42, v53, v42, vcc
	v_cndmask_b32_e32 v45, v45, v54, vcc
	v_lshlrev_b32_e32 v52, 16, v34
	v_bfrev_b32_e32 v53, 60
	v_lshlrev_b32_e32 v45, 20, v45
	v_and_b32_e32 v52, 0x80000000, v52
	v_lshl_add_u32 v42, v42, 23, v53
	v_or3_b32 v45, v52, v42, v45
.LBB587_23:
	s_or_b64 exec, exec, s[10:11]
.LBB587_24:
	s_or_b64 exec, exec, s[8:9]
.LBB587_25:
	s_or_b64 exec, exec, s[2:3]
	s_movk_i32 s2, 0xff
	v_and_b32_sdwa v52, v34, s2 dst_sel:DWORD dst_unused:UNUSED_PAD src0_sel:WORD_1 src1_sel:DWORD
	v_lshrrev_b32_e32 v42, 16, v34
	v_cmp_ne_u16_e32 vcc, 0, v52
	s_and_saveexec_b64 s[2:3], vcc
	s_cbranch_execz .LBB587_31
; %bb.26:
	s_movk_i32 s8, 0x80
	v_cmp_ne_u16_e32 vcc, s8, v52
	v_bfrev_b32_e32 v44, 1
	s_and_saveexec_b64 s[8:9], vcc
	s_cbranch_execz .LBB587_30
; %bb.27:
	v_bfe_u32 v52, v34, 16, 7
	s_movk_i32 s10, 0x7f
	v_cmp_ne_u32_e32 vcc, s10, v52
	v_mov_b32_e32 v44, 0x7f800001
	s_and_saveexec_b64 s[10:11], vcc
	s_cbranch_execz .LBB587_29
; %bb.28:
	v_and_b32_e32 v44, 7, v42
	v_ffbh_u32_e32 v54, v44
	v_min_u32_e32 v56, 32, v54
	v_subrev_u32_e32 v54, 28, v56
	v_lshlrev_b64 v[54:55], v54, v[42:43]
	v_lshrrev_b32_e32 v53, 3, v52
	v_sub_u32_e32 v42, 29, v56
	v_and_b32_e32 v54, 7, v54
	v_cmp_gt_u32_e32 vcc, 8, v52
	v_mov_b32_e32 v52, 24
	v_cndmask_b32_e32 v42, v53, v42, vcc
	v_cndmask_b32_e32 v44, v44, v54, vcc
	v_lshlrev_b32_sdwa v52, v52, v34 dst_sel:DWORD dst_unused:UNUSED_PAD src0_sel:DWORD src1_sel:WORD_1
	v_bfrev_b32_e32 v53, 60
	v_lshlrev_b32_e32 v44, 20, v44
	v_and_b32_e32 v52, 0x80000000, v52
	v_lshl_add_u32 v42, v42, 23, v53
	v_or3_b32 v44, v52, v42, v44
.LBB587_29:
	s_or_b64 exec, exec, s[10:11]
.LBB587_30:
	s_or_b64 exec, exec, s[8:9]
.LBB587_31:
	s_or_b64 exec, exec, s[2:3]
	s_mov_b32 s2, 0xffffff
	v_cmp_lt_u32_e32 vcc, s2, v34
	v_mov_b32_e32 v53, 0
	v_mov_b32_e32 v54, 0
	s_and_saveexec_b64 s[2:3], vcc
	s_cbranch_execz .LBB587_37
; %bb.32:
	v_lshrrev_b32_e32 v42, 24, v34
	s_movk_i32 s8, 0x80
	v_cmp_ne_u32_e32 vcc, s8, v42
	v_bfrev_b32_e32 v54, 1
	s_and_saveexec_b64 s[8:9], vcc
	s_cbranch_execz .LBB587_36
; %bb.33:
	v_bfe_u32 v34, v34, 24, 7
	s_movk_i32 s10, 0x7f
	v_cmp_ne_u32_e32 vcc, s10, v34
	v_mov_b32_e32 v54, 0x7f800001
	s_and_saveexec_b64 s[10:11], vcc
	s_cbranch_execz .LBB587_35
; %bb.34:
	v_and_b32_e32 v52, 7, v42
	v_ffbh_u32_e32 v54, v52
	v_min_u32_e32 v57, 32, v54
	v_subrev_u32_e32 v54, 28, v57
	v_lshlrev_b64 v[54:55], v54, v[42:43]
	v_lshrrev_b32_e32 v56, 3, v34
	v_sub_u32_e32 v55, 29, v57
	v_and_b32_e32 v54, 7, v54
	v_cmp_gt_u32_e32 vcc, 8, v34
	v_cndmask_b32_e32 v34, v56, v55, vcc
	v_cndmask_b32_e32 v52, v52, v54, vcc
	v_lshlrev_b32_e32 v42, 24, v42
	v_bfrev_b32_e32 v54, 60
	v_lshlrev_b32_e32 v52, 20, v52
	v_and_b32_e32 v42, 0x80000000, v42
	v_lshl_add_u32 v34, v34, 23, v54
	v_or3_b32 v54, v42, v34, v52
.LBB587_35:
	s_or_b64 exec, exec, s[10:11]
.LBB587_36:
	s_or_b64 exec, exec, s[8:9]
.LBB587_37:
	s_or_b64 exec, exec, s[2:3]
	v_cmp_ne_u16_sdwa s[8:9], v35, v53 src0_sel:BYTE_0 src1_sel:DWORD
	s_and_saveexec_b64 s[2:3], s[8:9]
	s_cbranch_execz .LBB587_43
; %bb.38:
	s_movk_i32 s8, 0x80
	v_cmp_ne_u16_sdwa s[10:11], v35, s8 src0_sel:BYTE_0 src1_sel:DWORD
	v_bfrev_b32_e32 v53, 1
	s_and_saveexec_b64 s[8:9], s[10:11]
	s_cbranch_execz .LBB587_42
; %bb.39:
	s_movk_i32 s10, 0x7f
	v_and_b32_e32 v34, 0x7f, v35
	v_cmp_ne_u32_e32 vcc, s10, v34
	v_mov_b32_e32 v53, 0x7f800001
	s_and_saveexec_b64 s[10:11], vcc
	s_cbranch_execz .LBB587_41
; %bb.40:
	v_and_b32_e32 v55, 7, v35
	v_ffbh_u32_e32 v52, v55
	v_min_u32_e32 v57, 32, v52
	v_mov_b32_e32 v42, v35
	v_subrev_u32_e32 v52, 28, v57
	v_lshlrev_b64 v[52:53], v52, v[42:43]
	v_lshrrev_b32_e32 v56, 3, v34
	v_sub_u32_e32 v42, 29, v57
	v_and_b32_e32 v52, 7, v52
	v_cmp_gt_u32_e32 vcc, 8, v34
	v_cndmask_b32_e32 v34, v56, v42, vcc
	v_cndmask_b32_e32 v42, v55, v52, vcc
	v_lshlrev_b32_e32 v52, 24, v35
	v_bfrev_b32_e32 v53, 60
	v_lshlrev_b32_e32 v42, 20, v42
	v_and_b32_e32 v52, 0x80000000, v52
	v_lshl_add_u32 v34, v34, 23, v53
	v_or3_b32 v53, v52, v34, v42
.LBB587_41:
	s_or_b64 exec, exec, s[10:11]
.LBB587_42:
	s_or_b64 exec, exec, s[8:9]
.LBB587_43:
	s_or_b64 exec, exec, s[2:3]
	v_lshrrev_b16_e32 v34, 8, v35
	v_cmp_ne_u16_e32 vcc, 0, v34
	v_mov_b32_e32 v42, 0
	v_mov_b32_e32 v55, 0
	s_and_saveexec_b64 s[2:3], vcc
	s_cbranch_execz .LBB587_49
; %bb.44:
	s_movk_i32 s8, 0x80
	v_cmp_ne_u16_e32 vcc, s8, v34
	v_bfrev_b32_e32 v55, 1
	s_and_saveexec_b64 s[8:9], vcc
	s_cbranch_execz .LBB587_48
; %bb.45:
	s_movk_i32 s10, 0x7f
	v_and_b32_e32 v52, 0x7f, v34
	v_cmp_ne_u32_e32 vcc, s10, v52
	v_mov_b32_e32 v55, 0x7f800001
	s_and_saveexec_b64 s[10:11], vcc
	s_cbranch_execz .LBB587_47
; %bb.46:
	v_and_b32_e32 v55, 7, v34
	v_ffbh_u32_e32 v56, v55
	v_min_u32_e32 v59, 32, v56
	v_subrev_u32_e32 v56, 28, v59
	v_lshlrev_b64 v[56:57], v56, v[34:35]
	v_lshrrev_b32_e32 v58, 3, v52
	v_sub_u32_e32 v34, 29, v59
	v_and_b32_e32 v56, 7, v56
	v_cmp_gt_u32_e32 vcc, 8, v52
	v_cndmask_b32_e32 v34, v58, v34, vcc
	v_cndmask_b32_e32 v52, v55, v56, vcc
	v_lshlrev_b32_e32 v55, 16, v35
	v_bfrev_b32_e32 v56, 60
	v_lshlrev_b32_e32 v52, 20, v52
	v_and_b32_e32 v55, 0x80000000, v55
	v_lshl_add_u32 v34, v34, 23, v56
	v_or3_b32 v55, v55, v34, v52
.LBB587_47:
	s_or_b64 exec, exec, s[10:11]
.LBB587_48:
	s_or_b64 exec, exec, s[8:9]
.LBB587_49:
	s_or_b64 exec, exec, s[2:3]
	s_movk_i32 s2, 0xff
	v_and_b32_sdwa v52, v35, s2 dst_sel:DWORD dst_unused:UNUSED_PAD src0_sel:WORD_1 src1_sel:DWORD
	v_lshrrev_b32_e32 v34, 16, v35
	v_cmp_ne_u16_e32 vcc, 0, v52
	s_and_saveexec_b64 s[2:3], vcc
	s_cbranch_execz .LBB587_55
; %bb.50:
	s_movk_i32 s8, 0x80
	v_cmp_ne_u16_e32 vcc, s8, v52
	v_bfrev_b32_e32 v42, 1
	s_and_saveexec_b64 s[8:9], vcc
	s_cbranch_execz .LBB587_54
; %bb.51:
	v_bfe_u32 v52, v35, 16, 7
	s_movk_i32 s10, 0x7f
	v_cmp_ne_u32_e32 vcc, s10, v52
	v_mov_b32_e32 v42, 0x7f800001
	s_and_saveexec_b64 s[10:11], vcc
	s_cbranch_execz .LBB587_53
; %bb.52:
	v_and_b32_e32 v42, 7, v34
	v_ffbh_u32_e32 v56, v42
	v_min_u32_e32 v59, 32, v56
	v_subrev_u32_e32 v56, 28, v59
	v_lshlrev_b64 v[56:57], v56, v[34:35]
	v_lshrrev_b32_e32 v58, 3, v52
	v_sub_u32_e32 v34, 29, v59
	v_and_b32_e32 v56, 7, v56
	v_cmp_gt_u32_e32 vcc, 8, v52
	v_mov_b32_e32 v52, 24
	v_cndmask_b32_e32 v34, v58, v34, vcc
	v_cndmask_b32_e32 v42, v42, v56, vcc
	v_lshlrev_b32_sdwa v52, v52, v35 dst_sel:DWORD dst_unused:UNUSED_PAD src0_sel:DWORD src1_sel:WORD_1
	v_bfrev_b32_e32 v56, 60
	v_lshlrev_b32_e32 v42, 20, v42
	v_and_b32_e32 v52, 0x80000000, v52
	v_lshl_add_u32 v34, v34, 23, v56
	v_or3_b32 v42, v52, v34, v42
.LBB587_53:
	s_or_b64 exec, exec, s[10:11]
.LBB587_54:
	s_or_b64 exec, exec, s[8:9]
.LBB587_55:
	s_or_b64 exec, exec, s[2:3]
	s_mov_b32 s2, 0xffffff
	v_cmp_lt_u32_e32 vcc, s2, v35
	v_mov_b32_e32 v52, 0
	v_mov_b32_e32 v56, 0
	s_and_saveexec_b64 s[2:3], vcc
	s_cbranch_execz .LBB587_61
; %bb.56:
	v_lshrrev_b32_e32 v34, 24, v35
	s_movk_i32 s8, 0x80
	v_cmp_ne_u32_e32 vcc, s8, v34
	v_bfrev_b32_e32 v56, 1
	s_and_saveexec_b64 s[8:9], vcc
	s_cbranch_execz .LBB587_60
; %bb.57:
	v_bfe_u32 v35, v35, 24, 7
	s_movk_i32 s10, 0x7f
	v_cmp_ne_u32_e32 vcc, s10, v35
	v_mov_b32_e32 v56, 0x7f800001
	s_and_saveexec_b64 s[10:11], vcc
	s_cbranch_execz .LBB587_59
; %bb.58:
	v_and_b32_e32 v58, 7, v34
	v_ffbh_u32_e32 v56, v58
	v_min_u32_e32 v60, 32, v56
	v_subrev_u32_e32 v56, 28, v60
	v_lshlrev_b64 v[56:57], v56, v[34:35]
	v_lshrrev_b32_e32 v59, 3, v35
	v_sub_u32_e32 v57, 29, v60
	v_and_b32_e32 v56, 7, v56
	v_cmp_gt_u32_e32 vcc, 8, v35
	v_cndmask_b32_e32 v35, v59, v57, vcc
	v_cndmask_b32_e32 v56, v58, v56, vcc
	v_lshlrev_b32_e32 v34, 24, v34
	v_bfrev_b32_e32 v57, 60
	v_lshlrev_b32_e32 v56, 20, v56
	v_and_b32_e32 v34, 0x80000000, v34
	v_lshl_add_u32 v35, v35, 23, v57
	v_or3_b32 v56, v34, v35, v56
.LBB587_59:
	s_or_b64 exec, exec, s[10:11]
.LBB587_60:
	s_or_b64 exec, exec, s[8:9]
.LBB587_61:
	s_or_b64 exec, exec, s[2:3]
	v_cvt_pkrtz_f16_f32 v34, v43, v45
	v_cvt_pkrtz_f16_f32 v35, v44, v54
	v_cmp_ne_u16_sdwa s[8:9], v36, v52 src0_sel:BYTE_0 src1_sel:DWORD
	s_nop 0
	v_mfma_f32_16x16x16f16 v[58:61], v[34:35], v[26:27], 0
	v_cvt_pkrtz_f16_f32 v34, v53, v55
	v_cvt_pkrtz_f16_f32 v35, v42, v56
	s_nop 1
	v_mfma_f32_16x16x16f16 v[42:45], v[34:35], v[28:29], v[58:61]
	s_and_saveexec_b64 s[2:3], s[8:9]
	s_cbranch_execz .LBB587_67
; %bb.62:
	s_movk_i32 s8, 0x80
	v_cmp_ne_u16_sdwa s[10:11], v36, s8 src0_sel:BYTE_0 src1_sel:DWORD
	v_bfrev_b32_e32 v52, 1
	s_and_saveexec_b64 s[8:9], s[10:11]
	s_cbranch_execz .LBB587_66
; %bb.63:
	s_movk_i32 s10, 0x7f
	v_and_b32_e32 v34, 0x7f, v36
	v_cmp_ne_u32_e32 vcc, s10, v34
	v_mov_b32_e32 v52, 0x7f800001
	s_and_saveexec_b64 s[10:11], vcc
	s_cbranch_execz .LBB587_65
; %bb.64:
	v_and_b32_e32 v35, 7, v36
	v_ffbh_u32_e32 v52, v35
	v_min_u32_e32 v55, 32, v52
	v_subrev_u32_e32 v52, 28, v55
	v_lshlrev_b64 v[52:53], v52, v[36:37]
	v_lshrrev_b32_e32 v54, 3, v34
	v_sub_u32_e32 v53, 29, v55
	v_and_b32_e32 v52, 7, v52
	v_cmp_gt_u32_e32 vcc, 8, v34
	v_cndmask_b32_e32 v34, v54, v53, vcc
	v_cndmask_b32_e32 v35, v35, v52, vcc
	v_lshlrev_b32_e32 v52, 24, v36
	v_bfrev_b32_e32 v53, 60
	v_lshlrev_b32_e32 v35, 20, v35
	v_and_b32_e32 v52, 0x80000000, v52
	v_lshl_add_u32 v34, v34, 23, v53
	v_or3_b32 v52, v52, v34, v35
.LBB587_65:
	s_or_b64 exec, exec, s[10:11]
.LBB587_66:
	s_or_b64 exec, exec, s[8:9]
.LBB587_67:
	s_or_b64 exec, exec, s[2:3]
	v_lshrrev_b16_e32 v34, 8, v36
	v_cmp_ne_u16_e32 vcc, 0, v34
	v_mov_b32_e32 v35, 0
	v_mov_b32_e32 v54, 0
	s_and_saveexec_b64 s[2:3], vcc
	s_cbranch_execz .LBB587_73
; %bb.68:
	s_movk_i32 s8, 0x80
	v_cmp_ne_u16_e32 vcc, s8, v34
	v_bfrev_b32_e32 v54, 1
	s_and_saveexec_b64 s[8:9], vcc
	s_cbranch_execz .LBB587_72
; %bb.69:
	s_movk_i32 s10, 0x7f
	v_and_b32_e32 v53, 0x7f, v34
	v_cmp_ne_u32_e32 vcc, s10, v53
	v_mov_b32_e32 v54, 0x7f800001
	s_and_saveexec_b64 s[10:11], vcc
	s_cbranch_execz .LBB587_71
; %bb.70:
	v_and_b32_e32 v56, 7, v34
	v_ffbh_u32_e32 v54, v56
	v_min_u32_e32 v58, 32, v54
	v_subrev_u32_e32 v54, 28, v58
	v_lshlrev_b64 v[54:55], v54, v[34:35]
	v_lshrrev_b32_e32 v57, 3, v53
	v_sub_u32_e32 v34, 29, v58
	v_and_b32_e32 v54, 7, v54
	v_cmp_gt_u32_e32 vcc, 8, v53
	v_cndmask_b32_e32 v34, v57, v34, vcc
	v_cndmask_b32_e32 v53, v56, v54, vcc
	v_lshlrev_b32_e32 v54, 16, v36
	v_bfrev_b32_e32 v55, 60
	v_lshlrev_b32_e32 v53, 20, v53
	v_and_b32_e32 v54, 0x80000000, v54
	v_lshl_add_u32 v34, v34, 23, v55
	v_or3_b32 v54, v54, v34, v53
.LBB587_71:
	s_or_b64 exec, exec, s[10:11]
.LBB587_72:
	s_or_b64 exec, exec, s[8:9]
.LBB587_73:
	s_or_b64 exec, exec, s[2:3]
	s_movk_i32 s2, 0xff
	v_and_b32_sdwa v53, v36, s2 dst_sel:DWORD dst_unused:UNUSED_PAD src0_sel:WORD_1 src1_sel:DWORD
	v_lshrrev_b32_e32 v34, 16, v36
	v_cmp_ne_u16_e32 vcc, 0, v53
	s_and_saveexec_b64 s[2:3], vcc
	s_cbranch_execz .LBB587_79
; %bb.74:
	s_movk_i32 s8, 0x80
	v_cmp_ne_u16_e32 vcc, s8, v53
	v_bfrev_b32_e32 v35, 1
	s_and_saveexec_b64 s[8:9], vcc
	s_cbranch_execz .LBB587_78
; %bb.75:
	v_bfe_u32 v53, v36, 16, 7
	s_movk_i32 s10, 0x7f
	v_cmp_ne_u32_e32 vcc, s10, v53
	v_mov_b32_e32 v35, 0x7f800001
	s_and_saveexec_b64 s[10:11], vcc
	s_cbranch_execz .LBB587_77
; %bb.76:
	v_and_b32_e32 v55, 7, v34
	v_ffbh_u32_e32 v35, v55
	v_min_u32_e32 v57, 32, v35
	v_subrev_u32_e32 v35, 28, v57
	v_lshlrev_b64 v[34:35], v35, v[34:35]
	v_lshrrev_b32_e32 v56, 3, v53
	v_sub_u32_e32 v35, 29, v57
	v_and_b32_e32 v34, 7, v34
	v_cmp_gt_u32_e32 vcc, 8, v53
	v_mov_b32_e32 v53, 24
	v_cndmask_b32_e32 v35, v56, v35, vcc
	v_cndmask_b32_e32 v34, v55, v34, vcc
	v_lshlrev_b32_sdwa v53, v53, v36 dst_sel:DWORD dst_unused:UNUSED_PAD src0_sel:DWORD src1_sel:WORD_1
	v_bfrev_b32_e32 v55, 60
	v_lshlrev_b32_e32 v34, 20, v34
	v_and_b32_e32 v53, 0x80000000, v53
	v_lshl_add_u32 v35, v35, 23, v55
	v_or3_b32 v35, v53, v35, v34
.LBB587_77:
	s_or_b64 exec, exec, s[10:11]
.LBB587_78:
	s_or_b64 exec, exec, s[8:9]
.LBB587_79:
	s_or_b64 exec, exec, s[2:3]
	s_mov_b32 s2, 0xffffff
	v_cmp_lt_u32_e32 vcc, s2, v36
	v_mov_b32_e32 v55, 0
	v_mov_b32_e32 v56, 0
	s_and_saveexec_b64 s[2:3], vcc
	s_cbranch_execz .LBB587_85
; %bb.80:
	v_lshrrev_b32_e32 v34, 24, v36
	s_movk_i32 s8, 0x80
	v_cmp_ne_u32_e32 vcc, s8, v34
	v_bfrev_b32_e32 v56, 1
	s_and_saveexec_b64 s[8:9], vcc
	s_cbranch_execz .LBB587_84
; %bb.81:
	v_bfe_u32 v36, v36, 24, 7
	s_movk_i32 s10, 0x7f
	v_cmp_ne_u32_e32 vcc, s10, v36
	v_mov_b32_e32 v56, 0x7f800001
	s_and_saveexec_b64 s[10:11], vcc
	s_cbranch_execz .LBB587_83
; %bb.82:
	v_and_b32_e32 v53, 7, v34
	v_ffbh_u32_e32 v56, v53
	v_min_u32_e32 v59, 32, v56
	v_subrev_u32_e32 v56, 28, v59
	v_lshlrev_b64 v[56:57], v56, v[34:35]
	v_lshrrev_b32_e32 v58, 3, v36
	v_sub_u32_e32 v57, 29, v59
	v_and_b32_e32 v56, 7, v56
	v_cmp_gt_u32_e32 vcc, 8, v36
	v_cndmask_b32_e32 v36, v58, v57, vcc
	v_cndmask_b32_e32 v53, v53, v56, vcc
	v_lshlrev_b32_e32 v34, 24, v34
	v_bfrev_b32_e32 v56, 60
	v_lshlrev_b32_e32 v53, 20, v53
	v_and_b32_e32 v34, 0x80000000, v34
	v_lshl_add_u32 v36, v36, 23, v56
	v_or3_b32 v56, v34, v36, v53
.LBB587_83:
	s_or_b64 exec, exec, s[10:11]
.LBB587_84:
	s_or_b64 exec, exec, s[8:9]
.LBB587_85:
	s_or_b64 exec, exec, s[2:3]
	v_cmp_ne_u16_sdwa s[8:9], v37, v55 src0_sel:BYTE_0 src1_sel:DWORD
	s_and_saveexec_b64 s[2:3], s[8:9]
	s_cbranch_execz .LBB587_91
; %bb.86:
	s_movk_i32 s8, 0x80
	v_cmp_ne_u16_sdwa s[10:11], v37, s8 src0_sel:BYTE_0 src1_sel:DWORD
	v_bfrev_b32_e32 v55, 1
	s_and_saveexec_b64 s[8:9], s[10:11]
	s_cbranch_execz .LBB587_90
; %bb.87:
	s_movk_i32 s10, 0x7f
	v_and_b32_e32 v34, 0x7f, v37
	v_cmp_ne_u32_e32 vcc, s10, v34
	v_mov_b32_e32 v55, 0x7f800001
	s_and_saveexec_b64 s[10:11], vcc
	s_cbranch_execz .LBB587_89
; %bb.88:
	v_and_b32_e32 v53, 7, v37
	v_ffbh_u32_e32 v57, v53
	v_min_u32_e32 v57, 32, v57
	v_mov_b32_e32 v36, v37
	v_subrev_u32_e32 v58, 28, v57
	v_lshlrev_b64 v[58:59], v58, v[36:37]
	v_lshrrev_b32_e32 v55, 3, v34
	v_sub_u32_e32 v36, 29, v57
	v_and_b32_e32 v57, 7, v58
	v_cmp_gt_u32_e32 vcc, 8, v34
	v_cndmask_b32_e32 v34, v55, v36, vcc
	v_cndmask_b32_e32 v36, v53, v57, vcc
	v_lshlrev_b32_e32 v53, 24, v37
	v_bfrev_b32_e32 v55, 60
	v_lshlrev_b32_e32 v36, 20, v36
	v_and_b32_e32 v53, 0x80000000, v53
	v_lshl_add_u32 v34, v34, 23, v55
	v_or3_b32 v55, v53, v34, v36
.LBB587_89:
	s_or_b64 exec, exec, s[10:11]
.LBB587_90:
	s_or_b64 exec, exec, s[8:9]
.LBB587_91:
	s_or_b64 exec, exec, s[2:3]
	v_lshrrev_b16_e32 v34, 8, v37
	v_cmp_ne_u16_e32 vcc, 0, v34
	v_mov_b32_e32 v36, 0
	v_mov_b32_e32 v57, 0
	s_and_saveexec_b64 s[2:3], vcc
	s_cbranch_execz .LBB587_97
; %bb.92:
	s_movk_i32 s8, 0x80
	v_cmp_ne_u16_e32 vcc, s8, v34
	v_bfrev_b32_e32 v57, 1
	s_and_saveexec_b64 s[8:9], vcc
	s_cbranch_execz .LBB587_96
; %bb.93:
	s_movk_i32 s10, 0x7f
	v_and_b32_e32 v53, 0x7f, v34
	v_cmp_ne_u32_e32 vcc, s10, v53
	v_mov_b32_e32 v57, 0x7f800001
	s_and_saveexec_b64 s[10:11], vcc
	s_cbranch_execz .LBB587_95
; %bb.94:
	v_and_b32_e32 v57, 7, v34
	v_ffbh_u32_e32 v58, v57
	v_min_u32_e32 v61, 32, v58
	v_subrev_u32_e32 v58, 28, v61
	v_lshlrev_b64 v[58:59], v58, v[34:35]
	v_lshrrev_b32_e32 v60, 3, v53
	v_sub_u32_e32 v34, 29, v61
	v_and_b32_e32 v58, 7, v58
	v_cmp_gt_u32_e32 vcc, 8, v53
	v_cndmask_b32_e32 v34, v60, v34, vcc
	v_cndmask_b32_e32 v53, v57, v58, vcc
	v_lshlrev_b32_e32 v57, 16, v37
	v_bfrev_b32_e32 v58, 60
	v_lshlrev_b32_e32 v53, 20, v53
	v_and_b32_e32 v57, 0x80000000, v57
	v_lshl_add_u32 v34, v34, 23, v58
	v_or3_b32 v57, v57, v34, v53
.LBB587_95:
	s_or_b64 exec, exec, s[10:11]
.LBB587_96:
	s_or_b64 exec, exec, s[8:9]
.LBB587_97:
	s_or_b64 exec, exec, s[2:3]
	s_movk_i32 s2, 0xff
	v_and_b32_sdwa v53, v37, s2 dst_sel:DWORD dst_unused:UNUSED_PAD src0_sel:WORD_1 src1_sel:DWORD
	v_lshrrev_b32_e32 v34, 16, v37
	v_cmp_ne_u16_e32 vcc, 0, v53
	s_and_saveexec_b64 s[2:3], vcc
	s_cbranch_execz .LBB587_103
; %bb.98:
	s_movk_i32 s8, 0x80
	v_cmp_ne_u16_e32 vcc, s8, v53
	v_bfrev_b32_e32 v36, 1
	s_and_saveexec_b64 s[8:9], vcc
	s_cbranch_execz .LBB587_102
; %bb.99:
	v_bfe_u32 v53, v37, 16, 7
	s_movk_i32 s10, 0x7f
	v_cmp_ne_u32_e32 vcc, s10, v53
	v_mov_b32_e32 v36, 0x7f800001
	s_and_saveexec_b64 s[10:11], vcc
	s_cbranch_execz .LBB587_101
; %bb.100:
	v_and_b32_e32 v36, 7, v34
	v_ffbh_u32_e32 v58, v36
	v_min_u32_e32 v61, 32, v58
	v_subrev_u32_e32 v58, 28, v61
	v_lshlrev_b64 v[58:59], v58, v[34:35]
	v_lshrrev_b32_e32 v60, 3, v53
	v_sub_u32_e32 v34, 29, v61
	v_and_b32_e32 v58, 7, v58
	v_cmp_gt_u32_e32 vcc, 8, v53
	v_mov_b32_e32 v53, 24
	v_cndmask_b32_e32 v34, v60, v34, vcc
	v_cndmask_b32_e32 v36, v36, v58, vcc
	v_lshlrev_b32_sdwa v53, v53, v37 dst_sel:DWORD dst_unused:UNUSED_PAD src0_sel:DWORD src1_sel:WORD_1
	v_bfrev_b32_e32 v58, 60
	v_lshlrev_b32_e32 v36, 20, v36
	v_and_b32_e32 v53, 0x80000000, v53
	v_lshl_add_u32 v34, v34, 23, v58
	v_or3_b32 v36, v53, v34, v36
.LBB587_101:
	s_or_b64 exec, exec, s[10:11]
.LBB587_102:
	s_or_b64 exec, exec, s[8:9]
.LBB587_103:
	s_or_b64 exec, exec, s[2:3]
	s_mov_b32 s2, 0xffffff
	v_cmp_lt_u32_e32 vcc, s2, v37
	v_mov_b32_e32 v53, 0
	v_mov_b32_e32 v58, 0
	s_and_saveexec_b64 s[2:3], vcc
	s_cbranch_execz .LBB587_109
; %bb.104:
	v_lshrrev_b32_e32 v34, 24, v37
	s_movk_i32 s8, 0x80
	v_cmp_ne_u32_e32 vcc, s8, v34
	v_bfrev_b32_e32 v58, 1
	s_and_saveexec_b64 s[8:9], vcc
	s_cbranch_execz .LBB587_108
; %bb.105:
	v_bfe_u32 v37, v37, 24, 7
	s_movk_i32 s10, 0x7f
	v_cmp_ne_u32_e32 vcc, s10, v37
	v_mov_b32_e32 v58, 0x7f800001
	s_and_saveexec_b64 s[10:11], vcc
	s_cbranch_execz .LBB587_107
; %bb.106:
	v_and_b32_e32 v60, 7, v34
	v_ffbh_u32_e32 v58, v60
	v_min_u32_e32 v62, 32, v58
	v_subrev_u32_e32 v58, 28, v62
	v_lshlrev_b64 v[58:59], v58, v[34:35]
	v_lshrrev_b32_e32 v61, 3, v37
	v_sub_u32_e32 v59, 29, v62
	v_and_b32_e32 v58, 7, v58
	v_cmp_gt_u32_e32 vcc, 8, v37
	v_cndmask_b32_e32 v37, v61, v59, vcc
	v_cndmask_b32_e32 v58, v60, v58, vcc
	v_lshlrev_b32_e32 v34, 24, v34
	v_bfrev_b32_e32 v59, 60
	v_lshlrev_b32_e32 v58, 20, v58
	v_and_b32_e32 v34, 0x80000000, v34
	v_lshl_add_u32 v37, v37, 23, v59
	v_or3_b32 v58, v34, v37, v58
.LBB587_107:
	s_or_b64 exec, exec, s[10:11]
.LBB587_108:
	s_or_b64 exec, exec, s[8:9]
.LBB587_109:
	s_or_b64 exec, exec, s[2:3]
	v_cvt_pkrtz_f16_f32 v34, v52, v54
	v_cvt_pkrtz_f16_f32 v35, v35, v56
	v_cmp_ne_u16_sdwa s[8:9], v38, v53 src0_sel:BYTE_0 src1_sel:DWORD
	s_nop 0
	v_mfma_f32_16x16x16f16 v[42:45], v[34:35], v[18:19], v[42:45]
	v_cvt_pkrtz_f16_f32 v34, v55, v57
	v_cvt_pkrtz_f16_f32 v35, v36, v58
	s_nop 1
	v_mfma_f32_16x16x16f16 v[34:37], v[34:35], v[20:21], v[42:45]
	s_and_saveexec_b64 s[2:3], s[8:9]
	s_cbranch_execz .LBB587_115
; %bb.110:
	s_movk_i32 s8, 0x80
	v_cmp_ne_u16_sdwa s[10:11], v38, s8 src0_sel:BYTE_0 src1_sel:DWORD
	v_bfrev_b32_e32 v53, 1
	s_and_saveexec_b64 s[8:9], s[10:11]
	s_cbranch_execz .LBB587_114
; %bb.111:
	s_movk_i32 s10, 0x7f
	v_and_b32_e32 v42, 0x7f, v38
	v_cmp_ne_u32_e32 vcc, s10, v42
	v_mov_b32_e32 v53, 0x7f800001
	s_and_saveexec_b64 s[10:11], vcc
	s_cbranch_execz .LBB587_113
; %bb.112:
	v_and_b32_e32 v43, 7, v38
	v_ffbh_u32_e32 v44, v43
	v_min_u32_e32 v53, 32, v44
	v_subrev_u32_e32 v44, 28, v53
	v_lshlrev_b64 v[44:45], v44, v[38:39]
	v_lshrrev_b32_e32 v52, 3, v42
	v_sub_u32_e32 v45, 29, v53
	v_and_b32_e32 v44, 7, v44
	v_cmp_gt_u32_e32 vcc, 8, v42
	v_cndmask_b32_e32 v42, v52, v45, vcc
	v_cndmask_b32_e32 v43, v43, v44, vcc
	v_lshlrev_b32_e32 v44, 24, v38
	v_bfrev_b32_e32 v45, 60
	v_lshlrev_b32_e32 v43, 20, v43
	v_and_b32_e32 v44, 0x80000000, v44
	v_lshl_add_u32 v42, v42, 23, v45
	v_or3_b32 v53, v44, v42, v43
.LBB587_113:
	s_or_b64 exec, exec, s[10:11]
.LBB587_114:
	s_or_b64 exec, exec, s[8:9]
.LBB587_115:
	s_or_b64 exec, exec, s[2:3]
	s_nop 3
	v_lshrrev_b16_e32 v42, 8, v38
	v_cmp_ne_u16_e32 vcc, 0, v42
	v_mov_b32_e32 v43, 0
	v_mov_b32_e32 v44, 0
	s_and_saveexec_b64 s[2:3], vcc
	s_cbranch_execz .LBB587_121
; %bb.116:
	s_movk_i32 s8, 0x80
	v_cmp_ne_u16_e32 vcc, s8, v42
	v_bfrev_b32_e32 v44, 1
	s_and_saveexec_b64 s[8:9], vcc
	s_cbranch_execz .LBB587_120
; %bb.117:
	s_movk_i32 s10, 0x7f
	v_and_b32_e32 v45, 0x7f, v42
	v_cmp_ne_u32_e32 vcc, s10, v45
	v_mov_b32_e32 v44, 0x7f800001
	s_and_saveexec_b64 s[10:11], vcc
	s_cbranch_execz .LBB587_119
; %bb.118:
	v_and_b32_e32 v44, 7, v42
	v_ffbh_u32_e32 v54, v44
	v_min_u32_e32 v56, 32, v54
	v_subrev_u32_e32 v54, 28, v56
	v_lshlrev_b64 v[54:55], v54, v[42:43]
	v_lshrrev_b32_e32 v52, 3, v45
	v_sub_u32_e32 v42, 29, v56
	v_and_b32_e32 v54, 7, v54
	v_cmp_gt_u32_e32 vcc, 8, v45
	v_cndmask_b32_e32 v42, v52, v42, vcc
	v_cndmask_b32_e32 v44, v44, v54, vcc
	v_lshlrev_b32_e32 v45, 16, v38
	v_bfrev_b32_e32 v52, 60
	v_lshlrev_b32_e32 v44, 20, v44
	v_and_b32_e32 v45, 0x80000000, v45
	v_lshl_add_u32 v42, v42, 23, v52
	v_or3_b32 v44, v45, v42, v44
.LBB587_119:
	s_or_b64 exec, exec, s[10:11]
.LBB587_120:
	s_or_b64 exec, exec, s[8:9]
.LBB587_121:
	s_or_b64 exec, exec, s[2:3]
	s_movk_i32 s2, 0xff
	v_and_b32_sdwa v45, v38, s2 dst_sel:DWORD dst_unused:UNUSED_PAD src0_sel:WORD_1 src1_sel:DWORD
	v_lshrrev_b32_e32 v42, 16, v38
	v_cmp_ne_u16_e32 vcc, 0, v45
	s_and_saveexec_b64 s[2:3], vcc
	s_cbranch_execz .LBB587_127
; %bb.122:
	s_movk_i32 s8, 0x80
	v_cmp_ne_u16_e32 vcc, s8, v45
	v_bfrev_b32_e32 v43, 1
	s_and_saveexec_b64 s[8:9], vcc
	s_cbranch_execz .LBB587_126
; %bb.123:
	v_bfe_u32 v45, v38, 16, 7
	s_movk_i32 s10, 0x7f
	v_cmp_ne_u32_e32 vcc, s10, v45
	v_mov_b32_e32 v43, 0x7f800001
	s_and_saveexec_b64 s[10:11], vcc
	s_cbranch_execz .LBB587_125
; %bb.124:
	v_and_b32_e32 v52, 7, v42
	v_ffbh_u32_e32 v43, v52
	v_min_u32_e32 v55, 32, v43
	v_subrev_u32_e32 v43, 28, v55
	v_lshlrev_b64 v[42:43], v43, v[42:43]
	v_lshrrev_b32_e32 v54, 3, v45
	v_sub_u32_e32 v43, 29, v55
	v_and_b32_e32 v42, 7, v42
	v_cmp_gt_u32_e32 vcc, 8, v45
	v_mov_b32_e32 v45, 24
	v_cndmask_b32_e32 v43, v54, v43, vcc
	v_cndmask_b32_e32 v42, v52, v42, vcc
	v_lshlrev_b32_sdwa v45, v45, v38 dst_sel:DWORD dst_unused:UNUSED_PAD src0_sel:DWORD src1_sel:WORD_1
	v_bfrev_b32_e32 v52, 60
	v_lshlrev_b32_e32 v42, 20, v42
	v_and_b32_e32 v45, 0x80000000, v45
	v_lshl_add_u32 v43, v43, 23, v52
	v_or3_b32 v43, v45, v43, v42
.LBB587_125:
	s_or_b64 exec, exec, s[10:11]
.LBB587_126:
	s_or_b64 exec, exec, s[8:9]
.LBB587_127:
	s_or_b64 exec, exec, s[2:3]
	s_mov_b32 s2, 0xffffff
	v_cmp_lt_u32_e32 vcc, s2, v38
	v_mov_b32_e32 v45, 0
	v_mov_b32_e32 v54, 0
	s_and_saveexec_b64 s[2:3], vcc
	s_cbranch_execz .LBB587_133
; %bb.128:
	v_lshrrev_b32_e32 v42, 24, v38
	s_movk_i32 s8, 0x80
	v_cmp_ne_u32_e32 vcc, s8, v42
	v_bfrev_b32_e32 v54, 1
	s_and_saveexec_b64 s[8:9], vcc
	s_cbranch_execz .LBB587_132
; %bb.129:
	v_bfe_u32 v38, v38, 24, 7
	s_movk_i32 s10, 0x7f
	v_cmp_ne_u32_e32 vcc, s10, v38
	v_mov_b32_e32 v54, 0x7f800001
	s_and_saveexec_b64 s[10:11], vcc
	s_cbranch_execz .LBB587_131
; %bb.130:
	v_and_b32_e32 v52, 7, v42
	v_ffbh_u32_e32 v54, v52
	v_min_u32_e32 v57, 32, v54
	v_subrev_u32_e32 v54, 28, v57
	v_lshlrev_b64 v[54:55], v54, v[42:43]
	v_lshrrev_b32_e32 v56, 3, v38
	v_sub_u32_e32 v55, 29, v57
	v_and_b32_e32 v54, 7, v54
	v_cmp_gt_u32_e32 vcc, 8, v38
	v_cndmask_b32_e32 v38, v56, v55, vcc
	v_cndmask_b32_e32 v52, v52, v54, vcc
	v_lshlrev_b32_e32 v42, 24, v42
	v_bfrev_b32_e32 v54, 60
	v_lshlrev_b32_e32 v52, 20, v52
	v_and_b32_e32 v42, 0x80000000, v42
	v_lshl_add_u32 v38, v38, 23, v54
	v_or3_b32 v54, v42, v38, v52
.LBB587_131:
	s_or_b64 exec, exec, s[10:11]
.LBB587_132:
	s_or_b64 exec, exec, s[8:9]
.LBB587_133:
	s_or_b64 exec, exec, s[2:3]
	v_cmp_ne_u16_sdwa s[8:9], v39, v45 src0_sel:BYTE_0 src1_sel:DWORD
	s_and_saveexec_b64 s[2:3], s[8:9]
	s_cbranch_execz .LBB587_139
; %bb.134:
	s_movk_i32 s8, 0x80
	v_cmp_ne_u16_sdwa s[10:11], v39, s8 src0_sel:BYTE_0 src1_sel:DWORD
	v_bfrev_b32_e32 v45, 1
	s_and_saveexec_b64 s[8:9], s[10:11]
	s_cbranch_execz .LBB587_138
; %bb.135:
	s_movk_i32 s10, 0x7f
	v_and_b32_e32 v38, 0x7f, v39
	v_cmp_ne_u32_e32 vcc, s10, v38
	v_mov_b32_e32 v45, 0x7f800001
	s_and_saveexec_b64 s[10:11], vcc
	s_cbranch_execz .LBB587_137
; %bb.136:
	v_and_b32_e32 v45, 7, v39
	v_ffbh_u32_e32 v55, v45
	v_min_u32_e32 v55, 32, v55
	v_mov_b32_e32 v42, v39
	v_subrev_u32_e32 v56, 28, v55
	v_lshlrev_b64 v[56:57], v56, v[42:43]
	v_lshrrev_b32_e32 v52, 3, v38
	v_sub_u32_e32 v42, 29, v55
	v_and_b32_e32 v55, 7, v56
	v_cmp_gt_u32_e32 vcc, 8, v38
	v_cndmask_b32_e32 v38, v52, v42, vcc
	v_cndmask_b32_e32 v42, v45, v55, vcc
	v_lshlrev_b32_e32 v45, 24, v39
	v_bfrev_b32_e32 v52, 60
	v_lshlrev_b32_e32 v42, 20, v42
	v_and_b32_e32 v45, 0x80000000, v45
	v_lshl_add_u32 v38, v38, 23, v52
	v_or3_b32 v45, v45, v38, v42
.LBB587_137:
	s_or_b64 exec, exec, s[10:11]
.LBB587_138:
	s_or_b64 exec, exec, s[8:9]
.LBB587_139:
	s_or_b64 exec, exec, s[2:3]
	v_lshrrev_b16_e32 v38, 8, v39
	v_cmp_ne_u16_e32 vcc, 0, v38
	v_mov_b32_e32 v42, 0
	v_mov_b32_e32 v55, 0
	s_and_saveexec_b64 s[2:3], vcc
	s_cbranch_execz .LBB587_145
; %bb.140:
	s_movk_i32 s8, 0x80
	v_cmp_ne_u16_e32 vcc, s8, v38
	v_bfrev_b32_e32 v55, 1
	s_and_saveexec_b64 s[8:9], vcc
	s_cbranch_execz .LBB587_144
; %bb.141:
	s_movk_i32 s10, 0x7f
	v_and_b32_e32 v52, 0x7f, v38
	v_cmp_ne_u32_e32 vcc, s10, v52
	v_mov_b32_e32 v55, 0x7f800001
	s_and_saveexec_b64 s[10:11], vcc
	s_cbranch_execz .LBB587_143
; %bb.142:
	v_and_b32_e32 v55, 7, v38
	v_ffbh_u32_e32 v56, v55
	v_min_u32_e32 v59, 32, v56
	v_subrev_u32_e32 v56, 28, v59
	v_lshlrev_b64 v[56:57], v56, v[38:39]
	v_lshrrev_b32_e32 v58, 3, v52
	v_sub_u32_e32 v38, 29, v59
	v_and_b32_e32 v56, 7, v56
	v_cmp_gt_u32_e32 vcc, 8, v52
	v_cndmask_b32_e32 v38, v58, v38, vcc
	v_cndmask_b32_e32 v52, v55, v56, vcc
	v_lshlrev_b32_e32 v55, 16, v39
	v_bfrev_b32_e32 v56, 60
	v_lshlrev_b32_e32 v52, 20, v52
	v_and_b32_e32 v55, 0x80000000, v55
	v_lshl_add_u32 v38, v38, 23, v56
	v_or3_b32 v55, v55, v38, v52
.LBB587_143:
	s_or_b64 exec, exec, s[10:11]
.LBB587_144:
	s_or_b64 exec, exec, s[8:9]
.LBB587_145:
	s_or_b64 exec, exec, s[2:3]
	s_movk_i32 s2, 0xff
	v_and_b32_sdwa v52, v39, s2 dst_sel:DWORD dst_unused:UNUSED_PAD src0_sel:WORD_1 src1_sel:DWORD
	v_lshrrev_b32_e32 v38, 16, v39
	v_cmp_ne_u16_e32 vcc, 0, v52
	s_and_saveexec_b64 s[2:3], vcc
	s_cbranch_execz .LBB587_151
; %bb.146:
	s_movk_i32 s8, 0x80
	v_cmp_ne_u16_e32 vcc, s8, v52
	v_bfrev_b32_e32 v42, 1
	s_and_saveexec_b64 s[8:9], vcc
	s_cbranch_execz .LBB587_150
; %bb.147:
	v_bfe_u32 v52, v39, 16, 7
	s_movk_i32 s10, 0x7f
	v_cmp_ne_u32_e32 vcc, s10, v52
	v_mov_b32_e32 v42, 0x7f800001
	s_and_saveexec_b64 s[10:11], vcc
	s_cbranch_execz .LBB587_149
; %bb.148:
	v_and_b32_e32 v42, 7, v38
	v_ffbh_u32_e32 v56, v42
	v_min_u32_e32 v59, 32, v56
	v_subrev_u32_e32 v56, 28, v59
	v_lshlrev_b64 v[56:57], v56, v[38:39]
	v_lshrrev_b32_e32 v58, 3, v52
	v_sub_u32_e32 v38, 29, v59
	v_and_b32_e32 v56, 7, v56
	v_cmp_gt_u32_e32 vcc, 8, v52
	v_mov_b32_e32 v52, 24
	v_cndmask_b32_e32 v38, v58, v38, vcc
	v_cndmask_b32_e32 v42, v42, v56, vcc
	v_lshlrev_b32_sdwa v52, v52, v39 dst_sel:DWORD dst_unused:UNUSED_PAD src0_sel:DWORD src1_sel:WORD_1
	v_bfrev_b32_e32 v56, 60
	v_lshlrev_b32_e32 v42, 20, v42
	v_and_b32_e32 v52, 0x80000000, v52
	v_lshl_add_u32 v38, v38, 23, v56
	v_or3_b32 v42, v52, v38, v42
.LBB587_149:
	s_or_b64 exec, exec, s[10:11]
.LBB587_150:
	s_or_b64 exec, exec, s[8:9]
.LBB587_151:
	s_or_b64 exec, exec, s[2:3]
	s_mov_b32 s2, 0xffffff
	v_cmp_lt_u32_e32 vcc, s2, v39
	v_mov_b32_e32 v52, 0
	v_mov_b32_e32 v56, 0
	s_and_saveexec_b64 s[2:3], vcc
	s_cbranch_execz .LBB587_157
; %bb.152:
	v_lshrrev_b32_e32 v38, 24, v39
	s_movk_i32 s8, 0x80
	v_cmp_ne_u32_e32 vcc, s8, v38
	v_bfrev_b32_e32 v56, 1
	s_and_saveexec_b64 s[8:9], vcc
	s_cbranch_execz .LBB587_156
; %bb.153:
	v_bfe_u32 v39, v39, 24, 7
	s_movk_i32 s10, 0x7f
	v_cmp_ne_u32_e32 vcc, s10, v39
	v_mov_b32_e32 v56, 0x7f800001
	s_and_saveexec_b64 s[10:11], vcc
	s_cbranch_execz .LBB587_155
; %bb.154:
	v_and_b32_e32 v58, 7, v38
	v_ffbh_u32_e32 v56, v58
	v_min_u32_e32 v60, 32, v56
	v_subrev_u32_e32 v56, 28, v60
	v_lshlrev_b64 v[56:57], v56, v[38:39]
	v_lshrrev_b32_e32 v59, 3, v39
	v_sub_u32_e32 v57, 29, v60
	v_and_b32_e32 v56, 7, v56
	v_cmp_gt_u32_e32 vcc, 8, v39
	v_cndmask_b32_e32 v39, v59, v57, vcc
	v_cndmask_b32_e32 v56, v58, v56, vcc
	v_lshlrev_b32_e32 v38, 24, v38
	v_bfrev_b32_e32 v57, 60
	v_lshlrev_b32_e32 v56, 20, v56
	v_and_b32_e32 v38, 0x80000000, v38
	v_lshl_add_u32 v39, v39, 23, v57
	v_or3_b32 v56, v38, v39, v56
.LBB587_155:
	s_or_b64 exec, exec, s[10:11]
.LBB587_156:
	s_or_b64 exec, exec, s[8:9]
.LBB587_157:
	s_or_b64 exec, exec, s[2:3]
	v_cvt_pkrtz_f16_f32 v38, v53, v44
	v_cvt_pkrtz_f16_f32 v39, v43, v54
	v_cmp_ne_u16_sdwa s[8:9], v40, v52 src0_sel:BYTE_0 src1_sel:DWORD
	s_nop 0
	v_mfma_f32_16x16x16f16 v[58:61], v[38:39], v[26:27], 0
	v_cvt_pkrtz_f16_f32 v38, v45, v55
	v_cvt_pkrtz_f16_f32 v39, v42, v56
	s_nop 1
	v_mfma_f32_16x16x16f16 v[42:45], v[38:39], v[28:29], v[58:61]
	s_and_saveexec_b64 s[2:3], s[8:9]
	s_cbranch_execz .LBB587_163
; %bb.158:
	s_movk_i32 s8, 0x80
	v_cmp_ne_u16_sdwa s[10:11], v40, s8 src0_sel:BYTE_0 src1_sel:DWORD
	v_bfrev_b32_e32 v52, 1
	s_and_saveexec_b64 s[8:9], s[10:11]
	s_cbranch_execz .LBB587_162
; %bb.159:
	s_movk_i32 s10, 0x7f
	v_and_b32_e32 v38, 0x7f, v40
	v_cmp_ne_u32_e32 vcc, s10, v38
	v_mov_b32_e32 v52, 0x7f800001
	s_and_saveexec_b64 s[10:11], vcc
	s_cbranch_execz .LBB587_161
; %bb.160:
	v_and_b32_e32 v39, 7, v40
	v_ffbh_u32_e32 v52, v39
	v_min_u32_e32 v55, 32, v52
	v_subrev_u32_e32 v52, 28, v55
	v_lshlrev_b64 v[52:53], v52, v[40:41]
	v_lshrrev_b32_e32 v54, 3, v38
	v_sub_u32_e32 v53, 29, v55
	v_and_b32_e32 v52, 7, v52
	v_cmp_gt_u32_e32 vcc, 8, v38
	v_cndmask_b32_e32 v38, v54, v53, vcc
	v_cndmask_b32_e32 v39, v39, v52, vcc
	v_lshlrev_b32_e32 v52, 24, v40
	v_bfrev_b32_e32 v53, 60
	v_lshlrev_b32_e32 v39, 20, v39
	v_and_b32_e32 v52, 0x80000000, v52
	v_lshl_add_u32 v38, v38, 23, v53
	v_or3_b32 v52, v52, v38, v39
.LBB587_161:
	s_or_b64 exec, exec, s[10:11]
.LBB587_162:
	s_or_b64 exec, exec, s[8:9]
.LBB587_163:
	s_or_b64 exec, exec, s[2:3]
	v_lshrrev_b16_e32 v38, 8, v40
	v_cmp_ne_u16_e32 vcc, 0, v38
	v_mov_b32_e32 v39, 0
	v_mov_b32_e32 v54, 0
	s_and_saveexec_b64 s[2:3], vcc
	s_cbranch_execz .LBB587_169
; %bb.164:
	s_movk_i32 s8, 0x80
	v_cmp_ne_u16_e32 vcc, s8, v38
	v_bfrev_b32_e32 v54, 1
	s_and_saveexec_b64 s[8:9], vcc
	s_cbranch_execz .LBB587_168
; %bb.165:
	s_movk_i32 s10, 0x7f
	v_and_b32_e32 v53, 0x7f, v38
	v_cmp_ne_u32_e32 vcc, s10, v53
	v_mov_b32_e32 v54, 0x7f800001
	s_and_saveexec_b64 s[10:11], vcc
	s_cbranch_execz .LBB587_167
; %bb.166:
	v_and_b32_e32 v56, 7, v38
	v_ffbh_u32_e32 v54, v56
	v_min_u32_e32 v58, 32, v54
	v_subrev_u32_e32 v54, 28, v58
	v_lshlrev_b64 v[54:55], v54, v[38:39]
	v_lshrrev_b32_e32 v57, 3, v53
	v_sub_u32_e32 v38, 29, v58
	v_and_b32_e32 v54, 7, v54
	v_cmp_gt_u32_e32 vcc, 8, v53
	v_cndmask_b32_e32 v38, v57, v38, vcc
	v_cndmask_b32_e32 v53, v56, v54, vcc
	v_lshlrev_b32_e32 v54, 16, v40
	v_bfrev_b32_e32 v55, 60
	v_lshlrev_b32_e32 v53, 20, v53
	v_and_b32_e32 v54, 0x80000000, v54
	v_lshl_add_u32 v38, v38, 23, v55
	v_or3_b32 v54, v54, v38, v53
.LBB587_167:
	s_or_b64 exec, exec, s[10:11]
.LBB587_168:
	s_or_b64 exec, exec, s[8:9]
.LBB587_169:
	s_or_b64 exec, exec, s[2:3]
	s_movk_i32 s2, 0xff
	v_and_b32_sdwa v53, v40, s2 dst_sel:DWORD dst_unused:UNUSED_PAD src0_sel:WORD_1 src1_sel:DWORD
	v_lshrrev_b32_e32 v38, 16, v40
	v_cmp_ne_u16_e32 vcc, 0, v53
	s_and_saveexec_b64 s[2:3], vcc
	s_cbranch_execz .LBB587_175
; %bb.170:
	s_movk_i32 s8, 0x80
	v_cmp_ne_u16_e32 vcc, s8, v53
	v_bfrev_b32_e32 v39, 1
	s_and_saveexec_b64 s[8:9], vcc
	s_cbranch_execz .LBB587_174
; %bb.171:
	v_bfe_u32 v53, v40, 16, 7
	s_movk_i32 s10, 0x7f
	v_cmp_ne_u32_e32 vcc, s10, v53
	v_mov_b32_e32 v39, 0x7f800001
	s_and_saveexec_b64 s[10:11], vcc
	s_cbranch_execz .LBB587_173
; %bb.172:
	v_and_b32_e32 v55, 7, v38
	v_ffbh_u32_e32 v39, v55
	v_min_u32_e32 v57, 32, v39
	v_subrev_u32_e32 v39, 28, v57
	v_lshlrev_b64 v[38:39], v39, v[38:39]
	v_lshrrev_b32_e32 v56, 3, v53
	v_sub_u32_e32 v39, 29, v57
	v_and_b32_e32 v38, 7, v38
	v_cmp_gt_u32_e32 vcc, 8, v53
	v_mov_b32_e32 v53, 24
	v_cndmask_b32_e32 v39, v56, v39, vcc
	v_cndmask_b32_e32 v38, v55, v38, vcc
	v_lshlrev_b32_sdwa v53, v53, v40 dst_sel:DWORD dst_unused:UNUSED_PAD src0_sel:DWORD src1_sel:WORD_1
	v_bfrev_b32_e32 v55, 60
	v_lshlrev_b32_e32 v38, 20, v38
	v_and_b32_e32 v53, 0x80000000, v53
	v_lshl_add_u32 v39, v39, 23, v55
	v_or3_b32 v39, v53, v39, v38
.LBB587_173:
	s_or_b64 exec, exec, s[10:11]
.LBB587_174:
	s_or_b64 exec, exec, s[8:9]
.LBB587_175:
	s_or_b64 exec, exec, s[2:3]
	s_mov_b32 s2, 0xffffff
	v_cmp_lt_u32_e32 vcc, s2, v40
	v_mov_b32_e32 v55, 0
	v_mov_b32_e32 v56, 0
	s_and_saveexec_b64 s[2:3], vcc
	s_cbranch_execz .LBB587_181
; %bb.176:
	v_lshrrev_b32_e32 v38, 24, v40
	s_movk_i32 s8, 0x80
	v_cmp_ne_u32_e32 vcc, s8, v38
	v_bfrev_b32_e32 v56, 1
	s_and_saveexec_b64 s[8:9], vcc
	s_cbranch_execz .LBB587_180
; %bb.177:
	v_bfe_u32 v40, v40, 24, 7
	s_movk_i32 s10, 0x7f
	v_cmp_ne_u32_e32 vcc, s10, v40
	v_mov_b32_e32 v56, 0x7f800001
	s_and_saveexec_b64 s[10:11], vcc
	s_cbranch_execz .LBB587_179
; %bb.178:
	v_and_b32_e32 v53, 7, v38
	v_ffbh_u32_e32 v56, v53
	v_min_u32_e32 v59, 32, v56
	v_subrev_u32_e32 v56, 28, v59
	v_lshlrev_b64 v[56:57], v56, v[38:39]
	v_lshrrev_b32_e32 v58, 3, v40
	v_sub_u32_e32 v57, 29, v59
	v_and_b32_e32 v56, 7, v56
	v_cmp_gt_u32_e32 vcc, 8, v40
	v_cndmask_b32_e32 v40, v58, v57, vcc
	v_cndmask_b32_e32 v53, v53, v56, vcc
	v_lshlrev_b32_e32 v38, 24, v38
	v_bfrev_b32_e32 v56, 60
	v_lshlrev_b32_e32 v53, 20, v53
	v_and_b32_e32 v38, 0x80000000, v38
	v_lshl_add_u32 v40, v40, 23, v56
	v_or3_b32 v56, v38, v40, v53
.LBB587_179:
	s_or_b64 exec, exec, s[10:11]
.LBB587_180:
	s_or_b64 exec, exec, s[8:9]
.LBB587_181:
	s_or_b64 exec, exec, s[2:3]
	v_cmp_ne_u16_sdwa s[8:9], v41, v55 src0_sel:BYTE_0 src1_sel:DWORD
	s_and_saveexec_b64 s[2:3], s[8:9]
	s_cbranch_execz .LBB587_187
; %bb.182:
	s_movk_i32 s8, 0x80
	v_cmp_ne_u16_sdwa s[10:11], v41, s8 src0_sel:BYTE_0 src1_sel:DWORD
	v_bfrev_b32_e32 v55, 1
	s_and_saveexec_b64 s[8:9], s[10:11]
	s_cbranch_execz .LBB587_186
; %bb.183:
	s_movk_i32 s10, 0x7f
	v_and_b32_e32 v38, 0x7f, v41
	v_cmp_ne_u32_e32 vcc, s10, v38
	v_mov_b32_e32 v55, 0x7f800001
	s_and_saveexec_b64 s[10:11], vcc
	s_cbranch_execz .LBB587_185
; %bb.184:
	v_and_b32_e32 v53, 7, v41
	v_ffbh_u32_e32 v57, v53
	v_min_u32_e32 v57, 32, v57
	v_mov_b32_e32 v40, v41
	v_subrev_u32_e32 v58, 28, v57
	v_lshlrev_b64 v[58:59], v58, v[40:41]
	v_lshrrev_b32_e32 v55, 3, v38
	v_sub_u32_e32 v40, 29, v57
	v_and_b32_e32 v57, 7, v58
	v_cmp_gt_u32_e32 vcc, 8, v38
	v_cndmask_b32_e32 v38, v55, v40, vcc
	v_cndmask_b32_e32 v40, v53, v57, vcc
	v_lshlrev_b32_e32 v53, 24, v41
	v_bfrev_b32_e32 v55, 60
	v_lshlrev_b32_e32 v40, 20, v40
	v_and_b32_e32 v53, 0x80000000, v53
	v_lshl_add_u32 v38, v38, 23, v55
	v_or3_b32 v55, v53, v38, v40
.LBB587_185:
	s_or_b64 exec, exec, s[10:11]
.LBB587_186:
	s_or_b64 exec, exec, s[8:9]
.LBB587_187:
	s_or_b64 exec, exec, s[2:3]
	v_lshrrev_b16_e32 v38, 8, v41
	v_cmp_ne_u16_e32 vcc, 0, v38
	v_mov_b32_e32 v40, 0
	v_mov_b32_e32 v57, 0
	s_and_saveexec_b64 s[2:3], vcc
	s_cbranch_execz .LBB587_193
; %bb.188:
	s_movk_i32 s8, 0x80
	v_cmp_ne_u16_e32 vcc, s8, v38
	v_bfrev_b32_e32 v57, 1
	s_and_saveexec_b64 s[8:9], vcc
	s_cbranch_execz .LBB587_192
; %bb.189:
	s_movk_i32 s10, 0x7f
	v_and_b32_e32 v53, 0x7f, v38
	v_cmp_ne_u32_e32 vcc, s10, v53
	v_mov_b32_e32 v57, 0x7f800001
	s_and_saveexec_b64 s[10:11], vcc
	s_cbranch_execz .LBB587_191
; %bb.190:
	v_and_b32_e32 v57, 7, v38
	v_ffbh_u32_e32 v58, v57
	v_min_u32_e32 v61, 32, v58
	v_subrev_u32_e32 v58, 28, v61
	v_lshlrev_b64 v[58:59], v58, v[38:39]
	v_lshrrev_b32_e32 v60, 3, v53
	v_sub_u32_e32 v38, 29, v61
	v_and_b32_e32 v58, 7, v58
	v_cmp_gt_u32_e32 vcc, 8, v53
	v_cndmask_b32_e32 v38, v60, v38, vcc
	v_cndmask_b32_e32 v53, v57, v58, vcc
	v_lshlrev_b32_e32 v57, 16, v41
	v_bfrev_b32_e32 v58, 60
	v_lshlrev_b32_e32 v53, 20, v53
	v_and_b32_e32 v57, 0x80000000, v57
	v_lshl_add_u32 v38, v38, 23, v58
	v_or3_b32 v57, v57, v38, v53
.LBB587_191:
	s_or_b64 exec, exec, s[10:11]
.LBB587_192:
	s_or_b64 exec, exec, s[8:9]
.LBB587_193:
	s_or_b64 exec, exec, s[2:3]
	s_movk_i32 s2, 0xff
	v_and_b32_sdwa v53, v41, s2 dst_sel:DWORD dst_unused:UNUSED_PAD src0_sel:WORD_1 src1_sel:DWORD
	v_lshrrev_b32_e32 v38, 16, v41
	v_cmp_ne_u16_e32 vcc, 0, v53
	s_and_saveexec_b64 s[2:3], vcc
	s_cbranch_execz .LBB587_199
; %bb.194:
	s_movk_i32 s8, 0x80
	v_cmp_ne_u16_e32 vcc, s8, v53
	v_bfrev_b32_e32 v40, 1
	s_and_saveexec_b64 s[8:9], vcc
	s_cbranch_execz .LBB587_198
; %bb.195:
	v_bfe_u32 v53, v41, 16, 7
	s_movk_i32 s10, 0x7f
	v_cmp_ne_u32_e32 vcc, s10, v53
	v_mov_b32_e32 v40, 0x7f800001
	s_and_saveexec_b64 s[10:11], vcc
	s_cbranch_execz .LBB587_197
; %bb.196:
	v_and_b32_e32 v40, 7, v38
	v_ffbh_u32_e32 v58, v40
	v_min_u32_e32 v61, 32, v58
	v_subrev_u32_e32 v58, 28, v61
	v_lshlrev_b64 v[58:59], v58, v[38:39]
	v_lshrrev_b32_e32 v60, 3, v53
	v_sub_u32_e32 v38, 29, v61
	v_and_b32_e32 v58, 7, v58
	v_cmp_gt_u32_e32 vcc, 8, v53
	v_mov_b32_e32 v53, 24
	v_cndmask_b32_e32 v38, v60, v38, vcc
	v_cndmask_b32_e32 v40, v40, v58, vcc
	v_lshlrev_b32_sdwa v53, v53, v41 dst_sel:DWORD dst_unused:UNUSED_PAD src0_sel:DWORD src1_sel:WORD_1
	v_bfrev_b32_e32 v58, 60
	v_lshlrev_b32_e32 v40, 20, v40
	v_and_b32_e32 v53, 0x80000000, v53
	v_lshl_add_u32 v38, v38, 23, v58
	v_or3_b32 v40, v53, v38, v40
.LBB587_197:
	s_or_b64 exec, exec, s[10:11]
.LBB587_198:
	s_or_b64 exec, exec, s[8:9]
.LBB587_199:
	s_or_b64 exec, exec, s[2:3]
	s_mov_b32 s2, 0xffffff
	v_cmp_lt_u32_e32 vcc, s2, v41
	v_mov_b32_e32 v53, 0
	v_mov_b32_e32 v58, 0
	s_and_saveexec_b64 s[2:3], vcc
	s_cbranch_execz .LBB587_205
; %bb.200:
	v_lshrrev_b32_e32 v38, 24, v41
	s_movk_i32 s8, 0x80
	v_cmp_ne_u32_e32 vcc, s8, v38
	v_bfrev_b32_e32 v58, 1
	s_and_saveexec_b64 s[8:9], vcc
	s_cbranch_execz .LBB587_204
; %bb.201:
	v_bfe_u32 v41, v41, 24, 7
	s_movk_i32 s10, 0x7f
	v_cmp_ne_u32_e32 vcc, s10, v41
	v_mov_b32_e32 v58, 0x7f800001
	s_and_saveexec_b64 s[10:11], vcc
	s_cbranch_execz .LBB587_203
; %bb.202:
	v_and_b32_e32 v60, 7, v38
	v_ffbh_u32_e32 v58, v60
	v_min_u32_e32 v62, 32, v58
	v_subrev_u32_e32 v58, 28, v62
	v_lshlrev_b64 v[58:59], v58, v[38:39]
	v_lshrrev_b32_e32 v61, 3, v41
	v_sub_u32_e32 v59, 29, v62
	v_and_b32_e32 v58, 7, v58
	v_cmp_gt_u32_e32 vcc, 8, v41
	v_cndmask_b32_e32 v41, v61, v59, vcc
	v_cndmask_b32_e32 v58, v60, v58, vcc
	v_lshlrev_b32_e32 v38, 24, v38
	v_bfrev_b32_e32 v59, 60
	v_lshlrev_b32_e32 v58, 20, v58
	v_and_b32_e32 v38, 0x80000000, v38
	v_lshl_add_u32 v41, v41, 23, v59
	v_or3_b32 v58, v38, v41, v58
.LBB587_203:
	s_or_b64 exec, exec, s[10:11]
.LBB587_204:
	s_or_b64 exec, exec, s[8:9]
.LBB587_205:
	s_or_b64 exec, exec, s[2:3]
	v_cvt_pkrtz_f16_f32 v38, v52, v54
	v_cvt_pkrtz_f16_f32 v39, v39, v56
	v_cmp_ne_u16_sdwa s[8:9], v30, v53 src0_sel:BYTE_0 src1_sel:DWORD
	s_nop 0
	v_mfma_f32_16x16x16f16 v[42:45], v[38:39], v[18:19], v[42:45]
	v_cvt_pkrtz_f16_f32 v38, v55, v57
	v_cvt_pkrtz_f16_f32 v39, v40, v58
	s_nop 1
	v_mfma_f32_16x16x16f16 v[38:41], v[38:39], v[20:21], v[42:45]
	s_and_saveexec_b64 s[2:3], s[8:9]
	s_cbranch_execz .LBB587_211
; %bb.206:
	s_movk_i32 s8, 0x80
	v_cmp_ne_u16_sdwa s[10:11], v30, s8 src0_sel:BYTE_0 src1_sel:DWORD
	v_bfrev_b32_e32 v53, 1
	s_and_saveexec_b64 s[8:9], s[10:11]
	s_cbranch_execz .LBB587_210
; %bb.207:
	s_movk_i32 s10, 0x7f
	v_and_b32_e32 v42, 0x7f, v30
	v_cmp_ne_u32_e32 vcc, s10, v42
	v_mov_b32_e32 v53, 0x7f800001
	s_and_saveexec_b64 s[10:11], vcc
	s_cbranch_execz .LBB587_209
; %bb.208:
	v_and_b32_e32 v43, 7, v30
	v_ffbh_u32_e32 v44, v43
	v_min_u32_e32 v53, 32, v44
	v_subrev_u32_e32 v44, 28, v53
	v_lshlrev_b64 v[44:45], v44, v[30:31]
	v_lshrrev_b32_e32 v52, 3, v42
	v_sub_u32_e32 v45, 29, v53
	v_and_b32_e32 v44, 7, v44
	v_cmp_gt_u32_e32 vcc, 8, v42
	v_cndmask_b32_e32 v42, v52, v45, vcc
	v_cndmask_b32_e32 v43, v43, v44, vcc
	v_lshlrev_b32_e32 v44, 24, v30
	v_bfrev_b32_e32 v45, 60
	v_lshlrev_b32_e32 v43, 20, v43
	v_and_b32_e32 v44, 0x80000000, v44
	v_lshl_add_u32 v42, v42, 23, v45
	v_or3_b32 v53, v44, v42, v43
.LBB587_209:
	s_or_b64 exec, exec, s[10:11]
.LBB587_210:
	s_or_b64 exec, exec, s[8:9]
.LBB587_211:
	s_or_b64 exec, exec, s[2:3]
	s_nop 3
	v_lshrrev_b16_e32 v42, 8, v30
	v_cmp_ne_u16_e32 vcc, 0, v42
	v_mov_b32_e32 v43, 0
	v_mov_b32_e32 v44, 0
	s_and_saveexec_b64 s[2:3], vcc
	s_cbranch_execz .LBB587_217
; %bb.212:
	s_movk_i32 s8, 0x80
	v_cmp_ne_u16_e32 vcc, s8, v42
	v_bfrev_b32_e32 v44, 1
	s_and_saveexec_b64 s[8:9], vcc
	s_cbranch_execz .LBB587_216
; %bb.213:
	s_movk_i32 s10, 0x7f
	v_and_b32_e32 v45, 0x7f, v42
	v_cmp_ne_u32_e32 vcc, s10, v45
	v_mov_b32_e32 v44, 0x7f800001
	s_and_saveexec_b64 s[10:11], vcc
	s_cbranch_execz .LBB587_215
; %bb.214:
	v_and_b32_e32 v44, 7, v42
	v_ffbh_u32_e32 v54, v44
	v_min_u32_e32 v56, 32, v54
	v_subrev_u32_e32 v54, 28, v56
	v_lshlrev_b64 v[54:55], v54, v[42:43]
	v_lshrrev_b32_e32 v52, 3, v45
	v_sub_u32_e32 v42, 29, v56
	v_and_b32_e32 v54, 7, v54
	v_cmp_gt_u32_e32 vcc, 8, v45
	v_cndmask_b32_e32 v42, v52, v42, vcc
	v_cndmask_b32_e32 v44, v44, v54, vcc
	v_lshlrev_b32_e32 v45, 16, v30
	v_bfrev_b32_e32 v52, 60
	v_lshlrev_b32_e32 v44, 20, v44
	v_and_b32_e32 v45, 0x80000000, v45
	v_lshl_add_u32 v42, v42, 23, v52
	v_or3_b32 v44, v45, v42, v44
.LBB587_215:
	s_or_b64 exec, exec, s[10:11]
.LBB587_216:
	s_or_b64 exec, exec, s[8:9]
.LBB587_217:
	s_or_b64 exec, exec, s[2:3]
	s_movk_i32 s2, 0xff
	v_and_b32_sdwa v45, v30, s2 dst_sel:DWORD dst_unused:UNUSED_PAD src0_sel:WORD_1 src1_sel:DWORD
	v_lshrrev_b32_e32 v42, 16, v30
	v_cmp_ne_u16_e32 vcc, 0, v45
	s_and_saveexec_b64 s[2:3], vcc
	s_cbranch_execz .LBB587_223
; %bb.218:
	s_movk_i32 s8, 0x80
	v_cmp_ne_u16_e32 vcc, s8, v45
	v_bfrev_b32_e32 v43, 1
	s_and_saveexec_b64 s[8:9], vcc
	s_cbranch_execz .LBB587_222
; %bb.219:
	v_bfe_u32 v45, v30, 16, 7
	s_movk_i32 s10, 0x7f
	v_cmp_ne_u32_e32 vcc, s10, v45
	v_mov_b32_e32 v43, 0x7f800001
	s_and_saveexec_b64 s[10:11], vcc
	s_cbranch_execz .LBB587_221
; %bb.220:
	v_and_b32_e32 v52, 7, v42
	v_ffbh_u32_e32 v43, v52
	v_min_u32_e32 v55, 32, v43
	v_subrev_u32_e32 v43, 28, v55
	v_lshlrev_b64 v[42:43], v43, v[42:43]
	v_lshrrev_b32_e32 v54, 3, v45
	v_sub_u32_e32 v43, 29, v55
	v_and_b32_e32 v42, 7, v42
	v_cmp_gt_u32_e32 vcc, 8, v45
	v_mov_b32_e32 v45, 24
	v_cndmask_b32_e32 v43, v54, v43, vcc
	v_cndmask_b32_e32 v42, v52, v42, vcc
	v_lshlrev_b32_sdwa v45, v45, v30 dst_sel:DWORD dst_unused:UNUSED_PAD src0_sel:DWORD src1_sel:WORD_1
	v_bfrev_b32_e32 v52, 60
	v_lshlrev_b32_e32 v42, 20, v42
	v_and_b32_e32 v45, 0x80000000, v45
	v_lshl_add_u32 v43, v43, 23, v52
	v_or3_b32 v43, v45, v43, v42
.LBB587_221:
	s_or_b64 exec, exec, s[10:11]
.LBB587_222:
	s_or_b64 exec, exec, s[8:9]
.LBB587_223:
	s_or_b64 exec, exec, s[2:3]
	s_mov_b32 s2, 0xffffff
	v_cmp_lt_u32_e32 vcc, s2, v30
	v_mov_b32_e32 v45, 0
	v_mov_b32_e32 v54, 0
	s_and_saveexec_b64 s[2:3], vcc
	s_cbranch_execz .LBB587_229
; %bb.224:
	v_lshrrev_b32_e32 v42, 24, v30
	s_movk_i32 s8, 0x80
	v_cmp_ne_u32_e32 vcc, s8, v42
	v_bfrev_b32_e32 v54, 1
	s_and_saveexec_b64 s[8:9], vcc
	s_cbranch_execz .LBB587_228
; %bb.225:
	v_bfe_u32 v30, v30, 24, 7
	s_movk_i32 s10, 0x7f
	v_cmp_ne_u32_e32 vcc, s10, v30
	v_mov_b32_e32 v54, 0x7f800001
	s_and_saveexec_b64 s[10:11], vcc
	s_cbranch_execz .LBB587_227
; %bb.226:
	v_and_b32_e32 v52, 7, v42
	v_ffbh_u32_e32 v54, v52
	v_min_u32_e32 v57, 32, v54
	v_subrev_u32_e32 v54, 28, v57
	v_lshlrev_b64 v[54:55], v54, v[42:43]
	v_lshrrev_b32_e32 v56, 3, v30
	v_sub_u32_e32 v55, 29, v57
	v_and_b32_e32 v54, 7, v54
	v_cmp_gt_u32_e32 vcc, 8, v30
	v_cndmask_b32_e32 v30, v56, v55, vcc
	v_cndmask_b32_e32 v52, v52, v54, vcc
	v_lshlrev_b32_e32 v42, 24, v42
	v_bfrev_b32_e32 v54, 60
	v_lshlrev_b32_e32 v52, 20, v52
	v_and_b32_e32 v42, 0x80000000, v42
	v_lshl_add_u32 v30, v30, 23, v54
	v_or3_b32 v54, v42, v30, v52
.LBB587_227:
	s_or_b64 exec, exec, s[10:11]
.LBB587_228:
	s_or_b64 exec, exec, s[8:9]
.LBB587_229:
	s_or_b64 exec, exec, s[2:3]
	v_cmp_ne_u16_sdwa s[8:9], v31, v45 src0_sel:BYTE_0 src1_sel:DWORD
	s_and_saveexec_b64 s[2:3], s[8:9]
	s_cbranch_execz .LBB587_235
; %bb.230:
	s_movk_i32 s8, 0x80
	v_cmp_ne_u16_sdwa s[10:11], v31, s8 src0_sel:BYTE_0 src1_sel:DWORD
	v_bfrev_b32_e32 v45, 1
	s_and_saveexec_b64 s[8:9], s[10:11]
	s_cbranch_execz .LBB587_234
; %bb.231:
	s_movk_i32 s10, 0x7f
	v_and_b32_e32 v30, 0x7f, v31
	v_cmp_ne_u32_e32 vcc, s10, v30
	v_mov_b32_e32 v45, 0x7f800001
	s_and_saveexec_b64 s[10:11], vcc
	s_cbranch_execz .LBB587_233
; %bb.232:
	v_and_b32_e32 v45, 7, v31
	v_ffbh_u32_e32 v55, v45
	v_min_u32_e32 v55, 32, v55
	v_mov_b32_e32 v42, v31
	v_subrev_u32_e32 v56, 28, v55
	v_lshlrev_b64 v[56:57], v56, v[42:43]
	v_lshrrev_b32_e32 v52, 3, v30
	v_sub_u32_e32 v42, 29, v55
	v_and_b32_e32 v55, 7, v56
	v_cmp_gt_u32_e32 vcc, 8, v30
	v_cndmask_b32_e32 v30, v52, v42, vcc
	v_cndmask_b32_e32 v42, v45, v55, vcc
	v_lshlrev_b32_e32 v45, 24, v31
	v_bfrev_b32_e32 v52, 60
	v_lshlrev_b32_e32 v42, 20, v42
	v_and_b32_e32 v45, 0x80000000, v45
	v_lshl_add_u32 v30, v30, 23, v52
	v_or3_b32 v45, v45, v30, v42
.LBB587_233:
	s_or_b64 exec, exec, s[10:11]
.LBB587_234:
	s_or_b64 exec, exec, s[8:9]
.LBB587_235:
	s_or_b64 exec, exec, s[2:3]
	v_lshrrev_b16_e32 v30, 8, v31
	v_cmp_ne_u16_e32 vcc, 0, v30
	v_mov_b32_e32 v42, 0
	v_mov_b32_e32 v55, 0
	s_and_saveexec_b64 s[2:3], vcc
	s_cbranch_execz .LBB587_241
; %bb.236:
	s_movk_i32 s8, 0x80
	v_cmp_ne_u16_e32 vcc, s8, v30
	v_bfrev_b32_e32 v55, 1
	s_and_saveexec_b64 s[8:9], vcc
	s_cbranch_execz .LBB587_240
; %bb.237:
	s_movk_i32 s10, 0x7f
	v_and_b32_e32 v52, 0x7f, v30
	v_cmp_ne_u32_e32 vcc, s10, v52
	v_mov_b32_e32 v55, 0x7f800001
	s_and_saveexec_b64 s[10:11], vcc
	s_cbranch_execz .LBB587_239
; %bb.238:
	v_and_b32_e32 v55, 7, v30
	v_ffbh_u32_e32 v56, v55
	v_min_u32_e32 v59, 32, v56
	v_subrev_u32_e32 v56, 28, v59
	v_lshlrev_b64 v[56:57], v56, v[30:31]
	v_lshrrev_b32_e32 v58, 3, v52
	v_sub_u32_e32 v30, 29, v59
	v_and_b32_e32 v56, 7, v56
	v_cmp_gt_u32_e32 vcc, 8, v52
	v_cndmask_b32_e32 v30, v58, v30, vcc
	v_cndmask_b32_e32 v52, v55, v56, vcc
	v_lshlrev_b32_e32 v55, 16, v31
	v_bfrev_b32_e32 v56, 60
	v_lshlrev_b32_e32 v52, 20, v52
	v_and_b32_e32 v55, 0x80000000, v55
	v_lshl_add_u32 v30, v30, 23, v56
	v_or3_b32 v55, v55, v30, v52
.LBB587_239:
	s_or_b64 exec, exec, s[10:11]
.LBB587_240:
	s_or_b64 exec, exec, s[8:9]
.LBB587_241:
	s_or_b64 exec, exec, s[2:3]
	s_movk_i32 s2, 0xff
	v_and_b32_sdwa v52, v31, s2 dst_sel:DWORD dst_unused:UNUSED_PAD src0_sel:WORD_1 src1_sel:DWORD
	v_lshrrev_b32_e32 v30, 16, v31
	v_cmp_ne_u16_e32 vcc, 0, v52
	s_and_saveexec_b64 s[2:3], vcc
	s_cbranch_execz .LBB587_247
; %bb.242:
	s_movk_i32 s8, 0x80
	v_cmp_ne_u16_e32 vcc, s8, v52
	v_bfrev_b32_e32 v42, 1
	s_and_saveexec_b64 s[8:9], vcc
	s_cbranch_execz .LBB587_246
; %bb.243:
	v_bfe_u32 v52, v31, 16, 7
	s_movk_i32 s10, 0x7f
	v_cmp_ne_u32_e32 vcc, s10, v52
	v_mov_b32_e32 v42, 0x7f800001
	s_and_saveexec_b64 s[10:11], vcc
	s_cbranch_execz .LBB587_245
; %bb.244:
	v_and_b32_e32 v42, 7, v30
	v_ffbh_u32_e32 v56, v42
	v_min_u32_e32 v59, 32, v56
	v_subrev_u32_e32 v56, 28, v59
	v_lshlrev_b64 v[56:57], v56, v[30:31]
	v_lshrrev_b32_e32 v58, 3, v52
	v_sub_u32_e32 v30, 29, v59
	v_and_b32_e32 v56, 7, v56
	v_cmp_gt_u32_e32 vcc, 8, v52
	v_mov_b32_e32 v52, 24
	v_cndmask_b32_e32 v30, v58, v30, vcc
	v_cndmask_b32_e32 v42, v42, v56, vcc
	v_lshlrev_b32_sdwa v52, v52, v31 dst_sel:DWORD dst_unused:UNUSED_PAD src0_sel:DWORD src1_sel:WORD_1
	v_bfrev_b32_e32 v56, 60
	v_lshlrev_b32_e32 v42, 20, v42
	v_and_b32_e32 v52, 0x80000000, v52
	v_lshl_add_u32 v30, v30, 23, v56
	v_or3_b32 v42, v52, v30, v42
.LBB587_245:
	s_or_b64 exec, exec, s[10:11]
.LBB587_246:
	s_or_b64 exec, exec, s[8:9]
.LBB587_247:
	s_or_b64 exec, exec, s[2:3]
	s_mov_b32 s2, 0xffffff
	v_cmp_lt_u32_e32 vcc, s2, v31
	v_mov_b32_e32 v52, 0
	v_mov_b32_e32 v56, 0
	s_and_saveexec_b64 s[2:3], vcc
	s_cbranch_execz .LBB587_253
; %bb.248:
	v_lshrrev_b32_e32 v30, 24, v31
	s_movk_i32 s8, 0x80
	v_cmp_ne_u32_e32 vcc, s8, v30
	v_bfrev_b32_e32 v56, 1
	s_and_saveexec_b64 s[8:9], vcc
	s_cbranch_execz .LBB587_252
; %bb.249:
	v_bfe_u32 v31, v31, 24, 7
	s_movk_i32 s10, 0x7f
	v_cmp_ne_u32_e32 vcc, s10, v31
	v_mov_b32_e32 v56, 0x7f800001
	s_and_saveexec_b64 s[10:11], vcc
	s_cbranch_execz .LBB587_251
; %bb.250:
	v_and_b32_e32 v58, 7, v30
	v_ffbh_u32_e32 v56, v58
	v_min_u32_e32 v60, 32, v56
	v_subrev_u32_e32 v56, 28, v60
	v_lshlrev_b64 v[56:57], v56, v[30:31]
	v_lshrrev_b32_e32 v59, 3, v31
	v_sub_u32_e32 v57, 29, v60
	v_and_b32_e32 v56, 7, v56
	v_cmp_gt_u32_e32 vcc, 8, v31
	v_cndmask_b32_e32 v31, v59, v57, vcc
	v_cndmask_b32_e32 v56, v58, v56, vcc
	v_lshlrev_b32_e32 v30, 24, v30
	v_bfrev_b32_e32 v57, 60
	v_lshlrev_b32_e32 v56, 20, v56
	v_and_b32_e32 v30, 0x80000000, v30
	v_lshl_add_u32 v31, v31, 23, v57
	v_or3_b32 v56, v30, v31, v56
.LBB587_251:
	s_or_b64 exec, exec, s[10:11]
.LBB587_252:
	s_or_b64 exec, exec, s[8:9]
.LBB587_253:
	s_or_b64 exec, exec, s[2:3]
	v_cvt_pkrtz_f16_f32 v30, v53, v44
	v_cvt_pkrtz_f16_f32 v31, v43, v54
	v_cmp_ne_u16_sdwa s[8:9], v32, v52 src0_sel:BYTE_0 src1_sel:DWORD
	s_nop 0
	v_mfma_f32_16x16x16f16 v[58:61], v[30:31], v[26:27], 0
	v_cvt_pkrtz_f16_f32 v30, v45, v55
	v_cvt_pkrtz_f16_f32 v31, v42, v56
	s_nop 1
	v_mfma_f32_16x16x16f16 v[42:45], v[30:31], v[28:29], v[58:61]
	s_and_saveexec_b64 s[2:3], s[8:9]
	s_cbranch_execz .LBB587_259
; %bb.254:
	s_movk_i32 s8, 0x80
	v_cmp_ne_u16_sdwa s[10:11], v32, s8 src0_sel:BYTE_0 src1_sel:DWORD
	v_bfrev_b32_e32 v52, 1
	s_and_saveexec_b64 s[8:9], s[10:11]
	s_cbranch_execz .LBB587_258
; %bb.255:
	s_movk_i32 s10, 0x7f
	v_and_b32_e32 v30, 0x7f, v32
	v_cmp_ne_u32_e32 vcc, s10, v30
	v_mov_b32_e32 v52, 0x7f800001
	s_and_saveexec_b64 s[10:11], vcc
	s_cbranch_execz .LBB587_257
; %bb.256:
	v_and_b32_e32 v31, 7, v32
	v_ffbh_u32_e32 v52, v31
	v_min_u32_e32 v55, 32, v52
	v_subrev_u32_e32 v52, 28, v55
	v_lshlrev_b64 v[52:53], v52, v[32:33]
	v_lshrrev_b32_e32 v54, 3, v30
	v_sub_u32_e32 v53, 29, v55
	v_and_b32_e32 v52, 7, v52
	v_cmp_gt_u32_e32 vcc, 8, v30
	v_cndmask_b32_e32 v30, v54, v53, vcc
	v_cndmask_b32_e32 v31, v31, v52, vcc
	v_lshlrev_b32_e32 v52, 24, v32
	v_bfrev_b32_e32 v53, 60
	v_lshlrev_b32_e32 v31, 20, v31
	v_and_b32_e32 v52, 0x80000000, v52
	v_lshl_add_u32 v30, v30, 23, v53
	v_or3_b32 v52, v52, v30, v31
.LBB587_257:
	s_or_b64 exec, exec, s[10:11]
.LBB587_258:
	s_or_b64 exec, exec, s[8:9]
.LBB587_259:
	s_or_b64 exec, exec, s[2:3]
	v_lshrrev_b16_e32 v30, 8, v32
	v_cmp_ne_u16_e32 vcc, 0, v30
	v_mov_b32_e32 v31, 0
	v_mov_b32_e32 v54, 0
	s_and_saveexec_b64 s[2:3], vcc
	s_cbranch_execz .LBB587_265
; %bb.260:
	s_movk_i32 s8, 0x80
	v_cmp_ne_u16_e32 vcc, s8, v30
	v_bfrev_b32_e32 v54, 1
	s_and_saveexec_b64 s[8:9], vcc
	s_cbranch_execz .LBB587_264
; %bb.261:
	s_movk_i32 s10, 0x7f
	v_and_b32_e32 v53, 0x7f, v30
	v_cmp_ne_u32_e32 vcc, s10, v53
	v_mov_b32_e32 v54, 0x7f800001
	s_and_saveexec_b64 s[10:11], vcc
	s_cbranch_execz .LBB587_263
; %bb.262:
	v_and_b32_e32 v56, 7, v30
	v_ffbh_u32_e32 v54, v56
	v_min_u32_e32 v58, 32, v54
	v_subrev_u32_e32 v54, 28, v58
	v_lshlrev_b64 v[54:55], v54, v[30:31]
	v_lshrrev_b32_e32 v57, 3, v53
	v_sub_u32_e32 v30, 29, v58
	v_and_b32_e32 v54, 7, v54
	v_cmp_gt_u32_e32 vcc, 8, v53
	v_cndmask_b32_e32 v30, v57, v30, vcc
	v_cndmask_b32_e32 v53, v56, v54, vcc
	v_lshlrev_b32_e32 v54, 16, v32
	v_bfrev_b32_e32 v55, 60
	v_lshlrev_b32_e32 v53, 20, v53
	v_and_b32_e32 v54, 0x80000000, v54
	v_lshl_add_u32 v30, v30, 23, v55
	v_or3_b32 v54, v54, v30, v53
.LBB587_263:
	s_or_b64 exec, exec, s[10:11]
.LBB587_264:
	s_or_b64 exec, exec, s[8:9]
.LBB587_265:
	s_or_b64 exec, exec, s[2:3]
	s_movk_i32 s2, 0xff
	v_and_b32_sdwa v53, v32, s2 dst_sel:DWORD dst_unused:UNUSED_PAD src0_sel:WORD_1 src1_sel:DWORD
	v_lshrrev_b32_e32 v30, 16, v32
	v_cmp_ne_u16_e32 vcc, 0, v53
	s_and_saveexec_b64 s[2:3], vcc
	s_cbranch_execz .LBB587_271
; %bb.266:
	s_movk_i32 s8, 0x80
	v_cmp_ne_u16_e32 vcc, s8, v53
	v_bfrev_b32_e32 v31, 1
	s_and_saveexec_b64 s[8:9], vcc
	s_cbranch_execz .LBB587_270
; %bb.267:
	v_bfe_u32 v53, v32, 16, 7
	s_movk_i32 s10, 0x7f
	v_cmp_ne_u32_e32 vcc, s10, v53
	v_mov_b32_e32 v31, 0x7f800001
	s_and_saveexec_b64 s[10:11], vcc
	s_cbranch_execz .LBB587_269
; %bb.268:
	v_and_b32_e32 v55, 7, v30
	v_ffbh_u32_e32 v31, v55
	v_min_u32_e32 v57, 32, v31
	v_subrev_u32_e32 v31, 28, v57
	v_lshlrev_b64 v[30:31], v31, v[30:31]
	v_lshrrev_b32_e32 v56, 3, v53
	v_sub_u32_e32 v31, 29, v57
	v_and_b32_e32 v30, 7, v30
	v_cmp_gt_u32_e32 vcc, 8, v53
	v_mov_b32_e32 v53, 24
	v_cndmask_b32_e32 v31, v56, v31, vcc
	v_cndmask_b32_e32 v30, v55, v30, vcc
	v_lshlrev_b32_sdwa v53, v53, v32 dst_sel:DWORD dst_unused:UNUSED_PAD src0_sel:DWORD src1_sel:WORD_1
	v_bfrev_b32_e32 v55, 60
	v_lshlrev_b32_e32 v30, 20, v30
	v_and_b32_e32 v53, 0x80000000, v53
	v_lshl_add_u32 v31, v31, 23, v55
	v_or3_b32 v31, v53, v31, v30
.LBB587_269:
	s_or_b64 exec, exec, s[10:11]
.LBB587_270:
	s_or_b64 exec, exec, s[8:9]
.LBB587_271:
	s_or_b64 exec, exec, s[2:3]
	s_mov_b32 s2, 0xffffff
	v_cmp_lt_u32_e32 vcc, s2, v32
	v_mov_b32_e32 v55, 0
	v_mov_b32_e32 v56, 0
	s_and_saveexec_b64 s[2:3], vcc
	s_cbranch_execz .LBB587_277
; %bb.272:
	v_lshrrev_b32_e32 v30, 24, v32
	s_movk_i32 s8, 0x80
	v_cmp_ne_u32_e32 vcc, s8, v30
	v_bfrev_b32_e32 v56, 1
	s_and_saveexec_b64 s[8:9], vcc
	s_cbranch_execz .LBB587_276
; %bb.273:
	v_bfe_u32 v32, v32, 24, 7
	s_movk_i32 s10, 0x7f
	v_cmp_ne_u32_e32 vcc, s10, v32
	v_mov_b32_e32 v56, 0x7f800001
	s_and_saveexec_b64 s[10:11], vcc
	s_cbranch_execz .LBB587_275
; %bb.274:
	v_and_b32_e32 v53, 7, v30
	v_ffbh_u32_e32 v56, v53
	v_min_u32_e32 v59, 32, v56
	v_subrev_u32_e32 v56, 28, v59
	v_lshlrev_b64 v[56:57], v56, v[30:31]
	v_lshrrev_b32_e32 v58, 3, v32
	v_sub_u32_e32 v57, 29, v59
	v_and_b32_e32 v56, 7, v56
	v_cmp_gt_u32_e32 vcc, 8, v32
	v_cndmask_b32_e32 v32, v58, v57, vcc
	v_cndmask_b32_e32 v53, v53, v56, vcc
	v_lshlrev_b32_e32 v30, 24, v30
	v_bfrev_b32_e32 v56, 60
	v_lshlrev_b32_e32 v53, 20, v53
	v_and_b32_e32 v30, 0x80000000, v30
	v_lshl_add_u32 v32, v32, 23, v56
	v_or3_b32 v56, v30, v32, v53
.LBB587_275:
	s_or_b64 exec, exec, s[10:11]
.LBB587_276:
	s_or_b64 exec, exec, s[8:9]
.LBB587_277:
	s_or_b64 exec, exec, s[2:3]
	v_cmp_ne_u16_sdwa s[8:9], v33, v55 src0_sel:BYTE_0 src1_sel:DWORD
	s_and_saveexec_b64 s[2:3], s[8:9]
	s_cbranch_execz .LBB587_283
; %bb.278:
	s_movk_i32 s8, 0x80
	v_cmp_ne_u16_sdwa s[10:11], v33, s8 src0_sel:BYTE_0 src1_sel:DWORD
	v_bfrev_b32_e32 v55, 1
	s_and_saveexec_b64 s[8:9], s[10:11]
	s_cbranch_execz .LBB587_282
; %bb.279:
	s_movk_i32 s10, 0x7f
	v_and_b32_e32 v30, 0x7f, v33
	v_cmp_ne_u32_e32 vcc, s10, v30
	v_mov_b32_e32 v55, 0x7f800001
	s_and_saveexec_b64 s[10:11], vcc
	s_cbranch_execz .LBB587_281
; %bb.280:
	v_and_b32_e32 v53, 7, v33
	v_ffbh_u32_e32 v57, v53
	v_min_u32_e32 v57, 32, v57
	v_mov_b32_e32 v32, v33
	v_subrev_u32_e32 v58, 28, v57
	v_lshlrev_b64 v[58:59], v58, v[32:33]
	v_lshrrev_b32_e32 v55, 3, v30
	v_sub_u32_e32 v32, 29, v57
	v_and_b32_e32 v57, 7, v58
	v_cmp_gt_u32_e32 vcc, 8, v30
	v_cndmask_b32_e32 v30, v55, v32, vcc
	v_cndmask_b32_e32 v32, v53, v57, vcc
	v_lshlrev_b32_e32 v53, 24, v33
	v_bfrev_b32_e32 v55, 60
	v_lshlrev_b32_e32 v32, 20, v32
	v_and_b32_e32 v53, 0x80000000, v53
	v_lshl_add_u32 v30, v30, 23, v55
	v_or3_b32 v55, v53, v30, v32
.LBB587_281:
	s_or_b64 exec, exec, s[10:11]
.LBB587_282:
	s_or_b64 exec, exec, s[8:9]
.LBB587_283:
	s_or_b64 exec, exec, s[2:3]
	v_lshrrev_b16_e32 v30, 8, v33
	v_cmp_ne_u16_e32 vcc, 0, v30
	v_mov_b32_e32 v32, 0
	v_mov_b32_e32 v57, 0
	s_and_saveexec_b64 s[2:3], vcc
	s_cbranch_execz .LBB587_289
; %bb.284:
	s_movk_i32 s8, 0x80
	v_cmp_ne_u16_e32 vcc, s8, v30
	v_bfrev_b32_e32 v57, 1
	s_and_saveexec_b64 s[8:9], vcc
	s_cbranch_execz .LBB587_288
; %bb.285:
	s_movk_i32 s10, 0x7f
	v_and_b32_e32 v53, 0x7f, v30
	v_cmp_ne_u32_e32 vcc, s10, v53
	v_mov_b32_e32 v57, 0x7f800001
	s_and_saveexec_b64 s[10:11], vcc
	s_cbranch_execz .LBB587_287
; %bb.286:
	v_and_b32_e32 v57, 7, v30
	v_ffbh_u32_e32 v58, v57
	v_min_u32_e32 v61, 32, v58
	v_subrev_u32_e32 v58, 28, v61
	v_lshlrev_b64 v[58:59], v58, v[30:31]
	v_lshrrev_b32_e32 v60, 3, v53
	v_sub_u32_e32 v30, 29, v61
	v_and_b32_e32 v58, 7, v58
	v_cmp_gt_u32_e32 vcc, 8, v53
	v_cndmask_b32_e32 v30, v60, v30, vcc
	v_cndmask_b32_e32 v53, v57, v58, vcc
	v_lshlrev_b32_e32 v57, 16, v33
	v_bfrev_b32_e32 v58, 60
	v_lshlrev_b32_e32 v53, 20, v53
	v_and_b32_e32 v57, 0x80000000, v57
	v_lshl_add_u32 v30, v30, 23, v58
	v_or3_b32 v57, v57, v30, v53
.LBB587_287:
	s_or_b64 exec, exec, s[10:11]
.LBB587_288:
	s_or_b64 exec, exec, s[8:9]
.LBB587_289:
	s_or_b64 exec, exec, s[2:3]
	s_movk_i32 s2, 0xff
	v_and_b32_sdwa v53, v33, s2 dst_sel:DWORD dst_unused:UNUSED_PAD src0_sel:WORD_1 src1_sel:DWORD
	v_lshrrev_b32_e32 v30, 16, v33
	v_cmp_ne_u16_e32 vcc, 0, v53
	s_and_saveexec_b64 s[2:3], vcc
	s_cbranch_execz .LBB587_295
; %bb.290:
	s_movk_i32 s8, 0x80
	v_cmp_ne_u16_e32 vcc, s8, v53
	v_bfrev_b32_e32 v32, 1
	s_and_saveexec_b64 s[8:9], vcc
	s_cbranch_execz .LBB587_294
; %bb.291:
	v_bfe_u32 v53, v33, 16, 7
	s_movk_i32 s10, 0x7f
	v_cmp_ne_u32_e32 vcc, s10, v53
	v_mov_b32_e32 v32, 0x7f800001
	s_and_saveexec_b64 s[10:11], vcc
	s_cbranch_execz .LBB587_293
; %bb.292:
	v_and_b32_e32 v32, 7, v30
	v_ffbh_u32_e32 v58, v32
	v_min_u32_e32 v61, 32, v58
	v_subrev_u32_e32 v58, 28, v61
	v_lshlrev_b64 v[58:59], v58, v[30:31]
	v_lshrrev_b32_e32 v60, 3, v53
	v_sub_u32_e32 v30, 29, v61
	v_and_b32_e32 v58, 7, v58
	v_cmp_gt_u32_e32 vcc, 8, v53
	v_mov_b32_e32 v53, 24
	v_cndmask_b32_e32 v30, v60, v30, vcc
	v_cndmask_b32_e32 v32, v32, v58, vcc
	v_lshlrev_b32_sdwa v53, v53, v33 dst_sel:DWORD dst_unused:UNUSED_PAD src0_sel:DWORD src1_sel:WORD_1
	v_bfrev_b32_e32 v58, 60
	v_lshlrev_b32_e32 v32, 20, v32
	v_and_b32_e32 v53, 0x80000000, v53
	v_lshl_add_u32 v30, v30, 23, v58
	v_or3_b32 v32, v53, v30, v32
.LBB587_293:
	s_or_b64 exec, exec, s[10:11]
.LBB587_294:
	s_or_b64 exec, exec, s[8:9]
.LBB587_295:
	s_or_b64 exec, exec, s[2:3]
	s_mov_b32 s2, 0xffffff
	v_cmp_lt_u32_e32 vcc, s2, v33
	v_mov_b32_e32 v53, 0
	v_mov_b32_e32 v58, 0
	s_and_saveexec_b64 s[2:3], vcc
	s_cbranch_execz .LBB587_301
; %bb.296:
	v_lshrrev_b32_e32 v30, 24, v33
	s_movk_i32 s8, 0x80
	v_cmp_ne_u32_e32 vcc, s8, v30
	v_bfrev_b32_e32 v58, 1
	s_and_saveexec_b64 s[8:9], vcc
	s_cbranch_execz .LBB587_300
; %bb.297:
	v_bfe_u32 v33, v33, 24, 7
	s_movk_i32 s10, 0x7f
	v_cmp_ne_u32_e32 vcc, s10, v33
	v_mov_b32_e32 v58, 0x7f800001
	s_and_saveexec_b64 s[10:11], vcc
	s_cbranch_execz .LBB587_299
; %bb.298:
	v_and_b32_e32 v60, 7, v30
	v_ffbh_u32_e32 v58, v60
	v_min_u32_e32 v62, 32, v58
	v_subrev_u32_e32 v58, 28, v62
	v_lshlrev_b64 v[58:59], v58, v[30:31]
	v_lshrrev_b32_e32 v61, 3, v33
	v_sub_u32_e32 v59, 29, v62
	v_and_b32_e32 v58, 7, v58
	v_cmp_gt_u32_e32 vcc, 8, v33
	v_cndmask_b32_e32 v33, v61, v59, vcc
	v_cndmask_b32_e32 v58, v60, v58, vcc
	v_lshlrev_b32_e32 v30, 24, v30
	v_bfrev_b32_e32 v59, 60
	v_lshlrev_b32_e32 v58, 20, v58
	v_and_b32_e32 v30, 0x80000000, v30
	v_lshl_add_u32 v33, v33, 23, v59
	v_or3_b32 v58, v30, v33, v58
.LBB587_299:
	s_or_b64 exec, exec, s[10:11]
.LBB587_300:
	s_or_b64 exec, exec, s[8:9]
.LBB587_301:
	s_or_b64 exec, exec, s[2:3]
	v_cvt_pkrtz_f16_f32 v30, v52, v54
	v_cvt_pkrtz_f16_f32 v31, v31, v56
	v_cmp_ne_u16_sdwa s[8:9], v22, v53 src0_sel:BYTE_0 src1_sel:DWORD
	s_nop 0
	v_mfma_f32_16x16x16f16 v[42:45], v[30:31], v[18:19], v[42:45]
	v_cvt_pkrtz_f16_f32 v30, v55, v57
	v_cvt_pkrtz_f16_f32 v31, v32, v58
	s_nop 1
	v_mfma_f32_16x16x16f16 v[30:33], v[30:31], v[20:21], v[42:45]
	s_and_saveexec_b64 s[2:3], s[8:9]
	s_cbranch_execz .LBB587_307
; %bb.302:
	s_movk_i32 s8, 0x80
	v_cmp_ne_u16_sdwa s[10:11], v22, s8 src0_sel:BYTE_0 src1_sel:DWORD
	v_bfrev_b32_e32 v53, 1
	s_and_saveexec_b64 s[8:9], s[10:11]
	s_cbranch_execz .LBB587_306
; %bb.303:
	s_movk_i32 s10, 0x7f
	v_and_b32_e32 v42, 0x7f, v22
	v_cmp_ne_u32_e32 vcc, s10, v42
	v_mov_b32_e32 v53, 0x7f800001
	s_and_saveexec_b64 s[10:11], vcc
	s_cbranch_execz .LBB587_305
; %bb.304:
	v_and_b32_e32 v43, 7, v22
	v_ffbh_u32_e32 v44, v43
	v_min_u32_e32 v53, 32, v44
	v_subrev_u32_e32 v44, 28, v53
	v_lshlrev_b64 v[44:45], v44, v[22:23]
	v_lshrrev_b32_e32 v52, 3, v42
	v_sub_u32_e32 v45, 29, v53
	v_and_b32_e32 v44, 7, v44
	v_cmp_gt_u32_e32 vcc, 8, v42
	v_cndmask_b32_e32 v42, v52, v45, vcc
	v_cndmask_b32_e32 v43, v43, v44, vcc
	v_lshlrev_b32_e32 v44, 24, v22
	v_bfrev_b32_e32 v45, 60
	v_lshlrev_b32_e32 v43, 20, v43
	v_and_b32_e32 v44, 0x80000000, v44
	v_lshl_add_u32 v42, v42, 23, v45
	v_or3_b32 v53, v44, v42, v43
.LBB587_305:
	s_or_b64 exec, exec, s[10:11]
.LBB587_306:
	s_or_b64 exec, exec, s[8:9]
.LBB587_307:
	s_or_b64 exec, exec, s[2:3]
	s_nop 3
	v_lshrrev_b16_e32 v42, 8, v22
	v_cmp_ne_u16_e32 vcc, 0, v42
	v_mov_b32_e32 v43, 0
	v_mov_b32_e32 v44, 0
	s_and_saveexec_b64 s[2:3], vcc
	s_cbranch_execz .LBB587_313
; %bb.308:
	s_movk_i32 s8, 0x80
	v_cmp_ne_u16_e32 vcc, s8, v42
	v_bfrev_b32_e32 v44, 1
	s_and_saveexec_b64 s[8:9], vcc
	s_cbranch_execz .LBB587_312
; %bb.309:
	s_movk_i32 s10, 0x7f
	v_and_b32_e32 v45, 0x7f, v42
	v_cmp_ne_u32_e32 vcc, s10, v45
	v_mov_b32_e32 v44, 0x7f800001
	s_and_saveexec_b64 s[10:11], vcc
	s_cbranch_execz .LBB587_311
; %bb.310:
	v_and_b32_e32 v44, 7, v42
	v_ffbh_u32_e32 v54, v44
	v_min_u32_e32 v56, 32, v54
	v_subrev_u32_e32 v54, 28, v56
	v_lshlrev_b64 v[54:55], v54, v[42:43]
	v_lshrrev_b32_e32 v52, 3, v45
	v_sub_u32_e32 v42, 29, v56
	v_and_b32_e32 v54, 7, v54
	v_cmp_gt_u32_e32 vcc, 8, v45
	v_cndmask_b32_e32 v42, v52, v42, vcc
	v_cndmask_b32_e32 v44, v44, v54, vcc
	v_lshlrev_b32_e32 v45, 16, v22
	v_bfrev_b32_e32 v52, 60
	v_lshlrev_b32_e32 v44, 20, v44
	v_and_b32_e32 v45, 0x80000000, v45
	v_lshl_add_u32 v42, v42, 23, v52
	v_or3_b32 v44, v45, v42, v44
.LBB587_311:
	s_or_b64 exec, exec, s[10:11]
.LBB587_312:
	s_or_b64 exec, exec, s[8:9]
.LBB587_313:
	s_or_b64 exec, exec, s[2:3]
	s_movk_i32 s2, 0xff
	v_and_b32_sdwa v45, v22, s2 dst_sel:DWORD dst_unused:UNUSED_PAD src0_sel:WORD_1 src1_sel:DWORD
	v_lshrrev_b32_e32 v42, 16, v22
	v_cmp_ne_u16_e32 vcc, 0, v45
	s_and_saveexec_b64 s[2:3], vcc
	s_cbranch_execz .LBB587_319
; %bb.314:
	s_movk_i32 s8, 0x80
	v_cmp_ne_u16_e32 vcc, s8, v45
	v_bfrev_b32_e32 v43, 1
	s_and_saveexec_b64 s[8:9], vcc
	s_cbranch_execz .LBB587_318
; %bb.315:
	v_bfe_u32 v45, v22, 16, 7
	s_movk_i32 s10, 0x7f
	v_cmp_ne_u32_e32 vcc, s10, v45
	v_mov_b32_e32 v43, 0x7f800001
	s_and_saveexec_b64 s[10:11], vcc
	s_cbranch_execz .LBB587_317
; %bb.316:
	v_and_b32_e32 v52, 7, v42
	v_ffbh_u32_e32 v43, v52
	v_min_u32_e32 v55, 32, v43
	v_subrev_u32_e32 v43, 28, v55
	v_lshlrev_b64 v[42:43], v43, v[42:43]
	v_lshrrev_b32_e32 v54, 3, v45
	v_sub_u32_e32 v43, 29, v55
	v_and_b32_e32 v42, 7, v42
	v_cmp_gt_u32_e32 vcc, 8, v45
	v_mov_b32_e32 v45, 24
	v_cndmask_b32_e32 v43, v54, v43, vcc
	v_cndmask_b32_e32 v42, v52, v42, vcc
	v_lshlrev_b32_sdwa v45, v45, v22 dst_sel:DWORD dst_unused:UNUSED_PAD src0_sel:DWORD src1_sel:WORD_1
	v_bfrev_b32_e32 v52, 60
	v_lshlrev_b32_e32 v42, 20, v42
	v_and_b32_e32 v45, 0x80000000, v45
	v_lshl_add_u32 v43, v43, 23, v52
	v_or3_b32 v43, v45, v43, v42
.LBB587_317:
	s_or_b64 exec, exec, s[10:11]
.LBB587_318:
	s_or_b64 exec, exec, s[8:9]
.LBB587_319:
	s_or_b64 exec, exec, s[2:3]
	s_mov_b32 s2, 0xffffff
	v_cmp_lt_u32_e32 vcc, s2, v22
	v_mov_b32_e32 v45, 0
	v_mov_b32_e32 v52, 0
	s_and_saveexec_b64 s[2:3], vcc
	s_cbranch_execz .LBB587_325
; %bb.320:
	v_lshrrev_b32_e32 v42, 24, v22
	s_movk_i32 s8, 0x80
	v_cmp_ne_u32_e32 vcc, s8, v42
	v_bfrev_b32_e32 v52, 1
	s_and_saveexec_b64 s[8:9], vcc
	s_cbranch_execz .LBB587_324
; %bb.321:
	v_bfe_u32 v22, v22, 24, 7
	s_movk_i32 s10, 0x7f
	v_cmp_ne_u32_e32 vcc, s10, v22
	v_mov_b32_e32 v52, 0x7f800001
	s_and_saveexec_b64 s[10:11], vcc
	s_cbranch_execz .LBB587_323
; %bb.322:
	v_and_b32_e32 v52, 7, v42
	v_ffbh_u32_e32 v54, v52
	v_min_u32_e32 v57, 32, v54
	v_subrev_u32_e32 v54, 28, v57
	v_lshlrev_b64 v[54:55], v54, v[42:43]
	v_lshrrev_b32_e32 v56, 3, v22
	v_sub_u32_e32 v55, 29, v57
	v_and_b32_e32 v54, 7, v54
	v_cmp_gt_u32_e32 vcc, 8, v22
	v_cndmask_b32_e32 v22, v56, v55, vcc
	v_cndmask_b32_e32 v52, v52, v54, vcc
	v_lshlrev_b32_e32 v42, 24, v42
	v_bfrev_b32_e32 v54, 60
	v_lshlrev_b32_e32 v52, 20, v52
	v_and_b32_e32 v42, 0x80000000, v42
	v_lshl_add_u32 v22, v22, 23, v54
	v_or3_b32 v52, v42, v22, v52
.LBB587_323:
	s_or_b64 exec, exec, s[10:11]
.LBB587_324:
	s_or_b64 exec, exec, s[8:9]
.LBB587_325:
	s_or_b64 exec, exec, s[2:3]
	v_cmp_ne_u16_sdwa s[8:9], v23, v45 src0_sel:BYTE_0 src1_sel:DWORD
	s_and_saveexec_b64 s[2:3], s[8:9]
	s_cbranch_execz .LBB587_331
; %bb.326:
	s_movk_i32 s8, 0x80
	v_cmp_ne_u16_sdwa s[10:11], v23, s8 src0_sel:BYTE_0 src1_sel:DWORD
	v_bfrev_b32_e32 v45, 1
	s_and_saveexec_b64 s[8:9], s[10:11]
	s_cbranch_execz .LBB587_330
; %bb.327:
	s_movk_i32 s10, 0x7f
	v_and_b32_e32 v22, 0x7f, v23
	v_cmp_ne_u32_e32 vcc, s10, v22
	v_mov_b32_e32 v45, 0x7f800001
	s_and_saveexec_b64 s[10:11], vcc
	s_cbranch_execz .LBB587_329
; %bb.328:
	v_and_b32_e32 v45, 7, v23
	v_ffbh_u32_e32 v54, v45
	v_min_u32_e32 v57, 32, v54
	v_mov_b32_e32 v42, v23
	v_subrev_u32_e32 v54, 28, v57
	v_lshlrev_b64 v[54:55], v54, v[42:43]
	v_lshrrev_b32_e32 v56, 3, v22
	v_sub_u32_e32 v42, 29, v57
	v_and_b32_e32 v54, 7, v54
	v_cmp_gt_u32_e32 vcc, 8, v22
	v_cndmask_b32_e32 v22, v56, v42, vcc
	v_cndmask_b32_e32 v42, v45, v54, vcc
	v_lshlrev_b32_e32 v45, 24, v23
	v_bfrev_b32_e32 v54, 60
	v_lshlrev_b32_e32 v42, 20, v42
	v_and_b32_e32 v45, 0x80000000, v45
	v_lshl_add_u32 v22, v22, 23, v54
	v_or3_b32 v45, v45, v22, v42
.LBB587_329:
	s_or_b64 exec, exec, s[10:11]
.LBB587_330:
	s_or_b64 exec, exec, s[8:9]
.LBB587_331:
	s_or_b64 exec, exec, s[2:3]
	v_lshrrev_b16_e32 v22, 8, v23
	v_cmp_ne_u16_e32 vcc, 0, v22
	v_mov_b32_e32 v54, 0
	v_mov_b32_e32 v55, 0
	s_and_saveexec_b64 s[2:3], vcc
	s_cbranch_execz .LBB587_337
; %bb.332:
	s_movk_i32 s8, 0x80
	v_cmp_ne_u16_e32 vcc, s8, v22
	v_bfrev_b32_e32 v55, 1
	s_and_saveexec_b64 s[8:9], vcc
	s_cbranch_execz .LBB587_336
; %bb.333:
	s_movk_i32 s10, 0x7f
	v_and_b32_e32 v42, 0x7f, v22
	v_cmp_ne_u32_e32 vcc, s10, v42
	v_mov_b32_e32 v55, 0x7f800001
	s_and_saveexec_b64 s[10:11], vcc
	s_cbranch_execz .LBB587_335
; %bb.334:
	v_and_b32_e32 v55, 7, v22
	v_ffbh_u32_e32 v56, v55
	v_min_u32_e32 v59, 32, v56
	v_subrev_u32_e32 v56, 28, v59
	v_lshlrev_b64 v[56:57], v56, v[22:23]
	v_lshrrev_b32_e32 v58, 3, v42
	v_sub_u32_e32 v22, 29, v59
	v_and_b32_e32 v56, 7, v56
	v_cmp_gt_u32_e32 vcc, 8, v42
	v_cndmask_b32_e32 v22, v58, v22, vcc
	v_cndmask_b32_e32 v42, v55, v56, vcc
	v_lshlrev_b32_e32 v55, 16, v23
	v_bfrev_b32_e32 v56, 60
	v_lshlrev_b32_e32 v42, 20, v42
	v_and_b32_e32 v55, 0x80000000, v55
	v_lshl_add_u32 v22, v22, 23, v56
	v_or3_b32 v55, v55, v22, v42
.LBB587_335:
	s_or_b64 exec, exec, s[10:11]
.LBB587_336:
	s_or_b64 exec, exec, s[8:9]
.LBB587_337:
	s_or_b64 exec, exec, s[2:3]
	s_movk_i32 s2, 0xff
	v_and_b32_sdwa v42, v23, s2 dst_sel:DWORD dst_unused:UNUSED_PAD src0_sel:WORD_1 src1_sel:DWORD
	v_lshrrev_b32_e32 v22, 16, v23
	v_cmp_ne_u16_e32 vcc, 0, v42
	s_and_saveexec_b64 s[2:3], vcc
	s_cbranch_execz .LBB587_343
; %bb.338:
	s_movk_i32 s8, 0x80
	v_cmp_ne_u16_e32 vcc, s8, v42
	v_bfrev_b32_e32 v54, 1
	s_and_saveexec_b64 s[8:9], vcc
	s_cbranch_execz .LBB587_342
; %bb.339:
	v_bfe_u32 v42, v23, 16, 7
	s_movk_i32 s10, 0x7f
	v_cmp_ne_u32_e32 vcc, s10, v42
	v_mov_b32_e32 v54, 0x7f800001
	s_and_saveexec_b64 s[10:11], vcc
	s_cbranch_execz .LBB587_341
; %bb.340:
	v_and_b32_e32 v54, 7, v22
	v_ffbh_u32_e32 v56, v54
	v_min_u32_e32 v59, 32, v56
	v_subrev_u32_e32 v56, 28, v59
	v_lshlrev_b64 v[56:57], v56, v[22:23]
	v_and_b32_e32 v56, 7, v56
	v_cmp_gt_u32_e32 vcc, 8, v42
	v_lshrrev_b32_e32 v58, 3, v42
	v_sub_u32_e32 v22, 29, v59
	v_cndmask_b32_e32 v42, v54, v56, vcc
	v_mov_b32_e32 v54, 24
	v_cndmask_b32_e32 v22, v58, v22, vcc
	v_lshlrev_b32_sdwa v54, v54, v23 dst_sel:DWORD dst_unused:UNUSED_PAD src0_sel:DWORD src1_sel:WORD_1
	v_bfrev_b32_e32 v56, 60
	v_lshlrev_b32_e32 v42, 20, v42
	v_and_b32_e32 v54, 0x80000000, v54
	v_lshl_add_u32 v22, v22, 23, v56
	v_or3_b32 v54, v54, v22, v42
.LBB587_341:
	s_or_b64 exec, exec, s[10:11]
.LBB587_342:
	s_or_b64 exec, exec, s[8:9]
.LBB587_343:
	s_or_b64 exec, exec, s[2:3]
	s_mov_b32 s2, 0xffffff
	v_cmp_lt_u32_e32 vcc, s2, v23
	v_mov_b32_e32 v42, 0
	v_mov_b32_e32 v56, 0
	s_and_saveexec_b64 s[2:3], vcc
	s_cbranch_execz .LBB587_349
; %bb.344:
	v_lshrrev_b32_e32 v22, 24, v23
	s_movk_i32 s8, 0x80
	v_cmp_ne_u32_e32 vcc, s8, v22
	v_bfrev_b32_e32 v56, 1
	s_and_saveexec_b64 s[8:9], vcc
	s_cbranch_execz .LBB587_348
; %bb.345:
	v_bfe_u32 v23, v23, 24, 7
	s_movk_i32 s10, 0x7f
	v_cmp_ne_u32_e32 vcc, s10, v23
	v_mov_b32_e32 v56, 0x7f800001
	s_and_saveexec_b64 s[10:11], vcc
	s_cbranch_execz .LBB587_347
; %bb.346:
	v_and_b32_e32 v58, 7, v22
	v_ffbh_u32_e32 v56, v58
	v_min_u32_e32 v60, 32, v56
	v_subrev_u32_e32 v56, 28, v60
	v_lshlrev_b64 v[56:57], v56, v[22:23]
	v_lshrrev_b32_e32 v59, 3, v23
	v_sub_u32_e32 v57, 29, v60
	v_and_b32_e32 v56, 7, v56
	v_cmp_gt_u32_e32 vcc, 8, v23
	v_cndmask_b32_e32 v23, v59, v57, vcc
	v_cndmask_b32_e32 v56, v58, v56, vcc
	v_lshlrev_b32_e32 v22, 24, v22
	v_bfrev_b32_e32 v57, 60
	v_lshlrev_b32_e32 v56, 20, v56
	v_and_b32_e32 v22, 0x80000000, v22
	v_lshl_add_u32 v23, v23, 23, v57
	v_or3_b32 v56, v22, v23, v56
.LBB587_347:
	s_or_b64 exec, exec, s[10:11]
.LBB587_348:
	s_or_b64 exec, exec, s[8:9]
.LBB587_349:
	s_or_b64 exec, exec, s[2:3]
	v_cvt_pkrtz_f16_f32 v22, v53, v44
	v_cvt_pkrtz_f16_f32 v23, v43, v52
	v_cmp_ne_u16_sdwa s[8:9], v24, v42 src0_sel:BYTE_0 src1_sel:DWORD
	s_nop 0
	v_mfma_f32_16x16x16f16 v[58:61], v[22:23], v[26:27], 0
	v_cvt_pkrtz_f16_f32 v22, v45, v55
	v_cvt_pkrtz_f16_f32 v23, v54, v56
	s_nop 1
	v_mfma_f32_16x16x16f16 v[26:29], v[22:23], v[28:29], v[58:61]
	s_and_saveexec_b64 s[2:3], s[8:9]
	s_cbranch_execz .LBB587_355
; %bb.350:
	s_movk_i32 s8, 0x80
	v_cmp_ne_u16_sdwa s[10:11], v24, s8 src0_sel:BYTE_0 src1_sel:DWORD
	v_bfrev_b32_e32 v42, 1
	s_and_saveexec_b64 s[8:9], s[10:11]
	s_cbranch_execz .LBB587_354
; %bb.351:
	s_movk_i32 s10, 0x7f
	v_and_b32_e32 v22, 0x7f, v24
	v_cmp_ne_u32_e32 vcc, s10, v22
	v_mov_b32_e32 v42, 0x7f800001
	s_and_saveexec_b64 s[10:11], vcc
	s_cbranch_execz .LBB587_353
; %bb.352:
	v_and_b32_e32 v23, 7, v24
	v_ffbh_u32_e32 v42, v23
	v_min_u32_e32 v45, 32, v42
	v_subrev_u32_e32 v42, 28, v45
	v_lshlrev_b64 v[42:43], v42, v[24:25]
	v_lshrrev_b32_e32 v44, 3, v22
	v_sub_u32_e32 v43, 29, v45
	v_and_b32_e32 v42, 7, v42
	v_cmp_gt_u32_e32 vcc, 8, v22
	v_cndmask_b32_e32 v22, v44, v43, vcc
	v_cndmask_b32_e32 v23, v23, v42, vcc
	v_lshlrev_b32_e32 v42, 24, v24
	v_bfrev_b32_e32 v43, 60
	v_lshlrev_b32_e32 v23, 20, v23
	v_and_b32_e32 v42, 0x80000000, v42
	v_lshl_add_u32 v22, v22, 23, v43
	v_or3_b32 v42, v42, v22, v23
.LBB587_353:
	s_or_b64 exec, exec, s[10:11]
.LBB587_354:
	s_or_b64 exec, exec, s[8:9]
.LBB587_355:
	s_or_b64 exec, exec, s[2:3]
	v_lshrrev_b16_e32 v22, 8, v24
	v_cmp_ne_u16_e32 vcc, 0, v22
	v_mov_b32_e32 v23, 0
	v_mov_b32_e32 v43, 0
	s_and_saveexec_b64 s[2:3], vcc
	s_cbranch_execz .LBB587_361
; %bb.356:
	s_movk_i32 s8, 0x80
	v_cmp_ne_u16_e32 vcc, s8, v22
	v_bfrev_b32_e32 v43, 1
	s_and_saveexec_b64 s[8:9], vcc
	s_cbranch_execz .LBB587_360
; %bb.357:
	s_movk_i32 s10, 0x7f
	v_and_b32_e32 v44, 0x7f, v22
	v_cmp_ne_u32_e32 vcc, s10, v44
	v_mov_b32_e32 v43, 0x7f800001
	s_and_saveexec_b64 s[10:11], vcc
	s_cbranch_execz .LBB587_359
; %bb.358:
	v_and_b32_e32 v43, 7, v22
	v_ffbh_u32_e32 v52, v43
	v_min_u32_e32 v54, 32, v52
	v_subrev_u32_e32 v52, 28, v54
	v_lshlrev_b64 v[52:53], v52, v[22:23]
	v_lshrrev_b32_e32 v45, 3, v44
	v_sub_u32_e32 v22, 29, v54
	v_and_b32_e32 v52, 7, v52
	v_cmp_gt_u32_e32 vcc, 8, v44
	v_cndmask_b32_e32 v22, v45, v22, vcc
	v_cndmask_b32_e32 v43, v43, v52, vcc
	v_lshlrev_b32_e32 v44, 16, v24
	v_bfrev_b32_e32 v45, 60
	v_lshlrev_b32_e32 v43, 20, v43
	v_and_b32_e32 v44, 0x80000000, v44
	v_lshl_add_u32 v22, v22, 23, v45
	v_or3_b32 v43, v44, v22, v43
.LBB587_359:
	s_or_b64 exec, exec, s[10:11]
.LBB587_360:
	s_or_b64 exec, exec, s[8:9]
.LBB587_361:
	s_or_b64 exec, exec, s[2:3]
	s_movk_i32 s2, 0xff
	v_and_b32_sdwa v44, v24, s2 dst_sel:DWORD dst_unused:UNUSED_PAD src0_sel:WORD_1 src1_sel:DWORD
	v_lshrrev_b32_e32 v22, 16, v24
	v_cmp_ne_u16_e32 vcc, 0, v44
	s_and_saveexec_b64 s[2:3], vcc
	s_cbranch_execz .LBB587_367
; %bb.362:
	s_movk_i32 s8, 0x80
	v_cmp_ne_u16_e32 vcc, s8, v44
	v_bfrev_b32_e32 v23, 1
	s_and_saveexec_b64 s[8:9], vcc
	s_cbranch_execz .LBB587_366
; %bb.363:
	v_bfe_u32 v44, v24, 16, 7
	s_movk_i32 s10, 0x7f
	v_cmp_ne_u32_e32 vcc, s10, v44
	v_mov_b32_e32 v23, 0x7f800001
	s_and_saveexec_b64 s[10:11], vcc
	s_cbranch_execz .LBB587_365
; %bb.364:
	v_and_b32_e32 v45, 7, v22
	v_ffbh_u32_e32 v23, v45
	v_min_u32_e32 v53, 32, v23
	v_subrev_u32_e32 v23, 28, v53
	v_lshlrev_b64 v[22:23], v23, v[22:23]
	v_lshrrev_b32_e32 v52, 3, v44
	v_sub_u32_e32 v23, 29, v53
	v_and_b32_e32 v22, 7, v22
	v_cmp_gt_u32_e32 vcc, 8, v44
	v_mov_b32_e32 v44, 24
	v_cndmask_b32_e32 v23, v52, v23, vcc
	v_cndmask_b32_e32 v22, v45, v22, vcc
	v_lshlrev_b32_sdwa v44, v44, v24 dst_sel:DWORD dst_unused:UNUSED_PAD src0_sel:DWORD src1_sel:WORD_1
	v_bfrev_b32_e32 v45, 60
	v_lshlrev_b32_e32 v22, 20, v22
	v_and_b32_e32 v44, 0x80000000, v44
	v_lshl_add_u32 v23, v23, 23, v45
	v_or3_b32 v23, v44, v23, v22
.LBB587_365:
	s_or_b64 exec, exec, s[10:11]
.LBB587_366:
	s_or_b64 exec, exec, s[8:9]
.LBB587_367:
	s_or_b64 exec, exec, s[2:3]
	s_mov_b32 s2, 0xffffff
	v_cmp_lt_u32_e32 vcc, s2, v24
	v_mov_b32_e32 v45, 0
	v_mov_b32_e32 v52, 0
	s_and_saveexec_b64 s[2:3], vcc
	s_cbranch_execz .LBB587_373
; %bb.368:
	v_lshrrev_b32_e32 v22, 24, v24
	s_movk_i32 s8, 0x80
	v_cmp_ne_u32_e32 vcc, s8, v22
	v_bfrev_b32_e32 v52, 1
	s_and_saveexec_b64 s[8:9], vcc
	s_cbranch_execz .LBB587_372
; %bb.369:
	v_bfe_u32 v24, v24, 24, 7
	s_movk_i32 s10, 0x7f
	v_cmp_ne_u32_e32 vcc, s10, v24
	v_mov_b32_e32 v52, 0x7f800001
	s_and_saveexec_b64 s[10:11], vcc
	s_cbranch_execz .LBB587_371
; %bb.370:
	v_and_b32_e32 v44, 7, v22
	v_ffbh_u32_e32 v52, v44
	v_min_u32_e32 v55, 32, v52
	v_subrev_u32_e32 v52, 28, v55
	v_lshlrev_b64 v[52:53], v52, v[22:23]
	v_lshrrev_b32_e32 v54, 3, v24
	v_sub_u32_e32 v53, 29, v55
	v_and_b32_e32 v52, 7, v52
	v_cmp_gt_u32_e32 vcc, 8, v24
	v_cndmask_b32_e32 v24, v54, v53, vcc
	v_cndmask_b32_e32 v44, v44, v52, vcc
	v_lshlrev_b32_e32 v22, 24, v22
	v_bfrev_b32_e32 v52, 60
	v_lshlrev_b32_e32 v44, 20, v44
	v_and_b32_e32 v22, 0x80000000, v22
	v_lshl_add_u32 v24, v24, 23, v52
	v_or3_b32 v52, v22, v24, v44
.LBB587_371:
	s_or_b64 exec, exec, s[10:11]
.LBB587_372:
	s_or_b64 exec, exec, s[8:9]
.LBB587_373:
	s_or_b64 exec, exec, s[2:3]
	v_cmp_ne_u16_sdwa s[8:9], v25, v45 src0_sel:BYTE_0 src1_sel:DWORD
	s_and_saveexec_b64 s[2:3], s[8:9]
	s_cbranch_execz .LBB587_379
; %bb.374:
	s_movk_i32 s8, 0x80
	v_cmp_ne_u16_sdwa s[10:11], v25, s8 src0_sel:BYTE_0 src1_sel:DWORD
	v_bfrev_b32_e32 v45, 1
	s_and_saveexec_b64 s[8:9], s[10:11]
	s_cbranch_execz .LBB587_378
; %bb.375:
	s_movk_i32 s10, 0x7f
	v_and_b32_e32 v22, 0x7f, v25
	v_cmp_ne_u32_e32 vcc, s10, v22
	v_mov_b32_e32 v45, 0x7f800001
	s_and_saveexec_b64 s[10:11], vcc
	s_cbranch_execz .LBB587_377
; %bb.376:
	v_and_b32_e32 v53, 7, v25
	v_ffbh_u32_e32 v44, v53
	v_min_u32_e32 v55, 32, v44
	v_mov_b32_e32 v24, v25
	v_subrev_u32_e32 v44, 28, v55
	v_lshlrev_b64 v[44:45], v44, v[24:25]
	v_lshrrev_b32_e32 v54, 3, v22
	v_sub_u32_e32 v24, 29, v55
	v_and_b32_e32 v44, 7, v44
	v_cmp_gt_u32_e32 vcc, 8, v22
	v_cndmask_b32_e32 v22, v54, v24, vcc
	v_cndmask_b32_e32 v24, v53, v44, vcc
	v_lshlrev_b32_e32 v44, 24, v25
	v_bfrev_b32_e32 v45, 60
	v_lshlrev_b32_e32 v24, 20, v24
	v_and_b32_e32 v44, 0x80000000, v44
	v_lshl_add_u32 v22, v22, 23, v45
	v_or3_b32 v45, v44, v22, v24
.LBB587_377:
	s_or_b64 exec, exec, s[10:11]
.LBB587_378:
	s_or_b64 exec, exec, s[8:9]
.LBB587_379:
	s_or_b64 exec, exec, s[2:3]
	v_lshrrev_b16_e32 v22, 8, v25
	v_cmp_ne_u16_e32 vcc, 0, v22
	v_mov_b32_e32 v53, 0
	v_mov_b32_e32 v54, 0
	s_and_saveexec_b64 s[2:3], vcc
	s_cbranch_execz .LBB587_385
; %bb.380:
	s_movk_i32 s8, 0x80
	v_cmp_ne_u16_e32 vcc, s8, v22
	v_bfrev_b32_e32 v54, 1
	s_and_saveexec_b64 s[8:9], vcc
	s_cbranch_execz .LBB587_384
; %bb.381:
	s_movk_i32 s10, 0x7f
	v_and_b32_e32 v24, 0x7f, v22
	v_cmp_ne_u32_e32 vcc, s10, v24
	v_mov_b32_e32 v54, 0x7f800001
	s_and_saveexec_b64 s[10:11], vcc
	s_cbranch_execz .LBB587_383
; %bb.382:
	v_and_b32_e32 v44, 7, v22
	v_ffbh_u32_e32 v54, v44
	v_min_u32_e32 v57, 32, v54
	v_subrev_u32_e32 v54, 28, v57
	v_lshlrev_b64 v[54:55], v54, v[22:23]
	v_lshrrev_b32_e32 v56, 3, v24
	v_sub_u32_e32 v22, 29, v57
	v_and_b32_e32 v54, 7, v54
	v_cmp_gt_u32_e32 vcc, 8, v24
	v_cndmask_b32_e32 v22, v56, v22, vcc
	v_cndmask_b32_e32 v24, v44, v54, vcc
	v_lshlrev_b32_e32 v44, 16, v25
	v_bfrev_b32_e32 v54, 60
	v_lshlrev_b32_e32 v24, 20, v24
	v_and_b32_e32 v44, 0x80000000, v44
	v_lshl_add_u32 v22, v22, 23, v54
	v_or3_b32 v54, v44, v22, v24
.LBB587_383:
	s_or_b64 exec, exec, s[10:11]
.LBB587_384:
	s_or_b64 exec, exec, s[8:9]
.LBB587_385:
	s_or_b64 exec, exec, s[2:3]
	s_movk_i32 s2, 0xff
	v_and_b32_sdwa v24, v25, s2 dst_sel:DWORD dst_unused:UNUSED_PAD src0_sel:WORD_1 src1_sel:DWORD
	v_lshrrev_b32_e32 v22, 16, v25
	v_cmp_ne_u16_e32 vcc, 0, v24
	s_and_saveexec_b64 s[2:3], vcc
	s_cbranch_execz .LBB587_391
; %bb.386:
	s_movk_i32 s8, 0x80
	v_cmp_ne_u16_e32 vcc, s8, v24
	v_bfrev_b32_e32 v53, 1
	s_and_saveexec_b64 s[8:9], vcc
	s_cbranch_execz .LBB587_390
; %bb.387:
	v_bfe_u32 v24, v25, 16, 7
	s_movk_i32 s10, 0x7f
	v_cmp_ne_u32_e32 vcc, s10, v24
	v_mov_b32_e32 v53, 0x7f800001
	s_and_saveexec_b64 s[10:11], vcc
	s_cbranch_execz .LBB587_389
; %bb.388:
	v_and_b32_e32 v44, 7, v22
	v_ffbh_u32_e32 v55, v44
	v_min_u32_e32 v55, 32, v55
	v_subrev_u32_e32 v56, 28, v55
	v_lshlrev_b64 v[56:57], v56, v[22:23]
	v_sub_u32_e32 v22, 29, v55
	v_and_b32_e32 v55, 7, v56
	v_cmp_gt_u32_e32 vcc, 8, v24
	v_lshrrev_b32_e32 v53, 3, v24
	v_cndmask_b32_e32 v24, v44, v55, vcc
	v_mov_b32_e32 v44, 24
	v_cndmask_b32_e32 v22, v53, v22, vcc
	v_lshlrev_b32_sdwa v44, v44, v25 dst_sel:DWORD dst_unused:UNUSED_PAD src0_sel:DWORD src1_sel:WORD_1
	v_bfrev_b32_e32 v53, 60
	v_lshlrev_b32_e32 v24, 20, v24
	v_and_b32_e32 v44, 0x80000000, v44
	v_lshl_add_u32 v22, v22, 23, v53
	v_or3_b32 v53, v44, v22, v24
.LBB587_389:
	s_or_b64 exec, exec, s[10:11]
.LBB587_390:
	s_or_b64 exec, exec, s[8:9]
.LBB587_391:
	s_or_b64 exec, exec, s[2:3]
	s_mov_b32 s2, 0xffffff
	v_and_b32_e32 v44, 63, v0
	v_cmp_lt_u32_e32 vcc, s2, v25
	v_mov_b32_e32 v55, 0
	s_and_saveexec_b64 s[2:3], vcc
	s_cbranch_execz .LBB587_397
; %bb.392:
	v_lshrrev_b32_e32 v22, 24, v25
	s_movk_i32 s8, 0x80
	v_cmp_ne_u32_e32 vcc, s8, v22
	v_bfrev_b32_e32 v55, 1
	s_and_saveexec_b64 s[8:9], vcc
	s_cbranch_execz .LBB587_396
; %bb.393:
	v_bfe_u32 v24, v25, 24, 7
	s_movk_i32 s10, 0x7f
	v_cmp_ne_u32_e32 vcc, s10, v24
	v_mov_b32_e32 v55, 0x7f800001
	s_and_saveexec_b64 s[10:11], vcc
	s_cbranch_execz .LBB587_395
; %bb.394:
	v_and_b32_e32 v25, 7, v22
	v_ffbh_u32_e32 v56, v25
	v_min_u32_e32 v58, 32, v56
	v_subrev_u32_e32 v56, 28, v58
	v_lshlrev_b64 v[56:57], v56, v[22:23]
	v_lshrrev_b32_e32 v55, 3, v24
	v_sub_u32_e32 v57, 29, v58
	v_and_b32_e32 v56, 7, v56
	v_cmp_gt_u32_e32 vcc, 8, v24
	v_cndmask_b32_e32 v24, v55, v57, vcc
	v_cndmask_b32_e32 v25, v25, v56, vcc
	v_lshlrev_b32_e32 v22, 24, v22
	v_bfrev_b32_e32 v55, 60
	v_lshlrev_b32_e32 v25, 20, v25
	v_and_b32_e32 v22, 0x80000000, v22
	v_lshl_add_u32 v24, v24, 23, v55
	v_or3_b32 v55, v22, v24, v25
.LBB587_395:
	s_or_b64 exec, exec, s[10:11]
.LBB587_396:
	s_or_b64 exec, exec, s[8:9]
.LBB587_397:
	s_or_b64 exec, exec, s[2:3]
	v_cvt_pkrtz_f16_f32 v42, v42, v43
	v_cvt_pkrtz_f16_f32 v43, v23, v52
	s_load_dword s2, s[4:5], 0x1c
	s_mov_b32 s46, 0xff7fffff
	s_waitcnt lgkmcnt(0)
	v_mfma_f32_16x16x16f16 v[26:29], v[42:43], v[18:19], v[26:29]
	v_cvt_pkrtz_f16_f32 v18, v45, v54
	v_cvt_pkrtz_f16_f32 v19, v53, v55
	v_mov_b32_e32 v22, s2
	v_mul_f32_e32 v52, s12, v22
	v_pk_mul_f32 v[22:23], v[52:53], v[32:33] op_sel_hi:[0,1]
	v_pk_mul_f32 v[32:33], v[52:53], v[38:39] op_sel_hi:[0,1]
	v_and_b32_e32 v38, 0xc0, v0
	v_mfma_f32_16x16x16f16 v[26:29], v[18:19], v[20:21], v[26:29]
	v_add_u32_e32 v38, s18, v38
	v_lshl_or_b32 v38, v1, 2, v38
	v_or_b32_e32 v39, 1, v38
	v_pk_mul_f32 v[24:25], v[52:53], v[30:31] op_sel_hi:[0,1]
	v_pk_mul_f32 v[30:31], v[52:53], v[40:41] op_sel_hi:[0,1]
	v_subrev_u32_e32 v40, s33, v39
	v_pk_mul_f32 v[34:35], v[52:53], v[34:35] op_sel_hi:[0,1]
	s_nop 3
	v_pk_mul_f32 v[20:21], v[52:53], v[26:27] op_sel_hi:[0,1]
	v_add_u32_e32 v27, 1, v40
	v_pk_mul_f32 v[18:19], v[52:53], v[28:29] op_sel_hi:[0,1]
	v_cvt_f32_i32_e32 v27, v27
	v_add_u32_e32 v29, 3, v40
	v_cvt_f32_i32_e32 v29, v29
	v_cvt_f32_i32_e32 v26, v40
	v_pk_mul_f32 v[36:37], v[52:53], v[36:37] op_sel_hi:[0,1]
	v_fmac_f32_e32 v35, v51, v27
	v_add_u32_e32 v27, 16, v40
	v_fmac_f32_e32 v37, v51, v29
	v_cvt_f32_i32_e32 v27, v27
	v_add_u32_e32 v29, 17, v40
	v_fma_f32 v26, v51, v26, v34
	v_cvt_f32_i32_e32 v29, v29
	v_add_u32_e32 v34, 18, v40
	v_cvt_f32_i32_e32 v34, v34
	v_fma_f32 v41, v51, v27, v32
	v_add_u32_e32 v27, 32, v40
	v_fmac_f32_e32 v33, v51, v29
	v_cvt_f32_i32_e32 v27, v27
	v_add_u32_e32 v29, 33, v40
	v_add_u32_e32 v32, 34, v40
	v_fma_f32 v30, v51, v34, v30
	v_cvt_f32_i32_e32 v29, v29
	v_cvt_f32_i32_e32 v32, v32
	v_add_u32_e32 v34, 35, v40
	v_cvt_f32_i32_e32 v34, v34
	v_fma_f32 v24, v51, v27, v24
	v_add_u32_e32 v27, 48, v40
	v_fmac_f32_e32 v25, v51, v29
	v_fma_f32 v22, v51, v32, v22
	v_cvt_f32_i32_e32 v27, v27
	v_add_u32_e32 v29, 49, v40
	v_add_u32_e32 v32, 50, v40
	v_fmac_f32_e32 v23, v51, v34
	v_cvt_f32_i32_e32 v29, v29
	v_cvt_f32_i32_e32 v32, v32
	v_add_u32_e32 v34, 51, v40
	v_add_u32_e32 v28, 2, v40
	v_cvt_f32_i32_e32 v34, v34
	v_cvt_f32_i32_e32 v28, v28
	v_fma_f32 v20, v51, v27, v20
	v_mov_b32_e32 v27, 0xff7fffff
	v_cmp_gt_i32_e64 s[26:27], s33, v38
	v_cmp_gt_i32_e64 s[28:29], s33, v39
	v_fmac_f32_e32 v21, v51, v29
	v_fma_f32 v18, v51, v32, v18
	v_cndmask_b32_e64 v29, v27, v26, s[26:27]
	v_cndmask_b32_e64 v32, v27, v35, s[28:29]
	v_fmac_f32_e32 v19, v51, v34
	v_max3_f32 v29, v29, s46, v32
	v_or_b32_e32 v32, 2, v38
	v_or_b32_e32 v34, 3, v38
	v_fma_f32 v28, v51, v28, v36
	v_cmp_gt_i32_e64 s[30:31], s33, v32
	v_cmp_gt_i32_e64 s[34:35], s33, v34
	v_add_u32_e32 v36, 19, v40
	v_cndmask_b32_e64 v32, v27, v28, s[30:31]
	v_cndmask_b32_e64 v34, v27, v37, s[34:35]
	v_cvt_f32_i32_e32 v36, v36
	v_max3_f32 v29, v29, v32, v34
	v_or_b32_e32 v32, 16, v38
	v_or_b32_e32 v34, 17, v38
	v_cmp_gt_i32_e64 s[36:37], s33, v32
	v_cmp_gt_i32_e64 s[38:39], s33, v34
	v_cndmask_b32_e64 v32, v27, v41, s[36:37]
	v_cndmask_b32_e64 v34, v27, v33, s[38:39]
	v_max3_f32 v29, v29, v32, v34
	v_or_b32_e32 v32, 18, v38
	v_or_b32_e32 v34, 19, v38
	v_fmac_f32_e32 v31, v51, v36
	v_cmp_gt_i32_e64 s[20:21], s33, v32
	v_cmp_gt_i32_e64 s[22:23], s33, v34
	v_cndmask_b32_e64 v32, v27, v30, s[20:21]
	v_cndmask_b32_e64 v34, v27, v31, s[22:23]
	v_max3_f32 v29, v29, v32, v34
	v_or_b32_e32 v32, 32, v38
	v_or_b32_e32 v34, 33, v38
	v_cmp_gt_i32_e64 s[16:17], s33, v32
	v_cmp_gt_i32_e64 s[18:19], s33, v34
	v_cndmask_b32_e64 v32, v27, v24, s[16:17]
	v_cndmask_b32_e64 v34, v27, v25, s[18:19]
	v_max3_f32 v29, v29, v32, v34
	v_or_b32_e32 v32, 34, v38
	v_or_b32_e32 v34, 35, v38
	;; [unrolled: 7-line block ×4, first 2 shown]
	v_cmp_gt_i32_e32 vcc, s33, v32
	v_cmp_gt_i32_e64 s[2:3], s33, v34
	v_cndmask_b32_e32 v32, v27, v18, vcc
	v_cndmask_b32_e64 v27, v27, v19, s[2:3]
	v_max3_f32 v27, v29, v32, v27
	v_mbcnt_lo_u32_b32 v29, -1, 0
	v_mbcnt_hi_u32_b32 v29, -1, v29
	v_and_b32_e32 v32, 64, v29
	v_add_u32_e32 v32, 64, v32
	v_xor_b32_e32 v34, 32, v29
	v_cmp_lt_i32_e64 s[40:41], v34, v32
	v_cndmask_b32_e64 v34, v29, v34, s[40:41]
	v_lshlrev_b32_e32 v36, 2, v34
	ds_bpermute_b32 v34, v36, v27
	s_barrier
	s_waitcnt lgkmcnt(0)
	v_max_f32_e32 v34, v34, v34
	v_max_f32_e32 v27, v27, v34
	v_xor_b32_e32 v34, 16, v29
	v_cmp_lt_i32_e64 s[40:41], v34, v32
	v_cndmask_b32_e64 v29, v29, v34, s[40:41]
	v_lshlrev_b32_e32 v38, 2, v29
	ds_bpermute_b32 v29, v38, v27
	s_waitcnt lgkmcnt(0)
	v_max_f32_e32 v29, v29, v29
	v_max_f32_e32 v32, v27, v29
	v_sub_f32_e32 v26, v26, v32
	v_mul_f32_e32 v26, 0x3fb8aa3b, v26
	v_sub_f32_e32 v27, v35, v32
	v_exp_f32_e32 v26, v26
	v_mul_f32_e32 v27, 0x3fb8aa3b, v27
	v_sub_f32_e32 v28, v28, v32
	v_exp_f32_e32 v27, v27
	v_mul_f32_e32 v28, 0x3fb8aa3b, v28
	v_exp_f32_e32 v28, v28
	v_cndmask_b32_e64 v26, 0, v26, s[26:27]
	v_sub_f32_e32 v34, v37, v32
	v_add_f32_e32 v29, 0, v26
	v_cndmask_b32_e64 v27, 0, v27, s[28:29]
	v_mul_f32_e32 v34, 0x3fb8aa3b, v34
	v_exp_f32_e32 v35, v34
	v_add_f32_e32 v29, v29, v27
	v_cndmask_b32_e64 v34, 0, v28, s[30:31]
	v_add_f32_e32 v28, v29, v34
	v_sub_f32_e32 v29, v41, v32
	v_mul_f32_e32 v29, 0x3fb8aa3b, v29
	v_sub_f32_e32 v33, v33, v32
	v_exp_f32_e32 v29, v29
	v_mul_f32_e32 v33, 0x3fb8aa3b, v33
	v_sub_f32_e32 v30, v30, v32
	v_exp_f32_e32 v33, v33
	;; [unrolled: 3-line block ×3, first 2 shown]
	v_mul_f32_e32 v31, 0x3fb8aa3b, v31
	v_sub_f32_e32 v24, v24, v32
	v_cndmask_b32_e64 v35, 0, v35, s[34:35]
	v_exp_f32_e32 v31, v31
	v_mul_f32_e32 v24, 0x3fb8aa3b, v24
	v_sub_f32_e32 v25, v25, v32
	v_add_f32_e32 v37, v28, v35
	v_cndmask_b32_e64 v28, 0, v29, s[36:37]
	v_exp_f32_e32 v24, v24
	v_mul_f32_e32 v25, 0x3fb8aa3b, v25
	v_sub_f32_e32 v22, v22, v32
	v_add_f32_e32 v37, v37, v28
	;; [unrolled: 5-line block ×7, first 2 shown]
	v_cndmask_b32_e64 v22, 0, v22, s[12:13]
	v_exp_f32_e32 v18, v18
	v_mul_f32_e32 v19, 0x3fb8aa3b, v19
	v_add_f32_e32 v33, v33, v22
	v_cndmask_b32_e64 v23, 0, v23, s[14:15]
	v_exp_f32_e32 v19, v19
	v_add_f32_e32 v33, v33, v23
	v_cndmask_b32_e64 v20, 0, v20, s[8:9]
	v_add_f32_e32 v33, v33, v20
	v_cndmask_b32_e64 v21, 0, v21, s[10:11]
	v_add_f32_e32 v33, v33, v21
	v_cndmask_b32_e32 v18, 0, v18, vcc
	v_add_f32_e32 v33, v33, v18
	v_cndmask_b32_e64 v19, 0, v19, s[2:3]
	v_add_f32_e32 v33, v33, v19
	ds_bpermute_b32 v36, v36, v33
	v_cmp_gt_u32_e32 vcc, 16, v44
	s_waitcnt lgkmcnt(0)
	v_add_f32_e32 v33, v33, v36
	ds_bpermute_b32 v37, v38, v33
	v_lshlrev_b32_e32 v36, 2, v49
	s_and_saveexec_b64 s[2:3], vcc
	s_cbranch_execz .LBB587_399
; %bb.398:
	s_waitcnt lgkmcnt(0)
	v_add_f32_e32 v33, v33, v37
	v_lshl_or_b32 v37, v50, 6, v36
	ds_write2st64_b32 v37, v32, v33 offset1:1
.LBB587_399:
	s_or_b64 exec, exec, s[2:3]
	s_waitcnt lgkmcnt(0)
	s_barrier
	ds_read2_b32 v[38:39], v36 offset1:16
	ds_read2_b32 v[40:41], v36 offset0:32 offset1:48
	ds_read2_b32 v[42:43], v36 offset0:64 offset1:80
	s_mul_i32 s12, s45, 14
	s_waitcnt lgkmcnt(2)
	v_max3_f32 v32, v38, s46, v39
	s_waitcnt lgkmcnt(1)
	v_max3_f32 v33, v32, v40, v41
	v_sub_f32_e32 v32, v38, v33
	v_mul_f32_e32 v32, 0x3fb8aa3b, v32
	v_exp_f32_e32 v37, v32
	v_sub_f32_e32 v32, v39, v33
	v_mul_f32_e32 v32, 0x3fb8aa3b, v32
	v_exp_f32_e32 v44, v32
	;; [unrolled: 3-line block ×3, first 2 shown]
	ds_read2_b32 v[38:39], v36 offset0:96 offset1:112
	v_sub_f32_e32 v32, v41, v33
	v_mul_f32_e32 v32, 0x3fb8aa3b, v32
	v_exp_f32_e32 v41, v32
	s_waitcnt lgkmcnt(1)
	v_fma_f32 v36, v37, v42, 0
	v_fmac_f32_e32 v36, v44, v43
	s_waitcnt lgkmcnt(0)
	v_fmac_f32_e32 v36, v40, v38
	v_fmac_f32_e32 v36, v41, v39
	v_add_f32_e32 v38, 0x358637bd, v36
	v_div_scale_f32 v39, s[2:3], v38, v38, 1.0
	v_rcp_f32_e32 v42, v39
	s_barrier
	v_fma_f32 v43, -v39, v42, 1.0
	v_fmac_f32_e32 v42, v43, v42
	v_div_scale_f32 v43, vcc, 1.0, v38, 1.0
	v_mul_f32_e32 v45, v43, v42
	v_fma_f32 v51, -v39, v45, v43
	v_fmac_f32_e32 v45, v51, v42
	v_fma_f32 v39, -v39, v45, v43
	v_div_fmas_f32 v39, v39, v42, v45
	v_cmp_eq_u32_e32 vcc, 1, v50
	v_cndmask_b32_e32 v37, v37, v44, vcc
	v_cmp_eq_u32_e32 vcc, 2, v50
	v_cndmask_b32_e32 v37, v37, v40, vcc
	v_cmp_eq_u32_e32 vcc, 3, v50
	v_div_fixup_f32 v38, v39, v38, 1.0
	v_cndmask_b32_e32 v37, v37, v41, vcc
	v_mul_f32_e32 v38, v37, v38
	v_pk_mul_f32 v[26:27], v[38:39], v[26:27] op_sel_hi:[0,1]
	v_cvt_f16_f32_e32 v26, v26
	v_cvt_f16_f32_e32 v27, v27
	v_pk_mul_f32 v[34:35], v[38:39], v[34:35] op_sel_hi:[0,1]
	v_cvt_f16_f32_e32 v37, v34
	v_cvt_f16_f32_e32 v35, v35
	v_pack_b32_f16 v34, v26, v27
	v_pk_mul_f32 v[26:27], v[38:39], v[30:31] op_sel_hi:[0,1]
	v_pk_mul_f32 v[28:29], v[38:39], v[28:29] op_sel_hi:[0,1]
	v_cvt_f16_f32_e32 v28, v28
	v_cvt_f16_f32_e32 v29, v29
	;; [unrolled: 1-line block ×4, first 2 shown]
	v_pack_b32_f16 v35, v37, v35
	v_lshlrev_b32_e32 v37, 3, v1
	v_lshlrev_b32_e32 v26, 11, v50
	v_or3_b32 v26, v26, v48, v37
	v_pack_b32_f16 v28, v28, v29
	v_pack_b32_f16 v29, v30, v27
	v_pk_mul_f32 v[22:23], v[38:39], v[22:23] op_sel_hi:[0,1]
	v_pk_mul_f32 v[24:25], v[38:39], v[24:25] op_sel_hi:[0,1]
	;; [unrolled: 1-line block ×4, first 2 shown]
	ds_write2st64_b64 v26, v[34:35], v[28:29] offset1:1
	v_cvt_f16_f32_e32 v24, v24
	v_cvt_f16_f32_e32 v25, v25
	;; [unrolled: 1-line block ×8, first 2 shown]
	v_mov_b32_e32 v32, 0
	v_pack_b32_f16 v18, v24, v25
	v_pack_b32_f16 v19, v22, v23
	;; [unrolled: 1-line block ×4, first 2 shown]
	v_cmp_gt_u32_e32 vcc, 14, v0
	ds_write2st64_b64 v26, v[18:19], v[20:21] offset0:2 offset1:3
	s_and_saveexec_b64 s[2:3], vcc
	s_cbranch_execz .LBB587_401
; %bb.400:
	v_add_co_u32_e32 v20, vcc, s25, v49
	v_addc_co_u32_e64 v21, s[14:15], 0, 0, vcc
	v_mov_b32_e32 v18, s12
	v_mov_b32_e32 v19, 0
	v_mad_u64_u32 v[20:21], s[14:15], s6, v18, v[20:21]
	v_mov_b32_e32 v18, s24
	s_load_dwordx4 s[8:11], s[4:5], 0x58
	s_mul_i32 s7, s7, s12
	v_mad_u64_u32 v[18:19], s[14:15], v20, s44, v[18:19]
	v_add_u32_e32 v21, s7, v21
	v_mov_b32_e32 v20, v19
	v_mad_u64_u32 v[20:21], s[14:15], v21, s44, v[20:21]
	v_mov_b32_e32 v19, v20
	v_lshlrev_b64 v[18:19], 2, v[18:19]
	s_waitcnt lgkmcnt(0)
	v_mov_b32_e32 v21, s11
	v_add_co_u32_e32 v20, vcc, s10, v18
	v_addc_co_u32_e32 v21, vcc, v21, v19, vcc
	global_store_dword v[20:21], v33, off
	v_mov_b32_e32 v20, s9
	v_add_co_u32_e32 v18, vcc, s8, v18
	v_addc_co_u32_e32 v19, vcc, v20, v19, vcc
	global_store_dword v[18:19], v36, off
.LBB587_401:
	s_or_b64 exec, exec, s[2:3]
	v_mov_b32_e32 v19, 0
	s_waitcnt vmcnt(3)
	v_cmp_ne_u16_sdwa s[8:9], v14, v19 src0_sel:BYTE_0 src1_sel:DWORD
	s_waitcnt lgkmcnt(0)
	s_barrier
	s_and_saveexec_b64 s[2:3], s[8:9]
	s_cbranch_execz .LBB587_407
; %bb.402:
	s_movk_i32 s7, 0x80
	v_cmp_ne_u16_sdwa s[10:11], v14, s7 src0_sel:BYTE_0 src1_sel:DWORD
	v_bfrev_b32_e32 v32, 1
	s_and_saveexec_b64 s[8:9], s[10:11]
	s_cbranch_execz .LBB587_406
; %bb.403:
	s_movk_i32 s7, 0x7f
	v_and_b32_e32 v18, 0x7f, v14
	v_cmp_ne_u32_e32 vcc, s7, v18
	v_mov_b32_e32 v32, 0x7f800001
	s_and_saveexec_b64 s[10:11], vcc
	s_cbranch_execz .LBB587_405
; %bb.404:
	v_and_b32_e32 v22, 7, v14
	v_ffbh_u32_e32 v20, v22
	v_min_u32_e32 v24, 32, v20
	v_subrev_u32_e32 v20, 28, v24
	v_lshlrev_b64 v[20:21], v20, v[14:15]
	v_lshrrev_b32_e32 v23, 3, v18
	v_sub_u32_e32 v21, 29, v24
	v_and_b32_e32 v20, 7, v20
	v_cmp_gt_u32_e32 vcc, 8, v18
	v_cndmask_b32_e32 v18, v23, v21, vcc
	v_cndmask_b32_e32 v20, v22, v20, vcc
	v_lshlrev_b32_e32 v21, 24, v14
	v_bfrev_b32_e32 v22, 60
	v_lshlrev_b32_e32 v20, 20, v20
	v_and_b32_e32 v21, 0x80000000, v21
	v_lshl_add_u32 v18, v18, 23, v22
	v_or3_b32 v32, v21, v18, v20
.LBB587_405:
	s_or_b64 exec, exec, s[10:11]
.LBB587_406:
	s_or_b64 exec, exec, s[8:9]
.LBB587_407:
	s_or_b64 exec, exec, s[2:3]
	v_lshrrev_b16_e32 v18, 8, v14
	v_cmp_ne_u16_e32 vcc, 0, v18
	v_mov_b32_e32 v20, 0
	s_and_saveexec_b64 s[2:3], vcc
	s_cbranch_execz .LBB587_413
; %bb.408:
	s_movk_i32 s7, 0x80
	v_cmp_ne_u16_e32 vcc, s7, v18
	v_bfrev_b32_e32 v20, 1
	s_and_saveexec_b64 s[8:9], vcc
	s_cbranch_execz .LBB587_412
; %bb.409:
	s_movk_i32 s7, 0x7f
	v_and_b32_e32 v21, 0x7f, v18
	v_cmp_ne_u32_e32 vcc, s7, v21
	v_mov_b32_e32 v20, 0x7f800001
	s_and_saveexec_b64 s[10:11], vcc
	s_cbranch_execz .LBB587_411
; %bb.410:
	v_and_b32_e32 v20, 7, v18
	v_ffbh_u32_e32 v22, v20
	v_min_u32_e32 v25, 32, v22
	v_subrev_u32_e32 v22, 28, v25
	v_lshlrev_b64 v[22:23], v22, v[18:19]
	v_lshrrev_b32_e32 v24, 3, v21
	v_sub_u32_e32 v18, 29, v25
	v_and_b32_e32 v22, 7, v22
	v_cmp_gt_u32_e32 vcc, 8, v21
	v_cndmask_b32_e32 v18, v24, v18, vcc
	v_cndmask_b32_e32 v20, v20, v22, vcc
	v_lshlrev_b32_e32 v21, 16, v14
	v_bfrev_b32_e32 v22, 60
	v_lshlrev_b32_e32 v20, 20, v20
	v_and_b32_e32 v21, 0x80000000, v21
	v_lshl_add_u32 v18, v18, 23, v22
	v_or3_b32 v20, v21, v18, v20
.LBB587_411:
	s_or_b64 exec, exec, s[10:11]
.LBB587_412:
	s_or_b64 exec, exec, s[8:9]
.LBB587_413:
	s_or_b64 exec, exec, s[2:3]
	s_movk_i32 s2, 0xff
	v_and_b32_sdwa v21, v14, s2 dst_sel:DWORD dst_unused:UNUSED_PAD src0_sel:WORD_1 src1_sel:DWORD
	v_lshrrev_b32_e32 v18, 16, v14
	v_cmp_ne_u16_e32 vcc, 0, v21
	s_and_saveexec_b64 s[2:3], vcc
	s_cbranch_execz .LBB587_419
; %bb.414:
	s_movk_i32 s7, 0x80
	v_cmp_ne_u16_e32 vcc, s7, v21
	v_bfrev_b32_e32 v19, 1
	s_and_saveexec_b64 s[8:9], vcc
	s_cbranch_execz .LBB587_418
; %bb.415:
	v_bfe_u32 v21, v14, 16, 7
	s_movk_i32 s7, 0x7f
	v_cmp_ne_u32_e32 vcc, s7, v21
	v_mov_b32_e32 v19, 0x7f800001
	s_and_saveexec_b64 s[10:11], vcc
	s_cbranch_execz .LBB587_417
; %bb.416:
	v_and_b32_e32 v22, 7, v18
	v_ffbh_u32_e32 v19, v22
	v_min_u32_e32 v24, 32, v19
	v_subrev_u32_e32 v19, 28, v24
	v_lshlrev_b64 v[18:19], v19, v[18:19]
	v_lshrrev_b32_e32 v23, 3, v21
	v_sub_u32_e32 v19, 29, v24
	v_and_b32_e32 v18, 7, v18
	v_cmp_gt_u32_e32 vcc, 8, v21
	v_mov_b32_e32 v21, 24
	v_cndmask_b32_e32 v19, v23, v19, vcc
	v_cndmask_b32_e32 v18, v22, v18, vcc
	v_lshlrev_b32_sdwa v21, v21, v14 dst_sel:DWORD dst_unused:UNUSED_PAD src0_sel:DWORD src1_sel:WORD_1
	v_bfrev_b32_e32 v22, 60
	v_lshlrev_b32_e32 v18, 20, v18
	v_and_b32_e32 v21, 0x80000000, v21
	v_lshl_add_u32 v19, v19, 23, v22
	v_or3_b32 v19, v21, v19, v18
.LBB587_417:
	s_or_b64 exec, exec, s[10:11]
.LBB587_418:
	s_or_b64 exec, exec, s[8:9]
.LBB587_419:
	s_or_b64 exec, exec, s[2:3]
	s_mov_b32 s2, 0xffffff
	v_cmp_lt_u32_e32 vcc, s2, v14
	v_mov_b32_e32 v21, 0
	v_mov_b32_e32 v22, 0
	s_and_saveexec_b64 s[2:3], vcc
	s_cbranch_execz .LBB587_425
; %bb.420:
	v_lshrrev_b32_e32 v18, 24, v14
	s_movk_i32 s7, 0x80
	v_cmp_ne_u32_e32 vcc, s7, v18
	v_bfrev_b32_e32 v22, 1
	s_and_saveexec_b64 s[8:9], vcc
	s_cbranch_execz .LBB587_424
; %bb.421:
	v_bfe_u32 v14, v14, 24, 7
	s_movk_i32 s7, 0x7f
	v_cmp_ne_u32_e32 vcc, s7, v14
	v_mov_b32_e32 v22, 0x7f800001
	s_and_saveexec_b64 s[10:11], vcc
	s_cbranch_execz .LBB587_423
; %bb.422:
	v_and_b32_e32 v24, 7, v18
	v_ffbh_u32_e32 v22, v24
	v_min_u32_e32 v27, 32, v22
	v_subrev_u32_e32 v22, 28, v27
	v_lshlrev_b64 v[22:23], v22, v[18:19]
	v_lshrrev_b32_e32 v25, 3, v14
	v_sub_u32_e32 v23, 29, v27
	v_and_b32_e32 v22, 7, v22
	v_cmp_gt_u32_e32 vcc, 8, v14
	v_cndmask_b32_e32 v14, v25, v23, vcc
	v_cndmask_b32_e32 v22, v24, v22, vcc
	v_lshlrev_b32_e32 v18, 24, v18
	v_bfrev_b32_e32 v23, 60
	v_lshlrev_b32_e32 v22, 20, v22
	v_and_b32_e32 v18, 0x80000000, v18
	v_lshl_add_u32 v14, v14, 23, v23
	v_or3_b32 v22, v18, v14, v22
.LBB587_423:
	s_or_b64 exec, exec, s[10:11]
.LBB587_424:
	s_or_b64 exec, exec, s[8:9]
.LBB587_425:
	s_or_b64 exec, exec, s[2:3]
	v_cmp_ne_u16_sdwa s[8:9], v15, v21 src0_sel:BYTE_0 src1_sel:DWORD
	s_and_saveexec_b64 s[2:3], s[8:9]
	s_cbranch_execz .LBB587_431
; %bb.426:
	s_movk_i32 s7, 0x80
	v_cmp_ne_u16_sdwa s[10:11], v15, s7 src0_sel:BYTE_0 src1_sel:DWORD
	v_bfrev_b32_e32 v21, 1
	s_and_saveexec_b64 s[8:9], s[10:11]
	s_cbranch_execz .LBB587_430
; %bb.427:
	s_movk_i32 s7, 0x7f
	v_and_b32_e32 v14, 0x7f, v15
	v_cmp_ne_u32_e32 vcc, s7, v14
	v_mov_b32_e32 v21, 0x7f800001
	s_and_saveexec_b64 s[10:11], vcc
	s_cbranch_execz .LBB587_429
; %bb.428:
	v_and_b32_e32 v21, 7, v15
	v_ffbh_u32_e32 v24, v21
	v_min_u32_e32 v27, 32, v24
	v_mov_b32_e32 v18, v15
	v_subrev_u32_e32 v24, 28, v27
	v_lshlrev_b64 v[24:25], v24, v[18:19]
	v_lshrrev_b32_e32 v23, 3, v14
	v_sub_u32_e32 v18, 29, v27
	v_and_b32_e32 v24, 7, v24
	v_cmp_gt_u32_e32 vcc, 8, v14
	v_cndmask_b32_e32 v14, v23, v18, vcc
	v_cndmask_b32_e32 v18, v21, v24, vcc
	v_lshlrev_b32_e32 v21, 24, v15
	v_bfrev_b32_e32 v23, 60
	v_lshlrev_b32_e32 v18, 20, v18
	v_and_b32_e32 v21, 0x80000000, v21
	v_lshl_add_u32 v14, v14, 23, v23
	v_or3_b32 v21, v21, v14, v18
.LBB587_429:
	s_or_b64 exec, exec, s[10:11]
.LBB587_430:
	s_or_b64 exec, exec, s[8:9]
.LBB587_431:
	s_or_b64 exec, exec, s[2:3]
	v_lshrrev_b16_e32 v14, 8, v15
	v_cmp_ne_u16_e32 vcc, 0, v14
	v_mov_b32_e32 v18, 0
	v_mov_b32_e32 v24, 0
	s_and_saveexec_b64 s[2:3], vcc
	s_cbranch_execz .LBB587_437
; %bb.432:
	s_movk_i32 s7, 0x80
	v_cmp_ne_u16_e32 vcc, s7, v14
	v_bfrev_b32_e32 v24, 1
	s_and_saveexec_b64 s[8:9], vcc
	s_cbranch_execz .LBB587_436
; %bb.433:
	s_movk_i32 s7, 0x7f
	v_and_b32_e32 v23, 0x7f, v14
	v_cmp_ne_u32_e32 vcc, s7, v23
	v_mov_b32_e32 v24, 0x7f800001
	s_and_saveexec_b64 s[10:11], vcc
	s_cbranch_execz .LBB587_435
; %bb.434:
	v_and_b32_e32 v27, 7, v14
	v_ffbh_u32_e32 v24, v27
	v_min_u32_e32 v29, 32, v24
	v_subrev_u32_e32 v24, 28, v29
	v_lshlrev_b64 v[24:25], v24, v[14:15]
	v_lshrrev_b32_e32 v28, 3, v23
	v_sub_u32_e32 v14, 29, v29
	v_and_b32_e32 v24, 7, v24
	v_cmp_gt_u32_e32 vcc, 8, v23
	v_cndmask_b32_e32 v14, v28, v14, vcc
	v_cndmask_b32_e32 v23, v27, v24, vcc
	v_lshlrev_b32_e32 v24, 16, v15
	v_bfrev_b32_e32 v25, 60
	v_lshlrev_b32_e32 v23, 20, v23
	v_and_b32_e32 v24, 0x80000000, v24
	v_lshl_add_u32 v14, v14, 23, v25
	v_or3_b32 v24, v24, v14, v23
.LBB587_435:
	s_or_b64 exec, exec, s[10:11]
.LBB587_436:
	s_or_b64 exec, exec, s[8:9]
.LBB587_437:
	s_or_b64 exec, exec, s[2:3]
	s_movk_i32 s2, 0xff
	v_and_b32_sdwa v23, v15, s2 dst_sel:DWORD dst_unused:UNUSED_PAD src0_sel:WORD_1 src1_sel:DWORD
	v_lshrrev_b32_e32 v14, 16, v15
	v_cmp_ne_u16_e32 vcc, 0, v23
	s_and_saveexec_b64 s[2:3], vcc
	s_cbranch_execz .LBB587_443
; %bb.438:
	s_movk_i32 s7, 0x80
	v_cmp_ne_u16_e32 vcc, s7, v23
	v_bfrev_b32_e32 v18, 1
	s_and_saveexec_b64 s[8:9], vcc
	s_cbranch_execz .LBB587_442
; %bb.439:
	v_bfe_u32 v23, v15, 16, 7
	s_movk_i32 s7, 0x7f
	v_cmp_ne_u32_e32 vcc, s7, v23
	v_mov_b32_e32 v18, 0x7f800001
	s_and_saveexec_b64 s[10:11], vcc
	s_cbranch_execz .LBB587_441
; %bb.440:
	v_and_b32_e32 v18, 7, v14
	v_ffbh_u32_e32 v27, v18
	v_min_u32_e32 v27, 32, v27
	v_subrev_u32_e32 v28, 28, v27
	v_lshlrev_b64 v[28:29], v28, v[14:15]
	v_lshrrev_b32_e32 v25, 3, v23
	v_sub_u32_e32 v14, 29, v27
	v_and_b32_e32 v27, 7, v28
	v_cmp_gt_u32_e32 vcc, 8, v23
	v_mov_b32_e32 v23, 24
	v_cndmask_b32_e32 v14, v25, v14, vcc
	v_cndmask_b32_e32 v18, v18, v27, vcc
	v_lshlrev_b32_sdwa v23, v23, v15 dst_sel:DWORD dst_unused:UNUSED_PAD src0_sel:DWORD src1_sel:WORD_1
	v_bfrev_b32_e32 v25, 60
	v_lshlrev_b32_e32 v18, 20, v18
	v_and_b32_e32 v23, 0x80000000, v23
	v_lshl_add_u32 v14, v14, 23, v25
	v_or3_b32 v18, v23, v14, v18
.LBB587_441:
	s_or_b64 exec, exec, s[10:11]
.LBB587_442:
	s_or_b64 exec, exec, s[8:9]
.LBB587_443:
	s_or_b64 exec, exec, s[2:3]
	s_mov_b32 s2, 0xffffff
	v_cmp_lt_u32_e32 vcc, s2, v15
	v_mov_b32_e32 v23, 0
	v_mov_b32_e32 v25, 0
	s_and_saveexec_b64 s[2:3], vcc
	s_cbranch_execz .LBB587_449
; %bb.444:
	v_lshrrev_b32_e32 v14, 24, v15
	s_movk_i32 s7, 0x80
	v_cmp_ne_u32_e32 vcc, s7, v14
	v_bfrev_b32_e32 v25, 1
	s_and_saveexec_b64 s[8:9], vcc
	s_cbranch_execz .LBB587_448
; %bb.445:
	v_bfe_u32 v15, v15, 24, 7
	s_movk_i32 s7, 0x7f
	v_cmp_ne_u32_e32 vcc, s7, v15
	v_mov_b32_e32 v25, 0x7f800001
	s_and_saveexec_b64 s[10:11], vcc
	s_cbranch_execz .LBB587_447
; %bb.446:
	v_and_b32_e32 v25, 7, v14
	v_ffbh_u32_e32 v28, v25
	v_min_u32_e32 v30, 32, v28
	v_subrev_u32_e32 v28, 28, v30
	v_lshlrev_b64 v[28:29], v28, v[14:15]
	v_lshrrev_b32_e32 v27, 3, v15
	v_sub_u32_e32 v29, 29, v30
	v_and_b32_e32 v28, 7, v28
	v_cmp_gt_u32_e32 vcc, 8, v15
	v_cndmask_b32_e32 v15, v27, v29, vcc
	v_cndmask_b32_e32 v25, v25, v28, vcc
	v_lshlrev_b32_e32 v14, 24, v14
	v_bfrev_b32_e32 v27, 60
	v_lshlrev_b32_e32 v25, 20, v25
	v_and_b32_e32 v14, 0x80000000, v14
	v_lshl_add_u32 v15, v15, 23, v27
	v_or3_b32 v25, v14, v15, v25
.LBB587_447:
	s_or_b64 exec, exec, s[10:11]
.LBB587_448:
	s_or_b64 exec, exec, s[8:9]
.LBB587_449:
	s_or_b64 exec, exec, s[2:3]
	v_cvt_pkrtz_f16_f32 v15, v19, v22
	v_lshl_or_b32 v22, v1, 9, v48
	v_cvt_pkrtz_f16_f32 v14, v32, v20
	ds_read_b128 v[28:31], v22
	v_cmp_ne_u16_sdwa s[8:9], v16, v23 src0_sel:BYTE_0 src1_sel:DWORD
	s_waitcnt lgkmcnt(0)
	v_mfma_f32_16x16x16f16 v[32:35], v[14:15], v[28:29], 0
	v_cvt_pkrtz_f16_f32 v14, v21, v24
	v_cvt_pkrtz_f16_f32 v15, v18, v25
	s_nop 1
	v_mfma_f32_16x16x16f16 v[18:21], v[14:15], v[30:31], v[32:35]
	s_and_saveexec_b64 s[2:3], s[8:9]
	s_cbranch_execz .LBB587_455
; %bb.450:
	s_movk_i32 s7, 0x80
	v_cmp_ne_u16_sdwa s[10:11], v16, s7 src0_sel:BYTE_0 src1_sel:DWORD
	v_bfrev_b32_e32 v23, 1
	s_and_saveexec_b64 s[8:9], s[10:11]
	s_cbranch_execz .LBB587_454
; %bb.451:
	s_movk_i32 s7, 0x7f
	v_and_b32_e32 v14, 0x7f, v16
	v_cmp_ne_u32_e32 vcc, s7, v14
	v_mov_b32_e32 v23, 0x7f800001
	s_and_saveexec_b64 s[10:11], vcc
	s_cbranch_execz .LBB587_453
; %bb.452:
	v_and_b32_e32 v15, 7, v16
	v_ffbh_u32_e32 v24, v15
	v_min_u32_e32 v27, 32, v24
	v_subrev_u32_e32 v24, 28, v27
	v_lshlrev_b64 v[24:25], v24, v[16:17]
	v_lshrrev_b32_e32 v23, 3, v14
	v_sub_u32_e32 v25, 29, v27
	v_and_b32_e32 v24, 7, v24
	v_cmp_gt_u32_e32 vcc, 8, v14
	v_cndmask_b32_e32 v14, v23, v25, vcc
	v_cndmask_b32_e32 v15, v15, v24, vcc
	v_lshlrev_b32_e32 v23, 24, v16
	v_bfrev_b32_e32 v24, 60
	v_lshlrev_b32_e32 v15, 20, v15
	v_and_b32_e32 v23, 0x80000000, v23
	v_lshl_add_u32 v14, v14, 23, v24
	v_or3_b32 v23, v23, v14, v15
.LBB587_453:
	s_or_b64 exec, exec, s[10:11]
.LBB587_454:
	s_or_b64 exec, exec, s[8:9]
.LBB587_455:
	s_or_b64 exec, exec, s[2:3]
	v_lshrrev_b16_e32 v14, 8, v16
	v_cmp_ne_u16_e32 vcc, 0, v14
	v_mov_b32_e32 v15, 0
	v_mov_b32_e32 v25, 0
	s_and_saveexec_b64 s[2:3], vcc
	s_cbranch_execz .LBB587_461
; %bb.456:
	s_movk_i32 s7, 0x80
	v_cmp_ne_u16_e32 vcc, s7, v14
	v_bfrev_b32_e32 v25, 1
	s_and_saveexec_b64 s[8:9], vcc
	s_cbranch_execz .LBB587_460
; %bb.457:
	s_movk_i32 s7, 0x7f
	v_and_b32_e32 v24, 0x7f, v14
	v_cmp_ne_u32_e32 vcc, s7, v24
	v_mov_b32_e32 v25, 0x7f800001
	s_and_saveexec_b64 s[10:11], vcc
	s_cbranch_execz .LBB587_459
; %bb.458:
	v_and_b32_e32 v25, 7, v14
	v_ffbh_u32_e32 v28, v25
	v_min_u32_e32 v30, 32, v28
	v_subrev_u32_e32 v28, 28, v30
	v_lshlrev_b64 v[28:29], v28, v[14:15]
	v_lshrrev_b32_e32 v27, 3, v24
	v_sub_u32_e32 v14, 29, v30
	v_and_b32_e32 v28, 7, v28
	v_cmp_gt_u32_e32 vcc, 8, v24
	v_cndmask_b32_e32 v14, v27, v14, vcc
	v_cndmask_b32_e32 v24, v25, v28, vcc
	v_lshlrev_b32_e32 v25, 16, v16
	v_bfrev_b32_e32 v27, 60
	v_lshlrev_b32_e32 v24, 20, v24
	v_and_b32_e32 v25, 0x80000000, v25
	v_lshl_add_u32 v14, v14, 23, v27
	v_or3_b32 v25, v25, v14, v24
.LBB587_459:
	s_or_b64 exec, exec, s[10:11]
.LBB587_460:
	s_or_b64 exec, exec, s[8:9]
.LBB587_461:
	s_or_b64 exec, exec, s[2:3]
	s_movk_i32 s2, 0xff
	v_and_b32_sdwa v24, v16, s2 dst_sel:DWORD dst_unused:UNUSED_PAD src0_sel:WORD_1 src1_sel:DWORD
	v_lshrrev_b32_e32 v14, 16, v16
	v_cmp_ne_u16_e32 vcc, 0, v24
	s_and_saveexec_b64 s[2:3], vcc
	s_cbranch_execz .LBB587_467
; %bb.462:
	s_movk_i32 s7, 0x80
	v_cmp_ne_u16_e32 vcc, s7, v24
	v_bfrev_b32_e32 v15, 1
	s_and_saveexec_b64 s[8:9], vcc
	s_cbranch_execz .LBB587_466
; %bb.463:
	v_bfe_u32 v24, v16, 16, 7
	s_movk_i32 s7, 0x7f
	v_cmp_ne_u32_e32 vcc, s7, v24
	v_mov_b32_e32 v15, 0x7f800001
	s_and_saveexec_b64 s[10:11], vcc
	s_cbranch_execz .LBB587_465
; %bb.464:
	v_and_b32_e32 v27, 7, v14
	v_ffbh_u32_e32 v15, v27
	v_min_u32_e32 v29, 32, v15
	v_subrev_u32_e32 v15, 28, v29
	v_lshlrev_b64 v[14:15], v15, v[14:15]
	v_lshrrev_b32_e32 v28, 3, v24
	v_sub_u32_e32 v15, 29, v29
	v_and_b32_e32 v14, 7, v14
	v_cmp_gt_u32_e32 vcc, 8, v24
	v_mov_b32_e32 v24, 24
	v_cndmask_b32_e32 v15, v28, v15, vcc
	v_cndmask_b32_e32 v14, v27, v14, vcc
	v_lshlrev_b32_sdwa v24, v24, v16 dst_sel:DWORD dst_unused:UNUSED_PAD src0_sel:DWORD src1_sel:WORD_1
	v_bfrev_b32_e32 v27, 60
	v_lshlrev_b32_e32 v14, 20, v14
	v_and_b32_e32 v24, 0x80000000, v24
	v_lshl_add_u32 v15, v15, 23, v27
	v_or3_b32 v15, v24, v15, v14
.LBB587_465:
	s_or_b64 exec, exec, s[10:11]
.LBB587_466:
	s_or_b64 exec, exec, s[8:9]
.LBB587_467:
	s_or_b64 exec, exec, s[2:3]
	s_mov_b32 s2, 0xffffff
	v_cmp_lt_u32_e32 vcc, s2, v16
	v_mov_b32_e32 v27, 0
	v_mov_b32_e32 v28, 0
	s_and_saveexec_b64 s[2:3], vcc
	s_cbranch_execz .LBB587_473
; %bb.468:
	v_lshrrev_b32_e32 v14, 24, v16
	s_movk_i32 s7, 0x80
	v_cmp_ne_u32_e32 vcc, s7, v14
	v_bfrev_b32_e32 v28, 1
	s_and_saveexec_b64 s[8:9], vcc
	s_cbranch_execz .LBB587_472
; %bb.469:
	v_bfe_u32 v16, v16, 24, 7
	s_movk_i32 s7, 0x7f
	v_cmp_ne_u32_e32 vcc, s7, v16
	v_mov_b32_e32 v28, 0x7f800001
	s_and_saveexec_b64 s[10:11], vcc
	s_cbranch_execz .LBB587_471
; %bb.470:
	v_and_b32_e32 v24, 7, v14
	v_ffbh_u32_e32 v28, v24
	v_min_u32_e32 v31, 32, v28
	v_subrev_u32_e32 v28, 28, v31
	v_lshlrev_b64 v[28:29], v28, v[14:15]
	v_lshrrev_b32_e32 v30, 3, v16
	v_sub_u32_e32 v29, 29, v31
	v_and_b32_e32 v28, 7, v28
	v_cmp_gt_u32_e32 vcc, 8, v16
	v_cndmask_b32_e32 v16, v30, v29, vcc
	v_cndmask_b32_e32 v24, v24, v28, vcc
	v_lshlrev_b32_e32 v14, 24, v14
	v_bfrev_b32_e32 v28, 60
	v_lshlrev_b32_e32 v24, 20, v24
	v_and_b32_e32 v14, 0x80000000, v14
	v_lshl_add_u32 v16, v16, 23, v28
	v_or3_b32 v28, v14, v16, v24
.LBB587_471:
	s_or_b64 exec, exec, s[10:11]
.LBB587_472:
	s_or_b64 exec, exec, s[8:9]
.LBB587_473:
	s_or_b64 exec, exec, s[2:3]
	v_cmp_ne_u16_sdwa s[8:9], v17, v27 src0_sel:BYTE_0 src1_sel:DWORD
	s_and_saveexec_b64 s[2:3], s[8:9]
	s_cbranch_execz .LBB587_479
; %bb.474:
	s_movk_i32 s7, 0x80
	v_cmp_ne_u16_sdwa s[10:11], v17, s7 src0_sel:BYTE_0 src1_sel:DWORD
	v_bfrev_b32_e32 v27, 1
	s_and_saveexec_b64 s[8:9], s[10:11]
	s_cbranch_execz .LBB587_478
; %bb.475:
	s_movk_i32 s7, 0x7f
	v_and_b32_e32 v14, 0x7f, v17
	v_cmp_ne_u32_e32 vcc, s7, v14
	v_mov_b32_e32 v27, 0x7f800001
	s_and_saveexec_b64 s[10:11], vcc
	s_cbranch_execz .LBB587_477
; %bb.476:
	v_and_b32_e32 v24, 7, v17
	v_ffbh_u32_e32 v29, v24
	v_min_u32_e32 v29, 32, v29
	v_mov_b32_e32 v16, v17
	v_subrev_u32_e32 v30, 28, v29
	v_lshlrev_b64 v[30:31], v30, v[16:17]
	v_lshrrev_b32_e32 v27, 3, v14
	v_sub_u32_e32 v16, 29, v29
	v_and_b32_e32 v29, 7, v30
	v_cmp_gt_u32_e32 vcc, 8, v14
	v_cndmask_b32_e32 v14, v27, v16, vcc
	v_cndmask_b32_e32 v16, v24, v29, vcc
	v_lshlrev_b32_e32 v24, 24, v17
	v_bfrev_b32_e32 v27, 60
	v_lshlrev_b32_e32 v16, 20, v16
	v_and_b32_e32 v24, 0x80000000, v24
	v_lshl_add_u32 v14, v14, 23, v27
	v_or3_b32 v27, v24, v14, v16
.LBB587_477:
	s_or_b64 exec, exec, s[10:11]
.LBB587_478:
	s_or_b64 exec, exec, s[8:9]
.LBB587_479:
	s_or_b64 exec, exec, s[2:3]
	v_lshrrev_b16_e32 v14, 8, v17
	v_cmp_ne_u16_e32 vcc, 0, v14
	v_mov_b32_e32 v16, 0
	v_mov_b32_e32 v29, 0
	s_and_saveexec_b64 s[2:3], vcc
	s_cbranch_execz .LBB587_485
; %bb.480:
	s_movk_i32 s7, 0x80
	v_cmp_ne_u16_e32 vcc, s7, v14
	v_bfrev_b32_e32 v29, 1
	s_and_saveexec_b64 s[8:9], vcc
	s_cbranch_execz .LBB587_484
; %bb.481:
	s_movk_i32 s7, 0x7f
	v_and_b32_e32 v24, 0x7f, v14
	v_cmp_ne_u32_e32 vcc, s7, v24
	v_mov_b32_e32 v29, 0x7f800001
	s_and_saveexec_b64 s[10:11], vcc
	s_cbranch_execz .LBB587_483
; %bb.482:
	v_and_b32_e32 v29, 7, v14
	v_ffbh_u32_e32 v30, v29
	v_min_u32_e32 v33, 32, v30
	v_subrev_u32_e32 v30, 28, v33
	v_lshlrev_b64 v[30:31], v30, v[14:15]
	v_lshrrev_b32_e32 v32, 3, v24
	v_sub_u32_e32 v14, 29, v33
	v_and_b32_e32 v30, 7, v30
	v_cmp_gt_u32_e32 vcc, 8, v24
	v_cndmask_b32_e32 v14, v32, v14, vcc
	v_cndmask_b32_e32 v24, v29, v30, vcc
	v_lshlrev_b32_e32 v29, 16, v17
	v_bfrev_b32_e32 v30, 60
	v_lshlrev_b32_e32 v24, 20, v24
	v_and_b32_e32 v29, 0x80000000, v29
	v_lshl_add_u32 v14, v14, 23, v30
	v_or3_b32 v29, v29, v14, v24
.LBB587_483:
	s_or_b64 exec, exec, s[10:11]
.LBB587_484:
	s_or_b64 exec, exec, s[8:9]
.LBB587_485:
	s_or_b64 exec, exec, s[2:3]
	s_movk_i32 s2, 0xff
	v_and_b32_sdwa v24, v17, s2 dst_sel:DWORD dst_unused:UNUSED_PAD src0_sel:WORD_1 src1_sel:DWORD
	v_lshrrev_b32_e32 v14, 16, v17
	v_cmp_ne_u16_e32 vcc, 0, v24
	s_and_saveexec_b64 s[2:3], vcc
	s_cbranch_execz .LBB587_491
; %bb.486:
	s_movk_i32 s7, 0x80
	v_cmp_ne_u16_e32 vcc, s7, v24
	v_bfrev_b32_e32 v16, 1
	s_and_saveexec_b64 s[8:9], vcc
	s_cbranch_execz .LBB587_490
; %bb.487:
	v_bfe_u32 v24, v17, 16, 7
	s_movk_i32 s7, 0x7f
	v_cmp_ne_u32_e32 vcc, s7, v24
	v_mov_b32_e32 v16, 0x7f800001
	s_and_saveexec_b64 s[10:11], vcc
	s_cbranch_execz .LBB587_489
; %bb.488:
	v_and_b32_e32 v16, 7, v14
	v_ffbh_u32_e32 v30, v16
	v_min_u32_e32 v33, 32, v30
	v_subrev_u32_e32 v30, 28, v33
	v_lshlrev_b64 v[30:31], v30, v[14:15]
	v_lshrrev_b32_e32 v32, 3, v24
	v_sub_u32_e32 v14, 29, v33
	v_and_b32_e32 v30, 7, v30
	v_cmp_gt_u32_e32 vcc, 8, v24
	v_mov_b32_e32 v24, 24
	v_cndmask_b32_e32 v14, v32, v14, vcc
	v_cndmask_b32_e32 v16, v16, v30, vcc
	v_lshlrev_b32_sdwa v24, v24, v17 dst_sel:DWORD dst_unused:UNUSED_PAD src0_sel:DWORD src1_sel:WORD_1
	v_bfrev_b32_e32 v30, 60
	v_lshlrev_b32_e32 v16, 20, v16
	v_and_b32_e32 v24, 0x80000000, v24
	v_lshl_add_u32 v14, v14, 23, v30
	v_or3_b32 v16, v24, v14, v16
.LBB587_489:
	s_or_b64 exec, exec, s[10:11]
.LBB587_490:
	s_or_b64 exec, exec, s[8:9]
.LBB587_491:
	s_or_b64 exec, exec, s[2:3]
	s_mov_b32 s2, 0xffffff
	v_cmp_lt_u32_e32 vcc, s2, v17
	v_mov_b32_e32 v24, 0
	v_mov_b32_e32 v30, 0
	s_and_saveexec_b64 s[2:3], vcc
	s_cbranch_execz .LBB587_497
; %bb.492:
	v_lshrrev_b32_e32 v14, 24, v17
	s_movk_i32 s7, 0x80
	v_cmp_ne_u32_e32 vcc, s7, v14
	v_bfrev_b32_e32 v30, 1
	s_and_saveexec_b64 s[8:9], vcc
	s_cbranch_execz .LBB587_496
; %bb.493:
	v_bfe_u32 v17, v17, 24, 7
	s_movk_i32 s7, 0x7f
	v_cmp_ne_u32_e32 vcc, s7, v17
	v_mov_b32_e32 v30, 0x7f800001
	s_and_saveexec_b64 s[10:11], vcc
	s_cbranch_execz .LBB587_495
; %bb.494:
	v_and_b32_e32 v32, 7, v14
	v_ffbh_u32_e32 v30, v32
	v_min_u32_e32 v34, 32, v30
	v_subrev_u32_e32 v30, 28, v34
	v_lshlrev_b64 v[30:31], v30, v[14:15]
	v_lshrrev_b32_e32 v33, 3, v17
	v_sub_u32_e32 v31, 29, v34
	v_and_b32_e32 v30, 7, v30
	v_cmp_gt_u32_e32 vcc, 8, v17
	v_cndmask_b32_e32 v17, v33, v31, vcc
	v_cndmask_b32_e32 v30, v32, v30, vcc
	v_lshlrev_b32_e32 v14, 24, v14
	v_bfrev_b32_e32 v31, 60
	v_lshlrev_b32_e32 v30, 20, v30
	v_and_b32_e32 v14, 0x80000000, v14
	v_lshl_add_u32 v17, v17, 23, v31
	v_or3_b32 v30, v14, v17, v30
.LBB587_495:
	s_or_b64 exec, exec, s[10:11]
.LBB587_496:
	s_or_b64 exec, exec, s[8:9]
.LBB587_497:
	s_or_b64 exec, exec, s[2:3]
	v_cvt_pkrtz_f16_f32 v14, v23, v25
	v_cvt_pkrtz_f16_f32 v15, v15, v28
	ds_read_b128 v[32:35], v22 offset:16
	s_waitcnt vmcnt(2)
	v_cmp_ne_u16_sdwa s[8:9], v10, v24 src0_sel:BYTE_0 src1_sel:DWORD
	s_waitcnt lgkmcnt(0)
	v_mfma_f32_16x16x16f16 v[18:21], v[14:15], v[32:33], v[18:21]
	v_cvt_pkrtz_f16_f32 v14, v27, v29
	v_cvt_pkrtz_f16_f32 v15, v16, v30
	s_nop 1
	v_mfma_f32_16x16x16f16 v[14:17], v[14:15], v[34:35], v[18:21]
	s_and_saveexec_b64 s[2:3], s[8:9]
	s_cbranch_execz .LBB587_503
; %bb.498:
	s_movk_i32 s7, 0x80
	v_cmp_ne_u16_sdwa s[10:11], v10, s7 src0_sel:BYTE_0 src1_sel:DWORD
	v_bfrev_b32_e32 v24, 1
	s_and_saveexec_b64 s[8:9], s[10:11]
	s_cbranch_execz .LBB587_502
; %bb.499:
	s_movk_i32 s7, 0x7f
	v_and_b32_e32 v18, 0x7f, v10
	v_cmp_ne_u32_e32 vcc, s7, v18
	v_mov_b32_e32 v24, 0x7f800001
	s_and_saveexec_b64 s[10:11], vcc
	s_cbranch_execz .LBB587_501
; %bb.500:
	v_and_b32_e32 v19, 7, v10
	v_ffbh_u32_e32 v20, v19
	v_min_u32_e32 v24, 32, v20
	v_subrev_u32_e32 v20, 28, v24
	v_lshlrev_b64 v[20:21], v20, v[10:11]
	v_lshrrev_b32_e32 v23, 3, v18
	v_sub_u32_e32 v21, 29, v24
	v_and_b32_e32 v20, 7, v20
	v_cmp_gt_u32_e32 vcc, 8, v18
	v_cndmask_b32_e32 v18, v23, v21, vcc
	v_cndmask_b32_e32 v19, v19, v20, vcc
	v_lshlrev_b32_e32 v20, 24, v10
	v_bfrev_b32_e32 v21, 60
	v_lshlrev_b32_e32 v19, 20, v19
	v_and_b32_e32 v20, 0x80000000, v20
	v_lshl_add_u32 v18, v18, 23, v21
	v_or3_b32 v24, v20, v18, v19
.LBB587_501:
	s_or_b64 exec, exec, s[10:11]
.LBB587_502:
	s_or_b64 exec, exec, s[8:9]
.LBB587_503:
	s_or_b64 exec, exec, s[2:3]
	s_nop 3
	v_lshrrev_b16_e32 v18, 8, v10
	v_cmp_ne_u16_e32 vcc, 0, v18
	v_mov_b32_e32 v19, 0
	v_mov_b32_e32 v20, 0
	s_and_saveexec_b64 s[2:3], vcc
	s_cbranch_execz .LBB587_509
; %bb.504:
	s_movk_i32 s7, 0x80
	v_cmp_ne_u16_e32 vcc, s7, v18
	v_bfrev_b32_e32 v20, 1
	s_and_saveexec_b64 s[8:9], vcc
	s_cbranch_execz .LBB587_508
; %bb.505:
	s_movk_i32 s7, 0x7f
	v_and_b32_e32 v21, 0x7f, v18
	v_cmp_ne_u32_e32 vcc, s7, v21
	v_mov_b32_e32 v20, 0x7f800001
	s_and_saveexec_b64 s[10:11], vcc
	s_cbranch_execz .LBB587_507
; %bb.506:
	v_and_b32_e32 v20, 7, v18
	v_ffbh_u32_e32 v25, v20
	v_min_u32_e32 v25, 32, v25
	v_subrev_u32_e32 v27, 28, v25
	v_lshlrev_b64 v[28:29], v27, v[18:19]
	v_lshrrev_b32_e32 v23, 3, v21
	v_sub_u32_e32 v18, 29, v25
	v_and_b32_e32 v25, 7, v28
	v_cmp_gt_u32_e32 vcc, 8, v21
	v_cndmask_b32_e32 v18, v23, v18, vcc
	v_cndmask_b32_e32 v20, v20, v25, vcc
	v_lshlrev_b32_e32 v21, 16, v10
	v_bfrev_b32_e32 v23, 60
	v_lshlrev_b32_e32 v20, 20, v20
	v_and_b32_e32 v21, 0x80000000, v21
	v_lshl_add_u32 v18, v18, 23, v23
	v_or3_b32 v20, v21, v18, v20
.LBB587_507:
	s_or_b64 exec, exec, s[10:11]
.LBB587_508:
	s_or_b64 exec, exec, s[8:9]
.LBB587_509:
	s_or_b64 exec, exec, s[2:3]
	s_movk_i32 s2, 0xff
	v_and_b32_sdwa v21, v10, s2 dst_sel:DWORD dst_unused:UNUSED_PAD src0_sel:WORD_1 src1_sel:DWORD
	v_lshrrev_b32_e32 v18, 16, v10
	v_cmp_ne_u16_e32 vcc, 0, v21
	s_and_saveexec_b64 s[2:3], vcc
	s_cbranch_execz .LBB587_515
; %bb.510:
	s_movk_i32 s7, 0x80
	v_cmp_ne_u16_e32 vcc, s7, v21
	v_bfrev_b32_e32 v19, 1
	s_and_saveexec_b64 s[8:9], vcc
	s_cbranch_execz .LBB587_514
; %bb.511:
	v_bfe_u32 v21, v10, 16, 7
	s_movk_i32 s7, 0x7f
	v_cmp_ne_u32_e32 vcc, s7, v21
	v_mov_b32_e32 v19, 0x7f800001
	s_and_saveexec_b64 s[10:11], vcc
	s_cbranch_execz .LBB587_513
; %bb.512:
	v_and_b32_e32 v23, 7, v18
	v_ffbh_u32_e32 v19, v23
	v_min_u32_e32 v27, 32, v19
	v_subrev_u32_e32 v19, 28, v27
	v_lshlrev_b64 v[18:19], v19, v[18:19]
	v_lshrrev_b32_e32 v25, 3, v21
	v_sub_u32_e32 v19, 29, v27
	v_and_b32_e32 v18, 7, v18
	v_cmp_gt_u32_e32 vcc, 8, v21
	v_mov_b32_e32 v21, 24
	v_cndmask_b32_e32 v19, v25, v19, vcc
	v_cndmask_b32_e32 v18, v23, v18, vcc
	v_lshlrev_b32_sdwa v21, v21, v10 dst_sel:DWORD dst_unused:UNUSED_PAD src0_sel:DWORD src1_sel:WORD_1
	v_bfrev_b32_e32 v23, 60
	v_lshlrev_b32_e32 v18, 20, v18
	v_and_b32_e32 v21, 0x80000000, v21
	v_lshl_add_u32 v19, v19, 23, v23
	v_or3_b32 v19, v21, v19, v18
.LBB587_513:
	s_or_b64 exec, exec, s[10:11]
.LBB587_514:
	s_or_b64 exec, exec, s[8:9]
.LBB587_515:
	s_or_b64 exec, exec, s[2:3]
	s_mov_b32 s2, 0xffffff
	v_cmp_lt_u32_e32 vcc, s2, v10
	v_mov_b32_e32 v21, 0
	v_mov_b32_e32 v23, 0
	s_and_saveexec_b64 s[2:3], vcc
	s_cbranch_execz .LBB587_521
; %bb.516:
	v_lshrrev_b32_e32 v18, 24, v10
	s_movk_i32 s7, 0x80
	v_cmp_ne_u32_e32 vcc, s7, v18
	v_bfrev_b32_e32 v23, 1
	s_and_saveexec_b64 s[8:9], vcc
	s_cbranch_execz .LBB587_520
; %bb.517:
	v_bfe_u32 v10, v10, 24, 7
	s_movk_i32 s7, 0x7f
	v_cmp_ne_u32_e32 vcc, s7, v10
	v_mov_b32_e32 v23, 0x7f800001
	s_and_saveexec_b64 s[10:11], vcc
	s_cbranch_execz .LBB587_519
; %bb.518:
	v_and_b32_e32 v23, 7, v18
	v_ffbh_u32_e32 v27, v23
	v_min_u32_e32 v27, 32, v27
	v_subrev_u32_e32 v28, 28, v27
	v_lshlrev_b64 v[28:29], v28, v[18:19]
	v_lshrrev_b32_e32 v25, 3, v10
	v_sub_u32_e32 v27, 29, v27
	v_and_b32_e32 v28, 7, v28
	v_cmp_gt_u32_e32 vcc, 8, v10
	v_cndmask_b32_e32 v10, v25, v27, vcc
	v_cndmask_b32_e32 v23, v23, v28, vcc
	v_lshlrev_b32_e32 v18, 24, v18
	v_bfrev_b32_e32 v25, 60
	v_lshlrev_b32_e32 v23, 20, v23
	v_and_b32_e32 v18, 0x80000000, v18
	v_lshl_add_u32 v10, v10, 23, v25
	v_or3_b32 v23, v18, v10, v23
.LBB587_519:
	s_or_b64 exec, exec, s[10:11]
.LBB587_520:
	s_or_b64 exec, exec, s[8:9]
.LBB587_521:
	s_or_b64 exec, exec, s[2:3]
	v_cmp_ne_u16_sdwa s[8:9], v11, v21 src0_sel:BYTE_0 src1_sel:DWORD
	s_and_saveexec_b64 s[2:3], s[8:9]
	s_cbranch_execz .LBB587_527
; %bb.522:
	s_movk_i32 s7, 0x80
	v_cmp_ne_u16_sdwa s[10:11], v11, s7 src0_sel:BYTE_0 src1_sel:DWORD
	v_bfrev_b32_e32 v21, 1
	s_and_saveexec_b64 s[8:9], s[10:11]
	s_cbranch_execz .LBB587_526
; %bb.523:
	s_movk_i32 s7, 0x7f
	v_and_b32_e32 v10, 0x7f, v11
	v_cmp_ne_u32_e32 vcc, s7, v10
	v_mov_b32_e32 v21, 0x7f800001
	s_and_saveexec_b64 s[10:11], vcc
	s_cbranch_execz .LBB587_525
; %bb.524:
	v_and_b32_e32 v21, 7, v11
	v_ffbh_u32_e32 v27, v21
	v_min_u32_e32 v27, 32, v27
	v_mov_b32_e32 v18, v11
	v_subrev_u32_e32 v28, 28, v27
	v_lshlrev_b64 v[28:29], v28, v[18:19]
	v_lshrrev_b32_e32 v25, 3, v10
	v_sub_u32_e32 v18, 29, v27
	v_and_b32_e32 v27, 7, v28
	v_cmp_gt_u32_e32 vcc, 8, v10
	v_cndmask_b32_e32 v10, v25, v18, vcc
	v_cndmask_b32_e32 v18, v21, v27, vcc
	v_lshlrev_b32_e32 v21, 24, v11
	v_bfrev_b32_e32 v25, 60
	v_lshlrev_b32_e32 v18, 20, v18
	v_and_b32_e32 v21, 0x80000000, v21
	v_lshl_add_u32 v10, v10, 23, v25
	v_or3_b32 v21, v21, v10, v18
.LBB587_525:
	s_or_b64 exec, exec, s[10:11]
.LBB587_526:
	s_or_b64 exec, exec, s[8:9]
.LBB587_527:
	s_or_b64 exec, exec, s[2:3]
	v_lshrrev_b16_e32 v10, 8, v11
	v_cmp_ne_u16_e32 vcc, 0, v10
	v_mov_b32_e32 v25, 0
	v_mov_b32_e32 v27, 0
	s_and_saveexec_b64 s[2:3], vcc
	s_cbranch_execz .LBB587_533
; %bb.528:
	s_movk_i32 s7, 0x80
	v_cmp_ne_u16_e32 vcc, s7, v10
	v_bfrev_b32_e32 v27, 1
	s_and_saveexec_b64 s[8:9], vcc
	s_cbranch_execz .LBB587_532
; %bb.529:
	s_movk_i32 s7, 0x7f
	v_and_b32_e32 v18, 0x7f, v10
	v_cmp_ne_u32_e32 vcc, s7, v18
	v_mov_b32_e32 v27, 0x7f800001
	s_and_saveexec_b64 s[10:11], vcc
	s_cbranch_execz .LBB587_531
; %bb.530:
	v_and_b32_e32 v27, 7, v10
	v_ffbh_u32_e32 v28, v27
	v_min_u32_e32 v31, 32, v28
	v_subrev_u32_e32 v28, 28, v31
	v_lshlrev_b64 v[28:29], v28, v[10:11]
	v_lshrrev_b32_e32 v30, 3, v18
	v_sub_u32_e32 v10, 29, v31
	v_and_b32_e32 v28, 7, v28
	v_cmp_gt_u32_e32 vcc, 8, v18
	v_cndmask_b32_e32 v10, v30, v10, vcc
	v_cndmask_b32_e32 v18, v27, v28, vcc
	v_lshlrev_b32_e32 v27, 16, v11
	v_bfrev_b32_e32 v28, 60
	v_lshlrev_b32_e32 v18, 20, v18
	v_and_b32_e32 v27, 0x80000000, v27
	v_lshl_add_u32 v10, v10, 23, v28
	v_or3_b32 v27, v27, v10, v18
.LBB587_531:
	s_or_b64 exec, exec, s[10:11]
.LBB587_532:
	s_or_b64 exec, exec, s[8:9]
.LBB587_533:
	s_or_b64 exec, exec, s[2:3]
	s_movk_i32 s2, 0xff
	v_and_b32_sdwa v18, v11, s2 dst_sel:DWORD dst_unused:UNUSED_PAD src0_sel:WORD_1 src1_sel:DWORD
	v_lshrrev_b32_e32 v10, 16, v11
	v_cmp_ne_u16_e32 vcc, 0, v18
	s_and_saveexec_b64 s[2:3], vcc
	s_cbranch_execz .LBB587_539
; %bb.534:
	s_movk_i32 s7, 0x80
	v_cmp_ne_u16_e32 vcc, s7, v18
	v_bfrev_b32_e32 v25, 1
	s_and_saveexec_b64 s[8:9], vcc
	s_cbranch_execz .LBB587_538
; %bb.535:
	v_bfe_u32 v18, v11, 16, 7
	s_movk_i32 s7, 0x7f
	v_cmp_ne_u32_e32 vcc, s7, v18
	v_mov_b32_e32 v25, 0x7f800001
	s_and_saveexec_b64 s[10:11], vcc
	s_cbranch_execz .LBB587_537
; %bb.536:
	v_and_b32_e32 v25, 7, v10
	v_ffbh_u32_e32 v28, v25
	v_min_u32_e32 v31, 32, v28
	v_subrev_u32_e32 v28, 28, v31
	v_lshlrev_b64 v[28:29], v28, v[10:11]
	v_and_b32_e32 v28, 7, v28
	v_cmp_gt_u32_e32 vcc, 8, v18
	v_lshrrev_b32_e32 v30, 3, v18
	v_sub_u32_e32 v10, 29, v31
	v_cndmask_b32_e32 v18, v25, v28, vcc
	v_mov_b32_e32 v25, 24
	v_cndmask_b32_e32 v10, v30, v10, vcc
	v_lshlrev_b32_sdwa v25, v25, v11 dst_sel:DWORD dst_unused:UNUSED_PAD src0_sel:DWORD src1_sel:WORD_1
	v_bfrev_b32_e32 v28, 60
	v_lshlrev_b32_e32 v18, 20, v18
	v_and_b32_e32 v25, 0x80000000, v25
	v_lshl_add_u32 v10, v10, 23, v28
	v_or3_b32 v25, v25, v10, v18
.LBB587_537:
	s_or_b64 exec, exec, s[10:11]
.LBB587_538:
	s_or_b64 exec, exec, s[8:9]
.LBB587_539:
	s_or_b64 exec, exec, s[2:3]
	s_mov_b32 s2, 0xffffff
	v_cmp_lt_u32_e32 vcc, s2, v11
	v_mov_b32_e32 v18, 0
	v_mov_b32_e32 v28, 0
	s_and_saveexec_b64 s[2:3], vcc
	s_cbranch_execz .LBB587_545
; %bb.540:
	v_lshrrev_b32_e32 v10, 24, v11
	s_movk_i32 s7, 0x80
	v_cmp_ne_u32_e32 vcc, s7, v10
	v_bfrev_b32_e32 v28, 1
	s_and_saveexec_b64 s[8:9], vcc
	s_cbranch_execz .LBB587_544
; %bb.541:
	v_bfe_u32 v11, v11, 24, 7
	s_movk_i32 s7, 0x7f
	v_cmp_ne_u32_e32 vcc, s7, v11
	v_mov_b32_e32 v28, 0x7f800001
	s_and_saveexec_b64 s[10:11], vcc
	s_cbranch_execz .LBB587_543
; %bb.542:
	v_and_b32_e32 v30, 7, v10
	v_ffbh_u32_e32 v28, v30
	v_min_u32_e32 v32, 32, v28
	v_subrev_u32_e32 v28, 28, v32
	v_lshlrev_b64 v[28:29], v28, v[10:11]
	v_lshrrev_b32_e32 v31, 3, v11
	v_sub_u32_e32 v29, 29, v32
	v_and_b32_e32 v28, 7, v28
	v_cmp_gt_u32_e32 vcc, 8, v11
	v_cndmask_b32_e32 v11, v31, v29, vcc
	v_cndmask_b32_e32 v28, v30, v28, vcc
	v_lshlrev_b32_e32 v10, 24, v10
	v_bfrev_b32_e32 v29, 60
	v_lshlrev_b32_e32 v28, 20, v28
	v_and_b32_e32 v10, 0x80000000, v10
	v_lshl_add_u32 v11, v11, 23, v29
	v_or3_b32 v28, v10, v11, v28
.LBB587_543:
	s_or_b64 exec, exec, s[10:11]
.LBB587_544:
	s_or_b64 exec, exec, s[8:9]
.LBB587_545:
	s_or_b64 exec, exec, s[2:3]
	v_cvt_pkrtz_f16_f32 v10, v24, v20
	v_cvt_pkrtz_f16_f32 v11, v19, v23
	ds_read_b128 v[30:33], v22 offset:2048
	v_cmp_ne_u16_sdwa s[8:9], v12, v18 src0_sel:BYTE_0 src1_sel:DWORD
	s_waitcnt lgkmcnt(0)
	v_mfma_f32_16x16x16f16 v[14:17], v[10:11], v[30:31], v[14:17]
	v_cvt_pkrtz_f16_f32 v10, v21, v27
	v_cvt_pkrtz_f16_f32 v11, v25, v28
	s_nop 1
	v_mfma_f32_16x16x16f16 v[14:17], v[10:11], v[32:33], v[14:17]
	s_and_saveexec_b64 s[2:3], s[8:9]
	s_cbranch_execz .LBB587_551
; %bb.546:
	s_movk_i32 s7, 0x80
	v_cmp_ne_u16_sdwa s[10:11], v12, s7 src0_sel:BYTE_0 src1_sel:DWORD
	v_bfrev_b32_e32 v18, 1
	s_and_saveexec_b64 s[8:9], s[10:11]
	s_cbranch_execz .LBB587_550
; %bb.547:
	s_movk_i32 s7, 0x7f
	v_and_b32_e32 v10, 0x7f, v12
	v_cmp_ne_u32_e32 vcc, s7, v10
	v_mov_b32_e32 v18, 0x7f800001
	s_and_saveexec_b64 s[10:11], vcc
	s_cbranch_execz .LBB587_549
; %bb.548:
	v_and_b32_e32 v11, 7, v12
	v_ffbh_u32_e32 v18, v11
	v_min_u32_e32 v21, 32, v18
	v_subrev_u32_e32 v18, 28, v21
	v_lshlrev_b64 v[18:19], v18, v[12:13]
	v_lshrrev_b32_e32 v20, 3, v10
	v_sub_u32_e32 v19, 29, v21
	v_and_b32_e32 v18, 7, v18
	v_cmp_gt_u32_e32 vcc, 8, v10
	v_cndmask_b32_e32 v10, v20, v19, vcc
	v_cndmask_b32_e32 v11, v11, v18, vcc
	v_lshlrev_b32_e32 v18, 24, v12
	v_bfrev_b32_e32 v19, 60
	v_lshlrev_b32_e32 v11, 20, v11
	v_and_b32_e32 v18, 0x80000000, v18
	v_lshl_add_u32 v10, v10, 23, v19
	v_or3_b32 v18, v18, v10, v11
.LBB587_549:
	s_or_b64 exec, exec, s[10:11]
.LBB587_550:
	s_or_b64 exec, exec, s[8:9]
.LBB587_551:
	s_or_b64 exec, exec, s[2:3]
	v_lshrrev_b16_e32 v10, 8, v12
	v_cmp_ne_u16_e32 vcc, 0, v10
	v_mov_b32_e32 v11, 0
	v_mov_b32_e32 v20, 0
	s_and_saveexec_b64 s[2:3], vcc
	s_cbranch_execz .LBB587_557
; %bb.552:
	s_movk_i32 s7, 0x80
	v_cmp_ne_u16_e32 vcc, s7, v10
	v_bfrev_b32_e32 v20, 1
	s_and_saveexec_b64 s[8:9], vcc
	s_cbranch_execz .LBB587_556
; %bb.553:
	s_movk_i32 s7, 0x7f
	v_and_b32_e32 v19, 0x7f, v10
	v_cmp_ne_u32_e32 vcc, s7, v19
	v_mov_b32_e32 v20, 0x7f800001
	s_and_saveexec_b64 s[10:11], vcc
	s_cbranch_execz .LBB587_555
; %bb.554:
	v_and_b32_e32 v23, 7, v10
	v_ffbh_u32_e32 v20, v23
	v_min_u32_e32 v25, 32, v20
	v_subrev_u32_e32 v20, 28, v25
	v_lshlrev_b64 v[20:21], v20, v[10:11]
	v_lshrrev_b32_e32 v24, 3, v19
	v_sub_u32_e32 v10, 29, v25
	v_and_b32_e32 v20, 7, v20
	v_cmp_gt_u32_e32 vcc, 8, v19
	v_cndmask_b32_e32 v10, v24, v10, vcc
	v_cndmask_b32_e32 v19, v23, v20, vcc
	v_lshlrev_b32_e32 v20, 16, v12
	v_bfrev_b32_e32 v21, 60
	v_lshlrev_b32_e32 v19, 20, v19
	v_and_b32_e32 v20, 0x80000000, v20
	v_lshl_add_u32 v10, v10, 23, v21
	v_or3_b32 v20, v20, v10, v19
.LBB587_555:
	s_or_b64 exec, exec, s[10:11]
.LBB587_556:
	s_or_b64 exec, exec, s[8:9]
.LBB587_557:
	s_or_b64 exec, exec, s[2:3]
	s_movk_i32 s2, 0xff
	v_and_b32_sdwa v19, v12, s2 dst_sel:DWORD dst_unused:UNUSED_PAD src0_sel:WORD_1 src1_sel:DWORD
	v_lshrrev_b32_e32 v10, 16, v12
	v_cmp_ne_u16_e32 vcc, 0, v19
	s_and_saveexec_b64 s[2:3], vcc
	s_cbranch_execz .LBB587_563
; %bb.558:
	s_movk_i32 s7, 0x80
	v_cmp_ne_u16_e32 vcc, s7, v19
	v_bfrev_b32_e32 v11, 1
	s_and_saveexec_b64 s[8:9], vcc
	s_cbranch_execz .LBB587_562
; %bb.559:
	v_bfe_u32 v19, v12, 16, 7
	s_movk_i32 s7, 0x7f
	v_cmp_ne_u32_e32 vcc, s7, v19
	v_mov_b32_e32 v11, 0x7f800001
	s_and_saveexec_b64 s[10:11], vcc
	s_cbranch_execz .LBB587_561
; %bb.560:
	v_and_b32_e32 v21, 7, v10
	v_ffbh_u32_e32 v11, v21
	v_min_u32_e32 v24, 32, v11
	v_subrev_u32_e32 v11, 28, v24
	v_lshlrev_b64 v[10:11], v11, v[10:11]
	v_lshrrev_b32_e32 v23, 3, v19
	v_sub_u32_e32 v11, 29, v24
	v_and_b32_e32 v10, 7, v10
	v_cmp_gt_u32_e32 vcc, 8, v19
	v_mov_b32_e32 v19, 24
	v_cndmask_b32_e32 v11, v23, v11, vcc
	v_cndmask_b32_e32 v10, v21, v10, vcc
	v_lshlrev_b32_sdwa v19, v19, v12 dst_sel:DWORD dst_unused:UNUSED_PAD src0_sel:DWORD src1_sel:WORD_1
	v_bfrev_b32_e32 v21, 60
	v_lshlrev_b32_e32 v10, 20, v10
	v_and_b32_e32 v19, 0x80000000, v19
	v_lshl_add_u32 v11, v11, 23, v21
	v_or3_b32 v11, v19, v11, v10
.LBB587_561:
	s_or_b64 exec, exec, s[10:11]
.LBB587_562:
	s_or_b64 exec, exec, s[8:9]
.LBB587_563:
	s_or_b64 exec, exec, s[2:3]
	s_mov_b32 s2, 0xffffff
	v_cmp_lt_u32_e32 vcc, s2, v12
	v_mov_b32_e32 v21, 0
	v_mov_b32_e32 v23, 0
	s_and_saveexec_b64 s[2:3], vcc
	s_cbranch_execz .LBB587_569
; %bb.564:
	v_lshrrev_b32_e32 v10, 24, v12
	s_movk_i32 s7, 0x80
	v_cmp_ne_u32_e32 vcc, s7, v10
	v_bfrev_b32_e32 v23, 1
	s_and_saveexec_b64 s[8:9], vcc
	s_cbranch_execz .LBB587_568
; %bb.565:
	v_bfe_u32 v12, v12, 24, 7
	s_movk_i32 s7, 0x7f
	v_cmp_ne_u32_e32 vcc, s7, v12
	v_mov_b32_e32 v23, 0x7f800001
	s_and_saveexec_b64 s[10:11], vcc
	s_cbranch_execz .LBB587_567
; %bb.566:
	v_and_b32_e32 v19, 7, v10
	v_ffbh_u32_e32 v24, v19
	v_min_u32_e32 v27, 32, v24
	v_subrev_u32_e32 v24, 28, v27
	v_lshlrev_b64 v[24:25], v24, v[10:11]
	v_lshrrev_b32_e32 v23, 3, v12
	v_sub_u32_e32 v25, 29, v27
	v_and_b32_e32 v24, 7, v24
	v_cmp_gt_u32_e32 vcc, 8, v12
	v_cndmask_b32_e32 v12, v23, v25, vcc
	v_cndmask_b32_e32 v19, v19, v24, vcc
	v_lshlrev_b32_e32 v10, 24, v10
	v_bfrev_b32_e32 v23, 60
	v_lshlrev_b32_e32 v19, 20, v19
	v_and_b32_e32 v10, 0x80000000, v10
	v_lshl_add_u32 v12, v12, 23, v23
	v_or3_b32 v23, v10, v12, v19
.LBB587_567:
	s_or_b64 exec, exec, s[10:11]
.LBB587_568:
	s_or_b64 exec, exec, s[8:9]
.LBB587_569:
	s_or_b64 exec, exec, s[2:3]
	v_cmp_ne_u16_sdwa s[8:9], v13, v21 src0_sel:BYTE_0 src1_sel:DWORD
	s_and_saveexec_b64 s[2:3], s[8:9]
	s_cbranch_execz .LBB587_575
; %bb.570:
	s_movk_i32 s7, 0x80
	v_cmp_ne_u16_sdwa s[10:11], v13, s7 src0_sel:BYTE_0 src1_sel:DWORD
	v_bfrev_b32_e32 v21, 1
	s_and_saveexec_b64 s[8:9], s[10:11]
	s_cbranch_execz .LBB587_574
; %bb.571:
	s_movk_i32 s7, 0x7f
	v_and_b32_e32 v10, 0x7f, v13
	v_cmp_ne_u32_e32 vcc, s7, v10
	v_mov_b32_e32 v21, 0x7f800001
	s_and_saveexec_b64 s[10:11], vcc
	s_cbranch_execz .LBB587_573
; %bb.572:
	v_and_b32_e32 v19, 7, v13
	v_ffbh_u32_e32 v24, v19
	v_min_u32_e32 v27, 32, v24
	v_mov_b32_e32 v12, v13
	v_subrev_u32_e32 v24, 28, v27
	v_lshlrev_b64 v[24:25], v24, v[12:13]
	v_lshrrev_b32_e32 v21, 3, v10
	v_sub_u32_e32 v12, 29, v27
	v_and_b32_e32 v24, 7, v24
	v_cmp_gt_u32_e32 vcc, 8, v10
	v_cndmask_b32_e32 v10, v21, v12, vcc
	v_cndmask_b32_e32 v12, v19, v24, vcc
	v_lshlrev_b32_e32 v19, 24, v13
	v_bfrev_b32_e32 v21, 60
	v_lshlrev_b32_e32 v12, 20, v12
	v_and_b32_e32 v19, 0x80000000, v19
	v_lshl_add_u32 v10, v10, 23, v21
	v_or3_b32 v21, v19, v10, v12
.LBB587_573:
	s_or_b64 exec, exec, s[10:11]
.LBB587_574:
	s_or_b64 exec, exec, s[8:9]
.LBB587_575:
	s_or_b64 exec, exec, s[2:3]
	v_lshrrev_b16_e32 v10, 8, v13
	v_cmp_ne_u16_e32 vcc, 0, v10
	v_mov_b32_e32 v12, 0
	v_mov_b32_e32 v24, 0
	s_and_saveexec_b64 s[2:3], vcc
	s_cbranch_execz .LBB587_581
; %bb.576:
	s_movk_i32 s7, 0x80
	v_cmp_ne_u16_e32 vcc, s7, v10
	v_bfrev_b32_e32 v24, 1
	s_and_saveexec_b64 s[8:9], vcc
	s_cbranch_execz .LBB587_580
; %bb.577:
	s_movk_i32 s7, 0x7f
	v_and_b32_e32 v19, 0x7f, v10
	v_cmp_ne_u32_e32 vcc, s7, v19
	v_mov_b32_e32 v24, 0x7f800001
	s_and_saveexec_b64 s[10:11], vcc
	s_cbranch_execz .LBB587_579
; %bb.578:
	v_and_b32_e32 v27, 7, v10
	v_ffbh_u32_e32 v24, v27
	v_min_u32_e32 v29, 32, v24
	v_subrev_u32_e32 v24, 28, v29
	v_lshlrev_b64 v[24:25], v24, v[10:11]
	v_lshrrev_b32_e32 v28, 3, v19
	v_sub_u32_e32 v10, 29, v29
	v_and_b32_e32 v24, 7, v24
	v_cmp_gt_u32_e32 vcc, 8, v19
	v_cndmask_b32_e32 v10, v28, v10, vcc
	v_cndmask_b32_e32 v19, v27, v24, vcc
	v_lshlrev_b32_e32 v24, 16, v13
	v_bfrev_b32_e32 v25, 60
	v_lshlrev_b32_e32 v19, 20, v19
	v_and_b32_e32 v24, 0x80000000, v24
	v_lshl_add_u32 v10, v10, 23, v25
	v_or3_b32 v24, v24, v10, v19
.LBB587_579:
	s_or_b64 exec, exec, s[10:11]
.LBB587_580:
	s_or_b64 exec, exec, s[8:9]
.LBB587_581:
	s_or_b64 exec, exec, s[2:3]
	s_movk_i32 s2, 0xff
	v_and_b32_sdwa v19, v13, s2 dst_sel:DWORD dst_unused:UNUSED_PAD src0_sel:WORD_1 src1_sel:DWORD
	v_lshrrev_b32_e32 v10, 16, v13
	v_cmp_ne_u16_e32 vcc, 0, v19
	s_and_saveexec_b64 s[2:3], vcc
	s_cbranch_execz .LBB587_587
; %bb.582:
	s_movk_i32 s7, 0x80
	v_cmp_ne_u16_e32 vcc, s7, v19
	v_bfrev_b32_e32 v12, 1
	s_and_saveexec_b64 s[8:9], vcc
	s_cbranch_execz .LBB587_586
; %bb.583:
	v_bfe_u32 v19, v13, 16, 7
	s_movk_i32 s7, 0x7f
	v_cmp_ne_u32_e32 vcc, s7, v19
	v_mov_b32_e32 v12, 0x7f800001
	s_and_saveexec_b64 s[10:11], vcc
	s_cbranch_execz .LBB587_585
; %bb.584:
	v_and_b32_e32 v12, 7, v10
	v_ffbh_u32_e32 v27, v12
	v_min_u32_e32 v27, 32, v27
	v_subrev_u32_e32 v28, 28, v27
	v_lshlrev_b64 v[28:29], v28, v[10:11]
	v_lshrrev_b32_e32 v25, 3, v19
	v_sub_u32_e32 v10, 29, v27
	v_and_b32_e32 v27, 7, v28
	v_cmp_gt_u32_e32 vcc, 8, v19
	v_mov_b32_e32 v19, 24
	v_cndmask_b32_e32 v10, v25, v10, vcc
	v_cndmask_b32_e32 v12, v12, v27, vcc
	v_lshlrev_b32_sdwa v19, v19, v13 dst_sel:DWORD dst_unused:UNUSED_PAD src0_sel:DWORD src1_sel:WORD_1
	v_bfrev_b32_e32 v25, 60
	v_lshlrev_b32_e32 v12, 20, v12
	v_and_b32_e32 v19, 0x80000000, v19
	v_lshl_add_u32 v10, v10, 23, v25
	v_or3_b32 v12, v19, v10, v12
.LBB587_585:
	s_or_b64 exec, exec, s[10:11]
.LBB587_586:
	s_or_b64 exec, exec, s[8:9]
.LBB587_587:
	s_or_b64 exec, exec, s[2:3]
	s_mov_b32 s2, 0xffffff
	v_cmp_lt_u32_e32 vcc, s2, v13
	v_mov_b32_e32 v19, 0
	v_mov_b32_e32 v25, 0
	s_and_saveexec_b64 s[2:3], vcc
	s_cbranch_execz .LBB587_593
; %bb.588:
	v_lshrrev_b32_e32 v10, 24, v13
	s_movk_i32 s7, 0x80
	v_cmp_ne_u32_e32 vcc, s7, v10
	v_bfrev_b32_e32 v25, 1
	s_and_saveexec_b64 s[8:9], vcc
	s_cbranch_execz .LBB587_592
; %bb.589:
	v_bfe_u32 v13, v13, 24, 7
	s_movk_i32 s7, 0x7f
	v_cmp_ne_u32_e32 vcc, s7, v13
	v_mov_b32_e32 v25, 0x7f800001
	s_and_saveexec_b64 s[10:11], vcc
	s_cbranch_execz .LBB587_591
; %bb.590:
	v_and_b32_e32 v25, 7, v10
	v_ffbh_u32_e32 v28, v25
	v_min_u32_e32 v30, 32, v28
	v_subrev_u32_e32 v28, 28, v30
	v_lshlrev_b64 v[28:29], v28, v[10:11]
	v_lshrrev_b32_e32 v27, 3, v13
	v_sub_u32_e32 v29, 29, v30
	v_and_b32_e32 v28, 7, v28
	v_cmp_gt_u32_e32 vcc, 8, v13
	v_cndmask_b32_e32 v13, v27, v29, vcc
	v_cndmask_b32_e32 v25, v25, v28, vcc
	v_lshlrev_b32_e32 v10, 24, v10
	v_bfrev_b32_e32 v27, 60
	v_lshlrev_b32_e32 v25, 20, v25
	v_and_b32_e32 v10, 0x80000000, v10
	v_lshl_add_u32 v13, v13, 23, v27
	v_or3_b32 v25, v10, v13, v25
.LBB587_591:
	s_or_b64 exec, exec, s[10:11]
.LBB587_592:
	s_or_b64 exec, exec, s[8:9]
.LBB587_593:
	s_or_b64 exec, exec, s[2:3]
	v_cvt_pkrtz_f16_f32 v10, v18, v20
	v_cvt_pkrtz_f16_f32 v11, v11, v23
	ds_read_b128 v[28:31], v22 offset:2064
	s_waitcnt vmcnt(1)
	v_cmp_ne_u16_sdwa s[8:9], v6, v19 src0_sel:BYTE_0 src1_sel:DWORD
	s_waitcnt lgkmcnt(0)
	v_mfma_f32_16x16x16f16 v[14:17], v[10:11], v[28:29], v[14:17]
	v_cvt_pkrtz_f16_f32 v10, v21, v24
	v_cvt_pkrtz_f16_f32 v11, v12, v25
	s_nop 1
	v_mfma_f32_16x16x16f16 v[10:13], v[10:11], v[30:31], v[14:17]
	s_and_saveexec_b64 s[2:3], s[8:9]
	s_cbranch_execz .LBB587_599
; %bb.594:
	s_movk_i32 s7, 0x80
	v_cmp_ne_u16_sdwa s[10:11], v6, s7 src0_sel:BYTE_0 src1_sel:DWORD
	v_bfrev_b32_e32 v19, 1
	s_and_saveexec_b64 s[8:9], s[10:11]
	s_cbranch_execz .LBB587_598
; %bb.595:
	s_movk_i32 s7, 0x7f
	v_and_b32_e32 v14, 0x7f, v6
	v_cmp_ne_u32_e32 vcc, s7, v14
	v_mov_b32_e32 v19, 0x7f800001
	s_and_saveexec_b64 s[10:11], vcc
	s_cbranch_execz .LBB587_597
; %bb.596:
	v_and_b32_e32 v15, 7, v6
	v_ffbh_u32_e32 v16, v15
	v_min_u32_e32 v19, 32, v16
	v_subrev_u32_e32 v16, 28, v19
	v_lshlrev_b64 v[16:17], v16, v[6:7]
	v_lshrrev_b32_e32 v18, 3, v14
	v_sub_u32_e32 v17, 29, v19
	v_and_b32_e32 v16, 7, v16
	v_cmp_gt_u32_e32 vcc, 8, v14
	v_cndmask_b32_e32 v14, v18, v17, vcc
	v_cndmask_b32_e32 v15, v15, v16, vcc
	v_lshlrev_b32_e32 v16, 24, v6
	v_bfrev_b32_e32 v17, 60
	v_lshlrev_b32_e32 v15, 20, v15
	v_and_b32_e32 v16, 0x80000000, v16
	v_lshl_add_u32 v14, v14, 23, v17
	v_or3_b32 v19, v16, v14, v15
.LBB587_597:
	s_or_b64 exec, exec, s[10:11]
.LBB587_598:
	s_or_b64 exec, exec, s[8:9]
.LBB587_599:
	s_or_b64 exec, exec, s[2:3]
	s_nop 3
	v_lshrrev_b16_e32 v14, 8, v6
	v_cmp_ne_u16_e32 vcc, 0, v14
	v_mov_b32_e32 v15, 0
	v_mov_b32_e32 v16, 0
	s_and_saveexec_b64 s[2:3], vcc
	s_cbranch_execz .LBB587_605
; %bb.600:
	s_movk_i32 s7, 0x80
	v_cmp_ne_u16_e32 vcc, s7, v14
	v_bfrev_b32_e32 v16, 1
	s_and_saveexec_b64 s[8:9], vcc
	s_cbranch_execz .LBB587_604
; %bb.601:
	s_movk_i32 s7, 0x7f
	v_and_b32_e32 v17, 0x7f, v14
	v_cmp_ne_u32_e32 vcc, s7, v17
	v_mov_b32_e32 v16, 0x7f800001
	s_and_saveexec_b64 s[10:11], vcc
	s_cbranch_execz .LBB587_603
; %bb.602:
	v_and_b32_e32 v16, 7, v14
	v_ffbh_u32_e32 v20, v16
	v_min_u32_e32 v23, 32, v20
	v_subrev_u32_e32 v20, 28, v23
	v_lshlrev_b64 v[20:21], v20, v[14:15]
	v_lshrrev_b32_e32 v18, 3, v17
	v_sub_u32_e32 v14, 29, v23
	v_and_b32_e32 v20, 7, v20
	v_cmp_gt_u32_e32 vcc, 8, v17
	v_cndmask_b32_e32 v14, v18, v14, vcc
	v_cndmask_b32_e32 v16, v16, v20, vcc
	v_lshlrev_b32_e32 v17, 16, v6
	v_bfrev_b32_e32 v18, 60
	v_lshlrev_b32_e32 v16, 20, v16
	v_and_b32_e32 v17, 0x80000000, v17
	v_lshl_add_u32 v14, v14, 23, v18
	v_or3_b32 v16, v17, v14, v16
.LBB587_603:
	s_or_b64 exec, exec, s[10:11]
.LBB587_604:
	s_or_b64 exec, exec, s[8:9]
.LBB587_605:
	s_or_b64 exec, exec, s[2:3]
	s_movk_i32 s2, 0xff
	v_and_b32_sdwa v17, v6, s2 dst_sel:DWORD dst_unused:UNUSED_PAD src0_sel:WORD_1 src1_sel:DWORD
	v_lshrrev_b32_e32 v14, 16, v6
	v_cmp_ne_u16_e32 vcc, 0, v17
	s_and_saveexec_b64 s[2:3], vcc
	s_cbranch_execz .LBB587_611
; %bb.606:
	s_movk_i32 s7, 0x80
	v_cmp_ne_u16_e32 vcc, s7, v17
	v_bfrev_b32_e32 v15, 1
	s_and_saveexec_b64 s[8:9], vcc
	s_cbranch_execz .LBB587_610
; %bb.607:
	v_bfe_u32 v17, v6, 16, 7
	s_movk_i32 s7, 0x7f
	v_cmp_ne_u32_e32 vcc, s7, v17
	v_mov_b32_e32 v15, 0x7f800001
	s_and_saveexec_b64 s[10:11], vcc
	s_cbranch_execz .LBB587_609
; %bb.608:
	v_and_b32_e32 v18, 7, v14
	v_ffbh_u32_e32 v15, v18
	v_min_u32_e32 v21, 32, v15
	v_subrev_u32_e32 v15, 28, v21
	v_lshlrev_b64 v[14:15], v15, v[14:15]
	v_lshrrev_b32_e32 v20, 3, v17
	v_sub_u32_e32 v15, 29, v21
	v_and_b32_e32 v14, 7, v14
	v_cmp_gt_u32_e32 vcc, 8, v17
	v_mov_b32_e32 v17, 24
	v_cndmask_b32_e32 v15, v20, v15, vcc
	v_cndmask_b32_e32 v14, v18, v14, vcc
	v_lshlrev_b32_sdwa v17, v17, v6 dst_sel:DWORD dst_unused:UNUSED_PAD src0_sel:DWORD src1_sel:WORD_1
	v_bfrev_b32_e32 v18, 60
	v_lshlrev_b32_e32 v14, 20, v14
	v_and_b32_e32 v17, 0x80000000, v17
	v_lshl_add_u32 v15, v15, 23, v18
	v_or3_b32 v15, v17, v15, v14
.LBB587_609:
	s_or_b64 exec, exec, s[10:11]
.LBB587_610:
	s_or_b64 exec, exec, s[8:9]
.LBB587_611:
	s_or_b64 exec, exec, s[2:3]
	s_mov_b32 s2, 0xffffff
	v_cmp_lt_u32_e32 vcc, s2, v6
	v_mov_b32_e32 v17, 0
	v_mov_b32_e32 v18, 0
	s_and_saveexec_b64 s[2:3], vcc
	s_cbranch_execz .LBB587_617
; %bb.612:
	v_lshrrev_b32_e32 v14, 24, v6
	s_movk_i32 s7, 0x80
	v_cmp_ne_u32_e32 vcc, s7, v14
	v_bfrev_b32_e32 v18, 1
	s_and_saveexec_b64 s[8:9], vcc
	s_cbranch_execz .LBB587_616
; %bb.613:
	v_bfe_u32 v6, v6, 24, 7
	s_movk_i32 s7, 0x7f
	v_cmp_ne_u32_e32 vcc, s7, v6
	v_mov_b32_e32 v18, 0x7f800001
	s_and_saveexec_b64 s[10:11], vcc
	s_cbranch_execz .LBB587_615
; %bb.614:
	v_and_b32_e32 v18, 7, v14
	v_ffbh_u32_e32 v20, v18
	v_min_u32_e32 v24, 32, v20
	v_subrev_u32_e32 v20, 28, v24
	v_lshlrev_b64 v[20:21], v20, v[14:15]
	v_lshrrev_b32_e32 v23, 3, v6
	v_sub_u32_e32 v21, 29, v24
	v_and_b32_e32 v20, 7, v20
	v_cmp_gt_u32_e32 vcc, 8, v6
	v_cndmask_b32_e32 v6, v23, v21, vcc
	v_cndmask_b32_e32 v18, v18, v20, vcc
	v_lshlrev_b32_e32 v14, 24, v14
	v_bfrev_b32_e32 v20, 60
	v_lshlrev_b32_e32 v18, 20, v18
	v_and_b32_e32 v14, 0x80000000, v14
	v_lshl_add_u32 v6, v6, 23, v20
	v_or3_b32 v18, v14, v6, v18
.LBB587_615:
	s_or_b64 exec, exec, s[10:11]
.LBB587_616:
	s_or_b64 exec, exec, s[8:9]
.LBB587_617:
	s_or_b64 exec, exec, s[2:3]
	v_cmp_ne_u16_sdwa s[8:9], v7, v17 src0_sel:BYTE_0 src1_sel:DWORD
	s_and_saveexec_b64 s[2:3], s[8:9]
	s_cbranch_execz .LBB587_623
; %bb.618:
	s_movk_i32 s7, 0x80
	v_cmp_ne_u16_sdwa s[10:11], v7, s7 src0_sel:BYTE_0 src1_sel:DWORD
	v_bfrev_b32_e32 v17, 1
	s_and_saveexec_b64 s[8:9], s[10:11]
	s_cbranch_execz .LBB587_622
; %bb.619:
	s_movk_i32 s7, 0x7f
	v_and_b32_e32 v6, 0x7f, v7
	v_cmp_ne_u32_e32 vcc, s7, v6
	v_mov_b32_e32 v17, 0x7f800001
	s_and_saveexec_b64 s[10:11], vcc
	s_cbranch_execz .LBB587_621
; %bb.620:
	v_and_b32_e32 v17, 7, v7
	v_ffbh_u32_e32 v20, v17
	v_min_u32_e32 v24, 32, v20
	v_mov_b32_e32 v14, v7
	v_subrev_u32_e32 v20, 28, v24
	v_lshlrev_b64 v[20:21], v20, v[14:15]
	v_lshrrev_b32_e32 v23, 3, v6
	v_sub_u32_e32 v14, 29, v24
	v_and_b32_e32 v20, 7, v20
	v_cmp_gt_u32_e32 vcc, 8, v6
	v_cndmask_b32_e32 v6, v23, v14, vcc
	v_cndmask_b32_e32 v14, v17, v20, vcc
	v_lshlrev_b32_e32 v17, 24, v7
	v_bfrev_b32_e32 v20, 60
	v_lshlrev_b32_e32 v14, 20, v14
	v_and_b32_e32 v17, 0x80000000, v17
	v_lshl_add_u32 v6, v6, 23, v20
	v_or3_b32 v17, v17, v6, v14
.LBB587_621:
	s_or_b64 exec, exec, s[10:11]
.LBB587_622:
	s_or_b64 exec, exec, s[8:9]
.LBB587_623:
	s_or_b64 exec, exec, s[2:3]
	v_lshrrev_b16_e32 v6, 8, v7
	v_cmp_ne_u16_e32 vcc, 0, v6
	v_mov_b32_e32 v20, 0
	v_mov_b32_e32 v21, 0
	s_and_saveexec_b64 s[2:3], vcc
	s_cbranch_execz .LBB587_629
; %bb.624:
	s_movk_i32 s7, 0x80
	v_cmp_ne_u16_e32 vcc, s7, v6
	v_bfrev_b32_e32 v21, 1
	s_and_saveexec_b64 s[8:9], vcc
	s_cbranch_execz .LBB587_628
; %bb.625:
	s_movk_i32 s7, 0x7f
	v_and_b32_e32 v14, 0x7f, v6
	v_cmp_ne_u32_e32 vcc, s7, v14
	v_mov_b32_e32 v21, 0x7f800001
	s_and_saveexec_b64 s[10:11], vcc
	s_cbranch_execz .LBB587_627
; %bb.626:
	v_and_b32_e32 v21, 7, v6
	v_ffbh_u32_e32 v24, v21
	v_min_u32_e32 v27, 32, v24
	v_subrev_u32_e32 v24, 28, v27
	v_lshlrev_b64 v[24:25], v24, v[6:7]
	v_lshrrev_b32_e32 v23, 3, v14
	v_sub_u32_e32 v6, 29, v27
	v_and_b32_e32 v24, 7, v24
	v_cmp_gt_u32_e32 vcc, 8, v14
	v_cndmask_b32_e32 v6, v23, v6, vcc
	v_cndmask_b32_e32 v14, v21, v24, vcc
	v_lshlrev_b32_e32 v21, 16, v7
	v_bfrev_b32_e32 v23, 60
	v_lshlrev_b32_e32 v14, 20, v14
	v_and_b32_e32 v21, 0x80000000, v21
	v_lshl_add_u32 v6, v6, 23, v23
	v_or3_b32 v21, v21, v6, v14
.LBB587_627:
	s_or_b64 exec, exec, s[10:11]
.LBB587_628:
	s_or_b64 exec, exec, s[8:9]
.LBB587_629:
	s_or_b64 exec, exec, s[2:3]
	s_movk_i32 s2, 0xff
	v_and_b32_sdwa v14, v7, s2 dst_sel:DWORD dst_unused:UNUSED_PAD src0_sel:WORD_1 src1_sel:DWORD
	v_lshrrev_b32_e32 v6, 16, v7
	v_cmp_ne_u16_e32 vcc, 0, v14
	s_and_saveexec_b64 s[2:3], vcc
	s_cbranch_execz .LBB587_635
; %bb.630:
	s_movk_i32 s7, 0x80
	v_cmp_ne_u16_e32 vcc, s7, v14
	v_bfrev_b32_e32 v20, 1
	s_and_saveexec_b64 s[8:9], vcc
	s_cbranch_execz .LBB587_634
; %bb.631:
	v_bfe_u32 v14, v7, 16, 7
	s_movk_i32 s7, 0x7f
	v_cmp_ne_u32_e32 vcc, s7, v14
	v_mov_b32_e32 v20, 0x7f800001
	s_and_saveexec_b64 s[10:11], vcc
	s_cbranch_execz .LBB587_633
; %bb.632:
	v_and_b32_e32 v20, 7, v6
	v_ffbh_u32_e32 v24, v20
	v_min_u32_e32 v27, 32, v24
	v_subrev_u32_e32 v24, 28, v27
	v_lshlrev_b64 v[24:25], v24, v[6:7]
	v_and_b32_e32 v24, 7, v24
	v_cmp_gt_u32_e32 vcc, 8, v14
	v_lshrrev_b32_e32 v23, 3, v14
	v_sub_u32_e32 v6, 29, v27
	v_cndmask_b32_e32 v14, v20, v24, vcc
	v_mov_b32_e32 v20, 24
	v_cndmask_b32_e32 v6, v23, v6, vcc
	v_lshlrev_b32_sdwa v20, v20, v7 dst_sel:DWORD dst_unused:UNUSED_PAD src0_sel:DWORD src1_sel:WORD_1
	v_bfrev_b32_e32 v23, 60
	v_lshlrev_b32_e32 v14, 20, v14
	v_and_b32_e32 v20, 0x80000000, v20
	v_lshl_add_u32 v6, v6, 23, v23
	v_or3_b32 v20, v20, v6, v14
.LBB587_633:
	s_or_b64 exec, exec, s[10:11]
.LBB587_634:
	s_or_b64 exec, exec, s[8:9]
.LBB587_635:
	s_or_b64 exec, exec, s[2:3]
	s_mov_b32 s2, 0xffffff
	v_cmp_lt_u32_e32 vcc, s2, v7
	v_mov_b32_e32 v14, 0
	v_mov_b32_e32 v23, 0
	s_and_saveexec_b64 s[2:3], vcc
	s_cbranch_execz .LBB587_641
; %bb.636:
	v_lshrrev_b32_e32 v6, 24, v7
	s_movk_i32 s7, 0x80
	v_cmp_ne_u32_e32 vcc, s7, v6
	v_bfrev_b32_e32 v23, 1
	s_and_saveexec_b64 s[8:9], vcc
	s_cbranch_execz .LBB587_640
; %bb.637:
	v_bfe_u32 v7, v7, 24, 7
	s_movk_i32 s7, 0x7f
	v_cmp_ne_u32_e32 vcc, s7, v7
	v_mov_b32_e32 v23, 0x7f800001
	s_and_saveexec_b64 s[10:11], vcc
	s_cbranch_execz .LBB587_639
; %bb.638:
	v_and_b32_e32 v23, 7, v6
	v_ffbh_u32_e32 v24, v23
	v_min_u32_e32 v28, 32, v24
	v_subrev_u32_e32 v24, 28, v28
	v_lshlrev_b64 v[24:25], v24, v[6:7]
	v_lshrrev_b32_e32 v27, 3, v7
	v_sub_u32_e32 v25, 29, v28
	v_and_b32_e32 v24, 7, v24
	v_cmp_gt_u32_e32 vcc, 8, v7
	v_cndmask_b32_e32 v7, v27, v25, vcc
	v_cndmask_b32_e32 v23, v23, v24, vcc
	v_lshlrev_b32_e32 v6, 24, v6
	v_bfrev_b32_e32 v24, 60
	v_lshlrev_b32_e32 v23, 20, v23
	v_and_b32_e32 v6, 0x80000000, v6
	v_lshl_add_u32 v7, v7, 23, v24
	v_or3_b32 v23, v6, v7, v23
.LBB587_639:
	s_or_b64 exec, exec, s[10:11]
.LBB587_640:
	s_or_b64 exec, exec, s[8:9]
.LBB587_641:
	s_or_b64 exec, exec, s[2:3]
	v_cvt_pkrtz_f16_f32 v6, v19, v16
	v_cvt_pkrtz_f16_f32 v7, v15, v18
	ds_read_b128 v[28:31], v22 offset:4096
	v_cmp_ne_u16_sdwa s[8:9], v8, v14 src0_sel:BYTE_0 src1_sel:DWORD
	s_waitcnt lgkmcnt(0)
	v_mfma_f32_16x16x16f16 v[10:13], v[6:7], v[28:29], v[10:13]
	v_cvt_pkrtz_f16_f32 v6, v17, v21
	v_cvt_pkrtz_f16_f32 v7, v20, v23
	s_nop 1
	v_mfma_f32_16x16x16f16 v[10:13], v[6:7], v[30:31], v[10:13]
	s_and_saveexec_b64 s[2:3], s[8:9]
	s_cbranch_execz .LBB587_647
; %bb.642:
	s_movk_i32 s7, 0x80
	v_cmp_ne_u16_sdwa s[10:11], v8, s7 src0_sel:BYTE_0 src1_sel:DWORD
	v_bfrev_b32_e32 v14, 1
	s_and_saveexec_b64 s[8:9], s[10:11]
	s_cbranch_execz .LBB587_646
; %bb.643:
	s_movk_i32 s7, 0x7f
	v_and_b32_e32 v6, 0x7f, v8
	v_cmp_ne_u32_e32 vcc, s7, v6
	v_mov_b32_e32 v14, 0x7f800001
	s_and_saveexec_b64 s[10:11], vcc
	s_cbranch_execz .LBB587_645
; %bb.644:
	v_and_b32_e32 v7, 7, v8
	v_ffbh_u32_e32 v14, v7
	v_min_u32_e32 v17, 32, v14
	v_subrev_u32_e32 v14, 28, v17
	v_lshlrev_b64 v[14:15], v14, v[8:9]
	v_lshrrev_b32_e32 v16, 3, v6
	v_sub_u32_e32 v15, 29, v17
	v_and_b32_e32 v14, 7, v14
	v_cmp_gt_u32_e32 vcc, 8, v6
	v_cndmask_b32_e32 v6, v16, v15, vcc
	v_cndmask_b32_e32 v7, v7, v14, vcc
	v_lshlrev_b32_e32 v14, 24, v8
	v_bfrev_b32_e32 v15, 60
	v_lshlrev_b32_e32 v7, 20, v7
	v_and_b32_e32 v14, 0x80000000, v14
	v_lshl_add_u32 v6, v6, 23, v15
	v_or3_b32 v14, v14, v6, v7
.LBB587_645:
	s_or_b64 exec, exec, s[10:11]
.LBB587_646:
	s_or_b64 exec, exec, s[8:9]
.LBB587_647:
	s_or_b64 exec, exec, s[2:3]
	v_lshrrev_b16_e32 v6, 8, v8
	v_cmp_ne_u16_e32 vcc, 0, v6
	v_mov_b32_e32 v7, 0
	v_mov_b32_e32 v16, 0
	s_and_saveexec_b64 s[2:3], vcc
	s_cbranch_execz .LBB587_653
; %bb.648:
	s_movk_i32 s7, 0x80
	v_cmp_ne_u16_e32 vcc, s7, v6
	v_bfrev_b32_e32 v16, 1
	s_and_saveexec_b64 s[8:9], vcc
	s_cbranch_execz .LBB587_652
; %bb.649:
	s_movk_i32 s7, 0x7f
	v_and_b32_e32 v15, 0x7f, v6
	v_cmp_ne_u32_e32 vcc, s7, v15
	v_mov_b32_e32 v16, 0x7f800001
	s_and_saveexec_b64 s[10:11], vcc
	s_cbranch_execz .LBB587_651
; %bb.650:
	v_and_b32_e32 v18, 7, v6
	v_ffbh_u32_e32 v16, v18
	v_min_u32_e32 v20, 32, v16
	v_subrev_u32_e32 v16, 28, v20
	v_lshlrev_b64 v[16:17], v16, v[6:7]
	v_lshrrev_b32_e32 v19, 3, v15
	v_sub_u32_e32 v6, 29, v20
	v_and_b32_e32 v16, 7, v16
	v_cmp_gt_u32_e32 vcc, 8, v15
	v_cndmask_b32_e32 v6, v19, v6, vcc
	v_cndmask_b32_e32 v15, v18, v16, vcc
	v_lshlrev_b32_e32 v16, 16, v8
	v_bfrev_b32_e32 v17, 60
	v_lshlrev_b32_e32 v15, 20, v15
	v_and_b32_e32 v16, 0x80000000, v16
	v_lshl_add_u32 v6, v6, 23, v17
	v_or3_b32 v16, v16, v6, v15
.LBB587_651:
	s_or_b64 exec, exec, s[10:11]
.LBB587_652:
	s_or_b64 exec, exec, s[8:9]
.LBB587_653:
	s_or_b64 exec, exec, s[2:3]
	s_movk_i32 s2, 0xff
	v_and_b32_sdwa v15, v8, s2 dst_sel:DWORD dst_unused:UNUSED_PAD src0_sel:WORD_1 src1_sel:DWORD
	v_lshrrev_b32_e32 v6, 16, v8
	v_cmp_ne_u16_e32 vcc, 0, v15
	s_and_saveexec_b64 s[2:3], vcc
	s_cbranch_execz .LBB587_659
; %bb.654:
	s_movk_i32 s7, 0x80
	v_cmp_ne_u16_e32 vcc, s7, v15
	v_bfrev_b32_e32 v7, 1
	s_and_saveexec_b64 s[8:9], vcc
	s_cbranch_execz .LBB587_658
; %bb.655:
	v_bfe_u32 v15, v8, 16, 7
	s_movk_i32 s7, 0x7f
	v_cmp_ne_u32_e32 vcc, s7, v15
	v_mov_b32_e32 v7, 0x7f800001
	s_and_saveexec_b64 s[10:11], vcc
	s_cbranch_execz .LBB587_657
; %bb.656:
	v_and_b32_e32 v17, 7, v6
	v_ffbh_u32_e32 v7, v17
	v_min_u32_e32 v19, 32, v7
	v_subrev_u32_e32 v7, 28, v19
	v_lshlrev_b64 v[6:7], v7, v[6:7]
	v_lshrrev_b32_e32 v18, 3, v15
	v_sub_u32_e32 v7, 29, v19
	v_and_b32_e32 v6, 7, v6
	v_cmp_gt_u32_e32 vcc, 8, v15
	v_mov_b32_e32 v15, 24
	v_cndmask_b32_e32 v7, v18, v7, vcc
	v_cndmask_b32_e32 v6, v17, v6, vcc
	v_lshlrev_b32_sdwa v15, v15, v8 dst_sel:DWORD dst_unused:UNUSED_PAD src0_sel:DWORD src1_sel:WORD_1
	v_bfrev_b32_e32 v17, 60
	v_lshlrev_b32_e32 v6, 20, v6
	v_and_b32_e32 v15, 0x80000000, v15
	v_lshl_add_u32 v7, v7, 23, v17
	v_or3_b32 v7, v15, v7, v6
.LBB587_657:
	s_or_b64 exec, exec, s[10:11]
.LBB587_658:
	s_or_b64 exec, exec, s[8:9]
.LBB587_659:
	s_or_b64 exec, exec, s[2:3]
	s_mov_b32 s2, 0xffffff
	v_cmp_lt_u32_e32 vcc, s2, v8
	v_mov_b32_e32 v17, 0
	v_mov_b32_e32 v18, 0
	s_and_saveexec_b64 s[2:3], vcc
	s_cbranch_execz .LBB587_665
; %bb.660:
	v_lshrrev_b32_e32 v6, 24, v8
	s_movk_i32 s7, 0x80
	v_cmp_ne_u32_e32 vcc, s7, v6
	v_bfrev_b32_e32 v18, 1
	s_and_saveexec_b64 s[8:9], vcc
	s_cbranch_execz .LBB587_664
; %bb.661:
	v_bfe_u32 v8, v8, 24, 7
	s_movk_i32 s7, 0x7f
	v_cmp_ne_u32_e32 vcc, s7, v8
	v_mov_b32_e32 v18, 0x7f800001
	s_and_saveexec_b64 s[10:11], vcc
	s_cbranch_execz .LBB587_663
; %bb.662:
	v_and_b32_e32 v15, 7, v6
	v_ffbh_u32_e32 v18, v15
	v_min_u32_e32 v21, 32, v18
	v_subrev_u32_e32 v18, 28, v21
	v_lshlrev_b64 v[18:19], v18, v[6:7]
	v_lshrrev_b32_e32 v20, 3, v8
	v_sub_u32_e32 v19, 29, v21
	v_and_b32_e32 v18, 7, v18
	v_cmp_gt_u32_e32 vcc, 8, v8
	v_cndmask_b32_e32 v8, v20, v19, vcc
	v_cndmask_b32_e32 v15, v15, v18, vcc
	v_lshlrev_b32_e32 v6, 24, v6
	v_bfrev_b32_e32 v18, 60
	v_lshlrev_b32_e32 v15, 20, v15
	v_and_b32_e32 v6, 0x80000000, v6
	v_lshl_add_u32 v8, v8, 23, v18
	v_or3_b32 v18, v6, v8, v15
.LBB587_663:
	s_or_b64 exec, exec, s[10:11]
.LBB587_664:
	s_or_b64 exec, exec, s[8:9]
.LBB587_665:
	s_or_b64 exec, exec, s[2:3]
	v_cmp_ne_u16_sdwa s[8:9], v9, v17 src0_sel:BYTE_0 src1_sel:DWORD
	s_and_saveexec_b64 s[2:3], s[8:9]
	s_cbranch_execz .LBB587_671
; %bb.666:
	s_movk_i32 s7, 0x80
	v_cmp_ne_u16_sdwa s[10:11], v9, s7 src0_sel:BYTE_0 src1_sel:DWORD
	v_bfrev_b32_e32 v17, 1
	s_and_saveexec_b64 s[8:9], s[10:11]
	s_cbranch_execz .LBB587_670
; %bb.667:
	s_movk_i32 s7, 0x7f
	v_and_b32_e32 v6, 0x7f, v9
	v_cmp_ne_u32_e32 vcc, s7, v6
	v_mov_b32_e32 v17, 0x7f800001
	s_and_saveexec_b64 s[10:11], vcc
	s_cbranch_execz .LBB587_669
; %bb.668:
	v_and_b32_e32 v15, 7, v9
	v_ffbh_u32_e32 v19, v15
	v_min_u32_e32 v19, 32, v19
	v_mov_b32_e32 v8, v9
	v_subrev_u32_e32 v20, 28, v19
	v_lshlrev_b64 v[20:21], v20, v[8:9]
	v_lshrrev_b32_e32 v17, 3, v6
	v_sub_u32_e32 v8, 29, v19
	v_and_b32_e32 v19, 7, v20
	v_cmp_gt_u32_e32 vcc, 8, v6
	v_cndmask_b32_e32 v6, v17, v8, vcc
	v_cndmask_b32_e32 v8, v15, v19, vcc
	v_lshlrev_b32_e32 v15, 24, v9
	v_bfrev_b32_e32 v17, 60
	v_lshlrev_b32_e32 v8, 20, v8
	v_and_b32_e32 v15, 0x80000000, v15
	v_lshl_add_u32 v6, v6, 23, v17
	v_or3_b32 v17, v15, v6, v8
.LBB587_669:
	s_or_b64 exec, exec, s[10:11]
.LBB587_670:
	s_or_b64 exec, exec, s[8:9]
.LBB587_671:
	s_or_b64 exec, exec, s[2:3]
	v_lshrrev_b16_e32 v6, 8, v9
	v_cmp_ne_u16_e32 vcc, 0, v6
	v_mov_b32_e32 v8, 0
	v_mov_b32_e32 v19, 0
	s_and_saveexec_b64 s[2:3], vcc
	s_cbranch_execz .LBB587_677
; %bb.672:
	s_movk_i32 s7, 0x80
	v_cmp_ne_u16_e32 vcc, s7, v6
	v_bfrev_b32_e32 v19, 1
	s_and_saveexec_b64 s[8:9], vcc
	s_cbranch_execz .LBB587_676
; %bb.673:
	s_movk_i32 s7, 0x7f
	v_and_b32_e32 v15, 0x7f, v6
	v_cmp_ne_u32_e32 vcc, s7, v15
	v_mov_b32_e32 v19, 0x7f800001
	s_and_saveexec_b64 s[10:11], vcc
	s_cbranch_execz .LBB587_675
; %bb.674:
	v_and_b32_e32 v19, 7, v6
	v_ffbh_u32_e32 v20, v19
	v_min_u32_e32 v24, 32, v20
	v_subrev_u32_e32 v20, 28, v24
	v_lshlrev_b64 v[20:21], v20, v[6:7]
	v_lshrrev_b32_e32 v23, 3, v15
	v_sub_u32_e32 v6, 29, v24
	v_and_b32_e32 v20, 7, v20
	v_cmp_gt_u32_e32 vcc, 8, v15
	v_cndmask_b32_e32 v6, v23, v6, vcc
	v_cndmask_b32_e32 v15, v19, v20, vcc
	v_lshlrev_b32_e32 v19, 16, v9
	v_bfrev_b32_e32 v20, 60
	v_lshlrev_b32_e32 v15, 20, v15
	v_and_b32_e32 v19, 0x80000000, v19
	v_lshl_add_u32 v6, v6, 23, v20
	v_or3_b32 v19, v19, v6, v15
.LBB587_675:
	s_or_b64 exec, exec, s[10:11]
.LBB587_676:
	s_or_b64 exec, exec, s[8:9]
.LBB587_677:
	s_or_b64 exec, exec, s[2:3]
	s_movk_i32 s2, 0xff
	v_and_b32_sdwa v15, v9, s2 dst_sel:DWORD dst_unused:UNUSED_PAD src0_sel:WORD_1 src1_sel:DWORD
	v_lshrrev_b32_e32 v6, 16, v9
	v_cmp_ne_u16_e32 vcc, 0, v15
	s_and_saveexec_b64 s[2:3], vcc
	s_cbranch_execz .LBB587_683
; %bb.678:
	s_movk_i32 s7, 0x80
	v_cmp_ne_u16_e32 vcc, s7, v15
	v_bfrev_b32_e32 v8, 1
	s_and_saveexec_b64 s[8:9], vcc
	s_cbranch_execz .LBB587_682
; %bb.679:
	v_bfe_u32 v15, v9, 16, 7
	s_movk_i32 s7, 0x7f
	v_cmp_ne_u32_e32 vcc, s7, v15
	v_mov_b32_e32 v8, 0x7f800001
	s_and_saveexec_b64 s[10:11], vcc
	s_cbranch_execz .LBB587_681
; %bb.680:
	v_and_b32_e32 v8, 7, v6
	v_ffbh_u32_e32 v20, v8
	v_min_u32_e32 v24, 32, v20
	v_subrev_u32_e32 v20, 28, v24
	v_lshlrev_b64 v[20:21], v20, v[6:7]
	v_lshrrev_b32_e32 v23, 3, v15
	v_sub_u32_e32 v6, 29, v24
	v_and_b32_e32 v20, 7, v20
	v_cmp_gt_u32_e32 vcc, 8, v15
	v_mov_b32_e32 v15, 24
	v_cndmask_b32_e32 v6, v23, v6, vcc
	v_cndmask_b32_e32 v8, v8, v20, vcc
	v_lshlrev_b32_sdwa v15, v15, v9 dst_sel:DWORD dst_unused:UNUSED_PAD src0_sel:DWORD src1_sel:WORD_1
	v_bfrev_b32_e32 v20, 60
	v_lshlrev_b32_e32 v8, 20, v8
	v_and_b32_e32 v15, 0x80000000, v15
	v_lshl_add_u32 v6, v6, 23, v20
	v_or3_b32 v8, v15, v6, v8
.LBB587_681:
	s_or_b64 exec, exec, s[10:11]
.LBB587_682:
	s_or_b64 exec, exec, s[8:9]
.LBB587_683:
	s_or_b64 exec, exec, s[2:3]
	s_mov_b32 s2, 0xffffff
	v_cmp_lt_u32_e32 vcc, s2, v9
	v_mov_b32_e32 v15, 0
	v_mov_b32_e32 v20, 0
	s_and_saveexec_b64 s[2:3], vcc
	s_cbranch_execz .LBB587_689
; %bb.684:
	v_lshrrev_b32_e32 v6, 24, v9
	s_movk_i32 s7, 0x80
	v_cmp_ne_u32_e32 vcc, s7, v6
	v_bfrev_b32_e32 v20, 1
	s_and_saveexec_b64 s[8:9], vcc
	s_cbranch_execz .LBB587_688
; %bb.685:
	v_bfe_u32 v9, v9, 24, 7
	s_movk_i32 s7, 0x7f
	v_cmp_ne_u32_e32 vcc, s7, v9
	v_mov_b32_e32 v20, 0x7f800001
	s_and_saveexec_b64 s[10:11], vcc
	s_cbranch_execz .LBB587_687
; %bb.686:
	v_and_b32_e32 v23, 7, v6
	v_ffbh_u32_e32 v20, v23
	v_min_u32_e32 v25, 32, v20
	v_subrev_u32_e32 v20, 28, v25
	v_lshlrev_b64 v[20:21], v20, v[6:7]
	v_lshrrev_b32_e32 v24, 3, v9
	v_sub_u32_e32 v21, 29, v25
	v_and_b32_e32 v20, 7, v20
	v_cmp_gt_u32_e32 vcc, 8, v9
	v_cndmask_b32_e32 v9, v24, v21, vcc
	v_cndmask_b32_e32 v20, v23, v20, vcc
	v_lshlrev_b32_e32 v6, 24, v6
	v_bfrev_b32_e32 v21, 60
	v_lshlrev_b32_e32 v20, 20, v20
	v_and_b32_e32 v6, 0x80000000, v6
	v_lshl_add_u32 v9, v9, 23, v21
	v_or3_b32 v20, v6, v9, v20
.LBB587_687:
	s_or_b64 exec, exec, s[10:11]
.LBB587_688:
	s_or_b64 exec, exec, s[8:9]
.LBB587_689:
	s_or_b64 exec, exec, s[2:3]
	v_cvt_pkrtz_f16_f32 v6, v14, v16
	v_cvt_pkrtz_f16_f32 v7, v7, v18
	ds_read_b128 v[28:31], v22 offset:4112
	s_waitcnt vmcnt(0)
	v_cmp_ne_u16_sdwa s[8:9], v2, v15 src0_sel:BYTE_0 src1_sel:DWORD
	s_waitcnt lgkmcnt(0)
	v_mfma_f32_16x16x16f16 v[10:13], v[6:7], v[28:29], v[10:13]
	v_cvt_pkrtz_f16_f32 v6, v17, v19
	v_cvt_pkrtz_f16_f32 v7, v8, v20
	s_nop 1
	v_mfma_f32_16x16x16f16 v[6:9], v[6:7], v[30:31], v[10:13]
	s_and_saveexec_b64 s[2:3], s[8:9]
	s_cbranch_execz .LBB587_695
; %bb.690:
	s_movk_i32 s7, 0x80
	v_cmp_ne_u16_sdwa s[10:11], v2, s7 src0_sel:BYTE_0 src1_sel:DWORD
	v_bfrev_b32_e32 v15, 1
	s_and_saveexec_b64 s[8:9], s[10:11]
	s_cbranch_execz .LBB587_694
; %bb.691:
	s_movk_i32 s7, 0x7f
	v_and_b32_e32 v10, 0x7f, v2
	v_cmp_ne_u32_e32 vcc, s7, v10
	v_mov_b32_e32 v15, 0x7f800001
	s_and_saveexec_b64 s[10:11], vcc
	s_cbranch_execz .LBB587_693
; %bb.692:
	v_and_b32_e32 v11, 7, v2
	v_ffbh_u32_e32 v12, v11
	v_min_u32_e32 v15, 32, v12
	v_subrev_u32_e32 v12, 28, v15
	v_lshlrev_b64 v[12:13], v12, v[2:3]
	v_lshrrev_b32_e32 v14, 3, v10
	v_sub_u32_e32 v13, 29, v15
	v_and_b32_e32 v12, 7, v12
	v_cmp_gt_u32_e32 vcc, 8, v10
	v_cndmask_b32_e32 v10, v14, v13, vcc
	v_cndmask_b32_e32 v11, v11, v12, vcc
	v_lshlrev_b32_e32 v12, 24, v2
	v_bfrev_b32_e32 v13, 60
	v_lshlrev_b32_e32 v11, 20, v11
	v_and_b32_e32 v12, 0x80000000, v12
	v_lshl_add_u32 v10, v10, 23, v13
	v_or3_b32 v15, v12, v10, v11
.LBB587_693:
	s_or_b64 exec, exec, s[10:11]
.LBB587_694:
	s_or_b64 exec, exec, s[8:9]
.LBB587_695:
	s_or_b64 exec, exec, s[2:3]
	s_nop 3
	v_lshrrev_b16_e32 v10, 8, v2
	v_cmp_ne_u16_e32 vcc, 0, v10
	v_mov_b32_e32 v11, 0
	v_mov_b32_e32 v12, 0
	s_and_saveexec_b64 s[2:3], vcc
	s_cbranch_execz .LBB587_701
; %bb.696:
	s_movk_i32 s7, 0x80
	v_cmp_ne_u16_e32 vcc, s7, v10
	v_bfrev_b32_e32 v12, 1
	s_and_saveexec_b64 s[8:9], vcc
	s_cbranch_execz .LBB587_700
; %bb.697:
	s_movk_i32 s7, 0x7f
	v_and_b32_e32 v13, 0x7f, v10
	v_cmp_ne_u32_e32 vcc, s7, v13
	v_mov_b32_e32 v12, 0x7f800001
	s_and_saveexec_b64 s[10:11], vcc
	s_cbranch_execz .LBB587_699
; %bb.698:
	v_and_b32_e32 v12, 7, v10
	v_ffbh_u32_e32 v16, v12
	v_min_u32_e32 v18, 32, v16
	v_subrev_u32_e32 v16, 28, v18
	v_lshlrev_b64 v[16:17], v16, v[10:11]
	v_lshrrev_b32_e32 v14, 3, v13
	v_sub_u32_e32 v10, 29, v18
	v_and_b32_e32 v16, 7, v16
	v_cmp_gt_u32_e32 vcc, 8, v13
	v_cndmask_b32_e32 v10, v14, v10, vcc
	v_cndmask_b32_e32 v12, v12, v16, vcc
	v_lshlrev_b32_e32 v13, 16, v2
	v_bfrev_b32_e32 v14, 60
	v_lshlrev_b32_e32 v12, 20, v12
	v_and_b32_e32 v13, 0x80000000, v13
	v_lshl_add_u32 v10, v10, 23, v14
	v_or3_b32 v12, v13, v10, v12
.LBB587_699:
	s_or_b64 exec, exec, s[10:11]
.LBB587_700:
	s_or_b64 exec, exec, s[8:9]
.LBB587_701:
	s_or_b64 exec, exec, s[2:3]
	s_movk_i32 s2, 0xff
	v_and_b32_sdwa v13, v2, s2 dst_sel:DWORD dst_unused:UNUSED_PAD src0_sel:WORD_1 src1_sel:DWORD
	v_lshrrev_b32_e32 v10, 16, v2
	v_cmp_ne_u16_e32 vcc, 0, v13
	s_and_saveexec_b64 s[2:3], vcc
	s_cbranch_execz .LBB587_707
; %bb.702:
	s_movk_i32 s7, 0x80
	v_cmp_ne_u16_e32 vcc, s7, v13
	v_bfrev_b32_e32 v11, 1
	s_and_saveexec_b64 s[8:9], vcc
	s_cbranch_execz .LBB587_706
; %bb.703:
	v_bfe_u32 v13, v2, 16, 7
	s_movk_i32 s7, 0x7f
	v_cmp_ne_u32_e32 vcc, s7, v13
	v_mov_b32_e32 v11, 0x7f800001
	s_and_saveexec_b64 s[10:11], vcc
	s_cbranch_execz .LBB587_705
; %bb.704:
	v_and_b32_e32 v14, 7, v10
	v_ffbh_u32_e32 v11, v14
	v_min_u32_e32 v17, 32, v11
	v_subrev_u32_e32 v11, 28, v17
	v_lshlrev_b64 v[10:11], v11, v[10:11]
	v_lshrrev_b32_e32 v16, 3, v13
	v_sub_u32_e32 v11, 29, v17
	v_and_b32_e32 v10, 7, v10
	v_cmp_gt_u32_e32 vcc, 8, v13
	v_mov_b32_e32 v13, 24
	v_cndmask_b32_e32 v11, v16, v11, vcc
	v_cndmask_b32_e32 v10, v14, v10, vcc
	v_lshlrev_b32_sdwa v13, v13, v2 dst_sel:DWORD dst_unused:UNUSED_PAD src0_sel:DWORD src1_sel:WORD_1
	v_bfrev_b32_e32 v14, 60
	v_lshlrev_b32_e32 v10, 20, v10
	v_and_b32_e32 v13, 0x80000000, v13
	v_lshl_add_u32 v11, v11, 23, v14
	v_or3_b32 v11, v13, v11, v10
.LBB587_705:
	s_or_b64 exec, exec, s[10:11]
.LBB587_706:
	s_or_b64 exec, exec, s[8:9]
.LBB587_707:
	s_or_b64 exec, exec, s[2:3]
	s_mov_b32 s2, 0xffffff
	v_cmp_lt_u32_e32 vcc, s2, v2
	v_mov_b32_e32 v13, 0
	v_mov_b32_e32 v14, 0
	s_and_saveexec_b64 s[2:3], vcc
	s_cbranch_execz .LBB587_713
; %bb.708:
	v_lshrrev_b32_e32 v10, 24, v2
	s_movk_i32 s7, 0x80
	v_cmp_ne_u32_e32 vcc, s7, v10
	v_bfrev_b32_e32 v14, 1
	s_and_saveexec_b64 s[8:9], vcc
	s_cbranch_execz .LBB587_712
; %bb.709:
	v_bfe_u32 v2, v2, 24, 7
	s_movk_i32 s7, 0x7f
	v_cmp_ne_u32_e32 vcc, s7, v2
	v_mov_b32_e32 v14, 0x7f800001
	s_and_saveexec_b64 s[10:11], vcc
	s_cbranch_execz .LBB587_711
; %bb.710:
	v_and_b32_e32 v14, 7, v10
	v_ffbh_u32_e32 v16, v14
	v_min_u32_e32 v19, 32, v16
	v_subrev_u32_e32 v16, 28, v19
	v_lshlrev_b64 v[16:17], v16, v[10:11]
	v_lshrrev_b32_e32 v18, 3, v2
	v_sub_u32_e32 v17, 29, v19
	v_and_b32_e32 v16, 7, v16
	v_cmp_gt_u32_e32 vcc, 8, v2
	v_cndmask_b32_e32 v2, v18, v17, vcc
	v_cndmask_b32_e32 v14, v14, v16, vcc
	v_lshlrev_b32_e32 v10, 24, v10
	v_bfrev_b32_e32 v16, 60
	v_lshlrev_b32_e32 v14, 20, v14
	v_and_b32_e32 v10, 0x80000000, v10
	v_lshl_add_u32 v2, v2, 23, v16
	v_or3_b32 v14, v10, v2, v14
.LBB587_711:
	s_or_b64 exec, exec, s[10:11]
.LBB587_712:
	s_or_b64 exec, exec, s[8:9]
.LBB587_713:
	s_or_b64 exec, exec, s[2:3]
	v_cmp_ne_u16_sdwa s[8:9], v3, v13 src0_sel:BYTE_0 src1_sel:DWORD
	s_and_saveexec_b64 s[2:3], s[8:9]
	s_cbranch_execz .LBB587_719
; %bb.714:
	s_movk_i32 s7, 0x80
	v_cmp_ne_u16_sdwa s[10:11], v3, s7 src0_sel:BYTE_0 src1_sel:DWORD
	v_bfrev_b32_e32 v13, 1
	s_and_saveexec_b64 s[8:9], s[10:11]
	s_cbranch_execz .LBB587_718
; %bb.715:
	s_movk_i32 s7, 0x7f
	v_and_b32_e32 v2, 0x7f, v3
	v_cmp_ne_u32_e32 vcc, s7, v2
	v_mov_b32_e32 v13, 0x7f800001
	s_and_saveexec_b64 s[10:11], vcc
	s_cbranch_execz .LBB587_717
; %bb.716:
	v_and_b32_e32 v13, 7, v3
	v_ffbh_u32_e32 v16, v13
	v_min_u32_e32 v19, 32, v16
	v_mov_b32_e32 v10, v3
	v_subrev_u32_e32 v16, 28, v19
	v_lshlrev_b64 v[16:17], v16, v[10:11]
	v_lshrrev_b32_e32 v18, 3, v2
	v_sub_u32_e32 v10, 29, v19
	v_and_b32_e32 v16, 7, v16
	v_cmp_gt_u32_e32 vcc, 8, v2
	v_cndmask_b32_e32 v2, v18, v10, vcc
	v_cndmask_b32_e32 v10, v13, v16, vcc
	v_lshlrev_b32_e32 v13, 24, v3
	v_bfrev_b32_e32 v16, 60
	v_lshlrev_b32_e32 v10, 20, v10
	v_and_b32_e32 v13, 0x80000000, v13
	v_lshl_add_u32 v2, v2, 23, v16
	v_or3_b32 v13, v13, v2, v10
.LBB587_717:
	s_or_b64 exec, exec, s[10:11]
.LBB587_718:
	s_or_b64 exec, exec, s[8:9]
.LBB587_719:
	s_or_b64 exec, exec, s[2:3]
	v_lshrrev_b16_e32 v2, 8, v3
	v_cmp_ne_u16_e32 vcc, 0, v2
	v_mov_b32_e32 v16, 0
	v_mov_b32_e32 v17, 0
	s_and_saveexec_b64 s[2:3], vcc
	s_cbranch_execz .LBB587_725
; %bb.720:
	s_movk_i32 s7, 0x80
	v_cmp_ne_u16_e32 vcc, s7, v2
	v_bfrev_b32_e32 v17, 1
	s_and_saveexec_b64 s[8:9], vcc
	s_cbranch_execz .LBB587_724
; %bb.721:
	s_movk_i32 s7, 0x7f
	v_and_b32_e32 v10, 0x7f, v2
	v_cmp_ne_u32_e32 vcc, s7, v10
	v_mov_b32_e32 v17, 0x7f800001
	s_and_saveexec_b64 s[10:11], vcc
	s_cbranch_execz .LBB587_723
; %bb.722:
	v_and_b32_e32 v17, 7, v2
	v_ffbh_u32_e32 v18, v17
	v_min_u32_e32 v21, 32, v18
	v_subrev_u32_e32 v18, 28, v21
	v_lshlrev_b64 v[18:19], v18, v[2:3]
	v_lshrrev_b32_e32 v20, 3, v10
	v_sub_u32_e32 v2, 29, v21
	v_and_b32_e32 v18, 7, v18
	v_cmp_gt_u32_e32 vcc, 8, v10
	v_cndmask_b32_e32 v2, v20, v2, vcc
	v_cndmask_b32_e32 v10, v17, v18, vcc
	v_lshlrev_b32_e32 v17, 16, v3
	v_bfrev_b32_e32 v18, 60
	v_lshlrev_b32_e32 v10, 20, v10
	v_and_b32_e32 v17, 0x80000000, v17
	v_lshl_add_u32 v2, v2, 23, v18
	v_or3_b32 v17, v17, v2, v10
.LBB587_723:
	s_or_b64 exec, exec, s[10:11]
.LBB587_724:
	s_or_b64 exec, exec, s[8:9]
.LBB587_725:
	s_or_b64 exec, exec, s[2:3]
	s_movk_i32 s2, 0xff
	v_and_b32_sdwa v10, v3, s2 dst_sel:DWORD dst_unused:UNUSED_PAD src0_sel:WORD_1 src1_sel:DWORD
	v_lshrrev_b32_e32 v2, 16, v3
	v_cmp_ne_u16_e32 vcc, 0, v10
	s_and_saveexec_b64 s[2:3], vcc
	s_cbranch_execz .LBB587_731
; %bb.726:
	s_movk_i32 s7, 0x80
	v_cmp_ne_u16_e32 vcc, s7, v10
	v_bfrev_b32_e32 v16, 1
	s_and_saveexec_b64 s[8:9], vcc
	s_cbranch_execz .LBB587_730
; %bb.727:
	v_bfe_u32 v10, v3, 16, 7
	s_movk_i32 s7, 0x7f
	v_cmp_ne_u32_e32 vcc, s7, v10
	v_mov_b32_e32 v16, 0x7f800001
	s_and_saveexec_b64 s[10:11], vcc
	s_cbranch_execz .LBB587_729
; %bb.728:
	v_and_b32_e32 v16, 7, v2
	v_ffbh_u32_e32 v18, v16
	v_min_u32_e32 v21, 32, v18
	v_subrev_u32_e32 v18, 28, v21
	v_lshlrev_b64 v[18:19], v18, v[2:3]
	v_and_b32_e32 v18, 7, v18
	v_cmp_gt_u32_e32 vcc, 8, v10
	v_lshrrev_b32_e32 v20, 3, v10
	v_sub_u32_e32 v2, 29, v21
	v_cndmask_b32_e32 v10, v16, v18, vcc
	v_mov_b32_e32 v16, 24
	v_cndmask_b32_e32 v2, v20, v2, vcc
	v_lshlrev_b32_sdwa v16, v16, v3 dst_sel:DWORD dst_unused:UNUSED_PAD src0_sel:DWORD src1_sel:WORD_1
	v_bfrev_b32_e32 v18, 60
	v_lshlrev_b32_e32 v10, 20, v10
	v_and_b32_e32 v16, 0x80000000, v16
	v_lshl_add_u32 v2, v2, 23, v18
	v_or3_b32 v16, v16, v2, v10
.LBB587_729:
	s_or_b64 exec, exec, s[10:11]
.LBB587_730:
	s_or_b64 exec, exec, s[8:9]
.LBB587_731:
	s_or_b64 exec, exec, s[2:3]
	s_mov_b32 s2, 0xffffff
	v_cmp_lt_u32_e32 vcc, s2, v3
	v_mov_b32_e32 v10, 0
	v_mov_b32_e32 v18, 0
	s_and_saveexec_b64 s[2:3], vcc
	s_cbranch_execz .LBB587_737
; %bb.732:
	v_lshrrev_b32_e32 v2, 24, v3
	s_movk_i32 s7, 0x80
	v_cmp_ne_u32_e32 vcc, s7, v2
	v_bfrev_b32_e32 v18, 1
	s_and_saveexec_b64 s[8:9], vcc
	s_cbranch_execz .LBB587_736
; %bb.733:
	v_bfe_u32 v3, v3, 24, 7
	s_movk_i32 s7, 0x7f
	v_cmp_ne_u32_e32 vcc, s7, v3
	v_mov_b32_e32 v18, 0x7f800001
	s_and_saveexec_b64 s[10:11], vcc
	s_cbranch_execz .LBB587_735
; %bb.734:
	v_and_b32_e32 v20, 7, v2
	v_ffbh_u32_e32 v18, v20
	v_min_u32_e32 v23, 32, v18
	v_subrev_u32_e32 v18, 28, v23
	v_lshlrev_b64 v[18:19], v18, v[2:3]
	v_lshrrev_b32_e32 v21, 3, v3
	v_sub_u32_e32 v19, 29, v23
	v_and_b32_e32 v18, 7, v18
	v_cmp_gt_u32_e32 vcc, 8, v3
	v_cndmask_b32_e32 v3, v21, v19, vcc
	v_cndmask_b32_e32 v18, v20, v18, vcc
	v_lshlrev_b32_e32 v2, 24, v2
	v_bfrev_b32_e32 v19, 60
	v_lshlrev_b32_e32 v18, 20, v18
	v_and_b32_e32 v2, 0x80000000, v2
	v_lshl_add_u32 v3, v3, 23, v19
	v_or3_b32 v18, v2, v3, v18
.LBB587_735:
	s_or_b64 exec, exec, s[10:11]
.LBB587_736:
	s_or_b64 exec, exec, s[8:9]
.LBB587_737:
	s_or_b64 exec, exec, s[2:3]
	v_cvt_pkrtz_f16_f32 v2, v15, v12
	v_cvt_pkrtz_f16_f32 v3, v11, v14
	ds_read_b128 v[28:31], v22 offset:6144
	v_cmp_ne_u16_sdwa s[8:9], v4, v10 src0_sel:BYTE_0 src1_sel:DWORD
	s_waitcnt lgkmcnt(0)
	v_mfma_f32_16x16x16f16 v[6:9], v[2:3], v[28:29], v[6:9]
	v_cvt_pkrtz_f16_f32 v2, v13, v17
	v_cvt_pkrtz_f16_f32 v3, v16, v18
	s_nop 1
	v_mfma_f32_16x16x16f16 v[6:9], v[2:3], v[30:31], v[6:9]
	s_and_saveexec_b64 s[2:3], s[8:9]
	s_cbranch_execz .LBB587_743
; %bb.738:
	s_movk_i32 s7, 0x80
	v_cmp_ne_u16_sdwa s[10:11], v4, s7 src0_sel:BYTE_0 src1_sel:DWORD
	v_bfrev_b32_e32 v10, 1
	s_and_saveexec_b64 s[8:9], s[10:11]
	s_cbranch_execz .LBB587_742
; %bb.739:
	s_movk_i32 s7, 0x7f
	v_and_b32_e32 v2, 0x7f, v4
	v_cmp_ne_u32_e32 vcc, s7, v2
	v_mov_b32_e32 v10, 0x7f800001
	s_and_saveexec_b64 s[10:11], vcc
	s_cbranch_execz .LBB587_741
; %bb.740:
	v_and_b32_e32 v3, 7, v4
	v_ffbh_u32_e32 v10, v3
	v_min_u32_e32 v13, 32, v10
	v_subrev_u32_e32 v10, 28, v13
	v_lshlrev_b64 v[10:11], v10, v[4:5]
	v_lshrrev_b32_e32 v12, 3, v2
	v_sub_u32_e32 v11, 29, v13
	v_and_b32_e32 v10, 7, v10
	v_cmp_gt_u32_e32 vcc, 8, v2
	v_cndmask_b32_e32 v2, v12, v11, vcc
	v_cndmask_b32_e32 v3, v3, v10, vcc
	v_lshlrev_b32_e32 v10, 24, v4
	v_bfrev_b32_e32 v11, 60
	v_lshlrev_b32_e32 v3, 20, v3
	v_and_b32_e32 v10, 0x80000000, v10
	v_lshl_add_u32 v2, v2, 23, v11
	v_or3_b32 v10, v10, v2, v3
.LBB587_741:
	s_or_b64 exec, exec, s[10:11]
.LBB587_742:
	s_or_b64 exec, exec, s[8:9]
.LBB587_743:
	s_or_b64 exec, exec, s[2:3]
	v_lshrrev_b16_e32 v2, 8, v4
	v_cmp_ne_u16_e32 vcc, 0, v2
	v_mov_b32_e32 v3, 0
	v_mov_b32_e32 v11, 0
	s_and_saveexec_b64 s[2:3], vcc
	s_cbranch_execz .LBB587_749
; %bb.744:
	s_movk_i32 s7, 0x80
	v_cmp_ne_u16_e32 vcc, s7, v2
	v_bfrev_b32_e32 v11, 1
	s_and_saveexec_b64 s[8:9], vcc
	s_cbranch_execz .LBB587_748
; %bb.745:
	s_movk_i32 s7, 0x7f
	v_and_b32_e32 v12, 0x7f, v2
	v_cmp_ne_u32_e32 vcc, s7, v12
	v_mov_b32_e32 v11, 0x7f800001
	s_and_saveexec_b64 s[10:11], vcc
	s_cbranch_execz .LBB587_747
; %bb.746:
	v_and_b32_e32 v11, 7, v2
	v_ffbh_u32_e32 v14, v11
	v_min_u32_e32 v16, 32, v14
	v_subrev_u32_e32 v14, 28, v16
	v_lshlrev_b64 v[14:15], v14, v[2:3]
	v_lshrrev_b32_e32 v13, 3, v12
	v_sub_u32_e32 v2, 29, v16
	v_and_b32_e32 v14, 7, v14
	v_cmp_gt_u32_e32 vcc, 8, v12
	v_cndmask_b32_e32 v2, v13, v2, vcc
	v_cndmask_b32_e32 v11, v11, v14, vcc
	v_lshlrev_b32_e32 v12, 16, v4
	v_bfrev_b32_e32 v13, 60
	v_lshlrev_b32_e32 v11, 20, v11
	v_and_b32_e32 v12, 0x80000000, v12
	v_lshl_add_u32 v2, v2, 23, v13
	v_or3_b32 v11, v12, v2, v11
.LBB587_747:
	s_or_b64 exec, exec, s[10:11]
.LBB587_748:
	s_or_b64 exec, exec, s[8:9]
.LBB587_749:
	s_or_b64 exec, exec, s[2:3]
	s_movk_i32 s2, 0xff
	v_and_b32_sdwa v12, v4, s2 dst_sel:DWORD dst_unused:UNUSED_PAD src0_sel:WORD_1 src1_sel:DWORD
	v_lshrrev_b32_e32 v2, 16, v4
	v_cmp_ne_u16_e32 vcc, 0, v12
	s_and_saveexec_b64 s[2:3], vcc
	s_cbranch_execz .LBB587_755
; %bb.750:
	s_movk_i32 s7, 0x80
	v_cmp_ne_u16_e32 vcc, s7, v12
	v_bfrev_b32_e32 v3, 1
	s_and_saveexec_b64 s[8:9], vcc
	s_cbranch_execz .LBB587_754
; %bb.751:
	v_bfe_u32 v12, v4, 16, 7
	s_movk_i32 s7, 0x7f
	v_cmp_ne_u32_e32 vcc, s7, v12
	v_mov_b32_e32 v3, 0x7f800001
	s_and_saveexec_b64 s[10:11], vcc
	s_cbranch_execz .LBB587_753
; %bb.752:
	v_and_b32_e32 v13, 7, v2
	v_ffbh_u32_e32 v3, v13
	v_min_u32_e32 v15, 32, v3
	v_subrev_u32_e32 v3, 28, v15
	v_lshlrev_b64 v[2:3], v3, v[2:3]
	v_lshrrev_b32_e32 v14, 3, v12
	v_sub_u32_e32 v3, 29, v15
	v_and_b32_e32 v2, 7, v2
	v_cmp_gt_u32_e32 vcc, 8, v12
	v_mov_b32_e32 v12, 24
	v_cndmask_b32_e32 v3, v14, v3, vcc
	v_cndmask_b32_e32 v2, v13, v2, vcc
	v_lshlrev_b32_sdwa v12, v12, v4 dst_sel:DWORD dst_unused:UNUSED_PAD src0_sel:DWORD src1_sel:WORD_1
	v_bfrev_b32_e32 v13, 60
	v_lshlrev_b32_e32 v2, 20, v2
	v_and_b32_e32 v12, 0x80000000, v12
	v_lshl_add_u32 v3, v3, 23, v13
	v_or3_b32 v3, v12, v3, v2
.LBB587_753:
	s_or_b64 exec, exec, s[10:11]
.LBB587_754:
	s_or_b64 exec, exec, s[8:9]
.LBB587_755:
	s_or_b64 exec, exec, s[2:3]
	s_mov_b32 s2, 0xffffff
	v_cmp_lt_u32_e32 vcc, s2, v4
	v_mov_b32_e32 v12, 0
	v_mov_b32_e32 v13, 0
	s_and_saveexec_b64 s[2:3], vcc
	s_cbranch_execz .LBB587_761
; %bb.756:
	v_lshrrev_b32_e32 v2, 24, v4
	s_movk_i32 s7, 0x80
	v_cmp_ne_u32_e32 vcc, s7, v2
	v_bfrev_b32_e32 v13, 1
	s_and_saveexec_b64 s[8:9], vcc
	s_cbranch_execz .LBB587_760
; %bb.757:
	v_bfe_u32 v4, v4, 24, 7
	s_movk_i32 s7, 0x7f
	v_cmp_ne_u32_e32 vcc, s7, v4
	v_mov_b32_e32 v13, 0x7f800001
	s_and_saveexec_b64 s[10:11], vcc
	s_cbranch_execz .LBB587_759
; %bb.758:
	v_and_b32_e32 v13, 7, v2
	v_ffbh_u32_e32 v14, v13
	v_min_u32_e32 v17, 32, v14
	v_subrev_u32_e32 v14, 28, v17
	v_lshlrev_b64 v[14:15], v14, v[2:3]
	v_lshrrev_b32_e32 v16, 3, v4
	v_sub_u32_e32 v15, 29, v17
	v_and_b32_e32 v14, 7, v14
	v_cmp_gt_u32_e32 vcc, 8, v4
	v_cndmask_b32_e32 v4, v16, v15, vcc
	v_cndmask_b32_e32 v13, v13, v14, vcc
	v_lshlrev_b32_e32 v2, 24, v2
	v_bfrev_b32_e32 v14, 60
	v_lshlrev_b32_e32 v13, 20, v13
	v_and_b32_e32 v2, 0x80000000, v2
	v_lshl_add_u32 v4, v4, 23, v14
	v_or3_b32 v13, v2, v4, v13
.LBB587_759:
	s_or_b64 exec, exec, s[10:11]
.LBB587_760:
	s_or_b64 exec, exec, s[8:9]
.LBB587_761:
	s_or_b64 exec, exec, s[2:3]
	v_cmp_ne_u16_sdwa s[8:9], v5, v12 src0_sel:BYTE_0 src1_sel:DWORD
	s_and_saveexec_b64 s[2:3], s[8:9]
	s_cbranch_execz .LBB587_767
; %bb.762:
	s_movk_i32 s7, 0x80
	v_cmp_ne_u16_sdwa s[10:11], v5, s7 src0_sel:BYTE_0 src1_sel:DWORD
	v_bfrev_b32_e32 v12, 1
	s_and_saveexec_b64 s[8:9], s[10:11]
	s_cbranch_execz .LBB587_766
; %bb.763:
	s_movk_i32 s7, 0x7f
	v_and_b32_e32 v2, 0x7f, v5
	v_cmp_ne_u32_e32 vcc, s7, v2
	v_mov_b32_e32 v12, 0x7f800001
	s_and_saveexec_b64 s[10:11], vcc
	s_cbranch_execz .LBB587_765
; %bb.764:
	v_and_b32_e32 v12, 7, v5
	v_ffbh_u32_e32 v14, v12
	v_min_u32_e32 v17, 32, v14
	v_mov_b32_e32 v4, v5
	v_subrev_u32_e32 v14, 28, v17
	v_lshlrev_b64 v[14:15], v14, v[4:5]
	v_lshrrev_b32_e32 v16, 3, v2
	v_sub_u32_e32 v4, 29, v17
	v_and_b32_e32 v14, 7, v14
	v_cmp_gt_u32_e32 vcc, 8, v2
	v_cndmask_b32_e32 v2, v16, v4, vcc
	v_cndmask_b32_e32 v4, v12, v14, vcc
	v_lshlrev_b32_e32 v12, 24, v5
	v_bfrev_b32_e32 v14, 60
	v_lshlrev_b32_e32 v4, 20, v4
	v_and_b32_e32 v12, 0x80000000, v12
	v_lshl_add_u32 v2, v2, 23, v14
	v_or3_b32 v12, v12, v2, v4
.LBB587_765:
	s_or_b64 exec, exec, s[10:11]
.LBB587_766:
	s_or_b64 exec, exec, s[8:9]
.LBB587_767:
	s_or_b64 exec, exec, s[2:3]
	v_lshrrev_b16_e32 v2, 8, v5
	v_cmp_ne_u16_e32 vcc, 0, v2
	v_mov_b32_e32 v4, 0
	v_mov_b32_e32 v14, 0
	s_and_saveexec_b64 s[2:3], vcc
	s_cbranch_execz .LBB587_773
; %bb.768:
	s_movk_i32 s7, 0x80
	v_cmp_ne_u16_e32 vcc, s7, v2
	v_bfrev_b32_e32 v14, 1
	s_and_saveexec_b64 s[8:9], vcc
	s_cbranch_execz .LBB587_772
; %bb.769:
	s_movk_i32 s7, 0x7f
	v_and_b32_e32 v15, 0x7f, v2
	v_cmp_ne_u32_e32 vcc, s7, v15
	v_mov_b32_e32 v14, 0x7f800001
	s_and_saveexec_b64 s[10:11], vcc
	s_cbranch_execz .LBB587_771
; %bb.770:
	v_and_b32_e32 v14, 7, v2
	v_ffbh_u32_e32 v16, v14
	v_min_u32_e32 v19, 32, v16
	v_subrev_u32_e32 v16, 28, v19
	v_lshlrev_b64 v[16:17], v16, v[2:3]
	v_lshrrev_b32_e32 v18, 3, v15
	v_sub_u32_e32 v2, 29, v19
	v_and_b32_e32 v16, 7, v16
	v_cmp_gt_u32_e32 vcc, 8, v15
	v_cndmask_b32_e32 v2, v18, v2, vcc
	v_cndmask_b32_e32 v14, v14, v16, vcc
	v_lshlrev_b32_e32 v15, 16, v5
	v_bfrev_b32_e32 v16, 60
	v_lshlrev_b32_e32 v14, 20, v14
	v_and_b32_e32 v15, 0x80000000, v15
	v_lshl_add_u32 v2, v2, 23, v16
	v_or3_b32 v14, v15, v2, v14
.LBB587_771:
	s_or_b64 exec, exec, s[10:11]
.LBB587_772:
	s_or_b64 exec, exec, s[8:9]
.LBB587_773:
	s_or_b64 exec, exec, s[2:3]
	s_movk_i32 s2, 0xff
	v_and_b32_sdwa v15, v5, s2 dst_sel:DWORD dst_unused:UNUSED_PAD src0_sel:WORD_1 src1_sel:DWORD
	v_lshrrev_b32_e32 v2, 16, v5
	v_cmp_ne_u16_e32 vcc, 0, v15
	s_and_saveexec_b64 s[2:3], vcc
	s_cbranch_execz .LBB587_779
; %bb.774:
	s_movk_i32 s7, 0x80
	v_cmp_ne_u16_e32 vcc, s7, v15
	v_bfrev_b32_e32 v4, 1
	s_and_saveexec_b64 s[8:9], vcc
	s_cbranch_execz .LBB587_778
; %bb.775:
	v_bfe_u32 v15, v5, 16, 7
	s_movk_i32 s7, 0x7f
	v_cmp_ne_u32_e32 vcc, s7, v15
	v_mov_b32_e32 v4, 0x7f800001
	s_and_saveexec_b64 s[10:11], vcc
	s_cbranch_execz .LBB587_777
; %bb.776:
	v_and_b32_e32 v4, 7, v2
	v_ffbh_u32_e32 v16, v4
	v_min_u32_e32 v19, 32, v16
	v_subrev_u32_e32 v16, 28, v19
	v_lshlrev_b64 v[16:17], v16, v[2:3]
	v_lshrrev_b32_e32 v18, 3, v15
	v_sub_u32_e32 v2, 29, v19
	v_and_b32_e32 v16, 7, v16
	v_cmp_gt_u32_e32 vcc, 8, v15
	v_mov_b32_e32 v15, 24
	v_cndmask_b32_e32 v2, v18, v2, vcc
	v_cndmask_b32_e32 v4, v4, v16, vcc
	v_lshlrev_b32_sdwa v15, v15, v5 dst_sel:DWORD dst_unused:UNUSED_PAD src0_sel:DWORD src1_sel:WORD_1
	v_bfrev_b32_e32 v16, 60
	v_lshlrev_b32_e32 v4, 20, v4
	v_and_b32_e32 v15, 0x80000000, v15
	v_lshl_add_u32 v2, v2, 23, v16
	v_or3_b32 v4, v15, v2, v4
.LBB587_777:
	s_or_b64 exec, exec, s[10:11]
.LBB587_778:
	s_or_b64 exec, exec, s[8:9]
.LBB587_779:
	s_or_b64 exec, exec, s[2:3]
	s_mov_b32 s2, 0xffffff
	v_cmp_lt_u32_e32 vcc, s2, v5
	v_mov_b32_e32 v15, 0
	s_and_saveexec_b64 s[2:3], vcc
	s_cbranch_execz .LBB587_785
; %bb.780:
	v_lshrrev_b32_e32 v2, 24, v5
	s_movk_i32 s7, 0x80
	v_cmp_ne_u32_e32 vcc, s7, v2
	v_bfrev_b32_e32 v15, 1
	s_and_saveexec_b64 s[8:9], vcc
	s_cbranch_execz .LBB587_784
; %bb.781:
	v_bfe_u32 v5, v5, 24, 7
	s_movk_i32 s7, 0x7f
	v_cmp_ne_u32_e32 vcc, s7, v5
	v_mov_b32_e32 v15, 0x7f800001
	s_and_saveexec_b64 s[10:11], vcc
	s_cbranch_execz .LBB587_783
; %bb.782:
	v_and_b32_e32 v15, 7, v2
	v_ffbh_u32_e32 v16, v15
	v_min_u32_e32 v19, 32, v16
	v_subrev_u32_e32 v16, 28, v19
	v_lshlrev_b64 v[16:17], v16, v[2:3]
	v_lshrrev_b32_e32 v18, 3, v5
	v_sub_u32_e32 v17, 29, v19
	v_and_b32_e32 v16, 7, v16
	v_cmp_gt_u32_e32 vcc, 8, v5
	v_cndmask_b32_e32 v5, v18, v17, vcc
	v_cndmask_b32_e32 v15, v15, v16, vcc
	v_lshlrev_b32_e32 v2, 24, v2
	v_bfrev_b32_e32 v16, 60
	v_lshlrev_b32_e32 v15, 20, v15
	v_and_b32_e32 v2, 0x80000000, v2
	v_lshl_add_u32 v5, v5, 23, v16
	v_or3_b32 v15, v2, v5, v15
.LBB587_783:
	s_or_b64 exec, exec, s[10:11]
.LBB587_784:
	s_or_b64 exec, exec, s[8:9]
.LBB587_785:
	s_or_b64 exec, exec, s[2:3]
	v_cvt_pkrtz_f16_f32 v2, v10, v11
	v_cvt_pkrtz_f16_f32 v3, v3, v13
	ds_read_b128 v[16:19], v22 offset:6160
	s_load_dword s2, s[42:43], 0x0
	v_cmp_gt_u32_e32 vcc, 64, v0
	s_waitcnt lgkmcnt(0)
	v_mfma_f32_16x16x16f16 v[6:9], v[2:3], v[16:17], v[6:9]
	v_cvt_pkrtz_f16_f32 v2, v12, v14
	v_cvt_pkrtz_f16_f32 v3, v4, v15
	s_and_b64 s[0:1], vcc, s[0:1]
	s_barrier
	v_mfma_f32_16x16x16f16 v[2:5], v[2:3], v[18:19], v[6:9]
	s_nop 7
	s_nop 2
	v_pk_mul_f32 v[4:5], v[4:5], s[2:3] op_sel_hi:[1,0]
	v_pk_mul_f32 v[2:3], v[2:3], s[2:3] op_sel_hi:[1,0]
	v_cvt_f16_f32_e32 v2, v2
	v_cvt_f16_f32_e32 v3, v3
	;; [unrolled: 1-line block ×4, first 2 shown]
	v_pack_b32_f16 v2, v2, v3
	v_pack_b32_f16 v3, v4, v5
	ds_write_b64 v26, v[2:3]
	s_waitcnt lgkmcnt(0)
	s_barrier
	s_and_saveexec_b64 s[2:3], s[0:1]
	s_cbranch_execz .LBB587_788
; %bb.786:
	s_load_dwordx2 s[2:3], s[4:5], 0x68
	s_lshl_b32 s0, s44, 6
	s_mul_i32 s1, s12, s6
	s_mul_hi_u32 s7, s1, s0
	s_mul_i32 s6, s1, s0
	s_lshl_b64 s[6:7], s[6:7], 1
	s_waitcnt lgkmcnt(0)
	s_add_u32 s1, s2, s6
	v_lshlrev_b32_e32 v0, 10, v0
	s_mov_b32 s5, 0
	s_addc_u32 s6, s3, s7
	s_lshl_b32 s4, s24, 6
	v_and_b32_e32 v0, 0x1800, v0
	v_lshlrev_b32_e32 v2, 5, v1
	v_and_b32_e32 v3, 16, v47
	s_lshl_b64 s[2:3], s[4:5], 1
	v_or3_b32 v0, v0, v2, v3
	s_add_u32 s1, s1, s2
	ds_read_b128 v[6:9], v0 offset:256
	v_or_b32_e32 v2, 12, v1
	s_addc_u32 s2, s6, s3
	ds_read_b128 v[10:13], v0 offset:128
	ds_read_b128 v[14:17], v0
	v_add_u32_e32 v1, s25, v1
	v_mov_b32_e32 v4, s2
	v_add_co_u32_e32 v3, vcc, s1, v46
	v_mad_u64_u32 v[18:19], s[2:3], v1, s0, 0
	v_addc_co_u32_e32 v4, vcc, 0, v4, vcc
	v_lshlrev_b64 v[18:19], 1, v[18:19]
	v_add_co_u32_e32 v18, vcc, v3, v18
	v_addc_co_u32_e32 v19, vcc, v4, v19, vcc
	v_add_u32_e32 v5, 4, v1
	s_waitcnt lgkmcnt(0)
	global_store_dwordx4 v[18:19], v[14:17], off
	v_add_u32_e32 v1, 8, v1
	v_mad_u64_u32 v[14:15], s[2:3], v5, s0, 0
	v_lshlrev_b64 v[14:15], 1, v[14:15]
	v_add_co_u32_e32 v14, vcc, v3, v14
	v_addc_co_u32_e32 v15, vcc, v4, v15, vcc
	global_store_dwordx4 v[14:15], v[10:13], off
	s_nop 0
	v_mad_u64_u32 v[10:11], s[2:3], v1, s0, 0
	v_lshlrev_b64 v[10:11], 1, v[10:11]
	v_add_co_u32_e32 v10, vcc, v3, v10
	v_addc_co_u32_e32 v11, vcc, v4, v11, vcc
	v_cmp_gt_u32_e32 vcc, 14, v2
	global_store_dwordx4 v[10:11], v[6:9], off
	s_and_b64 exec, exec, vcc
	s_cbranch_execz .LBB587_788
; %bb.787:
	ds_read_b128 v[6:9], v0 offset:384
	v_add_u32_e32 v0, s25, v2
	v_mad_u64_u32 v[0:1], s[0:1], v0, s0, 0
	v_lshlrev_b64 v[0:1], 1, v[0:1]
	v_add_co_u32_e32 v0, vcc, v3, v0
	v_addc_co_u32_e32 v1, vcc, v4, v1, vcc
	s_waitcnt lgkmcnt(0)
	global_store_dwordx4 v[0:1], v[6:9], off
.LBB587_788:
	s_endpgm
	.section	.rodata,"a",@progbits
	.p2align	6, 0x0
	.amdhsa_kernel _Z39paged_attention_ll4mi_QKV_mfma16_kernelIDF16_hLN4vllm18Fp8KVCacheDataTypeE1EDF16_Li32ELi64ELi256ELb1ELi14EL8MFMAType0EEvPKT_PKT0_S8_ifPKiSA_SA_iPKfiiiPfSD_PS3_PT2_iSC_SC_
		.amdhsa_group_segment_fixed_size 8192
		.amdhsa_private_segment_fixed_size 0
		.amdhsa_kernarg_size 400
		.amdhsa_user_sgpr_count 6
		.amdhsa_user_sgpr_private_segment_buffer 1
		.amdhsa_user_sgpr_dispatch_ptr 0
		.amdhsa_user_sgpr_queue_ptr 0
		.amdhsa_user_sgpr_kernarg_segment_ptr 1
		.amdhsa_user_sgpr_dispatch_id 0
		.amdhsa_user_sgpr_flat_scratch_init 0
		.amdhsa_user_sgpr_kernarg_preload_length 0
		.amdhsa_user_sgpr_kernarg_preload_offset 0
		.amdhsa_user_sgpr_private_segment_size 0
		.amdhsa_uses_dynamic_stack 0
		.amdhsa_system_sgpr_private_segment_wavefront_offset 0
		.amdhsa_system_sgpr_workgroup_id_x 1
		.amdhsa_system_sgpr_workgroup_id_y 1
		.amdhsa_system_sgpr_workgroup_id_z 1
		.amdhsa_system_sgpr_workgroup_info 0
		.amdhsa_system_vgpr_workitem_id 0
		.amdhsa_next_free_vgpr 63
		.amdhsa_next_free_sgpr 47
		.amdhsa_accum_offset 64
		.amdhsa_reserve_vcc 1
		.amdhsa_reserve_flat_scratch 0
		.amdhsa_float_round_mode_32 0
		.amdhsa_float_round_mode_16_64 0
		.amdhsa_float_denorm_mode_32 3
		.amdhsa_float_denorm_mode_16_64 3
		.amdhsa_dx10_clamp 1
		.amdhsa_ieee_mode 1
		.amdhsa_fp16_overflow 0
		.amdhsa_tg_split 0
		.amdhsa_exception_fp_ieee_invalid_op 0
		.amdhsa_exception_fp_denorm_src 0
		.amdhsa_exception_fp_ieee_div_zero 0
		.amdhsa_exception_fp_ieee_overflow 0
		.amdhsa_exception_fp_ieee_underflow 0
		.amdhsa_exception_fp_ieee_inexact 0
		.amdhsa_exception_int_div_zero 0
	.end_amdhsa_kernel
	.section	.text._Z39paged_attention_ll4mi_QKV_mfma16_kernelIDF16_hLN4vllm18Fp8KVCacheDataTypeE1EDF16_Li32ELi64ELi256ELb1ELi14EL8MFMAType0EEvPKT_PKT0_S8_ifPKiSA_SA_iPKfiiiPfSD_PS3_PT2_iSC_SC_,"axG",@progbits,_Z39paged_attention_ll4mi_QKV_mfma16_kernelIDF16_hLN4vllm18Fp8KVCacheDataTypeE1EDF16_Li32ELi64ELi256ELb1ELi14EL8MFMAType0EEvPKT_PKT0_S8_ifPKiSA_SA_iPKfiiiPfSD_PS3_PT2_iSC_SC_,comdat
.Lfunc_end587:
	.size	_Z39paged_attention_ll4mi_QKV_mfma16_kernelIDF16_hLN4vllm18Fp8KVCacheDataTypeE1EDF16_Li32ELi64ELi256ELb1ELi14EL8MFMAType0EEvPKT_PKT0_S8_ifPKiSA_SA_iPKfiiiPfSD_PS3_PT2_iSC_SC_, .Lfunc_end587-_Z39paged_attention_ll4mi_QKV_mfma16_kernelIDF16_hLN4vllm18Fp8KVCacheDataTypeE1EDF16_Li32ELi64ELi256ELb1ELi14EL8MFMAType0EEvPKT_PKT0_S8_ifPKiSA_SA_iPKfiiiPfSD_PS3_PT2_iSC_SC_
                                        ; -- End function
	.section	.AMDGPU.csdata,"",@progbits
; Kernel info:
; codeLenInByte = 27412
; NumSgprs: 51
; NumVgprs: 63
; NumAgprs: 0
; TotalNumVgprs: 63
; ScratchSize: 0
; MemoryBound: 0
; FloatMode: 240
; IeeeMode: 1
; LDSByteSize: 8192 bytes/workgroup (compile time only)
; SGPRBlocks: 6
; VGPRBlocks: 7
; NumSGPRsForWavesPerEU: 51
; NumVGPRsForWavesPerEU: 63
; AccumOffset: 64
; Occupancy: 8
; WaveLimiterHint : 1
; COMPUTE_PGM_RSRC2:SCRATCH_EN: 0
; COMPUTE_PGM_RSRC2:USER_SGPR: 6
; COMPUTE_PGM_RSRC2:TRAP_HANDLER: 0
; COMPUTE_PGM_RSRC2:TGID_X_EN: 1
; COMPUTE_PGM_RSRC2:TGID_Y_EN: 1
; COMPUTE_PGM_RSRC2:TGID_Z_EN: 1
; COMPUTE_PGM_RSRC2:TIDIG_COMP_CNT: 0
; COMPUTE_PGM_RSRC3_GFX90A:ACCUM_OFFSET: 15
; COMPUTE_PGM_RSRC3_GFX90A:TG_SPLIT: 0
	.section	.text._Z39paged_attention_ll4mi_QKV_mfma16_kernelIDF16_hLN4vllm18Fp8KVCacheDataTypeE1EDF16_Li32ELi64ELi256ELb1ELi15EL8MFMAType0EEvPKT_PKT0_S8_ifPKiSA_SA_iPKfiiiPfSD_PS3_PT2_iSC_SC_,"axG",@progbits,_Z39paged_attention_ll4mi_QKV_mfma16_kernelIDF16_hLN4vllm18Fp8KVCacheDataTypeE1EDF16_Li32ELi64ELi256ELb1ELi15EL8MFMAType0EEvPKT_PKT0_S8_ifPKiSA_SA_iPKfiiiPfSD_PS3_PT2_iSC_SC_,comdat
	.protected	_Z39paged_attention_ll4mi_QKV_mfma16_kernelIDF16_hLN4vllm18Fp8KVCacheDataTypeE1EDF16_Li32ELi64ELi256ELb1ELi15EL8MFMAType0EEvPKT_PKT0_S8_ifPKiSA_SA_iPKfiiiPfSD_PS3_PT2_iSC_SC_ ; -- Begin function _Z39paged_attention_ll4mi_QKV_mfma16_kernelIDF16_hLN4vllm18Fp8KVCacheDataTypeE1EDF16_Li32ELi64ELi256ELb1ELi15EL8MFMAType0EEvPKT_PKT0_S8_ifPKiSA_SA_iPKfiiiPfSD_PS3_PT2_iSC_SC_
	.globl	_Z39paged_attention_ll4mi_QKV_mfma16_kernelIDF16_hLN4vllm18Fp8KVCacheDataTypeE1EDF16_Li32ELi64ELi256ELb1ELi15EL8MFMAType0EEvPKT_PKT0_S8_ifPKiSA_SA_iPKfiiiPfSD_PS3_PT2_iSC_SC_
	.p2align	8
	.type	_Z39paged_attention_ll4mi_QKV_mfma16_kernelIDF16_hLN4vllm18Fp8KVCacheDataTypeE1EDF16_Li32ELi64ELi256ELb1ELi15EL8MFMAType0EEvPKT_PKT0_S8_ifPKiSA_SA_iPKfiiiPfSD_PS3_PT2_iSC_SC_,@function
_Z39paged_attention_ll4mi_QKV_mfma16_kernelIDF16_hLN4vllm18Fp8KVCacheDataTypeE1EDF16_Li32ELi64ELi256ELb1ELi15EL8MFMAType0EEvPKT_PKT0_S8_ifPKiSA_SA_iPKfiiiPfSD_PS3_PT2_iSC_SC_: ; @_Z39paged_attention_ll4mi_QKV_mfma16_kernelIDF16_hLN4vllm18Fp8KVCacheDataTypeE1EDF16_Li32ELi64ELi256ELb1ELi15EL8MFMAType0EEvPKT_PKT0_S8_ifPKiSA_SA_iPKfiiiPfSD_PS3_PT2_iSC_SC_
; %bb.0:
	s_load_dwordx2 s[0:1], s[4:5], 0x30
	s_mov_b32 s24, s7
	s_mov_b64 s[10:11], 0
	s_waitcnt lgkmcnt(0)
	s_cmp_lg_u64 s[0:1], 0
	s_cselect_b64 s[2:3], -1, 0
	s_and_b64 vcc, exec, s[2:3]
	s_cbranch_vccz .LBB588_7
; %bb.1:
	s_add_i32 s12, s6, 1
	s_mov_b32 s13, 0
	s_lshl_b64 s[14:15], s[12:13], 2
	s_add_u32 s14, s0, s14
	s_mov_b32 s7, s13
	s_addc_u32 s15, s1, s15
	s_lshl_b64 s[12:13], s[6:7], 2
	s_add_u32 s12, s0, s12
	s_addc_u32 s13, s1, s13
	s_load_dword s9, s[14:15], 0x0
	s_load_dword s16, s[12:13], 0x0
	s_waitcnt lgkmcnt(0)
	s_sub_i32 s9, s9, s16
	s_cmp_eq_u32 s9, 1
	s_cselect_b64 s[12:13], -1, 0
	s_andn2_b64 vcc, exec, s[10:11]
	s_cbranch_vccnz .LBB588_3
.LBB588_2:
	s_mov_b32 s7, 0
	s_mov_b64 s[12:13], -1
.LBB588_3:
	s_andn2_b64 vcc, exec, s[12:13]
	s_cbranch_vccnz .LBB588_788
; %bb.4:
	s_load_dwordx2 s[12:13], s[4:5], 0x28
	s_lshl_b64 s[10:11], s[6:7], 2
	s_waitcnt lgkmcnt(0)
	s_add_u32 s12, s12, s10
	s_addc_u32 s13, s13, s11
	s_load_dword s33, s[12:13], 0x0
	s_lshl_b32 s18, s24, 8
	s_waitcnt lgkmcnt(0)
	s_cmp_ge_i32 s18, s33
	s_cbranch_scc1 .LBB588_788
; %bb.5:
	s_add_i32 s14, s33, 31
	s_load_dwordx2 s[12:13], s[4:5], 0x20
	s_load_dword s9, s[4:5], 0x38
	s_ashr_i32 s15, s14, 31
	v_and_b32_e32 v1, 0xcf, v0
	s_lshr_b32 s15, s15, 27
	v_add_u32_e32 v1, s18, v1
	s_add_i32 s14, s14, s15
	v_ashrrev_i32_e32 v2, 31, v1
	s_ashr_i32 s21, s14, 5
	v_lshrrev_b32_e32 v4, 27, v2
	s_add_i32 s21, s21, -1
	v_add_u32_e32 v2, v1, v4
	s_waitcnt lgkmcnt(0)
	s_mul_i32 s14, s6, s9
	s_mov_b32 s15, 0
	v_ashrrev_i32_e32 v2, 5, v2
	v_mov_b32_e32 v5, s21
	v_cmp_gt_i32_e32 vcc, s33, v1
	s_lshl_b64 s[14:15], s[14:15], 2
	v_cndmask_b32_e32 v2, v5, v2, vcc
	s_add_u32 s19, s12, s14
	v_ashrrev_i32_e32 v3, 31, v2
	s_addc_u32 s20, s13, s15
	v_lshlrev_b64 v[2:3], 2, v[2:3]
	v_mov_b32_e32 v7, s20
	v_add_co_u32_e32 v6, vcc, s19, v2
	v_or_b32_e32 v2, 16, v1
	v_addc_co_u32_e32 v7, vcc, v7, v3, vcc
	v_add_u32_e32 v3, v2, v4
	v_ashrrev_i32_e32 v3, 5, v3
	v_cmp_gt_i32_e32 vcc, s33, v2
	v_cndmask_b32_e32 v2, v5, v3, vcc
	v_ashrrev_i32_e32 v3, 31, v2
	v_lshlrev_b64 v[2:3], 2, v[2:3]
	v_mov_b32_e32 v9, s20
	v_add_co_u32_e32 v8, vcc, s19, v2
	v_or_b32_e32 v2, 32, v1
	v_addc_co_u32_e32 v9, vcc, v9, v3, vcc
	v_add_u32_e32 v3, v2, v4
	v_ashrrev_i32_e32 v3, 5, v3
	v_cmp_gt_i32_e32 vcc, s33, v2
	v_cndmask_b32_e32 v2, v5, v3, vcc
	v_ashrrev_i32_e32 v3, 31, v2
	;; [unrolled: 10-line block ×3, first 2 shown]
	v_lshlrev_b64 v[2:3], 2, v[2:3]
	v_mov_b32_e32 v1, s20
	v_add_co_u32_e32 v12, vcc, s19, v2
	v_addc_co_u32_e32 v13, vcc, v1, v3, vcc
	global_load_dword v5, v[6:7], off
	global_load_dword v4, v[8:9], off
	global_load_dword v3, v[10:11], off
	global_load_dword v2, v[12:13], off
	s_load_dwordx2 s[16:17], s[4:5], 0x8
	s_andn2_b64 vcc, exec, s[2:3]
	s_cbranch_vccnz .LBB588_8
; %bb.6:
	s_add_u32 s0, s0, s10
	s_addc_u32 s1, s1, s11
	s_load_dword s9, s[0:1], 0x0
	s_branch .LBB588_9
.LBB588_7:
	s_mov_b64 s[12:13], 0
	s_branch .LBB588_2
.LBB588_8:
	s_mov_b32 s9, s6
.LBB588_9:
	s_load_dwordx2 s[2:3], s[4:5], 0x10
	s_load_dwordx4 s[12:15], s[4:5], 0x48
	v_lshrrev_b32_e32 v50, 6, v0
	v_bfe_u32 v1, v0, 4, 2
	v_lshl_or_b32 v6, v50, 2, v1
	v_and_b32_e32 v49, 15, v0
	v_lshlrev_b32_e32 v7, 3, v49
	v_cmp_gt_u32_e32 vcc, 15, v6
	v_cmp_gt_u32_e64 s[0:1], 8, v49
	s_mul_i32 s25, s8, 15
	s_and_b64 s[22:23], s[0:1], vcc
	v_lshlrev_b32_e32 v46, 1, v7
	v_lshlrev_b32_e32 v47, 4, v0
	s_and_saveexec_b64 s[10:11], s[22:23]
	s_cbranch_execz .LBB588_11
; %bb.10:
	s_load_dwordx2 s[22:23], s[4:5], 0x0
	s_waitcnt lgkmcnt(0)
	s_ashr_i32 s15, s12, 31
	s_mul_hi_u32 s26, s9, s12
	s_mul_i32 s15, s9, s15
	s_add_i32 s27, s26, s15
	s_mul_i32 s26, s9, s12
	s_lshl_b64 s[26:27], s[26:27], 1
	v_add_lshl_u32 v8, v6, s25, 6
	s_add_u32 s9, s22, s26
	v_ashrrev_i32_e32 v9, 31, v8
	s_addc_u32 s12, s23, s27
	v_lshlrev_b64 v[8:9], 1, v[8:9]
	v_mov_b32_e32 v7, s12
	v_add_co_u32_e32 v8, vcc, s9, v8
	v_addc_co_u32_e32 v7, vcc, v7, v9, vcc
	v_add_co_u32_e32 v8, vcc, v8, v46
	v_addc_co_u32_e32 v9, vcc, 0, v7, vcc
	global_load_dwordx4 v[8:11], v[8:9], off
	v_lshlrev_b32_e32 v12, 8, v49
	v_lshlrev_b32_e32 v6, 5, v6
	v_and_b32_e32 v7, 16, v47
	v_and_b32_e32 v12, 0xe00, v12
	v_or3_b32 v6, v12, v6, v7
	s_waitcnt vmcnt(0)
	ds_write_b128 v6, v[8:11]
.LBB588_11:
	s_or_b64 exec, exec, s[10:11]
	s_waitcnt lgkmcnt(0)
	s_mul_i32 s10, s8, s14
	s_add_u32 s8, s16, s10
	s_addc_u32 s9, s17, 0
	v_pk_mov_b32 v[8:9], s[8:9], s[8:9] op_sel:[0,1]
	s_waitcnt vmcnt(3)
	v_mad_i64_i32 v[10:11], s[8:9], v5, s13, v[8:9]
	v_lshlrev_b32_e32 v12, 4, v49
	v_and_b32_e32 v6, 48, v0
	v_add_co_u32_e32 v5, vcc, v10, v12
	v_lshlrev_b32_e32 v7, 5, v6
	v_addc_co_u32_e32 v11, vcc, 0, v11, vcc
	v_add_co_u32_e32 v10, vcc, v5, v7
	v_addc_co_u32_e32 v11, vcc, 0, v11, vcc
	s_waitcnt vmcnt(2)
	v_mad_i64_i32 v[4:5], s[8:9], v4, s13, v[8:9]
	v_or_b32_e32 v13, 0x100, v12
	v_add_co_u32_e32 v4, vcc, v4, v13
	v_addc_co_u32_e32 v5, vcc, 0, v5, vcc
	v_add_co_u32_e32 v4, vcc, v4, v7
	v_addc_co_u32_e32 v5, vcc, 0, v5, vcc
	s_barrier
	global_load_dwordx4 v[34:37], v[10:11], off
	global_load_dwordx4 v[38:41], v[4:5], off
	s_waitcnt vmcnt(3)
	v_mad_i64_i32 v[4:5], s[8:9], v3, s13, v[8:9]
	v_add_co_u32_e32 v3, vcc, v4, v12
	v_addc_co_u32_e32 v5, vcc, 0, v5, vcc
	v_add_co_u32_e32 v4, vcc, v3, v7
	v_addc_co_u32_e32 v5, vcc, 0, v5, vcc
	s_waitcnt vmcnt(2)
	v_mad_i64_i32 v[2:3], s[8:9], v2, s13, v[8:9]
	v_add_co_u32_e32 v2, vcc, v2, v13
	v_addc_co_u32_e32 v3, vcc, 0, v3, vcc
	v_add_co_u32_e32 v2, vcc, v2, v7
	v_addc_co_u32_e32 v3, vcc, 0, v3, vcc
	global_load_dwordx4 v[30:33], v[4:5], off
	global_load_dwordx4 v[22:25], v[2:3], off
	v_cmp_ne_u32_e32 vcc, 15, v49
	v_cndmask_b32_e32 v2, 0, v49, vcc
	v_lshlrev_b32_e32 v2, 5, v2
	v_lshl_or_b32 v2, v1, 9, v2
	ds_read_b128 v[26:29], v2
	ds_read_b128 v[18:21], v2 offset:16
	v_mov_b32_e32 v43, 0
	v_mov_b32_e32 v51, 0
	s_and_saveexec_b64 s[8:9], vcc
	s_cbranch_execz .LBB588_13
; %bb.12:
	s_load_dwordx2 s[14:15], s[4:5], 0x40
	v_add_u32_e32 v2, s25, v49
	v_ashrrev_i32_e32 v3, 31, v2
	v_lshlrev_b64 v[2:3], 2, v[2:3]
	s_waitcnt lgkmcnt(0)
	v_mov_b32_e32 v4, s15
	v_add_co_u32_e32 v2, vcc, s14, v2
	v_addc_co_u32_e32 v3, vcc, v4, v3, vcc
	global_load_dword v51, v[2:3], off
.LBB588_13:
	s_or_b64 exec, exec, s[8:9]
	s_ashr_i32 s8, s18, 31
	v_or_b32_e32 v8, s18, v6
	s_lshr_b32 s8, s8, 27
	v_add_u32_e32 v2, s8, v8
	v_ashrrev_i32_e32 v2, 5, v2
	v_mov_b32_e32 v9, s21
	v_cmp_gt_i32_e32 vcc, s33, v8
	v_cndmask_b32_e32 v2, v9, v2, vcc
	v_ashrrev_i32_e32 v3, 31, v2
	v_lshlrev_b64 v[2:3], 2, v[2:3]
	v_mov_b32_e32 v4, s20
	v_add_co_u32_e32 v2, vcc, s19, v2
	v_addc_co_u32_e32 v3, vcc, v4, v3, vcc
	v_or_b32_e32 v4, 64, v8
	v_add_u32_e32 v5, s8, v4
	v_ashrrev_i32_e32 v5, 5, v5
	v_cmp_gt_i32_e32 vcc, s33, v4
	v_cndmask_b32_e32 v4, v9, v5, vcc
	v_ashrrev_i32_e32 v5, 31, v4
	v_lshlrev_b64 v[4:5], 2, v[4:5]
	v_mov_b32_e32 v6, s20
	v_add_co_u32_e32 v4, vcc, s19, v4
	v_addc_co_u32_e32 v5, vcc, v6, v5, vcc
	v_or_b32_e32 v6, 0x80, v8
	v_add_u32_e32 v7, s8, v6
	v_ashrrev_i32_e32 v7, 5, v7
	v_cmp_gt_i32_e32 vcc, s33, v6
	v_cndmask_b32_e32 v6, v9, v7, vcc
	v_ashrrev_i32_e32 v7, 31, v6
	v_lshlrev_b64 v[6:7], 2, v[6:7]
	v_mov_b32_e32 v10, s20
	v_add_co_u32_e32 v6, vcc, s19, v6
	v_addc_co_u32_e32 v7, vcc, v10, v7, vcc
	global_load_dword v10, v[2:3], off
	global_load_dword v11, v[4:5], off
	;; [unrolled: 1-line block ×3, first 2 shown]
	v_or_b32_e32 v2, 0xc0, v8
	v_add_u32_e32 v3, s8, v2
	v_ashrrev_i32_e32 v3, 5, v3
	v_cmp_gt_i32_e32 vcc, s33, v2
	v_cndmask_b32_e32 v2, v9, v3, vcc
	v_ashrrev_i32_e32 v3, 31, v2
	v_lshlrev_b64 v[2:3], 2, v[2:3]
	v_mov_b32_e32 v4, s20
	v_add_co_u32_e32 v2, vcc, s19, v2
	v_addc_co_u32_e32 v3, vcc, v4, v3, vcc
	global_load_dword v13, v[2:3], off
	s_add_u32 s2, s2, s10
	v_and_b32_e32 v2, 16, v0
	s_addc_u32 s3, s3, 0
	v_lshlrev_b32_e32 v48, 5, v49
	v_mov_b32_e32 v4, s3
	v_add_co_u32_e32 v2, vcc, s2, v2
	v_lshl_or_b32 v3, v50, 9, v48
	v_addc_co_u32_e32 v4, vcc, 0, v4, vcc
	v_add_co_u32_e32 v2, vcc, v2, v3
	v_addc_co_u32_e32 v3, vcc, 0, v4, vcc
	s_movk_i32 s8, 0x80
	s_waitcnt vmcnt(7)
	v_cmp_ne_u16_sdwa s[10:11], v34, v43 src0_sel:BYTE_0 src1_sel:DWORD
	s_waitcnt vmcnt(3)
	v_mad_i64_i32 v[4:5], s[2:3], v10, s13, v[2:3]
	s_waitcnt vmcnt(2)
	v_mad_i64_i32 v[6:7], s[2:3], v11, s13, v[2:3]
	;; [unrolled: 2-line block ×4, first 2 shown]
	global_load_dwordx4 v[14:17], v[4:5], off
	global_load_dwordx4 v[10:13], v[6:7], off
	s_nop 0
	global_load_dwordx4 v[6:9], v[8:9], off
	s_nop 0
	global_load_dwordx4 v[2:5], v[2:3], off
	s_load_dwordx4 s[40:43], s[4:5], 0x80
	s_load_dwordx2 s[44:45], s[4:5], 0x94
	s_waitcnt lgkmcnt(0)
	s_load_dword s12, s[40:41], 0x0
	s_and_saveexec_b64 s[2:3], s[10:11]
	s_cbranch_execz .LBB588_19
; %bb.14:
	v_cmp_ne_u16_sdwa s[10:11], v34, s8 src0_sel:BYTE_0 src1_sel:DWORD
	v_bfrev_b32_e32 v43, 1
	s_and_saveexec_b64 s[8:9], s[10:11]
	s_cbranch_execz .LBB588_18
; %bb.15:
	s_movk_i32 s10, 0x7f
	v_and_b32_e32 v42, 0x7f, v34
	v_cmp_ne_u32_e32 vcc, s10, v42
	v_mov_b32_e32 v43, 0x7f800001
	s_and_saveexec_b64 s[10:11], vcc
	s_cbranch_execz .LBB588_17
; %bb.16:
	v_and_b32_e32 v43, 7, v34
	v_ffbh_u32_e32 v44, v43
	v_min_u32_e32 v53, 32, v44
	v_subrev_u32_e32 v44, 28, v53
	v_lshlrev_b64 v[44:45], v44, v[34:35]
	v_lshrrev_b32_e32 v52, 3, v42
	v_sub_u32_e32 v45, 29, v53
	v_and_b32_e32 v44, 7, v44
	v_cmp_gt_u32_e32 vcc, 8, v42
	v_cndmask_b32_e32 v42, v52, v45, vcc
	v_cndmask_b32_e32 v43, v43, v44, vcc
	v_lshlrev_b32_e32 v44, 24, v34
	v_bfrev_b32_e32 v45, 60
	v_lshlrev_b32_e32 v43, 20, v43
	v_and_b32_e32 v44, 0x80000000, v44
	v_lshl_add_u32 v42, v42, 23, v45
	v_or3_b32 v43, v44, v42, v43
.LBB588_17:
	s_or_b64 exec, exec, s[10:11]
.LBB588_18:
	s_or_b64 exec, exec, s[8:9]
.LBB588_19:
	s_or_b64 exec, exec, s[2:3]
	v_lshrrev_b16_e32 v42, 8, v34
	v_cmp_ne_u16_e32 vcc, 0, v42
	v_mov_b32_e32 v44, 0
	v_mov_b32_e32 v45, 0
	s_and_saveexec_b64 s[2:3], vcc
	s_cbranch_execz .LBB588_25
; %bb.20:
	s_movk_i32 s8, 0x80
	v_cmp_ne_u16_e32 vcc, s8, v42
	v_bfrev_b32_e32 v45, 1
	s_and_saveexec_b64 s[8:9], vcc
	s_cbranch_execz .LBB588_24
; %bb.21:
	s_movk_i32 s10, 0x7f
	v_and_b32_e32 v52, 0x7f, v42
	v_cmp_ne_u32_e32 vcc, s10, v52
	v_mov_b32_e32 v45, 0x7f800001
	s_and_saveexec_b64 s[10:11], vcc
	s_cbranch_execz .LBB588_23
; %bb.22:
	v_and_b32_e32 v45, 7, v42
	v_ffbh_u32_e32 v54, v45
	v_min_u32_e32 v56, 32, v54
	v_subrev_u32_e32 v54, 28, v56
	v_lshlrev_b64 v[54:55], v54, v[42:43]
	v_lshrrev_b32_e32 v53, 3, v52
	v_sub_u32_e32 v42, 29, v56
	v_and_b32_e32 v54, 7, v54
	v_cmp_gt_u32_e32 vcc, 8, v52
	v_cndmask_b32_e32 v42, v53, v42, vcc
	v_cndmask_b32_e32 v45, v45, v54, vcc
	v_lshlrev_b32_e32 v52, 16, v34
	v_bfrev_b32_e32 v53, 60
	v_lshlrev_b32_e32 v45, 20, v45
	v_and_b32_e32 v52, 0x80000000, v52
	v_lshl_add_u32 v42, v42, 23, v53
	v_or3_b32 v45, v52, v42, v45
.LBB588_23:
	s_or_b64 exec, exec, s[10:11]
.LBB588_24:
	s_or_b64 exec, exec, s[8:9]
.LBB588_25:
	s_or_b64 exec, exec, s[2:3]
	s_movk_i32 s2, 0xff
	v_and_b32_sdwa v52, v34, s2 dst_sel:DWORD dst_unused:UNUSED_PAD src0_sel:WORD_1 src1_sel:DWORD
	v_lshrrev_b32_e32 v42, 16, v34
	v_cmp_ne_u16_e32 vcc, 0, v52
	s_and_saveexec_b64 s[2:3], vcc
	s_cbranch_execz .LBB588_31
; %bb.26:
	s_movk_i32 s8, 0x80
	v_cmp_ne_u16_e32 vcc, s8, v52
	v_bfrev_b32_e32 v44, 1
	s_and_saveexec_b64 s[8:9], vcc
	s_cbranch_execz .LBB588_30
; %bb.27:
	v_bfe_u32 v52, v34, 16, 7
	s_movk_i32 s10, 0x7f
	v_cmp_ne_u32_e32 vcc, s10, v52
	v_mov_b32_e32 v44, 0x7f800001
	s_and_saveexec_b64 s[10:11], vcc
	s_cbranch_execz .LBB588_29
; %bb.28:
	v_and_b32_e32 v44, 7, v42
	v_ffbh_u32_e32 v54, v44
	v_min_u32_e32 v56, 32, v54
	v_subrev_u32_e32 v54, 28, v56
	v_lshlrev_b64 v[54:55], v54, v[42:43]
	v_lshrrev_b32_e32 v53, 3, v52
	v_sub_u32_e32 v42, 29, v56
	v_and_b32_e32 v54, 7, v54
	v_cmp_gt_u32_e32 vcc, 8, v52
	v_mov_b32_e32 v52, 24
	v_cndmask_b32_e32 v42, v53, v42, vcc
	v_cndmask_b32_e32 v44, v44, v54, vcc
	v_lshlrev_b32_sdwa v52, v52, v34 dst_sel:DWORD dst_unused:UNUSED_PAD src0_sel:DWORD src1_sel:WORD_1
	v_bfrev_b32_e32 v53, 60
	v_lshlrev_b32_e32 v44, 20, v44
	v_and_b32_e32 v52, 0x80000000, v52
	v_lshl_add_u32 v42, v42, 23, v53
	v_or3_b32 v44, v52, v42, v44
.LBB588_29:
	s_or_b64 exec, exec, s[10:11]
.LBB588_30:
	s_or_b64 exec, exec, s[8:9]
.LBB588_31:
	s_or_b64 exec, exec, s[2:3]
	s_mov_b32 s2, 0xffffff
	v_cmp_lt_u32_e32 vcc, s2, v34
	v_mov_b32_e32 v53, 0
	v_mov_b32_e32 v54, 0
	s_and_saveexec_b64 s[2:3], vcc
	s_cbranch_execz .LBB588_37
; %bb.32:
	v_lshrrev_b32_e32 v42, 24, v34
	s_movk_i32 s8, 0x80
	v_cmp_ne_u32_e32 vcc, s8, v42
	v_bfrev_b32_e32 v54, 1
	s_and_saveexec_b64 s[8:9], vcc
	s_cbranch_execz .LBB588_36
; %bb.33:
	v_bfe_u32 v34, v34, 24, 7
	s_movk_i32 s10, 0x7f
	v_cmp_ne_u32_e32 vcc, s10, v34
	v_mov_b32_e32 v54, 0x7f800001
	s_and_saveexec_b64 s[10:11], vcc
	s_cbranch_execz .LBB588_35
; %bb.34:
	v_and_b32_e32 v52, 7, v42
	v_ffbh_u32_e32 v54, v52
	v_min_u32_e32 v57, 32, v54
	v_subrev_u32_e32 v54, 28, v57
	v_lshlrev_b64 v[54:55], v54, v[42:43]
	v_lshrrev_b32_e32 v56, 3, v34
	v_sub_u32_e32 v55, 29, v57
	v_and_b32_e32 v54, 7, v54
	v_cmp_gt_u32_e32 vcc, 8, v34
	v_cndmask_b32_e32 v34, v56, v55, vcc
	v_cndmask_b32_e32 v52, v52, v54, vcc
	v_lshlrev_b32_e32 v42, 24, v42
	v_bfrev_b32_e32 v54, 60
	v_lshlrev_b32_e32 v52, 20, v52
	v_and_b32_e32 v42, 0x80000000, v42
	v_lshl_add_u32 v34, v34, 23, v54
	v_or3_b32 v54, v42, v34, v52
.LBB588_35:
	s_or_b64 exec, exec, s[10:11]
.LBB588_36:
	s_or_b64 exec, exec, s[8:9]
.LBB588_37:
	s_or_b64 exec, exec, s[2:3]
	v_cmp_ne_u16_sdwa s[8:9], v35, v53 src0_sel:BYTE_0 src1_sel:DWORD
	s_and_saveexec_b64 s[2:3], s[8:9]
	s_cbranch_execz .LBB588_43
; %bb.38:
	s_movk_i32 s8, 0x80
	v_cmp_ne_u16_sdwa s[10:11], v35, s8 src0_sel:BYTE_0 src1_sel:DWORD
	v_bfrev_b32_e32 v53, 1
	s_and_saveexec_b64 s[8:9], s[10:11]
	s_cbranch_execz .LBB588_42
; %bb.39:
	s_movk_i32 s10, 0x7f
	v_and_b32_e32 v34, 0x7f, v35
	v_cmp_ne_u32_e32 vcc, s10, v34
	v_mov_b32_e32 v53, 0x7f800001
	s_and_saveexec_b64 s[10:11], vcc
	s_cbranch_execz .LBB588_41
; %bb.40:
	v_and_b32_e32 v55, 7, v35
	v_ffbh_u32_e32 v52, v55
	v_min_u32_e32 v57, 32, v52
	v_mov_b32_e32 v42, v35
	v_subrev_u32_e32 v52, 28, v57
	v_lshlrev_b64 v[52:53], v52, v[42:43]
	v_lshrrev_b32_e32 v56, 3, v34
	v_sub_u32_e32 v42, 29, v57
	v_and_b32_e32 v52, 7, v52
	v_cmp_gt_u32_e32 vcc, 8, v34
	v_cndmask_b32_e32 v34, v56, v42, vcc
	v_cndmask_b32_e32 v42, v55, v52, vcc
	v_lshlrev_b32_e32 v52, 24, v35
	v_bfrev_b32_e32 v53, 60
	v_lshlrev_b32_e32 v42, 20, v42
	v_and_b32_e32 v52, 0x80000000, v52
	v_lshl_add_u32 v34, v34, 23, v53
	v_or3_b32 v53, v52, v34, v42
.LBB588_41:
	s_or_b64 exec, exec, s[10:11]
.LBB588_42:
	s_or_b64 exec, exec, s[8:9]
.LBB588_43:
	s_or_b64 exec, exec, s[2:3]
	v_lshrrev_b16_e32 v34, 8, v35
	v_cmp_ne_u16_e32 vcc, 0, v34
	v_mov_b32_e32 v42, 0
	v_mov_b32_e32 v55, 0
	s_and_saveexec_b64 s[2:3], vcc
	s_cbranch_execz .LBB588_49
; %bb.44:
	s_movk_i32 s8, 0x80
	v_cmp_ne_u16_e32 vcc, s8, v34
	v_bfrev_b32_e32 v55, 1
	s_and_saveexec_b64 s[8:9], vcc
	s_cbranch_execz .LBB588_48
; %bb.45:
	s_movk_i32 s10, 0x7f
	v_and_b32_e32 v52, 0x7f, v34
	v_cmp_ne_u32_e32 vcc, s10, v52
	v_mov_b32_e32 v55, 0x7f800001
	s_and_saveexec_b64 s[10:11], vcc
	s_cbranch_execz .LBB588_47
; %bb.46:
	v_and_b32_e32 v55, 7, v34
	v_ffbh_u32_e32 v56, v55
	v_min_u32_e32 v59, 32, v56
	v_subrev_u32_e32 v56, 28, v59
	v_lshlrev_b64 v[56:57], v56, v[34:35]
	v_lshrrev_b32_e32 v58, 3, v52
	v_sub_u32_e32 v34, 29, v59
	v_and_b32_e32 v56, 7, v56
	v_cmp_gt_u32_e32 vcc, 8, v52
	v_cndmask_b32_e32 v34, v58, v34, vcc
	v_cndmask_b32_e32 v52, v55, v56, vcc
	v_lshlrev_b32_e32 v55, 16, v35
	v_bfrev_b32_e32 v56, 60
	v_lshlrev_b32_e32 v52, 20, v52
	v_and_b32_e32 v55, 0x80000000, v55
	v_lshl_add_u32 v34, v34, 23, v56
	v_or3_b32 v55, v55, v34, v52
.LBB588_47:
	s_or_b64 exec, exec, s[10:11]
.LBB588_48:
	s_or_b64 exec, exec, s[8:9]
.LBB588_49:
	s_or_b64 exec, exec, s[2:3]
	s_movk_i32 s2, 0xff
	v_and_b32_sdwa v52, v35, s2 dst_sel:DWORD dst_unused:UNUSED_PAD src0_sel:WORD_1 src1_sel:DWORD
	v_lshrrev_b32_e32 v34, 16, v35
	v_cmp_ne_u16_e32 vcc, 0, v52
	s_and_saveexec_b64 s[2:3], vcc
	s_cbranch_execz .LBB588_55
; %bb.50:
	s_movk_i32 s8, 0x80
	v_cmp_ne_u16_e32 vcc, s8, v52
	v_bfrev_b32_e32 v42, 1
	s_and_saveexec_b64 s[8:9], vcc
	s_cbranch_execz .LBB588_54
; %bb.51:
	v_bfe_u32 v52, v35, 16, 7
	s_movk_i32 s10, 0x7f
	v_cmp_ne_u32_e32 vcc, s10, v52
	v_mov_b32_e32 v42, 0x7f800001
	s_and_saveexec_b64 s[10:11], vcc
	s_cbranch_execz .LBB588_53
; %bb.52:
	v_and_b32_e32 v42, 7, v34
	v_ffbh_u32_e32 v56, v42
	v_min_u32_e32 v59, 32, v56
	v_subrev_u32_e32 v56, 28, v59
	v_lshlrev_b64 v[56:57], v56, v[34:35]
	v_lshrrev_b32_e32 v58, 3, v52
	v_sub_u32_e32 v34, 29, v59
	v_and_b32_e32 v56, 7, v56
	v_cmp_gt_u32_e32 vcc, 8, v52
	v_mov_b32_e32 v52, 24
	v_cndmask_b32_e32 v34, v58, v34, vcc
	v_cndmask_b32_e32 v42, v42, v56, vcc
	v_lshlrev_b32_sdwa v52, v52, v35 dst_sel:DWORD dst_unused:UNUSED_PAD src0_sel:DWORD src1_sel:WORD_1
	v_bfrev_b32_e32 v56, 60
	v_lshlrev_b32_e32 v42, 20, v42
	v_and_b32_e32 v52, 0x80000000, v52
	v_lshl_add_u32 v34, v34, 23, v56
	v_or3_b32 v42, v52, v34, v42
.LBB588_53:
	s_or_b64 exec, exec, s[10:11]
.LBB588_54:
	s_or_b64 exec, exec, s[8:9]
.LBB588_55:
	s_or_b64 exec, exec, s[2:3]
	s_mov_b32 s2, 0xffffff
	v_cmp_lt_u32_e32 vcc, s2, v35
	v_mov_b32_e32 v52, 0
	v_mov_b32_e32 v56, 0
	s_and_saveexec_b64 s[2:3], vcc
	s_cbranch_execz .LBB588_61
; %bb.56:
	v_lshrrev_b32_e32 v34, 24, v35
	s_movk_i32 s8, 0x80
	v_cmp_ne_u32_e32 vcc, s8, v34
	v_bfrev_b32_e32 v56, 1
	s_and_saveexec_b64 s[8:9], vcc
	s_cbranch_execz .LBB588_60
; %bb.57:
	v_bfe_u32 v35, v35, 24, 7
	s_movk_i32 s10, 0x7f
	v_cmp_ne_u32_e32 vcc, s10, v35
	v_mov_b32_e32 v56, 0x7f800001
	s_and_saveexec_b64 s[10:11], vcc
	s_cbranch_execz .LBB588_59
; %bb.58:
	v_and_b32_e32 v58, 7, v34
	v_ffbh_u32_e32 v56, v58
	v_min_u32_e32 v60, 32, v56
	v_subrev_u32_e32 v56, 28, v60
	v_lshlrev_b64 v[56:57], v56, v[34:35]
	v_lshrrev_b32_e32 v59, 3, v35
	v_sub_u32_e32 v57, 29, v60
	v_and_b32_e32 v56, 7, v56
	v_cmp_gt_u32_e32 vcc, 8, v35
	v_cndmask_b32_e32 v35, v59, v57, vcc
	v_cndmask_b32_e32 v56, v58, v56, vcc
	v_lshlrev_b32_e32 v34, 24, v34
	v_bfrev_b32_e32 v57, 60
	v_lshlrev_b32_e32 v56, 20, v56
	v_and_b32_e32 v34, 0x80000000, v34
	v_lshl_add_u32 v35, v35, 23, v57
	v_or3_b32 v56, v34, v35, v56
.LBB588_59:
	s_or_b64 exec, exec, s[10:11]
.LBB588_60:
	s_or_b64 exec, exec, s[8:9]
.LBB588_61:
	s_or_b64 exec, exec, s[2:3]
	v_cvt_pkrtz_f16_f32 v34, v43, v45
	v_cvt_pkrtz_f16_f32 v35, v44, v54
	v_cmp_ne_u16_sdwa s[8:9], v36, v52 src0_sel:BYTE_0 src1_sel:DWORD
	s_nop 0
	v_mfma_f32_16x16x16f16 v[58:61], v[34:35], v[26:27], 0
	v_cvt_pkrtz_f16_f32 v34, v53, v55
	v_cvt_pkrtz_f16_f32 v35, v42, v56
	s_nop 1
	v_mfma_f32_16x16x16f16 v[42:45], v[34:35], v[28:29], v[58:61]
	s_and_saveexec_b64 s[2:3], s[8:9]
	s_cbranch_execz .LBB588_67
; %bb.62:
	s_movk_i32 s8, 0x80
	v_cmp_ne_u16_sdwa s[10:11], v36, s8 src0_sel:BYTE_0 src1_sel:DWORD
	v_bfrev_b32_e32 v52, 1
	s_and_saveexec_b64 s[8:9], s[10:11]
	s_cbranch_execz .LBB588_66
; %bb.63:
	s_movk_i32 s10, 0x7f
	v_and_b32_e32 v34, 0x7f, v36
	v_cmp_ne_u32_e32 vcc, s10, v34
	v_mov_b32_e32 v52, 0x7f800001
	s_and_saveexec_b64 s[10:11], vcc
	s_cbranch_execz .LBB588_65
; %bb.64:
	v_and_b32_e32 v35, 7, v36
	v_ffbh_u32_e32 v52, v35
	v_min_u32_e32 v55, 32, v52
	v_subrev_u32_e32 v52, 28, v55
	v_lshlrev_b64 v[52:53], v52, v[36:37]
	v_lshrrev_b32_e32 v54, 3, v34
	v_sub_u32_e32 v53, 29, v55
	v_and_b32_e32 v52, 7, v52
	v_cmp_gt_u32_e32 vcc, 8, v34
	v_cndmask_b32_e32 v34, v54, v53, vcc
	v_cndmask_b32_e32 v35, v35, v52, vcc
	v_lshlrev_b32_e32 v52, 24, v36
	v_bfrev_b32_e32 v53, 60
	v_lshlrev_b32_e32 v35, 20, v35
	v_and_b32_e32 v52, 0x80000000, v52
	v_lshl_add_u32 v34, v34, 23, v53
	v_or3_b32 v52, v52, v34, v35
.LBB588_65:
	s_or_b64 exec, exec, s[10:11]
.LBB588_66:
	s_or_b64 exec, exec, s[8:9]
.LBB588_67:
	s_or_b64 exec, exec, s[2:3]
	v_lshrrev_b16_e32 v34, 8, v36
	v_cmp_ne_u16_e32 vcc, 0, v34
	v_mov_b32_e32 v35, 0
	v_mov_b32_e32 v54, 0
	s_and_saveexec_b64 s[2:3], vcc
	s_cbranch_execz .LBB588_73
; %bb.68:
	s_movk_i32 s8, 0x80
	v_cmp_ne_u16_e32 vcc, s8, v34
	v_bfrev_b32_e32 v54, 1
	s_and_saveexec_b64 s[8:9], vcc
	s_cbranch_execz .LBB588_72
; %bb.69:
	s_movk_i32 s10, 0x7f
	v_and_b32_e32 v53, 0x7f, v34
	v_cmp_ne_u32_e32 vcc, s10, v53
	v_mov_b32_e32 v54, 0x7f800001
	s_and_saveexec_b64 s[10:11], vcc
	s_cbranch_execz .LBB588_71
; %bb.70:
	v_and_b32_e32 v56, 7, v34
	v_ffbh_u32_e32 v54, v56
	v_min_u32_e32 v58, 32, v54
	v_subrev_u32_e32 v54, 28, v58
	v_lshlrev_b64 v[54:55], v54, v[34:35]
	v_lshrrev_b32_e32 v57, 3, v53
	v_sub_u32_e32 v34, 29, v58
	v_and_b32_e32 v54, 7, v54
	v_cmp_gt_u32_e32 vcc, 8, v53
	v_cndmask_b32_e32 v34, v57, v34, vcc
	v_cndmask_b32_e32 v53, v56, v54, vcc
	v_lshlrev_b32_e32 v54, 16, v36
	v_bfrev_b32_e32 v55, 60
	v_lshlrev_b32_e32 v53, 20, v53
	v_and_b32_e32 v54, 0x80000000, v54
	v_lshl_add_u32 v34, v34, 23, v55
	v_or3_b32 v54, v54, v34, v53
.LBB588_71:
	s_or_b64 exec, exec, s[10:11]
.LBB588_72:
	s_or_b64 exec, exec, s[8:9]
.LBB588_73:
	s_or_b64 exec, exec, s[2:3]
	s_movk_i32 s2, 0xff
	v_and_b32_sdwa v53, v36, s2 dst_sel:DWORD dst_unused:UNUSED_PAD src0_sel:WORD_1 src1_sel:DWORD
	v_lshrrev_b32_e32 v34, 16, v36
	v_cmp_ne_u16_e32 vcc, 0, v53
	s_and_saveexec_b64 s[2:3], vcc
	s_cbranch_execz .LBB588_79
; %bb.74:
	s_movk_i32 s8, 0x80
	v_cmp_ne_u16_e32 vcc, s8, v53
	v_bfrev_b32_e32 v35, 1
	s_and_saveexec_b64 s[8:9], vcc
	s_cbranch_execz .LBB588_78
; %bb.75:
	v_bfe_u32 v53, v36, 16, 7
	s_movk_i32 s10, 0x7f
	v_cmp_ne_u32_e32 vcc, s10, v53
	v_mov_b32_e32 v35, 0x7f800001
	s_and_saveexec_b64 s[10:11], vcc
	s_cbranch_execz .LBB588_77
; %bb.76:
	v_and_b32_e32 v55, 7, v34
	v_ffbh_u32_e32 v35, v55
	v_min_u32_e32 v57, 32, v35
	v_subrev_u32_e32 v35, 28, v57
	v_lshlrev_b64 v[34:35], v35, v[34:35]
	v_lshrrev_b32_e32 v56, 3, v53
	v_sub_u32_e32 v35, 29, v57
	v_and_b32_e32 v34, 7, v34
	v_cmp_gt_u32_e32 vcc, 8, v53
	v_mov_b32_e32 v53, 24
	v_cndmask_b32_e32 v35, v56, v35, vcc
	v_cndmask_b32_e32 v34, v55, v34, vcc
	v_lshlrev_b32_sdwa v53, v53, v36 dst_sel:DWORD dst_unused:UNUSED_PAD src0_sel:DWORD src1_sel:WORD_1
	v_bfrev_b32_e32 v55, 60
	v_lshlrev_b32_e32 v34, 20, v34
	v_and_b32_e32 v53, 0x80000000, v53
	v_lshl_add_u32 v35, v35, 23, v55
	v_or3_b32 v35, v53, v35, v34
.LBB588_77:
	s_or_b64 exec, exec, s[10:11]
.LBB588_78:
	s_or_b64 exec, exec, s[8:9]
.LBB588_79:
	s_or_b64 exec, exec, s[2:3]
	s_mov_b32 s2, 0xffffff
	v_cmp_lt_u32_e32 vcc, s2, v36
	v_mov_b32_e32 v55, 0
	v_mov_b32_e32 v56, 0
	s_and_saveexec_b64 s[2:3], vcc
	s_cbranch_execz .LBB588_85
; %bb.80:
	v_lshrrev_b32_e32 v34, 24, v36
	s_movk_i32 s8, 0x80
	v_cmp_ne_u32_e32 vcc, s8, v34
	v_bfrev_b32_e32 v56, 1
	s_and_saveexec_b64 s[8:9], vcc
	s_cbranch_execz .LBB588_84
; %bb.81:
	v_bfe_u32 v36, v36, 24, 7
	s_movk_i32 s10, 0x7f
	v_cmp_ne_u32_e32 vcc, s10, v36
	v_mov_b32_e32 v56, 0x7f800001
	s_and_saveexec_b64 s[10:11], vcc
	s_cbranch_execz .LBB588_83
; %bb.82:
	v_and_b32_e32 v53, 7, v34
	v_ffbh_u32_e32 v56, v53
	v_min_u32_e32 v59, 32, v56
	v_subrev_u32_e32 v56, 28, v59
	v_lshlrev_b64 v[56:57], v56, v[34:35]
	v_lshrrev_b32_e32 v58, 3, v36
	v_sub_u32_e32 v57, 29, v59
	v_and_b32_e32 v56, 7, v56
	v_cmp_gt_u32_e32 vcc, 8, v36
	v_cndmask_b32_e32 v36, v58, v57, vcc
	v_cndmask_b32_e32 v53, v53, v56, vcc
	v_lshlrev_b32_e32 v34, 24, v34
	v_bfrev_b32_e32 v56, 60
	v_lshlrev_b32_e32 v53, 20, v53
	v_and_b32_e32 v34, 0x80000000, v34
	v_lshl_add_u32 v36, v36, 23, v56
	v_or3_b32 v56, v34, v36, v53
.LBB588_83:
	s_or_b64 exec, exec, s[10:11]
.LBB588_84:
	s_or_b64 exec, exec, s[8:9]
.LBB588_85:
	s_or_b64 exec, exec, s[2:3]
	v_cmp_ne_u16_sdwa s[8:9], v37, v55 src0_sel:BYTE_0 src1_sel:DWORD
	s_and_saveexec_b64 s[2:3], s[8:9]
	s_cbranch_execz .LBB588_91
; %bb.86:
	s_movk_i32 s8, 0x80
	v_cmp_ne_u16_sdwa s[10:11], v37, s8 src0_sel:BYTE_0 src1_sel:DWORD
	v_bfrev_b32_e32 v55, 1
	s_and_saveexec_b64 s[8:9], s[10:11]
	s_cbranch_execz .LBB588_90
; %bb.87:
	s_movk_i32 s10, 0x7f
	v_and_b32_e32 v34, 0x7f, v37
	v_cmp_ne_u32_e32 vcc, s10, v34
	v_mov_b32_e32 v55, 0x7f800001
	s_and_saveexec_b64 s[10:11], vcc
	s_cbranch_execz .LBB588_89
; %bb.88:
	v_and_b32_e32 v53, 7, v37
	v_ffbh_u32_e32 v57, v53
	v_min_u32_e32 v57, 32, v57
	v_mov_b32_e32 v36, v37
	v_subrev_u32_e32 v58, 28, v57
	v_lshlrev_b64 v[58:59], v58, v[36:37]
	v_lshrrev_b32_e32 v55, 3, v34
	v_sub_u32_e32 v36, 29, v57
	v_and_b32_e32 v57, 7, v58
	v_cmp_gt_u32_e32 vcc, 8, v34
	v_cndmask_b32_e32 v34, v55, v36, vcc
	v_cndmask_b32_e32 v36, v53, v57, vcc
	v_lshlrev_b32_e32 v53, 24, v37
	v_bfrev_b32_e32 v55, 60
	v_lshlrev_b32_e32 v36, 20, v36
	v_and_b32_e32 v53, 0x80000000, v53
	v_lshl_add_u32 v34, v34, 23, v55
	v_or3_b32 v55, v53, v34, v36
.LBB588_89:
	s_or_b64 exec, exec, s[10:11]
.LBB588_90:
	s_or_b64 exec, exec, s[8:9]
.LBB588_91:
	s_or_b64 exec, exec, s[2:3]
	v_lshrrev_b16_e32 v34, 8, v37
	v_cmp_ne_u16_e32 vcc, 0, v34
	v_mov_b32_e32 v36, 0
	v_mov_b32_e32 v57, 0
	s_and_saveexec_b64 s[2:3], vcc
	s_cbranch_execz .LBB588_97
; %bb.92:
	s_movk_i32 s8, 0x80
	v_cmp_ne_u16_e32 vcc, s8, v34
	v_bfrev_b32_e32 v57, 1
	s_and_saveexec_b64 s[8:9], vcc
	s_cbranch_execz .LBB588_96
; %bb.93:
	s_movk_i32 s10, 0x7f
	v_and_b32_e32 v53, 0x7f, v34
	v_cmp_ne_u32_e32 vcc, s10, v53
	v_mov_b32_e32 v57, 0x7f800001
	s_and_saveexec_b64 s[10:11], vcc
	s_cbranch_execz .LBB588_95
; %bb.94:
	v_and_b32_e32 v57, 7, v34
	v_ffbh_u32_e32 v58, v57
	v_min_u32_e32 v61, 32, v58
	v_subrev_u32_e32 v58, 28, v61
	v_lshlrev_b64 v[58:59], v58, v[34:35]
	v_lshrrev_b32_e32 v60, 3, v53
	v_sub_u32_e32 v34, 29, v61
	v_and_b32_e32 v58, 7, v58
	v_cmp_gt_u32_e32 vcc, 8, v53
	v_cndmask_b32_e32 v34, v60, v34, vcc
	v_cndmask_b32_e32 v53, v57, v58, vcc
	v_lshlrev_b32_e32 v57, 16, v37
	v_bfrev_b32_e32 v58, 60
	v_lshlrev_b32_e32 v53, 20, v53
	v_and_b32_e32 v57, 0x80000000, v57
	v_lshl_add_u32 v34, v34, 23, v58
	v_or3_b32 v57, v57, v34, v53
.LBB588_95:
	s_or_b64 exec, exec, s[10:11]
.LBB588_96:
	s_or_b64 exec, exec, s[8:9]
.LBB588_97:
	s_or_b64 exec, exec, s[2:3]
	s_movk_i32 s2, 0xff
	v_and_b32_sdwa v53, v37, s2 dst_sel:DWORD dst_unused:UNUSED_PAD src0_sel:WORD_1 src1_sel:DWORD
	v_lshrrev_b32_e32 v34, 16, v37
	v_cmp_ne_u16_e32 vcc, 0, v53
	s_and_saveexec_b64 s[2:3], vcc
	s_cbranch_execz .LBB588_103
; %bb.98:
	s_movk_i32 s8, 0x80
	v_cmp_ne_u16_e32 vcc, s8, v53
	v_bfrev_b32_e32 v36, 1
	s_and_saveexec_b64 s[8:9], vcc
	s_cbranch_execz .LBB588_102
; %bb.99:
	v_bfe_u32 v53, v37, 16, 7
	s_movk_i32 s10, 0x7f
	v_cmp_ne_u32_e32 vcc, s10, v53
	v_mov_b32_e32 v36, 0x7f800001
	s_and_saveexec_b64 s[10:11], vcc
	s_cbranch_execz .LBB588_101
; %bb.100:
	v_and_b32_e32 v36, 7, v34
	v_ffbh_u32_e32 v58, v36
	v_min_u32_e32 v61, 32, v58
	v_subrev_u32_e32 v58, 28, v61
	v_lshlrev_b64 v[58:59], v58, v[34:35]
	v_lshrrev_b32_e32 v60, 3, v53
	v_sub_u32_e32 v34, 29, v61
	v_and_b32_e32 v58, 7, v58
	v_cmp_gt_u32_e32 vcc, 8, v53
	v_mov_b32_e32 v53, 24
	v_cndmask_b32_e32 v34, v60, v34, vcc
	v_cndmask_b32_e32 v36, v36, v58, vcc
	v_lshlrev_b32_sdwa v53, v53, v37 dst_sel:DWORD dst_unused:UNUSED_PAD src0_sel:DWORD src1_sel:WORD_1
	v_bfrev_b32_e32 v58, 60
	v_lshlrev_b32_e32 v36, 20, v36
	v_and_b32_e32 v53, 0x80000000, v53
	v_lshl_add_u32 v34, v34, 23, v58
	v_or3_b32 v36, v53, v34, v36
.LBB588_101:
	s_or_b64 exec, exec, s[10:11]
.LBB588_102:
	s_or_b64 exec, exec, s[8:9]
.LBB588_103:
	s_or_b64 exec, exec, s[2:3]
	s_mov_b32 s2, 0xffffff
	v_cmp_lt_u32_e32 vcc, s2, v37
	v_mov_b32_e32 v53, 0
	v_mov_b32_e32 v58, 0
	s_and_saveexec_b64 s[2:3], vcc
	s_cbranch_execz .LBB588_109
; %bb.104:
	v_lshrrev_b32_e32 v34, 24, v37
	s_movk_i32 s8, 0x80
	v_cmp_ne_u32_e32 vcc, s8, v34
	v_bfrev_b32_e32 v58, 1
	s_and_saveexec_b64 s[8:9], vcc
	s_cbranch_execz .LBB588_108
; %bb.105:
	v_bfe_u32 v37, v37, 24, 7
	s_movk_i32 s10, 0x7f
	v_cmp_ne_u32_e32 vcc, s10, v37
	v_mov_b32_e32 v58, 0x7f800001
	s_and_saveexec_b64 s[10:11], vcc
	s_cbranch_execz .LBB588_107
; %bb.106:
	v_and_b32_e32 v60, 7, v34
	v_ffbh_u32_e32 v58, v60
	v_min_u32_e32 v62, 32, v58
	v_subrev_u32_e32 v58, 28, v62
	v_lshlrev_b64 v[58:59], v58, v[34:35]
	v_lshrrev_b32_e32 v61, 3, v37
	v_sub_u32_e32 v59, 29, v62
	v_and_b32_e32 v58, 7, v58
	v_cmp_gt_u32_e32 vcc, 8, v37
	v_cndmask_b32_e32 v37, v61, v59, vcc
	v_cndmask_b32_e32 v58, v60, v58, vcc
	v_lshlrev_b32_e32 v34, 24, v34
	v_bfrev_b32_e32 v59, 60
	v_lshlrev_b32_e32 v58, 20, v58
	v_and_b32_e32 v34, 0x80000000, v34
	v_lshl_add_u32 v37, v37, 23, v59
	v_or3_b32 v58, v34, v37, v58
.LBB588_107:
	s_or_b64 exec, exec, s[10:11]
.LBB588_108:
	s_or_b64 exec, exec, s[8:9]
.LBB588_109:
	s_or_b64 exec, exec, s[2:3]
	v_cvt_pkrtz_f16_f32 v34, v52, v54
	v_cvt_pkrtz_f16_f32 v35, v35, v56
	v_cmp_ne_u16_sdwa s[8:9], v38, v53 src0_sel:BYTE_0 src1_sel:DWORD
	s_nop 0
	v_mfma_f32_16x16x16f16 v[42:45], v[34:35], v[18:19], v[42:45]
	v_cvt_pkrtz_f16_f32 v34, v55, v57
	v_cvt_pkrtz_f16_f32 v35, v36, v58
	s_nop 1
	v_mfma_f32_16x16x16f16 v[34:37], v[34:35], v[20:21], v[42:45]
	s_and_saveexec_b64 s[2:3], s[8:9]
	s_cbranch_execz .LBB588_115
; %bb.110:
	s_movk_i32 s8, 0x80
	v_cmp_ne_u16_sdwa s[10:11], v38, s8 src0_sel:BYTE_0 src1_sel:DWORD
	v_bfrev_b32_e32 v53, 1
	s_and_saveexec_b64 s[8:9], s[10:11]
	s_cbranch_execz .LBB588_114
; %bb.111:
	s_movk_i32 s10, 0x7f
	v_and_b32_e32 v42, 0x7f, v38
	v_cmp_ne_u32_e32 vcc, s10, v42
	v_mov_b32_e32 v53, 0x7f800001
	s_and_saveexec_b64 s[10:11], vcc
	s_cbranch_execz .LBB588_113
; %bb.112:
	v_and_b32_e32 v43, 7, v38
	v_ffbh_u32_e32 v44, v43
	v_min_u32_e32 v53, 32, v44
	v_subrev_u32_e32 v44, 28, v53
	v_lshlrev_b64 v[44:45], v44, v[38:39]
	v_lshrrev_b32_e32 v52, 3, v42
	v_sub_u32_e32 v45, 29, v53
	v_and_b32_e32 v44, 7, v44
	v_cmp_gt_u32_e32 vcc, 8, v42
	v_cndmask_b32_e32 v42, v52, v45, vcc
	v_cndmask_b32_e32 v43, v43, v44, vcc
	v_lshlrev_b32_e32 v44, 24, v38
	v_bfrev_b32_e32 v45, 60
	v_lshlrev_b32_e32 v43, 20, v43
	v_and_b32_e32 v44, 0x80000000, v44
	v_lshl_add_u32 v42, v42, 23, v45
	v_or3_b32 v53, v44, v42, v43
.LBB588_113:
	s_or_b64 exec, exec, s[10:11]
.LBB588_114:
	s_or_b64 exec, exec, s[8:9]
.LBB588_115:
	s_or_b64 exec, exec, s[2:3]
	s_nop 3
	v_lshrrev_b16_e32 v42, 8, v38
	v_cmp_ne_u16_e32 vcc, 0, v42
	v_mov_b32_e32 v43, 0
	v_mov_b32_e32 v44, 0
	s_and_saveexec_b64 s[2:3], vcc
	s_cbranch_execz .LBB588_121
; %bb.116:
	s_movk_i32 s8, 0x80
	v_cmp_ne_u16_e32 vcc, s8, v42
	v_bfrev_b32_e32 v44, 1
	s_and_saveexec_b64 s[8:9], vcc
	s_cbranch_execz .LBB588_120
; %bb.117:
	s_movk_i32 s10, 0x7f
	v_and_b32_e32 v45, 0x7f, v42
	v_cmp_ne_u32_e32 vcc, s10, v45
	v_mov_b32_e32 v44, 0x7f800001
	s_and_saveexec_b64 s[10:11], vcc
	s_cbranch_execz .LBB588_119
; %bb.118:
	v_and_b32_e32 v44, 7, v42
	v_ffbh_u32_e32 v54, v44
	v_min_u32_e32 v56, 32, v54
	v_subrev_u32_e32 v54, 28, v56
	v_lshlrev_b64 v[54:55], v54, v[42:43]
	v_lshrrev_b32_e32 v52, 3, v45
	v_sub_u32_e32 v42, 29, v56
	v_and_b32_e32 v54, 7, v54
	v_cmp_gt_u32_e32 vcc, 8, v45
	v_cndmask_b32_e32 v42, v52, v42, vcc
	v_cndmask_b32_e32 v44, v44, v54, vcc
	v_lshlrev_b32_e32 v45, 16, v38
	v_bfrev_b32_e32 v52, 60
	v_lshlrev_b32_e32 v44, 20, v44
	v_and_b32_e32 v45, 0x80000000, v45
	v_lshl_add_u32 v42, v42, 23, v52
	v_or3_b32 v44, v45, v42, v44
.LBB588_119:
	s_or_b64 exec, exec, s[10:11]
.LBB588_120:
	s_or_b64 exec, exec, s[8:9]
.LBB588_121:
	s_or_b64 exec, exec, s[2:3]
	s_movk_i32 s2, 0xff
	v_and_b32_sdwa v45, v38, s2 dst_sel:DWORD dst_unused:UNUSED_PAD src0_sel:WORD_1 src1_sel:DWORD
	v_lshrrev_b32_e32 v42, 16, v38
	v_cmp_ne_u16_e32 vcc, 0, v45
	s_and_saveexec_b64 s[2:3], vcc
	s_cbranch_execz .LBB588_127
; %bb.122:
	s_movk_i32 s8, 0x80
	v_cmp_ne_u16_e32 vcc, s8, v45
	v_bfrev_b32_e32 v43, 1
	s_and_saveexec_b64 s[8:9], vcc
	s_cbranch_execz .LBB588_126
; %bb.123:
	v_bfe_u32 v45, v38, 16, 7
	s_movk_i32 s10, 0x7f
	v_cmp_ne_u32_e32 vcc, s10, v45
	v_mov_b32_e32 v43, 0x7f800001
	s_and_saveexec_b64 s[10:11], vcc
	s_cbranch_execz .LBB588_125
; %bb.124:
	v_and_b32_e32 v52, 7, v42
	v_ffbh_u32_e32 v43, v52
	v_min_u32_e32 v55, 32, v43
	v_subrev_u32_e32 v43, 28, v55
	v_lshlrev_b64 v[42:43], v43, v[42:43]
	v_lshrrev_b32_e32 v54, 3, v45
	v_sub_u32_e32 v43, 29, v55
	v_and_b32_e32 v42, 7, v42
	v_cmp_gt_u32_e32 vcc, 8, v45
	v_mov_b32_e32 v45, 24
	v_cndmask_b32_e32 v43, v54, v43, vcc
	v_cndmask_b32_e32 v42, v52, v42, vcc
	v_lshlrev_b32_sdwa v45, v45, v38 dst_sel:DWORD dst_unused:UNUSED_PAD src0_sel:DWORD src1_sel:WORD_1
	v_bfrev_b32_e32 v52, 60
	v_lshlrev_b32_e32 v42, 20, v42
	v_and_b32_e32 v45, 0x80000000, v45
	v_lshl_add_u32 v43, v43, 23, v52
	v_or3_b32 v43, v45, v43, v42
.LBB588_125:
	s_or_b64 exec, exec, s[10:11]
.LBB588_126:
	s_or_b64 exec, exec, s[8:9]
.LBB588_127:
	s_or_b64 exec, exec, s[2:3]
	s_mov_b32 s2, 0xffffff
	v_cmp_lt_u32_e32 vcc, s2, v38
	v_mov_b32_e32 v45, 0
	v_mov_b32_e32 v54, 0
	s_and_saveexec_b64 s[2:3], vcc
	s_cbranch_execz .LBB588_133
; %bb.128:
	v_lshrrev_b32_e32 v42, 24, v38
	s_movk_i32 s8, 0x80
	v_cmp_ne_u32_e32 vcc, s8, v42
	v_bfrev_b32_e32 v54, 1
	s_and_saveexec_b64 s[8:9], vcc
	s_cbranch_execz .LBB588_132
; %bb.129:
	v_bfe_u32 v38, v38, 24, 7
	s_movk_i32 s10, 0x7f
	v_cmp_ne_u32_e32 vcc, s10, v38
	v_mov_b32_e32 v54, 0x7f800001
	s_and_saveexec_b64 s[10:11], vcc
	s_cbranch_execz .LBB588_131
; %bb.130:
	v_and_b32_e32 v52, 7, v42
	v_ffbh_u32_e32 v54, v52
	v_min_u32_e32 v57, 32, v54
	v_subrev_u32_e32 v54, 28, v57
	v_lshlrev_b64 v[54:55], v54, v[42:43]
	v_lshrrev_b32_e32 v56, 3, v38
	v_sub_u32_e32 v55, 29, v57
	v_and_b32_e32 v54, 7, v54
	v_cmp_gt_u32_e32 vcc, 8, v38
	v_cndmask_b32_e32 v38, v56, v55, vcc
	v_cndmask_b32_e32 v52, v52, v54, vcc
	v_lshlrev_b32_e32 v42, 24, v42
	v_bfrev_b32_e32 v54, 60
	v_lshlrev_b32_e32 v52, 20, v52
	v_and_b32_e32 v42, 0x80000000, v42
	v_lshl_add_u32 v38, v38, 23, v54
	v_or3_b32 v54, v42, v38, v52
.LBB588_131:
	s_or_b64 exec, exec, s[10:11]
.LBB588_132:
	s_or_b64 exec, exec, s[8:9]
.LBB588_133:
	s_or_b64 exec, exec, s[2:3]
	v_cmp_ne_u16_sdwa s[8:9], v39, v45 src0_sel:BYTE_0 src1_sel:DWORD
	s_and_saveexec_b64 s[2:3], s[8:9]
	s_cbranch_execz .LBB588_139
; %bb.134:
	s_movk_i32 s8, 0x80
	v_cmp_ne_u16_sdwa s[10:11], v39, s8 src0_sel:BYTE_0 src1_sel:DWORD
	v_bfrev_b32_e32 v45, 1
	s_and_saveexec_b64 s[8:9], s[10:11]
	s_cbranch_execz .LBB588_138
; %bb.135:
	s_movk_i32 s10, 0x7f
	v_and_b32_e32 v38, 0x7f, v39
	v_cmp_ne_u32_e32 vcc, s10, v38
	v_mov_b32_e32 v45, 0x7f800001
	s_and_saveexec_b64 s[10:11], vcc
	s_cbranch_execz .LBB588_137
; %bb.136:
	v_and_b32_e32 v45, 7, v39
	v_ffbh_u32_e32 v55, v45
	v_min_u32_e32 v55, 32, v55
	v_mov_b32_e32 v42, v39
	v_subrev_u32_e32 v56, 28, v55
	v_lshlrev_b64 v[56:57], v56, v[42:43]
	v_lshrrev_b32_e32 v52, 3, v38
	v_sub_u32_e32 v42, 29, v55
	v_and_b32_e32 v55, 7, v56
	v_cmp_gt_u32_e32 vcc, 8, v38
	v_cndmask_b32_e32 v38, v52, v42, vcc
	v_cndmask_b32_e32 v42, v45, v55, vcc
	v_lshlrev_b32_e32 v45, 24, v39
	v_bfrev_b32_e32 v52, 60
	v_lshlrev_b32_e32 v42, 20, v42
	v_and_b32_e32 v45, 0x80000000, v45
	v_lshl_add_u32 v38, v38, 23, v52
	v_or3_b32 v45, v45, v38, v42
.LBB588_137:
	s_or_b64 exec, exec, s[10:11]
.LBB588_138:
	s_or_b64 exec, exec, s[8:9]
.LBB588_139:
	s_or_b64 exec, exec, s[2:3]
	v_lshrrev_b16_e32 v38, 8, v39
	v_cmp_ne_u16_e32 vcc, 0, v38
	v_mov_b32_e32 v42, 0
	v_mov_b32_e32 v55, 0
	s_and_saveexec_b64 s[2:3], vcc
	s_cbranch_execz .LBB588_145
; %bb.140:
	s_movk_i32 s8, 0x80
	v_cmp_ne_u16_e32 vcc, s8, v38
	v_bfrev_b32_e32 v55, 1
	s_and_saveexec_b64 s[8:9], vcc
	s_cbranch_execz .LBB588_144
; %bb.141:
	s_movk_i32 s10, 0x7f
	v_and_b32_e32 v52, 0x7f, v38
	v_cmp_ne_u32_e32 vcc, s10, v52
	v_mov_b32_e32 v55, 0x7f800001
	s_and_saveexec_b64 s[10:11], vcc
	s_cbranch_execz .LBB588_143
; %bb.142:
	v_and_b32_e32 v55, 7, v38
	v_ffbh_u32_e32 v56, v55
	v_min_u32_e32 v59, 32, v56
	v_subrev_u32_e32 v56, 28, v59
	v_lshlrev_b64 v[56:57], v56, v[38:39]
	v_lshrrev_b32_e32 v58, 3, v52
	v_sub_u32_e32 v38, 29, v59
	v_and_b32_e32 v56, 7, v56
	v_cmp_gt_u32_e32 vcc, 8, v52
	v_cndmask_b32_e32 v38, v58, v38, vcc
	v_cndmask_b32_e32 v52, v55, v56, vcc
	v_lshlrev_b32_e32 v55, 16, v39
	v_bfrev_b32_e32 v56, 60
	v_lshlrev_b32_e32 v52, 20, v52
	v_and_b32_e32 v55, 0x80000000, v55
	v_lshl_add_u32 v38, v38, 23, v56
	v_or3_b32 v55, v55, v38, v52
.LBB588_143:
	s_or_b64 exec, exec, s[10:11]
.LBB588_144:
	s_or_b64 exec, exec, s[8:9]
.LBB588_145:
	s_or_b64 exec, exec, s[2:3]
	s_movk_i32 s2, 0xff
	v_and_b32_sdwa v52, v39, s2 dst_sel:DWORD dst_unused:UNUSED_PAD src0_sel:WORD_1 src1_sel:DWORD
	v_lshrrev_b32_e32 v38, 16, v39
	v_cmp_ne_u16_e32 vcc, 0, v52
	s_and_saveexec_b64 s[2:3], vcc
	s_cbranch_execz .LBB588_151
; %bb.146:
	s_movk_i32 s8, 0x80
	v_cmp_ne_u16_e32 vcc, s8, v52
	v_bfrev_b32_e32 v42, 1
	s_and_saveexec_b64 s[8:9], vcc
	s_cbranch_execz .LBB588_150
; %bb.147:
	v_bfe_u32 v52, v39, 16, 7
	s_movk_i32 s10, 0x7f
	v_cmp_ne_u32_e32 vcc, s10, v52
	v_mov_b32_e32 v42, 0x7f800001
	s_and_saveexec_b64 s[10:11], vcc
	s_cbranch_execz .LBB588_149
; %bb.148:
	v_and_b32_e32 v42, 7, v38
	v_ffbh_u32_e32 v56, v42
	v_min_u32_e32 v59, 32, v56
	v_subrev_u32_e32 v56, 28, v59
	v_lshlrev_b64 v[56:57], v56, v[38:39]
	v_lshrrev_b32_e32 v58, 3, v52
	v_sub_u32_e32 v38, 29, v59
	v_and_b32_e32 v56, 7, v56
	v_cmp_gt_u32_e32 vcc, 8, v52
	v_mov_b32_e32 v52, 24
	v_cndmask_b32_e32 v38, v58, v38, vcc
	v_cndmask_b32_e32 v42, v42, v56, vcc
	v_lshlrev_b32_sdwa v52, v52, v39 dst_sel:DWORD dst_unused:UNUSED_PAD src0_sel:DWORD src1_sel:WORD_1
	v_bfrev_b32_e32 v56, 60
	v_lshlrev_b32_e32 v42, 20, v42
	v_and_b32_e32 v52, 0x80000000, v52
	v_lshl_add_u32 v38, v38, 23, v56
	v_or3_b32 v42, v52, v38, v42
.LBB588_149:
	s_or_b64 exec, exec, s[10:11]
.LBB588_150:
	s_or_b64 exec, exec, s[8:9]
.LBB588_151:
	s_or_b64 exec, exec, s[2:3]
	s_mov_b32 s2, 0xffffff
	v_cmp_lt_u32_e32 vcc, s2, v39
	v_mov_b32_e32 v52, 0
	v_mov_b32_e32 v56, 0
	s_and_saveexec_b64 s[2:3], vcc
	s_cbranch_execz .LBB588_157
; %bb.152:
	v_lshrrev_b32_e32 v38, 24, v39
	s_movk_i32 s8, 0x80
	v_cmp_ne_u32_e32 vcc, s8, v38
	v_bfrev_b32_e32 v56, 1
	s_and_saveexec_b64 s[8:9], vcc
	s_cbranch_execz .LBB588_156
; %bb.153:
	v_bfe_u32 v39, v39, 24, 7
	s_movk_i32 s10, 0x7f
	v_cmp_ne_u32_e32 vcc, s10, v39
	v_mov_b32_e32 v56, 0x7f800001
	s_and_saveexec_b64 s[10:11], vcc
	s_cbranch_execz .LBB588_155
; %bb.154:
	v_and_b32_e32 v58, 7, v38
	v_ffbh_u32_e32 v56, v58
	v_min_u32_e32 v60, 32, v56
	v_subrev_u32_e32 v56, 28, v60
	v_lshlrev_b64 v[56:57], v56, v[38:39]
	v_lshrrev_b32_e32 v59, 3, v39
	v_sub_u32_e32 v57, 29, v60
	v_and_b32_e32 v56, 7, v56
	v_cmp_gt_u32_e32 vcc, 8, v39
	v_cndmask_b32_e32 v39, v59, v57, vcc
	v_cndmask_b32_e32 v56, v58, v56, vcc
	v_lshlrev_b32_e32 v38, 24, v38
	v_bfrev_b32_e32 v57, 60
	v_lshlrev_b32_e32 v56, 20, v56
	v_and_b32_e32 v38, 0x80000000, v38
	v_lshl_add_u32 v39, v39, 23, v57
	v_or3_b32 v56, v38, v39, v56
.LBB588_155:
	s_or_b64 exec, exec, s[10:11]
.LBB588_156:
	s_or_b64 exec, exec, s[8:9]
.LBB588_157:
	s_or_b64 exec, exec, s[2:3]
	v_cvt_pkrtz_f16_f32 v38, v53, v44
	v_cvt_pkrtz_f16_f32 v39, v43, v54
	v_cmp_ne_u16_sdwa s[8:9], v40, v52 src0_sel:BYTE_0 src1_sel:DWORD
	s_nop 0
	v_mfma_f32_16x16x16f16 v[58:61], v[38:39], v[26:27], 0
	v_cvt_pkrtz_f16_f32 v38, v45, v55
	v_cvt_pkrtz_f16_f32 v39, v42, v56
	s_nop 1
	v_mfma_f32_16x16x16f16 v[42:45], v[38:39], v[28:29], v[58:61]
	s_and_saveexec_b64 s[2:3], s[8:9]
	s_cbranch_execz .LBB588_163
; %bb.158:
	s_movk_i32 s8, 0x80
	v_cmp_ne_u16_sdwa s[10:11], v40, s8 src0_sel:BYTE_0 src1_sel:DWORD
	v_bfrev_b32_e32 v52, 1
	s_and_saveexec_b64 s[8:9], s[10:11]
	s_cbranch_execz .LBB588_162
; %bb.159:
	s_movk_i32 s10, 0x7f
	v_and_b32_e32 v38, 0x7f, v40
	v_cmp_ne_u32_e32 vcc, s10, v38
	v_mov_b32_e32 v52, 0x7f800001
	s_and_saveexec_b64 s[10:11], vcc
	s_cbranch_execz .LBB588_161
; %bb.160:
	v_and_b32_e32 v39, 7, v40
	v_ffbh_u32_e32 v52, v39
	v_min_u32_e32 v55, 32, v52
	v_subrev_u32_e32 v52, 28, v55
	v_lshlrev_b64 v[52:53], v52, v[40:41]
	v_lshrrev_b32_e32 v54, 3, v38
	v_sub_u32_e32 v53, 29, v55
	v_and_b32_e32 v52, 7, v52
	v_cmp_gt_u32_e32 vcc, 8, v38
	v_cndmask_b32_e32 v38, v54, v53, vcc
	v_cndmask_b32_e32 v39, v39, v52, vcc
	v_lshlrev_b32_e32 v52, 24, v40
	v_bfrev_b32_e32 v53, 60
	v_lshlrev_b32_e32 v39, 20, v39
	v_and_b32_e32 v52, 0x80000000, v52
	v_lshl_add_u32 v38, v38, 23, v53
	v_or3_b32 v52, v52, v38, v39
.LBB588_161:
	s_or_b64 exec, exec, s[10:11]
.LBB588_162:
	s_or_b64 exec, exec, s[8:9]
.LBB588_163:
	s_or_b64 exec, exec, s[2:3]
	v_lshrrev_b16_e32 v38, 8, v40
	v_cmp_ne_u16_e32 vcc, 0, v38
	v_mov_b32_e32 v39, 0
	v_mov_b32_e32 v54, 0
	s_and_saveexec_b64 s[2:3], vcc
	s_cbranch_execz .LBB588_169
; %bb.164:
	s_movk_i32 s8, 0x80
	v_cmp_ne_u16_e32 vcc, s8, v38
	v_bfrev_b32_e32 v54, 1
	s_and_saveexec_b64 s[8:9], vcc
	s_cbranch_execz .LBB588_168
; %bb.165:
	s_movk_i32 s10, 0x7f
	v_and_b32_e32 v53, 0x7f, v38
	v_cmp_ne_u32_e32 vcc, s10, v53
	v_mov_b32_e32 v54, 0x7f800001
	s_and_saveexec_b64 s[10:11], vcc
	s_cbranch_execz .LBB588_167
; %bb.166:
	v_and_b32_e32 v56, 7, v38
	v_ffbh_u32_e32 v54, v56
	v_min_u32_e32 v58, 32, v54
	v_subrev_u32_e32 v54, 28, v58
	v_lshlrev_b64 v[54:55], v54, v[38:39]
	v_lshrrev_b32_e32 v57, 3, v53
	v_sub_u32_e32 v38, 29, v58
	v_and_b32_e32 v54, 7, v54
	v_cmp_gt_u32_e32 vcc, 8, v53
	v_cndmask_b32_e32 v38, v57, v38, vcc
	v_cndmask_b32_e32 v53, v56, v54, vcc
	v_lshlrev_b32_e32 v54, 16, v40
	v_bfrev_b32_e32 v55, 60
	v_lshlrev_b32_e32 v53, 20, v53
	v_and_b32_e32 v54, 0x80000000, v54
	v_lshl_add_u32 v38, v38, 23, v55
	v_or3_b32 v54, v54, v38, v53
.LBB588_167:
	s_or_b64 exec, exec, s[10:11]
.LBB588_168:
	s_or_b64 exec, exec, s[8:9]
.LBB588_169:
	s_or_b64 exec, exec, s[2:3]
	s_movk_i32 s2, 0xff
	v_and_b32_sdwa v53, v40, s2 dst_sel:DWORD dst_unused:UNUSED_PAD src0_sel:WORD_1 src1_sel:DWORD
	v_lshrrev_b32_e32 v38, 16, v40
	v_cmp_ne_u16_e32 vcc, 0, v53
	s_and_saveexec_b64 s[2:3], vcc
	s_cbranch_execz .LBB588_175
; %bb.170:
	s_movk_i32 s8, 0x80
	v_cmp_ne_u16_e32 vcc, s8, v53
	v_bfrev_b32_e32 v39, 1
	s_and_saveexec_b64 s[8:9], vcc
	s_cbranch_execz .LBB588_174
; %bb.171:
	v_bfe_u32 v53, v40, 16, 7
	s_movk_i32 s10, 0x7f
	v_cmp_ne_u32_e32 vcc, s10, v53
	v_mov_b32_e32 v39, 0x7f800001
	s_and_saveexec_b64 s[10:11], vcc
	s_cbranch_execz .LBB588_173
; %bb.172:
	v_and_b32_e32 v55, 7, v38
	v_ffbh_u32_e32 v39, v55
	v_min_u32_e32 v57, 32, v39
	v_subrev_u32_e32 v39, 28, v57
	v_lshlrev_b64 v[38:39], v39, v[38:39]
	v_lshrrev_b32_e32 v56, 3, v53
	v_sub_u32_e32 v39, 29, v57
	v_and_b32_e32 v38, 7, v38
	v_cmp_gt_u32_e32 vcc, 8, v53
	v_mov_b32_e32 v53, 24
	v_cndmask_b32_e32 v39, v56, v39, vcc
	v_cndmask_b32_e32 v38, v55, v38, vcc
	v_lshlrev_b32_sdwa v53, v53, v40 dst_sel:DWORD dst_unused:UNUSED_PAD src0_sel:DWORD src1_sel:WORD_1
	v_bfrev_b32_e32 v55, 60
	v_lshlrev_b32_e32 v38, 20, v38
	v_and_b32_e32 v53, 0x80000000, v53
	v_lshl_add_u32 v39, v39, 23, v55
	v_or3_b32 v39, v53, v39, v38
.LBB588_173:
	s_or_b64 exec, exec, s[10:11]
.LBB588_174:
	s_or_b64 exec, exec, s[8:9]
.LBB588_175:
	s_or_b64 exec, exec, s[2:3]
	s_mov_b32 s2, 0xffffff
	v_cmp_lt_u32_e32 vcc, s2, v40
	v_mov_b32_e32 v55, 0
	v_mov_b32_e32 v56, 0
	s_and_saveexec_b64 s[2:3], vcc
	s_cbranch_execz .LBB588_181
; %bb.176:
	v_lshrrev_b32_e32 v38, 24, v40
	s_movk_i32 s8, 0x80
	v_cmp_ne_u32_e32 vcc, s8, v38
	v_bfrev_b32_e32 v56, 1
	s_and_saveexec_b64 s[8:9], vcc
	s_cbranch_execz .LBB588_180
; %bb.177:
	v_bfe_u32 v40, v40, 24, 7
	s_movk_i32 s10, 0x7f
	v_cmp_ne_u32_e32 vcc, s10, v40
	v_mov_b32_e32 v56, 0x7f800001
	s_and_saveexec_b64 s[10:11], vcc
	s_cbranch_execz .LBB588_179
; %bb.178:
	v_and_b32_e32 v53, 7, v38
	v_ffbh_u32_e32 v56, v53
	v_min_u32_e32 v59, 32, v56
	v_subrev_u32_e32 v56, 28, v59
	v_lshlrev_b64 v[56:57], v56, v[38:39]
	v_lshrrev_b32_e32 v58, 3, v40
	v_sub_u32_e32 v57, 29, v59
	v_and_b32_e32 v56, 7, v56
	v_cmp_gt_u32_e32 vcc, 8, v40
	v_cndmask_b32_e32 v40, v58, v57, vcc
	v_cndmask_b32_e32 v53, v53, v56, vcc
	v_lshlrev_b32_e32 v38, 24, v38
	v_bfrev_b32_e32 v56, 60
	v_lshlrev_b32_e32 v53, 20, v53
	v_and_b32_e32 v38, 0x80000000, v38
	v_lshl_add_u32 v40, v40, 23, v56
	v_or3_b32 v56, v38, v40, v53
.LBB588_179:
	s_or_b64 exec, exec, s[10:11]
.LBB588_180:
	s_or_b64 exec, exec, s[8:9]
.LBB588_181:
	s_or_b64 exec, exec, s[2:3]
	v_cmp_ne_u16_sdwa s[8:9], v41, v55 src0_sel:BYTE_0 src1_sel:DWORD
	s_and_saveexec_b64 s[2:3], s[8:9]
	s_cbranch_execz .LBB588_187
; %bb.182:
	s_movk_i32 s8, 0x80
	v_cmp_ne_u16_sdwa s[10:11], v41, s8 src0_sel:BYTE_0 src1_sel:DWORD
	v_bfrev_b32_e32 v55, 1
	s_and_saveexec_b64 s[8:9], s[10:11]
	s_cbranch_execz .LBB588_186
; %bb.183:
	s_movk_i32 s10, 0x7f
	v_and_b32_e32 v38, 0x7f, v41
	v_cmp_ne_u32_e32 vcc, s10, v38
	v_mov_b32_e32 v55, 0x7f800001
	s_and_saveexec_b64 s[10:11], vcc
	s_cbranch_execz .LBB588_185
; %bb.184:
	v_and_b32_e32 v53, 7, v41
	v_ffbh_u32_e32 v57, v53
	v_min_u32_e32 v57, 32, v57
	v_mov_b32_e32 v40, v41
	v_subrev_u32_e32 v58, 28, v57
	v_lshlrev_b64 v[58:59], v58, v[40:41]
	v_lshrrev_b32_e32 v55, 3, v38
	v_sub_u32_e32 v40, 29, v57
	v_and_b32_e32 v57, 7, v58
	v_cmp_gt_u32_e32 vcc, 8, v38
	v_cndmask_b32_e32 v38, v55, v40, vcc
	v_cndmask_b32_e32 v40, v53, v57, vcc
	v_lshlrev_b32_e32 v53, 24, v41
	v_bfrev_b32_e32 v55, 60
	v_lshlrev_b32_e32 v40, 20, v40
	v_and_b32_e32 v53, 0x80000000, v53
	v_lshl_add_u32 v38, v38, 23, v55
	v_or3_b32 v55, v53, v38, v40
.LBB588_185:
	s_or_b64 exec, exec, s[10:11]
.LBB588_186:
	s_or_b64 exec, exec, s[8:9]
.LBB588_187:
	s_or_b64 exec, exec, s[2:3]
	v_lshrrev_b16_e32 v38, 8, v41
	v_cmp_ne_u16_e32 vcc, 0, v38
	v_mov_b32_e32 v40, 0
	v_mov_b32_e32 v57, 0
	s_and_saveexec_b64 s[2:3], vcc
	s_cbranch_execz .LBB588_193
; %bb.188:
	s_movk_i32 s8, 0x80
	v_cmp_ne_u16_e32 vcc, s8, v38
	v_bfrev_b32_e32 v57, 1
	s_and_saveexec_b64 s[8:9], vcc
	s_cbranch_execz .LBB588_192
; %bb.189:
	s_movk_i32 s10, 0x7f
	v_and_b32_e32 v53, 0x7f, v38
	v_cmp_ne_u32_e32 vcc, s10, v53
	v_mov_b32_e32 v57, 0x7f800001
	s_and_saveexec_b64 s[10:11], vcc
	s_cbranch_execz .LBB588_191
; %bb.190:
	v_and_b32_e32 v57, 7, v38
	v_ffbh_u32_e32 v58, v57
	v_min_u32_e32 v61, 32, v58
	v_subrev_u32_e32 v58, 28, v61
	v_lshlrev_b64 v[58:59], v58, v[38:39]
	v_lshrrev_b32_e32 v60, 3, v53
	v_sub_u32_e32 v38, 29, v61
	v_and_b32_e32 v58, 7, v58
	v_cmp_gt_u32_e32 vcc, 8, v53
	v_cndmask_b32_e32 v38, v60, v38, vcc
	v_cndmask_b32_e32 v53, v57, v58, vcc
	v_lshlrev_b32_e32 v57, 16, v41
	v_bfrev_b32_e32 v58, 60
	v_lshlrev_b32_e32 v53, 20, v53
	v_and_b32_e32 v57, 0x80000000, v57
	v_lshl_add_u32 v38, v38, 23, v58
	v_or3_b32 v57, v57, v38, v53
.LBB588_191:
	s_or_b64 exec, exec, s[10:11]
.LBB588_192:
	s_or_b64 exec, exec, s[8:9]
.LBB588_193:
	s_or_b64 exec, exec, s[2:3]
	s_movk_i32 s2, 0xff
	v_and_b32_sdwa v53, v41, s2 dst_sel:DWORD dst_unused:UNUSED_PAD src0_sel:WORD_1 src1_sel:DWORD
	v_lshrrev_b32_e32 v38, 16, v41
	v_cmp_ne_u16_e32 vcc, 0, v53
	s_and_saveexec_b64 s[2:3], vcc
	s_cbranch_execz .LBB588_199
; %bb.194:
	s_movk_i32 s8, 0x80
	v_cmp_ne_u16_e32 vcc, s8, v53
	v_bfrev_b32_e32 v40, 1
	s_and_saveexec_b64 s[8:9], vcc
	s_cbranch_execz .LBB588_198
; %bb.195:
	v_bfe_u32 v53, v41, 16, 7
	s_movk_i32 s10, 0x7f
	v_cmp_ne_u32_e32 vcc, s10, v53
	v_mov_b32_e32 v40, 0x7f800001
	s_and_saveexec_b64 s[10:11], vcc
	s_cbranch_execz .LBB588_197
; %bb.196:
	v_and_b32_e32 v40, 7, v38
	v_ffbh_u32_e32 v58, v40
	v_min_u32_e32 v61, 32, v58
	v_subrev_u32_e32 v58, 28, v61
	v_lshlrev_b64 v[58:59], v58, v[38:39]
	v_lshrrev_b32_e32 v60, 3, v53
	v_sub_u32_e32 v38, 29, v61
	v_and_b32_e32 v58, 7, v58
	v_cmp_gt_u32_e32 vcc, 8, v53
	v_mov_b32_e32 v53, 24
	v_cndmask_b32_e32 v38, v60, v38, vcc
	v_cndmask_b32_e32 v40, v40, v58, vcc
	v_lshlrev_b32_sdwa v53, v53, v41 dst_sel:DWORD dst_unused:UNUSED_PAD src0_sel:DWORD src1_sel:WORD_1
	v_bfrev_b32_e32 v58, 60
	v_lshlrev_b32_e32 v40, 20, v40
	v_and_b32_e32 v53, 0x80000000, v53
	v_lshl_add_u32 v38, v38, 23, v58
	v_or3_b32 v40, v53, v38, v40
.LBB588_197:
	s_or_b64 exec, exec, s[10:11]
.LBB588_198:
	s_or_b64 exec, exec, s[8:9]
.LBB588_199:
	s_or_b64 exec, exec, s[2:3]
	s_mov_b32 s2, 0xffffff
	v_cmp_lt_u32_e32 vcc, s2, v41
	v_mov_b32_e32 v53, 0
	v_mov_b32_e32 v58, 0
	s_and_saveexec_b64 s[2:3], vcc
	s_cbranch_execz .LBB588_205
; %bb.200:
	v_lshrrev_b32_e32 v38, 24, v41
	s_movk_i32 s8, 0x80
	v_cmp_ne_u32_e32 vcc, s8, v38
	v_bfrev_b32_e32 v58, 1
	s_and_saveexec_b64 s[8:9], vcc
	s_cbranch_execz .LBB588_204
; %bb.201:
	v_bfe_u32 v41, v41, 24, 7
	s_movk_i32 s10, 0x7f
	v_cmp_ne_u32_e32 vcc, s10, v41
	v_mov_b32_e32 v58, 0x7f800001
	s_and_saveexec_b64 s[10:11], vcc
	s_cbranch_execz .LBB588_203
; %bb.202:
	v_and_b32_e32 v60, 7, v38
	v_ffbh_u32_e32 v58, v60
	v_min_u32_e32 v62, 32, v58
	v_subrev_u32_e32 v58, 28, v62
	v_lshlrev_b64 v[58:59], v58, v[38:39]
	v_lshrrev_b32_e32 v61, 3, v41
	v_sub_u32_e32 v59, 29, v62
	v_and_b32_e32 v58, 7, v58
	v_cmp_gt_u32_e32 vcc, 8, v41
	v_cndmask_b32_e32 v41, v61, v59, vcc
	v_cndmask_b32_e32 v58, v60, v58, vcc
	v_lshlrev_b32_e32 v38, 24, v38
	v_bfrev_b32_e32 v59, 60
	v_lshlrev_b32_e32 v58, 20, v58
	v_and_b32_e32 v38, 0x80000000, v38
	v_lshl_add_u32 v41, v41, 23, v59
	v_or3_b32 v58, v38, v41, v58
.LBB588_203:
	s_or_b64 exec, exec, s[10:11]
.LBB588_204:
	s_or_b64 exec, exec, s[8:9]
.LBB588_205:
	s_or_b64 exec, exec, s[2:3]
	v_cvt_pkrtz_f16_f32 v38, v52, v54
	v_cvt_pkrtz_f16_f32 v39, v39, v56
	v_cmp_ne_u16_sdwa s[8:9], v30, v53 src0_sel:BYTE_0 src1_sel:DWORD
	s_nop 0
	v_mfma_f32_16x16x16f16 v[42:45], v[38:39], v[18:19], v[42:45]
	v_cvt_pkrtz_f16_f32 v38, v55, v57
	v_cvt_pkrtz_f16_f32 v39, v40, v58
	s_nop 1
	v_mfma_f32_16x16x16f16 v[38:41], v[38:39], v[20:21], v[42:45]
	s_and_saveexec_b64 s[2:3], s[8:9]
	s_cbranch_execz .LBB588_211
; %bb.206:
	s_movk_i32 s8, 0x80
	v_cmp_ne_u16_sdwa s[10:11], v30, s8 src0_sel:BYTE_0 src1_sel:DWORD
	v_bfrev_b32_e32 v53, 1
	s_and_saveexec_b64 s[8:9], s[10:11]
	s_cbranch_execz .LBB588_210
; %bb.207:
	s_movk_i32 s10, 0x7f
	v_and_b32_e32 v42, 0x7f, v30
	v_cmp_ne_u32_e32 vcc, s10, v42
	v_mov_b32_e32 v53, 0x7f800001
	s_and_saveexec_b64 s[10:11], vcc
	s_cbranch_execz .LBB588_209
; %bb.208:
	v_and_b32_e32 v43, 7, v30
	v_ffbh_u32_e32 v44, v43
	v_min_u32_e32 v53, 32, v44
	v_subrev_u32_e32 v44, 28, v53
	v_lshlrev_b64 v[44:45], v44, v[30:31]
	v_lshrrev_b32_e32 v52, 3, v42
	v_sub_u32_e32 v45, 29, v53
	v_and_b32_e32 v44, 7, v44
	v_cmp_gt_u32_e32 vcc, 8, v42
	v_cndmask_b32_e32 v42, v52, v45, vcc
	v_cndmask_b32_e32 v43, v43, v44, vcc
	v_lshlrev_b32_e32 v44, 24, v30
	v_bfrev_b32_e32 v45, 60
	v_lshlrev_b32_e32 v43, 20, v43
	v_and_b32_e32 v44, 0x80000000, v44
	v_lshl_add_u32 v42, v42, 23, v45
	v_or3_b32 v53, v44, v42, v43
.LBB588_209:
	s_or_b64 exec, exec, s[10:11]
.LBB588_210:
	s_or_b64 exec, exec, s[8:9]
.LBB588_211:
	s_or_b64 exec, exec, s[2:3]
	s_nop 3
	v_lshrrev_b16_e32 v42, 8, v30
	v_cmp_ne_u16_e32 vcc, 0, v42
	v_mov_b32_e32 v43, 0
	v_mov_b32_e32 v44, 0
	s_and_saveexec_b64 s[2:3], vcc
	s_cbranch_execz .LBB588_217
; %bb.212:
	s_movk_i32 s8, 0x80
	v_cmp_ne_u16_e32 vcc, s8, v42
	v_bfrev_b32_e32 v44, 1
	s_and_saveexec_b64 s[8:9], vcc
	s_cbranch_execz .LBB588_216
; %bb.213:
	s_movk_i32 s10, 0x7f
	v_and_b32_e32 v45, 0x7f, v42
	v_cmp_ne_u32_e32 vcc, s10, v45
	v_mov_b32_e32 v44, 0x7f800001
	s_and_saveexec_b64 s[10:11], vcc
	s_cbranch_execz .LBB588_215
; %bb.214:
	v_and_b32_e32 v44, 7, v42
	v_ffbh_u32_e32 v54, v44
	v_min_u32_e32 v56, 32, v54
	v_subrev_u32_e32 v54, 28, v56
	v_lshlrev_b64 v[54:55], v54, v[42:43]
	v_lshrrev_b32_e32 v52, 3, v45
	v_sub_u32_e32 v42, 29, v56
	v_and_b32_e32 v54, 7, v54
	v_cmp_gt_u32_e32 vcc, 8, v45
	v_cndmask_b32_e32 v42, v52, v42, vcc
	v_cndmask_b32_e32 v44, v44, v54, vcc
	v_lshlrev_b32_e32 v45, 16, v30
	v_bfrev_b32_e32 v52, 60
	v_lshlrev_b32_e32 v44, 20, v44
	v_and_b32_e32 v45, 0x80000000, v45
	v_lshl_add_u32 v42, v42, 23, v52
	v_or3_b32 v44, v45, v42, v44
.LBB588_215:
	s_or_b64 exec, exec, s[10:11]
.LBB588_216:
	s_or_b64 exec, exec, s[8:9]
.LBB588_217:
	s_or_b64 exec, exec, s[2:3]
	s_movk_i32 s2, 0xff
	v_and_b32_sdwa v45, v30, s2 dst_sel:DWORD dst_unused:UNUSED_PAD src0_sel:WORD_1 src1_sel:DWORD
	v_lshrrev_b32_e32 v42, 16, v30
	v_cmp_ne_u16_e32 vcc, 0, v45
	s_and_saveexec_b64 s[2:3], vcc
	s_cbranch_execz .LBB588_223
; %bb.218:
	s_movk_i32 s8, 0x80
	v_cmp_ne_u16_e32 vcc, s8, v45
	v_bfrev_b32_e32 v43, 1
	s_and_saveexec_b64 s[8:9], vcc
	s_cbranch_execz .LBB588_222
; %bb.219:
	v_bfe_u32 v45, v30, 16, 7
	s_movk_i32 s10, 0x7f
	v_cmp_ne_u32_e32 vcc, s10, v45
	v_mov_b32_e32 v43, 0x7f800001
	s_and_saveexec_b64 s[10:11], vcc
	s_cbranch_execz .LBB588_221
; %bb.220:
	v_and_b32_e32 v52, 7, v42
	v_ffbh_u32_e32 v43, v52
	v_min_u32_e32 v55, 32, v43
	v_subrev_u32_e32 v43, 28, v55
	v_lshlrev_b64 v[42:43], v43, v[42:43]
	v_lshrrev_b32_e32 v54, 3, v45
	v_sub_u32_e32 v43, 29, v55
	v_and_b32_e32 v42, 7, v42
	v_cmp_gt_u32_e32 vcc, 8, v45
	v_mov_b32_e32 v45, 24
	v_cndmask_b32_e32 v43, v54, v43, vcc
	v_cndmask_b32_e32 v42, v52, v42, vcc
	v_lshlrev_b32_sdwa v45, v45, v30 dst_sel:DWORD dst_unused:UNUSED_PAD src0_sel:DWORD src1_sel:WORD_1
	v_bfrev_b32_e32 v52, 60
	v_lshlrev_b32_e32 v42, 20, v42
	v_and_b32_e32 v45, 0x80000000, v45
	v_lshl_add_u32 v43, v43, 23, v52
	v_or3_b32 v43, v45, v43, v42
.LBB588_221:
	s_or_b64 exec, exec, s[10:11]
.LBB588_222:
	s_or_b64 exec, exec, s[8:9]
.LBB588_223:
	s_or_b64 exec, exec, s[2:3]
	s_mov_b32 s2, 0xffffff
	v_cmp_lt_u32_e32 vcc, s2, v30
	v_mov_b32_e32 v45, 0
	v_mov_b32_e32 v54, 0
	s_and_saveexec_b64 s[2:3], vcc
	s_cbranch_execz .LBB588_229
; %bb.224:
	v_lshrrev_b32_e32 v42, 24, v30
	s_movk_i32 s8, 0x80
	v_cmp_ne_u32_e32 vcc, s8, v42
	v_bfrev_b32_e32 v54, 1
	s_and_saveexec_b64 s[8:9], vcc
	s_cbranch_execz .LBB588_228
; %bb.225:
	v_bfe_u32 v30, v30, 24, 7
	s_movk_i32 s10, 0x7f
	v_cmp_ne_u32_e32 vcc, s10, v30
	v_mov_b32_e32 v54, 0x7f800001
	s_and_saveexec_b64 s[10:11], vcc
	s_cbranch_execz .LBB588_227
; %bb.226:
	v_and_b32_e32 v52, 7, v42
	v_ffbh_u32_e32 v54, v52
	v_min_u32_e32 v57, 32, v54
	v_subrev_u32_e32 v54, 28, v57
	v_lshlrev_b64 v[54:55], v54, v[42:43]
	v_lshrrev_b32_e32 v56, 3, v30
	v_sub_u32_e32 v55, 29, v57
	v_and_b32_e32 v54, 7, v54
	v_cmp_gt_u32_e32 vcc, 8, v30
	v_cndmask_b32_e32 v30, v56, v55, vcc
	v_cndmask_b32_e32 v52, v52, v54, vcc
	v_lshlrev_b32_e32 v42, 24, v42
	v_bfrev_b32_e32 v54, 60
	v_lshlrev_b32_e32 v52, 20, v52
	v_and_b32_e32 v42, 0x80000000, v42
	v_lshl_add_u32 v30, v30, 23, v54
	v_or3_b32 v54, v42, v30, v52
.LBB588_227:
	s_or_b64 exec, exec, s[10:11]
.LBB588_228:
	s_or_b64 exec, exec, s[8:9]
.LBB588_229:
	s_or_b64 exec, exec, s[2:3]
	v_cmp_ne_u16_sdwa s[8:9], v31, v45 src0_sel:BYTE_0 src1_sel:DWORD
	s_and_saveexec_b64 s[2:3], s[8:9]
	s_cbranch_execz .LBB588_235
; %bb.230:
	s_movk_i32 s8, 0x80
	v_cmp_ne_u16_sdwa s[10:11], v31, s8 src0_sel:BYTE_0 src1_sel:DWORD
	v_bfrev_b32_e32 v45, 1
	s_and_saveexec_b64 s[8:9], s[10:11]
	s_cbranch_execz .LBB588_234
; %bb.231:
	s_movk_i32 s10, 0x7f
	v_and_b32_e32 v30, 0x7f, v31
	v_cmp_ne_u32_e32 vcc, s10, v30
	v_mov_b32_e32 v45, 0x7f800001
	s_and_saveexec_b64 s[10:11], vcc
	s_cbranch_execz .LBB588_233
; %bb.232:
	v_and_b32_e32 v45, 7, v31
	v_ffbh_u32_e32 v55, v45
	v_min_u32_e32 v55, 32, v55
	v_mov_b32_e32 v42, v31
	v_subrev_u32_e32 v56, 28, v55
	v_lshlrev_b64 v[56:57], v56, v[42:43]
	v_lshrrev_b32_e32 v52, 3, v30
	v_sub_u32_e32 v42, 29, v55
	v_and_b32_e32 v55, 7, v56
	v_cmp_gt_u32_e32 vcc, 8, v30
	v_cndmask_b32_e32 v30, v52, v42, vcc
	v_cndmask_b32_e32 v42, v45, v55, vcc
	v_lshlrev_b32_e32 v45, 24, v31
	v_bfrev_b32_e32 v52, 60
	v_lshlrev_b32_e32 v42, 20, v42
	v_and_b32_e32 v45, 0x80000000, v45
	v_lshl_add_u32 v30, v30, 23, v52
	v_or3_b32 v45, v45, v30, v42
.LBB588_233:
	s_or_b64 exec, exec, s[10:11]
.LBB588_234:
	s_or_b64 exec, exec, s[8:9]
.LBB588_235:
	s_or_b64 exec, exec, s[2:3]
	v_lshrrev_b16_e32 v30, 8, v31
	v_cmp_ne_u16_e32 vcc, 0, v30
	v_mov_b32_e32 v42, 0
	v_mov_b32_e32 v55, 0
	s_and_saveexec_b64 s[2:3], vcc
	s_cbranch_execz .LBB588_241
; %bb.236:
	s_movk_i32 s8, 0x80
	v_cmp_ne_u16_e32 vcc, s8, v30
	v_bfrev_b32_e32 v55, 1
	s_and_saveexec_b64 s[8:9], vcc
	s_cbranch_execz .LBB588_240
; %bb.237:
	s_movk_i32 s10, 0x7f
	v_and_b32_e32 v52, 0x7f, v30
	v_cmp_ne_u32_e32 vcc, s10, v52
	v_mov_b32_e32 v55, 0x7f800001
	s_and_saveexec_b64 s[10:11], vcc
	s_cbranch_execz .LBB588_239
; %bb.238:
	v_and_b32_e32 v55, 7, v30
	v_ffbh_u32_e32 v56, v55
	v_min_u32_e32 v59, 32, v56
	v_subrev_u32_e32 v56, 28, v59
	v_lshlrev_b64 v[56:57], v56, v[30:31]
	v_lshrrev_b32_e32 v58, 3, v52
	v_sub_u32_e32 v30, 29, v59
	v_and_b32_e32 v56, 7, v56
	v_cmp_gt_u32_e32 vcc, 8, v52
	v_cndmask_b32_e32 v30, v58, v30, vcc
	v_cndmask_b32_e32 v52, v55, v56, vcc
	v_lshlrev_b32_e32 v55, 16, v31
	v_bfrev_b32_e32 v56, 60
	v_lshlrev_b32_e32 v52, 20, v52
	v_and_b32_e32 v55, 0x80000000, v55
	v_lshl_add_u32 v30, v30, 23, v56
	v_or3_b32 v55, v55, v30, v52
.LBB588_239:
	s_or_b64 exec, exec, s[10:11]
.LBB588_240:
	s_or_b64 exec, exec, s[8:9]
.LBB588_241:
	s_or_b64 exec, exec, s[2:3]
	s_movk_i32 s2, 0xff
	v_and_b32_sdwa v52, v31, s2 dst_sel:DWORD dst_unused:UNUSED_PAD src0_sel:WORD_1 src1_sel:DWORD
	v_lshrrev_b32_e32 v30, 16, v31
	v_cmp_ne_u16_e32 vcc, 0, v52
	s_and_saveexec_b64 s[2:3], vcc
	s_cbranch_execz .LBB588_247
; %bb.242:
	s_movk_i32 s8, 0x80
	v_cmp_ne_u16_e32 vcc, s8, v52
	v_bfrev_b32_e32 v42, 1
	s_and_saveexec_b64 s[8:9], vcc
	s_cbranch_execz .LBB588_246
; %bb.243:
	v_bfe_u32 v52, v31, 16, 7
	s_movk_i32 s10, 0x7f
	v_cmp_ne_u32_e32 vcc, s10, v52
	v_mov_b32_e32 v42, 0x7f800001
	s_and_saveexec_b64 s[10:11], vcc
	s_cbranch_execz .LBB588_245
; %bb.244:
	v_and_b32_e32 v42, 7, v30
	v_ffbh_u32_e32 v56, v42
	v_min_u32_e32 v59, 32, v56
	v_subrev_u32_e32 v56, 28, v59
	v_lshlrev_b64 v[56:57], v56, v[30:31]
	v_lshrrev_b32_e32 v58, 3, v52
	v_sub_u32_e32 v30, 29, v59
	v_and_b32_e32 v56, 7, v56
	v_cmp_gt_u32_e32 vcc, 8, v52
	v_mov_b32_e32 v52, 24
	v_cndmask_b32_e32 v30, v58, v30, vcc
	v_cndmask_b32_e32 v42, v42, v56, vcc
	v_lshlrev_b32_sdwa v52, v52, v31 dst_sel:DWORD dst_unused:UNUSED_PAD src0_sel:DWORD src1_sel:WORD_1
	v_bfrev_b32_e32 v56, 60
	v_lshlrev_b32_e32 v42, 20, v42
	v_and_b32_e32 v52, 0x80000000, v52
	v_lshl_add_u32 v30, v30, 23, v56
	v_or3_b32 v42, v52, v30, v42
.LBB588_245:
	s_or_b64 exec, exec, s[10:11]
.LBB588_246:
	s_or_b64 exec, exec, s[8:9]
.LBB588_247:
	s_or_b64 exec, exec, s[2:3]
	s_mov_b32 s2, 0xffffff
	v_cmp_lt_u32_e32 vcc, s2, v31
	v_mov_b32_e32 v52, 0
	v_mov_b32_e32 v56, 0
	s_and_saveexec_b64 s[2:3], vcc
	s_cbranch_execz .LBB588_253
; %bb.248:
	v_lshrrev_b32_e32 v30, 24, v31
	s_movk_i32 s8, 0x80
	v_cmp_ne_u32_e32 vcc, s8, v30
	v_bfrev_b32_e32 v56, 1
	s_and_saveexec_b64 s[8:9], vcc
	s_cbranch_execz .LBB588_252
; %bb.249:
	v_bfe_u32 v31, v31, 24, 7
	s_movk_i32 s10, 0x7f
	v_cmp_ne_u32_e32 vcc, s10, v31
	v_mov_b32_e32 v56, 0x7f800001
	s_and_saveexec_b64 s[10:11], vcc
	s_cbranch_execz .LBB588_251
; %bb.250:
	v_and_b32_e32 v58, 7, v30
	v_ffbh_u32_e32 v56, v58
	v_min_u32_e32 v60, 32, v56
	v_subrev_u32_e32 v56, 28, v60
	v_lshlrev_b64 v[56:57], v56, v[30:31]
	v_lshrrev_b32_e32 v59, 3, v31
	v_sub_u32_e32 v57, 29, v60
	v_and_b32_e32 v56, 7, v56
	v_cmp_gt_u32_e32 vcc, 8, v31
	v_cndmask_b32_e32 v31, v59, v57, vcc
	v_cndmask_b32_e32 v56, v58, v56, vcc
	v_lshlrev_b32_e32 v30, 24, v30
	v_bfrev_b32_e32 v57, 60
	v_lshlrev_b32_e32 v56, 20, v56
	v_and_b32_e32 v30, 0x80000000, v30
	v_lshl_add_u32 v31, v31, 23, v57
	v_or3_b32 v56, v30, v31, v56
.LBB588_251:
	s_or_b64 exec, exec, s[10:11]
.LBB588_252:
	s_or_b64 exec, exec, s[8:9]
.LBB588_253:
	s_or_b64 exec, exec, s[2:3]
	v_cvt_pkrtz_f16_f32 v30, v53, v44
	v_cvt_pkrtz_f16_f32 v31, v43, v54
	v_cmp_ne_u16_sdwa s[8:9], v32, v52 src0_sel:BYTE_0 src1_sel:DWORD
	s_nop 0
	v_mfma_f32_16x16x16f16 v[58:61], v[30:31], v[26:27], 0
	v_cvt_pkrtz_f16_f32 v30, v45, v55
	v_cvt_pkrtz_f16_f32 v31, v42, v56
	s_nop 1
	v_mfma_f32_16x16x16f16 v[42:45], v[30:31], v[28:29], v[58:61]
	s_and_saveexec_b64 s[2:3], s[8:9]
	s_cbranch_execz .LBB588_259
; %bb.254:
	s_movk_i32 s8, 0x80
	v_cmp_ne_u16_sdwa s[10:11], v32, s8 src0_sel:BYTE_0 src1_sel:DWORD
	v_bfrev_b32_e32 v52, 1
	s_and_saveexec_b64 s[8:9], s[10:11]
	s_cbranch_execz .LBB588_258
; %bb.255:
	s_movk_i32 s10, 0x7f
	v_and_b32_e32 v30, 0x7f, v32
	v_cmp_ne_u32_e32 vcc, s10, v30
	v_mov_b32_e32 v52, 0x7f800001
	s_and_saveexec_b64 s[10:11], vcc
	s_cbranch_execz .LBB588_257
; %bb.256:
	v_and_b32_e32 v31, 7, v32
	v_ffbh_u32_e32 v52, v31
	v_min_u32_e32 v55, 32, v52
	v_subrev_u32_e32 v52, 28, v55
	v_lshlrev_b64 v[52:53], v52, v[32:33]
	v_lshrrev_b32_e32 v54, 3, v30
	v_sub_u32_e32 v53, 29, v55
	v_and_b32_e32 v52, 7, v52
	v_cmp_gt_u32_e32 vcc, 8, v30
	v_cndmask_b32_e32 v30, v54, v53, vcc
	v_cndmask_b32_e32 v31, v31, v52, vcc
	v_lshlrev_b32_e32 v52, 24, v32
	v_bfrev_b32_e32 v53, 60
	v_lshlrev_b32_e32 v31, 20, v31
	v_and_b32_e32 v52, 0x80000000, v52
	v_lshl_add_u32 v30, v30, 23, v53
	v_or3_b32 v52, v52, v30, v31
.LBB588_257:
	s_or_b64 exec, exec, s[10:11]
.LBB588_258:
	s_or_b64 exec, exec, s[8:9]
.LBB588_259:
	s_or_b64 exec, exec, s[2:3]
	v_lshrrev_b16_e32 v30, 8, v32
	v_cmp_ne_u16_e32 vcc, 0, v30
	v_mov_b32_e32 v31, 0
	v_mov_b32_e32 v54, 0
	s_and_saveexec_b64 s[2:3], vcc
	s_cbranch_execz .LBB588_265
; %bb.260:
	s_movk_i32 s8, 0x80
	v_cmp_ne_u16_e32 vcc, s8, v30
	v_bfrev_b32_e32 v54, 1
	s_and_saveexec_b64 s[8:9], vcc
	s_cbranch_execz .LBB588_264
; %bb.261:
	s_movk_i32 s10, 0x7f
	v_and_b32_e32 v53, 0x7f, v30
	v_cmp_ne_u32_e32 vcc, s10, v53
	v_mov_b32_e32 v54, 0x7f800001
	s_and_saveexec_b64 s[10:11], vcc
	s_cbranch_execz .LBB588_263
; %bb.262:
	v_and_b32_e32 v56, 7, v30
	v_ffbh_u32_e32 v54, v56
	v_min_u32_e32 v58, 32, v54
	v_subrev_u32_e32 v54, 28, v58
	v_lshlrev_b64 v[54:55], v54, v[30:31]
	v_lshrrev_b32_e32 v57, 3, v53
	v_sub_u32_e32 v30, 29, v58
	v_and_b32_e32 v54, 7, v54
	v_cmp_gt_u32_e32 vcc, 8, v53
	v_cndmask_b32_e32 v30, v57, v30, vcc
	v_cndmask_b32_e32 v53, v56, v54, vcc
	v_lshlrev_b32_e32 v54, 16, v32
	v_bfrev_b32_e32 v55, 60
	v_lshlrev_b32_e32 v53, 20, v53
	v_and_b32_e32 v54, 0x80000000, v54
	v_lshl_add_u32 v30, v30, 23, v55
	v_or3_b32 v54, v54, v30, v53
.LBB588_263:
	s_or_b64 exec, exec, s[10:11]
.LBB588_264:
	s_or_b64 exec, exec, s[8:9]
.LBB588_265:
	s_or_b64 exec, exec, s[2:3]
	s_movk_i32 s2, 0xff
	v_and_b32_sdwa v53, v32, s2 dst_sel:DWORD dst_unused:UNUSED_PAD src0_sel:WORD_1 src1_sel:DWORD
	v_lshrrev_b32_e32 v30, 16, v32
	v_cmp_ne_u16_e32 vcc, 0, v53
	s_and_saveexec_b64 s[2:3], vcc
	s_cbranch_execz .LBB588_271
; %bb.266:
	s_movk_i32 s8, 0x80
	v_cmp_ne_u16_e32 vcc, s8, v53
	v_bfrev_b32_e32 v31, 1
	s_and_saveexec_b64 s[8:9], vcc
	s_cbranch_execz .LBB588_270
; %bb.267:
	v_bfe_u32 v53, v32, 16, 7
	s_movk_i32 s10, 0x7f
	v_cmp_ne_u32_e32 vcc, s10, v53
	v_mov_b32_e32 v31, 0x7f800001
	s_and_saveexec_b64 s[10:11], vcc
	s_cbranch_execz .LBB588_269
; %bb.268:
	v_and_b32_e32 v55, 7, v30
	v_ffbh_u32_e32 v31, v55
	v_min_u32_e32 v57, 32, v31
	v_subrev_u32_e32 v31, 28, v57
	v_lshlrev_b64 v[30:31], v31, v[30:31]
	v_lshrrev_b32_e32 v56, 3, v53
	v_sub_u32_e32 v31, 29, v57
	v_and_b32_e32 v30, 7, v30
	v_cmp_gt_u32_e32 vcc, 8, v53
	v_mov_b32_e32 v53, 24
	v_cndmask_b32_e32 v31, v56, v31, vcc
	v_cndmask_b32_e32 v30, v55, v30, vcc
	v_lshlrev_b32_sdwa v53, v53, v32 dst_sel:DWORD dst_unused:UNUSED_PAD src0_sel:DWORD src1_sel:WORD_1
	v_bfrev_b32_e32 v55, 60
	v_lshlrev_b32_e32 v30, 20, v30
	v_and_b32_e32 v53, 0x80000000, v53
	v_lshl_add_u32 v31, v31, 23, v55
	v_or3_b32 v31, v53, v31, v30
.LBB588_269:
	s_or_b64 exec, exec, s[10:11]
.LBB588_270:
	s_or_b64 exec, exec, s[8:9]
.LBB588_271:
	s_or_b64 exec, exec, s[2:3]
	s_mov_b32 s2, 0xffffff
	v_cmp_lt_u32_e32 vcc, s2, v32
	v_mov_b32_e32 v55, 0
	v_mov_b32_e32 v56, 0
	s_and_saveexec_b64 s[2:3], vcc
	s_cbranch_execz .LBB588_277
; %bb.272:
	v_lshrrev_b32_e32 v30, 24, v32
	s_movk_i32 s8, 0x80
	v_cmp_ne_u32_e32 vcc, s8, v30
	v_bfrev_b32_e32 v56, 1
	s_and_saveexec_b64 s[8:9], vcc
	s_cbranch_execz .LBB588_276
; %bb.273:
	v_bfe_u32 v32, v32, 24, 7
	s_movk_i32 s10, 0x7f
	v_cmp_ne_u32_e32 vcc, s10, v32
	v_mov_b32_e32 v56, 0x7f800001
	s_and_saveexec_b64 s[10:11], vcc
	s_cbranch_execz .LBB588_275
; %bb.274:
	v_and_b32_e32 v53, 7, v30
	v_ffbh_u32_e32 v56, v53
	v_min_u32_e32 v59, 32, v56
	v_subrev_u32_e32 v56, 28, v59
	v_lshlrev_b64 v[56:57], v56, v[30:31]
	v_lshrrev_b32_e32 v58, 3, v32
	v_sub_u32_e32 v57, 29, v59
	v_and_b32_e32 v56, 7, v56
	v_cmp_gt_u32_e32 vcc, 8, v32
	v_cndmask_b32_e32 v32, v58, v57, vcc
	v_cndmask_b32_e32 v53, v53, v56, vcc
	v_lshlrev_b32_e32 v30, 24, v30
	v_bfrev_b32_e32 v56, 60
	v_lshlrev_b32_e32 v53, 20, v53
	v_and_b32_e32 v30, 0x80000000, v30
	v_lshl_add_u32 v32, v32, 23, v56
	v_or3_b32 v56, v30, v32, v53
.LBB588_275:
	s_or_b64 exec, exec, s[10:11]
.LBB588_276:
	s_or_b64 exec, exec, s[8:9]
.LBB588_277:
	s_or_b64 exec, exec, s[2:3]
	v_cmp_ne_u16_sdwa s[8:9], v33, v55 src0_sel:BYTE_0 src1_sel:DWORD
	s_and_saveexec_b64 s[2:3], s[8:9]
	s_cbranch_execz .LBB588_283
; %bb.278:
	s_movk_i32 s8, 0x80
	v_cmp_ne_u16_sdwa s[10:11], v33, s8 src0_sel:BYTE_0 src1_sel:DWORD
	v_bfrev_b32_e32 v55, 1
	s_and_saveexec_b64 s[8:9], s[10:11]
	s_cbranch_execz .LBB588_282
; %bb.279:
	s_movk_i32 s10, 0x7f
	v_and_b32_e32 v30, 0x7f, v33
	v_cmp_ne_u32_e32 vcc, s10, v30
	v_mov_b32_e32 v55, 0x7f800001
	s_and_saveexec_b64 s[10:11], vcc
	s_cbranch_execz .LBB588_281
; %bb.280:
	v_and_b32_e32 v53, 7, v33
	v_ffbh_u32_e32 v57, v53
	v_min_u32_e32 v57, 32, v57
	v_mov_b32_e32 v32, v33
	v_subrev_u32_e32 v58, 28, v57
	v_lshlrev_b64 v[58:59], v58, v[32:33]
	v_lshrrev_b32_e32 v55, 3, v30
	v_sub_u32_e32 v32, 29, v57
	v_and_b32_e32 v57, 7, v58
	v_cmp_gt_u32_e32 vcc, 8, v30
	v_cndmask_b32_e32 v30, v55, v32, vcc
	v_cndmask_b32_e32 v32, v53, v57, vcc
	v_lshlrev_b32_e32 v53, 24, v33
	v_bfrev_b32_e32 v55, 60
	v_lshlrev_b32_e32 v32, 20, v32
	v_and_b32_e32 v53, 0x80000000, v53
	v_lshl_add_u32 v30, v30, 23, v55
	v_or3_b32 v55, v53, v30, v32
.LBB588_281:
	s_or_b64 exec, exec, s[10:11]
.LBB588_282:
	s_or_b64 exec, exec, s[8:9]
.LBB588_283:
	s_or_b64 exec, exec, s[2:3]
	v_lshrrev_b16_e32 v30, 8, v33
	v_cmp_ne_u16_e32 vcc, 0, v30
	v_mov_b32_e32 v32, 0
	v_mov_b32_e32 v57, 0
	s_and_saveexec_b64 s[2:3], vcc
	s_cbranch_execz .LBB588_289
; %bb.284:
	s_movk_i32 s8, 0x80
	v_cmp_ne_u16_e32 vcc, s8, v30
	v_bfrev_b32_e32 v57, 1
	s_and_saveexec_b64 s[8:9], vcc
	s_cbranch_execz .LBB588_288
; %bb.285:
	s_movk_i32 s10, 0x7f
	v_and_b32_e32 v53, 0x7f, v30
	v_cmp_ne_u32_e32 vcc, s10, v53
	v_mov_b32_e32 v57, 0x7f800001
	s_and_saveexec_b64 s[10:11], vcc
	s_cbranch_execz .LBB588_287
; %bb.286:
	v_and_b32_e32 v57, 7, v30
	v_ffbh_u32_e32 v58, v57
	v_min_u32_e32 v61, 32, v58
	v_subrev_u32_e32 v58, 28, v61
	v_lshlrev_b64 v[58:59], v58, v[30:31]
	v_lshrrev_b32_e32 v60, 3, v53
	v_sub_u32_e32 v30, 29, v61
	v_and_b32_e32 v58, 7, v58
	v_cmp_gt_u32_e32 vcc, 8, v53
	v_cndmask_b32_e32 v30, v60, v30, vcc
	v_cndmask_b32_e32 v53, v57, v58, vcc
	v_lshlrev_b32_e32 v57, 16, v33
	v_bfrev_b32_e32 v58, 60
	v_lshlrev_b32_e32 v53, 20, v53
	v_and_b32_e32 v57, 0x80000000, v57
	v_lshl_add_u32 v30, v30, 23, v58
	v_or3_b32 v57, v57, v30, v53
.LBB588_287:
	s_or_b64 exec, exec, s[10:11]
.LBB588_288:
	s_or_b64 exec, exec, s[8:9]
.LBB588_289:
	s_or_b64 exec, exec, s[2:3]
	s_movk_i32 s2, 0xff
	v_and_b32_sdwa v53, v33, s2 dst_sel:DWORD dst_unused:UNUSED_PAD src0_sel:WORD_1 src1_sel:DWORD
	v_lshrrev_b32_e32 v30, 16, v33
	v_cmp_ne_u16_e32 vcc, 0, v53
	s_and_saveexec_b64 s[2:3], vcc
	s_cbranch_execz .LBB588_295
; %bb.290:
	s_movk_i32 s8, 0x80
	v_cmp_ne_u16_e32 vcc, s8, v53
	v_bfrev_b32_e32 v32, 1
	s_and_saveexec_b64 s[8:9], vcc
	s_cbranch_execz .LBB588_294
; %bb.291:
	v_bfe_u32 v53, v33, 16, 7
	s_movk_i32 s10, 0x7f
	v_cmp_ne_u32_e32 vcc, s10, v53
	v_mov_b32_e32 v32, 0x7f800001
	s_and_saveexec_b64 s[10:11], vcc
	s_cbranch_execz .LBB588_293
; %bb.292:
	v_and_b32_e32 v32, 7, v30
	v_ffbh_u32_e32 v58, v32
	v_min_u32_e32 v61, 32, v58
	v_subrev_u32_e32 v58, 28, v61
	v_lshlrev_b64 v[58:59], v58, v[30:31]
	v_lshrrev_b32_e32 v60, 3, v53
	v_sub_u32_e32 v30, 29, v61
	v_and_b32_e32 v58, 7, v58
	v_cmp_gt_u32_e32 vcc, 8, v53
	v_mov_b32_e32 v53, 24
	v_cndmask_b32_e32 v30, v60, v30, vcc
	v_cndmask_b32_e32 v32, v32, v58, vcc
	v_lshlrev_b32_sdwa v53, v53, v33 dst_sel:DWORD dst_unused:UNUSED_PAD src0_sel:DWORD src1_sel:WORD_1
	v_bfrev_b32_e32 v58, 60
	v_lshlrev_b32_e32 v32, 20, v32
	v_and_b32_e32 v53, 0x80000000, v53
	v_lshl_add_u32 v30, v30, 23, v58
	v_or3_b32 v32, v53, v30, v32
.LBB588_293:
	s_or_b64 exec, exec, s[10:11]
.LBB588_294:
	s_or_b64 exec, exec, s[8:9]
.LBB588_295:
	s_or_b64 exec, exec, s[2:3]
	s_mov_b32 s2, 0xffffff
	v_cmp_lt_u32_e32 vcc, s2, v33
	v_mov_b32_e32 v53, 0
	v_mov_b32_e32 v58, 0
	s_and_saveexec_b64 s[2:3], vcc
	s_cbranch_execz .LBB588_301
; %bb.296:
	v_lshrrev_b32_e32 v30, 24, v33
	s_movk_i32 s8, 0x80
	v_cmp_ne_u32_e32 vcc, s8, v30
	v_bfrev_b32_e32 v58, 1
	s_and_saveexec_b64 s[8:9], vcc
	s_cbranch_execz .LBB588_300
; %bb.297:
	v_bfe_u32 v33, v33, 24, 7
	s_movk_i32 s10, 0x7f
	v_cmp_ne_u32_e32 vcc, s10, v33
	v_mov_b32_e32 v58, 0x7f800001
	s_and_saveexec_b64 s[10:11], vcc
	s_cbranch_execz .LBB588_299
; %bb.298:
	v_and_b32_e32 v60, 7, v30
	v_ffbh_u32_e32 v58, v60
	v_min_u32_e32 v62, 32, v58
	v_subrev_u32_e32 v58, 28, v62
	v_lshlrev_b64 v[58:59], v58, v[30:31]
	v_lshrrev_b32_e32 v61, 3, v33
	v_sub_u32_e32 v59, 29, v62
	v_and_b32_e32 v58, 7, v58
	v_cmp_gt_u32_e32 vcc, 8, v33
	v_cndmask_b32_e32 v33, v61, v59, vcc
	v_cndmask_b32_e32 v58, v60, v58, vcc
	v_lshlrev_b32_e32 v30, 24, v30
	v_bfrev_b32_e32 v59, 60
	v_lshlrev_b32_e32 v58, 20, v58
	v_and_b32_e32 v30, 0x80000000, v30
	v_lshl_add_u32 v33, v33, 23, v59
	v_or3_b32 v58, v30, v33, v58
.LBB588_299:
	s_or_b64 exec, exec, s[10:11]
.LBB588_300:
	s_or_b64 exec, exec, s[8:9]
.LBB588_301:
	s_or_b64 exec, exec, s[2:3]
	v_cvt_pkrtz_f16_f32 v30, v52, v54
	v_cvt_pkrtz_f16_f32 v31, v31, v56
	v_cmp_ne_u16_sdwa s[8:9], v22, v53 src0_sel:BYTE_0 src1_sel:DWORD
	s_nop 0
	v_mfma_f32_16x16x16f16 v[42:45], v[30:31], v[18:19], v[42:45]
	v_cvt_pkrtz_f16_f32 v30, v55, v57
	v_cvt_pkrtz_f16_f32 v31, v32, v58
	s_nop 1
	v_mfma_f32_16x16x16f16 v[30:33], v[30:31], v[20:21], v[42:45]
	s_and_saveexec_b64 s[2:3], s[8:9]
	s_cbranch_execz .LBB588_307
; %bb.302:
	s_movk_i32 s8, 0x80
	v_cmp_ne_u16_sdwa s[10:11], v22, s8 src0_sel:BYTE_0 src1_sel:DWORD
	v_bfrev_b32_e32 v53, 1
	s_and_saveexec_b64 s[8:9], s[10:11]
	s_cbranch_execz .LBB588_306
; %bb.303:
	s_movk_i32 s10, 0x7f
	v_and_b32_e32 v42, 0x7f, v22
	v_cmp_ne_u32_e32 vcc, s10, v42
	v_mov_b32_e32 v53, 0x7f800001
	s_and_saveexec_b64 s[10:11], vcc
	s_cbranch_execz .LBB588_305
; %bb.304:
	v_and_b32_e32 v43, 7, v22
	v_ffbh_u32_e32 v44, v43
	v_min_u32_e32 v53, 32, v44
	v_subrev_u32_e32 v44, 28, v53
	v_lshlrev_b64 v[44:45], v44, v[22:23]
	v_lshrrev_b32_e32 v52, 3, v42
	v_sub_u32_e32 v45, 29, v53
	v_and_b32_e32 v44, 7, v44
	v_cmp_gt_u32_e32 vcc, 8, v42
	v_cndmask_b32_e32 v42, v52, v45, vcc
	v_cndmask_b32_e32 v43, v43, v44, vcc
	v_lshlrev_b32_e32 v44, 24, v22
	v_bfrev_b32_e32 v45, 60
	v_lshlrev_b32_e32 v43, 20, v43
	v_and_b32_e32 v44, 0x80000000, v44
	v_lshl_add_u32 v42, v42, 23, v45
	v_or3_b32 v53, v44, v42, v43
.LBB588_305:
	s_or_b64 exec, exec, s[10:11]
.LBB588_306:
	s_or_b64 exec, exec, s[8:9]
.LBB588_307:
	s_or_b64 exec, exec, s[2:3]
	s_nop 3
	v_lshrrev_b16_e32 v42, 8, v22
	v_cmp_ne_u16_e32 vcc, 0, v42
	v_mov_b32_e32 v43, 0
	v_mov_b32_e32 v44, 0
	s_and_saveexec_b64 s[2:3], vcc
	s_cbranch_execz .LBB588_313
; %bb.308:
	s_movk_i32 s8, 0x80
	v_cmp_ne_u16_e32 vcc, s8, v42
	v_bfrev_b32_e32 v44, 1
	s_and_saveexec_b64 s[8:9], vcc
	s_cbranch_execz .LBB588_312
; %bb.309:
	s_movk_i32 s10, 0x7f
	v_and_b32_e32 v45, 0x7f, v42
	v_cmp_ne_u32_e32 vcc, s10, v45
	v_mov_b32_e32 v44, 0x7f800001
	s_and_saveexec_b64 s[10:11], vcc
	s_cbranch_execz .LBB588_311
; %bb.310:
	v_and_b32_e32 v44, 7, v42
	v_ffbh_u32_e32 v54, v44
	v_min_u32_e32 v56, 32, v54
	v_subrev_u32_e32 v54, 28, v56
	v_lshlrev_b64 v[54:55], v54, v[42:43]
	v_lshrrev_b32_e32 v52, 3, v45
	v_sub_u32_e32 v42, 29, v56
	v_and_b32_e32 v54, 7, v54
	v_cmp_gt_u32_e32 vcc, 8, v45
	v_cndmask_b32_e32 v42, v52, v42, vcc
	v_cndmask_b32_e32 v44, v44, v54, vcc
	v_lshlrev_b32_e32 v45, 16, v22
	v_bfrev_b32_e32 v52, 60
	v_lshlrev_b32_e32 v44, 20, v44
	v_and_b32_e32 v45, 0x80000000, v45
	v_lshl_add_u32 v42, v42, 23, v52
	v_or3_b32 v44, v45, v42, v44
.LBB588_311:
	s_or_b64 exec, exec, s[10:11]
.LBB588_312:
	s_or_b64 exec, exec, s[8:9]
.LBB588_313:
	s_or_b64 exec, exec, s[2:3]
	s_movk_i32 s2, 0xff
	v_and_b32_sdwa v45, v22, s2 dst_sel:DWORD dst_unused:UNUSED_PAD src0_sel:WORD_1 src1_sel:DWORD
	v_lshrrev_b32_e32 v42, 16, v22
	v_cmp_ne_u16_e32 vcc, 0, v45
	s_and_saveexec_b64 s[2:3], vcc
	s_cbranch_execz .LBB588_319
; %bb.314:
	s_movk_i32 s8, 0x80
	v_cmp_ne_u16_e32 vcc, s8, v45
	v_bfrev_b32_e32 v43, 1
	s_and_saveexec_b64 s[8:9], vcc
	s_cbranch_execz .LBB588_318
; %bb.315:
	v_bfe_u32 v45, v22, 16, 7
	s_movk_i32 s10, 0x7f
	v_cmp_ne_u32_e32 vcc, s10, v45
	v_mov_b32_e32 v43, 0x7f800001
	s_and_saveexec_b64 s[10:11], vcc
	s_cbranch_execz .LBB588_317
; %bb.316:
	v_and_b32_e32 v52, 7, v42
	v_ffbh_u32_e32 v43, v52
	v_min_u32_e32 v55, 32, v43
	v_subrev_u32_e32 v43, 28, v55
	v_lshlrev_b64 v[42:43], v43, v[42:43]
	v_lshrrev_b32_e32 v54, 3, v45
	v_sub_u32_e32 v43, 29, v55
	v_and_b32_e32 v42, 7, v42
	v_cmp_gt_u32_e32 vcc, 8, v45
	v_mov_b32_e32 v45, 24
	v_cndmask_b32_e32 v43, v54, v43, vcc
	v_cndmask_b32_e32 v42, v52, v42, vcc
	v_lshlrev_b32_sdwa v45, v45, v22 dst_sel:DWORD dst_unused:UNUSED_PAD src0_sel:DWORD src1_sel:WORD_1
	v_bfrev_b32_e32 v52, 60
	v_lshlrev_b32_e32 v42, 20, v42
	v_and_b32_e32 v45, 0x80000000, v45
	v_lshl_add_u32 v43, v43, 23, v52
	v_or3_b32 v43, v45, v43, v42
.LBB588_317:
	s_or_b64 exec, exec, s[10:11]
.LBB588_318:
	s_or_b64 exec, exec, s[8:9]
.LBB588_319:
	s_or_b64 exec, exec, s[2:3]
	s_mov_b32 s2, 0xffffff
	v_cmp_lt_u32_e32 vcc, s2, v22
	v_mov_b32_e32 v45, 0
	v_mov_b32_e32 v52, 0
	s_and_saveexec_b64 s[2:3], vcc
	s_cbranch_execz .LBB588_325
; %bb.320:
	v_lshrrev_b32_e32 v42, 24, v22
	s_movk_i32 s8, 0x80
	v_cmp_ne_u32_e32 vcc, s8, v42
	v_bfrev_b32_e32 v52, 1
	s_and_saveexec_b64 s[8:9], vcc
	s_cbranch_execz .LBB588_324
; %bb.321:
	v_bfe_u32 v22, v22, 24, 7
	s_movk_i32 s10, 0x7f
	v_cmp_ne_u32_e32 vcc, s10, v22
	v_mov_b32_e32 v52, 0x7f800001
	s_and_saveexec_b64 s[10:11], vcc
	s_cbranch_execz .LBB588_323
; %bb.322:
	v_and_b32_e32 v52, 7, v42
	v_ffbh_u32_e32 v54, v52
	v_min_u32_e32 v57, 32, v54
	v_subrev_u32_e32 v54, 28, v57
	v_lshlrev_b64 v[54:55], v54, v[42:43]
	v_lshrrev_b32_e32 v56, 3, v22
	v_sub_u32_e32 v55, 29, v57
	v_and_b32_e32 v54, 7, v54
	v_cmp_gt_u32_e32 vcc, 8, v22
	v_cndmask_b32_e32 v22, v56, v55, vcc
	v_cndmask_b32_e32 v52, v52, v54, vcc
	v_lshlrev_b32_e32 v42, 24, v42
	v_bfrev_b32_e32 v54, 60
	v_lshlrev_b32_e32 v52, 20, v52
	v_and_b32_e32 v42, 0x80000000, v42
	v_lshl_add_u32 v22, v22, 23, v54
	v_or3_b32 v52, v42, v22, v52
.LBB588_323:
	s_or_b64 exec, exec, s[10:11]
.LBB588_324:
	s_or_b64 exec, exec, s[8:9]
.LBB588_325:
	s_or_b64 exec, exec, s[2:3]
	v_cmp_ne_u16_sdwa s[8:9], v23, v45 src0_sel:BYTE_0 src1_sel:DWORD
	s_and_saveexec_b64 s[2:3], s[8:9]
	s_cbranch_execz .LBB588_331
; %bb.326:
	s_movk_i32 s8, 0x80
	v_cmp_ne_u16_sdwa s[10:11], v23, s8 src0_sel:BYTE_0 src1_sel:DWORD
	v_bfrev_b32_e32 v45, 1
	s_and_saveexec_b64 s[8:9], s[10:11]
	s_cbranch_execz .LBB588_330
; %bb.327:
	s_movk_i32 s10, 0x7f
	v_and_b32_e32 v22, 0x7f, v23
	v_cmp_ne_u32_e32 vcc, s10, v22
	v_mov_b32_e32 v45, 0x7f800001
	s_and_saveexec_b64 s[10:11], vcc
	s_cbranch_execz .LBB588_329
; %bb.328:
	v_and_b32_e32 v45, 7, v23
	v_ffbh_u32_e32 v54, v45
	v_min_u32_e32 v57, 32, v54
	v_mov_b32_e32 v42, v23
	v_subrev_u32_e32 v54, 28, v57
	v_lshlrev_b64 v[54:55], v54, v[42:43]
	v_lshrrev_b32_e32 v56, 3, v22
	v_sub_u32_e32 v42, 29, v57
	v_and_b32_e32 v54, 7, v54
	v_cmp_gt_u32_e32 vcc, 8, v22
	v_cndmask_b32_e32 v22, v56, v42, vcc
	v_cndmask_b32_e32 v42, v45, v54, vcc
	v_lshlrev_b32_e32 v45, 24, v23
	v_bfrev_b32_e32 v54, 60
	v_lshlrev_b32_e32 v42, 20, v42
	v_and_b32_e32 v45, 0x80000000, v45
	v_lshl_add_u32 v22, v22, 23, v54
	v_or3_b32 v45, v45, v22, v42
.LBB588_329:
	s_or_b64 exec, exec, s[10:11]
.LBB588_330:
	s_or_b64 exec, exec, s[8:9]
.LBB588_331:
	s_or_b64 exec, exec, s[2:3]
	v_lshrrev_b16_e32 v22, 8, v23
	v_cmp_ne_u16_e32 vcc, 0, v22
	v_mov_b32_e32 v54, 0
	v_mov_b32_e32 v55, 0
	s_and_saveexec_b64 s[2:3], vcc
	s_cbranch_execz .LBB588_337
; %bb.332:
	s_movk_i32 s8, 0x80
	v_cmp_ne_u16_e32 vcc, s8, v22
	v_bfrev_b32_e32 v55, 1
	s_and_saveexec_b64 s[8:9], vcc
	s_cbranch_execz .LBB588_336
; %bb.333:
	s_movk_i32 s10, 0x7f
	v_and_b32_e32 v42, 0x7f, v22
	v_cmp_ne_u32_e32 vcc, s10, v42
	v_mov_b32_e32 v55, 0x7f800001
	s_and_saveexec_b64 s[10:11], vcc
	s_cbranch_execz .LBB588_335
; %bb.334:
	v_and_b32_e32 v55, 7, v22
	v_ffbh_u32_e32 v56, v55
	v_min_u32_e32 v59, 32, v56
	v_subrev_u32_e32 v56, 28, v59
	v_lshlrev_b64 v[56:57], v56, v[22:23]
	v_lshrrev_b32_e32 v58, 3, v42
	v_sub_u32_e32 v22, 29, v59
	v_and_b32_e32 v56, 7, v56
	v_cmp_gt_u32_e32 vcc, 8, v42
	v_cndmask_b32_e32 v22, v58, v22, vcc
	v_cndmask_b32_e32 v42, v55, v56, vcc
	v_lshlrev_b32_e32 v55, 16, v23
	v_bfrev_b32_e32 v56, 60
	v_lshlrev_b32_e32 v42, 20, v42
	v_and_b32_e32 v55, 0x80000000, v55
	v_lshl_add_u32 v22, v22, 23, v56
	v_or3_b32 v55, v55, v22, v42
.LBB588_335:
	s_or_b64 exec, exec, s[10:11]
.LBB588_336:
	s_or_b64 exec, exec, s[8:9]
.LBB588_337:
	s_or_b64 exec, exec, s[2:3]
	s_movk_i32 s2, 0xff
	v_and_b32_sdwa v42, v23, s2 dst_sel:DWORD dst_unused:UNUSED_PAD src0_sel:WORD_1 src1_sel:DWORD
	v_lshrrev_b32_e32 v22, 16, v23
	v_cmp_ne_u16_e32 vcc, 0, v42
	s_and_saveexec_b64 s[2:3], vcc
	s_cbranch_execz .LBB588_343
; %bb.338:
	s_movk_i32 s8, 0x80
	v_cmp_ne_u16_e32 vcc, s8, v42
	v_bfrev_b32_e32 v54, 1
	s_and_saveexec_b64 s[8:9], vcc
	s_cbranch_execz .LBB588_342
; %bb.339:
	v_bfe_u32 v42, v23, 16, 7
	s_movk_i32 s10, 0x7f
	v_cmp_ne_u32_e32 vcc, s10, v42
	v_mov_b32_e32 v54, 0x7f800001
	s_and_saveexec_b64 s[10:11], vcc
	s_cbranch_execz .LBB588_341
; %bb.340:
	v_and_b32_e32 v54, 7, v22
	v_ffbh_u32_e32 v56, v54
	v_min_u32_e32 v59, 32, v56
	v_subrev_u32_e32 v56, 28, v59
	v_lshlrev_b64 v[56:57], v56, v[22:23]
	v_and_b32_e32 v56, 7, v56
	v_cmp_gt_u32_e32 vcc, 8, v42
	v_lshrrev_b32_e32 v58, 3, v42
	v_sub_u32_e32 v22, 29, v59
	v_cndmask_b32_e32 v42, v54, v56, vcc
	v_mov_b32_e32 v54, 24
	v_cndmask_b32_e32 v22, v58, v22, vcc
	v_lshlrev_b32_sdwa v54, v54, v23 dst_sel:DWORD dst_unused:UNUSED_PAD src0_sel:DWORD src1_sel:WORD_1
	v_bfrev_b32_e32 v56, 60
	v_lshlrev_b32_e32 v42, 20, v42
	v_and_b32_e32 v54, 0x80000000, v54
	v_lshl_add_u32 v22, v22, 23, v56
	v_or3_b32 v54, v54, v22, v42
.LBB588_341:
	s_or_b64 exec, exec, s[10:11]
.LBB588_342:
	s_or_b64 exec, exec, s[8:9]
.LBB588_343:
	s_or_b64 exec, exec, s[2:3]
	s_mov_b32 s2, 0xffffff
	v_cmp_lt_u32_e32 vcc, s2, v23
	v_mov_b32_e32 v42, 0
	v_mov_b32_e32 v56, 0
	s_and_saveexec_b64 s[2:3], vcc
	s_cbranch_execz .LBB588_349
; %bb.344:
	v_lshrrev_b32_e32 v22, 24, v23
	s_movk_i32 s8, 0x80
	v_cmp_ne_u32_e32 vcc, s8, v22
	v_bfrev_b32_e32 v56, 1
	s_and_saveexec_b64 s[8:9], vcc
	s_cbranch_execz .LBB588_348
; %bb.345:
	v_bfe_u32 v23, v23, 24, 7
	s_movk_i32 s10, 0x7f
	v_cmp_ne_u32_e32 vcc, s10, v23
	v_mov_b32_e32 v56, 0x7f800001
	s_and_saveexec_b64 s[10:11], vcc
	s_cbranch_execz .LBB588_347
; %bb.346:
	v_and_b32_e32 v58, 7, v22
	v_ffbh_u32_e32 v56, v58
	v_min_u32_e32 v60, 32, v56
	v_subrev_u32_e32 v56, 28, v60
	v_lshlrev_b64 v[56:57], v56, v[22:23]
	v_lshrrev_b32_e32 v59, 3, v23
	v_sub_u32_e32 v57, 29, v60
	v_and_b32_e32 v56, 7, v56
	v_cmp_gt_u32_e32 vcc, 8, v23
	v_cndmask_b32_e32 v23, v59, v57, vcc
	v_cndmask_b32_e32 v56, v58, v56, vcc
	v_lshlrev_b32_e32 v22, 24, v22
	v_bfrev_b32_e32 v57, 60
	v_lshlrev_b32_e32 v56, 20, v56
	v_and_b32_e32 v22, 0x80000000, v22
	v_lshl_add_u32 v23, v23, 23, v57
	v_or3_b32 v56, v22, v23, v56
.LBB588_347:
	s_or_b64 exec, exec, s[10:11]
.LBB588_348:
	s_or_b64 exec, exec, s[8:9]
.LBB588_349:
	s_or_b64 exec, exec, s[2:3]
	v_cvt_pkrtz_f16_f32 v22, v53, v44
	v_cvt_pkrtz_f16_f32 v23, v43, v52
	v_cmp_ne_u16_sdwa s[8:9], v24, v42 src0_sel:BYTE_0 src1_sel:DWORD
	s_nop 0
	v_mfma_f32_16x16x16f16 v[58:61], v[22:23], v[26:27], 0
	v_cvt_pkrtz_f16_f32 v22, v45, v55
	v_cvt_pkrtz_f16_f32 v23, v54, v56
	s_nop 1
	v_mfma_f32_16x16x16f16 v[26:29], v[22:23], v[28:29], v[58:61]
	s_and_saveexec_b64 s[2:3], s[8:9]
	s_cbranch_execz .LBB588_355
; %bb.350:
	s_movk_i32 s8, 0x80
	v_cmp_ne_u16_sdwa s[10:11], v24, s8 src0_sel:BYTE_0 src1_sel:DWORD
	v_bfrev_b32_e32 v42, 1
	s_and_saveexec_b64 s[8:9], s[10:11]
	s_cbranch_execz .LBB588_354
; %bb.351:
	s_movk_i32 s10, 0x7f
	v_and_b32_e32 v22, 0x7f, v24
	v_cmp_ne_u32_e32 vcc, s10, v22
	v_mov_b32_e32 v42, 0x7f800001
	s_and_saveexec_b64 s[10:11], vcc
	s_cbranch_execz .LBB588_353
; %bb.352:
	v_and_b32_e32 v23, 7, v24
	v_ffbh_u32_e32 v42, v23
	v_min_u32_e32 v45, 32, v42
	v_subrev_u32_e32 v42, 28, v45
	v_lshlrev_b64 v[42:43], v42, v[24:25]
	v_lshrrev_b32_e32 v44, 3, v22
	v_sub_u32_e32 v43, 29, v45
	v_and_b32_e32 v42, 7, v42
	v_cmp_gt_u32_e32 vcc, 8, v22
	v_cndmask_b32_e32 v22, v44, v43, vcc
	v_cndmask_b32_e32 v23, v23, v42, vcc
	v_lshlrev_b32_e32 v42, 24, v24
	v_bfrev_b32_e32 v43, 60
	v_lshlrev_b32_e32 v23, 20, v23
	v_and_b32_e32 v42, 0x80000000, v42
	v_lshl_add_u32 v22, v22, 23, v43
	v_or3_b32 v42, v42, v22, v23
.LBB588_353:
	s_or_b64 exec, exec, s[10:11]
.LBB588_354:
	s_or_b64 exec, exec, s[8:9]
.LBB588_355:
	s_or_b64 exec, exec, s[2:3]
	v_lshrrev_b16_e32 v22, 8, v24
	v_cmp_ne_u16_e32 vcc, 0, v22
	v_mov_b32_e32 v23, 0
	v_mov_b32_e32 v43, 0
	s_and_saveexec_b64 s[2:3], vcc
	s_cbranch_execz .LBB588_361
; %bb.356:
	s_movk_i32 s8, 0x80
	v_cmp_ne_u16_e32 vcc, s8, v22
	v_bfrev_b32_e32 v43, 1
	s_and_saveexec_b64 s[8:9], vcc
	s_cbranch_execz .LBB588_360
; %bb.357:
	s_movk_i32 s10, 0x7f
	v_and_b32_e32 v44, 0x7f, v22
	v_cmp_ne_u32_e32 vcc, s10, v44
	v_mov_b32_e32 v43, 0x7f800001
	s_and_saveexec_b64 s[10:11], vcc
	s_cbranch_execz .LBB588_359
; %bb.358:
	v_and_b32_e32 v43, 7, v22
	v_ffbh_u32_e32 v52, v43
	v_min_u32_e32 v54, 32, v52
	v_subrev_u32_e32 v52, 28, v54
	v_lshlrev_b64 v[52:53], v52, v[22:23]
	v_lshrrev_b32_e32 v45, 3, v44
	v_sub_u32_e32 v22, 29, v54
	v_and_b32_e32 v52, 7, v52
	v_cmp_gt_u32_e32 vcc, 8, v44
	v_cndmask_b32_e32 v22, v45, v22, vcc
	v_cndmask_b32_e32 v43, v43, v52, vcc
	v_lshlrev_b32_e32 v44, 16, v24
	v_bfrev_b32_e32 v45, 60
	v_lshlrev_b32_e32 v43, 20, v43
	v_and_b32_e32 v44, 0x80000000, v44
	v_lshl_add_u32 v22, v22, 23, v45
	v_or3_b32 v43, v44, v22, v43
.LBB588_359:
	s_or_b64 exec, exec, s[10:11]
.LBB588_360:
	s_or_b64 exec, exec, s[8:9]
.LBB588_361:
	s_or_b64 exec, exec, s[2:3]
	s_movk_i32 s2, 0xff
	v_and_b32_sdwa v44, v24, s2 dst_sel:DWORD dst_unused:UNUSED_PAD src0_sel:WORD_1 src1_sel:DWORD
	v_lshrrev_b32_e32 v22, 16, v24
	v_cmp_ne_u16_e32 vcc, 0, v44
	s_and_saveexec_b64 s[2:3], vcc
	s_cbranch_execz .LBB588_367
; %bb.362:
	s_movk_i32 s8, 0x80
	v_cmp_ne_u16_e32 vcc, s8, v44
	v_bfrev_b32_e32 v23, 1
	s_and_saveexec_b64 s[8:9], vcc
	s_cbranch_execz .LBB588_366
; %bb.363:
	v_bfe_u32 v44, v24, 16, 7
	s_movk_i32 s10, 0x7f
	v_cmp_ne_u32_e32 vcc, s10, v44
	v_mov_b32_e32 v23, 0x7f800001
	s_and_saveexec_b64 s[10:11], vcc
	s_cbranch_execz .LBB588_365
; %bb.364:
	v_and_b32_e32 v45, 7, v22
	v_ffbh_u32_e32 v23, v45
	v_min_u32_e32 v53, 32, v23
	v_subrev_u32_e32 v23, 28, v53
	v_lshlrev_b64 v[22:23], v23, v[22:23]
	v_lshrrev_b32_e32 v52, 3, v44
	v_sub_u32_e32 v23, 29, v53
	v_and_b32_e32 v22, 7, v22
	v_cmp_gt_u32_e32 vcc, 8, v44
	v_mov_b32_e32 v44, 24
	v_cndmask_b32_e32 v23, v52, v23, vcc
	v_cndmask_b32_e32 v22, v45, v22, vcc
	v_lshlrev_b32_sdwa v44, v44, v24 dst_sel:DWORD dst_unused:UNUSED_PAD src0_sel:DWORD src1_sel:WORD_1
	v_bfrev_b32_e32 v45, 60
	v_lshlrev_b32_e32 v22, 20, v22
	v_and_b32_e32 v44, 0x80000000, v44
	v_lshl_add_u32 v23, v23, 23, v45
	v_or3_b32 v23, v44, v23, v22
.LBB588_365:
	s_or_b64 exec, exec, s[10:11]
.LBB588_366:
	s_or_b64 exec, exec, s[8:9]
.LBB588_367:
	s_or_b64 exec, exec, s[2:3]
	s_mov_b32 s2, 0xffffff
	v_cmp_lt_u32_e32 vcc, s2, v24
	v_mov_b32_e32 v45, 0
	v_mov_b32_e32 v52, 0
	s_and_saveexec_b64 s[2:3], vcc
	s_cbranch_execz .LBB588_373
; %bb.368:
	v_lshrrev_b32_e32 v22, 24, v24
	s_movk_i32 s8, 0x80
	v_cmp_ne_u32_e32 vcc, s8, v22
	v_bfrev_b32_e32 v52, 1
	s_and_saveexec_b64 s[8:9], vcc
	s_cbranch_execz .LBB588_372
; %bb.369:
	v_bfe_u32 v24, v24, 24, 7
	s_movk_i32 s10, 0x7f
	v_cmp_ne_u32_e32 vcc, s10, v24
	v_mov_b32_e32 v52, 0x7f800001
	s_and_saveexec_b64 s[10:11], vcc
	s_cbranch_execz .LBB588_371
; %bb.370:
	v_and_b32_e32 v44, 7, v22
	v_ffbh_u32_e32 v52, v44
	v_min_u32_e32 v55, 32, v52
	v_subrev_u32_e32 v52, 28, v55
	v_lshlrev_b64 v[52:53], v52, v[22:23]
	v_lshrrev_b32_e32 v54, 3, v24
	v_sub_u32_e32 v53, 29, v55
	v_and_b32_e32 v52, 7, v52
	v_cmp_gt_u32_e32 vcc, 8, v24
	v_cndmask_b32_e32 v24, v54, v53, vcc
	v_cndmask_b32_e32 v44, v44, v52, vcc
	v_lshlrev_b32_e32 v22, 24, v22
	v_bfrev_b32_e32 v52, 60
	v_lshlrev_b32_e32 v44, 20, v44
	v_and_b32_e32 v22, 0x80000000, v22
	v_lshl_add_u32 v24, v24, 23, v52
	v_or3_b32 v52, v22, v24, v44
.LBB588_371:
	s_or_b64 exec, exec, s[10:11]
.LBB588_372:
	s_or_b64 exec, exec, s[8:9]
.LBB588_373:
	s_or_b64 exec, exec, s[2:3]
	v_cmp_ne_u16_sdwa s[8:9], v25, v45 src0_sel:BYTE_0 src1_sel:DWORD
	s_and_saveexec_b64 s[2:3], s[8:9]
	s_cbranch_execz .LBB588_379
; %bb.374:
	s_movk_i32 s8, 0x80
	v_cmp_ne_u16_sdwa s[10:11], v25, s8 src0_sel:BYTE_0 src1_sel:DWORD
	v_bfrev_b32_e32 v45, 1
	s_and_saveexec_b64 s[8:9], s[10:11]
	s_cbranch_execz .LBB588_378
; %bb.375:
	s_movk_i32 s10, 0x7f
	v_and_b32_e32 v22, 0x7f, v25
	v_cmp_ne_u32_e32 vcc, s10, v22
	v_mov_b32_e32 v45, 0x7f800001
	s_and_saveexec_b64 s[10:11], vcc
	s_cbranch_execz .LBB588_377
; %bb.376:
	v_and_b32_e32 v53, 7, v25
	v_ffbh_u32_e32 v44, v53
	v_min_u32_e32 v55, 32, v44
	v_mov_b32_e32 v24, v25
	v_subrev_u32_e32 v44, 28, v55
	v_lshlrev_b64 v[44:45], v44, v[24:25]
	v_lshrrev_b32_e32 v54, 3, v22
	v_sub_u32_e32 v24, 29, v55
	v_and_b32_e32 v44, 7, v44
	v_cmp_gt_u32_e32 vcc, 8, v22
	v_cndmask_b32_e32 v22, v54, v24, vcc
	v_cndmask_b32_e32 v24, v53, v44, vcc
	v_lshlrev_b32_e32 v44, 24, v25
	v_bfrev_b32_e32 v45, 60
	v_lshlrev_b32_e32 v24, 20, v24
	v_and_b32_e32 v44, 0x80000000, v44
	v_lshl_add_u32 v22, v22, 23, v45
	v_or3_b32 v45, v44, v22, v24
.LBB588_377:
	s_or_b64 exec, exec, s[10:11]
.LBB588_378:
	s_or_b64 exec, exec, s[8:9]
.LBB588_379:
	s_or_b64 exec, exec, s[2:3]
	v_lshrrev_b16_e32 v22, 8, v25
	v_cmp_ne_u16_e32 vcc, 0, v22
	v_mov_b32_e32 v53, 0
	v_mov_b32_e32 v54, 0
	s_and_saveexec_b64 s[2:3], vcc
	s_cbranch_execz .LBB588_385
; %bb.380:
	s_movk_i32 s8, 0x80
	v_cmp_ne_u16_e32 vcc, s8, v22
	v_bfrev_b32_e32 v54, 1
	s_and_saveexec_b64 s[8:9], vcc
	s_cbranch_execz .LBB588_384
; %bb.381:
	s_movk_i32 s10, 0x7f
	v_and_b32_e32 v24, 0x7f, v22
	v_cmp_ne_u32_e32 vcc, s10, v24
	v_mov_b32_e32 v54, 0x7f800001
	s_and_saveexec_b64 s[10:11], vcc
	s_cbranch_execz .LBB588_383
; %bb.382:
	v_and_b32_e32 v44, 7, v22
	v_ffbh_u32_e32 v54, v44
	v_min_u32_e32 v57, 32, v54
	v_subrev_u32_e32 v54, 28, v57
	v_lshlrev_b64 v[54:55], v54, v[22:23]
	v_lshrrev_b32_e32 v56, 3, v24
	v_sub_u32_e32 v22, 29, v57
	v_and_b32_e32 v54, 7, v54
	v_cmp_gt_u32_e32 vcc, 8, v24
	v_cndmask_b32_e32 v22, v56, v22, vcc
	v_cndmask_b32_e32 v24, v44, v54, vcc
	v_lshlrev_b32_e32 v44, 16, v25
	v_bfrev_b32_e32 v54, 60
	v_lshlrev_b32_e32 v24, 20, v24
	v_and_b32_e32 v44, 0x80000000, v44
	v_lshl_add_u32 v22, v22, 23, v54
	v_or3_b32 v54, v44, v22, v24
.LBB588_383:
	s_or_b64 exec, exec, s[10:11]
.LBB588_384:
	s_or_b64 exec, exec, s[8:9]
.LBB588_385:
	s_or_b64 exec, exec, s[2:3]
	s_movk_i32 s2, 0xff
	v_and_b32_sdwa v24, v25, s2 dst_sel:DWORD dst_unused:UNUSED_PAD src0_sel:WORD_1 src1_sel:DWORD
	v_lshrrev_b32_e32 v22, 16, v25
	v_cmp_ne_u16_e32 vcc, 0, v24
	s_and_saveexec_b64 s[2:3], vcc
	s_cbranch_execz .LBB588_391
; %bb.386:
	s_movk_i32 s8, 0x80
	v_cmp_ne_u16_e32 vcc, s8, v24
	v_bfrev_b32_e32 v53, 1
	s_and_saveexec_b64 s[8:9], vcc
	s_cbranch_execz .LBB588_390
; %bb.387:
	v_bfe_u32 v24, v25, 16, 7
	s_movk_i32 s10, 0x7f
	v_cmp_ne_u32_e32 vcc, s10, v24
	v_mov_b32_e32 v53, 0x7f800001
	s_and_saveexec_b64 s[10:11], vcc
	s_cbranch_execz .LBB588_389
; %bb.388:
	v_and_b32_e32 v44, 7, v22
	v_ffbh_u32_e32 v55, v44
	v_min_u32_e32 v55, 32, v55
	v_subrev_u32_e32 v56, 28, v55
	v_lshlrev_b64 v[56:57], v56, v[22:23]
	v_sub_u32_e32 v22, 29, v55
	v_and_b32_e32 v55, 7, v56
	v_cmp_gt_u32_e32 vcc, 8, v24
	v_lshrrev_b32_e32 v53, 3, v24
	v_cndmask_b32_e32 v24, v44, v55, vcc
	v_mov_b32_e32 v44, 24
	v_cndmask_b32_e32 v22, v53, v22, vcc
	v_lshlrev_b32_sdwa v44, v44, v25 dst_sel:DWORD dst_unused:UNUSED_PAD src0_sel:DWORD src1_sel:WORD_1
	v_bfrev_b32_e32 v53, 60
	v_lshlrev_b32_e32 v24, 20, v24
	v_and_b32_e32 v44, 0x80000000, v44
	v_lshl_add_u32 v22, v22, 23, v53
	v_or3_b32 v53, v44, v22, v24
.LBB588_389:
	s_or_b64 exec, exec, s[10:11]
.LBB588_390:
	s_or_b64 exec, exec, s[8:9]
.LBB588_391:
	s_or_b64 exec, exec, s[2:3]
	s_mov_b32 s2, 0xffffff
	v_and_b32_e32 v44, 63, v0
	v_cmp_lt_u32_e32 vcc, s2, v25
	v_mov_b32_e32 v55, 0
	s_and_saveexec_b64 s[2:3], vcc
	s_cbranch_execz .LBB588_397
; %bb.392:
	v_lshrrev_b32_e32 v22, 24, v25
	s_movk_i32 s8, 0x80
	v_cmp_ne_u32_e32 vcc, s8, v22
	v_bfrev_b32_e32 v55, 1
	s_and_saveexec_b64 s[8:9], vcc
	s_cbranch_execz .LBB588_396
; %bb.393:
	v_bfe_u32 v24, v25, 24, 7
	s_movk_i32 s10, 0x7f
	v_cmp_ne_u32_e32 vcc, s10, v24
	v_mov_b32_e32 v55, 0x7f800001
	s_and_saveexec_b64 s[10:11], vcc
	s_cbranch_execz .LBB588_395
; %bb.394:
	v_and_b32_e32 v25, 7, v22
	v_ffbh_u32_e32 v56, v25
	v_min_u32_e32 v58, 32, v56
	v_subrev_u32_e32 v56, 28, v58
	v_lshlrev_b64 v[56:57], v56, v[22:23]
	v_lshrrev_b32_e32 v55, 3, v24
	v_sub_u32_e32 v57, 29, v58
	v_and_b32_e32 v56, 7, v56
	v_cmp_gt_u32_e32 vcc, 8, v24
	v_cndmask_b32_e32 v24, v55, v57, vcc
	v_cndmask_b32_e32 v25, v25, v56, vcc
	v_lshlrev_b32_e32 v22, 24, v22
	v_bfrev_b32_e32 v55, 60
	v_lshlrev_b32_e32 v25, 20, v25
	v_and_b32_e32 v22, 0x80000000, v22
	v_lshl_add_u32 v24, v24, 23, v55
	v_or3_b32 v55, v22, v24, v25
.LBB588_395:
	s_or_b64 exec, exec, s[10:11]
.LBB588_396:
	s_or_b64 exec, exec, s[8:9]
.LBB588_397:
	s_or_b64 exec, exec, s[2:3]
	v_cvt_pkrtz_f16_f32 v42, v42, v43
	v_cvt_pkrtz_f16_f32 v43, v23, v52
	s_load_dword s2, s[4:5], 0x1c
	s_mov_b32 s46, 0xff7fffff
	s_waitcnt lgkmcnt(0)
	v_mfma_f32_16x16x16f16 v[26:29], v[42:43], v[18:19], v[26:29]
	v_cvt_pkrtz_f16_f32 v18, v45, v54
	v_cvt_pkrtz_f16_f32 v19, v53, v55
	v_mov_b32_e32 v22, s2
	v_mul_f32_e32 v52, s12, v22
	v_pk_mul_f32 v[22:23], v[52:53], v[32:33] op_sel_hi:[0,1]
	v_pk_mul_f32 v[32:33], v[52:53], v[38:39] op_sel_hi:[0,1]
	v_and_b32_e32 v38, 0xc0, v0
	v_mfma_f32_16x16x16f16 v[26:29], v[18:19], v[20:21], v[26:29]
	v_add_u32_e32 v38, s18, v38
	v_lshl_or_b32 v38, v1, 2, v38
	v_or_b32_e32 v39, 1, v38
	v_pk_mul_f32 v[24:25], v[52:53], v[30:31] op_sel_hi:[0,1]
	v_pk_mul_f32 v[30:31], v[52:53], v[40:41] op_sel_hi:[0,1]
	v_subrev_u32_e32 v40, s33, v39
	v_pk_mul_f32 v[34:35], v[52:53], v[34:35] op_sel_hi:[0,1]
	s_nop 3
	v_pk_mul_f32 v[20:21], v[52:53], v[26:27] op_sel_hi:[0,1]
	v_add_u32_e32 v27, 1, v40
	v_pk_mul_f32 v[18:19], v[52:53], v[28:29] op_sel_hi:[0,1]
	v_cvt_f32_i32_e32 v27, v27
	v_add_u32_e32 v29, 3, v40
	v_cvt_f32_i32_e32 v29, v29
	v_cvt_f32_i32_e32 v26, v40
	v_pk_mul_f32 v[36:37], v[52:53], v[36:37] op_sel_hi:[0,1]
	v_fmac_f32_e32 v35, v51, v27
	v_add_u32_e32 v27, 16, v40
	v_fmac_f32_e32 v37, v51, v29
	v_cvt_f32_i32_e32 v27, v27
	v_add_u32_e32 v29, 17, v40
	v_fma_f32 v26, v51, v26, v34
	v_cvt_f32_i32_e32 v29, v29
	v_add_u32_e32 v34, 18, v40
	v_cvt_f32_i32_e32 v34, v34
	v_fma_f32 v41, v51, v27, v32
	v_add_u32_e32 v27, 32, v40
	v_fmac_f32_e32 v33, v51, v29
	v_cvt_f32_i32_e32 v27, v27
	v_add_u32_e32 v29, 33, v40
	v_add_u32_e32 v32, 34, v40
	v_fma_f32 v30, v51, v34, v30
	v_cvt_f32_i32_e32 v29, v29
	v_cvt_f32_i32_e32 v32, v32
	v_add_u32_e32 v34, 35, v40
	v_cvt_f32_i32_e32 v34, v34
	v_fma_f32 v24, v51, v27, v24
	v_add_u32_e32 v27, 48, v40
	v_fmac_f32_e32 v25, v51, v29
	v_fma_f32 v22, v51, v32, v22
	v_cvt_f32_i32_e32 v27, v27
	v_add_u32_e32 v29, 49, v40
	v_add_u32_e32 v32, 50, v40
	v_fmac_f32_e32 v23, v51, v34
	v_cvt_f32_i32_e32 v29, v29
	v_cvt_f32_i32_e32 v32, v32
	v_add_u32_e32 v34, 51, v40
	v_add_u32_e32 v28, 2, v40
	v_cvt_f32_i32_e32 v34, v34
	v_cvt_f32_i32_e32 v28, v28
	v_fma_f32 v20, v51, v27, v20
	v_mov_b32_e32 v27, 0xff7fffff
	v_cmp_gt_i32_e64 s[26:27], s33, v38
	v_cmp_gt_i32_e64 s[28:29], s33, v39
	v_fmac_f32_e32 v21, v51, v29
	v_fma_f32 v18, v51, v32, v18
	v_cndmask_b32_e64 v29, v27, v26, s[26:27]
	v_cndmask_b32_e64 v32, v27, v35, s[28:29]
	v_fmac_f32_e32 v19, v51, v34
	v_max3_f32 v29, v29, s46, v32
	v_or_b32_e32 v32, 2, v38
	v_or_b32_e32 v34, 3, v38
	v_fma_f32 v28, v51, v28, v36
	v_cmp_gt_i32_e64 s[30:31], s33, v32
	v_cmp_gt_i32_e64 s[34:35], s33, v34
	v_add_u32_e32 v36, 19, v40
	v_cndmask_b32_e64 v32, v27, v28, s[30:31]
	v_cndmask_b32_e64 v34, v27, v37, s[34:35]
	v_cvt_f32_i32_e32 v36, v36
	v_max3_f32 v29, v29, v32, v34
	v_or_b32_e32 v32, 16, v38
	v_or_b32_e32 v34, 17, v38
	v_cmp_gt_i32_e64 s[36:37], s33, v32
	v_cmp_gt_i32_e64 s[38:39], s33, v34
	v_cndmask_b32_e64 v32, v27, v41, s[36:37]
	v_cndmask_b32_e64 v34, v27, v33, s[38:39]
	v_max3_f32 v29, v29, v32, v34
	v_or_b32_e32 v32, 18, v38
	v_or_b32_e32 v34, 19, v38
	v_fmac_f32_e32 v31, v51, v36
	v_cmp_gt_i32_e64 s[20:21], s33, v32
	v_cmp_gt_i32_e64 s[22:23], s33, v34
	v_cndmask_b32_e64 v32, v27, v30, s[20:21]
	v_cndmask_b32_e64 v34, v27, v31, s[22:23]
	v_max3_f32 v29, v29, v32, v34
	v_or_b32_e32 v32, 32, v38
	v_or_b32_e32 v34, 33, v38
	v_cmp_gt_i32_e64 s[16:17], s33, v32
	v_cmp_gt_i32_e64 s[18:19], s33, v34
	v_cndmask_b32_e64 v32, v27, v24, s[16:17]
	v_cndmask_b32_e64 v34, v27, v25, s[18:19]
	v_max3_f32 v29, v29, v32, v34
	v_or_b32_e32 v32, 34, v38
	v_or_b32_e32 v34, 35, v38
	;; [unrolled: 7-line block ×4, first 2 shown]
	v_cmp_gt_i32_e32 vcc, s33, v32
	v_cmp_gt_i32_e64 s[2:3], s33, v34
	v_cndmask_b32_e32 v32, v27, v18, vcc
	v_cndmask_b32_e64 v27, v27, v19, s[2:3]
	v_max3_f32 v27, v29, v32, v27
	v_mbcnt_lo_u32_b32 v29, -1, 0
	v_mbcnt_hi_u32_b32 v29, -1, v29
	v_and_b32_e32 v32, 64, v29
	v_add_u32_e32 v32, 64, v32
	v_xor_b32_e32 v34, 32, v29
	v_cmp_lt_i32_e64 s[40:41], v34, v32
	v_cndmask_b32_e64 v34, v29, v34, s[40:41]
	v_lshlrev_b32_e32 v36, 2, v34
	ds_bpermute_b32 v34, v36, v27
	s_barrier
	s_waitcnt lgkmcnt(0)
	v_max_f32_e32 v34, v34, v34
	v_max_f32_e32 v27, v27, v34
	v_xor_b32_e32 v34, 16, v29
	v_cmp_lt_i32_e64 s[40:41], v34, v32
	v_cndmask_b32_e64 v29, v29, v34, s[40:41]
	v_lshlrev_b32_e32 v38, 2, v29
	ds_bpermute_b32 v29, v38, v27
	s_waitcnt lgkmcnt(0)
	v_max_f32_e32 v29, v29, v29
	v_max_f32_e32 v32, v27, v29
	v_sub_f32_e32 v26, v26, v32
	v_mul_f32_e32 v26, 0x3fb8aa3b, v26
	v_sub_f32_e32 v27, v35, v32
	v_exp_f32_e32 v26, v26
	v_mul_f32_e32 v27, 0x3fb8aa3b, v27
	v_sub_f32_e32 v28, v28, v32
	v_exp_f32_e32 v27, v27
	v_mul_f32_e32 v28, 0x3fb8aa3b, v28
	v_exp_f32_e32 v28, v28
	v_cndmask_b32_e64 v26, 0, v26, s[26:27]
	v_sub_f32_e32 v34, v37, v32
	v_add_f32_e32 v29, 0, v26
	v_cndmask_b32_e64 v27, 0, v27, s[28:29]
	v_mul_f32_e32 v34, 0x3fb8aa3b, v34
	v_exp_f32_e32 v35, v34
	v_add_f32_e32 v29, v29, v27
	v_cndmask_b32_e64 v34, 0, v28, s[30:31]
	v_add_f32_e32 v28, v29, v34
	v_sub_f32_e32 v29, v41, v32
	v_mul_f32_e32 v29, 0x3fb8aa3b, v29
	v_sub_f32_e32 v33, v33, v32
	v_exp_f32_e32 v29, v29
	v_mul_f32_e32 v33, 0x3fb8aa3b, v33
	v_sub_f32_e32 v30, v30, v32
	v_exp_f32_e32 v33, v33
	;; [unrolled: 3-line block ×3, first 2 shown]
	v_mul_f32_e32 v31, 0x3fb8aa3b, v31
	v_sub_f32_e32 v24, v24, v32
	v_cndmask_b32_e64 v35, 0, v35, s[34:35]
	v_exp_f32_e32 v31, v31
	v_mul_f32_e32 v24, 0x3fb8aa3b, v24
	v_sub_f32_e32 v25, v25, v32
	v_add_f32_e32 v37, v28, v35
	v_cndmask_b32_e64 v28, 0, v29, s[36:37]
	v_exp_f32_e32 v24, v24
	v_mul_f32_e32 v25, 0x3fb8aa3b, v25
	v_sub_f32_e32 v22, v22, v32
	v_add_f32_e32 v37, v37, v28
	;; [unrolled: 5-line block ×7, first 2 shown]
	v_cndmask_b32_e64 v22, 0, v22, s[12:13]
	v_exp_f32_e32 v18, v18
	v_mul_f32_e32 v19, 0x3fb8aa3b, v19
	v_add_f32_e32 v33, v33, v22
	v_cndmask_b32_e64 v23, 0, v23, s[14:15]
	v_exp_f32_e32 v19, v19
	v_add_f32_e32 v33, v33, v23
	v_cndmask_b32_e64 v20, 0, v20, s[8:9]
	v_add_f32_e32 v33, v33, v20
	v_cndmask_b32_e64 v21, 0, v21, s[10:11]
	v_add_f32_e32 v33, v33, v21
	v_cndmask_b32_e32 v18, 0, v18, vcc
	v_add_f32_e32 v33, v33, v18
	v_cndmask_b32_e64 v19, 0, v19, s[2:3]
	v_add_f32_e32 v33, v33, v19
	ds_bpermute_b32 v36, v36, v33
	v_cmp_gt_u32_e32 vcc, 16, v44
	s_waitcnt lgkmcnt(0)
	v_add_f32_e32 v33, v33, v36
	ds_bpermute_b32 v37, v38, v33
	v_lshlrev_b32_e32 v36, 2, v49
	s_and_saveexec_b64 s[2:3], vcc
	s_cbranch_execz .LBB588_399
; %bb.398:
	s_waitcnt lgkmcnt(0)
	v_add_f32_e32 v33, v33, v37
	v_lshl_or_b32 v37, v50, 6, v36
	ds_write2st64_b32 v37, v32, v33 offset1:1
.LBB588_399:
	s_or_b64 exec, exec, s[2:3]
	s_waitcnt lgkmcnt(0)
	s_barrier
	ds_read2_b32 v[38:39], v36 offset1:16
	ds_read2_b32 v[40:41], v36 offset0:32 offset1:48
	ds_read2_b32 v[42:43], v36 offset0:64 offset1:80
	s_mul_i32 s12, s45, 15
	s_waitcnt lgkmcnt(2)
	v_max3_f32 v32, v38, s46, v39
	s_waitcnt lgkmcnt(1)
	v_max3_f32 v33, v32, v40, v41
	v_sub_f32_e32 v32, v38, v33
	v_mul_f32_e32 v32, 0x3fb8aa3b, v32
	v_exp_f32_e32 v37, v32
	v_sub_f32_e32 v32, v39, v33
	v_mul_f32_e32 v32, 0x3fb8aa3b, v32
	v_exp_f32_e32 v44, v32
	;; [unrolled: 3-line block ×3, first 2 shown]
	ds_read2_b32 v[38:39], v36 offset0:96 offset1:112
	v_sub_f32_e32 v32, v41, v33
	v_mul_f32_e32 v32, 0x3fb8aa3b, v32
	v_exp_f32_e32 v41, v32
	s_waitcnt lgkmcnt(1)
	v_fma_f32 v36, v37, v42, 0
	v_fmac_f32_e32 v36, v44, v43
	s_waitcnt lgkmcnt(0)
	v_fmac_f32_e32 v36, v40, v38
	v_fmac_f32_e32 v36, v41, v39
	v_add_f32_e32 v38, 0x358637bd, v36
	v_div_scale_f32 v39, s[2:3], v38, v38, 1.0
	v_rcp_f32_e32 v42, v39
	s_barrier
	v_fma_f32 v43, -v39, v42, 1.0
	v_fmac_f32_e32 v42, v43, v42
	v_div_scale_f32 v43, vcc, 1.0, v38, 1.0
	v_mul_f32_e32 v45, v43, v42
	v_fma_f32 v51, -v39, v45, v43
	v_fmac_f32_e32 v45, v51, v42
	v_fma_f32 v39, -v39, v45, v43
	v_div_fmas_f32 v39, v39, v42, v45
	v_cmp_eq_u32_e32 vcc, 1, v50
	v_cndmask_b32_e32 v37, v37, v44, vcc
	v_cmp_eq_u32_e32 vcc, 2, v50
	v_cndmask_b32_e32 v37, v37, v40, vcc
	v_cmp_eq_u32_e32 vcc, 3, v50
	v_div_fixup_f32 v38, v39, v38, 1.0
	v_cndmask_b32_e32 v37, v37, v41, vcc
	v_mul_f32_e32 v38, v37, v38
	v_pk_mul_f32 v[26:27], v[38:39], v[26:27] op_sel_hi:[0,1]
	v_cvt_f16_f32_e32 v26, v26
	v_cvt_f16_f32_e32 v27, v27
	v_pk_mul_f32 v[34:35], v[38:39], v[34:35] op_sel_hi:[0,1]
	v_cvt_f16_f32_e32 v37, v34
	v_cvt_f16_f32_e32 v35, v35
	v_pack_b32_f16 v34, v26, v27
	v_pk_mul_f32 v[26:27], v[38:39], v[30:31] op_sel_hi:[0,1]
	v_pk_mul_f32 v[28:29], v[38:39], v[28:29] op_sel_hi:[0,1]
	v_cvt_f16_f32_e32 v28, v28
	v_cvt_f16_f32_e32 v29, v29
	;; [unrolled: 1-line block ×4, first 2 shown]
	v_pack_b32_f16 v35, v37, v35
	v_lshlrev_b32_e32 v37, 3, v1
	v_lshlrev_b32_e32 v26, 11, v50
	v_or3_b32 v26, v26, v48, v37
	v_pack_b32_f16 v28, v28, v29
	v_pack_b32_f16 v29, v30, v27
	v_pk_mul_f32 v[22:23], v[38:39], v[22:23] op_sel_hi:[0,1]
	v_pk_mul_f32 v[24:25], v[38:39], v[24:25] op_sel_hi:[0,1]
	;; [unrolled: 1-line block ×4, first 2 shown]
	ds_write2st64_b64 v26, v[34:35], v[28:29] offset1:1
	v_cvt_f16_f32_e32 v24, v24
	v_cvt_f16_f32_e32 v25, v25
	;; [unrolled: 1-line block ×8, first 2 shown]
	v_mov_b32_e32 v32, 0
	v_pack_b32_f16 v18, v24, v25
	v_pack_b32_f16 v19, v22, v23
	;; [unrolled: 1-line block ×4, first 2 shown]
	v_cmp_gt_u32_e32 vcc, 15, v0
	ds_write2st64_b64 v26, v[18:19], v[20:21] offset0:2 offset1:3
	s_and_saveexec_b64 s[2:3], vcc
	s_cbranch_execz .LBB588_401
; %bb.400:
	v_add_co_u32_e32 v20, vcc, s25, v49
	v_addc_co_u32_e64 v21, s[14:15], 0, 0, vcc
	v_mov_b32_e32 v18, s12
	v_mov_b32_e32 v19, 0
	v_mad_u64_u32 v[20:21], s[14:15], s6, v18, v[20:21]
	v_mov_b32_e32 v18, s24
	s_load_dwordx4 s[8:11], s[4:5], 0x58
	s_mul_i32 s7, s7, s12
	v_mad_u64_u32 v[18:19], s[14:15], v20, s44, v[18:19]
	v_add_u32_e32 v21, s7, v21
	v_mov_b32_e32 v20, v19
	v_mad_u64_u32 v[20:21], s[14:15], v21, s44, v[20:21]
	v_mov_b32_e32 v19, v20
	v_lshlrev_b64 v[18:19], 2, v[18:19]
	s_waitcnt lgkmcnt(0)
	v_mov_b32_e32 v21, s11
	v_add_co_u32_e32 v20, vcc, s10, v18
	v_addc_co_u32_e32 v21, vcc, v21, v19, vcc
	global_store_dword v[20:21], v33, off
	v_mov_b32_e32 v20, s9
	v_add_co_u32_e32 v18, vcc, s8, v18
	v_addc_co_u32_e32 v19, vcc, v20, v19, vcc
	global_store_dword v[18:19], v36, off
.LBB588_401:
	s_or_b64 exec, exec, s[2:3]
	v_mov_b32_e32 v19, 0
	s_waitcnt vmcnt(3)
	v_cmp_ne_u16_sdwa s[8:9], v14, v19 src0_sel:BYTE_0 src1_sel:DWORD
	s_waitcnt lgkmcnt(0)
	s_barrier
	s_and_saveexec_b64 s[2:3], s[8:9]
	s_cbranch_execz .LBB588_407
; %bb.402:
	s_movk_i32 s7, 0x80
	v_cmp_ne_u16_sdwa s[10:11], v14, s7 src0_sel:BYTE_0 src1_sel:DWORD
	v_bfrev_b32_e32 v32, 1
	s_and_saveexec_b64 s[8:9], s[10:11]
	s_cbranch_execz .LBB588_406
; %bb.403:
	s_movk_i32 s7, 0x7f
	v_and_b32_e32 v18, 0x7f, v14
	v_cmp_ne_u32_e32 vcc, s7, v18
	v_mov_b32_e32 v32, 0x7f800001
	s_and_saveexec_b64 s[10:11], vcc
	s_cbranch_execz .LBB588_405
; %bb.404:
	v_and_b32_e32 v22, 7, v14
	v_ffbh_u32_e32 v20, v22
	v_min_u32_e32 v24, 32, v20
	v_subrev_u32_e32 v20, 28, v24
	v_lshlrev_b64 v[20:21], v20, v[14:15]
	v_lshrrev_b32_e32 v23, 3, v18
	v_sub_u32_e32 v21, 29, v24
	v_and_b32_e32 v20, 7, v20
	v_cmp_gt_u32_e32 vcc, 8, v18
	v_cndmask_b32_e32 v18, v23, v21, vcc
	v_cndmask_b32_e32 v20, v22, v20, vcc
	v_lshlrev_b32_e32 v21, 24, v14
	v_bfrev_b32_e32 v22, 60
	v_lshlrev_b32_e32 v20, 20, v20
	v_and_b32_e32 v21, 0x80000000, v21
	v_lshl_add_u32 v18, v18, 23, v22
	v_or3_b32 v32, v21, v18, v20
.LBB588_405:
	s_or_b64 exec, exec, s[10:11]
.LBB588_406:
	s_or_b64 exec, exec, s[8:9]
.LBB588_407:
	s_or_b64 exec, exec, s[2:3]
	v_lshrrev_b16_e32 v18, 8, v14
	v_cmp_ne_u16_e32 vcc, 0, v18
	v_mov_b32_e32 v20, 0
	s_and_saveexec_b64 s[2:3], vcc
	s_cbranch_execz .LBB588_413
; %bb.408:
	s_movk_i32 s7, 0x80
	v_cmp_ne_u16_e32 vcc, s7, v18
	v_bfrev_b32_e32 v20, 1
	s_and_saveexec_b64 s[8:9], vcc
	s_cbranch_execz .LBB588_412
; %bb.409:
	s_movk_i32 s7, 0x7f
	v_and_b32_e32 v21, 0x7f, v18
	v_cmp_ne_u32_e32 vcc, s7, v21
	v_mov_b32_e32 v20, 0x7f800001
	s_and_saveexec_b64 s[10:11], vcc
	s_cbranch_execz .LBB588_411
; %bb.410:
	v_and_b32_e32 v20, 7, v18
	v_ffbh_u32_e32 v22, v20
	v_min_u32_e32 v25, 32, v22
	v_subrev_u32_e32 v22, 28, v25
	v_lshlrev_b64 v[22:23], v22, v[18:19]
	v_lshrrev_b32_e32 v24, 3, v21
	v_sub_u32_e32 v18, 29, v25
	v_and_b32_e32 v22, 7, v22
	v_cmp_gt_u32_e32 vcc, 8, v21
	v_cndmask_b32_e32 v18, v24, v18, vcc
	v_cndmask_b32_e32 v20, v20, v22, vcc
	v_lshlrev_b32_e32 v21, 16, v14
	v_bfrev_b32_e32 v22, 60
	v_lshlrev_b32_e32 v20, 20, v20
	v_and_b32_e32 v21, 0x80000000, v21
	v_lshl_add_u32 v18, v18, 23, v22
	v_or3_b32 v20, v21, v18, v20
.LBB588_411:
	s_or_b64 exec, exec, s[10:11]
.LBB588_412:
	s_or_b64 exec, exec, s[8:9]
.LBB588_413:
	s_or_b64 exec, exec, s[2:3]
	s_movk_i32 s2, 0xff
	v_and_b32_sdwa v21, v14, s2 dst_sel:DWORD dst_unused:UNUSED_PAD src0_sel:WORD_1 src1_sel:DWORD
	v_lshrrev_b32_e32 v18, 16, v14
	v_cmp_ne_u16_e32 vcc, 0, v21
	s_and_saveexec_b64 s[2:3], vcc
	s_cbranch_execz .LBB588_419
; %bb.414:
	s_movk_i32 s7, 0x80
	v_cmp_ne_u16_e32 vcc, s7, v21
	v_bfrev_b32_e32 v19, 1
	s_and_saveexec_b64 s[8:9], vcc
	s_cbranch_execz .LBB588_418
; %bb.415:
	v_bfe_u32 v21, v14, 16, 7
	s_movk_i32 s7, 0x7f
	v_cmp_ne_u32_e32 vcc, s7, v21
	v_mov_b32_e32 v19, 0x7f800001
	s_and_saveexec_b64 s[10:11], vcc
	s_cbranch_execz .LBB588_417
; %bb.416:
	v_and_b32_e32 v22, 7, v18
	v_ffbh_u32_e32 v19, v22
	v_min_u32_e32 v24, 32, v19
	v_subrev_u32_e32 v19, 28, v24
	v_lshlrev_b64 v[18:19], v19, v[18:19]
	v_lshrrev_b32_e32 v23, 3, v21
	v_sub_u32_e32 v19, 29, v24
	v_and_b32_e32 v18, 7, v18
	v_cmp_gt_u32_e32 vcc, 8, v21
	v_mov_b32_e32 v21, 24
	v_cndmask_b32_e32 v19, v23, v19, vcc
	v_cndmask_b32_e32 v18, v22, v18, vcc
	v_lshlrev_b32_sdwa v21, v21, v14 dst_sel:DWORD dst_unused:UNUSED_PAD src0_sel:DWORD src1_sel:WORD_1
	v_bfrev_b32_e32 v22, 60
	v_lshlrev_b32_e32 v18, 20, v18
	v_and_b32_e32 v21, 0x80000000, v21
	v_lshl_add_u32 v19, v19, 23, v22
	v_or3_b32 v19, v21, v19, v18
.LBB588_417:
	s_or_b64 exec, exec, s[10:11]
.LBB588_418:
	s_or_b64 exec, exec, s[8:9]
.LBB588_419:
	s_or_b64 exec, exec, s[2:3]
	s_mov_b32 s2, 0xffffff
	v_cmp_lt_u32_e32 vcc, s2, v14
	v_mov_b32_e32 v21, 0
	v_mov_b32_e32 v22, 0
	s_and_saveexec_b64 s[2:3], vcc
	s_cbranch_execz .LBB588_425
; %bb.420:
	v_lshrrev_b32_e32 v18, 24, v14
	s_movk_i32 s7, 0x80
	v_cmp_ne_u32_e32 vcc, s7, v18
	v_bfrev_b32_e32 v22, 1
	s_and_saveexec_b64 s[8:9], vcc
	s_cbranch_execz .LBB588_424
; %bb.421:
	v_bfe_u32 v14, v14, 24, 7
	s_movk_i32 s7, 0x7f
	v_cmp_ne_u32_e32 vcc, s7, v14
	v_mov_b32_e32 v22, 0x7f800001
	s_and_saveexec_b64 s[10:11], vcc
	s_cbranch_execz .LBB588_423
; %bb.422:
	v_and_b32_e32 v24, 7, v18
	v_ffbh_u32_e32 v22, v24
	v_min_u32_e32 v27, 32, v22
	v_subrev_u32_e32 v22, 28, v27
	v_lshlrev_b64 v[22:23], v22, v[18:19]
	v_lshrrev_b32_e32 v25, 3, v14
	v_sub_u32_e32 v23, 29, v27
	v_and_b32_e32 v22, 7, v22
	v_cmp_gt_u32_e32 vcc, 8, v14
	v_cndmask_b32_e32 v14, v25, v23, vcc
	v_cndmask_b32_e32 v22, v24, v22, vcc
	v_lshlrev_b32_e32 v18, 24, v18
	v_bfrev_b32_e32 v23, 60
	v_lshlrev_b32_e32 v22, 20, v22
	v_and_b32_e32 v18, 0x80000000, v18
	v_lshl_add_u32 v14, v14, 23, v23
	v_or3_b32 v22, v18, v14, v22
.LBB588_423:
	s_or_b64 exec, exec, s[10:11]
.LBB588_424:
	s_or_b64 exec, exec, s[8:9]
.LBB588_425:
	s_or_b64 exec, exec, s[2:3]
	v_cmp_ne_u16_sdwa s[8:9], v15, v21 src0_sel:BYTE_0 src1_sel:DWORD
	s_and_saveexec_b64 s[2:3], s[8:9]
	s_cbranch_execz .LBB588_431
; %bb.426:
	s_movk_i32 s7, 0x80
	v_cmp_ne_u16_sdwa s[10:11], v15, s7 src0_sel:BYTE_0 src1_sel:DWORD
	v_bfrev_b32_e32 v21, 1
	s_and_saveexec_b64 s[8:9], s[10:11]
	s_cbranch_execz .LBB588_430
; %bb.427:
	s_movk_i32 s7, 0x7f
	v_and_b32_e32 v14, 0x7f, v15
	v_cmp_ne_u32_e32 vcc, s7, v14
	v_mov_b32_e32 v21, 0x7f800001
	s_and_saveexec_b64 s[10:11], vcc
	s_cbranch_execz .LBB588_429
; %bb.428:
	v_and_b32_e32 v21, 7, v15
	v_ffbh_u32_e32 v24, v21
	v_min_u32_e32 v27, 32, v24
	v_mov_b32_e32 v18, v15
	v_subrev_u32_e32 v24, 28, v27
	v_lshlrev_b64 v[24:25], v24, v[18:19]
	v_lshrrev_b32_e32 v23, 3, v14
	v_sub_u32_e32 v18, 29, v27
	v_and_b32_e32 v24, 7, v24
	v_cmp_gt_u32_e32 vcc, 8, v14
	v_cndmask_b32_e32 v14, v23, v18, vcc
	v_cndmask_b32_e32 v18, v21, v24, vcc
	v_lshlrev_b32_e32 v21, 24, v15
	v_bfrev_b32_e32 v23, 60
	v_lshlrev_b32_e32 v18, 20, v18
	v_and_b32_e32 v21, 0x80000000, v21
	v_lshl_add_u32 v14, v14, 23, v23
	v_or3_b32 v21, v21, v14, v18
.LBB588_429:
	s_or_b64 exec, exec, s[10:11]
.LBB588_430:
	s_or_b64 exec, exec, s[8:9]
.LBB588_431:
	s_or_b64 exec, exec, s[2:3]
	v_lshrrev_b16_e32 v14, 8, v15
	v_cmp_ne_u16_e32 vcc, 0, v14
	v_mov_b32_e32 v18, 0
	v_mov_b32_e32 v24, 0
	s_and_saveexec_b64 s[2:3], vcc
	s_cbranch_execz .LBB588_437
; %bb.432:
	s_movk_i32 s7, 0x80
	v_cmp_ne_u16_e32 vcc, s7, v14
	v_bfrev_b32_e32 v24, 1
	s_and_saveexec_b64 s[8:9], vcc
	s_cbranch_execz .LBB588_436
; %bb.433:
	s_movk_i32 s7, 0x7f
	v_and_b32_e32 v23, 0x7f, v14
	v_cmp_ne_u32_e32 vcc, s7, v23
	v_mov_b32_e32 v24, 0x7f800001
	s_and_saveexec_b64 s[10:11], vcc
	s_cbranch_execz .LBB588_435
; %bb.434:
	v_and_b32_e32 v27, 7, v14
	v_ffbh_u32_e32 v24, v27
	v_min_u32_e32 v29, 32, v24
	v_subrev_u32_e32 v24, 28, v29
	v_lshlrev_b64 v[24:25], v24, v[14:15]
	v_lshrrev_b32_e32 v28, 3, v23
	v_sub_u32_e32 v14, 29, v29
	v_and_b32_e32 v24, 7, v24
	v_cmp_gt_u32_e32 vcc, 8, v23
	v_cndmask_b32_e32 v14, v28, v14, vcc
	v_cndmask_b32_e32 v23, v27, v24, vcc
	v_lshlrev_b32_e32 v24, 16, v15
	v_bfrev_b32_e32 v25, 60
	v_lshlrev_b32_e32 v23, 20, v23
	v_and_b32_e32 v24, 0x80000000, v24
	v_lshl_add_u32 v14, v14, 23, v25
	v_or3_b32 v24, v24, v14, v23
.LBB588_435:
	s_or_b64 exec, exec, s[10:11]
.LBB588_436:
	s_or_b64 exec, exec, s[8:9]
.LBB588_437:
	s_or_b64 exec, exec, s[2:3]
	s_movk_i32 s2, 0xff
	v_and_b32_sdwa v23, v15, s2 dst_sel:DWORD dst_unused:UNUSED_PAD src0_sel:WORD_1 src1_sel:DWORD
	v_lshrrev_b32_e32 v14, 16, v15
	v_cmp_ne_u16_e32 vcc, 0, v23
	s_and_saveexec_b64 s[2:3], vcc
	s_cbranch_execz .LBB588_443
; %bb.438:
	s_movk_i32 s7, 0x80
	v_cmp_ne_u16_e32 vcc, s7, v23
	v_bfrev_b32_e32 v18, 1
	s_and_saveexec_b64 s[8:9], vcc
	s_cbranch_execz .LBB588_442
; %bb.439:
	v_bfe_u32 v23, v15, 16, 7
	s_movk_i32 s7, 0x7f
	v_cmp_ne_u32_e32 vcc, s7, v23
	v_mov_b32_e32 v18, 0x7f800001
	s_and_saveexec_b64 s[10:11], vcc
	s_cbranch_execz .LBB588_441
; %bb.440:
	v_and_b32_e32 v18, 7, v14
	v_ffbh_u32_e32 v27, v18
	v_min_u32_e32 v27, 32, v27
	v_subrev_u32_e32 v28, 28, v27
	v_lshlrev_b64 v[28:29], v28, v[14:15]
	v_lshrrev_b32_e32 v25, 3, v23
	v_sub_u32_e32 v14, 29, v27
	v_and_b32_e32 v27, 7, v28
	v_cmp_gt_u32_e32 vcc, 8, v23
	v_mov_b32_e32 v23, 24
	v_cndmask_b32_e32 v14, v25, v14, vcc
	v_cndmask_b32_e32 v18, v18, v27, vcc
	v_lshlrev_b32_sdwa v23, v23, v15 dst_sel:DWORD dst_unused:UNUSED_PAD src0_sel:DWORD src1_sel:WORD_1
	v_bfrev_b32_e32 v25, 60
	v_lshlrev_b32_e32 v18, 20, v18
	v_and_b32_e32 v23, 0x80000000, v23
	v_lshl_add_u32 v14, v14, 23, v25
	v_or3_b32 v18, v23, v14, v18
.LBB588_441:
	s_or_b64 exec, exec, s[10:11]
.LBB588_442:
	s_or_b64 exec, exec, s[8:9]
.LBB588_443:
	s_or_b64 exec, exec, s[2:3]
	s_mov_b32 s2, 0xffffff
	v_cmp_lt_u32_e32 vcc, s2, v15
	v_mov_b32_e32 v23, 0
	v_mov_b32_e32 v25, 0
	s_and_saveexec_b64 s[2:3], vcc
	s_cbranch_execz .LBB588_449
; %bb.444:
	v_lshrrev_b32_e32 v14, 24, v15
	s_movk_i32 s7, 0x80
	v_cmp_ne_u32_e32 vcc, s7, v14
	v_bfrev_b32_e32 v25, 1
	s_and_saveexec_b64 s[8:9], vcc
	s_cbranch_execz .LBB588_448
; %bb.445:
	v_bfe_u32 v15, v15, 24, 7
	s_movk_i32 s7, 0x7f
	v_cmp_ne_u32_e32 vcc, s7, v15
	v_mov_b32_e32 v25, 0x7f800001
	s_and_saveexec_b64 s[10:11], vcc
	s_cbranch_execz .LBB588_447
; %bb.446:
	v_and_b32_e32 v25, 7, v14
	v_ffbh_u32_e32 v28, v25
	v_min_u32_e32 v30, 32, v28
	v_subrev_u32_e32 v28, 28, v30
	v_lshlrev_b64 v[28:29], v28, v[14:15]
	v_lshrrev_b32_e32 v27, 3, v15
	v_sub_u32_e32 v29, 29, v30
	v_and_b32_e32 v28, 7, v28
	v_cmp_gt_u32_e32 vcc, 8, v15
	v_cndmask_b32_e32 v15, v27, v29, vcc
	v_cndmask_b32_e32 v25, v25, v28, vcc
	v_lshlrev_b32_e32 v14, 24, v14
	v_bfrev_b32_e32 v27, 60
	v_lshlrev_b32_e32 v25, 20, v25
	v_and_b32_e32 v14, 0x80000000, v14
	v_lshl_add_u32 v15, v15, 23, v27
	v_or3_b32 v25, v14, v15, v25
.LBB588_447:
	s_or_b64 exec, exec, s[10:11]
.LBB588_448:
	s_or_b64 exec, exec, s[8:9]
.LBB588_449:
	s_or_b64 exec, exec, s[2:3]
	v_cvt_pkrtz_f16_f32 v15, v19, v22
	v_lshl_or_b32 v22, v1, 9, v48
	v_cvt_pkrtz_f16_f32 v14, v32, v20
	ds_read_b128 v[28:31], v22
	v_cmp_ne_u16_sdwa s[8:9], v16, v23 src0_sel:BYTE_0 src1_sel:DWORD
	s_waitcnt lgkmcnt(0)
	v_mfma_f32_16x16x16f16 v[32:35], v[14:15], v[28:29], 0
	v_cvt_pkrtz_f16_f32 v14, v21, v24
	v_cvt_pkrtz_f16_f32 v15, v18, v25
	s_nop 1
	v_mfma_f32_16x16x16f16 v[18:21], v[14:15], v[30:31], v[32:35]
	s_and_saveexec_b64 s[2:3], s[8:9]
	s_cbranch_execz .LBB588_455
; %bb.450:
	s_movk_i32 s7, 0x80
	v_cmp_ne_u16_sdwa s[10:11], v16, s7 src0_sel:BYTE_0 src1_sel:DWORD
	v_bfrev_b32_e32 v23, 1
	s_and_saveexec_b64 s[8:9], s[10:11]
	s_cbranch_execz .LBB588_454
; %bb.451:
	s_movk_i32 s7, 0x7f
	v_and_b32_e32 v14, 0x7f, v16
	v_cmp_ne_u32_e32 vcc, s7, v14
	v_mov_b32_e32 v23, 0x7f800001
	s_and_saveexec_b64 s[10:11], vcc
	s_cbranch_execz .LBB588_453
; %bb.452:
	v_and_b32_e32 v15, 7, v16
	v_ffbh_u32_e32 v24, v15
	v_min_u32_e32 v27, 32, v24
	v_subrev_u32_e32 v24, 28, v27
	v_lshlrev_b64 v[24:25], v24, v[16:17]
	v_lshrrev_b32_e32 v23, 3, v14
	v_sub_u32_e32 v25, 29, v27
	v_and_b32_e32 v24, 7, v24
	v_cmp_gt_u32_e32 vcc, 8, v14
	v_cndmask_b32_e32 v14, v23, v25, vcc
	v_cndmask_b32_e32 v15, v15, v24, vcc
	v_lshlrev_b32_e32 v23, 24, v16
	v_bfrev_b32_e32 v24, 60
	v_lshlrev_b32_e32 v15, 20, v15
	v_and_b32_e32 v23, 0x80000000, v23
	v_lshl_add_u32 v14, v14, 23, v24
	v_or3_b32 v23, v23, v14, v15
.LBB588_453:
	s_or_b64 exec, exec, s[10:11]
.LBB588_454:
	s_or_b64 exec, exec, s[8:9]
.LBB588_455:
	s_or_b64 exec, exec, s[2:3]
	v_lshrrev_b16_e32 v14, 8, v16
	v_cmp_ne_u16_e32 vcc, 0, v14
	v_mov_b32_e32 v15, 0
	v_mov_b32_e32 v25, 0
	s_and_saveexec_b64 s[2:3], vcc
	s_cbranch_execz .LBB588_461
; %bb.456:
	s_movk_i32 s7, 0x80
	v_cmp_ne_u16_e32 vcc, s7, v14
	v_bfrev_b32_e32 v25, 1
	s_and_saveexec_b64 s[8:9], vcc
	s_cbranch_execz .LBB588_460
; %bb.457:
	s_movk_i32 s7, 0x7f
	v_and_b32_e32 v24, 0x7f, v14
	v_cmp_ne_u32_e32 vcc, s7, v24
	v_mov_b32_e32 v25, 0x7f800001
	s_and_saveexec_b64 s[10:11], vcc
	s_cbranch_execz .LBB588_459
; %bb.458:
	v_and_b32_e32 v25, 7, v14
	v_ffbh_u32_e32 v28, v25
	v_min_u32_e32 v30, 32, v28
	v_subrev_u32_e32 v28, 28, v30
	v_lshlrev_b64 v[28:29], v28, v[14:15]
	v_lshrrev_b32_e32 v27, 3, v24
	v_sub_u32_e32 v14, 29, v30
	v_and_b32_e32 v28, 7, v28
	v_cmp_gt_u32_e32 vcc, 8, v24
	v_cndmask_b32_e32 v14, v27, v14, vcc
	v_cndmask_b32_e32 v24, v25, v28, vcc
	v_lshlrev_b32_e32 v25, 16, v16
	v_bfrev_b32_e32 v27, 60
	v_lshlrev_b32_e32 v24, 20, v24
	v_and_b32_e32 v25, 0x80000000, v25
	v_lshl_add_u32 v14, v14, 23, v27
	v_or3_b32 v25, v25, v14, v24
.LBB588_459:
	s_or_b64 exec, exec, s[10:11]
.LBB588_460:
	s_or_b64 exec, exec, s[8:9]
.LBB588_461:
	s_or_b64 exec, exec, s[2:3]
	s_movk_i32 s2, 0xff
	v_and_b32_sdwa v24, v16, s2 dst_sel:DWORD dst_unused:UNUSED_PAD src0_sel:WORD_1 src1_sel:DWORD
	v_lshrrev_b32_e32 v14, 16, v16
	v_cmp_ne_u16_e32 vcc, 0, v24
	s_and_saveexec_b64 s[2:3], vcc
	s_cbranch_execz .LBB588_467
; %bb.462:
	s_movk_i32 s7, 0x80
	v_cmp_ne_u16_e32 vcc, s7, v24
	v_bfrev_b32_e32 v15, 1
	s_and_saveexec_b64 s[8:9], vcc
	s_cbranch_execz .LBB588_466
; %bb.463:
	v_bfe_u32 v24, v16, 16, 7
	s_movk_i32 s7, 0x7f
	v_cmp_ne_u32_e32 vcc, s7, v24
	v_mov_b32_e32 v15, 0x7f800001
	s_and_saveexec_b64 s[10:11], vcc
	s_cbranch_execz .LBB588_465
; %bb.464:
	v_and_b32_e32 v27, 7, v14
	v_ffbh_u32_e32 v15, v27
	v_min_u32_e32 v29, 32, v15
	v_subrev_u32_e32 v15, 28, v29
	v_lshlrev_b64 v[14:15], v15, v[14:15]
	v_lshrrev_b32_e32 v28, 3, v24
	v_sub_u32_e32 v15, 29, v29
	v_and_b32_e32 v14, 7, v14
	v_cmp_gt_u32_e32 vcc, 8, v24
	v_mov_b32_e32 v24, 24
	v_cndmask_b32_e32 v15, v28, v15, vcc
	v_cndmask_b32_e32 v14, v27, v14, vcc
	v_lshlrev_b32_sdwa v24, v24, v16 dst_sel:DWORD dst_unused:UNUSED_PAD src0_sel:DWORD src1_sel:WORD_1
	v_bfrev_b32_e32 v27, 60
	v_lshlrev_b32_e32 v14, 20, v14
	v_and_b32_e32 v24, 0x80000000, v24
	v_lshl_add_u32 v15, v15, 23, v27
	v_or3_b32 v15, v24, v15, v14
.LBB588_465:
	s_or_b64 exec, exec, s[10:11]
.LBB588_466:
	s_or_b64 exec, exec, s[8:9]
.LBB588_467:
	s_or_b64 exec, exec, s[2:3]
	s_mov_b32 s2, 0xffffff
	v_cmp_lt_u32_e32 vcc, s2, v16
	v_mov_b32_e32 v27, 0
	v_mov_b32_e32 v28, 0
	s_and_saveexec_b64 s[2:3], vcc
	s_cbranch_execz .LBB588_473
; %bb.468:
	v_lshrrev_b32_e32 v14, 24, v16
	s_movk_i32 s7, 0x80
	v_cmp_ne_u32_e32 vcc, s7, v14
	v_bfrev_b32_e32 v28, 1
	s_and_saveexec_b64 s[8:9], vcc
	s_cbranch_execz .LBB588_472
; %bb.469:
	v_bfe_u32 v16, v16, 24, 7
	s_movk_i32 s7, 0x7f
	v_cmp_ne_u32_e32 vcc, s7, v16
	v_mov_b32_e32 v28, 0x7f800001
	s_and_saveexec_b64 s[10:11], vcc
	s_cbranch_execz .LBB588_471
; %bb.470:
	v_and_b32_e32 v24, 7, v14
	v_ffbh_u32_e32 v28, v24
	v_min_u32_e32 v31, 32, v28
	v_subrev_u32_e32 v28, 28, v31
	v_lshlrev_b64 v[28:29], v28, v[14:15]
	v_lshrrev_b32_e32 v30, 3, v16
	v_sub_u32_e32 v29, 29, v31
	v_and_b32_e32 v28, 7, v28
	v_cmp_gt_u32_e32 vcc, 8, v16
	v_cndmask_b32_e32 v16, v30, v29, vcc
	v_cndmask_b32_e32 v24, v24, v28, vcc
	v_lshlrev_b32_e32 v14, 24, v14
	v_bfrev_b32_e32 v28, 60
	v_lshlrev_b32_e32 v24, 20, v24
	v_and_b32_e32 v14, 0x80000000, v14
	v_lshl_add_u32 v16, v16, 23, v28
	v_or3_b32 v28, v14, v16, v24
.LBB588_471:
	s_or_b64 exec, exec, s[10:11]
.LBB588_472:
	s_or_b64 exec, exec, s[8:9]
.LBB588_473:
	s_or_b64 exec, exec, s[2:3]
	v_cmp_ne_u16_sdwa s[8:9], v17, v27 src0_sel:BYTE_0 src1_sel:DWORD
	s_and_saveexec_b64 s[2:3], s[8:9]
	s_cbranch_execz .LBB588_479
; %bb.474:
	s_movk_i32 s7, 0x80
	v_cmp_ne_u16_sdwa s[10:11], v17, s7 src0_sel:BYTE_0 src1_sel:DWORD
	v_bfrev_b32_e32 v27, 1
	s_and_saveexec_b64 s[8:9], s[10:11]
	s_cbranch_execz .LBB588_478
; %bb.475:
	s_movk_i32 s7, 0x7f
	v_and_b32_e32 v14, 0x7f, v17
	v_cmp_ne_u32_e32 vcc, s7, v14
	v_mov_b32_e32 v27, 0x7f800001
	s_and_saveexec_b64 s[10:11], vcc
	s_cbranch_execz .LBB588_477
; %bb.476:
	v_and_b32_e32 v24, 7, v17
	v_ffbh_u32_e32 v29, v24
	v_min_u32_e32 v29, 32, v29
	v_mov_b32_e32 v16, v17
	v_subrev_u32_e32 v30, 28, v29
	v_lshlrev_b64 v[30:31], v30, v[16:17]
	v_lshrrev_b32_e32 v27, 3, v14
	v_sub_u32_e32 v16, 29, v29
	v_and_b32_e32 v29, 7, v30
	v_cmp_gt_u32_e32 vcc, 8, v14
	v_cndmask_b32_e32 v14, v27, v16, vcc
	v_cndmask_b32_e32 v16, v24, v29, vcc
	v_lshlrev_b32_e32 v24, 24, v17
	v_bfrev_b32_e32 v27, 60
	v_lshlrev_b32_e32 v16, 20, v16
	v_and_b32_e32 v24, 0x80000000, v24
	v_lshl_add_u32 v14, v14, 23, v27
	v_or3_b32 v27, v24, v14, v16
.LBB588_477:
	s_or_b64 exec, exec, s[10:11]
.LBB588_478:
	s_or_b64 exec, exec, s[8:9]
.LBB588_479:
	s_or_b64 exec, exec, s[2:3]
	v_lshrrev_b16_e32 v14, 8, v17
	v_cmp_ne_u16_e32 vcc, 0, v14
	v_mov_b32_e32 v16, 0
	v_mov_b32_e32 v29, 0
	s_and_saveexec_b64 s[2:3], vcc
	s_cbranch_execz .LBB588_485
; %bb.480:
	s_movk_i32 s7, 0x80
	v_cmp_ne_u16_e32 vcc, s7, v14
	v_bfrev_b32_e32 v29, 1
	s_and_saveexec_b64 s[8:9], vcc
	s_cbranch_execz .LBB588_484
; %bb.481:
	s_movk_i32 s7, 0x7f
	v_and_b32_e32 v24, 0x7f, v14
	v_cmp_ne_u32_e32 vcc, s7, v24
	v_mov_b32_e32 v29, 0x7f800001
	s_and_saveexec_b64 s[10:11], vcc
	s_cbranch_execz .LBB588_483
; %bb.482:
	v_and_b32_e32 v29, 7, v14
	v_ffbh_u32_e32 v30, v29
	v_min_u32_e32 v33, 32, v30
	v_subrev_u32_e32 v30, 28, v33
	v_lshlrev_b64 v[30:31], v30, v[14:15]
	v_lshrrev_b32_e32 v32, 3, v24
	v_sub_u32_e32 v14, 29, v33
	v_and_b32_e32 v30, 7, v30
	v_cmp_gt_u32_e32 vcc, 8, v24
	v_cndmask_b32_e32 v14, v32, v14, vcc
	v_cndmask_b32_e32 v24, v29, v30, vcc
	v_lshlrev_b32_e32 v29, 16, v17
	v_bfrev_b32_e32 v30, 60
	v_lshlrev_b32_e32 v24, 20, v24
	v_and_b32_e32 v29, 0x80000000, v29
	v_lshl_add_u32 v14, v14, 23, v30
	v_or3_b32 v29, v29, v14, v24
.LBB588_483:
	s_or_b64 exec, exec, s[10:11]
.LBB588_484:
	s_or_b64 exec, exec, s[8:9]
.LBB588_485:
	s_or_b64 exec, exec, s[2:3]
	s_movk_i32 s2, 0xff
	v_and_b32_sdwa v24, v17, s2 dst_sel:DWORD dst_unused:UNUSED_PAD src0_sel:WORD_1 src1_sel:DWORD
	v_lshrrev_b32_e32 v14, 16, v17
	v_cmp_ne_u16_e32 vcc, 0, v24
	s_and_saveexec_b64 s[2:3], vcc
	s_cbranch_execz .LBB588_491
; %bb.486:
	s_movk_i32 s7, 0x80
	v_cmp_ne_u16_e32 vcc, s7, v24
	v_bfrev_b32_e32 v16, 1
	s_and_saveexec_b64 s[8:9], vcc
	s_cbranch_execz .LBB588_490
; %bb.487:
	v_bfe_u32 v24, v17, 16, 7
	s_movk_i32 s7, 0x7f
	v_cmp_ne_u32_e32 vcc, s7, v24
	v_mov_b32_e32 v16, 0x7f800001
	s_and_saveexec_b64 s[10:11], vcc
	s_cbranch_execz .LBB588_489
; %bb.488:
	v_and_b32_e32 v16, 7, v14
	v_ffbh_u32_e32 v30, v16
	v_min_u32_e32 v33, 32, v30
	v_subrev_u32_e32 v30, 28, v33
	v_lshlrev_b64 v[30:31], v30, v[14:15]
	v_lshrrev_b32_e32 v32, 3, v24
	v_sub_u32_e32 v14, 29, v33
	v_and_b32_e32 v30, 7, v30
	v_cmp_gt_u32_e32 vcc, 8, v24
	v_mov_b32_e32 v24, 24
	v_cndmask_b32_e32 v14, v32, v14, vcc
	v_cndmask_b32_e32 v16, v16, v30, vcc
	v_lshlrev_b32_sdwa v24, v24, v17 dst_sel:DWORD dst_unused:UNUSED_PAD src0_sel:DWORD src1_sel:WORD_1
	v_bfrev_b32_e32 v30, 60
	v_lshlrev_b32_e32 v16, 20, v16
	v_and_b32_e32 v24, 0x80000000, v24
	v_lshl_add_u32 v14, v14, 23, v30
	v_or3_b32 v16, v24, v14, v16
.LBB588_489:
	s_or_b64 exec, exec, s[10:11]
.LBB588_490:
	s_or_b64 exec, exec, s[8:9]
.LBB588_491:
	s_or_b64 exec, exec, s[2:3]
	s_mov_b32 s2, 0xffffff
	v_cmp_lt_u32_e32 vcc, s2, v17
	v_mov_b32_e32 v24, 0
	v_mov_b32_e32 v30, 0
	s_and_saveexec_b64 s[2:3], vcc
	s_cbranch_execz .LBB588_497
; %bb.492:
	v_lshrrev_b32_e32 v14, 24, v17
	s_movk_i32 s7, 0x80
	v_cmp_ne_u32_e32 vcc, s7, v14
	v_bfrev_b32_e32 v30, 1
	s_and_saveexec_b64 s[8:9], vcc
	s_cbranch_execz .LBB588_496
; %bb.493:
	v_bfe_u32 v17, v17, 24, 7
	s_movk_i32 s7, 0x7f
	v_cmp_ne_u32_e32 vcc, s7, v17
	v_mov_b32_e32 v30, 0x7f800001
	s_and_saveexec_b64 s[10:11], vcc
	s_cbranch_execz .LBB588_495
; %bb.494:
	v_and_b32_e32 v32, 7, v14
	v_ffbh_u32_e32 v30, v32
	v_min_u32_e32 v34, 32, v30
	v_subrev_u32_e32 v30, 28, v34
	v_lshlrev_b64 v[30:31], v30, v[14:15]
	v_lshrrev_b32_e32 v33, 3, v17
	v_sub_u32_e32 v31, 29, v34
	v_and_b32_e32 v30, 7, v30
	v_cmp_gt_u32_e32 vcc, 8, v17
	v_cndmask_b32_e32 v17, v33, v31, vcc
	v_cndmask_b32_e32 v30, v32, v30, vcc
	v_lshlrev_b32_e32 v14, 24, v14
	v_bfrev_b32_e32 v31, 60
	v_lshlrev_b32_e32 v30, 20, v30
	v_and_b32_e32 v14, 0x80000000, v14
	v_lshl_add_u32 v17, v17, 23, v31
	v_or3_b32 v30, v14, v17, v30
.LBB588_495:
	s_or_b64 exec, exec, s[10:11]
.LBB588_496:
	s_or_b64 exec, exec, s[8:9]
.LBB588_497:
	s_or_b64 exec, exec, s[2:3]
	v_cvt_pkrtz_f16_f32 v14, v23, v25
	v_cvt_pkrtz_f16_f32 v15, v15, v28
	ds_read_b128 v[32:35], v22 offset:16
	s_waitcnt vmcnt(2)
	v_cmp_ne_u16_sdwa s[8:9], v10, v24 src0_sel:BYTE_0 src1_sel:DWORD
	s_waitcnt lgkmcnt(0)
	v_mfma_f32_16x16x16f16 v[18:21], v[14:15], v[32:33], v[18:21]
	v_cvt_pkrtz_f16_f32 v14, v27, v29
	v_cvt_pkrtz_f16_f32 v15, v16, v30
	s_nop 1
	v_mfma_f32_16x16x16f16 v[14:17], v[14:15], v[34:35], v[18:21]
	s_and_saveexec_b64 s[2:3], s[8:9]
	s_cbranch_execz .LBB588_503
; %bb.498:
	s_movk_i32 s7, 0x80
	v_cmp_ne_u16_sdwa s[10:11], v10, s7 src0_sel:BYTE_0 src1_sel:DWORD
	v_bfrev_b32_e32 v24, 1
	s_and_saveexec_b64 s[8:9], s[10:11]
	s_cbranch_execz .LBB588_502
; %bb.499:
	s_movk_i32 s7, 0x7f
	v_and_b32_e32 v18, 0x7f, v10
	v_cmp_ne_u32_e32 vcc, s7, v18
	v_mov_b32_e32 v24, 0x7f800001
	s_and_saveexec_b64 s[10:11], vcc
	s_cbranch_execz .LBB588_501
; %bb.500:
	v_and_b32_e32 v19, 7, v10
	v_ffbh_u32_e32 v20, v19
	v_min_u32_e32 v24, 32, v20
	v_subrev_u32_e32 v20, 28, v24
	v_lshlrev_b64 v[20:21], v20, v[10:11]
	v_lshrrev_b32_e32 v23, 3, v18
	v_sub_u32_e32 v21, 29, v24
	v_and_b32_e32 v20, 7, v20
	v_cmp_gt_u32_e32 vcc, 8, v18
	v_cndmask_b32_e32 v18, v23, v21, vcc
	v_cndmask_b32_e32 v19, v19, v20, vcc
	v_lshlrev_b32_e32 v20, 24, v10
	v_bfrev_b32_e32 v21, 60
	v_lshlrev_b32_e32 v19, 20, v19
	v_and_b32_e32 v20, 0x80000000, v20
	v_lshl_add_u32 v18, v18, 23, v21
	v_or3_b32 v24, v20, v18, v19
.LBB588_501:
	s_or_b64 exec, exec, s[10:11]
.LBB588_502:
	s_or_b64 exec, exec, s[8:9]
.LBB588_503:
	s_or_b64 exec, exec, s[2:3]
	s_nop 3
	v_lshrrev_b16_e32 v18, 8, v10
	v_cmp_ne_u16_e32 vcc, 0, v18
	v_mov_b32_e32 v19, 0
	v_mov_b32_e32 v20, 0
	s_and_saveexec_b64 s[2:3], vcc
	s_cbranch_execz .LBB588_509
; %bb.504:
	s_movk_i32 s7, 0x80
	v_cmp_ne_u16_e32 vcc, s7, v18
	v_bfrev_b32_e32 v20, 1
	s_and_saveexec_b64 s[8:9], vcc
	s_cbranch_execz .LBB588_508
; %bb.505:
	s_movk_i32 s7, 0x7f
	v_and_b32_e32 v21, 0x7f, v18
	v_cmp_ne_u32_e32 vcc, s7, v21
	v_mov_b32_e32 v20, 0x7f800001
	s_and_saveexec_b64 s[10:11], vcc
	s_cbranch_execz .LBB588_507
; %bb.506:
	v_and_b32_e32 v20, 7, v18
	v_ffbh_u32_e32 v25, v20
	v_min_u32_e32 v25, 32, v25
	v_subrev_u32_e32 v27, 28, v25
	v_lshlrev_b64 v[28:29], v27, v[18:19]
	v_lshrrev_b32_e32 v23, 3, v21
	v_sub_u32_e32 v18, 29, v25
	v_and_b32_e32 v25, 7, v28
	v_cmp_gt_u32_e32 vcc, 8, v21
	v_cndmask_b32_e32 v18, v23, v18, vcc
	v_cndmask_b32_e32 v20, v20, v25, vcc
	v_lshlrev_b32_e32 v21, 16, v10
	v_bfrev_b32_e32 v23, 60
	v_lshlrev_b32_e32 v20, 20, v20
	v_and_b32_e32 v21, 0x80000000, v21
	v_lshl_add_u32 v18, v18, 23, v23
	v_or3_b32 v20, v21, v18, v20
.LBB588_507:
	s_or_b64 exec, exec, s[10:11]
.LBB588_508:
	s_or_b64 exec, exec, s[8:9]
.LBB588_509:
	s_or_b64 exec, exec, s[2:3]
	s_movk_i32 s2, 0xff
	v_and_b32_sdwa v21, v10, s2 dst_sel:DWORD dst_unused:UNUSED_PAD src0_sel:WORD_1 src1_sel:DWORD
	v_lshrrev_b32_e32 v18, 16, v10
	v_cmp_ne_u16_e32 vcc, 0, v21
	s_and_saveexec_b64 s[2:3], vcc
	s_cbranch_execz .LBB588_515
; %bb.510:
	s_movk_i32 s7, 0x80
	v_cmp_ne_u16_e32 vcc, s7, v21
	v_bfrev_b32_e32 v19, 1
	s_and_saveexec_b64 s[8:9], vcc
	s_cbranch_execz .LBB588_514
; %bb.511:
	v_bfe_u32 v21, v10, 16, 7
	s_movk_i32 s7, 0x7f
	v_cmp_ne_u32_e32 vcc, s7, v21
	v_mov_b32_e32 v19, 0x7f800001
	s_and_saveexec_b64 s[10:11], vcc
	s_cbranch_execz .LBB588_513
; %bb.512:
	v_and_b32_e32 v23, 7, v18
	v_ffbh_u32_e32 v19, v23
	v_min_u32_e32 v27, 32, v19
	v_subrev_u32_e32 v19, 28, v27
	v_lshlrev_b64 v[18:19], v19, v[18:19]
	v_lshrrev_b32_e32 v25, 3, v21
	v_sub_u32_e32 v19, 29, v27
	v_and_b32_e32 v18, 7, v18
	v_cmp_gt_u32_e32 vcc, 8, v21
	v_mov_b32_e32 v21, 24
	v_cndmask_b32_e32 v19, v25, v19, vcc
	v_cndmask_b32_e32 v18, v23, v18, vcc
	v_lshlrev_b32_sdwa v21, v21, v10 dst_sel:DWORD dst_unused:UNUSED_PAD src0_sel:DWORD src1_sel:WORD_1
	v_bfrev_b32_e32 v23, 60
	v_lshlrev_b32_e32 v18, 20, v18
	v_and_b32_e32 v21, 0x80000000, v21
	v_lshl_add_u32 v19, v19, 23, v23
	v_or3_b32 v19, v21, v19, v18
.LBB588_513:
	s_or_b64 exec, exec, s[10:11]
.LBB588_514:
	s_or_b64 exec, exec, s[8:9]
.LBB588_515:
	s_or_b64 exec, exec, s[2:3]
	s_mov_b32 s2, 0xffffff
	v_cmp_lt_u32_e32 vcc, s2, v10
	v_mov_b32_e32 v21, 0
	v_mov_b32_e32 v23, 0
	s_and_saveexec_b64 s[2:3], vcc
	s_cbranch_execz .LBB588_521
; %bb.516:
	v_lshrrev_b32_e32 v18, 24, v10
	s_movk_i32 s7, 0x80
	v_cmp_ne_u32_e32 vcc, s7, v18
	v_bfrev_b32_e32 v23, 1
	s_and_saveexec_b64 s[8:9], vcc
	s_cbranch_execz .LBB588_520
; %bb.517:
	v_bfe_u32 v10, v10, 24, 7
	s_movk_i32 s7, 0x7f
	v_cmp_ne_u32_e32 vcc, s7, v10
	v_mov_b32_e32 v23, 0x7f800001
	s_and_saveexec_b64 s[10:11], vcc
	s_cbranch_execz .LBB588_519
; %bb.518:
	v_and_b32_e32 v23, 7, v18
	v_ffbh_u32_e32 v27, v23
	v_min_u32_e32 v27, 32, v27
	v_subrev_u32_e32 v28, 28, v27
	v_lshlrev_b64 v[28:29], v28, v[18:19]
	v_lshrrev_b32_e32 v25, 3, v10
	v_sub_u32_e32 v27, 29, v27
	v_and_b32_e32 v28, 7, v28
	v_cmp_gt_u32_e32 vcc, 8, v10
	v_cndmask_b32_e32 v10, v25, v27, vcc
	v_cndmask_b32_e32 v23, v23, v28, vcc
	v_lshlrev_b32_e32 v18, 24, v18
	v_bfrev_b32_e32 v25, 60
	v_lshlrev_b32_e32 v23, 20, v23
	v_and_b32_e32 v18, 0x80000000, v18
	v_lshl_add_u32 v10, v10, 23, v25
	v_or3_b32 v23, v18, v10, v23
.LBB588_519:
	s_or_b64 exec, exec, s[10:11]
.LBB588_520:
	s_or_b64 exec, exec, s[8:9]
.LBB588_521:
	s_or_b64 exec, exec, s[2:3]
	v_cmp_ne_u16_sdwa s[8:9], v11, v21 src0_sel:BYTE_0 src1_sel:DWORD
	s_and_saveexec_b64 s[2:3], s[8:9]
	s_cbranch_execz .LBB588_527
; %bb.522:
	s_movk_i32 s7, 0x80
	v_cmp_ne_u16_sdwa s[10:11], v11, s7 src0_sel:BYTE_0 src1_sel:DWORD
	v_bfrev_b32_e32 v21, 1
	s_and_saveexec_b64 s[8:9], s[10:11]
	s_cbranch_execz .LBB588_526
; %bb.523:
	s_movk_i32 s7, 0x7f
	v_and_b32_e32 v10, 0x7f, v11
	v_cmp_ne_u32_e32 vcc, s7, v10
	v_mov_b32_e32 v21, 0x7f800001
	s_and_saveexec_b64 s[10:11], vcc
	s_cbranch_execz .LBB588_525
; %bb.524:
	v_and_b32_e32 v21, 7, v11
	v_ffbh_u32_e32 v27, v21
	v_min_u32_e32 v27, 32, v27
	v_mov_b32_e32 v18, v11
	v_subrev_u32_e32 v28, 28, v27
	v_lshlrev_b64 v[28:29], v28, v[18:19]
	v_lshrrev_b32_e32 v25, 3, v10
	v_sub_u32_e32 v18, 29, v27
	v_and_b32_e32 v27, 7, v28
	v_cmp_gt_u32_e32 vcc, 8, v10
	v_cndmask_b32_e32 v10, v25, v18, vcc
	v_cndmask_b32_e32 v18, v21, v27, vcc
	v_lshlrev_b32_e32 v21, 24, v11
	v_bfrev_b32_e32 v25, 60
	v_lshlrev_b32_e32 v18, 20, v18
	v_and_b32_e32 v21, 0x80000000, v21
	v_lshl_add_u32 v10, v10, 23, v25
	v_or3_b32 v21, v21, v10, v18
.LBB588_525:
	s_or_b64 exec, exec, s[10:11]
.LBB588_526:
	s_or_b64 exec, exec, s[8:9]
.LBB588_527:
	s_or_b64 exec, exec, s[2:3]
	v_lshrrev_b16_e32 v10, 8, v11
	v_cmp_ne_u16_e32 vcc, 0, v10
	v_mov_b32_e32 v25, 0
	v_mov_b32_e32 v27, 0
	s_and_saveexec_b64 s[2:3], vcc
	s_cbranch_execz .LBB588_533
; %bb.528:
	s_movk_i32 s7, 0x80
	v_cmp_ne_u16_e32 vcc, s7, v10
	v_bfrev_b32_e32 v27, 1
	s_and_saveexec_b64 s[8:9], vcc
	s_cbranch_execz .LBB588_532
; %bb.529:
	s_movk_i32 s7, 0x7f
	v_and_b32_e32 v18, 0x7f, v10
	v_cmp_ne_u32_e32 vcc, s7, v18
	v_mov_b32_e32 v27, 0x7f800001
	s_and_saveexec_b64 s[10:11], vcc
	s_cbranch_execz .LBB588_531
; %bb.530:
	v_and_b32_e32 v27, 7, v10
	v_ffbh_u32_e32 v28, v27
	v_min_u32_e32 v31, 32, v28
	v_subrev_u32_e32 v28, 28, v31
	v_lshlrev_b64 v[28:29], v28, v[10:11]
	v_lshrrev_b32_e32 v30, 3, v18
	v_sub_u32_e32 v10, 29, v31
	v_and_b32_e32 v28, 7, v28
	v_cmp_gt_u32_e32 vcc, 8, v18
	v_cndmask_b32_e32 v10, v30, v10, vcc
	v_cndmask_b32_e32 v18, v27, v28, vcc
	v_lshlrev_b32_e32 v27, 16, v11
	v_bfrev_b32_e32 v28, 60
	v_lshlrev_b32_e32 v18, 20, v18
	v_and_b32_e32 v27, 0x80000000, v27
	v_lshl_add_u32 v10, v10, 23, v28
	v_or3_b32 v27, v27, v10, v18
.LBB588_531:
	s_or_b64 exec, exec, s[10:11]
.LBB588_532:
	s_or_b64 exec, exec, s[8:9]
.LBB588_533:
	s_or_b64 exec, exec, s[2:3]
	s_movk_i32 s2, 0xff
	v_and_b32_sdwa v18, v11, s2 dst_sel:DWORD dst_unused:UNUSED_PAD src0_sel:WORD_1 src1_sel:DWORD
	v_lshrrev_b32_e32 v10, 16, v11
	v_cmp_ne_u16_e32 vcc, 0, v18
	s_and_saveexec_b64 s[2:3], vcc
	s_cbranch_execz .LBB588_539
; %bb.534:
	s_movk_i32 s7, 0x80
	v_cmp_ne_u16_e32 vcc, s7, v18
	v_bfrev_b32_e32 v25, 1
	s_and_saveexec_b64 s[8:9], vcc
	s_cbranch_execz .LBB588_538
; %bb.535:
	v_bfe_u32 v18, v11, 16, 7
	s_movk_i32 s7, 0x7f
	v_cmp_ne_u32_e32 vcc, s7, v18
	v_mov_b32_e32 v25, 0x7f800001
	s_and_saveexec_b64 s[10:11], vcc
	s_cbranch_execz .LBB588_537
; %bb.536:
	v_and_b32_e32 v25, 7, v10
	v_ffbh_u32_e32 v28, v25
	v_min_u32_e32 v31, 32, v28
	v_subrev_u32_e32 v28, 28, v31
	v_lshlrev_b64 v[28:29], v28, v[10:11]
	v_and_b32_e32 v28, 7, v28
	v_cmp_gt_u32_e32 vcc, 8, v18
	v_lshrrev_b32_e32 v30, 3, v18
	v_sub_u32_e32 v10, 29, v31
	v_cndmask_b32_e32 v18, v25, v28, vcc
	v_mov_b32_e32 v25, 24
	v_cndmask_b32_e32 v10, v30, v10, vcc
	v_lshlrev_b32_sdwa v25, v25, v11 dst_sel:DWORD dst_unused:UNUSED_PAD src0_sel:DWORD src1_sel:WORD_1
	v_bfrev_b32_e32 v28, 60
	v_lshlrev_b32_e32 v18, 20, v18
	v_and_b32_e32 v25, 0x80000000, v25
	v_lshl_add_u32 v10, v10, 23, v28
	v_or3_b32 v25, v25, v10, v18
.LBB588_537:
	s_or_b64 exec, exec, s[10:11]
.LBB588_538:
	s_or_b64 exec, exec, s[8:9]
.LBB588_539:
	s_or_b64 exec, exec, s[2:3]
	s_mov_b32 s2, 0xffffff
	v_cmp_lt_u32_e32 vcc, s2, v11
	v_mov_b32_e32 v18, 0
	v_mov_b32_e32 v28, 0
	s_and_saveexec_b64 s[2:3], vcc
	s_cbranch_execz .LBB588_545
; %bb.540:
	v_lshrrev_b32_e32 v10, 24, v11
	s_movk_i32 s7, 0x80
	v_cmp_ne_u32_e32 vcc, s7, v10
	v_bfrev_b32_e32 v28, 1
	s_and_saveexec_b64 s[8:9], vcc
	s_cbranch_execz .LBB588_544
; %bb.541:
	v_bfe_u32 v11, v11, 24, 7
	s_movk_i32 s7, 0x7f
	v_cmp_ne_u32_e32 vcc, s7, v11
	v_mov_b32_e32 v28, 0x7f800001
	s_and_saveexec_b64 s[10:11], vcc
	s_cbranch_execz .LBB588_543
; %bb.542:
	v_and_b32_e32 v30, 7, v10
	v_ffbh_u32_e32 v28, v30
	v_min_u32_e32 v32, 32, v28
	v_subrev_u32_e32 v28, 28, v32
	v_lshlrev_b64 v[28:29], v28, v[10:11]
	v_lshrrev_b32_e32 v31, 3, v11
	v_sub_u32_e32 v29, 29, v32
	v_and_b32_e32 v28, 7, v28
	v_cmp_gt_u32_e32 vcc, 8, v11
	v_cndmask_b32_e32 v11, v31, v29, vcc
	v_cndmask_b32_e32 v28, v30, v28, vcc
	v_lshlrev_b32_e32 v10, 24, v10
	v_bfrev_b32_e32 v29, 60
	v_lshlrev_b32_e32 v28, 20, v28
	v_and_b32_e32 v10, 0x80000000, v10
	v_lshl_add_u32 v11, v11, 23, v29
	v_or3_b32 v28, v10, v11, v28
.LBB588_543:
	s_or_b64 exec, exec, s[10:11]
.LBB588_544:
	s_or_b64 exec, exec, s[8:9]
.LBB588_545:
	s_or_b64 exec, exec, s[2:3]
	v_cvt_pkrtz_f16_f32 v10, v24, v20
	v_cvt_pkrtz_f16_f32 v11, v19, v23
	ds_read_b128 v[30:33], v22 offset:2048
	v_cmp_ne_u16_sdwa s[8:9], v12, v18 src0_sel:BYTE_0 src1_sel:DWORD
	s_waitcnt lgkmcnt(0)
	v_mfma_f32_16x16x16f16 v[14:17], v[10:11], v[30:31], v[14:17]
	v_cvt_pkrtz_f16_f32 v10, v21, v27
	v_cvt_pkrtz_f16_f32 v11, v25, v28
	s_nop 1
	v_mfma_f32_16x16x16f16 v[14:17], v[10:11], v[32:33], v[14:17]
	s_and_saveexec_b64 s[2:3], s[8:9]
	s_cbranch_execz .LBB588_551
; %bb.546:
	s_movk_i32 s7, 0x80
	v_cmp_ne_u16_sdwa s[10:11], v12, s7 src0_sel:BYTE_0 src1_sel:DWORD
	v_bfrev_b32_e32 v18, 1
	s_and_saveexec_b64 s[8:9], s[10:11]
	s_cbranch_execz .LBB588_550
; %bb.547:
	s_movk_i32 s7, 0x7f
	v_and_b32_e32 v10, 0x7f, v12
	v_cmp_ne_u32_e32 vcc, s7, v10
	v_mov_b32_e32 v18, 0x7f800001
	s_and_saveexec_b64 s[10:11], vcc
	s_cbranch_execz .LBB588_549
; %bb.548:
	v_and_b32_e32 v11, 7, v12
	v_ffbh_u32_e32 v18, v11
	v_min_u32_e32 v21, 32, v18
	v_subrev_u32_e32 v18, 28, v21
	v_lshlrev_b64 v[18:19], v18, v[12:13]
	v_lshrrev_b32_e32 v20, 3, v10
	v_sub_u32_e32 v19, 29, v21
	v_and_b32_e32 v18, 7, v18
	v_cmp_gt_u32_e32 vcc, 8, v10
	v_cndmask_b32_e32 v10, v20, v19, vcc
	v_cndmask_b32_e32 v11, v11, v18, vcc
	v_lshlrev_b32_e32 v18, 24, v12
	v_bfrev_b32_e32 v19, 60
	v_lshlrev_b32_e32 v11, 20, v11
	v_and_b32_e32 v18, 0x80000000, v18
	v_lshl_add_u32 v10, v10, 23, v19
	v_or3_b32 v18, v18, v10, v11
.LBB588_549:
	s_or_b64 exec, exec, s[10:11]
.LBB588_550:
	s_or_b64 exec, exec, s[8:9]
.LBB588_551:
	s_or_b64 exec, exec, s[2:3]
	v_lshrrev_b16_e32 v10, 8, v12
	v_cmp_ne_u16_e32 vcc, 0, v10
	v_mov_b32_e32 v11, 0
	v_mov_b32_e32 v20, 0
	s_and_saveexec_b64 s[2:3], vcc
	s_cbranch_execz .LBB588_557
; %bb.552:
	s_movk_i32 s7, 0x80
	v_cmp_ne_u16_e32 vcc, s7, v10
	v_bfrev_b32_e32 v20, 1
	s_and_saveexec_b64 s[8:9], vcc
	s_cbranch_execz .LBB588_556
; %bb.553:
	s_movk_i32 s7, 0x7f
	v_and_b32_e32 v19, 0x7f, v10
	v_cmp_ne_u32_e32 vcc, s7, v19
	v_mov_b32_e32 v20, 0x7f800001
	s_and_saveexec_b64 s[10:11], vcc
	s_cbranch_execz .LBB588_555
; %bb.554:
	v_and_b32_e32 v23, 7, v10
	v_ffbh_u32_e32 v20, v23
	v_min_u32_e32 v25, 32, v20
	v_subrev_u32_e32 v20, 28, v25
	v_lshlrev_b64 v[20:21], v20, v[10:11]
	v_lshrrev_b32_e32 v24, 3, v19
	v_sub_u32_e32 v10, 29, v25
	v_and_b32_e32 v20, 7, v20
	v_cmp_gt_u32_e32 vcc, 8, v19
	v_cndmask_b32_e32 v10, v24, v10, vcc
	v_cndmask_b32_e32 v19, v23, v20, vcc
	v_lshlrev_b32_e32 v20, 16, v12
	v_bfrev_b32_e32 v21, 60
	v_lshlrev_b32_e32 v19, 20, v19
	v_and_b32_e32 v20, 0x80000000, v20
	v_lshl_add_u32 v10, v10, 23, v21
	v_or3_b32 v20, v20, v10, v19
.LBB588_555:
	s_or_b64 exec, exec, s[10:11]
.LBB588_556:
	s_or_b64 exec, exec, s[8:9]
.LBB588_557:
	s_or_b64 exec, exec, s[2:3]
	s_movk_i32 s2, 0xff
	v_and_b32_sdwa v19, v12, s2 dst_sel:DWORD dst_unused:UNUSED_PAD src0_sel:WORD_1 src1_sel:DWORD
	v_lshrrev_b32_e32 v10, 16, v12
	v_cmp_ne_u16_e32 vcc, 0, v19
	s_and_saveexec_b64 s[2:3], vcc
	s_cbranch_execz .LBB588_563
; %bb.558:
	s_movk_i32 s7, 0x80
	v_cmp_ne_u16_e32 vcc, s7, v19
	v_bfrev_b32_e32 v11, 1
	s_and_saveexec_b64 s[8:9], vcc
	s_cbranch_execz .LBB588_562
; %bb.559:
	v_bfe_u32 v19, v12, 16, 7
	s_movk_i32 s7, 0x7f
	v_cmp_ne_u32_e32 vcc, s7, v19
	v_mov_b32_e32 v11, 0x7f800001
	s_and_saveexec_b64 s[10:11], vcc
	s_cbranch_execz .LBB588_561
; %bb.560:
	v_and_b32_e32 v21, 7, v10
	v_ffbh_u32_e32 v11, v21
	v_min_u32_e32 v24, 32, v11
	v_subrev_u32_e32 v11, 28, v24
	v_lshlrev_b64 v[10:11], v11, v[10:11]
	v_lshrrev_b32_e32 v23, 3, v19
	v_sub_u32_e32 v11, 29, v24
	v_and_b32_e32 v10, 7, v10
	v_cmp_gt_u32_e32 vcc, 8, v19
	v_mov_b32_e32 v19, 24
	v_cndmask_b32_e32 v11, v23, v11, vcc
	v_cndmask_b32_e32 v10, v21, v10, vcc
	v_lshlrev_b32_sdwa v19, v19, v12 dst_sel:DWORD dst_unused:UNUSED_PAD src0_sel:DWORD src1_sel:WORD_1
	v_bfrev_b32_e32 v21, 60
	v_lshlrev_b32_e32 v10, 20, v10
	v_and_b32_e32 v19, 0x80000000, v19
	v_lshl_add_u32 v11, v11, 23, v21
	v_or3_b32 v11, v19, v11, v10
.LBB588_561:
	s_or_b64 exec, exec, s[10:11]
.LBB588_562:
	s_or_b64 exec, exec, s[8:9]
.LBB588_563:
	s_or_b64 exec, exec, s[2:3]
	s_mov_b32 s2, 0xffffff
	v_cmp_lt_u32_e32 vcc, s2, v12
	v_mov_b32_e32 v21, 0
	v_mov_b32_e32 v23, 0
	s_and_saveexec_b64 s[2:3], vcc
	s_cbranch_execz .LBB588_569
; %bb.564:
	v_lshrrev_b32_e32 v10, 24, v12
	s_movk_i32 s7, 0x80
	v_cmp_ne_u32_e32 vcc, s7, v10
	v_bfrev_b32_e32 v23, 1
	s_and_saveexec_b64 s[8:9], vcc
	s_cbranch_execz .LBB588_568
; %bb.565:
	v_bfe_u32 v12, v12, 24, 7
	s_movk_i32 s7, 0x7f
	v_cmp_ne_u32_e32 vcc, s7, v12
	v_mov_b32_e32 v23, 0x7f800001
	s_and_saveexec_b64 s[10:11], vcc
	s_cbranch_execz .LBB588_567
; %bb.566:
	v_and_b32_e32 v19, 7, v10
	v_ffbh_u32_e32 v24, v19
	v_min_u32_e32 v27, 32, v24
	v_subrev_u32_e32 v24, 28, v27
	v_lshlrev_b64 v[24:25], v24, v[10:11]
	v_lshrrev_b32_e32 v23, 3, v12
	v_sub_u32_e32 v25, 29, v27
	v_and_b32_e32 v24, 7, v24
	v_cmp_gt_u32_e32 vcc, 8, v12
	v_cndmask_b32_e32 v12, v23, v25, vcc
	v_cndmask_b32_e32 v19, v19, v24, vcc
	v_lshlrev_b32_e32 v10, 24, v10
	v_bfrev_b32_e32 v23, 60
	v_lshlrev_b32_e32 v19, 20, v19
	v_and_b32_e32 v10, 0x80000000, v10
	v_lshl_add_u32 v12, v12, 23, v23
	v_or3_b32 v23, v10, v12, v19
.LBB588_567:
	s_or_b64 exec, exec, s[10:11]
.LBB588_568:
	s_or_b64 exec, exec, s[8:9]
.LBB588_569:
	s_or_b64 exec, exec, s[2:3]
	v_cmp_ne_u16_sdwa s[8:9], v13, v21 src0_sel:BYTE_0 src1_sel:DWORD
	s_and_saveexec_b64 s[2:3], s[8:9]
	s_cbranch_execz .LBB588_575
; %bb.570:
	s_movk_i32 s7, 0x80
	v_cmp_ne_u16_sdwa s[10:11], v13, s7 src0_sel:BYTE_0 src1_sel:DWORD
	v_bfrev_b32_e32 v21, 1
	s_and_saveexec_b64 s[8:9], s[10:11]
	s_cbranch_execz .LBB588_574
; %bb.571:
	s_movk_i32 s7, 0x7f
	v_and_b32_e32 v10, 0x7f, v13
	v_cmp_ne_u32_e32 vcc, s7, v10
	v_mov_b32_e32 v21, 0x7f800001
	s_and_saveexec_b64 s[10:11], vcc
	s_cbranch_execz .LBB588_573
; %bb.572:
	v_and_b32_e32 v19, 7, v13
	v_ffbh_u32_e32 v24, v19
	v_min_u32_e32 v27, 32, v24
	v_mov_b32_e32 v12, v13
	v_subrev_u32_e32 v24, 28, v27
	v_lshlrev_b64 v[24:25], v24, v[12:13]
	v_lshrrev_b32_e32 v21, 3, v10
	v_sub_u32_e32 v12, 29, v27
	v_and_b32_e32 v24, 7, v24
	v_cmp_gt_u32_e32 vcc, 8, v10
	v_cndmask_b32_e32 v10, v21, v12, vcc
	v_cndmask_b32_e32 v12, v19, v24, vcc
	v_lshlrev_b32_e32 v19, 24, v13
	v_bfrev_b32_e32 v21, 60
	v_lshlrev_b32_e32 v12, 20, v12
	v_and_b32_e32 v19, 0x80000000, v19
	v_lshl_add_u32 v10, v10, 23, v21
	v_or3_b32 v21, v19, v10, v12
.LBB588_573:
	s_or_b64 exec, exec, s[10:11]
.LBB588_574:
	s_or_b64 exec, exec, s[8:9]
.LBB588_575:
	s_or_b64 exec, exec, s[2:3]
	v_lshrrev_b16_e32 v10, 8, v13
	v_cmp_ne_u16_e32 vcc, 0, v10
	v_mov_b32_e32 v12, 0
	v_mov_b32_e32 v24, 0
	s_and_saveexec_b64 s[2:3], vcc
	s_cbranch_execz .LBB588_581
; %bb.576:
	s_movk_i32 s7, 0x80
	v_cmp_ne_u16_e32 vcc, s7, v10
	v_bfrev_b32_e32 v24, 1
	s_and_saveexec_b64 s[8:9], vcc
	s_cbranch_execz .LBB588_580
; %bb.577:
	s_movk_i32 s7, 0x7f
	v_and_b32_e32 v19, 0x7f, v10
	v_cmp_ne_u32_e32 vcc, s7, v19
	v_mov_b32_e32 v24, 0x7f800001
	s_and_saveexec_b64 s[10:11], vcc
	s_cbranch_execz .LBB588_579
; %bb.578:
	v_and_b32_e32 v27, 7, v10
	v_ffbh_u32_e32 v24, v27
	v_min_u32_e32 v29, 32, v24
	v_subrev_u32_e32 v24, 28, v29
	v_lshlrev_b64 v[24:25], v24, v[10:11]
	v_lshrrev_b32_e32 v28, 3, v19
	v_sub_u32_e32 v10, 29, v29
	v_and_b32_e32 v24, 7, v24
	v_cmp_gt_u32_e32 vcc, 8, v19
	v_cndmask_b32_e32 v10, v28, v10, vcc
	v_cndmask_b32_e32 v19, v27, v24, vcc
	v_lshlrev_b32_e32 v24, 16, v13
	v_bfrev_b32_e32 v25, 60
	v_lshlrev_b32_e32 v19, 20, v19
	v_and_b32_e32 v24, 0x80000000, v24
	v_lshl_add_u32 v10, v10, 23, v25
	v_or3_b32 v24, v24, v10, v19
.LBB588_579:
	s_or_b64 exec, exec, s[10:11]
.LBB588_580:
	s_or_b64 exec, exec, s[8:9]
.LBB588_581:
	s_or_b64 exec, exec, s[2:3]
	s_movk_i32 s2, 0xff
	v_and_b32_sdwa v19, v13, s2 dst_sel:DWORD dst_unused:UNUSED_PAD src0_sel:WORD_1 src1_sel:DWORD
	v_lshrrev_b32_e32 v10, 16, v13
	v_cmp_ne_u16_e32 vcc, 0, v19
	s_and_saveexec_b64 s[2:3], vcc
	s_cbranch_execz .LBB588_587
; %bb.582:
	s_movk_i32 s7, 0x80
	v_cmp_ne_u16_e32 vcc, s7, v19
	v_bfrev_b32_e32 v12, 1
	s_and_saveexec_b64 s[8:9], vcc
	s_cbranch_execz .LBB588_586
; %bb.583:
	v_bfe_u32 v19, v13, 16, 7
	s_movk_i32 s7, 0x7f
	v_cmp_ne_u32_e32 vcc, s7, v19
	v_mov_b32_e32 v12, 0x7f800001
	s_and_saveexec_b64 s[10:11], vcc
	s_cbranch_execz .LBB588_585
; %bb.584:
	v_and_b32_e32 v12, 7, v10
	v_ffbh_u32_e32 v27, v12
	v_min_u32_e32 v27, 32, v27
	v_subrev_u32_e32 v28, 28, v27
	v_lshlrev_b64 v[28:29], v28, v[10:11]
	v_lshrrev_b32_e32 v25, 3, v19
	v_sub_u32_e32 v10, 29, v27
	v_and_b32_e32 v27, 7, v28
	v_cmp_gt_u32_e32 vcc, 8, v19
	v_mov_b32_e32 v19, 24
	v_cndmask_b32_e32 v10, v25, v10, vcc
	v_cndmask_b32_e32 v12, v12, v27, vcc
	v_lshlrev_b32_sdwa v19, v19, v13 dst_sel:DWORD dst_unused:UNUSED_PAD src0_sel:DWORD src1_sel:WORD_1
	v_bfrev_b32_e32 v25, 60
	v_lshlrev_b32_e32 v12, 20, v12
	v_and_b32_e32 v19, 0x80000000, v19
	v_lshl_add_u32 v10, v10, 23, v25
	v_or3_b32 v12, v19, v10, v12
.LBB588_585:
	s_or_b64 exec, exec, s[10:11]
.LBB588_586:
	s_or_b64 exec, exec, s[8:9]
.LBB588_587:
	s_or_b64 exec, exec, s[2:3]
	s_mov_b32 s2, 0xffffff
	v_cmp_lt_u32_e32 vcc, s2, v13
	v_mov_b32_e32 v19, 0
	v_mov_b32_e32 v25, 0
	s_and_saveexec_b64 s[2:3], vcc
	s_cbranch_execz .LBB588_593
; %bb.588:
	v_lshrrev_b32_e32 v10, 24, v13
	s_movk_i32 s7, 0x80
	v_cmp_ne_u32_e32 vcc, s7, v10
	v_bfrev_b32_e32 v25, 1
	s_and_saveexec_b64 s[8:9], vcc
	s_cbranch_execz .LBB588_592
; %bb.589:
	v_bfe_u32 v13, v13, 24, 7
	s_movk_i32 s7, 0x7f
	v_cmp_ne_u32_e32 vcc, s7, v13
	v_mov_b32_e32 v25, 0x7f800001
	s_and_saveexec_b64 s[10:11], vcc
	s_cbranch_execz .LBB588_591
; %bb.590:
	v_and_b32_e32 v25, 7, v10
	v_ffbh_u32_e32 v28, v25
	v_min_u32_e32 v30, 32, v28
	v_subrev_u32_e32 v28, 28, v30
	v_lshlrev_b64 v[28:29], v28, v[10:11]
	v_lshrrev_b32_e32 v27, 3, v13
	v_sub_u32_e32 v29, 29, v30
	v_and_b32_e32 v28, 7, v28
	v_cmp_gt_u32_e32 vcc, 8, v13
	v_cndmask_b32_e32 v13, v27, v29, vcc
	v_cndmask_b32_e32 v25, v25, v28, vcc
	v_lshlrev_b32_e32 v10, 24, v10
	v_bfrev_b32_e32 v27, 60
	v_lshlrev_b32_e32 v25, 20, v25
	v_and_b32_e32 v10, 0x80000000, v10
	v_lshl_add_u32 v13, v13, 23, v27
	v_or3_b32 v25, v10, v13, v25
.LBB588_591:
	s_or_b64 exec, exec, s[10:11]
.LBB588_592:
	s_or_b64 exec, exec, s[8:9]
.LBB588_593:
	s_or_b64 exec, exec, s[2:3]
	v_cvt_pkrtz_f16_f32 v10, v18, v20
	v_cvt_pkrtz_f16_f32 v11, v11, v23
	ds_read_b128 v[28:31], v22 offset:2064
	s_waitcnt vmcnt(1)
	v_cmp_ne_u16_sdwa s[8:9], v6, v19 src0_sel:BYTE_0 src1_sel:DWORD
	s_waitcnt lgkmcnt(0)
	v_mfma_f32_16x16x16f16 v[14:17], v[10:11], v[28:29], v[14:17]
	v_cvt_pkrtz_f16_f32 v10, v21, v24
	v_cvt_pkrtz_f16_f32 v11, v12, v25
	s_nop 1
	v_mfma_f32_16x16x16f16 v[10:13], v[10:11], v[30:31], v[14:17]
	s_and_saveexec_b64 s[2:3], s[8:9]
	s_cbranch_execz .LBB588_599
; %bb.594:
	s_movk_i32 s7, 0x80
	v_cmp_ne_u16_sdwa s[10:11], v6, s7 src0_sel:BYTE_0 src1_sel:DWORD
	v_bfrev_b32_e32 v19, 1
	s_and_saveexec_b64 s[8:9], s[10:11]
	s_cbranch_execz .LBB588_598
; %bb.595:
	s_movk_i32 s7, 0x7f
	v_and_b32_e32 v14, 0x7f, v6
	v_cmp_ne_u32_e32 vcc, s7, v14
	v_mov_b32_e32 v19, 0x7f800001
	s_and_saveexec_b64 s[10:11], vcc
	s_cbranch_execz .LBB588_597
; %bb.596:
	v_and_b32_e32 v15, 7, v6
	v_ffbh_u32_e32 v16, v15
	v_min_u32_e32 v19, 32, v16
	v_subrev_u32_e32 v16, 28, v19
	v_lshlrev_b64 v[16:17], v16, v[6:7]
	v_lshrrev_b32_e32 v18, 3, v14
	v_sub_u32_e32 v17, 29, v19
	v_and_b32_e32 v16, 7, v16
	v_cmp_gt_u32_e32 vcc, 8, v14
	v_cndmask_b32_e32 v14, v18, v17, vcc
	v_cndmask_b32_e32 v15, v15, v16, vcc
	v_lshlrev_b32_e32 v16, 24, v6
	v_bfrev_b32_e32 v17, 60
	v_lshlrev_b32_e32 v15, 20, v15
	v_and_b32_e32 v16, 0x80000000, v16
	v_lshl_add_u32 v14, v14, 23, v17
	v_or3_b32 v19, v16, v14, v15
.LBB588_597:
	s_or_b64 exec, exec, s[10:11]
.LBB588_598:
	s_or_b64 exec, exec, s[8:9]
.LBB588_599:
	s_or_b64 exec, exec, s[2:3]
	s_nop 3
	v_lshrrev_b16_e32 v14, 8, v6
	v_cmp_ne_u16_e32 vcc, 0, v14
	v_mov_b32_e32 v15, 0
	v_mov_b32_e32 v16, 0
	s_and_saveexec_b64 s[2:3], vcc
	s_cbranch_execz .LBB588_605
; %bb.600:
	s_movk_i32 s7, 0x80
	v_cmp_ne_u16_e32 vcc, s7, v14
	v_bfrev_b32_e32 v16, 1
	s_and_saveexec_b64 s[8:9], vcc
	s_cbranch_execz .LBB588_604
; %bb.601:
	s_movk_i32 s7, 0x7f
	v_and_b32_e32 v17, 0x7f, v14
	v_cmp_ne_u32_e32 vcc, s7, v17
	v_mov_b32_e32 v16, 0x7f800001
	s_and_saveexec_b64 s[10:11], vcc
	s_cbranch_execz .LBB588_603
; %bb.602:
	v_and_b32_e32 v16, 7, v14
	v_ffbh_u32_e32 v20, v16
	v_min_u32_e32 v23, 32, v20
	v_subrev_u32_e32 v20, 28, v23
	v_lshlrev_b64 v[20:21], v20, v[14:15]
	v_lshrrev_b32_e32 v18, 3, v17
	v_sub_u32_e32 v14, 29, v23
	v_and_b32_e32 v20, 7, v20
	v_cmp_gt_u32_e32 vcc, 8, v17
	v_cndmask_b32_e32 v14, v18, v14, vcc
	v_cndmask_b32_e32 v16, v16, v20, vcc
	v_lshlrev_b32_e32 v17, 16, v6
	v_bfrev_b32_e32 v18, 60
	v_lshlrev_b32_e32 v16, 20, v16
	v_and_b32_e32 v17, 0x80000000, v17
	v_lshl_add_u32 v14, v14, 23, v18
	v_or3_b32 v16, v17, v14, v16
.LBB588_603:
	s_or_b64 exec, exec, s[10:11]
.LBB588_604:
	s_or_b64 exec, exec, s[8:9]
.LBB588_605:
	s_or_b64 exec, exec, s[2:3]
	s_movk_i32 s2, 0xff
	v_and_b32_sdwa v17, v6, s2 dst_sel:DWORD dst_unused:UNUSED_PAD src0_sel:WORD_1 src1_sel:DWORD
	v_lshrrev_b32_e32 v14, 16, v6
	v_cmp_ne_u16_e32 vcc, 0, v17
	s_and_saveexec_b64 s[2:3], vcc
	s_cbranch_execz .LBB588_611
; %bb.606:
	s_movk_i32 s7, 0x80
	v_cmp_ne_u16_e32 vcc, s7, v17
	v_bfrev_b32_e32 v15, 1
	s_and_saveexec_b64 s[8:9], vcc
	s_cbranch_execz .LBB588_610
; %bb.607:
	v_bfe_u32 v17, v6, 16, 7
	s_movk_i32 s7, 0x7f
	v_cmp_ne_u32_e32 vcc, s7, v17
	v_mov_b32_e32 v15, 0x7f800001
	s_and_saveexec_b64 s[10:11], vcc
	s_cbranch_execz .LBB588_609
; %bb.608:
	v_and_b32_e32 v18, 7, v14
	v_ffbh_u32_e32 v15, v18
	v_min_u32_e32 v21, 32, v15
	v_subrev_u32_e32 v15, 28, v21
	v_lshlrev_b64 v[14:15], v15, v[14:15]
	v_lshrrev_b32_e32 v20, 3, v17
	v_sub_u32_e32 v15, 29, v21
	v_and_b32_e32 v14, 7, v14
	v_cmp_gt_u32_e32 vcc, 8, v17
	v_mov_b32_e32 v17, 24
	v_cndmask_b32_e32 v15, v20, v15, vcc
	v_cndmask_b32_e32 v14, v18, v14, vcc
	v_lshlrev_b32_sdwa v17, v17, v6 dst_sel:DWORD dst_unused:UNUSED_PAD src0_sel:DWORD src1_sel:WORD_1
	v_bfrev_b32_e32 v18, 60
	v_lshlrev_b32_e32 v14, 20, v14
	v_and_b32_e32 v17, 0x80000000, v17
	v_lshl_add_u32 v15, v15, 23, v18
	v_or3_b32 v15, v17, v15, v14
.LBB588_609:
	s_or_b64 exec, exec, s[10:11]
.LBB588_610:
	s_or_b64 exec, exec, s[8:9]
.LBB588_611:
	s_or_b64 exec, exec, s[2:3]
	s_mov_b32 s2, 0xffffff
	v_cmp_lt_u32_e32 vcc, s2, v6
	v_mov_b32_e32 v17, 0
	v_mov_b32_e32 v18, 0
	s_and_saveexec_b64 s[2:3], vcc
	s_cbranch_execz .LBB588_617
; %bb.612:
	v_lshrrev_b32_e32 v14, 24, v6
	s_movk_i32 s7, 0x80
	v_cmp_ne_u32_e32 vcc, s7, v14
	v_bfrev_b32_e32 v18, 1
	s_and_saveexec_b64 s[8:9], vcc
	s_cbranch_execz .LBB588_616
; %bb.613:
	v_bfe_u32 v6, v6, 24, 7
	s_movk_i32 s7, 0x7f
	v_cmp_ne_u32_e32 vcc, s7, v6
	v_mov_b32_e32 v18, 0x7f800001
	s_and_saveexec_b64 s[10:11], vcc
	s_cbranch_execz .LBB588_615
; %bb.614:
	v_and_b32_e32 v18, 7, v14
	v_ffbh_u32_e32 v20, v18
	v_min_u32_e32 v24, 32, v20
	v_subrev_u32_e32 v20, 28, v24
	v_lshlrev_b64 v[20:21], v20, v[14:15]
	v_lshrrev_b32_e32 v23, 3, v6
	v_sub_u32_e32 v21, 29, v24
	v_and_b32_e32 v20, 7, v20
	v_cmp_gt_u32_e32 vcc, 8, v6
	v_cndmask_b32_e32 v6, v23, v21, vcc
	v_cndmask_b32_e32 v18, v18, v20, vcc
	v_lshlrev_b32_e32 v14, 24, v14
	v_bfrev_b32_e32 v20, 60
	v_lshlrev_b32_e32 v18, 20, v18
	v_and_b32_e32 v14, 0x80000000, v14
	v_lshl_add_u32 v6, v6, 23, v20
	v_or3_b32 v18, v14, v6, v18
.LBB588_615:
	s_or_b64 exec, exec, s[10:11]
.LBB588_616:
	s_or_b64 exec, exec, s[8:9]
.LBB588_617:
	s_or_b64 exec, exec, s[2:3]
	v_cmp_ne_u16_sdwa s[8:9], v7, v17 src0_sel:BYTE_0 src1_sel:DWORD
	s_and_saveexec_b64 s[2:3], s[8:9]
	s_cbranch_execz .LBB588_623
; %bb.618:
	s_movk_i32 s7, 0x80
	v_cmp_ne_u16_sdwa s[10:11], v7, s7 src0_sel:BYTE_0 src1_sel:DWORD
	v_bfrev_b32_e32 v17, 1
	s_and_saveexec_b64 s[8:9], s[10:11]
	s_cbranch_execz .LBB588_622
; %bb.619:
	s_movk_i32 s7, 0x7f
	v_and_b32_e32 v6, 0x7f, v7
	v_cmp_ne_u32_e32 vcc, s7, v6
	v_mov_b32_e32 v17, 0x7f800001
	s_and_saveexec_b64 s[10:11], vcc
	s_cbranch_execz .LBB588_621
; %bb.620:
	v_and_b32_e32 v17, 7, v7
	v_ffbh_u32_e32 v20, v17
	v_min_u32_e32 v24, 32, v20
	v_mov_b32_e32 v14, v7
	v_subrev_u32_e32 v20, 28, v24
	v_lshlrev_b64 v[20:21], v20, v[14:15]
	v_lshrrev_b32_e32 v23, 3, v6
	v_sub_u32_e32 v14, 29, v24
	v_and_b32_e32 v20, 7, v20
	v_cmp_gt_u32_e32 vcc, 8, v6
	v_cndmask_b32_e32 v6, v23, v14, vcc
	v_cndmask_b32_e32 v14, v17, v20, vcc
	v_lshlrev_b32_e32 v17, 24, v7
	v_bfrev_b32_e32 v20, 60
	v_lshlrev_b32_e32 v14, 20, v14
	v_and_b32_e32 v17, 0x80000000, v17
	v_lshl_add_u32 v6, v6, 23, v20
	v_or3_b32 v17, v17, v6, v14
.LBB588_621:
	s_or_b64 exec, exec, s[10:11]
.LBB588_622:
	s_or_b64 exec, exec, s[8:9]
.LBB588_623:
	s_or_b64 exec, exec, s[2:3]
	v_lshrrev_b16_e32 v6, 8, v7
	v_cmp_ne_u16_e32 vcc, 0, v6
	v_mov_b32_e32 v20, 0
	v_mov_b32_e32 v21, 0
	s_and_saveexec_b64 s[2:3], vcc
	s_cbranch_execz .LBB588_629
; %bb.624:
	s_movk_i32 s7, 0x80
	v_cmp_ne_u16_e32 vcc, s7, v6
	v_bfrev_b32_e32 v21, 1
	s_and_saveexec_b64 s[8:9], vcc
	s_cbranch_execz .LBB588_628
; %bb.625:
	s_movk_i32 s7, 0x7f
	v_and_b32_e32 v14, 0x7f, v6
	v_cmp_ne_u32_e32 vcc, s7, v14
	v_mov_b32_e32 v21, 0x7f800001
	s_and_saveexec_b64 s[10:11], vcc
	s_cbranch_execz .LBB588_627
; %bb.626:
	v_and_b32_e32 v21, 7, v6
	v_ffbh_u32_e32 v24, v21
	v_min_u32_e32 v27, 32, v24
	v_subrev_u32_e32 v24, 28, v27
	v_lshlrev_b64 v[24:25], v24, v[6:7]
	v_lshrrev_b32_e32 v23, 3, v14
	v_sub_u32_e32 v6, 29, v27
	v_and_b32_e32 v24, 7, v24
	v_cmp_gt_u32_e32 vcc, 8, v14
	v_cndmask_b32_e32 v6, v23, v6, vcc
	v_cndmask_b32_e32 v14, v21, v24, vcc
	v_lshlrev_b32_e32 v21, 16, v7
	v_bfrev_b32_e32 v23, 60
	v_lshlrev_b32_e32 v14, 20, v14
	v_and_b32_e32 v21, 0x80000000, v21
	v_lshl_add_u32 v6, v6, 23, v23
	v_or3_b32 v21, v21, v6, v14
.LBB588_627:
	s_or_b64 exec, exec, s[10:11]
.LBB588_628:
	s_or_b64 exec, exec, s[8:9]
.LBB588_629:
	s_or_b64 exec, exec, s[2:3]
	s_movk_i32 s2, 0xff
	v_and_b32_sdwa v14, v7, s2 dst_sel:DWORD dst_unused:UNUSED_PAD src0_sel:WORD_1 src1_sel:DWORD
	v_lshrrev_b32_e32 v6, 16, v7
	v_cmp_ne_u16_e32 vcc, 0, v14
	s_and_saveexec_b64 s[2:3], vcc
	s_cbranch_execz .LBB588_635
; %bb.630:
	s_movk_i32 s7, 0x80
	v_cmp_ne_u16_e32 vcc, s7, v14
	v_bfrev_b32_e32 v20, 1
	s_and_saveexec_b64 s[8:9], vcc
	s_cbranch_execz .LBB588_634
; %bb.631:
	v_bfe_u32 v14, v7, 16, 7
	s_movk_i32 s7, 0x7f
	v_cmp_ne_u32_e32 vcc, s7, v14
	v_mov_b32_e32 v20, 0x7f800001
	s_and_saveexec_b64 s[10:11], vcc
	s_cbranch_execz .LBB588_633
; %bb.632:
	v_and_b32_e32 v20, 7, v6
	v_ffbh_u32_e32 v24, v20
	v_min_u32_e32 v27, 32, v24
	v_subrev_u32_e32 v24, 28, v27
	v_lshlrev_b64 v[24:25], v24, v[6:7]
	v_and_b32_e32 v24, 7, v24
	v_cmp_gt_u32_e32 vcc, 8, v14
	v_lshrrev_b32_e32 v23, 3, v14
	v_sub_u32_e32 v6, 29, v27
	v_cndmask_b32_e32 v14, v20, v24, vcc
	v_mov_b32_e32 v20, 24
	v_cndmask_b32_e32 v6, v23, v6, vcc
	v_lshlrev_b32_sdwa v20, v20, v7 dst_sel:DWORD dst_unused:UNUSED_PAD src0_sel:DWORD src1_sel:WORD_1
	v_bfrev_b32_e32 v23, 60
	v_lshlrev_b32_e32 v14, 20, v14
	v_and_b32_e32 v20, 0x80000000, v20
	v_lshl_add_u32 v6, v6, 23, v23
	v_or3_b32 v20, v20, v6, v14
.LBB588_633:
	s_or_b64 exec, exec, s[10:11]
.LBB588_634:
	s_or_b64 exec, exec, s[8:9]
.LBB588_635:
	s_or_b64 exec, exec, s[2:3]
	s_mov_b32 s2, 0xffffff
	v_cmp_lt_u32_e32 vcc, s2, v7
	v_mov_b32_e32 v14, 0
	v_mov_b32_e32 v23, 0
	s_and_saveexec_b64 s[2:3], vcc
	s_cbranch_execz .LBB588_641
; %bb.636:
	v_lshrrev_b32_e32 v6, 24, v7
	s_movk_i32 s7, 0x80
	v_cmp_ne_u32_e32 vcc, s7, v6
	v_bfrev_b32_e32 v23, 1
	s_and_saveexec_b64 s[8:9], vcc
	s_cbranch_execz .LBB588_640
; %bb.637:
	v_bfe_u32 v7, v7, 24, 7
	s_movk_i32 s7, 0x7f
	v_cmp_ne_u32_e32 vcc, s7, v7
	v_mov_b32_e32 v23, 0x7f800001
	s_and_saveexec_b64 s[10:11], vcc
	s_cbranch_execz .LBB588_639
; %bb.638:
	v_and_b32_e32 v23, 7, v6
	v_ffbh_u32_e32 v24, v23
	v_min_u32_e32 v28, 32, v24
	v_subrev_u32_e32 v24, 28, v28
	v_lshlrev_b64 v[24:25], v24, v[6:7]
	v_lshrrev_b32_e32 v27, 3, v7
	v_sub_u32_e32 v25, 29, v28
	v_and_b32_e32 v24, 7, v24
	v_cmp_gt_u32_e32 vcc, 8, v7
	v_cndmask_b32_e32 v7, v27, v25, vcc
	v_cndmask_b32_e32 v23, v23, v24, vcc
	v_lshlrev_b32_e32 v6, 24, v6
	v_bfrev_b32_e32 v24, 60
	v_lshlrev_b32_e32 v23, 20, v23
	v_and_b32_e32 v6, 0x80000000, v6
	v_lshl_add_u32 v7, v7, 23, v24
	v_or3_b32 v23, v6, v7, v23
.LBB588_639:
	s_or_b64 exec, exec, s[10:11]
.LBB588_640:
	s_or_b64 exec, exec, s[8:9]
.LBB588_641:
	s_or_b64 exec, exec, s[2:3]
	v_cvt_pkrtz_f16_f32 v6, v19, v16
	v_cvt_pkrtz_f16_f32 v7, v15, v18
	ds_read_b128 v[28:31], v22 offset:4096
	v_cmp_ne_u16_sdwa s[8:9], v8, v14 src0_sel:BYTE_0 src1_sel:DWORD
	s_waitcnt lgkmcnt(0)
	v_mfma_f32_16x16x16f16 v[10:13], v[6:7], v[28:29], v[10:13]
	v_cvt_pkrtz_f16_f32 v6, v17, v21
	v_cvt_pkrtz_f16_f32 v7, v20, v23
	s_nop 1
	v_mfma_f32_16x16x16f16 v[10:13], v[6:7], v[30:31], v[10:13]
	s_and_saveexec_b64 s[2:3], s[8:9]
	s_cbranch_execz .LBB588_647
; %bb.642:
	s_movk_i32 s7, 0x80
	v_cmp_ne_u16_sdwa s[10:11], v8, s7 src0_sel:BYTE_0 src1_sel:DWORD
	v_bfrev_b32_e32 v14, 1
	s_and_saveexec_b64 s[8:9], s[10:11]
	s_cbranch_execz .LBB588_646
; %bb.643:
	s_movk_i32 s7, 0x7f
	v_and_b32_e32 v6, 0x7f, v8
	v_cmp_ne_u32_e32 vcc, s7, v6
	v_mov_b32_e32 v14, 0x7f800001
	s_and_saveexec_b64 s[10:11], vcc
	s_cbranch_execz .LBB588_645
; %bb.644:
	v_and_b32_e32 v7, 7, v8
	v_ffbh_u32_e32 v14, v7
	v_min_u32_e32 v17, 32, v14
	v_subrev_u32_e32 v14, 28, v17
	v_lshlrev_b64 v[14:15], v14, v[8:9]
	v_lshrrev_b32_e32 v16, 3, v6
	v_sub_u32_e32 v15, 29, v17
	v_and_b32_e32 v14, 7, v14
	v_cmp_gt_u32_e32 vcc, 8, v6
	v_cndmask_b32_e32 v6, v16, v15, vcc
	v_cndmask_b32_e32 v7, v7, v14, vcc
	v_lshlrev_b32_e32 v14, 24, v8
	v_bfrev_b32_e32 v15, 60
	v_lshlrev_b32_e32 v7, 20, v7
	v_and_b32_e32 v14, 0x80000000, v14
	v_lshl_add_u32 v6, v6, 23, v15
	v_or3_b32 v14, v14, v6, v7
.LBB588_645:
	s_or_b64 exec, exec, s[10:11]
.LBB588_646:
	s_or_b64 exec, exec, s[8:9]
.LBB588_647:
	s_or_b64 exec, exec, s[2:3]
	v_lshrrev_b16_e32 v6, 8, v8
	v_cmp_ne_u16_e32 vcc, 0, v6
	v_mov_b32_e32 v7, 0
	v_mov_b32_e32 v16, 0
	s_and_saveexec_b64 s[2:3], vcc
	s_cbranch_execz .LBB588_653
; %bb.648:
	s_movk_i32 s7, 0x80
	v_cmp_ne_u16_e32 vcc, s7, v6
	v_bfrev_b32_e32 v16, 1
	s_and_saveexec_b64 s[8:9], vcc
	s_cbranch_execz .LBB588_652
; %bb.649:
	s_movk_i32 s7, 0x7f
	v_and_b32_e32 v15, 0x7f, v6
	v_cmp_ne_u32_e32 vcc, s7, v15
	v_mov_b32_e32 v16, 0x7f800001
	s_and_saveexec_b64 s[10:11], vcc
	s_cbranch_execz .LBB588_651
; %bb.650:
	v_and_b32_e32 v18, 7, v6
	v_ffbh_u32_e32 v16, v18
	v_min_u32_e32 v20, 32, v16
	v_subrev_u32_e32 v16, 28, v20
	v_lshlrev_b64 v[16:17], v16, v[6:7]
	v_lshrrev_b32_e32 v19, 3, v15
	v_sub_u32_e32 v6, 29, v20
	v_and_b32_e32 v16, 7, v16
	v_cmp_gt_u32_e32 vcc, 8, v15
	v_cndmask_b32_e32 v6, v19, v6, vcc
	v_cndmask_b32_e32 v15, v18, v16, vcc
	v_lshlrev_b32_e32 v16, 16, v8
	v_bfrev_b32_e32 v17, 60
	v_lshlrev_b32_e32 v15, 20, v15
	v_and_b32_e32 v16, 0x80000000, v16
	v_lshl_add_u32 v6, v6, 23, v17
	v_or3_b32 v16, v16, v6, v15
.LBB588_651:
	s_or_b64 exec, exec, s[10:11]
.LBB588_652:
	s_or_b64 exec, exec, s[8:9]
.LBB588_653:
	s_or_b64 exec, exec, s[2:3]
	s_movk_i32 s2, 0xff
	v_and_b32_sdwa v15, v8, s2 dst_sel:DWORD dst_unused:UNUSED_PAD src0_sel:WORD_1 src1_sel:DWORD
	v_lshrrev_b32_e32 v6, 16, v8
	v_cmp_ne_u16_e32 vcc, 0, v15
	s_and_saveexec_b64 s[2:3], vcc
	s_cbranch_execz .LBB588_659
; %bb.654:
	s_movk_i32 s7, 0x80
	v_cmp_ne_u16_e32 vcc, s7, v15
	v_bfrev_b32_e32 v7, 1
	s_and_saveexec_b64 s[8:9], vcc
	s_cbranch_execz .LBB588_658
; %bb.655:
	v_bfe_u32 v15, v8, 16, 7
	s_movk_i32 s7, 0x7f
	v_cmp_ne_u32_e32 vcc, s7, v15
	v_mov_b32_e32 v7, 0x7f800001
	s_and_saveexec_b64 s[10:11], vcc
	s_cbranch_execz .LBB588_657
; %bb.656:
	v_and_b32_e32 v17, 7, v6
	v_ffbh_u32_e32 v7, v17
	v_min_u32_e32 v19, 32, v7
	v_subrev_u32_e32 v7, 28, v19
	v_lshlrev_b64 v[6:7], v7, v[6:7]
	v_lshrrev_b32_e32 v18, 3, v15
	v_sub_u32_e32 v7, 29, v19
	v_and_b32_e32 v6, 7, v6
	v_cmp_gt_u32_e32 vcc, 8, v15
	v_mov_b32_e32 v15, 24
	v_cndmask_b32_e32 v7, v18, v7, vcc
	v_cndmask_b32_e32 v6, v17, v6, vcc
	v_lshlrev_b32_sdwa v15, v15, v8 dst_sel:DWORD dst_unused:UNUSED_PAD src0_sel:DWORD src1_sel:WORD_1
	v_bfrev_b32_e32 v17, 60
	v_lshlrev_b32_e32 v6, 20, v6
	v_and_b32_e32 v15, 0x80000000, v15
	v_lshl_add_u32 v7, v7, 23, v17
	v_or3_b32 v7, v15, v7, v6
.LBB588_657:
	s_or_b64 exec, exec, s[10:11]
.LBB588_658:
	s_or_b64 exec, exec, s[8:9]
.LBB588_659:
	s_or_b64 exec, exec, s[2:3]
	s_mov_b32 s2, 0xffffff
	v_cmp_lt_u32_e32 vcc, s2, v8
	v_mov_b32_e32 v17, 0
	v_mov_b32_e32 v18, 0
	s_and_saveexec_b64 s[2:3], vcc
	s_cbranch_execz .LBB588_665
; %bb.660:
	v_lshrrev_b32_e32 v6, 24, v8
	s_movk_i32 s7, 0x80
	v_cmp_ne_u32_e32 vcc, s7, v6
	v_bfrev_b32_e32 v18, 1
	s_and_saveexec_b64 s[8:9], vcc
	s_cbranch_execz .LBB588_664
; %bb.661:
	v_bfe_u32 v8, v8, 24, 7
	s_movk_i32 s7, 0x7f
	v_cmp_ne_u32_e32 vcc, s7, v8
	v_mov_b32_e32 v18, 0x7f800001
	s_and_saveexec_b64 s[10:11], vcc
	s_cbranch_execz .LBB588_663
; %bb.662:
	v_and_b32_e32 v15, 7, v6
	v_ffbh_u32_e32 v18, v15
	v_min_u32_e32 v21, 32, v18
	v_subrev_u32_e32 v18, 28, v21
	v_lshlrev_b64 v[18:19], v18, v[6:7]
	v_lshrrev_b32_e32 v20, 3, v8
	v_sub_u32_e32 v19, 29, v21
	v_and_b32_e32 v18, 7, v18
	v_cmp_gt_u32_e32 vcc, 8, v8
	v_cndmask_b32_e32 v8, v20, v19, vcc
	v_cndmask_b32_e32 v15, v15, v18, vcc
	v_lshlrev_b32_e32 v6, 24, v6
	v_bfrev_b32_e32 v18, 60
	v_lshlrev_b32_e32 v15, 20, v15
	v_and_b32_e32 v6, 0x80000000, v6
	v_lshl_add_u32 v8, v8, 23, v18
	v_or3_b32 v18, v6, v8, v15
.LBB588_663:
	s_or_b64 exec, exec, s[10:11]
.LBB588_664:
	s_or_b64 exec, exec, s[8:9]
.LBB588_665:
	s_or_b64 exec, exec, s[2:3]
	v_cmp_ne_u16_sdwa s[8:9], v9, v17 src0_sel:BYTE_0 src1_sel:DWORD
	s_and_saveexec_b64 s[2:3], s[8:9]
	s_cbranch_execz .LBB588_671
; %bb.666:
	s_movk_i32 s7, 0x80
	v_cmp_ne_u16_sdwa s[10:11], v9, s7 src0_sel:BYTE_0 src1_sel:DWORD
	v_bfrev_b32_e32 v17, 1
	s_and_saveexec_b64 s[8:9], s[10:11]
	s_cbranch_execz .LBB588_670
; %bb.667:
	s_movk_i32 s7, 0x7f
	v_and_b32_e32 v6, 0x7f, v9
	v_cmp_ne_u32_e32 vcc, s7, v6
	v_mov_b32_e32 v17, 0x7f800001
	s_and_saveexec_b64 s[10:11], vcc
	s_cbranch_execz .LBB588_669
; %bb.668:
	v_and_b32_e32 v15, 7, v9
	v_ffbh_u32_e32 v19, v15
	v_min_u32_e32 v19, 32, v19
	v_mov_b32_e32 v8, v9
	v_subrev_u32_e32 v20, 28, v19
	v_lshlrev_b64 v[20:21], v20, v[8:9]
	v_lshrrev_b32_e32 v17, 3, v6
	v_sub_u32_e32 v8, 29, v19
	v_and_b32_e32 v19, 7, v20
	v_cmp_gt_u32_e32 vcc, 8, v6
	v_cndmask_b32_e32 v6, v17, v8, vcc
	v_cndmask_b32_e32 v8, v15, v19, vcc
	v_lshlrev_b32_e32 v15, 24, v9
	v_bfrev_b32_e32 v17, 60
	v_lshlrev_b32_e32 v8, 20, v8
	v_and_b32_e32 v15, 0x80000000, v15
	v_lshl_add_u32 v6, v6, 23, v17
	v_or3_b32 v17, v15, v6, v8
.LBB588_669:
	s_or_b64 exec, exec, s[10:11]
.LBB588_670:
	s_or_b64 exec, exec, s[8:9]
.LBB588_671:
	s_or_b64 exec, exec, s[2:3]
	v_lshrrev_b16_e32 v6, 8, v9
	v_cmp_ne_u16_e32 vcc, 0, v6
	v_mov_b32_e32 v8, 0
	v_mov_b32_e32 v19, 0
	s_and_saveexec_b64 s[2:3], vcc
	s_cbranch_execz .LBB588_677
; %bb.672:
	s_movk_i32 s7, 0x80
	v_cmp_ne_u16_e32 vcc, s7, v6
	v_bfrev_b32_e32 v19, 1
	s_and_saveexec_b64 s[8:9], vcc
	s_cbranch_execz .LBB588_676
; %bb.673:
	s_movk_i32 s7, 0x7f
	v_and_b32_e32 v15, 0x7f, v6
	v_cmp_ne_u32_e32 vcc, s7, v15
	v_mov_b32_e32 v19, 0x7f800001
	s_and_saveexec_b64 s[10:11], vcc
	s_cbranch_execz .LBB588_675
; %bb.674:
	v_and_b32_e32 v19, 7, v6
	v_ffbh_u32_e32 v20, v19
	v_min_u32_e32 v24, 32, v20
	v_subrev_u32_e32 v20, 28, v24
	v_lshlrev_b64 v[20:21], v20, v[6:7]
	v_lshrrev_b32_e32 v23, 3, v15
	v_sub_u32_e32 v6, 29, v24
	v_and_b32_e32 v20, 7, v20
	v_cmp_gt_u32_e32 vcc, 8, v15
	v_cndmask_b32_e32 v6, v23, v6, vcc
	v_cndmask_b32_e32 v15, v19, v20, vcc
	v_lshlrev_b32_e32 v19, 16, v9
	v_bfrev_b32_e32 v20, 60
	v_lshlrev_b32_e32 v15, 20, v15
	v_and_b32_e32 v19, 0x80000000, v19
	v_lshl_add_u32 v6, v6, 23, v20
	v_or3_b32 v19, v19, v6, v15
.LBB588_675:
	s_or_b64 exec, exec, s[10:11]
.LBB588_676:
	s_or_b64 exec, exec, s[8:9]
.LBB588_677:
	s_or_b64 exec, exec, s[2:3]
	s_movk_i32 s2, 0xff
	v_and_b32_sdwa v15, v9, s2 dst_sel:DWORD dst_unused:UNUSED_PAD src0_sel:WORD_1 src1_sel:DWORD
	v_lshrrev_b32_e32 v6, 16, v9
	v_cmp_ne_u16_e32 vcc, 0, v15
	s_and_saveexec_b64 s[2:3], vcc
	s_cbranch_execz .LBB588_683
; %bb.678:
	s_movk_i32 s7, 0x80
	v_cmp_ne_u16_e32 vcc, s7, v15
	v_bfrev_b32_e32 v8, 1
	s_and_saveexec_b64 s[8:9], vcc
	s_cbranch_execz .LBB588_682
; %bb.679:
	v_bfe_u32 v15, v9, 16, 7
	s_movk_i32 s7, 0x7f
	v_cmp_ne_u32_e32 vcc, s7, v15
	v_mov_b32_e32 v8, 0x7f800001
	s_and_saveexec_b64 s[10:11], vcc
	s_cbranch_execz .LBB588_681
; %bb.680:
	v_and_b32_e32 v8, 7, v6
	v_ffbh_u32_e32 v20, v8
	v_min_u32_e32 v24, 32, v20
	v_subrev_u32_e32 v20, 28, v24
	v_lshlrev_b64 v[20:21], v20, v[6:7]
	v_lshrrev_b32_e32 v23, 3, v15
	v_sub_u32_e32 v6, 29, v24
	v_and_b32_e32 v20, 7, v20
	v_cmp_gt_u32_e32 vcc, 8, v15
	v_mov_b32_e32 v15, 24
	v_cndmask_b32_e32 v6, v23, v6, vcc
	v_cndmask_b32_e32 v8, v8, v20, vcc
	v_lshlrev_b32_sdwa v15, v15, v9 dst_sel:DWORD dst_unused:UNUSED_PAD src0_sel:DWORD src1_sel:WORD_1
	v_bfrev_b32_e32 v20, 60
	v_lshlrev_b32_e32 v8, 20, v8
	v_and_b32_e32 v15, 0x80000000, v15
	v_lshl_add_u32 v6, v6, 23, v20
	v_or3_b32 v8, v15, v6, v8
.LBB588_681:
	s_or_b64 exec, exec, s[10:11]
.LBB588_682:
	s_or_b64 exec, exec, s[8:9]
.LBB588_683:
	s_or_b64 exec, exec, s[2:3]
	s_mov_b32 s2, 0xffffff
	v_cmp_lt_u32_e32 vcc, s2, v9
	v_mov_b32_e32 v15, 0
	v_mov_b32_e32 v20, 0
	s_and_saveexec_b64 s[2:3], vcc
	s_cbranch_execz .LBB588_689
; %bb.684:
	v_lshrrev_b32_e32 v6, 24, v9
	s_movk_i32 s7, 0x80
	v_cmp_ne_u32_e32 vcc, s7, v6
	v_bfrev_b32_e32 v20, 1
	s_and_saveexec_b64 s[8:9], vcc
	s_cbranch_execz .LBB588_688
; %bb.685:
	v_bfe_u32 v9, v9, 24, 7
	s_movk_i32 s7, 0x7f
	v_cmp_ne_u32_e32 vcc, s7, v9
	v_mov_b32_e32 v20, 0x7f800001
	s_and_saveexec_b64 s[10:11], vcc
	s_cbranch_execz .LBB588_687
; %bb.686:
	v_and_b32_e32 v23, 7, v6
	v_ffbh_u32_e32 v20, v23
	v_min_u32_e32 v25, 32, v20
	v_subrev_u32_e32 v20, 28, v25
	v_lshlrev_b64 v[20:21], v20, v[6:7]
	v_lshrrev_b32_e32 v24, 3, v9
	v_sub_u32_e32 v21, 29, v25
	v_and_b32_e32 v20, 7, v20
	v_cmp_gt_u32_e32 vcc, 8, v9
	v_cndmask_b32_e32 v9, v24, v21, vcc
	v_cndmask_b32_e32 v20, v23, v20, vcc
	v_lshlrev_b32_e32 v6, 24, v6
	v_bfrev_b32_e32 v21, 60
	v_lshlrev_b32_e32 v20, 20, v20
	v_and_b32_e32 v6, 0x80000000, v6
	v_lshl_add_u32 v9, v9, 23, v21
	v_or3_b32 v20, v6, v9, v20
.LBB588_687:
	s_or_b64 exec, exec, s[10:11]
.LBB588_688:
	s_or_b64 exec, exec, s[8:9]
.LBB588_689:
	s_or_b64 exec, exec, s[2:3]
	v_cvt_pkrtz_f16_f32 v6, v14, v16
	v_cvt_pkrtz_f16_f32 v7, v7, v18
	ds_read_b128 v[28:31], v22 offset:4112
	s_waitcnt vmcnt(0)
	v_cmp_ne_u16_sdwa s[8:9], v2, v15 src0_sel:BYTE_0 src1_sel:DWORD
	s_waitcnt lgkmcnt(0)
	v_mfma_f32_16x16x16f16 v[10:13], v[6:7], v[28:29], v[10:13]
	v_cvt_pkrtz_f16_f32 v6, v17, v19
	v_cvt_pkrtz_f16_f32 v7, v8, v20
	s_nop 1
	v_mfma_f32_16x16x16f16 v[6:9], v[6:7], v[30:31], v[10:13]
	s_and_saveexec_b64 s[2:3], s[8:9]
	s_cbranch_execz .LBB588_695
; %bb.690:
	s_movk_i32 s7, 0x80
	v_cmp_ne_u16_sdwa s[10:11], v2, s7 src0_sel:BYTE_0 src1_sel:DWORD
	v_bfrev_b32_e32 v15, 1
	s_and_saveexec_b64 s[8:9], s[10:11]
	s_cbranch_execz .LBB588_694
; %bb.691:
	s_movk_i32 s7, 0x7f
	v_and_b32_e32 v10, 0x7f, v2
	v_cmp_ne_u32_e32 vcc, s7, v10
	v_mov_b32_e32 v15, 0x7f800001
	s_and_saveexec_b64 s[10:11], vcc
	s_cbranch_execz .LBB588_693
; %bb.692:
	v_and_b32_e32 v11, 7, v2
	v_ffbh_u32_e32 v12, v11
	v_min_u32_e32 v15, 32, v12
	v_subrev_u32_e32 v12, 28, v15
	v_lshlrev_b64 v[12:13], v12, v[2:3]
	v_lshrrev_b32_e32 v14, 3, v10
	v_sub_u32_e32 v13, 29, v15
	v_and_b32_e32 v12, 7, v12
	v_cmp_gt_u32_e32 vcc, 8, v10
	v_cndmask_b32_e32 v10, v14, v13, vcc
	v_cndmask_b32_e32 v11, v11, v12, vcc
	v_lshlrev_b32_e32 v12, 24, v2
	v_bfrev_b32_e32 v13, 60
	v_lshlrev_b32_e32 v11, 20, v11
	v_and_b32_e32 v12, 0x80000000, v12
	v_lshl_add_u32 v10, v10, 23, v13
	v_or3_b32 v15, v12, v10, v11
.LBB588_693:
	s_or_b64 exec, exec, s[10:11]
.LBB588_694:
	s_or_b64 exec, exec, s[8:9]
.LBB588_695:
	s_or_b64 exec, exec, s[2:3]
	s_nop 3
	v_lshrrev_b16_e32 v10, 8, v2
	v_cmp_ne_u16_e32 vcc, 0, v10
	v_mov_b32_e32 v11, 0
	v_mov_b32_e32 v12, 0
	s_and_saveexec_b64 s[2:3], vcc
	s_cbranch_execz .LBB588_701
; %bb.696:
	s_movk_i32 s7, 0x80
	v_cmp_ne_u16_e32 vcc, s7, v10
	v_bfrev_b32_e32 v12, 1
	s_and_saveexec_b64 s[8:9], vcc
	s_cbranch_execz .LBB588_700
; %bb.697:
	s_movk_i32 s7, 0x7f
	v_and_b32_e32 v13, 0x7f, v10
	v_cmp_ne_u32_e32 vcc, s7, v13
	v_mov_b32_e32 v12, 0x7f800001
	s_and_saveexec_b64 s[10:11], vcc
	s_cbranch_execz .LBB588_699
; %bb.698:
	v_and_b32_e32 v12, 7, v10
	v_ffbh_u32_e32 v16, v12
	v_min_u32_e32 v18, 32, v16
	v_subrev_u32_e32 v16, 28, v18
	v_lshlrev_b64 v[16:17], v16, v[10:11]
	v_lshrrev_b32_e32 v14, 3, v13
	v_sub_u32_e32 v10, 29, v18
	v_and_b32_e32 v16, 7, v16
	v_cmp_gt_u32_e32 vcc, 8, v13
	v_cndmask_b32_e32 v10, v14, v10, vcc
	v_cndmask_b32_e32 v12, v12, v16, vcc
	v_lshlrev_b32_e32 v13, 16, v2
	v_bfrev_b32_e32 v14, 60
	v_lshlrev_b32_e32 v12, 20, v12
	v_and_b32_e32 v13, 0x80000000, v13
	v_lshl_add_u32 v10, v10, 23, v14
	v_or3_b32 v12, v13, v10, v12
.LBB588_699:
	s_or_b64 exec, exec, s[10:11]
.LBB588_700:
	s_or_b64 exec, exec, s[8:9]
.LBB588_701:
	s_or_b64 exec, exec, s[2:3]
	s_movk_i32 s2, 0xff
	v_and_b32_sdwa v13, v2, s2 dst_sel:DWORD dst_unused:UNUSED_PAD src0_sel:WORD_1 src1_sel:DWORD
	v_lshrrev_b32_e32 v10, 16, v2
	v_cmp_ne_u16_e32 vcc, 0, v13
	s_and_saveexec_b64 s[2:3], vcc
	s_cbranch_execz .LBB588_707
; %bb.702:
	s_movk_i32 s7, 0x80
	v_cmp_ne_u16_e32 vcc, s7, v13
	v_bfrev_b32_e32 v11, 1
	s_and_saveexec_b64 s[8:9], vcc
	s_cbranch_execz .LBB588_706
; %bb.703:
	v_bfe_u32 v13, v2, 16, 7
	s_movk_i32 s7, 0x7f
	v_cmp_ne_u32_e32 vcc, s7, v13
	v_mov_b32_e32 v11, 0x7f800001
	s_and_saveexec_b64 s[10:11], vcc
	s_cbranch_execz .LBB588_705
; %bb.704:
	v_and_b32_e32 v14, 7, v10
	v_ffbh_u32_e32 v11, v14
	v_min_u32_e32 v17, 32, v11
	v_subrev_u32_e32 v11, 28, v17
	v_lshlrev_b64 v[10:11], v11, v[10:11]
	v_lshrrev_b32_e32 v16, 3, v13
	v_sub_u32_e32 v11, 29, v17
	v_and_b32_e32 v10, 7, v10
	v_cmp_gt_u32_e32 vcc, 8, v13
	v_mov_b32_e32 v13, 24
	v_cndmask_b32_e32 v11, v16, v11, vcc
	v_cndmask_b32_e32 v10, v14, v10, vcc
	v_lshlrev_b32_sdwa v13, v13, v2 dst_sel:DWORD dst_unused:UNUSED_PAD src0_sel:DWORD src1_sel:WORD_1
	v_bfrev_b32_e32 v14, 60
	v_lshlrev_b32_e32 v10, 20, v10
	v_and_b32_e32 v13, 0x80000000, v13
	v_lshl_add_u32 v11, v11, 23, v14
	v_or3_b32 v11, v13, v11, v10
.LBB588_705:
	s_or_b64 exec, exec, s[10:11]
.LBB588_706:
	s_or_b64 exec, exec, s[8:9]
.LBB588_707:
	s_or_b64 exec, exec, s[2:3]
	s_mov_b32 s2, 0xffffff
	v_cmp_lt_u32_e32 vcc, s2, v2
	v_mov_b32_e32 v13, 0
	v_mov_b32_e32 v14, 0
	s_and_saveexec_b64 s[2:3], vcc
	s_cbranch_execz .LBB588_713
; %bb.708:
	v_lshrrev_b32_e32 v10, 24, v2
	s_movk_i32 s7, 0x80
	v_cmp_ne_u32_e32 vcc, s7, v10
	v_bfrev_b32_e32 v14, 1
	s_and_saveexec_b64 s[8:9], vcc
	s_cbranch_execz .LBB588_712
; %bb.709:
	v_bfe_u32 v2, v2, 24, 7
	s_movk_i32 s7, 0x7f
	v_cmp_ne_u32_e32 vcc, s7, v2
	v_mov_b32_e32 v14, 0x7f800001
	s_and_saveexec_b64 s[10:11], vcc
	s_cbranch_execz .LBB588_711
; %bb.710:
	v_and_b32_e32 v14, 7, v10
	v_ffbh_u32_e32 v16, v14
	v_min_u32_e32 v19, 32, v16
	v_subrev_u32_e32 v16, 28, v19
	v_lshlrev_b64 v[16:17], v16, v[10:11]
	v_lshrrev_b32_e32 v18, 3, v2
	v_sub_u32_e32 v17, 29, v19
	v_and_b32_e32 v16, 7, v16
	v_cmp_gt_u32_e32 vcc, 8, v2
	v_cndmask_b32_e32 v2, v18, v17, vcc
	v_cndmask_b32_e32 v14, v14, v16, vcc
	v_lshlrev_b32_e32 v10, 24, v10
	v_bfrev_b32_e32 v16, 60
	v_lshlrev_b32_e32 v14, 20, v14
	v_and_b32_e32 v10, 0x80000000, v10
	v_lshl_add_u32 v2, v2, 23, v16
	v_or3_b32 v14, v10, v2, v14
.LBB588_711:
	s_or_b64 exec, exec, s[10:11]
.LBB588_712:
	s_or_b64 exec, exec, s[8:9]
.LBB588_713:
	s_or_b64 exec, exec, s[2:3]
	v_cmp_ne_u16_sdwa s[8:9], v3, v13 src0_sel:BYTE_0 src1_sel:DWORD
	s_and_saveexec_b64 s[2:3], s[8:9]
	s_cbranch_execz .LBB588_719
; %bb.714:
	s_movk_i32 s7, 0x80
	v_cmp_ne_u16_sdwa s[10:11], v3, s7 src0_sel:BYTE_0 src1_sel:DWORD
	v_bfrev_b32_e32 v13, 1
	s_and_saveexec_b64 s[8:9], s[10:11]
	s_cbranch_execz .LBB588_718
; %bb.715:
	s_movk_i32 s7, 0x7f
	v_and_b32_e32 v2, 0x7f, v3
	v_cmp_ne_u32_e32 vcc, s7, v2
	v_mov_b32_e32 v13, 0x7f800001
	s_and_saveexec_b64 s[10:11], vcc
	s_cbranch_execz .LBB588_717
; %bb.716:
	v_and_b32_e32 v13, 7, v3
	v_ffbh_u32_e32 v16, v13
	v_min_u32_e32 v19, 32, v16
	v_mov_b32_e32 v10, v3
	v_subrev_u32_e32 v16, 28, v19
	v_lshlrev_b64 v[16:17], v16, v[10:11]
	v_lshrrev_b32_e32 v18, 3, v2
	v_sub_u32_e32 v10, 29, v19
	v_and_b32_e32 v16, 7, v16
	v_cmp_gt_u32_e32 vcc, 8, v2
	v_cndmask_b32_e32 v2, v18, v10, vcc
	v_cndmask_b32_e32 v10, v13, v16, vcc
	v_lshlrev_b32_e32 v13, 24, v3
	v_bfrev_b32_e32 v16, 60
	v_lshlrev_b32_e32 v10, 20, v10
	v_and_b32_e32 v13, 0x80000000, v13
	v_lshl_add_u32 v2, v2, 23, v16
	v_or3_b32 v13, v13, v2, v10
.LBB588_717:
	s_or_b64 exec, exec, s[10:11]
.LBB588_718:
	s_or_b64 exec, exec, s[8:9]
.LBB588_719:
	s_or_b64 exec, exec, s[2:3]
	v_lshrrev_b16_e32 v2, 8, v3
	v_cmp_ne_u16_e32 vcc, 0, v2
	v_mov_b32_e32 v16, 0
	v_mov_b32_e32 v17, 0
	s_and_saveexec_b64 s[2:3], vcc
	s_cbranch_execz .LBB588_725
; %bb.720:
	s_movk_i32 s7, 0x80
	v_cmp_ne_u16_e32 vcc, s7, v2
	v_bfrev_b32_e32 v17, 1
	s_and_saveexec_b64 s[8:9], vcc
	s_cbranch_execz .LBB588_724
; %bb.721:
	s_movk_i32 s7, 0x7f
	v_and_b32_e32 v10, 0x7f, v2
	v_cmp_ne_u32_e32 vcc, s7, v10
	v_mov_b32_e32 v17, 0x7f800001
	s_and_saveexec_b64 s[10:11], vcc
	s_cbranch_execz .LBB588_723
; %bb.722:
	v_and_b32_e32 v17, 7, v2
	v_ffbh_u32_e32 v18, v17
	v_min_u32_e32 v21, 32, v18
	v_subrev_u32_e32 v18, 28, v21
	v_lshlrev_b64 v[18:19], v18, v[2:3]
	v_lshrrev_b32_e32 v20, 3, v10
	v_sub_u32_e32 v2, 29, v21
	v_and_b32_e32 v18, 7, v18
	v_cmp_gt_u32_e32 vcc, 8, v10
	v_cndmask_b32_e32 v2, v20, v2, vcc
	v_cndmask_b32_e32 v10, v17, v18, vcc
	v_lshlrev_b32_e32 v17, 16, v3
	v_bfrev_b32_e32 v18, 60
	v_lshlrev_b32_e32 v10, 20, v10
	v_and_b32_e32 v17, 0x80000000, v17
	v_lshl_add_u32 v2, v2, 23, v18
	v_or3_b32 v17, v17, v2, v10
.LBB588_723:
	s_or_b64 exec, exec, s[10:11]
.LBB588_724:
	s_or_b64 exec, exec, s[8:9]
.LBB588_725:
	s_or_b64 exec, exec, s[2:3]
	s_movk_i32 s2, 0xff
	v_and_b32_sdwa v10, v3, s2 dst_sel:DWORD dst_unused:UNUSED_PAD src0_sel:WORD_1 src1_sel:DWORD
	v_lshrrev_b32_e32 v2, 16, v3
	v_cmp_ne_u16_e32 vcc, 0, v10
	s_and_saveexec_b64 s[2:3], vcc
	s_cbranch_execz .LBB588_731
; %bb.726:
	s_movk_i32 s7, 0x80
	v_cmp_ne_u16_e32 vcc, s7, v10
	v_bfrev_b32_e32 v16, 1
	s_and_saveexec_b64 s[8:9], vcc
	s_cbranch_execz .LBB588_730
; %bb.727:
	v_bfe_u32 v10, v3, 16, 7
	s_movk_i32 s7, 0x7f
	v_cmp_ne_u32_e32 vcc, s7, v10
	v_mov_b32_e32 v16, 0x7f800001
	s_and_saveexec_b64 s[10:11], vcc
	s_cbranch_execz .LBB588_729
; %bb.728:
	v_and_b32_e32 v16, 7, v2
	v_ffbh_u32_e32 v18, v16
	v_min_u32_e32 v21, 32, v18
	v_subrev_u32_e32 v18, 28, v21
	v_lshlrev_b64 v[18:19], v18, v[2:3]
	v_and_b32_e32 v18, 7, v18
	v_cmp_gt_u32_e32 vcc, 8, v10
	v_lshrrev_b32_e32 v20, 3, v10
	v_sub_u32_e32 v2, 29, v21
	v_cndmask_b32_e32 v10, v16, v18, vcc
	v_mov_b32_e32 v16, 24
	v_cndmask_b32_e32 v2, v20, v2, vcc
	v_lshlrev_b32_sdwa v16, v16, v3 dst_sel:DWORD dst_unused:UNUSED_PAD src0_sel:DWORD src1_sel:WORD_1
	v_bfrev_b32_e32 v18, 60
	v_lshlrev_b32_e32 v10, 20, v10
	v_and_b32_e32 v16, 0x80000000, v16
	v_lshl_add_u32 v2, v2, 23, v18
	v_or3_b32 v16, v16, v2, v10
.LBB588_729:
	s_or_b64 exec, exec, s[10:11]
.LBB588_730:
	s_or_b64 exec, exec, s[8:9]
.LBB588_731:
	s_or_b64 exec, exec, s[2:3]
	s_mov_b32 s2, 0xffffff
	v_cmp_lt_u32_e32 vcc, s2, v3
	v_mov_b32_e32 v10, 0
	v_mov_b32_e32 v18, 0
	s_and_saveexec_b64 s[2:3], vcc
	s_cbranch_execz .LBB588_737
; %bb.732:
	v_lshrrev_b32_e32 v2, 24, v3
	s_movk_i32 s7, 0x80
	v_cmp_ne_u32_e32 vcc, s7, v2
	v_bfrev_b32_e32 v18, 1
	s_and_saveexec_b64 s[8:9], vcc
	s_cbranch_execz .LBB588_736
; %bb.733:
	v_bfe_u32 v3, v3, 24, 7
	s_movk_i32 s7, 0x7f
	v_cmp_ne_u32_e32 vcc, s7, v3
	v_mov_b32_e32 v18, 0x7f800001
	s_and_saveexec_b64 s[10:11], vcc
	s_cbranch_execz .LBB588_735
; %bb.734:
	v_and_b32_e32 v20, 7, v2
	v_ffbh_u32_e32 v18, v20
	v_min_u32_e32 v23, 32, v18
	v_subrev_u32_e32 v18, 28, v23
	v_lshlrev_b64 v[18:19], v18, v[2:3]
	v_lshrrev_b32_e32 v21, 3, v3
	v_sub_u32_e32 v19, 29, v23
	v_and_b32_e32 v18, 7, v18
	v_cmp_gt_u32_e32 vcc, 8, v3
	v_cndmask_b32_e32 v3, v21, v19, vcc
	v_cndmask_b32_e32 v18, v20, v18, vcc
	v_lshlrev_b32_e32 v2, 24, v2
	v_bfrev_b32_e32 v19, 60
	v_lshlrev_b32_e32 v18, 20, v18
	v_and_b32_e32 v2, 0x80000000, v2
	v_lshl_add_u32 v3, v3, 23, v19
	v_or3_b32 v18, v2, v3, v18
.LBB588_735:
	s_or_b64 exec, exec, s[10:11]
.LBB588_736:
	s_or_b64 exec, exec, s[8:9]
.LBB588_737:
	s_or_b64 exec, exec, s[2:3]
	v_cvt_pkrtz_f16_f32 v2, v15, v12
	v_cvt_pkrtz_f16_f32 v3, v11, v14
	ds_read_b128 v[28:31], v22 offset:6144
	v_cmp_ne_u16_sdwa s[8:9], v4, v10 src0_sel:BYTE_0 src1_sel:DWORD
	s_waitcnt lgkmcnt(0)
	v_mfma_f32_16x16x16f16 v[6:9], v[2:3], v[28:29], v[6:9]
	v_cvt_pkrtz_f16_f32 v2, v13, v17
	v_cvt_pkrtz_f16_f32 v3, v16, v18
	s_nop 1
	v_mfma_f32_16x16x16f16 v[6:9], v[2:3], v[30:31], v[6:9]
	s_and_saveexec_b64 s[2:3], s[8:9]
	s_cbranch_execz .LBB588_743
; %bb.738:
	s_movk_i32 s7, 0x80
	v_cmp_ne_u16_sdwa s[10:11], v4, s7 src0_sel:BYTE_0 src1_sel:DWORD
	v_bfrev_b32_e32 v10, 1
	s_and_saveexec_b64 s[8:9], s[10:11]
	s_cbranch_execz .LBB588_742
; %bb.739:
	s_movk_i32 s7, 0x7f
	v_and_b32_e32 v2, 0x7f, v4
	v_cmp_ne_u32_e32 vcc, s7, v2
	v_mov_b32_e32 v10, 0x7f800001
	s_and_saveexec_b64 s[10:11], vcc
	s_cbranch_execz .LBB588_741
; %bb.740:
	v_and_b32_e32 v3, 7, v4
	v_ffbh_u32_e32 v10, v3
	v_min_u32_e32 v13, 32, v10
	v_subrev_u32_e32 v10, 28, v13
	v_lshlrev_b64 v[10:11], v10, v[4:5]
	v_lshrrev_b32_e32 v12, 3, v2
	v_sub_u32_e32 v11, 29, v13
	v_and_b32_e32 v10, 7, v10
	v_cmp_gt_u32_e32 vcc, 8, v2
	v_cndmask_b32_e32 v2, v12, v11, vcc
	v_cndmask_b32_e32 v3, v3, v10, vcc
	v_lshlrev_b32_e32 v10, 24, v4
	v_bfrev_b32_e32 v11, 60
	v_lshlrev_b32_e32 v3, 20, v3
	v_and_b32_e32 v10, 0x80000000, v10
	v_lshl_add_u32 v2, v2, 23, v11
	v_or3_b32 v10, v10, v2, v3
.LBB588_741:
	s_or_b64 exec, exec, s[10:11]
.LBB588_742:
	s_or_b64 exec, exec, s[8:9]
.LBB588_743:
	s_or_b64 exec, exec, s[2:3]
	v_lshrrev_b16_e32 v2, 8, v4
	v_cmp_ne_u16_e32 vcc, 0, v2
	v_mov_b32_e32 v3, 0
	v_mov_b32_e32 v11, 0
	s_and_saveexec_b64 s[2:3], vcc
	s_cbranch_execz .LBB588_749
; %bb.744:
	s_movk_i32 s7, 0x80
	v_cmp_ne_u16_e32 vcc, s7, v2
	v_bfrev_b32_e32 v11, 1
	s_and_saveexec_b64 s[8:9], vcc
	s_cbranch_execz .LBB588_748
; %bb.745:
	s_movk_i32 s7, 0x7f
	v_and_b32_e32 v12, 0x7f, v2
	v_cmp_ne_u32_e32 vcc, s7, v12
	v_mov_b32_e32 v11, 0x7f800001
	s_and_saveexec_b64 s[10:11], vcc
	s_cbranch_execz .LBB588_747
; %bb.746:
	v_and_b32_e32 v11, 7, v2
	v_ffbh_u32_e32 v14, v11
	v_min_u32_e32 v16, 32, v14
	v_subrev_u32_e32 v14, 28, v16
	v_lshlrev_b64 v[14:15], v14, v[2:3]
	v_lshrrev_b32_e32 v13, 3, v12
	v_sub_u32_e32 v2, 29, v16
	v_and_b32_e32 v14, 7, v14
	v_cmp_gt_u32_e32 vcc, 8, v12
	v_cndmask_b32_e32 v2, v13, v2, vcc
	v_cndmask_b32_e32 v11, v11, v14, vcc
	v_lshlrev_b32_e32 v12, 16, v4
	v_bfrev_b32_e32 v13, 60
	v_lshlrev_b32_e32 v11, 20, v11
	v_and_b32_e32 v12, 0x80000000, v12
	v_lshl_add_u32 v2, v2, 23, v13
	v_or3_b32 v11, v12, v2, v11
.LBB588_747:
	s_or_b64 exec, exec, s[10:11]
.LBB588_748:
	s_or_b64 exec, exec, s[8:9]
.LBB588_749:
	s_or_b64 exec, exec, s[2:3]
	s_movk_i32 s2, 0xff
	v_and_b32_sdwa v12, v4, s2 dst_sel:DWORD dst_unused:UNUSED_PAD src0_sel:WORD_1 src1_sel:DWORD
	v_lshrrev_b32_e32 v2, 16, v4
	v_cmp_ne_u16_e32 vcc, 0, v12
	s_and_saveexec_b64 s[2:3], vcc
	s_cbranch_execz .LBB588_755
; %bb.750:
	s_movk_i32 s7, 0x80
	v_cmp_ne_u16_e32 vcc, s7, v12
	v_bfrev_b32_e32 v3, 1
	s_and_saveexec_b64 s[8:9], vcc
	s_cbranch_execz .LBB588_754
; %bb.751:
	v_bfe_u32 v12, v4, 16, 7
	s_movk_i32 s7, 0x7f
	v_cmp_ne_u32_e32 vcc, s7, v12
	v_mov_b32_e32 v3, 0x7f800001
	s_and_saveexec_b64 s[10:11], vcc
	s_cbranch_execz .LBB588_753
; %bb.752:
	v_and_b32_e32 v13, 7, v2
	v_ffbh_u32_e32 v3, v13
	v_min_u32_e32 v15, 32, v3
	v_subrev_u32_e32 v3, 28, v15
	v_lshlrev_b64 v[2:3], v3, v[2:3]
	v_lshrrev_b32_e32 v14, 3, v12
	v_sub_u32_e32 v3, 29, v15
	v_and_b32_e32 v2, 7, v2
	v_cmp_gt_u32_e32 vcc, 8, v12
	v_mov_b32_e32 v12, 24
	v_cndmask_b32_e32 v3, v14, v3, vcc
	v_cndmask_b32_e32 v2, v13, v2, vcc
	v_lshlrev_b32_sdwa v12, v12, v4 dst_sel:DWORD dst_unused:UNUSED_PAD src0_sel:DWORD src1_sel:WORD_1
	v_bfrev_b32_e32 v13, 60
	v_lshlrev_b32_e32 v2, 20, v2
	v_and_b32_e32 v12, 0x80000000, v12
	v_lshl_add_u32 v3, v3, 23, v13
	v_or3_b32 v3, v12, v3, v2
.LBB588_753:
	s_or_b64 exec, exec, s[10:11]
.LBB588_754:
	s_or_b64 exec, exec, s[8:9]
.LBB588_755:
	s_or_b64 exec, exec, s[2:3]
	s_mov_b32 s2, 0xffffff
	v_cmp_lt_u32_e32 vcc, s2, v4
	v_mov_b32_e32 v12, 0
	v_mov_b32_e32 v13, 0
	s_and_saveexec_b64 s[2:3], vcc
	s_cbranch_execz .LBB588_761
; %bb.756:
	v_lshrrev_b32_e32 v2, 24, v4
	s_movk_i32 s7, 0x80
	v_cmp_ne_u32_e32 vcc, s7, v2
	v_bfrev_b32_e32 v13, 1
	s_and_saveexec_b64 s[8:9], vcc
	s_cbranch_execz .LBB588_760
; %bb.757:
	v_bfe_u32 v4, v4, 24, 7
	s_movk_i32 s7, 0x7f
	v_cmp_ne_u32_e32 vcc, s7, v4
	v_mov_b32_e32 v13, 0x7f800001
	s_and_saveexec_b64 s[10:11], vcc
	s_cbranch_execz .LBB588_759
; %bb.758:
	v_and_b32_e32 v13, 7, v2
	v_ffbh_u32_e32 v14, v13
	v_min_u32_e32 v17, 32, v14
	v_subrev_u32_e32 v14, 28, v17
	v_lshlrev_b64 v[14:15], v14, v[2:3]
	v_lshrrev_b32_e32 v16, 3, v4
	v_sub_u32_e32 v15, 29, v17
	v_and_b32_e32 v14, 7, v14
	v_cmp_gt_u32_e32 vcc, 8, v4
	v_cndmask_b32_e32 v4, v16, v15, vcc
	v_cndmask_b32_e32 v13, v13, v14, vcc
	v_lshlrev_b32_e32 v2, 24, v2
	v_bfrev_b32_e32 v14, 60
	v_lshlrev_b32_e32 v13, 20, v13
	v_and_b32_e32 v2, 0x80000000, v2
	v_lshl_add_u32 v4, v4, 23, v14
	v_or3_b32 v13, v2, v4, v13
.LBB588_759:
	s_or_b64 exec, exec, s[10:11]
.LBB588_760:
	s_or_b64 exec, exec, s[8:9]
.LBB588_761:
	s_or_b64 exec, exec, s[2:3]
	v_cmp_ne_u16_sdwa s[8:9], v5, v12 src0_sel:BYTE_0 src1_sel:DWORD
	s_and_saveexec_b64 s[2:3], s[8:9]
	s_cbranch_execz .LBB588_767
; %bb.762:
	s_movk_i32 s7, 0x80
	v_cmp_ne_u16_sdwa s[10:11], v5, s7 src0_sel:BYTE_0 src1_sel:DWORD
	v_bfrev_b32_e32 v12, 1
	s_and_saveexec_b64 s[8:9], s[10:11]
	s_cbranch_execz .LBB588_766
; %bb.763:
	s_movk_i32 s7, 0x7f
	v_and_b32_e32 v2, 0x7f, v5
	v_cmp_ne_u32_e32 vcc, s7, v2
	v_mov_b32_e32 v12, 0x7f800001
	s_and_saveexec_b64 s[10:11], vcc
	s_cbranch_execz .LBB588_765
; %bb.764:
	v_and_b32_e32 v12, 7, v5
	v_ffbh_u32_e32 v14, v12
	v_min_u32_e32 v17, 32, v14
	v_mov_b32_e32 v4, v5
	v_subrev_u32_e32 v14, 28, v17
	v_lshlrev_b64 v[14:15], v14, v[4:5]
	v_lshrrev_b32_e32 v16, 3, v2
	v_sub_u32_e32 v4, 29, v17
	v_and_b32_e32 v14, 7, v14
	v_cmp_gt_u32_e32 vcc, 8, v2
	v_cndmask_b32_e32 v2, v16, v4, vcc
	v_cndmask_b32_e32 v4, v12, v14, vcc
	v_lshlrev_b32_e32 v12, 24, v5
	v_bfrev_b32_e32 v14, 60
	v_lshlrev_b32_e32 v4, 20, v4
	v_and_b32_e32 v12, 0x80000000, v12
	v_lshl_add_u32 v2, v2, 23, v14
	v_or3_b32 v12, v12, v2, v4
.LBB588_765:
	s_or_b64 exec, exec, s[10:11]
.LBB588_766:
	s_or_b64 exec, exec, s[8:9]
.LBB588_767:
	s_or_b64 exec, exec, s[2:3]
	v_lshrrev_b16_e32 v2, 8, v5
	v_cmp_ne_u16_e32 vcc, 0, v2
	v_mov_b32_e32 v4, 0
	v_mov_b32_e32 v14, 0
	s_and_saveexec_b64 s[2:3], vcc
	s_cbranch_execz .LBB588_773
; %bb.768:
	s_movk_i32 s7, 0x80
	v_cmp_ne_u16_e32 vcc, s7, v2
	v_bfrev_b32_e32 v14, 1
	s_and_saveexec_b64 s[8:9], vcc
	s_cbranch_execz .LBB588_772
; %bb.769:
	s_movk_i32 s7, 0x7f
	v_and_b32_e32 v15, 0x7f, v2
	v_cmp_ne_u32_e32 vcc, s7, v15
	v_mov_b32_e32 v14, 0x7f800001
	s_and_saveexec_b64 s[10:11], vcc
	s_cbranch_execz .LBB588_771
; %bb.770:
	v_and_b32_e32 v14, 7, v2
	v_ffbh_u32_e32 v16, v14
	v_min_u32_e32 v19, 32, v16
	v_subrev_u32_e32 v16, 28, v19
	v_lshlrev_b64 v[16:17], v16, v[2:3]
	v_lshrrev_b32_e32 v18, 3, v15
	v_sub_u32_e32 v2, 29, v19
	v_and_b32_e32 v16, 7, v16
	v_cmp_gt_u32_e32 vcc, 8, v15
	v_cndmask_b32_e32 v2, v18, v2, vcc
	v_cndmask_b32_e32 v14, v14, v16, vcc
	v_lshlrev_b32_e32 v15, 16, v5
	v_bfrev_b32_e32 v16, 60
	v_lshlrev_b32_e32 v14, 20, v14
	v_and_b32_e32 v15, 0x80000000, v15
	v_lshl_add_u32 v2, v2, 23, v16
	v_or3_b32 v14, v15, v2, v14
.LBB588_771:
	s_or_b64 exec, exec, s[10:11]
.LBB588_772:
	s_or_b64 exec, exec, s[8:9]
.LBB588_773:
	s_or_b64 exec, exec, s[2:3]
	s_movk_i32 s2, 0xff
	v_and_b32_sdwa v15, v5, s2 dst_sel:DWORD dst_unused:UNUSED_PAD src0_sel:WORD_1 src1_sel:DWORD
	v_lshrrev_b32_e32 v2, 16, v5
	v_cmp_ne_u16_e32 vcc, 0, v15
	s_and_saveexec_b64 s[2:3], vcc
	s_cbranch_execz .LBB588_779
; %bb.774:
	s_movk_i32 s7, 0x80
	v_cmp_ne_u16_e32 vcc, s7, v15
	v_bfrev_b32_e32 v4, 1
	s_and_saveexec_b64 s[8:9], vcc
	s_cbranch_execz .LBB588_778
; %bb.775:
	v_bfe_u32 v15, v5, 16, 7
	s_movk_i32 s7, 0x7f
	v_cmp_ne_u32_e32 vcc, s7, v15
	v_mov_b32_e32 v4, 0x7f800001
	s_and_saveexec_b64 s[10:11], vcc
	s_cbranch_execz .LBB588_777
; %bb.776:
	v_and_b32_e32 v4, 7, v2
	v_ffbh_u32_e32 v16, v4
	v_min_u32_e32 v19, 32, v16
	v_subrev_u32_e32 v16, 28, v19
	v_lshlrev_b64 v[16:17], v16, v[2:3]
	v_lshrrev_b32_e32 v18, 3, v15
	v_sub_u32_e32 v2, 29, v19
	v_and_b32_e32 v16, 7, v16
	v_cmp_gt_u32_e32 vcc, 8, v15
	v_mov_b32_e32 v15, 24
	v_cndmask_b32_e32 v2, v18, v2, vcc
	v_cndmask_b32_e32 v4, v4, v16, vcc
	v_lshlrev_b32_sdwa v15, v15, v5 dst_sel:DWORD dst_unused:UNUSED_PAD src0_sel:DWORD src1_sel:WORD_1
	v_bfrev_b32_e32 v16, 60
	v_lshlrev_b32_e32 v4, 20, v4
	v_and_b32_e32 v15, 0x80000000, v15
	v_lshl_add_u32 v2, v2, 23, v16
	v_or3_b32 v4, v15, v2, v4
.LBB588_777:
	s_or_b64 exec, exec, s[10:11]
.LBB588_778:
	s_or_b64 exec, exec, s[8:9]
.LBB588_779:
	s_or_b64 exec, exec, s[2:3]
	s_mov_b32 s2, 0xffffff
	v_cmp_lt_u32_e32 vcc, s2, v5
	v_mov_b32_e32 v15, 0
	s_and_saveexec_b64 s[2:3], vcc
	s_cbranch_execz .LBB588_785
; %bb.780:
	v_lshrrev_b32_e32 v2, 24, v5
	s_movk_i32 s7, 0x80
	v_cmp_ne_u32_e32 vcc, s7, v2
	v_bfrev_b32_e32 v15, 1
	s_and_saveexec_b64 s[8:9], vcc
	s_cbranch_execz .LBB588_784
; %bb.781:
	v_bfe_u32 v5, v5, 24, 7
	s_movk_i32 s7, 0x7f
	v_cmp_ne_u32_e32 vcc, s7, v5
	v_mov_b32_e32 v15, 0x7f800001
	s_and_saveexec_b64 s[10:11], vcc
	s_cbranch_execz .LBB588_783
; %bb.782:
	v_and_b32_e32 v15, 7, v2
	v_ffbh_u32_e32 v16, v15
	v_min_u32_e32 v19, 32, v16
	v_subrev_u32_e32 v16, 28, v19
	v_lshlrev_b64 v[16:17], v16, v[2:3]
	v_lshrrev_b32_e32 v18, 3, v5
	v_sub_u32_e32 v17, 29, v19
	v_and_b32_e32 v16, 7, v16
	v_cmp_gt_u32_e32 vcc, 8, v5
	v_cndmask_b32_e32 v5, v18, v17, vcc
	v_cndmask_b32_e32 v15, v15, v16, vcc
	v_lshlrev_b32_e32 v2, 24, v2
	v_bfrev_b32_e32 v16, 60
	v_lshlrev_b32_e32 v15, 20, v15
	v_and_b32_e32 v2, 0x80000000, v2
	v_lshl_add_u32 v5, v5, 23, v16
	v_or3_b32 v15, v2, v5, v15
.LBB588_783:
	s_or_b64 exec, exec, s[10:11]
.LBB588_784:
	s_or_b64 exec, exec, s[8:9]
.LBB588_785:
	s_or_b64 exec, exec, s[2:3]
	v_cvt_pkrtz_f16_f32 v2, v10, v11
	v_cvt_pkrtz_f16_f32 v3, v3, v13
	ds_read_b128 v[16:19], v22 offset:6160
	s_load_dword s2, s[42:43], 0x0
	v_cmp_gt_u32_e32 vcc, 64, v0
	s_waitcnt lgkmcnt(0)
	v_mfma_f32_16x16x16f16 v[6:9], v[2:3], v[16:17], v[6:9]
	v_cvt_pkrtz_f16_f32 v2, v12, v14
	v_cvt_pkrtz_f16_f32 v3, v4, v15
	s_and_b64 s[0:1], vcc, s[0:1]
	s_barrier
	v_mfma_f32_16x16x16f16 v[2:5], v[2:3], v[18:19], v[6:9]
	s_nop 7
	s_nop 2
	v_pk_mul_f32 v[4:5], v[4:5], s[2:3] op_sel_hi:[1,0]
	v_pk_mul_f32 v[2:3], v[2:3], s[2:3] op_sel_hi:[1,0]
	v_cvt_f16_f32_e32 v2, v2
	v_cvt_f16_f32_e32 v3, v3
	;; [unrolled: 1-line block ×4, first 2 shown]
	v_pack_b32_f16 v2, v2, v3
	v_pack_b32_f16 v3, v4, v5
	ds_write_b64 v26, v[2:3]
	s_waitcnt lgkmcnt(0)
	s_barrier
	s_and_saveexec_b64 s[2:3], s[0:1]
	s_cbranch_execz .LBB588_788
; %bb.786:
	s_load_dwordx2 s[2:3], s[4:5], 0x68
	s_lshl_b32 s0, s44, 6
	s_mul_i32 s1, s12, s6
	s_mul_hi_u32 s7, s1, s0
	s_mul_i32 s6, s1, s0
	s_lshl_b64 s[6:7], s[6:7], 1
	s_waitcnt lgkmcnt(0)
	s_add_u32 s1, s2, s6
	v_lshlrev_b32_e32 v0, 10, v0
	s_mov_b32 s5, 0
	s_addc_u32 s6, s3, s7
	s_lshl_b32 s4, s24, 6
	v_and_b32_e32 v0, 0x1800, v0
	v_lshlrev_b32_e32 v2, 5, v1
	v_and_b32_e32 v3, 16, v47
	s_lshl_b64 s[2:3], s[4:5], 1
	v_or3_b32 v0, v0, v2, v3
	s_add_u32 s1, s1, s2
	ds_read_b128 v[4:7], v0 offset:256
	s_addc_u32 s2, s6, s3
	ds_read_b128 v[8:11], v0 offset:128
	ds_read_b128 v[12:15], v0
	v_add_u32_e32 v18, s25, v1
	v_mov_b32_e32 v3, s2
	v_add_co_u32_e32 v2, vcc, s1, v46
	v_mad_u64_u32 v[16:17], s[2:3], v18, s0, 0
	v_addc_co_u32_e32 v3, vcc, 0, v3, vcc
	v_lshlrev_b64 v[16:17], 1, v[16:17]
	v_add_co_u32_e32 v16, vcc, v2, v16
	v_addc_co_u32_e32 v17, vcc, v3, v17, vcc
	s_waitcnt lgkmcnt(0)
	global_store_dwordx4 v[16:17], v[12:15], off
	s_nop 0
	v_add_u32_e32 v12, 4, v18
	v_mad_u64_u32 v[12:13], s[2:3], v12, s0, 0
	v_lshlrev_b64 v[12:13], 1, v[12:13]
	v_add_co_u32_e32 v12, vcc, v2, v12
	v_addc_co_u32_e32 v13, vcc, v3, v13, vcc
	global_store_dwordx4 v[12:13], v[8:11], off
	s_nop 0
	v_add_u32_e32 v8, 8, v18
	v_mad_u64_u32 v[8:9], s[2:3], v8, s0, 0
	v_lshlrev_b64 v[8:9], 1, v[8:9]
	v_add_co_u32_e32 v8, vcc, v2, v8
	v_addc_co_u32_e32 v9, vcc, v3, v9, vcc
	v_cmp_ne_u32_e32 vcc, 3, v1
	global_store_dwordx4 v[8:9], v[4:7], off
	s_and_b64 exec, exec, vcc
	s_cbranch_execz .LBB588_788
; %bb.787:
	ds_read_b128 v[4:7], v0 offset:384
	v_add3_u32 v0, s25, v1, 12
	v_mad_u64_u32 v[0:1], s[0:1], v0, s0, 0
	v_lshlrev_b64 v[0:1], 1, v[0:1]
	v_add_co_u32_e32 v0, vcc, v2, v0
	v_addc_co_u32_e32 v1, vcc, v3, v1, vcc
	s_waitcnt lgkmcnt(0)
	global_store_dwordx4 v[0:1], v[4:7], off
.LBB588_788:
	s_endpgm
	.section	.rodata,"a",@progbits
	.p2align	6, 0x0
	.amdhsa_kernel _Z39paged_attention_ll4mi_QKV_mfma16_kernelIDF16_hLN4vllm18Fp8KVCacheDataTypeE1EDF16_Li32ELi64ELi256ELb1ELi15EL8MFMAType0EEvPKT_PKT0_S8_ifPKiSA_SA_iPKfiiiPfSD_PS3_PT2_iSC_SC_
		.amdhsa_group_segment_fixed_size 8192
		.amdhsa_private_segment_fixed_size 0
		.amdhsa_kernarg_size 400
		.amdhsa_user_sgpr_count 6
		.amdhsa_user_sgpr_private_segment_buffer 1
		.amdhsa_user_sgpr_dispatch_ptr 0
		.amdhsa_user_sgpr_queue_ptr 0
		.amdhsa_user_sgpr_kernarg_segment_ptr 1
		.amdhsa_user_sgpr_dispatch_id 0
		.amdhsa_user_sgpr_flat_scratch_init 0
		.amdhsa_user_sgpr_kernarg_preload_length 0
		.amdhsa_user_sgpr_kernarg_preload_offset 0
		.amdhsa_user_sgpr_private_segment_size 0
		.amdhsa_uses_dynamic_stack 0
		.amdhsa_system_sgpr_private_segment_wavefront_offset 0
		.amdhsa_system_sgpr_workgroup_id_x 1
		.amdhsa_system_sgpr_workgroup_id_y 1
		.amdhsa_system_sgpr_workgroup_id_z 1
		.amdhsa_system_sgpr_workgroup_info 0
		.amdhsa_system_vgpr_workitem_id 0
		.amdhsa_next_free_vgpr 63
		.amdhsa_next_free_sgpr 47
		.amdhsa_accum_offset 64
		.amdhsa_reserve_vcc 1
		.amdhsa_reserve_flat_scratch 0
		.amdhsa_float_round_mode_32 0
		.amdhsa_float_round_mode_16_64 0
		.amdhsa_float_denorm_mode_32 3
		.amdhsa_float_denorm_mode_16_64 3
		.amdhsa_dx10_clamp 1
		.amdhsa_ieee_mode 1
		.amdhsa_fp16_overflow 0
		.amdhsa_tg_split 0
		.amdhsa_exception_fp_ieee_invalid_op 0
		.amdhsa_exception_fp_denorm_src 0
		.amdhsa_exception_fp_ieee_div_zero 0
		.amdhsa_exception_fp_ieee_overflow 0
		.amdhsa_exception_fp_ieee_underflow 0
		.amdhsa_exception_fp_ieee_inexact 0
		.amdhsa_exception_int_div_zero 0
	.end_amdhsa_kernel
	.section	.text._Z39paged_attention_ll4mi_QKV_mfma16_kernelIDF16_hLN4vllm18Fp8KVCacheDataTypeE1EDF16_Li32ELi64ELi256ELb1ELi15EL8MFMAType0EEvPKT_PKT0_S8_ifPKiSA_SA_iPKfiiiPfSD_PS3_PT2_iSC_SC_,"axG",@progbits,_Z39paged_attention_ll4mi_QKV_mfma16_kernelIDF16_hLN4vllm18Fp8KVCacheDataTypeE1EDF16_Li32ELi64ELi256ELb1ELi15EL8MFMAType0EEvPKT_PKT0_S8_ifPKiSA_SA_iPKfiiiPfSD_PS3_PT2_iSC_SC_,comdat
.Lfunc_end588:
	.size	_Z39paged_attention_ll4mi_QKV_mfma16_kernelIDF16_hLN4vllm18Fp8KVCacheDataTypeE1EDF16_Li32ELi64ELi256ELb1ELi15EL8MFMAType0EEvPKT_PKT0_S8_ifPKiSA_SA_iPKfiiiPfSD_PS3_PT2_iSC_SC_, .Lfunc_end588-_Z39paged_attention_ll4mi_QKV_mfma16_kernelIDF16_hLN4vllm18Fp8KVCacheDataTypeE1EDF16_Li32ELi64ELi256ELb1ELi15EL8MFMAType0EEvPKT_PKT0_S8_ifPKiSA_SA_iPKfiiiPfSD_PS3_PT2_iSC_SC_
                                        ; -- End function
	.section	.AMDGPU.csdata,"",@progbits
; Kernel info:
; codeLenInByte = 27412
; NumSgprs: 51
; NumVgprs: 63
; NumAgprs: 0
; TotalNumVgprs: 63
; ScratchSize: 0
; MemoryBound: 0
; FloatMode: 240
; IeeeMode: 1
; LDSByteSize: 8192 bytes/workgroup (compile time only)
; SGPRBlocks: 6
; VGPRBlocks: 7
; NumSGPRsForWavesPerEU: 51
; NumVGPRsForWavesPerEU: 63
; AccumOffset: 64
; Occupancy: 8
; WaveLimiterHint : 1
; COMPUTE_PGM_RSRC2:SCRATCH_EN: 0
; COMPUTE_PGM_RSRC2:USER_SGPR: 6
; COMPUTE_PGM_RSRC2:TRAP_HANDLER: 0
; COMPUTE_PGM_RSRC2:TGID_X_EN: 1
; COMPUTE_PGM_RSRC2:TGID_Y_EN: 1
; COMPUTE_PGM_RSRC2:TGID_Z_EN: 1
; COMPUTE_PGM_RSRC2:TIDIG_COMP_CNT: 0
; COMPUTE_PGM_RSRC3_GFX90A:ACCUM_OFFSET: 15
; COMPUTE_PGM_RSRC3_GFX90A:TG_SPLIT: 0
	.section	.text._Z39paged_attention_ll4mi_QKV_mfma16_kernelIDF16_hLN4vllm18Fp8KVCacheDataTypeE1EDF16_Li32ELi64ELi256ELb1ELi16EL8MFMAType0EEvPKT_PKT0_S8_ifPKiSA_SA_iPKfiiiPfSD_PS3_PT2_iSC_SC_,"axG",@progbits,_Z39paged_attention_ll4mi_QKV_mfma16_kernelIDF16_hLN4vllm18Fp8KVCacheDataTypeE1EDF16_Li32ELi64ELi256ELb1ELi16EL8MFMAType0EEvPKT_PKT0_S8_ifPKiSA_SA_iPKfiiiPfSD_PS3_PT2_iSC_SC_,comdat
	.protected	_Z39paged_attention_ll4mi_QKV_mfma16_kernelIDF16_hLN4vllm18Fp8KVCacheDataTypeE1EDF16_Li32ELi64ELi256ELb1ELi16EL8MFMAType0EEvPKT_PKT0_S8_ifPKiSA_SA_iPKfiiiPfSD_PS3_PT2_iSC_SC_ ; -- Begin function _Z39paged_attention_ll4mi_QKV_mfma16_kernelIDF16_hLN4vllm18Fp8KVCacheDataTypeE1EDF16_Li32ELi64ELi256ELb1ELi16EL8MFMAType0EEvPKT_PKT0_S8_ifPKiSA_SA_iPKfiiiPfSD_PS3_PT2_iSC_SC_
	.globl	_Z39paged_attention_ll4mi_QKV_mfma16_kernelIDF16_hLN4vllm18Fp8KVCacheDataTypeE1EDF16_Li32ELi64ELi256ELb1ELi16EL8MFMAType0EEvPKT_PKT0_S8_ifPKiSA_SA_iPKfiiiPfSD_PS3_PT2_iSC_SC_
	.p2align	8
	.type	_Z39paged_attention_ll4mi_QKV_mfma16_kernelIDF16_hLN4vllm18Fp8KVCacheDataTypeE1EDF16_Li32ELi64ELi256ELb1ELi16EL8MFMAType0EEvPKT_PKT0_S8_ifPKiSA_SA_iPKfiiiPfSD_PS3_PT2_iSC_SC_,@function
_Z39paged_attention_ll4mi_QKV_mfma16_kernelIDF16_hLN4vllm18Fp8KVCacheDataTypeE1EDF16_Li32ELi64ELi256ELb1ELi16EL8MFMAType0EEvPKT_PKT0_S8_ifPKiSA_SA_iPKfiiiPfSD_PS3_PT2_iSC_SC_: ; @_Z39paged_attention_ll4mi_QKV_mfma16_kernelIDF16_hLN4vllm18Fp8KVCacheDataTypeE1EDF16_Li32ELi64ELi256ELb1ELi16EL8MFMAType0EEvPKT_PKT0_S8_ifPKiSA_SA_iPKfiiiPfSD_PS3_PT2_iSC_SC_
; %bb.0:
	s_load_dwordx2 s[0:1], s[4:5], 0x30
	s_mov_b32 s24, s7
	s_mov_b64 s[2:3], 0
	s_waitcnt lgkmcnt(0)
	s_cmp_lg_u64 s[0:1], 0
	s_cselect_b64 s[10:11], -1, 0
	s_and_b64 vcc, exec, s[10:11]
	s_cbranch_vccz .LBB589_7
; %bb.1:
	s_add_i32 s12, s6, 1
	s_mov_b32 s13, 0
	s_lshl_b64 s[14:15], s[12:13], 2
	s_add_u32 s14, s0, s14
	s_mov_b32 s7, s13
	s_addc_u32 s15, s1, s15
	s_lshl_b64 s[12:13], s[6:7], 2
	s_add_u32 s12, s0, s12
	s_addc_u32 s13, s1, s13
	s_load_dword s9, s[14:15], 0x0
	s_load_dword s16, s[12:13], 0x0
	s_waitcnt lgkmcnt(0)
	s_sub_i32 s9, s9, s16
	s_cmp_eq_u32 s9, 1
	s_cselect_b64 s[12:13], -1, 0
	s_andn2_b64 vcc, exec, s[2:3]
	s_cbranch_vccnz .LBB589_3
.LBB589_2:
	s_mov_b32 s7, 0
	s_mov_b64 s[12:13], -1
.LBB589_3:
	s_andn2_b64 vcc, exec, s[12:13]
	s_cbranch_vccnz .LBB589_785
; %bb.4:
	s_load_dwordx2 s[2:3], s[4:5], 0x28
	s_lshl_b64 s[16:17], s[6:7], 2
	s_waitcnt lgkmcnt(0)
	s_add_u32 s2, s2, s16
	s_addc_u32 s3, s3, s17
	s_load_dword s33, s[2:3], 0x0
	s_lshl_b32 s20, s24, 8
	s_waitcnt lgkmcnt(0)
	s_cmp_ge_i32 s20, s33
	s_cbranch_scc1 .LBB589_785
; %bb.5:
	s_add_i32 s12, s33, 31
	s_load_dwordx2 s[2:3], s[4:5], 0x20
	s_load_dword s9, s[4:5], 0x38
	s_ashr_i32 s13, s12, 31
	v_and_b32_e32 v1, 0xcf, v0
	s_lshr_b32 s13, s13, 27
	v_add_u32_e32 v1, s20, v1
	s_add_i32 s12, s12, s13
	v_ashrrev_i32_e32 v2, 31, v1
	s_ashr_i32 s23, s12, 5
	v_lshrrev_b32_e32 v4, 27, v2
	s_add_i32 s23, s23, -1
	v_add_u32_e32 v2, v1, v4
	s_waitcnt lgkmcnt(0)
	s_mul_i32 s12, s6, s9
	s_mov_b32 s13, 0
	v_ashrrev_i32_e32 v2, 5, v2
	v_mov_b32_e32 v5, s23
	v_cmp_gt_i32_e32 vcc, s33, v1
	s_lshl_b64 s[12:13], s[12:13], 2
	v_cndmask_b32_e32 v2, v5, v2, vcc
	s_add_u32 s21, s2, s12
	v_ashrrev_i32_e32 v3, 31, v2
	s_addc_u32 s22, s3, s13
	v_lshlrev_b64 v[2:3], 2, v[2:3]
	v_mov_b32_e32 v7, s22
	v_add_co_u32_e32 v6, vcc, s21, v2
	v_or_b32_e32 v2, 16, v1
	v_addc_co_u32_e32 v7, vcc, v7, v3, vcc
	v_add_u32_e32 v3, v2, v4
	v_ashrrev_i32_e32 v3, 5, v3
	v_cmp_gt_i32_e32 vcc, s33, v2
	v_cndmask_b32_e32 v2, v5, v3, vcc
	v_ashrrev_i32_e32 v3, 31, v2
	v_lshlrev_b64 v[2:3], 2, v[2:3]
	v_mov_b32_e32 v9, s22
	v_add_co_u32_e32 v8, vcc, s21, v2
	v_or_b32_e32 v2, 32, v1
	v_addc_co_u32_e32 v9, vcc, v9, v3, vcc
	v_add_u32_e32 v3, v2, v4
	v_ashrrev_i32_e32 v3, 5, v3
	v_cmp_gt_i32_e32 vcc, s33, v2
	v_cndmask_b32_e32 v2, v5, v3, vcc
	v_ashrrev_i32_e32 v3, 31, v2
	;; [unrolled: 10-line block ×3, first 2 shown]
	v_lshlrev_b64 v[2:3], 2, v[2:3]
	v_mov_b32_e32 v1, s22
	v_add_co_u32_e32 v12, vcc, s21, v2
	v_addc_co_u32_e32 v13, vcc, v1, v3, vcc
	global_load_dword v5, v[6:7], off
	global_load_dword v4, v[8:9], off
	;; [unrolled: 1-line block ×4, first 2 shown]
	s_load_dwordx2 s[2:3], s[4:5], 0x40
	s_load_dwordx4 s[12:15], s[4:5], 0x8
	s_andn2_b64 vcc, exec, s[10:11]
	s_cbranch_vccnz .LBB589_8
; %bb.6:
	s_add_u32 s0, s0, s16
	s_addc_u32 s1, s1, s17
	s_load_dword s9, s[0:1], 0x0
	s_branch .LBB589_9
.LBB589_7:
	s_mov_b64 s[12:13], 0
	s_branch .LBB589_2
.LBB589_8:
	s_mov_b32 s9, s6
.LBB589_9:
	s_load_dwordx4 s[16:19], s[4:5], 0x48
	v_and_b32_e32 v53, 15, v0
	s_movk_i32 s0, 0x100
	v_lshlrev_b32_e32 v6, 3, v53
	v_cmp_gt_u32_e32 vcc, s0, v0
	v_cmp_gt_u32_e64 s[0:1], 8, v53
	v_lshrrev_b32_e32 v51, 6, v0
	v_bfe_u32 v1, v0, 4, 2
	s_lshl_b32 s25, s8, 4
	s_and_b64 s[26:27], vcc, s[0:1]
	v_lshlrev_b32_e32 v48, 1, v6
	v_lshlrev_b32_e32 v49, 4, v0
	s_and_saveexec_b64 s[10:11], s[26:27]
	s_cbranch_execz .LBB589_11
; %bb.10:
	s_load_dwordx2 s[26:27], s[4:5], 0x0
	s_waitcnt lgkmcnt(0)
	s_ashr_i32 s19, s16, 31
	s_mul_hi_u32 s28, s9, s16
	s_mul_i32 s19, s9, s19
	v_lshl_or_b32 v10, v51, 2, v1
	s_add_i32 s29, s28, s19
	s_mul_i32 s28, s9, s16
	s_lshl_b64 s[28:29], s[28:29], 1
	v_add_lshl_u32 v6, v10, s25, 6
	s_add_u32 s9, s26, s28
	v_ashrrev_i32_e32 v7, 31, v6
	s_addc_u32 s16, s27, s29
	v_lshlrev_b64 v[6:7], 1, v[6:7]
	v_mov_b32_e32 v8, s16
	v_add_co_u32_e32 v6, vcc, s9, v6
	v_addc_co_u32_e32 v7, vcc, v8, v7, vcc
	v_add_co_u32_e32 v6, vcc, v6, v48
	v_addc_co_u32_e32 v7, vcc, 0, v7, vcc
	global_load_dwordx4 v[6:9], v[6:7], off
	v_lshlrev_b32_e32 v12, 8, v53
	v_lshlrev_b32_e32 v10, 5, v10
	v_and_b32_e32 v11, 16, v49
	v_and_b32_e32 v12, 0xe00, v12
	v_or3_b32 v10, v12, v10, v11
	s_waitcnt vmcnt(0)
	ds_write_b128 v10, v[6:9]
.LBB589_11:
	s_or_b64 exec, exec, s[10:11]
	s_waitcnt lgkmcnt(0)
	s_mul_i32 s10, s8, s18
	s_add_u32 s8, s12, s10
	s_addc_u32 s9, s13, 0
	v_and_b32_e32 v12, 48, v0
	s_ashr_i32 s11, s20, 31
	v_or_b32_e32 v13, s20, v12
	s_lshr_b32 s11, s11, 27
	v_add_u32_e32 v6, s11, v13
	v_ashrrev_i32_e32 v6, 5, v6
	v_mov_b32_e32 v14, s23
	v_cmp_gt_i32_e32 vcc, s33, v13
	v_cndmask_b32_e32 v6, v14, v6, vcc
	v_ashrrev_i32_e32 v7, 31, v6
	v_lshlrev_b64 v[6:7], 2, v[6:7]
	v_mov_b32_e32 v8, s22
	v_add_co_u32_e32 v6, vcc, s21, v6
	v_addc_co_u32_e32 v7, vcc, v8, v7, vcc
	v_or_b32_e32 v8, 64, v13
	v_add_u32_e32 v9, s11, v8
	v_ashrrev_i32_e32 v9, 5, v9
	v_cmp_gt_i32_e32 vcc, s33, v8
	v_cndmask_b32_e32 v8, v14, v9, vcc
	v_ashrrev_i32_e32 v9, 31, v8
	v_lshlrev_b64 v[8:9], 2, v[8:9]
	v_mov_b32_e32 v10, s22
	v_add_co_u32_e32 v8, vcc, s21, v8
	v_addc_co_u32_e32 v9, vcc, v10, v9, vcc
	v_or_b32_e32 v10, 0x80, v13
	v_add_u32_e32 v11, s11, v10
	v_ashrrev_i32_e32 v11, 5, v11
	v_cmp_gt_i32_e32 vcc, s33, v10
	v_cndmask_b32_e32 v10, v14, v11, vcc
	v_ashrrev_i32_e32 v11, 31, v10
	v_lshlrev_b64 v[10:11], 2, v[10:11]
	v_mov_b32_e32 v15, s22
	v_add_co_u32_e32 v10, vcc, s21, v10
	s_load_dwordx2 s[44:45], s[4:5], 0x94
	s_load_dwordx4 s[40:43], s[4:5], 0x80
	s_waitcnt lgkmcnt(0)
	s_barrier
	v_addc_co_u32_e32 v11, vcc, v15, v11, vcc
	global_load_dword v15, v[6:7], off
	global_load_dword v16, v[8:9], off
	;; [unrolled: 1-line block ×3, first 2 shown]
	v_or_b32_e32 v6, 0xc0, v13
	v_add_u32_e32 v7, s11, v6
	v_ashrrev_i32_e32 v7, 5, v7
	v_cmp_gt_i32_e32 vcc, s33, v6
	v_cndmask_b32_e32 v6, v14, v7, vcc
	v_ashrrev_i32_e32 v7, 31, v6
	v_lshlrev_b64 v[6:7], 2, v[6:7]
	v_mov_b32_e32 v8, s22
	v_add_co_u32_e32 v6, vcc, s21, v6
	v_addc_co_u32_e32 v7, vcc, v8, v7, vcc
	global_load_dword v20, v[6:7], off
	v_pk_mov_b32 v[6:7], s[8:9], s[8:9] op_sel:[0,1]
	s_waitcnt vmcnt(7)
	v_mad_i64_i32 v[8:9], s[8:9], v5, s17, v[6:7]
	v_lshlrev_b32_e32 v11, 4, v53
	v_add_co_u32_e32 v5, vcc, v8, v11
	v_lshlrev_b32_e32 v10, 5, v12
	v_addc_co_u32_e32 v9, vcc, 0, v9, vcc
	v_add_co_u32_e32 v8, vcc, v5, v10
	v_addc_co_u32_e32 v9, vcc, 0, v9, vcc
	s_waitcnt vmcnt(6)
	v_mad_i64_i32 v[4:5], s[8:9], v4, s17, v[6:7]
	v_or_b32_e32 v12, 0x100, v11
	v_add_co_u32_e32 v4, vcc, v4, v12
	v_addc_co_u32_e32 v5, vcc, 0, v5, vcc
	v_add_co_u32_e32 v4, vcc, v4, v10
	v_addc_co_u32_e32 v5, vcc, 0, v5, vcc
	global_load_dwordx4 v[30:33], v[8:9], off
	global_load_dwordx4 v[38:41], v[4:5], off
	s_waitcnt vmcnt(7)
	v_mad_i64_i32 v[4:5], s[8:9], v3, s17, v[6:7]
	v_add_co_u32_e32 v3, vcc, v4, v11
	v_addc_co_u32_e32 v5, vcc, 0, v5, vcc
	v_add_co_u32_e32 v4, vcc, v3, v10
	v_addc_co_u32_e32 v5, vcc, 0, v5, vcc
	s_waitcnt vmcnt(6)
	v_mad_i64_i32 v[2:3], s[8:9], v2, s17, v[6:7]
	v_add_co_u32_e32 v2, vcc, v2, v12
	v_addc_co_u32_e32 v3, vcc, 0, v3, vcc
	v_add_co_u32_e32 v2, vcc, v2, v10
	v_or_b32_e32 v46, s25, v53
	v_addc_co_u32_e32 v3, vcc, 0, v3, vcc
	v_ashrrev_i32_e32 v47, 31, v46
	global_load_dwordx4 v[34:37], v[4:5], off
	global_load_dwordx4 v[22:25], v[2:3], off
	v_lshlrev_b64 v[2:3], 2, v[46:47]
	v_mov_b32_e32 v4, s3
	v_add_co_u32_e32 v2, vcc, s2, v2
	v_addc_co_u32_e32 v3, vcc, v4, v3, vcc
	s_add_u32 s2, s14, s10
	global_load_dword v47, v[2:3], off
	s_addc_u32 s3, s15, 0
	v_and_b32_e32 v2, 16, v0
	v_lshlrev_b32_e32 v52, 5, v53
	v_mov_b32_e32 v3, s3
	v_add_co_u32_e32 v2, vcc, s2, v2
	v_addc_co_u32_e32 v3, vcc, 0, v3, vcc
	v_lshl_or_b32 v4, v51, 9, v52
	v_add_co_u32_e32 v2, vcc, v2, v4
	v_addc_co_u32_e32 v3, vcc, 0, v3, vcc
	s_waitcnt vmcnt(8)
	v_mad_i64_i32 v[4:5], s[2:3], v15, s17, v[2:3]
	s_waitcnt vmcnt(7)
	v_mad_i64_i32 v[6:7], s[2:3], v16, s17, v[2:3]
	;; [unrolled: 2-line block ×3, first 2 shown]
	global_load_dwordx4 v[14:17], v[4:5], off
	global_load_dwordx4 v[10:13], v[6:7], off
	v_lshl_or_b32 v50, v1, 9, v52
	v_mov_b32_e32 v43, 0
	s_movk_i32 s8, 0x80
	s_waitcnt vmcnt(7)
	v_mad_i64_i32 v[20:21], s[2:3], v20, s17, v[2:3]
	global_load_dwordx4 v[6:9], v[18:19], off
	global_load_dwordx4 v[2:5], v[20:21], off
	ds_read_b128 v[26:29], v50
	ds_read_b128 v[18:21], v50 offset:16
	s_load_dword s12, s[40:41], 0x0
	v_mov_b32_e32 v44, 0
	s_waitcnt vmcnt(8)
	v_cmp_ne_u16_sdwa s[10:11], v30, v43 src0_sel:BYTE_0 src1_sel:DWORD
	s_and_saveexec_b64 s[2:3], s[10:11]
	s_cbranch_execz .LBB589_17
; %bb.12:
	v_cmp_ne_u16_sdwa s[10:11], v30, s8 src0_sel:BYTE_0 src1_sel:DWORD
	v_bfrev_b32_e32 v44, 1
	s_and_saveexec_b64 s[8:9], s[10:11]
	s_cbranch_execz .LBB589_16
; %bb.13:
	s_movk_i32 s10, 0x7f
	v_and_b32_e32 v42, 0x7f, v30
	v_cmp_ne_u32_e32 vcc, s10, v42
	v_mov_b32_e32 v44, 0x7f800001
	s_and_saveexec_b64 s[10:11], vcc
	s_cbranch_execz .LBB589_15
; %bb.14:
	v_and_b32_e32 v54, 7, v30
	v_ffbh_u32_e32 v44, v54
	v_min_u32_e32 v56, 32, v44
	v_subrev_u32_e32 v44, 28, v56
	v_lshlrev_b64 v[44:45], v44, v[30:31]
	v_lshrrev_b32_e32 v55, 3, v42
	v_sub_u32_e32 v45, 29, v56
	v_and_b32_e32 v44, 7, v44
	v_cmp_gt_u32_e32 vcc, 8, v42
	v_cndmask_b32_e32 v42, v55, v45, vcc
	v_cndmask_b32_e32 v44, v54, v44, vcc
	v_lshlrev_b32_e32 v45, 24, v30
	v_bfrev_b32_e32 v54, 60
	v_lshlrev_b32_e32 v44, 20, v44
	v_and_b32_e32 v45, 0x80000000, v45
	v_lshl_add_u32 v42, v42, 23, v54
	v_or3_b32 v44, v45, v42, v44
.LBB589_15:
	s_or_b64 exec, exec, s[10:11]
.LBB589_16:
	s_or_b64 exec, exec, s[8:9]
.LBB589_17:
	s_or_b64 exec, exec, s[2:3]
	v_lshrrev_b16_e32 v42, 8, v30
	v_cmp_ne_u16_e32 vcc, 0, v42
	s_and_saveexec_b64 s[2:3], vcc
	s_cbranch_execz .LBB589_23
; %bb.18:
	s_movk_i32 s8, 0x80
	v_cmp_ne_u16_e32 vcc, s8, v42
	v_bfrev_b32_e32 v43, 1
	s_and_saveexec_b64 s[8:9], vcc
	s_cbranch_execz .LBB589_22
; %bb.19:
	s_movk_i32 s10, 0x7f
	v_and_b32_e32 v45, 0x7f, v42
	v_cmp_ne_u32_e32 vcc, s10, v45
	v_mov_b32_e32 v43, 0x7f800001
	s_and_saveexec_b64 s[10:11], vcc
	s_cbranch_execz .LBB589_21
; %bb.20:
	v_and_b32_e32 v54, 7, v42
	v_ffbh_u32_e32 v43, v54
	v_min_u32_e32 v56, 32, v43
	v_subrev_u32_e32 v43, 28, v56
	v_lshlrev_b64 v[42:43], v43, v[42:43]
	v_lshrrev_b32_e32 v55, 3, v45
	v_sub_u32_e32 v43, 29, v56
	v_and_b32_e32 v42, 7, v42
	v_cmp_gt_u32_e32 vcc, 8, v45
	v_cndmask_b32_e32 v43, v55, v43, vcc
	v_cndmask_b32_e32 v42, v54, v42, vcc
	v_lshlrev_b32_e32 v45, 16, v30
	v_bfrev_b32_e32 v54, 60
	v_lshlrev_b32_e32 v42, 20, v42
	v_and_b32_e32 v45, 0x80000000, v45
	v_lshl_add_u32 v43, v43, 23, v54
	v_or3_b32 v43, v45, v43, v42
.LBB589_21:
	s_or_b64 exec, exec, s[10:11]
.LBB589_22:
	s_or_b64 exec, exec, s[8:9]
.LBB589_23:
	s_or_b64 exec, exec, s[2:3]
	s_movk_i32 s2, 0xff
	v_and_b32_sdwa v55, v30, s2 dst_sel:DWORD dst_unused:UNUSED_PAD src0_sel:WORD_1 src1_sel:DWORD
	v_lshrrev_b32_e32 v42, 16, v30
	v_cmp_ne_u16_e32 vcc, 0, v55
	v_mov_b32_e32 v45, 0
	v_mov_b32_e32 v54, 0
	s_and_saveexec_b64 s[2:3], vcc
	s_cbranch_execz .LBB589_29
; %bb.24:
	s_movk_i32 s8, 0x80
	v_cmp_ne_u16_e32 vcc, s8, v55
	v_bfrev_b32_e32 v54, 1
	s_and_saveexec_b64 s[8:9], vcc
	s_cbranch_execz .LBB589_28
; %bb.25:
	v_bfe_u32 v55, v30, 16, 7
	s_movk_i32 s10, 0x7f
	v_cmp_ne_u32_e32 vcc, s10, v55
	v_mov_b32_e32 v54, 0x7f800001
	s_and_saveexec_b64 s[10:11], vcc
	s_cbranch_execz .LBB589_27
; %bb.26:
	v_and_b32_e32 v54, 7, v42
	v_ffbh_u32_e32 v56, v54
	v_min_u32_e32 v59, 32, v56
	v_subrev_u32_e32 v56, 28, v59
	v_lshlrev_b64 v[56:57], v56, v[42:43]
	v_lshrrev_b32_e32 v58, 3, v55
	v_sub_u32_e32 v42, 29, v59
	v_and_b32_e32 v56, 7, v56
	v_cmp_gt_u32_e32 vcc, 8, v55
	v_mov_b32_e32 v55, 24
	v_cndmask_b32_e32 v42, v58, v42, vcc
	v_cndmask_b32_e32 v54, v54, v56, vcc
	v_lshlrev_b32_sdwa v55, v55, v30 dst_sel:DWORD dst_unused:UNUSED_PAD src0_sel:DWORD src1_sel:WORD_1
	v_bfrev_b32_e32 v56, 60
	v_lshlrev_b32_e32 v54, 20, v54
	v_and_b32_e32 v55, 0x80000000, v55
	v_lshl_add_u32 v42, v42, 23, v56
	v_or3_b32 v54, v55, v42, v54
.LBB589_27:
	s_or_b64 exec, exec, s[10:11]
.LBB589_28:
	s_or_b64 exec, exec, s[8:9]
.LBB589_29:
	s_or_b64 exec, exec, s[2:3]
	s_mov_b32 s2, 0xffffff
	v_cmp_lt_u32_e32 vcc, s2, v30
	s_and_saveexec_b64 s[2:3], vcc
	s_cbranch_execz .LBB589_35
; %bb.30:
	v_lshrrev_b32_e32 v42, 24, v30
	s_movk_i32 s8, 0x80
	v_cmp_ne_u32_e32 vcc, s8, v42
	v_bfrev_b32_e32 v45, 1
	s_and_saveexec_b64 s[8:9], vcc
	s_cbranch_execz .LBB589_34
; %bb.31:
	v_bfe_u32 v30, v30, 24, 7
	s_movk_i32 s10, 0x7f
	v_cmp_ne_u32_e32 vcc, s10, v30
	v_mov_b32_e32 v45, 0x7f800001
	s_and_saveexec_b64 s[10:11], vcc
	s_cbranch_execz .LBB589_33
; %bb.32:
	v_and_b32_e32 v45, 7, v42
	v_ffbh_u32_e32 v56, v45
	v_min_u32_e32 v58, 32, v56
	v_subrev_u32_e32 v56, 28, v58
	v_lshlrev_b64 v[56:57], v56, v[42:43]
	v_lshrrev_b32_e32 v55, 3, v30
	v_sub_u32_e32 v57, 29, v58
	v_and_b32_e32 v56, 7, v56
	v_cmp_gt_u32_e32 vcc, 8, v30
	v_cndmask_b32_e32 v30, v55, v57, vcc
	v_cndmask_b32_e32 v45, v45, v56, vcc
	v_lshlrev_b32_e32 v42, 24, v42
	v_bfrev_b32_e32 v55, 60
	v_lshlrev_b32_e32 v45, 20, v45
	v_and_b32_e32 v42, 0x80000000, v42
	v_lshl_add_u32 v30, v30, 23, v55
	v_or3_b32 v45, v42, v30, v45
.LBB589_33:
	s_or_b64 exec, exec, s[10:11]
.LBB589_34:
	s_or_b64 exec, exec, s[8:9]
.LBB589_35:
	s_or_b64 exec, exec, s[2:3]
	v_mov_b32_e32 v42, 0
	v_cmp_ne_u16_sdwa s[8:9], v31, v42 src0_sel:BYTE_0 src1_sel:DWORD
	v_mov_b32_e32 v55, 0
	s_and_saveexec_b64 s[2:3], s[8:9]
	s_cbranch_execz .LBB589_41
; %bb.36:
	s_movk_i32 s8, 0x80
	v_cmp_ne_u16_sdwa s[10:11], v31, s8 src0_sel:BYTE_0 src1_sel:DWORD
	v_bfrev_b32_e32 v55, 1
	s_and_saveexec_b64 s[8:9], s[10:11]
	s_cbranch_execz .LBB589_40
; %bb.37:
	s_movk_i32 s10, 0x7f
	v_and_b32_e32 v30, 0x7f, v31
	v_cmp_ne_u32_e32 vcc, s10, v30
	v_mov_b32_e32 v55, 0x7f800001
	s_and_saveexec_b64 s[10:11], vcc
	s_cbranch_execz .LBB589_39
; %bb.38:
	v_and_b32_e32 v55, 7, v31
	v_ffbh_u32_e32 v57, v55
	v_min_u32_e32 v59, 32, v57
	v_mov_b32_e32 v56, v31
	v_subrev_u32_e32 v57, 28, v59
	v_lshlrev_b64 v[56:57], v57, v[56:57]
	v_lshrrev_b32_e32 v58, 3, v30
	v_sub_u32_e32 v57, 29, v59
	v_and_b32_e32 v56, 7, v56
	v_cmp_gt_u32_e32 vcc, 8, v30
	v_cndmask_b32_e32 v30, v58, v57, vcc
	v_cndmask_b32_e32 v55, v55, v56, vcc
	v_lshlrev_b32_e32 v56, 24, v31
	v_bfrev_b32_e32 v57, 60
	v_lshlrev_b32_e32 v55, 20, v55
	v_and_b32_e32 v56, 0x80000000, v56
	v_lshl_add_u32 v30, v30, 23, v57
	v_or3_b32 v55, v56, v30, v55
.LBB589_39:
	s_or_b64 exec, exec, s[10:11]
.LBB589_40:
	s_or_b64 exec, exec, s[8:9]
.LBB589_41:
	s_or_b64 exec, exec, s[2:3]
	v_lshrrev_b16_e32 v30, 8, v31
	v_cmp_ne_u16_e32 vcc, 0, v30
	s_and_saveexec_b64 s[2:3], vcc
	s_cbranch_execz .LBB589_47
; %bb.42:
	s_movk_i32 s8, 0x80
	v_cmp_ne_u16_e32 vcc, s8, v30
	v_bfrev_b32_e32 v42, 1
	s_and_saveexec_b64 s[8:9], vcc
	s_cbranch_execz .LBB589_46
; %bb.43:
	s_movk_i32 s10, 0x7f
	v_and_b32_e32 v56, 0x7f, v30
	v_cmp_ne_u32_e32 vcc, s10, v56
	v_mov_b32_e32 v42, 0x7f800001
	s_and_saveexec_b64 s[10:11], vcc
	s_cbranch_execz .LBB589_45
; %bb.44:
	v_and_b32_e32 v42, 7, v30
	v_ffbh_u32_e32 v58, v42
	v_min_u32_e32 v60, 32, v58
	v_subrev_u32_e32 v58, 28, v60
	v_lshlrev_b64 v[58:59], v58, v[30:31]
	v_lshrrev_b32_e32 v57, 3, v56
	v_sub_u32_e32 v30, 29, v60
	v_and_b32_e32 v58, 7, v58
	v_cmp_gt_u32_e32 vcc, 8, v56
	v_cndmask_b32_e32 v30, v57, v30, vcc
	v_cndmask_b32_e32 v42, v42, v58, vcc
	v_lshlrev_b32_e32 v56, 16, v31
	v_bfrev_b32_e32 v57, 60
	v_lshlrev_b32_e32 v42, 20, v42
	v_and_b32_e32 v56, 0x80000000, v56
	v_lshl_add_u32 v30, v30, 23, v57
	v_or3_b32 v42, v56, v30, v42
.LBB589_45:
	s_or_b64 exec, exec, s[10:11]
.LBB589_46:
	s_or_b64 exec, exec, s[8:9]
.LBB589_47:
	s_or_b64 exec, exec, s[2:3]
	s_movk_i32 s2, 0xff
	v_and_b32_sdwa v58, v31, s2 dst_sel:DWORD dst_unused:UNUSED_PAD src0_sel:WORD_1 src1_sel:DWORD
	v_lshrrev_b32_e32 v30, 16, v31
	v_cmp_ne_u16_e32 vcc, 0, v58
	v_mov_b32_e32 v56, 0
	v_mov_b32_e32 v57, 0
	s_and_saveexec_b64 s[2:3], vcc
	s_cbranch_execz .LBB589_53
; %bb.48:
	s_movk_i32 s8, 0x80
	v_cmp_ne_u16_e32 vcc, s8, v58
	v_bfrev_b32_e32 v57, 1
	s_and_saveexec_b64 s[8:9], vcc
	s_cbranch_execz .LBB589_52
; %bb.49:
	v_bfe_u32 v58, v31, 16, 7
	s_movk_i32 s10, 0x7f
	v_cmp_ne_u32_e32 vcc, s10, v58
	v_mov_b32_e32 v57, 0x7f800001
	s_and_saveexec_b64 s[10:11], vcc
	s_cbranch_execz .LBB589_51
; %bb.50:
	v_and_b32_e32 v57, 7, v30
	v_ffbh_u32_e32 v60, v57
	v_min_u32_e32 v62, 32, v60
	v_subrev_u32_e32 v60, 28, v62
	v_lshlrev_b64 v[60:61], v60, v[30:31]
	v_lshrrev_b32_e32 v59, 3, v58
	v_sub_u32_e32 v30, 29, v62
	v_and_b32_e32 v60, 7, v60
	v_cmp_gt_u32_e32 vcc, 8, v58
	v_mov_b32_e32 v58, 24
	v_cndmask_b32_e32 v30, v59, v30, vcc
	v_cndmask_b32_e32 v57, v57, v60, vcc
	v_lshlrev_b32_sdwa v58, v58, v31 dst_sel:DWORD dst_unused:UNUSED_PAD src0_sel:DWORD src1_sel:WORD_1
	v_bfrev_b32_e32 v59, 60
	v_lshlrev_b32_e32 v57, 20, v57
	v_and_b32_e32 v58, 0x80000000, v58
	v_lshl_add_u32 v30, v30, 23, v59
	v_or3_b32 v57, v58, v30, v57
.LBB589_51:
	s_or_b64 exec, exec, s[10:11]
.LBB589_52:
	s_or_b64 exec, exec, s[8:9]
.LBB589_53:
	s_or_b64 exec, exec, s[2:3]
	s_mov_b32 s2, 0xffffff
	v_cmp_lt_u32_e32 vcc, s2, v31
	s_and_saveexec_b64 s[2:3], vcc
	s_cbranch_execz .LBB589_59
; %bb.54:
	v_lshrrev_b32_e32 v30, 24, v31
	s_movk_i32 s8, 0x80
	v_cmp_ne_u32_e32 vcc, s8, v30
	v_bfrev_b32_e32 v56, 1
	s_and_saveexec_b64 s[8:9], vcc
	s_cbranch_execz .LBB589_58
; %bb.55:
	v_bfe_u32 v31, v31, 24, 7
	s_movk_i32 s10, 0x7f
	v_cmp_ne_u32_e32 vcc, s10, v31
	v_mov_b32_e32 v56, 0x7f800001
	s_and_saveexec_b64 s[10:11], vcc
	s_cbranch_execz .LBB589_57
; %bb.56:
	v_and_b32_e32 v56, 7, v30
	v_ffbh_u32_e32 v58, v56
	v_min_u32_e32 v61, 32, v58
	v_subrev_u32_e32 v58, 28, v61
	v_lshlrev_b64 v[58:59], v58, v[30:31]
	v_lshrrev_b32_e32 v60, 3, v31
	v_sub_u32_e32 v59, 29, v61
	v_and_b32_e32 v58, 7, v58
	v_cmp_gt_u32_e32 vcc, 8, v31
	v_cndmask_b32_e32 v31, v60, v59, vcc
	v_cndmask_b32_e32 v56, v56, v58, vcc
	v_lshlrev_b32_e32 v30, 24, v30
	v_bfrev_b32_e32 v58, 60
	v_lshlrev_b32_e32 v56, 20, v56
	v_and_b32_e32 v30, 0x80000000, v30
	v_lshl_add_u32 v31, v31, 23, v58
	v_or3_b32 v56, v30, v31, v56
.LBB589_57:
	s_or_b64 exec, exec, s[10:11]
.LBB589_58:
	s_or_b64 exec, exec, s[8:9]
.LBB589_59:
	s_or_b64 exec, exec, s[2:3]
	v_cvt_pkrtz_f16_f32 v30, v44, v43
	v_cvt_pkrtz_f16_f32 v31, v54, v45
	;; [unrolled: 1-line block ×4, first 2 shown]
	v_mov_b32_e32 v55, 0
	s_waitcnt lgkmcnt(0)
	v_mfma_f32_16x16x16f16 v[58:61], v[30:31], v[26:27], 0
	v_mov_b32_e32 v31, 0
	v_cmp_ne_u16_sdwa s[8:9], v32, v31 src0_sel:BYTE_0 src1_sel:DWORD
	v_mfma_f32_16x16x16f16 v[42:45], v[42:43], v[28:29], v[58:61]
	s_and_saveexec_b64 s[2:3], s[8:9]
	s_cbranch_execz .LBB589_65
; %bb.60:
	s_movk_i32 s8, 0x80
	v_cmp_ne_u16_sdwa s[10:11], v32, s8 src0_sel:BYTE_0 src1_sel:DWORD
	v_bfrev_b32_e32 v55, 1
	s_and_saveexec_b64 s[8:9], s[10:11]
	s_cbranch_execz .LBB589_64
; %bb.61:
	s_movk_i32 s10, 0x7f
	v_and_b32_e32 v30, 0x7f, v32
	v_cmp_ne_u32_e32 vcc, s10, v30
	v_mov_b32_e32 v55, 0x7f800001
	s_and_saveexec_b64 s[10:11], vcc
	s_cbranch_execz .LBB589_63
; %bb.62:
	v_and_b32_e32 v56, 7, v32
	v_ffbh_u32_e32 v54, v56
	v_min_u32_e32 v58, 32, v54
	v_subrev_u32_e32 v54, 28, v58
	v_lshlrev_b64 v[54:55], v54, v[32:33]
	v_lshrrev_b32_e32 v57, 3, v30
	v_sub_u32_e32 v55, 29, v58
	v_and_b32_e32 v54, 7, v54
	v_cmp_gt_u32_e32 vcc, 8, v30
	v_cndmask_b32_e32 v30, v57, v55, vcc
	v_cndmask_b32_e32 v54, v56, v54, vcc
	v_lshlrev_b32_e32 v55, 24, v32
	v_bfrev_b32_e32 v56, 60
	v_lshlrev_b32_e32 v54, 20, v54
	v_and_b32_e32 v55, 0x80000000, v55
	v_lshl_add_u32 v30, v30, 23, v56
	v_or3_b32 v55, v55, v30, v54
.LBB589_63:
	s_or_b64 exec, exec, s[10:11]
.LBB589_64:
	s_or_b64 exec, exec, s[8:9]
.LBB589_65:
	s_or_b64 exec, exec, s[2:3]
	v_lshrrev_b16_e32 v30, 8, v32
	v_cmp_ne_u16_e32 vcc, 0, v30
	v_mov_b32_e32 v56, 0
	s_and_saveexec_b64 s[2:3], vcc
	s_cbranch_execz .LBB589_71
; %bb.66:
	s_movk_i32 s8, 0x80
	v_cmp_ne_u16_e32 vcc, s8, v30
	v_bfrev_b32_e32 v56, 1
	s_and_saveexec_b64 s[8:9], vcc
	s_cbranch_execz .LBB589_70
; %bb.67:
	s_movk_i32 s10, 0x7f
	v_and_b32_e32 v54, 0x7f, v30
	v_cmp_ne_u32_e32 vcc, s10, v54
	v_mov_b32_e32 v56, 0x7f800001
	s_and_saveexec_b64 s[10:11], vcc
	s_cbranch_execz .LBB589_69
; %bb.68:
	v_and_b32_e32 v58, 7, v30
	v_ffbh_u32_e32 v56, v58
	v_min_u32_e32 v60, 32, v56
	v_subrev_u32_e32 v56, 28, v60
	v_lshlrev_b64 v[56:57], v56, v[30:31]
	v_lshrrev_b32_e32 v59, 3, v54
	v_sub_u32_e32 v30, 29, v60
	v_and_b32_e32 v56, 7, v56
	v_cmp_gt_u32_e32 vcc, 8, v54
	v_cndmask_b32_e32 v30, v59, v30, vcc
	v_cndmask_b32_e32 v54, v58, v56, vcc
	v_lshlrev_b32_e32 v56, 16, v32
	v_bfrev_b32_e32 v57, 60
	v_lshlrev_b32_e32 v54, 20, v54
	v_and_b32_e32 v56, 0x80000000, v56
	v_lshl_add_u32 v30, v30, 23, v57
	v_or3_b32 v56, v56, v30, v54
.LBB589_69:
	s_or_b64 exec, exec, s[10:11]
.LBB589_70:
	s_or_b64 exec, exec, s[8:9]
.LBB589_71:
	s_or_b64 exec, exec, s[2:3]
	s_movk_i32 s2, 0xff
	v_and_b32_sdwa v54, v32, s2 dst_sel:DWORD dst_unused:UNUSED_PAD src0_sel:WORD_1 src1_sel:DWORD
	v_lshrrev_b32_e32 v30, 16, v32
	v_cmp_ne_u16_e32 vcc, 0, v54
	s_and_saveexec_b64 s[2:3], vcc
	s_cbranch_execz .LBB589_77
; %bb.72:
	s_movk_i32 s8, 0x80
	v_cmp_ne_u16_e32 vcc, s8, v54
	v_bfrev_b32_e32 v31, 1
	s_and_saveexec_b64 s[8:9], vcc
	s_cbranch_execz .LBB589_76
; %bb.73:
	v_bfe_u32 v54, v32, 16, 7
	s_movk_i32 s10, 0x7f
	v_cmp_ne_u32_e32 vcc, s10, v54
	v_mov_b32_e32 v31, 0x7f800001
	s_and_saveexec_b64 s[10:11], vcc
	s_cbranch_execz .LBB589_75
; %bb.74:
	v_and_b32_e32 v57, 7, v30
	v_ffbh_u32_e32 v31, v57
	v_min_u32_e32 v59, 32, v31
	v_subrev_u32_e32 v31, 28, v59
	v_lshlrev_b64 v[30:31], v31, v[30:31]
	v_lshrrev_b32_e32 v58, 3, v54
	v_sub_u32_e32 v31, 29, v59
	v_and_b32_e32 v30, 7, v30
	v_cmp_gt_u32_e32 vcc, 8, v54
	v_mov_b32_e32 v54, 24
	v_cndmask_b32_e32 v31, v58, v31, vcc
	v_cndmask_b32_e32 v30, v57, v30, vcc
	v_lshlrev_b32_sdwa v54, v54, v32 dst_sel:DWORD dst_unused:UNUSED_PAD src0_sel:DWORD src1_sel:WORD_1
	v_bfrev_b32_e32 v57, 60
	v_lshlrev_b32_e32 v30, 20, v30
	v_and_b32_e32 v54, 0x80000000, v54
	v_lshl_add_u32 v31, v31, 23, v57
	v_or3_b32 v31, v54, v31, v30
.LBB589_75:
	s_or_b64 exec, exec, s[10:11]
.LBB589_76:
	s_or_b64 exec, exec, s[8:9]
.LBB589_77:
	s_or_b64 exec, exec, s[2:3]
	s_mov_b32 s2, 0xffffff
	v_cmp_lt_u32_e32 vcc, s2, v32
	v_mov_b32_e32 v57, 0
	v_mov_b32_e32 v58, 0
	s_and_saveexec_b64 s[2:3], vcc
	s_cbranch_execz .LBB589_83
; %bb.78:
	v_lshrrev_b32_e32 v30, 24, v32
	s_movk_i32 s8, 0x80
	v_cmp_ne_u32_e32 vcc, s8, v30
	v_bfrev_b32_e32 v58, 1
	s_and_saveexec_b64 s[8:9], vcc
	s_cbranch_execz .LBB589_82
; %bb.79:
	v_bfe_u32 v32, v32, 24, 7
	s_movk_i32 s10, 0x7f
	v_cmp_ne_u32_e32 vcc, s10, v32
	v_mov_b32_e32 v58, 0x7f800001
	s_and_saveexec_b64 s[10:11], vcc
	s_cbranch_execz .LBB589_81
; %bb.80:
	v_and_b32_e32 v54, 7, v30
	v_ffbh_u32_e32 v58, v54
	v_min_u32_e32 v61, 32, v58
	v_subrev_u32_e32 v58, 28, v61
	v_lshlrev_b64 v[58:59], v58, v[30:31]
	v_lshrrev_b32_e32 v60, 3, v32
	v_sub_u32_e32 v59, 29, v61
	v_and_b32_e32 v58, 7, v58
	v_cmp_gt_u32_e32 vcc, 8, v32
	v_cndmask_b32_e32 v32, v60, v59, vcc
	v_cndmask_b32_e32 v54, v54, v58, vcc
	v_lshlrev_b32_e32 v30, 24, v30
	v_bfrev_b32_e32 v58, 60
	v_lshlrev_b32_e32 v54, 20, v54
	v_and_b32_e32 v30, 0x80000000, v30
	v_lshl_add_u32 v32, v32, 23, v58
	v_or3_b32 v58, v30, v32, v54
.LBB589_81:
	s_or_b64 exec, exec, s[10:11]
.LBB589_82:
	s_or_b64 exec, exec, s[8:9]
.LBB589_83:
	s_or_b64 exec, exec, s[2:3]
	v_cmp_ne_u16_sdwa s[8:9], v33, v57 src0_sel:BYTE_0 src1_sel:DWORD
	s_and_saveexec_b64 s[2:3], s[8:9]
	s_cbranch_execz .LBB589_89
; %bb.84:
	s_movk_i32 s8, 0x80
	v_cmp_ne_u16_sdwa s[10:11], v33, s8 src0_sel:BYTE_0 src1_sel:DWORD
	v_bfrev_b32_e32 v57, 1
	s_and_saveexec_b64 s[8:9], s[10:11]
	s_cbranch_execz .LBB589_88
; %bb.85:
	s_movk_i32 s10, 0x7f
	v_and_b32_e32 v30, 0x7f, v33
	v_cmp_ne_u32_e32 vcc, s10, v30
	v_mov_b32_e32 v57, 0x7f800001
	s_and_saveexec_b64 s[10:11], vcc
	s_cbranch_execz .LBB589_87
; %bb.86:
	v_and_b32_e32 v54, 7, v33
	v_ffbh_u32_e32 v59, v54
	v_min_u32_e32 v59, 32, v59
	v_mov_b32_e32 v32, v33
	v_subrev_u32_e32 v60, 28, v59
	v_lshlrev_b64 v[60:61], v60, v[32:33]
	v_lshrrev_b32_e32 v57, 3, v30
	v_sub_u32_e32 v32, 29, v59
	v_and_b32_e32 v59, 7, v60
	v_cmp_gt_u32_e32 vcc, 8, v30
	v_cndmask_b32_e32 v30, v57, v32, vcc
	v_cndmask_b32_e32 v32, v54, v59, vcc
	v_lshlrev_b32_e32 v54, 24, v33
	v_bfrev_b32_e32 v57, 60
	v_lshlrev_b32_e32 v32, 20, v32
	v_and_b32_e32 v54, 0x80000000, v54
	v_lshl_add_u32 v30, v30, 23, v57
	v_or3_b32 v57, v54, v30, v32
.LBB589_87:
	s_or_b64 exec, exec, s[10:11]
.LBB589_88:
	s_or_b64 exec, exec, s[8:9]
.LBB589_89:
	s_or_b64 exec, exec, s[2:3]
	v_lshrrev_b16_e32 v30, 8, v33
	v_cmp_ne_u16_e32 vcc, 0, v30
	v_mov_b32_e32 v32, 0
	v_mov_b32_e32 v59, 0
	s_and_saveexec_b64 s[2:3], vcc
	s_cbranch_execz .LBB589_95
; %bb.90:
	s_movk_i32 s8, 0x80
	v_cmp_ne_u16_e32 vcc, s8, v30
	v_bfrev_b32_e32 v59, 1
	s_and_saveexec_b64 s[8:9], vcc
	s_cbranch_execz .LBB589_94
; %bb.91:
	s_movk_i32 s10, 0x7f
	v_and_b32_e32 v54, 0x7f, v30
	v_cmp_ne_u32_e32 vcc, s10, v54
	v_mov_b32_e32 v59, 0x7f800001
	s_and_saveexec_b64 s[10:11], vcc
	s_cbranch_execz .LBB589_93
; %bb.92:
	v_and_b32_e32 v59, 7, v30
	v_ffbh_u32_e32 v60, v59
	v_min_u32_e32 v63, 32, v60
	v_subrev_u32_e32 v60, 28, v63
	v_lshlrev_b64 v[60:61], v60, v[30:31]
	v_lshrrev_b32_e32 v62, 3, v54
	v_sub_u32_e32 v30, 29, v63
	v_and_b32_e32 v60, 7, v60
	v_cmp_gt_u32_e32 vcc, 8, v54
	v_cndmask_b32_e32 v30, v62, v30, vcc
	v_cndmask_b32_e32 v54, v59, v60, vcc
	v_lshlrev_b32_e32 v59, 16, v33
	v_bfrev_b32_e32 v60, 60
	v_lshlrev_b32_e32 v54, 20, v54
	v_and_b32_e32 v59, 0x80000000, v59
	v_lshl_add_u32 v30, v30, 23, v60
	v_or3_b32 v59, v59, v30, v54
.LBB589_93:
	s_or_b64 exec, exec, s[10:11]
.LBB589_94:
	s_or_b64 exec, exec, s[8:9]
.LBB589_95:
	s_or_b64 exec, exec, s[2:3]
	s_movk_i32 s2, 0xff
	v_and_b32_sdwa v54, v33, s2 dst_sel:DWORD dst_unused:UNUSED_PAD src0_sel:WORD_1 src1_sel:DWORD
	v_lshrrev_b32_e32 v30, 16, v33
	v_cmp_ne_u16_e32 vcc, 0, v54
	s_and_saveexec_b64 s[2:3], vcc
	s_cbranch_execz .LBB589_101
; %bb.96:
	s_movk_i32 s8, 0x80
	v_cmp_ne_u16_e32 vcc, s8, v54
	v_bfrev_b32_e32 v32, 1
	s_and_saveexec_b64 s[8:9], vcc
	s_cbranch_execz .LBB589_100
; %bb.97:
	v_bfe_u32 v54, v33, 16, 7
	s_movk_i32 s10, 0x7f
	v_cmp_ne_u32_e32 vcc, s10, v54
	v_mov_b32_e32 v32, 0x7f800001
	s_and_saveexec_b64 s[10:11], vcc
	s_cbranch_execz .LBB589_99
; %bb.98:
	v_and_b32_e32 v32, 7, v30
	v_ffbh_u32_e32 v60, v32
	v_min_u32_e32 v63, 32, v60
	v_subrev_u32_e32 v60, 28, v63
	v_lshlrev_b64 v[60:61], v60, v[30:31]
	v_lshrrev_b32_e32 v62, 3, v54
	v_sub_u32_e32 v30, 29, v63
	v_and_b32_e32 v60, 7, v60
	v_cmp_gt_u32_e32 vcc, 8, v54
	v_mov_b32_e32 v54, 24
	v_cndmask_b32_e32 v30, v62, v30, vcc
	v_cndmask_b32_e32 v32, v32, v60, vcc
	v_lshlrev_b32_sdwa v54, v54, v33 dst_sel:DWORD dst_unused:UNUSED_PAD src0_sel:DWORD src1_sel:WORD_1
	v_bfrev_b32_e32 v60, 60
	v_lshlrev_b32_e32 v32, 20, v32
	v_and_b32_e32 v54, 0x80000000, v54
	v_lshl_add_u32 v30, v30, 23, v60
	v_or3_b32 v32, v54, v30, v32
.LBB589_99:
	s_or_b64 exec, exec, s[10:11]
.LBB589_100:
	s_or_b64 exec, exec, s[8:9]
.LBB589_101:
	s_or_b64 exec, exec, s[2:3]
	s_mov_b32 s2, 0xffffff
	v_cmp_lt_u32_e32 vcc, s2, v33
	v_mov_b32_e32 v54, 0
	v_mov_b32_e32 v60, 0
	s_and_saveexec_b64 s[2:3], vcc
	s_cbranch_execz .LBB589_107
; %bb.102:
	v_lshrrev_b32_e32 v30, 24, v33
	s_movk_i32 s8, 0x80
	v_cmp_ne_u32_e32 vcc, s8, v30
	v_bfrev_b32_e32 v60, 1
	s_and_saveexec_b64 s[8:9], vcc
	s_cbranch_execz .LBB589_106
; %bb.103:
	v_bfe_u32 v33, v33, 24, 7
	s_movk_i32 s10, 0x7f
	v_cmp_ne_u32_e32 vcc, s10, v33
	v_mov_b32_e32 v60, 0x7f800001
	s_and_saveexec_b64 s[10:11], vcc
	s_cbranch_execz .LBB589_105
; %bb.104:
	v_and_b32_e32 v62, 7, v30
	v_ffbh_u32_e32 v60, v62
	v_min_u32_e32 v64, 32, v60
	v_subrev_u32_e32 v60, 28, v64
	v_lshlrev_b64 v[60:61], v60, v[30:31]
	v_lshrrev_b32_e32 v63, 3, v33
	v_sub_u32_e32 v61, 29, v64
	v_and_b32_e32 v60, 7, v60
	v_cmp_gt_u32_e32 vcc, 8, v33
	v_cndmask_b32_e32 v33, v63, v61, vcc
	v_cndmask_b32_e32 v60, v62, v60, vcc
	v_lshlrev_b32_e32 v30, 24, v30
	v_bfrev_b32_e32 v61, 60
	v_lshlrev_b32_e32 v60, 20, v60
	v_and_b32_e32 v30, 0x80000000, v30
	v_lshl_add_u32 v33, v33, 23, v61
	v_or3_b32 v60, v30, v33, v60
.LBB589_105:
	s_or_b64 exec, exec, s[10:11]
.LBB589_106:
	s_or_b64 exec, exec, s[8:9]
.LBB589_107:
	s_or_b64 exec, exec, s[2:3]
	v_cvt_pkrtz_f16_f32 v30, v55, v56
	v_cvt_pkrtz_f16_f32 v31, v31, v58
	s_waitcnt vmcnt(7)
	v_cmp_ne_u16_sdwa s[8:9], v38, v54 src0_sel:BYTE_0 src1_sel:DWORD
	v_mfma_f32_16x16x16f16 v[42:45], v[30:31], v[18:19], v[42:45]
	v_cvt_pkrtz_f16_f32 v30, v57, v59
	v_cvt_pkrtz_f16_f32 v31, v32, v60
	s_nop 1
	v_mfma_f32_16x16x16f16 v[30:33], v[30:31], v[20:21], v[42:45]
	s_and_saveexec_b64 s[2:3], s[8:9]
	s_cbranch_execz .LBB589_113
; %bb.108:
	s_movk_i32 s8, 0x80
	v_cmp_ne_u16_sdwa s[10:11], v38, s8 src0_sel:BYTE_0 src1_sel:DWORD
	v_bfrev_b32_e32 v54, 1
	s_and_saveexec_b64 s[8:9], s[10:11]
	s_cbranch_execz .LBB589_112
; %bb.109:
	s_movk_i32 s10, 0x7f
	v_and_b32_e32 v42, 0x7f, v38
	v_cmp_ne_u32_e32 vcc, s10, v42
	v_mov_b32_e32 v54, 0x7f800001
	s_and_saveexec_b64 s[10:11], vcc
	s_cbranch_execz .LBB589_111
; %bb.110:
	v_and_b32_e32 v43, 7, v38
	v_ffbh_u32_e32 v44, v43
	v_min_u32_e32 v55, 32, v44
	v_subrev_u32_e32 v44, 28, v55
	v_lshlrev_b64 v[44:45], v44, v[38:39]
	v_lshrrev_b32_e32 v54, 3, v42
	v_sub_u32_e32 v45, 29, v55
	v_and_b32_e32 v44, 7, v44
	v_cmp_gt_u32_e32 vcc, 8, v42
	v_cndmask_b32_e32 v42, v54, v45, vcc
	v_cndmask_b32_e32 v43, v43, v44, vcc
	v_lshlrev_b32_e32 v44, 24, v38
	v_bfrev_b32_e32 v45, 60
	v_lshlrev_b32_e32 v43, 20, v43
	v_and_b32_e32 v44, 0x80000000, v44
	v_lshl_add_u32 v42, v42, 23, v45
	v_or3_b32 v54, v44, v42, v43
.LBB589_111:
	s_or_b64 exec, exec, s[10:11]
.LBB589_112:
	s_or_b64 exec, exec, s[8:9]
.LBB589_113:
	s_or_b64 exec, exec, s[2:3]
	s_nop 3
	v_lshrrev_b16_e32 v42, 8, v38
	v_cmp_ne_u16_e32 vcc, 0, v42
	v_mov_b32_e32 v43, 0
	v_mov_b32_e32 v44, 0
	s_and_saveexec_b64 s[2:3], vcc
	s_cbranch_execz .LBB589_119
; %bb.114:
	s_movk_i32 s8, 0x80
	v_cmp_ne_u16_e32 vcc, s8, v42
	v_bfrev_b32_e32 v44, 1
	s_and_saveexec_b64 s[8:9], vcc
	s_cbranch_execz .LBB589_118
; %bb.115:
	s_movk_i32 s10, 0x7f
	v_and_b32_e32 v45, 0x7f, v42
	v_cmp_ne_u32_e32 vcc, s10, v45
	v_mov_b32_e32 v44, 0x7f800001
	s_and_saveexec_b64 s[10:11], vcc
	s_cbranch_execz .LBB589_117
; %bb.116:
	v_and_b32_e32 v44, 7, v42
	v_ffbh_u32_e32 v56, v44
	v_min_u32_e32 v58, 32, v56
	v_subrev_u32_e32 v56, 28, v58
	v_lshlrev_b64 v[56:57], v56, v[42:43]
	v_lshrrev_b32_e32 v55, 3, v45
	v_sub_u32_e32 v42, 29, v58
	v_and_b32_e32 v56, 7, v56
	v_cmp_gt_u32_e32 vcc, 8, v45
	v_cndmask_b32_e32 v42, v55, v42, vcc
	v_cndmask_b32_e32 v44, v44, v56, vcc
	v_lshlrev_b32_e32 v45, 16, v38
	v_bfrev_b32_e32 v55, 60
	v_lshlrev_b32_e32 v44, 20, v44
	v_and_b32_e32 v45, 0x80000000, v45
	v_lshl_add_u32 v42, v42, 23, v55
	v_or3_b32 v44, v45, v42, v44
.LBB589_117:
	s_or_b64 exec, exec, s[10:11]
.LBB589_118:
	s_or_b64 exec, exec, s[8:9]
.LBB589_119:
	s_or_b64 exec, exec, s[2:3]
	s_movk_i32 s2, 0xff
	v_and_b32_sdwa v45, v38, s2 dst_sel:DWORD dst_unused:UNUSED_PAD src0_sel:WORD_1 src1_sel:DWORD
	v_lshrrev_b32_e32 v42, 16, v38
	v_cmp_ne_u16_e32 vcc, 0, v45
	s_and_saveexec_b64 s[2:3], vcc
	s_cbranch_execz .LBB589_125
; %bb.120:
	s_movk_i32 s8, 0x80
	v_cmp_ne_u16_e32 vcc, s8, v45
	v_bfrev_b32_e32 v43, 1
	s_and_saveexec_b64 s[8:9], vcc
	s_cbranch_execz .LBB589_124
; %bb.121:
	v_bfe_u32 v45, v38, 16, 7
	s_movk_i32 s10, 0x7f
	v_cmp_ne_u32_e32 vcc, s10, v45
	v_mov_b32_e32 v43, 0x7f800001
	s_and_saveexec_b64 s[10:11], vcc
	s_cbranch_execz .LBB589_123
; %bb.122:
	v_and_b32_e32 v55, 7, v42
	v_ffbh_u32_e32 v43, v55
	v_min_u32_e32 v57, 32, v43
	v_subrev_u32_e32 v43, 28, v57
	v_lshlrev_b64 v[42:43], v43, v[42:43]
	v_lshrrev_b32_e32 v56, 3, v45
	v_sub_u32_e32 v43, 29, v57
	v_and_b32_e32 v42, 7, v42
	v_cmp_gt_u32_e32 vcc, 8, v45
	v_mov_b32_e32 v45, 24
	v_cndmask_b32_e32 v43, v56, v43, vcc
	v_cndmask_b32_e32 v42, v55, v42, vcc
	v_lshlrev_b32_sdwa v45, v45, v38 dst_sel:DWORD dst_unused:UNUSED_PAD src0_sel:DWORD src1_sel:WORD_1
	v_bfrev_b32_e32 v55, 60
	v_lshlrev_b32_e32 v42, 20, v42
	v_and_b32_e32 v45, 0x80000000, v45
	v_lshl_add_u32 v43, v43, 23, v55
	v_or3_b32 v43, v45, v43, v42
.LBB589_123:
	s_or_b64 exec, exec, s[10:11]
.LBB589_124:
	s_or_b64 exec, exec, s[8:9]
.LBB589_125:
	s_or_b64 exec, exec, s[2:3]
	s_mov_b32 s2, 0xffffff
	v_cmp_lt_u32_e32 vcc, s2, v38
	v_mov_b32_e32 v45, 0
	v_mov_b32_e32 v56, 0
	s_and_saveexec_b64 s[2:3], vcc
	s_cbranch_execz .LBB589_131
; %bb.126:
	v_lshrrev_b32_e32 v42, 24, v38
	s_movk_i32 s8, 0x80
	v_cmp_ne_u32_e32 vcc, s8, v42
	v_bfrev_b32_e32 v56, 1
	s_and_saveexec_b64 s[8:9], vcc
	s_cbranch_execz .LBB589_130
; %bb.127:
	v_bfe_u32 v38, v38, 24, 7
	s_movk_i32 s10, 0x7f
	v_cmp_ne_u32_e32 vcc, s10, v38
	v_mov_b32_e32 v56, 0x7f800001
	s_and_saveexec_b64 s[10:11], vcc
	s_cbranch_execz .LBB589_129
; %bb.128:
	v_and_b32_e32 v55, 7, v42
	v_ffbh_u32_e32 v56, v55
	v_min_u32_e32 v59, 32, v56
	v_subrev_u32_e32 v56, 28, v59
	v_lshlrev_b64 v[56:57], v56, v[42:43]
	v_lshrrev_b32_e32 v58, 3, v38
	v_sub_u32_e32 v57, 29, v59
	v_and_b32_e32 v56, 7, v56
	v_cmp_gt_u32_e32 vcc, 8, v38
	v_cndmask_b32_e32 v38, v58, v57, vcc
	v_cndmask_b32_e32 v55, v55, v56, vcc
	v_lshlrev_b32_e32 v42, 24, v42
	v_bfrev_b32_e32 v56, 60
	v_lshlrev_b32_e32 v55, 20, v55
	v_and_b32_e32 v42, 0x80000000, v42
	v_lshl_add_u32 v38, v38, 23, v56
	v_or3_b32 v56, v42, v38, v55
.LBB589_129:
	s_or_b64 exec, exec, s[10:11]
.LBB589_130:
	s_or_b64 exec, exec, s[8:9]
.LBB589_131:
	s_or_b64 exec, exec, s[2:3]
	v_cmp_ne_u16_sdwa s[8:9], v39, v45 src0_sel:BYTE_0 src1_sel:DWORD
	s_and_saveexec_b64 s[2:3], s[8:9]
	s_cbranch_execz .LBB589_137
; %bb.132:
	s_movk_i32 s8, 0x80
	v_cmp_ne_u16_sdwa s[10:11], v39, s8 src0_sel:BYTE_0 src1_sel:DWORD
	v_bfrev_b32_e32 v45, 1
	s_and_saveexec_b64 s[8:9], s[10:11]
	s_cbranch_execz .LBB589_136
; %bb.133:
	s_movk_i32 s10, 0x7f
	v_and_b32_e32 v38, 0x7f, v39
	v_cmp_ne_u32_e32 vcc, s10, v38
	v_mov_b32_e32 v45, 0x7f800001
	s_and_saveexec_b64 s[10:11], vcc
	s_cbranch_execz .LBB589_135
; %bb.134:
	v_and_b32_e32 v45, 7, v39
	v_ffbh_u32_e32 v57, v45
	v_min_u32_e32 v57, 32, v57
	v_mov_b32_e32 v42, v39
	v_subrev_u32_e32 v58, 28, v57
	v_lshlrev_b64 v[58:59], v58, v[42:43]
	v_lshrrev_b32_e32 v55, 3, v38
	v_sub_u32_e32 v42, 29, v57
	v_and_b32_e32 v57, 7, v58
	v_cmp_gt_u32_e32 vcc, 8, v38
	v_cndmask_b32_e32 v38, v55, v42, vcc
	v_cndmask_b32_e32 v42, v45, v57, vcc
	v_lshlrev_b32_e32 v45, 24, v39
	v_bfrev_b32_e32 v55, 60
	v_lshlrev_b32_e32 v42, 20, v42
	v_and_b32_e32 v45, 0x80000000, v45
	v_lshl_add_u32 v38, v38, 23, v55
	v_or3_b32 v45, v45, v38, v42
.LBB589_135:
	s_or_b64 exec, exec, s[10:11]
.LBB589_136:
	s_or_b64 exec, exec, s[8:9]
.LBB589_137:
	s_or_b64 exec, exec, s[2:3]
	v_lshrrev_b16_e32 v38, 8, v39
	v_cmp_ne_u16_e32 vcc, 0, v38
	v_mov_b32_e32 v42, 0
	v_mov_b32_e32 v57, 0
	s_and_saveexec_b64 s[2:3], vcc
	s_cbranch_execz .LBB589_143
; %bb.138:
	s_movk_i32 s8, 0x80
	v_cmp_ne_u16_e32 vcc, s8, v38
	v_bfrev_b32_e32 v57, 1
	s_and_saveexec_b64 s[8:9], vcc
	s_cbranch_execz .LBB589_142
; %bb.139:
	s_movk_i32 s10, 0x7f
	v_and_b32_e32 v55, 0x7f, v38
	v_cmp_ne_u32_e32 vcc, s10, v55
	v_mov_b32_e32 v57, 0x7f800001
	s_and_saveexec_b64 s[10:11], vcc
	s_cbranch_execz .LBB589_141
; %bb.140:
	v_and_b32_e32 v57, 7, v38
	v_ffbh_u32_e32 v58, v57
	v_min_u32_e32 v61, 32, v58
	v_subrev_u32_e32 v58, 28, v61
	v_lshlrev_b64 v[58:59], v58, v[38:39]
	v_lshrrev_b32_e32 v60, 3, v55
	v_sub_u32_e32 v38, 29, v61
	v_and_b32_e32 v58, 7, v58
	v_cmp_gt_u32_e32 vcc, 8, v55
	v_cndmask_b32_e32 v38, v60, v38, vcc
	v_cndmask_b32_e32 v55, v57, v58, vcc
	v_lshlrev_b32_e32 v57, 16, v39
	v_bfrev_b32_e32 v58, 60
	v_lshlrev_b32_e32 v55, 20, v55
	v_and_b32_e32 v57, 0x80000000, v57
	v_lshl_add_u32 v38, v38, 23, v58
	v_or3_b32 v57, v57, v38, v55
.LBB589_141:
	s_or_b64 exec, exec, s[10:11]
.LBB589_142:
	s_or_b64 exec, exec, s[8:9]
.LBB589_143:
	s_or_b64 exec, exec, s[2:3]
	s_movk_i32 s2, 0xff
	v_and_b32_sdwa v55, v39, s2 dst_sel:DWORD dst_unused:UNUSED_PAD src0_sel:WORD_1 src1_sel:DWORD
	v_lshrrev_b32_e32 v38, 16, v39
	v_cmp_ne_u16_e32 vcc, 0, v55
	s_and_saveexec_b64 s[2:3], vcc
	s_cbranch_execz .LBB589_149
; %bb.144:
	s_movk_i32 s8, 0x80
	v_cmp_ne_u16_e32 vcc, s8, v55
	v_bfrev_b32_e32 v42, 1
	s_and_saveexec_b64 s[8:9], vcc
	s_cbranch_execz .LBB589_148
; %bb.145:
	v_bfe_u32 v55, v39, 16, 7
	s_movk_i32 s10, 0x7f
	v_cmp_ne_u32_e32 vcc, s10, v55
	v_mov_b32_e32 v42, 0x7f800001
	s_and_saveexec_b64 s[10:11], vcc
	s_cbranch_execz .LBB589_147
; %bb.146:
	v_and_b32_e32 v42, 7, v38
	v_ffbh_u32_e32 v58, v42
	v_min_u32_e32 v61, 32, v58
	v_subrev_u32_e32 v58, 28, v61
	v_lshlrev_b64 v[58:59], v58, v[38:39]
	v_lshrrev_b32_e32 v60, 3, v55
	v_sub_u32_e32 v38, 29, v61
	v_and_b32_e32 v58, 7, v58
	v_cmp_gt_u32_e32 vcc, 8, v55
	v_mov_b32_e32 v55, 24
	v_cndmask_b32_e32 v38, v60, v38, vcc
	v_cndmask_b32_e32 v42, v42, v58, vcc
	v_lshlrev_b32_sdwa v55, v55, v39 dst_sel:DWORD dst_unused:UNUSED_PAD src0_sel:DWORD src1_sel:WORD_1
	v_bfrev_b32_e32 v58, 60
	v_lshlrev_b32_e32 v42, 20, v42
	v_and_b32_e32 v55, 0x80000000, v55
	v_lshl_add_u32 v38, v38, 23, v58
	v_or3_b32 v42, v55, v38, v42
.LBB589_147:
	s_or_b64 exec, exec, s[10:11]
.LBB589_148:
	s_or_b64 exec, exec, s[8:9]
.LBB589_149:
	s_or_b64 exec, exec, s[2:3]
	s_mov_b32 s2, 0xffffff
	v_cmp_lt_u32_e32 vcc, s2, v39
	v_mov_b32_e32 v55, 0
	v_mov_b32_e32 v58, 0
	s_and_saveexec_b64 s[2:3], vcc
	s_cbranch_execz .LBB589_155
; %bb.150:
	v_lshrrev_b32_e32 v38, 24, v39
	s_movk_i32 s8, 0x80
	v_cmp_ne_u32_e32 vcc, s8, v38
	v_bfrev_b32_e32 v58, 1
	s_and_saveexec_b64 s[8:9], vcc
	s_cbranch_execz .LBB589_154
; %bb.151:
	v_bfe_u32 v39, v39, 24, 7
	s_movk_i32 s10, 0x7f
	v_cmp_ne_u32_e32 vcc, s10, v39
	v_mov_b32_e32 v58, 0x7f800001
	s_and_saveexec_b64 s[10:11], vcc
	s_cbranch_execz .LBB589_153
; %bb.152:
	v_and_b32_e32 v60, 7, v38
	v_ffbh_u32_e32 v58, v60
	v_min_u32_e32 v62, 32, v58
	v_subrev_u32_e32 v58, 28, v62
	v_lshlrev_b64 v[58:59], v58, v[38:39]
	v_lshrrev_b32_e32 v61, 3, v39
	v_sub_u32_e32 v59, 29, v62
	v_and_b32_e32 v58, 7, v58
	v_cmp_gt_u32_e32 vcc, 8, v39
	v_cndmask_b32_e32 v39, v61, v59, vcc
	v_cndmask_b32_e32 v58, v60, v58, vcc
	v_lshlrev_b32_e32 v38, 24, v38
	v_bfrev_b32_e32 v59, 60
	v_lshlrev_b32_e32 v58, 20, v58
	v_and_b32_e32 v38, 0x80000000, v38
	v_lshl_add_u32 v39, v39, 23, v59
	v_or3_b32 v58, v38, v39, v58
.LBB589_153:
	s_or_b64 exec, exec, s[10:11]
.LBB589_154:
	s_or_b64 exec, exec, s[8:9]
.LBB589_155:
	s_or_b64 exec, exec, s[2:3]
	v_cvt_pkrtz_f16_f32 v38, v54, v44
	v_cvt_pkrtz_f16_f32 v39, v43, v56
	v_cmp_ne_u16_sdwa s[8:9], v40, v55 src0_sel:BYTE_0 src1_sel:DWORD
	s_nop 0
	v_mfma_f32_16x16x16f16 v[60:63], v[38:39], v[26:27], 0
	v_cvt_pkrtz_f16_f32 v38, v45, v57
	v_cvt_pkrtz_f16_f32 v39, v42, v58
	s_nop 1
	v_mfma_f32_16x16x16f16 v[42:45], v[38:39], v[28:29], v[60:63]
	s_and_saveexec_b64 s[2:3], s[8:9]
	s_cbranch_execz .LBB589_161
; %bb.156:
	s_movk_i32 s8, 0x80
	v_cmp_ne_u16_sdwa s[10:11], v40, s8 src0_sel:BYTE_0 src1_sel:DWORD
	v_bfrev_b32_e32 v55, 1
	s_and_saveexec_b64 s[8:9], s[10:11]
	s_cbranch_execz .LBB589_160
; %bb.157:
	s_movk_i32 s10, 0x7f
	v_and_b32_e32 v38, 0x7f, v40
	v_cmp_ne_u32_e32 vcc, s10, v38
	v_mov_b32_e32 v55, 0x7f800001
	s_and_saveexec_b64 s[10:11], vcc
	s_cbranch_execz .LBB589_159
; %bb.158:
	v_and_b32_e32 v39, 7, v40
	v_ffbh_u32_e32 v54, v39
	v_min_u32_e32 v57, 32, v54
	v_subrev_u32_e32 v54, 28, v57
	v_lshlrev_b64 v[54:55], v54, v[40:41]
	v_lshrrev_b32_e32 v56, 3, v38
	v_sub_u32_e32 v55, 29, v57
	v_and_b32_e32 v54, 7, v54
	v_cmp_gt_u32_e32 vcc, 8, v38
	v_cndmask_b32_e32 v38, v56, v55, vcc
	v_cndmask_b32_e32 v39, v39, v54, vcc
	v_lshlrev_b32_e32 v54, 24, v40
	v_bfrev_b32_e32 v55, 60
	v_lshlrev_b32_e32 v39, 20, v39
	v_and_b32_e32 v54, 0x80000000, v54
	v_lshl_add_u32 v38, v38, 23, v55
	v_or3_b32 v55, v54, v38, v39
.LBB589_159:
	s_or_b64 exec, exec, s[10:11]
.LBB589_160:
	s_or_b64 exec, exec, s[8:9]
.LBB589_161:
	s_or_b64 exec, exec, s[2:3]
	v_lshrrev_b16_e32 v38, 8, v40
	v_cmp_ne_u16_e32 vcc, 0, v38
	v_mov_b32_e32 v39, 0
	v_mov_b32_e32 v56, 0
	s_and_saveexec_b64 s[2:3], vcc
	s_cbranch_execz .LBB589_167
; %bb.162:
	s_movk_i32 s8, 0x80
	v_cmp_ne_u16_e32 vcc, s8, v38
	v_bfrev_b32_e32 v56, 1
	s_and_saveexec_b64 s[8:9], vcc
	s_cbranch_execz .LBB589_166
; %bb.163:
	s_movk_i32 s10, 0x7f
	v_and_b32_e32 v54, 0x7f, v38
	v_cmp_ne_u32_e32 vcc, s10, v54
	v_mov_b32_e32 v56, 0x7f800001
	s_and_saveexec_b64 s[10:11], vcc
	s_cbranch_execz .LBB589_165
; %bb.164:
	v_and_b32_e32 v58, 7, v38
	v_ffbh_u32_e32 v56, v58
	v_min_u32_e32 v60, 32, v56
	v_subrev_u32_e32 v56, 28, v60
	v_lshlrev_b64 v[56:57], v56, v[38:39]
	v_lshrrev_b32_e32 v59, 3, v54
	v_sub_u32_e32 v38, 29, v60
	v_and_b32_e32 v56, 7, v56
	v_cmp_gt_u32_e32 vcc, 8, v54
	v_cndmask_b32_e32 v38, v59, v38, vcc
	v_cndmask_b32_e32 v54, v58, v56, vcc
	v_lshlrev_b32_e32 v56, 16, v40
	v_bfrev_b32_e32 v57, 60
	v_lshlrev_b32_e32 v54, 20, v54
	v_and_b32_e32 v56, 0x80000000, v56
	v_lshl_add_u32 v38, v38, 23, v57
	v_or3_b32 v56, v56, v38, v54
.LBB589_165:
	s_or_b64 exec, exec, s[10:11]
.LBB589_166:
	s_or_b64 exec, exec, s[8:9]
.LBB589_167:
	s_or_b64 exec, exec, s[2:3]
	s_movk_i32 s2, 0xff
	v_and_b32_sdwa v54, v40, s2 dst_sel:DWORD dst_unused:UNUSED_PAD src0_sel:WORD_1 src1_sel:DWORD
	v_lshrrev_b32_e32 v38, 16, v40
	v_cmp_ne_u16_e32 vcc, 0, v54
	s_and_saveexec_b64 s[2:3], vcc
	s_cbranch_execz .LBB589_173
; %bb.168:
	s_movk_i32 s8, 0x80
	v_cmp_ne_u16_e32 vcc, s8, v54
	v_bfrev_b32_e32 v39, 1
	s_and_saveexec_b64 s[8:9], vcc
	s_cbranch_execz .LBB589_172
; %bb.169:
	v_bfe_u32 v54, v40, 16, 7
	s_movk_i32 s10, 0x7f
	v_cmp_ne_u32_e32 vcc, s10, v54
	v_mov_b32_e32 v39, 0x7f800001
	s_and_saveexec_b64 s[10:11], vcc
	s_cbranch_execz .LBB589_171
; %bb.170:
	v_and_b32_e32 v57, 7, v38
	v_ffbh_u32_e32 v39, v57
	v_min_u32_e32 v59, 32, v39
	v_subrev_u32_e32 v39, 28, v59
	v_lshlrev_b64 v[38:39], v39, v[38:39]
	v_lshrrev_b32_e32 v58, 3, v54
	v_sub_u32_e32 v39, 29, v59
	v_and_b32_e32 v38, 7, v38
	v_cmp_gt_u32_e32 vcc, 8, v54
	v_mov_b32_e32 v54, 24
	v_cndmask_b32_e32 v39, v58, v39, vcc
	v_cndmask_b32_e32 v38, v57, v38, vcc
	v_lshlrev_b32_sdwa v54, v54, v40 dst_sel:DWORD dst_unused:UNUSED_PAD src0_sel:DWORD src1_sel:WORD_1
	v_bfrev_b32_e32 v57, 60
	v_lshlrev_b32_e32 v38, 20, v38
	v_and_b32_e32 v54, 0x80000000, v54
	v_lshl_add_u32 v39, v39, 23, v57
	v_or3_b32 v39, v54, v39, v38
.LBB589_171:
	s_or_b64 exec, exec, s[10:11]
.LBB589_172:
	s_or_b64 exec, exec, s[8:9]
.LBB589_173:
	s_or_b64 exec, exec, s[2:3]
	s_mov_b32 s2, 0xffffff
	v_cmp_lt_u32_e32 vcc, s2, v40
	v_mov_b32_e32 v57, 0
	v_mov_b32_e32 v58, 0
	s_and_saveexec_b64 s[2:3], vcc
	s_cbranch_execz .LBB589_179
; %bb.174:
	v_lshrrev_b32_e32 v38, 24, v40
	s_movk_i32 s8, 0x80
	v_cmp_ne_u32_e32 vcc, s8, v38
	v_bfrev_b32_e32 v58, 1
	s_and_saveexec_b64 s[8:9], vcc
	s_cbranch_execz .LBB589_178
; %bb.175:
	v_bfe_u32 v40, v40, 24, 7
	s_movk_i32 s10, 0x7f
	v_cmp_ne_u32_e32 vcc, s10, v40
	v_mov_b32_e32 v58, 0x7f800001
	s_and_saveexec_b64 s[10:11], vcc
	s_cbranch_execz .LBB589_177
; %bb.176:
	v_and_b32_e32 v54, 7, v38
	v_ffbh_u32_e32 v58, v54
	v_min_u32_e32 v61, 32, v58
	v_subrev_u32_e32 v58, 28, v61
	v_lshlrev_b64 v[58:59], v58, v[38:39]
	v_lshrrev_b32_e32 v60, 3, v40
	v_sub_u32_e32 v59, 29, v61
	v_and_b32_e32 v58, 7, v58
	v_cmp_gt_u32_e32 vcc, 8, v40
	v_cndmask_b32_e32 v40, v60, v59, vcc
	v_cndmask_b32_e32 v54, v54, v58, vcc
	v_lshlrev_b32_e32 v38, 24, v38
	v_bfrev_b32_e32 v58, 60
	v_lshlrev_b32_e32 v54, 20, v54
	v_and_b32_e32 v38, 0x80000000, v38
	v_lshl_add_u32 v40, v40, 23, v58
	v_or3_b32 v58, v38, v40, v54
.LBB589_177:
	s_or_b64 exec, exec, s[10:11]
.LBB589_178:
	s_or_b64 exec, exec, s[8:9]
.LBB589_179:
	s_or_b64 exec, exec, s[2:3]
	v_cmp_ne_u16_sdwa s[8:9], v41, v57 src0_sel:BYTE_0 src1_sel:DWORD
	s_and_saveexec_b64 s[2:3], s[8:9]
	s_cbranch_execz .LBB589_185
; %bb.180:
	s_movk_i32 s8, 0x80
	v_cmp_ne_u16_sdwa s[10:11], v41, s8 src0_sel:BYTE_0 src1_sel:DWORD
	v_bfrev_b32_e32 v57, 1
	s_and_saveexec_b64 s[8:9], s[10:11]
	s_cbranch_execz .LBB589_184
; %bb.181:
	s_movk_i32 s10, 0x7f
	v_and_b32_e32 v38, 0x7f, v41
	v_cmp_ne_u32_e32 vcc, s10, v38
	v_mov_b32_e32 v57, 0x7f800001
	s_and_saveexec_b64 s[10:11], vcc
	s_cbranch_execz .LBB589_183
; %bb.182:
	v_and_b32_e32 v54, 7, v41
	v_ffbh_u32_e32 v59, v54
	v_min_u32_e32 v59, 32, v59
	v_mov_b32_e32 v40, v41
	v_subrev_u32_e32 v60, 28, v59
	v_lshlrev_b64 v[60:61], v60, v[40:41]
	v_lshrrev_b32_e32 v57, 3, v38
	v_sub_u32_e32 v40, 29, v59
	v_and_b32_e32 v59, 7, v60
	v_cmp_gt_u32_e32 vcc, 8, v38
	v_cndmask_b32_e32 v38, v57, v40, vcc
	v_cndmask_b32_e32 v40, v54, v59, vcc
	v_lshlrev_b32_e32 v54, 24, v41
	v_bfrev_b32_e32 v57, 60
	v_lshlrev_b32_e32 v40, 20, v40
	v_and_b32_e32 v54, 0x80000000, v54
	v_lshl_add_u32 v38, v38, 23, v57
	v_or3_b32 v57, v54, v38, v40
.LBB589_183:
	s_or_b64 exec, exec, s[10:11]
.LBB589_184:
	s_or_b64 exec, exec, s[8:9]
.LBB589_185:
	s_or_b64 exec, exec, s[2:3]
	v_lshrrev_b16_e32 v38, 8, v41
	v_cmp_ne_u16_e32 vcc, 0, v38
	v_mov_b32_e32 v40, 0
	v_mov_b32_e32 v59, 0
	s_and_saveexec_b64 s[2:3], vcc
	s_cbranch_execz .LBB589_191
; %bb.186:
	s_movk_i32 s8, 0x80
	v_cmp_ne_u16_e32 vcc, s8, v38
	v_bfrev_b32_e32 v59, 1
	s_and_saveexec_b64 s[8:9], vcc
	s_cbranch_execz .LBB589_190
; %bb.187:
	s_movk_i32 s10, 0x7f
	v_and_b32_e32 v54, 0x7f, v38
	v_cmp_ne_u32_e32 vcc, s10, v54
	v_mov_b32_e32 v59, 0x7f800001
	s_and_saveexec_b64 s[10:11], vcc
	s_cbranch_execz .LBB589_189
; %bb.188:
	v_and_b32_e32 v59, 7, v38
	v_ffbh_u32_e32 v60, v59
	v_min_u32_e32 v63, 32, v60
	v_subrev_u32_e32 v60, 28, v63
	v_lshlrev_b64 v[60:61], v60, v[38:39]
	v_lshrrev_b32_e32 v62, 3, v54
	v_sub_u32_e32 v38, 29, v63
	v_and_b32_e32 v60, 7, v60
	v_cmp_gt_u32_e32 vcc, 8, v54
	v_cndmask_b32_e32 v38, v62, v38, vcc
	v_cndmask_b32_e32 v54, v59, v60, vcc
	v_lshlrev_b32_e32 v59, 16, v41
	v_bfrev_b32_e32 v60, 60
	v_lshlrev_b32_e32 v54, 20, v54
	v_and_b32_e32 v59, 0x80000000, v59
	v_lshl_add_u32 v38, v38, 23, v60
	v_or3_b32 v59, v59, v38, v54
.LBB589_189:
	s_or_b64 exec, exec, s[10:11]
.LBB589_190:
	s_or_b64 exec, exec, s[8:9]
.LBB589_191:
	s_or_b64 exec, exec, s[2:3]
	s_movk_i32 s2, 0xff
	v_and_b32_sdwa v54, v41, s2 dst_sel:DWORD dst_unused:UNUSED_PAD src0_sel:WORD_1 src1_sel:DWORD
	v_lshrrev_b32_e32 v38, 16, v41
	v_cmp_ne_u16_e32 vcc, 0, v54
	s_and_saveexec_b64 s[2:3], vcc
	s_cbranch_execz .LBB589_197
; %bb.192:
	s_movk_i32 s8, 0x80
	v_cmp_ne_u16_e32 vcc, s8, v54
	v_bfrev_b32_e32 v40, 1
	s_and_saveexec_b64 s[8:9], vcc
	s_cbranch_execz .LBB589_196
; %bb.193:
	v_bfe_u32 v54, v41, 16, 7
	s_movk_i32 s10, 0x7f
	v_cmp_ne_u32_e32 vcc, s10, v54
	v_mov_b32_e32 v40, 0x7f800001
	s_and_saveexec_b64 s[10:11], vcc
	s_cbranch_execz .LBB589_195
; %bb.194:
	v_and_b32_e32 v40, 7, v38
	v_ffbh_u32_e32 v60, v40
	v_min_u32_e32 v63, 32, v60
	v_subrev_u32_e32 v60, 28, v63
	v_lshlrev_b64 v[60:61], v60, v[38:39]
	v_lshrrev_b32_e32 v62, 3, v54
	v_sub_u32_e32 v38, 29, v63
	v_and_b32_e32 v60, 7, v60
	v_cmp_gt_u32_e32 vcc, 8, v54
	v_mov_b32_e32 v54, 24
	v_cndmask_b32_e32 v38, v62, v38, vcc
	v_cndmask_b32_e32 v40, v40, v60, vcc
	v_lshlrev_b32_sdwa v54, v54, v41 dst_sel:DWORD dst_unused:UNUSED_PAD src0_sel:DWORD src1_sel:WORD_1
	v_bfrev_b32_e32 v60, 60
	v_lshlrev_b32_e32 v40, 20, v40
	v_and_b32_e32 v54, 0x80000000, v54
	v_lshl_add_u32 v38, v38, 23, v60
	v_or3_b32 v40, v54, v38, v40
.LBB589_195:
	s_or_b64 exec, exec, s[10:11]
.LBB589_196:
	s_or_b64 exec, exec, s[8:9]
.LBB589_197:
	s_or_b64 exec, exec, s[2:3]
	s_mov_b32 s2, 0xffffff
	v_cmp_lt_u32_e32 vcc, s2, v41
	v_mov_b32_e32 v54, 0
	v_mov_b32_e32 v60, 0
	s_and_saveexec_b64 s[2:3], vcc
	s_cbranch_execz .LBB589_203
; %bb.198:
	v_lshrrev_b32_e32 v38, 24, v41
	s_movk_i32 s8, 0x80
	v_cmp_ne_u32_e32 vcc, s8, v38
	v_bfrev_b32_e32 v60, 1
	s_and_saveexec_b64 s[8:9], vcc
	s_cbranch_execz .LBB589_202
; %bb.199:
	v_bfe_u32 v41, v41, 24, 7
	s_movk_i32 s10, 0x7f
	v_cmp_ne_u32_e32 vcc, s10, v41
	v_mov_b32_e32 v60, 0x7f800001
	s_and_saveexec_b64 s[10:11], vcc
	s_cbranch_execz .LBB589_201
; %bb.200:
	v_and_b32_e32 v62, 7, v38
	v_ffbh_u32_e32 v60, v62
	v_min_u32_e32 v64, 32, v60
	v_subrev_u32_e32 v60, 28, v64
	v_lshlrev_b64 v[60:61], v60, v[38:39]
	v_lshrrev_b32_e32 v63, 3, v41
	v_sub_u32_e32 v61, 29, v64
	v_and_b32_e32 v60, 7, v60
	v_cmp_gt_u32_e32 vcc, 8, v41
	v_cndmask_b32_e32 v41, v63, v61, vcc
	v_cndmask_b32_e32 v60, v62, v60, vcc
	v_lshlrev_b32_e32 v38, 24, v38
	v_bfrev_b32_e32 v61, 60
	v_lshlrev_b32_e32 v60, 20, v60
	v_and_b32_e32 v38, 0x80000000, v38
	v_lshl_add_u32 v41, v41, 23, v61
	v_or3_b32 v60, v38, v41, v60
.LBB589_201:
	s_or_b64 exec, exec, s[10:11]
.LBB589_202:
	s_or_b64 exec, exec, s[8:9]
.LBB589_203:
	s_or_b64 exec, exec, s[2:3]
	v_cvt_pkrtz_f16_f32 v38, v55, v56
	v_cvt_pkrtz_f16_f32 v39, v39, v58
	s_waitcnt vmcnt(6)
	v_cmp_ne_u16_sdwa s[8:9], v34, v54 src0_sel:BYTE_0 src1_sel:DWORD
	v_mfma_f32_16x16x16f16 v[42:45], v[38:39], v[18:19], v[42:45]
	v_cvt_pkrtz_f16_f32 v38, v57, v59
	v_cvt_pkrtz_f16_f32 v39, v40, v60
	s_nop 1
	v_mfma_f32_16x16x16f16 v[38:41], v[38:39], v[20:21], v[42:45]
	s_and_saveexec_b64 s[2:3], s[8:9]
	s_cbranch_execz .LBB589_209
; %bb.204:
	s_movk_i32 s8, 0x80
	v_cmp_ne_u16_sdwa s[10:11], v34, s8 src0_sel:BYTE_0 src1_sel:DWORD
	v_bfrev_b32_e32 v54, 1
	s_and_saveexec_b64 s[8:9], s[10:11]
	s_cbranch_execz .LBB589_208
; %bb.205:
	s_movk_i32 s10, 0x7f
	v_and_b32_e32 v42, 0x7f, v34
	v_cmp_ne_u32_e32 vcc, s10, v42
	v_mov_b32_e32 v54, 0x7f800001
	s_and_saveexec_b64 s[10:11], vcc
	s_cbranch_execz .LBB589_207
; %bb.206:
	v_and_b32_e32 v43, 7, v34
	v_ffbh_u32_e32 v44, v43
	v_min_u32_e32 v55, 32, v44
	v_subrev_u32_e32 v44, 28, v55
	v_lshlrev_b64 v[44:45], v44, v[34:35]
	v_lshrrev_b32_e32 v54, 3, v42
	v_sub_u32_e32 v45, 29, v55
	v_and_b32_e32 v44, 7, v44
	v_cmp_gt_u32_e32 vcc, 8, v42
	v_cndmask_b32_e32 v42, v54, v45, vcc
	v_cndmask_b32_e32 v43, v43, v44, vcc
	v_lshlrev_b32_e32 v44, 24, v34
	v_bfrev_b32_e32 v45, 60
	v_lshlrev_b32_e32 v43, 20, v43
	v_and_b32_e32 v44, 0x80000000, v44
	v_lshl_add_u32 v42, v42, 23, v45
	v_or3_b32 v54, v44, v42, v43
.LBB589_207:
	s_or_b64 exec, exec, s[10:11]
.LBB589_208:
	s_or_b64 exec, exec, s[8:9]
.LBB589_209:
	s_or_b64 exec, exec, s[2:3]
	s_nop 3
	v_lshrrev_b16_e32 v42, 8, v34
	v_cmp_ne_u16_e32 vcc, 0, v42
	v_mov_b32_e32 v43, 0
	v_mov_b32_e32 v44, 0
	s_and_saveexec_b64 s[2:3], vcc
	s_cbranch_execz .LBB589_215
; %bb.210:
	s_movk_i32 s8, 0x80
	v_cmp_ne_u16_e32 vcc, s8, v42
	v_bfrev_b32_e32 v44, 1
	s_and_saveexec_b64 s[8:9], vcc
	s_cbranch_execz .LBB589_214
; %bb.211:
	s_movk_i32 s10, 0x7f
	v_and_b32_e32 v45, 0x7f, v42
	v_cmp_ne_u32_e32 vcc, s10, v45
	v_mov_b32_e32 v44, 0x7f800001
	s_and_saveexec_b64 s[10:11], vcc
	s_cbranch_execz .LBB589_213
; %bb.212:
	v_and_b32_e32 v44, 7, v42
	v_ffbh_u32_e32 v56, v44
	v_min_u32_e32 v58, 32, v56
	v_subrev_u32_e32 v56, 28, v58
	v_lshlrev_b64 v[56:57], v56, v[42:43]
	v_lshrrev_b32_e32 v55, 3, v45
	v_sub_u32_e32 v42, 29, v58
	v_and_b32_e32 v56, 7, v56
	v_cmp_gt_u32_e32 vcc, 8, v45
	v_cndmask_b32_e32 v42, v55, v42, vcc
	v_cndmask_b32_e32 v44, v44, v56, vcc
	v_lshlrev_b32_e32 v45, 16, v34
	v_bfrev_b32_e32 v55, 60
	v_lshlrev_b32_e32 v44, 20, v44
	v_and_b32_e32 v45, 0x80000000, v45
	v_lshl_add_u32 v42, v42, 23, v55
	v_or3_b32 v44, v45, v42, v44
.LBB589_213:
	s_or_b64 exec, exec, s[10:11]
.LBB589_214:
	s_or_b64 exec, exec, s[8:9]
.LBB589_215:
	s_or_b64 exec, exec, s[2:3]
	s_movk_i32 s2, 0xff
	v_and_b32_sdwa v45, v34, s2 dst_sel:DWORD dst_unused:UNUSED_PAD src0_sel:WORD_1 src1_sel:DWORD
	v_lshrrev_b32_e32 v42, 16, v34
	v_cmp_ne_u16_e32 vcc, 0, v45
	s_and_saveexec_b64 s[2:3], vcc
	s_cbranch_execz .LBB589_221
; %bb.216:
	s_movk_i32 s8, 0x80
	v_cmp_ne_u16_e32 vcc, s8, v45
	v_bfrev_b32_e32 v43, 1
	s_and_saveexec_b64 s[8:9], vcc
	s_cbranch_execz .LBB589_220
; %bb.217:
	v_bfe_u32 v45, v34, 16, 7
	s_movk_i32 s10, 0x7f
	v_cmp_ne_u32_e32 vcc, s10, v45
	v_mov_b32_e32 v43, 0x7f800001
	s_and_saveexec_b64 s[10:11], vcc
	s_cbranch_execz .LBB589_219
; %bb.218:
	v_and_b32_e32 v55, 7, v42
	v_ffbh_u32_e32 v43, v55
	v_min_u32_e32 v57, 32, v43
	v_subrev_u32_e32 v43, 28, v57
	v_lshlrev_b64 v[42:43], v43, v[42:43]
	v_lshrrev_b32_e32 v56, 3, v45
	v_sub_u32_e32 v43, 29, v57
	v_and_b32_e32 v42, 7, v42
	v_cmp_gt_u32_e32 vcc, 8, v45
	v_mov_b32_e32 v45, 24
	v_cndmask_b32_e32 v43, v56, v43, vcc
	v_cndmask_b32_e32 v42, v55, v42, vcc
	v_lshlrev_b32_sdwa v45, v45, v34 dst_sel:DWORD dst_unused:UNUSED_PAD src0_sel:DWORD src1_sel:WORD_1
	v_bfrev_b32_e32 v55, 60
	v_lshlrev_b32_e32 v42, 20, v42
	v_and_b32_e32 v45, 0x80000000, v45
	v_lshl_add_u32 v43, v43, 23, v55
	v_or3_b32 v43, v45, v43, v42
.LBB589_219:
	s_or_b64 exec, exec, s[10:11]
.LBB589_220:
	s_or_b64 exec, exec, s[8:9]
.LBB589_221:
	s_or_b64 exec, exec, s[2:3]
	s_mov_b32 s2, 0xffffff
	v_cmp_lt_u32_e32 vcc, s2, v34
	v_mov_b32_e32 v45, 0
	v_mov_b32_e32 v56, 0
	s_and_saveexec_b64 s[2:3], vcc
	s_cbranch_execz .LBB589_227
; %bb.222:
	v_lshrrev_b32_e32 v42, 24, v34
	s_movk_i32 s8, 0x80
	v_cmp_ne_u32_e32 vcc, s8, v42
	v_bfrev_b32_e32 v56, 1
	s_and_saveexec_b64 s[8:9], vcc
	s_cbranch_execz .LBB589_226
; %bb.223:
	v_bfe_u32 v34, v34, 24, 7
	s_movk_i32 s10, 0x7f
	v_cmp_ne_u32_e32 vcc, s10, v34
	v_mov_b32_e32 v56, 0x7f800001
	s_and_saveexec_b64 s[10:11], vcc
	s_cbranch_execz .LBB589_225
; %bb.224:
	v_and_b32_e32 v55, 7, v42
	v_ffbh_u32_e32 v56, v55
	v_min_u32_e32 v59, 32, v56
	v_subrev_u32_e32 v56, 28, v59
	v_lshlrev_b64 v[56:57], v56, v[42:43]
	v_lshrrev_b32_e32 v58, 3, v34
	v_sub_u32_e32 v57, 29, v59
	v_and_b32_e32 v56, 7, v56
	v_cmp_gt_u32_e32 vcc, 8, v34
	v_cndmask_b32_e32 v34, v58, v57, vcc
	v_cndmask_b32_e32 v55, v55, v56, vcc
	v_lshlrev_b32_e32 v42, 24, v42
	v_bfrev_b32_e32 v56, 60
	v_lshlrev_b32_e32 v55, 20, v55
	v_and_b32_e32 v42, 0x80000000, v42
	v_lshl_add_u32 v34, v34, 23, v56
	v_or3_b32 v56, v42, v34, v55
.LBB589_225:
	s_or_b64 exec, exec, s[10:11]
.LBB589_226:
	s_or_b64 exec, exec, s[8:9]
.LBB589_227:
	s_or_b64 exec, exec, s[2:3]
	v_cmp_ne_u16_sdwa s[8:9], v35, v45 src0_sel:BYTE_0 src1_sel:DWORD
	s_and_saveexec_b64 s[2:3], s[8:9]
	s_cbranch_execz .LBB589_233
; %bb.228:
	s_movk_i32 s8, 0x80
	v_cmp_ne_u16_sdwa s[10:11], v35, s8 src0_sel:BYTE_0 src1_sel:DWORD
	v_bfrev_b32_e32 v45, 1
	s_and_saveexec_b64 s[8:9], s[10:11]
	s_cbranch_execz .LBB589_232
; %bb.229:
	s_movk_i32 s10, 0x7f
	v_and_b32_e32 v34, 0x7f, v35
	v_cmp_ne_u32_e32 vcc, s10, v34
	v_mov_b32_e32 v45, 0x7f800001
	s_and_saveexec_b64 s[10:11], vcc
	s_cbranch_execz .LBB589_231
; %bb.230:
	v_and_b32_e32 v45, 7, v35
	v_ffbh_u32_e32 v57, v45
	v_min_u32_e32 v57, 32, v57
	v_mov_b32_e32 v42, v35
	v_subrev_u32_e32 v58, 28, v57
	v_lshlrev_b64 v[58:59], v58, v[42:43]
	v_lshrrev_b32_e32 v55, 3, v34
	v_sub_u32_e32 v42, 29, v57
	v_and_b32_e32 v57, 7, v58
	v_cmp_gt_u32_e32 vcc, 8, v34
	v_cndmask_b32_e32 v34, v55, v42, vcc
	v_cndmask_b32_e32 v42, v45, v57, vcc
	v_lshlrev_b32_e32 v45, 24, v35
	v_bfrev_b32_e32 v55, 60
	v_lshlrev_b32_e32 v42, 20, v42
	v_and_b32_e32 v45, 0x80000000, v45
	v_lshl_add_u32 v34, v34, 23, v55
	v_or3_b32 v45, v45, v34, v42
.LBB589_231:
	s_or_b64 exec, exec, s[10:11]
.LBB589_232:
	s_or_b64 exec, exec, s[8:9]
.LBB589_233:
	s_or_b64 exec, exec, s[2:3]
	v_lshrrev_b16_e32 v34, 8, v35
	v_cmp_ne_u16_e32 vcc, 0, v34
	v_mov_b32_e32 v42, 0
	v_mov_b32_e32 v57, 0
	s_and_saveexec_b64 s[2:3], vcc
	s_cbranch_execz .LBB589_239
; %bb.234:
	s_movk_i32 s8, 0x80
	v_cmp_ne_u16_e32 vcc, s8, v34
	v_bfrev_b32_e32 v57, 1
	s_and_saveexec_b64 s[8:9], vcc
	s_cbranch_execz .LBB589_238
; %bb.235:
	s_movk_i32 s10, 0x7f
	v_and_b32_e32 v55, 0x7f, v34
	v_cmp_ne_u32_e32 vcc, s10, v55
	v_mov_b32_e32 v57, 0x7f800001
	s_and_saveexec_b64 s[10:11], vcc
	s_cbranch_execz .LBB589_237
; %bb.236:
	v_and_b32_e32 v57, 7, v34
	v_ffbh_u32_e32 v58, v57
	v_min_u32_e32 v61, 32, v58
	v_subrev_u32_e32 v58, 28, v61
	v_lshlrev_b64 v[58:59], v58, v[34:35]
	v_lshrrev_b32_e32 v60, 3, v55
	v_sub_u32_e32 v34, 29, v61
	v_and_b32_e32 v58, 7, v58
	v_cmp_gt_u32_e32 vcc, 8, v55
	v_cndmask_b32_e32 v34, v60, v34, vcc
	v_cndmask_b32_e32 v55, v57, v58, vcc
	v_lshlrev_b32_e32 v57, 16, v35
	v_bfrev_b32_e32 v58, 60
	v_lshlrev_b32_e32 v55, 20, v55
	v_and_b32_e32 v57, 0x80000000, v57
	v_lshl_add_u32 v34, v34, 23, v58
	v_or3_b32 v57, v57, v34, v55
.LBB589_237:
	s_or_b64 exec, exec, s[10:11]
.LBB589_238:
	s_or_b64 exec, exec, s[8:9]
.LBB589_239:
	s_or_b64 exec, exec, s[2:3]
	s_movk_i32 s2, 0xff
	v_and_b32_sdwa v55, v35, s2 dst_sel:DWORD dst_unused:UNUSED_PAD src0_sel:WORD_1 src1_sel:DWORD
	v_lshrrev_b32_e32 v34, 16, v35
	v_cmp_ne_u16_e32 vcc, 0, v55
	s_and_saveexec_b64 s[2:3], vcc
	s_cbranch_execz .LBB589_245
; %bb.240:
	s_movk_i32 s8, 0x80
	v_cmp_ne_u16_e32 vcc, s8, v55
	v_bfrev_b32_e32 v42, 1
	s_and_saveexec_b64 s[8:9], vcc
	s_cbranch_execz .LBB589_244
; %bb.241:
	v_bfe_u32 v55, v35, 16, 7
	s_movk_i32 s10, 0x7f
	v_cmp_ne_u32_e32 vcc, s10, v55
	v_mov_b32_e32 v42, 0x7f800001
	s_and_saveexec_b64 s[10:11], vcc
	s_cbranch_execz .LBB589_243
; %bb.242:
	v_and_b32_e32 v42, 7, v34
	v_ffbh_u32_e32 v58, v42
	v_min_u32_e32 v61, 32, v58
	v_subrev_u32_e32 v58, 28, v61
	v_lshlrev_b64 v[58:59], v58, v[34:35]
	v_lshrrev_b32_e32 v60, 3, v55
	v_sub_u32_e32 v34, 29, v61
	v_and_b32_e32 v58, 7, v58
	v_cmp_gt_u32_e32 vcc, 8, v55
	v_mov_b32_e32 v55, 24
	v_cndmask_b32_e32 v34, v60, v34, vcc
	v_cndmask_b32_e32 v42, v42, v58, vcc
	v_lshlrev_b32_sdwa v55, v55, v35 dst_sel:DWORD dst_unused:UNUSED_PAD src0_sel:DWORD src1_sel:WORD_1
	v_bfrev_b32_e32 v58, 60
	v_lshlrev_b32_e32 v42, 20, v42
	v_and_b32_e32 v55, 0x80000000, v55
	v_lshl_add_u32 v34, v34, 23, v58
	v_or3_b32 v42, v55, v34, v42
.LBB589_243:
	s_or_b64 exec, exec, s[10:11]
.LBB589_244:
	s_or_b64 exec, exec, s[8:9]
.LBB589_245:
	s_or_b64 exec, exec, s[2:3]
	s_mov_b32 s2, 0xffffff
	v_cmp_lt_u32_e32 vcc, s2, v35
	v_mov_b32_e32 v55, 0
	v_mov_b32_e32 v58, 0
	s_and_saveexec_b64 s[2:3], vcc
	s_cbranch_execz .LBB589_251
; %bb.246:
	v_lshrrev_b32_e32 v34, 24, v35
	s_movk_i32 s8, 0x80
	v_cmp_ne_u32_e32 vcc, s8, v34
	v_bfrev_b32_e32 v58, 1
	s_and_saveexec_b64 s[8:9], vcc
	s_cbranch_execz .LBB589_250
; %bb.247:
	v_bfe_u32 v35, v35, 24, 7
	s_movk_i32 s10, 0x7f
	v_cmp_ne_u32_e32 vcc, s10, v35
	v_mov_b32_e32 v58, 0x7f800001
	s_and_saveexec_b64 s[10:11], vcc
	s_cbranch_execz .LBB589_249
; %bb.248:
	v_and_b32_e32 v60, 7, v34
	v_ffbh_u32_e32 v58, v60
	v_min_u32_e32 v62, 32, v58
	v_subrev_u32_e32 v58, 28, v62
	v_lshlrev_b64 v[58:59], v58, v[34:35]
	v_lshrrev_b32_e32 v61, 3, v35
	v_sub_u32_e32 v59, 29, v62
	v_and_b32_e32 v58, 7, v58
	v_cmp_gt_u32_e32 vcc, 8, v35
	v_cndmask_b32_e32 v35, v61, v59, vcc
	v_cndmask_b32_e32 v58, v60, v58, vcc
	v_lshlrev_b32_e32 v34, 24, v34
	v_bfrev_b32_e32 v59, 60
	v_lshlrev_b32_e32 v58, 20, v58
	v_and_b32_e32 v34, 0x80000000, v34
	v_lshl_add_u32 v35, v35, 23, v59
	v_or3_b32 v58, v34, v35, v58
.LBB589_249:
	s_or_b64 exec, exec, s[10:11]
.LBB589_250:
	s_or_b64 exec, exec, s[8:9]
.LBB589_251:
	s_or_b64 exec, exec, s[2:3]
	v_cvt_pkrtz_f16_f32 v34, v54, v44
	v_cvt_pkrtz_f16_f32 v35, v43, v56
	v_cmp_ne_u16_sdwa s[8:9], v36, v55 src0_sel:BYTE_0 src1_sel:DWORD
	s_nop 0
	v_mfma_f32_16x16x16f16 v[60:63], v[34:35], v[26:27], 0
	v_cvt_pkrtz_f16_f32 v34, v45, v57
	v_cvt_pkrtz_f16_f32 v35, v42, v58
	s_nop 1
	v_mfma_f32_16x16x16f16 v[42:45], v[34:35], v[28:29], v[60:63]
	s_and_saveexec_b64 s[2:3], s[8:9]
	s_cbranch_execz .LBB589_257
; %bb.252:
	s_movk_i32 s8, 0x80
	v_cmp_ne_u16_sdwa s[10:11], v36, s8 src0_sel:BYTE_0 src1_sel:DWORD
	v_bfrev_b32_e32 v55, 1
	s_and_saveexec_b64 s[8:9], s[10:11]
	s_cbranch_execz .LBB589_256
; %bb.253:
	s_movk_i32 s10, 0x7f
	v_and_b32_e32 v34, 0x7f, v36
	v_cmp_ne_u32_e32 vcc, s10, v34
	v_mov_b32_e32 v55, 0x7f800001
	s_and_saveexec_b64 s[10:11], vcc
	s_cbranch_execz .LBB589_255
; %bb.254:
	v_and_b32_e32 v35, 7, v36
	v_ffbh_u32_e32 v54, v35
	v_min_u32_e32 v57, 32, v54
	v_subrev_u32_e32 v54, 28, v57
	v_lshlrev_b64 v[54:55], v54, v[36:37]
	v_lshrrev_b32_e32 v56, 3, v34
	v_sub_u32_e32 v55, 29, v57
	v_and_b32_e32 v54, 7, v54
	v_cmp_gt_u32_e32 vcc, 8, v34
	v_cndmask_b32_e32 v34, v56, v55, vcc
	v_cndmask_b32_e32 v35, v35, v54, vcc
	v_lshlrev_b32_e32 v54, 24, v36
	v_bfrev_b32_e32 v55, 60
	v_lshlrev_b32_e32 v35, 20, v35
	v_and_b32_e32 v54, 0x80000000, v54
	v_lshl_add_u32 v34, v34, 23, v55
	v_or3_b32 v55, v54, v34, v35
.LBB589_255:
	s_or_b64 exec, exec, s[10:11]
.LBB589_256:
	s_or_b64 exec, exec, s[8:9]
.LBB589_257:
	s_or_b64 exec, exec, s[2:3]
	v_lshrrev_b16_e32 v34, 8, v36
	v_cmp_ne_u16_e32 vcc, 0, v34
	v_mov_b32_e32 v35, 0
	v_mov_b32_e32 v56, 0
	s_and_saveexec_b64 s[2:3], vcc
	s_cbranch_execz .LBB589_263
; %bb.258:
	s_movk_i32 s8, 0x80
	v_cmp_ne_u16_e32 vcc, s8, v34
	v_bfrev_b32_e32 v56, 1
	s_and_saveexec_b64 s[8:9], vcc
	s_cbranch_execz .LBB589_262
; %bb.259:
	s_movk_i32 s10, 0x7f
	v_and_b32_e32 v54, 0x7f, v34
	v_cmp_ne_u32_e32 vcc, s10, v54
	v_mov_b32_e32 v56, 0x7f800001
	s_and_saveexec_b64 s[10:11], vcc
	s_cbranch_execz .LBB589_261
; %bb.260:
	v_and_b32_e32 v58, 7, v34
	v_ffbh_u32_e32 v56, v58
	v_min_u32_e32 v60, 32, v56
	v_subrev_u32_e32 v56, 28, v60
	v_lshlrev_b64 v[56:57], v56, v[34:35]
	v_lshrrev_b32_e32 v59, 3, v54
	v_sub_u32_e32 v34, 29, v60
	v_and_b32_e32 v56, 7, v56
	v_cmp_gt_u32_e32 vcc, 8, v54
	v_cndmask_b32_e32 v34, v59, v34, vcc
	v_cndmask_b32_e32 v54, v58, v56, vcc
	v_lshlrev_b32_e32 v56, 16, v36
	v_bfrev_b32_e32 v57, 60
	v_lshlrev_b32_e32 v54, 20, v54
	v_and_b32_e32 v56, 0x80000000, v56
	v_lshl_add_u32 v34, v34, 23, v57
	v_or3_b32 v56, v56, v34, v54
.LBB589_261:
	s_or_b64 exec, exec, s[10:11]
.LBB589_262:
	s_or_b64 exec, exec, s[8:9]
.LBB589_263:
	s_or_b64 exec, exec, s[2:3]
	s_movk_i32 s2, 0xff
	v_and_b32_sdwa v54, v36, s2 dst_sel:DWORD dst_unused:UNUSED_PAD src0_sel:WORD_1 src1_sel:DWORD
	v_lshrrev_b32_e32 v34, 16, v36
	v_cmp_ne_u16_e32 vcc, 0, v54
	s_and_saveexec_b64 s[2:3], vcc
	s_cbranch_execz .LBB589_269
; %bb.264:
	s_movk_i32 s8, 0x80
	v_cmp_ne_u16_e32 vcc, s8, v54
	v_bfrev_b32_e32 v35, 1
	s_and_saveexec_b64 s[8:9], vcc
	s_cbranch_execz .LBB589_268
; %bb.265:
	v_bfe_u32 v54, v36, 16, 7
	s_movk_i32 s10, 0x7f
	v_cmp_ne_u32_e32 vcc, s10, v54
	v_mov_b32_e32 v35, 0x7f800001
	s_and_saveexec_b64 s[10:11], vcc
	s_cbranch_execz .LBB589_267
; %bb.266:
	v_and_b32_e32 v57, 7, v34
	v_ffbh_u32_e32 v35, v57
	v_min_u32_e32 v59, 32, v35
	v_subrev_u32_e32 v35, 28, v59
	v_lshlrev_b64 v[34:35], v35, v[34:35]
	v_lshrrev_b32_e32 v58, 3, v54
	v_sub_u32_e32 v35, 29, v59
	v_and_b32_e32 v34, 7, v34
	v_cmp_gt_u32_e32 vcc, 8, v54
	v_mov_b32_e32 v54, 24
	v_cndmask_b32_e32 v35, v58, v35, vcc
	v_cndmask_b32_e32 v34, v57, v34, vcc
	v_lshlrev_b32_sdwa v54, v54, v36 dst_sel:DWORD dst_unused:UNUSED_PAD src0_sel:DWORD src1_sel:WORD_1
	v_bfrev_b32_e32 v57, 60
	v_lshlrev_b32_e32 v34, 20, v34
	v_and_b32_e32 v54, 0x80000000, v54
	v_lshl_add_u32 v35, v35, 23, v57
	v_or3_b32 v35, v54, v35, v34
.LBB589_267:
	s_or_b64 exec, exec, s[10:11]
.LBB589_268:
	s_or_b64 exec, exec, s[8:9]
.LBB589_269:
	s_or_b64 exec, exec, s[2:3]
	s_mov_b32 s2, 0xffffff
	v_cmp_lt_u32_e32 vcc, s2, v36
	v_mov_b32_e32 v57, 0
	v_mov_b32_e32 v58, 0
	s_and_saveexec_b64 s[2:3], vcc
	s_cbranch_execz .LBB589_275
; %bb.270:
	v_lshrrev_b32_e32 v34, 24, v36
	s_movk_i32 s8, 0x80
	v_cmp_ne_u32_e32 vcc, s8, v34
	v_bfrev_b32_e32 v58, 1
	s_and_saveexec_b64 s[8:9], vcc
	s_cbranch_execz .LBB589_274
; %bb.271:
	v_bfe_u32 v36, v36, 24, 7
	s_movk_i32 s10, 0x7f
	v_cmp_ne_u32_e32 vcc, s10, v36
	v_mov_b32_e32 v58, 0x7f800001
	s_and_saveexec_b64 s[10:11], vcc
	s_cbranch_execz .LBB589_273
; %bb.272:
	v_and_b32_e32 v54, 7, v34
	v_ffbh_u32_e32 v58, v54
	v_min_u32_e32 v61, 32, v58
	v_subrev_u32_e32 v58, 28, v61
	v_lshlrev_b64 v[58:59], v58, v[34:35]
	v_lshrrev_b32_e32 v60, 3, v36
	v_sub_u32_e32 v59, 29, v61
	v_and_b32_e32 v58, 7, v58
	v_cmp_gt_u32_e32 vcc, 8, v36
	v_cndmask_b32_e32 v36, v60, v59, vcc
	v_cndmask_b32_e32 v54, v54, v58, vcc
	v_lshlrev_b32_e32 v34, 24, v34
	v_bfrev_b32_e32 v58, 60
	v_lshlrev_b32_e32 v54, 20, v54
	v_and_b32_e32 v34, 0x80000000, v34
	v_lshl_add_u32 v36, v36, 23, v58
	v_or3_b32 v58, v34, v36, v54
.LBB589_273:
	s_or_b64 exec, exec, s[10:11]
.LBB589_274:
	s_or_b64 exec, exec, s[8:9]
.LBB589_275:
	s_or_b64 exec, exec, s[2:3]
	v_cmp_ne_u16_sdwa s[8:9], v37, v57 src0_sel:BYTE_0 src1_sel:DWORD
	s_and_saveexec_b64 s[2:3], s[8:9]
	s_cbranch_execz .LBB589_281
; %bb.276:
	s_movk_i32 s8, 0x80
	v_cmp_ne_u16_sdwa s[10:11], v37, s8 src0_sel:BYTE_0 src1_sel:DWORD
	v_bfrev_b32_e32 v57, 1
	s_and_saveexec_b64 s[8:9], s[10:11]
	s_cbranch_execz .LBB589_280
; %bb.277:
	s_movk_i32 s10, 0x7f
	v_and_b32_e32 v34, 0x7f, v37
	v_cmp_ne_u32_e32 vcc, s10, v34
	v_mov_b32_e32 v57, 0x7f800001
	s_and_saveexec_b64 s[10:11], vcc
	s_cbranch_execz .LBB589_279
; %bb.278:
	v_and_b32_e32 v54, 7, v37
	v_ffbh_u32_e32 v59, v54
	v_min_u32_e32 v59, 32, v59
	v_mov_b32_e32 v36, v37
	v_subrev_u32_e32 v60, 28, v59
	v_lshlrev_b64 v[60:61], v60, v[36:37]
	v_lshrrev_b32_e32 v57, 3, v34
	v_sub_u32_e32 v36, 29, v59
	v_and_b32_e32 v59, 7, v60
	v_cmp_gt_u32_e32 vcc, 8, v34
	v_cndmask_b32_e32 v34, v57, v36, vcc
	v_cndmask_b32_e32 v36, v54, v59, vcc
	v_lshlrev_b32_e32 v54, 24, v37
	v_bfrev_b32_e32 v57, 60
	v_lshlrev_b32_e32 v36, 20, v36
	v_and_b32_e32 v54, 0x80000000, v54
	v_lshl_add_u32 v34, v34, 23, v57
	v_or3_b32 v57, v54, v34, v36
.LBB589_279:
	s_or_b64 exec, exec, s[10:11]
.LBB589_280:
	s_or_b64 exec, exec, s[8:9]
.LBB589_281:
	s_or_b64 exec, exec, s[2:3]
	v_lshrrev_b16_e32 v34, 8, v37
	v_cmp_ne_u16_e32 vcc, 0, v34
	v_mov_b32_e32 v36, 0
	v_mov_b32_e32 v59, 0
	s_and_saveexec_b64 s[2:3], vcc
	s_cbranch_execz .LBB589_287
; %bb.282:
	s_movk_i32 s8, 0x80
	v_cmp_ne_u16_e32 vcc, s8, v34
	v_bfrev_b32_e32 v59, 1
	s_and_saveexec_b64 s[8:9], vcc
	s_cbranch_execz .LBB589_286
; %bb.283:
	s_movk_i32 s10, 0x7f
	v_and_b32_e32 v54, 0x7f, v34
	v_cmp_ne_u32_e32 vcc, s10, v54
	v_mov_b32_e32 v59, 0x7f800001
	s_and_saveexec_b64 s[10:11], vcc
	s_cbranch_execz .LBB589_285
; %bb.284:
	v_and_b32_e32 v59, 7, v34
	v_ffbh_u32_e32 v60, v59
	v_min_u32_e32 v63, 32, v60
	v_subrev_u32_e32 v60, 28, v63
	v_lshlrev_b64 v[60:61], v60, v[34:35]
	v_lshrrev_b32_e32 v62, 3, v54
	v_sub_u32_e32 v34, 29, v63
	v_and_b32_e32 v60, 7, v60
	v_cmp_gt_u32_e32 vcc, 8, v54
	v_cndmask_b32_e32 v34, v62, v34, vcc
	v_cndmask_b32_e32 v54, v59, v60, vcc
	v_lshlrev_b32_e32 v59, 16, v37
	v_bfrev_b32_e32 v60, 60
	v_lshlrev_b32_e32 v54, 20, v54
	v_and_b32_e32 v59, 0x80000000, v59
	v_lshl_add_u32 v34, v34, 23, v60
	v_or3_b32 v59, v59, v34, v54
.LBB589_285:
	s_or_b64 exec, exec, s[10:11]
.LBB589_286:
	s_or_b64 exec, exec, s[8:9]
.LBB589_287:
	s_or_b64 exec, exec, s[2:3]
	s_movk_i32 s2, 0xff
	v_and_b32_sdwa v54, v37, s2 dst_sel:DWORD dst_unused:UNUSED_PAD src0_sel:WORD_1 src1_sel:DWORD
	v_lshrrev_b32_e32 v34, 16, v37
	v_cmp_ne_u16_e32 vcc, 0, v54
	s_and_saveexec_b64 s[2:3], vcc
	s_cbranch_execz .LBB589_293
; %bb.288:
	s_movk_i32 s8, 0x80
	v_cmp_ne_u16_e32 vcc, s8, v54
	v_bfrev_b32_e32 v36, 1
	s_and_saveexec_b64 s[8:9], vcc
	s_cbranch_execz .LBB589_292
; %bb.289:
	v_bfe_u32 v54, v37, 16, 7
	s_movk_i32 s10, 0x7f
	v_cmp_ne_u32_e32 vcc, s10, v54
	v_mov_b32_e32 v36, 0x7f800001
	s_and_saveexec_b64 s[10:11], vcc
	s_cbranch_execz .LBB589_291
; %bb.290:
	v_and_b32_e32 v36, 7, v34
	v_ffbh_u32_e32 v60, v36
	v_min_u32_e32 v63, 32, v60
	v_subrev_u32_e32 v60, 28, v63
	v_lshlrev_b64 v[60:61], v60, v[34:35]
	v_lshrrev_b32_e32 v62, 3, v54
	v_sub_u32_e32 v34, 29, v63
	v_and_b32_e32 v60, 7, v60
	v_cmp_gt_u32_e32 vcc, 8, v54
	v_mov_b32_e32 v54, 24
	v_cndmask_b32_e32 v34, v62, v34, vcc
	v_cndmask_b32_e32 v36, v36, v60, vcc
	v_lshlrev_b32_sdwa v54, v54, v37 dst_sel:DWORD dst_unused:UNUSED_PAD src0_sel:DWORD src1_sel:WORD_1
	v_bfrev_b32_e32 v60, 60
	v_lshlrev_b32_e32 v36, 20, v36
	v_and_b32_e32 v54, 0x80000000, v54
	v_lshl_add_u32 v34, v34, 23, v60
	v_or3_b32 v36, v54, v34, v36
.LBB589_291:
	s_or_b64 exec, exec, s[10:11]
.LBB589_292:
	s_or_b64 exec, exec, s[8:9]
.LBB589_293:
	s_or_b64 exec, exec, s[2:3]
	s_mov_b32 s2, 0xffffff
	v_cmp_lt_u32_e32 vcc, s2, v37
	v_mov_b32_e32 v54, 0
	v_mov_b32_e32 v60, 0
	s_and_saveexec_b64 s[2:3], vcc
	s_cbranch_execz .LBB589_299
; %bb.294:
	v_lshrrev_b32_e32 v34, 24, v37
	s_movk_i32 s8, 0x80
	v_cmp_ne_u32_e32 vcc, s8, v34
	v_bfrev_b32_e32 v60, 1
	s_and_saveexec_b64 s[8:9], vcc
	s_cbranch_execz .LBB589_298
; %bb.295:
	v_bfe_u32 v37, v37, 24, 7
	s_movk_i32 s10, 0x7f
	v_cmp_ne_u32_e32 vcc, s10, v37
	v_mov_b32_e32 v60, 0x7f800001
	s_and_saveexec_b64 s[10:11], vcc
	s_cbranch_execz .LBB589_297
; %bb.296:
	v_and_b32_e32 v62, 7, v34
	v_ffbh_u32_e32 v60, v62
	v_min_u32_e32 v64, 32, v60
	v_subrev_u32_e32 v60, 28, v64
	v_lshlrev_b64 v[60:61], v60, v[34:35]
	v_lshrrev_b32_e32 v63, 3, v37
	v_sub_u32_e32 v61, 29, v64
	v_and_b32_e32 v60, 7, v60
	v_cmp_gt_u32_e32 vcc, 8, v37
	v_cndmask_b32_e32 v37, v63, v61, vcc
	v_cndmask_b32_e32 v60, v62, v60, vcc
	v_lshlrev_b32_e32 v34, 24, v34
	v_bfrev_b32_e32 v61, 60
	v_lshlrev_b32_e32 v60, 20, v60
	v_and_b32_e32 v34, 0x80000000, v34
	v_lshl_add_u32 v37, v37, 23, v61
	v_or3_b32 v60, v34, v37, v60
.LBB589_297:
	s_or_b64 exec, exec, s[10:11]
.LBB589_298:
	s_or_b64 exec, exec, s[8:9]
.LBB589_299:
	s_or_b64 exec, exec, s[2:3]
	v_cvt_pkrtz_f16_f32 v34, v55, v56
	v_cvt_pkrtz_f16_f32 v35, v35, v58
	s_waitcnt vmcnt(5)
	v_cmp_ne_u16_sdwa s[8:9], v22, v54 src0_sel:BYTE_0 src1_sel:DWORD
	v_mfma_f32_16x16x16f16 v[42:45], v[34:35], v[18:19], v[42:45]
	v_cvt_pkrtz_f16_f32 v34, v57, v59
	v_cvt_pkrtz_f16_f32 v35, v36, v60
	s_nop 1
	v_mfma_f32_16x16x16f16 v[34:37], v[34:35], v[20:21], v[42:45]
	s_and_saveexec_b64 s[2:3], s[8:9]
	s_cbranch_execz .LBB589_305
; %bb.300:
	s_movk_i32 s8, 0x80
	v_cmp_ne_u16_sdwa s[10:11], v22, s8 src0_sel:BYTE_0 src1_sel:DWORD
	v_bfrev_b32_e32 v54, 1
	s_and_saveexec_b64 s[8:9], s[10:11]
	s_cbranch_execz .LBB589_304
; %bb.301:
	s_movk_i32 s10, 0x7f
	v_and_b32_e32 v42, 0x7f, v22
	v_cmp_ne_u32_e32 vcc, s10, v42
	v_mov_b32_e32 v54, 0x7f800001
	s_and_saveexec_b64 s[10:11], vcc
	s_cbranch_execz .LBB589_303
; %bb.302:
	v_and_b32_e32 v43, 7, v22
	v_ffbh_u32_e32 v44, v43
	v_min_u32_e32 v55, 32, v44
	v_subrev_u32_e32 v44, 28, v55
	v_lshlrev_b64 v[44:45], v44, v[22:23]
	v_lshrrev_b32_e32 v54, 3, v42
	v_sub_u32_e32 v45, 29, v55
	v_and_b32_e32 v44, 7, v44
	v_cmp_gt_u32_e32 vcc, 8, v42
	v_cndmask_b32_e32 v42, v54, v45, vcc
	v_cndmask_b32_e32 v43, v43, v44, vcc
	v_lshlrev_b32_e32 v44, 24, v22
	v_bfrev_b32_e32 v45, 60
	v_lshlrev_b32_e32 v43, 20, v43
	v_and_b32_e32 v44, 0x80000000, v44
	v_lshl_add_u32 v42, v42, 23, v45
	v_or3_b32 v54, v44, v42, v43
.LBB589_303:
	s_or_b64 exec, exec, s[10:11]
.LBB589_304:
	s_or_b64 exec, exec, s[8:9]
.LBB589_305:
	s_or_b64 exec, exec, s[2:3]
	s_nop 3
	v_lshrrev_b16_e32 v42, 8, v22
	v_cmp_ne_u16_e32 vcc, 0, v42
	v_mov_b32_e32 v43, 0
	v_mov_b32_e32 v44, 0
	s_and_saveexec_b64 s[2:3], vcc
	s_cbranch_execz .LBB589_311
; %bb.306:
	s_movk_i32 s8, 0x80
	v_cmp_ne_u16_e32 vcc, s8, v42
	v_bfrev_b32_e32 v44, 1
	s_and_saveexec_b64 s[8:9], vcc
	s_cbranch_execz .LBB589_310
; %bb.307:
	s_movk_i32 s10, 0x7f
	v_and_b32_e32 v45, 0x7f, v42
	v_cmp_ne_u32_e32 vcc, s10, v45
	v_mov_b32_e32 v44, 0x7f800001
	s_and_saveexec_b64 s[10:11], vcc
	s_cbranch_execz .LBB589_309
; %bb.308:
	v_and_b32_e32 v44, 7, v42
	v_ffbh_u32_e32 v56, v44
	v_min_u32_e32 v58, 32, v56
	v_subrev_u32_e32 v56, 28, v58
	v_lshlrev_b64 v[56:57], v56, v[42:43]
	v_lshrrev_b32_e32 v55, 3, v45
	v_sub_u32_e32 v42, 29, v58
	v_and_b32_e32 v56, 7, v56
	v_cmp_gt_u32_e32 vcc, 8, v45
	v_cndmask_b32_e32 v42, v55, v42, vcc
	v_cndmask_b32_e32 v44, v44, v56, vcc
	v_lshlrev_b32_e32 v45, 16, v22
	v_bfrev_b32_e32 v55, 60
	v_lshlrev_b32_e32 v44, 20, v44
	v_and_b32_e32 v45, 0x80000000, v45
	v_lshl_add_u32 v42, v42, 23, v55
	v_or3_b32 v44, v45, v42, v44
.LBB589_309:
	s_or_b64 exec, exec, s[10:11]
.LBB589_310:
	s_or_b64 exec, exec, s[8:9]
.LBB589_311:
	s_or_b64 exec, exec, s[2:3]
	s_movk_i32 s2, 0xff
	v_and_b32_sdwa v45, v22, s2 dst_sel:DWORD dst_unused:UNUSED_PAD src0_sel:WORD_1 src1_sel:DWORD
	v_lshrrev_b32_e32 v42, 16, v22
	v_cmp_ne_u16_e32 vcc, 0, v45
	s_and_saveexec_b64 s[2:3], vcc
	s_cbranch_execz .LBB589_317
; %bb.312:
	s_movk_i32 s8, 0x80
	v_cmp_ne_u16_e32 vcc, s8, v45
	v_bfrev_b32_e32 v43, 1
	s_and_saveexec_b64 s[8:9], vcc
	s_cbranch_execz .LBB589_316
; %bb.313:
	v_bfe_u32 v45, v22, 16, 7
	s_movk_i32 s10, 0x7f
	v_cmp_ne_u32_e32 vcc, s10, v45
	v_mov_b32_e32 v43, 0x7f800001
	s_and_saveexec_b64 s[10:11], vcc
	s_cbranch_execz .LBB589_315
; %bb.314:
	v_and_b32_e32 v55, 7, v42
	v_ffbh_u32_e32 v43, v55
	v_min_u32_e32 v57, 32, v43
	v_subrev_u32_e32 v43, 28, v57
	v_lshlrev_b64 v[42:43], v43, v[42:43]
	v_lshrrev_b32_e32 v56, 3, v45
	v_sub_u32_e32 v43, 29, v57
	v_and_b32_e32 v42, 7, v42
	v_cmp_gt_u32_e32 vcc, 8, v45
	v_mov_b32_e32 v45, 24
	v_cndmask_b32_e32 v43, v56, v43, vcc
	v_cndmask_b32_e32 v42, v55, v42, vcc
	v_lshlrev_b32_sdwa v45, v45, v22 dst_sel:DWORD dst_unused:UNUSED_PAD src0_sel:DWORD src1_sel:WORD_1
	v_bfrev_b32_e32 v55, 60
	v_lshlrev_b32_e32 v42, 20, v42
	v_and_b32_e32 v45, 0x80000000, v45
	v_lshl_add_u32 v43, v43, 23, v55
	v_or3_b32 v43, v45, v43, v42
.LBB589_315:
	s_or_b64 exec, exec, s[10:11]
.LBB589_316:
	s_or_b64 exec, exec, s[8:9]
.LBB589_317:
	s_or_b64 exec, exec, s[2:3]
	s_mov_b32 s2, 0xffffff
	v_cmp_lt_u32_e32 vcc, s2, v22
	v_mov_b32_e32 v45, 0
	v_mov_b32_e32 v55, 0
	s_and_saveexec_b64 s[2:3], vcc
	s_cbranch_execz .LBB589_323
; %bb.318:
	v_lshrrev_b32_e32 v42, 24, v22
	s_movk_i32 s8, 0x80
	v_cmp_ne_u32_e32 vcc, s8, v42
	v_bfrev_b32_e32 v55, 1
	s_and_saveexec_b64 s[8:9], vcc
	s_cbranch_execz .LBB589_322
; %bb.319:
	v_bfe_u32 v22, v22, 24, 7
	s_movk_i32 s10, 0x7f
	v_cmp_ne_u32_e32 vcc, s10, v22
	v_mov_b32_e32 v55, 0x7f800001
	s_and_saveexec_b64 s[10:11], vcc
	s_cbranch_execz .LBB589_321
; %bb.320:
	v_and_b32_e32 v55, 7, v42
	v_ffbh_u32_e32 v56, v55
	v_min_u32_e32 v59, 32, v56
	v_subrev_u32_e32 v56, 28, v59
	v_lshlrev_b64 v[56:57], v56, v[42:43]
	v_lshrrev_b32_e32 v58, 3, v22
	v_sub_u32_e32 v57, 29, v59
	v_and_b32_e32 v56, 7, v56
	v_cmp_gt_u32_e32 vcc, 8, v22
	v_cndmask_b32_e32 v22, v58, v57, vcc
	v_cndmask_b32_e32 v55, v55, v56, vcc
	v_lshlrev_b32_e32 v42, 24, v42
	v_bfrev_b32_e32 v56, 60
	v_lshlrev_b32_e32 v55, 20, v55
	v_and_b32_e32 v42, 0x80000000, v42
	v_lshl_add_u32 v22, v22, 23, v56
	v_or3_b32 v55, v42, v22, v55
.LBB589_321:
	s_or_b64 exec, exec, s[10:11]
.LBB589_322:
	s_or_b64 exec, exec, s[8:9]
.LBB589_323:
	s_or_b64 exec, exec, s[2:3]
	v_cmp_ne_u16_sdwa s[8:9], v23, v45 src0_sel:BYTE_0 src1_sel:DWORD
	s_and_saveexec_b64 s[2:3], s[8:9]
	s_cbranch_execz .LBB589_329
; %bb.324:
	s_movk_i32 s8, 0x80
	v_cmp_ne_u16_sdwa s[10:11], v23, s8 src0_sel:BYTE_0 src1_sel:DWORD
	v_bfrev_b32_e32 v45, 1
	s_and_saveexec_b64 s[8:9], s[10:11]
	s_cbranch_execz .LBB589_328
; %bb.325:
	s_movk_i32 s10, 0x7f
	v_and_b32_e32 v22, 0x7f, v23
	v_cmp_ne_u32_e32 vcc, s10, v22
	v_mov_b32_e32 v45, 0x7f800001
	s_and_saveexec_b64 s[10:11], vcc
	s_cbranch_execz .LBB589_327
; %bb.326:
	v_and_b32_e32 v45, 7, v23
	v_ffbh_u32_e32 v56, v45
	v_min_u32_e32 v59, 32, v56
	v_mov_b32_e32 v42, v23
	v_subrev_u32_e32 v56, 28, v59
	v_lshlrev_b64 v[56:57], v56, v[42:43]
	v_lshrrev_b32_e32 v58, 3, v22
	v_sub_u32_e32 v42, 29, v59
	v_and_b32_e32 v56, 7, v56
	v_cmp_gt_u32_e32 vcc, 8, v22
	v_cndmask_b32_e32 v22, v58, v42, vcc
	v_cndmask_b32_e32 v42, v45, v56, vcc
	v_lshlrev_b32_e32 v45, 24, v23
	v_bfrev_b32_e32 v56, 60
	v_lshlrev_b32_e32 v42, 20, v42
	v_and_b32_e32 v45, 0x80000000, v45
	v_lshl_add_u32 v22, v22, 23, v56
	v_or3_b32 v45, v45, v22, v42
.LBB589_327:
	s_or_b64 exec, exec, s[10:11]
.LBB589_328:
	s_or_b64 exec, exec, s[8:9]
.LBB589_329:
	s_or_b64 exec, exec, s[2:3]
	v_lshrrev_b16_e32 v22, 8, v23
	v_cmp_ne_u16_e32 vcc, 0, v22
	v_mov_b32_e32 v56, 0
	v_mov_b32_e32 v57, 0
	s_and_saveexec_b64 s[2:3], vcc
	s_cbranch_execz .LBB589_335
; %bb.330:
	s_movk_i32 s8, 0x80
	v_cmp_ne_u16_e32 vcc, s8, v22
	v_bfrev_b32_e32 v57, 1
	s_and_saveexec_b64 s[8:9], vcc
	s_cbranch_execz .LBB589_334
; %bb.331:
	s_movk_i32 s10, 0x7f
	v_and_b32_e32 v42, 0x7f, v22
	v_cmp_ne_u32_e32 vcc, s10, v42
	v_mov_b32_e32 v57, 0x7f800001
	s_and_saveexec_b64 s[10:11], vcc
	s_cbranch_execz .LBB589_333
; %bb.332:
	v_and_b32_e32 v57, 7, v22
	v_ffbh_u32_e32 v58, v57
	v_min_u32_e32 v61, 32, v58
	v_subrev_u32_e32 v58, 28, v61
	v_lshlrev_b64 v[58:59], v58, v[22:23]
	v_lshrrev_b32_e32 v60, 3, v42
	v_sub_u32_e32 v22, 29, v61
	v_and_b32_e32 v58, 7, v58
	v_cmp_gt_u32_e32 vcc, 8, v42
	v_cndmask_b32_e32 v22, v60, v22, vcc
	v_cndmask_b32_e32 v42, v57, v58, vcc
	v_lshlrev_b32_e32 v57, 16, v23
	v_bfrev_b32_e32 v58, 60
	v_lshlrev_b32_e32 v42, 20, v42
	v_and_b32_e32 v57, 0x80000000, v57
	v_lshl_add_u32 v22, v22, 23, v58
	v_or3_b32 v57, v57, v22, v42
.LBB589_333:
	s_or_b64 exec, exec, s[10:11]
.LBB589_334:
	s_or_b64 exec, exec, s[8:9]
.LBB589_335:
	s_or_b64 exec, exec, s[2:3]
	s_movk_i32 s2, 0xff
	v_and_b32_sdwa v42, v23, s2 dst_sel:DWORD dst_unused:UNUSED_PAD src0_sel:WORD_1 src1_sel:DWORD
	v_lshrrev_b32_e32 v22, 16, v23
	v_cmp_ne_u16_e32 vcc, 0, v42
	s_and_saveexec_b64 s[2:3], vcc
	s_cbranch_execz .LBB589_341
; %bb.336:
	s_movk_i32 s8, 0x80
	v_cmp_ne_u16_e32 vcc, s8, v42
	v_bfrev_b32_e32 v56, 1
	s_and_saveexec_b64 s[8:9], vcc
	s_cbranch_execz .LBB589_340
; %bb.337:
	v_bfe_u32 v42, v23, 16, 7
	s_movk_i32 s10, 0x7f
	v_cmp_ne_u32_e32 vcc, s10, v42
	v_mov_b32_e32 v56, 0x7f800001
	s_and_saveexec_b64 s[10:11], vcc
	s_cbranch_execz .LBB589_339
; %bb.338:
	v_and_b32_e32 v56, 7, v22
	v_ffbh_u32_e32 v58, v56
	v_min_u32_e32 v61, 32, v58
	v_subrev_u32_e32 v58, 28, v61
	v_lshlrev_b64 v[58:59], v58, v[22:23]
	v_and_b32_e32 v58, 7, v58
	v_cmp_gt_u32_e32 vcc, 8, v42
	v_lshrrev_b32_e32 v60, 3, v42
	v_sub_u32_e32 v22, 29, v61
	v_cndmask_b32_e32 v42, v56, v58, vcc
	v_mov_b32_e32 v56, 24
	v_cndmask_b32_e32 v22, v60, v22, vcc
	v_lshlrev_b32_sdwa v56, v56, v23 dst_sel:DWORD dst_unused:UNUSED_PAD src0_sel:DWORD src1_sel:WORD_1
	v_bfrev_b32_e32 v58, 60
	v_lshlrev_b32_e32 v42, 20, v42
	v_and_b32_e32 v56, 0x80000000, v56
	v_lshl_add_u32 v22, v22, 23, v58
	v_or3_b32 v56, v56, v22, v42
.LBB589_339:
	s_or_b64 exec, exec, s[10:11]
.LBB589_340:
	s_or_b64 exec, exec, s[8:9]
.LBB589_341:
	s_or_b64 exec, exec, s[2:3]
	s_mov_b32 s2, 0xffffff
	v_cmp_lt_u32_e32 vcc, s2, v23
	v_mov_b32_e32 v42, 0
	v_mov_b32_e32 v58, 0
	s_and_saveexec_b64 s[2:3], vcc
	s_cbranch_execz .LBB589_347
; %bb.342:
	v_lshrrev_b32_e32 v22, 24, v23
	s_movk_i32 s8, 0x80
	v_cmp_ne_u32_e32 vcc, s8, v22
	v_bfrev_b32_e32 v58, 1
	s_and_saveexec_b64 s[8:9], vcc
	s_cbranch_execz .LBB589_346
; %bb.343:
	v_bfe_u32 v23, v23, 24, 7
	s_movk_i32 s10, 0x7f
	v_cmp_ne_u32_e32 vcc, s10, v23
	v_mov_b32_e32 v58, 0x7f800001
	s_and_saveexec_b64 s[10:11], vcc
	s_cbranch_execz .LBB589_345
; %bb.344:
	v_and_b32_e32 v60, 7, v22
	v_ffbh_u32_e32 v58, v60
	v_min_u32_e32 v62, 32, v58
	v_subrev_u32_e32 v58, 28, v62
	v_lshlrev_b64 v[58:59], v58, v[22:23]
	v_lshrrev_b32_e32 v61, 3, v23
	v_sub_u32_e32 v59, 29, v62
	v_and_b32_e32 v58, 7, v58
	v_cmp_gt_u32_e32 vcc, 8, v23
	v_cndmask_b32_e32 v23, v61, v59, vcc
	v_cndmask_b32_e32 v58, v60, v58, vcc
	v_lshlrev_b32_e32 v22, 24, v22
	v_bfrev_b32_e32 v59, 60
	v_lshlrev_b32_e32 v58, 20, v58
	v_and_b32_e32 v22, 0x80000000, v22
	v_lshl_add_u32 v23, v23, 23, v59
	v_or3_b32 v58, v22, v23, v58
.LBB589_345:
	s_or_b64 exec, exec, s[10:11]
.LBB589_346:
	s_or_b64 exec, exec, s[8:9]
.LBB589_347:
	s_or_b64 exec, exec, s[2:3]
	v_cvt_pkrtz_f16_f32 v22, v54, v44
	v_cvt_pkrtz_f16_f32 v23, v43, v55
	v_cmp_ne_u16_sdwa s[8:9], v24, v42 src0_sel:BYTE_0 src1_sel:DWORD
	s_nop 0
	v_mfma_f32_16x16x16f16 v[60:63], v[22:23], v[26:27], 0
	v_cvt_pkrtz_f16_f32 v22, v45, v57
	v_cvt_pkrtz_f16_f32 v23, v56, v58
	s_nop 1
	v_mfma_f32_16x16x16f16 v[26:29], v[22:23], v[28:29], v[60:63]
	s_and_saveexec_b64 s[2:3], s[8:9]
	s_cbranch_execz .LBB589_353
; %bb.348:
	s_movk_i32 s8, 0x80
	v_cmp_ne_u16_sdwa s[10:11], v24, s8 src0_sel:BYTE_0 src1_sel:DWORD
	v_bfrev_b32_e32 v42, 1
	s_and_saveexec_b64 s[8:9], s[10:11]
	s_cbranch_execz .LBB589_352
; %bb.349:
	s_movk_i32 s10, 0x7f
	v_and_b32_e32 v22, 0x7f, v24
	v_cmp_ne_u32_e32 vcc, s10, v22
	v_mov_b32_e32 v42, 0x7f800001
	s_and_saveexec_b64 s[10:11], vcc
	s_cbranch_execz .LBB589_351
; %bb.350:
	v_and_b32_e32 v23, 7, v24
	v_ffbh_u32_e32 v42, v23
	v_min_u32_e32 v45, 32, v42
	v_subrev_u32_e32 v42, 28, v45
	v_lshlrev_b64 v[42:43], v42, v[24:25]
	v_lshrrev_b32_e32 v44, 3, v22
	v_sub_u32_e32 v43, 29, v45
	v_and_b32_e32 v42, 7, v42
	v_cmp_gt_u32_e32 vcc, 8, v22
	v_cndmask_b32_e32 v22, v44, v43, vcc
	v_cndmask_b32_e32 v23, v23, v42, vcc
	v_lshlrev_b32_e32 v42, 24, v24
	v_bfrev_b32_e32 v43, 60
	v_lshlrev_b32_e32 v23, 20, v23
	v_and_b32_e32 v42, 0x80000000, v42
	v_lshl_add_u32 v22, v22, 23, v43
	v_or3_b32 v42, v42, v22, v23
.LBB589_351:
	s_or_b64 exec, exec, s[10:11]
.LBB589_352:
	s_or_b64 exec, exec, s[8:9]
.LBB589_353:
	s_or_b64 exec, exec, s[2:3]
	v_lshrrev_b16_e32 v22, 8, v24
	v_cmp_ne_u16_e32 vcc, 0, v22
	v_mov_b32_e32 v23, 0
	v_mov_b32_e32 v43, 0
	s_and_saveexec_b64 s[2:3], vcc
	s_cbranch_execz .LBB589_359
; %bb.354:
	s_movk_i32 s8, 0x80
	v_cmp_ne_u16_e32 vcc, s8, v22
	v_bfrev_b32_e32 v43, 1
	s_and_saveexec_b64 s[8:9], vcc
	s_cbranch_execz .LBB589_358
; %bb.355:
	s_movk_i32 s10, 0x7f
	v_and_b32_e32 v44, 0x7f, v22
	v_cmp_ne_u32_e32 vcc, s10, v44
	v_mov_b32_e32 v43, 0x7f800001
	s_and_saveexec_b64 s[10:11], vcc
	s_cbranch_execz .LBB589_357
; %bb.356:
	v_and_b32_e32 v43, 7, v22
	v_ffbh_u32_e32 v54, v43
	v_min_u32_e32 v56, 32, v54
	v_subrev_u32_e32 v54, 28, v56
	v_lshlrev_b64 v[54:55], v54, v[22:23]
	v_lshrrev_b32_e32 v45, 3, v44
	v_sub_u32_e32 v22, 29, v56
	v_and_b32_e32 v54, 7, v54
	v_cmp_gt_u32_e32 vcc, 8, v44
	v_cndmask_b32_e32 v22, v45, v22, vcc
	v_cndmask_b32_e32 v43, v43, v54, vcc
	v_lshlrev_b32_e32 v44, 16, v24
	v_bfrev_b32_e32 v45, 60
	v_lshlrev_b32_e32 v43, 20, v43
	v_and_b32_e32 v44, 0x80000000, v44
	v_lshl_add_u32 v22, v22, 23, v45
	v_or3_b32 v43, v44, v22, v43
.LBB589_357:
	s_or_b64 exec, exec, s[10:11]
.LBB589_358:
	s_or_b64 exec, exec, s[8:9]
.LBB589_359:
	s_or_b64 exec, exec, s[2:3]
	s_movk_i32 s2, 0xff
	v_and_b32_sdwa v44, v24, s2 dst_sel:DWORD dst_unused:UNUSED_PAD src0_sel:WORD_1 src1_sel:DWORD
	v_lshrrev_b32_e32 v22, 16, v24
	v_cmp_ne_u16_e32 vcc, 0, v44
	s_and_saveexec_b64 s[2:3], vcc
	s_cbranch_execz .LBB589_365
; %bb.360:
	s_movk_i32 s8, 0x80
	v_cmp_ne_u16_e32 vcc, s8, v44
	v_bfrev_b32_e32 v23, 1
	s_and_saveexec_b64 s[8:9], vcc
	s_cbranch_execz .LBB589_364
; %bb.361:
	v_bfe_u32 v44, v24, 16, 7
	s_movk_i32 s10, 0x7f
	v_cmp_ne_u32_e32 vcc, s10, v44
	v_mov_b32_e32 v23, 0x7f800001
	s_and_saveexec_b64 s[10:11], vcc
	s_cbranch_execz .LBB589_363
; %bb.362:
	v_and_b32_e32 v45, 7, v22
	v_ffbh_u32_e32 v23, v45
	v_min_u32_e32 v55, 32, v23
	v_subrev_u32_e32 v23, 28, v55
	v_lshlrev_b64 v[22:23], v23, v[22:23]
	v_lshrrev_b32_e32 v54, 3, v44
	v_sub_u32_e32 v23, 29, v55
	v_and_b32_e32 v22, 7, v22
	v_cmp_gt_u32_e32 vcc, 8, v44
	v_mov_b32_e32 v44, 24
	v_cndmask_b32_e32 v23, v54, v23, vcc
	v_cndmask_b32_e32 v22, v45, v22, vcc
	v_lshlrev_b32_sdwa v44, v44, v24 dst_sel:DWORD dst_unused:UNUSED_PAD src0_sel:DWORD src1_sel:WORD_1
	v_bfrev_b32_e32 v45, 60
	v_lshlrev_b32_e32 v22, 20, v22
	v_and_b32_e32 v44, 0x80000000, v44
	v_lshl_add_u32 v23, v23, 23, v45
	v_or3_b32 v23, v44, v23, v22
.LBB589_363:
	s_or_b64 exec, exec, s[10:11]
.LBB589_364:
	s_or_b64 exec, exec, s[8:9]
.LBB589_365:
	s_or_b64 exec, exec, s[2:3]
	s_mov_b32 s2, 0xffffff
	v_cmp_lt_u32_e32 vcc, s2, v24
	v_mov_b32_e32 v45, 0
	v_mov_b32_e32 v54, 0
	s_and_saveexec_b64 s[2:3], vcc
	s_cbranch_execz .LBB589_371
; %bb.366:
	v_lshrrev_b32_e32 v22, 24, v24
	s_movk_i32 s8, 0x80
	v_cmp_ne_u32_e32 vcc, s8, v22
	v_bfrev_b32_e32 v54, 1
	s_and_saveexec_b64 s[8:9], vcc
	s_cbranch_execz .LBB589_370
; %bb.367:
	v_bfe_u32 v24, v24, 24, 7
	s_movk_i32 s10, 0x7f
	v_cmp_ne_u32_e32 vcc, s10, v24
	v_mov_b32_e32 v54, 0x7f800001
	s_and_saveexec_b64 s[10:11], vcc
	s_cbranch_execz .LBB589_369
; %bb.368:
	v_and_b32_e32 v44, 7, v22
	v_ffbh_u32_e32 v54, v44
	v_min_u32_e32 v57, 32, v54
	v_subrev_u32_e32 v54, 28, v57
	v_lshlrev_b64 v[54:55], v54, v[22:23]
	v_lshrrev_b32_e32 v56, 3, v24
	v_sub_u32_e32 v55, 29, v57
	v_and_b32_e32 v54, 7, v54
	v_cmp_gt_u32_e32 vcc, 8, v24
	v_cndmask_b32_e32 v24, v56, v55, vcc
	v_cndmask_b32_e32 v44, v44, v54, vcc
	v_lshlrev_b32_e32 v22, 24, v22
	v_bfrev_b32_e32 v54, 60
	v_lshlrev_b32_e32 v44, 20, v44
	v_and_b32_e32 v22, 0x80000000, v22
	v_lshl_add_u32 v24, v24, 23, v54
	v_or3_b32 v54, v22, v24, v44
.LBB589_369:
	s_or_b64 exec, exec, s[10:11]
.LBB589_370:
	s_or_b64 exec, exec, s[8:9]
.LBB589_371:
	s_or_b64 exec, exec, s[2:3]
	v_cmp_ne_u16_sdwa s[8:9], v25, v45 src0_sel:BYTE_0 src1_sel:DWORD
	s_and_saveexec_b64 s[2:3], s[8:9]
	s_cbranch_execz .LBB589_377
; %bb.372:
	s_movk_i32 s8, 0x80
	v_cmp_ne_u16_sdwa s[10:11], v25, s8 src0_sel:BYTE_0 src1_sel:DWORD
	v_bfrev_b32_e32 v45, 1
	s_and_saveexec_b64 s[8:9], s[10:11]
	s_cbranch_execz .LBB589_376
; %bb.373:
	s_movk_i32 s10, 0x7f
	v_and_b32_e32 v22, 0x7f, v25
	v_cmp_ne_u32_e32 vcc, s10, v22
	v_mov_b32_e32 v45, 0x7f800001
	s_and_saveexec_b64 s[10:11], vcc
	s_cbranch_execz .LBB589_375
; %bb.374:
	v_and_b32_e32 v55, 7, v25
	v_ffbh_u32_e32 v44, v55
	v_min_u32_e32 v57, 32, v44
	v_mov_b32_e32 v24, v25
	v_subrev_u32_e32 v44, 28, v57
	v_lshlrev_b64 v[44:45], v44, v[24:25]
	v_lshrrev_b32_e32 v56, 3, v22
	v_sub_u32_e32 v24, 29, v57
	v_and_b32_e32 v44, 7, v44
	v_cmp_gt_u32_e32 vcc, 8, v22
	v_cndmask_b32_e32 v22, v56, v24, vcc
	v_cndmask_b32_e32 v24, v55, v44, vcc
	v_lshlrev_b32_e32 v44, 24, v25
	v_bfrev_b32_e32 v45, 60
	v_lshlrev_b32_e32 v24, 20, v24
	v_and_b32_e32 v44, 0x80000000, v44
	v_lshl_add_u32 v22, v22, 23, v45
	v_or3_b32 v45, v44, v22, v24
.LBB589_375:
	s_or_b64 exec, exec, s[10:11]
.LBB589_376:
	s_or_b64 exec, exec, s[8:9]
.LBB589_377:
	s_or_b64 exec, exec, s[2:3]
	v_lshrrev_b16_e32 v22, 8, v25
	v_cmp_ne_u16_e32 vcc, 0, v22
	v_mov_b32_e32 v55, 0
	v_mov_b32_e32 v56, 0
	s_and_saveexec_b64 s[2:3], vcc
	s_cbranch_execz .LBB589_383
; %bb.378:
	s_movk_i32 s8, 0x80
	v_cmp_ne_u16_e32 vcc, s8, v22
	v_bfrev_b32_e32 v56, 1
	s_and_saveexec_b64 s[8:9], vcc
	s_cbranch_execz .LBB589_382
; %bb.379:
	s_movk_i32 s10, 0x7f
	v_and_b32_e32 v24, 0x7f, v22
	v_cmp_ne_u32_e32 vcc, s10, v24
	v_mov_b32_e32 v56, 0x7f800001
	s_and_saveexec_b64 s[10:11], vcc
	s_cbranch_execz .LBB589_381
; %bb.380:
	v_and_b32_e32 v44, 7, v22
	v_ffbh_u32_e32 v56, v44
	v_min_u32_e32 v59, 32, v56
	v_subrev_u32_e32 v56, 28, v59
	v_lshlrev_b64 v[56:57], v56, v[22:23]
	v_lshrrev_b32_e32 v58, 3, v24
	v_sub_u32_e32 v22, 29, v59
	v_and_b32_e32 v56, 7, v56
	v_cmp_gt_u32_e32 vcc, 8, v24
	v_cndmask_b32_e32 v22, v58, v22, vcc
	v_cndmask_b32_e32 v24, v44, v56, vcc
	v_lshlrev_b32_e32 v44, 16, v25
	v_bfrev_b32_e32 v56, 60
	v_lshlrev_b32_e32 v24, 20, v24
	v_and_b32_e32 v44, 0x80000000, v44
	v_lshl_add_u32 v22, v22, 23, v56
	v_or3_b32 v56, v44, v22, v24
.LBB589_381:
	s_or_b64 exec, exec, s[10:11]
.LBB589_382:
	s_or_b64 exec, exec, s[8:9]
.LBB589_383:
	s_or_b64 exec, exec, s[2:3]
	s_movk_i32 s2, 0xff
	v_and_b32_sdwa v24, v25, s2 dst_sel:DWORD dst_unused:UNUSED_PAD src0_sel:WORD_1 src1_sel:DWORD
	v_lshrrev_b32_e32 v22, 16, v25
	v_cmp_ne_u16_e32 vcc, 0, v24
	s_and_saveexec_b64 s[2:3], vcc
	s_cbranch_execz .LBB589_389
; %bb.384:
	s_movk_i32 s8, 0x80
	v_cmp_ne_u16_e32 vcc, s8, v24
	v_bfrev_b32_e32 v55, 1
	s_and_saveexec_b64 s[8:9], vcc
	s_cbranch_execz .LBB589_388
; %bb.385:
	v_bfe_u32 v24, v25, 16, 7
	s_movk_i32 s10, 0x7f
	v_cmp_ne_u32_e32 vcc, s10, v24
	v_mov_b32_e32 v55, 0x7f800001
	s_and_saveexec_b64 s[10:11], vcc
	s_cbranch_execz .LBB589_387
; %bb.386:
	v_and_b32_e32 v44, 7, v22
	v_ffbh_u32_e32 v57, v44
	v_min_u32_e32 v57, 32, v57
	v_subrev_u32_e32 v58, 28, v57
	v_lshlrev_b64 v[58:59], v58, v[22:23]
	v_sub_u32_e32 v22, 29, v57
	v_and_b32_e32 v57, 7, v58
	v_cmp_gt_u32_e32 vcc, 8, v24
	v_lshrrev_b32_e32 v55, 3, v24
	v_cndmask_b32_e32 v24, v44, v57, vcc
	v_mov_b32_e32 v44, 24
	v_cndmask_b32_e32 v22, v55, v22, vcc
	v_lshlrev_b32_sdwa v44, v44, v25 dst_sel:DWORD dst_unused:UNUSED_PAD src0_sel:DWORD src1_sel:WORD_1
	v_bfrev_b32_e32 v55, 60
	v_lshlrev_b32_e32 v24, 20, v24
	v_and_b32_e32 v44, 0x80000000, v44
	v_lshl_add_u32 v22, v22, 23, v55
	v_or3_b32 v55, v44, v22, v24
.LBB589_387:
	s_or_b64 exec, exec, s[10:11]
.LBB589_388:
	s_or_b64 exec, exec, s[8:9]
.LBB589_389:
	s_or_b64 exec, exec, s[2:3]
	s_mov_b32 s2, 0xffffff
	v_and_b32_e32 v44, 63, v0
	v_cmp_lt_u32_e32 vcc, s2, v25
	v_mov_b32_e32 v57, 0
	s_and_saveexec_b64 s[2:3], vcc
	s_cbranch_execz .LBB589_395
; %bb.390:
	v_lshrrev_b32_e32 v22, 24, v25
	s_movk_i32 s8, 0x80
	v_cmp_ne_u32_e32 vcc, s8, v22
	v_bfrev_b32_e32 v57, 1
	s_and_saveexec_b64 s[8:9], vcc
	s_cbranch_execz .LBB589_394
; %bb.391:
	v_bfe_u32 v24, v25, 24, 7
	s_movk_i32 s10, 0x7f
	v_cmp_ne_u32_e32 vcc, s10, v24
	v_mov_b32_e32 v57, 0x7f800001
	s_and_saveexec_b64 s[10:11], vcc
	s_cbranch_execz .LBB589_393
; %bb.392:
	v_and_b32_e32 v25, 7, v22
	v_ffbh_u32_e32 v58, v25
	v_min_u32_e32 v60, 32, v58
	v_subrev_u32_e32 v58, 28, v60
	v_lshlrev_b64 v[58:59], v58, v[22:23]
	v_lshrrev_b32_e32 v57, 3, v24
	v_sub_u32_e32 v59, 29, v60
	v_and_b32_e32 v58, 7, v58
	v_cmp_gt_u32_e32 vcc, 8, v24
	v_cndmask_b32_e32 v24, v57, v59, vcc
	v_cndmask_b32_e32 v25, v25, v58, vcc
	v_lshlrev_b32_e32 v22, 24, v22
	v_bfrev_b32_e32 v57, 60
	v_lshlrev_b32_e32 v25, 20, v25
	v_and_b32_e32 v22, 0x80000000, v22
	v_lshl_add_u32 v24, v24, 23, v57
	v_or3_b32 v57, v22, v24, v25
.LBB589_393:
	s_or_b64 exec, exec, s[10:11]
.LBB589_394:
	s_or_b64 exec, exec, s[8:9]
.LBB589_395:
	s_or_b64 exec, exec, s[2:3]
	v_cvt_pkrtz_f16_f32 v42, v42, v43
	v_cvt_pkrtz_f16_f32 v43, v23, v54
	s_load_dword s2, s[4:5], 0x1c
	s_mov_b32 s46, 0xff7fffff
	s_waitcnt lgkmcnt(0)
	v_mfma_f32_16x16x16f16 v[26:29], v[42:43], v[18:19], v[26:29]
	v_cvt_pkrtz_f16_f32 v18, v45, v56
	v_cvt_pkrtz_f16_f32 v19, v55, v57
	v_mov_b32_e32 v22, s2
	v_mul_f32_e32 v54, s12, v22
	v_pk_mul_f32 v[22:23], v[54:55], v[36:37] op_sel_hi:[0,1]
	v_pk_mul_f32 v[36:37], v[54:55], v[38:39] op_sel_hi:[0,1]
	v_and_b32_e32 v38, 0xc0, v0
	v_mfma_f32_16x16x16f16 v[26:29], v[18:19], v[20:21], v[26:29]
	v_add_u32_e32 v38, s20, v38
	v_lshl_or_b32 v38, v1, 2, v38
	v_or_b32_e32 v39, 1, v38
	v_pk_mul_f32 v[24:25], v[54:55], v[34:35] op_sel_hi:[0,1]
	v_pk_mul_f32 v[34:35], v[54:55], v[40:41] op_sel_hi:[0,1]
	v_subrev_u32_e32 v40, s33, v39
	v_pk_mul_f32 v[30:31], v[54:55], v[30:31] op_sel_hi:[0,1]
	s_nop 3
	v_pk_mul_f32 v[20:21], v[54:55], v[26:27] op_sel_hi:[0,1]
	v_add_u32_e32 v27, 1, v40
	v_pk_mul_f32 v[18:19], v[54:55], v[28:29] op_sel_hi:[0,1]
	v_cvt_f32_i32_e32 v27, v27
	v_add_u32_e32 v29, 3, v40
	v_cvt_f32_i32_e32 v26, v40
	v_add_u32_e32 v28, 2, v40
	v_cvt_f32_i32_e32 v29, v29
	v_cvt_f32_i32_e32 v28, v28
	v_pk_mul_f32 v[32:33], v[54:55], v[32:33] op_sel_hi:[0,1]
	s_waitcnt vmcnt(4)
	v_fmac_f32_e32 v31, v47, v27
	v_add_u32_e32 v27, 16, v40
	v_fma_f32 v26, v47, v26, v30
	v_fmac_f32_e32 v33, v47, v29
	v_cvt_f32_i32_e32 v27, v27
	v_add_u32_e32 v29, 17, v40
	v_add_u32_e32 v30, 18, v40
	v_fma_f32 v28, v47, v28, v32
	v_cvt_f32_i32_e32 v29, v29
	v_cvt_f32_i32_e32 v30, v30
	v_add_u32_e32 v32, 19, v40
	v_cvt_f32_i32_e32 v32, v32
	v_fma_f32 v36, v47, v27, v36
	v_add_u32_e32 v27, 32, v40
	v_fmac_f32_e32 v37, v47, v29
	v_fma_f32 v41, v47, v30, v34
	v_cvt_f32_i32_e32 v27, v27
	v_add_u32_e32 v29, 33, v40
	v_add_u32_e32 v30, 34, v40
	v_fmac_f32_e32 v35, v47, v32
	v_cvt_f32_i32_e32 v29, v29
	v_cvt_f32_i32_e32 v30, v30
	v_add_u32_e32 v32, 35, v40
	v_cvt_f32_i32_e32 v32, v32
	v_fma_f32 v24, v47, v27, v24
	v_add_u32_e32 v27, 48, v40
	v_fmac_f32_e32 v25, v47, v29
	v_fma_f32 v22, v47, v30, v22
	v_cvt_f32_i32_e32 v27, v27
	v_add_u32_e32 v29, 49, v40
	v_add_u32_e32 v30, 50, v40
	v_fmac_f32_e32 v23, v47, v32
	v_cvt_f32_i32_e32 v29, v29
	v_cvt_f32_i32_e32 v30, v30
	v_add_u32_e32 v32, 51, v40
	v_cvt_f32_i32_e32 v32, v32
	v_fma_f32 v20, v47, v27, v20
	v_mov_b32_e32 v27, 0xff7fffff
	v_cmp_gt_i32_e64 s[26:27], s33, v38
	v_cmp_gt_i32_e64 s[28:29], s33, v39
	v_fmac_f32_e32 v21, v47, v29
	v_fma_f32 v18, v47, v30, v18
	v_cndmask_b32_e64 v29, v27, v26, s[26:27]
	v_cndmask_b32_e64 v30, v27, v31, s[28:29]
	v_fmac_f32_e32 v19, v47, v32
	v_max3_f32 v29, v29, s46, v30
	v_or_b32_e32 v30, 2, v38
	v_or_b32_e32 v32, 3, v38
	v_cmp_gt_i32_e64 s[30:31], s33, v30
	v_cmp_gt_i32_e64 s[34:35], s33, v32
	v_cndmask_b32_e64 v30, v27, v28, s[30:31]
	v_cndmask_b32_e64 v32, v27, v33, s[34:35]
	v_max3_f32 v29, v29, v30, v32
	v_or_b32_e32 v30, 16, v38
	v_or_b32_e32 v32, 17, v38
	v_cmp_gt_i32_e64 s[36:37], s33, v30
	v_cmp_gt_i32_e64 s[38:39], s33, v32
	v_cndmask_b32_e64 v30, v27, v36, s[36:37]
	v_cndmask_b32_e64 v32, v27, v37, s[38:39]
	;; [unrolled: 7-line block ×6, first 2 shown]
	v_max3_f32 v29, v29, v30, v32
	v_or_b32_e32 v30, 50, v38
	v_or_b32_e32 v32, 51, v38
	v_cmp_gt_i32_e32 vcc, s33, v30
	v_cmp_gt_i32_e64 s[2:3], s33, v32
	v_cndmask_b32_e32 v30, v27, v18, vcc
	v_cndmask_b32_e64 v27, v27, v19, s[2:3]
	v_max3_f32 v27, v29, v30, v27
	v_mbcnt_lo_u32_b32 v29, -1, 0
	v_mbcnt_hi_u32_b32 v29, -1, v29
	v_and_b32_e32 v30, 64, v29
	v_add_u32_e32 v30, 64, v30
	v_xor_b32_e32 v32, 32, v29
	v_cmp_lt_i32_e64 s[40:41], v32, v30
	v_cndmask_b32_e64 v32, v29, v32, s[40:41]
	v_lshlrev_b32_e32 v38, 2, v32
	ds_bpermute_b32 v32, v38, v27
	s_barrier
	s_waitcnt lgkmcnt(0)
	v_max_f32_e32 v32, v32, v32
	v_max_f32_e32 v27, v27, v32
	v_xor_b32_e32 v32, 16, v29
	v_cmp_lt_i32_e64 s[40:41], v32, v30
	v_cndmask_b32_e64 v29, v29, v32, s[40:41]
	v_lshlrev_b32_e32 v39, 2, v29
	ds_bpermute_b32 v29, v39, v27
	s_waitcnt lgkmcnt(0)
	v_max_f32_e32 v29, v29, v29
	v_max_f32_e32 v34, v27, v29
	v_sub_f32_e32 v26, v26, v34
	v_mul_f32_e32 v26, 0x3fb8aa3b, v26
	v_sub_f32_e32 v27, v31, v34
	v_exp_f32_e32 v26, v26
	v_mul_f32_e32 v27, 0x3fb8aa3b, v27
	v_sub_f32_e32 v28, v28, v34
	v_exp_f32_e32 v27, v27
	v_mul_f32_e32 v28, 0x3fb8aa3b, v28
	v_exp_f32_e32 v28, v28
	v_cndmask_b32_e64 v26, 0, v26, s[26:27]
	v_sub_f32_e32 v30, v33, v34
	v_add_f32_e32 v29, 0, v26
	v_cndmask_b32_e64 v27, 0, v27, s[28:29]
	v_mul_f32_e32 v30, 0x3fb8aa3b, v30
	v_exp_f32_e32 v31, v30
	v_add_f32_e32 v29, v29, v27
	v_cndmask_b32_e64 v30, 0, v28, s[30:31]
	v_add_f32_e32 v28, v29, v30
	v_sub_f32_e32 v29, v36, v34
	v_sub_f32_e32 v32, v37, v34
	v_mul_f32_e32 v29, 0x3fb8aa3b, v29
	v_mul_f32_e32 v32, 0x3fb8aa3b, v32
	v_exp_f32_e32 v29, v29
	v_exp_f32_e32 v32, v32
	v_cndmask_b32_e64 v31, 0, v31, s[34:35]
	v_add_f32_e32 v33, v28, v31
	v_cndmask_b32_e64 v28, 0, v29, s[36:37]
	v_cndmask_b32_e64 v29, 0, v32, s[38:39]
	v_sub_f32_e32 v32, v41, v34
	v_mul_f32_e32 v32, 0x3fb8aa3b, v32
	v_sub_f32_e32 v35, v35, v34
	v_exp_f32_e32 v32, v32
	v_mul_f32_e32 v35, 0x3fb8aa3b, v35
	v_sub_f32_e32 v24, v24, v34
	v_exp_f32_e32 v35, v35
	;; [unrolled: 3-line block ×3, first 2 shown]
	v_mul_f32_e32 v25, 0x3fb8aa3b, v25
	v_sub_f32_e32 v22, v22, v34
	v_add_f32_e32 v33, v33, v28
	v_exp_f32_e32 v25, v25
	v_mul_f32_e32 v22, 0x3fb8aa3b, v22
	v_sub_f32_e32 v23, v23, v34
	v_add_f32_e32 v33, v33, v29
	v_cndmask_b32_e64 v32, 0, v32, s[20:21]
	v_exp_f32_e32 v22, v22
	v_mul_f32_e32 v23, 0x3fb8aa3b, v23
	v_sub_f32_e32 v20, v20, v34
	v_add_f32_e32 v36, v33, v32
	v_cndmask_b32_e64 v33, 0, v35, s[22:23]
	;; [unrolled: 5-line block ×5, first 2 shown]
	v_exp_f32_e32 v18, v18
	v_mul_f32_e32 v19, 0x3fb8aa3b, v19
	v_add_f32_e32 v35, v35, v22
	v_cndmask_b32_e64 v23, 0, v23, s[14:15]
	v_exp_f32_e32 v19, v19
	v_add_f32_e32 v35, v35, v23
	v_cndmask_b32_e64 v20, 0, v20, s[8:9]
	v_add_f32_e32 v35, v35, v20
	v_cndmask_b32_e64 v21, 0, v21, s[10:11]
	v_add_f32_e32 v35, v35, v21
	v_cndmask_b32_e32 v18, 0, v18, vcc
	v_add_f32_e32 v35, v35, v18
	v_cndmask_b32_e64 v19, 0, v19, s[2:3]
	v_add_f32_e32 v35, v35, v19
	ds_bpermute_b32 v36, v38, v35
	v_cmp_gt_u32_e32 vcc, 16, v44
	s_waitcnt lgkmcnt(0)
	v_add_f32_e32 v35, v35, v36
	ds_bpermute_b32 v37, v39, v35
	v_lshlrev_b32_e32 v36, 2, v53
	s_and_saveexec_b64 s[2:3], vcc
	s_cbranch_execz .LBB589_397
; %bb.396:
	s_waitcnt lgkmcnt(0)
	v_add_f32_e32 v35, v35, v37
	v_lshl_or_b32 v37, v51, 6, v36
	ds_write2st64_b32 v37, v34, v35 offset1:1
.LBB589_397:
	s_or_b64 exec, exec, s[2:3]
	s_waitcnt lgkmcnt(0)
	s_barrier
	ds_read2_b32 v[38:39], v36 offset1:16
	ds_read2_b32 v[40:41], v36 offset0:32 offset1:48
	ds_read2_b32 v[42:43], v36 offset0:64 offset1:80
	s_lshl_b32 s12, s45, 4
	s_waitcnt lgkmcnt(2)
	v_max3_f32 v34, v38, s46, v39
	s_waitcnt lgkmcnt(1)
	v_max3_f32 v35, v34, v40, v41
	v_sub_f32_e32 v34, v38, v35
	v_mul_f32_e32 v34, 0x3fb8aa3b, v34
	v_exp_f32_e32 v37, v34
	v_sub_f32_e32 v34, v39, v35
	v_mul_f32_e32 v34, 0x3fb8aa3b, v34
	v_exp_f32_e32 v44, v34
	;; [unrolled: 3-line block ×3, first 2 shown]
	ds_read2_b32 v[38:39], v36 offset0:96 offset1:112
	v_sub_f32_e32 v34, v41, v35
	v_mul_f32_e32 v34, 0x3fb8aa3b, v34
	v_exp_f32_e32 v41, v34
	s_waitcnt lgkmcnt(1)
	v_fma_f32 v36, v37, v42, 0
	v_fmac_f32_e32 v36, v44, v43
	s_waitcnt lgkmcnt(0)
	v_fmac_f32_e32 v36, v40, v38
	v_fmac_f32_e32 v36, v41, v39
	v_add_f32_e32 v38, 0x358637bd, v36
	v_div_scale_f32 v39, s[2:3], v38, v38, 1.0
	v_rcp_f32_e32 v42, v39
	s_barrier
	v_fma_f32 v43, -v39, v42, 1.0
	v_fmac_f32_e32 v42, v43, v42
	v_div_scale_f32 v43, vcc, 1.0, v38, 1.0
	v_mul_f32_e32 v45, v43, v42
	v_fma_f32 v47, -v39, v45, v43
	v_fmac_f32_e32 v45, v47, v42
	v_fma_f32 v39, -v39, v45, v43
	v_div_fmas_f32 v39, v39, v42, v45
	v_cmp_eq_u32_e32 vcc, 1, v51
	v_cndmask_b32_e32 v37, v37, v44, vcc
	v_cmp_eq_u32_e32 vcc, 2, v51
	v_cndmask_b32_e32 v37, v37, v40, vcc
	v_cmp_eq_u32_e32 vcc, 3, v51
	v_div_fixup_f32 v38, v39, v38, 1.0
	v_cndmask_b32_e32 v37, v37, v41, vcc
	v_mul_f32_e32 v38, v37, v38
	v_pk_mul_f32 v[26:27], v[38:39], v[26:27] op_sel_hi:[0,1]
	v_cvt_f16_f32_e32 v26, v26
	v_cvt_f16_f32_e32 v27, v27
	v_pk_mul_f32 v[30:31], v[38:39], v[30:31] op_sel_hi:[0,1]
	v_cvt_f16_f32_e32 v37, v30
	v_cvt_f16_f32_e32 v31, v31
	v_pack_b32_f16 v30, v26, v27
	v_pk_mul_f32 v[26:27], v[38:39], v[32:33] op_sel_hi:[0,1]
	v_pk_mul_f32 v[28:29], v[38:39], v[28:29] op_sel_hi:[0,1]
	v_cvt_f16_f32_e32 v28, v28
	v_cvt_f16_f32_e32 v29, v29
	;; [unrolled: 1-line block ×4, first 2 shown]
	v_pack_b32_f16 v31, v37, v31
	v_lshlrev_b32_e32 v37, 3, v1
	v_lshlrev_b32_e32 v26, 11, v51
	v_or3_b32 v26, v26, v52, v37
	v_pack_b32_f16 v28, v28, v29
	v_pack_b32_f16 v29, v32, v27
	v_pk_mul_f32 v[22:23], v[38:39], v[22:23] op_sel_hi:[0,1]
	v_pk_mul_f32 v[24:25], v[38:39], v[24:25] op_sel_hi:[0,1]
	;; [unrolled: 1-line block ×4, first 2 shown]
	ds_write2st64_b64 v26, v[30:31], v[28:29] offset1:1
	v_cvt_f16_f32_e32 v24, v24
	v_cvt_f16_f32_e32 v25, v25
	;; [unrolled: 1-line block ×8, first 2 shown]
	v_mov_b32_e32 v34, 0
	v_pack_b32_f16 v18, v24, v25
	v_pack_b32_f16 v19, v22, v23
	;; [unrolled: 1-line block ×4, first 2 shown]
	v_cmp_gt_u32_e32 vcc, 16, v0
	ds_write2st64_b64 v26, v[18:19], v[20:21] offset0:2 offset1:3
	s_and_saveexec_b64 s[2:3], vcc
	s_cbranch_execz .LBB589_399
; %bb.398:
	v_mov_b32_e32 v47, 0
	v_mov_b32_e32 v18, s12
	s_mul_i32 s7, s7, s12
	v_mad_u64_u32 v[18:19], s[14:15], s6, v18, v[46:47]
	v_mov_b32_e32 v46, s24
	s_load_dwordx4 s[8:11], s[4:5], 0x58
	v_add_u32_e32 v21, s7, v19
	v_mad_u64_u32 v[18:19], s[14:15], v18, s44, v[46:47]
	v_mov_b32_e32 v20, v19
	v_mad_u64_u32 v[20:21], s[14:15], v21, s44, v[20:21]
	v_mov_b32_e32 v19, v20
	v_lshlrev_b64 v[18:19], 2, v[18:19]
	s_waitcnt lgkmcnt(0)
	v_mov_b32_e32 v21, s11
	v_add_co_u32_e32 v20, vcc, s10, v18
	v_addc_co_u32_e32 v21, vcc, v21, v19, vcc
	global_store_dword v[20:21], v35, off
	v_mov_b32_e32 v20, s9
	v_add_co_u32_e32 v18, vcc, s8, v18
	v_addc_co_u32_e32 v19, vcc, v20, v19, vcc
	global_store_dword v[18:19], v36, off
.LBB589_399:
	s_or_b64 exec, exec, s[2:3]
	v_mov_b32_e32 v19, 0
	s_waitcnt vmcnt(3)
	v_cmp_ne_u16_sdwa s[8:9], v14, v19 src0_sel:BYTE_0 src1_sel:DWORD
	s_waitcnt lgkmcnt(0)
	s_barrier
	s_and_saveexec_b64 s[2:3], s[8:9]
	s_cbranch_execz .LBB589_405
; %bb.400:
	s_movk_i32 s7, 0x80
	v_cmp_ne_u16_sdwa s[10:11], v14, s7 src0_sel:BYTE_0 src1_sel:DWORD
	v_bfrev_b32_e32 v34, 1
	s_and_saveexec_b64 s[8:9], s[10:11]
	s_cbranch_execz .LBB589_404
; %bb.401:
	s_movk_i32 s7, 0x7f
	v_and_b32_e32 v18, 0x7f, v14
	v_cmp_ne_u32_e32 vcc, s7, v18
	v_mov_b32_e32 v34, 0x7f800001
	s_and_saveexec_b64 s[10:11], vcc
	s_cbranch_execz .LBB589_403
; %bb.402:
	v_and_b32_e32 v22, 7, v14
	v_ffbh_u32_e32 v20, v22
	v_min_u32_e32 v24, 32, v20
	v_subrev_u32_e32 v20, 28, v24
	v_lshlrev_b64 v[20:21], v20, v[14:15]
	v_lshrrev_b32_e32 v23, 3, v18
	v_sub_u32_e32 v21, 29, v24
	v_and_b32_e32 v20, 7, v20
	v_cmp_gt_u32_e32 vcc, 8, v18
	v_cndmask_b32_e32 v18, v23, v21, vcc
	v_cndmask_b32_e32 v20, v22, v20, vcc
	v_lshlrev_b32_e32 v21, 24, v14
	v_bfrev_b32_e32 v22, 60
	v_lshlrev_b32_e32 v20, 20, v20
	v_and_b32_e32 v21, 0x80000000, v21
	v_lshl_add_u32 v18, v18, 23, v22
	v_or3_b32 v34, v21, v18, v20
.LBB589_403:
	s_or_b64 exec, exec, s[10:11]
.LBB589_404:
	s_or_b64 exec, exec, s[8:9]
.LBB589_405:
	s_or_b64 exec, exec, s[2:3]
	v_lshrrev_b16_e32 v18, 8, v14
	v_cmp_ne_u16_e32 vcc, 0, v18
	v_mov_b32_e32 v20, 0
	s_and_saveexec_b64 s[2:3], vcc
	s_cbranch_execz .LBB589_411
; %bb.406:
	s_movk_i32 s7, 0x80
	v_cmp_ne_u16_e32 vcc, s7, v18
	v_bfrev_b32_e32 v20, 1
	s_and_saveexec_b64 s[8:9], vcc
	s_cbranch_execz .LBB589_410
; %bb.407:
	s_movk_i32 s7, 0x7f
	v_and_b32_e32 v21, 0x7f, v18
	v_cmp_ne_u32_e32 vcc, s7, v21
	v_mov_b32_e32 v20, 0x7f800001
	s_and_saveexec_b64 s[10:11], vcc
	s_cbranch_execz .LBB589_409
; %bb.408:
	v_and_b32_e32 v20, 7, v18
	v_ffbh_u32_e32 v22, v20
	v_min_u32_e32 v25, 32, v22
	v_subrev_u32_e32 v22, 28, v25
	v_lshlrev_b64 v[22:23], v22, v[18:19]
	v_lshrrev_b32_e32 v24, 3, v21
	v_sub_u32_e32 v18, 29, v25
	v_and_b32_e32 v22, 7, v22
	v_cmp_gt_u32_e32 vcc, 8, v21
	v_cndmask_b32_e32 v18, v24, v18, vcc
	v_cndmask_b32_e32 v20, v20, v22, vcc
	v_lshlrev_b32_e32 v21, 16, v14
	v_bfrev_b32_e32 v22, 60
	v_lshlrev_b32_e32 v20, 20, v20
	v_and_b32_e32 v21, 0x80000000, v21
	v_lshl_add_u32 v18, v18, 23, v22
	v_or3_b32 v20, v21, v18, v20
.LBB589_409:
	s_or_b64 exec, exec, s[10:11]
.LBB589_410:
	s_or_b64 exec, exec, s[8:9]
.LBB589_411:
	s_or_b64 exec, exec, s[2:3]
	s_movk_i32 s2, 0xff
	v_and_b32_sdwa v21, v14, s2 dst_sel:DWORD dst_unused:UNUSED_PAD src0_sel:WORD_1 src1_sel:DWORD
	v_lshrrev_b32_e32 v18, 16, v14
	v_cmp_ne_u16_e32 vcc, 0, v21
	s_and_saveexec_b64 s[2:3], vcc
	s_cbranch_execz .LBB589_417
; %bb.412:
	s_movk_i32 s7, 0x80
	v_cmp_ne_u16_e32 vcc, s7, v21
	v_bfrev_b32_e32 v19, 1
	s_and_saveexec_b64 s[8:9], vcc
	s_cbranch_execz .LBB589_416
; %bb.413:
	v_bfe_u32 v21, v14, 16, 7
	s_movk_i32 s7, 0x7f
	v_cmp_ne_u32_e32 vcc, s7, v21
	v_mov_b32_e32 v19, 0x7f800001
	s_and_saveexec_b64 s[10:11], vcc
	s_cbranch_execz .LBB589_415
; %bb.414:
	v_and_b32_e32 v22, 7, v18
	v_ffbh_u32_e32 v19, v22
	v_min_u32_e32 v24, 32, v19
	v_subrev_u32_e32 v19, 28, v24
	v_lshlrev_b64 v[18:19], v19, v[18:19]
	v_lshrrev_b32_e32 v23, 3, v21
	v_sub_u32_e32 v19, 29, v24
	v_and_b32_e32 v18, 7, v18
	v_cmp_gt_u32_e32 vcc, 8, v21
	v_mov_b32_e32 v21, 24
	v_cndmask_b32_e32 v19, v23, v19, vcc
	v_cndmask_b32_e32 v18, v22, v18, vcc
	v_lshlrev_b32_sdwa v21, v21, v14 dst_sel:DWORD dst_unused:UNUSED_PAD src0_sel:DWORD src1_sel:WORD_1
	v_bfrev_b32_e32 v22, 60
	v_lshlrev_b32_e32 v18, 20, v18
	v_and_b32_e32 v21, 0x80000000, v21
	v_lshl_add_u32 v19, v19, 23, v22
	v_or3_b32 v19, v21, v19, v18
.LBB589_415:
	s_or_b64 exec, exec, s[10:11]
.LBB589_416:
	s_or_b64 exec, exec, s[8:9]
.LBB589_417:
	s_or_b64 exec, exec, s[2:3]
	s_mov_b32 s2, 0xffffff
	v_cmp_lt_u32_e32 vcc, s2, v14
	v_mov_b32_e32 v21, 0
	v_mov_b32_e32 v23, 0
	s_and_saveexec_b64 s[2:3], vcc
	s_cbranch_execz .LBB589_423
; %bb.418:
	v_lshrrev_b32_e32 v18, 24, v14
	s_movk_i32 s7, 0x80
	v_cmp_ne_u32_e32 vcc, s7, v18
	v_bfrev_b32_e32 v23, 1
	s_and_saveexec_b64 s[8:9], vcc
	s_cbranch_execz .LBB589_422
; %bb.419:
	v_bfe_u32 v14, v14, 24, 7
	s_movk_i32 s7, 0x7f
	v_cmp_ne_u32_e32 vcc, s7, v14
	v_mov_b32_e32 v23, 0x7f800001
	s_and_saveexec_b64 s[10:11], vcc
	s_cbranch_execz .LBB589_421
; %bb.420:
	v_and_b32_e32 v24, 7, v18
	v_ffbh_u32_e32 v22, v24
	v_min_u32_e32 v27, 32, v22
	v_subrev_u32_e32 v22, 28, v27
	v_lshlrev_b64 v[22:23], v22, v[18:19]
	v_lshrrev_b32_e32 v25, 3, v14
	v_sub_u32_e32 v23, 29, v27
	v_and_b32_e32 v22, 7, v22
	v_cmp_gt_u32_e32 vcc, 8, v14
	v_cndmask_b32_e32 v14, v25, v23, vcc
	v_cndmask_b32_e32 v22, v24, v22, vcc
	v_lshlrev_b32_e32 v18, 24, v18
	v_bfrev_b32_e32 v23, 60
	v_lshlrev_b32_e32 v22, 20, v22
	v_and_b32_e32 v18, 0x80000000, v18
	v_lshl_add_u32 v14, v14, 23, v23
	v_or3_b32 v23, v18, v14, v22
.LBB589_421:
	s_or_b64 exec, exec, s[10:11]
.LBB589_422:
	s_or_b64 exec, exec, s[8:9]
.LBB589_423:
	s_or_b64 exec, exec, s[2:3]
	v_cmp_ne_u16_sdwa s[8:9], v15, v21 src0_sel:BYTE_0 src1_sel:DWORD
	s_and_saveexec_b64 s[2:3], s[8:9]
	s_cbranch_execz .LBB589_429
; %bb.424:
	s_movk_i32 s7, 0x80
	v_cmp_ne_u16_sdwa s[10:11], v15, s7 src0_sel:BYTE_0 src1_sel:DWORD
	v_bfrev_b32_e32 v21, 1
	s_and_saveexec_b64 s[8:9], s[10:11]
	s_cbranch_execz .LBB589_428
; %bb.425:
	s_movk_i32 s7, 0x7f
	v_and_b32_e32 v14, 0x7f, v15
	v_cmp_ne_u32_e32 vcc, s7, v14
	v_mov_b32_e32 v21, 0x7f800001
	s_and_saveexec_b64 s[10:11], vcc
	s_cbranch_execz .LBB589_427
; %bb.426:
	v_and_b32_e32 v21, 7, v15
	v_ffbh_u32_e32 v24, v21
	v_min_u32_e32 v27, 32, v24
	v_mov_b32_e32 v18, v15
	v_subrev_u32_e32 v24, 28, v27
	v_lshlrev_b64 v[24:25], v24, v[18:19]
	v_lshrrev_b32_e32 v22, 3, v14
	v_sub_u32_e32 v18, 29, v27
	v_and_b32_e32 v24, 7, v24
	v_cmp_gt_u32_e32 vcc, 8, v14
	v_cndmask_b32_e32 v14, v22, v18, vcc
	v_cndmask_b32_e32 v18, v21, v24, vcc
	v_lshlrev_b32_e32 v21, 24, v15
	v_bfrev_b32_e32 v22, 60
	v_lshlrev_b32_e32 v18, 20, v18
	v_and_b32_e32 v21, 0x80000000, v21
	v_lshl_add_u32 v14, v14, 23, v22
	v_or3_b32 v21, v21, v14, v18
.LBB589_427:
	s_or_b64 exec, exec, s[10:11]
.LBB589_428:
	s_or_b64 exec, exec, s[8:9]
.LBB589_429:
	s_or_b64 exec, exec, s[2:3]
	v_lshrrev_b16_e32 v14, 8, v15
	v_cmp_ne_u16_e32 vcc, 0, v14
	v_mov_b32_e32 v18, 0
	v_mov_b32_e32 v24, 0
	s_and_saveexec_b64 s[2:3], vcc
	s_cbranch_execz .LBB589_435
; %bb.430:
	s_movk_i32 s7, 0x80
	v_cmp_ne_u16_e32 vcc, s7, v14
	v_bfrev_b32_e32 v24, 1
	s_and_saveexec_b64 s[8:9], vcc
	s_cbranch_execz .LBB589_434
; %bb.431:
	s_movk_i32 s7, 0x7f
	v_and_b32_e32 v22, 0x7f, v14
	v_cmp_ne_u32_e32 vcc, s7, v22
	v_mov_b32_e32 v24, 0x7f800001
	s_and_saveexec_b64 s[10:11], vcc
	s_cbranch_execz .LBB589_433
; %bb.432:
	v_and_b32_e32 v27, 7, v14
	v_ffbh_u32_e32 v24, v27
	v_min_u32_e32 v29, 32, v24
	v_subrev_u32_e32 v24, 28, v29
	v_lshlrev_b64 v[24:25], v24, v[14:15]
	v_lshrrev_b32_e32 v28, 3, v22
	v_sub_u32_e32 v14, 29, v29
	v_and_b32_e32 v24, 7, v24
	v_cmp_gt_u32_e32 vcc, 8, v22
	v_cndmask_b32_e32 v14, v28, v14, vcc
	v_cndmask_b32_e32 v22, v27, v24, vcc
	v_lshlrev_b32_e32 v24, 16, v15
	v_bfrev_b32_e32 v25, 60
	v_lshlrev_b32_e32 v22, 20, v22
	v_and_b32_e32 v24, 0x80000000, v24
	v_lshl_add_u32 v14, v14, 23, v25
	v_or3_b32 v24, v24, v14, v22
.LBB589_433:
	s_or_b64 exec, exec, s[10:11]
.LBB589_434:
	s_or_b64 exec, exec, s[8:9]
.LBB589_435:
	s_or_b64 exec, exec, s[2:3]
	s_movk_i32 s2, 0xff
	v_and_b32_sdwa v22, v15, s2 dst_sel:DWORD dst_unused:UNUSED_PAD src0_sel:WORD_1 src1_sel:DWORD
	v_lshrrev_b32_e32 v14, 16, v15
	v_cmp_ne_u16_e32 vcc, 0, v22
	s_and_saveexec_b64 s[2:3], vcc
	s_cbranch_execz .LBB589_441
; %bb.436:
	s_movk_i32 s7, 0x80
	v_cmp_ne_u16_e32 vcc, s7, v22
	v_bfrev_b32_e32 v18, 1
	s_and_saveexec_b64 s[8:9], vcc
	s_cbranch_execz .LBB589_440
; %bb.437:
	v_bfe_u32 v22, v15, 16, 7
	s_movk_i32 s7, 0x7f
	v_cmp_ne_u32_e32 vcc, s7, v22
	v_mov_b32_e32 v18, 0x7f800001
	s_and_saveexec_b64 s[10:11], vcc
	s_cbranch_execz .LBB589_439
; %bb.438:
	v_and_b32_e32 v18, 7, v14
	v_ffbh_u32_e32 v27, v18
	v_min_u32_e32 v27, 32, v27
	v_subrev_u32_e32 v28, 28, v27
	v_lshlrev_b64 v[28:29], v28, v[14:15]
	v_lshrrev_b32_e32 v25, 3, v22
	v_sub_u32_e32 v14, 29, v27
	v_and_b32_e32 v27, 7, v28
	v_cmp_gt_u32_e32 vcc, 8, v22
	v_mov_b32_e32 v22, 24
	v_cndmask_b32_e32 v14, v25, v14, vcc
	v_cndmask_b32_e32 v18, v18, v27, vcc
	v_lshlrev_b32_sdwa v22, v22, v15 dst_sel:DWORD dst_unused:UNUSED_PAD src0_sel:DWORD src1_sel:WORD_1
	v_bfrev_b32_e32 v25, 60
	v_lshlrev_b32_e32 v18, 20, v18
	v_and_b32_e32 v22, 0x80000000, v22
	v_lshl_add_u32 v14, v14, 23, v25
	v_or3_b32 v18, v22, v14, v18
.LBB589_439:
	s_or_b64 exec, exec, s[10:11]
.LBB589_440:
	s_or_b64 exec, exec, s[8:9]
.LBB589_441:
	s_or_b64 exec, exec, s[2:3]
	s_mov_b32 s2, 0xffffff
	v_cmp_lt_u32_e32 vcc, s2, v15
	v_mov_b32_e32 v22, 0
	v_mov_b32_e32 v25, 0
	s_and_saveexec_b64 s[2:3], vcc
	s_cbranch_execz .LBB589_447
; %bb.442:
	v_lshrrev_b32_e32 v14, 24, v15
	s_movk_i32 s7, 0x80
	v_cmp_ne_u32_e32 vcc, s7, v14
	v_bfrev_b32_e32 v25, 1
	s_and_saveexec_b64 s[8:9], vcc
	s_cbranch_execz .LBB589_446
; %bb.443:
	v_bfe_u32 v15, v15, 24, 7
	s_movk_i32 s7, 0x7f
	v_cmp_ne_u32_e32 vcc, s7, v15
	v_mov_b32_e32 v25, 0x7f800001
	s_and_saveexec_b64 s[10:11], vcc
	s_cbranch_execz .LBB589_445
; %bb.444:
	v_and_b32_e32 v25, 7, v14
	v_ffbh_u32_e32 v28, v25
	v_min_u32_e32 v30, 32, v28
	v_subrev_u32_e32 v28, 28, v30
	v_lshlrev_b64 v[28:29], v28, v[14:15]
	v_lshrrev_b32_e32 v27, 3, v15
	v_sub_u32_e32 v29, 29, v30
	v_and_b32_e32 v28, 7, v28
	v_cmp_gt_u32_e32 vcc, 8, v15
	v_cndmask_b32_e32 v15, v27, v29, vcc
	v_cndmask_b32_e32 v25, v25, v28, vcc
	v_lshlrev_b32_e32 v14, 24, v14
	v_bfrev_b32_e32 v27, 60
	v_lshlrev_b32_e32 v25, 20, v25
	v_and_b32_e32 v14, 0x80000000, v14
	v_lshl_add_u32 v15, v15, 23, v27
	v_or3_b32 v25, v14, v15, v25
.LBB589_445:
	s_or_b64 exec, exec, s[10:11]
.LBB589_446:
	s_or_b64 exec, exec, s[8:9]
.LBB589_447:
	s_or_b64 exec, exec, s[2:3]
	v_cvt_pkrtz_f16_f32 v14, v34, v20
	v_cvt_pkrtz_f16_f32 v15, v19, v23
	ds_read_b128 v[28:31], v50
	v_cmp_ne_u16_sdwa s[8:9], v16, v22 src0_sel:BYTE_0 src1_sel:DWORD
	s_waitcnt lgkmcnt(0)
	v_mfma_f32_16x16x16f16 v[32:35], v[14:15], v[28:29], 0
	v_cvt_pkrtz_f16_f32 v14, v21, v24
	v_cvt_pkrtz_f16_f32 v15, v18, v25
	s_nop 1
	v_mfma_f32_16x16x16f16 v[18:21], v[14:15], v[30:31], v[32:35]
	s_and_saveexec_b64 s[2:3], s[8:9]
	s_cbranch_execz .LBB589_453
; %bb.448:
	s_movk_i32 s7, 0x80
	v_cmp_ne_u16_sdwa s[10:11], v16, s7 src0_sel:BYTE_0 src1_sel:DWORD
	v_bfrev_b32_e32 v22, 1
	s_and_saveexec_b64 s[8:9], s[10:11]
	s_cbranch_execz .LBB589_452
; %bb.449:
	s_movk_i32 s7, 0x7f
	v_and_b32_e32 v14, 0x7f, v16
	v_cmp_ne_u32_e32 vcc, s7, v14
	v_mov_b32_e32 v22, 0x7f800001
	s_and_saveexec_b64 s[10:11], vcc
	s_cbranch_execz .LBB589_451
; %bb.450:
	v_and_b32_e32 v15, 7, v16
	v_ffbh_u32_e32 v22, v15
	v_min_u32_e32 v25, 32, v22
	v_subrev_u32_e32 v22, 28, v25
	v_lshlrev_b64 v[22:23], v22, v[16:17]
	v_lshrrev_b32_e32 v24, 3, v14
	v_sub_u32_e32 v23, 29, v25
	v_and_b32_e32 v22, 7, v22
	v_cmp_gt_u32_e32 vcc, 8, v14
	v_cndmask_b32_e32 v14, v24, v23, vcc
	v_cndmask_b32_e32 v15, v15, v22, vcc
	v_lshlrev_b32_e32 v22, 24, v16
	v_bfrev_b32_e32 v23, 60
	v_lshlrev_b32_e32 v15, 20, v15
	v_and_b32_e32 v22, 0x80000000, v22
	v_lshl_add_u32 v14, v14, 23, v23
	v_or3_b32 v22, v22, v14, v15
.LBB589_451:
	s_or_b64 exec, exec, s[10:11]
.LBB589_452:
	s_or_b64 exec, exec, s[8:9]
.LBB589_453:
	s_or_b64 exec, exec, s[2:3]
	v_lshrrev_b16_e32 v14, 8, v16
	v_cmp_ne_u16_e32 vcc, 0, v14
	v_mov_b32_e32 v15, 0
	v_mov_b32_e32 v24, 0
	s_and_saveexec_b64 s[2:3], vcc
	s_cbranch_execz .LBB589_459
; %bb.454:
	s_movk_i32 s7, 0x80
	v_cmp_ne_u16_e32 vcc, s7, v14
	v_bfrev_b32_e32 v24, 1
	s_and_saveexec_b64 s[8:9], vcc
	s_cbranch_execz .LBB589_458
; %bb.455:
	s_movk_i32 s7, 0x7f
	v_and_b32_e32 v23, 0x7f, v14
	v_cmp_ne_u32_e32 vcc, s7, v23
	v_mov_b32_e32 v24, 0x7f800001
	s_and_saveexec_b64 s[10:11], vcc
	s_cbranch_execz .LBB589_457
; %bb.456:
	v_and_b32_e32 v27, 7, v14
	v_ffbh_u32_e32 v24, v27
	v_min_u32_e32 v29, 32, v24
	v_subrev_u32_e32 v24, 28, v29
	v_lshlrev_b64 v[24:25], v24, v[14:15]
	v_lshrrev_b32_e32 v28, 3, v23
	v_sub_u32_e32 v14, 29, v29
	v_and_b32_e32 v24, 7, v24
	v_cmp_gt_u32_e32 vcc, 8, v23
	v_cndmask_b32_e32 v14, v28, v14, vcc
	v_cndmask_b32_e32 v23, v27, v24, vcc
	v_lshlrev_b32_e32 v24, 16, v16
	v_bfrev_b32_e32 v25, 60
	v_lshlrev_b32_e32 v23, 20, v23
	v_and_b32_e32 v24, 0x80000000, v24
	v_lshl_add_u32 v14, v14, 23, v25
	v_or3_b32 v24, v24, v14, v23
.LBB589_457:
	s_or_b64 exec, exec, s[10:11]
.LBB589_458:
	s_or_b64 exec, exec, s[8:9]
.LBB589_459:
	s_or_b64 exec, exec, s[2:3]
	s_movk_i32 s2, 0xff
	v_and_b32_sdwa v23, v16, s2 dst_sel:DWORD dst_unused:UNUSED_PAD src0_sel:WORD_1 src1_sel:DWORD
	v_lshrrev_b32_e32 v14, 16, v16
	v_cmp_ne_u16_e32 vcc, 0, v23
	s_and_saveexec_b64 s[2:3], vcc
	s_cbranch_execz .LBB589_465
; %bb.460:
	s_movk_i32 s7, 0x80
	v_cmp_ne_u16_e32 vcc, s7, v23
	v_bfrev_b32_e32 v15, 1
	s_and_saveexec_b64 s[8:9], vcc
	s_cbranch_execz .LBB589_464
; %bb.461:
	v_bfe_u32 v23, v16, 16, 7
	s_movk_i32 s7, 0x7f
	v_cmp_ne_u32_e32 vcc, s7, v23
	v_mov_b32_e32 v15, 0x7f800001
	s_and_saveexec_b64 s[10:11], vcc
	s_cbranch_execz .LBB589_463
; %bb.462:
	v_and_b32_e32 v25, 7, v14
	v_ffbh_u32_e32 v15, v25
	v_min_u32_e32 v28, 32, v15
	v_subrev_u32_e32 v15, 28, v28
	v_lshlrev_b64 v[14:15], v15, v[14:15]
	v_lshrrev_b32_e32 v27, 3, v23
	v_sub_u32_e32 v15, 29, v28
	v_and_b32_e32 v14, 7, v14
	v_cmp_gt_u32_e32 vcc, 8, v23
	v_mov_b32_e32 v23, 24
	v_cndmask_b32_e32 v15, v27, v15, vcc
	v_cndmask_b32_e32 v14, v25, v14, vcc
	v_lshlrev_b32_sdwa v23, v23, v16 dst_sel:DWORD dst_unused:UNUSED_PAD src0_sel:DWORD src1_sel:WORD_1
	v_bfrev_b32_e32 v25, 60
	v_lshlrev_b32_e32 v14, 20, v14
	v_and_b32_e32 v23, 0x80000000, v23
	v_lshl_add_u32 v15, v15, 23, v25
	v_or3_b32 v15, v23, v15, v14
.LBB589_463:
	s_or_b64 exec, exec, s[10:11]
.LBB589_464:
	s_or_b64 exec, exec, s[8:9]
.LBB589_465:
	s_or_b64 exec, exec, s[2:3]
	s_mov_b32 s2, 0xffffff
	v_cmp_lt_u32_e32 vcc, s2, v16
	v_mov_b32_e32 v25, 0
	v_mov_b32_e32 v27, 0
	s_and_saveexec_b64 s[2:3], vcc
	s_cbranch_execz .LBB589_471
; %bb.466:
	v_lshrrev_b32_e32 v14, 24, v16
	s_movk_i32 s7, 0x80
	v_cmp_ne_u32_e32 vcc, s7, v14
	v_bfrev_b32_e32 v27, 1
	s_and_saveexec_b64 s[8:9], vcc
	s_cbranch_execz .LBB589_470
; %bb.467:
	v_bfe_u32 v16, v16, 24, 7
	s_movk_i32 s7, 0x7f
	v_cmp_ne_u32_e32 vcc, s7, v16
	v_mov_b32_e32 v27, 0x7f800001
	s_and_saveexec_b64 s[10:11], vcc
	s_cbranch_execz .LBB589_469
; %bb.468:
	v_and_b32_e32 v23, 7, v14
	v_ffbh_u32_e32 v28, v23
	v_min_u32_e32 v30, 32, v28
	v_subrev_u32_e32 v28, 28, v30
	v_lshlrev_b64 v[28:29], v28, v[14:15]
	v_lshrrev_b32_e32 v27, 3, v16
	v_sub_u32_e32 v29, 29, v30
	v_and_b32_e32 v28, 7, v28
	v_cmp_gt_u32_e32 vcc, 8, v16
	v_cndmask_b32_e32 v16, v27, v29, vcc
	v_cndmask_b32_e32 v23, v23, v28, vcc
	v_lshlrev_b32_e32 v14, 24, v14
	v_bfrev_b32_e32 v27, 60
	v_lshlrev_b32_e32 v23, 20, v23
	v_and_b32_e32 v14, 0x80000000, v14
	v_lshl_add_u32 v16, v16, 23, v27
	v_or3_b32 v27, v14, v16, v23
.LBB589_469:
	s_or_b64 exec, exec, s[10:11]
.LBB589_470:
	s_or_b64 exec, exec, s[8:9]
.LBB589_471:
	s_or_b64 exec, exec, s[2:3]
	v_cmp_ne_u16_sdwa s[8:9], v17, v25 src0_sel:BYTE_0 src1_sel:DWORD
	s_and_saveexec_b64 s[2:3], s[8:9]
	s_cbranch_execz .LBB589_477
; %bb.472:
	s_movk_i32 s7, 0x80
	v_cmp_ne_u16_sdwa s[10:11], v17, s7 src0_sel:BYTE_0 src1_sel:DWORD
	v_bfrev_b32_e32 v25, 1
	s_and_saveexec_b64 s[8:9], s[10:11]
	s_cbranch_execz .LBB589_476
; %bb.473:
	s_movk_i32 s7, 0x7f
	v_and_b32_e32 v14, 0x7f, v17
	v_cmp_ne_u32_e32 vcc, s7, v14
	v_mov_b32_e32 v25, 0x7f800001
	s_and_saveexec_b64 s[10:11], vcc
	s_cbranch_execz .LBB589_475
; %bb.474:
	v_and_b32_e32 v23, 7, v17
	v_ffbh_u32_e32 v28, v23
	v_min_u32_e32 v30, 32, v28
	v_mov_b32_e32 v16, v17
	v_subrev_u32_e32 v28, 28, v30
	v_lshlrev_b64 v[28:29], v28, v[16:17]
	v_lshrrev_b32_e32 v25, 3, v14
	v_sub_u32_e32 v16, 29, v30
	v_and_b32_e32 v28, 7, v28
	v_cmp_gt_u32_e32 vcc, 8, v14
	v_cndmask_b32_e32 v14, v25, v16, vcc
	v_cndmask_b32_e32 v16, v23, v28, vcc
	v_lshlrev_b32_e32 v23, 24, v17
	v_bfrev_b32_e32 v25, 60
	v_lshlrev_b32_e32 v16, 20, v16
	v_and_b32_e32 v23, 0x80000000, v23
	v_lshl_add_u32 v14, v14, 23, v25
	v_or3_b32 v25, v23, v14, v16
.LBB589_475:
	s_or_b64 exec, exec, s[10:11]
.LBB589_476:
	s_or_b64 exec, exec, s[8:9]
.LBB589_477:
	s_or_b64 exec, exec, s[2:3]
	v_lshrrev_b16_e32 v14, 8, v17
	v_cmp_ne_u16_e32 vcc, 0, v14
	v_mov_b32_e32 v16, 0
	v_mov_b32_e32 v28, 0
	s_and_saveexec_b64 s[2:3], vcc
	s_cbranch_execz .LBB589_483
; %bb.478:
	s_movk_i32 s7, 0x80
	v_cmp_ne_u16_e32 vcc, s7, v14
	v_bfrev_b32_e32 v28, 1
	s_and_saveexec_b64 s[8:9], vcc
	s_cbranch_execz .LBB589_482
; %bb.479:
	s_movk_i32 s7, 0x7f
	v_and_b32_e32 v23, 0x7f, v14
	v_cmp_ne_u32_e32 vcc, s7, v23
	v_mov_b32_e32 v28, 0x7f800001
	s_and_saveexec_b64 s[10:11], vcc
	s_cbranch_execz .LBB589_481
; %bb.480:
	v_and_b32_e32 v30, 7, v14
	v_ffbh_u32_e32 v28, v30
	v_min_u32_e32 v32, 32, v28
	v_subrev_u32_e32 v28, 28, v32
	v_lshlrev_b64 v[28:29], v28, v[14:15]
	v_lshrrev_b32_e32 v31, 3, v23
	v_sub_u32_e32 v14, 29, v32
	v_and_b32_e32 v28, 7, v28
	v_cmp_gt_u32_e32 vcc, 8, v23
	v_cndmask_b32_e32 v14, v31, v14, vcc
	v_cndmask_b32_e32 v23, v30, v28, vcc
	v_lshlrev_b32_e32 v28, 16, v17
	v_bfrev_b32_e32 v29, 60
	v_lshlrev_b32_e32 v23, 20, v23
	v_and_b32_e32 v28, 0x80000000, v28
	v_lshl_add_u32 v14, v14, 23, v29
	v_or3_b32 v28, v28, v14, v23
.LBB589_481:
	s_or_b64 exec, exec, s[10:11]
.LBB589_482:
	s_or_b64 exec, exec, s[8:9]
.LBB589_483:
	s_or_b64 exec, exec, s[2:3]
	s_movk_i32 s2, 0xff
	v_and_b32_sdwa v23, v17, s2 dst_sel:DWORD dst_unused:UNUSED_PAD src0_sel:WORD_1 src1_sel:DWORD
	v_lshrrev_b32_e32 v14, 16, v17
	v_cmp_ne_u16_e32 vcc, 0, v23
	s_and_saveexec_b64 s[2:3], vcc
	s_cbranch_execz .LBB589_489
; %bb.484:
	s_movk_i32 s7, 0x80
	v_cmp_ne_u16_e32 vcc, s7, v23
	v_bfrev_b32_e32 v16, 1
	s_and_saveexec_b64 s[8:9], vcc
	s_cbranch_execz .LBB589_488
; %bb.485:
	v_bfe_u32 v23, v17, 16, 7
	s_movk_i32 s7, 0x7f
	v_cmp_ne_u32_e32 vcc, s7, v23
	v_mov_b32_e32 v16, 0x7f800001
	s_and_saveexec_b64 s[10:11], vcc
	s_cbranch_execz .LBB589_487
; %bb.486:
	v_and_b32_e32 v16, 7, v14
	v_ffbh_u32_e32 v30, v16
	v_min_u32_e32 v32, 32, v30
	v_subrev_u32_e32 v30, 28, v32
	v_lshlrev_b64 v[30:31], v30, v[14:15]
	v_lshrrev_b32_e32 v29, 3, v23
	v_sub_u32_e32 v14, 29, v32
	v_and_b32_e32 v30, 7, v30
	v_cmp_gt_u32_e32 vcc, 8, v23
	v_mov_b32_e32 v23, 24
	v_cndmask_b32_e32 v14, v29, v14, vcc
	v_cndmask_b32_e32 v16, v16, v30, vcc
	v_lshlrev_b32_sdwa v23, v23, v17 dst_sel:DWORD dst_unused:UNUSED_PAD src0_sel:DWORD src1_sel:WORD_1
	v_bfrev_b32_e32 v29, 60
	v_lshlrev_b32_e32 v16, 20, v16
	v_and_b32_e32 v23, 0x80000000, v23
	v_lshl_add_u32 v14, v14, 23, v29
	v_or3_b32 v16, v23, v14, v16
.LBB589_487:
	s_or_b64 exec, exec, s[10:11]
.LBB589_488:
	s_or_b64 exec, exec, s[8:9]
.LBB589_489:
	s_or_b64 exec, exec, s[2:3]
	s_mov_b32 s2, 0xffffff
	v_cmp_lt_u32_e32 vcc, s2, v17
	v_mov_b32_e32 v23, 0
	v_mov_b32_e32 v29, 0
	s_and_saveexec_b64 s[2:3], vcc
	s_cbranch_execz .LBB589_495
; %bb.490:
	v_lshrrev_b32_e32 v14, 24, v17
	s_movk_i32 s7, 0x80
	v_cmp_ne_u32_e32 vcc, s7, v14
	v_bfrev_b32_e32 v29, 1
	s_and_saveexec_b64 s[8:9], vcc
	s_cbranch_execz .LBB589_494
; %bb.491:
	v_bfe_u32 v17, v17, 24, 7
	s_movk_i32 s7, 0x7f
	v_cmp_ne_u32_e32 vcc, s7, v17
	v_mov_b32_e32 v29, 0x7f800001
	s_and_saveexec_b64 s[10:11], vcc
	s_cbranch_execz .LBB589_493
; %bb.492:
	v_and_b32_e32 v29, 7, v14
	v_ffbh_u32_e32 v30, v29
	v_min_u32_e32 v33, 32, v30
	v_subrev_u32_e32 v30, 28, v33
	v_lshlrev_b64 v[30:31], v30, v[14:15]
	v_lshrrev_b32_e32 v32, 3, v17
	v_sub_u32_e32 v31, 29, v33
	v_and_b32_e32 v30, 7, v30
	v_cmp_gt_u32_e32 vcc, 8, v17
	v_cndmask_b32_e32 v17, v32, v31, vcc
	v_cndmask_b32_e32 v29, v29, v30, vcc
	v_lshlrev_b32_e32 v14, 24, v14
	v_bfrev_b32_e32 v30, 60
	v_lshlrev_b32_e32 v29, 20, v29
	v_and_b32_e32 v14, 0x80000000, v14
	v_lshl_add_u32 v17, v17, 23, v30
	v_or3_b32 v29, v14, v17, v29
.LBB589_493:
	s_or_b64 exec, exec, s[10:11]
.LBB589_494:
	s_or_b64 exec, exec, s[8:9]
.LBB589_495:
	s_or_b64 exec, exec, s[2:3]
	v_cvt_pkrtz_f16_f32 v14, v22, v24
	v_cvt_pkrtz_f16_f32 v15, v15, v27
	ds_read_b128 v[30:33], v50 offset:16
	s_waitcnt vmcnt(2)
	v_cmp_ne_u16_sdwa s[8:9], v10, v23 src0_sel:BYTE_0 src1_sel:DWORD
	s_waitcnt lgkmcnt(0)
	v_mfma_f32_16x16x16f16 v[18:21], v[14:15], v[30:31], v[18:21]
	v_cvt_pkrtz_f16_f32 v14, v25, v28
	v_cvt_pkrtz_f16_f32 v15, v16, v29
	s_nop 1
	v_mfma_f32_16x16x16f16 v[14:17], v[14:15], v[32:33], v[18:21]
	s_and_saveexec_b64 s[2:3], s[8:9]
	s_cbranch_execz .LBB589_501
; %bb.496:
	s_movk_i32 s7, 0x80
	v_cmp_ne_u16_sdwa s[10:11], v10, s7 src0_sel:BYTE_0 src1_sel:DWORD
	v_bfrev_b32_e32 v23, 1
	s_and_saveexec_b64 s[8:9], s[10:11]
	s_cbranch_execz .LBB589_500
; %bb.497:
	s_movk_i32 s7, 0x7f
	v_and_b32_e32 v18, 0x7f, v10
	v_cmp_ne_u32_e32 vcc, s7, v18
	v_mov_b32_e32 v23, 0x7f800001
	s_and_saveexec_b64 s[10:11], vcc
	s_cbranch_execz .LBB589_499
; %bb.498:
	v_and_b32_e32 v19, 7, v10
	v_ffbh_u32_e32 v20, v19
	v_min_u32_e32 v23, 32, v20
	v_subrev_u32_e32 v20, 28, v23
	v_lshlrev_b64 v[20:21], v20, v[10:11]
	v_lshrrev_b32_e32 v22, 3, v18
	v_sub_u32_e32 v21, 29, v23
	v_and_b32_e32 v20, 7, v20
	v_cmp_gt_u32_e32 vcc, 8, v18
	v_cndmask_b32_e32 v18, v22, v21, vcc
	v_cndmask_b32_e32 v19, v19, v20, vcc
	v_lshlrev_b32_e32 v20, 24, v10
	v_bfrev_b32_e32 v21, 60
	v_lshlrev_b32_e32 v19, 20, v19
	v_and_b32_e32 v20, 0x80000000, v20
	v_lshl_add_u32 v18, v18, 23, v21
	v_or3_b32 v23, v20, v18, v19
.LBB589_499:
	s_or_b64 exec, exec, s[10:11]
.LBB589_500:
	s_or_b64 exec, exec, s[8:9]
.LBB589_501:
	s_or_b64 exec, exec, s[2:3]
	s_nop 3
	v_lshrrev_b16_e32 v18, 8, v10
	v_cmp_ne_u16_e32 vcc, 0, v18
	v_mov_b32_e32 v19, 0
	v_mov_b32_e32 v20, 0
	s_and_saveexec_b64 s[2:3], vcc
	s_cbranch_execz .LBB589_507
; %bb.502:
	s_movk_i32 s7, 0x80
	v_cmp_ne_u16_e32 vcc, s7, v18
	v_bfrev_b32_e32 v20, 1
	s_and_saveexec_b64 s[8:9], vcc
	s_cbranch_execz .LBB589_506
; %bb.503:
	s_movk_i32 s7, 0x7f
	v_and_b32_e32 v21, 0x7f, v18
	v_cmp_ne_u32_e32 vcc, s7, v21
	v_mov_b32_e32 v20, 0x7f800001
	s_and_saveexec_b64 s[10:11], vcc
	s_cbranch_execz .LBB589_505
; %bb.504:
	v_and_b32_e32 v20, 7, v18
	v_ffbh_u32_e32 v24, v20
	v_min_u32_e32 v27, 32, v24
	v_subrev_u32_e32 v24, 28, v27
	v_lshlrev_b64 v[24:25], v24, v[18:19]
	v_lshrrev_b32_e32 v22, 3, v21
	v_sub_u32_e32 v18, 29, v27
	v_and_b32_e32 v24, 7, v24
	v_cmp_gt_u32_e32 vcc, 8, v21
	v_cndmask_b32_e32 v18, v22, v18, vcc
	v_cndmask_b32_e32 v20, v20, v24, vcc
	v_lshlrev_b32_e32 v21, 16, v10
	v_bfrev_b32_e32 v22, 60
	v_lshlrev_b32_e32 v20, 20, v20
	v_and_b32_e32 v21, 0x80000000, v21
	v_lshl_add_u32 v18, v18, 23, v22
	v_or3_b32 v20, v21, v18, v20
.LBB589_505:
	s_or_b64 exec, exec, s[10:11]
.LBB589_506:
	s_or_b64 exec, exec, s[8:9]
.LBB589_507:
	s_or_b64 exec, exec, s[2:3]
	s_movk_i32 s2, 0xff
	v_and_b32_sdwa v21, v10, s2 dst_sel:DWORD dst_unused:UNUSED_PAD src0_sel:WORD_1 src1_sel:DWORD
	v_lshrrev_b32_e32 v18, 16, v10
	v_cmp_ne_u16_e32 vcc, 0, v21
	s_and_saveexec_b64 s[2:3], vcc
	s_cbranch_execz .LBB589_513
; %bb.508:
	s_movk_i32 s7, 0x80
	v_cmp_ne_u16_e32 vcc, s7, v21
	v_bfrev_b32_e32 v19, 1
	s_and_saveexec_b64 s[8:9], vcc
	s_cbranch_execz .LBB589_512
; %bb.509:
	v_bfe_u32 v21, v10, 16, 7
	s_movk_i32 s7, 0x7f
	v_cmp_ne_u32_e32 vcc, s7, v21
	v_mov_b32_e32 v19, 0x7f800001
	s_and_saveexec_b64 s[10:11], vcc
	s_cbranch_execz .LBB589_511
; %bb.510:
	v_and_b32_e32 v22, 7, v18
	v_ffbh_u32_e32 v19, v22
	v_min_u32_e32 v25, 32, v19
	v_subrev_u32_e32 v19, 28, v25
	v_lshlrev_b64 v[18:19], v19, v[18:19]
	v_lshrrev_b32_e32 v24, 3, v21
	v_sub_u32_e32 v19, 29, v25
	v_and_b32_e32 v18, 7, v18
	v_cmp_gt_u32_e32 vcc, 8, v21
	v_mov_b32_e32 v21, 24
	v_cndmask_b32_e32 v19, v24, v19, vcc
	v_cndmask_b32_e32 v18, v22, v18, vcc
	v_lshlrev_b32_sdwa v21, v21, v10 dst_sel:DWORD dst_unused:UNUSED_PAD src0_sel:DWORD src1_sel:WORD_1
	v_bfrev_b32_e32 v22, 60
	v_lshlrev_b32_e32 v18, 20, v18
	v_and_b32_e32 v21, 0x80000000, v21
	v_lshl_add_u32 v19, v19, 23, v22
	v_or3_b32 v19, v21, v19, v18
.LBB589_511:
	s_or_b64 exec, exec, s[10:11]
.LBB589_512:
	s_or_b64 exec, exec, s[8:9]
.LBB589_513:
	s_or_b64 exec, exec, s[2:3]
	s_mov_b32 s2, 0xffffff
	v_cmp_lt_u32_e32 vcc, s2, v10
	v_mov_b32_e32 v21, 0
	v_mov_b32_e32 v22, 0
	s_and_saveexec_b64 s[2:3], vcc
	s_cbranch_execz .LBB589_519
; %bb.514:
	v_lshrrev_b32_e32 v18, 24, v10
	s_movk_i32 s7, 0x80
	v_cmp_ne_u32_e32 vcc, s7, v18
	v_bfrev_b32_e32 v22, 1
	s_and_saveexec_b64 s[8:9], vcc
	s_cbranch_execz .LBB589_518
; %bb.515:
	v_bfe_u32 v10, v10, 24, 7
	s_movk_i32 s7, 0x7f
	v_cmp_ne_u32_e32 vcc, s7, v10
	v_mov_b32_e32 v22, 0x7f800001
	s_and_saveexec_b64 s[10:11], vcc
	s_cbranch_execz .LBB589_517
; %bb.516:
	v_and_b32_e32 v22, 7, v18
	v_ffbh_u32_e32 v24, v22
	v_min_u32_e32 v28, 32, v24
	v_subrev_u32_e32 v24, 28, v28
	v_lshlrev_b64 v[24:25], v24, v[18:19]
	v_lshrrev_b32_e32 v27, 3, v10
	v_sub_u32_e32 v25, 29, v28
	v_and_b32_e32 v24, 7, v24
	v_cmp_gt_u32_e32 vcc, 8, v10
	v_cndmask_b32_e32 v10, v27, v25, vcc
	v_cndmask_b32_e32 v22, v22, v24, vcc
	v_lshlrev_b32_e32 v18, 24, v18
	v_bfrev_b32_e32 v24, 60
	v_lshlrev_b32_e32 v22, 20, v22
	v_and_b32_e32 v18, 0x80000000, v18
	v_lshl_add_u32 v10, v10, 23, v24
	v_or3_b32 v22, v18, v10, v22
.LBB589_517:
	s_or_b64 exec, exec, s[10:11]
.LBB589_518:
	s_or_b64 exec, exec, s[8:9]
.LBB589_519:
	s_or_b64 exec, exec, s[2:3]
	v_cmp_ne_u16_sdwa s[8:9], v11, v21 src0_sel:BYTE_0 src1_sel:DWORD
	s_and_saveexec_b64 s[2:3], s[8:9]
	s_cbranch_execz .LBB589_525
; %bb.520:
	s_movk_i32 s7, 0x80
	v_cmp_ne_u16_sdwa s[10:11], v11, s7 src0_sel:BYTE_0 src1_sel:DWORD
	v_bfrev_b32_e32 v21, 1
	s_and_saveexec_b64 s[8:9], s[10:11]
	s_cbranch_execz .LBB589_524
; %bb.521:
	s_movk_i32 s7, 0x7f
	v_and_b32_e32 v10, 0x7f, v11
	v_cmp_ne_u32_e32 vcc, s7, v10
	v_mov_b32_e32 v21, 0x7f800001
	s_and_saveexec_b64 s[10:11], vcc
	s_cbranch_execz .LBB589_523
; %bb.522:
	v_and_b32_e32 v21, 7, v11
	v_ffbh_u32_e32 v24, v21
	v_min_u32_e32 v28, 32, v24
	v_mov_b32_e32 v18, v11
	v_subrev_u32_e32 v24, 28, v28
	v_lshlrev_b64 v[24:25], v24, v[18:19]
	v_lshrrev_b32_e32 v27, 3, v10
	v_sub_u32_e32 v18, 29, v28
	v_and_b32_e32 v24, 7, v24
	v_cmp_gt_u32_e32 vcc, 8, v10
	v_cndmask_b32_e32 v10, v27, v18, vcc
	v_cndmask_b32_e32 v18, v21, v24, vcc
	v_lshlrev_b32_e32 v21, 24, v11
	v_bfrev_b32_e32 v24, 60
	v_lshlrev_b32_e32 v18, 20, v18
	v_and_b32_e32 v21, 0x80000000, v21
	v_lshl_add_u32 v10, v10, 23, v24
	v_or3_b32 v21, v21, v10, v18
.LBB589_523:
	s_or_b64 exec, exec, s[10:11]
.LBB589_524:
	s_or_b64 exec, exec, s[8:9]
.LBB589_525:
	s_or_b64 exec, exec, s[2:3]
	v_lshrrev_b16_e32 v10, 8, v11
	v_cmp_ne_u16_e32 vcc, 0, v10
	v_mov_b32_e32 v24, 0
	v_mov_b32_e32 v25, 0
	s_and_saveexec_b64 s[2:3], vcc
	s_cbranch_execz .LBB589_531
; %bb.526:
	s_movk_i32 s7, 0x80
	v_cmp_ne_u16_e32 vcc, s7, v10
	v_bfrev_b32_e32 v25, 1
	s_and_saveexec_b64 s[8:9], vcc
	s_cbranch_execz .LBB589_530
; %bb.527:
	s_movk_i32 s7, 0x7f
	v_and_b32_e32 v18, 0x7f, v10
	v_cmp_ne_u32_e32 vcc, s7, v18
	v_mov_b32_e32 v25, 0x7f800001
	s_and_saveexec_b64 s[10:11], vcc
	s_cbranch_execz .LBB589_529
; %bb.528:
	v_and_b32_e32 v25, 7, v10
	v_ffbh_u32_e32 v28, v25
	v_min_u32_e32 v30, 32, v28
	v_subrev_u32_e32 v28, 28, v30
	v_lshlrev_b64 v[28:29], v28, v[10:11]
	v_lshrrev_b32_e32 v27, 3, v18
	v_sub_u32_e32 v10, 29, v30
	v_and_b32_e32 v28, 7, v28
	v_cmp_gt_u32_e32 vcc, 8, v18
	v_cndmask_b32_e32 v10, v27, v10, vcc
	v_cndmask_b32_e32 v18, v25, v28, vcc
	v_lshlrev_b32_e32 v25, 16, v11
	v_bfrev_b32_e32 v27, 60
	v_lshlrev_b32_e32 v18, 20, v18
	v_and_b32_e32 v25, 0x80000000, v25
	v_lshl_add_u32 v10, v10, 23, v27
	v_or3_b32 v25, v25, v10, v18
.LBB589_529:
	s_or_b64 exec, exec, s[10:11]
.LBB589_530:
	s_or_b64 exec, exec, s[8:9]
.LBB589_531:
	s_or_b64 exec, exec, s[2:3]
	s_movk_i32 s2, 0xff
	v_and_b32_sdwa v18, v11, s2 dst_sel:DWORD dst_unused:UNUSED_PAD src0_sel:WORD_1 src1_sel:DWORD
	v_lshrrev_b32_e32 v10, 16, v11
	v_cmp_ne_u16_e32 vcc, 0, v18
	s_and_saveexec_b64 s[2:3], vcc
	s_cbranch_execz .LBB589_537
; %bb.532:
	s_movk_i32 s7, 0x80
	v_cmp_ne_u16_e32 vcc, s7, v18
	v_bfrev_b32_e32 v24, 1
	s_and_saveexec_b64 s[8:9], vcc
	s_cbranch_execz .LBB589_536
; %bb.533:
	v_bfe_u32 v18, v11, 16, 7
	s_movk_i32 s7, 0x7f
	v_cmp_ne_u32_e32 vcc, s7, v18
	v_mov_b32_e32 v24, 0x7f800001
	s_and_saveexec_b64 s[10:11], vcc
	s_cbranch_execz .LBB589_535
; %bb.534:
	v_and_b32_e32 v24, 7, v10
	v_ffbh_u32_e32 v28, v24
	v_min_u32_e32 v30, 32, v28
	v_subrev_u32_e32 v28, 28, v30
	v_lshlrev_b64 v[28:29], v28, v[10:11]
	v_and_b32_e32 v28, 7, v28
	v_cmp_gt_u32_e32 vcc, 8, v18
	v_lshrrev_b32_e32 v27, 3, v18
	v_sub_u32_e32 v10, 29, v30
	v_cndmask_b32_e32 v18, v24, v28, vcc
	v_mov_b32_e32 v24, 24
	v_cndmask_b32_e32 v10, v27, v10, vcc
	v_lshlrev_b32_sdwa v24, v24, v11 dst_sel:DWORD dst_unused:UNUSED_PAD src0_sel:DWORD src1_sel:WORD_1
	v_bfrev_b32_e32 v27, 60
	v_lshlrev_b32_e32 v18, 20, v18
	v_and_b32_e32 v24, 0x80000000, v24
	v_lshl_add_u32 v10, v10, 23, v27
	v_or3_b32 v24, v24, v10, v18
.LBB589_535:
	s_or_b64 exec, exec, s[10:11]
.LBB589_536:
	s_or_b64 exec, exec, s[8:9]
.LBB589_537:
	s_or_b64 exec, exec, s[2:3]
	s_mov_b32 s2, 0xffffff
	v_cmp_lt_u32_e32 vcc, s2, v11
	v_mov_b32_e32 v18, 0
	v_mov_b32_e32 v27, 0
	s_and_saveexec_b64 s[2:3], vcc
	s_cbranch_execz .LBB589_543
; %bb.538:
	v_lshrrev_b32_e32 v10, 24, v11
	s_movk_i32 s7, 0x80
	v_cmp_ne_u32_e32 vcc, s7, v10
	v_bfrev_b32_e32 v27, 1
	s_and_saveexec_b64 s[8:9], vcc
	s_cbranch_execz .LBB589_542
; %bb.539:
	v_bfe_u32 v11, v11, 24, 7
	s_movk_i32 s7, 0x7f
	v_cmp_ne_u32_e32 vcc, s7, v11
	v_mov_b32_e32 v27, 0x7f800001
	s_and_saveexec_b64 s[10:11], vcc
	s_cbranch_execz .LBB589_541
; %bb.540:
	v_and_b32_e32 v27, 7, v10
	v_ffbh_u32_e32 v28, v27
	v_min_u32_e32 v31, 32, v28
	v_subrev_u32_e32 v28, 28, v31
	v_lshlrev_b64 v[28:29], v28, v[10:11]
	v_lshrrev_b32_e32 v30, 3, v11
	v_sub_u32_e32 v29, 29, v31
	v_and_b32_e32 v28, 7, v28
	v_cmp_gt_u32_e32 vcc, 8, v11
	v_cndmask_b32_e32 v11, v30, v29, vcc
	v_cndmask_b32_e32 v27, v27, v28, vcc
	v_lshlrev_b32_e32 v10, 24, v10
	v_bfrev_b32_e32 v28, 60
	v_lshlrev_b32_e32 v27, 20, v27
	v_and_b32_e32 v10, 0x80000000, v10
	v_lshl_add_u32 v11, v11, 23, v28
	v_or3_b32 v27, v10, v11, v27
.LBB589_541:
	s_or_b64 exec, exec, s[10:11]
.LBB589_542:
	s_or_b64 exec, exec, s[8:9]
.LBB589_543:
	s_or_b64 exec, exec, s[2:3]
	v_cvt_pkrtz_f16_f32 v10, v23, v20
	v_cvt_pkrtz_f16_f32 v11, v19, v22
	ds_read_b128 v[28:31], v50 offset:2048
	v_cmp_ne_u16_sdwa s[8:9], v12, v18 src0_sel:BYTE_0 src1_sel:DWORD
	s_waitcnt lgkmcnt(0)
	v_mfma_f32_16x16x16f16 v[14:17], v[10:11], v[28:29], v[14:17]
	v_cvt_pkrtz_f16_f32 v10, v21, v25
	v_cvt_pkrtz_f16_f32 v11, v24, v27
	s_nop 1
	v_mfma_f32_16x16x16f16 v[14:17], v[10:11], v[30:31], v[14:17]
	s_and_saveexec_b64 s[2:3], s[8:9]
	s_cbranch_execz .LBB589_549
; %bb.544:
	s_movk_i32 s7, 0x80
	v_cmp_ne_u16_sdwa s[10:11], v12, s7 src0_sel:BYTE_0 src1_sel:DWORD
	v_bfrev_b32_e32 v18, 1
	s_and_saveexec_b64 s[8:9], s[10:11]
	s_cbranch_execz .LBB589_548
; %bb.545:
	s_movk_i32 s7, 0x7f
	v_and_b32_e32 v10, 0x7f, v12
	v_cmp_ne_u32_e32 vcc, s7, v10
	v_mov_b32_e32 v18, 0x7f800001
	s_and_saveexec_b64 s[10:11], vcc
	s_cbranch_execz .LBB589_547
; %bb.546:
	v_and_b32_e32 v11, 7, v12
	v_ffbh_u32_e32 v18, v11
	v_min_u32_e32 v21, 32, v18
	v_subrev_u32_e32 v18, 28, v21
	v_lshlrev_b64 v[18:19], v18, v[12:13]
	v_lshrrev_b32_e32 v20, 3, v10
	v_sub_u32_e32 v19, 29, v21
	v_and_b32_e32 v18, 7, v18
	v_cmp_gt_u32_e32 vcc, 8, v10
	v_cndmask_b32_e32 v10, v20, v19, vcc
	v_cndmask_b32_e32 v11, v11, v18, vcc
	v_lshlrev_b32_e32 v18, 24, v12
	v_bfrev_b32_e32 v19, 60
	v_lshlrev_b32_e32 v11, 20, v11
	v_and_b32_e32 v18, 0x80000000, v18
	v_lshl_add_u32 v10, v10, 23, v19
	v_or3_b32 v18, v18, v10, v11
.LBB589_547:
	s_or_b64 exec, exec, s[10:11]
.LBB589_548:
	s_or_b64 exec, exec, s[8:9]
.LBB589_549:
	s_or_b64 exec, exec, s[2:3]
	v_lshrrev_b16_e32 v10, 8, v12
	v_cmp_ne_u16_e32 vcc, 0, v10
	v_mov_b32_e32 v11, 0
	v_mov_b32_e32 v20, 0
	s_and_saveexec_b64 s[2:3], vcc
	s_cbranch_execz .LBB589_555
; %bb.550:
	s_movk_i32 s7, 0x80
	v_cmp_ne_u16_e32 vcc, s7, v10
	v_bfrev_b32_e32 v20, 1
	s_and_saveexec_b64 s[8:9], vcc
	s_cbranch_execz .LBB589_554
; %bb.551:
	s_movk_i32 s7, 0x7f
	v_and_b32_e32 v19, 0x7f, v10
	v_cmp_ne_u32_e32 vcc, s7, v19
	v_mov_b32_e32 v20, 0x7f800001
	s_and_saveexec_b64 s[10:11], vcc
	s_cbranch_execz .LBB589_553
; %bb.552:
	v_and_b32_e32 v22, 7, v10
	v_ffbh_u32_e32 v20, v22
	v_min_u32_e32 v24, 32, v20
	v_subrev_u32_e32 v20, 28, v24
	v_lshlrev_b64 v[20:21], v20, v[10:11]
	v_lshrrev_b32_e32 v23, 3, v19
	v_sub_u32_e32 v10, 29, v24
	v_and_b32_e32 v20, 7, v20
	v_cmp_gt_u32_e32 vcc, 8, v19
	v_cndmask_b32_e32 v10, v23, v10, vcc
	v_cndmask_b32_e32 v19, v22, v20, vcc
	v_lshlrev_b32_e32 v20, 16, v12
	v_bfrev_b32_e32 v21, 60
	v_lshlrev_b32_e32 v19, 20, v19
	v_and_b32_e32 v20, 0x80000000, v20
	v_lshl_add_u32 v10, v10, 23, v21
	v_or3_b32 v20, v20, v10, v19
.LBB589_553:
	s_or_b64 exec, exec, s[10:11]
.LBB589_554:
	s_or_b64 exec, exec, s[8:9]
.LBB589_555:
	s_or_b64 exec, exec, s[2:3]
	s_movk_i32 s2, 0xff
	v_and_b32_sdwa v19, v12, s2 dst_sel:DWORD dst_unused:UNUSED_PAD src0_sel:WORD_1 src1_sel:DWORD
	v_lshrrev_b32_e32 v10, 16, v12
	v_cmp_ne_u16_e32 vcc, 0, v19
	s_and_saveexec_b64 s[2:3], vcc
	s_cbranch_execz .LBB589_561
; %bb.556:
	s_movk_i32 s7, 0x80
	v_cmp_ne_u16_e32 vcc, s7, v19
	v_bfrev_b32_e32 v11, 1
	s_and_saveexec_b64 s[8:9], vcc
	s_cbranch_execz .LBB589_560
; %bb.557:
	v_bfe_u32 v19, v12, 16, 7
	s_movk_i32 s7, 0x7f
	v_cmp_ne_u32_e32 vcc, s7, v19
	v_mov_b32_e32 v11, 0x7f800001
	s_and_saveexec_b64 s[10:11], vcc
	s_cbranch_execz .LBB589_559
; %bb.558:
	v_and_b32_e32 v21, 7, v10
	v_ffbh_u32_e32 v11, v21
	v_min_u32_e32 v23, 32, v11
	v_subrev_u32_e32 v11, 28, v23
	v_lshlrev_b64 v[10:11], v11, v[10:11]
	v_lshrrev_b32_e32 v22, 3, v19
	v_sub_u32_e32 v11, 29, v23
	v_and_b32_e32 v10, 7, v10
	v_cmp_gt_u32_e32 vcc, 8, v19
	v_mov_b32_e32 v19, 24
	v_cndmask_b32_e32 v11, v22, v11, vcc
	v_cndmask_b32_e32 v10, v21, v10, vcc
	v_lshlrev_b32_sdwa v19, v19, v12 dst_sel:DWORD dst_unused:UNUSED_PAD src0_sel:DWORD src1_sel:WORD_1
	v_bfrev_b32_e32 v21, 60
	v_lshlrev_b32_e32 v10, 20, v10
	v_and_b32_e32 v19, 0x80000000, v19
	v_lshl_add_u32 v11, v11, 23, v21
	v_or3_b32 v11, v19, v11, v10
.LBB589_559:
	s_or_b64 exec, exec, s[10:11]
.LBB589_560:
	s_or_b64 exec, exec, s[8:9]
.LBB589_561:
	s_or_b64 exec, exec, s[2:3]
	s_mov_b32 s2, 0xffffff
	v_cmp_lt_u32_e32 vcc, s2, v12
	v_mov_b32_e32 v21, 0
	v_mov_b32_e32 v22, 0
	s_and_saveexec_b64 s[2:3], vcc
	s_cbranch_execz .LBB589_567
; %bb.562:
	v_lshrrev_b32_e32 v10, 24, v12
	s_movk_i32 s7, 0x80
	v_cmp_ne_u32_e32 vcc, s7, v10
	v_bfrev_b32_e32 v22, 1
	s_and_saveexec_b64 s[8:9], vcc
	s_cbranch_execz .LBB589_566
; %bb.563:
	v_bfe_u32 v12, v12, 24, 7
	s_movk_i32 s7, 0x7f
	v_cmp_ne_u32_e32 vcc, s7, v12
	v_mov_b32_e32 v22, 0x7f800001
	s_and_saveexec_b64 s[10:11], vcc
	s_cbranch_execz .LBB589_565
; %bb.564:
	v_and_b32_e32 v19, 7, v10
	v_ffbh_u32_e32 v22, v19
	v_min_u32_e32 v25, 32, v22
	v_subrev_u32_e32 v22, 28, v25
	v_lshlrev_b64 v[22:23], v22, v[10:11]
	v_lshrrev_b32_e32 v24, 3, v12
	v_sub_u32_e32 v23, 29, v25
	v_and_b32_e32 v22, 7, v22
	v_cmp_gt_u32_e32 vcc, 8, v12
	v_cndmask_b32_e32 v12, v24, v23, vcc
	v_cndmask_b32_e32 v19, v19, v22, vcc
	v_lshlrev_b32_e32 v10, 24, v10
	v_bfrev_b32_e32 v22, 60
	v_lshlrev_b32_e32 v19, 20, v19
	v_and_b32_e32 v10, 0x80000000, v10
	v_lshl_add_u32 v12, v12, 23, v22
	v_or3_b32 v22, v10, v12, v19
.LBB589_565:
	s_or_b64 exec, exec, s[10:11]
.LBB589_566:
	s_or_b64 exec, exec, s[8:9]
.LBB589_567:
	s_or_b64 exec, exec, s[2:3]
	v_cmp_ne_u16_sdwa s[8:9], v13, v21 src0_sel:BYTE_0 src1_sel:DWORD
	s_and_saveexec_b64 s[2:3], s[8:9]
	s_cbranch_execz .LBB589_573
; %bb.568:
	s_movk_i32 s7, 0x80
	v_cmp_ne_u16_sdwa s[10:11], v13, s7 src0_sel:BYTE_0 src1_sel:DWORD
	v_bfrev_b32_e32 v21, 1
	s_and_saveexec_b64 s[8:9], s[10:11]
	s_cbranch_execz .LBB589_572
; %bb.569:
	s_movk_i32 s7, 0x7f
	v_and_b32_e32 v10, 0x7f, v13
	v_cmp_ne_u32_e32 vcc, s7, v10
	v_mov_b32_e32 v21, 0x7f800001
	s_and_saveexec_b64 s[10:11], vcc
	s_cbranch_execz .LBB589_571
; %bb.570:
	v_and_b32_e32 v19, 7, v13
	v_ffbh_u32_e32 v23, v19
	v_min_u32_e32 v23, 32, v23
	v_mov_b32_e32 v12, v13
	v_subrev_u32_e32 v24, 28, v23
	v_lshlrev_b64 v[24:25], v24, v[12:13]
	v_lshrrev_b32_e32 v21, 3, v10
	v_sub_u32_e32 v12, 29, v23
	v_and_b32_e32 v23, 7, v24
	v_cmp_gt_u32_e32 vcc, 8, v10
	v_cndmask_b32_e32 v10, v21, v12, vcc
	v_cndmask_b32_e32 v12, v19, v23, vcc
	v_lshlrev_b32_e32 v19, 24, v13
	v_bfrev_b32_e32 v21, 60
	v_lshlrev_b32_e32 v12, 20, v12
	v_and_b32_e32 v19, 0x80000000, v19
	v_lshl_add_u32 v10, v10, 23, v21
	v_or3_b32 v21, v19, v10, v12
.LBB589_571:
	s_or_b64 exec, exec, s[10:11]
.LBB589_572:
	s_or_b64 exec, exec, s[8:9]
.LBB589_573:
	s_or_b64 exec, exec, s[2:3]
	v_lshrrev_b16_e32 v10, 8, v13
	v_cmp_ne_u16_e32 vcc, 0, v10
	v_mov_b32_e32 v12, 0
	v_mov_b32_e32 v23, 0
	s_and_saveexec_b64 s[2:3], vcc
	s_cbranch_execz .LBB589_579
; %bb.574:
	s_movk_i32 s7, 0x80
	v_cmp_ne_u16_e32 vcc, s7, v10
	v_bfrev_b32_e32 v23, 1
	s_and_saveexec_b64 s[8:9], vcc
	s_cbranch_execz .LBB589_578
; %bb.575:
	s_movk_i32 s7, 0x7f
	v_and_b32_e32 v19, 0x7f, v10
	v_cmp_ne_u32_e32 vcc, s7, v19
	v_mov_b32_e32 v23, 0x7f800001
	s_and_saveexec_b64 s[10:11], vcc
	s_cbranch_execz .LBB589_577
; %bb.576:
	v_and_b32_e32 v23, 7, v10
	v_ffbh_u32_e32 v24, v23
	v_min_u32_e32 v28, 32, v24
	v_subrev_u32_e32 v24, 28, v28
	v_lshlrev_b64 v[24:25], v24, v[10:11]
	v_lshrrev_b32_e32 v27, 3, v19
	v_sub_u32_e32 v10, 29, v28
	v_and_b32_e32 v24, 7, v24
	v_cmp_gt_u32_e32 vcc, 8, v19
	v_cndmask_b32_e32 v10, v27, v10, vcc
	v_cndmask_b32_e32 v19, v23, v24, vcc
	v_lshlrev_b32_e32 v23, 16, v13
	v_bfrev_b32_e32 v24, 60
	v_lshlrev_b32_e32 v19, 20, v19
	v_and_b32_e32 v23, 0x80000000, v23
	v_lshl_add_u32 v10, v10, 23, v24
	v_or3_b32 v23, v23, v10, v19
.LBB589_577:
	s_or_b64 exec, exec, s[10:11]
.LBB589_578:
	s_or_b64 exec, exec, s[8:9]
.LBB589_579:
	s_or_b64 exec, exec, s[2:3]
	s_movk_i32 s2, 0xff
	v_and_b32_sdwa v19, v13, s2 dst_sel:DWORD dst_unused:UNUSED_PAD src0_sel:WORD_1 src1_sel:DWORD
	v_lshrrev_b32_e32 v10, 16, v13
	v_cmp_ne_u16_e32 vcc, 0, v19
	s_and_saveexec_b64 s[2:3], vcc
	s_cbranch_execz .LBB589_585
; %bb.580:
	s_movk_i32 s7, 0x80
	v_cmp_ne_u16_e32 vcc, s7, v19
	v_bfrev_b32_e32 v12, 1
	s_and_saveexec_b64 s[8:9], vcc
	s_cbranch_execz .LBB589_584
; %bb.581:
	v_bfe_u32 v19, v13, 16, 7
	s_movk_i32 s7, 0x7f
	v_cmp_ne_u32_e32 vcc, s7, v19
	v_mov_b32_e32 v12, 0x7f800001
	s_and_saveexec_b64 s[10:11], vcc
	s_cbranch_execz .LBB589_583
; %bb.582:
	v_and_b32_e32 v12, 7, v10
	v_ffbh_u32_e32 v24, v12
	v_min_u32_e32 v28, 32, v24
	v_subrev_u32_e32 v24, 28, v28
	v_lshlrev_b64 v[24:25], v24, v[10:11]
	v_lshrrev_b32_e32 v27, 3, v19
	v_sub_u32_e32 v10, 29, v28
	v_and_b32_e32 v24, 7, v24
	v_cmp_gt_u32_e32 vcc, 8, v19
	v_mov_b32_e32 v19, 24
	v_cndmask_b32_e32 v10, v27, v10, vcc
	v_cndmask_b32_e32 v12, v12, v24, vcc
	v_lshlrev_b32_sdwa v19, v19, v13 dst_sel:DWORD dst_unused:UNUSED_PAD src0_sel:DWORD src1_sel:WORD_1
	v_bfrev_b32_e32 v24, 60
	v_lshlrev_b32_e32 v12, 20, v12
	v_and_b32_e32 v19, 0x80000000, v19
	v_lshl_add_u32 v10, v10, 23, v24
	v_or3_b32 v12, v19, v10, v12
.LBB589_583:
	s_or_b64 exec, exec, s[10:11]
.LBB589_584:
	s_or_b64 exec, exec, s[8:9]
.LBB589_585:
	s_or_b64 exec, exec, s[2:3]
	s_mov_b32 s2, 0xffffff
	v_cmp_lt_u32_e32 vcc, s2, v13
	v_mov_b32_e32 v19, 0
	v_mov_b32_e32 v24, 0
	s_and_saveexec_b64 s[2:3], vcc
	s_cbranch_execz .LBB589_591
; %bb.586:
	v_lshrrev_b32_e32 v10, 24, v13
	s_movk_i32 s7, 0x80
	v_cmp_ne_u32_e32 vcc, s7, v10
	v_bfrev_b32_e32 v24, 1
	s_and_saveexec_b64 s[8:9], vcc
	s_cbranch_execz .LBB589_590
; %bb.587:
	v_bfe_u32 v13, v13, 24, 7
	s_movk_i32 s7, 0x7f
	v_cmp_ne_u32_e32 vcc, s7, v13
	v_mov_b32_e32 v24, 0x7f800001
	s_and_saveexec_b64 s[10:11], vcc
	s_cbranch_execz .LBB589_589
; %bb.588:
	v_and_b32_e32 v27, 7, v10
	v_ffbh_u32_e32 v24, v27
	v_min_u32_e32 v29, 32, v24
	v_subrev_u32_e32 v24, 28, v29
	v_lshlrev_b64 v[24:25], v24, v[10:11]
	v_lshrrev_b32_e32 v28, 3, v13
	v_sub_u32_e32 v25, 29, v29
	v_and_b32_e32 v24, 7, v24
	v_cmp_gt_u32_e32 vcc, 8, v13
	v_cndmask_b32_e32 v13, v28, v25, vcc
	v_cndmask_b32_e32 v24, v27, v24, vcc
	v_lshlrev_b32_e32 v10, 24, v10
	v_bfrev_b32_e32 v25, 60
	v_lshlrev_b32_e32 v24, 20, v24
	v_and_b32_e32 v10, 0x80000000, v10
	v_lshl_add_u32 v13, v13, 23, v25
	v_or3_b32 v24, v10, v13, v24
.LBB589_589:
	s_or_b64 exec, exec, s[10:11]
.LBB589_590:
	s_or_b64 exec, exec, s[8:9]
.LBB589_591:
	s_or_b64 exec, exec, s[2:3]
	v_cvt_pkrtz_f16_f32 v10, v18, v20
	v_cvt_pkrtz_f16_f32 v11, v11, v22
	ds_read_b128 v[28:31], v50 offset:2064
	s_waitcnt vmcnt(1)
	v_cmp_ne_u16_sdwa s[8:9], v6, v19 src0_sel:BYTE_0 src1_sel:DWORD
	s_waitcnt lgkmcnt(0)
	v_mfma_f32_16x16x16f16 v[14:17], v[10:11], v[28:29], v[14:17]
	v_cvt_pkrtz_f16_f32 v10, v21, v23
	v_cvt_pkrtz_f16_f32 v11, v12, v24
	s_nop 1
	v_mfma_f32_16x16x16f16 v[10:13], v[10:11], v[30:31], v[14:17]
	s_and_saveexec_b64 s[2:3], s[8:9]
	s_cbranch_execz .LBB589_597
; %bb.592:
	s_movk_i32 s7, 0x80
	v_cmp_ne_u16_sdwa s[10:11], v6, s7 src0_sel:BYTE_0 src1_sel:DWORD
	v_bfrev_b32_e32 v19, 1
	s_and_saveexec_b64 s[8:9], s[10:11]
	s_cbranch_execz .LBB589_596
; %bb.593:
	s_movk_i32 s7, 0x7f
	v_and_b32_e32 v14, 0x7f, v6
	v_cmp_ne_u32_e32 vcc, s7, v14
	v_mov_b32_e32 v19, 0x7f800001
	s_and_saveexec_b64 s[10:11], vcc
	s_cbranch_execz .LBB589_595
; %bb.594:
	v_and_b32_e32 v15, 7, v6
	v_ffbh_u32_e32 v16, v15
	v_min_u32_e32 v19, 32, v16
	v_subrev_u32_e32 v16, 28, v19
	v_lshlrev_b64 v[16:17], v16, v[6:7]
	v_lshrrev_b32_e32 v18, 3, v14
	v_sub_u32_e32 v17, 29, v19
	v_and_b32_e32 v16, 7, v16
	v_cmp_gt_u32_e32 vcc, 8, v14
	v_cndmask_b32_e32 v14, v18, v17, vcc
	v_cndmask_b32_e32 v15, v15, v16, vcc
	v_lshlrev_b32_e32 v16, 24, v6
	v_bfrev_b32_e32 v17, 60
	v_lshlrev_b32_e32 v15, 20, v15
	v_and_b32_e32 v16, 0x80000000, v16
	v_lshl_add_u32 v14, v14, 23, v17
	v_or3_b32 v19, v16, v14, v15
.LBB589_595:
	s_or_b64 exec, exec, s[10:11]
.LBB589_596:
	s_or_b64 exec, exec, s[8:9]
.LBB589_597:
	s_or_b64 exec, exec, s[2:3]
	s_nop 3
	v_lshrrev_b16_e32 v14, 8, v6
	v_cmp_ne_u16_e32 vcc, 0, v14
	v_mov_b32_e32 v15, 0
	v_mov_b32_e32 v16, 0
	s_and_saveexec_b64 s[2:3], vcc
	s_cbranch_execz .LBB589_603
; %bb.598:
	s_movk_i32 s7, 0x80
	v_cmp_ne_u16_e32 vcc, s7, v14
	v_bfrev_b32_e32 v16, 1
	s_and_saveexec_b64 s[8:9], vcc
	s_cbranch_execz .LBB589_602
; %bb.599:
	s_movk_i32 s7, 0x7f
	v_and_b32_e32 v17, 0x7f, v14
	v_cmp_ne_u32_e32 vcc, s7, v17
	v_mov_b32_e32 v16, 0x7f800001
	s_and_saveexec_b64 s[10:11], vcc
	s_cbranch_execz .LBB589_601
; %bb.600:
	v_and_b32_e32 v16, 7, v14
	v_ffbh_u32_e32 v20, v16
	v_min_u32_e32 v22, 32, v20
	v_subrev_u32_e32 v20, 28, v22
	v_lshlrev_b64 v[20:21], v20, v[14:15]
	v_lshrrev_b32_e32 v18, 3, v17
	v_sub_u32_e32 v14, 29, v22
	v_and_b32_e32 v20, 7, v20
	v_cmp_gt_u32_e32 vcc, 8, v17
	v_cndmask_b32_e32 v14, v18, v14, vcc
	v_cndmask_b32_e32 v16, v16, v20, vcc
	v_lshlrev_b32_e32 v17, 16, v6
	v_bfrev_b32_e32 v18, 60
	v_lshlrev_b32_e32 v16, 20, v16
	v_and_b32_e32 v17, 0x80000000, v17
	v_lshl_add_u32 v14, v14, 23, v18
	v_or3_b32 v16, v17, v14, v16
.LBB589_601:
	s_or_b64 exec, exec, s[10:11]
.LBB589_602:
	s_or_b64 exec, exec, s[8:9]
.LBB589_603:
	s_or_b64 exec, exec, s[2:3]
	s_movk_i32 s2, 0xff
	v_and_b32_sdwa v17, v6, s2 dst_sel:DWORD dst_unused:UNUSED_PAD src0_sel:WORD_1 src1_sel:DWORD
	v_lshrrev_b32_e32 v14, 16, v6
	v_cmp_ne_u16_e32 vcc, 0, v17
	s_and_saveexec_b64 s[2:3], vcc
	s_cbranch_execz .LBB589_609
; %bb.604:
	s_movk_i32 s7, 0x80
	v_cmp_ne_u16_e32 vcc, s7, v17
	v_bfrev_b32_e32 v15, 1
	s_and_saveexec_b64 s[8:9], vcc
	s_cbranch_execz .LBB589_608
; %bb.605:
	v_bfe_u32 v17, v6, 16, 7
	s_movk_i32 s7, 0x7f
	v_cmp_ne_u32_e32 vcc, s7, v17
	v_mov_b32_e32 v15, 0x7f800001
	s_and_saveexec_b64 s[10:11], vcc
	s_cbranch_execz .LBB589_607
; %bb.606:
	v_and_b32_e32 v18, 7, v14
	v_ffbh_u32_e32 v15, v18
	v_min_u32_e32 v21, 32, v15
	v_subrev_u32_e32 v15, 28, v21
	v_lshlrev_b64 v[14:15], v15, v[14:15]
	v_lshrrev_b32_e32 v20, 3, v17
	v_sub_u32_e32 v15, 29, v21
	v_and_b32_e32 v14, 7, v14
	v_cmp_gt_u32_e32 vcc, 8, v17
	v_mov_b32_e32 v17, 24
	v_cndmask_b32_e32 v15, v20, v15, vcc
	v_cndmask_b32_e32 v14, v18, v14, vcc
	v_lshlrev_b32_sdwa v17, v17, v6 dst_sel:DWORD dst_unused:UNUSED_PAD src0_sel:DWORD src1_sel:WORD_1
	v_bfrev_b32_e32 v18, 60
	v_lshlrev_b32_e32 v14, 20, v14
	v_and_b32_e32 v17, 0x80000000, v17
	v_lshl_add_u32 v15, v15, 23, v18
	v_or3_b32 v15, v17, v15, v14
.LBB589_607:
	s_or_b64 exec, exec, s[10:11]
.LBB589_608:
	s_or_b64 exec, exec, s[8:9]
.LBB589_609:
	s_or_b64 exec, exec, s[2:3]
	s_mov_b32 s2, 0xffffff
	v_cmp_lt_u32_e32 vcc, s2, v6
	v_mov_b32_e32 v17, 0
	v_mov_b32_e32 v18, 0
	s_and_saveexec_b64 s[2:3], vcc
	s_cbranch_execz .LBB589_615
; %bb.610:
	v_lshrrev_b32_e32 v14, 24, v6
	s_movk_i32 s7, 0x80
	v_cmp_ne_u32_e32 vcc, s7, v14
	v_bfrev_b32_e32 v18, 1
	s_and_saveexec_b64 s[8:9], vcc
	s_cbranch_execz .LBB589_614
; %bb.611:
	v_bfe_u32 v6, v6, 24, 7
	s_movk_i32 s7, 0x7f
	v_cmp_ne_u32_e32 vcc, s7, v6
	v_mov_b32_e32 v18, 0x7f800001
	s_and_saveexec_b64 s[10:11], vcc
	s_cbranch_execz .LBB589_613
; %bb.612:
	v_and_b32_e32 v18, 7, v14
	v_ffbh_u32_e32 v20, v18
	v_min_u32_e32 v23, 32, v20
	v_subrev_u32_e32 v20, 28, v23
	v_lshlrev_b64 v[20:21], v20, v[14:15]
	v_lshrrev_b32_e32 v22, 3, v6
	v_sub_u32_e32 v21, 29, v23
	v_and_b32_e32 v20, 7, v20
	v_cmp_gt_u32_e32 vcc, 8, v6
	v_cndmask_b32_e32 v6, v22, v21, vcc
	v_cndmask_b32_e32 v18, v18, v20, vcc
	v_lshlrev_b32_e32 v14, 24, v14
	v_bfrev_b32_e32 v20, 60
	v_lshlrev_b32_e32 v18, 20, v18
	v_and_b32_e32 v14, 0x80000000, v14
	v_lshl_add_u32 v6, v6, 23, v20
	v_or3_b32 v18, v14, v6, v18
.LBB589_613:
	s_or_b64 exec, exec, s[10:11]
.LBB589_614:
	s_or_b64 exec, exec, s[8:9]
.LBB589_615:
	s_or_b64 exec, exec, s[2:3]
	v_cmp_ne_u16_sdwa s[8:9], v7, v17 src0_sel:BYTE_0 src1_sel:DWORD
	s_and_saveexec_b64 s[2:3], s[8:9]
	s_cbranch_execz .LBB589_621
; %bb.616:
	s_movk_i32 s7, 0x80
	v_cmp_ne_u16_sdwa s[10:11], v7, s7 src0_sel:BYTE_0 src1_sel:DWORD
	v_bfrev_b32_e32 v17, 1
	s_and_saveexec_b64 s[8:9], s[10:11]
	s_cbranch_execz .LBB589_620
; %bb.617:
	s_movk_i32 s7, 0x7f
	v_and_b32_e32 v6, 0x7f, v7
	v_cmp_ne_u32_e32 vcc, s7, v6
	v_mov_b32_e32 v17, 0x7f800001
	s_and_saveexec_b64 s[10:11], vcc
	s_cbranch_execz .LBB589_619
; %bb.618:
	v_and_b32_e32 v17, 7, v7
	v_ffbh_u32_e32 v20, v17
	v_min_u32_e32 v23, 32, v20
	v_mov_b32_e32 v14, v7
	v_subrev_u32_e32 v20, 28, v23
	v_lshlrev_b64 v[20:21], v20, v[14:15]
	v_lshrrev_b32_e32 v22, 3, v6
	v_sub_u32_e32 v14, 29, v23
	v_and_b32_e32 v20, 7, v20
	v_cmp_gt_u32_e32 vcc, 8, v6
	v_cndmask_b32_e32 v6, v22, v14, vcc
	v_cndmask_b32_e32 v14, v17, v20, vcc
	v_lshlrev_b32_e32 v17, 24, v7
	v_bfrev_b32_e32 v20, 60
	v_lshlrev_b32_e32 v14, 20, v14
	v_and_b32_e32 v17, 0x80000000, v17
	v_lshl_add_u32 v6, v6, 23, v20
	v_or3_b32 v17, v17, v6, v14
.LBB589_619:
	s_or_b64 exec, exec, s[10:11]
.LBB589_620:
	s_or_b64 exec, exec, s[8:9]
.LBB589_621:
	s_or_b64 exec, exec, s[2:3]
	v_lshrrev_b16_e32 v6, 8, v7
	v_cmp_ne_u16_e32 vcc, 0, v6
	v_mov_b32_e32 v20, 0
	v_mov_b32_e32 v21, 0
	s_and_saveexec_b64 s[2:3], vcc
	s_cbranch_execz .LBB589_627
; %bb.622:
	s_movk_i32 s7, 0x80
	v_cmp_ne_u16_e32 vcc, s7, v6
	v_bfrev_b32_e32 v21, 1
	s_and_saveexec_b64 s[8:9], vcc
	s_cbranch_execz .LBB589_626
; %bb.623:
	s_movk_i32 s7, 0x7f
	v_and_b32_e32 v14, 0x7f, v6
	v_cmp_ne_u32_e32 vcc, s7, v14
	v_mov_b32_e32 v21, 0x7f800001
	s_and_saveexec_b64 s[10:11], vcc
	s_cbranch_execz .LBB589_625
; %bb.624:
	v_and_b32_e32 v21, 7, v6
	v_ffbh_u32_e32 v22, v21
	v_min_u32_e32 v25, 32, v22
	v_subrev_u32_e32 v22, 28, v25
	v_lshlrev_b64 v[22:23], v22, v[6:7]
	v_lshrrev_b32_e32 v24, 3, v14
	v_sub_u32_e32 v6, 29, v25
	v_and_b32_e32 v22, 7, v22
	v_cmp_gt_u32_e32 vcc, 8, v14
	v_cndmask_b32_e32 v6, v24, v6, vcc
	v_cndmask_b32_e32 v14, v21, v22, vcc
	v_lshlrev_b32_e32 v21, 16, v7
	v_bfrev_b32_e32 v22, 60
	v_lshlrev_b32_e32 v14, 20, v14
	v_and_b32_e32 v21, 0x80000000, v21
	v_lshl_add_u32 v6, v6, 23, v22
	v_or3_b32 v21, v21, v6, v14
.LBB589_625:
	s_or_b64 exec, exec, s[10:11]
.LBB589_626:
	s_or_b64 exec, exec, s[8:9]
.LBB589_627:
	s_or_b64 exec, exec, s[2:3]
	s_movk_i32 s2, 0xff
	v_and_b32_sdwa v14, v7, s2 dst_sel:DWORD dst_unused:UNUSED_PAD src0_sel:WORD_1 src1_sel:DWORD
	v_lshrrev_b32_e32 v6, 16, v7
	v_cmp_ne_u16_e32 vcc, 0, v14
	s_and_saveexec_b64 s[2:3], vcc
	s_cbranch_execz .LBB589_633
; %bb.628:
	s_movk_i32 s7, 0x80
	v_cmp_ne_u16_e32 vcc, s7, v14
	v_bfrev_b32_e32 v20, 1
	s_and_saveexec_b64 s[8:9], vcc
	s_cbranch_execz .LBB589_632
; %bb.629:
	v_bfe_u32 v14, v7, 16, 7
	s_movk_i32 s7, 0x7f
	v_cmp_ne_u32_e32 vcc, s7, v14
	v_mov_b32_e32 v20, 0x7f800001
	s_and_saveexec_b64 s[10:11], vcc
	s_cbranch_execz .LBB589_631
; %bb.630:
	v_and_b32_e32 v20, 7, v6
	v_ffbh_u32_e32 v22, v20
	v_min_u32_e32 v25, 32, v22
	v_subrev_u32_e32 v22, 28, v25
	v_lshlrev_b64 v[22:23], v22, v[6:7]
	v_and_b32_e32 v22, 7, v22
	v_cmp_gt_u32_e32 vcc, 8, v14
	v_lshrrev_b32_e32 v24, 3, v14
	v_sub_u32_e32 v6, 29, v25
	v_cndmask_b32_e32 v14, v20, v22, vcc
	v_mov_b32_e32 v20, 24
	v_cndmask_b32_e32 v6, v24, v6, vcc
	v_lshlrev_b32_sdwa v20, v20, v7 dst_sel:DWORD dst_unused:UNUSED_PAD src0_sel:DWORD src1_sel:WORD_1
	v_bfrev_b32_e32 v22, 60
	v_lshlrev_b32_e32 v14, 20, v14
	v_and_b32_e32 v20, 0x80000000, v20
	v_lshl_add_u32 v6, v6, 23, v22
	v_or3_b32 v20, v20, v6, v14
.LBB589_631:
	s_or_b64 exec, exec, s[10:11]
.LBB589_632:
	s_or_b64 exec, exec, s[8:9]
.LBB589_633:
	s_or_b64 exec, exec, s[2:3]
	s_mov_b32 s2, 0xffffff
	v_cmp_lt_u32_e32 vcc, s2, v7
	v_mov_b32_e32 v14, 0
	v_mov_b32_e32 v22, 0
	s_and_saveexec_b64 s[2:3], vcc
	s_cbranch_execz .LBB589_639
; %bb.634:
	v_lshrrev_b32_e32 v6, 24, v7
	s_movk_i32 s7, 0x80
	v_cmp_ne_u32_e32 vcc, s7, v6
	v_bfrev_b32_e32 v22, 1
	s_and_saveexec_b64 s[8:9], vcc
	s_cbranch_execz .LBB589_638
; %bb.635:
	v_bfe_u32 v7, v7, 24, 7
	s_movk_i32 s7, 0x7f
	v_cmp_ne_u32_e32 vcc, s7, v7
	v_mov_b32_e32 v22, 0x7f800001
	s_and_saveexec_b64 s[10:11], vcc
	s_cbranch_execz .LBB589_637
; %bb.636:
	v_and_b32_e32 v24, 7, v6
	v_ffbh_u32_e32 v22, v24
	v_min_u32_e32 v27, 32, v22
	v_subrev_u32_e32 v22, 28, v27
	v_lshlrev_b64 v[22:23], v22, v[6:7]
	v_lshrrev_b32_e32 v25, 3, v7
	v_sub_u32_e32 v23, 29, v27
	v_and_b32_e32 v22, 7, v22
	v_cmp_gt_u32_e32 vcc, 8, v7
	v_cndmask_b32_e32 v7, v25, v23, vcc
	v_cndmask_b32_e32 v22, v24, v22, vcc
	v_lshlrev_b32_e32 v6, 24, v6
	v_bfrev_b32_e32 v23, 60
	v_lshlrev_b32_e32 v22, 20, v22
	v_and_b32_e32 v6, 0x80000000, v6
	v_lshl_add_u32 v7, v7, 23, v23
	v_or3_b32 v22, v6, v7, v22
.LBB589_637:
	s_or_b64 exec, exec, s[10:11]
.LBB589_638:
	s_or_b64 exec, exec, s[8:9]
.LBB589_639:
	s_or_b64 exec, exec, s[2:3]
	v_cvt_pkrtz_f16_f32 v6, v19, v16
	v_cvt_pkrtz_f16_f32 v7, v15, v18
	ds_read_b128 v[28:31], v50 offset:4096
	v_cmp_ne_u16_sdwa s[8:9], v8, v14 src0_sel:BYTE_0 src1_sel:DWORD
	s_waitcnt lgkmcnt(0)
	v_mfma_f32_16x16x16f16 v[10:13], v[6:7], v[28:29], v[10:13]
	v_cvt_pkrtz_f16_f32 v6, v17, v21
	v_cvt_pkrtz_f16_f32 v7, v20, v22
	s_nop 1
	v_mfma_f32_16x16x16f16 v[10:13], v[6:7], v[30:31], v[10:13]
	s_and_saveexec_b64 s[2:3], s[8:9]
	s_cbranch_execz .LBB589_645
; %bb.640:
	s_movk_i32 s7, 0x80
	v_cmp_ne_u16_sdwa s[10:11], v8, s7 src0_sel:BYTE_0 src1_sel:DWORD
	v_bfrev_b32_e32 v14, 1
	s_and_saveexec_b64 s[8:9], s[10:11]
	s_cbranch_execz .LBB589_644
; %bb.641:
	s_movk_i32 s7, 0x7f
	v_and_b32_e32 v6, 0x7f, v8
	v_cmp_ne_u32_e32 vcc, s7, v6
	v_mov_b32_e32 v14, 0x7f800001
	s_and_saveexec_b64 s[10:11], vcc
	s_cbranch_execz .LBB589_643
; %bb.642:
	v_and_b32_e32 v7, 7, v8
	v_ffbh_u32_e32 v14, v7
	v_min_u32_e32 v17, 32, v14
	v_subrev_u32_e32 v14, 28, v17
	v_lshlrev_b64 v[14:15], v14, v[8:9]
	v_lshrrev_b32_e32 v16, 3, v6
	v_sub_u32_e32 v15, 29, v17
	v_and_b32_e32 v14, 7, v14
	v_cmp_gt_u32_e32 vcc, 8, v6
	v_cndmask_b32_e32 v6, v16, v15, vcc
	v_cndmask_b32_e32 v7, v7, v14, vcc
	v_lshlrev_b32_e32 v14, 24, v8
	v_bfrev_b32_e32 v15, 60
	v_lshlrev_b32_e32 v7, 20, v7
	v_and_b32_e32 v14, 0x80000000, v14
	v_lshl_add_u32 v6, v6, 23, v15
	v_or3_b32 v14, v14, v6, v7
.LBB589_643:
	s_or_b64 exec, exec, s[10:11]
.LBB589_644:
	s_or_b64 exec, exec, s[8:9]
.LBB589_645:
	s_or_b64 exec, exec, s[2:3]
	v_lshrrev_b16_e32 v6, 8, v8
	v_cmp_ne_u16_e32 vcc, 0, v6
	v_mov_b32_e32 v7, 0
	v_mov_b32_e32 v16, 0
	s_and_saveexec_b64 s[2:3], vcc
	s_cbranch_execz .LBB589_651
; %bb.646:
	s_movk_i32 s7, 0x80
	v_cmp_ne_u16_e32 vcc, s7, v6
	v_bfrev_b32_e32 v16, 1
	s_and_saveexec_b64 s[8:9], vcc
	s_cbranch_execz .LBB589_650
; %bb.647:
	s_movk_i32 s7, 0x7f
	v_and_b32_e32 v15, 0x7f, v6
	v_cmp_ne_u32_e32 vcc, s7, v15
	v_mov_b32_e32 v16, 0x7f800001
	s_and_saveexec_b64 s[10:11], vcc
	s_cbranch_execz .LBB589_649
; %bb.648:
	v_and_b32_e32 v18, 7, v6
	v_ffbh_u32_e32 v16, v18
	v_min_u32_e32 v20, 32, v16
	v_subrev_u32_e32 v16, 28, v20
	v_lshlrev_b64 v[16:17], v16, v[6:7]
	v_lshrrev_b32_e32 v19, 3, v15
	v_sub_u32_e32 v6, 29, v20
	v_and_b32_e32 v16, 7, v16
	v_cmp_gt_u32_e32 vcc, 8, v15
	v_cndmask_b32_e32 v6, v19, v6, vcc
	v_cndmask_b32_e32 v15, v18, v16, vcc
	v_lshlrev_b32_e32 v16, 16, v8
	v_bfrev_b32_e32 v17, 60
	v_lshlrev_b32_e32 v15, 20, v15
	v_and_b32_e32 v16, 0x80000000, v16
	v_lshl_add_u32 v6, v6, 23, v17
	v_or3_b32 v16, v16, v6, v15
.LBB589_649:
	s_or_b64 exec, exec, s[10:11]
.LBB589_650:
	s_or_b64 exec, exec, s[8:9]
.LBB589_651:
	s_or_b64 exec, exec, s[2:3]
	s_movk_i32 s2, 0xff
	v_and_b32_sdwa v15, v8, s2 dst_sel:DWORD dst_unused:UNUSED_PAD src0_sel:WORD_1 src1_sel:DWORD
	v_lshrrev_b32_e32 v6, 16, v8
	v_cmp_ne_u16_e32 vcc, 0, v15
	s_and_saveexec_b64 s[2:3], vcc
	s_cbranch_execz .LBB589_657
; %bb.652:
	s_movk_i32 s7, 0x80
	v_cmp_ne_u16_e32 vcc, s7, v15
	v_bfrev_b32_e32 v7, 1
	s_and_saveexec_b64 s[8:9], vcc
	s_cbranch_execz .LBB589_656
; %bb.653:
	v_bfe_u32 v15, v8, 16, 7
	s_movk_i32 s7, 0x7f
	v_cmp_ne_u32_e32 vcc, s7, v15
	v_mov_b32_e32 v7, 0x7f800001
	s_and_saveexec_b64 s[10:11], vcc
	s_cbranch_execz .LBB589_655
; %bb.654:
	v_and_b32_e32 v17, 7, v6
	v_ffbh_u32_e32 v7, v17
	v_min_u32_e32 v19, 32, v7
	v_subrev_u32_e32 v7, 28, v19
	v_lshlrev_b64 v[6:7], v7, v[6:7]
	v_lshrrev_b32_e32 v18, 3, v15
	v_sub_u32_e32 v7, 29, v19
	v_and_b32_e32 v6, 7, v6
	v_cmp_gt_u32_e32 vcc, 8, v15
	v_mov_b32_e32 v15, 24
	v_cndmask_b32_e32 v7, v18, v7, vcc
	v_cndmask_b32_e32 v6, v17, v6, vcc
	v_lshlrev_b32_sdwa v15, v15, v8 dst_sel:DWORD dst_unused:UNUSED_PAD src0_sel:DWORD src1_sel:WORD_1
	v_bfrev_b32_e32 v17, 60
	v_lshlrev_b32_e32 v6, 20, v6
	v_and_b32_e32 v15, 0x80000000, v15
	v_lshl_add_u32 v7, v7, 23, v17
	v_or3_b32 v7, v15, v7, v6
.LBB589_655:
	s_or_b64 exec, exec, s[10:11]
.LBB589_656:
	s_or_b64 exec, exec, s[8:9]
.LBB589_657:
	s_or_b64 exec, exec, s[2:3]
	s_mov_b32 s2, 0xffffff
	v_cmp_lt_u32_e32 vcc, s2, v8
	v_mov_b32_e32 v17, 0
	v_mov_b32_e32 v18, 0
	s_and_saveexec_b64 s[2:3], vcc
	s_cbranch_execz .LBB589_663
; %bb.658:
	v_lshrrev_b32_e32 v6, 24, v8
	s_movk_i32 s7, 0x80
	v_cmp_ne_u32_e32 vcc, s7, v6
	v_bfrev_b32_e32 v18, 1
	s_and_saveexec_b64 s[8:9], vcc
	s_cbranch_execz .LBB589_662
; %bb.659:
	v_bfe_u32 v8, v8, 24, 7
	s_movk_i32 s7, 0x7f
	v_cmp_ne_u32_e32 vcc, s7, v8
	v_mov_b32_e32 v18, 0x7f800001
	s_and_saveexec_b64 s[10:11], vcc
	s_cbranch_execz .LBB589_661
; %bb.660:
	v_and_b32_e32 v15, 7, v6
	v_ffbh_u32_e32 v18, v15
	v_min_u32_e32 v21, 32, v18
	v_subrev_u32_e32 v18, 28, v21
	v_lshlrev_b64 v[18:19], v18, v[6:7]
	v_lshrrev_b32_e32 v20, 3, v8
	v_sub_u32_e32 v19, 29, v21
	v_and_b32_e32 v18, 7, v18
	v_cmp_gt_u32_e32 vcc, 8, v8
	v_cndmask_b32_e32 v8, v20, v19, vcc
	v_cndmask_b32_e32 v15, v15, v18, vcc
	v_lshlrev_b32_e32 v6, 24, v6
	v_bfrev_b32_e32 v18, 60
	v_lshlrev_b32_e32 v15, 20, v15
	v_and_b32_e32 v6, 0x80000000, v6
	v_lshl_add_u32 v8, v8, 23, v18
	v_or3_b32 v18, v6, v8, v15
.LBB589_661:
	s_or_b64 exec, exec, s[10:11]
.LBB589_662:
	s_or_b64 exec, exec, s[8:9]
.LBB589_663:
	s_or_b64 exec, exec, s[2:3]
	v_cmp_ne_u16_sdwa s[8:9], v9, v17 src0_sel:BYTE_0 src1_sel:DWORD
	s_and_saveexec_b64 s[2:3], s[8:9]
	s_cbranch_execz .LBB589_669
; %bb.664:
	s_movk_i32 s7, 0x80
	v_cmp_ne_u16_sdwa s[10:11], v9, s7 src0_sel:BYTE_0 src1_sel:DWORD
	v_bfrev_b32_e32 v17, 1
	s_and_saveexec_b64 s[8:9], s[10:11]
	s_cbranch_execz .LBB589_668
; %bb.665:
	s_movk_i32 s7, 0x7f
	v_and_b32_e32 v6, 0x7f, v9
	v_cmp_ne_u32_e32 vcc, s7, v6
	v_mov_b32_e32 v17, 0x7f800001
	s_and_saveexec_b64 s[10:11], vcc
	s_cbranch_execz .LBB589_667
; %bb.666:
	v_and_b32_e32 v15, 7, v9
	v_ffbh_u32_e32 v19, v15
	v_min_u32_e32 v19, 32, v19
	v_mov_b32_e32 v8, v9
	v_subrev_u32_e32 v20, 28, v19
	v_lshlrev_b64 v[20:21], v20, v[8:9]
	v_lshrrev_b32_e32 v17, 3, v6
	v_sub_u32_e32 v8, 29, v19
	v_and_b32_e32 v19, 7, v20
	v_cmp_gt_u32_e32 vcc, 8, v6
	v_cndmask_b32_e32 v6, v17, v8, vcc
	v_cndmask_b32_e32 v8, v15, v19, vcc
	v_lshlrev_b32_e32 v15, 24, v9
	v_bfrev_b32_e32 v17, 60
	v_lshlrev_b32_e32 v8, 20, v8
	v_and_b32_e32 v15, 0x80000000, v15
	v_lshl_add_u32 v6, v6, 23, v17
	v_or3_b32 v17, v15, v6, v8
.LBB589_667:
	s_or_b64 exec, exec, s[10:11]
.LBB589_668:
	s_or_b64 exec, exec, s[8:9]
.LBB589_669:
	s_or_b64 exec, exec, s[2:3]
	v_lshrrev_b16_e32 v6, 8, v9
	v_cmp_ne_u16_e32 vcc, 0, v6
	v_mov_b32_e32 v8, 0
	v_mov_b32_e32 v19, 0
	s_and_saveexec_b64 s[2:3], vcc
	s_cbranch_execz .LBB589_675
; %bb.670:
	s_movk_i32 s7, 0x80
	v_cmp_ne_u16_e32 vcc, s7, v6
	v_bfrev_b32_e32 v19, 1
	s_and_saveexec_b64 s[8:9], vcc
	s_cbranch_execz .LBB589_674
; %bb.671:
	s_movk_i32 s7, 0x7f
	v_and_b32_e32 v15, 0x7f, v6
	v_cmp_ne_u32_e32 vcc, s7, v15
	v_mov_b32_e32 v19, 0x7f800001
	s_and_saveexec_b64 s[10:11], vcc
	s_cbranch_execz .LBB589_673
; %bb.672:
	v_and_b32_e32 v19, 7, v6
	v_ffbh_u32_e32 v20, v19
	v_min_u32_e32 v23, 32, v20
	v_subrev_u32_e32 v20, 28, v23
	v_lshlrev_b64 v[20:21], v20, v[6:7]
	v_lshrrev_b32_e32 v22, 3, v15
	v_sub_u32_e32 v6, 29, v23
	v_and_b32_e32 v20, 7, v20
	v_cmp_gt_u32_e32 vcc, 8, v15
	v_cndmask_b32_e32 v6, v22, v6, vcc
	v_cndmask_b32_e32 v15, v19, v20, vcc
	v_lshlrev_b32_e32 v19, 16, v9
	v_bfrev_b32_e32 v20, 60
	v_lshlrev_b32_e32 v15, 20, v15
	v_and_b32_e32 v19, 0x80000000, v19
	v_lshl_add_u32 v6, v6, 23, v20
	v_or3_b32 v19, v19, v6, v15
.LBB589_673:
	s_or_b64 exec, exec, s[10:11]
.LBB589_674:
	s_or_b64 exec, exec, s[8:9]
.LBB589_675:
	s_or_b64 exec, exec, s[2:3]
	s_movk_i32 s2, 0xff
	v_and_b32_sdwa v15, v9, s2 dst_sel:DWORD dst_unused:UNUSED_PAD src0_sel:WORD_1 src1_sel:DWORD
	v_lshrrev_b32_e32 v6, 16, v9
	v_cmp_ne_u16_e32 vcc, 0, v15
	s_and_saveexec_b64 s[2:3], vcc
	s_cbranch_execz .LBB589_681
; %bb.676:
	s_movk_i32 s7, 0x80
	v_cmp_ne_u16_e32 vcc, s7, v15
	v_bfrev_b32_e32 v8, 1
	s_and_saveexec_b64 s[8:9], vcc
	s_cbranch_execz .LBB589_680
; %bb.677:
	v_bfe_u32 v15, v9, 16, 7
	s_movk_i32 s7, 0x7f
	v_cmp_ne_u32_e32 vcc, s7, v15
	v_mov_b32_e32 v8, 0x7f800001
	s_and_saveexec_b64 s[10:11], vcc
	s_cbranch_execz .LBB589_679
; %bb.678:
	v_and_b32_e32 v8, 7, v6
	v_ffbh_u32_e32 v20, v8
	v_min_u32_e32 v23, 32, v20
	v_subrev_u32_e32 v20, 28, v23
	v_lshlrev_b64 v[20:21], v20, v[6:7]
	v_lshrrev_b32_e32 v22, 3, v15
	v_sub_u32_e32 v6, 29, v23
	v_and_b32_e32 v20, 7, v20
	v_cmp_gt_u32_e32 vcc, 8, v15
	v_mov_b32_e32 v15, 24
	v_cndmask_b32_e32 v6, v22, v6, vcc
	v_cndmask_b32_e32 v8, v8, v20, vcc
	v_lshlrev_b32_sdwa v15, v15, v9 dst_sel:DWORD dst_unused:UNUSED_PAD src0_sel:DWORD src1_sel:WORD_1
	v_bfrev_b32_e32 v20, 60
	v_lshlrev_b32_e32 v8, 20, v8
	v_and_b32_e32 v15, 0x80000000, v15
	v_lshl_add_u32 v6, v6, 23, v20
	v_or3_b32 v8, v15, v6, v8
.LBB589_679:
	s_or_b64 exec, exec, s[10:11]
.LBB589_680:
	s_or_b64 exec, exec, s[8:9]
.LBB589_681:
	s_or_b64 exec, exec, s[2:3]
	s_mov_b32 s2, 0xffffff
	v_cmp_lt_u32_e32 vcc, s2, v9
	v_mov_b32_e32 v15, 0
	v_mov_b32_e32 v20, 0
	s_and_saveexec_b64 s[2:3], vcc
	s_cbranch_execz .LBB589_687
; %bb.682:
	v_lshrrev_b32_e32 v6, 24, v9
	s_movk_i32 s7, 0x80
	v_cmp_ne_u32_e32 vcc, s7, v6
	v_bfrev_b32_e32 v20, 1
	s_and_saveexec_b64 s[8:9], vcc
	s_cbranch_execz .LBB589_686
; %bb.683:
	v_bfe_u32 v9, v9, 24, 7
	s_movk_i32 s7, 0x7f
	v_cmp_ne_u32_e32 vcc, s7, v9
	v_mov_b32_e32 v20, 0x7f800001
	s_and_saveexec_b64 s[10:11], vcc
	s_cbranch_execz .LBB589_685
; %bb.684:
	v_and_b32_e32 v22, 7, v6
	v_ffbh_u32_e32 v20, v22
	v_min_u32_e32 v24, 32, v20
	v_subrev_u32_e32 v20, 28, v24
	v_lshlrev_b64 v[20:21], v20, v[6:7]
	v_lshrrev_b32_e32 v23, 3, v9
	v_sub_u32_e32 v21, 29, v24
	v_and_b32_e32 v20, 7, v20
	v_cmp_gt_u32_e32 vcc, 8, v9
	v_cndmask_b32_e32 v9, v23, v21, vcc
	v_cndmask_b32_e32 v20, v22, v20, vcc
	v_lshlrev_b32_e32 v6, 24, v6
	v_bfrev_b32_e32 v21, 60
	v_lshlrev_b32_e32 v20, 20, v20
	v_and_b32_e32 v6, 0x80000000, v6
	v_lshl_add_u32 v9, v9, 23, v21
	v_or3_b32 v20, v6, v9, v20
.LBB589_685:
	s_or_b64 exec, exec, s[10:11]
.LBB589_686:
	s_or_b64 exec, exec, s[8:9]
.LBB589_687:
	s_or_b64 exec, exec, s[2:3]
	v_cvt_pkrtz_f16_f32 v6, v14, v16
	v_cvt_pkrtz_f16_f32 v7, v7, v18
	ds_read_b128 v[22:25], v50 offset:4112
	s_waitcnt vmcnt(0)
	v_cmp_ne_u16_sdwa s[8:9], v2, v15 src0_sel:BYTE_0 src1_sel:DWORD
	s_waitcnt lgkmcnt(0)
	v_mfma_f32_16x16x16f16 v[10:13], v[6:7], v[22:23], v[10:13]
	v_cvt_pkrtz_f16_f32 v6, v17, v19
	v_cvt_pkrtz_f16_f32 v7, v8, v20
	s_nop 1
	v_mfma_f32_16x16x16f16 v[6:9], v[6:7], v[24:25], v[10:13]
	s_and_saveexec_b64 s[2:3], s[8:9]
	s_cbranch_execz .LBB589_693
; %bb.688:
	s_movk_i32 s7, 0x80
	v_cmp_ne_u16_sdwa s[10:11], v2, s7 src0_sel:BYTE_0 src1_sel:DWORD
	v_bfrev_b32_e32 v15, 1
	s_and_saveexec_b64 s[8:9], s[10:11]
	s_cbranch_execz .LBB589_692
; %bb.689:
	s_movk_i32 s7, 0x7f
	v_and_b32_e32 v10, 0x7f, v2
	v_cmp_ne_u32_e32 vcc, s7, v10
	v_mov_b32_e32 v15, 0x7f800001
	s_and_saveexec_b64 s[10:11], vcc
	s_cbranch_execz .LBB589_691
; %bb.690:
	v_and_b32_e32 v11, 7, v2
	v_ffbh_u32_e32 v12, v11
	v_min_u32_e32 v15, 32, v12
	v_subrev_u32_e32 v12, 28, v15
	v_lshlrev_b64 v[12:13], v12, v[2:3]
	v_lshrrev_b32_e32 v14, 3, v10
	v_sub_u32_e32 v13, 29, v15
	v_and_b32_e32 v12, 7, v12
	v_cmp_gt_u32_e32 vcc, 8, v10
	v_cndmask_b32_e32 v10, v14, v13, vcc
	v_cndmask_b32_e32 v11, v11, v12, vcc
	v_lshlrev_b32_e32 v12, 24, v2
	v_bfrev_b32_e32 v13, 60
	v_lshlrev_b32_e32 v11, 20, v11
	v_and_b32_e32 v12, 0x80000000, v12
	v_lshl_add_u32 v10, v10, 23, v13
	v_or3_b32 v15, v12, v10, v11
.LBB589_691:
	s_or_b64 exec, exec, s[10:11]
.LBB589_692:
	s_or_b64 exec, exec, s[8:9]
.LBB589_693:
	s_or_b64 exec, exec, s[2:3]
	s_nop 3
	v_lshrrev_b16_e32 v10, 8, v2
	v_cmp_ne_u16_e32 vcc, 0, v10
	v_mov_b32_e32 v11, 0
	v_mov_b32_e32 v12, 0
	s_and_saveexec_b64 s[2:3], vcc
	s_cbranch_execz .LBB589_699
; %bb.694:
	s_movk_i32 s7, 0x80
	v_cmp_ne_u16_e32 vcc, s7, v10
	v_bfrev_b32_e32 v12, 1
	s_and_saveexec_b64 s[8:9], vcc
	s_cbranch_execz .LBB589_698
; %bb.695:
	s_movk_i32 s7, 0x7f
	v_and_b32_e32 v13, 0x7f, v10
	v_cmp_ne_u32_e32 vcc, s7, v13
	v_mov_b32_e32 v12, 0x7f800001
	s_and_saveexec_b64 s[10:11], vcc
	s_cbranch_execz .LBB589_697
; %bb.696:
	v_and_b32_e32 v12, 7, v10
	v_ffbh_u32_e32 v16, v12
	v_min_u32_e32 v18, 32, v16
	v_subrev_u32_e32 v16, 28, v18
	v_lshlrev_b64 v[16:17], v16, v[10:11]
	v_lshrrev_b32_e32 v14, 3, v13
	v_sub_u32_e32 v10, 29, v18
	v_and_b32_e32 v16, 7, v16
	v_cmp_gt_u32_e32 vcc, 8, v13
	v_cndmask_b32_e32 v10, v14, v10, vcc
	v_cndmask_b32_e32 v12, v12, v16, vcc
	v_lshlrev_b32_e32 v13, 16, v2
	v_bfrev_b32_e32 v14, 60
	v_lshlrev_b32_e32 v12, 20, v12
	v_and_b32_e32 v13, 0x80000000, v13
	v_lshl_add_u32 v10, v10, 23, v14
	v_or3_b32 v12, v13, v10, v12
.LBB589_697:
	s_or_b64 exec, exec, s[10:11]
.LBB589_698:
	s_or_b64 exec, exec, s[8:9]
.LBB589_699:
	s_or_b64 exec, exec, s[2:3]
	s_movk_i32 s2, 0xff
	v_and_b32_sdwa v13, v2, s2 dst_sel:DWORD dst_unused:UNUSED_PAD src0_sel:WORD_1 src1_sel:DWORD
	v_lshrrev_b32_e32 v10, 16, v2
	v_cmp_ne_u16_e32 vcc, 0, v13
	s_and_saveexec_b64 s[2:3], vcc
	s_cbranch_execz .LBB589_705
; %bb.700:
	s_movk_i32 s7, 0x80
	v_cmp_ne_u16_e32 vcc, s7, v13
	v_bfrev_b32_e32 v11, 1
	s_and_saveexec_b64 s[8:9], vcc
	s_cbranch_execz .LBB589_704
; %bb.701:
	v_bfe_u32 v13, v2, 16, 7
	s_movk_i32 s7, 0x7f
	v_cmp_ne_u32_e32 vcc, s7, v13
	v_mov_b32_e32 v11, 0x7f800001
	s_and_saveexec_b64 s[10:11], vcc
	s_cbranch_execz .LBB589_703
; %bb.702:
	v_and_b32_e32 v14, 7, v10
	v_ffbh_u32_e32 v11, v14
	v_min_u32_e32 v17, 32, v11
	v_subrev_u32_e32 v11, 28, v17
	v_lshlrev_b64 v[10:11], v11, v[10:11]
	v_lshrrev_b32_e32 v16, 3, v13
	v_sub_u32_e32 v11, 29, v17
	v_and_b32_e32 v10, 7, v10
	v_cmp_gt_u32_e32 vcc, 8, v13
	v_mov_b32_e32 v13, 24
	v_cndmask_b32_e32 v11, v16, v11, vcc
	v_cndmask_b32_e32 v10, v14, v10, vcc
	v_lshlrev_b32_sdwa v13, v13, v2 dst_sel:DWORD dst_unused:UNUSED_PAD src0_sel:DWORD src1_sel:WORD_1
	v_bfrev_b32_e32 v14, 60
	v_lshlrev_b32_e32 v10, 20, v10
	v_and_b32_e32 v13, 0x80000000, v13
	v_lshl_add_u32 v11, v11, 23, v14
	v_or3_b32 v11, v13, v11, v10
.LBB589_703:
	s_or_b64 exec, exec, s[10:11]
.LBB589_704:
	s_or_b64 exec, exec, s[8:9]
.LBB589_705:
	s_or_b64 exec, exec, s[2:3]
	s_mov_b32 s2, 0xffffff
	v_cmp_lt_u32_e32 vcc, s2, v2
	v_mov_b32_e32 v13, 0
	v_mov_b32_e32 v14, 0
	s_and_saveexec_b64 s[2:3], vcc
	s_cbranch_execz .LBB589_711
; %bb.706:
	v_lshrrev_b32_e32 v10, 24, v2
	s_movk_i32 s7, 0x80
	v_cmp_ne_u32_e32 vcc, s7, v10
	v_bfrev_b32_e32 v14, 1
	s_and_saveexec_b64 s[8:9], vcc
	s_cbranch_execz .LBB589_710
; %bb.707:
	v_bfe_u32 v2, v2, 24, 7
	s_movk_i32 s7, 0x7f
	v_cmp_ne_u32_e32 vcc, s7, v2
	v_mov_b32_e32 v14, 0x7f800001
	s_and_saveexec_b64 s[10:11], vcc
	s_cbranch_execz .LBB589_709
; %bb.708:
	v_and_b32_e32 v14, 7, v10
	v_ffbh_u32_e32 v16, v14
	v_min_u32_e32 v19, 32, v16
	v_subrev_u32_e32 v16, 28, v19
	v_lshlrev_b64 v[16:17], v16, v[10:11]
	v_lshrrev_b32_e32 v18, 3, v2
	v_sub_u32_e32 v17, 29, v19
	v_and_b32_e32 v16, 7, v16
	v_cmp_gt_u32_e32 vcc, 8, v2
	v_cndmask_b32_e32 v2, v18, v17, vcc
	v_cndmask_b32_e32 v14, v14, v16, vcc
	v_lshlrev_b32_e32 v10, 24, v10
	v_bfrev_b32_e32 v16, 60
	v_lshlrev_b32_e32 v14, 20, v14
	v_and_b32_e32 v10, 0x80000000, v10
	v_lshl_add_u32 v2, v2, 23, v16
	v_or3_b32 v14, v10, v2, v14
.LBB589_709:
	s_or_b64 exec, exec, s[10:11]
.LBB589_710:
	s_or_b64 exec, exec, s[8:9]
.LBB589_711:
	s_or_b64 exec, exec, s[2:3]
	v_cmp_ne_u16_sdwa s[8:9], v3, v13 src0_sel:BYTE_0 src1_sel:DWORD
	s_and_saveexec_b64 s[2:3], s[8:9]
	s_cbranch_execz .LBB589_717
; %bb.712:
	s_movk_i32 s7, 0x80
	v_cmp_ne_u16_sdwa s[10:11], v3, s7 src0_sel:BYTE_0 src1_sel:DWORD
	v_bfrev_b32_e32 v13, 1
	s_and_saveexec_b64 s[8:9], s[10:11]
	s_cbranch_execz .LBB589_716
; %bb.713:
	s_movk_i32 s7, 0x7f
	v_and_b32_e32 v2, 0x7f, v3
	v_cmp_ne_u32_e32 vcc, s7, v2
	v_mov_b32_e32 v13, 0x7f800001
	s_and_saveexec_b64 s[10:11], vcc
	s_cbranch_execz .LBB589_715
; %bb.714:
	v_and_b32_e32 v13, 7, v3
	v_ffbh_u32_e32 v16, v13
	v_min_u32_e32 v19, 32, v16
	v_mov_b32_e32 v10, v3
	v_subrev_u32_e32 v16, 28, v19
	v_lshlrev_b64 v[16:17], v16, v[10:11]
	v_lshrrev_b32_e32 v18, 3, v2
	v_sub_u32_e32 v10, 29, v19
	v_and_b32_e32 v16, 7, v16
	v_cmp_gt_u32_e32 vcc, 8, v2
	v_cndmask_b32_e32 v2, v18, v10, vcc
	v_cndmask_b32_e32 v10, v13, v16, vcc
	v_lshlrev_b32_e32 v13, 24, v3
	v_bfrev_b32_e32 v16, 60
	v_lshlrev_b32_e32 v10, 20, v10
	v_and_b32_e32 v13, 0x80000000, v13
	v_lshl_add_u32 v2, v2, 23, v16
	v_or3_b32 v13, v13, v2, v10
.LBB589_715:
	s_or_b64 exec, exec, s[10:11]
.LBB589_716:
	s_or_b64 exec, exec, s[8:9]
.LBB589_717:
	s_or_b64 exec, exec, s[2:3]
	v_lshrrev_b16_e32 v2, 8, v3
	v_cmp_ne_u16_e32 vcc, 0, v2
	v_mov_b32_e32 v16, 0
	v_mov_b32_e32 v17, 0
	s_and_saveexec_b64 s[2:3], vcc
	s_cbranch_execz .LBB589_723
; %bb.718:
	s_movk_i32 s7, 0x80
	v_cmp_ne_u16_e32 vcc, s7, v2
	v_bfrev_b32_e32 v17, 1
	s_and_saveexec_b64 s[8:9], vcc
	s_cbranch_execz .LBB589_722
; %bb.719:
	s_movk_i32 s7, 0x7f
	v_and_b32_e32 v10, 0x7f, v2
	v_cmp_ne_u32_e32 vcc, s7, v10
	v_mov_b32_e32 v17, 0x7f800001
	s_and_saveexec_b64 s[10:11], vcc
	s_cbranch_execz .LBB589_721
; %bb.720:
	v_and_b32_e32 v17, 7, v2
	v_ffbh_u32_e32 v18, v17
	v_min_u32_e32 v21, 32, v18
	v_subrev_u32_e32 v18, 28, v21
	v_lshlrev_b64 v[18:19], v18, v[2:3]
	v_lshrrev_b32_e32 v20, 3, v10
	v_sub_u32_e32 v2, 29, v21
	v_and_b32_e32 v18, 7, v18
	v_cmp_gt_u32_e32 vcc, 8, v10
	v_cndmask_b32_e32 v2, v20, v2, vcc
	v_cndmask_b32_e32 v10, v17, v18, vcc
	v_lshlrev_b32_e32 v17, 16, v3
	v_bfrev_b32_e32 v18, 60
	v_lshlrev_b32_e32 v10, 20, v10
	v_and_b32_e32 v17, 0x80000000, v17
	v_lshl_add_u32 v2, v2, 23, v18
	v_or3_b32 v17, v17, v2, v10
.LBB589_721:
	s_or_b64 exec, exec, s[10:11]
.LBB589_722:
	s_or_b64 exec, exec, s[8:9]
.LBB589_723:
	s_or_b64 exec, exec, s[2:3]
	s_movk_i32 s2, 0xff
	v_and_b32_sdwa v10, v3, s2 dst_sel:DWORD dst_unused:UNUSED_PAD src0_sel:WORD_1 src1_sel:DWORD
	v_lshrrev_b32_e32 v2, 16, v3
	v_cmp_ne_u16_e32 vcc, 0, v10
	s_and_saveexec_b64 s[2:3], vcc
	s_cbranch_execz .LBB589_729
; %bb.724:
	s_movk_i32 s7, 0x80
	v_cmp_ne_u16_e32 vcc, s7, v10
	v_bfrev_b32_e32 v16, 1
	s_and_saveexec_b64 s[8:9], vcc
	s_cbranch_execz .LBB589_728
; %bb.725:
	v_bfe_u32 v10, v3, 16, 7
	s_movk_i32 s7, 0x7f
	v_cmp_ne_u32_e32 vcc, s7, v10
	v_mov_b32_e32 v16, 0x7f800001
	s_and_saveexec_b64 s[10:11], vcc
	s_cbranch_execz .LBB589_727
; %bb.726:
	v_and_b32_e32 v16, 7, v2
	v_ffbh_u32_e32 v18, v16
	v_min_u32_e32 v21, 32, v18
	v_subrev_u32_e32 v18, 28, v21
	v_lshlrev_b64 v[18:19], v18, v[2:3]
	v_and_b32_e32 v18, 7, v18
	v_cmp_gt_u32_e32 vcc, 8, v10
	v_lshrrev_b32_e32 v20, 3, v10
	v_sub_u32_e32 v2, 29, v21
	v_cndmask_b32_e32 v10, v16, v18, vcc
	v_mov_b32_e32 v16, 24
	v_cndmask_b32_e32 v2, v20, v2, vcc
	v_lshlrev_b32_sdwa v16, v16, v3 dst_sel:DWORD dst_unused:UNUSED_PAD src0_sel:DWORD src1_sel:WORD_1
	v_bfrev_b32_e32 v18, 60
	v_lshlrev_b32_e32 v10, 20, v10
	v_and_b32_e32 v16, 0x80000000, v16
	v_lshl_add_u32 v2, v2, 23, v18
	v_or3_b32 v16, v16, v2, v10
.LBB589_727:
	s_or_b64 exec, exec, s[10:11]
.LBB589_728:
	s_or_b64 exec, exec, s[8:9]
.LBB589_729:
	s_or_b64 exec, exec, s[2:3]
	s_mov_b32 s2, 0xffffff
	v_cmp_lt_u32_e32 vcc, s2, v3
	v_mov_b32_e32 v10, 0
	v_mov_b32_e32 v18, 0
	s_and_saveexec_b64 s[2:3], vcc
	s_cbranch_execz .LBB589_735
; %bb.730:
	v_lshrrev_b32_e32 v2, 24, v3
	s_movk_i32 s7, 0x80
	v_cmp_ne_u32_e32 vcc, s7, v2
	v_bfrev_b32_e32 v18, 1
	s_and_saveexec_b64 s[8:9], vcc
	s_cbranch_execz .LBB589_734
; %bb.731:
	v_bfe_u32 v3, v3, 24, 7
	s_movk_i32 s7, 0x7f
	v_cmp_ne_u32_e32 vcc, s7, v3
	v_mov_b32_e32 v18, 0x7f800001
	s_and_saveexec_b64 s[10:11], vcc
	s_cbranch_execz .LBB589_733
; %bb.732:
	v_and_b32_e32 v20, 7, v2
	v_ffbh_u32_e32 v18, v20
	v_min_u32_e32 v22, 32, v18
	v_subrev_u32_e32 v18, 28, v22
	v_lshlrev_b64 v[18:19], v18, v[2:3]
	v_lshrrev_b32_e32 v21, 3, v3
	v_sub_u32_e32 v19, 29, v22
	v_and_b32_e32 v18, 7, v18
	v_cmp_gt_u32_e32 vcc, 8, v3
	v_cndmask_b32_e32 v3, v21, v19, vcc
	v_cndmask_b32_e32 v18, v20, v18, vcc
	v_lshlrev_b32_e32 v2, 24, v2
	v_bfrev_b32_e32 v19, 60
	v_lshlrev_b32_e32 v18, 20, v18
	v_and_b32_e32 v2, 0x80000000, v2
	v_lshl_add_u32 v3, v3, 23, v19
	v_or3_b32 v18, v2, v3, v18
.LBB589_733:
	s_or_b64 exec, exec, s[10:11]
.LBB589_734:
	s_or_b64 exec, exec, s[8:9]
.LBB589_735:
	s_or_b64 exec, exec, s[2:3]
	v_cvt_pkrtz_f16_f32 v2, v15, v12
	v_cvt_pkrtz_f16_f32 v3, v11, v14
	ds_read_b128 v[20:23], v50 offset:6144
	v_cmp_ne_u16_sdwa s[8:9], v4, v10 src0_sel:BYTE_0 src1_sel:DWORD
	s_waitcnt lgkmcnt(0)
	v_mfma_f32_16x16x16f16 v[6:9], v[2:3], v[20:21], v[6:9]
	v_cvt_pkrtz_f16_f32 v2, v13, v17
	v_cvt_pkrtz_f16_f32 v3, v16, v18
	s_nop 1
	v_mfma_f32_16x16x16f16 v[6:9], v[2:3], v[22:23], v[6:9]
	s_and_saveexec_b64 s[2:3], s[8:9]
	s_cbranch_execz .LBB589_741
; %bb.736:
	s_movk_i32 s7, 0x80
	v_cmp_ne_u16_sdwa s[10:11], v4, s7 src0_sel:BYTE_0 src1_sel:DWORD
	v_bfrev_b32_e32 v10, 1
	s_and_saveexec_b64 s[8:9], s[10:11]
	s_cbranch_execz .LBB589_740
; %bb.737:
	s_movk_i32 s7, 0x7f
	v_and_b32_e32 v2, 0x7f, v4
	v_cmp_ne_u32_e32 vcc, s7, v2
	v_mov_b32_e32 v10, 0x7f800001
	s_and_saveexec_b64 s[10:11], vcc
	s_cbranch_execz .LBB589_739
; %bb.738:
	v_and_b32_e32 v3, 7, v4
	v_ffbh_u32_e32 v10, v3
	v_min_u32_e32 v13, 32, v10
	v_subrev_u32_e32 v10, 28, v13
	v_lshlrev_b64 v[10:11], v10, v[4:5]
	v_lshrrev_b32_e32 v12, 3, v2
	v_sub_u32_e32 v11, 29, v13
	v_and_b32_e32 v10, 7, v10
	v_cmp_gt_u32_e32 vcc, 8, v2
	v_cndmask_b32_e32 v2, v12, v11, vcc
	v_cndmask_b32_e32 v3, v3, v10, vcc
	v_lshlrev_b32_e32 v10, 24, v4
	v_bfrev_b32_e32 v11, 60
	v_lshlrev_b32_e32 v3, 20, v3
	v_and_b32_e32 v10, 0x80000000, v10
	v_lshl_add_u32 v2, v2, 23, v11
	v_or3_b32 v10, v10, v2, v3
.LBB589_739:
	s_or_b64 exec, exec, s[10:11]
.LBB589_740:
	s_or_b64 exec, exec, s[8:9]
.LBB589_741:
	s_or_b64 exec, exec, s[2:3]
	v_lshrrev_b16_e32 v2, 8, v4
	v_cmp_ne_u16_e32 vcc, 0, v2
	v_mov_b32_e32 v3, 0
	v_mov_b32_e32 v11, 0
	s_and_saveexec_b64 s[2:3], vcc
	s_cbranch_execz .LBB589_747
; %bb.742:
	s_movk_i32 s7, 0x80
	v_cmp_ne_u16_e32 vcc, s7, v2
	v_bfrev_b32_e32 v11, 1
	s_and_saveexec_b64 s[8:9], vcc
	s_cbranch_execz .LBB589_746
; %bb.743:
	s_movk_i32 s7, 0x7f
	v_and_b32_e32 v12, 0x7f, v2
	v_cmp_ne_u32_e32 vcc, s7, v12
	v_mov_b32_e32 v11, 0x7f800001
	s_and_saveexec_b64 s[10:11], vcc
	s_cbranch_execz .LBB589_745
; %bb.744:
	v_and_b32_e32 v11, 7, v2
	v_ffbh_u32_e32 v14, v11
	v_min_u32_e32 v16, 32, v14
	v_subrev_u32_e32 v14, 28, v16
	v_lshlrev_b64 v[14:15], v14, v[2:3]
	v_lshrrev_b32_e32 v13, 3, v12
	v_sub_u32_e32 v2, 29, v16
	v_and_b32_e32 v14, 7, v14
	v_cmp_gt_u32_e32 vcc, 8, v12
	v_cndmask_b32_e32 v2, v13, v2, vcc
	v_cndmask_b32_e32 v11, v11, v14, vcc
	v_lshlrev_b32_e32 v12, 16, v4
	v_bfrev_b32_e32 v13, 60
	v_lshlrev_b32_e32 v11, 20, v11
	v_and_b32_e32 v12, 0x80000000, v12
	v_lshl_add_u32 v2, v2, 23, v13
	v_or3_b32 v11, v12, v2, v11
.LBB589_745:
	s_or_b64 exec, exec, s[10:11]
.LBB589_746:
	s_or_b64 exec, exec, s[8:9]
.LBB589_747:
	s_or_b64 exec, exec, s[2:3]
	s_movk_i32 s2, 0xff
	v_and_b32_sdwa v12, v4, s2 dst_sel:DWORD dst_unused:UNUSED_PAD src0_sel:WORD_1 src1_sel:DWORD
	v_lshrrev_b32_e32 v2, 16, v4
	v_cmp_ne_u16_e32 vcc, 0, v12
	s_and_saveexec_b64 s[2:3], vcc
	s_cbranch_execz .LBB589_753
; %bb.748:
	s_movk_i32 s7, 0x80
	v_cmp_ne_u16_e32 vcc, s7, v12
	v_bfrev_b32_e32 v3, 1
	s_and_saveexec_b64 s[8:9], vcc
	s_cbranch_execz .LBB589_752
; %bb.749:
	v_bfe_u32 v12, v4, 16, 7
	s_movk_i32 s7, 0x7f
	v_cmp_ne_u32_e32 vcc, s7, v12
	v_mov_b32_e32 v3, 0x7f800001
	s_and_saveexec_b64 s[10:11], vcc
	s_cbranch_execz .LBB589_751
; %bb.750:
	v_and_b32_e32 v13, 7, v2
	v_ffbh_u32_e32 v3, v13
	v_min_u32_e32 v15, 32, v3
	v_subrev_u32_e32 v3, 28, v15
	v_lshlrev_b64 v[2:3], v3, v[2:3]
	v_lshrrev_b32_e32 v14, 3, v12
	v_sub_u32_e32 v3, 29, v15
	v_and_b32_e32 v2, 7, v2
	v_cmp_gt_u32_e32 vcc, 8, v12
	v_mov_b32_e32 v12, 24
	v_cndmask_b32_e32 v3, v14, v3, vcc
	v_cndmask_b32_e32 v2, v13, v2, vcc
	v_lshlrev_b32_sdwa v12, v12, v4 dst_sel:DWORD dst_unused:UNUSED_PAD src0_sel:DWORD src1_sel:WORD_1
	v_bfrev_b32_e32 v13, 60
	v_lshlrev_b32_e32 v2, 20, v2
	v_and_b32_e32 v12, 0x80000000, v12
	v_lshl_add_u32 v3, v3, 23, v13
	v_or3_b32 v3, v12, v3, v2
.LBB589_751:
	s_or_b64 exec, exec, s[10:11]
.LBB589_752:
	s_or_b64 exec, exec, s[8:9]
.LBB589_753:
	s_or_b64 exec, exec, s[2:3]
	s_mov_b32 s2, 0xffffff
	v_cmp_lt_u32_e32 vcc, s2, v4
	v_mov_b32_e32 v12, 0
	v_mov_b32_e32 v13, 0
	s_and_saveexec_b64 s[2:3], vcc
	s_cbranch_execz .LBB589_759
; %bb.754:
	v_lshrrev_b32_e32 v2, 24, v4
	s_movk_i32 s7, 0x80
	v_cmp_ne_u32_e32 vcc, s7, v2
	v_bfrev_b32_e32 v13, 1
	s_and_saveexec_b64 s[8:9], vcc
	s_cbranch_execz .LBB589_758
; %bb.755:
	v_bfe_u32 v4, v4, 24, 7
	s_movk_i32 s7, 0x7f
	v_cmp_ne_u32_e32 vcc, s7, v4
	v_mov_b32_e32 v13, 0x7f800001
	s_and_saveexec_b64 s[10:11], vcc
	s_cbranch_execz .LBB589_757
; %bb.756:
	v_and_b32_e32 v13, 7, v2
	v_ffbh_u32_e32 v14, v13
	v_min_u32_e32 v17, 32, v14
	v_subrev_u32_e32 v14, 28, v17
	v_lshlrev_b64 v[14:15], v14, v[2:3]
	v_lshrrev_b32_e32 v16, 3, v4
	v_sub_u32_e32 v15, 29, v17
	v_and_b32_e32 v14, 7, v14
	v_cmp_gt_u32_e32 vcc, 8, v4
	v_cndmask_b32_e32 v4, v16, v15, vcc
	v_cndmask_b32_e32 v13, v13, v14, vcc
	v_lshlrev_b32_e32 v2, 24, v2
	v_bfrev_b32_e32 v14, 60
	v_lshlrev_b32_e32 v13, 20, v13
	v_and_b32_e32 v2, 0x80000000, v2
	v_lshl_add_u32 v4, v4, 23, v14
	v_or3_b32 v13, v2, v4, v13
.LBB589_757:
	s_or_b64 exec, exec, s[10:11]
.LBB589_758:
	s_or_b64 exec, exec, s[8:9]
.LBB589_759:
	s_or_b64 exec, exec, s[2:3]
	v_cmp_ne_u16_sdwa s[8:9], v5, v12 src0_sel:BYTE_0 src1_sel:DWORD
	s_and_saveexec_b64 s[2:3], s[8:9]
	s_cbranch_execz .LBB589_765
; %bb.760:
	s_movk_i32 s7, 0x80
	v_cmp_ne_u16_sdwa s[10:11], v5, s7 src0_sel:BYTE_0 src1_sel:DWORD
	v_bfrev_b32_e32 v12, 1
	s_and_saveexec_b64 s[8:9], s[10:11]
	s_cbranch_execz .LBB589_764
; %bb.761:
	s_movk_i32 s7, 0x7f
	v_and_b32_e32 v2, 0x7f, v5
	v_cmp_ne_u32_e32 vcc, s7, v2
	v_mov_b32_e32 v12, 0x7f800001
	s_and_saveexec_b64 s[10:11], vcc
	s_cbranch_execz .LBB589_763
; %bb.762:
	v_and_b32_e32 v12, 7, v5
	v_ffbh_u32_e32 v14, v12
	v_min_u32_e32 v17, 32, v14
	v_mov_b32_e32 v4, v5
	v_subrev_u32_e32 v14, 28, v17
	v_lshlrev_b64 v[14:15], v14, v[4:5]
	v_lshrrev_b32_e32 v16, 3, v2
	v_sub_u32_e32 v4, 29, v17
	v_and_b32_e32 v14, 7, v14
	v_cmp_gt_u32_e32 vcc, 8, v2
	v_cndmask_b32_e32 v2, v16, v4, vcc
	v_cndmask_b32_e32 v4, v12, v14, vcc
	v_lshlrev_b32_e32 v12, 24, v5
	v_bfrev_b32_e32 v14, 60
	v_lshlrev_b32_e32 v4, 20, v4
	v_and_b32_e32 v12, 0x80000000, v12
	v_lshl_add_u32 v2, v2, 23, v14
	v_or3_b32 v12, v12, v2, v4
.LBB589_763:
	s_or_b64 exec, exec, s[10:11]
.LBB589_764:
	s_or_b64 exec, exec, s[8:9]
.LBB589_765:
	s_or_b64 exec, exec, s[2:3]
	v_lshrrev_b16_e32 v2, 8, v5
	v_cmp_ne_u16_e32 vcc, 0, v2
	v_mov_b32_e32 v4, 0
	v_mov_b32_e32 v14, 0
	s_and_saveexec_b64 s[2:3], vcc
	s_cbranch_execz .LBB589_771
; %bb.766:
	s_movk_i32 s7, 0x80
	v_cmp_ne_u16_e32 vcc, s7, v2
	v_bfrev_b32_e32 v14, 1
	s_and_saveexec_b64 s[8:9], vcc
	s_cbranch_execz .LBB589_770
; %bb.767:
	s_movk_i32 s7, 0x7f
	v_and_b32_e32 v15, 0x7f, v2
	v_cmp_ne_u32_e32 vcc, s7, v15
	v_mov_b32_e32 v14, 0x7f800001
	s_and_saveexec_b64 s[10:11], vcc
	s_cbranch_execz .LBB589_769
; %bb.768:
	v_and_b32_e32 v14, 7, v2
	v_ffbh_u32_e32 v16, v14
	v_min_u32_e32 v19, 32, v16
	v_subrev_u32_e32 v16, 28, v19
	v_lshlrev_b64 v[16:17], v16, v[2:3]
	v_lshrrev_b32_e32 v18, 3, v15
	v_sub_u32_e32 v2, 29, v19
	v_and_b32_e32 v16, 7, v16
	v_cmp_gt_u32_e32 vcc, 8, v15
	v_cndmask_b32_e32 v2, v18, v2, vcc
	v_cndmask_b32_e32 v14, v14, v16, vcc
	v_lshlrev_b32_e32 v15, 16, v5
	v_bfrev_b32_e32 v16, 60
	v_lshlrev_b32_e32 v14, 20, v14
	v_and_b32_e32 v15, 0x80000000, v15
	v_lshl_add_u32 v2, v2, 23, v16
	v_or3_b32 v14, v15, v2, v14
.LBB589_769:
	s_or_b64 exec, exec, s[10:11]
.LBB589_770:
	s_or_b64 exec, exec, s[8:9]
.LBB589_771:
	s_or_b64 exec, exec, s[2:3]
	s_movk_i32 s2, 0xff
	v_and_b32_sdwa v15, v5, s2 dst_sel:DWORD dst_unused:UNUSED_PAD src0_sel:WORD_1 src1_sel:DWORD
	v_lshrrev_b32_e32 v2, 16, v5
	v_cmp_ne_u16_e32 vcc, 0, v15
	s_and_saveexec_b64 s[2:3], vcc
	s_cbranch_execz .LBB589_777
; %bb.772:
	s_movk_i32 s7, 0x80
	v_cmp_ne_u16_e32 vcc, s7, v15
	v_bfrev_b32_e32 v4, 1
	s_and_saveexec_b64 s[8:9], vcc
	s_cbranch_execz .LBB589_776
; %bb.773:
	v_bfe_u32 v15, v5, 16, 7
	s_movk_i32 s7, 0x7f
	v_cmp_ne_u32_e32 vcc, s7, v15
	v_mov_b32_e32 v4, 0x7f800001
	s_and_saveexec_b64 s[10:11], vcc
	s_cbranch_execz .LBB589_775
; %bb.774:
	v_and_b32_e32 v4, 7, v2
	v_ffbh_u32_e32 v16, v4
	v_min_u32_e32 v19, 32, v16
	v_subrev_u32_e32 v16, 28, v19
	v_lshlrev_b64 v[16:17], v16, v[2:3]
	v_lshrrev_b32_e32 v18, 3, v15
	v_sub_u32_e32 v2, 29, v19
	v_and_b32_e32 v16, 7, v16
	v_cmp_gt_u32_e32 vcc, 8, v15
	v_mov_b32_e32 v15, 24
	v_cndmask_b32_e32 v2, v18, v2, vcc
	v_cndmask_b32_e32 v4, v4, v16, vcc
	v_lshlrev_b32_sdwa v15, v15, v5 dst_sel:DWORD dst_unused:UNUSED_PAD src0_sel:DWORD src1_sel:WORD_1
	v_bfrev_b32_e32 v16, 60
	v_lshlrev_b32_e32 v4, 20, v4
	v_and_b32_e32 v15, 0x80000000, v15
	v_lshl_add_u32 v2, v2, 23, v16
	v_or3_b32 v4, v15, v2, v4
.LBB589_775:
	s_or_b64 exec, exec, s[10:11]
.LBB589_776:
	s_or_b64 exec, exec, s[8:9]
.LBB589_777:
	s_or_b64 exec, exec, s[2:3]
	s_mov_b32 s2, 0xffffff
	v_cmp_lt_u32_e32 vcc, s2, v5
	v_mov_b32_e32 v15, 0
	s_and_saveexec_b64 s[2:3], vcc
	s_cbranch_execz .LBB589_783
; %bb.778:
	v_lshrrev_b32_e32 v2, 24, v5
	s_movk_i32 s7, 0x80
	v_cmp_ne_u32_e32 vcc, s7, v2
	v_bfrev_b32_e32 v15, 1
	s_and_saveexec_b64 s[8:9], vcc
	s_cbranch_execz .LBB589_782
; %bb.779:
	v_bfe_u32 v5, v5, 24, 7
	s_movk_i32 s7, 0x7f
	v_cmp_ne_u32_e32 vcc, s7, v5
	v_mov_b32_e32 v15, 0x7f800001
	s_and_saveexec_b64 s[10:11], vcc
	s_cbranch_execz .LBB589_781
; %bb.780:
	v_and_b32_e32 v15, 7, v2
	v_ffbh_u32_e32 v16, v15
	v_min_u32_e32 v19, 32, v16
	v_subrev_u32_e32 v16, 28, v19
	v_lshlrev_b64 v[16:17], v16, v[2:3]
	v_lshrrev_b32_e32 v18, 3, v5
	v_sub_u32_e32 v17, 29, v19
	v_and_b32_e32 v16, 7, v16
	v_cmp_gt_u32_e32 vcc, 8, v5
	v_cndmask_b32_e32 v5, v18, v17, vcc
	v_cndmask_b32_e32 v15, v15, v16, vcc
	v_lshlrev_b32_e32 v2, 24, v2
	v_bfrev_b32_e32 v16, 60
	v_lshlrev_b32_e32 v15, 20, v15
	v_and_b32_e32 v2, 0x80000000, v2
	v_lshl_add_u32 v5, v5, 23, v16
	v_or3_b32 v15, v2, v5, v15
.LBB589_781:
	s_or_b64 exec, exec, s[10:11]
.LBB589_782:
	s_or_b64 exec, exec, s[8:9]
.LBB589_783:
	s_or_b64 exec, exec, s[2:3]
	v_cvt_pkrtz_f16_f32 v2, v10, v11
	v_cvt_pkrtz_f16_f32 v3, v3, v13
	ds_read_b128 v[16:19], v50 offset:6160
	s_load_dword s2, s[42:43], 0x0
	v_cmp_gt_u32_e32 vcc, 64, v0
	s_waitcnt lgkmcnt(0)
	v_mfma_f32_16x16x16f16 v[6:9], v[2:3], v[16:17], v[6:9]
	v_cvt_pkrtz_f16_f32 v2, v12, v14
	v_cvt_pkrtz_f16_f32 v3, v4, v15
	s_and_b64 s[0:1], vcc, s[0:1]
	s_barrier
	v_mfma_f32_16x16x16f16 v[2:5], v[2:3], v[18:19], v[6:9]
	s_nop 7
	s_nop 2
	v_pk_mul_f32 v[4:5], v[4:5], s[2:3] op_sel_hi:[1,0]
	v_pk_mul_f32 v[2:3], v[2:3], s[2:3] op_sel_hi:[1,0]
	v_cvt_f16_f32_e32 v2, v2
	v_cvt_f16_f32_e32 v3, v3
	;; [unrolled: 1-line block ×4, first 2 shown]
	v_pack_b32_f16 v2, v2, v3
	v_pack_b32_f16 v3, v4, v5
	ds_write_b64 v26, v[2:3]
	s_waitcnt lgkmcnt(0)
	s_barrier
	s_and_saveexec_b64 s[2:3], s[0:1]
	s_cbranch_execz .LBB589_785
; %bb.784:
	s_load_dwordx2 s[0:1], s[4:5], 0x68
	s_lshl_b32 s4, s44, 6
	s_mul_i32 s2, s12, s6
	s_mul_hi_u32 s3, s2, s4
	s_mul_i32 s2, s2, s4
	s_lshl_b64 s[2:3], s[2:3], 1
	s_waitcnt lgkmcnt(0)
	s_add_u32 s2, s0, s2
	s_addc_u32 s3, s1, s3
	s_lshl_b32 s0, s24, 6
	s_mov_b32 s1, 0
	v_lshlrev_b32_e32 v0, 10, v0
	s_lshl_b64 s[0:1], s[0:1], 1
	v_and_b32_e32 v0, 0x1800, v0
	v_lshlrev_b32_e32 v2, 5, v1
	v_and_b32_e32 v3, 16, v49
	s_add_u32 s0, s2, s0
	v_or3_b32 v0, v0, v2, v3
	s_addc_u32 s1, s3, s1
	ds_read_b128 v[2:5], v0
	ds_read_b128 v[6:9], v0 offset:128
	ds_read_b128 v[10:13], v0 offset:256
	;; [unrolled: 1-line block ×3, first 2 shown]
	v_mov_b32_e32 v0, s1
	v_add_co_u32_e32 v18, vcc, s0, v48
	v_or_b32_e32 v20, s25, v1
	v_addc_co_u32_e32 v19, vcc, 0, v0, vcc
	v_mad_u64_u32 v[0:1], s[0:1], v20, s4, 0
	v_lshlrev_b64 v[0:1], 1, v[0:1]
	v_add_co_u32_e32 v0, vcc, v18, v0
	v_addc_co_u32_e32 v1, vcc, v19, v1, vcc
	s_waitcnt lgkmcnt(3)
	global_store_dwordx4 v[0:1], v[2:5], off
	v_or_b32_e32 v0, 4, v20
	v_mad_u64_u32 v[0:1], s[0:1], v0, s4, 0
	v_lshlrev_b64 v[0:1], 1, v[0:1]
	v_add_co_u32_e32 v0, vcc, v18, v0
	v_addc_co_u32_e32 v1, vcc, v19, v1, vcc
	s_waitcnt lgkmcnt(2)
	global_store_dwordx4 v[0:1], v[6:9], off
	v_or_b32_e32 v0, 8, v20
	;; [unrolled: 7-line block ×3, first 2 shown]
	v_mad_u64_u32 v[0:1], s[0:1], v0, s4, 0
	v_lshlrev_b64 v[0:1], 1, v[0:1]
	v_add_co_u32_e32 v0, vcc, v18, v0
	v_addc_co_u32_e32 v1, vcc, v19, v1, vcc
	s_waitcnt lgkmcnt(0)
	global_store_dwordx4 v[0:1], v[14:17], off
.LBB589_785:
	s_endpgm
	.section	.rodata,"a",@progbits
	.p2align	6, 0x0
	.amdhsa_kernel _Z39paged_attention_ll4mi_QKV_mfma16_kernelIDF16_hLN4vllm18Fp8KVCacheDataTypeE1EDF16_Li32ELi64ELi256ELb1ELi16EL8MFMAType0EEvPKT_PKT0_S8_ifPKiSA_SA_iPKfiiiPfSD_PS3_PT2_iSC_SC_
		.amdhsa_group_segment_fixed_size 8192
		.amdhsa_private_segment_fixed_size 0
		.amdhsa_kernarg_size 400
		.amdhsa_user_sgpr_count 6
		.amdhsa_user_sgpr_private_segment_buffer 1
		.amdhsa_user_sgpr_dispatch_ptr 0
		.amdhsa_user_sgpr_queue_ptr 0
		.amdhsa_user_sgpr_kernarg_segment_ptr 1
		.amdhsa_user_sgpr_dispatch_id 0
		.amdhsa_user_sgpr_flat_scratch_init 0
		.amdhsa_user_sgpr_kernarg_preload_length 0
		.amdhsa_user_sgpr_kernarg_preload_offset 0
		.amdhsa_user_sgpr_private_segment_size 0
		.amdhsa_uses_dynamic_stack 0
		.amdhsa_system_sgpr_private_segment_wavefront_offset 0
		.amdhsa_system_sgpr_workgroup_id_x 1
		.amdhsa_system_sgpr_workgroup_id_y 1
		.amdhsa_system_sgpr_workgroup_id_z 1
		.amdhsa_system_sgpr_workgroup_info 0
		.amdhsa_system_vgpr_workitem_id 0
		.amdhsa_next_free_vgpr 65
		.amdhsa_next_free_sgpr 47
		.amdhsa_accum_offset 68
		.amdhsa_reserve_vcc 1
		.amdhsa_reserve_flat_scratch 0
		.amdhsa_float_round_mode_32 0
		.amdhsa_float_round_mode_16_64 0
		.amdhsa_float_denorm_mode_32 3
		.amdhsa_float_denorm_mode_16_64 3
		.amdhsa_dx10_clamp 1
		.amdhsa_ieee_mode 1
		.amdhsa_fp16_overflow 0
		.amdhsa_tg_split 0
		.amdhsa_exception_fp_ieee_invalid_op 0
		.amdhsa_exception_fp_denorm_src 0
		.amdhsa_exception_fp_ieee_div_zero 0
		.amdhsa_exception_fp_ieee_overflow 0
		.amdhsa_exception_fp_ieee_underflow 0
		.amdhsa_exception_fp_ieee_inexact 0
		.amdhsa_exception_int_div_zero 0
	.end_amdhsa_kernel
	.section	.text._Z39paged_attention_ll4mi_QKV_mfma16_kernelIDF16_hLN4vllm18Fp8KVCacheDataTypeE1EDF16_Li32ELi64ELi256ELb1ELi16EL8MFMAType0EEvPKT_PKT0_S8_ifPKiSA_SA_iPKfiiiPfSD_PS3_PT2_iSC_SC_,"axG",@progbits,_Z39paged_attention_ll4mi_QKV_mfma16_kernelIDF16_hLN4vllm18Fp8KVCacheDataTypeE1EDF16_Li32ELi64ELi256ELb1ELi16EL8MFMAType0EEvPKT_PKT0_S8_ifPKiSA_SA_iPKfiiiPfSD_PS3_PT2_iSC_SC_,comdat
.Lfunc_end589:
	.size	_Z39paged_attention_ll4mi_QKV_mfma16_kernelIDF16_hLN4vllm18Fp8KVCacheDataTypeE1EDF16_Li32ELi64ELi256ELb1ELi16EL8MFMAType0EEvPKT_PKT0_S8_ifPKiSA_SA_iPKfiiiPfSD_PS3_PT2_iSC_SC_, .Lfunc_end589-_Z39paged_attention_ll4mi_QKV_mfma16_kernelIDF16_hLN4vllm18Fp8KVCacheDataTypeE1EDF16_Li32ELi64ELi256ELb1ELi16EL8MFMAType0EEvPKT_PKT0_S8_ifPKiSA_SA_iPKfiiiPfSD_PS3_PT2_iSC_SC_
                                        ; -- End function
	.section	.AMDGPU.csdata,"",@progbits
; Kernel info:
; codeLenInByte = 27332
; NumSgprs: 51
; NumVgprs: 65
; NumAgprs: 0
; TotalNumVgprs: 65
; ScratchSize: 0
; MemoryBound: 0
; FloatMode: 240
; IeeeMode: 1
; LDSByteSize: 8192 bytes/workgroup (compile time only)
; SGPRBlocks: 6
; VGPRBlocks: 8
; NumSGPRsForWavesPerEU: 51
; NumVGPRsForWavesPerEU: 65
; AccumOffset: 68
; Occupancy: 7
; WaveLimiterHint : 1
; COMPUTE_PGM_RSRC2:SCRATCH_EN: 0
; COMPUTE_PGM_RSRC2:USER_SGPR: 6
; COMPUTE_PGM_RSRC2:TRAP_HANDLER: 0
; COMPUTE_PGM_RSRC2:TGID_X_EN: 1
; COMPUTE_PGM_RSRC2:TGID_Y_EN: 1
; COMPUTE_PGM_RSRC2:TGID_Z_EN: 1
; COMPUTE_PGM_RSRC2:TIDIG_COMP_CNT: 0
; COMPUTE_PGM_RSRC3_GFX90A:ACCUM_OFFSET: 16
; COMPUTE_PGM_RSRC3_GFX90A:TG_SPLIT: 0
	.section	.text._Z39paged_attention_ll4mi_QKV_mfma16_kernelIDF16_hLN4vllm18Fp8KVCacheDataTypeE1EDF16_Li32ELi64ELi256ELb1ELi1EL8MFMAType0EEvPKT_PKT0_S8_ifPKiSA_SA_iPKfiiiPfSD_PS3_PT2_iSC_SC_,"axG",@progbits,_Z39paged_attention_ll4mi_QKV_mfma16_kernelIDF16_hLN4vllm18Fp8KVCacheDataTypeE1EDF16_Li32ELi64ELi256ELb1ELi1EL8MFMAType0EEvPKT_PKT0_S8_ifPKiSA_SA_iPKfiiiPfSD_PS3_PT2_iSC_SC_,comdat
	.protected	_Z39paged_attention_ll4mi_QKV_mfma16_kernelIDF16_hLN4vllm18Fp8KVCacheDataTypeE1EDF16_Li32ELi64ELi256ELb1ELi1EL8MFMAType0EEvPKT_PKT0_S8_ifPKiSA_SA_iPKfiiiPfSD_PS3_PT2_iSC_SC_ ; -- Begin function _Z39paged_attention_ll4mi_QKV_mfma16_kernelIDF16_hLN4vllm18Fp8KVCacheDataTypeE1EDF16_Li32ELi64ELi256ELb1ELi1EL8MFMAType0EEvPKT_PKT0_S8_ifPKiSA_SA_iPKfiiiPfSD_PS3_PT2_iSC_SC_
	.globl	_Z39paged_attention_ll4mi_QKV_mfma16_kernelIDF16_hLN4vllm18Fp8KVCacheDataTypeE1EDF16_Li32ELi64ELi256ELb1ELi1EL8MFMAType0EEvPKT_PKT0_S8_ifPKiSA_SA_iPKfiiiPfSD_PS3_PT2_iSC_SC_
	.p2align	8
	.type	_Z39paged_attention_ll4mi_QKV_mfma16_kernelIDF16_hLN4vllm18Fp8KVCacheDataTypeE1EDF16_Li32ELi64ELi256ELb1ELi1EL8MFMAType0EEvPKT_PKT0_S8_ifPKiSA_SA_iPKfiiiPfSD_PS3_PT2_iSC_SC_,@function
_Z39paged_attention_ll4mi_QKV_mfma16_kernelIDF16_hLN4vllm18Fp8KVCacheDataTypeE1EDF16_Li32ELi64ELi256ELb1ELi1EL8MFMAType0EEvPKT_PKT0_S8_ifPKiSA_SA_iPKfiiiPfSD_PS3_PT2_iSC_SC_: ; @_Z39paged_attention_ll4mi_QKV_mfma16_kernelIDF16_hLN4vllm18Fp8KVCacheDataTypeE1EDF16_Li32ELi64ELi256ELb1ELi1EL8MFMAType0EEvPKT_PKT0_S8_ifPKiSA_SA_iPKfiiiPfSD_PS3_PT2_iSC_SC_
; %bb.0:
	s_load_dwordx2 s[0:1], s[4:5], 0x30
	s_mov_b32 s26, s7
	s_mov_b64 s[10:11], 0
	s_waitcnt lgkmcnt(0)
	s_cmp_lg_u64 s[0:1], 0
	s_cselect_b64 s[2:3], -1, 0
	s_and_b64 vcc, exec, s[2:3]
	s_cbranch_vccz .LBB590_7
; %bb.1:
	s_add_i32 s12, s6, 1
	s_mov_b32 s13, 0
	s_lshl_b64 s[14:15], s[12:13], 2
	s_add_u32 s14, s0, s14
	s_mov_b32 s7, s13
	s_addc_u32 s15, s1, s15
	s_lshl_b64 s[12:13], s[6:7], 2
	s_add_u32 s12, s0, s12
	s_addc_u32 s13, s1, s13
	s_load_dword s9, s[14:15], 0x0
	s_load_dword s16, s[12:13], 0x0
	s_waitcnt lgkmcnt(0)
	s_sub_i32 s9, s9, s16
	s_cmp_eq_u32 s9, 1
	s_cselect_b64 s[12:13], -1, 0
	s_andn2_b64 vcc, exec, s[10:11]
	s_cbranch_vccnz .LBB590_3
.LBB590_2:
	s_mov_b32 s7, 0
	s_mov_b64 s[12:13], -1
.LBB590_3:
	s_andn2_b64 vcc, exec, s[12:13]
	s_cbranch_vccnz .LBB590_787
; %bb.4:
	s_load_dwordx2 s[12:13], s[4:5], 0x28
	s_lshl_b64 s[10:11], s[6:7], 2
	s_waitcnt lgkmcnt(0)
	s_add_u32 s12, s12, s10
	s_addc_u32 s13, s13, s11
	s_load_dword s27, s[12:13], 0x0
	s_lshl_b32 s18, s26, 8
	s_waitcnt lgkmcnt(0)
	s_cmp_ge_i32 s18, s27
	s_cbranch_scc1 .LBB590_787
; %bb.5:
	s_add_i32 s14, s27, 31
	s_load_dwordx2 s[12:13], s[4:5], 0x20
	s_load_dword s9, s[4:5], 0x38
	s_ashr_i32 s15, s14, 31
	v_and_b32_e32 v1, 0xcf, v0
	s_lshr_b32 s15, s15, 27
	v_add_u32_e32 v1, s18, v1
	s_add_i32 s14, s14, s15
	v_ashrrev_i32_e32 v2, 31, v1
	s_ashr_i32 s21, s14, 5
	v_lshrrev_b32_e32 v4, 27, v2
	s_add_i32 s21, s21, -1
	v_add_u32_e32 v2, v1, v4
	s_waitcnt lgkmcnt(0)
	s_mul_i32 s14, s6, s9
	s_mov_b32 s15, 0
	v_ashrrev_i32_e32 v2, 5, v2
	v_mov_b32_e32 v5, s21
	v_cmp_gt_i32_e32 vcc, s27, v1
	s_lshl_b64 s[14:15], s[14:15], 2
	v_cndmask_b32_e32 v2, v5, v2, vcc
	s_add_u32 s19, s12, s14
	v_ashrrev_i32_e32 v3, 31, v2
	s_addc_u32 s20, s13, s15
	v_lshlrev_b64 v[2:3], 2, v[2:3]
	v_mov_b32_e32 v7, s20
	v_add_co_u32_e32 v6, vcc, s19, v2
	v_or_b32_e32 v2, 16, v1
	v_addc_co_u32_e32 v7, vcc, v7, v3, vcc
	v_add_u32_e32 v3, v2, v4
	v_ashrrev_i32_e32 v3, 5, v3
	v_cmp_gt_i32_e32 vcc, s27, v2
	v_cndmask_b32_e32 v2, v5, v3, vcc
	v_ashrrev_i32_e32 v3, 31, v2
	v_lshlrev_b64 v[2:3], 2, v[2:3]
	v_mov_b32_e32 v9, s20
	v_add_co_u32_e32 v8, vcc, s19, v2
	v_or_b32_e32 v2, 32, v1
	v_addc_co_u32_e32 v9, vcc, v9, v3, vcc
	v_add_u32_e32 v3, v2, v4
	v_ashrrev_i32_e32 v3, 5, v3
	v_cmp_gt_i32_e32 vcc, s27, v2
	v_cndmask_b32_e32 v2, v5, v3, vcc
	v_ashrrev_i32_e32 v3, 31, v2
	;; [unrolled: 10-line block ×3, first 2 shown]
	v_lshlrev_b64 v[2:3], 2, v[2:3]
	v_mov_b32_e32 v1, s20
	v_add_co_u32_e32 v12, vcc, s19, v2
	v_addc_co_u32_e32 v13, vcc, v1, v3, vcc
	global_load_dword v5, v[6:7], off
	global_load_dword v4, v[8:9], off
	;; [unrolled: 1-line block ×4, first 2 shown]
	s_load_dwordx2 s[16:17], s[4:5], 0x8
	s_andn2_b64 vcc, exec, s[2:3]
	s_cbranch_vccnz .LBB590_8
; %bb.6:
	s_add_u32 s0, s0, s10
	s_addc_u32 s1, s1, s11
	s_load_dword s9, s[0:1], 0x0
	s_branch .LBB590_9
.LBB590_7:
	s_mov_b64 s[12:13], 0
	s_branch .LBB590_2
.LBB590_8:
	s_mov_b32 s9, s6
.LBB590_9:
	s_load_dwordx2 s[2:3], s[4:5], 0x10
	s_load_dwordx4 s[12:15], s[4:5], 0x48
	v_lshrrev_b32_e32 v49, 6, v0
	v_bfe_u32 v46, v0, 4, 2
	v_lshl_or_b32 v1, v49, 2, v46
	v_and_b32_e32 v50, 15, v0
	v_lshlrev_b32_e32 v6, 3, v50
	v_cmp_eq_u32_e32 vcc, 0, v1
	v_cmp_gt_u32_e64 s[0:1], 8, v50
	s_and_b64 s[22:23], s[0:1], vcc
	v_lshlrev_b32_e32 v1, 1, v6
	v_lshlrev_b32_e32 v47, 4, v0
	s_and_saveexec_b64 s[10:11], s[22:23]
	s_cbranch_execz .LBB590_11
; %bb.10:
	s_load_dwordx2 s[22:23], s[4:5], 0x0
	s_waitcnt lgkmcnt(0)
	s_ashr_i32 s15, s12, 31
	s_mul_hi_u32 s24, s9, s12
	s_mul_i32 s15, s9, s15
	s_add_i32 s25, s24, s15
	s_mul_i32 s24, s9, s12
	s_lshl_b64 s[24:25], s[24:25], 1
	s_add_u32 s9, s22, s24
	s_addc_u32 s12, s23, s25
	s_lshl_b32 s22, s8, 6
	s_ashr_i32 s23, s22, 31
	s_lshl_b64 s[22:23], s[22:23], 1
	s_add_u32 s22, s9, s22
	s_addc_u32 s23, s12, s23
	global_load_dwordx4 v[6:9], v1, s[22:23]
	v_lshlrev_b32_e32 v10, 8, v50
	v_and_b32_e32 v11, 16, v47
	s_movk_i32 s9, 0xe00
	v_and_or_b32 v10, v10, s9, v11
	s_waitcnt vmcnt(0)
	ds_write_b128 v10, v[6:9]
.LBB590_11:
	s_or_b64 exec, exec, s[10:11]
	s_waitcnt lgkmcnt(0)
	s_mul_i32 s12, s8, s14
	s_add_u32 s10, s16, s12
	s_addc_u32 s11, s17, 0
	v_pk_mov_b32 v[8:9], s[10:11], s[10:11] op_sel:[0,1]
	s_waitcnt vmcnt(3)
	v_mad_i64_i32 v[10:11], s[10:11], v5, s13, v[8:9]
	v_lshlrev_b32_e32 v12, 4, v50
	v_and_b32_e32 v6, 48, v0
	v_add_co_u32_e32 v5, vcc, v10, v12
	v_lshlrev_b32_e32 v7, 5, v6
	v_addc_co_u32_e32 v11, vcc, 0, v11, vcc
	v_add_co_u32_e32 v10, vcc, v5, v7
	v_addc_co_u32_e32 v11, vcc, 0, v11, vcc
	s_waitcnt vmcnt(2)
	v_mad_i64_i32 v[4:5], s[10:11], v4, s13, v[8:9]
	v_or_b32_e32 v13, 0x100, v12
	v_add_co_u32_e32 v4, vcc, v4, v13
	v_addc_co_u32_e32 v5, vcc, 0, v5, vcc
	v_add_co_u32_e32 v4, vcc, v4, v7
	v_addc_co_u32_e32 v5, vcc, 0, v5, vcc
	s_barrier
	global_load_dwordx4 v[34:37], v[10:11], off
	global_load_dwordx4 v[38:41], v[4:5], off
	s_waitcnt vmcnt(3)
	v_mad_i64_i32 v[4:5], s[10:11], v3, s13, v[8:9]
	v_add_co_u32_e32 v3, vcc, v4, v12
	v_addc_co_u32_e32 v5, vcc, 0, v5, vcc
	v_add_co_u32_e32 v4, vcc, v3, v7
	v_addc_co_u32_e32 v5, vcc, 0, v5, vcc
	s_waitcnt vmcnt(2)
	v_mad_i64_i32 v[2:3], s[10:11], v2, s13, v[8:9]
	v_add_co_u32_e32 v2, vcc, v2, v13
	v_addc_co_u32_e32 v3, vcc, 0, v3, vcc
	v_add_co_u32_e32 v2, vcc, v2, v7
	v_addc_co_u32_e32 v3, vcc, 0, v3, vcc
	global_load_dwordx4 v[30:33], v[4:5], off
	global_load_dwordx4 v[22:25], v[2:3], off
	v_lshlrev_b32_e32 v2, 9, v46
	ds_read_b128 v[26:29], v2
	ds_read_b128 v[18:21], v2 offset:16
	v_cmp_eq_u32_e32 vcc, 0, v50
	v_mov_b32_e32 v43, 0
	v_mov_b32_e32 v51, 0
	s_and_saveexec_b64 s[10:11], vcc
	s_cbranch_execz .LBB590_13
; %bb.12:
	s_load_dwordx2 s[14:15], s[4:5], 0x40
	s_ashr_i32 s9, s8, 31
	s_lshl_b64 s[16:17], s[8:9], 2
	s_waitcnt lgkmcnt(0)
	s_add_u32 s14, s14, s16
	s_addc_u32 s15, s15, s17
	s_load_dword s9, s[14:15], 0x0
	s_waitcnt lgkmcnt(0)
	v_mov_b32_e32 v51, s9
.LBB590_13:
	s_or_b64 exec, exec, s[10:11]
	s_ashr_i32 s9, s18, 31
	v_or_b32_e32 v8, s18, v6
	s_lshr_b32 s9, s9, 27
	v_add_u32_e32 v2, s9, v8
	v_ashrrev_i32_e32 v2, 5, v2
	v_mov_b32_e32 v9, s21
	v_cmp_gt_i32_e32 vcc, s27, v8
	v_cndmask_b32_e32 v2, v9, v2, vcc
	v_ashrrev_i32_e32 v3, 31, v2
	v_lshlrev_b64 v[2:3], 2, v[2:3]
	v_mov_b32_e32 v4, s20
	v_add_co_u32_e32 v2, vcc, s19, v2
	v_addc_co_u32_e32 v3, vcc, v4, v3, vcc
	v_or_b32_e32 v4, 64, v8
	v_add_u32_e32 v5, s9, v4
	v_ashrrev_i32_e32 v5, 5, v5
	v_cmp_gt_i32_e32 vcc, s27, v4
	v_cndmask_b32_e32 v4, v9, v5, vcc
	v_ashrrev_i32_e32 v5, 31, v4
	v_lshlrev_b64 v[4:5], 2, v[4:5]
	v_mov_b32_e32 v6, s20
	v_add_co_u32_e32 v4, vcc, s19, v4
	v_addc_co_u32_e32 v5, vcc, v6, v5, vcc
	v_or_b32_e32 v6, 0x80, v8
	v_add_u32_e32 v7, s9, v6
	v_ashrrev_i32_e32 v7, 5, v7
	v_cmp_gt_i32_e32 vcc, s27, v6
	v_cndmask_b32_e32 v6, v9, v7, vcc
	v_ashrrev_i32_e32 v7, 31, v6
	v_lshlrev_b64 v[6:7], 2, v[6:7]
	v_mov_b32_e32 v10, s20
	v_add_co_u32_e32 v6, vcc, s19, v6
	v_addc_co_u32_e32 v7, vcc, v10, v7, vcc
	global_load_dword v10, v[2:3], off
	global_load_dword v11, v[4:5], off
	;; [unrolled: 1-line block ×3, first 2 shown]
	v_or_b32_e32 v2, 0xc0, v8
	v_add_u32_e32 v3, s9, v2
	v_ashrrev_i32_e32 v3, 5, v3
	v_cmp_gt_i32_e32 vcc, s27, v2
	v_cndmask_b32_e32 v2, v9, v3, vcc
	v_ashrrev_i32_e32 v3, 31, v2
	v_lshlrev_b64 v[2:3], 2, v[2:3]
	v_mov_b32_e32 v4, s20
	v_add_co_u32_e32 v2, vcc, s19, v2
	v_addc_co_u32_e32 v3, vcc, v4, v3, vcc
	global_load_dword v13, v[2:3], off
	s_add_u32 s2, s2, s12
	v_and_b32_e32 v2, 16, v0
	s_addc_u32 s3, s3, 0
	v_lshlrev_b32_e32 v48, 5, v50
	v_mov_b32_e32 v4, s3
	v_add_co_u32_e32 v2, vcc, s2, v2
	v_lshl_or_b32 v3, v49, 9, v48
	v_addc_co_u32_e32 v4, vcc, 0, v4, vcc
	v_add_co_u32_e32 v2, vcc, v2, v3
	v_addc_co_u32_e32 v3, vcc, 0, v4, vcc
	s_movk_i32 s10, 0x80
	s_waitcnt vmcnt(3)
	v_mad_i64_i32 v[4:5], s[2:3], v10, s13, v[2:3]
	s_waitcnt vmcnt(2)
	v_mad_i64_i32 v[6:7], s[2:3], v11, s13, v[2:3]
	;; [unrolled: 2-line block ×4, first 2 shown]
	global_load_dwordx4 v[14:17], v[4:5], off
	global_load_dwordx4 v[10:13], v[6:7], off
	s_nop 0
	global_load_dwordx4 v[6:9], v[8:9], off
	s_nop 0
	global_load_dwordx4 v[2:5], v[2:3], off
	s_load_dwordx4 s[44:47], s[4:5], 0x80
	s_load_dwordx2 s[48:49], s[4:5], 0x94
	v_cmp_ne_u16_sdwa s[12:13], v34, v43 src0_sel:BYTE_0 src1_sel:DWORD
	s_waitcnt lgkmcnt(0)
	s_load_dword s9, s[44:45], 0x0
	s_and_saveexec_b64 s[2:3], s[12:13]
	s_cbranch_execz .LBB590_19
; %bb.14:
	v_cmp_ne_u16_sdwa s[12:13], v34, s10 src0_sel:BYTE_0 src1_sel:DWORD
	v_bfrev_b32_e32 v43, 1
	s_and_saveexec_b64 s[10:11], s[12:13]
	s_cbranch_execz .LBB590_18
; %bb.15:
	s_movk_i32 s12, 0x7f
	v_and_b32_e32 v42, 0x7f, v34
	v_cmp_ne_u32_e32 vcc, s12, v42
	v_mov_b32_e32 v43, 0x7f800001
	s_and_saveexec_b64 s[12:13], vcc
	s_cbranch_execz .LBB590_17
; %bb.16:
	v_and_b32_e32 v43, 7, v34
	v_ffbh_u32_e32 v44, v43
	v_min_u32_e32 v53, 32, v44
	v_subrev_u32_e32 v44, 28, v53
	v_lshlrev_b64 v[44:45], v44, v[34:35]
	v_lshrrev_b32_e32 v52, 3, v42
	v_sub_u32_e32 v45, 29, v53
	v_and_b32_e32 v44, 7, v44
	v_cmp_gt_u32_e32 vcc, 8, v42
	v_cndmask_b32_e32 v42, v52, v45, vcc
	v_cndmask_b32_e32 v43, v43, v44, vcc
	v_lshlrev_b32_e32 v44, 24, v34
	v_bfrev_b32_e32 v45, 60
	v_lshlrev_b32_e32 v43, 20, v43
	v_and_b32_e32 v44, 0x80000000, v44
	v_lshl_add_u32 v42, v42, 23, v45
	v_or3_b32 v43, v44, v42, v43
.LBB590_17:
	s_or_b64 exec, exec, s[12:13]
.LBB590_18:
	s_or_b64 exec, exec, s[10:11]
.LBB590_19:
	s_or_b64 exec, exec, s[2:3]
	v_lshrrev_b16_e32 v42, 8, v34
	v_cmp_ne_u16_e32 vcc, 0, v42
	v_mov_b32_e32 v44, 0
	v_mov_b32_e32 v45, 0
	s_and_saveexec_b64 s[2:3], vcc
	s_cbranch_execz .LBB590_25
; %bb.20:
	s_movk_i32 s10, 0x80
	v_cmp_ne_u16_e32 vcc, s10, v42
	v_bfrev_b32_e32 v45, 1
	s_and_saveexec_b64 s[10:11], vcc
	s_cbranch_execz .LBB590_24
; %bb.21:
	s_movk_i32 s12, 0x7f
	v_and_b32_e32 v52, 0x7f, v42
	v_cmp_ne_u32_e32 vcc, s12, v52
	v_mov_b32_e32 v45, 0x7f800001
	s_and_saveexec_b64 s[12:13], vcc
	s_cbranch_execz .LBB590_23
; %bb.22:
	v_and_b32_e32 v45, 7, v42
	v_ffbh_u32_e32 v54, v45
	v_min_u32_e32 v56, 32, v54
	v_subrev_u32_e32 v54, 28, v56
	v_lshlrev_b64 v[54:55], v54, v[42:43]
	v_lshrrev_b32_e32 v53, 3, v52
	v_sub_u32_e32 v42, 29, v56
	v_and_b32_e32 v54, 7, v54
	v_cmp_gt_u32_e32 vcc, 8, v52
	v_cndmask_b32_e32 v42, v53, v42, vcc
	v_cndmask_b32_e32 v45, v45, v54, vcc
	v_lshlrev_b32_e32 v52, 16, v34
	v_bfrev_b32_e32 v53, 60
	v_lshlrev_b32_e32 v45, 20, v45
	v_and_b32_e32 v52, 0x80000000, v52
	v_lshl_add_u32 v42, v42, 23, v53
	v_or3_b32 v45, v52, v42, v45
.LBB590_23:
	s_or_b64 exec, exec, s[12:13]
.LBB590_24:
	s_or_b64 exec, exec, s[10:11]
.LBB590_25:
	s_or_b64 exec, exec, s[2:3]
	s_movk_i32 s2, 0xff
	v_and_b32_sdwa v52, v34, s2 dst_sel:DWORD dst_unused:UNUSED_PAD src0_sel:WORD_1 src1_sel:DWORD
	v_lshrrev_b32_e32 v42, 16, v34
	v_cmp_ne_u16_e32 vcc, 0, v52
	s_and_saveexec_b64 s[2:3], vcc
	s_cbranch_execz .LBB590_31
; %bb.26:
	s_movk_i32 s10, 0x80
	v_cmp_ne_u16_e32 vcc, s10, v52
	v_bfrev_b32_e32 v44, 1
	s_and_saveexec_b64 s[10:11], vcc
	s_cbranch_execz .LBB590_30
; %bb.27:
	v_bfe_u32 v52, v34, 16, 7
	s_movk_i32 s12, 0x7f
	v_cmp_ne_u32_e32 vcc, s12, v52
	v_mov_b32_e32 v44, 0x7f800001
	s_and_saveexec_b64 s[12:13], vcc
	s_cbranch_execz .LBB590_29
; %bb.28:
	v_and_b32_e32 v44, 7, v42
	v_ffbh_u32_e32 v54, v44
	v_min_u32_e32 v56, 32, v54
	v_subrev_u32_e32 v54, 28, v56
	v_lshlrev_b64 v[54:55], v54, v[42:43]
	v_lshrrev_b32_e32 v53, 3, v52
	v_sub_u32_e32 v42, 29, v56
	v_and_b32_e32 v54, 7, v54
	v_cmp_gt_u32_e32 vcc, 8, v52
	v_mov_b32_e32 v52, 24
	v_cndmask_b32_e32 v42, v53, v42, vcc
	v_cndmask_b32_e32 v44, v44, v54, vcc
	v_lshlrev_b32_sdwa v52, v52, v34 dst_sel:DWORD dst_unused:UNUSED_PAD src0_sel:DWORD src1_sel:WORD_1
	v_bfrev_b32_e32 v53, 60
	v_lshlrev_b32_e32 v44, 20, v44
	v_and_b32_e32 v52, 0x80000000, v52
	v_lshl_add_u32 v42, v42, 23, v53
	v_or3_b32 v44, v52, v42, v44
.LBB590_29:
	s_or_b64 exec, exec, s[12:13]
.LBB590_30:
	s_or_b64 exec, exec, s[10:11]
.LBB590_31:
	s_or_b64 exec, exec, s[2:3]
	s_mov_b32 s2, 0xffffff
	v_cmp_lt_u32_e32 vcc, s2, v34
	v_mov_b32_e32 v53, 0
	v_mov_b32_e32 v54, 0
	s_and_saveexec_b64 s[2:3], vcc
	s_cbranch_execz .LBB590_37
; %bb.32:
	v_lshrrev_b32_e32 v42, 24, v34
	s_movk_i32 s10, 0x80
	v_cmp_ne_u32_e32 vcc, s10, v42
	v_bfrev_b32_e32 v54, 1
	s_and_saveexec_b64 s[10:11], vcc
	s_cbranch_execz .LBB590_36
; %bb.33:
	v_bfe_u32 v34, v34, 24, 7
	s_movk_i32 s12, 0x7f
	v_cmp_ne_u32_e32 vcc, s12, v34
	v_mov_b32_e32 v54, 0x7f800001
	s_and_saveexec_b64 s[12:13], vcc
	s_cbranch_execz .LBB590_35
; %bb.34:
	v_and_b32_e32 v52, 7, v42
	v_ffbh_u32_e32 v54, v52
	v_min_u32_e32 v57, 32, v54
	v_subrev_u32_e32 v54, 28, v57
	v_lshlrev_b64 v[54:55], v54, v[42:43]
	v_lshrrev_b32_e32 v56, 3, v34
	v_sub_u32_e32 v55, 29, v57
	v_and_b32_e32 v54, 7, v54
	v_cmp_gt_u32_e32 vcc, 8, v34
	v_cndmask_b32_e32 v34, v56, v55, vcc
	v_cndmask_b32_e32 v52, v52, v54, vcc
	v_lshlrev_b32_e32 v42, 24, v42
	v_bfrev_b32_e32 v54, 60
	v_lshlrev_b32_e32 v52, 20, v52
	v_and_b32_e32 v42, 0x80000000, v42
	v_lshl_add_u32 v34, v34, 23, v54
	v_or3_b32 v54, v42, v34, v52
.LBB590_35:
	s_or_b64 exec, exec, s[12:13]
.LBB590_36:
	s_or_b64 exec, exec, s[10:11]
.LBB590_37:
	s_or_b64 exec, exec, s[2:3]
	v_cmp_ne_u16_sdwa s[10:11], v35, v53 src0_sel:BYTE_0 src1_sel:DWORD
	s_and_saveexec_b64 s[2:3], s[10:11]
	s_cbranch_execz .LBB590_43
; %bb.38:
	s_movk_i32 s10, 0x80
	v_cmp_ne_u16_sdwa s[12:13], v35, s10 src0_sel:BYTE_0 src1_sel:DWORD
	v_bfrev_b32_e32 v53, 1
	s_and_saveexec_b64 s[10:11], s[12:13]
	s_cbranch_execz .LBB590_42
; %bb.39:
	s_movk_i32 s12, 0x7f
	v_and_b32_e32 v34, 0x7f, v35
	v_cmp_ne_u32_e32 vcc, s12, v34
	v_mov_b32_e32 v53, 0x7f800001
	s_and_saveexec_b64 s[12:13], vcc
	s_cbranch_execz .LBB590_41
; %bb.40:
	v_and_b32_e32 v55, 7, v35
	v_ffbh_u32_e32 v52, v55
	v_min_u32_e32 v57, 32, v52
	v_mov_b32_e32 v42, v35
	v_subrev_u32_e32 v52, 28, v57
	v_lshlrev_b64 v[52:53], v52, v[42:43]
	v_lshrrev_b32_e32 v56, 3, v34
	v_sub_u32_e32 v42, 29, v57
	v_and_b32_e32 v52, 7, v52
	v_cmp_gt_u32_e32 vcc, 8, v34
	v_cndmask_b32_e32 v34, v56, v42, vcc
	v_cndmask_b32_e32 v42, v55, v52, vcc
	v_lshlrev_b32_e32 v52, 24, v35
	v_bfrev_b32_e32 v53, 60
	v_lshlrev_b32_e32 v42, 20, v42
	v_and_b32_e32 v52, 0x80000000, v52
	v_lshl_add_u32 v34, v34, 23, v53
	v_or3_b32 v53, v52, v34, v42
.LBB590_41:
	s_or_b64 exec, exec, s[12:13]
.LBB590_42:
	s_or_b64 exec, exec, s[10:11]
.LBB590_43:
	s_or_b64 exec, exec, s[2:3]
	v_lshrrev_b16_e32 v34, 8, v35
	v_cmp_ne_u16_e32 vcc, 0, v34
	v_mov_b32_e32 v42, 0
	v_mov_b32_e32 v55, 0
	s_and_saveexec_b64 s[2:3], vcc
	s_cbranch_execz .LBB590_49
; %bb.44:
	s_movk_i32 s10, 0x80
	v_cmp_ne_u16_e32 vcc, s10, v34
	v_bfrev_b32_e32 v55, 1
	s_and_saveexec_b64 s[10:11], vcc
	s_cbranch_execz .LBB590_48
; %bb.45:
	s_movk_i32 s12, 0x7f
	v_and_b32_e32 v52, 0x7f, v34
	v_cmp_ne_u32_e32 vcc, s12, v52
	v_mov_b32_e32 v55, 0x7f800001
	s_and_saveexec_b64 s[12:13], vcc
	s_cbranch_execz .LBB590_47
; %bb.46:
	v_and_b32_e32 v55, 7, v34
	v_ffbh_u32_e32 v56, v55
	v_min_u32_e32 v59, 32, v56
	v_subrev_u32_e32 v56, 28, v59
	v_lshlrev_b64 v[56:57], v56, v[34:35]
	v_lshrrev_b32_e32 v58, 3, v52
	v_sub_u32_e32 v34, 29, v59
	v_and_b32_e32 v56, 7, v56
	v_cmp_gt_u32_e32 vcc, 8, v52
	v_cndmask_b32_e32 v34, v58, v34, vcc
	v_cndmask_b32_e32 v52, v55, v56, vcc
	v_lshlrev_b32_e32 v55, 16, v35
	v_bfrev_b32_e32 v56, 60
	v_lshlrev_b32_e32 v52, 20, v52
	v_and_b32_e32 v55, 0x80000000, v55
	v_lshl_add_u32 v34, v34, 23, v56
	v_or3_b32 v55, v55, v34, v52
.LBB590_47:
	s_or_b64 exec, exec, s[12:13]
.LBB590_48:
	s_or_b64 exec, exec, s[10:11]
.LBB590_49:
	s_or_b64 exec, exec, s[2:3]
	s_movk_i32 s2, 0xff
	v_and_b32_sdwa v52, v35, s2 dst_sel:DWORD dst_unused:UNUSED_PAD src0_sel:WORD_1 src1_sel:DWORD
	v_lshrrev_b32_e32 v34, 16, v35
	v_cmp_ne_u16_e32 vcc, 0, v52
	s_and_saveexec_b64 s[2:3], vcc
	s_cbranch_execz .LBB590_55
; %bb.50:
	s_movk_i32 s10, 0x80
	v_cmp_ne_u16_e32 vcc, s10, v52
	v_bfrev_b32_e32 v42, 1
	s_and_saveexec_b64 s[10:11], vcc
	s_cbranch_execz .LBB590_54
; %bb.51:
	v_bfe_u32 v52, v35, 16, 7
	s_movk_i32 s12, 0x7f
	v_cmp_ne_u32_e32 vcc, s12, v52
	v_mov_b32_e32 v42, 0x7f800001
	s_and_saveexec_b64 s[12:13], vcc
	s_cbranch_execz .LBB590_53
; %bb.52:
	v_and_b32_e32 v42, 7, v34
	v_ffbh_u32_e32 v56, v42
	v_min_u32_e32 v59, 32, v56
	v_subrev_u32_e32 v56, 28, v59
	v_lshlrev_b64 v[56:57], v56, v[34:35]
	v_lshrrev_b32_e32 v58, 3, v52
	v_sub_u32_e32 v34, 29, v59
	v_and_b32_e32 v56, 7, v56
	v_cmp_gt_u32_e32 vcc, 8, v52
	v_mov_b32_e32 v52, 24
	v_cndmask_b32_e32 v34, v58, v34, vcc
	v_cndmask_b32_e32 v42, v42, v56, vcc
	v_lshlrev_b32_sdwa v52, v52, v35 dst_sel:DWORD dst_unused:UNUSED_PAD src0_sel:DWORD src1_sel:WORD_1
	v_bfrev_b32_e32 v56, 60
	v_lshlrev_b32_e32 v42, 20, v42
	v_and_b32_e32 v52, 0x80000000, v52
	v_lshl_add_u32 v34, v34, 23, v56
	v_or3_b32 v42, v52, v34, v42
.LBB590_53:
	s_or_b64 exec, exec, s[12:13]
.LBB590_54:
	s_or_b64 exec, exec, s[10:11]
.LBB590_55:
	s_or_b64 exec, exec, s[2:3]
	s_mov_b32 s2, 0xffffff
	v_cmp_lt_u32_e32 vcc, s2, v35
	v_mov_b32_e32 v52, 0
	v_mov_b32_e32 v56, 0
	s_and_saveexec_b64 s[2:3], vcc
	s_cbranch_execz .LBB590_61
; %bb.56:
	v_lshrrev_b32_e32 v34, 24, v35
	s_movk_i32 s10, 0x80
	v_cmp_ne_u32_e32 vcc, s10, v34
	v_bfrev_b32_e32 v56, 1
	s_and_saveexec_b64 s[10:11], vcc
	s_cbranch_execz .LBB590_60
; %bb.57:
	v_bfe_u32 v35, v35, 24, 7
	s_movk_i32 s12, 0x7f
	v_cmp_ne_u32_e32 vcc, s12, v35
	v_mov_b32_e32 v56, 0x7f800001
	s_and_saveexec_b64 s[12:13], vcc
	s_cbranch_execz .LBB590_59
; %bb.58:
	v_and_b32_e32 v58, 7, v34
	v_ffbh_u32_e32 v56, v58
	v_min_u32_e32 v60, 32, v56
	v_subrev_u32_e32 v56, 28, v60
	v_lshlrev_b64 v[56:57], v56, v[34:35]
	v_lshrrev_b32_e32 v59, 3, v35
	v_sub_u32_e32 v57, 29, v60
	v_and_b32_e32 v56, 7, v56
	v_cmp_gt_u32_e32 vcc, 8, v35
	v_cndmask_b32_e32 v35, v59, v57, vcc
	v_cndmask_b32_e32 v56, v58, v56, vcc
	v_lshlrev_b32_e32 v34, 24, v34
	v_bfrev_b32_e32 v57, 60
	v_lshlrev_b32_e32 v56, 20, v56
	v_and_b32_e32 v34, 0x80000000, v34
	v_lshl_add_u32 v35, v35, 23, v57
	v_or3_b32 v56, v34, v35, v56
.LBB590_59:
	s_or_b64 exec, exec, s[12:13]
.LBB590_60:
	s_or_b64 exec, exec, s[10:11]
.LBB590_61:
	s_or_b64 exec, exec, s[2:3]
	v_cvt_pkrtz_f16_f32 v34, v43, v45
	v_cvt_pkrtz_f16_f32 v35, v44, v54
	v_cmp_ne_u16_sdwa s[10:11], v36, v52 src0_sel:BYTE_0 src1_sel:DWORD
	s_nop 0
	v_mfma_f32_16x16x16f16 v[58:61], v[34:35], v[26:27], 0
	v_cvt_pkrtz_f16_f32 v34, v53, v55
	v_cvt_pkrtz_f16_f32 v35, v42, v56
	s_nop 1
	v_mfma_f32_16x16x16f16 v[42:45], v[34:35], v[28:29], v[58:61]
	s_and_saveexec_b64 s[2:3], s[10:11]
	s_cbranch_execz .LBB590_67
; %bb.62:
	s_movk_i32 s10, 0x80
	v_cmp_ne_u16_sdwa s[12:13], v36, s10 src0_sel:BYTE_0 src1_sel:DWORD
	v_bfrev_b32_e32 v52, 1
	s_and_saveexec_b64 s[10:11], s[12:13]
	s_cbranch_execz .LBB590_66
; %bb.63:
	s_movk_i32 s12, 0x7f
	v_and_b32_e32 v34, 0x7f, v36
	v_cmp_ne_u32_e32 vcc, s12, v34
	v_mov_b32_e32 v52, 0x7f800001
	s_and_saveexec_b64 s[12:13], vcc
	s_cbranch_execz .LBB590_65
; %bb.64:
	v_and_b32_e32 v35, 7, v36
	v_ffbh_u32_e32 v52, v35
	v_min_u32_e32 v55, 32, v52
	v_subrev_u32_e32 v52, 28, v55
	v_lshlrev_b64 v[52:53], v52, v[36:37]
	v_lshrrev_b32_e32 v54, 3, v34
	v_sub_u32_e32 v53, 29, v55
	v_and_b32_e32 v52, 7, v52
	v_cmp_gt_u32_e32 vcc, 8, v34
	v_cndmask_b32_e32 v34, v54, v53, vcc
	v_cndmask_b32_e32 v35, v35, v52, vcc
	v_lshlrev_b32_e32 v52, 24, v36
	v_bfrev_b32_e32 v53, 60
	v_lshlrev_b32_e32 v35, 20, v35
	v_and_b32_e32 v52, 0x80000000, v52
	v_lshl_add_u32 v34, v34, 23, v53
	v_or3_b32 v52, v52, v34, v35
.LBB590_65:
	s_or_b64 exec, exec, s[12:13]
.LBB590_66:
	s_or_b64 exec, exec, s[10:11]
.LBB590_67:
	s_or_b64 exec, exec, s[2:3]
	v_lshrrev_b16_e32 v34, 8, v36
	v_cmp_ne_u16_e32 vcc, 0, v34
	v_mov_b32_e32 v35, 0
	v_mov_b32_e32 v54, 0
	s_and_saveexec_b64 s[2:3], vcc
	s_cbranch_execz .LBB590_73
; %bb.68:
	s_movk_i32 s10, 0x80
	v_cmp_ne_u16_e32 vcc, s10, v34
	v_bfrev_b32_e32 v54, 1
	s_and_saveexec_b64 s[10:11], vcc
	s_cbranch_execz .LBB590_72
; %bb.69:
	s_movk_i32 s12, 0x7f
	v_and_b32_e32 v53, 0x7f, v34
	v_cmp_ne_u32_e32 vcc, s12, v53
	v_mov_b32_e32 v54, 0x7f800001
	s_and_saveexec_b64 s[12:13], vcc
	s_cbranch_execz .LBB590_71
; %bb.70:
	v_and_b32_e32 v56, 7, v34
	v_ffbh_u32_e32 v54, v56
	v_min_u32_e32 v58, 32, v54
	v_subrev_u32_e32 v54, 28, v58
	v_lshlrev_b64 v[54:55], v54, v[34:35]
	v_lshrrev_b32_e32 v57, 3, v53
	v_sub_u32_e32 v34, 29, v58
	v_and_b32_e32 v54, 7, v54
	v_cmp_gt_u32_e32 vcc, 8, v53
	v_cndmask_b32_e32 v34, v57, v34, vcc
	v_cndmask_b32_e32 v53, v56, v54, vcc
	v_lshlrev_b32_e32 v54, 16, v36
	v_bfrev_b32_e32 v55, 60
	v_lshlrev_b32_e32 v53, 20, v53
	v_and_b32_e32 v54, 0x80000000, v54
	v_lshl_add_u32 v34, v34, 23, v55
	v_or3_b32 v54, v54, v34, v53
.LBB590_71:
	s_or_b64 exec, exec, s[12:13]
.LBB590_72:
	s_or_b64 exec, exec, s[10:11]
.LBB590_73:
	s_or_b64 exec, exec, s[2:3]
	s_movk_i32 s2, 0xff
	v_and_b32_sdwa v53, v36, s2 dst_sel:DWORD dst_unused:UNUSED_PAD src0_sel:WORD_1 src1_sel:DWORD
	v_lshrrev_b32_e32 v34, 16, v36
	v_cmp_ne_u16_e32 vcc, 0, v53
	s_and_saveexec_b64 s[2:3], vcc
	s_cbranch_execz .LBB590_79
; %bb.74:
	s_movk_i32 s10, 0x80
	v_cmp_ne_u16_e32 vcc, s10, v53
	v_bfrev_b32_e32 v35, 1
	s_and_saveexec_b64 s[10:11], vcc
	s_cbranch_execz .LBB590_78
; %bb.75:
	v_bfe_u32 v53, v36, 16, 7
	s_movk_i32 s12, 0x7f
	v_cmp_ne_u32_e32 vcc, s12, v53
	v_mov_b32_e32 v35, 0x7f800001
	s_and_saveexec_b64 s[12:13], vcc
	s_cbranch_execz .LBB590_77
; %bb.76:
	v_and_b32_e32 v55, 7, v34
	v_ffbh_u32_e32 v35, v55
	v_min_u32_e32 v57, 32, v35
	v_subrev_u32_e32 v35, 28, v57
	v_lshlrev_b64 v[34:35], v35, v[34:35]
	v_lshrrev_b32_e32 v56, 3, v53
	v_sub_u32_e32 v35, 29, v57
	v_and_b32_e32 v34, 7, v34
	v_cmp_gt_u32_e32 vcc, 8, v53
	v_mov_b32_e32 v53, 24
	v_cndmask_b32_e32 v35, v56, v35, vcc
	v_cndmask_b32_e32 v34, v55, v34, vcc
	v_lshlrev_b32_sdwa v53, v53, v36 dst_sel:DWORD dst_unused:UNUSED_PAD src0_sel:DWORD src1_sel:WORD_1
	v_bfrev_b32_e32 v55, 60
	v_lshlrev_b32_e32 v34, 20, v34
	v_and_b32_e32 v53, 0x80000000, v53
	v_lshl_add_u32 v35, v35, 23, v55
	v_or3_b32 v35, v53, v35, v34
.LBB590_77:
	s_or_b64 exec, exec, s[12:13]
.LBB590_78:
	s_or_b64 exec, exec, s[10:11]
.LBB590_79:
	s_or_b64 exec, exec, s[2:3]
	s_mov_b32 s2, 0xffffff
	v_cmp_lt_u32_e32 vcc, s2, v36
	v_mov_b32_e32 v55, 0
	v_mov_b32_e32 v56, 0
	s_and_saveexec_b64 s[2:3], vcc
	s_cbranch_execz .LBB590_85
; %bb.80:
	v_lshrrev_b32_e32 v34, 24, v36
	s_movk_i32 s10, 0x80
	v_cmp_ne_u32_e32 vcc, s10, v34
	v_bfrev_b32_e32 v56, 1
	s_and_saveexec_b64 s[10:11], vcc
	s_cbranch_execz .LBB590_84
; %bb.81:
	v_bfe_u32 v36, v36, 24, 7
	s_movk_i32 s12, 0x7f
	v_cmp_ne_u32_e32 vcc, s12, v36
	v_mov_b32_e32 v56, 0x7f800001
	s_and_saveexec_b64 s[12:13], vcc
	s_cbranch_execz .LBB590_83
; %bb.82:
	v_and_b32_e32 v53, 7, v34
	v_ffbh_u32_e32 v56, v53
	v_min_u32_e32 v59, 32, v56
	v_subrev_u32_e32 v56, 28, v59
	v_lshlrev_b64 v[56:57], v56, v[34:35]
	v_lshrrev_b32_e32 v58, 3, v36
	v_sub_u32_e32 v57, 29, v59
	v_and_b32_e32 v56, 7, v56
	v_cmp_gt_u32_e32 vcc, 8, v36
	v_cndmask_b32_e32 v36, v58, v57, vcc
	v_cndmask_b32_e32 v53, v53, v56, vcc
	v_lshlrev_b32_e32 v34, 24, v34
	v_bfrev_b32_e32 v56, 60
	v_lshlrev_b32_e32 v53, 20, v53
	v_and_b32_e32 v34, 0x80000000, v34
	v_lshl_add_u32 v36, v36, 23, v56
	v_or3_b32 v56, v34, v36, v53
.LBB590_83:
	s_or_b64 exec, exec, s[12:13]
.LBB590_84:
	s_or_b64 exec, exec, s[10:11]
.LBB590_85:
	s_or_b64 exec, exec, s[2:3]
	v_cmp_ne_u16_sdwa s[10:11], v37, v55 src0_sel:BYTE_0 src1_sel:DWORD
	s_and_saveexec_b64 s[2:3], s[10:11]
	s_cbranch_execz .LBB590_91
; %bb.86:
	s_movk_i32 s10, 0x80
	v_cmp_ne_u16_sdwa s[12:13], v37, s10 src0_sel:BYTE_0 src1_sel:DWORD
	v_bfrev_b32_e32 v55, 1
	s_and_saveexec_b64 s[10:11], s[12:13]
	s_cbranch_execz .LBB590_90
; %bb.87:
	s_movk_i32 s12, 0x7f
	v_and_b32_e32 v34, 0x7f, v37
	v_cmp_ne_u32_e32 vcc, s12, v34
	v_mov_b32_e32 v55, 0x7f800001
	s_and_saveexec_b64 s[12:13], vcc
	s_cbranch_execz .LBB590_89
; %bb.88:
	v_and_b32_e32 v53, 7, v37
	v_ffbh_u32_e32 v57, v53
	v_min_u32_e32 v57, 32, v57
	v_mov_b32_e32 v36, v37
	v_subrev_u32_e32 v58, 28, v57
	v_lshlrev_b64 v[58:59], v58, v[36:37]
	v_lshrrev_b32_e32 v55, 3, v34
	v_sub_u32_e32 v36, 29, v57
	v_and_b32_e32 v57, 7, v58
	v_cmp_gt_u32_e32 vcc, 8, v34
	v_cndmask_b32_e32 v34, v55, v36, vcc
	v_cndmask_b32_e32 v36, v53, v57, vcc
	v_lshlrev_b32_e32 v53, 24, v37
	v_bfrev_b32_e32 v55, 60
	v_lshlrev_b32_e32 v36, 20, v36
	v_and_b32_e32 v53, 0x80000000, v53
	v_lshl_add_u32 v34, v34, 23, v55
	v_or3_b32 v55, v53, v34, v36
.LBB590_89:
	s_or_b64 exec, exec, s[12:13]
.LBB590_90:
	s_or_b64 exec, exec, s[10:11]
.LBB590_91:
	s_or_b64 exec, exec, s[2:3]
	v_lshrrev_b16_e32 v34, 8, v37
	v_cmp_ne_u16_e32 vcc, 0, v34
	v_mov_b32_e32 v36, 0
	v_mov_b32_e32 v57, 0
	s_and_saveexec_b64 s[2:3], vcc
	s_cbranch_execz .LBB590_97
; %bb.92:
	s_movk_i32 s10, 0x80
	v_cmp_ne_u16_e32 vcc, s10, v34
	v_bfrev_b32_e32 v57, 1
	s_and_saveexec_b64 s[10:11], vcc
	s_cbranch_execz .LBB590_96
; %bb.93:
	s_movk_i32 s12, 0x7f
	v_and_b32_e32 v53, 0x7f, v34
	v_cmp_ne_u32_e32 vcc, s12, v53
	v_mov_b32_e32 v57, 0x7f800001
	s_and_saveexec_b64 s[12:13], vcc
	s_cbranch_execz .LBB590_95
; %bb.94:
	v_and_b32_e32 v57, 7, v34
	v_ffbh_u32_e32 v58, v57
	v_min_u32_e32 v61, 32, v58
	v_subrev_u32_e32 v58, 28, v61
	v_lshlrev_b64 v[58:59], v58, v[34:35]
	v_lshrrev_b32_e32 v60, 3, v53
	v_sub_u32_e32 v34, 29, v61
	v_and_b32_e32 v58, 7, v58
	v_cmp_gt_u32_e32 vcc, 8, v53
	v_cndmask_b32_e32 v34, v60, v34, vcc
	v_cndmask_b32_e32 v53, v57, v58, vcc
	v_lshlrev_b32_e32 v57, 16, v37
	v_bfrev_b32_e32 v58, 60
	v_lshlrev_b32_e32 v53, 20, v53
	v_and_b32_e32 v57, 0x80000000, v57
	v_lshl_add_u32 v34, v34, 23, v58
	v_or3_b32 v57, v57, v34, v53
.LBB590_95:
	s_or_b64 exec, exec, s[12:13]
.LBB590_96:
	s_or_b64 exec, exec, s[10:11]
.LBB590_97:
	s_or_b64 exec, exec, s[2:3]
	s_movk_i32 s2, 0xff
	v_and_b32_sdwa v53, v37, s2 dst_sel:DWORD dst_unused:UNUSED_PAD src0_sel:WORD_1 src1_sel:DWORD
	v_lshrrev_b32_e32 v34, 16, v37
	v_cmp_ne_u16_e32 vcc, 0, v53
	s_and_saveexec_b64 s[2:3], vcc
	s_cbranch_execz .LBB590_103
; %bb.98:
	s_movk_i32 s10, 0x80
	v_cmp_ne_u16_e32 vcc, s10, v53
	v_bfrev_b32_e32 v36, 1
	s_and_saveexec_b64 s[10:11], vcc
	s_cbranch_execz .LBB590_102
; %bb.99:
	v_bfe_u32 v53, v37, 16, 7
	s_movk_i32 s12, 0x7f
	v_cmp_ne_u32_e32 vcc, s12, v53
	v_mov_b32_e32 v36, 0x7f800001
	s_and_saveexec_b64 s[12:13], vcc
	s_cbranch_execz .LBB590_101
; %bb.100:
	v_and_b32_e32 v36, 7, v34
	v_ffbh_u32_e32 v58, v36
	v_min_u32_e32 v61, 32, v58
	v_subrev_u32_e32 v58, 28, v61
	v_lshlrev_b64 v[58:59], v58, v[34:35]
	v_lshrrev_b32_e32 v60, 3, v53
	v_sub_u32_e32 v34, 29, v61
	v_and_b32_e32 v58, 7, v58
	v_cmp_gt_u32_e32 vcc, 8, v53
	v_mov_b32_e32 v53, 24
	v_cndmask_b32_e32 v34, v60, v34, vcc
	v_cndmask_b32_e32 v36, v36, v58, vcc
	v_lshlrev_b32_sdwa v53, v53, v37 dst_sel:DWORD dst_unused:UNUSED_PAD src0_sel:DWORD src1_sel:WORD_1
	v_bfrev_b32_e32 v58, 60
	v_lshlrev_b32_e32 v36, 20, v36
	v_and_b32_e32 v53, 0x80000000, v53
	v_lshl_add_u32 v34, v34, 23, v58
	v_or3_b32 v36, v53, v34, v36
.LBB590_101:
	s_or_b64 exec, exec, s[12:13]
.LBB590_102:
	s_or_b64 exec, exec, s[10:11]
.LBB590_103:
	s_or_b64 exec, exec, s[2:3]
	s_mov_b32 s2, 0xffffff
	v_cmp_lt_u32_e32 vcc, s2, v37
	v_mov_b32_e32 v53, 0
	v_mov_b32_e32 v58, 0
	s_and_saveexec_b64 s[2:3], vcc
	s_cbranch_execz .LBB590_109
; %bb.104:
	v_lshrrev_b32_e32 v34, 24, v37
	s_movk_i32 s10, 0x80
	v_cmp_ne_u32_e32 vcc, s10, v34
	v_bfrev_b32_e32 v58, 1
	s_and_saveexec_b64 s[10:11], vcc
	s_cbranch_execz .LBB590_108
; %bb.105:
	v_bfe_u32 v37, v37, 24, 7
	s_movk_i32 s12, 0x7f
	v_cmp_ne_u32_e32 vcc, s12, v37
	v_mov_b32_e32 v58, 0x7f800001
	s_and_saveexec_b64 s[12:13], vcc
	s_cbranch_execz .LBB590_107
; %bb.106:
	v_and_b32_e32 v60, 7, v34
	v_ffbh_u32_e32 v58, v60
	v_min_u32_e32 v62, 32, v58
	v_subrev_u32_e32 v58, 28, v62
	v_lshlrev_b64 v[58:59], v58, v[34:35]
	v_lshrrev_b32_e32 v61, 3, v37
	v_sub_u32_e32 v59, 29, v62
	v_and_b32_e32 v58, 7, v58
	v_cmp_gt_u32_e32 vcc, 8, v37
	v_cndmask_b32_e32 v37, v61, v59, vcc
	v_cndmask_b32_e32 v58, v60, v58, vcc
	v_lshlrev_b32_e32 v34, 24, v34
	v_bfrev_b32_e32 v59, 60
	v_lshlrev_b32_e32 v58, 20, v58
	v_and_b32_e32 v34, 0x80000000, v34
	v_lshl_add_u32 v37, v37, 23, v59
	v_or3_b32 v58, v34, v37, v58
.LBB590_107:
	s_or_b64 exec, exec, s[12:13]
.LBB590_108:
	s_or_b64 exec, exec, s[10:11]
.LBB590_109:
	s_or_b64 exec, exec, s[2:3]
	v_cvt_pkrtz_f16_f32 v34, v52, v54
	v_cvt_pkrtz_f16_f32 v35, v35, v56
	v_cmp_ne_u16_sdwa s[10:11], v38, v53 src0_sel:BYTE_0 src1_sel:DWORD
	s_nop 0
	v_mfma_f32_16x16x16f16 v[42:45], v[34:35], v[18:19], v[42:45]
	v_cvt_pkrtz_f16_f32 v34, v55, v57
	v_cvt_pkrtz_f16_f32 v35, v36, v58
	s_nop 1
	v_mfma_f32_16x16x16f16 v[34:37], v[34:35], v[20:21], v[42:45]
	s_and_saveexec_b64 s[2:3], s[10:11]
	s_cbranch_execz .LBB590_115
; %bb.110:
	s_movk_i32 s10, 0x80
	v_cmp_ne_u16_sdwa s[12:13], v38, s10 src0_sel:BYTE_0 src1_sel:DWORD
	v_bfrev_b32_e32 v53, 1
	s_and_saveexec_b64 s[10:11], s[12:13]
	s_cbranch_execz .LBB590_114
; %bb.111:
	s_movk_i32 s12, 0x7f
	v_and_b32_e32 v42, 0x7f, v38
	v_cmp_ne_u32_e32 vcc, s12, v42
	v_mov_b32_e32 v53, 0x7f800001
	s_and_saveexec_b64 s[12:13], vcc
	s_cbranch_execz .LBB590_113
; %bb.112:
	v_and_b32_e32 v43, 7, v38
	v_ffbh_u32_e32 v44, v43
	v_min_u32_e32 v53, 32, v44
	v_subrev_u32_e32 v44, 28, v53
	v_lshlrev_b64 v[44:45], v44, v[38:39]
	v_lshrrev_b32_e32 v52, 3, v42
	v_sub_u32_e32 v45, 29, v53
	v_and_b32_e32 v44, 7, v44
	v_cmp_gt_u32_e32 vcc, 8, v42
	v_cndmask_b32_e32 v42, v52, v45, vcc
	v_cndmask_b32_e32 v43, v43, v44, vcc
	v_lshlrev_b32_e32 v44, 24, v38
	v_bfrev_b32_e32 v45, 60
	v_lshlrev_b32_e32 v43, 20, v43
	v_and_b32_e32 v44, 0x80000000, v44
	v_lshl_add_u32 v42, v42, 23, v45
	v_or3_b32 v53, v44, v42, v43
.LBB590_113:
	s_or_b64 exec, exec, s[12:13]
.LBB590_114:
	s_or_b64 exec, exec, s[10:11]
.LBB590_115:
	s_or_b64 exec, exec, s[2:3]
	s_nop 3
	v_lshrrev_b16_e32 v42, 8, v38
	v_cmp_ne_u16_e32 vcc, 0, v42
	v_mov_b32_e32 v43, 0
	v_mov_b32_e32 v44, 0
	s_and_saveexec_b64 s[2:3], vcc
	s_cbranch_execz .LBB590_121
; %bb.116:
	s_movk_i32 s10, 0x80
	v_cmp_ne_u16_e32 vcc, s10, v42
	v_bfrev_b32_e32 v44, 1
	s_and_saveexec_b64 s[10:11], vcc
	s_cbranch_execz .LBB590_120
; %bb.117:
	s_movk_i32 s12, 0x7f
	v_and_b32_e32 v45, 0x7f, v42
	v_cmp_ne_u32_e32 vcc, s12, v45
	v_mov_b32_e32 v44, 0x7f800001
	s_and_saveexec_b64 s[12:13], vcc
	s_cbranch_execz .LBB590_119
; %bb.118:
	v_and_b32_e32 v44, 7, v42
	v_ffbh_u32_e32 v54, v44
	v_min_u32_e32 v56, 32, v54
	v_subrev_u32_e32 v54, 28, v56
	v_lshlrev_b64 v[54:55], v54, v[42:43]
	v_lshrrev_b32_e32 v52, 3, v45
	v_sub_u32_e32 v42, 29, v56
	v_and_b32_e32 v54, 7, v54
	v_cmp_gt_u32_e32 vcc, 8, v45
	v_cndmask_b32_e32 v42, v52, v42, vcc
	v_cndmask_b32_e32 v44, v44, v54, vcc
	v_lshlrev_b32_e32 v45, 16, v38
	v_bfrev_b32_e32 v52, 60
	v_lshlrev_b32_e32 v44, 20, v44
	v_and_b32_e32 v45, 0x80000000, v45
	v_lshl_add_u32 v42, v42, 23, v52
	v_or3_b32 v44, v45, v42, v44
.LBB590_119:
	s_or_b64 exec, exec, s[12:13]
.LBB590_120:
	s_or_b64 exec, exec, s[10:11]
.LBB590_121:
	s_or_b64 exec, exec, s[2:3]
	s_movk_i32 s2, 0xff
	v_and_b32_sdwa v45, v38, s2 dst_sel:DWORD dst_unused:UNUSED_PAD src0_sel:WORD_1 src1_sel:DWORD
	v_lshrrev_b32_e32 v42, 16, v38
	v_cmp_ne_u16_e32 vcc, 0, v45
	s_and_saveexec_b64 s[2:3], vcc
	s_cbranch_execz .LBB590_127
; %bb.122:
	s_movk_i32 s10, 0x80
	v_cmp_ne_u16_e32 vcc, s10, v45
	v_bfrev_b32_e32 v43, 1
	s_and_saveexec_b64 s[10:11], vcc
	s_cbranch_execz .LBB590_126
; %bb.123:
	v_bfe_u32 v45, v38, 16, 7
	s_movk_i32 s12, 0x7f
	v_cmp_ne_u32_e32 vcc, s12, v45
	v_mov_b32_e32 v43, 0x7f800001
	s_and_saveexec_b64 s[12:13], vcc
	s_cbranch_execz .LBB590_125
; %bb.124:
	v_and_b32_e32 v52, 7, v42
	v_ffbh_u32_e32 v43, v52
	v_min_u32_e32 v55, 32, v43
	v_subrev_u32_e32 v43, 28, v55
	v_lshlrev_b64 v[42:43], v43, v[42:43]
	v_lshrrev_b32_e32 v54, 3, v45
	v_sub_u32_e32 v43, 29, v55
	v_and_b32_e32 v42, 7, v42
	v_cmp_gt_u32_e32 vcc, 8, v45
	v_mov_b32_e32 v45, 24
	v_cndmask_b32_e32 v43, v54, v43, vcc
	v_cndmask_b32_e32 v42, v52, v42, vcc
	v_lshlrev_b32_sdwa v45, v45, v38 dst_sel:DWORD dst_unused:UNUSED_PAD src0_sel:DWORD src1_sel:WORD_1
	v_bfrev_b32_e32 v52, 60
	v_lshlrev_b32_e32 v42, 20, v42
	v_and_b32_e32 v45, 0x80000000, v45
	v_lshl_add_u32 v43, v43, 23, v52
	v_or3_b32 v43, v45, v43, v42
.LBB590_125:
	s_or_b64 exec, exec, s[12:13]
.LBB590_126:
	s_or_b64 exec, exec, s[10:11]
.LBB590_127:
	s_or_b64 exec, exec, s[2:3]
	s_mov_b32 s2, 0xffffff
	v_cmp_lt_u32_e32 vcc, s2, v38
	v_mov_b32_e32 v45, 0
	v_mov_b32_e32 v54, 0
	s_and_saveexec_b64 s[2:3], vcc
	s_cbranch_execz .LBB590_133
; %bb.128:
	v_lshrrev_b32_e32 v42, 24, v38
	s_movk_i32 s10, 0x80
	v_cmp_ne_u32_e32 vcc, s10, v42
	v_bfrev_b32_e32 v54, 1
	s_and_saveexec_b64 s[10:11], vcc
	s_cbranch_execz .LBB590_132
; %bb.129:
	v_bfe_u32 v38, v38, 24, 7
	s_movk_i32 s12, 0x7f
	v_cmp_ne_u32_e32 vcc, s12, v38
	v_mov_b32_e32 v54, 0x7f800001
	s_and_saveexec_b64 s[12:13], vcc
	s_cbranch_execz .LBB590_131
; %bb.130:
	v_and_b32_e32 v52, 7, v42
	v_ffbh_u32_e32 v54, v52
	v_min_u32_e32 v57, 32, v54
	v_subrev_u32_e32 v54, 28, v57
	v_lshlrev_b64 v[54:55], v54, v[42:43]
	v_lshrrev_b32_e32 v56, 3, v38
	v_sub_u32_e32 v55, 29, v57
	v_and_b32_e32 v54, 7, v54
	v_cmp_gt_u32_e32 vcc, 8, v38
	v_cndmask_b32_e32 v38, v56, v55, vcc
	v_cndmask_b32_e32 v52, v52, v54, vcc
	v_lshlrev_b32_e32 v42, 24, v42
	v_bfrev_b32_e32 v54, 60
	v_lshlrev_b32_e32 v52, 20, v52
	v_and_b32_e32 v42, 0x80000000, v42
	v_lshl_add_u32 v38, v38, 23, v54
	v_or3_b32 v54, v42, v38, v52
.LBB590_131:
	s_or_b64 exec, exec, s[12:13]
.LBB590_132:
	s_or_b64 exec, exec, s[10:11]
.LBB590_133:
	s_or_b64 exec, exec, s[2:3]
	v_cmp_ne_u16_sdwa s[10:11], v39, v45 src0_sel:BYTE_0 src1_sel:DWORD
	s_and_saveexec_b64 s[2:3], s[10:11]
	s_cbranch_execz .LBB590_139
; %bb.134:
	s_movk_i32 s10, 0x80
	v_cmp_ne_u16_sdwa s[12:13], v39, s10 src0_sel:BYTE_0 src1_sel:DWORD
	v_bfrev_b32_e32 v45, 1
	s_and_saveexec_b64 s[10:11], s[12:13]
	s_cbranch_execz .LBB590_138
; %bb.135:
	s_movk_i32 s12, 0x7f
	v_and_b32_e32 v38, 0x7f, v39
	v_cmp_ne_u32_e32 vcc, s12, v38
	v_mov_b32_e32 v45, 0x7f800001
	s_and_saveexec_b64 s[12:13], vcc
	s_cbranch_execz .LBB590_137
; %bb.136:
	v_and_b32_e32 v45, 7, v39
	v_ffbh_u32_e32 v55, v45
	v_min_u32_e32 v55, 32, v55
	v_mov_b32_e32 v42, v39
	v_subrev_u32_e32 v56, 28, v55
	v_lshlrev_b64 v[56:57], v56, v[42:43]
	v_lshrrev_b32_e32 v52, 3, v38
	v_sub_u32_e32 v42, 29, v55
	v_and_b32_e32 v55, 7, v56
	v_cmp_gt_u32_e32 vcc, 8, v38
	v_cndmask_b32_e32 v38, v52, v42, vcc
	v_cndmask_b32_e32 v42, v45, v55, vcc
	v_lshlrev_b32_e32 v45, 24, v39
	v_bfrev_b32_e32 v52, 60
	v_lshlrev_b32_e32 v42, 20, v42
	v_and_b32_e32 v45, 0x80000000, v45
	v_lshl_add_u32 v38, v38, 23, v52
	v_or3_b32 v45, v45, v38, v42
.LBB590_137:
	s_or_b64 exec, exec, s[12:13]
.LBB590_138:
	s_or_b64 exec, exec, s[10:11]
.LBB590_139:
	s_or_b64 exec, exec, s[2:3]
	v_lshrrev_b16_e32 v38, 8, v39
	v_cmp_ne_u16_e32 vcc, 0, v38
	v_mov_b32_e32 v42, 0
	v_mov_b32_e32 v55, 0
	s_and_saveexec_b64 s[2:3], vcc
	s_cbranch_execz .LBB590_145
; %bb.140:
	s_movk_i32 s10, 0x80
	v_cmp_ne_u16_e32 vcc, s10, v38
	v_bfrev_b32_e32 v55, 1
	s_and_saveexec_b64 s[10:11], vcc
	s_cbranch_execz .LBB590_144
; %bb.141:
	s_movk_i32 s12, 0x7f
	v_and_b32_e32 v52, 0x7f, v38
	v_cmp_ne_u32_e32 vcc, s12, v52
	v_mov_b32_e32 v55, 0x7f800001
	s_and_saveexec_b64 s[12:13], vcc
	s_cbranch_execz .LBB590_143
; %bb.142:
	v_and_b32_e32 v55, 7, v38
	v_ffbh_u32_e32 v56, v55
	v_min_u32_e32 v59, 32, v56
	v_subrev_u32_e32 v56, 28, v59
	v_lshlrev_b64 v[56:57], v56, v[38:39]
	v_lshrrev_b32_e32 v58, 3, v52
	v_sub_u32_e32 v38, 29, v59
	v_and_b32_e32 v56, 7, v56
	v_cmp_gt_u32_e32 vcc, 8, v52
	v_cndmask_b32_e32 v38, v58, v38, vcc
	v_cndmask_b32_e32 v52, v55, v56, vcc
	v_lshlrev_b32_e32 v55, 16, v39
	v_bfrev_b32_e32 v56, 60
	v_lshlrev_b32_e32 v52, 20, v52
	v_and_b32_e32 v55, 0x80000000, v55
	v_lshl_add_u32 v38, v38, 23, v56
	v_or3_b32 v55, v55, v38, v52
.LBB590_143:
	s_or_b64 exec, exec, s[12:13]
.LBB590_144:
	s_or_b64 exec, exec, s[10:11]
.LBB590_145:
	s_or_b64 exec, exec, s[2:3]
	s_movk_i32 s2, 0xff
	v_and_b32_sdwa v52, v39, s2 dst_sel:DWORD dst_unused:UNUSED_PAD src0_sel:WORD_1 src1_sel:DWORD
	v_lshrrev_b32_e32 v38, 16, v39
	v_cmp_ne_u16_e32 vcc, 0, v52
	s_and_saveexec_b64 s[2:3], vcc
	s_cbranch_execz .LBB590_151
; %bb.146:
	s_movk_i32 s10, 0x80
	v_cmp_ne_u16_e32 vcc, s10, v52
	v_bfrev_b32_e32 v42, 1
	s_and_saveexec_b64 s[10:11], vcc
	s_cbranch_execz .LBB590_150
; %bb.147:
	v_bfe_u32 v52, v39, 16, 7
	s_movk_i32 s12, 0x7f
	v_cmp_ne_u32_e32 vcc, s12, v52
	v_mov_b32_e32 v42, 0x7f800001
	s_and_saveexec_b64 s[12:13], vcc
	s_cbranch_execz .LBB590_149
; %bb.148:
	v_and_b32_e32 v42, 7, v38
	v_ffbh_u32_e32 v56, v42
	v_min_u32_e32 v59, 32, v56
	v_subrev_u32_e32 v56, 28, v59
	v_lshlrev_b64 v[56:57], v56, v[38:39]
	v_lshrrev_b32_e32 v58, 3, v52
	v_sub_u32_e32 v38, 29, v59
	v_and_b32_e32 v56, 7, v56
	v_cmp_gt_u32_e32 vcc, 8, v52
	v_mov_b32_e32 v52, 24
	v_cndmask_b32_e32 v38, v58, v38, vcc
	v_cndmask_b32_e32 v42, v42, v56, vcc
	v_lshlrev_b32_sdwa v52, v52, v39 dst_sel:DWORD dst_unused:UNUSED_PAD src0_sel:DWORD src1_sel:WORD_1
	v_bfrev_b32_e32 v56, 60
	v_lshlrev_b32_e32 v42, 20, v42
	v_and_b32_e32 v52, 0x80000000, v52
	v_lshl_add_u32 v38, v38, 23, v56
	v_or3_b32 v42, v52, v38, v42
.LBB590_149:
	s_or_b64 exec, exec, s[12:13]
.LBB590_150:
	s_or_b64 exec, exec, s[10:11]
.LBB590_151:
	s_or_b64 exec, exec, s[2:3]
	s_mov_b32 s2, 0xffffff
	v_cmp_lt_u32_e32 vcc, s2, v39
	v_mov_b32_e32 v52, 0
	v_mov_b32_e32 v56, 0
	s_and_saveexec_b64 s[2:3], vcc
	s_cbranch_execz .LBB590_157
; %bb.152:
	v_lshrrev_b32_e32 v38, 24, v39
	s_movk_i32 s10, 0x80
	v_cmp_ne_u32_e32 vcc, s10, v38
	v_bfrev_b32_e32 v56, 1
	s_and_saveexec_b64 s[10:11], vcc
	s_cbranch_execz .LBB590_156
; %bb.153:
	v_bfe_u32 v39, v39, 24, 7
	s_movk_i32 s12, 0x7f
	v_cmp_ne_u32_e32 vcc, s12, v39
	v_mov_b32_e32 v56, 0x7f800001
	s_and_saveexec_b64 s[12:13], vcc
	s_cbranch_execz .LBB590_155
; %bb.154:
	v_and_b32_e32 v58, 7, v38
	v_ffbh_u32_e32 v56, v58
	v_min_u32_e32 v60, 32, v56
	v_subrev_u32_e32 v56, 28, v60
	v_lshlrev_b64 v[56:57], v56, v[38:39]
	v_lshrrev_b32_e32 v59, 3, v39
	v_sub_u32_e32 v57, 29, v60
	v_and_b32_e32 v56, 7, v56
	v_cmp_gt_u32_e32 vcc, 8, v39
	v_cndmask_b32_e32 v39, v59, v57, vcc
	v_cndmask_b32_e32 v56, v58, v56, vcc
	v_lshlrev_b32_e32 v38, 24, v38
	v_bfrev_b32_e32 v57, 60
	v_lshlrev_b32_e32 v56, 20, v56
	v_and_b32_e32 v38, 0x80000000, v38
	v_lshl_add_u32 v39, v39, 23, v57
	v_or3_b32 v56, v38, v39, v56
.LBB590_155:
	s_or_b64 exec, exec, s[12:13]
.LBB590_156:
	s_or_b64 exec, exec, s[10:11]
.LBB590_157:
	s_or_b64 exec, exec, s[2:3]
	v_cvt_pkrtz_f16_f32 v38, v53, v44
	v_cvt_pkrtz_f16_f32 v39, v43, v54
	v_cmp_ne_u16_sdwa s[10:11], v40, v52 src0_sel:BYTE_0 src1_sel:DWORD
	s_nop 0
	v_mfma_f32_16x16x16f16 v[58:61], v[38:39], v[26:27], 0
	v_cvt_pkrtz_f16_f32 v38, v45, v55
	v_cvt_pkrtz_f16_f32 v39, v42, v56
	s_nop 1
	v_mfma_f32_16x16x16f16 v[42:45], v[38:39], v[28:29], v[58:61]
	s_and_saveexec_b64 s[2:3], s[10:11]
	s_cbranch_execz .LBB590_163
; %bb.158:
	s_movk_i32 s10, 0x80
	v_cmp_ne_u16_sdwa s[12:13], v40, s10 src0_sel:BYTE_0 src1_sel:DWORD
	v_bfrev_b32_e32 v52, 1
	s_and_saveexec_b64 s[10:11], s[12:13]
	s_cbranch_execz .LBB590_162
; %bb.159:
	s_movk_i32 s12, 0x7f
	v_and_b32_e32 v38, 0x7f, v40
	v_cmp_ne_u32_e32 vcc, s12, v38
	v_mov_b32_e32 v52, 0x7f800001
	s_and_saveexec_b64 s[12:13], vcc
	s_cbranch_execz .LBB590_161
; %bb.160:
	v_and_b32_e32 v39, 7, v40
	v_ffbh_u32_e32 v52, v39
	v_min_u32_e32 v55, 32, v52
	v_subrev_u32_e32 v52, 28, v55
	v_lshlrev_b64 v[52:53], v52, v[40:41]
	v_lshrrev_b32_e32 v54, 3, v38
	v_sub_u32_e32 v53, 29, v55
	v_and_b32_e32 v52, 7, v52
	v_cmp_gt_u32_e32 vcc, 8, v38
	v_cndmask_b32_e32 v38, v54, v53, vcc
	v_cndmask_b32_e32 v39, v39, v52, vcc
	v_lshlrev_b32_e32 v52, 24, v40
	v_bfrev_b32_e32 v53, 60
	v_lshlrev_b32_e32 v39, 20, v39
	v_and_b32_e32 v52, 0x80000000, v52
	v_lshl_add_u32 v38, v38, 23, v53
	v_or3_b32 v52, v52, v38, v39
.LBB590_161:
	s_or_b64 exec, exec, s[12:13]
.LBB590_162:
	s_or_b64 exec, exec, s[10:11]
.LBB590_163:
	s_or_b64 exec, exec, s[2:3]
	v_lshrrev_b16_e32 v38, 8, v40
	v_cmp_ne_u16_e32 vcc, 0, v38
	v_mov_b32_e32 v39, 0
	v_mov_b32_e32 v54, 0
	s_and_saveexec_b64 s[2:3], vcc
	s_cbranch_execz .LBB590_169
; %bb.164:
	s_movk_i32 s10, 0x80
	v_cmp_ne_u16_e32 vcc, s10, v38
	v_bfrev_b32_e32 v54, 1
	s_and_saveexec_b64 s[10:11], vcc
	s_cbranch_execz .LBB590_168
; %bb.165:
	s_movk_i32 s12, 0x7f
	v_and_b32_e32 v53, 0x7f, v38
	v_cmp_ne_u32_e32 vcc, s12, v53
	v_mov_b32_e32 v54, 0x7f800001
	s_and_saveexec_b64 s[12:13], vcc
	s_cbranch_execz .LBB590_167
; %bb.166:
	v_and_b32_e32 v56, 7, v38
	v_ffbh_u32_e32 v54, v56
	v_min_u32_e32 v58, 32, v54
	v_subrev_u32_e32 v54, 28, v58
	v_lshlrev_b64 v[54:55], v54, v[38:39]
	v_lshrrev_b32_e32 v57, 3, v53
	v_sub_u32_e32 v38, 29, v58
	v_and_b32_e32 v54, 7, v54
	v_cmp_gt_u32_e32 vcc, 8, v53
	v_cndmask_b32_e32 v38, v57, v38, vcc
	v_cndmask_b32_e32 v53, v56, v54, vcc
	v_lshlrev_b32_e32 v54, 16, v40
	v_bfrev_b32_e32 v55, 60
	v_lshlrev_b32_e32 v53, 20, v53
	v_and_b32_e32 v54, 0x80000000, v54
	v_lshl_add_u32 v38, v38, 23, v55
	v_or3_b32 v54, v54, v38, v53
.LBB590_167:
	s_or_b64 exec, exec, s[12:13]
.LBB590_168:
	s_or_b64 exec, exec, s[10:11]
.LBB590_169:
	s_or_b64 exec, exec, s[2:3]
	s_movk_i32 s2, 0xff
	v_and_b32_sdwa v53, v40, s2 dst_sel:DWORD dst_unused:UNUSED_PAD src0_sel:WORD_1 src1_sel:DWORD
	v_lshrrev_b32_e32 v38, 16, v40
	v_cmp_ne_u16_e32 vcc, 0, v53
	s_and_saveexec_b64 s[2:3], vcc
	s_cbranch_execz .LBB590_175
; %bb.170:
	s_movk_i32 s10, 0x80
	v_cmp_ne_u16_e32 vcc, s10, v53
	v_bfrev_b32_e32 v39, 1
	s_and_saveexec_b64 s[10:11], vcc
	s_cbranch_execz .LBB590_174
; %bb.171:
	v_bfe_u32 v53, v40, 16, 7
	s_movk_i32 s12, 0x7f
	v_cmp_ne_u32_e32 vcc, s12, v53
	v_mov_b32_e32 v39, 0x7f800001
	s_and_saveexec_b64 s[12:13], vcc
	s_cbranch_execz .LBB590_173
; %bb.172:
	v_and_b32_e32 v55, 7, v38
	v_ffbh_u32_e32 v39, v55
	v_min_u32_e32 v57, 32, v39
	v_subrev_u32_e32 v39, 28, v57
	v_lshlrev_b64 v[38:39], v39, v[38:39]
	v_lshrrev_b32_e32 v56, 3, v53
	v_sub_u32_e32 v39, 29, v57
	v_and_b32_e32 v38, 7, v38
	v_cmp_gt_u32_e32 vcc, 8, v53
	v_mov_b32_e32 v53, 24
	v_cndmask_b32_e32 v39, v56, v39, vcc
	v_cndmask_b32_e32 v38, v55, v38, vcc
	v_lshlrev_b32_sdwa v53, v53, v40 dst_sel:DWORD dst_unused:UNUSED_PAD src0_sel:DWORD src1_sel:WORD_1
	v_bfrev_b32_e32 v55, 60
	v_lshlrev_b32_e32 v38, 20, v38
	v_and_b32_e32 v53, 0x80000000, v53
	v_lshl_add_u32 v39, v39, 23, v55
	v_or3_b32 v39, v53, v39, v38
.LBB590_173:
	s_or_b64 exec, exec, s[12:13]
.LBB590_174:
	s_or_b64 exec, exec, s[10:11]
.LBB590_175:
	s_or_b64 exec, exec, s[2:3]
	s_mov_b32 s2, 0xffffff
	v_cmp_lt_u32_e32 vcc, s2, v40
	v_mov_b32_e32 v55, 0
	v_mov_b32_e32 v56, 0
	s_and_saveexec_b64 s[2:3], vcc
	s_cbranch_execz .LBB590_181
; %bb.176:
	v_lshrrev_b32_e32 v38, 24, v40
	s_movk_i32 s10, 0x80
	v_cmp_ne_u32_e32 vcc, s10, v38
	v_bfrev_b32_e32 v56, 1
	s_and_saveexec_b64 s[10:11], vcc
	s_cbranch_execz .LBB590_180
; %bb.177:
	v_bfe_u32 v40, v40, 24, 7
	s_movk_i32 s12, 0x7f
	v_cmp_ne_u32_e32 vcc, s12, v40
	v_mov_b32_e32 v56, 0x7f800001
	s_and_saveexec_b64 s[12:13], vcc
	s_cbranch_execz .LBB590_179
; %bb.178:
	v_and_b32_e32 v53, 7, v38
	v_ffbh_u32_e32 v56, v53
	v_min_u32_e32 v59, 32, v56
	v_subrev_u32_e32 v56, 28, v59
	v_lshlrev_b64 v[56:57], v56, v[38:39]
	v_lshrrev_b32_e32 v58, 3, v40
	v_sub_u32_e32 v57, 29, v59
	v_and_b32_e32 v56, 7, v56
	v_cmp_gt_u32_e32 vcc, 8, v40
	v_cndmask_b32_e32 v40, v58, v57, vcc
	v_cndmask_b32_e32 v53, v53, v56, vcc
	v_lshlrev_b32_e32 v38, 24, v38
	v_bfrev_b32_e32 v56, 60
	v_lshlrev_b32_e32 v53, 20, v53
	v_and_b32_e32 v38, 0x80000000, v38
	v_lshl_add_u32 v40, v40, 23, v56
	v_or3_b32 v56, v38, v40, v53
.LBB590_179:
	s_or_b64 exec, exec, s[12:13]
.LBB590_180:
	s_or_b64 exec, exec, s[10:11]
.LBB590_181:
	s_or_b64 exec, exec, s[2:3]
	v_cmp_ne_u16_sdwa s[10:11], v41, v55 src0_sel:BYTE_0 src1_sel:DWORD
	s_and_saveexec_b64 s[2:3], s[10:11]
	s_cbranch_execz .LBB590_187
; %bb.182:
	s_movk_i32 s10, 0x80
	v_cmp_ne_u16_sdwa s[12:13], v41, s10 src0_sel:BYTE_0 src1_sel:DWORD
	v_bfrev_b32_e32 v55, 1
	s_and_saveexec_b64 s[10:11], s[12:13]
	s_cbranch_execz .LBB590_186
; %bb.183:
	s_movk_i32 s12, 0x7f
	v_and_b32_e32 v38, 0x7f, v41
	v_cmp_ne_u32_e32 vcc, s12, v38
	v_mov_b32_e32 v55, 0x7f800001
	s_and_saveexec_b64 s[12:13], vcc
	s_cbranch_execz .LBB590_185
; %bb.184:
	v_and_b32_e32 v53, 7, v41
	v_ffbh_u32_e32 v57, v53
	v_min_u32_e32 v57, 32, v57
	v_mov_b32_e32 v40, v41
	v_subrev_u32_e32 v58, 28, v57
	v_lshlrev_b64 v[58:59], v58, v[40:41]
	v_lshrrev_b32_e32 v55, 3, v38
	v_sub_u32_e32 v40, 29, v57
	v_and_b32_e32 v57, 7, v58
	v_cmp_gt_u32_e32 vcc, 8, v38
	v_cndmask_b32_e32 v38, v55, v40, vcc
	v_cndmask_b32_e32 v40, v53, v57, vcc
	v_lshlrev_b32_e32 v53, 24, v41
	v_bfrev_b32_e32 v55, 60
	v_lshlrev_b32_e32 v40, 20, v40
	v_and_b32_e32 v53, 0x80000000, v53
	v_lshl_add_u32 v38, v38, 23, v55
	v_or3_b32 v55, v53, v38, v40
.LBB590_185:
	s_or_b64 exec, exec, s[12:13]
.LBB590_186:
	s_or_b64 exec, exec, s[10:11]
.LBB590_187:
	s_or_b64 exec, exec, s[2:3]
	v_lshrrev_b16_e32 v38, 8, v41
	v_cmp_ne_u16_e32 vcc, 0, v38
	v_mov_b32_e32 v40, 0
	v_mov_b32_e32 v57, 0
	s_and_saveexec_b64 s[2:3], vcc
	s_cbranch_execz .LBB590_193
; %bb.188:
	s_movk_i32 s10, 0x80
	v_cmp_ne_u16_e32 vcc, s10, v38
	v_bfrev_b32_e32 v57, 1
	s_and_saveexec_b64 s[10:11], vcc
	s_cbranch_execz .LBB590_192
; %bb.189:
	s_movk_i32 s12, 0x7f
	v_and_b32_e32 v53, 0x7f, v38
	v_cmp_ne_u32_e32 vcc, s12, v53
	v_mov_b32_e32 v57, 0x7f800001
	s_and_saveexec_b64 s[12:13], vcc
	s_cbranch_execz .LBB590_191
; %bb.190:
	v_and_b32_e32 v57, 7, v38
	v_ffbh_u32_e32 v58, v57
	v_min_u32_e32 v61, 32, v58
	v_subrev_u32_e32 v58, 28, v61
	v_lshlrev_b64 v[58:59], v58, v[38:39]
	v_lshrrev_b32_e32 v60, 3, v53
	v_sub_u32_e32 v38, 29, v61
	v_and_b32_e32 v58, 7, v58
	v_cmp_gt_u32_e32 vcc, 8, v53
	v_cndmask_b32_e32 v38, v60, v38, vcc
	v_cndmask_b32_e32 v53, v57, v58, vcc
	v_lshlrev_b32_e32 v57, 16, v41
	v_bfrev_b32_e32 v58, 60
	v_lshlrev_b32_e32 v53, 20, v53
	v_and_b32_e32 v57, 0x80000000, v57
	v_lshl_add_u32 v38, v38, 23, v58
	v_or3_b32 v57, v57, v38, v53
.LBB590_191:
	s_or_b64 exec, exec, s[12:13]
.LBB590_192:
	s_or_b64 exec, exec, s[10:11]
.LBB590_193:
	s_or_b64 exec, exec, s[2:3]
	s_movk_i32 s2, 0xff
	v_and_b32_sdwa v53, v41, s2 dst_sel:DWORD dst_unused:UNUSED_PAD src0_sel:WORD_1 src1_sel:DWORD
	v_lshrrev_b32_e32 v38, 16, v41
	v_cmp_ne_u16_e32 vcc, 0, v53
	s_and_saveexec_b64 s[2:3], vcc
	s_cbranch_execz .LBB590_199
; %bb.194:
	s_movk_i32 s10, 0x80
	v_cmp_ne_u16_e32 vcc, s10, v53
	v_bfrev_b32_e32 v40, 1
	s_and_saveexec_b64 s[10:11], vcc
	s_cbranch_execz .LBB590_198
; %bb.195:
	v_bfe_u32 v53, v41, 16, 7
	s_movk_i32 s12, 0x7f
	v_cmp_ne_u32_e32 vcc, s12, v53
	v_mov_b32_e32 v40, 0x7f800001
	s_and_saveexec_b64 s[12:13], vcc
	s_cbranch_execz .LBB590_197
; %bb.196:
	v_and_b32_e32 v40, 7, v38
	v_ffbh_u32_e32 v58, v40
	v_min_u32_e32 v61, 32, v58
	v_subrev_u32_e32 v58, 28, v61
	v_lshlrev_b64 v[58:59], v58, v[38:39]
	v_lshrrev_b32_e32 v60, 3, v53
	v_sub_u32_e32 v38, 29, v61
	v_and_b32_e32 v58, 7, v58
	v_cmp_gt_u32_e32 vcc, 8, v53
	v_mov_b32_e32 v53, 24
	v_cndmask_b32_e32 v38, v60, v38, vcc
	v_cndmask_b32_e32 v40, v40, v58, vcc
	v_lshlrev_b32_sdwa v53, v53, v41 dst_sel:DWORD dst_unused:UNUSED_PAD src0_sel:DWORD src1_sel:WORD_1
	v_bfrev_b32_e32 v58, 60
	v_lshlrev_b32_e32 v40, 20, v40
	v_and_b32_e32 v53, 0x80000000, v53
	v_lshl_add_u32 v38, v38, 23, v58
	v_or3_b32 v40, v53, v38, v40
.LBB590_197:
	s_or_b64 exec, exec, s[12:13]
.LBB590_198:
	s_or_b64 exec, exec, s[10:11]
.LBB590_199:
	s_or_b64 exec, exec, s[2:3]
	s_mov_b32 s2, 0xffffff
	v_cmp_lt_u32_e32 vcc, s2, v41
	v_mov_b32_e32 v53, 0
	v_mov_b32_e32 v58, 0
	s_and_saveexec_b64 s[2:3], vcc
	s_cbranch_execz .LBB590_205
; %bb.200:
	v_lshrrev_b32_e32 v38, 24, v41
	s_movk_i32 s10, 0x80
	v_cmp_ne_u32_e32 vcc, s10, v38
	v_bfrev_b32_e32 v58, 1
	s_and_saveexec_b64 s[10:11], vcc
	s_cbranch_execz .LBB590_204
; %bb.201:
	v_bfe_u32 v41, v41, 24, 7
	s_movk_i32 s12, 0x7f
	v_cmp_ne_u32_e32 vcc, s12, v41
	v_mov_b32_e32 v58, 0x7f800001
	s_and_saveexec_b64 s[12:13], vcc
	s_cbranch_execz .LBB590_203
; %bb.202:
	v_and_b32_e32 v60, 7, v38
	v_ffbh_u32_e32 v58, v60
	v_min_u32_e32 v62, 32, v58
	v_subrev_u32_e32 v58, 28, v62
	v_lshlrev_b64 v[58:59], v58, v[38:39]
	v_lshrrev_b32_e32 v61, 3, v41
	v_sub_u32_e32 v59, 29, v62
	v_and_b32_e32 v58, 7, v58
	v_cmp_gt_u32_e32 vcc, 8, v41
	v_cndmask_b32_e32 v41, v61, v59, vcc
	v_cndmask_b32_e32 v58, v60, v58, vcc
	v_lshlrev_b32_e32 v38, 24, v38
	v_bfrev_b32_e32 v59, 60
	v_lshlrev_b32_e32 v58, 20, v58
	v_and_b32_e32 v38, 0x80000000, v38
	v_lshl_add_u32 v41, v41, 23, v59
	v_or3_b32 v58, v38, v41, v58
.LBB590_203:
	s_or_b64 exec, exec, s[12:13]
.LBB590_204:
	s_or_b64 exec, exec, s[10:11]
.LBB590_205:
	s_or_b64 exec, exec, s[2:3]
	v_cvt_pkrtz_f16_f32 v38, v52, v54
	v_cvt_pkrtz_f16_f32 v39, v39, v56
	v_cmp_ne_u16_sdwa s[10:11], v30, v53 src0_sel:BYTE_0 src1_sel:DWORD
	s_nop 0
	v_mfma_f32_16x16x16f16 v[42:45], v[38:39], v[18:19], v[42:45]
	v_cvt_pkrtz_f16_f32 v38, v55, v57
	v_cvt_pkrtz_f16_f32 v39, v40, v58
	s_nop 1
	v_mfma_f32_16x16x16f16 v[38:41], v[38:39], v[20:21], v[42:45]
	s_and_saveexec_b64 s[2:3], s[10:11]
	s_cbranch_execz .LBB590_211
; %bb.206:
	s_movk_i32 s10, 0x80
	v_cmp_ne_u16_sdwa s[12:13], v30, s10 src0_sel:BYTE_0 src1_sel:DWORD
	v_bfrev_b32_e32 v53, 1
	s_and_saveexec_b64 s[10:11], s[12:13]
	s_cbranch_execz .LBB590_210
; %bb.207:
	s_movk_i32 s12, 0x7f
	v_and_b32_e32 v42, 0x7f, v30
	v_cmp_ne_u32_e32 vcc, s12, v42
	v_mov_b32_e32 v53, 0x7f800001
	s_and_saveexec_b64 s[12:13], vcc
	s_cbranch_execz .LBB590_209
; %bb.208:
	v_and_b32_e32 v43, 7, v30
	v_ffbh_u32_e32 v44, v43
	v_min_u32_e32 v53, 32, v44
	v_subrev_u32_e32 v44, 28, v53
	v_lshlrev_b64 v[44:45], v44, v[30:31]
	v_lshrrev_b32_e32 v52, 3, v42
	v_sub_u32_e32 v45, 29, v53
	v_and_b32_e32 v44, 7, v44
	v_cmp_gt_u32_e32 vcc, 8, v42
	v_cndmask_b32_e32 v42, v52, v45, vcc
	v_cndmask_b32_e32 v43, v43, v44, vcc
	v_lshlrev_b32_e32 v44, 24, v30
	v_bfrev_b32_e32 v45, 60
	v_lshlrev_b32_e32 v43, 20, v43
	v_and_b32_e32 v44, 0x80000000, v44
	v_lshl_add_u32 v42, v42, 23, v45
	v_or3_b32 v53, v44, v42, v43
.LBB590_209:
	s_or_b64 exec, exec, s[12:13]
.LBB590_210:
	s_or_b64 exec, exec, s[10:11]
.LBB590_211:
	s_or_b64 exec, exec, s[2:3]
	s_nop 3
	v_lshrrev_b16_e32 v42, 8, v30
	v_cmp_ne_u16_e32 vcc, 0, v42
	v_mov_b32_e32 v43, 0
	v_mov_b32_e32 v44, 0
	s_and_saveexec_b64 s[2:3], vcc
	s_cbranch_execz .LBB590_217
; %bb.212:
	s_movk_i32 s10, 0x80
	v_cmp_ne_u16_e32 vcc, s10, v42
	v_bfrev_b32_e32 v44, 1
	s_and_saveexec_b64 s[10:11], vcc
	s_cbranch_execz .LBB590_216
; %bb.213:
	s_movk_i32 s12, 0x7f
	v_and_b32_e32 v45, 0x7f, v42
	v_cmp_ne_u32_e32 vcc, s12, v45
	v_mov_b32_e32 v44, 0x7f800001
	s_and_saveexec_b64 s[12:13], vcc
	s_cbranch_execz .LBB590_215
; %bb.214:
	v_and_b32_e32 v44, 7, v42
	v_ffbh_u32_e32 v54, v44
	v_min_u32_e32 v56, 32, v54
	v_subrev_u32_e32 v54, 28, v56
	v_lshlrev_b64 v[54:55], v54, v[42:43]
	v_lshrrev_b32_e32 v52, 3, v45
	v_sub_u32_e32 v42, 29, v56
	v_and_b32_e32 v54, 7, v54
	v_cmp_gt_u32_e32 vcc, 8, v45
	v_cndmask_b32_e32 v42, v52, v42, vcc
	v_cndmask_b32_e32 v44, v44, v54, vcc
	v_lshlrev_b32_e32 v45, 16, v30
	v_bfrev_b32_e32 v52, 60
	v_lshlrev_b32_e32 v44, 20, v44
	v_and_b32_e32 v45, 0x80000000, v45
	v_lshl_add_u32 v42, v42, 23, v52
	v_or3_b32 v44, v45, v42, v44
.LBB590_215:
	s_or_b64 exec, exec, s[12:13]
.LBB590_216:
	s_or_b64 exec, exec, s[10:11]
.LBB590_217:
	s_or_b64 exec, exec, s[2:3]
	s_movk_i32 s2, 0xff
	v_and_b32_sdwa v45, v30, s2 dst_sel:DWORD dst_unused:UNUSED_PAD src0_sel:WORD_1 src1_sel:DWORD
	v_lshrrev_b32_e32 v42, 16, v30
	v_cmp_ne_u16_e32 vcc, 0, v45
	s_and_saveexec_b64 s[2:3], vcc
	s_cbranch_execz .LBB590_223
; %bb.218:
	s_movk_i32 s10, 0x80
	v_cmp_ne_u16_e32 vcc, s10, v45
	v_bfrev_b32_e32 v43, 1
	s_and_saveexec_b64 s[10:11], vcc
	s_cbranch_execz .LBB590_222
; %bb.219:
	v_bfe_u32 v45, v30, 16, 7
	s_movk_i32 s12, 0x7f
	v_cmp_ne_u32_e32 vcc, s12, v45
	v_mov_b32_e32 v43, 0x7f800001
	s_and_saveexec_b64 s[12:13], vcc
	s_cbranch_execz .LBB590_221
; %bb.220:
	v_and_b32_e32 v52, 7, v42
	v_ffbh_u32_e32 v43, v52
	v_min_u32_e32 v55, 32, v43
	v_subrev_u32_e32 v43, 28, v55
	v_lshlrev_b64 v[42:43], v43, v[42:43]
	v_lshrrev_b32_e32 v54, 3, v45
	v_sub_u32_e32 v43, 29, v55
	v_and_b32_e32 v42, 7, v42
	v_cmp_gt_u32_e32 vcc, 8, v45
	v_mov_b32_e32 v45, 24
	v_cndmask_b32_e32 v43, v54, v43, vcc
	v_cndmask_b32_e32 v42, v52, v42, vcc
	v_lshlrev_b32_sdwa v45, v45, v30 dst_sel:DWORD dst_unused:UNUSED_PAD src0_sel:DWORD src1_sel:WORD_1
	v_bfrev_b32_e32 v52, 60
	v_lshlrev_b32_e32 v42, 20, v42
	v_and_b32_e32 v45, 0x80000000, v45
	v_lshl_add_u32 v43, v43, 23, v52
	v_or3_b32 v43, v45, v43, v42
.LBB590_221:
	s_or_b64 exec, exec, s[12:13]
.LBB590_222:
	s_or_b64 exec, exec, s[10:11]
.LBB590_223:
	s_or_b64 exec, exec, s[2:3]
	s_mov_b32 s2, 0xffffff
	v_cmp_lt_u32_e32 vcc, s2, v30
	v_mov_b32_e32 v45, 0
	v_mov_b32_e32 v54, 0
	s_and_saveexec_b64 s[2:3], vcc
	s_cbranch_execz .LBB590_229
; %bb.224:
	v_lshrrev_b32_e32 v42, 24, v30
	s_movk_i32 s10, 0x80
	v_cmp_ne_u32_e32 vcc, s10, v42
	v_bfrev_b32_e32 v54, 1
	s_and_saveexec_b64 s[10:11], vcc
	s_cbranch_execz .LBB590_228
; %bb.225:
	v_bfe_u32 v30, v30, 24, 7
	s_movk_i32 s12, 0x7f
	v_cmp_ne_u32_e32 vcc, s12, v30
	v_mov_b32_e32 v54, 0x7f800001
	s_and_saveexec_b64 s[12:13], vcc
	s_cbranch_execz .LBB590_227
; %bb.226:
	v_and_b32_e32 v52, 7, v42
	v_ffbh_u32_e32 v54, v52
	v_min_u32_e32 v57, 32, v54
	v_subrev_u32_e32 v54, 28, v57
	v_lshlrev_b64 v[54:55], v54, v[42:43]
	v_lshrrev_b32_e32 v56, 3, v30
	v_sub_u32_e32 v55, 29, v57
	v_and_b32_e32 v54, 7, v54
	v_cmp_gt_u32_e32 vcc, 8, v30
	v_cndmask_b32_e32 v30, v56, v55, vcc
	v_cndmask_b32_e32 v52, v52, v54, vcc
	v_lshlrev_b32_e32 v42, 24, v42
	v_bfrev_b32_e32 v54, 60
	v_lshlrev_b32_e32 v52, 20, v52
	v_and_b32_e32 v42, 0x80000000, v42
	v_lshl_add_u32 v30, v30, 23, v54
	v_or3_b32 v54, v42, v30, v52
.LBB590_227:
	s_or_b64 exec, exec, s[12:13]
.LBB590_228:
	s_or_b64 exec, exec, s[10:11]
.LBB590_229:
	s_or_b64 exec, exec, s[2:3]
	v_cmp_ne_u16_sdwa s[10:11], v31, v45 src0_sel:BYTE_0 src1_sel:DWORD
	s_and_saveexec_b64 s[2:3], s[10:11]
	s_cbranch_execz .LBB590_235
; %bb.230:
	s_movk_i32 s10, 0x80
	v_cmp_ne_u16_sdwa s[12:13], v31, s10 src0_sel:BYTE_0 src1_sel:DWORD
	v_bfrev_b32_e32 v45, 1
	s_and_saveexec_b64 s[10:11], s[12:13]
	s_cbranch_execz .LBB590_234
; %bb.231:
	s_movk_i32 s12, 0x7f
	v_and_b32_e32 v30, 0x7f, v31
	v_cmp_ne_u32_e32 vcc, s12, v30
	v_mov_b32_e32 v45, 0x7f800001
	s_and_saveexec_b64 s[12:13], vcc
	s_cbranch_execz .LBB590_233
; %bb.232:
	v_and_b32_e32 v45, 7, v31
	v_ffbh_u32_e32 v55, v45
	v_min_u32_e32 v55, 32, v55
	v_mov_b32_e32 v42, v31
	v_subrev_u32_e32 v56, 28, v55
	v_lshlrev_b64 v[56:57], v56, v[42:43]
	v_lshrrev_b32_e32 v52, 3, v30
	v_sub_u32_e32 v42, 29, v55
	v_and_b32_e32 v55, 7, v56
	v_cmp_gt_u32_e32 vcc, 8, v30
	v_cndmask_b32_e32 v30, v52, v42, vcc
	v_cndmask_b32_e32 v42, v45, v55, vcc
	v_lshlrev_b32_e32 v45, 24, v31
	v_bfrev_b32_e32 v52, 60
	v_lshlrev_b32_e32 v42, 20, v42
	v_and_b32_e32 v45, 0x80000000, v45
	v_lshl_add_u32 v30, v30, 23, v52
	v_or3_b32 v45, v45, v30, v42
.LBB590_233:
	s_or_b64 exec, exec, s[12:13]
.LBB590_234:
	s_or_b64 exec, exec, s[10:11]
.LBB590_235:
	s_or_b64 exec, exec, s[2:3]
	v_lshrrev_b16_e32 v30, 8, v31
	v_cmp_ne_u16_e32 vcc, 0, v30
	v_mov_b32_e32 v42, 0
	v_mov_b32_e32 v55, 0
	s_and_saveexec_b64 s[2:3], vcc
	s_cbranch_execz .LBB590_241
; %bb.236:
	s_movk_i32 s10, 0x80
	v_cmp_ne_u16_e32 vcc, s10, v30
	v_bfrev_b32_e32 v55, 1
	s_and_saveexec_b64 s[10:11], vcc
	s_cbranch_execz .LBB590_240
; %bb.237:
	s_movk_i32 s12, 0x7f
	v_and_b32_e32 v52, 0x7f, v30
	v_cmp_ne_u32_e32 vcc, s12, v52
	v_mov_b32_e32 v55, 0x7f800001
	s_and_saveexec_b64 s[12:13], vcc
	s_cbranch_execz .LBB590_239
; %bb.238:
	v_and_b32_e32 v55, 7, v30
	v_ffbh_u32_e32 v56, v55
	v_min_u32_e32 v59, 32, v56
	v_subrev_u32_e32 v56, 28, v59
	v_lshlrev_b64 v[56:57], v56, v[30:31]
	v_lshrrev_b32_e32 v58, 3, v52
	v_sub_u32_e32 v30, 29, v59
	v_and_b32_e32 v56, 7, v56
	v_cmp_gt_u32_e32 vcc, 8, v52
	v_cndmask_b32_e32 v30, v58, v30, vcc
	v_cndmask_b32_e32 v52, v55, v56, vcc
	v_lshlrev_b32_e32 v55, 16, v31
	v_bfrev_b32_e32 v56, 60
	v_lshlrev_b32_e32 v52, 20, v52
	v_and_b32_e32 v55, 0x80000000, v55
	v_lshl_add_u32 v30, v30, 23, v56
	v_or3_b32 v55, v55, v30, v52
.LBB590_239:
	s_or_b64 exec, exec, s[12:13]
.LBB590_240:
	s_or_b64 exec, exec, s[10:11]
.LBB590_241:
	s_or_b64 exec, exec, s[2:3]
	s_movk_i32 s2, 0xff
	v_and_b32_sdwa v52, v31, s2 dst_sel:DWORD dst_unused:UNUSED_PAD src0_sel:WORD_1 src1_sel:DWORD
	v_lshrrev_b32_e32 v30, 16, v31
	v_cmp_ne_u16_e32 vcc, 0, v52
	s_and_saveexec_b64 s[2:3], vcc
	s_cbranch_execz .LBB590_247
; %bb.242:
	s_movk_i32 s10, 0x80
	v_cmp_ne_u16_e32 vcc, s10, v52
	v_bfrev_b32_e32 v42, 1
	s_and_saveexec_b64 s[10:11], vcc
	s_cbranch_execz .LBB590_246
; %bb.243:
	v_bfe_u32 v52, v31, 16, 7
	s_movk_i32 s12, 0x7f
	v_cmp_ne_u32_e32 vcc, s12, v52
	v_mov_b32_e32 v42, 0x7f800001
	s_and_saveexec_b64 s[12:13], vcc
	s_cbranch_execz .LBB590_245
; %bb.244:
	v_and_b32_e32 v42, 7, v30
	v_ffbh_u32_e32 v56, v42
	v_min_u32_e32 v59, 32, v56
	v_subrev_u32_e32 v56, 28, v59
	v_lshlrev_b64 v[56:57], v56, v[30:31]
	v_lshrrev_b32_e32 v58, 3, v52
	v_sub_u32_e32 v30, 29, v59
	v_and_b32_e32 v56, 7, v56
	v_cmp_gt_u32_e32 vcc, 8, v52
	v_mov_b32_e32 v52, 24
	v_cndmask_b32_e32 v30, v58, v30, vcc
	v_cndmask_b32_e32 v42, v42, v56, vcc
	v_lshlrev_b32_sdwa v52, v52, v31 dst_sel:DWORD dst_unused:UNUSED_PAD src0_sel:DWORD src1_sel:WORD_1
	v_bfrev_b32_e32 v56, 60
	v_lshlrev_b32_e32 v42, 20, v42
	v_and_b32_e32 v52, 0x80000000, v52
	v_lshl_add_u32 v30, v30, 23, v56
	v_or3_b32 v42, v52, v30, v42
.LBB590_245:
	s_or_b64 exec, exec, s[12:13]
.LBB590_246:
	s_or_b64 exec, exec, s[10:11]
.LBB590_247:
	s_or_b64 exec, exec, s[2:3]
	s_mov_b32 s2, 0xffffff
	v_cmp_lt_u32_e32 vcc, s2, v31
	v_mov_b32_e32 v52, 0
	v_mov_b32_e32 v56, 0
	s_and_saveexec_b64 s[2:3], vcc
	s_cbranch_execz .LBB590_253
; %bb.248:
	v_lshrrev_b32_e32 v30, 24, v31
	s_movk_i32 s10, 0x80
	v_cmp_ne_u32_e32 vcc, s10, v30
	v_bfrev_b32_e32 v56, 1
	s_and_saveexec_b64 s[10:11], vcc
	s_cbranch_execz .LBB590_252
; %bb.249:
	v_bfe_u32 v31, v31, 24, 7
	s_movk_i32 s12, 0x7f
	v_cmp_ne_u32_e32 vcc, s12, v31
	v_mov_b32_e32 v56, 0x7f800001
	s_and_saveexec_b64 s[12:13], vcc
	s_cbranch_execz .LBB590_251
; %bb.250:
	v_and_b32_e32 v58, 7, v30
	v_ffbh_u32_e32 v56, v58
	v_min_u32_e32 v60, 32, v56
	v_subrev_u32_e32 v56, 28, v60
	v_lshlrev_b64 v[56:57], v56, v[30:31]
	v_lshrrev_b32_e32 v59, 3, v31
	v_sub_u32_e32 v57, 29, v60
	v_and_b32_e32 v56, 7, v56
	v_cmp_gt_u32_e32 vcc, 8, v31
	v_cndmask_b32_e32 v31, v59, v57, vcc
	v_cndmask_b32_e32 v56, v58, v56, vcc
	v_lshlrev_b32_e32 v30, 24, v30
	v_bfrev_b32_e32 v57, 60
	v_lshlrev_b32_e32 v56, 20, v56
	v_and_b32_e32 v30, 0x80000000, v30
	v_lshl_add_u32 v31, v31, 23, v57
	v_or3_b32 v56, v30, v31, v56
.LBB590_251:
	s_or_b64 exec, exec, s[12:13]
.LBB590_252:
	s_or_b64 exec, exec, s[10:11]
.LBB590_253:
	s_or_b64 exec, exec, s[2:3]
	v_cvt_pkrtz_f16_f32 v30, v53, v44
	v_cvt_pkrtz_f16_f32 v31, v43, v54
	v_cmp_ne_u16_sdwa s[10:11], v32, v52 src0_sel:BYTE_0 src1_sel:DWORD
	s_nop 0
	v_mfma_f32_16x16x16f16 v[58:61], v[30:31], v[26:27], 0
	v_cvt_pkrtz_f16_f32 v30, v45, v55
	v_cvt_pkrtz_f16_f32 v31, v42, v56
	s_nop 1
	v_mfma_f32_16x16x16f16 v[42:45], v[30:31], v[28:29], v[58:61]
	s_and_saveexec_b64 s[2:3], s[10:11]
	s_cbranch_execz .LBB590_259
; %bb.254:
	s_movk_i32 s10, 0x80
	v_cmp_ne_u16_sdwa s[12:13], v32, s10 src0_sel:BYTE_0 src1_sel:DWORD
	v_bfrev_b32_e32 v52, 1
	s_and_saveexec_b64 s[10:11], s[12:13]
	s_cbranch_execz .LBB590_258
; %bb.255:
	s_movk_i32 s12, 0x7f
	v_and_b32_e32 v30, 0x7f, v32
	v_cmp_ne_u32_e32 vcc, s12, v30
	v_mov_b32_e32 v52, 0x7f800001
	s_and_saveexec_b64 s[12:13], vcc
	s_cbranch_execz .LBB590_257
; %bb.256:
	v_and_b32_e32 v31, 7, v32
	v_ffbh_u32_e32 v52, v31
	v_min_u32_e32 v55, 32, v52
	v_subrev_u32_e32 v52, 28, v55
	v_lshlrev_b64 v[52:53], v52, v[32:33]
	v_lshrrev_b32_e32 v54, 3, v30
	v_sub_u32_e32 v53, 29, v55
	v_and_b32_e32 v52, 7, v52
	v_cmp_gt_u32_e32 vcc, 8, v30
	v_cndmask_b32_e32 v30, v54, v53, vcc
	v_cndmask_b32_e32 v31, v31, v52, vcc
	v_lshlrev_b32_e32 v52, 24, v32
	v_bfrev_b32_e32 v53, 60
	v_lshlrev_b32_e32 v31, 20, v31
	v_and_b32_e32 v52, 0x80000000, v52
	v_lshl_add_u32 v30, v30, 23, v53
	v_or3_b32 v52, v52, v30, v31
.LBB590_257:
	s_or_b64 exec, exec, s[12:13]
.LBB590_258:
	s_or_b64 exec, exec, s[10:11]
.LBB590_259:
	s_or_b64 exec, exec, s[2:3]
	v_lshrrev_b16_e32 v30, 8, v32
	v_cmp_ne_u16_e32 vcc, 0, v30
	v_mov_b32_e32 v31, 0
	v_mov_b32_e32 v54, 0
	s_and_saveexec_b64 s[2:3], vcc
	s_cbranch_execz .LBB590_265
; %bb.260:
	s_movk_i32 s10, 0x80
	v_cmp_ne_u16_e32 vcc, s10, v30
	v_bfrev_b32_e32 v54, 1
	s_and_saveexec_b64 s[10:11], vcc
	s_cbranch_execz .LBB590_264
; %bb.261:
	s_movk_i32 s12, 0x7f
	v_and_b32_e32 v53, 0x7f, v30
	v_cmp_ne_u32_e32 vcc, s12, v53
	v_mov_b32_e32 v54, 0x7f800001
	s_and_saveexec_b64 s[12:13], vcc
	s_cbranch_execz .LBB590_263
; %bb.262:
	v_and_b32_e32 v56, 7, v30
	v_ffbh_u32_e32 v54, v56
	v_min_u32_e32 v58, 32, v54
	v_subrev_u32_e32 v54, 28, v58
	v_lshlrev_b64 v[54:55], v54, v[30:31]
	v_lshrrev_b32_e32 v57, 3, v53
	v_sub_u32_e32 v30, 29, v58
	v_and_b32_e32 v54, 7, v54
	v_cmp_gt_u32_e32 vcc, 8, v53
	v_cndmask_b32_e32 v30, v57, v30, vcc
	v_cndmask_b32_e32 v53, v56, v54, vcc
	v_lshlrev_b32_e32 v54, 16, v32
	v_bfrev_b32_e32 v55, 60
	v_lshlrev_b32_e32 v53, 20, v53
	v_and_b32_e32 v54, 0x80000000, v54
	v_lshl_add_u32 v30, v30, 23, v55
	v_or3_b32 v54, v54, v30, v53
.LBB590_263:
	s_or_b64 exec, exec, s[12:13]
.LBB590_264:
	s_or_b64 exec, exec, s[10:11]
.LBB590_265:
	s_or_b64 exec, exec, s[2:3]
	s_movk_i32 s2, 0xff
	v_and_b32_sdwa v53, v32, s2 dst_sel:DWORD dst_unused:UNUSED_PAD src0_sel:WORD_1 src1_sel:DWORD
	v_lshrrev_b32_e32 v30, 16, v32
	v_cmp_ne_u16_e32 vcc, 0, v53
	s_and_saveexec_b64 s[2:3], vcc
	s_cbranch_execz .LBB590_271
; %bb.266:
	s_movk_i32 s10, 0x80
	v_cmp_ne_u16_e32 vcc, s10, v53
	v_bfrev_b32_e32 v31, 1
	s_and_saveexec_b64 s[10:11], vcc
	s_cbranch_execz .LBB590_270
; %bb.267:
	v_bfe_u32 v53, v32, 16, 7
	s_movk_i32 s12, 0x7f
	v_cmp_ne_u32_e32 vcc, s12, v53
	v_mov_b32_e32 v31, 0x7f800001
	s_and_saveexec_b64 s[12:13], vcc
	s_cbranch_execz .LBB590_269
; %bb.268:
	v_and_b32_e32 v55, 7, v30
	v_ffbh_u32_e32 v31, v55
	v_min_u32_e32 v57, 32, v31
	v_subrev_u32_e32 v31, 28, v57
	v_lshlrev_b64 v[30:31], v31, v[30:31]
	v_lshrrev_b32_e32 v56, 3, v53
	v_sub_u32_e32 v31, 29, v57
	v_and_b32_e32 v30, 7, v30
	v_cmp_gt_u32_e32 vcc, 8, v53
	v_mov_b32_e32 v53, 24
	v_cndmask_b32_e32 v31, v56, v31, vcc
	v_cndmask_b32_e32 v30, v55, v30, vcc
	v_lshlrev_b32_sdwa v53, v53, v32 dst_sel:DWORD dst_unused:UNUSED_PAD src0_sel:DWORD src1_sel:WORD_1
	v_bfrev_b32_e32 v55, 60
	v_lshlrev_b32_e32 v30, 20, v30
	v_and_b32_e32 v53, 0x80000000, v53
	v_lshl_add_u32 v31, v31, 23, v55
	v_or3_b32 v31, v53, v31, v30
.LBB590_269:
	s_or_b64 exec, exec, s[12:13]
.LBB590_270:
	s_or_b64 exec, exec, s[10:11]
.LBB590_271:
	s_or_b64 exec, exec, s[2:3]
	s_mov_b32 s2, 0xffffff
	v_cmp_lt_u32_e32 vcc, s2, v32
	v_mov_b32_e32 v55, 0
	v_mov_b32_e32 v56, 0
	s_and_saveexec_b64 s[2:3], vcc
	s_cbranch_execz .LBB590_277
; %bb.272:
	v_lshrrev_b32_e32 v30, 24, v32
	s_movk_i32 s10, 0x80
	v_cmp_ne_u32_e32 vcc, s10, v30
	v_bfrev_b32_e32 v56, 1
	s_and_saveexec_b64 s[10:11], vcc
	s_cbranch_execz .LBB590_276
; %bb.273:
	v_bfe_u32 v32, v32, 24, 7
	s_movk_i32 s12, 0x7f
	v_cmp_ne_u32_e32 vcc, s12, v32
	v_mov_b32_e32 v56, 0x7f800001
	s_and_saveexec_b64 s[12:13], vcc
	s_cbranch_execz .LBB590_275
; %bb.274:
	v_and_b32_e32 v53, 7, v30
	v_ffbh_u32_e32 v56, v53
	v_min_u32_e32 v59, 32, v56
	v_subrev_u32_e32 v56, 28, v59
	v_lshlrev_b64 v[56:57], v56, v[30:31]
	v_lshrrev_b32_e32 v58, 3, v32
	v_sub_u32_e32 v57, 29, v59
	v_and_b32_e32 v56, 7, v56
	v_cmp_gt_u32_e32 vcc, 8, v32
	v_cndmask_b32_e32 v32, v58, v57, vcc
	v_cndmask_b32_e32 v53, v53, v56, vcc
	v_lshlrev_b32_e32 v30, 24, v30
	v_bfrev_b32_e32 v56, 60
	v_lshlrev_b32_e32 v53, 20, v53
	v_and_b32_e32 v30, 0x80000000, v30
	v_lshl_add_u32 v32, v32, 23, v56
	v_or3_b32 v56, v30, v32, v53
.LBB590_275:
	s_or_b64 exec, exec, s[12:13]
.LBB590_276:
	s_or_b64 exec, exec, s[10:11]
.LBB590_277:
	s_or_b64 exec, exec, s[2:3]
	v_cmp_ne_u16_sdwa s[10:11], v33, v55 src0_sel:BYTE_0 src1_sel:DWORD
	s_and_saveexec_b64 s[2:3], s[10:11]
	s_cbranch_execz .LBB590_283
; %bb.278:
	s_movk_i32 s10, 0x80
	v_cmp_ne_u16_sdwa s[12:13], v33, s10 src0_sel:BYTE_0 src1_sel:DWORD
	v_bfrev_b32_e32 v55, 1
	s_and_saveexec_b64 s[10:11], s[12:13]
	s_cbranch_execz .LBB590_282
; %bb.279:
	s_movk_i32 s12, 0x7f
	v_and_b32_e32 v30, 0x7f, v33
	v_cmp_ne_u32_e32 vcc, s12, v30
	v_mov_b32_e32 v55, 0x7f800001
	s_and_saveexec_b64 s[12:13], vcc
	s_cbranch_execz .LBB590_281
; %bb.280:
	v_and_b32_e32 v53, 7, v33
	v_ffbh_u32_e32 v57, v53
	v_min_u32_e32 v57, 32, v57
	v_mov_b32_e32 v32, v33
	v_subrev_u32_e32 v58, 28, v57
	v_lshlrev_b64 v[58:59], v58, v[32:33]
	v_lshrrev_b32_e32 v55, 3, v30
	v_sub_u32_e32 v32, 29, v57
	v_and_b32_e32 v57, 7, v58
	v_cmp_gt_u32_e32 vcc, 8, v30
	v_cndmask_b32_e32 v30, v55, v32, vcc
	v_cndmask_b32_e32 v32, v53, v57, vcc
	v_lshlrev_b32_e32 v53, 24, v33
	v_bfrev_b32_e32 v55, 60
	v_lshlrev_b32_e32 v32, 20, v32
	v_and_b32_e32 v53, 0x80000000, v53
	v_lshl_add_u32 v30, v30, 23, v55
	v_or3_b32 v55, v53, v30, v32
.LBB590_281:
	s_or_b64 exec, exec, s[12:13]
.LBB590_282:
	s_or_b64 exec, exec, s[10:11]
.LBB590_283:
	s_or_b64 exec, exec, s[2:3]
	v_lshrrev_b16_e32 v30, 8, v33
	v_cmp_ne_u16_e32 vcc, 0, v30
	v_mov_b32_e32 v32, 0
	v_mov_b32_e32 v57, 0
	s_and_saveexec_b64 s[2:3], vcc
	s_cbranch_execz .LBB590_289
; %bb.284:
	s_movk_i32 s10, 0x80
	v_cmp_ne_u16_e32 vcc, s10, v30
	v_bfrev_b32_e32 v57, 1
	s_and_saveexec_b64 s[10:11], vcc
	s_cbranch_execz .LBB590_288
; %bb.285:
	s_movk_i32 s12, 0x7f
	v_and_b32_e32 v53, 0x7f, v30
	v_cmp_ne_u32_e32 vcc, s12, v53
	v_mov_b32_e32 v57, 0x7f800001
	s_and_saveexec_b64 s[12:13], vcc
	s_cbranch_execz .LBB590_287
; %bb.286:
	v_and_b32_e32 v57, 7, v30
	v_ffbh_u32_e32 v58, v57
	v_min_u32_e32 v61, 32, v58
	v_subrev_u32_e32 v58, 28, v61
	v_lshlrev_b64 v[58:59], v58, v[30:31]
	v_lshrrev_b32_e32 v60, 3, v53
	v_sub_u32_e32 v30, 29, v61
	v_and_b32_e32 v58, 7, v58
	v_cmp_gt_u32_e32 vcc, 8, v53
	v_cndmask_b32_e32 v30, v60, v30, vcc
	v_cndmask_b32_e32 v53, v57, v58, vcc
	v_lshlrev_b32_e32 v57, 16, v33
	v_bfrev_b32_e32 v58, 60
	v_lshlrev_b32_e32 v53, 20, v53
	v_and_b32_e32 v57, 0x80000000, v57
	v_lshl_add_u32 v30, v30, 23, v58
	v_or3_b32 v57, v57, v30, v53
.LBB590_287:
	s_or_b64 exec, exec, s[12:13]
.LBB590_288:
	s_or_b64 exec, exec, s[10:11]
.LBB590_289:
	s_or_b64 exec, exec, s[2:3]
	s_movk_i32 s2, 0xff
	v_and_b32_sdwa v53, v33, s2 dst_sel:DWORD dst_unused:UNUSED_PAD src0_sel:WORD_1 src1_sel:DWORD
	v_lshrrev_b32_e32 v30, 16, v33
	v_cmp_ne_u16_e32 vcc, 0, v53
	s_and_saveexec_b64 s[2:3], vcc
	s_cbranch_execz .LBB590_295
; %bb.290:
	s_movk_i32 s10, 0x80
	v_cmp_ne_u16_e32 vcc, s10, v53
	v_bfrev_b32_e32 v32, 1
	s_and_saveexec_b64 s[10:11], vcc
	s_cbranch_execz .LBB590_294
; %bb.291:
	v_bfe_u32 v53, v33, 16, 7
	s_movk_i32 s12, 0x7f
	v_cmp_ne_u32_e32 vcc, s12, v53
	v_mov_b32_e32 v32, 0x7f800001
	s_and_saveexec_b64 s[12:13], vcc
	s_cbranch_execz .LBB590_293
; %bb.292:
	v_and_b32_e32 v32, 7, v30
	v_ffbh_u32_e32 v58, v32
	v_min_u32_e32 v61, 32, v58
	v_subrev_u32_e32 v58, 28, v61
	v_lshlrev_b64 v[58:59], v58, v[30:31]
	v_lshrrev_b32_e32 v60, 3, v53
	v_sub_u32_e32 v30, 29, v61
	v_and_b32_e32 v58, 7, v58
	v_cmp_gt_u32_e32 vcc, 8, v53
	v_mov_b32_e32 v53, 24
	v_cndmask_b32_e32 v30, v60, v30, vcc
	v_cndmask_b32_e32 v32, v32, v58, vcc
	v_lshlrev_b32_sdwa v53, v53, v33 dst_sel:DWORD dst_unused:UNUSED_PAD src0_sel:DWORD src1_sel:WORD_1
	v_bfrev_b32_e32 v58, 60
	v_lshlrev_b32_e32 v32, 20, v32
	v_and_b32_e32 v53, 0x80000000, v53
	v_lshl_add_u32 v30, v30, 23, v58
	v_or3_b32 v32, v53, v30, v32
.LBB590_293:
	s_or_b64 exec, exec, s[12:13]
.LBB590_294:
	s_or_b64 exec, exec, s[10:11]
.LBB590_295:
	s_or_b64 exec, exec, s[2:3]
	s_mov_b32 s2, 0xffffff
	v_cmp_lt_u32_e32 vcc, s2, v33
	v_mov_b32_e32 v53, 0
	v_mov_b32_e32 v58, 0
	s_and_saveexec_b64 s[2:3], vcc
	s_cbranch_execz .LBB590_301
; %bb.296:
	v_lshrrev_b32_e32 v30, 24, v33
	s_movk_i32 s10, 0x80
	v_cmp_ne_u32_e32 vcc, s10, v30
	v_bfrev_b32_e32 v58, 1
	s_and_saveexec_b64 s[10:11], vcc
	s_cbranch_execz .LBB590_300
; %bb.297:
	v_bfe_u32 v33, v33, 24, 7
	s_movk_i32 s12, 0x7f
	v_cmp_ne_u32_e32 vcc, s12, v33
	v_mov_b32_e32 v58, 0x7f800001
	s_and_saveexec_b64 s[12:13], vcc
	s_cbranch_execz .LBB590_299
; %bb.298:
	v_and_b32_e32 v60, 7, v30
	v_ffbh_u32_e32 v58, v60
	v_min_u32_e32 v62, 32, v58
	v_subrev_u32_e32 v58, 28, v62
	v_lshlrev_b64 v[58:59], v58, v[30:31]
	v_lshrrev_b32_e32 v61, 3, v33
	v_sub_u32_e32 v59, 29, v62
	v_and_b32_e32 v58, 7, v58
	v_cmp_gt_u32_e32 vcc, 8, v33
	v_cndmask_b32_e32 v33, v61, v59, vcc
	v_cndmask_b32_e32 v58, v60, v58, vcc
	v_lshlrev_b32_e32 v30, 24, v30
	v_bfrev_b32_e32 v59, 60
	v_lshlrev_b32_e32 v58, 20, v58
	v_and_b32_e32 v30, 0x80000000, v30
	v_lshl_add_u32 v33, v33, 23, v59
	v_or3_b32 v58, v30, v33, v58
.LBB590_299:
	s_or_b64 exec, exec, s[12:13]
.LBB590_300:
	s_or_b64 exec, exec, s[10:11]
.LBB590_301:
	s_or_b64 exec, exec, s[2:3]
	v_cvt_pkrtz_f16_f32 v30, v52, v54
	v_cvt_pkrtz_f16_f32 v31, v31, v56
	v_cmp_ne_u16_sdwa s[10:11], v22, v53 src0_sel:BYTE_0 src1_sel:DWORD
	s_nop 0
	v_mfma_f32_16x16x16f16 v[42:45], v[30:31], v[18:19], v[42:45]
	v_cvt_pkrtz_f16_f32 v30, v55, v57
	v_cvt_pkrtz_f16_f32 v31, v32, v58
	s_nop 1
	v_mfma_f32_16x16x16f16 v[30:33], v[30:31], v[20:21], v[42:45]
	s_and_saveexec_b64 s[2:3], s[10:11]
	s_cbranch_execz .LBB590_307
; %bb.302:
	s_movk_i32 s10, 0x80
	v_cmp_ne_u16_sdwa s[12:13], v22, s10 src0_sel:BYTE_0 src1_sel:DWORD
	v_bfrev_b32_e32 v53, 1
	s_and_saveexec_b64 s[10:11], s[12:13]
	s_cbranch_execz .LBB590_306
; %bb.303:
	s_movk_i32 s12, 0x7f
	v_and_b32_e32 v42, 0x7f, v22
	v_cmp_ne_u32_e32 vcc, s12, v42
	v_mov_b32_e32 v53, 0x7f800001
	s_and_saveexec_b64 s[12:13], vcc
	s_cbranch_execz .LBB590_305
; %bb.304:
	v_and_b32_e32 v43, 7, v22
	v_ffbh_u32_e32 v44, v43
	v_min_u32_e32 v53, 32, v44
	v_subrev_u32_e32 v44, 28, v53
	v_lshlrev_b64 v[44:45], v44, v[22:23]
	v_lshrrev_b32_e32 v52, 3, v42
	v_sub_u32_e32 v45, 29, v53
	v_and_b32_e32 v44, 7, v44
	v_cmp_gt_u32_e32 vcc, 8, v42
	v_cndmask_b32_e32 v42, v52, v45, vcc
	v_cndmask_b32_e32 v43, v43, v44, vcc
	v_lshlrev_b32_e32 v44, 24, v22
	v_bfrev_b32_e32 v45, 60
	v_lshlrev_b32_e32 v43, 20, v43
	v_and_b32_e32 v44, 0x80000000, v44
	v_lshl_add_u32 v42, v42, 23, v45
	v_or3_b32 v53, v44, v42, v43
.LBB590_305:
	s_or_b64 exec, exec, s[12:13]
.LBB590_306:
	s_or_b64 exec, exec, s[10:11]
.LBB590_307:
	s_or_b64 exec, exec, s[2:3]
	s_nop 3
	v_lshrrev_b16_e32 v42, 8, v22
	v_cmp_ne_u16_e32 vcc, 0, v42
	v_mov_b32_e32 v43, 0
	v_mov_b32_e32 v44, 0
	s_and_saveexec_b64 s[2:3], vcc
	s_cbranch_execz .LBB590_313
; %bb.308:
	s_movk_i32 s10, 0x80
	v_cmp_ne_u16_e32 vcc, s10, v42
	v_bfrev_b32_e32 v44, 1
	s_and_saveexec_b64 s[10:11], vcc
	s_cbranch_execz .LBB590_312
; %bb.309:
	s_movk_i32 s12, 0x7f
	v_and_b32_e32 v45, 0x7f, v42
	v_cmp_ne_u32_e32 vcc, s12, v45
	v_mov_b32_e32 v44, 0x7f800001
	s_and_saveexec_b64 s[12:13], vcc
	s_cbranch_execz .LBB590_311
; %bb.310:
	v_and_b32_e32 v44, 7, v42
	v_ffbh_u32_e32 v54, v44
	v_min_u32_e32 v56, 32, v54
	v_subrev_u32_e32 v54, 28, v56
	v_lshlrev_b64 v[54:55], v54, v[42:43]
	v_lshrrev_b32_e32 v52, 3, v45
	v_sub_u32_e32 v42, 29, v56
	v_and_b32_e32 v54, 7, v54
	v_cmp_gt_u32_e32 vcc, 8, v45
	v_cndmask_b32_e32 v42, v52, v42, vcc
	v_cndmask_b32_e32 v44, v44, v54, vcc
	v_lshlrev_b32_e32 v45, 16, v22
	v_bfrev_b32_e32 v52, 60
	v_lshlrev_b32_e32 v44, 20, v44
	v_and_b32_e32 v45, 0x80000000, v45
	v_lshl_add_u32 v42, v42, 23, v52
	v_or3_b32 v44, v45, v42, v44
.LBB590_311:
	s_or_b64 exec, exec, s[12:13]
.LBB590_312:
	s_or_b64 exec, exec, s[10:11]
.LBB590_313:
	s_or_b64 exec, exec, s[2:3]
	s_movk_i32 s2, 0xff
	v_and_b32_sdwa v45, v22, s2 dst_sel:DWORD dst_unused:UNUSED_PAD src0_sel:WORD_1 src1_sel:DWORD
	v_lshrrev_b32_e32 v42, 16, v22
	v_cmp_ne_u16_e32 vcc, 0, v45
	s_and_saveexec_b64 s[2:3], vcc
	s_cbranch_execz .LBB590_319
; %bb.314:
	s_movk_i32 s10, 0x80
	v_cmp_ne_u16_e32 vcc, s10, v45
	v_bfrev_b32_e32 v43, 1
	s_and_saveexec_b64 s[10:11], vcc
	s_cbranch_execz .LBB590_318
; %bb.315:
	v_bfe_u32 v45, v22, 16, 7
	s_movk_i32 s12, 0x7f
	v_cmp_ne_u32_e32 vcc, s12, v45
	v_mov_b32_e32 v43, 0x7f800001
	s_and_saveexec_b64 s[12:13], vcc
	s_cbranch_execz .LBB590_317
; %bb.316:
	v_and_b32_e32 v52, 7, v42
	v_ffbh_u32_e32 v43, v52
	v_min_u32_e32 v55, 32, v43
	v_subrev_u32_e32 v43, 28, v55
	v_lshlrev_b64 v[42:43], v43, v[42:43]
	v_lshrrev_b32_e32 v54, 3, v45
	v_sub_u32_e32 v43, 29, v55
	v_and_b32_e32 v42, 7, v42
	v_cmp_gt_u32_e32 vcc, 8, v45
	v_mov_b32_e32 v45, 24
	v_cndmask_b32_e32 v43, v54, v43, vcc
	v_cndmask_b32_e32 v42, v52, v42, vcc
	v_lshlrev_b32_sdwa v45, v45, v22 dst_sel:DWORD dst_unused:UNUSED_PAD src0_sel:DWORD src1_sel:WORD_1
	v_bfrev_b32_e32 v52, 60
	v_lshlrev_b32_e32 v42, 20, v42
	v_and_b32_e32 v45, 0x80000000, v45
	v_lshl_add_u32 v43, v43, 23, v52
	v_or3_b32 v43, v45, v43, v42
.LBB590_317:
	s_or_b64 exec, exec, s[12:13]
.LBB590_318:
	s_or_b64 exec, exec, s[10:11]
.LBB590_319:
	s_or_b64 exec, exec, s[2:3]
	s_mov_b32 s2, 0xffffff
	v_cmp_lt_u32_e32 vcc, s2, v22
	v_mov_b32_e32 v45, 0
	v_mov_b32_e32 v52, 0
	s_and_saveexec_b64 s[2:3], vcc
	s_cbranch_execz .LBB590_325
; %bb.320:
	v_lshrrev_b32_e32 v42, 24, v22
	s_movk_i32 s10, 0x80
	v_cmp_ne_u32_e32 vcc, s10, v42
	v_bfrev_b32_e32 v52, 1
	s_and_saveexec_b64 s[10:11], vcc
	s_cbranch_execz .LBB590_324
; %bb.321:
	v_bfe_u32 v22, v22, 24, 7
	s_movk_i32 s12, 0x7f
	v_cmp_ne_u32_e32 vcc, s12, v22
	v_mov_b32_e32 v52, 0x7f800001
	s_and_saveexec_b64 s[12:13], vcc
	s_cbranch_execz .LBB590_323
; %bb.322:
	v_and_b32_e32 v52, 7, v42
	v_ffbh_u32_e32 v54, v52
	v_min_u32_e32 v57, 32, v54
	v_subrev_u32_e32 v54, 28, v57
	v_lshlrev_b64 v[54:55], v54, v[42:43]
	v_lshrrev_b32_e32 v56, 3, v22
	v_sub_u32_e32 v55, 29, v57
	v_and_b32_e32 v54, 7, v54
	v_cmp_gt_u32_e32 vcc, 8, v22
	v_cndmask_b32_e32 v22, v56, v55, vcc
	v_cndmask_b32_e32 v52, v52, v54, vcc
	v_lshlrev_b32_e32 v42, 24, v42
	v_bfrev_b32_e32 v54, 60
	v_lshlrev_b32_e32 v52, 20, v52
	v_and_b32_e32 v42, 0x80000000, v42
	v_lshl_add_u32 v22, v22, 23, v54
	v_or3_b32 v52, v42, v22, v52
.LBB590_323:
	s_or_b64 exec, exec, s[12:13]
.LBB590_324:
	s_or_b64 exec, exec, s[10:11]
.LBB590_325:
	s_or_b64 exec, exec, s[2:3]
	v_cmp_ne_u16_sdwa s[10:11], v23, v45 src0_sel:BYTE_0 src1_sel:DWORD
	s_and_saveexec_b64 s[2:3], s[10:11]
	s_cbranch_execz .LBB590_331
; %bb.326:
	s_movk_i32 s10, 0x80
	v_cmp_ne_u16_sdwa s[12:13], v23, s10 src0_sel:BYTE_0 src1_sel:DWORD
	v_bfrev_b32_e32 v45, 1
	s_and_saveexec_b64 s[10:11], s[12:13]
	s_cbranch_execz .LBB590_330
; %bb.327:
	s_movk_i32 s12, 0x7f
	v_and_b32_e32 v22, 0x7f, v23
	v_cmp_ne_u32_e32 vcc, s12, v22
	v_mov_b32_e32 v45, 0x7f800001
	s_and_saveexec_b64 s[12:13], vcc
	s_cbranch_execz .LBB590_329
; %bb.328:
	v_and_b32_e32 v45, 7, v23
	v_ffbh_u32_e32 v54, v45
	v_min_u32_e32 v57, 32, v54
	v_mov_b32_e32 v42, v23
	v_subrev_u32_e32 v54, 28, v57
	v_lshlrev_b64 v[54:55], v54, v[42:43]
	v_lshrrev_b32_e32 v56, 3, v22
	v_sub_u32_e32 v42, 29, v57
	v_and_b32_e32 v54, 7, v54
	v_cmp_gt_u32_e32 vcc, 8, v22
	v_cndmask_b32_e32 v22, v56, v42, vcc
	v_cndmask_b32_e32 v42, v45, v54, vcc
	v_lshlrev_b32_e32 v45, 24, v23
	v_bfrev_b32_e32 v54, 60
	v_lshlrev_b32_e32 v42, 20, v42
	v_and_b32_e32 v45, 0x80000000, v45
	v_lshl_add_u32 v22, v22, 23, v54
	v_or3_b32 v45, v45, v22, v42
.LBB590_329:
	s_or_b64 exec, exec, s[12:13]
.LBB590_330:
	s_or_b64 exec, exec, s[10:11]
.LBB590_331:
	s_or_b64 exec, exec, s[2:3]
	v_lshrrev_b16_e32 v22, 8, v23
	v_cmp_ne_u16_e32 vcc, 0, v22
	v_mov_b32_e32 v54, 0
	v_mov_b32_e32 v55, 0
	s_and_saveexec_b64 s[2:3], vcc
	s_cbranch_execz .LBB590_337
; %bb.332:
	s_movk_i32 s10, 0x80
	v_cmp_ne_u16_e32 vcc, s10, v22
	v_bfrev_b32_e32 v55, 1
	s_and_saveexec_b64 s[10:11], vcc
	s_cbranch_execz .LBB590_336
; %bb.333:
	s_movk_i32 s12, 0x7f
	v_and_b32_e32 v42, 0x7f, v22
	v_cmp_ne_u32_e32 vcc, s12, v42
	v_mov_b32_e32 v55, 0x7f800001
	s_and_saveexec_b64 s[12:13], vcc
	s_cbranch_execz .LBB590_335
; %bb.334:
	v_and_b32_e32 v55, 7, v22
	v_ffbh_u32_e32 v56, v55
	v_min_u32_e32 v59, 32, v56
	v_subrev_u32_e32 v56, 28, v59
	v_lshlrev_b64 v[56:57], v56, v[22:23]
	v_lshrrev_b32_e32 v58, 3, v42
	v_sub_u32_e32 v22, 29, v59
	v_and_b32_e32 v56, 7, v56
	v_cmp_gt_u32_e32 vcc, 8, v42
	v_cndmask_b32_e32 v22, v58, v22, vcc
	v_cndmask_b32_e32 v42, v55, v56, vcc
	v_lshlrev_b32_e32 v55, 16, v23
	v_bfrev_b32_e32 v56, 60
	v_lshlrev_b32_e32 v42, 20, v42
	v_and_b32_e32 v55, 0x80000000, v55
	v_lshl_add_u32 v22, v22, 23, v56
	v_or3_b32 v55, v55, v22, v42
.LBB590_335:
	s_or_b64 exec, exec, s[12:13]
.LBB590_336:
	s_or_b64 exec, exec, s[10:11]
.LBB590_337:
	s_or_b64 exec, exec, s[2:3]
	s_movk_i32 s2, 0xff
	v_and_b32_sdwa v42, v23, s2 dst_sel:DWORD dst_unused:UNUSED_PAD src0_sel:WORD_1 src1_sel:DWORD
	v_lshrrev_b32_e32 v22, 16, v23
	v_cmp_ne_u16_e32 vcc, 0, v42
	s_and_saveexec_b64 s[2:3], vcc
	s_cbranch_execz .LBB590_343
; %bb.338:
	s_movk_i32 s10, 0x80
	v_cmp_ne_u16_e32 vcc, s10, v42
	v_bfrev_b32_e32 v54, 1
	s_and_saveexec_b64 s[10:11], vcc
	s_cbranch_execz .LBB590_342
; %bb.339:
	v_bfe_u32 v42, v23, 16, 7
	s_movk_i32 s12, 0x7f
	v_cmp_ne_u32_e32 vcc, s12, v42
	v_mov_b32_e32 v54, 0x7f800001
	s_and_saveexec_b64 s[12:13], vcc
	s_cbranch_execz .LBB590_341
; %bb.340:
	v_and_b32_e32 v54, 7, v22
	v_ffbh_u32_e32 v56, v54
	v_min_u32_e32 v59, 32, v56
	v_subrev_u32_e32 v56, 28, v59
	v_lshlrev_b64 v[56:57], v56, v[22:23]
	v_and_b32_e32 v56, 7, v56
	v_cmp_gt_u32_e32 vcc, 8, v42
	v_lshrrev_b32_e32 v58, 3, v42
	v_sub_u32_e32 v22, 29, v59
	v_cndmask_b32_e32 v42, v54, v56, vcc
	v_mov_b32_e32 v54, 24
	v_cndmask_b32_e32 v22, v58, v22, vcc
	v_lshlrev_b32_sdwa v54, v54, v23 dst_sel:DWORD dst_unused:UNUSED_PAD src0_sel:DWORD src1_sel:WORD_1
	v_bfrev_b32_e32 v56, 60
	v_lshlrev_b32_e32 v42, 20, v42
	v_and_b32_e32 v54, 0x80000000, v54
	v_lshl_add_u32 v22, v22, 23, v56
	v_or3_b32 v54, v54, v22, v42
.LBB590_341:
	s_or_b64 exec, exec, s[12:13]
.LBB590_342:
	s_or_b64 exec, exec, s[10:11]
.LBB590_343:
	s_or_b64 exec, exec, s[2:3]
	s_mov_b32 s2, 0xffffff
	v_cmp_lt_u32_e32 vcc, s2, v23
	v_mov_b32_e32 v42, 0
	v_mov_b32_e32 v56, 0
	s_and_saveexec_b64 s[2:3], vcc
	s_cbranch_execz .LBB590_349
; %bb.344:
	v_lshrrev_b32_e32 v22, 24, v23
	s_movk_i32 s10, 0x80
	v_cmp_ne_u32_e32 vcc, s10, v22
	v_bfrev_b32_e32 v56, 1
	s_and_saveexec_b64 s[10:11], vcc
	s_cbranch_execz .LBB590_348
; %bb.345:
	v_bfe_u32 v23, v23, 24, 7
	s_movk_i32 s12, 0x7f
	v_cmp_ne_u32_e32 vcc, s12, v23
	v_mov_b32_e32 v56, 0x7f800001
	s_and_saveexec_b64 s[12:13], vcc
	s_cbranch_execz .LBB590_347
; %bb.346:
	v_and_b32_e32 v58, 7, v22
	v_ffbh_u32_e32 v56, v58
	v_min_u32_e32 v60, 32, v56
	v_subrev_u32_e32 v56, 28, v60
	v_lshlrev_b64 v[56:57], v56, v[22:23]
	v_lshrrev_b32_e32 v59, 3, v23
	v_sub_u32_e32 v57, 29, v60
	v_and_b32_e32 v56, 7, v56
	v_cmp_gt_u32_e32 vcc, 8, v23
	v_cndmask_b32_e32 v23, v59, v57, vcc
	v_cndmask_b32_e32 v56, v58, v56, vcc
	v_lshlrev_b32_e32 v22, 24, v22
	v_bfrev_b32_e32 v57, 60
	v_lshlrev_b32_e32 v56, 20, v56
	v_and_b32_e32 v22, 0x80000000, v22
	v_lshl_add_u32 v23, v23, 23, v57
	v_or3_b32 v56, v22, v23, v56
.LBB590_347:
	s_or_b64 exec, exec, s[12:13]
.LBB590_348:
	s_or_b64 exec, exec, s[10:11]
.LBB590_349:
	s_or_b64 exec, exec, s[2:3]
	v_cvt_pkrtz_f16_f32 v22, v53, v44
	v_cvt_pkrtz_f16_f32 v23, v43, v52
	v_cmp_ne_u16_sdwa s[10:11], v24, v42 src0_sel:BYTE_0 src1_sel:DWORD
	s_nop 0
	v_mfma_f32_16x16x16f16 v[58:61], v[22:23], v[26:27], 0
	v_cvt_pkrtz_f16_f32 v22, v45, v55
	v_cvt_pkrtz_f16_f32 v23, v54, v56
	s_nop 1
	v_mfma_f32_16x16x16f16 v[26:29], v[22:23], v[28:29], v[58:61]
	s_and_saveexec_b64 s[2:3], s[10:11]
	s_cbranch_execz .LBB590_355
; %bb.350:
	s_movk_i32 s10, 0x80
	v_cmp_ne_u16_sdwa s[12:13], v24, s10 src0_sel:BYTE_0 src1_sel:DWORD
	v_bfrev_b32_e32 v42, 1
	s_and_saveexec_b64 s[10:11], s[12:13]
	s_cbranch_execz .LBB590_354
; %bb.351:
	s_movk_i32 s12, 0x7f
	v_and_b32_e32 v22, 0x7f, v24
	v_cmp_ne_u32_e32 vcc, s12, v22
	v_mov_b32_e32 v42, 0x7f800001
	s_and_saveexec_b64 s[12:13], vcc
	s_cbranch_execz .LBB590_353
; %bb.352:
	v_and_b32_e32 v23, 7, v24
	v_ffbh_u32_e32 v42, v23
	v_min_u32_e32 v45, 32, v42
	v_subrev_u32_e32 v42, 28, v45
	v_lshlrev_b64 v[42:43], v42, v[24:25]
	v_lshrrev_b32_e32 v44, 3, v22
	v_sub_u32_e32 v43, 29, v45
	v_and_b32_e32 v42, 7, v42
	v_cmp_gt_u32_e32 vcc, 8, v22
	v_cndmask_b32_e32 v22, v44, v43, vcc
	v_cndmask_b32_e32 v23, v23, v42, vcc
	v_lshlrev_b32_e32 v42, 24, v24
	v_bfrev_b32_e32 v43, 60
	v_lshlrev_b32_e32 v23, 20, v23
	v_and_b32_e32 v42, 0x80000000, v42
	v_lshl_add_u32 v22, v22, 23, v43
	v_or3_b32 v42, v42, v22, v23
.LBB590_353:
	s_or_b64 exec, exec, s[12:13]
.LBB590_354:
	s_or_b64 exec, exec, s[10:11]
.LBB590_355:
	s_or_b64 exec, exec, s[2:3]
	v_lshrrev_b16_e32 v22, 8, v24
	v_cmp_ne_u16_e32 vcc, 0, v22
	v_mov_b32_e32 v23, 0
	v_mov_b32_e32 v43, 0
	s_and_saveexec_b64 s[2:3], vcc
	s_cbranch_execz .LBB590_361
; %bb.356:
	s_movk_i32 s10, 0x80
	v_cmp_ne_u16_e32 vcc, s10, v22
	v_bfrev_b32_e32 v43, 1
	s_and_saveexec_b64 s[10:11], vcc
	s_cbranch_execz .LBB590_360
; %bb.357:
	s_movk_i32 s12, 0x7f
	v_and_b32_e32 v44, 0x7f, v22
	v_cmp_ne_u32_e32 vcc, s12, v44
	v_mov_b32_e32 v43, 0x7f800001
	s_and_saveexec_b64 s[12:13], vcc
	s_cbranch_execz .LBB590_359
; %bb.358:
	v_and_b32_e32 v43, 7, v22
	v_ffbh_u32_e32 v52, v43
	v_min_u32_e32 v54, 32, v52
	v_subrev_u32_e32 v52, 28, v54
	v_lshlrev_b64 v[52:53], v52, v[22:23]
	v_lshrrev_b32_e32 v45, 3, v44
	v_sub_u32_e32 v22, 29, v54
	v_and_b32_e32 v52, 7, v52
	v_cmp_gt_u32_e32 vcc, 8, v44
	v_cndmask_b32_e32 v22, v45, v22, vcc
	v_cndmask_b32_e32 v43, v43, v52, vcc
	v_lshlrev_b32_e32 v44, 16, v24
	v_bfrev_b32_e32 v45, 60
	v_lshlrev_b32_e32 v43, 20, v43
	v_and_b32_e32 v44, 0x80000000, v44
	v_lshl_add_u32 v22, v22, 23, v45
	v_or3_b32 v43, v44, v22, v43
.LBB590_359:
	s_or_b64 exec, exec, s[12:13]
.LBB590_360:
	s_or_b64 exec, exec, s[10:11]
.LBB590_361:
	s_or_b64 exec, exec, s[2:3]
	s_movk_i32 s2, 0xff
	v_and_b32_sdwa v44, v24, s2 dst_sel:DWORD dst_unused:UNUSED_PAD src0_sel:WORD_1 src1_sel:DWORD
	v_lshrrev_b32_e32 v22, 16, v24
	v_cmp_ne_u16_e32 vcc, 0, v44
	s_and_saveexec_b64 s[2:3], vcc
	s_cbranch_execz .LBB590_367
; %bb.362:
	s_movk_i32 s10, 0x80
	v_cmp_ne_u16_e32 vcc, s10, v44
	v_bfrev_b32_e32 v23, 1
	s_and_saveexec_b64 s[10:11], vcc
	s_cbranch_execz .LBB590_366
; %bb.363:
	v_bfe_u32 v44, v24, 16, 7
	s_movk_i32 s12, 0x7f
	v_cmp_ne_u32_e32 vcc, s12, v44
	v_mov_b32_e32 v23, 0x7f800001
	s_and_saveexec_b64 s[12:13], vcc
	s_cbranch_execz .LBB590_365
; %bb.364:
	v_and_b32_e32 v45, 7, v22
	v_ffbh_u32_e32 v23, v45
	v_min_u32_e32 v53, 32, v23
	v_subrev_u32_e32 v23, 28, v53
	v_lshlrev_b64 v[22:23], v23, v[22:23]
	v_lshrrev_b32_e32 v52, 3, v44
	v_sub_u32_e32 v23, 29, v53
	v_and_b32_e32 v22, 7, v22
	v_cmp_gt_u32_e32 vcc, 8, v44
	v_mov_b32_e32 v44, 24
	v_cndmask_b32_e32 v23, v52, v23, vcc
	v_cndmask_b32_e32 v22, v45, v22, vcc
	v_lshlrev_b32_sdwa v44, v44, v24 dst_sel:DWORD dst_unused:UNUSED_PAD src0_sel:DWORD src1_sel:WORD_1
	v_bfrev_b32_e32 v45, 60
	v_lshlrev_b32_e32 v22, 20, v22
	v_and_b32_e32 v44, 0x80000000, v44
	v_lshl_add_u32 v23, v23, 23, v45
	v_or3_b32 v23, v44, v23, v22
.LBB590_365:
	s_or_b64 exec, exec, s[12:13]
.LBB590_366:
	s_or_b64 exec, exec, s[10:11]
.LBB590_367:
	s_or_b64 exec, exec, s[2:3]
	s_mov_b32 s2, 0xffffff
	v_cmp_lt_u32_e32 vcc, s2, v24
	v_mov_b32_e32 v45, 0
	v_mov_b32_e32 v52, 0
	s_and_saveexec_b64 s[2:3], vcc
	s_cbranch_execz .LBB590_373
; %bb.368:
	v_lshrrev_b32_e32 v22, 24, v24
	s_movk_i32 s10, 0x80
	v_cmp_ne_u32_e32 vcc, s10, v22
	v_bfrev_b32_e32 v52, 1
	s_and_saveexec_b64 s[10:11], vcc
	s_cbranch_execz .LBB590_372
; %bb.369:
	v_bfe_u32 v24, v24, 24, 7
	s_movk_i32 s12, 0x7f
	v_cmp_ne_u32_e32 vcc, s12, v24
	v_mov_b32_e32 v52, 0x7f800001
	s_and_saveexec_b64 s[12:13], vcc
	s_cbranch_execz .LBB590_371
; %bb.370:
	v_and_b32_e32 v44, 7, v22
	v_ffbh_u32_e32 v52, v44
	v_min_u32_e32 v55, 32, v52
	v_subrev_u32_e32 v52, 28, v55
	v_lshlrev_b64 v[52:53], v52, v[22:23]
	v_lshrrev_b32_e32 v54, 3, v24
	v_sub_u32_e32 v53, 29, v55
	v_and_b32_e32 v52, 7, v52
	v_cmp_gt_u32_e32 vcc, 8, v24
	v_cndmask_b32_e32 v24, v54, v53, vcc
	v_cndmask_b32_e32 v44, v44, v52, vcc
	v_lshlrev_b32_e32 v22, 24, v22
	v_bfrev_b32_e32 v52, 60
	v_lshlrev_b32_e32 v44, 20, v44
	v_and_b32_e32 v22, 0x80000000, v22
	v_lshl_add_u32 v24, v24, 23, v52
	v_or3_b32 v52, v22, v24, v44
.LBB590_371:
	s_or_b64 exec, exec, s[12:13]
.LBB590_372:
	s_or_b64 exec, exec, s[10:11]
.LBB590_373:
	s_or_b64 exec, exec, s[2:3]
	v_cmp_ne_u16_sdwa s[10:11], v25, v45 src0_sel:BYTE_0 src1_sel:DWORD
	s_and_saveexec_b64 s[2:3], s[10:11]
	s_cbranch_execz .LBB590_379
; %bb.374:
	s_movk_i32 s10, 0x80
	v_cmp_ne_u16_sdwa s[12:13], v25, s10 src0_sel:BYTE_0 src1_sel:DWORD
	v_bfrev_b32_e32 v45, 1
	s_and_saveexec_b64 s[10:11], s[12:13]
	s_cbranch_execz .LBB590_378
; %bb.375:
	s_movk_i32 s12, 0x7f
	v_and_b32_e32 v22, 0x7f, v25
	v_cmp_ne_u32_e32 vcc, s12, v22
	v_mov_b32_e32 v45, 0x7f800001
	s_and_saveexec_b64 s[12:13], vcc
	s_cbranch_execz .LBB590_377
; %bb.376:
	v_and_b32_e32 v53, 7, v25
	v_ffbh_u32_e32 v44, v53
	v_min_u32_e32 v55, 32, v44
	v_mov_b32_e32 v24, v25
	v_subrev_u32_e32 v44, 28, v55
	v_lshlrev_b64 v[44:45], v44, v[24:25]
	v_lshrrev_b32_e32 v54, 3, v22
	v_sub_u32_e32 v24, 29, v55
	v_and_b32_e32 v44, 7, v44
	v_cmp_gt_u32_e32 vcc, 8, v22
	v_cndmask_b32_e32 v22, v54, v24, vcc
	v_cndmask_b32_e32 v24, v53, v44, vcc
	v_lshlrev_b32_e32 v44, 24, v25
	v_bfrev_b32_e32 v45, 60
	v_lshlrev_b32_e32 v24, 20, v24
	v_and_b32_e32 v44, 0x80000000, v44
	v_lshl_add_u32 v22, v22, 23, v45
	v_or3_b32 v45, v44, v22, v24
.LBB590_377:
	s_or_b64 exec, exec, s[12:13]
.LBB590_378:
	s_or_b64 exec, exec, s[10:11]
.LBB590_379:
	s_or_b64 exec, exec, s[2:3]
	v_lshrrev_b16_e32 v22, 8, v25
	v_cmp_ne_u16_e32 vcc, 0, v22
	v_mov_b32_e32 v53, 0
	v_mov_b32_e32 v54, 0
	s_and_saveexec_b64 s[2:3], vcc
	s_cbranch_execz .LBB590_385
; %bb.380:
	s_movk_i32 s10, 0x80
	v_cmp_ne_u16_e32 vcc, s10, v22
	v_bfrev_b32_e32 v54, 1
	s_and_saveexec_b64 s[10:11], vcc
	s_cbranch_execz .LBB590_384
; %bb.381:
	s_movk_i32 s12, 0x7f
	v_and_b32_e32 v24, 0x7f, v22
	v_cmp_ne_u32_e32 vcc, s12, v24
	v_mov_b32_e32 v54, 0x7f800001
	s_and_saveexec_b64 s[12:13], vcc
	s_cbranch_execz .LBB590_383
; %bb.382:
	v_and_b32_e32 v44, 7, v22
	v_ffbh_u32_e32 v54, v44
	v_min_u32_e32 v57, 32, v54
	v_subrev_u32_e32 v54, 28, v57
	v_lshlrev_b64 v[54:55], v54, v[22:23]
	v_lshrrev_b32_e32 v56, 3, v24
	v_sub_u32_e32 v22, 29, v57
	v_and_b32_e32 v54, 7, v54
	v_cmp_gt_u32_e32 vcc, 8, v24
	v_cndmask_b32_e32 v22, v56, v22, vcc
	v_cndmask_b32_e32 v24, v44, v54, vcc
	v_lshlrev_b32_e32 v44, 16, v25
	v_bfrev_b32_e32 v54, 60
	v_lshlrev_b32_e32 v24, 20, v24
	v_and_b32_e32 v44, 0x80000000, v44
	v_lshl_add_u32 v22, v22, 23, v54
	v_or3_b32 v54, v44, v22, v24
.LBB590_383:
	s_or_b64 exec, exec, s[12:13]
.LBB590_384:
	s_or_b64 exec, exec, s[10:11]
.LBB590_385:
	s_or_b64 exec, exec, s[2:3]
	s_movk_i32 s2, 0xff
	v_and_b32_sdwa v24, v25, s2 dst_sel:DWORD dst_unused:UNUSED_PAD src0_sel:WORD_1 src1_sel:DWORD
	v_lshrrev_b32_e32 v22, 16, v25
	v_cmp_ne_u16_e32 vcc, 0, v24
	s_and_saveexec_b64 s[2:3], vcc
	s_cbranch_execz .LBB590_391
; %bb.386:
	s_movk_i32 s10, 0x80
	v_cmp_ne_u16_e32 vcc, s10, v24
	v_bfrev_b32_e32 v53, 1
	s_and_saveexec_b64 s[10:11], vcc
	s_cbranch_execz .LBB590_390
; %bb.387:
	v_bfe_u32 v24, v25, 16, 7
	s_movk_i32 s12, 0x7f
	v_cmp_ne_u32_e32 vcc, s12, v24
	v_mov_b32_e32 v53, 0x7f800001
	s_and_saveexec_b64 s[12:13], vcc
	s_cbranch_execz .LBB590_389
; %bb.388:
	v_and_b32_e32 v44, 7, v22
	v_ffbh_u32_e32 v55, v44
	v_min_u32_e32 v55, 32, v55
	v_subrev_u32_e32 v56, 28, v55
	v_lshlrev_b64 v[56:57], v56, v[22:23]
	v_sub_u32_e32 v22, 29, v55
	v_and_b32_e32 v55, 7, v56
	v_cmp_gt_u32_e32 vcc, 8, v24
	v_lshrrev_b32_e32 v53, 3, v24
	v_cndmask_b32_e32 v24, v44, v55, vcc
	v_mov_b32_e32 v44, 24
	v_cndmask_b32_e32 v22, v53, v22, vcc
	v_lshlrev_b32_sdwa v44, v44, v25 dst_sel:DWORD dst_unused:UNUSED_PAD src0_sel:DWORD src1_sel:WORD_1
	v_bfrev_b32_e32 v53, 60
	v_lshlrev_b32_e32 v24, 20, v24
	v_and_b32_e32 v44, 0x80000000, v44
	v_lshl_add_u32 v22, v22, 23, v53
	v_or3_b32 v53, v44, v22, v24
.LBB590_389:
	s_or_b64 exec, exec, s[12:13]
.LBB590_390:
	s_or_b64 exec, exec, s[10:11]
.LBB590_391:
	s_or_b64 exec, exec, s[2:3]
	s_mov_b32 s2, 0xffffff
	v_and_b32_e32 v44, 63, v0
	v_cmp_lt_u32_e32 vcc, s2, v25
	v_mov_b32_e32 v55, 0
	s_and_saveexec_b64 s[2:3], vcc
	s_cbranch_execz .LBB590_397
; %bb.392:
	v_lshrrev_b32_e32 v22, 24, v25
	s_movk_i32 s10, 0x80
	v_cmp_ne_u32_e32 vcc, s10, v22
	v_bfrev_b32_e32 v55, 1
	s_and_saveexec_b64 s[10:11], vcc
	s_cbranch_execz .LBB590_396
; %bb.393:
	v_bfe_u32 v24, v25, 24, 7
	s_movk_i32 s12, 0x7f
	v_cmp_ne_u32_e32 vcc, s12, v24
	v_mov_b32_e32 v55, 0x7f800001
	s_and_saveexec_b64 s[12:13], vcc
	s_cbranch_execz .LBB590_395
; %bb.394:
	v_and_b32_e32 v25, 7, v22
	v_ffbh_u32_e32 v56, v25
	v_min_u32_e32 v58, 32, v56
	v_subrev_u32_e32 v56, 28, v58
	v_lshlrev_b64 v[56:57], v56, v[22:23]
	v_lshrrev_b32_e32 v55, 3, v24
	v_sub_u32_e32 v57, 29, v58
	v_and_b32_e32 v56, 7, v56
	v_cmp_gt_u32_e32 vcc, 8, v24
	v_cndmask_b32_e32 v24, v55, v57, vcc
	v_cndmask_b32_e32 v25, v25, v56, vcc
	v_lshlrev_b32_e32 v22, 24, v22
	v_bfrev_b32_e32 v55, 60
	v_lshlrev_b32_e32 v25, 20, v25
	v_and_b32_e32 v22, 0x80000000, v22
	v_lshl_add_u32 v24, v24, 23, v55
	v_or3_b32 v55, v22, v24, v25
.LBB590_395:
	s_or_b64 exec, exec, s[12:13]
.LBB590_396:
	s_or_b64 exec, exec, s[10:11]
.LBB590_397:
	s_or_b64 exec, exec, s[2:3]
	v_cvt_pkrtz_f16_f32 v42, v42, v43
	v_cvt_pkrtz_f16_f32 v43, v23, v52
	s_load_dword s2, s[4:5], 0x1c
	s_waitcnt lgkmcnt(0)
	s_barrier
	v_mfma_f32_16x16x16f16 v[26:29], v[42:43], v[18:19], v[26:29]
	v_cvt_pkrtz_f16_f32 v18, v45, v54
	v_cvt_pkrtz_f16_f32 v19, v53, v55
	v_mov_b32_e32 v22, s2
	v_mul_f32_e32 v52, s9, v22
	v_pk_mul_f32 v[22:23], v[52:53], v[32:33] op_sel_hi:[0,1]
	v_pk_mul_f32 v[32:33], v[52:53], v[38:39] op_sel_hi:[0,1]
	v_and_b32_e32 v38, 0xc0, v0
	v_mfma_f32_16x16x16f16 v[26:29], v[18:19], v[20:21], v[26:29]
	v_add_u32_e32 v38, s18, v38
	v_lshl_or_b32 v38, v46, 2, v38
	v_or_b32_e32 v39, 1, v38
	v_pk_mul_f32 v[24:25], v[52:53], v[30:31] op_sel_hi:[0,1]
	v_pk_mul_f32 v[30:31], v[52:53], v[40:41] op_sel_hi:[0,1]
	v_subrev_u32_e32 v40, s27, v39
	v_pk_mul_f32 v[34:35], v[52:53], v[34:35] op_sel_hi:[0,1]
	s_nop 3
	v_pk_mul_f32 v[20:21], v[52:53], v[26:27] op_sel_hi:[0,1]
	v_add_u32_e32 v27, 1, v40
	v_pk_mul_f32 v[18:19], v[52:53], v[28:29] op_sel_hi:[0,1]
	v_cvt_f32_i32_e32 v27, v27
	v_add_u32_e32 v29, 3, v40
	v_cvt_f32_i32_e32 v29, v29
	v_cvt_f32_i32_e32 v26, v40
	v_pk_mul_f32 v[36:37], v[52:53], v[36:37] op_sel_hi:[0,1]
	v_fmac_f32_e32 v35, v51, v27
	v_add_u32_e32 v27, 16, v40
	v_fmac_f32_e32 v37, v51, v29
	v_cvt_f32_i32_e32 v27, v27
	v_add_u32_e32 v29, 17, v40
	v_fma_f32 v26, v51, v26, v34
	v_cvt_f32_i32_e32 v29, v29
	v_add_u32_e32 v34, 18, v40
	v_cvt_f32_i32_e32 v34, v34
	v_fma_f32 v41, v51, v27, v32
	v_add_u32_e32 v27, 32, v40
	v_fmac_f32_e32 v33, v51, v29
	v_cvt_f32_i32_e32 v27, v27
	v_add_u32_e32 v29, 33, v40
	v_add_u32_e32 v32, 34, v40
	v_fma_f32 v30, v51, v34, v30
	v_cvt_f32_i32_e32 v29, v29
	v_cvt_f32_i32_e32 v32, v32
	v_add_u32_e32 v34, 35, v40
	v_cvt_f32_i32_e32 v34, v34
	v_fma_f32 v24, v51, v27, v24
	v_add_u32_e32 v27, 48, v40
	v_fmac_f32_e32 v25, v51, v29
	v_fma_f32 v22, v51, v32, v22
	v_cvt_f32_i32_e32 v27, v27
	v_add_u32_e32 v29, 49, v40
	v_add_u32_e32 v32, 50, v40
	v_fmac_f32_e32 v23, v51, v34
	v_cvt_f32_i32_e32 v29, v29
	v_cvt_f32_i32_e32 v32, v32
	v_add_u32_e32 v34, 51, v40
	v_add_u32_e32 v28, 2, v40
	v_cvt_f32_i32_e32 v34, v34
	v_cvt_f32_i32_e32 v28, v28
	v_fma_f32 v20, v51, v27, v20
	v_mov_b32_e32 v27, 0xff7fffff
	v_cmp_gt_i32_e64 s[28:29], s27, v38
	v_cmp_gt_i32_e64 s[30:31], s27, v39
	v_fmac_f32_e32 v21, v51, v29
	v_fma_f32 v18, v51, v32, v18
	s_mov_b32 s9, 0xff7fffff
	v_cndmask_b32_e64 v29, v27, v26, s[28:29]
	v_cndmask_b32_e64 v32, v27, v35, s[30:31]
	v_fmac_f32_e32 v19, v51, v34
	v_max3_f32 v29, v29, s9, v32
	v_or_b32_e32 v32, 2, v38
	v_or_b32_e32 v34, 3, v38
	v_fma_f32 v28, v51, v28, v36
	v_cmp_gt_i32_e64 s[34:35], s27, v32
	v_cmp_gt_i32_e64 s[36:37], s27, v34
	v_add_u32_e32 v36, 19, v40
	v_cndmask_b32_e64 v32, v27, v28, s[34:35]
	v_cndmask_b32_e64 v34, v27, v37, s[36:37]
	v_cvt_f32_i32_e32 v36, v36
	v_max3_f32 v29, v29, v32, v34
	v_or_b32_e32 v32, 16, v38
	v_or_b32_e32 v34, 17, v38
	v_cmp_gt_i32_e64 s[38:39], s27, v32
	v_cmp_gt_i32_e64 s[40:41], s27, v34
	v_cndmask_b32_e64 v32, v27, v41, s[38:39]
	v_cndmask_b32_e64 v34, v27, v33, s[40:41]
	v_max3_f32 v29, v29, v32, v34
	v_or_b32_e32 v32, 18, v38
	v_or_b32_e32 v34, 19, v38
	v_fmac_f32_e32 v31, v51, v36
	v_cmp_gt_i32_e64 s[22:23], s27, v32
	v_cmp_gt_i32_e64 s[24:25], s27, v34
	v_cndmask_b32_e64 v32, v27, v30, s[22:23]
	v_cndmask_b32_e64 v34, v27, v31, s[24:25]
	v_max3_f32 v29, v29, v32, v34
	v_or_b32_e32 v32, 32, v38
	v_or_b32_e32 v34, 33, v38
	v_cmp_gt_i32_e64 s[18:19], s27, v32
	v_cmp_gt_i32_e64 s[20:21], s27, v34
	v_cndmask_b32_e64 v32, v27, v24, s[18:19]
	v_cndmask_b32_e64 v34, v27, v25, s[20:21]
	v_max3_f32 v29, v29, v32, v34
	v_or_b32_e32 v32, 34, v38
	v_or_b32_e32 v34, 35, v38
	;; [unrolled: 7-line block ×4, first 2 shown]
	v_cmp_gt_i32_e32 vcc, s27, v32
	v_cmp_gt_i32_e64 s[2:3], s27, v34
	v_cndmask_b32_e32 v32, v27, v18, vcc
	v_cndmask_b32_e64 v27, v27, v19, s[2:3]
	v_max3_f32 v27, v29, v32, v27
	v_mbcnt_lo_u32_b32 v29, -1, 0
	v_mbcnt_hi_u32_b32 v29, -1, v29
	v_and_b32_e32 v32, 64, v29
	v_add_u32_e32 v32, 64, v32
	v_xor_b32_e32 v34, 32, v29
	v_cmp_lt_i32_e64 s[42:43], v34, v32
	v_cndmask_b32_e64 v34, v29, v34, s[42:43]
	v_lshlrev_b32_e32 v36, 2, v34
	ds_bpermute_b32 v34, v36, v27
	s_waitcnt lgkmcnt(0)
	v_max_f32_e32 v34, v34, v34
	v_max_f32_e32 v27, v27, v34
	v_xor_b32_e32 v34, 16, v29
	v_cmp_lt_i32_e64 s[42:43], v34, v32
	v_cndmask_b32_e64 v29, v29, v34, s[42:43]
	v_lshlrev_b32_e32 v38, 2, v29
	ds_bpermute_b32 v29, v38, v27
	s_waitcnt lgkmcnt(0)
	v_max_f32_e32 v29, v29, v29
	v_max_f32_e32 v32, v27, v29
	v_sub_f32_e32 v26, v26, v32
	v_mul_f32_e32 v26, 0x3fb8aa3b, v26
	v_sub_f32_e32 v27, v35, v32
	v_exp_f32_e32 v26, v26
	v_mul_f32_e32 v27, 0x3fb8aa3b, v27
	v_sub_f32_e32 v28, v28, v32
	v_exp_f32_e32 v27, v27
	v_mul_f32_e32 v28, 0x3fb8aa3b, v28
	v_exp_f32_e32 v28, v28
	v_cndmask_b32_e64 v26, 0, v26, s[28:29]
	v_sub_f32_e32 v34, v37, v32
	v_add_f32_e32 v29, 0, v26
	v_cndmask_b32_e64 v27, 0, v27, s[30:31]
	v_mul_f32_e32 v34, 0x3fb8aa3b, v34
	v_exp_f32_e32 v35, v34
	v_add_f32_e32 v29, v29, v27
	v_cndmask_b32_e64 v34, 0, v28, s[34:35]
	v_add_f32_e32 v28, v29, v34
	v_sub_f32_e32 v29, v41, v32
	v_mul_f32_e32 v29, 0x3fb8aa3b, v29
	v_sub_f32_e32 v33, v33, v32
	v_exp_f32_e32 v29, v29
	v_mul_f32_e32 v33, 0x3fb8aa3b, v33
	v_sub_f32_e32 v30, v30, v32
	v_exp_f32_e32 v33, v33
	;; [unrolled: 3-line block ×3, first 2 shown]
	v_mul_f32_e32 v31, 0x3fb8aa3b, v31
	v_sub_f32_e32 v24, v24, v32
	v_cndmask_b32_e64 v35, 0, v35, s[36:37]
	v_exp_f32_e32 v31, v31
	v_mul_f32_e32 v24, 0x3fb8aa3b, v24
	v_sub_f32_e32 v25, v25, v32
	v_add_f32_e32 v37, v28, v35
	v_cndmask_b32_e64 v28, 0, v29, s[38:39]
	v_exp_f32_e32 v24, v24
	v_mul_f32_e32 v25, 0x3fb8aa3b, v25
	v_sub_f32_e32 v22, v22, v32
	v_add_f32_e32 v37, v37, v28
	;; [unrolled: 5-line block ×7, first 2 shown]
	v_cndmask_b32_e64 v22, 0, v22, s[14:15]
	v_exp_f32_e32 v18, v18
	v_mul_f32_e32 v19, 0x3fb8aa3b, v19
	v_add_f32_e32 v33, v33, v22
	v_cndmask_b32_e64 v23, 0, v23, s[16:17]
	v_exp_f32_e32 v19, v19
	v_add_f32_e32 v33, v33, v23
	v_cndmask_b32_e64 v20, 0, v20, s[10:11]
	v_add_f32_e32 v33, v33, v20
	v_cndmask_b32_e64 v21, 0, v21, s[12:13]
	v_add_f32_e32 v33, v33, v21
	v_cndmask_b32_e32 v18, 0, v18, vcc
	v_add_f32_e32 v33, v33, v18
	v_cndmask_b32_e64 v19, 0, v19, s[2:3]
	v_add_f32_e32 v33, v33, v19
	ds_bpermute_b32 v36, v36, v33
	v_cmp_gt_u32_e64 s[2:3], 16, v44
	s_waitcnt lgkmcnt(0)
	v_add_f32_e32 v33, v33, v36
	ds_bpermute_b32 v37, v38, v33
	v_lshlrev_b32_e32 v36, 2, v50
	s_and_saveexec_b64 s[10:11], s[2:3]
	s_cbranch_execz .LBB590_399
; %bb.398:
	s_waitcnt lgkmcnt(0)
	v_add_f32_e32 v33, v33, v37
	v_lshl_or_b32 v37, v49, 6, v36
	ds_write2st64_b32 v37, v32, v33 offset1:1
.LBB590_399:
	s_or_b64 exec, exec, s[10:11]
	s_waitcnt lgkmcnt(0)
	s_barrier
	ds_read2_b32 v[38:39], v36 offset1:16
	ds_read2_b32 v[40:41], v36 offset0:32 offset1:48
	ds_read2_b32 v[42:43], v36 offset0:64 offset1:80
	s_waitcnt lgkmcnt(2)
	v_max3_f32 v32, v38, s9, v39
	s_waitcnt lgkmcnt(1)
	v_max3_f32 v33, v32, v40, v41
	v_sub_f32_e32 v32, v38, v33
	v_mul_f32_e32 v32, 0x3fb8aa3b, v32
	v_exp_f32_e32 v37, v32
	v_sub_f32_e32 v32, v39, v33
	v_mul_f32_e32 v32, 0x3fb8aa3b, v32
	v_exp_f32_e32 v44, v32
	;; [unrolled: 3-line block ×3, first 2 shown]
	ds_read2_b32 v[38:39], v36 offset0:96 offset1:112
	v_sub_f32_e32 v32, v41, v33
	v_mul_f32_e32 v32, 0x3fb8aa3b, v32
	v_exp_f32_e32 v41, v32
	s_waitcnt lgkmcnt(1)
	v_fma_f32 v36, v37, v42, 0
	v_fmac_f32_e32 v36, v44, v43
	s_waitcnt lgkmcnt(0)
	v_fmac_f32_e32 v36, v40, v38
	v_fmac_f32_e32 v36, v41, v39
	v_add_f32_e32 v38, 0x358637bd, v36
	v_div_scale_f32 v39, s[10:11], v38, v38, 1.0
	v_rcp_f32_e32 v42, v39
	s_barrier
	v_fma_f32 v43, -v39, v42, 1.0
	v_fmac_f32_e32 v42, v43, v42
	v_div_scale_f32 v43, vcc, 1.0, v38, 1.0
	v_mul_f32_e32 v45, v43, v42
	v_fma_f32 v50, -v39, v45, v43
	v_fmac_f32_e32 v45, v50, v42
	v_fma_f32 v39, -v39, v45, v43
	v_div_fmas_f32 v39, v39, v42, v45
	v_cmp_eq_u32_e32 vcc, 1, v49
	v_cndmask_b32_e32 v37, v37, v44, vcc
	v_cmp_eq_u32_e32 vcc, 2, v49
	v_cndmask_b32_e32 v37, v37, v40, vcc
	v_cmp_eq_u32_e32 vcc, 3, v49
	v_div_fixup_f32 v38, v39, v38, 1.0
	v_cndmask_b32_e32 v37, v37, v41, vcc
	v_mul_f32_e32 v38, v37, v38
	v_pk_mul_f32 v[26:27], v[38:39], v[26:27] op_sel_hi:[0,1]
	v_cvt_f16_f32_e32 v26, v26
	v_cvt_f16_f32_e32 v27, v27
	v_pk_mul_f32 v[34:35], v[38:39], v[34:35] op_sel_hi:[0,1]
	v_cvt_f16_f32_e32 v37, v34
	v_cvt_f16_f32_e32 v35, v35
	v_pack_b32_f16 v34, v26, v27
	v_pk_mul_f32 v[26:27], v[38:39], v[30:31] op_sel_hi:[0,1]
	v_pk_mul_f32 v[28:29], v[38:39], v[28:29] op_sel_hi:[0,1]
	v_cvt_f16_f32_e32 v28, v28
	v_cvt_f16_f32_e32 v29, v29
	;; [unrolled: 1-line block ×4, first 2 shown]
	v_pack_b32_f16 v35, v37, v35
	v_lshlrev_b32_e32 v37, 3, v46
	v_lshlrev_b32_e32 v26, 11, v49
	v_or3_b32 v26, v26, v48, v37
	v_pack_b32_f16 v28, v28, v29
	v_pack_b32_f16 v29, v30, v27
	v_pk_mul_f32 v[22:23], v[38:39], v[22:23] op_sel_hi:[0,1]
	v_pk_mul_f32 v[24:25], v[38:39], v[24:25] op_sel_hi:[0,1]
	;; [unrolled: 1-line block ×4, first 2 shown]
	ds_write2st64_b64 v26, v[34:35], v[28:29] offset1:1
	v_cvt_f16_f32_e32 v24, v24
	v_cvt_f16_f32_e32 v25, v25
	;; [unrolled: 1-line block ×8, first 2 shown]
	v_mov_b32_e32 v32, 0
	v_pack_b32_f16 v18, v24, v25
	v_pack_b32_f16 v19, v22, v23
	;; [unrolled: 1-line block ×4, first 2 shown]
	v_cmp_eq_u32_e32 vcc, 0, v0
	ds_write2st64_b64 v26, v[18:19], v[20:21] offset0:2 offset1:3
	s_and_saveexec_b64 s[10:11], vcc
	s_cbranch_execz .LBB590_401
; %bb.400:
	s_mul_i32 s7, s7, s49
	s_mul_hi_u32 s9, s6, s49
	s_add_i32 s9, s9, s7
	s_mul_i32 s7, s6, s49
	s_add_u32 s7, s7, s8
	s_addc_u32 s9, s9, 0
	s_load_dwordx4 s[12:15], s[4:5], 0x58
	s_mul_i32 s9, s9, s48
	s_mul_hi_u32 s16, s7, s48
	s_add_i32 s9, s16, s9
	s_mul_i32 s7, s7, s48
	s_add_u32 s16, s7, s26
	s_addc_u32 s17, s9, 0
	s_lshl_b64 s[16:17], s[16:17], 2
	s_waitcnt lgkmcnt(0)
	s_add_u32 s14, s14, s16
	s_addc_u32 s15, s15, s17
	s_add_u32 s12, s12, s16
	v_mov_b32_e32 v18, 0
	s_addc_u32 s13, s13, s17
	global_store_dword v18, v33, s[14:15]
	global_store_dword v18, v36, s[12:13]
.LBB590_401:
	s_or_b64 exec, exec, s[10:11]
	v_mov_b32_e32 v19, 0
	s_waitcnt vmcnt(3)
	v_cmp_ne_u16_sdwa s[12:13], v14, v19 src0_sel:BYTE_0 src1_sel:DWORD
	s_waitcnt lgkmcnt(0)
	s_barrier
	s_and_saveexec_b64 s[10:11], s[12:13]
	s_cbranch_execz .LBB590_407
; %bb.402:
	s_movk_i32 s7, 0x80
	v_cmp_ne_u16_sdwa s[14:15], v14, s7 src0_sel:BYTE_0 src1_sel:DWORD
	v_bfrev_b32_e32 v32, 1
	s_and_saveexec_b64 s[12:13], s[14:15]
	s_cbranch_execz .LBB590_406
; %bb.403:
	s_movk_i32 s7, 0x7f
	v_and_b32_e32 v18, 0x7f, v14
	v_cmp_ne_u32_e32 vcc, s7, v18
	v_mov_b32_e32 v32, 0x7f800001
	s_and_saveexec_b64 s[14:15], vcc
	s_cbranch_execz .LBB590_405
; %bb.404:
	v_and_b32_e32 v22, 7, v14
	v_ffbh_u32_e32 v20, v22
	v_min_u32_e32 v24, 32, v20
	v_subrev_u32_e32 v20, 28, v24
	v_lshlrev_b64 v[20:21], v20, v[14:15]
	v_lshrrev_b32_e32 v23, 3, v18
	v_sub_u32_e32 v21, 29, v24
	v_and_b32_e32 v20, 7, v20
	v_cmp_gt_u32_e32 vcc, 8, v18
	v_cndmask_b32_e32 v18, v23, v21, vcc
	v_cndmask_b32_e32 v20, v22, v20, vcc
	v_lshlrev_b32_e32 v21, 24, v14
	v_bfrev_b32_e32 v22, 60
	v_lshlrev_b32_e32 v20, 20, v20
	v_and_b32_e32 v21, 0x80000000, v21
	v_lshl_add_u32 v18, v18, 23, v22
	v_or3_b32 v32, v21, v18, v20
.LBB590_405:
	s_or_b64 exec, exec, s[14:15]
.LBB590_406:
	s_or_b64 exec, exec, s[12:13]
.LBB590_407:
	s_or_b64 exec, exec, s[10:11]
	v_lshrrev_b16_e32 v18, 8, v14
	v_cmp_ne_u16_e32 vcc, 0, v18
	v_mov_b32_e32 v20, 0
	s_and_saveexec_b64 s[10:11], vcc
	s_cbranch_execz .LBB590_413
; %bb.408:
	s_movk_i32 s7, 0x80
	v_cmp_ne_u16_e32 vcc, s7, v18
	v_bfrev_b32_e32 v20, 1
	s_and_saveexec_b64 s[12:13], vcc
	s_cbranch_execz .LBB590_412
; %bb.409:
	s_movk_i32 s7, 0x7f
	v_and_b32_e32 v21, 0x7f, v18
	v_cmp_ne_u32_e32 vcc, s7, v21
	v_mov_b32_e32 v20, 0x7f800001
	s_and_saveexec_b64 s[14:15], vcc
	s_cbranch_execz .LBB590_411
; %bb.410:
	v_and_b32_e32 v20, 7, v18
	v_ffbh_u32_e32 v22, v20
	v_min_u32_e32 v25, 32, v22
	v_subrev_u32_e32 v22, 28, v25
	v_lshlrev_b64 v[22:23], v22, v[18:19]
	v_lshrrev_b32_e32 v24, 3, v21
	v_sub_u32_e32 v18, 29, v25
	v_and_b32_e32 v22, 7, v22
	v_cmp_gt_u32_e32 vcc, 8, v21
	v_cndmask_b32_e32 v18, v24, v18, vcc
	v_cndmask_b32_e32 v20, v20, v22, vcc
	v_lshlrev_b32_e32 v21, 16, v14
	v_bfrev_b32_e32 v22, 60
	v_lshlrev_b32_e32 v20, 20, v20
	v_and_b32_e32 v21, 0x80000000, v21
	v_lshl_add_u32 v18, v18, 23, v22
	v_or3_b32 v20, v21, v18, v20
.LBB590_411:
	s_or_b64 exec, exec, s[14:15]
.LBB590_412:
	s_or_b64 exec, exec, s[12:13]
.LBB590_413:
	s_or_b64 exec, exec, s[10:11]
	s_movk_i32 s7, 0xff
	v_and_b32_sdwa v21, v14, s7 dst_sel:DWORD dst_unused:UNUSED_PAD src0_sel:WORD_1 src1_sel:DWORD
	v_lshrrev_b32_e32 v18, 16, v14
	v_cmp_ne_u16_e32 vcc, 0, v21
	s_and_saveexec_b64 s[10:11], vcc
	s_cbranch_execz .LBB590_419
; %bb.414:
	s_movk_i32 s7, 0x80
	v_cmp_ne_u16_e32 vcc, s7, v21
	v_bfrev_b32_e32 v19, 1
	s_and_saveexec_b64 s[12:13], vcc
	s_cbranch_execz .LBB590_418
; %bb.415:
	v_bfe_u32 v21, v14, 16, 7
	s_movk_i32 s7, 0x7f
	v_cmp_ne_u32_e32 vcc, s7, v21
	v_mov_b32_e32 v19, 0x7f800001
	s_and_saveexec_b64 s[14:15], vcc
	s_cbranch_execz .LBB590_417
; %bb.416:
	v_and_b32_e32 v22, 7, v18
	v_ffbh_u32_e32 v19, v22
	v_min_u32_e32 v24, 32, v19
	v_subrev_u32_e32 v19, 28, v24
	v_lshlrev_b64 v[18:19], v19, v[18:19]
	v_lshrrev_b32_e32 v23, 3, v21
	v_sub_u32_e32 v19, 29, v24
	v_and_b32_e32 v18, 7, v18
	v_cmp_gt_u32_e32 vcc, 8, v21
	v_mov_b32_e32 v21, 24
	v_cndmask_b32_e32 v19, v23, v19, vcc
	v_cndmask_b32_e32 v18, v22, v18, vcc
	v_lshlrev_b32_sdwa v21, v21, v14 dst_sel:DWORD dst_unused:UNUSED_PAD src0_sel:DWORD src1_sel:WORD_1
	v_bfrev_b32_e32 v22, 60
	v_lshlrev_b32_e32 v18, 20, v18
	v_and_b32_e32 v21, 0x80000000, v21
	v_lshl_add_u32 v19, v19, 23, v22
	v_or3_b32 v19, v21, v19, v18
.LBB590_417:
	s_or_b64 exec, exec, s[14:15]
.LBB590_418:
	s_or_b64 exec, exec, s[12:13]
.LBB590_419:
	s_or_b64 exec, exec, s[10:11]
	s_mov_b32 s7, 0xffffff
	v_cmp_lt_u32_e32 vcc, s7, v14
	v_mov_b32_e32 v21, 0
	v_mov_b32_e32 v22, 0
	s_and_saveexec_b64 s[10:11], vcc
	s_cbranch_execz .LBB590_425
; %bb.420:
	v_lshrrev_b32_e32 v18, 24, v14
	s_movk_i32 s7, 0x80
	v_cmp_ne_u32_e32 vcc, s7, v18
	v_bfrev_b32_e32 v22, 1
	s_and_saveexec_b64 s[12:13], vcc
	s_cbranch_execz .LBB590_424
; %bb.421:
	v_bfe_u32 v14, v14, 24, 7
	s_movk_i32 s7, 0x7f
	v_cmp_ne_u32_e32 vcc, s7, v14
	v_mov_b32_e32 v22, 0x7f800001
	s_and_saveexec_b64 s[14:15], vcc
	s_cbranch_execz .LBB590_423
; %bb.422:
	v_and_b32_e32 v24, 7, v18
	v_ffbh_u32_e32 v22, v24
	v_min_u32_e32 v27, 32, v22
	v_subrev_u32_e32 v22, 28, v27
	v_lshlrev_b64 v[22:23], v22, v[18:19]
	v_lshrrev_b32_e32 v25, 3, v14
	v_sub_u32_e32 v23, 29, v27
	v_and_b32_e32 v22, 7, v22
	v_cmp_gt_u32_e32 vcc, 8, v14
	v_cndmask_b32_e32 v14, v25, v23, vcc
	v_cndmask_b32_e32 v22, v24, v22, vcc
	v_lshlrev_b32_e32 v18, 24, v18
	v_bfrev_b32_e32 v23, 60
	v_lshlrev_b32_e32 v22, 20, v22
	v_and_b32_e32 v18, 0x80000000, v18
	v_lshl_add_u32 v14, v14, 23, v23
	v_or3_b32 v22, v18, v14, v22
.LBB590_423:
	s_or_b64 exec, exec, s[14:15]
.LBB590_424:
	s_or_b64 exec, exec, s[12:13]
.LBB590_425:
	s_or_b64 exec, exec, s[10:11]
	v_cmp_ne_u16_sdwa s[12:13], v15, v21 src0_sel:BYTE_0 src1_sel:DWORD
	s_and_saveexec_b64 s[10:11], s[12:13]
	s_cbranch_execz .LBB590_431
; %bb.426:
	s_movk_i32 s7, 0x80
	v_cmp_ne_u16_sdwa s[14:15], v15, s7 src0_sel:BYTE_0 src1_sel:DWORD
	v_bfrev_b32_e32 v21, 1
	s_and_saveexec_b64 s[12:13], s[14:15]
	s_cbranch_execz .LBB590_430
; %bb.427:
	s_movk_i32 s7, 0x7f
	v_and_b32_e32 v14, 0x7f, v15
	v_cmp_ne_u32_e32 vcc, s7, v14
	v_mov_b32_e32 v21, 0x7f800001
	s_and_saveexec_b64 s[14:15], vcc
	s_cbranch_execz .LBB590_429
; %bb.428:
	v_and_b32_e32 v21, 7, v15
	v_ffbh_u32_e32 v24, v21
	v_min_u32_e32 v27, 32, v24
	v_mov_b32_e32 v18, v15
	v_subrev_u32_e32 v24, 28, v27
	v_lshlrev_b64 v[24:25], v24, v[18:19]
	v_lshrrev_b32_e32 v23, 3, v14
	v_sub_u32_e32 v18, 29, v27
	v_and_b32_e32 v24, 7, v24
	v_cmp_gt_u32_e32 vcc, 8, v14
	v_cndmask_b32_e32 v14, v23, v18, vcc
	v_cndmask_b32_e32 v18, v21, v24, vcc
	v_lshlrev_b32_e32 v21, 24, v15
	v_bfrev_b32_e32 v23, 60
	v_lshlrev_b32_e32 v18, 20, v18
	v_and_b32_e32 v21, 0x80000000, v21
	v_lshl_add_u32 v14, v14, 23, v23
	v_or3_b32 v21, v21, v14, v18
.LBB590_429:
	s_or_b64 exec, exec, s[14:15]
.LBB590_430:
	s_or_b64 exec, exec, s[12:13]
.LBB590_431:
	s_or_b64 exec, exec, s[10:11]
	v_lshrrev_b16_e32 v14, 8, v15
	v_cmp_ne_u16_e32 vcc, 0, v14
	v_mov_b32_e32 v18, 0
	v_mov_b32_e32 v24, 0
	s_and_saveexec_b64 s[10:11], vcc
	s_cbranch_execz .LBB590_437
; %bb.432:
	s_movk_i32 s7, 0x80
	v_cmp_ne_u16_e32 vcc, s7, v14
	v_bfrev_b32_e32 v24, 1
	s_and_saveexec_b64 s[12:13], vcc
	s_cbranch_execz .LBB590_436
; %bb.433:
	s_movk_i32 s7, 0x7f
	v_and_b32_e32 v23, 0x7f, v14
	v_cmp_ne_u32_e32 vcc, s7, v23
	v_mov_b32_e32 v24, 0x7f800001
	s_and_saveexec_b64 s[14:15], vcc
	s_cbranch_execz .LBB590_435
; %bb.434:
	v_and_b32_e32 v27, 7, v14
	v_ffbh_u32_e32 v24, v27
	v_min_u32_e32 v29, 32, v24
	v_subrev_u32_e32 v24, 28, v29
	v_lshlrev_b64 v[24:25], v24, v[14:15]
	v_lshrrev_b32_e32 v28, 3, v23
	v_sub_u32_e32 v14, 29, v29
	v_and_b32_e32 v24, 7, v24
	v_cmp_gt_u32_e32 vcc, 8, v23
	v_cndmask_b32_e32 v14, v28, v14, vcc
	v_cndmask_b32_e32 v23, v27, v24, vcc
	v_lshlrev_b32_e32 v24, 16, v15
	v_bfrev_b32_e32 v25, 60
	v_lshlrev_b32_e32 v23, 20, v23
	v_and_b32_e32 v24, 0x80000000, v24
	v_lshl_add_u32 v14, v14, 23, v25
	v_or3_b32 v24, v24, v14, v23
.LBB590_435:
	s_or_b64 exec, exec, s[14:15]
.LBB590_436:
	s_or_b64 exec, exec, s[12:13]
.LBB590_437:
	s_or_b64 exec, exec, s[10:11]
	s_movk_i32 s7, 0xff
	v_and_b32_sdwa v23, v15, s7 dst_sel:DWORD dst_unused:UNUSED_PAD src0_sel:WORD_1 src1_sel:DWORD
	v_lshrrev_b32_e32 v14, 16, v15
	v_cmp_ne_u16_e32 vcc, 0, v23
	s_and_saveexec_b64 s[10:11], vcc
	s_cbranch_execz .LBB590_443
; %bb.438:
	s_movk_i32 s7, 0x80
	v_cmp_ne_u16_e32 vcc, s7, v23
	v_bfrev_b32_e32 v18, 1
	s_and_saveexec_b64 s[12:13], vcc
	s_cbranch_execz .LBB590_442
; %bb.439:
	v_bfe_u32 v23, v15, 16, 7
	s_movk_i32 s7, 0x7f
	v_cmp_ne_u32_e32 vcc, s7, v23
	v_mov_b32_e32 v18, 0x7f800001
	s_and_saveexec_b64 s[14:15], vcc
	s_cbranch_execz .LBB590_441
; %bb.440:
	v_and_b32_e32 v18, 7, v14
	v_ffbh_u32_e32 v27, v18
	v_min_u32_e32 v27, 32, v27
	v_subrev_u32_e32 v28, 28, v27
	v_lshlrev_b64 v[28:29], v28, v[14:15]
	v_lshrrev_b32_e32 v25, 3, v23
	v_sub_u32_e32 v14, 29, v27
	v_and_b32_e32 v27, 7, v28
	v_cmp_gt_u32_e32 vcc, 8, v23
	v_mov_b32_e32 v23, 24
	v_cndmask_b32_e32 v14, v25, v14, vcc
	v_cndmask_b32_e32 v18, v18, v27, vcc
	v_lshlrev_b32_sdwa v23, v23, v15 dst_sel:DWORD dst_unused:UNUSED_PAD src0_sel:DWORD src1_sel:WORD_1
	v_bfrev_b32_e32 v25, 60
	v_lshlrev_b32_e32 v18, 20, v18
	v_and_b32_e32 v23, 0x80000000, v23
	v_lshl_add_u32 v14, v14, 23, v25
	v_or3_b32 v18, v23, v14, v18
.LBB590_441:
	s_or_b64 exec, exec, s[14:15]
.LBB590_442:
	s_or_b64 exec, exec, s[12:13]
.LBB590_443:
	s_or_b64 exec, exec, s[10:11]
	s_mov_b32 s7, 0xffffff
	v_cmp_lt_u32_e32 vcc, s7, v15
	v_mov_b32_e32 v23, 0
	v_mov_b32_e32 v25, 0
	s_and_saveexec_b64 s[10:11], vcc
	s_cbranch_execz .LBB590_449
; %bb.444:
	v_lshrrev_b32_e32 v14, 24, v15
	s_movk_i32 s7, 0x80
	v_cmp_ne_u32_e32 vcc, s7, v14
	v_bfrev_b32_e32 v25, 1
	s_and_saveexec_b64 s[12:13], vcc
	s_cbranch_execz .LBB590_448
; %bb.445:
	v_bfe_u32 v15, v15, 24, 7
	s_movk_i32 s7, 0x7f
	v_cmp_ne_u32_e32 vcc, s7, v15
	v_mov_b32_e32 v25, 0x7f800001
	s_and_saveexec_b64 s[14:15], vcc
	s_cbranch_execz .LBB590_447
; %bb.446:
	v_and_b32_e32 v25, 7, v14
	v_ffbh_u32_e32 v28, v25
	v_min_u32_e32 v30, 32, v28
	v_subrev_u32_e32 v28, 28, v30
	v_lshlrev_b64 v[28:29], v28, v[14:15]
	v_lshrrev_b32_e32 v27, 3, v15
	v_sub_u32_e32 v29, 29, v30
	v_and_b32_e32 v28, 7, v28
	v_cmp_gt_u32_e32 vcc, 8, v15
	v_cndmask_b32_e32 v15, v27, v29, vcc
	v_cndmask_b32_e32 v25, v25, v28, vcc
	v_lshlrev_b32_e32 v14, 24, v14
	v_bfrev_b32_e32 v27, 60
	v_lshlrev_b32_e32 v25, 20, v25
	v_and_b32_e32 v14, 0x80000000, v14
	v_lshl_add_u32 v15, v15, 23, v27
	v_or3_b32 v25, v14, v15, v25
.LBB590_447:
	s_or_b64 exec, exec, s[14:15]
.LBB590_448:
	s_or_b64 exec, exec, s[12:13]
.LBB590_449:
	s_or_b64 exec, exec, s[10:11]
	v_cvt_pkrtz_f16_f32 v15, v19, v22
	v_lshl_or_b32 v22, v46, 9, v48
	v_cvt_pkrtz_f16_f32 v14, v32, v20
	ds_read_b128 v[28:31], v22
	v_cmp_ne_u16_sdwa s[12:13], v16, v23 src0_sel:BYTE_0 src1_sel:DWORD
	s_waitcnt lgkmcnt(0)
	v_mfma_f32_16x16x16f16 v[32:35], v[14:15], v[28:29], 0
	v_cvt_pkrtz_f16_f32 v14, v21, v24
	v_cvt_pkrtz_f16_f32 v15, v18, v25
	s_nop 1
	v_mfma_f32_16x16x16f16 v[18:21], v[14:15], v[30:31], v[32:35]
	s_and_saveexec_b64 s[10:11], s[12:13]
	s_cbranch_execz .LBB590_455
; %bb.450:
	s_movk_i32 s7, 0x80
	v_cmp_ne_u16_sdwa s[14:15], v16, s7 src0_sel:BYTE_0 src1_sel:DWORD
	v_bfrev_b32_e32 v23, 1
	s_and_saveexec_b64 s[12:13], s[14:15]
	s_cbranch_execz .LBB590_454
; %bb.451:
	s_movk_i32 s7, 0x7f
	v_and_b32_e32 v14, 0x7f, v16
	v_cmp_ne_u32_e32 vcc, s7, v14
	v_mov_b32_e32 v23, 0x7f800001
	s_and_saveexec_b64 s[14:15], vcc
	s_cbranch_execz .LBB590_453
; %bb.452:
	v_and_b32_e32 v15, 7, v16
	v_ffbh_u32_e32 v24, v15
	v_min_u32_e32 v27, 32, v24
	v_subrev_u32_e32 v24, 28, v27
	v_lshlrev_b64 v[24:25], v24, v[16:17]
	v_lshrrev_b32_e32 v23, 3, v14
	v_sub_u32_e32 v25, 29, v27
	v_and_b32_e32 v24, 7, v24
	v_cmp_gt_u32_e32 vcc, 8, v14
	v_cndmask_b32_e32 v14, v23, v25, vcc
	v_cndmask_b32_e32 v15, v15, v24, vcc
	v_lshlrev_b32_e32 v23, 24, v16
	v_bfrev_b32_e32 v24, 60
	v_lshlrev_b32_e32 v15, 20, v15
	v_and_b32_e32 v23, 0x80000000, v23
	v_lshl_add_u32 v14, v14, 23, v24
	v_or3_b32 v23, v23, v14, v15
.LBB590_453:
	s_or_b64 exec, exec, s[14:15]
.LBB590_454:
	s_or_b64 exec, exec, s[12:13]
.LBB590_455:
	s_or_b64 exec, exec, s[10:11]
	v_lshrrev_b16_e32 v14, 8, v16
	v_cmp_ne_u16_e32 vcc, 0, v14
	v_mov_b32_e32 v15, 0
	v_mov_b32_e32 v25, 0
	s_and_saveexec_b64 s[10:11], vcc
	s_cbranch_execz .LBB590_461
; %bb.456:
	s_movk_i32 s7, 0x80
	v_cmp_ne_u16_e32 vcc, s7, v14
	v_bfrev_b32_e32 v25, 1
	s_and_saveexec_b64 s[12:13], vcc
	s_cbranch_execz .LBB590_460
; %bb.457:
	s_movk_i32 s7, 0x7f
	v_and_b32_e32 v24, 0x7f, v14
	v_cmp_ne_u32_e32 vcc, s7, v24
	v_mov_b32_e32 v25, 0x7f800001
	s_and_saveexec_b64 s[14:15], vcc
	s_cbranch_execz .LBB590_459
; %bb.458:
	v_and_b32_e32 v25, 7, v14
	v_ffbh_u32_e32 v28, v25
	v_min_u32_e32 v30, 32, v28
	v_subrev_u32_e32 v28, 28, v30
	v_lshlrev_b64 v[28:29], v28, v[14:15]
	v_lshrrev_b32_e32 v27, 3, v24
	v_sub_u32_e32 v14, 29, v30
	v_and_b32_e32 v28, 7, v28
	v_cmp_gt_u32_e32 vcc, 8, v24
	v_cndmask_b32_e32 v14, v27, v14, vcc
	v_cndmask_b32_e32 v24, v25, v28, vcc
	v_lshlrev_b32_e32 v25, 16, v16
	v_bfrev_b32_e32 v27, 60
	v_lshlrev_b32_e32 v24, 20, v24
	v_and_b32_e32 v25, 0x80000000, v25
	v_lshl_add_u32 v14, v14, 23, v27
	v_or3_b32 v25, v25, v14, v24
.LBB590_459:
	s_or_b64 exec, exec, s[14:15]
.LBB590_460:
	s_or_b64 exec, exec, s[12:13]
.LBB590_461:
	s_or_b64 exec, exec, s[10:11]
	s_movk_i32 s7, 0xff
	v_and_b32_sdwa v24, v16, s7 dst_sel:DWORD dst_unused:UNUSED_PAD src0_sel:WORD_1 src1_sel:DWORD
	v_lshrrev_b32_e32 v14, 16, v16
	v_cmp_ne_u16_e32 vcc, 0, v24
	s_and_saveexec_b64 s[10:11], vcc
	s_cbranch_execz .LBB590_467
; %bb.462:
	s_movk_i32 s7, 0x80
	v_cmp_ne_u16_e32 vcc, s7, v24
	v_bfrev_b32_e32 v15, 1
	s_and_saveexec_b64 s[12:13], vcc
	s_cbranch_execz .LBB590_466
; %bb.463:
	v_bfe_u32 v24, v16, 16, 7
	s_movk_i32 s7, 0x7f
	v_cmp_ne_u32_e32 vcc, s7, v24
	v_mov_b32_e32 v15, 0x7f800001
	s_and_saveexec_b64 s[14:15], vcc
	s_cbranch_execz .LBB590_465
; %bb.464:
	v_and_b32_e32 v27, 7, v14
	v_ffbh_u32_e32 v15, v27
	v_min_u32_e32 v29, 32, v15
	v_subrev_u32_e32 v15, 28, v29
	v_lshlrev_b64 v[14:15], v15, v[14:15]
	v_lshrrev_b32_e32 v28, 3, v24
	v_sub_u32_e32 v15, 29, v29
	v_and_b32_e32 v14, 7, v14
	v_cmp_gt_u32_e32 vcc, 8, v24
	v_mov_b32_e32 v24, 24
	v_cndmask_b32_e32 v15, v28, v15, vcc
	v_cndmask_b32_e32 v14, v27, v14, vcc
	v_lshlrev_b32_sdwa v24, v24, v16 dst_sel:DWORD dst_unused:UNUSED_PAD src0_sel:DWORD src1_sel:WORD_1
	v_bfrev_b32_e32 v27, 60
	v_lshlrev_b32_e32 v14, 20, v14
	v_and_b32_e32 v24, 0x80000000, v24
	v_lshl_add_u32 v15, v15, 23, v27
	v_or3_b32 v15, v24, v15, v14
.LBB590_465:
	s_or_b64 exec, exec, s[14:15]
.LBB590_466:
	s_or_b64 exec, exec, s[12:13]
.LBB590_467:
	s_or_b64 exec, exec, s[10:11]
	s_mov_b32 s7, 0xffffff
	v_cmp_lt_u32_e32 vcc, s7, v16
	v_mov_b32_e32 v27, 0
	v_mov_b32_e32 v28, 0
	s_and_saveexec_b64 s[10:11], vcc
	s_cbranch_execz .LBB590_473
; %bb.468:
	v_lshrrev_b32_e32 v14, 24, v16
	s_movk_i32 s7, 0x80
	v_cmp_ne_u32_e32 vcc, s7, v14
	v_bfrev_b32_e32 v28, 1
	s_and_saveexec_b64 s[12:13], vcc
	s_cbranch_execz .LBB590_472
; %bb.469:
	v_bfe_u32 v16, v16, 24, 7
	s_movk_i32 s7, 0x7f
	v_cmp_ne_u32_e32 vcc, s7, v16
	v_mov_b32_e32 v28, 0x7f800001
	s_and_saveexec_b64 s[14:15], vcc
	s_cbranch_execz .LBB590_471
; %bb.470:
	v_and_b32_e32 v24, 7, v14
	v_ffbh_u32_e32 v28, v24
	v_min_u32_e32 v31, 32, v28
	v_subrev_u32_e32 v28, 28, v31
	v_lshlrev_b64 v[28:29], v28, v[14:15]
	v_lshrrev_b32_e32 v30, 3, v16
	v_sub_u32_e32 v29, 29, v31
	v_and_b32_e32 v28, 7, v28
	v_cmp_gt_u32_e32 vcc, 8, v16
	v_cndmask_b32_e32 v16, v30, v29, vcc
	v_cndmask_b32_e32 v24, v24, v28, vcc
	v_lshlrev_b32_e32 v14, 24, v14
	v_bfrev_b32_e32 v28, 60
	v_lshlrev_b32_e32 v24, 20, v24
	v_and_b32_e32 v14, 0x80000000, v14
	v_lshl_add_u32 v16, v16, 23, v28
	v_or3_b32 v28, v14, v16, v24
.LBB590_471:
	s_or_b64 exec, exec, s[14:15]
.LBB590_472:
	s_or_b64 exec, exec, s[12:13]
.LBB590_473:
	s_or_b64 exec, exec, s[10:11]
	v_cmp_ne_u16_sdwa s[12:13], v17, v27 src0_sel:BYTE_0 src1_sel:DWORD
	s_and_saveexec_b64 s[10:11], s[12:13]
	s_cbranch_execz .LBB590_479
; %bb.474:
	s_movk_i32 s7, 0x80
	v_cmp_ne_u16_sdwa s[14:15], v17, s7 src0_sel:BYTE_0 src1_sel:DWORD
	v_bfrev_b32_e32 v27, 1
	s_and_saveexec_b64 s[12:13], s[14:15]
	s_cbranch_execz .LBB590_478
; %bb.475:
	s_movk_i32 s7, 0x7f
	v_and_b32_e32 v14, 0x7f, v17
	v_cmp_ne_u32_e32 vcc, s7, v14
	v_mov_b32_e32 v27, 0x7f800001
	s_and_saveexec_b64 s[14:15], vcc
	s_cbranch_execz .LBB590_477
; %bb.476:
	v_and_b32_e32 v24, 7, v17
	v_ffbh_u32_e32 v29, v24
	v_min_u32_e32 v29, 32, v29
	v_mov_b32_e32 v16, v17
	v_subrev_u32_e32 v30, 28, v29
	v_lshlrev_b64 v[30:31], v30, v[16:17]
	v_lshrrev_b32_e32 v27, 3, v14
	v_sub_u32_e32 v16, 29, v29
	v_and_b32_e32 v29, 7, v30
	v_cmp_gt_u32_e32 vcc, 8, v14
	v_cndmask_b32_e32 v14, v27, v16, vcc
	v_cndmask_b32_e32 v16, v24, v29, vcc
	v_lshlrev_b32_e32 v24, 24, v17
	v_bfrev_b32_e32 v27, 60
	v_lshlrev_b32_e32 v16, 20, v16
	v_and_b32_e32 v24, 0x80000000, v24
	v_lshl_add_u32 v14, v14, 23, v27
	v_or3_b32 v27, v24, v14, v16
.LBB590_477:
	s_or_b64 exec, exec, s[14:15]
.LBB590_478:
	s_or_b64 exec, exec, s[12:13]
.LBB590_479:
	s_or_b64 exec, exec, s[10:11]
	v_lshrrev_b16_e32 v14, 8, v17
	v_cmp_ne_u16_e32 vcc, 0, v14
	v_mov_b32_e32 v16, 0
	v_mov_b32_e32 v29, 0
	s_and_saveexec_b64 s[10:11], vcc
	s_cbranch_execz .LBB590_485
; %bb.480:
	s_movk_i32 s7, 0x80
	v_cmp_ne_u16_e32 vcc, s7, v14
	v_bfrev_b32_e32 v29, 1
	s_and_saveexec_b64 s[12:13], vcc
	s_cbranch_execz .LBB590_484
; %bb.481:
	s_movk_i32 s7, 0x7f
	v_and_b32_e32 v24, 0x7f, v14
	v_cmp_ne_u32_e32 vcc, s7, v24
	v_mov_b32_e32 v29, 0x7f800001
	s_and_saveexec_b64 s[14:15], vcc
	s_cbranch_execz .LBB590_483
; %bb.482:
	v_and_b32_e32 v29, 7, v14
	v_ffbh_u32_e32 v30, v29
	v_min_u32_e32 v33, 32, v30
	v_subrev_u32_e32 v30, 28, v33
	v_lshlrev_b64 v[30:31], v30, v[14:15]
	v_lshrrev_b32_e32 v32, 3, v24
	v_sub_u32_e32 v14, 29, v33
	v_and_b32_e32 v30, 7, v30
	v_cmp_gt_u32_e32 vcc, 8, v24
	v_cndmask_b32_e32 v14, v32, v14, vcc
	v_cndmask_b32_e32 v24, v29, v30, vcc
	v_lshlrev_b32_e32 v29, 16, v17
	v_bfrev_b32_e32 v30, 60
	v_lshlrev_b32_e32 v24, 20, v24
	v_and_b32_e32 v29, 0x80000000, v29
	v_lshl_add_u32 v14, v14, 23, v30
	v_or3_b32 v29, v29, v14, v24
.LBB590_483:
	s_or_b64 exec, exec, s[14:15]
.LBB590_484:
	s_or_b64 exec, exec, s[12:13]
.LBB590_485:
	s_or_b64 exec, exec, s[10:11]
	s_movk_i32 s7, 0xff
	v_and_b32_sdwa v24, v17, s7 dst_sel:DWORD dst_unused:UNUSED_PAD src0_sel:WORD_1 src1_sel:DWORD
	v_lshrrev_b32_e32 v14, 16, v17
	v_cmp_ne_u16_e32 vcc, 0, v24
	s_and_saveexec_b64 s[10:11], vcc
	s_cbranch_execz .LBB590_491
; %bb.486:
	s_movk_i32 s7, 0x80
	v_cmp_ne_u16_e32 vcc, s7, v24
	v_bfrev_b32_e32 v16, 1
	s_and_saveexec_b64 s[12:13], vcc
	s_cbranch_execz .LBB590_490
; %bb.487:
	v_bfe_u32 v24, v17, 16, 7
	s_movk_i32 s7, 0x7f
	v_cmp_ne_u32_e32 vcc, s7, v24
	v_mov_b32_e32 v16, 0x7f800001
	s_and_saveexec_b64 s[14:15], vcc
	s_cbranch_execz .LBB590_489
; %bb.488:
	v_and_b32_e32 v16, 7, v14
	v_ffbh_u32_e32 v30, v16
	v_min_u32_e32 v33, 32, v30
	v_subrev_u32_e32 v30, 28, v33
	v_lshlrev_b64 v[30:31], v30, v[14:15]
	v_lshrrev_b32_e32 v32, 3, v24
	v_sub_u32_e32 v14, 29, v33
	v_and_b32_e32 v30, 7, v30
	v_cmp_gt_u32_e32 vcc, 8, v24
	v_mov_b32_e32 v24, 24
	v_cndmask_b32_e32 v14, v32, v14, vcc
	v_cndmask_b32_e32 v16, v16, v30, vcc
	v_lshlrev_b32_sdwa v24, v24, v17 dst_sel:DWORD dst_unused:UNUSED_PAD src0_sel:DWORD src1_sel:WORD_1
	v_bfrev_b32_e32 v30, 60
	v_lshlrev_b32_e32 v16, 20, v16
	v_and_b32_e32 v24, 0x80000000, v24
	v_lshl_add_u32 v14, v14, 23, v30
	v_or3_b32 v16, v24, v14, v16
.LBB590_489:
	s_or_b64 exec, exec, s[14:15]
.LBB590_490:
	s_or_b64 exec, exec, s[12:13]
.LBB590_491:
	s_or_b64 exec, exec, s[10:11]
	s_mov_b32 s7, 0xffffff
	v_cmp_lt_u32_e32 vcc, s7, v17
	v_mov_b32_e32 v24, 0
	v_mov_b32_e32 v30, 0
	s_and_saveexec_b64 s[10:11], vcc
	s_cbranch_execz .LBB590_497
; %bb.492:
	v_lshrrev_b32_e32 v14, 24, v17
	s_movk_i32 s7, 0x80
	v_cmp_ne_u32_e32 vcc, s7, v14
	v_bfrev_b32_e32 v30, 1
	s_and_saveexec_b64 s[12:13], vcc
	s_cbranch_execz .LBB590_496
; %bb.493:
	v_bfe_u32 v17, v17, 24, 7
	s_movk_i32 s7, 0x7f
	v_cmp_ne_u32_e32 vcc, s7, v17
	v_mov_b32_e32 v30, 0x7f800001
	s_and_saveexec_b64 s[14:15], vcc
	s_cbranch_execz .LBB590_495
; %bb.494:
	v_and_b32_e32 v32, 7, v14
	v_ffbh_u32_e32 v30, v32
	v_min_u32_e32 v34, 32, v30
	v_subrev_u32_e32 v30, 28, v34
	v_lshlrev_b64 v[30:31], v30, v[14:15]
	v_lshrrev_b32_e32 v33, 3, v17
	v_sub_u32_e32 v31, 29, v34
	v_and_b32_e32 v30, 7, v30
	v_cmp_gt_u32_e32 vcc, 8, v17
	v_cndmask_b32_e32 v17, v33, v31, vcc
	v_cndmask_b32_e32 v30, v32, v30, vcc
	v_lshlrev_b32_e32 v14, 24, v14
	v_bfrev_b32_e32 v31, 60
	v_lshlrev_b32_e32 v30, 20, v30
	v_and_b32_e32 v14, 0x80000000, v14
	v_lshl_add_u32 v17, v17, 23, v31
	v_or3_b32 v30, v14, v17, v30
.LBB590_495:
	s_or_b64 exec, exec, s[14:15]
.LBB590_496:
	s_or_b64 exec, exec, s[12:13]
.LBB590_497:
	s_or_b64 exec, exec, s[10:11]
	v_cvt_pkrtz_f16_f32 v14, v23, v25
	v_cvt_pkrtz_f16_f32 v15, v15, v28
	ds_read_b128 v[32:35], v22 offset:16
	s_waitcnt vmcnt(2)
	v_cmp_ne_u16_sdwa s[12:13], v10, v24 src0_sel:BYTE_0 src1_sel:DWORD
	s_waitcnt lgkmcnt(0)
	v_mfma_f32_16x16x16f16 v[18:21], v[14:15], v[32:33], v[18:21]
	v_cvt_pkrtz_f16_f32 v14, v27, v29
	v_cvt_pkrtz_f16_f32 v15, v16, v30
	s_nop 1
	v_mfma_f32_16x16x16f16 v[14:17], v[14:15], v[34:35], v[18:21]
	s_and_saveexec_b64 s[10:11], s[12:13]
	s_cbranch_execz .LBB590_503
; %bb.498:
	s_movk_i32 s7, 0x80
	v_cmp_ne_u16_sdwa s[14:15], v10, s7 src0_sel:BYTE_0 src1_sel:DWORD
	v_bfrev_b32_e32 v24, 1
	s_and_saveexec_b64 s[12:13], s[14:15]
	s_cbranch_execz .LBB590_502
; %bb.499:
	s_movk_i32 s7, 0x7f
	v_and_b32_e32 v18, 0x7f, v10
	v_cmp_ne_u32_e32 vcc, s7, v18
	v_mov_b32_e32 v24, 0x7f800001
	s_and_saveexec_b64 s[14:15], vcc
	s_cbranch_execz .LBB590_501
; %bb.500:
	v_and_b32_e32 v19, 7, v10
	v_ffbh_u32_e32 v20, v19
	v_min_u32_e32 v24, 32, v20
	v_subrev_u32_e32 v20, 28, v24
	v_lshlrev_b64 v[20:21], v20, v[10:11]
	v_lshrrev_b32_e32 v23, 3, v18
	v_sub_u32_e32 v21, 29, v24
	v_and_b32_e32 v20, 7, v20
	v_cmp_gt_u32_e32 vcc, 8, v18
	v_cndmask_b32_e32 v18, v23, v21, vcc
	v_cndmask_b32_e32 v19, v19, v20, vcc
	v_lshlrev_b32_e32 v20, 24, v10
	v_bfrev_b32_e32 v21, 60
	v_lshlrev_b32_e32 v19, 20, v19
	v_and_b32_e32 v20, 0x80000000, v20
	v_lshl_add_u32 v18, v18, 23, v21
	v_or3_b32 v24, v20, v18, v19
.LBB590_501:
	s_or_b64 exec, exec, s[14:15]
.LBB590_502:
	s_or_b64 exec, exec, s[12:13]
.LBB590_503:
	s_or_b64 exec, exec, s[10:11]
	s_nop 3
	v_lshrrev_b16_e32 v18, 8, v10
	v_cmp_ne_u16_e32 vcc, 0, v18
	v_mov_b32_e32 v19, 0
	v_mov_b32_e32 v20, 0
	s_and_saveexec_b64 s[10:11], vcc
	s_cbranch_execz .LBB590_509
; %bb.504:
	s_movk_i32 s7, 0x80
	v_cmp_ne_u16_e32 vcc, s7, v18
	v_bfrev_b32_e32 v20, 1
	s_and_saveexec_b64 s[12:13], vcc
	s_cbranch_execz .LBB590_508
; %bb.505:
	s_movk_i32 s7, 0x7f
	v_and_b32_e32 v21, 0x7f, v18
	v_cmp_ne_u32_e32 vcc, s7, v21
	v_mov_b32_e32 v20, 0x7f800001
	s_and_saveexec_b64 s[14:15], vcc
	s_cbranch_execz .LBB590_507
; %bb.506:
	v_and_b32_e32 v20, 7, v18
	v_ffbh_u32_e32 v25, v20
	v_min_u32_e32 v25, 32, v25
	v_subrev_u32_e32 v27, 28, v25
	v_lshlrev_b64 v[28:29], v27, v[18:19]
	v_lshrrev_b32_e32 v23, 3, v21
	v_sub_u32_e32 v18, 29, v25
	v_and_b32_e32 v25, 7, v28
	v_cmp_gt_u32_e32 vcc, 8, v21
	v_cndmask_b32_e32 v18, v23, v18, vcc
	v_cndmask_b32_e32 v20, v20, v25, vcc
	v_lshlrev_b32_e32 v21, 16, v10
	v_bfrev_b32_e32 v23, 60
	v_lshlrev_b32_e32 v20, 20, v20
	v_and_b32_e32 v21, 0x80000000, v21
	v_lshl_add_u32 v18, v18, 23, v23
	v_or3_b32 v20, v21, v18, v20
.LBB590_507:
	s_or_b64 exec, exec, s[14:15]
.LBB590_508:
	s_or_b64 exec, exec, s[12:13]
.LBB590_509:
	s_or_b64 exec, exec, s[10:11]
	s_movk_i32 s7, 0xff
	v_and_b32_sdwa v21, v10, s7 dst_sel:DWORD dst_unused:UNUSED_PAD src0_sel:WORD_1 src1_sel:DWORD
	v_lshrrev_b32_e32 v18, 16, v10
	v_cmp_ne_u16_e32 vcc, 0, v21
	s_and_saveexec_b64 s[10:11], vcc
	s_cbranch_execz .LBB590_515
; %bb.510:
	s_movk_i32 s7, 0x80
	v_cmp_ne_u16_e32 vcc, s7, v21
	v_bfrev_b32_e32 v19, 1
	s_and_saveexec_b64 s[12:13], vcc
	s_cbranch_execz .LBB590_514
; %bb.511:
	v_bfe_u32 v21, v10, 16, 7
	s_movk_i32 s7, 0x7f
	v_cmp_ne_u32_e32 vcc, s7, v21
	v_mov_b32_e32 v19, 0x7f800001
	s_and_saveexec_b64 s[14:15], vcc
	s_cbranch_execz .LBB590_513
; %bb.512:
	v_and_b32_e32 v23, 7, v18
	v_ffbh_u32_e32 v19, v23
	v_min_u32_e32 v27, 32, v19
	v_subrev_u32_e32 v19, 28, v27
	v_lshlrev_b64 v[18:19], v19, v[18:19]
	v_lshrrev_b32_e32 v25, 3, v21
	v_sub_u32_e32 v19, 29, v27
	v_and_b32_e32 v18, 7, v18
	v_cmp_gt_u32_e32 vcc, 8, v21
	v_mov_b32_e32 v21, 24
	v_cndmask_b32_e32 v19, v25, v19, vcc
	v_cndmask_b32_e32 v18, v23, v18, vcc
	v_lshlrev_b32_sdwa v21, v21, v10 dst_sel:DWORD dst_unused:UNUSED_PAD src0_sel:DWORD src1_sel:WORD_1
	v_bfrev_b32_e32 v23, 60
	v_lshlrev_b32_e32 v18, 20, v18
	v_and_b32_e32 v21, 0x80000000, v21
	v_lshl_add_u32 v19, v19, 23, v23
	v_or3_b32 v19, v21, v19, v18
.LBB590_513:
	s_or_b64 exec, exec, s[14:15]
.LBB590_514:
	s_or_b64 exec, exec, s[12:13]
.LBB590_515:
	s_or_b64 exec, exec, s[10:11]
	s_mov_b32 s7, 0xffffff
	v_cmp_lt_u32_e32 vcc, s7, v10
	v_mov_b32_e32 v21, 0
	v_mov_b32_e32 v23, 0
	s_and_saveexec_b64 s[10:11], vcc
	s_cbranch_execz .LBB590_521
; %bb.516:
	v_lshrrev_b32_e32 v18, 24, v10
	s_movk_i32 s7, 0x80
	v_cmp_ne_u32_e32 vcc, s7, v18
	v_bfrev_b32_e32 v23, 1
	s_and_saveexec_b64 s[12:13], vcc
	s_cbranch_execz .LBB590_520
; %bb.517:
	v_bfe_u32 v10, v10, 24, 7
	s_movk_i32 s7, 0x7f
	v_cmp_ne_u32_e32 vcc, s7, v10
	v_mov_b32_e32 v23, 0x7f800001
	s_and_saveexec_b64 s[14:15], vcc
	s_cbranch_execz .LBB590_519
; %bb.518:
	v_and_b32_e32 v23, 7, v18
	v_ffbh_u32_e32 v27, v23
	v_min_u32_e32 v27, 32, v27
	v_subrev_u32_e32 v28, 28, v27
	v_lshlrev_b64 v[28:29], v28, v[18:19]
	v_lshrrev_b32_e32 v25, 3, v10
	v_sub_u32_e32 v27, 29, v27
	v_and_b32_e32 v28, 7, v28
	v_cmp_gt_u32_e32 vcc, 8, v10
	v_cndmask_b32_e32 v10, v25, v27, vcc
	v_cndmask_b32_e32 v23, v23, v28, vcc
	v_lshlrev_b32_e32 v18, 24, v18
	v_bfrev_b32_e32 v25, 60
	v_lshlrev_b32_e32 v23, 20, v23
	v_and_b32_e32 v18, 0x80000000, v18
	v_lshl_add_u32 v10, v10, 23, v25
	v_or3_b32 v23, v18, v10, v23
.LBB590_519:
	s_or_b64 exec, exec, s[14:15]
.LBB590_520:
	s_or_b64 exec, exec, s[12:13]
.LBB590_521:
	s_or_b64 exec, exec, s[10:11]
	v_cmp_ne_u16_sdwa s[12:13], v11, v21 src0_sel:BYTE_0 src1_sel:DWORD
	s_and_saveexec_b64 s[10:11], s[12:13]
	s_cbranch_execz .LBB590_527
; %bb.522:
	s_movk_i32 s7, 0x80
	v_cmp_ne_u16_sdwa s[14:15], v11, s7 src0_sel:BYTE_0 src1_sel:DWORD
	v_bfrev_b32_e32 v21, 1
	s_and_saveexec_b64 s[12:13], s[14:15]
	s_cbranch_execz .LBB590_526
; %bb.523:
	s_movk_i32 s7, 0x7f
	v_and_b32_e32 v10, 0x7f, v11
	v_cmp_ne_u32_e32 vcc, s7, v10
	v_mov_b32_e32 v21, 0x7f800001
	s_and_saveexec_b64 s[14:15], vcc
	s_cbranch_execz .LBB590_525
; %bb.524:
	v_and_b32_e32 v21, 7, v11
	v_ffbh_u32_e32 v27, v21
	v_min_u32_e32 v27, 32, v27
	v_mov_b32_e32 v18, v11
	v_subrev_u32_e32 v28, 28, v27
	v_lshlrev_b64 v[28:29], v28, v[18:19]
	v_lshrrev_b32_e32 v25, 3, v10
	v_sub_u32_e32 v18, 29, v27
	v_and_b32_e32 v27, 7, v28
	v_cmp_gt_u32_e32 vcc, 8, v10
	v_cndmask_b32_e32 v10, v25, v18, vcc
	v_cndmask_b32_e32 v18, v21, v27, vcc
	v_lshlrev_b32_e32 v21, 24, v11
	v_bfrev_b32_e32 v25, 60
	v_lshlrev_b32_e32 v18, 20, v18
	v_and_b32_e32 v21, 0x80000000, v21
	v_lshl_add_u32 v10, v10, 23, v25
	v_or3_b32 v21, v21, v10, v18
.LBB590_525:
	s_or_b64 exec, exec, s[14:15]
.LBB590_526:
	s_or_b64 exec, exec, s[12:13]
.LBB590_527:
	s_or_b64 exec, exec, s[10:11]
	v_lshrrev_b16_e32 v10, 8, v11
	v_cmp_ne_u16_e32 vcc, 0, v10
	v_mov_b32_e32 v25, 0
	v_mov_b32_e32 v27, 0
	s_and_saveexec_b64 s[10:11], vcc
	s_cbranch_execz .LBB590_533
; %bb.528:
	s_movk_i32 s7, 0x80
	v_cmp_ne_u16_e32 vcc, s7, v10
	v_bfrev_b32_e32 v27, 1
	s_and_saveexec_b64 s[12:13], vcc
	s_cbranch_execz .LBB590_532
; %bb.529:
	s_movk_i32 s7, 0x7f
	v_and_b32_e32 v18, 0x7f, v10
	v_cmp_ne_u32_e32 vcc, s7, v18
	v_mov_b32_e32 v27, 0x7f800001
	s_and_saveexec_b64 s[14:15], vcc
	s_cbranch_execz .LBB590_531
; %bb.530:
	v_and_b32_e32 v27, 7, v10
	v_ffbh_u32_e32 v28, v27
	v_min_u32_e32 v31, 32, v28
	v_subrev_u32_e32 v28, 28, v31
	v_lshlrev_b64 v[28:29], v28, v[10:11]
	v_lshrrev_b32_e32 v30, 3, v18
	v_sub_u32_e32 v10, 29, v31
	v_and_b32_e32 v28, 7, v28
	v_cmp_gt_u32_e32 vcc, 8, v18
	v_cndmask_b32_e32 v10, v30, v10, vcc
	v_cndmask_b32_e32 v18, v27, v28, vcc
	v_lshlrev_b32_e32 v27, 16, v11
	v_bfrev_b32_e32 v28, 60
	v_lshlrev_b32_e32 v18, 20, v18
	v_and_b32_e32 v27, 0x80000000, v27
	v_lshl_add_u32 v10, v10, 23, v28
	v_or3_b32 v27, v27, v10, v18
.LBB590_531:
	s_or_b64 exec, exec, s[14:15]
.LBB590_532:
	s_or_b64 exec, exec, s[12:13]
.LBB590_533:
	s_or_b64 exec, exec, s[10:11]
	s_movk_i32 s7, 0xff
	v_and_b32_sdwa v18, v11, s7 dst_sel:DWORD dst_unused:UNUSED_PAD src0_sel:WORD_1 src1_sel:DWORD
	v_lshrrev_b32_e32 v10, 16, v11
	v_cmp_ne_u16_e32 vcc, 0, v18
	s_and_saveexec_b64 s[10:11], vcc
	s_cbranch_execz .LBB590_539
; %bb.534:
	s_movk_i32 s7, 0x80
	v_cmp_ne_u16_e32 vcc, s7, v18
	v_bfrev_b32_e32 v25, 1
	s_and_saveexec_b64 s[12:13], vcc
	s_cbranch_execz .LBB590_538
; %bb.535:
	v_bfe_u32 v18, v11, 16, 7
	s_movk_i32 s7, 0x7f
	v_cmp_ne_u32_e32 vcc, s7, v18
	v_mov_b32_e32 v25, 0x7f800001
	s_and_saveexec_b64 s[14:15], vcc
	s_cbranch_execz .LBB590_537
; %bb.536:
	v_and_b32_e32 v25, 7, v10
	v_ffbh_u32_e32 v28, v25
	v_min_u32_e32 v31, 32, v28
	v_subrev_u32_e32 v28, 28, v31
	v_lshlrev_b64 v[28:29], v28, v[10:11]
	v_and_b32_e32 v28, 7, v28
	v_cmp_gt_u32_e32 vcc, 8, v18
	v_lshrrev_b32_e32 v30, 3, v18
	v_sub_u32_e32 v10, 29, v31
	v_cndmask_b32_e32 v18, v25, v28, vcc
	v_mov_b32_e32 v25, 24
	v_cndmask_b32_e32 v10, v30, v10, vcc
	v_lshlrev_b32_sdwa v25, v25, v11 dst_sel:DWORD dst_unused:UNUSED_PAD src0_sel:DWORD src1_sel:WORD_1
	v_bfrev_b32_e32 v28, 60
	v_lshlrev_b32_e32 v18, 20, v18
	v_and_b32_e32 v25, 0x80000000, v25
	v_lshl_add_u32 v10, v10, 23, v28
	v_or3_b32 v25, v25, v10, v18
.LBB590_537:
	s_or_b64 exec, exec, s[14:15]
.LBB590_538:
	s_or_b64 exec, exec, s[12:13]
.LBB590_539:
	s_or_b64 exec, exec, s[10:11]
	s_mov_b32 s7, 0xffffff
	v_cmp_lt_u32_e32 vcc, s7, v11
	v_mov_b32_e32 v18, 0
	v_mov_b32_e32 v28, 0
	s_and_saveexec_b64 s[10:11], vcc
	s_cbranch_execz .LBB590_545
; %bb.540:
	v_lshrrev_b32_e32 v10, 24, v11
	s_movk_i32 s7, 0x80
	v_cmp_ne_u32_e32 vcc, s7, v10
	v_bfrev_b32_e32 v28, 1
	s_and_saveexec_b64 s[12:13], vcc
	s_cbranch_execz .LBB590_544
; %bb.541:
	v_bfe_u32 v11, v11, 24, 7
	s_movk_i32 s7, 0x7f
	v_cmp_ne_u32_e32 vcc, s7, v11
	v_mov_b32_e32 v28, 0x7f800001
	s_and_saveexec_b64 s[14:15], vcc
	s_cbranch_execz .LBB590_543
; %bb.542:
	v_and_b32_e32 v30, 7, v10
	v_ffbh_u32_e32 v28, v30
	v_min_u32_e32 v32, 32, v28
	v_subrev_u32_e32 v28, 28, v32
	v_lshlrev_b64 v[28:29], v28, v[10:11]
	v_lshrrev_b32_e32 v31, 3, v11
	v_sub_u32_e32 v29, 29, v32
	v_and_b32_e32 v28, 7, v28
	v_cmp_gt_u32_e32 vcc, 8, v11
	v_cndmask_b32_e32 v11, v31, v29, vcc
	v_cndmask_b32_e32 v28, v30, v28, vcc
	v_lshlrev_b32_e32 v10, 24, v10
	v_bfrev_b32_e32 v29, 60
	v_lshlrev_b32_e32 v28, 20, v28
	v_and_b32_e32 v10, 0x80000000, v10
	v_lshl_add_u32 v11, v11, 23, v29
	v_or3_b32 v28, v10, v11, v28
.LBB590_543:
	s_or_b64 exec, exec, s[14:15]
.LBB590_544:
	s_or_b64 exec, exec, s[12:13]
.LBB590_545:
	s_or_b64 exec, exec, s[10:11]
	v_cvt_pkrtz_f16_f32 v10, v24, v20
	v_cvt_pkrtz_f16_f32 v11, v19, v23
	ds_read_b128 v[30:33], v22 offset:2048
	v_cmp_ne_u16_sdwa s[12:13], v12, v18 src0_sel:BYTE_0 src1_sel:DWORD
	s_waitcnt lgkmcnt(0)
	v_mfma_f32_16x16x16f16 v[14:17], v[10:11], v[30:31], v[14:17]
	v_cvt_pkrtz_f16_f32 v10, v21, v27
	v_cvt_pkrtz_f16_f32 v11, v25, v28
	s_nop 1
	v_mfma_f32_16x16x16f16 v[14:17], v[10:11], v[32:33], v[14:17]
	s_and_saveexec_b64 s[10:11], s[12:13]
	s_cbranch_execz .LBB590_551
; %bb.546:
	s_movk_i32 s7, 0x80
	v_cmp_ne_u16_sdwa s[14:15], v12, s7 src0_sel:BYTE_0 src1_sel:DWORD
	v_bfrev_b32_e32 v18, 1
	s_and_saveexec_b64 s[12:13], s[14:15]
	s_cbranch_execz .LBB590_550
; %bb.547:
	s_movk_i32 s7, 0x7f
	v_and_b32_e32 v10, 0x7f, v12
	v_cmp_ne_u32_e32 vcc, s7, v10
	v_mov_b32_e32 v18, 0x7f800001
	s_and_saveexec_b64 s[14:15], vcc
	s_cbranch_execz .LBB590_549
; %bb.548:
	v_and_b32_e32 v11, 7, v12
	v_ffbh_u32_e32 v18, v11
	v_min_u32_e32 v21, 32, v18
	v_subrev_u32_e32 v18, 28, v21
	v_lshlrev_b64 v[18:19], v18, v[12:13]
	v_lshrrev_b32_e32 v20, 3, v10
	v_sub_u32_e32 v19, 29, v21
	v_and_b32_e32 v18, 7, v18
	v_cmp_gt_u32_e32 vcc, 8, v10
	v_cndmask_b32_e32 v10, v20, v19, vcc
	v_cndmask_b32_e32 v11, v11, v18, vcc
	v_lshlrev_b32_e32 v18, 24, v12
	v_bfrev_b32_e32 v19, 60
	v_lshlrev_b32_e32 v11, 20, v11
	v_and_b32_e32 v18, 0x80000000, v18
	v_lshl_add_u32 v10, v10, 23, v19
	v_or3_b32 v18, v18, v10, v11
.LBB590_549:
	s_or_b64 exec, exec, s[14:15]
.LBB590_550:
	s_or_b64 exec, exec, s[12:13]
.LBB590_551:
	s_or_b64 exec, exec, s[10:11]
	v_lshrrev_b16_e32 v10, 8, v12
	v_cmp_ne_u16_e32 vcc, 0, v10
	v_mov_b32_e32 v11, 0
	v_mov_b32_e32 v20, 0
	s_and_saveexec_b64 s[10:11], vcc
	s_cbranch_execz .LBB590_557
; %bb.552:
	s_movk_i32 s7, 0x80
	v_cmp_ne_u16_e32 vcc, s7, v10
	v_bfrev_b32_e32 v20, 1
	s_and_saveexec_b64 s[12:13], vcc
	s_cbranch_execz .LBB590_556
; %bb.553:
	s_movk_i32 s7, 0x7f
	v_and_b32_e32 v19, 0x7f, v10
	v_cmp_ne_u32_e32 vcc, s7, v19
	v_mov_b32_e32 v20, 0x7f800001
	s_and_saveexec_b64 s[14:15], vcc
	s_cbranch_execz .LBB590_555
; %bb.554:
	v_and_b32_e32 v23, 7, v10
	v_ffbh_u32_e32 v20, v23
	v_min_u32_e32 v25, 32, v20
	v_subrev_u32_e32 v20, 28, v25
	v_lshlrev_b64 v[20:21], v20, v[10:11]
	v_lshrrev_b32_e32 v24, 3, v19
	v_sub_u32_e32 v10, 29, v25
	v_and_b32_e32 v20, 7, v20
	v_cmp_gt_u32_e32 vcc, 8, v19
	v_cndmask_b32_e32 v10, v24, v10, vcc
	v_cndmask_b32_e32 v19, v23, v20, vcc
	v_lshlrev_b32_e32 v20, 16, v12
	v_bfrev_b32_e32 v21, 60
	v_lshlrev_b32_e32 v19, 20, v19
	v_and_b32_e32 v20, 0x80000000, v20
	v_lshl_add_u32 v10, v10, 23, v21
	v_or3_b32 v20, v20, v10, v19
.LBB590_555:
	s_or_b64 exec, exec, s[14:15]
.LBB590_556:
	s_or_b64 exec, exec, s[12:13]
.LBB590_557:
	s_or_b64 exec, exec, s[10:11]
	s_movk_i32 s7, 0xff
	v_and_b32_sdwa v19, v12, s7 dst_sel:DWORD dst_unused:UNUSED_PAD src0_sel:WORD_1 src1_sel:DWORD
	v_lshrrev_b32_e32 v10, 16, v12
	v_cmp_ne_u16_e32 vcc, 0, v19
	s_and_saveexec_b64 s[10:11], vcc
	s_cbranch_execz .LBB590_563
; %bb.558:
	s_movk_i32 s7, 0x80
	v_cmp_ne_u16_e32 vcc, s7, v19
	v_bfrev_b32_e32 v11, 1
	s_and_saveexec_b64 s[12:13], vcc
	s_cbranch_execz .LBB590_562
; %bb.559:
	v_bfe_u32 v19, v12, 16, 7
	s_movk_i32 s7, 0x7f
	v_cmp_ne_u32_e32 vcc, s7, v19
	v_mov_b32_e32 v11, 0x7f800001
	s_and_saveexec_b64 s[14:15], vcc
	s_cbranch_execz .LBB590_561
; %bb.560:
	v_and_b32_e32 v21, 7, v10
	v_ffbh_u32_e32 v11, v21
	v_min_u32_e32 v24, 32, v11
	v_subrev_u32_e32 v11, 28, v24
	v_lshlrev_b64 v[10:11], v11, v[10:11]
	v_lshrrev_b32_e32 v23, 3, v19
	v_sub_u32_e32 v11, 29, v24
	v_and_b32_e32 v10, 7, v10
	v_cmp_gt_u32_e32 vcc, 8, v19
	v_mov_b32_e32 v19, 24
	v_cndmask_b32_e32 v11, v23, v11, vcc
	v_cndmask_b32_e32 v10, v21, v10, vcc
	v_lshlrev_b32_sdwa v19, v19, v12 dst_sel:DWORD dst_unused:UNUSED_PAD src0_sel:DWORD src1_sel:WORD_1
	v_bfrev_b32_e32 v21, 60
	v_lshlrev_b32_e32 v10, 20, v10
	v_and_b32_e32 v19, 0x80000000, v19
	v_lshl_add_u32 v11, v11, 23, v21
	v_or3_b32 v11, v19, v11, v10
.LBB590_561:
	s_or_b64 exec, exec, s[14:15]
.LBB590_562:
	s_or_b64 exec, exec, s[12:13]
.LBB590_563:
	s_or_b64 exec, exec, s[10:11]
	s_mov_b32 s7, 0xffffff
	v_cmp_lt_u32_e32 vcc, s7, v12
	v_mov_b32_e32 v21, 0
	v_mov_b32_e32 v23, 0
	s_and_saveexec_b64 s[10:11], vcc
	s_cbranch_execz .LBB590_569
; %bb.564:
	v_lshrrev_b32_e32 v10, 24, v12
	s_movk_i32 s7, 0x80
	v_cmp_ne_u32_e32 vcc, s7, v10
	v_bfrev_b32_e32 v23, 1
	s_and_saveexec_b64 s[12:13], vcc
	s_cbranch_execz .LBB590_568
; %bb.565:
	v_bfe_u32 v12, v12, 24, 7
	s_movk_i32 s7, 0x7f
	v_cmp_ne_u32_e32 vcc, s7, v12
	v_mov_b32_e32 v23, 0x7f800001
	s_and_saveexec_b64 s[14:15], vcc
	s_cbranch_execz .LBB590_567
; %bb.566:
	v_and_b32_e32 v19, 7, v10
	v_ffbh_u32_e32 v24, v19
	v_min_u32_e32 v27, 32, v24
	v_subrev_u32_e32 v24, 28, v27
	v_lshlrev_b64 v[24:25], v24, v[10:11]
	v_lshrrev_b32_e32 v23, 3, v12
	v_sub_u32_e32 v25, 29, v27
	v_and_b32_e32 v24, 7, v24
	v_cmp_gt_u32_e32 vcc, 8, v12
	v_cndmask_b32_e32 v12, v23, v25, vcc
	v_cndmask_b32_e32 v19, v19, v24, vcc
	v_lshlrev_b32_e32 v10, 24, v10
	v_bfrev_b32_e32 v23, 60
	v_lshlrev_b32_e32 v19, 20, v19
	v_and_b32_e32 v10, 0x80000000, v10
	v_lshl_add_u32 v12, v12, 23, v23
	v_or3_b32 v23, v10, v12, v19
.LBB590_567:
	s_or_b64 exec, exec, s[14:15]
.LBB590_568:
	s_or_b64 exec, exec, s[12:13]
.LBB590_569:
	s_or_b64 exec, exec, s[10:11]
	v_cmp_ne_u16_sdwa s[12:13], v13, v21 src0_sel:BYTE_0 src1_sel:DWORD
	s_and_saveexec_b64 s[10:11], s[12:13]
	s_cbranch_execz .LBB590_575
; %bb.570:
	s_movk_i32 s7, 0x80
	v_cmp_ne_u16_sdwa s[14:15], v13, s7 src0_sel:BYTE_0 src1_sel:DWORD
	v_bfrev_b32_e32 v21, 1
	s_and_saveexec_b64 s[12:13], s[14:15]
	s_cbranch_execz .LBB590_574
; %bb.571:
	s_movk_i32 s7, 0x7f
	v_and_b32_e32 v10, 0x7f, v13
	v_cmp_ne_u32_e32 vcc, s7, v10
	v_mov_b32_e32 v21, 0x7f800001
	s_and_saveexec_b64 s[14:15], vcc
	s_cbranch_execz .LBB590_573
; %bb.572:
	v_and_b32_e32 v19, 7, v13
	v_ffbh_u32_e32 v24, v19
	v_min_u32_e32 v27, 32, v24
	v_mov_b32_e32 v12, v13
	v_subrev_u32_e32 v24, 28, v27
	v_lshlrev_b64 v[24:25], v24, v[12:13]
	v_lshrrev_b32_e32 v21, 3, v10
	v_sub_u32_e32 v12, 29, v27
	v_and_b32_e32 v24, 7, v24
	v_cmp_gt_u32_e32 vcc, 8, v10
	v_cndmask_b32_e32 v10, v21, v12, vcc
	v_cndmask_b32_e32 v12, v19, v24, vcc
	v_lshlrev_b32_e32 v19, 24, v13
	v_bfrev_b32_e32 v21, 60
	v_lshlrev_b32_e32 v12, 20, v12
	v_and_b32_e32 v19, 0x80000000, v19
	v_lshl_add_u32 v10, v10, 23, v21
	v_or3_b32 v21, v19, v10, v12
.LBB590_573:
	s_or_b64 exec, exec, s[14:15]
.LBB590_574:
	s_or_b64 exec, exec, s[12:13]
.LBB590_575:
	s_or_b64 exec, exec, s[10:11]
	v_lshrrev_b16_e32 v10, 8, v13
	v_cmp_ne_u16_e32 vcc, 0, v10
	v_mov_b32_e32 v12, 0
	v_mov_b32_e32 v24, 0
	s_and_saveexec_b64 s[10:11], vcc
	s_cbranch_execz .LBB590_581
; %bb.576:
	s_movk_i32 s7, 0x80
	v_cmp_ne_u16_e32 vcc, s7, v10
	v_bfrev_b32_e32 v24, 1
	s_and_saveexec_b64 s[12:13], vcc
	s_cbranch_execz .LBB590_580
; %bb.577:
	s_movk_i32 s7, 0x7f
	v_and_b32_e32 v19, 0x7f, v10
	v_cmp_ne_u32_e32 vcc, s7, v19
	v_mov_b32_e32 v24, 0x7f800001
	s_and_saveexec_b64 s[14:15], vcc
	s_cbranch_execz .LBB590_579
; %bb.578:
	v_and_b32_e32 v27, 7, v10
	v_ffbh_u32_e32 v24, v27
	v_min_u32_e32 v29, 32, v24
	v_subrev_u32_e32 v24, 28, v29
	v_lshlrev_b64 v[24:25], v24, v[10:11]
	v_lshrrev_b32_e32 v28, 3, v19
	v_sub_u32_e32 v10, 29, v29
	v_and_b32_e32 v24, 7, v24
	v_cmp_gt_u32_e32 vcc, 8, v19
	v_cndmask_b32_e32 v10, v28, v10, vcc
	v_cndmask_b32_e32 v19, v27, v24, vcc
	v_lshlrev_b32_e32 v24, 16, v13
	v_bfrev_b32_e32 v25, 60
	v_lshlrev_b32_e32 v19, 20, v19
	v_and_b32_e32 v24, 0x80000000, v24
	v_lshl_add_u32 v10, v10, 23, v25
	v_or3_b32 v24, v24, v10, v19
.LBB590_579:
	s_or_b64 exec, exec, s[14:15]
.LBB590_580:
	s_or_b64 exec, exec, s[12:13]
.LBB590_581:
	s_or_b64 exec, exec, s[10:11]
	s_movk_i32 s7, 0xff
	v_and_b32_sdwa v19, v13, s7 dst_sel:DWORD dst_unused:UNUSED_PAD src0_sel:WORD_1 src1_sel:DWORD
	v_lshrrev_b32_e32 v10, 16, v13
	v_cmp_ne_u16_e32 vcc, 0, v19
	s_and_saveexec_b64 s[10:11], vcc
	s_cbranch_execz .LBB590_587
; %bb.582:
	s_movk_i32 s7, 0x80
	v_cmp_ne_u16_e32 vcc, s7, v19
	v_bfrev_b32_e32 v12, 1
	s_and_saveexec_b64 s[12:13], vcc
	s_cbranch_execz .LBB590_586
; %bb.583:
	v_bfe_u32 v19, v13, 16, 7
	s_movk_i32 s7, 0x7f
	v_cmp_ne_u32_e32 vcc, s7, v19
	v_mov_b32_e32 v12, 0x7f800001
	s_and_saveexec_b64 s[14:15], vcc
	s_cbranch_execz .LBB590_585
; %bb.584:
	v_and_b32_e32 v12, 7, v10
	v_ffbh_u32_e32 v27, v12
	v_min_u32_e32 v27, 32, v27
	v_subrev_u32_e32 v28, 28, v27
	v_lshlrev_b64 v[28:29], v28, v[10:11]
	v_lshrrev_b32_e32 v25, 3, v19
	v_sub_u32_e32 v10, 29, v27
	v_and_b32_e32 v27, 7, v28
	v_cmp_gt_u32_e32 vcc, 8, v19
	v_mov_b32_e32 v19, 24
	v_cndmask_b32_e32 v10, v25, v10, vcc
	v_cndmask_b32_e32 v12, v12, v27, vcc
	v_lshlrev_b32_sdwa v19, v19, v13 dst_sel:DWORD dst_unused:UNUSED_PAD src0_sel:DWORD src1_sel:WORD_1
	v_bfrev_b32_e32 v25, 60
	v_lshlrev_b32_e32 v12, 20, v12
	v_and_b32_e32 v19, 0x80000000, v19
	v_lshl_add_u32 v10, v10, 23, v25
	v_or3_b32 v12, v19, v10, v12
.LBB590_585:
	s_or_b64 exec, exec, s[14:15]
.LBB590_586:
	s_or_b64 exec, exec, s[12:13]
.LBB590_587:
	s_or_b64 exec, exec, s[10:11]
	s_mov_b32 s7, 0xffffff
	v_cmp_lt_u32_e32 vcc, s7, v13
	v_mov_b32_e32 v19, 0
	v_mov_b32_e32 v25, 0
	s_and_saveexec_b64 s[10:11], vcc
	s_cbranch_execz .LBB590_593
; %bb.588:
	v_lshrrev_b32_e32 v10, 24, v13
	s_movk_i32 s7, 0x80
	v_cmp_ne_u32_e32 vcc, s7, v10
	v_bfrev_b32_e32 v25, 1
	s_and_saveexec_b64 s[12:13], vcc
	s_cbranch_execz .LBB590_592
; %bb.589:
	v_bfe_u32 v13, v13, 24, 7
	s_movk_i32 s7, 0x7f
	v_cmp_ne_u32_e32 vcc, s7, v13
	v_mov_b32_e32 v25, 0x7f800001
	s_and_saveexec_b64 s[14:15], vcc
	s_cbranch_execz .LBB590_591
; %bb.590:
	v_and_b32_e32 v25, 7, v10
	v_ffbh_u32_e32 v28, v25
	v_min_u32_e32 v30, 32, v28
	v_subrev_u32_e32 v28, 28, v30
	v_lshlrev_b64 v[28:29], v28, v[10:11]
	v_lshrrev_b32_e32 v27, 3, v13
	v_sub_u32_e32 v29, 29, v30
	v_and_b32_e32 v28, 7, v28
	v_cmp_gt_u32_e32 vcc, 8, v13
	v_cndmask_b32_e32 v13, v27, v29, vcc
	v_cndmask_b32_e32 v25, v25, v28, vcc
	v_lshlrev_b32_e32 v10, 24, v10
	v_bfrev_b32_e32 v27, 60
	v_lshlrev_b32_e32 v25, 20, v25
	v_and_b32_e32 v10, 0x80000000, v10
	v_lshl_add_u32 v13, v13, 23, v27
	v_or3_b32 v25, v10, v13, v25
.LBB590_591:
	s_or_b64 exec, exec, s[14:15]
.LBB590_592:
	s_or_b64 exec, exec, s[12:13]
.LBB590_593:
	s_or_b64 exec, exec, s[10:11]
	v_cvt_pkrtz_f16_f32 v10, v18, v20
	v_cvt_pkrtz_f16_f32 v11, v11, v23
	ds_read_b128 v[28:31], v22 offset:2064
	s_waitcnt vmcnt(1)
	v_cmp_ne_u16_sdwa s[12:13], v6, v19 src0_sel:BYTE_0 src1_sel:DWORD
	s_waitcnt lgkmcnt(0)
	v_mfma_f32_16x16x16f16 v[14:17], v[10:11], v[28:29], v[14:17]
	v_cvt_pkrtz_f16_f32 v10, v21, v24
	v_cvt_pkrtz_f16_f32 v11, v12, v25
	s_nop 1
	v_mfma_f32_16x16x16f16 v[10:13], v[10:11], v[30:31], v[14:17]
	s_and_saveexec_b64 s[10:11], s[12:13]
	s_cbranch_execz .LBB590_599
; %bb.594:
	s_movk_i32 s7, 0x80
	v_cmp_ne_u16_sdwa s[14:15], v6, s7 src0_sel:BYTE_0 src1_sel:DWORD
	v_bfrev_b32_e32 v19, 1
	s_and_saveexec_b64 s[12:13], s[14:15]
	s_cbranch_execz .LBB590_598
; %bb.595:
	s_movk_i32 s7, 0x7f
	v_and_b32_e32 v14, 0x7f, v6
	v_cmp_ne_u32_e32 vcc, s7, v14
	v_mov_b32_e32 v19, 0x7f800001
	s_and_saveexec_b64 s[14:15], vcc
	s_cbranch_execz .LBB590_597
; %bb.596:
	v_and_b32_e32 v15, 7, v6
	v_ffbh_u32_e32 v16, v15
	v_min_u32_e32 v19, 32, v16
	v_subrev_u32_e32 v16, 28, v19
	v_lshlrev_b64 v[16:17], v16, v[6:7]
	v_lshrrev_b32_e32 v18, 3, v14
	v_sub_u32_e32 v17, 29, v19
	v_and_b32_e32 v16, 7, v16
	v_cmp_gt_u32_e32 vcc, 8, v14
	v_cndmask_b32_e32 v14, v18, v17, vcc
	v_cndmask_b32_e32 v15, v15, v16, vcc
	v_lshlrev_b32_e32 v16, 24, v6
	v_bfrev_b32_e32 v17, 60
	v_lshlrev_b32_e32 v15, 20, v15
	v_and_b32_e32 v16, 0x80000000, v16
	v_lshl_add_u32 v14, v14, 23, v17
	v_or3_b32 v19, v16, v14, v15
.LBB590_597:
	s_or_b64 exec, exec, s[14:15]
.LBB590_598:
	s_or_b64 exec, exec, s[12:13]
.LBB590_599:
	s_or_b64 exec, exec, s[10:11]
	s_nop 3
	v_lshrrev_b16_e32 v14, 8, v6
	v_cmp_ne_u16_e32 vcc, 0, v14
	v_mov_b32_e32 v15, 0
	v_mov_b32_e32 v16, 0
	s_and_saveexec_b64 s[10:11], vcc
	s_cbranch_execz .LBB590_605
; %bb.600:
	s_movk_i32 s7, 0x80
	v_cmp_ne_u16_e32 vcc, s7, v14
	v_bfrev_b32_e32 v16, 1
	s_and_saveexec_b64 s[12:13], vcc
	s_cbranch_execz .LBB590_604
; %bb.601:
	s_movk_i32 s7, 0x7f
	v_and_b32_e32 v17, 0x7f, v14
	v_cmp_ne_u32_e32 vcc, s7, v17
	v_mov_b32_e32 v16, 0x7f800001
	s_and_saveexec_b64 s[14:15], vcc
	s_cbranch_execz .LBB590_603
; %bb.602:
	v_and_b32_e32 v16, 7, v14
	v_ffbh_u32_e32 v20, v16
	v_min_u32_e32 v23, 32, v20
	v_subrev_u32_e32 v20, 28, v23
	v_lshlrev_b64 v[20:21], v20, v[14:15]
	v_lshrrev_b32_e32 v18, 3, v17
	v_sub_u32_e32 v14, 29, v23
	v_and_b32_e32 v20, 7, v20
	v_cmp_gt_u32_e32 vcc, 8, v17
	v_cndmask_b32_e32 v14, v18, v14, vcc
	v_cndmask_b32_e32 v16, v16, v20, vcc
	v_lshlrev_b32_e32 v17, 16, v6
	v_bfrev_b32_e32 v18, 60
	v_lshlrev_b32_e32 v16, 20, v16
	v_and_b32_e32 v17, 0x80000000, v17
	v_lshl_add_u32 v14, v14, 23, v18
	v_or3_b32 v16, v17, v14, v16
.LBB590_603:
	s_or_b64 exec, exec, s[14:15]
.LBB590_604:
	s_or_b64 exec, exec, s[12:13]
.LBB590_605:
	s_or_b64 exec, exec, s[10:11]
	s_movk_i32 s7, 0xff
	v_and_b32_sdwa v17, v6, s7 dst_sel:DWORD dst_unused:UNUSED_PAD src0_sel:WORD_1 src1_sel:DWORD
	v_lshrrev_b32_e32 v14, 16, v6
	v_cmp_ne_u16_e32 vcc, 0, v17
	s_and_saveexec_b64 s[10:11], vcc
	s_cbranch_execz .LBB590_611
; %bb.606:
	s_movk_i32 s7, 0x80
	v_cmp_ne_u16_e32 vcc, s7, v17
	v_bfrev_b32_e32 v15, 1
	s_and_saveexec_b64 s[12:13], vcc
	s_cbranch_execz .LBB590_610
; %bb.607:
	v_bfe_u32 v17, v6, 16, 7
	s_movk_i32 s7, 0x7f
	v_cmp_ne_u32_e32 vcc, s7, v17
	v_mov_b32_e32 v15, 0x7f800001
	s_and_saveexec_b64 s[14:15], vcc
	s_cbranch_execz .LBB590_609
; %bb.608:
	v_and_b32_e32 v18, 7, v14
	v_ffbh_u32_e32 v15, v18
	v_min_u32_e32 v21, 32, v15
	v_subrev_u32_e32 v15, 28, v21
	v_lshlrev_b64 v[14:15], v15, v[14:15]
	v_lshrrev_b32_e32 v20, 3, v17
	v_sub_u32_e32 v15, 29, v21
	v_and_b32_e32 v14, 7, v14
	v_cmp_gt_u32_e32 vcc, 8, v17
	v_mov_b32_e32 v17, 24
	v_cndmask_b32_e32 v15, v20, v15, vcc
	v_cndmask_b32_e32 v14, v18, v14, vcc
	v_lshlrev_b32_sdwa v17, v17, v6 dst_sel:DWORD dst_unused:UNUSED_PAD src0_sel:DWORD src1_sel:WORD_1
	v_bfrev_b32_e32 v18, 60
	v_lshlrev_b32_e32 v14, 20, v14
	v_and_b32_e32 v17, 0x80000000, v17
	v_lshl_add_u32 v15, v15, 23, v18
	v_or3_b32 v15, v17, v15, v14
.LBB590_609:
	s_or_b64 exec, exec, s[14:15]
.LBB590_610:
	s_or_b64 exec, exec, s[12:13]
.LBB590_611:
	s_or_b64 exec, exec, s[10:11]
	s_mov_b32 s7, 0xffffff
	v_cmp_lt_u32_e32 vcc, s7, v6
	v_mov_b32_e32 v17, 0
	v_mov_b32_e32 v18, 0
	s_and_saveexec_b64 s[10:11], vcc
	s_cbranch_execz .LBB590_617
; %bb.612:
	v_lshrrev_b32_e32 v14, 24, v6
	s_movk_i32 s7, 0x80
	v_cmp_ne_u32_e32 vcc, s7, v14
	v_bfrev_b32_e32 v18, 1
	s_and_saveexec_b64 s[12:13], vcc
	s_cbranch_execz .LBB590_616
; %bb.613:
	v_bfe_u32 v6, v6, 24, 7
	s_movk_i32 s7, 0x7f
	v_cmp_ne_u32_e32 vcc, s7, v6
	v_mov_b32_e32 v18, 0x7f800001
	s_and_saveexec_b64 s[14:15], vcc
	s_cbranch_execz .LBB590_615
; %bb.614:
	v_and_b32_e32 v18, 7, v14
	v_ffbh_u32_e32 v20, v18
	v_min_u32_e32 v24, 32, v20
	v_subrev_u32_e32 v20, 28, v24
	v_lshlrev_b64 v[20:21], v20, v[14:15]
	v_lshrrev_b32_e32 v23, 3, v6
	v_sub_u32_e32 v21, 29, v24
	v_and_b32_e32 v20, 7, v20
	v_cmp_gt_u32_e32 vcc, 8, v6
	v_cndmask_b32_e32 v6, v23, v21, vcc
	v_cndmask_b32_e32 v18, v18, v20, vcc
	v_lshlrev_b32_e32 v14, 24, v14
	v_bfrev_b32_e32 v20, 60
	v_lshlrev_b32_e32 v18, 20, v18
	v_and_b32_e32 v14, 0x80000000, v14
	v_lshl_add_u32 v6, v6, 23, v20
	v_or3_b32 v18, v14, v6, v18
.LBB590_615:
	s_or_b64 exec, exec, s[14:15]
.LBB590_616:
	s_or_b64 exec, exec, s[12:13]
.LBB590_617:
	s_or_b64 exec, exec, s[10:11]
	v_cmp_ne_u16_sdwa s[12:13], v7, v17 src0_sel:BYTE_0 src1_sel:DWORD
	s_and_saveexec_b64 s[10:11], s[12:13]
	s_cbranch_execz .LBB590_623
; %bb.618:
	s_movk_i32 s7, 0x80
	v_cmp_ne_u16_sdwa s[14:15], v7, s7 src0_sel:BYTE_0 src1_sel:DWORD
	v_bfrev_b32_e32 v17, 1
	s_and_saveexec_b64 s[12:13], s[14:15]
	s_cbranch_execz .LBB590_622
; %bb.619:
	s_movk_i32 s7, 0x7f
	v_and_b32_e32 v6, 0x7f, v7
	v_cmp_ne_u32_e32 vcc, s7, v6
	v_mov_b32_e32 v17, 0x7f800001
	s_and_saveexec_b64 s[14:15], vcc
	s_cbranch_execz .LBB590_621
; %bb.620:
	v_and_b32_e32 v17, 7, v7
	v_ffbh_u32_e32 v20, v17
	v_min_u32_e32 v24, 32, v20
	v_mov_b32_e32 v14, v7
	v_subrev_u32_e32 v20, 28, v24
	v_lshlrev_b64 v[20:21], v20, v[14:15]
	v_lshrrev_b32_e32 v23, 3, v6
	v_sub_u32_e32 v14, 29, v24
	v_and_b32_e32 v20, 7, v20
	v_cmp_gt_u32_e32 vcc, 8, v6
	v_cndmask_b32_e32 v6, v23, v14, vcc
	v_cndmask_b32_e32 v14, v17, v20, vcc
	v_lshlrev_b32_e32 v17, 24, v7
	v_bfrev_b32_e32 v20, 60
	v_lshlrev_b32_e32 v14, 20, v14
	v_and_b32_e32 v17, 0x80000000, v17
	v_lshl_add_u32 v6, v6, 23, v20
	v_or3_b32 v17, v17, v6, v14
.LBB590_621:
	s_or_b64 exec, exec, s[14:15]
.LBB590_622:
	s_or_b64 exec, exec, s[12:13]
.LBB590_623:
	s_or_b64 exec, exec, s[10:11]
	v_lshrrev_b16_e32 v6, 8, v7
	v_cmp_ne_u16_e32 vcc, 0, v6
	v_mov_b32_e32 v20, 0
	v_mov_b32_e32 v21, 0
	s_and_saveexec_b64 s[10:11], vcc
	s_cbranch_execz .LBB590_629
; %bb.624:
	s_movk_i32 s7, 0x80
	v_cmp_ne_u16_e32 vcc, s7, v6
	v_bfrev_b32_e32 v21, 1
	s_and_saveexec_b64 s[12:13], vcc
	s_cbranch_execz .LBB590_628
; %bb.625:
	s_movk_i32 s7, 0x7f
	v_and_b32_e32 v14, 0x7f, v6
	v_cmp_ne_u32_e32 vcc, s7, v14
	v_mov_b32_e32 v21, 0x7f800001
	s_and_saveexec_b64 s[14:15], vcc
	s_cbranch_execz .LBB590_627
; %bb.626:
	v_and_b32_e32 v21, 7, v6
	v_ffbh_u32_e32 v24, v21
	v_min_u32_e32 v27, 32, v24
	v_subrev_u32_e32 v24, 28, v27
	v_lshlrev_b64 v[24:25], v24, v[6:7]
	v_lshrrev_b32_e32 v23, 3, v14
	v_sub_u32_e32 v6, 29, v27
	v_and_b32_e32 v24, 7, v24
	v_cmp_gt_u32_e32 vcc, 8, v14
	v_cndmask_b32_e32 v6, v23, v6, vcc
	v_cndmask_b32_e32 v14, v21, v24, vcc
	v_lshlrev_b32_e32 v21, 16, v7
	v_bfrev_b32_e32 v23, 60
	v_lshlrev_b32_e32 v14, 20, v14
	v_and_b32_e32 v21, 0x80000000, v21
	v_lshl_add_u32 v6, v6, 23, v23
	v_or3_b32 v21, v21, v6, v14
.LBB590_627:
	s_or_b64 exec, exec, s[14:15]
.LBB590_628:
	s_or_b64 exec, exec, s[12:13]
.LBB590_629:
	s_or_b64 exec, exec, s[10:11]
	s_movk_i32 s7, 0xff
	v_and_b32_sdwa v14, v7, s7 dst_sel:DWORD dst_unused:UNUSED_PAD src0_sel:WORD_1 src1_sel:DWORD
	v_lshrrev_b32_e32 v6, 16, v7
	v_cmp_ne_u16_e32 vcc, 0, v14
	s_and_saveexec_b64 s[10:11], vcc
	s_cbranch_execz .LBB590_635
; %bb.630:
	s_movk_i32 s7, 0x80
	v_cmp_ne_u16_e32 vcc, s7, v14
	v_bfrev_b32_e32 v20, 1
	s_and_saveexec_b64 s[12:13], vcc
	s_cbranch_execz .LBB590_634
; %bb.631:
	v_bfe_u32 v14, v7, 16, 7
	s_movk_i32 s7, 0x7f
	v_cmp_ne_u32_e32 vcc, s7, v14
	v_mov_b32_e32 v20, 0x7f800001
	s_and_saveexec_b64 s[14:15], vcc
	s_cbranch_execz .LBB590_633
; %bb.632:
	v_and_b32_e32 v20, 7, v6
	v_ffbh_u32_e32 v24, v20
	v_min_u32_e32 v27, 32, v24
	v_subrev_u32_e32 v24, 28, v27
	v_lshlrev_b64 v[24:25], v24, v[6:7]
	v_and_b32_e32 v24, 7, v24
	v_cmp_gt_u32_e32 vcc, 8, v14
	v_lshrrev_b32_e32 v23, 3, v14
	v_sub_u32_e32 v6, 29, v27
	v_cndmask_b32_e32 v14, v20, v24, vcc
	v_mov_b32_e32 v20, 24
	v_cndmask_b32_e32 v6, v23, v6, vcc
	v_lshlrev_b32_sdwa v20, v20, v7 dst_sel:DWORD dst_unused:UNUSED_PAD src0_sel:DWORD src1_sel:WORD_1
	v_bfrev_b32_e32 v23, 60
	v_lshlrev_b32_e32 v14, 20, v14
	v_and_b32_e32 v20, 0x80000000, v20
	v_lshl_add_u32 v6, v6, 23, v23
	v_or3_b32 v20, v20, v6, v14
.LBB590_633:
	s_or_b64 exec, exec, s[14:15]
.LBB590_634:
	s_or_b64 exec, exec, s[12:13]
.LBB590_635:
	s_or_b64 exec, exec, s[10:11]
	s_mov_b32 s7, 0xffffff
	v_cmp_lt_u32_e32 vcc, s7, v7
	v_mov_b32_e32 v14, 0
	v_mov_b32_e32 v23, 0
	s_and_saveexec_b64 s[10:11], vcc
	s_cbranch_execz .LBB590_641
; %bb.636:
	v_lshrrev_b32_e32 v6, 24, v7
	s_movk_i32 s7, 0x80
	v_cmp_ne_u32_e32 vcc, s7, v6
	v_bfrev_b32_e32 v23, 1
	s_and_saveexec_b64 s[12:13], vcc
	s_cbranch_execz .LBB590_640
; %bb.637:
	v_bfe_u32 v7, v7, 24, 7
	s_movk_i32 s7, 0x7f
	v_cmp_ne_u32_e32 vcc, s7, v7
	v_mov_b32_e32 v23, 0x7f800001
	s_and_saveexec_b64 s[14:15], vcc
	s_cbranch_execz .LBB590_639
; %bb.638:
	v_and_b32_e32 v23, 7, v6
	v_ffbh_u32_e32 v24, v23
	v_min_u32_e32 v28, 32, v24
	v_subrev_u32_e32 v24, 28, v28
	v_lshlrev_b64 v[24:25], v24, v[6:7]
	v_lshrrev_b32_e32 v27, 3, v7
	v_sub_u32_e32 v25, 29, v28
	v_and_b32_e32 v24, 7, v24
	v_cmp_gt_u32_e32 vcc, 8, v7
	v_cndmask_b32_e32 v7, v27, v25, vcc
	v_cndmask_b32_e32 v23, v23, v24, vcc
	v_lshlrev_b32_e32 v6, 24, v6
	v_bfrev_b32_e32 v24, 60
	v_lshlrev_b32_e32 v23, 20, v23
	v_and_b32_e32 v6, 0x80000000, v6
	v_lshl_add_u32 v7, v7, 23, v24
	v_or3_b32 v23, v6, v7, v23
.LBB590_639:
	s_or_b64 exec, exec, s[14:15]
.LBB590_640:
	s_or_b64 exec, exec, s[12:13]
.LBB590_641:
	s_or_b64 exec, exec, s[10:11]
	v_cvt_pkrtz_f16_f32 v6, v19, v16
	v_cvt_pkrtz_f16_f32 v7, v15, v18
	ds_read_b128 v[28:31], v22 offset:4096
	v_cmp_ne_u16_sdwa s[12:13], v8, v14 src0_sel:BYTE_0 src1_sel:DWORD
	s_waitcnt lgkmcnt(0)
	v_mfma_f32_16x16x16f16 v[10:13], v[6:7], v[28:29], v[10:13]
	v_cvt_pkrtz_f16_f32 v6, v17, v21
	v_cvt_pkrtz_f16_f32 v7, v20, v23
	s_nop 1
	v_mfma_f32_16x16x16f16 v[10:13], v[6:7], v[30:31], v[10:13]
	s_and_saveexec_b64 s[10:11], s[12:13]
	s_cbranch_execz .LBB590_647
; %bb.642:
	s_movk_i32 s7, 0x80
	v_cmp_ne_u16_sdwa s[14:15], v8, s7 src0_sel:BYTE_0 src1_sel:DWORD
	v_bfrev_b32_e32 v14, 1
	s_and_saveexec_b64 s[12:13], s[14:15]
	s_cbranch_execz .LBB590_646
; %bb.643:
	s_movk_i32 s7, 0x7f
	v_and_b32_e32 v6, 0x7f, v8
	v_cmp_ne_u32_e32 vcc, s7, v6
	v_mov_b32_e32 v14, 0x7f800001
	s_and_saveexec_b64 s[14:15], vcc
	s_cbranch_execz .LBB590_645
; %bb.644:
	v_and_b32_e32 v7, 7, v8
	v_ffbh_u32_e32 v14, v7
	v_min_u32_e32 v17, 32, v14
	v_subrev_u32_e32 v14, 28, v17
	v_lshlrev_b64 v[14:15], v14, v[8:9]
	v_lshrrev_b32_e32 v16, 3, v6
	v_sub_u32_e32 v15, 29, v17
	v_and_b32_e32 v14, 7, v14
	v_cmp_gt_u32_e32 vcc, 8, v6
	v_cndmask_b32_e32 v6, v16, v15, vcc
	v_cndmask_b32_e32 v7, v7, v14, vcc
	v_lshlrev_b32_e32 v14, 24, v8
	v_bfrev_b32_e32 v15, 60
	v_lshlrev_b32_e32 v7, 20, v7
	v_and_b32_e32 v14, 0x80000000, v14
	v_lshl_add_u32 v6, v6, 23, v15
	v_or3_b32 v14, v14, v6, v7
.LBB590_645:
	s_or_b64 exec, exec, s[14:15]
.LBB590_646:
	s_or_b64 exec, exec, s[12:13]
.LBB590_647:
	s_or_b64 exec, exec, s[10:11]
	v_lshrrev_b16_e32 v6, 8, v8
	v_cmp_ne_u16_e32 vcc, 0, v6
	v_mov_b32_e32 v7, 0
	v_mov_b32_e32 v16, 0
	s_and_saveexec_b64 s[10:11], vcc
	s_cbranch_execz .LBB590_653
; %bb.648:
	s_movk_i32 s7, 0x80
	v_cmp_ne_u16_e32 vcc, s7, v6
	v_bfrev_b32_e32 v16, 1
	s_and_saveexec_b64 s[12:13], vcc
	s_cbranch_execz .LBB590_652
; %bb.649:
	s_movk_i32 s7, 0x7f
	v_and_b32_e32 v15, 0x7f, v6
	v_cmp_ne_u32_e32 vcc, s7, v15
	v_mov_b32_e32 v16, 0x7f800001
	s_and_saveexec_b64 s[14:15], vcc
	s_cbranch_execz .LBB590_651
; %bb.650:
	v_and_b32_e32 v18, 7, v6
	v_ffbh_u32_e32 v16, v18
	v_min_u32_e32 v20, 32, v16
	v_subrev_u32_e32 v16, 28, v20
	v_lshlrev_b64 v[16:17], v16, v[6:7]
	v_lshrrev_b32_e32 v19, 3, v15
	v_sub_u32_e32 v6, 29, v20
	v_and_b32_e32 v16, 7, v16
	v_cmp_gt_u32_e32 vcc, 8, v15
	v_cndmask_b32_e32 v6, v19, v6, vcc
	v_cndmask_b32_e32 v15, v18, v16, vcc
	v_lshlrev_b32_e32 v16, 16, v8
	v_bfrev_b32_e32 v17, 60
	v_lshlrev_b32_e32 v15, 20, v15
	v_and_b32_e32 v16, 0x80000000, v16
	v_lshl_add_u32 v6, v6, 23, v17
	v_or3_b32 v16, v16, v6, v15
.LBB590_651:
	s_or_b64 exec, exec, s[14:15]
.LBB590_652:
	s_or_b64 exec, exec, s[12:13]
.LBB590_653:
	s_or_b64 exec, exec, s[10:11]
	s_movk_i32 s7, 0xff
	v_and_b32_sdwa v15, v8, s7 dst_sel:DWORD dst_unused:UNUSED_PAD src0_sel:WORD_1 src1_sel:DWORD
	v_lshrrev_b32_e32 v6, 16, v8
	v_cmp_ne_u16_e32 vcc, 0, v15
	s_and_saveexec_b64 s[10:11], vcc
	s_cbranch_execz .LBB590_659
; %bb.654:
	s_movk_i32 s7, 0x80
	v_cmp_ne_u16_e32 vcc, s7, v15
	v_bfrev_b32_e32 v7, 1
	s_and_saveexec_b64 s[12:13], vcc
	s_cbranch_execz .LBB590_658
; %bb.655:
	v_bfe_u32 v15, v8, 16, 7
	s_movk_i32 s7, 0x7f
	v_cmp_ne_u32_e32 vcc, s7, v15
	v_mov_b32_e32 v7, 0x7f800001
	s_and_saveexec_b64 s[14:15], vcc
	s_cbranch_execz .LBB590_657
; %bb.656:
	v_and_b32_e32 v17, 7, v6
	v_ffbh_u32_e32 v7, v17
	v_min_u32_e32 v19, 32, v7
	v_subrev_u32_e32 v7, 28, v19
	v_lshlrev_b64 v[6:7], v7, v[6:7]
	v_lshrrev_b32_e32 v18, 3, v15
	v_sub_u32_e32 v7, 29, v19
	v_and_b32_e32 v6, 7, v6
	v_cmp_gt_u32_e32 vcc, 8, v15
	v_mov_b32_e32 v15, 24
	v_cndmask_b32_e32 v7, v18, v7, vcc
	v_cndmask_b32_e32 v6, v17, v6, vcc
	v_lshlrev_b32_sdwa v15, v15, v8 dst_sel:DWORD dst_unused:UNUSED_PAD src0_sel:DWORD src1_sel:WORD_1
	v_bfrev_b32_e32 v17, 60
	v_lshlrev_b32_e32 v6, 20, v6
	v_and_b32_e32 v15, 0x80000000, v15
	v_lshl_add_u32 v7, v7, 23, v17
	v_or3_b32 v7, v15, v7, v6
.LBB590_657:
	s_or_b64 exec, exec, s[14:15]
.LBB590_658:
	s_or_b64 exec, exec, s[12:13]
.LBB590_659:
	s_or_b64 exec, exec, s[10:11]
	s_mov_b32 s7, 0xffffff
	v_cmp_lt_u32_e32 vcc, s7, v8
	v_mov_b32_e32 v17, 0
	v_mov_b32_e32 v18, 0
	s_and_saveexec_b64 s[10:11], vcc
	s_cbranch_execz .LBB590_665
; %bb.660:
	v_lshrrev_b32_e32 v6, 24, v8
	s_movk_i32 s7, 0x80
	v_cmp_ne_u32_e32 vcc, s7, v6
	v_bfrev_b32_e32 v18, 1
	s_and_saveexec_b64 s[12:13], vcc
	s_cbranch_execz .LBB590_664
; %bb.661:
	v_bfe_u32 v8, v8, 24, 7
	s_movk_i32 s7, 0x7f
	v_cmp_ne_u32_e32 vcc, s7, v8
	v_mov_b32_e32 v18, 0x7f800001
	s_and_saveexec_b64 s[14:15], vcc
	s_cbranch_execz .LBB590_663
; %bb.662:
	v_and_b32_e32 v15, 7, v6
	v_ffbh_u32_e32 v18, v15
	v_min_u32_e32 v21, 32, v18
	v_subrev_u32_e32 v18, 28, v21
	v_lshlrev_b64 v[18:19], v18, v[6:7]
	v_lshrrev_b32_e32 v20, 3, v8
	v_sub_u32_e32 v19, 29, v21
	v_and_b32_e32 v18, 7, v18
	v_cmp_gt_u32_e32 vcc, 8, v8
	v_cndmask_b32_e32 v8, v20, v19, vcc
	v_cndmask_b32_e32 v15, v15, v18, vcc
	v_lshlrev_b32_e32 v6, 24, v6
	v_bfrev_b32_e32 v18, 60
	v_lshlrev_b32_e32 v15, 20, v15
	v_and_b32_e32 v6, 0x80000000, v6
	v_lshl_add_u32 v8, v8, 23, v18
	v_or3_b32 v18, v6, v8, v15
.LBB590_663:
	s_or_b64 exec, exec, s[14:15]
.LBB590_664:
	s_or_b64 exec, exec, s[12:13]
.LBB590_665:
	s_or_b64 exec, exec, s[10:11]
	v_cmp_ne_u16_sdwa s[12:13], v9, v17 src0_sel:BYTE_0 src1_sel:DWORD
	s_and_saveexec_b64 s[10:11], s[12:13]
	s_cbranch_execz .LBB590_671
; %bb.666:
	s_movk_i32 s7, 0x80
	v_cmp_ne_u16_sdwa s[14:15], v9, s7 src0_sel:BYTE_0 src1_sel:DWORD
	v_bfrev_b32_e32 v17, 1
	s_and_saveexec_b64 s[12:13], s[14:15]
	s_cbranch_execz .LBB590_670
; %bb.667:
	s_movk_i32 s7, 0x7f
	v_and_b32_e32 v6, 0x7f, v9
	v_cmp_ne_u32_e32 vcc, s7, v6
	v_mov_b32_e32 v17, 0x7f800001
	s_and_saveexec_b64 s[14:15], vcc
	s_cbranch_execz .LBB590_669
; %bb.668:
	v_and_b32_e32 v15, 7, v9
	v_ffbh_u32_e32 v19, v15
	v_min_u32_e32 v19, 32, v19
	v_mov_b32_e32 v8, v9
	v_subrev_u32_e32 v20, 28, v19
	v_lshlrev_b64 v[20:21], v20, v[8:9]
	v_lshrrev_b32_e32 v17, 3, v6
	v_sub_u32_e32 v8, 29, v19
	v_and_b32_e32 v19, 7, v20
	v_cmp_gt_u32_e32 vcc, 8, v6
	v_cndmask_b32_e32 v6, v17, v8, vcc
	v_cndmask_b32_e32 v8, v15, v19, vcc
	v_lshlrev_b32_e32 v15, 24, v9
	v_bfrev_b32_e32 v17, 60
	v_lshlrev_b32_e32 v8, 20, v8
	v_and_b32_e32 v15, 0x80000000, v15
	v_lshl_add_u32 v6, v6, 23, v17
	v_or3_b32 v17, v15, v6, v8
.LBB590_669:
	s_or_b64 exec, exec, s[14:15]
.LBB590_670:
	s_or_b64 exec, exec, s[12:13]
.LBB590_671:
	s_or_b64 exec, exec, s[10:11]
	v_lshrrev_b16_e32 v6, 8, v9
	v_cmp_ne_u16_e32 vcc, 0, v6
	v_mov_b32_e32 v8, 0
	v_mov_b32_e32 v19, 0
	s_and_saveexec_b64 s[10:11], vcc
	s_cbranch_execz .LBB590_677
; %bb.672:
	s_movk_i32 s7, 0x80
	v_cmp_ne_u16_e32 vcc, s7, v6
	v_bfrev_b32_e32 v19, 1
	s_and_saveexec_b64 s[12:13], vcc
	s_cbranch_execz .LBB590_676
; %bb.673:
	s_movk_i32 s7, 0x7f
	v_and_b32_e32 v15, 0x7f, v6
	v_cmp_ne_u32_e32 vcc, s7, v15
	v_mov_b32_e32 v19, 0x7f800001
	s_and_saveexec_b64 s[14:15], vcc
	s_cbranch_execz .LBB590_675
; %bb.674:
	v_and_b32_e32 v19, 7, v6
	v_ffbh_u32_e32 v20, v19
	v_min_u32_e32 v24, 32, v20
	v_subrev_u32_e32 v20, 28, v24
	v_lshlrev_b64 v[20:21], v20, v[6:7]
	v_lshrrev_b32_e32 v23, 3, v15
	v_sub_u32_e32 v6, 29, v24
	v_and_b32_e32 v20, 7, v20
	v_cmp_gt_u32_e32 vcc, 8, v15
	v_cndmask_b32_e32 v6, v23, v6, vcc
	v_cndmask_b32_e32 v15, v19, v20, vcc
	v_lshlrev_b32_e32 v19, 16, v9
	v_bfrev_b32_e32 v20, 60
	v_lshlrev_b32_e32 v15, 20, v15
	v_and_b32_e32 v19, 0x80000000, v19
	v_lshl_add_u32 v6, v6, 23, v20
	v_or3_b32 v19, v19, v6, v15
.LBB590_675:
	s_or_b64 exec, exec, s[14:15]
.LBB590_676:
	s_or_b64 exec, exec, s[12:13]
.LBB590_677:
	s_or_b64 exec, exec, s[10:11]
	s_movk_i32 s7, 0xff
	v_and_b32_sdwa v15, v9, s7 dst_sel:DWORD dst_unused:UNUSED_PAD src0_sel:WORD_1 src1_sel:DWORD
	v_lshrrev_b32_e32 v6, 16, v9
	v_cmp_ne_u16_e32 vcc, 0, v15
	s_and_saveexec_b64 s[10:11], vcc
	s_cbranch_execz .LBB590_683
; %bb.678:
	s_movk_i32 s7, 0x80
	v_cmp_ne_u16_e32 vcc, s7, v15
	v_bfrev_b32_e32 v8, 1
	s_and_saveexec_b64 s[12:13], vcc
	s_cbranch_execz .LBB590_682
; %bb.679:
	v_bfe_u32 v15, v9, 16, 7
	s_movk_i32 s7, 0x7f
	v_cmp_ne_u32_e32 vcc, s7, v15
	v_mov_b32_e32 v8, 0x7f800001
	s_and_saveexec_b64 s[14:15], vcc
	s_cbranch_execz .LBB590_681
; %bb.680:
	v_and_b32_e32 v8, 7, v6
	v_ffbh_u32_e32 v20, v8
	v_min_u32_e32 v24, 32, v20
	v_subrev_u32_e32 v20, 28, v24
	v_lshlrev_b64 v[20:21], v20, v[6:7]
	v_lshrrev_b32_e32 v23, 3, v15
	v_sub_u32_e32 v6, 29, v24
	v_and_b32_e32 v20, 7, v20
	v_cmp_gt_u32_e32 vcc, 8, v15
	v_mov_b32_e32 v15, 24
	v_cndmask_b32_e32 v6, v23, v6, vcc
	v_cndmask_b32_e32 v8, v8, v20, vcc
	v_lshlrev_b32_sdwa v15, v15, v9 dst_sel:DWORD dst_unused:UNUSED_PAD src0_sel:DWORD src1_sel:WORD_1
	v_bfrev_b32_e32 v20, 60
	v_lshlrev_b32_e32 v8, 20, v8
	v_and_b32_e32 v15, 0x80000000, v15
	v_lshl_add_u32 v6, v6, 23, v20
	v_or3_b32 v8, v15, v6, v8
.LBB590_681:
	s_or_b64 exec, exec, s[14:15]
.LBB590_682:
	s_or_b64 exec, exec, s[12:13]
.LBB590_683:
	s_or_b64 exec, exec, s[10:11]
	s_mov_b32 s7, 0xffffff
	v_cmp_lt_u32_e32 vcc, s7, v9
	v_mov_b32_e32 v15, 0
	v_mov_b32_e32 v20, 0
	s_and_saveexec_b64 s[10:11], vcc
	s_cbranch_execz .LBB590_689
; %bb.684:
	v_lshrrev_b32_e32 v6, 24, v9
	s_movk_i32 s7, 0x80
	v_cmp_ne_u32_e32 vcc, s7, v6
	v_bfrev_b32_e32 v20, 1
	s_and_saveexec_b64 s[12:13], vcc
	s_cbranch_execz .LBB590_688
; %bb.685:
	v_bfe_u32 v9, v9, 24, 7
	s_movk_i32 s7, 0x7f
	v_cmp_ne_u32_e32 vcc, s7, v9
	v_mov_b32_e32 v20, 0x7f800001
	s_and_saveexec_b64 s[14:15], vcc
	s_cbranch_execz .LBB590_687
; %bb.686:
	v_and_b32_e32 v23, 7, v6
	v_ffbh_u32_e32 v20, v23
	v_min_u32_e32 v25, 32, v20
	v_subrev_u32_e32 v20, 28, v25
	v_lshlrev_b64 v[20:21], v20, v[6:7]
	v_lshrrev_b32_e32 v24, 3, v9
	v_sub_u32_e32 v21, 29, v25
	v_and_b32_e32 v20, 7, v20
	v_cmp_gt_u32_e32 vcc, 8, v9
	v_cndmask_b32_e32 v9, v24, v21, vcc
	v_cndmask_b32_e32 v20, v23, v20, vcc
	v_lshlrev_b32_e32 v6, 24, v6
	v_bfrev_b32_e32 v21, 60
	v_lshlrev_b32_e32 v20, 20, v20
	v_and_b32_e32 v6, 0x80000000, v6
	v_lshl_add_u32 v9, v9, 23, v21
	v_or3_b32 v20, v6, v9, v20
.LBB590_687:
	s_or_b64 exec, exec, s[14:15]
.LBB590_688:
	s_or_b64 exec, exec, s[12:13]
.LBB590_689:
	s_or_b64 exec, exec, s[10:11]
	v_cvt_pkrtz_f16_f32 v6, v14, v16
	v_cvt_pkrtz_f16_f32 v7, v7, v18
	ds_read_b128 v[28:31], v22 offset:4112
	s_waitcnt vmcnt(0)
	v_cmp_ne_u16_sdwa s[12:13], v2, v15 src0_sel:BYTE_0 src1_sel:DWORD
	s_waitcnt lgkmcnt(0)
	v_mfma_f32_16x16x16f16 v[10:13], v[6:7], v[28:29], v[10:13]
	v_cvt_pkrtz_f16_f32 v6, v17, v19
	v_cvt_pkrtz_f16_f32 v7, v8, v20
	s_nop 1
	v_mfma_f32_16x16x16f16 v[6:9], v[6:7], v[30:31], v[10:13]
	s_and_saveexec_b64 s[10:11], s[12:13]
	s_cbranch_execz .LBB590_695
; %bb.690:
	s_movk_i32 s7, 0x80
	v_cmp_ne_u16_sdwa s[14:15], v2, s7 src0_sel:BYTE_0 src1_sel:DWORD
	v_bfrev_b32_e32 v15, 1
	s_and_saveexec_b64 s[12:13], s[14:15]
	s_cbranch_execz .LBB590_694
; %bb.691:
	s_movk_i32 s7, 0x7f
	v_and_b32_e32 v10, 0x7f, v2
	v_cmp_ne_u32_e32 vcc, s7, v10
	v_mov_b32_e32 v15, 0x7f800001
	s_and_saveexec_b64 s[14:15], vcc
	s_cbranch_execz .LBB590_693
; %bb.692:
	v_and_b32_e32 v11, 7, v2
	v_ffbh_u32_e32 v12, v11
	v_min_u32_e32 v15, 32, v12
	v_subrev_u32_e32 v12, 28, v15
	v_lshlrev_b64 v[12:13], v12, v[2:3]
	v_lshrrev_b32_e32 v14, 3, v10
	v_sub_u32_e32 v13, 29, v15
	v_and_b32_e32 v12, 7, v12
	v_cmp_gt_u32_e32 vcc, 8, v10
	v_cndmask_b32_e32 v10, v14, v13, vcc
	v_cndmask_b32_e32 v11, v11, v12, vcc
	v_lshlrev_b32_e32 v12, 24, v2
	v_bfrev_b32_e32 v13, 60
	v_lshlrev_b32_e32 v11, 20, v11
	v_and_b32_e32 v12, 0x80000000, v12
	v_lshl_add_u32 v10, v10, 23, v13
	v_or3_b32 v15, v12, v10, v11
.LBB590_693:
	s_or_b64 exec, exec, s[14:15]
.LBB590_694:
	s_or_b64 exec, exec, s[12:13]
.LBB590_695:
	s_or_b64 exec, exec, s[10:11]
	s_nop 3
	v_lshrrev_b16_e32 v10, 8, v2
	v_cmp_ne_u16_e32 vcc, 0, v10
	v_mov_b32_e32 v11, 0
	v_mov_b32_e32 v12, 0
	s_and_saveexec_b64 s[10:11], vcc
	s_cbranch_execz .LBB590_701
; %bb.696:
	s_movk_i32 s7, 0x80
	v_cmp_ne_u16_e32 vcc, s7, v10
	v_bfrev_b32_e32 v12, 1
	s_and_saveexec_b64 s[12:13], vcc
	s_cbranch_execz .LBB590_700
; %bb.697:
	s_movk_i32 s7, 0x7f
	v_and_b32_e32 v13, 0x7f, v10
	v_cmp_ne_u32_e32 vcc, s7, v13
	v_mov_b32_e32 v12, 0x7f800001
	s_and_saveexec_b64 s[14:15], vcc
	s_cbranch_execz .LBB590_699
; %bb.698:
	v_and_b32_e32 v12, 7, v10
	v_ffbh_u32_e32 v16, v12
	v_min_u32_e32 v18, 32, v16
	v_subrev_u32_e32 v16, 28, v18
	v_lshlrev_b64 v[16:17], v16, v[10:11]
	v_lshrrev_b32_e32 v14, 3, v13
	v_sub_u32_e32 v10, 29, v18
	v_and_b32_e32 v16, 7, v16
	v_cmp_gt_u32_e32 vcc, 8, v13
	v_cndmask_b32_e32 v10, v14, v10, vcc
	v_cndmask_b32_e32 v12, v12, v16, vcc
	v_lshlrev_b32_e32 v13, 16, v2
	v_bfrev_b32_e32 v14, 60
	v_lshlrev_b32_e32 v12, 20, v12
	v_and_b32_e32 v13, 0x80000000, v13
	v_lshl_add_u32 v10, v10, 23, v14
	v_or3_b32 v12, v13, v10, v12
.LBB590_699:
	s_or_b64 exec, exec, s[14:15]
.LBB590_700:
	s_or_b64 exec, exec, s[12:13]
.LBB590_701:
	s_or_b64 exec, exec, s[10:11]
	s_movk_i32 s7, 0xff
	v_and_b32_sdwa v13, v2, s7 dst_sel:DWORD dst_unused:UNUSED_PAD src0_sel:WORD_1 src1_sel:DWORD
	v_lshrrev_b32_e32 v10, 16, v2
	v_cmp_ne_u16_e32 vcc, 0, v13
	s_and_saveexec_b64 s[10:11], vcc
	s_cbranch_execz .LBB590_707
; %bb.702:
	s_movk_i32 s7, 0x80
	v_cmp_ne_u16_e32 vcc, s7, v13
	v_bfrev_b32_e32 v11, 1
	s_and_saveexec_b64 s[12:13], vcc
	s_cbranch_execz .LBB590_706
; %bb.703:
	v_bfe_u32 v13, v2, 16, 7
	s_movk_i32 s7, 0x7f
	v_cmp_ne_u32_e32 vcc, s7, v13
	v_mov_b32_e32 v11, 0x7f800001
	s_and_saveexec_b64 s[14:15], vcc
	s_cbranch_execz .LBB590_705
; %bb.704:
	v_and_b32_e32 v14, 7, v10
	v_ffbh_u32_e32 v11, v14
	v_min_u32_e32 v17, 32, v11
	v_subrev_u32_e32 v11, 28, v17
	v_lshlrev_b64 v[10:11], v11, v[10:11]
	v_lshrrev_b32_e32 v16, 3, v13
	v_sub_u32_e32 v11, 29, v17
	v_and_b32_e32 v10, 7, v10
	v_cmp_gt_u32_e32 vcc, 8, v13
	v_mov_b32_e32 v13, 24
	v_cndmask_b32_e32 v11, v16, v11, vcc
	v_cndmask_b32_e32 v10, v14, v10, vcc
	v_lshlrev_b32_sdwa v13, v13, v2 dst_sel:DWORD dst_unused:UNUSED_PAD src0_sel:DWORD src1_sel:WORD_1
	v_bfrev_b32_e32 v14, 60
	v_lshlrev_b32_e32 v10, 20, v10
	v_and_b32_e32 v13, 0x80000000, v13
	v_lshl_add_u32 v11, v11, 23, v14
	v_or3_b32 v11, v13, v11, v10
.LBB590_705:
	s_or_b64 exec, exec, s[14:15]
.LBB590_706:
	s_or_b64 exec, exec, s[12:13]
.LBB590_707:
	s_or_b64 exec, exec, s[10:11]
	s_mov_b32 s7, 0xffffff
	v_cmp_lt_u32_e32 vcc, s7, v2
	v_mov_b32_e32 v13, 0
	v_mov_b32_e32 v14, 0
	s_and_saveexec_b64 s[10:11], vcc
	s_cbranch_execz .LBB590_713
; %bb.708:
	v_lshrrev_b32_e32 v10, 24, v2
	s_movk_i32 s7, 0x80
	v_cmp_ne_u32_e32 vcc, s7, v10
	v_bfrev_b32_e32 v14, 1
	s_and_saveexec_b64 s[12:13], vcc
	s_cbranch_execz .LBB590_712
; %bb.709:
	v_bfe_u32 v2, v2, 24, 7
	s_movk_i32 s7, 0x7f
	v_cmp_ne_u32_e32 vcc, s7, v2
	v_mov_b32_e32 v14, 0x7f800001
	s_and_saveexec_b64 s[14:15], vcc
	s_cbranch_execz .LBB590_711
; %bb.710:
	v_and_b32_e32 v14, 7, v10
	v_ffbh_u32_e32 v16, v14
	v_min_u32_e32 v19, 32, v16
	v_subrev_u32_e32 v16, 28, v19
	v_lshlrev_b64 v[16:17], v16, v[10:11]
	v_lshrrev_b32_e32 v18, 3, v2
	v_sub_u32_e32 v17, 29, v19
	v_and_b32_e32 v16, 7, v16
	v_cmp_gt_u32_e32 vcc, 8, v2
	v_cndmask_b32_e32 v2, v18, v17, vcc
	v_cndmask_b32_e32 v14, v14, v16, vcc
	v_lshlrev_b32_e32 v10, 24, v10
	v_bfrev_b32_e32 v16, 60
	v_lshlrev_b32_e32 v14, 20, v14
	v_and_b32_e32 v10, 0x80000000, v10
	v_lshl_add_u32 v2, v2, 23, v16
	v_or3_b32 v14, v10, v2, v14
.LBB590_711:
	s_or_b64 exec, exec, s[14:15]
.LBB590_712:
	s_or_b64 exec, exec, s[12:13]
.LBB590_713:
	s_or_b64 exec, exec, s[10:11]
	v_cmp_ne_u16_sdwa s[12:13], v3, v13 src0_sel:BYTE_0 src1_sel:DWORD
	s_and_saveexec_b64 s[10:11], s[12:13]
	s_cbranch_execz .LBB590_719
; %bb.714:
	s_movk_i32 s7, 0x80
	v_cmp_ne_u16_sdwa s[14:15], v3, s7 src0_sel:BYTE_0 src1_sel:DWORD
	v_bfrev_b32_e32 v13, 1
	s_and_saveexec_b64 s[12:13], s[14:15]
	s_cbranch_execz .LBB590_718
; %bb.715:
	s_movk_i32 s7, 0x7f
	v_and_b32_e32 v2, 0x7f, v3
	v_cmp_ne_u32_e32 vcc, s7, v2
	v_mov_b32_e32 v13, 0x7f800001
	s_and_saveexec_b64 s[14:15], vcc
	s_cbranch_execz .LBB590_717
; %bb.716:
	v_and_b32_e32 v13, 7, v3
	v_ffbh_u32_e32 v16, v13
	v_min_u32_e32 v19, 32, v16
	v_mov_b32_e32 v10, v3
	v_subrev_u32_e32 v16, 28, v19
	v_lshlrev_b64 v[16:17], v16, v[10:11]
	v_lshrrev_b32_e32 v18, 3, v2
	v_sub_u32_e32 v10, 29, v19
	v_and_b32_e32 v16, 7, v16
	v_cmp_gt_u32_e32 vcc, 8, v2
	v_cndmask_b32_e32 v2, v18, v10, vcc
	v_cndmask_b32_e32 v10, v13, v16, vcc
	v_lshlrev_b32_e32 v13, 24, v3
	v_bfrev_b32_e32 v16, 60
	v_lshlrev_b32_e32 v10, 20, v10
	v_and_b32_e32 v13, 0x80000000, v13
	v_lshl_add_u32 v2, v2, 23, v16
	v_or3_b32 v13, v13, v2, v10
.LBB590_717:
	s_or_b64 exec, exec, s[14:15]
.LBB590_718:
	s_or_b64 exec, exec, s[12:13]
.LBB590_719:
	s_or_b64 exec, exec, s[10:11]
	v_lshrrev_b16_e32 v2, 8, v3
	v_cmp_ne_u16_e32 vcc, 0, v2
	v_mov_b32_e32 v16, 0
	v_mov_b32_e32 v17, 0
	s_and_saveexec_b64 s[10:11], vcc
	s_cbranch_execz .LBB590_725
; %bb.720:
	s_movk_i32 s7, 0x80
	v_cmp_ne_u16_e32 vcc, s7, v2
	v_bfrev_b32_e32 v17, 1
	s_and_saveexec_b64 s[12:13], vcc
	s_cbranch_execz .LBB590_724
; %bb.721:
	s_movk_i32 s7, 0x7f
	v_and_b32_e32 v10, 0x7f, v2
	v_cmp_ne_u32_e32 vcc, s7, v10
	v_mov_b32_e32 v17, 0x7f800001
	s_and_saveexec_b64 s[14:15], vcc
	s_cbranch_execz .LBB590_723
; %bb.722:
	v_and_b32_e32 v17, 7, v2
	v_ffbh_u32_e32 v18, v17
	v_min_u32_e32 v21, 32, v18
	v_subrev_u32_e32 v18, 28, v21
	v_lshlrev_b64 v[18:19], v18, v[2:3]
	v_lshrrev_b32_e32 v20, 3, v10
	v_sub_u32_e32 v2, 29, v21
	v_and_b32_e32 v18, 7, v18
	v_cmp_gt_u32_e32 vcc, 8, v10
	v_cndmask_b32_e32 v2, v20, v2, vcc
	v_cndmask_b32_e32 v10, v17, v18, vcc
	v_lshlrev_b32_e32 v17, 16, v3
	v_bfrev_b32_e32 v18, 60
	v_lshlrev_b32_e32 v10, 20, v10
	v_and_b32_e32 v17, 0x80000000, v17
	v_lshl_add_u32 v2, v2, 23, v18
	v_or3_b32 v17, v17, v2, v10
.LBB590_723:
	s_or_b64 exec, exec, s[14:15]
.LBB590_724:
	s_or_b64 exec, exec, s[12:13]
.LBB590_725:
	s_or_b64 exec, exec, s[10:11]
	s_movk_i32 s7, 0xff
	v_and_b32_sdwa v10, v3, s7 dst_sel:DWORD dst_unused:UNUSED_PAD src0_sel:WORD_1 src1_sel:DWORD
	v_lshrrev_b32_e32 v2, 16, v3
	v_cmp_ne_u16_e32 vcc, 0, v10
	s_and_saveexec_b64 s[10:11], vcc
	s_cbranch_execz .LBB590_731
; %bb.726:
	s_movk_i32 s7, 0x80
	v_cmp_ne_u16_e32 vcc, s7, v10
	v_bfrev_b32_e32 v16, 1
	s_and_saveexec_b64 s[12:13], vcc
	s_cbranch_execz .LBB590_730
; %bb.727:
	v_bfe_u32 v10, v3, 16, 7
	s_movk_i32 s7, 0x7f
	v_cmp_ne_u32_e32 vcc, s7, v10
	v_mov_b32_e32 v16, 0x7f800001
	s_and_saveexec_b64 s[14:15], vcc
	s_cbranch_execz .LBB590_729
; %bb.728:
	v_and_b32_e32 v16, 7, v2
	v_ffbh_u32_e32 v18, v16
	v_min_u32_e32 v21, 32, v18
	v_subrev_u32_e32 v18, 28, v21
	v_lshlrev_b64 v[18:19], v18, v[2:3]
	v_and_b32_e32 v18, 7, v18
	v_cmp_gt_u32_e32 vcc, 8, v10
	v_lshrrev_b32_e32 v20, 3, v10
	v_sub_u32_e32 v2, 29, v21
	v_cndmask_b32_e32 v10, v16, v18, vcc
	v_mov_b32_e32 v16, 24
	v_cndmask_b32_e32 v2, v20, v2, vcc
	v_lshlrev_b32_sdwa v16, v16, v3 dst_sel:DWORD dst_unused:UNUSED_PAD src0_sel:DWORD src1_sel:WORD_1
	v_bfrev_b32_e32 v18, 60
	v_lshlrev_b32_e32 v10, 20, v10
	v_and_b32_e32 v16, 0x80000000, v16
	v_lshl_add_u32 v2, v2, 23, v18
	v_or3_b32 v16, v16, v2, v10
.LBB590_729:
	s_or_b64 exec, exec, s[14:15]
.LBB590_730:
	s_or_b64 exec, exec, s[12:13]
.LBB590_731:
	s_or_b64 exec, exec, s[10:11]
	s_mov_b32 s7, 0xffffff
	v_cmp_lt_u32_e32 vcc, s7, v3
	v_mov_b32_e32 v10, 0
	v_mov_b32_e32 v18, 0
	s_and_saveexec_b64 s[10:11], vcc
	s_cbranch_execz .LBB590_737
; %bb.732:
	v_lshrrev_b32_e32 v2, 24, v3
	s_movk_i32 s7, 0x80
	v_cmp_ne_u32_e32 vcc, s7, v2
	v_bfrev_b32_e32 v18, 1
	s_and_saveexec_b64 s[12:13], vcc
	s_cbranch_execz .LBB590_736
; %bb.733:
	v_bfe_u32 v3, v3, 24, 7
	s_movk_i32 s7, 0x7f
	v_cmp_ne_u32_e32 vcc, s7, v3
	v_mov_b32_e32 v18, 0x7f800001
	s_and_saveexec_b64 s[14:15], vcc
	s_cbranch_execz .LBB590_735
; %bb.734:
	v_and_b32_e32 v20, 7, v2
	v_ffbh_u32_e32 v18, v20
	v_min_u32_e32 v23, 32, v18
	v_subrev_u32_e32 v18, 28, v23
	v_lshlrev_b64 v[18:19], v18, v[2:3]
	v_lshrrev_b32_e32 v21, 3, v3
	v_sub_u32_e32 v19, 29, v23
	v_and_b32_e32 v18, 7, v18
	v_cmp_gt_u32_e32 vcc, 8, v3
	v_cndmask_b32_e32 v3, v21, v19, vcc
	v_cndmask_b32_e32 v18, v20, v18, vcc
	v_lshlrev_b32_e32 v2, 24, v2
	v_bfrev_b32_e32 v19, 60
	v_lshlrev_b32_e32 v18, 20, v18
	v_and_b32_e32 v2, 0x80000000, v2
	v_lshl_add_u32 v3, v3, 23, v19
	v_or3_b32 v18, v2, v3, v18
.LBB590_735:
	s_or_b64 exec, exec, s[14:15]
.LBB590_736:
	s_or_b64 exec, exec, s[12:13]
.LBB590_737:
	s_or_b64 exec, exec, s[10:11]
	v_cvt_pkrtz_f16_f32 v2, v15, v12
	v_cvt_pkrtz_f16_f32 v3, v11, v14
	ds_read_b128 v[28:31], v22 offset:6144
	v_cmp_ne_u16_sdwa s[12:13], v4, v10 src0_sel:BYTE_0 src1_sel:DWORD
	s_waitcnt lgkmcnt(0)
	v_mfma_f32_16x16x16f16 v[6:9], v[2:3], v[28:29], v[6:9]
	v_cvt_pkrtz_f16_f32 v2, v13, v17
	v_cvt_pkrtz_f16_f32 v3, v16, v18
	s_nop 1
	v_mfma_f32_16x16x16f16 v[6:9], v[2:3], v[30:31], v[6:9]
	s_and_saveexec_b64 s[10:11], s[12:13]
	s_cbranch_execz .LBB590_743
; %bb.738:
	s_movk_i32 s7, 0x80
	v_cmp_ne_u16_sdwa s[14:15], v4, s7 src0_sel:BYTE_0 src1_sel:DWORD
	v_bfrev_b32_e32 v10, 1
	s_and_saveexec_b64 s[12:13], s[14:15]
	s_cbranch_execz .LBB590_742
; %bb.739:
	s_movk_i32 s7, 0x7f
	v_and_b32_e32 v2, 0x7f, v4
	v_cmp_ne_u32_e32 vcc, s7, v2
	v_mov_b32_e32 v10, 0x7f800001
	s_and_saveexec_b64 s[14:15], vcc
	s_cbranch_execz .LBB590_741
; %bb.740:
	v_and_b32_e32 v3, 7, v4
	v_ffbh_u32_e32 v10, v3
	v_min_u32_e32 v13, 32, v10
	v_subrev_u32_e32 v10, 28, v13
	v_lshlrev_b64 v[10:11], v10, v[4:5]
	v_lshrrev_b32_e32 v12, 3, v2
	v_sub_u32_e32 v11, 29, v13
	v_and_b32_e32 v10, 7, v10
	v_cmp_gt_u32_e32 vcc, 8, v2
	v_cndmask_b32_e32 v2, v12, v11, vcc
	v_cndmask_b32_e32 v3, v3, v10, vcc
	v_lshlrev_b32_e32 v10, 24, v4
	v_bfrev_b32_e32 v11, 60
	v_lshlrev_b32_e32 v3, 20, v3
	v_and_b32_e32 v10, 0x80000000, v10
	v_lshl_add_u32 v2, v2, 23, v11
	v_or3_b32 v10, v10, v2, v3
.LBB590_741:
	s_or_b64 exec, exec, s[14:15]
.LBB590_742:
	s_or_b64 exec, exec, s[12:13]
.LBB590_743:
	s_or_b64 exec, exec, s[10:11]
	v_lshrrev_b16_e32 v2, 8, v4
	v_cmp_ne_u16_e32 vcc, 0, v2
	v_mov_b32_e32 v3, 0
	v_mov_b32_e32 v11, 0
	s_and_saveexec_b64 s[10:11], vcc
	s_cbranch_execz .LBB590_749
; %bb.744:
	s_movk_i32 s7, 0x80
	v_cmp_ne_u16_e32 vcc, s7, v2
	v_bfrev_b32_e32 v11, 1
	s_and_saveexec_b64 s[12:13], vcc
	s_cbranch_execz .LBB590_748
; %bb.745:
	s_movk_i32 s7, 0x7f
	v_and_b32_e32 v12, 0x7f, v2
	v_cmp_ne_u32_e32 vcc, s7, v12
	v_mov_b32_e32 v11, 0x7f800001
	s_and_saveexec_b64 s[14:15], vcc
	s_cbranch_execz .LBB590_747
; %bb.746:
	v_and_b32_e32 v11, 7, v2
	v_ffbh_u32_e32 v14, v11
	v_min_u32_e32 v16, 32, v14
	v_subrev_u32_e32 v14, 28, v16
	v_lshlrev_b64 v[14:15], v14, v[2:3]
	v_lshrrev_b32_e32 v13, 3, v12
	v_sub_u32_e32 v2, 29, v16
	v_and_b32_e32 v14, 7, v14
	v_cmp_gt_u32_e32 vcc, 8, v12
	v_cndmask_b32_e32 v2, v13, v2, vcc
	v_cndmask_b32_e32 v11, v11, v14, vcc
	v_lshlrev_b32_e32 v12, 16, v4
	v_bfrev_b32_e32 v13, 60
	v_lshlrev_b32_e32 v11, 20, v11
	v_and_b32_e32 v12, 0x80000000, v12
	v_lshl_add_u32 v2, v2, 23, v13
	v_or3_b32 v11, v12, v2, v11
.LBB590_747:
	s_or_b64 exec, exec, s[14:15]
.LBB590_748:
	s_or_b64 exec, exec, s[12:13]
.LBB590_749:
	s_or_b64 exec, exec, s[10:11]
	s_movk_i32 s7, 0xff
	v_and_b32_sdwa v12, v4, s7 dst_sel:DWORD dst_unused:UNUSED_PAD src0_sel:WORD_1 src1_sel:DWORD
	v_lshrrev_b32_e32 v2, 16, v4
	v_cmp_ne_u16_e32 vcc, 0, v12
	s_and_saveexec_b64 s[10:11], vcc
	s_cbranch_execz .LBB590_755
; %bb.750:
	s_movk_i32 s7, 0x80
	v_cmp_ne_u16_e32 vcc, s7, v12
	v_bfrev_b32_e32 v3, 1
	s_and_saveexec_b64 s[12:13], vcc
	s_cbranch_execz .LBB590_754
; %bb.751:
	v_bfe_u32 v12, v4, 16, 7
	s_movk_i32 s7, 0x7f
	v_cmp_ne_u32_e32 vcc, s7, v12
	v_mov_b32_e32 v3, 0x7f800001
	s_and_saveexec_b64 s[14:15], vcc
	s_cbranch_execz .LBB590_753
; %bb.752:
	v_and_b32_e32 v13, 7, v2
	v_ffbh_u32_e32 v3, v13
	v_min_u32_e32 v15, 32, v3
	v_subrev_u32_e32 v3, 28, v15
	v_lshlrev_b64 v[2:3], v3, v[2:3]
	v_lshrrev_b32_e32 v14, 3, v12
	v_sub_u32_e32 v3, 29, v15
	v_and_b32_e32 v2, 7, v2
	v_cmp_gt_u32_e32 vcc, 8, v12
	v_mov_b32_e32 v12, 24
	v_cndmask_b32_e32 v3, v14, v3, vcc
	v_cndmask_b32_e32 v2, v13, v2, vcc
	v_lshlrev_b32_sdwa v12, v12, v4 dst_sel:DWORD dst_unused:UNUSED_PAD src0_sel:DWORD src1_sel:WORD_1
	v_bfrev_b32_e32 v13, 60
	v_lshlrev_b32_e32 v2, 20, v2
	v_and_b32_e32 v12, 0x80000000, v12
	v_lshl_add_u32 v3, v3, 23, v13
	v_or3_b32 v3, v12, v3, v2
.LBB590_753:
	s_or_b64 exec, exec, s[14:15]
.LBB590_754:
	s_or_b64 exec, exec, s[12:13]
.LBB590_755:
	s_or_b64 exec, exec, s[10:11]
	s_mov_b32 s7, 0xffffff
	v_cmp_lt_u32_e32 vcc, s7, v4
	v_mov_b32_e32 v12, 0
	v_mov_b32_e32 v13, 0
	s_and_saveexec_b64 s[10:11], vcc
	s_cbranch_execz .LBB590_761
; %bb.756:
	v_lshrrev_b32_e32 v2, 24, v4
	s_movk_i32 s7, 0x80
	v_cmp_ne_u32_e32 vcc, s7, v2
	v_bfrev_b32_e32 v13, 1
	s_and_saveexec_b64 s[12:13], vcc
	s_cbranch_execz .LBB590_760
; %bb.757:
	v_bfe_u32 v4, v4, 24, 7
	s_movk_i32 s7, 0x7f
	v_cmp_ne_u32_e32 vcc, s7, v4
	v_mov_b32_e32 v13, 0x7f800001
	s_and_saveexec_b64 s[14:15], vcc
	s_cbranch_execz .LBB590_759
; %bb.758:
	v_and_b32_e32 v13, 7, v2
	v_ffbh_u32_e32 v14, v13
	v_min_u32_e32 v17, 32, v14
	v_subrev_u32_e32 v14, 28, v17
	v_lshlrev_b64 v[14:15], v14, v[2:3]
	v_lshrrev_b32_e32 v16, 3, v4
	v_sub_u32_e32 v15, 29, v17
	v_and_b32_e32 v14, 7, v14
	v_cmp_gt_u32_e32 vcc, 8, v4
	v_cndmask_b32_e32 v4, v16, v15, vcc
	v_cndmask_b32_e32 v13, v13, v14, vcc
	v_lshlrev_b32_e32 v2, 24, v2
	v_bfrev_b32_e32 v14, 60
	v_lshlrev_b32_e32 v13, 20, v13
	v_and_b32_e32 v2, 0x80000000, v2
	v_lshl_add_u32 v4, v4, 23, v14
	v_or3_b32 v13, v2, v4, v13
.LBB590_759:
	s_or_b64 exec, exec, s[14:15]
.LBB590_760:
	s_or_b64 exec, exec, s[12:13]
.LBB590_761:
	s_or_b64 exec, exec, s[10:11]
	v_cmp_ne_u16_sdwa s[12:13], v5, v12 src0_sel:BYTE_0 src1_sel:DWORD
	s_and_saveexec_b64 s[10:11], s[12:13]
	s_cbranch_execz .LBB590_767
; %bb.762:
	s_movk_i32 s7, 0x80
	v_cmp_ne_u16_sdwa s[14:15], v5, s7 src0_sel:BYTE_0 src1_sel:DWORD
	v_bfrev_b32_e32 v12, 1
	s_and_saveexec_b64 s[12:13], s[14:15]
	s_cbranch_execz .LBB590_766
; %bb.763:
	s_movk_i32 s7, 0x7f
	v_and_b32_e32 v2, 0x7f, v5
	v_cmp_ne_u32_e32 vcc, s7, v2
	v_mov_b32_e32 v12, 0x7f800001
	s_and_saveexec_b64 s[14:15], vcc
	s_cbranch_execz .LBB590_765
; %bb.764:
	v_and_b32_e32 v12, 7, v5
	v_ffbh_u32_e32 v14, v12
	v_min_u32_e32 v17, 32, v14
	v_mov_b32_e32 v4, v5
	v_subrev_u32_e32 v14, 28, v17
	v_lshlrev_b64 v[14:15], v14, v[4:5]
	v_lshrrev_b32_e32 v16, 3, v2
	v_sub_u32_e32 v4, 29, v17
	v_and_b32_e32 v14, 7, v14
	v_cmp_gt_u32_e32 vcc, 8, v2
	v_cndmask_b32_e32 v2, v16, v4, vcc
	v_cndmask_b32_e32 v4, v12, v14, vcc
	v_lshlrev_b32_e32 v12, 24, v5
	v_bfrev_b32_e32 v14, 60
	v_lshlrev_b32_e32 v4, 20, v4
	v_and_b32_e32 v12, 0x80000000, v12
	v_lshl_add_u32 v2, v2, 23, v14
	v_or3_b32 v12, v12, v2, v4
.LBB590_765:
	s_or_b64 exec, exec, s[14:15]
.LBB590_766:
	s_or_b64 exec, exec, s[12:13]
.LBB590_767:
	s_or_b64 exec, exec, s[10:11]
	v_lshrrev_b16_e32 v2, 8, v5
	v_cmp_ne_u16_e32 vcc, 0, v2
	v_mov_b32_e32 v4, 0
	v_mov_b32_e32 v14, 0
	s_and_saveexec_b64 s[10:11], vcc
	s_cbranch_execz .LBB590_773
; %bb.768:
	s_movk_i32 s7, 0x80
	v_cmp_ne_u16_e32 vcc, s7, v2
	v_bfrev_b32_e32 v14, 1
	s_and_saveexec_b64 s[12:13], vcc
	s_cbranch_execz .LBB590_772
; %bb.769:
	s_movk_i32 s7, 0x7f
	v_and_b32_e32 v15, 0x7f, v2
	v_cmp_ne_u32_e32 vcc, s7, v15
	v_mov_b32_e32 v14, 0x7f800001
	s_and_saveexec_b64 s[14:15], vcc
	s_cbranch_execz .LBB590_771
; %bb.770:
	v_and_b32_e32 v14, 7, v2
	v_ffbh_u32_e32 v16, v14
	v_min_u32_e32 v19, 32, v16
	v_subrev_u32_e32 v16, 28, v19
	v_lshlrev_b64 v[16:17], v16, v[2:3]
	v_lshrrev_b32_e32 v18, 3, v15
	v_sub_u32_e32 v2, 29, v19
	v_and_b32_e32 v16, 7, v16
	v_cmp_gt_u32_e32 vcc, 8, v15
	v_cndmask_b32_e32 v2, v18, v2, vcc
	v_cndmask_b32_e32 v14, v14, v16, vcc
	v_lshlrev_b32_e32 v15, 16, v5
	v_bfrev_b32_e32 v16, 60
	v_lshlrev_b32_e32 v14, 20, v14
	v_and_b32_e32 v15, 0x80000000, v15
	v_lshl_add_u32 v2, v2, 23, v16
	v_or3_b32 v14, v15, v2, v14
.LBB590_771:
	s_or_b64 exec, exec, s[14:15]
.LBB590_772:
	s_or_b64 exec, exec, s[12:13]
.LBB590_773:
	s_or_b64 exec, exec, s[10:11]
	s_movk_i32 s7, 0xff
	v_and_b32_sdwa v15, v5, s7 dst_sel:DWORD dst_unused:UNUSED_PAD src0_sel:WORD_1 src1_sel:DWORD
	v_lshrrev_b32_e32 v2, 16, v5
	v_cmp_ne_u16_e32 vcc, 0, v15
	s_and_saveexec_b64 s[10:11], vcc
	s_cbranch_execz .LBB590_779
; %bb.774:
	s_movk_i32 s7, 0x80
	v_cmp_ne_u16_e32 vcc, s7, v15
	v_bfrev_b32_e32 v4, 1
	s_and_saveexec_b64 s[12:13], vcc
	s_cbranch_execz .LBB590_778
; %bb.775:
	v_bfe_u32 v15, v5, 16, 7
	s_movk_i32 s7, 0x7f
	v_cmp_ne_u32_e32 vcc, s7, v15
	v_mov_b32_e32 v4, 0x7f800001
	s_and_saveexec_b64 s[14:15], vcc
	s_cbranch_execz .LBB590_777
; %bb.776:
	v_and_b32_e32 v4, 7, v2
	v_ffbh_u32_e32 v16, v4
	v_min_u32_e32 v19, 32, v16
	v_subrev_u32_e32 v16, 28, v19
	v_lshlrev_b64 v[16:17], v16, v[2:3]
	v_lshrrev_b32_e32 v18, 3, v15
	v_sub_u32_e32 v2, 29, v19
	v_and_b32_e32 v16, 7, v16
	v_cmp_gt_u32_e32 vcc, 8, v15
	v_mov_b32_e32 v15, 24
	v_cndmask_b32_e32 v2, v18, v2, vcc
	v_cndmask_b32_e32 v4, v4, v16, vcc
	v_lshlrev_b32_sdwa v15, v15, v5 dst_sel:DWORD dst_unused:UNUSED_PAD src0_sel:DWORD src1_sel:WORD_1
	v_bfrev_b32_e32 v16, 60
	v_lshlrev_b32_e32 v4, 20, v4
	v_and_b32_e32 v15, 0x80000000, v15
	v_lshl_add_u32 v2, v2, 23, v16
	v_or3_b32 v4, v15, v2, v4
.LBB590_777:
	s_or_b64 exec, exec, s[14:15]
.LBB590_778:
	s_or_b64 exec, exec, s[12:13]
.LBB590_779:
	s_or_b64 exec, exec, s[10:11]
	s_mov_b32 s7, 0xffffff
	v_cmp_lt_u32_e32 vcc, s7, v5
	v_mov_b32_e32 v15, 0
	s_and_saveexec_b64 s[10:11], vcc
	s_cbranch_execz .LBB590_785
; %bb.780:
	v_lshrrev_b32_e32 v2, 24, v5
	s_movk_i32 s7, 0x80
	v_cmp_ne_u32_e32 vcc, s7, v2
	v_bfrev_b32_e32 v15, 1
	s_and_saveexec_b64 s[12:13], vcc
	s_cbranch_execz .LBB590_784
; %bb.781:
	v_bfe_u32 v5, v5, 24, 7
	s_movk_i32 s7, 0x7f
	v_cmp_ne_u32_e32 vcc, s7, v5
	v_mov_b32_e32 v15, 0x7f800001
	s_and_saveexec_b64 s[14:15], vcc
	s_cbranch_execz .LBB590_783
; %bb.782:
	v_and_b32_e32 v15, 7, v2
	v_ffbh_u32_e32 v16, v15
	v_min_u32_e32 v19, 32, v16
	v_subrev_u32_e32 v16, 28, v19
	v_lshlrev_b64 v[16:17], v16, v[2:3]
	v_lshrrev_b32_e32 v18, 3, v5
	v_sub_u32_e32 v17, 29, v19
	v_and_b32_e32 v16, 7, v16
	v_cmp_gt_u32_e32 vcc, 8, v5
	v_cndmask_b32_e32 v5, v18, v17, vcc
	v_cndmask_b32_e32 v15, v15, v16, vcc
	v_lshlrev_b32_e32 v2, 24, v2
	v_bfrev_b32_e32 v16, 60
	v_lshlrev_b32_e32 v15, 20, v15
	v_and_b32_e32 v2, 0x80000000, v2
	v_lshl_add_u32 v5, v5, 23, v16
	v_or3_b32 v15, v2, v5, v15
.LBB590_783:
	s_or_b64 exec, exec, s[14:15]
.LBB590_784:
	s_or_b64 exec, exec, s[12:13]
.LBB590_785:
	s_or_b64 exec, exec, s[10:11]
	v_cvt_pkrtz_f16_f32 v2, v10, v11
	v_cvt_pkrtz_f16_f32 v3, v3, v13
	ds_read_b128 v[16:19], v22 offset:6160
	s_load_dword s10, s[46:47], 0x0
	v_cmp_gt_u32_e32 vcc, 64, v0
	s_waitcnt lgkmcnt(0)
	v_mfma_f32_16x16x16f16 v[6:9], v[2:3], v[16:17], v[6:9]
	v_cvt_pkrtz_f16_f32 v2, v12, v14
	v_cvt_pkrtz_f16_f32 v3, v4, v15
	s_and_b64 s[0:1], s[0:1], vcc
	s_and_b64 s[0:1], s[0:1], s[2:3]
	s_barrier
	v_mfma_f32_16x16x16f16 v[2:5], v[2:3], v[18:19], v[6:9]
	s_nop 7
	s_nop 2
	v_pk_mul_f32 v[4:5], v[4:5], s[10:11] op_sel_hi:[1,0]
	v_pk_mul_f32 v[2:3], v[2:3], s[10:11] op_sel_hi:[1,0]
	v_cvt_f16_f32_e32 v2, v2
	v_cvt_f16_f32_e32 v3, v3
	;; [unrolled: 1-line block ×4, first 2 shown]
	v_pack_b32_f16 v2, v2, v3
	v_pack_b32_f16 v3, v4, v5
	ds_write_b64 v26, v[2:3]
	s_waitcnt lgkmcnt(0)
	s_barrier
	s_and_saveexec_b64 s[2:3], s[0:1]
	s_cbranch_execz .LBB590_787
; %bb.786:
	s_load_dwordx2 s[0:1], s[4:5], 0x68
	s_mul_i32 s2, s49, s6
	s_lshl_b32 s4, s48, 6
	s_mul_hi_u32 s3, s2, s4
	s_mul_i32 s2, s2, s4
	s_lshl_b64 s[2:3], s[2:3], 1
	v_lshlrev_b32_e32 v0, 10, v0
	s_waitcnt lgkmcnt(0)
	s_add_u32 s2, s0, s2
	v_and_b32_e32 v0, 0x1800, v0
	v_lshlrev_b32_e32 v2, 5, v46
	v_and_b32_e32 v3, 16, v47
	s_addc_u32 s3, s1, s3
	s_lshl_b32 s0, s26, 6
	s_mov_b32 s1, 0
	v_or3_b32 v0, v0, v2, v3
	s_lshl_b64 s[0:1], s[0:1], 1
	ds_read_b128 v[2:5], v0
	s_add_u32 s2, s2, s0
	s_addc_u32 s3, s3, s1
	s_mul_hi_u32 s1, s4, s8
	s_mul_i32 s0, s4, s8
	s_lshl_b64 s[0:1], s[0:1], 1
	s_add_u32 s0, s2, s0
	s_addc_u32 s1, s3, s1
	s_waitcnt lgkmcnt(0)
	global_store_dwordx4 v1, v[2:5], s[0:1]
.LBB590_787:
	s_endpgm
	.section	.rodata,"a",@progbits
	.p2align	6, 0x0
	.amdhsa_kernel _Z39paged_attention_ll4mi_QKV_mfma16_kernelIDF16_hLN4vllm18Fp8KVCacheDataTypeE1EDF16_Li32ELi64ELi256ELb1ELi1EL8MFMAType0EEvPKT_PKT0_S8_ifPKiSA_SA_iPKfiiiPfSD_PS3_PT2_iSC_SC_
		.amdhsa_group_segment_fixed_size 8192
		.amdhsa_private_segment_fixed_size 0
		.amdhsa_kernarg_size 400
		.amdhsa_user_sgpr_count 6
		.amdhsa_user_sgpr_private_segment_buffer 1
		.amdhsa_user_sgpr_dispatch_ptr 0
		.amdhsa_user_sgpr_queue_ptr 0
		.amdhsa_user_sgpr_kernarg_segment_ptr 1
		.amdhsa_user_sgpr_dispatch_id 0
		.amdhsa_user_sgpr_flat_scratch_init 0
		.amdhsa_user_sgpr_kernarg_preload_length 0
		.amdhsa_user_sgpr_kernarg_preload_offset 0
		.amdhsa_user_sgpr_private_segment_size 0
		.amdhsa_uses_dynamic_stack 0
		.amdhsa_system_sgpr_private_segment_wavefront_offset 0
		.amdhsa_system_sgpr_workgroup_id_x 1
		.amdhsa_system_sgpr_workgroup_id_y 1
		.amdhsa_system_sgpr_workgroup_id_z 1
		.amdhsa_system_sgpr_workgroup_info 0
		.amdhsa_system_vgpr_workitem_id 0
		.amdhsa_next_free_vgpr 63
		.amdhsa_next_free_sgpr 50
		.amdhsa_accum_offset 64
		.amdhsa_reserve_vcc 1
		.amdhsa_reserve_flat_scratch 0
		.amdhsa_float_round_mode_32 0
		.amdhsa_float_round_mode_16_64 0
		.amdhsa_float_denorm_mode_32 3
		.amdhsa_float_denorm_mode_16_64 3
		.amdhsa_dx10_clamp 1
		.amdhsa_ieee_mode 1
		.amdhsa_fp16_overflow 0
		.amdhsa_tg_split 0
		.amdhsa_exception_fp_ieee_invalid_op 0
		.amdhsa_exception_fp_denorm_src 0
		.amdhsa_exception_fp_ieee_div_zero 0
		.amdhsa_exception_fp_ieee_overflow 0
		.amdhsa_exception_fp_ieee_underflow 0
		.amdhsa_exception_fp_ieee_inexact 0
		.amdhsa_exception_int_div_zero 0
	.end_amdhsa_kernel
	.section	.text._Z39paged_attention_ll4mi_QKV_mfma16_kernelIDF16_hLN4vllm18Fp8KVCacheDataTypeE1EDF16_Li32ELi64ELi256ELb1ELi1EL8MFMAType0EEvPKT_PKT0_S8_ifPKiSA_SA_iPKfiiiPfSD_PS3_PT2_iSC_SC_,"axG",@progbits,_Z39paged_attention_ll4mi_QKV_mfma16_kernelIDF16_hLN4vllm18Fp8KVCacheDataTypeE1EDF16_Li32ELi64ELi256ELb1ELi1EL8MFMAType0EEvPKT_PKT0_S8_ifPKiSA_SA_iPKfiiiPfSD_PS3_PT2_iSC_SC_,comdat
.Lfunc_end590:
	.size	_Z39paged_attention_ll4mi_QKV_mfma16_kernelIDF16_hLN4vllm18Fp8KVCacheDataTypeE1EDF16_Li32ELi64ELi256ELb1ELi1EL8MFMAType0EEvPKT_PKT0_S8_ifPKiSA_SA_iPKfiiiPfSD_PS3_PT2_iSC_SC_, .Lfunc_end590-_Z39paged_attention_ll4mi_QKV_mfma16_kernelIDF16_hLN4vllm18Fp8KVCacheDataTypeE1EDF16_Li32ELi64ELi256ELb1ELi1EL8MFMAType0EEvPKT_PKT0_S8_ifPKiSA_SA_iPKfiiiPfSD_PS3_PT2_iSC_SC_
                                        ; -- End function
	.section	.AMDGPU.csdata,"",@progbits
; Kernel info:
; codeLenInByte = 27160
; NumSgprs: 54
; NumVgprs: 63
; NumAgprs: 0
; TotalNumVgprs: 63
; ScratchSize: 0
; MemoryBound: 0
; FloatMode: 240
; IeeeMode: 1
; LDSByteSize: 8192 bytes/workgroup (compile time only)
; SGPRBlocks: 6
; VGPRBlocks: 7
; NumSGPRsForWavesPerEU: 54
; NumVGPRsForWavesPerEU: 63
; AccumOffset: 64
; Occupancy: 8
; WaveLimiterHint : 1
; COMPUTE_PGM_RSRC2:SCRATCH_EN: 0
; COMPUTE_PGM_RSRC2:USER_SGPR: 6
; COMPUTE_PGM_RSRC2:TRAP_HANDLER: 0
; COMPUTE_PGM_RSRC2:TGID_X_EN: 1
; COMPUTE_PGM_RSRC2:TGID_Y_EN: 1
; COMPUTE_PGM_RSRC2:TGID_Z_EN: 1
; COMPUTE_PGM_RSRC2:TIDIG_COMP_CNT: 0
; COMPUTE_PGM_RSRC3_GFX90A:ACCUM_OFFSET: 15
; COMPUTE_PGM_RSRC3_GFX90A:TG_SPLIT: 0
	.section	.text._Z39paged_attention_ll4mi_QKV_mfma16_kernelIDF16_hLN4vllm18Fp8KVCacheDataTypeE1EDF16_Li32ELi64ELi256ELb1ELi2EL8MFMAType0EEvPKT_PKT0_S8_ifPKiSA_SA_iPKfiiiPfSD_PS3_PT2_iSC_SC_,"axG",@progbits,_Z39paged_attention_ll4mi_QKV_mfma16_kernelIDF16_hLN4vllm18Fp8KVCacheDataTypeE1EDF16_Li32ELi64ELi256ELb1ELi2EL8MFMAType0EEvPKT_PKT0_S8_ifPKiSA_SA_iPKfiiiPfSD_PS3_PT2_iSC_SC_,comdat
	.protected	_Z39paged_attention_ll4mi_QKV_mfma16_kernelIDF16_hLN4vllm18Fp8KVCacheDataTypeE1EDF16_Li32ELi64ELi256ELb1ELi2EL8MFMAType0EEvPKT_PKT0_S8_ifPKiSA_SA_iPKfiiiPfSD_PS3_PT2_iSC_SC_ ; -- Begin function _Z39paged_attention_ll4mi_QKV_mfma16_kernelIDF16_hLN4vllm18Fp8KVCacheDataTypeE1EDF16_Li32ELi64ELi256ELb1ELi2EL8MFMAType0EEvPKT_PKT0_S8_ifPKiSA_SA_iPKfiiiPfSD_PS3_PT2_iSC_SC_
	.globl	_Z39paged_attention_ll4mi_QKV_mfma16_kernelIDF16_hLN4vllm18Fp8KVCacheDataTypeE1EDF16_Li32ELi64ELi256ELb1ELi2EL8MFMAType0EEvPKT_PKT0_S8_ifPKiSA_SA_iPKfiiiPfSD_PS3_PT2_iSC_SC_
	.p2align	8
	.type	_Z39paged_attention_ll4mi_QKV_mfma16_kernelIDF16_hLN4vllm18Fp8KVCacheDataTypeE1EDF16_Li32ELi64ELi256ELb1ELi2EL8MFMAType0EEvPKT_PKT0_S8_ifPKiSA_SA_iPKfiiiPfSD_PS3_PT2_iSC_SC_,@function
_Z39paged_attention_ll4mi_QKV_mfma16_kernelIDF16_hLN4vllm18Fp8KVCacheDataTypeE1EDF16_Li32ELi64ELi256ELb1ELi2EL8MFMAType0EEvPKT_PKT0_S8_ifPKiSA_SA_iPKfiiiPfSD_PS3_PT2_iSC_SC_: ; @_Z39paged_attention_ll4mi_QKV_mfma16_kernelIDF16_hLN4vllm18Fp8KVCacheDataTypeE1EDF16_Li32ELi64ELi256ELb1ELi2EL8MFMAType0EEvPKT_PKT0_S8_ifPKiSA_SA_iPKfiiiPfSD_PS3_PT2_iSC_SC_
; %bb.0:
	s_load_dwordx2 s[0:1], s[4:5], 0x30
	s_mov_b32 s24, s7
	s_mov_b64 s[10:11], 0
	s_waitcnt lgkmcnt(0)
	s_cmp_lg_u64 s[0:1], 0
	s_cselect_b64 s[2:3], -1, 0
	s_and_b64 vcc, exec, s[2:3]
	s_cbranch_vccz .LBB591_7
; %bb.1:
	s_add_i32 s12, s6, 1
	s_mov_b32 s13, 0
	s_lshl_b64 s[14:15], s[12:13], 2
	s_add_u32 s14, s0, s14
	s_mov_b32 s7, s13
	s_addc_u32 s15, s1, s15
	s_lshl_b64 s[12:13], s[6:7], 2
	s_add_u32 s12, s0, s12
	s_addc_u32 s13, s1, s13
	s_load_dword s9, s[14:15], 0x0
	s_load_dword s16, s[12:13], 0x0
	s_waitcnt lgkmcnt(0)
	s_sub_i32 s9, s9, s16
	s_cmp_eq_u32 s9, 1
	s_cselect_b64 s[12:13], -1, 0
	s_andn2_b64 vcc, exec, s[10:11]
	s_cbranch_vccnz .LBB591_3
.LBB591_2:
	s_mov_b32 s7, 0
	s_mov_b64 s[12:13], -1
.LBB591_3:
	s_andn2_b64 vcc, exec, s[12:13]
	s_cbranch_vccnz .LBB591_787
; %bb.4:
	s_load_dwordx2 s[12:13], s[4:5], 0x28
	s_lshl_b64 s[10:11], s[6:7], 2
	s_waitcnt lgkmcnt(0)
	s_add_u32 s12, s12, s10
	s_addc_u32 s13, s13, s11
	s_load_dword s33, s[12:13], 0x0
	s_lshl_b32 s18, s24, 8
	s_waitcnt lgkmcnt(0)
	s_cmp_ge_i32 s18, s33
	s_cbranch_scc1 .LBB591_787
; %bb.5:
	s_add_i32 s14, s33, 31
	s_load_dwordx2 s[12:13], s[4:5], 0x20
	s_load_dword s9, s[4:5], 0x38
	s_ashr_i32 s15, s14, 31
	v_and_b32_e32 v1, 0xcf, v0
	s_lshr_b32 s15, s15, 27
	v_add_u32_e32 v1, s18, v1
	s_add_i32 s14, s14, s15
	v_ashrrev_i32_e32 v2, 31, v1
	s_ashr_i32 s21, s14, 5
	v_lshrrev_b32_e32 v4, 27, v2
	s_add_i32 s21, s21, -1
	v_add_u32_e32 v2, v1, v4
	s_waitcnt lgkmcnt(0)
	s_mul_i32 s14, s6, s9
	s_mov_b32 s15, 0
	v_ashrrev_i32_e32 v2, 5, v2
	v_mov_b32_e32 v5, s21
	v_cmp_gt_i32_e32 vcc, s33, v1
	s_lshl_b64 s[14:15], s[14:15], 2
	v_cndmask_b32_e32 v2, v5, v2, vcc
	s_add_u32 s19, s12, s14
	v_ashrrev_i32_e32 v3, 31, v2
	s_addc_u32 s20, s13, s15
	v_lshlrev_b64 v[2:3], 2, v[2:3]
	v_mov_b32_e32 v7, s20
	v_add_co_u32_e32 v6, vcc, s19, v2
	v_or_b32_e32 v2, 16, v1
	v_addc_co_u32_e32 v7, vcc, v7, v3, vcc
	v_add_u32_e32 v3, v2, v4
	v_ashrrev_i32_e32 v3, 5, v3
	v_cmp_gt_i32_e32 vcc, s33, v2
	v_cndmask_b32_e32 v2, v5, v3, vcc
	v_ashrrev_i32_e32 v3, 31, v2
	v_lshlrev_b64 v[2:3], 2, v[2:3]
	v_mov_b32_e32 v9, s20
	v_add_co_u32_e32 v8, vcc, s19, v2
	v_or_b32_e32 v2, 32, v1
	v_addc_co_u32_e32 v9, vcc, v9, v3, vcc
	v_add_u32_e32 v3, v2, v4
	v_ashrrev_i32_e32 v3, 5, v3
	v_cmp_gt_i32_e32 vcc, s33, v2
	v_cndmask_b32_e32 v2, v5, v3, vcc
	v_ashrrev_i32_e32 v3, 31, v2
	;; [unrolled: 10-line block ×3, first 2 shown]
	v_lshlrev_b64 v[2:3], 2, v[2:3]
	v_mov_b32_e32 v1, s20
	v_add_co_u32_e32 v12, vcc, s19, v2
	v_addc_co_u32_e32 v13, vcc, v1, v3, vcc
	global_load_dword v5, v[6:7], off
	global_load_dword v4, v[8:9], off
	;; [unrolled: 1-line block ×4, first 2 shown]
	s_load_dwordx2 s[16:17], s[4:5], 0x8
	s_andn2_b64 vcc, exec, s[2:3]
	s_cbranch_vccnz .LBB591_8
; %bb.6:
	s_add_u32 s0, s0, s10
	s_addc_u32 s1, s1, s11
	s_load_dword s9, s[0:1], 0x0
	s_branch .LBB591_9
.LBB591_7:
	s_mov_b64 s[12:13], 0
	s_branch .LBB591_2
.LBB591_8:
	s_mov_b32 s9, s6
.LBB591_9:
	s_load_dwordx2 s[2:3], s[4:5], 0x10
	s_load_dwordx4 s[12:15], s[4:5], 0x48
	v_lshrrev_b32_e32 v49, 6, v0
	v_bfe_u32 v1, v0, 4, 2
	v_lshl_or_b32 v6, v49, 2, v1
	v_and_b32_e32 v50, 15, v0
	v_lshlrev_b32_e32 v7, 3, v50
	v_cmp_gt_u32_e32 vcc, 2, v6
	v_cmp_gt_u32_e64 s[0:1], 8, v50
	s_lshl_b32 s25, s8, 1
	s_and_b64 s[22:23], s[0:1], vcc
	v_lshlrev_b32_e32 v46, 1, v7
	v_lshlrev_b32_e32 v47, 4, v0
	s_and_saveexec_b64 s[10:11], s[22:23]
	s_cbranch_execz .LBB591_11
; %bb.10:
	s_load_dwordx2 s[22:23], s[4:5], 0x0
	s_waitcnt lgkmcnt(0)
	s_ashr_i32 s15, s12, 31
	s_mul_hi_u32 s26, s9, s12
	s_mul_i32 s15, s9, s15
	s_add_i32 s27, s26, s15
	s_mul_i32 s26, s9, s12
	s_lshl_b64 s[26:27], s[26:27], 1
	v_add_lshl_u32 v8, v1, s25, 6
	s_add_u32 s9, s22, s26
	v_ashrrev_i32_e32 v9, 31, v8
	s_addc_u32 s12, s23, s27
	v_lshlrev_b64 v[8:9], 1, v[8:9]
	v_mov_b32_e32 v7, s12
	v_add_co_u32_e32 v8, vcc, s9, v8
	v_addc_co_u32_e32 v7, vcc, v7, v9, vcc
	v_add_co_u32_e32 v8, vcc, v8, v46
	v_addc_co_u32_e32 v9, vcc, 0, v7, vcc
	global_load_dwordx4 v[8:11], v[8:9], off
	v_lshlrev_b32_e32 v12, 8, v50
	v_lshlrev_b32_e32 v6, 5, v6
	v_and_b32_e32 v7, 16, v47
	v_and_b32_e32 v12, 0xe00, v12
	v_or3_b32 v6, v12, v6, v7
	s_waitcnt vmcnt(0)
	ds_write_b128 v6, v[8:11]
.LBB591_11:
	s_or_b64 exec, exec, s[10:11]
	s_waitcnt lgkmcnt(0)
	s_mul_i32 s10, s8, s14
	s_add_u32 s8, s16, s10
	s_addc_u32 s9, s17, 0
	v_pk_mov_b32 v[8:9], s[8:9], s[8:9] op_sel:[0,1]
	s_waitcnt vmcnt(3)
	v_mad_i64_i32 v[10:11], s[8:9], v5, s13, v[8:9]
	v_lshlrev_b32_e32 v12, 4, v50
	v_and_b32_e32 v6, 48, v0
	v_add_co_u32_e32 v5, vcc, v10, v12
	v_lshlrev_b32_e32 v7, 5, v6
	v_addc_co_u32_e32 v11, vcc, 0, v11, vcc
	v_add_co_u32_e32 v10, vcc, v5, v7
	v_addc_co_u32_e32 v11, vcc, 0, v11, vcc
	s_waitcnt vmcnt(2)
	v_mad_i64_i32 v[4:5], s[8:9], v4, s13, v[8:9]
	v_or_b32_e32 v13, 0x100, v12
	v_add_co_u32_e32 v4, vcc, v4, v13
	v_addc_co_u32_e32 v5, vcc, 0, v5, vcc
	v_add_co_u32_e32 v4, vcc, v4, v7
	v_addc_co_u32_e32 v5, vcc, 0, v5, vcc
	s_barrier
	global_load_dwordx4 v[34:37], v[10:11], off
	global_load_dwordx4 v[38:41], v[4:5], off
	s_waitcnt vmcnt(3)
	v_mad_i64_i32 v[4:5], s[8:9], v3, s13, v[8:9]
	v_add_co_u32_e32 v3, vcc, v4, v12
	v_addc_co_u32_e32 v5, vcc, 0, v5, vcc
	v_add_co_u32_e32 v4, vcc, v3, v7
	v_addc_co_u32_e32 v5, vcc, 0, v5, vcc
	s_waitcnt vmcnt(2)
	v_mad_i64_i32 v[2:3], s[8:9], v2, s13, v[8:9]
	v_add_co_u32_e32 v2, vcc, v2, v13
	v_addc_co_u32_e32 v3, vcc, 0, v3, vcc
	v_add_co_u32_e32 v2, vcc, v2, v7
	v_addc_co_u32_e32 v3, vcc, 0, v3, vcc
	global_load_dwordx4 v[30:33], v[4:5], off
	global_load_dwordx4 v[22:25], v[2:3], off
	v_and_b32_e32 v2, 1, v0
	v_lshlrev_b32_e32 v2, 5, v2
	v_lshl_or_b32 v2, v1, 9, v2
	ds_read_b128 v[26:29], v2
	ds_read_b128 v[18:21], v2 offset:16
	v_cmp_gt_u32_e32 vcc, 2, v50
	v_mov_b32_e32 v43, 0
	v_mov_b32_e32 v51, 0
	s_and_saveexec_b64 s[8:9], vcc
	s_cbranch_execz .LBB591_13
; %bb.12:
	s_load_dwordx2 s[14:15], s[4:5], 0x40
	v_or_b32_e32 v2, s25, v50
	v_ashrrev_i32_e32 v3, 31, v2
	v_lshlrev_b64 v[2:3], 2, v[2:3]
	s_waitcnt lgkmcnt(0)
	v_mov_b32_e32 v4, s15
	v_add_co_u32_e32 v2, vcc, s14, v2
	v_addc_co_u32_e32 v3, vcc, v4, v3, vcc
	global_load_dword v51, v[2:3], off
.LBB591_13:
	s_or_b64 exec, exec, s[8:9]
	s_ashr_i32 s8, s18, 31
	v_or_b32_e32 v8, s18, v6
	s_lshr_b32 s8, s8, 27
	v_add_u32_e32 v2, s8, v8
	v_ashrrev_i32_e32 v2, 5, v2
	v_mov_b32_e32 v9, s21
	v_cmp_gt_i32_e32 vcc, s33, v8
	v_cndmask_b32_e32 v2, v9, v2, vcc
	v_ashrrev_i32_e32 v3, 31, v2
	v_lshlrev_b64 v[2:3], 2, v[2:3]
	v_mov_b32_e32 v4, s20
	v_add_co_u32_e32 v2, vcc, s19, v2
	v_addc_co_u32_e32 v3, vcc, v4, v3, vcc
	v_or_b32_e32 v4, 64, v8
	v_add_u32_e32 v5, s8, v4
	v_ashrrev_i32_e32 v5, 5, v5
	v_cmp_gt_i32_e32 vcc, s33, v4
	v_cndmask_b32_e32 v4, v9, v5, vcc
	v_ashrrev_i32_e32 v5, 31, v4
	v_lshlrev_b64 v[4:5], 2, v[4:5]
	v_mov_b32_e32 v6, s20
	v_add_co_u32_e32 v4, vcc, s19, v4
	v_addc_co_u32_e32 v5, vcc, v6, v5, vcc
	v_or_b32_e32 v6, 0x80, v8
	v_add_u32_e32 v7, s8, v6
	v_ashrrev_i32_e32 v7, 5, v7
	v_cmp_gt_i32_e32 vcc, s33, v6
	v_cndmask_b32_e32 v6, v9, v7, vcc
	v_ashrrev_i32_e32 v7, 31, v6
	v_lshlrev_b64 v[6:7], 2, v[6:7]
	v_mov_b32_e32 v10, s20
	v_add_co_u32_e32 v6, vcc, s19, v6
	v_addc_co_u32_e32 v7, vcc, v10, v7, vcc
	global_load_dword v10, v[2:3], off
	global_load_dword v11, v[4:5], off
	;; [unrolled: 1-line block ×3, first 2 shown]
	v_or_b32_e32 v2, 0xc0, v8
	v_add_u32_e32 v3, s8, v2
	v_ashrrev_i32_e32 v3, 5, v3
	v_cmp_gt_i32_e32 vcc, s33, v2
	v_cndmask_b32_e32 v2, v9, v3, vcc
	v_ashrrev_i32_e32 v3, 31, v2
	v_lshlrev_b64 v[2:3], 2, v[2:3]
	v_mov_b32_e32 v4, s20
	v_add_co_u32_e32 v2, vcc, s19, v2
	v_addc_co_u32_e32 v3, vcc, v4, v3, vcc
	global_load_dword v13, v[2:3], off
	s_add_u32 s2, s2, s10
	v_and_b32_e32 v2, 16, v0
	s_addc_u32 s3, s3, 0
	v_lshlrev_b32_e32 v48, 5, v50
	v_mov_b32_e32 v4, s3
	v_add_co_u32_e32 v2, vcc, s2, v2
	v_lshl_or_b32 v3, v49, 9, v48
	v_addc_co_u32_e32 v4, vcc, 0, v4, vcc
	v_add_co_u32_e32 v2, vcc, v2, v3
	v_addc_co_u32_e32 v3, vcc, 0, v4, vcc
	s_movk_i32 s8, 0x80
	s_waitcnt vmcnt(7)
	v_cmp_ne_u16_sdwa s[10:11], v34, v43 src0_sel:BYTE_0 src1_sel:DWORD
	s_waitcnt vmcnt(3)
	v_mad_i64_i32 v[4:5], s[2:3], v10, s13, v[2:3]
	s_waitcnt vmcnt(2)
	v_mad_i64_i32 v[6:7], s[2:3], v11, s13, v[2:3]
	;; [unrolled: 2-line block ×4, first 2 shown]
	global_load_dwordx4 v[14:17], v[4:5], off
	global_load_dwordx4 v[10:13], v[6:7], off
	s_nop 0
	global_load_dwordx4 v[6:9], v[8:9], off
	s_nop 0
	global_load_dwordx4 v[2:5], v[2:3], off
	s_load_dwordx4 s[40:43], s[4:5], 0x80
	s_load_dwordx2 s[44:45], s[4:5], 0x94
	s_waitcnt lgkmcnt(0)
	s_load_dword s12, s[40:41], 0x0
	s_and_saveexec_b64 s[2:3], s[10:11]
	s_cbranch_execz .LBB591_19
; %bb.14:
	v_cmp_ne_u16_sdwa s[10:11], v34, s8 src0_sel:BYTE_0 src1_sel:DWORD
	v_bfrev_b32_e32 v43, 1
	s_and_saveexec_b64 s[8:9], s[10:11]
	s_cbranch_execz .LBB591_18
; %bb.15:
	s_movk_i32 s10, 0x7f
	v_and_b32_e32 v42, 0x7f, v34
	v_cmp_ne_u32_e32 vcc, s10, v42
	v_mov_b32_e32 v43, 0x7f800001
	s_and_saveexec_b64 s[10:11], vcc
	s_cbranch_execz .LBB591_17
; %bb.16:
	v_and_b32_e32 v43, 7, v34
	v_ffbh_u32_e32 v44, v43
	v_min_u32_e32 v53, 32, v44
	v_subrev_u32_e32 v44, 28, v53
	v_lshlrev_b64 v[44:45], v44, v[34:35]
	v_lshrrev_b32_e32 v52, 3, v42
	v_sub_u32_e32 v45, 29, v53
	v_and_b32_e32 v44, 7, v44
	v_cmp_gt_u32_e32 vcc, 8, v42
	v_cndmask_b32_e32 v42, v52, v45, vcc
	v_cndmask_b32_e32 v43, v43, v44, vcc
	v_lshlrev_b32_e32 v44, 24, v34
	v_bfrev_b32_e32 v45, 60
	v_lshlrev_b32_e32 v43, 20, v43
	v_and_b32_e32 v44, 0x80000000, v44
	v_lshl_add_u32 v42, v42, 23, v45
	v_or3_b32 v43, v44, v42, v43
.LBB591_17:
	s_or_b64 exec, exec, s[10:11]
.LBB591_18:
	s_or_b64 exec, exec, s[8:9]
.LBB591_19:
	s_or_b64 exec, exec, s[2:3]
	v_lshrrev_b16_e32 v42, 8, v34
	v_cmp_ne_u16_e32 vcc, 0, v42
	v_mov_b32_e32 v44, 0
	v_mov_b32_e32 v45, 0
	s_and_saveexec_b64 s[2:3], vcc
	s_cbranch_execz .LBB591_25
; %bb.20:
	s_movk_i32 s8, 0x80
	v_cmp_ne_u16_e32 vcc, s8, v42
	v_bfrev_b32_e32 v45, 1
	s_and_saveexec_b64 s[8:9], vcc
	s_cbranch_execz .LBB591_24
; %bb.21:
	s_movk_i32 s10, 0x7f
	v_and_b32_e32 v52, 0x7f, v42
	v_cmp_ne_u32_e32 vcc, s10, v52
	v_mov_b32_e32 v45, 0x7f800001
	s_and_saveexec_b64 s[10:11], vcc
	s_cbranch_execz .LBB591_23
; %bb.22:
	v_and_b32_e32 v45, 7, v42
	v_ffbh_u32_e32 v54, v45
	v_min_u32_e32 v56, 32, v54
	v_subrev_u32_e32 v54, 28, v56
	v_lshlrev_b64 v[54:55], v54, v[42:43]
	v_lshrrev_b32_e32 v53, 3, v52
	v_sub_u32_e32 v42, 29, v56
	v_and_b32_e32 v54, 7, v54
	v_cmp_gt_u32_e32 vcc, 8, v52
	v_cndmask_b32_e32 v42, v53, v42, vcc
	v_cndmask_b32_e32 v45, v45, v54, vcc
	v_lshlrev_b32_e32 v52, 16, v34
	v_bfrev_b32_e32 v53, 60
	v_lshlrev_b32_e32 v45, 20, v45
	v_and_b32_e32 v52, 0x80000000, v52
	v_lshl_add_u32 v42, v42, 23, v53
	v_or3_b32 v45, v52, v42, v45
.LBB591_23:
	s_or_b64 exec, exec, s[10:11]
.LBB591_24:
	s_or_b64 exec, exec, s[8:9]
.LBB591_25:
	s_or_b64 exec, exec, s[2:3]
	s_movk_i32 s2, 0xff
	v_and_b32_sdwa v52, v34, s2 dst_sel:DWORD dst_unused:UNUSED_PAD src0_sel:WORD_1 src1_sel:DWORD
	v_lshrrev_b32_e32 v42, 16, v34
	v_cmp_ne_u16_e32 vcc, 0, v52
	s_and_saveexec_b64 s[2:3], vcc
	s_cbranch_execz .LBB591_31
; %bb.26:
	s_movk_i32 s8, 0x80
	v_cmp_ne_u16_e32 vcc, s8, v52
	v_bfrev_b32_e32 v44, 1
	s_and_saveexec_b64 s[8:9], vcc
	s_cbranch_execz .LBB591_30
; %bb.27:
	v_bfe_u32 v52, v34, 16, 7
	s_movk_i32 s10, 0x7f
	v_cmp_ne_u32_e32 vcc, s10, v52
	v_mov_b32_e32 v44, 0x7f800001
	s_and_saveexec_b64 s[10:11], vcc
	s_cbranch_execz .LBB591_29
; %bb.28:
	v_and_b32_e32 v44, 7, v42
	v_ffbh_u32_e32 v54, v44
	v_min_u32_e32 v56, 32, v54
	v_subrev_u32_e32 v54, 28, v56
	v_lshlrev_b64 v[54:55], v54, v[42:43]
	v_lshrrev_b32_e32 v53, 3, v52
	v_sub_u32_e32 v42, 29, v56
	v_and_b32_e32 v54, 7, v54
	v_cmp_gt_u32_e32 vcc, 8, v52
	v_mov_b32_e32 v52, 24
	v_cndmask_b32_e32 v42, v53, v42, vcc
	v_cndmask_b32_e32 v44, v44, v54, vcc
	v_lshlrev_b32_sdwa v52, v52, v34 dst_sel:DWORD dst_unused:UNUSED_PAD src0_sel:DWORD src1_sel:WORD_1
	v_bfrev_b32_e32 v53, 60
	v_lshlrev_b32_e32 v44, 20, v44
	v_and_b32_e32 v52, 0x80000000, v52
	v_lshl_add_u32 v42, v42, 23, v53
	v_or3_b32 v44, v52, v42, v44
.LBB591_29:
	s_or_b64 exec, exec, s[10:11]
.LBB591_30:
	s_or_b64 exec, exec, s[8:9]
.LBB591_31:
	s_or_b64 exec, exec, s[2:3]
	s_mov_b32 s2, 0xffffff
	v_cmp_lt_u32_e32 vcc, s2, v34
	v_mov_b32_e32 v53, 0
	v_mov_b32_e32 v54, 0
	s_and_saveexec_b64 s[2:3], vcc
	s_cbranch_execz .LBB591_37
; %bb.32:
	v_lshrrev_b32_e32 v42, 24, v34
	s_movk_i32 s8, 0x80
	v_cmp_ne_u32_e32 vcc, s8, v42
	v_bfrev_b32_e32 v54, 1
	s_and_saveexec_b64 s[8:9], vcc
	s_cbranch_execz .LBB591_36
; %bb.33:
	v_bfe_u32 v34, v34, 24, 7
	s_movk_i32 s10, 0x7f
	v_cmp_ne_u32_e32 vcc, s10, v34
	v_mov_b32_e32 v54, 0x7f800001
	s_and_saveexec_b64 s[10:11], vcc
	s_cbranch_execz .LBB591_35
; %bb.34:
	v_and_b32_e32 v52, 7, v42
	v_ffbh_u32_e32 v54, v52
	v_min_u32_e32 v57, 32, v54
	v_subrev_u32_e32 v54, 28, v57
	v_lshlrev_b64 v[54:55], v54, v[42:43]
	v_lshrrev_b32_e32 v56, 3, v34
	v_sub_u32_e32 v55, 29, v57
	v_and_b32_e32 v54, 7, v54
	v_cmp_gt_u32_e32 vcc, 8, v34
	v_cndmask_b32_e32 v34, v56, v55, vcc
	v_cndmask_b32_e32 v52, v52, v54, vcc
	v_lshlrev_b32_e32 v42, 24, v42
	v_bfrev_b32_e32 v54, 60
	v_lshlrev_b32_e32 v52, 20, v52
	v_and_b32_e32 v42, 0x80000000, v42
	v_lshl_add_u32 v34, v34, 23, v54
	v_or3_b32 v54, v42, v34, v52
.LBB591_35:
	s_or_b64 exec, exec, s[10:11]
.LBB591_36:
	s_or_b64 exec, exec, s[8:9]
.LBB591_37:
	s_or_b64 exec, exec, s[2:3]
	v_cmp_ne_u16_sdwa s[8:9], v35, v53 src0_sel:BYTE_0 src1_sel:DWORD
	s_and_saveexec_b64 s[2:3], s[8:9]
	s_cbranch_execz .LBB591_43
; %bb.38:
	s_movk_i32 s8, 0x80
	v_cmp_ne_u16_sdwa s[10:11], v35, s8 src0_sel:BYTE_0 src1_sel:DWORD
	v_bfrev_b32_e32 v53, 1
	s_and_saveexec_b64 s[8:9], s[10:11]
	s_cbranch_execz .LBB591_42
; %bb.39:
	s_movk_i32 s10, 0x7f
	v_and_b32_e32 v34, 0x7f, v35
	v_cmp_ne_u32_e32 vcc, s10, v34
	v_mov_b32_e32 v53, 0x7f800001
	s_and_saveexec_b64 s[10:11], vcc
	s_cbranch_execz .LBB591_41
; %bb.40:
	v_and_b32_e32 v55, 7, v35
	v_ffbh_u32_e32 v52, v55
	v_min_u32_e32 v57, 32, v52
	v_mov_b32_e32 v42, v35
	v_subrev_u32_e32 v52, 28, v57
	v_lshlrev_b64 v[52:53], v52, v[42:43]
	v_lshrrev_b32_e32 v56, 3, v34
	v_sub_u32_e32 v42, 29, v57
	v_and_b32_e32 v52, 7, v52
	v_cmp_gt_u32_e32 vcc, 8, v34
	v_cndmask_b32_e32 v34, v56, v42, vcc
	v_cndmask_b32_e32 v42, v55, v52, vcc
	v_lshlrev_b32_e32 v52, 24, v35
	v_bfrev_b32_e32 v53, 60
	v_lshlrev_b32_e32 v42, 20, v42
	v_and_b32_e32 v52, 0x80000000, v52
	v_lshl_add_u32 v34, v34, 23, v53
	v_or3_b32 v53, v52, v34, v42
.LBB591_41:
	s_or_b64 exec, exec, s[10:11]
.LBB591_42:
	s_or_b64 exec, exec, s[8:9]
.LBB591_43:
	s_or_b64 exec, exec, s[2:3]
	v_lshrrev_b16_e32 v34, 8, v35
	v_cmp_ne_u16_e32 vcc, 0, v34
	v_mov_b32_e32 v42, 0
	v_mov_b32_e32 v55, 0
	s_and_saveexec_b64 s[2:3], vcc
	s_cbranch_execz .LBB591_49
; %bb.44:
	s_movk_i32 s8, 0x80
	v_cmp_ne_u16_e32 vcc, s8, v34
	v_bfrev_b32_e32 v55, 1
	s_and_saveexec_b64 s[8:9], vcc
	s_cbranch_execz .LBB591_48
; %bb.45:
	s_movk_i32 s10, 0x7f
	v_and_b32_e32 v52, 0x7f, v34
	v_cmp_ne_u32_e32 vcc, s10, v52
	v_mov_b32_e32 v55, 0x7f800001
	s_and_saveexec_b64 s[10:11], vcc
	s_cbranch_execz .LBB591_47
; %bb.46:
	v_and_b32_e32 v55, 7, v34
	v_ffbh_u32_e32 v56, v55
	v_min_u32_e32 v59, 32, v56
	v_subrev_u32_e32 v56, 28, v59
	v_lshlrev_b64 v[56:57], v56, v[34:35]
	v_lshrrev_b32_e32 v58, 3, v52
	v_sub_u32_e32 v34, 29, v59
	v_and_b32_e32 v56, 7, v56
	v_cmp_gt_u32_e32 vcc, 8, v52
	v_cndmask_b32_e32 v34, v58, v34, vcc
	v_cndmask_b32_e32 v52, v55, v56, vcc
	v_lshlrev_b32_e32 v55, 16, v35
	v_bfrev_b32_e32 v56, 60
	v_lshlrev_b32_e32 v52, 20, v52
	v_and_b32_e32 v55, 0x80000000, v55
	v_lshl_add_u32 v34, v34, 23, v56
	v_or3_b32 v55, v55, v34, v52
.LBB591_47:
	s_or_b64 exec, exec, s[10:11]
.LBB591_48:
	s_or_b64 exec, exec, s[8:9]
.LBB591_49:
	s_or_b64 exec, exec, s[2:3]
	s_movk_i32 s2, 0xff
	v_and_b32_sdwa v52, v35, s2 dst_sel:DWORD dst_unused:UNUSED_PAD src0_sel:WORD_1 src1_sel:DWORD
	v_lshrrev_b32_e32 v34, 16, v35
	v_cmp_ne_u16_e32 vcc, 0, v52
	s_and_saveexec_b64 s[2:3], vcc
	s_cbranch_execz .LBB591_55
; %bb.50:
	s_movk_i32 s8, 0x80
	v_cmp_ne_u16_e32 vcc, s8, v52
	v_bfrev_b32_e32 v42, 1
	s_and_saveexec_b64 s[8:9], vcc
	s_cbranch_execz .LBB591_54
; %bb.51:
	v_bfe_u32 v52, v35, 16, 7
	s_movk_i32 s10, 0x7f
	v_cmp_ne_u32_e32 vcc, s10, v52
	v_mov_b32_e32 v42, 0x7f800001
	s_and_saveexec_b64 s[10:11], vcc
	s_cbranch_execz .LBB591_53
; %bb.52:
	v_and_b32_e32 v42, 7, v34
	v_ffbh_u32_e32 v56, v42
	v_min_u32_e32 v59, 32, v56
	v_subrev_u32_e32 v56, 28, v59
	v_lshlrev_b64 v[56:57], v56, v[34:35]
	v_lshrrev_b32_e32 v58, 3, v52
	v_sub_u32_e32 v34, 29, v59
	v_and_b32_e32 v56, 7, v56
	v_cmp_gt_u32_e32 vcc, 8, v52
	v_mov_b32_e32 v52, 24
	v_cndmask_b32_e32 v34, v58, v34, vcc
	v_cndmask_b32_e32 v42, v42, v56, vcc
	v_lshlrev_b32_sdwa v52, v52, v35 dst_sel:DWORD dst_unused:UNUSED_PAD src0_sel:DWORD src1_sel:WORD_1
	v_bfrev_b32_e32 v56, 60
	v_lshlrev_b32_e32 v42, 20, v42
	v_and_b32_e32 v52, 0x80000000, v52
	v_lshl_add_u32 v34, v34, 23, v56
	v_or3_b32 v42, v52, v34, v42
.LBB591_53:
	s_or_b64 exec, exec, s[10:11]
.LBB591_54:
	s_or_b64 exec, exec, s[8:9]
.LBB591_55:
	s_or_b64 exec, exec, s[2:3]
	s_mov_b32 s2, 0xffffff
	v_cmp_lt_u32_e32 vcc, s2, v35
	v_mov_b32_e32 v52, 0
	v_mov_b32_e32 v56, 0
	s_and_saveexec_b64 s[2:3], vcc
	s_cbranch_execz .LBB591_61
; %bb.56:
	v_lshrrev_b32_e32 v34, 24, v35
	s_movk_i32 s8, 0x80
	v_cmp_ne_u32_e32 vcc, s8, v34
	v_bfrev_b32_e32 v56, 1
	s_and_saveexec_b64 s[8:9], vcc
	s_cbranch_execz .LBB591_60
; %bb.57:
	v_bfe_u32 v35, v35, 24, 7
	s_movk_i32 s10, 0x7f
	v_cmp_ne_u32_e32 vcc, s10, v35
	v_mov_b32_e32 v56, 0x7f800001
	s_and_saveexec_b64 s[10:11], vcc
	s_cbranch_execz .LBB591_59
; %bb.58:
	v_and_b32_e32 v58, 7, v34
	v_ffbh_u32_e32 v56, v58
	v_min_u32_e32 v60, 32, v56
	v_subrev_u32_e32 v56, 28, v60
	v_lshlrev_b64 v[56:57], v56, v[34:35]
	v_lshrrev_b32_e32 v59, 3, v35
	v_sub_u32_e32 v57, 29, v60
	v_and_b32_e32 v56, 7, v56
	v_cmp_gt_u32_e32 vcc, 8, v35
	v_cndmask_b32_e32 v35, v59, v57, vcc
	v_cndmask_b32_e32 v56, v58, v56, vcc
	v_lshlrev_b32_e32 v34, 24, v34
	v_bfrev_b32_e32 v57, 60
	v_lshlrev_b32_e32 v56, 20, v56
	v_and_b32_e32 v34, 0x80000000, v34
	v_lshl_add_u32 v35, v35, 23, v57
	v_or3_b32 v56, v34, v35, v56
.LBB591_59:
	s_or_b64 exec, exec, s[10:11]
.LBB591_60:
	s_or_b64 exec, exec, s[8:9]
.LBB591_61:
	s_or_b64 exec, exec, s[2:3]
	v_cvt_pkrtz_f16_f32 v34, v43, v45
	v_cvt_pkrtz_f16_f32 v35, v44, v54
	v_cmp_ne_u16_sdwa s[8:9], v36, v52 src0_sel:BYTE_0 src1_sel:DWORD
	s_nop 0
	v_mfma_f32_16x16x16f16 v[58:61], v[34:35], v[26:27], 0
	v_cvt_pkrtz_f16_f32 v34, v53, v55
	v_cvt_pkrtz_f16_f32 v35, v42, v56
	s_nop 1
	v_mfma_f32_16x16x16f16 v[42:45], v[34:35], v[28:29], v[58:61]
	s_and_saveexec_b64 s[2:3], s[8:9]
	s_cbranch_execz .LBB591_67
; %bb.62:
	s_movk_i32 s8, 0x80
	v_cmp_ne_u16_sdwa s[10:11], v36, s8 src0_sel:BYTE_0 src1_sel:DWORD
	v_bfrev_b32_e32 v52, 1
	s_and_saveexec_b64 s[8:9], s[10:11]
	s_cbranch_execz .LBB591_66
; %bb.63:
	s_movk_i32 s10, 0x7f
	v_and_b32_e32 v34, 0x7f, v36
	v_cmp_ne_u32_e32 vcc, s10, v34
	v_mov_b32_e32 v52, 0x7f800001
	s_and_saveexec_b64 s[10:11], vcc
	s_cbranch_execz .LBB591_65
; %bb.64:
	v_and_b32_e32 v35, 7, v36
	v_ffbh_u32_e32 v52, v35
	v_min_u32_e32 v55, 32, v52
	v_subrev_u32_e32 v52, 28, v55
	v_lshlrev_b64 v[52:53], v52, v[36:37]
	v_lshrrev_b32_e32 v54, 3, v34
	v_sub_u32_e32 v53, 29, v55
	v_and_b32_e32 v52, 7, v52
	v_cmp_gt_u32_e32 vcc, 8, v34
	v_cndmask_b32_e32 v34, v54, v53, vcc
	v_cndmask_b32_e32 v35, v35, v52, vcc
	v_lshlrev_b32_e32 v52, 24, v36
	v_bfrev_b32_e32 v53, 60
	v_lshlrev_b32_e32 v35, 20, v35
	v_and_b32_e32 v52, 0x80000000, v52
	v_lshl_add_u32 v34, v34, 23, v53
	v_or3_b32 v52, v52, v34, v35
.LBB591_65:
	s_or_b64 exec, exec, s[10:11]
.LBB591_66:
	s_or_b64 exec, exec, s[8:9]
.LBB591_67:
	s_or_b64 exec, exec, s[2:3]
	v_lshrrev_b16_e32 v34, 8, v36
	v_cmp_ne_u16_e32 vcc, 0, v34
	v_mov_b32_e32 v35, 0
	v_mov_b32_e32 v54, 0
	s_and_saveexec_b64 s[2:3], vcc
	s_cbranch_execz .LBB591_73
; %bb.68:
	s_movk_i32 s8, 0x80
	v_cmp_ne_u16_e32 vcc, s8, v34
	v_bfrev_b32_e32 v54, 1
	s_and_saveexec_b64 s[8:9], vcc
	s_cbranch_execz .LBB591_72
; %bb.69:
	s_movk_i32 s10, 0x7f
	v_and_b32_e32 v53, 0x7f, v34
	v_cmp_ne_u32_e32 vcc, s10, v53
	v_mov_b32_e32 v54, 0x7f800001
	s_and_saveexec_b64 s[10:11], vcc
	s_cbranch_execz .LBB591_71
; %bb.70:
	v_and_b32_e32 v56, 7, v34
	v_ffbh_u32_e32 v54, v56
	v_min_u32_e32 v58, 32, v54
	v_subrev_u32_e32 v54, 28, v58
	v_lshlrev_b64 v[54:55], v54, v[34:35]
	v_lshrrev_b32_e32 v57, 3, v53
	v_sub_u32_e32 v34, 29, v58
	v_and_b32_e32 v54, 7, v54
	v_cmp_gt_u32_e32 vcc, 8, v53
	v_cndmask_b32_e32 v34, v57, v34, vcc
	v_cndmask_b32_e32 v53, v56, v54, vcc
	v_lshlrev_b32_e32 v54, 16, v36
	v_bfrev_b32_e32 v55, 60
	v_lshlrev_b32_e32 v53, 20, v53
	v_and_b32_e32 v54, 0x80000000, v54
	v_lshl_add_u32 v34, v34, 23, v55
	v_or3_b32 v54, v54, v34, v53
.LBB591_71:
	s_or_b64 exec, exec, s[10:11]
.LBB591_72:
	s_or_b64 exec, exec, s[8:9]
.LBB591_73:
	s_or_b64 exec, exec, s[2:3]
	s_movk_i32 s2, 0xff
	v_and_b32_sdwa v53, v36, s2 dst_sel:DWORD dst_unused:UNUSED_PAD src0_sel:WORD_1 src1_sel:DWORD
	v_lshrrev_b32_e32 v34, 16, v36
	v_cmp_ne_u16_e32 vcc, 0, v53
	s_and_saveexec_b64 s[2:3], vcc
	s_cbranch_execz .LBB591_79
; %bb.74:
	s_movk_i32 s8, 0x80
	v_cmp_ne_u16_e32 vcc, s8, v53
	v_bfrev_b32_e32 v35, 1
	s_and_saveexec_b64 s[8:9], vcc
	s_cbranch_execz .LBB591_78
; %bb.75:
	v_bfe_u32 v53, v36, 16, 7
	s_movk_i32 s10, 0x7f
	v_cmp_ne_u32_e32 vcc, s10, v53
	v_mov_b32_e32 v35, 0x7f800001
	s_and_saveexec_b64 s[10:11], vcc
	s_cbranch_execz .LBB591_77
; %bb.76:
	v_and_b32_e32 v55, 7, v34
	v_ffbh_u32_e32 v35, v55
	v_min_u32_e32 v57, 32, v35
	v_subrev_u32_e32 v35, 28, v57
	v_lshlrev_b64 v[34:35], v35, v[34:35]
	v_lshrrev_b32_e32 v56, 3, v53
	v_sub_u32_e32 v35, 29, v57
	v_and_b32_e32 v34, 7, v34
	v_cmp_gt_u32_e32 vcc, 8, v53
	v_mov_b32_e32 v53, 24
	v_cndmask_b32_e32 v35, v56, v35, vcc
	v_cndmask_b32_e32 v34, v55, v34, vcc
	v_lshlrev_b32_sdwa v53, v53, v36 dst_sel:DWORD dst_unused:UNUSED_PAD src0_sel:DWORD src1_sel:WORD_1
	v_bfrev_b32_e32 v55, 60
	v_lshlrev_b32_e32 v34, 20, v34
	v_and_b32_e32 v53, 0x80000000, v53
	v_lshl_add_u32 v35, v35, 23, v55
	v_or3_b32 v35, v53, v35, v34
.LBB591_77:
	s_or_b64 exec, exec, s[10:11]
.LBB591_78:
	s_or_b64 exec, exec, s[8:9]
.LBB591_79:
	s_or_b64 exec, exec, s[2:3]
	s_mov_b32 s2, 0xffffff
	v_cmp_lt_u32_e32 vcc, s2, v36
	v_mov_b32_e32 v55, 0
	v_mov_b32_e32 v56, 0
	s_and_saveexec_b64 s[2:3], vcc
	s_cbranch_execz .LBB591_85
; %bb.80:
	v_lshrrev_b32_e32 v34, 24, v36
	s_movk_i32 s8, 0x80
	v_cmp_ne_u32_e32 vcc, s8, v34
	v_bfrev_b32_e32 v56, 1
	s_and_saveexec_b64 s[8:9], vcc
	s_cbranch_execz .LBB591_84
; %bb.81:
	v_bfe_u32 v36, v36, 24, 7
	s_movk_i32 s10, 0x7f
	v_cmp_ne_u32_e32 vcc, s10, v36
	v_mov_b32_e32 v56, 0x7f800001
	s_and_saveexec_b64 s[10:11], vcc
	s_cbranch_execz .LBB591_83
; %bb.82:
	v_and_b32_e32 v53, 7, v34
	v_ffbh_u32_e32 v56, v53
	v_min_u32_e32 v59, 32, v56
	v_subrev_u32_e32 v56, 28, v59
	v_lshlrev_b64 v[56:57], v56, v[34:35]
	v_lshrrev_b32_e32 v58, 3, v36
	v_sub_u32_e32 v57, 29, v59
	v_and_b32_e32 v56, 7, v56
	v_cmp_gt_u32_e32 vcc, 8, v36
	v_cndmask_b32_e32 v36, v58, v57, vcc
	v_cndmask_b32_e32 v53, v53, v56, vcc
	v_lshlrev_b32_e32 v34, 24, v34
	v_bfrev_b32_e32 v56, 60
	v_lshlrev_b32_e32 v53, 20, v53
	v_and_b32_e32 v34, 0x80000000, v34
	v_lshl_add_u32 v36, v36, 23, v56
	v_or3_b32 v56, v34, v36, v53
.LBB591_83:
	s_or_b64 exec, exec, s[10:11]
.LBB591_84:
	s_or_b64 exec, exec, s[8:9]
.LBB591_85:
	s_or_b64 exec, exec, s[2:3]
	v_cmp_ne_u16_sdwa s[8:9], v37, v55 src0_sel:BYTE_0 src1_sel:DWORD
	s_and_saveexec_b64 s[2:3], s[8:9]
	s_cbranch_execz .LBB591_91
; %bb.86:
	s_movk_i32 s8, 0x80
	v_cmp_ne_u16_sdwa s[10:11], v37, s8 src0_sel:BYTE_0 src1_sel:DWORD
	v_bfrev_b32_e32 v55, 1
	s_and_saveexec_b64 s[8:9], s[10:11]
	s_cbranch_execz .LBB591_90
; %bb.87:
	s_movk_i32 s10, 0x7f
	v_and_b32_e32 v34, 0x7f, v37
	v_cmp_ne_u32_e32 vcc, s10, v34
	v_mov_b32_e32 v55, 0x7f800001
	s_and_saveexec_b64 s[10:11], vcc
	s_cbranch_execz .LBB591_89
; %bb.88:
	v_and_b32_e32 v53, 7, v37
	v_ffbh_u32_e32 v57, v53
	v_min_u32_e32 v57, 32, v57
	v_mov_b32_e32 v36, v37
	v_subrev_u32_e32 v58, 28, v57
	v_lshlrev_b64 v[58:59], v58, v[36:37]
	v_lshrrev_b32_e32 v55, 3, v34
	v_sub_u32_e32 v36, 29, v57
	v_and_b32_e32 v57, 7, v58
	v_cmp_gt_u32_e32 vcc, 8, v34
	v_cndmask_b32_e32 v34, v55, v36, vcc
	v_cndmask_b32_e32 v36, v53, v57, vcc
	v_lshlrev_b32_e32 v53, 24, v37
	v_bfrev_b32_e32 v55, 60
	v_lshlrev_b32_e32 v36, 20, v36
	v_and_b32_e32 v53, 0x80000000, v53
	v_lshl_add_u32 v34, v34, 23, v55
	v_or3_b32 v55, v53, v34, v36
.LBB591_89:
	s_or_b64 exec, exec, s[10:11]
.LBB591_90:
	s_or_b64 exec, exec, s[8:9]
.LBB591_91:
	s_or_b64 exec, exec, s[2:3]
	v_lshrrev_b16_e32 v34, 8, v37
	v_cmp_ne_u16_e32 vcc, 0, v34
	v_mov_b32_e32 v36, 0
	v_mov_b32_e32 v57, 0
	s_and_saveexec_b64 s[2:3], vcc
	s_cbranch_execz .LBB591_97
; %bb.92:
	s_movk_i32 s8, 0x80
	v_cmp_ne_u16_e32 vcc, s8, v34
	v_bfrev_b32_e32 v57, 1
	s_and_saveexec_b64 s[8:9], vcc
	s_cbranch_execz .LBB591_96
; %bb.93:
	s_movk_i32 s10, 0x7f
	v_and_b32_e32 v53, 0x7f, v34
	v_cmp_ne_u32_e32 vcc, s10, v53
	v_mov_b32_e32 v57, 0x7f800001
	s_and_saveexec_b64 s[10:11], vcc
	s_cbranch_execz .LBB591_95
; %bb.94:
	v_and_b32_e32 v57, 7, v34
	v_ffbh_u32_e32 v58, v57
	v_min_u32_e32 v61, 32, v58
	v_subrev_u32_e32 v58, 28, v61
	v_lshlrev_b64 v[58:59], v58, v[34:35]
	v_lshrrev_b32_e32 v60, 3, v53
	v_sub_u32_e32 v34, 29, v61
	v_and_b32_e32 v58, 7, v58
	v_cmp_gt_u32_e32 vcc, 8, v53
	v_cndmask_b32_e32 v34, v60, v34, vcc
	v_cndmask_b32_e32 v53, v57, v58, vcc
	v_lshlrev_b32_e32 v57, 16, v37
	v_bfrev_b32_e32 v58, 60
	v_lshlrev_b32_e32 v53, 20, v53
	v_and_b32_e32 v57, 0x80000000, v57
	v_lshl_add_u32 v34, v34, 23, v58
	v_or3_b32 v57, v57, v34, v53
.LBB591_95:
	s_or_b64 exec, exec, s[10:11]
.LBB591_96:
	s_or_b64 exec, exec, s[8:9]
.LBB591_97:
	s_or_b64 exec, exec, s[2:3]
	s_movk_i32 s2, 0xff
	v_and_b32_sdwa v53, v37, s2 dst_sel:DWORD dst_unused:UNUSED_PAD src0_sel:WORD_1 src1_sel:DWORD
	v_lshrrev_b32_e32 v34, 16, v37
	v_cmp_ne_u16_e32 vcc, 0, v53
	s_and_saveexec_b64 s[2:3], vcc
	s_cbranch_execz .LBB591_103
; %bb.98:
	s_movk_i32 s8, 0x80
	v_cmp_ne_u16_e32 vcc, s8, v53
	v_bfrev_b32_e32 v36, 1
	s_and_saveexec_b64 s[8:9], vcc
	s_cbranch_execz .LBB591_102
; %bb.99:
	v_bfe_u32 v53, v37, 16, 7
	s_movk_i32 s10, 0x7f
	v_cmp_ne_u32_e32 vcc, s10, v53
	v_mov_b32_e32 v36, 0x7f800001
	s_and_saveexec_b64 s[10:11], vcc
	s_cbranch_execz .LBB591_101
; %bb.100:
	v_and_b32_e32 v36, 7, v34
	v_ffbh_u32_e32 v58, v36
	v_min_u32_e32 v61, 32, v58
	v_subrev_u32_e32 v58, 28, v61
	v_lshlrev_b64 v[58:59], v58, v[34:35]
	v_lshrrev_b32_e32 v60, 3, v53
	v_sub_u32_e32 v34, 29, v61
	v_and_b32_e32 v58, 7, v58
	v_cmp_gt_u32_e32 vcc, 8, v53
	v_mov_b32_e32 v53, 24
	v_cndmask_b32_e32 v34, v60, v34, vcc
	v_cndmask_b32_e32 v36, v36, v58, vcc
	v_lshlrev_b32_sdwa v53, v53, v37 dst_sel:DWORD dst_unused:UNUSED_PAD src0_sel:DWORD src1_sel:WORD_1
	v_bfrev_b32_e32 v58, 60
	v_lshlrev_b32_e32 v36, 20, v36
	v_and_b32_e32 v53, 0x80000000, v53
	v_lshl_add_u32 v34, v34, 23, v58
	v_or3_b32 v36, v53, v34, v36
.LBB591_101:
	s_or_b64 exec, exec, s[10:11]
.LBB591_102:
	s_or_b64 exec, exec, s[8:9]
.LBB591_103:
	s_or_b64 exec, exec, s[2:3]
	s_mov_b32 s2, 0xffffff
	v_cmp_lt_u32_e32 vcc, s2, v37
	v_mov_b32_e32 v53, 0
	v_mov_b32_e32 v58, 0
	s_and_saveexec_b64 s[2:3], vcc
	s_cbranch_execz .LBB591_109
; %bb.104:
	v_lshrrev_b32_e32 v34, 24, v37
	s_movk_i32 s8, 0x80
	v_cmp_ne_u32_e32 vcc, s8, v34
	v_bfrev_b32_e32 v58, 1
	s_and_saveexec_b64 s[8:9], vcc
	s_cbranch_execz .LBB591_108
; %bb.105:
	v_bfe_u32 v37, v37, 24, 7
	s_movk_i32 s10, 0x7f
	v_cmp_ne_u32_e32 vcc, s10, v37
	v_mov_b32_e32 v58, 0x7f800001
	s_and_saveexec_b64 s[10:11], vcc
	s_cbranch_execz .LBB591_107
; %bb.106:
	v_and_b32_e32 v60, 7, v34
	v_ffbh_u32_e32 v58, v60
	v_min_u32_e32 v62, 32, v58
	v_subrev_u32_e32 v58, 28, v62
	v_lshlrev_b64 v[58:59], v58, v[34:35]
	v_lshrrev_b32_e32 v61, 3, v37
	v_sub_u32_e32 v59, 29, v62
	v_and_b32_e32 v58, 7, v58
	v_cmp_gt_u32_e32 vcc, 8, v37
	v_cndmask_b32_e32 v37, v61, v59, vcc
	v_cndmask_b32_e32 v58, v60, v58, vcc
	v_lshlrev_b32_e32 v34, 24, v34
	v_bfrev_b32_e32 v59, 60
	v_lshlrev_b32_e32 v58, 20, v58
	v_and_b32_e32 v34, 0x80000000, v34
	v_lshl_add_u32 v37, v37, 23, v59
	v_or3_b32 v58, v34, v37, v58
.LBB591_107:
	s_or_b64 exec, exec, s[10:11]
.LBB591_108:
	s_or_b64 exec, exec, s[8:9]
.LBB591_109:
	s_or_b64 exec, exec, s[2:3]
	v_cvt_pkrtz_f16_f32 v34, v52, v54
	v_cvt_pkrtz_f16_f32 v35, v35, v56
	v_cmp_ne_u16_sdwa s[8:9], v38, v53 src0_sel:BYTE_0 src1_sel:DWORD
	s_nop 0
	v_mfma_f32_16x16x16f16 v[42:45], v[34:35], v[18:19], v[42:45]
	v_cvt_pkrtz_f16_f32 v34, v55, v57
	v_cvt_pkrtz_f16_f32 v35, v36, v58
	s_nop 1
	v_mfma_f32_16x16x16f16 v[34:37], v[34:35], v[20:21], v[42:45]
	s_and_saveexec_b64 s[2:3], s[8:9]
	s_cbranch_execz .LBB591_115
; %bb.110:
	s_movk_i32 s8, 0x80
	v_cmp_ne_u16_sdwa s[10:11], v38, s8 src0_sel:BYTE_0 src1_sel:DWORD
	v_bfrev_b32_e32 v53, 1
	s_and_saveexec_b64 s[8:9], s[10:11]
	s_cbranch_execz .LBB591_114
; %bb.111:
	s_movk_i32 s10, 0x7f
	v_and_b32_e32 v42, 0x7f, v38
	v_cmp_ne_u32_e32 vcc, s10, v42
	v_mov_b32_e32 v53, 0x7f800001
	s_and_saveexec_b64 s[10:11], vcc
	s_cbranch_execz .LBB591_113
; %bb.112:
	v_and_b32_e32 v43, 7, v38
	v_ffbh_u32_e32 v44, v43
	v_min_u32_e32 v53, 32, v44
	v_subrev_u32_e32 v44, 28, v53
	v_lshlrev_b64 v[44:45], v44, v[38:39]
	v_lshrrev_b32_e32 v52, 3, v42
	v_sub_u32_e32 v45, 29, v53
	v_and_b32_e32 v44, 7, v44
	v_cmp_gt_u32_e32 vcc, 8, v42
	v_cndmask_b32_e32 v42, v52, v45, vcc
	v_cndmask_b32_e32 v43, v43, v44, vcc
	v_lshlrev_b32_e32 v44, 24, v38
	v_bfrev_b32_e32 v45, 60
	v_lshlrev_b32_e32 v43, 20, v43
	v_and_b32_e32 v44, 0x80000000, v44
	v_lshl_add_u32 v42, v42, 23, v45
	v_or3_b32 v53, v44, v42, v43
.LBB591_113:
	s_or_b64 exec, exec, s[10:11]
.LBB591_114:
	s_or_b64 exec, exec, s[8:9]
.LBB591_115:
	s_or_b64 exec, exec, s[2:3]
	s_nop 3
	v_lshrrev_b16_e32 v42, 8, v38
	v_cmp_ne_u16_e32 vcc, 0, v42
	v_mov_b32_e32 v43, 0
	v_mov_b32_e32 v44, 0
	s_and_saveexec_b64 s[2:3], vcc
	s_cbranch_execz .LBB591_121
; %bb.116:
	s_movk_i32 s8, 0x80
	v_cmp_ne_u16_e32 vcc, s8, v42
	v_bfrev_b32_e32 v44, 1
	s_and_saveexec_b64 s[8:9], vcc
	s_cbranch_execz .LBB591_120
; %bb.117:
	s_movk_i32 s10, 0x7f
	v_and_b32_e32 v45, 0x7f, v42
	v_cmp_ne_u32_e32 vcc, s10, v45
	v_mov_b32_e32 v44, 0x7f800001
	s_and_saveexec_b64 s[10:11], vcc
	s_cbranch_execz .LBB591_119
; %bb.118:
	v_and_b32_e32 v44, 7, v42
	v_ffbh_u32_e32 v54, v44
	v_min_u32_e32 v56, 32, v54
	v_subrev_u32_e32 v54, 28, v56
	v_lshlrev_b64 v[54:55], v54, v[42:43]
	v_lshrrev_b32_e32 v52, 3, v45
	v_sub_u32_e32 v42, 29, v56
	v_and_b32_e32 v54, 7, v54
	v_cmp_gt_u32_e32 vcc, 8, v45
	v_cndmask_b32_e32 v42, v52, v42, vcc
	v_cndmask_b32_e32 v44, v44, v54, vcc
	v_lshlrev_b32_e32 v45, 16, v38
	v_bfrev_b32_e32 v52, 60
	v_lshlrev_b32_e32 v44, 20, v44
	v_and_b32_e32 v45, 0x80000000, v45
	v_lshl_add_u32 v42, v42, 23, v52
	v_or3_b32 v44, v45, v42, v44
.LBB591_119:
	s_or_b64 exec, exec, s[10:11]
.LBB591_120:
	s_or_b64 exec, exec, s[8:9]
.LBB591_121:
	s_or_b64 exec, exec, s[2:3]
	s_movk_i32 s2, 0xff
	v_and_b32_sdwa v45, v38, s2 dst_sel:DWORD dst_unused:UNUSED_PAD src0_sel:WORD_1 src1_sel:DWORD
	v_lshrrev_b32_e32 v42, 16, v38
	v_cmp_ne_u16_e32 vcc, 0, v45
	s_and_saveexec_b64 s[2:3], vcc
	s_cbranch_execz .LBB591_127
; %bb.122:
	s_movk_i32 s8, 0x80
	v_cmp_ne_u16_e32 vcc, s8, v45
	v_bfrev_b32_e32 v43, 1
	s_and_saveexec_b64 s[8:9], vcc
	s_cbranch_execz .LBB591_126
; %bb.123:
	v_bfe_u32 v45, v38, 16, 7
	s_movk_i32 s10, 0x7f
	v_cmp_ne_u32_e32 vcc, s10, v45
	v_mov_b32_e32 v43, 0x7f800001
	s_and_saveexec_b64 s[10:11], vcc
	s_cbranch_execz .LBB591_125
; %bb.124:
	v_and_b32_e32 v52, 7, v42
	v_ffbh_u32_e32 v43, v52
	v_min_u32_e32 v55, 32, v43
	v_subrev_u32_e32 v43, 28, v55
	v_lshlrev_b64 v[42:43], v43, v[42:43]
	v_lshrrev_b32_e32 v54, 3, v45
	v_sub_u32_e32 v43, 29, v55
	v_and_b32_e32 v42, 7, v42
	v_cmp_gt_u32_e32 vcc, 8, v45
	v_mov_b32_e32 v45, 24
	v_cndmask_b32_e32 v43, v54, v43, vcc
	v_cndmask_b32_e32 v42, v52, v42, vcc
	v_lshlrev_b32_sdwa v45, v45, v38 dst_sel:DWORD dst_unused:UNUSED_PAD src0_sel:DWORD src1_sel:WORD_1
	v_bfrev_b32_e32 v52, 60
	v_lshlrev_b32_e32 v42, 20, v42
	v_and_b32_e32 v45, 0x80000000, v45
	v_lshl_add_u32 v43, v43, 23, v52
	v_or3_b32 v43, v45, v43, v42
.LBB591_125:
	s_or_b64 exec, exec, s[10:11]
.LBB591_126:
	s_or_b64 exec, exec, s[8:9]
.LBB591_127:
	s_or_b64 exec, exec, s[2:3]
	s_mov_b32 s2, 0xffffff
	v_cmp_lt_u32_e32 vcc, s2, v38
	v_mov_b32_e32 v45, 0
	v_mov_b32_e32 v54, 0
	s_and_saveexec_b64 s[2:3], vcc
	s_cbranch_execz .LBB591_133
; %bb.128:
	v_lshrrev_b32_e32 v42, 24, v38
	s_movk_i32 s8, 0x80
	v_cmp_ne_u32_e32 vcc, s8, v42
	v_bfrev_b32_e32 v54, 1
	s_and_saveexec_b64 s[8:9], vcc
	s_cbranch_execz .LBB591_132
; %bb.129:
	v_bfe_u32 v38, v38, 24, 7
	s_movk_i32 s10, 0x7f
	v_cmp_ne_u32_e32 vcc, s10, v38
	v_mov_b32_e32 v54, 0x7f800001
	s_and_saveexec_b64 s[10:11], vcc
	s_cbranch_execz .LBB591_131
; %bb.130:
	v_and_b32_e32 v52, 7, v42
	v_ffbh_u32_e32 v54, v52
	v_min_u32_e32 v57, 32, v54
	v_subrev_u32_e32 v54, 28, v57
	v_lshlrev_b64 v[54:55], v54, v[42:43]
	v_lshrrev_b32_e32 v56, 3, v38
	v_sub_u32_e32 v55, 29, v57
	v_and_b32_e32 v54, 7, v54
	v_cmp_gt_u32_e32 vcc, 8, v38
	v_cndmask_b32_e32 v38, v56, v55, vcc
	v_cndmask_b32_e32 v52, v52, v54, vcc
	v_lshlrev_b32_e32 v42, 24, v42
	v_bfrev_b32_e32 v54, 60
	v_lshlrev_b32_e32 v52, 20, v52
	v_and_b32_e32 v42, 0x80000000, v42
	v_lshl_add_u32 v38, v38, 23, v54
	v_or3_b32 v54, v42, v38, v52
.LBB591_131:
	s_or_b64 exec, exec, s[10:11]
.LBB591_132:
	s_or_b64 exec, exec, s[8:9]
.LBB591_133:
	s_or_b64 exec, exec, s[2:3]
	v_cmp_ne_u16_sdwa s[8:9], v39, v45 src0_sel:BYTE_0 src1_sel:DWORD
	s_and_saveexec_b64 s[2:3], s[8:9]
	s_cbranch_execz .LBB591_139
; %bb.134:
	s_movk_i32 s8, 0x80
	v_cmp_ne_u16_sdwa s[10:11], v39, s8 src0_sel:BYTE_0 src1_sel:DWORD
	v_bfrev_b32_e32 v45, 1
	s_and_saveexec_b64 s[8:9], s[10:11]
	s_cbranch_execz .LBB591_138
; %bb.135:
	s_movk_i32 s10, 0x7f
	v_and_b32_e32 v38, 0x7f, v39
	v_cmp_ne_u32_e32 vcc, s10, v38
	v_mov_b32_e32 v45, 0x7f800001
	s_and_saveexec_b64 s[10:11], vcc
	s_cbranch_execz .LBB591_137
; %bb.136:
	v_and_b32_e32 v45, 7, v39
	v_ffbh_u32_e32 v55, v45
	v_min_u32_e32 v55, 32, v55
	v_mov_b32_e32 v42, v39
	v_subrev_u32_e32 v56, 28, v55
	v_lshlrev_b64 v[56:57], v56, v[42:43]
	v_lshrrev_b32_e32 v52, 3, v38
	v_sub_u32_e32 v42, 29, v55
	v_and_b32_e32 v55, 7, v56
	v_cmp_gt_u32_e32 vcc, 8, v38
	v_cndmask_b32_e32 v38, v52, v42, vcc
	v_cndmask_b32_e32 v42, v45, v55, vcc
	v_lshlrev_b32_e32 v45, 24, v39
	v_bfrev_b32_e32 v52, 60
	v_lshlrev_b32_e32 v42, 20, v42
	v_and_b32_e32 v45, 0x80000000, v45
	v_lshl_add_u32 v38, v38, 23, v52
	v_or3_b32 v45, v45, v38, v42
.LBB591_137:
	s_or_b64 exec, exec, s[10:11]
.LBB591_138:
	s_or_b64 exec, exec, s[8:9]
.LBB591_139:
	s_or_b64 exec, exec, s[2:3]
	v_lshrrev_b16_e32 v38, 8, v39
	v_cmp_ne_u16_e32 vcc, 0, v38
	v_mov_b32_e32 v42, 0
	v_mov_b32_e32 v55, 0
	s_and_saveexec_b64 s[2:3], vcc
	s_cbranch_execz .LBB591_145
; %bb.140:
	s_movk_i32 s8, 0x80
	v_cmp_ne_u16_e32 vcc, s8, v38
	v_bfrev_b32_e32 v55, 1
	s_and_saveexec_b64 s[8:9], vcc
	s_cbranch_execz .LBB591_144
; %bb.141:
	s_movk_i32 s10, 0x7f
	v_and_b32_e32 v52, 0x7f, v38
	v_cmp_ne_u32_e32 vcc, s10, v52
	v_mov_b32_e32 v55, 0x7f800001
	s_and_saveexec_b64 s[10:11], vcc
	s_cbranch_execz .LBB591_143
; %bb.142:
	v_and_b32_e32 v55, 7, v38
	v_ffbh_u32_e32 v56, v55
	v_min_u32_e32 v59, 32, v56
	v_subrev_u32_e32 v56, 28, v59
	v_lshlrev_b64 v[56:57], v56, v[38:39]
	v_lshrrev_b32_e32 v58, 3, v52
	v_sub_u32_e32 v38, 29, v59
	v_and_b32_e32 v56, 7, v56
	v_cmp_gt_u32_e32 vcc, 8, v52
	v_cndmask_b32_e32 v38, v58, v38, vcc
	v_cndmask_b32_e32 v52, v55, v56, vcc
	v_lshlrev_b32_e32 v55, 16, v39
	v_bfrev_b32_e32 v56, 60
	v_lshlrev_b32_e32 v52, 20, v52
	v_and_b32_e32 v55, 0x80000000, v55
	v_lshl_add_u32 v38, v38, 23, v56
	v_or3_b32 v55, v55, v38, v52
.LBB591_143:
	s_or_b64 exec, exec, s[10:11]
.LBB591_144:
	s_or_b64 exec, exec, s[8:9]
.LBB591_145:
	s_or_b64 exec, exec, s[2:3]
	s_movk_i32 s2, 0xff
	v_and_b32_sdwa v52, v39, s2 dst_sel:DWORD dst_unused:UNUSED_PAD src0_sel:WORD_1 src1_sel:DWORD
	v_lshrrev_b32_e32 v38, 16, v39
	v_cmp_ne_u16_e32 vcc, 0, v52
	s_and_saveexec_b64 s[2:3], vcc
	s_cbranch_execz .LBB591_151
; %bb.146:
	s_movk_i32 s8, 0x80
	v_cmp_ne_u16_e32 vcc, s8, v52
	v_bfrev_b32_e32 v42, 1
	s_and_saveexec_b64 s[8:9], vcc
	s_cbranch_execz .LBB591_150
; %bb.147:
	v_bfe_u32 v52, v39, 16, 7
	s_movk_i32 s10, 0x7f
	v_cmp_ne_u32_e32 vcc, s10, v52
	v_mov_b32_e32 v42, 0x7f800001
	s_and_saveexec_b64 s[10:11], vcc
	s_cbranch_execz .LBB591_149
; %bb.148:
	v_and_b32_e32 v42, 7, v38
	v_ffbh_u32_e32 v56, v42
	v_min_u32_e32 v59, 32, v56
	v_subrev_u32_e32 v56, 28, v59
	v_lshlrev_b64 v[56:57], v56, v[38:39]
	v_lshrrev_b32_e32 v58, 3, v52
	v_sub_u32_e32 v38, 29, v59
	v_and_b32_e32 v56, 7, v56
	v_cmp_gt_u32_e32 vcc, 8, v52
	v_mov_b32_e32 v52, 24
	v_cndmask_b32_e32 v38, v58, v38, vcc
	v_cndmask_b32_e32 v42, v42, v56, vcc
	v_lshlrev_b32_sdwa v52, v52, v39 dst_sel:DWORD dst_unused:UNUSED_PAD src0_sel:DWORD src1_sel:WORD_1
	v_bfrev_b32_e32 v56, 60
	v_lshlrev_b32_e32 v42, 20, v42
	v_and_b32_e32 v52, 0x80000000, v52
	v_lshl_add_u32 v38, v38, 23, v56
	v_or3_b32 v42, v52, v38, v42
.LBB591_149:
	s_or_b64 exec, exec, s[10:11]
.LBB591_150:
	s_or_b64 exec, exec, s[8:9]
.LBB591_151:
	s_or_b64 exec, exec, s[2:3]
	s_mov_b32 s2, 0xffffff
	v_cmp_lt_u32_e32 vcc, s2, v39
	v_mov_b32_e32 v52, 0
	v_mov_b32_e32 v56, 0
	s_and_saveexec_b64 s[2:3], vcc
	s_cbranch_execz .LBB591_157
; %bb.152:
	v_lshrrev_b32_e32 v38, 24, v39
	s_movk_i32 s8, 0x80
	v_cmp_ne_u32_e32 vcc, s8, v38
	v_bfrev_b32_e32 v56, 1
	s_and_saveexec_b64 s[8:9], vcc
	s_cbranch_execz .LBB591_156
; %bb.153:
	v_bfe_u32 v39, v39, 24, 7
	s_movk_i32 s10, 0x7f
	v_cmp_ne_u32_e32 vcc, s10, v39
	v_mov_b32_e32 v56, 0x7f800001
	s_and_saveexec_b64 s[10:11], vcc
	s_cbranch_execz .LBB591_155
; %bb.154:
	v_and_b32_e32 v58, 7, v38
	v_ffbh_u32_e32 v56, v58
	v_min_u32_e32 v60, 32, v56
	v_subrev_u32_e32 v56, 28, v60
	v_lshlrev_b64 v[56:57], v56, v[38:39]
	v_lshrrev_b32_e32 v59, 3, v39
	v_sub_u32_e32 v57, 29, v60
	v_and_b32_e32 v56, 7, v56
	v_cmp_gt_u32_e32 vcc, 8, v39
	v_cndmask_b32_e32 v39, v59, v57, vcc
	v_cndmask_b32_e32 v56, v58, v56, vcc
	v_lshlrev_b32_e32 v38, 24, v38
	v_bfrev_b32_e32 v57, 60
	v_lshlrev_b32_e32 v56, 20, v56
	v_and_b32_e32 v38, 0x80000000, v38
	v_lshl_add_u32 v39, v39, 23, v57
	v_or3_b32 v56, v38, v39, v56
.LBB591_155:
	s_or_b64 exec, exec, s[10:11]
.LBB591_156:
	s_or_b64 exec, exec, s[8:9]
.LBB591_157:
	s_or_b64 exec, exec, s[2:3]
	v_cvt_pkrtz_f16_f32 v38, v53, v44
	v_cvt_pkrtz_f16_f32 v39, v43, v54
	v_cmp_ne_u16_sdwa s[8:9], v40, v52 src0_sel:BYTE_0 src1_sel:DWORD
	s_nop 0
	v_mfma_f32_16x16x16f16 v[58:61], v[38:39], v[26:27], 0
	v_cvt_pkrtz_f16_f32 v38, v45, v55
	v_cvt_pkrtz_f16_f32 v39, v42, v56
	s_nop 1
	v_mfma_f32_16x16x16f16 v[42:45], v[38:39], v[28:29], v[58:61]
	s_and_saveexec_b64 s[2:3], s[8:9]
	s_cbranch_execz .LBB591_163
; %bb.158:
	s_movk_i32 s8, 0x80
	v_cmp_ne_u16_sdwa s[10:11], v40, s8 src0_sel:BYTE_0 src1_sel:DWORD
	v_bfrev_b32_e32 v52, 1
	s_and_saveexec_b64 s[8:9], s[10:11]
	s_cbranch_execz .LBB591_162
; %bb.159:
	s_movk_i32 s10, 0x7f
	v_and_b32_e32 v38, 0x7f, v40
	v_cmp_ne_u32_e32 vcc, s10, v38
	v_mov_b32_e32 v52, 0x7f800001
	s_and_saveexec_b64 s[10:11], vcc
	s_cbranch_execz .LBB591_161
; %bb.160:
	v_and_b32_e32 v39, 7, v40
	v_ffbh_u32_e32 v52, v39
	v_min_u32_e32 v55, 32, v52
	v_subrev_u32_e32 v52, 28, v55
	v_lshlrev_b64 v[52:53], v52, v[40:41]
	v_lshrrev_b32_e32 v54, 3, v38
	v_sub_u32_e32 v53, 29, v55
	v_and_b32_e32 v52, 7, v52
	v_cmp_gt_u32_e32 vcc, 8, v38
	v_cndmask_b32_e32 v38, v54, v53, vcc
	v_cndmask_b32_e32 v39, v39, v52, vcc
	v_lshlrev_b32_e32 v52, 24, v40
	v_bfrev_b32_e32 v53, 60
	v_lshlrev_b32_e32 v39, 20, v39
	v_and_b32_e32 v52, 0x80000000, v52
	v_lshl_add_u32 v38, v38, 23, v53
	v_or3_b32 v52, v52, v38, v39
.LBB591_161:
	s_or_b64 exec, exec, s[10:11]
.LBB591_162:
	s_or_b64 exec, exec, s[8:9]
.LBB591_163:
	s_or_b64 exec, exec, s[2:3]
	v_lshrrev_b16_e32 v38, 8, v40
	v_cmp_ne_u16_e32 vcc, 0, v38
	v_mov_b32_e32 v39, 0
	v_mov_b32_e32 v54, 0
	s_and_saveexec_b64 s[2:3], vcc
	s_cbranch_execz .LBB591_169
; %bb.164:
	s_movk_i32 s8, 0x80
	v_cmp_ne_u16_e32 vcc, s8, v38
	v_bfrev_b32_e32 v54, 1
	s_and_saveexec_b64 s[8:9], vcc
	s_cbranch_execz .LBB591_168
; %bb.165:
	s_movk_i32 s10, 0x7f
	v_and_b32_e32 v53, 0x7f, v38
	v_cmp_ne_u32_e32 vcc, s10, v53
	v_mov_b32_e32 v54, 0x7f800001
	s_and_saveexec_b64 s[10:11], vcc
	s_cbranch_execz .LBB591_167
; %bb.166:
	v_and_b32_e32 v56, 7, v38
	v_ffbh_u32_e32 v54, v56
	v_min_u32_e32 v58, 32, v54
	v_subrev_u32_e32 v54, 28, v58
	v_lshlrev_b64 v[54:55], v54, v[38:39]
	v_lshrrev_b32_e32 v57, 3, v53
	v_sub_u32_e32 v38, 29, v58
	v_and_b32_e32 v54, 7, v54
	v_cmp_gt_u32_e32 vcc, 8, v53
	v_cndmask_b32_e32 v38, v57, v38, vcc
	v_cndmask_b32_e32 v53, v56, v54, vcc
	v_lshlrev_b32_e32 v54, 16, v40
	v_bfrev_b32_e32 v55, 60
	v_lshlrev_b32_e32 v53, 20, v53
	v_and_b32_e32 v54, 0x80000000, v54
	v_lshl_add_u32 v38, v38, 23, v55
	v_or3_b32 v54, v54, v38, v53
.LBB591_167:
	s_or_b64 exec, exec, s[10:11]
.LBB591_168:
	s_or_b64 exec, exec, s[8:9]
.LBB591_169:
	s_or_b64 exec, exec, s[2:3]
	s_movk_i32 s2, 0xff
	v_and_b32_sdwa v53, v40, s2 dst_sel:DWORD dst_unused:UNUSED_PAD src0_sel:WORD_1 src1_sel:DWORD
	v_lshrrev_b32_e32 v38, 16, v40
	v_cmp_ne_u16_e32 vcc, 0, v53
	s_and_saveexec_b64 s[2:3], vcc
	s_cbranch_execz .LBB591_175
; %bb.170:
	s_movk_i32 s8, 0x80
	v_cmp_ne_u16_e32 vcc, s8, v53
	v_bfrev_b32_e32 v39, 1
	s_and_saveexec_b64 s[8:9], vcc
	s_cbranch_execz .LBB591_174
; %bb.171:
	v_bfe_u32 v53, v40, 16, 7
	s_movk_i32 s10, 0x7f
	v_cmp_ne_u32_e32 vcc, s10, v53
	v_mov_b32_e32 v39, 0x7f800001
	s_and_saveexec_b64 s[10:11], vcc
	s_cbranch_execz .LBB591_173
; %bb.172:
	v_and_b32_e32 v55, 7, v38
	v_ffbh_u32_e32 v39, v55
	v_min_u32_e32 v57, 32, v39
	v_subrev_u32_e32 v39, 28, v57
	v_lshlrev_b64 v[38:39], v39, v[38:39]
	v_lshrrev_b32_e32 v56, 3, v53
	v_sub_u32_e32 v39, 29, v57
	v_and_b32_e32 v38, 7, v38
	v_cmp_gt_u32_e32 vcc, 8, v53
	v_mov_b32_e32 v53, 24
	v_cndmask_b32_e32 v39, v56, v39, vcc
	v_cndmask_b32_e32 v38, v55, v38, vcc
	v_lshlrev_b32_sdwa v53, v53, v40 dst_sel:DWORD dst_unused:UNUSED_PAD src0_sel:DWORD src1_sel:WORD_1
	v_bfrev_b32_e32 v55, 60
	v_lshlrev_b32_e32 v38, 20, v38
	v_and_b32_e32 v53, 0x80000000, v53
	v_lshl_add_u32 v39, v39, 23, v55
	v_or3_b32 v39, v53, v39, v38
.LBB591_173:
	s_or_b64 exec, exec, s[10:11]
.LBB591_174:
	s_or_b64 exec, exec, s[8:9]
.LBB591_175:
	s_or_b64 exec, exec, s[2:3]
	s_mov_b32 s2, 0xffffff
	v_cmp_lt_u32_e32 vcc, s2, v40
	v_mov_b32_e32 v55, 0
	v_mov_b32_e32 v56, 0
	s_and_saveexec_b64 s[2:3], vcc
	s_cbranch_execz .LBB591_181
; %bb.176:
	v_lshrrev_b32_e32 v38, 24, v40
	s_movk_i32 s8, 0x80
	v_cmp_ne_u32_e32 vcc, s8, v38
	v_bfrev_b32_e32 v56, 1
	s_and_saveexec_b64 s[8:9], vcc
	s_cbranch_execz .LBB591_180
; %bb.177:
	v_bfe_u32 v40, v40, 24, 7
	s_movk_i32 s10, 0x7f
	v_cmp_ne_u32_e32 vcc, s10, v40
	v_mov_b32_e32 v56, 0x7f800001
	s_and_saveexec_b64 s[10:11], vcc
	s_cbranch_execz .LBB591_179
; %bb.178:
	v_and_b32_e32 v53, 7, v38
	v_ffbh_u32_e32 v56, v53
	v_min_u32_e32 v59, 32, v56
	v_subrev_u32_e32 v56, 28, v59
	v_lshlrev_b64 v[56:57], v56, v[38:39]
	v_lshrrev_b32_e32 v58, 3, v40
	v_sub_u32_e32 v57, 29, v59
	v_and_b32_e32 v56, 7, v56
	v_cmp_gt_u32_e32 vcc, 8, v40
	v_cndmask_b32_e32 v40, v58, v57, vcc
	v_cndmask_b32_e32 v53, v53, v56, vcc
	v_lshlrev_b32_e32 v38, 24, v38
	v_bfrev_b32_e32 v56, 60
	v_lshlrev_b32_e32 v53, 20, v53
	v_and_b32_e32 v38, 0x80000000, v38
	v_lshl_add_u32 v40, v40, 23, v56
	v_or3_b32 v56, v38, v40, v53
.LBB591_179:
	s_or_b64 exec, exec, s[10:11]
.LBB591_180:
	s_or_b64 exec, exec, s[8:9]
.LBB591_181:
	s_or_b64 exec, exec, s[2:3]
	v_cmp_ne_u16_sdwa s[8:9], v41, v55 src0_sel:BYTE_0 src1_sel:DWORD
	s_and_saveexec_b64 s[2:3], s[8:9]
	s_cbranch_execz .LBB591_187
; %bb.182:
	s_movk_i32 s8, 0x80
	v_cmp_ne_u16_sdwa s[10:11], v41, s8 src0_sel:BYTE_0 src1_sel:DWORD
	v_bfrev_b32_e32 v55, 1
	s_and_saveexec_b64 s[8:9], s[10:11]
	s_cbranch_execz .LBB591_186
; %bb.183:
	s_movk_i32 s10, 0x7f
	v_and_b32_e32 v38, 0x7f, v41
	v_cmp_ne_u32_e32 vcc, s10, v38
	v_mov_b32_e32 v55, 0x7f800001
	s_and_saveexec_b64 s[10:11], vcc
	s_cbranch_execz .LBB591_185
; %bb.184:
	v_and_b32_e32 v53, 7, v41
	v_ffbh_u32_e32 v57, v53
	v_min_u32_e32 v57, 32, v57
	v_mov_b32_e32 v40, v41
	v_subrev_u32_e32 v58, 28, v57
	v_lshlrev_b64 v[58:59], v58, v[40:41]
	v_lshrrev_b32_e32 v55, 3, v38
	v_sub_u32_e32 v40, 29, v57
	v_and_b32_e32 v57, 7, v58
	v_cmp_gt_u32_e32 vcc, 8, v38
	v_cndmask_b32_e32 v38, v55, v40, vcc
	v_cndmask_b32_e32 v40, v53, v57, vcc
	v_lshlrev_b32_e32 v53, 24, v41
	v_bfrev_b32_e32 v55, 60
	v_lshlrev_b32_e32 v40, 20, v40
	v_and_b32_e32 v53, 0x80000000, v53
	v_lshl_add_u32 v38, v38, 23, v55
	v_or3_b32 v55, v53, v38, v40
.LBB591_185:
	s_or_b64 exec, exec, s[10:11]
.LBB591_186:
	s_or_b64 exec, exec, s[8:9]
.LBB591_187:
	s_or_b64 exec, exec, s[2:3]
	v_lshrrev_b16_e32 v38, 8, v41
	v_cmp_ne_u16_e32 vcc, 0, v38
	v_mov_b32_e32 v40, 0
	v_mov_b32_e32 v57, 0
	s_and_saveexec_b64 s[2:3], vcc
	s_cbranch_execz .LBB591_193
; %bb.188:
	s_movk_i32 s8, 0x80
	v_cmp_ne_u16_e32 vcc, s8, v38
	v_bfrev_b32_e32 v57, 1
	s_and_saveexec_b64 s[8:9], vcc
	s_cbranch_execz .LBB591_192
; %bb.189:
	s_movk_i32 s10, 0x7f
	v_and_b32_e32 v53, 0x7f, v38
	v_cmp_ne_u32_e32 vcc, s10, v53
	v_mov_b32_e32 v57, 0x7f800001
	s_and_saveexec_b64 s[10:11], vcc
	s_cbranch_execz .LBB591_191
; %bb.190:
	v_and_b32_e32 v57, 7, v38
	v_ffbh_u32_e32 v58, v57
	v_min_u32_e32 v61, 32, v58
	v_subrev_u32_e32 v58, 28, v61
	v_lshlrev_b64 v[58:59], v58, v[38:39]
	v_lshrrev_b32_e32 v60, 3, v53
	v_sub_u32_e32 v38, 29, v61
	v_and_b32_e32 v58, 7, v58
	v_cmp_gt_u32_e32 vcc, 8, v53
	v_cndmask_b32_e32 v38, v60, v38, vcc
	v_cndmask_b32_e32 v53, v57, v58, vcc
	v_lshlrev_b32_e32 v57, 16, v41
	v_bfrev_b32_e32 v58, 60
	v_lshlrev_b32_e32 v53, 20, v53
	v_and_b32_e32 v57, 0x80000000, v57
	v_lshl_add_u32 v38, v38, 23, v58
	v_or3_b32 v57, v57, v38, v53
.LBB591_191:
	s_or_b64 exec, exec, s[10:11]
.LBB591_192:
	s_or_b64 exec, exec, s[8:9]
.LBB591_193:
	s_or_b64 exec, exec, s[2:3]
	s_movk_i32 s2, 0xff
	v_and_b32_sdwa v53, v41, s2 dst_sel:DWORD dst_unused:UNUSED_PAD src0_sel:WORD_1 src1_sel:DWORD
	v_lshrrev_b32_e32 v38, 16, v41
	v_cmp_ne_u16_e32 vcc, 0, v53
	s_and_saveexec_b64 s[2:3], vcc
	s_cbranch_execz .LBB591_199
; %bb.194:
	s_movk_i32 s8, 0x80
	v_cmp_ne_u16_e32 vcc, s8, v53
	v_bfrev_b32_e32 v40, 1
	s_and_saveexec_b64 s[8:9], vcc
	s_cbranch_execz .LBB591_198
; %bb.195:
	v_bfe_u32 v53, v41, 16, 7
	s_movk_i32 s10, 0x7f
	v_cmp_ne_u32_e32 vcc, s10, v53
	v_mov_b32_e32 v40, 0x7f800001
	s_and_saveexec_b64 s[10:11], vcc
	s_cbranch_execz .LBB591_197
; %bb.196:
	v_and_b32_e32 v40, 7, v38
	v_ffbh_u32_e32 v58, v40
	v_min_u32_e32 v61, 32, v58
	v_subrev_u32_e32 v58, 28, v61
	v_lshlrev_b64 v[58:59], v58, v[38:39]
	v_lshrrev_b32_e32 v60, 3, v53
	v_sub_u32_e32 v38, 29, v61
	v_and_b32_e32 v58, 7, v58
	v_cmp_gt_u32_e32 vcc, 8, v53
	v_mov_b32_e32 v53, 24
	v_cndmask_b32_e32 v38, v60, v38, vcc
	v_cndmask_b32_e32 v40, v40, v58, vcc
	v_lshlrev_b32_sdwa v53, v53, v41 dst_sel:DWORD dst_unused:UNUSED_PAD src0_sel:DWORD src1_sel:WORD_1
	v_bfrev_b32_e32 v58, 60
	v_lshlrev_b32_e32 v40, 20, v40
	v_and_b32_e32 v53, 0x80000000, v53
	v_lshl_add_u32 v38, v38, 23, v58
	v_or3_b32 v40, v53, v38, v40
.LBB591_197:
	s_or_b64 exec, exec, s[10:11]
.LBB591_198:
	s_or_b64 exec, exec, s[8:9]
.LBB591_199:
	s_or_b64 exec, exec, s[2:3]
	s_mov_b32 s2, 0xffffff
	v_cmp_lt_u32_e32 vcc, s2, v41
	v_mov_b32_e32 v53, 0
	v_mov_b32_e32 v58, 0
	s_and_saveexec_b64 s[2:3], vcc
	s_cbranch_execz .LBB591_205
; %bb.200:
	v_lshrrev_b32_e32 v38, 24, v41
	s_movk_i32 s8, 0x80
	v_cmp_ne_u32_e32 vcc, s8, v38
	v_bfrev_b32_e32 v58, 1
	s_and_saveexec_b64 s[8:9], vcc
	s_cbranch_execz .LBB591_204
; %bb.201:
	v_bfe_u32 v41, v41, 24, 7
	s_movk_i32 s10, 0x7f
	v_cmp_ne_u32_e32 vcc, s10, v41
	v_mov_b32_e32 v58, 0x7f800001
	s_and_saveexec_b64 s[10:11], vcc
	s_cbranch_execz .LBB591_203
; %bb.202:
	v_and_b32_e32 v60, 7, v38
	v_ffbh_u32_e32 v58, v60
	v_min_u32_e32 v62, 32, v58
	v_subrev_u32_e32 v58, 28, v62
	v_lshlrev_b64 v[58:59], v58, v[38:39]
	v_lshrrev_b32_e32 v61, 3, v41
	v_sub_u32_e32 v59, 29, v62
	v_and_b32_e32 v58, 7, v58
	v_cmp_gt_u32_e32 vcc, 8, v41
	v_cndmask_b32_e32 v41, v61, v59, vcc
	v_cndmask_b32_e32 v58, v60, v58, vcc
	v_lshlrev_b32_e32 v38, 24, v38
	v_bfrev_b32_e32 v59, 60
	v_lshlrev_b32_e32 v58, 20, v58
	v_and_b32_e32 v38, 0x80000000, v38
	v_lshl_add_u32 v41, v41, 23, v59
	v_or3_b32 v58, v38, v41, v58
.LBB591_203:
	s_or_b64 exec, exec, s[10:11]
.LBB591_204:
	s_or_b64 exec, exec, s[8:9]
.LBB591_205:
	s_or_b64 exec, exec, s[2:3]
	v_cvt_pkrtz_f16_f32 v38, v52, v54
	v_cvt_pkrtz_f16_f32 v39, v39, v56
	v_cmp_ne_u16_sdwa s[8:9], v30, v53 src0_sel:BYTE_0 src1_sel:DWORD
	s_nop 0
	v_mfma_f32_16x16x16f16 v[42:45], v[38:39], v[18:19], v[42:45]
	v_cvt_pkrtz_f16_f32 v38, v55, v57
	v_cvt_pkrtz_f16_f32 v39, v40, v58
	s_nop 1
	v_mfma_f32_16x16x16f16 v[38:41], v[38:39], v[20:21], v[42:45]
	s_and_saveexec_b64 s[2:3], s[8:9]
	s_cbranch_execz .LBB591_211
; %bb.206:
	s_movk_i32 s8, 0x80
	v_cmp_ne_u16_sdwa s[10:11], v30, s8 src0_sel:BYTE_0 src1_sel:DWORD
	v_bfrev_b32_e32 v53, 1
	s_and_saveexec_b64 s[8:9], s[10:11]
	s_cbranch_execz .LBB591_210
; %bb.207:
	s_movk_i32 s10, 0x7f
	v_and_b32_e32 v42, 0x7f, v30
	v_cmp_ne_u32_e32 vcc, s10, v42
	v_mov_b32_e32 v53, 0x7f800001
	s_and_saveexec_b64 s[10:11], vcc
	s_cbranch_execz .LBB591_209
; %bb.208:
	v_and_b32_e32 v43, 7, v30
	v_ffbh_u32_e32 v44, v43
	v_min_u32_e32 v53, 32, v44
	v_subrev_u32_e32 v44, 28, v53
	v_lshlrev_b64 v[44:45], v44, v[30:31]
	v_lshrrev_b32_e32 v52, 3, v42
	v_sub_u32_e32 v45, 29, v53
	v_and_b32_e32 v44, 7, v44
	v_cmp_gt_u32_e32 vcc, 8, v42
	v_cndmask_b32_e32 v42, v52, v45, vcc
	v_cndmask_b32_e32 v43, v43, v44, vcc
	v_lshlrev_b32_e32 v44, 24, v30
	v_bfrev_b32_e32 v45, 60
	v_lshlrev_b32_e32 v43, 20, v43
	v_and_b32_e32 v44, 0x80000000, v44
	v_lshl_add_u32 v42, v42, 23, v45
	v_or3_b32 v53, v44, v42, v43
.LBB591_209:
	s_or_b64 exec, exec, s[10:11]
.LBB591_210:
	s_or_b64 exec, exec, s[8:9]
.LBB591_211:
	s_or_b64 exec, exec, s[2:3]
	s_nop 3
	v_lshrrev_b16_e32 v42, 8, v30
	v_cmp_ne_u16_e32 vcc, 0, v42
	v_mov_b32_e32 v43, 0
	v_mov_b32_e32 v44, 0
	s_and_saveexec_b64 s[2:3], vcc
	s_cbranch_execz .LBB591_217
; %bb.212:
	s_movk_i32 s8, 0x80
	v_cmp_ne_u16_e32 vcc, s8, v42
	v_bfrev_b32_e32 v44, 1
	s_and_saveexec_b64 s[8:9], vcc
	s_cbranch_execz .LBB591_216
; %bb.213:
	s_movk_i32 s10, 0x7f
	v_and_b32_e32 v45, 0x7f, v42
	v_cmp_ne_u32_e32 vcc, s10, v45
	v_mov_b32_e32 v44, 0x7f800001
	s_and_saveexec_b64 s[10:11], vcc
	s_cbranch_execz .LBB591_215
; %bb.214:
	v_and_b32_e32 v44, 7, v42
	v_ffbh_u32_e32 v54, v44
	v_min_u32_e32 v56, 32, v54
	v_subrev_u32_e32 v54, 28, v56
	v_lshlrev_b64 v[54:55], v54, v[42:43]
	v_lshrrev_b32_e32 v52, 3, v45
	v_sub_u32_e32 v42, 29, v56
	v_and_b32_e32 v54, 7, v54
	v_cmp_gt_u32_e32 vcc, 8, v45
	v_cndmask_b32_e32 v42, v52, v42, vcc
	v_cndmask_b32_e32 v44, v44, v54, vcc
	v_lshlrev_b32_e32 v45, 16, v30
	v_bfrev_b32_e32 v52, 60
	v_lshlrev_b32_e32 v44, 20, v44
	v_and_b32_e32 v45, 0x80000000, v45
	v_lshl_add_u32 v42, v42, 23, v52
	v_or3_b32 v44, v45, v42, v44
.LBB591_215:
	s_or_b64 exec, exec, s[10:11]
.LBB591_216:
	s_or_b64 exec, exec, s[8:9]
.LBB591_217:
	s_or_b64 exec, exec, s[2:3]
	s_movk_i32 s2, 0xff
	v_and_b32_sdwa v45, v30, s2 dst_sel:DWORD dst_unused:UNUSED_PAD src0_sel:WORD_1 src1_sel:DWORD
	v_lshrrev_b32_e32 v42, 16, v30
	v_cmp_ne_u16_e32 vcc, 0, v45
	s_and_saveexec_b64 s[2:3], vcc
	s_cbranch_execz .LBB591_223
; %bb.218:
	s_movk_i32 s8, 0x80
	v_cmp_ne_u16_e32 vcc, s8, v45
	v_bfrev_b32_e32 v43, 1
	s_and_saveexec_b64 s[8:9], vcc
	s_cbranch_execz .LBB591_222
; %bb.219:
	v_bfe_u32 v45, v30, 16, 7
	s_movk_i32 s10, 0x7f
	v_cmp_ne_u32_e32 vcc, s10, v45
	v_mov_b32_e32 v43, 0x7f800001
	s_and_saveexec_b64 s[10:11], vcc
	s_cbranch_execz .LBB591_221
; %bb.220:
	v_and_b32_e32 v52, 7, v42
	v_ffbh_u32_e32 v43, v52
	v_min_u32_e32 v55, 32, v43
	v_subrev_u32_e32 v43, 28, v55
	v_lshlrev_b64 v[42:43], v43, v[42:43]
	v_lshrrev_b32_e32 v54, 3, v45
	v_sub_u32_e32 v43, 29, v55
	v_and_b32_e32 v42, 7, v42
	v_cmp_gt_u32_e32 vcc, 8, v45
	v_mov_b32_e32 v45, 24
	v_cndmask_b32_e32 v43, v54, v43, vcc
	v_cndmask_b32_e32 v42, v52, v42, vcc
	v_lshlrev_b32_sdwa v45, v45, v30 dst_sel:DWORD dst_unused:UNUSED_PAD src0_sel:DWORD src1_sel:WORD_1
	v_bfrev_b32_e32 v52, 60
	v_lshlrev_b32_e32 v42, 20, v42
	v_and_b32_e32 v45, 0x80000000, v45
	v_lshl_add_u32 v43, v43, 23, v52
	v_or3_b32 v43, v45, v43, v42
.LBB591_221:
	s_or_b64 exec, exec, s[10:11]
.LBB591_222:
	s_or_b64 exec, exec, s[8:9]
.LBB591_223:
	s_or_b64 exec, exec, s[2:3]
	s_mov_b32 s2, 0xffffff
	v_cmp_lt_u32_e32 vcc, s2, v30
	v_mov_b32_e32 v45, 0
	v_mov_b32_e32 v54, 0
	s_and_saveexec_b64 s[2:3], vcc
	s_cbranch_execz .LBB591_229
; %bb.224:
	v_lshrrev_b32_e32 v42, 24, v30
	s_movk_i32 s8, 0x80
	v_cmp_ne_u32_e32 vcc, s8, v42
	v_bfrev_b32_e32 v54, 1
	s_and_saveexec_b64 s[8:9], vcc
	s_cbranch_execz .LBB591_228
; %bb.225:
	v_bfe_u32 v30, v30, 24, 7
	s_movk_i32 s10, 0x7f
	v_cmp_ne_u32_e32 vcc, s10, v30
	v_mov_b32_e32 v54, 0x7f800001
	s_and_saveexec_b64 s[10:11], vcc
	s_cbranch_execz .LBB591_227
; %bb.226:
	v_and_b32_e32 v52, 7, v42
	v_ffbh_u32_e32 v54, v52
	v_min_u32_e32 v57, 32, v54
	v_subrev_u32_e32 v54, 28, v57
	v_lshlrev_b64 v[54:55], v54, v[42:43]
	v_lshrrev_b32_e32 v56, 3, v30
	v_sub_u32_e32 v55, 29, v57
	v_and_b32_e32 v54, 7, v54
	v_cmp_gt_u32_e32 vcc, 8, v30
	v_cndmask_b32_e32 v30, v56, v55, vcc
	v_cndmask_b32_e32 v52, v52, v54, vcc
	v_lshlrev_b32_e32 v42, 24, v42
	v_bfrev_b32_e32 v54, 60
	v_lshlrev_b32_e32 v52, 20, v52
	v_and_b32_e32 v42, 0x80000000, v42
	v_lshl_add_u32 v30, v30, 23, v54
	v_or3_b32 v54, v42, v30, v52
.LBB591_227:
	s_or_b64 exec, exec, s[10:11]
.LBB591_228:
	s_or_b64 exec, exec, s[8:9]
.LBB591_229:
	s_or_b64 exec, exec, s[2:3]
	v_cmp_ne_u16_sdwa s[8:9], v31, v45 src0_sel:BYTE_0 src1_sel:DWORD
	s_and_saveexec_b64 s[2:3], s[8:9]
	s_cbranch_execz .LBB591_235
; %bb.230:
	s_movk_i32 s8, 0x80
	v_cmp_ne_u16_sdwa s[10:11], v31, s8 src0_sel:BYTE_0 src1_sel:DWORD
	v_bfrev_b32_e32 v45, 1
	s_and_saveexec_b64 s[8:9], s[10:11]
	s_cbranch_execz .LBB591_234
; %bb.231:
	s_movk_i32 s10, 0x7f
	v_and_b32_e32 v30, 0x7f, v31
	v_cmp_ne_u32_e32 vcc, s10, v30
	v_mov_b32_e32 v45, 0x7f800001
	s_and_saveexec_b64 s[10:11], vcc
	s_cbranch_execz .LBB591_233
; %bb.232:
	v_and_b32_e32 v45, 7, v31
	v_ffbh_u32_e32 v55, v45
	v_min_u32_e32 v55, 32, v55
	v_mov_b32_e32 v42, v31
	v_subrev_u32_e32 v56, 28, v55
	v_lshlrev_b64 v[56:57], v56, v[42:43]
	v_lshrrev_b32_e32 v52, 3, v30
	v_sub_u32_e32 v42, 29, v55
	v_and_b32_e32 v55, 7, v56
	v_cmp_gt_u32_e32 vcc, 8, v30
	v_cndmask_b32_e32 v30, v52, v42, vcc
	v_cndmask_b32_e32 v42, v45, v55, vcc
	v_lshlrev_b32_e32 v45, 24, v31
	v_bfrev_b32_e32 v52, 60
	v_lshlrev_b32_e32 v42, 20, v42
	v_and_b32_e32 v45, 0x80000000, v45
	v_lshl_add_u32 v30, v30, 23, v52
	v_or3_b32 v45, v45, v30, v42
.LBB591_233:
	s_or_b64 exec, exec, s[10:11]
.LBB591_234:
	s_or_b64 exec, exec, s[8:9]
.LBB591_235:
	s_or_b64 exec, exec, s[2:3]
	v_lshrrev_b16_e32 v30, 8, v31
	v_cmp_ne_u16_e32 vcc, 0, v30
	v_mov_b32_e32 v42, 0
	v_mov_b32_e32 v55, 0
	s_and_saveexec_b64 s[2:3], vcc
	s_cbranch_execz .LBB591_241
; %bb.236:
	s_movk_i32 s8, 0x80
	v_cmp_ne_u16_e32 vcc, s8, v30
	v_bfrev_b32_e32 v55, 1
	s_and_saveexec_b64 s[8:9], vcc
	s_cbranch_execz .LBB591_240
; %bb.237:
	s_movk_i32 s10, 0x7f
	v_and_b32_e32 v52, 0x7f, v30
	v_cmp_ne_u32_e32 vcc, s10, v52
	v_mov_b32_e32 v55, 0x7f800001
	s_and_saveexec_b64 s[10:11], vcc
	s_cbranch_execz .LBB591_239
; %bb.238:
	v_and_b32_e32 v55, 7, v30
	v_ffbh_u32_e32 v56, v55
	v_min_u32_e32 v59, 32, v56
	v_subrev_u32_e32 v56, 28, v59
	v_lshlrev_b64 v[56:57], v56, v[30:31]
	v_lshrrev_b32_e32 v58, 3, v52
	v_sub_u32_e32 v30, 29, v59
	v_and_b32_e32 v56, 7, v56
	v_cmp_gt_u32_e32 vcc, 8, v52
	v_cndmask_b32_e32 v30, v58, v30, vcc
	v_cndmask_b32_e32 v52, v55, v56, vcc
	v_lshlrev_b32_e32 v55, 16, v31
	v_bfrev_b32_e32 v56, 60
	v_lshlrev_b32_e32 v52, 20, v52
	v_and_b32_e32 v55, 0x80000000, v55
	v_lshl_add_u32 v30, v30, 23, v56
	v_or3_b32 v55, v55, v30, v52
.LBB591_239:
	s_or_b64 exec, exec, s[10:11]
.LBB591_240:
	s_or_b64 exec, exec, s[8:9]
.LBB591_241:
	s_or_b64 exec, exec, s[2:3]
	s_movk_i32 s2, 0xff
	v_and_b32_sdwa v52, v31, s2 dst_sel:DWORD dst_unused:UNUSED_PAD src0_sel:WORD_1 src1_sel:DWORD
	v_lshrrev_b32_e32 v30, 16, v31
	v_cmp_ne_u16_e32 vcc, 0, v52
	s_and_saveexec_b64 s[2:3], vcc
	s_cbranch_execz .LBB591_247
; %bb.242:
	s_movk_i32 s8, 0x80
	v_cmp_ne_u16_e32 vcc, s8, v52
	v_bfrev_b32_e32 v42, 1
	s_and_saveexec_b64 s[8:9], vcc
	s_cbranch_execz .LBB591_246
; %bb.243:
	v_bfe_u32 v52, v31, 16, 7
	s_movk_i32 s10, 0x7f
	v_cmp_ne_u32_e32 vcc, s10, v52
	v_mov_b32_e32 v42, 0x7f800001
	s_and_saveexec_b64 s[10:11], vcc
	s_cbranch_execz .LBB591_245
; %bb.244:
	v_and_b32_e32 v42, 7, v30
	v_ffbh_u32_e32 v56, v42
	v_min_u32_e32 v59, 32, v56
	v_subrev_u32_e32 v56, 28, v59
	v_lshlrev_b64 v[56:57], v56, v[30:31]
	v_lshrrev_b32_e32 v58, 3, v52
	v_sub_u32_e32 v30, 29, v59
	v_and_b32_e32 v56, 7, v56
	v_cmp_gt_u32_e32 vcc, 8, v52
	v_mov_b32_e32 v52, 24
	v_cndmask_b32_e32 v30, v58, v30, vcc
	v_cndmask_b32_e32 v42, v42, v56, vcc
	v_lshlrev_b32_sdwa v52, v52, v31 dst_sel:DWORD dst_unused:UNUSED_PAD src0_sel:DWORD src1_sel:WORD_1
	v_bfrev_b32_e32 v56, 60
	v_lshlrev_b32_e32 v42, 20, v42
	v_and_b32_e32 v52, 0x80000000, v52
	v_lshl_add_u32 v30, v30, 23, v56
	v_or3_b32 v42, v52, v30, v42
.LBB591_245:
	s_or_b64 exec, exec, s[10:11]
.LBB591_246:
	s_or_b64 exec, exec, s[8:9]
.LBB591_247:
	s_or_b64 exec, exec, s[2:3]
	s_mov_b32 s2, 0xffffff
	v_cmp_lt_u32_e32 vcc, s2, v31
	v_mov_b32_e32 v52, 0
	v_mov_b32_e32 v56, 0
	s_and_saveexec_b64 s[2:3], vcc
	s_cbranch_execz .LBB591_253
; %bb.248:
	v_lshrrev_b32_e32 v30, 24, v31
	s_movk_i32 s8, 0x80
	v_cmp_ne_u32_e32 vcc, s8, v30
	v_bfrev_b32_e32 v56, 1
	s_and_saveexec_b64 s[8:9], vcc
	s_cbranch_execz .LBB591_252
; %bb.249:
	v_bfe_u32 v31, v31, 24, 7
	s_movk_i32 s10, 0x7f
	v_cmp_ne_u32_e32 vcc, s10, v31
	v_mov_b32_e32 v56, 0x7f800001
	s_and_saveexec_b64 s[10:11], vcc
	s_cbranch_execz .LBB591_251
; %bb.250:
	v_and_b32_e32 v58, 7, v30
	v_ffbh_u32_e32 v56, v58
	v_min_u32_e32 v60, 32, v56
	v_subrev_u32_e32 v56, 28, v60
	v_lshlrev_b64 v[56:57], v56, v[30:31]
	v_lshrrev_b32_e32 v59, 3, v31
	v_sub_u32_e32 v57, 29, v60
	v_and_b32_e32 v56, 7, v56
	v_cmp_gt_u32_e32 vcc, 8, v31
	v_cndmask_b32_e32 v31, v59, v57, vcc
	v_cndmask_b32_e32 v56, v58, v56, vcc
	v_lshlrev_b32_e32 v30, 24, v30
	v_bfrev_b32_e32 v57, 60
	v_lshlrev_b32_e32 v56, 20, v56
	v_and_b32_e32 v30, 0x80000000, v30
	v_lshl_add_u32 v31, v31, 23, v57
	v_or3_b32 v56, v30, v31, v56
.LBB591_251:
	s_or_b64 exec, exec, s[10:11]
.LBB591_252:
	s_or_b64 exec, exec, s[8:9]
.LBB591_253:
	s_or_b64 exec, exec, s[2:3]
	v_cvt_pkrtz_f16_f32 v30, v53, v44
	v_cvt_pkrtz_f16_f32 v31, v43, v54
	v_cmp_ne_u16_sdwa s[8:9], v32, v52 src0_sel:BYTE_0 src1_sel:DWORD
	s_nop 0
	v_mfma_f32_16x16x16f16 v[58:61], v[30:31], v[26:27], 0
	v_cvt_pkrtz_f16_f32 v30, v45, v55
	v_cvt_pkrtz_f16_f32 v31, v42, v56
	s_nop 1
	v_mfma_f32_16x16x16f16 v[42:45], v[30:31], v[28:29], v[58:61]
	s_and_saveexec_b64 s[2:3], s[8:9]
	s_cbranch_execz .LBB591_259
; %bb.254:
	s_movk_i32 s8, 0x80
	v_cmp_ne_u16_sdwa s[10:11], v32, s8 src0_sel:BYTE_0 src1_sel:DWORD
	v_bfrev_b32_e32 v52, 1
	s_and_saveexec_b64 s[8:9], s[10:11]
	s_cbranch_execz .LBB591_258
; %bb.255:
	s_movk_i32 s10, 0x7f
	v_and_b32_e32 v30, 0x7f, v32
	v_cmp_ne_u32_e32 vcc, s10, v30
	v_mov_b32_e32 v52, 0x7f800001
	s_and_saveexec_b64 s[10:11], vcc
	s_cbranch_execz .LBB591_257
; %bb.256:
	v_and_b32_e32 v31, 7, v32
	v_ffbh_u32_e32 v52, v31
	v_min_u32_e32 v55, 32, v52
	v_subrev_u32_e32 v52, 28, v55
	v_lshlrev_b64 v[52:53], v52, v[32:33]
	v_lshrrev_b32_e32 v54, 3, v30
	v_sub_u32_e32 v53, 29, v55
	v_and_b32_e32 v52, 7, v52
	v_cmp_gt_u32_e32 vcc, 8, v30
	v_cndmask_b32_e32 v30, v54, v53, vcc
	v_cndmask_b32_e32 v31, v31, v52, vcc
	v_lshlrev_b32_e32 v52, 24, v32
	v_bfrev_b32_e32 v53, 60
	v_lshlrev_b32_e32 v31, 20, v31
	v_and_b32_e32 v52, 0x80000000, v52
	v_lshl_add_u32 v30, v30, 23, v53
	v_or3_b32 v52, v52, v30, v31
.LBB591_257:
	s_or_b64 exec, exec, s[10:11]
.LBB591_258:
	s_or_b64 exec, exec, s[8:9]
.LBB591_259:
	s_or_b64 exec, exec, s[2:3]
	v_lshrrev_b16_e32 v30, 8, v32
	v_cmp_ne_u16_e32 vcc, 0, v30
	v_mov_b32_e32 v31, 0
	v_mov_b32_e32 v54, 0
	s_and_saveexec_b64 s[2:3], vcc
	s_cbranch_execz .LBB591_265
; %bb.260:
	s_movk_i32 s8, 0x80
	v_cmp_ne_u16_e32 vcc, s8, v30
	v_bfrev_b32_e32 v54, 1
	s_and_saveexec_b64 s[8:9], vcc
	s_cbranch_execz .LBB591_264
; %bb.261:
	s_movk_i32 s10, 0x7f
	v_and_b32_e32 v53, 0x7f, v30
	v_cmp_ne_u32_e32 vcc, s10, v53
	v_mov_b32_e32 v54, 0x7f800001
	s_and_saveexec_b64 s[10:11], vcc
	s_cbranch_execz .LBB591_263
; %bb.262:
	v_and_b32_e32 v56, 7, v30
	v_ffbh_u32_e32 v54, v56
	v_min_u32_e32 v58, 32, v54
	v_subrev_u32_e32 v54, 28, v58
	v_lshlrev_b64 v[54:55], v54, v[30:31]
	v_lshrrev_b32_e32 v57, 3, v53
	v_sub_u32_e32 v30, 29, v58
	v_and_b32_e32 v54, 7, v54
	v_cmp_gt_u32_e32 vcc, 8, v53
	v_cndmask_b32_e32 v30, v57, v30, vcc
	v_cndmask_b32_e32 v53, v56, v54, vcc
	v_lshlrev_b32_e32 v54, 16, v32
	v_bfrev_b32_e32 v55, 60
	v_lshlrev_b32_e32 v53, 20, v53
	v_and_b32_e32 v54, 0x80000000, v54
	v_lshl_add_u32 v30, v30, 23, v55
	v_or3_b32 v54, v54, v30, v53
.LBB591_263:
	s_or_b64 exec, exec, s[10:11]
.LBB591_264:
	s_or_b64 exec, exec, s[8:9]
.LBB591_265:
	s_or_b64 exec, exec, s[2:3]
	s_movk_i32 s2, 0xff
	v_and_b32_sdwa v53, v32, s2 dst_sel:DWORD dst_unused:UNUSED_PAD src0_sel:WORD_1 src1_sel:DWORD
	v_lshrrev_b32_e32 v30, 16, v32
	v_cmp_ne_u16_e32 vcc, 0, v53
	s_and_saveexec_b64 s[2:3], vcc
	s_cbranch_execz .LBB591_271
; %bb.266:
	s_movk_i32 s8, 0x80
	v_cmp_ne_u16_e32 vcc, s8, v53
	v_bfrev_b32_e32 v31, 1
	s_and_saveexec_b64 s[8:9], vcc
	s_cbranch_execz .LBB591_270
; %bb.267:
	v_bfe_u32 v53, v32, 16, 7
	s_movk_i32 s10, 0x7f
	v_cmp_ne_u32_e32 vcc, s10, v53
	v_mov_b32_e32 v31, 0x7f800001
	s_and_saveexec_b64 s[10:11], vcc
	s_cbranch_execz .LBB591_269
; %bb.268:
	v_and_b32_e32 v55, 7, v30
	v_ffbh_u32_e32 v31, v55
	v_min_u32_e32 v57, 32, v31
	v_subrev_u32_e32 v31, 28, v57
	v_lshlrev_b64 v[30:31], v31, v[30:31]
	v_lshrrev_b32_e32 v56, 3, v53
	v_sub_u32_e32 v31, 29, v57
	v_and_b32_e32 v30, 7, v30
	v_cmp_gt_u32_e32 vcc, 8, v53
	v_mov_b32_e32 v53, 24
	v_cndmask_b32_e32 v31, v56, v31, vcc
	v_cndmask_b32_e32 v30, v55, v30, vcc
	v_lshlrev_b32_sdwa v53, v53, v32 dst_sel:DWORD dst_unused:UNUSED_PAD src0_sel:DWORD src1_sel:WORD_1
	v_bfrev_b32_e32 v55, 60
	v_lshlrev_b32_e32 v30, 20, v30
	v_and_b32_e32 v53, 0x80000000, v53
	v_lshl_add_u32 v31, v31, 23, v55
	v_or3_b32 v31, v53, v31, v30
.LBB591_269:
	s_or_b64 exec, exec, s[10:11]
.LBB591_270:
	s_or_b64 exec, exec, s[8:9]
.LBB591_271:
	s_or_b64 exec, exec, s[2:3]
	s_mov_b32 s2, 0xffffff
	v_cmp_lt_u32_e32 vcc, s2, v32
	v_mov_b32_e32 v55, 0
	v_mov_b32_e32 v56, 0
	s_and_saveexec_b64 s[2:3], vcc
	s_cbranch_execz .LBB591_277
; %bb.272:
	v_lshrrev_b32_e32 v30, 24, v32
	s_movk_i32 s8, 0x80
	v_cmp_ne_u32_e32 vcc, s8, v30
	v_bfrev_b32_e32 v56, 1
	s_and_saveexec_b64 s[8:9], vcc
	s_cbranch_execz .LBB591_276
; %bb.273:
	v_bfe_u32 v32, v32, 24, 7
	s_movk_i32 s10, 0x7f
	v_cmp_ne_u32_e32 vcc, s10, v32
	v_mov_b32_e32 v56, 0x7f800001
	s_and_saveexec_b64 s[10:11], vcc
	s_cbranch_execz .LBB591_275
; %bb.274:
	v_and_b32_e32 v53, 7, v30
	v_ffbh_u32_e32 v56, v53
	v_min_u32_e32 v59, 32, v56
	v_subrev_u32_e32 v56, 28, v59
	v_lshlrev_b64 v[56:57], v56, v[30:31]
	v_lshrrev_b32_e32 v58, 3, v32
	v_sub_u32_e32 v57, 29, v59
	v_and_b32_e32 v56, 7, v56
	v_cmp_gt_u32_e32 vcc, 8, v32
	v_cndmask_b32_e32 v32, v58, v57, vcc
	v_cndmask_b32_e32 v53, v53, v56, vcc
	v_lshlrev_b32_e32 v30, 24, v30
	v_bfrev_b32_e32 v56, 60
	v_lshlrev_b32_e32 v53, 20, v53
	v_and_b32_e32 v30, 0x80000000, v30
	v_lshl_add_u32 v32, v32, 23, v56
	v_or3_b32 v56, v30, v32, v53
.LBB591_275:
	s_or_b64 exec, exec, s[10:11]
.LBB591_276:
	s_or_b64 exec, exec, s[8:9]
.LBB591_277:
	s_or_b64 exec, exec, s[2:3]
	v_cmp_ne_u16_sdwa s[8:9], v33, v55 src0_sel:BYTE_0 src1_sel:DWORD
	s_and_saveexec_b64 s[2:3], s[8:9]
	s_cbranch_execz .LBB591_283
; %bb.278:
	s_movk_i32 s8, 0x80
	v_cmp_ne_u16_sdwa s[10:11], v33, s8 src0_sel:BYTE_0 src1_sel:DWORD
	v_bfrev_b32_e32 v55, 1
	s_and_saveexec_b64 s[8:9], s[10:11]
	s_cbranch_execz .LBB591_282
; %bb.279:
	s_movk_i32 s10, 0x7f
	v_and_b32_e32 v30, 0x7f, v33
	v_cmp_ne_u32_e32 vcc, s10, v30
	v_mov_b32_e32 v55, 0x7f800001
	s_and_saveexec_b64 s[10:11], vcc
	s_cbranch_execz .LBB591_281
; %bb.280:
	v_and_b32_e32 v53, 7, v33
	v_ffbh_u32_e32 v57, v53
	v_min_u32_e32 v57, 32, v57
	v_mov_b32_e32 v32, v33
	v_subrev_u32_e32 v58, 28, v57
	v_lshlrev_b64 v[58:59], v58, v[32:33]
	v_lshrrev_b32_e32 v55, 3, v30
	v_sub_u32_e32 v32, 29, v57
	v_and_b32_e32 v57, 7, v58
	v_cmp_gt_u32_e32 vcc, 8, v30
	v_cndmask_b32_e32 v30, v55, v32, vcc
	v_cndmask_b32_e32 v32, v53, v57, vcc
	v_lshlrev_b32_e32 v53, 24, v33
	v_bfrev_b32_e32 v55, 60
	v_lshlrev_b32_e32 v32, 20, v32
	v_and_b32_e32 v53, 0x80000000, v53
	v_lshl_add_u32 v30, v30, 23, v55
	v_or3_b32 v55, v53, v30, v32
.LBB591_281:
	s_or_b64 exec, exec, s[10:11]
.LBB591_282:
	s_or_b64 exec, exec, s[8:9]
.LBB591_283:
	s_or_b64 exec, exec, s[2:3]
	v_lshrrev_b16_e32 v30, 8, v33
	v_cmp_ne_u16_e32 vcc, 0, v30
	v_mov_b32_e32 v32, 0
	v_mov_b32_e32 v57, 0
	s_and_saveexec_b64 s[2:3], vcc
	s_cbranch_execz .LBB591_289
; %bb.284:
	s_movk_i32 s8, 0x80
	v_cmp_ne_u16_e32 vcc, s8, v30
	v_bfrev_b32_e32 v57, 1
	s_and_saveexec_b64 s[8:9], vcc
	s_cbranch_execz .LBB591_288
; %bb.285:
	s_movk_i32 s10, 0x7f
	v_and_b32_e32 v53, 0x7f, v30
	v_cmp_ne_u32_e32 vcc, s10, v53
	v_mov_b32_e32 v57, 0x7f800001
	s_and_saveexec_b64 s[10:11], vcc
	s_cbranch_execz .LBB591_287
; %bb.286:
	v_and_b32_e32 v57, 7, v30
	v_ffbh_u32_e32 v58, v57
	v_min_u32_e32 v61, 32, v58
	v_subrev_u32_e32 v58, 28, v61
	v_lshlrev_b64 v[58:59], v58, v[30:31]
	v_lshrrev_b32_e32 v60, 3, v53
	v_sub_u32_e32 v30, 29, v61
	v_and_b32_e32 v58, 7, v58
	v_cmp_gt_u32_e32 vcc, 8, v53
	v_cndmask_b32_e32 v30, v60, v30, vcc
	v_cndmask_b32_e32 v53, v57, v58, vcc
	v_lshlrev_b32_e32 v57, 16, v33
	v_bfrev_b32_e32 v58, 60
	v_lshlrev_b32_e32 v53, 20, v53
	v_and_b32_e32 v57, 0x80000000, v57
	v_lshl_add_u32 v30, v30, 23, v58
	v_or3_b32 v57, v57, v30, v53
.LBB591_287:
	s_or_b64 exec, exec, s[10:11]
.LBB591_288:
	s_or_b64 exec, exec, s[8:9]
.LBB591_289:
	s_or_b64 exec, exec, s[2:3]
	s_movk_i32 s2, 0xff
	v_and_b32_sdwa v53, v33, s2 dst_sel:DWORD dst_unused:UNUSED_PAD src0_sel:WORD_1 src1_sel:DWORD
	v_lshrrev_b32_e32 v30, 16, v33
	v_cmp_ne_u16_e32 vcc, 0, v53
	s_and_saveexec_b64 s[2:3], vcc
	s_cbranch_execz .LBB591_295
; %bb.290:
	s_movk_i32 s8, 0x80
	v_cmp_ne_u16_e32 vcc, s8, v53
	v_bfrev_b32_e32 v32, 1
	s_and_saveexec_b64 s[8:9], vcc
	s_cbranch_execz .LBB591_294
; %bb.291:
	v_bfe_u32 v53, v33, 16, 7
	s_movk_i32 s10, 0x7f
	v_cmp_ne_u32_e32 vcc, s10, v53
	v_mov_b32_e32 v32, 0x7f800001
	s_and_saveexec_b64 s[10:11], vcc
	s_cbranch_execz .LBB591_293
; %bb.292:
	v_and_b32_e32 v32, 7, v30
	v_ffbh_u32_e32 v58, v32
	v_min_u32_e32 v61, 32, v58
	v_subrev_u32_e32 v58, 28, v61
	v_lshlrev_b64 v[58:59], v58, v[30:31]
	v_lshrrev_b32_e32 v60, 3, v53
	v_sub_u32_e32 v30, 29, v61
	v_and_b32_e32 v58, 7, v58
	v_cmp_gt_u32_e32 vcc, 8, v53
	v_mov_b32_e32 v53, 24
	v_cndmask_b32_e32 v30, v60, v30, vcc
	v_cndmask_b32_e32 v32, v32, v58, vcc
	v_lshlrev_b32_sdwa v53, v53, v33 dst_sel:DWORD dst_unused:UNUSED_PAD src0_sel:DWORD src1_sel:WORD_1
	v_bfrev_b32_e32 v58, 60
	v_lshlrev_b32_e32 v32, 20, v32
	v_and_b32_e32 v53, 0x80000000, v53
	v_lshl_add_u32 v30, v30, 23, v58
	v_or3_b32 v32, v53, v30, v32
.LBB591_293:
	s_or_b64 exec, exec, s[10:11]
.LBB591_294:
	s_or_b64 exec, exec, s[8:9]
.LBB591_295:
	s_or_b64 exec, exec, s[2:3]
	s_mov_b32 s2, 0xffffff
	v_cmp_lt_u32_e32 vcc, s2, v33
	v_mov_b32_e32 v53, 0
	v_mov_b32_e32 v58, 0
	s_and_saveexec_b64 s[2:3], vcc
	s_cbranch_execz .LBB591_301
; %bb.296:
	v_lshrrev_b32_e32 v30, 24, v33
	s_movk_i32 s8, 0x80
	v_cmp_ne_u32_e32 vcc, s8, v30
	v_bfrev_b32_e32 v58, 1
	s_and_saveexec_b64 s[8:9], vcc
	s_cbranch_execz .LBB591_300
; %bb.297:
	v_bfe_u32 v33, v33, 24, 7
	s_movk_i32 s10, 0x7f
	v_cmp_ne_u32_e32 vcc, s10, v33
	v_mov_b32_e32 v58, 0x7f800001
	s_and_saveexec_b64 s[10:11], vcc
	s_cbranch_execz .LBB591_299
; %bb.298:
	v_and_b32_e32 v60, 7, v30
	v_ffbh_u32_e32 v58, v60
	v_min_u32_e32 v62, 32, v58
	v_subrev_u32_e32 v58, 28, v62
	v_lshlrev_b64 v[58:59], v58, v[30:31]
	v_lshrrev_b32_e32 v61, 3, v33
	v_sub_u32_e32 v59, 29, v62
	v_and_b32_e32 v58, 7, v58
	v_cmp_gt_u32_e32 vcc, 8, v33
	v_cndmask_b32_e32 v33, v61, v59, vcc
	v_cndmask_b32_e32 v58, v60, v58, vcc
	v_lshlrev_b32_e32 v30, 24, v30
	v_bfrev_b32_e32 v59, 60
	v_lshlrev_b32_e32 v58, 20, v58
	v_and_b32_e32 v30, 0x80000000, v30
	v_lshl_add_u32 v33, v33, 23, v59
	v_or3_b32 v58, v30, v33, v58
.LBB591_299:
	s_or_b64 exec, exec, s[10:11]
.LBB591_300:
	s_or_b64 exec, exec, s[8:9]
.LBB591_301:
	s_or_b64 exec, exec, s[2:3]
	v_cvt_pkrtz_f16_f32 v30, v52, v54
	v_cvt_pkrtz_f16_f32 v31, v31, v56
	v_cmp_ne_u16_sdwa s[8:9], v22, v53 src0_sel:BYTE_0 src1_sel:DWORD
	s_nop 0
	v_mfma_f32_16x16x16f16 v[42:45], v[30:31], v[18:19], v[42:45]
	v_cvt_pkrtz_f16_f32 v30, v55, v57
	v_cvt_pkrtz_f16_f32 v31, v32, v58
	s_nop 1
	v_mfma_f32_16x16x16f16 v[30:33], v[30:31], v[20:21], v[42:45]
	s_and_saveexec_b64 s[2:3], s[8:9]
	s_cbranch_execz .LBB591_307
; %bb.302:
	s_movk_i32 s8, 0x80
	v_cmp_ne_u16_sdwa s[10:11], v22, s8 src0_sel:BYTE_0 src1_sel:DWORD
	v_bfrev_b32_e32 v53, 1
	s_and_saveexec_b64 s[8:9], s[10:11]
	s_cbranch_execz .LBB591_306
; %bb.303:
	s_movk_i32 s10, 0x7f
	v_and_b32_e32 v42, 0x7f, v22
	v_cmp_ne_u32_e32 vcc, s10, v42
	v_mov_b32_e32 v53, 0x7f800001
	s_and_saveexec_b64 s[10:11], vcc
	s_cbranch_execz .LBB591_305
; %bb.304:
	v_and_b32_e32 v43, 7, v22
	v_ffbh_u32_e32 v44, v43
	v_min_u32_e32 v53, 32, v44
	v_subrev_u32_e32 v44, 28, v53
	v_lshlrev_b64 v[44:45], v44, v[22:23]
	v_lshrrev_b32_e32 v52, 3, v42
	v_sub_u32_e32 v45, 29, v53
	v_and_b32_e32 v44, 7, v44
	v_cmp_gt_u32_e32 vcc, 8, v42
	v_cndmask_b32_e32 v42, v52, v45, vcc
	v_cndmask_b32_e32 v43, v43, v44, vcc
	v_lshlrev_b32_e32 v44, 24, v22
	v_bfrev_b32_e32 v45, 60
	v_lshlrev_b32_e32 v43, 20, v43
	v_and_b32_e32 v44, 0x80000000, v44
	v_lshl_add_u32 v42, v42, 23, v45
	v_or3_b32 v53, v44, v42, v43
.LBB591_305:
	s_or_b64 exec, exec, s[10:11]
.LBB591_306:
	s_or_b64 exec, exec, s[8:9]
.LBB591_307:
	s_or_b64 exec, exec, s[2:3]
	s_nop 3
	v_lshrrev_b16_e32 v42, 8, v22
	v_cmp_ne_u16_e32 vcc, 0, v42
	v_mov_b32_e32 v44, 0
	v_mov_b32_e32 v45, 0
	s_and_saveexec_b64 s[2:3], vcc
	s_cbranch_execz .LBB591_313
; %bb.308:
	s_movk_i32 s8, 0x80
	v_cmp_ne_u16_e32 vcc, s8, v42
	v_bfrev_b32_e32 v45, 1
	s_and_saveexec_b64 s[8:9], vcc
	s_cbranch_execz .LBB591_312
; %bb.309:
	s_movk_i32 s10, 0x7f
	v_and_b32_e32 v43, 0x7f, v42
	v_cmp_ne_u32_e32 vcc, s10, v43
	v_mov_b32_e32 v45, 0x7f800001
	s_and_saveexec_b64 s[10:11], vcc
	s_cbranch_execz .LBB591_311
; %bb.310:
	v_and_b32_e32 v45, 7, v42
	v_ffbh_u32_e32 v54, v45
	v_min_u32_e32 v56, 32, v54
	v_subrev_u32_e32 v54, 28, v56
	v_lshlrev_b64 v[54:55], v54, v[42:43]
	v_lshrrev_b32_e32 v52, 3, v43
	v_sub_u32_e32 v42, 29, v56
	v_and_b32_e32 v54, 7, v54
	v_cmp_gt_u32_e32 vcc, 8, v43
	v_cndmask_b32_e32 v42, v52, v42, vcc
	v_cndmask_b32_e32 v43, v45, v54, vcc
	v_lshlrev_b32_e32 v45, 16, v22
	v_bfrev_b32_e32 v52, 60
	v_lshlrev_b32_e32 v43, 20, v43
	v_and_b32_e32 v45, 0x80000000, v45
	v_lshl_add_u32 v42, v42, 23, v52
	v_or3_b32 v45, v45, v42, v43
.LBB591_311:
	s_or_b64 exec, exec, s[10:11]
.LBB591_312:
	s_or_b64 exec, exec, s[8:9]
.LBB591_313:
	s_or_b64 exec, exec, s[2:3]
	s_movk_i32 s2, 0xff
	v_and_b32_sdwa v43, v22, s2 dst_sel:DWORD dst_unused:UNUSED_PAD src0_sel:WORD_1 src1_sel:DWORD
	v_lshrrev_b32_e32 v42, 16, v22
	v_cmp_ne_u16_e32 vcc, 0, v43
	s_and_saveexec_b64 s[2:3], vcc
	s_cbranch_execz .LBB591_319
; %bb.314:
	s_movk_i32 s8, 0x80
	v_cmp_ne_u16_e32 vcc, s8, v43
	v_bfrev_b32_e32 v44, 1
	s_and_saveexec_b64 s[8:9], vcc
	s_cbranch_execz .LBB591_318
; %bb.315:
	v_bfe_u32 v43, v22, 16, 7
	s_movk_i32 s10, 0x7f
	v_cmp_ne_u32_e32 vcc, s10, v43
	v_mov_b32_e32 v44, 0x7f800001
	s_and_saveexec_b64 s[10:11], vcc
	s_cbranch_execz .LBB591_317
; %bb.316:
	v_and_b32_e32 v44, 7, v42
	v_ffbh_u32_e32 v54, v44
	v_min_u32_e32 v56, 32, v54
	v_subrev_u32_e32 v54, 28, v56
	v_lshlrev_b64 v[54:55], v54, v[42:43]
	v_and_b32_e32 v54, 7, v54
	v_cmp_gt_u32_e32 vcc, 8, v43
	v_lshrrev_b32_e32 v52, 3, v43
	v_sub_u32_e32 v42, 29, v56
	v_cndmask_b32_e32 v43, v44, v54, vcc
	v_mov_b32_e32 v44, 24
	v_cndmask_b32_e32 v42, v52, v42, vcc
	v_lshlrev_b32_sdwa v44, v44, v22 dst_sel:DWORD dst_unused:UNUSED_PAD src0_sel:DWORD src1_sel:WORD_1
	v_bfrev_b32_e32 v52, 60
	v_lshlrev_b32_e32 v43, 20, v43
	v_and_b32_e32 v44, 0x80000000, v44
	v_lshl_add_u32 v42, v42, 23, v52
	v_or3_b32 v44, v44, v42, v43
.LBB591_317:
	s_or_b64 exec, exec, s[10:11]
.LBB591_318:
	s_or_b64 exec, exec, s[8:9]
.LBB591_319:
	s_or_b64 exec, exec, s[2:3]
	s_mov_b32 s2, 0xffffff
	v_cmp_lt_u32_e32 vcc, s2, v22
	v_mov_b32_e32 v52, 0
	v_mov_b32_e32 v54, 0
	s_and_saveexec_b64 s[2:3], vcc
	s_cbranch_execz .LBB591_325
; %bb.320:
	v_lshrrev_b32_e32 v42, 24, v22
	s_movk_i32 s8, 0x80
	v_cmp_ne_u32_e32 vcc, s8, v42
	v_bfrev_b32_e32 v54, 1
	s_and_saveexec_b64 s[8:9], vcc
	s_cbranch_execz .LBB591_324
; %bb.321:
	v_bfe_u32 v22, v22, 24, 7
	s_movk_i32 s10, 0x7f
	v_cmp_ne_u32_e32 vcc, s10, v22
	v_mov_b32_e32 v54, 0x7f800001
	s_and_saveexec_b64 s[10:11], vcc
	s_cbranch_execz .LBB591_323
; %bb.322:
	v_and_b32_e32 v43, 7, v42
	v_ffbh_u32_e32 v54, v43
	v_min_u32_e32 v57, 32, v54
	v_subrev_u32_e32 v54, 28, v57
	v_lshlrev_b64 v[54:55], v54, v[42:43]
	v_lshrrev_b32_e32 v56, 3, v22
	v_sub_u32_e32 v55, 29, v57
	v_and_b32_e32 v54, 7, v54
	v_cmp_gt_u32_e32 vcc, 8, v22
	v_cndmask_b32_e32 v22, v56, v55, vcc
	v_cndmask_b32_e32 v43, v43, v54, vcc
	v_lshlrev_b32_e32 v42, 24, v42
	v_bfrev_b32_e32 v54, 60
	v_lshlrev_b32_e32 v43, 20, v43
	v_and_b32_e32 v42, 0x80000000, v42
	v_lshl_add_u32 v22, v22, 23, v54
	v_or3_b32 v54, v42, v22, v43
.LBB591_323:
	s_or_b64 exec, exec, s[10:11]
.LBB591_324:
	s_or_b64 exec, exec, s[8:9]
.LBB591_325:
	s_or_b64 exec, exec, s[2:3]
	v_cmp_ne_u16_sdwa s[8:9], v23, v52 src0_sel:BYTE_0 src1_sel:DWORD
	s_and_saveexec_b64 s[2:3], s[8:9]
	s_cbranch_execz .LBB591_331
; %bb.326:
	s_movk_i32 s8, 0x80
	v_cmp_ne_u16_sdwa s[10:11], v23, s8 src0_sel:BYTE_0 src1_sel:DWORD
	v_bfrev_b32_e32 v52, 1
	s_and_saveexec_b64 s[8:9], s[10:11]
	s_cbranch_execz .LBB591_330
; %bb.327:
	s_movk_i32 s10, 0x7f
	v_and_b32_e32 v22, 0x7f, v23
	v_cmp_ne_u32_e32 vcc, s10, v22
	v_mov_b32_e32 v52, 0x7f800001
	s_and_saveexec_b64 s[10:11], vcc
	s_cbranch_execz .LBB591_329
; %bb.328:
	v_and_b32_e32 v52, 7, v23
	v_ffbh_u32_e32 v43, v52
	v_min_u32_e32 v56, 32, v43
	v_mov_b32_e32 v42, v23
	v_subrev_u32_e32 v43, 28, v56
	v_lshlrev_b64 v[42:43], v43, v[42:43]
	v_lshrrev_b32_e32 v55, 3, v22
	v_sub_u32_e32 v43, 29, v56
	v_and_b32_e32 v42, 7, v42
	v_cmp_gt_u32_e32 vcc, 8, v22
	v_cndmask_b32_e32 v22, v55, v43, vcc
	v_cndmask_b32_e32 v42, v52, v42, vcc
	v_lshlrev_b32_e32 v43, 24, v23
	v_bfrev_b32_e32 v52, 60
	v_lshlrev_b32_e32 v42, 20, v42
	v_and_b32_e32 v43, 0x80000000, v43
	v_lshl_add_u32 v22, v22, 23, v52
	v_or3_b32 v52, v43, v22, v42
.LBB591_329:
	s_or_b64 exec, exec, s[10:11]
.LBB591_330:
	s_or_b64 exec, exec, s[8:9]
.LBB591_331:
	s_or_b64 exec, exec, s[2:3]
	v_lshrrev_b16_e32 v22, 8, v23
	v_cmp_ne_u16_e32 vcc, 0, v22
	v_mov_b32_e32 v42, 0
	v_mov_b32_e32 v55, 0
	s_and_saveexec_b64 s[2:3], vcc
	s_cbranch_execz .LBB591_337
; %bb.332:
	s_movk_i32 s8, 0x80
	v_cmp_ne_u16_e32 vcc, s8, v22
	v_bfrev_b32_e32 v55, 1
	s_and_saveexec_b64 s[8:9], vcc
	s_cbranch_execz .LBB591_336
; %bb.333:
	s_movk_i32 s10, 0x7f
	v_and_b32_e32 v43, 0x7f, v22
	v_cmp_ne_u32_e32 vcc, s10, v43
	v_mov_b32_e32 v55, 0x7f800001
	s_and_saveexec_b64 s[10:11], vcc
	s_cbranch_execz .LBB591_335
; %bb.334:
	v_and_b32_e32 v55, 7, v22
	v_ffbh_u32_e32 v56, v55
	v_min_u32_e32 v59, 32, v56
	v_subrev_u32_e32 v56, 28, v59
	v_lshlrev_b64 v[56:57], v56, v[22:23]
	v_lshrrev_b32_e32 v58, 3, v43
	v_sub_u32_e32 v22, 29, v59
	v_and_b32_e32 v56, 7, v56
	v_cmp_gt_u32_e32 vcc, 8, v43
	v_cndmask_b32_e32 v22, v58, v22, vcc
	v_cndmask_b32_e32 v43, v55, v56, vcc
	v_lshlrev_b32_e32 v55, 16, v23
	v_bfrev_b32_e32 v56, 60
	v_lshlrev_b32_e32 v43, 20, v43
	v_and_b32_e32 v55, 0x80000000, v55
	v_lshl_add_u32 v22, v22, 23, v56
	v_or3_b32 v55, v55, v22, v43
.LBB591_335:
	s_or_b64 exec, exec, s[10:11]
.LBB591_336:
	s_or_b64 exec, exec, s[8:9]
.LBB591_337:
	s_or_b64 exec, exec, s[2:3]
	s_movk_i32 s2, 0xff
	v_and_b32_sdwa v43, v23, s2 dst_sel:DWORD dst_unused:UNUSED_PAD src0_sel:WORD_1 src1_sel:DWORD
	v_lshrrev_b32_e32 v22, 16, v23
	v_cmp_ne_u16_e32 vcc, 0, v43
	s_and_saveexec_b64 s[2:3], vcc
	s_cbranch_execz .LBB591_343
; %bb.338:
	s_movk_i32 s8, 0x80
	v_cmp_ne_u16_e32 vcc, s8, v43
	v_bfrev_b32_e32 v42, 1
	s_and_saveexec_b64 s[8:9], vcc
	s_cbranch_execz .LBB591_342
; %bb.339:
	v_bfe_u32 v43, v23, 16, 7
	s_movk_i32 s10, 0x7f
	v_cmp_ne_u32_e32 vcc, s10, v43
	v_mov_b32_e32 v42, 0x7f800001
	s_and_saveexec_b64 s[10:11], vcc
	s_cbranch_execz .LBB591_341
; %bb.340:
	v_and_b32_e32 v42, 7, v22
	v_ffbh_u32_e32 v56, v42
	v_min_u32_e32 v59, 32, v56
	v_subrev_u32_e32 v56, 28, v59
	v_lshlrev_b64 v[56:57], v56, v[22:23]
	v_lshrrev_b32_e32 v58, 3, v43
	v_sub_u32_e32 v22, 29, v59
	v_and_b32_e32 v56, 7, v56
	v_cmp_gt_u32_e32 vcc, 8, v43
	v_mov_b32_e32 v43, 24
	v_cndmask_b32_e32 v22, v58, v22, vcc
	v_cndmask_b32_e32 v42, v42, v56, vcc
	v_lshlrev_b32_sdwa v43, v43, v23 dst_sel:DWORD dst_unused:UNUSED_PAD src0_sel:DWORD src1_sel:WORD_1
	v_bfrev_b32_e32 v56, 60
	v_lshlrev_b32_e32 v42, 20, v42
	v_and_b32_e32 v43, 0x80000000, v43
	v_lshl_add_u32 v22, v22, 23, v56
	v_or3_b32 v42, v43, v22, v42
.LBB591_341:
	s_or_b64 exec, exec, s[10:11]
.LBB591_342:
	s_or_b64 exec, exec, s[8:9]
.LBB591_343:
	s_or_b64 exec, exec, s[2:3]
	s_mov_b32 s2, 0xffffff
	v_cmp_lt_u32_e32 vcc, s2, v23
	v_mov_b32_e32 v43, 0
	v_mov_b32_e32 v56, 0
	s_and_saveexec_b64 s[2:3], vcc
	s_cbranch_execz .LBB591_349
; %bb.344:
	v_lshrrev_b32_e32 v22, 24, v23
	s_movk_i32 s8, 0x80
	v_cmp_ne_u32_e32 vcc, s8, v22
	v_bfrev_b32_e32 v56, 1
	s_and_saveexec_b64 s[8:9], vcc
	s_cbranch_execz .LBB591_348
; %bb.345:
	v_bfe_u32 v23, v23, 24, 7
	s_movk_i32 s10, 0x7f
	v_cmp_ne_u32_e32 vcc, s10, v23
	v_mov_b32_e32 v56, 0x7f800001
	s_and_saveexec_b64 s[10:11], vcc
	s_cbranch_execz .LBB591_347
; %bb.346:
	v_and_b32_e32 v58, 7, v22
	v_ffbh_u32_e32 v56, v58
	v_min_u32_e32 v60, 32, v56
	v_subrev_u32_e32 v56, 28, v60
	v_lshlrev_b64 v[56:57], v56, v[22:23]
	v_lshrrev_b32_e32 v59, 3, v23
	v_sub_u32_e32 v57, 29, v60
	v_and_b32_e32 v56, 7, v56
	v_cmp_gt_u32_e32 vcc, 8, v23
	v_cndmask_b32_e32 v23, v59, v57, vcc
	v_cndmask_b32_e32 v56, v58, v56, vcc
	v_lshlrev_b32_e32 v22, 24, v22
	v_bfrev_b32_e32 v57, 60
	v_lshlrev_b32_e32 v56, 20, v56
	v_and_b32_e32 v22, 0x80000000, v22
	v_lshl_add_u32 v23, v23, 23, v57
	v_or3_b32 v56, v22, v23, v56
.LBB591_347:
	s_or_b64 exec, exec, s[10:11]
.LBB591_348:
	s_or_b64 exec, exec, s[8:9]
.LBB591_349:
	s_or_b64 exec, exec, s[2:3]
	v_cvt_pkrtz_f16_f32 v22, v53, v45
	v_cvt_pkrtz_f16_f32 v23, v44, v54
	v_cmp_ne_u16_sdwa s[8:9], v24, v43 src0_sel:BYTE_0 src1_sel:DWORD
	s_nop 0
	v_mfma_f32_16x16x16f16 v[58:61], v[22:23], v[26:27], 0
	v_cvt_pkrtz_f16_f32 v22, v52, v55
	v_cvt_pkrtz_f16_f32 v23, v42, v56
	s_nop 1
	v_mfma_f32_16x16x16f16 v[26:29], v[22:23], v[28:29], v[58:61]
	s_and_saveexec_b64 s[2:3], s[8:9]
	s_cbranch_execz .LBB591_355
; %bb.350:
	s_movk_i32 s8, 0x80
	v_cmp_ne_u16_sdwa s[10:11], v24, s8 src0_sel:BYTE_0 src1_sel:DWORD
	v_bfrev_b32_e32 v43, 1
	s_and_saveexec_b64 s[8:9], s[10:11]
	s_cbranch_execz .LBB591_354
; %bb.351:
	s_movk_i32 s10, 0x7f
	v_and_b32_e32 v22, 0x7f, v24
	v_cmp_ne_u32_e32 vcc, s10, v22
	v_mov_b32_e32 v43, 0x7f800001
	s_and_saveexec_b64 s[10:11], vcc
	s_cbranch_execz .LBB591_353
; %bb.352:
	v_and_b32_e32 v23, 7, v24
	v_ffbh_u32_e32 v42, v23
	v_min_u32_e32 v45, 32, v42
	v_subrev_u32_e32 v42, 28, v45
	v_lshlrev_b64 v[42:43], v42, v[24:25]
	v_lshrrev_b32_e32 v44, 3, v22
	v_sub_u32_e32 v43, 29, v45
	v_and_b32_e32 v42, 7, v42
	v_cmp_gt_u32_e32 vcc, 8, v22
	v_cndmask_b32_e32 v22, v44, v43, vcc
	v_cndmask_b32_e32 v23, v23, v42, vcc
	v_lshlrev_b32_e32 v42, 24, v24
	v_bfrev_b32_e32 v43, 60
	v_lshlrev_b32_e32 v23, 20, v23
	v_and_b32_e32 v42, 0x80000000, v42
	v_lshl_add_u32 v22, v22, 23, v43
	v_or3_b32 v43, v42, v22, v23
.LBB591_353:
	s_or_b64 exec, exec, s[10:11]
.LBB591_354:
	s_or_b64 exec, exec, s[8:9]
.LBB591_355:
	s_or_b64 exec, exec, s[2:3]
	v_lshrrev_b16_e32 v22, 8, v24
	v_cmp_ne_u16_e32 vcc, 0, v22
	v_mov_b32_e32 v23, 0
	v_mov_b32_e32 v44, 0
	s_and_saveexec_b64 s[2:3], vcc
	s_cbranch_execz .LBB591_361
; %bb.356:
	s_movk_i32 s8, 0x80
	v_cmp_ne_u16_e32 vcc, s8, v22
	v_bfrev_b32_e32 v44, 1
	s_and_saveexec_b64 s[8:9], vcc
	s_cbranch_execz .LBB591_360
; %bb.357:
	s_movk_i32 s10, 0x7f
	v_and_b32_e32 v42, 0x7f, v22
	v_cmp_ne_u32_e32 vcc, s10, v42
	v_mov_b32_e32 v44, 0x7f800001
	s_and_saveexec_b64 s[10:11], vcc
	s_cbranch_execz .LBB591_359
; %bb.358:
	v_and_b32_e32 v52, 7, v22
	v_ffbh_u32_e32 v44, v52
	v_min_u32_e32 v54, 32, v44
	v_subrev_u32_e32 v44, 28, v54
	v_lshlrev_b64 v[44:45], v44, v[22:23]
	v_lshrrev_b32_e32 v53, 3, v42
	v_sub_u32_e32 v22, 29, v54
	v_and_b32_e32 v44, 7, v44
	v_cmp_gt_u32_e32 vcc, 8, v42
	v_cndmask_b32_e32 v22, v53, v22, vcc
	v_cndmask_b32_e32 v42, v52, v44, vcc
	v_lshlrev_b32_e32 v44, 16, v24
	v_bfrev_b32_e32 v45, 60
	v_lshlrev_b32_e32 v42, 20, v42
	v_and_b32_e32 v44, 0x80000000, v44
	v_lshl_add_u32 v22, v22, 23, v45
	v_or3_b32 v44, v44, v22, v42
.LBB591_359:
	s_or_b64 exec, exec, s[10:11]
.LBB591_360:
	s_or_b64 exec, exec, s[8:9]
.LBB591_361:
	s_or_b64 exec, exec, s[2:3]
	s_movk_i32 s2, 0xff
	v_and_b32_sdwa v42, v24, s2 dst_sel:DWORD dst_unused:UNUSED_PAD src0_sel:WORD_1 src1_sel:DWORD
	v_lshrrev_b32_e32 v22, 16, v24
	v_cmp_ne_u16_e32 vcc, 0, v42
	s_and_saveexec_b64 s[2:3], vcc
	s_cbranch_execz .LBB591_367
; %bb.362:
	s_movk_i32 s8, 0x80
	v_cmp_ne_u16_e32 vcc, s8, v42
	v_bfrev_b32_e32 v23, 1
	s_and_saveexec_b64 s[8:9], vcc
	s_cbranch_execz .LBB591_366
; %bb.363:
	v_bfe_u32 v42, v24, 16, 7
	s_movk_i32 s10, 0x7f
	v_cmp_ne_u32_e32 vcc, s10, v42
	v_mov_b32_e32 v23, 0x7f800001
	s_and_saveexec_b64 s[10:11], vcc
	s_cbranch_execz .LBB591_365
; %bb.364:
	v_and_b32_e32 v45, 7, v22
	v_ffbh_u32_e32 v23, v45
	v_min_u32_e32 v53, 32, v23
	v_subrev_u32_e32 v23, 28, v53
	v_lshlrev_b64 v[22:23], v23, v[22:23]
	v_lshrrev_b32_e32 v52, 3, v42
	v_sub_u32_e32 v23, 29, v53
	v_and_b32_e32 v22, 7, v22
	v_cmp_gt_u32_e32 vcc, 8, v42
	v_mov_b32_e32 v42, 24
	v_cndmask_b32_e32 v23, v52, v23, vcc
	v_cndmask_b32_e32 v22, v45, v22, vcc
	v_lshlrev_b32_sdwa v42, v42, v24 dst_sel:DWORD dst_unused:UNUSED_PAD src0_sel:DWORD src1_sel:WORD_1
	v_bfrev_b32_e32 v45, 60
	v_lshlrev_b32_e32 v22, 20, v22
	v_and_b32_e32 v42, 0x80000000, v42
	v_lshl_add_u32 v23, v23, 23, v45
	v_or3_b32 v23, v42, v23, v22
.LBB591_365:
	s_or_b64 exec, exec, s[10:11]
.LBB591_366:
	s_or_b64 exec, exec, s[8:9]
.LBB591_367:
	s_or_b64 exec, exec, s[2:3]
	s_mov_b32 s2, 0xffffff
	v_cmp_lt_u32_e32 vcc, s2, v24
	v_mov_b32_e32 v45, 0
	v_mov_b32_e32 v52, 0
	s_and_saveexec_b64 s[2:3], vcc
	s_cbranch_execz .LBB591_373
; %bb.368:
	v_lshrrev_b32_e32 v22, 24, v24
	s_movk_i32 s8, 0x80
	v_cmp_ne_u32_e32 vcc, s8, v22
	v_bfrev_b32_e32 v52, 1
	s_and_saveexec_b64 s[8:9], vcc
	s_cbranch_execz .LBB591_372
; %bb.369:
	v_bfe_u32 v24, v24, 24, 7
	s_movk_i32 s10, 0x7f
	v_cmp_ne_u32_e32 vcc, s10, v24
	v_mov_b32_e32 v52, 0x7f800001
	s_and_saveexec_b64 s[10:11], vcc
	s_cbranch_execz .LBB591_371
; %bb.370:
	v_and_b32_e32 v42, 7, v22
	v_ffbh_u32_e32 v52, v42
	v_min_u32_e32 v55, 32, v52
	v_subrev_u32_e32 v52, 28, v55
	v_lshlrev_b64 v[52:53], v52, v[22:23]
	v_lshrrev_b32_e32 v54, 3, v24
	v_sub_u32_e32 v53, 29, v55
	v_and_b32_e32 v52, 7, v52
	v_cmp_gt_u32_e32 vcc, 8, v24
	v_cndmask_b32_e32 v24, v54, v53, vcc
	v_cndmask_b32_e32 v42, v42, v52, vcc
	v_lshlrev_b32_e32 v22, 24, v22
	v_bfrev_b32_e32 v52, 60
	v_lshlrev_b32_e32 v42, 20, v42
	v_and_b32_e32 v22, 0x80000000, v22
	v_lshl_add_u32 v24, v24, 23, v52
	v_or3_b32 v52, v22, v24, v42
.LBB591_371:
	s_or_b64 exec, exec, s[10:11]
.LBB591_372:
	s_or_b64 exec, exec, s[8:9]
.LBB591_373:
	s_or_b64 exec, exec, s[2:3]
	v_cmp_ne_u16_sdwa s[8:9], v25, v45 src0_sel:BYTE_0 src1_sel:DWORD
	s_and_saveexec_b64 s[2:3], s[8:9]
	s_cbranch_execz .LBB591_379
; %bb.374:
	s_movk_i32 s8, 0x80
	v_cmp_ne_u16_sdwa s[10:11], v25, s8 src0_sel:BYTE_0 src1_sel:DWORD
	v_bfrev_b32_e32 v45, 1
	s_and_saveexec_b64 s[8:9], s[10:11]
	s_cbranch_execz .LBB591_378
; %bb.375:
	s_movk_i32 s10, 0x7f
	v_and_b32_e32 v22, 0x7f, v25
	v_cmp_ne_u32_e32 vcc, s10, v22
	v_mov_b32_e32 v45, 0x7f800001
	s_and_saveexec_b64 s[10:11], vcc
	s_cbranch_execz .LBB591_377
; %bb.376:
	v_and_b32_e32 v42, 7, v25
	v_ffbh_u32_e32 v53, v42
	v_min_u32_e32 v53, 32, v53
	v_mov_b32_e32 v24, v25
	v_subrev_u32_e32 v54, 28, v53
	v_lshlrev_b64 v[54:55], v54, v[24:25]
	v_lshrrev_b32_e32 v45, 3, v22
	v_sub_u32_e32 v24, 29, v53
	v_and_b32_e32 v53, 7, v54
	v_cmp_gt_u32_e32 vcc, 8, v22
	v_cndmask_b32_e32 v22, v45, v24, vcc
	v_cndmask_b32_e32 v24, v42, v53, vcc
	v_lshlrev_b32_e32 v42, 24, v25
	v_bfrev_b32_e32 v45, 60
	v_lshlrev_b32_e32 v24, 20, v24
	v_and_b32_e32 v42, 0x80000000, v42
	v_lshl_add_u32 v22, v22, 23, v45
	v_or3_b32 v45, v42, v22, v24
.LBB591_377:
	s_or_b64 exec, exec, s[10:11]
.LBB591_378:
	s_or_b64 exec, exec, s[8:9]
.LBB591_379:
	s_or_b64 exec, exec, s[2:3]
	v_lshrrev_b16_e32 v22, 8, v25
	v_cmp_ne_u16_e32 vcc, 0, v22
	v_mov_b32_e32 v53, 0
	v_mov_b32_e32 v54, 0
	s_and_saveexec_b64 s[2:3], vcc
	s_cbranch_execz .LBB591_385
; %bb.380:
	s_movk_i32 s8, 0x80
	v_cmp_ne_u16_e32 vcc, s8, v22
	v_bfrev_b32_e32 v54, 1
	s_and_saveexec_b64 s[8:9], vcc
	s_cbranch_execz .LBB591_384
; %bb.381:
	s_movk_i32 s10, 0x7f
	v_and_b32_e32 v24, 0x7f, v22
	v_cmp_ne_u32_e32 vcc, s10, v24
	v_mov_b32_e32 v54, 0x7f800001
	s_and_saveexec_b64 s[10:11], vcc
	s_cbranch_execz .LBB591_383
; %bb.382:
	v_and_b32_e32 v42, 7, v22
	v_ffbh_u32_e32 v54, v42
	v_min_u32_e32 v57, 32, v54
	v_subrev_u32_e32 v54, 28, v57
	v_lshlrev_b64 v[54:55], v54, v[22:23]
	v_lshrrev_b32_e32 v56, 3, v24
	v_sub_u32_e32 v22, 29, v57
	v_and_b32_e32 v54, 7, v54
	v_cmp_gt_u32_e32 vcc, 8, v24
	v_cndmask_b32_e32 v22, v56, v22, vcc
	v_cndmask_b32_e32 v24, v42, v54, vcc
	v_lshlrev_b32_e32 v42, 16, v25
	v_bfrev_b32_e32 v54, 60
	v_lshlrev_b32_e32 v24, 20, v24
	v_and_b32_e32 v42, 0x80000000, v42
	v_lshl_add_u32 v22, v22, 23, v54
	v_or3_b32 v54, v42, v22, v24
.LBB591_383:
	s_or_b64 exec, exec, s[10:11]
.LBB591_384:
	s_or_b64 exec, exec, s[8:9]
.LBB591_385:
	s_or_b64 exec, exec, s[2:3]
	s_movk_i32 s2, 0xff
	v_and_b32_sdwa v24, v25, s2 dst_sel:DWORD dst_unused:UNUSED_PAD src0_sel:WORD_1 src1_sel:DWORD
	v_lshrrev_b32_e32 v22, 16, v25
	v_cmp_ne_u16_e32 vcc, 0, v24
	s_and_saveexec_b64 s[2:3], vcc
	s_cbranch_execz .LBB591_391
; %bb.386:
	s_movk_i32 s8, 0x80
	v_cmp_ne_u16_e32 vcc, s8, v24
	v_bfrev_b32_e32 v53, 1
	s_and_saveexec_b64 s[8:9], vcc
	s_cbranch_execz .LBB591_390
; %bb.387:
	v_bfe_u32 v24, v25, 16, 7
	s_movk_i32 s10, 0x7f
	v_cmp_ne_u32_e32 vcc, s10, v24
	v_mov_b32_e32 v53, 0x7f800001
	s_and_saveexec_b64 s[10:11], vcc
	s_cbranch_execz .LBB591_389
; %bb.388:
	v_and_b32_e32 v42, 7, v22
	v_ffbh_u32_e32 v55, v42
	v_min_u32_e32 v55, 32, v55
	v_subrev_u32_e32 v56, 28, v55
	v_lshlrev_b64 v[56:57], v56, v[22:23]
	v_sub_u32_e32 v22, 29, v55
	v_and_b32_e32 v55, 7, v56
	v_cmp_gt_u32_e32 vcc, 8, v24
	v_lshrrev_b32_e32 v53, 3, v24
	v_cndmask_b32_e32 v24, v42, v55, vcc
	v_mov_b32_e32 v42, 24
	v_cndmask_b32_e32 v22, v53, v22, vcc
	v_lshlrev_b32_sdwa v42, v42, v25 dst_sel:DWORD dst_unused:UNUSED_PAD src0_sel:DWORD src1_sel:WORD_1
	v_bfrev_b32_e32 v53, 60
	v_lshlrev_b32_e32 v24, 20, v24
	v_and_b32_e32 v42, 0x80000000, v42
	v_lshl_add_u32 v22, v22, 23, v53
	v_or3_b32 v53, v42, v22, v24
.LBB591_389:
	s_or_b64 exec, exec, s[10:11]
.LBB591_390:
	s_or_b64 exec, exec, s[8:9]
.LBB591_391:
	s_or_b64 exec, exec, s[2:3]
	s_mov_b32 s2, 0xffffff
	v_and_b32_e32 v42, 63, v0
	v_cmp_lt_u32_e32 vcc, s2, v25
	v_mov_b32_e32 v55, 0
	s_and_saveexec_b64 s[2:3], vcc
	s_cbranch_execz .LBB591_397
; %bb.392:
	v_lshrrev_b32_e32 v22, 24, v25
	s_movk_i32 s8, 0x80
	v_cmp_ne_u32_e32 vcc, s8, v22
	v_bfrev_b32_e32 v55, 1
	s_and_saveexec_b64 s[8:9], vcc
	s_cbranch_execz .LBB591_396
; %bb.393:
	v_bfe_u32 v24, v25, 24, 7
	s_movk_i32 s10, 0x7f
	v_cmp_ne_u32_e32 vcc, s10, v24
	v_mov_b32_e32 v55, 0x7f800001
	s_and_saveexec_b64 s[10:11], vcc
	s_cbranch_execz .LBB591_395
; %bb.394:
	v_and_b32_e32 v25, 7, v22
	v_ffbh_u32_e32 v56, v25
	v_min_u32_e32 v58, 32, v56
	v_subrev_u32_e32 v56, 28, v58
	v_lshlrev_b64 v[56:57], v56, v[22:23]
	v_lshrrev_b32_e32 v55, 3, v24
	v_sub_u32_e32 v57, 29, v58
	v_and_b32_e32 v56, 7, v56
	v_cmp_gt_u32_e32 vcc, 8, v24
	v_cndmask_b32_e32 v24, v55, v57, vcc
	v_cndmask_b32_e32 v25, v25, v56, vcc
	v_lshlrev_b32_e32 v22, 24, v22
	v_bfrev_b32_e32 v55, 60
	v_lshlrev_b32_e32 v25, 20, v25
	v_and_b32_e32 v22, 0x80000000, v22
	v_lshl_add_u32 v24, v24, 23, v55
	v_or3_b32 v55, v22, v24, v25
.LBB591_395:
	s_or_b64 exec, exec, s[10:11]
.LBB591_396:
	s_or_b64 exec, exec, s[8:9]
.LBB591_397:
	s_or_b64 exec, exec, s[2:3]
	v_cvt_pkrtz_f16_f32 v56, v43, v44
	v_cvt_pkrtz_f16_f32 v57, v23, v52
	s_load_dword s2, s[4:5], 0x1c
	s_mov_b32 s46, 0xff7fffff
	s_waitcnt lgkmcnt(0)
	v_mfma_f32_16x16x16f16 v[26:29], v[56:57], v[18:19], v[26:29]
	v_cvt_pkrtz_f16_f32 v18, v45, v54
	v_cvt_pkrtz_f16_f32 v19, v53, v55
	v_mov_b32_e32 v22, s2
	v_mul_f32_e32 v44, s12, v22
	v_pk_mul_f32 v[22:23], v[44:45], v[32:33] op_sel_hi:[0,1]
	v_pk_mul_f32 v[32:33], v[44:45], v[38:39] op_sel_hi:[0,1]
	v_and_b32_e32 v38, 0xc0, v0
	v_mfma_f32_16x16x16f16 v[26:29], v[18:19], v[20:21], v[26:29]
	v_add_u32_e32 v38, s18, v38
	v_lshl_or_b32 v38, v1, 2, v38
	v_or_b32_e32 v39, 1, v38
	v_pk_mul_f32 v[24:25], v[44:45], v[30:31] op_sel_hi:[0,1]
	v_pk_mul_f32 v[30:31], v[44:45], v[40:41] op_sel_hi:[0,1]
	v_subrev_u32_e32 v40, s33, v39
	v_pk_mul_f32 v[34:35], v[44:45], v[34:35] op_sel_hi:[0,1]
	s_nop 3
	v_pk_mul_f32 v[20:21], v[44:45], v[26:27] op_sel_hi:[0,1]
	v_add_u32_e32 v27, 1, v40
	v_pk_mul_f32 v[18:19], v[44:45], v[28:29] op_sel_hi:[0,1]
	v_cvt_f32_i32_e32 v27, v27
	v_add_u32_e32 v29, 3, v40
	v_cvt_f32_i32_e32 v29, v29
	v_cvt_f32_i32_e32 v26, v40
	v_pk_mul_f32 v[36:37], v[44:45], v[36:37] op_sel_hi:[0,1]
	v_fmac_f32_e32 v35, v51, v27
	v_add_u32_e32 v27, 16, v40
	v_fmac_f32_e32 v37, v51, v29
	v_cvt_f32_i32_e32 v27, v27
	v_add_u32_e32 v29, 17, v40
	v_fma_f32 v26, v51, v26, v34
	v_cvt_f32_i32_e32 v29, v29
	v_add_u32_e32 v34, 18, v40
	v_cvt_f32_i32_e32 v34, v34
	v_fma_f32 v41, v51, v27, v32
	v_add_u32_e32 v27, 32, v40
	v_fmac_f32_e32 v33, v51, v29
	v_cvt_f32_i32_e32 v27, v27
	v_add_u32_e32 v29, 33, v40
	v_add_u32_e32 v32, 34, v40
	v_fma_f32 v30, v51, v34, v30
	v_cvt_f32_i32_e32 v29, v29
	v_cvt_f32_i32_e32 v32, v32
	v_add_u32_e32 v34, 35, v40
	v_cvt_f32_i32_e32 v34, v34
	v_fma_f32 v24, v51, v27, v24
	v_add_u32_e32 v27, 48, v40
	v_fmac_f32_e32 v25, v51, v29
	v_fma_f32 v22, v51, v32, v22
	v_cvt_f32_i32_e32 v27, v27
	v_add_u32_e32 v29, 49, v40
	v_add_u32_e32 v32, 50, v40
	v_fmac_f32_e32 v23, v51, v34
	v_cvt_f32_i32_e32 v29, v29
	v_cvt_f32_i32_e32 v32, v32
	v_add_u32_e32 v34, 51, v40
	v_add_u32_e32 v28, 2, v40
	v_cvt_f32_i32_e32 v34, v34
	v_cvt_f32_i32_e32 v28, v28
	v_fma_f32 v20, v51, v27, v20
	v_mov_b32_e32 v27, 0xff7fffff
	v_cmp_gt_i32_e64 s[26:27], s33, v38
	v_cmp_gt_i32_e64 s[28:29], s33, v39
	v_fmac_f32_e32 v21, v51, v29
	v_fma_f32 v18, v51, v32, v18
	v_cndmask_b32_e64 v29, v27, v26, s[26:27]
	v_cndmask_b32_e64 v32, v27, v35, s[28:29]
	v_fmac_f32_e32 v19, v51, v34
	v_max3_f32 v29, v29, s46, v32
	v_or_b32_e32 v32, 2, v38
	v_or_b32_e32 v34, 3, v38
	v_fma_f32 v28, v51, v28, v36
	v_cmp_gt_i32_e64 s[30:31], s33, v32
	v_cmp_gt_i32_e64 s[34:35], s33, v34
	v_add_u32_e32 v36, 19, v40
	v_cndmask_b32_e64 v32, v27, v28, s[30:31]
	v_cndmask_b32_e64 v34, v27, v37, s[34:35]
	v_cvt_f32_i32_e32 v36, v36
	v_max3_f32 v29, v29, v32, v34
	v_or_b32_e32 v32, 16, v38
	v_or_b32_e32 v34, 17, v38
	v_cmp_gt_i32_e64 s[36:37], s33, v32
	v_cmp_gt_i32_e64 s[38:39], s33, v34
	v_cndmask_b32_e64 v32, v27, v41, s[36:37]
	v_cndmask_b32_e64 v34, v27, v33, s[38:39]
	v_max3_f32 v29, v29, v32, v34
	v_or_b32_e32 v32, 18, v38
	v_or_b32_e32 v34, 19, v38
	v_fmac_f32_e32 v31, v51, v36
	v_cmp_gt_i32_e64 s[20:21], s33, v32
	v_cmp_gt_i32_e64 s[22:23], s33, v34
	v_cndmask_b32_e64 v32, v27, v30, s[20:21]
	v_cndmask_b32_e64 v34, v27, v31, s[22:23]
	v_max3_f32 v29, v29, v32, v34
	v_or_b32_e32 v32, 32, v38
	v_or_b32_e32 v34, 33, v38
	v_cmp_gt_i32_e64 s[16:17], s33, v32
	v_cmp_gt_i32_e64 s[18:19], s33, v34
	v_cndmask_b32_e64 v32, v27, v24, s[16:17]
	v_cndmask_b32_e64 v34, v27, v25, s[18:19]
	v_max3_f32 v29, v29, v32, v34
	v_or_b32_e32 v32, 34, v38
	v_or_b32_e32 v34, 35, v38
	;; [unrolled: 7-line block ×4, first 2 shown]
	v_cmp_gt_i32_e32 vcc, s33, v32
	v_cmp_gt_i32_e64 s[2:3], s33, v34
	v_cndmask_b32_e32 v32, v27, v18, vcc
	v_cndmask_b32_e64 v27, v27, v19, s[2:3]
	v_max3_f32 v27, v29, v32, v27
	v_mbcnt_lo_u32_b32 v29, -1, 0
	v_mbcnt_hi_u32_b32 v29, -1, v29
	v_and_b32_e32 v32, 64, v29
	v_add_u32_e32 v32, 64, v32
	v_xor_b32_e32 v34, 32, v29
	v_cmp_lt_i32_e64 s[40:41], v34, v32
	v_cndmask_b32_e64 v34, v29, v34, s[40:41]
	v_lshlrev_b32_e32 v36, 2, v34
	ds_bpermute_b32 v34, v36, v27
	s_barrier
	s_waitcnt lgkmcnt(0)
	v_max_f32_e32 v34, v34, v34
	v_max_f32_e32 v27, v27, v34
	v_xor_b32_e32 v34, 16, v29
	v_cmp_lt_i32_e64 s[40:41], v34, v32
	v_cndmask_b32_e64 v29, v29, v34, s[40:41]
	v_lshlrev_b32_e32 v38, 2, v29
	ds_bpermute_b32 v29, v38, v27
	s_waitcnt lgkmcnt(0)
	v_max_f32_e32 v29, v29, v29
	v_max_f32_e32 v32, v27, v29
	v_sub_f32_e32 v26, v26, v32
	v_mul_f32_e32 v26, 0x3fb8aa3b, v26
	v_sub_f32_e32 v27, v35, v32
	v_exp_f32_e32 v26, v26
	v_mul_f32_e32 v27, 0x3fb8aa3b, v27
	v_sub_f32_e32 v28, v28, v32
	v_exp_f32_e32 v27, v27
	v_mul_f32_e32 v28, 0x3fb8aa3b, v28
	v_exp_f32_e32 v28, v28
	v_cndmask_b32_e64 v26, 0, v26, s[26:27]
	v_sub_f32_e32 v34, v37, v32
	v_add_f32_e32 v29, 0, v26
	v_cndmask_b32_e64 v27, 0, v27, s[28:29]
	v_mul_f32_e32 v34, 0x3fb8aa3b, v34
	v_exp_f32_e32 v35, v34
	v_add_f32_e32 v29, v29, v27
	v_cndmask_b32_e64 v34, 0, v28, s[30:31]
	v_add_f32_e32 v28, v29, v34
	v_sub_f32_e32 v29, v41, v32
	v_mul_f32_e32 v29, 0x3fb8aa3b, v29
	v_sub_f32_e32 v33, v33, v32
	v_exp_f32_e32 v29, v29
	v_mul_f32_e32 v33, 0x3fb8aa3b, v33
	v_sub_f32_e32 v30, v30, v32
	v_exp_f32_e32 v33, v33
	;; [unrolled: 3-line block ×3, first 2 shown]
	v_mul_f32_e32 v31, 0x3fb8aa3b, v31
	v_sub_f32_e32 v24, v24, v32
	v_cndmask_b32_e64 v35, 0, v35, s[34:35]
	v_exp_f32_e32 v31, v31
	v_mul_f32_e32 v24, 0x3fb8aa3b, v24
	v_sub_f32_e32 v25, v25, v32
	v_add_f32_e32 v37, v28, v35
	v_cndmask_b32_e64 v28, 0, v29, s[36:37]
	v_exp_f32_e32 v24, v24
	v_mul_f32_e32 v25, 0x3fb8aa3b, v25
	v_sub_f32_e32 v22, v22, v32
	v_add_f32_e32 v37, v37, v28
	;; [unrolled: 5-line block ×7, first 2 shown]
	v_cndmask_b32_e64 v22, 0, v22, s[12:13]
	v_exp_f32_e32 v18, v18
	v_mul_f32_e32 v19, 0x3fb8aa3b, v19
	v_add_f32_e32 v33, v33, v22
	v_cndmask_b32_e64 v23, 0, v23, s[14:15]
	v_exp_f32_e32 v19, v19
	v_add_f32_e32 v33, v33, v23
	v_cndmask_b32_e64 v20, 0, v20, s[8:9]
	v_add_f32_e32 v33, v33, v20
	v_cndmask_b32_e64 v21, 0, v21, s[10:11]
	v_add_f32_e32 v33, v33, v21
	v_cndmask_b32_e32 v18, 0, v18, vcc
	v_add_f32_e32 v33, v33, v18
	v_cndmask_b32_e64 v19, 0, v19, s[2:3]
	v_add_f32_e32 v33, v33, v19
	ds_bpermute_b32 v36, v36, v33
	v_cmp_gt_u32_e32 vcc, 16, v42
	s_waitcnt lgkmcnt(0)
	v_add_f32_e32 v33, v33, v36
	ds_bpermute_b32 v37, v38, v33
	v_lshlrev_b32_e32 v36, 2, v50
	s_and_saveexec_b64 s[2:3], vcc
	s_cbranch_execz .LBB591_399
; %bb.398:
	s_waitcnt lgkmcnt(0)
	v_add_f32_e32 v33, v33, v37
	v_lshl_or_b32 v37, v49, 6, v36
	ds_write2st64_b32 v37, v32, v33 offset1:1
.LBB591_399:
	s_or_b64 exec, exec, s[2:3]
	s_waitcnt lgkmcnt(0)
	s_barrier
	ds_read2_b32 v[38:39], v36 offset1:16
	ds_read2_b32 v[40:41], v36 offset0:32 offset1:48
	ds_read2_b32 v[44:45], v36 offset0:64 offset1:80
	s_lshl_b32 s12, s45, 1
	s_waitcnt lgkmcnt(2)
	v_max3_f32 v32, v38, s46, v39
	s_waitcnt lgkmcnt(1)
	v_max3_f32 v33, v32, v40, v41
	v_sub_f32_e32 v32, v38, v33
	v_mul_f32_e32 v32, 0x3fb8aa3b, v32
	v_exp_f32_e32 v37, v32
	v_sub_f32_e32 v32, v39, v33
	v_mul_f32_e32 v32, 0x3fb8aa3b, v32
	v_exp_f32_e32 v43, v32
	;; [unrolled: 3-line block ×3, first 2 shown]
	ds_read2_b32 v[38:39], v36 offset0:96 offset1:112
	v_sub_f32_e32 v32, v41, v33
	v_mul_f32_e32 v32, 0x3fb8aa3b, v32
	v_exp_f32_e32 v41, v32
	s_waitcnt lgkmcnt(1)
	v_fma_f32 v36, v37, v44, 0
	v_fmac_f32_e32 v36, v43, v45
	s_waitcnt lgkmcnt(0)
	v_fmac_f32_e32 v36, v40, v38
	v_fmac_f32_e32 v36, v41, v39
	v_add_f32_e32 v38, 0x358637bd, v36
	v_div_scale_f32 v39, s[2:3], v38, v38, 1.0
	v_rcp_f32_e32 v44, v39
	s_barrier
	v_fma_f32 v45, -v39, v44, 1.0
	v_fmac_f32_e32 v44, v45, v44
	v_div_scale_f32 v45, vcc, 1.0, v38, 1.0
	v_mul_f32_e32 v50, v45, v44
	v_fma_f32 v51, -v39, v50, v45
	v_fmac_f32_e32 v50, v51, v44
	v_fma_f32 v39, -v39, v50, v45
	v_div_fmas_f32 v39, v39, v44, v50
	v_cmp_eq_u32_e32 vcc, 1, v49
	v_cndmask_b32_e32 v37, v37, v43, vcc
	v_cmp_eq_u32_e32 vcc, 2, v49
	v_cndmask_b32_e32 v37, v37, v40, vcc
	v_cmp_eq_u32_e32 vcc, 3, v49
	v_div_fixup_f32 v38, v39, v38, 1.0
	v_cndmask_b32_e32 v37, v37, v41, vcc
	v_mul_f32_e32 v38, v37, v38
	v_pk_mul_f32 v[26:27], v[38:39], v[26:27] op_sel_hi:[0,1]
	v_cvt_f16_f32_e32 v26, v26
	v_cvt_f16_f32_e32 v27, v27
	v_pk_mul_f32 v[34:35], v[38:39], v[34:35] op_sel_hi:[0,1]
	v_cvt_f16_f32_e32 v37, v34
	v_cvt_f16_f32_e32 v35, v35
	v_pack_b32_f16 v34, v26, v27
	v_pk_mul_f32 v[26:27], v[38:39], v[30:31] op_sel_hi:[0,1]
	v_pk_mul_f32 v[28:29], v[38:39], v[28:29] op_sel_hi:[0,1]
	v_cvt_f16_f32_e32 v28, v28
	v_cvt_f16_f32_e32 v29, v29
	;; [unrolled: 1-line block ×4, first 2 shown]
	v_pack_b32_f16 v35, v37, v35
	v_lshlrev_b32_e32 v37, 3, v1
	v_lshlrev_b32_e32 v26, 11, v49
	v_or3_b32 v26, v26, v48, v37
	v_pack_b32_f16 v28, v28, v29
	v_pack_b32_f16 v29, v30, v27
	v_pk_mul_f32 v[22:23], v[38:39], v[22:23] op_sel_hi:[0,1]
	v_pk_mul_f32 v[24:25], v[38:39], v[24:25] op_sel_hi:[0,1]
	;; [unrolled: 1-line block ×4, first 2 shown]
	ds_write2st64_b64 v26, v[34:35], v[28:29] offset1:1
	v_cvt_f16_f32_e32 v24, v24
	v_cvt_f16_f32_e32 v25, v25
	;; [unrolled: 1-line block ×8, first 2 shown]
	v_mov_b32_e32 v32, 0
	v_pack_b32_f16 v18, v24, v25
	v_pack_b32_f16 v19, v22, v23
	v_pack_b32_f16 v20, v20, v21
	v_pack_b32_f16 v21, v27, v28
	v_cmp_gt_u32_e32 vcc, 2, v0
	ds_write2st64_b64 v26, v[18:19], v[20:21] offset0:2 offset1:3
	s_and_saveexec_b64 s[2:3], vcc
	s_cbranch_execz .LBB591_401
; %bb.400:
	v_or_b32_e32 v18, s25, v0
	v_mov_b32_e32 v19, 0
	v_mov_b32_e32 v20, s12
	v_mad_u64_u32 v[20:21], s[14:15], s6, v20, v[18:19]
	v_mov_b32_e32 v18, s24
	s_load_dwordx4 s[8:11], s[4:5], 0x58
	s_mul_i32 s7, s7, s12
	v_mad_u64_u32 v[18:19], s[14:15], v20, s44, v[18:19]
	v_add_u32_e32 v21, s7, v21
	v_mov_b32_e32 v20, v19
	v_mad_u64_u32 v[20:21], s[14:15], v21, s44, v[20:21]
	v_mov_b32_e32 v19, v20
	v_lshlrev_b64 v[18:19], 2, v[18:19]
	s_waitcnt lgkmcnt(0)
	v_mov_b32_e32 v21, s11
	v_add_co_u32_e32 v20, vcc, s10, v18
	v_addc_co_u32_e32 v21, vcc, v21, v19, vcc
	global_store_dword v[20:21], v33, off
	v_mov_b32_e32 v20, s9
	v_add_co_u32_e32 v18, vcc, s8, v18
	v_addc_co_u32_e32 v19, vcc, v20, v19, vcc
	global_store_dword v[18:19], v36, off
.LBB591_401:
	s_or_b64 exec, exec, s[2:3]
	v_mov_b32_e32 v19, 0
	s_waitcnt vmcnt(3)
	v_cmp_ne_u16_sdwa s[8:9], v14, v19 src0_sel:BYTE_0 src1_sel:DWORD
	s_waitcnt lgkmcnt(0)
	s_barrier
	s_and_saveexec_b64 s[2:3], s[8:9]
	s_cbranch_execz .LBB591_407
; %bb.402:
	s_movk_i32 s7, 0x80
	v_cmp_ne_u16_sdwa s[10:11], v14, s7 src0_sel:BYTE_0 src1_sel:DWORD
	v_bfrev_b32_e32 v32, 1
	s_and_saveexec_b64 s[8:9], s[10:11]
	s_cbranch_execz .LBB591_406
; %bb.403:
	s_movk_i32 s7, 0x7f
	v_and_b32_e32 v18, 0x7f, v14
	v_cmp_ne_u32_e32 vcc, s7, v18
	v_mov_b32_e32 v32, 0x7f800001
	s_and_saveexec_b64 s[10:11], vcc
	s_cbranch_execz .LBB591_405
; %bb.404:
	v_and_b32_e32 v22, 7, v14
	v_ffbh_u32_e32 v20, v22
	v_min_u32_e32 v24, 32, v20
	v_subrev_u32_e32 v20, 28, v24
	v_lshlrev_b64 v[20:21], v20, v[14:15]
	v_lshrrev_b32_e32 v23, 3, v18
	v_sub_u32_e32 v21, 29, v24
	v_and_b32_e32 v20, 7, v20
	v_cmp_gt_u32_e32 vcc, 8, v18
	v_cndmask_b32_e32 v18, v23, v21, vcc
	v_cndmask_b32_e32 v20, v22, v20, vcc
	v_lshlrev_b32_e32 v21, 24, v14
	v_bfrev_b32_e32 v22, 60
	v_lshlrev_b32_e32 v20, 20, v20
	v_and_b32_e32 v21, 0x80000000, v21
	v_lshl_add_u32 v18, v18, 23, v22
	v_or3_b32 v32, v21, v18, v20
.LBB591_405:
	s_or_b64 exec, exec, s[10:11]
.LBB591_406:
	s_or_b64 exec, exec, s[8:9]
.LBB591_407:
	s_or_b64 exec, exec, s[2:3]
	v_lshrrev_b16_e32 v18, 8, v14
	v_cmp_ne_u16_e32 vcc, 0, v18
	v_mov_b32_e32 v20, 0
	s_and_saveexec_b64 s[2:3], vcc
	s_cbranch_execz .LBB591_413
; %bb.408:
	s_movk_i32 s7, 0x80
	v_cmp_ne_u16_e32 vcc, s7, v18
	v_bfrev_b32_e32 v20, 1
	s_and_saveexec_b64 s[8:9], vcc
	s_cbranch_execz .LBB591_412
; %bb.409:
	s_movk_i32 s7, 0x7f
	v_and_b32_e32 v21, 0x7f, v18
	v_cmp_ne_u32_e32 vcc, s7, v21
	v_mov_b32_e32 v20, 0x7f800001
	s_and_saveexec_b64 s[10:11], vcc
	s_cbranch_execz .LBB591_411
; %bb.410:
	v_and_b32_e32 v20, 7, v18
	v_ffbh_u32_e32 v22, v20
	v_min_u32_e32 v25, 32, v22
	v_subrev_u32_e32 v22, 28, v25
	v_lshlrev_b64 v[22:23], v22, v[18:19]
	v_lshrrev_b32_e32 v24, 3, v21
	v_sub_u32_e32 v18, 29, v25
	v_and_b32_e32 v22, 7, v22
	v_cmp_gt_u32_e32 vcc, 8, v21
	v_cndmask_b32_e32 v18, v24, v18, vcc
	v_cndmask_b32_e32 v20, v20, v22, vcc
	v_lshlrev_b32_e32 v21, 16, v14
	v_bfrev_b32_e32 v22, 60
	v_lshlrev_b32_e32 v20, 20, v20
	v_and_b32_e32 v21, 0x80000000, v21
	v_lshl_add_u32 v18, v18, 23, v22
	v_or3_b32 v20, v21, v18, v20
.LBB591_411:
	s_or_b64 exec, exec, s[10:11]
.LBB591_412:
	s_or_b64 exec, exec, s[8:9]
.LBB591_413:
	s_or_b64 exec, exec, s[2:3]
	s_movk_i32 s2, 0xff
	v_and_b32_sdwa v21, v14, s2 dst_sel:DWORD dst_unused:UNUSED_PAD src0_sel:WORD_1 src1_sel:DWORD
	v_lshrrev_b32_e32 v18, 16, v14
	v_cmp_ne_u16_e32 vcc, 0, v21
	s_and_saveexec_b64 s[2:3], vcc
	s_cbranch_execz .LBB591_419
; %bb.414:
	s_movk_i32 s7, 0x80
	v_cmp_ne_u16_e32 vcc, s7, v21
	v_bfrev_b32_e32 v19, 1
	s_and_saveexec_b64 s[8:9], vcc
	s_cbranch_execz .LBB591_418
; %bb.415:
	v_bfe_u32 v21, v14, 16, 7
	s_movk_i32 s7, 0x7f
	v_cmp_ne_u32_e32 vcc, s7, v21
	v_mov_b32_e32 v19, 0x7f800001
	s_and_saveexec_b64 s[10:11], vcc
	s_cbranch_execz .LBB591_417
; %bb.416:
	v_and_b32_e32 v22, 7, v18
	v_ffbh_u32_e32 v19, v22
	v_min_u32_e32 v24, 32, v19
	v_subrev_u32_e32 v19, 28, v24
	v_lshlrev_b64 v[18:19], v19, v[18:19]
	v_lshrrev_b32_e32 v23, 3, v21
	v_sub_u32_e32 v19, 29, v24
	v_and_b32_e32 v18, 7, v18
	v_cmp_gt_u32_e32 vcc, 8, v21
	v_mov_b32_e32 v21, 24
	v_cndmask_b32_e32 v19, v23, v19, vcc
	v_cndmask_b32_e32 v18, v22, v18, vcc
	v_lshlrev_b32_sdwa v21, v21, v14 dst_sel:DWORD dst_unused:UNUSED_PAD src0_sel:DWORD src1_sel:WORD_1
	v_bfrev_b32_e32 v22, 60
	v_lshlrev_b32_e32 v18, 20, v18
	v_and_b32_e32 v21, 0x80000000, v21
	v_lshl_add_u32 v19, v19, 23, v22
	v_or3_b32 v19, v21, v19, v18
.LBB591_417:
	s_or_b64 exec, exec, s[10:11]
.LBB591_418:
	s_or_b64 exec, exec, s[8:9]
.LBB591_419:
	s_or_b64 exec, exec, s[2:3]
	s_mov_b32 s2, 0xffffff
	v_cmp_lt_u32_e32 vcc, s2, v14
	v_mov_b32_e32 v21, 0
	v_mov_b32_e32 v22, 0
	s_and_saveexec_b64 s[2:3], vcc
	s_cbranch_execz .LBB591_425
; %bb.420:
	v_lshrrev_b32_e32 v18, 24, v14
	s_movk_i32 s7, 0x80
	v_cmp_ne_u32_e32 vcc, s7, v18
	v_bfrev_b32_e32 v22, 1
	s_and_saveexec_b64 s[8:9], vcc
	s_cbranch_execz .LBB591_424
; %bb.421:
	v_bfe_u32 v14, v14, 24, 7
	s_movk_i32 s7, 0x7f
	v_cmp_ne_u32_e32 vcc, s7, v14
	v_mov_b32_e32 v22, 0x7f800001
	s_and_saveexec_b64 s[10:11], vcc
	s_cbranch_execz .LBB591_423
; %bb.422:
	v_and_b32_e32 v24, 7, v18
	v_ffbh_u32_e32 v22, v24
	v_min_u32_e32 v27, 32, v22
	v_subrev_u32_e32 v22, 28, v27
	v_lshlrev_b64 v[22:23], v22, v[18:19]
	v_lshrrev_b32_e32 v25, 3, v14
	v_sub_u32_e32 v23, 29, v27
	v_and_b32_e32 v22, 7, v22
	v_cmp_gt_u32_e32 vcc, 8, v14
	v_cndmask_b32_e32 v14, v25, v23, vcc
	v_cndmask_b32_e32 v22, v24, v22, vcc
	v_lshlrev_b32_e32 v18, 24, v18
	v_bfrev_b32_e32 v23, 60
	v_lshlrev_b32_e32 v22, 20, v22
	v_and_b32_e32 v18, 0x80000000, v18
	v_lshl_add_u32 v14, v14, 23, v23
	v_or3_b32 v22, v18, v14, v22
.LBB591_423:
	s_or_b64 exec, exec, s[10:11]
.LBB591_424:
	s_or_b64 exec, exec, s[8:9]
.LBB591_425:
	s_or_b64 exec, exec, s[2:3]
	v_cmp_ne_u16_sdwa s[8:9], v15, v21 src0_sel:BYTE_0 src1_sel:DWORD
	s_and_saveexec_b64 s[2:3], s[8:9]
	s_cbranch_execz .LBB591_431
; %bb.426:
	s_movk_i32 s7, 0x80
	v_cmp_ne_u16_sdwa s[10:11], v15, s7 src0_sel:BYTE_0 src1_sel:DWORD
	v_bfrev_b32_e32 v21, 1
	s_and_saveexec_b64 s[8:9], s[10:11]
	s_cbranch_execz .LBB591_430
; %bb.427:
	s_movk_i32 s7, 0x7f
	v_and_b32_e32 v14, 0x7f, v15
	v_cmp_ne_u32_e32 vcc, s7, v14
	v_mov_b32_e32 v21, 0x7f800001
	s_and_saveexec_b64 s[10:11], vcc
	s_cbranch_execz .LBB591_429
; %bb.428:
	v_and_b32_e32 v21, 7, v15
	v_ffbh_u32_e32 v24, v21
	v_min_u32_e32 v27, 32, v24
	v_mov_b32_e32 v18, v15
	v_subrev_u32_e32 v24, 28, v27
	v_lshlrev_b64 v[24:25], v24, v[18:19]
	v_lshrrev_b32_e32 v23, 3, v14
	v_sub_u32_e32 v18, 29, v27
	v_and_b32_e32 v24, 7, v24
	v_cmp_gt_u32_e32 vcc, 8, v14
	v_cndmask_b32_e32 v14, v23, v18, vcc
	v_cndmask_b32_e32 v18, v21, v24, vcc
	v_lshlrev_b32_e32 v21, 24, v15
	v_bfrev_b32_e32 v23, 60
	v_lshlrev_b32_e32 v18, 20, v18
	v_and_b32_e32 v21, 0x80000000, v21
	v_lshl_add_u32 v14, v14, 23, v23
	v_or3_b32 v21, v21, v14, v18
.LBB591_429:
	s_or_b64 exec, exec, s[10:11]
.LBB591_430:
	s_or_b64 exec, exec, s[8:9]
.LBB591_431:
	s_or_b64 exec, exec, s[2:3]
	v_lshrrev_b16_e32 v14, 8, v15
	v_cmp_ne_u16_e32 vcc, 0, v14
	v_mov_b32_e32 v18, 0
	v_mov_b32_e32 v24, 0
	s_and_saveexec_b64 s[2:3], vcc
	s_cbranch_execz .LBB591_437
; %bb.432:
	s_movk_i32 s7, 0x80
	v_cmp_ne_u16_e32 vcc, s7, v14
	v_bfrev_b32_e32 v24, 1
	s_and_saveexec_b64 s[8:9], vcc
	s_cbranch_execz .LBB591_436
; %bb.433:
	s_movk_i32 s7, 0x7f
	v_and_b32_e32 v23, 0x7f, v14
	v_cmp_ne_u32_e32 vcc, s7, v23
	v_mov_b32_e32 v24, 0x7f800001
	s_and_saveexec_b64 s[10:11], vcc
	s_cbranch_execz .LBB591_435
; %bb.434:
	v_and_b32_e32 v27, 7, v14
	v_ffbh_u32_e32 v24, v27
	v_min_u32_e32 v29, 32, v24
	v_subrev_u32_e32 v24, 28, v29
	v_lshlrev_b64 v[24:25], v24, v[14:15]
	v_lshrrev_b32_e32 v28, 3, v23
	v_sub_u32_e32 v14, 29, v29
	v_and_b32_e32 v24, 7, v24
	v_cmp_gt_u32_e32 vcc, 8, v23
	v_cndmask_b32_e32 v14, v28, v14, vcc
	v_cndmask_b32_e32 v23, v27, v24, vcc
	v_lshlrev_b32_e32 v24, 16, v15
	v_bfrev_b32_e32 v25, 60
	v_lshlrev_b32_e32 v23, 20, v23
	v_and_b32_e32 v24, 0x80000000, v24
	v_lshl_add_u32 v14, v14, 23, v25
	v_or3_b32 v24, v24, v14, v23
.LBB591_435:
	s_or_b64 exec, exec, s[10:11]
.LBB591_436:
	s_or_b64 exec, exec, s[8:9]
.LBB591_437:
	s_or_b64 exec, exec, s[2:3]
	s_movk_i32 s2, 0xff
	v_and_b32_sdwa v23, v15, s2 dst_sel:DWORD dst_unused:UNUSED_PAD src0_sel:WORD_1 src1_sel:DWORD
	v_lshrrev_b32_e32 v14, 16, v15
	v_cmp_ne_u16_e32 vcc, 0, v23
	s_and_saveexec_b64 s[2:3], vcc
	s_cbranch_execz .LBB591_443
; %bb.438:
	s_movk_i32 s7, 0x80
	v_cmp_ne_u16_e32 vcc, s7, v23
	v_bfrev_b32_e32 v18, 1
	s_and_saveexec_b64 s[8:9], vcc
	s_cbranch_execz .LBB591_442
; %bb.439:
	v_bfe_u32 v23, v15, 16, 7
	s_movk_i32 s7, 0x7f
	v_cmp_ne_u32_e32 vcc, s7, v23
	v_mov_b32_e32 v18, 0x7f800001
	s_and_saveexec_b64 s[10:11], vcc
	s_cbranch_execz .LBB591_441
; %bb.440:
	v_and_b32_e32 v18, 7, v14
	v_ffbh_u32_e32 v27, v18
	v_min_u32_e32 v27, 32, v27
	v_subrev_u32_e32 v28, 28, v27
	v_lshlrev_b64 v[28:29], v28, v[14:15]
	v_lshrrev_b32_e32 v25, 3, v23
	v_sub_u32_e32 v14, 29, v27
	v_and_b32_e32 v27, 7, v28
	v_cmp_gt_u32_e32 vcc, 8, v23
	v_mov_b32_e32 v23, 24
	v_cndmask_b32_e32 v14, v25, v14, vcc
	v_cndmask_b32_e32 v18, v18, v27, vcc
	v_lshlrev_b32_sdwa v23, v23, v15 dst_sel:DWORD dst_unused:UNUSED_PAD src0_sel:DWORD src1_sel:WORD_1
	v_bfrev_b32_e32 v25, 60
	v_lshlrev_b32_e32 v18, 20, v18
	v_and_b32_e32 v23, 0x80000000, v23
	v_lshl_add_u32 v14, v14, 23, v25
	v_or3_b32 v18, v23, v14, v18
.LBB591_441:
	s_or_b64 exec, exec, s[10:11]
.LBB591_442:
	s_or_b64 exec, exec, s[8:9]
.LBB591_443:
	s_or_b64 exec, exec, s[2:3]
	s_mov_b32 s2, 0xffffff
	v_cmp_lt_u32_e32 vcc, s2, v15
	v_mov_b32_e32 v23, 0
	v_mov_b32_e32 v25, 0
	s_and_saveexec_b64 s[2:3], vcc
	s_cbranch_execz .LBB591_449
; %bb.444:
	v_lshrrev_b32_e32 v14, 24, v15
	s_movk_i32 s7, 0x80
	v_cmp_ne_u32_e32 vcc, s7, v14
	v_bfrev_b32_e32 v25, 1
	s_and_saveexec_b64 s[8:9], vcc
	s_cbranch_execz .LBB591_448
; %bb.445:
	v_bfe_u32 v15, v15, 24, 7
	s_movk_i32 s7, 0x7f
	v_cmp_ne_u32_e32 vcc, s7, v15
	v_mov_b32_e32 v25, 0x7f800001
	s_and_saveexec_b64 s[10:11], vcc
	s_cbranch_execz .LBB591_447
; %bb.446:
	v_and_b32_e32 v25, 7, v14
	v_ffbh_u32_e32 v28, v25
	v_min_u32_e32 v30, 32, v28
	v_subrev_u32_e32 v28, 28, v30
	v_lshlrev_b64 v[28:29], v28, v[14:15]
	v_lshrrev_b32_e32 v27, 3, v15
	v_sub_u32_e32 v29, 29, v30
	v_and_b32_e32 v28, 7, v28
	v_cmp_gt_u32_e32 vcc, 8, v15
	v_cndmask_b32_e32 v15, v27, v29, vcc
	v_cndmask_b32_e32 v25, v25, v28, vcc
	v_lshlrev_b32_e32 v14, 24, v14
	v_bfrev_b32_e32 v27, 60
	v_lshlrev_b32_e32 v25, 20, v25
	v_and_b32_e32 v14, 0x80000000, v14
	v_lshl_add_u32 v15, v15, 23, v27
	v_or3_b32 v25, v14, v15, v25
.LBB591_447:
	s_or_b64 exec, exec, s[10:11]
.LBB591_448:
	s_or_b64 exec, exec, s[8:9]
.LBB591_449:
	s_or_b64 exec, exec, s[2:3]
	v_cvt_pkrtz_f16_f32 v15, v19, v22
	v_lshl_or_b32 v22, v1, 9, v48
	v_cvt_pkrtz_f16_f32 v14, v32, v20
	ds_read_b128 v[28:31], v22
	v_cmp_ne_u16_sdwa s[8:9], v16, v23 src0_sel:BYTE_0 src1_sel:DWORD
	s_waitcnt lgkmcnt(0)
	v_mfma_f32_16x16x16f16 v[32:35], v[14:15], v[28:29], 0
	v_cvt_pkrtz_f16_f32 v14, v21, v24
	v_cvt_pkrtz_f16_f32 v15, v18, v25
	s_nop 1
	v_mfma_f32_16x16x16f16 v[18:21], v[14:15], v[30:31], v[32:35]
	s_and_saveexec_b64 s[2:3], s[8:9]
	s_cbranch_execz .LBB591_455
; %bb.450:
	s_movk_i32 s7, 0x80
	v_cmp_ne_u16_sdwa s[10:11], v16, s7 src0_sel:BYTE_0 src1_sel:DWORD
	v_bfrev_b32_e32 v23, 1
	s_and_saveexec_b64 s[8:9], s[10:11]
	s_cbranch_execz .LBB591_454
; %bb.451:
	s_movk_i32 s7, 0x7f
	v_and_b32_e32 v14, 0x7f, v16
	v_cmp_ne_u32_e32 vcc, s7, v14
	v_mov_b32_e32 v23, 0x7f800001
	s_and_saveexec_b64 s[10:11], vcc
	s_cbranch_execz .LBB591_453
; %bb.452:
	v_and_b32_e32 v15, 7, v16
	v_ffbh_u32_e32 v24, v15
	v_min_u32_e32 v27, 32, v24
	v_subrev_u32_e32 v24, 28, v27
	v_lshlrev_b64 v[24:25], v24, v[16:17]
	v_lshrrev_b32_e32 v23, 3, v14
	v_sub_u32_e32 v25, 29, v27
	v_and_b32_e32 v24, 7, v24
	v_cmp_gt_u32_e32 vcc, 8, v14
	v_cndmask_b32_e32 v14, v23, v25, vcc
	v_cndmask_b32_e32 v15, v15, v24, vcc
	v_lshlrev_b32_e32 v23, 24, v16
	v_bfrev_b32_e32 v24, 60
	v_lshlrev_b32_e32 v15, 20, v15
	v_and_b32_e32 v23, 0x80000000, v23
	v_lshl_add_u32 v14, v14, 23, v24
	v_or3_b32 v23, v23, v14, v15
.LBB591_453:
	s_or_b64 exec, exec, s[10:11]
.LBB591_454:
	s_or_b64 exec, exec, s[8:9]
.LBB591_455:
	s_or_b64 exec, exec, s[2:3]
	v_lshrrev_b16_e32 v14, 8, v16
	v_cmp_ne_u16_e32 vcc, 0, v14
	v_mov_b32_e32 v15, 0
	v_mov_b32_e32 v25, 0
	s_and_saveexec_b64 s[2:3], vcc
	s_cbranch_execz .LBB591_461
; %bb.456:
	s_movk_i32 s7, 0x80
	v_cmp_ne_u16_e32 vcc, s7, v14
	v_bfrev_b32_e32 v25, 1
	s_and_saveexec_b64 s[8:9], vcc
	s_cbranch_execz .LBB591_460
; %bb.457:
	s_movk_i32 s7, 0x7f
	v_and_b32_e32 v24, 0x7f, v14
	v_cmp_ne_u32_e32 vcc, s7, v24
	v_mov_b32_e32 v25, 0x7f800001
	s_and_saveexec_b64 s[10:11], vcc
	s_cbranch_execz .LBB591_459
; %bb.458:
	v_and_b32_e32 v25, 7, v14
	v_ffbh_u32_e32 v28, v25
	v_min_u32_e32 v30, 32, v28
	v_subrev_u32_e32 v28, 28, v30
	v_lshlrev_b64 v[28:29], v28, v[14:15]
	v_lshrrev_b32_e32 v27, 3, v24
	v_sub_u32_e32 v14, 29, v30
	v_and_b32_e32 v28, 7, v28
	v_cmp_gt_u32_e32 vcc, 8, v24
	v_cndmask_b32_e32 v14, v27, v14, vcc
	v_cndmask_b32_e32 v24, v25, v28, vcc
	v_lshlrev_b32_e32 v25, 16, v16
	v_bfrev_b32_e32 v27, 60
	v_lshlrev_b32_e32 v24, 20, v24
	v_and_b32_e32 v25, 0x80000000, v25
	v_lshl_add_u32 v14, v14, 23, v27
	v_or3_b32 v25, v25, v14, v24
.LBB591_459:
	s_or_b64 exec, exec, s[10:11]
.LBB591_460:
	s_or_b64 exec, exec, s[8:9]
.LBB591_461:
	s_or_b64 exec, exec, s[2:3]
	s_movk_i32 s2, 0xff
	v_and_b32_sdwa v24, v16, s2 dst_sel:DWORD dst_unused:UNUSED_PAD src0_sel:WORD_1 src1_sel:DWORD
	v_lshrrev_b32_e32 v14, 16, v16
	v_cmp_ne_u16_e32 vcc, 0, v24
	s_and_saveexec_b64 s[2:3], vcc
	s_cbranch_execz .LBB591_467
; %bb.462:
	s_movk_i32 s7, 0x80
	v_cmp_ne_u16_e32 vcc, s7, v24
	v_bfrev_b32_e32 v15, 1
	s_and_saveexec_b64 s[8:9], vcc
	s_cbranch_execz .LBB591_466
; %bb.463:
	v_bfe_u32 v24, v16, 16, 7
	s_movk_i32 s7, 0x7f
	v_cmp_ne_u32_e32 vcc, s7, v24
	v_mov_b32_e32 v15, 0x7f800001
	s_and_saveexec_b64 s[10:11], vcc
	s_cbranch_execz .LBB591_465
; %bb.464:
	v_and_b32_e32 v27, 7, v14
	v_ffbh_u32_e32 v15, v27
	v_min_u32_e32 v29, 32, v15
	v_subrev_u32_e32 v15, 28, v29
	v_lshlrev_b64 v[14:15], v15, v[14:15]
	v_lshrrev_b32_e32 v28, 3, v24
	v_sub_u32_e32 v15, 29, v29
	v_and_b32_e32 v14, 7, v14
	v_cmp_gt_u32_e32 vcc, 8, v24
	v_mov_b32_e32 v24, 24
	v_cndmask_b32_e32 v15, v28, v15, vcc
	v_cndmask_b32_e32 v14, v27, v14, vcc
	v_lshlrev_b32_sdwa v24, v24, v16 dst_sel:DWORD dst_unused:UNUSED_PAD src0_sel:DWORD src1_sel:WORD_1
	v_bfrev_b32_e32 v27, 60
	v_lshlrev_b32_e32 v14, 20, v14
	v_and_b32_e32 v24, 0x80000000, v24
	v_lshl_add_u32 v15, v15, 23, v27
	v_or3_b32 v15, v24, v15, v14
.LBB591_465:
	s_or_b64 exec, exec, s[10:11]
.LBB591_466:
	s_or_b64 exec, exec, s[8:9]
.LBB591_467:
	s_or_b64 exec, exec, s[2:3]
	s_mov_b32 s2, 0xffffff
	v_cmp_lt_u32_e32 vcc, s2, v16
	v_mov_b32_e32 v27, 0
	v_mov_b32_e32 v28, 0
	s_and_saveexec_b64 s[2:3], vcc
	s_cbranch_execz .LBB591_473
; %bb.468:
	v_lshrrev_b32_e32 v14, 24, v16
	s_movk_i32 s7, 0x80
	v_cmp_ne_u32_e32 vcc, s7, v14
	v_bfrev_b32_e32 v28, 1
	s_and_saveexec_b64 s[8:9], vcc
	s_cbranch_execz .LBB591_472
; %bb.469:
	v_bfe_u32 v16, v16, 24, 7
	s_movk_i32 s7, 0x7f
	v_cmp_ne_u32_e32 vcc, s7, v16
	v_mov_b32_e32 v28, 0x7f800001
	s_and_saveexec_b64 s[10:11], vcc
	s_cbranch_execz .LBB591_471
; %bb.470:
	v_and_b32_e32 v24, 7, v14
	v_ffbh_u32_e32 v28, v24
	v_min_u32_e32 v31, 32, v28
	v_subrev_u32_e32 v28, 28, v31
	v_lshlrev_b64 v[28:29], v28, v[14:15]
	v_lshrrev_b32_e32 v30, 3, v16
	v_sub_u32_e32 v29, 29, v31
	v_and_b32_e32 v28, 7, v28
	v_cmp_gt_u32_e32 vcc, 8, v16
	v_cndmask_b32_e32 v16, v30, v29, vcc
	v_cndmask_b32_e32 v24, v24, v28, vcc
	v_lshlrev_b32_e32 v14, 24, v14
	v_bfrev_b32_e32 v28, 60
	v_lshlrev_b32_e32 v24, 20, v24
	v_and_b32_e32 v14, 0x80000000, v14
	v_lshl_add_u32 v16, v16, 23, v28
	v_or3_b32 v28, v14, v16, v24
.LBB591_471:
	s_or_b64 exec, exec, s[10:11]
.LBB591_472:
	s_or_b64 exec, exec, s[8:9]
.LBB591_473:
	s_or_b64 exec, exec, s[2:3]
	v_cmp_ne_u16_sdwa s[8:9], v17, v27 src0_sel:BYTE_0 src1_sel:DWORD
	s_and_saveexec_b64 s[2:3], s[8:9]
	s_cbranch_execz .LBB591_479
; %bb.474:
	s_movk_i32 s7, 0x80
	v_cmp_ne_u16_sdwa s[10:11], v17, s7 src0_sel:BYTE_0 src1_sel:DWORD
	v_bfrev_b32_e32 v27, 1
	s_and_saveexec_b64 s[8:9], s[10:11]
	s_cbranch_execz .LBB591_478
; %bb.475:
	s_movk_i32 s7, 0x7f
	v_and_b32_e32 v14, 0x7f, v17
	v_cmp_ne_u32_e32 vcc, s7, v14
	v_mov_b32_e32 v27, 0x7f800001
	s_and_saveexec_b64 s[10:11], vcc
	s_cbranch_execz .LBB591_477
; %bb.476:
	v_and_b32_e32 v24, 7, v17
	v_ffbh_u32_e32 v29, v24
	v_min_u32_e32 v29, 32, v29
	v_mov_b32_e32 v16, v17
	v_subrev_u32_e32 v30, 28, v29
	v_lshlrev_b64 v[30:31], v30, v[16:17]
	v_lshrrev_b32_e32 v27, 3, v14
	v_sub_u32_e32 v16, 29, v29
	v_and_b32_e32 v29, 7, v30
	v_cmp_gt_u32_e32 vcc, 8, v14
	v_cndmask_b32_e32 v14, v27, v16, vcc
	v_cndmask_b32_e32 v16, v24, v29, vcc
	v_lshlrev_b32_e32 v24, 24, v17
	v_bfrev_b32_e32 v27, 60
	v_lshlrev_b32_e32 v16, 20, v16
	v_and_b32_e32 v24, 0x80000000, v24
	v_lshl_add_u32 v14, v14, 23, v27
	v_or3_b32 v27, v24, v14, v16
.LBB591_477:
	s_or_b64 exec, exec, s[10:11]
.LBB591_478:
	s_or_b64 exec, exec, s[8:9]
.LBB591_479:
	s_or_b64 exec, exec, s[2:3]
	v_lshrrev_b16_e32 v14, 8, v17
	v_cmp_ne_u16_e32 vcc, 0, v14
	v_mov_b32_e32 v16, 0
	v_mov_b32_e32 v29, 0
	s_and_saveexec_b64 s[2:3], vcc
	s_cbranch_execz .LBB591_485
; %bb.480:
	s_movk_i32 s7, 0x80
	v_cmp_ne_u16_e32 vcc, s7, v14
	v_bfrev_b32_e32 v29, 1
	s_and_saveexec_b64 s[8:9], vcc
	s_cbranch_execz .LBB591_484
; %bb.481:
	s_movk_i32 s7, 0x7f
	v_and_b32_e32 v24, 0x7f, v14
	v_cmp_ne_u32_e32 vcc, s7, v24
	v_mov_b32_e32 v29, 0x7f800001
	s_and_saveexec_b64 s[10:11], vcc
	s_cbranch_execz .LBB591_483
; %bb.482:
	v_and_b32_e32 v29, 7, v14
	v_ffbh_u32_e32 v30, v29
	v_min_u32_e32 v33, 32, v30
	v_subrev_u32_e32 v30, 28, v33
	v_lshlrev_b64 v[30:31], v30, v[14:15]
	v_lshrrev_b32_e32 v32, 3, v24
	v_sub_u32_e32 v14, 29, v33
	v_and_b32_e32 v30, 7, v30
	v_cmp_gt_u32_e32 vcc, 8, v24
	v_cndmask_b32_e32 v14, v32, v14, vcc
	v_cndmask_b32_e32 v24, v29, v30, vcc
	v_lshlrev_b32_e32 v29, 16, v17
	v_bfrev_b32_e32 v30, 60
	v_lshlrev_b32_e32 v24, 20, v24
	v_and_b32_e32 v29, 0x80000000, v29
	v_lshl_add_u32 v14, v14, 23, v30
	v_or3_b32 v29, v29, v14, v24
.LBB591_483:
	s_or_b64 exec, exec, s[10:11]
.LBB591_484:
	s_or_b64 exec, exec, s[8:9]
.LBB591_485:
	s_or_b64 exec, exec, s[2:3]
	s_movk_i32 s2, 0xff
	v_and_b32_sdwa v24, v17, s2 dst_sel:DWORD dst_unused:UNUSED_PAD src0_sel:WORD_1 src1_sel:DWORD
	v_lshrrev_b32_e32 v14, 16, v17
	v_cmp_ne_u16_e32 vcc, 0, v24
	s_and_saveexec_b64 s[2:3], vcc
	s_cbranch_execz .LBB591_491
; %bb.486:
	s_movk_i32 s7, 0x80
	v_cmp_ne_u16_e32 vcc, s7, v24
	v_bfrev_b32_e32 v16, 1
	s_and_saveexec_b64 s[8:9], vcc
	s_cbranch_execz .LBB591_490
; %bb.487:
	v_bfe_u32 v24, v17, 16, 7
	s_movk_i32 s7, 0x7f
	v_cmp_ne_u32_e32 vcc, s7, v24
	v_mov_b32_e32 v16, 0x7f800001
	s_and_saveexec_b64 s[10:11], vcc
	s_cbranch_execz .LBB591_489
; %bb.488:
	v_and_b32_e32 v16, 7, v14
	v_ffbh_u32_e32 v30, v16
	v_min_u32_e32 v33, 32, v30
	v_subrev_u32_e32 v30, 28, v33
	v_lshlrev_b64 v[30:31], v30, v[14:15]
	v_lshrrev_b32_e32 v32, 3, v24
	v_sub_u32_e32 v14, 29, v33
	v_and_b32_e32 v30, 7, v30
	v_cmp_gt_u32_e32 vcc, 8, v24
	v_mov_b32_e32 v24, 24
	v_cndmask_b32_e32 v14, v32, v14, vcc
	v_cndmask_b32_e32 v16, v16, v30, vcc
	v_lshlrev_b32_sdwa v24, v24, v17 dst_sel:DWORD dst_unused:UNUSED_PAD src0_sel:DWORD src1_sel:WORD_1
	v_bfrev_b32_e32 v30, 60
	v_lshlrev_b32_e32 v16, 20, v16
	v_and_b32_e32 v24, 0x80000000, v24
	v_lshl_add_u32 v14, v14, 23, v30
	v_or3_b32 v16, v24, v14, v16
.LBB591_489:
	s_or_b64 exec, exec, s[10:11]
.LBB591_490:
	s_or_b64 exec, exec, s[8:9]
.LBB591_491:
	s_or_b64 exec, exec, s[2:3]
	s_mov_b32 s2, 0xffffff
	v_cmp_lt_u32_e32 vcc, s2, v17
	v_mov_b32_e32 v24, 0
	v_mov_b32_e32 v30, 0
	s_and_saveexec_b64 s[2:3], vcc
	s_cbranch_execz .LBB591_497
; %bb.492:
	v_lshrrev_b32_e32 v14, 24, v17
	s_movk_i32 s7, 0x80
	v_cmp_ne_u32_e32 vcc, s7, v14
	v_bfrev_b32_e32 v30, 1
	s_and_saveexec_b64 s[8:9], vcc
	s_cbranch_execz .LBB591_496
; %bb.493:
	v_bfe_u32 v17, v17, 24, 7
	s_movk_i32 s7, 0x7f
	v_cmp_ne_u32_e32 vcc, s7, v17
	v_mov_b32_e32 v30, 0x7f800001
	s_and_saveexec_b64 s[10:11], vcc
	s_cbranch_execz .LBB591_495
; %bb.494:
	v_and_b32_e32 v32, 7, v14
	v_ffbh_u32_e32 v30, v32
	v_min_u32_e32 v34, 32, v30
	v_subrev_u32_e32 v30, 28, v34
	v_lshlrev_b64 v[30:31], v30, v[14:15]
	v_lshrrev_b32_e32 v33, 3, v17
	v_sub_u32_e32 v31, 29, v34
	v_and_b32_e32 v30, 7, v30
	v_cmp_gt_u32_e32 vcc, 8, v17
	v_cndmask_b32_e32 v17, v33, v31, vcc
	v_cndmask_b32_e32 v30, v32, v30, vcc
	v_lshlrev_b32_e32 v14, 24, v14
	v_bfrev_b32_e32 v31, 60
	v_lshlrev_b32_e32 v30, 20, v30
	v_and_b32_e32 v14, 0x80000000, v14
	v_lshl_add_u32 v17, v17, 23, v31
	v_or3_b32 v30, v14, v17, v30
.LBB591_495:
	s_or_b64 exec, exec, s[10:11]
.LBB591_496:
	s_or_b64 exec, exec, s[8:9]
.LBB591_497:
	s_or_b64 exec, exec, s[2:3]
	v_cvt_pkrtz_f16_f32 v14, v23, v25
	v_cvt_pkrtz_f16_f32 v15, v15, v28
	ds_read_b128 v[32:35], v22 offset:16
	s_waitcnt vmcnt(2)
	v_cmp_ne_u16_sdwa s[8:9], v10, v24 src0_sel:BYTE_0 src1_sel:DWORD
	s_waitcnt lgkmcnt(0)
	v_mfma_f32_16x16x16f16 v[18:21], v[14:15], v[32:33], v[18:21]
	v_cvt_pkrtz_f16_f32 v14, v27, v29
	v_cvt_pkrtz_f16_f32 v15, v16, v30
	s_nop 1
	v_mfma_f32_16x16x16f16 v[14:17], v[14:15], v[34:35], v[18:21]
	s_and_saveexec_b64 s[2:3], s[8:9]
	s_cbranch_execz .LBB591_503
; %bb.498:
	s_movk_i32 s7, 0x80
	v_cmp_ne_u16_sdwa s[10:11], v10, s7 src0_sel:BYTE_0 src1_sel:DWORD
	v_bfrev_b32_e32 v24, 1
	s_and_saveexec_b64 s[8:9], s[10:11]
	s_cbranch_execz .LBB591_502
; %bb.499:
	s_movk_i32 s7, 0x7f
	v_and_b32_e32 v18, 0x7f, v10
	v_cmp_ne_u32_e32 vcc, s7, v18
	v_mov_b32_e32 v24, 0x7f800001
	s_and_saveexec_b64 s[10:11], vcc
	s_cbranch_execz .LBB591_501
; %bb.500:
	v_and_b32_e32 v19, 7, v10
	v_ffbh_u32_e32 v20, v19
	v_min_u32_e32 v24, 32, v20
	v_subrev_u32_e32 v20, 28, v24
	v_lshlrev_b64 v[20:21], v20, v[10:11]
	v_lshrrev_b32_e32 v23, 3, v18
	v_sub_u32_e32 v21, 29, v24
	v_and_b32_e32 v20, 7, v20
	v_cmp_gt_u32_e32 vcc, 8, v18
	v_cndmask_b32_e32 v18, v23, v21, vcc
	v_cndmask_b32_e32 v19, v19, v20, vcc
	v_lshlrev_b32_e32 v20, 24, v10
	v_bfrev_b32_e32 v21, 60
	v_lshlrev_b32_e32 v19, 20, v19
	v_and_b32_e32 v20, 0x80000000, v20
	v_lshl_add_u32 v18, v18, 23, v21
	v_or3_b32 v24, v20, v18, v19
.LBB591_501:
	s_or_b64 exec, exec, s[10:11]
.LBB591_502:
	s_or_b64 exec, exec, s[8:9]
.LBB591_503:
	s_or_b64 exec, exec, s[2:3]
	s_nop 3
	v_lshrrev_b16_e32 v18, 8, v10
	v_cmp_ne_u16_e32 vcc, 0, v18
	v_mov_b32_e32 v19, 0
	v_mov_b32_e32 v20, 0
	s_and_saveexec_b64 s[2:3], vcc
	s_cbranch_execz .LBB591_509
; %bb.504:
	s_movk_i32 s7, 0x80
	v_cmp_ne_u16_e32 vcc, s7, v18
	v_bfrev_b32_e32 v20, 1
	s_and_saveexec_b64 s[8:9], vcc
	s_cbranch_execz .LBB591_508
; %bb.505:
	s_movk_i32 s7, 0x7f
	v_and_b32_e32 v21, 0x7f, v18
	v_cmp_ne_u32_e32 vcc, s7, v21
	v_mov_b32_e32 v20, 0x7f800001
	s_and_saveexec_b64 s[10:11], vcc
	s_cbranch_execz .LBB591_507
; %bb.506:
	v_and_b32_e32 v20, 7, v18
	v_ffbh_u32_e32 v25, v20
	v_min_u32_e32 v25, 32, v25
	v_subrev_u32_e32 v27, 28, v25
	v_lshlrev_b64 v[28:29], v27, v[18:19]
	v_lshrrev_b32_e32 v23, 3, v21
	v_sub_u32_e32 v18, 29, v25
	v_and_b32_e32 v25, 7, v28
	v_cmp_gt_u32_e32 vcc, 8, v21
	v_cndmask_b32_e32 v18, v23, v18, vcc
	v_cndmask_b32_e32 v20, v20, v25, vcc
	v_lshlrev_b32_e32 v21, 16, v10
	v_bfrev_b32_e32 v23, 60
	v_lshlrev_b32_e32 v20, 20, v20
	v_and_b32_e32 v21, 0x80000000, v21
	v_lshl_add_u32 v18, v18, 23, v23
	v_or3_b32 v20, v21, v18, v20
.LBB591_507:
	s_or_b64 exec, exec, s[10:11]
.LBB591_508:
	s_or_b64 exec, exec, s[8:9]
.LBB591_509:
	s_or_b64 exec, exec, s[2:3]
	s_movk_i32 s2, 0xff
	v_and_b32_sdwa v21, v10, s2 dst_sel:DWORD dst_unused:UNUSED_PAD src0_sel:WORD_1 src1_sel:DWORD
	v_lshrrev_b32_e32 v18, 16, v10
	v_cmp_ne_u16_e32 vcc, 0, v21
	s_and_saveexec_b64 s[2:3], vcc
	s_cbranch_execz .LBB591_515
; %bb.510:
	s_movk_i32 s7, 0x80
	v_cmp_ne_u16_e32 vcc, s7, v21
	v_bfrev_b32_e32 v19, 1
	s_and_saveexec_b64 s[8:9], vcc
	s_cbranch_execz .LBB591_514
; %bb.511:
	v_bfe_u32 v21, v10, 16, 7
	s_movk_i32 s7, 0x7f
	v_cmp_ne_u32_e32 vcc, s7, v21
	v_mov_b32_e32 v19, 0x7f800001
	s_and_saveexec_b64 s[10:11], vcc
	s_cbranch_execz .LBB591_513
; %bb.512:
	v_and_b32_e32 v23, 7, v18
	v_ffbh_u32_e32 v19, v23
	v_min_u32_e32 v27, 32, v19
	v_subrev_u32_e32 v19, 28, v27
	v_lshlrev_b64 v[18:19], v19, v[18:19]
	v_lshrrev_b32_e32 v25, 3, v21
	v_sub_u32_e32 v19, 29, v27
	v_and_b32_e32 v18, 7, v18
	v_cmp_gt_u32_e32 vcc, 8, v21
	v_mov_b32_e32 v21, 24
	v_cndmask_b32_e32 v19, v25, v19, vcc
	v_cndmask_b32_e32 v18, v23, v18, vcc
	v_lshlrev_b32_sdwa v21, v21, v10 dst_sel:DWORD dst_unused:UNUSED_PAD src0_sel:DWORD src1_sel:WORD_1
	v_bfrev_b32_e32 v23, 60
	v_lshlrev_b32_e32 v18, 20, v18
	v_and_b32_e32 v21, 0x80000000, v21
	v_lshl_add_u32 v19, v19, 23, v23
	v_or3_b32 v19, v21, v19, v18
.LBB591_513:
	s_or_b64 exec, exec, s[10:11]
.LBB591_514:
	s_or_b64 exec, exec, s[8:9]
.LBB591_515:
	s_or_b64 exec, exec, s[2:3]
	s_mov_b32 s2, 0xffffff
	v_cmp_lt_u32_e32 vcc, s2, v10
	v_mov_b32_e32 v21, 0
	v_mov_b32_e32 v23, 0
	s_and_saveexec_b64 s[2:3], vcc
	s_cbranch_execz .LBB591_521
; %bb.516:
	v_lshrrev_b32_e32 v18, 24, v10
	s_movk_i32 s7, 0x80
	v_cmp_ne_u32_e32 vcc, s7, v18
	v_bfrev_b32_e32 v23, 1
	s_and_saveexec_b64 s[8:9], vcc
	s_cbranch_execz .LBB591_520
; %bb.517:
	v_bfe_u32 v10, v10, 24, 7
	s_movk_i32 s7, 0x7f
	v_cmp_ne_u32_e32 vcc, s7, v10
	v_mov_b32_e32 v23, 0x7f800001
	s_and_saveexec_b64 s[10:11], vcc
	s_cbranch_execz .LBB591_519
; %bb.518:
	v_and_b32_e32 v23, 7, v18
	v_ffbh_u32_e32 v27, v23
	v_min_u32_e32 v27, 32, v27
	v_subrev_u32_e32 v28, 28, v27
	v_lshlrev_b64 v[28:29], v28, v[18:19]
	v_lshrrev_b32_e32 v25, 3, v10
	v_sub_u32_e32 v27, 29, v27
	v_and_b32_e32 v28, 7, v28
	v_cmp_gt_u32_e32 vcc, 8, v10
	v_cndmask_b32_e32 v10, v25, v27, vcc
	v_cndmask_b32_e32 v23, v23, v28, vcc
	v_lshlrev_b32_e32 v18, 24, v18
	v_bfrev_b32_e32 v25, 60
	v_lshlrev_b32_e32 v23, 20, v23
	v_and_b32_e32 v18, 0x80000000, v18
	v_lshl_add_u32 v10, v10, 23, v25
	v_or3_b32 v23, v18, v10, v23
.LBB591_519:
	s_or_b64 exec, exec, s[10:11]
.LBB591_520:
	s_or_b64 exec, exec, s[8:9]
.LBB591_521:
	s_or_b64 exec, exec, s[2:3]
	v_cmp_ne_u16_sdwa s[8:9], v11, v21 src0_sel:BYTE_0 src1_sel:DWORD
	s_and_saveexec_b64 s[2:3], s[8:9]
	s_cbranch_execz .LBB591_527
; %bb.522:
	s_movk_i32 s7, 0x80
	v_cmp_ne_u16_sdwa s[10:11], v11, s7 src0_sel:BYTE_0 src1_sel:DWORD
	v_bfrev_b32_e32 v21, 1
	s_and_saveexec_b64 s[8:9], s[10:11]
	s_cbranch_execz .LBB591_526
; %bb.523:
	s_movk_i32 s7, 0x7f
	v_and_b32_e32 v10, 0x7f, v11
	v_cmp_ne_u32_e32 vcc, s7, v10
	v_mov_b32_e32 v21, 0x7f800001
	s_and_saveexec_b64 s[10:11], vcc
	s_cbranch_execz .LBB591_525
; %bb.524:
	v_and_b32_e32 v21, 7, v11
	v_ffbh_u32_e32 v27, v21
	v_min_u32_e32 v27, 32, v27
	v_mov_b32_e32 v18, v11
	v_subrev_u32_e32 v28, 28, v27
	v_lshlrev_b64 v[28:29], v28, v[18:19]
	v_lshrrev_b32_e32 v25, 3, v10
	v_sub_u32_e32 v18, 29, v27
	v_and_b32_e32 v27, 7, v28
	v_cmp_gt_u32_e32 vcc, 8, v10
	v_cndmask_b32_e32 v10, v25, v18, vcc
	v_cndmask_b32_e32 v18, v21, v27, vcc
	v_lshlrev_b32_e32 v21, 24, v11
	v_bfrev_b32_e32 v25, 60
	v_lshlrev_b32_e32 v18, 20, v18
	v_and_b32_e32 v21, 0x80000000, v21
	v_lshl_add_u32 v10, v10, 23, v25
	v_or3_b32 v21, v21, v10, v18
.LBB591_525:
	s_or_b64 exec, exec, s[10:11]
.LBB591_526:
	s_or_b64 exec, exec, s[8:9]
.LBB591_527:
	s_or_b64 exec, exec, s[2:3]
	v_lshrrev_b16_e32 v10, 8, v11
	v_cmp_ne_u16_e32 vcc, 0, v10
	v_mov_b32_e32 v25, 0
	v_mov_b32_e32 v27, 0
	s_and_saveexec_b64 s[2:3], vcc
	s_cbranch_execz .LBB591_533
; %bb.528:
	s_movk_i32 s7, 0x80
	v_cmp_ne_u16_e32 vcc, s7, v10
	v_bfrev_b32_e32 v27, 1
	s_and_saveexec_b64 s[8:9], vcc
	s_cbranch_execz .LBB591_532
; %bb.529:
	s_movk_i32 s7, 0x7f
	v_and_b32_e32 v18, 0x7f, v10
	v_cmp_ne_u32_e32 vcc, s7, v18
	v_mov_b32_e32 v27, 0x7f800001
	s_and_saveexec_b64 s[10:11], vcc
	s_cbranch_execz .LBB591_531
; %bb.530:
	v_and_b32_e32 v27, 7, v10
	v_ffbh_u32_e32 v28, v27
	v_min_u32_e32 v31, 32, v28
	v_subrev_u32_e32 v28, 28, v31
	v_lshlrev_b64 v[28:29], v28, v[10:11]
	v_lshrrev_b32_e32 v30, 3, v18
	v_sub_u32_e32 v10, 29, v31
	v_and_b32_e32 v28, 7, v28
	v_cmp_gt_u32_e32 vcc, 8, v18
	v_cndmask_b32_e32 v10, v30, v10, vcc
	v_cndmask_b32_e32 v18, v27, v28, vcc
	v_lshlrev_b32_e32 v27, 16, v11
	v_bfrev_b32_e32 v28, 60
	v_lshlrev_b32_e32 v18, 20, v18
	v_and_b32_e32 v27, 0x80000000, v27
	v_lshl_add_u32 v10, v10, 23, v28
	v_or3_b32 v27, v27, v10, v18
.LBB591_531:
	s_or_b64 exec, exec, s[10:11]
.LBB591_532:
	s_or_b64 exec, exec, s[8:9]
.LBB591_533:
	s_or_b64 exec, exec, s[2:3]
	s_movk_i32 s2, 0xff
	v_and_b32_sdwa v18, v11, s2 dst_sel:DWORD dst_unused:UNUSED_PAD src0_sel:WORD_1 src1_sel:DWORD
	v_lshrrev_b32_e32 v10, 16, v11
	v_cmp_ne_u16_e32 vcc, 0, v18
	s_and_saveexec_b64 s[2:3], vcc
	s_cbranch_execz .LBB591_539
; %bb.534:
	s_movk_i32 s7, 0x80
	v_cmp_ne_u16_e32 vcc, s7, v18
	v_bfrev_b32_e32 v25, 1
	s_and_saveexec_b64 s[8:9], vcc
	s_cbranch_execz .LBB591_538
; %bb.535:
	v_bfe_u32 v18, v11, 16, 7
	s_movk_i32 s7, 0x7f
	v_cmp_ne_u32_e32 vcc, s7, v18
	v_mov_b32_e32 v25, 0x7f800001
	s_and_saveexec_b64 s[10:11], vcc
	s_cbranch_execz .LBB591_537
; %bb.536:
	v_and_b32_e32 v25, 7, v10
	v_ffbh_u32_e32 v28, v25
	v_min_u32_e32 v31, 32, v28
	v_subrev_u32_e32 v28, 28, v31
	v_lshlrev_b64 v[28:29], v28, v[10:11]
	v_and_b32_e32 v28, 7, v28
	v_cmp_gt_u32_e32 vcc, 8, v18
	v_lshrrev_b32_e32 v30, 3, v18
	v_sub_u32_e32 v10, 29, v31
	v_cndmask_b32_e32 v18, v25, v28, vcc
	v_mov_b32_e32 v25, 24
	v_cndmask_b32_e32 v10, v30, v10, vcc
	v_lshlrev_b32_sdwa v25, v25, v11 dst_sel:DWORD dst_unused:UNUSED_PAD src0_sel:DWORD src1_sel:WORD_1
	v_bfrev_b32_e32 v28, 60
	v_lshlrev_b32_e32 v18, 20, v18
	v_and_b32_e32 v25, 0x80000000, v25
	v_lshl_add_u32 v10, v10, 23, v28
	v_or3_b32 v25, v25, v10, v18
.LBB591_537:
	s_or_b64 exec, exec, s[10:11]
.LBB591_538:
	s_or_b64 exec, exec, s[8:9]
.LBB591_539:
	s_or_b64 exec, exec, s[2:3]
	s_mov_b32 s2, 0xffffff
	v_cmp_lt_u32_e32 vcc, s2, v11
	v_mov_b32_e32 v18, 0
	v_mov_b32_e32 v28, 0
	s_and_saveexec_b64 s[2:3], vcc
	s_cbranch_execz .LBB591_545
; %bb.540:
	v_lshrrev_b32_e32 v10, 24, v11
	s_movk_i32 s7, 0x80
	v_cmp_ne_u32_e32 vcc, s7, v10
	v_bfrev_b32_e32 v28, 1
	s_and_saveexec_b64 s[8:9], vcc
	s_cbranch_execz .LBB591_544
; %bb.541:
	v_bfe_u32 v11, v11, 24, 7
	s_movk_i32 s7, 0x7f
	v_cmp_ne_u32_e32 vcc, s7, v11
	v_mov_b32_e32 v28, 0x7f800001
	s_and_saveexec_b64 s[10:11], vcc
	s_cbranch_execz .LBB591_543
; %bb.542:
	v_and_b32_e32 v30, 7, v10
	v_ffbh_u32_e32 v28, v30
	v_min_u32_e32 v32, 32, v28
	v_subrev_u32_e32 v28, 28, v32
	v_lshlrev_b64 v[28:29], v28, v[10:11]
	v_lshrrev_b32_e32 v31, 3, v11
	v_sub_u32_e32 v29, 29, v32
	v_and_b32_e32 v28, 7, v28
	v_cmp_gt_u32_e32 vcc, 8, v11
	v_cndmask_b32_e32 v11, v31, v29, vcc
	v_cndmask_b32_e32 v28, v30, v28, vcc
	v_lshlrev_b32_e32 v10, 24, v10
	v_bfrev_b32_e32 v29, 60
	v_lshlrev_b32_e32 v28, 20, v28
	v_and_b32_e32 v10, 0x80000000, v10
	v_lshl_add_u32 v11, v11, 23, v29
	v_or3_b32 v28, v10, v11, v28
.LBB591_543:
	s_or_b64 exec, exec, s[10:11]
.LBB591_544:
	s_or_b64 exec, exec, s[8:9]
.LBB591_545:
	s_or_b64 exec, exec, s[2:3]
	v_cvt_pkrtz_f16_f32 v10, v24, v20
	v_cvt_pkrtz_f16_f32 v11, v19, v23
	ds_read_b128 v[30:33], v22 offset:2048
	v_cmp_ne_u16_sdwa s[8:9], v12, v18 src0_sel:BYTE_0 src1_sel:DWORD
	s_waitcnt lgkmcnt(0)
	v_mfma_f32_16x16x16f16 v[14:17], v[10:11], v[30:31], v[14:17]
	v_cvt_pkrtz_f16_f32 v10, v21, v27
	v_cvt_pkrtz_f16_f32 v11, v25, v28
	s_nop 1
	v_mfma_f32_16x16x16f16 v[14:17], v[10:11], v[32:33], v[14:17]
	s_and_saveexec_b64 s[2:3], s[8:9]
	s_cbranch_execz .LBB591_551
; %bb.546:
	s_movk_i32 s7, 0x80
	v_cmp_ne_u16_sdwa s[10:11], v12, s7 src0_sel:BYTE_0 src1_sel:DWORD
	v_bfrev_b32_e32 v18, 1
	s_and_saveexec_b64 s[8:9], s[10:11]
	s_cbranch_execz .LBB591_550
; %bb.547:
	s_movk_i32 s7, 0x7f
	v_and_b32_e32 v10, 0x7f, v12
	v_cmp_ne_u32_e32 vcc, s7, v10
	v_mov_b32_e32 v18, 0x7f800001
	s_and_saveexec_b64 s[10:11], vcc
	s_cbranch_execz .LBB591_549
; %bb.548:
	v_and_b32_e32 v11, 7, v12
	v_ffbh_u32_e32 v18, v11
	v_min_u32_e32 v21, 32, v18
	v_subrev_u32_e32 v18, 28, v21
	v_lshlrev_b64 v[18:19], v18, v[12:13]
	v_lshrrev_b32_e32 v20, 3, v10
	v_sub_u32_e32 v19, 29, v21
	v_and_b32_e32 v18, 7, v18
	v_cmp_gt_u32_e32 vcc, 8, v10
	v_cndmask_b32_e32 v10, v20, v19, vcc
	v_cndmask_b32_e32 v11, v11, v18, vcc
	v_lshlrev_b32_e32 v18, 24, v12
	v_bfrev_b32_e32 v19, 60
	v_lshlrev_b32_e32 v11, 20, v11
	v_and_b32_e32 v18, 0x80000000, v18
	v_lshl_add_u32 v10, v10, 23, v19
	v_or3_b32 v18, v18, v10, v11
.LBB591_549:
	s_or_b64 exec, exec, s[10:11]
.LBB591_550:
	s_or_b64 exec, exec, s[8:9]
.LBB591_551:
	s_or_b64 exec, exec, s[2:3]
	v_lshrrev_b16_e32 v10, 8, v12
	v_cmp_ne_u16_e32 vcc, 0, v10
	v_mov_b32_e32 v11, 0
	v_mov_b32_e32 v20, 0
	s_and_saveexec_b64 s[2:3], vcc
	s_cbranch_execz .LBB591_557
; %bb.552:
	s_movk_i32 s7, 0x80
	v_cmp_ne_u16_e32 vcc, s7, v10
	v_bfrev_b32_e32 v20, 1
	s_and_saveexec_b64 s[8:9], vcc
	s_cbranch_execz .LBB591_556
; %bb.553:
	s_movk_i32 s7, 0x7f
	v_and_b32_e32 v19, 0x7f, v10
	v_cmp_ne_u32_e32 vcc, s7, v19
	v_mov_b32_e32 v20, 0x7f800001
	s_and_saveexec_b64 s[10:11], vcc
	s_cbranch_execz .LBB591_555
; %bb.554:
	v_and_b32_e32 v23, 7, v10
	v_ffbh_u32_e32 v20, v23
	v_min_u32_e32 v25, 32, v20
	v_subrev_u32_e32 v20, 28, v25
	v_lshlrev_b64 v[20:21], v20, v[10:11]
	v_lshrrev_b32_e32 v24, 3, v19
	v_sub_u32_e32 v10, 29, v25
	v_and_b32_e32 v20, 7, v20
	v_cmp_gt_u32_e32 vcc, 8, v19
	v_cndmask_b32_e32 v10, v24, v10, vcc
	v_cndmask_b32_e32 v19, v23, v20, vcc
	v_lshlrev_b32_e32 v20, 16, v12
	v_bfrev_b32_e32 v21, 60
	v_lshlrev_b32_e32 v19, 20, v19
	v_and_b32_e32 v20, 0x80000000, v20
	v_lshl_add_u32 v10, v10, 23, v21
	v_or3_b32 v20, v20, v10, v19
.LBB591_555:
	s_or_b64 exec, exec, s[10:11]
.LBB591_556:
	s_or_b64 exec, exec, s[8:9]
.LBB591_557:
	s_or_b64 exec, exec, s[2:3]
	s_movk_i32 s2, 0xff
	v_and_b32_sdwa v19, v12, s2 dst_sel:DWORD dst_unused:UNUSED_PAD src0_sel:WORD_1 src1_sel:DWORD
	v_lshrrev_b32_e32 v10, 16, v12
	v_cmp_ne_u16_e32 vcc, 0, v19
	s_and_saveexec_b64 s[2:3], vcc
	s_cbranch_execz .LBB591_563
; %bb.558:
	s_movk_i32 s7, 0x80
	v_cmp_ne_u16_e32 vcc, s7, v19
	v_bfrev_b32_e32 v11, 1
	s_and_saveexec_b64 s[8:9], vcc
	s_cbranch_execz .LBB591_562
; %bb.559:
	v_bfe_u32 v19, v12, 16, 7
	s_movk_i32 s7, 0x7f
	v_cmp_ne_u32_e32 vcc, s7, v19
	v_mov_b32_e32 v11, 0x7f800001
	s_and_saveexec_b64 s[10:11], vcc
	s_cbranch_execz .LBB591_561
; %bb.560:
	v_and_b32_e32 v21, 7, v10
	v_ffbh_u32_e32 v11, v21
	v_min_u32_e32 v24, 32, v11
	v_subrev_u32_e32 v11, 28, v24
	v_lshlrev_b64 v[10:11], v11, v[10:11]
	v_lshrrev_b32_e32 v23, 3, v19
	v_sub_u32_e32 v11, 29, v24
	v_and_b32_e32 v10, 7, v10
	v_cmp_gt_u32_e32 vcc, 8, v19
	v_mov_b32_e32 v19, 24
	v_cndmask_b32_e32 v11, v23, v11, vcc
	v_cndmask_b32_e32 v10, v21, v10, vcc
	v_lshlrev_b32_sdwa v19, v19, v12 dst_sel:DWORD dst_unused:UNUSED_PAD src0_sel:DWORD src1_sel:WORD_1
	v_bfrev_b32_e32 v21, 60
	v_lshlrev_b32_e32 v10, 20, v10
	v_and_b32_e32 v19, 0x80000000, v19
	v_lshl_add_u32 v11, v11, 23, v21
	v_or3_b32 v11, v19, v11, v10
.LBB591_561:
	s_or_b64 exec, exec, s[10:11]
.LBB591_562:
	s_or_b64 exec, exec, s[8:9]
.LBB591_563:
	s_or_b64 exec, exec, s[2:3]
	s_mov_b32 s2, 0xffffff
	v_cmp_lt_u32_e32 vcc, s2, v12
	v_mov_b32_e32 v21, 0
	v_mov_b32_e32 v23, 0
	s_and_saveexec_b64 s[2:3], vcc
	s_cbranch_execz .LBB591_569
; %bb.564:
	v_lshrrev_b32_e32 v10, 24, v12
	s_movk_i32 s7, 0x80
	v_cmp_ne_u32_e32 vcc, s7, v10
	v_bfrev_b32_e32 v23, 1
	s_and_saveexec_b64 s[8:9], vcc
	s_cbranch_execz .LBB591_568
; %bb.565:
	v_bfe_u32 v12, v12, 24, 7
	s_movk_i32 s7, 0x7f
	v_cmp_ne_u32_e32 vcc, s7, v12
	v_mov_b32_e32 v23, 0x7f800001
	s_and_saveexec_b64 s[10:11], vcc
	s_cbranch_execz .LBB591_567
; %bb.566:
	v_and_b32_e32 v19, 7, v10
	v_ffbh_u32_e32 v24, v19
	v_min_u32_e32 v27, 32, v24
	v_subrev_u32_e32 v24, 28, v27
	v_lshlrev_b64 v[24:25], v24, v[10:11]
	v_lshrrev_b32_e32 v23, 3, v12
	v_sub_u32_e32 v25, 29, v27
	v_and_b32_e32 v24, 7, v24
	v_cmp_gt_u32_e32 vcc, 8, v12
	v_cndmask_b32_e32 v12, v23, v25, vcc
	v_cndmask_b32_e32 v19, v19, v24, vcc
	v_lshlrev_b32_e32 v10, 24, v10
	v_bfrev_b32_e32 v23, 60
	v_lshlrev_b32_e32 v19, 20, v19
	v_and_b32_e32 v10, 0x80000000, v10
	v_lshl_add_u32 v12, v12, 23, v23
	v_or3_b32 v23, v10, v12, v19
.LBB591_567:
	s_or_b64 exec, exec, s[10:11]
.LBB591_568:
	s_or_b64 exec, exec, s[8:9]
.LBB591_569:
	s_or_b64 exec, exec, s[2:3]
	v_cmp_ne_u16_sdwa s[8:9], v13, v21 src0_sel:BYTE_0 src1_sel:DWORD
	s_and_saveexec_b64 s[2:3], s[8:9]
	s_cbranch_execz .LBB591_575
; %bb.570:
	s_movk_i32 s7, 0x80
	v_cmp_ne_u16_sdwa s[10:11], v13, s7 src0_sel:BYTE_0 src1_sel:DWORD
	v_bfrev_b32_e32 v21, 1
	s_and_saveexec_b64 s[8:9], s[10:11]
	s_cbranch_execz .LBB591_574
; %bb.571:
	s_movk_i32 s7, 0x7f
	v_and_b32_e32 v10, 0x7f, v13
	v_cmp_ne_u32_e32 vcc, s7, v10
	v_mov_b32_e32 v21, 0x7f800001
	s_and_saveexec_b64 s[10:11], vcc
	s_cbranch_execz .LBB591_573
; %bb.572:
	v_and_b32_e32 v19, 7, v13
	v_ffbh_u32_e32 v24, v19
	v_min_u32_e32 v27, 32, v24
	v_mov_b32_e32 v12, v13
	v_subrev_u32_e32 v24, 28, v27
	v_lshlrev_b64 v[24:25], v24, v[12:13]
	v_lshrrev_b32_e32 v21, 3, v10
	v_sub_u32_e32 v12, 29, v27
	v_and_b32_e32 v24, 7, v24
	v_cmp_gt_u32_e32 vcc, 8, v10
	v_cndmask_b32_e32 v10, v21, v12, vcc
	v_cndmask_b32_e32 v12, v19, v24, vcc
	v_lshlrev_b32_e32 v19, 24, v13
	v_bfrev_b32_e32 v21, 60
	v_lshlrev_b32_e32 v12, 20, v12
	v_and_b32_e32 v19, 0x80000000, v19
	v_lshl_add_u32 v10, v10, 23, v21
	v_or3_b32 v21, v19, v10, v12
.LBB591_573:
	s_or_b64 exec, exec, s[10:11]
.LBB591_574:
	s_or_b64 exec, exec, s[8:9]
.LBB591_575:
	s_or_b64 exec, exec, s[2:3]
	v_lshrrev_b16_e32 v10, 8, v13
	v_cmp_ne_u16_e32 vcc, 0, v10
	v_mov_b32_e32 v12, 0
	v_mov_b32_e32 v24, 0
	s_and_saveexec_b64 s[2:3], vcc
	s_cbranch_execz .LBB591_581
; %bb.576:
	s_movk_i32 s7, 0x80
	v_cmp_ne_u16_e32 vcc, s7, v10
	v_bfrev_b32_e32 v24, 1
	s_and_saveexec_b64 s[8:9], vcc
	s_cbranch_execz .LBB591_580
; %bb.577:
	s_movk_i32 s7, 0x7f
	v_and_b32_e32 v19, 0x7f, v10
	v_cmp_ne_u32_e32 vcc, s7, v19
	v_mov_b32_e32 v24, 0x7f800001
	s_and_saveexec_b64 s[10:11], vcc
	s_cbranch_execz .LBB591_579
; %bb.578:
	v_and_b32_e32 v27, 7, v10
	v_ffbh_u32_e32 v24, v27
	v_min_u32_e32 v29, 32, v24
	v_subrev_u32_e32 v24, 28, v29
	v_lshlrev_b64 v[24:25], v24, v[10:11]
	v_lshrrev_b32_e32 v28, 3, v19
	v_sub_u32_e32 v10, 29, v29
	v_and_b32_e32 v24, 7, v24
	v_cmp_gt_u32_e32 vcc, 8, v19
	v_cndmask_b32_e32 v10, v28, v10, vcc
	v_cndmask_b32_e32 v19, v27, v24, vcc
	v_lshlrev_b32_e32 v24, 16, v13
	v_bfrev_b32_e32 v25, 60
	v_lshlrev_b32_e32 v19, 20, v19
	v_and_b32_e32 v24, 0x80000000, v24
	v_lshl_add_u32 v10, v10, 23, v25
	v_or3_b32 v24, v24, v10, v19
.LBB591_579:
	s_or_b64 exec, exec, s[10:11]
.LBB591_580:
	s_or_b64 exec, exec, s[8:9]
.LBB591_581:
	s_or_b64 exec, exec, s[2:3]
	s_movk_i32 s2, 0xff
	v_and_b32_sdwa v19, v13, s2 dst_sel:DWORD dst_unused:UNUSED_PAD src0_sel:WORD_1 src1_sel:DWORD
	v_lshrrev_b32_e32 v10, 16, v13
	v_cmp_ne_u16_e32 vcc, 0, v19
	s_and_saveexec_b64 s[2:3], vcc
	s_cbranch_execz .LBB591_587
; %bb.582:
	s_movk_i32 s7, 0x80
	v_cmp_ne_u16_e32 vcc, s7, v19
	v_bfrev_b32_e32 v12, 1
	s_and_saveexec_b64 s[8:9], vcc
	s_cbranch_execz .LBB591_586
; %bb.583:
	v_bfe_u32 v19, v13, 16, 7
	s_movk_i32 s7, 0x7f
	v_cmp_ne_u32_e32 vcc, s7, v19
	v_mov_b32_e32 v12, 0x7f800001
	s_and_saveexec_b64 s[10:11], vcc
	s_cbranch_execz .LBB591_585
; %bb.584:
	v_and_b32_e32 v12, 7, v10
	v_ffbh_u32_e32 v27, v12
	v_min_u32_e32 v27, 32, v27
	v_subrev_u32_e32 v28, 28, v27
	v_lshlrev_b64 v[28:29], v28, v[10:11]
	v_lshrrev_b32_e32 v25, 3, v19
	v_sub_u32_e32 v10, 29, v27
	v_and_b32_e32 v27, 7, v28
	v_cmp_gt_u32_e32 vcc, 8, v19
	v_mov_b32_e32 v19, 24
	v_cndmask_b32_e32 v10, v25, v10, vcc
	v_cndmask_b32_e32 v12, v12, v27, vcc
	v_lshlrev_b32_sdwa v19, v19, v13 dst_sel:DWORD dst_unused:UNUSED_PAD src0_sel:DWORD src1_sel:WORD_1
	v_bfrev_b32_e32 v25, 60
	v_lshlrev_b32_e32 v12, 20, v12
	v_and_b32_e32 v19, 0x80000000, v19
	v_lshl_add_u32 v10, v10, 23, v25
	v_or3_b32 v12, v19, v10, v12
.LBB591_585:
	s_or_b64 exec, exec, s[10:11]
.LBB591_586:
	s_or_b64 exec, exec, s[8:9]
.LBB591_587:
	s_or_b64 exec, exec, s[2:3]
	s_mov_b32 s2, 0xffffff
	v_cmp_lt_u32_e32 vcc, s2, v13
	v_mov_b32_e32 v19, 0
	v_mov_b32_e32 v25, 0
	s_and_saveexec_b64 s[2:3], vcc
	s_cbranch_execz .LBB591_593
; %bb.588:
	v_lshrrev_b32_e32 v10, 24, v13
	s_movk_i32 s7, 0x80
	v_cmp_ne_u32_e32 vcc, s7, v10
	v_bfrev_b32_e32 v25, 1
	s_and_saveexec_b64 s[8:9], vcc
	s_cbranch_execz .LBB591_592
; %bb.589:
	v_bfe_u32 v13, v13, 24, 7
	s_movk_i32 s7, 0x7f
	v_cmp_ne_u32_e32 vcc, s7, v13
	v_mov_b32_e32 v25, 0x7f800001
	s_and_saveexec_b64 s[10:11], vcc
	s_cbranch_execz .LBB591_591
; %bb.590:
	v_and_b32_e32 v25, 7, v10
	v_ffbh_u32_e32 v28, v25
	v_min_u32_e32 v30, 32, v28
	v_subrev_u32_e32 v28, 28, v30
	v_lshlrev_b64 v[28:29], v28, v[10:11]
	v_lshrrev_b32_e32 v27, 3, v13
	v_sub_u32_e32 v29, 29, v30
	v_and_b32_e32 v28, 7, v28
	v_cmp_gt_u32_e32 vcc, 8, v13
	v_cndmask_b32_e32 v13, v27, v29, vcc
	v_cndmask_b32_e32 v25, v25, v28, vcc
	v_lshlrev_b32_e32 v10, 24, v10
	v_bfrev_b32_e32 v27, 60
	v_lshlrev_b32_e32 v25, 20, v25
	v_and_b32_e32 v10, 0x80000000, v10
	v_lshl_add_u32 v13, v13, 23, v27
	v_or3_b32 v25, v10, v13, v25
.LBB591_591:
	s_or_b64 exec, exec, s[10:11]
.LBB591_592:
	s_or_b64 exec, exec, s[8:9]
.LBB591_593:
	s_or_b64 exec, exec, s[2:3]
	v_cvt_pkrtz_f16_f32 v10, v18, v20
	v_cvt_pkrtz_f16_f32 v11, v11, v23
	ds_read_b128 v[28:31], v22 offset:2064
	s_waitcnt vmcnt(1)
	v_cmp_ne_u16_sdwa s[8:9], v6, v19 src0_sel:BYTE_0 src1_sel:DWORD
	s_waitcnt lgkmcnt(0)
	v_mfma_f32_16x16x16f16 v[14:17], v[10:11], v[28:29], v[14:17]
	v_cvt_pkrtz_f16_f32 v10, v21, v24
	v_cvt_pkrtz_f16_f32 v11, v12, v25
	s_nop 1
	v_mfma_f32_16x16x16f16 v[10:13], v[10:11], v[30:31], v[14:17]
	s_and_saveexec_b64 s[2:3], s[8:9]
	s_cbranch_execz .LBB591_599
; %bb.594:
	s_movk_i32 s7, 0x80
	v_cmp_ne_u16_sdwa s[10:11], v6, s7 src0_sel:BYTE_0 src1_sel:DWORD
	v_bfrev_b32_e32 v19, 1
	s_and_saveexec_b64 s[8:9], s[10:11]
	s_cbranch_execz .LBB591_598
; %bb.595:
	s_movk_i32 s7, 0x7f
	v_and_b32_e32 v14, 0x7f, v6
	v_cmp_ne_u32_e32 vcc, s7, v14
	v_mov_b32_e32 v19, 0x7f800001
	s_and_saveexec_b64 s[10:11], vcc
	s_cbranch_execz .LBB591_597
; %bb.596:
	v_and_b32_e32 v15, 7, v6
	v_ffbh_u32_e32 v16, v15
	v_min_u32_e32 v19, 32, v16
	v_subrev_u32_e32 v16, 28, v19
	v_lshlrev_b64 v[16:17], v16, v[6:7]
	v_lshrrev_b32_e32 v18, 3, v14
	v_sub_u32_e32 v17, 29, v19
	v_and_b32_e32 v16, 7, v16
	v_cmp_gt_u32_e32 vcc, 8, v14
	v_cndmask_b32_e32 v14, v18, v17, vcc
	v_cndmask_b32_e32 v15, v15, v16, vcc
	v_lshlrev_b32_e32 v16, 24, v6
	v_bfrev_b32_e32 v17, 60
	v_lshlrev_b32_e32 v15, 20, v15
	v_and_b32_e32 v16, 0x80000000, v16
	v_lshl_add_u32 v14, v14, 23, v17
	v_or3_b32 v19, v16, v14, v15
.LBB591_597:
	s_or_b64 exec, exec, s[10:11]
.LBB591_598:
	s_or_b64 exec, exec, s[8:9]
.LBB591_599:
	s_or_b64 exec, exec, s[2:3]
	s_nop 3
	v_lshrrev_b16_e32 v14, 8, v6
	v_cmp_ne_u16_e32 vcc, 0, v14
	v_mov_b32_e32 v15, 0
	v_mov_b32_e32 v16, 0
	s_and_saveexec_b64 s[2:3], vcc
	s_cbranch_execz .LBB591_605
; %bb.600:
	s_movk_i32 s7, 0x80
	v_cmp_ne_u16_e32 vcc, s7, v14
	v_bfrev_b32_e32 v16, 1
	s_and_saveexec_b64 s[8:9], vcc
	s_cbranch_execz .LBB591_604
; %bb.601:
	s_movk_i32 s7, 0x7f
	v_and_b32_e32 v17, 0x7f, v14
	v_cmp_ne_u32_e32 vcc, s7, v17
	v_mov_b32_e32 v16, 0x7f800001
	s_and_saveexec_b64 s[10:11], vcc
	s_cbranch_execz .LBB591_603
; %bb.602:
	v_and_b32_e32 v16, 7, v14
	v_ffbh_u32_e32 v20, v16
	v_min_u32_e32 v23, 32, v20
	v_subrev_u32_e32 v20, 28, v23
	v_lshlrev_b64 v[20:21], v20, v[14:15]
	v_lshrrev_b32_e32 v18, 3, v17
	v_sub_u32_e32 v14, 29, v23
	v_and_b32_e32 v20, 7, v20
	v_cmp_gt_u32_e32 vcc, 8, v17
	v_cndmask_b32_e32 v14, v18, v14, vcc
	v_cndmask_b32_e32 v16, v16, v20, vcc
	v_lshlrev_b32_e32 v17, 16, v6
	v_bfrev_b32_e32 v18, 60
	v_lshlrev_b32_e32 v16, 20, v16
	v_and_b32_e32 v17, 0x80000000, v17
	v_lshl_add_u32 v14, v14, 23, v18
	v_or3_b32 v16, v17, v14, v16
.LBB591_603:
	s_or_b64 exec, exec, s[10:11]
.LBB591_604:
	s_or_b64 exec, exec, s[8:9]
.LBB591_605:
	s_or_b64 exec, exec, s[2:3]
	s_movk_i32 s2, 0xff
	v_and_b32_sdwa v17, v6, s2 dst_sel:DWORD dst_unused:UNUSED_PAD src0_sel:WORD_1 src1_sel:DWORD
	v_lshrrev_b32_e32 v14, 16, v6
	v_cmp_ne_u16_e32 vcc, 0, v17
	s_and_saveexec_b64 s[2:3], vcc
	s_cbranch_execz .LBB591_611
; %bb.606:
	s_movk_i32 s7, 0x80
	v_cmp_ne_u16_e32 vcc, s7, v17
	v_bfrev_b32_e32 v15, 1
	s_and_saveexec_b64 s[8:9], vcc
	s_cbranch_execz .LBB591_610
; %bb.607:
	v_bfe_u32 v17, v6, 16, 7
	s_movk_i32 s7, 0x7f
	v_cmp_ne_u32_e32 vcc, s7, v17
	v_mov_b32_e32 v15, 0x7f800001
	s_and_saveexec_b64 s[10:11], vcc
	s_cbranch_execz .LBB591_609
; %bb.608:
	v_and_b32_e32 v18, 7, v14
	v_ffbh_u32_e32 v15, v18
	v_min_u32_e32 v21, 32, v15
	v_subrev_u32_e32 v15, 28, v21
	v_lshlrev_b64 v[14:15], v15, v[14:15]
	v_lshrrev_b32_e32 v20, 3, v17
	v_sub_u32_e32 v15, 29, v21
	v_and_b32_e32 v14, 7, v14
	v_cmp_gt_u32_e32 vcc, 8, v17
	v_mov_b32_e32 v17, 24
	v_cndmask_b32_e32 v15, v20, v15, vcc
	v_cndmask_b32_e32 v14, v18, v14, vcc
	v_lshlrev_b32_sdwa v17, v17, v6 dst_sel:DWORD dst_unused:UNUSED_PAD src0_sel:DWORD src1_sel:WORD_1
	v_bfrev_b32_e32 v18, 60
	v_lshlrev_b32_e32 v14, 20, v14
	v_and_b32_e32 v17, 0x80000000, v17
	v_lshl_add_u32 v15, v15, 23, v18
	v_or3_b32 v15, v17, v15, v14
.LBB591_609:
	s_or_b64 exec, exec, s[10:11]
.LBB591_610:
	s_or_b64 exec, exec, s[8:9]
.LBB591_611:
	s_or_b64 exec, exec, s[2:3]
	s_mov_b32 s2, 0xffffff
	v_cmp_lt_u32_e32 vcc, s2, v6
	v_mov_b32_e32 v17, 0
	v_mov_b32_e32 v18, 0
	s_and_saveexec_b64 s[2:3], vcc
	s_cbranch_execz .LBB591_617
; %bb.612:
	v_lshrrev_b32_e32 v14, 24, v6
	s_movk_i32 s7, 0x80
	v_cmp_ne_u32_e32 vcc, s7, v14
	v_bfrev_b32_e32 v18, 1
	s_and_saveexec_b64 s[8:9], vcc
	s_cbranch_execz .LBB591_616
; %bb.613:
	v_bfe_u32 v6, v6, 24, 7
	s_movk_i32 s7, 0x7f
	v_cmp_ne_u32_e32 vcc, s7, v6
	v_mov_b32_e32 v18, 0x7f800001
	s_and_saveexec_b64 s[10:11], vcc
	s_cbranch_execz .LBB591_615
; %bb.614:
	v_and_b32_e32 v18, 7, v14
	v_ffbh_u32_e32 v20, v18
	v_min_u32_e32 v24, 32, v20
	v_subrev_u32_e32 v20, 28, v24
	v_lshlrev_b64 v[20:21], v20, v[14:15]
	v_lshrrev_b32_e32 v23, 3, v6
	v_sub_u32_e32 v21, 29, v24
	v_and_b32_e32 v20, 7, v20
	v_cmp_gt_u32_e32 vcc, 8, v6
	v_cndmask_b32_e32 v6, v23, v21, vcc
	v_cndmask_b32_e32 v18, v18, v20, vcc
	v_lshlrev_b32_e32 v14, 24, v14
	v_bfrev_b32_e32 v20, 60
	v_lshlrev_b32_e32 v18, 20, v18
	v_and_b32_e32 v14, 0x80000000, v14
	v_lshl_add_u32 v6, v6, 23, v20
	v_or3_b32 v18, v14, v6, v18
.LBB591_615:
	s_or_b64 exec, exec, s[10:11]
.LBB591_616:
	s_or_b64 exec, exec, s[8:9]
.LBB591_617:
	s_or_b64 exec, exec, s[2:3]
	v_cmp_ne_u16_sdwa s[8:9], v7, v17 src0_sel:BYTE_0 src1_sel:DWORD
	s_and_saveexec_b64 s[2:3], s[8:9]
	s_cbranch_execz .LBB591_623
; %bb.618:
	s_movk_i32 s7, 0x80
	v_cmp_ne_u16_sdwa s[10:11], v7, s7 src0_sel:BYTE_0 src1_sel:DWORD
	v_bfrev_b32_e32 v17, 1
	s_and_saveexec_b64 s[8:9], s[10:11]
	s_cbranch_execz .LBB591_622
; %bb.619:
	s_movk_i32 s7, 0x7f
	v_and_b32_e32 v6, 0x7f, v7
	v_cmp_ne_u32_e32 vcc, s7, v6
	v_mov_b32_e32 v17, 0x7f800001
	s_and_saveexec_b64 s[10:11], vcc
	s_cbranch_execz .LBB591_621
; %bb.620:
	v_and_b32_e32 v17, 7, v7
	v_ffbh_u32_e32 v20, v17
	v_min_u32_e32 v24, 32, v20
	v_mov_b32_e32 v14, v7
	v_subrev_u32_e32 v20, 28, v24
	v_lshlrev_b64 v[20:21], v20, v[14:15]
	v_lshrrev_b32_e32 v23, 3, v6
	v_sub_u32_e32 v14, 29, v24
	v_and_b32_e32 v20, 7, v20
	v_cmp_gt_u32_e32 vcc, 8, v6
	v_cndmask_b32_e32 v6, v23, v14, vcc
	v_cndmask_b32_e32 v14, v17, v20, vcc
	v_lshlrev_b32_e32 v17, 24, v7
	v_bfrev_b32_e32 v20, 60
	v_lshlrev_b32_e32 v14, 20, v14
	v_and_b32_e32 v17, 0x80000000, v17
	v_lshl_add_u32 v6, v6, 23, v20
	v_or3_b32 v17, v17, v6, v14
.LBB591_621:
	s_or_b64 exec, exec, s[10:11]
.LBB591_622:
	s_or_b64 exec, exec, s[8:9]
.LBB591_623:
	s_or_b64 exec, exec, s[2:3]
	v_lshrrev_b16_e32 v6, 8, v7
	v_cmp_ne_u16_e32 vcc, 0, v6
	v_mov_b32_e32 v20, 0
	v_mov_b32_e32 v21, 0
	s_and_saveexec_b64 s[2:3], vcc
	s_cbranch_execz .LBB591_629
; %bb.624:
	s_movk_i32 s7, 0x80
	v_cmp_ne_u16_e32 vcc, s7, v6
	v_bfrev_b32_e32 v21, 1
	s_and_saveexec_b64 s[8:9], vcc
	s_cbranch_execz .LBB591_628
; %bb.625:
	s_movk_i32 s7, 0x7f
	v_and_b32_e32 v14, 0x7f, v6
	v_cmp_ne_u32_e32 vcc, s7, v14
	v_mov_b32_e32 v21, 0x7f800001
	s_and_saveexec_b64 s[10:11], vcc
	s_cbranch_execz .LBB591_627
; %bb.626:
	v_and_b32_e32 v21, 7, v6
	v_ffbh_u32_e32 v24, v21
	v_min_u32_e32 v27, 32, v24
	v_subrev_u32_e32 v24, 28, v27
	v_lshlrev_b64 v[24:25], v24, v[6:7]
	v_lshrrev_b32_e32 v23, 3, v14
	v_sub_u32_e32 v6, 29, v27
	v_and_b32_e32 v24, 7, v24
	v_cmp_gt_u32_e32 vcc, 8, v14
	v_cndmask_b32_e32 v6, v23, v6, vcc
	v_cndmask_b32_e32 v14, v21, v24, vcc
	v_lshlrev_b32_e32 v21, 16, v7
	v_bfrev_b32_e32 v23, 60
	v_lshlrev_b32_e32 v14, 20, v14
	v_and_b32_e32 v21, 0x80000000, v21
	v_lshl_add_u32 v6, v6, 23, v23
	v_or3_b32 v21, v21, v6, v14
.LBB591_627:
	s_or_b64 exec, exec, s[10:11]
.LBB591_628:
	s_or_b64 exec, exec, s[8:9]
.LBB591_629:
	s_or_b64 exec, exec, s[2:3]
	s_movk_i32 s2, 0xff
	v_and_b32_sdwa v14, v7, s2 dst_sel:DWORD dst_unused:UNUSED_PAD src0_sel:WORD_1 src1_sel:DWORD
	v_lshrrev_b32_e32 v6, 16, v7
	v_cmp_ne_u16_e32 vcc, 0, v14
	s_and_saveexec_b64 s[2:3], vcc
	s_cbranch_execz .LBB591_635
; %bb.630:
	s_movk_i32 s7, 0x80
	v_cmp_ne_u16_e32 vcc, s7, v14
	v_bfrev_b32_e32 v20, 1
	s_and_saveexec_b64 s[8:9], vcc
	s_cbranch_execz .LBB591_634
; %bb.631:
	v_bfe_u32 v14, v7, 16, 7
	s_movk_i32 s7, 0x7f
	v_cmp_ne_u32_e32 vcc, s7, v14
	v_mov_b32_e32 v20, 0x7f800001
	s_and_saveexec_b64 s[10:11], vcc
	s_cbranch_execz .LBB591_633
; %bb.632:
	v_and_b32_e32 v20, 7, v6
	v_ffbh_u32_e32 v24, v20
	v_min_u32_e32 v27, 32, v24
	v_subrev_u32_e32 v24, 28, v27
	v_lshlrev_b64 v[24:25], v24, v[6:7]
	v_and_b32_e32 v24, 7, v24
	v_cmp_gt_u32_e32 vcc, 8, v14
	v_lshrrev_b32_e32 v23, 3, v14
	v_sub_u32_e32 v6, 29, v27
	v_cndmask_b32_e32 v14, v20, v24, vcc
	v_mov_b32_e32 v20, 24
	v_cndmask_b32_e32 v6, v23, v6, vcc
	v_lshlrev_b32_sdwa v20, v20, v7 dst_sel:DWORD dst_unused:UNUSED_PAD src0_sel:DWORD src1_sel:WORD_1
	v_bfrev_b32_e32 v23, 60
	v_lshlrev_b32_e32 v14, 20, v14
	v_and_b32_e32 v20, 0x80000000, v20
	v_lshl_add_u32 v6, v6, 23, v23
	v_or3_b32 v20, v20, v6, v14
.LBB591_633:
	s_or_b64 exec, exec, s[10:11]
.LBB591_634:
	s_or_b64 exec, exec, s[8:9]
.LBB591_635:
	s_or_b64 exec, exec, s[2:3]
	s_mov_b32 s2, 0xffffff
	v_cmp_lt_u32_e32 vcc, s2, v7
	v_mov_b32_e32 v14, 0
	v_mov_b32_e32 v23, 0
	s_and_saveexec_b64 s[2:3], vcc
	s_cbranch_execz .LBB591_641
; %bb.636:
	v_lshrrev_b32_e32 v6, 24, v7
	s_movk_i32 s7, 0x80
	v_cmp_ne_u32_e32 vcc, s7, v6
	v_bfrev_b32_e32 v23, 1
	s_and_saveexec_b64 s[8:9], vcc
	s_cbranch_execz .LBB591_640
; %bb.637:
	v_bfe_u32 v7, v7, 24, 7
	s_movk_i32 s7, 0x7f
	v_cmp_ne_u32_e32 vcc, s7, v7
	v_mov_b32_e32 v23, 0x7f800001
	s_and_saveexec_b64 s[10:11], vcc
	s_cbranch_execz .LBB591_639
; %bb.638:
	v_and_b32_e32 v23, 7, v6
	v_ffbh_u32_e32 v24, v23
	v_min_u32_e32 v28, 32, v24
	v_subrev_u32_e32 v24, 28, v28
	v_lshlrev_b64 v[24:25], v24, v[6:7]
	v_lshrrev_b32_e32 v27, 3, v7
	v_sub_u32_e32 v25, 29, v28
	v_and_b32_e32 v24, 7, v24
	v_cmp_gt_u32_e32 vcc, 8, v7
	v_cndmask_b32_e32 v7, v27, v25, vcc
	v_cndmask_b32_e32 v23, v23, v24, vcc
	v_lshlrev_b32_e32 v6, 24, v6
	v_bfrev_b32_e32 v24, 60
	v_lshlrev_b32_e32 v23, 20, v23
	v_and_b32_e32 v6, 0x80000000, v6
	v_lshl_add_u32 v7, v7, 23, v24
	v_or3_b32 v23, v6, v7, v23
.LBB591_639:
	s_or_b64 exec, exec, s[10:11]
.LBB591_640:
	s_or_b64 exec, exec, s[8:9]
.LBB591_641:
	s_or_b64 exec, exec, s[2:3]
	v_cvt_pkrtz_f16_f32 v6, v19, v16
	v_cvt_pkrtz_f16_f32 v7, v15, v18
	ds_read_b128 v[28:31], v22 offset:4096
	v_cmp_ne_u16_sdwa s[8:9], v8, v14 src0_sel:BYTE_0 src1_sel:DWORD
	s_waitcnt lgkmcnt(0)
	v_mfma_f32_16x16x16f16 v[10:13], v[6:7], v[28:29], v[10:13]
	v_cvt_pkrtz_f16_f32 v6, v17, v21
	v_cvt_pkrtz_f16_f32 v7, v20, v23
	s_nop 1
	v_mfma_f32_16x16x16f16 v[10:13], v[6:7], v[30:31], v[10:13]
	s_and_saveexec_b64 s[2:3], s[8:9]
	s_cbranch_execz .LBB591_647
; %bb.642:
	s_movk_i32 s7, 0x80
	v_cmp_ne_u16_sdwa s[10:11], v8, s7 src0_sel:BYTE_0 src1_sel:DWORD
	v_bfrev_b32_e32 v14, 1
	s_and_saveexec_b64 s[8:9], s[10:11]
	s_cbranch_execz .LBB591_646
; %bb.643:
	s_movk_i32 s7, 0x7f
	v_and_b32_e32 v6, 0x7f, v8
	v_cmp_ne_u32_e32 vcc, s7, v6
	v_mov_b32_e32 v14, 0x7f800001
	s_and_saveexec_b64 s[10:11], vcc
	s_cbranch_execz .LBB591_645
; %bb.644:
	v_and_b32_e32 v7, 7, v8
	v_ffbh_u32_e32 v14, v7
	v_min_u32_e32 v17, 32, v14
	v_subrev_u32_e32 v14, 28, v17
	v_lshlrev_b64 v[14:15], v14, v[8:9]
	v_lshrrev_b32_e32 v16, 3, v6
	v_sub_u32_e32 v15, 29, v17
	v_and_b32_e32 v14, 7, v14
	v_cmp_gt_u32_e32 vcc, 8, v6
	v_cndmask_b32_e32 v6, v16, v15, vcc
	v_cndmask_b32_e32 v7, v7, v14, vcc
	v_lshlrev_b32_e32 v14, 24, v8
	v_bfrev_b32_e32 v15, 60
	v_lshlrev_b32_e32 v7, 20, v7
	v_and_b32_e32 v14, 0x80000000, v14
	v_lshl_add_u32 v6, v6, 23, v15
	v_or3_b32 v14, v14, v6, v7
.LBB591_645:
	s_or_b64 exec, exec, s[10:11]
.LBB591_646:
	s_or_b64 exec, exec, s[8:9]
.LBB591_647:
	s_or_b64 exec, exec, s[2:3]
	v_lshrrev_b16_e32 v6, 8, v8
	v_cmp_ne_u16_e32 vcc, 0, v6
	v_mov_b32_e32 v7, 0
	v_mov_b32_e32 v16, 0
	s_and_saveexec_b64 s[2:3], vcc
	s_cbranch_execz .LBB591_653
; %bb.648:
	s_movk_i32 s7, 0x80
	v_cmp_ne_u16_e32 vcc, s7, v6
	v_bfrev_b32_e32 v16, 1
	s_and_saveexec_b64 s[8:9], vcc
	s_cbranch_execz .LBB591_652
; %bb.649:
	s_movk_i32 s7, 0x7f
	v_and_b32_e32 v15, 0x7f, v6
	v_cmp_ne_u32_e32 vcc, s7, v15
	v_mov_b32_e32 v16, 0x7f800001
	s_and_saveexec_b64 s[10:11], vcc
	s_cbranch_execz .LBB591_651
; %bb.650:
	v_and_b32_e32 v18, 7, v6
	v_ffbh_u32_e32 v16, v18
	v_min_u32_e32 v20, 32, v16
	v_subrev_u32_e32 v16, 28, v20
	v_lshlrev_b64 v[16:17], v16, v[6:7]
	v_lshrrev_b32_e32 v19, 3, v15
	v_sub_u32_e32 v6, 29, v20
	v_and_b32_e32 v16, 7, v16
	v_cmp_gt_u32_e32 vcc, 8, v15
	v_cndmask_b32_e32 v6, v19, v6, vcc
	v_cndmask_b32_e32 v15, v18, v16, vcc
	v_lshlrev_b32_e32 v16, 16, v8
	v_bfrev_b32_e32 v17, 60
	v_lshlrev_b32_e32 v15, 20, v15
	v_and_b32_e32 v16, 0x80000000, v16
	v_lshl_add_u32 v6, v6, 23, v17
	v_or3_b32 v16, v16, v6, v15
.LBB591_651:
	s_or_b64 exec, exec, s[10:11]
.LBB591_652:
	s_or_b64 exec, exec, s[8:9]
.LBB591_653:
	s_or_b64 exec, exec, s[2:3]
	s_movk_i32 s2, 0xff
	v_and_b32_sdwa v15, v8, s2 dst_sel:DWORD dst_unused:UNUSED_PAD src0_sel:WORD_1 src1_sel:DWORD
	v_lshrrev_b32_e32 v6, 16, v8
	v_cmp_ne_u16_e32 vcc, 0, v15
	s_and_saveexec_b64 s[2:3], vcc
	s_cbranch_execz .LBB591_659
; %bb.654:
	s_movk_i32 s7, 0x80
	v_cmp_ne_u16_e32 vcc, s7, v15
	v_bfrev_b32_e32 v7, 1
	s_and_saveexec_b64 s[8:9], vcc
	s_cbranch_execz .LBB591_658
; %bb.655:
	v_bfe_u32 v15, v8, 16, 7
	s_movk_i32 s7, 0x7f
	v_cmp_ne_u32_e32 vcc, s7, v15
	v_mov_b32_e32 v7, 0x7f800001
	s_and_saveexec_b64 s[10:11], vcc
	s_cbranch_execz .LBB591_657
; %bb.656:
	v_and_b32_e32 v17, 7, v6
	v_ffbh_u32_e32 v7, v17
	v_min_u32_e32 v19, 32, v7
	v_subrev_u32_e32 v7, 28, v19
	v_lshlrev_b64 v[6:7], v7, v[6:7]
	v_lshrrev_b32_e32 v18, 3, v15
	v_sub_u32_e32 v7, 29, v19
	v_and_b32_e32 v6, 7, v6
	v_cmp_gt_u32_e32 vcc, 8, v15
	v_mov_b32_e32 v15, 24
	v_cndmask_b32_e32 v7, v18, v7, vcc
	v_cndmask_b32_e32 v6, v17, v6, vcc
	v_lshlrev_b32_sdwa v15, v15, v8 dst_sel:DWORD dst_unused:UNUSED_PAD src0_sel:DWORD src1_sel:WORD_1
	v_bfrev_b32_e32 v17, 60
	v_lshlrev_b32_e32 v6, 20, v6
	v_and_b32_e32 v15, 0x80000000, v15
	v_lshl_add_u32 v7, v7, 23, v17
	v_or3_b32 v7, v15, v7, v6
.LBB591_657:
	s_or_b64 exec, exec, s[10:11]
.LBB591_658:
	s_or_b64 exec, exec, s[8:9]
.LBB591_659:
	s_or_b64 exec, exec, s[2:3]
	s_mov_b32 s2, 0xffffff
	v_cmp_lt_u32_e32 vcc, s2, v8
	v_mov_b32_e32 v17, 0
	v_mov_b32_e32 v18, 0
	s_and_saveexec_b64 s[2:3], vcc
	s_cbranch_execz .LBB591_665
; %bb.660:
	v_lshrrev_b32_e32 v6, 24, v8
	s_movk_i32 s7, 0x80
	v_cmp_ne_u32_e32 vcc, s7, v6
	v_bfrev_b32_e32 v18, 1
	s_and_saveexec_b64 s[8:9], vcc
	s_cbranch_execz .LBB591_664
; %bb.661:
	v_bfe_u32 v8, v8, 24, 7
	s_movk_i32 s7, 0x7f
	v_cmp_ne_u32_e32 vcc, s7, v8
	v_mov_b32_e32 v18, 0x7f800001
	s_and_saveexec_b64 s[10:11], vcc
	s_cbranch_execz .LBB591_663
; %bb.662:
	v_and_b32_e32 v15, 7, v6
	v_ffbh_u32_e32 v18, v15
	v_min_u32_e32 v21, 32, v18
	v_subrev_u32_e32 v18, 28, v21
	v_lshlrev_b64 v[18:19], v18, v[6:7]
	v_lshrrev_b32_e32 v20, 3, v8
	v_sub_u32_e32 v19, 29, v21
	v_and_b32_e32 v18, 7, v18
	v_cmp_gt_u32_e32 vcc, 8, v8
	v_cndmask_b32_e32 v8, v20, v19, vcc
	v_cndmask_b32_e32 v15, v15, v18, vcc
	v_lshlrev_b32_e32 v6, 24, v6
	v_bfrev_b32_e32 v18, 60
	v_lshlrev_b32_e32 v15, 20, v15
	v_and_b32_e32 v6, 0x80000000, v6
	v_lshl_add_u32 v8, v8, 23, v18
	v_or3_b32 v18, v6, v8, v15
.LBB591_663:
	s_or_b64 exec, exec, s[10:11]
.LBB591_664:
	s_or_b64 exec, exec, s[8:9]
.LBB591_665:
	s_or_b64 exec, exec, s[2:3]
	v_cmp_ne_u16_sdwa s[8:9], v9, v17 src0_sel:BYTE_0 src1_sel:DWORD
	s_and_saveexec_b64 s[2:3], s[8:9]
	s_cbranch_execz .LBB591_671
; %bb.666:
	s_movk_i32 s7, 0x80
	v_cmp_ne_u16_sdwa s[10:11], v9, s7 src0_sel:BYTE_0 src1_sel:DWORD
	v_bfrev_b32_e32 v17, 1
	s_and_saveexec_b64 s[8:9], s[10:11]
	s_cbranch_execz .LBB591_670
; %bb.667:
	s_movk_i32 s7, 0x7f
	v_and_b32_e32 v6, 0x7f, v9
	v_cmp_ne_u32_e32 vcc, s7, v6
	v_mov_b32_e32 v17, 0x7f800001
	s_and_saveexec_b64 s[10:11], vcc
	s_cbranch_execz .LBB591_669
; %bb.668:
	v_and_b32_e32 v15, 7, v9
	v_ffbh_u32_e32 v19, v15
	v_min_u32_e32 v19, 32, v19
	v_mov_b32_e32 v8, v9
	v_subrev_u32_e32 v20, 28, v19
	v_lshlrev_b64 v[20:21], v20, v[8:9]
	v_lshrrev_b32_e32 v17, 3, v6
	v_sub_u32_e32 v8, 29, v19
	v_and_b32_e32 v19, 7, v20
	v_cmp_gt_u32_e32 vcc, 8, v6
	v_cndmask_b32_e32 v6, v17, v8, vcc
	v_cndmask_b32_e32 v8, v15, v19, vcc
	v_lshlrev_b32_e32 v15, 24, v9
	v_bfrev_b32_e32 v17, 60
	v_lshlrev_b32_e32 v8, 20, v8
	v_and_b32_e32 v15, 0x80000000, v15
	v_lshl_add_u32 v6, v6, 23, v17
	v_or3_b32 v17, v15, v6, v8
.LBB591_669:
	s_or_b64 exec, exec, s[10:11]
.LBB591_670:
	s_or_b64 exec, exec, s[8:9]
.LBB591_671:
	s_or_b64 exec, exec, s[2:3]
	v_lshrrev_b16_e32 v6, 8, v9
	v_cmp_ne_u16_e32 vcc, 0, v6
	v_mov_b32_e32 v8, 0
	v_mov_b32_e32 v19, 0
	s_and_saveexec_b64 s[2:3], vcc
	s_cbranch_execz .LBB591_677
; %bb.672:
	s_movk_i32 s7, 0x80
	v_cmp_ne_u16_e32 vcc, s7, v6
	v_bfrev_b32_e32 v19, 1
	s_and_saveexec_b64 s[8:9], vcc
	s_cbranch_execz .LBB591_676
; %bb.673:
	s_movk_i32 s7, 0x7f
	v_and_b32_e32 v15, 0x7f, v6
	v_cmp_ne_u32_e32 vcc, s7, v15
	v_mov_b32_e32 v19, 0x7f800001
	s_and_saveexec_b64 s[10:11], vcc
	s_cbranch_execz .LBB591_675
; %bb.674:
	v_and_b32_e32 v19, 7, v6
	v_ffbh_u32_e32 v20, v19
	v_min_u32_e32 v24, 32, v20
	v_subrev_u32_e32 v20, 28, v24
	v_lshlrev_b64 v[20:21], v20, v[6:7]
	v_lshrrev_b32_e32 v23, 3, v15
	v_sub_u32_e32 v6, 29, v24
	v_and_b32_e32 v20, 7, v20
	v_cmp_gt_u32_e32 vcc, 8, v15
	v_cndmask_b32_e32 v6, v23, v6, vcc
	v_cndmask_b32_e32 v15, v19, v20, vcc
	v_lshlrev_b32_e32 v19, 16, v9
	v_bfrev_b32_e32 v20, 60
	v_lshlrev_b32_e32 v15, 20, v15
	v_and_b32_e32 v19, 0x80000000, v19
	v_lshl_add_u32 v6, v6, 23, v20
	v_or3_b32 v19, v19, v6, v15
.LBB591_675:
	s_or_b64 exec, exec, s[10:11]
.LBB591_676:
	s_or_b64 exec, exec, s[8:9]
.LBB591_677:
	s_or_b64 exec, exec, s[2:3]
	s_movk_i32 s2, 0xff
	v_and_b32_sdwa v15, v9, s2 dst_sel:DWORD dst_unused:UNUSED_PAD src0_sel:WORD_1 src1_sel:DWORD
	v_lshrrev_b32_e32 v6, 16, v9
	v_cmp_ne_u16_e32 vcc, 0, v15
	s_and_saveexec_b64 s[2:3], vcc
	s_cbranch_execz .LBB591_683
; %bb.678:
	s_movk_i32 s7, 0x80
	v_cmp_ne_u16_e32 vcc, s7, v15
	v_bfrev_b32_e32 v8, 1
	s_and_saveexec_b64 s[8:9], vcc
	s_cbranch_execz .LBB591_682
; %bb.679:
	v_bfe_u32 v15, v9, 16, 7
	s_movk_i32 s7, 0x7f
	v_cmp_ne_u32_e32 vcc, s7, v15
	v_mov_b32_e32 v8, 0x7f800001
	s_and_saveexec_b64 s[10:11], vcc
	s_cbranch_execz .LBB591_681
; %bb.680:
	v_and_b32_e32 v8, 7, v6
	v_ffbh_u32_e32 v20, v8
	v_min_u32_e32 v24, 32, v20
	v_subrev_u32_e32 v20, 28, v24
	v_lshlrev_b64 v[20:21], v20, v[6:7]
	v_lshrrev_b32_e32 v23, 3, v15
	v_sub_u32_e32 v6, 29, v24
	v_and_b32_e32 v20, 7, v20
	v_cmp_gt_u32_e32 vcc, 8, v15
	v_mov_b32_e32 v15, 24
	v_cndmask_b32_e32 v6, v23, v6, vcc
	v_cndmask_b32_e32 v8, v8, v20, vcc
	v_lshlrev_b32_sdwa v15, v15, v9 dst_sel:DWORD dst_unused:UNUSED_PAD src0_sel:DWORD src1_sel:WORD_1
	v_bfrev_b32_e32 v20, 60
	v_lshlrev_b32_e32 v8, 20, v8
	v_and_b32_e32 v15, 0x80000000, v15
	v_lshl_add_u32 v6, v6, 23, v20
	v_or3_b32 v8, v15, v6, v8
.LBB591_681:
	s_or_b64 exec, exec, s[10:11]
.LBB591_682:
	s_or_b64 exec, exec, s[8:9]
.LBB591_683:
	s_or_b64 exec, exec, s[2:3]
	s_mov_b32 s2, 0xffffff
	v_cmp_lt_u32_e32 vcc, s2, v9
	v_mov_b32_e32 v15, 0
	v_mov_b32_e32 v20, 0
	s_and_saveexec_b64 s[2:3], vcc
	s_cbranch_execz .LBB591_689
; %bb.684:
	v_lshrrev_b32_e32 v6, 24, v9
	s_movk_i32 s7, 0x80
	v_cmp_ne_u32_e32 vcc, s7, v6
	v_bfrev_b32_e32 v20, 1
	s_and_saveexec_b64 s[8:9], vcc
	s_cbranch_execz .LBB591_688
; %bb.685:
	v_bfe_u32 v9, v9, 24, 7
	s_movk_i32 s7, 0x7f
	v_cmp_ne_u32_e32 vcc, s7, v9
	v_mov_b32_e32 v20, 0x7f800001
	s_and_saveexec_b64 s[10:11], vcc
	s_cbranch_execz .LBB591_687
; %bb.686:
	v_and_b32_e32 v23, 7, v6
	v_ffbh_u32_e32 v20, v23
	v_min_u32_e32 v25, 32, v20
	v_subrev_u32_e32 v20, 28, v25
	v_lshlrev_b64 v[20:21], v20, v[6:7]
	v_lshrrev_b32_e32 v24, 3, v9
	v_sub_u32_e32 v21, 29, v25
	v_and_b32_e32 v20, 7, v20
	v_cmp_gt_u32_e32 vcc, 8, v9
	v_cndmask_b32_e32 v9, v24, v21, vcc
	v_cndmask_b32_e32 v20, v23, v20, vcc
	v_lshlrev_b32_e32 v6, 24, v6
	v_bfrev_b32_e32 v21, 60
	v_lshlrev_b32_e32 v20, 20, v20
	v_and_b32_e32 v6, 0x80000000, v6
	v_lshl_add_u32 v9, v9, 23, v21
	v_or3_b32 v20, v6, v9, v20
.LBB591_687:
	s_or_b64 exec, exec, s[10:11]
.LBB591_688:
	s_or_b64 exec, exec, s[8:9]
.LBB591_689:
	s_or_b64 exec, exec, s[2:3]
	v_cvt_pkrtz_f16_f32 v6, v14, v16
	v_cvt_pkrtz_f16_f32 v7, v7, v18
	ds_read_b128 v[28:31], v22 offset:4112
	s_waitcnt vmcnt(0)
	v_cmp_ne_u16_sdwa s[8:9], v2, v15 src0_sel:BYTE_0 src1_sel:DWORD
	s_waitcnt lgkmcnt(0)
	v_mfma_f32_16x16x16f16 v[10:13], v[6:7], v[28:29], v[10:13]
	v_cvt_pkrtz_f16_f32 v6, v17, v19
	v_cvt_pkrtz_f16_f32 v7, v8, v20
	s_nop 1
	v_mfma_f32_16x16x16f16 v[6:9], v[6:7], v[30:31], v[10:13]
	s_and_saveexec_b64 s[2:3], s[8:9]
	s_cbranch_execz .LBB591_695
; %bb.690:
	s_movk_i32 s7, 0x80
	v_cmp_ne_u16_sdwa s[10:11], v2, s7 src0_sel:BYTE_0 src1_sel:DWORD
	v_bfrev_b32_e32 v15, 1
	s_and_saveexec_b64 s[8:9], s[10:11]
	s_cbranch_execz .LBB591_694
; %bb.691:
	s_movk_i32 s7, 0x7f
	v_and_b32_e32 v10, 0x7f, v2
	v_cmp_ne_u32_e32 vcc, s7, v10
	v_mov_b32_e32 v15, 0x7f800001
	s_and_saveexec_b64 s[10:11], vcc
	s_cbranch_execz .LBB591_693
; %bb.692:
	v_and_b32_e32 v11, 7, v2
	v_ffbh_u32_e32 v12, v11
	v_min_u32_e32 v15, 32, v12
	v_subrev_u32_e32 v12, 28, v15
	v_lshlrev_b64 v[12:13], v12, v[2:3]
	v_lshrrev_b32_e32 v14, 3, v10
	v_sub_u32_e32 v13, 29, v15
	v_and_b32_e32 v12, 7, v12
	v_cmp_gt_u32_e32 vcc, 8, v10
	v_cndmask_b32_e32 v10, v14, v13, vcc
	v_cndmask_b32_e32 v11, v11, v12, vcc
	v_lshlrev_b32_e32 v12, 24, v2
	v_bfrev_b32_e32 v13, 60
	v_lshlrev_b32_e32 v11, 20, v11
	v_and_b32_e32 v12, 0x80000000, v12
	v_lshl_add_u32 v10, v10, 23, v13
	v_or3_b32 v15, v12, v10, v11
.LBB591_693:
	s_or_b64 exec, exec, s[10:11]
.LBB591_694:
	s_or_b64 exec, exec, s[8:9]
.LBB591_695:
	s_or_b64 exec, exec, s[2:3]
	s_nop 3
	v_lshrrev_b16_e32 v10, 8, v2
	v_cmp_ne_u16_e32 vcc, 0, v10
	v_mov_b32_e32 v11, 0
	v_mov_b32_e32 v12, 0
	s_and_saveexec_b64 s[2:3], vcc
	s_cbranch_execz .LBB591_701
; %bb.696:
	s_movk_i32 s7, 0x80
	v_cmp_ne_u16_e32 vcc, s7, v10
	v_bfrev_b32_e32 v12, 1
	s_and_saveexec_b64 s[8:9], vcc
	s_cbranch_execz .LBB591_700
; %bb.697:
	s_movk_i32 s7, 0x7f
	v_and_b32_e32 v13, 0x7f, v10
	v_cmp_ne_u32_e32 vcc, s7, v13
	v_mov_b32_e32 v12, 0x7f800001
	s_and_saveexec_b64 s[10:11], vcc
	s_cbranch_execz .LBB591_699
; %bb.698:
	v_and_b32_e32 v12, 7, v10
	v_ffbh_u32_e32 v16, v12
	v_min_u32_e32 v18, 32, v16
	v_subrev_u32_e32 v16, 28, v18
	v_lshlrev_b64 v[16:17], v16, v[10:11]
	v_lshrrev_b32_e32 v14, 3, v13
	v_sub_u32_e32 v10, 29, v18
	v_and_b32_e32 v16, 7, v16
	v_cmp_gt_u32_e32 vcc, 8, v13
	v_cndmask_b32_e32 v10, v14, v10, vcc
	v_cndmask_b32_e32 v12, v12, v16, vcc
	v_lshlrev_b32_e32 v13, 16, v2
	v_bfrev_b32_e32 v14, 60
	v_lshlrev_b32_e32 v12, 20, v12
	v_and_b32_e32 v13, 0x80000000, v13
	v_lshl_add_u32 v10, v10, 23, v14
	v_or3_b32 v12, v13, v10, v12
.LBB591_699:
	s_or_b64 exec, exec, s[10:11]
.LBB591_700:
	s_or_b64 exec, exec, s[8:9]
.LBB591_701:
	s_or_b64 exec, exec, s[2:3]
	s_movk_i32 s2, 0xff
	v_and_b32_sdwa v13, v2, s2 dst_sel:DWORD dst_unused:UNUSED_PAD src0_sel:WORD_1 src1_sel:DWORD
	v_lshrrev_b32_e32 v10, 16, v2
	v_cmp_ne_u16_e32 vcc, 0, v13
	s_and_saveexec_b64 s[2:3], vcc
	s_cbranch_execz .LBB591_707
; %bb.702:
	s_movk_i32 s7, 0x80
	v_cmp_ne_u16_e32 vcc, s7, v13
	v_bfrev_b32_e32 v11, 1
	s_and_saveexec_b64 s[8:9], vcc
	s_cbranch_execz .LBB591_706
; %bb.703:
	v_bfe_u32 v13, v2, 16, 7
	s_movk_i32 s7, 0x7f
	v_cmp_ne_u32_e32 vcc, s7, v13
	v_mov_b32_e32 v11, 0x7f800001
	s_and_saveexec_b64 s[10:11], vcc
	s_cbranch_execz .LBB591_705
; %bb.704:
	v_and_b32_e32 v14, 7, v10
	v_ffbh_u32_e32 v11, v14
	v_min_u32_e32 v17, 32, v11
	v_subrev_u32_e32 v11, 28, v17
	v_lshlrev_b64 v[10:11], v11, v[10:11]
	v_lshrrev_b32_e32 v16, 3, v13
	v_sub_u32_e32 v11, 29, v17
	v_and_b32_e32 v10, 7, v10
	v_cmp_gt_u32_e32 vcc, 8, v13
	v_mov_b32_e32 v13, 24
	v_cndmask_b32_e32 v11, v16, v11, vcc
	v_cndmask_b32_e32 v10, v14, v10, vcc
	v_lshlrev_b32_sdwa v13, v13, v2 dst_sel:DWORD dst_unused:UNUSED_PAD src0_sel:DWORD src1_sel:WORD_1
	v_bfrev_b32_e32 v14, 60
	v_lshlrev_b32_e32 v10, 20, v10
	v_and_b32_e32 v13, 0x80000000, v13
	v_lshl_add_u32 v11, v11, 23, v14
	v_or3_b32 v11, v13, v11, v10
.LBB591_705:
	s_or_b64 exec, exec, s[10:11]
.LBB591_706:
	s_or_b64 exec, exec, s[8:9]
.LBB591_707:
	s_or_b64 exec, exec, s[2:3]
	s_mov_b32 s2, 0xffffff
	v_cmp_lt_u32_e32 vcc, s2, v2
	v_mov_b32_e32 v13, 0
	v_mov_b32_e32 v14, 0
	s_and_saveexec_b64 s[2:3], vcc
	s_cbranch_execz .LBB591_713
; %bb.708:
	v_lshrrev_b32_e32 v10, 24, v2
	s_movk_i32 s7, 0x80
	v_cmp_ne_u32_e32 vcc, s7, v10
	v_bfrev_b32_e32 v14, 1
	s_and_saveexec_b64 s[8:9], vcc
	s_cbranch_execz .LBB591_712
; %bb.709:
	v_bfe_u32 v2, v2, 24, 7
	s_movk_i32 s7, 0x7f
	v_cmp_ne_u32_e32 vcc, s7, v2
	v_mov_b32_e32 v14, 0x7f800001
	s_and_saveexec_b64 s[10:11], vcc
	s_cbranch_execz .LBB591_711
; %bb.710:
	v_and_b32_e32 v14, 7, v10
	v_ffbh_u32_e32 v16, v14
	v_min_u32_e32 v19, 32, v16
	v_subrev_u32_e32 v16, 28, v19
	v_lshlrev_b64 v[16:17], v16, v[10:11]
	v_lshrrev_b32_e32 v18, 3, v2
	v_sub_u32_e32 v17, 29, v19
	v_and_b32_e32 v16, 7, v16
	v_cmp_gt_u32_e32 vcc, 8, v2
	v_cndmask_b32_e32 v2, v18, v17, vcc
	v_cndmask_b32_e32 v14, v14, v16, vcc
	v_lshlrev_b32_e32 v10, 24, v10
	v_bfrev_b32_e32 v16, 60
	v_lshlrev_b32_e32 v14, 20, v14
	v_and_b32_e32 v10, 0x80000000, v10
	v_lshl_add_u32 v2, v2, 23, v16
	v_or3_b32 v14, v10, v2, v14
.LBB591_711:
	s_or_b64 exec, exec, s[10:11]
.LBB591_712:
	s_or_b64 exec, exec, s[8:9]
.LBB591_713:
	s_or_b64 exec, exec, s[2:3]
	v_cmp_ne_u16_sdwa s[8:9], v3, v13 src0_sel:BYTE_0 src1_sel:DWORD
	s_and_saveexec_b64 s[2:3], s[8:9]
	s_cbranch_execz .LBB591_719
; %bb.714:
	s_movk_i32 s7, 0x80
	v_cmp_ne_u16_sdwa s[10:11], v3, s7 src0_sel:BYTE_0 src1_sel:DWORD
	v_bfrev_b32_e32 v13, 1
	s_and_saveexec_b64 s[8:9], s[10:11]
	s_cbranch_execz .LBB591_718
; %bb.715:
	s_movk_i32 s7, 0x7f
	v_and_b32_e32 v2, 0x7f, v3
	v_cmp_ne_u32_e32 vcc, s7, v2
	v_mov_b32_e32 v13, 0x7f800001
	s_and_saveexec_b64 s[10:11], vcc
	s_cbranch_execz .LBB591_717
; %bb.716:
	v_and_b32_e32 v13, 7, v3
	v_ffbh_u32_e32 v16, v13
	v_min_u32_e32 v19, 32, v16
	v_mov_b32_e32 v10, v3
	v_subrev_u32_e32 v16, 28, v19
	v_lshlrev_b64 v[16:17], v16, v[10:11]
	v_lshrrev_b32_e32 v18, 3, v2
	v_sub_u32_e32 v10, 29, v19
	v_and_b32_e32 v16, 7, v16
	v_cmp_gt_u32_e32 vcc, 8, v2
	v_cndmask_b32_e32 v2, v18, v10, vcc
	v_cndmask_b32_e32 v10, v13, v16, vcc
	v_lshlrev_b32_e32 v13, 24, v3
	v_bfrev_b32_e32 v16, 60
	v_lshlrev_b32_e32 v10, 20, v10
	v_and_b32_e32 v13, 0x80000000, v13
	v_lshl_add_u32 v2, v2, 23, v16
	v_or3_b32 v13, v13, v2, v10
.LBB591_717:
	s_or_b64 exec, exec, s[10:11]
.LBB591_718:
	s_or_b64 exec, exec, s[8:9]
.LBB591_719:
	s_or_b64 exec, exec, s[2:3]
	v_lshrrev_b16_e32 v2, 8, v3
	v_cmp_ne_u16_e32 vcc, 0, v2
	v_mov_b32_e32 v16, 0
	v_mov_b32_e32 v17, 0
	s_and_saveexec_b64 s[2:3], vcc
	s_cbranch_execz .LBB591_725
; %bb.720:
	s_movk_i32 s7, 0x80
	v_cmp_ne_u16_e32 vcc, s7, v2
	v_bfrev_b32_e32 v17, 1
	s_and_saveexec_b64 s[8:9], vcc
	s_cbranch_execz .LBB591_724
; %bb.721:
	s_movk_i32 s7, 0x7f
	v_and_b32_e32 v10, 0x7f, v2
	v_cmp_ne_u32_e32 vcc, s7, v10
	v_mov_b32_e32 v17, 0x7f800001
	s_and_saveexec_b64 s[10:11], vcc
	s_cbranch_execz .LBB591_723
; %bb.722:
	v_and_b32_e32 v17, 7, v2
	v_ffbh_u32_e32 v18, v17
	v_min_u32_e32 v21, 32, v18
	v_subrev_u32_e32 v18, 28, v21
	v_lshlrev_b64 v[18:19], v18, v[2:3]
	v_lshrrev_b32_e32 v20, 3, v10
	v_sub_u32_e32 v2, 29, v21
	v_and_b32_e32 v18, 7, v18
	v_cmp_gt_u32_e32 vcc, 8, v10
	v_cndmask_b32_e32 v2, v20, v2, vcc
	v_cndmask_b32_e32 v10, v17, v18, vcc
	v_lshlrev_b32_e32 v17, 16, v3
	v_bfrev_b32_e32 v18, 60
	v_lshlrev_b32_e32 v10, 20, v10
	v_and_b32_e32 v17, 0x80000000, v17
	v_lshl_add_u32 v2, v2, 23, v18
	v_or3_b32 v17, v17, v2, v10
.LBB591_723:
	s_or_b64 exec, exec, s[10:11]
.LBB591_724:
	s_or_b64 exec, exec, s[8:9]
.LBB591_725:
	s_or_b64 exec, exec, s[2:3]
	s_movk_i32 s2, 0xff
	v_and_b32_sdwa v10, v3, s2 dst_sel:DWORD dst_unused:UNUSED_PAD src0_sel:WORD_1 src1_sel:DWORD
	v_lshrrev_b32_e32 v2, 16, v3
	v_cmp_ne_u16_e32 vcc, 0, v10
	s_and_saveexec_b64 s[2:3], vcc
	s_cbranch_execz .LBB591_731
; %bb.726:
	s_movk_i32 s7, 0x80
	v_cmp_ne_u16_e32 vcc, s7, v10
	v_bfrev_b32_e32 v16, 1
	s_and_saveexec_b64 s[8:9], vcc
	s_cbranch_execz .LBB591_730
; %bb.727:
	v_bfe_u32 v10, v3, 16, 7
	s_movk_i32 s7, 0x7f
	v_cmp_ne_u32_e32 vcc, s7, v10
	v_mov_b32_e32 v16, 0x7f800001
	s_and_saveexec_b64 s[10:11], vcc
	s_cbranch_execz .LBB591_729
; %bb.728:
	v_and_b32_e32 v16, 7, v2
	v_ffbh_u32_e32 v18, v16
	v_min_u32_e32 v21, 32, v18
	v_subrev_u32_e32 v18, 28, v21
	v_lshlrev_b64 v[18:19], v18, v[2:3]
	v_and_b32_e32 v18, 7, v18
	v_cmp_gt_u32_e32 vcc, 8, v10
	v_lshrrev_b32_e32 v20, 3, v10
	v_sub_u32_e32 v2, 29, v21
	v_cndmask_b32_e32 v10, v16, v18, vcc
	v_mov_b32_e32 v16, 24
	v_cndmask_b32_e32 v2, v20, v2, vcc
	v_lshlrev_b32_sdwa v16, v16, v3 dst_sel:DWORD dst_unused:UNUSED_PAD src0_sel:DWORD src1_sel:WORD_1
	v_bfrev_b32_e32 v18, 60
	v_lshlrev_b32_e32 v10, 20, v10
	v_and_b32_e32 v16, 0x80000000, v16
	v_lshl_add_u32 v2, v2, 23, v18
	v_or3_b32 v16, v16, v2, v10
.LBB591_729:
	s_or_b64 exec, exec, s[10:11]
.LBB591_730:
	s_or_b64 exec, exec, s[8:9]
.LBB591_731:
	s_or_b64 exec, exec, s[2:3]
	s_mov_b32 s2, 0xffffff
	v_cmp_lt_u32_e32 vcc, s2, v3
	v_mov_b32_e32 v10, 0
	v_mov_b32_e32 v18, 0
	s_and_saveexec_b64 s[2:3], vcc
	s_cbranch_execz .LBB591_737
; %bb.732:
	v_lshrrev_b32_e32 v2, 24, v3
	s_movk_i32 s7, 0x80
	v_cmp_ne_u32_e32 vcc, s7, v2
	v_bfrev_b32_e32 v18, 1
	s_and_saveexec_b64 s[8:9], vcc
	s_cbranch_execz .LBB591_736
; %bb.733:
	v_bfe_u32 v3, v3, 24, 7
	s_movk_i32 s7, 0x7f
	v_cmp_ne_u32_e32 vcc, s7, v3
	v_mov_b32_e32 v18, 0x7f800001
	s_and_saveexec_b64 s[10:11], vcc
	s_cbranch_execz .LBB591_735
; %bb.734:
	v_and_b32_e32 v20, 7, v2
	v_ffbh_u32_e32 v18, v20
	v_min_u32_e32 v23, 32, v18
	v_subrev_u32_e32 v18, 28, v23
	v_lshlrev_b64 v[18:19], v18, v[2:3]
	v_lshrrev_b32_e32 v21, 3, v3
	v_sub_u32_e32 v19, 29, v23
	v_and_b32_e32 v18, 7, v18
	v_cmp_gt_u32_e32 vcc, 8, v3
	v_cndmask_b32_e32 v3, v21, v19, vcc
	v_cndmask_b32_e32 v18, v20, v18, vcc
	v_lshlrev_b32_e32 v2, 24, v2
	v_bfrev_b32_e32 v19, 60
	v_lshlrev_b32_e32 v18, 20, v18
	v_and_b32_e32 v2, 0x80000000, v2
	v_lshl_add_u32 v3, v3, 23, v19
	v_or3_b32 v18, v2, v3, v18
.LBB591_735:
	s_or_b64 exec, exec, s[10:11]
.LBB591_736:
	s_or_b64 exec, exec, s[8:9]
.LBB591_737:
	s_or_b64 exec, exec, s[2:3]
	v_cvt_pkrtz_f16_f32 v2, v15, v12
	v_cvt_pkrtz_f16_f32 v3, v11, v14
	ds_read_b128 v[28:31], v22 offset:6144
	v_cmp_ne_u16_sdwa s[8:9], v4, v10 src0_sel:BYTE_0 src1_sel:DWORD
	s_waitcnt lgkmcnt(0)
	v_mfma_f32_16x16x16f16 v[6:9], v[2:3], v[28:29], v[6:9]
	v_cvt_pkrtz_f16_f32 v2, v13, v17
	v_cvt_pkrtz_f16_f32 v3, v16, v18
	s_nop 1
	v_mfma_f32_16x16x16f16 v[6:9], v[2:3], v[30:31], v[6:9]
	s_and_saveexec_b64 s[2:3], s[8:9]
	s_cbranch_execz .LBB591_743
; %bb.738:
	s_movk_i32 s7, 0x80
	v_cmp_ne_u16_sdwa s[10:11], v4, s7 src0_sel:BYTE_0 src1_sel:DWORD
	v_bfrev_b32_e32 v10, 1
	s_and_saveexec_b64 s[8:9], s[10:11]
	s_cbranch_execz .LBB591_742
; %bb.739:
	s_movk_i32 s7, 0x7f
	v_and_b32_e32 v2, 0x7f, v4
	v_cmp_ne_u32_e32 vcc, s7, v2
	v_mov_b32_e32 v10, 0x7f800001
	s_and_saveexec_b64 s[10:11], vcc
	s_cbranch_execz .LBB591_741
; %bb.740:
	v_and_b32_e32 v3, 7, v4
	v_ffbh_u32_e32 v10, v3
	v_min_u32_e32 v13, 32, v10
	v_subrev_u32_e32 v10, 28, v13
	v_lshlrev_b64 v[10:11], v10, v[4:5]
	v_lshrrev_b32_e32 v12, 3, v2
	v_sub_u32_e32 v11, 29, v13
	v_and_b32_e32 v10, 7, v10
	v_cmp_gt_u32_e32 vcc, 8, v2
	v_cndmask_b32_e32 v2, v12, v11, vcc
	v_cndmask_b32_e32 v3, v3, v10, vcc
	v_lshlrev_b32_e32 v10, 24, v4
	v_bfrev_b32_e32 v11, 60
	v_lshlrev_b32_e32 v3, 20, v3
	v_and_b32_e32 v10, 0x80000000, v10
	v_lshl_add_u32 v2, v2, 23, v11
	v_or3_b32 v10, v10, v2, v3
.LBB591_741:
	s_or_b64 exec, exec, s[10:11]
.LBB591_742:
	s_or_b64 exec, exec, s[8:9]
.LBB591_743:
	s_or_b64 exec, exec, s[2:3]
	v_lshrrev_b16_e32 v2, 8, v4
	v_cmp_ne_u16_e32 vcc, 0, v2
	v_mov_b32_e32 v3, 0
	v_mov_b32_e32 v11, 0
	s_and_saveexec_b64 s[2:3], vcc
	s_cbranch_execz .LBB591_749
; %bb.744:
	s_movk_i32 s7, 0x80
	v_cmp_ne_u16_e32 vcc, s7, v2
	v_bfrev_b32_e32 v11, 1
	s_and_saveexec_b64 s[8:9], vcc
	s_cbranch_execz .LBB591_748
; %bb.745:
	s_movk_i32 s7, 0x7f
	v_and_b32_e32 v12, 0x7f, v2
	v_cmp_ne_u32_e32 vcc, s7, v12
	v_mov_b32_e32 v11, 0x7f800001
	s_and_saveexec_b64 s[10:11], vcc
	s_cbranch_execz .LBB591_747
; %bb.746:
	v_and_b32_e32 v11, 7, v2
	v_ffbh_u32_e32 v14, v11
	v_min_u32_e32 v16, 32, v14
	v_subrev_u32_e32 v14, 28, v16
	v_lshlrev_b64 v[14:15], v14, v[2:3]
	v_lshrrev_b32_e32 v13, 3, v12
	v_sub_u32_e32 v2, 29, v16
	v_and_b32_e32 v14, 7, v14
	v_cmp_gt_u32_e32 vcc, 8, v12
	v_cndmask_b32_e32 v2, v13, v2, vcc
	v_cndmask_b32_e32 v11, v11, v14, vcc
	v_lshlrev_b32_e32 v12, 16, v4
	v_bfrev_b32_e32 v13, 60
	v_lshlrev_b32_e32 v11, 20, v11
	v_and_b32_e32 v12, 0x80000000, v12
	v_lshl_add_u32 v2, v2, 23, v13
	v_or3_b32 v11, v12, v2, v11
.LBB591_747:
	s_or_b64 exec, exec, s[10:11]
.LBB591_748:
	s_or_b64 exec, exec, s[8:9]
.LBB591_749:
	s_or_b64 exec, exec, s[2:3]
	s_movk_i32 s2, 0xff
	v_and_b32_sdwa v12, v4, s2 dst_sel:DWORD dst_unused:UNUSED_PAD src0_sel:WORD_1 src1_sel:DWORD
	v_lshrrev_b32_e32 v2, 16, v4
	v_cmp_ne_u16_e32 vcc, 0, v12
	s_and_saveexec_b64 s[2:3], vcc
	s_cbranch_execz .LBB591_755
; %bb.750:
	s_movk_i32 s7, 0x80
	v_cmp_ne_u16_e32 vcc, s7, v12
	v_bfrev_b32_e32 v3, 1
	s_and_saveexec_b64 s[8:9], vcc
	s_cbranch_execz .LBB591_754
; %bb.751:
	v_bfe_u32 v12, v4, 16, 7
	s_movk_i32 s7, 0x7f
	v_cmp_ne_u32_e32 vcc, s7, v12
	v_mov_b32_e32 v3, 0x7f800001
	s_and_saveexec_b64 s[10:11], vcc
	s_cbranch_execz .LBB591_753
; %bb.752:
	v_and_b32_e32 v13, 7, v2
	v_ffbh_u32_e32 v3, v13
	v_min_u32_e32 v15, 32, v3
	v_subrev_u32_e32 v3, 28, v15
	v_lshlrev_b64 v[2:3], v3, v[2:3]
	v_lshrrev_b32_e32 v14, 3, v12
	v_sub_u32_e32 v3, 29, v15
	v_and_b32_e32 v2, 7, v2
	v_cmp_gt_u32_e32 vcc, 8, v12
	v_mov_b32_e32 v12, 24
	v_cndmask_b32_e32 v3, v14, v3, vcc
	v_cndmask_b32_e32 v2, v13, v2, vcc
	v_lshlrev_b32_sdwa v12, v12, v4 dst_sel:DWORD dst_unused:UNUSED_PAD src0_sel:DWORD src1_sel:WORD_1
	v_bfrev_b32_e32 v13, 60
	v_lshlrev_b32_e32 v2, 20, v2
	v_and_b32_e32 v12, 0x80000000, v12
	v_lshl_add_u32 v3, v3, 23, v13
	v_or3_b32 v3, v12, v3, v2
.LBB591_753:
	s_or_b64 exec, exec, s[10:11]
.LBB591_754:
	s_or_b64 exec, exec, s[8:9]
.LBB591_755:
	s_or_b64 exec, exec, s[2:3]
	s_mov_b32 s2, 0xffffff
	v_cmp_lt_u32_e32 vcc, s2, v4
	v_mov_b32_e32 v12, 0
	v_mov_b32_e32 v13, 0
	s_and_saveexec_b64 s[2:3], vcc
	s_cbranch_execz .LBB591_761
; %bb.756:
	v_lshrrev_b32_e32 v2, 24, v4
	s_movk_i32 s7, 0x80
	v_cmp_ne_u32_e32 vcc, s7, v2
	v_bfrev_b32_e32 v13, 1
	s_and_saveexec_b64 s[8:9], vcc
	s_cbranch_execz .LBB591_760
; %bb.757:
	v_bfe_u32 v4, v4, 24, 7
	s_movk_i32 s7, 0x7f
	v_cmp_ne_u32_e32 vcc, s7, v4
	v_mov_b32_e32 v13, 0x7f800001
	s_and_saveexec_b64 s[10:11], vcc
	s_cbranch_execz .LBB591_759
; %bb.758:
	v_and_b32_e32 v13, 7, v2
	v_ffbh_u32_e32 v14, v13
	v_min_u32_e32 v17, 32, v14
	v_subrev_u32_e32 v14, 28, v17
	v_lshlrev_b64 v[14:15], v14, v[2:3]
	v_lshrrev_b32_e32 v16, 3, v4
	v_sub_u32_e32 v15, 29, v17
	v_and_b32_e32 v14, 7, v14
	v_cmp_gt_u32_e32 vcc, 8, v4
	v_cndmask_b32_e32 v4, v16, v15, vcc
	v_cndmask_b32_e32 v13, v13, v14, vcc
	v_lshlrev_b32_e32 v2, 24, v2
	v_bfrev_b32_e32 v14, 60
	v_lshlrev_b32_e32 v13, 20, v13
	v_and_b32_e32 v2, 0x80000000, v2
	v_lshl_add_u32 v4, v4, 23, v14
	v_or3_b32 v13, v2, v4, v13
.LBB591_759:
	s_or_b64 exec, exec, s[10:11]
.LBB591_760:
	s_or_b64 exec, exec, s[8:9]
.LBB591_761:
	s_or_b64 exec, exec, s[2:3]
	v_cmp_ne_u16_sdwa s[8:9], v5, v12 src0_sel:BYTE_0 src1_sel:DWORD
	s_and_saveexec_b64 s[2:3], s[8:9]
	s_cbranch_execz .LBB591_767
; %bb.762:
	s_movk_i32 s7, 0x80
	v_cmp_ne_u16_sdwa s[10:11], v5, s7 src0_sel:BYTE_0 src1_sel:DWORD
	v_bfrev_b32_e32 v12, 1
	s_and_saveexec_b64 s[8:9], s[10:11]
	s_cbranch_execz .LBB591_766
; %bb.763:
	s_movk_i32 s7, 0x7f
	v_and_b32_e32 v2, 0x7f, v5
	v_cmp_ne_u32_e32 vcc, s7, v2
	v_mov_b32_e32 v12, 0x7f800001
	s_and_saveexec_b64 s[10:11], vcc
	s_cbranch_execz .LBB591_765
; %bb.764:
	v_and_b32_e32 v12, 7, v5
	v_ffbh_u32_e32 v14, v12
	v_min_u32_e32 v17, 32, v14
	v_mov_b32_e32 v4, v5
	v_subrev_u32_e32 v14, 28, v17
	v_lshlrev_b64 v[14:15], v14, v[4:5]
	v_lshrrev_b32_e32 v16, 3, v2
	v_sub_u32_e32 v4, 29, v17
	v_and_b32_e32 v14, 7, v14
	v_cmp_gt_u32_e32 vcc, 8, v2
	v_cndmask_b32_e32 v2, v16, v4, vcc
	v_cndmask_b32_e32 v4, v12, v14, vcc
	v_lshlrev_b32_e32 v12, 24, v5
	v_bfrev_b32_e32 v14, 60
	v_lshlrev_b32_e32 v4, 20, v4
	v_and_b32_e32 v12, 0x80000000, v12
	v_lshl_add_u32 v2, v2, 23, v14
	v_or3_b32 v12, v12, v2, v4
.LBB591_765:
	s_or_b64 exec, exec, s[10:11]
.LBB591_766:
	s_or_b64 exec, exec, s[8:9]
.LBB591_767:
	s_or_b64 exec, exec, s[2:3]
	v_lshrrev_b16_e32 v2, 8, v5
	v_cmp_ne_u16_e32 vcc, 0, v2
	v_mov_b32_e32 v4, 0
	v_mov_b32_e32 v14, 0
	s_and_saveexec_b64 s[2:3], vcc
	s_cbranch_execz .LBB591_773
; %bb.768:
	s_movk_i32 s7, 0x80
	v_cmp_ne_u16_e32 vcc, s7, v2
	v_bfrev_b32_e32 v14, 1
	s_and_saveexec_b64 s[8:9], vcc
	s_cbranch_execz .LBB591_772
; %bb.769:
	s_movk_i32 s7, 0x7f
	v_and_b32_e32 v15, 0x7f, v2
	v_cmp_ne_u32_e32 vcc, s7, v15
	v_mov_b32_e32 v14, 0x7f800001
	s_and_saveexec_b64 s[10:11], vcc
	s_cbranch_execz .LBB591_771
; %bb.770:
	v_and_b32_e32 v14, 7, v2
	v_ffbh_u32_e32 v16, v14
	v_min_u32_e32 v19, 32, v16
	v_subrev_u32_e32 v16, 28, v19
	v_lshlrev_b64 v[16:17], v16, v[2:3]
	v_lshrrev_b32_e32 v18, 3, v15
	v_sub_u32_e32 v2, 29, v19
	v_and_b32_e32 v16, 7, v16
	v_cmp_gt_u32_e32 vcc, 8, v15
	v_cndmask_b32_e32 v2, v18, v2, vcc
	v_cndmask_b32_e32 v14, v14, v16, vcc
	v_lshlrev_b32_e32 v15, 16, v5
	v_bfrev_b32_e32 v16, 60
	v_lshlrev_b32_e32 v14, 20, v14
	v_and_b32_e32 v15, 0x80000000, v15
	v_lshl_add_u32 v2, v2, 23, v16
	v_or3_b32 v14, v15, v2, v14
.LBB591_771:
	s_or_b64 exec, exec, s[10:11]
.LBB591_772:
	s_or_b64 exec, exec, s[8:9]
.LBB591_773:
	s_or_b64 exec, exec, s[2:3]
	s_movk_i32 s2, 0xff
	v_and_b32_sdwa v15, v5, s2 dst_sel:DWORD dst_unused:UNUSED_PAD src0_sel:WORD_1 src1_sel:DWORD
	v_lshrrev_b32_e32 v2, 16, v5
	v_cmp_ne_u16_e32 vcc, 0, v15
	s_and_saveexec_b64 s[2:3], vcc
	s_cbranch_execz .LBB591_779
; %bb.774:
	s_movk_i32 s7, 0x80
	v_cmp_ne_u16_e32 vcc, s7, v15
	v_bfrev_b32_e32 v4, 1
	s_and_saveexec_b64 s[8:9], vcc
	s_cbranch_execz .LBB591_778
; %bb.775:
	v_bfe_u32 v15, v5, 16, 7
	s_movk_i32 s7, 0x7f
	v_cmp_ne_u32_e32 vcc, s7, v15
	v_mov_b32_e32 v4, 0x7f800001
	s_and_saveexec_b64 s[10:11], vcc
	s_cbranch_execz .LBB591_777
; %bb.776:
	v_and_b32_e32 v4, 7, v2
	v_ffbh_u32_e32 v16, v4
	v_min_u32_e32 v19, 32, v16
	v_subrev_u32_e32 v16, 28, v19
	v_lshlrev_b64 v[16:17], v16, v[2:3]
	v_lshrrev_b32_e32 v18, 3, v15
	v_sub_u32_e32 v2, 29, v19
	v_and_b32_e32 v16, 7, v16
	v_cmp_gt_u32_e32 vcc, 8, v15
	v_mov_b32_e32 v15, 24
	v_cndmask_b32_e32 v2, v18, v2, vcc
	v_cndmask_b32_e32 v4, v4, v16, vcc
	v_lshlrev_b32_sdwa v15, v15, v5 dst_sel:DWORD dst_unused:UNUSED_PAD src0_sel:DWORD src1_sel:WORD_1
	v_bfrev_b32_e32 v16, 60
	v_lshlrev_b32_e32 v4, 20, v4
	v_and_b32_e32 v15, 0x80000000, v15
	v_lshl_add_u32 v2, v2, 23, v16
	v_or3_b32 v4, v15, v2, v4
.LBB591_777:
	s_or_b64 exec, exec, s[10:11]
.LBB591_778:
	s_or_b64 exec, exec, s[8:9]
.LBB591_779:
	s_or_b64 exec, exec, s[2:3]
	s_mov_b32 s2, 0xffffff
	v_cmp_lt_u32_e32 vcc, s2, v5
	v_mov_b32_e32 v15, 0
	s_and_saveexec_b64 s[2:3], vcc
	s_cbranch_execz .LBB591_785
; %bb.780:
	v_lshrrev_b32_e32 v2, 24, v5
	s_movk_i32 s7, 0x80
	v_cmp_ne_u32_e32 vcc, s7, v2
	v_bfrev_b32_e32 v15, 1
	s_and_saveexec_b64 s[8:9], vcc
	s_cbranch_execz .LBB591_784
; %bb.781:
	v_bfe_u32 v5, v5, 24, 7
	s_movk_i32 s7, 0x7f
	v_cmp_ne_u32_e32 vcc, s7, v5
	v_mov_b32_e32 v15, 0x7f800001
	s_and_saveexec_b64 s[10:11], vcc
	s_cbranch_execz .LBB591_783
; %bb.782:
	v_and_b32_e32 v15, 7, v2
	v_ffbh_u32_e32 v16, v15
	v_min_u32_e32 v19, 32, v16
	v_subrev_u32_e32 v16, 28, v19
	v_lshlrev_b64 v[16:17], v16, v[2:3]
	v_lshrrev_b32_e32 v18, 3, v5
	v_sub_u32_e32 v17, 29, v19
	v_and_b32_e32 v16, 7, v16
	v_cmp_gt_u32_e32 vcc, 8, v5
	v_cndmask_b32_e32 v5, v18, v17, vcc
	v_cndmask_b32_e32 v15, v15, v16, vcc
	v_lshlrev_b32_e32 v2, 24, v2
	v_bfrev_b32_e32 v16, 60
	v_lshlrev_b32_e32 v15, 20, v15
	v_and_b32_e32 v2, 0x80000000, v2
	v_lshl_add_u32 v5, v5, 23, v16
	v_or3_b32 v15, v2, v5, v15
.LBB591_783:
	s_or_b64 exec, exec, s[10:11]
.LBB591_784:
	s_or_b64 exec, exec, s[8:9]
.LBB591_785:
	s_or_b64 exec, exec, s[2:3]
	v_cvt_pkrtz_f16_f32 v2, v10, v11
	v_cvt_pkrtz_f16_f32 v3, v3, v13
	ds_read_b128 v[16:19], v22 offset:6160
	s_load_dword s2, s[42:43], 0x0
	v_cmp_gt_u32_e32 vcc, 64, v0
	s_waitcnt lgkmcnt(0)
	v_mfma_f32_16x16x16f16 v[6:9], v[2:3], v[16:17], v[6:9]
	v_cvt_pkrtz_f16_f32 v2, v12, v14
	v_cvt_pkrtz_f16_f32 v3, v4, v15
	s_barrier
	s_nop 0
	v_mfma_f32_16x16x16f16 v[2:5], v[2:3], v[18:19], v[6:9]
	s_nop 7
	s_nop 2
	v_pk_mul_f32 v[4:5], v[4:5], s[2:3] op_sel_hi:[1,0]
	v_pk_mul_f32 v[2:3], v[2:3], s[2:3] op_sel_hi:[1,0]
	v_cvt_f16_f32_e32 v2, v2
	v_cvt_f16_f32_e32 v3, v3
	;; [unrolled: 1-line block ×4, first 2 shown]
	v_cmp_gt_u32_e64 s[2:3], 32, v42
	s_and_b64 s[2:3], s[2:3], vcc
	v_pack_b32_f16 v2, v2, v3
	v_pack_b32_f16 v3, v4, v5
	s_and_b64 s[0:1], s[2:3], s[0:1]
	ds_write_b64 v26, v[2:3]
	s_waitcnt lgkmcnt(0)
	s_barrier
	s_and_saveexec_b64 s[2:3], s[0:1]
	s_cbranch_execz .LBB591_787
; %bb.786:
	s_load_dwordx2 s[0:1], s[4:5], 0x68
	s_mul_i32 s2, s12, s6
	s_lshl_b32 s4, s44, 6
	s_mul_hi_u32 s3, s2, s4
	s_mul_i32 s2, s2, s4
	s_lshl_b64 s[2:3], s[2:3], 1
	v_lshlrev_b32_e32 v0, 10, v0
	s_waitcnt lgkmcnt(0)
	s_add_u32 s2, s0, s2
	v_and_b32_e32 v0, 0x1800, v0
	v_lshlrev_b32_e32 v2, 5, v1
	v_and_b32_e32 v3, 16, v47
	s_addc_u32 s3, s1, s3
	s_lshl_b32 s0, s24, 6
	s_mov_b32 s1, 0
	v_or3_b32 v0, v0, v2, v3
	s_lshl_b64 s[0:1], s[0:1], 1
	ds_read_b128 v[2:5], v0
	s_add_u32 s2, s2, s0
	v_or_b32_e32 v0, s25, v1
	s_addc_u32 s3, s3, s1
	v_mad_u64_u32 v[0:1], s[0:1], s4, v0, 0
	v_lshlrev_b64 v[0:1], 1, v[0:1]
	v_mov_b32_e32 v6, s3
	v_add_co_u32_e32 v0, vcc, s2, v0
	v_addc_co_u32_e32 v1, vcc, v6, v1, vcc
	v_add_co_u32_e32 v0, vcc, v0, v46
	v_addc_co_u32_e32 v1, vcc, 0, v1, vcc
	s_waitcnt lgkmcnt(0)
	global_store_dwordx4 v[0:1], v[2:5], off
.LBB591_787:
	s_endpgm
	.section	.rodata,"a",@progbits
	.p2align	6, 0x0
	.amdhsa_kernel _Z39paged_attention_ll4mi_QKV_mfma16_kernelIDF16_hLN4vllm18Fp8KVCacheDataTypeE1EDF16_Li32ELi64ELi256ELb1ELi2EL8MFMAType0EEvPKT_PKT0_S8_ifPKiSA_SA_iPKfiiiPfSD_PS3_PT2_iSC_SC_
		.amdhsa_group_segment_fixed_size 8192
		.amdhsa_private_segment_fixed_size 0
		.amdhsa_kernarg_size 400
		.amdhsa_user_sgpr_count 6
		.amdhsa_user_sgpr_private_segment_buffer 1
		.amdhsa_user_sgpr_dispatch_ptr 0
		.amdhsa_user_sgpr_queue_ptr 0
		.amdhsa_user_sgpr_kernarg_segment_ptr 1
		.amdhsa_user_sgpr_dispatch_id 0
		.amdhsa_user_sgpr_flat_scratch_init 0
		.amdhsa_user_sgpr_kernarg_preload_length 0
		.amdhsa_user_sgpr_kernarg_preload_offset 0
		.amdhsa_user_sgpr_private_segment_size 0
		.amdhsa_uses_dynamic_stack 0
		.amdhsa_system_sgpr_private_segment_wavefront_offset 0
		.amdhsa_system_sgpr_workgroup_id_x 1
		.amdhsa_system_sgpr_workgroup_id_y 1
		.amdhsa_system_sgpr_workgroup_id_z 1
		.amdhsa_system_sgpr_workgroup_info 0
		.amdhsa_system_vgpr_workitem_id 0
		.amdhsa_next_free_vgpr 63
		.amdhsa_next_free_sgpr 47
		.amdhsa_accum_offset 64
		.amdhsa_reserve_vcc 1
		.amdhsa_reserve_flat_scratch 0
		.amdhsa_float_round_mode_32 0
		.amdhsa_float_round_mode_16_64 0
		.amdhsa_float_denorm_mode_32 3
		.amdhsa_float_denorm_mode_16_64 3
		.amdhsa_dx10_clamp 1
		.amdhsa_ieee_mode 1
		.amdhsa_fp16_overflow 0
		.amdhsa_tg_split 0
		.amdhsa_exception_fp_ieee_invalid_op 0
		.amdhsa_exception_fp_denorm_src 0
		.amdhsa_exception_fp_ieee_div_zero 0
		.amdhsa_exception_fp_ieee_overflow 0
		.amdhsa_exception_fp_ieee_underflow 0
		.amdhsa_exception_fp_ieee_inexact 0
		.amdhsa_exception_int_div_zero 0
	.end_amdhsa_kernel
	.section	.text._Z39paged_attention_ll4mi_QKV_mfma16_kernelIDF16_hLN4vllm18Fp8KVCacheDataTypeE1EDF16_Li32ELi64ELi256ELb1ELi2EL8MFMAType0EEvPKT_PKT0_S8_ifPKiSA_SA_iPKfiiiPfSD_PS3_PT2_iSC_SC_,"axG",@progbits,_Z39paged_attention_ll4mi_QKV_mfma16_kernelIDF16_hLN4vllm18Fp8KVCacheDataTypeE1EDF16_Li32ELi64ELi256ELb1ELi2EL8MFMAType0EEvPKT_PKT0_S8_ifPKiSA_SA_iPKfiiiPfSD_PS3_PT2_iSC_SC_,comdat
.Lfunc_end591:
	.size	_Z39paged_attention_ll4mi_QKV_mfma16_kernelIDF16_hLN4vllm18Fp8KVCacheDataTypeE1EDF16_Li32ELi64ELi256ELb1ELi2EL8MFMAType0EEvPKT_PKT0_S8_ifPKiSA_SA_iPKfiiiPfSD_PS3_PT2_iSC_SC_, .Lfunc_end591-_Z39paged_attention_ll4mi_QKV_mfma16_kernelIDF16_hLN4vllm18Fp8KVCacheDataTypeE1EDF16_Li32ELi64ELi256ELb1ELi2EL8MFMAType0EEvPKT_PKT0_S8_ifPKiSA_SA_iPKfiiiPfSD_PS3_PT2_iSC_SC_
                                        ; -- End function
	.section	.AMDGPU.csdata,"",@progbits
; Kernel info:
; codeLenInByte = 27260
; NumSgprs: 51
; NumVgprs: 63
; NumAgprs: 0
; TotalNumVgprs: 63
; ScratchSize: 0
; MemoryBound: 0
; FloatMode: 240
; IeeeMode: 1
; LDSByteSize: 8192 bytes/workgroup (compile time only)
; SGPRBlocks: 6
; VGPRBlocks: 7
; NumSGPRsForWavesPerEU: 51
; NumVGPRsForWavesPerEU: 63
; AccumOffset: 64
; Occupancy: 8
; WaveLimiterHint : 1
; COMPUTE_PGM_RSRC2:SCRATCH_EN: 0
; COMPUTE_PGM_RSRC2:USER_SGPR: 6
; COMPUTE_PGM_RSRC2:TRAP_HANDLER: 0
; COMPUTE_PGM_RSRC2:TGID_X_EN: 1
; COMPUTE_PGM_RSRC2:TGID_Y_EN: 1
; COMPUTE_PGM_RSRC2:TGID_Z_EN: 1
; COMPUTE_PGM_RSRC2:TIDIG_COMP_CNT: 0
; COMPUTE_PGM_RSRC3_GFX90A:ACCUM_OFFSET: 15
; COMPUTE_PGM_RSRC3_GFX90A:TG_SPLIT: 0
	.section	.text._Z39paged_attention_ll4mi_QKV_mfma16_kernelIDF16_hLN4vllm18Fp8KVCacheDataTypeE1EDF16_Li32ELi64ELi256ELb1ELi3EL8MFMAType0EEvPKT_PKT0_S8_ifPKiSA_SA_iPKfiiiPfSD_PS3_PT2_iSC_SC_,"axG",@progbits,_Z39paged_attention_ll4mi_QKV_mfma16_kernelIDF16_hLN4vllm18Fp8KVCacheDataTypeE1EDF16_Li32ELi64ELi256ELb1ELi3EL8MFMAType0EEvPKT_PKT0_S8_ifPKiSA_SA_iPKfiiiPfSD_PS3_PT2_iSC_SC_,comdat
	.protected	_Z39paged_attention_ll4mi_QKV_mfma16_kernelIDF16_hLN4vllm18Fp8KVCacheDataTypeE1EDF16_Li32ELi64ELi256ELb1ELi3EL8MFMAType0EEvPKT_PKT0_S8_ifPKiSA_SA_iPKfiiiPfSD_PS3_PT2_iSC_SC_ ; -- Begin function _Z39paged_attention_ll4mi_QKV_mfma16_kernelIDF16_hLN4vllm18Fp8KVCacheDataTypeE1EDF16_Li32ELi64ELi256ELb1ELi3EL8MFMAType0EEvPKT_PKT0_S8_ifPKiSA_SA_iPKfiiiPfSD_PS3_PT2_iSC_SC_
	.globl	_Z39paged_attention_ll4mi_QKV_mfma16_kernelIDF16_hLN4vllm18Fp8KVCacheDataTypeE1EDF16_Li32ELi64ELi256ELb1ELi3EL8MFMAType0EEvPKT_PKT0_S8_ifPKiSA_SA_iPKfiiiPfSD_PS3_PT2_iSC_SC_
	.p2align	8
	.type	_Z39paged_attention_ll4mi_QKV_mfma16_kernelIDF16_hLN4vllm18Fp8KVCacheDataTypeE1EDF16_Li32ELi64ELi256ELb1ELi3EL8MFMAType0EEvPKT_PKT0_S8_ifPKiSA_SA_iPKfiiiPfSD_PS3_PT2_iSC_SC_,@function
_Z39paged_attention_ll4mi_QKV_mfma16_kernelIDF16_hLN4vllm18Fp8KVCacheDataTypeE1EDF16_Li32ELi64ELi256ELb1ELi3EL8MFMAType0EEvPKT_PKT0_S8_ifPKiSA_SA_iPKfiiiPfSD_PS3_PT2_iSC_SC_: ; @_Z39paged_attention_ll4mi_QKV_mfma16_kernelIDF16_hLN4vllm18Fp8KVCacheDataTypeE1EDF16_Li32ELi64ELi256ELb1ELi3EL8MFMAType0EEvPKT_PKT0_S8_ifPKiSA_SA_iPKfiiiPfSD_PS3_PT2_iSC_SC_
; %bb.0:
	s_load_dwordx2 s[0:1], s[4:5], 0x30
	s_mov_b32 s24, s7
	s_mov_b64 s[10:11], 0
	s_waitcnt lgkmcnt(0)
	s_cmp_lg_u64 s[0:1], 0
	s_cselect_b64 s[2:3], -1, 0
	s_and_b64 vcc, exec, s[2:3]
	s_cbranch_vccz .LBB592_7
; %bb.1:
	s_add_i32 s12, s6, 1
	s_mov_b32 s13, 0
	s_lshl_b64 s[14:15], s[12:13], 2
	s_add_u32 s14, s0, s14
	s_mov_b32 s7, s13
	s_addc_u32 s15, s1, s15
	s_lshl_b64 s[12:13], s[6:7], 2
	s_add_u32 s12, s0, s12
	s_addc_u32 s13, s1, s13
	s_load_dword s9, s[14:15], 0x0
	s_load_dword s16, s[12:13], 0x0
	s_waitcnt lgkmcnt(0)
	s_sub_i32 s9, s9, s16
	s_cmp_eq_u32 s9, 1
	s_cselect_b64 s[12:13], -1, 0
	s_andn2_b64 vcc, exec, s[10:11]
	s_cbranch_vccnz .LBB592_3
.LBB592_2:
	s_mov_b32 s7, 0
	s_mov_b64 s[12:13], -1
.LBB592_3:
	s_andn2_b64 vcc, exec, s[12:13]
	s_cbranch_vccnz .LBB592_787
; %bb.4:
	s_load_dwordx2 s[12:13], s[4:5], 0x28
	s_lshl_b64 s[10:11], s[6:7], 2
	s_waitcnt lgkmcnt(0)
	s_add_u32 s12, s12, s10
	s_addc_u32 s13, s13, s11
	s_load_dword s33, s[12:13], 0x0
	s_lshl_b32 s18, s24, 8
	s_waitcnt lgkmcnt(0)
	s_cmp_ge_i32 s18, s33
	s_cbranch_scc1 .LBB592_787
; %bb.5:
	s_add_i32 s14, s33, 31
	s_load_dwordx2 s[12:13], s[4:5], 0x20
	s_load_dword s9, s[4:5], 0x38
	s_ashr_i32 s15, s14, 31
	v_and_b32_e32 v1, 0xcf, v0
	s_lshr_b32 s15, s15, 27
	v_add_u32_e32 v1, s18, v1
	s_add_i32 s14, s14, s15
	v_ashrrev_i32_e32 v2, 31, v1
	s_ashr_i32 s21, s14, 5
	v_lshrrev_b32_e32 v4, 27, v2
	s_add_i32 s21, s21, -1
	v_add_u32_e32 v2, v1, v4
	s_waitcnt lgkmcnt(0)
	s_mul_i32 s14, s6, s9
	s_mov_b32 s15, 0
	v_ashrrev_i32_e32 v2, 5, v2
	v_mov_b32_e32 v5, s21
	v_cmp_gt_i32_e32 vcc, s33, v1
	s_lshl_b64 s[14:15], s[14:15], 2
	v_cndmask_b32_e32 v2, v5, v2, vcc
	s_add_u32 s19, s12, s14
	v_ashrrev_i32_e32 v3, 31, v2
	s_addc_u32 s20, s13, s15
	v_lshlrev_b64 v[2:3], 2, v[2:3]
	v_mov_b32_e32 v7, s20
	v_add_co_u32_e32 v6, vcc, s19, v2
	v_or_b32_e32 v2, 16, v1
	v_addc_co_u32_e32 v7, vcc, v7, v3, vcc
	v_add_u32_e32 v3, v2, v4
	v_ashrrev_i32_e32 v3, 5, v3
	v_cmp_gt_i32_e32 vcc, s33, v2
	v_cndmask_b32_e32 v2, v5, v3, vcc
	v_ashrrev_i32_e32 v3, 31, v2
	v_lshlrev_b64 v[2:3], 2, v[2:3]
	v_mov_b32_e32 v9, s20
	v_add_co_u32_e32 v8, vcc, s19, v2
	v_or_b32_e32 v2, 32, v1
	v_addc_co_u32_e32 v9, vcc, v9, v3, vcc
	v_add_u32_e32 v3, v2, v4
	v_ashrrev_i32_e32 v3, 5, v3
	v_cmp_gt_i32_e32 vcc, s33, v2
	v_cndmask_b32_e32 v2, v5, v3, vcc
	v_ashrrev_i32_e32 v3, 31, v2
	;; [unrolled: 10-line block ×3, first 2 shown]
	v_lshlrev_b64 v[2:3], 2, v[2:3]
	v_mov_b32_e32 v1, s20
	v_add_co_u32_e32 v12, vcc, s19, v2
	v_addc_co_u32_e32 v13, vcc, v1, v3, vcc
	global_load_dword v5, v[6:7], off
	global_load_dword v4, v[8:9], off
	global_load_dword v3, v[10:11], off
	global_load_dword v2, v[12:13], off
	s_load_dwordx2 s[16:17], s[4:5], 0x8
	s_andn2_b64 vcc, exec, s[2:3]
	s_cbranch_vccnz .LBB592_8
; %bb.6:
	s_add_u32 s0, s0, s10
	s_addc_u32 s1, s1, s11
	s_load_dword s9, s[0:1], 0x0
	s_branch .LBB592_9
.LBB592_7:
	s_mov_b64 s[12:13], 0
	s_branch .LBB592_2
.LBB592_8:
	s_mov_b32 s9, s6
.LBB592_9:
	s_load_dwordx2 s[2:3], s[4:5], 0x10
	s_load_dwordx4 s[12:15], s[4:5], 0x48
	v_lshrrev_b32_e32 v51, 6, v0
	v_bfe_u32 v47, v0, 4, 2
	v_lshl_or_b32 v6, v51, 2, v47
	v_and_b32_e32 v50, 15, v0
	s_mul_i32 s25, s8, 3
	v_lshlrev_b32_e32 v7, 3, v50
	v_cmp_gt_u32_e32 vcc, 3, v6
	v_cmp_gt_u32_e64 s[0:1], 8, v50
	v_add_u32_e32 v1, s25, v47
	s_and_b64 s[22:23], s[0:1], vcc
	v_lshlrev_b32_e32 v46, 1, v7
	v_lshlrev_b32_e32 v48, 4, v0
	s_and_saveexec_b64 s[10:11], s[22:23]
	s_cbranch_execz .LBB592_11
; %bb.10:
	s_load_dwordx2 s[22:23], s[4:5], 0x0
	s_waitcnt lgkmcnt(0)
	s_ashr_i32 s15, s12, 31
	s_mul_hi_u32 s26, s9, s12
	s_mul_i32 s15, s9, s15
	s_add_i32 s27, s26, s15
	s_mul_i32 s26, s9, s12
	s_lshl_b64 s[26:27], s[26:27], 1
	v_lshlrev_b32_e32 v8, 6, v1
	s_add_u32 s9, s22, s26
	v_ashrrev_i32_e32 v9, 31, v8
	s_addc_u32 s12, s23, s27
	v_lshlrev_b64 v[8:9], 1, v[8:9]
	v_mov_b32_e32 v7, s12
	v_add_co_u32_e32 v8, vcc, s9, v8
	v_addc_co_u32_e32 v7, vcc, v7, v9, vcc
	v_add_co_u32_e32 v8, vcc, v8, v46
	v_addc_co_u32_e32 v9, vcc, 0, v7, vcc
	global_load_dwordx4 v[8:11], v[8:9], off
	v_lshlrev_b32_e32 v12, 8, v50
	v_lshlrev_b32_e32 v6, 5, v6
	v_and_b32_e32 v7, 16, v48
	v_and_b32_e32 v12, 0xe00, v12
	v_or3_b32 v6, v12, v6, v7
	s_waitcnt vmcnt(0)
	ds_write_b128 v6, v[8:11]
.LBB592_11:
	s_or_b64 exec, exec, s[10:11]
	s_waitcnt lgkmcnt(0)
	s_mul_i32 s10, s8, s14
	s_add_u32 s8, s16, s10
	s_addc_u32 s9, s17, 0
	v_pk_mov_b32 v[8:9], s[8:9], s[8:9] op_sel:[0,1]
	s_waitcnt vmcnt(3)
	v_mad_i64_i32 v[10:11], s[8:9], v5, s13, v[8:9]
	v_lshlrev_b32_e32 v12, 4, v50
	v_and_b32_e32 v6, 48, v0
	v_add_co_u32_e32 v5, vcc, v10, v12
	v_lshlrev_b32_e32 v7, 5, v6
	v_addc_co_u32_e32 v11, vcc, 0, v11, vcc
	v_add_co_u32_e32 v10, vcc, v5, v7
	v_addc_co_u32_e32 v11, vcc, 0, v11, vcc
	s_waitcnt vmcnt(2)
	v_mad_i64_i32 v[4:5], s[8:9], v4, s13, v[8:9]
	v_or_b32_e32 v13, 0x100, v12
	v_add_co_u32_e32 v4, vcc, v4, v13
	v_addc_co_u32_e32 v5, vcc, 0, v5, vcc
	v_add_co_u32_e32 v4, vcc, v4, v7
	v_addc_co_u32_e32 v5, vcc, 0, v5, vcc
	s_barrier
	global_load_dwordx4 v[34:37], v[10:11], off
	global_load_dwordx4 v[38:41], v[4:5], off
	s_waitcnt vmcnt(3)
	v_mad_i64_i32 v[4:5], s[8:9], v3, s13, v[8:9]
	v_add_co_u32_e32 v3, vcc, v4, v12
	v_addc_co_u32_e32 v5, vcc, 0, v5, vcc
	v_add_co_u32_e32 v4, vcc, v3, v7
	v_addc_co_u32_e32 v5, vcc, 0, v5, vcc
	s_waitcnt vmcnt(2)
	v_mad_i64_i32 v[2:3], s[8:9], v2, s13, v[8:9]
	v_add_co_u32_e32 v2, vcc, v2, v13
	v_addc_co_u32_e32 v3, vcc, 0, v3, vcc
	v_add_co_u32_e32 v2, vcc, v2, v7
	v_addc_co_u32_e32 v3, vcc, 0, v3, vcc
	global_load_dwordx4 v[30:33], v[4:5], off
	global_load_dwordx4 v[22:25], v[2:3], off
	v_mul_lo_u16_e32 v2, 0x56, v50
	v_mov_b32_e32 v3, 3
	v_mul_lo_u16_sdwa v2, v2, v3 dst_sel:DWORD dst_unused:UNUSED_PAD src0_sel:BYTE_1 src1_sel:DWORD
	v_sub_u16_e32 v2, v50, v2
	v_mov_b32_e32 v3, 5
	v_lshlrev_b32_sdwa v2, v3, v2 dst_sel:DWORD dst_unused:UNUSED_PAD src0_sel:DWORD src1_sel:BYTE_0
	v_lshl_add_u32 v2, v47, 9, v2
	ds_read_b128 v[26:29], v2
	ds_read_b128 v[18:21], v2 offset:16
	v_cmp_gt_u32_e32 vcc, 3, v50
	v_mov_b32_e32 v43, 0
	v_mov_b32_e32 v52, 0
	s_and_saveexec_b64 s[8:9], vcc
	s_cbranch_execz .LBB592_13
; %bb.12:
	s_load_dwordx2 s[14:15], s[4:5], 0x40
	v_add_u32_e32 v2, s25, v50
	v_ashrrev_i32_e32 v3, 31, v2
	v_lshlrev_b64 v[2:3], 2, v[2:3]
	s_waitcnt lgkmcnt(0)
	v_mov_b32_e32 v4, s15
	v_add_co_u32_e32 v2, vcc, s14, v2
	v_addc_co_u32_e32 v3, vcc, v4, v3, vcc
	global_load_dword v52, v[2:3], off
.LBB592_13:
	s_or_b64 exec, exec, s[8:9]
	s_ashr_i32 s8, s18, 31
	v_or_b32_e32 v8, s18, v6
	s_lshr_b32 s8, s8, 27
	v_add_u32_e32 v2, s8, v8
	v_ashrrev_i32_e32 v2, 5, v2
	v_mov_b32_e32 v9, s21
	v_cmp_gt_i32_e32 vcc, s33, v8
	v_cndmask_b32_e32 v2, v9, v2, vcc
	v_ashrrev_i32_e32 v3, 31, v2
	v_lshlrev_b64 v[2:3], 2, v[2:3]
	v_mov_b32_e32 v4, s20
	v_add_co_u32_e32 v2, vcc, s19, v2
	v_addc_co_u32_e32 v3, vcc, v4, v3, vcc
	v_or_b32_e32 v4, 64, v8
	v_add_u32_e32 v5, s8, v4
	v_ashrrev_i32_e32 v5, 5, v5
	v_cmp_gt_i32_e32 vcc, s33, v4
	v_cndmask_b32_e32 v4, v9, v5, vcc
	v_ashrrev_i32_e32 v5, 31, v4
	v_lshlrev_b64 v[4:5], 2, v[4:5]
	v_mov_b32_e32 v6, s20
	v_add_co_u32_e32 v4, vcc, s19, v4
	v_addc_co_u32_e32 v5, vcc, v6, v5, vcc
	v_or_b32_e32 v6, 0x80, v8
	v_add_u32_e32 v7, s8, v6
	v_ashrrev_i32_e32 v7, 5, v7
	v_cmp_gt_i32_e32 vcc, s33, v6
	v_cndmask_b32_e32 v6, v9, v7, vcc
	v_ashrrev_i32_e32 v7, 31, v6
	v_lshlrev_b64 v[6:7], 2, v[6:7]
	v_mov_b32_e32 v10, s20
	v_add_co_u32_e32 v6, vcc, s19, v6
	v_addc_co_u32_e32 v7, vcc, v10, v7, vcc
	global_load_dword v10, v[2:3], off
	global_load_dword v11, v[4:5], off
	;; [unrolled: 1-line block ×3, first 2 shown]
	v_or_b32_e32 v2, 0xc0, v8
	v_add_u32_e32 v3, s8, v2
	v_ashrrev_i32_e32 v3, 5, v3
	v_cmp_gt_i32_e32 vcc, s33, v2
	v_cndmask_b32_e32 v2, v9, v3, vcc
	v_ashrrev_i32_e32 v3, 31, v2
	v_lshlrev_b64 v[2:3], 2, v[2:3]
	v_mov_b32_e32 v4, s20
	v_add_co_u32_e32 v2, vcc, s19, v2
	v_addc_co_u32_e32 v3, vcc, v4, v3, vcc
	global_load_dword v13, v[2:3], off
	s_add_u32 s2, s2, s10
	v_and_b32_e32 v2, 16, v0
	s_addc_u32 s3, s3, 0
	v_lshlrev_b32_e32 v49, 5, v50
	v_mov_b32_e32 v4, s3
	v_add_co_u32_e32 v2, vcc, s2, v2
	v_lshl_or_b32 v3, v51, 9, v49
	v_addc_co_u32_e32 v4, vcc, 0, v4, vcc
	v_add_co_u32_e32 v2, vcc, v2, v3
	v_addc_co_u32_e32 v3, vcc, 0, v4, vcc
	s_movk_i32 s8, 0x80
	s_waitcnt vmcnt(7)
	v_cmp_ne_u16_sdwa s[10:11], v34, v43 src0_sel:BYTE_0 src1_sel:DWORD
	s_waitcnt vmcnt(3)
	v_mad_i64_i32 v[4:5], s[2:3], v10, s13, v[2:3]
	s_waitcnt vmcnt(2)
	v_mad_i64_i32 v[6:7], s[2:3], v11, s13, v[2:3]
	;; [unrolled: 2-line block ×4, first 2 shown]
	global_load_dwordx4 v[14:17], v[4:5], off
	global_load_dwordx4 v[10:13], v[6:7], off
	s_nop 0
	global_load_dwordx4 v[6:9], v[8:9], off
	s_nop 0
	global_load_dwordx4 v[2:5], v[2:3], off
	s_load_dwordx4 s[40:43], s[4:5], 0x80
	s_load_dwordx2 s[44:45], s[4:5], 0x94
	s_waitcnt lgkmcnt(0)
	s_load_dword s12, s[40:41], 0x0
	s_and_saveexec_b64 s[2:3], s[10:11]
	s_cbranch_execz .LBB592_19
; %bb.14:
	v_cmp_ne_u16_sdwa s[10:11], v34, s8 src0_sel:BYTE_0 src1_sel:DWORD
	v_bfrev_b32_e32 v43, 1
	s_and_saveexec_b64 s[8:9], s[10:11]
	s_cbranch_execz .LBB592_18
; %bb.15:
	s_movk_i32 s10, 0x7f
	v_and_b32_e32 v42, 0x7f, v34
	v_cmp_ne_u32_e32 vcc, s10, v42
	v_mov_b32_e32 v43, 0x7f800001
	s_and_saveexec_b64 s[10:11], vcc
	s_cbranch_execz .LBB592_17
; %bb.16:
	v_and_b32_e32 v43, 7, v34
	v_ffbh_u32_e32 v44, v43
	v_min_u32_e32 v54, 32, v44
	v_subrev_u32_e32 v44, 28, v54
	v_lshlrev_b64 v[44:45], v44, v[34:35]
	v_lshrrev_b32_e32 v53, 3, v42
	v_sub_u32_e32 v45, 29, v54
	v_and_b32_e32 v44, 7, v44
	v_cmp_gt_u32_e32 vcc, 8, v42
	v_cndmask_b32_e32 v42, v53, v45, vcc
	v_cndmask_b32_e32 v43, v43, v44, vcc
	v_lshlrev_b32_e32 v44, 24, v34
	v_bfrev_b32_e32 v45, 60
	v_lshlrev_b32_e32 v43, 20, v43
	v_and_b32_e32 v44, 0x80000000, v44
	v_lshl_add_u32 v42, v42, 23, v45
	v_or3_b32 v43, v44, v42, v43
.LBB592_17:
	s_or_b64 exec, exec, s[10:11]
.LBB592_18:
	s_or_b64 exec, exec, s[8:9]
.LBB592_19:
	s_or_b64 exec, exec, s[2:3]
	v_lshrrev_b16_e32 v42, 8, v34
	v_cmp_ne_u16_e32 vcc, 0, v42
	v_mov_b32_e32 v44, 0
	v_mov_b32_e32 v45, 0
	s_and_saveexec_b64 s[2:3], vcc
	s_cbranch_execz .LBB592_25
; %bb.20:
	s_movk_i32 s8, 0x80
	v_cmp_ne_u16_e32 vcc, s8, v42
	v_bfrev_b32_e32 v45, 1
	s_and_saveexec_b64 s[8:9], vcc
	s_cbranch_execz .LBB592_24
; %bb.21:
	s_movk_i32 s10, 0x7f
	v_and_b32_e32 v53, 0x7f, v42
	v_cmp_ne_u32_e32 vcc, s10, v53
	v_mov_b32_e32 v45, 0x7f800001
	s_and_saveexec_b64 s[10:11], vcc
	s_cbranch_execz .LBB592_23
; %bb.22:
	v_and_b32_e32 v45, 7, v42
	v_ffbh_u32_e32 v54, v45
	v_min_u32_e32 v57, 32, v54
	v_subrev_u32_e32 v54, 28, v57
	v_lshlrev_b64 v[54:55], v54, v[42:43]
	v_lshrrev_b32_e32 v56, 3, v53
	v_sub_u32_e32 v42, 29, v57
	v_and_b32_e32 v54, 7, v54
	v_cmp_gt_u32_e32 vcc, 8, v53
	v_cndmask_b32_e32 v42, v56, v42, vcc
	v_cndmask_b32_e32 v45, v45, v54, vcc
	v_lshlrev_b32_e32 v53, 16, v34
	v_bfrev_b32_e32 v54, 60
	v_lshlrev_b32_e32 v45, 20, v45
	v_and_b32_e32 v53, 0x80000000, v53
	v_lshl_add_u32 v42, v42, 23, v54
	v_or3_b32 v45, v53, v42, v45
.LBB592_23:
	s_or_b64 exec, exec, s[10:11]
.LBB592_24:
	s_or_b64 exec, exec, s[8:9]
.LBB592_25:
	s_or_b64 exec, exec, s[2:3]
	s_movk_i32 s2, 0xff
	v_and_b32_sdwa v53, v34, s2 dst_sel:DWORD dst_unused:UNUSED_PAD src0_sel:WORD_1 src1_sel:DWORD
	v_lshrrev_b32_e32 v42, 16, v34
	v_cmp_ne_u16_e32 vcc, 0, v53
	s_and_saveexec_b64 s[2:3], vcc
	s_cbranch_execz .LBB592_31
; %bb.26:
	s_movk_i32 s8, 0x80
	v_cmp_ne_u16_e32 vcc, s8, v53
	v_bfrev_b32_e32 v44, 1
	s_and_saveexec_b64 s[8:9], vcc
	s_cbranch_execz .LBB592_30
; %bb.27:
	v_bfe_u32 v53, v34, 16, 7
	s_movk_i32 s10, 0x7f
	v_cmp_ne_u32_e32 vcc, s10, v53
	v_mov_b32_e32 v44, 0x7f800001
	s_and_saveexec_b64 s[10:11], vcc
	s_cbranch_execz .LBB592_29
; %bb.28:
	v_and_b32_e32 v44, 7, v42
	v_ffbh_u32_e32 v54, v44
	v_min_u32_e32 v57, 32, v54
	v_subrev_u32_e32 v54, 28, v57
	v_lshlrev_b64 v[54:55], v54, v[42:43]
	v_lshrrev_b32_e32 v56, 3, v53
	v_sub_u32_e32 v42, 29, v57
	v_and_b32_e32 v54, 7, v54
	v_cmp_gt_u32_e32 vcc, 8, v53
	v_mov_b32_e32 v53, 24
	v_cndmask_b32_e32 v42, v56, v42, vcc
	v_cndmask_b32_e32 v44, v44, v54, vcc
	v_lshlrev_b32_sdwa v53, v53, v34 dst_sel:DWORD dst_unused:UNUSED_PAD src0_sel:DWORD src1_sel:WORD_1
	v_bfrev_b32_e32 v54, 60
	v_lshlrev_b32_e32 v44, 20, v44
	v_and_b32_e32 v53, 0x80000000, v53
	v_lshl_add_u32 v42, v42, 23, v54
	v_or3_b32 v44, v53, v42, v44
.LBB592_29:
	s_or_b64 exec, exec, s[10:11]
.LBB592_30:
	s_or_b64 exec, exec, s[8:9]
.LBB592_31:
	s_or_b64 exec, exec, s[2:3]
	s_mov_b32 s2, 0xffffff
	v_cmp_lt_u32_e32 vcc, s2, v34
	v_mov_b32_e32 v54, 0
	v_mov_b32_e32 v55, 0
	s_and_saveexec_b64 s[2:3], vcc
	s_cbranch_execz .LBB592_37
; %bb.32:
	v_lshrrev_b32_e32 v42, 24, v34
	s_movk_i32 s8, 0x80
	v_cmp_ne_u32_e32 vcc, s8, v42
	v_bfrev_b32_e32 v55, 1
	s_and_saveexec_b64 s[8:9], vcc
	s_cbranch_execz .LBB592_36
; %bb.33:
	v_bfe_u32 v34, v34, 24, 7
	s_movk_i32 s10, 0x7f
	v_cmp_ne_u32_e32 vcc, s10, v34
	v_mov_b32_e32 v55, 0x7f800001
	s_and_saveexec_b64 s[10:11], vcc
	s_cbranch_execz .LBB592_35
; %bb.34:
	v_and_b32_e32 v53, 7, v42
	v_ffbh_u32_e32 v56, v53
	v_min_u32_e32 v58, 32, v56
	v_subrev_u32_e32 v56, 28, v58
	v_lshlrev_b64 v[56:57], v56, v[42:43]
	v_lshrrev_b32_e32 v55, 3, v34
	v_sub_u32_e32 v57, 29, v58
	v_and_b32_e32 v56, 7, v56
	v_cmp_gt_u32_e32 vcc, 8, v34
	v_cndmask_b32_e32 v34, v55, v57, vcc
	v_cndmask_b32_e32 v53, v53, v56, vcc
	v_lshlrev_b32_e32 v42, 24, v42
	v_bfrev_b32_e32 v55, 60
	v_lshlrev_b32_e32 v53, 20, v53
	v_and_b32_e32 v42, 0x80000000, v42
	v_lshl_add_u32 v34, v34, 23, v55
	v_or3_b32 v55, v42, v34, v53
.LBB592_35:
	s_or_b64 exec, exec, s[10:11]
.LBB592_36:
	s_or_b64 exec, exec, s[8:9]
.LBB592_37:
	s_or_b64 exec, exec, s[2:3]
	v_cmp_ne_u16_sdwa s[8:9], v35, v54 src0_sel:BYTE_0 src1_sel:DWORD
	s_and_saveexec_b64 s[2:3], s[8:9]
	s_cbranch_execz .LBB592_43
; %bb.38:
	s_movk_i32 s8, 0x80
	v_cmp_ne_u16_sdwa s[10:11], v35, s8 src0_sel:BYTE_0 src1_sel:DWORD
	v_bfrev_b32_e32 v54, 1
	s_and_saveexec_b64 s[8:9], s[10:11]
	s_cbranch_execz .LBB592_42
; %bb.39:
	s_movk_i32 s10, 0x7f
	v_and_b32_e32 v34, 0x7f, v35
	v_cmp_ne_u32_e32 vcc, s10, v34
	v_mov_b32_e32 v54, 0x7f800001
	s_and_saveexec_b64 s[10:11], vcc
	s_cbranch_execz .LBB592_41
; %bb.40:
	v_and_b32_e32 v53, 7, v35
	v_ffbh_u32_e32 v56, v53
	v_min_u32_e32 v58, 32, v56
	v_mov_b32_e32 v42, v35
	v_subrev_u32_e32 v56, 28, v58
	v_lshlrev_b64 v[56:57], v56, v[42:43]
	v_lshrrev_b32_e32 v54, 3, v34
	v_sub_u32_e32 v42, 29, v58
	v_and_b32_e32 v56, 7, v56
	v_cmp_gt_u32_e32 vcc, 8, v34
	v_cndmask_b32_e32 v34, v54, v42, vcc
	v_cndmask_b32_e32 v42, v53, v56, vcc
	v_lshlrev_b32_e32 v53, 24, v35
	v_bfrev_b32_e32 v54, 60
	v_lshlrev_b32_e32 v42, 20, v42
	v_and_b32_e32 v53, 0x80000000, v53
	v_lshl_add_u32 v34, v34, 23, v54
	v_or3_b32 v54, v53, v34, v42
.LBB592_41:
	s_or_b64 exec, exec, s[10:11]
.LBB592_42:
	s_or_b64 exec, exec, s[8:9]
.LBB592_43:
	s_or_b64 exec, exec, s[2:3]
	v_lshrrev_b16_e32 v34, 8, v35
	v_cmp_ne_u16_e32 vcc, 0, v34
	v_mov_b32_e32 v42, 0
	v_mov_b32_e32 v56, 0
	s_and_saveexec_b64 s[2:3], vcc
	s_cbranch_execz .LBB592_49
; %bb.44:
	s_movk_i32 s8, 0x80
	v_cmp_ne_u16_e32 vcc, s8, v34
	v_bfrev_b32_e32 v56, 1
	s_and_saveexec_b64 s[8:9], vcc
	s_cbranch_execz .LBB592_48
; %bb.45:
	s_movk_i32 s10, 0x7f
	v_and_b32_e32 v53, 0x7f, v34
	v_cmp_ne_u32_e32 vcc, s10, v53
	v_mov_b32_e32 v56, 0x7f800001
	s_and_saveexec_b64 s[10:11], vcc
	s_cbranch_execz .LBB592_47
; %bb.46:
	v_and_b32_e32 v58, 7, v34
	v_ffbh_u32_e32 v56, v58
	v_min_u32_e32 v60, 32, v56
	v_subrev_u32_e32 v56, 28, v60
	v_lshlrev_b64 v[56:57], v56, v[34:35]
	v_lshrrev_b32_e32 v59, 3, v53
	v_sub_u32_e32 v34, 29, v60
	v_and_b32_e32 v56, 7, v56
	v_cmp_gt_u32_e32 vcc, 8, v53
	v_cndmask_b32_e32 v34, v59, v34, vcc
	v_cndmask_b32_e32 v53, v58, v56, vcc
	v_lshlrev_b32_e32 v56, 16, v35
	v_bfrev_b32_e32 v57, 60
	v_lshlrev_b32_e32 v53, 20, v53
	v_and_b32_e32 v56, 0x80000000, v56
	v_lshl_add_u32 v34, v34, 23, v57
	v_or3_b32 v56, v56, v34, v53
.LBB592_47:
	s_or_b64 exec, exec, s[10:11]
.LBB592_48:
	s_or_b64 exec, exec, s[8:9]
.LBB592_49:
	s_or_b64 exec, exec, s[2:3]
	s_movk_i32 s2, 0xff
	v_and_b32_sdwa v53, v35, s2 dst_sel:DWORD dst_unused:UNUSED_PAD src0_sel:WORD_1 src1_sel:DWORD
	v_lshrrev_b32_e32 v34, 16, v35
	v_cmp_ne_u16_e32 vcc, 0, v53
	s_and_saveexec_b64 s[2:3], vcc
	s_cbranch_execz .LBB592_55
; %bb.50:
	s_movk_i32 s8, 0x80
	v_cmp_ne_u16_e32 vcc, s8, v53
	v_bfrev_b32_e32 v42, 1
	s_and_saveexec_b64 s[8:9], vcc
	s_cbranch_execz .LBB592_54
; %bb.51:
	v_bfe_u32 v53, v35, 16, 7
	s_movk_i32 s10, 0x7f
	v_cmp_ne_u32_e32 vcc, s10, v53
	v_mov_b32_e32 v42, 0x7f800001
	s_and_saveexec_b64 s[10:11], vcc
	s_cbranch_execz .LBB592_53
; %bb.52:
	v_and_b32_e32 v42, 7, v34
	v_ffbh_u32_e32 v58, v42
	v_min_u32_e32 v60, 32, v58
	v_subrev_u32_e32 v58, 28, v60
	v_lshlrev_b64 v[58:59], v58, v[34:35]
	v_lshrrev_b32_e32 v57, 3, v53
	v_sub_u32_e32 v34, 29, v60
	v_and_b32_e32 v58, 7, v58
	v_cmp_gt_u32_e32 vcc, 8, v53
	v_mov_b32_e32 v53, 24
	v_cndmask_b32_e32 v34, v57, v34, vcc
	v_cndmask_b32_e32 v42, v42, v58, vcc
	v_lshlrev_b32_sdwa v53, v53, v35 dst_sel:DWORD dst_unused:UNUSED_PAD src0_sel:DWORD src1_sel:WORD_1
	v_bfrev_b32_e32 v57, 60
	v_lshlrev_b32_e32 v42, 20, v42
	v_and_b32_e32 v53, 0x80000000, v53
	v_lshl_add_u32 v34, v34, 23, v57
	v_or3_b32 v42, v53, v34, v42
.LBB592_53:
	s_or_b64 exec, exec, s[10:11]
.LBB592_54:
	s_or_b64 exec, exec, s[8:9]
.LBB592_55:
	s_or_b64 exec, exec, s[2:3]
	s_mov_b32 s2, 0xffffff
	v_cmp_lt_u32_e32 vcc, s2, v35
	v_mov_b32_e32 v53, 0
	v_mov_b32_e32 v57, 0
	s_and_saveexec_b64 s[2:3], vcc
	s_cbranch_execz .LBB592_61
; %bb.56:
	v_lshrrev_b32_e32 v34, 24, v35
	s_movk_i32 s8, 0x80
	v_cmp_ne_u32_e32 vcc, s8, v34
	v_bfrev_b32_e32 v57, 1
	s_and_saveexec_b64 s[8:9], vcc
	s_cbranch_execz .LBB592_60
; %bb.57:
	v_bfe_u32 v35, v35, 24, 7
	s_movk_i32 s10, 0x7f
	v_cmp_ne_u32_e32 vcc, s10, v35
	v_mov_b32_e32 v57, 0x7f800001
	s_and_saveexec_b64 s[10:11], vcc
	s_cbranch_execz .LBB592_59
; %bb.58:
	v_and_b32_e32 v57, 7, v34
	v_ffbh_u32_e32 v58, v57
	v_min_u32_e32 v61, 32, v58
	v_subrev_u32_e32 v58, 28, v61
	v_lshlrev_b64 v[58:59], v58, v[34:35]
	v_lshrrev_b32_e32 v60, 3, v35
	v_sub_u32_e32 v59, 29, v61
	v_and_b32_e32 v58, 7, v58
	v_cmp_gt_u32_e32 vcc, 8, v35
	v_cndmask_b32_e32 v35, v60, v59, vcc
	v_cndmask_b32_e32 v57, v57, v58, vcc
	v_lshlrev_b32_e32 v34, 24, v34
	v_bfrev_b32_e32 v58, 60
	v_lshlrev_b32_e32 v57, 20, v57
	v_and_b32_e32 v34, 0x80000000, v34
	v_lshl_add_u32 v35, v35, 23, v58
	v_or3_b32 v57, v34, v35, v57
.LBB592_59:
	s_or_b64 exec, exec, s[10:11]
.LBB592_60:
	s_or_b64 exec, exec, s[8:9]
.LBB592_61:
	s_or_b64 exec, exec, s[2:3]
	v_cvt_pkrtz_f16_f32 v34, v43, v45
	v_cvt_pkrtz_f16_f32 v35, v44, v55
	v_cmp_ne_u16_sdwa s[8:9], v36, v53 src0_sel:BYTE_0 src1_sel:DWORD
	s_nop 0
	v_mfma_f32_16x16x16f16 v[58:61], v[34:35], v[26:27], 0
	v_cvt_pkrtz_f16_f32 v34, v54, v56
	v_cvt_pkrtz_f16_f32 v35, v42, v57
	s_nop 1
	v_mfma_f32_16x16x16f16 v[42:45], v[34:35], v[28:29], v[58:61]
	s_and_saveexec_b64 s[2:3], s[8:9]
	s_cbranch_execz .LBB592_67
; %bb.62:
	s_movk_i32 s8, 0x80
	v_cmp_ne_u16_sdwa s[10:11], v36, s8 src0_sel:BYTE_0 src1_sel:DWORD
	v_bfrev_b32_e32 v53, 1
	s_and_saveexec_b64 s[8:9], s[10:11]
	s_cbranch_execz .LBB592_66
; %bb.63:
	s_movk_i32 s10, 0x7f
	v_and_b32_e32 v34, 0x7f, v36
	v_cmp_ne_u32_e32 vcc, s10, v34
	v_mov_b32_e32 v53, 0x7f800001
	s_and_saveexec_b64 s[10:11], vcc
	s_cbranch_execz .LBB592_65
; %bb.64:
	v_and_b32_e32 v35, 7, v36
	v_ffbh_u32_e32 v54, v35
	v_min_u32_e32 v56, 32, v54
	v_subrev_u32_e32 v54, 28, v56
	v_lshlrev_b64 v[54:55], v54, v[36:37]
	v_lshrrev_b32_e32 v53, 3, v34
	v_sub_u32_e32 v55, 29, v56
	v_and_b32_e32 v54, 7, v54
	v_cmp_gt_u32_e32 vcc, 8, v34
	v_cndmask_b32_e32 v34, v53, v55, vcc
	v_cndmask_b32_e32 v35, v35, v54, vcc
	v_lshlrev_b32_e32 v53, 24, v36
	v_bfrev_b32_e32 v54, 60
	v_lshlrev_b32_e32 v35, 20, v35
	v_and_b32_e32 v53, 0x80000000, v53
	v_lshl_add_u32 v34, v34, 23, v54
	v_or3_b32 v53, v53, v34, v35
.LBB592_65:
	s_or_b64 exec, exec, s[10:11]
.LBB592_66:
	s_or_b64 exec, exec, s[8:9]
.LBB592_67:
	s_or_b64 exec, exec, s[2:3]
	v_lshrrev_b16_e32 v34, 8, v36
	v_cmp_ne_u16_e32 vcc, 0, v34
	v_mov_b32_e32 v35, 0
	v_mov_b32_e32 v55, 0
	s_and_saveexec_b64 s[2:3], vcc
	s_cbranch_execz .LBB592_73
; %bb.68:
	s_movk_i32 s8, 0x80
	v_cmp_ne_u16_e32 vcc, s8, v34
	v_bfrev_b32_e32 v55, 1
	s_and_saveexec_b64 s[8:9], vcc
	s_cbranch_execz .LBB592_72
; %bb.69:
	s_movk_i32 s10, 0x7f
	v_and_b32_e32 v54, 0x7f, v34
	v_cmp_ne_u32_e32 vcc, s10, v54
	v_mov_b32_e32 v55, 0x7f800001
	s_and_saveexec_b64 s[10:11], vcc
	s_cbranch_execz .LBB592_71
; %bb.70:
	v_and_b32_e32 v55, 7, v34
	v_ffbh_u32_e32 v56, v55
	v_min_u32_e32 v59, 32, v56
	v_subrev_u32_e32 v56, 28, v59
	v_lshlrev_b64 v[56:57], v56, v[34:35]
	v_lshrrev_b32_e32 v58, 3, v54
	v_sub_u32_e32 v34, 29, v59
	v_and_b32_e32 v56, 7, v56
	v_cmp_gt_u32_e32 vcc, 8, v54
	v_cndmask_b32_e32 v34, v58, v34, vcc
	v_cndmask_b32_e32 v54, v55, v56, vcc
	v_lshlrev_b32_e32 v55, 16, v36
	v_bfrev_b32_e32 v56, 60
	v_lshlrev_b32_e32 v54, 20, v54
	v_and_b32_e32 v55, 0x80000000, v55
	v_lshl_add_u32 v34, v34, 23, v56
	v_or3_b32 v55, v55, v34, v54
.LBB592_71:
	s_or_b64 exec, exec, s[10:11]
.LBB592_72:
	s_or_b64 exec, exec, s[8:9]
.LBB592_73:
	s_or_b64 exec, exec, s[2:3]
	s_movk_i32 s2, 0xff
	v_and_b32_sdwa v54, v36, s2 dst_sel:DWORD dst_unused:UNUSED_PAD src0_sel:WORD_1 src1_sel:DWORD
	v_lshrrev_b32_e32 v34, 16, v36
	v_cmp_ne_u16_e32 vcc, 0, v54
	s_and_saveexec_b64 s[2:3], vcc
	s_cbranch_execz .LBB592_79
; %bb.74:
	s_movk_i32 s8, 0x80
	v_cmp_ne_u16_e32 vcc, s8, v54
	v_bfrev_b32_e32 v35, 1
	s_and_saveexec_b64 s[8:9], vcc
	s_cbranch_execz .LBB592_78
; %bb.75:
	v_bfe_u32 v54, v36, 16, 7
	s_movk_i32 s10, 0x7f
	v_cmp_ne_u32_e32 vcc, s10, v54
	v_mov_b32_e32 v35, 0x7f800001
	s_and_saveexec_b64 s[10:11], vcc
	s_cbranch_execz .LBB592_77
; %bb.76:
	v_and_b32_e32 v56, 7, v34
	v_ffbh_u32_e32 v35, v56
	v_min_u32_e32 v58, 32, v35
	v_subrev_u32_e32 v35, 28, v58
	v_lshlrev_b64 v[34:35], v35, v[34:35]
	v_lshrrev_b32_e32 v57, 3, v54
	v_sub_u32_e32 v35, 29, v58
	v_and_b32_e32 v34, 7, v34
	v_cmp_gt_u32_e32 vcc, 8, v54
	v_mov_b32_e32 v54, 24
	v_cndmask_b32_e32 v35, v57, v35, vcc
	v_cndmask_b32_e32 v34, v56, v34, vcc
	v_lshlrev_b32_sdwa v54, v54, v36 dst_sel:DWORD dst_unused:UNUSED_PAD src0_sel:DWORD src1_sel:WORD_1
	v_bfrev_b32_e32 v56, 60
	v_lshlrev_b32_e32 v34, 20, v34
	v_and_b32_e32 v54, 0x80000000, v54
	v_lshl_add_u32 v35, v35, 23, v56
	v_or3_b32 v35, v54, v35, v34
.LBB592_77:
	s_or_b64 exec, exec, s[10:11]
.LBB592_78:
	s_or_b64 exec, exec, s[8:9]
.LBB592_79:
	s_or_b64 exec, exec, s[2:3]
	s_mov_b32 s2, 0xffffff
	v_cmp_lt_u32_e32 vcc, s2, v36
	v_mov_b32_e32 v56, 0
	v_mov_b32_e32 v57, 0
	s_and_saveexec_b64 s[2:3], vcc
	s_cbranch_execz .LBB592_85
; %bb.80:
	v_lshrrev_b32_e32 v34, 24, v36
	s_movk_i32 s8, 0x80
	v_cmp_ne_u32_e32 vcc, s8, v34
	v_bfrev_b32_e32 v57, 1
	s_and_saveexec_b64 s[8:9], vcc
	s_cbranch_execz .LBB592_84
; %bb.81:
	v_bfe_u32 v36, v36, 24, 7
	s_movk_i32 s10, 0x7f
	v_cmp_ne_u32_e32 vcc, s10, v36
	v_mov_b32_e32 v57, 0x7f800001
	s_and_saveexec_b64 s[10:11], vcc
	s_cbranch_execz .LBB592_83
; %bb.82:
	v_and_b32_e32 v54, 7, v34
	v_ffbh_u32_e32 v58, v54
	v_min_u32_e32 v60, 32, v58
	v_subrev_u32_e32 v58, 28, v60
	v_lshlrev_b64 v[58:59], v58, v[34:35]
	v_lshrrev_b32_e32 v57, 3, v36
	v_sub_u32_e32 v59, 29, v60
	v_and_b32_e32 v58, 7, v58
	v_cmp_gt_u32_e32 vcc, 8, v36
	v_cndmask_b32_e32 v36, v57, v59, vcc
	v_cndmask_b32_e32 v54, v54, v58, vcc
	v_lshlrev_b32_e32 v34, 24, v34
	v_bfrev_b32_e32 v57, 60
	v_lshlrev_b32_e32 v54, 20, v54
	v_and_b32_e32 v34, 0x80000000, v34
	v_lshl_add_u32 v36, v36, 23, v57
	v_or3_b32 v57, v34, v36, v54
.LBB592_83:
	s_or_b64 exec, exec, s[10:11]
.LBB592_84:
	s_or_b64 exec, exec, s[8:9]
.LBB592_85:
	s_or_b64 exec, exec, s[2:3]
	v_cmp_ne_u16_sdwa s[8:9], v37, v56 src0_sel:BYTE_0 src1_sel:DWORD
	s_and_saveexec_b64 s[2:3], s[8:9]
	s_cbranch_execz .LBB592_91
; %bb.86:
	s_movk_i32 s8, 0x80
	v_cmp_ne_u16_sdwa s[10:11], v37, s8 src0_sel:BYTE_0 src1_sel:DWORD
	v_bfrev_b32_e32 v56, 1
	s_and_saveexec_b64 s[8:9], s[10:11]
	s_cbranch_execz .LBB592_90
; %bb.87:
	s_movk_i32 s10, 0x7f
	v_and_b32_e32 v34, 0x7f, v37
	v_cmp_ne_u32_e32 vcc, s10, v34
	v_mov_b32_e32 v56, 0x7f800001
	s_and_saveexec_b64 s[10:11], vcc
	s_cbranch_execz .LBB592_89
; %bb.88:
	v_and_b32_e32 v54, 7, v37
	v_ffbh_u32_e32 v58, v54
	v_min_u32_e32 v60, 32, v58
	v_mov_b32_e32 v36, v37
	v_subrev_u32_e32 v58, 28, v60
	v_lshlrev_b64 v[58:59], v58, v[36:37]
	v_lshrrev_b32_e32 v56, 3, v34
	v_sub_u32_e32 v36, 29, v60
	v_and_b32_e32 v58, 7, v58
	v_cmp_gt_u32_e32 vcc, 8, v34
	v_cndmask_b32_e32 v34, v56, v36, vcc
	v_cndmask_b32_e32 v36, v54, v58, vcc
	v_lshlrev_b32_e32 v54, 24, v37
	v_bfrev_b32_e32 v56, 60
	v_lshlrev_b32_e32 v36, 20, v36
	v_and_b32_e32 v54, 0x80000000, v54
	v_lshl_add_u32 v34, v34, 23, v56
	v_or3_b32 v56, v54, v34, v36
.LBB592_89:
	s_or_b64 exec, exec, s[10:11]
.LBB592_90:
	s_or_b64 exec, exec, s[8:9]
.LBB592_91:
	s_or_b64 exec, exec, s[2:3]
	v_lshrrev_b16_e32 v34, 8, v37
	v_cmp_ne_u16_e32 vcc, 0, v34
	v_mov_b32_e32 v36, 0
	v_mov_b32_e32 v58, 0
	s_and_saveexec_b64 s[2:3], vcc
	s_cbranch_execz .LBB592_97
; %bb.92:
	s_movk_i32 s8, 0x80
	v_cmp_ne_u16_e32 vcc, s8, v34
	v_bfrev_b32_e32 v58, 1
	s_and_saveexec_b64 s[8:9], vcc
	s_cbranch_execz .LBB592_96
; %bb.93:
	s_movk_i32 s10, 0x7f
	v_and_b32_e32 v54, 0x7f, v34
	v_cmp_ne_u32_e32 vcc, s10, v54
	v_mov_b32_e32 v58, 0x7f800001
	s_and_saveexec_b64 s[10:11], vcc
	s_cbranch_execz .LBB592_95
; %bb.94:
	v_and_b32_e32 v60, 7, v34
	v_ffbh_u32_e32 v58, v60
	v_min_u32_e32 v62, 32, v58
	v_subrev_u32_e32 v58, 28, v62
	v_lshlrev_b64 v[58:59], v58, v[34:35]
	v_lshrrev_b32_e32 v61, 3, v54
	v_sub_u32_e32 v34, 29, v62
	v_and_b32_e32 v58, 7, v58
	v_cmp_gt_u32_e32 vcc, 8, v54
	v_cndmask_b32_e32 v34, v61, v34, vcc
	v_cndmask_b32_e32 v54, v60, v58, vcc
	v_lshlrev_b32_e32 v58, 16, v37
	v_bfrev_b32_e32 v59, 60
	v_lshlrev_b32_e32 v54, 20, v54
	v_and_b32_e32 v58, 0x80000000, v58
	v_lshl_add_u32 v34, v34, 23, v59
	v_or3_b32 v58, v58, v34, v54
.LBB592_95:
	s_or_b64 exec, exec, s[10:11]
.LBB592_96:
	s_or_b64 exec, exec, s[8:9]
.LBB592_97:
	s_or_b64 exec, exec, s[2:3]
	s_movk_i32 s2, 0xff
	v_and_b32_sdwa v54, v37, s2 dst_sel:DWORD dst_unused:UNUSED_PAD src0_sel:WORD_1 src1_sel:DWORD
	v_lshrrev_b32_e32 v34, 16, v37
	v_cmp_ne_u16_e32 vcc, 0, v54
	s_and_saveexec_b64 s[2:3], vcc
	s_cbranch_execz .LBB592_103
; %bb.98:
	s_movk_i32 s8, 0x80
	v_cmp_ne_u16_e32 vcc, s8, v54
	v_bfrev_b32_e32 v36, 1
	s_and_saveexec_b64 s[8:9], vcc
	s_cbranch_execz .LBB592_102
; %bb.99:
	v_bfe_u32 v54, v37, 16, 7
	s_movk_i32 s10, 0x7f
	v_cmp_ne_u32_e32 vcc, s10, v54
	v_mov_b32_e32 v36, 0x7f800001
	s_and_saveexec_b64 s[10:11], vcc
	s_cbranch_execz .LBB592_101
; %bb.100:
	v_and_b32_e32 v36, 7, v34
	v_ffbh_u32_e32 v60, v36
	v_min_u32_e32 v62, 32, v60
	v_subrev_u32_e32 v60, 28, v62
	v_lshlrev_b64 v[60:61], v60, v[34:35]
	v_lshrrev_b32_e32 v59, 3, v54
	v_sub_u32_e32 v34, 29, v62
	v_and_b32_e32 v60, 7, v60
	v_cmp_gt_u32_e32 vcc, 8, v54
	v_mov_b32_e32 v54, 24
	v_cndmask_b32_e32 v34, v59, v34, vcc
	v_cndmask_b32_e32 v36, v36, v60, vcc
	v_lshlrev_b32_sdwa v54, v54, v37 dst_sel:DWORD dst_unused:UNUSED_PAD src0_sel:DWORD src1_sel:WORD_1
	v_bfrev_b32_e32 v59, 60
	v_lshlrev_b32_e32 v36, 20, v36
	v_and_b32_e32 v54, 0x80000000, v54
	v_lshl_add_u32 v34, v34, 23, v59
	v_or3_b32 v36, v54, v34, v36
.LBB592_101:
	s_or_b64 exec, exec, s[10:11]
.LBB592_102:
	s_or_b64 exec, exec, s[8:9]
.LBB592_103:
	s_or_b64 exec, exec, s[2:3]
	s_mov_b32 s2, 0xffffff
	v_cmp_lt_u32_e32 vcc, s2, v37
	v_mov_b32_e32 v54, 0
	v_mov_b32_e32 v59, 0
	s_and_saveexec_b64 s[2:3], vcc
	s_cbranch_execz .LBB592_109
; %bb.104:
	v_lshrrev_b32_e32 v34, 24, v37
	s_movk_i32 s8, 0x80
	v_cmp_ne_u32_e32 vcc, s8, v34
	v_bfrev_b32_e32 v59, 1
	s_and_saveexec_b64 s[8:9], vcc
	s_cbranch_execz .LBB592_108
; %bb.105:
	v_bfe_u32 v37, v37, 24, 7
	s_movk_i32 s10, 0x7f
	v_cmp_ne_u32_e32 vcc, s10, v37
	v_mov_b32_e32 v59, 0x7f800001
	s_and_saveexec_b64 s[10:11], vcc
	s_cbranch_execz .LBB592_107
; %bb.106:
	v_and_b32_e32 v59, 7, v34
	v_ffbh_u32_e32 v60, v59
	v_min_u32_e32 v63, 32, v60
	v_subrev_u32_e32 v60, 28, v63
	v_lshlrev_b64 v[60:61], v60, v[34:35]
	v_lshrrev_b32_e32 v62, 3, v37
	v_sub_u32_e32 v61, 29, v63
	v_and_b32_e32 v60, 7, v60
	v_cmp_gt_u32_e32 vcc, 8, v37
	v_cndmask_b32_e32 v37, v62, v61, vcc
	v_cndmask_b32_e32 v59, v59, v60, vcc
	v_lshlrev_b32_e32 v34, 24, v34
	v_bfrev_b32_e32 v60, 60
	v_lshlrev_b32_e32 v59, 20, v59
	v_and_b32_e32 v34, 0x80000000, v34
	v_lshl_add_u32 v37, v37, 23, v60
	v_or3_b32 v59, v34, v37, v59
.LBB592_107:
	s_or_b64 exec, exec, s[10:11]
.LBB592_108:
	s_or_b64 exec, exec, s[8:9]
.LBB592_109:
	s_or_b64 exec, exec, s[2:3]
	v_cvt_pkrtz_f16_f32 v34, v53, v55
	v_cvt_pkrtz_f16_f32 v35, v35, v57
	v_cmp_ne_u16_sdwa s[8:9], v38, v54 src0_sel:BYTE_0 src1_sel:DWORD
	s_nop 0
	v_mfma_f32_16x16x16f16 v[42:45], v[34:35], v[18:19], v[42:45]
	v_cvt_pkrtz_f16_f32 v34, v56, v58
	v_cvt_pkrtz_f16_f32 v35, v36, v59
	s_nop 1
	v_mfma_f32_16x16x16f16 v[34:37], v[34:35], v[20:21], v[42:45]
	s_and_saveexec_b64 s[2:3], s[8:9]
	s_cbranch_execz .LBB592_115
; %bb.110:
	s_movk_i32 s8, 0x80
	v_cmp_ne_u16_sdwa s[10:11], v38, s8 src0_sel:BYTE_0 src1_sel:DWORD
	v_bfrev_b32_e32 v54, 1
	s_and_saveexec_b64 s[8:9], s[10:11]
	s_cbranch_execz .LBB592_114
; %bb.111:
	s_movk_i32 s10, 0x7f
	v_and_b32_e32 v42, 0x7f, v38
	v_cmp_ne_u32_e32 vcc, s10, v42
	v_mov_b32_e32 v54, 0x7f800001
	s_and_saveexec_b64 s[10:11], vcc
	s_cbranch_execz .LBB592_113
; %bb.112:
	v_and_b32_e32 v43, 7, v38
	v_ffbh_u32_e32 v44, v43
	v_min_u32_e32 v54, 32, v44
	v_subrev_u32_e32 v44, 28, v54
	v_lshlrev_b64 v[44:45], v44, v[38:39]
	v_lshrrev_b32_e32 v53, 3, v42
	v_sub_u32_e32 v45, 29, v54
	v_and_b32_e32 v44, 7, v44
	v_cmp_gt_u32_e32 vcc, 8, v42
	v_cndmask_b32_e32 v42, v53, v45, vcc
	v_cndmask_b32_e32 v43, v43, v44, vcc
	v_lshlrev_b32_e32 v44, 24, v38
	v_bfrev_b32_e32 v45, 60
	v_lshlrev_b32_e32 v43, 20, v43
	v_and_b32_e32 v44, 0x80000000, v44
	v_lshl_add_u32 v42, v42, 23, v45
	v_or3_b32 v54, v44, v42, v43
.LBB592_113:
	s_or_b64 exec, exec, s[10:11]
.LBB592_114:
	s_or_b64 exec, exec, s[8:9]
.LBB592_115:
	s_or_b64 exec, exec, s[2:3]
	s_nop 3
	v_lshrrev_b16_e32 v42, 8, v38
	v_cmp_ne_u16_e32 vcc, 0, v42
	v_mov_b32_e32 v43, 0
	v_mov_b32_e32 v44, 0
	s_and_saveexec_b64 s[2:3], vcc
	s_cbranch_execz .LBB592_121
; %bb.116:
	s_movk_i32 s8, 0x80
	v_cmp_ne_u16_e32 vcc, s8, v42
	v_bfrev_b32_e32 v44, 1
	s_and_saveexec_b64 s[8:9], vcc
	s_cbranch_execz .LBB592_120
; %bb.117:
	s_movk_i32 s10, 0x7f
	v_and_b32_e32 v45, 0x7f, v42
	v_cmp_ne_u32_e32 vcc, s10, v45
	v_mov_b32_e32 v44, 0x7f800001
	s_and_saveexec_b64 s[10:11], vcc
	s_cbranch_execz .LBB592_119
; %bb.118:
	v_and_b32_e32 v44, 7, v42
	v_ffbh_u32_e32 v55, v44
	v_min_u32_e32 v55, 32, v55
	v_subrev_u32_e32 v56, 28, v55
	v_lshlrev_b64 v[56:57], v56, v[42:43]
	v_lshrrev_b32_e32 v53, 3, v45
	v_sub_u32_e32 v42, 29, v55
	v_and_b32_e32 v55, 7, v56
	v_cmp_gt_u32_e32 vcc, 8, v45
	v_cndmask_b32_e32 v42, v53, v42, vcc
	v_cndmask_b32_e32 v44, v44, v55, vcc
	v_lshlrev_b32_e32 v45, 16, v38
	v_bfrev_b32_e32 v53, 60
	v_lshlrev_b32_e32 v44, 20, v44
	v_and_b32_e32 v45, 0x80000000, v45
	v_lshl_add_u32 v42, v42, 23, v53
	v_or3_b32 v44, v45, v42, v44
.LBB592_119:
	s_or_b64 exec, exec, s[10:11]
.LBB592_120:
	s_or_b64 exec, exec, s[8:9]
.LBB592_121:
	s_or_b64 exec, exec, s[2:3]
	s_movk_i32 s2, 0xff
	v_and_b32_sdwa v45, v38, s2 dst_sel:DWORD dst_unused:UNUSED_PAD src0_sel:WORD_1 src1_sel:DWORD
	v_lshrrev_b32_e32 v42, 16, v38
	v_cmp_ne_u16_e32 vcc, 0, v45
	s_and_saveexec_b64 s[2:3], vcc
	s_cbranch_execz .LBB592_127
; %bb.122:
	s_movk_i32 s8, 0x80
	v_cmp_ne_u16_e32 vcc, s8, v45
	v_bfrev_b32_e32 v43, 1
	s_and_saveexec_b64 s[8:9], vcc
	s_cbranch_execz .LBB592_126
; %bb.123:
	v_bfe_u32 v45, v38, 16, 7
	s_movk_i32 s10, 0x7f
	v_cmp_ne_u32_e32 vcc, s10, v45
	v_mov_b32_e32 v43, 0x7f800001
	s_and_saveexec_b64 s[10:11], vcc
	s_cbranch_execz .LBB592_125
; %bb.124:
	v_and_b32_e32 v53, 7, v42
	v_ffbh_u32_e32 v43, v53
	v_min_u32_e32 v56, 32, v43
	v_subrev_u32_e32 v43, 28, v56
	v_lshlrev_b64 v[42:43], v43, v[42:43]
	v_lshrrev_b32_e32 v55, 3, v45
	v_sub_u32_e32 v43, 29, v56
	v_and_b32_e32 v42, 7, v42
	v_cmp_gt_u32_e32 vcc, 8, v45
	v_mov_b32_e32 v45, 24
	v_cndmask_b32_e32 v43, v55, v43, vcc
	v_cndmask_b32_e32 v42, v53, v42, vcc
	v_lshlrev_b32_sdwa v45, v45, v38 dst_sel:DWORD dst_unused:UNUSED_PAD src0_sel:DWORD src1_sel:WORD_1
	v_bfrev_b32_e32 v53, 60
	v_lshlrev_b32_e32 v42, 20, v42
	v_and_b32_e32 v45, 0x80000000, v45
	v_lshl_add_u32 v43, v43, 23, v53
	v_or3_b32 v43, v45, v43, v42
.LBB592_125:
	s_or_b64 exec, exec, s[10:11]
.LBB592_126:
	s_or_b64 exec, exec, s[8:9]
.LBB592_127:
	s_or_b64 exec, exec, s[2:3]
	s_mov_b32 s2, 0xffffff
	v_cmp_lt_u32_e32 vcc, s2, v38
	v_mov_b32_e32 v45, 0
	v_mov_b32_e32 v55, 0
	s_and_saveexec_b64 s[2:3], vcc
	s_cbranch_execz .LBB592_133
; %bb.128:
	v_lshrrev_b32_e32 v42, 24, v38
	s_movk_i32 s8, 0x80
	v_cmp_ne_u32_e32 vcc, s8, v42
	v_bfrev_b32_e32 v55, 1
	s_and_saveexec_b64 s[8:9], vcc
	s_cbranch_execz .LBB592_132
; %bb.129:
	v_bfe_u32 v38, v38, 24, 7
	s_movk_i32 s10, 0x7f
	v_cmp_ne_u32_e32 vcc, s10, v38
	v_mov_b32_e32 v55, 0x7f800001
	s_and_saveexec_b64 s[10:11], vcc
	s_cbranch_execz .LBB592_131
; %bb.130:
	v_and_b32_e32 v53, 7, v42
	v_ffbh_u32_e32 v56, v53
	v_min_u32_e32 v58, 32, v56
	v_subrev_u32_e32 v56, 28, v58
	v_lshlrev_b64 v[56:57], v56, v[42:43]
	v_lshrrev_b32_e32 v55, 3, v38
	v_sub_u32_e32 v57, 29, v58
	v_and_b32_e32 v56, 7, v56
	v_cmp_gt_u32_e32 vcc, 8, v38
	v_cndmask_b32_e32 v38, v55, v57, vcc
	v_cndmask_b32_e32 v53, v53, v56, vcc
	v_lshlrev_b32_e32 v42, 24, v42
	v_bfrev_b32_e32 v55, 60
	v_lshlrev_b32_e32 v53, 20, v53
	v_and_b32_e32 v42, 0x80000000, v42
	v_lshl_add_u32 v38, v38, 23, v55
	v_or3_b32 v55, v42, v38, v53
.LBB592_131:
	s_or_b64 exec, exec, s[10:11]
.LBB592_132:
	s_or_b64 exec, exec, s[8:9]
.LBB592_133:
	s_or_b64 exec, exec, s[2:3]
	v_cmp_ne_u16_sdwa s[8:9], v39, v45 src0_sel:BYTE_0 src1_sel:DWORD
	s_and_saveexec_b64 s[2:3], s[8:9]
	s_cbranch_execz .LBB592_139
; %bb.134:
	s_movk_i32 s8, 0x80
	v_cmp_ne_u16_sdwa s[10:11], v39, s8 src0_sel:BYTE_0 src1_sel:DWORD
	v_bfrev_b32_e32 v45, 1
	s_and_saveexec_b64 s[8:9], s[10:11]
	s_cbranch_execz .LBB592_138
; %bb.135:
	s_movk_i32 s10, 0x7f
	v_and_b32_e32 v38, 0x7f, v39
	v_cmp_ne_u32_e32 vcc, s10, v38
	v_mov_b32_e32 v45, 0x7f800001
	s_and_saveexec_b64 s[10:11], vcc
	s_cbranch_execz .LBB592_137
; %bb.136:
	v_and_b32_e32 v45, 7, v39
	v_ffbh_u32_e32 v56, v45
	v_min_u32_e32 v58, 32, v56
	v_mov_b32_e32 v42, v39
	v_subrev_u32_e32 v56, 28, v58
	v_lshlrev_b64 v[56:57], v56, v[42:43]
	v_lshrrev_b32_e32 v53, 3, v38
	v_sub_u32_e32 v42, 29, v58
	v_and_b32_e32 v56, 7, v56
	v_cmp_gt_u32_e32 vcc, 8, v38
	v_cndmask_b32_e32 v38, v53, v42, vcc
	v_cndmask_b32_e32 v42, v45, v56, vcc
	v_lshlrev_b32_e32 v45, 24, v39
	v_bfrev_b32_e32 v53, 60
	v_lshlrev_b32_e32 v42, 20, v42
	v_and_b32_e32 v45, 0x80000000, v45
	v_lshl_add_u32 v38, v38, 23, v53
	v_or3_b32 v45, v45, v38, v42
.LBB592_137:
	s_or_b64 exec, exec, s[10:11]
.LBB592_138:
	s_or_b64 exec, exec, s[8:9]
.LBB592_139:
	s_or_b64 exec, exec, s[2:3]
	v_lshrrev_b16_e32 v38, 8, v39
	v_cmp_ne_u16_e32 vcc, 0, v38
	v_mov_b32_e32 v42, 0
	v_mov_b32_e32 v56, 0
	s_and_saveexec_b64 s[2:3], vcc
	s_cbranch_execz .LBB592_145
; %bb.140:
	s_movk_i32 s8, 0x80
	v_cmp_ne_u16_e32 vcc, s8, v38
	v_bfrev_b32_e32 v56, 1
	s_and_saveexec_b64 s[8:9], vcc
	s_cbranch_execz .LBB592_144
; %bb.141:
	s_movk_i32 s10, 0x7f
	v_and_b32_e32 v53, 0x7f, v38
	v_cmp_ne_u32_e32 vcc, s10, v53
	v_mov_b32_e32 v56, 0x7f800001
	s_and_saveexec_b64 s[10:11], vcc
	s_cbranch_execz .LBB592_143
; %bb.142:
	v_and_b32_e32 v58, 7, v38
	v_ffbh_u32_e32 v56, v58
	v_min_u32_e32 v60, 32, v56
	v_subrev_u32_e32 v56, 28, v60
	v_lshlrev_b64 v[56:57], v56, v[38:39]
	v_lshrrev_b32_e32 v59, 3, v53
	v_sub_u32_e32 v38, 29, v60
	v_and_b32_e32 v56, 7, v56
	v_cmp_gt_u32_e32 vcc, 8, v53
	v_cndmask_b32_e32 v38, v59, v38, vcc
	v_cndmask_b32_e32 v53, v58, v56, vcc
	v_lshlrev_b32_e32 v56, 16, v39
	v_bfrev_b32_e32 v57, 60
	v_lshlrev_b32_e32 v53, 20, v53
	v_and_b32_e32 v56, 0x80000000, v56
	v_lshl_add_u32 v38, v38, 23, v57
	v_or3_b32 v56, v56, v38, v53
.LBB592_143:
	s_or_b64 exec, exec, s[10:11]
.LBB592_144:
	s_or_b64 exec, exec, s[8:9]
.LBB592_145:
	s_or_b64 exec, exec, s[2:3]
	s_movk_i32 s2, 0xff
	v_and_b32_sdwa v53, v39, s2 dst_sel:DWORD dst_unused:UNUSED_PAD src0_sel:WORD_1 src1_sel:DWORD
	v_lshrrev_b32_e32 v38, 16, v39
	v_cmp_ne_u16_e32 vcc, 0, v53
	s_and_saveexec_b64 s[2:3], vcc
	s_cbranch_execz .LBB592_151
; %bb.146:
	s_movk_i32 s8, 0x80
	v_cmp_ne_u16_e32 vcc, s8, v53
	v_bfrev_b32_e32 v42, 1
	s_and_saveexec_b64 s[8:9], vcc
	s_cbranch_execz .LBB592_150
; %bb.147:
	v_bfe_u32 v53, v39, 16, 7
	s_movk_i32 s10, 0x7f
	v_cmp_ne_u32_e32 vcc, s10, v53
	v_mov_b32_e32 v42, 0x7f800001
	s_and_saveexec_b64 s[10:11], vcc
	s_cbranch_execz .LBB592_149
; %bb.148:
	v_and_b32_e32 v42, 7, v38
	v_ffbh_u32_e32 v58, v42
	v_min_u32_e32 v60, 32, v58
	v_subrev_u32_e32 v58, 28, v60
	v_lshlrev_b64 v[58:59], v58, v[38:39]
	v_lshrrev_b32_e32 v57, 3, v53
	v_sub_u32_e32 v38, 29, v60
	v_and_b32_e32 v58, 7, v58
	v_cmp_gt_u32_e32 vcc, 8, v53
	v_mov_b32_e32 v53, 24
	v_cndmask_b32_e32 v38, v57, v38, vcc
	v_cndmask_b32_e32 v42, v42, v58, vcc
	v_lshlrev_b32_sdwa v53, v53, v39 dst_sel:DWORD dst_unused:UNUSED_PAD src0_sel:DWORD src1_sel:WORD_1
	v_bfrev_b32_e32 v57, 60
	v_lshlrev_b32_e32 v42, 20, v42
	v_and_b32_e32 v53, 0x80000000, v53
	v_lshl_add_u32 v38, v38, 23, v57
	v_or3_b32 v42, v53, v38, v42
.LBB592_149:
	s_or_b64 exec, exec, s[10:11]
.LBB592_150:
	s_or_b64 exec, exec, s[8:9]
.LBB592_151:
	s_or_b64 exec, exec, s[2:3]
	s_mov_b32 s2, 0xffffff
	v_cmp_lt_u32_e32 vcc, s2, v39
	v_mov_b32_e32 v53, 0
	v_mov_b32_e32 v57, 0
	s_and_saveexec_b64 s[2:3], vcc
	s_cbranch_execz .LBB592_157
; %bb.152:
	v_lshrrev_b32_e32 v38, 24, v39
	s_movk_i32 s8, 0x80
	v_cmp_ne_u32_e32 vcc, s8, v38
	v_bfrev_b32_e32 v57, 1
	s_and_saveexec_b64 s[8:9], vcc
	s_cbranch_execz .LBB592_156
; %bb.153:
	v_bfe_u32 v39, v39, 24, 7
	s_movk_i32 s10, 0x7f
	v_cmp_ne_u32_e32 vcc, s10, v39
	v_mov_b32_e32 v57, 0x7f800001
	s_and_saveexec_b64 s[10:11], vcc
	s_cbranch_execz .LBB592_155
; %bb.154:
	v_and_b32_e32 v57, 7, v38
	v_ffbh_u32_e32 v58, v57
	v_min_u32_e32 v61, 32, v58
	v_subrev_u32_e32 v58, 28, v61
	v_lshlrev_b64 v[58:59], v58, v[38:39]
	v_lshrrev_b32_e32 v60, 3, v39
	v_sub_u32_e32 v59, 29, v61
	v_and_b32_e32 v58, 7, v58
	v_cmp_gt_u32_e32 vcc, 8, v39
	v_cndmask_b32_e32 v39, v60, v59, vcc
	v_cndmask_b32_e32 v57, v57, v58, vcc
	v_lshlrev_b32_e32 v38, 24, v38
	v_bfrev_b32_e32 v58, 60
	v_lshlrev_b32_e32 v57, 20, v57
	v_and_b32_e32 v38, 0x80000000, v38
	v_lshl_add_u32 v39, v39, 23, v58
	v_or3_b32 v57, v38, v39, v57
.LBB592_155:
	s_or_b64 exec, exec, s[10:11]
.LBB592_156:
	s_or_b64 exec, exec, s[8:9]
.LBB592_157:
	s_or_b64 exec, exec, s[2:3]
	v_cvt_pkrtz_f16_f32 v38, v54, v44
	v_cvt_pkrtz_f16_f32 v39, v43, v55
	v_cmp_ne_u16_sdwa s[8:9], v40, v53 src0_sel:BYTE_0 src1_sel:DWORD
	s_nop 0
	v_mfma_f32_16x16x16f16 v[58:61], v[38:39], v[26:27], 0
	v_cvt_pkrtz_f16_f32 v38, v45, v56
	v_cvt_pkrtz_f16_f32 v39, v42, v57
	s_nop 1
	v_mfma_f32_16x16x16f16 v[42:45], v[38:39], v[28:29], v[58:61]
	s_and_saveexec_b64 s[2:3], s[8:9]
	s_cbranch_execz .LBB592_163
; %bb.158:
	s_movk_i32 s8, 0x80
	v_cmp_ne_u16_sdwa s[10:11], v40, s8 src0_sel:BYTE_0 src1_sel:DWORD
	v_bfrev_b32_e32 v53, 1
	s_and_saveexec_b64 s[8:9], s[10:11]
	s_cbranch_execz .LBB592_162
; %bb.159:
	s_movk_i32 s10, 0x7f
	v_and_b32_e32 v38, 0x7f, v40
	v_cmp_ne_u32_e32 vcc, s10, v38
	v_mov_b32_e32 v53, 0x7f800001
	s_and_saveexec_b64 s[10:11], vcc
	s_cbranch_execz .LBB592_161
; %bb.160:
	v_and_b32_e32 v39, 7, v40
	v_ffbh_u32_e32 v54, v39
	v_min_u32_e32 v56, 32, v54
	v_subrev_u32_e32 v54, 28, v56
	v_lshlrev_b64 v[54:55], v54, v[40:41]
	v_lshrrev_b32_e32 v53, 3, v38
	v_sub_u32_e32 v55, 29, v56
	v_and_b32_e32 v54, 7, v54
	v_cmp_gt_u32_e32 vcc, 8, v38
	v_cndmask_b32_e32 v38, v53, v55, vcc
	v_cndmask_b32_e32 v39, v39, v54, vcc
	v_lshlrev_b32_e32 v53, 24, v40
	v_bfrev_b32_e32 v54, 60
	v_lshlrev_b32_e32 v39, 20, v39
	v_and_b32_e32 v53, 0x80000000, v53
	v_lshl_add_u32 v38, v38, 23, v54
	v_or3_b32 v53, v53, v38, v39
.LBB592_161:
	s_or_b64 exec, exec, s[10:11]
.LBB592_162:
	s_or_b64 exec, exec, s[8:9]
.LBB592_163:
	s_or_b64 exec, exec, s[2:3]
	v_lshrrev_b16_e32 v38, 8, v40
	v_cmp_ne_u16_e32 vcc, 0, v38
	v_mov_b32_e32 v39, 0
	v_mov_b32_e32 v55, 0
	s_and_saveexec_b64 s[2:3], vcc
	s_cbranch_execz .LBB592_169
; %bb.164:
	s_movk_i32 s8, 0x80
	v_cmp_ne_u16_e32 vcc, s8, v38
	v_bfrev_b32_e32 v55, 1
	s_and_saveexec_b64 s[8:9], vcc
	s_cbranch_execz .LBB592_168
; %bb.165:
	s_movk_i32 s10, 0x7f
	v_and_b32_e32 v54, 0x7f, v38
	v_cmp_ne_u32_e32 vcc, s10, v54
	v_mov_b32_e32 v55, 0x7f800001
	s_and_saveexec_b64 s[10:11], vcc
	s_cbranch_execz .LBB592_167
; %bb.166:
	v_and_b32_e32 v55, 7, v38
	v_ffbh_u32_e32 v56, v55
	v_min_u32_e32 v59, 32, v56
	v_subrev_u32_e32 v56, 28, v59
	v_lshlrev_b64 v[56:57], v56, v[38:39]
	v_lshrrev_b32_e32 v58, 3, v54
	v_sub_u32_e32 v38, 29, v59
	v_and_b32_e32 v56, 7, v56
	v_cmp_gt_u32_e32 vcc, 8, v54
	v_cndmask_b32_e32 v38, v58, v38, vcc
	v_cndmask_b32_e32 v54, v55, v56, vcc
	v_lshlrev_b32_e32 v55, 16, v40
	v_bfrev_b32_e32 v56, 60
	v_lshlrev_b32_e32 v54, 20, v54
	v_and_b32_e32 v55, 0x80000000, v55
	v_lshl_add_u32 v38, v38, 23, v56
	v_or3_b32 v55, v55, v38, v54
.LBB592_167:
	s_or_b64 exec, exec, s[10:11]
.LBB592_168:
	s_or_b64 exec, exec, s[8:9]
.LBB592_169:
	s_or_b64 exec, exec, s[2:3]
	s_movk_i32 s2, 0xff
	v_and_b32_sdwa v54, v40, s2 dst_sel:DWORD dst_unused:UNUSED_PAD src0_sel:WORD_1 src1_sel:DWORD
	v_lshrrev_b32_e32 v38, 16, v40
	v_cmp_ne_u16_e32 vcc, 0, v54
	s_and_saveexec_b64 s[2:3], vcc
	s_cbranch_execz .LBB592_175
; %bb.170:
	s_movk_i32 s8, 0x80
	v_cmp_ne_u16_e32 vcc, s8, v54
	v_bfrev_b32_e32 v39, 1
	s_and_saveexec_b64 s[8:9], vcc
	s_cbranch_execz .LBB592_174
; %bb.171:
	v_bfe_u32 v54, v40, 16, 7
	s_movk_i32 s10, 0x7f
	v_cmp_ne_u32_e32 vcc, s10, v54
	v_mov_b32_e32 v39, 0x7f800001
	s_and_saveexec_b64 s[10:11], vcc
	s_cbranch_execz .LBB592_173
; %bb.172:
	v_and_b32_e32 v56, 7, v38
	v_ffbh_u32_e32 v39, v56
	v_min_u32_e32 v58, 32, v39
	v_subrev_u32_e32 v39, 28, v58
	v_lshlrev_b64 v[38:39], v39, v[38:39]
	v_lshrrev_b32_e32 v57, 3, v54
	v_sub_u32_e32 v39, 29, v58
	v_and_b32_e32 v38, 7, v38
	v_cmp_gt_u32_e32 vcc, 8, v54
	v_mov_b32_e32 v54, 24
	v_cndmask_b32_e32 v39, v57, v39, vcc
	v_cndmask_b32_e32 v38, v56, v38, vcc
	v_lshlrev_b32_sdwa v54, v54, v40 dst_sel:DWORD dst_unused:UNUSED_PAD src0_sel:DWORD src1_sel:WORD_1
	v_bfrev_b32_e32 v56, 60
	v_lshlrev_b32_e32 v38, 20, v38
	v_and_b32_e32 v54, 0x80000000, v54
	v_lshl_add_u32 v39, v39, 23, v56
	v_or3_b32 v39, v54, v39, v38
.LBB592_173:
	s_or_b64 exec, exec, s[10:11]
.LBB592_174:
	s_or_b64 exec, exec, s[8:9]
.LBB592_175:
	s_or_b64 exec, exec, s[2:3]
	s_mov_b32 s2, 0xffffff
	v_cmp_lt_u32_e32 vcc, s2, v40
	v_mov_b32_e32 v56, 0
	v_mov_b32_e32 v57, 0
	s_and_saveexec_b64 s[2:3], vcc
	s_cbranch_execz .LBB592_181
; %bb.176:
	v_lshrrev_b32_e32 v38, 24, v40
	s_movk_i32 s8, 0x80
	v_cmp_ne_u32_e32 vcc, s8, v38
	v_bfrev_b32_e32 v57, 1
	s_and_saveexec_b64 s[8:9], vcc
	s_cbranch_execz .LBB592_180
; %bb.177:
	v_bfe_u32 v40, v40, 24, 7
	s_movk_i32 s10, 0x7f
	v_cmp_ne_u32_e32 vcc, s10, v40
	v_mov_b32_e32 v57, 0x7f800001
	s_and_saveexec_b64 s[10:11], vcc
	s_cbranch_execz .LBB592_179
; %bb.178:
	v_and_b32_e32 v54, 7, v38
	v_ffbh_u32_e32 v58, v54
	v_min_u32_e32 v60, 32, v58
	v_subrev_u32_e32 v58, 28, v60
	v_lshlrev_b64 v[58:59], v58, v[38:39]
	v_lshrrev_b32_e32 v57, 3, v40
	v_sub_u32_e32 v59, 29, v60
	v_and_b32_e32 v58, 7, v58
	v_cmp_gt_u32_e32 vcc, 8, v40
	v_cndmask_b32_e32 v40, v57, v59, vcc
	v_cndmask_b32_e32 v54, v54, v58, vcc
	v_lshlrev_b32_e32 v38, 24, v38
	v_bfrev_b32_e32 v57, 60
	v_lshlrev_b32_e32 v54, 20, v54
	v_and_b32_e32 v38, 0x80000000, v38
	v_lshl_add_u32 v40, v40, 23, v57
	v_or3_b32 v57, v38, v40, v54
.LBB592_179:
	s_or_b64 exec, exec, s[10:11]
.LBB592_180:
	s_or_b64 exec, exec, s[8:9]
.LBB592_181:
	s_or_b64 exec, exec, s[2:3]
	v_cmp_ne_u16_sdwa s[8:9], v41, v56 src0_sel:BYTE_0 src1_sel:DWORD
	s_and_saveexec_b64 s[2:3], s[8:9]
	s_cbranch_execz .LBB592_187
; %bb.182:
	s_movk_i32 s8, 0x80
	v_cmp_ne_u16_sdwa s[10:11], v41, s8 src0_sel:BYTE_0 src1_sel:DWORD
	v_bfrev_b32_e32 v56, 1
	s_and_saveexec_b64 s[8:9], s[10:11]
	s_cbranch_execz .LBB592_186
; %bb.183:
	s_movk_i32 s10, 0x7f
	v_and_b32_e32 v38, 0x7f, v41
	v_cmp_ne_u32_e32 vcc, s10, v38
	v_mov_b32_e32 v56, 0x7f800001
	s_and_saveexec_b64 s[10:11], vcc
	s_cbranch_execz .LBB592_185
; %bb.184:
	v_and_b32_e32 v54, 7, v41
	v_ffbh_u32_e32 v58, v54
	v_min_u32_e32 v60, 32, v58
	v_mov_b32_e32 v40, v41
	v_subrev_u32_e32 v58, 28, v60
	v_lshlrev_b64 v[58:59], v58, v[40:41]
	v_lshrrev_b32_e32 v56, 3, v38
	v_sub_u32_e32 v40, 29, v60
	v_and_b32_e32 v58, 7, v58
	v_cmp_gt_u32_e32 vcc, 8, v38
	v_cndmask_b32_e32 v38, v56, v40, vcc
	v_cndmask_b32_e32 v40, v54, v58, vcc
	v_lshlrev_b32_e32 v54, 24, v41
	v_bfrev_b32_e32 v56, 60
	v_lshlrev_b32_e32 v40, 20, v40
	v_and_b32_e32 v54, 0x80000000, v54
	v_lshl_add_u32 v38, v38, 23, v56
	v_or3_b32 v56, v54, v38, v40
.LBB592_185:
	s_or_b64 exec, exec, s[10:11]
.LBB592_186:
	s_or_b64 exec, exec, s[8:9]
.LBB592_187:
	s_or_b64 exec, exec, s[2:3]
	v_lshrrev_b16_e32 v38, 8, v41
	v_cmp_ne_u16_e32 vcc, 0, v38
	v_mov_b32_e32 v40, 0
	v_mov_b32_e32 v58, 0
	s_and_saveexec_b64 s[2:3], vcc
	s_cbranch_execz .LBB592_193
; %bb.188:
	s_movk_i32 s8, 0x80
	v_cmp_ne_u16_e32 vcc, s8, v38
	v_bfrev_b32_e32 v58, 1
	s_and_saveexec_b64 s[8:9], vcc
	s_cbranch_execz .LBB592_192
; %bb.189:
	s_movk_i32 s10, 0x7f
	v_and_b32_e32 v54, 0x7f, v38
	v_cmp_ne_u32_e32 vcc, s10, v54
	v_mov_b32_e32 v58, 0x7f800001
	s_and_saveexec_b64 s[10:11], vcc
	s_cbranch_execz .LBB592_191
; %bb.190:
	v_and_b32_e32 v60, 7, v38
	v_ffbh_u32_e32 v58, v60
	v_min_u32_e32 v62, 32, v58
	v_subrev_u32_e32 v58, 28, v62
	v_lshlrev_b64 v[58:59], v58, v[38:39]
	v_lshrrev_b32_e32 v61, 3, v54
	v_sub_u32_e32 v38, 29, v62
	v_and_b32_e32 v58, 7, v58
	v_cmp_gt_u32_e32 vcc, 8, v54
	v_cndmask_b32_e32 v38, v61, v38, vcc
	v_cndmask_b32_e32 v54, v60, v58, vcc
	v_lshlrev_b32_e32 v58, 16, v41
	v_bfrev_b32_e32 v59, 60
	v_lshlrev_b32_e32 v54, 20, v54
	v_and_b32_e32 v58, 0x80000000, v58
	v_lshl_add_u32 v38, v38, 23, v59
	v_or3_b32 v58, v58, v38, v54
.LBB592_191:
	s_or_b64 exec, exec, s[10:11]
.LBB592_192:
	s_or_b64 exec, exec, s[8:9]
.LBB592_193:
	s_or_b64 exec, exec, s[2:3]
	s_movk_i32 s2, 0xff
	v_and_b32_sdwa v54, v41, s2 dst_sel:DWORD dst_unused:UNUSED_PAD src0_sel:WORD_1 src1_sel:DWORD
	v_lshrrev_b32_e32 v38, 16, v41
	v_cmp_ne_u16_e32 vcc, 0, v54
	s_and_saveexec_b64 s[2:3], vcc
	s_cbranch_execz .LBB592_199
; %bb.194:
	s_movk_i32 s8, 0x80
	v_cmp_ne_u16_e32 vcc, s8, v54
	v_bfrev_b32_e32 v40, 1
	s_and_saveexec_b64 s[8:9], vcc
	s_cbranch_execz .LBB592_198
; %bb.195:
	v_bfe_u32 v54, v41, 16, 7
	s_movk_i32 s10, 0x7f
	v_cmp_ne_u32_e32 vcc, s10, v54
	v_mov_b32_e32 v40, 0x7f800001
	s_and_saveexec_b64 s[10:11], vcc
	s_cbranch_execz .LBB592_197
; %bb.196:
	v_and_b32_e32 v40, 7, v38
	v_ffbh_u32_e32 v60, v40
	v_min_u32_e32 v62, 32, v60
	v_subrev_u32_e32 v60, 28, v62
	v_lshlrev_b64 v[60:61], v60, v[38:39]
	v_lshrrev_b32_e32 v59, 3, v54
	v_sub_u32_e32 v38, 29, v62
	v_and_b32_e32 v60, 7, v60
	v_cmp_gt_u32_e32 vcc, 8, v54
	v_mov_b32_e32 v54, 24
	v_cndmask_b32_e32 v38, v59, v38, vcc
	v_cndmask_b32_e32 v40, v40, v60, vcc
	v_lshlrev_b32_sdwa v54, v54, v41 dst_sel:DWORD dst_unused:UNUSED_PAD src0_sel:DWORD src1_sel:WORD_1
	v_bfrev_b32_e32 v59, 60
	v_lshlrev_b32_e32 v40, 20, v40
	v_and_b32_e32 v54, 0x80000000, v54
	v_lshl_add_u32 v38, v38, 23, v59
	v_or3_b32 v40, v54, v38, v40
.LBB592_197:
	s_or_b64 exec, exec, s[10:11]
.LBB592_198:
	s_or_b64 exec, exec, s[8:9]
.LBB592_199:
	s_or_b64 exec, exec, s[2:3]
	s_mov_b32 s2, 0xffffff
	v_cmp_lt_u32_e32 vcc, s2, v41
	v_mov_b32_e32 v54, 0
	v_mov_b32_e32 v59, 0
	s_and_saveexec_b64 s[2:3], vcc
	s_cbranch_execz .LBB592_205
; %bb.200:
	v_lshrrev_b32_e32 v38, 24, v41
	s_movk_i32 s8, 0x80
	v_cmp_ne_u32_e32 vcc, s8, v38
	v_bfrev_b32_e32 v59, 1
	s_and_saveexec_b64 s[8:9], vcc
	s_cbranch_execz .LBB592_204
; %bb.201:
	v_bfe_u32 v41, v41, 24, 7
	s_movk_i32 s10, 0x7f
	v_cmp_ne_u32_e32 vcc, s10, v41
	v_mov_b32_e32 v59, 0x7f800001
	s_and_saveexec_b64 s[10:11], vcc
	s_cbranch_execz .LBB592_203
; %bb.202:
	v_and_b32_e32 v59, 7, v38
	v_ffbh_u32_e32 v60, v59
	v_min_u32_e32 v63, 32, v60
	v_subrev_u32_e32 v60, 28, v63
	v_lshlrev_b64 v[60:61], v60, v[38:39]
	v_lshrrev_b32_e32 v62, 3, v41
	v_sub_u32_e32 v61, 29, v63
	v_and_b32_e32 v60, 7, v60
	v_cmp_gt_u32_e32 vcc, 8, v41
	v_cndmask_b32_e32 v41, v62, v61, vcc
	v_cndmask_b32_e32 v59, v59, v60, vcc
	v_lshlrev_b32_e32 v38, 24, v38
	v_bfrev_b32_e32 v60, 60
	v_lshlrev_b32_e32 v59, 20, v59
	v_and_b32_e32 v38, 0x80000000, v38
	v_lshl_add_u32 v41, v41, 23, v60
	v_or3_b32 v59, v38, v41, v59
.LBB592_203:
	s_or_b64 exec, exec, s[10:11]
.LBB592_204:
	s_or_b64 exec, exec, s[8:9]
.LBB592_205:
	s_or_b64 exec, exec, s[2:3]
	v_cvt_pkrtz_f16_f32 v38, v53, v55
	v_cvt_pkrtz_f16_f32 v39, v39, v57
	v_cmp_ne_u16_sdwa s[8:9], v30, v54 src0_sel:BYTE_0 src1_sel:DWORD
	s_nop 0
	v_mfma_f32_16x16x16f16 v[42:45], v[38:39], v[18:19], v[42:45]
	v_cvt_pkrtz_f16_f32 v38, v56, v58
	v_cvt_pkrtz_f16_f32 v39, v40, v59
	s_nop 1
	v_mfma_f32_16x16x16f16 v[38:41], v[38:39], v[20:21], v[42:45]
	s_and_saveexec_b64 s[2:3], s[8:9]
	s_cbranch_execz .LBB592_211
; %bb.206:
	s_movk_i32 s8, 0x80
	v_cmp_ne_u16_sdwa s[10:11], v30, s8 src0_sel:BYTE_0 src1_sel:DWORD
	v_bfrev_b32_e32 v54, 1
	s_and_saveexec_b64 s[8:9], s[10:11]
	s_cbranch_execz .LBB592_210
; %bb.207:
	s_movk_i32 s10, 0x7f
	v_and_b32_e32 v42, 0x7f, v30
	v_cmp_ne_u32_e32 vcc, s10, v42
	v_mov_b32_e32 v54, 0x7f800001
	s_and_saveexec_b64 s[10:11], vcc
	s_cbranch_execz .LBB592_209
; %bb.208:
	v_and_b32_e32 v43, 7, v30
	v_ffbh_u32_e32 v44, v43
	v_min_u32_e32 v54, 32, v44
	v_subrev_u32_e32 v44, 28, v54
	v_lshlrev_b64 v[44:45], v44, v[30:31]
	v_lshrrev_b32_e32 v53, 3, v42
	v_sub_u32_e32 v45, 29, v54
	v_and_b32_e32 v44, 7, v44
	v_cmp_gt_u32_e32 vcc, 8, v42
	v_cndmask_b32_e32 v42, v53, v45, vcc
	v_cndmask_b32_e32 v43, v43, v44, vcc
	v_lshlrev_b32_e32 v44, 24, v30
	v_bfrev_b32_e32 v45, 60
	v_lshlrev_b32_e32 v43, 20, v43
	v_and_b32_e32 v44, 0x80000000, v44
	v_lshl_add_u32 v42, v42, 23, v45
	v_or3_b32 v54, v44, v42, v43
.LBB592_209:
	s_or_b64 exec, exec, s[10:11]
.LBB592_210:
	s_or_b64 exec, exec, s[8:9]
.LBB592_211:
	s_or_b64 exec, exec, s[2:3]
	s_nop 3
	v_lshrrev_b16_e32 v42, 8, v30
	v_cmp_ne_u16_e32 vcc, 0, v42
	v_mov_b32_e32 v43, 0
	v_mov_b32_e32 v44, 0
	s_and_saveexec_b64 s[2:3], vcc
	s_cbranch_execz .LBB592_217
; %bb.212:
	s_movk_i32 s8, 0x80
	v_cmp_ne_u16_e32 vcc, s8, v42
	v_bfrev_b32_e32 v44, 1
	s_and_saveexec_b64 s[8:9], vcc
	s_cbranch_execz .LBB592_216
; %bb.213:
	s_movk_i32 s10, 0x7f
	v_and_b32_e32 v45, 0x7f, v42
	v_cmp_ne_u32_e32 vcc, s10, v45
	v_mov_b32_e32 v44, 0x7f800001
	s_and_saveexec_b64 s[10:11], vcc
	s_cbranch_execz .LBB592_215
; %bb.214:
	v_and_b32_e32 v44, 7, v42
	v_ffbh_u32_e32 v55, v44
	v_min_u32_e32 v55, 32, v55
	v_subrev_u32_e32 v56, 28, v55
	v_lshlrev_b64 v[56:57], v56, v[42:43]
	v_lshrrev_b32_e32 v53, 3, v45
	v_sub_u32_e32 v42, 29, v55
	v_and_b32_e32 v55, 7, v56
	v_cmp_gt_u32_e32 vcc, 8, v45
	v_cndmask_b32_e32 v42, v53, v42, vcc
	v_cndmask_b32_e32 v44, v44, v55, vcc
	v_lshlrev_b32_e32 v45, 16, v30
	v_bfrev_b32_e32 v53, 60
	v_lshlrev_b32_e32 v44, 20, v44
	v_and_b32_e32 v45, 0x80000000, v45
	v_lshl_add_u32 v42, v42, 23, v53
	v_or3_b32 v44, v45, v42, v44
.LBB592_215:
	s_or_b64 exec, exec, s[10:11]
.LBB592_216:
	s_or_b64 exec, exec, s[8:9]
.LBB592_217:
	s_or_b64 exec, exec, s[2:3]
	s_movk_i32 s2, 0xff
	v_and_b32_sdwa v45, v30, s2 dst_sel:DWORD dst_unused:UNUSED_PAD src0_sel:WORD_1 src1_sel:DWORD
	v_lshrrev_b32_e32 v42, 16, v30
	v_cmp_ne_u16_e32 vcc, 0, v45
	s_and_saveexec_b64 s[2:3], vcc
	s_cbranch_execz .LBB592_223
; %bb.218:
	s_movk_i32 s8, 0x80
	v_cmp_ne_u16_e32 vcc, s8, v45
	v_bfrev_b32_e32 v43, 1
	s_and_saveexec_b64 s[8:9], vcc
	s_cbranch_execz .LBB592_222
; %bb.219:
	v_bfe_u32 v45, v30, 16, 7
	s_movk_i32 s10, 0x7f
	v_cmp_ne_u32_e32 vcc, s10, v45
	v_mov_b32_e32 v43, 0x7f800001
	s_and_saveexec_b64 s[10:11], vcc
	s_cbranch_execz .LBB592_221
; %bb.220:
	v_and_b32_e32 v53, 7, v42
	v_ffbh_u32_e32 v43, v53
	v_min_u32_e32 v56, 32, v43
	v_subrev_u32_e32 v43, 28, v56
	v_lshlrev_b64 v[42:43], v43, v[42:43]
	v_lshrrev_b32_e32 v55, 3, v45
	v_sub_u32_e32 v43, 29, v56
	v_and_b32_e32 v42, 7, v42
	v_cmp_gt_u32_e32 vcc, 8, v45
	v_mov_b32_e32 v45, 24
	v_cndmask_b32_e32 v43, v55, v43, vcc
	v_cndmask_b32_e32 v42, v53, v42, vcc
	v_lshlrev_b32_sdwa v45, v45, v30 dst_sel:DWORD dst_unused:UNUSED_PAD src0_sel:DWORD src1_sel:WORD_1
	v_bfrev_b32_e32 v53, 60
	v_lshlrev_b32_e32 v42, 20, v42
	v_and_b32_e32 v45, 0x80000000, v45
	v_lshl_add_u32 v43, v43, 23, v53
	v_or3_b32 v43, v45, v43, v42
.LBB592_221:
	s_or_b64 exec, exec, s[10:11]
.LBB592_222:
	s_or_b64 exec, exec, s[8:9]
.LBB592_223:
	s_or_b64 exec, exec, s[2:3]
	s_mov_b32 s2, 0xffffff
	v_cmp_lt_u32_e32 vcc, s2, v30
	v_mov_b32_e32 v45, 0
	v_mov_b32_e32 v55, 0
	s_and_saveexec_b64 s[2:3], vcc
	s_cbranch_execz .LBB592_229
; %bb.224:
	v_lshrrev_b32_e32 v42, 24, v30
	s_movk_i32 s8, 0x80
	v_cmp_ne_u32_e32 vcc, s8, v42
	v_bfrev_b32_e32 v55, 1
	s_and_saveexec_b64 s[8:9], vcc
	s_cbranch_execz .LBB592_228
; %bb.225:
	v_bfe_u32 v30, v30, 24, 7
	s_movk_i32 s10, 0x7f
	v_cmp_ne_u32_e32 vcc, s10, v30
	v_mov_b32_e32 v55, 0x7f800001
	s_and_saveexec_b64 s[10:11], vcc
	s_cbranch_execz .LBB592_227
; %bb.226:
	v_and_b32_e32 v53, 7, v42
	v_ffbh_u32_e32 v56, v53
	v_min_u32_e32 v58, 32, v56
	v_subrev_u32_e32 v56, 28, v58
	v_lshlrev_b64 v[56:57], v56, v[42:43]
	v_lshrrev_b32_e32 v55, 3, v30
	v_sub_u32_e32 v57, 29, v58
	v_and_b32_e32 v56, 7, v56
	v_cmp_gt_u32_e32 vcc, 8, v30
	v_cndmask_b32_e32 v30, v55, v57, vcc
	v_cndmask_b32_e32 v53, v53, v56, vcc
	v_lshlrev_b32_e32 v42, 24, v42
	v_bfrev_b32_e32 v55, 60
	v_lshlrev_b32_e32 v53, 20, v53
	v_and_b32_e32 v42, 0x80000000, v42
	v_lshl_add_u32 v30, v30, 23, v55
	v_or3_b32 v55, v42, v30, v53
.LBB592_227:
	s_or_b64 exec, exec, s[10:11]
.LBB592_228:
	s_or_b64 exec, exec, s[8:9]
.LBB592_229:
	s_or_b64 exec, exec, s[2:3]
	v_cmp_ne_u16_sdwa s[8:9], v31, v45 src0_sel:BYTE_0 src1_sel:DWORD
	s_and_saveexec_b64 s[2:3], s[8:9]
	s_cbranch_execz .LBB592_235
; %bb.230:
	s_movk_i32 s8, 0x80
	v_cmp_ne_u16_sdwa s[10:11], v31, s8 src0_sel:BYTE_0 src1_sel:DWORD
	v_bfrev_b32_e32 v45, 1
	s_and_saveexec_b64 s[8:9], s[10:11]
	s_cbranch_execz .LBB592_234
; %bb.231:
	s_movk_i32 s10, 0x7f
	v_and_b32_e32 v30, 0x7f, v31
	v_cmp_ne_u32_e32 vcc, s10, v30
	v_mov_b32_e32 v45, 0x7f800001
	s_and_saveexec_b64 s[10:11], vcc
	s_cbranch_execz .LBB592_233
; %bb.232:
	v_and_b32_e32 v45, 7, v31
	v_ffbh_u32_e32 v56, v45
	v_min_u32_e32 v58, 32, v56
	v_mov_b32_e32 v42, v31
	v_subrev_u32_e32 v56, 28, v58
	v_lshlrev_b64 v[56:57], v56, v[42:43]
	v_lshrrev_b32_e32 v53, 3, v30
	v_sub_u32_e32 v42, 29, v58
	v_and_b32_e32 v56, 7, v56
	v_cmp_gt_u32_e32 vcc, 8, v30
	v_cndmask_b32_e32 v30, v53, v42, vcc
	v_cndmask_b32_e32 v42, v45, v56, vcc
	v_lshlrev_b32_e32 v45, 24, v31
	v_bfrev_b32_e32 v53, 60
	v_lshlrev_b32_e32 v42, 20, v42
	v_and_b32_e32 v45, 0x80000000, v45
	v_lshl_add_u32 v30, v30, 23, v53
	v_or3_b32 v45, v45, v30, v42
.LBB592_233:
	s_or_b64 exec, exec, s[10:11]
.LBB592_234:
	s_or_b64 exec, exec, s[8:9]
.LBB592_235:
	s_or_b64 exec, exec, s[2:3]
	v_lshrrev_b16_e32 v30, 8, v31
	v_cmp_ne_u16_e32 vcc, 0, v30
	v_mov_b32_e32 v42, 0
	v_mov_b32_e32 v56, 0
	s_and_saveexec_b64 s[2:3], vcc
	s_cbranch_execz .LBB592_241
; %bb.236:
	s_movk_i32 s8, 0x80
	v_cmp_ne_u16_e32 vcc, s8, v30
	v_bfrev_b32_e32 v56, 1
	s_and_saveexec_b64 s[8:9], vcc
	s_cbranch_execz .LBB592_240
; %bb.237:
	s_movk_i32 s10, 0x7f
	v_and_b32_e32 v53, 0x7f, v30
	v_cmp_ne_u32_e32 vcc, s10, v53
	v_mov_b32_e32 v56, 0x7f800001
	s_and_saveexec_b64 s[10:11], vcc
	s_cbranch_execz .LBB592_239
; %bb.238:
	v_and_b32_e32 v58, 7, v30
	v_ffbh_u32_e32 v56, v58
	v_min_u32_e32 v60, 32, v56
	v_subrev_u32_e32 v56, 28, v60
	v_lshlrev_b64 v[56:57], v56, v[30:31]
	v_lshrrev_b32_e32 v59, 3, v53
	v_sub_u32_e32 v30, 29, v60
	v_and_b32_e32 v56, 7, v56
	v_cmp_gt_u32_e32 vcc, 8, v53
	v_cndmask_b32_e32 v30, v59, v30, vcc
	v_cndmask_b32_e32 v53, v58, v56, vcc
	v_lshlrev_b32_e32 v56, 16, v31
	v_bfrev_b32_e32 v57, 60
	v_lshlrev_b32_e32 v53, 20, v53
	v_and_b32_e32 v56, 0x80000000, v56
	v_lshl_add_u32 v30, v30, 23, v57
	v_or3_b32 v56, v56, v30, v53
.LBB592_239:
	s_or_b64 exec, exec, s[10:11]
.LBB592_240:
	s_or_b64 exec, exec, s[8:9]
.LBB592_241:
	s_or_b64 exec, exec, s[2:3]
	s_movk_i32 s2, 0xff
	v_and_b32_sdwa v53, v31, s2 dst_sel:DWORD dst_unused:UNUSED_PAD src0_sel:WORD_1 src1_sel:DWORD
	v_lshrrev_b32_e32 v30, 16, v31
	v_cmp_ne_u16_e32 vcc, 0, v53
	s_and_saveexec_b64 s[2:3], vcc
	s_cbranch_execz .LBB592_247
; %bb.242:
	s_movk_i32 s8, 0x80
	v_cmp_ne_u16_e32 vcc, s8, v53
	v_bfrev_b32_e32 v42, 1
	s_and_saveexec_b64 s[8:9], vcc
	s_cbranch_execz .LBB592_246
; %bb.243:
	v_bfe_u32 v53, v31, 16, 7
	s_movk_i32 s10, 0x7f
	v_cmp_ne_u32_e32 vcc, s10, v53
	v_mov_b32_e32 v42, 0x7f800001
	s_and_saveexec_b64 s[10:11], vcc
	s_cbranch_execz .LBB592_245
; %bb.244:
	v_and_b32_e32 v42, 7, v30
	v_ffbh_u32_e32 v58, v42
	v_min_u32_e32 v60, 32, v58
	v_subrev_u32_e32 v58, 28, v60
	v_lshlrev_b64 v[58:59], v58, v[30:31]
	v_lshrrev_b32_e32 v57, 3, v53
	v_sub_u32_e32 v30, 29, v60
	v_and_b32_e32 v58, 7, v58
	v_cmp_gt_u32_e32 vcc, 8, v53
	v_mov_b32_e32 v53, 24
	v_cndmask_b32_e32 v30, v57, v30, vcc
	v_cndmask_b32_e32 v42, v42, v58, vcc
	v_lshlrev_b32_sdwa v53, v53, v31 dst_sel:DWORD dst_unused:UNUSED_PAD src0_sel:DWORD src1_sel:WORD_1
	v_bfrev_b32_e32 v57, 60
	v_lshlrev_b32_e32 v42, 20, v42
	v_and_b32_e32 v53, 0x80000000, v53
	v_lshl_add_u32 v30, v30, 23, v57
	v_or3_b32 v42, v53, v30, v42
.LBB592_245:
	s_or_b64 exec, exec, s[10:11]
.LBB592_246:
	s_or_b64 exec, exec, s[8:9]
.LBB592_247:
	s_or_b64 exec, exec, s[2:3]
	s_mov_b32 s2, 0xffffff
	v_cmp_lt_u32_e32 vcc, s2, v31
	v_mov_b32_e32 v53, 0
	v_mov_b32_e32 v57, 0
	s_and_saveexec_b64 s[2:3], vcc
	s_cbranch_execz .LBB592_253
; %bb.248:
	v_lshrrev_b32_e32 v30, 24, v31
	s_movk_i32 s8, 0x80
	v_cmp_ne_u32_e32 vcc, s8, v30
	v_bfrev_b32_e32 v57, 1
	s_and_saveexec_b64 s[8:9], vcc
	s_cbranch_execz .LBB592_252
; %bb.249:
	v_bfe_u32 v31, v31, 24, 7
	s_movk_i32 s10, 0x7f
	v_cmp_ne_u32_e32 vcc, s10, v31
	v_mov_b32_e32 v57, 0x7f800001
	s_and_saveexec_b64 s[10:11], vcc
	s_cbranch_execz .LBB592_251
; %bb.250:
	v_and_b32_e32 v57, 7, v30
	v_ffbh_u32_e32 v58, v57
	v_min_u32_e32 v61, 32, v58
	v_subrev_u32_e32 v58, 28, v61
	v_lshlrev_b64 v[58:59], v58, v[30:31]
	v_lshrrev_b32_e32 v60, 3, v31
	v_sub_u32_e32 v59, 29, v61
	v_and_b32_e32 v58, 7, v58
	v_cmp_gt_u32_e32 vcc, 8, v31
	v_cndmask_b32_e32 v31, v60, v59, vcc
	v_cndmask_b32_e32 v57, v57, v58, vcc
	v_lshlrev_b32_e32 v30, 24, v30
	v_bfrev_b32_e32 v58, 60
	v_lshlrev_b32_e32 v57, 20, v57
	v_and_b32_e32 v30, 0x80000000, v30
	v_lshl_add_u32 v31, v31, 23, v58
	v_or3_b32 v57, v30, v31, v57
.LBB592_251:
	s_or_b64 exec, exec, s[10:11]
.LBB592_252:
	s_or_b64 exec, exec, s[8:9]
.LBB592_253:
	s_or_b64 exec, exec, s[2:3]
	v_cvt_pkrtz_f16_f32 v30, v54, v44
	v_cvt_pkrtz_f16_f32 v31, v43, v55
	v_cmp_ne_u16_sdwa s[8:9], v32, v53 src0_sel:BYTE_0 src1_sel:DWORD
	s_nop 0
	v_mfma_f32_16x16x16f16 v[58:61], v[30:31], v[26:27], 0
	v_cvt_pkrtz_f16_f32 v30, v45, v56
	v_cvt_pkrtz_f16_f32 v31, v42, v57
	s_nop 1
	v_mfma_f32_16x16x16f16 v[42:45], v[30:31], v[28:29], v[58:61]
	s_and_saveexec_b64 s[2:3], s[8:9]
	s_cbranch_execz .LBB592_259
; %bb.254:
	s_movk_i32 s8, 0x80
	v_cmp_ne_u16_sdwa s[10:11], v32, s8 src0_sel:BYTE_0 src1_sel:DWORD
	v_bfrev_b32_e32 v53, 1
	s_and_saveexec_b64 s[8:9], s[10:11]
	s_cbranch_execz .LBB592_258
; %bb.255:
	s_movk_i32 s10, 0x7f
	v_and_b32_e32 v30, 0x7f, v32
	v_cmp_ne_u32_e32 vcc, s10, v30
	v_mov_b32_e32 v53, 0x7f800001
	s_and_saveexec_b64 s[10:11], vcc
	s_cbranch_execz .LBB592_257
; %bb.256:
	v_and_b32_e32 v31, 7, v32
	v_ffbh_u32_e32 v54, v31
	v_min_u32_e32 v56, 32, v54
	v_subrev_u32_e32 v54, 28, v56
	v_lshlrev_b64 v[54:55], v54, v[32:33]
	v_lshrrev_b32_e32 v53, 3, v30
	v_sub_u32_e32 v55, 29, v56
	v_and_b32_e32 v54, 7, v54
	v_cmp_gt_u32_e32 vcc, 8, v30
	v_cndmask_b32_e32 v30, v53, v55, vcc
	v_cndmask_b32_e32 v31, v31, v54, vcc
	v_lshlrev_b32_e32 v53, 24, v32
	v_bfrev_b32_e32 v54, 60
	v_lshlrev_b32_e32 v31, 20, v31
	v_and_b32_e32 v53, 0x80000000, v53
	v_lshl_add_u32 v30, v30, 23, v54
	v_or3_b32 v53, v53, v30, v31
.LBB592_257:
	s_or_b64 exec, exec, s[10:11]
.LBB592_258:
	s_or_b64 exec, exec, s[8:9]
.LBB592_259:
	s_or_b64 exec, exec, s[2:3]
	v_lshrrev_b16_e32 v30, 8, v32
	v_cmp_ne_u16_e32 vcc, 0, v30
	v_mov_b32_e32 v31, 0
	v_mov_b32_e32 v55, 0
	s_and_saveexec_b64 s[2:3], vcc
	s_cbranch_execz .LBB592_265
; %bb.260:
	s_movk_i32 s8, 0x80
	v_cmp_ne_u16_e32 vcc, s8, v30
	v_bfrev_b32_e32 v55, 1
	s_and_saveexec_b64 s[8:9], vcc
	s_cbranch_execz .LBB592_264
; %bb.261:
	s_movk_i32 s10, 0x7f
	v_and_b32_e32 v54, 0x7f, v30
	v_cmp_ne_u32_e32 vcc, s10, v54
	v_mov_b32_e32 v55, 0x7f800001
	s_and_saveexec_b64 s[10:11], vcc
	s_cbranch_execz .LBB592_263
; %bb.262:
	v_and_b32_e32 v55, 7, v30
	v_ffbh_u32_e32 v56, v55
	v_min_u32_e32 v59, 32, v56
	v_subrev_u32_e32 v56, 28, v59
	v_lshlrev_b64 v[56:57], v56, v[30:31]
	v_lshrrev_b32_e32 v58, 3, v54
	v_sub_u32_e32 v30, 29, v59
	v_and_b32_e32 v56, 7, v56
	v_cmp_gt_u32_e32 vcc, 8, v54
	v_cndmask_b32_e32 v30, v58, v30, vcc
	v_cndmask_b32_e32 v54, v55, v56, vcc
	v_lshlrev_b32_e32 v55, 16, v32
	v_bfrev_b32_e32 v56, 60
	v_lshlrev_b32_e32 v54, 20, v54
	v_and_b32_e32 v55, 0x80000000, v55
	v_lshl_add_u32 v30, v30, 23, v56
	v_or3_b32 v55, v55, v30, v54
.LBB592_263:
	s_or_b64 exec, exec, s[10:11]
.LBB592_264:
	s_or_b64 exec, exec, s[8:9]
.LBB592_265:
	s_or_b64 exec, exec, s[2:3]
	s_movk_i32 s2, 0xff
	v_and_b32_sdwa v54, v32, s2 dst_sel:DWORD dst_unused:UNUSED_PAD src0_sel:WORD_1 src1_sel:DWORD
	v_lshrrev_b32_e32 v30, 16, v32
	v_cmp_ne_u16_e32 vcc, 0, v54
	s_and_saveexec_b64 s[2:3], vcc
	s_cbranch_execz .LBB592_271
; %bb.266:
	s_movk_i32 s8, 0x80
	v_cmp_ne_u16_e32 vcc, s8, v54
	v_bfrev_b32_e32 v31, 1
	s_and_saveexec_b64 s[8:9], vcc
	s_cbranch_execz .LBB592_270
; %bb.267:
	v_bfe_u32 v54, v32, 16, 7
	s_movk_i32 s10, 0x7f
	v_cmp_ne_u32_e32 vcc, s10, v54
	v_mov_b32_e32 v31, 0x7f800001
	s_and_saveexec_b64 s[10:11], vcc
	s_cbranch_execz .LBB592_269
; %bb.268:
	v_and_b32_e32 v56, 7, v30
	v_ffbh_u32_e32 v31, v56
	v_min_u32_e32 v58, 32, v31
	v_subrev_u32_e32 v31, 28, v58
	v_lshlrev_b64 v[30:31], v31, v[30:31]
	v_lshrrev_b32_e32 v57, 3, v54
	v_sub_u32_e32 v31, 29, v58
	v_and_b32_e32 v30, 7, v30
	v_cmp_gt_u32_e32 vcc, 8, v54
	v_mov_b32_e32 v54, 24
	v_cndmask_b32_e32 v31, v57, v31, vcc
	v_cndmask_b32_e32 v30, v56, v30, vcc
	v_lshlrev_b32_sdwa v54, v54, v32 dst_sel:DWORD dst_unused:UNUSED_PAD src0_sel:DWORD src1_sel:WORD_1
	v_bfrev_b32_e32 v56, 60
	v_lshlrev_b32_e32 v30, 20, v30
	v_and_b32_e32 v54, 0x80000000, v54
	v_lshl_add_u32 v31, v31, 23, v56
	v_or3_b32 v31, v54, v31, v30
.LBB592_269:
	s_or_b64 exec, exec, s[10:11]
.LBB592_270:
	s_or_b64 exec, exec, s[8:9]
.LBB592_271:
	s_or_b64 exec, exec, s[2:3]
	s_mov_b32 s2, 0xffffff
	v_cmp_lt_u32_e32 vcc, s2, v32
	v_mov_b32_e32 v56, 0
	v_mov_b32_e32 v57, 0
	s_and_saveexec_b64 s[2:3], vcc
	s_cbranch_execz .LBB592_277
; %bb.272:
	v_lshrrev_b32_e32 v30, 24, v32
	s_movk_i32 s8, 0x80
	v_cmp_ne_u32_e32 vcc, s8, v30
	v_bfrev_b32_e32 v57, 1
	s_and_saveexec_b64 s[8:9], vcc
	s_cbranch_execz .LBB592_276
; %bb.273:
	v_bfe_u32 v32, v32, 24, 7
	s_movk_i32 s10, 0x7f
	v_cmp_ne_u32_e32 vcc, s10, v32
	v_mov_b32_e32 v57, 0x7f800001
	s_and_saveexec_b64 s[10:11], vcc
	s_cbranch_execz .LBB592_275
; %bb.274:
	v_and_b32_e32 v54, 7, v30
	v_ffbh_u32_e32 v58, v54
	v_min_u32_e32 v60, 32, v58
	v_subrev_u32_e32 v58, 28, v60
	v_lshlrev_b64 v[58:59], v58, v[30:31]
	v_lshrrev_b32_e32 v57, 3, v32
	v_sub_u32_e32 v59, 29, v60
	v_and_b32_e32 v58, 7, v58
	v_cmp_gt_u32_e32 vcc, 8, v32
	v_cndmask_b32_e32 v32, v57, v59, vcc
	v_cndmask_b32_e32 v54, v54, v58, vcc
	v_lshlrev_b32_e32 v30, 24, v30
	v_bfrev_b32_e32 v57, 60
	v_lshlrev_b32_e32 v54, 20, v54
	v_and_b32_e32 v30, 0x80000000, v30
	v_lshl_add_u32 v32, v32, 23, v57
	v_or3_b32 v57, v30, v32, v54
.LBB592_275:
	s_or_b64 exec, exec, s[10:11]
.LBB592_276:
	s_or_b64 exec, exec, s[8:9]
.LBB592_277:
	s_or_b64 exec, exec, s[2:3]
	v_cmp_ne_u16_sdwa s[8:9], v33, v56 src0_sel:BYTE_0 src1_sel:DWORD
	s_and_saveexec_b64 s[2:3], s[8:9]
	s_cbranch_execz .LBB592_283
; %bb.278:
	s_movk_i32 s8, 0x80
	v_cmp_ne_u16_sdwa s[10:11], v33, s8 src0_sel:BYTE_0 src1_sel:DWORD
	v_bfrev_b32_e32 v56, 1
	s_and_saveexec_b64 s[8:9], s[10:11]
	s_cbranch_execz .LBB592_282
; %bb.279:
	s_movk_i32 s10, 0x7f
	v_and_b32_e32 v30, 0x7f, v33
	v_cmp_ne_u32_e32 vcc, s10, v30
	v_mov_b32_e32 v56, 0x7f800001
	s_and_saveexec_b64 s[10:11], vcc
	s_cbranch_execz .LBB592_281
; %bb.280:
	v_and_b32_e32 v54, 7, v33
	v_ffbh_u32_e32 v58, v54
	v_min_u32_e32 v60, 32, v58
	v_mov_b32_e32 v32, v33
	v_subrev_u32_e32 v58, 28, v60
	v_lshlrev_b64 v[58:59], v58, v[32:33]
	v_lshrrev_b32_e32 v56, 3, v30
	v_sub_u32_e32 v32, 29, v60
	v_and_b32_e32 v58, 7, v58
	v_cmp_gt_u32_e32 vcc, 8, v30
	v_cndmask_b32_e32 v30, v56, v32, vcc
	v_cndmask_b32_e32 v32, v54, v58, vcc
	v_lshlrev_b32_e32 v54, 24, v33
	v_bfrev_b32_e32 v56, 60
	v_lshlrev_b32_e32 v32, 20, v32
	v_and_b32_e32 v54, 0x80000000, v54
	v_lshl_add_u32 v30, v30, 23, v56
	v_or3_b32 v56, v54, v30, v32
.LBB592_281:
	s_or_b64 exec, exec, s[10:11]
.LBB592_282:
	s_or_b64 exec, exec, s[8:9]
.LBB592_283:
	s_or_b64 exec, exec, s[2:3]
	v_lshrrev_b16_e32 v30, 8, v33
	v_cmp_ne_u16_e32 vcc, 0, v30
	v_mov_b32_e32 v32, 0
	v_mov_b32_e32 v58, 0
	s_and_saveexec_b64 s[2:3], vcc
	s_cbranch_execz .LBB592_289
; %bb.284:
	s_movk_i32 s8, 0x80
	v_cmp_ne_u16_e32 vcc, s8, v30
	v_bfrev_b32_e32 v58, 1
	s_and_saveexec_b64 s[8:9], vcc
	s_cbranch_execz .LBB592_288
; %bb.285:
	s_movk_i32 s10, 0x7f
	v_and_b32_e32 v54, 0x7f, v30
	v_cmp_ne_u32_e32 vcc, s10, v54
	v_mov_b32_e32 v58, 0x7f800001
	s_and_saveexec_b64 s[10:11], vcc
	s_cbranch_execz .LBB592_287
; %bb.286:
	v_and_b32_e32 v60, 7, v30
	v_ffbh_u32_e32 v58, v60
	v_min_u32_e32 v62, 32, v58
	v_subrev_u32_e32 v58, 28, v62
	v_lshlrev_b64 v[58:59], v58, v[30:31]
	v_lshrrev_b32_e32 v61, 3, v54
	v_sub_u32_e32 v30, 29, v62
	v_and_b32_e32 v58, 7, v58
	v_cmp_gt_u32_e32 vcc, 8, v54
	v_cndmask_b32_e32 v30, v61, v30, vcc
	v_cndmask_b32_e32 v54, v60, v58, vcc
	v_lshlrev_b32_e32 v58, 16, v33
	v_bfrev_b32_e32 v59, 60
	v_lshlrev_b32_e32 v54, 20, v54
	v_and_b32_e32 v58, 0x80000000, v58
	v_lshl_add_u32 v30, v30, 23, v59
	v_or3_b32 v58, v58, v30, v54
.LBB592_287:
	s_or_b64 exec, exec, s[10:11]
.LBB592_288:
	s_or_b64 exec, exec, s[8:9]
.LBB592_289:
	s_or_b64 exec, exec, s[2:3]
	s_movk_i32 s2, 0xff
	v_and_b32_sdwa v54, v33, s2 dst_sel:DWORD dst_unused:UNUSED_PAD src0_sel:WORD_1 src1_sel:DWORD
	v_lshrrev_b32_e32 v30, 16, v33
	v_cmp_ne_u16_e32 vcc, 0, v54
	s_and_saveexec_b64 s[2:3], vcc
	s_cbranch_execz .LBB592_295
; %bb.290:
	s_movk_i32 s8, 0x80
	v_cmp_ne_u16_e32 vcc, s8, v54
	v_bfrev_b32_e32 v32, 1
	s_and_saveexec_b64 s[8:9], vcc
	s_cbranch_execz .LBB592_294
; %bb.291:
	v_bfe_u32 v54, v33, 16, 7
	s_movk_i32 s10, 0x7f
	v_cmp_ne_u32_e32 vcc, s10, v54
	v_mov_b32_e32 v32, 0x7f800001
	s_and_saveexec_b64 s[10:11], vcc
	s_cbranch_execz .LBB592_293
; %bb.292:
	v_and_b32_e32 v32, 7, v30
	v_ffbh_u32_e32 v60, v32
	v_min_u32_e32 v62, 32, v60
	v_subrev_u32_e32 v60, 28, v62
	v_lshlrev_b64 v[60:61], v60, v[30:31]
	v_lshrrev_b32_e32 v59, 3, v54
	v_sub_u32_e32 v30, 29, v62
	v_and_b32_e32 v60, 7, v60
	v_cmp_gt_u32_e32 vcc, 8, v54
	v_mov_b32_e32 v54, 24
	v_cndmask_b32_e32 v30, v59, v30, vcc
	v_cndmask_b32_e32 v32, v32, v60, vcc
	v_lshlrev_b32_sdwa v54, v54, v33 dst_sel:DWORD dst_unused:UNUSED_PAD src0_sel:DWORD src1_sel:WORD_1
	v_bfrev_b32_e32 v59, 60
	v_lshlrev_b32_e32 v32, 20, v32
	v_and_b32_e32 v54, 0x80000000, v54
	v_lshl_add_u32 v30, v30, 23, v59
	v_or3_b32 v32, v54, v30, v32
.LBB592_293:
	s_or_b64 exec, exec, s[10:11]
.LBB592_294:
	s_or_b64 exec, exec, s[8:9]
.LBB592_295:
	s_or_b64 exec, exec, s[2:3]
	s_mov_b32 s2, 0xffffff
	v_cmp_lt_u32_e32 vcc, s2, v33
	v_mov_b32_e32 v54, 0
	v_mov_b32_e32 v59, 0
	s_and_saveexec_b64 s[2:3], vcc
	s_cbranch_execz .LBB592_301
; %bb.296:
	v_lshrrev_b32_e32 v30, 24, v33
	s_movk_i32 s8, 0x80
	v_cmp_ne_u32_e32 vcc, s8, v30
	v_bfrev_b32_e32 v59, 1
	s_and_saveexec_b64 s[8:9], vcc
	s_cbranch_execz .LBB592_300
; %bb.297:
	v_bfe_u32 v33, v33, 24, 7
	s_movk_i32 s10, 0x7f
	v_cmp_ne_u32_e32 vcc, s10, v33
	v_mov_b32_e32 v59, 0x7f800001
	s_and_saveexec_b64 s[10:11], vcc
	s_cbranch_execz .LBB592_299
; %bb.298:
	v_and_b32_e32 v59, 7, v30
	v_ffbh_u32_e32 v60, v59
	v_min_u32_e32 v63, 32, v60
	v_subrev_u32_e32 v60, 28, v63
	v_lshlrev_b64 v[60:61], v60, v[30:31]
	v_lshrrev_b32_e32 v62, 3, v33
	v_sub_u32_e32 v61, 29, v63
	v_and_b32_e32 v60, 7, v60
	v_cmp_gt_u32_e32 vcc, 8, v33
	v_cndmask_b32_e32 v33, v62, v61, vcc
	v_cndmask_b32_e32 v59, v59, v60, vcc
	v_lshlrev_b32_e32 v30, 24, v30
	v_bfrev_b32_e32 v60, 60
	v_lshlrev_b32_e32 v59, 20, v59
	v_and_b32_e32 v30, 0x80000000, v30
	v_lshl_add_u32 v33, v33, 23, v60
	v_or3_b32 v59, v30, v33, v59
.LBB592_299:
	s_or_b64 exec, exec, s[10:11]
.LBB592_300:
	s_or_b64 exec, exec, s[8:9]
.LBB592_301:
	s_or_b64 exec, exec, s[2:3]
	v_cvt_pkrtz_f16_f32 v30, v53, v55
	v_cvt_pkrtz_f16_f32 v31, v31, v57
	v_cmp_ne_u16_sdwa s[8:9], v22, v54 src0_sel:BYTE_0 src1_sel:DWORD
	s_nop 0
	v_mfma_f32_16x16x16f16 v[42:45], v[30:31], v[18:19], v[42:45]
	v_cvt_pkrtz_f16_f32 v30, v56, v58
	v_cvt_pkrtz_f16_f32 v31, v32, v59
	s_nop 1
	v_mfma_f32_16x16x16f16 v[30:33], v[30:31], v[20:21], v[42:45]
	s_and_saveexec_b64 s[2:3], s[8:9]
	s_cbranch_execz .LBB592_307
; %bb.302:
	s_movk_i32 s8, 0x80
	v_cmp_ne_u16_sdwa s[10:11], v22, s8 src0_sel:BYTE_0 src1_sel:DWORD
	v_bfrev_b32_e32 v54, 1
	s_and_saveexec_b64 s[8:9], s[10:11]
	s_cbranch_execz .LBB592_306
; %bb.303:
	s_movk_i32 s10, 0x7f
	v_and_b32_e32 v42, 0x7f, v22
	v_cmp_ne_u32_e32 vcc, s10, v42
	v_mov_b32_e32 v54, 0x7f800001
	s_and_saveexec_b64 s[10:11], vcc
	s_cbranch_execz .LBB592_305
; %bb.304:
	v_and_b32_e32 v43, 7, v22
	v_ffbh_u32_e32 v44, v43
	v_min_u32_e32 v54, 32, v44
	v_subrev_u32_e32 v44, 28, v54
	v_lshlrev_b64 v[44:45], v44, v[22:23]
	v_lshrrev_b32_e32 v53, 3, v42
	v_sub_u32_e32 v45, 29, v54
	v_and_b32_e32 v44, 7, v44
	v_cmp_gt_u32_e32 vcc, 8, v42
	v_cndmask_b32_e32 v42, v53, v45, vcc
	v_cndmask_b32_e32 v43, v43, v44, vcc
	v_lshlrev_b32_e32 v44, 24, v22
	v_bfrev_b32_e32 v45, 60
	v_lshlrev_b32_e32 v43, 20, v43
	v_and_b32_e32 v44, 0x80000000, v44
	v_lshl_add_u32 v42, v42, 23, v45
	v_or3_b32 v54, v44, v42, v43
.LBB592_305:
	s_or_b64 exec, exec, s[10:11]
.LBB592_306:
	s_or_b64 exec, exec, s[8:9]
.LBB592_307:
	s_or_b64 exec, exec, s[2:3]
	s_nop 3
	v_lshrrev_b16_e32 v42, 8, v22
	v_cmp_ne_u16_e32 vcc, 0, v42
	v_mov_b32_e32 v43, 0
	v_mov_b32_e32 v44, 0
	s_and_saveexec_b64 s[2:3], vcc
	s_cbranch_execz .LBB592_313
; %bb.308:
	s_movk_i32 s8, 0x80
	v_cmp_ne_u16_e32 vcc, s8, v42
	v_bfrev_b32_e32 v44, 1
	s_and_saveexec_b64 s[8:9], vcc
	s_cbranch_execz .LBB592_312
; %bb.309:
	s_movk_i32 s10, 0x7f
	v_and_b32_e32 v45, 0x7f, v42
	v_cmp_ne_u32_e32 vcc, s10, v45
	v_mov_b32_e32 v44, 0x7f800001
	s_and_saveexec_b64 s[10:11], vcc
	s_cbranch_execz .LBB592_311
; %bb.310:
	v_and_b32_e32 v44, 7, v42
	v_ffbh_u32_e32 v55, v44
	v_min_u32_e32 v55, 32, v55
	v_subrev_u32_e32 v56, 28, v55
	v_lshlrev_b64 v[56:57], v56, v[42:43]
	v_lshrrev_b32_e32 v53, 3, v45
	v_sub_u32_e32 v42, 29, v55
	v_and_b32_e32 v55, 7, v56
	v_cmp_gt_u32_e32 vcc, 8, v45
	v_cndmask_b32_e32 v42, v53, v42, vcc
	v_cndmask_b32_e32 v44, v44, v55, vcc
	v_lshlrev_b32_e32 v45, 16, v22
	v_bfrev_b32_e32 v53, 60
	v_lshlrev_b32_e32 v44, 20, v44
	v_and_b32_e32 v45, 0x80000000, v45
	v_lshl_add_u32 v42, v42, 23, v53
	v_or3_b32 v44, v45, v42, v44
.LBB592_311:
	s_or_b64 exec, exec, s[10:11]
.LBB592_312:
	s_or_b64 exec, exec, s[8:9]
.LBB592_313:
	s_or_b64 exec, exec, s[2:3]
	s_movk_i32 s2, 0xff
	v_and_b32_sdwa v45, v22, s2 dst_sel:DWORD dst_unused:UNUSED_PAD src0_sel:WORD_1 src1_sel:DWORD
	v_lshrrev_b32_e32 v42, 16, v22
	v_cmp_ne_u16_e32 vcc, 0, v45
	s_and_saveexec_b64 s[2:3], vcc
	s_cbranch_execz .LBB592_319
; %bb.314:
	s_movk_i32 s8, 0x80
	v_cmp_ne_u16_e32 vcc, s8, v45
	v_bfrev_b32_e32 v43, 1
	s_and_saveexec_b64 s[8:9], vcc
	s_cbranch_execz .LBB592_318
; %bb.315:
	v_bfe_u32 v45, v22, 16, 7
	s_movk_i32 s10, 0x7f
	v_cmp_ne_u32_e32 vcc, s10, v45
	v_mov_b32_e32 v43, 0x7f800001
	s_and_saveexec_b64 s[10:11], vcc
	s_cbranch_execz .LBB592_317
; %bb.316:
	v_and_b32_e32 v53, 7, v42
	v_ffbh_u32_e32 v43, v53
	v_min_u32_e32 v56, 32, v43
	v_subrev_u32_e32 v43, 28, v56
	v_lshlrev_b64 v[42:43], v43, v[42:43]
	v_lshrrev_b32_e32 v55, 3, v45
	v_sub_u32_e32 v43, 29, v56
	v_and_b32_e32 v42, 7, v42
	v_cmp_gt_u32_e32 vcc, 8, v45
	v_mov_b32_e32 v45, 24
	v_cndmask_b32_e32 v43, v55, v43, vcc
	v_cndmask_b32_e32 v42, v53, v42, vcc
	v_lshlrev_b32_sdwa v45, v45, v22 dst_sel:DWORD dst_unused:UNUSED_PAD src0_sel:DWORD src1_sel:WORD_1
	v_bfrev_b32_e32 v53, 60
	v_lshlrev_b32_e32 v42, 20, v42
	v_and_b32_e32 v45, 0x80000000, v45
	v_lshl_add_u32 v43, v43, 23, v53
	v_or3_b32 v43, v45, v43, v42
.LBB592_317:
	s_or_b64 exec, exec, s[10:11]
.LBB592_318:
	s_or_b64 exec, exec, s[8:9]
.LBB592_319:
	s_or_b64 exec, exec, s[2:3]
	s_mov_b32 s2, 0xffffff
	v_cmp_lt_u32_e32 vcc, s2, v22
	v_mov_b32_e32 v45, 0
	v_mov_b32_e32 v53, 0
	s_and_saveexec_b64 s[2:3], vcc
	s_cbranch_execz .LBB592_325
; %bb.320:
	v_lshrrev_b32_e32 v42, 24, v22
	s_movk_i32 s8, 0x80
	v_cmp_ne_u32_e32 vcc, s8, v42
	v_bfrev_b32_e32 v53, 1
	s_and_saveexec_b64 s[8:9], vcc
	s_cbranch_execz .LBB592_324
; %bb.321:
	v_bfe_u32 v22, v22, 24, 7
	s_movk_i32 s10, 0x7f
	v_cmp_ne_u32_e32 vcc, s10, v22
	v_mov_b32_e32 v53, 0x7f800001
	s_and_saveexec_b64 s[10:11], vcc
	s_cbranch_execz .LBB592_323
; %bb.322:
	v_and_b32_e32 v53, 7, v42
	v_ffbh_u32_e32 v56, v53
	v_min_u32_e32 v58, 32, v56
	v_subrev_u32_e32 v56, 28, v58
	v_lshlrev_b64 v[56:57], v56, v[42:43]
	v_lshrrev_b32_e32 v55, 3, v22
	v_sub_u32_e32 v57, 29, v58
	v_and_b32_e32 v56, 7, v56
	v_cmp_gt_u32_e32 vcc, 8, v22
	v_cndmask_b32_e32 v22, v55, v57, vcc
	v_cndmask_b32_e32 v53, v53, v56, vcc
	v_lshlrev_b32_e32 v42, 24, v42
	v_bfrev_b32_e32 v55, 60
	v_lshlrev_b32_e32 v53, 20, v53
	v_and_b32_e32 v42, 0x80000000, v42
	v_lshl_add_u32 v22, v22, 23, v55
	v_or3_b32 v53, v42, v22, v53
.LBB592_323:
	s_or_b64 exec, exec, s[10:11]
.LBB592_324:
	s_or_b64 exec, exec, s[8:9]
.LBB592_325:
	s_or_b64 exec, exec, s[2:3]
	v_cmp_ne_u16_sdwa s[8:9], v23, v45 src0_sel:BYTE_0 src1_sel:DWORD
	s_and_saveexec_b64 s[2:3], s[8:9]
	s_cbranch_execz .LBB592_331
; %bb.326:
	s_movk_i32 s8, 0x80
	v_cmp_ne_u16_sdwa s[10:11], v23, s8 src0_sel:BYTE_0 src1_sel:DWORD
	v_bfrev_b32_e32 v45, 1
	s_and_saveexec_b64 s[8:9], s[10:11]
	s_cbranch_execz .LBB592_330
; %bb.327:
	s_movk_i32 s10, 0x7f
	v_and_b32_e32 v22, 0x7f, v23
	v_cmp_ne_u32_e32 vcc, s10, v22
	v_mov_b32_e32 v45, 0x7f800001
	s_and_saveexec_b64 s[10:11], vcc
	s_cbranch_execz .LBB592_329
; %bb.328:
	v_and_b32_e32 v45, 7, v23
	v_ffbh_u32_e32 v56, v45
	v_min_u32_e32 v58, 32, v56
	v_mov_b32_e32 v42, v23
	v_subrev_u32_e32 v56, 28, v58
	v_lshlrev_b64 v[56:57], v56, v[42:43]
	v_lshrrev_b32_e32 v55, 3, v22
	v_sub_u32_e32 v42, 29, v58
	v_and_b32_e32 v56, 7, v56
	v_cmp_gt_u32_e32 vcc, 8, v22
	v_cndmask_b32_e32 v22, v55, v42, vcc
	v_cndmask_b32_e32 v42, v45, v56, vcc
	v_lshlrev_b32_e32 v45, 24, v23
	v_bfrev_b32_e32 v55, 60
	v_lshlrev_b32_e32 v42, 20, v42
	v_and_b32_e32 v45, 0x80000000, v45
	v_lshl_add_u32 v22, v22, 23, v55
	v_or3_b32 v45, v45, v22, v42
.LBB592_329:
	s_or_b64 exec, exec, s[10:11]
.LBB592_330:
	s_or_b64 exec, exec, s[8:9]
.LBB592_331:
	s_or_b64 exec, exec, s[2:3]
	v_lshrrev_b16_e32 v22, 8, v23
	v_cmp_ne_u16_e32 vcc, 0, v22
	v_mov_b32_e32 v55, 0
	v_mov_b32_e32 v56, 0
	s_and_saveexec_b64 s[2:3], vcc
	s_cbranch_execz .LBB592_337
; %bb.332:
	s_movk_i32 s8, 0x80
	v_cmp_ne_u16_e32 vcc, s8, v22
	v_bfrev_b32_e32 v56, 1
	s_and_saveexec_b64 s[8:9], vcc
	s_cbranch_execz .LBB592_336
; %bb.333:
	s_movk_i32 s10, 0x7f
	v_and_b32_e32 v42, 0x7f, v22
	v_cmp_ne_u32_e32 vcc, s10, v42
	v_mov_b32_e32 v56, 0x7f800001
	s_and_saveexec_b64 s[10:11], vcc
	s_cbranch_execz .LBB592_335
; %bb.334:
	v_and_b32_e32 v58, 7, v22
	v_ffbh_u32_e32 v56, v58
	v_min_u32_e32 v60, 32, v56
	v_subrev_u32_e32 v56, 28, v60
	v_lshlrev_b64 v[56:57], v56, v[22:23]
	v_lshrrev_b32_e32 v59, 3, v42
	v_sub_u32_e32 v22, 29, v60
	v_and_b32_e32 v56, 7, v56
	v_cmp_gt_u32_e32 vcc, 8, v42
	v_cndmask_b32_e32 v22, v59, v22, vcc
	v_cndmask_b32_e32 v42, v58, v56, vcc
	v_lshlrev_b32_e32 v56, 16, v23
	v_bfrev_b32_e32 v57, 60
	v_lshlrev_b32_e32 v42, 20, v42
	v_and_b32_e32 v56, 0x80000000, v56
	v_lshl_add_u32 v22, v22, 23, v57
	v_or3_b32 v56, v56, v22, v42
.LBB592_335:
	s_or_b64 exec, exec, s[10:11]
.LBB592_336:
	s_or_b64 exec, exec, s[8:9]
.LBB592_337:
	s_or_b64 exec, exec, s[2:3]
	s_movk_i32 s2, 0xff
	v_and_b32_sdwa v42, v23, s2 dst_sel:DWORD dst_unused:UNUSED_PAD src0_sel:WORD_1 src1_sel:DWORD
	v_lshrrev_b32_e32 v22, 16, v23
	v_cmp_ne_u16_e32 vcc, 0, v42
	s_and_saveexec_b64 s[2:3], vcc
	s_cbranch_execz .LBB592_343
; %bb.338:
	s_movk_i32 s8, 0x80
	v_cmp_ne_u16_e32 vcc, s8, v42
	v_bfrev_b32_e32 v55, 1
	s_and_saveexec_b64 s[8:9], vcc
	s_cbranch_execz .LBB592_342
; %bb.339:
	v_bfe_u32 v42, v23, 16, 7
	s_movk_i32 s10, 0x7f
	v_cmp_ne_u32_e32 vcc, s10, v42
	v_mov_b32_e32 v55, 0x7f800001
	s_and_saveexec_b64 s[10:11], vcc
	s_cbranch_execz .LBB592_341
; %bb.340:
	v_and_b32_e32 v55, 7, v22
	v_ffbh_u32_e32 v58, v55
	v_min_u32_e32 v60, 32, v58
	v_subrev_u32_e32 v58, 28, v60
	v_lshlrev_b64 v[58:59], v58, v[22:23]
	v_and_b32_e32 v58, 7, v58
	v_cmp_gt_u32_e32 vcc, 8, v42
	v_lshrrev_b32_e32 v57, 3, v42
	v_sub_u32_e32 v22, 29, v60
	v_cndmask_b32_e32 v42, v55, v58, vcc
	v_mov_b32_e32 v55, 24
	v_cndmask_b32_e32 v22, v57, v22, vcc
	v_lshlrev_b32_sdwa v55, v55, v23 dst_sel:DWORD dst_unused:UNUSED_PAD src0_sel:DWORD src1_sel:WORD_1
	v_bfrev_b32_e32 v57, 60
	v_lshlrev_b32_e32 v42, 20, v42
	v_and_b32_e32 v55, 0x80000000, v55
	v_lshl_add_u32 v22, v22, 23, v57
	v_or3_b32 v55, v55, v22, v42
.LBB592_341:
	s_or_b64 exec, exec, s[10:11]
.LBB592_342:
	s_or_b64 exec, exec, s[8:9]
.LBB592_343:
	s_or_b64 exec, exec, s[2:3]
	s_mov_b32 s2, 0xffffff
	v_cmp_lt_u32_e32 vcc, s2, v23
	v_mov_b32_e32 v42, 0
	v_mov_b32_e32 v57, 0
	s_and_saveexec_b64 s[2:3], vcc
	s_cbranch_execz .LBB592_349
; %bb.344:
	v_lshrrev_b32_e32 v22, 24, v23
	s_movk_i32 s8, 0x80
	v_cmp_ne_u32_e32 vcc, s8, v22
	v_bfrev_b32_e32 v57, 1
	s_and_saveexec_b64 s[8:9], vcc
	s_cbranch_execz .LBB592_348
; %bb.345:
	v_bfe_u32 v23, v23, 24, 7
	s_movk_i32 s10, 0x7f
	v_cmp_ne_u32_e32 vcc, s10, v23
	v_mov_b32_e32 v57, 0x7f800001
	s_and_saveexec_b64 s[10:11], vcc
	s_cbranch_execz .LBB592_347
; %bb.346:
	v_and_b32_e32 v57, 7, v22
	v_ffbh_u32_e32 v58, v57
	v_min_u32_e32 v61, 32, v58
	v_subrev_u32_e32 v58, 28, v61
	v_lshlrev_b64 v[58:59], v58, v[22:23]
	v_lshrrev_b32_e32 v60, 3, v23
	v_sub_u32_e32 v59, 29, v61
	v_and_b32_e32 v58, 7, v58
	v_cmp_gt_u32_e32 vcc, 8, v23
	v_cndmask_b32_e32 v23, v60, v59, vcc
	v_cndmask_b32_e32 v57, v57, v58, vcc
	v_lshlrev_b32_e32 v22, 24, v22
	v_bfrev_b32_e32 v58, 60
	v_lshlrev_b32_e32 v57, 20, v57
	v_and_b32_e32 v22, 0x80000000, v22
	v_lshl_add_u32 v23, v23, 23, v58
	v_or3_b32 v57, v22, v23, v57
.LBB592_347:
	s_or_b64 exec, exec, s[10:11]
.LBB592_348:
	s_or_b64 exec, exec, s[8:9]
.LBB592_349:
	s_or_b64 exec, exec, s[2:3]
	v_cvt_pkrtz_f16_f32 v22, v54, v44
	v_cvt_pkrtz_f16_f32 v23, v43, v53
	v_cmp_ne_u16_sdwa s[8:9], v24, v42 src0_sel:BYTE_0 src1_sel:DWORD
	s_nop 0
	v_mfma_f32_16x16x16f16 v[58:61], v[22:23], v[26:27], 0
	v_cvt_pkrtz_f16_f32 v22, v45, v56
	v_cvt_pkrtz_f16_f32 v23, v55, v57
	s_nop 1
	v_mfma_f32_16x16x16f16 v[26:29], v[22:23], v[28:29], v[58:61]
	s_and_saveexec_b64 s[2:3], s[8:9]
	s_cbranch_execz .LBB592_355
; %bb.350:
	s_movk_i32 s8, 0x80
	v_cmp_ne_u16_sdwa s[10:11], v24, s8 src0_sel:BYTE_0 src1_sel:DWORD
	v_bfrev_b32_e32 v42, 1
	s_and_saveexec_b64 s[8:9], s[10:11]
	s_cbranch_execz .LBB592_354
; %bb.351:
	s_movk_i32 s10, 0x7f
	v_and_b32_e32 v22, 0x7f, v24
	v_cmp_ne_u32_e32 vcc, s10, v22
	v_mov_b32_e32 v42, 0x7f800001
	s_and_saveexec_b64 s[10:11], vcc
	s_cbranch_execz .LBB592_353
; %bb.352:
	v_and_b32_e32 v23, 7, v24
	v_ffbh_u32_e32 v42, v23
	v_min_u32_e32 v45, 32, v42
	v_subrev_u32_e32 v42, 28, v45
	v_lshlrev_b64 v[42:43], v42, v[24:25]
	v_lshrrev_b32_e32 v44, 3, v22
	v_sub_u32_e32 v43, 29, v45
	v_and_b32_e32 v42, 7, v42
	v_cmp_gt_u32_e32 vcc, 8, v22
	v_cndmask_b32_e32 v22, v44, v43, vcc
	v_cndmask_b32_e32 v23, v23, v42, vcc
	v_lshlrev_b32_e32 v42, 24, v24
	v_bfrev_b32_e32 v43, 60
	v_lshlrev_b32_e32 v23, 20, v23
	v_and_b32_e32 v42, 0x80000000, v42
	v_lshl_add_u32 v22, v22, 23, v43
	v_or3_b32 v42, v42, v22, v23
.LBB592_353:
	s_or_b64 exec, exec, s[10:11]
.LBB592_354:
	s_or_b64 exec, exec, s[8:9]
.LBB592_355:
	s_or_b64 exec, exec, s[2:3]
	v_lshrrev_b16_e32 v22, 8, v24
	v_cmp_ne_u16_e32 vcc, 0, v22
	v_mov_b32_e32 v23, 0
	v_mov_b32_e32 v43, 0
	s_and_saveexec_b64 s[2:3], vcc
	s_cbranch_execz .LBB592_361
; %bb.356:
	s_movk_i32 s8, 0x80
	v_cmp_ne_u16_e32 vcc, s8, v22
	v_bfrev_b32_e32 v43, 1
	s_and_saveexec_b64 s[8:9], vcc
	s_cbranch_execz .LBB592_360
; %bb.357:
	s_movk_i32 s10, 0x7f
	v_and_b32_e32 v44, 0x7f, v22
	v_cmp_ne_u32_e32 vcc, s10, v44
	v_mov_b32_e32 v43, 0x7f800001
	s_and_saveexec_b64 s[10:11], vcc
	s_cbranch_execz .LBB592_359
; %bb.358:
	v_and_b32_e32 v43, 7, v22
	v_ffbh_u32_e32 v53, v43
	v_min_u32_e32 v53, 32, v53
	v_subrev_u32_e32 v54, 28, v53
	v_lshlrev_b64 v[54:55], v54, v[22:23]
	v_lshrrev_b32_e32 v45, 3, v44
	v_sub_u32_e32 v22, 29, v53
	v_and_b32_e32 v53, 7, v54
	v_cmp_gt_u32_e32 vcc, 8, v44
	v_cndmask_b32_e32 v22, v45, v22, vcc
	v_cndmask_b32_e32 v43, v43, v53, vcc
	v_lshlrev_b32_e32 v44, 16, v24
	v_bfrev_b32_e32 v45, 60
	v_lshlrev_b32_e32 v43, 20, v43
	v_and_b32_e32 v44, 0x80000000, v44
	v_lshl_add_u32 v22, v22, 23, v45
	v_or3_b32 v43, v44, v22, v43
.LBB592_359:
	s_or_b64 exec, exec, s[10:11]
.LBB592_360:
	s_or_b64 exec, exec, s[8:9]
.LBB592_361:
	s_or_b64 exec, exec, s[2:3]
	s_movk_i32 s2, 0xff
	v_and_b32_sdwa v44, v24, s2 dst_sel:DWORD dst_unused:UNUSED_PAD src0_sel:WORD_1 src1_sel:DWORD
	v_lshrrev_b32_e32 v22, 16, v24
	v_cmp_ne_u16_e32 vcc, 0, v44
	s_and_saveexec_b64 s[2:3], vcc
	s_cbranch_execz .LBB592_367
; %bb.362:
	s_movk_i32 s8, 0x80
	v_cmp_ne_u16_e32 vcc, s8, v44
	v_bfrev_b32_e32 v23, 1
	s_and_saveexec_b64 s[8:9], vcc
	s_cbranch_execz .LBB592_366
; %bb.363:
	v_bfe_u32 v44, v24, 16, 7
	s_movk_i32 s10, 0x7f
	v_cmp_ne_u32_e32 vcc, s10, v44
	v_mov_b32_e32 v23, 0x7f800001
	s_and_saveexec_b64 s[10:11], vcc
	s_cbranch_execz .LBB592_365
; %bb.364:
	v_and_b32_e32 v45, 7, v22
	v_ffbh_u32_e32 v23, v45
	v_min_u32_e32 v54, 32, v23
	v_subrev_u32_e32 v23, 28, v54
	v_lshlrev_b64 v[22:23], v23, v[22:23]
	v_lshrrev_b32_e32 v53, 3, v44
	v_sub_u32_e32 v23, 29, v54
	v_and_b32_e32 v22, 7, v22
	v_cmp_gt_u32_e32 vcc, 8, v44
	v_mov_b32_e32 v44, 24
	v_cndmask_b32_e32 v23, v53, v23, vcc
	v_cndmask_b32_e32 v22, v45, v22, vcc
	v_lshlrev_b32_sdwa v44, v44, v24 dst_sel:DWORD dst_unused:UNUSED_PAD src0_sel:DWORD src1_sel:WORD_1
	v_bfrev_b32_e32 v45, 60
	v_lshlrev_b32_e32 v22, 20, v22
	v_and_b32_e32 v44, 0x80000000, v44
	v_lshl_add_u32 v23, v23, 23, v45
	v_or3_b32 v23, v44, v23, v22
.LBB592_365:
	s_or_b64 exec, exec, s[10:11]
.LBB592_366:
	s_or_b64 exec, exec, s[8:9]
.LBB592_367:
	s_or_b64 exec, exec, s[2:3]
	s_mov_b32 s2, 0xffffff
	v_cmp_lt_u32_e32 vcc, s2, v24
	v_mov_b32_e32 v45, 0
	v_mov_b32_e32 v53, 0
	s_and_saveexec_b64 s[2:3], vcc
	s_cbranch_execz .LBB592_373
; %bb.368:
	v_lshrrev_b32_e32 v22, 24, v24
	s_movk_i32 s8, 0x80
	v_cmp_ne_u32_e32 vcc, s8, v22
	v_bfrev_b32_e32 v53, 1
	s_and_saveexec_b64 s[8:9], vcc
	s_cbranch_execz .LBB592_372
; %bb.369:
	v_bfe_u32 v24, v24, 24, 7
	s_movk_i32 s10, 0x7f
	v_cmp_ne_u32_e32 vcc, s10, v24
	v_mov_b32_e32 v53, 0x7f800001
	s_and_saveexec_b64 s[10:11], vcc
	s_cbranch_execz .LBB592_371
; %bb.370:
	v_and_b32_e32 v44, 7, v22
	v_ffbh_u32_e32 v54, v44
	v_min_u32_e32 v56, 32, v54
	v_subrev_u32_e32 v54, 28, v56
	v_lshlrev_b64 v[54:55], v54, v[22:23]
	v_lshrrev_b32_e32 v53, 3, v24
	v_sub_u32_e32 v55, 29, v56
	v_and_b32_e32 v54, 7, v54
	v_cmp_gt_u32_e32 vcc, 8, v24
	v_cndmask_b32_e32 v24, v53, v55, vcc
	v_cndmask_b32_e32 v44, v44, v54, vcc
	v_lshlrev_b32_e32 v22, 24, v22
	v_bfrev_b32_e32 v53, 60
	v_lshlrev_b32_e32 v44, 20, v44
	v_and_b32_e32 v22, 0x80000000, v22
	v_lshl_add_u32 v24, v24, 23, v53
	v_or3_b32 v53, v22, v24, v44
.LBB592_371:
	s_or_b64 exec, exec, s[10:11]
.LBB592_372:
	s_or_b64 exec, exec, s[8:9]
.LBB592_373:
	s_or_b64 exec, exec, s[2:3]
	v_cmp_ne_u16_sdwa s[8:9], v25, v45 src0_sel:BYTE_0 src1_sel:DWORD
	s_and_saveexec_b64 s[2:3], s[8:9]
	s_cbranch_execz .LBB592_379
; %bb.374:
	s_movk_i32 s8, 0x80
	v_cmp_ne_u16_sdwa s[10:11], v25, s8 src0_sel:BYTE_0 src1_sel:DWORD
	v_bfrev_b32_e32 v45, 1
	s_and_saveexec_b64 s[8:9], s[10:11]
	s_cbranch_execz .LBB592_378
; %bb.375:
	s_movk_i32 s10, 0x7f
	v_and_b32_e32 v22, 0x7f, v25
	v_cmp_ne_u32_e32 vcc, s10, v22
	v_mov_b32_e32 v45, 0x7f800001
	s_and_saveexec_b64 s[10:11], vcc
	s_cbranch_execz .LBB592_377
; %bb.376:
	v_and_b32_e32 v54, 7, v25
	v_ffbh_u32_e32 v44, v54
	v_min_u32_e32 v56, 32, v44
	v_mov_b32_e32 v24, v25
	v_subrev_u32_e32 v44, 28, v56
	v_lshlrev_b64 v[44:45], v44, v[24:25]
	v_lshrrev_b32_e32 v55, 3, v22
	v_sub_u32_e32 v24, 29, v56
	v_and_b32_e32 v44, 7, v44
	v_cmp_gt_u32_e32 vcc, 8, v22
	v_cndmask_b32_e32 v22, v55, v24, vcc
	v_cndmask_b32_e32 v24, v54, v44, vcc
	v_lshlrev_b32_e32 v44, 24, v25
	v_bfrev_b32_e32 v45, 60
	v_lshlrev_b32_e32 v24, 20, v24
	v_and_b32_e32 v44, 0x80000000, v44
	v_lshl_add_u32 v22, v22, 23, v45
	v_or3_b32 v45, v44, v22, v24
.LBB592_377:
	s_or_b64 exec, exec, s[10:11]
.LBB592_378:
	s_or_b64 exec, exec, s[8:9]
.LBB592_379:
	s_or_b64 exec, exec, s[2:3]
	v_lshrrev_b16_e32 v22, 8, v25
	v_cmp_ne_u16_e32 vcc, 0, v22
	v_mov_b32_e32 v54, 0
	v_mov_b32_e32 v55, 0
	s_and_saveexec_b64 s[2:3], vcc
	s_cbranch_execz .LBB592_385
; %bb.380:
	s_movk_i32 s8, 0x80
	v_cmp_ne_u16_e32 vcc, s8, v22
	v_bfrev_b32_e32 v55, 1
	s_and_saveexec_b64 s[8:9], vcc
	s_cbranch_execz .LBB592_384
; %bb.381:
	s_movk_i32 s10, 0x7f
	v_and_b32_e32 v24, 0x7f, v22
	v_cmp_ne_u32_e32 vcc, s10, v24
	v_mov_b32_e32 v55, 0x7f800001
	s_and_saveexec_b64 s[10:11], vcc
	s_cbranch_execz .LBB592_383
; %bb.382:
	v_and_b32_e32 v44, 7, v22
	v_ffbh_u32_e32 v56, v44
	v_min_u32_e32 v58, 32, v56
	v_subrev_u32_e32 v56, 28, v58
	v_lshlrev_b64 v[56:57], v56, v[22:23]
	v_lshrrev_b32_e32 v55, 3, v24
	v_sub_u32_e32 v22, 29, v58
	v_and_b32_e32 v56, 7, v56
	v_cmp_gt_u32_e32 vcc, 8, v24
	v_cndmask_b32_e32 v22, v55, v22, vcc
	v_cndmask_b32_e32 v24, v44, v56, vcc
	v_lshlrev_b32_e32 v44, 16, v25
	v_bfrev_b32_e32 v55, 60
	v_lshlrev_b32_e32 v24, 20, v24
	v_and_b32_e32 v44, 0x80000000, v44
	v_lshl_add_u32 v22, v22, 23, v55
	v_or3_b32 v55, v44, v22, v24
.LBB592_383:
	s_or_b64 exec, exec, s[10:11]
.LBB592_384:
	s_or_b64 exec, exec, s[8:9]
.LBB592_385:
	s_or_b64 exec, exec, s[2:3]
	s_movk_i32 s2, 0xff
	v_and_b32_sdwa v24, v25, s2 dst_sel:DWORD dst_unused:UNUSED_PAD src0_sel:WORD_1 src1_sel:DWORD
	v_lshrrev_b32_e32 v22, 16, v25
	v_cmp_ne_u16_e32 vcc, 0, v24
	s_and_saveexec_b64 s[2:3], vcc
	s_cbranch_execz .LBB592_391
; %bb.386:
	s_movk_i32 s8, 0x80
	v_cmp_ne_u16_e32 vcc, s8, v24
	v_bfrev_b32_e32 v54, 1
	s_and_saveexec_b64 s[8:9], vcc
	s_cbranch_execz .LBB592_390
; %bb.387:
	v_bfe_u32 v24, v25, 16, 7
	s_movk_i32 s10, 0x7f
	v_cmp_ne_u32_e32 vcc, s10, v24
	v_mov_b32_e32 v54, 0x7f800001
	s_and_saveexec_b64 s[10:11], vcc
	s_cbranch_execz .LBB592_389
; %bb.388:
	v_and_b32_e32 v44, 7, v22
	v_ffbh_u32_e32 v56, v44
	v_min_u32_e32 v58, 32, v56
	v_subrev_u32_e32 v56, 28, v58
	v_lshlrev_b64 v[56:57], v56, v[22:23]
	v_and_b32_e32 v56, 7, v56
	v_cmp_gt_u32_e32 vcc, 8, v24
	v_lshrrev_b32_e32 v54, 3, v24
	v_sub_u32_e32 v22, 29, v58
	v_cndmask_b32_e32 v24, v44, v56, vcc
	v_mov_b32_e32 v44, 24
	v_cndmask_b32_e32 v22, v54, v22, vcc
	v_lshlrev_b32_sdwa v44, v44, v25 dst_sel:DWORD dst_unused:UNUSED_PAD src0_sel:DWORD src1_sel:WORD_1
	v_bfrev_b32_e32 v54, 60
	v_lshlrev_b32_e32 v24, 20, v24
	v_and_b32_e32 v44, 0x80000000, v44
	v_lshl_add_u32 v22, v22, 23, v54
	v_or3_b32 v54, v44, v22, v24
.LBB592_389:
	s_or_b64 exec, exec, s[10:11]
.LBB592_390:
	s_or_b64 exec, exec, s[8:9]
.LBB592_391:
	s_or_b64 exec, exec, s[2:3]
	s_mov_b32 s2, 0xffffff
	v_and_b32_e32 v44, 63, v0
	v_cmp_lt_u32_e32 vcc, s2, v25
	v_mov_b32_e32 v56, 0
	s_and_saveexec_b64 s[2:3], vcc
	s_cbranch_execz .LBB592_397
; %bb.392:
	v_lshrrev_b32_e32 v22, 24, v25
	s_movk_i32 s8, 0x80
	v_cmp_ne_u32_e32 vcc, s8, v22
	v_bfrev_b32_e32 v56, 1
	s_and_saveexec_b64 s[8:9], vcc
	s_cbranch_execz .LBB592_396
; %bb.393:
	v_bfe_u32 v24, v25, 24, 7
	s_movk_i32 s10, 0x7f
	v_cmp_ne_u32_e32 vcc, s10, v24
	v_mov_b32_e32 v56, 0x7f800001
	s_and_saveexec_b64 s[10:11], vcc
	s_cbranch_execz .LBB592_395
; %bb.394:
	v_and_b32_e32 v25, 7, v22
	v_ffbh_u32_e32 v56, v25
	v_min_u32_e32 v59, 32, v56
	v_subrev_u32_e32 v56, 28, v59
	v_lshlrev_b64 v[56:57], v56, v[22:23]
	v_lshrrev_b32_e32 v58, 3, v24
	v_sub_u32_e32 v57, 29, v59
	v_and_b32_e32 v56, 7, v56
	v_cmp_gt_u32_e32 vcc, 8, v24
	v_cndmask_b32_e32 v24, v58, v57, vcc
	v_cndmask_b32_e32 v25, v25, v56, vcc
	v_lshlrev_b32_e32 v22, 24, v22
	v_bfrev_b32_e32 v56, 60
	v_lshlrev_b32_e32 v25, 20, v25
	v_and_b32_e32 v22, 0x80000000, v22
	v_lshl_add_u32 v24, v24, 23, v56
	v_or3_b32 v56, v22, v24, v25
.LBB592_395:
	s_or_b64 exec, exec, s[10:11]
.LBB592_396:
	s_or_b64 exec, exec, s[8:9]
.LBB592_397:
	s_or_b64 exec, exec, s[2:3]
	v_cvt_pkrtz_f16_f32 v42, v42, v43
	v_cvt_pkrtz_f16_f32 v43, v23, v53
	s_load_dword s2, s[4:5], 0x1c
	s_mov_b32 s46, 0xff7fffff
	s_waitcnt lgkmcnt(0)
	v_mfma_f32_16x16x16f16 v[26:29], v[42:43], v[18:19], v[26:29]
	v_cvt_pkrtz_f16_f32 v18, v45, v55
	v_cvt_pkrtz_f16_f32 v19, v54, v56
	v_mov_b32_e32 v22, s2
	v_mul_f32_e32 v58, s12, v22
	v_pk_mul_f32 v[22:23], v[58:59], v[32:33] op_sel_hi:[0,1]
	v_pk_mul_f32 v[32:33], v[58:59], v[38:39] op_sel_hi:[0,1]
	v_and_b32_e32 v38, 0xc0, v0
	v_mfma_f32_16x16x16f16 v[26:29], v[18:19], v[20:21], v[26:29]
	v_add_u32_e32 v38, s18, v38
	v_lshl_or_b32 v38, v47, 2, v38
	v_or_b32_e32 v39, 1, v38
	v_pk_mul_f32 v[24:25], v[58:59], v[30:31] op_sel_hi:[0,1]
	v_pk_mul_f32 v[30:31], v[58:59], v[40:41] op_sel_hi:[0,1]
	v_subrev_u32_e32 v40, s33, v39
	v_pk_mul_f32 v[34:35], v[58:59], v[34:35] op_sel_hi:[0,1]
	s_nop 3
	v_pk_mul_f32 v[20:21], v[58:59], v[26:27] op_sel_hi:[0,1]
	v_add_u32_e32 v27, 1, v40
	v_pk_mul_f32 v[18:19], v[58:59], v[28:29] op_sel_hi:[0,1]
	v_cvt_f32_i32_e32 v27, v27
	v_add_u32_e32 v29, 3, v40
	v_cvt_f32_i32_e32 v29, v29
	v_cvt_f32_i32_e32 v26, v40
	v_pk_mul_f32 v[36:37], v[58:59], v[36:37] op_sel_hi:[0,1]
	v_fmac_f32_e32 v35, v52, v27
	v_add_u32_e32 v27, 16, v40
	v_fmac_f32_e32 v37, v52, v29
	v_cvt_f32_i32_e32 v27, v27
	v_add_u32_e32 v29, 17, v40
	v_fma_f32 v26, v52, v26, v34
	v_cvt_f32_i32_e32 v29, v29
	v_add_u32_e32 v34, 18, v40
	v_cvt_f32_i32_e32 v34, v34
	v_fma_f32 v41, v52, v27, v32
	v_add_u32_e32 v27, 32, v40
	v_fmac_f32_e32 v33, v52, v29
	v_cvt_f32_i32_e32 v27, v27
	v_add_u32_e32 v29, 33, v40
	v_add_u32_e32 v32, 34, v40
	v_fma_f32 v30, v52, v34, v30
	v_cvt_f32_i32_e32 v29, v29
	v_cvt_f32_i32_e32 v32, v32
	v_add_u32_e32 v34, 35, v40
	v_cvt_f32_i32_e32 v34, v34
	v_fma_f32 v24, v52, v27, v24
	v_add_u32_e32 v27, 48, v40
	v_fmac_f32_e32 v25, v52, v29
	v_fma_f32 v22, v52, v32, v22
	v_cvt_f32_i32_e32 v27, v27
	v_add_u32_e32 v29, 49, v40
	v_add_u32_e32 v32, 50, v40
	v_fmac_f32_e32 v23, v52, v34
	v_cvt_f32_i32_e32 v29, v29
	v_cvt_f32_i32_e32 v32, v32
	v_add_u32_e32 v34, 51, v40
	v_add_u32_e32 v28, 2, v40
	v_cvt_f32_i32_e32 v34, v34
	v_cvt_f32_i32_e32 v28, v28
	v_fma_f32 v20, v52, v27, v20
	v_mov_b32_e32 v27, 0xff7fffff
	v_cmp_gt_i32_e64 s[26:27], s33, v38
	v_cmp_gt_i32_e64 s[28:29], s33, v39
	v_fmac_f32_e32 v21, v52, v29
	v_fma_f32 v18, v52, v32, v18
	v_cndmask_b32_e64 v29, v27, v26, s[26:27]
	v_cndmask_b32_e64 v32, v27, v35, s[28:29]
	v_fmac_f32_e32 v19, v52, v34
	v_max3_f32 v29, v29, s46, v32
	v_or_b32_e32 v32, 2, v38
	v_or_b32_e32 v34, 3, v38
	v_fma_f32 v28, v52, v28, v36
	v_cmp_gt_i32_e64 s[30:31], s33, v32
	v_cmp_gt_i32_e64 s[34:35], s33, v34
	v_add_u32_e32 v36, 19, v40
	v_cndmask_b32_e64 v32, v27, v28, s[30:31]
	v_cndmask_b32_e64 v34, v27, v37, s[34:35]
	v_cvt_f32_i32_e32 v36, v36
	v_max3_f32 v29, v29, v32, v34
	v_or_b32_e32 v32, 16, v38
	v_or_b32_e32 v34, 17, v38
	v_cmp_gt_i32_e64 s[36:37], s33, v32
	v_cmp_gt_i32_e64 s[38:39], s33, v34
	v_cndmask_b32_e64 v32, v27, v41, s[36:37]
	v_cndmask_b32_e64 v34, v27, v33, s[38:39]
	v_max3_f32 v29, v29, v32, v34
	v_or_b32_e32 v32, 18, v38
	v_or_b32_e32 v34, 19, v38
	v_fmac_f32_e32 v31, v52, v36
	v_cmp_gt_i32_e64 s[20:21], s33, v32
	v_cmp_gt_i32_e64 s[22:23], s33, v34
	v_cndmask_b32_e64 v32, v27, v30, s[20:21]
	v_cndmask_b32_e64 v34, v27, v31, s[22:23]
	v_max3_f32 v29, v29, v32, v34
	v_or_b32_e32 v32, 32, v38
	v_or_b32_e32 v34, 33, v38
	v_cmp_gt_i32_e64 s[16:17], s33, v32
	v_cmp_gt_i32_e64 s[18:19], s33, v34
	v_cndmask_b32_e64 v32, v27, v24, s[16:17]
	v_cndmask_b32_e64 v34, v27, v25, s[18:19]
	v_max3_f32 v29, v29, v32, v34
	v_or_b32_e32 v32, 34, v38
	v_or_b32_e32 v34, 35, v38
	;; [unrolled: 7-line block ×4, first 2 shown]
	v_cmp_gt_i32_e32 vcc, s33, v32
	v_cmp_gt_i32_e64 s[2:3], s33, v34
	v_cndmask_b32_e32 v32, v27, v18, vcc
	v_cndmask_b32_e64 v27, v27, v19, s[2:3]
	v_max3_f32 v27, v29, v32, v27
	v_mbcnt_lo_u32_b32 v29, -1, 0
	v_mbcnt_hi_u32_b32 v29, -1, v29
	v_and_b32_e32 v32, 64, v29
	v_add_u32_e32 v32, 64, v32
	v_xor_b32_e32 v34, 32, v29
	v_cmp_lt_i32_e64 s[40:41], v34, v32
	v_cndmask_b32_e64 v34, v29, v34, s[40:41]
	v_lshlrev_b32_e32 v36, 2, v34
	ds_bpermute_b32 v34, v36, v27
	s_barrier
	s_waitcnt lgkmcnt(0)
	v_max_f32_e32 v34, v34, v34
	v_max_f32_e32 v27, v27, v34
	v_xor_b32_e32 v34, 16, v29
	v_cmp_lt_i32_e64 s[40:41], v34, v32
	v_cndmask_b32_e64 v29, v29, v34, s[40:41]
	v_lshlrev_b32_e32 v38, 2, v29
	ds_bpermute_b32 v29, v38, v27
	s_waitcnt lgkmcnt(0)
	v_max_f32_e32 v29, v29, v29
	v_max_f32_e32 v32, v27, v29
	v_sub_f32_e32 v26, v26, v32
	v_mul_f32_e32 v26, 0x3fb8aa3b, v26
	v_sub_f32_e32 v27, v35, v32
	v_exp_f32_e32 v26, v26
	v_mul_f32_e32 v27, 0x3fb8aa3b, v27
	v_sub_f32_e32 v28, v28, v32
	v_exp_f32_e32 v27, v27
	v_mul_f32_e32 v28, 0x3fb8aa3b, v28
	v_exp_f32_e32 v28, v28
	v_cndmask_b32_e64 v26, 0, v26, s[26:27]
	v_sub_f32_e32 v34, v37, v32
	v_add_f32_e32 v29, 0, v26
	v_cndmask_b32_e64 v27, 0, v27, s[28:29]
	v_mul_f32_e32 v34, 0x3fb8aa3b, v34
	v_exp_f32_e32 v35, v34
	v_add_f32_e32 v29, v29, v27
	v_cndmask_b32_e64 v34, 0, v28, s[30:31]
	v_add_f32_e32 v28, v29, v34
	v_sub_f32_e32 v29, v41, v32
	v_mul_f32_e32 v29, 0x3fb8aa3b, v29
	v_sub_f32_e32 v33, v33, v32
	v_exp_f32_e32 v29, v29
	v_mul_f32_e32 v33, 0x3fb8aa3b, v33
	v_sub_f32_e32 v30, v30, v32
	v_exp_f32_e32 v33, v33
	;; [unrolled: 3-line block ×3, first 2 shown]
	v_mul_f32_e32 v31, 0x3fb8aa3b, v31
	v_sub_f32_e32 v24, v24, v32
	v_cndmask_b32_e64 v35, 0, v35, s[34:35]
	v_exp_f32_e32 v31, v31
	v_mul_f32_e32 v24, 0x3fb8aa3b, v24
	v_sub_f32_e32 v25, v25, v32
	v_add_f32_e32 v37, v28, v35
	v_cndmask_b32_e64 v28, 0, v29, s[36:37]
	v_exp_f32_e32 v24, v24
	v_mul_f32_e32 v25, 0x3fb8aa3b, v25
	v_sub_f32_e32 v22, v22, v32
	v_add_f32_e32 v37, v37, v28
	;; [unrolled: 5-line block ×7, first 2 shown]
	v_cndmask_b32_e64 v22, 0, v22, s[12:13]
	v_exp_f32_e32 v18, v18
	v_mul_f32_e32 v19, 0x3fb8aa3b, v19
	v_add_f32_e32 v33, v33, v22
	v_cndmask_b32_e64 v23, 0, v23, s[14:15]
	v_exp_f32_e32 v19, v19
	v_add_f32_e32 v33, v33, v23
	v_cndmask_b32_e64 v20, 0, v20, s[8:9]
	v_add_f32_e32 v33, v33, v20
	v_cndmask_b32_e64 v21, 0, v21, s[10:11]
	v_add_f32_e32 v33, v33, v21
	v_cndmask_b32_e32 v18, 0, v18, vcc
	v_add_f32_e32 v33, v33, v18
	v_cndmask_b32_e64 v19, 0, v19, s[2:3]
	v_add_f32_e32 v33, v33, v19
	ds_bpermute_b32 v36, v36, v33
	v_cmp_gt_u32_e32 vcc, 16, v44
	s_waitcnt lgkmcnt(0)
	v_add_f32_e32 v33, v33, v36
	ds_bpermute_b32 v37, v38, v33
	v_lshlrev_b32_e32 v36, 2, v50
	s_and_saveexec_b64 s[2:3], vcc
	s_cbranch_execz .LBB592_399
; %bb.398:
	s_waitcnt lgkmcnt(0)
	v_add_f32_e32 v33, v33, v37
	v_lshl_or_b32 v37, v51, 6, v36
	ds_write2st64_b32 v37, v32, v33 offset1:1
.LBB592_399:
	s_or_b64 exec, exec, s[2:3]
	s_waitcnt lgkmcnt(0)
	s_barrier
	ds_read2_b32 v[38:39], v36 offset1:16
	ds_read2_b32 v[40:41], v36 offset0:32 offset1:48
	ds_read2_b32 v[42:43], v36 offset0:64 offset1:80
	s_mul_i32 s12, s45, 3
	s_waitcnt lgkmcnt(2)
	v_max3_f32 v32, v38, s46, v39
	s_waitcnt lgkmcnt(1)
	v_max3_f32 v33, v32, v40, v41
	v_sub_f32_e32 v32, v38, v33
	v_mul_f32_e32 v32, 0x3fb8aa3b, v32
	v_exp_f32_e32 v37, v32
	v_sub_f32_e32 v32, v39, v33
	v_mul_f32_e32 v32, 0x3fb8aa3b, v32
	v_exp_f32_e32 v44, v32
	;; [unrolled: 3-line block ×3, first 2 shown]
	ds_read2_b32 v[38:39], v36 offset0:96 offset1:112
	v_sub_f32_e32 v32, v41, v33
	v_mul_f32_e32 v32, 0x3fb8aa3b, v32
	v_exp_f32_e32 v41, v32
	s_waitcnt lgkmcnt(1)
	v_fma_f32 v36, v37, v42, 0
	v_fmac_f32_e32 v36, v44, v43
	s_waitcnt lgkmcnt(0)
	v_fmac_f32_e32 v36, v40, v38
	v_fmac_f32_e32 v36, v41, v39
	v_add_f32_e32 v38, 0x358637bd, v36
	v_div_scale_f32 v39, s[2:3], v38, v38, 1.0
	v_rcp_f32_e32 v42, v39
	s_barrier
	v_fma_f32 v43, -v39, v42, 1.0
	v_fmac_f32_e32 v42, v43, v42
	v_div_scale_f32 v43, vcc, 1.0, v38, 1.0
	v_mul_f32_e32 v45, v43, v42
	v_fma_f32 v52, -v39, v45, v43
	v_fmac_f32_e32 v45, v52, v42
	v_fma_f32 v39, -v39, v45, v43
	v_div_fmas_f32 v39, v39, v42, v45
	v_cmp_eq_u32_e32 vcc, 1, v51
	v_cndmask_b32_e32 v37, v37, v44, vcc
	v_cmp_eq_u32_e32 vcc, 2, v51
	v_cndmask_b32_e32 v37, v37, v40, vcc
	v_cmp_eq_u32_e32 vcc, 3, v51
	v_div_fixup_f32 v38, v39, v38, 1.0
	v_cndmask_b32_e32 v37, v37, v41, vcc
	v_mul_f32_e32 v38, v37, v38
	v_pk_mul_f32 v[26:27], v[38:39], v[26:27] op_sel_hi:[0,1]
	v_cvt_f16_f32_e32 v26, v26
	v_cvt_f16_f32_e32 v27, v27
	v_pk_mul_f32 v[34:35], v[38:39], v[34:35] op_sel_hi:[0,1]
	v_cvt_f16_f32_e32 v37, v34
	v_cvt_f16_f32_e32 v35, v35
	v_pack_b32_f16 v34, v26, v27
	v_pk_mul_f32 v[26:27], v[38:39], v[30:31] op_sel_hi:[0,1]
	v_pk_mul_f32 v[28:29], v[38:39], v[28:29] op_sel_hi:[0,1]
	v_cvt_f16_f32_e32 v28, v28
	v_cvt_f16_f32_e32 v29, v29
	;; [unrolled: 1-line block ×4, first 2 shown]
	v_pack_b32_f16 v35, v37, v35
	v_lshlrev_b32_e32 v37, 3, v47
	v_lshlrev_b32_e32 v26, 11, v51
	v_or3_b32 v26, v26, v49, v37
	v_pack_b32_f16 v28, v28, v29
	v_pack_b32_f16 v29, v30, v27
	v_pk_mul_f32 v[22:23], v[38:39], v[22:23] op_sel_hi:[0,1]
	v_pk_mul_f32 v[24:25], v[38:39], v[24:25] op_sel_hi:[0,1]
	;; [unrolled: 1-line block ×4, first 2 shown]
	ds_write2st64_b64 v26, v[34:35], v[28:29] offset1:1
	v_cvt_f16_f32_e32 v24, v24
	v_cvt_f16_f32_e32 v25, v25
	;; [unrolled: 1-line block ×8, first 2 shown]
	v_mov_b32_e32 v32, 0
	v_pack_b32_f16 v18, v24, v25
	v_pack_b32_f16 v19, v22, v23
	;; [unrolled: 1-line block ×4, first 2 shown]
	v_cmp_gt_u32_e32 vcc, 3, v0
	ds_write2st64_b64 v26, v[18:19], v[20:21] offset0:2 offset1:3
	s_and_saveexec_b64 s[2:3], vcc
	s_cbranch_execz .LBB592_401
; %bb.400:
	v_add_co_u32_e32 v20, vcc, s25, v50
	v_addc_co_u32_e64 v21, s[14:15], 0, 0, vcc
	v_mov_b32_e32 v18, s12
	v_mov_b32_e32 v19, 0
	v_mad_u64_u32 v[20:21], s[14:15], s6, v18, v[20:21]
	v_mov_b32_e32 v18, s24
	s_load_dwordx4 s[8:11], s[4:5], 0x58
	s_mul_i32 s7, s7, s12
	v_mad_u64_u32 v[18:19], s[14:15], v20, s44, v[18:19]
	v_add_u32_e32 v21, s7, v21
	v_mov_b32_e32 v20, v19
	v_mad_u64_u32 v[20:21], s[14:15], v21, s44, v[20:21]
	v_mov_b32_e32 v19, v20
	v_lshlrev_b64 v[18:19], 2, v[18:19]
	s_waitcnt lgkmcnt(0)
	v_mov_b32_e32 v21, s11
	v_add_co_u32_e32 v20, vcc, s10, v18
	v_addc_co_u32_e32 v21, vcc, v21, v19, vcc
	global_store_dword v[20:21], v33, off
	v_mov_b32_e32 v20, s9
	v_add_co_u32_e32 v18, vcc, s8, v18
	v_addc_co_u32_e32 v19, vcc, v20, v19, vcc
	global_store_dword v[18:19], v36, off
.LBB592_401:
	s_or_b64 exec, exec, s[2:3]
	v_mov_b32_e32 v19, 0
	s_waitcnt vmcnt(3)
	v_cmp_ne_u16_sdwa s[8:9], v14, v19 src0_sel:BYTE_0 src1_sel:DWORD
	s_waitcnt lgkmcnt(0)
	s_barrier
	s_and_saveexec_b64 s[2:3], s[8:9]
	s_cbranch_execz .LBB592_407
; %bb.402:
	s_movk_i32 s7, 0x80
	v_cmp_ne_u16_sdwa s[10:11], v14, s7 src0_sel:BYTE_0 src1_sel:DWORD
	v_bfrev_b32_e32 v32, 1
	s_and_saveexec_b64 s[8:9], s[10:11]
	s_cbranch_execz .LBB592_406
; %bb.403:
	s_movk_i32 s7, 0x7f
	v_and_b32_e32 v18, 0x7f, v14
	v_cmp_ne_u32_e32 vcc, s7, v18
	v_mov_b32_e32 v32, 0x7f800001
	s_and_saveexec_b64 s[10:11], vcc
	s_cbranch_execz .LBB592_405
; %bb.404:
	v_and_b32_e32 v22, 7, v14
	v_ffbh_u32_e32 v20, v22
	v_min_u32_e32 v24, 32, v20
	v_subrev_u32_e32 v20, 28, v24
	v_lshlrev_b64 v[20:21], v20, v[14:15]
	v_lshrrev_b32_e32 v23, 3, v18
	v_sub_u32_e32 v21, 29, v24
	v_and_b32_e32 v20, 7, v20
	v_cmp_gt_u32_e32 vcc, 8, v18
	v_cndmask_b32_e32 v18, v23, v21, vcc
	v_cndmask_b32_e32 v20, v22, v20, vcc
	v_lshlrev_b32_e32 v21, 24, v14
	v_bfrev_b32_e32 v22, 60
	v_lshlrev_b32_e32 v20, 20, v20
	v_and_b32_e32 v21, 0x80000000, v21
	v_lshl_add_u32 v18, v18, 23, v22
	v_or3_b32 v32, v21, v18, v20
.LBB592_405:
	s_or_b64 exec, exec, s[10:11]
.LBB592_406:
	s_or_b64 exec, exec, s[8:9]
.LBB592_407:
	s_or_b64 exec, exec, s[2:3]
	v_lshrrev_b16_e32 v18, 8, v14
	v_cmp_ne_u16_e32 vcc, 0, v18
	v_mov_b32_e32 v20, 0
	s_and_saveexec_b64 s[2:3], vcc
	s_cbranch_execz .LBB592_413
; %bb.408:
	s_movk_i32 s7, 0x80
	v_cmp_ne_u16_e32 vcc, s7, v18
	v_bfrev_b32_e32 v20, 1
	s_and_saveexec_b64 s[8:9], vcc
	s_cbranch_execz .LBB592_412
; %bb.409:
	s_movk_i32 s7, 0x7f
	v_and_b32_e32 v21, 0x7f, v18
	v_cmp_ne_u32_e32 vcc, s7, v21
	v_mov_b32_e32 v20, 0x7f800001
	s_and_saveexec_b64 s[10:11], vcc
	s_cbranch_execz .LBB592_411
; %bb.410:
	v_and_b32_e32 v20, 7, v18
	v_ffbh_u32_e32 v22, v20
	v_min_u32_e32 v25, 32, v22
	v_subrev_u32_e32 v22, 28, v25
	v_lshlrev_b64 v[22:23], v22, v[18:19]
	v_lshrrev_b32_e32 v24, 3, v21
	v_sub_u32_e32 v18, 29, v25
	v_and_b32_e32 v22, 7, v22
	v_cmp_gt_u32_e32 vcc, 8, v21
	v_cndmask_b32_e32 v18, v24, v18, vcc
	v_cndmask_b32_e32 v20, v20, v22, vcc
	v_lshlrev_b32_e32 v21, 16, v14
	v_bfrev_b32_e32 v22, 60
	v_lshlrev_b32_e32 v20, 20, v20
	v_and_b32_e32 v21, 0x80000000, v21
	v_lshl_add_u32 v18, v18, 23, v22
	v_or3_b32 v20, v21, v18, v20
.LBB592_411:
	s_or_b64 exec, exec, s[10:11]
.LBB592_412:
	s_or_b64 exec, exec, s[8:9]
.LBB592_413:
	s_or_b64 exec, exec, s[2:3]
	s_movk_i32 s2, 0xff
	v_and_b32_sdwa v21, v14, s2 dst_sel:DWORD dst_unused:UNUSED_PAD src0_sel:WORD_1 src1_sel:DWORD
	v_lshrrev_b32_e32 v18, 16, v14
	v_cmp_ne_u16_e32 vcc, 0, v21
	s_and_saveexec_b64 s[2:3], vcc
	s_cbranch_execz .LBB592_419
; %bb.414:
	s_movk_i32 s7, 0x80
	v_cmp_ne_u16_e32 vcc, s7, v21
	v_bfrev_b32_e32 v19, 1
	s_and_saveexec_b64 s[8:9], vcc
	s_cbranch_execz .LBB592_418
; %bb.415:
	v_bfe_u32 v21, v14, 16, 7
	s_movk_i32 s7, 0x7f
	v_cmp_ne_u32_e32 vcc, s7, v21
	v_mov_b32_e32 v19, 0x7f800001
	s_and_saveexec_b64 s[10:11], vcc
	s_cbranch_execz .LBB592_417
; %bb.416:
	v_and_b32_e32 v22, 7, v18
	v_ffbh_u32_e32 v19, v22
	v_min_u32_e32 v24, 32, v19
	v_subrev_u32_e32 v19, 28, v24
	v_lshlrev_b64 v[18:19], v19, v[18:19]
	v_lshrrev_b32_e32 v23, 3, v21
	v_sub_u32_e32 v19, 29, v24
	v_and_b32_e32 v18, 7, v18
	v_cmp_gt_u32_e32 vcc, 8, v21
	v_mov_b32_e32 v21, 24
	v_cndmask_b32_e32 v19, v23, v19, vcc
	v_cndmask_b32_e32 v18, v22, v18, vcc
	v_lshlrev_b32_sdwa v21, v21, v14 dst_sel:DWORD dst_unused:UNUSED_PAD src0_sel:DWORD src1_sel:WORD_1
	v_bfrev_b32_e32 v22, 60
	v_lshlrev_b32_e32 v18, 20, v18
	v_and_b32_e32 v21, 0x80000000, v21
	v_lshl_add_u32 v19, v19, 23, v22
	v_or3_b32 v19, v21, v19, v18
.LBB592_417:
	s_or_b64 exec, exec, s[10:11]
.LBB592_418:
	s_or_b64 exec, exec, s[8:9]
.LBB592_419:
	s_or_b64 exec, exec, s[2:3]
	s_mov_b32 s2, 0xffffff
	v_cmp_lt_u32_e32 vcc, s2, v14
	v_mov_b32_e32 v21, 0
	v_mov_b32_e32 v22, 0
	s_and_saveexec_b64 s[2:3], vcc
	s_cbranch_execz .LBB592_425
; %bb.420:
	v_lshrrev_b32_e32 v18, 24, v14
	s_movk_i32 s7, 0x80
	v_cmp_ne_u32_e32 vcc, s7, v18
	v_bfrev_b32_e32 v22, 1
	s_and_saveexec_b64 s[8:9], vcc
	s_cbranch_execz .LBB592_424
; %bb.421:
	v_bfe_u32 v14, v14, 24, 7
	s_movk_i32 s7, 0x7f
	v_cmp_ne_u32_e32 vcc, s7, v14
	v_mov_b32_e32 v22, 0x7f800001
	s_and_saveexec_b64 s[10:11], vcc
	s_cbranch_execz .LBB592_423
; %bb.422:
	v_and_b32_e32 v24, 7, v18
	v_ffbh_u32_e32 v22, v24
	v_min_u32_e32 v27, 32, v22
	v_subrev_u32_e32 v22, 28, v27
	v_lshlrev_b64 v[22:23], v22, v[18:19]
	v_lshrrev_b32_e32 v25, 3, v14
	v_sub_u32_e32 v23, 29, v27
	v_and_b32_e32 v22, 7, v22
	v_cmp_gt_u32_e32 vcc, 8, v14
	v_cndmask_b32_e32 v14, v25, v23, vcc
	v_cndmask_b32_e32 v22, v24, v22, vcc
	v_lshlrev_b32_e32 v18, 24, v18
	v_bfrev_b32_e32 v23, 60
	v_lshlrev_b32_e32 v22, 20, v22
	v_and_b32_e32 v18, 0x80000000, v18
	v_lshl_add_u32 v14, v14, 23, v23
	v_or3_b32 v22, v18, v14, v22
.LBB592_423:
	s_or_b64 exec, exec, s[10:11]
.LBB592_424:
	s_or_b64 exec, exec, s[8:9]
.LBB592_425:
	s_or_b64 exec, exec, s[2:3]
	v_cmp_ne_u16_sdwa s[8:9], v15, v21 src0_sel:BYTE_0 src1_sel:DWORD
	s_and_saveexec_b64 s[2:3], s[8:9]
	s_cbranch_execz .LBB592_431
; %bb.426:
	s_movk_i32 s7, 0x80
	v_cmp_ne_u16_sdwa s[10:11], v15, s7 src0_sel:BYTE_0 src1_sel:DWORD
	v_bfrev_b32_e32 v21, 1
	s_and_saveexec_b64 s[8:9], s[10:11]
	s_cbranch_execz .LBB592_430
; %bb.427:
	s_movk_i32 s7, 0x7f
	v_and_b32_e32 v14, 0x7f, v15
	v_cmp_ne_u32_e32 vcc, s7, v14
	v_mov_b32_e32 v21, 0x7f800001
	s_and_saveexec_b64 s[10:11], vcc
	s_cbranch_execz .LBB592_429
; %bb.428:
	v_and_b32_e32 v21, 7, v15
	v_ffbh_u32_e32 v24, v21
	v_min_u32_e32 v27, 32, v24
	v_mov_b32_e32 v18, v15
	v_subrev_u32_e32 v24, 28, v27
	v_lshlrev_b64 v[24:25], v24, v[18:19]
	v_lshrrev_b32_e32 v23, 3, v14
	v_sub_u32_e32 v18, 29, v27
	v_and_b32_e32 v24, 7, v24
	v_cmp_gt_u32_e32 vcc, 8, v14
	v_cndmask_b32_e32 v14, v23, v18, vcc
	v_cndmask_b32_e32 v18, v21, v24, vcc
	v_lshlrev_b32_e32 v21, 24, v15
	v_bfrev_b32_e32 v23, 60
	v_lshlrev_b32_e32 v18, 20, v18
	v_and_b32_e32 v21, 0x80000000, v21
	v_lshl_add_u32 v14, v14, 23, v23
	v_or3_b32 v21, v21, v14, v18
.LBB592_429:
	s_or_b64 exec, exec, s[10:11]
.LBB592_430:
	s_or_b64 exec, exec, s[8:9]
.LBB592_431:
	s_or_b64 exec, exec, s[2:3]
	v_lshrrev_b16_e32 v14, 8, v15
	v_cmp_ne_u16_e32 vcc, 0, v14
	v_mov_b32_e32 v18, 0
	v_mov_b32_e32 v24, 0
	s_and_saveexec_b64 s[2:3], vcc
	s_cbranch_execz .LBB592_437
; %bb.432:
	s_movk_i32 s7, 0x80
	v_cmp_ne_u16_e32 vcc, s7, v14
	v_bfrev_b32_e32 v24, 1
	s_and_saveexec_b64 s[8:9], vcc
	s_cbranch_execz .LBB592_436
; %bb.433:
	s_movk_i32 s7, 0x7f
	v_and_b32_e32 v23, 0x7f, v14
	v_cmp_ne_u32_e32 vcc, s7, v23
	v_mov_b32_e32 v24, 0x7f800001
	s_and_saveexec_b64 s[10:11], vcc
	s_cbranch_execz .LBB592_435
; %bb.434:
	v_and_b32_e32 v27, 7, v14
	v_ffbh_u32_e32 v24, v27
	v_min_u32_e32 v29, 32, v24
	v_subrev_u32_e32 v24, 28, v29
	v_lshlrev_b64 v[24:25], v24, v[14:15]
	v_lshrrev_b32_e32 v28, 3, v23
	v_sub_u32_e32 v14, 29, v29
	v_and_b32_e32 v24, 7, v24
	v_cmp_gt_u32_e32 vcc, 8, v23
	v_cndmask_b32_e32 v14, v28, v14, vcc
	v_cndmask_b32_e32 v23, v27, v24, vcc
	v_lshlrev_b32_e32 v24, 16, v15
	v_bfrev_b32_e32 v25, 60
	v_lshlrev_b32_e32 v23, 20, v23
	v_and_b32_e32 v24, 0x80000000, v24
	v_lshl_add_u32 v14, v14, 23, v25
	v_or3_b32 v24, v24, v14, v23
.LBB592_435:
	s_or_b64 exec, exec, s[10:11]
.LBB592_436:
	s_or_b64 exec, exec, s[8:9]
.LBB592_437:
	s_or_b64 exec, exec, s[2:3]
	s_movk_i32 s2, 0xff
	v_and_b32_sdwa v23, v15, s2 dst_sel:DWORD dst_unused:UNUSED_PAD src0_sel:WORD_1 src1_sel:DWORD
	v_lshrrev_b32_e32 v14, 16, v15
	v_cmp_ne_u16_e32 vcc, 0, v23
	s_and_saveexec_b64 s[2:3], vcc
	s_cbranch_execz .LBB592_443
; %bb.438:
	s_movk_i32 s7, 0x80
	v_cmp_ne_u16_e32 vcc, s7, v23
	v_bfrev_b32_e32 v18, 1
	s_and_saveexec_b64 s[8:9], vcc
	s_cbranch_execz .LBB592_442
; %bb.439:
	v_bfe_u32 v23, v15, 16, 7
	s_movk_i32 s7, 0x7f
	v_cmp_ne_u32_e32 vcc, s7, v23
	v_mov_b32_e32 v18, 0x7f800001
	s_and_saveexec_b64 s[10:11], vcc
	s_cbranch_execz .LBB592_441
; %bb.440:
	v_and_b32_e32 v18, 7, v14
	v_ffbh_u32_e32 v27, v18
	v_min_u32_e32 v27, 32, v27
	v_subrev_u32_e32 v28, 28, v27
	v_lshlrev_b64 v[28:29], v28, v[14:15]
	v_lshrrev_b32_e32 v25, 3, v23
	v_sub_u32_e32 v14, 29, v27
	v_and_b32_e32 v27, 7, v28
	v_cmp_gt_u32_e32 vcc, 8, v23
	v_mov_b32_e32 v23, 24
	v_cndmask_b32_e32 v14, v25, v14, vcc
	v_cndmask_b32_e32 v18, v18, v27, vcc
	v_lshlrev_b32_sdwa v23, v23, v15 dst_sel:DWORD dst_unused:UNUSED_PAD src0_sel:DWORD src1_sel:WORD_1
	v_bfrev_b32_e32 v25, 60
	v_lshlrev_b32_e32 v18, 20, v18
	v_and_b32_e32 v23, 0x80000000, v23
	v_lshl_add_u32 v14, v14, 23, v25
	v_or3_b32 v18, v23, v14, v18
.LBB592_441:
	s_or_b64 exec, exec, s[10:11]
.LBB592_442:
	s_or_b64 exec, exec, s[8:9]
.LBB592_443:
	s_or_b64 exec, exec, s[2:3]
	s_mov_b32 s2, 0xffffff
	v_cmp_lt_u32_e32 vcc, s2, v15
	v_mov_b32_e32 v23, 0
	v_mov_b32_e32 v25, 0
	s_and_saveexec_b64 s[2:3], vcc
	s_cbranch_execz .LBB592_449
; %bb.444:
	v_lshrrev_b32_e32 v14, 24, v15
	s_movk_i32 s7, 0x80
	v_cmp_ne_u32_e32 vcc, s7, v14
	v_bfrev_b32_e32 v25, 1
	s_and_saveexec_b64 s[8:9], vcc
	s_cbranch_execz .LBB592_448
; %bb.445:
	v_bfe_u32 v15, v15, 24, 7
	s_movk_i32 s7, 0x7f
	v_cmp_ne_u32_e32 vcc, s7, v15
	v_mov_b32_e32 v25, 0x7f800001
	s_and_saveexec_b64 s[10:11], vcc
	s_cbranch_execz .LBB592_447
; %bb.446:
	v_and_b32_e32 v25, 7, v14
	v_ffbh_u32_e32 v28, v25
	v_min_u32_e32 v30, 32, v28
	v_subrev_u32_e32 v28, 28, v30
	v_lshlrev_b64 v[28:29], v28, v[14:15]
	v_lshrrev_b32_e32 v27, 3, v15
	v_sub_u32_e32 v29, 29, v30
	v_and_b32_e32 v28, 7, v28
	v_cmp_gt_u32_e32 vcc, 8, v15
	v_cndmask_b32_e32 v15, v27, v29, vcc
	v_cndmask_b32_e32 v25, v25, v28, vcc
	v_lshlrev_b32_e32 v14, 24, v14
	v_bfrev_b32_e32 v27, 60
	v_lshlrev_b32_e32 v25, 20, v25
	v_and_b32_e32 v14, 0x80000000, v14
	v_lshl_add_u32 v15, v15, 23, v27
	v_or3_b32 v25, v14, v15, v25
.LBB592_447:
	s_or_b64 exec, exec, s[10:11]
.LBB592_448:
	s_or_b64 exec, exec, s[8:9]
.LBB592_449:
	s_or_b64 exec, exec, s[2:3]
	v_cvt_pkrtz_f16_f32 v15, v19, v22
	v_lshl_or_b32 v22, v47, 9, v49
	v_cvt_pkrtz_f16_f32 v14, v32, v20
	ds_read_b128 v[28:31], v22
	v_cmp_ne_u16_sdwa s[8:9], v16, v23 src0_sel:BYTE_0 src1_sel:DWORD
	s_waitcnt lgkmcnt(0)
	v_mfma_f32_16x16x16f16 v[32:35], v[14:15], v[28:29], 0
	v_cvt_pkrtz_f16_f32 v14, v21, v24
	v_cvt_pkrtz_f16_f32 v15, v18, v25
	s_nop 1
	v_mfma_f32_16x16x16f16 v[18:21], v[14:15], v[30:31], v[32:35]
	s_and_saveexec_b64 s[2:3], s[8:9]
	s_cbranch_execz .LBB592_455
; %bb.450:
	s_movk_i32 s7, 0x80
	v_cmp_ne_u16_sdwa s[10:11], v16, s7 src0_sel:BYTE_0 src1_sel:DWORD
	v_bfrev_b32_e32 v23, 1
	s_and_saveexec_b64 s[8:9], s[10:11]
	s_cbranch_execz .LBB592_454
; %bb.451:
	s_movk_i32 s7, 0x7f
	v_and_b32_e32 v14, 0x7f, v16
	v_cmp_ne_u32_e32 vcc, s7, v14
	v_mov_b32_e32 v23, 0x7f800001
	s_and_saveexec_b64 s[10:11], vcc
	s_cbranch_execz .LBB592_453
; %bb.452:
	v_and_b32_e32 v15, 7, v16
	v_ffbh_u32_e32 v24, v15
	v_min_u32_e32 v27, 32, v24
	v_subrev_u32_e32 v24, 28, v27
	v_lshlrev_b64 v[24:25], v24, v[16:17]
	v_lshrrev_b32_e32 v23, 3, v14
	v_sub_u32_e32 v25, 29, v27
	v_and_b32_e32 v24, 7, v24
	v_cmp_gt_u32_e32 vcc, 8, v14
	v_cndmask_b32_e32 v14, v23, v25, vcc
	v_cndmask_b32_e32 v15, v15, v24, vcc
	v_lshlrev_b32_e32 v23, 24, v16
	v_bfrev_b32_e32 v24, 60
	v_lshlrev_b32_e32 v15, 20, v15
	v_and_b32_e32 v23, 0x80000000, v23
	v_lshl_add_u32 v14, v14, 23, v24
	v_or3_b32 v23, v23, v14, v15
.LBB592_453:
	s_or_b64 exec, exec, s[10:11]
.LBB592_454:
	s_or_b64 exec, exec, s[8:9]
.LBB592_455:
	s_or_b64 exec, exec, s[2:3]
	v_lshrrev_b16_e32 v14, 8, v16
	v_cmp_ne_u16_e32 vcc, 0, v14
	v_mov_b32_e32 v15, 0
	v_mov_b32_e32 v25, 0
	s_and_saveexec_b64 s[2:3], vcc
	s_cbranch_execz .LBB592_461
; %bb.456:
	s_movk_i32 s7, 0x80
	v_cmp_ne_u16_e32 vcc, s7, v14
	v_bfrev_b32_e32 v25, 1
	s_and_saveexec_b64 s[8:9], vcc
	s_cbranch_execz .LBB592_460
; %bb.457:
	s_movk_i32 s7, 0x7f
	v_and_b32_e32 v24, 0x7f, v14
	v_cmp_ne_u32_e32 vcc, s7, v24
	v_mov_b32_e32 v25, 0x7f800001
	s_and_saveexec_b64 s[10:11], vcc
	s_cbranch_execz .LBB592_459
; %bb.458:
	v_and_b32_e32 v25, 7, v14
	v_ffbh_u32_e32 v28, v25
	v_min_u32_e32 v30, 32, v28
	v_subrev_u32_e32 v28, 28, v30
	v_lshlrev_b64 v[28:29], v28, v[14:15]
	v_lshrrev_b32_e32 v27, 3, v24
	v_sub_u32_e32 v14, 29, v30
	v_and_b32_e32 v28, 7, v28
	v_cmp_gt_u32_e32 vcc, 8, v24
	v_cndmask_b32_e32 v14, v27, v14, vcc
	v_cndmask_b32_e32 v24, v25, v28, vcc
	v_lshlrev_b32_e32 v25, 16, v16
	v_bfrev_b32_e32 v27, 60
	v_lshlrev_b32_e32 v24, 20, v24
	v_and_b32_e32 v25, 0x80000000, v25
	v_lshl_add_u32 v14, v14, 23, v27
	v_or3_b32 v25, v25, v14, v24
.LBB592_459:
	s_or_b64 exec, exec, s[10:11]
.LBB592_460:
	s_or_b64 exec, exec, s[8:9]
.LBB592_461:
	s_or_b64 exec, exec, s[2:3]
	s_movk_i32 s2, 0xff
	v_and_b32_sdwa v24, v16, s2 dst_sel:DWORD dst_unused:UNUSED_PAD src0_sel:WORD_1 src1_sel:DWORD
	v_lshrrev_b32_e32 v14, 16, v16
	v_cmp_ne_u16_e32 vcc, 0, v24
	s_and_saveexec_b64 s[2:3], vcc
	s_cbranch_execz .LBB592_467
; %bb.462:
	s_movk_i32 s7, 0x80
	v_cmp_ne_u16_e32 vcc, s7, v24
	v_bfrev_b32_e32 v15, 1
	s_and_saveexec_b64 s[8:9], vcc
	s_cbranch_execz .LBB592_466
; %bb.463:
	v_bfe_u32 v24, v16, 16, 7
	s_movk_i32 s7, 0x7f
	v_cmp_ne_u32_e32 vcc, s7, v24
	v_mov_b32_e32 v15, 0x7f800001
	s_and_saveexec_b64 s[10:11], vcc
	s_cbranch_execz .LBB592_465
; %bb.464:
	v_and_b32_e32 v27, 7, v14
	v_ffbh_u32_e32 v15, v27
	v_min_u32_e32 v29, 32, v15
	v_subrev_u32_e32 v15, 28, v29
	v_lshlrev_b64 v[14:15], v15, v[14:15]
	v_lshrrev_b32_e32 v28, 3, v24
	v_sub_u32_e32 v15, 29, v29
	v_and_b32_e32 v14, 7, v14
	v_cmp_gt_u32_e32 vcc, 8, v24
	v_mov_b32_e32 v24, 24
	v_cndmask_b32_e32 v15, v28, v15, vcc
	v_cndmask_b32_e32 v14, v27, v14, vcc
	v_lshlrev_b32_sdwa v24, v24, v16 dst_sel:DWORD dst_unused:UNUSED_PAD src0_sel:DWORD src1_sel:WORD_1
	v_bfrev_b32_e32 v27, 60
	v_lshlrev_b32_e32 v14, 20, v14
	v_and_b32_e32 v24, 0x80000000, v24
	v_lshl_add_u32 v15, v15, 23, v27
	v_or3_b32 v15, v24, v15, v14
.LBB592_465:
	s_or_b64 exec, exec, s[10:11]
.LBB592_466:
	s_or_b64 exec, exec, s[8:9]
.LBB592_467:
	s_or_b64 exec, exec, s[2:3]
	s_mov_b32 s2, 0xffffff
	v_cmp_lt_u32_e32 vcc, s2, v16
	v_mov_b32_e32 v27, 0
	v_mov_b32_e32 v28, 0
	s_and_saveexec_b64 s[2:3], vcc
	s_cbranch_execz .LBB592_473
; %bb.468:
	v_lshrrev_b32_e32 v14, 24, v16
	s_movk_i32 s7, 0x80
	v_cmp_ne_u32_e32 vcc, s7, v14
	v_bfrev_b32_e32 v28, 1
	s_and_saveexec_b64 s[8:9], vcc
	s_cbranch_execz .LBB592_472
; %bb.469:
	v_bfe_u32 v16, v16, 24, 7
	s_movk_i32 s7, 0x7f
	v_cmp_ne_u32_e32 vcc, s7, v16
	v_mov_b32_e32 v28, 0x7f800001
	s_and_saveexec_b64 s[10:11], vcc
	s_cbranch_execz .LBB592_471
; %bb.470:
	v_and_b32_e32 v24, 7, v14
	v_ffbh_u32_e32 v28, v24
	v_min_u32_e32 v31, 32, v28
	v_subrev_u32_e32 v28, 28, v31
	v_lshlrev_b64 v[28:29], v28, v[14:15]
	v_lshrrev_b32_e32 v30, 3, v16
	v_sub_u32_e32 v29, 29, v31
	v_and_b32_e32 v28, 7, v28
	v_cmp_gt_u32_e32 vcc, 8, v16
	v_cndmask_b32_e32 v16, v30, v29, vcc
	v_cndmask_b32_e32 v24, v24, v28, vcc
	v_lshlrev_b32_e32 v14, 24, v14
	v_bfrev_b32_e32 v28, 60
	v_lshlrev_b32_e32 v24, 20, v24
	v_and_b32_e32 v14, 0x80000000, v14
	v_lshl_add_u32 v16, v16, 23, v28
	v_or3_b32 v28, v14, v16, v24
.LBB592_471:
	s_or_b64 exec, exec, s[10:11]
.LBB592_472:
	s_or_b64 exec, exec, s[8:9]
.LBB592_473:
	s_or_b64 exec, exec, s[2:3]
	v_cmp_ne_u16_sdwa s[8:9], v17, v27 src0_sel:BYTE_0 src1_sel:DWORD
	s_and_saveexec_b64 s[2:3], s[8:9]
	s_cbranch_execz .LBB592_479
; %bb.474:
	s_movk_i32 s7, 0x80
	v_cmp_ne_u16_sdwa s[10:11], v17, s7 src0_sel:BYTE_0 src1_sel:DWORD
	v_bfrev_b32_e32 v27, 1
	s_and_saveexec_b64 s[8:9], s[10:11]
	s_cbranch_execz .LBB592_478
; %bb.475:
	s_movk_i32 s7, 0x7f
	v_and_b32_e32 v14, 0x7f, v17
	v_cmp_ne_u32_e32 vcc, s7, v14
	v_mov_b32_e32 v27, 0x7f800001
	s_and_saveexec_b64 s[10:11], vcc
	s_cbranch_execz .LBB592_477
; %bb.476:
	v_and_b32_e32 v24, 7, v17
	v_ffbh_u32_e32 v29, v24
	v_min_u32_e32 v29, 32, v29
	v_mov_b32_e32 v16, v17
	v_subrev_u32_e32 v30, 28, v29
	v_lshlrev_b64 v[30:31], v30, v[16:17]
	v_lshrrev_b32_e32 v27, 3, v14
	v_sub_u32_e32 v16, 29, v29
	v_and_b32_e32 v29, 7, v30
	v_cmp_gt_u32_e32 vcc, 8, v14
	v_cndmask_b32_e32 v14, v27, v16, vcc
	v_cndmask_b32_e32 v16, v24, v29, vcc
	v_lshlrev_b32_e32 v24, 24, v17
	v_bfrev_b32_e32 v27, 60
	v_lshlrev_b32_e32 v16, 20, v16
	v_and_b32_e32 v24, 0x80000000, v24
	v_lshl_add_u32 v14, v14, 23, v27
	v_or3_b32 v27, v24, v14, v16
.LBB592_477:
	s_or_b64 exec, exec, s[10:11]
.LBB592_478:
	s_or_b64 exec, exec, s[8:9]
.LBB592_479:
	s_or_b64 exec, exec, s[2:3]
	v_lshrrev_b16_e32 v14, 8, v17
	v_cmp_ne_u16_e32 vcc, 0, v14
	v_mov_b32_e32 v16, 0
	v_mov_b32_e32 v29, 0
	s_and_saveexec_b64 s[2:3], vcc
	s_cbranch_execz .LBB592_485
; %bb.480:
	s_movk_i32 s7, 0x80
	v_cmp_ne_u16_e32 vcc, s7, v14
	v_bfrev_b32_e32 v29, 1
	s_and_saveexec_b64 s[8:9], vcc
	s_cbranch_execz .LBB592_484
; %bb.481:
	s_movk_i32 s7, 0x7f
	v_and_b32_e32 v24, 0x7f, v14
	v_cmp_ne_u32_e32 vcc, s7, v24
	v_mov_b32_e32 v29, 0x7f800001
	s_and_saveexec_b64 s[10:11], vcc
	s_cbranch_execz .LBB592_483
; %bb.482:
	v_and_b32_e32 v29, 7, v14
	v_ffbh_u32_e32 v30, v29
	v_min_u32_e32 v33, 32, v30
	v_subrev_u32_e32 v30, 28, v33
	v_lshlrev_b64 v[30:31], v30, v[14:15]
	v_lshrrev_b32_e32 v32, 3, v24
	v_sub_u32_e32 v14, 29, v33
	v_and_b32_e32 v30, 7, v30
	v_cmp_gt_u32_e32 vcc, 8, v24
	v_cndmask_b32_e32 v14, v32, v14, vcc
	v_cndmask_b32_e32 v24, v29, v30, vcc
	v_lshlrev_b32_e32 v29, 16, v17
	v_bfrev_b32_e32 v30, 60
	v_lshlrev_b32_e32 v24, 20, v24
	v_and_b32_e32 v29, 0x80000000, v29
	v_lshl_add_u32 v14, v14, 23, v30
	v_or3_b32 v29, v29, v14, v24
.LBB592_483:
	s_or_b64 exec, exec, s[10:11]
.LBB592_484:
	s_or_b64 exec, exec, s[8:9]
.LBB592_485:
	s_or_b64 exec, exec, s[2:3]
	s_movk_i32 s2, 0xff
	v_and_b32_sdwa v24, v17, s2 dst_sel:DWORD dst_unused:UNUSED_PAD src0_sel:WORD_1 src1_sel:DWORD
	v_lshrrev_b32_e32 v14, 16, v17
	v_cmp_ne_u16_e32 vcc, 0, v24
	s_and_saveexec_b64 s[2:3], vcc
	s_cbranch_execz .LBB592_491
; %bb.486:
	s_movk_i32 s7, 0x80
	v_cmp_ne_u16_e32 vcc, s7, v24
	v_bfrev_b32_e32 v16, 1
	s_and_saveexec_b64 s[8:9], vcc
	s_cbranch_execz .LBB592_490
; %bb.487:
	v_bfe_u32 v24, v17, 16, 7
	s_movk_i32 s7, 0x7f
	v_cmp_ne_u32_e32 vcc, s7, v24
	v_mov_b32_e32 v16, 0x7f800001
	s_and_saveexec_b64 s[10:11], vcc
	s_cbranch_execz .LBB592_489
; %bb.488:
	v_and_b32_e32 v16, 7, v14
	v_ffbh_u32_e32 v30, v16
	v_min_u32_e32 v33, 32, v30
	v_subrev_u32_e32 v30, 28, v33
	v_lshlrev_b64 v[30:31], v30, v[14:15]
	v_lshrrev_b32_e32 v32, 3, v24
	v_sub_u32_e32 v14, 29, v33
	v_and_b32_e32 v30, 7, v30
	v_cmp_gt_u32_e32 vcc, 8, v24
	v_mov_b32_e32 v24, 24
	v_cndmask_b32_e32 v14, v32, v14, vcc
	v_cndmask_b32_e32 v16, v16, v30, vcc
	v_lshlrev_b32_sdwa v24, v24, v17 dst_sel:DWORD dst_unused:UNUSED_PAD src0_sel:DWORD src1_sel:WORD_1
	v_bfrev_b32_e32 v30, 60
	v_lshlrev_b32_e32 v16, 20, v16
	v_and_b32_e32 v24, 0x80000000, v24
	v_lshl_add_u32 v14, v14, 23, v30
	v_or3_b32 v16, v24, v14, v16
.LBB592_489:
	s_or_b64 exec, exec, s[10:11]
.LBB592_490:
	s_or_b64 exec, exec, s[8:9]
.LBB592_491:
	s_or_b64 exec, exec, s[2:3]
	s_mov_b32 s2, 0xffffff
	v_cmp_lt_u32_e32 vcc, s2, v17
	v_mov_b32_e32 v24, 0
	v_mov_b32_e32 v30, 0
	s_and_saveexec_b64 s[2:3], vcc
	s_cbranch_execz .LBB592_497
; %bb.492:
	v_lshrrev_b32_e32 v14, 24, v17
	s_movk_i32 s7, 0x80
	v_cmp_ne_u32_e32 vcc, s7, v14
	v_bfrev_b32_e32 v30, 1
	s_and_saveexec_b64 s[8:9], vcc
	s_cbranch_execz .LBB592_496
; %bb.493:
	v_bfe_u32 v17, v17, 24, 7
	s_movk_i32 s7, 0x7f
	v_cmp_ne_u32_e32 vcc, s7, v17
	v_mov_b32_e32 v30, 0x7f800001
	s_and_saveexec_b64 s[10:11], vcc
	s_cbranch_execz .LBB592_495
; %bb.494:
	v_and_b32_e32 v32, 7, v14
	v_ffbh_u32_e32 v30, v32
	v_min_u32_e32 v34, 32, v30
	v_subrev_u32_e32 v30, 28, v34
	v_lshlrev_b64 v[30:31], v30, v[14:15]
	v_lshrrev_b32_e32 v33, 3, v17
	v_sub_u32_e32 v31, 29, v34
	v_and_b32_e32 v30, 7, v30
	v_cmp_gt_u32_e32 vcc, 8, v17
	v_cndmask_b32_e32 v17, v33, v31, vcc
	v_cndmask_b32_e32 v30, v32, v30, vcc
	v_lshlrev_b32_e32 v14, 24, v14
	v_bfrev_b32_e32 v31, 60
	v_lshlrev_b32_e32 v30, 20, v30
	v_and_b32_e32 v14, 0x80000000, v14
	v_lshl_add_u32 v17, v17, 23, v31
	v_or3_b32 v30, v14, v17, v30
.LBB592_495:
	s_or_b64 exec, exec, s[10:11]
.LBB592_496:
	s_or_b64 exec, exec, s[8:9]
.LBB592_497:
	s_or_b64 exec, exec, s[2:3]
	v_cvt_pkrtz_f16_f32 v14, v23, v25
	v_cvt_pkrtz_f16_f32 v15, v15, v28
	ds_read_b128 v[32:35], v22 offset:16
	s_waitcnt vmcnt(2)
	v_cmp_ne_u16_sdwa s[8:9], v10, v24 src0_sel:BYTE_0 src1_sel:DWORD
	s_waitcnt lgkmcnt(0)
	v_mfma_f32_16x16x16f16 v[18:21], v[14:15], v[32:33], v[18:21]
	v_cvt_pkrtz_f16_f32 v14, v27, v29
	v_cvt_pkrtz_f16_f32 v15, v16, v30
	s_nop 1
	v_mfma_f32_16x16x16f16 v[14:17], v[14:15], v[34:35], v[18:21]
	s_and_saveexec_b64 s[2:3], s[8:9]
	s_cbranch_execz .LBB592_503
; %bb.498:
	s_movk_i32 s7, 0x80
	v_cmp_ne_u16_sdwa s[10:11], v10, s7 src0_sel:BYTE_0 src1_sel:DWORD
	v_bfrev_b32_e32 v24, 1
	s_and_saveexec_b64 s[8:9], s[10:11]
	s_cbranch_execz .LBB592_502
; %bb.499:
	s_movk_i32 s7, 0x7f
	v_and_b32_e32 v18, 0x7f, v10
	v_cmp_ne_u32_e32 vcc, s7, v18
	v_mov_b32_e32 v24, 0x7f800001
	s_and_saveexec_b64 s[10:11], vcc
	s_cbranch_execz .LBB592_501
; %bb.500:
	v_and_b32_e32 v19, 7, v10
	v_ffbh_u32_e32 v20, v19
	v_min_u32_e32 v24, 32, v20
	v_subrev_u32_e32 v20, 28, v24
	v_lshlrev_b64 v[20:21], v20, v[10:11]
	v_lshrrev_b32_e32 v23, 3, v18
	v_sub_u32_e32 v21, 29, v24
	v_and_b32_e32 v20, 7, v20
	v_cmp_gt_u32_e32 vcc, 8, v18
	v_cndmask_b32_e32 v18, v23, v21, vcc
	v_cndmask_b32_e32 v19, v19, v20, vcc
	v_lshlrev_b32_e32 v20, 24, v10
	v_bfrev_b32_e32 v21, 60
	v_lshlrev_b32_e32 v19, 20, v19
	v_and_b32_e32 v20, 0x80000000, v20
	v_lshl_add_u32 v18, v18, 23, v21
	v_or3_b32 v24, v20, v18, v19
.LBB592_501:
	s_or_b64 exec, exec, s[10:11]
.LBB592_502:
	s_or_b64 exec, exec, s[8:9]
.LBB592_503:
	s_or_b64 exec, exec, s[2:3]
	s_nop 3
	v_lshrrev_b16_e32 v18, 8, v10
	v_cmp_ne_u16_e32 vcc, 0, v18
	v_mov_b32_e32 v19, 0
	v_mov_b32_e32 v20, 0
	s_and_saveexec_b64 s[2:3], vcc
	s_cbranch_execz .LBB592_509
; %bb.504:
	s_movk_i32 s7, 0x80
	v_cmp_ne_u16_e32 vcc, s7, v18
	v_bfrev_b32_e32 v20, 1
	s_and_saveexec_b64 s[8:9], vcc
	s_cbranch_execz .LBB592_508
; %bb.505:
	s_movk_i32 s7, 0x7f
	v_and_b32_e32 v21, 0x7f, v18
	v_cmp_ne_u32_e32 vcc, s7, v21
	v_mov_b32_e32 v20, 0x7f800001
	s_and_saveexec_b64 s[10:11], vcc
	s_cbranch_execz .LBB592_507
; %bb.506:
	v_and_b32_e32 v20, 7, v18
	v_ffbh_u32_e32 v25, v20
	v_min_u32_e32 v25, 32, v25
	v_subrev_u32_e32 v27, 28, v25
	v_lshlrev_b64 v[28:29], v27, v[18:19]
	v_lshrrev_b32_e32 v23, 3, v21
	v_sub_u32_e32 v18, 29, v25
	v_and_b32_e32 v25, 7, v28
	v_cmp_gt_u32_e32 vcc, 8, v21
	v_cndmask_b32_e32 v18, v23, v18, vcc
	v_cndmask_b32_e32 v20, v20, v25, vcc
	v_lshlrev_b32_e32 v21, 16, v10
	v_bfrev_b32_e32 v23, 60
	v_lshlrev_b32_e32 v20, 20, v20
	v_and_b32_e32 v21, 0x80000000, v21
	v_lshl_add_u32 v18, v18, 23, v23
	v_or3_b32 v20, v21, v18, v20
.LBB592_507:
	s_or_b64 exec, exec, s[10:11]
.LBB592_508:
	s_or_b64 exec, exec, s[8:9]
.LBB592_509:
	s_or_b64 exec, exec, s[2:3]
	s_movk_i32 s2, 0xff
	v_and_b32_sdwa v21, v10, s2 dst_sel:DWORD dst_unused:UNUSED_PAD src0_sel:WORD_1 src1_sel:DWORD
	v_lshrrev_b32_e32 v18, 16, v10
	v_cmp_ne_u16_e32 vcc, 0, v21
	s_and_saveexec_b64 s[2:3], vcc
	s_cbranch_execz .LBB592_515
; %bb.510:
	s_movk_i32 s7, 0x80
	v_cmp_ne_u16_e32 vcc, s7, v21
	v_bfrev_b32_e32 v19, 1
	s_and_saveexec_b64 s[8:9], vcc
	s_cbranch_execz .LBB592_514
; %bb.511:
	v_bfe_u32 v21, v10, 16, 7
	s_movk_i32 s7, 0x7f
	v_cmp_ne_u32_e32 vcc, s7, v21
	v_mov_b32_e32 v19, 0x7f800001
	s_and_saveexec_b64 s[10:11], vcc
	s_cbranch_execz .LBB592_513
; %bb.512:
	v_and_b32_e32 v23, 7, v18
	v_ffbh_u32_e32 v19, v23
	v_min_u32_e32 v27, 32, v19
	v_subrev_u32_e32 v19, 28, v27
	v_lshlrev_b64 v[18:19], v19, v[18:19]
	v_lshrrev_b32_e32 v25, 3, v21
	v_sub_u32_e32 v19, 29, v27
	v_and_b32_e32 v18, 7, v18
	v_cmp_gt_u32_e32 vcc, 8, v21
	v_mov_b32_e32 v21, 24
	v_cndmask_b32_e32 v19, v25, v19, vcc
	v_cndmask_b32_e32 v18, v23, v18, vcc
	v_lshlrev_b32_sdwa v21, v21, v10 dst_sel:DWORD dst_unused:UNUSED_PAD src0_sel:DWORD src1_sel:WORD_1
	v_bfrev_b32_e32 v23, 60
	v_lshlrev_b32_e32 v18, 20, v18
	v_and_b32_e32 v21, 0x80000000, v21
	v_lshl_add_u32 v19, v19, 23, v23
	v_or3_b32 v19, v21, v19, v18
.LBB592_513:
	s_or_b64 exec, exec, s[10:11]
.LBB592_514:
	s_or_b64 exec, exec, s[8:9]
.LBB592_515:
	s_or_b64 exec, exec, s[2:3]
	s_mov_b32 s2, 0xffffff
	v_cmp_lt_u32_e32 vcc, s2, v10
	v_mov_b32_e32 v21, 0
	v_mov_b32_e32 v23, 0
	s_and_saveexec_b64 s[2:3], vcc
	s_cbranch_execz .LBB592_521
; %bb.516:
	v_lshrrev_b32_e32 v18, 24, v10
	s_movk_i32 s7, 0x80
	v_cmp_ne_u32_e32 vcc, s7, v18
	v_bfrev_b32_e32 v23, 1
	s_and_saveexec_b64 s[8:9], vcc
	s_cbranch_execz .LBB592_520
; %bb.517:
	v_bfe_u32 v10, v10, 24, 7
	s_movk_i32 s7, 0x7f
	v_cmp_ne_u32_e32 vcc, s7, v10
	v_mov_b32_e32 v23, 0x7f800001
	s_and_saveexec_b64 s[10:11], vcc
	s_cbranch_execz .LBB592_519
; %bb.518:
	v_and_b32_e32 v23, 7, v18
	v_ffbh_u32_e32 v27, v23
	v_min_u32_e32 v27, 32, v27
	v_subrev_u32_e32 v28, 28, v27
	v_lshlrev_b64 v[28:29], v28, v[18:19]
	v_lshrrev_b32_e32 v25, 3, v10
	v_sub_u32_e32 v27, 29, v27
	v_and_b32_e32 v28, 7, v28
	v_cmp_gt_u32_e32 vcc, 8, v10
	v_cndmask_b32_e32 v10, v25, v27, vcc
	v_cndmask_b32_e32 v23, v23, v28, vcc
	v_lshlrev_b32_e32 v18, 24, v18
	v_bfrev_b32_e32 v25, 60
	v_lshlrev_b32_e32 v23, 20, v23
	v_and_b32_e32 v18, 0x80000000, v18
	v_lshl_add_u32 v10, v10, 23, v25
	v_or3_b32 v23, v18, v10, v23
.LBB592_519:
	s_or_b64 exec, exec, s[10:11]
.LBB592_520:
	s_or_b64 exec, exec, s[8:9]
.LBB592_521:
	s_or_b64 exec, exec, s[2:3]
	v_cmp_ne_u16_sdwa s[8:9], v11, v21 src0_sel:BYTE_0 src1_sel:DWORD
	s_and_saveexec_b64 s[2:3], s[8:9]
	s_cbranch_execz .LBB592_527
; %bb.522:
	s_movk_i32 s7, 0x80
	v_cmp_ne_u16_sdwa s[10:11], v11, s7 src0_sel:BYTE_0 src1_sel:DWORD
	v_bfrev_b32_e32 v21, 1
	s_and_saveexec_b64 s[8:9], s[10:11]
	s_cbranch_execz .LBB592_526
; %bb.523:
	s_movk_i32 s7, 0x7f
	v_and_b32_e32 v10, 0x7f, v11
	v_cmp_ne_u32_e32 vcc, s7, v10
	v_mov_b32_e32 v21, 0x7f800001
	s_and_saveexec_b64 s[10:11], vcc
	s_cbranch_execz .LBB592_525
; %bb.524:
	v_and_b32_e32 v21, 7, v11
	v_ffbh_u32_e32 v27, v21
	v_min_u32_e32 v27, 32, v27
	v_mov_b32_e32 v18, v11
	v_subrev_u32_e32 v28, 28, v27
	v_lshlrev_b64 v[28:29], v28, v[18:19]
	v_lshrrev_b32_e32 v25, 3, v10
	v_sub_u32_e32 v18, 29, v27
	v_and_b32_e32 v27, 7, v28
	v_cmp_gt_u32_e32 vcc, 8, v10
	v_cndmask_b32_e32 v10, v25, v18, vcc
	v_cndmask_b32_e32 v18, v21, v27, vcc
	v_lshlrev_b32_e32 v21, 24, v11
	v_bfrev_b32_e32 v25, 60
	v_lshlrev_b32_e32 v18, 20, v18
	v_and_b32_e32 v21, 0x80000000, v21
	v_lshl_add_u32 v10, v10, 23, v25
	v_or3_b32 v21, v21, v10, v18
.LBB592_525:
	s_or_b64 exec, exec, s[10:11]
.LBB592_526:
	s_or_b64 exec, exec, s[8:9]
.LBB592_527:
	s_or_b64 exec, exec, s[2:3]
	v_lshrrev_b16_e32 v10, 8, v11
	v_cmp_ne_u16_e32 vcc, 0, v10
	v_mov_b32_e32 v25, 0
	v_mov_b32_e32 v27, 0
	s_and_saveexec_b64 s[2:3], vcc
	s_cbranch_execz .LBB592_533
; %bb.528:
	s_movk_i32 s7, 0x80
	v_cmp_ne_u16_e32 vcc, s7, v10
	v_bfrev_b32_e32 v27, 1
	s_and_saveexec_b64 s[8:9], vcc
	s_cbranch_execz .LBB592_532
; %bb.529:
	s_movk_i32 s7, 0x7f
	v_and_b32_e32 v18, 0x7f, v10
	v_cmp_ne_u32_e32 vcc, s7, v18
	v_mov_b32_e32 v27, 0x7f800001
	s_and_saveexec_b64 s[10:11], vcc
	s_cbranch_execz .LBB592_531
; %bb.530:
	v_and_b32_e32 v27, 7, v10
	v_ffbh_u32_e32 v28, v27
	v_min_u32_e32 v31, 32, v28
	v_subrev_u32_e32 v28, 28, v31
	v_lshlrev_b64 v[28:29], v28, v[10:11]
	v_lshrrev_b32_e32 v30, 3, v18
	v_sub_u32_e32 v10, 29, v31
	v_and_b32_e32 v28, 7, v28
	v_cmp_gt_u32_e32 vcc, 8, v18
	v_cndmask_b32_e32 v10, v30, v10, vcc
	v_cndmask_b32_e32 v18, v27, v28, vcc
	v_lshlrev_b32_e32 v27, 16, v11
	v_bfrev_b32_e32 v28, 60
	v_lshlrev_b32_e32 v18, 20, v18
	v_and_b32_e32 v27, 0x80000000, v27
	v_lshl_add_u32 v10, v10, 23, v28
	v_or3_b32 v27, v27, v10, v18
.LBB592_531:
	s_or_b64 exec, exec, s[10:11]
.LBB592_532:
	s_or_b64 exec, exec, s[8:9]
.LBB592_533:
	s_or_b64 exec, exec, s[2:3]
	s_movk_i32 s2, 0xff
	v_and_b32_sdwa v18, v11, s2 dst_sel:DWORD dst_unused:UNUSED_PAD src0_sel:WORD_1 src1_sel:DWORD
	v_lshrrev_b32_e32 v10, 16, v11
	v_cmp_ne_u16_e32 vcc, 0, v18
	s_and_saveexec_b64 s[2:3], vcc
	s_cbranch_execz .LBB592_539
; %bb.534:
	s_movk_i32 s7, 0x80
	v_cmp_ne_u16_e32 vcc, s7, v18
	v_bfrev_b32_e32 v25, 1
	s_and_saveexec_b64 s[8:9], vcc
	s_cbranch_execz .LBB592_538
; %bb.535:
	v_bfe_u32 v18, v11, 16, 7
	s_movk_i32 s7, 0x7f
	v_cmp_ne_u32_e32 vcc, s7, v18
	v_mov_b32_e32 v25, 0x7f800001
	s_and_saveexec_b64 s[10:11], vcc
	s_cbranch_execz .LBB592_537
; %bb.536:
	v_and_b32_e32 v25, 7, v10
	v_ffbh_u32_e32 v28, v25
	v_min_u32_e32 v31, 32, v28
	v_subrev_u32_e32 v28, 28, v31
	v_lshlrev_b64 v[28:29], v28, v[10:11]
	v_and_b32_e32 v28, 7, v28
	v_cmp_gt_u32_e32 vcc, 8, v18
	v_lshrrev_b32_e32 v30, 3, v18
	v_sub_u32_e32 v10, 29, v31
	v_cndmask_b32_e32 v18, v25, v28, vcc
	v_mov_b32_e32 v25, 24
	v_cndmask_b32_e32 v10, v30, v10, vcc
	v_lshlrev_b32_sdwa v25, v25, v11 dst_sel:DWORD dst_unused:UNUSED_PAD src0_sel:DWORD src1_sel:WORD_1
	v_bfrev_b32_e32 v28, 60
	v_lshlrev_b32_e32 v18, 20, v18
	v_and_b32_e32 v25, 0x80000000, v25
	v_lshl_add_u32 v10, v10, 23, v28
	v_or3_b32 v25, v25, v10, v18
.LBB592_537:
	s_or_b64 exec, exec, s[10:11]
.LBB592_538:
	s_or_b64 exec, exec, s[8:9]
.LBB592_539:
	s_or_b64 exec, exec, s[2:3]
	s_mov_b32 s2, 0xffffff
	v_cmp_lt_u32_e32 vcc, s2, v11
	v_mov_b32_e32 v18, 0
	v_mov_b32_e32 v28, 0
	s_and_saveexec_b64 s[2:3], vcc
	s_cbranch_execz .LBB592_545
; %bb.540:
	v_lshrrev_b32_e32 v10, 24, v11
	s_movk_i32 s7, 0x80
	v_cmp_ne_u32_e32 vcc, s7, v10
	v_bfrev_b32_e32 v28, 1
	s_and_saveexec_b64 s[8:9], vcc
	s_cbranch_execz .LBB592_544
; %bb.541:
	v_bfe_u32 v11, v11, 24, 7
	s_movk_i32 s7, 0x7f
	v_cmp_ne_u32_e32 vcc, s7, v11
	v_mov_b32_e32 v28, 0x7f800001
	s_and_saveexec_b64 s[10:11], vcc
	s_cbranch_execz .LBB592_543
; %bb.542:
	v_and_b32_e32 v30, 7, v10
	v_ffbh_u32_e32 v28, v30
	v_min_u32_e32 v32, 32, v28
	v_subrev_u32_e32 v28, 28, v32
	v_lshlrev_b64 v[28:29], v28, v[10:11]
	v_lshrrev_b32_e32 v31, 3, v11
	v_sub_u32_e32 v29, 29, v32
	v_and_b32_e32 v28, 7, v28
	v_cmp_gt_u32_e32 vcc, 8, v11
	v_cndmask_b32_e32 v11, v31, v29, vcc
	v_cndmask_b32_e32 v28, v30, v28, vcc
	v_lshlrev_b32_e32 v10, 24, v10
	v_bfrev_b32_e32 v29, 60
	v_lshlrev_b32_e32 v28, 20, v28
	v_and_b32_e32 v10, 0x80000000, v10
	v_lshl_add_u32 v11, v11, 23, v29
	v_or3_b32 v28, v10, v11, v28
.LBB592_543:
	s_or_b64 exec, exec, s[10:11]
.LBB592_544:
	s_or_b64 exec, exec, s[8:9]
.LBB592_545:
	s_or_b64 exec, exec, s[2:3]
	v_cvt_pkrtz_f16_f32 v10, v24, v20
	v_cvt_pkrtz_f16_f32 v11, v19, v23
	ds_read_b128 v[30:33], v22 offset:2048
	v_cmp_ne_u16_sdwa s[8:9], v12, v18 src0_sel:BYTE_0 src1_sel:DWORD
	s_waitcnt lgkmcnt(0)
	v_mfma_f32_16x16x16f16 v[14:17], v[10:11], v[30:31], v[14:17]
	v_cvt_pkrtz_f16_f32 v10, v21, v27
	v_cvt_pkrtz_f16_f32 v11, v25, v28
	s_nop 1
	v_mfma_f32_16x16x16f16 v[14:17], v[10:11], v[32:33], v[14:17]
	s_and_saveexec_b64 s[2:3], s[8:9]
	s_cbranch_execz .LBB592_551
; %bb.546:
	s_movk_i32 s7, 0x80
	v_cmp_ne_u16_sdwa s[10:11], v12, s7 src0_sel:BYTE_0 src1_sel:DWORD
	v_bfrev_b32_e32 v18, 1
	s_and_saveexec_b64 s[8:9], s[10:11]
	s_cbranch_execz .LBB592_550
; %bb.547:
	s_movk_i32 s7, 0x7f
	v_and_b32_e32 v10, 0x7f, v12
	v_cmp_ne_u32_e32 vcc, s7, v10
	v_mov_b32_e32 v18, 0x7f800001
	s_and_saveexec_b64 s[10:11], vcc
	s_cbranch_execz .LBB592_549
; %bb.548:
	v_and_b32_e32 v11, 7, v12
	v_ffbh_u32_e32 v18, v11
	v_min_u32_e32 v21, 32, v18
	v_subrev_u32_e32 v18, 28, v21
	v_lshlrev_b64 v[18:19], v18, v[12:13]
	v_lshrrev_b32_e32 v20, 3, v10
	v_sub_u32_e32 v19, 29, v21
	v_and_b32_e32 v18, 7, v18
	v_cmp_gt_u32_e32 vcc, 8, v10
	v_cndmask_b32_e32 v10, v20, v19, vcc
	v_cndmask_b32_e32 v11, v11, v18, vcc
	v_lshlrev_b32_e32 v18, 24, v12
	v_bfrev_b32_e32 v19, 60
	v_lshlrev_b32_e32 v11, 20, v11
	v_and_b32_e32 v18, 0x80000000, v18
	v_lshl_add_u32 v10, v10, 23, v19
	v_or3_b32 v18, v18, v10, v11
.LBB592_549:
	s_or_b64 exec, exec, s[10:11]
.LBB592_550:
	s_or_b64 exec, exec, s[8:9]
.LBB592_551:
	s_or_b64 exec, exec, s[2:3]
	v_lshrrev_b16_e32 v10, 8, v12
	v_cmp_ne_u16_e32 vcc, 0, v10
	v_mov_b32_e32 v11, 0
	v_mov_b32_e32 v20, 0
	s_and_saveexec_b64 s[2:3], vcc
	s_cbranch_execz .LBB592_557
; %bb.552:
	s_movk_i32 s7, 0x80
	v_cmp_ne_u16_e32 vcc, s7, v10
	v_bfrev_b32_e32 v20, 1
	s_and_saveexec_b64 s[8:9], vcc
	s_cbranch_execz .LBB592_556
; %bb.553:
	s_movk_i32 s7, 0x7f
	v_and_b32_e32 v19, 0x7f, v10
	v_cmp_ne_u32_e32 vcc, s7, v19
	v_mov_b32_e32 v20, 0x7f800001
	s_and_saveexec_b64 s[10:11], vcc
	s_cbranch_execz .LBB592_555
; %bb.554:
	v_and_b32_e32 v23, 7, v10
	v_ffbh_u32_e32 v20, v23
	v_min_u32_e32 v25, 32, v20
	v_subrev_u32_e32 v20, 28, v25
	v_lshlrev_b64 v[20:21], v20, v[10:11]
	v_lshrrev_b32_e32 v24, 3, v19
	v_sub_u32_e32 v10, 29, v25
	v_and_b32_e32 v20, 7, v20
	v_cmp_gt_u32_e32 vcc, 8, v19
	v_cndmask_b32_e32 v10, v24, v10, vcc
	v_cndmask_b32_e32 v19, v23, v20, vcc
	v_lshlrev_b32_e32 v20, 16, v12
	v_bfrev_b32_e32 v21, 60
	v_lshlrev_b32_e32 v19, 20, v19
	v_and_b32_e32 v20, 0x80000000, v20
	v_lshl_add_u32 v10, v10, 23, v21
	v_or3_b32 v20, v20, v10, v19
.LBB592_555:
	s_or_b64 exec, exec, s[10:11]
.LBB592_556:
	s_or_b64 exec, exec, s[8:9]
.LBB592_557:
	s_or_b64 exec, exec, s[2:3]
	s_movk_i32 s2, 0xff
	v_and_b32_sdwa v19, v12, s2 dst_sel:DWORD dst_unused:UNUSED_PAD src0_sel:WORD_1 src1_sel:DWORD
	v_lshrrev_b32_e32 v10, 16, v12
	v_cmp_ne_u16_e32 vcc, 0, v19
	s_and_saveexec_b64 s[2:3], vcc
	s_cbranch_execz .LBB592_563
; %bb.558:
	s_movk_i32 s7, 0x80
	v_cmp_ne_u16_e32 vcc, s7, v19
	v_bfrev_b32_e32 v11, 1
	s_and_saveexec_b64 s[8:9], vcc
	s_cbranch_execz .LBB592_562
; %bb.559:
	v_bfe_u32 v19, v12, 16, 7
	s_movk_i32 s7, 0x7f
	v_cmp_ne_u32_e32 vcc, s7, v19
	v_mov_b32_e32 v11, 0x7f800001
	s_and_saveexec_b64 s[10:11], vcc
	s_cbranch_execz .LBB592_561
; %bb.560:
	v_and_b32_e32 v21, 7, v10
	v_ffbh_u32_e32 v11, v21
	v_min_u32_e32 v24, 32, v11
	v_subrev_u32_e32 v11, 28, v24
	v_lshlrev_b64 v[10:11], v11, v[10:11]
	v_lshrrev_b32_e32 v23, 3, v19
	v_sub_u32_e32 v11, 29, v24
	v_and_b32_e32 v10, 7, v10
	v_cmp_gt_u32_e32 vcc, 8, v19
	v_mov_b32_e32 v19, 24
	v_cndmask_b32_e32 v11, v23, v11, vcc
	v_cndmask_b32_e32 v10, v21, v10, vcc
	v_lshlrev_b32_sdwa v19, v19, v12 dst_sel:DWORD dst_unused:UNUSED_PAD src0_sel:DWORD src1_sel:WORD_1
	v_bfrev_b32_e32 v21, 60
	v_lshlrev_b32_e32 v10, 20, v10
	v_and_b32_e32 v19, 0x80000000, v19
	v_lshl_add_u32 v11, v11, 23, v21
	v_or3_b32 v11, v19, v11, v10
.LBB592_561:
	s_or_b64 exec, exec, s[10:11]
.LBB592_562:
	s_or_b64 exec, exec, s[8:9]
.LBB592_563:
	s_or_b64 exec, exec, s[2:3]
	s_mov_b32 s2, 0xffffff
	v_cmp_lt_u32_e32 vcc, s2, v12
	v_mov_b32_e32 v21, 0
	v_mov_b32_e32 v23, 0
	s_and_saveexec_b64 s[2:3], vcc
	s_cbranch_execz .LBB592_569
; %bb.564:
	v_lshrrev_b32_e32 v10, 24, v12
	s_movk_i32 s7, 0x80
	v_cmp_ne_u32_e32 vcc, s7, v10
	v_bfrev_b32_e32 v23, 1
	s_and_saveexec_b64 s[8:9], vcc
	s_cbranch_execz .LBB592_568
; %bb.565:
	v_bfe_u32 v12, v12, 24, 7
	s_movk_i32 s7, 0x7f
	v_cmp_ne_u32_e32 vcc, s7, v12
	v_mov_b32_e32 v23, 0x7f800001
	s_and_saveexec_b64 s[10:11], vcc
	s_cbranch_execz .LBB592_567
; %bb.566:
	v_and_b32_e32 v19, 7, v10
	v_ffbh_u32_e32 v24, v19
	v_min_u32_e32 v27, 32, v24
	v_subrev_u32_e32 v24, 28, v27
	v_lshlrev_b64 v[24:25], v24, v[10:11]
	v_lshrrev_b32_e32 v23, 3, v12
	v_sub_u32_e32 v25, 29, v27
	v_and_b32_e32 v24, 7, v24
	v_cmp_gt_u32_e32 vcc, 8, v12
	v_cndmask_b32_e32 v12, v23, v25, vcc
	v_cndmask_b32_e32 v19, v19, v24, vcc
	v_lshlrev_b32_e32 v10, 24, v10
	v_bfrev_b32_e32 v23, 60
	v_lshlrev_b32_e32 v19, 20, v19
	v_and_b32_e32 v10, 0x80000000, v10
	v_lshl_add_u32 v12, v12, 23, v23
	v_or3_b32 v23, v10, v12, v19
.LBB592_567:
	s_or_b64 exec, exec, s[10:11]
.LBB592_568:
	s_or_b64 exec, exec, s[8:9]
.LBB592_569:
	s_or_b64 exec, exec, s[2:3]
	v_cmp_ne_u16_sdwa s[8:9], v13, v21 src0_sel:BYTE_0 src1_sel:DWORD
	s_and_saveexec_b64 s[2:3], s[8:9]
	s_cbranch_execz .LBB592_575
; %bb.570:
	s_movk_i32 s7, 0x80
	v_cmp_ne_u16_sdwa s[10:11], v13, s7 src0_sel:BYTE_0 src1_sel:DWORD
	v_bfrev_b32_e32 v21, 1
	s_and_saveexec_b64 s[8:9], s[10:11]
	s_cbranch_execz .LBB592_574
; %bb.571:
	s_movk_i32 s7, 0x7f
	v_and_b32_e32 v10, 0x7f, v13
	v_cmp_ne_u32_e32 vcc, s7, v10
	v_mov_b32_e32 v21, 0x7f800001
	s_and_saveexec_b64 s[10:11], vcc
	s_cbranch_execz .LBB592_573
; %bb.572:
	v_and_b32_e32 v19, 7, v13
	v_ffbh_u32_e32 v24, v19
	v_min_u32_e32 v27, 32, v24
	v_mov_b32_e32 v12, v13
	v_subrev_u32_e32 v24, 28, v27
	v_lshlrev_b64 v[24:25], v24, v[12:13]
	v_lshrrev_b32_e32 v21, 3, v10
	v_sub_u32_e32 v12, 29, v27
	v_and_b32_e32 v24, 7, v24
	v_cmp_gt_u32_e32 vcc, 8, v10
	v_cndmask_b32_e32 v10, v21, v12, vcc
	v_cndmask_b32_e32 v12, v19, v24, vcc
	v_lshlrev_b32_e32 v19, 24, v13
	v_bfrev_b32_e32 v21, 60
	v_lshlrev_b32_e32 v12, 20, v12
	v_and_b32_e32 v19, 0x80000000, v19
	v_lshl_add_u32 v10, v10, 23, v21
	v_or3_b32 v21, v19, v10, v12
.LBB592_573:
	s_or_b64 exec, exec, s[10:11]
.LBB592_574:
	s_or_b64 exec, exec, s[8:9]
.LBB592_575:
	s_or_b64 exec, exec, s[2:3]
	v_lshrrev_b16_e32 v10, 8, v13
	v_cmp_ne_u16_e32 vcc, 0, v10
	v_mov_b32_e32 v12, 0
	v_mov_b32_e32 v24, 0
	s_and_saveexec_b64 s[2:3], vcc
	s_cbranch_execz .LBB592_581
; %bb.576:
	s_movk_i32 s7, 0x80
	v_cmp_ne_u16_e32 vcc, s7, v10
	v_bfrev_b32_e32 v24, 1
	s_and_saveexec_b64 s[8:9], vcc
	s_cbranch_execz .LBB592_580
; %bb.577:
	s_movk_i32 s7, 0x7f
	v_and_b32_e32 v19, 0x7f, v10
	v_cmp_ne_u32_e32 vcc, s7, v19
	v_mov_b32_e32 v24, 0x7f800001
	s_and_saveexec_b64 s[10:11], vcc
	s_cbranch_execz .LBB592_579
; %bb.578:
	v_and_b32_e32 v27, 7, v10
	v_ffbh_u32_e32 v24, v27
	v_min_u32_e32 v29, 32, v24
	v_subrev_u32_e32 v24, 28, v29
	v_lshlrev_b64 v[24:25], v24, v[10:11]
	v_lshrrev_b32_e32 v28, 3, v19
	v_sub_u32_e32 v10, 29, v29
	v_and_b32_e32 v24, 7, v24
	v_cmp_gt_u32_e32 vcc, 8, v19
	v_cndmask_b32_e32 v10, v28, v10, vcc
	v_cndmask_b32_e32 v19, v27, v24, vcc
	v_lshlrev_b32_e32 v24, 16, v13
	v_bfrev_b32_e32 v25, 60
	v_lshlrev_b32_e32 v19, 20, v19
	v_and_b32_e32 v24, 0x80000000, v24
	v_lshl_add_u32 v10, v10, 23, v25
	v_or3_b32 v24, v24, v10, v19
.LBB592_579:
	s_or_b64 exec, exec, s[10:11]
.LBB592_580:
	s_or_b64 exec, exec, s[8:9]
.LBB592_581:
	s_or_b64 exec, exec, s[2:3]
	s_movk_i32 s2, 0xff
	v_and_b32_sdwa v19, v13, s2 dst_sel:DWORD dst_unused:UNUSED_PAD src0_sel:WORD_1 src1_sel:DWORD
	v_lshrrev_b32_e32 v10, 16, v13
	v_cmp_ne_u16_e32 vcc, 0, v19
	s_and_saveexec_b64 s[2:3], vcc
	s_cbranch_execz .LBB592_587
; %bb.582:
	s_movk_i32 s7, 0x80
	v_cmp_ne_u16_e32 vcc, s7, v19
	v_bfrev_b32_e32 v12, 1
	s_and_saveexec_b64 s[8:9], vcc
	s_cbranch_execz .LBB592_586
; %bb.583:
	v_bfe_u32 v19, v13, 16, 7
	s_movk_i32 s7, 0x7f
	v_cmp_ne_u32_e32 vcc, s7, v19
	v_mov_b32_e32 v12, 0x7f800001
	s_and_saveexec_b64 s[10:11], vcc
	s_cbranch_execz .LBB592_585
; %bb.584:
	v_and_b32_e32 v12, 7, v10
	v_ffbh_u32_e32 v27, v12
	v_min_u32_e32 v27, 32, v27
	v_subrev_u32_e32 v28, 28, v27
	v_lshlrev_b64 v[28:29], v28, v[10:11]
	v_lshrrev_b32_e32 v25, 3, v19
	v_sub_u32_e32 v10, 29, v27
	v_and_b32_e32 v27, 7, v28
	v_cmp_gt_u32_e32 vcc, 8, v19
	v_mov_b32_e32 v19, 24
	v_cndmask_b32_e32 v10, v25, v10, vcc
	v_cndmask_b32_e32 v12, v12, v27, vcc
	v_lshlrev_b32_sdwa v19, v19, v13 dst_sel:DWORD dst_unused:UNUSED_PAD src0_sel:DWORD src1_sel:WORD_1
	v_bfrev_b32_e32 v25, 60
	v_lshlrev_b32_e32 v12, 20, v12
	v_and_b32_e32 v19, 0x80000000, v19
	v_lshl_add_u32 v10, v10, 23, v25
	v_or3_b32 v12, v19, v10, v12
.LBB592_585:
	s_or_b64 exec, exec, s[10:11]
.LBB592_586:
	s_or_b64 exec, exec, s[8:9]
.LBB592_587:
	s_or_b64 exec, exec, s[2:3]
	s_mov_b32 s2, 0xffffff
	v_cmp_lt_u32_e32 vcc, s2, v13
	v_mov_b32_e32 v19, 0
	v_mov_b32_e32 v25, 0
	s_and_saveexec_b64 s[2:3], vcc
	s_cbranch_execz .LBB592_593
; %bb.588:
	v_lshrrev_b32_e32 v10, 24, v13
	s_movk_i32 s7, 0x80
	v_cmp_ne_u32_e32 vcc, s7, v10
	v_bfrev_b32_e32 v25, 1
	s_and_saveexec_b64 s[8:9], vcc
	s_cbranch_execz .LBB592_592
; %bb.589:
	v_bfe_u32 v13, v13, 24, 7
	s_movk_i32 s7, 0x7f
	v_cmp_ne_u32_e32 vcc, s7, v13
	v_mov_b32_e32 v25, 0x7f800001
	s_and_saveexec_b64 s[10:11], vcc
	s_cbranch_execz .LBB592_591
; %bb.590:
	v_and_b32_e32 v25, 7, v10
	v_ffbh_u32_e32 v28, v25
	v_min_u32_e32 v30, 32, v28
	v_subrev_u32_e32 v28, 28, v30
	v_lshlrev_b64 v[28:29], v28, v[10:11]
	v_lshrrev_b32_e32 v27, 3, v13
	v_sub_u32_e32 v29, 29, v30
	v_and_b32_e32 v28, 7, v28
	v_cmp_gt_u32_e32 vcc, 8, v13
	v_cndmask_b32_e32 v13, v27, v29, vcc
	v_cndmask_b32_e32 v25, v25, v28, vcc
	v_lshlrev_b32_e32 v10, 24, v10
	v_bfrev_b32_e32 v27, 60
	v_lshlrev_b32_e32 v25, 20, v25
	v_and_b32_e32 v10, 0x80000000, v10
	v_lshl_add_u32 v13, v13, 23, v27
	v_or3_b32 v25, v10, v13, v25
.LBB592_591:
	s_or_b64 exec, exec, s[10:11]
.LBB592_592:
	s_or_b64 exec, exec, s[8:9]
.LBB592_593:
	s_or_b64 exec, exec, s[2:3]
	v_cvt_pkrtz_f16_f32 v10, v18, v20
	v_cvt_pkrtz_f16_f32 v11, v11, v23
	ds_read_b128 v[28:31], v22 offset:2064
	s_waitcnt vmcnt(1)
	v_cmp_ne_u16_sdwa s[8:9], v6, v19 src0_sel:BYTE_0 src1_sel:DWORD
	s_waitcnt lgkmcnt(0)
	v_mfma_f32_16x16x16f16 v[14:17], v[10:11], v[28:29], v[14:17]
	v_cvt_pkrtz_f16_f32 v10, v21, v24
	v_cvt_pkrtz_f16_f32 v11, v12, v25
	s_nop 1
	v_mfma_f32_16x16x16f16 v[10:13], v[10:11], v[30:31], v[14:17]
	s_and_saveexec_b64 s[2:3], s[8:9]
	s_cbranch_execz .LBB592_599
; %bb.594:
	s_movk_i32 s7, 0x80
	v_cmp_ne_u16_sdwa s[10:11], v6, s7 src0_sel:BYTE_0 src1_sel:DWORD
	v_bfrev_b32_e32 v19, 1
	s_and_saveexec_b64 s[8:9], s[10:11]
	s_cbranch_execz .LBB592_598
; %bb.595:
	s_movk_i32 s7, 0x7f
	v_and_b32_e32 v14, 0x7f, v6
	v_cmp_ne_u32_e32 vcc, s7, v14
	v_mov_b32_e32 v19, 0x7f800001
	s_and_saveexec_b64 s[10:11], vcc
	s_cbranch_execz .LBB592_597
; %bb.596:
	v_and_b32_e32 v15, 7, v6
	v_ffbh_u32_e32 v16, v15
	v_min_u32_e32 v19, 32, v16
	v_subrev_u32_e32 v16, 28, v19
	v_lshlrev_b64 v[16:17], v16, v[6:7]
	v_lshrrev_b32_e32 v18, 3, v14
	v_sub_u32_e32 v17, 29, v19
	v_and_b32_e32 v16, 7, v16
	v_cmp_gt_u32_e32 vcc, 8, v14
	v_cndmask_b32_e32 v14, v18, v17, vcc
	v_cndmask_b32_e32 v15, v15, v16, vcc
	v_lshlrev_b32_e32 v16, 24, v6
	v_bfrev_b32_e32 v17, 60
	v_lshlrev_b32_e32 v15, 20, v15
	v_and_b32_e32 v16, 0x80000000, v16
	v_lshl_add_u32 v14, v14, 23, v17
	v_or3_b32 v19, v16, v14, v15
.LBB592_597:
	s_or_b64 exec, exec, s[10:11]
.LBB592_598:
	s_or_b64 exec, exec, s[8:9]
.LBB592_599:
	s_or_b64 exec, exec, s[2:3]
	s_nop 3
	v_lshrrev_b16_e32 v14, 8, v6
	v_cmp_ne_u16_e32 vcc, 0, v14
	v_mov_b32_e32 v15, 0
	v_mov_b32_e32 v16, 0
	s_and_saveexec_b64 s[2:3], vcc
	s_cbranch_execz .LBB592_605
; %bb.600:
	s_movk_i32 s7, 0x80
	v_cmp_ne_u16_e32 vcc, s7, v14
	v_bfrev_b32_e32 v16, 1
	s_and_saveexec_b64 s[8:9], vcc
	s_cbranch_execz .LBB592_604
; %bb.601:
	s_movk_i32 s7, 0x7f
	v_and_b32_e32 v17, 0x7f, v14
	v_cmp_ne_u32_e32 vcc, s7, v17
	v_mov_b32_e32 v16, 0x7f800001
	s_and_saveexec_b64 s[10:11], vcc
	s_cbranch_execz .LBB592_603
; %bb.602:
	v_and_b32_e32 v16, 7, v14
	v_ffbh_u32_e32 v20, v16
	v_min_u32_e32 v23, 32, v20
	v_subrev_u32_e32 v20, 28, v23
	v_lshlrev_b64 v[20:21], v20, v[14:15]
	v_lshrrev_b32_e32 v18, 3, v17
	v_sub_u32_e32 v14, 29, v23
	v_and_b32_e32 v20, 7, v20
	v_cmp_gt_u32_e32 vcc, 8, v17
	v_cndmask_b32_e32 v14, v18, v14, vcc
	v_cndmask_b32_e32 v16, v16, v20, vcc
	v_lshlrev_b32_e32 v17, 16, v6
	v_bfrev_b32_e32 v18, 60
	v_lshlrev_b32_e32 v16, 20, v16
	v_and_b32_e32 v17, 0x80000000, v17
	v_lshl_add_u32 v14, v14, 23, v18
	v_or3_b32 v16, v17, v14, v16
.LBB592_603:
	s_or_b64 exec, exec, s[10:11]
.LBB592_604:
	s_or_b64 exec, exec, s[8:9]
.LBB592_605:
	s_or_b64 exec, exec, s[2:3]
	s_movk_i32 s2, 0xff
	v_and_b32_sdwa v17, v6, s2 dst_sel:DWORD dst_unused:UNUSED_PAD src0_sel:WORD_1 src1_sel:DWORD
	v_lshrrev_b32_e32 v14, 16, v6
	v_cmp_ne_u16_e32 vcc, 0, v17
	s_and_saveexec_b64 s[2:3], vcc
	s_cbranch_execz .LBB592_611
; %bb.606:
	s_movk_i32 s7, 0x80
	v_cmp_ne_u16_e32 vcc, s7, v17
	v_bfrev_b32_e32 v15, 1
	s_and_saveexec_b64 s[8:9], vcc
	s_cbranch_execz .LBB592_610
; %bb.607:
	v_bfe_u32 v17, v6, 16, 7
	s_movk_i32 s7, 0x7f
	v_cmp_ne_u32_e32 vcc, s7, v17
	v_mov_b32_e32 v15, 0x7f800001
	s_and_saveexec_b64 s[10:11], vcc
	s_cbranch_execz .LBB592_609
; %bb.608:
	v_and_b32_e32 v18, 7, v14
	v_ffbh_u32_e32 v15, v18
	v_min_u32_e32 v21, 32, v15
	v_subrev_u32_e32 v15, 28, v21
	v_lshlrev_b64 v[14:15], v15, v[14:15]
	v_lshrrev_b32_e32 v20, 3, v17
	v_sub_u32_e32 v15, 29, v21
	v_and_b32_e32 v14, 7, v14
	v_cmp_gt_u32_e32 vcc, 8, v17
	v_mov_b32_e32 v17, 24
	v_cndmask_b32_e32 v15, v20, v15, vcc
	v_cndmask_b32_e32 v14, v18, v14, vcc
	v_lshlrev_b32_sdwa v17, v17, v6 dst_sel:DWORD dst_unused:UNUSED_PAD src0_sel:DWORD src1_sel:WORD_1
	v_bfrev_b32_e32 v18, 60
	v_lshlrev_b32_e32 v14, 20, v14
	v_and_b32_e32 v17, 0x80000000, v17
	v_lshl_add_u32 v15, v15, 23, v18
	v_or3_b32 v15, v17, v15, v14
.LBB592_609:
	s_or_b64 exec, exec, s[10:11]
.LBB592_610:
	s_or_b64 exec, exec, s[8:9]
.LBB592_611:
	s_or_b64 exec, exec, s[2:3]
	s_mov_b32 s2, 0xffffff
	v_cmp_lt_u32_e32 vcc, s2, v6
	v_mov_b32_e32 v17, 0
	v_mov_b32_e32 v18, 0
	s_and_saveexec_b64 s[2:3], vcc
	s_cbranch_execz .LBB592_617
; %bb.612:
	v_lshrrev_b32_e32 v14, 24, v6
	s_movk_i32 s7, 0x80
	v_cmp_ne_u32_e32 vcc, s7, v14
	v_bfrev_b32_e32 v18, 1
	s_and_saveexec_b64 s[8:9], vcc
	s_cbranch_execz .LBB592_616
; %bb.613:
	v_bfe_u32 v6, v6, 24, 7
	s_movk_i32 s7, 0x7f
	v_cmp_ne_u32_e32 vcc, s7, v6
	v_mov_b32_e32 v18, 0x7f800001
	s_and_saveexec_b64 s[10:11], vcc
	s_cbranch_execz .LBB592_615
; %bb.614:
	v_and_b32_e32 v18, 7, v14
	v_ffbh_u32_e32 v20, v18
	v_min_u32_e32 v24, 32, v20
	v_subrev_u32_e32 v20, 28, v24
	v_lshlrev_b64 v[20:21], v20, v[14:15]
	v_lshrrev_b32_e32 v23, 3, v6
	v_sub_u32_e32 v21, 29, v24
	v_and_b32_e32 v20, 7, v20
	v_cmp_gt_u32_e32 vcc, 8, v6
	v_cndmask_b32_e32 v6, v23, v21, vcc
	v_cndmask_b32_e32 v18, v18, v20, vcc
	v_lshlrev_b32_e32 v14, 24, v14
	v_bfrev_b32_e32 v20, 60
	v_lshlrev_b32_e32 v18, 20, v18
	v_and_b32_e32 v14, 0x80000000, v14
	v_lshl_add_u32 v6, v6, 23, v20
	v_or3_b32 v18, v14, v6, v18
.LBB592_615:
	s_or_b64 exec, exec, s[10:11]
.LBB592_616:
	s_or_b64 exec, exec, s[8:9]
.LBB592_617:
	s_or_b64 exec, exec, s[2:3]
	v_cmp_ne_u16_sdwa s[8:9], v7, v17 src0_sel:BYTE_0 src1_sel:DWORD
	s_and_saveexec_b64 s[2:3], s[8:9]
	s_cbranch_execz .LBB592_623
; %bb.618:
	s_movk_i32 s7, 0x80
	v_cmp_ne_u16_sdwa s[10:11], v7, s7 src0_sel:BYTE_0 src1_sel:DWORD
	v_bfrev_b32_e32 v17, 1
	s_and_saveexec_b64 s[8:9], s[10:11]
	s_cbranch_execz .LBB592_622
; %bb.619:
	s_movk_i32 s7, 0x7f
	v_and_b32_e32 v6, 0x7f, v7
	v_cmp_ne_u32_e32 vcc, s7, v6
	v_mov_b32_e32 v17, 0x7f800001
	s_and_saveexec_b64 s[10:11], vcc
	s_cbranch_execz .LBB592_621
; %bb.620:
	v_and_b32_e32 v17, 7, v7
	v_ffbh_u32_e32 v20, v17
	v_min_u32_e32 v24, 32, v20
	v_mov_b32_e32 v14, v7
	v_subrev_u32_e32 v20, 28, v24
	v_lshlrev_b64 v[20:21], v20, v[14:15]
	v_lshrrev_b32_e32 v23, 3, v6
	v_sub_u32_e32 v14, 29, v24
	v_and_b32_e32 v20, 7, v20
	v_cmp_gt_u32_e32 vcc, 8, v6
	v_cndmask_b32_e32 v6, v23, v14, vcc
	v_cndmask_b32_e32 v14, v17, v20, vcc
	v_lshlrev_b32_e32 v17, 24, v7
	v_bfrev_b32_e32 v20, 60
	v_lshlrev_b32_e32 v14, 20, v14
	v_and_b32_e32 v17, 0x80000000, v17
	v_lshl_add_u32 v6, v6, 23, v20
	v_or3_b32 v17, v17, v6, v14
.LBB592_621:
	s_or_b64 exec, exec, s[10:11]
.LBB592_622:
	s_or_b64 exec, exec, s[8:9]
.LBB592_623:
	s_or_b64 exec, exec, s[2:3]
	v_lshrrev_b16_e32 v6, 8, v7
	v_cmp_ne_u16_e32 vcc, 0, v6
	v_mov_b32_e32 v20, 0
	v_mov_b32_e32 v21, 0
	s_and_saveexec_b64 s[2:3], vcc
	s_cbranch_execz .LBB592_629
; %bb.624:
	s_movk_i32 s7, 0x80
	v_cmp_ne_u16_e32 vcc, s7, v6
	v_bfrev_b32_e32 v21, 1
	s_and_saveexec_b64 s[8:9], vcc
	s_cbranch_execz .LBB592_628
; %bb.625:
	s_movk_i32 s7, 0x7f
	v_and_b32_e32 v14, 0x7f, v6
	v_cmp_ne_u32_e32 vcc, s7, v14
	v_mov_b32_e32 v21, 0x7f800001
	s_and_saveexec_b64 s[10:11], vcc
	s_cbranch_execz .LBB592_627
; %bb.626:
	v_and_b32_e32 v21, 7, v6
	v_ffbh_u32_e32 v24, v21
	v_min_u32_e32 v27, 32, v24
	v_subrev_u32_e32 v24, 28, v27
	v_lshlrev_b64 v[24:25], v24, v[6:7]
	v_lshrrev_b32_e32 v23, 3, v14
	v_sub_u32_e32 v6, 29, v27
	v_and_b32_e32 v24, 7, v24
	v_cmp_gt_u32_e32 vcc, 8, v14
	v_cndmask_b32_e32 v6, v23, v6, vcc
	v_cndmask_b32_e32 v14, v21, v24, vcc
	v_lshlrev_b32_e32 v21, 16, v7
	v_bfrev_b32_e32 v23, 60
	v_lshlrev_b32_e32 v14, 20, v14
	v_and_b32_e32 v21, 0x80000000, v21
	v_lshl_add_u32 v6, v6, 23, v23
	v_or3_b32 v21, v21, v6, v14
.LBB592_627:
	s_or_b64 exec, exec, s[10:11]
.LBB592_628:
	s_or_b64 exec, exec, s[8:9]
.LBB592_629:
	s_or_b64 exec, exec, s[2:3]
	s_movk_i32 s2, 0xff
	v_and_b32_sdwa v14, v7, s2 dst_sel:DWORD dst_unused:UNUSED_PAD src0_sel:WORD_1 src1_sel:DWORD
	v_lshrrev_b32_e32 v6, 16, v7
	v_cmp_ne_u16_e32 vcc, 0, v14
	s_and_saveexec_b64 s[2:3], vcc
	s_cbranch_execz .LBB592_635
; %bb.630:
	s_movk_i32 s7, 0x80
	v_cmp_ne_u16_e32 vcc, s7, v14
	v_bfrev_b32_e32 v20, 1
	s_and_saveexec_b64 s[8:9], vcc
	s_cbranch_execz .LBB592_634
; %bb.631:
	v_bfe_u32 v14, v7, 16, 7
	s_movk_i32 s7, 0x7f
	v_cmp_ne_u32_e32 vcc, s7, v14
	v_mov_b32_e32 v20, 0x7f800001
	s_and_saveexec_b64 s[10:11], vcc
	s_cbranch_execz .LBB592_633
; %bb.632:
	v_and_b32_e32 v20, 7, v6
	v_ffbh_u32_e32 v24, v20
	v_min_u32_e32 v27, 32, v24
	v_subrev_u32_e32 v24, 28, v27
	v_lshlrev_b64 v[24:25], v24, v[6:7]
	v_and_b32_e32 v24, 7, v24
	v_cmp_gt_u32_e32 vcc, 8, v14
	v_lshrrev_b32_e32 v23, 3, v14
	v_sub_u32_e32 v6, 29, v27
	v_cndmask_b32_e32 v14, v20, v24, vcc
	v_mov_b32_e32 v20, 24
	v_cndmask_b32_e32 v6, v23, v6, vcc
	v_lshlrev_b32_sdwa v20, v20, v7 dst_sel:DWORD dst_unused:UNUSED_PAD src0_sel:DWORD src1_sel:WORD_1
	v_bfrev_b32_e32 v23, 60
	v_lshlrev_b32_e32 v14, 20, v14
	v_and_b32_e32 v20, 0x80000000, v20
	v_lshl_add_u32 v6, v6, 23, v23
	v_or3_b32 v20, v20, v6, v14
.LBB592_633:
	s_or_b64 exec, exec, s[10:11]
.LBB592_634:
	s_or_b64 exec, exec, s[8:9]
.LBB592_635:
	s_or_b64 exec, exec, s[2:3]
	s_mov_b32 s2, 0xffffff
	v_cmp_lt_u32_e32 vcc, s2, v7
	v_mov_b32_e32 v14, 0
	v_mov_b32_e32 v23, 0
	s_and_saveexec_b64 s[2:3], vcc
	s_cbranch_execz .LBB592_641
; %bb.636:
	v_lshrrev_b32_e32 v6, 24, v7
	s_movk_i32 s7, 0x80
	v_cmp_ne_u32_e32 vcc, s7, v6
	v_bfrev_b32_e32 v23, 1
	s_and_saveexec_b64 s[8:9], vcc
	s_cbranch_execz .LBB592_640
; %bb.637:
	v_bfe_u32 v7, v7, 24, 7
	s_movk_i32 s7, 0x7f
	v_cmp_ne_u32_e32 vcc, s7, v7
	v_mov_b32_e32 v23, 0x7f800001
	s_and_saveexec_b64 s[10:11], vcc
	s_cbranch_execz .LBB592_639
; %bb.638:
	v_and_b32_e32 v23, 7, v6
	v_ffbh_u32_e32 v24, v23
	v_min_u32_e32 v28, 32, v24
	v_subrev_u32_e32 v24, 28, v28
	v_lshlrev_b64 v[24:25], v24, v[6:7]
	v_lshrrev_b32_e32 v27, 3, v7
	v_sub_u32_e32 v25, 29, v28
	v_and_b32_e32 v24, 7, v24
	v_cmp_gt_u32_e32 vcc, 8, v7
	v_cndmask_b32_e32 v7, v27, v25, vcc
	v_cndmask_b32_e32 v23, v23, v24, vcc
	v_lshlrev_b32_e32 v6, 24, v6
	v_bfrev_b32_e32 v24, 60
	v_lshlrev_b32_e32 v23, 20, v23
	v_and_b32_e32 v6, 0x80000000, v6
	v_lshl_add_u32 v7, v7, 23, v24
	v_or3_b32 v23, v6, v7, v23
.LBB592_639:
	s_or_b64 exec, exec, s[10:11]
.LBB592_640:
	s_or_b64 exec, exec, s[8:9]
.LBB592_641:
	s_or_b64 exec, exec, s[2:3]
	v_cvt_pkrtz_f16_f32 v6, v19, v16
	v_cvt_pkrtz_f16_f32 v7, v15, v18
	ds_read_b128 v[28:31], v22 offset:4096
	v_cmp_ne_u16_sdwa s[8:9], v8, v14 src0_sel:BYTE_0 src1_sel:DWORD
	s_waitcnt lgkmcnt(0)
	v_mfma_f32_16x16x16f16 v[10:13], v[6:7], v[28:29], v[10:13]
	v_cvt_pkrtz_f16_f32 v6, v17, v21
	v_cvt_pkrtz_f16_f32 v7, v20, v23
	s_nop 1
	v_mfma_f32_16x16x16f16 v[10:13], v[6:7], v[30:31], v[10:13]
	s_and_saveexec_b64 s[2:3], s[8:9]
	s_cbranch_execz .LBB592_647
; %bb.642:
	s_movk_i32 s7, 0x80
	v_cmp_ne_u16_sdwa s[10:11], v8, s7 src0_sel:BYTE_0 src1_sel:DWORD
	v_bfrev_b32_e32 v14, 1
	s_and_saveexec_b64 s[8:9], s[10:11]
	s_cbranch_execz .LBB592_646
; %bb.643:
	s_movk_i32 s7, 0x7f
	v_and_b32_e32 v6, 0x7f, v8
	v_cmp_ne_u32_e32 vcc, s7, v6
	v_mov_b32_e32 v14, 0x7f800001
	s_and_saveexec_b64 s[10:11], vcc
	s_cbranch_execz .LBB592_645
; %bb.644:
	v_and_b32_e32 v7, 7, v8
	v_ffbh_u32_e32 v14, v7
	v_min_u32_e32 v17, 32, v14
	v_subrev_u32_e32 v14, 28, v17
	v_lshlrev_b64 v[14:15], v14, v[8:9]
	v_lshrrev_b32_e32 v16, 3, v6
	v_sub_u32_e32 v15, 29, v17
	v_and_b32_e32 v14, 7, v14
	v_cmp_gt_u32_e32 vcc, 8, v6
	v_cndmask_b32_e32 v6, v16, v15, vcc
	v_cndmask_b32_e32 v7, v7, v14, vcc
	v_lshlrev_b32_e32 v14, 24, v8
	v_bfrev_b32_e32 v15, 60
	v_lshlrev_b32_e32 v7, 20, v7
	v_and_b32_e32 v14, 0x80000000, v14
	v_lshl_add_u32 v6, v6, 23, v15
	v_or3_b32 v14, v14, v6, v7
.LBB592_645:
	s_or_b64 exec, exec, s[10:11]
.LBB592_646:
	s_or_b64 exec, exec, s[8:9]
.LBB592_647:
	s_or_b64 exec, exec, s[2:3]
	v_lshrrev_b16_e32 v6, 8, v8
	v_cmp_ne_u16_e32 vcc, 0, v6
	v_mov_b32_e32 v7, 0
	v_mov_b32_e32 v16, 0
	s_and_saveexec_b64 s[2:3], vcc
	s_cbranch_execz .LBB592_653
; %bb.648:
	s_movk_i32 s7, 0x80
	v_cmp_ne_u16_e32 vcc, s7, v6
	v_bfrev_b32_e32 v16, 1
	s_and_saveexec_b64 s[8:9], vcc
	s_cbranch_execz .LBB592_652
; %bb.649:
	s_movk_i32 s7, 0x7f
	v_and_b32_e32 v15, 0x7f, v6
	v_cmp_ne_u32_e32 vcc, s7, v15
	v_mov_b32_e32 v16, 0x7f800001
	s_and_saveexec_b64 s[10:11], vcc
	s_cbranch_execz .LBB592_651
; %bb.650:
	v_and_b32_e32 v18, 7, v6
	v_ffbh_u32_e32 v16, v18
	v_min_u32_e32 v20, 32, v16
	v_subrev_u32_e32 v16, 28, v20
	v_lshlrev_b64 v[16:17], v16, v[6:7]
	v_lshrrev_b32_e32 v19, 3, v15
	v_sub_u32_e32 v6, 29, v20
	v_and_b32_e32 v16, 7, v16
	v_cmp_gt_u32_e32 vcc, 8, v15
	v_cndmask_b32_e32 v6, v19, v6, vcc
	v_cndmask_b32_e32 v15, v18, v16, vcc
	v_lshlrev_b32_e32 v16, 16, v8
	v_bfrev_b32_e32 v17, 60
	v_lshlrev_b32_e32 v15, 20, v15
	v_and_b32_e32 v16, 0x80000000, v16
	v_lshl_add_u32 v6, v6, 23, v17
	v_or3_b32 v16, v16, v6, v15
.LBB592_651:
	s_or_b64 exec, exec, s[10:11]
.LBB592_652:
	s_or_b64 exec, exec, s[8:9]
.LBB592_653:
	s_or_b64 exec, exec, s[2:3]
	s_movk_i32 s2, 0xff
	v_and_b32_sdwa v15, v8, s2 dst_sel:DWORD dst_unused:UNUSED_PAD src0_sel:WORD_1 src1_sel:DWORD
	v_lshrrev_b32_e32 v6, 16, v8
	v_cmp_ne_u16_e32 vcc, 0, v15
	s_and_saveexec_b64 s[2:3], vcc
	s_cbranch_execz .LBB592_659
; %bb.654:
	s_movk_i32 s7, 0x80
	v_cmp_ne_u16_e32 vcc, s7, v15
	v_bfrev_b32_e32 v7, 1
	s_and_saveexec_b64 s[8:9], vcc
	s_cbranch_execz .LBB592_658
; %bb.655:
	v_bfe_u32 v15, v8, 16, 7
	s_movk_i32 s7, 0x7f
	v_cmp_ne_u32_e32 vcc, s7, v15
	v_mov_b32_e32 v7, 0x7f800001
	s_and_saveexec_b64 s[10:11], vcc
	s_cbranch_execz .LBB592_657
; %bb.656:
	v_and_b32_e32 v17, 7, v6
	v_ffbh_u32_e32 v7, v17
	v_min_u32_e32 v19, 32, v7
	v_subrev_u32_e32 v7, 28, v19
	v_lshlrev_b64 v[6:7], v7, v[6:7]
	v_lshrrev_b32_e32 v18, 3, v15
	v_sub_u32_e32 v7, 29, v19
	v_and_b32_e32 v6, 7, v6
	v_cmp_gt_u32_e32 vcc, 8, v15
	v_mov_b32_e32 v15, 24
	v_cndmask_b32_e32 v7, v18, v7, vcc
	v_cndmask_b32_e32 v6, v17, v6, vcc
	v_lshlrev_b32_sdwa v15, v15, v8 dst_sel:DWORD dst_unused:UNUSED_PAD src0_sel:DWORD src1_sel:WORD_1
	v_bfrev_b32_e32 v17, 60
	v_lshlrev_b32_e32 v6, 20, v6
	v_and_b32_e32 v15, 0x80000000, v15
	v_lshl_add_u32 v7, v7, 23, v17
	v_or3_b32 v7, v15, v7, v6
.LBB592_657:
	s_or_b64 exec, exec, s[10:11]
.LBB592_658:
	s_or_b64 exec, exec, s[8:9]
.LBB592_659:
	s_or_b64 exec, exec, s[2:3]
	s_mov_b32 s2, 0xffffff
	v_cmp_lt_u32_e32 vcc, s2, v8
	v_mov_b32_e32 v17, 0
	v_mov_b32_e32 v18, 0
	s_and_saveexec_b64 s[2:3], vcc
	s_cbranch_execz .LBB592_665
; %bb.660:
	v_lshrrev_b32_e32 v6, 24, v8
	s_movk_i32 s7, 0x80
	v_cmp_ne_u32_e32 vcc, s7, v6
	v_bfrev_b32_e32 v18, 1
	s_and_saveexec_b64 s[8:9], vcc
	s_cbranch_execz .LBB592_664
; %bb.661:
	v_bfe_u32 v8, v8, 24, 7
	s_movk_i32 s7, 0x7f
	v_cmp_ne_u32_e32 vcc, s7, v8
	v_mov_b32_e32 v18, 0x7f800001
	s_and_saveexec_b64 s[10:11], vcc
	s_cbranch_execz .LBB592_663
; %bb.662:
	v_and_b32_e32 v15, 7, v6
	v_ffbh_u32_e32 v18, v15
	v_min_u32_e32 v21, 32, v18
	v_subrev_u32_e32 v18, 28, v21
	v_lshlrev_b64 v[18:19], v18, v[6:7]
	v_lshrrev_b32_e32 v20, 3, v8
	v_sub_u32_e32 v19, 29, v21
	v_and_b32_e32 v18, 7, v18
	v_cmp_gt_u32_e32 vcc, 8, v8
	v_cndmask_b32_e32 v8, v20, v19, vcc
	v_cndmask_b32_e32 v15, v15, v18, vcc
	v_lshlrev_b32_e32 v6, 24, v6
	v_bfrev_b32_e32 v18, 60
	v_lshlrev_b32_e32 v15, 20, v15
	v_and_b32_e32 v6, 0x80000000, v6
	v_lshl_add_u32 v8, v8, 23, v18
	v_or3_b32 v18, v6, v8, v15
.LBB592_663:
	s_or_b64 exec, exec, s[10:11]
.LBB592_664:
	s_or_b64 exec, exec, s[8:9]
.LBB592_665:
	s_or_b64 exec, exec, s[2:3]
	v_cmp_ne_u16_sdwa s[8:9], v9, v17 src0_sel:BYTE_0 src1_sel:DWORD
	s_and_saveexec_b64 s[2:3], s[8:9]
	s_cbranch_execz .LBB592_671
; %bb.666:
	s_movk_i32 s7, 0x80
	v_cmp_ne_u16_sdwa s[10:11], v9, s7 src0_sel:BYTE_0 src1_sel:DWORD
	v_bfrev_b32_e32 v17, 1
	s_and_saveexec_b64 s[8:9], s[10:11]
	s_cbranch_execz .LBB592_670
; %bb.667:
	s_movk_i32 s7, 0x7f
	v_and_b32_e32 v6, 0x7f, v9
	v_cmp_ne_u32_e32 vcc, s7, v6
	v_mov_b32_e32 v17, 0x7f800001
	s_and_saveexec_b64 s[10:11], vcc
	s_cbranch_execz .LBB592_669
; %bb.668:
	v_and_b32_e32 v15, 7, v9
	v_ffbh_u32_e32 v19, v15
	v_min_u32_e32 v19, 32, v19
	v_mov_b32_e32 v8, v9
	v_subrev_u32_e32 v20, 28, v19
	v_lshlrev_b64 v[20:21], v20, v[8:9]
	v_lshrrev_b32_e32 v17, 3, v6
	v_sub_u32_e32 v8, 29, v19
	v_and_b32_e32 v19, 7, v20
	v_cmp_gt_u32_e32 vcc, 8, v6
	v_cndmask_b32_e32 v6, v17, v8, vcc
	v_cndmask_b32_e32 v8, v15, v19, vcc
	v_lshlrev_b32_e32 v15, 24, v9
	v_bfrev_b32_e32 v17, 60
	v_lshlrev_b32_e32 v8, 20, v8
	v_and_b32_e32 v15, 0x80000000, v15
	v_lshl_add_u32 v6, v6, 23, v17
	v_or3_b32 v17, v15, v6, v8
.LBB592_669:
	s_or_b64 exec, exec, s[10:11]
.LBB592_670:
	s_or_b64 exec, exec, s[8:9]
.LBB592_671:
	s_or_b64 exec, exec, s[2:3]
	v_lshrrev_b16_e32 v6, 8, v9
	v_cmp_ne_u16_e32 vcc, 0, v6
	v_mov_b32_e32 v8, 0
	v_mov_b32_e32 v19, 0
	s_and_saveexec_b64 s[2:3], vcc
	s_cbranch_execz .LBB592_677
; %bb.672:
	s_movk_i32 s7, 0x80
	v_cmp_ne_u16_e32 vcc, s7, v6
	v_bfrev_b32_e32 v19, 1
	s_and_saveexec_b64 s[8:9], vcc
	s_cbranch_execz .LBB592_676
; %bb.673:
	s_movk_i32 s7, 0x7f
	v_and_b32_e32 v15, 0x7f, v6
	v_cmp_ne_u32_e32 vcc, s7, v15
	v_mov_b32_e32 v19, 0x7f800001
	s_and_saveexec_b64 s[10:11], vcc
	s_cbranch_execz .LBB592_675
; %bb.674:
	v_and_b32_e32 v19, 7, v6
	v_ffbh_u32_e32 v20, v19
	v_min_u32_e32 v24, 32, v20
	v_subrev_u32_e32 v20, 28, v24
	v_lshlrev_b64 v[20:21], v20, v[6:7]
	v_lshrrev_b32_e32 v23, 3, v15
	v_sub_u32_e32 v6, 29, v24
	v_and_b32_e32 v20, 7, v20
	v_cmp_gt_u32_e32 vcc, 8, v15
	v_cndmask_b32_e32 v6, v23, v6, vcc
	v_cndmask_b32_e32 v15, v19, v20, vcc
	v_lshlrev_b32_e32 v19, 16, v9
	v_bfrev_b32_e32 v20, 60
	v_lshlrev_b32_e32 v15, 20, v15
	v_and_b32_e32 v19, 0x80000000, v19
	v_lshl_add_u32 v6, v6, 23, v20
	v_or3_b32 v19, v19, v6, v15
.LBB592_675:
	s_or_b64 exec, exec, s[10:11]
.LBB592_676:
	s_or_b64 exec, exec, s[8:9]
.LBB592_677:
	s_or_b64 exec, exec, s[2:3]
	s_movk_i32 s2, 0xff
	v_and_b32_sdwa v15, v9, s2 dst_sel:DWORD dst_unused:UNUSED_PAD src0_sel:WORD_1 src1_sel:DWORD
	v_lshrrev_b32_e32 v6, 16, v9
	v_cmp_ne_u16_e32 vcc, 0, v15
	s_and_saveexec_b64 s[2:3], vcc
	s_cbranch_execz .LBB592_683
; %bb.678:
	s_movk_i32 s7, 0x80
	v_cmp_ne_u16_e32 vcc, s7, v15
	v_bfrev_b32_e32 v8, 1
	s_and_saveexec_b64 s[8:9], vcc
	s_cbranch_execz .LBB592_682
; %bb.679:
	v_bfe_u32 v15, v9, 16, 7
	s_movk_i32 s7, 0x7f
	v_cmp_ne_u32_e32 vcc, s7, v15
	v_mov_b32_e32 v8, 0x7f800001
	s_and_saveexec_b64 s[10:11], vcc
	s_cbranch_execz .LBB592_681
; %bb.680:
	v_and_b32_e32 v8, 7, v6
	v_ffbh_u32_e32 v20, v8
	v_min_u32_e32 v24, 32, v20
	v_subrev_u32_e32 v20, 28, v24
	v_lshlrev_b64 v[20:21], v20, v[6:7]
	v_lshrrev_b32_e32 v23, 3, v15
	v_sub_u32_e32 v6, 29, v24
	v_and_b32_e32 v20, 7, v20
	v_cmp_gt_u32_e32 vcc, 8, v15
	v_mov_b32_e32 v15, 24
	v_cndmask_b32_e32 v6, v23, v6, vcc
	v_cndmask_b32_e32 v8, v8, v20, vcc
	v_lshlrev_b32_sdwa v15, v15, v9 dst_sel:DWORD dst_unused:UNUSED_PAD src0_sel:DWORD src1_sel:WORD_1
	v_bfrev_b32_e32 v20, 60
	v_lshlrev_b32_e32 v8, 20, v8
	v_and_b32_e32 v15, 0x80000000, v15
	v_lshl_add_u32 v6, v6, 23, v20
	v_or3_b32 v8, v15, v6, v8
.LBB592_681:
	s_or_b64 exec, exec, s[10:11]
.LBB592_682:
	s_or_b64 exec, exec, s[8:9]
.LBB592_683:
	s_or_b64 exec, exec, s[2:3]
	s_mov_b32 s2, 0xffffff
	v_cmp_lt_u32_e32 vcc, s2, v9
	v_mov_b32_e32 v15, 0
	v_mov_b32_e32 v20, 0
	s_and_saveexec_b64 s[2:3], vcc
	s_cbranch_execz .LBB592_689
; %bb.684:
	v_lshrrev_b32_e32 v6, 24, v9
	s_movk_i32 s7, 0x80
	v_cmp_ne_u32_e32 vcc, s7, v6
	v_bfrev_b32_e32 v20, 1
	s_and_saveexec_b64 s[8:9], vcc
	s_cbranch_execz .LBB592_688
; %bb.685:
	v_bfe_u32 v9, v9, 24, 7
	s_movk_i32 s7, 0x7f
	v_cmp_ne_u32_e32 vcc, s7, v9
	v_mov_b32_e32 v20, 0x7f800001
	s_and_saveexec_b64 s[10:11], vcc
	s_cbranch_execz .LBB592_687
; %bb.686:
	v_and_b32_e32 v23, 7, v6
	v_ffbh_u32_e32 v20, v23
	v_min_u32_e32 v25, 32, v20
	v_subrev_u32_e32 v20, 28, v25
	v_lshlrev_b64 v[20:21], v20, v[6:7]
	v_lshrrev_b32_e32 v24, 3, v9
	v_sub_u32_e32 v21, 29, v25
	v_and_b32_e32 v20, 7, v20
	v_cmp_gt_u32_e32 vcc, 8, v9
	v_cndmask_b32_e32 v9, v24, v21, vcc
	v_cndmask_b32_e32 v20, v23, v20, vcc
	v_lshlrev_b32_e32 v6, 24, v6
	v_bfrev_b32_e32 v21, 60
	v_lshlrev_b32_e32 v20, 20, v20
	v_and_b32_e32 v6, 0x80000000, v6
	v_lshl_add_u32 v9, v9, 23, v21
	v_or3_b32 v20, v6, v9, v20
.LBB592_687:
	s_or_b64 exec, exec, s[10:11]
.LBB592_688:
	s_or_b64 exec, exec, s[8:9]
.LBB592_689:
	s_or_b64 exec, exec, s[2:3]
	v_cvt_pkrtz_f16_f32 v6, v14, v16
	v_cvt_pkrtz_f16_f32 v7, v7, v18
	ds_read_b128 v[28:31], v22 offset:4112
	s_waitcnt vmcnt(0)
	v_cmp_ne_u16_sdwa s[8:9], v2, v15 src0_sel:BYTE_0 src1_sel:DWORD
	s_waitcnt lgkmcnt(0)
	v_mfma_f32_16x16x16f16 v[10:13], v[6:7], v[28:29], v[10:13]
	v_cvt_pkrtz_f16_f32 v6, v17, v19
	v_cvt_pkrtz_f16_f32 v7, v8, v20
	s_nop 1
	v_mfma_f32_16x16x16f16 v[6:9], v[6:7], v[30:31], v[10:13]
	s_and_saveexec_b64 s[2:3], s[8:9]
	s_cbranch_execz .LBB592_695
; %bb.690:
	s_movk_i32 s7, 0x80
	v_cmp_ne_u16_sdwa s[10:11], v2, s7 src0_sel:BYTE_0 src1_sel:DWORD
	v_bfrev_b32_e32 v15, 1
	s_and_saveexec_b64 s[8:9], s[10:11]
	s_cbranch_execz .LBB592_694
; %bb.691:
	s_movk_i32 s7, 0x7f
	v_and_b32_e32 v10, 0x7f, v2
	v_cmp_ne_u32_e32 vcc, s7, v10
	v_mov_b32_e32 v15, 0x7f800001
	s_and_saveexec_b64 s[10:11], vcc
	s_cbranch_execz .LBB592_693
; %bb.692:
	v_and_b32_e32 v11, 7, v2
	v_ffbh_u32_e32 v12, v11
	v_min_u32_e32 v15, 32, v12
	v_subrev_u32_e32 v12, 28, v15
	v_lshlrev_b64 v[12:13], v12, v[2:3]
	v_lshrrev_b32_e32 v14, 3, v10
	v_sub_u32_e32 v13, 29, v15
	v_and_b32_e32 v12, 7, v12
	v_cmp_gt_u32_e32 vcc, 8, v10
	v_cndmask_b32_e32 v10, v14, v13, vcc
	v_cndmask_b32_e32 v11, v11, v12, vcc
	v_lshlrev_b32_e32 v12, 24, v2
	v_bfrev_b32_e32 v13, 60
	v_lshlrev_b32_e32 v11, 20, v11
	v_and_b32_e32 v12, 0x80000000, v12
	v_lshl_add_u32 v10, v10, 23, v13
	v_or3_b32 v15, v12, v10, v11
.LBB592_693:
	s_or_b64 exec, exec, s[10:11]
.LBB592_694:
	s_or_b64 exec, exec, s[8:9]
.LBB592_695:
	s_or_b64 exec, exec, s[2:3]
	s_nop 3
	v_lshrrev_b16_e32 v10, 8, v2
	v_cmp_ne_u16_e32 vcc, 0, v10
	v_mov_b32_e32 v11, 0
	v_mov_b32_e32 v12, 0
	s_and_saveexec_b64 s[2:3], vcc
	s_cbranch_execz .LBB592_701
; %bb.696:
	s_movk_i32 s7, 0x80
	v_cmp_ne_u16_e32 vcc, s7, v10
	v_bfrev_b32_e32 v12, 1
	s_and_saveexec_b64 s[8:9], vcc
	s_cbranch_execz .LBB592_700
; %bb.697:
	s_movk_i32 s7, 0x7f
	v_and_b32_e32 v13, 0x7f, v10
	v_cmp_ne_u32_e32 vcc, s7, v13
	v_mov_b32_e32 v12, 0x7f800001
	s_and_saveexec_b64 s[10:11], vcc
	s_cbranch_execz .LBB592_699
; %bb.698:
	v_and_b32_e32 v12, 7, v10
	v_ffbh_u32_e32 v16, v12
	v_min_u32_e32 v18, 32, v16
	v_subrev_u32_e32 v16, 28, v18
	v_lshlrev_b64 v[16:17], v16, v[10:11]
	v_lshrrev_b32_e32 v14, 3, v13
	v_sub_u32_e32 v10, 29, v18
	v_and_b32_e32 v16, 7, v16
	v_cmp_gt_u32_e32 vcc, 8, v13
	v_cndmask_b32_e32 v10, v14, v10, vcc
	v_cndmask_b32_e32 v12, v12, v16, vcc
	v_lshlrev_b32_e32 v13, 16, v2
	v_bfrev_b32_e32 v14, 60
	v_lshlrev_b32_e32 v12, 20, v12
	v_and_b32_e32 v13, 0x80000000, v13
	v_lshl_add_u32 v10, v10, 23, v14
	v_or3_b32 v12, v13, v10, v12
.LBB592_699:
	s_or_b64 exec, exec, s[10:11]
.LBB592_700:
	s_or_b64 exec, exec, s[8:9]
.LBB592_701:
	s_or_b64 exec, exec, s[2:3]
	s_movk_i32 s2, 0xff
	v_and_b32_sdwa v13, v2, s2 dst_sel:DWORD dst_unused:UNUSED_PAD src0_sel:WORD_1 src1_sel:DWORD
	v_lshrrev_b32_e32 v10, 16, v2
	v_cmp_ne_u16_e32 vcc, 0, v13
	s_and_saveexec_b64 s[2:3], vcc
	s_cbranch_execz .LBB592_707
; %bb.702:
	s_movk_i32 s7, 0x80
	v_cmp_ne_u16_e32 vcc, s7, v13
	v_bfrev_b32_e32 v11, 1
	s_and_saveexec_b64 s[8:9], vcc
	s_cbranch_execz .LBB592_706
; %bb.703:
	v_bfe_u32 v13, v2, 16, 7
	s_movk_i32 s7, 0x7f
	v_cmp_ne_u32_e32 vcc, s7, v13
	v_mov_b32_e32 v11, 0x7f800001
	s_and_saveexec_b64 s[10:11], vcc
	s_cbranch_execz .LBB592_705
; %bb.704:
	v_and_b32_e32 v14, 7, v10
	v_ffbh_u32_e32 v11, v14
	v_min_u32_e32 v17, 32, v11
	v_subrev_u32_e32 v11, 28, v17
	v_lshlrev_b64 v[10:11], v11, v[10:11]
	v_lshrrev_b32_e32 v16, 3, v13
	v_sub_u32_e32 v11, 29, v17
	v_and_b32_e32 v10, 7, v10
	v_cmp_gt_u32_e32 vcc, 8, v13
	v_mov_b32_e32 v13, 24
	v_cndmask_b32_e32 v11, v16, v11, vcc
	v_cndmask_b32_e32 v10, v14, v10, vcc
	v_lshlrev_b32_sdwa v13, v13, v2 dst_sel:DWORD dst_unused:UNUSED_PAD src0_sel:DWORD src1_sel:WORD_1
	v_bfrev_b32_e32 v14, 60
	v_lshlrev_b32_e32 v10, 20, v10
	v_and_b32_e32 v13, 0x80000000, v13
	v_lshl_add_u32 v11, v11, 23, v14
	v_or3_b32 v11, v13, v11, v10
.LBB592_705:
	s_or_b64 exec, exec, s[10:11]
.LBB592_706:
	s_or_b64 exec, exec, s[8:9]
.LBB592_707:
	s_or_b64 exec, exec, s[2:3]
	s_mov_b32 s2, 0xffffff
	v_cmp_lt_u32_e32 vcc, s2, v2
	v_mov_b32_e32 v13, 0
	v_mov_b32_e32 v14, 0
	s_and_saveexec_b64 s[2:3], vcc
	s_cbranch_execz .LBB592_713
; %bb.708:
	v_lshrrev_b32_e32 v10, 24, v2
	s_movk_i32 s7, 0x80
	v_cmp_ne_u32_e32 vcc, s7, v10
	v_bfrev_b32_e32 v14, 1
	s_and_saveexec_b64 s[8:9], vcc
	s_cbranch_execz .LBB592_712
; %bb.709:
	v_bfe_u32 v2, v2, 24, 7
	s_movk_i32 s7, 0x7f
	v_cmp_ne_u32_e32 vcc, s7, v2
	v_mov_b32_e32 v14, 0x7f800001
	s_and_saveexec_b64 s[10:11], vcc
	s_cbranch_execz .LBB592_711
; %bb.710:
	v_and_b32_e32 v14, 7, v10
	v_ffbh_u32_e32 v16, v14
	v_min_u32_e32 v19, 32, v16
	v_subrev_u32_e32 v16, 28, v19
	v_lshlrev_b64 v[16:17], v16, v[10:11]
	v_lshrrev_b32_e32 v18, 3, v2
	v_sub_u32_e32 v17, 29, v19
	v_and_b32_e32 v16, 7, v16
	v_cmp_gt_u32_e32 vcc, 8, v2
	v_cndmask_b32_e32 v2, v18, v17, vcc
	v_cndmask_b32_e32 v14, v14, v16, vcc
	v_lshlrev_b32_e32 v10, 24, v10
	v_bfrev_b32_e32 v16, 60
	v_lshlrev_b32_e32 v14, 20, v14
	v_and_b32_e32 v10, 0x80000000, v10
	v_lshl_add_u32 v2, v2, 23, v16
	v_or3_b32 v14, v10, v2, v14
.LBB592_711:
	s_or_b64 exec, exec, s[10:11]
.LBB592_712:
	s_or_b64 exec, exec, s[8:9]
.LBB592_713:
	s_or_b64 exec, exec, s[2:3]
	v_cmp_ne_u16_sdwa s[8:9], v3, v13 src0_sel:BYTE_0 src1_sel:DWORD
	s_and_saveexec_b64 s[2:3], s[8:9]
	s_cbranch_execz .LBB592_719
; %bb.714:
	s_movk_i32 s7, 0x80
	v_cmp_ne_u16_sdwa s[10:11], v3, s7 src0_sel:BYTE_0 src1_sel:DWORD
	v_bfrev_b32_e32 v13, 1
	s_and_saveexec_b64 s[8:9], s[10:11]
	s_cbranch_execz .LBB592_718
; %bb.715:
	s_movk_i32 s7, 0x7f
	v_and_b32_e32 v2, 0x7f, v3
	v_cmp_ne_u32_e32 vcc, s7, v2
	v_mov_b32_e32 v13, 0x7f800001
	s_and_saveexec_b64 s[10:11], vcc
	s_cbranch_execz .LBB592_717
; %bb.716:
	v_and_b32_e32 v13, 7, v3
	v_ffbh_u32_e32 v16, v13
	v_min_u32_e32 v19, 32, v16
	v_mov_b32_e32 v10, v3
	v_subrev_u32_e32 v16, 28, v19
	v_lshlrev_b64 v[16:17], v16, v[10:11]
	v_lshrrev_b32_e32 v18, 3, v2
	v_sub_u32_e32 v10, 29, v19
	v_and_b32_e32 v16, 7, v16
	v_cmp_gt_u32_e32 vcc, 8, v2
	v_cndmask_b32_e32 v2, v18, v10, vcc
	v_cndmask_b32_e32 v10, v13, v16, vcc
	v_lshlrev_b32_e32 v13, 24, v3
	v_bfrev_b32_e32 v16, 60
	v_lshlrev_b32_e32 v10, 20, v10
	v_and_b32_e32 v13, 0x80000000, v13
	v_lshl_add_u32 v2, v2, 23, v16
	v_or3_b32 v13, v13, v2, v10
.LBB592_717:
	s_or_b64 exec, exec, s[10:11]
.LBB592_718:
	s_or_b64 exec, exec, s[8:9]
.LBB592_719:
	s_or_b64 exec, exec, s[2:3]
	v_lshrrev_b16_e32 v2, 8, v3
	v_cmp_ne_u16_e32 vcc, 0, v2
	v_mov_b32_e32 v16, 0
	v_mov_b32_e32 v17, 0
	s_and_saveexec_b64 s[2:3], vcc
	s_cbranch_execz .LBB592_725
; %bb.720:
	s_movk_i32 s7, 0x80
	v_cmp_ne_u16_e32 vcc, s7, v2
	v_bfrev_b32_e32 v17, 1
	s_and_saveexec_b64 s[8:9], vcc
	s_cbranch_execz .LBB592_724
; %bb.721:
	s_movk_i32 s7, 0x7f
	v_and_b32_e32 v10, 0x7f, v2
	v_cmp_ne_u32_e32 vcc, s7, v10
	v_mov_b32_e32 v17, 0x7f800001
	s_and_saveexec_b64 s[10:11], vcc
	s_cbranch_execz .LBB592_723
; %bb.722:
	v_and_b32_e32 v17, 7, v2
	v_ffbh_u32_e32 v18, v17
	v_min_u32_e32 v21, 32, v18
	v_subrev_u32_e32 v18, 28, v21
	v_lshlrev_b64 v[18:19], v18, v[2:3]
	v_lshrrev_b32_e32 v20, 3, v10
	v_sub_u32_e32 v2, 29, v21
	v_and_b32_e32 v18, 7, v18
	v_cmp_gt_u32_e32 vcc, 8, v10
	v_cndmask_b32_e32 v2, v20, v2, vcc
	v_cndmask_b32_e32 v10, v17, v18, vcc
	v_lshlrev_b32_e32 v17, 16, v3
	v_bfrev_b32_e32 v18, 60
	v_lshlrev_b32_e32 v10, 20, v10
	v_and_b32_e32 v17, 0x80000000, v17
	v_lshl_add_u32 v2, v2, 23, v18
	v_or3_b32 v17, v17, v2, v10
.LBB592_723:
	s_or_b64 exec, exec, s[10:11]
.LBB592_724:
	s_or_b64 exec, exec, s[8:9]
.LBB592_725:
	s_or_b64 exec, exec, s[2:3]
	s_movk_i32 s2, 0xff
	v_and_b32_sdwa v10, v3, s2 dst_sel:DWORD dst_unused:UNUSED_PAD src0_sel:WORD_1 src1_sel:DWORD
	v_lshrrev_b32_e32 v2, 16, v3
	v_cmp_ne_u16_e32 vcc, 0, v10
	s_and_saveexec_b64 s[2:3], vcc
	s_cbranch_execz .LBB592_731
; %bb.726:
	s_movk_i32 s7, 0x80
	v_cmp_ne_u16_e32 vcc, s7, v10
	v_bfrev_b32_e32 v16, 1
	s_and_saveexec_b64 s[8:9], vcc
	s_cbranch_execz .LBB592_730
; %bb.727:
	v_bfe_u32 v10, v3, 16, 7
	s_movk_i32 s7, 0x7f
	v_cmp_ne_u32_e32 vcc, s7, v10
	v_mov_b32_e32 v16, 0x7f800001
	s_and_saveexec_b64 s[10:11], vcc
	s_cbranch_execz .LBB592_729
; %bb.728:
	v_and_b32_e32 v16, 7, v2
	v_ffbh_u32_e32 v18, v16
	v_min_u32_e32 v21, 32, v18
	v_subrev_u32_e32 v18, 28, v21
	v_lshlrev_b64 v[18:19], v18, v[2:3]
	v_and_b32_e32 v18, 7, v18
	v_cmp_gt_u32_e32 vcc, 8, v10
	v_lshrrev_b32_e32 v20, 3, v10
	v_sub_u32_e32 v2, 29, v21
	v_cndmask_b32_e32 v10, v16, v18, vcc
	v_mov_b32_e32 v16, 24
	v_cndmask_b32_e32 v2, v20, v2, vcc
	v_lshlrev_b32_sdwa v16, v16, v3 dst_sel:DWORD dst_unused:UNUSED_PAD src0_sel:DWORD src1_sel:WORD_1
	v_bfrev_b32_e32 v18, 60
	v_lshlrev_b32_e32 v10, 20, v10
	v_and_b32_e32 v16, 0x80000000, v16
	v_lshl_add_u32 v2, v2, 23, v18
	v_or3_b32 v16, v16, v2, v10
.LBB592_729:
	s_or_b64 exec, exec, s[10:11]
.LBB592_730:
	s_or_b64 exec, exec, s[8:9]
.LBB592_731:
	s_or_b64 exec, exec, s[2:3]
	s_mov_b32 s2, 0xffffff
	v_cmp_lt_u32_e32 vcc, s2, v3
	v_mov_b32_e32 v10, 0
	v_mov_b32_e32 v18, 0
	s_and_saveexec_b64 s[2:3], vcc
	s_cbranch_execz .LBB592_737
; %bb.732:
	v_lshrrev_b32_e32 v2, 24, v3
	s_movk_i32 s7, 0x80
	v_cmp_ne_u32_e32 vcc, s7, v2
	v_bfrev_b32_e32 v18, 1
	s_and_saveexec_b64 s[8:9], vcc
	s_cbranch_execz .LBB592_736
; %bb.733:
	v_bfe_u32 v3, v3, 24, 7
	s_movk_i32 s7, 0x7f
	v_cmp_ne_u32_e32 vcc, s7, v3
	v_mov_b32_e32 v18, 0x7f800001
	s_and_saveexec_b64 s[10:11], vcc
	s_cbranch_execz .LBB592_735
; %bb.734:
	v_and_b32_e32 v20, 7, v2
	v_ffbh_u32_e32 v18, v20
	v_min_u32_e32 v23, 32, v18
	v_subrev_u32_e32 v18, 28, v23
	v_lshlrev_b64 v[18:19], v18, v[2:3]
	v_lshrrev_b32_e32 v21, 3, v3
	v_sub_u32_e32 v19, 29, v23
	v_and_b32_e32 v18, 7, v18
	v_cmp_gt_u32_e32 vcc, 8, v3
	v_cndmask_b32_e32 v3, v21, v19, vcc
	v_cndmask_b32_e32 v18, v20, v18, vcc
	v_lshlrev_b32_e32 v2, 24, v2
	v_bfrev_b32_e32 v19, 60
	v_lshlrev_b32_e32 v18, 20, v18
	v_and_b32_e32 v2, 0x80000000, v2
	v_lshl_add_u32 v3, v3, 23, v19
	v_or3_b32 v18, v2, v3, v18
.LBB592_735:
	s_or_b64 exec, exec, s[10:11]
.LBB592_736:
	s_or_b64 exec, exec, s[8:9]
.LBB592_737:
	s_or_b64 exec, exec, s[2:3]
	v_cvt_pkrtz_f16_f32 v2, v15, v12
	v_cvt_pkrtz_f16_f32 v3, v11, v14
	ds_read_b128 v[28:31], v22 offset:6144
	v_cmp_ne_u16_sdwa s[8:9], v4, v10 src0_sel:BYTE_0 src1_sel:DWORD
	s_waitcnt lgkmcnt(0)
	v_mfma_f32_16x16x16f16 v[6:9], v[2:3], v[28:29], v[6:9]
	v_cvt_pkrtz_f16_f32 v2, v13, v17
	v_cvt_pkrtz_f16_f32 v3, v16, v18
	s_nop 1
	v_mfma_f32_16x16x16f16 v[6:9], v[2:3], v[30:31], v[6:9]
	s_and_saveexec_b64 s[2:3], s[8:9]
	s_cbranch_execz .LBB592_743
; %bb.738:
	s_movk_i32 s7, 0x80
	v_cmp_ne_u16_sdwa s[10:11], v4, s7 src0_sel:BYTE_0 src1_sel:DWORD
	v_bfrev_b32_e32 v10, 1
	s_and_saveexec_b64 s[8:9], s[10:11]
	s_cbranch_execz .LBB592_742
; %bb.739:
	s_movk_i32 s7, 0x7f
	v_and_b32_e32 v2, 0x7f, v4
	v_cmp_ne_u32_e32 vcc, s7, v2
	v_mov_b32_e32 v10, 0x7f800001
	s_and_saveexec_b64 s[10:11], vcc
	s_cbranch_execz .LBB592_741
; %bb.740:
	v_and_b32_e32 v3, 7, v4
	v_ffbh_u32_e32 v10, v3
	v_min_u32_e32 v13, 32, v10
	v_subrev_u32_e32 v10, 28, v13
	v_lshlrev_b64 v[10:11], v10, v[4:5]
	v_lshrrev_b32_e32 v12, 3, v2
	v_sub_u32_e32 v11, 29, v13
	v_and_b32_e32 v10, 7, v10
	v_cmp_gt_u32_e32 vcc, 8, v2
	v_cndmask_b32_e32 v2, v12, v11, vcc
	v_cndmask_b32_e32 v3, v3, v10, vcc
	v_lshlrev_b32_e32 v10, 24, v4
	v_bfrev_b32_e32 v11, 60
	v_lshlrev_b32_e32 v3, 20, v3
	v_and_b32_e32 v10, 0x80000000, v10
	v_lshl_add_u32 v2, v2, 23, v11
	v_or3_b32 v10, v10, v2, v3
.LBB592_741:
	s_or_b64 exec, exec, s[10:11]
.LBB592_742:
	s_or_b64 exec, exec, s[8:9]
.LBB592_743:
	s_or_b64 exec, exec, s[2:3]
	v_lshrrev_b16_e32 v2, 8, v4
	v_cmp_ne_u16_e32 vcc, 0, v2
	v_mov_b32_e32 v3, 0
	v_mov_b32_e32 v11, 0
	s_and_saveexec_b64 s[2:3], vcc
	s_cbranch_execz .LBB592_749
; %bb.744:
	s_movk_i32 s7, 0x80
	v_cmp_ne_u16_e32 vcc, s7, v2
	v_bfrev_b32_e32 v11, 1
	s_and_saveexec_b64 s[8:9], vcc
	s_cbranch_execz .LBB592_748
; %bb.745:
	s_movk_i32 s7, 0x7f
	v_and_b32_e32 v12, 0x7f, v2
	v_cmp_ne_u32_e32 vcc, s7, v12
	v_mov_b32_e32 v11, 0x7f800001
	s_and_saveexec_b64 s[10:11], vcc
	s_cbranch_execz .LBB592_747
; %bb.746:
	v_and_b32_e32 v11, 7, v2
	v_ffbh_u32_e32 v14, v11
	v_min_u32_e32 v16, 32, v14
	v_subrev_u32_e32 v14, 28, v16
	v_lshlrev_b64 v[14:15], v14, v[2:3]
	v_lshrrev_b32_e32 v13, 3, v12
	v_sub_u32_e32 v2, 29, v16
	v_and_b32_e32 v14, 7, v14
	v_cmp_gt_u32_e32 vcc, 8, v12
	v_cndmask_b32_e32 v2, v13, v2, vcc
	v_cndmask_b32_e32 v11, v11, v14, vcc
	v_lshlrev_b32_e32 v12, 16, v4
	v_bfrev_b32_e32 v13, 60
	v_lshlrev_b32_e32 v11, 20, v11
	v_and_b32_e32 v12, 0x80000000, v12
	v_lshl_add_u32 v2, v2, 23, v13
	v_or3_b32 v11, v12, v2, v11
.LBB592_747:
	s_or_b64 exec, exec, s[10:11]
.LBB592_748:
	s_or_b64 exec, exec, s[8:9]
.LBB592_749:
	s_or_b64 exec, exec, s[2:3]
	s_movk_i32 s2, 0xff
	v_and_b32_sdwa v12, v4, s2 dst_sel:DWORD dst_unused:UNUSED_PAD src0_sel:WORD_1 src1_sel:DWORD
	v_lshrrev_b32_e32 v2, 16, v4
	v_cmp_ne_u16_e32 vcc, 0, v12
	s_and_saveexec_b64 s[2:3], vcc
	s_cbranch_execz .LBB592_755
; %bb.750:
	s_movk_i32 s7, 0x80
	v_cmp_ne_u16_e32 vcc, s7, v12
	v_bfrev_b32_e32 v3, 1
	s_and_saveexec_b64 s[8:9], vcc
	s_cbranch_execz .LBB592_754
; %bb.751:
	v_bfe_u32 v12, v4, 16, 7
	s_movk_i32 s7, 0x7f
	v_cmp_ne_u32_e32 vcc, s7, v12
	v_mov_b32_e32 v3, 0x7f800001
	s_and_saveexec_b64 s[10:11], vcc
	s_cbranch_execz .LBB592_753
; %bb.752:
	v_and_b32_e32 v13, 7, v2
	v_ffbh_u32_e32 v3, v13
	v_min_u32_e32 v15, 32, v3
	v_subrev_u32_e32 v3, 28, v15
	v_lshlrev_b64 v[2:3], v3, v[2:3]
	v_lshrrev_b32_e32 v14, 3, v12
	v_sub_u32_e32 v3, 29, v15
	v_and_b32_e32 v2, 7, v2
	v_cmp_gt_u32_e32 vcc, 8, v12
	v_mov_b32_e32 v12, 24
	v_cndmask_b32_e32 v3, v14, v3, vcc
	v_cndmask_b32_e32 v2, v13, v2, vcc
	v_lshlrev_b32_sdwa v12, v12, v4 dst_sel:DWORD dst_unused:UNUSED_PAD src0_sel:DWORD src1_sel:WORD_1
	v_bfrev_b32_e32 v13, 60
	v_lshlrev_b32_e32 v2, 20, v2
	v_and_b32_e32 v12, 0x80000000, v12
	v_lshl_add_u32 v3, v3, 23, v13
	v_or3_b32 v3, v12, v3, v2
.LBB592_753:
	s_or_b64 exec, exec, s[10:11]
.LBB592_754:
	s_or_b64 exec, exec, s[8:9]
.LBB592_755:
	s_or_b64 exec, exec, s[2:3]
	s_mov_b32 s2, 0xffffff
	v_cmp_lt_u32_e32 vcc, s2, v4
	v_mov_b32_e32 v12, 0
	v_mov_b32_e32 v13, 0
	s_and_saveexec_b64 s[2:3], vcc
	s_cbranch_execz .LBB592_761
; %bb.756:
	v_lshrrev_b32_e32 v2, 24, v4
	s_movk_i32 s7, 0x80
	v_cmp_ne_u32_e32 vcc, s7, v2
	v_bfrev_b32_e32 v13, 1
	s_and_saveexec_b64 s[8:9], vcc
	s_cbranch_execz .LBB592_760
; %bb.757:
	v_bfe_u32 v4, v4, 24, 7
	s_movk_i32 s7, 0x7f
	v_cmp_ne_u32_e32 vcc, s7, v4
	v_mov_b32_e32 v13, 0x7f800001
	s_and_saveexec_b64 s[10:11], vcc
	s_cbranch_execz .LBB592_759
; %bb.758:
	v_and_b32_e32 v13, 7, v2
	v_ffbh_u32_e32 v14, v13
	v_min_u32_e32 v17, 32, v14
	v_subrev_u32_e32 v14, 28, v17
	v_lshlrev_b64 v[14:15], v14, v[2:3]
	v_lshrrev_b32_e32 v16, 3, v4
	v_sub_u32_e32 v15, 29, v17
	v_and_b32_e32 v14, 7, v14
	v_cmp_gt_u32_e32 vcc, 8, v4
	v_cndmask_b32_e32 v4, v16, v15, vcc
	v_cndmask_b32_e32 v13, v13, v14, vcc
	v_lshlrev_b32_e32 v2, 24, v2
	v_bfrev_b32_e32 v14, 60
	v_lshlrev_b32_e32 v13, 20, v13
	v_and_b32_e32 v2, 0x80000000, v2
	v_lshl_add_u32 v4, v4, 23, v14
	v_or3_b32 v13, v2, v4, v13
.LBB592_759:
	s_or_b64 exec, exec, s[10:11]
.LBB592_760:
	s_or_b64 exec, exec, s[8:9]
.LBB592_761:
	s_or_b64 exec, exec, s[2:3]
	v_cmp_ne_u16_sdwa s[8:9], v5, v12 src0_sel:BYTE_0 src1_sel:DWORD
	s_and_saveexec_b64 s[2:3], s[8:9]
	s_cbranch_execz .LBB592_767
; %bb.762:
	s_movk_i32 s7, 0x80
	v_cmp_ne_u16_sdwa s[10:11], v5, s7 src0_sel:BYTE_0 src1_sel:DWORD
	v_bfrev_b32_e32 v12, 1
	s_and_saveexec_b64 s[8:9], s[10:11]
	s_cbranch_execz .LBB592_766
; %bb.763:
	s_movk_i32 s7, 0x7f
	v_and_b32_e32 v2, 0x7f, v5
	v_cmp_ne_u32_e32 vcc, s7, v2
	v_mov_b32_e32 v12, 0x7f800001
	s_and_saveexec_b64 s[10:11], vcc
	s_cbranch_execz .LBB592_765
; %bb.764:
	v_and_b32_e32 v12, 7, v5
	v_ffbh_u32_e32 v14, v12
	v_min_u32_e32 v17, 32, v14
	v_mov_b32_e32 v4, v5
	v_subrev_u32_e32 v14, 28, v17
	v_lshlrev_b64 v[14:15], v14, v[4:5]
	v_lshrrev_b32_e32 v16, 3, v2
	v_sub_u32_e32 v4, 29, v17
	v_and_b32_e32 v14, 7, v14
	v_cmp_gt_u32_e32 vcc, 8, v2
	v_cndmask_b32_e32 v2, v16, v4, vcc
	v_cndmask_b32_e32 v4, v12, v14, vcc
	v_lshlrev_b32_e32 v12, 24, v5
	v_bfrev_b32_e32 v14, 60
	v_lshlrev_b32_e32 v4, 20, v4
	v_and_b32_e32 v12, 0x80000000, v12
	v_lshl_add_u32 v2, v2, 23, v14
	v_or3_b32 v12, v12, v2, v4
.LBB592_765:
	s_or_b64 exec, exec, s[10:11]
.LBB592_766:
	s_or_b64 exec, exec, s[8:9]
.LBB592_767:
	s_or_b64 exec, exec, s[2:3]
	v_lshrrev_b16_e32 v2, 8, v5
	v_cmp_ne_u16_e32 vcc, 0, v2
	v_mov_b32_e32 v4, 0
	v_mov_b32_e32 v14, 0
	s_and_saveexec_b64 s[2:3], vcc
	s_cbranch_execz .LBB592_773
; %bb.768:
	s_movk_i32 s7, 0x80
	v_cmp_ne_u16_e32 vcc, s7, v2
	v_bfrev_b32_e32 v14, 1
	s_and_saveexec_b64 s[8:9], vcc
	s_cbranch_execz .LBB592_772
; %bb.769:
	s_movk_i32 s7, 0x7f
	v_and_b32_e32 v15, 0x7f, v2
	v_cmp_ne_u32_e32 vcc, s7, v15
	v_mov_b32_e32 v14, 0x7f800001
	s_and_saveexec_b64 s[10:11], vcc
	s_cbranch_execz .LBB592_771
; %bb.770:
	v_and_b32_e32 v14, 7, v2
	v_ffbh_u32_e32 v16, v14
	v_min_u32_e32 v19, 32, v16
	v_subrev_u32_e32 v16, 28, v19
	v_lshlrev_b64 v[16:17], v16, v[2:3]
	v_lshrrev_b32_e32 v18, 3, v15
	v_sub_u32_e32 v2, 29, v19
	v_and_b32_e32 v16, 7, v16
	v_cmp_gt_u32_e32 vcc, 8, v15
	v_cndmask_b32_e32 v2, v18, v2, vcc
	v_cndmask_b32_e32 v14, v14, v16, vcc
	v_lshlrev_b32_e32 v15, 16, v5
	v_bfrev_b32_e32 v16, 60
	v_lshlrev_b32_e32 v14, 20, v14
	v_and_b32_e32 v15, 0x80000000, v15
	v_lshl_add_u32 v2, v2, 23, v16
	v_or3_b32 v14, v15, v2, v14
.LBB592_771:
	s_or_b64 exec, exec, s[10:11]
.LBB592_772:
	s_or_b64 exec, exec, s[8:9]
.LBB592_773:
	s_or_b64 exec, exec, s[2:3]
	s_movk_i32 s2, 0xff
	v_and_b32_sdwa v15, v5, s2 dst_sel:DWORD dst_unused:UNUSED_PAD src0_sel:WORD_1 src1_sel:DWORD
	v_lshrrev_b32_e32 v2, 16, v5
	v_cmp_ne_u16_e32 vcc, 0, v15
	s_and_saveexec_b64 s[2:3], vcc
	s_cbranch_execz .LBB592_779
; %bb.774:
	s_movk_i32 s7, 0x80
	v_cmp_ne_u16_e32 vcc, s7, v15
	v_bfrev_b32_e32 v4, 1
	s_and_saveexec_b64 s[8:9], vcc
	s_cbranch_execz .LBB592_778
; %bb.775:
	v_bfe_u32 v15, v5, 16, 7
	s_movk_i32 s7, 0x7f
	v_cmp_ne_u32_e32 vcc, s7, v15
	v_mov_b32_e32 v4, 0x7f800001
	s_and_saveexec_b64 s[10:11], vcc
	s_cbranch_execz .LBB592_777
; %bb.776:
	v_and_b32_e32 v4, 7, v2
	v_ffbh_u32_e32 v16, v4
	v_min_u32_e32 v19, 32, v16
	v_subrev_u32_e32 v16, 28, v19
	v_lshlrev_b64 v[16:17], v16, v[2:3]
	v_lshrrev_b32_e32 v18, 3, v15
	v_sub_u32_e32 v2, 29, v19
	v_and_b32_e32 v16, 7, v16
	v_cmp_gt_u32_e32 vcc, 8, v15
	v_mov_b32_e32 v15, 24
	v_cndmask_b32_e32 v2, v18, v2, vcc
	v_cndmask_b32_e32 v4, v4, v16, vcc
	v_lshlrev_b32_sdwa v15, v15, v5 dst_sel:DWORD dst_unused:UNUSED_PAD src0_sel:DWORD src1_sel:WORD_1
	v_bfrev_b32_e32 v16, 60
	v_lshlrev_b32_e32 v4, 20, v4
	v_and_b32_e32 v15, 0x80000000, v15
	v_lshl_add_u32 v2, v2, 23, v16
	v_or3_b32 v4, v15, v2, v4
.LBB592_777:
	s_or_b64 exec, exec, s[10:11]
.LBB592_778:
	s_or_b64 exec, exec, s[8:9]
.LBB592_779:
	s_or_b64 exec, exec, s[2:3]
	s_mov_b32 s2, 0xffffff
	v_cmp_lt_u32_e32 vcc, s2, v5
	v_mov_b32_e32 v15, 0
	s_and_saveexec_b64 s[2:3], vcc
	s_cbranch_execz .LBB592_785
; %bb.780:
	v_lshrrev_b32_e32 v2, 24, v5
	s_movk_i32 s7, 0x80
	v_cmp_ne_u32_e32 vcc, s7, v2
	v_bfrev_b32_e32 v15, 1
	s_and_saveexec_b64 s[8:9], vcc
	s_cbranch_execz .LBB592_784
; %bb.781:
	v_bfe_u32 v5, v5, 24, 7
	s_movk_i32 s7, 0x7f
	v_cmp_ne_u32_e32 vcc, s7, v5
	v_mov_b32_e32 v15, 0x7f800001
	s_and_saveexec_b64 s[10:11], vcc
	s_cbranch_execz .LBB592_783
; %bb.782:
	v_and_b32_e32 v15, 7, v2
	v_ffbh_u32_e32 v16, v15
	v_min_u32_e32 v19, 32, v16
	v_subrev_u32_e32 v16, 28, v19
	v_lshlrev_b64 v[16:17], v16, v[2:3]
	v_lshrrev_b32_e32 v18, 3, v5
	v_sub_u32_e32 v17, 29, v19
	v_and_b32_e32 v16, 7, v16
	v_cmp_gt_u32_e32 vcc, 8, v5
	v_cndmask_b32_e32 v5, v18, v17, vcc
	v_cndmask_b32_e32 v15, v15, v16, vcc
	v_lshlrev_b32_e32 v2, 24, v2
	v_bfrev_b32_e32 v16, 60
	v_lshlrev_b32_e32 v15, 20, v15
	v_and_b32_e32 v2, 0x80000000, v2
	v_lshl_add_u32 v5, v5, 23, v16
	v_or3_b32 v15, v2, v5, v15
.LBB592_783:
	s_or_b64 exec, exec, s[10:11]
.LBB592_784:
	s_or_b64 exec, exec, s[8:9]
.LBB592_785:
	s_or_b64 exec, exec, s[2:3]
	v_cvt_pkrtz_f16_f32 v2, v10, v11
	v_cvt_pkrtz_f16_f32 v3, v3, v13
	ds_read_b128 v[16:19], v22 offset:6160
	s_load_dword s2, s[42:43], 0x0
	v_cmp_gt_u32_e32 vcc, 64, v0
	s_waitcnt lgkmcnt(0)
	v_mfma_f32_16x16x16f16 v[6:9], v[2:3], v[16:17], v[6:9]
	v_cvt_pkrtz_f16_f32 v2, v12, v14
	v_cvt_pkrtz_f16_f32 v3, v4, v15
	s_barrier
	s_nop 0
	v_mfma_f32_16x16x16f16 v[2:5], v[2:3], v[18:19], v[6:9]
	s_nop 7
	s_nop 2
	v_pk_mul_f32 v[4:5], v[4:5], s[2:3] op_sel_hi:[1,0]
	v_pk_mul_f32 v[2:3], v[2:3], s[2:3] op_sel_hi:[1,0]
	v_cvt_f16_f32_e32 v2, v2
	v_cvt_f16_f32_e32 v3, v3
	;; [unrolled: 1-line block ×4, first 2 shown]
	v_cmp_ne_u32_e64 s[2:3], 3, v47
	s_and_b64 s[2:3], s[2:3], vcc
	v_pack_b32_f16 v2, v2, v3
	v_pack_b32_f16 v3, v4, v5
	s_and_b64 s[0:1], s[2:3], s[0:1]
	ds_write_b64 v26, v[2:3]
	s_waitcnt lgkmcnt(0)
	s_barrier
	s_and_saveexec_b64 s[2:3], s[0:1]
	s_cbranch_execz .LBB592_787
; %bb.786:
	s_load_dwordx2 s[0:1], s[4:5], 0x68
	s_mul_i32 s2, s12, s6
	s_lshl_b32 s4, s44, 6
	s_mul_hi_u32 s3, s2, s4
	s_mul_i32 s2, s2, s4
	s_lshl_b64 s[2:3], s[2:3], 1
	s_waitcnt lgkmcnt(0)
	s_add_u32 s2, s0, s2
	v_lshlrev_b32_e32 v0, 10, v0
	s_addc_u32 s3, s1, s3
	s_lshl_b32 s0, s24, 6
	s_mov_b32 s1, 0
	v_and_b32_e32 v0, 0x1800, v0
	v_lshlrev_b32_e32 v2, 5, v47
	v_and_b32_e32 v3, 16, v48
	s_lshl_b64 s[0:1], s[0:1], 1
	v_or3_b32 v0, v0, v2, v3
	s_add_u32 s2, s2, s0
	ds_read_b128 v[2:5], v0
	s_addc_u32 s3, s3, s1
	v_mad_u64_u32 v[0:1], s[0:1], s4, v1, 0
	v_lshlrev_b64 v[0:1], 1, v[0:1]
	v_mov_b32_e32 v6, s3
	v_add_co_u32_e32 v0, vcc, s2, v0
	v_addc_co_u32_e32 v1, vcc, v6, v1, vcc
	v_add_co_u32_e32 v0, vcc, v0, v46
	v_addc_co_u32_e32 v1, vcc, 0, v1, vcc
	s_waitcnt lgkmcnt(0)
	global_store_dwordx4 v[0:1], v[2:5], off
.LBB592_787:
	s_endpgm
	.section	.rodata,"a",@progbits
	.p2align	6, 0x0
	.amdhsa_kernel _Z39paged_attention_ll4mi_QKV_mfma16_kernelIDF16_hLN4vllm18Fp8KVCacheDataTypeE1EDF16_Li32ELi64ELi256ELb1ELi3EL8MFMAType0EEvPKT_PKT0_S8_ifPKiSA_SA_iPKfiiiPfSD_PS3_PT2_iSC_SC_
		.amdhsa_group_segment_fixed_size 8192
		.amdhsa_private_segment_fixed_size 0
		.amdhsa_kernarg_size 400
		.amdhsa_user_sgpr_count 6
		.amdhsa_user_sgpr_private_segment_buffer 1
		.amdhsa_user_sgpr_dispatch_ptr 0
		.amdhsa_user_sgpr_queue_ptr 0
		.amdhsa_user_sgpr_kernarg_segment_ptr 1
		.amdhsa_user_sgpr_dispatch_id 0
		.amdhsa_user_sgpr_flat_scratch_init 0
		.amdhsa_user_sgpr_kernarg_preload_length 0
		.amdhsa_user_sgpr_kernarg_preload_offset 0
		.amdhsa_user_sgpr_private_segment_size 0
		.amdhsa_uses_dynamic_stack 0
		.amdhsa_system_sgpr_private_segment_wavefront_offset 0
		.amdhsa_system_sgpr_workgroup_id_x 1
		.amdhsa_system_sgpr_workgroup_id_y 1
		.amdhsa_system_sgpr_workgroup_id_z 1
		.amdhsa_system_sgpr_workgroup_info 0
		.amdhsa_system_vgpr_workitem_id 0
		.amdhsa_next_free_vgpr 64
		.amdhsa_next_free_sgpr 47
		.amdhsa_accum_offset 64
		.amdhsa_reserve_vcc 1
		.amdhsa_reserve_flat_scratch 0
		.amdhsa_float_round_mode_32 0
		.amdhsa_float_round_mode_16_64 0
		.amdhsa_float_denorm_mode_32 3
		.amdhsa_float_denorm_mode_16_64 3
		.amdhsa_dx10_clamp 1
		.amdhsa_ieee_mode 1
		.amdhsa_fp16_overflow 0
		.amdhsa_tg_split 0
		.amdhsa_exception_fp_ieee_invalid_op 0
		.amdhsa_exception_fp_denorm_src 0
		.amdhsa_exception_fp_ieee_div_zero 0
		.amdhsa_exception_fp_ieee_overflow 0
		.amdhsa_exception_fp_ieee_underflow 0
		.amdhsa_exception_fp_ieee_inexact 0
		.amdhsa_exception_int_div_zero 0
	.end_amdhsa_kernel
	.section	.text._Z39paged_attention_ll4mi_QKV_mfma16_kernelIDF16_hLN4vllm18Fp8KVCacheDataTypeE1EDF16_Li32ELi64ELi256ELb1ELi3EL8MFMAType0EEvPKT_PKT0_S8_ifPKiSA_SA_iPKfiiiPfSD_PS3_PT2_iSC_SC_,"axG",@progbits,_Z39paged_attention_ll4mi_QKV_mfma16_kernelIDF16_hLN4vllm18Fp8KVCacheDataTypeE1EDF16_Li32ELi64ELi256ELb1ELi3EL8MFMAType0EEvPKT_PKT0_S8_ifPKiSA_SA_iPKfiiiPfSD_PS3_PT2_iSC_SC_,comdat
.Lfunc_end592:
	.size	_Z39paged_attention_ll4mi_QKV_mfma16_kernelIDF16_hLN4vllm18Fp8KVCacheDataTypeE1EDF16_Li32ELi64ELi256ELb1ELi3EL8MFMAType0EEvPKT_PKT0_S8_ifPKiSA_SA_iPKfiiiPfSD_PS3_PT2_iSC_SC_, .Lfunc_end592-_Z39paged_attention_ll4mi_QKV_mfma16_kernelIDF16_hLN4vllm18Fp8KVCacheDataTypeE1EDF16_Li32ELi64ELi256ELb1ELi3EL8MFMAType0EEvPKT_PKT0_S8_ifPKiSA_SA_iPKfiiiPfSD_PS3_PT2_iSC_SC_
                                        ; -- End function
	.section	.AMDGPU.csdata,"",@progbits
; Kernel info:
; codeLenInByte = 27292
; NumSgprs: 51
; NumVgprs: 64
; NumAgprs: 0
; TotalNumVgprs: 64
; ScratchSize: 0
; MemoryBound: 0
; FloatMode: 240
; IeeeMode: 1
; LDSByteSize: 8192 bytes/workgroup (compile time only)
; SGPRBlocks: 6
; VGPRBlocks: 7
; NumSGPRsForWavesPerEU: 51
; NumVGPRsForWavesPerEU: 64
; AccumOffset: 64
; Occupancy: 8
; WaveLimiterHint : 1
; COMPUTE_PGM_RSRC2:SCRATCH_EN: 0
; COMPUTE_PGM_RSRC2:USER_SGPR: 6
; COMPUTE_PGM_RSRC2:TRAP_HANDLER: 0
; COMPUTE_PGM_RSRC2:TGID_X_EN: 1
; COMPUTE_PGM_RSRC2:TGID_Y_EN: 1
; COMPUTE_PGM_RSRC2:TGID_Z_EN: 1
; COMPUTE_PGM_RSRC2:TIDIG_COMP_CNT: 0
; COMPUTE_PGM_RSRC3_GFX90A:ACCUM_OFFSET: 15
; COMPUTE_PGM_RSRC3_GFX90A:TG_SPLIT: 0
	.section	.text._Z39paged_attention_ll4mi_QKV_mfma16_kernelIDF16_hLN4vllm18Fp8KVCacheDataTypeE1EDF16_Li32ELi64ELi256ELb1ELi4EL8MFMAType0EEvPKT_PKT0_S8_ifPKiSA_SA_iPKfiiiPfSD_PS3_PT2_iSC_SC_,"axG",@progbits,_Z39paged_attention_ll4mi_QKV_mfma16_kernelIDF16_hLN4vllm18Fp8KVCacheDataTypeE1EDF16_Li32ELi64ELi256ELb1ELi4EL8MFMAType0EEvPKT_PKT0_S8_ifPKiSA_SA_iPKfiiiPfSD_PS3_PT2_iSC_SC_,comdat
	.protected	_Z39paged_attention_ll4mi_QKV_mfma16_kernelIDF16_hLN4vllm18Fp8KVCacheDataTypeE1EDF16_Li32ELi64ELi256ELb1ELi4EL8MFMAType0EEvPKT_PKT0_S8_ifPKiSA_SA_iPKfiiiPfSD_PS3_PT2_iSC_SC_ ; -- Begin function _Z39paged_attention_ll4mi_QKV_mfma16_kernelIDF16_hLN4vllm18Fp8KVCacheDataTypeE1EDF16_Li32ELi64ELi256ELb1ELi4EL8MFMAType0EEvPKT_PKT0_S8_ifPKiSA_SA_iPKfiiiPfSD_PS3_PT2_iSC_SC_
	.globl	_Z39paged_attention_ll4mi_QKV_mfma16_kernelIDF16_hLN4vllm18Fp8KVCacheDataTypeE1EDF16_Li32ELi64ELi256ELb1ELi4EL8MFMAType0EEvPKT_PKT0_S8_ifPKiSA_SA_iPKfiiiPfSD_PS3_PT2_iSC_SC_
	.p2align	8
	.type	_Z39paged_attention_ll4mi_QKV_mfma16_kernelIDF16_hLN4vllm18Fp8KVCacheDataTypeE1EDF16_Li32ELi64ELi256ELb1ELi4EL8MFMAType0EEvPKT_PKT0_S8_ifPKiSA_SA_iPKfiiiPfSD_PS3_PT2_iSC_SC_,@function
_Z39paged_attention_ll4mi_QKV_mfma16_kernelIDF16_hLN4vllm18Fp8KVCacheDataTypeE1EDF16_Li32ELi64ELi256ELb1ELi4EL8MFMAType0EEvPKT_PKT0_S8_ifPKiSA_SA_iPKfiiiPfSD_PS3_PT2_iSC_SC_: ; @_Z39paged_attention_ll4mi_QKV_mfma16_kernelIDF16_hLN4vllm18Fp8KVCacheDataTypeE1EDF16_Li32ELi64ELi256ELb1ELi4EL8MFMAType0EEvPKT_PKT0_S8_ifPKiSA_SA_iPKfiiiPfSD_PS3_PT2_iSC_SC_
; %bb.0:
	s_load_dwordx2 s[0:1], s[4:5], 0x30
	s_mov_b32 s22, s7
	s_mov_b64 s[10:11], 0
	s_waitcnt lgkmcnt(0)
	s_cmp_lg_u64 s[0:1], 0
	s_cselect_b64 s[2:3], -1, 0
	s_and_b64 vcc, exec, s[2:3]
	s_cbranch_vccz .LBB593_7
; %bb.1:
	s_add_i32 s12, s6, 1
	s_mov_b32 s13, 0
	s_lshl_b64 s[14:15], s[12:13], 2
	s_add_u32 s14, s0, s14
	s_mov_b32 s7, s13
	s_addc_u32 s15, s1, s15
	s_lshl_b64 s[12:13], s[6:7], 2
	s_add_u32 s12, s0, s12
	s_addc_u32 s13, s1, s13
	s_load_dword s9, s[14:15], 0x0
	s_load_dword s16, s[12:13], 0x0
	s_waitcnt lgkmcnt(0)
	s_sub_i32 s9, s9, s16
	s_cmp_eq_u32 s9, 1
	s_cselect_b64 s[12:13], -1, 0
	s_andn2_b64 vcc, exec, s[10:11]
	s_cbranch_vccnz .LBB593_3
.LBB593_2:
	s_mov_b32 s7, 0
	s_mov_b64 s[12:13], -1
.LBB593_3:
	s_andn2_b64 vcc, exec, s[12:13]
	s_cbranch_vccnz .LBB593_787
; %bb.4:
	s_load_dwordx2 s[12:13], s[4:5], 0x28
	s_lshl_b64 s[10:11], s[6:7], 2
	s_waitcnt lgkmcnt(0)
	s_add_u32 s12, s12, s10
	s_addc_u32 s13, s13, s11
	s_load_dword s33, s[12:13], 0x0
	s_lshl_b32 s18, s22, 8
	s_waitcnt lgkmcnt(0)
	s_cmp_ge_i32 s18, s33
	s_cbranch_scc1 .LBB593_787
; %bb.5:
	s_add_i32 s14, s33, 31
	s_load_dwordx2 s[12:13], s[4:5], 0x20
	s_load_dword s9, s[4:5], 0x38
	s_ashr_i32 s15, s14, 31
	v_and_b32_e32 v1, 0xcf, v0
	s_lshr_b32 s15, s15, 27
	v_add_u32_e32 v1, s18, v1
	s_add_i32 s14, s14, s15
	v_ashrrev_i32_e32 v2, 31, v1
	s_ashr_i32 s20, s14, 5
	v_lshrrev_b32_e32 v4, 27, v2
	s_add_i32 s20, s20, -1
	v_add_u32_e32 v2, v1, v4
	s_waitcnt lgkmcnt(0)
	s_mul_i32 s14, s6, s9
	s_mov_b32 s15, 0
	v_ashrrev_i32_e32 v2, 5, v2
	v_mov_b32_e32 v5, s20
	v_cmp_gt_i32_e32 vcc, s33, v1
	s_lshl_b64 s[14:15], s[14:15], 2
	v_cndmask_b32_e32 v2, v5, v2, vcc
	s_add_u32 s9, s12, s14
	v_ashrrev_i32_e32 v3, 31, v2
	s_addc_u32 s19, s13, s15
	v_lshlrev_b64 v[2:3], 2, v[2:3]
	v_mov_b32_e32 v7, s19
	v_add_co_u32_e32 v6, vcc, s9, v2
	v_or_b32_e32 v2, 16, v1
	v_addc_co_u32_e32 v7, vcc, v7, v3, vcc
	v_add_u32_e32 v3, v2, v4
	v_ashrrev_i32_e32 v3, 5, v3
	v_cmp_gt_i32_e32 vcc, s33, v2
	v_cndmask_b32_e32 v2, v5, v3, vcc
	v_ashrrev_i32_e32 v3, 31, v2
	v_lshlrev_b64 v[2:3], 2, v[2:3]
	v_mov_b32_e32 v9, s19
	v_add_co_u32_e32 v8, vcc, s9, v2
	v_or_b32_e32 v2, 32, v1
	v_addc_co_u32_e32 v9, vcc, v9, v3, vcc
	v_add_u32_e32 v3, v2, v4
	v_ashrrev_i32_e32 v3, 5, v3
	v_cmp_gt_i32_e32 vcc, s33, v2
	v_cndmask_b32_e32 v2, v5, v3, vcc
	v_ashrrev_i32_e32 v3, 31, v2
	;; [unrolled: 10-line block ×3, first 2 shown]
	v_lshlrev_b64 v[2:3], 2, v[2:3]
	v_mov_b32_e32 v1, s19
	v_add_co_u32_e32 v12, vcc, s9, v2
	v_addc_co_u32_e32 v13, vcc, v1, v3, vcc
	global_load_dword v5, v[6:7], off
	global_load_dword v4, v[8:9], off
	;; [unrolled: 1-line block ×4, first 2 shown]
	s_load_dwordx2 s[16:17], s[4:5], 0x8
	s_andn2_b64 vcc, exec, s[2:3]
	s_cbranch_vccnz .LBB593_8
; %bb.6:
	s_add_u32 s0, s0, s10
	s_addc_u32 s1, s1, s11
	s_load_dword s10, s[0:1], 0x0
	s_branch .LBB593_9
.LBB593_7:
	s_mov_b64 s[12:13], 0
	s_branch .LBB593_2
.LBB593_8:
	s_mov_b32 s10, s6
.LBB593_9:
	s_load_dwordx2 s[2:3], s[4:5], 0x10
	s_load_dwordx4 s[12:15], s[4:5], 0x48
	v_and_b32_e32 v52, 15, v0
	v_bfe_u32 v49, v0, 4, 2
	s_lshl_b32 s23, s8, 2
	v_lshlrev_b32_e32 v6, 3, v52
	v_cmp_gt_u32_e32 vcc, 64, v0
	v_cmp_gt_u32_e64 s[0:1], 8, v52
	v_lshrrev_b32_e32 v51, 6, v0
	v_or_b32_e32 v1, s23, v49
	s_and_b64 s[44:45], vcc, s[0:1]
	v_lshlrev_b32_e32 v46, 1, v6
	v_lshlrev_b32_e32 v47, 5, v49
	;; [unrolled: 1-line block ×3, first 2 shown]
	s_and_saveexec_b64 s[0:1], s[44:45]
	s_cbranch_execz .LBB593_11
; %bb.10:
	s_load_dwordx2 s[24:25], s[4:5], 0x0
	s_waitcnt lgkmcnt(0)
	s_ashr_i32 s11, s12, 31
	s_mul_hi_u32 s15, s10, s12
	s_mul_i32 s11, s10, s11
	s_add_i32 s11, s15, s11
	s_mul_i32 s10, s10, s12
	s_lshl_b64 s[10:11], s[10:11], 1
	v_lshlrev_b32_e32 v6, 6, v1
	s_add_u32 s10, s24, s10
	v_ashrrev_i32_e32 v7, 31, v6
	s_addc_u32 s11, s25, s11
	v_lshlrev_b64 v[6:7], 1, v[6:7]
	v_mov_b32_e32 v8, s11
	v_add_co_u32_e32 v6, vcc, s10, v6
	v_addc_co_u32_e32 v7, vcc, v8, v7, vcc
	v_add_co_u32_e32 v6, vcc, v6, v46
	v_addc_co_u32_e32 v7, vcc, 0, v7, vcc
	global_load_dwordx4 v[6:9], v[6:7], off
	v_lshlrev_b32_e32 v12, 8, v52
	v_lshl_or_b32 v10, v51, 7, v47
	v_and_b32_e32 v11, 16, v48
	v_and_b32_e32 v12, 0xe00, v12
	v_or3_b32 v10, v12, v10, v11
	s_waitcnt vmcnt(0)
	ds_write_b128 v10, v[6:9]
.LBB593_11:
	s_or_b64 exec, exec, s[0:1]
	s_waitcnt lgkmcnt(0)
	s_mul_i32 s8, s8, s14
	s_add_u32 s0, s16, s8
	s_addc_u32 s1, s17, 0
	v_pk_mov_b32 v[8:9], s[0:1], s[0:1] op_sel:[0,1]
	s_waitcnt vmcnt(3)
	v_mad_i64_i32 v[10:11], s[0:1], v5, s13, v[8:9]
	v_lshlrev_b32_e32 v12, 4, v52
	v_and_b32_e32 v6, 48, v0
	v_add_co_u32_e32 v5, vcc, v10, v12
	v_lshlrev_b32_e32 v7, 5, v6
	v_addc_co_u32_e32 v11, vcc, 0, v11, vcc
	v_add_co_u32_e32 v10, vcc, v5, v7
	v_addc_co_u32_e32 v11, vcc, 0, v11, vcc
	s_waitcnt vmcnt(2)
	v_mad_i64_i32 v[4:5], s[0:1], v4, s13, v[8:9]
	v_or_b32_e32 v13, 0x100, v12
	v_add_co_u32_e32 v4, vcc, v4, v13
	v_addc_co_u32_e32 v5, vcc, 0, v5, vcc
	v_add_co_u32_e32 v4, vcc, v4, v7
	v_addc_co_u32_e32 v5, vcc, 0, v5, vcc
	s_barrier
	global_load_dwordx4 v[34:37], v[10:11], off
	global_load_dwordx4 v[38:41], v[4:5], off
	s_waitcnt vmcnt(3)
	v_mad_i64_i32 v[4:5], s[0:1], v3, s13, v[8:9]
	v_add_co_u32_e32 v3, vcc, v4, v12
	v_addc_co_u32_e32 v5, vcc, 0, v5, vcc
	v_add_co_u32_e32 v4, vcc, v3, v7
	v_addc_co_u32_e32 v5, vcc, 0, v5, vcc
	s_waitcnt vmcnt(2)
	v_mad_i64_i32 v[2:3], s[0:1], v2, s13, v[8:9]
	v_add_co_u32_e32 v2, vcc, v2, v13
	v_addc_co_u32_e32 v3, vcc, 0, v3, vcc
	v_add_co_u32_e32 v2, vcc, v2, v7
	v_addc_co_u32_e32 v3, vcc, 0, v3, vcc
	global_load_dwordx4 v[30:33], v[4:5], off
	global_load_dwordx4 v[22:25], v[2:3], off
	v_and_b32_e32 v2, 3, v0
	v_lshlrev_b32_e32 v2, 5, v2
	v_lshl_or_b32 v2, v49, 9, v2
	ds_read_b128 v[26:29], v2
	ds_read_b128 v[18:21], v2 offset:16
	v_cmp_gt_u32_e32 vcc, 4, v52
	v_mov_b32_e32 v43, 0
	v_mov_b32_e32 v53, 0
	s_and_saveexec_b64 s[0:1], vcc
	s_cbranch_execz .LBB593_13
; %bb.12:
	s_load_dwordx2 s[10:11], s[4:5], 0x40
	v_or_b32_e32 v2, s23, v52
	v_ashrrev_i32_e32 v3, 31, v2
	v_lshlrev_b64 v[2:3], 2, v[2:3]
	s_waitcnt lgkmcnt(0)
	v_mov_b32_e32 v4, s11
	v_add_co_u32_e32 v2, vcc, s10, v2
	v_addc_co_u32_e32 v3, vcc, v4, v3, vcc
	global_load_dword v53, v[2:3], off
.LBB593_13:
	s_or_b64 exec, exec, s[0:1]
	s_ashr_i32 s0, s18, 31
	v_or_b32_e32 v8, s18, v6
	s_lshr_b32 s0, s0, 27
	v_add_u32_e32 v2, s0, v8
	v_ashrrev_i32_e32 v2, 5, v2
	v_mov_b32_e32 v9, s20
	v_cmp_gt_i32_e32 vcc, s33, v8
	v_cndmask_b32_e32 v2, v9, v2, vcc
	v_ashrrev_i32_e32 v3, 31, v2
	v_lshlrev_b64 v[2:3], 2, v[2:3]
	v_mov_b32_e32 v4, s19
	v_add_co_u32_e32 v2, vcc, s9, v2
	v_addc_co_u32_e32 v3, vcc, v4, v3, vcc
	v_or_b32_e32 v4, 64, v8
	v_add_u32_e32 v5, s0, v4
	v_ashrrev_i32_e32 v5, 5, v5
	v_cmp_gt_i32_e32 vcc, s33, v4
	v_cndmask_b32_e32 v4, v9, v5, vcc
	v_ashrrev_i32_e32 v5, 31, v4
	v_lshlrev_b64 v[4:5], 2, v[4:5]
	v_mov_b32_e32 v6, s19
	v_add_co_u32_e32 v4, vcc, s9, v4
	v_addc_co_u32_e32 v5, vcc, v6, v5, vcc
	v_or_b32_e32 v6, 0x80, v8
	v_add_u32_e32 v7, s0, v6
	v_ashrrev_i32_e32 v7, 5, v7
	v_cmp_gt_i32_e32 vcc, s33, v6
	v_cndmask_b32_e32 v6, v9, v7, vcc
	v_ashrrev_i32_e32 v7, 31, v6
	v_lshlrev_b64 v[6:7], 2, v[6:7]
	v_mov_b32_e32 v10, s19
	v_add_co_u32_e32 v6, vcc, s9, v6
	v_addc_co_u32_e32 v7, vcc, v10, v7, vcc
	global_load_dword v10, v[2:3], off
	global_load_dword v11, v[4:5], off
	;; [unrolled: 1-line block ×3, first 2 shown]
	v_or_b32_e32 v2, 0xc0, v8
	v_add_u32_e32 v3, s0, v2
	v_ashrrev_i32_e32 v3, 5, v3
	v_cmp_gt_i32_e32 vcc, s33, v2
	v_cndmask_b32_e32 v2, v9, v3, vcc
	v_ashrrev_i32_e32 v3, 31, v2
	v_lshlrev_b64 v[2:3], 2, v[2:3]
	v_mov_b32_e32 v4, s19
	v_add_co_u32_e32 v2, vcc, s9, v2
	v_addc_co_u32_e32 v3, vcc, v4, v3, vcc
	global_load_dword v13, v[2:3], off
	s_add_u32 s0, s2, s8
	v_and_b32_e32 v2, 16, v0
	s_addc_u32 s1, s3, 0
	v_lshlrev_b32_e32 v50, 5, v52
	v_mov_b32_e32 v4, s1
	v_add_co_u32_e32 v2, vcc, s0, v2
	v_lshl_or_b32 v3, v51, 9, v50
	v_addc_co_u32_e32 v4, vcc, 0, v4, vcc
	v_add_co_u32_e32 v2, vcc, v2, v3
	v_addc_co_u32_e32 v3, vcc, 0, v4, vcc
	s_movk_i32 s2, 0x80
	s_waitcnt vmcnt(7)
	v_cmp_ne_u16_sdwa s[8:9], v34, v43 src0_sel:BYTE_0 src1_sel:DWORD
	s_waitcnt vmcnt(3)
	v_mad_i64_i32 v[4:5], s[0:1], v10, s13, v[2:3]
	s_waitcnt vmcnt(2)
	v_mad_i64_i32 v[6:7], s[0:1], v11, s13, v[2:3]
	;; [unrolled: 2-line block ×4, first 2 shown]
	global_load_dwordx4 v[14:17], v[4:5], off
	global_load_dwordx4 v[10:13], v[6:7], off
	s_nop 0
	global_load_dwordx4 v[6:9], v[8:9], off
	s_nop 0
	global_load_dwordx4 v[2:5], v[2:3], off
	s_load_dwordx4 s[40:43], s[4:5], 0x80
	s_load_dwordx2 s[46:47], s[4:5], 0x94
	s_waitcnt lgkmcnt(0)
	s_load_dword s10, s[40:41], 0x0
	s_and_saveexec_b64 s[0:1], s[8:9]
	s_cbranch_execz .LBB593_19
; %bb.14:
	v_cmp_ne_u16_sdwa s[8:9], v34, s2 src0_sel:BYTE_0 src1_sel:DWORD
	v_bfrev_b32_e32 v43, 1
	s_and_saveexec_b64 s[2:3], s[8:9]
	s_cbranch_execz .LBB593_18
; %bb.15:
	s_movk_i32 s8, 0x7f
	v_and_b32_e32 v42, 0x7f, v34
	v_cmp_ne_u32_e32 vcc, s8, v42
	v_mov_b32_e32 v43, 0x7f800001
	s_and_saveexec_b64 s[8:9], vcc
	s_cbranch_execz .LBB593_17
; %bb.16:
	v_and_b32_e32 v43, 7, v34
	v_ffbh_u32_e32 v44, v43
	v_min_u32_e32 v55, 32, v44
	v_subrev_u32_e32 v44, 28, v55
	v_lshlrev_b64 v[44:45], v44, v[34:35]
	v_lshrrev_b32_e32 v54, 3, v42
	v_sub_u32_e32 v45, 29, v55
	v_and_b32_e32 v44, 7, v44
	v_cmp_gt_u32_e32 vcc, 8, v42
	v_cndmask_b32_e32 v42, v54, v45, vcc
	v_cndmask_b32_e32 v43, v43, v44, vcc
	v_lshlrev_b32_e32 v44, 24, v34
	v_bfrev_b32_e32 v45, 60
	v_lshlrev_b32_e32 v43, 20, v43
	v_and_b32_e32 v44, 0x80000000, v44
	v_lshl_add_u32 v42, v42, 23, v45
	v_or3_b32 v43, v44, v42, v43
.LBB593_17:
	s_or_b64 exec, exec, s[8:9]
.LBB593_18:
	s_or_b64 exec, exec, s[2:3]
.LBB593_19:
	s_or_b64 exec, exec, s[0:1]
	v_lshrrev_b16_e32 v42, 8, v34
	v_cmp_ne_u16_e32 vcc, 0, v42
	v_mov_b32_e32 v44, 0
	v_mov_b32_e32 v45, 0
	s_and_saveexec_b64 s[0:1], vcc
	s_cbranch_execz .LBB593_25
; %bb.20:
	s_movk_i32 s2, 0x80
	v_cmp_ne_u16_e32 vcc, s2, v42
	v_bfrev_b32_e32 v45, 1
	s_and_saveexec_b64 s[2:3], vcc
	s_cbranch_execz .LBB593_24
; %bb.21:
	s_movk_i32 s8, 0x7f
	v_and_b32_e32 v54, 0x7f, v42
	v_cmp_ne_u32_e32 vcc, s8, v54
	v_mov_b32_e32 v45, 0x7f800001
	s_and_saveexec_b64 s[8:9], vcc
	s_cbranch_execz .LBB593_23
; %bb.22:
	v_and_b32_e32 v45, 7, v42
	v_ffbh_u32_e32 v56, v45
	v_min_u32_e32 v58, 32, v56
	v_subrev_u32_e32 v56, 28, v58
	v_lshlrev_b64 v[56:57], v56, v[42:43]
	v_lshrrev_b32_e32 v55, 3, v54
	v_sub_u32_e32 v42, 29, v58
	v_and_b32_e32 v56, 7, v56
	v_cmp_gt_u32_e32 vcc, 8, v54
	v_cndmask_b32_e32 v42, v55, v42, vcc
	v_cndmask_b32_e32 v45, v45, v56, vcc
	v_lshlrev_b32_e32 v54, 16, v34
	v_bfrev_b32_e32 v55, 60
	v_lshlrev_b32_e32 v45, 20, v45
	v_and_b32_e32 v54, 0x80000000, v54
	v_lshl_add_u32 v42, v42, 23, v55
	v_or3_b32 v45, v54, v42, v45
.LBB593_23:
	s_or_b64 exec, exec, s[8:9]
.LBB593_24:
	s_or_b64 exec, exec, s[2:3]
.LBB593_25:
	s_or_b64 exec, exec, s[0:1]
	s_movk_i32 s0, 0xff
	v_and_b32_sdwa v54, v34, s0 dst_sel:DWORD dst_unused:UNUSED_PAD src0_sel:WORD_1 src1_sel:DWORD
	v_lshrrev_b32_e32 v42, 16, v34
	v_cmp_ne_u16_e32 vcc, 0, v54
	s_and_saveexec_b64 s[0:1], vcc
	s_cbranch_execz .LBB593_31
; %bb.26:
	s_movk_i32 s2, 0x80
	v_cmp_ne_u16_e32 vcc, s2, v54
	v_bfrev_b32_e32 v44, 1
	s_and_saveexec_b64 s[2:3], vcc
	s_cbranch_execz .LBB593_30
; %bb.27:
	v_bfe_u32 v54, v34, 16, 7
	s_movk_i32 s8, 0x7f
	v_cmp_ne_u32_e32 vcc, s8, v54
	v_mov_b32_e32 v44, 0x7f800001
	s_and_saveexec_b64 s[8:9], vcc
	s_cbranch_execz .LBB593_29
; %bb.28:
	v_and_b32_e32 v44, 7, v42
	v_ffbh_u32_e32 v56, v44
	v_min_u32_e32 v58, 32, v56
	v_subrev_u32_e32 v56, 28, v58
	v_lshlrev_b64 v[56:57], v56, v[42:43]
	v_lshrrev_b32_e32 v55, 3, v54
	v_sub_u32_e32 v42, 29, v58
	v_and_b32_e32 v56, 7, v56
	v_cmp_gt_u32_e32 vcc, 8, v54
	v_mov_b32_e32 v54, 24
	v_cndmask_b32_e32 v42, v55, v42, vcc
	v_cndmask_b32_e32 v44, v44, v56, vcc
	v_lshlrev_b32_sdwa v54, v54, v34 dst_sel:DWORD dst_unused:UNUSED_PAD src0_sel:DWORD src1_sel:WORD_1
	v_bfrev_b32_e32 v55, 60
	v_lshlrev_b32_e32 v44, 20, v44
	v_and_b32_e32 v54, 0x80000000, v54
	v_lshl_add_u32 v42, v42, 23, v55
	v_or3_b32 v44, v54, v42, v44
.LBB593_29:
	s_or_b64 exec, exec, s[8:9]
.LBB593_30:
	s_or_b64 exec, exec, s[2:3]
.LBB593_31:
	s_or_b64 exec, exec, s[0:1]
	s_mov_b32 s0, 0xffffff
	v_cmp_lt_u32_e32 vcc, s0, v34
	v_mov_b32_e32 v55, 0
	v_mov_b32_e32 v56, 0
	s_and_saveexec_b64 s[0:1], vcc
	s_cbranch_execz .LBB593_37
; %bb.32:
	v_lshrrev_b32_e32 v42, 24, v34
	s_movk_i32 s2, 0x80
	v_cmp_ne_u32_e32 vcc, s2, v42
	v_bfrev_b32_e32 v56, 1
	s_and_saveexec_b64 s[2:3], vcc
	s_cbranch_execz .LBB593_36
; %bb.33:
	v_bfe_u32 v34, v34, 24, 7
	s_movk_i32 s8, 0x7f
	v_cmp_ne_u32_e32 vcc, s8, v34
	v_mov_b32_e32 v56, 0x7f800001
	s_and_saveexec_b64 s[8:9], vcc
	s_cbranch_execz .LBB593_35
; %bb.34:
	v_and_b32_e32 v54, 7, v42
	v_ffbh_u32_e32 v56, v54
	v_min_u32_e32 v59, 32, v56
	v_subrev_u32_e32 v56, 28, v59
	v_lshlrev_b64 v[56:57], v56, v[42:43]
	v_lshrrev_b32_e32 v58, 3, v34
	v_sub_u32_e32 v57, 29, v59
	v_and_b32_e32 v56, 7, v56
	v_cmp_gt_u32_e32 vcc, 8, v34
	v_cndmask_b32_e32 v34, v58, v57, vcc
	v_cndmask_b32_e32 v54, v54, v56, vcc
	v_lshlrev_b32_e32 v42, 24, v42
	v_bfrev_b32_e32 v56, 60
	v_lshlrev_b32_e32 v54, 20, v54
	v_and_b32_e32 v42, 0x80000000, v42
	v_lshl_add_u32 v34, v34, 23, v56
	v_or3_b32 v56, v42, v34, v54
.LBB593_35:
	s_or_b64 exec, exec, s[8:9]
.LBB593_36:
	s_or_b64 exec, exec, s[2:3]
.LBB593_37:
	s_or_b64 exec, exec, s[0:1]
	v_cmp_ne_u16_sdwa s[2:3], v35, v55 src0_sel:BYTE_0 src1_sel:DWORD
	s_and_saveexec_b64 s[0:1], s[2:3]
	s_cbranch_execz .LBB593_43
; %bb.38:
	s_movk_i32 s2, 0x80
	v_cmp_ne_u16_sdwa s[8:9], v35, s2 src0_sel:BYTE_0 src1_sel:DWORD
	v_bfrev_b32_e32 v55, 1
	s_and_saveexec_b64 s[2:3], s[8:9]
	s_cbranch_execz .LBB593_42
; %bb.39:
	s_movk_i32 s8, 0x7f
	v_and_b32_e32 v34, 0x7f, v35
	v_cmp_ne_u32_e32 vcc, s8, v34
	v_mov_b32_e32 v55, 0x7f800001
	s_and_saveexec_b64 s[8:9], vcc
	s_cbranch_execz .LBB593_41
; %bb.40:
	v_and_b32_e32 v57, 7, v35
	v_ffbh_u32_e32 v54, v57
	v_min_u32_e32 v59, 32, v54
	v_mov_b32_e32 v42, v35
	v_subrev_u32_e32 v54, 28, v59
	v_lshlrev_b64 v[54:55], v54, v[42:43]
	v_lshrrev_b32_e32 v58, 3, v34
	v_sub_u32_e32 v42, 29, v59
	v_and_b32_e32 v54, 7, v54
	v_cmp_gt_u32_e32 vcc, 8, v34
	v_cndmask_b32_e32 v34, v58, v42, vcc
	v_cndmask_b32_e32 v42, v57, v54, vcc
	v_lshlrev_b32_e32 v54, 24, v35
	v_bfrev_b32_e32 v55, 60
	v_lshlrev_b32_e32 v42, 20, v42
	v_and_b32_e32 v54, 0x80000000, v54
	v_lshl_add_u32 v34, v34, 23, v55
	v_or3_b32 v55, v54, v34, v42
.LBB593_41:
	s_or_b64 exec, exec, s[8:9]
.LBB593_42:
	s_or_b64 exec, exec, s[2:3]
.LBB593_43:
	s_or_b64 exec, exec, s[0:1]
	v_lshrrev_b16_e32 v34, 8, v35
	v_cmp_ne_u16_e32 vcc, 0, v34
	v_mov_b32_e32 v42, 0
	v_mov_b32_e32 v57, 0
	s_and_saveexec_b64 s[0:1], vcc
	s_cbranch_execz .LBB593_49
; %bb.44:
	s_movk_i32 s2, 0x80
	v_cmp_ne_u16_e32 vcc, s2, v34
	v_bfrev_b32_e32 v57, 1
	s_and_saveexec_b64 s[2:3], vcc
	s_cbranch_execz .LBB593_48
; %bb.45:
	s_movk_i32 s8, 0x7f
	v_and_b32_e32 v54, 0x7f, v34
	v_cmp_ne_u32_e32 vcc, s8, v54
	v_mov_b32_e32 v57, 0x7f800001
	s_and_saveexec_b64 s[8:9], vcc
	s_cbranch_execz .LBB593_47
; %bb.46:
	v_and_b32_e32 v57, 7, v34
	v_ffbh_u32_e32 v58, v57
	v_min_u32_e32 v61, 32, v58
	v_subrev_u32_e32 v58, 28, v61
	v_lshlrev_b64 v[58:59], v58, v[34:35]
	v_lshrrev_b32_e32 v60, 3, v54
	v_sub_u32_e32 v34, 29, v61
	v_and_b32_e32 v58, 7, v58
	v_cmp_gt_u32_e32 vcc, 8, v54
	v_cndmask_b32_e32 v34, v60, v34, vcc
	v_cndmask_b32_e32 v54, v57, v58, vcc
	v_lshlrev_b32_e32 v57, 16, v35
	v_bfrev_b32_e32 v58, 60
	v_lshlrev_b32_e32 v54, 20, v54
	v_and_b32_e32 v57, 0x80000000, v57
	v_lshl_add_u32 v34, v34, 23, v58
	v_or3_b32 v57, v57, v34, v54
.LBB593_47:
	s_or_b64 exec, exec, s[8:9]
.LBB593_48:
	s_or_b64 exec, exec, s[2:3]
.LBB593_49:
	s_or_b64 exec, exec, s[0:1]
	s_movk_i32 s0, 0xff
	v_and_b32_sdwa v54, v35, s0 dst_sel:DWORD dst_unused:UNUSED_PAD src0_sel:WORD_1 src1_sel:DWORD
	v_lshrrev_b32_e32 v34, 16, v35
	v_cmp_ne_u16_e32 vcc, 0, v54
	s_and_saveexec_b64 s[0:1], vcc
	s_cbranch_execz .LBB593_55
; %bb.50:
	s_movk_i32 s2, 0x80
	v_cmp_ne_u16_e32 vcc, s2, v54
	v_bfrev_b32_e32 v42, 1
	s_and_saveexec_b64 s[2:3], vcc
	s_cbranch_execz .LBB593_54
; %bb.51:
	v_bfe_u32 v54, v35, 16, 7
	s_movk_i32 s8, 0x7f
	v_cmp_ne_u32_e32 vcc, s8, v54
	v_mov_b32_e32 v42, 0x7f800001
	s_and_saveexec_b64 s[8:9], vcc
	s_cbranch_execz .LBB593_53
; %bb.52:
	v_and_b32_e32 v42, 7, v34
	v_ffbh_u32_e32 v58, v42
	v_min_u32_e32 v61, 32, v58
	v_subrev_u32_e32 v58, 28, v61
	v_lshlrev_b64 v[58:59], v58, v[34:35]
	v_lshrrev_b32_e32 v60, 3, v54
	v_sub_u32_e32 v34, 29, v61
	v_and_b32_e32 v58, 7, v58
	v_cmp_gt_u32_e32 vcc, 8, v54
	v_mov_b32_e32 v54, 24
	v_cndmask_b32_e32 v34, v60, v34, vcc
	v_cndmask_b32_e32 v42, v42, v58, vcc
	v_lshlrev_b32_sdwa v54, v54, v35 dst_sel:DWORD dst_unused:UNUSED_PAD src0_sel:DWORD src1_sel:WORD_1
	v_bfrev_b32_e32 v58, 60
	v_lshlrev_b32_e32 v42, 20, v42
	v_and_b32_e32 v54, 0x80000000, v54
	v_lshl_add_u32 v34, v34, 23, v58
	v_or3_b32 v42, v54, v34, v42
.LBB593_53:
	s_or_b64 exec, exec, s[8:9]
.LBB593_54:
	s_or_b64 exec, exec, s[2:3]
.LBB593_55:
	s_or_b64 exec, exec, s[0:1]
	s_mov_b32 s0, 0xffffff
	v_cmp_lt_u32_e32 vcc, s0, v35
	v_mov_b32_e32 v54, 0
	v_mov_b32_e32 v58, 0
	s_and_saveexec_b64 s[0:1], vcc
	s_cbranch_execz .LBB593_61
; %bb.56:
	v_lshrrev_b32_e32 v34, 24, v35
	s_movk_i32 s2, 0x80
	v_cmp_ne_u32_e32 vcc, s2, v34
	v_bfrev_b32_e32 v58, 1
	s_and_saveexec_b64 s[2:3], vcc
	s_cbranch_execz .LBB593_60
; %bb.57:
	v_bfe_u32 v35, v35, 24, 7
	s_movk_i32 s8, 0x7f
	v_cmp_ne_u32_e32 vcc, s8, v35
	v_mov_b32_e32 v58, 0x7f800001
	s_and_saveexec_b64 s[8:9], vcc
	s_cbranch_execz .LBB593_59
; %bb.58:
	v_and_b32_e32 v60, 7, v34
	v_ffbh_u32_e32 v58, v60
	v_min_u32_e32 v62, 32, v58
	v_subrev_u32_e32 v58, 28, v62
	v_lshlrev_b64 v[58:59], v58, v[34:35]
	v_lshrrev_b32_e32 v61, 3, v35
	v_sub_u32_e32 v59, 29, v62
	v_and_b32_e32 v58, 7, v58
	v_cmp_gt_u32_e32 vcc, 8, v35
	v_cndmask_b32_e32 v35, v61, v59, vcc
	v_cndmask_b32_e32 v58, v60, v58, vcc
	v_lshlrev_b32_e32 v34, 24, v34
	v_bfrev_b32_e32 v59, 60
	v_lshlrev_b32_e32 v58, 20, v58
	v_and_b32_e32 v34, 0x80000000, v34
	v_lshl_add_u32 v35, v35, 23, v59
	v_or3_b32 v58, v34, v35, v58
.LBB593_59:
	s_or_b64 exec, exec, s[8:9]
.LBB593_60:
	s_or_b64 exec, exec, s[2:3]
.LBB593_61:
	s_or_b64 exec, exec, s[0:1]
	v_cvt_pkrtz_f16_f32 v34, v43, v45
	v_cvt_pkrtz_f16_f32 v35, v44, v56
	v_cmp_ne_u16_sdwa s[2:3], v36, v54 src0_sel:BYTE_0 src1_sel:DWORD
	s_nop 0
	v_mfma_f32_16x16x16f16 v[60:63], v[34:35], v[26:27], 0
	v_cvt_pkrtz_f16_f32 v34, v55, v57
	v_cvt_pkrtz_f16_f32 v35, v42, v58
	s_nop 1
	v_mfma_f32_16x16x16f16 v[42:45], v[34:35], v[28:29], v[60:63]
	s_and_saveexec_b64 s[0:1], s[2:3]
	s_cbranch_execz .LBB593_67
; %bb.62:
	s_movk_i32 s2, 0x80
	v_cmp_ne_u16_sdwa s[8:9], v36, s2 src0_sel:BYTE_0 src1_sel:DWORD
	v_bfrev_b32_e32 v54, 1
	s_and_saveexec_b64 s[2:3], s[8:9]
	s_cbranch_execz .LBB593_66
; %bb.63:
	s_movk_i32 s8, 0x7f
	v_and_b32_e32 v34, 0x7f, v36
	v_cmp_ne_u32_e32 vcc, s8, v34
	v_mov_b32_e32 v54, 0x7f800001
	s_and_saveexec_b64 s[8:9], vcc
	s_cbranch_execz .LBB593_65
; %bb.64:
	v_and_b32_e32 v35, 7, v36
	v_ffbh_u32_e32 v54, v35
	v_min_u32_e32 v57, 32, v54
	v_subrev_u32_e32 v54, 28, v57
	v_lshlrev_b64 v[54:55], v54, v[36:37]
	v_lshrrev_b32_e32 v56, 3, v34
	v_sub_u32_e32 v55, 29, v57
	v_and_b32_e32 v54, 7, v54
	v_cmp_gt_u32_e32 vcc, 8, v34
	v_cndmask_b32_e32 v34, v56, v55, vcc
	v_cndmask_b32_e32 v35, v35, v54, vcc
	v_lshlrev_b32_e32 v54, 24, v36
	v_bfrev_b32_e32 v55, 60
	v_lshlrev_b32_e32 v35, 20, v35
	v_and_b32_e32 v54, 0x80000000, v54
	v_lshl_add_u32 v34, v34, 23, v55
	v_or3_b32 v54, v54, v34, v35
.LBB593_65:
	s_or_b64 exec, exec, s[8:9]
.LBB593_66:
	s_or_b64 exec, exec, s[2:3]
.LBB593_67:
	s_or_b64 exec, exec, s[0:1]
	v_lshrrev_b16_e32 v34, 8, v36
	v_cmp_ne_u16_e32 vcc, 0, v34
	v_mov_b32_e32 v35, 0
	v_mov_b32_e32 v56, 0
	s_and_saveexec_b64 s[0:1], vcc
	s_cbranch_execz .LBB593_73
; %bb.68:
	s_movk_i32 s2, 0x80
	v_cmp_ne_u16_e32 vcc, s2, v34
	v_bfrev_b32_e32 v56, 1
	s_and_saveexec_b64 s[2:3], vcc
	s_cbranch_execz .LBB593_72
; %bb.69:
	s_movk_i32 s8, 0x7f
	v_and_b32_e32 v55, 0x7f, v34
	v_cmp_ne_u32_e32 vcc, s8, v55
	v_mov_b32_e32 v56, 0x7f800001
	s_and_saveexec_b64 s[8:9], vcc
	s_cbranch_execz .LBB593_71
; %bb.70:
	v_and_b32_e32 v58, 7, v34
	v_ffbh_u32_e32 v56, v58
	v_min_u32_e32 v60, 32, v56
	v_subrev_u32_e32 v56, 28, v60
	v_lshlrev_b64 v[56:57], v56, v[34:35]
	v_lshrrev_b32_e32 v59, 3, v55
	v_sub_u32_e32 v34, 29, v60
	v_and_b32_e32 v56, 7, v56
	v_cmp_gt_u32_e32 vcc, 8, v55
	v_cndmask_b32_e32 v34, v59, v34, vcc
	v_cndmask_b32_e32 v55, v58, v56, vcc
	v_lshlrev_b32_e32 v56, 16, v36
	v_bfrev_b32_e32 v57, 60
	v_lshlrev_b32_e32 v55, 20, v55
	v_and_b32_e32 v56, 0x80000000, v56
	v_lshl_add_u32 v34, v34, 23, v57
	v_or3_b32 v56, v56, v34, v55
.LBB593_71:
	s_or_b64 exec, exec, s[8:9]
.LBB593_72:
	s_or_b64 exec, exec, s[2:3]
.LBB593_73:
	s_or_b64 exec, exec, s[0:1]
	s_movk_i32 s0, 0xff
	v_and_b32_sdwa v55, v36, s0 dst_sel:DWORD dst_unused:UNUSED_PAD src0_sel:WORD_1 src1_sel:DWORD
	v_lshrrev_b32_e32 v34, 16, v36
	v_cmp_ne_u16_e32 vcc, 0, v55
	s_and_saveexec_b64 s[0:1], vcc
	s_cbranch_execz .LBB593_79
; %bb.74:
	s_movk_i32 s2, 0x80
	v_cmp_ne_u16_e32 vcc, s2, v55
	v_bfrev_b32_e32 v35, 1
	s_and_saveexec_b64 s[2:3], vcc
	s_cbranch_execz .LBB593_78
; %bb.75:
	v_bfe_u32 v55, v36, 16, 7
	s_movk_i32 s8, 0x7f
	v_cmp_ne_u32_e32 vcc, s8, v55
	v_mov_b32_e32 v35, 0x7f800001
	s_and_saveexec_b64 s[8:9], vcc
	s_cbranch_execz .LBB593_77
; %bb.76:
	v_and_b32_e32 v57, 7, v34
	v_ffbh_u32_e32 v35, v57
	v_min_u32_e32 v59, 32, v35
	v_subrev_u32_e32 v35, 28, v59
	v_lshlrev_b64 v[34:35], v35, v[34:35]
	v_lshrrev_b32_e32 v58, 3, v55
	v_sub_u32_e32 v35, 29, v59
	v_and_b32_e32 v34, 7, v34
	v_cmp_gt_u32_e32 vcc, 8, v55
	v_mov_b32_e32 v55, 24
	v_cndmask_b32_e32 v35, v58, v35, vcc
	v_cndmask_b32_e32 v34, v57, v34, vcc
	v_lshlrev_b32_sdwa v55, v55, v36 dst_sel:DWORD dst_unused:UNUSED_PAD src0_sel:DWORD src1_sel:WORD_1
	v_bfrev_b32_e32 v57, 60
	v_lshlrev_b32_e32 v34, 20, v34
	v_and_b32_e32 v55, 0x80000000, v55
	v_lshl_add_u32 v35, v35, 23, v57
	v_or3_b32 v35, v55, v35, v34
.LBB593_77:
	s_or_b64 exec, exec, s[8:9]
.LBB593_78:
	s_or_b64 exec, exec, s[2:3]
.LBB593_79:
	s_or_b64 exec, exec, s[0:1]
	s_mov_b32 s0, 0xffffff
	v_cmp_lt_u32_e32 vcc, s0, v36
	v_mov_b32_e32 v57, 0
	v_mov_b32_e32 v58, 0
	s_and_saveexec_b64 s[0:1], vcc
	s_cbranch_execz .LBB593_85
; %bb.80:
	v_lshrrev_b32_e32 v34, 24, v36
	s_movk_i32 s2, 0x80
	v_cmp_ne_u32_e32 vcc, s2, v34
	v_bfrev_b32_e32 v58, 1
	s_and_saveexec_b64 s[2:3], vcc
	s_cbranch_execz .LBB593_84
; %bb.81:
	v_bfe_u32 v36, v36, 24, 7
	s_movk_i32 s8, 0x7f
	v_cmp_ne_u32_e32 vcc, s8, v36
	v_mov_b32_e32 v58, 0x7f800001
	s_and_saveexec_b64 s[8:9], vcc
	s_cbranch_execz .LBB593_83
; %bb.82:
	v_and_b32_e32 v55, 7, v34
	v_ffbh_u32_e32 v58, v55
	v_min_u32_e32 v61, 32, v58
	v_subrev_u32_e32 v58, 28, v61
	v_lshlrev_b64 v[58:59], v58, v[34:35]
	v_lshrrev_b32_e32 v60, 3, v36
	v_sub_u32_e32 v59, 29, v61
	v_and_b32_e32 v58, 7, v58
	v_cmp_gt_u32_e32 vcc, 8, v36
	v_cndmask_b32_e32 v36, v60, v59, vcc
	v_cndmask_b32_e32 v55, v55, v58, vcc
	v_lshlrev_b32_e32 v34, 24, v34
	v_bfrev_b32_e32 v58, 60
	v_lshlrev_b32_e32 v55, 20, v55
	v_and_b32_e32 v34, 0x80000000, v34
	v_lshl_add_u32 v36, v36, 23, v58
	v_or3_b32 v58, v34, v36, v55
.LBB593_83:
	s_or_b64 exec, exec, s[8:9]
.LBB593_84:
	s_or_b64 exec, exec, s[2:3]
.LBB593_85:
	s_or_b64 exec, exec, s[0:1]
	v_cmp_ne_u16_sdwa s[2:3], v37, v57 src0_sel:BYTE_0 src1_sel:DWORD
	s_and_saveexec_b64 s[0:1], s[2:3]
	s_cbranch_execz .LBB593_91
; %bb.86:
	s_movk_i32 s2, 0x80
	v_cmp_ne_u16_sdwa s[8:9], v37, s2 src0_sel:BYTE_0 src1_sel:DWORD
	v_bfrev_b32_e32 v57, 1
	s_and_saveexec_b64 s[2:3], s[8:9]
	s_cbranch_execz .LBB593_90
; %bb.87:
	s_movk_i32 s8, 0x7f
	v_and_b32_e32 v34, 0x7f, v37
	v_cmp_ne_u32_e32 vcc, s8, v34
	v_mov_b32_e32 v57, 0x7f800001
	s_and_saveexec_b64 s[8:9], vcc
	s_cbranch_execz .LBB593_89
; %bb.88:
	v_and_b32_e32 v55, 7, v37
	v_ffbh_u32_e32 v59, v55
	v_min_u32_e32 v59, 32, v59
	v_mov_b32_e32 v36, v37
	v_subrev_u32_e32 v60, 28, v59
	v_lshlrev_b64 v[60:61], v60, v[36:37]
	v_lshrrev_b32_e32 v57, 3, v34
	v_sub_u32_e32 v36, 29, v59
	v_and_b32_e32 v59, 7, v60
	v_cmp_gt_u32_e32 vcc, 8, v34
	v_cndmask_b32_e32 v34, v57, v36, vcc
	v_cndmask_b32_e32 v36, v55, v59, vcc
	v_lshlrev_b32_e32 v55, 24, v37
	v_bfrev_b32_e32 v57, 60
	v_lshlrev_b32_e32 v36, 20, v36
	v_and_b32_e32 v55, 0x80000000, v55
	v_lshl_add_u32 v34, v34, 23, v57
	v_or3_b32 v57, v55, v34, v36
.LBB593_89:
	s_or_b64 exec, exec, s[8:9]
.LBB593_90:
	s_or_b64 exec, exec, s[2:3]
.LBB593_91:
	s_or_b64 exec, exec, s[0:1]
	v_lshrrev_b16_e32 v34, 8, v37
	v_cmp_ne_u16_e32 vcc, 0, v34
	v_mov_b32_e32 v36, 0
	v_mov_b32_e32 v59, 0
	s_and_saveexec_b64 s[0:1], vcc
	s_cbranch_execz .LBB593_97
; %bb.92:
	s_movk_i32 s2, 0x80
	v_cmp_ne_u16_e32 vcc, s2, v34
	v_bfrev_b32_e32 v59, 1
	s_and_saveexec_b64 s[2:3], vcc
	s_cbranch_execz .LBB593_96
; %bb.93:
	s_movk_i32 s8, 0x7f
	v_and_b32_e32 v55, 0x7f, v34
	v_cmp_ne_u32_e32 vcc, s8, v55
	v_mov_b32_e32 v59, 0x7f800001
	s_and_saveexec_b64 s[8:9], vcc
	s_cbranch_execz .LBB593_95
; %bb.94:
	v_and_b32_e32 v59, 7, v34
	v_ffbh_u32_e32 v60, v59
	v_min_u32_e32 v63, 32, v60
	v_subrev_u32_e32 v60, 28, v63
	v_lshlrev_b64 v[60:61], v60, v[34:35]
	v_lshrrev_b32_e32 v62, 3, v55
	v_sub_u32_e32 v34, 29, v63
	v_and_b32_e32 v60, 7, v60
	v_cmp_gt_u32_e32 vcc, 8, v55
	v_cndmask_b32_e32 v34, v62, v34, vcc
	v_cndmask_b32_e32 v55, v59, v60, vcc
	v_lshlrev_b32_e32 v59, 16, v37
	v_bfrev_b32_e32 v60, 60
	v_lshlrev_b32_e32 v55, 20, v55
	v_and_b32_e32 v59, 0x80000000, v59
	v_lshl_add_u32 v34, v34, 23, v60
	v_or3_b32 v59, v59, v34, v55
.LBB593_95:
	s_or_b64 exec, exec, s[8:9]
.LBB593_96:
	s_or_b64 exec, exec, s[2:3]
.LBB593_97:
	s_or_b64 exec, exec, s[0:1]
	s_movk_i32 s0, 0xff
	v_and_b32_sdwa v55, v37, s0 dst_sel:DWORD dst_unused:UNUSED_PAD src0_sel:WORD_1 src1_sel:DWORD
	v_lshrrev_b32_e32 v34, 16, v37
	v_cmp_ne_u16_e32 vcc, 0, v55
	s_and_saveexec_b64 s[0:1], vcc
	s_cbranch_execz .LBB593_103
; %bb.98:
	s_movk_i32 s2, 0x80
	v_cmp_ne_u16_e32 vcc, s2, v55
	v_bfrev_b32_e32 v36, 1
	s_and_saveexec_b64 s[2:3], vcc
	s_cbranch_execz .LBB593_102
; %bb.99:
	v_bfe_u32 v55, v37, 16, 7
	s_movk_i32 s8, 0x7f
	v_cmp_ne_u32_e32 vcc, s8, v55
	v_mov_b32_e32 v36, 0x7f800001
	s_and_saveexec_b64 s[8:9], vcc
	s_cbranch_execz .LBB593_101
; %bb.100:
	v_and_b32_e32 v36, 7, v34
	v_ffbh_u32_e32 v60, v36
	v_min_u32_e32 v63, 32, v60
	v_subrev_u32_e32 v60, 28, v63
	v_lshlrev_b64 v[60:61], v60, v[34:35]
	v_lshrrev_b32_e32 v62, 3, v55
	v_sub_u32_e32 v34, 29, v63
	v_and_b32_e32 v60, 7, v60
	v_cmp_gt_u32_e32 vcc, 8, v55
	v_mov_b32_e32 v55, 24
	v_cndmask_b32_e32 v34, v62, v34, vcc
	v_cndmask_b32_e32 v36, v36, v60, vcc
	v_lshlrev_b32_sdwa v55, v55, v37 dst_sel:DWORD dst_unused:UNUSED_PAD src0_sel:DWORD src1_sel:WORD_1
	v_bfrev_b32_e32 v60, 60
	v_lshlrev_b32_e32 v36, 20, v36
	v_and_b32_e32 v55, 0x80000000, v55
	v_lshl_add_u32 v34, v34, 23, v60
	v_or3_b32 v36, v55, v34, v36
.LBB593_101:
	s_or_b64 exec, exec, s[8:9]
.LBB593_102:
	s_or_b64 exec, exec, s[2:3]
.LBB593_103:
	s_or_b64 exec, exec, s[0:1]
	s_mov_b32 s0, 0xffffff
	v_cmp_lt_u32_e32 vcc, s0, v37
	v_mov_b32_e32 v55, 0
	v_mov_b32_e32 v60, 0
	s_and_saveexec_b64 s[0:1], vcc
	s_cbranch_execz .LBB593_109
; %bb.104:
	v_lshrrev_b32_e32 v34, 24, v37
	s_movk_i32 s2, 0x80
	v_cmp_ne_u32_e32 vcc, s2, v34
	v_bfrev_b32_e32 v60, 1
	s_and_saveexec_b64 s[2:3], vcc
	s_cbranch_execz .LBB593_108
; %bb.105:
	v_bfe_u32 v37, v37, 24, 7
	s_movk_i32 s8, 0x7f
	v_cmp_ne_u32_e32 vcc, s8, v37
	v_mov_b32_e32 v60, 0x7f800001
	s_and_saveexec_b64 s[8:9], vcc
	s_cbranch_execz .LBB593_107
; %bb.106:
	v_and_b32_e32 v62, 7, v34
	v_ffbh_u32_e32 v60, v62
	v_min_u32_e32 v64, 32, v60
	v_subrev_u32_e32 v60, 28, v64
	v_lshlrev_b64 v[60:61], v60, v[34:35]
	v_lshrrev_b32_e32 v63, 3, v37
	v_sub_u32_e32 v61, 29, v64
	v_and_b32_e32 v60, 7, v60
	v_cmp_gt_u32_e32 vcc, 8, v37
	v_cndmask_b32_e32 v37, v63, v61, vcc
	v_cndmask_b32_e32 v60, v62, v60, vcc
	v_lshlrev_b32_e32 v34, 24, v34
	v_bfrev_b32_e32 v61, 60
	v_lshlrev_b32_e32 v60, 20, v60
	v_and_b32_e32 v34, 0x80000000, v34
	v_lshl_add_u32 v37, v37, 23, v61
	v_or3_b32 v60, v34, v37, v60
.LBB593_107:
	s_or_b64 exec, exec, s[8:9]
.LBB593_108:
	s_or_b64 exec, exec, s[2:3]
.LBB593_109:
	s_or_b64 exec, exec, s[0:1]
	v_cvt_pkrtz_f16_f32 v34, v54, v56
	v_cvt_pkrtz_f16_f32 v35, v35, v58
	v_cmp_ne_u16_sdwa s[2:3], v38, v55 src0_sel:BYTE_0 src1_sel:DWORD
	s_nop 0
	v_mfma_f32_16x16x16f16 v[42:45], v[34:35], v[18:19], v[42:45]
	v_cvt_pkrtz_f16_f32 v34, v57, v59
	v_cvt_pkrtz_f16_f32 v35, v36, v60
	s_nop 1
	v_mfma_f32_16x16x16f16 v[34:37], v[34:35], v[20:21], v[42:45]
	s_and_saveexec_b64 s[0:1], s[2:3]
	s_cbranch_execz .LBB593_115
; %bb.110:
	s_movk_i32 s2, 0x80
	v_cmp_ne_u16_sdwa s[8:9], v38, s2 src0_sel:BYTE_0 src1_sel:DWORD
	v_bfrev_b32_e32 v55, 1
	s_and_saveexec_b64 s[2:3], s[8:9]
	s_cbranch_execz .LBB593_114
; %bb.111:
	s_movk_i32 s8, 0x7f
	v_and_b32_e32 v42, 0x7f, v38
	v_cmp_ne_u32_e32 vcc, s8, v42
	v_mov_b32_e32 v55, 0x7f800001
	s_and_saveexec_b64 s[8:9], vcc
	s_cbranch_execz .LBB593_113
; %bb.112:
	v_and_b32_e32 v43, 7, v38
	v_ffbh_u32_e32 v44, v43
	v_min_u32_e32 v55, 32, v44
	v_subrev_u32_e32 v44, 28, v55
	v_lshlrev_b64 v[44:45], v44, v[38:39]
	v_lshrrev_b32_e32 v54, 3, v42
	v_sub_u32_e32 v45, 29, v55
	v_and_b32_e32 v44, 7, v44
	v_cmp_gt_u32_e32 vcc, 8, v42
	v_cndmask_b32_e32 v42, v54, v45, vcc
	v_cndmask_b32_e32 v43, v43, v44, vcc
	v_lshlrev_b32_e32 v44, 24, v38
	v_bfrev_b32_e32 v45, 60
	v_lshlrev_b32_e32 v43, 20, v43
	v_and_b32_e32 v44, 0x80000000, v44
	v_lshl_add_u32 v42, v42, 23, v45
	v_or3_b32 v55, v44, v42, v43
.LBB593_113:
	s_or_b64 exec, exec, s[8:9]
.LBB593_114:
	s_or_b64 exec, exec, s[2:3]
.LBB593_115:
	s_or_b64 exec, exec, s[0:1]
	s_nop 3
	v_lshrrev_b16_e32 v42, 8, v38
	v_cmp_ne_u16_e32 vcc, 0, v42
	v_mov_b32_e32 v43, 0
	v_mov_b32_e32 v44, 0
	s_and_saveexec_b64 s[0:1], vcc
	s_cbranch_execz .LBB593_121
; %bb.116:
	s_movk_i32 s2, 0x80
	v_cmp_ne_u16_e32 vcc, s2, v42
	v_bfrev_b32_e32 v44, 1
	s_and_saveexec_b64 s[2:3], vcc
	s_cbranch_execz .LBB593_120
; %bb.117:
	s_movk_i32 s8, 0x7f
	v_and_b32_e32 v45, 0x7f, v42
	v_cmp_ne_u32_e32 vcc, s8, v45
	v_mov_b32_e32 v44, 0x7f800001
	s_and_saveexec_b64 s[8:9], vcc
	s_cbranch_execz .LBB593_119
; %bb.118:
	v_and_b32_e32 v44, 7, v42
	v_ffbh_u32_e32 v56, v44
	v_min_u32_e32 v58, 32, v56
	v_subrev_u32_e32 v56, 28, v58
	v_lshlrev_b64 v[56:57], v56, v[42:43]
	v_lshrrev_b32_e32 v54, 3, v45
	v_sub_u32_e32 v42, 29, v58
	v_and_b32_e32 v56, 7, v56
	v_cmp_gt_u32_e32 vcc, 8, v45
	v_cndmask_b32_e32 v42, v54, v42, vcc
	v_cndmask_b32_e32 v44, v44, v56, vcc
	v_lshlrev_b32_e32 v45, 16, v38
	v_bfrev_b32_e32 v54, 60
	v_lshlrev_b32_e32 v44, 20, v44
	v_and_b32_e32 v45, 0x80000000, v45
	v_lshl_add_u32 v42, v42, 23, v54
	v_or3_b32 v44, v45, v42, v44
.LBB593_119:
	s_or_b64 exec, exec, s[8:9]
.LBB593_120:
	s_or_b64 exec, exec, s[2:3]
.LBB593_121:
	s_or_b64 exec, exec, s[0:1]
	s_movk_i32 s0, 0xff
	v_and_b32_sdwa v45, v38, s0 dst_sel:DWORD dst_unused:UNUSED_PAD src0_sel:WORD_1 src1_sel:DWORD
	v_lshrrev_b32_e32 v42, 16, v38
	v_cmp_ne_u16_e32 vcc, 0, v45
	s_and_saveexec_b64 s[0:1], vcc
	s_cbranch_execz .LBB593_127
; %bb.122:
	s_movk_i32 s2, 0x80
	v_cmp_ne_u16_e32 vcc, s2, v45
	v_bfrev_b32_e32 v43, 1
	s_and_saveexec_b64 s[2:3], vcc
	s_cbranch_execz .LBB593_126
; %bb.123:
	v_bfe_u32 v45, v38, 16, 7
	s_movk_i32 s8, 0x7f
	v_cmp_ne_u32_e32 vcc, s8, v45
	v_mov_b32_e32 v43, 0x7f800001
	s_and_saveexec_b64 s[8:9], vcc
	s_cbranch_execz .LBB593_125
; %bb.124:
	v_and_b32_e32 v54, 7, v42
	v_ffbh_u32_e32 v43, v54
	v_min_u32_e32 v57, 32, v43
	v_subrev_u32_e32 v43, 28, v57
	v_lshlrev_b64 v[42:43], v43, v[42:43]
	v_lshrrev_b32_e32 v56, 3, v45
	v_sub_u32_e32 v43, 29, v57
	v_and_b32_e32 v42, 7, v42
	v_cmp_gt_u32_e32 vcc, 8, v45
	v_mov_b32_e32 v45, 24
	v_cndmask_b32_e32 v43, v56, v43, vcc
	v_cndmask_b32_e32 v42, v54, v42, vcc
	v_lshlrev_b32_sdwa v45, v45, v38 dst_sel:DWORD dst_unused:UNUSED_PAD src0_sel:DWORD src1_sel:WORD_1
	v_bfrev_b32_e32 v54, 60
	v_lshlrev_b32_e32 v42, 20, v42
	v_and_b32_e32 v45, 0x80000000, v45
	v_lshl_add_u32 v43, v43, 23, v54
	v_or3_b32 v43, v45, v43, v42
.LBB593_125:
	s_or_b64 exec, exec, s[8:9]
.LBB593_126:
	s_or_b64 exec, exec, s[2:3]
.LBB593_127:
	s_or_b64 exec, exec, s[0:1]
	s_mov_b32 s0, 0xffffff
	v_cmp_lt_u32_e32 vcc, s0, v38
	v_mov_b32_e32 v45, 0
	v_mov_b32_e32 v56, 0
	s_and_saveexec_b64 s[0:1], vcc
	s_cbranch_execz .LBB593_133
; %bb.128:
	v_lshrrev_b32_e32 v42, 24, v38
	s_movk_i32 s2, 0x80
	v_cmp_ne_u32_e32 vcc, s2, v42
	v_bfrev_b32_e32 v56, 1
	s_and_saveexec_b64 s[2:3], vcc
	s_cbranch_execz .LBB593_132
; %bb.129:
	v_bfe_u32 v38, v38, 24, 7
	s_movk_i32 s8, 0x7f
	v_cmp_ne_u32_e32 vcc, s8, v38
	v_mov_b32_e32 v56, 0x7f800001
	s_and_saveexec_b64 s[8:9], vcc
	s_cbranch_execz .LBB593_131
; %bb.130:
	v_and_b32_e32 v54, 7, v42
	v_ffbh_u32_e32 v56, v54
	v_min_u32_e32 v59, 32, v56
	v_subrev_u32_e32 v56, 28, v59
	v_lshlrev_b64 v[56:57], v56, v[42:43]
	v_lshrrev_b32_e32 v58, 3, v38
	v_sub_u32_e32 v57, 29, v59
	v_and_b32_e32 v56, 7, v56
	v_cmp_gt_u32_e32 vcc, 8, v38
	v_cndmask_b32_e32 v38, v58, v57, vcc
	v_cndmask_b32_e32 v54, v54, v56, vcc
	v_lshlrev_b32_e32 v42, 24, v42
	v_bfrev_b32_e32 v56, 60
	v_lshlrev_b32_e32 v54, 20, v54
	v_and_b32_e32 v42, 0x80000000, v42
	v_lshl_add_u32 v38, v38, 23, v56
	v_or3_b32 v56, v42, v38, v54
.LBB593_131:
	s_or_b64 exec, exec, s[8:9]
.LBB593_132:
	s_or_b64 exec, exec, s[2:3]
.LBB593_133:
	s_or_b64 exec, exec, s[0:1]
	v_cmp_ne_u16_sdwa s[2:3], v39, v45 src0_sel:BYTE_0 src1_sel:DWORD
	s_and_saveexec_b64 s[0:1], s[2:3]
	s_cbranch_execz .LBB593_139
; %bb.134:
	s_movk_i32 s2, 0x80
	v_cmp_ne_u16_sdwa s[8:9], v39, s2 src0_sel:BYTE_0 src1_sel:DWORD
	v_bfrev_b32_e32 v45, 1
	s_and_saveexec_b64 s[2:3], s[8:9]
	s_cbranch_execz .LBB593_138
; %bb.135:
	s_movk_i32 s8, 0x7f
	v_and_b32_e32 v38, 0x7f, v39
	v_cmp_ne_u32_e32 vcc, s8, v38
	v_mov_b32_e32 v45, 0x7f800001
	s_and_saveexec_b64 s[8:9], vcc
	s_cbranch_execz .LBB593_137
; %bb.136:
	v_and_b32_e32 v45, 7, v39
	v_ffbh_u32_e32 v57, v45
	v_min_u32_e32 v57, 32, v57
	v_mov_b32_e32 v42, v39
	v_subrev_u32_e32 v58, 28, v57
	v_lshlrev_b64 v[58:59], v58, v[42:43]
	v_lshrrev_b32_e32 v54, 3, v38
	v_sub_u32_e32 v42, 29, v57
	v_and_b32_e32 v57, 7, v58
	v_cmp_gt_u32_e32 vcc, 8, v38
	v_cndmask_b32_e32 v38, v54, v42, vcc
	v_cndmask_b32_e32 v42, v45, v57, vcc
	v_lshlrev_b32_e32 v45, 24, v39
	v_bfrev_b32_e32 v54, 60
	v_lshlrev_b32_e32 v42, 20, v42
	v_and_b32_e32 v45, 0x80000000, v45
	v_lshl_add_u32 v38, v38, 23, v54
	v_or3_b32 v45, v45, v38, v42
.LBB593_137:
	s_or_b64 exec, exec, s[8:9]
.LBB593_138:
	s_or_b64 exec, exec, s[2:3]
.LBB593_139:
	s_or_b64 exec, exec, s[0:1]
	v_lshrrev_b16_e32 v38, 8, v39
	v_cmp_ne_u16_e32 vcc, 0, v38
	v_mov_b32_e32 v42, 0
	v_mov_b32_e32 v57, 0
	s_and_saveexec_b64 s[0:1], vcc
	s_cbranch_execz .LBB593_145
; %bb.140:
	s_movk_i32 s2, 0x80
	v_cmp_ne_u16_e32 vcc, s2, v38
	v_bfrev_b32_e32 v57, 1
	s_and_saveexec_b64 s[2:3], vcc
	s_cbranch_execz .LBB593_144
; %bb.141:
	s_movk_i32 s8, 0x7f
	v_and_b32_e32 v54, 0x7f, v38
	v_cmp_ne_u32_e32 vcc, s8, v54
	v_mov_b32_e32 v57, 0x7f800001
	s_and_saveexec_b64 s[8:9], vcc
	s_cbranch_execz .LBB593_143
; %bb.142:
	v_and_b32_e32 v57, 7, v38
	v_ffbh_u32_e32 v58, v57
	v_min_u32_e32 v61, 32, v58
	v_subrev_u32_e32 v58, 28, v61
	v_lshlrev_b64 v[58:59], v58, v[38:39]
	v_lshrrev_b32_e32 v60, 3, v54
	v_sub_u32_e32 v38, 29, v61
	v_and_b32_e32 v58, 7, v58
	v_cmp_gt_u32_e32 vcc, 8, v54
	v_cndmask_b32_e32 v38, v60, v38, vcc
	v_cndmask_b32_e32 v54, v57, v58, vcc
	v_lshlrev_b32_e32 v57, 16, v39
	v_bfrev_b32_e32 v58, 60
	v_lshlrev_b32_e32 v54, 20, v54
	v_and_b32_e32 v57, 0x80000000, v57
	v_lshl_add_u32 v38, v38, 23, v58
	v_or3_b32 v57, v57, v38, v54
.LBB593_143:
	s_or_b64 exec, exec, s[8:9]
.LBB593_144:
	s_or_b64 exec, exec, s[2:3]
.LBB593_145:
	s_or_b64 exec, exec, s[0:1]
	s_movk_i32 s0, 0xff
	v_and_b32_sdwa v54, v39, s0 dst_sel:DWORD dst_unused:UNUSED_PAD src0_sel:WORD_1 src1_sel:DWORD
	v_lshrrev_b32_e32 v38, 16, v39
	v_cmp_ne_u16_e32 vcc, 0, v54
	s_and_saveexec_b64 s[0:1], vcc
	s_cbranch_execz .LBB593_151
; %bb.146:
	s_movk_i32 s2, 0x80
	v_cmp_ne_u16_e32 vcc, s2, v54
	v_bfrev_b32_e32 v42, 1
	s_and_saveexec_b64 s[2:3], vcc
	s_cbranch_execz .LBB593_150
; %bb.147:
	v_bfe_u32 v54, v39, 16, 7
	s_movk_i32 s8, 0x7f
	v_cmp_ne_u32_e32 vcc, s8, v54
	v_mov_b32_e32 v42, 0x7f800001
	s_and_saveexec_b64 s[8:9], vcc
	s_cbranch_execz .LBB593_149
; %bb.148:
	v_and_b32_e32 v42, 7, v38
	v_ffbh_u32_e32 v58, v42
	v_min_u32_e32 v61, 32, v58
	v_subrev_u32_e32 v58, 28, v61
	v_lshlrev_b64 v[58:59], v58, v[38:39]
	v_lshrrev_b32_e32 v60, 3, v54
	v_sub_u32_e32 v38, 29, v61
	v_and_b32_e32 v58, 7, v58
	v_cmp_gt_u32_e32 vcc, 8, v54
	v_mov_b32_e32 v54, 24
	v_cndmask_b32_e32 v38, v60, v38, vcc
	v_cndmask_b32_e32 v42, v42, v58, vcc
	v_lshlrev_b32_sdwa v54, v54, v39 dst_sel:DWORD dst_unused:UNUSED_PAD src0_sel:DWORD src1_sel:WORD_1
	v_bfrev_b32_e32 v58, 60
	v_lshlrev_b32_e32 v42, 20, v42
	v_and_b32_e32 v54, 0x80000000, v54
	v_lshl_add_u32 v38, v38, 23, v58
	v_or3_b32 v42, v54, v38, v42
.LBB593_149:
	s_or_b64 exec, exec, s[8:9]
.LBB593_150:
	s_or_b64 exec, exec, s[2:3]
.LBB593_151:
	s_or_b64 exec, exec, s[0:1]
	s_mov_b32 s0, 0xffffff
	v_cmp_lt_u32_e32 vcc, s0, v39
	v_mov_b32_e32 v54, 0
	v_mov_b32_e32 v58, 0
	s_and_saveexec_b64 s[0:1], vcc
	s_cbranch_execz .LBB593_157
; %bb.152:
	v_lshrrev_b32_e32 v38, 24, v39
	s_movk_i32 s2, 0x80
	v_cmp_ne_u32_e32 vcc, s2, v38
	v_bfrev_b32_e32 v58, 1
	s_and_saveexec_b64 s[2:3], vcc
	s_cbranch_execz .LBB593_156
; %bb.153:
	v_bfe_u32 v39, v39, 24, 7
	s_movk_i32 s8, 0x7f
	v_cmp_ne_u32_e32 vcc, s8, v39
	v_mov_b32_e32 v58, 0x7f800001
	s_and_saveexec_b64 s[8:9], vcc
	s_cbranch_execz .LBB593_155
; %bb.154:
	v_and_b32_e32 v60, 7, v38
	v_ffbh_u32_e32 v58, v60
	v_min_u32_e32 v62, 32, v58
	v_subrev_u32_e32 v58, 28, v62
	v_lshlrev_b64 v[58:59], v58, v[38:39]
	v_lshrrev_b32_e32 v61, 3, v39
	v_sub_u32_e32 v59, 29, v62
	v_and_b32_e32 v58, 7, v58
	v_cmp_gt_u32_e32 vcc, 8, v39
	v_cndmask_b32_e32 v39, v61, v59, vcc
	v_cndmask_b32_e32 v58, v60, v58, vcc
	v_lshlrev_b32_e32 v38, 24, v38
	v_bfrev_b32_e32 v59, 60
	v_lshlrev_b32_e32 v58, 20, v58
	v_and_b32_e32 v38, 0x80000000, v38
	v_lshl_add_u32 v39, v39, 23, v59
	v_or3_b32 v58, v38, v39, v58
.LBB593_155:
	s_or_b64 exec, exec, s[8:9]
.LBB593_156:
	s_or_b64 exec, exec, s[2:3]
.LBB593_157:
	s_or_b64 exec, exec, s[0:1]
	v_cvt_pkrtz_f16_f32 v38, v55, v44
	v_cvt_pkrtz_f16_f32 v39, v43, v56
	v_cmp_ne_u16_sdwa s[2:3], v40, v54 src0_sel:BYTE_0 src1_sel:DWORD
	s_nop 0
	v_mfma_f32_16x16x16f16 v[60:63], v[38:39], v[26:27], 0
	v_cvt_pkrtz_f16_f32 v38, v45, v57
	v_cvt_pkrtz_f16_f32 v39, v42, v58
	s_nop 1
	v_mfma_f32_16x16x16f16 v[42:45], v[38:39], v[28:29], v[60:63]
	s_and_saveexec_b64 s[0:1], s[2:3]
	s_cbranch_execz .LBB593_163
; %bb.158:
	s_movk_i32 s2, 0x80
	v_cmp_ne_u16_sdwa s[8:9], v40, s2 src0_sel:BYTE_0 src1_sel:DWORD
	v_bfrev_b32_e32 v54, 1
	s_and_saveexec_b64 s[2:3], s[8:9]
	s_cbranch_execz .LBB593_162
; %bb.159:
	s_movk_i32 s8, 0x7f
	v_and_b32_e32 v38, 0x7f, v40
	v_cmp_ne_u32_e32 vcc, s8, v38
	v_mov_b32_e32 v54, 0x7f800001
	s_and_saveexec_b64 s[8:9], vcc
	s_cbranch_execz .LBB593_161
; %bb.160:
	v_and_b32_e32 v39, 7, v40
	v_ffbh_u32_e32 v54, v39
	v_min_u32_e32 v57, 32, v54
	v_subrev_u32_e32 v54, 28, v57
	v_lshlrev_b64 v[54:55], v54, v[40:41]
	v_lshrrev_b32_e32 v56, 3, v38
	v_sub_u32_e32 v55, 29, v57
	v_and_b32_e32 v54, 7, v54
	v_cmp_gt_u32_e32 vcc, 8, v38
	v_cndmask_b32_e32 v38, v56, v55, vcc
	v_cndmask_b32_e32 v39, v39, v54, vcc
	v_lshlrev_b32_e32 v54, 24, v40
	v_bfrev_b32_e32 v55, 60
	v_lshlrev_b32_e32 v39, 20, v39
	v_and_b32_e32 v54, 0x80000000, v54
	v_lshl_add_u32 v38, v38, 23, v55
	v_or3_b32 v54, v54, v38, v39
.LBB593_161:
	s_or_b64 exec, exec, s[8:9]
.LBB593_162:
	s_or_b64 exec, exec, s[2:3]
.LBB593_163:
	s_or_b64 exec, exec, s[0:1]
	v_lshrrev_b16_e32 v38, 8, v40
	v_cmp_ne_u16_e32 vcc, 0, v38
	v_mov_b32_e32 v39, 0
	v_mov_b32_e32 v56, 0
	s_and_saveexec_b64 s[0:1], vcc
	s_cbranch_execz .LBB593_169
; %bb.164:
	s_movk_i32 s2, 0x80
	v_cmp_ne_u16_e32 vcc, s2, v38
	v_bfrev_b32_e32 v56, 1
	s_and_saveexec_b64 s[2:3], vcc
	s_cbranch_execz .LBB593_168
; %bb.165:
	s_movk_i32 s8, 0x7f
	v_and_b32_e32 v55, 0x7f, v38
	v_cmp_ne_u32_e32 vcc, s8, v55
	v_mov_b32_e32 v56, 0x7f800001
	s_and_saveexec_b64 s[8:9], vcc
	s_cbranch_execz .LBB593_167
; %bb.166:
	v_and_b32_e32 v58, 7, v38
	v_ffbh_u32_e32 v56, v58
	v_min_u32_e32 v60, 32, v56
	v_subrev_u32_e32 v56, 28, v60
	v_lshlrev_b64 v[56:57], v56, v[38:39]
	v_lshrrev_b32_e32 v59, 3, v55
	v_sub_u32_e32 v38, 29, v60
	v_and_b32_e32 v56, 7, v56
	v_cmp_gt_u32_e32 vcc, 8, v55
	v_cndmask_b32_e32 v38, v59, v38, vcc
	v_cndmask_b32_e32 v55, v58, v56, vcc
	v_lshlrev_b32_e32 v56, 16, v40
	v_bfrev_b32_e32 v57, 60
	v_lshlrev_b32_e32 v55, 20, v55
	v_and_b32_e32 v56, 0x80000000, v56
	v_lshl_add_u32 v38, v38, 23, v57
	v_or3_b32 v56, v56, v38, v55
.LBB593_167:
	s_or_b64 exec, exec, s[8:9]
.LBB593_168:
	s_or_b64 exec, exec, s[2:3]
.LBB593_169:
	s_or_b64 exec, exec, s[0:1]
	s_movk_i32 s0, 0xff
	v_and_b32_sdwa v55, v40, s0 dst_sel:DWORD dst_unused:UNUSED_PAD src0_sel:WORD_1 src1_sel:DWORD
	v_lshrrev_b32_e32 v38, 16, v40
	v_cmp_ne_u16_e32 vcc, 0, v55
	s_and_saveexec_b64 s[0:1], vcc
	s_cbranch_execz .LBB593_175
; %bb.170:
	s_movk_i32 s2, 0x80
	v_cmp_ne_u16_e32 vcc, s2, v55
	v_bfrev_b32_e32 v39, 1
	s_and_saveexec_b64 s[2:3], vcc
	s_cbranch_execz .LBB593_174
; %bb.171:
	v_bfe_u32 v55, v40, 16, 7
	s_movk_i32 s8, 0x7f
	v_cmp_ne_u32_e32 vcc, s8, v55
	v_mov_b32_e32 v39, 0x7f800001
	s_and_saveexec_b64 s[8:9], vcc
	s_cbranch_execz .LBB593_173
; %bb.172:
	v_and_b32_e32 v57, 7, v38
	v_ffbh_u32_e32 v39, v57
	v_min_u32_e32 v59, 32, v39
	v_subrev_u32_e32 v39, 28, v59
	v_lshlrev_b64 v[38:39], v39, v[38:39]
	v_lshrrev_b32_e32 v58, 3, v55
	v_sub_u32_e32 v39, 29, v59
	v_and_b32_e32 v38, 7, v38
	v_cmp_gt_u32_e32 vcc, 8, v55
	v_mov_b32_e32 v55, 24
	v_cndmask_b32_e32 v39, v58, v39, vcc
	v_cndmask_b32_e32 v38, v57, v38, vcc
	v_lshlrev_b32_sdwa v55, v55, v40 dst_sel:DWORD dst_unused:UNUSED_PAD src0_sel:DWORD src1_sel:WORD_1
	v_bfrev_b32_e32 v57, 60
	v_lshlrev_b32_e32 v38, 20, v38
	v_and_b32_e32 v55, 0x80000000, v55
	v_lshl_add_u32 v39, v39, 23, v57
	v_or3_b32 v39, v55, v39, v38
.LBB593_173:
	s_or_b64 exec, exec, s[8:9]
.LBB593_174:
	s_or_b64 exec, exec, s[2:3]
.LBB593_175:
	s_or_b64 exec, exec, s[0:1]
	s_mov_b32 s0, 0xffffff
	v_cmp_lt_u32_e32 vcc, s0, v40
	v_mov_b32_e32 v57, 0
	v_mov_b32_e32 v58, 0
	s_and_saveexec_b64 s[0:1], vcc
	s_cbranch_execz .LBB593_181
; %bb.176:
	v_lshrrev_b32_e32 v38, 24, v40
	s_movk_i32 s2, 0x80
	v_cmp_ne_u32_e32 vcc, s2, v38
	v_bfrev_b32_e32 v58, 1
	s_and_saveexec_b64 s[2:3], vcc
	s_cbranch_execz .LBB593_180
; %bb.177:
	v_bfe_u32 v40, v40, 24, 7
	s_movk_i32 s8, 0x7f
	v_cmp_ne_u32_e32 vcc, s8, v40
	v_mov_b32_e32 v58, 0x7f800001
	s_and_saveexec_b64 s[8:9], vcc
	s_cbranch_execz .LBB593_179
; %bb.178:
	v_and_b32_e32 v55, 7, v38
	v_ffbh_u32_e32 v58, v55
	v_min_u32_e32 v61, 32, v58
	v_subrev_u32_e32 v58, 28, v61
	v_lshlrev_b64 v[58:59], v58, v[38:39]
	v_lshrrev_b32_e32 v60, 3, v40
	v_sub_u32_e32 v59, 29, v61
	v_and_b32_e32 v58, 7, v58
	v_cmp_gt_u32_e32 vcc, 8, v40
	v_cndmask_b32_e32 v40, v60, v59, vcc
	v_cndmask_b32_e32 v55, v55, v58, vcc
	v_lshlrev_b32_e32 v38, 24, v38
	v_bfrev_b32_e32 v58, 60
	v_lshlrev_b32_e32 v55, 20, v55
	v_and_b32_e32 v38, 0x80000000, v38
	v_lshl_add_u32 v40, v40, 23, v58
	v_or3_b32 v58, v38, v40, v55
.LBB593_179:
	s_or_b64 exec, exec, s[8:9]
.LBB593_180:
	s_or_b64 exec, exec, s[2:3]
.LBB593_181:
	s_or_b64 exec, exec, s[0:1]
	v_cmp_ne_u16_sdwa s[2:3], v41, v57 src0_sel:BYTE_0 src1_sel:DWORD
	s_and_saveexec_b64 s[0:1], s[2:3]
	s_cbranch_execz .LBB593_187
; %bb.182:
	s_movk_i32 s2, 0x80
	v_cmp_ne_u16_sdwa s[8:9], v41, s2 src0_sel:BYTE_0 src1_sel:DWORD
	v_bfrev_b32_e32 v57, 1
	s_and_saveexec_b64 s[2:3], s[8:9]
	s_cbranch_execz .LBB593_186
; %bb.183:
	s_movk_i32 s8, 0x7f
	v_and_b32_e32 v38, 0x7f, v41
	v_cmp_ne_u32_e32 vcc, s8, v38
	v_mov_b32_e32 v57, 0x7f800001
	s_and_saveexec_b64 s[8:9], vcc
	s_cbranch_execz .LBB593_185
; %bb.184:
	v_and_b32_e32 v55, 7, v41
	v_ffbh_u32_e32 v59, v55
	v_min_u32_e32 v59, 32, v59
	v_mov_b32_e32 v40, v41
	v_subrev_u32_e32 v60, 28, v59
	v_lshlrev_b64 v[60:61], v60, v[40:41]
	v_lshrrev_b32_e32 v57, 3, v38
	v_sub_u32_e32 v40, 29, v59
	v_and_b32_e32 v59, 7, v60
	v_cmp_gt_u32_e32 vcc, 8, v38
	v_cndmask_b32_e32 v38, v57, v40, vcc
	v_cndmask_b32_e32 v40, v55, v59, vcc
	v_lshlrev_b32_e32 v55, 24, v41
	v_bfrev_b32_e32 v57, 60
	v_lshlrev_b32_e32 v40, 20, v40
	v_and_b32_e32 v55, 0x80000000, v55
	v_lshl_add_u32 v38, v38, 23, v57
	v_or3_b32 v57, v55, v38, v40
.LBB593_185:
	s_or_b64 exec, exec, s[8:9]
.LBB593_186:
	s_or_b64 exec, exec, s[2:3]
.LBB593_187:
	s_or_b64 exec, exec, s[0:1]
	v_lshrrev_b16_e32 v38, 8, v41
	v_cmp_ne_u16_e32 vcc, 0, v38
	v_mov_b32_e32 v40, 0
	v_mov_b32_e32 v59, 0
	s_and_saveexec_b64 s[0:1], vcc
	s_cbranch_execz .LBB593_193
; %bb.188:
	s_movk_i32 s2, 0x80
	v_cmp_ne_u16_e32 vcc, s2, v38
	v_bfrev_b32_e32 v59, 1
	s_and_saveexec_b64 s[2:3], vcc
	s_cbranch_execz .LBB593_192
; %bb.189:
	s_movk_i32 s8, 0x7f
	v_and_b32_e32 v55, 0x7f, v38
	v_cmp_ne_u32_e32 vcc, s8, v55
	v_mov_b32_e32 v59, 0x7f800001
	s_and_saveexec_b64 s[8:9], vcc
	s_cbranch_execz .LBB593_191
; %bb.190:
	v_and_b32_e32 v59, 7, v38
	v_ffbh_u32_e32 v60, v59
	v_min_u32_e32 v63, 32, v60
	v_subrev_u32_e32 v60, 28, v63
	v_lshlrev_b64 v[60:61], v60, v[38:39]
	v_lshrrev_b32_e32 v62, 3, v55
	v_sub_u32_e32 v38, 29, v63
	v_and_b32_e32 v60, 7, v60
	v_cmp_gt_u32_e32 vcc, 8, v55
	v_cndmask_b32_e32 v38, v62, v38, vcc
	v_cndmask_b32_e32 v55, v59, v60, vcc
	v_lshlrev_b32_e32 v59, 16, v41
	v_bfrev_b32_e32 v60, 60
	v_lshlrev_b32_e32 v55, 20, v55
	v_and_b32_e32 v59, 0x80000000, v59
	v_lshl_add_u32 v38, v38, 23, v60
	v_or3_b32 v59, v59, v38, v55
.LBB593_191:
	s_or_b64 exec, exec, s[8:9]
.LBB593_192:
	s_or_b64 exec, exec, s[2:3]
.LBB593_193:
	s_or_b64 exec, exec, s[0:1]
	s_movk_i32 s0, 0xff
	v_and_b32_sdwa v55, v41, s0 dst_sel:DWORD dst_unused:UNUSED_PAD src0_sel:WORD_1 src1_sel:DWORD
	v_lshrrev_b32_e32 v38, 16, v41
	v_cmp_ne_u16_e32 vcc, 0, v55
	s_and_saveexec_b64 s[0:1], vcc
	s_cbranch_execz .LBB593_199
; %bb.194:
	s_movk_i32 s2, 0x80
	v_cmp_ne_u16_e32 vcc, s2, v55
	v_bfrev_b32_e32 v40, 1
	s_and_saveexec_b64 s[2:3], vcc
	s_cbranch_execz .LBB593_198
; %bb.195:
	v_bfe_u32 v55, v41, 16, 7
	s_movk_i32 s8, 0x7f
	v_cmp_ne_u32_e32 vcc, s8, v55
	v_mov_b32_e32 v40, 0x7f800001
	s_and_saveexec_b64 s[8:9], vcc
	s_cbranch_execz .LBB593_197
; %bb.196:
	v_and_b32_e32 v40, 7, v38
	v_ffbh_u32_e32 v60, v40
	v_min_u32_e32 v63, 32, v60
	v_subrev_u32_e32 v60, 28, v63
	v_lshlrev_b64 v[60:61], v60, v[38:39]
	v_lshrrev_b32_e32 v62, 3, v55
	v_sub_u32_e32 v38, 29, v63
	v_and_b32_e32 v60, 7, v60
	v_cmp_gt_u32_e32 vcc, 8, v55
	v_mov_b32_e32 v55, 24
	v_cndmask_b32_e32 v38, v62, v38, vcc
	v_cndmask_b32_e32 v40, v40, v60, vcc
	v_lshlrev_b32_sdwa v55, v55, v41 dst_sel:DWORD dst_unused:UNUSED_PAD src0_sel:DWORD src1_sel:WORD_1
	v_bfrev_b32_e32 v60, 60
	v_lshlrev_b32_e32 v40, 20, v40
	v_and_b32_e32 v55, 0x80000000, v55
	v_lshl_add_u32 v38, v38, 23, v60
	v_or3_b32 v40, v55, v38, v40
.LBB593_197:
	s_or_b64 exec, exec, s[8:9]
.LBB593_198:
	s_or_b64 exec, exec, s[2:3]
.LBB593_199:
	s_or_b64 exec, exec, s[0:1]
	s_mov_b32 s0, 0xffffff
	v_cmp_lt_u32_e32 vcc, s0, v41
	v_mov_b32_e32 v55, 0
	v_mov_b32_e32 v60, 0
	s_and_saveexec_b64 s[0:1], vcc
	s_cbranch_execz .LBB593_205
; %bb.200:
	v_lshrrev_b32_e32 v38, 24, v41
	s_movk_i32 s2, 0x80
	v_cmp_ne_u32_e32 vcc, s2, v38
	v_bfrev_b32_e32 v60, 1
	s_and_saveexec_b64 s[2:3], vcc
	s_cbranch_execz .LBB593_204
; %bb.201:
	v_bfe_u32 v41, v41, 24, 7
	s_movk_i32 s8, 0x7f
	v_cmp_ne_u32_e32 vcc, s8, v41
	v_mov_b32_e32 v60, 0x7f800001
	s_and_saveexec_b64 s[8:9], vcc
	s_cbranch_execz .LBB593_203
; %bb.202:
	v_and_b32_e32 v62, 7, v38
	v_ffbh_u32_e32 v60, v62
	v_min_u32_e32 v64, 32, v60
	v_subrev_u32_e32 v60, 28, v64
	v_lshlrev_b64 v[60:61], v60, v[38:39]
	v_lshrrev_b32_e32 v63, 3, v41
	v_sub_u32_e32 v61, 29, v64
	v_and_b32_e32 v60, 7, v60
	v_cmp_gt_u32_e32 vcc, 8, v41
	v_cndmask_b32_e32 v41, v63, v61, vcc
	v_cndmask_b32_e32 v60, v62, v60, vcc
	v_lshlrev_b32_e32 v38, 24, v38
	v_bfrev_b32_e32 v61, 60
	v_lshlrev_b32_e32 v60, 20, v60
	v_and_b32_e32 v38, 0x80000000, v38
	v_lshl_add_u32 v41, v41, 23, v61
	v_or3_b32 v60, v38, v41, v60
.LBB593_203:
	s_or_b64 exec, exec, s[8:9]
.LBB593_204:
	s_or_b64 exec, exec, s[2:3]
.LBB593_205:
	s_or_b64 exec, exec, s[0:1]
	v_cvt_pkrtz_f16_f32 v38, v54, v56
	v_cvt_pkrtz_f16_f32 v39, v39, v58
	v_cmp_ne_u16_sdwa s[2:3], v30, v55 src0_sel:BYTE_0 src1_sel:DWORD
	s_nop 0
	v_mfma_f32_16x16x16f16 v[42:45], v[38:39], v[18:19], v[42:45]
	v_cvt_pkrtz_f16_f32 v38, v57, v59
	v_cvt_pkrtz_f16_f32 v39, v40, v60
	s_nop 1
	v_mfma_f32_16x16x16f16 v[38:41], v[38:39], v[20:21], v[42:45]
	s_and_saveexec_b64 s[0:1], s[2:3]
	s_cbranch_execz .LBB593_211
; %bb.206:
	s_movk_i32 s2, 0x80
	v_cmp_ne_u16_sdwa s[8:9], v30, s2 src0_sel:BYTE_0 src1_sel:DWORD
	v_bfrev_b32_e32 v55, 1
	s_and_saveexec_b64 s[2:3], s[8:9]
	s_cbranch_execz .LBB593_210
; %bb.207:
	s_movk_i32 s8, 0x7f
	v_and_b32_e32 v42, 0x7f, v30
	v_cmp_ne_u32_e32 vcc, s8, v42
	v_mov_b32_e32 v55, 0x7f800001
	s_and_saveexec_b64 s[8:9], vcc
	s_cbranch_execz .LBB593_209
; %bb.208:
	v_and_b32_e32 v43, 7, v30
	v_ffbh_u32_e32 v44, v43
	v_min_u32_e32 v55, 32, v44
	v_subrev_u32_e32 v44, 28, v55
	v_lshlrev_b64 v[44:45], v44, v[30:31]
	v_lshrrev_b32_e32 v54, 3, v42
	v_sub_u32_e32 v45, 29, v55
	v_and_b32_e32 v44, 7, v44
	v_cmp_gt_u32_e32 vcc, 8, v42
	v_cndmask_b32_e32 v42, v54, v45, vcc
	v_cndmask_b32_e32 v43, v43, v44, vcc
	v_lshlrev_b32_e32 v44, 24, v30
	v_bfrev_b32_e32 v45, 60
	v_lshlrev_b32_e32 v43, 20, v43
	v_and_b32_e32 v44, 0x80000000, v44
	v_lshl_add_u32 v42, v42, 23, v45
	v_or3_b32 v55, v44, v42, v43
.LBB593_209:
	s_or_b64 exec, exec, s[8:9]
.LBB593_210:
	s_or_b64 exec, exec, s[2:3]
.LBB593_211:
	s_or_b64 exec, exec, s[0:1]
	s_nop 3
	v_lshrrev_b16_e32 v42, 8, v30
	v_cmp_ne_u16_e32 vcc, 0, v42
	v_mov_b32_e32 v43, 0
	v_mov_b32_e32 v44, 0
	s_and_saveexec_b64 s[0:1], vcc
	s_cbranch_execz .LBB593_217
; %bb.212:
	s_movk_i32 s2, 0x80
	v_cmp_ne_u16_e32 vcc, s2, v42
	v_bfrev_b32_e32 v44, 1
	s_and_saveexec_b64 s[2:3], vcc
	s_cbranch_execz .LBB593_216
; %bb.213:
	s_movk_i32 s8, 0x7f
	v_and_b32_e32 v45, 0x7f, v42
	v_cmp_ne_u32_e32 vcc, s8, v45
	v_mov_b32_e32 v44, 0x7f800001
	s_and_saveexec_b64 s[8:9], vcc
	s_cbranch_execz .LBB593_215
; %bb.214:
	v_and_b32_e32 v44, 7, v42
	v_ffbh_u32_e32 v56, v44
	v_min_u32_e32 v58, 32, v56
	v_subrev_u32_e32 v56, 28, v58
	v_lshlrev_b64 v[56:57], v56, v[42:43]
	v_lshrrev_b32_e32 v54, 3, v45
	v_sub_u32_e32 v42, 29, v58
	v_and_b32_e32 v56, 7, v56
	v_cmp_gt_u32_e32 vcc, 8, v45
	v_cndmask_b32_e32 v42, v54, v42, vcc
	v_cndmask_b32_e32 v44, v44, v56, vcc
	v_lshlrev_b32_e32 v45, 16, v30
	v_bfrev_b32_e32 v54, 60
	v_lshlrev_b32_e32 v44, 20, v44
	v_and_b32_e32 v45, 0x80000000, v45
	v_lshl_add_u32 v42, v42, 23, v54
	v_or3_b32 v44, v45, v42, v44
.LBB593_215:
	s_or_b64 exec, exec, s[8:9]
.LBB593_216:
	s_or_b64 exec, exec, s[2:3]
.LBB593_217:
	s_or_b64 exec, exec, s[0:1]
	s_movk_i32 s0, 0xff
	v_and_b32_sdwa v45, v30, s0 dst_sel:DWORD dst_unused:UNUSED_PAD src0_sel:WORD_1 src1_sel:DWORD
	v_lshrrev_b32_e32 v42, 16, v30
	v_cmp_ne_u16_e32 vcc, 0, v45
	s_and_saveexec_b64 s[0:1], vcc
	s_cbranch_execz .LBB593_223
; %bb.218:
	s_movk_i32 s2, 0x80
	v_cmp_ne_u16_e32 vcc, s2, v45
	v_bfrev_b32_e32 v43, 1
	s_and_saveexec_b64 s[2:3], vcc
	s_cbranch_execz .LBB593_222
; %bb.219:
	v_bfe_u32 v45, v30, 16, 7
	s_movk_i32 s8, 0x7f
	v_cmp_ne_u32_e32 vcc, s8, v45
	v_mov_b32_e32 v43, 0x7f800001
	s_and_saveexec_b64 s[8:9], vcc
	s_cbranch_execz .LBB593_221
; %bb.220:
	v_and_b32_e32 v54, 7, v42
	v_ffbh_u32_e32 v43, v54
	v_min_u32_e32 v57, 32, v43
	v_subrev_u32_e32 v43, 28, v57
	v_lshlrev_b64 v[42:43], v43, v[42:43]
	v_lshrrev_b32_e32 v56, 3, v45
	v_sub_u32_e32 v43, 29, v57
	v_and_b32_e32 v42, 7, v42
	v_cmp_gt_u32_e32 vcc, 8, v45
	v_mov_b32_e32 v45, 24
	v_cndmask_b32_e32 v43, v56, v43, vcc
	v_cndmask_b32_e32 v42, v54, v42, vcc
	v_lshlrev_b32_sdwa v45, v45, v30 dst_sel:DWORD dst_unused:UNUSED_PAD src0_sel:DWORD src1_sel:WORD_1
	v_bfrev_b32_e32 v54, 60
	v_lshlrev_b32_e32 v42, 20, v42
	v_and_b32_e32 v45, 0x80000000, v45
	v_lshl_add_u32 v43, v43, 23, v54
	v_or3_b32 v43, v45, v43, v42
.LBB593_221:
	s_or_b64 exec, exec, s[8:9]
.LBB593_222:
	s_or_b64 exec, exec, s[2:3]
.LBB593_223:
	s_or_b64 exec, exec, s[0:1]
	s_mov_b32 s0, 0xffffff
	v_cmp_lt_u32_e32 vcc, s0, v30
	v_mov_b32_e32 v45, 0
	v_mov_b32_e32 v56, 0
	s_and_saveexec_b64 s[0:1], vcc
	s_cbranch_execz .LBB593_229
; %bb.224:
	v_lshrrev_b32_e32 v42, 24, v30
	s_movk_i32 s2, 0x80
	v_cmp_ne_u32_e32 vcc, s2, v42
	v_bfrev_b32_e32 v56, 1
	s_and_saveexec_b64 s[2:3], vcc
	s_cbranch_execz .LBB593_228
; %bb.225:
	v_bfe_u32 v30, v30, 24, 7
	s_movk_i32 s8, 0x7f
	v_cmp_ne_u32_e32 vcc, s8, v30
	v_mov_b32_e32 v56, 0x7f800001
	s_and_saveexec_b64 s[8:9], vcc
	s_cbranch_execz .LBB593_227
; %bb.226:
	v_and_b32_e32 v54, 7, v42
	v_ffbh_u32_e32 v56, v54
	v_min_u32_e32 v59, 32, v56
	v_subrev_u32_e32 v56, 28, v59
	v_lshlrev_b64 v[56:57], v56, v[42:43]
	v_lshrrev_b32_e32 v58, 3, v30
	v_sub_u32_e32 v57, 29, v59
	v_and_b32_e32 v56, 7, v56
	v_cmp_gt_u32_e32 vcc, 8, v30
	v_cndmask_b32_e32 v30, v58, v57, vcc
	v_cndmask_b32_e32 v54, v54, v56, vcc
	v_lshlrev_b32_e32 v42, 24, v42
	v_bfrev_b32_e32 v56, 60
	v_lshlrev_b32_e32 v54, 20, v54
	v_and_b32_e32 v42, 0x80000000, v42
	v_lshl_add_u32 v30, v30, 23, v56
	v_or3_b32 v56, v42, v30, v54
.LBB593_227:
	s_or_b64 exec, exec, s[8:9]
.LBB593_228:
	s_or_b64 exec, exec, s[2:3]
.LBB593_229:
	s_or_b64 exec, exec, s[0:1]
	v_cmp_ne_u16_sdwa s[2:3], v31, v45 src0_sel:BYTE_0 src1_sel:DWORD
	s_and_saveexec_b64 s[0:1], s[2:3]
	s_cbranch_execz .LBB593_235
; %bb.230:
	s_movk_i32 s2, 0x80
	v_cmp_ne_u16_sdwa s[8:9], v31, s2 src0_sel:BYTE_0 src1_sel:DWORD
	v_bfrev_b32_e32 v45, 1
	s_and_saveexec_b64 s[2:3], s[8:9]
	s_cbranch_execz .LBB593_234
; %bb.231:
	s_movk_i32 s8, 0x7f
	v_and_b32_e32 v30, 0x7f, v31
	v_cmp_ne_u32_e32 vcc, s8, v30
	v_mov_b32_e32 v45, 0x7f800001
	s_and_saveexec_b64 s[8:9], vcc
	s_cbranch_execz .LBB593_233
; %bb.232:
	v_and_b32_e32 v45, 7, v31
	v_ffbh_u32_e32 v57, v45
	v_min_u32_e32 v57, 32, v57
	v_mov_b32_e32 v42, v31
	v_subrev_u32_e32 v58, 28, v57
	v_lshlrev_b64 v[58:59], v58, v[42:43]
	v_lshrrev_b32_e32 v54, 3, v30
	v_sub_u32_e32 v42, 29, v57
	v_and_b32_e32 v57, 7, v58
	v_cmp_gt_u32_e32 vcc, 8, v30
	v_cndmask_b32_e32 v30, v54, v42, vcc
	v_cndmask_b32_e32 v42, v45, v57, vcc
	v_lshlrev_b32_e32 v45, 24, v31
	v_bfrev_b32_e32 v54, 60
	v_lshlrev_b32_e32 v42, 20, v42
	v_and_b32_e32 v45, 0x80000000, v45
	v_lshl_add_u32 v30, v30, 23, v54
	v_or3_b32 v45, v45, v30, v42
.LBB593_233:
	s_or_b64 exec, exec, s[8:9]
.LBB593_234:
	s_or_b64 exec, exec, s[2:3]
.LBB593_235:
	s_or_b64 exec, exec, s[0:1]
	v_lshrrev_b16_e32 v30, 8, v31
	v_cmp_ne_u16_e32 vcc, 0, v30
	v_mov_b32_e32 v42, 0
	v_mov_b32_e32 v57, 0
	s_and_saveexec_b64 s[0:1], vcc
	s_cbranch_execz .LBB593_241
; %bb.236:
	s_movk_i32 s2, 0x80
	v_cmp_ne_u16_e32 vcc, s2, v30
	v_bfrev_b32_e32 v57, 1
	s_and_saveexec_b64 s[2:3], vcc
	s_cbranch_execz .LBB593_240
; %bb.237:
	s_movk_i32 s8, 0x7f
	v_and_b32_e32 v54, 0x7f, v30
	v_cmp_ne_u32_e32 vcc, s8, v54
	v_mov_b32_e32 v57, 0x7f800001
	s_and_saveexec_b64 s[8:9], vcc
	s_cbranch_execz .LBB593_239
; %bb.238:
	v_and_b32_e32 v57, 7, v30
	v_ffbh_u32_e32 v58, v57
	v_min_u32_e32 v61, 32, v58
	v_subrev_u32_e32 v58, 28, v61
	v_lshlrev_b64 v[58:59], v58, v[30:31]
	v_lshrrev_b32_e32 v60, 3, v54
	v_sub_u32_e32 v30, 29, v61
	v_and_b32_e32 v58, 7, v58
	v_cmp_gt_u32_e32 vcc, 8, v54
	v_cndmask_b32_e32 v30, v60, v30, vcc
	v_cndmask_b32_e32 v54, v57, v58, vcc
	v_lshlrev_b32_e32 v57, 16, v31
	v_bfrev_b32_e32 v58, 60
	v_lshlrev_b32_e32 v54, 20, v54
	v_and_b32_e32 v57, 0x80000000, v57
	v_lshl_add_u32 v30, v30, 23, v58
	v_or3_b32 v57, v57, v30, v54
.LBB593_239:
	s_or_b64 exec, exec, s[8:9]
.LBB593_240:
	s_or_b64 exec, exec, s[2:3]
.LBB593_241:
	s_or_b64 exec, exec, s[0:1]
	s_movk_i32 s0, 0xff
	v_and_b32_sdwa v54, v31, s0 dst_sel:DWORD dst_unused:UNUSED_PAD src0_sel:WORD_1 src1_sel:DWORD
	v_lshrrev_b32_e32 v30, 16, v31
	v_cmp_ne_u16_e32 vcc, 0, v54
	s_and_saveexec_b64 s[0:1], vcc
	s_cbranch_execz .LBB593_247
; %bb.242:
	s_movk_i32 s2, 0x80
	v_cmp_ne_u16_e32 vcc, s2, v54
	v_bfrev_b32_e32 v42, 1
	s_and_saveexec_b64 s[2:3], vcc
	s_cbranch_execz .LBB593_246
; %bb.243:
	v_bfe_u32 v54, v31, 16, 7
	s_movk_i32 s8, 0x7f
	v_cmp_ne_u32_e32 vcc, s8, v54
	v_mov_b32_e32 v42, 0x7f800001
	s_and_saveexec_b64 s[8:9], vcc
	s_cbranch_execz .LBB593_245
; %bb.244:
	v_and_b32_e32 v42, 7, v30
	v_ffbh_u32_e32 v58, v42
	v_min_u32_e32 v61, 32, v58
	v_subrev_u32_e32 v58, 28, v61
	v_lshlrev_b64 v[58:59], v58, v[30:31]
	v_lshrrev_b32_e32 v60, 3, v54
	v_sub_u32_e32 v30, 29, v61
	v_and_b32_e32 v58, 7, v58
	v_cmp_gt_u32_e32 vcc, 8, v54
	v_mov_b32_e32 v54, 24
	v_cndmask_b32_e32 v30, v60, v30, vcc
	v_cndmask_b32_e32 v42, v42, v58, vcc
	v_lshlrev_b32_sdwa v54, v54, v31 dst_sel:DWORD dst_unused:UNUSED_PAD src0_sel:DWORD src1_sel:WORD_1
	v_bfrev_b32_e32 v58, 60
	v_lshlrev_b32_e32 v42, 20, v42
	v_and_b32_e32 v54, 0x80000000, v54
	v_lshl_add_u32 v30, v30, 23, v58
	v_or3_b32 v42, v54, v30, v42
.LBB593_245:
	s_or_b64 exec, exec, s[8:9]
.LBB593_246:
	s_or_b64 exec, exec, s[2:3]
.LBB593_247:
	s_or_b64 exec, exec, s[0:1]
	s_mov_b32 s0, 0xffffff
	v_cmp_lt_u32_e32 vcc, s0, v31
	v_mov_b32_e32 v54, 0
	v_mov_b32_e32 v58, 0
	s_and_saveexec_b64 s[0:1], vcc
	s_cbranch_execz .LBB593_253
; %bb.248:
	v_lshrrev_b32_e32 v30, 24, v31
	s_movk_i32 s2, 0x80
	v_cmp_ne_u32_e32 vcc, s2, v30
	v_bfrev_b32_e32 v58, 1
	s_and_saveexec_b64 s[2:3], vcc
	s_cbranch_execz .LBB593_252
; %bb.249:
	v_bfe_u32 v31, v31, 24, 7
	s_movk_i32 s8, 0x7f
	v_cmp_ne_u32_e32 vcc, s8, v31
	v_mov_b32_e32 v58, 0x7f800001
	s_and_saveexec_b64 s[8:9], vcc
	s_cbranch_execz .LBB593_251
; %bb.250:
	v_and_b32_e32 v60, 7, v30
	v_ffbh_u32_e32 v58, v60
	v_min_u32_e32 v62, 32, v58
	v_subrev_u32_e32 v58, 28, v62
	v_lshlrev_b64 v[58:59], v58, v[30:31]
	v_lshrrev_b32_e32 v61, 3, v31
	v_sub_u32_e32 v59, 29, v62
	v_and_b32_e32 v58, 7, v58
	v_cmp_gt_u32_e32 vcc, 8, v31
	v_cndmask_b32_e32 v31, v61, v59, vcc
	v_cndmask_b32_e32 v58, v60, v58, vcc
	v_lshlrev_b32_e32 v30, 24, v30
	v_bfrev_b32_e32 v59, 60
	v_lshlrev_b32_e32 v58, 20, v58
	v_and_b32_e32 v30, 0x80000000, v30
	v_lshl_add_u32 v31, v31, 23, v59
	v_or3_b32 v58, v30, v31, v58
.LBB593_251:
	s_or_b64 exec, exec, s[8:9]
.LBB593_252:
	s_or_b64 exec, exec, s[2:3]
.LBB593_253:
	s_or_b64 exec, exec, s[0:1]
	v_cvt_pkrtz_f16_f32 v30, v55, v44
	v_cvt_pkrtz_f16_f32 v31, v43, v56
	v_cmp_ne_u16_sdwa s[2:3], v32, v54 src0_sel:BYTE_0 src1_sel:DWORD
	s_nop 0
	v_mfma_f32_16x16x16f16 v[60:63], v[30:31], v[26:27], 0
	v_cvt_pkrtz_f16_f32 v30, v45, v57
	v_cvt_pkrtz_f16_f32 v31, v42, v58
	s_nop 1
	v_mfma_f32_16x16x16f16 v[42:45], v[30:31], v[28:29], v[60:63]
	s_and_saveexec_b64 s[0:1], s[2:3]
	s_cbranch_execz .LBB593_259
; %bb.254:
	s_movk_i32 s2, 0x80
	v_cmp_ne_u16_sdwa s[8:9], v32, s2 src0_sel:BYTE_0 src1_sel:DWORD
	v_bfrev_b32_e32 v54, 1
	s_and_saveexec_b64 s[2:3], s[8:9]
	s_cbranch_execz .LBB593_258
; %bb.255:
	s_movk_i32 s8, 0x7f
	v_and_b32_e32 v30, 0x7f, v32
	v_cmp_ne_u32_e32 vcc, s8, v30
	v_mov_b32_e32 v54, 0x7f800001
	s_and_saveexec_b64 s[8:9], vcc
	s_cbranch_execz .LBB593_257
; %bb.256:
	v_and_b32_e32 v31, 7, v32
	v_ffbh_u32_e32 v54, v31
	v_min_u32_e32 v57, 32, v54
	v_subrev_u32_e32 v54, 28, v57
	v_lshlrev_b64 v[54:55], v54, v[32:33]
	v_lshrrev_b32_e32 v56, 3, v30
	v_sub_u32_e32 v55, 29, v57
	v_and_b32_e32 v54, 7, v54
	v_cmp_gt_u32_e32 vcc, 8, v30
	v_cndmask_b32_e32 v30, v56, v55, vcc
	v_cndmask_b32_e32 v31, v31, v54, vcc
	v_lshlrev_b32_e32 v54, 24, v32
	v_bfrev_b32_e32 v55, 60
	v_lshlrev_b32_e32 v31, 20, v31
	v_and_b32_e32 v54, 0x80000000, v54
	v_lshl_add_u32 v30, v30, 23, v55
	v_or3_b32 v54, v54, v30, v31
.LBB593_257:
	s_or_b64 exec, exec, s[8:9]
.LBB593_258:
	s_or_b64 exec, exec, s[2:3]
.LBB593_259:
	s_or_b64 exec, exec, s[0:1]
	v_lshrrev_b16_e32 v30, 8, v32
	v_cmp_ne_u16_e32 vcc, 0, v30
	v_mov_b32_e32 v31, 0
	v_mov_b32_e32 v56, 0
	s_and_saveexec_b64 s[0:1], vcc
	s_cbranch_execz .LBB593_265
; %bb.260:
	s_movk_i32 s2, 0x80
	v_cmp_ne_u16_e32 vcc, s2, v30
	v_bfrev_b32_e32 v56, 1
	s_and_saveexec_b64 s[2:3], vcc
	s_cbranch_execz .LBB593_264
; %bb.261:
	s_movk_i32 s8, 0x7f
	v_and_b32_e32 v55, 0x7f, v30
	v_cmp_ne_u32_e32 vcc, s8, v55
	v_mov_b32_e32 v56, 0x7f800001
	s_and_saveexec_b64 s[8:9], vcc
	s_cbranch_execz .LBB593_263
; %bb.262:
	v_and_b32_e32 v58, 7, v30
	v_ffbh_u32_e32 v56, v58
	v_min_u32_e32 v60, 32, v56
	v_subrev_u32_e32 v56, 28, v60
	v_lshlrev_b64 v[56:57], v56, v[30:31]
	v_lshrrev_b32_e32 v59, 3, v55
	v_sub_u32_e32 v30, 29, v60
	v_and_b32_e32 v56, 7, v56
	v_cmp_gt_u32_e32 vcc, 8, v55
	v_cndmask_b32_e32 v30, v59, v30, vcc
	v_cndmask_b32_e32 v55, v58, v56, vcc
	v_lshlrev_b32_e32 v56, 16, v32
	v_bfrev_b32_e32 v57, 60
	v_lshlrev_b32_e32 v55, 20, v55
	v_and_b32_e32 v56, 0x80000000, v56
	v_lshl_add_u32 v30, v30, 23, v57
	v_or3_b32 v56, v56, v30, v55
.LBB593_263:
	s_or_b64 exec, exec, s[8:9]
.LBB593_264:
	s_or_b64 exec, exec, s[2:3]
.LBB593_265:
	s_or_b64 exec, exec, s[0:1]
	s_movk_i32 s0, 0xff
	v_and_b32_sdwa v55, v32, s0 dst_sel:DWORD dst_unused:UNUSED_PAD src0_sel:WORD_1 src1_sel:DWORD
	v_lshrrev_b32_e32 v30, 16, v32
	v_cmp_ne_u16_e32 vcc, 0, v55
	s_and_saveexec_b64 s[0:1], vcc
	s_cbranch_execz .LBB593_271
; %bb.266:
	s_movk_i32 s2, 0x80
	v_cmp_ne_u16_e32 vcc, s2, v55
	v_bfrev_b32_e32 v31, 1
	s_and_saveexec_b64 s[2:3], vcc
	s_cbranch_execz .LBB593_270
; %bb.267:
	v_bfe_u32 v55, v32, 16, 7
	s_movk_i32 s8, 0x7f
	v_cmp_ne_u32_e32 vcc, s8, v55
	v_mov_b32_e32 v31, 0x7f800001
	s_and_saveexec_b64 s[8:9], vcc
	s_cbranch_execz .LBB593_269
; %bb.268:
	v_and_b32_e32 v57, 7, v30
	v_ffbh_u32_e32 v31, v57
	v_min_u32_e32 v59, 32, v31
	v_subrev_u32_e32 v31, 28, v59
	v_lshlrev_b64 v[30:31], v31, v[30:31]
	v_lshrrev_b32_e32 v58, 3, v55
	v_sub_u32_e32 v31, 29, v59
	v_and_b32_e32 v30, 7, v30
	v_cmp_gt_u32_e32 vcc, 8, v55
	v_mov_b32_e32 v55, 24
	v_cndmask_b32_e32 v31, v58, v31, vcc
	v_cndmask_b32_e32 v30, v57, v30, vcc
	v_lshlrev_b32_sdwa v55, v55, v32 dst_sel:DWORD dst_unused:UNUSED_PAD src0_sel:DWORD src1_sel:WORD_1
	v_bfrev_b32_e32 v57, 60
	v_lshlrev_b32_e32 v30, 20, v30
	v_and_b32_e32 v55, 0x80000000, v55
	v_lshl_add_u32 v31, v31, 23, v57
	v_or3_b32 v31, v55, v31, v30
.LBB593_269:
	s_or_b64 exec, exec, s[8:9]
.LBB593_270:
	s_or_b64 exec, exec, s[2:3]
.LBB593_271:
	s_or_b64 exec, exec, s[0:1]
	s_mov_b32 s0, 0xffffff
	v_cmp_lt_u32_e32 vcc, s0, v32
	v_mov_b32_e32 v57, 0
	v_mov_b32_e32 v58, 0
	s_and_saveexec_b64 s[0:1], vcc
	s_cbranch_execz .LBB593_277
; %bb.272:
	v_lshrrev_b32_e32 v30, 24, v32
	s_movk_i32 s2, 0x80
	v_cmp_ne_u32_e32 vcc, s2, v30
	v_bfrev_b32_e32 v58, 1
	s_and_saveexec_b64 s[2:3], vcc
	s_cbranch_execz .LBB593_276
; %bb.273:
	v_bfe_u32 v32, v32, 24, 7
	s_movk_i32 s8, 0x7f
	v_cmp_ne_u32_e32 vcc, s8, v32
	v_mov_b32_e32 v58, 0x7f800001
	s_and_saveexec_b64 s[8:9], vcc
	s_cbranch_execz .LBB593_275
; %bb.274:
	v_and_b32_e32 v55, 7, v30
	v_ffbh_u32_e32 v58, v55
	v_min_u32_e32 v61, 32, v58
	v_subrev_u32_e32 v58, 28, v61
	v_lshlrev_b64 v[58:59], v58, v[30:31]
	v_lshrrev_b32_e32 v60, 3, v32
	v_sub_u32_e32 v59, 29, v61
	v_and_b32_e32 v58, 7, v58
	v_cmp_gt_u32_e32 vcc, 8, v32
	v_cndmask_b32_e32 v32, v60, v59, vcc
	v_cndmask_b32_e32 v55, v55, v58, vcc
	v_lshlrev_b32_e32 v30, 24, v30
	v_bfrev_b32_e32 v58, 60
	v_lshlrev_b32_e32 v55, 20, v55
	v_and_b32_e32 v30, 0x80000000, v30
	v_lshl_add_u32 v32, v32, 23, v58
	v_or3_b32 v58, v30, v32, v55
.LBB593_275:
	s_or_b64 exec, exec, s[8:9]
.LBB593_276:
	s_or_b64 exec, exec, s[2:3]
.LBB593_277:
	s_or_b64 exec, exec, s[0:1]
	v_cmp_ne_u16_sdwa s[2:3], v33, v57 src0_sel:BYTE_0 src1_sel:DWORD
	s_and_saveexec_b64 s[0:1], s[2:3]
	s_cbranch_execz .LBB593_283
; %bb.278:
	s_movk_i32 s2, 0x80
	v_cmp_ne_u16_sdwa s[8:9], v33, s2 src0_sel:BYTE_0 src1_sel:DWORD
	v_bfrev_b32_e32 v57, 1
	s_and_saveexec_b64 s[2:3], s[8:9]
	s_cbranch_execz .LBB593_282
; %bb.279:
	s_movk_i32 s8, 0x7f
	v_and_b32_e32 v30, 0x7f, v33
	v_cmp_ne_u32_e32 vcc, s8, v30
	v_mov_b32_e32 v57, 0x7f800001
	s_and_saveexec_b64 s[8:9], vcc
	s_cbranch_execz .LBB593_281
; %bb.280:
	v_and_b32_e32 v55, 7, v33
	v_ffbh_u32_e32 v59, v55
	v_min_u32_e32 v59, 32, v59
	v_mov_b32_e32 v32, v33
	v_subrev_u32_e32 v60, 28, v59
	v_lshlrev_b64 v[60:61], v60, v[32:33]
	v_lshrrev_b32_e32 v57, 3, v30
	v_sub_u32_e32 v32, 29, v59
	v_and_b32_e32 v59, 7, v60
	v_cmp_gt_u32_e32 vcc, 8, v30
	v_cndmask_b32_e32 v30, v57, v32, vcc
	v_cndmask_b32_e32 v32, v55, v59, vcc
	v_lshlrev_b32_e32 v55, 24, v33
	v_bfrev_b32_e32 v57, 60
	v_lshlrev_b32_e32 v32, 20, v32
	v_and_b32_e32 v55, 0x80000000, v55
	v_lshl_add_u32 v30, v30, 23, v57
	v_or3_b32 v57, v55, v30, v32
.LBB593_281:
	s_or_b64 exec, exec, s[8:9]
.LBB593_282:
	s_or_b64 exec, exec, s[2:3]
.LBB593_283:
	s_or_b64 exec, exec, s[0:1]
	v_lshrrev_b16_e32 v30, 8, v33
	v_cmp_ne_u16_e32 vcc, 0, v30
	v_mov_b32_e32 v32, 0
	v_mov_b32_e32 v59, 0
	s_and_saveexec_b64 s[0:1], vcc
	s_cbranch_execz .LBB593_289
; %bb.284:
	s_movk_i32 s2, 0x80
	v_cmp_ne_u16_e32 vcc, s2, v30
	v_bfrev_b32_e32 v59, 1
	s_and_saveexec_b64 s[2:3], vcc
	s_cbranch_execz .LBB593_288
; %bb.285:
	s_movk_i32 s8, 0x7f
	v_and_b32_e32 v55, 0x7f, v30
	v_cmp_ne_u32_e32 vcc, s8, v55
	v_mov_b32_e32 v59, 0x7f800001
	s_and_saveexec_b64 s[8:9], vcc
	s_cbranch_execz .LBB593_287
; %bb.286:
	v_and_b32_e32 v59, 7, v30
	v_ffbh_u32_e32 v60, v59
	v_min_u32_e32 v63, 32, v60
	v_subrev_u32_e32 v60, 28, v63
	v_lshlrev_b64 v[60:61], v60, v[30:31]
	v_lshrrev_b32_e32 v62, 3, v55
	v_sub_u32_e32 v30, 29, v63
	v_and_b32_e32 v60, 7, v60
	v_cmp_gt_u32_e32 vcc, 8, v55
	v_cndmask_b32_e32 v30, v62, v30, vcc
	v_cndmask_b32_e32 v55, v59, v60, vcc
	v_lshlrev_b32_e32 v59, 16, v33
	v_bfrev_b32_e32 v60, 60
	v_lshlrev_b32_e32 v55, 20, v55
	v_and_b32_e32 v59, 0x80000000, v59
	v_lshl_add_u32 v30, v30, 23, v60
	v_or3_b32 v59, v59, v30, v55
.LBB593_287:
	s_or_b64 exec, exec, s[8:9]
.LBB593_288:
	s_or_b64 exec, exec, s[2:3]
.LBB593_289:
	s_or_b64 exec, exec, s[0:1]
	s_movk_i32 s0, 0xff
	v_and_b32_sdwa v55, v33, s0 dst_sel:DWORD dst_unused:UNUSED_PAD src0_sel:WORD_1 src1_sel:DWORD
	v_lshrrev_b32_e32 v30, 16, v33
	v_cmp_ne_u16_e32 vcc, 0, v55
	s_and_saveexec_b64 s[0:1], vcc
	s_cbranch_execz .LBB593_295
; %bb.290:
	s_movk_i32 s2, 0x80
	v_cmp_ne_u16_e32 vcc, s2, v55
	v_bfrev_b32_e32 v32, 1
	s_and_saveexec_b64 s[2:3], vcc
	s_cbranch_execz .LBB593_294
; %bb.291:
	v_bfe_u32 v55, v33, 16, 7
	s_movk_i32 s8, 0x7f
	v_cmp_ne_u32_e32 vcc, s8, v55
	v_mov_b32_e32 v32, 0x7f800001
	s_and_saveexec_b64 s[8:9], vcc
	s_cbranch_execz .LBB593_293
; %bb.292:
	v_and_b32_e32 v32, 7, v30
	v_ffbh_u32_e32 v60, v32
	v_min_u32_e32 v63, 32, v60
	v_subrev_u32_e32 v60, 28, v63
	v_lshlrev_b64 v[60:61], v60, v[30:31]
	v_lshrrev_b32_e32 v62, 3, v55
	v_sub_u32_e32 v30, 29, v63
	v_and_b32_e32 v60, 7, v60
	v_cmp_gt_u32_e32 vcc, 8, v55
	v_mov_b32_e32 v55, 24
	v_cndmask_b32_e32 v30, v62, v30, vcc
	v_cndmask_b32_e32 v32, v32, v60, vcc
	v_lshlrev_b32_sdwa v55, v55, v33 dst_sel:DWORD dst_unused:UNUSED_PAD src0_sel:DWORD src1_sel:WORD_1
	v_bfrev_b32_e32 v60, 60
	v_lshlrev_b32_e32 v32, 20, v32
	v_and_b32_e32 v55, 0x80000000, v55
	v_lshl_add_u32 v30, v30, 23, v60
	v_or3_b32 v32, v55, v30, v32
.LBB593_293:
	s_or_b64 exec, exec, s[8:9]
.LBB593_294:
	s_or_b64 exec, exec, s[2:3]
.LBB593_295:
	s_or_b64 exec, exec, s[0:1]
	s_mov_b32 s0, 0xffffff
	v_cmp_lt_u32_e32 vcc, s0, v33
	v_mov_b32_e32 v55, 0
	v_mov_b32_e32 v60, 0
	s_and_saveexec_b64 s[0:1], vcc
	s_cbranch_execz .LBB593_301
; %bb.296:
	v_lshrrev_b32_e32 v30, 24, v33
	s_movk_i32 s2, 0x80
	v_cmp_ne_u32_e32 vcc, s2, v30
	v_bfrev_b32_e32 v60, 1
	s_and_saveexec_b64 s[2:3], vcc
	s_cbranch_execz .LBB593_300
; %bb.297:
	v_bfe_u32 v33, v33, 24, 7
	s_movk_i32 s8, 0x7f
	v_cmp_ne_u32_e32 vcc, s8, v33
	v_mov_b32_e32 v60, 0x7f800001
	s_and_saveexec_b64 s[8:9], vcc
	s_cbranch_execz .LBB593_299
; %bb.298:
	v_and_b32_e32 v62, 7, v30
	v_ffbh_u32_e32 v60, v62
	v_min_u32_e32 v64, 32, v60
	v_subrev_u32_e32 v60, 28, v64
	v_lshlrev_b64 v[60:61], v60, v[30:31]
	v_lshrrev_b32_e32 v63, 3, v33
	v_sub_u32_e32 v61, 29, v64
	v_and_b32_e32 v60, 7, v60
	v_cmp_gt_u32_e32 vcc, 8, v33
	v_cndmask_b32_e32 v33, v63, v61, vcc
	v_cndmask_b32_e32 v60, v62, v60, vcc
	v_lshlrev_b32_e32 v30, 24, v30
	v_bfrev_b32_e32 v61, 60
	v_lshlrev_b32_e32 v60, 20, v60
	v_and_b32_e32 v30, 0x80000000, v30
	v_lshl_add_u32 v33, v33, 23, v61
	v_or3_b32 v60, v30, v33, v60
.LBB593_299:
	s_or_b64 exec, exec, s[8:9]
.LBB593_300:
	s_or_b64 exec, exec, s[2:3]
.LBB593_301:
	s_or_b64 exec, exec, s[0:1]
	v_cvt_pkrtz_f16_f32 v30, v54, v56
	v_cvt_pkrtz_f16_f32 v31, v31, v58
	v_cmp_ne_u16_sdwa s[2:3], v22, v55 src0_sel:BYTE_0 src1_sel:DWORD
	s_nop 0
	v_mfma_f32_16x16x16f16 v[42:45], v[30:31], v[18:19], v[42:45]
	v_cvt_pkrtz_f16_f32 v30, v57, v59
	v_cvt_pkrtz_f16_f32 v31, v32, v60
	s_nop 1
	v_mfma_f32_16x16x16f16 v[30:33], v[30:31], v[20:21], v[42:45]
	s_and_saveexec_b64 s[0:1], s[2:3]
	s_cbranch_execz .LBB593_307
; %bb.302:
	s_movk_i32 s2, 0x80
	v_cmp_ne_u16_sdwa s[8:9], v22, s2 src0_sel:BYTE_0 src1_sel:DWORD
	v_bfrev_b32_e32 v55, 1
	s_and_saveexec_b64 s[2:3], s[8:9]
	s_cbranch_execz .LBB593_306
; %bb.303:
	s_movk_i32 s8, 0x7f
	v_and_b32_e32 v42, 0x7f, v22
	v_cmp_ne_u32_e32 vcc, s8, v42
	v_mov_b32_e32 v55, 0x7f800001
	s_and_saveexec_b64 s[8:9], vcc
	s_cbranch_execz .LBB593_305
; %bb.304:
	v_and_b32_e32 v43, 7, v22
	v_ffbh_u32_e32 v44, v43
	v_min_u32_e32 v55, 32, v44
	v_subrev_u32_e32 v44, 28, v55
	v_lshlrev_b64 v[44:45], v44, v[22:23]
	v_lshrrev_b32_e32 v54, 3, v42
	v_sub_u32_e32 v45, 29, v55
	v_and_b32_e32 v44, 7, v44
	v_cmp_gt_u32_e32 vcc, 8, v42
	v_cndmask_b32_e32 v42, v54, v45, vcc
	v_cndmask_b32_e32 v43, v43, v44, vcc
	v_lshlrev_b32_e32 v44, 24, v22
	v_bfrev_b32_e32 v45, 60
	v_lshlrev_b32_e32 v43, 20, v43
	v_and_b32_e32 v44, 0x80000000, v44
	v_lshl_add_u32 v42, v42, 23, v45
	v_or3_b32 v55, v44, v42, v43
.LBB593_305:
	s_or_b64 exec, exec, s[8:9]
.LBB593_306:
	s_or_b64 exec, exec, s[2:3]
.LBB593_307:
	s_or_b64 exec, exec, s[0:1]
	s_nop 3
	v_lshrrev_b16_e32 v42, 8, v22
	v_cmp_ne_u16_e32 vcc, 0, v42
	v_mov_b32_e32 v43, 0
	v_mov_b32_e32 v44, 0
	s_and_saveexec_b64 s[0:1], vcc
	s_cbranch_execz .LBB593_313
; %bb.308:
	s_movk_i32 s2, 0x80
	v_cmp_ne_u16_e32 vcc, s2, v42
	v_bfrev_b32_e32 v44, 1
	s_and_saveexec_b64 s[2:3], vcc
	s_cbranch_execz .LBB593_312
; %bb.309:
	s_movk_i32 s8, 0x7f
	v_and_b32_e32 v45, 0x7f, v42
	v_cmp_ne_u32_e32 vcc, s8, v45
	v_mov_b32_e32 v44, 0x7f800001
	s_and_saveexec_b64 s[8:9], vcc
	s_cbranch_execz .LBB593_311
; %bb.310:
	v_and_b32_e32 v44, 7, v42
	v_ffbh_u32_e32 v56, v44
	v_min_u32_e32 v58, 32, v56
	v_subrev_u32_e32 v56, 28, v58
	v_lshlrev_b64 v[56:57], v56, v[42:43]
	v_lshrrev_b32_e32 v54, 3, v45
	v_sub_u32_e32 v42, 29, v58
	v_and_b32_e32 v56, 7, v56
	v_cmp_gt_u32_e32 vcc, 8, v45
	v_cndmask_b32_e32 v42, v54, v42, vcc
	v_cndmask_b32_e32 v44, v44, v56, vcc
	v_lshlrev_b32_e32 v45, 16, v22
	v_bfrev_b32_e32 v54, 60
	v_lshlrev_b32_e32 v44, 20, v44
	v_and_b32_e32 v45, 0x80000000, v45
	v_lshl_add_u32 v42, v42, 23, v54
	v_or3_b32 v44, v45, v42, v44
.LBB593_311:
	s_or_b64 exec, exec, s[8:9]
.LBB593_312:
	s_or_b64 exec, exec, s[2:3]
.LBB593_313:
	s_or_b64 exec, exec, s[0:1]
	s_movk_i32 s0, 0xff
	v_and_b32_sdwa v45, v22, s0 dst_sel:DWORD dst_unused:UNUSED_PAD src0_sel:WORD_1 src1_sel:DWORD
	v_lshrrev_b32_e32 v42, 16, v22
	v_cmp_ne_u16_e32 vcc, 0, v45
	s_and_saveexec_b64 s[0:1], vcc
	s_cbranch_execz .LBB593_319
; %bb.314:
	s_movk_i32 s2, 0x80
	v_cmp_ne_u16_e32 vcc, s2, v45
	v_bfrev_b32_e32 v43, 1
	s_and_saveexec_b64 s[2:3], vcc
	s_cbranch_execz .LBB593_318
; %bb.315:
	v_bfe_u32 v45, v22, 16, 7
	s_movk_i32 s8, 0x7f
	v_cmp_ne_u32_e32 vcc, s8, v45
	v_mov_b32_e32 v43, 0x7f800001
	s_and_saveexec_b64 s[8:9], vcc
	s_cbranch_execz .LBB593_317
; %bb.316:
	v_and_b32_e32 v54, 7, v42
	v_ffbh_u32_e32 v43, v54
	v_min_u32_e32 v57, 32, v43
	v_subrev_u32_e32 v43, 28, v57
	v_lshlrev_b64 v[42:43], v43, v[42:43]
	v_lshrrev_b32_e32 v56, 3, v45
	v_sub_u32_e32 v43, 29, v57
	v_and_b32_e32 v42, 7, v42
	v_cmp_gt_u32_e32 vcc, 8, v45
	v_mov_b32_e32 v45, 24
	v_cndmask_b32_e32 v43, v56, v43, vcc
	v_cndmask_b32_e32 v42, v54, v42, vcc
	v_lshlrev_b32_sdwa v45, v45, v22 dst_sel:DWORD dst_unused:UNUSED_PAD src0_sel:DWORD src1_sel:WORD_1
	v_bfrev_b32_e32 v54, 60
	v_lshlrev_b32_e32 v42, 20, v42
	v_and_b32_e32 v45, 0x80000000, v45
	v_lshl_add_u32 v43, v43, 23, v54
	v_or3_b32 v43, v45, v43, v42
.LBB593_317:
	s_or_b64 exec, exec, s[8:9]
.LBB593_318:
	s_or_b64 exec, exec, s[2:3]
.LBB593_319:
	s_or_b64 exec, exec, s[0:1]
	s_mov_b32 s0, 0xffffff
	v_cmp_lt_u32_e32 vcc, s0, v22
	v_mov_b32_e32 v45, 0
	v_mov_b32_e32 v54, 0
	s_and_saveexec_b64 s[0:1], vcc
	s_cbranch_execz .LBB593_325
; %bb.320:
	v_lshrrev_b32_e32 v42, 24, v22
	s_movk_i32 s2, 0x80
	v_cmp_ne_u32_e32 vcc, s2, v42
	v_bfrev_b32_e32 v54, 1
	s_and_saveexec_b64 s[2:3], vcc
	s_cbranch_execz .LBB593_324
; %bb.321:
	v_bfe_u32 v22, v22, 24, 7
	s_movk_i32 s8, 0x7f
	v_cmp_ne_u32_e32 vcc, s8, v22
	v_mov_b32_e32 v54, 0x7f800001
	s_and_saveexec_b64 s[8:9], vcc
	s_cbranch_execz .LBB593_323
; %bb.322:
	v_and_b32_e32 v54, 7, v42
	v_ffbh_u32_e32 v56, v54
	v_min_u32_e32 v59, 32, v56
	v_subrev_u32_e32 v56, 28, v59
	v_lshlrev_b64 v[56:57], v56, v[42:43]
	v_lshrrev_b32_e32 v58, 3, v22
	v_sub_u32_e32 v57, 29, v59
	v_and_b32_e32 v56, 7, v56
	v_cmp_gt_u32_e32 vcc, 8, v22
	v_cndmask_b32_e32 v22, v58, v57, vcc
	v_cndmask_b32_e32 v54, v54, v56, vcc
	v_lshlrev_b32_e32 v42, 24, v42
	v_bfrev_b32_e32 v56, 60
	v_lshlrev_b32_e32 v54, 20, v54
	v_and_b32_e32 v42, 0x80000000, v42
	v_lshl_add_u32 v22, v22, 23, v56
	v_or3_b32 v54, v42, v22, v54
.LBB593_323:
	s_or_b64 exec, exec, s[8:9]
.LBB593_324:
	s_or_b64 exec, exec, s[2:3]
.LBB593_325:
	s_or_b64 exec, exec, s[0:1]
	v_cmp_ne_u16_sdwa s[2:3], v23, v45 src0_sel:BYTE_0 src1_sel:DWORD
	s_and_saveexec_b64 s[0:1], s[2:3]
	s_cbranch_execz .LBB593_331
; %bb.326:
	s_movk_i32 s2, 0x80
	v_cmp_ne_u16_sdwa s[8:9], v23, s2 src0_sel:BYTE_0 src1_sel:DWORD
	v_bfrev_b32_e32 v45, 1
	s_and_saveexec_b64 s[2:3], s[8:9]
	s_cbranch_execz .LBB593_330
; %bb.327:
	s_movk_i32 s8, 0x7f
	v_and_b32_e32 v22, 0x7f, v23
	v_cmp_ne_u32_e32 vcc, s8, v22
	v_mov_b32_e32 v45, 0x7f800001
	s_and_saveexec_b64 s[8:9], vcc
	s_cbranch_execz .LBB593_329
; %bb.328:
	v_and_b32_e32 v45, 7, v23
	v_ffbh_u32_e32 v56, v45
	v_min_u32_e32 v59, 32, v56
	v_mov_b32_e32 v42, v23
	v_subrev_u32_e32 v56, 28, v59
	v_lshlrev_b64 v[56:57], v56, v[42:43]
	v_lshrrev_b32_e32 v58, 3, v22
	v_sub_u32_e32 v42, 29, v59
	v_and_b32_e32 v56, 7, v56
	v_cmp_gt_u32_e32 vcc, 8, v22
	v_cndmask_b32_e32 v22, v58, v42, vcc
	v_cndmask_b32_e32 v42, v45, v56, vcc
	v_lshlrev_b32_e32 v45, 24, v23
	v_bfrev_b32_e32 v56, 60
	v_lshlrev_b32_e32 v42, 20, v42
	v_and_b32_e32 v45, 0x80000000, v45
	v_lshl_add_u32 v22, v22, 23, v56
	v_or3_b32 v45, v45, v22, v42
.LBB593_329:
	s_or_b64 exec, exec, s[8:9]
.LBB593_330:
	s_or_b64 exec, exec, s[2:3]
.LBB593_331:
	s_or_b64 exec, exec, s[0:1]
	v_lshrrev_b16_e32 v22, 8, v23
	v_cmp_ne_u16_e32 vcc, 0, v22
	v_mov_b32_e32 v56, 0
	v_mov_b32_e32 v57, 0
	s_and_saveexec_b64 s[0:1], vcc
	s_cbranch_execz .LBB593_337
; %bb.332:
	s_movk_i32 s2, 0x80
	v_cmp_ne_u16_e32 vcc, s2, v22
	v_bfrev_b32_e32 v57, 1
	s_and_saveexec_b64 s[2:3], vcc
	s_cbranch_execz .LBB593_336
; %bb.333:
	s_movk_i32 s8, 0x7f
	v_and_b32_e32 v42, 0x7f, v22
	v_cmp_ne_u32_e32 vcc, s8, v42
	v_mov_b32_e32 v57, 0x7f800001
	s_and_saveexec_b64 s[8:9], vcc
	s_cbranch_execz .LBB593_335
; %bb.334:
	v_and_b32_e32 v57, 7, v22
	v_ffbh_u32_e32 v58, v57
	v_min_u32_e32 v61, 32, v58
	v_subrev_u32_e32 v58, 28, v61
	v_lshlrev_b64 v[58:59], v58, v[22:23]
	v_lshrrev_b32_e32 v60, 3, v42
	v_sub_u32_e32 v22, 29, v61
	v_and_b32_e32 v58, 7, v58
	v_cmp_gt_u32_e32 vcc, 8, v42
	v_cndmask_b32_e32 v22, v60, v22, vcc
	v_cndmask_b32_e32 v42, v57, v58, vcc
	v_lshlrev_b32_e32 v57, 16, v23
	v_bfrev_b32_e32 v58, 60
	v_lshlrev_b32_e32 v42, 20, v42
	v_and_b32_e32 v57, 0x80000000, v57
	v_lshl_add_u32 v22, v22, 23, v58
	v_or3_b32 v57, v57, v22, v42
.LBB593_335:
	s_or_b64 exec, exec, s[8:9]
.LBB593_336:
	s_or_b64 exec, exec, s[2:3]
.LBB593_337:
	s_or_b64 exec, exec, s[0:1]
	s_movk_i32 s0, 0xff
	v_and_b32_sdwa v42, v23, s0 dst_sel:DWORD dst_unused:UNUSED_PAD src0_sel:WORD_1 src1_sel:DWORD
	v_lshrrev_b32_e32 v22, 16, v23
	v_cmp_ne_u16_e32 vcc, 0, v42
	s_and_saveexec_b64 s[0:1], vcc
	s_cbranch_execz .LBB593_343
; %bb.338:
	s_movk_i32 s2, 0x80
	v_cmp_ne_u16_e32 vcc, s2, v42
	v_bfrev_b32_e32 v56, 1
	s_and_saveexec_b64 s[2:3], vcc
	s_cbranch_execz .LBB593_342
; %bb.339:
	v_bfe_u32 v42, v23, 16, 7
	s_movk_i32 s8, 0x7f
	v_cmp_ne_u32_e32 vcc, s8, v42
	v_mov_b32_e32 v56, 0x7f800001
	s_and_saveexec_b64 s[8:9], vcc
	s_cbranch_execz .LBB593_341
; %bb.340:
	v_and_b32_e32 v56, 7, v22
	v_ffbh_u32_e32 v58, v56
	v_min_u32_e32 v61, 32, v58
	v_subrev_u32_e32 v58, 28, v61
	v_lshlrev_b64 v[58:59], v58, v[22:23]
	v_and_b32_e32 v58, 7, v58
	v_cmp_gt_u32_e32 vcc, 8, v42
	v_lshrrev_b32_e32 v60, 3, v42
	v_sub_u32_e32 v22, 29, v61
	v_cndmask_b32_e32 v42, v56, v58, vcc
	v_mov_b32_e32 v56, 24
	v_cndmask_b32_e32 v22, v60, v22, vcc
	v_lshlrev_b32_sdwa v56, v56, v23 dst_sel:DWORD dst_unused:UNUSED_PAD src0_sel:DWORD src1_sel:WORD_1
	v_bfrev_b32_e32 v58, 60
	v_lshlrev_b32_e32 v42, 20, v42
	v_and_b32_e32 v56, 0x80000000, v56
	v_lshl_add_u32 v22, v22, 23, v58
	v_or3_b32 v56, v56, v22, v42
.LBB593_341:
	s_or_b64 exec, exec, s[8:9]
.LBB593_342:
	s_or_b64 exec, exec, s[2:3]
.LBB593_343:
	s_or_b64 exec, exec, s[0:1]
	s_mov_b32 s0, 0xffffff
	v_cmp_lt_u32_e32 vcc, s0, v23
	v_mov_b32_e32 v42, 0
	v_mov_b32_e32 v58, 0
	s_and_saveexec_b64 s[0:1], vcc
	s_cbranch_execz .LBB593_349
; %bb.344:
	v_lshrrev_b32_e32 v22, 24, v23
	s_movk_i32 s2, 0x80
	v_cmp_ne_u32_e32 vcc, s2, v22
	v_bfrev_b32_e32 v58, 1
	s_and_saveexec_b64 s[2:3], vcc
	s_cbranch_execz .LBB593_348
; %bb.345:
	v_bfe_u32 v23, v23, 24, 7
	s_movk_i32 s8, 0x7f
	v_cmp_ne_u32_e32 vcc, s8, v23
	v_mov_b32_e32 v58, 0x7f800001
	s_and_saveexec_b64 s[8:9], vcc
	s_cbranch_execz .LBB593_347
; %bb.346:
	v_and_b32_e32 v60, 7, v22
	v_ffbh_u32_e32 v58, v60
	v_min_u32_e32 v62, 32, v58
	v_subrev_u32_e32 v58, 28, v62
	v_lshlrev_b64 v[58:59], v58, v[22:23]
	v_lshrrev_b32_e32 v61, 3, v23
	v_sub_u32_e32 v59, 29, v62
	v_and_b32_e32 v58, 7, v58
	v_cmp_gt_u32_e32 vcc, 8, v23
	v_cndmask_b32_e32 v23, v61, v59, vcc
	v_cndmask_b32_e32 v58, v60, v58, vcc
	v_lshlrev_b32_e32 v22, 24, v22
	v_bfrev_b32_e32 v59, 60
	v_lshlrev_b32_e32 v58, 20, v58
	v_and_b32_e32 v22, 0x80000000, v22
	v_lshl_add_u32 v23, v23, 23, v59
	v_or3_b32 v58, v22, v23, v58
.LBB593_347:
	s_or_b64 exec, exec, s[8:9]
.LBB593_348:
	s_or_b64 exec, exec, s[2:3]
.LBB593_349:
	s_or_b64 exec, exec, s[0:1]
	v_cvt_pkrtz_f16_f32 v22, v55, v44
	v_cvt_pkrtz_f16_f32 v23, v43, v54
	v_cmp_ne_u16_sdwa s[2:3], v24, v42 src0_sel:BYTE_0 src1_sel:DWORD
	s_nop 0
	v_mfma_f32_16x16x16f16 v[60:63], v[22:23], v[26:27], 0
	v_cvt_pkrtz_f16_f32 v22, v45, v57
	v_cvt_pkrtz_f16_f32 v23, v56, v58
	s_nop 1
	v_mfma_f32_16x16x16f16 v[26:29], v[22:23], v[28:29], v[60:63]
	s_and_saveexec_b64 s[0:1], s[2:3]
	s_cbranch_execz .LBB593_355
; %bb.350:
	s_movk_i32 s2, 0x80
	v_cmp_ne_u16_sdwa s[8:9], v24, s2 src0_sel:BYTE_0 src1_sel:DWORD
	v_bfrev_b32_e32 v42, 1
	s_and_saveexec_b64 s[2:3], s[8:9]
	s_cbranch_execz .LBB593_354
; %bb.351:
	s_movk_i32 s8, 0x7f
	v_and_b32_e32 v22, 0x7f, v24
	v_cmp_ne_u32_e32 vcc, s8, v22
	v_mov_b32_e32 v42, 0x7f800001
	s_and_saveexec_b64 s[8:9], vcc
	s_cbranch_execz .LBB593_353
; %bb.352:
	v_and_b32_e32 v23, 7, v24
	v_ffbh_u32_e32 v42, v23
	v_min_u32_e32 v45, 32, v42
	v_subrev_u32_e32 v42, 28, v45
	v_lshlrev_b64 v[42:43], v42, v[24:25]
	v_lshrrev_b32_e32 v44, 3, v22
	v_sub_u32_e32 v43, 29, v45
	v_and_b32_e32 v42, 7, v42
	v_cmp_gt_u32_e32 vcc, 8, v22
	v_cndmask_b32_e32 v22, v44, v43, vcc
	v_cndmask_b32_e32 v23, v23, v42, vcc
	v_lshlrev_b32_e32 v42, 24, v24
	v_bfrev_b32_e32 v43, 60
	v_lshlrev_b32_e32 v23, 20, v23
	v_and_b32_e32 v42, 0x80000000, v42
	v_lshl_add_u32 v22, v22, 23, v43
	v_or3_b32 v42, v42, v22, v23
.LBB593_353:
	s_or_b64 exec, exec, s[8:9]
.LBB593_354:
	s_or_b64 exec, exec, s[2:3]
.LBB593_355:
	s_or_b64 exec, exec, s[0:1]
	v_lshrrev_b16_e32 v22, 8, v24
	v_cmp_ne_u16_e32 vcc, 0, v22
	v_mov_b32_e32 v23, 0
	v_mov_b32_e32 v43, 0
	s_and_saveexec_b64 s[0:1], vcc
	s_cbranch_execz .LBB593_361
; %bb.356:
	s_movk_i32 s2, 0x80
	v_cmp_ne_u16_e32 vcc, s2, v22
	v_bfrev_b32_e32 v43, 1
	s_and_saveexec_b64 s[2:3], vcc
	s_cbranch_execz .LBB593_360
; %bb.357:
	s_movk_i32 s8, 0x7f
	v_and_b32_e32 v44, 0x7f, v22
	v_cmp_ne_u32_e32 vcc, s8, v44
	v_mov_b32_e32 v43, 0x7f800001
	s_and_saveexec_b64 s[8:9], vcc
	s_cbranch_execz .LBB593_359
; %bb.358:
	v_and_b32_e32 v43, 7, v22
	v_ffbh_u32_e32 v54, v43
	v_min_u32_e32 v56, 32, v54
	v_subrev_u32_e32 v54, 28, v56
	v_lshlrev_b64 v[54:55], v54, v[22:23]
	v_lshrrev_b32_e32 v45, 3, v44
	v_sub_u32_e32 v22, 29, v56
	v_and_b32_e32 v54, 7, v54
	v_cmp_gt_u32_e32 vcc, 8, v44
	v_cndmask_b32_e32 v22, v45, v22, vcc
	v_cndmask_b32_e32 v43, v43, v54, vcc
	v_lshlrev_b32_e32 v44, 16, v24
	v_bfrev_b32_e32 v45, 60
	v_lshlrev_b32_e32 v43, 20, v43
	v_and_b32_e32 v44, 0x80000000, v44
	v_lshl_add_u32 v22, v22, 23, v45
	v_or3_b32 v43, v44, v22, v43
.LBB593_359:
	s_or_b64 exec, exec, s[8:9]
.LBB593_360:
	s_or_b64 exec, exec, s[2:3]
.LBB593_361:
	s_or_b64 exec, exec, s[0:1]
	s_movk_i32 s0, 0xff
	v_and_b32_sdwa v44, v24, s0 dst_sel:DWORD dst_unused:UNUSED_PAD src0_sel:WORD_1 src1_sel:DWORD
	v_lshrrev_b32_e32 v22, 16, v24
	v_cmp_ne_u16_e32 vcc, 0, v44
	s_and_saveexec_b64 s[0:1], vcc
	s_cbranch_execz .LBB593_367
; %bb.362:
	s_movk_i32 s2, 0x80
	v_cmp_ne_u16_e32 vcc, s2, v44
	v_bfrev_b32_e32 v23, 1
	s_and_saveexec_b64 s[2:3], vcc
	s_cbranch_execz .LBB593_366
; %bb.363:
	v_bfe_u32 v44, v24, 16, 7
	s_movk_i32 s8, 0x7f
	v_cmp_ne_u32_e32 vcc, s8, v44
	v_mov_b32_e32 v23, 0x7f800001
	s_and_saveexec_b64 s[8:9], vcc
	s_cbranch_execz .LBB593_365
; %bb.364:
	v_and_b32_e32 v45, 7, v22
	v_ffbh_u32_e32 v23, v45
	v_min_u32_e32 v55, 32, v23
	v_subrev_u32_e32 v23, 28, v55
	v_lshlrev_b64 v[22:23], v23, v[22:23]
	v_lshrrev_b32_e32 v54, 3, v44
	v_sub_u32_e32 v23, 29, v55
	v_and_b32_e32 v22, 7, v22
	v_cmp_gt_u32_e32 vcc, 8, v44
	v_mov_b32_e32 v44, 24
	v_cndmask_b32_e32 v23, v54, v23, vcc
	v_cndmask_b32_e32 v22, v45, v22, vcc
	v_lshlrev_b32_sdwa v44, v44, v24 dst_sel:DWORD dst_unused:UNUSED_PAD src0_sel:DWORD src1_sel:WORD_1
	v_bfrev_b32_e32 v45, 60
	v_lshlrev_b32_e32 v22, 20, v22
	v_and_b32_e32 v44, 0x80000000, v44
	v_lshl_add_u32 v23, v23, 23, v45
	v_or3_b32 v23, v44, v23, v22
.LBB593_365:
	s_or_b64 exec, exec, s[8:9]
.LBB593_366:
	s_or_b64 exec, exec, s[2:3]
.LBB593_367:
	s_or_b64 exec, exec, s[0:1]
	s_mov_b32 s0, 0xffffff
	v_cmp_lt_u32_e32 vcc, s0, v24
	v_mov_b32_e32 v45, 0
	v_mov_b32_e32 v54, 0
	s_and_saveexec_b64 s[0:1], vcc
	s_cbranch_execz .LBB593_373
; %bb.368:
	v_lshrrev_b32_e32 v22, 24, v24
	s_movk_i32 s2, 0x80
	v_cmp_ne_u32_e32 vcc, s2, v22
	v_bfrev_b32_e32 v54, 1
	s_and_saveexec_b64 s[2:3], vcc
	s_cbranch_execz .LBB593_372
; %bb.369:
	v_bfe_u32 v24, v24, 24, 7
	s_movk_i32 s8, 0x7f
	v_cmp_ne_u32_e32 vcc, s8, v24
	v_mov_b32_e32 v54, 0x7f800001
	s_and_saveexec_b64 s[8:9], vcc
	s_cbranch_execz .LBB593_371
; %bb.370:
	v_and_b32_e32 v44, 7, v22
	v_ffbh_u32_e32 v54, v44
	v_min_u32_e32 v57, 32, v54
	v_subrev_u32_e32 v54, 28, v57
	v_lshlrev_b64 v[54:55], v54, v[22:23]
	v_lshrrev_b32_e32 v56, 3, v24
	v_sub_u32_e32 v55, 29, v57
	v_and_b32_e32 v54, 7, v54
	v_cmp_gt_u32_e32 vcc, 8, v24
	v_cndmask_b32_e32 v24, v56, v55, vcc
	v_cndmask_b32_e32 v44, v44, v54, vcc
	v_lshlrev_b32_e32 v22, 24, v22
	v_bfrev_b32_e32 v54, 60
	v_lshlrev_b32_e32 v44, 20, v44
	v_and_b32_e32 v22, 0x80000000, v22
	v_lshl_add_u32 v24, v24, 23, v54
	v_or3_b32 v54, v22, v24, v44
.LBB593_371:
	s_or_b64 exec, exec, s[8:9]
.LBB593_372:
	s_or_b64 exec, exec, s[2:3]
.LBB593_373:
	s_or_b64 exec, exec, s[0:1]
	v_cmp_ne_u16_sdwa s[2:3], v25, v45 src0_sel:BYTE_0 src1_sel:DWORD
	s_and_saveexec_b64 s[0:1], s[2:3]
	s_cbranch_execz .LBB593_379
; %bb.374:
	s_movk_i32 s2, 0x80
	v_cmp_ne_u16_sdwa s[8:9], v25, s2 src0_sel:BYTE_0 src1_sel:DWORD
	v_bfrev_b32_e32 v45, 1
	s_and_saveexec_b64 s[2:3], s[8:9]
	s_cbranch_execz .LBB593_378
; %bb.375:
	s_movk_i32 s8, 0x7f
	v_and_b32_e32 v22, 0x7f, v25
	v_cmp_ne_u32_e32 vcc, s8, v22
	v_mov_b32_e32 v45, 0x7f800001
	s_and_saveexec_b64 s[8:9], vcc
	s_cbranch_execz .LBB593_377
; %bb.376:
	v_and_b32_e32 v55, 7, v25
	v_ffbh_u32_e32 v44, v55
	v_min_u32_e32 v57, 32, v44
	v_mov_b32_e32 v24, v25
	v_subrev_u32_e32 v44, 28, v57
	v_lshlrev_b64 v[44:45], v44, v[24:25]
	v_lshrrev_b32_e32 v56, 3, v22
	v_sub_u32_e32 v24, 29, v57
	v_and_b32_e32 v44, 7, v44
	v_cmp_gt_u32_e32 vcc, 8, v22
	v_cndmask_b32_e32 v22, v56, v24, vcc
	v_cndmask_b32_e32 v24, v55, v44, vcc
	v_lshlrev_b32_e32 v44, 24, v25
	v_bfrev_b32_e32 v45, 60
	v_lshlrev_b32_e32 v24, 20, v24
	v_and_b32_e32 v44, 0x80000000, v44
	v_lshl_add_u32 v22, v22, 23, v45
	v_or3_b32 v45, v44, v22, v24
.LBB593_377:
	s_or_b64 exec, exec, s[8:9]
.LBB593_378:
	s_or_b64 exec, exec, s[2:3]
.LBB593_379:
	s_or_b64 exec, exec, s[0:1]
	v_lshrrev_b16_e32 v22, 8, v25
	v_cmp_ne_u16_e32 vcc, 0, v22
	v_mov_b32_e32 v55, 0
	v_mov_b32_e32 v56, 0
	s_and_saveexec_b64 s[0:1], vcc
	s_cbranch_execz .LBB593_385
; %bb.380:
	s_movk_i32 s2, 0x80
	v_cmp_ne_u16_e32 vcc, s2, v22
	v_bfrev_b32_e32 v56, 1
	s_and_saveexec_b64 s[2:3], vcc
	s_cbranch_execz .LBB593_384
; %bb.381:
	s_movk_i32 s8, 0x7f
	v_and_b32_e32 v24, 0x7f, v22
	v_cmp_ne_u32_e32 vcc, s8, v24
	v_mov_b32_e32 v56, 0x7f800001
	s_and_saveexec_b64 s[8:9], vcc
	s_cbranch_execz .LBB593_383
; %bb.382:
	v_and_b32_e32 v44, 7, v22
	v_ffbh_u32_e32 v56, v44
	v_min_u32_e32 v59, 32, v56
	v_subrev_u32_e32 v56, 28, v59
	v_lshlrev_b64 v[56:57], v56, v[22:23]
	v_lshrrev_b32_e32 v58, 3, v24
	v_sub_u32_e32 v22, 29, v59
	v_and_b32_e32 v56, 7, v56
	v_cmp_gt_u32_e32 vcc, 8, v24
	v_cndmask_b32_e32 v22, v58, v22, vcc
	v_cndmask_b32_e32 v24, v44, v56, vcc
	v_lshlrev_b32_e32 v44, 16, v25
	v_bfrev_b32_e32 v56, 60
	v_lshlrev_b32_e32 v24, 20, v24
	v_and_b32_e32 v44, 0x80000000, v44
	v_lshl_add_u32 v22, v22, 23, v56
	v_or3_b32 v56, v44, v22, v24
.LBB593_383:
	s_or_b64 exec, exec, s[8:9]
.LBB593_384:
	s_or_b64 exec, exec, s[2:3]
.LBB593_385:
	s_or_b64 exec, exec, s[0:1]
	s_movk_i32 s0, 0xff
	v_and_b32_sdwa v24, v25, s0 dst_sel:DWORD dst_unused:UNUSED_PAD src0_sel:WORD_1 src1_sel:DWORD
	v_lshrrev_b32_e32 v22, 16, v25
	v_cmp_ne_u16_e32 vcc, 0, v24
	s_and_saveexec_b64 s[0:1], vcc
	s_cbranch_execz .LBB593_391
; %bb.386:
	s_movk_i32 s2, 0x80
	v_cmp_ne_u16_e32 vcc, s2, v24
	v_bfrev_b32_e32 v55, 1
	s_and_saveexec_b64 s[2:3], vcc
	s_cbranch_execz .LBB593_390
; %bb.387:
	v_bfe_u32 v24, v25, 16, 7
	s_movk_i32 s8, 0x7f
	v_cmp_ne_u32_e32 vcc, s8, v24
	v_mov_b32_e32 v55, 0x7f800001
	s_and_saveexec_b64 s[8:9], vcc
	s_cbranch_execz .LBB593_389
; %bb.388:
	v_and_b32_e32 v44, 7, v22
	v_ffbh_u32_e32 v57, v44
	v_min_u32_e32 v57, 32, v57
	v_subrev_u32_e32 v58, 28, v57
	v_lshlrev_b64 v[58:59], v58, v[22:23]
	v_sub_u32_e32 v22, 29, v57
	v_and_b32_e32 v57, 7, v58
	v_cmp_gt_u32_e32 vcc, 8, v24
	v_lshrrev_b32_e32 v55, 3, v24
	v_cndmask_b32_e32 v24, v44, v57, vcc
	v_mov_b32_e32 v44, 24
	v_cndmask_b32_e32 v22, v55, v22, vcc
	v_lshlrev_b32_sdwa v44, v44, v25 dst_sel:DWORD dst_unused:UNUSED_PAD src0_sel:DWORD src1_sel:WORD_1
	v_bfrev_b32_e32 v55, 60
	v_lshlrev_b32_e32 v24, 20, v24
	v_and_b32_e32 v44, 0x80000000, v44
	v_lshl_add_u32 v22, v22, 23, v55
	v_or3_b32 v55, v44, v22, v24
.LBB593_389:
	s_or_b64 exec, exec, s[8:9]
.LBB593_390:
	s_or_b64 exec, exec, s[2:3]
.LBB593_391:
	s_or_b64 exec, exec, s[0:1]
	s_mov_b32 s0, 0xffffff
	v_and_b32_e32 v44, 63, v0
	v_cmp_lt_u32_e32 vcc, s0, v25
	v_mov_b32_e32 v57, 0
	s_and_saveexec_b64 s[0:1], vcc
	s_cbranch_execz .LBB593_397
; %bb.392:
	v_lshrrev_b32_e32 v22, 24, v25
	s_movk_i32 s2, 0x80
	v_cmp_ne_u32_e32 vcc, s2, v22
	v_bfrev_b32_e32 v57, 1
	s_and_saveexec_b64 s[2:3], vcc
	s_cbranch_execz .LBB593_396
; %bb.393:
	v_bfe_u32 v24, v25, 24, 7
	s_movk_i32 s8, 0x7f
	v_cmp_ne_u32_e32 vcc, s8, v24
	v_mov_b32_e32 v57, 0x7f800001
	s_and_saveexec_b64 s[8:9], vcc
	s_cbranch_execz .LBB593_395
; %bb.394:
	v_and_b32_e32 v25, 7, v22
	v_ffbh_u32_e32 v58, v25
	v_min_u32_e32 v60, 32, v58
	v_subrev_u32_e32 v58, 28, v60
	v_lshlrev_b64 v[58:59], v58, v[22:23]
	v_lshrrev_b32_e32 v57, 3, v24
	v_sub_u32_e32 v59, 29, v60
	v_and_b32_e32 v58, 7, v58
	v_cmp_gt_u32_e32 vcc, 8, v24
	v_cndmask_b32_e32 v24, v57, v59, vcc
	v_cndmask_b32_e32 v25, v25, v58, vcc
	v_lshlrev_b32_e32 v22, 24, v22
	v_bfrev_b32_e32 v57, 60
	v_lshlrev_b32_e32 v25, 20, v25
	v_and_b32_e32 v22, 0x80000000, v22
	v_lshl_add_u32 v24, v24, 23, v57
	v_or3_b32 v57, v22, v24, v25
.LBB593_395:
	s_or_b64 exec, exec, s[8:9]
.LBB593_396:
	s_or_b64 exec, exec, s[2:3]
.LBB593_397:
	s_or_b64 exec, exec, s[0:1]
	v_cvt_pkrtz_f16_f32 v42, v42, v43
	v_cvt_pkrtz_f16_f32 v43, v23, v54
	s_load_dword s0, s[4:5], 0x1c
	s_mov_b32 s40, 0xff7fffff
	s_waitcnt lgkmcnt(0)
	v_mfma_f32_16x16x16f16 v[26:29], v[42:43], v[18:19], v[26:29]
	v_cvt_pkrtz_f16_f32 v18, v45, v56
	v_cvt_pkrtz_f16_f32 v19, v55, v57
	v_mov_b32_e32 v22, s0
	v_mul_f32_e32 v54, s10, v22
	v_pk_mul_f32 v[22:23], v[54:55], v[32:33] op_sel_hi:[0,1]
	v_pk_mul_f32 v[32:33], v[54:55], v[38:39] op_sel_hi:[0,1]
	v_and_b32_e32 v38, 0xc0, v0
	v_mfma_f32_16x16x16f16 v[26:29], v[18:19], v[20:21], v[26:29]
	v_add_u32_e32 v38, s18, v38
	v_lshl_or_b32 v38, v49, 2, v38
	v_or_b32_e32 v39, 1, v38
	v_pk_mul_f32 v[24:25], v[54:55], v[30:31] op_sel_hi:[0,1]
	v_pk_mul_f32 v[30:31], v[54:55], v[40:41] op_sel_hi:[0,1]
	v_subrev_u32_e32 v40, s33, v39
	v_pk_mul_f32 v[34:35], v[54:55], v[34:35] op_sel_hi:[0,1]
	s_nop 3
	v_pk_mul_f32 v[20:21], v[54:55], v[26:27] op_sel_hi:[0,1]
	v_add_u32_e32 v27, 1, v40
	v_pk_mul_f32 v[18:19], v[54:55], v[28:29] op_sel_hi:[0,1]
	v_cvt_f32_i32_e32 v27, v27
	v_add_u32_e32 v29, 3, v40
	v_cvt_f32_i32_e32 v29, v29
	v_cvt_f32_i32_e32 v26, v40
	v_pk_mul_f32 v[36:37], v[54:55], v[36:37] op_sel_hi:[0,1]
	v_fmac_f32_e32 v35, v53, v27
	v_add_u32_e32 v27, 16, v40
	v_fmac_f32_e32 v37, v53, v29
	v_cvt_f32_i32_e32 v27, v27
	v_add_u32_e32 v29, 17, v40
	v_fma_f32 v26, v53, v26, v34
	v_cvt_f32_i32_e32 v29, v29
	v_add_u32_e32 v34, 18, v40
	v_cvt_f32_i32_e32 v34, v34
	v_fma_f32 v41, v53, v27, v32
	v_add_u32_e32 v27, 32, v40
	v_fmac_f32_e32 v33, v53, v29
	v_cvt_f32_i32_e32 v27, v27
	v_add_u32_e32 v29, 33, v40
	v_add_u32_e32 v32, 34, v40
	v_fma_f32 v30, v53, v34, v30
	v_cvt_f32_i32_e32 v29, v29
	v_cvt_f32_i32_e32 v32, v32
	v_add_u32_e32 v34, 35, v40
	v_cvt_f32_i32_e32 v34, v34
	v_fma_f32 v24, v53, v27, v24
	v_add_u32_e32 v27, 48, v40
	v_fmac_f32_e32 v25, v53, v29
	v_fma_f32 v22, v53, v32, v22
	v_cvt_f32_i32_e32 v27, v27
	v_add_u32_e32 v29, 49, v40
	v_add_u32_e32 v32, 50, v40
	v_fmac_f32_e32 v23, v53, v34
	v_cvt_f32_i32_e32 v29, v29
	v_cvt_f32_i32_e32 v32, v32
	v_add_u32_e32 v34, 51, v40
	v_add_u32_e32 v28, 2, v40
	v_cvt_f32_i32_e32 v34, v34
	v_cvt_f32_i32_e32 v28, v28
	v_fma_f32 v20, v53, v27, v20
	v_mov_b32_e32 v27, 0xff7fffff
	v_cmp_gt_i32_e64 s[24:25], s33, v38
	v_cmp_gt_i32_e64 s[26:27], s33, v39
	v_fmac_f32_e32 v21, v53, v29
	v_fma_f32 v18, v53, v32, v18
	v_cndmask_b32_e64 v29, v27, v26, s[24:25]
	v_cndmask_b32_e64 v32, v27, v35, s[26:27]
	v_fmac_f32_e32 v19, v53, v34
	v_max3_f32 v29, v29, s40, v32
	v_or_b32_e32 v32, 2, v38
	v_or_b32_e32 v34, 3, v38
	v_fma_f32 v28, v53, v28, v36
	v_cmp_gt_i32_e64 s[28:29], s33, v32
	v_cmp_gt_i32_e64 s[30:31], s33, v34
	v_add_u32_e32 v36, 19, v40
	v_cndmask_b32_e64 v32, v27, v28, s[28:29]
	v_cndmask_b32_e64 v34, v27, v37, s[30:31]
	v_cvt_f32_i32_e32 v36, v36
	v_max3_f32 v29, v29, v32, v34
	v_or_b32_e32 v32, 16, v38
	v_or_b32_e32 v34, 17, v38
	v_cmp_gt_i32_e64 s[34:35], s33, v32
	v_cmp_gt_i32_e64 s[36:37], s33, v34
	v_cndmask_b32_e64 v32, v27, v41, s[34:35]
	v_cndmask_b32_e64 v34, v27, v33, s[36:37]
	v_max3_f32 v29, v29, v32, v34
	v_or_b32_e32 v32, 18, v38
	v_or_b32_e32 v34, 19, v38
	v_fmac_f32_e32 v31, v53, v36
	v_cmp_gt_i32_e64 s[18:19], s33, v32
	v_cmp_gt_i32_e64 s[20:21], s33, v34
	v_cndmask_b32_e64 v32, v27, v30, s[18:19]
	v_cndmask_b32_e64 v34, v27, v31, s[20:21]
	v_max3_f32 v29, v29, v32, v34
	v_or_b32_e32 v32, 32, v38
	v_or_b32_e32 v34, 33, v38
	v_cmp_gt_i32_e64 s[14:15], s33, v32
	v_cmp_gt_i32_e64 s[16:17], s33, v34
	v_cndmask_b32_e64 v32, v27, v24, s[14:15]
	v_cndmask_b32_e64 v34, v27, v25, s[16:17]
	v_max3_f32 v29, v29, v32, v34
	v_or_b32_e32 v32, 34, v38
	v_or_b32_e32 v34, 35, v38
	v_cmp_gt_i32_e64 s[10:11], s33, v32
	v_cmp_gt_i32_e64 s[12:13], s33, v34
	v_cndmask_b32_e64 v32, v27, v22, s[10:11]
	v_cndmask_b32_e64 v34, v27, v23, s[12:13]
	v_max3_f32 v29, v29, v32, v34
	v_or_b32_e32 v32, 48, v38
	v_or_b32_e32 v34, 49, v38
	v_cmp_gt_i32_e64 s[2:3], s33, v32
	v_cmp_gt_i32_e64 s[8:9], s33, v34
	v_cndmask_b32_e64 v32, v27, v20, s[2:3]
	v_cndmask_b32_e64 v34, v27, v21, s[8:9]
	v_max3_f32 v29, v29, v32, v34
	v_or_b32_e32 v32, 50, v38
	v_or_b32_e32 v34, 51, v38
	v_cmp_gt_i32_e32 vcc, s33, v32
	v_cmp_gt_i32_e64 s[0:1], s33, v34
	v_cndmask_b32_e32 v32, v27, v18, vcc
	v_cndmask_b32_e64 v27, v27, v19, s[0:1]
	v_max3_f32 v27, v29, v32, v27
	v_mbcnt_lo_u32_b32 v29, -1, 0
	v_mbcnt_hi_u32_b32 v29, -1, v29
	v_and_b32_e32 v32, 64, v29
	v_add_u32_e32 v32, 64, v32
	v_xor_b32_e32 v34, 32, v29
	v_cmp_lt_i32_e64 s[38:39], v34, v32
	v_cndmask_b32_e64 v34, v29, v34, s[38:39]
	v_lshlrev_b32_e32 v36, 2, v34
	ds_bpermute_b32 v34, v36, v27
	s_barrier
	s_waitcnt lgkmcnt(0)
	v_max_f32_e32 v34, v34, v34
	v_max_f32_e32 v27, v27, v34
	v_xor_b32_e32 v34, 16, v29
	v_cmp_lt_i32_e64 s[38:39], v34, v32
	v_cndmask_b32_e64 v29, v29, v34, s[38:39]
	v_lshlrev_b32_e32 v38, 2, v29
	ds_bpermute_b32 v29, v38, v27
	s_waitcnt lgkmcnt(0)
	v_max_f32_e32 v29, v29, v29
	v_max_f32_e32 v32, v27, v29
	v_sub_f32_e32 v26, v26, v32
	v_mul_f32_e32 v26, 0x3fb8aa3b, v26
	v_sub_f32_e32 v27, v35, v32
	v_exp_f32_e32 v26, v26
	v_mul_f32_e32 v27, 0x3fb8aa3b, v27
	v_sub_f32_e32 v28, v28, v32
	v_exp_f32_e32 v27, v27
	v_mul_f32_e32 v28, 0x3fb8aa3b, v28
	v_exp_f32_e32 v28, v28
	v_cndmask_b32_e64 v26, 0, v26, s[24:25]
	v_sub_f32_e32 v34, v37, v32
	v_add_f32_e32 v29, 0, v26
	v_cndmask_b32_e64 v27, 0, v27, s[26:27]
	v_mul_f32_e32 v34, 0x3fb8aa3b, v34
	v_exp_f32_e32 v35, v34
	v_add_f32_e32 v29, v29, v27
	v_cndmask_b32_e64 v34, 0, v28, s[28:29]
	v_add_f32_e32 v28, v29, v34
	v_sub_f32_e32 v29, v41, v32
	v_mul_f32_e32 v29, 0x3fb8aa3b, v29
	v_sub_f32_e32 v33, v33, v32
	v_exp_f32_e32 v29, v29
	v_mul_f32_e32 v33, 0x3fb8aa3b, v33
	v_sub_f32_e32 v30, v30, v32
	v_exp_f32_e32 v33, v33
	;; [unrolled: 3-line block ×3, first 2 shown]
	v_mul_f32_e32 v31, 0x3fb8aa3b, v31
	v_sub_f32_e32 v24, v24, v32
	v_cndmask_b32_e64 v35, 0, v35, s[30:31]
	v_exp_f32_e32 v31, v31
	v_mul_f32_e32 v24, 0x3fb8aa3b, v24
	v_sub_f32_e32 v25, v25, v32
	v_add_f32_e32 v37, v28, v35
	v_cndmask_b32_e64 v28, 0, v29, s[34:35]
	v_exp_f32_e32 v24, v24
	v_mul_f32_e32 v25, 0x3fb8aa3b, v25
	v_sub_f32_e32 v22, v22, v32
	v_add_f32_e32 v37, v37, v28
	;; [unrolled: 5-line block ×7, first 2 shown]
	v_cndmask_b32_e64 v22, 0, v22, s[10:11]
	v_exp_f32_e32 v18, v18
	v_mul_f32_e32 v19, 0x3fb8aa3b, v19
	v_add_f32_e32 v33, v33, v22
	v_cndmask_b32_e64 v23, 0, v23, s[12:13]
	v_exp_f32_e32 v19, v19
	v_add_f32_e32 v33, v33, v23
	v_cndmask_b32_e64 v20, 0, v20, s[2:3]
	v_add_f32_e32 v33, v33, v20
	v_cndmask_b32_e64 v21, 0, v21, s[8:9]
	v_add_f32_e32 v33, v33, v21
	v_cndmask_b32_e32 v18, 0, v18, vcc
	v_add_f32_e32 v33, v33, v18
	v_cndmask_b32_e64 v19, 0, v19, s[0:1]
	v_add_f32_e32 v33, v33, v19
	ds_bpermute_b32 v36, v36, v33
	v_cmp_gt_u32_e32 vcc, 16, v44
	s_waitcnt lgkmcnt(0)
	v_add_f32_e32 v33, v33, v36
	ds_bpermute_b32 v37, v38, v33
	v_lshlrev_b32_e32 v36, 2, v52
	s_and_saveexec_b64 s[0:1], vcc
	s_cbranch_execz .LBB593_399
; %bb.398:
	s_waitcnt lgkmcnt(0)
	v_add_f32_e32 v33, v33, v37
	v_lshl_or_b32 v37, v51, 6, v36
	ds_write2st64_b32 v37, v32, v33 offset1:1
.LBB593_399:
	s_or_b64 exec, exec, s[0:1]
	s_waitcnt lgkmcnt(0)
	s_barrier
	ds_read2_b32 v[38:39], v36 offset1:16
	ds_read2_b32 v[40:41], v36 offset0:32 offset1:48
	ds_read2_b32 v[42:43], v36 offset0:64 offset1:80
	s_lshl_b32 s10, s47, 2
	s_waitcnt lgkmcnt(2)
	v_max3_f32 v32, v38, s40, v39
	s_waitcnt lgkmcnt(1)
	v_max3_f32 v33, v32, v40, v41
	v_sub_f32_e32 v32, v38, v33
	v_mul_f32_e32 v32, 0x3fb8aa3b, v32
	v_exp_f32_e32 v37, v32
	v_sub_f32_e32 v32, v39, v33
	v_mul_f32_e32 v32, 0x3fb8aa3b, v32
	v_exp_f32_e32 v44, v32
	;; [unrolled: 3-line block ×3, first 2 shown]
	ds_read2_b32 v[38:39], v36 offset0:96 offset1:112
	v_sub_f32_e32 v32, v41, v33
	v_mul_f32_e32 v32, 0x3fb8aa3b, v32
	v_exp_f32_e32 v41, v32
	s_waitcnt lgkmcnt(1)
	v_fma_f32 v36, v37, v42, 0
	v_fmac_f32_e32 v36, v44, v43
	s_waitcnt lgkmcnt(0)
	v_fmac_f32_e32 v36, v40, v38
	v_fmac_f32_e32 v36, v41, v39
	v_add_f32_e32 v38, 0x358637bd, v36
	v_div_scale_f32 v39, s[0:1], v38, v38, 1.0
	v_rcp_f32_e32 v42, v39
	s_barrier
	v_fma_f32 v43, -v39, v42, 1.0
	v_fmac_f32_e32 v42, v43, v42
	v_div_scale_f32 v43, vcc, 1.0, v38, 1.0
	v_mul_f32_e32 v45, v43, v42
	v_fma_f32 v52, -v39, v45, v43
	v_fmac_f32_e32 v45, v52, v42
	v_fma_f32 v39, -v39, v45, v43
	v_div_fmas_f32 v39, v39, v42, v45
	v_cmp_eq_u32_e32 vcc, 1, v51
	v_cndmask_b32_e32 v37, v37, v44, vcc
	v_cmp_eq_u32_e32 vcc, 2, v51
	v_cndmask_b32_e32 v37, v37, v40, vcc
	v_cmp_eq_u32_e32 vcc, 3, v51
	v_div_fixup_f32 v38, v39, v38, 1.0
	v_cndmask_b32_e32 v37, v37, v41, vcc
	v_mul_f32_e32 v38, v37, v38
	v_pk_mul_f32 v[26:27], v[38:39], v[26:27] op_sel_hi:[0,1]
	v_cvt_f16_f32_e32 v26, v26
	v_cvt_f16_f32_e32 v27, v27
	v_pk_mul_f32 v[34:35], v[38:39], v[34:35] op_sel_hi:[0,1]
	v_cvt_f16_f32_e32 v37, v34
	v_cvt_f16_f32_e32 v35, v35
	v_pack_b32_f16 v34, v26, v27
	v_pk_mul_f32 v[26:27], v[38:39], v[30:31] op_sel_hi:[0,1]
	v_pk_mul_f32 v[28:29], v[38:39], v[28:29] op_sel_hi:[0,1]
	v_cvt_f16_f32_e32 v28, v28
	v_cvt_f16_f32_e32 v29, v29
	;; [unrolled: 1-line block ×4, first 2 shown]
	v_pack_b32_f16 v35, v37, v35
	v_lshlrev_b32_e32 v37, 3, v49
	v_lshlrev_b32_e32 v26, 11, v51
	v_or3_b32 v26, v26, v50, v37
	v_pack_b32_f16 v28, v28, v29
	v_pack_b32_f16 v29, v30, v27
	v_pk_mul_f32 v[22:23], v[38:39], v[22:23] op_sel_hi:[0,1]
	v_pk_mul_f32 v[24:25], v[38:39], v[24:25] op_sel_hi:[0,1]
	;; [unrolled: 1-line block ×4, first 2 shown]
	ds_write2st64_b64 v26, v[34:35], v[28:29] offset1:1
	v_cvt_f16_f32_e32 v24, v24
	v_cvt_f16_f32_e32 v25, v25
	;; [unrolled: 1-line block ×8, first 2 shown]
	v_mov_b32_e32 v32, 0
	v_pack_b32_f16 v18, v24, v25
	v_pack_b32_f16 v19, v22, v23
	;; [unrolled: 1-line block ×4, first 2 shown]
	v_cmp_gt_u32_e32 vcc, 4, v0
	ds_write2st64_b64 v26, v[18:19], v[20:21] offset0:2 offset1:3
	s_and_saveexec_b64 s[0:1], vcc
	s_cbranch_execz .LBB593_401
; %bb.400:
	v_or_b32_e32 v18, s23, v0
	v_mov_b32_e32 v19, 0
	v_mov_b32_e32 v20, s10
	v_mad_u64_u32 v[20:21], s[2:3], s6, v20, v[18:19]
	v_mov_b32_e32 v18, s22
	s_load_dwordx4 s[12:15], s[4:5], 0x58
	s_mul_i32 s7, s7, s10
	v_mad_u64_u32 v[18:19], s[2:3], v20, s46, v[18:19]
	v_add_u32_e32 v21, s7, v21
	v_mov_b32_e32 v20, v19
	v_mad_u64_u32 v[20:21], s[2:3], v21, s46, v[20:21]
	v_mov_b32_e32 v19, v20
	v_lshlrev_b64 v[18:19], 2, v[18:19]
	s_waitcnt lgkmcnt(0)
	v_mov_b32_e32 v21, s15
	v_add_co_u32_e32 v20, vcc, s14, v18
	v_addc_co_u32_e32 v21, vcc, v21, v19, vcc
	global_store_dword v[20:21], v33, off
	v_mov_b32_e32 v20, s13
	v_add_co_u32_e32 v18, vcc, s12, v18
	v_addc_co_u32_e32 v19, vcc, v20, v19, vcc
	global_store_dword v[18:19], v36, off
.LBB593_401:
	s_or_b64 exec, exec, s[0:1]
	v_mov_b32_e32 v19, 0
	s_waitcnt vmcnt(3)
	v_cmp_ne_u16_sdwa s[2:3], v14, v19 src0_sel:BYTE_0 src1_sel:DWORD
	s_waitcnt lgkmcnt(0)
	s_barrier
	s_and_saveexec_b64 s[0:1], s[2:3]
	s_cbranch_execz .LBB593_407
; %bb.402:
	s_movk_i32 s2, 0x80
	v_cmp_ne_u16_sdwa s[8:9], v14, s2 src0_sel:BYTE_0 src1_sel:DWORD
	v_bfrev_b32_e32 v32, 1
	s_and_saveexec_b64 s[2:3], s[8:9]
	s_cbranch_execz .LBB593_406
; %bb.403:
	s_movk_i32 s7, 0x7f
	v_and_b32_e32 v18, 0x7f, v14
	v_cmp_ne_u32_e32 vcc, s7, v18
	v_mov_b32_e32 v32, 0x7f800001
	s_and_saveexec_b64 s[8:9], vcc
	s_cbranch_execz .LBB593_405
; %bb.404:
	v_and_b32_e32 v22, 7, v14
	v_ffbh_u32_e32 v20, v22
	v_min_u32_e32 v24, 32, v20
	v_subrev_u32_e32 v20, 28, v24
	v_lshlrev_b64 v[20:21], v20, v[14:15]
	v_lshrrev_b32_e32 v23, 3, v18
	v_sub_u32_e32 v21, 29, v24
	v_and_b32_e32 v20, 7, v20
	v_cmp_gt_u32_e32 vcc, 8, v18
	v_cndmask_b32_e32 v18, v23, v21, vcc
	v_cndmask_b32_e32 v20, v22, v20, vcc
	v_lshlrev_b32_e32 v21, 24, v14
	v_bfrev_b32_e32 v22, 60
	v_lshlrev_b32_e32 v20, 20, v20
	v_and_b32_e32 v21, 0x80000000, v21
	v_lshl_add_u32 v18, v18, 23, v22
	v_or3_b32 v32, v21, v18, v20
.LBB593_405:
	s_or_b64 exec, exec, s[8:9]
.LBB593_406:
	s_or_b64 exec, exec, s[2:3]
.LBB593_407:
	s_or_b64 exec, exec, s[0:1]
	v_lshrrev_b16_e32 v18, 8, v14
	v_cmp_ne_u16_e32 vcc, 0, v18
	v_mov_b32_e32 v20, 0
	s_and_saveexec_b64 s[0:1], vcc
	s_cbranch_execz .LBB593_413
; %bb.408:
	s_movk_i32 s2, 0x80
	v_cmp_ne_u16_e32 vcc, s2, v18
	v_bfrev_b32_e32 v20, 1
	s_and_saveexec_b64 s[2:3], vcc
	s_cbranch_execz .LBB593_412
; %bb.409:
	s_movk_i32 s7, 0x7f
	v_and_b32_e32 v21, 0x7f, v18
	v_cmp_ne_u32_e32 vcc, s7, v21
	v_mov_b32_e32 v20, 0x7f800001
	s_and_saveexec_b64 s[8:9], vcc
	s_cbranch_execz .LBB593_411
; %bb.410:
	v_and_b32_e32 v20, 7, v18
	v_ffbh_u32_e32 v22, v20
	v_min_u32_e32 v25, 32, v22
	v_subrev_u32_e32 v22, 28, v25
	v_lshlrev_b64 v[22:23], v22, v[18:19]
	v_lshrrev_b32_e32 v24, 3, v21
	v_sub_u32_e32 v18, 29, v25
	v_and_b32_e32 v22, 7, v22
	v_cmp_gt_u32_e32 vcc, 8, v21
	v_cndmask_b32_e32 v18, v24, v18, vcc
	v_cndmask_b32_e32 v20, v20, v22, vcc
	v_lshlrev_b32_e32 v21, 16, v14
	v_bfrev_b32_e32 v22, 60
	v_lshlrev_b32_e32 v20, 20, v20
	v_and_b32_e32 v21, 0x80000000, v21
	v_lshl_add_u32 v18, v18, 23, v22
	v_or3_b32 v20, v21, v18, v20
.LBB593_411:
	s_or_b64 exec, exec, s[8:9]
.LBB593_412:
	s_or_b64 exec, exec, s[2:3]
.LBB593_413:
	s_or_b64 exec, exec, s[0:1]
	s_movk_i32 s0, 0xff
	v_and_b32_sdwa v21, v14, s0 dst_sel:DWORD dst_unused:UNUSED_PAD src0_sel:WORD_1 src1_sel:DWORD
	v_lshrrev_b32_e32 v18, 16, v14
	v_cmp_ne_u16_e32 vcc, 0, v21
	s_and_saveexec_b64 s[0:1], vcc
	s_cbranch_execz .LBB593_419
; %bb.414:
	s_movk_i32 s2, 0x80
	v_cmp_ne_u16_e32 vcc, s2, v21
	v_bfrev_b32_e32 v19, 1
	s_and_saveexec_b64 s[2:3], vcc
	s_cbranch_execz .LBB593_418
; %bb.415:
	v_bfe_u32 v21, v14, 16, 7
	s_movk_i32 s7, 0x7f
	v_cmp_ne_u32_e32 vcc, s7, v21
	v_mov_b32_e32 v19, 0x7f800001
	s_and_saveexec_b64 s[8:9], vcc
	s_cbranch_execz .LBB593_417
; %bb.416:
	v_and_b32_e32 v22, 7, v18
	v_ffbh_u32_e32 v19, v22
	v_min_u32_e32 v24, 32, v19
	v_subrev_u32_e32 v19, 28, v24
	v_lshlrev_b64 v[18:19], v19, v[18:19]
	v_lshrrev_b32_e32 v23, 3, v21
	v_sub_u32_e32 v19, 29, v24
	v_and_b32_e32 v18, 7, v18
	v_cmp_gt_u32_e32 vcc, 8, v21
	v_mov_b32_e32 v21, 24
	v_cndmask_b32_e32 v19, v23, v19, vcc
	v_cndmask_b32_e32 v18, v22, v18, vcc
	v_lshlrev_b32_sdwa v21, v21, v14 dst_sel:DWORD dst_unused:UNUSED_PAD src0_sel:DWORD src1_sel:WORD_1
	v_bfrev_b32_e32 v22, 60
	v_lshlrev_b32_e32 v18, 20, v18
	v_and_b32_e32 v21, 0x80000000, v21
	v_lshl_add_u32 v19, v19, 23, v22
	v_or3_b32 v19, v21, v19, v18
.LBB593_417:
	s_or_b64 exec, exec, s[8:9]
.LBB593_418:
	s_or_b64 exec, exec, s[2:3]
.LBB593_419:
	s_or_b64 exec, exec, s[0:1]
	s_mov_b32 s0, 0xffffff
	v_cmp_lt_u32_e32 vcc, s0, v14
	v_mov_b32_e32 v21, 0
	v_mov_b32_e32 v22, 0
	s_and_saveexec_b64 s[0:1], vcc
	s_cbranch_execz .LBB593_425
; %bb.420:
	v_lshrrev_b32_e32 v18, 24, v14
	s_movk_i32 s2, 0x80
	v_cmp_ne_u32_e32 vcc, s2, v18
	v_bfrev_b32_e32 v22, 1
	s_and_saveexec_b64 s[2:3], vcc
	s_cbranch_execz .LBB593_424
; %bb.421:
	v_bfe_u32 v14, v14, 24, 7
	s_movk_i32 s7, 0x7f
	v_cmp_ne_u32_e32 vcc, s7, v14
	v_mov_b32_e32 v22, 0x7f800001
	s_and_saveexec_b64 s[8:9], vcc
	s_cbranch_execz .LBB593_423
; %bb.422:
	v_and_b32_e32 v24, 7, v18
	v_ffbh_u32_e32 v22, v24
	v_min_u32_e32 v27, 32, v22
	v_subrev_u32_e32 v22, 28, v27
	v_lshlrev_b64 v[22:23], v22, v[18:19]
	v_lshrrev_b32_e32 v25, 3, v14
	v_sub_u32_e32 v23, 29, v27
	v_and_b32_e32 v22, 7, v22
	v_cmp_gt_u32_e32 vcc, 8, v14
	v_cndmask_b32_e32 v14, v25, v23, vcc
	v_cndmask_b32_e32 v22, v24, v22, vcc
	v_lshlrev_b32_e32 v18, 24, v18
	v_bfrev_b32_e32 v23, 60
	v_lshlrev_b32_e32 v22, 20, v22
	v_and_b32_e32 v18, 0x80000000, v18
	v_lshl_add_u32 v14, v14, 23, v23
	v_or3_b32 v22, v18, v14, v22
.LBB593_423:
	s_or_b64 exec, exec, s[8:9]
.LBB593_424:
	s_or_b64 exec, exec, s[2:3]
.LBB593_425:
	s_or_b64 exec, exec, s[0:1]
	v_cmp_ne_u16_sdwa s[2:3], v15, v21 src0_sel:BYTE_0 src1_sel:DWORD
	s_and_saveexec_b64 s[0:1], s[2:3]
	s_cbranch_execz .LBB593_431
; %bb.426:
	s_movk_i32 s2, 0x80
	v_cmp_ne_u16_sdwa s[8:9], v15, s2 src0_sel:BYTE_0 src1_sel:DWORD
	v_bfrev_b32_e32 v21, 1
	s_and_saveexec_b64 s[2:3], s[8:9]
	s_cbranch_execz .LBB593_430
; %bb.427:
	s_movk_i32 s7, 0x7f
	v_and_b32_e32 v14, 0x7f, v15
	v_cmp_ne_u32_e32 vcc, s7, v14
	v_mov_b32_e32 v21, 0x7f800001
	s_and_saveexec_b64 s[8:9], vcc
	s_cbranch_execz .LBB593_429
; %bb.428:
	v_and_b32_e32 v21, 7, v15
	v_ffbh_u32_e32 v24, v21
	v_min_u32_e32 v27, 32, v24
	v_mov_b32_e32 v18, v15
	v_subrev_u32_e32 v24, 28, v27
	v_lshlrev_b64 v[24:25], v24, v[18:19]
	v_lshrrev_b32_e32 v23, 3, v14
	v_sub_u32_e32 v18, 29, v27
	v_and_b32_e32 v24, 7, v24
	v_cmp_gt_u32_e32 vcc, 8, v14
	v_cndmask_b32_e32 v14, v23, v18, vcc
	v_cndmask_b32_e32 v18, v21, v24, vcc
	v_lshlrev_b32_e32 v21, 24, v15
	v_bfrev_b32_e32 v23, 60
	v_lshlrev_b32_e32 v18, 20, v18
	v_and_b32_e32 v21, 0x80000000, v21
	v_lshl_add_u32 v14, v14, 23, v23
	v_or3_b32 v21, v21, v14, v18
.LBB593_429:
	s_or_b64 exec, exec, s[8:9]
.LBB593_430:
	s_or_b64 exec, exec, s[2:3]
.LBB593_431:
	s_or_b64 exec, exec, s[0:1]
	v_lshrrev_b16_e32 v14, 8, v15
	v_cmp_ne_u16_e32 vcc, 0, v14
	v_mov_b32_e32 v18, 0
	v_mov_b32_e32 v24, 0
	s_and_saveexec_b64 s[0:1], vcc
	s_cbranch_execz .LBB593_437
; %bb.432:
	s_movk_i32 s2, 0x80
	v_cmp_ne_u16_e32 vcc, s2, v14
	v_bfrev_b32_e32 v24, 1
	s_and_saveexec_b64 s[2:3], vcc
	s_cbranch_execz .LBB593_436
; %bb.433:
	s_movk_i32 s7, 0x7f
	v_and_b32_e32 v23, 0x7f, v14
	v_cmp_ne_u32_e32 vcc, s7, v23
	v_mov_b32_e32 v24, 0x7f800001
	s_and_saveexec_b64 s[8:9], vcc
	s_cbranch_execz .LBB593_435
; %bb.434:
	v_and_b32_e32 v27, 7, v14
	v_ffbh_u32_e32 v24, v27
	v_min_u32_e32 v29, 32, v24
	v_subrev_u32_e32 v24, 28, v29
	v_lshlrev_b64 v[24:25], v24, v[14:15]
	v_lshrrev_b32_e32 v28, 3, v23
	v_sub_u32_e32 v14, 29, v29
	v_and_b32_e32 v24, 7, v24
	v_cmp_gt_u32_e32 vcc, 8, v23
	v_cndmask_b32_e32 v14, v28, v14, vcc
	v_cndmask_b32_e32 v23, v27, v24, vcc
	v_lshlrev_b32_e32 v24, 16, v15
	v_bfrev_b32_e32 v25, 60
	v_lshlrev_b32_e32 v23, 20, v23
	v_and_b32_e32 v24, 0x80000000, v24
	v_lshl_add_u32 v14, v14, 23, v25
	v_or3_b32 v24, v24, v14, v23
.LBB593_435:
	s_or_b64 exec, exec, s[8:9]
.LBB593_436:
	s_or_b64 exec, exec, s[2:3]
.LBB593_437:
	s_or_b64 exec, exec, s[0:1]
	s_movk_i32 s0, 0xff
	v_and_b32_sdwa v23, v15, s0 dst_sel:DWORD dst_unused:UNUSED_PAD src0_sel:WORD_1 src1_sel:DWORD
	v_lshrrev_b32_e32 v14, 16, v15
	v_cmp_ne_u16_e32 vcc, 0, v23
	s_and_saveexec_b64 s[0:1], vcc
	s_cbranch_execz .LBB593_443
; %bb.438:
	s_movk_i32 s2, 0x80
	v_cmp_ne_u16_e32 vcc, s2, v23
	v_bfrev_b32_e32 v18, 1
	s_and_saveexec_b64 s[2:3], vcc
	s_cbranch_execz .LBB593_442
; %bb.439:
	v_bfe_u32 v23, v15, 16, 7
	s_movk_i32 s7, 0x7f
	v_cmp_ne_u32_e32 vcc, s7, v23
	v_mov_b32_e32 v18, 0x7f800001
	s_and_saveexec_b64 s[8:9], vcc
	s_cbranch_execz .LBB593_441
; %bb.440:
	v_and_b32_e32 v18, 7, v14
	v_ffbh_u32_e32 v27, v18
	v_min_u32_e32 v27, 32, v27
	v_subrev_u32_e32 v28, 28, v27
	v_lshlrev_b64 v[28:29], v28, v[14:15]
	v_lshrrev_b32_e32 v25, 3, v23
	v_sub_u32_e32 v14, 29, v27
	v_and_b32_e32 v27, 7, v28
	v_cmp_gt_u32_e32 vcc, 8, v23
	v_mov_b32_e32 v23, 24
	v_cndmask_b32_e32 v14, v25, v14, vcc
	v_cndmask_b32_e32 v18, v18, v27, vcc
	v_lshlrev_b32_sdwa v23, v23, v15 dst_sel:DWORD dst_unused:UNUSED_PAD src0_sel:DWORD src1_sel:WORD_1
	v_bfrev_b32_e32 v25, 60
	v_lshlrev_b32_e32 v18, 20, v18
	v_and_b32_e32 v23, 0x80000000, v23
	v_lshl_add_u32 v14, v14, 23, v25
	v_or3_b32 v18, v23, v14, v18
.LBB593_441:
	s_or_b64 exec, exec, s[8:9]
.LBB593_442:
	s_or_b64 exec, exec, s[2:3]
.LBB593_443:
	s_or_b64 exec, exec, s[0:1]
	s_mov_b32 s0, 0xffffff
	v_cmp_lt_u32_e32 vcc, s0, v15
	v_mov_b32_e32 v23, 0
	v_mov_b32_e32 v25, 0
	s_and_saveexec_b64 s[0:1], vcc
	s_cbranch_execz .LBB593_449
; %bb.444:
	v_lshrrev_b32_e32 v14, 24, v15
	s_movk_i32 s2, 0x80
	v_cmp_ne_u32_e32 vcc, s2, v14
	v_bfrev_b32_e32 v25, 1
	s_and_saveexec_b64 s[2:3], vcc
	s_cbranch_execz .LBB593_448
; %bb.445:
	v_bfe_u32 v15, v15, 24, 7
	s_movk_i32 s7, 0x7f
	v_cmp_ne_u32_e32 vcc, s7, v15
	v_mov_b32_e32 v25, 0x7f800001
	s_and_saveexec_b64 s[8:9], vcc
	s_cbranch_execz .LBB593_447
; %bb.446:
	v_and_b32_e32 v25, 7, v14
	v_ffbh_u32_e32 v28, v25
	v_min_u32_e32 v30, 32, v28
	v_subrev_u32_e32 v28, 28, v30
	v_lshlrev_b64 v[28:29], v28, v[14:15]
	v_lshrrev_b32_e32 v27, 3, v15
	v_sub_u32_e32 v29, 29, v30
	v_and_b32_e32 v28, 7, v28
	v_cmp_gt_u32_e32 vcc, 8, v15
	v_cndmask_b32_e32 v15, v27, v29, vcc
	v_cndmask_b32_e32 v25, v25, v28, vcc
	v_lshlrev_b32_e32 v14, 24, v14
	v_bfrev_b32_e32 v27, 60
	v_lshlrev_b32_e32 v25, 20, v25
	v_and_b32_e32 v14, 0x80000000, v14
	v_lshl_add_u32 v15, v15, 23, v27
	v_or3_b32 v25, v14, v15, v25
.LBB593_447:
	s_or_b64 exec, exec, s[8:9]
.LBB593_448:
	s_or_b64 exec, exec, s[2:3]
.LBB593_449:
	s_or_b64 exec, exec, s[0:1]
	v_cvt_pkrtz_f16_f32 v15, v19, v22
	v_lshl_or_b32 v22, v49, 9, v50
	v_cvt_pkrtz_f16_f32 v14, v32, v20
	ds_read_b128 v[28:31], v22
	v_cmp_ne_u16_sdwa s[2:3], v16, v23 src0_sel:BYTE_0 src1_sel:DWORD
	s_waitcnt lgkmcnt(0)
	v_mfma_f32_16x16x16f16 v[32:35], v[14:15], v[28:29], 0
	v_cvt_pkrtz_f16_f32 v14, v21, v24
	v_cvt_pkrtz_f16_f32 v15, v18, v25
	s_nop 1
	v_mfma_f32_16x16x16f16 v[18:21], v[14:15], v[30:31], v[32:35]
	s_and_saveexec_b64 s[0:1], s[2:3]
	s_cbranch_execz .LBB593_455
; %bb.450:
	s_movk_i32 s2, 0x80
	v_cmp_ne_u16_sdwa s[8:9], v16, s2 src0_sel:BYTE_0 src1_sel:DWORD
	v_bfrev_b32_e32 v23, 1
	s_and_saveexec_b64 s[2:3], s[8:9]
	s_cbranch_execz .LBB593_454
; %bb.451:
	s_movk_i32 s7, 0x7f
	v_and_b32_e32 v14, 0x7f, v16
	v_cmp_ne_u32_e32 vcc, s7, v14
	v_mov_b32_e32 v23, 0x7f800001
	s_and_saveexec_b64 s[8:9], vcc
	s_cbranch_execz .LBB593_453
; %bb.452:
	v_and_b32_e32 v15, 7, v16
	v_ffbh_u32_e32 v24, v15
	v_min_u32_e32 v27, 32, v24
	v_subrev_u32_e32 v24, 28, v27
	v_lshlrev_b64 v[24:25], v24, v[16:17]
	v_lshrrev_b32_e32 v23, 3, v14
	v_sub_u32_e32 v25, 29, v27
	v_and_b32_e32 v24, 7, v24
	v_cmp_gt_u32_e32 vcc, 8, v14
	v_cndmask_b32_e32 v14, v23, v25, vcc
	v_cndmask_b32_e32 v15, v15, v24, vcc
	v_lshlrev_b32_e32 v23, 24, v16
	v_bfrev_b32_e32 v24, 60
	v_lshlrev_b32_e32 v15, 20, v15
	v_and_b32_e32 v23, 0x80000000, v23
	v_lshl_add_u32 v14, v14, 23, v24
	v_or3_b32 v23, v23, v14, v15
.LBB593_453:
	s_or_b64 exec, exec, s[8:9]
.LBB593_454:
	s_or_b64 exec, exec, s[2:3]
.LBB593_455:
	s_or_b64 exec, exec, s[0:1]
	v_lshrrev_b16_e32 v14, 8, v16
	v_cmp_ne_u16_e32 vcc, 0, v14
	v_mov_b32_e32 v15, 0
	v_mov_b32_e32 v25, 0
	s_and_saveexec_b64 s[0:1], vcc
	s_cbranch_execz .LBB593_461
; %bb.456:
	s_movk_i32 s2, 0x80
	v_cmp_ne_u16_e32 vcc, s2, v14
	v_bfrev_b32_e32 v25, 1
	s_and_saveexec_b64 s[2:3], vcc
	s_cbranch_execz .LBB593_460
; %bb.457:
	s_movk_i32 s7, 0x7f
	v_and_b32_e32 v24, 0x7f, v14
	v_cmp_ne_u32_e32 vcc, s7, v24
	v_mov_b32_e32 v25, 0x7f800001
	s_and_saveexec_b64 s[8:9], vcc
	s_cbranch_execz .LBB593_459
; %bb.458:
	v_and_b32_e32 v25, 7, v14
	v_ffbh_u32_e32 v28, v25
	v_min_u32_e32 v30, 32, v28
	v_subrev_u32_e32 v28, 28, v30
	v_lshlrev_b64 v[28:29], v28, v[14:15]
	v_lshrrev_b32_e32 v27, 3, v24
	v_sub_u32_e32 v14, 29, v30
	v_and_b32_e32 v28, 7, v28
	v_cmp_gt_u32_e32 vcc, 8, v24
	v_cndmask_b32_e32 v14, v27, v14, vcc
	v_cndmask_b32_e32 v24, v25, v28, vcc
	v_lshlrev_b32_e32 v25, 16, v16
	v_bfrev_b32_e32 v27, 60
	v_lshlrev_b32_e32 v24, 20, v24
	v_and_b32_e32 v25, 0x80000000, v25
	v_lshl_add_u32 v14, v14, 23, v27
	v_or3_b32 v25, v25, v14, v24
.LBB593_459:
	s_or_b64 exec, exec, s[8:9]
.LBB593_460:
	s_or_b64 exec, exec, s[2:3]
.LBB593_461:
	s_or_b64 exec, exec, s[0:1]
	s_movk_i32 s0, 0xff
	v_and_b32_sdwa v24, v16, s0 dst_sel:DWORD dst_unused:UNUSED_PAD src0_sel:WORD_1 src1_sel:DWORD
	v_lshrrev_b32_e32 v14, 16, v16
	v_cmp_ne_u16_e32 vcc, 0, v24
	s_and_saveexec_b64 s[0:1], vcc
	s_cbranch_execz .LBB593_467
; %bb.462:
	s_movk_i32 s2, 0x80
	v_cmp_ne_u16_e32 vcc, s2, v24
	v_bfrev_b32_e32 v15, 1
	s_and_saveexec_b64 s[2:3], vcc
	s_cbranch_execz .LBB593_466
; %bb.463:
	v_bfe_u32 v24, v16, 16, 7
	s_movk_i32 s7, 0x7f
	v_cmp_ne_u32_e32 vcc, s7, v24
	v_mov_b32_e32 v15, 0x7f800001
	s_and_saveexec_b64 s[8:9], vcc
	s_cbranch_execz .LBB593_465
; %bb.464:
	v_and_b32_e32 v27, 7, v14
	v_ffbh_u32_e32 v15, v27
	v_min_u32_e32 v29, 32, v15
	v_subrev_u32_e32 v15, 28, v29
	v_lshlrev_b64 v[14:15], v15, v[14:15]
	v_lshrrev_b32_e32 v28, 3, v24
	v_sub_u32_e32 v15, 29, v29
	v_and_b32_e32 v14, 7, v14
	v_cmp_gt_u32_e32 vcc, 8, v24
	v_mov_b32_e32 v24, 24
	v_cndmask_b32_e32 v15, v28, v15, vcc
	v_cndmask_b32_e32 v14, v27, v14, vcc
	v_lshlrev_b32_sdwa v24, v24, v16 dst_sel:DWORD dst_unused:UNUSED_PAD src0_sel:DWORD src1_sel:WORD_1
	v_bfrev_b32_e32 v27, 60
	v_lshlrev_b32_e32 v14, 20, v14
	v_and_b32_e32 v24, 0x80000000, v24
	v_lshl_add_u32 v15, v15, 23, v27
	v_or3_b32 v15, v24, v15, v14
.LBB593_465:
	s_or_b64 exec, exec, s[8:9]
.LBB593_466:
	s_or_b64 exec, exec, s[2:3]
.LBB593_467:
	s_or_b64 exec, exec, s[0:1]
	s_mov_b32 s0, 0xffffff
	v_cmp_lt_u32_e32 vcc, s0, v16
	v_mov_b32_e32 v27, 0
	v_mov_b32_e32 v28, 0
	s_and_saveexec_b64 s[0:1], vcc
	s_cbranch_execz .LBB593_473
; %bb.468:
	v_lshrrev_b32_e32 v14, 24, v16
	s_movk_i32 s2, 0x80
	v_cmp_ne_u32_e32 vcc, s2, v14
	v_bfrev_b32_e32 v28, 1
	s_and_saveexec_b64 s[2:3], vcc
	s_cbranch_execz .LBB593_472
; %bb.469:
	v_bfe_u32 v16, v16, 24, 7
	s_movk_i32 s7, 0x7f
	v_cmp_ne_u32_e32 vcc, s7, v16
	v_mov_b32_e32 v28, 0x7f800001
	s_and_saveexec_b64 s[8:9], vcc
	s_cbranch_execz .LBB593_471
; %bb.470:
	v_and_b32_e32 v24, 7, v14
	v_ffbh_u32_e32 v28, v24
	v_min_u32_e32 v31, 32, v28
	v_subrev_u32_e32 v28, 28, v31
	v_lshlrev_b64 v[28:29], v28, v[14:15]
	v_lshrrev_b32_e32 v30, 3, v16
	v_sub_u32_e32 v29, 29, v31
	v_and_b32_e32 v28, 7, v28
	v_cmp_gt_u32_e32 vcc, 8, v16
	v_cndmask_b32_e32 v16, v30, v29, vcc
	v_cndmask_b32_e32 v24, v24, v28, vcc
	v_lshlrev_b32_e32 v14, 24, v14
	v_bfrev_b32_e32 v28, 60
	v_lshlrev_b32_e32 v24, 20, v24
	v_and_b32_e32 v14, 0x80000000, v14
	v_lshl_add_u32 v16, v16, 23, v28
	v_or3_b32 v28, v14, v16, v24
.LBB593_471:
	s_or_b64 exec, exec, s[8:9]
.LBB593_472:
	s_or_b64 exec, exec, s[2:3]
.LBB593_473:
	s_or_b64 exec, exec, s[0:1]
	v_cmp_ne_u16_sdwa s[2:3], v17, v27 src0_sel:BYTE_0 src1_sel:DWORD
	s_and_saveexec_b64 s[0:1], s[2:3]
	s_cbranch_execz .LBB593_479
; %bb.474:
	s_movk_i32 s2, 0x80
	v_cmp_ne_u16_sdwa s[8:9], v17, s2 src0_sel:BYTE_0 src1_sel:DWORD
	v_bfrev_b32_e32 v27, 1
	s_and_saveexec_b64 s[2:3], s[8:9]
	s_cbranch_execz .LBB593_478
; %bb.475:
	s_movk_i32 s7, 0x7f
	v_and_b32_e32 v14, 0x7f, v17
	v_cmp_ne_u32_e32 vcc, s7, v14
	v_mov_b32_e32 v27, 0x7f800001
	s_and_saveexec_b64 s[8:9], vcc
	s_cbranch_execz .LBB593_477
; %bb.476:
	v_and_b32_e32 v24, 7, v17
	v_ffbh_u32_e32 v29, v24
	v_min_u32_e32 v29, 32, v29
	v_mov_b32_e32 v16, v17
	v_subrev_u32_e32 v30, 28, v29
	v_lshlrev_b64 v[30:31], v30, v[16:17]
	v_lshrrev_b32_e32 v27, 3, v14
	v_sub_u32_e32 v16, 29, v29
	v_and_b32_e32 v29, 7, v30
	v_cmp_gt_u32_e32 vcc, 8, v14
	v_cndmask_b32_e32 v14, v27, v16, vcc
	v_cndmask_b32_e32 v16, v24, v29, vcc
	v_lshlrev_b32_e32 v24, 24, v17
	v_bfrev_b32_e32 v27, 60
	v_lshlrev_b32_e32 v16, 20, v16
	v_and_b32_e32 v24, 0x80000000, v24
	v_lshl_add_u32 v14, v14, 23, v27
	v_or3_b32 v27, v24, v14, v16
.LBB593_477:
	s_or_b64 exec, exec, s[8:9]
.LBB593_478:
	s_or_b64 exec, exec, s[2:3]
.LBB593_479:
	s_or_b64 exec, exec, s[0:1]
	v_lshrrev_b16_e32 v14, 8, v17
	v_cmp_ne_u16_e32 vcc, 0, v14
	v_mov_b32_e32 v16, 0
	v_mov_b32_e32 v29, 0
	s_and_saveexec_b64 s[0:1], vcc
	s_cbranch_execz .LBB593_485
; %bb.480:
	s_movk_i32 s2, 0x80
	v_cmp_ne_u16_e32 vcc, s2, v14
	v_bfrev_b32_e32 v29, 1
	s_and_saveexec_b64 s[2:3], vcc
	s_cbranch_execz .LBB593_484
; %bb.481:
	s_movk_i32 s7, 0x7f
	v_and_b32_e32 v24, 0x7f, v14
	v_cmp_ne_u32_e32 vcc, s7, v24
	v_mov_b32_e32 v29, 0x7f800001
	s_and_saveexec_b64 s[8:9], vcc
	s_cbranch_execz .LBB593_483
; %bb.482:
	v_and_b32_e32 v29, 7, v14
	v_ffbh_u32_e32 v30, v29
	v_min_u32_e32 v33, 32, v30
	v_subrev_u32_e32 v30, 28, v33
	v_lshlrev_b64 v[30:31], v30, v[14:15]
	v_lshrrev_b32_e32 v32, 3, v24
	v_sub_u32_e32 v14, 29, v33
	v_and_b32_e32 v30, 7, v30
	v_cmp_gt_u32_e32 vcc, 8, v24
	v_cndmask_b32_e32 v14, v32, v14, vcc
	v_cndmask_b32_e32 v24, v29, v30, vcc
	v_lshlrev_b32_e32 v29, 16, v17
	v_bfrev_b32_e32 v30, 60
	v_lshlrev_b32_e32 v24, 20, v24
	v_and_b32_e32 v29, 0x80000000, v29
	v_lshl_add_u32 v14, v14, 23, v30
	v_or3_b32 v29, v29, v14, v24
.LBB593_483:
	s_or_b64 exec, exec, s[8:9]
.LBB593_484:
	s_or_b64 exec, exec, s[2:3]
.LBB593_485:
	s_or_b64 exec, exec, s[0:1]
	s_movk_i32 s0, 0xff
	v_and_b32_sdwa v24, v17, s0 dst_sel:DWORD dst_unused:UNUSED_PAD src0_sel:WORD_1 src1_sel:DWORD
	v_lshrrev_b32_e32 v14, 16, v17
	v_cmp_ne_u16_e32 vcc, 0, v24
	s_and_saveexec_b64 s[0:1], vcc
	s_cbranch_execz .LBB593_491
; %bb.486:
	s_movk_i32 s2, 0x80
	v_cmp_ne_u16_e32 vcc, s2, v24
	v_bfrev_b32_e32 v16, 1
	s_and_saveexec_b64 s[2:3], vcc
	s_cbranch_execz .LBB593_490
; %bb.487:
	v_bfe_u32 v24, v17, 16, 7
	s_movk_i32 s7, 0x7f
	v_cmp_ne_u32_e32 vcc, s7, v24
	v_mov_b32_e32 v16, 0x7f800001
	s_and_saveexec_b64 s[8:9], vcc
	s_cbranch_execz .LBB593_489
; %bb.488:
	v_and_b32_e32 v16, 7, v14
	v_ffbh_u32_e32 v30, v16
	v_min_u32_e32 v33, 32, v30
	v_subrev_u32_e32 v30, 28, v33
	v_lshlrev_b64 v[30:31], v30, v[14:15]
	v_lshrrev_b32_e32 v32, 3, v24
	v_sub_u32_e32 v14, 29, v33
	v_and_b32_e32 v30, 7, v30
	v_cmp_gt_u32_e32 vcc, 8, v24
	v_mov_b32_e32 v24, 24
	v_cndmask_b32_e32 v14, v32, v14, vcc
	v_cndmask_b32_e32 v16, v16, v30, vcc
	v_lshlrev_b32_sdwa v24, v24, v17 dst_sel:DWORD dst_unused:UNUSED_PAD src0_sel:DWORD src1_sel:WORD_1
	v_bfrev_b32_e32 v30, 60
	v_lshlrev_b32_e32 v16, 20, v16
	v_and_b32_e32 v24, 0x80000000, v24
	v_lshl_add_u32 v14, v14, 23, v30
	v_or3_b32 v16, v24, v14, v16
.LBB593_489:
	s_or_b64 exec, exec, s[8:9]
.LBB593_490:
	s_or_b64 exec, exec, s[2:3]
.LBB593_491:
	s_or_b64 exec, exec, s[0:1]
	s_mov_b32 s0, 0xffffff
	v_cmp_lt_u32_e32 vcc, s0, v17
	v_mov_b32_e32 v24, 0
	v_mov_b32_e32 v30, 0
	s_and_saveexec_b64 s[0:1], vcc
	s_cbranch_execz .LBB593_497
; %bb.492:
	v_lshrrev_b32_e32 v14, 24, v17
	s_movk_i32 s2, 0x80
	v_cmp_ne_u32_e32 vcc, s2, v14
	v_bfrev_b32_e32 v30, 1
	s_and_saveexec_b64 s[2:3], vcc
	s_cbranch_execz .LBB593_496
; %bb.493:
	v_bfe_u32 v17, v17, 24, 7
	s_movk_i32 s7, 0x7f
	v_cmp_ne_u32_e32 vcc, s7, v17
	v_mov_b32_e32 v30, 0x7f800001
	s_and_saveexec_b64 s[8:9], vcc
	s_cbranch_execz .LBB593_495
; %bb.494:
	v_and_b32_e32 v32, 7, v14
	v_ffbh_u32_e32 v30, v32
	v_min_u32_e32 v34, 32, v30
	v_subrev_u32_e32 v30, 28, v34
	v_lshlrev_b64 v[30:31], v30, v[14:15]
	v_lshrrev_b32_e32 v33, 3, v17
	v_sub_u32_e32 v31, 29, v34
	v_and_b32_e32 v30, 7, v30
	v_cmp_gt_u32_e32 vcc, 8, v17
	v_cndmask_b32_e32 v17, v33, v31, vcc
	v_cndmask_b32_e32 v30, v32, v30, vcc
	v_lshlrev_b32_e32 v14, 24, v14
	v_bfrev_b32_e32 v31, 60
	v_lshlrev_b32_e32 v30, 20, v30
	v_and_b32_e32 v14, 0x80000000, v14
	v_lshl_add_u32 v17, v17, 23, v31
	v_or3_b32 v30, v14, v17, v30
.LBB593_495:
	s_or_b64 exec, exec, s[8:9]
.LBB593_496:
	s_or_b64 exec, exec, s[2:3]
.LBB593_497:
	s_or_b64 exec, exec, s[0:1]
	v_cvt_pkrtz_f16_f32 v14, v23, v25
	v_cvt_pkrtz_f16_f32 v15, v15, v28
	ds_read_b128 v[32:35], v22 offset:16
	s_waitcnt vmcnt(2)
	v_cmp_ne_u16_sdwa s[2:3], v10, v24 src0_sel:BYTE_0 src1_sel:DWORD
	s_waitcnt lgkmcnt(0)
	v_mfma_f32_16x16x16f16 v[18:21], v[14:15], v[32:33], v[18:21]
	v_cvt_pkrtz_f16_f32 v14, v27, v29
	v_cvt_pkrtz_f16_f32 v15, v16, v30
	s_nop 1
	v_mfma_f32_16x16x16f16 v[14:17], v[14:15], v[34:35], v[18:21]
	s_and_saveexec_b64 s[0:1], s[2:3]
	s_cbranch_execz .LBB593_503
; %bb.498:
	s_movk_i32 s2, 0x80
	v_cmp_ne_u16_sdwa s[8:9], v10, s2 src0_sel:BYTE_0 src1_sel:DWORD
	v_bfrev_b32_e32 v24, 1
	s_and_saveexec_b64 s[2:3], s[8:9]
	s_cbranch_execz .LBB593_502
; %bb.499:
	s_movk_i32 s7, 0x7f
	v_and_b32_e32 v18, 0x7f, v10
	v_cmp_ne_u32_e32 vcc, s7, v18
	v_mov_b32_e32 v24, 0x7f800001
	s_and_saveexec_b64 s[8:9], vcc
	s_cbranch_execz .LBB593_501
; %bb.500:
	v_and_b32_e32 v19, 7, v10
	v_ffbh_u32_e32 v20, v19
	v_min_u32_e32 v24, 32, v20
	v_subrev_u32_e32 v20, 28, v24
	v_lshlrev_b64 v[20:21], v20, v[10:11]
	v_lshrrev_b32_e32 v23, 3, v18
	v_sub_u32_e32 v21, 29, v24
	v_and_b32_e32 v20, 7, v20
	v_cmp_gt_u32_e32 vcc, 8, v18
	v_cndmask_b32_e32 v18, v23, v21, vcc
	v_cndmask_b32_e32 v19, v19, v20, vcc
	v_lshlrev_b32_e32 v20, 24, v10
	v_bfrev_b32_e32 v21, 60
	v_lshlrev_b32_e32 v19, 20, v19
	v_and_b32_e32 v20, 0x80000000, v20
	v_lshl_add_u32 v18, v18, 23, v21
	v_or3_b32 v24, v20, v18, v19
.LBB593_501:
	s_or_b64 exec, exec, s[8:9]
.LBB593_502:
	s_or_b64 exec, exec, s[2:3]
.LBB593_503:
	s_or_b64 exec, exec, s[0:1]
	s_nop 3
	v_lshrrev_b16_e32 v18, 8, v10
	v_cmp_ne_u16_e32 vcc, 0, v18
	v_mov_b32_e32 v19, 0
	v_mov_b32_e32 v20, 0
	s_and_saveexec_b64 s[0:1], vcc
	s_cbranch_execz .LBB593_509
; %bb.504:
	s_movk_i32 s2, 0x80
	v_cmp_ne_u16_e32 vcc, s2, v18
	v_bfrev_b32_e32 v20, 1
	s_and_saveexec_b64 s[2:3], vcc
	s_cbranch_execz .LBB593_508
; %bb.505:
	s_movk_i32 s7, 0x7f
	v_and_b32_e32 v21, 0x7f, v18
	v_cmp_ne_u32_e32 vcc, s7, v21
	v_mov_b32_e32 v20, 0x7f800001
	s_and_saveexec_b64 s[8:9], vcc
	s_cbranch_execz .LBB593_507
; %bb.506:
	v_and_b32_e32 v20, 7, v18
	v_ffbh_u32_e32 v25, v20
	v_min_u32_e32 v25, 32, v25
	v_subrev_u32_e32 v27, 28, v25
	v_lshlrev_b64 v[28:29], v27, v[18:19]
	v_lshrrev_b32_e32 v23, 3, v21
	v_sub_u32_e32 v18, 29, v25
	v_and_b32_e32 v25, 7, v28
	v_cmp_gt_u32_e32 vcc, 8, v21
	v_cndmask_b32_e32 v18, v23, v18, vcc
	v_cndmask_b32_e32 v20, v20, v25, vcc
	v_lshlrev_b32_e32 v21, 16, v10
	v_bfrev_b32_e32 v23, 60
	v_lshlrev_b32_e32 v20, 20, v20
	v_and_b32_e32 v21, 0x80000000, v21
	v_lshl_add_u32 v18, v18, 23, v23
	v_or3_b32 v20, v21, v18, v20
.LBB593_507:
	s_or_b64 exec, exec, s[8:9]
.LBB593_508:
	s_or_b64 exec, exec, s[2:3]
.LBB593_509:
	s_or_b64 exec, exec, s[0:1]
	s_movk_i32 s0, 0xff
	v_and_b32_sdwa v21, v10, s0 dst_sel:DWORD dst_unused:UNUSED_PAD src0_sel:WORD_1 src1_sel:DWORD
	v_lshrrev_b32_e32 v18, 16, v10
	v_cmp_ne_u16_e32 vcc, 0, v21
	s_and_saveexec_b64 s[0:1], vcc
	s_cbranch_execz .LBB593_515
; %bb.510:
	s_movk_i32 s2, 0x80
	v_cmp_ne_u16_e32 vcc, s2, v21
	v_bfrev_b32_e32 v19, 1
	s_and_saveexec_b64 s[2:3], vcc
	s_cbranch_execz .LBB593_514
; %bb.511:
	v_bfe_u32 v21, v10, 16, 7
	s_movk_i32 s7, 0x7f
	v_cmp_ne_u32_e32 vcc, s7, v21
	v_mov_b32_e32 v19, 0x7f800001
	s_and_saveexec_b64 s[8:9], vcc
	s_cbranch_execz .LBB593_513
; %bb.512:
	v_and_b32_e32 v23, 7, v18
	v_ffbh_u32_e32 v19, v23
	v_min_u32_e32 v27, 32, v19
	v_subrev_u32_e32 v19, 28, v27
	v_lshlrev_b64 v[18:19], v19, v[18:19]
	v_lshrrev_b32_e32 v25, 3, v21
	v_sub_u32_e32 v19, 29, v27
	v_and_b32_e32 v18, 7, v18
	v_cmp_gt_u32_e32 vcc, 8, v21
	v_mov_b32_e32 v21, 24
	v_cndmask_b32_e32 v19, v25, v19, vcc
	v_cndmask_b32_e32 v18, v23, v18, vcc
	v_lshlrev_b32_sdwa v21, v21, v10 dst_sel:DWORD dst_unused:UNUSED_PAD src0_sel:DWORD src1_sel:WORD_1
	v_bfrev_b32_e32 v23, 60
	v_lshlrev_b32_e32 v18, 20, v18
	v_and_b32_e32 v21, 0x80000000, v21
	v_lshl_add_u32 v19, v19, 23, v23
	v_or3_b32 v19, v21, v19, v18
.LBB593_513:
	s_or_b64 exec, exec, s[8:9]
.LBB593_514:
	s_or_b64 exec, exec, s[2:3]
.LBB593_515:
	s_or_b64 exec, exec, s[0:1]
	s_mov_b32 s0, 0xffffff
	v_cmp_lt_u32_e32 vcc, s0, v10
	v_mov_b32_e32 v21, 0
	v_mov_b32_e32 v23, 0
	s_and_saveexec_b64 s[0:1], vcc
	s_cbranch_execz .LBB593_521
; %bb.516:
	v_lshrrev_b32_e32 v18, 24, v10
	s_movk_i32 s2, 0x80
	v_cmp_ne_u32_e32 vcc, s2, v18
	v_bfrev_b32_e32 v23, 1
	s_and_saveexec_b64 s[2:3], vcc
	s_cbranch_execz .LBB593_520
; %bb.517:
	v_bfe_u32 v10, v10, 24, 7
	s_movk_i32 s7, 0x7f
	v_cmp_ne_u32_e32 vcc, s7, v10
	v_mov_b32_e32 v23, 0x7f800001
	s_and_saveexec_b64 s[8:9], vcc
	s_cbranch_execz .LBB593_519
; %bb.518:
	v_and_b32_e32 v23, 7, v18
	v_ffbh_u32_e32 v27, v23
	v_min_u32_e32 v27, 32, v27
	v_subrev_u32_e32 v28, 28, v27
	v_lshlrev_b64 v[28:29], v28, v[18:19]
	v_lshrrev_b32_e32 v25, 3, v10
	v_sub_u32_e32 v27, 29, v27
	v_and_b32_e32 v28, 7, v28
	v_cmp_gt_u32_e32 vcc, 8, v10
	v_cndmask_b32_e32 v10, v25, v27, vcc
	v_cndmask_b32_e32 v23, v23, v28, vcc
	v_lshlrev_b32_e32 v18, 24, v18
	v_bfrev_b32_e32 v25, 60
	v_lshlrev_b32_e32 v23, 20, v23
	v_and_b32_e32 v18, 0x80000000, v18
	v_lshl_add_u32 v10, v10, 23, v25
	v_or3_b32 v23, v18, v10, v23
.LBB593_519:
	s_or_b64 exec, exec, s[8:9]
.LBB593_520:
	s_or_b64 exec, exec, s[2:3]
.LBB593_521:
	s_or_b64 exec, exec, s[0:1]
	v_cmp_ne_u16_sdwa s[2:3], v11, v21 src0_sel:BYTE_0 src1_sel:DWORD
	s_and_saveexec_b64 s[0:1], s[2:3]
	s_cbranch_execz .LBB593_527
; %bb.522:
	s_movk_i32 s2, 0x80
	v_cmp_ne_u16_sdwa s[8:9], v11, s2 src0_sel:BYTE_0 src1_sel:DWORD
	v_bfrev_b32_e32 v21, 1
	s_and_saveexec_b64 s[2:3], s[8:9]
	s_cbranch_execz .LBB593_526
; %bb.523:
	s_movk_i32 s7, 0x7f
	v_and_b32_e32 v10, 0x7f, v11
	v_cmp_ne_u32_e32 vcc, s7, v10
	v_mov_b32_e32 v21, 0x7f800001
	s_and_saveexec_b64 s[8:9], vcc
	s_cbranch_execz .LBB593_525
; %bb.524:
	v_and_b32_e32 v21, 7, v11
	v_ffbh_u32_e32 v27, v21
	v_min_u32_e32 v27, 32, v27
	v_mov_b32_e32 v18, v11
	v_subrev_u32_e32 v28, 28, v27
	v_lshlrev_b64 v[28:29], v28, v[18:19]
	v_lshrrev_b32_e32 v25, 3, v10
	v_sub_u32_e32 v18, 29, v27
	v_and_b32_e32 v27, 7, v28
	v_cmp_gt_u32_e32 vcc, 8, v10
	v_cndmask_b32_e32 v10, v25, v18, vcc
	v_cndmask_b32_e32 v18, v21, v27, vcc
	v_lshlrev_b32_e32 v21, 24, v11
	v_bfrev_b32_e32 v25, 60
	v_lshlrev_b32_e32 v18, 20, v18
	v_and_b32_e32 v21, 0x80000000, v21
	v_lshl_add_u32 v10, v10, 23, v25
	v_or3_b32 v21, v21, v10, v18
.LBB593_525:
	s_or_b64 exec, exec, s[8:9]
.LBB593_526:
	s_or_b64 exec, exec, s[2:3]
.LBB593_527:
	s_or_b64 exec, exec, s[0:1]
	v_lshrrev_b16_e32 v10, 8, v11
	v_cmp_ne_u16_e32 vcc, 0, v10
	v_mov_b32_e32 v25, 0
	v_mov_b32_e32 v27, 0
	s_and_saveexec_b64 s[0:1], vcc
	s_cbranch_execz .LBB593_533
; %bb.528:
	s_movk_i32 s2, 0x80
	v_cmp_ne_u16_e32 vcc, s2, v10
	v_bfrev_b32_e32 v27, 1
	s_and_saveexec_b64 s[2:3], vcc
	s_cbranch_execz .LBB593_532
; %bb.529:
	s_movk_i32 s7, 0x7f
	v_and_b32_e32 v18, 0x7f, v10
	v_cmp_ne_u32_e32 vcc, s7, v18
	v_mov_b32_e32 v27, 0x7f800001
	s_and_saveexec_b64 s[8:9], vcc
	s_cbranch_execz .LBB593_531
; %bb.530:
	v_and_b32_e32 v27, 7, v10
	v_ffbh_u32_e32 v28, v27
	v_min_u32_e32 v31, 32, v28
	v_subrev_u32_e32 v28, 28, v31
	v_lshlrev_b64 v[28:29], v28, v[10:11]
	v_lshrrev_b32_e32 v30, 3, v18
	v_sub_u32_e32 v10, 29, v31
	v_and_b32_e32 v28, 7, v28
	v_cmp_gt_u32_e32 vcc, 8, v18
	v_cndmask_b32_e32 v10, v30, v10, vcc
	v_cndmask_b32_e32 v18, v27, v28, vcc
	v_lshlrev_b32_e32 v27, 16, v11
	v_bfrev_b32_e32 v28, 60
	v_lshlrev_b32_e32 v18, 20, v18
	v_and_b32_e32 v27, 0x80000000, v27
	v_lshl_add_u32 v10, v10, 23, v28
	v_or3_b32 v27, v27, v10, v18
.LBB593_531:
	s_or_b64 exec, exec, s[8:9]
.LBB593_532:
	s_or_b64 exec, exec, s[2:3]
.LBB593_533:
	s_or_b64 exec, exec, s[0:1]
	s_movk_i32 s0, 0xff
	v_and_b32_sdwa v18, v11, s0 dst_sel:DWORD dst_unused:UNUSED_PAD src0_sel:WORD_1 src1_sel:DWORD
	v_lshrrev_b32_e32 v10, 16, v11
	v_cmp_ne_u16_e32 vcc, 0, v18
	s_and_saveexec_b64 s[0:1], vcc
	s_cbranch_execz .LBB593_539
; %bb.534:
	s_movk_i32 s2, 0x80
	v_cmp_ne_u16_e32 vcc, s2, v18
	v_bfrev_b32_e32 v25, 1
	s_and_saveexec_b64 s[2:3], vcc
	s_cbranch_execz .LBB593_538
; %bb.535:
	v_bfe_u32 v18, v11, 16, 7
	s_movk_i32 s7, 0x7f
	v_cmp_ne_u32_e32 vcc, s7, v18
	v_mov_b32_e32 v25, 0x7f800001
	s_and_saveexec_b64 s[8:9], vcc
	s_cbranch_execz .LBB593_537
; %bb.536:
	v_and_b32_e32 v25, 7, v10
	v_ffbh_u32_e32 v28, v25
	v_min_u32_e32 v31, 32, v28
	v_subrev_u32_e32 v28, 28, v31
	v_lshlrev_b64 v[28:29], v28, v[10:11]
	v_and_b32_e32 v28, 7, v28
	v_cmp_gt_u32_e32 vcc, 8, v18
	v_lshrrev_b32_e32 v30, 3, v18
	v_sub_u32_e32 v10, 29, v31
	v_cndmask_b32_e32 v18, v25, v28, vcc
	v_mov_b32_e32 v25, 24
	v_cndmask_b32_e32 v10, v30, v10, vcc
	v_lshlrev_b32_sdwa v25, v25, v11 dst_sel:DWORD dst_unused:UNUSED_PAD src0_sel:DWORD src1_sel:WORD_1
	v_bfrev_b32_e32 v28, 60
	v_lshlrev_b32_e32 v18, 20, v18
	v_and_b32_e32 v25, 0x80000000, v25
	v_lshl_add_u32 v10, v10, 23, v28
	v_or3_b32 v25, v25, v10, v18
.LBB593_537:
	s_or_b64 exec, exec, s[8:9]
.LBB593_538:
	s_or_b64 exec, exec, s[2:3]
.LBB593_539:
	s_or_b64 exec, exec, s[0:1]
	s_mov_b32 s0, 0xffffff
	v_cmp_lt_u32_e32 vcc, s0, v11
	v_mov_b32_e32 v18, 0
	v_mov_b32_e32 v28, 0
	s_and_saveexec_b64 s[0:1], vcc
	s_cbranch_execz .LBB593_545
; %bb.540:
	v_lshrrev_b32_e32 v10, 24, v11
	s_movk_i32 s2, 0x80
	v_cmp_ne_u32_e32 vcc, s2, v10
	v_bfrev_b32_e32 v28, 1
	s_and_saveexec_b64 s[2:3], vcc
	s_cbranch_execz .LBB593_544
; %bb.541:
	v_bfe_u32 v11, v11, 24, 7
	s_movk_i32 s7, 0x7f
	v_cmp_ne_u32_e32 vcc, s7, v11
	v_mov_b32_e32 v28, 0x7f800001
	s_and_saveexec_b64 s[8:9], vcc
	s_cbranch_execz .LBB593_543
; %bb.542:
	v_and_b32_e32 v30, 7, v10
	v_ffbh_u32_e32 v28, v30
	v_min_u32_e32 v32, 32, v28
	v_subrev_u32_e32 v28, 28, v32
	v_lshlrev_b64 v[28:29], v28, v[10:11]
	v_lshrrev_b32_e32 v31, 3, v11
	v_sub_u32_e32 v29, 29, v32
	v_and_b32_e32 v28, 7, v28
	v_cmp_gt_u32_e32 vcc, 8, v11
	v_cndmask_b32_e32 v11, v31, v29, vcc
	v_cndmask_b32_e32 v28, v30, v28, vcc
	v_lshlrev_b32_e32 v10, 24, v10
	v_bfrev_b32_e32 v29, 60
	v_lshlrev_b32_e32 v28, 20, v28
	v_and_b32_e32 v10, 0x80000000, v10
	v_lshl_add_u32 v11, v11, 23, v29
	v_or3_b32 v28, v10, v11, v28
.LBB593_543:
	s_or_b64 exec, exec, s[8:9]
.LBB593_544:
	s_or_b64 exec, exec, s[2:3]
.LBB593_545:
	s_or_b64 exec, exec, s[0:1]
	v_cvt_pkrtz_f16_f32 v10, v24, v20
	v_cvt_pkrtz_f16_f32 v11, v19, v23
	ds_read_b128 v[30:33], v22 offset:2048
	v_cmp_ne_u16_sdwa s[2:3], v12, v18 src0_sel:BYTE_0 src1_sel:DWORD
	s_waitcnt lgkmcnt(0)
	v_mfma_f32_16x16x16f16 v[14:17], v[10:11], v[30:31], v[14:17]
	v_cvt_pkrtz_f16_f32 v10, v21, v27
	v_cvt_pkrtz_f16_f32 v11, v25, v28
	s_nop 1
	v_mfma_f32_16x16x16f16 v[14:17], v[10:11], v[32:33], v[14:17]
	s_and_saveexec_b64 s[0:1], s[2:3]
	s_cbranch_execz .LBB593_551
; %bb.546:
	s_movk_i32 s2, 0x80
	v_cmp_ne_u16_sdwa s[8:9], v12, s2 src0_sel:BYTE_0 src1_sel:DWORD
	v_bfrev_b32_e32 v18, 1
	s_and_saveexec_b64 s[2:3], s[8:9]
	s_cbranch_execz .LBB593_550
; %bb.547:
	s_movk_i32 s7, 0x7f
	v_and_b32_e32 v10, 0x7f, v12
	v_cmp_ne_u32_e32 vcc, s7, v10
	v_mov_b32_e32 v18, 0x7f800001
	s_and_saveexec_b64 s[8:9], vcc
	s_cbranch_execz .LBB593_549
; %bb.548:
	v_and_b32_e32 v11, 7, v12
	v_ffbh_u32_e32 v18, v11
	v_min_u32_e32 v21, 32, v18
	v_subrev_u32_e32 v18, 28, v21
	v_lshlrev_b64 v[18:19], v18, v[12:13]
	v_lshrrev_b32_e32 v20, 3, v10
	v_sub_u32_e32 v19, 29, v21
	v_and_b32_e32 v18, 7, v18
	v_cmp_gt_u32_e32 vcc, 8, v10
	v_cndmask_b32_e32 v10, v20, v19, vcc
	v_cndmask_b32_e32 v11, v11, v18, vcc
	v_lshlrev_b32_e32 v18, 24, v12
	v_bfrev_b32_e32 v19, 60
	v_lshlrev_b32_e32 v11, 20, v11
	v_and_b32_e32 v18, 0x80000000, v18
	v_lshl_add_u32 v10, v10, 23, v19
	v_or3_b32 v18, v18, v10, v11
.LBB593_549:
	s_or_b64 exec, exec, s[8:9]
.LBB593_550:
	s_or_b64 exec, exec, s[2:3]
.LBB593_551:
	s_or_b64 exec, exec, s[0:1]
	v_lshrrev_b16_e32 v10, 8, v12
	v_cmp_ne_u16_e32 vcc, 0, v10
	v_mov_b32_e32 v11, 0
	v_mov_b32_e32 v20, 0
	s_and_saveexec_b64 s[0:1], vcc
	s_cbranch_execz .LBB593_557
; %bb.552:
	s_movk_i32 s2, 0x80
	v_cmp_ne_u16_e32 vcc, s2, v10
	v_bfrev_b32_e32 v20, 1
	s_and_saveexec_b64 s[2:3], vcc
	s_cbranch_execz .LBB593_556
; %bb.553:
	s_movk_i32 s7, 0x7f
	v_and_b32_e32 v19, 0x7f, v10
	v_cmp_ne_u32_e32 vcc, s7, v19
	v_mov_b32_e32 v20, 0x7f800001
	s_and_saveexec_b64 s[8:9], vcc
	s_cbranch_execz .LBB593_555
; %bb.554:
	v_and_b32_e32 v23, 7, v10
	v_ffbh_u32_e32 v20, v23
	v_min_u32_e32 v25, 32, v20
	v_subrev_u32_e32 v20, 28, v25
	v_lshlrev_b64 v[20:21], v20, v[10:11]
	v_lshrrev_b32_e32 v24, 3, v19
	v_sub_u32_e32 v10, 29, v25
	v_and_b32_e32 v20, 7, v20
	v_cmp_gt_u32_e32 vcc, 8, v19
	v_cndmask_b32_e32 v10, v24, v10, vcc
	v_cndmask_b32_e32 v19, v23, v20, vcc
	v_lshlrev_b32_e32 v20, 16, v12
	v_bfrev_b32_e32 v21, 60
	v_lshlrev_b32_e32 v19, 20, v19
	v_and_b32_e32 v20, 0x80000000, v20
	v_lshl_add_u32 v10, v10, 23, v21
	v_or3_b32 v20, v20, v10, v19
.LBB593_555:
	s_or_b64 exec, exec, s[8:9]
.LBB593_556:
	s_or_b64 exec, exec, s[2:3]
.LBB593_557:
	s_or_b64 exec, exec, s[0:1]
	s_movk_i32 s0, 0xff
	v_and_b32_sdwa v19, v12, s0 dst_sel:DWORD dst_unused:UNUSED_PAD src0_sel:WORD_1 src1_sel:DWORD
	v_lshrrev_b32_e32 v10, 16, v12
	v_cmp_ne_u16_e32 vcc, 0, v19
	s_and_saveexec_b64 s[0:1], vcc
	s_cbranch_execz .LBB593_563
; %bb.558:
	s_movk_i32 s2, 0x80
	v_cmp_ne_u16_e32 vcc, s2, v19
	v_bfrev_b32_e32 v11, 1
	s_and_saveexec_b64 s[2:3], vcc
	s_cbranch_execz .LBB593_562
; %bb.559:
	v_bfe_u32 v19, v12, 16, 7
	s_movk_i32 s7, 0x7f
	v_cmp_ne_u32_e32 vcc, s7, v19
	v_mov_b32_e32 v11, 0x7f800001
	s_and_saveexec_b64 s[8:9], vcc
	s_cbranch_execz .LBB593_561
; %bb.560:
	v_and_b32_e32 v21, 7, v10
	v_ffbh_u32_e32 v11, v21
	v_min_u32_e32 v24, 32, v11
	v_subrev_u32_e32 v11, 28, v24
	v_lshlrev_b64 v[10:11], v11, v[10:11]
	v_lshrrev_b32_e32 v23, 3, v19
	v_sub_u32_e32 v11, 29, v24
	v_and_b32_e32 v10, 7, v10
	v_cmp_gt_u32_e32 vcc, 8, v19
	v_mov_b32_e32 v19, 24
	v_cndmask_b32_e32 v11, v23, v11, vcc
	v_cndmask_b32_e32 v10, v21, v10, vcc
	v_lshlrev_b32_sdwa v19, v19, v12 dst_sel:DWORD dst_unused:UNUSED_PAD src0_sel:DWORD src1_sel:WORD_1
	v_bfrev_b32_e32 v21, 60
	v_lshlrev_b32_e32 v10, 20, v10
	v_and_b32_e32 v19, 0x80000000, v19
	v_lshl_add_u32 v11, v11, 23, v21
	v_or3_b32 v11, v19, v11, v10
.LBB593_561:
	s_or_b64 exec, exec, s[8:9]
.LBB593_562:
	s_or_b64 exec, exec, s[2:3]
.LBB593_563:
	s_or_b64 exec, exec, s[0:1]
	s_mov_b32 s0, 0xffffff
	v_cmp_lt_u32_e32 vcc, s0, v12
	v_mov_b32_e32 v21, 0
	v_mov_b32_e32 v23, 0
	s_and_saveexec_b64 s[0:1], vcc
	s_cbranch_execz .LBB593_569
; %bb.564:
	v_lshrrev_b32_e32 v10, 24, v12
	s_movk_i32 s2, 0x80
	v_cmp_ne_u32_e32 vcc, s2, v10
	v_bfrev_b32_e32 v23, 1
	s_and_saveexec_b64 s[2:3], vcc
	s_cbranch_execz .LBB593_568
; %bb.565:
	v_bfe_u32 v12, v12, 24, 7
	s_movk_i32 s7, 0x7f
	v_cmp_ne_u32_e32 vcc, s7, v12
	v_mov_b32_e32 v23, 0x7f800001
	s_and_saveexec_b64 s[8:9], vcc
	s_cbranch_execz .LBB593_567
; %bb.566:
	v_and_b32_e32 v19, 7, v10
	v_ffbh_u32_e32 v24, v19
	v_min_u32_e32 v27, 32, v24
	v_subrev_u32_e32 v24, 28, v27
	v_lshlrev_b64 v[24:25], v24, v[10:11]
	v_lshrrev_b32_e32 v23, 3, v12
	v_sub_u32_e32 v25, 29, v27
	v_and_b32_e32 v24, 7, v24
	v_cmp_gt_u32_e32 vcc, 8, v12
	v_cndmask_b32_e32 v12, v23, v25, vcc
	v_cndmask_b32_e32 v19, v19, v24, vcc
	v_lshlrev_b32_e32 v10, 24, v10
	v_bfrev_b32_e32 v23, 60
	v_lshlrev_b32_e32 v19, 20, v19
	v_and_b32_e32 v10, 0x80000000, v10
	v_lshl_add_u32 v12, v12, 23, v23
	v_or3_b32 v23, v10, v12, v19
.LBB593_567:
	s_or_b64 exec, exec, s[8:9]
.LBB593_568:
	s_or_b64 exec, exec, s[2:3]
.LBB593_569:
	s_or_b64 exec, exec, s[0:1]
	v_cmp_ne_u16_sdwa s[2:3], v13, v21 src0_sel:BYTE_0 src1_sel:DWORD
	s_and_saveexec_b64 s[0:1], s[2:3]
	s_cbranch_execz .LBB593_575
; %bb.570:
	s_movk_i32 s2, 0x80
	v_cmp_ne_u16_sdwa s[8:9], v13, s2 src0_sel:BYTE_0 src1_sel:DWORD
	v_bfrev_b32_e32 v21, 1
	s_and_saveexec_b64 s[2:3], s[8:9]
	s_cbranch_execz .LBB593_574
; %bb.571:
	s_movk_i32 s7, 0x7f
	v_and_b32_e32 v10, 0x7f, v13
	v_cmp_ne_u32_e32 vcc, s7, v10
	v_mov_b32_e32 v21, 0x7f800001
	s_and_saveexec_b64 s[8:9], vcc
	s_cbranch_execz .LBB593_573
; %bb.572:
	v_and_b32_e32 v19, 7, v13
	v_ffbh_u32_e32 v24, v19
	v_min_u32_e32 v27, 32, v24
	v_mov_b32_e32 v12, v13
	v_subrev_u32_e32 v24, 28, v27
	v_lshlrev_b64 v[24:25], v24, v[12:13]
	v_lshrrev_b32_e32 v21, 3, v10
	v_sub_u32_e32 v12, 29, v27
	v_and_b32_e32 v24, 7, v24
	v_cmp_gt_u32_e32 vcc, 8, v10
	v_cndmask_b32_e32 v10, v21, v12, vcc
	v_cndmask_b32_e32 v12, v19, v24, vcc
	v_lshlrev_b32_e32 v19, 24, v13
	v_bfrev_b32_e32 v21, 60
	v_lshlrev_b32_e32 v12, 20, v12
	v_and_b32_e32 v19, 0x80000000, v19
	v_lshl_add_u32 v10, v10, 23, v21
	v_or3_b32 v21, v19, v10, v12
.LBB593_573:
	s_or_b64 exec, exec, s[8:9]
.LBB593_574:
	s_or_b64 exec, exec, s[2:3]
.LBB593_575:
	s_or_b64 exec, exec, s[0:1]
	v_lshrrev_b16_e32 v10, 8, v13
	v_cmp_ne_u16_e32 vcc, 0, v10
	v_mov_b32_e32 v12, 0
	v_mov_b32_e32 v24, 0
	s_and_saveexec_b64 s[0:1], vcc
	s_cbranch_execz .LBB593_581
; %bb.576:
	s_movk_i32 s2, 0x80
	v_cmp_ne_u16_e32 vcc, s2, v10
	v_bfrev_b32_e32 v24, 1
	s_and_saveexec_b64 s[2:3], vcc
	s_cbranch_execz .LBB593_580
; %bb.577:
	s_movk_i32 s7, 0x7f
	v_and_b32_e32 v19, 0x7f, v10
	v_cmp_ne_u32_e32 vcc, s7, v19
	v_mov_b32_e32 v24, 0x7f800001
	s_and_saveexec_b64 s[8:9], vcc
	s_cbranch_execz .LBB593_579
; %bb.578:
	v_and_b32_e32 v27, 7, v10
	v_ffbh_u32_e32 v24, v27
	v_min_u32_e32 v29, 32, v24
	v_subrev_u32_e32 v24, 28, v29
	v_lshlrev_b64 v[24:25], v24, v[10:11]
	v_lshrrev_b32_e32 v28, 3, v19
	v_sub_u32_e32 v10, 29, v29
	v_and_b32_e32 v24, 7, v24
	v_cmp_gt_u32_e32 vcc, 8, v19
	v_cndmask_b32_e32 v10, v28, v10, vcc
	v_cndmask_b32_e32 v19, v27, v24, vcc
	v_lshlrev_b32_e32 v24, 16, v13
	v_bfrev_b32_e32 v25, 60
	v_lshlrev_b32_e32 v19, 20, v19
	v_and_b32_e32 v24, 0x80000000, v24
	v_lshl_add_u32 v10, v10, 23, v25
	v_or3_b32 v24, v24, v10, v19
.LBB593_579:
	s_or_b64 exec, exec, s[8:9]
.LBB593_580:
	s_or_b64 exec, exec, s[2:3]
.LBB593_581:
	s_or_b64 exec, exec, s[0:1]
	s_movk_i32 s0, 0xff
	v_and_b32_sdwa v19, v13, s0 dst_sel:DWORD dst_unused:UNUSED_PAD src0_sel:WORD_1 src1_sel:DWORD
	v_lshrrev_b32_e32 v10, 16, v13
	v_cmp_ne_u16_e32 vcc, 0, v19
	s_and_saveexec_b64 s[0:1], vcc
	s_cbranch_execz .LBB593_587
; %bb.582:
	s_movk_i32 s2, 0x80
	v_cmp_ne_u16_e32 vcc, s2, v19
	v_bfrev_b32_e32 v12, 1
	s_and_saveexec_b64 s[2:3], vcc
	s_cbranch_execz .LBB593_586
; %bb.583:
	v_bfe_u32 v19, v13, 16, 7
	s_movk_i32 s7, 0x7f
	v_cmp_ne_u32_e32 vcc, s7, v19
	v_mov_b32_e32 v12, 0x7f800001
	s_and_saveexec_b64 s[8:9], vcc
	s_cbranch_execz .LBB593_585
; %bb.584:
	v_and_b32_e32 v12, 7, v10
	v_ffbh_u32_e32 v27, v12
	v_min_u32_e32 v27, 32, v27
	v_subrev_u32_e32 v28, 28, v27
	v_lshlrev_b64 v[28:29], v28, v[10:11]
	v_lshrrev_b32_e32 v25, 3, v19
	v_sub_u32_e32 v10, 29, v27
	v_and_b32_e32 v27, 7, v28
	v_cmp_gt_u32_e32 vcc, 8, v19
	v_mov_b32_e32 v19, 24
	v_cndmask_b32_e32 v10, v25, v10, vcc
	v_cndmask_b32_e32 v12, v12, v27, vcc
	v_lshlrev_b32_sdwa v19, v19, v13 dst_sel:DWORD dst_unused:UNUSED_PAD src0_sel:DWORD src1_sel:WORD_1
	v_bfrev_b32_e32 v25, 60
	v_lshlrev_b32_e32 v12, 20, v12
	v_and_b32_e32 v19, 0x80000000, v19
	v_lshl_add_u32 v10, v10, 23, v25
	v_or3_b32 v12, v19, v10, v12
.LBB593_585:
	s_or_b64 exec, exec, s[8:9]
.LBB593_586:
	s_or_b64 exec, exec, s[2:3]
.LBB593_587:
	s_or_b64 exec, exec, s[0:1]
	s_mov_b32 s0, 0xffffff
	v_cmp_lt_u32_e32 vcc, s0, v13
	v_mov_b32_e32 v19, 0
	v_mov_b32_e32 v25, 0
	s_and_saveexec_b64 s[0:1], vcc
	s_cbranch_execz .LBB593_593
; %bb.588:
	v_lshrrev_b32_e32 v10, 24, v13
	s_movk_i32 s2, 0x80
	v_cmp_ne_u32_e32 vcc, s2, v10
	v_bfrev_b32_e32 v25, 1
	s_and_saveexec_b64 s[2:3], vcc
	s_cbranch_execz .LBB593_592
; %bb.589:
	v_bfe_u32 v13, v13, 24, 7
	s_movk_i32 s7, 0x7f
	v_cmp_ne_u32_e32 vcc, s7, v13
	v_mov_b32_e32 v25, 0x7f800001
	s_and_saveexec_b64 s[8:9], vcc
	s_cbranch_execz .LBB593_591
; %bb.590:
	v_and_b32_e32 v25, 7, v10
	v_ffbh_u32_e32 v28, v25
	v_min_u32_e32 v30, 32, v28
	v_subrev_u32_e32 v28, 28, v30
	v_lshlrev_b64 v[28:29], v28, v[10:11]
	v_lshrrev_b32_e32 v27, 3, v13
	v_sub_u32_e32 v29, 29, v30
	v_and_b32_e32 v28, 7, v28
	v_cmp_gt_u32_e32 vcc, 8, v13
	v_cndmask_b32_e32 v13, v27, v29, vcc
	v_cndmask_b32_e32 v25, v25, v28, vcc
	v_lshlrev_b32_e32 v10, 24, v10
	v_bfrev_b32_e32 v27, 60
	v_lshlrev_b32_e32 v25, 20, v25
	v_and_b32_e32 v10, 0x80000000, v10
	v_lshl_add_u32 v13, v13, 23, v27
	v_or3_b32 v25, v10, v13, v25
.LBB593_591:
	s_or_b64 exec, exec, s[8:9]
.LBB593_592:
	s_or_b64 exec, exec, s[2:3]
.LBB593_593:
	s_or_b64 exec, exec, s[0:1]
	v_cvt_pkrtz_f16_f32 v10, v18, v20
	v_cvt_pkrtz_f16_f32 v11, v11, v23
	ds_read_b128 v[28:31], v22 offset:2064
	s_waitcnt vmcnt(1)
	v_cmp_ne_u16_sdwa s[2:3], v6, v19 src0_sel:BYTE_0 src1_sel:DWORD
	s_waitcnt lgkmcnt(0)
	v_mfma_f32_16x16x16f16 v[14:17], v[10:11], v[28:29], v[14:17]
	v_cvt_pkrtz_f16_f32 v10, v21, v24
	v_cvt_pkrtz_f16_f32 v11, v12, v25
	s_nop 1
	v_mfma_f32_16x16x16f16 v[10:13], v[10:11], v[30:31], v[14:17]
	s_and_saveexec_b64 s[0:1], s[2:3]
	s_cbranch_execz .LBB593_599
; %bb.594:
	s_movk_i32 s2, 0x80
	v_cmp_ne_u16_sdwa s[8:9], v6, s2 src0_sel:BYTE_0 src1_sel:DWORD
	v_bfrev_b32_e32 v19, 1
	s_and_saveexec_b64 s[2:3], s[8:9]
	s_cbranch_execz .LBB593_598
; %bb.595:
	s_movk_i32 s7, 0x7f
	v_and_b32_e32 v14, 0x7f, v6
	v_cmp_ne_u32_e32 vcc, s7, v14
	v_mov_b32_e32 v19, 0x7f800001
	s_and_saveexec_b64 s[8:9], vcc
	s_cbranch_execz .LBB593_597
; %bb.596:
	v_and_b32_e32 v15, 7, v6
	v_ffbh_u32_e32 v16, v15
	v_min_u32_e32 v19, 32, v16
	v_subrev_u32_e32 v16, 28, v19
	v_lshlrev_b64 v[16:17], v16, v[6:7]
	v_lshrrev_b32_e32 v18, 3, v14
	v_sub_u32_e32 v17, 29, v19
	v_and_b32_e32 v16, 7, v16
	v_cmp_gt_u32_e32 vcc, 8, v14
	v_cndmask_b32_e32 v14, v18, v17, vcc
	v_cndmask_b32_e32 v15, v15, v16, vcc
	v_lshlrev_b32_e32 v16, 24, v6
	v_bfrev_b32_e32 v17, 60
	v_lshlrev_b32_e32 v15, 20, v15
	v_and_b32_e32 v16, 0x80000000, v16
	v_lshl_add_u32 v14, v14, 23, v17
	v_or3_b32 v19, v16, v14, v15
.LBB593_597:
	s_or_b64 exec, exec, s[8:9]
.LBB593_598:
	s_or_b64 exec, exec, s[2:3]
.LBB593_599:
	s_or_b64 exec, exec, s[0:1]
	s_nop 3
	v_lshrrev_b16_e32 v14, 8, v6
	v_cmp_ne_u16_e32 vcc, 0, v14
	v_mov_b32_e32 v15, 0
	v_mov_b32_e32 v16, 0
	s_and_saveexec_b64 s[0:1], vcc
	s_cbranch_execz .LBB593_605
; %bb.600:
	s_movk_i32 s2, 0x80
	v_cmp_ne_u16_e32 vcc, s2, v14
	v_bfrev_b32_e32 v16, 1
	s_and_saveexec_b64 s[2:3], vcc
	s_cbranch_execz .LBB593_604
; %bb.601:
	s_movk_i32 s7, 0x7f
	v_and_b32_e32 v17, 0x7f, v14
	v_cmp_ne_u32_e32 vcc, s7, v17
	v_mov_b32_e32 v16, 0x7f800001
	s_and_saveexec_b64 s[8:9], vcc
	s_cbranch_execz .LBB593_603
; %bb.602:
	v_and_b32_e32 v16, 7, v14
	v_ffbh_u32_e32 v20, v16
	v_min_u32_e32 v23, 32, v20
	v_subrev_u32_e32 v20, 28, v23
	v_lshlrev_b64 v[20:21], v20, v[14:15]
	v_lshrrev_b32_e32 v18, 3, v17
	v_sub_u32_e32 v14, 29, v23
	v_and_b32_e32 v20, 7, v20
	v_cmp_gt_u32_e32 vcc, 8, v17
	v_cndmask_b32_e32 v14, v18, v14, vcc
	v_cndmask_b32_e32 v16, v16, v20, vcc
	v_lshlrev_b32_e32 v17, 16, v6
	v_bfrev_b32_e32 v18, 60
	v_lshlrev_b32_e32 v16, 20, v16
	v_and_b32_e32 v17, 0x80000000, v17
	v_lshl_add_u32 v14, v14, 23, v18
	v_or3_b32 v16, v17, v14, v16
.LBB593_603:
	s_or_b64 exec, exec, s[8:9]
.LBB593_604:
	s_or_b64 exec, exec, s[2:3]
.LBB593_605:
	s_or_b64 exec, exec, s[0:1]
	s_movk_i32 s0, 0xff
	v_and_b32_sdwa v17, v6, s0 dst_sel:DWORD dst_unused:UNUSED_PAD src0_sel:WORD_1 src1_sel:DWORD
	v_lshrrev_b32_e32 v14, 16, v6
	v_cmp_ne_u16_e32 vcc, 0, v17
	s_and_saveexec_b64 s[0:1], vcc
	s_cbranch_execz .LBB593_611
; %bb.606:
	s_movk_i32 s2, 0x80
	v_cmp_ne_u16_e32 vcc, s2, v17
	v_bfrev_b32_e32 v15, 1
	s_and_saveexec_b64 s[2:3], vcc
	s_cbranch_execz .LBB593_610
; %bb.607:
	v_bfe_u32 v17, v6, 16, 7
	s_movk_i32 s7, 0x7f
	v_cmp_ne_u32_e32 vcc, s7, v17
	v_mov_b32_e32 v15, 0x7f800001
	s_and_saveexec_b64 s[8:9], vcc
	s_cbranch_execz .LBB593_609
; %bb.608:
	v_and_b32_e32 v18, 7, v14
	v_ffbh_u32_e32 v15, v18
	v_min_u32_e32 v21, 32, v15
	v_subrev_u32_e32 v15, 28, v21
	v_lshlrev_b64 v[14:15], v15, v[14:15]
	v_lshrrev_b32_e32 v20, 3, v17
	v_sub_u32_e32 v15, 29, v21
	v_and_b32_e32 v14, 7, v14
	v_cmp_gt_u32_e32 vcc, 8, v17
	v_mov_b32_e32 v17, 24
	v_cndmask_b32_e32 v15, v20, v15, vcc
	v_cndmask_b32_e32 v14, v18, v14, vcc
	v_lshlrev_b32_sdwa v17, v17, v6 dst_sel:DWORD dst_unused:UNUSED_PAD src0_sel:DWORD src1_sel:WORD_1
	v_bfrev_b32_e32 v18, 60
	v_lshlrev_b32_e32 v14, 20, v14
	v_and_b32_e32 v17, 0x80000000, v17
	v_lshl_add_u32 v15, v15, 23, v18
	v_or3_b32 v15, v17, v15, v14
.LBB593_609:
	s_or_b64 exec, exec, s[8:9]
.LBB593_610:
	s_or_b64 exec, exec, s[2:3]
.LBB593_611:
	s_or_b64 exec, exec, s[0:1]
	s_mov_b32 s0, 0xffffff
	v_cmp_lt_u32_e32 vcc, s0, v6
	v_mov_b32_e32 v17, 0
	v_mov_b32_e32 v18, 0
	s_and_saveexec_b64 s[0:1], vcc
	s_cbranch_execz .LBB593_617
; %bb.612:
	v_lshrrev_b32_e32 v14, 24, v6
	s_movk_i32 s2, 0x80
	v_cmp_ne_u32_e32 vcc, s2, v14
	v_bfrev_b32_e32 v18, 1
	s_and_saveexec_b64 s[2:3], vcc
	s_cbranch_execz .LBB593_616
; %bb.613:
	v_bfe_u32 v6, v6, 24, 7
	s_movk_i32 s7, 0x7f
	v_cmp_ne_u32_e32 vcc, s7, v6
	v_mov_b32_e32 v18, 0x7f800001
	s_and_saveexec_b64 s[8:9], vcc
	s_cbranch_execz .LBB593_615
; %bb.614:
	v_and_b32_e32 v18, 7, v14
	v_ffbh_u32_e32 v20, v18
	v_min_u32_e32 v24, 32, v20
	v_subrev_u32_e32 v20, 28, v24
	v_lshlrev_b64 v[20:21], v20, v[14:15]
	v_lshrrev_b32_e32 v23, 3, v6
	v_sub_u32_e32 v21, 29, v24
	v_and_b32_e32 v20, 7, v20
	v_cmp_gt_u32_e32 vcc, 8, v6
	v_cndmask_b32_e32 v6, v23, v21, vcc
	v_cndmask_b32_e32 v18, v18, v20, vcc
	v_lshlrev_b32_e32 v14, 24, v14
	v_bfrev_b32_e32 v20, 60
	v_lshlrev_b32_e32 v18, 20, v18
	v_and_b32_e32 v14, 0x80000000, v14
	v_lshl_add_u32 v6, v6, 23, v20
	v_or3_b32 v18, v14, v6, v18
.LBB593_615:
	s_or_b64 exec, exec, s[8:9]
.LBB593_616:
	s_or_b64 exec, exec, s[2:3]
.LBB593_617:
	s_or_b64 exec, exec, s[0:1]
	v_cmp_ne_u16_sdwa s[2:3], v7, v17 src0_sel:BYTE_0 src1_sel:DWORD
	s_and_saveexec_b64 s[0:1], s[2:3]
	s_cbranch_execz .LBB593_623
; %bb.618:
	s_movk_i32 s2, 0x80
	v_cmp_ne_u16_sdwa s[8:9], v7, s2 src0_sel:BYTE_0 src1_sel:DWORD
	v_bfrev_b32_e32 v17, 1
	s_and_saveexec_b64 s[2:3], s[8:9]
	s_cbranch_execz .LBB593_622
; %bb.619:
	s_movk_i32 s7, 0x7f
	v_and_b32_e32 v6, 0x7f, v7
	v_cmp_ne_u32_e32 vcc, s7, v6
	v_mov_b32_e32 v17, 0x7f800001
	s_and_saveexec_b64 s[8:9], vcc
	s_cbranch_execz .LBB593_621
; %bb.620:
	v_and_b32_e32 v17, 7, v7
	v_ffbh_u32_e32 v20, v17
	v_min_u32_e32 v24, 32, v20
	v_mov_b32_e32 v14, v7
	v_subrev_u32_e32 v20, 28, v24
	v_lshlrev_b64 v[20:21], v20, v[14:15]
	v_lshrrev_b32_e32 v23, 3, v6
	v_sub_u32_e32 v14, 29, v24
	v_and_b32_e32 v20, 7, v20
	v_cmp_gt_u32_e32 vcc, 8, v6
	v_cndmask_b32_e32 v6, v23, v14, vcc
	v_cndmask_b32_e32 v14, v17, v20, vcc
	v_lshlrev_b32_e32 v17, 24, v7
	v_bfrev_b32_e32 v20, 60
	v_lshlrev_b32_e32 v14, 20, v14
	v_and_b32_e32 v17, 0x80000000, v17
	v_lshl_add_u32 v6, v6, 23, v20
	v_or3_b32 v17, v17, v6, v14
.LBB593_621:
	s_or_b64 exec, exec, s[8:9]
.LBB593_622:
	s_or_b64 exec, exec, s[2:3]
.LBB593_623:
	s_or_b64 exec, exec, s[0:1]
	v_lshrrev_b16_e32 v6, 8, v7
	v_cmp_ne_u16_e32 vcc, 0, v6
	v_mov_b32_e32 v20, 0
	v_mov_b32_e32 v21, 0
	s_and_saveexec_b64 s[0:1], vcc
	s_cbranch_execz .LBB593_629
; %bb.624:
	s_movk_i32 s2, 0x80
	v_cmp_ne_u16_e32 vcc, s2, v6
	v_bfrev_b32_e32 v21, 1
	s_and_saveexec_b64 s[2:3], vcc
	s_cbranch_execz .LBB593_628
; %bb.625:
	s_movk_i32 s7, 0x7f
	v_and_b32_e32 v14, 0x7f, v6
	v_cmp_ne_u32_e32 vcc, s7, v14
	v_mov_b32_e32 v21, 0x7f800001
	s_and_saveexec_b64 s[8:9], vcc
	s_cbranch_execz .LBB593_627
; %bb.626:
	v_and_b32_e32 v21, 7, v6
	v_ffbh_u32_e32 v24, v21
	v_min_u32_e32 v27, 32, v24
	v_subrev_u32_e32 v24, 28, v27
	v_lshlrev_b64 v[24:25], v24, v[6:7]
	v_lshrrev_b32_e32 v23, 3, v14
	v_sub_u32_e32 v6, 29, v27
	v_and_b32_e32 v24, 7, v24
	v_cmp_gt_u32_e32 vcc, 8, v14
	v_cndmask_b32_e32 v6, v23, v6, vcc
	v_cndmask_b32_e32 v14, v21, v24, vcc
	v_lshlrev_b32_e32 v21, 16, v7
	v_bfrev_b32_e32 v23, 60
	v_lshlrev_b32_e32 v14, 20, v14
	v_and_b32_e32 v21, 0x80000000, v21
	v_lshl_add_u32 v6, v6, 23, v23
	v_or3_b32 v21, v21, v6, v14
.LBB593_627:
	s_or_b64 exec, exec, s[8:9]
.LBB593_628:
	s_or_b64 exec, exec, s[2:3]
.LBB593_629:
	s_or_b64 exec, exec, s[0:1]
	s_movk_i32 s0, 0xff
	v_and_b32_sdwa v14, v7, s0 dst_sel:DWORD dst_unused:UNUSED_PAD src0_sel:WORD_1 src1_sel:DWORD
	v_lshrrev_b32_e32 v6, 16, v7
	v_cmp_ne_u16_e32 vcc, 0, v14
	s_and_saveexec_b64 s[0:1], vcc
	s_cbranch_execz .LBB593_635
; %bb.630:
	s_movk_i32 s2, 0x80
	v_cmp_ne_u16_e32 vcc, s2, v14
	v_bfrev_b32_e32 v20, 1
	s_and_saveexec_b64 s[2:3], vcc
	s_cbranch_execz .LBB593_634
; %bb.631:
	v_bfe_u32 v14, v7, 16, 7
	s_movk_i32 s7, 0x7f
	v_cmp_ne_u32_e32 vcc, s7, v14
	v_mov_b32_e32 v20, 0x7f800001
	s_and_saveexec_b64 s[8:9], vcc
	s_cbranch_execz .LBB593_633
; %bb.632:
	v_and_b32_e32 v20, 7, v6
	v_ffbh_u32_e32 v24, v20
	v_min_u32_e32 v27, 32, v24
	v_subrev_u32_e32 v24, 28, v27
	v_lshlrev_b64 v[24:25], v24, v[6:7]
	v_and_b32_e32 v24, 7, v24
	v_cmp_gt_u32_e32 vcc, 8, v14
	v_lshrrev_b32_e32 v23, 3, v14
	v_sub_u32_e32 v6, 29, v27
	v_cndmask_b32_e32 v14, v20, v24, vcc
	v_mov_b32_e32 v20, 24
	v_cndmask_b32_e32 v6, v23, v6, vcc
	v_lshlrev_b32_sdwa v20, v20, v7 dst_sel:DWORD dst_unused:UNUSED_PAD src0_sel:DWORD src1_sel:WORD_1
	v_bfrev_b32_e32 v23, 60
	v_lshlrev_b32_e32 v14, 20, v14
	v_and_b32_e32 v20, 0x80000000, v20
	v_lshl_add_u32 v6, v6, 23, v23
	v_or3_b32 v20, v20, v6, v14
.LBB593_633:
	s_or_b64 exec, exec, s[8:9]
.LBB593_634:
	s_or_b64 exec, exec, s[2:3]
.LBB593_635:
	s_or_b64 exec, exec, s[0:1]
	s_mov_b32 s0, 0xffffff
	v_cmp_lt_u32_e32 vcc, s0, v7
	v_mov_b32_e32 v14, 0
	v_mov_b32_e32 v23, 0
	s_and_saveexec_b64 s[0:1], vcc
	s_cbranch_execz .LBB593_641
; %bb.636:
	v_lshrrev_b32_e32 v6, 24, v7
	s_movk_i32 s2, 0x80
	v_cmp_ne_u32_e32 vcc, s2, v6
	v_bfrev_b32_e32 v23, 1
	s_and_saveexec_b64 s[2:3], vcc
	s_cbranch_execz .LBB593_640
; %bb.637:
	v_bfe_u32 v7, v7, 24, 7
	s_movk_i32 s7, 0x7f
	v_cmp_ne_u32_e32 vcc, s7, v7
	v_mov_b32_e32 v23, 0x7f800001
	s_and_saveexec_b64 s[8:9], vcc
	s_cbranch_execz .LBB593_639
; %bb.638:
	v_and_b32_e32 v23, 7, v6
	v_ffbh_u32_e32 v24, v23
	v_min_u32_e32 v28, 32, v24
	v_subrev_u32_e32 v24, 28, v28
	v_lshlrev_b64 v[24:25], v24, v[6:7]
	v_lshrrev_b32_e32 v27, 3, v7
	v_sub_u32_e32 v25, 29, v28
	v_and_b32_e32 v24, 7, v24
	v_cmp_gt_u32_e32 vcc, 8, v7
	v_cndmask_b32_e32 v7, v27, v25, vcc
	v_cndmask_b32_e32 v23, v23, v24, vcc
	v_lshlrev_b32_e32 v6, 24, v6
	v_bfrev_b32_e32 v24, 60
	v_lshlrev_b32_e32 v23, 20, v23
	v_and_b32_e32 v6, 0x80000000, v6
	v_lshl_add_u32 v7, v7, 23, v24
	v_or3_b32 v23, v6, v7, v23
.LBB593_639:
	s_or_b64 exec, exec, s[8:9]
.LBB593_640:
	s_or_b64 exec, exec, s[2:3]
.LBB593_641:
	s_or_b64 exec, exec, s[0:1]
	v_cvt_pkrtz_f16_f32 v6, v19, v16
	v_cvt_pkrtz_f16_f32 v7, v15, v18
	ds_read_b128 v[28:31], v22 offset:4096
	v_cmp_ne_u16_sdwa s[2:3], v8, v14 src0_sel:BYTE_0 src1_sel:DWORD
	s_waitcnt lgkmcnt(0)
	v_mfma_f32_16x16x16f16 v[10:13], v[6:7], v[28:29], v[10:13]
	v_cvt_pkrtz_f16_f32 v6, v17, v21
	v_cvt_pkrtz_f16_f32 v7, v20, v23
	s_nop 1
	v_mfma_f32_16x16x16f16 v[10:13], v[6:7], v[30:31], v[10:13]
	s_and_saveexec_b64 s[0:1], s[2:3]
	s_cbranch_execz .LBB593_647
; %bb.642:
	s_movk_i32 s2, 0x80
	v_cmp_ne_u16_sdwa s[8:9], v8, s2 src0_sel:BYTE_0 src1_sel:DWORD
	v_bfrev_b32_e32 v14, 1
	s_and_saveexec_b64 s[2:3], s[8:9]
	s_cbranch_execz .LBB593_646
; %bb.643:
	s_movk_i32 s7, 0x7f
	v_and_b32_e32 v6, 0x7f, v8
	v_cmp_ne_u32_e32 vcc, s7, v6
	v_mov_b32_e32 v14, 0x7f800001
	s_and_saveexec_b64 s[8:9], vcc
	s_cbranch_execz .LBB593_645
; %bb.644:
	v_and_b32_e32 v7, 7, v8
	v_ffbh_u32_e32 v14, v7
	v_min_u32_e32 v17, 32, v14
	v_subrev_u32_e32 v14, 28, v17
	v_lshlrev_b64 v[14:15], v14, v[8:9]
	v_lshrrev_b32_e32 v16, 3, v6
	v_sub_u32_e32 v15, 29, v17
	v_and_b32_e32 v14, 7, v14
	v_cmp_gt_u32_e32 vcc, 8, v6
	v_cndmask_b32_e32 v6, v16, v15, vcc
	v_cndmask_b32_e32 v7, v7, v14, vcc
	v_lshlrev_b32_e32 v14, 24, v8
	v_bfrev_b32_e32 v15, 60
	v_lshlrev_b32_e32 v7, 20, v7
	v_and_b32_e32 v14, 0x80000000, v14
	v_lshl_add_u32 v6, v6, 23, v15
	v_or3_b32 v14, v14, v6, v7
.LBB593_645:
	s_or_b64 exec, exec, s[8:9]
.LBB593_646:
	s_or_b64 exec, exec, s[2:3]
.LBB593_647:
	s_or_b64 exec, exec, s[0:1]
	v_lshrrev_b16_e32 v6, 8, v8
	v_cmp_ne_u16_e32 vcc, 0, v6
	v_mov_b32_e32 v7, 0
	v_mov_b32_e32 v16, 0
	s_and_saveexec_b64 s[0:1], vcc
	s_cbranch_execz .LBB593_653
; %bb.648:
	s_movk_i32 s2, 0x80
	v_cmp_ne_u16_e32 vcc, s2, v6
	v_bfrev_b32_e32 v16, 1
	s_and_saveexec_b64 s[2:3], vcc
	s_cbranch_execz .LBB593_652
; %bb.649:
	s_movk_i32 s7, 0x7f
	v_and_b32_e32 v15, 0x7f, v6
	v_cmp_ne_u32_e32 vcc, s7, v15
	v_mov_b32_e32 v16, 0x7f800001
	s_and_saveexec_b64 s[8:9], vcc
	s_cbranch_execz .LBB593_651
; %bb.650:
	v_and_b32_e32 v18, 7, v6
	v_ffbh_u32_e32 v16, v18
	v_min_u32_e32 v20, 32, v16
	v_subrev_u32_e32 v16, 28, v20
	v_lshlrev_b64 v[16:17], v16, v[6:7]
	v_lshrrev_b32_e32 v19, 3, v15
	v_sub_u32_e32 v6, 29, v20
	v_and_b32_e32 v16, 7, v16
	v_cmp_gt_u32_e32 vcc, 8, v15
	v_cndmask_b32_e32 v6, v19, v6, vcc
	v_cndmask_b32_e32 v15, v18, v16, vcc
	v_lshlrev_b32_e32 v16, 16, v8
	v_bfrev_b32_e32 v17, 60
	v_lshlrev_b32_e32 v15, 20, v15
	v_and_b32_e32 v16, 0x80000000, v16
	v_lshl_add_u32 v6, v6, 23, v17
	v_or3_b32 v16, v16, v6, v15
.LBB593_651:
	s_or_b64 exec, exec, s[8:9]
.LBB593_652:
	s_or_b64 exec, exec, s[2:3]
.LBB593_653:
	s_or_b64 exec, exec, s[0:1]
	s_movk_i32 s0, 0xff
	v_and_b32_sdwa v15, v8, s0 dst_sel:DWORD dst_unused:UNUSED_PAD src0_sel:WORD_1 src1_sel:DWORD
	v_lshrrev_b32_e32 v6, 16, v8
	v_cmp_ne_u16_e32 vcc, 0, v15
	s_and_saveexec_b64 s[0:1], vcc
	s_cbranch_execz .LBB593_659
; %bb.654:
	s_movk_i32 s2, 0x80
	v_cmp_ne_u16_e32 vcc, s2, v15
	v_bfrev_b32_e32 v7, 1
	s_and_saveexec_b64 s[2:3], vcc
	s_cbranch_execz .LBB593_658
; %bb.655:
	v_bfe_u32 v15, v8, 16, 7
	s_movk_i32 s7, 0x7f
	v_cmp_ne_u32_e32 vcc, s7, v15
	v_mov_b32_e32 v7, 0x7f800001
	s_and_saveexec_b64 s[8:9], vcc
	s_cbranch_execz .LBB593_657
; %bb.656:
	v_and_b32_e32 v17, 7, v6
	v_ffbh_u32_e32 v7, v17
	v_min_u32_e32 v19, 32, v7
	v_subrev_u32_e32 v7, 28, v19
	v_lshlrev_b64 v[6:7], v7, v[6:7]
	v_lshrrev_b32_e32 v18, 3, v15
	v_sub_u32_e32 v7, 29, v19
	v_and_b32_e32 v6, 7, v6
	v_cmp_gt_u32_e32 vcc, 8, v15
	v_mov_b32_e32 v15, 24
	v_cndmask_b32_e32 v7, v18, v7, vcc
	v_cndmask_b32_e32 v6, v17, v6, vcc
	v_lshlrev_b32_sdwa v15, v15, v8 dst_sel:DWORD dst_unused:UNUSED_PAD src0_sel:DWORD src1_sel:WORD_1
	v_bfrev_b32_e32 v17, 60
	v_lshlrev_b32_e32 v6, 20, v6
	v_and_b32_e32 v15, 0x80000000, v15
	v_lshl_add_u32 v7, v7, 23, v17
	v_or3_b32 v7, v15, v7, v6
.LBB593_657:
	s_or_b64 exec, exec, s[8:9]
.LBB593_658:
	s_or_b64 exec, exec, s[2:3]
.LBB593_659:
	s_or_b64 exec, exec, s[0:1]
	s_mov_b32 s0, 0xffffff
	v_cmp_lt_u32_e32 vcc, s0, v8
	v_mov_b32_e32 v17, 0
	v_mov_b32_e32 v18, 0
	s_and_saveexec_b64 s[0:1], vcc
	s_cbranch_execz .LBB593_665
; %bb.660:
	v_lshrrev_b32_e32 v6, 24, v8
	s_movk_i32 s2, 0x80
	v_cmp_ne_u32_e32 vcc, s2, v6
	v_bfrev_b32_e32 v18, 1
	s_and_saveexec_b64 s[2:3], vcc
	s_cbranch_execz .LBB593_664
; %bb.661:
	v_bfe_u32 v8, v8, 24, 7
	s_movk_i32 s7, 0x7f
	v_cmp_ne_u32_e32 vcc, s7, v8
	v_mov_b32_e32 v18, 0x7f800001
	s_and_saveexec_b64 s[8:9], vcc
	s_cbranch_execz .LBB593_663
; %bb.662:
	v_and_b32_e32 v15, 7, v6
	v_ffbh_u32_e32 v18, v15
	v_min_u32_e32 v21, 32, v18
	v_subrev_u32_e32 v18, 28, v21
	v_lshlrev_b64 v[18:19], v18, v[6:7]
	v_lshrrev_b32_e32 v20, 3, v8
	v_sub_u32_e32 v19, 29, v21
	v_and_b32_e32 v18, 7, v18
	v_cmp_gt_u32_e32 vcc, 8, v8
	v_cndmask_b32_e32 v8, v20, v19, vcc
	v_cndmask_b32_e32 v15, v15, v18, vcc
	v_lshlrev_b32_e32 v6, 24, v6
	v_bfrev_b32_e32 v18, 60
	v_lshlrev_b32_e32 v15, 20, v15
	v_and_b32_e32 v6, 0x80000000, v6
	v_lshl_add_u32 v8, v8, 23, v18
	v_or3_b32 v18, v6, v8, v15
.LBB593_663:
	s_or_b64 exec, exec, s[8:9]
.LBB593_664:
	s_or_b64 exec, exec, s[2:3]
.LBB593_665:
	s_or_b64 exec, exec, s[0:1]
	v_cmp_ne_u16_sdwa s[2:3], v9, v17 src0_sel:BYTE_0 src1_sel:DWORD
	s_and_saveexec_b64 s[0:1], s[2:3]
	s_cbranch_execz .LBB593_671
; %bb.666:
	s_movk_i32 s2, 0x80
	v_cmp_ne_u16_sdwa s[8:9], v9, s2 src0_sel:BYTE_0 src1_sel:DWORD
	v_bfrev_b32_e32 v17, 1
	s_and_saveexec_b64 s[2:3], s[8:9]
	s_cbranch_execz .LBB593_670
; %bb.667:
	s_movk_i32 s7, 0x7f
	v_and_b32_e32 v6, 0x7f, v9
	v_cmp_ne_u32_e32 vcc, s7, v6
	v_mov_b32_e32 v17, 0x7f800001
	s_and_saveexec_b64 s[8:9], vcc
	s_cbranch_execz .LBB593_669
; %bb.668:
	v_and_b32_e32 v15, 7, v9
	v_ffbh_u32_e32 v19, v15
	v_min_u32_e32 v19, 32, v19
	v_mov_b32_e32 v8, v9
	v_subrev_u32_e32 v20, 28, v19
	v_lshlrev_b64 v[20:21], v20, v[8:9]
	v_lshrrev_b32_e32 v17, 3, v6
	v_sub_u32_e32 v8, 29, v19
	v_and_b32_e32 v19, 7, v20
	v_cmp_gt_u32_e32 vcc, 8, v6
	v_cndmask_b32_e32 v6, v17, v8, vcc
	v_cndmask_b32_e32 v8, v15, v19, vcc
	v_lshlrev_b32_e32 v15, 24, v9
	v_bfrev_b32_e32 v17, 60
	v_lshlrev_b32_e32 v8, 20, v8
	v_and_b32_e32 v15, 0x80000000, v15
	v_lshl_add_u32 v6, v6, 23, v17
	v_or3_b32 v17, v15, v6, v8
.LBB593_669:
	s_or_b64 exec, exec, s[8:9]
.LBB593_670:
	s_or_b64 exec, exec, s[2:3]
.LBB593_671:
	s_or_b64 exec, exec, s[0:1]
	v_lshrrev_b16_e32 v6, 8, v9
	v_cmp_ne_u16_e32 vcc, 0, v6
	v_mov_b32_e32 v8, 0
	v_mov_b32_e32 v19, 0
	s_and_saveexec_b64 s[0:1], vcc
	s_cbranch_execz .LBB593_677
; %bb.672:
	s_movk_i32 s2, 0x80
	v_cmp_ne_u16_e32 vcc, s2, v6
	v_bfrev_b32_e32 v19, 1
	s_and_saveexec_b64 s[2:3], vcc
	s_cbranch_execz .LBB593_676
; %bb.673:
	s_movk_i32 s7, 0x7f
	v_and_b32_e32 v15, 0x7f, v6
	v_cmp_ne_u32_e32 vcc, s7, v15
	v_mov_b32_e32 v19, 0x7f800001
	s_and_saveexec_b64 s[8:9], vcc
	s_cbranch_execz .LBB593_675
; %bb.674:
	v_and_b32_e32 v19, 7, v6
	v_ffbh_u32_e32 v20, v19
	v_min_u32_e32 v24, 32, v20
	v_subrev_u32_e32 v20, 28, v24
	v_lshlrev_b64 v[20:21], v20, v[6:7]
	v_lshrrev_b32_e32 v23, 3, v15
	v_sub_u32_e32 v6, 29, v24
	v_and_b32_e32 v20, 7, v20
	v_cmp_gt_u32_e32 vcc, 8, v15
	v_cndmask_b32_e32 v6, v23, v6, vcc
	v_cndmask_b32_e32 v15, v19, v20, vcc
	v_lshlrev_b32_e32 v19, 16, v9
	v_bfrev_b32_e32 v20, 60
	v_lshlrev_b32_e32 v15, 20, v15
	v_and_b32_e32 v19, 0x80000000, v19
	v_lshl_add_u32 v6, v6, 23, v20
	v_or3_b32 v19, v19, v6, v15
.LBB593_675:
	s_or_b64 exec, exec, s[8:9]
.LBB593_676:
	s_or_b64 exec, exec, s[2:3]
.LBB593_677:
	s_or_b64 exec, exec, s[0:1]
	s_movk_i32 s0, 0xff
	v_and_b32_sdwa v15, v9, s0 dst_sel:DWORD dst_unused:UNUSED_PAD src0_sel:WORD_1 src1_sel:DWORD
	v_lshrrev_b32_e32 v6, 16, v9
	v_cmp_ne_u16_e32 vcc, 0, v15
	s_and_saveexec_b64 s[0:1], vcc
	s_cbranch_execz .LBB593_683
; %bb.678:
	s_movk_i32 s2, 0x80
	v_cmp_ne_u16_e32 vcc, s2, v15
	v_bfrev_b32_e32 v8, 1
	s_and_saveexec_b64 s[2:3], vcc
	s_cbranch_execz .LBB593_682
; %bb.679:
	v_bfe_u32 v15, v9, 16, 7
	s_movk_i32 s7, 0x7f
	v_cmp_ne_u32_e32 vcc, s7, v15
	v_mov_b32_e32 v8, 0x7f800001
	s_and_saveexec_b64 s[8:9], vcc
	s_cbranch_execz .LBB593_681
; %bb.680:
	v_and_b32_e32 v8, 7, v6
	v_ffbh_u32_e32 v20, v8
	v_min_u32_e32 v24, 32, v20
	v_subrev_u32_e32 v20, 28, v24
	v_lshlrev_b64 v[20:21], v20, v[6:7]
	v_lshrrev_b32_e32 v23, 3, v15
	v_sub_u32_e32 v6, 29, v24
	v_and_b32_e32 v20, 7, v20
	v_cmp_gt_u32_e32 vcc, 8, v15
	v_mov_b32_e32 v15, 24
	v_cndmask_b32_e32 v6, v23, v6, vcc
	v_cndmask_b32_e32 v8, v8, v20, vcc
	v_lshlrev_b32_sdwa v15, v15, v9 dst_sel:DWORD dst_unused:UNUSED_PAD src0_sel:DWORD src1_sel:WORD_1
	v_bfrev_b32_e32 v20, 60
	v_lshlrev_b32_e32 v8, 20, v8
	v_and_b32_e32 v15, 0x80000000, v15
	v_lshl_add_u32 v6, v6, 23, v20
	v_or3_b32 v8, v15, v6, v8
.LBB593_681:
	s_or_b64 exec, exec, s[8:9]
.LBB593_682:
	s_or_b64 exec, exec, s[2:3]
.LBB593_683:
	s_or_b64 exec, exec, s[0:1]
	s_mov_b32 s0, 0xffffff
	v_cmp_lt_u32_e32 vcc, s0, v9
	v_mov_b32_e32 v15, 0
	v_mov_b32_e32 v20, 0
	s_and_saveexec_b64 s[0:1], vcc
	s_cbranch_execz .LBB593_689
; %bb.684:
	v_lshrrev_b32_e32 v6, 24, v9
	s_movk_i32 s2, 0x80
	v_cmp_ne_u32_e32 vcc, s2, v6
	v_bfrev_b32_e32 v20, 1
	s_and_saveexec_b64 s[2:3], vcc
	s_cbranch_execz .LBB593_688
; %bb.685:
	v_bfe_u32 v9, v9, 24, 7
	s_movk_i32 s7, 0x7f
	v_cmp_ne_u32_e32 vcc, s7, v9
	v_mov_b32_e32 v20, 0x7f800001
	s_and_saveexec_b64 s[8:9], vcc
	s_cbranch_execz .LBB593_687
; %bb.686:
	v_and_b32_e32 v23, 7, v6
	v_ffbh_u32_e32 v20, v23
	v_min_u32_e32 v25, 32, v20
	v_subrev_u32_e32 v20, 28, v25
	v_lshlrev_b64 v[20:21], v20, v[6:7]
	v_lshrrev_b32_e32 v24, 3, v9
	v_sub_u32_e32 v21, 29, v25
	v_and_b32_e32 v20, 7, v20
	v_cmp_gt_u32_e32 vcc, 8, v9
	v_cndmask_b32_e32 v9, v24, v21, vcc
	v_cndmask_b32_e32 v20, v23, v20, vcc
	v_lshlrev_b32_e32 v6, 24, v6
	v_bfrev_b32_e32 v21, 60
	v_lshlrev_b32_e32 v20, 20, v20
	v_and_b32_e32 v6, 0x80000000, v6
	v_lshl_add_u32 v9, v9, 23, v21
	v_or3_b32 v20, v6, v9, v20
.LBB593_687:
	s_or_b64 exec, exec, s[8:9]
.LBB593_688:
	s_or_b64 exec, exec, s[2:3]
.LBB593_689:
	s_or_b64 exec, exec, s[0:1]
	v_cvt_pkrtz_f16_f32 v6, v14, v16
	v_cvt_pkrtz_f16_f32 v7, v7, v18
	ds_read_b128 v[28:31], v22 offset:4112
	s_waitcnt vmcnt(0)
	v_cmp_ne_u16_sdwa s[2:3], v2, v15 src0_sel:BYTE_0 src1_sel:DWORD
	s_waitcnt lgkmcnt(0)
	v_mfma_f32_16x16x16f16 v[10:13], v[6:7], v[28:29], v[10:13]
	v_cvt_pkrtz_f16_f32 v6, v17, v19
	v_cvt_pkrtz_f16_f32 v7, v8, v20
	s_nop 1
	v_mfma_f32_16x16x16f16 v[6:9], v[6:7], v[30:31], v[10:13]
	s_and_saveexec_b64 s[0:1], s[2:3]
	s_cbranch_execz .LBB593_695
; %bb.690:
	s_movk_i32 s2, 0x80
	v_cmp_ne_u16_sdwa s[8:9], v2, s2 src0_sel:BYTE_0 src1_sel:DWORD
	v_bfrev_b32_e32 v15, 1
	s_and_saveexec_b64 s[2:3], s[8:9]
	s_cbranch_execz .LBB593_694
; %bb.691:
	s_movk_i32 s7, 0x7f
	v_and_b32_e32 v10, 0x7f, v2
	v_cmp_ne_u32_e32 vcc, s7, v10
	v_mov_b32_e32 v15, 0x7f800001
	s_and_saveexec_b64 s[8:9], vcc
	s_cbranch_execz .LBB593_693
; %bb.692:
	v_and_b32_e32 v11, 7, v2
	v_ffbh_u32_e32 v12, v11
	v_min_u32_e32 v15, 32, v12
	v_subrev_u32_e32 v12, 28, v15
	v_lshlrev_b64 v[12:13], v12, v[2:3]
	v_lshrrev_b32_e32 v14, 3, v10
	v_sub_u32_e32 v13, 29, v15
	v_and_b32_e32 v12, 7, v12
	v_cmp_gt_u32_e32 vcc, 8, v10
	v_cndmask_b32_e32 v10, v14, v13, vcc
	v_cndmask_b32_e32 v11, v11, v12, vcc
	v_lshlrev_b32_e32 v12, 24, v2
	v_bfrev_b32_e32 v13, 60
	v_lshlrev_b32_e32 v11, 20, v11
	v_and_b32_e32 v12, 0x80000000, v12
	v_lshl_add_u32 v10, v10, 23, v13
	v_or3_b32 v15, v12, v10, v11
.LBB593_693:
	s_or_b64 exec, exec, s[8:9]
.LBB593_694:
	s_or_b64 exec, exec, s[2:3]
.LBB593_695:
	s_or_b64 exec, exec, s[0:1]
	s_nop 3
	v_lshrrev_b16_e32 v10, 8, v2
	v_cmp_ne_u16_e32 vcc, 0, v10
	v_mov_b32_e32 v11, 0
	v_mov_b32_e32 v12, 0
	s_and_saveexec_b64 s[0:1], vcc
	s_cbranch_execz .LBB593_701
; %bb.696:
	s_movk_i32 s2, 0x80
	v_cmp_ne_u16_e32 vcc, s2, v10
	v_bfrev_b32_e32 v12, 1
	s_and_saveexec_b64 s[2:3], vcc
	s_cbranch_execz .LBB593_700
; %bb.697:
	s_movk_i32 s7, 0x7f
	v_and_b32_e32 v13, 0x7f, v10
	v_cmp_ne_u32_e32 vcc, s7, v13
	v_mov_b32_e32 v12, 0x7f800001
	s_and_saveexec_b64 s[8:9], vcc
	s_cbranch_execz .LBB593_699
; %bb.698:
	v_and_b32_e32 v12, 7, v10
	v_ffbh_u32_e32 v16, v12
	v_min_u32_e32 v18, 32, v16
	v_subrev_u32_e32 v16, 28, v18
	v_lshlrev_b64 v[16:17], v16, v[10:11]
	v_lshrrev_b32_e32 v14, 3, v13
	v_sub_u32_e32 v10, 29, v18
	v_and_b32_e32 v16, 7, v16
	v_cmp_gt_u32_e32 vcc, 8, v13
	v_cndmask_b32_e32 v10, v14, v10, vcc
	v_cndmask_b32_e32 v12, v12, v16, vcc
	v_lshlrev_b32_e32 v13, 16, v2
	v_bfrev_b32_e32 v14, 60
	v_lshlrev_b32_e32 v12, 20, v12
	v_and_b32_e32 v13, 0x80000000, v13
	v_lshl_add_u32 v10, v10, 23, v14
	v_or3_b32 v12, v13, v10, v12
.LBB593_699:
	s_or_b64 exec, exec, s[8:9]
.LBB593_700:
	s_or_b64 exec, exec, s[2:3]
.LBB593_701:
	s_or_b64 exec, exec, s[0:1]
	s_movk_i32 s0, 0xff
	v_and_b32_sdwa v13, v2, s0 dst_sel:DWORD dst_unused:UNUSED_PAD src0_sel:WORD_1 src1_sel:DWORD
	v_lshrrev_b32_e32 v10, 16, v2
	v_cmp_ne_u16_e32 vcc, 0, v13
	s_and_saveexec_b64 s[0:1], vcc
	s_cbranch_execz .LBB593_707
; %bb.702:
	s_movk_i32 s2, 0x80
	v_cmp_ne_u16_e32 vcc, s2, v13
	v_bfrev_b32_e32 v11, 1
	s_and_saveexec_b64 s[2:3], vcc
	s_cbranch_execz .LBB593_706
; %bb.703:
	v_bfe_u32 v13, v2, 16, 7
	s_movk_i32 s7, 0x7f
	v_cmp_ne_u32_e32 vcc, s7, v13
	v_mov_b32_e32 v11, 0x7f800001
	s_and_saveexec_b64 s[8:9], vcc
	s_cbranch_execz .LBB593_705
; %bb.704:
	v_and_b32_e32 v14, 7, v10
	v_ffbh_u32_e32 v11, v14
	v_min_u32_e32 v17, 32, v11
	v_subrev_u32_e32 v11, 28, v17
	v_lshlrev_b64 v[10:11], v11, v[10:11]
	v_lshrrev_b32_e32 v16, 3, v13
	v_sub_u32_e32 v11, 29, v17
	v_and_b32_e32 v10, 7, v10
	v_cmp_gt_u32_e32 vcc, 8, v13
	v_mov_b32_e32 v13, 24
	v_cndmask_b32_e32 v11, v16, v11, vcc
	v_cndmask_b32_e32 v10, v14, v10, vcc
	v_lshlrev_b32_sdwa v13, v13, v2 dst_sel:DWORD dst_unused:UNUSED_PAD src0_sel:DWORD src1_sel:WORD_1
	v_bfrev_b32_e32 v14, 60
	v_lshlrev_b32_e32 v10, 20, v10
	v_and_b32_e32 v13, 0x80000000, v13
	v_lshl_add_u32 v11, v11, 23, v14
	v_or3_b32 v11, v13, v11, v10
.LBB593_705:
	s_or_b64 exec, exec, s[8:9]
.LBB593_706:
	s_or_b64 exec, exec, s[2:3]
.LBB593_707:
	s_or_b64 exec, exec, s[0:1]
	s_mov_b32 s0, 0xffffff
	v_cmp_lt_u32_e32 vcc, s0, v2
	v_mov_b32_e32 v13, 0
	v_mov_b32_e32 v14, 0
	s_and_saveexec_b64 s[0:1], vcc
	s_cbranch_execz .LBB593_713
; %bb.708:
	v_lshrrev_b32_e32 v10, 24, v2
	s_movk_i32 s2, 0x80
	v_cmp_ne_u32_e32 vcc, s2, v10
	v_bfrev_b32_e32 v14, 1
	s_and_saveexec_b64 s[2:3], vcc
	s_cbranch_execz .LBB593_712
; %bb.709:
	v_bfe_u32 v2, v2, 24, 7
	s_movk_i32 s7, 0x7f
	v_cmp_ne_u32_e32 vcc, s7, v2
	v_mov_b32_e32 v14, 0x7f800001
	s_and_saveexec_b64 s[8:9], vcc
	s_cbranch_execz .LBB593_711
; %bb.710:
	v_and_b32_e32 v14, 7, v10
	v_ffbh_u32_e32 v16, v14
	v_min_u32_e32 v19, 32, v16
	v_subrev_u32_e32 v16, 28, v19
	v_lshlrev_b64 v[16:17], v16, v[10:11]
	v_lshrrev_b32_e32 v18, 3, v2
	v_sub_u32_e32 v17, 29, v19
	v_and_b32_e32 v16, 7, v16
	v_cmp_gt_u32_e32 vcc, 8, v2
	v_cndmask_b32_e32 v2, v18, v17, vcc
	v_cndmask_b32_e32 v14, v14, v16, vcc
	v_lshlrev_b32_e32 v10, 24, v10
	v_bfrev_b32_e32 v16, 60
	v_lshlrev_b32_e32 v14, 20, v14
	v_and_b32_e32 v10, 0x80000000, v10
	v_lshl_add_u32 v2, v2, 23, v16
	v_or3_b32 v14, v10, v2, v14
.LBB593_711:
	s_or_b64 exec, exec, s[8:9]
.LBB593_712:
	s_or_b64 exec, exec, s[2:3]
.LBB593_713:
	s_or_b64 exec, exec, s[0:1]
	v_cmp_ne_u16_sdwa s[2:3], v3, v13 src0_sel:BYTE_0 src1_sel:DWORD
	s_and_saveexec_b64 s[0:1], s[2:3]
	s_cbranch_execz .LBB593_719
; %bb.714:
	s_movk_i32 s2, 0x80
	v_cmp_ne_u16_sdwa s[8:9], v3, s2 src0_sel:BYTE_0 src1_sel:DWORD
	v_bfrev_b32_e32 v13, 1
	s_and_saveexec_b64 s[2:3], s[8:9]
	s_cbranch_execz .LBB593_718
; %bb.715:
	s_movk_i32 s7, 0x7f
	v_and_b32_e32 v2, 0x7f, v3
	v_cmp_ne_u32_e32 vcc, s7, v2
	v_mov_b32_e32 v13, 0x7f800001
	s_and_saveexec_b64 s[8:9], vcc
	s_cbranch_execz .LBB593_717
; %bb.716:
	v_and_b32_e32 v13, 7, v3
	v_ffbh_u32_e32 v16, v13
	v_min_u32_e32 v19, 32, v16
	v_mov_b32_e32 v10, v3
	v_subrev_u32_e32 v16, 28, v19
	v_lshlrev_b64 v[16:17], v16, v[10:11]
	v_lshrrev_b32_e32 v18, 3, v2
	v_sub_u32_e32 v10, 29, v19
	v_and_b32_e32 v16, 7, v16
	v_cmp_gt_u32_e32 vcc, 8, v2
	v_cndmask_b32_e32 v2, v18, v10, vcc
	v_cndmask_b32_e32 v10, v13, v16, vcc
	v_lshlrev_b32_e32 v13, 24, v3
	v_bfrev_b32_e32 v16, 60
	v_lshlrev_b32_e32 v10, 20, v10
	v_and_b32_e32 v13, 0x80000000, v13
	v_lshl_add_u32 v2, v2, 23, v16
	v_or3_b32 v13, v13, v2, v10
.LBB593_717:
	s_or_b64 exec, exec, s[8:9]
.LBB593_718:
	s_or_b64 exec, exec, s[2:3]
.LBB593_719:
	s_or_b64 exec, exec, s[0:1]
	v_lshrrev_b16_e32 v2, 8, v3
	v_cmp_ne_u16_e32 vcc, 0, v2
	v_mov_b32_e32 v16, 0
	v_mov_b32_e32 v17, 0
	s_and_saveexec_b64 s[0:1], vcc
	s_cbranch_execz .LBB593_725
; %bb.720:
	s_movk_i32 s2, 0x80
	v_cmp_ne_u16_e32 vcc, s2, v2
	v_bfrev_b32_e32 v17, 1
	s_and_saveexec_b64 s[2:3], vcc
	s_cbranch_execz .LBB593_724
; %bb.721:
	s_movk_i32 s7, 0x7f
	v_and_b32_e32 v10, 0x7f, v2
	v_cmp_ne_u32_e32 vcc, s7, v10
	v_mov_b32_e32 v17, 0x7f800001
	s_and_saveexec_b64 s[8:9], vcc
	s_cbranch_execz .LBB593_723
; %bb.722:
	v_and_b32_e32 v17, 7, v2
	v_ffbh_u32_e32 v18, v17
	v_min_u32_e32 v21, 32, v18
	v_subrev_u32_e32 v18, 28, v21
	v_lshlrev_b64 v[18:19], v18, v[2:3]
	v_lshrrev_b32_e32 v20, 3, v10
	v_sub_u32_e32 v2, 29, v21
	v_and_b32_e32 v18, 7, v18
	v_cmp_gt_u32_e32 vcc, 8, v10
	v_cndmask_b32_e32 v2, v20, v2, vcc
	v_cndmask_b32_e32 v10, v17, v18, vcc
	v_lshlrev_b32_e32 v17, 16, v3
	v_bfrev_b32_e32 v18, 60
	v_lshlrev_b32_e32 v10, 20, v10
	v_and_b32_e32 v17, 0x80000000, v17
	v_lshl_add_u32 v2, v2, 23, v18
	v_or3_b32 v17, v17, v2, v10
.LBB593_723:
	s_or_b64 exec, exec, s[8:9]
.LBB593_724:
	s_or_b64 exec, exec, s[2:3]
.LBB593_725:
	s_or_b64 exec, exec, s[0:1]
	s_movk_i32 s0, 0xff
	v_and_b32_sdwa v10, v3, s0 dst_sel:DWORD dst_unused:UNUSED_PAD src0_sel:WORD_1 src1_sel:DWORD
	v_lshrrev_b32_e32 v2, 16, v3
	v_cmp_ne_u16_e32 vcc, 0, v10
	s_and_saveexec_b64 s[0:1], vcc
	s_cbranch_execz .LBB593_731
; %bb.726:
	s_movk_i32 s2, 0x80
	v_cmp_ne_u16_e32 vcc, s2, v10
	v_bfrev_b32_e32 v16, 1
	s_and_saveexec_b64 s[2:3], vcc
	s_cbranch_execz .LBB593_730
; %bb.727:
	v_bfe_u32 v10, v3, 16, 7
	s_movk_i32 s7, 0x7f
	v_cmp_ne_u32_e32 vcc, s7, v10
	v_mov_b32_e32 v16, 0x7f800001
	s_and_saveexec_b64 s[8:9], vcc
	s_cbranch_execz .LBB593_729
; %bb.728:
	v_and_b32_e32 v16, 7, v2
	v_ffbh_u32_e32 v18, v16
	v_min_u32_e32 v21, 32, v18
	v_subrev_u32_e32 v18, 28, v21
	v_lshlrev_b64 v[18:19], v18, v[2:3]
	v_and_b32_e32 v18, 7, v18
	v_cmp_gt_u32_e32 vcc, 8, v10
	v_lshrrev_b32_e32 v20, 3, v10
	v_sub_u32_e32 v2, 29, v21
	v_cndmask_b32_e32 v10, v16, v18, vcc
	v_mov_b32_e32 v16, 24
	v_cndmask_b32_e32 v2, v20, v2, vcc
	v_lshlrev_b32_sdwa v16, v16, v3 dst_sel:DWORD dst_unused:UNUSED_PAD src0_sel:DWORD src1_sel:WORD_1
	v_bfrev_b32_e32 v18, 60
	v_lshlrev_b32_e32 v10, 20, v10
	v_and_b32_e32 v16, 0x80000000, v16
	v_lshl_add_u32 v2, v2, 23, v18
	v_or3_b32 v16, v16, v2, v10
.LBB593_729:
	s_or_b64 exec, exec, s[8:9]
.LBB593_730:
	s_or_b64 exec, exec, s[2:3]
.LBB593_731:
	s_or_b64 exec, exec, s[0:1]
	s_mov_b32 s0, 0xffffff
	v_cmp_lt_u32_e32 vcc, s0, v3
	v_mov_b32_e32 v10, 0
	v_mov_b32_e32 v18, 0
	s_and_saveexec_b64 s[0:1], vcc
	s_cbranch_execz .LBB593_737
; %bb.732:
	v_lshrrev_b32_e32 v2, 24, v3
	s_movk_i32 s2, 0x80
	v_cmp_ne_u32_e32 vcc, s2, v2
	v_bfrev_b32_e32 v18, 1
	s_and_saveexec_b64 s[2:3], vcc
	s_cbranch_execz .LBB593_736
; %bb.733:
	v_bfe_u32 v3, v3, 24, 7
	s_movk_i32 s7, 0x7f
	v_cmp_ne_u32_e32 vcc, s7, v3
	v_mov_b32_e32 v18, 0x7f800001
	s_and_saveexec_b64 s[8:9], vcc
	s_cbranch_execz .LBB593_735
; %bb.734:
	v_and_b32_e32 v20, 7, v2
	v_ffbh_u32_e32 v18, v20
	v_min_u32_e32 v23, 32, v18
	v_subrev_u32_e32 v18, 28, v23
	v_lshlrev_b64 v[18:19], v18, v[2:3]
	v_lshrrev_b32_e32 v21, 3, v3
	v_sub_u32_e32 v19, 29, v23
	v_and_b32_e32 v18, 7, v18
	v_cmp_gt_u32_e32 vcc, 8, v3
	v_cndmask_b32_e32 v3, v21, v19, vcc
	v_cndmask_b32_e32 v18, v20, v18, vcc
	v_lshlrev_b32_e32 v2, 24, v2
	v_bfrev_b32_e32 v19, 60
	v_lshlrev_b32_e32 v18, 20, v18
	v_and_b32_e32 v2, 0x80000000, v2
	v_lshl_add_u32 v3, v3, 23, v19
	v_or3_b32 v18, v2, v3, v18
.LBB593_735:
	s_or_b64 exec, exec, s[8:9]
.LBB593_736:
	s_or_b64 exec, exec, s[2:3]
.LBB593_737:
	s_or_b64 exec, exec, s[0:1]
	v_cvt_pkrtz_f16_f32 v2, v15, v12
	v_cvt_pkrtz_f16_f32 v3, v11, v14
	ds_read_b128 v[28:31], v22 offset:6144
	v_cmp_ne_u16_sdwa s[2:3], v4, v10 src0_sel:BYTE_0 src1_sel:DWORD
	s_waitcnt lgkmcnt(0)
	v_mfma_f32_16x16x16f16 v[6:9], v[2:3], v[28:29], v[6:9]
	v_cvt_pkrtz_f16_f32 v2, v13, v17
	v_cvt_pkrtz_f16_f32 v3, v16, v18
	s_nop 1
	v_mfma_f32_16x16x16f16 v[6:9], v[2:3], v[30:31], v[6:9]
	s_and_saveexec_b64 s[0:1], s[2:3]
	s_cbranch_execz .LBB593_743
; %bb.738:
	s_movk_i32 s2, 0x80
	v_cmp_ne_u16_sdwa s[8:9], v4, s2 src0_sel:BYTE_0 src1_sel:DWORD
	v_bfrev_b32_e32 v10, 1
	s_and_saveexec_b64 s[2:3], s[8:9]
	s_cbranch_execz .LBB593_742
; %bb.739:
	s_movk_i32 s7, 0x7f
	v_and_b32_e32 v2, 0x7f, v4
	v_cmp_ne_u32_e32 vcc, s7, v2
	v_mov_b32_e32 v10, 0x7f800001
	s_and_saveexec_b64 s[8:9], vcc
	s_cbranch_execz .LBB593_741
; %bb.740:
	v_and_b32_e32 v3, 7, v4
	v_ffbh_u32_e32 v10, v3
	v_min_u32_e32 v13, 32, v10
	v_subrev_u32_e32 v10, 28, v13
	v_lshlrev_b64 v[10:11], v10, v[4:5]
	v_lshrrev_b32_e32 v12, 3, v2
	v_sub_u32_e32 v11, 29, v13
	v_and_b32_e32 v10, 7, v10
	v_cmp_gt_u32_e32 vcc, 8, v2
	v_cndmask_b32_e32 v2, v12, v11, vcc
	v_cndmask_b32_e32 v3, v3, v10, vcc
	v_lshlrev_b32_e32 v10, 24, v4
	v_bfrev_b32_e32 v11, 60
	v_lshlrev_b32_e32 v3, 20, v3
	v_and_b32_e32 v10, 0x80000000, v10
	v_lshl_add_u32 v2, v2, 23, v11
	v_or3_b32 v10, v10, v2, v3
.LBB593_741:
	s_or_b64 exec, exec, s[8:9]
.LBB593_742:
	s_or_b64 exec, exec, s[2:3]
.LBB593_743:
	s_or_b64 exec, exec, s[0:1]
	v_lshrrev_b16_e32 v2, 8, v4
	v_cmp_ne_u16_e32 vcc, 0, v2
	v_mov_b32_e32 v3, 0
	v_mov_b32_e32 v11, 0
	s_and_saveexec_b64 s[0:1], vcc
	s_cbranch_execz .LBB593_749
; %bb.744:
	s_movk_i32 s2, 0x80
	v_cmp_ne_u16_e32 vcc, s2, v2
	v_bfrev_b32_e32 v11, 1
	s_and_saveexec_b64 s[2:3], vcc
	s_cbranch_execz .LBB593_748
; %bb.745:
	s_movk_i32 s7, 0x7f
	v_and_b32_e32 v12, 0x7f, v2
	v_cmp_ne_u32_e32 vcc, s7, v12
	v_mov_b32_e32 v11, 0x7f800001
	s_and_saveexec_b64 s[8:9], vcc
	s_cbranch_execz .LBB593_747
; %bb.746:
	v_and_b32_e32 v11, 7, v2
	v_ffbh_u32_e32 v14, v11
	v_min_u32_e32 v16, 32, v14
	v_subrev_u32_e32 v14, 28, v16
	v_lshlrev_b64 v[14:15], v14, v[2:3]
	v_lshrrev_b32_e32 v13, 3, v12
	v_sub_u32_e32 v2, 29, v16
	v_and_b32_e32 v14, 7, v14
	v_cmp_gt_u32_e32 vcc, 8, v12
	v_cndmask_b32_e32 v2, v13, v2, vcc
	v_cndmask_b32_e32 v11, v11, v14, vcc
	v_lshlrev_b32_e32 v12, 16, v4
	v_bfrev_b32_e32 v13, 60
	v_lshlrev_b32_e32 v11, 20, v11
	v_and_b32_e32 v12, 0x80000000, v12
	v_lshl_add_u32 v2, v2, 23, v13
	v_or3_b32 v11, v12, v2, v11
.LBB593_747:
	s_or_b64 exec, exec, s[8:9]
.LBB593_748:
	s_or_b64 exec, exec, s[2:3]
.LBB593_749:
	s_or_b64 exec, exec, s[0:1]
	s_movk_i32 s0, 0xff
	v_and_b32_sdwa v12, v4, s0 dst_sel:DWORD dst_unused:UNUSED_PAD src0_sel:WORD_1 src1_sel:DWORD
	v_lshrrev_b32_e32 v2, 16, v4
	v_cmp_ne_u16_e32 vcc, 0, v12
	s_and_saveexec_b64 s[0:1], vcc
	s_cbranch_execz .LBB593_755
; %bb.750:
	s_movk_i32 s2, 0x80
	v_cmp_ne_u16_e32 vcc, s2, v12
	v_bfrev_b32_e32 v3, 1
	s_and_saveexec_b64 s[2:3], vcc
	s_cbranch_execz .LBB593_754
; %bb.751:
	v_bfe_u32 v12, v4, 16, 7
	s_movk_i32 s7, 0x7f
	v_cmp_ne_u32_e32 vcc, s7, v12
	v_mov_b32_e32 v3, 0x7f800001
	s_and_saveexec_b64 s[8:9], vcc
	s_cbranch_execz .LBB593_753
; %bb.752:
	v_and_b32_e32 v13, 7, v2
	v_ffbh_u32_e32 v3, v13
	v_min_u32_e32 v15, 32, v3
	v_subrev_u32_e32 v3, 28, v15
	v_lshlrev_b64 v[2:3], v3, v[2:3]
	v_lshrrev_b32_e32 v14, 3, v12
	v_sub_u32_e32 v3, 29, v15
	v_and_b32_e32 v2, 7, v2
	v_cmp_gt_u32_e32 vcc, 8, v12
	v_mov_b32_e32 v12, 24
	v_cndmask_b32_e32 v3, v14, v3, vcc
	v_cndmask_b32_e32 v2, v13, v2, vcc
	v_lshlrev_b32_sdwa v12, v12, v4 dst_sel:DWORD dst_unused:UNUSED_PAD src0_sel:DWORD src1_sel:WORD_1
	v_bfrev_b32_e32 v13, 60
	v_lshlrev_b32_e32 v2, 20, v2
	v_and_b32_e32 v12, 0x80000000, v12
	v_lshl_add_u32 v3, v3, 23, v13
	v_or3_b32 v3, v12, v3, v2
.LBB593_753:
	s_or_b64 exec, exec, s[8:9]
.LBB593_754:
	s_or_b64 exec, exec, s[2:3]
.LBB593_755:
	s_or_b64 exec, exec, s[0:1]
	s_mov_b32 s0, 0xffffff
	v_cmp_lt_u32_e32 vcc, s0, v4
	v_mov_b32_e32 v12, 0
	v_mov_b32_e32 v13, 0
	s_and_saveexec_b64 s[0:1], vcc
	s_cbranch_execz .LBB593_761
; %bb.756:
	v_lshrrev_b32_e32 v2, 24, v4
	s_movk_i32 s2, 0x80
	v_cmp_ne_u32_e32 vcc, s2, v2
	v_bfrev_b32_e32 v13, 1
	s_and_saveexec_b64 s[2:3], vcc
	s_cbranch_execz .LBB593_760
; %bb.757:
	v_bfe_u32 v4, v4, 24, 7
	s_movk_i32 s7, 0x7f
	v_cmp_ne_u32_e32 vcc, s7, v4
	v_mov_b32_e32 v13, 0x7f800001
	s_and_saveexec_b64 s[8:9], vcc
	s_cbranch_execz .LBB593_759
; %bb.758:
	v_and_b32_e32 v13, 7, v2
	v_ffbh_u32_e32 v14, v13
	v_min_u32_e32 v17, 32, v14
	v_subrev_u32_e32 v14, 28, v17
	v_lshlrev_b64 v[14:15], v14, v[2:3]
	v_lshrrev_b32_e32 v16, 3, v4
	v_sub_u32_e32 v15, 29, v17
	v_and_b32_e32 v14, 7, v14
	v_cmp_gt_u32_e32 vcc, 8, v4
	v_cndmask_b32_e32 v4, v16, v15, vcc
	v_cndmask_b32_e32 v13, v13, v14, vcc
	v_lshlrev_b32_e32 v2, 24, v2
	v_bfrev_b32_e32 v14, 60
	v_lshlrev_b32_e32 v13, 20, v13
	v_and_b32_e32 v2, 0x80000000, v2
	v_lshl_add_u32 v4, v4, 23, v14
	v_or3_b32 v13, v2, v4, v13
.LBB593_759:
	s_or_b64 exec, exec, s[8:9]
.LBB593_760:
	s_or_b64 exec, exec, s[2:3]
.LBB593_761:
	s_or_b64 exec, exec, s[0:1]
	v_cmp_ne_u16_sdwa s[2:3], v5, v12 src0_sel:BYTE_0 src1_sel:DWORD
	s_and_saveexec_b64 s[0:1], s[2:3]
	s_cbranch_execz .LBB593_767
; %bb.762:
	s_movk_i32 s2, 0x80
	v_cmp_ne_u16_sdwa s[8:9], v5, s2 src0_sel:BYTE_0 src1_sel:DWORD
	v_bfrev_b32_e32 v12, 1
	s_and_saveexec_b64 s[2:3], s[8:9]
	s_cbranch_execz .LBB593_766
; %bb.763:
	s_movk_i32 s7, 0x7f
	v_and_b32_e32 v2, 0x7f, v5
	v_cmp_ne_u32_e32 vcc, s7, v2
	v_mov_b32_e32 v12, 0x7f800001
	s_and_saveexec_b64 s[8:9], vcc
	s_cbranch_execz .LBB593_765
; %bb.764:
	v_and_b32_e32 v12, 7, v5
	v_ffbh_u32_e32 v14, v12
	v_min_u32_e32 v17, 32, v14
	v_mov_b32_e32 v4, v5
	v_subrev_u32_e32 v14, 28, v17
	v_lshlrev_b64 v[14:15], v14, v[4:5]
	v_lshrrev_b32_e32 v16, 3, v2
	v_sub_u32_e32 v4, 29, v17
	v_and_b32_e32 v14, 7, v14
	v_cmp_gt_u32_e32 vcc, 8, v2
	v_cndmask_b32_e32 v2, v16, v4, vcc
	v_cndmask_b32_e32 v4, v12, v14, vcc
	v_lshlrev_b32_e32 v12, 24, v5
	v_bfrev_b32_e32 v14, 60
	v_lshlrev_b32_e32 v4, 20, v4
	v_and_b32_e32 v12, 0x80000000, v12
	v_lshl_add_u32 v2, v2, 23, v14
	v_or3_b32 v12, v12, v2, v4
.LBB593_765:
	s_or_b64 exec, exec, s[8:9]
.LBB593_766:
	s_or_b64 exec, exec, s[2:3]
.LBB593_767:
	s_or_b64 exec, exec, s[0:1]
	v_lshrrev_b16_e32 v2, 8, v5
	v_cmp_ne_u16_e32 vcc, 0, v2
	v_mov_b32_e32 v4, 0
	v_mov_b32_e32 v14, 0
	s_and_saveexec_b64 s[0:1], vcc
	s_cbranch_execz .LBB593_773
; %bb.768:
	s_movk_i32 s2, 0x80
	v_cmp_ne_u16_e32 vcc, s2, v2
	v_bfrev_b32_e32 v14, 1
	s_and_saveexec_b64 s[2:3], vcc
	s_cbranch_execz .LBB593_772
; %bb.769:
	s_movk_i32 s7, 0x7f
	v_and_b32_e32 v15, 0x7f, v2
	v_cmp_ne_u32_e32 vcc, s7, v15
	v_mov_b32_e32 v14, 0x7f800001
	s_and_saveexec_b64 s[8:9], vcc
	s_cbranch_execz .LBB593_771
; %bb.770:
	v_and_b32_e32 v14, 7, v2
	v_ffbh_u32_e32 v16, v14
	v_min_u32_e32 v19, 32, v16
	v_subrev_u32_e32 v16, 28, v19
	v_lshlrev_b64 v[16:17], v16, v[2:3]
	v_lshrrev_b32_e32 v18, 3, v15
	v_sub_u32_e32 v2, 29, v19
	v_and_b32_e32 v16, 7, v16
	v_cmp_gt_u32_e32 vcc, 8, v15
	v_cndmask_b32_e32 v2, v18, v2, vcc
	v_cndmask_b32_e32 v14, v14, v16, vcc
	v_lshlrev_b32_e32 v15, 16, v5
	v_bfrev_b32_e32 v16, 60
	v_lshlrev_b32_e32 v14, 20, v14
	v_and_b32_e32 v15, 0x80000000, v15
	v_lshl_add_u32 v2, v2, 23, v16
	v_or3_b32 v14, v15, v2, v14
.LBB593_771:
	s_or_b64 exec, exec, s[8:9]
.LBB593_772:
	s_or_b64 exec, exec, s[2:3]
.LBB593_773:
	s_or_b64 exec, exec, s[0:1]
	s_movk_i32 s0, 0xff
	v_and_b32_sdwa v15, v5, s0 dst_sel:DWORD dst_unused:UNUSED_PAD src0_sel:WORD_1 src1_sel:DWORD
	v_lshrrev_b32_e32 v2, 16, v5
	v_cmp_ne_u16_e32 vcc, 0, v15
	s_and_saveexec_b64 s[0:1], vcc
	s_cbranch_execz .LBB593_779
; %bb.774:
	s_movk_i32 s2, 0x80
	v_cmp_ne_u16_e32 vcc, s2, v15
	v_bfrev_b32_e32 v4, 1
	s_and_saveexec_b64 s[2:3], vcc
	s_cbranch_execz .LBB593_778
; %bb.775:
	v_bfe_u32 v15, v5, 16, 7
	s_movk_i32 s7, 0x7f
	v_cmp_ne_u32_e32 vcc, s7, v15
	v_mov_b32_e32 v4, 0x7f800001
	s_and_saveexec_b64 s[8:9], vcc
	s_cbranch_execz .LBB593_777
; %bb.776:
	v_and_b32_e32 v4, 7, v2
	v_ffbh_u32_e32 v16, v4
	v_min_u32_e32 v19, 32, v16
	v_subrev_u32_e32 v16, 28, v19
	v_lshlrev_b64 v[16:17], v16, v[2:3]
	v_lshrrev_b32_e32 v18, 3, v15
	v_sub_u32_e32 v2, 29, v19
	v_and_b32_e32 v16, 7, v16
	v_cmp_gt_u32_e32 vcc, 8, v15
	v_mov_b32_e32 v15, 24
	v_cndmask_b32_e32 v2, v18, v2, vcc
	v_cndmask_b32_e32 v4, v4, v16, vcc
	v_lshlrev_b32_sdwa v15, v15, v5 dst_sel:DWORD dst_unused:UNUSED_PAD src0_sel:DWORD src1_sel:WORD_1
	v_bfrev_b32_e32 v16, 60
	v_lshlrev_b32_e32 v4, 20, v4
	v_and_b32_e32 v15, 0x80000000, v15
	v_lshl_add_u32 v2, v2, 23, v16
	v_or3_b32 v4, v15, v2, v4
.LBB593_777:
	s_or_b64 exec, exec, s[8:9]
.LBB593_778:
	s_or_b64 exec, exec, s[2:3]
.LBB593_779:
	s_or_b64 exec, exec, s[0:1]
	s_mov_b32 s0, 0xffffff
	v_cmp_lt_u32_e32 vcc, s0, v5
	v_mov_b32_e32 v15, 0
	s_and_saveexec_b64 s[0:1], vcc
	s_cbranch_execz .LBB593_785
; %bb.780:
	v_lshrrev_b32_e32 v2, 24, v5
	s_movk_i32 s2, 0x80
	v_cmp_ne_u32_e32 vcc, s2, v2
	v_bfrev_b32_e32 v15, 1
	s_and_saveexec_b64 s[2:3], vcc
	s_cbranch_execz .LBB593_784
; %bb.781:
	v_bfe_u32 v5, v5, 24, 7
	s_movk_i32 s7, 0x7f
	v_cmp_ne_u32_e32 vcc, s7, v5
	v_mov_b32_e32 v15, 0x7f800001
	s_and_saveexec_b64 s[8:9], vcc
	s_cbranch_execz .LBB593_783
; %bb.782:
	v_and_b32_e32 v15, 7, v2
	v_ffbh_u32_e32 v16, v15
	v_min_u32_e32 v19, 32, v16
	v_subrev_u32_e32 v16, 28, v19
	v_lshlrev_b64 v[16:17], v16, v[2:3]
	v_lshrrev_b32_e32 v18, 3, v5
	v_sub_u32_e32 v17, 29, v19
	v_and_b32_e32 v16, 7, v16
	v_cmp_gt_u32_e32 vcc, 8, v5
	v_cndmask_b32_e32 v5, v18, v17, vcc
	v_cndmask_b32_e32 v15, v15, v16, vcc
	v_lshlrev_b32_e32 v2, 24, v2
	v_bfrev_b32_e32 v16, 60
	v_lshlrev_b32_e32 v15, 20, v15
	v_and_b32_e32 v2, 0x80000000, v2
	v_lshl_add_u32 v5, v5, 23, v16
	v_or3_b32 v15, v2, v5, v15
.LBB593_783:
	s_or_b64 exec, exec, s[8:9]
.LBB593_784:
	s_or_b64 exec, exec, s[2:3]
.LBB593_785:
	s_or_b64 exec, exec, s[0:1]
	v_cvt_pkrtz_f16_f32 v2, v10, v11
	v_cvt_pkrtz_f16_f32 v3, v3, v13
	ds_read_b128 v[16:19], v22 offset:6160
	s_load_dword s0, s[42:43], 0x0
	s_waitcnt lgkmcnt(0)
	v_mfma_f32_16x16x16f16 v[6:9], v[2:3], v[16:17], v[6:9]
	v_cvt_pkrtz_f16_f32 v2, v12, v14
	v_cvt_pkrtz_f16_f32 v3, v4, v15
	s_barrier
	s_nop 0
	v_mfma_f32_16x16x16f16 v[2:5], v[2:3], v[18:19], v[6:9]
	s_nop 7
	s_nop 2
	v_pk_mul_f32 v[4:5], v[4:5], s[0:1] op_sel_hi:[1,0]
	v_pk_mul_f32 v[2:3], v[2:3], s[0:1] op_sel_hi:[1,0]
	v_cvt_f16_f32_e32 v2, v2
	v_cvt_f16_f32_e32 v3, v3
	;; [unrolled: 1-line block ×4, first 2 shown]
	v_pack_b32_f16 v2, v2, v3
	v_pack_b32_f16 v3, v4, v5
	ds_write_b64 v26, v[2:3]
	s_waitcnt lgkmcnt(0)
	s_barrier
	s_and_saveexec_b64 s[0:1], s[44:45]
	s_cbranch_execz .LBB593_787
; %bb.786:
	s_load_dwordx2 s[0:1], s[4:5], 0x68
	s_lshl_b32 s4, s46, 6
	s_mul_i32 s2, s10, s6
	s_mul_hi_u32 s3, s2, s4
	s_mul_i32 s2, s2, s4
	s_lshl_b64 s[2:3], s[2:3], 1
	s_waitcnt lgkmcnt(0)
	s_add_u32 s2, s0, s2
	v_lshlrev_b32_e32 v0, 10, v0
	s_addc_u32 s3, s1, s3
	s_lshl_b32 s0, s22, 6
	s_mov_b32 s1, 0
	v_and_b32_e32 v0, 0x1800, v0
	v_and_b32_e32 v2, 16, v48
	s_lshl_b64 s[0:1], s[0:1], 1
	v_or3_b32 v0, v0, v47, v2
	s_add_u32 s2, s2, s0
	ds_read_b128 v[2:5], v0
	s_addc_u32 s3, s3, s1
	v_mad_u64_u32 v[0:1], s[0:1], s4, v1, 0
	v_lshlrev_b64 v[0:1], 1, v[0:1]
	v_mov_b32_e32 v6, s3
	v_add_co_u32_e32 v0, vcc, s2, v0
	v_addc_co_u32_e32 v1, vcc, v6, v1, vcc
	v_add_co_u32_e32 v0, vcc, v0, v46
	v_addc_co_u32_e32 v1, vcc, 0, v1, vcc
	s_waitcnt lgkmcnt(0)
	global_store_dwordx4 v[0:1], v[2:5], off
.LBB593_787:
	s_endpgm
	.section	.rodata,"a",@progbits
	.p2align	6, 0x0
	.amdhsa_kernel _Z39paged_attention_ll4mi_QKV_mfma16_kernelIDF16_hLN4vllm18Fp8KVCacheDataTypeE1EDF16_Li32ELi64ELi256ELb1ELi4EL8MFMAType0EEvPKT_PKT0_S8_ifPKiSA_SA_iPKfiiiPfSD_PS3_PT2_iSC_SC_
		.amdhsa_group_segment_fixed_size 8192
		.amdhsa_private_segment_fixed_size 0
		.amdhsa_kernarg_size 400
		.amdhsa_user_sgpr_count 6
		.amdhsa_user_sgpr_private_segment_buffer 1
		.amdhsa_user_sgpr_dispatch_ptr 0
		.amdhsa_user_sgpr_queue_ptr 0
		.amdhsa_user_sgpr_kernarg_segment_ptr 1
		.amdhsa_user_sgpr_dispatch_id 0
		.amdhsa_user_sgpr_flat_scratch_init 0
		.amdhsa_user_sgpr_kernarg_preload_length 0
		.amdhsa_user_sgpr_kernarg_preload_offset 0
		.amdhsa_user_sgpr_private_segment_size 0
		.amdhsa_uses_dynamic_stack 0
		.amdhsa_system_sgpr_private_segment_wavefront_offset 0
		.amdhsa_system_sgpr_workgroup_id_x 1
		.amdhsa_system_sgpr_workgroup_id_y 1
		.amdhsa_system_sgpr_workgroup_id_z 1
		.amdhsa_system_sgpr_workgroup_info 0
		.amdhsa_system_vgpr_workitem_id 0
		.amdhsa_next_free_vgpr 65
		.amdhsa_next_free_sgpr 48
		.amdhsa_accum_offset 68
		.amdhsa_reserve_vcc 1
		.amdhsa_reserve_flat_scratch 0
		.amdhsa_float_round_mode_32 0
		.amdhsa_float_round_mode_16_64 0
		.amdhsa_float_denorm_mode_32 3
		.amdhsa_float_denorm_mode_16_64 3
		.amdhsa_dx10_clamp 1
		.amdhsa_ieee_mode 1
		.amdhsa_fp16_overflow 0
		.amdhsa_tg_split 0
		.amdhsa_exception_fp_ieee_invalid_op 0
		.amdhsa_exception_fp_denorm_src 0
		.amdhsa_exception_fp_ieee_div_zero 0
		.amdhsa_exception_fp_ieee_overflow 0
		.amdhsa_exception_fp_ieee_underflow 0
		.amdhsa_exception_fp_ieee_inexact 0
		.amdhsa_exception_int_div_zero 0
	.end_amdhsa_kernel
	.section	.text._Z39paged_attention_ll4mi_QKV_mfma16_kernelIDF16_hLN4vllm18Fp8KVCacheDataTypeE1EDF16_Li32ELi64ELi256ELb1ELi4EL8MFMAType0EEvPKT_PKT0_S8_ifPKiSA_SA_iPKfiiiPfSD_PS3_PT2_iSC_SC_,"axG",@progbits,_Z39paged_attention_ll4mi_QKV_mfma16_kernelIDF16_hLN4vllm18Fp8KVCacheDataTypeE1EDF16_Li32ELi64ELi256ELb1ELi4EL8MFMAType0EEvPKT_PKT0_S8_ifPKiSA_SA_iPKfiiiPfSD_PS3_PT2_iSC_SC_,comdat
.Lfunc_end593:
	.size	_Z39paged_attention_ll4mi_QKV_mfma16_kernelIDF16_hLN4vllm18Fp8KVCacheDataTypeE1EDF16_Li32ELi64ELi256ELb1ELi4EL8MFMAType0EEvPKT_PKT0_S8_ifPKiSA_SA_iPKfiiiPfSD_PS3_PT2_iSC_SC_, .Lfunc_end593-_Z39paged_attention_ll4mi_QKV_mfma16_kernelIDF16_hLN4vllm18Fp8KVCacheDataTypeE1EDF16_Li32ELi64ELi256ELb1ELi4EL8MFMAType0EEvPKT_PKT0_S8_ifPKiSA_SA_iPKfiiiPfSD_PS3_PT2_iSC_SC_
                                        ; -- End function
	.section	.AMDGPU.csdata,"",@progbits
; Kernel info:
; codeLenInByte = 27232
; NumSgprs: 52
; NumVgprs: 65
; NumAgprs: 0
; TotalNumVgprs: 65
; ScratchSize: 0
; MemoryBound: 0
; FloatMode: 240
; IeeeMode: 1
; LDSByteSize: 8192 bytes/workgroup (compile time only)
; SGPRBlocks: 6
; VGPRBlocks: 8
; NumSGPRsForWavesPerEU: 52
; NumVGPRsForWavesPerEU: 65
; AccumOffset: 68
; Occupancy: 7
; WaveLimiterHint : 1
; COMPUTE_PGM_RSRC2:SCRATCH_EN: 0
; COMPUTE_PGM_RSRC2:USER_SGPR: 6
; COMPUTE_PGM_RSRC2:TRAP_HANDLER: 0
; COMPUTE_PGM_RSRC2:TGID_X_EN: 1
; COMPUTE_PGM_RSRC2:TGID_Y_EN: 1
; COMPUTE_PGM_RSRC2:TGID_Z_EN: 1
; COMPUTE_PGM_RSRC2:TIDIG_COMP_CNT: 0
; COMPUTE_PGM_RSRC3_GFX90A:ACCUM_OFFSET: 16
; COMPUTE_PGM_RSRC3_GFX90A:TG_SPLIT: 0
	.section	.text._Z39paged_attention_ll4mi_QKV_mfma16_kernelIDF16_hLN4vllm18Fp8KVCacheDataTypeE1EDF16_Li32ELi64ELi256ELb0ELi5EL8MFMAType0EEvPKT_PKT0_S8_ifPKiSA_SA_iPKfiiiPfSD_PS3_PT2_iSC_SC_,"axG",@progbits,_Z39paged_attention_ll4mi_QKV_mfma16_kernelIDF16_hLN4vllm18Fp8KVCacheDataTypeE1EDF16_Li32ELi64ELi256ELb0ELi5EL8MFMAType0EEvPKT_PKT0_S8_ifPKiSA_SA_iPKfiiiPfSD_PS3_PT2_iSC_SC_,comdat
	.protected	_Z39paged_attention_ll4mi_QKV_mfma16_kernelIDF16_hLN4vllm18Fp8KVCacheDataTypeE1EDF16_Li32ELi64ELi256ELb0ELi5EL8MFMAType0EEvPKT_PKT0_S8_ifPKiSA_SA_iPKfiiiPfSD_PS3_PT2_iSC_SC_ ; -- Begin function _Z39paged_attention_ll4mi_QKV_mfma16_kernelIDF16_hLN4vllm18Fp8KVCacheDataTypeE1EDF16_Li32ELi64ELi256ELb0ELi5EL8MFMAType0EEvPKT_PKT0_S8_ifPKiSA_SA_iPKfiiiPfSD_PS3_PT2_iSC_SC_
	.globl	_Z39paged_attention_ll4mi_QKV_mfma16_kernelIDF16_hLN4vllm18Fp8KVCacheDataTypeE1EDF16_Li32ELi64ELi256ELb0ELi5EL8MFMAType0EEvPKT_PKT0_S8_ifPKiSA_SA_iPKfiiiPfSD_PS3_PT2_iSC_SC_
	.p2align	8
	.type	_Z39paged_attention_ll4mi_QKV_mfma16_kernelIDF16_hLN4vllm18Fp8KVCacheDataTypeE1EDF16_Li32ELi64ELi256ELb0ELi5EL8MFMAType0EEvPKT_PKT0_S8_ifPKiSA_SA_iPKfiiiPfSD_PS3_PT2_iSC_SC_,@function
_Z39paged_attention_ll4mi_QKV_mfma16_kernelIDF16_hLN4vllm18Fp8KVCacheDataTypeE1EDF16_Li32ELi64ELi256ELb0ELi5EL8MFMAType0EEvPKT_PKT0_S8_ifPKiSA_SA_iPKfiiiPfSD_PS3_PT2_iSC_SC_: ; @_Z39paged_attention_ll4mi_QKV_mfma16_kernelIDF16_hLN4vllm18Fp8KVCacheDataTypeE1EDF16_Li32ELi64ELi256ELb0ELi5EL8MFMAType0EEvPKT_PKT0_S8_ifPKiSA_SA_iPKfiiiPfSD_PS3_PT2_iSC_SC_
; %bb.0:
	s_load_dwordx2 s[0:1], s[4:5], 0x30
	s_mov_b32 s24, s7
	s_mov_b64 s[10:11], 0
	s_waitcnt lgkmcnt(0)
	s_cmp_lg_u64 s[0:1], 0
	s_cselect_b64 s[2:3], -1, 0
	s_and_b64 vcc, exec, s[2:3]
	s_cbranch_vccz .LBB594_7
; %bb.1:
	s_add_i32 s12, s6, 1
	s_mov_b32 s13, 0
	s_lshl_b64 s[14:15], s[12:13], 2
	s_add_u32 s14, s0, s14
	s_mov_b32 s7, s13
	s_addc_u32 s15, s1, s15
	s_lshl_b64 s[12:13], s[6:7], 2
	s_add_u32 s12, s0, s12
	s_addc_u32 s13, s1, s13
	s_load_dword s9, s[14:15], 0x0
	s_load_dword s16, s[12:13], 0x0
	s_waitcnt lgkmcnt(0)
	s_sub_i32 s9, s9, s16
	s_cmp_eq_u32 s9, 1
	s_cselect_b64 s[12:13], -1, 0
	s_andn2_b64 vcc, exec, s[10:11]
	s_cbranch_vccnz .LBB594_3
.LBB594_2:
	s_mov_b32 s7, 0
	s_mov_b64 s[12:13], -1
.LBB594_3:
	s_andn2_b64 vcc, exec, s[12:13]
	s_cbranch_vccnz .LBB594_786
; %bb.4:
	s_load_dwordx2 s[12:13], s[4:5], 0x28
	s_lshl_b64 s[10:11], s[6:7], 2
	s_waitcnt lgkmcnt(0)
	s_add_u32 s12, s12, s10
	s_addc_u32 s13, s13, s11
	s_load_dword s33, s[12:13], 0x0
	s_lshl_b32 s20, s24, 8
	s_waitcnt lgkmcnt(0)
	s_cmp_ge_i32 s20, s33
	s_cbranch_scc1 .LBB594_786
; %bb.5:
	s_add_i32 s14, s33, 31
	s_load_dwordx2 s[12:13], s[4:5], 0x20
	s_load_dword s9, s[4:5], 0x38
	s_ashr_i32 s15, s14, 31
	v_and_b32_e32 v1, 0xcf, v0
	s_lshr_b32 s15, s15, 27
	v_add_u32_e32 v1, s20, v1
	s_add_i32 s14, s14, s15
	v_ashrrev_i32_e32 v2, 31, v1
	s_ashr_i32 s22, s14, 5
	v_lshrrev_b32_e32 v4, 27, v2
	s_add_i32 s22, s22, -1
	v_add_u32_e32 v2, v1, v4
	s_waitcnt lgkmcnt(0)
	s_mul_i32 s14, s6, s9
	s_mov_b32 s15, 0
	v_ashrrev_i32_e32 v2, 5, v2
	v_mov_b32_e32 v5, s22
	v_cmp_gt_i32_e32 vcc, s33, v1
	s_lshl_b64 s[14:15], s[14:15], 2
	v_cndmask_b32_e32 v2, v5, v2, vcc
	s_add_u32 s9, s12, s14
	v_ashrrev_i32_e32 v3, 31, v2
	s_addc_u32 s21, s13, s15
	v_lshlrev_b64 v[2:3], 2, v[2:3]
	v_mov_b32_e32 v7, s21
	v_add_co_u32_e32 v6, vcc, s9, v2
	v_or_b32_e32 v2, 16, v1
	v_addc_co_u32_e32 v7, vcc, v7, v3, vcc
	v_add_u32_e32 v3, v2, v4
	v_ashrrev_i32_e32 v3, 5, v3
	v_cmp_gt_i32_e32 vcc, s33, v2
	v_cndmask_b32_e32 v2, v5, v3, vcc
	v_ashrrev_i32_e32 v3, 31, v2
	v_lshlrev_b64 v[2:3], 2, v[2:3]
	v_mov_b32_e32 v9, s21
	v_add_co_u32_e32 v8, vcc, s9, v2
	v_or_b32_e32 v2, 32, v1
	v_addc_co_u32_e32 v9, vcc, v9, v3, vcc
	v_add_u32_e32 v3, v2, v4
	v_ashrrev_i32_e32 v3, 5, v3
	v_cmp_gt_i32_e32 vcc, s33, v2
	v_cndmask_b32_e32 v2, v5, v3, vcc
	v_ashrrev_i32_e32 v3, 31, v2
	v_lshlrev_b64 v[2:3], 2, v[2:3]
	v_mov_b32_e32 v11, s21
	v_add_co_u32_e32 v10, vcc, s9, v2
	v_or_b32_e32 v1, 48, v1
	v_addc_co_u32_e32 v11, vcc, v11, v3, vcc
	v_add_u32_e32 v2, v1, v4
	v_ashrrev_i32_e32 v2, 5, v2
	v_cmp_gt_i32_e32 vcc, s33, v1
	v_cndmask_b32_e32 v2, v5, v2, vcc
	v_ashrrev_i32_e32 v3, 31, v2
	v_lshlrev_b64 v[2:3], 2, v[2:3]
	v_mov_b32_e32 v1, s21
	v_add_co_u32_e32 v12, vcc, s9, v2
	v_addc_co_u32_e32 v13, vcc, v1, v3, vcc
	global_load_dword v5, v[6:7], off
	global_load_dword v4, v[8:9], off
	;; [unrolled: 1-line block ×4, first 2 shown]
	s_load_dwordx4 s[12:15], s[4:5], 0x8
	s_andn2_b64 vcc, exec, s[2:3]
	s_cbranch_vccnz .LBB594_8
; %bb.6:
	s_add_u32 s0, s0, s10
	s_addc_u32 s1, s1, s11
	s_load_dword s10, s[0:1], 0x0
	s_branch .LBB594_9
.LBB594_7:
	s_mov_b64 s[12:13], 0
	s_branch .LBB594_2
.LBB594_8:
	s_mov_b32 s10, s6
.LBB594_9:
	s_load_dwordx4 s[16:19], s[4:5], 0x48
	v_lshrrev_b32_e32 v50, 6, v0
	v_bfe_u32 v1, v0, 4, 2
	v_lshl_or_b32 v6, v50, 2, v1
	v_and_b32_e32 v49, 15, v0
	v_lshlrev_b32_e32 v7, 3, v49
	v_cmp_gt_u32_e32 vcc, 5, v6
	v_cmp_gt_u32_e64 s[0:1], 8, v49
	s_mul_i32 s25, s8, 5
	s_and_b64 s[26:27], s[0:1], vcc
	v_lshlrev_b32_e32 v46, 1, v7
	v_lshlrev_b32_e32 v47, 4, v0
	s_and_saveexec_b64 s[2:3], s[26:27]
	s_cbranch_execz .LBB594_11
; %bb.10:
	s_load_dwordx2 s[26:27], s[4:5], 0x0
	s_waitcnt lgkmcnt(0)
	s_ashr_i32 s11, s16, 31
	s_mul_hi_u32 s19, s10, s16
	s_mul_i32 s11, s10, s11
	s_add_i32 s11, s19, s11
	s_mul_i32 s10, s10, s16
	s_lshl_b64 s[10:11], s[10:11], 1
	v_add_lshl_u32 v8, v6, s25, 6
	s_add_u32 s10, s26, s10
	v_ashrrev_i32_e32 v9, 31, v8
	s_addc_u32 s11, s27, s11
	v_lshlrev_b64 v[8:9], 1, v[8:9]
	v_mov_b32_e32 v7, s11
	v_add_co_u32_e32 v8, vcc, s10, v8
	v_addc_co_u32_e32 v7, vcc, v7, v9, vcc
	v_add_co_u32_e32 v8, vcc, v8, v46
	v_addc_co_u32_e32 v9, vcc, 0, v7, vcc
	global_load_dwordx4 v[8:11], v[8:9], off
	v_lshlrev_b32_e32 v12, 8, v49
	v_lshlrev_b32_e32 v6, 5, v6
	v_and_b32_e32 v7, 16, v47
	v_and_b32_e32 v12, 0xe00, v12
	v_or3_b32 v6, v12, v6, v7
	s_waitcnt vmcnt(0)
	ds_write_b128 v6, v[8:11]
.LBB594_11:
	s_or_b64 exec, exec, s[2:3]
	s_waitcnt lgkmcnt(0)
	s_mul_i32 s8, s8, s18
	s_add_u32 s2, s12, s8
	s_addc_u32 s3, s13, 0
	v_and_b32_e32 v12, 48, v0
	s_ashr_i32 s10, s20, 31
	v_or_b32_e32 v13, s20, v12
	s_lshr_b32 s10, s10, 27
	v_add_u32_e32 v6, s10, v13
	v_ashrrev_i32_e32 v6, 5, v6
	v_mov_b32_e32 v14, s22
	v_cmp_gt_i32_e32 vcc, s33, v13
	v_cndmask_b32_e32 v6, v14, v6, vcc
	v_ashrrev_i32_e32 v7, 31, v6
	v_lshlrev_b64 v[6:7], 2, v[6:7]
	v_mov_b32_e32 v8, s21
	v_add_co_u32_e32 v6, vcc, s9, v6
	v_addc_co_u32_e32 v7, vcc, v8, v7, vcc
	v_or_b32_e32 v8, 64, v13
	v_add_u32_e32 v9, s10, v8
	v_ashrrev_i32_e32 v9, 5, v9
	v_cmp_gt_i32_e32 vcc, s33, v8
	v_cndmask_b32_e32 v8, v14, v9, vcc
	v_ashrrev_i32_e32 v9, 31, v8
	v_lshlrev_b64 v[8:9], 2, v[8:9]
	v_mov_b32_e32 v10, s21
	v_add_co_u32_e32 v8, vcc, s9, v8
	v_addc_co_u32_e32 v9, vcc, v10, v9, vcc
	v_or_b32_e32 v10, 0x80, v13
	v_add_u32_e32 v11, s10, v10
	v_ashrrev_i32_e32 v11, 5, v11
	v_cmp_gt_i32_e32 vcc, s33, v10
	v_cndmask_b32_e32 v10, v14, v11, vcc
	v_ashrrev_i32_e32 v11, 31, v10
	v_lshlrev_b64 v[10:11], 2, v[10:11]
	v_mov_b32_e32 v15, s21
	v_add_co_u32_e32 v10, vcc, s9, v10
	s_load_dwordx2 s[44:45], s[4:5], 0x94
	s_load_dwordx4 s[40:43], s[4:5], 0x80
	s_waitcnt lgkmcnt(0)
	s_barrier
	v_addc_co_u32_e32 v11, vcc, v15, v11, vcc
	global_load_dword v15, v[6:7], off
	global_load_dword v16, v[8:9], off
	global_load_dword v18, v[10:11], off
	v_or_b32_e32 v6, 0xc0, v13
	v_add_u32_e32 v7, s10, v6
	v_ashrrev_i32_e32 v7, 5, v7
	v_cmp_gt_i32_e32 vcc, s33, v6
	v_cndmask_b32_e32 v6, v14, v7, vcc
	v_ashrrev_i32_e32 v7, 31, v6
	v_lshlrev_b64 v[6:7], 2, v[6:7]
	v_mov_b32_e32 v8, s21
	v_add_co_u32_e32 v6, vcc, s9, v6
	v_addc_co_u32_e32 v7, vcc, v8, v7, vcc
	global_load_dword v20, v[6:7], off
	v_pk_mov_b32 v[6:7], s[2:3], s[2:3] op_sel:[0,1]
	s_waitcnt vmcnt(7)
	v_mad_i64_i32 v[8:9], s[2:3], v5, s17, v[6:7]
	v_lshlrev_b32_e32 v11, 4, v49
	v_add_co_u32_e32 v5, vcc, v8, v11
	v_lshlrev_b32_e32 v10, 5, v12
	v_addc_co_u32_e32 v9, vcc, 0, v9, vcc
	v_add_co_u32_e32 v8, vcc, v5, v10
	v_addc_co_u32_e32 v9, vcc, 0, v9, vcc
	s_waitcnt vmcnt(6)
	v_mad_i64_i32 v[4:5], s[2:3], v4, s17, v[6:7]
	v_or_b32_e32 v12, 0x100, v11
	v_add_co_u32_e32 v4, vcc, v4, v12
	v_addc_co_u32_e32 v5, vcc, 0, v5, vcc
	v_add_co_u32_e32 v4, vcc, v4, v10
	v_addc_co_u32_e32 v5, vcc, 0, v5, vcc
	global_load_dwordx4 v[30:33], v[8:9], off
	global_load_dwordx4 v[38:41], v[4:5], off
	s_waitcnt vmcnt(7)
	v_mad_i64_i32 v[4:5], s[2:3], v3, s17, v[6:7]
	v_add_co_u32_e32 v3, vcc, v4, v11
	v_addc_co_u32_e32 v5, vcc, 0, v5, vcc
	v_add_co_u32_e32 v4, vcc, v3, v10
	v_addc_co_u32_e32 v5, vcc, 0, v5, vcc
	s_waitcnt vmcnt(6)
	v_mad_i64_i32 v[2:3], s[2:3], v2, s17, v[6:7]
	v_add_co_u32_e32 v2, vcc, v2, v12
	v_addc_co_u32_e32 v3, vcc, 0, v3, vcc
	v_add_co_u32_e32 v2, vcc, v2, v10
	s_add_u32 s2, s14, s8
	v_addc_co_u32_e32 v3, vcc, 0, v3, vcc
	global_load_dwordx4 v[34:37], v[4:5], off
	global_load_dwordx4 v[22:25], v[2:3], off
	s_addc_u32 s3, s15, 0
	v_and_b32_e32 v2, 16, v0
	v_mov_b32_e32 v3, s3
	v_add_co_u32_e32 v2, vcc, s2, v2
	v_lshlrev_b32_e32 v48, 5, v49
	v_addc_co_u32_e32 v3, vcc, 0, v3, vcc
	v_lshl_or_b32 v4, v50, 9, v48
	v_add_co_u32_e32 v2, vcc, v2, v4
	v_addc_co_u32_e32 v3, vcc, 0, v3, vcc
	v_mov_b32_e32 v43, 0
	s_movk_i32 s8, 0x80
	v_mov_b32_e32 v44, 0
	s_waitcnt vmcnt(7)
	v_mad_i64_i32 v[4:5], s[2:3], v15, s17, v[2:3]
	s_waitcnt vmcnt(6)
	v_mad_i64_i32 v[6:7], s[2:3], v16, s17, v[2:3]
	;; [unrolled: 2-line block ×3, first 2 shown]
	global_load_dwordx4 v[14:17], v[4:5], off
	global_load_dwordx4 v[10:13], v[6:7], off
	s_waitcnt vmcnt(6)
	v_mad_i64_i32 v[20:21], s[2:3], v20, s17, v[2:3]
	global_load_dwordx4 v[6:9], v[18:19], off
	global_load_dwordx4 v[2:5], v[20:21], off
	v_mul_lo_u16_e32 v18, 52, v49
	v_mov_b32_e32 v19, 5
	v_mul_lo_u16_sdwa v18, v18, v19 dst_sel:DWORD dst_unused:UNUSED_PAD src0_sel:BYTE_1 src1_sel:DWORD
	v_sub_u16_e32 v18, v49, v18
	v_lshlrev_b32_sdwa v18, v19, v18 dst_sel:DWORD dst_unused:UNUSED_PAD src0_sel:DWORD src1_sel:BYTE_0
	v_lshl_add_u32 v18, v1, 9, v18
	ds_read_b128 v[26:29], v18
	ds_read_b128 v[18:21], v18 offset:16
	s_load_dword s12, s[40:41], 0x0
	s_waitcnt vmcnt(7)
	v_cmp_ne_u16_sdwa s[10:11], v30, v43 src0_sel:BYTE_0 src1_sel:DWORD
	s_and_saveexec_b64 s[2:3], s[10:11]
	s_cbranch_execz .LBB594_17
; %bb.12:
	v_cmp_ne_u16_sdwa s[10:11], v30, s8 src0_sel:BYTE_0 src1_sel:DWORD
	v_bfrev_b32_e32 v44, 1
	s_and_saveexec_b64 s[8:9], s[10:11]
	s_cbranch_execz .LBB594_16
; %bb.13:
	s_movk_i32 s10, 0x7f
	v_and_b32_e32 v42, 0x7f, v30
	v_cmp_ne_u32_e32 vcc, s10, v42
	v_mov_b32_e32 v44, 0x7f800001
	s_and_saveexec_b64 s[10:11], vcc
	s_cbranch_execz .LBB594_15
; %bb.14:
	v_and_b32_e32 v51, 7, v30
	v_ffbh_u32_e32 v44, v51
	v_min_u32_e32 v53, 32, v44
	v_subrev_u32_e32 v44, 28, v53
	v_lshlrev_b64 v[44:45], v44, v[30:31]
	v_lshrrev_b32_e32 v52, 3, v42
	v_sub_u32_e32 v45, 29, v53
	v_and_b32_e32 v44, 7, v44
	v_cmp_gt_u32_e32 vcc, 8, v42
	v_cndmask_b32_e32 v42, v52, v45, vcc
	v_cndmask_b32_e32 v44, v51, v44, vcc
	v_lshlrev_b32_e32 v45, 24, v30
	v_bfrev_b32_e32 v51, 60
	v_lshlrev_b32_e32 v44, 20, v44
	v_and_b32_e32 v45, 0x80000000, v45
	v_lshl_add_u32 v42, v42, 23, v51
	v_or3_b32 v44, v45, v42, v44
.LBB594_15:
	s_or_b64 exec, exec, s[10:11]
.LBB594_16:
	s_or_b64 exec, exec, s[8:9]
.LBB594_17:
	s_or_b64 exec, exec, s[2:3]
	v_lshrrev_b16_e32 v42, 8, v30
	v_cmp_ne_u16_e32 vcc, 0, v42
	s_and_saveexec_b64 s[2:3], vcc
	s_cbranch_execz .LBB594_23
; %bb.18:
	s_movk_i32 s8, 0x80
	v_cmp_ne_u16_e32 vcc, s8, v42
	v_bfrev_b32_e32 v43, 1
	s_and_saveexec_b64 s[8:9], vcc
	s_cbranch_execz .LBB594_22
; %bb.19:
	s_movk_i32 s10, 0x7f
	v_and_b32_e32 v45, 0x7f, v42
	v_cmp_ne_u32_e32 vcc, s10, v45
	v_mov_b32_e32 v43, 0x7f800001
	s_and_saveexec_b64 s[10:11], vcc
	s_cbranch_execz .LBB594_21
; %bb.20:
	v_and_b32_e32 v51, 7, v42
	v_ffbh_u32_e32 v43, v51
	v_min_u32_e32 v53, 32, v43
	v_subrev_u32_e32 v43, 28, v53
	v_lshlrev_b64 v[42:43], v43, v[42:43]
	v_lshrrev_b32_e32 v52, 3, v45
	v_sub_u32_e32 v43, 29, v53
	v_and_b32_e32 v42, 7, v42
	v_cmp_gt_u32_e32 vcc, 8, v45
	v_cndmask_b32_e32 v43, v52, v43, vcc
	v_cndmask_b32_e32 v42, v51, v42, vcc
	v_lshlrev_b32_e32 v45, 16, v30
	v_bfrev_b32_e32 v51, 60
	v_lshlrev_b32_e32 v42, 20, v42
	v_and_b32_e32 v45, 0x80000000, v45
	v_lshl_add_u32 v43, v43, 23, v51
	v_or3_b32 v43, v45, v43, v42
.LBB594_21:
	s_or_b64 exec, exec, s[10:11]
.LBB594_22:
	s_or_b64 exec, exec, s[8:9]
.LBB594_23:
	s_or_b64 exec, exec, s[2:3]
	s_movk_i32 s2, 0xff
	v_and_b32_sdwa v52, v30, s2 dst_sel:DWORD dst_unused:UNUSED_PAD src0_sel:WORD_1 src1_sel:DWORD
	v_lshrrev_b32_e32 v42, 16, v30
	v_cmp_ne_u16_e32 vcc, 0, v52
	v_mov_b32_e32 v45, 0
	v_mov_b32_e32 v51, 0
	s_and_saveexec_b64 s[2:3], vcc
	s_cbranch_execz .LBB594_29
; %bb.24:
	s_movk_i32 s8, 0x80
	v_cmp_ne_u16_e32 vcc, s8, v52
	v_bfrev_b32_e32 v51, 1
	s_and_saveexec_b64 s[8:9], vcc
	s_cbranch_execz .LBB594_28
; %bb.25:
	v_bfe_u32 v52, v30, 16, 7
	s_movk_i32 s10, 0x7f
	v_cmp_ne_u32_e32 vcc, s10, v52
	v_mov_b32_e32 v51, 0x7f800001
	s_and_saveexec_b64 s[10:11], vcc
	s_cbranch_execz .LBB594_27
; %bb.26:
	v_and_b32_e32 v51, 7, v42
	v_ffbh_u32_e32 v54, v51
	v_min_u32_e32 v56, 32, v54
	v_subrev_u32_e32 v54, 28, v56
	v_lshlrev_b64 v[54:55], v54, v[42:43]
	v_lshrrev_b32_e32 v53, 3, v52
	v_sub_u32_e32 v42, 29, v56
	v_and_b32_e32 v54, 7, v54
	v_cmp_gt_u32_e32 vcc, 8, v52
	v_mov_b32_e32 v52, 24
	v_cndmask_b32_e32 v42, v53, v42, vcc
	v_cndmask_b32_e32 v51, v51, v54, vcc
	v_lshlrev_b32_sdwa v52, v52, v30 dst_sel:DWORD dst_unused:UNUSED_PAD src0_sel:DWORD src1_sel:WORD_1
	v_bfrev_b32_e32 v53, 60
	v_lshlrev_b32_e32 v51, 20, v51
	v_and_b32_e32 v52, 0x80000000, v52
	v_lshl_add_u32 v42, v42, 23, v53
	v_or3_b32 v51, v52, v42, v51
.LBB594_27:
	s_or_b64 exec, exec, s[10:11]
.LBB594_28:
	s_or_b64 exec, exec, s[8:9]
.LBB594_29:
	s_or_b64 exec, exec, s[2:3]
	s_mov_b32 s2, 0xffffff
	v_cmp_lt_u32_e32 vcc, s2, v30
	s_and_saveexec_b64 s[2:3], vcc
	s_cbranch_execz .LBB594_35
; %bb.30:
	v_lshrrev_b32_e32 v42, 24, v30
	s_movk_i32 s8, 0x80
	v_cmp_ne_u32_e32 vcc, s8, v42
	v_bfrev_b32_e32 v45, 1
	s_and_saveexec_b64 s[8:9], vcc
	s_cbranch_execz .LBB594_34
; %bb.31:
	v_bfe_u32 v30, v30, 24, 7
	s_movk_i32 s10, 0x7f
	v_cmp_ne_u32_e32 vcc, s10, v30
	v_mov_b32_e32 v45, 0x7f800001
	s_and_saveexec_b64 s[10:11], vcc
	s_cbranch_execz .LBB594_33
; %bb.32:
	v_and_b32_e32 v45, 7, v42
	v_ffbh_u32_e32 v52, v45
	v_min_u32_e32 v55, 32, v52
	v_subrev_u32_e32 v52, 28, v55
	v_lshlrev_b64 v[52:53], v52, v[42:43]
	v_lshrrev_b32_e32 v54, 3, v30
	v_sub_u32_e32 v53, 29, v55
	v_and_b32_e32 v52, 7, v52
	v_cmp_gt_u32_e32 vcc, 8, v30
	v_cndmask_b32_e32 v30, v54, v53, vcc
	v_cndmask_b32_e32 v45, v45, v52, vcc
	v_lshlrev_b32_e32 v42, 24, v42
	v_bfrev_b32_e32 v52, 60
	v_lshlrev_b32_e32 v45, 20, v45
	v_and_b32_e32 v42, 0x80000000, v42
	v_lshl_add_u32 v30, v30, 23, v52
	v_or3_b32 v45, v42, v30, v45
.LBB594_33:
	s_or_b64 exec, exec, s[10:11]
.LBB594_34:
	s_or_b64 exec, exec, s[8:9]
.LBB594_35:
	s_or_b64 exec, exec, s[2:3]
	v_mov_b32_e32 v42, 0
	v_cmp_ne_u16_sdwa s[8:9], v31, v42 src0_sel:BYTE_0 src1_sel:DWORD
	v_mov_b32_e32 v52, 0
	s_and_saveexec_b64 s[2:3], s[8:9]
	s_cbranch_execz .LBB594_41
; %bb.36:
	s_movk_i32 s8, 0x80
	v_cmp_ne_u16_sdwa s[10:11], v31, s8 src0_sel:BYTE_0 src1_sel:DWORD
	v_bfrev_b32_e32 v52, 1
	s_and_saveexec_b64 s[8:9], s[10:11]
	s_cbranch_execz .LBB594_40
; %bb.37:
	s_movk_i32 s10, 0x7f
	v_and_b32_e32 v30, 0x7f, v31
	v_cmp_ne_u32_e32 vcc, s10, v30
	v_mov_b32_e32 v52, 0x7f800001
	s_and_saveexec_b64 s[10:11], vcc
	s_cbranch_execz .LBB594_39
; %bb.38:
	v_and_b32_e32 v54, 7, v31
	v_ffbh_u32_e32 v53, v54
	v_min_u32_e32 v56, 32, v53
	v_mov_b32_e32 v52, v31
	v_subrev_u32_e32 v53, 28, v56
	v_lshlrev_b64 v[52:53], v53, v[52:53]
	v_lshrrev_b32_e32 v55, 3, v30
	v_sub_u32_e32 v53, 29, v56
	v_and_b32_e32 v52, 7, v52
	v_cmp_gt_u32_e32 vcc, 8, v30
	v_cndmask_b32_e32 v30, v55, v53, vcc
	v_cndmask_b32_e32 v52, v54, v52, vcc
	v_lshlrev_b32_e32 v53, 24, v31
	v_bfrev_b32_e32 v54, 60
	v_lshlrev_b32_e32 v52, 20, v52
	v_and_b32_e32 v53, 0x80000000, v53
	v_lshl_add_u32 v30, v30, 23, v54
	v_or3_b32 v52, v53, v30, v52
.LBB594_39:
	s_or_b64 exec, exec, s[10:11]
.LBB594_40:
	s_or_b64 exec, exec, s[8:9]
.LBB594_41:
	s_or_b64 exec, exec, s[2:3]
	v_lshrrev_b16_e32 v30, 8, v31
	v_cmp_ne_u16_e32 vcc, 0, v30
	s_and_saveexec_b64 s[2:3], vcc
	s_cbranch_execz .LBB594_47
; %bb.42:
	s_movk_i32 s8, 0x80
	v_cmp_ne_u16_e32 vcc, s8, v30
	v_bfrev_b32_e32 v42, 1
	s_and_saveexec_b64 s[8:9], vcc
	s_cbranch_execz .LBB594_46
; %bb.43:
	s_movk_i32 s10, 0x7f
	v_and_b32_e32 v53, 0x7f, v30
	v_cmp_ne_u32_e32 vcc, s10, v53
	v_mov_b32_e32 v42, 0x7f800001
	s_and_saveexec_b64 s[10:11], vcc
	s_cbranch_execz .LBB594_45
; %bb.44:
	v_and_b32_e32 v42, 7, v30
	v_ffbh_u32_e32 v54, v42
	v_min_u32_e32 v57, 32, v54
	v_subrev_u32_e32 v54, 28, v57
	v_lshlrev_b64 v[54:55], v54, v[30:31]
	v_lshrrev_b32_e32 v56, 3, v53
	v_sub_u32_e32 v30, 29, v57
	v_and_b32_e32 v54, 7, v54
	v_cmp_gt_u32_e32 vcc, 8, v53
	v_cndmask_b32_e32 v30, v56, v30, vcc
	v_cndmask_b32_e32 v42, v42, v54, vcc
	v_lshlrev_b32_e32 v53, 16, v31
	v_bfrev_b32_e32 v54, 60
	v_lshlrev_b32_e32 v42, 20, v42
	v_and_b32_e32 v53, 0x80000000, v53
	v_lshl_add_u32 v30, v30, 23, v54
	v_or3_b32 v42, v53, v30, v42
.LBB594_45:
	s_or_b64 exec, exec, s[10:11]
.LBB594_46:
	s_or_b64 exec, exec, s[8:9]
.LBB594_47:
	s_or_b64 exec, exec, s[2:3]
	s_movk_i32 s2, 0xff
	v_and_b32_sdwa v55, v31, s2 dst_sel:DWORD dst_unused:UNUSED_PAD src0_sel:WORD_1 src1_sel:DWORD
	v_lshrrev_b32_e32 v30, 16, v31
	v_cmp_ne_u16_e32 vcc, 0, v55
	v_mov_b32_e32 v53, 0
	v_mov_b32_e32 v54, 0
	s_and_saveexec_b64 s[2:3], vcc
	s_cbranch_execz .LBB594_53
; %bb.48:
	s_movk_i32 s8, 0x80
	v_cmp_ne_u16_e32 vcc, s8, v55
	v_bfrev_b32_e32 v54, 1
	s_and_saveexec_b64 s[8:9], vcc
	s_cbranch_execz .LBB594_52
; %bb.49:
	v_bfe_u32 v55, v31, 16, 7
	s_movk_i32 s10, 0x7f
	v_cmp_ne_u32_e32 vcc, s10, v55
	v_mov_b32_e32 v54, 0x7f800001
	s_and_saveexec_b64 s[10:11], vcc
	s_cbranch_execz .LBB594_51
; %bb.50:
	v_and_b32_e32 v54, 7, v30
	v_ffbh_u32_e32 v56, v54
	v_min_u32_e32 v59, 32, v56
	v_subrev_u32_e32 v56, 28, v59
	v_lshlrev_b64 v[56:57], v56, v[30:31]
	v_lshrrev_b32_e32 v58, 3, v55
	v_sub_u32_e32 v30, 29, v59
	v_and_b32_e32 v56, 7, v56
	v_cmp_gt_u32_e32 vcc, 8, v55
	v_mov_b32_e32 v55, 24
	v_cndmask_b32_e32 v30, v58, v30, vcc
	v_cndmask_b32_e32 v54, v54, v56, vcc
	v_lshlrev_b32_sdwa v55, v55, v31 dst_sel:DWORD dst_unused:UNUSED_PAD src0_sel:DWORD src1_sel:WORD_1
	v_bfrev_b32_e32 v56, 60
	v_lshlrev_b32_e32 v54, 20, v54
	v_and_b32_e32 v55, 0x80000000, v55
	v_lshl_add_u32 v30, v30, 23, v56
	v_or3_b32 v54, v55, v30, v54
.LBB594_51:
	s_or_b64 exec, exec, s[10:11]
.LBB594_52:
	s_or_b64 exec, exec, s[8:9]
.LBB594_53:
	s_or_b64 exec, exec, s[2:3]
	s_mov_b32 s2, 0xffffff
	v_cmp_lt_u32_e32 vcc, s2, v31
	s_and_saveexec_b64 s[2:3], vcc
	s_cbranch_execz .LBB594_59
; %bb.54:
	v_lshrrev_b32_e32 v30, 24, v31
	s_movk_i32 s8, 0x80
	v_cmp_ne_u32_e32 vcc, s8, v30
	v_bfrev_b32_e32 v53, 1
	s_and_saveexec_b64 s[8:9], vcc
	s_cbranch_execz .LBB594_58
; %bb.55:
	v_bfe_u32 v31, v31, 24, 7
	s_movk_i32 s10, 0x7f
	v_cmp_ne_u32_e32 vcc, s10, v31
	v_mov_b32_e32 v53, 0x7f800001
	s_and_saveexec_b64 s[10:11], vcc
	s_cbranch_execz .LBB594_57
; %bb.56:
	v_and_b32_e32 v53, 7, v30
	v_ffbh_u32_e32 v56, v53
	v_min_u32_e32 v58, 32, v56
	v_subrev_u32_e32 v56, 28, v58
	v_lshlrev_b64 v[56:57], v56, v[30:31]
	v_lshrrev_b32_e32 v55, 3, v31
	v_sub_u32_e32 v57, 29, v58
	v_and_b32_e32 v56, 7, v56
	v_cmp_gt_u32_e32 vcc, 8, v31
	v_cndmask_b32_e32 v31, v55, v57, vcc
	v_cndmask_b32_e32 v53, v53, v56, vcc
	v_lshlrev_b32_e32 v30, 24, v30
	v_bfrev_b32_e32 v55, 60
	v_lshlrev_b32_e32 v53, 20, v53
	v_and_b32_e32 v30, 0x80000000, v30
	v_lshl_add_u32 v31, v31, 23, v55
	v_or3_b32 v53, v30, v31, v53
.LBB594_57:
	s_or_b64 exec, exec, s[10:11]
.LBB594_58:
	s_or_b64 exec, exec, s[8:9]
.LBB594_59:
	s_or_b64 exec, exec, s[2:3]
	v_cvt_pkrtz_f16_f32 v30, v44, v43
	v_cvt_pkrtz_f16_f32 v31, v51, v45
	v_cvt_pkrtz_f16_f32 v42, v52, v42
	v_cvt_pkrtz_f16_f32 v43, v54, v53
	v_mov_b32_e32 v52, 0
	s_waitcnt lgkmcnt(0)
	v_mfma_f32_16x16x16f16 v[56:59], v[30:31], v[26:27], 0
	v_mov_b32_e32 v31, 0
	v_cmp_ne_u16_sdwa s[8:9], v32, v31 src0_sel:BYTE_0 src1_sel:DWORD
	v_mfma_f32_16x16x16f16 v[42:45], v[42:43], v[28:29], v[56:59]
	s_and_saveexec_b64 s[2:3], s[8:9]
	s_cbranch_execz .LBB594_65
; %bb.60:
	s_movk_i32 s8, 0x80
	v_cmp_ne_u16_sdwa s[10:11], v32, s8 src0_sel:BYTE_0 src1_sel:DWORD
	v_bfrev_b32_e32 v52, 1
	s_and_saveexec_b64 s[8:9], s[10:11]
	s_cbranch_execz .LBB594_64
; %bb.61:
	s_movk_i32 s10, 0x7f
	v_and_b32_e32 v30, 0x7f, v32
	v_cmp_ne_u32_e32 vcc, s10, v30
	v_mov_b32_e32 v52, 0x7f800001
	s_and_saveexec_b64 s[10:11], vcc
	s_cbranch_execz .LBB594_63
; %bb.62:
	v_and_b32_e32 v51, 7, v32
	v_ffbh_u32_e32 v52, v51
	v_min_u32_e32 v55, 32, v52
	v_subrev_u32_e32 v52, 28, v55
	v_lshlrev_b64 v[52:53], v52, v[32:33]
	v_lshrrev_b32_e32 v54, 3, v30
	v_sub_u32_e32 v53, 29, v55
	v_and_b32_e32 v52, 7, v52
	v_cmp_gt_u32_e32 vcc, 8, v30
	v_cndmask_b32_e32 v30, v54, v53, vcc
	v_cndmask_b32_e32 v51, v51, v52, vcc
	v_lshlrev_b32_e32 v52, 24, v32
	v_bfrev_b32_e32 v53, 60
	v_lshlrev_b32_e32 v51, 20, v51
	v_and_b32_e32 v52, 0x80000000, v52
	v_lshl_add_u32 v30, v30, 23, v53
	v_or3_b32 v52, v52, v30, v51
.LBB594_63:
	s_or_b64 exec, exec, s[10:11]
.LBB594_64:
	s_or_b64 exec, exec, s[8:9]
.LBB594_65:
	s_or_b64 exec, exec, s[2:3]
	v_lshrrev_b16_e32 v30, 8, v32
	v_cmp_ne_u16_e32 vcc, 0, v30
	v_mov_b32_e32 v53, 0
	s_and_saveexec_b64 s[2:3], vcc
	s_cbranch_execz .LBB594_71
; %bb.66:
	s_movk_i32 s8, 0x80
	v_cmp_ne_u16_e32 vcc, s8, v30
	v_bfrev_b32_e32 v53, 1
	s_and_saveexec_b64 s[8:9], vcc
	s_cbranch_execz .LBB594_70
; %bb.67:
	s_movk_i32 s10, 0x7f
	v_and_b32_e32 v51, 0x7f, v30
	v_cmp_ne_u32_e32 vcc, s10, v51
	v_mov_b32_e32 v53, 0x7f800001
	s_and_saveexec_b64 s[10:11], vcc
	s_cbranch_execz .LBB594_69
; %bb.68:
	v_and_b32_e32 v53, 7, v30
	v_ffbh_u32_e32 v54, v53
	v_min_u32_e32 v57, 32, v54
	v_subrev_u32_e32 v54, 28, v57
	v_lshlrev_b64 v[54:55], v54, v[30:31]
	v_lshrrev_b32_e32 v56, 3, v51
	v_sub_u32_e32 v30, 29, v57
	v_and_b32_e32 v54, 7, v54
	v_cmp_gt_u32_e32 vcc, 8, v51
	v_cndmask_b32_e32 v30, v56, v30, vcc
	v_cndmask_b32_e32 v51, v53, v54, vcc
	v_lshlrev_b32_e32 v53, 16, v32
	v_bfrev_b32_e32 v54, 60
	v_lshlrev_b32_e32 v51, 20, v51
	v_and_b32_e32 v53, 0x80000000, v53
	v_lshl_add_u32 v30, v30, 23, v54
	v_or3_b32 v53, v53, v30, v51
.LBB594_69:
	s_or_b64 exec, exec, s[10:11]
.LBB594_70:
	s_or_b64 exec, exec, s[8:9]
.LBB594_71:
	s_or_b64 exec, exec, s[2:3]
	s_movk_i32 s2, 0xff
	v_and_b32_sdwa v51, v32, s2 dst_sel:DWORD dst_unused:UNUSED_PAD src0_sel:WORD_1 src1_sel:DWORD
	v_lshrrev_b32_e32 v30, 16, v32
	v_cmp_ne_u16_e32 vcc, 0, v51
	s_and_saveexec_b64 s[2:3], vcc
	s_cbranch_execz .LBB594_77
; %bb.72:
	s_movk_i32 s8, 0x80
	v_cmp_ne_u16_e32 vcc, s8, v51
	v_bfrev_b32_e32 v31, 1
	s_and_saveexec_b64 s[8:9], vcc
	s_cbranch_execz .LBB594_76
; %bb.73:
	v_bfe_u32 v51, v32, 16, 7
	s_movk_i32 s10, 0x7f
	v_cmp_ne_u32_e32 vcc, s10, v51
	v_mov_b32_e32 v31, 0x7f800001
	s_and_saveexec_b64 s[10:11], vcc
	s_cbranch_execz .LBB594_75
; %bb.74:
	v_and_b32_e32 v54, 7, v30
	v_ffbh_u32_e32 v31, v54
	v_min_u32_e32 v56, 32, v31
	v_subrev_u32_e32 v31, 28, v56
	v_lshlrev_b64 v[30:31], v31, v[30:31]
	v_lshrrev_b32_e32 v55, 3, v51
	v_sub_u32_e32 v31, 29, v56
	v_and_b32_e32 v30, 7, v30
	v_cmp_gt_u32_e32 vcc, 8, v51
	v_mov_b32_e32 v51, 24
	v_cndmask_b32_e32 v31, v55, v31, vcc
	v_cndmask_b32_e32 v30, v54, v30, vcc
	v_lshlrev_b32_sdwa v51, v51, v32 dst_sel:DWORD dst_unused:UNUSED_PAD src0_sel:DWORD src1_sel:WORD_1
	v_bfrev_b32_e32 v54, 60
	v_lshlrev_b32_e32 v30, 20, v30
	v_and_b32_e32 v51, 0x80000000, v51
	v_lshl_add_u32 v31, v31, 23, v54
	v_or3_b32 v31, v51, v31, v30
.LBB594_75:
	s_or_b64 exec, exec, s[10:11]
.LBB594_76:
	s_or_b64 exec, exec, s[8:9]
.LBB594_77:
	s_or_b64 exec, exec, s[2:3]
	s_mov_b32 s2, 0xffffff
	v_cmp_lt_u32_e32 vcc, s2, v32
	v_mov_b32_e32 v54, 0
	v_mov_b32_e32 v55, 0
	s_and_saveexec_b64 s[2:3], vcc
	s_cbranch_execz .LBB594_83
; %bb.78:
	v_lshrrev_b32_e32 v30, 24, v32
	s_movk_i32 s8, 0x80
	v_cmp_ne_u32_e32 vcc, s8, v30
	v_bfrev_b32_e32 v55, 1
	s_and_saveexec_b64 s[8:9], vcc
	s_cbranch_execz .LBB594_82
; %bb.79:
	v_bfe_u32 v32, v32, 24, 7
	s_movk_i32 s10, 0x7f
	v_cmp_ne_u32_e32 vcc, s10, v32
	v_mov_b32_e32 v55, 0x7f800001
	s_and_saveexec_b64 s[10:11], vcc
	s_cbranch_execz .LBB594_81
; %bb.80:
	v_and_b32_e32 v51, 7, v30
	v_ffbh_u32_e32 v56, v51
	v_min_u32_e32 v58, 32, v56
	v_subrev_u32_e32 v56, 28, v58
	v_lshlrev_b64 v[56:57], v56, v[30:31]
	v_lshrrev_b32_e32 v55, 3, v32
	v_sub_u32_e32 v57, 29, v58
	v_and_b32_e32 v56, 7, v56
	v_cmp_gt_u32_e32 vcc, 8, v32
	v_cndmask_b32_e32 v32, v55, v57, vcc
	v_cndmask_b32_e32 v51, v51, v56, vcc
	v_lshlrev_b32_e32 v30, 24, v30
	v_bfrev_b32_e32 v55, 60
	v_lshlrev_b32_e32 v51, 20, v51
	v_and_b32_e32 v30, 0x80000000, v30
	v_lshl_add_u32 v32, v32, 23, v55
	v_or3_b32 v55, v30, v32, v51
.LBB594_81:
	s_or_b64 exec, exec, s[10:11]
.LBB594_82:
	s_or_b64 exec, exec, s[8:9]
.LBB594_83:
	s_or_b64 exec, exec, s[2:3]
	v_cmp_ne_u16_sdwa s[8:9], v33, v54 src0_sel:BYTE_0 src1_sel:DWORD
	s_and_saveexec_b64 s[2:3], s[8:9]
	s_cbranch_execz .LBB594_89
; %bb.84:
	s_movk_i32 s8, 0x80
	v_cmp_ne_u16_sdwa s[10:11], v33, s8 src0_sel:BYTE_0 src1_sel:DWORD
	v_bfrev_b32_e32 v54, 1
	s_and_saveexec_b64 s[8:9], s[10:11]
	s_cbranch_execz .LBB594_88
; %bb.85:
	s_movk_i32 s10, 0x7f
	v_and_b32_e32 v30, 0x7f, v33
	v_cmp_ne_u32_e32 vcc, s10, v30
	v_mov_b32_e32 v54, 0x7f800001
	s_and_saveexec_b64 s[10:11], vcc
	s_cbranch_execz .LBB594_87
; %bb.86:
	v_and_b32_e32 v51, 7, v33
	v_ffbh_u32_e32 v56, v51
	v_min_u32_e32 v58, 32, v56
	v_mov_b32_e32 v32, v33
	v_subrev_u32_e32 v56, 28, v58
	v_lshlrev_b64 v[56:57], v56, v[32:33]
	v_lshrrev_b32_e32 v54, 3, v30
	v_sub_u32_e32 v32, 29, v58
	v_and_b32_e32 v56, 7, v56
	v_cmp_gt_u32_e32 vcc, 8, v30
	v_cndmask_b32_e32 v30, v54, v32, vcc
	v_cndmask_b32_e32 v32, v51, v56, vcc
	v_lshlrev_b32_e32 v51, 24, v33
	v_bfrev_b32_e32 v54, 60
	v_lshlrev_b32_e32 v32, 20, v32
	v_and_b32_e32 v51, 0x80000000, v51
	v_lshl_add_u32 v30, v30, 23, v54
	v_or3_b32 v54, v51, v30, v32
.LBB594_87:
	s_or_b64 exec, exec, s[10:11]
.LBB594_88:
	s_or_b64 exec, exec, s[8:9]
.LBB594_89:
	s_or_b64 exec, exec, s[2:3]
	v_lshrrev_b16_e32 v30, 8, v33
	v_cmp_ne_u16_e32 vcc, 0, v30
	v_mov_b32_e32 v32, 0
	v_mov_b32_e32 v56, 0
	s_and_saveexec_b64 s[2:3], vcc
	s_cbranch_execz .LBB594_95
; %bb.90:
	s_movk_i32 s8, 0x80
	v_cmp_ne_u16_e32 vcc, s8, v30
	v_bfrev_b32_e32 v56, 1
	s_and_saveexec_b64 s[8:9], vcc
	s_cbranch_execz .LBB594_94
; %bb.91:
	s_movk_i32 s10, 0x7f
	v_and_b32_e32 v51, 0x7f, v30
	v_cmp_ne_u32_e32 vcc, s10, v51
	v_mov_b32_e32 v56, 0x7f800001
	s_and_saveexec_b64 s[10:11], vcc
	s_cbranch_execz .LBB594_93
; %bb.92:
	v_and_b32_e32 v58, 7, v30
	v_ffbh_u32_e32 v56, v58
	v_min_u32_e32 v60, 32, v56
	v_subrev_u32_e32 v56, 28, v60
	v_lshlrev_b64 v[56:57], v56, v[30:31]
	v_lshrrev_b32_e32 v59, 3, v51
	v_sub_u32_e32 v30, 29, v60
	v_and_b32_e32 v56, 7, v56
	v_cmp_gt_u32_e32 vcc, 8, v51
	v_cndmask_b32_e32 v30, v59, v30, vcc
	v_cndmask_b32_e32 v51, v58, v56, vcc
	v_lshlrev_b32_e32 v56, 16, v33
	v_bfrev_b32_e32 v57, 60
	v_lshlrev_b32_e32 v51, 20, v51
	v_and_b32_e32 v56, 0x80000000, v56
	v_lshl_add_u32 v30, v30, 23, v57
	v_or3_b32 v56, v56, v30, v51
.LBB594_93:
	s_or_b64 exec, exec, s[10:11]
.LBB594_94:
	s_or_b64 exec, exec, s[8:9]
.LBB594_95:
	s_or_b64 exec, exec, s[2:3]
	s_movk_i32 s2, 0xff
	v_and_b32_sdwa v51, v33, s2 dst_sel:DWORD dst_unused:UNUSED_PAD src0_sel:WORD_1 src1_sel:DWORD
	v_lshrrev_b32_e32 v30, 16, v33
	v_cmp_ne_u16_e32 vcc, 0, v51
	s_and_saveexec_b64 s[2:3], vcc
	s_cbranch_execz .LBB594_101
; %bb.96:
	s_movk_i32 s8, 0x80
	v_cmp_ne_u16_e32 vcc, s8, v51
	v_bfrev_b32_e32 v32, 1
	s_and_saveexec_b64 s[8:9], vcc
	s_cbranch_execz .LBB594_100
; %bb.97:
	v_bfe_u32 v51, v33, 16, 7
	s_movk_i32 s10, 0x7f
	v_cmp_ne_u32_e32 vcc, s10, v51
	v_mov_b32_e32 v32, 0x7f800001
	s_and_saveexec_b64 s[10:11], vcc
	s_cbranch_execz .LBB594_99
; %bb.98:
	v_and_b32_e32 v32, 7, v30
	v_ffbh_u32_e32 v58, v32
	v_min_u32_e32 v60, 32, v58
	v_subrev_u32_e32 v58, 28, v60
	v_lshlrev_b64 v[58:59], v58, v[30:31]
	v_lshrrev_b32_e32 v57, 3, v51
	v_sub_u32_e32 v30, 29, v60
	v_and_b32_e32 v58, 7, v58
	v_cmp_gt_u32_e32 vcc, 8, v51
	v_mov_b32_e32 v51, 24
	v_cndmask_b32_e32 v30, v57, v30, vcc
	v_cndmask_b32_e32 v32, v32, v58, vcc
	v_lshlrev_b32_sdwa v51, v51, v33 dst_sel:DWORD dst_unused:UNUSED_PAD src0_sel:DWORD src1_sel:WORD_1
	v_bfrev_b32_e32 v57, 60
	v_lshlrev_b32_e32 v32, 20, v32
	v_and_b32_e32 v51, 0x80000000, v51
	v_lshl_add_u32 v30, v30, 23, v57
	v_or3_b32 v32, v51, v30, v32
.LBB594_99:
	s_or_b64 exec, exec, s[10:11]
.LBB594_100:
	s_or_b64 exec, exec, s[8:9]
.LBB594_101:
	s_or_b64 exec, exec, s[2:3]
	s_mov_b32 s2, 0xffffff
	v_cmp_lt_u32_e32 vcc, s2, v33
	v_mov_b32_e32 v51, 0
	v_mov_b32_e32 v57, 0
	s_and_saveexec_b64 s[2:3], vcc
	s_cbranch_execz .LBB594_107
; %bb.102:
	v_lshrrev_b32_e32 v30, 24, v33
	s_movk_i32 s8, 0x80
	v_cmp_ne_u32_e32 vcc, s8, v30
	v_bfrev_b32_e32 v57, 1
	s_and_saveexec_b64 s[8:9], vcc
	s_cbranch_execz .LBB594_106
; %bb.103:
	v_bfe_u32 v33, v33, 24, 7
	s_movk_i32 s10, 0x7f
	v_cmp_ne_u32_e32 vcc, s10, v33
	v_mov_b32_e32 v57, 0x7f800001
	s_and_saveexec_b64 s[10:11], vcc
	s_cbranch_execz .LBB594_105
; %bb.104:
	v_and_b32_e32 v57, 7, v30
	v_ffbh_u32_e32 v58, v57
	v_min_u32_e32 v61, 32, v58
	v_subrev_u32_e32 v58, 28, v61
	v_lshlrev_b64 v[58:59], v58, v[30:31]
	v_lshrrev_b32_e32 v60, 3, v33
	v_sub_u32_e32 v59, 29, v61
	v_and_b32_e32 v58, 7, v58
	v_cmp_gt_u32_e32 vcc, 8, v33
	v_cndmask_b32_e32 v33, v60, v59, vcc
	v_cndmask_b32_e32 v57, v57, v58, vcc
	v_lshlrev_b32_e32 v30, 24, v30
	v_bfrev_b32_e32 v58, 60
	v_lshlrev_b32_e32 v57, 20, v57
	v_and_b32_e32 v30, 0x80000000, v30
	v_lshl_add_u32 v33, v33, 23, v58
	v_or3_b32 v57, v30, v33, v57
.LBB594_105:
	s_or_b64 exec, exec, s[10:11]
.LBB594_106:
	s_or_b64 exec, exec, s[8:9]
.LBB594_107:
	s_or_b64 exec, exec, s[2:3]
	v_cvt_pkrtz_f16_f32 v30, v52, v53
	v_cvt_pkrtz_f16_f32 v31, v31, v55
	s_waitcnt vmcnt(6)
	v_cmp_ne_u16_sdwa s[8:9], v38, v51 src0_sel:BYTE_0 src1_sel:DWORD
	v_mfma_f32_16x16x16f16 v[42:45], v[30:31], v[18:19], v[42:45]
	v_cvt_pkrtz_f16_f32 v30, v54, v56
	v_cvt_pkrtz_f16_f32 v31, v32, v57
	s_nop 1
	v_mfma_f32_16x16x16f16 v[30:33], v[30:31], v[20:21], v[42:45]
	s_and_saveexec_b64 s[2:3], s[8:9]
	s_cbranch_execz .LBB594_113
; %bb.108:
	s_movk_i32 s8, 0x80
	v_cmp_ne_u16_sdwa s[10:11], v38, s8 src0_sel:BYTE_0 src1_sel:DWORD
	v_bfrev_b32_e32 v51, 1
	s_and_saveexec_b64 s[8:9], s[10:11]
	s_cbranch_execz .LBB594_112
; %bb.109:
	s_movk_i32 s10, 0x7f
	v_and_b32_e32 v42, 0x7f, v38
	v_cmp_ne_u32_e32 vcc, s10, v42
	v_mov_b32_e32 v51, 0x7f800001
	s_and_saveexec_b64 s[10:11], vcc
	s_cbranch_execz .LBB594_111
; %bb.110:
	v_and_b32_e32 v43, 7, v38
	v_ffbh_u32_e32 v44, v43
	v_min_u32_e32 v52, 32, v44
	v_subrev_u32_e32 v44, 28, v52
	v_lshlrev_b64 v[44:45], v44, v[38:39]
	v_lshrrev_b32_e32 v51, 3, v42
	v_sub_u32_e32 v45, 29, v52
	v_and_b32_e32 v44, 7, v44
	v_cmp_gt_u32_e32 vcc, 8, v42
	v_cndmask_b32_e32 v42, v51, v45, vcc
	v_cndmask_b32_e32 v43, v43, v44, vcc
	v_lshlrev_b32_e32 v44, 24, v38
	v_bfrev_b32_e32 v45, 60
	v_lshlrev_b32_e32 v43, 20, v43
	v_and_b32_e32 v44, 0x80000000, v44
	v_lshl_add_u32 v42, v42, 23, v45
	v_or3_b32 v51, v44, v42, v43
.LBB594_111:
	s_or_b64 exec, exec, s[10:11]
.LBB594_112:
	s_or_b64 exec, exec, s[8:9]
.LBB594_113:
	s_or_b64 exec, exec, s[2:3]
	s_nop 3
	v_lshrrev_b16_e32 v42, 8, v38
	v_cmp_ne_u16_e32 vcc, 0, v42
	v_mov_b32_e32 v43, 0
	v_mov_b32_e32 v44, 0
	s_and_saveexec_b64 s[2:3], vcc
	s_cbranch_execz .LBB594_119
; %bb.114:
	s_movk_i32 s8, 0x80
	v_cmp_ne_u16_e32 vcc, s8, v42
	v_bfrev_b32_e32 v44, 1
	s_and_saveexec_b64 s[8:9], vcc
	s_cbranch_execz .LBB594_118
; %bb.115:
	s_movk_i32 s10, 0x7f
	v_and_b32_e32 v45, 0x7f, v42
	v_cmp_ne_u32_e32 vcc, s10, v45
	v_mov_b32_e32 v44, 0x7f800001
	s_and_saveexec_b64 s[10:11], vcc
	s_cbranch_execz .LBB594_117
; %bb.116:
	v_and_b32_e32 v44, 7, v42
	v_ffbh_u32_e32 v52, v44
	v_min_u32_e32 v55, 32, v52
	v_subrev_u32_e32 v52, 28, v55
	v_lshlrev_b64 v[52:53], v52, v[42:43]
	v_lshrrev_b32_e32 v54, 3, v45
	v_sub_u32_e32 v42, 29, v55
	v_and_b32_e32 v52, 7, v52
	v_cmp_gt_u32_e32 vcc, 8, v45
	v_cndmask_b32_e32 v42, v54, v42, vcc
	v_cndmask_b32_e32 v44, v44, v52, vcc
	v_lshlrev_b32_e32 v45, 16, v38
	v_bfrev_b32_e32 v52, 60
	v_lshlrev_b32_e32 v44, 20, v44
	v_and_b32_e32 v45, 0x80000000, v45
	v_lshl_add_u32 v42, v42, 23, v52
	v_or3_b32 v44, v45, v42, v44
.LBB594_117:
	s_or_b64 exec, exec, s[10:11]
.LBB594_118:
	s_or_b64 exec, exec, s[8:9]
.LBB594_119:
	s_or_b64 exec, exec, s[2:3]
	s_movk_i32 s2, 0xff
	v_and_b32_sdwa v45, v38, s2 dst_sel:DWORD dst_unused:UNUSED_PAD src0_sel:WORD_1 src1_sel:DWORD
	v_lshrrev_b32_e32 v42, 16, v38
	v_cmp_ne_u16_e32 vcc, 0, v45
	s_and_saveexec_b64 s[2:3], vcc
	s_cbranch_execz .LBB594_125
; %bb.120:
	s_movk_i32 s8, 0x80
	v_cmp_ne_u16_e32 vcc, s8, v45
	v_bfrev_b32_e32 v43, 1
	s_and_saveexec_b64 s[8:9], vcc
	s_cbranch_execz .LBB594_124
; %bb.121:
	v_bfe_u32 v45, v38, 16, 7
	s_movk_i32 s10, 0x7f
	v_cmp_ne_u32_e32 vcc, s10, v45
	v_mov_b32_e32 v43, 0x7f800001
	s_and_saveexec_b64 s[10:11], vcc
	s_cbranch_execz .LBB594_123
; %bb.122:
	v_and_b32_e32 v52, 7, v42
	v_ffbh_u32_e32 v43, v52
	v_min_u32_e32 v54, 32, v43
	v_subrev_u32_e32 v43, 28, v54
	v_lshlrev_b64 v[42:43], v43, v[42:43]
	v_lshrrev_b32_e32 v53, 3, v45
	v_sub_u32_e32 v43, 29, v54
	v_and_b32_e32 v42, 7, v42
	v_cmp_gt_u32_e32 vcc, 8, v45
	v_mov_b32_e32 v45, 24
	v_cndmask_b32_e32 v43, v53, v43, vcc
	v_cndmask_b32_e32 v42, v52, v42, vcc
	v_lshlrev_b32_sdwa v45, v45, v38 dst_sel:DWORD dst_unused:UNUSED_PAD src0_sel:DWORD src1_sel:WORD_1
	v_bfrev_b32_e32 v52, 60
	v_lshlrev_b32_e32 v42, 20, v42
	v_and_b32_e32 v45, 0x80000000, v45
	v_lshl_add_u32 v43, v43, 23, v52
	v_or3_b32 v43, v45, v43, v42
.LBB594_123:
	s_or_b64 exec, exec, s[10:11]
.LBB594_124:
	s_or_b64 exec, exec, s[8:9]
.LBB594_125:
	s_or_b64 exec, exec, s[2:3]
	s_mov_b32 s2, 0xffffff
	v_cmp_lt_u32_e32 vcc, s2, v38
	v_mov_b32_e32 v45, 0
	v_mov_b32_e32 v53, 0
	s_and_saveexec_b64 s[2:3], vcc
	s_cbranch_execz .LBB594_131
; %bb.126:
	v_lshrrev_b32_e32 v42, 24, v38
	s_movk_i32 s8, 0x80
	v_cmp_ne_u32_e32 vcc, s8, v42
	v_bfrev_b32_e32 v53, 1
	s_and_saveexec_b64 s[8:9], vcc
	s_cbranch_execz .LBB594_130
; %bb.127:
	v_bfe_u32 v38, v38, 24, 7
	s_movk_i32 s10, 0x7f
	v_cmp_ne_u32_e32 vcc, s10, v38
	v_mov_b32_e32 v53, 0x7f800001
	s_and_saveexec_b64 s[10:11], vcc
	s_cbranch_execz .LBB594_129
; %bb.128:
	v_and_b32_e32 v54, 7, v42
	v_ffbh_u32_e32 v52, v54
	v_min_u32_e32 v56, 32, v52
	v_subrev_u32_e32 v52, 28, v56
	v_lshlrev_b64 v[52:53], v52, v[42:43]
	v_lshrrev_b32_e32 v55, 3, v38
	v_sub_u32_e32 v53, 29, v56
	v_and_b32_e32 v52, 7, v52
	v_cmp_gt_u32_e32 vcc, 8, v38
	v_cndmask_b32_e32 v38, v55, v53, vcc
	v_cndmask_b32_e32 v52, v54, v52, vcc
	v_lshlrev_b32_e32 v42, 24, v42
	v_bfrev_b32_e32 v53, 60
	v_lshlrev_b32_e32 v52, 20, v52
	v_and_b32_e32 v42, 0x80000000, v42
	v_lshl_add_u32 v38, v38, 23, v53
	v_or3_b32 v53, v42, v38, v52
.LBB594_129:
	s_or_b64 exec, exec, s[10:11]
.LBB594_130:
	s_or_b64 exec, exec, s[8:9]
.LBB594_131:
	s_or_b64 exec, exec, s[2:3]
	v_cmp_ne_u16_sdwa s[8:9], v39, v45 src0_sel:BYTE_0 src1_sel:DWORD
	s_and_saveexec_b64 s[2:3], s[8:9]
	s_cbranch_execz .LBB594_137
; %bb.132:
	s_movk_i32 s8, 0x80
	v_cmp_ne_u16_sdwa s[10:11], v39, s8 src0_sel:BYTE_0 src1_sel:DWORD
	v_bfrev_b32_e32 v45, 1
	s_and_saveexec_b64 s[8:9], s[10:11]
	s_cbranch_execz .LBB594_136
; %bb.133:
	s_movk_i32 s10, 0x7f
	v_and_b32_e32 v38, 0x7f, v39
	v_cmp_ne_u32_e32 vcc, s10, v38
	v_mov_b32_e32 v45, 0x7f800001
	s_and_saveexec_b64 s[10:11], vcc
	s_cbranch_execz .LBB594_135
; %bb.134:
	v_and_b32_e32 v45, 7, v39
	v_ffbh_u32_e32 v54, v45
	v_min_u32_e32 v56, 32, v54
	v_mov_b32_e32 v42, v39
	v_subrev_u32_e32 v54, 28, v56
	v_lshlrev_b64 v[54:55], v54, v[42:43]
	v_lshrrev_b32_e32 v52, 3, v38
	v_sub_u32_e32 v42, 29, v56
	v_and_b32_e32 v54, 7, v54
	v_cmp_gt_u32_e32 vcc, 8, v38
	v_cndmask_b32_e32 v38, v52, v42, vcc
	v_cndmask_b32_e32 v42, v45, v54, vcc
	v_lshlrev_b32_e32 v45, 24, v39
	v_bfrev_b32_e32 v52, 60
	v_lshlrev_b32_e32 v42, 20, v42
	v_and_b32_e32 v45, 0x80000000, v45
	v_lshl_add_u32 v38, v38, 23, v52
	v_or3_b32 v45, v45, v38, v42
.LBB594_135:
	s_or_b64 exec, exec, s[10:11]
.LBB594_136:
	s_or_b64 exec, exec, s[8:9]
.LBB594_137:
	s_or_b64 exec, exec, s[2:3]
	v_lshrrev_b16_e32 v38, 8, v39
	v_cmp_ne_u16_e32 vcc, 0, v38
	v_mov_b32_e32 v42, 0
	v_mov_b32_e32 v54, 0
	s_and_saveexec_b64 s[2:3], vcc
	s_cbranch_execz .LBB594_143
; %bb.138:
	s_movk_i32 s8, 0x80
	v_cmp_ne_u16_e32 vcc, s8, v38
	v_bfrev_b32_e32 v54, 1
	s_and_saveexec_b64 s[8:9], vcc
	s_cbranch_execz .LBB594_142
; %bb.139:
	s_movk_i32 s10, 0x7f
	v_and_b32_e32 v52, 0x7f, v38
	v_cmp_ne_u32_e32 vcc, s10, v52
	v_mov_b32_e32 v54, 0x7f800001
	s_and_saveexec_b64 s[10:11], vcc
	s_cbranch_execz .LBB594_141
; %bb.140:
	v_and_b32_e32 v56, 7, v38
	v_ffbh_u32_e32 v54, v56
	v_min_u32_e32 v58, 32, v54
	v_subrev_u32_e32 v54, 28, v58
	v_lshlrev_b64 v[54:55], v54, v[38:39]
	v_lshrrev_b32_e32 v57, 3, v52
	v_sub_u32_e32 v38, 29, v58
	v_and_b32_e32 v54, 7, v54
	v_cmp_gt_u32_e32 vcc, 8, v52
	v_cndmask_b32_e32 v38, v57, v38, vcc
	v_cndmask_b32_e32 v52, v56, v54, vcc
	v_lshlrev_b32_e32 v54, 16, v39
	v_bfrev_b32_e32 v55, 60
	v_lshlrev_b32_e32 v52, 20, v52
	v_and_b32_e32 v54, 0x80000000, v54
	v_lshl_add_u32 v38, v38, 23, v55
	v_or3_b32 v54, v54, v38, v52
.LBB594_141:
	s_or_b64 exec, exec, s[10:11]
.LBB594_142:
	s_or_b64 exec, exec, s[8:9]
.LBB594_143:
	s_or_b64 exec, exec, s[2:3]
	s_movk_i32 s2, 0xff
	v_and_b32_sdwa v52, v39, s2 dst_sel:DWORD dst_unused:UNUSED_PAD src0_sel:WORD_1 src1_sel:DWORD
	v_lshrrev_b32_e32 v38, 16, v39
	v_cmp_ne_u16_e32 vcc, 0, v52
	s_and_saveexec_b64 s[2:3], vcc
	s_cbranch_execz .LBB594_149
; %bb.144:
	s_movk_i32 s8, 0x80
	v_cmp_ne_u16_e32 vcc, s8, v52
	v_bfrev_b32_e32 v42, 1
	s_and_saveexec_b64 s[8:9], vcc
	s_cbranch_execz .LBB594_148
; %bb.145:
	v_bfe_u32 v52, v39, 16, 7
	s_movk_i32 s10, 0x7f
	v_cmp_ne_u32_e32 vcc, s10, v52
	v_mov_b32_e32 v42, 0x7f800001
	s_and_saveexec_b64 s[10:11], vcc
	s_cbranch_execz .LBB594_147
; %bb.146:
	v_and_b32_e32 v42, 7, v38
	v_ffbh_u32_e32 v56, v42
	v_min_u32_e32 v58, 32, v56
	v_subrev_u32_e32 v56, 28, v58
	v_lshlrev_b64 v[56:57], v56, v[38:39]
	v_lshrrev_b32_e32 v55, 3, v52
	v_sub_u32_e32 v38, 29, v58
	v_and_b32_e32 v56, 7, v56
	v_cmp_gt_u32_e32 vcc, 8, v52
	v_mov_b32_e32 v52, 24
	v_cndmask_b32_e32 v38, v55, v38, vcc
	v_cndmask_b32_e32 v42, v42, v56, vcc
	v_lshlrev_b32_sdwa v52, v52, v39 dst_sel:DWORD dst_unused:UNUSED_PAD src0_sel:DWORD src1_sel:WORD_1
	v_bfrev_b32_e32 v55, 60
	v_lshlrev_b32_e32 v42, 20, v42
	v_and_b32_e32 v52, 0x80000000, v52
	v_lshl_add_u32 v38, v38, 23, v55
	v_or3_b32 v42, v52, v38, v42
.LBB594_147:
	s_or_b64 exec, exec, s[10:11]
.LBB594_148:
	s_or_b64 exec, exec, s[8:9]
.LBB594_149:
	s_or_b64 exec, exec, s[2:3]
	s_mov_b32 s2, 0xffffff
	v_cmp_lt_u32_e32 vcc, s2, v39
	v_mov_b32_e32 v52, 0
	v_mov_b32_e32 v55, 0
	s_and_saveexec_b64 s[2:3], vcc
	s_cbranch_execz .LBB594_155
; %bb.150:
	v_lshrrev_b32_e32 v38, 24, v39
	s_movk_i32 s8, 0x80
	v_cmp_ne_u32_e32 vcc, s8, v38
	v_bfrev_b32_e32 v55, 1
	s_and_saveexec_b64 s[8:9], vcc
	s_cbranch_execz .LBB594_154
; %bb.151:
	v_bfe_u32 v39, v39, 24, 7
	s_movk_i32 s10, 0x7f
	v_cmp_ne_u32_e32 vcc, s10, v39
	v_mov_b32_e32 v55, 0x7f800001
	s_and_saveexec_b64 s[10:11], vcc
	s_cbranch_execz .LBB594_153
; %bb.152:
	v_and_b32_e32 v55, 7, v38
	v_ffbh_u32_e32 v56, v55
	v_min_u32_e32 v59, 32, v56
	v_subrev_u32_e32 v56, 28, v59
	v_lshlrev_b64 v[56:57], v56, v[38:39]
	v_lshrrev_b32_e32 v58, 3, v39
	v_sub_u32_e32 v57, 29, v59
	v_and_b32_e32 v56, 7, v56
	v_cmp_gt_u32_e32 vcc, 8, v39
	v_cndmask_b32_e32 v39, v58, v57, vcc
	v_cndmask_b32_e32 v55, v55, v56, vcc
	v_lshlrev_b32_e32 v38, 24, v38
	v_bfrev_b32_e32 v56, 60
	v_lshlrev_b32_e32 v55, 20, v55
	v_and_b32_e32 v38, 0x80000000, v38
	v_lshl_add_u32 v39, v39, 23, v56
	v_or3_b32 v55, v38, v39, v55
.LBB594_153:
	s_or_b64 exec, exec, s[10:11]
.LBB594_154:
	s_or_b64 exec, exec, s[8:9]
.LBB594_155:
	s_or_b64 exec, exec, s[2:3]
	v_cvt_pkrtz_f16_f32 v38, v51, v44
	v_cvt_pkrtz_f16_f32 v39, v43, v53
	v_cmp_ne_u16_sdwa s[8:9], v40, v52 src0_sel:BYTE_0 src1_sel:DWORD
	s_nop 0
	v_mfma_f32_16x16x16f16 v[56:59], v[38:39], v[26:27], 0
	v_cvt_pkrtz_f16_f32 v38, v45, v54
	v_cvt_pkrtz_f16_f32 v39, v42, v55
	s_nop 1
	v_mfma_f32_16x16x16f16 v[42:45], v[38:39], v[28:29], v[56:59]
	s_and_saveexec_b64 s[2:3], s[8:9]
	s_cbranch_execz .LBB594_161
; %bb.156:
	s_movk_i32 s8, 0x80
	v_cmp_ne_u16_sdwa s[10:11], v40, s8 src0_sel:BYTE_0 src1_sel:DWORD
	v_bfrev_b32_e32 v52, 1
	s_and_saveexec_b64 s[8:9], s[10:11]
	s_cbranch_execz .LBB594_160
; %bb.157:
	s_movk_i32 s10, 0x7f
	v_and_b32_e32 v38, 0x7f, v40
	v_cmp_ne_u32_e32 vcc, s10, v38
	v_mov_b32_e32 v52, 0x7f800001
	s_and_saveexec_b64 s[10:11], vcc
	s_cbranch_execz .LBB594_159
; %bb.158:
	v_and_b32_e32 v39, 7, v40
	v_ffbh_u32_e32 v52, v39
	v_min_u32_e32 v54, 32, v52
	v_subrev_u32_e32 v52, 28, v54
	v_lshlrev_b64 v[52:53], v52, v[40:41]
	v_lshrrev_b32_e32 v51, 3, v38
	v_sub_u32_e32 v53, 29, v54
	v_and_b32_e32 v52, 7, v52
	v_cmp_gt_u32_e32 vcc, 8, v38
	v_cndmask_b32_e32 v38, v51, v53, vcc
	v_cndmask_b32_e32 v39, v39, v52, vcc
	v_lshlrev_b32_e32 v51, 24, v40
	v_bfrev_b32_e32 v52, 60
	v_lshlrev_b32_e32 v39, 20, v39
	v_and_b32_e32 v51, 0x80000000, v51
	v_lshl_add_u32 v38, v38, 23, v52
	v_or3_b32 v52, v51, v38, v39
.LBB594_159:
	s_or_b64 exec, exec, s[10:11]
.LBB594_160:
	s_or_b64 exec, exec, s[8:9]
.LBB594_161:
	s_or_b64 exec, exec, s[2:3]
	v_lshrrev_b16_e32 v38, 8, v40
	v_cmp_ne_u16_e32 vcc, 0, v38
	v_mov_b32_e32 v39, 0
	v_mov_b32_e32 v53, 0
	s_and_saveexec_b64 s[2:3], vcc
	s_cbranch_execz .LBB594_167
; %bb.162:
	s_movk_i32 s8, 0x80
	v_cmp_ne_u16_e32 vcc, s8, v38
	v_bfrev_b32_e32 v53, 1
	s_and_saveexec_b64 s[8:9], vcc
	s_cbranch_execz .LBB594_166
; %bb.163:
	s_movk_i32 s10, 0x7f
	v_and_b32_e32 v51, 0x7f, v38
	v_cmp_ne_u32_e32 vcc, s10, v51
	v_mov_b32_e32 v53, 0x7f800001
	s_and_saveexec_b64 s[10:11], vcc
	s_cbranch_execz .LBB594_165
; %bb.164:
	v_and_b32_e32 v53, 7, v38
	v_ffbh_u32_e32 v54, v53
	v_min_u32_e32 v57, 32, v54
	v_subrev_u32_e32 v54, 28, v57
	v_lshlrev_b64 v[54:55], v54, v[38:39]
	v_lshrrev_b32_e32 v56, 3, v51
	v_sub_u32_e32 v38, 29, v57
	v_and_b32_e32 v54, 7, v54
	v_cmp_gt_u32_e32 vcc, 8, v51
	v_cndmask_b32_e32 v38, v56, v38, vcc
	v_cndmask_b32_e32 v51, v53, v54, vcc
	v_lshlrev_b32_e32 v53, 16, v40
	v_bfrev_b32_e32 v54, 60
	v_lshlrev_b32_e32 v51, 20, v51
	v_and_b32_e32 v53, 0x80000000, v53
	v_lshl_add_u32 v38, v38, 23, v54
	v_or3_b32 v53, v53, v38, v51
.LBB594_165:
	s_or_b64 exec, exec, s[10:11]
.LBB594_166:
	s_or_b64 exec, exec, s[8:9]
.LBB594_167:
	s_or_b64 exec, exec, s[2:3]
	s_movk_i32 s2, 0xff
	v_and_b32_sdwa v51, v40, s2 dst_sel:DWORD dst_unused:UNUSED_PAD src0_sel:WORD_1 src1_sel:DWORD
	v_lshrrev_b32_e32 v38, 16, v40
	v_cmp_ne_u16_e32 vcc, 0, v51
	s_and_saveexec_b64 s[2:3], vcc
	s_cbranch_execz .LBB594_173
; %bb.168:
	s_movk_i32 s8, 0x80
	v_cmp_ne_u16_e32 vcc, s8, v51
	v_bfrev_b32_e32 v39, 1
	s_and_saveexec_b64 s[8:9], vcc
	s_cbranch_execz .LBB594_172
; %bb.169:
	v_bfe_u32 v51, v40, 16, 7
	s_movk_i32 s10, 0x7f
	v_cmp_ne_u32_e32 vcc, s10, v51
	v_mov_b32_e32 v39, 0x7f800001
	s_and_saveexec_b64 s[10:11], vcc
	s_cbranch_execz .LBB594_171
; %bb.170:
	v_and_b32_e32 v54, 7, v38
	v_ffbh_u32_e32 v39, v54
	v_min_u32_e32 v56, 32, v39
	v_subrev_u32_e32 v39, 28, v56
	v_lshlrev_b64 v[38:39], v39, v[38:39]
	v_lshrrev_b32_e32 v55, 3, v51
	v_sub_u32_e32 v39, 29, v56
	v_and_b32_e32 v38, 7, v38
	v_cmp_gt_u32_e32 vcc, 8, v51
	v_mov_b32_e32 v51, 24
	v_cndmask_b32_e32 v39, v55, v39, vcc
	v_cndmask_b32_e32 v38, v54, v38, vcc
	v_lshlrev_b32_sdwa v51, v51, v40 dst_sel:DWORD dst_unused:UNUSED_PAD src0_sel:DWORD src1_sel:WORD_1
	v_bfrev_b32_e32 v54, 60
	v_lshlrev_b32_e32 v38, 20, v38
	v_and_b32_e32 v51, 0x80000000, v51
	v_lshl_add_u32 v39, v39, 23, v54
	v_or3_b32 v39, v51, v39, v38
.LBB594_171:
	s_or_b64 exec, exec, s[10:11]
.LBB594_172:
	s_or_b64 exec, exec, s[8:9]
.LBB594_173:
	s_or_b64 exec, exec, s[2:3]
	s_mov_b32 s2, 0xffffff
	v_cmp_lt_u32_e32 vcc, s2, v40
	v_mov_b32_e32 v54, 0
	v_mov_b32_e32 v55, 0
	s_and_saveexec_b64 s[2:3], vcc
	s_cbranch_execz .LBB594_179
; %bb.174:
	v_lshrrev_b32_e32 v38, 24, v40
	s_movk_i32 s8, 0x80
	v_cmp_ne_u32_e32 vcc, s8, v38
	v_bfrev_b32_e32 v55, 1
	s_and_saveexec_b64 s[8:9], vcc
	s_cbranch_execz .LBB594_178
; %bb.175:
	v_bfe_u32 v40, v40, 24, 7
	s_movk_i32 s10, 0x7f
	v_cmp_ne_u32_e32 vcc, s10, v40
	v_mov_b32_e32 v55, 0x7f800001
	s_and_saveexec_b64 s[10:11], vcc
	s_cbranch_execz .LBB594_177
; %bb.176:
	v_and_b32_e32 v51, 7, v38
	v_ffbh_u32_e32 v56, v51
	v_min_u32_e32 v58, 32, v56
	v_subrev_u32_e32 v56, 28, v58
	v_lshlrev_b64 v[56:57], v56, v[38:39]
	v_lshrrev_b32_e32 v55, 3, v40
	v_sub_u32_e32 v57, 29, v58
	v_and_b32_e32 v56, 7, v56
	v_cmp_gt_u32_e32 vcc, 8, v40
	v_cndmask_b32_e32 v40, v55, v57, vcc
	v_cndmask_b32_e32 v51, v51, v56, vcc
	v_lshlrev_b32_e32 v38, 24, v38
	v_bfrev_b32_e32 v55, 60
	v_lshlrev_b32_e32 v51, 20, v51
	v_and_b32_e32 v38, 0x80000000, v38
	v_lshl_add_u32 v40, v40, 23, v55
	v_or3_b32 v55, v38, v40, v51
.LBB594_177:
	s_or_b64 exec, exec, s[10:11]
.LBB594_178:
	s_or_b64 exec, exec, s[8:9]
.LBB594_179:
	s_or_b64 exec, exec, s[2:3]
	v_cmp_ne_u16_sdwa s[8:9], v41, v54 src0_sel:BYTE_0 src1_sel:DWORD
	s_and_saveexec_b64 s[2:3], s[8:9]
	s_cbranch_execz .LBB594_185
; %bb.180:
	s_movk_i32 s8, 0x80
	v_cmp_ne_u16_sdwa s[10:11], v41, s8 src0_sel:BYTE_0 src1_sel:DWORD
	v_bfrev_b32_e32 v54, 1
	s_and_saveexec_b64 s[8:9], s[10:11]
	s_cbranch_execz .LBB594_184
; %bb.181:
	s_movk_i32 s10, 0x7f
	v_and_b32_e32 v38, 0x7f, v41
	v_cmp_ne_u32_e32 vcc, s10, v38
	v_mov_b32_e32 v54, 0x7f800001
	s_and_saveexec_b64 s[10:11], vcc
	s_cbranch_execz .LBB594_183
; %bb.182:
	v_and_b32_e32 v51, 7, v41
	v_ffbh_u32_e32 v56, v51
	v_min_u32_e32 v58, 32, v56
	v_mov_b32_e32 v40, v41
	v_subrev_u32_e32 v56, 28, v58
	v_lshlrev_b64 v[56:57], v56, v[40:41]
	v_lshrrev_b32_e32 v54, 3, v38
	v_sub_u32_e32 v40, 29, v58
	v_and_b32_e32 v56, 7, v56
	v_cmp_gt_u32_e32 vcc, 8, v38
	v_cndmask_b32_e32 v38, v54, v40, vcc
	v_cndmask_b32_e32 v40, v51, v56, vcc
	v_lshlrev_b32_e32 v51, 24, v41
	v_bfrev_b32_e32 v54, 60
	v_lshlrev_b32_e32 v40, 20, v40
	v_and_b32_e32 v51, 0x80000000, v51
	v_lshl_add_u32 v38, v38, 23, v54
	v_or3_b32 v54, v51, v38, v40
.LBB594_183:
	s_or_b64 exec, exec, s[10:11]
.LBB594_184:
	s_or_b64 exec, exec, s[8:9]
.LBB594_185:
	s_or_b64 exec, exec, s[2:3]
	v_lshrrev_b16_e32 v38, 8, v41
	v_cmp_ne_u16_e32 vcc, 0, v38
	v_mov_b32_e32 v40, 0
	v_mov_b32_e32 v56, 0
	s_and_saveexec_b64 s[2:3], vcc
	s_cbranch_execz .LBB594_191
; %bb.186:
	s_movk_i32 s8, 0x80
	v_cmp_ne_u16_e32 vcc, s8, v38
	v_bfrev_b32_e32 v56, 1
	s_and_saveexec_b64 s[8:9], vcc
	s_cbranch_execz .LBB594_190
; %bb.187:
	s_movk_i32 s10, 0x7f
	v_and_b32_e32 v51, 0x7f, v38
	v_cmp_ne_u32_e32 vcc, s10, v51
	v_mov_b32_e32 v56, 0x7f800001
	s_and_saveexec_b64 s[10:11], vcc
	s_cbranch_execz .LBB594_189
; %bb.188:
	v_and_b32_e32 v58, 7, v38
	v_ffbh_u32_e32 v56, v58
	v_min_u32_e32 v60, 32, v56
	v_subrev_u32_e32 v56, 28, v60
	v_lshlrev_b64 v[56:57], v56, v[38:39]
	v_lshrrev_b32_e32 v59, 3, v51
	v_sub_u32_e32 v38, 29, v60
	v_and_b32_e32 v56, 7, v56
	v_cmp_gt_u32_e32 vcc, 8, v51
	v_cndmask_b32_e32 v38, v59, v38, vcc
	v_cndmask_b32_e32 v51, v58, v56, vcc
	v_lshlrev_b32_e32 v56, 16, v41
	v_bfrev_b32_e32 v57, 60
	v_lshlrev_b32_e32 v51, 20, v51
	v_and_b32_e32 v56, 0x80000000, v56
	v_lshl_add_u32 v38, v38, 23, v57
	v_or3_b32 v56, v56, v38, v51
.LBB594_189:
	s_or_b64 exec, exec, s[10:11]
.LBB594_190:
	s_or_b64 exec, exec, s[8:9]
.LBB594_191:
	s_or_b64 exec, exec, s[2:3]
	s_movk_i32 s2, 0xff
	v_and_b32_sdwa v51, v41, s2 dst_sel:DWORD dst_unused:UNUSED_PAD src0_sel:WORD_1 src1_sel:DWORD
	v_lshrrev_b32_e32 v38, 16, v41
	v_cmp_ne_u16_e32 vcc, 0, v51
	s_and_saveexec_b64 s[2:3], vcc
	s_cbranch_execz .LBB594_197
; %bb.192:
	s_movk_i32 s8, 0x80
	v_cmp_ne_u16_e32 vcc, s8, v51
	v_bfrev_b32_e32 v40, 1
	s_and_saveexec_b64 s[8:9], vcc
	s_cbranch_execz .LBB594_196
; %bb.193:
	v_bfe_u32 v51, v41, 16, 7
	s_movk_i32 s10, 0x7f
	v_cmp_ne_u32_e32 vcc, s10, v51
	v_mov_b32_e32 v40, 0x7f800001
	s_and_saveexec_b64 s[10:11], vcc
	s_cbranch_execz .LBB594_195
; %bb.194:
	v_and_b32_e32 v40, 7, v38
	v_ffbh_u32_e32 v58, v40
	v_min_u32_e32 v60, 32, v58
	v_subrev_u32_e32 v58, 28, v60
	v_lshlrev_b64 v[58:59], v58, v[38:39]
	v_lshrrev_b32_e32 v57, 3, v51
	v_sub_u32_e32 v38, 29, v60
	v_and_b32_e32 v58, 7, v58
	v_cmp_gt_u32_e32 vcc, 8, v51
	v_mov_b32_e32 v51, 24
	v_cndmask_b32_e32 v38, v57, v38, vcc
	v_cndmask_b32_e32 v40, v40, v58, vcc
	v_lshlrev_b32_sdwa v51, v51, v41 dst_sel:DWORD dst_unused:UNUSED_PAD src0_sel:DWORD src1_sel:WORD_1
	v_bfrev_b32_e32 v57, 60
	v_lshlrev_b32_e32 v40, 20, v40
	v_and_b32_e32 v51, 0x80000000, v51
	v_lshl_add_u32 v38, v38, 23, v57
	v_or3_b32 v40, v51, v38, v40
.LBB594_195:
	s_or_b64 exec, exec, s[10:11]
.LBB594_196:
	s_or_b64 exec, exec, s[8:9]
.LBB594_197:
	s_or_b64 exec, exec, s[2:3]
	s_mov_b32 s2, 0xffffff
	v_cmp_lt_u32_e32 vcc, s2, v41
	v_mov_b32_e32 v51, 0
	v_mov_b32_e32 v57, 0
	s_and_saveexec_b64 s[2:3], vcc
	s_cbranch_execz .LBB594_203
; %bb.198:
	v_lshrrev_b32_e32 v38, 24, v41
	s_movk_i32 s8, 0x80
	v_cmp_ne_u32_e32 vcc, s8, v38
	v_bfrev_b32_e32 v57, 1
	s_and_saveexec_b64 s[8:9], vcc
	s_cbranch_execz .LBB594_202
; %bb.199:
	v_bfe_u32 v41, v41, 24, 7
	s_movk_i32 s10, 0x7f
	v_cmp_ne_u32_e32 vcc, s10, v41
	v_mov_b32_e32 v57, 0x7f800001
	s_and_saveexec_b64 s[10:11], vcc
	s_cbranch_execz .LBB594_201
; %bb.200:
	v_and_b32_e32 v57, 7, v38
	v_ffbh_u32_e32 v58, v57
	v_min_u32_e32 v61, 32, v58
	v_subrev_u32_e32 v58, 28, v61
	v_lshlrev_b64 v[58:59], v58, v[38:39]
	v_lshrrev_b32_e32 v60, 3, v41
	v_sub_u32_e32 v59, 29, v61
	v_and_b32_e32 v58, 7, v58
	v_cmp_gt_u32_e32 vcc, 8, v41
	v_cndmask_b32_e32 v41, v60, v59, vcc
	v_cndmask_b32_e32 v57, v57, v58, vcc
	v_lshlrev_b32_e32 v38, 24, v38
	v_bfrev_b32_e32 v58, 60
	v_lshlrev_b32_e32 v57, 20, v57
	v_and_b32_e32 v38, 0x80000000, v38
	v_lshl_add_u32 v41, v41, 23, v58
	v_or3_b32 v57, v38, v41, v57
.LBB594_201:
	s_or_b64 exec, exec, s[10:11]
.LBB594_202:
	s_or_b64 exec, exec, s[8:9]
.LBB594_203:
	s_or_b64 exec, exec, s[2:3]
	v_cvt_pkrtz_f16_f32 v38, v52, v53
	v_cvt_pkrtz_f16_f32 v39, v39, v55
	s_waitcnt vmcnt(5)
	v_cmp_ne_u16_sdwa s[8:9], v34, v51 src0_sel:BYTE_0 src1_sel:DWORD
	v_mfma_f32_16x16x16f16 v[42:45], v[38:39], v[18:19], v[42:45]
	v_cvt_pkrtz_f16_f32 v38, v54, v56
	v_cvt_pkrtz_f16_f32 v39, v40, v57
	s_nop 1
	v_mfma_f32_16x16x16f16 v[38:41], v[38:39], v[20:21], v[42:45]
	s_and_saveexec_b64 s[2:3], s[8:9]
	s_cbranch_execz .LBB594_209
; %bb.204:
	s_movk_i32 s8, 0x80
	v_cmp_ne_u16_sdwa s[10:11], v34, s8 src0_sel:BYTE_0 src1_sel:DWORD
	v_bfrev_b32_e32 v51, 1
	s_and_saveexec_b64 s[8:9], s[10:11]
	s_cbranch_execz .LBB594_208
; %bb.205:
	s_movk_i32 s10, 0x7f
	v_and_b32_e32 v42, 0x7f, v34
	v_cmp_ne_u32_e32 vcc, s10, v42
	v_mov_b32_e32 v51, 0x7f800001
	s_and_saveexec_b64 s[10:11], vcc
	s_cbranch_execz .LBB594_207
; %bb.206:
	v_and_b32_e32 v43, 7, v34
	v_ffbh_u32_e32 v44, v43
	v_min_u32_e32 v52, 32, v44
	v_subrev_u32_e32 v44, 28, v52
	v_lshlrev_b64 v[44:45], v44, v[34:35]
	v_lshrrev_b32_e32 v51, 3, v42
	v_sub_u32_e32 v45, 29, v52
	v_and_b32_e32 v44, 7, v44
	v_cmp_gt_u32_e32 vcc, 8, v42
	v_cndmask_b32_e32 v42, v51, v45, vcc
	v_cndmask_b32_e32 v43, v43, v44, vcc
	v_lshlrev_b32_e32 v44, 24, v34
	v_bfrev_b32_e32 v45, 60
	v_lshlrev_b32_e32 v43, 20, v43
	v_and_b32_e32 v44, 0x80000000, v44
	v_lshl_add_u32 v42, v42, 23, v45
	v_or3_b32 v51, v44, v42, v43
.LBB594_207:
	s_or_b64 exec, exec, s[10:11]
.LBB594_208:
	s_or_b64 exec, exec, s[8:9]
.LBB594_209:
	s_or_b64 exec, exec, s[2:3]
	s_nop 3
	v_lshrrev_b16_e32 v42, 8, v34
	v_cmp_ne_u16_e32 vcc, 0, v42
	v_mov_b32_e32 v43, 0
	v_mov_b32_e32 v44, 0
	s_and_saveexec_b64 s[2:3], vcc
	s_cbranch_execz .LBB594_215
; %bb.210:
	s_movk_i32 s8, 0x80
	v_cmp_ne_u16_e32 vcc, s8, v42
	v_bfrev_b32_e32 v44, 1
	s_and_saveexec_b64 s[8:9], vcc
	s_cbranch_execz .LBB594_214
; %bb.211:
	s_movk_i32 s10, 0x7f
	v_and_b32_e32 v45, 0x7f, v42
	v_cmp_ne_u32_e32 vcc, s10, v45
	v_mov_b32_e32 v44, 0x7f800001
	s_and_saveexec_b64 s[10:11], vcc
	s_cbranch_execz .LBB594_213
; %bb.212:
	v_and_b32_e32 v44, 7, v42
	v_ffbh_u32_e32 v52, v44
	v_min_u32_e32 v55, 32, v52
	v_subrev_u32_e32 v52, 28, v55
	v_lshlrev_b64 v[52:53], v52, v[42:43]
	v_lshrrev_b32_e32 v54, 3, v45
	v_sub_u32_e32 v42, 29, v55
	v_and_b32_e32 v52, 7, v52
	v_cmp_gt_u32_e32 vcc, 8, v45
	v_cndmask_b32_e32 v42, v54, v42, vcc
	v_cndmask_b32_e32 v44, v44, v52, vcc
	v_lshlrev_b32_e32 v45, 16, v34
	v_bfrev_b32_e32 v52, 60
	v_lshlrev_b32_e32 v44, 20, v44
	v_and_b32_e32 v45, 0x80000000, v45
	v_lshl_add_u32 v42, v42, 23, v52
	v_or3_b32 v44, v45, v42, v44
.LBB594_213:
	s_or_b64 exec, exec, s[10:11]
.LBB594_214:
	s_or_b64 exec, exec, s[8:9]
.LBB594_215:
	s_or_b64 exec, exec, s[2:3]
	s_movk_i32 s2, 0xff
	v_and_b32_sdwa v45, v34, s2 dst_sel:DWORD dst_unused:UNUSED_PAD src0_sel:WORD_1 src1_sel:DWORD
	v_lshrrev_b32_e32 v42, 16, v34
	v_cmp_ne_u16_e32 vcc, 0, v45
	s_and_saveexec_b64 s[2:3], vcc
	s_cbranch_execz .LBB594_221
; %bb.216:
	s_movk_i32 s8, 0x80
	v_cmp_ne_u16_e32 vcc, s8, v45
	v_bfrev_b32_e32 v43, 1
	s_and_saveexec_b64 s[8:9], vcc
	s_cbranch_execz .LBB594_220
; %bb.217:
	v_bfe_u32 v45, v34, 16, 7
	s_movk_i32 s10, 0x7f
	v_cmp_ne_u32_e32 vcc, s10, v45
	v_mov_b32_e32 v43, 0x7f800001
	s_and_saveexec_b64 s[10:11], vcc
	s_cbranch_execz .LBB594_219
; %bb.218:
	v_and_b32_e32 v52, 7, v42
	v_ffbh_u32_e32 v43, v52
	v_min_u32_e32 v54, 32, v43
	v_subrev_u32_e32 v43, 28, v54
	v_lshlrev_b64 v[42:43], v43, v[42:43]
	v_lshrrev_b32_e32 v53, 3, v45
	v_sub_u32_e32 v43, 29, v54
	v_and_b32_e32 v42, 7, v42
	v_cmp_gt_u32_e32 vcc, 8, v45
	v_mov_b32_e32 v45, 24
	v_cndmask_b32_e32 v43, v53, v43, vcc
	v_cndmask_b32_e32 v42, v52, v42, vcc
	v_lshlrev_b32_sdwa v45, v45, v34 dst_sel:DWORD dst_unused:UNUSED_PAD src0_sel:DWORD src1_sel:WORD_1
	v_bfrev_b32_e32 v52, 60
	v_lshlrev_b32_e32 v42, 20, v42
	v_and_b32_e32 v45, 0x80000000, v45
	v_lshl_add_u32 v43, v43, 23, v52
	v_or3_b32 v43, v45, v43, v42
.LBB594_219:
	s_or_b64 exec, exec, s[10:11]
.LBB594_220:
	s_or_b64 exec, exec, s[8:9]
.LBB594_221:
	s_or_b64 exec, exec, s[2:3]
	s_mov_b32 s2, 0xffffff
	v_cmp_lt_u32_e32 vcc, s2, v34
	v_mov_b32_e32 v45, 0
	v_mov_b32_e32 v53, 0
	s_and_saveexec_b64 s[2:3], vcc
	s_cbranch_execz .LBB594_227
; %bb.222:
	v_lshrrev_b32_e32 v42, 24, v34
	s_movk_i32 s8, 0x80
	v_cmp_ne_u32_e32 vcc, s8, v42
	v_bfrev_b32_e32 v53, 1
	s_and_saveexec_b64 s[8:9], vcc
	s_cbranch_execz .LBB594_226
; %bb.223:
	v_bfe_u32 v34, v34, 24, 7
	s_movk_i32 s10, 0x7f
	v_cmp_ne_u32_e32 vcc, s10, v34
	v_mov_b32_e32 v53, 0x7f800001
	s_and_saveexec_b64 s[10:11], vcc
	s_cbranch_execz .LBB594_225
; %bb.224:
	v_and_b32_e32 v54, 7, v42
	v_ffbh_u32_e32 v52, v54
	v_min_u32_e32 v56, 32, v52
	v_subrev_u32_e32 v52, 28, v56
	v_lshlrev_b64 v[52:53], v52, v[42:43]
	v_lshrrev_b32_e32 v55, 3, v34
	v_sub_u32_e32 v53, 29, v56
	v_and_b32_e32 v52, 7, v52
	v_cmp_gt_u32_e32 vcc, 8, v34
	v_cndmask_b32_e32 v34, v55, v53, vcc
	v_cndmask_b32_e32 v52, v54, v52, vcc
	v_lshlrev_b32_e32 v42, 24, v42
	v_bfrev_b32_e32 v53, 60
	v_lshlrev_b32_e32 v52, 20, v52
	v_and_b32_e32 v42, 0x80000000, v42
	v_lshl_add_u32 v34, v34, 23, v53
	v_or3_b32 v53, v42, v34, v52
.LBB594_225:
	s_or_b64 exec, exec, s[10:11]
.LBB594_226:
	s_or_b64 exec, exec, s[8:9]
.LBB594_227:
	s_or_b64 exec, exec, s[2:3]
	v_cmp_ne_u16_sdwa s[8:9], v35, v45 src0_sel:BYTE_0 src1_sel:DWORD
	s_and_saveexec_b64 s[2:3], s[8:9]
	s_cbranch_execz .LBB594_233
; %bb.228:
	s_movk_i32 s8, 0x80
	v_cmp_ne_u16_sdwa s[10:11], v35, s8 src0_sel:BYTE_0 src1_sel:DWORD
	v_bfrev_b32_e32 v45, 1
	s_and_saveexec_b64 s[8:9], s[10:11]
	s_cbranch_execz .LBB594_232
; %bb.229:
	s_movk_i32 s10, 0x7f
	v_and_b32_e32 v34, 0x7f, v35
	v_cmp_ne_u32_e32 vcc, s10, v34
	v_mov_b32_e32 v45, 0x7f800001
	s_and_saveexec_b64 s[10:11], vcc
	s_cbranch_execz .LBB594_231
; %bb.230:
	v_and_b32_e32 v45, 7, v35
	v_ffbh_u32_e32 v54, v45
	v_min_u32_e32 v56, 32, v54
	v_mov_b32_e32 v42, v35
	v_subrev_u32_e32 v54, 28, v56
	v_lshlrev_b64 v[54:55], v54, v[42:43]
	v_lshrrev_b32_e32 v52, 3, v34
	v_sub_u32_e32 v42, 29, v56
	v_and_b32_e32 v54, 7, v54
	v_cmp_gt_u32_e32 vcc, 8, v34
	v_cndmask_b32_e32 v34, v52, v42, vcc
	v_cndmask_b32_e32 v42, v45, v54, vcc
	v_lshlrev_b32_e32 v45, 24, v35
	v_bfrev_b32_e32 v52, 60
	v_lshlrev_b32_e32 v42, 20, v42
	v_and_b32_e32 v45, 0x80000000, v45
	v_lshl_add_u32 v34, v34, 23, v52
	v_or3_b32 v45, v45, v34, v42
.LBB594_231:
	s_or_b64 exec, exec, s[10:11]
.LBB594_232:
	s_or_b64 exec, exec, s[8:9]
.LBB594_233:
	s_or_b64 exec, exec, s[2:3]
	v_lshrrev_b16_e32 v34, 8, v35
	v_cmp_ne_u16_e32 vcc, 0, v34
	v_mov_b32_e32 v42, 0
	v_mov_b32_e32 v54, 0
	s_and_saveexec_b64 s[2:3], vcc
	s_cbranch_execz .LBB594_239
; %bb.234:
	s_movk_i32 s8, 0x80
	v_cmp_ne_u16_e32 vcc, s8, v34
	v_bfrev_b32_e32 v54, 1
	s_and_saveexec_b64 s[8:9], vcc
	s_cbranch_execz .LBB594_238
; %bb.235:
	s_movk_i32 s10, 0x7f
	v_and_b32_e32 v52, 0x7f, v34
	v_cmp_ne_u32_e32 vcc, s10, v52
	v_mov_b32_e32 v54, 0x7f800001
	s_and_saveexec_b64 s[10:11], vcc
	s_cbranch_execz .LBB594_237
; %bb.236:
	v_and_b32_e32 v56, 7, v34
	v_ffbh_u32_e32 v54, v56
	v_min_u32_e32 v58, 32, v54
	v_subrev_u32_e32 v54, 28, v58
	v_lshlrev_b64 v[54:55], v54, v[34:35]
	v_lshrrev_b32_e32 v57, 3, v52
	v_sub_u32_e32 v34, 29, v58
	v_and_b32_e32 v54, 7, v54
	v_cmp_gt_u32_e32 vcc, 8, v52
	v_cndmask_b32_e32 v34, v57, v34, vcc
	v_cndmask_b32_e32 v52, v56, v54, vcc
	v_lshlrev_b32_e32 v54, 16, v35
	v_bfrev_b32_e32 v55, 60
	v_lshlrev_b32_e32 v52, 20, v52
	v_and_b32_e32 v54, 0x80000000, v54
	v_lshl_add_u32 v34, v34, 23, v55
	v_or3_b32 v54, v54, v34, v52
.LBB594_237:
	s_or_b64 exec, exec, s[10:11]
.LBB594_238:
	s_or_b64 exec, exec, s[8:9]
.LBB594_239:
	s_or_b64 exec, exec, s[2:3]
	s_movk_i32 s2, 0xff
	v_and_b32_sdwa v52, v35, s2 dst_sel:DWORD dst_unused:UNUSED_PAD src0_sel:WORD_1 src1_sel:DWORD
	v_lshrrev_b32_e32 v34, 16, v35
	v_cmp_ne_u16_e32 vcc, 0, v52
	s_and_saveexec_b64 s[2:3], vcc
	s_cbranch_execz .LBB594_245
; %bb.240:
	s_movk_i32 s8, 0x80
	v_cmp_ne_u16_e32 vcc, s8, v52
	v_bfrev_b32_e32 v42, 1
	s_and_saveexec_b64 s[8:9], vcc
	s_cbranch_execz .LBB594_244
; %bb.241:
	v_bfe_u32 v52, v35, 16, 7
	s_movk_i32 s10, 0x7f
	v_cmp_ne_u32_e32 vcc, s10, v52
	v_mov_b32_e32 v42, 0x7f800001
	s_and_saveexec_b64 s[10:11], vcc
	s_cbranch_execz .LBB594_243
; %bb.242:
	v_and_b32_e32 v42, 7, v34
	v_ffbh_u32_e32 v56, v42
	v_min_u32_e32 v58, 32, v56
	v_subrev_u32_e32 v56, 28, v58
	v_lshlrev_b64 v[56:57], v56, v[34:35]
	v_lshrrev_b32_e32 v55, 3, v52
	v_sub_u32_e32 v34, 29, v58
	v_and_b32_e32 v56, 7, v56
	v_cmp_gt_u32_e32 vcc, 8, v52
	v_mov_b32_e32 v52, 24
	v_cndmask_b32_e32 v34, v55, v34, vcc
	v_cndmask_b32_e32 v42, v42, v56, vcc
	v_lshlrev_b32_sdwa v52, v52, v35 dst_sel:DWORD dst_unused:UNUSED_PAD src0_sel:DWORD src1_sel:WORD_1
	v_bfrev_b32_e32 v55, 60
	v_lshlrev_b32_e32 v42, 20, v42
	v_and_b32_e32 v52, 0x80000000, v52
	v_lshl_add_u32 v34, v34, 23, v55
	v_or3_b32 v42, v52, v34, v42
.LBB594_243:
	s_or_b64 exec, exec, s[10:11]
.LBB594_244:
	s_or_b64 exec, exec, s[8:9]
.LBB594_245:
	s_or_b64 exec, exec, s[2:3]
	s_mov_b32 s2, 0xffffff
	v_cmp_lt_u32_e32 vcc, s2, v35
	v_mov_b32_e32 v52, 0
	v_mov_b32_e32 v55, 0
	s_and_saveexec_b64 s[2:3], vcc
	s_cbranch_execz .LBB594_251
; %bb.246:
	v_lshrrev_b32_e32 v34, 24, v35
	s_movk_i32 s8, 0x80
	v_cmp_ne_u32_e32 vcc, s8, v34
	v_bfrev_b32_e32 v55, 1
	s_and_saveexec_b64 s[8:9], vcc
	s_cbranch_execz .LBB594_250
; %bb.247:
	v_bfe_u32 v35, v35, 24, 7
	s_movk_i32 s10, 0x7f
	v_cmp_ne_u32_e32 vcc, s10, v35
	v_mov_b32_e32 v55, 0x7f800001
	s_and_saveexec_b64 s[10:11], vcc
	s_cbranch_execz .LBB594_249
; %bb.248:
	v_and_b32_e32 v55, 7, v34
	v_ffbh_u32_e32 v56, v55
	v_min_u32_e32 v59, 32, v56
	v_subrev_u32_e32 v56, 28, v59
	v_lshlrev_b64 v[56:57], v56, v[34:35]
	v_lshrrev_b32_e32 v58, 3, v35
	v_sub_u32_e32 v57, 29, v59
	v_and_b32_e32 v56, 7, v56
	v_cmp_gt_u32_e32 vcc, 8, v35
	v_cndmask_b32_e32 v35, v58, v57, vcc
	v_cndmask_b32_e32 v55, v55, v56, vcc
	v_lshlrev_b32_e32 v34, 24, v34
	v_bfrev_b32_e32 v56, 60
	v_lshlrev_b32_e32 v55, 20, v55
	v_and_b32_e32 v34, 0x80000000, v34
	v_lshl_add_u32 v35, v35, 23, v56
	v_or3_b32 v55, v34, v35, v55
.LBB594_249:
	s_or_b64 exec, exec, s[10:11]
.LBB594_250:
	s_or_b64 exec, exec, s[8:9]
.LBB594_251:
	s_or_b64 exec, exec, s[2:3]
	v_cvt_pkrtz_f16_f32 v34, v51, v44
	v_cvt_pkrtz_f16_f32 v35, v43, v53
	v_cmp_ne_u16_sdwa s[8:9], v36, v52 src0_sel:BYTE_0 src1_sel:DWORD
	s_nop 0
	v_mfma_f32_16x16x16f16 v[56:59], v[34:35], v[26:27], 0
	v_cvt_pkrtz_f16_f32 v34, v45, v54
	v_cvt_pkrtz_f16_f32 v35, v42, v55
	s_nop 1
	v_mfma_f32_16x16x16f16 v[42:45], v[34:35], v[28:29], v[56:59]
	s_and_saveexec_b64 s[2:3], s[8:9]
	s_cbranch_execz .LBB594_257
; %bb.252:
	s_movk_i32 s8, 0x80
	v_cmp_ne_u16_sdwa s[10:11], v36, s8 src0_sel:BYTE_0 src1_sel:DWORD
	v_bfrev_b32_e32 v52, 1
	s_and_saveexec_b64 s[8:9], s[10:11]
	s_cbranch_execz .LBB594_256
; %bb.253:
	s_movk_i32 s10, 0x7f
	v_and_b32_e32 v34, 0x7f, v36
	v_cmp_ne_u32_e32 vcc, s10, v34
	v_mov_b32_e32 v52, 0x7f800001
	s_and_saveexec_b64 s[10:11], vcc
	s_cbranch_execz .LBB594_255
; %bb.254:
	v_and_b32_e32 v35, 7, v36
	v_ffbh_u32_e32 v52, v35
	v_min_u32_e32 v54, 32, v52
	v_subrev_u32_e32 v52, 28, v54
	v_lshlrev_b64 v[52:53], v52, v[36:37]
	v_lshrrev_b32_e32 v51, 3, v34
	v_sub_u32_e32 v53, 29, v54
	v_and_b32_e32 v52, 7, v52
	v_cmp_gt_u32_e32 vcc, 8, v34
	v_cndmask_b32_e32 v34, v51, v53, vcc
	v_cndmask_b32_e32 v35, v35, v52, vcc
	v_lshlrev_b32_e32 v51, 24, v36
	v_bfrev_b32_e32 v52, 60
	v_lshlrev_b32_e32 v35, 20, v35
	v_and_b32_e32 v51, 0x80000000, v51
	v_lshl_add_u32 v34, v34, 23, v52
	v_or3_b32 v52, v51, v34, v35
.LBB594_255:
	s_or_b64 exec, exec, s[10:11]
.LBB594_256:
	s_or_b64 exec, exec, s[8:9]
.LBB594_257:
	s_or_b64 exec, exec, s[2:3]
	v_lshrrev_b16_e32 v34, 8, v36
	v_cmp_ne_u16_e32 vcc, 0, v34
	v_mov_b32_e32 v35, 0
	v_mov_b32_e32 v53, 0
	s_and_saveexec_b64 s[2:3], vcc
	s_cbranch_execz .LBB594_263
; %bb.258:
	s_movk_i32 s8, 0x80
	v_cmp_ne_u16_e32 vcc, s8, v34
	v_bfrev_b32_e32 v53, 1
	s_and_saveexec_b64 s[8:9], vcc
	s_cbranch_execz .LBB594_262
; %bb.259:
	s_movk_i32 s10, 0x7f
	v_and_b32_e32 v51, 0x7f, v34
	v_cmp_ne_u32_e32 vcc, s10, v51
	v_mov_b32_e32 v53, 0x7f800001
	s_and_saveexec_b64 s[10:11], vcc
	s_cbranch_execz .LBB594_261
; %bb.260:
	v_and_b32_e32 v53, 7, v34
	v_ffbh_u32_e32 v54, v53
	v_min_u32_e32 v57, 32, v54
	v_subrev_u32_e32 v54, 28, v57
	v_lshlrev_b64 v[54:55], v54, v[34:35]
	v_lshrrev_b32_e32 v56, 3, v51
	v_sub_u32_e32 v34, 29, v57
	v_and_b32_e32 v54, 7, v54
	v_cmp_gt_u32_e32 vcc, 8, v51
	v_cndmask_b32_e32 v34, v56, v34, vcc
	v_cndmask_b32_e32 v51, v53, v54, vcc
	v_lshlrev_b32_e32 v53, 16, v36
	v_bfrev_b32_e32 v54, 60
	v_lshlrev_b32_e32 v51, 20, v51
	v_and_b32_e32 v53, 0x80000000, v53
	v_lshl_add_u32 v34, v34, 23, v54
	v_or3_b32 v53, v53, v34, v51
.LBB594_261:
	s_or_b64 exec, exec, s[10:11]
.LBB594_262:
	s_or_b64 exec, exec, s[8:9]
.LBB594_263:
	s_or_b64 exec, exec, s[2:3]
	s_movk_i32 s2, 0xff
	v_and_b32_sdwa v51, v36, s2 dst_sel:DWORD dst_unused:UNUSED_PAD src0_sel:WORD_1 src1_sel:DWORD
	v_lshrrev_b32_e32 v34, 16, v36
	v_cmp_ne_u16_e32 vcc, 0, v51
	s_and_saveexec_b64 s[2:3], vcc
	s_cbranch_execz .LBB594_269
; %bb.264:
	s_movk_i32 s8, 0x80
	v_cmp_ne_u16_e32 vcc, s8, v51
	v_bfrev_b32_e32 v35, 1
	s_and_saveexec_b64 s[8:9], vcc
	s_cbranch_execz .LBB594_268
; %bb.265:
	v_bfe_u32 v51, v36, 16, 7
	s_movk_i32 s10, 0x7f
	v_cmp_ne_u32_e32 vcc, s10, v51
	v_mov_b32_e32 v35, 0x7f800001
	s_and_saveexec_b64 s[10:11], vcc
	s_cbranch_execz .LBB594_267
; %bb.266:
	v_and_b32_e32 v54, 7, v34
	v_ffbh_u32_e32 v35, v54
	v_min_u32_e32 v56, 32, v35
	v_subrev_u32_e32 v35, 28, v56
	v_lshlrev_b64 v[34:35], v35, v[34:35]
	v_lshrrev_b32_e32 v55, 3, v51
	v_sub_u32_e32 v35, 29, v56
	v_and_b32_e32 v34, 7, v34
	v_cmp_gt_u32_e32 vcc, 8, v51
	v_mov_b32_e32 v51, 24
	v_cndmask_b32_e32 v35, v55, v35, vcc
	v_cndmask_b32_e32 v34, v54, v34, vcc
	v_lshlrev_b32_sdwa v51, v51, v36 dst_sel:DWORD dst_unused:UNUSED_PAD src0_sel:DWORD src1_sel:WORD_1
	v_bfrev_b32_e32 v54, 60
	v_lshlrev_b32_e32 v34, 20, v34
	v_and_b32_e32 v51, 0x80000000, v51
	v_lshl_add_u32 v35, v35, 23, v54
	v_or3_b32 v35, v51, v35, v34
.LBB594_267:
	s_or_b64 exec, exec, s[10:11]
.LBB594_268:
	s_or_b64 exec, exec, s[8:9]
.LBB594_269:
	s_or_b64 exec, exec, s[2:3]
	s_mov_b32 s2, 0xffffff
	v_cmp_lt_u32_e32 vcc, s2, v36
	v_mov_b32_e32 v54, 0
	v_mov_b32_e32 v55, 0
	s_and_saveexec_b64 s[2:3], vcc
	s_cbranch_execz .LBB594_275
; %bb.270:
	v_lshrrev_b32_e32 v34, 24, v36
	s_movk_i32 s8, 0x80
	v_cmp_ne_u32_e32 vcc, s8, v34
	v_bfrev_b32_e32 v55, 1
	s_and_saveexec_b64 s[8:9], vcc
	s_cbranch_execz .LBB594_274
; %bb.271:
	v_bfe_u32 v36, v36, 24, 7
	s_movk_i32 s10, 0x7f
	v_cmp_ne_u32_e32 vcc, s10, v36
	v_mov_b32_e32 v55, 0x7f800001
	s_and_saveexec_b64 s[10:11], vcc
	s_cbranch_execz .LBB594_273
; %bb.272:
	v_and_b32_e32 v51, 7, v34
	v_ffbh_u32_e32 v56, v51
	v_min_u32_e32 v58, 32, v56
	v_subrev_u32_e32 v56, 28, v58
	v_lshlrev_b64 v[56:57], v56, v[34:35]
	v_lshrrev_b32_e32 v55, 3, v36
	v_sub_u32_e32 v57, 29, v58
	v_and_b32_e32 v56, 7, v56
	v_cmp_gt_u32_e32 vcc, 8, v36
	v_cndmask_b32_e32 v36, v55, v57, vcc
	v_cndmask_b32_e32 v51, v51, v56, vcc
	v_lshlrev_b32_e32 v34, 24, v34
	v_bfrev_b32_e32 v55, 60
	v_lshlrev_b32_e32 v51, 20, v51
	v_and_b32_e32 v34, 0x80000000, v34
	v_lshl_add_u32 v36, v36, 23, v55
	v_or3_b32 v55, v34, v36, v51
.LBB594_273:
	s_or_b64 exec, exec, s[10:11]
.LBB594_274:
	s_or_b64 exec, exec, s[8:9]
.LBB594_275:
	s_or_b64 exec, exec, s[2:3]
	v_cmp_ne_u16_sdwa s[8:9], v37, v54 src0_sel:BYTE_0 src1_sel:DWORD
	s_and_saveexec_b64 s[2:3], s[8:9]
	s_cbranch_execz .LBB594_281
; %bb.276:
	s_movk_i32 s8, 0x80
	v_cmp_ne_u16_sdwa s[10:11], v37, s8 src0_sel:BYTE_0 src1_sel:DWORD
	v_bfrev_b32_e32 v54, 1
	s_and_saveexec_b64 s[8:9], s[10:11]
	s_cbranch_execz .LBB594_280
; %bb.277:
	s_movk_i32 s10, 0x7f
	v_and_b32_e32 v34, 0x7f, v37
	v_cmp_ne_u32_e32 vcc, s10, v34
	v_mov_b32_e32 v54, 0x7f800001
	s_and_saveexec_b64 s[10:11], vcc
	s_cbranch_execz .LBB594_279
; %bb.278:
	v_and_b32_e32 v51, 7, v37
	v_ffbh_u32_e32 v56, v51
	v_min_u32_e32 v58, 32, v56
	v_mov_b32_e32 v36, v37
	v_subrev_u32_e32 v56, 28, v58
	v_lshlrev_b64 v[56:57], v56, v[36:37]
	v_lshrrev_b32_e32 v54, 3, v34
	v_sub_u32_e32 v36, 29, v58
	v_and_b32_e32 v56, 7, v56
	v_cmp_gt_u32_e32 vcc, 8, v34
	v_cndmask_b32_e32 v34, v54, v36, vcc
	v_cndmask_b32_e32 v36, v51, v56, vcc
	v_lshlrev_b32_e32 v51, 24, v37
	v_bfrev_b32_e32 v54, 60
	v_lshlrev_b32_e32 v36, 20, v36
	v_and_b32_e32 v51, 0x80000000, v51
	v_lshl_add_u32 v34, v34, 23, v54
	v_or3_b32 v54, v51, v34, v36
.LBB594_279:
	s_or_b64 exec, exec, s[10:11]
.LBB594_280:
	s_or_b64 exec, exec, s[8:9]
.LBB594_281:
	s_or_b64 exec, exec, s[2:3]
	v_lshrrev_b16_e32 v34, 8, v37
	v_cmp_ne_u16_e32 vcc, 0, v34
	v_mov_b32_e32 v36, 0
	v_mov_b32_e32 v56, 0
	s_and_saveexec_b64 s[2:3], vcc
	s_cbranch_execz .LBB594_287
; %bb.282:
	s_movk_i32 s8, 0x80
	v_cmp_ne_u16_e32 vcc, s8, v34
	v_bfrev_b32_e32 v56, 1
	s_and_saveexec_b64 s[8:9], vcc
	s_cbranch_execz .LBB594_286
; %bb.283:
	s_movk_i32 s10, 0x7f
	v_and_b32_e32 v51, 0x7f, v34
	v_cmp_ne_u32_e32 vcc, s10, v51
	v_mov_b32_e32 v56, 0x7f800001
	s_and_saveexec_b64 s[10:11], vcc
	s_cbranch_execz .LBB594_285
; %bb.284:
	v_and_b32_e32 v58, 7, v34
	v_ffbh_u32_e32 v56, v58
	v_min_u32_e32 v60, 32, v56
	v_subrev_u32_e32 v56, 28, v60
	v_lshlrev_b64 v[56:57], v56, v[34:35]
	v_lshrrev_b32_e32 v59, 3, v51
	v_sub_u32_e32 v34, 29, v60
	v_and_b32_e32 v56, 7, v56
	v_cmp_gt_u32_e32 vcc, 8, v51
	v_cndmask_b32_e32 v34, v59, v34, vcc
	v_cndmask_b32_e32 v51, v58, v56, vcc
	v_lshlrev_b32_e32 v56, 16, v37
	v_bfrev_b32_e32 v57, 60
	v_lshlrev_b32_e32 v51, 20, v51
	v_and_b32_e32 v56, 0x80000000, v56
	v_lshl_add_u32 v34, v34, 23, v57
	v_or3_b32 v56, v56, v34, v51
.LBB594_285:
	s_or_b64 exec, exec, s[10:11]
.LBB594_286:
	s_or_b64 exec, exec, s[8:9]
.LBB594_287:
	s_or_b64 exec, exec, s[2:3]
	s_movk_i32 s2, 0xff
	v_and_b32_sdwa v51, v37, s2 dst_sel:DWORD dst_unused:UNUSED_PAD src0_sel:WORD_1 src1_sel:DWORD
	v_lshrrev_b32_e32 v34, 16, v37
	v_cmp_ne_u16_e32 vcc, 0, v51
	s_and_saveexec_b64 s[2:3], vcc
	s_cbranch_execz .LBB594_293
; %bb.288:
	s_movk_i32 s8, 0x80
	v_cmp_ne_u16_e32 vcc, s8, v51
	v_bfrev_b32_e32 v36, 1
	s_and_saveexec_b64 s[8:9], vcc
	s_cbranch_execz .LBB594_292
; %bb.289:
	v_bfe_u32 v51, v37, 16, 7
	s_movk_i32 s10, 0x7f
	v_cmp_ne_u32_e32 vcc, s10, v51
	v_mov_b32_e32 v36, 0x7f800001
	s_and_saveexec_b64 s[10:11], vcc
	s_cbranch_execz .LBB594_291
; %bb.290:
	v_and_b32_e32 v36, 7, v34
	v_ffbh_u32_e32 v58, v36
	v_min_u32_e32 v60, 32, v58
	v_subrev_u32_e32 v58, 28, v60
	v_lshlrev_b64 v[58:59], v58, v[34:35]
	v_lshrrev_b32_e32 v57, 3, v51
	v_sub_u32_e32 v34, 29, v60
	v_and_b32_e32 v58, 7, v58
	v_cmp_gt_u32_e32 vcc, 8, v51
	v_mov_b32_e32 v51, 24
	v_cndmask_b32_e32 v34, v57, v34, vcc
	v_cndmask_b32_e32 v36, v36, v58, vcc
	v_lshlrev_b32_sdwa v51, v51, v37 dst_sel:DWORD dst_unused:UNUSED_PAD src0_sel:DWORD src1_sel:WORD_1
	v_bfrev_b32_e32 v57, 60
	v_lshlrev_b32_e32 v36, 20, v36
	v_and_b32_e32 v51, 0x80000000, v51
	v_lshl_add_u32 v34, v34, 23, v57
	v_or3_b32 v36, v51, v34, v36
.LBB594_291:
	s_or_b64 exec, exec, s[10:11]
.LBB594_292:
	s_or_b64 exec, exec, s[8:9]
.LBB594_293:
	s_or_b64 exec, exec, s[2:3]
	s_mov_b32 s2, 0xffffff
	v_cmp_lt_u32_e32 vcc, s2, v37
	v_mov_b32_e32 v51, 0
	v_mov_b32_e32 v57, 0
	s_and_saveexec_b64 s[2:3], vcc
	s_cbranch_execz .LBB594_299
; %bb.294:
	v_lshrrev_b32_e32 v34, 24, v37
	s_movk_i32 s8, 0x80
	v_cmp_ne_u32_e32 vcc, s8, v34
	v_bfrev_b32_e32 v57, 1
	s_and_saveexec_b64 s[8:9], vcc
	s_cbranch_execz .LBB594_298
; %bb.295:
	v_bfe_u32 v37, v37, 24, 7
	s_movk_i32 s10, 0x7f
	v_cmp_ne_u32_e32 vcc, s10, v37
	v_mov_b32_e32 v57, 0x7f800001
	s_and_saveexec_b64 s[10:11], vcc
	s_cbranch_execz .LBB594_297
; %bb.296:
	v_and_b32_e32 v57, 7, v34
	v_ffbh_u32_e32 v58, v57
	v_min_u32_e32 v61, 32, v58
	v_subrev_u32_e32 v58, 28, v61
	v_lshlrev_b64 v[58:59], v58, v[34:35]
	v_lshrrev_b32_e32 v60, 3, v37
	v_sub_u32_e32 v59, 29, v61
	v_and_b32_e32 v58, 7, v58
	v_cmp_gt_u32_e32 vcc, 8, v37
	v_cndmask_b32_e32 v37, v60, v59, vcc
	v_cndmask_b32_e32 v57, v57, v58, vcc
	v_lshlrev_b32_e32 v34, 24, v34
	v_bfrev_b32_e32 v58, 60
	v_lshlrev_b32_e32 v57, 20, v57
	v_and_b32_e32 v34, 0x80000000, v34
	v_lshl_add_u32 v37, v37, 23, v58
	v_or3_b32 v57, v34, v37, v57
.LBB594_297:
	s_or_b64 exec, exec, s[10:11]
.LBB594_298:
	s_or_b64 exec, exec, s[8:9]
.LBB594_299:
	s_or_b64 exec, exec, s[2:3]
	v_cvt_pkrtz_f16_f32 v34, v52, v53
	v_cvt_pkrtz_f16_f32 v35, v35, v55
	s_waitcnt vmcnt(4)
	v_cmp_ne_u16_sdwa s[8:9], v22, v51 src0_sel:BYTE_0 src1_sel:DWORD
	v_mfma_f32_16x16x16f16 v[42:45], v[34:35], v[18:19], v[42:45]
	v_cvt_pkrtz_f16_f32 v34, v54, v56
	v_cvt_pkrtz_f16_f32 v35, v36, v57
	s_nop 1
	v_mfma_f32_16x16x16f16 v[34:37], v[34:35], v[20:21], v[42:45]
	s_and_saveexec_b64 s[2:3], s[8:9]
	s_cbranch_execz .LBB594_305
; %bb.300:
	s_movk_i32 s8, 0x80
	v_cmp_ne_u16_sdwa s[10:11], v22, s8 src0_sel:BYTE_0 src1_sel:DWORD
	v_bfrev_b32_e32 v51, 1
	s_and_saveexec_b64 s[8:9], s[10:11]
	s_cbranch_execz .LBB594_304
; %bb.301:
	s_movk_i32 s10, 0x7f
	v_and_b32_e32 v42, 0x7f, v22
	v_cmp_ne_u32_e32 vcc, s10, v42
	v_mov_b32_e32 v51, 0x7f800001
	s_and_saveexec_b64 s[10:11], vcc
	s_cbranch_execz .LBB594_303
; %bb.302:
	v_and_b32_e32 v43, 7, v22
	v_ffbh_u32_e32 v44, v43
	v_min_u32_e32 v52, 32, v44
	v_subrev_u32_e32 v44, 28, v52
	v_lshlrev_b64 v[44:45], v44, v[22:23]
	v_lshrrev_b32_e32 v51, 3, v42
	v_sub_u32_e32 v45, 29, v52
	v_and_b32_e32 v44, 7, v44
	v_cmp_gt_u32_e32 vcc, 8, v42
	v_cndmask_b32_e32 v42, v51, v45, vcc
	v_cndmask_b32_e32 v43, v43, v44, vcc
	v_lshlrev_b32_e32 v44, 24, v22
	v_bfrev_b32_e32 v45, 60
	v_lshlrev_b32_e32 v43, 20, v43
	v_and_b32_e32 v44, 0x80000000, v44
	v_lshl_add_u32 v42, v42, 23, v45
	v_or3_b32 v51, v44, v42, v43
.LBB594_303:
	s_or_b64 exec, exec, s[10:11]
.LBB594_304:
	s_or_b64 exec, exec, s[8:9]
.LBB594_305:
	s_or_b64 exec, exec, s[2:3]
	s_nop 3
	v_lshrrev_b16_e32 v42, 8, v22
	v_cmp_ne_u16_e32 vcc, 0, v42
	v_mov_b32_e32 v43, 0
	v_mov_b32_e32 v44, 0
	s_and_saveexec_b64 s[2:3], vcc
	s_cbranch_execz .LBB594_311
; %bb.306:
	s_movk_i32 s8, 0x80
	v_cmp_ne_u16_e32 vcc, s8, v42
	v_bfrev_b32_e32 v44, 1
	s_and_saveexec_b64 s[8:9], vcc
	s_cbranch_execz .LBB594_310
; %bb.307:
	s_movk_i32 s10, 0x7f
	v_and_b32_e32 v45, 0x7f, v42
	v_cmp_ne_u32_e32 vcc, s10, v45
	v_mov_b32_e32 v44, 0x7f800001
	s_and_saveexec_b64 s[10:11], vcc
	s_cbranch_execz .LBB594_309
; %bb.308:
	v_and_b32_e32 v44, 7, v42
	v_ffbh_u32_e32 v52, v44
	v_min_u32_e32 v55, 32, v52
	v_subrev_u32_e32 v52, 28, v55
	v_lshlrev_b64 v[52:53], v52, v[42:43]
	v_lshrrev_b32_e32 v54, 3, v45
	v_sub_u32_e32 v42, 29, v55
	v_and_b32_e32 v52, 7, v52
	v_cmp_gt_u32_e32 vcc, 8, v45
	v_cndmask_b32_e32 v42, v54, v42, vcc
	v_cndmask_b32_e32 v44, v44, v52, vcc
	v_lshlrev_b32_e32 v45, 16, v22
	v_bfrev_b32_e32 v52, 60
	v_lshlrev_b32_e32 v44, 20, v44
	v_and_b32_e32 v45, 0x80000000, v45
	v_lshl_add_u32 v42, v42, 23, v52
	v_or3_b32 v44, v45, v42, v44
.LBB594_309:
	s_or_b64 exec, exec, s[10:11]
.LBB594_310:
	s_or_b64 exec, exec, s[8:9]
.LBB594_311:
	s_or_b64 exec, exec, s[2:3]
	s_movk_i32 s2, 0xff
	v_and_b32_sdwa v45, v22, s2 dst_sel:DWORD dst_unused:UNUSED_PAD src0_sel:WORD_1 src1_sel:DWORD
	v_lshrrev_b32_e32 v42, 16, v22
	v_cmp_ne_u16_e32 vcc, 0, v45
	s_and_saveexec_b64 s[2:3], vcc
	s_cbranch_execz .LBB594_317
; %bb.312:
	s_movk_i32 s8, 0x80
	v_cmp_ne_u16_e32 vcc, s8, v45
	v_bfrev_b32_e32 v43, 1
	s_and_saveexec_b64 s[8:9], vcc
	s_cbranch_execz .LBB594_316
; %bb.313:
	v_bfe_u32 v45, v22, 16, 7
	s_movk_i32 s10, 0x7f
	v_cmp_ne_u32_e32 vcc, s10, v45
	v_mov_b32_e32 v43, 0x7f800001
	s_and_saveexec_b64 s[10:11], vcc
	s_cbranch_execz .LBB594_315
; %bb.314:
	v_and_b32_e32 v52, 7, v42
	v_ffbh_u32_e32 v43, v52
	v_min_u32_e32 v54, 32, v43
	v_subrev_u32_e32 v43, 28, v54
	v_lshlrev_b64 v[42:43], v43, v[42:43]
	v_lshrrev_b32_e32 v53, 3, v45
	v_sub_u32_e32 v43, 29, v54
	v_and_b32_e32 v42, 7, v42
	v_cmp_gt_u32_e32 vcc, 8, v45
	v_mov_b32_e32 v45, 24
	v_cndmask_b32_e32 v43, v53, v43, vcc
	v_cndmask_b32_e32 v42, v52, v42, vcc
	v_lshlrev_b32_sdwa v45, v45, v22 dst_sel:DWORD dst_unused:UNUSED_PAD src0_sel:DWORD src1_sel:WORD_1
	v_bfrev_b32_e32 v52, 60
	v_lshlrev_b32_e32 v42, 20, v42
	v_and_b32_e32 v45, 0x80000000, v45
	v_lshl_add_u32 v43, v43, 23, v52
	v_or3_b32 v43, v45, v43, v42
.LBB594_315:
	s_or_b64 exec, exec, s[10:11]
.LBB594_316:
	s_or_b64 exec, exec, s[8:9]
.LBB594_317:
	s_or_b64 exec, exec, s[2:3]
	s_mov_b32 s2, 0xffffff
	v_cmp_lt_u32_e32 vcc, s2, v22
	v_mov_b32_e32 v45, 0
	v_mov_b32_e32 v52, 0
	s_and_saveexec_b64 s[2:3], vcc
	s_cbranch_execz .LBB594_323
; %bb.318:
	v_lshrrev_b32_e32 v42, 24, v22
	s_movk_i32 s8, 0x80
	v_cmp_ne_u32_e32 vcc, s8, v42
	v_bfrev_b32_e32 v52, 1
	s_and_saveexec_b64 s[8:9], vcc
	s_cbranch_execz .LBB594_322
; %bb.319:
	v_bfe_u32 v22, v22, 24, 7
	s_movk_i32 s10, 0x7f
	v_cmp_ne_u32_e32 vcc, s10, v22
	v_mov_b32_e32 v52, 0x7f800001
	s_and_saveexec_b64 s[10:11], vcc
	s_cbranch_execz .LBB594_321
; %bb.320:
	v_and_b32_e32 v54, 7, v42
	v_ffbh_u32_e32 v52, v54
	v_min_u32_e32 v56, 32, v52
	v_subrev_u32_e32 v52, 28, v56
	v_lshlrev_b64 v[52:53], v52, v[42:43]
	v_lshrrev_b32_e32 v55, 3, v22
	v_sub_u32_e32 v53, 29, v56
	v_and_b32_e32 v52, 7, v52
	v_cmp_gt_u32_e32 vcc, 8, v22
	v_cndmask_b32_e32 v22, v55, v53, vcc
	v_cndmask_b32_e32 v52, v54, v52, vcc
	v_lshlrev_b32_e32 v42, 24, v42
	v_bfrev_b32_e32 v53, 60
	v_lshlrev_b32_e32 v52, 20, v52
	v_and_b32_e32 v42, 0x80000000, v42
	v_lshl_add_u32 v22, v22, 23, v53
	v_or3_b32 v52, v42, v22, v52
.LBB594_321:
	s_or_b64 exec, exec, s[10:11]
.LBB594_322:
	s_or_b64 exec, exec, s[8:9]
.LBB594_323:
	s_or_b64 exec, exec, s[2:3]
	v_cmp_ne_u16_sdwa s[8:9], v23, v45 src0_sel:BYTE_0 src1_sel:DWORD
	s_and_saveexec_b64 s[2:3], s[8:9]
	s_cbranch_execz .LBB594_329
; %bb.324:
	s_movk_i32 s8, 0x80
	v_cmp_ne_u16_sdwa s[10:11], v23, s8 src0_sel:BYTE_0 src1_sel:DWORD
	v_bfrev_b32_e32 v45, 1
	s_and_saveexec_b64 s[8:9], s[10:11]
	s_cbranch_execz .LBB594_328
; %bb.325:
	s_movk_i32 s10, 0x7f
	v_and_b32_e32 v22, 0x7f, v23
	v_cmp_ne_u32_e32 vcc, s10, v22
	v_mov_b32_e32 v45, 0x7f800001
	s_and_saveexec_b64 s[10:11], vcc
	s_cbranch_execz .LBB594_327
; %bb.326:
	v_and_b32_e32 v45, 7, v23
	v_ffbh_u32_e32 v54, v45
	v_min_u32_e32 v56, 32, v54
	v_mov_b32_e32 v42, v23
	v_subrev_u32_e32 v54, 28, v56
	v_lshlrev_b64 v[54:55], v54, v[42:43]
	v_lshrrev_b32_e32 v53, 3, v22
	v_sub_u32_e32 v42, 29, v56
	v_and_b32_e32 v54, 7, v54
	v_cmp_gt_u32_e32 vcc, 8, v22
	v_cndmask_b32_e32 v22, v53, v42, vcc
	v_cndmask_b32_e32 v42, v45, v54, vcc
	v_lshlrev_b32_e32 v45, 24, v23
	v_bfrev_b32_e32 v53, 60
	v_lshlrev_b32_e32 v42, 20, v42
	v_and_b32_e32 v45, 0x80000000, v45
	v_lshl_add_u32 v22, v22, 23, v53
	v_or3_b32 v45, v45, v22, v42
.LBB594_327:
	s_or_b64 exec, exec, s[10:11]
.LBB594_328:
	s_or_b64 exec, exec, s[8:9]
.LBB594_329:
	s_or_b64 exec, exec, s[2:3]
	v_lshrrev_b16_e32 v22, 8, v23
	v_cmp_ne_u16_e32 vcc, 0, v22
	v_mov_b32_e32 v53, 0
	v_mov_b32_e32 v54, 0
	s_and_saveexec_b64 s[2:3], vcc
	s_cbranch_execz .LBB594_335
; %bb.330:
	s_movk_i32 s8, 0x80
	v_cmp_ne_u16_e32 vcc, s8, v22
	v_bfrev_b32_e32 v54, 1
	s_and_saveexec_b64 s[8:9], vcc
	s_cbranch_execz .LBB594_334
; %bb.331:
	s_movk_i32 s10, 0x7f
	v_and_b32_e32 v42, 0x7f, v22
	v_cmp_ne_u32_e32 vcc, s10, v42
	v_mov_b32_e32 v54, 0x7f800001
	s_and_saveexec_b64 s[10:11], vcc
	s_cbranch_execz .LBB594_333
; %bb.332:
	v_and_b32_e32 v56, 7, v22
	v_ffbh_u32_e32 v54, v56
	v_min_u32_e32 v58, 32, v54
	v_subrev_u32_e32 v54, 28, v58
	v_lshlrev_b64 v[54:55], v54, v[22:23]
	v_lshrrev_b32_e32 v57, 3, v42
	v_sub_u32_e32 v22, 29, v58
	v_and_b32_e32 v54, 7, v54
	v_cmp_gt_u32_e32 vcc, 8, v42
	v_cndmask_b32_e32 v22, v57, v22, vcc
	v_cndmask_b32_e32 v42, v56, v54, vcc
	v_lshlrev_b32_e32 v54, 16, v23
	v_bfrev_b32_e32 v55, 60
	v_lshlrev_b32_e32 v42, 20, v42
	v_and_b32_e32 v54, 0x80000000, v54
	v_lshl_add_u32 v22, v22, 23, v55
	v_or3_b32 v54, v54, v22, v42
.LBB594_333:
	s_or_b64 exec, exec, s[10:11]
.LBB594_334:
	s_or_b64 exec, exec, s[8:9]
.LBB594_335:
	s_or_b64 exec, exec, s[2:3]
	s_movk_i32 s2, 0xff
	v_and_b32_sdwa v42, v23, s2 dst_sel:DWORD dst_unused:UNUSED_PAD src0_sel:WORD_1 src1_sel:DWORD
	v_lshrrev_b32_e32 v22, 16, v23
	v_cmp_ne_u16_e32 vcc, 0, v42
	s_and_saveexec_b64 s[2:3], vcc
	s_cbranch_execz .LBB594_341
; %bb.336:
	s_movk_i32 s8, 0x80
	v_cmp_ne_u16_e32 vcc, s8, v42
	v_bfrev_b32_e32 v53, 1
	s_and_saveexec_b64 s[8:9], vcc
	s_cbranch_execz .LBB594_340
; %bb.337:
	v_bfe_u32 v42, v23, 16, 7
	s_movk_i32 s10, 0x7f
	v_cmp_ne_u32_e32 vcc, s10, v42
	v_mov_b32_e32 v53, 0x7f800001
	s_and_saveexec_b64 s[10:11], vcc
	s_cbranch_execz .LBB594_339
; %bb.338:
	v_and_b32_e32 v53, 7, v22
	v_ffbh_u32_e32 v56, v53
	v_min_u32_e32 v58, 32, v56
	v_subrev_u32_e32 v56, 28, v58
	v_lshlrev_b64 v[56:57], v56, v[22:23]
	v_and_b32_e32 v56, 7, v56
	v_cmp_gt_u32_e32 vcc, 8, v42
	v_lshrrev_b32_e32 v55, 3, v42
	v_sub_u32_e32 v22, 29, v58
	v_cndmask_b32_e32 v42, v53, v56, vcc
	v_mov_b32_e32 v53, 24
	v_cndmask_b32_e32 v22, v55, v22, vcc
	v_lshlrev_b32_sdwa v53, v53, v23 dst_sel:DWORD dst_unused:UNUSED_PAD src0_sel:DWORD src1_sel:WORD_1
	v_bfrev_b32_e32 v55, 60
	v_lshlrev_b32_e32 v42, 20, v42
	v_and_b32_e32 v53, 0x80000000, v53
	v_lshl_add_u32 v22, v22, 23, v55
	v_or3_b32 v53, v53, v22, v42
.LBB594_339:
	s_or_b64 exec, exec, s[10:11]
.LBB594_340:
	s_or_b64 exec, exec, s[8:9]
.LBB594_341:
	s_or_b64 exec, exec, s[2:3]
	s_mov_b32 s2, 0xffffff
	v_cmp_lt_u32_e32 vcc, s2, v23
	v_mov_b32_e32 v42, 0
	v_mov_b32_e32 v55, 0
	s_and_saveexec_b64 s[2:3], vcc
	s_cbranch_execz .LBB594_347
; %bb.342:
	v_lshrrev_b32_e32 v22, 24, v23
	s_movk_i32 s8, 0x80
	v_cmp_ne_u32_e32 vcc, s8, v22
	v_bfrev_b32_e32 v55, 1
	s_and_saveexec_b64 s[8:9], vcc
	s_cbranch_execz .LBB594_346
; %bb.343:
	v_bfe_u32 v23, v23, 24, 7
	s_movk_i32 s10, 0x7f
	v_cmp_ne_u32_e32 vcc, s10, v23
	v_mov_b32_e32 v55, 0x7f800001
	s_and_saveexec_b64 s[10:11], vcc
	s_cbranch_execz .LBB594_345
; %bb.344:
	v_and_b32_e32 v55, 7, v22
	v_ffbh_u32_e32 v56, v55
	v_min_u32_e32 v59, 32, v56
	v_subrev_u32_e32 v56, 28, v59
	v_lshlrev_b64 v[56:57], v56, v[22:23]
	v_lshrrev_b32_e32 v58, 3, v23
	v_sub_u32_e32 v57, 29, v59
	v_and_b32_e32 v56, 7, v56
	v_cmp_gt_u32_e32 vcc, 8, v23
	v_cndmask_b32_e32 v23, v58, v57, vcc
	v_cndmask_b32_e32 v55, v55, v56, vcc
	v_lshlrev_b32_e32 v22, 24, v22
	v_bfrev_b32_e32 v56, 60
	v_lshlrev_b32_e32 v55, 20, v55
	v_and_b32_e32 v22, 0x80000000, v22
	v_lshl_add_u32 v23, v23, 23, v56
	v_or3_b32 v55, v22, v23, v55
.LBB594_345:
	s_or_b64 exec, exec, s[10:11]
.LBB594_346:
	s_or_b64 exec, exec, s[8:9]
.LBB594_347:
	s_or_b64 exec, exec, s[2:3]
	v_cvt_pkrtz_f16_f32 v22, v51, v44
	v_cvt_pkrtz_f16_f32 v23, v43, v52
	v_cmp_ne_u16_sdwa s[8:9], v24, v42 src0_sel:BYTE_0 src1_sel:DWORD
	s_nop 0
	v_mfma_f32_16x16x16f16 v[56:59], v[22:23], v[26:27], 0
	v_cvt_pkrtz_f16_f32 v22, v45, v54
	v_cvt_pkrtz_f16_f32 v23, v53, v55
	s_nop 1
	v_mfma_f32_16x16x16f16 v[26:29], v[22:23], v[28:29], v[56:59]
	s_and_saveexec_b64 s[2:3], s[8:9]
	s_cbranch_execz .LBB594_353
; %bb.348:
	s_movk_i32 s8, 0x80
	v_cmp_ne_u16_sdwa s[10:11], v24, s8 src0_sel:BYTE_0 src1_sel:DWORD
	v_bfrev_b32_e32 v42, 1
	s_and_saveexec_b64 s[8:9], s[10:11]
	s_cbranch_execz .LBB594_352
; %bb.349:
	s_movk_i32 s10, 0x7f
	v_and_b32_e32 v22, 0x7f, v24
	v_cmp_ne_u32_e32 vcc, s10, v22
	v_mov_b32_e32 v42, 0x7f800001
	s_and_saveexec_b64 s[10:11], vcc
	s_cbranch_execz .LBB594_351
; %bb.350:
	v_and_b32_e32 v23, 7, v24
	v_ffbh_u32_e32 v42, v23
	v_min_u32_e32 v45, 32, v42
	v_subrev_u32_e32 v42, 28, v45
	v_lshlrev_b64 v[42:43], v42, v[24:25]
	v_lshrrev_b32_e32 v44, 3, v22
	v_sub_u32_e32 v43, 29, v45
	v_and_b32_e32 v42, 7, v42
	v_cmp_gt_u32_e32 vcc, 8, v22
	v_cndmask_b32_e32 v22, v44, v43, vcc
	v_cndmask_b32_e32 v23, v23, v42, vcc
	v_lshlrev_b32_e32 v42, 24, v24
	v_bfrev_b32_e32 v43, 60
	v_lshlrev_b32_e32 v23, 20, v23
	v_and_b32_e32 v42, 0x80000000, v42
	v_lshl_add_u32 v22, v22, 23, v43
	v_or3_b32 v42, v42, v22, v23
.LBB594_351:
	s_or_b64 exec, exec, s[10:11]
.LBB594_352:
	s_or_b64 exec, exec, s[8:9]
.LBB594_353:
	s_or_b64 exec, exec, s[2:3]
	v_lshrrev_b16_e32 v22, 8, v24
	v_cmp_ne_u16_e32 vcc, 0, v22
	v_mov_b32_e32 v23, 0
	v_mov_b32_e32 v43, 0
	s_and_saveexec_b64 s[2:3], vcc
	s_cbranch_execz .LBB594_359
; %bb.354:
	s_movk_i32 s8, 0x80
	v_cmp_ne_u16_e32 vcc, s8, v22
	v_bfrev_b32_e32 v43, 1
	s_and_saveexec_b64 s[8:9], vcc
	s_cbranch_execz .LBB594_358
; %bb.355:
	s_movk_i32 s10, 0x7f
	v_and_b32_e32 v44, 0x7f, v22
	v_cmp_ne_u32_e32 vcc, s10, v44
	v_mov_b32_e32 v43, 0x7f800001
	s_and_saveexec_b64 s[10:11], vcc
	s_cbranch_execz .LBB594_357
; %bb.356:
	v_and_b32_e32 v43, 7, v22
	v_ffbh_u32_e32 v51, v43
	v_min_u32_e32 v51, 32, v51
	v_subrev_u32_e32 v52, 28, v51
	v_lshlrev_b64 v[52:53], v52, v[22:23]
	v_lshrrev_b32_e32 v45, 3, v44
	v_sub_u32_e32 v22, 29, v51
	v_and_b32_e32 v51, 7, v52
	v_cmp_gt_u32_e32 vcc, 8, v44
	v_cndmask_b32_e32 v22, v45, v22, vcc
	v_cndmask_b32_e32 v43, v43, v51, vcc
	v_lshlrev_b32_e32 v44, 16, v24
	v_bfrev_b32_e32 v45, 60
	v_lshlrev_b32_e32 v43, 20, v43
	v_and_b32_e32 v44, 0x80000000, v44
	v_lshl_add_u32 v22, v22, 23, v45
	v_or3_b32 v43, v44, v22, v43
.LBB594_357:
	s_or_b64 exec, exec, s[10:11]
.LBB594_358:
	s_or_b64 exec, exec, s[8:9]
.LBB594_359:
	s_or_b64 exec, exec, s[2:3]
	s_movk_i32 s2, 0xff
	v_and_b32_sdwa v44, v24, s2 dst_sel:DWORD dst_unused:UNUSED_PAD src0_sel:WORD_1 src1_sel:DWORD
	v_lshrrev_b32_e32 v22, 16, v24
	v_cmp_ne_u16_e32 vcc, 0, v44
	s_and_saveexec_b64 s[2:3], vcc
	s_cbranch_execz .LBB594_365
; %bb.360:
	s_movk_i32 s8, 0x80
	v_cmp_ne_u16_e32 vcc, s8, v44
	v_bfrev_b32_e32 v23, 1
	s_and_saveexec_b64 s[8:9], vcc
	s_cbranch_execz .LBB594_364
; %bb.361:
	v_bfe_u32 v44, v24, 16, 7
	s_movk_i32 s10, 0x7f
	v_cmp_ne_u32_e32 vcc, s10, v44
	v_mov_b32_e32 v23, 0x7f800001
	s_and_saveexec_b64 s[10:11], vcc
	s_cbranch_execz .LBB594_363
; %bb.362:
	v_and_b32_e32 v45, 7, v22
	v_ffbh_u32_e32 v23, v45
	v_min_u32_e32 v52, 32, v23
	v_subrev_u32_e32 v23, 28, v52
	v_lshlrev_b64 v[22:23], v23, v[22:23]
	v_lshrrev_b32_e32 v51, 3, v44
	v_sub_u32_e32 v23, 29, v52
	v_and_b32_e32 v22, 7, v22
	v_cmp_gt_u32_e32 vcc, 8, v44
	v_mov_b32_e32 v44, 24
	v_cndmask_b32_e32 v23, v51, v23, vcc
	v_cndmask_b32_e32 v22, v45, v22, vcc
	v_lshlrev_b32_sdwa v44, v44, v24 dst_sel:DWORD dst_unused:UNUSED_PAD src0_sel:DWORD src1_sel:WORD_1
	v_bfrev_b32_e32 v45, 60
	v_lshlrev_b32_e32 v22, 20, v22
	v_and_b32_e32 v44, 0x80000000, v44
	v_lshl_add_u32 v23, v23, 23, v45
	v_or3_b32 v23, v44, v23, v22
.LBB594_363:
	s_or_b64 exec, exec, s[10:11]
.LBB594_364:
	s_or_b64 exec, exec, s[8:9]
.LBB594_365:
	s_or_b64 exec, exec, s[2:3]
	s_mov_b32 s2, 0xffffff
	v_cmp_lt_u32_e32 vcc, s2, v24
	v_mov_b32_e32 v44, 0
	v_mov_b32_e32 v45, 0
	s_and_saveexec_b64 s[2:3], vcc
	s_cbranch_execz .LBB594_371
; %bb.366:
	v_lshrrev_b32_e32 v22, 24, v24
	s_movk_i32 s8, 0x80
	v_cmp_ne_u32_e32 vcc, s8, v22
	v_bfrev_b32_e32 v45, 1
	s_and_saveexec_b64 s[8:9], vcc
	s_cbranch_execz .LBB594_370
; %bb.367:
	v_bfe_u32 v24, v24, 24, 7
	s_movk_i32 s10, 0x7f
	v_cmp_ne_u32_e32 vcc, s10, v24
	v_mov_b32_e32 v45, 0x7f800001
	s_and_saveexec_b64 s[10:11], vcc
	s_cbranch_execz .LBB594_369
; %bb.368:
	v_and_b32_e32 v45, 7, v22
	v_ffbh_u32_e32 v52, v45
	v_min_u32_e32 v54, 32, v52
	v_subrev_u32_e32 v52, 28, v54
	v_lshlrev_b64 v[52:53], v52, v[22:23]
	v_lshrrev_b32_e32 v51, 3, v24
	v_sub_u32_e32 v53, 29, v54
	v_and_b32_e32 v52, 7, v52
	v_cmp_gt_u32_e32 vcc, 8, v24
	v_cndmask_b32_e32 v24, v51, v53, vcc
	v_cndmask_b32_e32 v45, v45, v52, vcc
	v_lshlrev_b32_e32 v22, 24, v22
	v_bfrev_b32_e32 v51, 60
	v_lshlrev_b32_e32 v45, 20, v45
	v_and_b32_e32 v22, 0x80000000, v22
	v_lshl_add_u32 v24, v24, 23, v51
	v_or3_b32 v45, v22, v24, v45
.LBB594_369:
	s_or_b64 exec, exec, s[10:11]
.LBB594_370:
	s_or_b64 exec, exec, s[8:9]
.LBB594_371:
	s_or_b64 exec, exec, s[2:3]
	v_cmp_ne_u16_sdwa s[8:9], v25, v44 src0_sel:BYTE_0 src1_sel:DWORD
	s_and_saveexec_b64 s[2:3], s[8:9]
	s_cbranch_execz .LBB594_377
; %bb.372:
	s_movk_i32 s8, 0x80
	v_cmp_ne_u16_sdwa s[10:11], v25, s8 src0_sel:BYTE_0 src1_sel:DWORD
	v_bfrev_b32_e32 v44, 1
	s_and_saveexec_b64 s[8:9], s[10:11]
	s_cbranch_execz .LBB594_376
; %bb.373:
	s_movk_i32 s10, 0x7f
	v_and_b32_e32 v22, 0x7f, v25
	v_cmp_ne_u32_e32 vcc, s10, v22
	v_mov_b32_e32 v44, 0x7f800001
	s_and_saveexec_b64 s[10:11], vcc
	s_cbranch_execz .LBB594_375
; %bb.374:
	v_and_b32_e32 v44, 7, v25
	v_ffbh_u32_e32 v52, v44
	v_min_u32_e32 v54, 32, v52
	v_mov_b32_e32 v24, v25
	v_subrev_u32_e32 v52, 28, v54
	v_lshlrev_b64 v[52:53], v52, v[24:25]
	v_lshrrev_b32_e32 v51, 3, v22
	v_sub_u32_e32 v24, 29, v54
	v_and_b32_e32 v52, 7, v52
	v_cmp_gt_u32_e32 vcc, 8, v22
	v_cndmask_b32_e32 v22, v51, v24, vcc
	v_cndmask_b32_e32 v24, v44, v52, vcc
	v_lshlrev_b32_e32 v44, 24, v25
	v_bfrev_b32_e32 v51, 60
	v_lshlrev_b32_e32 v24, 20, v24
	v_and_b32_e32 v44, 0x80000000, v44
	v_lshl_add_u32 v22, v22, 23, v51
	v_or3_b32 v44, v44, v22, v24
.LBB594_375:
	s_or_b64 exec, exec, s[10:11]
.LBB594_376:
	s_or_b64 exec, exec, s[8:9]
.LBB594_377:
	s_or_b64 exec, exec, s[2:3]
	v_lshrrev_b16_e32 v22, 8, v25
	v_cmp_ne_u16_e32 vcc, 0, v22
	v_mov_b32_e32 v24, 0
	v_mov_b32_e32 v52, 0
	s_and_saveexec_b64 s[2:3], vcc
	s_cbranch_execz .LBB594_383
; %bb.378:
	s_movk_i32 s8, 0x80
	v_cmp_ne_u16_e32 vcc, s8, v22
	v_bfrev_b32_e32 v52, 1
	s_and_saveexec_b64 s[8:9], vcc
	s_cbranch_execz .LBB594_382
; %bb.379:
	s_movk_i32 s10, 0x7f
	v_and_b32_e32 v51, 0x7f, v22
	v_cmp_ne_u32_e32 vcc, s10, v51
	v_mov_b32_e32 v52, 0x7f800001
	s_and_saveexec_b64 s[10:11], vcc
	s_cbranch_execz .LBB594_381
; %bb.380:
	v_and_b32_e32 v54, 7, v22
	v_ffbh_u32_e32 v52, v54
	v_min_u32_e32 v56, 32, v52
	v_subrev_u32_e32 v52, 28, v56
	v_lshlrev_b64 v[52:53], v52, v[22:23]
	v_lshrrev_b32_e32 v55, 3, v51
	v_sub_u32_e32 v22, 29, v56
	v_and_b32_e32 v52, 7, v52
	v_cmp_gt_u32_e32 vcc, 8, v51
	v_cndmask_b32_e32 v22, v55, v22, vcc
	v_cndmask_b32_e32 v51, v54, v52, vcc
	v_lshlrev_b32_e32 v52, 16, v25
	v_bfrev_b32_e32 v53, 60
	v_lshlrev_b32_e32 v51, 20, v51
	v_and_b32_e32 v52, 0x80000000, v52
	v_lshl_add_u32 v22, v22, 23, v53
	v_or3_b32 v52, v52, v22, v51
.LBB594_381:
	s_or_b64 exec, exec, s[10:11]
.LBB594_382:
	s_or_b64 exec, exec, s[8:9]
.LBB594_383:
	s_or_b64 exec, exec, s[2:3]
	s_movk_i32 s2, 0xff
	v_and_b32_sdwa v51, v25, s2 dst_sel:DWORD dst_unused:UNUSED_PAD src0_sel:WORD_1 src1_sel:DWORD
	v_lshrrev_b32_e32 v22, 16, v25
	v_cmp_ne_u16_e32 vcc, 0, v51
	s_and_saveexec_b64 s[2:3], vcc
	s_cbranch_execz .LBB594_389
; %bb.384:
	s_movk_i32 s8, 0x80
	v_cmp_ne_u16_e32 vcc, s8, v51
	v_bfrev_b32_e32 v24, 1
	s_and_saveexec_b64 s[8:9], vcc
	s_cbranch_execz .LBB594_388
; %bb.385:
	v_bfe_u32 v51, v25, 16, 7
	s_movk_i32 s10, 0x7f
	v_cmp_ne_u32_e32 vcc, s10, v51
	v_mov_b32_e32 v24, 0x7f800001
	s_and_saveexec_b64 s[10:11], vcc
	s_cbranch_execz .LBB594_387
; %bb.386:
	v_and_b32_e32 v24, 7, v22
	v_ffbh_u32_e32 v54, v24
	v_min_u32_e32 v56, 32, v54
	v_subrev_u32_e32 v54, 28, v56
	v_lshlrev_b64 v[54:55], v54, v[22:23]
	v_lshrrev_b32_e32 v53, 3, v51
	v_sub_u32_e32 v22, 29, v56
	v_and_b32_e32 v54, 7, v54
	v_cmp_gt_u32_e32 vcc, 8, v51
	v_mov_b32_e32 v51, 24
	v_cndmask_b32_e32 v22, v53, v22, vcc
	v_cndmask_b32_e32 v24, v24, v54, vcc
	v_lshlrev_b32_sdwa v51, v51, v25 dst_sel:DWORD dst_unused:UNUSED_PAD src0_sel:DWORD src1_sel:WORD_1
	v_bfrev_b32_e32 v53, 60
	v_lshlrev_b32_e32 v24, 20, v24
	v_and_b32_e32 v51, 0x80000000, v51
	v_lshl_add_u32 v22, v22, 23, v53
	v_or3_b32 v24, v51, v22, v24
.LBB594_387:
	s_or_b64 exec, exec, s[10:11]
.LBB594_388:
	s_or_b64 exec, exec, s[8:9]
.LBB594_389:
	s_or_b64 exec, exec, s[2:3]
	s_mov_b32 s2, 0xffffff
	v_and_b32_e32 v51, 63, v0
	v_cmp_lt_u32_e32 vcc, s2, v25
	v_mov_b32_e32 v53, 0
	s_and_saveexec_b64 s[2:3], vcc
	s_cbranch_execz .LBB594_395
; %bb.390:
	v_lshrrev_b32_e32 v22, 24, v25
	s_movk_i32 s8, 0x80
	v_cmp_ne_u32_e32 vcc, s8, v22
	v_bfrev_b32_e32 v53, 1
	s_and_saveexec_b64 s[8:9], vcc
	s_cbranch_execz .LBB594_394
; %bb.391:
	v_bfe_u32 v25, v25, 24, 7
	s_movk_i32 s10, 0x7f
	v_cmp_ne_u32_e32 vcc, s10, v25
	v_mov_b32_e32 v53, 0x7f800001
	s_and_saveexec_b64 s[10:11], vcc
	s_cbranch_execz .LBB594_393
; %bb.392:
	v_and_b32_e32 v53, 7, v22
	v_ffbh_u32_e32 v54, v53
	v_min_u32_e32 v57, 32, v54
	v_subrev_u32_e32 v54, 28, v57
	v_lshlrev_b64 v[54:55], v54, v[22:23]
	v_lshrrev_b32_e32 v56, 3, v25
	v_sub_u32_e32 v55, 29, v57
	v_and_b32_e32 v54, 7, v54
	v_cmp_gt_u32_e32 vcc, 8, v25
	v_cndmask_b32_e32 v25, v56, v55, vcc
	v_cndmask_b32_e32 v53, v53, v54, vcc
	v_lshlrev_b32_e32 v22, 24, v22
	v_bfrev_b32_e32 v54, 60
	v_lshlrev_b32_e32 v53, 20, v53
	v_and_b32_e32 v22, 0x80000000, v22
	v_lshl_add_u32 v25, v25, 23, v54
	v_or3_b32 v53, v22, v25, v53
.LBB594_393:
	s_or_b64 exec, exec, s[10:11]
.LBB594_394:
	s_or_b64 exec, exec, s[8:9]
.LBB594_395:
	s_or_b64 exec, exec, s[2:3]
	v_cvt_pkrtz_f16_f32 v42, v42, v43
	v_cvt_pkrtz_f16_f32 v43, v23, v45
	s_load_dword s2, s[4:5], 0x1c
	s_mov_b32 s46, 0xff7fffff
	s_waitcnt lgkmcnt(0)
	v_mfma_f32_16x16x16f16 v[26:29], v[42:43], v[18:19], v[26:29]
	v_cvt_pkrtz_f16_f32 v18, v44, v52
	v_cvt_pkrtz_f16_f32 v19, v24, v53
	v_and_b32_e32 v24, 0xc0, v0
	v_mov_b32_e32 v22, s2
	v_add_u32_e32 v24, s20, v24
	v_mul_f32_e32 v54, s12, v22
	v_lshl_or_b32 v42, v1, 2, v24
	v_mfma_f32_16x16x16f16 v[18:21], v[18:19], v[20:21], v[26:29]
	v_pk_mul_f32 v[22:23], v[54:55], v[36:37] op_sel_hi:[0,1]
	v_pk_mul_f32 v[36:37], v[54:55], v[40:41] op_sel_hi:[0,1]
	;; [unrolled: 1-line block ×4, first 2 shown]
	v_mov_b32_e32 v43, 0xff7fffff
	v_cmp_gt_i32_e64 s[26:27], s33, v42
	v_pk_mul_f32 v[38:39], v[54:55], v[38:39] op_sel_hi:[0,1]
	s_nop 3
	v_pk_mul_f32 v[32:33], v[54:55], v[18:19] op_sel_hi:[0,1]
	v_or_b32_e32 v19, 1, v42
	v_cmp_gt_i32_e64 s[28:29], s33, v19
	v_cndmask_b32_e64 v18, v43, v30, s[26:27]
	v_cndmask_b32_e64 v19, v43, v31, s[28:29]
	v_pk_mul_f32 v[24:25], v[54:55], v[20:21] op_sel_hi:[0,1]
	v_max3_f32 v18, v18, s46, v19
	v_or_b32_e32 v19, 2, v42
	v_or_b32_e32 v20, 3, v42
	v_cmp_gt_i32_e64 s[30:31], s33, v19
	v_cmp_gt_i32_e64 s[34:35], s33, v20
	v_cndmask_b32_e64 v19, v43, v40, s[30:31]
	v_cndmask_b32_e64 v20, v43, v41, s[34:35]
	v_max3_f32 v18, v18, v19, v20
	v_or_b32_e32 v19, 16, v42
	v_or_b32_e32 v20, 17, v42
	v_cmp_gt_i32_e64 s[36:37], s33, v19
	v_cmp_gt_i32_e64 s[38:39], s33, v20
	v_cndmask_b32_e64 v19, v43, v38, s[36:37]
	v_cndmask_b32_e64 v20, v43, v39, s[38:39]
	;; [unrolled: 7-line block ×3, first 2 shown]
	v_max3_f32 v18, v18, v19, v20
	v_or_b32_e32 v19, 32, v42
	v_or_b32_e32 v20, 33, v42
	v_pk_mul_f32 v[34:35], v[54:55], v[34:35] op_sel_hi:[0,1]
	v_cmp_gt_i32_e64 s[16:17], s33, v19
	v_cmp_gt_i32_e64 s[18:19], s33, v20
	v_cndmask_b32_e64 v19, v43, v34, s[16:17]
	v_cndmask_b32_e64 v20, v43, v35, s[18:19]
	v_max3_f32 v18, v18, v19, v20
	v_or_b32_e32 v19, 34, v42
	v_or_b32_e32 v20, 35, v42
	v_cmp_gt_i32_e64 s[12:13], s33, v19
	v_cmp_gt_i32_e64 s[14:15], s33, v20
	v_cndmask_b32_e64 v19, v43, v22, s[12:13]
	v_cndmask_b32_e64 v20, v43, v23, s[14:15]
	v_max3_f32 v18, v18, v19, v20
	v_or_b32_e32 v19, 48, v42
	v_or_b32_e32 v20, 49, v42
	;; [unrolled: 7-line block ×3, first 2 shown]
	v_cmp_gt_i32_e32 vcc, s33, v19
	v_cmp_gt_i32_e64 s[2:3], s33, v20
	v_cndmask_b32_e32 v19, v43, v24, vcc
	v_cndmask_b32_e64 v20, v43, v25, s[2:3]
	v_max3_f32 v18, v18, v19, v20
	v_mbcnt_lo_u32_b32 v19, -1, 0
	v_mbcnt_hi_u32_b32 v19, -1, v19
	v_and_b32_e32 v20, 64, v19
	v_add_u32_e32 v20, 64, v20
	v_xor_b32_e32 v21, 32, v19
	v_cmp_lt_i32_e64 s[40:41], v21, v20
	v_cndmask_b32_e64 v21, v19, v21, s[40:41]
	v_lshlrev_b32_e32 v43, 2, v21
	ds_bpermute_b32 v21, v43, v18
	s_barrier
	s_waitcnt lgkmcnt(0)
	v_max_f32_e32 v21, v21, v21
	v_max_f32_e32 v18, v18, v21
	v_xor_b32_e32 v21, 16, v19
	v_cmp_lt_i32_e64 s[40:41], v21, v20
	v_cndmask_b32_e64 v19, v19, v21, s[40:41]
	v_lshlrev_b32_e32 v44, 2, v19
	ds_bpermute_b32 v19, v44, v18
	s_waitcnt lgkmcnt(0)
	v_max_f32_e32 v19, v19, v19
	v_max_f32_e32 v42, v18, v19
	v_sub_f32_e32 v21, v40, v42
	v_sub_f32_e32 v26, v41, v42
	v_mul_f32_e32 v21, 0x3fb8aa3b, v21
	v_mul_f32_e32 v26, 0x3fb8aa3b, v26
	v_sub_f32_e32 v18, v30, v42
	v_exp_f32_e32 v21, v21
	v_exp_f32_e32 v26, v26
	v_mul_f32_e32 v18, 0x3fb8aa3b, v18
	v_sub_f32_e32 v19, v31, v42
	v_exp_f32_e32 v18, v18
	v_mul_f32_e32 v19, 0x3fb8aa3b, v19
	v_exp_f32_e32 v19, v19
	v_cndmask_b32_e64 v28, 0, v21, s[30:31]
	v_cndmask_b32_e64 v29, 0, v26, s[34:35]
	v_sub_f32_e32 v21, v38, v42
	v_sub_f32_e32 v26, v39, v42
	v_mul_f32_e32 v21, 0x3fb8aa3b, v21
	v_mul_f32_e32 v26, 0x3fb8aa3b, v26
	v_cndmask_b32_e64 v18, 0, v18, s[26:27]
	v_exp_f32_e32 v21, v21
	v_exp_f32_e32 v26, v26
	v_add_f32_e32 v20, 0, v18
	v_cndmask_b32_e64 v19, 0, v19, s[28:29]
	v_add_f32_e32 v20, v20, v19
	v_add_f32_e32 v20, v20, v28
	;; [unrolled: 1-line block ×3, first 2 shown]
	v_cndmask_b32_e64 v20, 0, v21, s[36:37]
	v_cndmask_b32_e64 v21, 0, v26, s[38:39]
	v_sub_f32_e32 v26, v36, v42
	v_mul_f32_e32 v26, 0x3fb8aa3b, v26
	v_exp_f32_e32 v26, v26
	v_sub_f32_e32 v30, v37, v42
	v_add_f32_e32 v27, v27, v20
	v_mul_f32_e32 v30, 0x3fb8aa3b, v30
	v_exp_f32_e32 v31, v30
	v_add_f32_e32 v27, v27, v21
	v_cndmask_b32_e64 v30, 0, v26, s[20:21]
	v_add_f32_e32 v26, v27, v30
	v_sub_f32_e32 v27, v34, v42
	v_mul_f32_e32 v27, 0x3fb8aa3b, v27
	v_sub_f32_e32 v34, v35, v42
	v_exp_f32_e32 v27, v27
	v_mul_f32_e32 v34, 0x3fb8aa3b, v34
	v_sub_f32_e32 v22, v22, v42
	v_exp_f32_e32 v34, v34
	;; [unrolled: 3-line block ×3, first 2 shown]
	v_mul_f32_e32 v23, 0x3fb8aa3b, v23
	v_cndmask_b32_e64 v31, 0, v31, s[22:23]
	v_exp_f32_e32 v23, v23
	v_add_f32_e32 v35, v26, v31
	v_cndmask_b32_e64 v26, 0, v27, s[16:17]
	v_add_f32_e32 v35, v35, v26
	v_cndmask_b32_e64 v27, 0, v34, s[18:19]
	;; [unrolled: 2-line block ×4, first 2 shown]
	v_sub_f32_e32 v23, v32, v42
	v_mul_f32_e32 v23, 0x3fb8aa3b, v23
	v_sub_f32_e32 v32, v33, v42
	v_exp_f32_e32 v23, v23
	v_mul_f32_e32 v32, 0x3fb8aa3b, v32
	v_sub_f32_e32 v24, v24, v42
	v_exp_f32_e32 v32, v32
	;; [unrolled: 3-line block ×3, first 2 shown]
	v_mul_f32_e32 v25, 0x3fb8aa3b, v25
	v_exp_f32_e32 v25, v25
	v_add_f32_e32 v33, v22, v35
	v_cndmask_b32_e64 v22, 0, v23, s[8:9]
	v_add_f32_e32 v33, v33, v22
	v_cndmask_b32_e64 v23, 0, v32, s[10:11]
	v_add_f32_e32 v32, v33, v23
	v_cndmask_b32_e32 v24, 0, v24, vcc
	v_add_f32_e32 v32, v32, v24
	v_cndmask_b32_e64 v25, 0, v25, s[2:3]
	v_add_f32_e32 v32, v32, v25
	ds_bpermute_b32 v33, v43, v32
	v_cmp_gt_u32_e64 s[2:3], 16, v51
	s_waitcnt lgkmcnt(0)
	v_add_f32_e32 v33, v32, v33
	ds_bpermute_b32 v36, v44, v33
	v_lshlrev_b32_e32 v32, 2, v49
	s_and_saveexec_b64 s[8:9], s[2:3]
	s_cbranch_execz .LBB594_397
; %bb.396:
	s_waitcnt lgkmcnt(0)
	v_add_f32_e32 v33, v33, v36
	v_lshl_or_b32 v36, v50, 6, v32
	ds_write2st64_b32 v36, v42, v33 offset1:1
.LBB594_397:
	s_or_b64 exec, exec, s[8:9]
	s_waitcnt lgkmcnt(0)
	s_barrier
	ds_read2_b32 v[36:37], v32 offset1:16
	ds_read2_b32 v[38:39], v32 offset0:32 offset1:48
	ds_read2_b32 v[40:41], v32 offset0:64 offset1:80
	;; [unrolled: 1-line block ×3, first 2 shown]
	s_waitcnt lgkmcnt(0)
	v_max3_f32 v33, v36, s46, v37
	v_max3_f32 v33, v33, v38, v39
	v_sub_f32_e32 v36, v36, v33
	v_mul_f32_e32 v36, 0x3fb8aa3b, v36
	v_exp_f32_e32 v44, v36
	v_sub_f32_e32 v36, v37, v33
	v_mul_f32_e32 v36, 0x3fb8aa3b, v36
	v_exp_f32_e32 v37, v36
	v_sub_f32_e32 v36, v38, v33
	v_mul_f32_e32 v36, 0x3fb8aa3b, v36
	v_sub_f32_e32 v32, v39, v33
	v_exp_f32_e32 v38, v36
	v_mul_f32_e32 v32, 0x3fb8aa3b, v32
	v_exp_f32_e32 v39, v32
	v_fma_f32 v36, v44, v40, 0
	v_fmac_f32_e32 v36, v37, v41
	v_fmac_f32_e32 v36, v38, v42
	;; [unrolled: 1-line block ×3, first 2 shown]
	v_add_f32_e32 v40, 0x358637bd, v36
	v_div_scale_f32 v41, s[8:9], v40, v40, 1.0
	v_rcp_f32_e32 v42, v41
	s_barrier
	s_mul_i32 s14, s45, 5
	v_fma_f32 v43, -v41, v42, 1.0
	v_fmac_f32_e32 v42, v43, v42
	v_div_scale_f32 v43, vcc, 1.0, v40, 1.0
	v_mul_f32_e32 v45, v43, v42
	v_fma_f32 v51, -v41, v45, v43
	v_fmac_f32_e32 v45, v51, v42
	v_fma_f32 v41, -v41, v45, v43
	v_div_fmas_f32 v41, v41, v42, v45
	v_cmp_eq_u32_e32 vcc, 1, v50
	v_cndmask_b32_e32 v37, v44, v37, vcc
	v_cmp_eq_u32_e32 vcc, 2, v50
	v_cndmask_b32_e32 v37, v37, v38, vcc
	v_cmp_eq_u32_e32 vcc, 3, v50
	v_div_fixup_f32 v40, v41, v40, 1.0
	v_cndmask_b32_e32 v37, v37, v39, vcc
	v_mul_f32_e32 v38, v37, v40
	v_pk_mul_f32 v[28:29], v[38:39], v[28:29] op_sel_hi:[0,1]
	v_pk_mul_f32 v[18:19], v[38:39], v[18:19] op_sel_hi:[0,1]
	v_cvt_f16_f32_e32 v18, v18
	v_cvt_f16_f32_e32 v19, v19
	;; [unrolled: 1-line block ×4, first 2 shown]
	v_pk_mul_f32 v[20:21], v[38:39], v[20:21] op_sel_hi:[0,1]
	v_pack_b32_f16 v18, v18, v19
	v_cvt_f16_f32_e32 v20, v20
	v_pack_b32_f16 v19, v28, v29
	v_pk_mul_f32 v[28:29], v[38:39], v[30:31] op_sel_hi:[0,1]
	v_cvt_f16_f32_e32 v21, v21
	v_cvt_f16_f32_e32 v30, v28
	;; [unrolled: 1-line block ×3, first 2 shown]
	v_lshlrev_b32_e32 v37, 3, v1
	v_lshlrev_b32_e32 v28, 11, v50
	v_or3_b32 v28, v28, v48, v37
	v_pack_b32_f16 v20, v20, v21
	v_pack_b32_f16 v21, v30, v29
	ds_write2st64_b64 v28, v[18:19], v[20:21] offset1:1
	v_pk_mul_f32 v[18:19], v[38:39], v[34:35] op_sel_hi:[0,1]
	v_pk_mul_f32 v[20:21], v[38:39], v[26:27] op_sel_hi:[0,1]
	v_cvt_f16_f32_e32 v26, v20
	v_cvt_f16_f32_e32 v27, v21
	;; [unrolled: 1-line block ×4, first 2 shown]
	v_pk_mul_f32 v[18:19], v[38:39], v[24:25] op_sel_hi:[0,1]
	v_pk_mul_f32 v[20:21], v[38:39], v[22:23] op_sel_hi:[0,1]
	v_cvt_f16_f32_e32 v20, v20
	v_cvt_f16_f32_e32 v21, v21
	;; [unrolled: 1-line block ×4, first 2 shown]
	v_mov_b32_e32 v32, 0
	v_pack_b32_f16 v18, v26, v27
	v_pack_b32_f16 v19, v29, v30
	;; [unrolled: 1-line block ×4, first 2 shown]
	v_cmp_gt_u32_e32 vcc, 5, v0
	ds_write2st64_b64 v28, v[18:19], v[20:21] offset0:2 offset1:3
	s_and_saveexec_b64 s[8:9], vcc
	s_cbranch_execz .LBB594_399
; %bb.398:
	v_add_co_u32_e32 v20, vcc, s25, v49
	v_addc_co_u32_e64 v21, s[10:11], 0, 0, vcc
	v_mov_b32_e32 v18, s14
	v_mov_b32_e32 v19, 0
	v_mad_u64_u32 v[20:21], s[10:11], s6, v18, v[20:21]
	v_mov_b32_e32 v18, s24
	s_load_dwordx4 s[16:19], s[4:5], 0x58
	s_mul_i32 s7, s7, s14
	v_mad_u64_u32 v[18:19], s[10:11], v20, s44, v[18:19]
	v_add_u32_e32 v21, s7, v21
	v_mov_b32_e32 v20, v19
	v_mad_u64_u32 v[20:21], s[10:11], v21, s44, v[20:21]
	v_mov_b32_e32 v19, v20
	v_lshlrev_b64 v[18:19], 2, v[18:19]
	s_waitcnt lgkmcnt(0)
	v_mov_b32_e32 v21, s19
	v_add_co_u32_e32 v20, vcc, s18, v18
	v_addc_co_u32_e32 v21, vcc, v21, v19, vcc
	global_store_dword v[20:21], v33, off
	v_mov_b32_e32 v20, s17
	v_add_co_u32_e32 v18, vcc, s16, v18
	v_addc_co_u32_e32 v19, vcc, v20, v19, vcc
	global_store_dword v[18:19], v36, off
.LBB594_399:
	s_or_b64 exec, exec, s[8:9]
	v_mov_b32_e32 v19, 0
	s_waitcnt vmcnt(3)
	v_cmp_ne_u16_sdwa s[10:11], v14, v19 src0_sel:BYTE_0 src1_sel:DWORD
	s_waitcnt lgkmcnt(0)
	s_barrier
	s_and_saveexec_b64 s[8:9], s[10:11]
	s_cbranch_execz .LBB594_405
; %bb.400:
	s_movk_i32 s7, 0x80
	v_cmp_ne_u16_sdwa s[12:13], v14, s7 src0_sel:BYTE_0 src1_sel:DWORD
	v_bfrev_b32_e32 v32, 1
	s_and_saveexec_b64 s[10:11], s[12:13]
	s_cbranch_execz .LBB594_404
; %bb.401:
	s_movk_i32 s7, 0x7f
	v_and_b32_e32 v18, 0x7f, v14
	v_cmp_ne_u32_e32 vcc, s7, v18
	v_mov_b32_e32 v32, 0x7f800001
	s_and_saveexec_b64 s[12:13], vcc
	s_cbranch_execz .LBB594_403
; %bb.402:
	v_and_b32_e32 v22, 7, v14
	v_ffbh_u32_e32 v20, v22
	v_min_u32_e32 v24, 32, v20
	v_subrev_u32_e32 v20, 28, v24
	v_lshlrev_b64 v[20:21], v20, v[14:15]
	v_lshrrev_b32_e32 v23, 3, v18
	v_sub_u32_e32 v21, 29, v24
	v_and_b32_e32 v20, 7, v20
	v_cmp_gt_u32_e32 vcc, 8, v18
	v_cndmask_b32_e32 v18, v23, v21, vcc
	v_cndmask_b32_e32 v20, v22, v20, vcc
	v_lshlrev_b32_e32 v21, 24, v14
	v_bfrev_b32_e32 v22, 60
	v_lshlrev_b32_e32 v20, 20, v20
	v_and_b32_e32 v21, 0x80000000, v21
	v_lshl_add_u32 v18, v18, 23, v22
	v_or3_b32 v32, v21, v18, v20
.LBB594_403:
	s_or_b64 exec, exec, s[12:13]
.LBB594_404:
	s_or_b64 exec, exec, s[10:11]
.LBB594_405:
	s_or_b64 exec, exec, s[8:9]
	v_lshrrev_b16_e32 v18, 8, v14
	v_cmp_ne_u16_e32 vcc, 0, v18
	v_mov_b32_e32 v20, 0
	s_and_saveexec_b64 s[8:9], vcc
	s_cbranch_execz .LBB594_411
; %bb.406:
	s_movk_i32 s7, 0x80
	v_cmp_ne_u16_e32 vcc, s7, v18
	v_bfrev_b32_e32 v20, 1
	s_and_saveexec_b64 s[10:11], vcc
	s_cbranch_execz .LBB594_410
; %bb.407:
	s_movk_i32 s7, 0x7f
	v_and_b32_e32 v21, 0x7f, v18
	v_cmp_ne_u32_e32 vcc, s7, v21
	v_mov_b32_e32 v20, 0x7f800001
	s_and_saveexec_b64 s[12:13], vcc
	s_cbranch_execz .LBB594_409
; %bb.408:
	v_and_b32_e32 v20, 7, v18
	v_ffbh_u32_e32 v22, v20
	v_min_u32_e32 v25, 32, v22
	v_subrev_u32_e32 v22, 28, v25
	v_lshlrev_b64 v[22:23], v22, v[18:19]
	v_lshrrev_b32_e32 v24, 3, v21
	v_sub_u32_e32 v18, 29, v25
	v_and_b32_e32 v22, 7, v22
	v_cmp_gt_u32_e32 vcc, 8, v21
	v_cndmask_b32_e32 v18, v24, v18, vcc
	v_cndmask_b32_e32 v20, v20, v22, vcc
	v_lshlrev_b32_e32 v21, 16, v14
	v_bfrev_b32_e32 v22, 60
	v_lshlrev_b32_e32 v20, 20, v20
	v_and_b32_e32 v21, 0x80000000, v21
	v_lshl_add_u32 v18, v18, 23, v22
	v_or3_b32 v20, v21, v18, v20
.LBB594_409:
	s_or_b64 exec, exec, s[12:13]
.LBB594_410:
	s_or_b64 exec, exec, s[10:11]
.LBB594_411:
	s_or_b64 exec, exec, s[8:9]
	s_movk_i32 s7, 0xff
	v_and_b32_sdwa v21, v14, s7 dst_sel:DWORD dst_unused:UNUSED_PAD src0_sel:WORD_1 src1_sel:DWORD
	v_lshrrev_b32_e32 v18, 16, v14
	v_cmp_ne_u16_e32 vcc, 0, v21
	s_and_saveexec_b64 s[8:9], vcc
	s_cbranch_execz .LBB594_417
; %bb.412:
	s_movk_i32 s7, 0x80
	v_cmp_ne_u16_e32 vcc, s7, v21
	v_bfrev_b32_e32 v19, 1
	s_and_saveexec_b64 s[10:11], vcc
	s_cbranch_execz .LBB594_416
; %bb.413:
	v_bfe_u32 v21, v14, 16, 7
	s_movk_i32 s7, 0x7f
	v_cmp_ne_u32_e32 vcc, s7, v21
	v_mov_b32_e32 v19, 0x7f800001
	s_and_saveexec_b64 s[12:13], vcc
	s_cbranch_execz .LBB594_415
; %bb.414:
	v_and_b32_e32 v22, 7, v18
	v_ffbh_u32_e32 v19, v22
	v_min_u32_e32 v24, 32, v19
	v_subrev_u32_e32 v19, 28, v24
	v_lshlrev_b64 v[18:19], v19, v[18:19]
	v_lshrrev_b32_e32 v23, 3, v21
	v_sub_u32_e32 v19, 29, v24
	v_and_b32_e32 v18, 7, v18
	v_cmp_gt_u32_e32 vcc, 8, v21
	v_mov_b32_e32 v21, 24
	v_cndmask_b32_e32 v19, v23, v19, vcc
	v_cndmask_b32_e32 v18, v22, v18, vcc
	v_lshlrev_b32_sdwa v21, v21, v14 dst_sel:DWORD dst_unused:UNUSED_PAD src0_sel:DWORD src1_sel:WORD_1
	v_bfrev_b32_e32 v22, 60
	v_lshlrev_b32_e32 v18, 20, v18
	v_and_b32_e32 v21, 0x80000000, v21
	v_lshl_add_u32 v19, v19, 23, v22
	v_or3_b32 v19, v21, v19, v18
.LBB594_415:
	s_or_b64 exec, exec, s[12:13]
.LBB594_416:
	s_or_b64 exec, exec, s[10:11]
.LBB594_417:
	s_or_b64 exec, exec, s[8:9]
	s_mov_b32 s7, 0xffffff
	v_cmp_lt_u32_e32 vcc, s7, v14
	v_mov_b32_e32 v21, 0
	v_mov_b32_e32 v22, 0
	s_and_saveexec_b64 s[8:9], vcc
	s_cbranch_execz .LBB594_423
; %bb.418:
	v_lshrrev_b32_e32 v18, 24, v14
	s_movk_i32 s7, 0x80
	v_cmp_ne_u32_e32 vcc, s7, v18
	v_bfrev_b32_e32 v22, 1
	s_and_saveexec_b64 s[10:11], vcc
	s_cbranch_execz .LBB594_422
; %bb.419:
	v_bfe_u32 v14, v14, 24, 7
	s_movk_i32 s7, 0x7f
	v_cmp_ne_u32_e32 vcc, s7, v14
	v_mov_b32_e32 v22, 0x7f800001
	s_and_saveexec_b64 s[12:13], vcc
	s_cbranch_execz .LBB594_421
; %bb.420:
	v_and_b32_e32 v24, 7, v18
	v_ffbh_u32_e32 v22, v24
	v_min_u32_e32 v26, 32, v22
	v_subrev_u32_e32 v22, 28, v26
	v_lshlrev_b64 v[22:23], v22, v[18:19]
	v_lshrrev_b32_e32 v25, 3, v14
	v_sub_u32_e32 v23, 29, v26
	v_and_b32_e32 v22, 7, v22
	v_cmp_gt_u32_e32 vcc, 8, v14
	v_cndmask_b32_e32 v14, v25, v23, vcc
	v_cndmask_b32_e32 v22, v24, v22, vcc
	v_lshlrev_b32_e32 v18, 24, v18
	v_bfrev_b32_e32 v23, 60
	v_lshlrev_b32_e32 v22, 20, v22
	v_and_b32_e32 v18, 0x80000000, v18
	v_lshl_add_u32 v14, v14, 23, v23
	v_or3_b32 v22, v18, v14, v22
.LBB594_421:
	s_or_b64 exec, exec, s[12:13]
.LBB594_422:
	s_or_b64 exec, exec, s[10:11]
.LBB594_423:
	s_or_b64 exec, exec, s[8:9]
	v_cmp_ne_u16_sdwa s[10:11], v15, v21 src0_sel:BYTE_0 src1_sel:DWORD
	s_and_saveexec_b64 s[8:9], s[10:11]
	s_cbranch_execz .LBB594_429
; %bb.424:
	s_movk_i32 s7, 0x80
	v_cmp_ne_u16_sdwa s[12:13], v15, s7 src0_sel:BYTE_0 src1_sel:DWORD
	v_bfrev_b32_e32 v21, 1
	s_and_saveexec_b64 s[10:11], s[12:13]
	s_cbranch_execz .LBB594_428
; %bb.425:
	s_movk_i32 s7, 0x7f
	v_and_b32_e32 v14, 0x7f, v15
	v_cmp_ne_u32_e32 vcc, s7, v14
	v_mov_b32_e32 v21, 0x7f800001
	s_and_saveexec_b64 s[12:13], vcc
	s_cbranch_execz .LBB594_427
; %bb.426:
	v_and_b32_e32 v21, 7, v15
	v_ffbh_u32_e32 v24, v21
	v_min_u32_e32 v26, 32, v24
	v_mov_b32_e32 v18, v15
	v_subrev_u32_e32 v24, 28, v26
	v_lshlrev_b64 v[24:25], v24, v[18:19]
	v_lshrrev_b32_e32 v23, 3, v14
	v_sub_u32_e32 v18, 29, v26
	v_and_b32_e32 v24, 7, v24
	v_cmp_gt_u32_e32 vcc, 8, v14
	v_cndmask_b32_e32 v14, v23, v18, vcc
	v_cndmask_b32_e32 v18, v21, v24, vcc
	v_lshlrev_b32_e32 v21, 24, v15
	v_bfrev_b32_e32 v23, 60
	v_lshlrev_b32_e32 v18, 20, v18
	v_and_b32_e32 v21, 0x80000000, v21
	v_lshl_add_u32 v14, v14, 23, v23
	v_or3_b32 v21, v21, v14, v18
.LBB594_427:
	s_or_b64 exec, exec, s[12:13]
.LBB594_428:
	s_or_b64 exec, exec, s[10:11]
.LBB594_429:
	s_or_b64 exec, exec, s[8:9]
	v_lshrrev_b16_e32 v14, 8, v15
	v_cmp_ne_u16_e32 vcc, 0, v14
	v_mov_b32_e32 v18, 0
	v_mov_b32_e32 v24, 0
	s_and_saveexec_b64 s[8:9], vcc
	s_cbranch_execz .LBB594_435
; %bb.430:
	s_movk_i32 s7, 0x80
	v_cmp_ne_u16_e32 vcc, s7, v14
	v_bfrev_b32_e32 v24, 1
	s_and_saveexec_b64 s[10:11], vcc
	s_cbranch_execz .LBB594_434
; %bb.431:
	s_movk_i32 s7, 0x7f
	v_and_b32_e32 v23, 0x7f, v14
	v_cmp_ne_u32_e32 vcc, s7, v23
	v_mov_b32_e32 v24, 0x7f800001
	s_and_saveexec_b64 s[12:13], vcc
	s_cbranch_execz .LBB594_433
; %bb.432:
	v_and_b32_e32 v26, 7, v14
	v_ffbh_u32_e32 v24, v26
	v_min_u32_e32 v29, 32, v24
	v_subrev_u32_e32 v24, 28, v29
	v_lshlrev_b64 v[24:25], v24, v[14:15]
	v_lshrrev_b32_e32 v27, 3, v23
	v_sub_u32_e32 v14, 29, v29
	v_and_b32_e32 v24, 7, v24
	v_cmp_gt_u32_e32 vcc, 8, v23
	v_cndmask_b32_e32 v14, v27, v14, vcc
	v_cndmask_b32_e32 v23, v26, v24, vcc
	v_lshlrev_b32_e32 v24, 16, v15
	v_bfrev_b32_e32 v25, 60
	v_lshlrev_b32_e32 v23, 20, v23
	v_and_b32_e32 v24, 0x80000000, v24
	v_lshl_add_u32 v14, v14, 23, v25
	v_or3_b32 v24, v24, v14, v23
.LBB594_433:
	s_or_b64 exec, exec, s[12:13]
.LBB594_434:
	s_or_b64 exec, exec, s[10:11]
.LBB594_435:
	s_or_b64 exec, exec, s[8:9]
	s_movk_i32 s7, 0xff
	v_and_b32_sdwa v23, v15, s7 dst_sel:DWORD dst_unused:UNUSED_PAD src0_sel:WORD_1 src1_sel:DWORD
	v_lshrrev_b32_e32 v14, 16, v15
	v_cmp_ne_u16_e32 vcc, 0, v23
	s_and_saveexec_b64 s[8:9], vcc
	s_cbranch_execz .LBB594_441
; %bb.436:
	s_movk_i32 s7, 0x80
	v_cmp_ne_u16_e32 vcc, s7, v23
	v_bfrev_b32_e32 v18, 1
	s_and_saveexec_b64 s[10:11], vcc
	s_cbranch_execz .LBB594_440
; %bb.437:
	v_bfe_u32 v23, v15, 16, 7
	s_movk_i32 s7, 0x7f
	v_cmp_ne_u32_e32 vcc, s7, v23
	v_mov_b32_e32 v18, 0x7f800001
	s_and_saveexec_b64 s[12:13], vcc
	s_cbranch_execz .LBB594_439
; %bb.438:
	v_and_b32_e32 v18, 7, v14
	v_ffbh_u32_e32 v26, v18
	v_min_u32_e32 v29, 32, v26
	v_subrev_u32_e32 v26, 28, v29
	v_lshlrev_b64 v[26:27], v26, v[14:15]
	v_lshrrev_b32_e32 v25, 3, v23
	v_sub_u32_e32 v14, 29, v29
	v_and_b32_e32 v26, 7, v26
	v_cmp_gt_u32_e32 vcc, 8, v23
	v_mov_b32_e32 v23, 24
	v_cndmask_b32_e32 v14, v25, v14, vcc
	v_cndmask_b32_e32 v18, v18, v26, vcc
	v_lshlrev_b32_sdwa v23, v23, v15 dst_sel:DWORD dst_unused:UNUSED_PAD src0_sel:DWORD src1_sel:WORD_1
	v_bfrev_b32_e32 v25, 60
	v_lshlrev_b32_e32 v18, 20, v18
	v_and_b32_e32 v23, 0x80000000, v23
	v_lshl_add_u32 v14, v14, 23, v25
	v_or3_b32 v18, v23, v14, v18
.LBB594_439:
	s_or_b64 exec, exec, s[12:13]
.LBB594_440:
	s_or_b64 exec, exec, s[10:11]
.LBB594_441:
	s_or_b64 exec, exec, s[8:9]
	s_mov_b32 s7, 0xffffff
	v_cmp_lt_u32_e32 vcc, s7, v15
	v_mov_b32_e32 v23, 0
	v_mov_b32_e32 v25, 0
	s_and_saveexec_b64 s[8:9], vcc
	s_cbranch_execz .LBB594_447
; %bb.442:
	v_lshrrev_b32_e32 v14, 24, v15
	s_movk_i32 s7, 0x80
	v_cmp_ne_u32_e32 vcc, s7, v14
	v_bfrev_b32_e32 v25, 1
	s_and_saveexec_b64 s[10:11], vcc
	s_cbranch_execz .LBB594_446
; %bb.443:
	v_bfe_u32 v15, v15, 24, 7
	s_movk_i32 s7, 0x7f
	v_cmp_ne_u32_e32 vcc, s7, v15
	v_mov_b32_e32 v25, 0x7f800001
	s_and_saveexec_b64 s[12:13], vcc
	s_cbranch_execz .LBB594_445
; %bb.444:
	v_and_b32_e32 v25, 7, v14
	v_ffbh_u32_e32 v26, v25
	v_min_u32_e32 v30, 32, v26
	v_subrev_u32_e32 v26, 28, v30
	v_lshlrev_b64 v[26:27], v26, v[14:15]
	v_lshrrev_b32_e32 v29, 3, v15
	v_sub_u32_e32 v27, 29, v30
	v_and_b32_e32 v26, 7, v26
	v_cmp_gt_u32_e32 vcc, 8, v15
	v_cndmask_b32_e32 v15, v29, v27, vcc
	v_cndmask_b32_e32 v25, v25, v26, vcc
	v_lshlrev_b32_e32 v14, 24, v14
	v_bfrev_b32_e32 v26, 60
	v_lshlrev_b32_e32 v25, 20, v25
	v_and_b32_e32 v14, 0x80000000, v14
	v_lshl_add_u32 v15, v15, 23, v26
	v_or3_b32 v25, v14, v15, v25
.LBB594_445:
	s_or_b64 exec, exec, s[12:13]
.LBB594_446:
	s_or_b64 exec, exec, s[10:11]
.LBB594_447:
	s_or_b64 exec, exec, s[8:9]
	v_cvt_pkrtz_f16_f32 v15, v19, v22
	v_lshl_or_b32 v22, v1, 9, v48
	v_cvt_pkrtz_f16_f32 v14, v32, v20
	ds_read_b128 v[30:33], v22
	v_cmp_ne_u16_sdwa s[10:11], v16, v23 src0_sel:BYTE_0 src1_sel:DWORD
	s_waitcnt lgkmcnt(0)
	v_mfma_f32_16x16x16f16 v[34:37], v[14:15], v[30:31], 0
	v_cvt_pkrtz_f16_f32 v14, v21, v24
	v_cvt_pkrtz_f16_f32 v15, v18, v25
	s_nop 1
	v_mfma_f32_16x16x16f16 v[18:21], v[14:15], v[32:33], v[34:37]
	s_and_saveexec_b64 s[8:9], s[10:11]
	s_cbranch_execz .LBB594_453
; %bb.448:
	s_movk_i32 s7, 0x80
	v_cmp_ne_u16_sdwa s[12:13], v16, s7 src0_sel:BYTE_0 src1_sel:DWORD
	v_bfrev_b32_e32 v23, 1
	s_and_saveexec_b64 s[10:11], s[12:13]
	s_cbranch_execz .LBB594_452
; %bb.449:
	s_movk_i32 s7, 0x7f
	v_and_b32_e32 v14, 0x7f, v16
	v_cmp_ne_u32_e32 vcc, s7, v14
	v_mov_b32_e32 v23, 0x7f800001
	s_and_saveexec_b64 s[12:13], vcc
	s_cbranch_execz .LBB594_451
; %bb.450:
	v_and_b32_e32 v15, 7, v16
	v_ffbh_u32_e32 v24, v15
	v_min_u32_e32 v26, 32, v24
	v_subrev_u32_e32 v24, 28, v26
	v_lshlrev_b64 v[24:25], v24, v[16:17]
	v_lshrrev_b32_e32 v23, 3, v14
	v_sub_u32_e32 v25, 29, v26
	v_and_b32_e32 v24, 7, v24
	v_cmp_gt_u32_e32 vcc, 8, v14
	v_cndmask_b32_e32 v14, v23, v25, vcc
	v_cndmask_b32_e32 v15, v15, v24, vcc
	v_lshlrev_b32_e32 v23, 24, v16
	v_bfrev_b32_e32 v24, 60
	v_lshlrev_b32_e32 v15, 20, v15
	v_and_b32_e32 v23, 0x80000000, v23
	v_lshl_add_u32 v14, v14, 23, v24
	v_or3_b32 v23, v23, v14, v15
.LBB594_451:
	s_or_b64 exec, exec, s[12:13]
.LBB594_452:
	s_or_b64 exec, exec, s[10:11]
.LBB594_453:
	s_or_b64 exec, exec, s[8:9]
	v_lshrrev_b16_e32 v14, 8, v16
	v_cmp_ne_u16_e32 vcc, 0, v14
	v_mov_b32_e32 v15, 0
	v_mov_b32_e32 v25, 0
	s_and_saveexec_b64 s[8:9], vcc
	s_cbranch_execz .LBB594_459
; %bb.454:
	s_movk_i32 s7, 0x80
	v_cmp_ne_u16_e32 vcc, s7, v14
	v_bfrev_b32_e32 v25, 1
	s_and_saveexec_b64 s[10:11], vcc
	s_cbranch_execz .LBB594_458
; %bb.455:
	s_movk_i32 s7, 0x7f
	v_and_b32_e32 v24, 0x7f, v14
	v_cmp_ne_u32_e32 vcc, s7, v24
	v_mov_b32_e32 v25, 0x7f800001
	s_and_saveexec_b64 s[12:13], vcc
	s_cbranch_execz .LBB594_457
; %bb.456:
	v_and_b32_e32 v25, 7, v14
	v_ffbh_u32_e32 v26, v25
	v_min_u32_e32 v30, 32, v26
	v_subrev_u32_e32 v26, 28, v30
	v_lshlrev_b64 v[26:27], v26, v[14:15]
	v_lshrrev_b32_e32 v29, 3, v24
	v_sub_u32_e32 v14, 29, v30
	v_and_b32_e32 v26, 7, v26
	v_cmp_gt_u32_e32 vcc, 8, v24
	v_cndmask_b32_e32 v14, v29, v14, vcc
	v_cndmask_b32_e32 v24, v25, v26, vcc
	v_lshlrev_b32_e32 v25, 16, v16
	v_bfrev_b32_e32 v26, 60
	v_lshlrev_b32_e32 v24, 20, v24
	v_and_b32_e32 v25, 0x80000000, v25
	v_lshl_add_u32 v14, v14, 23, v26
	v_or3_b32 v25, v25, v14, v24
.LBB594_457:
	s_or_b64 exec, exec, s[12:13]
.LBB594_458:
	s_or_b64 exec, exec, s[10:11]
.LBB594_459:
	s_or_b64 exec, exec, s[8:9]
	s_movk_i32 s7, 0xff
	v_and_b32_sdwa v24, v16, s7 dst_sel:DWORD dst_unused:UNUSED_PAD src0_sel:WORD_1 src1_sel:DWORD
	v_lshrrev_b32_e32 v14, 16, v16
	v_cmp_ne_u16_e32 vcc, 0, v24
	s_and_saveexec_b64 s[8:9], vcc
	s_cbranch_execz .LBB594_465
; %bb.460:
	s_movk_i32 s7, 0x80
	v_cmp_ne_u16_e32 vcc, s7, v24
	v_bfrev_b32_e32 v15, 1
	s_and_saveexec_b64 s[10:11], vcc
	s_cbranch_execz .LBB594_464
; %bb.461:
	v_bfe_u32 v24, v16, 16, 7
	s_movk_i32 s7, 0x7f
	v_cmp_ne_u32_e32 vcc, s7, v24
	v_mov_b32_e32 v15, 0x7f800001
	s_and_saveexec_b64 s[12:13], vcc
	s_cbranch_execz .LBB594_463
; %bb.462:
	v_and_b32_e32 v26, 7, v14
	v_ffbh_u32_e32 v15, v26
	v_min_u32_e32 v29, 32, v15
	v_subrev_u32_e32 v15, 28, v29
	v_lshlrev_b64 v[14:15], v15, v[14:15]
	v_lshrrev_b32_e32 v27, 3, v24
	v_sub_u32_e32 v15, 29, v29
	v_and_b32_e32 v14, 7, v14
	v_cmp_gt_u32_e32 vcc, 8, v24
	v_mov_b32_e32 v24, 24
	v_cndmask_b32_e32 v15, v27, v15, vcc
	v_cndmask_b32_e32 v14, v26, v14, vcc
	v_lshlrev_b32_sdwa v24, v24, v16 dst_sel:DWORD dst_unused:UNUSED_PAD src0_sel:DWORD src1_sel:WORD_1
	v_bfrev_b32_e32 v26, 60
	v_lshlrev_b32_e32 v14, 20, v14
	v_and_b32_e32 v24, 0x80000000, v24
	v_lshl_add_u32 v15, v15, 23, v26
	v_or3_b32 v15, v24, v15, v14
.LBB594_463:
	s_or_b64 exec, exec, s[12:13]
.LBB594_464:
	s_or_b64 exec, exec, s[10:11]
.LBB594_465:
	s_or_b64 exec, exec, s[8:9]
	s_mov_b32 s7, 0xffffff
	v_cmp_lt_u32_e32 vcc, s7, v16
	v_mov_b32_e32 v26, 0
	v_mov_b32_e32 v27, 0
	s_and_saveexec_b64 s[8:9], vcc
	s_cbranch_execz .LBB594_471
; %bb.466:
	v_lshrrev_b32_e32 v14, 24, v16
	s_movk_i32 s7, 0x80
	v_cmp_ne_u32_e32 vcc, s7, v14
	v_bfrev_b32_e32 v27, 1
	s_and_saveexec_b64 s[10:11], vcc
	s_cbranch_execz .LBB594_470
; %bb.467:
	v_bfe_u32 v16, v16, 24, 7
	s_movk_i32 s7, 0x7f
	v_cmp_ne_u32_e32 vcc, s7, v16
	v_mov_b32_e32 v27, 0x7f800001
	s_and_saveexec_b64 s[12:13], vcc
	s_cbranch_execz .LBB594_469
; %bb.468:
	v_and_b32_e32 v24, 7, v14
	v_ffbh_u32_e32 v29, v24
	v_min_u32_e32 v29, 32, v29
	v_subrev_u32_e32 v30, 28, v29
	v_lshlrev_b64 v[30:31], v30, v[14:15]
	v_lshrrev_b32_e32 v27, 3, v16
	v_sub_u32_e32 v29, 29, v29
	v_and_b32_e32 v30, 7, v30
	v_cmp_gt_u32_e32 vcc, 8, v16
	v_cndmask_b32_e32 v16, v27, v29, vcc
	v_cndmask_b32_e32 v24, v24, v30, vcc
	v_lshlrev_b32_e32 v14, 24, v14
	v_bfrev_b32_e32 v27, 60
	v_lshlrev_b32_e32 v24, 20, v24
	v_and_b32_e32 v14, 0x80000000, v14
	v_lshl_add_u32 v16, v16, 23, v27
	v_or3_b32 v27, v14, v16, v24
.LBB594_469:
	s_or_b64 exec, exec, s[12:13]
.LBB594_470:
	s_or_b64 exec, exec, s[10:11]
.LBB594_471:
	s_or_b64 exec, exec, s[8:9]
	v_cmp_ne_u16_sdwa s[10:11], v17, v26 src0_sel:BYTE_0 src1_sel:DWORD
	s_and_saveexec_b64 s[8:9], s[10:11]
	s_cbranch_execz .LBB594_477
; %bb.472:
	s_movk_i32 s7, 0x80
	v_cmp_ne_u16_sdwa s[12:13], v17, s7 src0_sel:BYTE_0 src1_sel:DWORD
	v_bfrev_b32_e32 v26, 1
	s_and_saveexec_b64 s[10:11], s[12:13]
	s_cbranch_execz .LBB594_476
; %bb.473:
	s_movk_i32 s7, 0x7f
	v_and_b32_e32 v14, 0x7f, v17
	v_cmp_ne_u32_e32 vcc, s7, v14
	v_mov_b32_e32 v26, 0x7f800001
	s_and_saveexec_b64 s[12:13], vcc
	s_cbranch_execz .LBB594_475
; %bb.474:
	v_and_b32_e32 v24, 7, v17
	v_ffbh_u32_e32 v29, v24
	v_min_u32_e32 v29, 32, v29
	v_mov_b32_e32 v16, v17
	v_subrev_u32_e32 v30, 28, v29
	v_lshlrev_b64 v[30:31], v30, v[16:17]
	v_lshrrev_b32_e32 v26, 3, v14
	v_sub_u32_e32 v16, 29, v29
	v_and_b32_e32 v29, 7, v30
	v_cmp_gt_u32_e32 vcc, 8, v14
	v_cndmask_b32_e32 v14, v26, v16, vcc
	v_cndmask_b32_e32 v16, v24, v29, vcc
	v_lshlrev_b32_e32 v24, 24, v17
	v_bfrev_b32_e32 v26, 60
	v_lshlrev_b32_e32 v16, 20, v16
	v_and_b32_e32 v24, 0x80000000, v24
	v_lshl_add_u32 v14, v14, 23, v26
	v_or3_b32 v26, v24, v14, v16
.LBB594_475:
	s_or_b64 exec, exec, s[12:13]
.LBB594_476:
	s_or_b64 exec, exec, s[10:11]
.LBB594_477:
	s_or_b64 exec, exec, s[8:9]
	v_lshrrev_b16_e32 v14, 8, v17
	v_cmp_ne_u16_e32 vcc, 0, v14
	v_mov_b32_e32 v16, 0
	v_mov_b32_e32 v29, 0
	s_and_saveexec_b64 s[8:9], vcc
	s_cbranch_execz .LBB594_483
; %bb.478:
	s_movk_i32 s7, 0x80
	v_cmp_ne_u16_e32 vcc, s7, v14
	v_bfrev_b32_e32 v29, 1
	s_and_saveexec_b64 s[10:11], vcc
	s_cbranch_execz .LBB594_482
; %bb.479:
	s_movk_i32 s7, 0x7f
	v_and_b32_e32 v24, 0x7f, v14
	v_cmp_ne_u32_e32 vcc, s7, v24
	v_mov_b32_e32 v29, 0x7f800001
	s_and_saveexec_b64 s[12:13], vcc
	s_cbranch_execz .LBB594_481
; %bb.480:
	v_and_b32_e32 v29, 7, v14
	v_ffbh_u32_e32 v30, v29
	v_min_u32_e32 v33, 32, v30
	v_subrev_u32_e32 v30, 28, v33
	v_lshlrev_b64 v[30:31], v30, v[14:15]
	v_lshrrev_b32_e32 v32, 3, v24
	v_sub_u32_e32 v14, 29, v33
	v_and_b32_e32 v30, 7, v30
	v_cmp_gt_u32_e32 vcc, 8, v24
	v_cndmask_b32_e32 v14, v32, v14, vcc
	v_cndmask_b32_e32 v24, v29, v30, vcc
	v_lshlrev_b32_e32 v29, 16, v17
	v_bfrev_b32_e32 v30, 60
	v_lshlrev_b32_e32 v24, 20, v24
	v_and_b32_e32 v29, 0x80000000, v29
	v_lshl_add_u32 v14, v14, 23, v30
	v_or3_b32 v29, v29, v14, v24
.LBB594_481:
	s_or_b64 exec, exec, s[12:13]
.LBB594_482:
	s_or_b64 exec, exec, s[10:11]
.LBB594_483:
	s_or_b64 exec, exec, s[8:9]
	s_movk_i32 s7, 0xff
	v_and_b32_sdwa v24, v17, s7 dst_sel:DWORD dst_unused:UNUSED_PAD src0_sel:WORD_1 src1_sel:DWORD
	v_lshrrev_b32_e32 v14, 16, v17
	v_cmp_ne_u16_e32 vcc, 0, v24
	s_and_saveexec_b64 s[8:9], vcc
	s_cbranch_execz .LBB594_489
; %bb.484:
	s_movk_i32 s7, 0x80
	v_cmp_ne_u16_e32 vcc, s7, v24
	v_bfrev_b32_e32 v16, 1
	s_and_saveexec_b64 s[10:11], vcc
	s_cbranch_execz .LBB594_488
; %bb.485:
	v_bfe_u32 v24, v17, 16, 7
	s_movk_i32 s7, 0x7f
	v_cmp_ne_u32_e32 vcc, s7, v24
	v_mov_b32_e32 v16, 0x7f800001
	s_and_saveexec_b64 s[12:13], vcc
	s_cbranch_execz .LBB594_487
; %bb.486:
	v_and_b32_e32 v16, 7, v14
	v_ffbh_u32_e32 v30, v16
	v_min_u32_e32 v33, 32, v30
	v_subrev_u32_e32 v30, 28, v33
	v_lshlrev_b64 v[30:31], v30, v[14:15]
	v_lshrrev_b32_e32 v32, 3, v24
	v_sub_u32_e32 v14, 29, v33
	v_and_b32_e32 v30, 7, v30
	v_cmp_gt_u32_e32 vcc, 8, v24
	v_mov_b32_e32 v24, 24
	v_cndmask_b32_e32 v14, v32, v14, vcc
	v_cndmask_b32_e32 v16, v16, v30, vcc
	v_lshlrev_b32_sdwa v24, v24, v17 dst_sel:DWORD dst_unused:UNUSED_PAD src0_sel:DWORD src1_sel:WORD_1
	v_bfrev_b32_e32 v30, 60
	v_lshlrev_b32_e32 v16, 20, v16
	v_and_b32_e32 v24, 0x80000000, v24
	v_lshl_add_u32 v14, v14, 23, v30
	v_or3_b32 v16, v24, v14, v16
.LBB594_487:
	s_or_b64 exec, exec, s[12:13]
.LBB594_488:
	s_or_b64 exec, exec, s[10:11]
.LBB594_489:
	s_or_b64 exec, exec, s[8:9]
	s_mov_b32 s7, 0xffffff
	v_cmp_lt_u32_e32 vcc, s7, v17
	v_mov_b32_e32 v24, 0
	v_mov_b32_e32 v30, 0
	s_and_saveexec_b64 s[8:9], vcc
	s_cbranch_execz .LBB594_495
; %bb.490:
	v_lshrrev_b32_e32 v14, 24, v17
	s_movk_i32 s7, 0x80
	v_cmp_ne_u32_e32 vcc, s7, v14
	v_bfrev_b32_e32 v30, 1
	s_and_saveexec_b64 s[10:11], vcc
	s_cbranch_execz .LBB594_494
; %bb.491:
	v_bfe_u32 v17, v17, 24, 7
	s_movk_i32 s7, 0x7f
	v_cmp_ne_u32_e32 vcc, s7, v17
	v_mov_b32_e32 v30, 0x7f800001
	s_and_saveexec_b64 s[12:13], vcc
	s_cbranch_execz .LBB594_493
; %bb.492:
	v_and_b32_e32 v32, 7, v14
	v_ffbh_u32_e32 v30, v32
	v_min_u32_e32 v34, 32, v30
	v_subrev_u32_e32 v30, 28, v34
	v_lshlrev_b64 v[30:31], v30, v[14:15]
	v_lshrrev_b32_e32 v33, 3, v17
	v_sub_u32_e32 v31, 29, v34
	v_and_b32_e32 v30, 7, v30
	v_cmp_gt_u32_e32 vcc, 8, v17
	v_cndmask_b32_e32 v17, v33, v31, vcc
	v_cndmask_b32_e32 v30, v32, v30, vcc
	v_lshlrev_b32_e32 v14, 24, v14
	v_bfrev_b32_e32 v31, 60
	v_lshlrev_b32_e32 v30, 20, v30
	v_and_b32_e32 v14, 0x80000000, v14
	v_lshl_add_u32 v17, v17, 23, v31
	v_or3_b32 v30, v14, v17, v30
.LBB594_493:
	s_or_b64 exec, exec, s[12:13]
.LBB594_494:
	s_or_b64 exec, exec, s[10:11]
.LBB594_495:
	s_or_b64 exec, exec, s[8:9]
	v_cvt_pkrtz_f16_f32 v14, v23, v25
	v_cvt_pkrtz_f16_f32 v15, v15, v27
	ds_read_b128 v[32:35], v22 offset:16
	s_waitcnt vmcnt(2)
	v_cmp_ne_u16_sdwa s[10:11], v10, v24 src0_sel:BYTE_0 src1_sel:DWORD
	s_waitcnt lgkmcnt(0)
	v_mfma_f32_16x16x16f16 v[18:21], v[14:15], v[32:33], v[18:21]
	v_cvt_pkrtz_f16_f32 v14, v26, v29
	v_cvt_pkrtz_f16_f32 v15, v16, v30
	s_nop 1
	v_mfma_f32_16x16x16f16 v[14:17], v[14:15], v[34:35], v[18:21]
	s_and_saveexec_b64 s[8:9], s[10:11]
	s_cbranch_execz .LBB594_501
; %bb.496:
	s_movk_i32 s7, 0x80
	v_cmp_ne_u16_sdwa s[12:13], v10, s7 src0_sel:BYTE_0 src1_sel:DWORD
	v_bfrev_b32_e32 v24, 1
	s_and_saveexec_b64 s[10:11], s[12:13]
	s_cbranch_execz .LBB594_500
; %bb.497:
	s_movk_i32 s7, 0x7f
	v_and_b32_e32 v18, 0x7f, v10
	v_cmp_ne_u32_e32 vcc, s7, v18
	v_mov_b32_e32 v24, 0x7f800001
	s_and_saveexec_b64 s[12:13], vcc
	s_cbranch_execz .LBB594_499
; %bb.498:
	v_and_b32_e32 v19, 7, v10
	v_ffbh_u32_e32 v20, v19
	v_min_u32_e32 v24, 32, v20
	v_subrev_u32_e32 v20, 28, v24
	v_lshlrev_b64 v[20:21], v20, v[10:11]
	v_lshrrev_b32_e32 v23, 3, v18
	v_sub_u32_e32 v21, 29, v24
	v_and_b32_e32 v20, 7, v20
	v_cmp_gt_u32_e32 vcc, 8, v18
	v_cndmask_b32_e32 v18, v23, v21, vcc
	v_cndmask_b32_e32 v19, v19, v20, vcc
	v_lshlrev_b32_e32 v20, 24, v10
	v_bfrev_b32_e32 v21, 60
	v_lshlrev_b32_e32 v19, 20, v19
	v_and_b32_e32 v20, 0x80000000, v20
	v_lshl_add_u32 v18, v18, 23, v21
	v_or3_b32 v24, v20, v18, v19
.LBB594_499:
	s_or_b64 exec, exec, s[12:13]
.LBB594_500:
	s_or_b64 exec, exec, s[10:11]
.LBB594_501:
	s_or_b64 exec, exec, s[8:9]
	s_nop 3
	v_lshrrev_b16_e32 v18, 8, v10
	v_cmp_ne_u16_e32 vcc, 0, v18
	v_mov_b32_e32 v19, 0
	v_mov_b32_e32 v20, 0
	s_and_saveexec_b64 s[8:9], vcc
	s_cbranch_execz .LBB594_507
; %bb.502:
	s_movk_i32 s7, 0x80
	v_cmp_ne_u16_e32 vcc, s7, v18
	v_bfrev_b32_e32 v20, 1
	s_and_saveexec_b64 s[10:11], vcc
	s_cbranch_execz .LBB594_506
; %bb.503:
	s_movk_i32 s7, 0x7f
	v_and_b32_e32 v21, 0x7f, v18
	v_cmp_ne_u32_e32 vcc, s7, v21
	v_mov_b32_e32 v20, 0x7f800001
	s_and_saveexec_b64 s[12:13], vcc
	s_cbranch_execz .LBB594_505
; %bb.504:
	v_and_b32_e32 v20, 7, v18
	v_ffbh_u32_e32 v25, v20
	v_min_u32_e32 v25, 32, v25
	v_subrev_u32_e32 v26, 28, v25
	v_lshlrev_b64 v[26:27], v26, v[18:19]
	v_lshrrev_b32_e32 v23, 3, v21
	v_sub_u32_e32 v18, 29, v25
	v_and_b32_e32 v25, 7, v26
	v_cmp_gt_u32_e32 vcc, 8, v21
	v_cndmask_b32_e32 v18, v23, v18, vcc
	v_cndmask_b32_e32 v20, v20, v25, vcc
	v_lshlrev_b32_e32 v21, 16, v10
	v_bfrev_b32_e32 v23, 60
	v_lshlrev_b32_e32 v20, 20, v20
	v_and_b32_e32 v21, 0x80000000, v21
	v_lshl_add_u32 v18, v18, 23, v23
	v_or3_b32 v20, v21, v18, v20
.LBB594_505:
	s_or_b64 exec, exec, s[12:13]
.LBB594_506:
	s_or_b64 exec, exec, s[10:11]
.LBB594_507:
	s_or_b64 exec, exec, s[8:9]
	s_movk_i32 s7, 0xff
	v_and_b32_sdwa v21, v10, s7 dst_sel:DWORD dst_unused:UNUSED_PAD src0_sel:WORD_1 src1_sel:DWORD
	v_lshrrev_b32_e32 v18, 16, v10
	v_cmp_ne_u16_e32 vcc, 0, v21
	s_and_saveexec_b64 s[8:9], vcc
	s_cbranch_execz .LBB594_513
; %bb.508:
	s_movk_i32 s7, 0x80
	v_cmp_ne_u16_e32 vcc, s7, v21
	v_bfrev_b32_e32 v19, 1
	s_and_saveexec_b64 s[10:11], vcc
	s_cbranch_execz .LBB594_512
; %bb.509:
	v_bfe_u32 v21, v10, 16, 7
	s_movk_i32 s7, 0x7f
	v_cmp_ne_u32_e32 vcc, s7, v21
	v_mov_b32_e32 v19, 0x7f800001
	s_and_saveexec_b64 s[12:13], vcc
	s_cbranch_execz .LBB594_511
; %bb.510:
	v_and_b32_e32 v23, 7, v18
	v_ffbh_u32_e32 v19, v23
	v_min_u32_e32 v26, 32, v19
	v_subrev_u32_e32 v19, 28, v26
	v_lshlrev_b64 v[18:19], v19, v[18:19]
	v_lshrrev_b32_e32 v25, 3, v21
	v_sub_u32_e32 v19, 29, v26
	v_and_b32_e32 v18, 7, v18
	v_cmp_gt_u32_e32 vcc, 8, v21
	v_mov_b32_e32 v21, 24
	v_cndmask_b32_e32 v19, v25, v19, vcc
	v_cndmask_b32_e32 v18, v23, v18, vcc
	v_lshlrev_b32_sdwa v21, v21, v10 dst_sel:DWORD dst_unused:UNUSED_PAD src0_sel:DWORD src1_sel:WORD_1
	v_bfrev_b32_e32 v23, 60
	v_lshlrev_b32_e32 v18, 20, v18
	v_and_b32_e32 v21, 0x80000000, v21
	v_lshl_add_u32 v19, v19, 23, v23
	v_or3_b32 v19, v21, v19, v18
.LBB594_511:
	s_or_b64 exec, exec, s[12:13]
.LBB594_512:
	s_or_b64 exec, exec, s[10:11]
.LBB594_513:
	s_or_b64 exec, exec, s[8:9]
	s_mov_b32 s7, 0xffffff
	v_cmp_lt_u32_e32 vcc, s7, v10
	v_mov_b32_e32 v21, 0
	v_mov_b32_e32 v23, 0
	s_and_saveexec_b64 s[8:9], vcc
	s_cbranch_execz .LBB594_519
; %bb.514:
	v_lshrrev_b32_e32 v18, 24, v10
	s_movk_i32 s7, 0x80
	v_cmp_ne_u32_e32 vcc, s7, v18
	v_bfrev_b32_e32 v23, 1
	s_and_saveexec_b64 s[10:11], vcc
	s_cbranch_execz .LBB594_518
; %bb.515:
	v_bfe_u32 v10, v10, 24, 7
	s_movk_i32 s7, 0x7f
	v_cmp_ne_u32_e32 vcc, s7, v10
	v_mov_b32_e32 v23, 0x7f800001
	s_and_saveexec_b64 s[12:13], vcc
	s_cbranch_execz .LBB594_517
; %bb.516:
	v_and_b32_e32 v23, 7, v18
	v_ffbh_u32_e32 v26, v23
	v_min_u32_e32 v29, 32, v26
	v_subrev_u32_e32 v26, 28, v29
	v_lshlrev_b64 v[26:27], v26, v[18:19]
	v_lshrrev_b32_e32 v25, 3, v10
	v_sub_u32_e32 v27, 29, v29
	v_and_b32_e32 v26, 7, v26
	v_cmp_gt_u32_e32 vcc, 8, v10
	v_cndmask_b32_e32 v10, v25, v27, vcc
	v_cndmask_b32_e32 v23, v23, v26, vcc
	v_lshlrev_b32_e32 v18, 24, v18
	v_bfrev_b32_e32 v25, 60
	v_lshlrev_b32_e32 v23, 20, v23
	v_and_b32_e32 v18, 0x80000000, v18
	v_lshl_add_u32 v10, v10, 23, v25
	v_or3_b32 v23, v18, v10, v23
.LBB594_517:
	s_or_b64 exec, exec, s[12:13]
.LBB594_518:
	s_or_b64 exec, exec, s[10:11]
.LBB594_519:
	s_or_b64 exec, exec, s[8:9]
	v_cmp_ne_u16_sdwa s[10:11], v11, v21 src0_sel:BYTE_0 src1_sel:DWORD
	s_and_saveexec_b64 s[8:9], s[10:11]
	s_cbranch_execz .LBB594_525
; %bb.520:
	s_movk_i32 s7, 0x80
	v_cmp_ne_u16_sdwa s[12:13], v11, s7 src0_sel:BYTE_0 src1_sel:DWORD
	v_bfrev_b32_e32 v21, 1
	s_and_saveexec_b64 s[10:11], s[12:13]
	s_cbranch_execz .LBB594_524
; %bb.521:
	s_movk_i32 s7, 0x7f
	v_and_b32_e32 v10, 0x7f, v11
	v_cmp_ne_u32_e32 vcc, s7, v10
	v_mov_b32_e32 v21, 0x7f800001
	s_and_saveexec_b64 s[12:13], vcc
	s_cbranch_execz .LBB594_523
; %bb.522:
	v_and_b32_e32 v21, 7, v11
	v_ffbh_u32_e32 v26, v21
	v_min_u32_e32 v29, 32, v26
	v_mov_b32_e32 v18, v11
	v_subrev_u32_e32 v26, 28, v29
	v_lshlrev_b64 v[26:27], v26, v[18:19]
	v_lshrrev_b32_e32 v25, 3, v10
	v_sub_u32_e32 v18, 29, v29
	v_and_b32_e32 v26, 7, v26
	v_cmp_gt_u32_e32 vcc, 8, v10
	v_cndmask_b32_e32 v10, v25, v18, vcc
	v_cndmask_b32_e32 v18, v21, v26, vcc
	v_lshlrev_b32_e32 v21, 24, v11
	v_bfrev_b32_e32 v25, 60
	v_lshlrev_b32_e32 v18, 20, v18
	v_and_b32_e32 v21, 0x80000000, v21
	v_lshl_add_u32 v10, v10, 23, v25
	v_or3_b32 v21, v21, v10, v18
.LBB594_523:
	s_or_b64 exec, exec, s[12:13]
.LBB594_524:
	s_or_b64 exec, exec, s[10:11]
.LBB594_525:
	s_or_b64 exec, exec, s[8:9]
	v_lshrrev_b16_e32 v10, 8, v11
	v_cmp_ne_u16_e32 vcc, 0, v10
	v_mov_b32_e32 v25, 0
	v_mov_b32_e32 v26, 0
	s_and_saveexec_b64 s[8:9], vcc
	s_cbranch_execz .LBB594_531
; %bb.526:
	s_movk_i32 s7, 0x80
	v_cmp_ne_u16_e32 vcc, s7, v10
	v_bfrev_b32_e32 v26, 1
	s_and_saveexec_b64 s[10:11], vcc
	s_cbranch_execz .LBB594_530
; %bb.527:
	s_movk_i32 s7, 0x7f
	v_and_b32_e32 v18, 0x7f, v10
	v_cmp_ne_u32_e32 vcc, s7, v18
	v_mov_b32_e32 v26, 0x7f800001
	s_and_saveexec_b64 s[12:13], vcc
	s_cbranch_execz .LBB594_529
; %bb.528:
	v_and_b32_e32 v29, 7, v10
	v_ffbh_u32_e32 v26, v29
	v_min_u32_e32 v31, 32, v26
	v_subrev_u32_e32 v26, 28, v31
	v_lshlrev_b64 v[26:27], v26, v[10:11]
	v_lshrrev_b32_e32 v30, 3, v18
	v_sub_u32_e32 v10, 29, v31
	v_and_b32_e32 v26, 7, v26
	v_cmp_gt_u32_e32 vcc, 8, v18
	v_cndmask_b32_e32 v10, v30, v10, vcc
	v_cndmask_b32_e32 v18, v29, v26, vcc
	v_lshlrev_b32_e32 v26, 16, v11
	v_bfrev_b32_e32 v27, 60
	v_lshlrev_b32_e32 v18, 20, v18
	v_and_b32_e32 v26, 0x80000000, v26
	v_lshl_add_u32 v10, v10, 23, v27
	v_or3_b32 v26, v26, v10, v18
.LBB594_529:
	s_or_b64 exec, exec, s[12:13]
.LBB594_530:
	s_or_b64 exec, exec, s[10:11]
.LBB594_531:
	s_or_b64 exec, exec, s[8:9]
	s_movk_i32 s7, 0xff
	v_and_b32_sdwa v18, v11, s7 dst_sel:DWORD dst_unused:UNUSED_PAD src0_sel:WORD_1 src1_sel:DWORD
	v_lshrrev_b32_e32 v10, 16, v11
	v_cmp_ne_u16_e32 vcc, 0, v18
	s_and_saveexec_b64 s[8:9], vcc
	s_cbranch_execz .LBB594_537
; %bb.532:
	s_movk_i32 s7, 0x80
	v_cmp_ne_u16_e32 vcc, s7, v18
	v_bfrev_b32_e32 v25, 1
	s_and_saveexec_b64 s[10:11], vcc
	s_cbranch_execz .LBB594_536
; %bb.533:
	v_bfe_u32 v18, v11, 16, 7
	s_movk_i32 s7, 0x7f
	v_cmp_ne_u32_e32 vcc, s7, v18
	v_mov_b32_e32 v25, 0x7f800001
	s_and_saveexec_b64 s[12:13], vcc
	s_cbranch_execz .LBB594_535
; %bb.534:
	v_and_b32_e32 v25, 7, v10
	v_ffbh_u32_e32 v29, v25
	v_min_u32_e32 v29, 32, v29
	v_subrev_u32_e32 v30, 28, v29
	v_lshlrev_b64 v[30:31], v30, v[10:11]
	v_sub_u32_e32 v10, 29, v29
	v_and_b32_e32 v29, 7, v30
	v_cmp_gt_u32_e32 vcc, 8, v18
	v_lshrrev_b32_e32 v27, 3, v18
	v_cndmask_b32_e32 v18, v25, v29, vcc
	v_mov_b32_e32 v25, 24
	v_cndmask_b32_e32 v10, v27, v10, vcc
	v_lshlrev_b32_sdwa v25, v25, v11 dst_sel:DWORD dst_unused:UNUSED_PAD src0_sel:DWORD src1_sel:WORD_1
	v_bfrev_b32_e32 v27, 60
	v_lshlrev_b32_e32 v18, 20, v18
	v_and_b32_e32 v25, 0x80000000, v25
	v_lshl_add_u32 v10, v10, 23, v27
	v_or3_b32 v25, v25, v10, v18
.LBB594_535:
	s_or_b64 exec, exec, s[12:13]
.LBB594_536:
	s_or_b64 exec, exec, s[10:11]
.LBB594_537:
	s_or_b64 exec, exec, s[8:9]
	s_mov_b32 s7, 0xffffff
	v_cmp_lt_u32_e32 vcc, s7, v11
	v_mov_b32_e32 v18, 0
	v_mov_b32_e32 v27, 0
	s_and_saveexec_b64 s[8:9], vcc
	s_cbranch_execz .LBB594_543
; %bb.538:
	v_lshrrev_b32_e32 v10, 24, v11
	s_movk_i32 s7, 0x80
	v_cmp_ne_u32_e32 vcc, s7, v10
	v_bfrev_b32_e32 v27, 1
	s_and_saveexec_b64 s[10:11], vcc
	s_cbranch_execz .LBB594_542
; %bb.539:
	v_bfe_u32 v11, v11, 24, 7
	s_movk_i32 s7, 0x7f
	v_cmp_ne_u32_e32 vcc, s7, v11
	v_mov_b32_e32 v27, 0x7f800001
	s_and_saveexec_b64 s[12:13], vcc
	s_cbranch_execz .LBB594_541
; %bb.540:
	v_and_b32_e32 v27, 7, v10
	v_ffbh_u32_e32 v30, v27
	v_min_u32_e32 v32, 32, v30
	v_subrev_u32_e32 v30, 28, v32
	v_lshlrev_b64 v[30:31], v30, v[10:11]
	v_lshrrev_b32_e32 v29, 3, v11
	v_sub_u32_e32 v31, 29, v32
	v_and_b32_e32 v30, 7, v30
	v_cmp_gt_u32_e32 vcc, 8, v11
	v_cndmask_b32_e32 v11, v29, v31, vcc
	v_cndmask_b32_e32 v27, v27, v30, vcc
	v_lshlrev_b32_e32 v10, 24, v10
	v_bfrev_b32_e32 v29, 60
	v_lshlrev_b32_e32 v27, 20, v27
	v_and_b32_e32 v10, 0x80000000, v10
	v_lshl_add_u32 v11, v11, 23, v29
	v_or3_b32 v27, v10, v11, v27
.LBB594_541:
	s_or_b64 exec, exec, s[12:13]
.LBB594_542:
	s_or_b64 exec, exec, s[10:11]
.LBB594_543:
	s_or_b64 exec, exec, s[8:9]
	v_cvt_pkrtz_f16_f32 v10, v24, v20
	v_cvt_pkrtz_f16_f32 v11, v19, v23
	ds_read_b128 v[30:33], v22 offset:2048
	v_cmp_ne_u16_sdwa s[10:11], v12, v18 src0_sel:BYTE_0 src1_sel:DWORD
	s_waitcnt lgkmcnt(0)
	v_mfma_f32_16x16x16f16 v[14:17], v[10:11], v[30:31], v[14:17]
	v_cvt_pkrtz_f16_f32 v10, v21, v26
	v_cvt_pkrtz_f16_f32 v11, v25, v27
	s_nop 1
	v_mfma_f32_16x16x16f16 v[14:17], v[10:11], v[32:33], v[14:17]
	s_and_saveexec_b64 s[8:9], s[10:11]
	s_cbranch_execz .LBB594_549
; %bb.544:
	s_movk_i32 s7, 0x80
	v_cmp_ne_u16_sdwa s[12:13], v12, s7 src0_sel:BYTE_0 src1_sel:DWORD
	v_bfrev_b32_e32 v18, 1
	s_and_saveexec_b64 s[10:11], s[12:13]
	s_cbranch_execz .LBB594_548
; %bb.545:
	s_movk_i32 s7, 0x7f
	v_and_b32_e32 v10, 0x7f, v12
	v_cmp_ne_u32_e32 vcc, s7, v10
	v_mov_b32_e32 v18, 0x7f800001
	s_and_saveexec_b64 s[12:13], vcc
	s_cbranch_execz .LBB594_547
; %bb.546:
	v_and_b32_e32 v11, 7, v12
	v_ffbh_u32_e32 v18, v11
	v_min_u32_e32 v21, 32, v18
	v_subrev_u32_e32 v18, 28, v21
	v_lshlrev_b64 v[18:19], v18, v[12:13]
	v_lshrrev_b32_e32 v20, 3, v10
	v_sub_u32_e32 v19, 29, v21
	v_and_b32_e32 v18, 7, v18
	v_cmp_gt_u32_e32 vcc, 8, v10
	v_cndmask_b32_e32 v10, v20, v19, vcc
	v_cndmask_b32_e32 v11, v11, v18, vcc
	v_lshlrev_b32_e32 v18, 24, v12
	v_bfrev_b32_e32 v19, 60
	v_lshlrev_b32_e32 v11, 20, v11
	v_and_b32_e32 v18, 0x80000000, v18
	v_lshl_add_u32 v10, v10, 23, v19
	v_or3_b32 v18, v18, v10, v11
.LBB594_547:
	s_or_b64 exec, exec, s[12:13]
.LBB594_548:
	s_or_b64 exec, exec, s[10:11]
.LBB594_549:
	s_or_b64 exec, exec, s[8:9]
	v_lshrrev_b16_e32 v10, 8, v12
	v_cmp_ne_u16_e32 vcc, 0, v10
	v_mov_b32_e32 v11, 0
	v_mov_b32_e32 v20, 0
	s_and_saveexec_b64 s[8:9], vcc
	s_cbranch_execz .LBB594_555
; %bb.550:
	s_movk_i32 s7, 0x80
	v_cmp_ne_u16_e32 vcc, s7, v10
	v_bfrev_b32_e32 v20, 1
	s_and_saveexec_b64 s[10:11], vcc
	s_cbranch_execz .LBB594_554
; %bb.551:
	s_movk_i32 s7, 0x7f
	v_and_b32_e32 v19, 0x7f, v10
	v_cmp_ne_u32_e32 vcc, s7, v19
	v_mov_b32_e32 v20, 0x7f800001
	s_and_saveexec_b64 s[12:13], vcc
	s_cbranch_execz .LBB594_553
; %bb.552:
	v_and_b32_e32 v23, 7, v10
	v_ffbh_u32_e32 v20, v23
	v_min_u32_e32 v25, 32, v20
	v_subrev_u32_e32 v20, 28, v25
	v_lshlrev_b64 v[20:21], v20, v[10:11]
	v_lshrrev_b32_e32 v24, 3, v19
	v_sub_u32_e32 v10, 29, v25
	v_and_b32_e32 v20, 7, v20
	v_cmp_gt_u32_e32 vcc, 8, v19
	v_cndmask_b32_e32 v10, v24, v10, vcc
	v_cndmask_b32_e32 v19, v23, v20, vcc
	v_lshlrev_b32_e32 v20, 16, v12
	v_bfrev_b32_e32 v21, 60
	v_lshlrev_b32_e32 v19, 20, v19
	v_and_b32_e32 v20, 0x80000000, v20
	v_lshl_add_u32 v10, v10, 23, v21
	v_or3_b32 v20, v20, v10, v19
.LBB594_553:
	s_or_b64 exec, exec, s[12:13]
.LBB594_554:
	s_or_b64 exec, exec, s[10:11]
.LBB594_555:
	s_or_b64 exec, exec, s[8:9]
	s_movk_i32 s7, 0xff
	v_and_b32_sdwa v19, v12, s7 dst_sel:DWORD dst_unused:UNUSED_PAD src0_sel:WORD_1 src1_sel:DWORD
	v_lshrrev_b32_e32 v10, 16, v12
	v_cmp_ne_u16_e32 vcc, 0, v19
	s_and_saveexec_b64 s[8:9], vcc
	s_cbranch_execz .LBB594_561
; %bb.556:
	s_movk_i32 s7, 0x80
	v_cmp_ne_u16_e32 vcc, s7, v19
	v_bfrev_b32_e32 v11, 1
	s_and_saveexec_b64 s[10:11], vcc
	s_cbranch_execz .LBB594_560
; %bb.557:
	v_bfe_u32 v19, v12, 16, 7
	s_movk_i32 s7, 0x7f
	v_cmp_ne_u32_e32 vcc, s7, v19
	v_mov_b32_e32 v11, 0x7f800001
	s_and_saveexec_b64 s[12:13], vcc
	s_cbranch_execz .LBB594_559
; %bb.558:
	v_and_b32_e32 v21, 7, v10
	v_ffbh_u32_e32 v11, v21
	v_min_u32_e32 v24, 32, v11
	v_subrev_u32_e32 v11, 28, v24
	v_lshlrev_b64 v[10:11], v11, v[10:11]
	v_lshrrev_b32_e32 v23, 3, v19
	v_sub_u32_e32 v11, 29, v24
	v_and_b32_e32 v10, 7, v10
	v_cmp_gt_u32_e32 vcc, 8, v19
	v_mov_b32_e32 v19, 24
	v_cndmask_b32_e32 v11, v23, v11, vcc
	v_cndmask_b32_e32 v10, v21, v10, vcc
	v_lshlrev_b32_sdwa v19, v19, v12 dst_sel:DWORD dst_unused:UNUSED_PAD src0_sel:DWORD src1_sel:WORD_1
	v_bfrev_b32_e32 v21, 60
	v_lshlrev_b32_e32 v10, 20, v10
	v_and_b32_e32 v19, 0x80000000, v19
	v_lshl_add_u32 v11, v11, 23, v21
	v_or3_b32 v11, v19, v11, v10
.LBB594_559:
	s_or_b64 exec, exec, s[12:13]
.LBB594_560:
	s_or_b64 exec, exec, s[10:11]
.LBB594_561:
	s_or_b64 exec, exec, s[8:9]
	s_mov_b32 s7, 0xffffff
	v_cmp_lt_u32_e32 vcc, s7, v12
	v_mov_b32_e32 v21, 0
	v_mov_b32_e32 v23, 0
	s_and_saveexec_b64 s[8:9], vcc
	s_cbranch_execz .LBB594_567
; %bb.562:
	v_lshrrev_b32_e32 v10, 24, v12
	s_movk_i32 s7, 0x80
	v_cmp_ne_u32_e32 vcc, s7, v10
	v_bfrev_b32_e32 v23, 1
	s_and_saveexec_b64 s[10:11], vcc
	s_cbranch_execz .LBB594_566
; %bb.563:
	v_bfe_u32 v12, v12, 24, 7
	s_movk_i32 s7, 0x7f
	v_cmp_ne_u32_e32 vcc, s7, v12
	v_mov_b32_e32 v23, 0x7f800001
	s_and_saveexec_b64 s[12:13], vcc
	s_cbranch_execz .LBB594_565
; %bb.564:
	v_and_b32_e32 v19, 7, v10
	v_ffbh_u32_e32 v24, v19
	v_min_u32_e32 v26, 32, v24
	v_subrev_u32_e32 v24, 28, v26
	v_lshlrev_b64 v[24:25], v24, v[10:11]
	v_lshrrev_b32_e32 v23, 3, v12
	v_sub_u32_e32 v25, 29, v26
	v_and_b32_e32 v24, 7, v24
	v_cmp_gt_u32_e32 vcc, 8, v12
	v_cndmask_b32_e32 v12, v23, v25, vcc
	v_cndmask_b32_e32 v19, v19, v24, vcc
	v_lshlrev_b32_e32 v10, 24, v10
	v_bfrev_b32_e32 v23, 60
	v_lshlrev_b32_e32 v19, 20, v19
	v_and_b32_e32 v10, 0x80000000, v10
	v_lshl_add_u32 v12, v12, 23, v23
	v_or3_b32 v23, v10, v12, v19
.LBB594_565:
	s_or_b64 exec, exec, s[12:13]
.LBB594_566:
	s_or_b64 exec, exec, s[10:11]
.LBB594_567:
	s_or_b64 exec, exec, s[8:9]
	v_cmp_ne_u16_sdwa s[10:11], v13, v21 src0_sel:BYTE_0 src1_sel:DWORD
	s_and_saveexec_b64 s[8:9], s[10:11]
	s_cbranch_execz .LBB594_573
; %bb.568:
	s_movk_i32 s7, 0x80
	v_cmp_ne_u16_sdwa s[12:13], v13, s7 src0_sel:BYTE_0 src1_sel:DWORD
	v_bfrev_b32_e32 v21, 1
	s_and_saveexec_b64 s[10:11], s[12:13]
	s_cbranch_execz .LBB594_572
; %bb.569:
	s_movk_i32 s7, 0x7f
	v_and_b32_e32 v10, 0x7f, v13
	v_cmp_ne_u32_e32 vcc, s7, v10
	v_mov_b32_e32 v21, 0x7f800001
	s_and_saveexec_b64 s[12:13], vcc
	s_cbranch_execz .LBB594_571
; %bb.570:
	v_and_b32_e32 v19, 7, v13
	v_ffbh_u32_e32 v24, v19
	v_min_u32_e32 v26, 32, v24
	v_mov_b32_e32 v12, v13
	v_subrev_u32_e32 v24, 28, v26
	v_lshlrev_b64 v[24:25], v24, v[12:13]
	v_lshrrev_b32_e32 v21, 3, v10
	v_sub_u32_e32 v12, 29, v26
	v_and_b32_e32 v24, 7, v24
	v_cmp_gt_u32_e32 vcc, 8, v10
	v_cndmask_b32_e32 v10, v21, v12, vcc
	v_cndmask_b32_e32 v12, v19, v24, vcc
	v_lshlrev_b32_e32 v19, 24, v13
	v_bfrev_b32_e32 v21, 60
	v_lshlrev_b32_e32 v12, 20, v12
	v_and_b32_e32 v19, 0x80000000, v19
	v_lshl_add_u32 v10, v10, 23, v21
	v_or3_b32 v21, v19, v10, v12
.LBB594_571:
	s_or_b64 exec, exec, s[12:13]
.LBB594_572:
	s_or_b64 exec, exec, s[10:11]
.LBB594_573:
	s_or_b64 exec, exec, s[8:9]
	v_lshrrev_b16_e32 v10, 8, v13
	v_cmp_ne_u16_e32 vcc, 0, v10
	v_mov_b32_e32 v12, 0
	v_mov_b32_e32 v24, 0
	s_and_saveexec_b64 s[8:9], vcc
	s_cbranch_execz .LBB594_579
; %bb.574:
	s_movk_i32 s7, 0x80
	v_cmp_ne_u16_e32 vcc, s7, v10
	v_bfrev_b32_e32 v24, 1
	s_and_saveexec_b64 s[10:11], vcc
	s_cbranch_execz .LBB594_578
; %bb.575:
	s_movk_i32 s7, 0x7f
	v_and_b32_e32 v19, 0x7f, v10
	v_cmp_ne_u32_e32 vcc, s7, v19
	v_mov_b32_e32 v24, 0x7f800001
	s_and_saveexec_b64 s[12:13], vcc
	s_cbranch_execz .LBB594_577
; %bb.576:
	v_and_b32_e32 v26, 7, v10
	v_ffbh_u32_e32 v24, v26
	v_min_u32_e32 v29, 32, v24
	v_subrev_u32_e32 v24, 28, v29
	v_lshlrev_b64 v[24:25], v24, v[10:11]
	v_lshrrev_b32_e32 v27, 3, v19
	v_sub_u32_e32 v10, 29, v29
	v_and_b32_e32 v24, 7, v24
	v_cmp_gt_u32_e32 vcc, 8, v19
	v_cndmask_b32_e32 v10, v27, v10, vcc
	v_cndmask_b32_e32 v19, v26, v24, vcc
	v_lshlrev_b32_e32 v24, 16, v13
	v_bfrev_b32_e32 v25, 60
	v_lshlrev_b32_e32 v19, 20, v19
	v_and_b32_e32 v24, 0x80000000, v24
	v_lshl_add_u32 v10, v10, 23, v25
	v_or3_b32 v24, v24, v10, v19
.LBB594_577:
	s_or_b64 exec, exec, s[12:13]
.LBB594_578:
	s_or_b64 exec, exec, s[10:11]
.LBB594_579:
	s_or_b64 exec, exec, s[8:9]
	s_movk_i32 s7, 0xff
	v_and_b32_sdwa v19, v13, s7 dst_sel:DWORD dst_unused:UNUSED_PAD src0_sel:WORD_1 src1_sel:DWORD
	v_lshrrev_b32_e32 v10, 16, v13
	v_cmp_ne_u16_e32 vcc, 0, v19
	s_and_saveexec_b64 s[8:9], vcc
	s_cbranch_execz .LBB594_585
; %bb.580:
	s_movk_i32 s7, 0x80
	v_cmp_ne_u16_e32 vcc, s7, v19
	v_bfrev_b32_e32 v12, 1
	s_and_saveexec_b64 s[10:11], vcc
	s_cbranch_execz .LBB594_584
; %bb.581:
	v_bfe_u32 v19, v13, 16, 7
	s_movk_i32 s7, 0x7f
	v_cmp_ne_u32_e32 vcc, s7, v19
	v_mov_b32_e32 v12, 0x7f800001
	s_and_saveexec_b64 s[12:13], vcc
	s_cbranch_execz .LBB594_583
; %bb.582:
	v_and_b32_e32 v12, 7, v10
	v_ffbh_u32_e32 v26, v12
	v_min_u32_e32 v29, 32, v26
	v_subrev_u32_e32 v26, 28, v29
	v_lshlrev_b64 v[26:27], v26, v[10:11]
	v_lshrrev_b32_e32 v25, 3, v19
	v_sub_u32_e32 v10, 29, v29
	v_and_b32_e32 v26, 7, v26
	v_cmp_gt_u32_e32 vcc, 8, v19
	v_mov_b32_e32 v19, 24
	v_cndmask_b32_e32 v10, v25, v10, vcc
	v_cndmask_b32_e32 v12, v12, v26, vcc
	v_lshlrev_b32_sdwa v19, v19, v13 dst_sel:DWORD dst_unused:UNUSED_PAD src0_sel:DWORD src1_sel:WORD_1
	v_bfrev_b32_e32 v25, 60
	v_lshlrev_b32_e32 v12, 20, v12
	v_and_b32_e32 v19, 0x80000000, v19
	v_lshl_add_u32 v10, v10, 23, v25
	v_or3_b32 v12, v19, v10, v12
.LBB594_583:
	s_or_b64 exec, exec, s[12:13]
.LBB594_584:
	s_or_b64 exec, exec, s[10:11]
.LBB594_585:
	s_or_b64 exec, exec, s[8:9]
	s_mov_b32 s7, 0xffffff
	v_cmp_lt_u32_e32 vcc, s7, v13
	v_mov_b32_e32 v19, 0
	v_mov_b32_e32 v25, 0
	s_and_saveexec_b64 s[8:9], vcc
	s_cbranch_execz .LBB594_591
; %bb.586:
	v_lshrrev_b32_e32 v10, 24, v13
	s_movk_i32 s7, 0x80
	v_cmp_ne_u32_e32 vcc, s7, v10
	v_bfrev_b32_e32 v25, 1
	s_and_saveexec_b64 s[10:11], vcc
	s_cbranch_execz .LBB594_590
; %bb.587:
	v_bfe_u32 v13, v13, 24, 7
	s_movk_i32 s7, 0x7f
	v_cmp_ne_u32_e32 vcc, s7, v13
	v_mov_b32_e32 v25, 0x7f800001
	s_and_saveexec_b64 s[12:13], vcc
	s_cbranch_execz .LBB594_589
; %bb.588:
	v_and_b32_e32 v25, 7, v10
	v_ffbh_u32_e32 v26, v25
	v_min_u32_e32 v30, 32, v26
	v_subrev_u32_e32 v26, 28, v30
	v_lshlrev_b64 v[26:27], v26, v[10:11]
	v_lshrrev_b32_e32 v29, 3, v13
	v_sub_u32_e32 v27, 29, v30
	v_and_b32_e32 v26, 7, v26
	v_cmp_gt_u32_e32 vcc, 8, v13
	v_cndmask_b32_e32 v13, v29, v27, vcc
	v_cndmask_b32_e32 v25, v25, v26, vcc
	v_lshlrev_b32_e32 v10, 24, v10
	v_bfrev_b32_e32 v26, 60
	v_lshlrev_b32_e32 v25, 20, v25
	v_and_b32_e32 v10, 0x80000000, v10
	v_lshl_add_u32 v13, v13, 23, v26
	v_or3_b32 v25, v10, v13, v25
.LBB594_589:
	s_or_b64 exec, exec, s[12:13]
.LBB594_590:
	s_or_b64 exec, exec, s[10:11]
.LBB594_591:
	s_or_b64 exec, exec, s[8:9]
	v_cvt_pkrtz_f16_f32 v10, v18, v20
	v_cvt_pkrtz_f16_f32 v11, v11, v23
	ds_read_b128 v[30:33], v22 offset:2064
	s_waitcnt vmcnt(1)
	v_cmp_ne_u16_sdwa s[10:11], v6, v19 src0_sel:BYTE_0 src1_sel:DWORD
	s_waitcnt lgkmcnt(0)
	v_mfma_f32_16x16x16f16 v[14:17], v[10:11], v[30:31], v[14:17]
	v_cvt_pkrtz_f16_f32 v10, v21, v24
	v_cvt_pkrtz_f16_f32 v11, v12, v25
	s_nop 1
	v_mfma_f32_16x16x16f16 v[10:13], v[10:11], v[32:33], v[14:17]
	s_and_saveexec_b64 s[8:9], s[10:11]
	s_cbranch_execz .LBB594_597
; %bb.592:
	s_movk_i32 s7, 0x80
	v_cmp_ne_u16_sdwa s[12:13], v6, s7 src0_sel:BYTE_0 src1_sel:DWORD
	v_bfrev_b32_e32 v19, 1
	s_and_saveexec_b64 s[10:11], s[12:13]
	s_cbranch_execz .LBB594_596
; %bb.593:
	s_movk_i32 s7, 0x7f
	v_and_b32_e32 v14, 0x7f, v6
	v_cmp_ne_u32_e32 vcc, s7, v14
	v_mov_b32_e32 v19, 0x7f800001
	s_and_saveexec_b64 s[12:13], vcc
	s_cbranch_execz .LBB594_595
; %bb.594:
	v_and_b32_e32 v15, 7, v6
	v_ffbh_u32_e32 v16, v15
	v_min_u32_e32 v19, 32, v16
	v_subrev_u32_e32 v16, 28, v19
	v_lshlrev_b64 v[16:17], v16, v[6:7]
	v_lshrrev_b32_e32 v18, 3, v14
	v_sub_u32_e32 v17, 29, v19
	v_and_b32_e32 v16, 7, v16
	v_cmp_gt_u32_e32 vcc, 8, v14
	v_cndmask_b32_e32 v14, v18, v17, vcc
	v_cndmask_b32_e32 v15, v15, v16, vcc
	v_lshlrev_b32_e32 v16, 24, v6
	v_bfrev_b32_e32 v17, 60
	v_lshlrev_b32_e32 v15, 20, v15
	v_and_b32_e32 v16, 0x80000000, v16
	v_lshl_add_u32 v14, v14, 23, v17
	v_or3_b32 v19, v16, v14, v15
.LBB594_595:
	s_or_b64 exec, exec, s[12:13]
.LBB594_596:
	s_or_b64 exec, exec, s[10:11]
.LBB594_597:
	s_or_b64 exec, exec, s[8:9]
	s_nop 3
	v_lshrrev_b16_e32 v14, 8, v6
	v_cmp_ne_u16_e32 vcc, 0, v14
	v_mov_b32_e32 v15, 0
	v_mov_b32_e32 v16, 0
	s_and_saveexec_b64 s[8:9], vcc
	s_cbranch_execz .LBB594_603
; %bb.598:
	s_movk_i32 s7, 0x80
	v_cmp_ne_u16_e32 vcc, s7, v14
	v_bfrev_b32_e32 v16, 1
	s_and_saveexec_b64 s[10:11], vcc
	s_cbranch_execz .LBB594_602
; %bb.599:
	s_movk_i32 s7, 0x7f
	v_and_b32_e32 v17, 0x7f, v14
	v_cmp_ne_u32_e32 vcc, s7, v17
	v_mov_b32_e32 v16, 0x7f800001
	s_and_saveexec_b64 s[12:13], vcc
	s_cbranch_execz .LBB594_601
; %bb.600:
	v_and_b32_e32 v16, 7, v14
	v_ffbh_u32_e32 v20, v16
	v_min_u32_e32 v23, 32, v20
	v_subrev_u32_e32 v20, 28, v23
	v_lshlrev_b64 v[20:21], v20, v[14:15]
	v_lshrrev_b32_e32 v18, 3, v17
	v_sub_u32_e32 v14, 29, v23
	v_and_b32_e32 v20, 7, v20
	v_cmp_gt_u32_e32 vcc, 8, v17
	v_cndmask_b32_e32 v14, v18, v14, vcc
	v_cndmask_b32_e32 v16, v16, v20, vcc
	v_lshlrev_b32_e32 v17, 16, v6
	v_bfrev_b32_e32 v18, 60
	v_lshlrev_b32_e32 v16, 20, v16
	v_and_b32_e32 v17, 0x80000000, v17
	v_lshl_add_u32 v14, v14, 23, v18
	v_or3_b32 v16, v17, v14, v16
.LBB594_601:
	s_or_b64 exec, exec, s[12:13]
.LBB594_602:
	s_or_b64 exec, exec, s[10:11]
.LBB594_603:
	s_or_b64 exec, exec, s[8:9]
	s_movk_i32 s7, 0xff
	v_and_b32_sdwa v17, v6, s7 dst_sel:DWORD dst_unused:UNUSED_PAD src0_sel:WORD_1 src1_sel:DWORD
	v_lshrrev_b32_e32 v14, 16, v6
	v_cmp_ne_u16_e32 vcc, 0, v17
	s_and_saveexec_b64 s[8:9], vcc
	s_cbranch_execz .LBB594_609
; %bb.604:
	s_movk_i32 s7, 0x80
	v_cmp_ne_u16_e32 vcc, s7, v17
	v_bfrev_b32_e32 v15, 1
	s_and_saveexec_b64 s[10:11], vcc
	s_cbranch_execz .LBB594_608
; %bb.605:
	v_bfe_u32 v17, v6, 16, 7
	s_movk_i32 s7, 0x7f
	v_cmp_ne_u32_e32 vcc, s7, v17
	v_mov_b32_e32 v15, 0x7f800001
	s_and_saveexec_b64 s[12:13], vcc
	s_cbranch_execz .LBB594_607
; %bb.606:
	v_and_b32_e32 v18, 7, v14
	v_ffbh_u32_e32 v15, v18
	v_min_u32_e32 v21, 32, v15
	v_subrev_u32_e32 v15, 28, v21
	v_lshlrev_b64 v[14:15], v15, v[14:15]
	v_lshrrev_b32_e32 v20, 3, v17
	v_sub_u32_e32 v15, 29, v21
	v_and_b32_e32 v14, 7, v14
	v_cmp_gt_u32_e32 vcc, 8, v17
	v_mov_b32_e32 v17, 24
	v_cndmask_b32_e32 v15, v20, v15, vcc
	v_cndmask_b32_e32 v14, v18, v14, vcc
	v_lshlrev_b32_sdwa v17, v17, v6 dst_sel:DWORD dst_unused:UNUSED_PAD src0_sel:DWORD src1_sel:WORD_1
	v_bfrev_b32_e32 v18, 60
	v_lshlrev_b32_e32 v14, 20, v14
	v_and_b32_e32 v17, 0x80000000, v17
	v_lshl_add_u32 v15, v15, 23, v18
	v_or3_b32 v15, v17, v15, v14
.LBB594_607:
	s_or_b64 exec, exec, s[12:13]
.LBB594_608:
	s_or_b64 exec, exec, s[10:11]
.LBB594_609:
	s_or_b64 exec, exec, s[8:9]
	s_mov_b32 s7, 0xffffff
	v_cmp_lt_u32_e32 vcc, s7, v6
	v_mov_b32_e32 v17, 0
	v_mov_b32_e32 v18, 0
	s_and_saveexec_b64 s[8:9], vcc
	s_cbranch_execz .LBB594_615
; %bb.610:
	v_lshrrev_b32_e32 v14, 24, v6
	s_movk_i32 s7, 0x80
	v_cmp_ne_u32_e32 vcc, s7, v14
	v_bfrev_b32_e32 v18, 1
	s_and_saveexec_b64 s[10:11], vcc
	s_cbranch_execz .LBB594_614
; %bb.611:
	v_bfe_u32 v6, v6, 24, 7
	s_movk_i32 s7, 0x7f
	v_cmp_ne_u32_e32 vcc, s7, v6
	v_mov_b32_e32 v18, 0x7f800001
	s_and_saveexec_b64 s[12:13], vcc
	s_cbranch_execz .LBB594_613
; %bb.612:
	v_and_b32_e32 v18, 7, v14
	v_ffbh_u32_e32 v20, v18
	v_min_u32_e32 v24, 32, v20
	v_subrev_u32_e32 v20, 28, v24
	v_lshlrev_b64 v[20:21], v20, v[14:15]
	v_lshrrev_b32_e32 v23, 3, v6
	v_sub_u32_e32 v21, 29, v24
	v_and_b32_e32 v20, 7, v20
	v_cmp_gt_u32_e32 vcc, 8, v6
	v_cndmask_b32_e32 v6, v23, v21, vcc
	v_cndmask_b32_e32 v18, v18, v20, vcc
	v_lshlrev_b32_e32 v14, 24, v14
	v_bfrev_b32_e32 v20, 60
	v_lshlrev_b32_e32 v18, 20, v18
	v_and_b32_e32 v14, 0x80000000, v14
	v_lshl_add_u32 v6, v6, 23, v20
	v_or3_b32 v18, v14, v6, v18
.LBB594_613:
	s_or_b64 exec, exec, s[12:13]
.LBB594_614:
	s_or_b64 exec, exec, s[10:11]
.LBB594_615:
	s_or_b64 exec, exec, s[8:9]
	v_cmp_ne_u16_sdwa s[10:11], v7, v17 src0_sel:BYTE_0 src1_sel:DWORD
	s_and_saveexec_b64 s[8:9], s[10:11]
	s_cbranch_execz .LBB594_621
; %bb.616:
	s_movk_i32 s7, 0x80
	v_cmp_ne_u16_sdwa s[12:13], v7, s7 src0_sel:BYTE_0 src1_sel:DWORD
	v_bfrev_b32_e32 v17, 1
	s_and_saveexec_b64 s[10:11], s[12:13]
	s_cbranch_execz .LBB594_620
; %bb.617:
	s_movk_i32 s7, 0x7f
	v_and_b32_e32 v6, 0x7f, v7
	v_cmp_ne_u32_e32 vcc, s7, v6
	v_mov_b32_e32 v17, 0x7f800001
	s_and_saveexec_b64 s[12:13], vcc
	s_cbranch_execz .LBB594_619
; %bb.618:
	v_and_b32_e32 v17, 7, v7
	v_ffbh_u32_e32 v20, v17
	v_min_u32_e32 v24, 32, v20
	v_mov_b32_e32 v14, v7
	v_subrev_u32_e32 v20, 28, v24
	v_lshlrev_b64 v[20:21], v20, v[14:15]
	v_lshrrev_b32_e32 v23, 3, v6
	v_sub_u32_e32 v14, 29, v24
	v_and_b32_e32 v20, 7, v20
	v_cmp_gt_u32_e32 vcc, 8, v6
	v_cndmask_b32_e32 v6, v23, v14, vcc
	v_cndmask_b32_e32 v14, v17, v20, vcc
	v_lshlrev_b32_e32 v17, 24, v7
	v_bfrev_b32_e32 v20, 60
	v_lshlrev_b32_e32 v14, 20, v14
	v_and_b32_e32 v17, 0x80000000, v17
	v_lshl_add_u32 v6, v6, 23, v20
	v_or3_b32 v17, v17, v6, v14
.LBB594_619:
	s_or_b64 exec, exec, s[12:13]
.LBB594_620:
	s_or_b64 exec, exec, s[10:11]
.LBB594_621:
	s_or_b64 exec, exec, s[8:9]
	v_lshrrev_b16_e32 v6, 8, v7
	v_cmp_ne_u16_e32 vcc, 0, v6
	v_mov_b32_e32 v20, 0
	v_mov_b32_e32 v21, 0
	s_and_saveexec_b64 s[8:9], vcc
	s_cbranch_execz .LBB594_627
; %bb.622:
	s_movk_i32 s7, 0x80
	v_cmp_ne_u16_e32 vcc, s7, v6
	v_bfrev_b32_e32 v21, 1
	s_and_saveexec_b64 s[10:11], vcc
	s_cbranch_execz .LBB594_626
; %bb.623:
	s_movk_i32 s7, 0x7f
	v_and_b32_e32 v14, 0x7f, v6
	v_cmp_ne_u32_e32 vcc, s7, v14
	v_mov_b32_e32 v21, 0x7f800001
	s_and_saveexec_b64 s[12:13], vcc
	s_cbranch_execz .LBB594_625
; %bb.624:
	v_and_b32_e32 v21, 7, v6
	v_ffbh_u32_e32 v24, v21
	v_min_u32_e32 v26, 32, v24
	v_subrev_u32_e32 v24, 28, v26
	v_lshlrev_b64 v[24:25], v24, v[6:7]
	v_lshrrev_b32_e32 v23, 3, v14
	v_sub_u32_e32 v6, 29, v26
	v_and_b32_e32 v24, 7, v24
	v_cmp_gt_u32_e32 vcc, 8, v14
	v_cndmask_b32_e32 v6, v23, v6, vcc
	v_cndmask_b32_e32 v14, v21, v24, vcc
	v_lshlrev_b32_e32 v21, 16, v7
	v_bfrev_b32_e32 v23, 60
	v_lshlrev_b32_e32 v14, 20, v14
	v_and_b32_e32 v21, 0x80000000, v21
	v_lshl_add_u32 v6, v6, 23, v23
	v_or3_b32 v21, v21, v6, v14
.LBB594_625:
	s_or_b64 exec, exec, s[12:13]
.LBB594_626:
	s_or_b64 exec, exec, s[10:11]
.LBB594_627:
	s_or_b64 exec, exec, s[8:9]
	s_movk_i32 s7, 0xff
	v_and_b32_sdwa v14, v7, s7 dst_sel:DWORD dst_unused:UNUSED_PAD src0_sel:WORD_1 src1_sel:DWORD
	v_lshrrev_b32_e32 v6, 16, v7
	v_cmp_ne_u16_e32 vcc, 0, v14
	s_and_saveexec_b64 s[8:9], vcc
	s_cbranch_execz .LBB594_633
; %bb.628:
	s_movk_i32 s7, 0x80
	v_cmp_ne_u16_e32 vcc, s7, v14
	v_bfrev_b32_e32 v20, 1
	s_and_saveexec_b64 s[10:11], vcc
	s_cbranch_execz .LBB594_632
; %bb.629:
	v_bfe_u32 v14, v7, 16, 7
	s_movk_i32 s7, 0x7f
	v_cmp_ne_u32_e32 vcc, s7, v14
	v_mov_b32_e32 v20, 0x7f800001
	s_and_saveexec_b64 s[12:13], vcc
	s_cbranch_execz .LBB594_631
; %bb.630:
	v_and_b32_e32 v20, 7, v6
	v_ffbh_u32_e32 v24, v20
	v_min_u32_e32 v26, 32, v24
	v_subrev_u32_e32 v24, 28, v26
	v_lshlrev_b64 v[24:25], v24, v[6:7]
	v_and_b32_e32 v24, 7, v24
	v_cmp_gt_u32_e32 vcc, 8, v14
	v_lshrrev_b32_e32 v23, 3, v14
	v_sub_u32_e32 v6, 29, v26
	v_cndmask_b32_e32 v14, v20, v24, vcc
	v_mov_b32_e32 v20, 24
	v_cndmask_b32_e32 v6, v23, v6, vcc
	v_lshlrev_b32_sdwa v20, v20, v7 dst_sel:DWORD dst_unused:UNUSED_PAD src0_sel:DWORD src1_sel:WORD_1
	v_bfrev_b32_e32 v23, 60
	v_lshlrev_b32_e32 v14, 20, v14
	v_and_b32_e32 v20, 0x80000000, v20
	v_lshl_add_u32 v6, v6, 23, v23
	v_or3_b32 v20, v20, v6, v14
.LBB594_631:
	s_or_b64 exec, exec, s[12:13]
.LBB594_632:
	s_or_b64 exec, exec, s[10:11]
.LBB594_633:
	s_or_b64 exec, exec, s[8:9]
	s_mov_b32 s7, 0xffffff
	v_cmp_lt_u32_e32 vcc, s7, v7
	v_mov_b32_e32 v14, 0
	v_mov_b32_e32 v23, 0
	s_and_saveexec_b64 s[8:9], vcc
	s_cbranch_execz .LBB594_639
; %bb.634:
	v_lshrrev_b32_e32 v6, 24, v7
	s_movk_i32 s7, 0x80
	v_cmp_ne_u32_e32 vcc, s7, v6
	v_bfrev_b32_e32 v23, 1
	s_and_saveexec_b64 s[10:11], vcc
	s_cbranch_execz .LBB594_638
; %bb.635:
	v_bfe_u32 v7, v7, 24, 7
	s_movk_i32 s7, 0x7f
	v_cmp_ne_u32_e32 vcc, s7, v7
	v_mov_b32_e32 v23, 0x7f800001
	s_and_saveexec_b64 s[12:13], vcc
	s_cbranch_execz .LBB594_637
; %bb.636:
	v_and_b32_e32 v23, 7, v6
	v_ffbh_u32_e32 v24, v23
	v_min_u32_e32 v27, 32, v24
	v_subrev_u32_e32 v24, 28, v27
	v_lshlrev_b64 v[24:25], v24, v[6:7]
	v_lshrrev_b32_e32 v26, 3, v7
	v_sub_u32_e32 v25, 29, v27
	v_and_b32_e32 v24, 7, v24
	v_cmp_gt_u32_e32 vcc, 8, v7
	v_cndmask_b32_e32 v7, v26, v25, vcc
	v_cndmask_b32_e32 v23, v23, v24, vcc
	v_lshlrev_b32_e32 v6, 24, v6
	v_bfrev_b32_e32 v24, 60
	v_lshlrev_b32_e32 v23, 20, v23
	v_and_b32_e32 v6, 0x80000000, v6
	v_lshl_add_u32 v7, v7, 23, v24
	v_or3_b32 v23, v6, v7, v23
.LBB594_637:
	s_or_b64 exec, exec, s[12:13]
.LBB594_638:
	s_or_b64 exec, exec, s[10:11]
.LBB594_639:
	s_or_b64 exec, exec, s[8:9]
	v_cvt_pkrtz_f16_f32 v6, v19, v16
	v_cvt_pkrtz_f16_f32 v7, v15, v18
	ds_read_b128 v[24:27], v22 offset:4096
	v_cmp_ne_u16_sdwa s[10:11], v8, v14 src0_sel:BYTE_0 src1_sel:DWORD
	s_waitcnt lgkmcnt(0)
	v_mfma_f32_16x16x16f16 v[10:13], v[6:7], v[24:25], v[10:13]
	v_cvt_pkrtz_f16_f32 v6, v17, v21
	v_cvt_pkrtz_f16_f32 v7, v20, v23
	s_nop 1
	v_mfma_f32_16x16x16f16 v[10:13], v[6:7], v[26:27], v[10:13]
	s_and_saveexec_b64 s[8:9], s[10:11]
	s_cbranch_execz .LBB594_645
; %bb.640:
	s_movk_i32 s7, 0x80
	v_cmp_ne_u16_sdwa s[12:13], v8, s7 src0_sel:BYTE_0 src1_sel:DWORD
	v_bfrev_b32_e32 v14, 1
	s_and_saveexec_b64 s[10:11], s[12:13]
	s_cbranch_execz .LBB594_644
; %bb.641:
	s_movk_i32 s7, 0x7f
	v_and_b32_e32 v6, 0x7f, v8
	v_cmp_ne_u32_e32 vcc, s7, v6
	v_mov_b32_e32 v14, 0x7f800001
	s_and_saveexec_b64 s[12:13], vcc
	s_cbranch_execz .LBB594_643
; %bb.642:
	v_and_b32_e32 v7, 7, v8
	v_ffbh_u32_e32 v14, v7
	v_min_u32_e32 v17, 32, v14
	v_subrev_u32_e32 v14, 28, v17
	v_lshlrev_b64 v[14:15], v14, v[8:9]
	v_lshrrev_b32_e32 v16, 3, v6
	v_sub_u32_e32 v15, 29, v17
	v_and_b32_e32 v14, 7, v14
	v_cmp_gt_u32_e32 vcc, 8, v6
	v_cndmask_b32_e32 v6, v16, v15, vcc
	v_cndmask_b32_e32 v7, v7, v14, vcc
	v_lshlrev_b32_e32 v14, 24, v8
	v_bfrev_b32_e32 v15, 60
	v_lshlrev_b32_e32 v7, 20, v7
	v_and_b32_e32 v14, 0x80000000, v14
	v_lshl_add_u32 v6, v6, 23, v15
	v_or3_b32 v14, v14, v6, v7
.LBB594_643:
	s_or_b64 exec, exec, s[12:13]
.LBB594_644:
	s_or_b64 exec, exec, s[10:11]
.LBB594_645:
	s_or_b64 exec, exec, s[8:9]
	v_lshrrev_b16_e32 v6, 8, v8
	v_cmp_ne_u16_e32 vcc, 0, v6
	v_mov_b32_e32 v7, 0
	v_mov_b32_e32 v16, 0
	s_and_saveexec_b64 s[8:9], vcc
	s_cbranch_execz .LBB594_651
; %bb.646:
	s_movk_i32 s7, 0x80
	v_cmp_ne_u16_e32 vcc, s7, v6
	v_bfrev_b32_e32 v16, 1
	s_and_saveexec_b64 s[10:11], vcc
	s_cbranch_execz .LBB594_650
; %bb.647:
	s_movk_i32 s7, 0x7f
	v_and_b32_e32 v15, 0x7f, v6
	v_cmp_ne_u32_e32 vcc, s7, v15
	v_mov_b32_e32 v16, 0x7f800001
	s_and_saveexec_b64 s[12:13], vcc
	s_cbranch_execz .LBB594_649
; %bb.648:
	v_and_b32_e32 v18, 7, v6
	v_ffbh_u32_e32 v16, v18
	v_min_u32_e32 v20, 32, v16
	v_subrev_u32_e32 v16, 28, v20
	v_lshlrev_b64 v[16:17], v16, v[6:7]
	v_lshrrev_b32_e32 v19, 3, v15
	v_sub_u32_e32 v6, 29, v20
	v_and_b32_e32 v16, 7, v16
	v_cmp_gt_u32_e32 vcc, 8, v15
	v_cndmask_b32_e32 v6, v19, v6, vcc
	v_cndmask_b32_e32 v15, v18, v16, vcc
	v_lshlrev_b32_e32 v16, 16, v8
	v_bfrev_b32_e32 v17, 60
	v_lshlrev_b32_e32 v15, 20, v15
	v_and_b32_e32 v16, 0x80000000, v16
	v_lshl_add_u32 v6, v6, 23, v17
	v_or3_b32 v16, v16, v6, v15
.LBB594_649:
	s_or_b64 exec, exec, s[12:13]
.LBB594_650:
	s_or_b64 exec, exec, s[10:11]
.LBB594_651:
	s_or_b64 exec, exec, s[8:9]
	s_movk_i32 s7, 0xff
	v_and_b32_sdwa v15, v8, s7 dst_sel:DWORD dst_unused:UNUSED_PAD src0_sel:WORD_1 src1_sel:DWORD
	v_lshrrev_b32_e32 v6, 16, v8
	v_cmp_ne_u16_e32 vcc, 0, v15
	s_and_saveexec_b64 s[8:9], vcc
	s_cbranch_execz .LBB594_657
; %bb.652:
	s_movk_i32 s7, 0x80
	v_cmp_ne_u16_e32 vcc, s7, v15
	v_bfrev_b32_e32 v7, 1
	s_and_saveexec_b64 s[10:11], vcc
	s_cbranch_execz .LBB594_656
; %bb.653:
	v_bfe_u32 v15, v8, 16, 7
	s_movk_i32 s7, 0x7f
	v_cmp_ne_u32_e32 vcc, s7, v15
	v_mov_b32_e32 v7, 0x7f800001
	s_and_saveexec_b64 s[12:13], vcc
	s_cbranch_execz .LBB594_655
; %bb.654:
	v_and_b32_e32 v17, 7, v6
	v_ffbh_u32_e32 v7, v17
	v_min_u32_e32 v19, 32, v7
	v_subrev_u32_e32 v7, 28, v19
	v_lshlrev_b64 v[6:7], v7, v[6:7]
	v_lshrrev_b32_e32 v18, 3, v15
	v_sub_u32_e32 v7, 29, v19
	v_and_b32_e32 v6, 7, v6
	v_cmp_gt_u32_e32 vcc, 8, v15
	v_mov_b32_e32 v15, 24
	v_cndmask_b32_e32 v7, v18, v7, vcc
	v_cndmask_b32_e32 v6, v17, v6, vcc
	v_lshlrev_b32_sdwa v15, v15, v8 dst_sel:DWORD dst_unused:UNUSED_PAD src0_sel:DWORD src1_sel:WORD_1
	v_bfrev_b32_e32 v17, 60
	v_lshlrev_b32_e32 v6, 20, v6
	v_and_b32_e32 v15, 0x80000000, v15
	v_lshl_add_u32 v7, v7, 23, v17
	v_or3_b32 v7, v15, v7, v6
.LBB594_655:
	s_or_b64 exec, exec, s[12:13]
.LBB594_656:
	s_or_b64 exec, exec, s[10:11]
.LBB594_657:
	s_or_b64 exec, exec, s[8:9]
	s_mov_b32 s7, 0xffffff
	v_cmp_lt_u32_e32 vcc, s7, v8
	v_mov_b32_e32 v17, 0
	v_mov_b32_e32 v18, 0
	s_and_saveexec_b64 s[8:9], vcc
	s_cbranch_execz .LBB594_663
; %bb.658:
	v_lshrrev_b32_e32 v6, 24, v8
	s_movk_i32 s7, 0x80
	v_cmp_ne_u32_e32 vcc, s7, v6
	v_bfrev_b32_e32 v18, 1
	s_and_saveexec_b64 s[10:11], vcc
	s_cbranch_execz .LBB594_662
; %bb.659:
	v_bfe_u32 v8, v8, 24, 7
	s_movk_i32 s7, 0x7f
	v_cmp_ne_u32_e32 vcc, s7, v8
	v_mov_b32_e32 v18, 0x7f800001
	s_and_saveexec_b64 s[12:13], vcc
	s_cbranch_execz .LBB594_661
; %bb.660:
	v_and_b32_e32 v15, 7, v6
	v_ffbh_u32_e32 v18, v15
	v_min_u32_e32 v21, 32, v18
	v_subrev_u32_e32 v18, 28, v21
	v_lshlrev_b64 v[18:19], v18, v[6:7]
	v_lshrrev_b32_e32 v20, 3, v8
	v_sub_u32_e32 v19, 29, v21
	v_and_b32_e32 v18, 7, v18
	v_cmp_gt_u32_e32 vcc, 8, v8
	v_cndmask_b32_e32 v8, v20, v19, vcc
	v_cndmask_b32_e32 v15, v15, v18, vcc
	v_lshlrev_b32_e32 v6, 24, v6
	v_bfrev_b32_e32 v18, 60
	v_lshlrev_b32_e32 v15, 20, v15
	v_and_b32_e32 v6, 0x80000000, v6
	v_lshl_add_u32 v8, v8, 23, v18
	v_or3_b32 v18, v6, v8, v15
.LBB594_661:
	s_or_b64 exec, exec, s[12:13]
.LBB594_662:
	s_or_b64 exec, exec, s[10:11]
.LBB594_663:
	s_or_b64 exec, exec, s[8:9]
	v_cmp_ne_u16_sdwa s[10:11], v9, v17 src0_sel:BYTE_0 src1_sel:DWORD
	s_and_saveexec_b64 s[8:9], s[10:11]
	s_cbranch_execz .LBB594_669
; %bb.664:
	s_movk_i32 s7, 0x80
	v_cmp_ne_u16_sdwa s[12:13], v9, s7 src0_sel:BYTE_0 src1_sel:DWORD
	v_bfrev_b32_e32 v17, 1
	s_and_saveexec_b64 s[10:11], s[12:13]
	s_cbranch_execz .LBB594_668
; %bb.665:
	s_movk_i32 s7, 0x7f
	v_and_b32_e32 v6, 0x7f, v9
	v_cmp_ne_u32_e32 vcc, s7, v6
	v_mov_b32_e32 v17, 0x7f800001
	s_and_saveexec_b64 s[12:13], vcc
	s_cbranch_execz .LBB594_667
; %bb.666:
	v_and_b32_e32 v15, 7, v9
	v_ffbh_u32_e32 v19, v15
	v_min_u32_e32 v19, 32, v19
	v_mov_b32_e32 v8, v9
	v_subrev_u32_e32 v20, 28, v19
	v_lshlrev_b64 v[20:21], v20, v[8:9]
	v_lshrrev_b32_e32 v17, 3, v6
	v_sub_u32_e32 v8, 29, v19
	v_and_b32_e32 v19, 7, v20
	v_cmp_gt_u32_e32 vcc, 8, v6
	v_cndmask_b32_e32 v6, v17, v8, vcc
	v_cndmask_b32_e32 v8, v15, v19, vcc
	v_lshlrev_b32_e32 v15, 24, v9
	v_bfrev_b32_e32 v17, 60
	v_lshlrev_b32_e32 v8, 20, v8
	v_and_b32_e32 v15, 0x80000000, v15
	v_lshl_add_u32 v6, v6, 23, v17
	v_or3_b32 v17, v15, v6, v8
.LBB594_667:
	s_or_b64 exec, exec, s[12:13]
.LBB594_668:
	s_or_b64 exec, exec, s[10:11]
.LBB594_669:
	s_or_b64 exec, exec, s[8:9]
	v_lshrrev_b16_e32 v6, 8, v9
	v_cmp_ne_u16_e32 vcc, 0, v6
	v_mov_b32_e32 v8, 0
	v_mov_b32_e32 v19, 0
	s_and_saveexec_b64 s[8:9], vcc
	s_cbranch_execz .LBB594_675
; %bb.670:
	s_movk_i32 s7, 0x80
	v_cmp_ne_u16_e32 vcc, s7, v6
	v_bfrev_b32_e32 v19, 1
	s_and_saveexec_b64 s[10:11], vcc
	s_cbranch_execz .LBB594_674
; %bb.671:
	s_movk_i32 s7, 0x7f
	v_and_b32_e32 v15, 0x7f, v6
	v_cmp_ne_u32_e32 vcc, s7, v15
	v_mov_b32_e32 v19, 0x7f800001
	s_and_saveexec_b64 s[12:13], vcc
	s_cbranch_execz .LBB594_673
; %bb.672:
	v_and_b32_e32 v19, 7, v6
	v_ffbh_u32_e32 v20, v19
	v_min_u32_e32 v24, 32, v20
	v_subrev_u32_e32 v20, 28, v24
	v_lshlrev_b64 v[20:21], v20, v[6:7]
	v_lshrrev_b32_e32 v23, 3, v15
	v_sub_u32_e32 v6, 29, v24
	v_and_b32_e32 v20, 7, v20
	v_cmp_gt_u32_e32 vcc, 8, v15
	v_cndmask_b32_e32 v6, v23, v6, vcc
	v_cndmask_b32_e32 v15, v19, v20, vcc
	v_lshlrev_b32_e32 v19, 16, v9
	v_bfrev_b32_e32 v20, 60
	v_lshlrev_b32_e32 v15, 20, v15
	v_and_b32_e32 v19, 0x80000000, v19
	v_lshl_add_u32 v6, v6, 23, v20
	v_or3_b32 v19, v19, v6, v15
.LBB594_673:
	s_or_b64 exec, exec, s[12:13]
.LBB594_674:
	s_or_b64 exec, exec, s[10:11]
.LBB594_675:
	s_or_b64 exec, exec, s[8:9]
	s_movk_i32 s7, 0xff
	v_and_b32_sdwa v15, v9, s7 dst_sel:DWORD dst_unused:UNUSED_PAD src0_sel:WORD_1 src1_sel:DWORD
	v_lshrrev_b32_e32 v6, 16, v9
	v_cmp_ne_u16_e32 vcc, 0, v15
	s_and_saveexec_b64 s[8:9], vcc
	s_cbranch_execz .LBB594_681
; %bb.676:
	s_movk_i32 s7, 0x80
	v_cmp_ne_u16_e32 vcc, s7, v15
	v_bfrev_b32_e32 v8, 1
	s_and_saveexec_b64 s[10:11], vcc
	s_cbranch_execz .LBB594_680
; %bb.677:
	v_bfe_u32 v15, v9, 16, 7
	s_movk_i32 s7, 0x7f
	v_cmp_ne_u32_e32 vcc, s7, v15
	v_mov_b32_e32 v8, 0x7f800001
	s_and_saveexec_b64 s[12:13], vcc
	s_cbranch_execz .LBB594_679
; %bb.678:
	v_and_b32_e32 v8, 7, v6
	v_ffbh_u32_e32 v20, v8
	v_min_u32_e32 v24, 32, v20
	v_subrev_u32_e32 v20, 28, v24
	v_lshlrev_b64 v[20:21], v20, v[6:7]
	v_lshrrev_b32_e32 v23, 3, v15
	v_sub_u32_e32 v6, 29, v24
	v_and_b32_e32 v20, 7, v20
	v_cmp_gt_u32_e32 vcc, 8, v15
	v_mov_b32_e32 v15, 24
	v_cndmask_b32_e32 v6, v23, v6, vcc
	v_cndmask_b32_e32 v8, v8, v20, vcc
	v_lshlrev_b32_sdwa v15, v15, v9 dst_sel:DWORD dst_unused:UNUSED_PAD src0_sel:DWORD src1_sel:WORD_1
	v_bfrev_b32_e32 v20, 60
	v_lshlrev_b32_e32 v8, 20, v8
	v_and_b32_e32 v15, 0x80000000, v15
	v_lshl_add_u32 v6, v6, 23, v20
	v_or3_b32 v8, v15, v6, v8
.LBB594_679:
	s_or_b64 exec, exec, s[12:13]
.LBB594_680:
	s_or_b64 exec, exec, s[10:11]
.LBB594_681:
	s_or_b64 exec, exec, s[8:9]
	s_mov_b32 s7, 0xffffff
	v_cmp_lt_u32_e32 vcc, s7, v9
	v_mov_b32_e32 v15, 0
	v_mov_b32_e32 v20, 0
	s_and_saveexec_b64 s[8:9], vcc
	s_cbranch_execz .LBB594_687
; %bb.682:
	v_lshrrev_b32_e32 v6, 24, v9
	s_movk_i32 s7, 0x80
	v_cmp_ne_u32_e32 vcc, s7, v6
	v_bfrev_b32_e32 v20, 1
	s_and_saveexec_b64 s[10:11], vcc
	s_cbranch_execz .LBB594_686
; %bb.683:
	v_bfe_u32 v9, v9, 24, 7
	s_movk_i32 s7, 0x7f
	v_cmp_ne_u32_e32 vcc, s7, v9
	v_mov_b32_e32 v20, 0x7f800001
	s_and_saveexec_b64 s[12:13], vcc
	s_cbranch_execz .LBB594_685
; %bb.684:
	v_and_b32_e32 v23, 7, v6
	v_ffbh_u32_e32 v20, v23
	v_min_u32_e32 v25, 32, v20
	v_subrev_u32_e32 v20, 28, v25
	v_lshlrev_b64 v[20:21], v20, v[6:7]
	v_lshrrev_b32_e32 v24, 3, v9
	v_sub_u32_e32 v21, 29, v25
	v_and_b32_e32 v20, 7, v20
	v_cmp_gt_u32_e32 vcc, 8, v9
	v_cndmask_b32_e32 v9, v24, v21, vcc
	v_cndmask_b32_e32 v20, v23, v20, vcc
	v_lshlrev_b32_e32 v6, 24, v6
	v_bfrev_b32_e32 v21, 60
	v_lshlrev_b32_e32 v20, 20, v20
	v_and_b32_e32 v6, 0x80000000, v6
	v_lshl_add_u32 v9, v9, 23, v21
	v_or3_b32 v20, v6, v9, v20
.LBB594_685:
	s_or_b64 exec, exec, s[12:13]
.LBB594_686:
	s_or_b64 exec, exec, s[10:11]
.LBB594_687:
	s_or_b64 exec, exec, s[8:9]
	v_cvt_pkrtz_f16_f32 v6, v14, v16
	v_cvt_pkrtz_f16_f32 v7, v7, v18
	ds_read_b128 v[24:27], v22 offset:4112
	s_waitcnt vmcnt(0)
	v_cmp_ne_u16_sdwa s[10:11], v2, v15 src0_sel:BYTE_0 src1_sel:DWORD
	s_waitcnt lgkmcnt(0)
	v_mfma_f32_16x16x16f16 v[10:13], v[6:7], v[24:25], v[10:13]
	v_cvt_pkrtz_f16_f32 v6, v17, v19
	v_cvt_pkrtz_f16_f32 v7, v8, v20
	s_nop 1
	v_mfma_f32_16x16x16f16 v[6:9], v[6:7], v[26:27], v[10:13]
	s_and_saveexec_b64 s[8:9], s[10:11]
	s_cbranch_execz .LBB594_693
; %bb.688:
	s_movk_i32 s7, 0x80
	v_cmp_ne_u16_sdwa s[12:13], v2, s7 src0_sel:BYTE_0 src1_sel:DWORD
	v_bfrev_b32_e32 v15, 1
	s_and_saveexec_b64 s[10:11], s[12:13]
	s_cbranch_execz .LBB594_692
; %bb.689:
	s_movk_i32 s7, 0x7f
	v_and_b32_e32 v10, 0x7f, v2
	v_cmp_ne_u32_e32 vcc, s7, v10
	v_mov_b32_e32 v15, 0x7f800001
	s_and_saveexec_b64 s[12:13], vcc
	s_cbranch_execz .LBB594_691
; %bb.690:
	v_and_b32_e32 v11, 7, v2
	v_ffbh_u32_e32 v12, v11
	v_min_u32_e32 v15, 32, v12
	v_subrev_u32_e32 v12, 28, v15
	v_lshlrev_b64 v[12:13], v12, v[2:3]
	v_lshrrev_b32_e32 v14, 3, v10
	v_sub_u32_e32 v13, 29, v15
	v_and_b32_e32 v12, 7, v12
	v_cmp_gt_u32_e32 vcc, 8, v10
	v_cndmask_b32_e32 v10, v14, v13, vcc
	v_cndmask_b32_e32 v11, v11, v12, vcc
	v_lshlrev_b32_e32 v12, 24, v2
	v_bfrev_b32_e32 v13, 60
	v_lshlrev_b32_e32 v11, 20, v11
	v_and_b32_e32 v12, 0x80000000, v12
	v_lshl_add_u32 v10, v10, 23, v13
	v_or3_b32 v15, v12, v10, v11
.LBB594_691:
	s_or_b64 exec, exec, s[12:13]
.LBB594_692:
	s_or_b64 exec, exec, s[10:11]
.LBB594_693:
	s_or_b64 exec, exec, s[8:9]
	s_nop 3
	v_lshrrev_b16_e32 v10, 8, v2
	v_cmp_ne_u16_e32 vcc, 0, v10
	v_mov_b32_e32 v11, 0
	v_mov_b32_e32 v12, 0
	s_and_saveexec_b64 s[8:9], vcc
	s_cbranch_execz .LBB594_699
; %bb.694:
	s_movk_i32 s7, 0x80
	v_cmp_ne_u16_e32 vcc, s7, v10
	v_bfrev_b32_e32 v12, 1
	s_and_saveexec_b64 s[10:11], vcc
	s_cbranch_execz .LBB594_698
; %bb.695:
	s_movk_i32 s7, 0x7f
	v_and_b32_e32 v13, 0x7f, v10
	v_cmp_ne_u32_e32 vcc, s7, v13
	v_mov_b32_e32 v12, 0x7f800001
	s_and_saveexec_b64 s[12:13], vcc
	s_cbranch_execz .LBB594_697
; %bb.696:
	v_and_b32_e32 v12, 7, v10
	v_ffbh_u32_e32 v16, v12
	v_min_u32_e32 v18, 32, v16
	v_subrev_u32_e32 v16, 28, v18
	v_lshlrev_b64 v[16:17], v16, v[10:11]
	v_lshrrev_b32_e32 v14, 3, v13
	v_sub_u32_e32 v10, 29, v18
	v_and_b32_e32 v16, 7, v16
	v_cmp_gt_u32_e32 vcc, 8, v13
	v_cndmask_b32_e32 v10, v14, v10, vcc
	v_cndmask_b32_e32 v12, v12, v16, vcc
	v_lshlrev_b32_e32 v13, 16, v2
	v_bfrev_b32_e32 v14, 60
	v_lshlrev_b32_e32 v12, 20, v12
	v_and_b32_e32 v13, 0x80000000, v13
	v_lshl_add_u32 v10, v10, 23, v14
	v_or3_b32 v12, v13, v10, v12
.LBB594_697:
	s_or_b64 exec, exec, s[12:13]
.LBB594_698:
	s_or_b64 exec, exec, s[10:11]
.LBB594_699:
	s_or_b64 exec, exec, s[8:9]
	s_movk_i32 s7, 0xff
	v_and_b32_sdwa v13, v2, s7 dst_sel:DWORD dst_unused:UNUSED_PAD src0_sel:WORD_1 src1_sel:DWORD
	v_lshrrev_b32_e32 v10, 16, v2
	v_cmp_ne_u16_e32 vcc, 0, v13
	s_and_saveexec_b64 s[8:9], vcc
	s_cbranch_execz .LBB594_705
; %bb.700:
	s_movk_i32 s7, 0x80
	v_cmp_ne_u16_e32 vcc, s7, v13
	v_bfrev_b32_e32 v11, 1
	s_and_saveexec_b64 s[10:11], vcc
	s_cbranch_execz .LBB594_704
; %bb.701:
	v_bfe_u32 v13, v2, 16, 7
	s_movk_i32 s7, 0x7f
	v_cmp_ne_u32_e32 vcc, s7, v13
	v_mov_b32_e32 v11, 0x7f800001
	s_and_saveexec_b64 s[12:13], vcc
	s_cbranch_execz .LBB594_703
; %bb.702:
	v_and_b32_e32 v14, 7, v10
	v_ffbh_u32_e32 v11, v14
	v_min_u32_e32 v17, 32, v11
	v_subrev_u32_e32 v11, 28, v17
	v_lshlrev_b64 v[10:11], v11, v[10:11]
	v_lshrrev_b32_e32 v16, 3, v13
	v_sub_u32_e32 v11, 29, v17
	v_and_b32_e32 v10, 7, v10
	v_cmp_gt_u32_e32 vcc, 8, v13
	v_mov_b32_e32 v13, 24
	v_cndmask_b32_e32 v11, v16, v11, vcc
	v_cndmask_b32_e32 v10, v14, v10, vcc
	v_lshlrev_b32_sdwa v13, v13, v2 dst_sel:DWORD dst_unused:UNUSED_PAD src0_sel:DWORD src1_sel:WORD_1
	v_bfrev_b32_e32 v14, 60
	v_lshlrev_b32_e32 v10, 20, v10
	v_and_b32_e32 v13, 0x80000000, v13
	v_lshl_add_u32 v11, v11, 23, v14
	v_or3_b32 v11, v13, v11, v10
.LBB594_703:
	s_or_b64 exec, exec, s[12:13]
.LBB594_704:
	s_or_b64 exec, exec, s[10:11]
.LBB594_705:
	s_or_b64 exec, exec, s[8:9]
	s_mov_b32 s7, 0xffffff
	v_cmp_lt_u32_e32 vcc, s7, v2
	v_mov_b32_e32 v13, 0
	v_mov_b32_e32 v14, 0
	s_and_saveexec_b64 s[8:9], vcc
	s_cbranch_execz .LBB594_711
; %bb.706:
	v_lshrrev_b32_e32 v10, 24, v2
	s_movk_i32 s7, 0x80
	v_cmp_ne_u32_e32 vcc, s7, v10
	v_bfrev_b32_e32 v14, 1
	s_and_saveexec_b64 s[10:11], vcc
	s_cbranch_execz .LBB594_710
; %bb.707:
	v_bfe_u32 v2, v2, 24, 7
	s_movk_i32 s7, 0x7f
	v_cmp_ne_u32_e32 vcc, s7, v2
	v_mov_b32_e32 v14, 0x7f800001
	s_and_saveexec_b64 s[12:13], vcc
	s_cbranch_execz .LBB594_709
; %bb.708:
	v_and_b32_e32 v14, 7, v10
	v_ffbh_u32_e32 v16, v14
	v_min_u32_e32 v19, 32, v16
	v_subrev_u32_e32 v16, 28, v19
	v_lshlrev_b64 v[16:17], v16, v[10:11]
	v_lshrrev_b32_e32 v18, 3, v2
	v_sub_u32_e32 v17, 29, v19
	v_and_b32_e32 v16, 7, v16
	v_cmp_gt_u32_e32 vcc, 8, v2
	v_cndmask_b32_e32 v2, v18, v17, vcc
	v_cndmask_b32_e32 v14, v14, v16, vcc
	v_lshlrev_b32_e32 v10, 24, v10
	v_bfrev_b32_e32 v16, 60
	v_lshlrev_b32_e32 v14, 20, v14
	v_and_b32_e32 v10, 0x80000000, v10
	v_lshl_add_u32 v2, v2, 23, v16
	v_or3_b32 v14, v10, v2, v14
.LBB594_709:
	s_or_b64 exec, exec, s[12:13]
.LBB594_710:
	s_or_b64 exec, exec, s[10:11]
.LBB594_711:
	s_or_b64 exec, exec, s[8:9]
	v_cmp_ne_u16_sdwa s[10:11], v3, v13 src0_sel:BYTE_0 src1_sel:DWORD
	s_and_saveexec_b64 s[8:9], s[10:11]
	s_cbranch_execz .LBB594_717
; %bb.712:
	s_movk_i32 s7, 0x80
	v_cmp_ne_u16_sdwa s[12:13], v3, s7 src0_sel:BYTE_0 src1_sel:DWORD
	v_bfrev_b32_e32 v13, 1
	s_and_saveexec_b64 s[10:11], s[12:13]
	s_cbranch_execz .LBB594_716
; %bb.713:
	s_movk_i32 s7, 0x7f
	v_and_b32_e32 v2, 0x7f, v3
	v_cmp_ne_u32_e32 vcc, s7, v2
	v_mov_b32_e32 v13, 0x7f800001
	s_and_saveexec_b64 s[12:13], vcc
	s_cbranch_execz .LBB594_715
; %bb.714:
	v_and_b32_e32 v13, 7, v3
	v_ffbh_u32_e32 v16, v13
	v_min_u32_e32 v19, 32, v16
	v_mov_b32_e32 v10, v3
	v_subrev_u32_e32 v16, 28, v19
	v_lshlrev_b64 v[16:17], v16, v[10:11]
	v_lshrrev_b32_e32 v18, 3, v2
	v_sub_u32_e32 v10, 29, v19
	v_and_b32_e32 v16, 7, v16
	v_cmp_gt_u32_e32 vcc, 8, v2
	v_cndmask_b32_e32 v2, v18, v10, vcc
	v_cndmask_b32_e32 v10, v13, v16, vcc
	v_lshlrev_b32_e32 v13, 24, v3
	v_bfrev_b32_e32 v16, 60
	v_lshlrev_b32_e32 v10, 20, v10
	v_and_b32_e32 v13, 0x80000000, v13
	v_lshl_add_u32 v2, v2, 23, v16
	v_or3_b32 v13, v13, v2, v10
.LBB594_715:
	s_or_b64 exec, exec, s[12:13]
.LBB594_716:
	s_or_b64 exec, exec, s[10:11]
.LBB594_717:
	s_or_b64 exec, exec, s[8:9]
	v_lshrrev_b16_e32 v2, 8, v3
	v_cmp_ne_u16_e32 vcc, 0, v2
	v_mov_b32_e32 v16, 0
	v_mov_b32_e32 v17, 0
	s_and_saveexec_b64 s[8:9], vcc
	s_cbranch_execz .LBB594_723
; %bb.718:
	s_movk_i32 s7, 0x80
	v_cmp_ne_u16_e32 vcc, s7, v2
	v_bfrev_b32_e32 v17, 1
	s_and_saveexec_b64 s[10:11], vcc
	s_cbranch_execz .LBB594_722
; %bb.719:
	s_movk_i32 s7, 0x7f
	v_and_b32_e32 v10, 0x7f, v2
	v_cmp_ne_u32_e32 vcc, s7, v10
	v_mov_b32_e32 v17, 0x7f800001
	s_and_saveexec_b64 s[12:13], vcc
	s_cbranch_execz .LBB594_721
; %bb.720:
	v_and_b32_e32 v17, 7, v2
	v_ffbh_u32_e32 v18, v17
	v_min_u32_e32 v21, 32, v18
	v_subrev_u32_e32 v18, 28, v21
	v_lshlrev_b64 v[18:19], v18, v[2:3]
	v_lshrrev_b32_e32 v20, 3, v10
	v_sub_u32_e32 v2, 29, v21
	v_and_b32_e32 v18, 7, v18
	v_cmp_gt_u32_e32 vcc, 8, v10
	v_cndmask_b32_e32 v2, v20, v2, vcc
	v_cndmask_b32_e32 v10, v17, v18, vcc
	v_lshlrev_b32_e32 v17, 16, v3
	v_bfrev_b32_e32 v18, 60
	v_lshlrev_b32_e32 v10, 20, v10
	v_and_b32_e32 v17, 0x80000000, v17
	v_lshl_add_u32 v2, v2, 23, v18
	v_or3_b32 v17, v17, v2, v10
.LBB594_721:
	s_or_b64 exec, exec, s[12:13]
.LBB594_722:
	s_or_b64 exec, exec, s[10:11]
.LBB594_723:
	s_or_b64 exec, exec, s[8:9]
	s_movk_i32 s7, 0xff
	v_and_b32_sdwa v10, v3, s7 dst_sel:DWORD dst_unused:UNUSED_PAD src0_sel:WORD_1 src1_sel:DWORD
	v_lshrrev_b32_e32 v2, 16, v3
	v_cmp_ne_u16_e32 vcc, 0, v10
	s_and_saveexec_b64 s[8:9], vcc
	s_cbranch_execz .LBB594_729
; %bb.724:
	s_movk_i32 s7, 0x80
	v_cmp_ne_u16_e32 vcc, s7, v10
	v_bfrev_b32_e32 v16, 1
	s_and_saveexec_b64 s[10:11], vcc
	s_cbranch_execz .LBB594_728
; %bb.725:
	v_bfe_u32 v10, v3, 16, 7
	s_movk_i32 s7, 0x7f
	v_cmp_ne_u32_e32 vcc, s7, v10
	v_mov_b32_e32 v16, 0x7f800001
	s_and_saveexec_b64 s[12:13], vcc
	s_cbranch_execz .LBB594_727
; %bb.726:
	v_and_b32_e32 v16, 7, v2
	v_ffbh_u32_e32 v18, v16
	v_min_u32_e32 v21, 32, v18
	v_subrev_u32_e32 v18, 28, v21
	v_lshlrev_b64 v[18:19], v18, v[2:3]
	v_and_b32_e32 v18, 7, v18
	v_cmp_gt_u32_e32 vcc, 8, v10
	v_lshrrev_b32_e32 v20, 3, v10
	v_sub_u32_e32 v2, 29, v21
	v_cndmask_b32_e32 v10, v16, v18, vcc
	v_mov_b32_e32 v16, 24
	v_cndmask_b32_e32 v2, v20, v2, vcc
	v_lshlrev_b32_sdwa v16, v16, v3 dst_sel:DWORD dst_unused:UNUSED_PAD src0_sel:DWORD src1_sel:WORD_1
	v_bfrev_b32_e32 v18, 60
	v_lshlrev_b32_e32 v10, 20, v10
	v_and_b32_e32 v16, 0x80000000, v16
	v_lshl_add_u32 v2, v2, 23, v18
	v_or3_b32 v16, v16, v2, v10
.LBB594_727:
	s_or_b64 exec, exec, s[12:13]
.LBB594_728:
	s_or_b64 exec, exec, s[10:11]
.LBB594_729:
	s_or_b64 exec, exec, s[8:9]
	s_mov_b32 s7, 0xffffff
	v_cmp_lt_u32_e32 vcc, s7, v3
	v_mov_b32_e32 v10, 0
	v_mov_b32_e32 v18, 0
	s_and_saveexec_b64 s[8:9], vcc
	s_cbranch_execz .LBB594_735
; %bb.730:
	v_lshrrev_b32_e32 v2, 24, v3
	s_movk_i32 s7, 0x80
	v_cmp_ne_u32_e32 vcc, s7, v2
	v_bfrev_b32_e32 v18, 1
	s_and_saveexec_b64 s[10:11], vcc
	s_cbranch_execz .LBB594_734
; %bb.731:
	v_bfe_u32 v3, v3, 24, 7
	s_movk_i32 s7, 0x7f
	v_cmp_ne_u32_e32 vcc, s7, v3
	v_mov_b32_e32 v18, 0x7f800001
	s_and_saveexec_b64 s[12:13], vcc
	s_cbranch_execz .LBB594_733
; %bb.732:
	v_and_b32_e32 v20, 7, v2
	v_ffbh_u32_e32 v18, v20
	v_min_u32_e32 v23, 32, v18
	v_subrev_u32_e32 v18, 28, v23
	v_lshlrev_b64 v[18:19], v18, v[2:3]
	v_lshrrev_b32_e32 v21, 3, v3
	v_sub_u32_e32 v19, 29, v23
	v_and_b32_e32 v18, 7, v18
	v_cmp_gt_u32_e32 vcc, 8, v3
	v_cndmask_b32_e32 v3, v21, v19, vcc
	v_cndmask_b32_e32 v18, v20, v18, vcc
	v_lshlrev_b32_e32 v2, 24, v2
	v_bfrev_b32_e32 v19, 60
	v_lshlrev_b32_e32 v18, 20, v18
	v_and_b32_e32 v2, 0x80000000, v2
	v_lshl_add_u32 v3, v3, 23, v19
	v_or3_b32 v18, v2, v3, v18
.LBB594_733:
	s_or_b64 exec, exec, s[12:13]
.LBB594_734:
	s_or_b64 exec, exec, s[10:11]
.LBB594_735:
	s_or_b64 exec, exec, s[8:9]
	v_cvt_pkrtz_f16_f32 v2, v15, v12
	v_cvt_pkrtz_f16_f32 v3, v11, v14
	ds_read_b128 v[24:27], v22 offset:6144
	v_cmp_ne_u16_sdwa s[10:11], v4, v10 src0_sel:BYTE_0 src1_sel:DWORD
	s_waitcnt lgkmcnt(0)
	v_mfma_f32_16x16x16f16 v[6:9], v[2:3], v[24:25], v[6:9]
	v_cvt_pkrtz_f16_f32 v2, v13, v17
	v_cvt_pkrtz_f16_f32 v3, v16, v18
	s_nop 1
	v_mfma_f32_16x16x16f16 v[6:9], v[2:3], v[26:27], v[6:9]
	s_and_saveexec_b64 s[8:9], s[10:11]
	s_cbranch_execz .LBB594_741
; %bb.736:
	s_movk_i32 s7, 0x80
	v_cmp_ne_u16_sdwa s[12:13], v4, s7 src0_sel:BYTE_0 src1_sel:DWORD
	v_bfrev_b32_e32 v10, 1
	s_and_saveexec_b64 s[10:11], s[12:13]
	s_cbranch_execz .LBB594_740
; %bb.737:
	s_movk_i32 s7, 0x7f
	v_and_b32_e32 v2, 0x7f, v4
	v_cmp_ne_u32_e32 vcc, s7, v2
	v_mov_b32_e32 v10, 0x7f800001
	s_and_saveexec_b64 s[12:13], vcc
	s_cbranch_execz .LBB594_739
; %bb.738:
	v_and_b32_e32 v3, 7, v4
	v_ffbh_u32_e32 v10, v3
	v_min_u32_e32 v13, 32, v10
	v_subrev_u32_e32 v10, 28, v13
	v_lshlrev_b64 v[10:11], v10, v[4:5]
	v_lshrrev_b32_e32 v12, 3, v2
	v_sub_u32_e32 v11, 29, v13
	v_and_b32_e32 v10, 7, v10
	v_cmp_gt_u32_e32 vcc, 8, v2
	v_cndmask_b32_e32 v2, v12, v11, vcc
	v_cndmask_b32_e32 v3, v3, v10, vcc
	v_lshlrev_b32_e32 v10, 24, v4
	v_bfrev_b32_e32 v11, 60
	v_lshlrev_b32_e32 v3, 20, v3
	v_and_b32_e32 v10, 0x80000000, v10
	v_lshl_add_u32 v2, v2, 23, v11
	v_or3_b32 v10, v10, v2, v3
.LBB594_739:
	s_or_b64 exec, exec, s[12:13]
.LBB594_740:
	s_or_b64 exec, exec, s[10:11]
.LBB594_741:
	s_or_b64 exec, exec, s[8:9]
	v_lshrrev_b16_e32 v2, 8, v4
	v_cmp_ne_u16_e32 vcc, 0, v2
	v_mov_b32_e32 v3, 0
	v_mov_b32_e32 v11, 0
	s_and_saveexec_b64 s[8:9], vcc
	s_cbranch_execz .LBB594_747
; %bb.742:
	s_movk_i32 s7, 0x80
	v_cmp_ne_u16_e32 vcc, s7, v2
	v_bfrev_b32_e32 v11, 1
	s_and_saveexec_b64 s[10:11], vcc
	s_cbranch_execz .LBB594_746
; %bb.743:
	s_movk_i32 s7, 0x7f
	v_and_b32_e32 v12, 0x7f, v2
	v_cmp_ne_u32_e32 vcc, s7, v12
	v_mov_b32_e32 v11, 0x7f800001
	s_and_saveexec_b64 s[12:13], vcc
	s_cbranch_execz .LBB594_745
; %bb.744:
	v_and_b32_e32 v11, 7, v2
	v_ffbh_u32_e32 v14, v11
	v_min_u32_e32 v16, 32, v14
	v_subrev_u32_e32 v14, 28, v16
	v_lshlrev_b64 v[14:15], v14, v[2:3]
	v_lshrrev_b32_e32 v13, 3, v12
	v_sub_u32_e32 v2, 29, v16
	v_and_b32_e32 v14, 7, v14
	v_cmp_gt_u32_e32 vcc, 8, v12
	v_cndmask_b32_e32 v2, v13, v2, vcc
	v_cndmask_b32_e32 v11, v11, v14, vcc
	v_lshlrev_b32_e32 v12, 16, v4
	v_bfrev_b32_e32 v13, 60
	v_lshlrev_b32_e32 v11, 20, v11
	v_and_b32_e32 v12, 0x80000000, v12
	v_lshl_add_u32 v2, v2, 23, v13
	v_or3_b32 v11, v12, v2, v11
.LBB594_745:
	s_or_b64 exec, exec, s[12:13]
.LBB594_746:
	s_or_b64 exec, exec, s[10:11]
.LBB594_747:
	s_or_b64 exec, exec, s[8:9]
	s_movk_i32 s7, 0xff
	v_and_b32_sdwa v12, v4, s7 dst_sel:DWORD dst_unused:UNUSED_PAD src0_sel:WORD_1 src1_sel:DWORD
	v_lshrrev_b32_e32 v2, 16, v4
	v_cmp_ne_u16_e32 vcc, 0, v12
	s_and_saveexec_b64 s[8:9], vcc
	s_cbranch_execz .LBB594_753
; %bb.748:
	s_movk_i32 s7, 0x80
	v_cmp_ne_u16_e32 vcc, s7, v12
	v_bfrev_b32_e32 v3, 1
	s_and_saveexec_b64 s[10:11], vcc
	s_cbranch_execz .LBB594_752
; %bb.749:
	v_bfe_u32 v12, v4, 16, 7
	s_movk_i32 s7, 0x7f
	v_cmp_ne_u32_e32 vcc, s7, v12
	v_mov_b32_e32 v3, 0x7f800001
	s_and_saveexec_b64 s[12:13], vcc
	s_cbranch_execz .LBB594_751
; %bb.750:
	v_and_b32_e32 v13, 7, v2
	v_ffbh_u32_e32 v3, v13
	v_min_u32_e32 v15, 32, v3
	v_subrev_u32_e32 v3, 28, v15
	v_lshlrev_b64 v[2:3], v3, v[2:3]
	v_lshrrev_b32_e32 v14, 3, v12
	v_sub_u32_e32 v3, 29, v15
	v_and_b32_e32 v2, 7, v2
	v_cmp_gt_u32_e32 vcc, 8, v12
	v_mov_b32_e32 v12, 24
	v_cndmask_b32_e32 v3, v14, v3, vcc
	v_cndmask_b32_e32 v2, v13, v2, vcc
	v_lshlrev_b32_sdwa v12, v12, v4 dst_sel:DWORD dst_unused:UNUSED_PAD src0_sel:DWORD src1_sel:WORD_1
	v_bfrev_b32_e32 v13, 60
	v_lshlrev_b32_e32 v2, 20, v2
	v_and_b32_e32 v12, 0x80000000, v12
	v_lshl_add_u32 v3, v3, 23, v13
	v_or3_b32 v3, v12, v3, v2
.LBB594_751:
	s_or_b64 exec, exec, s[12:13]
.LBB594_752:
	s_or_b64 exec, exec, s[10:11]
.LBB594_753:
	s_or_b64 exec, exec, s[8:9]
	s_mov_b32 s7, 0xffffff
	v_cmp_lt_u32_e32 vcc, s7, v4
	v_mov_b32_e32 v12, 0
	v_mov_b32_e32 v13, 0
	s_and_saveexec_b64 s[8:9], vcc
	s_cbranch_execz .LBB594_759
; %bb.754:
	v_lshrrev_b32_e32 v2, 24, v4
	s_movk_i32 s7, 0x80
	v_cmp_ne_u32_e32 vcc, s7, v2
	v_bfrev_b32_e32 v13, 1
	s_and_saveexec_b64 s[10:11], vcc
	s_cbranch_execz .LBB594_758
; %bb.755:
	v_bfe_u32 v4, v4, 24, 7
	s_movk_i32 s7, 0x7f
	v_cmp_ne_u32_e32 vcc, s7, v4
	v_mov_b32_e32 v13, 0x7f800001
	s_and_saveexec_b64 s[12:13], vcc
	s_cbranch_execz .LBB594_757
; %bb.756:
	v_and_b32_e32 v13, 7, v2
	v_ffbh_u32_e32 v14, v13
	v_min_u32_e32 v17, 32, v14
	v_subrev_u32_e32 v14, 28, v17
	v_lshlrev_b64 v[14:15], v14, v[2:3]
	v_lshrrev_b32_e32 v16, 3, v4
	v_sub_u32_e32 v15, 29, v17
	v_and_b32_e32 v14, 7, v14
	v_cmp_gt_u32_e32 vcc, 8, v4
	v_cndmask_b32_e32 v4, v16, v15, vcc
	v_cndmask_b32_e32 v13, v13, v14, vcc
	v_lshlrev_b32_e32 v2, 24, v2
	v_bfrev_b32_e32 v14, 60
	v_lshlrev_b32_e32 v13, 20, v13
	v_and_b32_e32 v2, 0x80000000, v2
	v_lshl_add_u32 v4, v4, 23, v14
	v_or3_b32 v13, v2, v4, v13
.LBB594_757:
	s_or_b64 exec, exec, s[12:13]
.LBB594_758:
	s_or_b64 exec, exec, s[10:11]
.LBB594_759:
	s_or_b64 exec, exec, s[8:9]
	v_cmp_ne_u16_sdwa s[10:11], v5, v12 src0_sel:BYTE_0 src1_sel:DWORD
	s_and_saveexec_b64 s[8:9], s[10:11]
	s_cbranch_execz .LBB594_765
; %bb.760:
	s_movk_i32 s7, 0x80
	v_cmp_ne_u16_sdwa s[12:13], v5, s7 src0_sel:BYTE_0 src1_sel:DWORD
	v_bfrev_b32_e32 v12, 1
	s_and_saveexec_b64 s[10:11], s[12:13]
	s_cbranch_execz .LBB594_764
; %bb.761:
	s_movk_i32 s7, 0x7f
	v_and_b32_e32 v2, 0x7f, v5
	v_cmp_ne_u32_e32 vcc, s7, v2
	v_mov_b32_e32 v12, 0x7f800001
	s_and_saveexec_b64 s[12:13], vcc
	s_cbranch_execz .LBB594_763
; %bb.762:
	v_and_b32_e32 v12, 7, v5
	v_ffbh_u32_e32 v14, v12
	v_min_u32_e32 v17, 32, v14
	v_mov_b32_e32 v4, v5
	v_subrev_u32_e32 v14, 28, v17
	v_lshlrev_b64 v[14:15], v14, v[4:5]
	v_lshrrev_b32_e32 v16, 3, v2
	v_sub_u32_e32 v4, 29, v17
	v_and_b32_e32 v14, 7, v14
	v_cmp_gt_u32_e32 vcc, 8, v2
	v_cndmask_b32_e32 v2, v16, v4, vcc
	v_cndmask_b32_e32 v4, v12, v14, vcc
	v_lshlrev_b32_e32 v12, 24, v5
	v_bfrev_b32_e32 v14, 60
	v_lshlrev_b32_e32 v4, 20, v4
	v_and_b32_e32 v12, 0x80000000, v12
	v_lshl_add_u32 v2, v2, 23, v14
	v_or3_b32 v12, v12, v2, v4
.LBB594_763:
	s_or_b64 exec, exec, s[12:13]
.LBB594_764:
	s_or_b64 exec, exec, s[10:11]
.LBB594_765:
	s_or_b64 exec, exec, s[8:9]
	v_lshrrev_b16_e32 v2, 8, v5
	v_cmp_ne_u16_e32 vcc, 0, v2
	v_mov_b32_e32 v4, 0
	v_mov_b32_e32 v14, 0
	s_and_saveexec_b64 s[8:9], vcc
	s_cbranch_execz .LBB594_771
; %bb.766:
	s_movk_i32 s7, 0x80
	v_cmp_ne_u16_e32 vcc, s7, v2
	v_bfrev_b32_e32 v14, 1
	s_and_saveexec_b64 s[10:11], vcc
	s_cbranch_execz .LBB594_770
; %bb.767:
	s_movk_i32 s7, 0x7f
	v_and_b32_e32 v15, 0x7f, v2
	v_cmp_ne_u32_e32 vcc, s7, v15
	v_mov_b32_e32 v14, 0x7f800001
	s_and_saveexec_b64 s[12:13], vcc
	s_cbranch_execz .LBB594_769
; %bb.768:
	v_and_b32_e32 v14, 7, v2
	v_ffbh_u32_e32 v16, v14
	v_min_u32_e32 v19, 32, v16
	v_subrev_u32_e32 v16, 28, v19
	v_lshlrev_b64 v[16:17], v16, v[2:3]
	v_lshrrev_b32_e32 v18, 3, v15
	v_sub_u32_e32 v2, 29, v19
	v_and_b32_e32 v16, 7, v16
	v_cmp_gt_u32_e32 vcc, 8, v15
	v_cndmask_b32_e32 v2, v18, v2, vcc
	v_cndmask_b32_e32 v14, v14, v16, vcc
	v_lshlrev_b32_e32 v15, 16, v5
	v_bfrev_b32_e32 v16, 60
	v_lshlrev_b32_e32 v14, 20, v14
	v_and_b32_e32 v15, 0x80000000, v15
	v_lshl_add_u32 v2, v2, 23, v16
	v_or3_b32 v14, v15, v2, v14
.LBB594_769:
	s_or_b64 exec, exec, s[12:13]
.LBB594_770:
	s_or_b64 exec, exec, s[10:11]
.LBB594_771:
	s_or_b64 exec, exec, s[8:9]
	s_movk_i32 s7, 0xff
	v_and_b32_sdwa v15, v5, s7 dst_sel:DWORD dst_unused:UNUSED_PAD src0_sel:WORD_1 src1_sel:DWORD
	v_lshrrev_b32_e32 v2, 16, v5
	v_cmp_ne_u16_e32 vcc, 0, v15
	s_and_saveexec_b64 s[8:9], vcc
	s_cbranch_execz .LBB594_777
; %bb.772:
	s_movk_i32 s7, 0x80
	v_cmp_ne_u16_e32 vcc, s7, v15
	v_bfrev_b32_e32 v4, 1
	s_and_saveexec_b64 s[10:11], vcc
	s_cbranch_execz .LBB594_776
; %bb.773:
	v_bfe_u32 v15, v5, 16, 7
	s_movk_i32 s7, 0x7f
	v_cmp_ne_u32_e32 vcc, s7, v15
	v_mov_b32_e32 v4, 0x7f800001
	s_and_saveexec_b64 s[12:13], vcc
	s_cbranch_execz .LBB594_775
; %bb.774:
	v_and_b32_e32 v4, 7, v2
	v_ffbh_u32_e32 v16, v4
	v_min_u32_e32 v19, 32, v16
	v_subrev_u32_e32 v16, 28, v19
	v_lshlrev_b64 v[16:17], v16, v[2:3]
	v_lshrrev_b32_e32 v18, 3, v15
	v_sub_u32_e32 v2, 29, v19
	v_and_b32_e32 v16, 7, v16
	v_cmp_gt_u32_e32 vcc, 8, v15
	v_mov_b32_e32 v15, 24
	v_cndmask_b32_e32 v2, v18, v2, vcc
	v_cndmask_b32_e32 v4, v4, v16, vcc
	v_lshlrev_b32_sdwa v15, v15, v5 dst_sel:DWORD dst_unused:UNUSED_PAD src0_sel:DWORD src1_sel:WORD_1
	v_bfrev_b32_e32 v16, 60
	v_lshlrev_b32_e32 v4, 20, v4
	v_and_b32_e32 v15, 0x80000000, v15
	v_lshl_add_u32 v2, v2, 23, v16
	v_or3_b32 v4, v15, v2, v4
.LBB594_775:
	s_or_b64 exec, exec, s[12:13]
.LBB594_776:
	s_or_b64 exec, exec, s[10:11]
.LBB594_777:
	s_or_b64 exec, exec, s[8:9]
	s_mov_b32 s7, 0xffffff
	v_cmp_lt_u32_e32 vcc, s7, v5
	v_mov_b32_e32 v15, 0
	s_and_saveexec_b64 s[8:9], vcc
	s_cbranch_execz .LBB594_783
; %bb.778:
	v_lshrrev_b32_e32 v2, 24, v5
	s_movk_i32 s7, 0x80
	v_cmp_ne_u32_e32 vcc, s7, v2
	v_bfrev_b32_e32 v15, 1
	s_and_saveexec_b64 s[10:11], vcc
	s_cbranch_execz .LBB594_782
; %bb.779:
	v_bfe_u32 v5, v5, 24, 7
	s_movk_i32 s7, 0x7f
	v_cmp_ne_u32_e32 vcc, s7, v5
	v_mov_b32_e32 v15, 0x7f800001
	s_and_saveexec_b64 s[12:13], vcc
	s_cbranch_execz .LBB594_781
; %bb.780:
	v_and_b32_e32 v15, 7, v2
	v_ffbh_u32_e32 v16, v15
	v_min_u32_e32 v19, 32, v16
	v_subrev_u32_e32 v16, 28, v19
	v_lshlrev_b64 v[16:17], v16, v[2:3]
	v_lshrrev_b32_e32 v18, 3, v5
	v_sub_u32_e32 v17, 29, v19
	v_and_b32_e32 v16, 7, v16
	v_cmp_gt_u32_e32 vcc, 8, v5
	v_cndmask_b32_e32 v5, v18, v17, vcc
	v_cndmask_b32_e32 v15, v15, v16, vcc
	v_lshlrev_b32_e32 v2, 24, v2
	v_bfrev_b32_e32 v16, 60
	v_lshlrev_b32_e32 v15, 20, v15
	v_and_b32_e32 v2, 0x80000000, v2
	v_lshl_add_u32 v5, v5, 23, v16
	v_or3_b32 v15, v2, v5, v15
.LBB594_781:
	s_or_b64 exec, exec, s[12:13]
.LBB594_782:
	s_or_b64 exec, exec, s[10:11]
.LBB594_783:
	s_or_b64 exec, exec, s[8:9]
	v_cvt_pkrtz_f16_f32 v2, v10, v11
	v_cvt_pkrtz_f16_f32 v3, v3, v13
	ds_read_b128 v[16:19], v22 offset:6160
	s_load_dword s8, s[42:43], 0x0
	v_cmp_gt_u32_e32 vcc, 64, v0
	s_waitcnt lgkmcnt(0)
	v_mfma_f32_16x16x16f16 v[6:9], v[2:3], v[16:17], v[6:9]
	v_cvt_pkrtz_f16_f32 v2, v12, v14
	v_cvt_pkrtz_f16_f32 v3, v4, v15
	s_and_b64 s[0:1], vcc, s[0:1]
	s_barrier
	v_mfma_f32_16x16x16f16 v[2:5], v[2:3], v[18:19], v[6:9]
	s_nop 7
	s_nop 2
	v_pk_mul_f32 v[4:5], v[4:5], s[8:9] op_sel_hi:[1,0]
	v_pk_mul_f32 v[2:3], v[2:3], s[8:9] op_sel_hi:[1,0]
	v_cvt_f16_f32_e32 v2, v2
	v_cvt_f16_f32_e32 v3, v3
	;; [unrolled: 1-line block ×4, first 2 shown]
	v_pack_b32_f16 v2, v2, v3
	v_pack_b32_f16 v3, v4, v5
	ds_write_b64 v28, v[2:3]
	s_waitcnt lgkmcnt(0)
	s_barrier
	s_and_saveexec_b64 s[8:9], s[0:1]
	s_cbranch_execz .LBB594_786
; %bb.784:
	s_load_dwordx2 s[4:5], s[4:5], 0x68
	s_lshl_b32 s0, s44, 6
	s_mul_i32 s1, s14, s6
	s_mul_hi_u32 s9, s1, s0
	s_mul_i32 s8, s1, s0
	s_lshl_b64 s[8:9], s[8:9], 1
	s_waitcnt lgkmcnt(0)
	s_add_u32 s1, s4, s8
	v_lshlrev_b32_e32 v0, 10, v0
	s_mov_b32 s7, 0
	s_addc_u32 s8, s5, s9
	s_lshl_b32 s6, s24, 6
	v_and_b32_e32 v0, 0x1800, v0
	v_lshlrev_b32_e32 v2, 5, v1
	v_and_b32_e32 v3, 16, v47
	s_lshl_b64 s[4:5], s[6:7], 1
	v_or3_b32 v0, v0, v2, v3
	s_add_u32 s1, s1, s4
	s_addc_u32 s4, s8, s5
	ds_read_b128 v[4:7], v0
	v_add_u32_e32 v8, s25, v1
	v_mov_b32_e32 v3, s4
	v_add_co_u32_e32 v2, vcc, s1, v46
	v_mad_u64_u32 v[8:9], s[4:5], v8, s0, 0
	v_addc_co_u32_e32 v3, vcc, 0, v3, vcc
	v_lshlrev_b64 v[8:9], 1, v[8:9]
	v_add_co_u32_e32 v8, vcc, v2, v8
	v_addc_co_u32_e32 v9, vcc, v3, v9, vcc
	s_waitcnt lgkmcnt(0)
	global_store_dwordx4 v[8:9], v[4:7], off
	s_and_b64 exec, exec, s[2:3]
	s_cbranch_execz .LBB594_786
; %bb.785:
	ds_read_b128 v[4:7], v0 offset:128
	v_add3_u32 v0, s25, v1, 4
	v_mad_u64_u32 v[0:1], s[0:1], v0, s0, 0
	v_lshlrev_b64 v[0:1], 1, v[0:1]
	v_add_co_u32_e32 v0, vcc, v2, v0
	v_addc_co_u32_e32 v1, vcc, v3, v1, vcc
	s_waitcnt lgkmcnt(0)
	global_store_dwordx4 v[0:1], v[4:7], off
.LBB594_786:
	s_endpgm
	.section	.rodata,"a",@progbits
	.p2align	6, 0x0
	.amdhsa_kernel _Z39paged_attention_ll4mi_QKV_mfma16_kernelIDF16_hLN4vllm18Fp8KVCacheDataTypeE1EDF16_Li32ELi64ELi256ELb0ELi5EL8MFMAType0EEvPKT_PKT0_S8_ifPKiSA_SA_iPKfiiiPfSD_PS3_PT2_iSC_SC_
		.amdhsa_group_segment_fixed_size 8192
		.amdhsa_private_segment_fixed_size 0
		.amdhsa_kernarg_size 400
		.amdhsa_user_sgpr_count 6
		.amdhsa_user_sgpr_private_segment_buffer 1
		.amdhsa_user_sgpr_dispatch_ptr 0
		.amdhsa_user_sgpr_queue_ptr 0
		.amdhsa_user_sgpr_kernarg_segment_ptr 1
		.amdhsa_user_sgpr_dispatch_id 0
		.amdhsa_user_sgpr_flat_scratch_init 0
		.amdhsa_user_sgpr_kernarg_preload_length 0
		.amdhsa_user_sgpr_kernarg_preload_offset 0
		.amdhsa_user_sgpr_private_segment_size 0
		.amdhsa_uses_dynamic_stack 0
		.amdhsa_system_sgpr_private_segment_wavefront_offset 0
		.amdhsa_system_sgpr_workgroup_id_x 1
		.amdhsa_system_sgpr_workgroup_id_y 1
		.amdhsa_system_sgpr_workgroup_id_z 1
		.amdhsa_system_sgpr_workgroup_info 0
		.amdhsa_system_vgpr_workitem_id 0
		.amdhsa_next_free_vgpr 62
		.amdhsa_next_free_sgpr 47
		.amdhsa_accum_offset 64
		.amdhsa_reserve_vcc 1
		.amdhsa_reserve_flat_scratch 0
		.amdhsa_float_round_mode_32 0
		.amdhsa_float_round_mode_16_64 0
		.amdhsa_float_denorm_mode_32 3
		.amdhsa_float_denorm_mode_16_64 3
		.amdhsa_dx10_clamp 1
		.amdhsa_ieee_mode 1
		.amdhsa_fp16_overflow 0
		.amdhsa_tg_split 0
		.amdhsa_exception_fp_ieee_invalid_op 0
		.amdhsa_exception_fp_denorm_src 0
		.amdhsa_exception_fp_ieee_div_zero 0
		.amdhsa_exception_fp_ieee_overflow 0
		.amdhsa_exception_fp_ieee_underflow 0
		.amdhsa_exception_fp_ieee_inexact 0
		.amdhsa_exception_int_div_zero 0
	.end_amdhsa_kernel
	.section	.text._Z39paged_attention_ll4mi_QKV_mfma16_kernelIDF16_hLN4vllm18Fp8KVCacheDataTypeE1EDF16_Li32ELi64ELi256ELb0ELi5EL8MFMAType0EEvPKT_PKT0_S8_ifPKiSA_SA_iPKfiiiPfSD_PS3_PT2_iSC_SC_,"axG",@progbits,_Z39paged_attention_ll4mi_QKV_mfma16_kernelIDF16_hLN4vllm18Fp8KVCacheDataTypeE1EDF16_Li32ELi64ELi256ELb0ELi5EL8MFMAType0EEvPKT_PKT0_S8_ifPKiSA_SA_iPKfiiiPfSD_PS3_PT2_iSC_SC_,comdat
.Lfunc_end594:
	.size	_Z39paged_attention_ll4mi_QKV_mfma16_kernelIDF16_hLN4vllm18Fp8KVCacheDataTypeE1EDF16_Li32ELi64ELi256ELb0ELi5EL8MFMAType0EEvPKT_PKT0_S8_ifPKiSA_SA_iPKfiiiPfSD_PS3_PT2_iSC_SC_, .Lfunc_end594-_Z39paged_attention_ll4mi_QKV_mfma16_kernelIDF16_hLN4vllm18Fp8KVCacheDataTypeE1EDF16_Li32ELi64ELi256ELb0ELi5EL8MFMAType0EEvPKT_PKT0_S8_ifPKiSA_SA_iPKfiiiPfSD_PS3_PT2_iSC_SC_
                                        ; -- End function
	.section	.AMDGPU.csdata,"",@progbits
; Kernel info:
; codeLenInByte = 27012
; NumSgprs: 51
; NumVgprs: 62
; NumAgprs: 0
; TotalNumVgprs: 62
; ScratchSize: 0
; MemoryBound: 0
; FloatMode: 240
; IeeeMode: 1
; LDSByteSize: 8192 bytes/workgroup (compile time only)
; SGPRBlocks: 6
; VGPRBlocks: 7
; NumSGPRsForWavesPerEU: 51
; NumVGPRsForWavesPerEU: 62
; AccumOffset: 64
; Occupancy: 8
; WaveLimiterHint : 1
; COMPUTE_PGM_RSRC2:SCRATCH_EN: 0
; COMPUTE_PGM_RSRC2:USER_SGPR: 6
; COMPUTE_PGM_RSRC2:TRAP_HANDLER: 0
; COMPUTE_PGM_RSRC2:TGID_X_EN: 1
; COMPUTE_PGM_RSRC2:TGID_Y_EN: 1
; COMPUTE_PGM_RSRC2:TGID_Z_EN: 1
; COMPUTE_PGM_RSRC2:TIDIG_COMP_CNT: 0
; COMPUTE_PGM_RSRC3_GFX90A:ACCUM_OFFSET: 15
; COMPUTE_PGM_RSRC3_GFX90A:TG_SPLIT: 0
	.section	.text._Z39paged_attention_ll4mi_QKV_mfma16_kernelIDF16_hLN4vllm18Fp8KVCacheDataTypeE1EDF16_Li32ELi64ELi256ELb0ELi6EL8MFMAType0EEvPKT_PKT0_S8_ifPKiSA_SA_iPKfiiiPfSD_PS3_PT2_iSC_SC_,"axG",@progbits,_Z39paged_attention_ll4mi_QKV_mfma16_kernelIDF16_hLN4vllm18Fp8KVCacheDataTypeE1EDF16_Li32ELi64ELi256ELb0ELi6EL8MFMAType0EEvPKT_PKT0_S8_ifPKiSA_SA_iPKfiiiPfSD_PS3_PT2_iSC_SC_,comdat
	.protected	_Z39paged_attention_ll4mi_QKV_mfma16_kernelIDF16_hLN4vllm18Fp8KVCacheDataTypeE1EDF16_Li32ELi64ELi256ELb0ELi6EL8MFMAType0EEvPKT_PKT0_S8_ifPKiSA_SA_iPKfiiiPfSD_PS3_PT2_iSC_SC_ ; -- Begin function _Z39paged_attention_ll4mi_QKV_mfma16_kernelIDF16_hLN4vllm18Fp8KVCacheDataTypeE1EDF16_Li32ELi64ELi256ELb0ELi6EL8MFMAType0EEvPKT_PKT0_S8_ifPKiSA_SA_iPKfiiiPfSD_PS3_PT2_iSC_SC_
	.globl	_Z39paged_attention_ll4mi_QKV_mfma16_kernelIDF16_hLN4vllm18Fp8KVCacheDataTypeE1EDF16_Li32ELi64ELi256ELb0ELi6EL8MFMAType0EEvPKT_PKT0_S8_ifPKiSA_SA_iPKfiiiPfSD_PS3_PT2_iSC_SC_
	.p2align	8
	.type	_Z39paged_attention_ll4mi_QKV_mfma16_kernelIDF16_hLN4vllm18Fp8KVCacheDataTypeE1EDF16_Li32ELi64ELi256ELb0ELi6EL8MFMAType0EEvPKT_PKT0_S8_ifPKiSA_SA_iPKfiiiPfSD_PS3_PT2_iSC_SC_,@function
_Z39paged_attention_ll4mi_QKV_mfma16_kernelIDF16_hLN4vllm18Fp8KVCacheDataTypeE1EDF16_Li32ELi64ELi256ELb0ELi6EL8MFMAType0EEvPKT_PKT0_S8_ifPKiSA_SA_iPKfiiiPfSD_PS3_PT2_iSC_SC_: ; @_Z39paged_attention_ll4mi_QKV_mfma16_kernelIDF16_hLN4vllm18Fp8KVCacheDataTypeE1EDF16_Li32ELi64ELi256ELb0ELi6EL8MFMAType0EEvPKT_PKT0_S8_ifPKiSA_SA_iPKfiiiPfSD_PS3_PT2_iSC_SC_
; %bb.0:
	s_load_dwordx2 s[0:1], s[4:5], 0x30
	s_mov_b32 s24, s7
	s_mov_b64 s[10:11], 0
	s_waitcnt lgkmcnt(0)
	s_cmp_lg_u64 s[0:1], 0
	s_cselect_b64 s[2:3], -1, 0
	s_and_b64 vcc, exec, s[2:3]
	s_cbranch_vccz .LBB595_7
; %bb.1:
	s_add_i32 s12, s6, 1
	s_mov_b32 s13, 0
	s_lshl_b64 s[14:15], s[12:13], 2
	s_add_u32 s14, s0, s14
	s_mov_b32 s7, s13
	s_addc_u32 s15, s1, s15
	s_lshl_b64 s[12:13], s[6:7], 2
	s_add_u32 s12, s0, s12
	s_addc_u32 s13, s1, s13
	s_load_dword s9, s[14:15], 0x0
	s_load_dword s16, s[12:13], 0x0
	s_waitcnt lgkmcnt(0)
	s_sub_i32 s9, s9, s16
	s_cmp_eq_u32 s9, 1
	s_cselect_b64 s[12:13], -1, 0
	s_andn2_b64 vcc, exec, s[10:11]
	s_cbranch_vccnz .LBB595_3
.LBB595_2:
	s_mov_b32 s7, 0
	s_mov_b64 s[12:13], -1
.LBB595_3:
	s_andn2_b64 vcc, exec, s[12:13]
	s_cbranch_vccnz .LBB595_786
; %bb.4:
	s_load_dwordx2 s[12:13], s[4:5], 0x28
	s_lshl_b64 s[10:11], s[6:7], 2
	s_waitcnt lgkmcnt(0)
	s_add_u32 s12, s12, s10
	s_addc_u32 s13, s13, s11
	s_load_dword s33, s[12:13], 0x0
	s_lshl_b32 s20, s24, 8
	s_waitcnt lgkmcnt(0)
	s_cmp_ge_i32 s20, s33
	s_cbranch_scc1 .LBB595_786
; %bb.5:
	s_add_i32 s14, s33, 31
	s_load_dwordx2 s[12:13], s[4:5], 0x20
	s_load_dword s9, s[4:5], 0x38
	s_ashr_i32 s15, s14, 31
	v_and_b32_e32 v1, 0xcf, v0
	s_lshr_b32 s15, s15, 27
	v_add_u32_e32 v1, s20, v1
	s_add_i32 s14, s14, s15
	v_ashrrev_i32_e32 v2, 31, v1
	s_ashr_i32 s22, s14, 5
	v_lshrrev_b32_e32 v4, 27, v2
	s_add_i32 s22, s22, -1
	v_add_u32_e32 v2, v1, v4
	s_waitcnt lgkmcnt(0)
	s_mul_i32 s14, s6, s9
	s_mov_b32 s15, 0
	v_ashrrev_i32_e32 v2, 5, v2
	v_mov_b32_e32 v5, s22
	v_cmp_gt_i32_e32 vcc, s33, v1
	s_lshl_b64 s[14:15], s[14:15], 2
	v_cndmask_b32_e32 v2, v5, v2, vcc
	s_add_u32 s9, s12, s14
	v_ashrrev_i32_e32 v3, 31, v2
	s_addc_u32 s21, s13, s15
	v_lshlrev_b64 v[2:3], 2, v[2:3]
	v_mov_b32_e32 v7, s21
	v_add_co_u32_e32 v6, vcc, s9, v2
	v_or_b32_e32 v2, 16, v1
	v_addc_co_u32_e32 v7, vcc, v7, v3, vcc
	v_add_u32_e32 v3, v2, v4
	v_ashrrev_i32_e32 v3, 5, v3
	v_cmp_gt_i32_e32 vcc, s33, v2
	v_cndmask_b32_e32 v2, v5, v3, vcc
	v_ashrrev_i32_e32 v3, 31, v2
	v_lshlrev_b64 v[2:3], 2, v[2:3]
	v_mov_b32_e32 v9, s21
	v_add_co_u32_e32 v8, vcc, s9, v2
	v_or_b32_e32 v2, 32, v1
	v_addc_co_u32_e32 v9, vcc, v9, v3, vcc
	v_add_u32_e32 v3, v2, v4
	v_ashrrev_i32_e32 v3, 5, v3
	v_cmp_gt_i32_e32 vcc, s33, v2
	v_cndmask_b32_e32 v2, v5, v3, vcc
	v_ashrrev_i32_e32 v3, 31, v2
	;; [unrolled: 10-line block ×3, first 2 shown]
	v_lshlrev_b64 v[2:3], 2, v[2:3]
	v_mov_b32_e32 v1, s21
	v_add_co_u32_e32 v12, vcc, s9, v2
	v_addc_co_u32_e32 v13, vcc, v1, v3, vcc
	global_load_dword v5, v[6:7], off
	global_load_dword v4, v[8:9], off
	;; [unrolled: 1-line block ×4, first 2 shown]
	s_load_dwordx4 s[12:15], s[4:5], 0x8
	s_andn2_b64 vcc, exec, s[2:3]
	s_cbranch_vccnz .LBB595_8
; %bb.6:
	s_add_u32 s0, s0, s10
	s_addc_u32 s1, s1, s11
	s_load_dword s10, s[0:1], 0x0
	s_branch .LBB595_9
.LBB595_7:
	s_mov_b64 s[12:13], 0
	s_branch .LBB595_2
.LBB595_8:
	s_mov_b32 s10, s6
.LBB595_9:
	s_load_dwordx4 s[16:19], s[4:5], 0x48
	v_lshrrev_b32_e32 v50, 6, v0
	v_bfe_u32 v1, v0, 4, 2
	v_lshl_or_b32 v6, v50, 2, v1
	v_and_b32_e32 v49, 15, v0
	v_lshlrev_b32_e32 v7, 3, v49
	v_cmp_gt_u32_e32 vcc, 6, v6
	v_cmp_gt_u32_e64 s[0:1], 8, v49
	s_mul_i32 s25, s8, 6
	s_and_b64 s[26:27], s[0:1], vcc
	v_lshlrev_b32_e32 v46, 1, v7
	v_lshlrev_b32_e32 v47, 4, v0
	s_and_saveexec_b64 s[2:3], s[26:27]
	s_cbranch_execz .LBB595_11
; %bb.10:
	s_load_dwordx2 s[26:27], s[4:5], 0x0
	s_waitcnt lgkmcnt(0)
	s_ashr_i32 s11, s16, 31
	s_mul_hi_u32 s19, s10, s16
	s_mul_i32 s11, s10, s11
	s_add_i32 s11, s19, s11
	s_mul_i32 s10, s10, s16
	s_lshl_b64 s[10:11], s[10:11], 1
	v_add_lshl_u32 v8, v6, s25, 6
	s_add_u32 s10, s26, s10
	v_ashrrev_i32_e32 v9, 31, v8
	s_addc_u32 s11, s27, s11
	v_lshlrev_b64 v[8:9], 1, v[8:9]
	v_mov_b32_e32 v7, s11
	v_add_co_u32_e32 v8, vcc, s10, v8
	v_addc_co_u32_e32 v7, vcc, v7, v9, vcc
	v_add_co_u32_e32 v8, vcc, v8, v46
	v_addc_co_u32_e32 v9, vcc, 0, v7, vcc
	global_load_dwordx4 v[8:11], v[8:9], off
	v_lshlrev_b32_e32 v12, 8, v49
	v_lshlrev_b32_e32 v6, 5, v6
	v_and_b32_e32 v7, 16, v47
	v_and_b32_e32 v12, 0xe00, v12
	v_or3_b32 v6, v12, v6, v7
	s_waitcnt vmcnt(0)
	ds_write_b128 v6, v[8:11]
.LBB595_11:
	s_or_b64 exec, exec, s[2:3]
	s_waitcnt lgkmcnt(0)
	s_mul_i32 s8, s8, s18
	s_add_u32 s2, s12, s8
	s_addc_u32 s3, s13, 0
	v_and_b32_e32 v12, 48, v0
	s_ashr_i32 s10, s20, 31
	v_or_b32_e32 v13, s20, v12
	s_lshr_b32 s10, s10, 27
	v_add_u32_e32 v6, s10, v13
	v_ashrrev_i32_e32 v6, 5, v6
	v_mov_b32_e32 v14, s22
	v_cmp_gt_i32_e32 vcc, s33, v13
	v_cndmask_b32_e32 v6, v14, v6, vcc
	v_ashrrev_i32_e32 v7, 31, v6
	v_lshlrev_b64 v[6:7], 2, v[6:7]
	v_mov_b32_e32 v8, s21
	v_add_co_u32_e32 v6, vcc, s9, v6
	v_addc_co_u32_e32 v7, vcc, v8, v7, vcc
	v_or_b32_e32 v8, 64, v13
	v_add_u32_e32 v9, s10, v8
	v_ashrrev_i32_e32 v9, 5, v9
	v_cmp_gt_i32_e32 vcc, s33, v8
	v_cndmask_b32_e32 v8, v14, v9, vcc
	v_ashrrev_i32_e32 v9, 31, v8
	v_lshlrev_b64 v[8:9], 2, v[8:9]
	v_mov_b32_e32 v10, s21
	v_add_co_u32_e32 v8, vcc, s9, v8
	v_addc_co_u32_e32 v9, vcc, v10, v9, vcc
	v_or_b32_e32 v10, 0x80, v13
	v_add_u32_e32 v11, s10, v10
	v_ashrrev_i32_e32 v11, 5, v11
	v_cmp_gt_i32_e32 vcc, s33, v10
	v_cndmask_b32_e32 v10, v14, v11, vcc
	v_ashrrev_i32_e32 v11, 31, v10
	v_lshlrev_b64 v[10:11], 2, v[10:11]
	v_mov_b32_e32 v15, s21
	v_add_co_u32_e32 v10, vcc, s9, v10
	s_load_dwordx2 s[44:45], s[4:5], 0x94
	s_load_dwordx4 s[40:43], s[4:5], 0x80
	s_waitcnt lgkmcnt(0)
	s_barrier
	v_addc_co_u32_e32 v11, vcc, v15, v11, vcc
	global_load_dword v15, v[6:7], off
	global_load_dword v16, v[8:9], off
	;; [unrolled: 1-line block ×3, first 2 shown]
	v_or_b32_e32 v6, 0xc0, v13
	v_add_u32_e32 v7, s10, v6
	v_ashrrev_i32_e32 v7, 5, v7
	v_cmp_gt_i32_e32 vcc, s33, v6
	v_cndmask_b32_e32 v6, v14, v7, vcc
	v_ashrrev_i32_e32 v7, 31, v6
	v_lshlrev_b64 v[6:7], 2, v[6:7]
	v_mov_b32_e32 v8, s21
	v_add_co_u32_e32 v6, vcc, s9, v6
	v_addc_co_u32_e32 v7, vcc, v8, v7, vcc
	global_load_dword v20, v[6:7], off
	v_pk_mov_b32 v[6:7], s[2:3], s[2:3] op_sel:[0,1]
	s_waitcnt vmcnt(7)
	v_mad_i64_i32 v[8:9], s[2:3], v5, s17, v[6:7]
	v_lshlrev_b32_e32 v11, 4, v49
	v_add_co_u32_e32 v5, vcc, v8, v11
	v_lshlrev_b32_e32 v10, 5, v12
	v_addc_co_u32_e32 v9, vcc, 0, v9, vcc
	v_add_co_u32_e32 v8, vcc, v5, v10
	v_addc_co_u32_e32 v9, vcc, 0, v9, vcc
	s_waitcnt vmcnt(6)
	v_mad_i64_i32 v[4:5], s[2:3], v4, s17, v[6:7]
	v_or_b32_e32 v12, 0x100, v11
	v_add_co_u32_e32 v4, vcc, v4, v12
	v_addc_co_u32_e32 v5, vcc, 0, v5, vcc
	v_add_co_u32_e32 v4, vcc, v4, v10
	v_addc_co_u32_e32 v5, vcc, 0, v5, vcc
	global_load_dwordx4 v[30:33], v[8:9], off
	global_load_dwordx4 v[38:41], v[4:5], off
	s_waitcnt vmcnt(7)
	v_mad_i64_i32 v[4:5], s[2:3], v3, s17, v[6:7]
	v_add_co_u32_e32 v3, vcc, v4, v11
	v_addc_co_u32_e32 v5, vcc, 0, v5, vcc
	v_add_co_u32_e32 v4, vcc, v3, v10
	v_addc_co_u32_e32 v5, vcc, 0, v5, vcc
	s_waitcnt vmcnt(6)
	v_mad_i64_i32 v[2:3], s[2:3], v2, s17, v[6:7]
	v_add_co_u32_e32 v2, vcc, v2, v12
	v_addc_co_u32_e32 v3, vcc, 0, v3, vcc
	v_add_co_u32_e32 v2, vcc, v2, v10
	s_add_u32 s2, s14, s8
	v_addc_co_u32_e32 v3, vcc, 0, v3, vcc
	global_load_dwordx4 v[34:37], v[4:5], off
	global_load_dwordx4 v[22:25], v[2:3], off
	s_addc_u32 s3, s15, 0
	v_and_b32_e32 v2, 16, v0
	v_mov_b32_e32 v3, s3
	v_add_co_u32_e32 v2, vcc, s2, v2
	v_lshlrev_b32_e32 v48, 5, v49
	v_addc_co_u32_e32 v3, vcc, 0, v3, vcc
	v_lshl_or_b32 v4, v50, 9, v48
	v_add_co_u32_e32 v2, vcc, v2, v4
	v_addc_co_u32_e32 v3, vcc, 0, v3, vcc
	v_mov_b32_e32 v43, 0
	s_movk_i32 s8, 0x80
	v_mov_b32_e32 v44, 0
	s_waitcnt vmcnt(7)
	v_mad_i64_i32 v[4:5], s[2:3], v15, s17, v[2:3]
	s_waitcnt vmcnt(6)
	v_mad_i64_i32 v[6:7], s[2:3], v16, s17, v[2:3]
	;; [unrolled: 2-line block ×3, first 2 shown]
	global_load_dwordx4 v[14:17], v[4:5], off
	global_load_dwordx4 v[10:13], v[6:7], off
	s_waitcnt vmcnt(6)
	v_mad_i64_i32 v[20:21], s[2:3], v20, s17, v[2:3]
	global_load_dwordx4 v[6:9], v[18:19], off
	global_load_dwordx4 v[2:5], v[20:21], off
	v_mul_lo_u16_e32 v18, 43, v49
	v_mov_b32_e32 v19, 6
	v_mul_lo_u16_sdwa v18, v18, v19 dst_sel:DWORD dst_unused:UNUSED_PAD src0_sel:BYTE_1 src1_sel:DWORD
	v_sub_u16_e32 v18, v49, v18
	v_mov_b32_e32 v19, 5
	v_lshlrev_b32_sdwa v18, v19, v18 dst_sel:DWORD dst_unused:UNUSED_PAD src0_sel:DWORD src1_sel:BYTE_0
	v_lshl_add_u32 v18, v1, 9, v18
	ds_read_b128 v[26:29], v18
	ds_read_b128 v[18:21], v18 offset:16
	s_load_dword s12, s[40:41], 0x0
	s_waitcnt vmcnt(7)
	v_cmp_ne_u16_sdwa s[10:11], v30, v43 src0_sel:BYTE_0 src1_sel:DWORD
	s_and_saveexec_b64 s[2:3], s[10:11]
	s_cbranch_execz .LBB595_17
; %bb.12:
	v_cmp_ne_u16_sdwa s[10:11], v30, s8 src0_sel:BYTE_0 src1_sel:DWORD
	v_bfrev_b32_e32 v44, 1
	s_and_saveexec_b64 s[8:9], s[10:11]
	s_cbranch_execz .LBB595_16
; %bb.13:
	s_movk_i32 s10, 0x7f
	v_and_b32_e32 v42, 0x7f, v30
	v_cmp_ne_u32_e32 vcc, s10, v42
	v_mov_b32_e32 v44, 0x7f800001
	s_and_saveexec_b64 s[10:11], vcc
	s_cbranch_execz .LBB595_15
; %bb.14:
	v_and_b32_e32 v51, 7, v30
	v_ffbh_u32_e32 v44, v51
	v_min_u32_e32 v53, 32, v44
	v_subrev_u32_e32 v44, 28, v53
	v_lshlrev_b64 v[44:45], v44, v[30:31]
	v_lshrrev_b32_e32 v52, 3, v42
	v_sub_u32_e32 v45, 29, v53
	v_and_b32_e32 v44, 7, v44
	v_cmp_gt_u32_e32 vcc, 8, v42
	v_cndmask_b32_e32 v42, v52, v45, vcc
	v_cndmask_b32_e32 v44, v51, v44, vcc
	v_lshlrev_b32_e32 v45, 24, v30
	v_bfrev_b32_e32 v51, 60
	v_lshlrev_b32_e32 v44, 20, v44
	v_and_b32_e32 v45, 0x80000000, v45
	v_lshl_add_u32 v42, v42, 23, v51
	v_or3_b32 v44, v45, v42, v44
.LBB595_15:
	s_or_b64 exec, exec, s[10:11]
.LBB595_16:
	s_or_b64 exec, exec, s[8:9]
.LBB595_17:
	s_or_b64 exec, exec, s[2:3]
	v_lshrrev_b16_e32 v42, 8, v30
	v_cmp_ne_u16_e32 vcc, 0, v42
	s_and_saveexec_b64 s[2:3], vcc
	s_cbranch_execz .LBB595_23
; %bb.18:
	s_movk_i32 s8, 0x80
	v_cmp_ne_u16_e32 vcc, s8, v42
	v_bfrev_b32_e32 v43, 1
	s_and_saveexec_b64 s[8:9], vcc
	s_cbranch_execz .LBB595_22
; %bb.19:
	s_movk_i32 s10, 0x7f
	v_and_b32_e32 v45, 0x7f, v42
	v_cmp_ne_u32_e32 vcc, s10, v45
	v_mov_b32_e32 v43, 0x7f800001
	s_and_saveexec_b64 s[10:11], vcc
	s_cbranch_execz .LBB595_21
; %bb.20:
	v_and_b32_e32 v51, 7, v42
	v_ffbh_u32_e32 v43, v51
	v_min_u32_e32 v53, 32, v43
	v_subrev_u32_e32 v43, 28, v53
	v_lshlrev_b64 v[42:43], v43, v[42:43]
	v_lshrrev_b32_e32 v52, 3, v45
	v_sub_u32_e32 v43, 29, v53
	v_and_b32_e32 v42, 7, v42
	v_cmp_gt_u32_e32 vcc, 8, v45
	v_cndmask_b32_e32 v43, v52, v43, vcc
	v_cndmask_b32_e32 v42, v51, v42, vcc
	v_lshlrev_b32_e32 v45, 16, v30
	v_bfrev_b32_e32 v51, 60
	v_lshlrev_b32_e32 v42, 20, v42
	v_and_b32_e32 v45, 0x80000000, v45
	v_lshl_add_u32 v43, v43, 23, v51
	v_or3_b32 v43, v45, v43, v42
.LBB595_21:
	s_or_b64 exec, exec, s[10:11]
.LBB595_22:
	s_or_b64 exec, exec, s[8:9]
.LBB595_23:
	s_or_b64 exec, exec, s[2:3]
	s_movk_i32 s2, 0xff
	v_and_b32_sdwa v52, v30, s2 dst_sel:DWORD dst_unused:UNUSED_PAD src0_sel:WORD_1 src1_sel:DWORD
	v_lshrrev_b32_e32 v42, 16, v30
	v_cmp_ne_u16_e32 vcc, 0, v52
	v_mov_b32_e32 v45, 0
	v_mov_b32_e32 v51, 0
	s_and_saveexec_b64 s[2:3], vcc
	s_cbranch_execz .LBB595_29
; %bb.24:
	s_movk_i32 s8, 0x80
	v_cmp_ne_u16_e32 vcc, s8, v52
	v_bfrev_b32_e32 v51, 1
	s_and_saveexec_b64 s[8:9], vcc
	s_cbranch_execz .LBB595_28
; %bb.25:
	v_bfe_u32 v52, v30, 16, 7
	s_movk_i32 s10, 0x7f
	v_cmp_ne_u32_e32 vcc, s10, v52
	v_mov_b32_e32 v51, 0x7f800001
	s_and_saveexec_b64 s[10:11], vcc
	s_cbranch_execz .LBB595_27
; %bb.26:
	v_and_b32_e32 v51, 7, v42
	v_ffbh_u32_e32 v54, v51
	v_min_u32_e32 v56, 32, v54
	v_subrev_u32_e32 v54, 28, v56
	v_lshlrev_b64 v[54:55], v54, v[42:43]
	v_lshrrev_b32_e32 v53, 3, v52
	v_sub_u32_e32 v42, 29, v56
	v_and_b32_e32 v54, 7, v54
	v_cmp_gt_u32_e32 vcc, 8, v52
	v_mov_b32_e32 v52, 24
	v_cndmask_b32_e32 v42, v53, v42, vcc
	v_cndmask_b32_e32 v51, v51, v54, vcc
	v_lshlrev_b32_sdwa v52, v52, v30 dst_sel:DWORD dst_unused:UNUSED_PAD src0_sel:DWORD src1_sel:WORD_1
	v_bfrev_b32_e32 v53, 60
	v_lshlrev_b32_e32 v51, 20, v51
	v_and_b32_e32 v52, 0x80000000, v52
	v_lshl_add_u32 v42, v42, 23, v53
	v_or3_b32 v51, v52, v42, v51
.LBB595_27:
	s_or_b64 exec, exec, s[10:11]
.LBB595_28:
	s_or_b64 exec, exec, s[8:9]
.LBB595_29:
	s_or_b64 exec, exec, s[2:3]
	s_mov_b32 s2, 0xffffff
	v_cmp_lt_u32_e32 vcc, s2, v30
	s_and_saveexec_b64 s[2:3], vcc
	s_cbranch_execz .LBB595_35
; %bb.30:
	v_lshrrev_b32_e32 v42, 24, v30
	s_movk_i32 s8, 0x80
	v_cmp_ne_u32_e32 vcc, s8, v42
	v_bfrev_b32_e32 v45, 1
	s_and_saveexec_b64 s[8:9], vcc
	s_cbranch_execz .LBB595_34
; %bb.31:
	v_bfe_u32 v30, v30, 24, 7
	s_movk_i32 s10, 0x7f
	v_cmp_ne_u32_e32 vcc, s10, v30
	v_mov_b32_e32 v45, 0x7f800001
	s_and_saveexec_b64 s[10:11], vcc
	s_cbranch_execz .LBB595_33
; %bb.32:
	v_and_b32_e32 v45, 7, v42
	v_ffbh_u32_e32 v52, v45
	v_min_u32_e32 v55, 32, v52
	v_subrev_u32_e32 v52, 28, v55
	v_lshlrev_b64 v[52:53], v52, v[42:43]
	v_lshrrev_b32_e32 v54, 3, v30
	v_sub_u32_e32 v53, 29, v55
	v_and_b32_e32 v52, 7, v52
	v_cmp_gt_u32_e32 vcc, 8, v30
	v_cndmask_b32_e32 v30, v54, v53, vcc
	v_cndmask_b32_e32 v45, v45, v52, vcc
	v_lshlrev_b32_e32 v42, 24, v42
	v_bfrev_b32_e32 v52, 60
	v_lshlrev_b32_e32 v45, 20, v45
	v_and_b32_e32 v42, 0x80000000, v42
	v_lshl_add_u32 v30, v30, 23, v52
	v_or3_b32 v45, v42, v30, v45
.LBB595_33:
	s_or_b64 exec, exec, s[10:11]
.LBB595_34:
	s_or_b64 exec, exec, s[8:9]
.LBB595_35:
	s_or_b64 exec, exec, s[2:3]
	v_mov_b32_e32 v42, 0
	v_cmp_ne_u16_sdwa s[8:9], v31, v42 src0_sel:BYTE_0 src1_sel:DWORD
	v_mov_b32_e32 v52, 0
	s_and_saveexec_b64 s[2:3], s[8:9]
	s_cbranch_execz .LBB595_41
; %bb.36:
	s_movk_i32 s8, 0x80
	v_cmp_ne_u16_sdwa s[10:11], v31, s8 src0_sel:BYTE_0 src1_sel:DWORD
	v_bfrev_b32_e32 v52, 1
	s_and_saveexec_b64 s[8:9], s[10:11]
	s_cbranch_execz .LBB595_40
; %bb.37:
	s_movk_i32 s10, 0x7f
	v_and_b32_e32 v30, 0x7f, v31
	v_cmp_ne_u32_e32 vcc, s10, v30
	v_mov_b32_e32 v52, 0x7f800001
	s_and_saveexec_b64 s[10:11], vcc
	s_cbranch_execz .LBB595_39
; %bb.38:
	v_and_b32_e32 v54, 7, v31
	v_ffbh_u32_e32 v53, v54
	v_min_u32_e32 v56, 32, v53
	v_mov_b32_e32 v52, v31
	v_subrev_u32_e32 v53, 28, v56
	v_lshlrev_b64 v[52:53], v53, v[52:53]
	v_lshrrev_b32_e32 v55, 3, v30
	v_sub_u32_e32 v53, 29, v56
	v_and_b32_e32 v52, 7, v52
	v_cmp_gt_u32_e32 vcc, 8, v30
	v_cndmask_b32_e32 v30, v55, v53, vcc
	v_cndmask_b32_e32 v52, v54, v52, vcc
	v_lshlrev_b32_e32 v53, 24, v31
	v_bfrev_b32_e32 v54, 60
	v_lshlrev_b32_e32 v52, 20, v52
	v_and_b32_e32 v53, 0x80000000, v53
	v_lshl_add_u32 v30, v30, 23, v54
	v_or3_b32 v52, v53, v30, v52
.LBB595_39:
	s_or_b64 exec, exec, s[10:11]
.LBB595_40:
	s_or_b64 exec, exec, s[8:9]
.LBB595_41:
	s_or_b64 exec, exec, s[2:3]
	v_lshrrev_b16_e32 v30, 8, v31
	v_cmp_ne_u16_e32 vcc, 0, v30
	s_and_saveexec_b64 s[2:3], vcc
	s_cbranch_execz .LBB595_47
; %bb.42:
	s_movk_i32 s8, 0x80
	v_cmp_ne_u16_e32 vcc, s8, v30
	v_bfrev_b32_e32 v42, 1
	s_and_saveexec_b64 s[8:9], vcc
	s_cbranch_execz .LBB595_46
; %bb.43:
	s_movk_i32 s10, 0x7f
	v_and_b32_e32 v53, 0x7f, v30
	v_cmp_ne_u32_e32 vcc, s10, v53
	v_mov_b32_e32 v42, 0x7f800001
	s_and_saveexec_b64 s[10:11], vcc
	s_cbranch_execz .LBB595_45
; %bb.44:
	v_and_b32_e32 v42, 7, v30
	v_ffbh_u32_e32 v54, v42
	v_min_u32_e32 v57, 32, v54
	v_subrev_u32_e32 v54, 28, v57
	v_lshlrev_b64 v[54:55], v54, v[30:31]
	v_lshrrev_b32_e32 v56, 3, v53
	v_sub_u32_e32 v30, 29, v57
	v_and_b32_e32 v54, 7, v54
	v_cmp_gt_u32_e32 vcc, 8, v53
	v_cndmask_b32_e32 v30, v56, v30, vcc
	v_cndmask_b32_e32 v42, v42, v54, vcc
	v_lshlrev_b32_e32 v53, 16, v31
	v_bfrev_b32_e32 v54, 60
	v_lshlrev_b32_e32 v42, 20, v42
	v_and_b32_e32 v53, 0x80000000, v53
	v_lshl_add_u32 v30, v30, 23, v54
	v_or3_b32 v42, v53, v30, v42
.LBB595_45:
	s_or_b64 exec, exec, s[10:11]
.LBB595_46:
	s_or_b64 exec, exec, s[8:9]
.LBB595_47:
	s_or_b64 exec, exec, s[2:3]
	s_movk_i32 s2, 0xff
	v_and_b32_sdwa v55, v31, s2 dst_sel:DWORD dst_unused:UNUSED_PAD src0_sel:WORD_1 src1_sel:DWORD
	v_lshrrev_b32_e32 v30, 16, v31
	v_cmp_ne_u16_e32 vcc, 0, v55
	v_mov_b32_e32 v53, 0
	v_mov_b32_e32 v54, 0
	s_and_saveexec_b64 s[2:3], vcc
	s_cbranch_execz .LBB595_53
; %bb.48:
	s_movk_i32 s8, 0x80
	v_cmp_ne_u16_e32 vcc, s8, v55
	v_bfrev_b32_e32 v54, 1
	s_and_saveexec_b64 s[8:9], vcc
	s_cbranch_execz .LBB595_52
; %bb.49:
	v_bfe_u32 v55, v31, 16, 7
	s_movk_i32 s10, 0x7f
	v_cmp_ne_u32_e32 vcc, s10, v55
	v_mov_b32_e32 v54, 0x7f800001
	s_and_saveexec_b64 s[10:11], vcc
	s_cbranch_execz .LBB595_51
; %bb.50:
	v_and_b32_e32 v54, 7, v30
	v_ffbh_u32_e32 v56, v54
	v_min_u32_e32 v59, 32, v56
	v_subrev_u32_e32 v56, 28, v59
	v_lshlrev_b64 v[56:57], v56, v[30:31]
	v_lshrrev_b32_e32 v58, 3, v55
	v_sub_u32_e32 v30, 29, v59
	v_and_b32_e32 v56, 7, v56
	v_cmp_gt_u32_e32 vcc, 8, v55
	v_mov_b32_e32 v55, 24
	v_cndmask_b32_e32 v30, v58, v30, vcc
	v_cndmask_b32_e32 v54, v54, v56, vcc
	v_lshlrev_b32_sdwa v55, v55, v31 dst_sel:DWORD dst_unused:UNUSED_PAD src0_sel:DWORD src1_sel:WORD_1
	v_bfrev_b32_e32 v56, 60
	v_lshlrev_b32_e32 v54, 20, v54
	v_and_b32_e32 v55, 0x80000000, v55
	v_lshl_add_u32 v30, v30, 23, v56
	v_or3_b32 v54, v55, v30, v54
.LBB595_51:
	s_or_b64 exec, exec, s[10:11]
.LBB595_52:
	s_or_b64 exec, exec, s[8:9]
.LBB595_53:
	s_or_b64 exec, exec, s[2:3]
	s_mov_b32 s2, 0xffffff
	v_cmp_lt_u32_e32 vcc, s2, v31
	s_and_saveexec_b64 s[2:3], vcc
	s_cbranch_execz .LBB595_59
; %bb.54:
	v_lshrrev_b32_e32 v30, 24, v31
	s_movk_i32 s8, 0x80
	v_cmp_ne_u32_e32 vcc, s8, v30
	v_bfrev_b32_e32 v53, 1
	s_and_saveexec_b64 s[8:9], vcc
	s_cbranch_execz .LBB595_58
; %bb.55:
	v_bfe_u32 v31, v31, 24, 7
	s_movk_i32 s10, 0x7f
	v_cmp_ne_u32_e32 vcc, s10, v31
	v_mov_b32_e32 v53, 0x7f800001
	s_and_saveexec_b64 s[10:11], vcc
	s_cbranch_execz .LBB595_57
; %bb.56:
	v_and_b32_e32 v53, 7, v30
	v_ffbh_u32_e32 v56, v53
	v_min_u32_e32 v58, 32, v56
	v_subrev_u32_e32 v56, 28, v58
	v_lshlrev_b64 v[56:57], v56, v[30:31]
	v_lshrrev_b32_e32 v55, 3, v31
	v_sub_u32_e32 v57, 29, v58
	v_and_b32_e32 v56, 7, v56
	v_cmp_gt_u32_e32 vcc, 8, v31
	v_cndmask_b32_e32 v31, v55, v57, vcc
	v_cndmask_b32_e32 v53, v53, v56, vcc
	v_lshlrev_b32_e32 v30, 24, v30
	v_bfrev_b32_e32 v55, 60
	v_lshlrev_b32_e32 v53, 20, v53
	v_and_b32_e32 v30, 0x80000000, v30
	v_lshl_add_u32 v31, v31, 23, v55
	v_or3_b32 v53, v30, v31, v53
.LBB595_57:
	s_or_b64 exec, exec, s[10:11]
.LBB595_58:
	s_or_b64 exec, exec, s[8:9]
.LBB595_59:
	s_or_b64 exec, exec, s[2:3]
	v_cvt_pkrtz_f16_f32 v30, v44, v43
	v_cvt_pkrtz_f16_f32 v31, v51, v45
	;; [unrolled: 1-line block ×4, first 2 shown]
	v_mov_b32_e32 v52, 0
	s_waitcnt lgkmcnt(0)
	v_mfma_f32_16x16x16f16 v[56:59], v[30:31], v[26:27], 0
	v_mov_b32_e32 v31, 0
	v_cmp_ne_u16_sdwa s[8:9], v32, v31 src0_sel:BYTE_0 src1_sel:DWORD
	v_mfma_f32_16x16x16f16 v[42:45], v[42:43], v[28:29], v[56:59]
	s_and_saveexec_b64 s[2:3], s[8:9]
	s_cbranch_execz .LBB595_65
; %bb.60:
	s_movk_i32 s8, 0x80
	v_cmp_ne_u16_sdwa s[10:11], v32, s8 src0_sel:BYTE_0 src1_sel:DWORD
	v_bfrev_b32_e32 v52, 1
	s_and_saveexec_b64 s[8:9], s[10:11]
	s_cbranch_execz .LBB595_64
; %bb.61:
	s_movk_i32 s10, 0x7f
	v_and_b32_e32 v30, 0x7f, v32
	v_cmp_ne_u32_e32 vcc, s10, v30
	v_mov_b32_e32 v52, 0x7f800001
	s_and_saveexec_b64 s[10:11], vcc
	s_cbranch_execz .LBB595_63
; %bb.62:
	v_and_b32_e32 v51, 7, v32
	v_ffbh_u32_e32 v52, v51
	v_min_u32_e32 v55, 32, v52
	v_subrev_u32_e32 v52, 28, v55
	v_lshlrev_b64 v[52:53], v52, v[32:33]
	v_lshrrev_b32_e32 v54, 3, v30
	v_sub_u32_e32 v53, 29, v55
	v_and_b32_e32 v52, 7, v52
	v_cmp_gt_u32_e32 vcc, 8, v30
	v_cndmask_b32_e32 v30, v54, v53, vcc
	v_cndmask_b32_e32 v51, v51, v52, vcc
	v_lshlrev_b32_e32 v52, 24, v32
	v_bfrev_b32_e32 v53, 60
	v_lshlrev_b32_e32 v51, 20, v51
	v_and_b32_e32 v52, 0x80000000, v52
	v_lshl_add_u32 v30, v30, 23, v53
	v_or3_b32 v52, v52, v30, v51
.LBB595_63:
	s_or_b64 exec, exec, s[10:11]
.LBB595_64:
	s_or_b64 exec, exec, s[8:9]
.LBB595_65:
	s_or_b64 exec, exec, s[2:3]
	v_lshrrev_b16_e32 v30, 8, v32
	v_cmp_ne_u16_e32 vcc, 0, v30
	v_mov_b32_e32 v53, 0
	s_and_saveexec_b64 s[2:3], vcc
	s_cbranch_execz .LBB595_71
; %bb.66:
	s_movk_i32 s8, 0x80
	v_cmp_ne_u16_e32 vcc, s8, v30
	v_bfrev_b32_e32 v53, 1
	s_and_saveexec_b64 s[8:9], vcc
	s_cbranch_execz .LBB595_70
; %bb.67:
	s_movk_i32 s10, 0x7f
	v_and_b32_e32 v51, 0x7f, v30
	v_cmp_ne_u32_e32 vcc, s10, v51
	v_mov_b32_e32 v53, 0x7f800001
	s_and_saveexec_b64 s[10:11], vcc
	s_cbranch_execz .LBB595_69
; %bb.68:
	v_and_b32_e32 v53, 7, v30
	v_ffbh_u32_e32 v54, v53
	v_min_u32_e32 v57, 32, v54
	v_subrev_u32_e32 v54, 28, v57
	v_lshlrev_b64 v[54:55], v54, v[30:31]
	v_lshrrev_b32_e32 v56, 3, v51
	v_sub_u32_e32 v30, 29, v57
	v_and_b32_e32 v54, 7, v54
	v_cmp_gt_u32_e32 vcc, 8, v51
	v_cndmask_b32_e32 v30, v56, v30, vcc
	v_cndmask_b32_e32 v51, v53, v54, vcc
	v_lshlrev_b32_e32 v53, 16, v32
	v_bfrev_b32_e32 v54, 60
	v_lshlrev_b32_e32 v51, 20, v51
	v_and_b32_e32 v53, 0x80000000, v53
	v_lshl_add_u32 v30, v30, 23, v54
	v_or3_b32 v53, v53, v30, v51
.LBB595_69:
	s_or_b64 exec, exec, s[10:11]
.LBB595_70:
	s_or_b64 exec, exec, s[8:9]
.LBB595_71:
	s_or_b64 exec, exec, s[2:3]
	s_movk_i32 s2, 0xff
	v_and_b32_sdwa v51, v32, s2 dst_sel:DWORD dst_unused:UNUSED_PAD src0_sel:WORD_1 src1_sel:DWORD
	v_lshrrev_b32_e32 v30, 16, v32
	v_cmp_ne_u16_e32 vcc, 0, v51
	s_and_saveexec_b64 s[2:3], vcc
	s_cbranch_execz .LBB595_77
; %bb.72:
	s_movk_i32 s8, 0x80
	v_cmp_ne_u16_e32 vcc, s8, v51
	v_bfrev_b32_e32 v31, 1
	s_and_saveexec_b64 s[8:9], vcc
	s_cbranch_execz .LBB595_76
; %bb.73:
	v_bfe_u32 v51, v32, 16, 7
	s_movk_i32 s10, 0x7f
	v_cmp_ne_u32_e32 vcc, s10, v51
	v_mov_b32_e32 v31, 0x7f800001
	s_and_saveexec_b64 s[10:11], vcc
	s_cbranch_execz .LBB595_75
; %bb.74:
	v_and_b32_e32 v54, 7, v30
	v_ffbh_u32_e32 v31, v54
	v_min_u32_e32 v56, 32, v31
	v_subrev_u32_e32 v31, 28, v56
	v_lshlrev_b64 v[30:31], v31, v[30:31]
	v_lshrrev_b32_e32 v55, 3, v51
	v_sub_u32_e32 v31, 29, v56
	v_and_b32_e32 v30, 7, v30
	v_cmp_gt_u32_e32 vcc, 8, v51
	v_mov_b32_e32 v51, 24
	v_cndmask_b32_e32 v31, v55, v31, vcc
	v_cndmask_b32_e32 v30, v54, v30, vcc
	v_lshlrev_b32_sdwa v51, v51, v32 dst_sel:DWORD dst_unused:UNUSED_PAD src0_sel:DWORD src1_sel:WORD_1
	v_bfrev_b32_e32 v54, 60
	v_lshlrev_b32_e32 v30, 20, v30
	v_and_b32_e32 v51, 0x80000000, v51
	v_lshl_add_u32 v31, v31, 23, v54
	v_or3_b32 v31, v51, v31, v30
.LBB595_75:
	s_or_b64 exec, exec, s[10:11]
.LBB595_76:
	s_or_b64 exec, exec, s[8:9]
.LBB595_77:
	s_or_b64 exec, exec, s[2:3]
	s_mov_b32 s2, 0xffffff
	v_cmp_lt_u32_e32 vcc, s2, v32
	v_mov_b32_e32 v54, 0
	v_mov_b32_e32 v55, 0
	s_and_saveexec_b64 s[2:3], vcc
	s_cbranch_execz .LBB595_83
; %bb.78:
	v_lshrrev_b32_e32 v30, 24, v32
	s_movk_i32 s8, 0x80
	v_cmp_ne_u32_e32 vcc, s8, v30
	v_bfrev_b32_e32 v55, 1
	s_and_saveexec_b64 s[8:9], vcc
	s_cbranch_execz .LBB595_82
; %bb.79:
	v_bfe_u32 v32, v32, 24, 7
	s_movk_i32 s10, 0x7f
	v_cmp_ne_u32_e32 vcc, s10, v32
	v_mov_b32_e32 v55, 0x7f800001
	s_and_saveexec_b64 s[10:11], vcc
	s_cbranch_execz .LBB595_81
; %bb.80:
	v_and_b32_e32 v51, 7, v30
	v_ffbh_u32_e32 v56, v51
	v_min_u32_e32 v58, 32, v56
	v_subrev_u32_e32 v56, 28, v58
	v_lshlrev_b64 v[56:57], v56, v[30:31]
	v_lshrrev_b32_e32 v55, 3, v32
	v_sub_u32_e32 v57, 29, v58
	v_and_b32_e32 v56, 7, v56
	v_cmp_gt_u32_e32 vcc, 8, v32
	v_cndmask_b32_e32 v32, v55, v57, vcc
	v_cndmask_b32_e32 v51, v51, v56, vcc
	v_lshlrev_b32_e32 v30, 24, v30
	v_bfrev_b32_e32 v55, 60
	v_lshlrev_b32_e32 v51, 20, v51
	v_and_b32_e32 v30, 0x80000000, v30
	v_lshl_add_u32 v32, v32, 23, v55
	v_or3_b32 v55, v30, v32, v51
.LBB595_81:
	s_or_b64 exec, exec, s[10:11]
.LBB595_82:
	s_or_b64 exec, exec, s[8:9]
.LBB595_83:
	s_or_b64 exec, exec, s[2:3]
	v_cmp_ne_u16_sdwa s[8:9], v33, v54 src0_sel:BYTE_0 src1_sel:DWORD
	s_and_saveexec_b64 s[2:3], s[8:9]
	s_cbranch_execz .LBB595_89
; %bb.84:
	s_movk_i32 s8, 0x80
	v_cmp_ne_u16_sdwa s[10:11], v33, s8 src0_sel:BYTE_0 src1_sel:DWORD
	v_bfrev_b32_e32 v54, 1
	s_and_saveexec_b64 s[8:9], s[10:11]
	s_cbranch_execz .LBB595_88
; %bb.85:
	s_movk_i32 s10, 0x7f
	v_and_b32_e32 v30, 0x7f, v33
	v_cmp_ne_u32_e32 vcc, s10, v30
	v_mov_b32_e32 v54, 0x7f800001
	s_and_saveexec_b64 s[10:11], vcc
	s_cbranch_execz .LBB595_87
; %bb.86:
	v_and_b32_e32 v51, 7, v33
	v_ffbh_u32_e32 v56, v51
	v_min_u32_e32 v58, 32, v56
	v_mov_b32_e32 v32, v33
	v_subrev_u32_e32 v56, 28, v58
	v_lshlrev_b64 v[56:57], v56, v[32:33]
	v_lshrrev_b32_e32 v54, 3, v30
	v_sub_u32_e32 v32, 29, v58
	v_and_b32_e32 v56, 7, v56
	v_cmp_gt_u32_e32 vcc, 8, v30
	v_cndmask_b32_e32 v30, v54, v32, vcc
	v_cndmask_b32_e32 v32, v51, v56, vcc
	v_lshlrev_b32_e32 v51, 24, v33
	v_bfrev_b32_e32 v54, 60
	v_lshlrev_b32_e32 v32, 20, v32
	v_and_b32_e32 v51, 0x80000000, v51
	v_lshl_add_u32 v30, v30, 23, v54
	v_or3_b32 v54, v51, v30, v32
.LBB595_87:
	s_or_b64 exec, exec, s[10:11]
.LBB595_88:
	s_or_b64 exec, exec, s[8:9]
.LBB595_89:
	s_or_b64 exec, exec, s[2:3]
	v_lshrrev_b16_e32 v30, 8, v33
	v_cmp_ne_u16_e32 vcc, 0, v30
	v_mov_b32_e32 v32, 0
	v_mov_b32_e32 v56, 0
	s_and_saveexec_b64 s[2:3], vcc
	s_cbranch_execz .LBB595_95
; %bb.90:
	s_movk_i32 s8, 0x80
	v_cmp_ne_u16_e32 vcc, s8, v30
	v_bfrev_b32_e32 v56, 1
	s_and_saveexec_b64 s[8:9], vcc
	s_cbranch_execz .LBB595_94
; %bb.91:
	s_movk_i32 s10, 0x7f
	v_and_b32_e32 v51, 0x7f, v30
	v_cmp_ne_u32_e32 vcc, s10, v51
	v_mov_b32_e32 v56, 0x7f800001
	s_and_saveexec_b64 s[10:11], vcc
	s_cbranch_execz .LBB595_93
; %bb.92:
	v_and_b32_e32 v58, 7, v30
	v_ffbh_u32_e32 v56, v58
	v_min_u32_e32 v60, 32, v56
	v_subrev_u32_e32 v56, 28, v60
	v_lshlrev_b64 v[56:57], v56, v[30:31]
	v_lshrrev_b32_e32 v59, 3, v51
	v_sub_u32_e32 v30, 29, v60
	v_and_b32_e32 v56, 7, v56
	v_cmp_gt_u32_e32 vcc, 8, v51
	v_cndmask_b32_e32 v30, v59, v30, vcc
	v_cndmask_b32_e32 v51, v58, v56, vcc
	v_lshlrev_b32_e32 v56, 16, v33
	v_bfrev_b32_e32 v57, 60
	v_lshlrev_b32_e32 v51, 20, v51
	v_and_b32_e32 v56, 0x80000000, v56
	v_lshl_add_u32 v30, v30, 23, v57
	v_or3_b32 v56, v56, v30, v51
.LBB595_93:
	s_or_b64 exec, exec, s[10:11]
.LBB595_94:
	s_or_b64 exec, exec, s[8:9]
.LBB595_95:
	s_or_b64 exec, exec, s[2:3]
	s_movk_i32 s2, 0xff
	v_and_b32_sdwa v51, v33, s2 dst_sel:DWORD dst_unused:UNUSED_PAD src0_sel:WORD_1 src1_sel:DWORD
	v_lshrrev_b32_e32 v30, 16, v33
	v_cmp_ne_u16_e32 vcc, 0, v51
	s_and_saveexec_b64 s[2:3], vcc
	s_cbranch_execz .LBB595_101
; %bb.96:
	s_movk_i32 s8, 0x80
	v_cmp_ne_u16_e32 vcc, s8, v51
	v_bfrev_b32_e32 v32, 1
	s_and_saveexec_b64 s[8:9], vcc
	s_cbranch_execz .LBB595_100
; %bb.97:
	v_bfe_u32 v51, v33, 16, 7
	s_movk_i32 s10, 0x7f
	v_cmp_ne_u32_e32 vcc, s10, v51
	v_mov_b32_e32 v32, 0x7f800001
	s_and_saveexec_b64 s[10:11], vcc
	s_cbranch_execz .LBB595_99
; %bb.98:
	v_and_b32_e32 v32, 7, v30
	v_ffbh_u32_e32 v58, v32
	v_min_u32_e32 v60, 32, v58
	v_subrev_u32_e32 v58, 28, v60
	v_lshlrev_b64 v[58:59], v58, v[30:31]
	v_lshrrev_b32_e32 v57, 3, v51
	v_sub_u32_e32 v30, 29, v60
	v_and_b32_e32 v58, 7, v58
	v_cmp_gt_u32_e32 vcc, 8, v51
	v_mov_b32_e32 v51, 24
	v_cndmask_b32_e32 v30, v57, v30, vcc
	v_cndmask_b32_e32 v32, v32, v58, vcc
	v_lshlrev_b32_sdwa v51, v51, v33 dst_sel:DWORD dst_unused:UNUSED_PAD src0_sel:DWORD src1_sel:WORD_1
	v_bfrev_b32_e32 v57, 60
	v_lshlrev_b32_e32 v32, 20, v32
	v_and_b32_e32 v51, 0x80000000, v51
	v_lshl_add_u32 v30, v30, 23, v57
	v_or3_b32 v32, v51, v30, v32
.LBB595_99:
	s_or_b64 exec, exec, s[10:11]
.LBB595_100:
	s_or_b64 exec, exec, s[8:9]
.LBB595_101:
	s_or_b64 exec, exec, s[2:3]
	s_mov_b32 s2, 0xffffff
	v_cmp_lt_u32_e32 vcc, s2, v33
	v_mov_b32_e32 v51, 0
	v_mov_b32_e32 v57, 0
	s_and_saveexec_b64 s[2:3], vcc
	s_cbranch_execz .LBB595_107
; %bb.102:
	v_lshrrev_b32_e32 v30, 24, v33
	s_movk_i32 s8, 0x80
	v_cmp_ne_u32_e32 vcc, s8, v30
	v_bfrev_b32_e32 v57, 1
	s_and_saveexec_b64 s[8:9], vcc
	s_cbranch_execz .LBB595_106
; %bb.103:
	v_bfe_u32 v33, v33, 24, 7
	s_movk_i32 s10, 0x7f
	v_cmp_ne_u32_e32 vcc, s10, v33
	v_mov_b32_e32 v57, 0x7f800001
	s_and_saveexec_b64 s[10:11], vcc
	s_cbranch_execz .LBB595_105
; %bb.104:
	v_and_b32_e32 v57, 7, v30
	v_ffbh_u32_e32 v58, v57
	v_min_u32_e32 v61, 32, v58
	v_subrev_u32_e32 v58, 28, v61
	v_lshlrev_b64 v[58:59], v58, v[30:31]
	v_lshrrev_b32_e32 v60, 3, v33
	v_sub_u32_e32 v59, 29, v61
	v_and_b32_e32 v58, 7, v58
	v_cmp_gt_u32_e32 vcc, 8, v33
	v_cndmask_b32_e32 v33, v60, v59, vcc
	v_cndmask_b32_e32 v57, v57, v58, vcc
	v_lshlrev_b32_e32 v30, 24, v30
	v_bfrev_b32_e32 v58, 60
	v_lshlrev_b32_e32 v57, 20, v57
	v_and_b32_e32 v30, 0x80000000, v30
	v_lshl_add_u32 v33, v33, 23, v58
	v_or3_b32 v57, v30, v33, v57
.LBB595_105:
	s_or_b64 exec, exec, s[10:11]
.LBB595_106:
	s_or_b64 exec, exec, s[8:9]
.LBB595_107:
	s_or_b64 exec, exec, s[2:3]
	v_cvt_pkrtz_f16_f32 v30, v52, v53
	v_cvt_pkrtz_f16_f32 v31, v31, v55
	s_waitcnt vmcnt(6)
	v_cmp_ne_u16_sdwa s[8:9], v38, v51 src0_sel:BYTE_0 src1_sel:DWORD
	v_mfma_f32_16x16x16f16 v[42:45], v[30:31], v[18:19], v[42:45]
	v_cvt_pkrtz_f16_f32 v30, v54, v56
	v_cvt_pkrtz_f16_f32 v31, v32, v57
	s_nop 1
	v_mfma_f32_16x16x16f16 v[30:33], v[30:31], v[20:21], v[42:45]
	s_and_saveexec_b64 s[2:3], s[8:9]
	s_cbranch_execz .LBB595_113
; %bb.108:
	s_movk_i32 s8, 0x80
	v_cmp_ne_u16_sdwa s[10:11], v38, s8 src0_sel:BYTE_0 src1_sel:DWORD
	v_bfrev_b32_e32 v51, 1
	s_and_saveexec_b64 s[8:9], s[10:11]
	s_cbranch_execz .LBB595_112
; %bb.109:
	s_movk_i32 s10, 0x7f
	v_and_b32_e32 v42, 0x7f, v38
	v_cmp_ne_u32_e32 vcc, s10, v42
	v_mov_b32_e32 v51, 0x7f800001
	s_and_saveexec_b64 s[10:11], vcc
	s_cbranch_execz .LBB595_111
; %bb.110:
	v_and_b32_e32 v43, 7, v38
	v_ffbh_u32_e32 v44, v43
	v_min_u32_e32 v52, 32, v44
	v_subrev_u32_e32 v44, 28, v52
	v_lshlrev_b64 v[44:45], v44, v[38:39]
	v_lshrrev_b32_e32 v51, 3, v42
	v_sub_u32_e32 v45, 29, v52
	v_and_b32_e32 v44, 7, v44
	v_cmp_gt_u32_e32 vcc, 8, v42
	v_cndmask_b32_e32 v42, v51, v45, vcc
	v_cndmask_b32_e32 v43, v43, v44, vcc
	v_lshlrev_b32_e32 v44, 24, v38
	v_bfrev_b32_e32 v45, 60
	v_lshlrev_b32_e32 v43, 20, v43
	v_and_b32_e32 v44, 0x80000000, v44
	v_lshl_add_u32 v42, v42, 23, v45
	v_or3_b32 v51, v44, v42, v43
.LBB595_111:
	s_or_b64 exec, exec, s[10:11]
.LBB595_112:
	s_or_b64 exec, exec, s[8:9]
.LBB595_113:
	s_or_b64 exec, exec, s[2:3]
	s_nop 3
	v_lshrrev_b16_e32 v42, 8, v38
	v_cmp_ne_u16_e32 vcc, 0, v42
	v_mov_b32_e32 v43, 0
	v_mov_b32_e32 v44, 0
	s_and_saveexec_b64 s[2:3], vcc
	s_cbranch_execz .LBB595_119
; %bb.114:
	s_movk_i32 s8, 0x80
	v_cmp_ne_u16_e32 vcc, s8, v42
	v_bfrev_b32_e32 v44, 1
	s_and_saveexec_b64 s[8:9], vcc
	s_cbranch_execz .LBB595_118
; %bb.115:
	s_movk_i32 s10, 0x7f
	v_and_b32_e32 v45, 0x7f, v42
	v_cmp_ne_u32_e32 vcc, s10, v45
	v_mov_b32_e32 v44, 0x7f800001
	s_and_saveexec_b64 s[10:11], vcc
	s_cbranch_execz .LBB595_117
; %bb.116:
	v_and_b32_e32 v44, 7, v42
	v_ffbh_u32_e32 v52, v44
	v_min_u32_e32 v55, 32, v52
	v_subrev_u32_e32 v52, 28, v55
	v_lshlrev_b64 v[52:53], v52, v[42:43]
	v_lshrrev_b32_e32 v54, 3, v45
	v_sub_u32_e32 v42, 29, v55
	v_and_b32_e32 v52, 7, v52
	v_cmp_gt_u32_e32 vcc, 8, v45
	v_cndmask_b32_e32 v42, v54, v42, vcc
	v_cndmask_b32_e32 v44, v44, v52, vcc
	v_lshlrev_b32_e32 v45, 16, v38
	v_bfrev_b32_e32 v52, 60
	v_lshlrev_b32_e32 v44, 20, v44
	v_and_b32_e32 v45, 0x80000000, v45
	v_lshl_add_u32 v42, v42, 23, v52
	v_or3_b32 v44, v45, v42, v44
.LBB595_117:
	s_or_b64 exec, exec, s[10:11]
.LBB595_118:
	s_or_b64 exec, exec, s[8:9]
.LBB595_119:
	s_or_b64 exec, exec, s[2:3]
	s_movk_i32 s2, 0xff
	v_and_b32_sdwa v45, v38, s2 dst_sel:DWORD dst_unused:UNUSED_PAD src0_sel:WORD_1 src1_sel:DWORD
	v_lshrrev_b32_e32 v42, 16, v38
	v_cmp_ne_u16_e32 vcc, 0, v45
	s_and_saveexec_b64 s[2:3], vcc
	s_cbranch_execz .LBB595_125
; %bb.120:
	s_movk_i32 s8, 0x80
	v_cmp_ne_u16_e32 vcc, s8, v45
	v_bfrev_b32_e32 v43, 1
	s_and_saveexec_b64 s[8:9], vcc
	s_cbranch_execz .LBB595_124
; %bb.121:
	v_bfe_u32 v45, v38, 16, 7
	s_movk_i32 s10, 0x7f
	v_cmp_ne_u32_e32 vcc, s10, v45
	v_mov_b32_e32 v43, 0x7f800001
	s_and_saveexec_b64 s[10:11], vcc
	s_cbranch_execz .LBB595_123
; %bb.122:
	v_and_b32_e32 v52, 7, v42
	v_ffbh_u32_e32 v43, v52
	v_min_u32_e32 v54, 32, v43
	v_subrev_u32_e32 v43, 28, v54
	v_lshlrev_b64 v[42:43], v43, v[42:43]
	v_lshrrev_b32_e32 v53, 3, v45
	v_sub_u32_e32 v43, 29, v54
	v_and_b32_e32 v42, 7, v42
	v_cmp_gt_u32_e32 vcc, 8, v45
	v_mov_b32_e32 v45, 24
	v_cndmask_b32_e32 v43, v53, v43, vcc
	v_cndmask_b32_e32 v42, v52, v42, vcc
	v_lshlrev_b32_sdwa v45, v45, v38 dst_sel:DWORD dst_unused:UNUSED_PAD src0_sel:DWORD src1_sel:WORD_1
	v_bfrev_b32_e32 v52, 60
	v_lshlrev_b32_e32 v42, 20, v42
	v_and_b32_e32 v45, 0x80000000, v45
	v_lshl_add_u32 v43, v43, 23, v52
	v_or3_b32 v43, v45, v43, v42
.LBB595_123:
	s_or_b64 exec, exec, s[10:11]
.LBB595_124:
	s_or_b64 exec, exec, s[8:9]
.LBB595_125:
	s_or_b64 exec, exec, s[2:3]
	s_mov_b32 s2, 0xffffff
	v_cmp_lt_u32_e32 vcc, s2, v38
	v_mov_b32_e32 v45, 0
	v_mov_b32_e32 v53, 0
	s_and_saveexec_b64 s[2:3], vcc
	s_cbranch_execz .LBB595_131
; %bb.126:
	v_lshrrev_b32_e32 v42, 24, v38
	s_movk_i32 s8, 0x80
	v_cmp_ne_u32_e32 vcc, s8, v42
	v_bfrev_b32_e32 v53, 1
	s_and_saveexec_b64 s[8:9], vcc
	s_cbranch_execz .LBB595_130
; %bb.127:
	v_bfe_u32 v38, v38, 24, 7
	s_movk_i32 s10, 0x7f
	v_cmp_ne_u32_e32 vcc, s10, v38
	v_mov_b32_e32 v53, 0x7f800001
	s_and_saveexec_b64 s[10:11], vcc
	s_cbranch_execz .LBB595_129
; %bb.128:
	v_and_b32_e32 v54, 7, v42
	v_ffbh_u32_e32 v52, v54
	v_min_u32_e32 v56, 32, v52
	v_subrev_u32_e32 v52, 28, v56
	v_lshlrev_b64 v[52:53], v52, v[42:43]
	v_lshrrev_b32_e32 v55, 3, v38
	v_sub_u32_e32 v53, 29, v56
	v_and_b32_e32 v52, 7, v52
	v_cmp_gt_u32_e32 vcc, 8, v38
	v_cndmask_b32_e32 v38, v55, v53, vcc
	v_cndmask_b32_e32 v52, v54, v52, vcc
	v_lshlrev_b32_e32 v42, 24, v42
	v_bfrev_b32_e32 v53, 60
	v_lshlrev_b32_e32 v52, 20, v52
	v_and_b32_e32 v42, 0x80000000, v42
	v_lshl_add_u32 v38, v38, 23, v53
	v_or3_b32 v53, v42, v38, v52
.LBB595_129:
	s_or_b64 exec, exec, s[10:11]
.LBB595_130:
	s_or_b64 exec, exec, s[8:9]
.LBB595_131:
	s_or_b64 exec, exec, s[2:3]
	v_cmp_ne_u16_sdwa s[8:9], v39, v45 src0_sel:BYTE_0 src1_sel:DWORD
	s_and_saveexec_b64 s[2:3], s[8:9]
	s_cbranch_execz .LBB595_137
; %bb.132:
	s_movk_i32 s8, 0x80
	v_cmp_ne_u16_sdwa s[10:11], v39, s8 src0_sel:BYTE_0 src1_sel:DWORD
	v_bfrev_b32_e32 v45, 1
	s_and_saveexec_b64 s[8:9], s[10:11]
	s_cbranch_execz .LBB595_136
; %bb.133:
	s_movk_i32 s10, 0x7f
	v_and_b32_e32 v38, 0x7f, v39
	v_cmp_ne_u32_e32 vcc, s10, v38
	v_mov_b32_e32 v45, 0x7f800001
	s_and_saveexec_b64 s[10:11], vcc
	s_cbranch_execz .LBB595_135
; %bb.134:
	v_and_b32_e32 v45, 7, v39
	v_ffbh_u32_e32 v54, v45
	v_min_u32_e32 v56, 32, v54
	v_mov_b32_e32 v42, v39
	v_subrev_u32_e32 v54, 28, v56
	v_lshlrev_b64 v[54:55], v54, v[42:43]
	v_lshrrev_b32_e32 v52, 3, v38
	v_sub_u32_e32 v42, 29, v56
	v_and_b32_e32 v54, 7, v54
	v_cmp_gt_u32_e32 vcc, 8, v38
	v_cndmask_b32_e32 v38, v52, v42, vcc
	v_cndmask_b32_e32 v42, v45, v54, vcc
	v_lshlrev_b32_e32 v45, 24, v39
	v_bfrev_b32_e32 v52, 60
	v_lshlrev_b32_e32 v42, 20, v42
	v_and_b32_e32 v45, 0x80000000, v45
	v_lshl_add_u32 v38, v38, 23, v52
	v_or3_b32 v45, v45, v38, v42
.LBB595_135:
	s_or_b64 exec, exec, s[10:11]
.LBB595_136:
	s_or_b64 exec, exec, s[8:9]
.LBB595_137:
	s_or_b64 exec, exec, s[2:3]
	v_lshrrev_b16_e32 v38, 8, v39
	v_cmp_ne_u16_e32 vcc, 0, v38
	v_mov_b32_e32 v42, 0
	v_mov_b32_e32 v54, 0
	s_and_saveexec_b64 s[2:3], vcc
	s_cbranch_execz .LBB595_143
; %bb.138:
	s_movk_i32 s8, 0x80
	v_cmp_ne_u16_e32 vcc, s8, v38
	v_bfrev_b32_e32 v54, 1
	s_and_saveexec_b64 s[8:9], vcc
	s_cbranch_execz .LBB595_142
; %bb.139:
	s_movk_i32 s10, 0x7f
	v_and_b32_e32 v52, 0x7f, v38
	v_cmp_ne_u32_e32 vcc, s10, v52
	v_mov_b32_e32 v54, 0x7f800001
	s_and_saveexec_b64 s[10:11], vcc
	s_cbranch_execz .LBB595_141
; %bb.140:
	v_and_b32_e32 v56, 7, v38
	v_ffbh_u32_e32 v54, v56
	v_min_u32_e32 v58, 32, v54
	v_subrev_u32_e32 v54, 28, v58
	v_lshlrev_b64 v[54:55], v54, v[38:39]
	v_lshrrev_b32_e32 v57, 3, v52
	v_sub_u32_e32 v38, 29, v58
	v_and_b32_e32 v54, 7, v54
	v_cmp_gt_u32_e32 vcc, 8, v52
	v_cndmask_b32_e32 v38, v57, v38, vcc
	v_cndmask_b32_e32 v52, v56, v54, vcc
	v_lshlrev_b32_e32 v54, 16, v39
	v_bfrev_b32_e32 v55, 60
	v_lshlrev_b32_e32 v52, 20, v52
	v_and_b32_e32 v54, 0x80000000, v54
	v_lshl_add_u32 v38, v38, 23, v55
	v_or3_b32 v54, v54, v38, v52
.LBB595_141:
	s_or_b64 exec, exec, s[10:11]
.LBB595_142:
	s_or_b64 exec, exec, s[8:9]
.LBB595_143:
	s_or_b64 exec, exec, s[2:3]
	s_movk_i32 s2, 0xff
	v_and_b32_sdwa v52, v39, s2 dst_sel:DWORD dst_unused:UNUSED_PAD src0_sel:WORD_1 src1_sel:DWORD
	v_lshrrev_b32_e32 v38, 16, v39
	v_cmp_ne_u16_e32 vcc, 0, v52
	s_and_saveexec_b64 s[2:3], vcc
	s_cbranch_execz .LBB595_149
; %bb.144:
	s_movk_i32 s8, 0x80
	v_cmp_ne_u16_e32 vcc, s8, v52
	v_bfrev_b32_e32 v42, 1
	s_and_saveexec_b64 s[8:9], vcc
	s_cbranch_execz .LBB595_148
; %bb.145:
	v_bfe_u32 v52, v39, 16, 7
	s_movk_i32 s10, 0x7f
	v_cmp_ne_u32_e32 vcc, s10, v52
	v_mov_b32_e32 v42, 0x7f800001
	s_and_saveexec_b64 s[10:11], vcc
	s_cbranch_execz .LBB595_147
; %bb.146:
	v_and_b32_e32 v42, 7, v38
	v_ffbh_u32_e32 v56, v42
	v_min_u32_e32 v58, 32, v56
	v_subrev_u32_e32 v56, 28, v58
	v_lshlrev_b64 v[56:57], v56, v[38:39]
	v_lshrrev_b32_e32 v55, 3, v52
	v_sub_u32_e32 v38, 29, v58
	v_and_b32_e32 v56, 7, v56
	v_cmp_gt_u32_e32 vcc, 8, v52
	v_mov_b32_e32 v52, 24
	v_cndmask_b32_e32 v38, v55, v38, vcc
	v_cndmask_b32_e32 v42, v42, v56, vcc
	v_lshlrev_b32_sdwa v52, v52, v39 dst_sel:DWORD dst_unused:UNUSED_PAD src0_sel:DWORD src1_sel:WORD_1
	v_bfrev_b32_e32 v55, 60
	v_lshlrev_b32_e32 v42, 20, v42
	v_and_b32_e32 v52, 0x80000000, v52
	v_lshl_add_u32 v38, v38, 23, v55
	v_or3_b32 v42, v52, v38, v42
.LBB595_147:
	s_or_b64 exec, exec, s[10:11]
.LBB595_148:
	s_or_b64 exec, exec, s[8:9]
.LBB595_149:
	s_or_b64 exec, exec, s[2:3]
	s_mov_b32 s2, 0xffffff
	v_cmp_lt_u32_e32 vcc, s2, v39
	v_mov_b32_e32 v52, 0
	v_mov_b32_e32 v55, 0
	s_and_saveexec_b64 s[2:3], vcc
	s_cbranch_execz .LBB595_155
; %bb.150:
	v_lshrrev_b32_e32 v38, 24, v39
	s_movk_i32 s8, 0x80
	v_cmp_ne_u32_e32 vcc, s8, v38
	v_bfrev_b32_e32 v55, 1
	s_and_saveexec_b64 s[8:9], vcc
	s_cbranch_execz .LBB595_154
; %bb.151:
	v_bfe_u32 v39, v39, 24, 7
	s_movk_i32 s10, 0x7f
	v_cmp_ne_u32_e32 vcc, s10, v39
	v_mov_b32_e32 v55, 0x7f800001
	s_and_saveexec_b64 s[10:11], vcc
	s_cbranch_execz .LBB595_153
; %bb.152:
	v_and_b32_e32 v55, 7, v38
	v_ffbh_u32_e32 v56, v55
	v_min_u32_e32 v59, 32, v56
	v_subrev_u32_e32 v56, 28, v59
	v_lshlrev_b64 v[56:57], v56, v[38:39]
	v_lshrrev_b32_e32 v58, 3, v39
	v_sub_u32_e32 v57, 29, v59
	v_and_b32_e32 v56, 7, v56
	v_cmp_gt_u32_e32 vcc, 8, v39
	v_cndmask_b32_e32 v39, v58, v57, vcc
	v_cndmask_b32_e32 v55, v55, v56, vcc
	v_lshlrev_b32_e32 v38, 24, v38
	v_bfrev_b32_e32 v56, 60
	v_lshlrev_b32_e32 v55, 20, v55
	v_and_b32_e32 v38, 0x80000000, v38
	v_lshl_add_u32 v39, v39, 23, v56
	v_or3_b32 v55, v38, v39, v55
.LBB595_153:
	s_or_b64 exec, exec, s[10:11]
.LBB595_154:
	s_or_b64 exec, exec, s[8:9]
.LBB595_155:
	s_or_b64 exec, exec, s[2:3]
	v_cvt_pkrtz_f16_f32 v38, v51, v44
	v_cvt_pkrtz_f16_f32 v39, v43, v53
	v_cmp_ne_u16_sdwa s[8:9], v40, v52 src0_sel:BYTE_0 src1_sel:DWORD
	s_nop 0
	v_mfma_f32_16x16x16f16 v[56:59], v[38:39], v[26:27], 0
	v_cvt_pkrtz_f16_f32 v38, v45, v54
	v_cvt_pkrtz_f16_f32 v39, v42, v55
	s_nop 1
	v_mfma_f32_16x16x16f16 v[42:45], v[38:39], v[28:29], v[56:59]
	s_and_saveexec_b64 s[2:3], s[8:9]
	s_cbranch_execz .LBB595_161
; %bb.156:
	s_movk_i32 s8, 0x80
	v_cmp_ne_u16_sdwa s[10:11], v40, s8 src0_sel:BYTE_0 src1_sel:DWORD
	v_bfrev_b32_e32 v52, 1
	s_and_saveexec_b64 s[8:9], s[10:11]
	s_cbranch_execz .LBB595_160
; %bb.157:
	s_movk_i32 s10, 0x7f
	v_and_b32_e32 v38, 0x7f, v40
	v_cmp_ne_u32_e32 vcc, s10, v38
	v_mov_b32_e32 v52, 0x7f800001
	s_and_saveexec_b64 s[10:11], vcc
	s_cbranch_execz .LBB595_159
; %bb.158:
	v_and_b32_e32 v39, 7, v40
	v_ffbh_u32_e32 v52, v39
	v_min_u32_e32 v54, 32, v52
	v_subrev_u32_e32 v52, 28, v54
	v_lshlrev_b64 v[52:53], v52, v[40:41]
	v_lshrrev_b32_e32 v51, 3, v38
	v_sub_u32_e32 v53, 29, v54
	v_and_b32_e32 v52, 7, v52
	v_cmp_gt_u32_e32 vcc, 8, v38
	v_cndmask_b32_e32 v38, v51, v53, vcc
	v_cndmask_b32_e32 v39, v39, v52, vcc
	v_lshlrev_b32_e32 v51, 24, v40
	v_bfrev_b32_e32 v52, 60
	v_lshlrev_b32_e32 v39, 20, v39
	v_and_b32_e32 v51, 0x80000000, v51
	v_lshl_add_u32 v38, v38, 23, v52
	v_or3_b32 v52, v51, v38, v39
.LBB595_159:
	s_or_b64 exec, exec, s[10:11]
.LBB595_160:
	s_or_b64 exec, exec, s[8:9]
.LBB595_161:
	s_or_b64 exec, exec, s[2:3]
	v_lshrrev_b16_e32 v38, 8, v40
	v_cmp_ne_u16_e32 vcc, 0, v38
	v_mov_b32_e32 v39, 0
	v_mov_b32_e32 v53, 0
	s_and_saveexec_b64 s[2:3], vcc
	s_cbranch_execz .LBB595_167
; %bb.162:
	s_movk_i32 s8, 0x80
	v_cmp_ne_u16_e32 vcc, s8, v38
	v_bfrev_b32_e32 v53, 1
	s_and_saveexec_b64 s[8:9], vcc
	s_cbranch_execz .LBB595_166
; %bb.163:
	s_movk_i32 s10, 0x7f
	v_and_b32_e32 v51, 0x7f, v38
	v_cmp_ne_u32_e32 vcc, s10, v51
	v_mov_b32_e32 v53, 0x7f800001
	s_and_saveexec_b64 s[10:11], vcc
	s_cbranch_execz .LBB595_165
; %bb.164:
	v_and_b32_e32 v53, 7, v38
	v_ffbh_u32_e32 v54, v53
	v_min_u32_e32 v57, 32, v54
	v_subrev_u32_e32 v54, 28, v57
	v_lshlrev_b64 v[54:55], v54, v[38:39]
	v_lshrrev_b32_e32 v56, 3, v51
	v_sub_u32_e32 v38, 29, v57
	v_and_b32_e32 v54, 7, v54
	v_cmp_gt_u32_e32 vcc, 8, v51
	v_cndmask_b32_e32 v38, v56, v38, vcc
	v_cndmask_b32_e32 v51, v53, v54, vcc
	v_lshlrev_b32_e32 v53, 16, v40
	v_bfrev_b32_e32 v54, 60
	v_lshlrev_b32_e32 v51, 20, v51
	v_and_b32_e32 v53, 0x80000000, v53
	v_lshl_add_u32 v38, v38, 23, v54
	v_or3_b32 v53, v53, v38, v51
.LBB595_165:
	s_or_b64 exec, exec, s[10:11]
.LBB595_166:
	s_or_b64 exec, exec, s[8:9]
.LBB595_167:
	s_or_b64 exec, exec, s[2:3]
	s_movk_i32 s2, 0xff
	v_and_b32_sdwa v51, v40, s2 dst_sel:DWORD dst_unused:UNUSED_PAD src0_sel:WORD_1 src1_sel:DWORD
	v_lshrrev_b32_e32 v38, 16, v40
	v_cmp_ne_u16_e32 vcc, 0, v51
	s_and_saveexec_b64 s[2:3], vcc
	s_cbranch_execz .LBB595_173
; %bb.168:
	s_movk_i32 s8, 0x80
	v_cmp_ne_u16_e32 vcc, s8, v51
	v_bfrev_b32_e32 v39, 1
	s_and_saveexec_b64 s[8:9], vcc
	s_cbranch_execz .LBB595_172
; %bb.169:
	v_bfe_u32 v51, v40, 16, 7
	s_movk_i32 s10, 0x7f
	v_cmp_ne_u32_e32 vcc, s10, v51
	v_mov_b32_e32 v39, 0x7f800001
	s_and_saveexec_b64 s[10:11], vcc
	s_cbranch_execz .LBB595_171
; %bb.170:
	v_and_b32_e32 v54, 7, v38
	v_ffbh_u32_e32 v39, v54
	v_min_u32_e32 v56, 32, v39
	v_subrev_u32_e32 v39, 28, v56
	v_lshlrev_b64 v[38:39], v39, v[38:39]
	v_lshrrev_b32_e32 v55, 3, v51
	v_sub_u32_e32 v39, 29, v56
	v_and_b32_e32 v38, 7, v38
	v_cmp_gt_u32_e32 vcc, 8, v51
	v_mov_b32_e32 v51, 24
	v_cndmask_b32_e32 v39, v55, v39, vcc
	v_cndmask_b32_e32 v38, v54, v38, vcc
	v_lshlrev_b32_sdwa v51, v51, v40 dst_sel:DWORD dst_unused:UNUSED_PAD src0_sel:DWORD src1_sel:WORD_1
	v_bfrev_b32_e32 v54, 60
	v_lshlrev_b32_e32 v38, 20, v38
	v_and_b32_e32 v51, 0x80000000, v51
	v_lshl_add_u32 v39, v39, 23, v54
	v_or3_b32 v39, v51, v39, v38
.LBB595_171:
	s_or_b64 exec, exec, s[10:11]
.LBB595_172:
	s_or_b64 exec, exec, s[8:9]
.LBB595_173:
	s_or_b64 exec, exec, s[2:3]
	s_mov_b32 s2, 0xffffff
	v_cmp_lt_u32_e32 vcc, s2, v40
	v_mov_b32_e32 v54, 0
	v_mov_b32_e32 v55, 0
	s_and_saveexec_b64 s[2:3], vcc
	s_cbranch_execz .LBB595_179
; %bb.174:
	v_lshrrev_b32_e32 v38, 24, v40
	s_movk_i32 s8, 0x80
	v_cmp_ne_u32_e32 vcc, s8, v38
	v_bfrev_b32_e32 v55, 1
	s_and_saveexec_b64 s[8:9], vcc
	s_cbranch_execz .LBB595_178
; %bb.175:
	v_bfe_u32 v40, v40, 24, 7
	s_movk_i32 s10, 0x7f
	v_cmp_ne_u32_e32 vcc, s10, v40
	v_mov_b32_e32 v55, 0x7f800001
	s_and_saveexec_b64 s[10:11], vcc
	s_cbranch_execz .LBB595_177
; %bb.176:
	v_and_b32_e32 v51, 7, v38
	v_ffbh_u32_e32 v56, v51
	v_min_u32_e32 v58, 32, v56
	v_subrev_u32_e32 v56, 28, v58
	v_lshlrev_b64 v[56:57], v56, v[38:39]
	v_lshrrev_b32_e32 v55, 3, v40
	v_sub_u32_e32 v57, 29, v58
	v_and_b32_e32 v56, 7, v56
	v_cmp_gt_u32_e32 vcc, 8, v40
	v_cndmask_b32_e32 v40, v55, v57, vcc
	v_cndmask_b32_e32 v51, v51, v56, vcc
	v_lshlrev_b32_e32 v38, 24, v38
	v_bfrev_b32_e32 v55, 60
	v_lshlrev_b32_e32 v51, 20, v51
	v_and_b32_e32 v38, 0x80000000, v38
	v_lshl_add_u32 v40, v40, 23, v55
	v_or3_b32 v55, v38, v40, v51
.LBB595_177:
	s_or_b64 exec, exec, s[10:11]
.LBB595_178:
	s_or_b64 exec, exec, s[8:9]
.LBB595_179:
	s_or_b64 exec, exec, s[2:3]
	v_cmp_ne_u16_sdwa s[8:9], v41, v54 src0_sel:BYTE_0 src1_sel:DWORD
	s_and_saveexec_b64 s[2:3], s[8:9]
	s_cbranch_execz .LBB595_185
; %bb.180:
	s_movk_i32 s8, 0x80
	v_cmp_ne_u16_sdwa s[10:11], v41, s8 src0_sel:BYTE_0 src1_sel:DWORD
	v_bfrev_b32_e32 v54, 1
	s_and_saveexec_b64 s[8:9], s[10:11]
	s_cbranch_execz .LBB595_184
; %bb.181:
	s_movk_i32 s10, 0x7f
	v_and_b32_e32 v38, 0x7f, v41
	v_cmp_ne_u32_e32 vcc, s10, v38
	v_mov_b32_e32 v54, 0x7f800001
	s_and_saveexec_b64 s[10:11], vcc
	s_cbranch_execz .LBB595_183
; %bb.182:
	v_and_b32_e32 v51, 7, v41
	v_ffbh_u32_e32 v56, v51
	v_min_u32_e32 v58, 32, v56
	v_mov_b32_e32 v40, v41
	v_subrev_u32_e32 v56, 28, v58
	v_lshlrev_b64 v[56:57], v56, v[40:41]
	v_lshrrev_b32_e32 v54, 3, v38
	v_sub_u32_e32 v40, 29, v58
	v_and_b32_e32 v56, 7, v56
	v_cmp_gt_u32_e32 vcc, 8, v38
	v_cndmask_b32_e32 v38, v54, v40, vcc
	v_cndmask_b32_e32 v40, v51, v56, vcc
	v_lshlrev_b32_e32 v51, 24, v41
	v_bfrev_b32_e32 v54, 60
	v_lshlrev_b32_e32 v40, 20, v40
	v_and_b32_e32 v51, 0x80000000, v51
	v_lshl_add_u32 v38, v38, 23, v54
	v_or3_b32 v54, v51, v38, v40
.LBB595_183:
	s_or_b64 exec, exec, s[10:11]
.LBB595_184:
	s_or_b64 exec, exec, s[8:9]
.LBB595_185:
	s_or_b64 exec, exec, s[2:3]
	v_lshrrev_b16_e32 v38, 8, v41
	v_cmp_ne_u16_e32 vcc, 0, v38
	v_mov_b32_e32 v40, 0
	v_mov_b32_e32 v56, 0
	s_and_saveexec_b64 s[2:3], vcc
	s_cbranch_execz .LBB595_191
; %bb.186:
	s_movk_i32 s8, 0x80
	v_cmp_ne_u16_e32 vcc, s8, v38
	v_bfrev_b32_e32 v56, 1
	s_and_saveexec_b64 s[8:9], vcc
	s_cbranch_execz .LBB595_190
; %bb.187:
	s_movk_i32 s10, 0x7f
	v_and_b32_e32 v51, 0x7f, v38
	v_cmp_ne_u32_e32 vcc, s10, v51
	v_mov_b32_e32 v56, 0x7f800001
	s_and_saveexec_b64 s[10:11], vcc
	s_cbranch_execz .LBB595_189
; %bb.188:
	v_and_b32_e32 v58, 7, v38
	v_ffbh_u32_e32 v56, v58
	v_min_u32_e32 v60, 32, v56
	v_subrev_u32_e32 v56, 28, v60
	v_lshlrev_b64 v[56:57], v56, v[38:39]
	v_lshrrev_b32_e32 v59, 3, v51
	v_sub_u32_e32 v38, 29, v60
	v_and_b32_e32 v56, 7, v56
	v_cmp_gt_u32_e32 vcc, 8, v51
	v_cndmask_b32_e32 v38, v59, v38, vcc
	v_cndmask_b32_e32 v51, v58, v56, vcc
	v_lshlrev_b32_e32 v56, 16, v41
	v_bfrev_b32_e32 v57, 60
	v_lshlrev_b32_e32 v51, 20, v51
	v_and_b32_e32 v56, 0x80000000, v56
	v_lshl_add_u32 v38, v38, 23, v57
	v_or3_b32 v56, v56, v38, v51
.LBB595_189:
	s_or_b64 exec, exec, s[10:11]
.LBB595_190:
	s_or_b64 exec, exec, s[8:9]
.LBB595_191:
	s_or_b64 exec, exec, s[2:3]
	s_movk_i32 s2, 0xff
	v_and_b32_sdwa v51, v41, s2 dst_sel:DWORD dst_unused:UNUSED_PAD src0_sel:WORD_1 src1_sel:DWORD
	v_lshrrev_b32_e32 v38, 16, v41
	v_cmp_ne_u16_e32 vcc, 0, v51
	s_and_saveexec_b64 s[2:3], vcc
	s_cbranch_execz .LBB595_197
; %bb.192:
	s_movk_i32 s8, 0x80
	v_cmp_ne_u16_e32 vcc, s8, v51
	v_bfrev_b32_e32 v40, 1
	s_and_saveexec_b64 s[8:9], vcc
	s_cbranch_execz .LBB595_196
; %bb.193:
	v_bfe_u32 v51, v41, 16, 7
	s_movk_i32 s10, 0x7f
	v_cmp_ne_u32_e32 vcc, s10, v51
	v_mov_b32_e32 v40, 0x7f800001
	s_and_saveexec_b64 s[10:11], vcc
	s_cbranch_execz .LBB595_195
; %bb.194:
	v_and_b32_e32 v40, 7, v38
	v_ffbh_u32_e32 v58, v40
	v_min_u32_e32 v60, 32, v58
	v_subrev_u32_e32 v58, 28, v60
	v_lshlrev_b64 v[58:59], v58, v[38:39]
	v_lshrrev_b32_e32 v57, 3, v51
	v_sub_u32_e32 v38, 29, v60
	v_and_b32_e32 v58, 7, v58
	v_cmp_gt_u32_e32 vcc, 8, v51
	v_mov_b32_e32 v51, 24
	v_cndmask_b32_e32 v38, v57, v38, vcc
	v_cndmask_b32_e32 v40, v40, v58, vcc
	v_lshlrev_b32_sdwa v51, v51, v41 dst_sel:DWORD dst_unused:UNUSED_PAD src0_sel:DWORD src1_sel:WORD_1
	v_bfrev_b32_e32 v57, 60
	v_lshlrev_b32_e32 v40, 20, v40
	v_and_b32_e32 v51, 0x80000000, v51
	v_lshl_add_u32 v38, v38, 23, v57
	v_or3_b32 v40, v51, v38, v40
.LBB595_195:
	s_or_b64 exec, exec, s[10:11]
.LBB595_196:
	s_or_b64 exec, exec, s[8:9]
.LBB595_197:
	s_or_b64 exec, exec, s[2:3]
	s_mov_b32 s2, 0xffffff
	v_cmp_lt_u32_e32 vcc, s2, v41
	v_mov_b32_e32 v51, 0
	v_mov_b32_e32 v57, 0
	s_and_saveexec_b64 s[2:3], vcc
	s_cbranch_execz .LBB595_203
; %bb.198:
	v_lshrrev_b32_e32 v38, 24, v41
	s_movk_i32 s8, 0x80
	v_cmp_ne_u32_e32 vcc, s8, v38
	v_bfrev_b32_e32 v57, 1
	s_and_saveexec_b64 s[8:9], vcc
	s_cbranch_execz .LBB595_202
; %bb.199:
	v_bfe_u32 v41, v41, 24, 7
	s_movk_i32 s10, 0x7f
	v_cmp_ne_u32_e32 vcc, s10, v41
	v_mov_b32_e32 v57, 0x7f800001
	s_and_saveexec_b64 s[10:11], vcc
	s_cbranch_execz .LBB595_201
; %bb.200:
	v_and_b32_e32 v57, 7, v38
	v_ffbh_u32_e32 v58, v57
	v_min_u32_e32 v61, 32, v58
	v_subrev_u32_e32 v58, 28, v61
	v_lshlrev_b64 v[58:59], v58, v[38:39]
	v_lshrrev_b32_e32 v60, 3, v41
	v_sub_u32_e32 v59, 29, v61
	v_and_b32_e32 v58, 7, v58
	v_cmp_gt_u32_e32 vcc, 8, v41
	v_cndmask_b32_e32 v41, v60, v59, vcc
	v_cndmask_b32_e32 v57, v57, v58, vcc
	v_lshlrev_b32_e32 v38, 24, v38
	v_bfrev_b32_e32 v58, 60
	v_lshlrev_b32_e32 v57, 20, v57
	v_and_b32_e32 v38, 0x80000000, v38
	v_lshl_add_u32 v41, v41, 23, v58
	v_or3_b32 v57, v38, v41, v57
.LBB595_201:
	s_or_b64 exec, exec, s[10:11]
.LBB595_202:
	s_or_b64 exec, exec, s[8:9]
.LBB595_203:
	s_or_b64 exec, exec, s[2:3]
	v_cvt_pkrtz_f16_f32 v38, v52, v53
	v_cvt_pkrtz_f16_f32 v39, v39, v55
	s_waitcnt vmcnt(5)
	v_cmp_ne_u16_sdwa s[8:9], v34, v51 src0_sel:BYTE_0 src1_sel:DWORD
	v_mfma_f32_16x16x16f16 v[42:45], v[38:39], v[18:19], v[42:45]
	v_cvt_pkrtz_f16_f32 v38, v54, v56
	v_cvt_pkrtz_f16_f32 v39, v40, v57
	s_nop 1
	v_mfma_f32_16x16x16f16 v[38:41], v[38:39], v[20:21], v[42:45]
	s_and_saveexec_b64 s[2:3], s[8:9]
	s_cbranch_execz .LBB595_209
; %bb.204:
	s_movk_i32 s8, 0x80
	v_cmp_ne_u16_sdwa s[10:11], v34, s8 src0_sel:BYTE_0 src1_sel:DWORD
	v_bfrev_b32_e32 v51, 1
	s_and_saveexec_b64 s[8:9], s[10:11]
	s_cbranch_execz .LBB595_208
; %bb.205:
	s_movk_i32 s10, 0x7f
	v_and_b32_e32 v42, 0x7f, v34
	v_cmp_ne_u32_e32 vcc, s10, v42
	v_mov_b32_e32 v51, 0x7f800001
	s_and_saveexec_b64 s[10:11], vcc
	s_cbranch_execz .LBB595_207
; %bb.206:
	v_and_b32_e32 v43, 7, v34
	v_ffbh_u32_e32 v44, v43
	v_min_u32_e32 v52, 32, v44
	v_subrev_u32_e32 v44, 28, v52
	v_lshlrev_b64 v[44:45], v44, v[34:35]
	v_lshrrev_b32_e32 v51, 3, v42
	v_sub_u32_e32 v45, 29, v52
	v_and_b32_e32 v44, 7, v44
	v_cmp_gt_u32_e32 vcc, 8, v42
	v_cndmask_b32_e32 v42, v51, v45, vcc
	v_cndmask_b32_e32 v43, v43, v44, vcc
	v_lshlrev_b32_e32 v44, 24, v34
	v_bfrev_b32_e32 v45, 60
	v_lshlrev_b32_e32 v43, 20, v43
	v_and_b32_e32 v44, 0x80000000, v44
	v_lshl_add_u32 v42, v42, 23, v45
	v_or3_b32 v51, v44, v42, v43
.LBB595_207:
	s_or_b64 exec, exec, s[10:11]
.LBB595_208:
	s_or_b64 exec, exec, s[8:9]
.LBB595_209:
	s_or_b64 exec, exec, s[2:3]
	s_nop 3
	v_lshrrev_b16_e32 v42, 8, v34
	v_cmp_ne_u16_e32 vcc, 0, v42
	v_mov_b32_e32 v43, 0
	v_mov_b32_e32 v44, 0
	s_and_saveexec_b64 s[2:3], vcc
	s_cbranch_execz .LBB595_215
; %bb.210:
	s_movk_i32 s8, 0x80
	v_cmp_ne_u16_e32 vcc, s8, v42
	v_bfrev_b32_e32 v44, 1
	s_and_saveexec_b64 s[8:9], vcc
	s_cbranch_execz .LBB595_214
; %bb.211:
	s_movk_i32 s10, 0x7f
	v_and_b32_e32 v45, 0x7f, v42
	v_cmp_ne_u32_e32 vcc, s10, v45
	v_mov_b32_e32 v44, 0x7f800001
	s_and_saveexec_b64 s[10:11], vcc
	s_cbranch_execz .LBB595_213
; %bb.212:
	v_and_b32_e32 v44, 7, v42
	v_ffbh_u32_e32 v52, v44
	v_min_u32_e32 v55, 32, v52
	v_subrev_u32_e32 v52, 28, v55
	v_lshlrev_b64 v[52:53], v52, v[42:43]
	v_lshrrev_b32_e32 v54, 3, v45
	v_sub_u32_e32 v42, 29, v55
	v_and_b32_e32 v52, 7, v52
	v_cmp_gt_u32_e32 vcc, 8, v45
	v_cndmask_b32_e32 v42, v54, v42, vcc
	v_cndmask_b32_e32 v44, v44, v52, vcc
	v_lshlrev_b32_e32 v45, 16, v34
	v_bfrev_b32_e32 v52, 60
	v_lshlrev_b32_e32 v44, 20, v44
	v_and_b32_e32 v45, 0x80000000, v45
	v_lshl_add_u32 v42, v42, 23, v52
	v_or3_b32 v44, v45, v42, v44
.LBB595_213:
	s_or_b64 exec, exec, s[10:11]
.LBB595_214:
	s_or_b64 exec, exec, s[8:9]
.LBB595_215:
	s_or_b64 exec, exec, s[2:3]
	s_movk_i32 s2, 0xff
	v_and_b32_sdwa v45, v34, s2 dst_sel:DWORD dst_unused:UNUSED_PAD src0_sel:WORD_1 src1_sel:DWORD
	v_lshrrev_b32_e32 v42, 16, v34
	v_cmp_ne_u16_e32 vcc, 0, v45
	s_and_saveexec_b64 s[2:3], vcc
	s_cbranch_execz .LBB595_221
; %bb.216:
	s_movk_i32 s8, 0x80
	v_cmp_ne_u16_e32 vcc, s8, v45
	v_bfrev_b32_e32 v43, 1
	s_and_saveexec_b64 s[8:9], vcc
	s_cbranch_execz .LBB595_220
; %bb.217:
	v_bfe_u32 v45, v34, 16, 7
	s_movk_i32 s10, 0x7f
	v_cmp_ne_u32_e32 vcc, s10, v45
	v_mov_b32_e32 v43, 0x7f800001
	s_and_saveexec_b64 s[10:11], vcc
	s_cbranch_execz .LBB595_219
; %bb.218:
	v_and_b32_e32 v52, 7, v42
	v_ffbh_u32_e32 v43, v52
	v_min_u32_e32 v54, 32, v43
	v_subrev_u32_e32 v43, 28, v54
	v_lshlrev_b64 v[42:43], v43, v[42:43]
	v_lshrrev_b32_e32 v53, 3, v45
	v_sub_u32_e32 v43, 29, v54
	v_and_b32_e32 v42, 7, v42
	v_cmp_gt_u32_e32 vcc, 8, v45
	v_mov_b32_e32 v45, 24
	v_cndmask_b32_e32 v43, v53, v43, vcc
	v_cndmask_b32_e32 v42, v52, v42, vcc
	v_lshlrev_b32_sdwa v45, v45, v34 dst_sel:DWORD dst_unused:UNUSED_PAD src0_sel:DWORD src1_sel:WORD_1
	v_bfrev_b32_e32 v52, 60
	v_lshlrev_b32_e32 v42, 20, v42
	v_and_b32_e32 v45, 0x80000000, v45
	v_lshl_add_u32 v43, v43, 23, v52
	v_or3_b32 v43, v45, v43, v42
.LBB595_219:
	s_or_b64 exec, exec, s[10:11]
.LBB595_220:
	s_or_b64 exec, exec, s[8:9]
.LBB595_221:
	s_or_b64 exec, exec, s[2:3]
	s_mov_b32 s2, 0xffffff
	v_cmp_lt_u32_e32 vcc, s2, v34
	v_mov_b32_e32 v45, 0
	v_mov_b32_e32 v53, 0
	s_and_saveexec_b64 s[2:3], vcc
	s_cbranch_execz .LBB595_227
; %bb.222:
	v_lshrrev_b32_e32 v42, 24, v34
	s_movk_i32 s8, 0x80
	v_cmp_ne_u32_e32 vcc, s8, v42
	v_bfrev_b32_e32 v53, 1
	s_and_saveexec_b64 s[8:9], vcc
	s_cbranch_execz .LBB595_226
; %bb.223:
	v_bfe_u32 v34, v34, 24, 7
	s_movk_i32 s10, 0x7f
	v_cmp_ne_u32_e32 vcc, s10, v34
	v_mov_b32_e32 v53, 0x7f800001
	s_and_saveexec_b64 s[10:11], vcc
	s_cbranch_execz .LBB595_225
; %bb.224:
	v_and_b32_e32 v54, 7, v42
	v_ffbh_u32_e32 v52, v54
	v_min_u32_e32 v56, 32, v52
	v_subrev_u32_e32 v52, 28, v56
	v_lshlrev_b64 v[52:53], v52, v[42:43]
	v_lshrrev_b32_e32 v55, 3, v34
	v_sub_u32_e32 v53, 29, v56
	v_and_b32_e32 v52, 7, v52
	v_cmp_gt_u32_e32 vcc, 8, v34
	v_cndmask_b32_e32 v34, v55, v53, vcc
	v_cndmask_b32_e32 v52, v54, v52, vcc
	v_lshlrev_b32_e32 v42, 24, v42
	v_bfrev_b32_e32 v53, 60
	v_lshlrev_b32_e32 v52, 20, v52
	v_and_b32_e32 v42, 0x80000000, v42
	v_lshl_add_u32 v34, v34, 23, v53
	v_or3_b32 v53, v42, v34, v52
.LBB595_225:
	s_or_b64 exec, exec, s[10:11]
.LBB595_226:
	s_or_b64 exec, exec, s[8:9]
.LBB595_227:
	s_or_b64 exec, exec, s[2:3]
	v_cmp_ne_u16_sdwa s[8:9], v35, v45 src0_sel:BYTE_0 src1_sel:DWORD
	s_and_saveexec_b64 s[2:3], s[8:9]
	s_cbranch_execz .LBB595_233
; %bb.228:
	s_movk_i32 s8, 0x80
	v_cmp_ne_u16_sdwa s[10:11], v35, s8 src0_sel:BYTE_0 src1_sel:DWORD
	v_bfrev_b32_e32 v45, 1
	s_and_saveexec_b64 s[8:9], s[10:11]
	s_cbranch_execz .LBB595_232
; %bb.229:
	s_movk_i32 s10, 0x7f
	v_and_b32_e32 v34, 0x7f, v35
	v_cmp_ne_u32_e32 vcc, s10, v34
	v_mov_b32_e32 v45, 0x7f800001
	s_and_saveexec_b64 s[10:11], vcc
	s_cbranch_execz .LBB595_231
; %bb.230:
	v_and_b32_e32 v45, 7, v35
	v_ffbh_u32_e32 v54, v45
	v_min_u32_e32 v56, 32, v54
	v_mov_b32_e32 v42, v35
	v_subrev_u32_e32 v54, 28, v56
	v_lshlrev_b64 v[54:55], v54, v[42:43]
	v_lshrrev_b32_e32 v52, 3, v34
	v_sub_u32_e32 v42, 29, v56
	v_and_b32_e32 v54, 7, v54
	v_cmp_gt_u32_e32 vcc, 8, v34
	v_cndmask_b32_e32 v34, v52, v42, vcc
	v_cndmask_b32_e32 v42, v45, v54, vcc
	v_lshlrev_b32_e32 v45, 24, v35
	v_bfrev_b32_e32 v52, 60
	v_lshlrev_b32_e32 v42, 20, v42
	v_and_b32_e32 v45, 0x80000000, v45
	v_lshl_add_u32 v34, v34, 23, v52
	v_or3_b32 v45, v45, v34, v42
.LBB595_231:
	s_or_b64 exec, exec, s[10:11]
.LBB595_232:
	s_or_b64 exec, exec, s[8:9]
.LBB595_233:
	s_or_b64 exec, exec, s[2:3]
	v_lshrrev_b16_e32 v34, 8, v35
	v_cmp_ne_u16_e32 vcc, 0, v34
	v_mov_b32_e32 v42, 0
	v_mov_b32_e32 v54, 0
	s_and_saveexec_b64 s[2:3], vcc
	s_cbranch_execz .LBB595_239
; %bb.234:
	s_movk_i32 s8, 0x80
	v_cmp_ne_u16_e32 vcc, s8, v34
	v_bfrev_b32_e32 v54, 1
	s_and_saveexec_b64 s[8:9], vcc
	s_cbranch_execz .LBB595_238
; %bb.235:
	s_movk_i32 s10, 0x7f
	v_and_b32_e32 v52, 0x7f, v34
	v_cmp_ne_u32_e32 vcc, s10, v52
	v_mov_b32_e32 v54, 0x7f800001
	s_and_saveexec_b64 s[10:11], vcc
	s_cbranch_execz .LBB595_237
; %bb.236:
	v_and_b32_e32 v56, 7, v34
	v_ffbh_u32_e32 v54, v56
	v_min_u32_e32 v58, 32, v54
	v_subrev_u32_e32 v54, 28, v58
	v_lshlrev_b64 v[54:55], v54, v[34:35]
	v_lshrrev_b32_e32 v57, 3, v52
	v_sub_u32_e32 v34, 29, v58
	v_and_b32_e32 v54, 7, v54
	v_cmp_gt_u32_e32 vcc, 8, v52
	v_cndmask_b32_e32 v34, v57, v34, vcc
	v_cndmask_b32_e32 v52, v56, v54, vcc
	v_lshlrev_b32_e32 v54, 16, v35
	v_bfrev_b32_e32 v55, 60
	v_lshlrev_b32_e32 v52, 20, v52
	v_and_b32_e32 v54, 0x80000000, v54
	v_lshl_add_u32 v34, v34, 23, v55
	v_or3_b32 v54, v54, v34, v52
.LBB595_237:
	s_or_b64 exec, exec, s[10:11]
.LBB595_238:
	s_or_b64 exec, exec, s[8:9]
.LBB595_239:
	s_or_b64 exec, exec, s[2:3]
	s_movk_i32 s2, 0xff
	v_and_b32_sdwa v52, v35, s2 dst_sel:DWORD dst_unused:UNUSED_PAD src0_sel:WORD_1 src1_sel:DWORD
	v_lshrrev_b32_e32 v34, 16, v35
	v_cmp_ne_u16_e32 vcc, 0, v52
	s_and_saveexec_b64 s[2:3], vcc
	s_cbranch_execz .LBB595_245
; %bb.240:
	s_movk_i32 s8, 0x80
	v_cmp_ne_u16_e32 vcc, s8, v52
	v_bfrev_b32_e32 v42, 1
	s_and_saveexec_b64 s[8:9], vcc
	s_cbranch_execz .LBB595_244
; %bb.241:
	v_bfe_u32 v52, v35, 16, 7
	s_movk_i32 s10, 0x7f
	v_cmp_ne_u32_e32 vcc, s10, v52
	v_mov_b32_e32 v42, 0x7f800001
	s_and_saveexec_b64 s[10:11], vcc
	s_cbranch_execz .LBB595_243
; %bb.242:
	v_and_b32_e32 v42, 7, v34
	v_ffbh_u32_e32 v56, v42
	v_min_u32_e32 v58, 32, v56
	v_subrev_u32_e32 v56, 28, v58
	v_lshlrev_b64 v[56:57], v56, v[34:35]
	v_lshrrev_b32_e32 v55, 3, v52
	v_sub_u32_e32 v34, 29, v58
	v_and_b32_e32 v56, 7, v56
	v_cmp_gt_u32_e32 vcc, 8, v52
	v_mov_b32_e32 v52, 24
	v_cndmask_b32_e32 v34, v55, v34, vcc
	v_cndmask_b32_e32 v42, v42, v56, vcc
	v_lshlrev_b32_sdwa v52, v52, v35 dst_sel:DWORD dst_unused:UNUSED_PAD src0_sel:DWORD src1_sel:WORD_1
	v_bfrev_b32_e32 v55, 60
	v_lshlrev_b32_e32 v42, 20, v42
	v_and_b32_e32 v52, 0x80000000, v52
	v_lshl_add_u32 v34, v34, 23, v55
	v_or3_b32 v42, v52, v34, v42
.LBB595_243:
	s_or_b64 exec, exec, s[10:11]
.LBB595_244:
	s_or_b64 exec, exec, s[8:9]
.LBB595_245:
	s_or_b64 exec, exec, s[2:3]
	s_mov_b32 s2, 0xffffff
	v_cmp_lt_u32_e32 vcc, s2, v35
	v_mov_b32_e32 v52, 0
	v_mov_b32_e32 v55, 0
	s_and_saveexec_b64 s[2:3], vcc
	s_cbranch_execz .LBB595_251
; %bb.246:
	v_lshrrev_b32_e32 v34, 24, v35
	s_movk_i32 s8, 0x80
	v_cmp_ne_u32_e32 vcc, s8, v34
	v_bfrev_b32_e32 v55, 1
	s_and_saveexec_b64 s[8:9], vcc
	s_cbranch_execz .LBB595_250
; %bb.247:
	v_bfe_u32 v35, v35, 24, 7
	s_movk_i32 s10, 0x7f
	v_cmp_ne_u32_e32 vcc, s10, v35
	v_mov_b32_e32 v55, 0x7f800001
	s_and_saveexec_b64 s[10:11], vcc
	s_cbranch_execz .LBB595_249
; %bb.248:
	v_and_b32_e32 v55, 7, v34
	v_ffbh_u32_e32 v56, v55
	v_min_u32_e32 v59, 32, v56
	v_subrev_u32_e32 v56, 28, v59
	v_lshlrev_b64 v[56:57], v56, v[34:35]
	v_lshrrev_b32_e32 v58, 3, v35
	v_sub_u32_e32 v57, 29, v59
	v_and_b32_e32 v56, 7, v56
	v_cmp_gt_u32_e32 vcc, 8, v35
	v_cndmask_b32_e32 v35, v58, v57, vcc
	v_cndmask_b32_e32 v55, v55, v56, vcc
	v_lshlrev_b32_e32 v34, 24, v34
	v_bfrev_b32_e32 v56, 60
	v_lshlrev_b32_e32 v55, 20, v55
	v_and_b32_e32 v34, 0x80000000, v34
	v_lshl_add_u32 v35, v35, 23, v56
	v_or3_b32 v55, v34, v35, v55
.LBB595_249:
	s_or_b64 exec, exec, s[10:11]
.LBB595_250:
	s_or_b64 exec, exec, s[8:9]
.LBB595_251:
	s_or_b64 exec, exec, s[2:3]
	v_cvt_pkrtz_f16_f32 v34, v51, v44
	v_cvt_pkrtz_f16_f32 v35, v43, v53
	v_cmp_ne_u16_sdwa s[8:9], v36, v52 src0_sel:BYTE_0 src1_sel:DWORD
	s_nop 0
	v_mfma_f32_16x16x16f16 v[56:59], v[34:35], v[26:27], 0
	v_cvt_pkrtz_f16_f32 v34, v45, v54
	v_cvt_pkrtz_f16_f32 v35, v42, v55
	s_nop 1
	v_mfma_f32_16x16x16f16 v[42:45], v[34:35], v[28:29], v[56:59]
	s_and_saveexec_b64 s[2:3], s[8:9]
	s_cbranch_execz .LBB595_257
; %bb.252:
	s_movk_i32 s8, 0x80
	v_cmp_ne_u16_sdwa s[10:11], v36, s8 src0_sel:BYTE_0 src1_sel:DWORD
	v_bfrev_b32_e32 v52, 1
	s_and_saveexec_b64 s[8:9], s[10:11]
	s_cbranch_execz .LBB595_256
; %bb.253:
	s_movk_i32 s10, 0x7f
	v_and_b32_e32 v34, 0x7f, v36
	v_cmp_ne_u32_e32 vcc, s10, v34
	v_mov_b32_e32 v52, 0x7f800001
	s_and_saveexec_b64 s[10:11], vcc
	s_cbranch_execz .LBB595_255
; %bb.254:
	v_and_b32_e32 v35, 7, v36
	v_ffbh_u32_e32 v52, v35
	v_min_u32_e32 v54, 32, v52
	v_subrev_u32_e32 v52, 28, v54
	v_lshlrev_b64 v[52:53], v52, v[36:37]
	v_lshrrev_b32_e32 v51, 3, v34
	v_sub_u32_e32 v53, 29, v54
	v_and_b32_e32 v52, 7, v52
	v_cmp_gt_u32_e32 vcc, 8, v34
	v_cndmask_b32_e32 v34, v51, v53, vcc
	v_cndmask_b32_e32 v35, v35, v52, vcc
	v_lshlrev_b32_e32 v51, 24, v36
	v_bfrev_b32_e32 v52, 60
	v_lshlrev_b32_e32 v35, 20, v35
	v_and_b32_e32 v51, 0x80000000, v51
	v_lshl_add_u32 v34, v34, 23, v52
	v_or3_b32 v52, v51, v34, v35
.LBB595_255:
	s_or_b64 exec, exec, s[10:11]
.LBB595_256:
	s_or_b64 exec, exec, s[8:9]
.LBB595_257:
	s_or_b64 exec, exec, s[2:3]
	v_lshrrev_b16_e32 v34, 8, v36
	v_cmp_ne_u16_e32 vcc, 0, v34
	v_mov_b32_e32 v35, 0
	v_mov_b32_e32 v53, 0
	s_and_saveexec_b64 s[2:3], vcc
	s_cbranch_execz .LBB595_263
; %bb.258:
	s_movk_i32 s8, 0x80
	v_cmp_ne_u16_e32 vcc, s8, v34
	v_bfrev_b32_e32 v53, 1
	s_and_saveexec_b64 s[8:9], vcc
	s_cbranch_execz .LBB595_262
; %bb.259:
	s_movk_i32 s10, 0x7f
	v_and_b32_e32 v51, 0x7f, v34
	v_cmp_ne_u32_e32 vcc, s10, v51
	v_mov_b32_e32 v53, 0x7f800001
	s_and_saveexec_b64 s[10:11], vcc
	s_cbranch_execz .LBB595_261
; %bb.260:
	v_and_b32_e32 v53, 7, v34
	v_ffbh_u32_e32 v54, v53
	v_min_u32_e32 v57, 32, v54
	v_subrev_u32_e32 v54, 28, v57
	v_lshlrev_b64 v[54:55], v54, v[34:35]
	v_lshrrev_b32_e32 v56, 3, v51
	v_sub_u32_e32 v34, 29, v57
	v_and_b32_e32 v54, 7, v54
	v_cmp_gt_u32_e32 vcc, 8, v51
	v_cndmask_b32_e32 v34, v56, v34, vcc
	v_cndmask_b32_e32 v51, v53, v54, vcc
	v_lshlrev_b32_e32 v53, 16, v36
	v_bfrev_b32_e32 v54, 60
	v_lshlrev_b32_e32 v51, 20, v51
	v_and_b32_e32 v53, 0x80000000, v53
	v_lshl_add_u32 v34, v34, 23, v54
	v_or3_b32 v53, v53, v34, v51
.LBB595_261:
	s_or_b64 exec, exec, s[10:11]
.LBB595_262:
	s_or_b64 exec, exec, s[8:9]
.LBB595_263:
	s_or_b64 exec, exec, s[2:3]
	s_movk_i32 s2, 0xff
	v_and_b32_sdwa v51, v36, s2 dst_sel:DWORD dst_unused:UNUSED_PAD src0_sel:WORD_1 src1_sel:DWORD
	v_lshrrev_b32_e32 v34, 16, v36
	v_cmp_ne_u16_e32 vcc, 0, v51
	s_and_saveexec_b64 s[2:3], vcc
	s_cbranch_execz .LBB595_269
; %bb.264:
	s_movk_i32 s8, 0x80
	v_cmp_ne_u16_e32 vcc, s8, v51
	v_bfrev_b32_e32 v35, 1
	s_and_saveexec_b64 s[8:9], vcc
	s_cbranch_execz .LBB595_268
; %bb.265:
	v_bfe_u32 v51, v36, 16, 7
	s_movk_i32 s10, 0x7f
	v_cmp_ne_u32_e32 vcc, s10, v51
	v_mov_b32_e32 v35, 0x7f800001
	s_and_saveexec_b64 s[10:11], vcc
	s_cbranch_execz .LBB595_267
; %bb.266:
	v_and_b32_e32 v54, 7, v34
	v_ffbh_u32_e32 v35, v54
	v_min_u32_e32 v56, 32, v35
	v_subrev_u32_e32 v35, 28, v56
	v_lshlrev_b64 v[34:35], v35, v[34:35]
	v_lshrrev_b32_e32 v55, 3, v51
	v_sub_u32_e32 v35, 29, v56
	v_and_b32_e32 v34, 7, v34
	v_cmp_gt_u32_e32 vcc, 8, v51
	v_mov_b32_e32 v51, 24
	v_cndmask_b32_e32 v35, v55, v35, vcc
	v_cndmask_b32_e32 v34, v54, v34, vcc
	v_lshlrev_b32_sdwa v51, v51, v36 dst_sel:DWORD dst_unused:UNUSED_PAD src0_sel:DWORD src1_sel:WORD_1
	v_bfrev_b32_e32 v54, 60
	v_lshlrev_b32_e32 v34, 20, v34
	v_and_b32_e32 v51, 0x80000000, v51
	v_lshl_add_u32 v35, v35, 23, v54
	v_or3_b32 v35, v51, v35, v34
.LBB595_267:
	s_or_b64 exec, exec, s[10:11]
.LBB595_268:
	s_or_b64 exec, exec, s[8:9]
.LBB595_269:
	s_or_b64 exec, exec, s[2:3]
	s_mov_b32 s2, 0xffffff
	v_cmp_lt_u32_e32 vcc, s2, v36
	v_mov_b32_e32 v54, 0
	v_mov_b32_e32 v55, 0
	s_and_saveexec_b64 s[2:3], vcc
	s_cbranch_execz .LBB595_275
; %bb.270:
	v_lshrrev_b32_e32 v34, 24, v36
	s_movk_i32 s8, 0x80
	v_cmp_ne_u32_e32 vcc, s8, v34
	v_bfrev_b32_e32 v55, 1
	s_and_saveexec_b64 s[8:9], vcc
	s_cbranch_execz .LBB595_274
; %bb.271:
	v_bfe_u32 v36, v36, 24, 7
	s_movk_i32 s10, 0x7f
	v_cmp_ne_u32_e32 vcc, s10, v36
	v_mov_b32_e32 v55, 0x7f800001
	s_and_saveexec_b64 s[10:11], vcc
	s_cbranch_execz .LBB595_273
; %bb.272:
	v_and_b32_e32 v51, 7, v34
	v_ffbh_u32_e32 v56, v51
	v_min_u32_e32 v58, 32, v56
	v_subrev_u32_e32 v56, 28, v58
	v_lshlrev_b64 v[56:57], v56, v[34:35]
	v_lshrrev_b32_e32 v55, 3, v36
	v_sub_u32_e32 v57, 29, v58
	v_and_b32_e32 v56, 7, v56
	v_cmp_gt_u32_e32 vcc, 8, v36
	v_cndmask_b32_e32 v36, v55, v57, vcc
	v_cndmask_b32_e32 v51, v51, v56, vcc
	v_lshlrev_b32_e32 v34, 24, v34
	v_bfrev_b32_e32 v55, 60
	v_lshlrev_b32_e32 v51, 20, v51
	v_and_b32_e32 v34, 0x80000000, v34
	v_lshl_add_u32 v36, v36, 23, v55
	v_or3_b32 v55, v34, v36, v51
.LBB595_273:
	s_or_b64 exec, exec, s[10:11]
.LBB595_274:
	s_or_b64 exec, exec, s[8:9]
.LBB595_275:
	s_or_b64 exec, exec, s[2:3]
	v_cmp_ne_u16_sdwa s[8:9], v37, v54 src0_sel:BYTE_0 src1_sel:DWORD
	s_and_saveexec_b64 s[2:3], s[8:9]
	s_cbranch_execz .LBB595_281
; %bb.276:
	s_movk_i32 s8, 0x80
	v_cmp_ne_u16_sdwa s[10:11], v37, s8 src0_sel:BYTE_0 src1_sel:DWORD
	v_bfrev_b32_e32 v54, 1
	s_and_saveexec_b64 s[8:9], s[10:11]
	s_cbranch_execz .LBB595_280
; %bb.277:
	s_movk_i32 s10, 0x7f
	v_and_b32_e32 v34, 0x7f, v37
	v_cmp_ne_u32_e32 vcc, s10, v34
	v_mov_b32_e32 v54, 0x7f800001
	s_and_saveexec_b64 s[10:11], vcc
	s_cbranch_execz .LBB595_279
; %bb.278:
	v_and_b32_e32 v51, 7, v37
	v_ffbh_u32_e32 v56, v51
	v_min_u32_e32 v58, 32, v56
	v_mov_b32_e32 v36, v37
	v_subrev_u32_e32 v56, 28, v58
	v_lshlrev_b64 v[56:57], v56, v[36:37]
	v_lshrrev_b32_e32 v54, 3, v34
	v_sub_u32_e32 v36, 29, v58
	v_and_b32_e32 v56, 7, v56
	v_cmp_gt_u32_e32 vcc, 8, v34
	v_cndmask_b32_e32 v34, v54, v36, vcc
	v_cndmask_b32_e32 v36, v51, v56, vcc
	v_lshlrev_b32_e32 v51, 24, v37
	v_bfrev_b32_e32 v54, 60
	v_lshlrev_b32_e32 v36, 20, v36
	v_and_b32_e32 v51, 0x80000000, v51
	v_lshl_add_u32 v34, v34, 23, v54
	v_or3_b32 v54, v51, v34, v36
.LBB595_279:
	s_or_b64 exec, exec, s[10:11]
.LBB595_280:
	s_or_b64 exec, exec, s[8:9]
.LBB595_281:
	s_or_b64 exec, exec, s[2:3]
	v_lshrrev_b16_e32 v34, 8, v37
	v_cmp_ne_u16_e32 vcc, 0, v34
	v_mov_b32_e32 v36, 0
	v_mov_b32_e32 v56, 0
	s_and_saveexec_b64 s[2:3], vcc
	s_cbranch_execz .LBB595_287
; %bb.282:
	s_movk_i32 s8, 0x80
	v_cmp_ne_u16_e32 vcc, s8, v34
	v_bfrev_b32_e32 v56, 1
	s_and_saveexec_b64 s[8:9], vcc
	s_cbranch_execz .LBB595_286
; %bb.283:
	s_movk_i32 s10, 0x7f
	v_and_b32_e32 v51, 0x7f, v34
	v_cmp_ne_u32_e32 vcc, s10, v51
	v_mov_b32_e32 v56, 0x7f800001
	s_and_saveexec_b64 s[10:11], vcc
	s_cbranch_execz .LBB595_285
; %bb.284:
	v_and_b32_e32 v58, 7, v34
	v_ffbh_u32_e32 v56, v58
	v_min_u32_e32 v60, 32, v56
	v_subrev_u32_e32 v56, 28, v60
	v_lshlrev_b64 v[56:57], v56, v[34:35]
	v_lshrrev_b32_e32 v59, 3, v51
	v_sub_u32_e32 v34, 29, v60
	v_and_b32_e32 v56, 7, v56
	v_cmp_gt_u32_e32 vcc, 8, v51
	v_cndmask_b32_e32 v34, v59, v34, vcc
	v_cndmask_b32_e32 v51, v58, v56, vcc
	v_lshlrev_b32_e32 v56, 16, v37
	v_bfrev_b32_e32 v57, 60
	v_lshlrev_b32_e32 v51, 20, v51
	v_and_b32_e32 v56, 0x80000000, v56
	v_lshl_add_u32 v34, v34, 23, v57
	v_or3_b32 v56, v56, v34, v51
.LBB595_285:
	s_or_b64 exec, exec, s[10:11]
.LBB595_286:
	s_or_b64 exec, exec, s[8:9]
.LBB595_287:
	s_or_b64 exec, exec, s[2:3]
	s_movk_i32 s2, 0xff
	v_and_b32_sdwa v51, v37, s2 dst_sel:DWORD dst_unused:UNUSED_PAD src0_sel:WORD_1 src1_sel:DWORD
	v_lshrrev_b32_e32 v34, 16, v37
	v_cmp_ne_u16_e32 vcc, 0, v51
	s_and_saveexec_b64 s[2:3], vcc
	s_cbranch_execz .LBB595_293
; %bb.288:
	s_movk_i32 s8, 0x80
	v_cmp_ne_u16_e32 vcc, s8, v51
	v_bfrev_b32_e32 v36, 1
	s_and_saveexec_b64 s[8:9], vcc
	s_cbranch_execz .LBB595_292
; %bb.289:
	v_bfe_u32 v51, v37, 16, 7
	s_movk_i32 s10, 0x7f
	v_cmp_ne_u32_e32 vcc, s10, v51
	v_mov_b32_e32 v36, 0x7f800001
	s_and_saveexec_b64 s[10:11], vcc
	s_cbranch_execz .LBB595_291
; %bb.290:
	v_and_b32_e32 v36, 7, v34
	v_ffbh_u32_e32 v58, v36
	v_min_u32_e32 v60, 32, v58
	v_subrev_u32_e32 v58, 28, v60
	v_lshlrev_b64 v[58:59], v58, v[34:35]
	v_lshrrev_b32_e32 v57, 3, v51
	v_sub_u32_e32 v34, 29, v60
	v_and_b32_e32 v58, 7, v58
	v_cmp_gt_u32_e32 vcc, 8, v51
	v_mov_b32_e32 v51, 24
	v_cndmask_b32_e32 v34, v57, v34, vcc
	v_cndmask_b32_e32 v36, v36, v58, vcc
	v_lshlrev_b32_sdwa v51, v51, v37 dst_sel:DWORD dst_unused:UNUSED_PAD src0_sel:DWORD src1_sel:WORD_1
	v_bfrev_b32_e32 v57, 60
	v_lshlrev_b32_e32 v36, 20, v36
	v_and_b32_e32 v51, 0x80000000, v51
	v_lshl_add_u32 v34, v34, 23, v57
	v_or3_b32 v36, v51, v34, v36
.LBB595_291:
	s_or_b64 exec, exec, s[10:11]
.LBB595_292:
	s_or_b64 exec, exec, s[8:9]
.LBB595_293:
	s_or_b64 exec, exec, s[2:3]
	s_mov_b32 s2, 0xffffff
	v_cmp_lt_u32_e32 vcc, s2, v37
	v_mov_b32_e32 v51, 0
	v_mov_b32_e32 v57, 0
	s_and_saveexec_b64 s[2:3], vcc
	s_cbranch_execz .LBB595_299
; %bb.294:
	v_lshrrev_b32_e32 v34, 24, v37
	s_movk_i32 s8, 0x80
	v_cmp_ne_u32_e32 vcc, s8, v34
	v_bfrev_b32_e32 v57, 1
	s_and_saveexec_b64 s[8:9], vcc
	s_cbranch_execz .LBB595_298
; %bb.295:
	v_bfe_u32 v37, v37, 24, 7
	s_movk_i32 s10, 0x7f
	v_cmp_ne_u32_e32 vcc, s10, v37
	v_mov_b32_e32 v57, 0x7f800001
	s_and_saveexec_b64 s[10:11], vcc
	s_cbranch_execz .LBB595_297
; %bb.296:
	v_and_b32_e32 v57, 7, v34
	v_ffbh_u32_e32 v58, v57
	v_min_u32_e32 v61, 32, v58
	v_subrev_u32_e32 v58, 28, v61
	v_lshlrev_b64 v[58:59], v58, v[34:35]
	v_lshrrev_b32_e32 v60, 3, v37
	v_sub_u32_e32 v59, 29, v61
	v_and_b32_e32 v58, 7, v58
	v_cmp_gt_u32_e32 vcc, 8, v37
	v_cndmask_b32_e32 v37, v60, v59, vcc
	v_cndmask_b32_e32 v57, v57, v58, vcc
	v_lshlrev_b32_e32 v34, 24, v34
	v_bfrev_b32_e32 v58, 60
	v_lshlrev_b32_e32 v57, 20, v57
	v_and_b32_e32 v34, 0x80000000, v34
	v_lshl_add_u32 v37, v37, 23, v58
	v_or3_b32 v57, v34, v37, v57
.LBB595_297:
	s_or_b64 exec, exec, s[10:11]
.LBB595_298:
	s_or_b64 exec, exec, s[8:9]
.LBB595_299:
	s_or_b64 exec, exec, s[2:3]
	v_cvt_pkrtz_f16_f32 v34, v52, v53
	v_cvt_pkrtz_f16_f32 v35, v35, v55
	s_waitcnt vmcnt(4)
	v_cmp_ne_u16_sdwa s[8:9], v22, v51 src0_sel:BYTE_0 src1_sel:DWORD
	v_mfma_f32_16x16x16f16 v[42:45], v[34:35], v[18:19], v[42:45]
	v_cvt_pkrtz_f16_f32 v34, v54, v56
	v_cvt_pkrtz_f16_f32 v35, v36, v57
	s_nop 1
	v_mfma_f32_16x16x16f16 v[34:37], v[34:35], v[20:21], v[42:45]
	s_and_saveexec_b64 s[2:3], s[8:9]
	s_cbranch_execz .LBB595_305
; %bb.300:
	s_movk_i32 s8, 0x80
	v_cmp_ne_u16_sdwa s[10:11], v22, s8 src0_sel:BYTE_0 src1_sel:DWORD
	v_bfrev_b32_e32 v51, 1
	s_and_saveexec_b64 s[8:9], s[10:11]
	s_cbranch_execz .LBB595_304
; %bb.301:
	s_movk_i32 s10, 0x7f
	v_and_b32_e32 v42, 0x7f, v22
	v_cmp_ne_u32_e32 vcc, s10, v42
	v_mov_b32_e32 v51, 0x7f800001
	s_and_saveexec_b64 s[10:11], vcc
	s_cbranch_execz .LBB595_303
; %bb.302:
	v_and_b32_e32 v43, 7, v22
	v_ffbh_u32_e32 v44, v43
	v_min_u32_e32 v52, 32, v44
	v_subrev_u32_e32 v44, 28, v52
	v_lshlrev_b64 v[44:45], v44, v[22:23]
	v_lshrrev_b32_e32 v51, 3, v42
	v_sub_u32_e32 v45, 29, v52
	v_and_b32_e32 v44, 7, v44
	v_cmp_gt_u32_e32 vcc, 8, v42
	v_cndmask_b32_e32 v42, v51, v45, vcc
	v_cndmask_b32_e32 v43, v43, v44, vcc
	v_lshlrev_b32_e32 v44, 24, v22
	v_bfrev_b32_e32 v45, 60
	v_lshlrev_b32_e32 v43, 20, v43
	v_and_b32_e32 v44, 0x80000000, v44
	v_lshl_add_u32 v42, v42, 23, v45
	v_or3_b32 v51, v44, v42, v43
.LBB595_303:
	s_or_b64 exec, exec, s[10:11]
.LBB595_304:
	s_or_b64 exec, exec, s[8:9]
.LBB595_305:
	s_or_b64 exec, exec, s[2:3]
	s_nop 3
	v_lshrrev_b16_e32 v42, 8, v22
	v_cmp_ne_u16_e32 vcc, 0, v42
	v_mov_b32_e32 v43, 0
	v_mov_b32_e32 v44, 0
	s_and_saveexec_b64 s[2:3], vcc
	s_cbranch_execz .LBB595_311
; %bb.306:
	s_movk_i32 s8, 0x80
	v_cmp_ne_u16_e32 vcc, s8, v42
	v_bfrev_b32_e32 v44, 1
	s_and_saveexec_b64 s[8:9], vcc
	s_cbranch_execz .LBB595_310
; %bb.307:
	s_movk_i32 s10, 0x7f
	v_and_b32_e32 v45, 0x7f, v42
	v_cmp_ne_u32_e32 vcc, s10, v45
	v_mov_b32_e32 v44, 0x7f800001
	s_and_saveexec_b64 s[10:11], vcc
	s_cbranch_execz .LBB595_309
; %bb.308:
	v_and_b32_e32 v44, 7, v42
	v_ffbh_u32_e32 v52, v44
	v_min_u32_e32 v55, 32, v52
	v_subrev_u32_e32 v52, 28, v55
	v_lshlrev_b64 v[52:53], v52, v[42:43]
	v_lshrrev_b32_e32 v54, 3, v45
	v_sub_u32_e32 v42, 29, v55
	v_and_b32_e32 v52, 7, v52
	v_cmp_gt_u32_e32 vcc, 8, v45
	v_cndmask_b32_e32 v42, v54, v42, vcc
	v_cndmask_b32_e32 v44, v44, v52, vcc
	v_lshlrev_b32_e32 v45, 16, v22
	v_bfrev_b32_e32 v52, 60
	v_lshlrev_b32_e32 v44, 20, v44
	v_and_b32_e32 v45, 0x80000000, v45
	v_lshl_add_u32 v42, v42, 23, v52
	v_or3_b32 v44, v45, v42, v44
.LBB595_309:
	s_or_b64 exec, exec, s[10:11]
.LBB595_310:
	s_or_b64 exec, exec, s[8:9]
.LBB595_311:
	s_or_b64 exec, exec, s[2:3]
	s_movk_i32 s2, 0xff
	v_and_b32_sdwa v45, v22, s2 dst_sel:DWORD dst_unused:UNUSED_PAD src0_sel:WORD_1 src1_sel:DWORD
	v_lshrrev_b32_e32 v42, 16, v22
	v_cmp_ne_u16_e32 vcc, 0, v45
	s_and_saveexec_b64 s[2:3], vcc
	s_cbranch_execz .LBB595_317
; %bb.312:
	s_movk_i32 s8, 0x80
	v_cmp_ne_u16_e32 vcc, s8, v45
	v_bfrev_b32_e32 v43, 1
	s_and_saveexec_b64 s[8:9], vcc
	s_cbranch_execz .LBB595_316
; %bb.313:
	v_bfe_u32 v45, v22, 16, 7
	s_movk_i32 s10, 0x7f
	v_cmp_ne_u32_e32 vcc, s10, v45
	v_mov_b32_e32 v43, 0x7f800001
	s_and_saveexec_b64 s[10:11], vcc
	s_cbranch_execz .LBB595_315
; %bb.314:
	v_and_b32_e32 v52, 7, v42
	v_ffbh_u32_e32 v43, v52
	v_min_u32_e32 v54, 32, v43
	v_subrev_u32_e32 v43, 28, v54
	v_lshlrev_b64 v[42:43], v43, v[42:43]
	v_lshrrev_b32_e32 v53, 3, v45
	v_sub_u32_e32 v43, 29, v54
	v_and_b32_e32 v42, 7, v42
	v_cmp_gt_u32_e32 vcc, 8, v45
	v_mov_b32_e32 v45, 24
	v_cndmask_b32_e32 v43, v53, v43, vcc
	v_cndmask_b32_e32 v42, v52, v42, vcc
	v_lshlrev_b32_sdwa v45, v45, v22 dst_sel:DWORD dst_unused:UNUSED_PAD src0_sel:DWORD src1_sel:WORD_1
	v_bfrev_b32_e32 v52, 60
	v_lshlrev_b32_e32 v42, 20, v42
	v_and_b32_e32 v45, 0x80000000, v45
	v_lshl_add_u32 v43, v43, 23, v52
	v_or3_b32 v43, v45, v43, v42
.LBB595_315:
	s_or_b64 exec, exec, s[10:11]
.LBB595_316:
	s_or_b64 exec, exec, s[8:9]
.LBB595_317:
	s_or_b64 exec, exec, s[2:3]
	s_mov_b32 s2, 0xffffff
	v_cmp_lt_u32_e32 vcc, s2, v22
	v_mov_b32_e32 v45, 0
	v_mov_b32_e32 v52, 0
	s_and_saveexec_b64 s[2:3], vcc
	s_cbranch_execz .LBB595_323
; %bb.318:
	v_lshrrev_b32_e32 v42, 24, v22
	s_movk_i32 s8, 0x80
	v_cmp_ne_u32_e32 vcc, s8, v42
	v_bfrev_b32_e32 v52, 1
	s_and_saveexec_b64 s[8:9], vcc
	s_cbranch_execz .LBB595_322
; %bb.319:
	v_bfe_u32 v22, v22, 24, 7
	s_movk_i32 s10, 0x7f
	v_cmp_ne_u32_e32 vcc, s10, v22
	v_mov_b32_e32 v52, 0x7f800001
	s_and_saveexec_b64 s[10:11], vcc
	s_cbranch_execz .LBB595_321
; %bb.320:
	v_and_b32_e32 v54, 7, v42
	v_ffbh_u32_e32 v52, v54
	v_min_u32_e32 v56, 32, v52
	v_subrev_u32_e32 v52, 28, v56
	v_lshlrev_b64 v[52:53], v52, v[42:43]
	v_lshrrev_b32_e32 v55, 3, v22
	v_sub_u32_e32 v53, 29, v56
	v_and_b32_e32 v52, 7, v52
	v_cmp_gt_u32_e32 vcc, 8, v22
	v_cndmask_b32_e32 v22, v55, v53, vcc
	v_cndmask_b32_e32 v52, v54, v52, vcc
	v_lshlrev_b32_e32 v42, 24, v42
	v_bfrev_b32_e32 v53, 60
	v_lshlrev_b32_e32 v52, 20, v52
	v_and_b32_e32 v42, 0x80000000, v42
	v_lshl_add_u32 v22, v22, 23, v53
	v_or3_b32 v52, v42, v22, v52
.LBB595_321:
	s_or_b64 exec, exec, s[10:11]
.LBB595_322:
	s_or_b64 exec, exec, s[8:9]
.LBB595_323:
	s_or_b64 exec, exec, s[2:3]
	v_cmp_ne_u16_sdwa s[8:9], v23, v45 src0_sel:BYTE_0 src1_sel:DWORD
	s_and_saveexec_b64 s[2:3], s[8:9]
	s_cbranch_execz .LBB595_329
; %bb.324:
	s_movk_i32 s8, 0x80
	v_cmp_ne_u16_sdwa s[10:11], v23, s8 src0_sel:BYTE_0 src1_sel:DWORD
	v_bfrev_b32_e32 v45, 1
	s_and_saveexec_b64 s[8:9], s[10:11]
	s_cbranch_execz .LBB595_328
; %bb.325:
	s_movk_i32 s10, 0x7f
	v_and_b32_e32 v22, 0x7f, v23
	v_cmp_ne_u32_e32 vcc, s10, v22
	v_mov_b32_e32 v45, 0x7f800001
	s_and_saveexec_b64 s[10:11], vcc
	s_cbranch_execz .LBB595_327
; %bb.326:
	v_and_b32_e32 v45, 7, v23
	v_ffbh_u32_e32 v54, v45
	v_min_u32_e32 v56, 32, v54
	v_mov_b32_e32 v42, v23
	v_subrev_u32_e32 v54, 28, v56
	v_lshlrev_b64 v[54:55], v54, v[42:43]
	v_lshrrev_b32_e32 v53, 3, v22
	v_sub_u32_e32 v42, 29, v56
	v_and_b32_e32 v54, 7, v54
	v_cmp_gt_u32_e32 vcc, 8, v22
	v_cndmask_b32_e32 v22, v53, v42, vcc
	v_cndmask_b32_e32 v42, v45, v54, vcc
	v_lshlrev_b32_e32 v45, 24, v23
	v_bfrev_b32_e32 v53, 60
	v_lshlrev_b32_e32 v42, 20, v42
	v_and_b32_e32 v45, 0x80000000, v45
	v_lshl_add_u32 v22, v22, 23, v53
	v_or3_b32 v45, v45, v22, v42
.LBB595_327:
	s_or_b64 exec, exec, s[10:11]
.LBB595_328:
	s_or_b64 exec, exec, s[8:9]
.LBB595_329:
	s_or_b64 exec, exec, s[2:3]
	v_lshrrev_b16_e32 v22, 8, v23
	v_cmp_ne_u16_e32 vcc, 0, v22
	v_mov_b32_e32 v53, 0
	v_mov_b32_e32 v54, 0
	s_and_saveexec_b64 s[2:3], vcc
	s_cbranch_execz .LBB595_335
; %bb.330:
	s_movk_i32 s8, 0x80
	v_cmp_ne_u16_e32 vcc, s8, v22
	v_bfrev_b32_e32 v54, 1
	s_and_saveexec_b64 s[8:9], vcc
	s_cbranch_execz .LBB595_334
; %bb.331:
	s_movk_i32 s10, 0x7f
	v_and_b32_e32 v42, 0x7f, v22
	v_cmp_ne_u32_e32 vcc, s10, v42
	v_mov_b32_e32 v54, 0x7f800001
	s_and_saveexec_b64 s[10:11], vcc
	s_cbranch_execz .LBB595_333
; %bb.332:
	v_and_b32_e32 v56, 7, v22
	v_ffbh_u32_e32 v54, v56
	v_min_u32_e32 v58, 32, v54
	v_subrev_u32_e32 v54, 28, v58
	v_lshlrev_b64 v[54:55], v54, v[22:23]
	v_lshrrev_b32_e32 v57, 3, v42
	v_sub_u32_e32 v22, 29, v58
	v_and_b32_e32 v54, 7, v54
	v_cmp_gt_u32_e32 vcc, 8, v42
	v_cndmask_b32_e32 v22, v57, v22, vcc
	v_cndmask_b32_e32 v42, v56, v54, vcc
	v_lshlrev_b32_e32 v54, 16, v23
	v_bfrev_b32_e32 v55, 60
	v_lshlrev_b32_e32 v42, 20, v42
	v_and_b32_e32 v54, 0x80000000, v54
	v_lshl_add_u32 v22, v22, 23, v55
	v_or3_b32 v54, v54, v22, v42
.LBB595_333:
	s_or_b64 exec, exec, s[10:11]
.LBB595_334:
	s_or_b64 exec, exec, s[8:9]
.LBB595_335:
	s_or_b64 exec, exec, s[2:3]
	s_movk_i32 s2, 0xff
	v_and_b32_sdwa v42, v23, s2 dst_sel:DWORD dst_unused:UNUSED_PAD src0_sel:WORD_1 src1_sel:DWORD
	v_lshrrev_b32_e32 v22, 16, v23
	v_cmp_ne_u16_e32 vcc, 0, v42
	s_and_saveexec_b64 s[2:3], vcc
	s_cbranch_execz .LBB595_341
; %bb.336:
	s_movk_i32 s8, 0x80
	v_cmp_ne_u16_e32 vcc, s8, v42
	v_bfrev_b32_e32 v53, 1
	s_and_saveexec_b64 s[8:9], vcc
	s_cbranch_execz .LBB595_340
; %bb.337:
	v_bfe_u32 v42, v23, 16, 7
	s_movk_i32 s10, 0x7f
	v_cmp_ne_u32_e32 vcc, s10, v42
	v_mov_b32_e32 v53, 0x7f800001
	s_and_saveexec_b64 s[10:11], vcc
	s_cbranch_execz .LBB595_339
; %bb.338:
	v_and_b32_e32 v53, 7, v22
	v_ffbh_u32_e32 v56, v53
	v_min_u32_e32 v58, 32, v56
	v_subrev_u32_e32 v56, 28, v58
	v_lshlrev_b64 v[56:57], v56, v[22:23]
	v_and_b32_e32 v56, 7, v56
	v_cmp_gt_u32_e32 vcc, 8, v42
	v_lshrrev_b32_e32 v55, 3, v42
	v_sub_u32_e32 v22, 29, v58
	v_cndmask_b32_e32 v42, v53, v56, vcc
	v_mov_b32_e32 v53, 24
	v_cndmask_b32_e32 v22, v55, v22, vcc
	v_lshlrev_b32_sdwa v53, v53, v23 dst_sel:DWORD dst_unused:UNUSED_PAD src0_sel:DWORD src1_sel:WORD_1
	v_bfrev_b32_e32 v55, 60
	v_lshlrev_b32_e32 v42, 20, v42
	v_and_b32_e32 v53, 0x80000000, v53
	v_lshl_add_u32 v22, v22, 23, v55
	v_or3_b32 v53, v53, v22, v42
.LBB595_339:
	s_or_b64 exec, exec, s[10:11]
.LBB595_340:
	s_or_b64 exec, exec, s[8:9]
.LBB595_341:
	s_or_b64 exec, exec, s[2:3]
	s_mov_b32 s2, 0xffffff
	v_cmp_lt_u32_e32 vcc, s2, v23
	v_mov_b32_e32 v42, 0
	v_mov_b32_e32 v55, 0
	s_and_saveexec_b64 s[2:3], vcc
	s_cbranch_execz .LBB595_347
; %bb.342:
	v_lshrrev_b32_e32 v22, 24, v23
	s_movk_i32 s8, 0x80
	v_cmp_ne_u32_e32 vcc, s8, v22
	v_bfrev_b32_e32 v55, 1
	s_and_saveexec_b64 s[8:9], vcc
	s_cbranch_execz .LBB595_346
; %bb.343:
	v_bfe_u32 v23, v23, 24, 7
	s_movk_i32 s10, 0x7f
	v_cmp_ne_u32_e32 vcc, s10, v23
	v_mov_b32_e32 v55, 0x7f800001
	s_and_saveexec_b64 s[10:11], vcc
	s_cbranch_execz .LBB595_345
; %bb.344:
	v_and_b32_e32 v55, 7, v22
	v_ffbh_u32_e32 v56, v55
	v_min_u32_e32 v59, 32, v56
	v_subrev_u32_e32 v56, 28, v59
	v_lshlrev_b64 v[56:57], v56, v[22:23]
	v_lshrrev_b32_e32 v58, 3, v23
	v_sub_u32_e32 v57, 29, v59
	v_and_b32_e32 v56, 7, v56
	v_cmp_gt_u32_e32 vcc, 8, v23
	v_cndmask_b32_e32 v23, v58, v57, vcc
	v_cndmask_b32_e32 v55, v55, v56, vcc
	v_lshlrev_b32_e32 v22, 24, v22
	v_bfrev_b32_e32 v56, 60
	v_lshlrev_b32_e32 v55, 20, v55
	v_and_b32_e32 v22, 0x80000000, v22
	v_lshl_add_u32 v23, v23, 23, v56
	v_or3_b32 v55, v22, v23, v55
.LBB595_345:
	s_or_b64 exec, exec, s[10:11]
.LBB595_346:
	s_or_b64 exec, exec, s[8:9]
.LBB595_347:
	s_or_b64 exec, exec, s[2:3]
	v_cvt_pkrtz_f16_f32 v22, v51, v44
	v_cvt_pkrtz_f16_f32 v23, v43, v52
	v_cmp_ne_u16_sdwa s[8:9], v24, v42 src0_sel:BYTE_0 src1_sel:DWORD
	s_nop 0
	v_mfma_f32_16x16x16f16 v[56:59], v[22:23], v[26:27], 0
	v_cvt_pkrtz_f16_f32 v22, v45, v54
	v_cvt_pkrtz_f16_f32 v23, v53, v55
	s_nop 1
	v_mfma_f32_16x16x16f16 v[26:29], v[22:23], v[28:29], v[56:59]
	s_and_saveexec_b64 s[2:3], s[8:9]
	s_cbranch_execz .LBB595_353
; %bb.348:
	s_movk_i32 s8, 0x80
	v_cmp_ne_u16_sdwa s[10:11], v24, s8 src0_sel:BYTE_0 src1_sel:DWORD
	v_bfrev_b32_e32 v42, 1
	s_and_saveexec_b64 s[8:9], s[10:11]
	s_cbranch_execz .LBB595_352
; %bb.349:
	s_movk_i32 s10, 0x7f
	v_and_b32_e32 v22, 0x7f, v24
	v_cmp_ne_u32_e32 vcc, s10, v22
	v_mov_b32_e32 v42, 0x7f800001
	s_and_saveexec_b64 s[10:11], vcc
	s_cbranch_execz .LBB595_351
; %bb.350:
	v_and_b32_e32 v23, 7, v24
	v_ffbh_u32_e32 v42, v23
	v_min_u32_e32 v45, 32, v42
	v_subrev_u32_e32 v42, 28, v45
	v_lshlrev_b64 v[42:43], v42, v[24:25]
	v_lshrrev_b32_e32 v44, 3, v22
	v_sub_u32_e32 v43, 29, v45
	v_and_b32_e32 v42, 7, v42
	v_cmp_gt_u32_e32 vcc, 8, v22
	v_cndmask_b32_e32 v22, v44, v43, vcc
	v_cndmask_b32_e32 v23, v23, v42, vcc
	v_lshlrev_b32_e32 v42, 24, v24
	v_bfrev_b32_e32 v43, 60
	v_lshlrev_b32_e32 v23, 20, v23
	v_and_b32_e32 v42, 0x80000000, v42
	v_lshl_add_u32 v22, v22, 23, v43
	v_or3_b32 v42, v42, v22, v23
.LBB595_351:
	s_or_b64 exec, exec, s[10:11]
.LBB595_352:
	s_or_b64 exec, exec, s[8:9]
.LBB595_353:
	s_or_b64 exec, exec, s[2:3]
	v_lshrrev_b16_e32 v22, 8, v24
	v_cmp_ne_u16_e32 vcc, 0, v22
	v_mov_b32_e32 v23, 0
	v_mov_b32_e32 v43, 0
	s_and_saveexec_b64 s[2:3], vcc
	s_cbranch_execz .LBB595_359
; %bb.354:
	s_movk_i32 s8, 0x80
	v_cmp_ne_u16_e32 vcc, s8, v22
	v_bfrev_b32_e32 v43, 1
	s_and_saveexec_b64 s[8:9], vcc
	s_cbranch_execz .LBB595_358
; %bb.355:
	s_movk_i32 s10, 0x7f
	v_and_b32_e32 v44, 0x7f, v22
	v_cmp_ne_u32_e32 vcc, s10, v44
	v_mov_b32_e32 v43, 0x7f800001
	s_and_saveexec_b64 s[10:11], vcc
	s_cbranch_execz .LBB595_357
; %bb.356:
	v_and_b32_e32 v43, 7, v22
	v_ffbh_u32_e32 v51, v43
	v_min_u32_e32 v51, 32, v51
	v_subrev_u32_e32 v52, 28, v51
	v_lshlrev_b64 v[52:53], v52, v[22:23]
	v_lshrrev_b32_e32 v45, 3, v44
	v_sub_u32_e32 v22, 29, v51
	v_and_b32_e32 v51, 7, v52
	v_cmp_gt_u32_e32 vcc, 8, v44
	v_cndmask_b32_e32 v22, v45, v22, vcc
	v_cndmask_b32_e32 v43, v43, v51, vcc
	v_lshlrev_b32_e32 v44, 16, v24
	v_bfrev_b32_e32 v45, 60
	v_lshlrev_b32_e32 v43, 20, v43
	v_and_b32_e32 v44, 0x80000000, v44
	v_lshl_add_u32 v22, v22, 23, v45
	v_or3_b32 v43, v44, v22, v43
.LBB595_357:
	s_or_b64 exec, exec, s[10:11]
.LBB595_358:
	s_or_b64 exec, exec, s[8:9]
.LBB595_359:
	s_or_b64 exec, exec, s[2:3]
	s_movk_i32 s2, 0xff
	v_and_b32_sdwa v44, v24, s2 dst_sel:DWORD dst_unused:UNUSED_PAD src0_sel:WORD_1 src1_sel:DWORD
	v_lshrrev_b32_e32 v22, 16, v24
	v_cmp_ne_u16_e32 vcc, 0, v44
	s_and_saveexec_b64 s[2:3], vcc
	s_cbranch_execz .LBB595_365
; %bb.360:
	s_movk_i32 s8, 0x80
	v_cmp_ne_u16_e32 vcc, s8, v44
	v_bfrev_b32_e32 v23, 1
	s_and_saveexec_b64 s[8:9], vcc
	s_cbranch_execz .LBB595_364
; %bb.361:
	v_bfe_u32 v44, v24, 16, 7
	s_movk_i32 s10, 0x7f
	v_cmp_ne_u32_e32 vcc, s10, v44
	v_mov_b32_e32 v23, 0x7f800001
	s_and_saveexec_b64 s[10:11], vcc
	s_cbranch_execz .LBB595_363
; %bb.362:
	v_and_b32_e32 v45, 7, v22
	v_ffbh_u32_e32 v23, v45
	v_min_u32_e32 v52, 32, v23
	v_subrev_u32_e32 v23, 28, v52
	v_lshlrev_b64 v[22:23], v23, v[22:23]
	v_lshrrev_b32_e32 v51, 3, v44
	v_sub_u32_e32 v23, 29, v52
	v_and_b32_e32 v22, 7, v22
	v_cmp_gt_u32_e32 vcc, 8, v44
	v_mov_b32_e32 v44, 24
	v_cndmask_b32_e32 v23, v51, v23, vcc
	v_cndmask_b32_e32 v22, v45, v22, vcc
	v_lshlrev_b32_sdwa v44, v44, v24 dst_sel:DWORD dst_unused:UNUSED_PAD src0_sel:DWORD src1_sel:WORD_1
	v_bfrev_b32_e32 v45, 60
	v_lshlrev_b32_e32 v22, 20, v22
	v_and_b32_e32 v44, 0x80000000, v44
	v_lshl_add_u32 v23, v23, 23, v45
	v_or3_b32 v23, v44, v23, v22
.LBB595_363:
	s_or_b64 exec, exec, s[10:11]
.LBB595_364:
	s_or_b64 exec, exec, s[8:9]
.LBB595_365:
	s_or_b64 exec, exec, s[2:3]
	s_mov_b32 s2, 0xffffff
	v_cmp_lt_u32_e32 vcc, s2, v24
	v_mov_b32_e32 v44, 0
	v_mov_b32_e32 v45, 0
	s_and_saveexec_b64 s[2:3], vcc
	s_cbranch_execz .LBB595_371
; %bb.366:
	v_lshrrev_b32_e32 v22, 24, v24
	s_movk_i32 s8, 0x80
	v_cmp_ne_u32_e32 vcc, s8, v22
	v_bfrev_b32_e32 v45, 1
	s_and_saveexec_b64 s[8:9], vcc
	s_cbranch_execz .LBB595_370
; %bb.367:
	v_bfe_u32 v24, v24, 24, 7
	s_movk_i32 s10, 0x7f
	v_cmp_ne_u32_e32 vcc, s10, v24
	v_mov_b32_e32 v45, 0x7f800001
	s_and_saveexec_b64 s[10:11], vcc
	s_cbranch_execz .LBB595_369
; %bb.368:
	v_and_b32_e32 v45, 7, v22
	v_ffbh_u32_e32 v52, v45
	v_min_u32_e32 v54, 32, v52
	v_subrev_u32_e32 v52, 28, v54
	v_lshlrev_b64 v[52:53], v52, v[22:23]
	v_lshrrev_b32_e32 v51, 3, v24
	v_sub_u32_e32 v53, 29, v54
	v_and_b32_e32 v52, 7, v52
	v_cmp_gt_u32_e32 vcc, 8, v24
	v_cndmask_b32_e32 v24, v51, v53, vcc
	v_cndmask_b32_e32 v45, v45, v52, vcc
	v_lshlrev_b32_e32 v22, 24, v22
	v_bfrev_b32_e32 v51, 60
	v_lshlrev_b32_e32 v45, 20, v45
	v_and_b32_e32 v22, 0x80000000, v22
	v_lshl_add_u32 v24, v24, 23, v51
	v_or3_b32 v45, v22, v24, v45
.LBB595_369:
	s_or_b64 exec, exec, s[10:11]
.LBB595_370:
	s_or_b64 exec, exec, s[8:9]
.LBB595_371:
	s_or_b64 exec, exec, s[2:3]
	v_cmp_ne_u16_sdwa s[8:9], v25, v44 src0_sel:BYTE_0 src1_sel:DWORD
	s_and_saveexec_b64 s[2:3], s[8:9]
	s_cbranch_execz .LBB595_377
; %bb.372:
	s_movk_i32 s8, 0x80
	v_cmp_ne_u16_sdwa s[10:11], v25, s8 src0_sel:BYTE_0 src1_sel:DWORD
	v_bfrev_b32_e32 v44, 1
	s_and_saveexec_b64 s[8:9], s[10:11]
	s_cbranch_execz .LBB595_376
; %bb.373:
	s_movk_i32 s10, 0x7f
	v_and_b32_e32 v22, 0x7f, v25
	v_cmp_ne_u32_e32 vcc, s10, v22
	v_mov_b32_e32 v44, 0x7f800001
	s_and_saveexec_b64 s[10:11], vcc
	s_cbranch_execz .LBB595_375
; %bb.374:
	v_and_b32_e32 v44, 7, v25
	v_ffbh_u32_e32 v52, v44
	v_min_u32_e32 v54, 32, v52
	v_mov_b32_e32 v24, v25
	v_subrev_u32_e32 v52, 28, v54
	v_lshlrev_b64 v[52:53], v52, v[24:25]
	v_lshrrev_b32_e32 v51, 3, v22
	v_sub_u32_e32 v24, 29, v54
	v_and_b32_e32 v52, 7, v52
	v_cmp_gt_u32_e32 vcc, 8, v22
	v_cndmask_b32_e32 v22, v51, v24, vcc
	v_cndmask_b32_e32 v24, v44, v52, vcc
	v_lshlrev_b32_e32 v44, 24, v25
	v_bfrev_b32_e32 v51, 60
	v_lshlrev_b32_e32 v24, 20, v24
	v_and_b32_e32 v44, 0x80000000, v44
	v_lshl_add_u32 v22, v22, 23, v51
	v_or3_b32 v44, v44, v22, v24
.LBB595_375:
	s_or_b64 exec, exec, s[10:11]
.LBB595_376:
	s_or_b64 exec, exec, s[8:9]
.LBB595_377:
	s_or_b64 exec, exec, s[2:3]
	v_lshrrev_b16_e32 v22, 8, v25
	v_cmp_ne_u16_e32 vcc, 0, v22
	v_mov_b32_e32 v24, 0
	v_mov_b32_e32 v52, 0
	s_and_saveexec_b64 s[2:3], vcc
	s_cbranch_execz .LBB595_383
; %bb.378:
	s_movk_i32 s8, 0x80
	v_cmp_ne_u16_e32 vcc, s8, v22
	v_bfrev_b32_e32 v52, 1
	s_and_saveexec_b64 s[8:9], vcc
	s_cbranch_execz .LBB595_382
; %bb.379:
	s_movk_i32 s10, 0x7f
	v_and_b32_e32 v51, 0x7f, v22
	v_cmp_ne_u32_e32 vcc, s10, v51
	v_mov_b32_e32 v52, 0x7f800001
	s_and_saveexec_b64 s[10:11], vcc
	s_cbranch_execz .LBB595_381
; %bb.380:
	v_and_b32_e32 v54, 7, v22
	v_ffbh_u32_e32 v52, v54
	v_min_u32_e32 v56, 32, v52
	v_subrev_u32_e32 v52, 28, v56
	v_lshlrev_b64 v[52:53], v52, v[22:23]
	v_lshrrev_b32_e32 v55, 3, v51
	v_sub_u32_e32 v22, 29, v56
	v_and_b32_e32 v52, 7, v52
	v_cmp_gt_u32_e32 vcc, 8, v51
	v_cndmask_b32_e32 v22, v55, v22, vcc
	v_cndmask_b32_e32 v51, v54, v52, vcc
	v_lshlrev_b32_e32 v52, 16, v25
	v_bfrev_b32_e32 v53, 60
	v_lshlrev_b32_e32 v51, 20, v51
	v_and_b32_e32 v52, 0x80000000, v52
	v_lshl_add_u32 v22, v22, 23, v53
	v_or3_b32 v52, v52, v22, v51
.LBB595_381:
	s_or_b64 exec, exec, s[10:11]
.LBB595_382:
	s_or_b64 exec, exec, s[8:9]
.LBB595_383:
	s_or_b64 exec, exec, s[2:3]
	s_movk_i32 s2, 0xff
	v_and_b32_sdwa v51, v25, s2 dst_sel:DWORD dst_unused:UNUSED_PAD src0_sel:WORD_1 src1_sel:DWORD
	v_lshrrev_b32_e32 v22, 16, v25
	v_cmp_ne_u16_e32 vcc, 0, v51
	s_and_saveexec_b64 s[2:3], vcc
	s_cbranch_execz .LBB595_389
; %bb.384:
	s_movk_i32 s8, 0x80
	v_cmp_ne_u16_e32 vcc, s8, v51
	v_bfrev_b32_e32 v24, 1
	s_and_saveexec_b64 s[8:9], vcc
	s_cbranch_execz .LBB595_388
; %bb.385:
	v_bfe_u32 v51, v25, 16, 7
	s_movk_i32 s10, 0x7f
	v_cmp_ne_u32_e32 vcc, s10, v51
	v_mov_b32_e32 v24, 0x7f800001
	s_and_saveexec_b64 s[10:11], vcc
	s_cbranch_execz .LBB595_387
; %bb.386:
	v_and_b32_e32 v24, 7, v22
	v_ffbh_u32_e32 v54, v24
	v_min_u32_e32 v56, 32, v54
	v_subrev_u32_e32 v54, 28, v56
	v_lshlrev_b64 v[54:55], v54, v[22:23]
	v_lshrrev_b32_e32 v53, 3, v51
	v_sub_u32_e32 v22, 29, v56
	v_and_b32_e32 v54, 7, v54
	v_cmp_gt_u32_e32 vcc, 8, v51
	v_mov_b32_e32 v51, 24
	v_cndmask_b32_e32 v22, v53, v22, vcc
	v_cndmask_b32_e32 v24, v24, v54, vcc
	v_lshlrev_b32_sdwa v51, v51, v25 dst_sel:DWORD dst_unused:UNUSED_PAD src0_sel:DWORD src1_sel:WORD_1
	v_bfrev_b32_e32 v53, 60
	v_lshlrev_b32_e32 v24, 20, v24
	v_and_b32_e32 v51, 0x80000000, v51
	v_lshl_add_u32 v22, v22, 23, v53
	v_or3_b32 v24, v51, v22, v24
.LBB595_387:
	s_or_b64 exec, exec, s[10:11]
.LBB595_388:
	s_or_b64 exec, exec, s[8:9]
.LBB595_389:
	s_or_b64 exec, exec, s[2:3]
	s_mov_b32 s2, 0xffffff
	v_and_b32_e32 v51, 63, v0
	v_cmp_lt_u32_e32 vcc, s2, v25
	v_mov_b32_e32 v53, 0
	s_and_saveexec_b64 s[2:3], vcc
	s_cbranch_execz .LBB595_395
; %bb.390:
	v_lshrrev_b32_e32 v22, 24, v25
	s_movk_i32 s8, 0x80
	v_cmp_ne_u32_e32 vcc, s8, v22
	v_bfrev_b32_e32 v53, 1
	s_and_saveexec_b64 s[8:9], vcc
	s_cbranch_execz .LBB595_394
; %bb.391:
	v_bfe_u32 v25, v25, 24, 7
	s_movk_i32 s10, 0x7f
	v_cmp_ne_u32_e32 vcc, s10, v25
	v_mov_b32_e32 v53, 0x7f800001
	s_and_saveexec_b64 s[10:11], vcc
	s_cbranch_execz .LBB595_393
; %bb.392:
	v_and_b32_e32 v53, 7, v22
	v_ffbh_u32_e32 v54, v53
	v_min_u32_e32 v57, 32, v54
	v_subrev_u32_e32 v54, 28, v57
	v_lshlrev_b64 v[54:55], v54, v[22:23]
	v_lshrrev_b32_e32 v56, 3, v25
	v_sub_u32_e32 v55, 29, v57
	v_and_b32_e32 v54, 7, v54
	v_cmp_gt_u32_e32 vcc, 8, v25
	v_cndmask_b32_e32 v25, v56, v55, vcc
	v_cndmask_b32_e32 v53, v53, v54, vcc
	v_lshlrev_b32_e32 v22, 24, v22
	v_bfrev_b32_e32 v54, 60
	v_lshlrev_b32_e32 v53, 20, v53
	v_and_b32_e32 v22, 0x80000000, v22
	v_lshl_add_u32 v25, v25, 23, v54
	v_or3_b32 v53, v22, v25, v53
.LBB595_393:
	s_or_b64 exec, exec, s[10:11]
.LBB595_394:
	s_or_b64 exec, exec, s[8:9]
.LBB595_395:
	s_or_b64 exec, exec, s[2:3]
	v_cvt_pkrtz_f16_f32 v42, v42, v43
	v_cvt_pkrtz_f16_f32 v43, v23, v45
	s_load_dword s2, s[4:5], 0x1c
	s_mov_b32 s46, 0xff7fffff
	s_waitcnt lgkmcnt(0)
	v_mfma_f32_16x16x16f16 v[26:29], v[42:43], v[18:19], v[26:29]
	v_cvt_pkrtz_f16_f32 v18, v44, v52
	v_cvt_pkrtz_f16_f32 v19, v24, v53
	v_and_b32_e32 v24, 0xc0, v0
	v_mov_b32_e32 v22, s2
	v_add_u32_e32 v24, s20, v24
	v_mul_f32_e32 v54, s12, v22
	v_lshl_or_b32 v42, v1, 2, v24
	v_mfma_f32_16x16x16f16 v[18:21], v[18:19], v[20:21], v[26:29]
	v_pk_mul_f32 v[22:23], v[54:55], v[36:37] op_sel_hi:[0,1]
	v_pk_mul_f32 v[36:37], v[54:55], v[40:41] op_sel_hi:[0,1]
	;; [unrolled: 1-line block ×4, first 2 shown]
	v_mov_b32_e32 v43, 0xff7fffff
	v_cmp_gt_i32_e64 s[26:27], s33, v42
	v_pk_mul_f32 v[38:39], v[54:55], v[38:39] op_sel_hi:[0,1]
	s_nop 3
	v_pk_mul_f32 v[32:33], v[54:55], v[18:19] op_sel_hi:[0,1]
	v_or_b32_e32 v19, 1, v42
	v_cmp_gt_i32_e64 s[28:29], s33, v19
	v_cndmask_b32_e64 v18, v43, v30, s[26:27]
	v_cndmask_b32_e64 v19, v43, v31, s[28:29]
	v_pk_mul_f32 v[24:25], v[54:55], v[20:21] op_sel_hi:[0,1]
	v_max3_f32 v18, v18, s46, v19
	v_or_b32_e32 v19, 2, v42
	v_or_b32_e32 v20, 3, v42
	v_cmp_gt_i32_e64 s[30:31], s33, v19
	v_cmp_gt_i32_e64 s[34:35], s33, v20
	v_cndmask_b32_e64 v19, v43, v40, s[30:31]
	v_cndmask_b32_e64 v20, v43, v41, s[34:35]
	v_max3_f32 v18, v18, v19, v20
	v_or_b32_e32 v19, 16, v42
	v_or_b32_e32 v20, 17, v42
	v_cmp_gt_i32_e64 s[36:37], s33, v19
	v_cmp_gt_i32_e64 s[38:39], s33, v20
	v_cndmask_b32_e64 v19, v43, v38, s[36:37]
	v_cndmask_b32_e64 v20, v43, v39, s[38:39]
	;; [unrolled: 7-line block ×3, first 2 shown]
	v_max3_f32 v18, v18, v19, v20
	v_or_b32_e32 v19, 32, v42
	v_or_b32_e32 v20, 33, v42
	v_pk_mul_f32 v[34:35], v[54:55], v[34:35] op_sel_hi:[0,1]
	v_cmp_gt_i32_e64 s[16:17], s33, v19
	v_cmp_gt_i32_e64 s[18:19], s33, v20
	v_cndmask_b32_e64 v19, v43, v34, s[16:17]
	v_cndmask_b32_e64 v20, v43, v35, s[18:19]
	v_max3_f32 v18, v18, v19, v20
	v_or_b32_e32 v19, 34, v42
	v_or_b32_e32 v20, 35, v42
	v_cmp_gt_i32_e64 s[12:13], s33, v19
	v_cmp_gt_i32_e64 s[14:15], s33, v20
	v_cndmask_b32_e64 v19, v43, v22, s[12:13]
	v_cndmask_b32_e64 v20, v43, v23, s[14:15]
	v_max3_f32 v18, v18, v19, v20
	v_or_b32_e32 v19, 48, v42
	v_or_b32_e32 v20, 49, v42
	;; [unrolled: 7-line block ×3, first 2 shown]
	v_cmp_gt_i32_e32 vcc, s33, v19
	v_cmp_gt_i32_e64 s[2:3], s33, v20
	v_cndmask_b32_e32 v19, v43, v24, vcc
	v_cndmask_b32_e64 v20, v43, v25, s[2:3]
	v_max3_f32 v18, v18, v19, v20
	v_mbcnt_lo_u32_b32 v19, -1, 0
	v_mbcnt_hi_u32_b32 v19, -1, v19
	v_and_b32_e32 v20, 64, v19
	v_add_u32_e32 v20, 64, v20
	v_xor_b32_e32 v21, 32, v19
	v_cmp_lt_i32_e64 s[40:41], v21, v20
	v_cndmask_b32_e64 v21, v19, v21, s[40:41]
	v_lshlrev_b32_e32 v43, 2, v21
	ds_bpermute_b32 v21, v43, v18
	s_barrier
	s_waitcnt lgkmcnt(0)
	v_max_f32_e32 v21, v21, v21
	v_max_f32_e32 v18, v18, v21
	v_xor_b32_e32 v21, 16, v19
	v_cmp_lt_i32_e64 s[40:41], v21, v20
	v_cndmask_b32_e64 v19, v19, v21, s[40:41]
	v_lshlrev_b32_e32 v44, 2, v19
	ds_bpermute_b32 v19, v44, v18
	s_waitcnt lgkmcnt(0)
	v_max_f32_e32 v19, v19, v19
	v_max_f32_e32 v42, v18, v19
	v_sub_f32_e32 v21, v40, v42
	v_sub_f32_e32 v26, v41, v42
	v_mul_f32_e32 v21, 0x3fb8aa3b, v21
	v_mul_f32_e32 v26, 0x3fb8aa3b, v26
	v_sub_f32_e32 v18, v30, v42
	v_exp_f32_e32 v21, v21
	v_exp_f32_e32 v26, v26
	v_mul_f32_e32 v18, 0x3fb8aa3b, v18
	v_sub_f32_e32 v19, v31, v42
	v_exp_f32_e32 v18, v18
	v_mul_f32_e32 v19, 0x3fb8aa3b, v19
	v_exp_f32_e32 v19, v19
	v_cndmask_b32_e64 v28, 0, v21, s[30:31]
	v_cndmask_b32_e64 v29, 0, v26, s[34:35]
	v_sub_f32_e32 v21, v38, v42
	v_sub_f32_e32 v26, v39, v42
	v_mul_f32_e32 v21, 0x3fb8aa3b, v21
	v_mul_f32_e32 v26, 0x3fb8aa3b, v26
	v_cndmask_b32_e64 v18, 0, v18, s[26:27]
	v_exp_f32_e32 v21, v21
	v_exp_f32_e32 v26, v26
	v_add_f32_e32 v20, 0, v18
	v_cndmask_b32_e64 v19, 0, v19, s[28:29]
	v_add_f32_e32 v20, v20, v19
	v_add_f32_e32 v20, v20, v28
	;; [unrolled: 1-line block ×3, first 2 shown]
	v_cndmask_b32_e64 v20, 0, v21, s[36:37]
	v_cndmask_b32_e64 v21, 0, v26, s[38:39]
	v_sub_f32_e32 v26, v36, v42
	v_mul_f32_e32 v26, 0x3fb8aa3b, v26
	v_exp_f32_e32 v26, v26
	v_sub_f32_e32 v30, v37, v42
	v_add_f32_e32 v27, v27, v20
	v_mul_f32_e32 v30, 0x3fb8aa3b, v30
	v_exp_f32_e32 v31, v30
	v_add_f32_e32 v27, v27, v21
	v_cndmask_b32_e64 v30, 0, v26, s[20:21]
	v_add_f32_e32 v26, v27, v30
	v_sub_f32_e32 v27, v34, v42
	v_mul_f32_e32 v27, 0x3fb8aa3b, v27
	v_sub_f32_e32 v34, v35, v42
	v_exp_f32_e32 v27, v27
	v_mul_f32_e32 v34, 0x3fb8aa3b, v34
	v_sub_f32_e32 v22, v22, v42
	v_exp_f32_e32 v34, v34
	;; [unrolled: 3-line block ×3, first 2 shown]
	v_mul_f32_e32 v23, 0x3fb8aa3b, v23
	v_cndmask_b32_e64 v31, 0, v31, s[22:23]
	v_exp_f32_e32 v23, v23
	v_add_f32_e32 v35, v26, v31
	v_cndmask_b32_e64 v26, 0, v27, s[16:17]
	v_add_f32_e32 v35, v35, v26
	v_cndmask_b32_e64 v27, 0, v34, s[18:19]
	;; [unrolled: 2-line block ×4, first 2 shown]
	v_sub_f32_e32 v23, v32, v42
	v_mul_f32_e32 v23, 0x3fb8aa3b, v23
	v_sub_f32_e32 v32, v33, v42
	v_exp_f32_e32 v23, v23
	v_mul_f32_e32 v32, 0x3fb8aa3b, v32
	v_sub_f32_e32 v24, v24, v42
	v_exp_f32_e32 v32, v32
	;; [unrolled: 3-line block ×3, first 2 shown]
	v_mul_f32_e32 v25, 0x3fb8aa3b, v25
	v_exp_f32_e32 v25, v25
	v_add_f32_e32 v33, v22, v35
	v_cndmask_b32_e64 v22, 0, v23, s[8:9]
	v_add_f32_e32 v33, v33, v22
	v_cndmask_b32_e64 v23, 0, v32, s[10:11]
	v_add_f32_e32 v32, v33, v23
	v_cndmask_b32_e32 v24, 0, v24, vcc
	v_add_f32_e32 v32, v32, v24
	v_cndmask_b32_e64 v25, 0, v25, s[2:3]
	v_add_f32_e32 v32, v32, v25
	ds_bpermute_b32 v33, v43, v32
	v_cmp_gt_u32_e32 vcc, 16, v51
	s_waitcnt lgkmcnt(0)
	v_add_f32_e32 v33, v32, v33
	ds_bpermute_b32 v36, v44, v33
	v_lshlrev_b32_e32 v32, 2, v49
	s_and_saveexec_b64 s[2:3], vcc
	s_cbranch_execz .LBB595_397
; %bb.396:
	s_waitcnt lgkmcnt(0)
	v_add_f32_e32 v33, v33, v36
	v_lshl_or_b32 v36, v50, 6, v32
	ds_write2st64_b32 v36, v42, v33 offset1:1
.LBB595_397:
	s_or_b64 exec, exec, s[2:3]
	s_waitcnt lgkmcnt(0)
	s_barrier
	ds_read2_b32 v[36:37], v32 offset1:16
	ds_read2_b32 v[38:39], v32 offset0:32 offset1:48
	ds_read2_b32 v[40:41], v32 offset0:64 offset1:80
	;; [unrolled: 1-line block ×3, first 2 shown]
	s_waitcnt lgkmcnt(0)
	v_max3_f32 v33, v36, s46, v37
	v_max3_f32 v33, v33, v38, v39
	v_sub_f32_e32 v36, v36, v33
	v_mul_f32_e32 v36, 0x3fb8aa3b, v36
	v_exp_f32_e32 v44, v36
	v_sub_f32_e32 v36, v37, v33
	v_mul_f32_e32 v36, 0x3fb8aa3b, v36
	v_exp_f32_e32 v37, v36
	v_sub_f32_e32 v36, v38, v33
	v_mul_f32_e32 v36, 0x3fb8aa3b, v36
	v_sub_f32_e32 v32, v39, v33
	v_exp_f32_e32 v38, v36
	v_mul_f32_e32 v32, 0x3fb8aa3b, v32
	v_exp_f32_e32 v39, v32
	v_fma_f32 v36, v44, v40, 0
	v_fmac_f32_e32 v36, v37, v41
	v_fmac_f32_e32 v36, v38, v42
	;; [unrolled: 1-line block ×3, first 2 shown]
	v_add_f32_e32 v40, 0x358637bd, v36
	v_div_scale_f32 v41, s[2:3], v40, v40, 1.0
	v_rcp_f32_e32 v42, v41
	s_barrier
	s_mul_i32 s12, s45, 6
	v_fma_f32 v43, -v41, v42, 1.0
	v_fmac_f32_e32 v42, v43, v42
	v_div_scale_f32 v43, vcc, 1.0, v40, 1.0
	v_mul_f32_e32 v45, v43, v42
	v_fma_f32 v51, -v41, v45, v43
	v_fmac_f32_e32 v45, v51, v42
	v_fma_f32 v41, -v41, v45, v43
	v_div_fmas_f32 v41, v41, v42, v45
	v_cmp_eq_u32_e32 vcc, 1, v50
	v_cndmask_b32_e32 v37, v44, v37, vcc
	v_cmp_eq_u32_e32 vcc, 2, v50
	v_cndmask_b32_e32 v37, v37, v38, vcc
	v_cmp_eq_u32_e32 vcc, 3, v50
	v_div_fixup_f32 v40, v41, v40, 1.0
	v_cndmask_b32_e32 v37, v37, v39, vcc
	v_mul_f32_e32 v38, v37, v40
	v_pk_mul_f32 v[28:29], v[38:39], v[28:29] op_sel_hi:[0,1]
	v_pk_mul_f32 v[18:19], v[38:39], v[18:19] op_sel_hi:[0,1]
	v_cvt_f16_f32_e32 v18, v18
	v_cvt_f16_f32_e32 v19, v19
	;; [unrolled: 1-line block ×4, first 2 shown]
	v_pk_mul_f32 v[20:21], v[38:39], v[20:21] op_sel_hi:[0,1]
	v_pack_b32_f16 v18, v18, v19
	v_cvt_f16_f32_e32 v20, v20
	v_pack_b32_f16 v19, v28, v29
	v_pk_mul_f32 v[28:29], v[38:39], v[30:31] op_sel_hi:[0,1]
	v_cvt_f16_f32_e32 v21, v21
	v_cvt_f16_f32_e32 v30, v28
	v_cvt_f16_f32_e32 v29, v29
	v_lshlrev_b32_e32 v37, 3, v1
	v_lshlrev_b32_e32 v28, 11, v50
	v_or3_b32 v28, v28, v48, v37
	v_pack_b32_f16 v20, v20, v21
	v_pack_b32_f16 v21, v30, v29
	ds_write2st64_b64 v28, v[18:19], v[20:21] offset1:1
	v_pk_mul_f32 v[18:19], v[38:39], v[34:35] op_sel_hi:[0,1]
	v_pk_mul_f32 v[20:21], v[38:39], v[26:27] op_sel_hi:[0,1]
	v_cvt_f16_f32_e32 v26, v20
	v_cvt_f16_f32_e32 v27, v21
	;; [unrolled: 1-line block ×4, first 2 shown]
	v_pk_mul_f32 v[18:19], v[38:39], v[24:25] op_sel_hi:[0,1]
	v_pk_mul_f32 v[20:21], v[38:39], v[22:23] op_sel_hi:[0,1]
	v_cvt_f16_f32_e32 v20, v20
	v_cvt_f16_f32_e32 v21, v21
	;; [unrolled: 1-line block ×4, first 2 shown]
	v_mov_b32_e32 v32, 0
	v_pack_b32_f16 v18, v26, v27
	v_pack_b32_f16 v19, v29, v30
	;; [unrolled: 1-line block ×4, first 2 shown]
	v_cmp_gt_u32_e32 vcc, 6, v0
	ds_write2st64_b64 v28, v[18:19], v[20:21] offset0:2 offset1:3
	s_and_saveexec_b64 s[2:3], vcc
	s_cbranch_execz .LBB595_399
; %bb.398:
	v_add_co_u32_e32 v20, vcc, s25, v49
	v_addc_co_u32_e64 v21, s[14:15], 0, 0, vcc
	v_mov_b32_e32 v18, s12
	v_mov_b32_e32 v19, 0
	v_mad_u64_u32 v[20:21], s[14:15], s6, v18, v[20:21]
	v_mov_b32_e32 v18, s24
	s_load_dwordx4 s[8:11], s[4:5], 0x58
	s_mul_i32 s7, s7, s12
	v_mad_u64_u32 v[18:19], s[14:15], v20, s44, v[18:19]
	v_add_u32_e32 v21, s7, v21
	v_mov_b32_e32 v20, v19
	v_mad_u64_u32 v[20:21], s[14:15], v21, s44, v[20:21]
	v_mov_b32_e32 v19, v20
	v_lshlrev_b64 v[18:19], 2, v[18:19]
	s_waitcnt lgkmcnt(0)
	v_mov_b32_e32 v21, s11
	v_add_co_u32_e32 v20, vcc, s10, v18
	v_addc_co_u32_e32 v21, vcc, v21, v19, vcc
	global_store_dword v[20:21], v33, off
	v_mov_b32_e32 v20, s9
	v_add_co_u32_e32 v18, vcc, s8, v18
	v_addc_co_u32_e32 v19, vcc, v20, v19, vcc
	global_store_dword v[18:19], v36, off
.LBB595_399:
	s_or_b64 exec, exec, s[2:3]
	v_mov_b32_e32 v19, 0
	s_waitcnt vmcnt(3)
	v_cmp_ne_u16_sdwa s[8:9], v14, v19 src0_sel:BYTE_0 src1_sel:DWORD
	s_waitcnt lgkmcnt(0)
	s_barrier
	s_and_saveexec_b64 s[2:3], s[8:9]
	s_cbranch_execz .LBB595_405
; %bb.400:
	s_movk_i32 s7, 0x80
	v_cmp_ne_u16_sdwa s[10:11], v14, s7 src0_sel:BYTE_0 src1_sel:DWORD
	v_bfrev_b32_e32 v32, 1
	s_and_saveexec_b64 s[8:9], s[10:11]
	s_cbranch_execz .LBB595_404
; %bb.401:
	s_movk_i32 s7, 0x7f
	v_and_b32_e32 v18, 0x7f, v14
	v_cmp_ne_u32_e32 vcc, s7, v18
	v_mov_b32_e32 v32, 0x7f800001
	s_and_saveexec_b64 s[10:11], vcc
	s_cbranch_execz .LBB595_403
; %bb.402:
	v_and_b32_e32 v22, 7, v14
	v_ffbh_u32_e32 v20, v22
	v_min_u32_e32 v24, 32, v20
	v_subrev_u32_e32 v20, 28, v24
	v_lshlrev_b64 v[20:21], v20, v[14:15]
	v_lshrrev_b32_e32 v23, 3, v18
	v_sub_u32_e32 v21, 29, v24
	v_and_b32_e32 v20, 7, v20
	v_cmp_gt_u32_e32 vcc, 8, v18
	v_cndmask_b32_e32 v18, v23, v21, vcc
	v_cndmask_b32_e32 v20, v22, v20, vcc
	v_lshlrev_b32_e32 v21, 24, v14
	v_bfrev_b32_e32 v22, 60
	v_lshlrev_b32_e32 v20, 20, v20
	v_and_b32_e32 v21, 0x80000000, v21
	v_lshl_add_u32 v18, v18, 23, v22
	v_or3_b32 v32, v21, v18, v20
.LBB595_403:
	s_or_b64 exec, exec, s[10:11]
.LBB595_404:
	s_or_b64 exec, exec, s[8:9]
.LBB595_405:
	s_or_b64 exec, exec, s[2:3]
	v_lshrrev_b16_e32 v18, 8, v14
	v_cmp_ne_u16_e32 vcc, 0, v18
	v_mov_b32_e32 v20, 0
	s_and_saveexec_b64 s[2:3], vcc
	s_cbranch_execz .LBB595_411
; %bb.406:
	s_movk_i32 s7, 0x80
	v_cmp_ne_u16_e32 vcc, s7, v18
	v_bfrev_b32_e32 v20, 1
	s_and_saveexec_b64 s[8:9], vcc
	s_cbranch_execz .LBB595_410
; %bb.407:
	s_movk_i32 s7, 0x7f
	v_and_b32_e32 v21, 0x7f, v18
	v_cmp_ne_u32_e32 vcc, s7, v21
	v_mov_b32_e32 v20, 0x7f800001
	s_and_saveexec_b64 s[10:11], vcc
	s_cbranch_execz .LBB595_409
; %bb.408:
	v_and_b32_e32 v20, 7, v18
	v_ffbh_u32_e32 v22, v20
	v_min_u32_e32 v25, 32, v22
	v_subrev_u32_e32 v22, 28, v25
	v_lshlrev_b64 v[22:23], v22, v[18:19]
	v_lshrrev_b32_e32 v24, 3, v21
	v_sub_u32_e32 v18, 29, v25
	v_and_b32_e32 v22, 7, v22
	v_cmp_gt_u32_e32 vcc, 8, v21
	v_cndmask_b32_e32 v18, v24, v18, vcc
	v_cndmask_b32_e32 v20, v20, v22, vcc
	v_lshlrev_b32_e32 v21, 16, v14
	v_bfrev_b32_e32 v22, 60
	v_lshlrev_b32_e32 v20, 20, v20
	v_and_b32_e32 v21, 0x80000000, v21
	v_lshl_add_u32 v18, v18, 23, v22
	v_or3_b32 v20, v21, v18, v20
.LBB595_409:
	s_or_b64 exec, exec, s[10:11]
.LBB595_410:
	s_or_b64 exec, exec, s[8:9]
.LBB595_411:
	s_or_b64 exec, exec, s[2:3]
	s_movk_i32 s2, 0xff
	v_and_b32_sdwa v21, v14, s2 dst_sel:DWORD dst_unused:UNUSED_PAD src0_sel:WORD_1 src1_sel:DWORD
	v_lshrrev_b32_e32 v18, 16, v14
	v_cmp_ne_u16_e32 vcc, 0, v21
	s_and_saveexec_b64 s[2:3], vcc
	s_cbranch_execz .LBB595_417
; %bb.412:
	s_movk_i32 s7, 0x80
	v_cmp_ne_u16_e32 vcc, s7, v21
	v_bfrev_b32_e32 v19, 1
	s_and_saveexec_b64 s[8:9], vcc
	s_cbranch_execz .LBB595_416
; %bb.413:
	v_bfe_u32 v21, v14, 16, 7
	s_movk_i32 s7, 0x7f
	v_cmp_ne_u32_e32 vcc, s7, v21
	v_mov_b32_e32 v19, 0x7f800001
	s_and_saveexec_b64 s[10:11], vcc
	s_cbranch_execz .LBB595_415
; %bb.414:
	v_and_b32_e32 v22, 7, v18
	v_ffbh_u32_e32 v19, v22
	v_min_u32_e32 v24, 32, v19
	v_subrev_u32_e32 v19, 28, v24
	v_lshlrev_b64 v[18:19], v19, v[18:19]
	v_lshrrev_b32_e32 v23, 3, v21
	v_sub_u32_e32 v19, 29, v24
	v_and_b32_e32 v18, 7, v18
	v_cmp_gt_u32_e32 vcc, 8, v21
	v_mov_b32_e32 v21, 24
	v_cndmask_b32_e32 v19, v23, v19, vcc
	v_cndmask_b32_e32 v18, v22, v18, vcc
	v_lshlrev_b32_sdwa v21, v21, v14 dst_sel:DWORD dst_unused:UNUSED_PAD src0_sel:DWORD src1_sel:WORD_1
	v_bfrev_b32_e32 v22, 60
	v_lshlrev_b32_e32 v18, 20, v18
	v_and_b32_e32 v21, 0x80000000, v21
	v_lshl_add_u32 v19, v19, 23, v22
	v_or3_b32 v19, v21, v19, v18
.LBB595_415:
	s_or_b64 exec, exec, s[10:11]
.LBB595_416:
	s_or_b64 exec, exec, s[8:9]
.LBB595_417:
	s_or_b64 exec, exec, s[2:3]
	s_mov_b32 s2, 0xffffff
	v_cmp_lt_u32_e32 vcc, s2, v14
	v_mov_b32_e32 v21, 0
	v_mov_b32_e32 v22, 0
	s_and_saveexec_b64 s[2:3], vcc
	s_cbranch_execz .LBB595_423
; %bb.418:
	v_lshrrev_b32_e32 v18, 24, v14
	s_movk_i32 s7, 0x80
	v_cmp_ne_u32_e32 vcc, s7, v18
	v_bfrev_b32_e32 v22, 1
	s_and_saveexec_b64 s[8:9], vcc
	s_cbranch_execz .LBB595_422
; %bb.419:
	v_bfe_u32 v14, v14, 24, 7
	s_movk_i32 s7, 0x7f
	v_cmp_ne_u32_e32 vcc, s7, v14
	v_mov_b32_e32 v22, 0x7f800001
	s_and_saveexec_b64 s[10:11], vcc
	s_cbranch_execz .LBB595_421
; %bb.420:
	v_and_b32_e32 v24, 7, v18
	v_ffbh_u32_e32 v22, v24
	v_min_u32_e32 v26, 32, v22
	v_subrev_u32_e32 v22, 28, v26
	v_lshlrev_b64 v[22:23], v22, v[18:19]
	v_lshrrev_b32_e32 v25, 3, v14
	v_sub_u32_e32 v23, 29, v26
	v_and_b32_e32 v22, 7, v22
	v_cmp_gt_u32_e32 vcc, 8, v14
	v_cndmask_b32_e32 v14, v25, v23, vcc
	v_cndmask_b32_e32 v22, v24, v22, vcc
	v_lshlrev_b32_e32 v18, 24, v18
	v_bfrev_b32_e32 v23, 60
	v_lshlrev_b32_e32 v22, 20, v22
	v_and_b32_e32 v18, 0x80000000, v18
	v_lshl_add_u32 v14, v14, 23, v23
	v_or3_b32 v22, v18, v14, v22
.LBB595_421:
	s_or_b64 exec, exec, s[10:11]
.LBB595_422:
	s_or_b64 exec, exec, s[8:9]
.LBB595_423:
	s_or_b64 exec, exec, s[2:3]
	v_cmp_ne_u16_sdwa s[8:9], v15, v21 src0_sel:BYTE_0 src1_sel:DWORD
	s_and_saveexec_b64 s[2:3], s[8:9]
	s_cbranch_execz .LBB595_429
; %bb.424:
	s_movk_i32 s7, 0x80
	v_cmp_ne_u16_sdwa s[10:11], v15, s7 src0_sel:BYTE_0 src1_sel:DWORD
	v_bfrev_b32_e32 v21, 1
	s_and_saveexec_b64 s[8:9], s[10:11]
	s_cbranch_execz .LBB595_428
; %bb.425:
	s_movk_i32 s7, 0x7f
	v_and_b32_e32 v14, 0x7f, v15
	v_cmp_ne_u32_e32 vcc, s7, v14
	v_mov_b32_e32 v21, 0x7f800001
	s_and_saveexec_b64 s[10:11], vcc
	s_cbranch_execz .LBB595_427
; %bb.426:
	v_and_b32_e32 v21, 7, v15
	v_ffbh_u32_e32 v24, v21
	v_min_u32_e32 v26, 32, v24
	v_mov_b32_e32 v18, v15
	v_subrev_u32_e32 v24, 28, v26
	v_lshlrev_b64 v[24:25], v24, v[18:19]
	v_lshrrev_b32_e32 v23, 3, v14
	v_sub_u32_e32 v18, 29, v26
	v_and_b32_e32 v24, 7, v24
	v_cmp_gt_u32_e32 vcc, 8, v14
	v_cndmask_b32_e32 v14, v23, v18, vcc
	v_cndmask_b32_e32 v18, v21, v24, vcc
	v_lshlrev_b32_e32 v21, 24, v15
	v_bfrev_b32_e32 v23, 60
	v_lshlrev_b32_e32 v18, 20, v18
	v_and_b32_e32 v21, 0x80000000, v21
	v_lshl_add_u32 v14, v14, 23, v23
	v_or3_b32 v21, v21, v14, v18
.LBB595_427:
	s_or_b64 exec, exec, s[10:11]
.LBB595_428:
	s_or_b64 exec, exec, s[8:9]
.LBB595_429:
	s_or_b64 exec, exec, s[2:3]
	v_lshrrev_b16_e32 v14, 8, v15
	v_cmp_ne_u16_e32 vcc, 0, v14
	v_mov_b32_e32 v18, 0
	v_mov_b32_e32 v24, 0
	s_and_saveexec_b64 s[2:3], vcc
	s_cbranch_execz .LBB595_435
; %bb.430:
	s_movk_i32 s7, 0x80
	v_cmp_ne_u16_e32 vcc, s7, v14
	v_bfrev_b32_e32 v24, 1
	s_and_saveexec_b64 s[8:9], vcc
	s_cbranch_execz .LBB595_434
; %bb.431:
	s_movk_i32 s7, 0x7f
	v_and_b32_e32 v23, 0x7f, v14
	v_cmp_ne_u32_e32 vcc, s7, v23
	v_mov_b32_e32 v24, 0x7f800001
	s_and_saveexec_b64 s[10:11], vcc
	s_cbranch_execz .LBB595_433
; %bb.432:
	v_and_b32_e32 v26, 7, v14
	v_ffbh_u32_e32 v24, v26
	v_min_u32_e32 v29, 32, v24
	v_subrev_u32_e32 v24, 28, v29
	v_lshlrev_b64 v[24:25], v24, v[14:15]
	v_lshrrev_b32_e32 v27, 3, v23
	v_sub_u32_e32 v14, 29, v29
	v_and_b32_e32 v24, 7, v24
	v_cmp_gt_u32_e32 vcc, 8, v23
	v_cndmask_b32_e32 v14, v27, v14, vcc
	v_cndmask_b32_e32 v23, v26, v24, vcc
	v_lshlrev_b32_e32 v24, 16, v15
	v_bfrev_b32_e32 v25, 60
	v_lshlrev_b32_e32 v23, 20, v23
	v_and_b32_e32 v24, 0x80000000, v24
	v_lshl_add_u32 v14, v14, 23, v25
	v_or3_b32 v24, v24, v14, v23
.LBB595_433:
	s_or_b64 exec, exec, s[10:11]
.LBB595_434:
	s_or_b64 exec, exec, s[8:9]
.LBB595_435:
	s_or_b64 exec, exec, s[2:3]
	s_movk_i32 s2, 0xff
	v_and_b32_sdwa v23, v15, s2 dst_sel:DWORD dst_unused:UNUSED_PAD src0_sel:WORD_1 src1_sel:DWORD
	v_lshrrev_b32_e32 v14, 16, v15
	v_cmp_ne_u16_e32 vcc, 0, v23
	s_and_saveexec_b64 s[2:3], vcc
	s_cbranch_execz .LBB595_441
; %bb.436:
	s_movk_i32 s7, 0x80
	v_cmp_ne_u16_e32 vcc, s7, v23
	v_bfrev_b32_e32 v18, 1
	s_and_saveexec_b64 s[8:9], vcc
	s_cbranch_execz .LBB595_440
; %bb.437:
	v_bfe_u32 v23, v15, 16, 7
	s_movk_i32 s7, 0x7f
	v_cmp_ne_u32_e32 vcc, s7, v23
	v_mov_b32_e32 v18, 0x7f800001
	s_and_saveexec_b64 s[10:11], vcc
	s_cbranch_execz .LBB595_439
; %bb.438:
	v_and_b32_e32 v18, 7, v14
	v_ffbh_u32_e32 v26, v18
	v_min_u32_e32 v29, 32, v26
	v_subrev_u32_e32 v26, 28, v29
	v_lshlrev_b64 v[26:27], v26, v[14:15]
	v_lshrrev_b32_e32 v25, 3, v23
	v_sub_u32_e32 v14, 29, v29
	v_and_b32_e32 v26, 7, v26
	v_cmp_gt_u32_e32 vcc, 8, v23
	v_mov_b32_e32 v23, 24
	v_cndmask_b32_e32 v14, v25, v14, vcc
	v_cndmask_b32_e32 v18, v18, v26, vcc
	v_lshlrev_b32_sdwa v23, v23, v15 dst_sel:DWORD dst_unused:UNUSED_PAD src0_sel:DWORD src1_sel:WORD_1
	v_bfrev_b32_e32 v25, 60
	v_lshlrev_b32_e32 v18, 20, v18
	v_and_b32_e32 v23, 0x80000000, v23
	v_lshl_add_u32 v14, v14, 23, v25
	v_or3_b32 v18, v23, v14, v18
.LBB595_439:
	s_or_b64 exec, exec, s[10:11]
.LBB595_440:
	s_or_b64 exec, exec, s[8:9]
.LBB595_441:
	s_or_b64 exec, exec, s[2:3]
	s_mov_b32 s2, 0xffffff
	v_cmp_lt_u32_e32 vcc, s2, v15
	v_mov_b32_e32 v23, 0
	v_mov_b32_e32 v25, 0
	s_and_saveexec_b64 s[2:3], vcc
	s_cbranch_execz .LBB595_447
; %bb.442:
	v_lshrrev_b32_e32 v14, 24, v15
	s_movk_i32 s7, 0x80
	v_cmp_ne_u32_e32 vcc, s7, v14
	v_bfrev_b32_e32 v25, 1
	s_and_saveexec_b64 s[8:9], vcc
	s_cbranch_execz .LBB595_446
; %bb.443:
	v_bfe_u32 v15, v15, 24, 7
	s_movk_i32 s7, 0x7f
	v_cmp_ne_u32_e32 vcc, s7, v15
	v_mov_b32_e32 v25, 0x7f800001
	s_and_saveexec_b64 s[10:11], vcc
	s_cbranch_execz .LBB595_445
; %bb.444:
	v_and_b32_e32 v25, 7, v14
	v_ffbh_u32_e32 v26, v25
	v_min_u32_e32 v30, 32, v26
	v_subrev_u32_e32 v26, 28, v30
	v_lshlrev_b64 v[26:27], v26, v[14:15]
	v_lshrrev_b32_e32 v29, 3, v15
	v_sub_u32_e32 v27, 29, v30
	v_and_b32_e32 v26, 7, v26
	v_cmp_gt_u32_e32 vcc, 8, v15
	v_cndmask_b32_e32 v15, v29, v27, vcc
	v_cndmask_b32_e32 v25, v25, v26, vcc
	v_lshlrev_b32_e32 v14, 24, v14
	v_bfrev_b32_e32 v26, 60
	v_lshlrev_b32_e32 v25, 20, v25
	v_and_b32_e32 v14, 0x80000000, v14
	v_lshl_add_u32 v15, v15, 23, v26
	v_or3_b32 v25, v14, v15, v25
.LBB595_445:
	s_or_b64 exec, exec, s[10:11]
.LBB595_446:
	s_or_b64 exec, exec, s[8:9]
.LBB595_447:
	s_or_b64 exec, exec, s[2:3]
	v_cvt_pkrtz_f16_f32 v15, v19, v22
	v_lshl_or_b32 v22, v1, 9, v48
	v_cvt_pkrtz_f16_f32 v14, v32, v20
	ds_read_b128 v[30:33], v22
	v_cmp_ne_u16_sdwa s[8:9], v16, v23 src0_sel:BYTE_0 src1_sel:DWORD
	s_waitcnt lgkmcnt(0)
	v_mfma_f32_16x16x16f16 v[34:37], v[14:15], v[30:31], 0
	v_cvt_pkrtz_f16_f32 v14, v21, v24
	v_cvt_pkrtz_f16_f32 v15, v18, v25
	s_nop 1
	v_mfma_f32_16x16x16f16 v[18:21], v[14:15], v[32:33], v[34:37]
	s_and_saveexec_b64 s[2:3], s[8:9]
	s_cbranch_execz .LBB595_453
; %bb.448:
	s_movk_i32 s7, 0x80
	v_cmp_ne_u16_sdwa s[10:11], v16, s7 src0_sel:BYTE_0 src1_sel:DWORD
	v_bfrev_b32_e32 v23, 1
	s_and_saveexec_b64 s[8:9], s[10:11]
	s_cbranch_execz .LBB595_452
; %bb.449:
	s_movk_i32 s7, 0x7f
	v_and_b32_e32 v14, 0x7f, v16
	v_cmp_ne_u32_e32 vcc, s7, v14
	v_mov_b32_e32 v23, 0x7f800001
	s_and_saveexec_b64 s[10:11], vcc
	s_cbranch_execz .LBB595_451
; %bb.450:
	v_and_b32_e32 v15, 7, v16
	v_ffbh_u32_e32 v24, v15
	v_min_u32_e32 v26, 32, v24
	v_subrev_u32_e32 v24, 28, v26
	v_lshlrev_b64 v[24:25], v24, v[16:17]
	v_lshrrev_b32_e32 v23, 3, v14
	v_sub_u32_e32 v25, 29, v26
	v_and_b32_e32 v24, 7, v24
	v_cmp_gt_u32_e32 vcc, 8, v14
	v_cndmask_b32_e32 v14, v23, v25, vcc
	v_cndmask_b32_e32 v15, v15, v24, vcc
	v_lshlrev_b32_e32 v23, 24, v16
	v_bfrev_b32_e32 v24, 60
	v_lshlrev_b32_e32 v15, 20, v15
	v_and_b32_e32 v23, 0x80000000, v23
	v_lshl_add_u32 v14, v14, 23, v24
	v_or3_b32 v23, v23, v14, v15
.LBB595_451:
	s_or_b64 exec, exec, s[10:11]
.LBB595_452:
	s_or_b64 exec, exec, s[8:9]
.LBB595_453:
	s_or_b64 exec, exec, s[2:3]
	v_lshrrev_b16_e32 v14, 8, v16
	v_cmp_ne_u16_e32 vcc, 0, v14
	v_mov_b32_e32 v15, 0
	v_mov_b32_e32 v25, 0
	s_and_saveexec_b64 s[2:3], vcc
	s_cbranch_execz .LBB595_459
; %bb.454:
	s_movk_i32 s7, 0x80
	v_cmp_ne_u16_e32 vcc, s7, v14
	v_bfrev_b32_e32 v25, 1
	s_and_saveexec_b64 s[8:9], vcc
	s_cbranch_execz .LBB595_458
; %bb.455:
	s_movk_i32 s7, 0x7f
	v_and_b32_e32 v24, 0x7f, v14
	v_cmp_ne_u32_e32 vcc, s7, v24
	v_mov_b32_e32 v25, 0x7f800001
	s_and_saveexec_b64 s[10:11], vcc
	s_cbranch_execz .LBB595_457
; %bb.456:
	v_and_b32_e32 v25, 7, v14
	v_ffbh_u32_e32 v26, v25
	v_min_u32_e32 v30, 32, v26
	v_subrev_u32_e32 v26, 28, v30
	v_lshlrev_b64 v[26:27], v26, v[14:15]
	v_lshrrev_b32_e32 v29, 3, v24
	v_sub_u32_e32 v14, 29, v30
	v_and_b32_e32 v26, 7, v26
	v_cmp_gt_u32_e32 vcc, 8, v24
	v_cndmask_b32_e32 v14, v29, v14, vcc
	v_cndmask_b32_e32 v24, v25, v26, vcc
	v_lshlrev_b32_e32 v25, 16, v16
	v_bfrev_b32_e32 v26, 60
	v_lshlrev_b32_e32 v24, 20, v24
	v_and_b32_e32 v25, 0x80000000, v25
	v_lshl_add_u32 v14, v14, 23, v26
	v_or3_b32 v25, v25, v14, v24
.LBB595_457:
	s_or_b64 exec, exec, s[10:11]
.LBB595_458:
	s_or_b64 exec, exec, s[8:9]
.LBB595_459:
	s_or_b64 exec, exec, s[2:3]
	s_movk_i32 s2, 0xff
	v_and_b32_sdwa v24, v16, s2 dst_sel:DWORD dst_unused:UNUSED_PAD src0_sel:WORD_1 src1_sel:DWORD
	v_lshrrev_b32_e32 v14, 16, v16
	v_cmp_ne_u16_e32 vcc, 0, v24
	s_and_saveexec_b64 s[2:3], vcc
	s_cbranch_execz .LBB595_465
; %bb.460:
	s_movk_i32 s7, 0x80
	v_cmp_ne_u16_e32 vcc, s7, v24
	v_bfrev_b32_e32 v15, 1
	s_and_saveexec_b64 s[8:9], vcc
	s_cbranch_execz .LBB595_464
; %bb.461:
	v_bfe_u32 v24, v16, 16, 7
	s_movk_i32 s7, 0x7f
	v_cmp_ne_u32_e32 vcc, s7, v24
	v_mov_b32_e32 v15, 0x7f800001
	s_and_saveexec_b64 s[10:11], vcc
	s_cbranch_execz .LBB595_463
; %bb.462:
	v_and_b32_e32 v26, 7, v14
	v_ffbh_u32_e32 v15, v26
	v_min_u32_e32 v29, 32, v15
	v_subrev_u32_e32 v15, 28, v29
	v_lshlrev_b64 v[14:15], v15, v[14:15]
	v_lshrrev_b32_e32 v27, 3, v24
	v_sub_u32_e32 v15, 29, v29
	v_and_b32_e32 v14, 7, v14
	v_cmp_gt_u32_e32 vcc, 8, v24
	v_mov_b32_e32 v24, 24
	v_cndmask_b32_e32 v15, v27, v15, vcc
	v_cndmask_b32_e32 v14, v26, v14, vcc
	v_lshlrev_b32_sdwa v24, v24, v16 dst_sel:DWORD dst_unused:UNUSED_PAD src0_sel:DWORD src1_sel:WORD_1
	v_bfrev_b32_e32 v26, 60
	v_lshlrev_b32_e32 v14, 20, v14
	v_and_b32_e32 v24, 0x80000000, v24
	v_lshl_add_u32 v15, v15, 23, v26
	v_or3_b32 v15, v24, v15, v14
.LBB595_463:
	s_or_b64 exec, exec, s[10:11]
.LBB595_464:
	s_or_b64 exec, exec, s[8:9]
.LBB595_465:
	s_or_b64 exec, exec, s[2:3]
	s_mov_b32 s2, 0xffffff
	v_cmp_lt_u32_e32 vcc, s2, v16
	v_mov_b32_e32 v26, 0
	v_mov_b32_e32 v27, 0
	s_and_saveexec_b64 s[2:3], vcc
	s_cbranch_execz .LBB595_471
; %bb.466:
	v_lshrrev_b32_e32 v14, 24, v16
	s_movk_i32 s7, 0x80
	v_cmp_ne_u32_e32 vcc, s7, v14
	v_bfrev_b32_e32 v27, 1
	s_and_saveexec_b64 s[8:9], vcc
	s_cbranch_execz .LBB595_470
; %bb.467:
	v_bfe_u32 v16, v16, 24, 7
	s_movk_i32 s7, 0x7f
	v_cmp_ne_u32_e32 vcc, s7, v16
	v_mov_b32_e32 v27, 0x7f800001
	s_and_saveexec_b64 s[10:11], vcc
	s_cbranch_execz .LBB595_469
; %bb.468:
	v_and_b32_e32 v24, 7, v14
	v_ffbh_u32_e32 v29, v24
	v_min_u32_e32 v29, 32, v29
	v_subrev_u32_e32 v30, 28, v29
	v_lshlrev_b64 v[30:31], v30, v[14:15]
	v_lshrrev_b32_e32 v27, 3, v16
	v_sub_u32_e32 v29, 29, v29
	v_and_b32_e32 v30, 7, v30
	v_cmp_gt_u32_e32 vcc, 8, v16
	v_cndmask_b32_e32 v16, v27, v29, vcc
	v_cndmask_b32_e32 v24, v24, v30, vcc
	v_lshlrev_b32_e32 v14, 24, v14
	v_bfrev_b32_e32 v27, 60
	v_lshlrev_b32_e32 v24, 20, v24
	v_and_b32_e32 v14, 0x80000000, v14
	v_lshl_add_u32 v16, v16, 23, v27
	v_or3_b32 v27, v14, v16, v24
.LBB595_469:
	s_or_b64 exec, exec, s[10:11]
.LBB595_470:
	s_or_b64 exec, exec, s[8:9]
.LBB595_471:
	s_or_b64 exec, exec, s[2:3]
	v_cmp_ne_u16_sdwa s[8:9], v17, v26 src0_sel:BYTE_0 src1_sel:DWORD
	s_and_saveexec_b64 s[2:3], s[8:9]
	s_cbranch_execz .LBB595_477
; %bb.472:
	s_movk_i32 s7, 0x80
	v_cmp_ne_u16_sdwa s[10:11], v17, s7 src0_sel:BYTE_0 src1_sel:DWORD
	v_bfrev_b32_e32 v26, 1
	s_and_saveexec_b64 s[8:9], s[10:11]
	s_cbranch_execz .LBB595_476
; %bb.473:
	s_movk_i32 s7, 0x7f
	v_and_b32_e32 v14, 0x7f, v17
	v_cmp_ne_u32_e32 vcc, s7, v14
	v_mov_b32_e32 v26, 0x7f800001
	s_and_saveexec_b64 s[10:11], vcc
	s_cbranch_execz .LBB595_475
; %bb.474:
	v_and_b32_e32 v24, 7, v17
	v_ffbh_u32_e32 v29, v24
	v_min_u32_e32 v29, 32, v29
	v_mov_b32_e32 v16, v17
	v_subrev_u32_e32 v30, 28, v29
	v_lshlrev_b64 v[30:31], v30, v[16:17]
	v_lshrrev_b32_e32 v26, 3, v14
	v_sub_u32_e32 v16, 29, v29
	v_and_b32_e32 v29, 7, v30
	v_cmp_gt_u32_e32 vcc, 8, v14
	v_cndmask_b32_e32 v14, v26, v16, vcc
	v_cndmask_b32_e32 v16, v24, v29, vcc
	v_lshlrev_b32_e32 v24, 24, v17
	v_bfrev_b32_e32 v26, 60
	v_lshlrev_b32_e32 v16, 20, v16
	v_and_b32_e32 v24, 0x80000000, v24
	v_lshl_add_u32 v14, v14, 23, v26
	v_or3_b32 v26, v24, v14, v16
.LBB595_475:
	s_or_b64 exec, exec, s[10:11]
.LBB595_476:
	s_or_b64 exec, exec, s[8:9]
.LBB595_477:
	s_or_b64 exec, exec, s[2:3]
	v_lshrrev_b16_e32 v14, 8, v17
	v_cmp_ne_u16_e32 vcc, 0, v14
	v_mov_b32_e32 v16, 0
	v_mov_b32_e32 v29, 0
	s_and_saveexec_b64 s[2:3], vcc
	s_cbranch_execz .LBB595_483
; %bb.478:
	s_movk_i32 s7, 0x80
	v_cmp_ne_u16_e32 vcc, s7, v14
	v_bfrev_b32_e32 v29, 1
	s_and_saveexec_b64 s[8:9], vcc
	s_cbranch_execz .LBB595_482
; %bb.479:
	s_movk_i32 s7, 0x7f
	v_and_b32_e32 v24, 0x7f, v14
	v_cmp_ne_u32_e32 vcc, s7, v24
	v_mov_b32_e32 v29, 0x7f800001
	s_and_saveexec_b64 s[10:11], vcc
	s_cbranch_execz .LBB595_481
; %bb.480:
	v_and_b32_e32 v29, 7, v14
	v_ffbh_u32_e32 v30, v29
	v_min_u32_e32 v33, 32, v30
	v_subrev_u32_e32 v30, 28, v33
	v_lshlrev_b64 v[30:31], v30, v[14:15]
	v_lshrrev_b32_e32 v32, 3, v24
	v_sub_u32_e32 v14, 29, v33
	v_and_b32_e32 v30, 7, v30
	v_cmp_gt_u32_e32 vcc, 8, v24
	v_cndmask_b32_e32 v14, v32, v14, vcc
	v_cndmask_b32_e32 v24, v29, v30, vcc
	v_lshlrev_b32_e32 v29, 16, v17
	v_bfrev_b32_e32 v30, 60
	v_lshlrev_b32_e32 v24, 20, v24
	v_and_b32_e32 v29, 0x80000000, v29
	v_lshl_add_u32 v14, v14, 23, v30
	v_or3_b32 v29, v29, v14, v24
.LBB595_481:
	s_or_b64 exec, exec, s[10:11]
.LBB595_482:
	s_or_b64 exec, exec, s[8:9]
.LBB595_483:
	s_or_b64 exec, exec, s[2:3]
	s_movk_i32 s2, 0xff
	v_and_b32_sdwa v24, v17, s2 dst_sel:DWORD dst_unused:UNUSED_PAD src0_sel:WORD_1 src1_sel:DWORD
	v_lshrrev_b32_e32 v14, 16, v17
	v_cmp_ne_u16_e32 vcc, 0, v24
	s_and_saveexec_b64 s[2:3], vcc
	s_cbranch_execz .LBB595_489
; %bb.484:
	s_movk_i32 s7, 0x80
	v_cmp_ne_u16_e32 vcc, s7, v24
	v_bfrev_b32_e32 v16, 1
	s_and_saveexec_b64 s[8:9], vcc
	s_cbranch_execz .LBB595_488
; %bb.485:
	v_bfe_u32 v24, v17, 16, 7
	s_movk_i32 s7, 0x7f
	v_cmp_ne_u32_e32 vcc, s7, v24
	v_mov_b32_e32 v16, 0x7f800001
	s_and_saveexec_b64 s[10:11], vcc
	s_cbranch_execz .LBB595_487
; %bb.486:
	v_and_b32_e32 v16, 7, v14
	v_ffbh_u32_e32 v30, v16
	v_min_u32_e32 v33, 32, v30
	v_subrev_u32_e32 v30, 28, v33
	v_lshlrev_b64 v[30:31], v30, v[14:15]
	v_lshrrev_b32_e32 v32, 3, v24
	v_sub_u32_e32 v14, 29, v33
	v_and_b32_e32 v30, 7, v30
	v_cmp_gt_u32_e32 vcc, 8, v24
	v_mov_b32_e32 v24, 24
	v_cndmask_b32_e32 v14, v32, v14, vcc
	v_cndmask_b32_e32 v16, v16, v30, vcc
	v_lshlrev_b32_sdwa v24, v24, v17 dst_sel:DWORD dst_unused:UNUSED_PAD src0_sel:DWORD src1_sel:WORD_1
	v_bfrev_b32_e32 v30, 60
	v_lshlrev_b32_e32 v16, 20, v16
	v_and_b32_e32 v24, 0x80000000, v24
	v_lshl_add_u32 v14, v14, 23, v30
	v_or3_b32 v16, v24, v14, v16
.LBB595_487:
	s_or_b64 exec, exec, s[10:11]
.LBB595_488:
	s_or_b64 exec, exec, s[8:9]
.LBB595_489:
	s_or_b64 exec, exec, s[2:3]
	s_mov_b32 s2, 0xffffff
	v_cmp_lt_u32_e32 vcc, s2, v17
	v_mov_b32_e32 v24, 0
	v_mov_b32_e32 v30, 0
	s_and_saveexec_b64 s[2:3], vcc
	s_cbranch_execz .LBB595_495
; %bb.490:
	v_lshrrev_b32_e32 v14, 24, v17
	s_movk_i32 s7, 0x80
	v_cmp_ne_u32_e32 vcc, s7, v14
	v_bfrev_b32_e32 v30, 1
	s_and_saveexec_b64 s[8:9], vcc
	s_cbranch_execz .LBB595_494
; %bb.491:
	v_bfe_u32 v17, v17, 24, 7
	s_movk_i32 s7, 0x7f
	v_cmp_ne_u32_e32 vcc, s7, v17
	v_mov_b32_e32 v30, 0x7f800001
	s_and_saveexec_b64 s[10:11], vcc
	s_cbranch_execz .LBB595_493
; %bb.492:
	v_and_b32_e32 v32, 7, v14
	v_ffbh_u32_e32 v30, v32
	v_min_u32_e32 v34, 32, v30
	v_subrev_u32_e32 v30, 28, v34
	v_lshlrev_b64 v[30:31], v30, v[14:15]
	v_lshrrev_b32_e32 v33, 3, v17
	v_sub_u32_e32 v31, 29, v34
	v_and_b32_e32 v30, 7, v30
	v_cmp_gt_u32_e32 vcc, 8, v17
	v_cndmask_b32_e32 v17, v33, v31, vcc
	v_cndmask_b32_e32 v30, v32, v30, vcc
	v_lshlrev_b32_e32 v14, 24, v14
	v_bfrev_b32_e32 v31, 60
	v_lshlrev_b32_e32 v30, 20, v30
	v_and_b32_e32 v14, 0x80000000, v14
	v_lshl_add_u32 v17, v17, 23, v31
	v_or3_b32 v30, v14, v17, v30
.LBB595_493:
	s_or_b64 exec, exec, s[10:11]
.LBB595_494:
	s_or_b64 exec, exec, s[8:9]
.LBB595_495:
	s_or_b64 exec, exec, s[2:3]
	v_cvt_pkrtz_f16_f32 v14, v23, v25
	v_cvt_pkrtz_f16_f32 v15, v15, v27
	ds_read_b128 v[32:35], v22 offset:16
	s_waitcnt vmcnt(2)
	v_cmp_ne_u16_sdwa s[8:9], v10, v24 src0_sel:BYTE_0 src1_sel:DWORD
	s_waitcnt lgkmcnt(0)
	v_mfma_f32_16x16x16f16 v[18:21], v[14:15], v[32:33], v[18:21]
	v_cvt_pkrtz_f16_f32 v14, v26, v29
	v_cvt_pkrtz_f16_f32 v15, v16, v30
	s_nop 1
	v_mfma_f32_16x16x16f16 v[14:17], v[14:15], v[34:35], v[18:21]
	s_and_saveexec_b64 s[2:3], s[8:9]
	s_cbranch_execz .LBB595_501
; %bb.496:
	s_movk_i32 s7, 0x80
	v_cmp_ne_u16_sdwa s[10:11], v10, s7 src0_sel:BYTE_0 src1_sel:DWORD
	v_bfrev_b32_e32 v24, 1
	s_and_saveexec_b64 s[8:9], s[10:11]
	s_cbranch_execz .LBB595_500
; %bb.497:
	s_movk_i32 s7, 0x7f
	v_and_b32_e32 v18, 0x7f, v10
	v_cmp_ne_u32_e32 vcc, s7, v18
	v_mov_b32_e32 v24, 0x7f800001
	s_and_saveexec_b64 s[10:11], vcc
	s_cbranch_execz .LBB595_499
; %bb.498:
	v_and_b32_e32 v19, 7, v10
	v_ffbh_u32_e32 v20, v19
	v_min_u32_e32 v24, 32, v20
	v_subrev_u32_e32 v20, 28, v24
	v_lshlrev_b64 v[20:21], v20, v[10:11]
	v_lshrrev_b32_e32 v23, 3, v18
	v_sub_u32_e32 v21, 29, v24
	v_and_b32_e32 v20, 7, v20
	v_cmp_gt_u32_e32 vcc, 8, v18
	v_cndmask_b32_e32 v18, v23, v21, vcc
	v_cndmask_b32_e32 v19, v19, v20, vcc
	v_lshlrev_b32_e32 v20, 24, v10
	v_bfrev_b32_e32 v21, 60
	v_lshlrev_b32_e32 v19, 20, v19
	v_and_b32_e32 v20, 0x80000000, v20
	v_lshl_add_u32 v18, v18, 23, v21
	v_or3_b32 v24, v20, v18, v19
.LBB595_499:
	s_or_b64 exec, exec, s[10:11]
.LBB595_500:
	s_or_b64 exec, exec, s[8:9]
.LBB595_501:
	s_or_b64 exec, exec, s[2:3]
	s_nop 3
	v_lshrrev_b16_e32 v18, 8, v10
	v_cmp_ne_u16_e32 vcc, 0, v18
	v_mov_b32_e32 v19, 0
	v_mov_b32_e32 v20, 0
	s_and_saveexec_b64 s[2:3], vcc
	s_cbranch_execz .LBB595_507
; %bb.502:
	s_movk_i32 s7, 0x80
	v_cmp_ne_u16_e32 vcc, s7, v18
	v_bfrev_b32_e32 v20, 1
	s_and_saveexec_b64 s[8:9], vcc
	s_cbranch_execz .LBB595_506
; %bb.503:
	s_movk_i32 s7, 0x7f
	v_and_b32_e32 v21, 0x7f, v18
	v_cmp_ne_u32_e32 vcc, s7, v21
	v_mov_b32_e32 v20, 0x7f800001
	s_and_saveexec_b64 s[10:11], vcc
	s_cbranch_execz .LBB595_505
; %bb.504:
	v_and_b32_e32 v20, 7, v18
	v_ffbh_u32_e32 v25, v20
	v_min_u32_e32 v25, 32, v25
	v_subrev_u32_e32 v26, 28, v25
	v_lshlrev_b64 v[26:27], v26, v[18:19]
	v_lshrrev_b32_e32 v23, 3, v21
	v_sub_u32_e32 v18, 29, v25
	v_and_b32_e32 v25, 7, v26
	v_cmp_gt_u32_e32 vcc, 8, v21
	v_cndmask_b32_e32 v18, v23, v18, vcc
	v_cndmask_b32_e32 v20, v20, v25, vcc
	v_lshlrev_b32_e32 v21, 16, v10
	v_bfrev_b32_e32 v23, 60
	v_lshlrev_b32_e32 v20, 20, v20
	v_and_b32_e32 v21, 0x80000000, v21
	v_lshl_add_u32 v18, v18, 23, v23
	v_or3_b32 v20, v21, v18, v20
.LBB595_505:
	s_or_b64 exec, exec, s[10:11]
.LBB595_506:
	s_or_b64 exec, exec, s[8:9]
.LBB595_507:
	s_or_b64 exec, exec, s[2:3]
	s_movk_i32 s2, 0xff
	v_and_b32_sdwa v21, v10, s2 dst_sel:DWORD dst_unused:UNUSED_PAD src0_sel:WORD_1 src1_sel:DWORD
	v_lshrrev_b32_e32 v18, 16, v10
	v_cmp_ne_u16_e32 vcc, 0, v21
	s_and_saveexec_b64 s[2:3], vcc
	s_cbranch_execz .LBB595_513
; %bb.508:
	s_movk_i32 s7, 0x80
	v_cmp_ne_u16_e32 vcc, s7, v21
	v_bfrev_b32_e32 v19, 1
	s_and_saveexec_b64 s[8:9], vcc
	s_cbranch_execz .LBB595_512
; %bb.509:
	v_bfe_u32 v21, v10, 16, 7
	s_movk_i32 s7, 0x7f
	v_cmp_ne_u32_e32 vcc, s7, v21
	v_mov_b32_e32 v19, 0x7f800001
	s_and_saveexec_b64 s[10:11], vcc
	s_cbranch_execz .LBB595_511
; %bb.510:
	v_and_b32_e32 v23, 7, v18
	v_ffbh_u32_e32 v19, v23
	v_min_u32_e32 v26, 32, v19
	v_subrev_u32_e32 v19, 28, v26
	v_lshlrev_b64 v[18:19], v19, v[18:19]
	v_lshrrev_b32_e32 v25, 3, v21
	v_sub_u32_e32 v19, 29, v26
	v_and_b32_e32 v18, 7, v18
	v_cmp_gt_u32_e32 vcc, 8, v21
	v_mov_b32_e32 v21, 24
	v_cndmask_b32_e32 v19, v25, v19, vcc
	v_cndmask_b32_e32 v18, v23, v18, vcc
	v_lshlrev_b32_sdwa v21, v21, v10 dst_sel:DWORD dst_unused:UNUSED_PAD src0_sel:DWORD src1_sel:WORD_1
	v_bfrev_b32_e32 v23, 60
	v_lshlrev_b32_e32 v18, 20, v18
	v_and_b32_e32 v21, 0x80000000, v21
	v_lshl_add_u32 v19, v19, 23, v23
	v_or3_b32 v19, v21, v19, v18
.LBB595_511:
	s_or_b64 exec, exec, s[10:11]
.LBB595_512:
	s_or_b64 exec, exec, s[8:9]
.LBB595_513:
	s_or_b64 exec, exec, s[2:3]
	s_mov_b32 s2, 0xffffff
	v_cmp_lt_u32_e32 vcc, s2, v10
	v_mov_b32_e32 v21, 0
	v_mov_b32_e32 v23, 0
	s_and_saveexec_b64 s[2:3], vcc
	s_cbranch_execz .LBB595_519
; %bb.514:
	v_lshrrev_b32_e32 v18, 24, v10
	s_movk_i32 s7, 0x80
	v_cmp_ne_u32_e32 vcc, s7, v18
	v_bfrev_b32_e32 v23, 1
	s_and_saveexec_b64 s[8:9], vcc
	s_cbranch_execz .LBB595_518
; %bb.515:
	v_bfe_u32 v10, v10, 24, 7
	s_movk_i32 s7, 0x7f
	v_cmp_ne_u32_e32 vcc, s7, v10
	v_mov_b32_e32 v23, 0x7f800001
	s_and_saveexec_b64 s[10:11], vcc
	s_cbranch_execz .LBB595_517
; %bb.516:
	v_and_b32_e32 v23, 7, v18
	v_ffbh_u32_e32 v26, v23
	v_min_u32_e32 v29, 32, v26
	v_subrev_u32_e32 v26, 28, v29
	v_lshlrev_b64 v[26:27], v26, v[18:19]
	v_lshrrev_b32_e32 v25, 3, v10
	v_sub_u32_e32 v27, 29, v29
	v_and_b32_e32 v26, 7, v26
	v_cmp_gt_u32_e32 vcc, 8, v10
	v_cndmask_b32_e32 v10, v25, v27, vcc
	v_cndmask_b32_e32 v23, v23, v26, vcc
	v_lshlrev_b32_e32 v18, 24, v18
	v_bfrev_b32_e32 v25, 60
	v_lshlrev_b32_e32 v23, 20, v23
	v_and_b32_e32 v18, 0x80000000, v18
	v_lshl_add_u32 v10, v10, 23, v25
	v_or3_b32 v23, v18, v10, v23
.LBB595_517:
	s_or_b64 exec, exec, s[10:11]
.LBB595_518:
	s_or_b64 exec, exec, s[8:9]
.LBB595_519:
	s_or_b64 exec, exec, s[2:3]
	v_cmp_ne_u16_sdwa s[8:9], v11, v21 src0_sel:BYTE_0 src1_sel:DWORD
	s_and_saveexec_b64 s[2:3], s[8:9]
	s_cbranch_execz .LBB595_525
; %bb.520:
	s_movk_i32 s7, 0x80
	v_cmp_ne_u16_sdwa s[10:11], v11, s7 src0_sel:BYTE_0 src1_sel:DWORD
	v_bfrev_b32_e32 v21, 1
	s_and_saveexec_b64 s[8:9], s[10:11]
	s_cbranch_execz .LBB595_524
; %bb.521:
	s_movk_i32 s7, 0x7f
	v_and_b32_e32 v10, 0x7f, v11
	v_cmp_ne_u32_e32 vcc, s7, v10
	v_mov_b32_e32 v21, 0x7f800001
	s_and_saveexec_b64 s[10:11], vcc
	s_cbranch_execz .LBB595_523
; %bb.522:
	v_and_b32_e32 v21, 7, v11
	v_ffbh_u32_e32 v26, v21
	v_min_u32_e32 v29, 32, v26
	v_mov_b32_e32 v18, v11
	v_subrev_u32_e32 v26, 28, v29
	v_lshlrev_b64 v[26:27], v26, v[18:19]
	v_lshrrev_b32_e32 v25, 3, v10
	v_sub_u32_e32 v18, 29, v29
	v_and_b32_e32 v26, 7, v26
	v_cmp_gt_u32_e32 vcc, 8, v10
	v_cndmask_b32_e32 v10, v25, v18, vcc
	v_cndmask_b32_e32 v18, v21, v26, vcc
	v_lshlrev_b32_e32 v21, 24, v11
	v_bfrev_b32_e32 v25, 60
	v_lshlrev_b32_e32 v18, 20, v18
	v_and_b32_e32 v21, 0x80000000, v21
	v_lshl_add_u32 v10, v10, 23, v25
	v_or3_b32 v21, v21, v10, v18
.LBB595_523:
	s_or_b64 exec, exec, s[10:11]
.LBB595_524:
	s_or_b64 exec, exec, s[8:9]
.LBB595_525:
	s_or_b64 exec, exec, s[2:3]
	v_lshrrev_b16_e32 v10, 8, v11
	v_cmp_ne_u16_e32 vcc, 0, v10
	v_mov_b32_e32 v25, 0
	v_mov_b32_e32 v26, 0
	s_and_saveexec_b64 s[2:3], vcc
	s_cbranch_execz .LBB595_531
; %bb.526:
	s_movk_i32 s7, 0x80
	v_cmp_ne_u16_e32 vcc, s7, v10
	v_bfrev_b32_e32 v26, 1
	s_and_saveexec_b64 s[8:9], vcc
	s_cbranch_execz .LBB595_530
; %bb.527:
	s_movk_i32 s7, 0x7f
	v_and_b32_e32 v18, 0x7f, v10
	v_cmp_ne_u32_e32 vcc, s7, v18
	v_mov_b32_e32 v26, 0x7f800001
	s_and_saveexec_b64 s[10:11], vcc
	s_cbranch_execz .LBB595_529
; %bb.528:
	v_and_b32_e32 v29, 7, v10
	v_ffbh_u32_e32 v26, v29
	v_min_u32_e32 v31, 32, v26
	v_subrev_u32_e32 v26, 28, v31
	v_lshlrev_b64 v[26:27], v26, v[10:11]
	v_lshrrev_b32_e32 v30, 3, v18
	v_sub_u32_e32 v10, 29, v31
	v_and_b32_e32 v26, 7, v26
	v_cmp_gt_u32_e32 vcc, 8, v18
	v_cndmask_b32_e32 v10, v30, v10, vcc
	v_cndmask_b32_e32 v18, v29, v26, vcc
	v_lshlrev_b32_e32 v26, 16, v11
	v_bfrev_b32_e32 v27, 60
	v_lshlrev_b32_e32 v18, 20, v18
	v_and_b32_e32 v26, 0x80000000, v26
	v_lshl_add_u32 v10, v10, 23, v27
	v_or3_b32 v26, v26, v10, v18
.LBB595_529:
	s_or_b64 exec, exec, s[10:11]
.LBB595_530:
	s_or_b64 exec, exec, s[8:9]
.LBB595_531:
	s_or_b64 exec, exec, s[2:3]
	s_movk_i32 s2, 0xff
	v_and_b32_sdwa v18, v11, s2 dst_sel:DWORD dst_unused:UNUSED_PAD src0_sel:WORD_1 src1_sel:DWORD
	v_lshrrev_b32_e32 v10, 16, v11
	v_cmp_ne_u16_e32 vcc, 0, v18
	s_and_saveexec_b64 s[2:3], vcc
	s_cbranch_execz .LBB595_537
; %bb.532:
	s_movk_i32 s7, 0x80
	v_cmp_ne_u16_e32 vcc, s7, v18
	v_bfrev_b32_e32 v25, 1
	s_and_saveexec_b64 s[8:9], vcc
	s_cbranch_execz .LBB595_536
; %bb.533:
	v_bfe_u32 v18, v11, 16, 7
	s_movk_i32 s7, 0x7f
	v_cmp_ne_u32_e32 vcc, s7, v18
	v_mov_b32_e32 v25, 0x7f800001
	s_and_saveexec_b64 s[10:11], vcc
	s_cbranch_execz .LBB595_535
; %bb.534:
	v_and_b32_e32 v25, 7, v10
	v_ffbh_u32_e32 v29, v25
	v_min_u32_e32 v29, 32, v29
	v_subrev_u32_e32 v30, 28, v29
	v_lshlrev_b64 v[30:31], v30, v[10:11]
	v_sub_u32_e32 v10, 29, v29
	v_and_b32_e32 v29, 7, v30
	v_cmp_gt_u32_e32 vcc, 8, v18
	v_lshrrev_b32_e32 v27, 3, v18
	v_cndmask_b32_e32 v18, v25, v29, vcc
	v_mov_b32_e32 v25, 24
	v_cndmask_b32_e32 v10, v27, v10, vcc
	v_lshlrev_b32_sdwa v25, v25, v11 dst_sel:DWORD dst_unused:UNUSED_PAD src0_sel:DWORD src1_sel:WORD_1
	v_bfrev_b32_e32 v27, 60
	v_lshlrev_b32_e32 v18, 20, v18
	v_and_b32_e32 v25, 0x80000000, v25
	v_lshl_add_u32 v10, v10, 23, v27
	v_or3_b32 v25, v25, v10, v18
.LBB595_535:
	s_or_b64 exec, exec, s[10:11]
.LBB595_536:
	s_or_b64 exec, exec, s[8:9]
.LBB595_537:
	s_or_b64 exec, exec, s[2:3]
	s_mov_b32 s2, 0xffffff
	v_cmp_lt_u32_e32 vcc, s2, v11
	v_mov_b32_e32 v18, 0
	v_mov_b32_e32 v27, 0
	s_and_saveexec_b64 s[2:3], vcc
	s_cbranch_execz .LBB595_543
; %bb.538:
	v_lshrrev_b32_e32 v10, 24, v11
	s_movk_i32 s7, 0x80
	v_cmp_ne_u32_e32 vcc, s7, v10
	v_bfrev_b32_e32 v27, 1
	s_and_saveexec_b64 s[8:9], vcc
	s_cbranch_execz .LBB595_542
; %bb.539:
	v_bfe_u32 v11, v11, 24, 7
	s_movk_i32 s7, 0x7f
	v_cmp_ne_u32_e32 vcc, s7, v11
	v_mov_b32_e32 v27, 0x7f800001
	s_and_saveexec_b64 s[10:11], vcc
	s_cbranch_execz .LBB595_541
; %bb.540:
	v_and_b32_e32 v27, 7, v10
	v_ffbh_u32_e32 v30, v27
	v_min_u32_e32 v32, 32, v30
	v_subrev_u32_e32 v30, 28, v32
	v_lshlrev_b64 v[30:31], v30, v[10:11]
	v_lshrrev_b32_e32 v29, 3, v11
	v_sub_u32_e32 v31, 29, v32
	v_and_b32_e32 v30, 7, v30
	v_cmp_gt_u32_e32 vcc, 8, v11
	v_cndmask_b32_e32 v11, v29, v31, vcc
	v_cndmask_b32_e32 v27, v27, v30, vcc
	v_lshlrev_b32_e32 v10, 24, v10
	v_bfrev_b32_e32 v29, 60
	v_lshlrev_b32_e32 v27, 20, v27
	v_and_b32_e32 v10, 0x80000000, v10
	v_lshl_add_u32 v11, v11, 23, v29
	v_or3_b32 v27, v10, v11, v27
.LBB595_541:
	s_or_b64 exec, exec, s[10:11]
.LBB595_542:
	s_or_b64 exec, exec, s[8:9]
.LBB595_543:
	s_or_b64 exec, exec, s[2:3]
	v_cvt_pkrtz_f16_f32 v10, v24, v20
	v_cvt_pkrtz_f16_f32 v11, v19, v23
	ds_read_b128 v[30:33], v22 offset:2048
	v_cmp_ne_u16_sdwa s[8:9], v12, v18 src0_sel:BYTE_0 src1_sel:DWORD
	s_waitcnt lgkmcnt(0)
	v_mfma_f32_16x16x16f16 v[14:17], v[10:11], v[30:31], v[14:17]
	v_cvt_pkrtz_f16_f32 v10, v21, v26
	v_cvt_pkrtz_f16_f32 v11, v25, v27
	s_nop 1
	v_mfma_f32_16x16x16f16 v[14:17], v[10:11], v[32:33], v[14:17]
	s_and_saveexec_b64 s[2:3], s[8:9]
	s_cbranch_execz .LBB595_549
; %bb.544:
	s_movk_i32 s7, 0x80
	v_cmp_ne_u16_sdwa s[10:11], v12, s7 src0_sel:BYTE_0 src1_sel:DWORD
	v_bfrev_b32_e32 v18, 1
	s_and_saveexec_b64 s[8:9], s[10:11]
	s_cbranch_execz .LBB595_548
; %bb.545:
	s_movk_i32 s7, 0x7f
	v_and_b32_e32 v10, 0x7f, v12
	v_cmp_ne_u32_e32 vcc, s7, v10
	v_mov_b32_e32 v18, 0x7f800001
	s_and_saveexec_b64 s[10:11], vcc
	s_cbranch_execz .LBB595_547
; %bb.546:
	v_and_b32_e32 v11, 7, v12
	v_ffbh_u32_e32 v18, v11
	v_min_u32_e32 v21, 32, v18
	v_subrev_u32_e32 v18, 28, v21
	v_lshlrev_b64 v[18:19], v18, v[12:13]
	v_lshrrev_b32_e32 v20, 3, v10
	v_sub_u32_e32 v19, 29, v21
	v_and_b32_e32 v18, 7, v18
	v_cmp_gt_u32_e32 vcc, 8, v10
	v_cndmask_b32_e32 v10, v20, v19, vcc
	v_cndmask_b32_e32 v11, v11, v18, vcc
	v_lshlrev_b32_e32 v18, 24, v12
	v_bfrev_b32_e32 v19, 60
	v_lshlrev_b32_e32 v11, 20, v11
	v_and_b32_e32 v18, 0x80000000, v18
	v_lshl_add_u32 v10, v10, 23, v19
	v_or3_b32 v18, v18, v10, v11
.LBB595_547:
	s_or_b64 exec, exec, s[10:11]
.LBB595_548:
	s_or_b64 exec, exec, s[8:9]
.LBB595_549:
	s_or_b64 exec, exec, s[2:3]
	v_lshrrev_b16_e32 v10, 8, v12
	v_cmp_ne_u16_e32 vcc, 0, v10
	v_mov_b32_e32 v11, 0
	v_mov_b32_e32 v20, 0
	s_and_saveexec_b64 s[2:3], vcc
	s_cbranch_execz .LBB595_555
; %bb.550:
	s_movk_i32 s7, 0x80
	v_cmp_ne_u16_e32 vcc, s7, v10
	v_bfrev_b32_e32 v20, 1
	s_and_saveexec_b64 s[8:9], vcc
	s_cbranch_execz .LBB595_554
; %bb.551:
	s_movk_i32 s7, 0x7f
	v_and_b32_e32 v19, 0x7f, v10
	v_cmp_ne_u32_e32 vcc, s7, v19
	v_mov_b32_e32 v20, 0x7f800001
	s_and_saveexec_b64 s[10:11], vcc
	s_cbranch_execz .LBB595_553
; %bb.552:
	v_and_b32_e32 v23, 7, v10
	v_ffbh_u32_e32 v20, v23
	v_min_u32_e32 v25, 32, v20
	v_subrev_u32_e32 v20, 28, v25
	v_lshlrev_b64 v[20:21], v20, v[10:11]
	v_lshrrev_b32_e32 v24, 3, v19
	v_sub_u32_e32 v10, 29, v25
	v_and_b32_e32 v20, 7, v20
	v_cmp_gt_u32_e32 vcc, 8, v19
	v_cndmask_b32_e32 v10, v24, v10, vcc
	v_cndmask_b32_e32 v19, v23, v20, vcc
	v_lshlrev_b32_e32 v20, 16, v12
	v_bfrev_b32_e32 v21, 60
	v_lshlrev_b32_e32 v19, 20, v19
	v_and_b32_e32 v20, 0x80000000, v20
	v_lshl_add_u32 v10, v10, 23, v21
	v_or3_b32 v20, v20, v10, v19
.LBB595_553:
	s_or_b64 exec, exec, s[10:11]
.LBB595_554:
	s_or_b64 exec, exec, s[8:9]
.LBB595_555:
	s_or_b64 exec, exec, s[2:3]
	s_movk_i32 s2, 0xff
	v_and_b32_sdwa v19, v12, s2 dst_sel:DWORD dst_unused:UNUSED_PAD src0_sel:WORD_1 src1_sel:DWORD
	v_lshrrev_b32_e32 v10, 16, v12
	v_cmp_ne_u16_e32 vcc, 0, v19
	s_and_saveexec_b64 s[2:3], vcc
	s_cbranch_execz .LBB595_561
; %bb.556:
	s_movk_i32 s7, 0x80
	v_cmp_ne_u16_e32 vcc, s7, v19
	v_bfrev_b32_e32 v11, 1
	s_and_saveexec_b64 s[8:9], vcc
	s_cbranch_execz .LBB595_560
; %bb.557:
	v_bfe_u32 v19, v12, 16, 7
	s_movk_i32 s7, 0x7f
	v_cmp_ne_u32_e32 vcc, s7, v19
	v_mov_b32_e32 v11, 0x7f800001
	s_and_saveexec_b64 s[10:11], vcc
	s_cbranch_execz .LBB595_559
; %bb.558:
	v_and_b32_e32 v21, 7, v10
	v_ffbh_u32_e32 v11, v21
	v_min_u32_e32 v24, 32, v11
	v_subrev_u32_e32 v11, 28, v24
	v_lshlrev_b64 v[10:11], v11, v[10:11]
	v_lshrrev_b32_e32 v23, 3, v19
	v_sub_u32_e32 v11, 29, v24
	v_and_b32_e32 v10, 7, v10
	v_cmp_gt_u32_e32 vcc, 8, v19
	v_mov_b32_e32 v19, 24
	v_cndmask_b32_e32 v11, v23, v11, vcc
	v_cndmask_b32_e32 v10, v21, v10, vcc
	v_lshlrev_b32_sdwa v19, v19, v12 dst_sel:DWORD dst_unused:UNUSED_PAD src0_sel:DWORD src1_sel:WORD_1
	v_bfrev_b32_e32 v21, 60
	v_lshlrev_b32_e32 v10, 20, v10
	v_and_b32_e32 v19, 0x80000000, v19
	v_lshl_add_u32 v11, v11, 23, v21
	v_or3_b32 v11, v19, v11, v10
.LBB595_559:
	s_or_b64 exec, exec, s[10:11]
.LBB595_560:
	s_or_b64 exec, exec, s[8:9]
.LBB595_561:
	s_or_b64 exec, exec, s[2:3]
	s_mov_b32 s2, 0xffffff
	v_cmp_lt_u32_e32 vcc, s2, v12
	v_mov_b32_e32 v21, 0
	v_mov_b32_e32 v23, 0
	s_and_saveexec_b64 s[2:3], vcc
	s_cbranch_execz .LBB595_567
; %bb.562:
	v_lshrrev_b32_e32 v10, 24, v12
	s_movk_i32 s7, 0x80
	v_cmp_ne_u32_e32 vcc, s7, v10
	v_bfrev_b32_e32 v23, 1
	s_and_saveexec_b64 s[8:9], vcc
	s_cbranch_execz .LBB595_566
; %bb.563:
	v_bfe_u32 v12, v12, 24, 7
	s_movk_i32 s7, 0x7f
	v_cmp_ne_u32_e32 vcc, s7, v12
	v_mov_b32_e32 v23, 0x7f800001
	s_and_saveexec_b64 s[10:11], vcc
	s_cbranch_execz .LBB595_565
; %bb.564:
	v_and_b32_e32 v19, 7, v10
	v_ffbh_u32_e32 v24, v19
	v_min_u32_e32 v26, 32, v24
	v_subrev_u32_e32 v24, 28, v26
	v_lshlrev_b64 v[24:25], v24, v[10:11]
	v_lshrrev_b32_e32 v23, 3, v12
	v_sub_u32_e32 v25, 29, v26
	v_and_b32_e32 v24, 7, v24
	v_cmp_gt_u32_e32 vcc, 8, v12
	v_cndmask_b32_e32 v12, v23, v25, vcc
	v_cndmask_b32_e32 v19, v19, v24, vcc
	v_lshlrev_b32_e32 v10, 24, v10
	v_bfrev_b32_e32 v23, 60
	v_lshlrev_b32_e32 v19, 20, v19
	v_and_b32_e32 v10, 0x80000000, v10
	v_lshl_add_u32 v12, v12, 23, v23
	v_or3_b32 v23, v10, v12, v19
.LBB595_565:
	s_or_b64 exec, exec, s[10:11]
.LBB595_566:
	s_or_b64 exec, exec, s[8:9]
.LBB595_567:
	s_or_b64 exec, exec, s[2:3]
	v_cmp_ne_u16_sdwa s[8:9], v13, v21 src0_sel:BYTE_0 src1_sel:DWORD
	s_and_saveexec_b64 s[2:3], s[8:9]
	s_cbranch_execz .LBB595_573
; %bb.568:
	s_movk_i32 s7, 0x80
	v_cmp_ne_u16_sdwa s[10:11], v13, s7 src0_sel:BYTE_0 src1_sel:DWORD
	v_bfrev_b32_e32 v21, 1
	s_and_saveexec_b64 s[8:9], s[10:11]
	s_cbranch_execz .LBB595_572
; %bb.569:
	s_movk_i32 s7, 0x7f
	v_and_b32_e32 v10, 0x7f, v13
	v_cmp_ne_u32_e32 vcc, s7, v10
	v_mov_b32_e32 v21, 0x7f800001
	s_and_saveexec_b64 s[10:11], vcc
	s_cbranch_execz .LBB595_571
; %bb.570:
	v_and_b32_e32 v19, 7, v13
	v_ffbh_u32_e32 v24, v19
	v_min_u32_e32 v26, 32, v24
	v_mov_b32_e32 v12, v13
	v_subrev_u32_e32 v24, 28, v26
	v_lshlrev_b64 v[24:25], v24, v[12:13]
	v_lshrrev_b32_e32 v21, 3, v10
	v_sub_u32_e32 v12, 29, v26
	v_and_b32_e32 v24, 7, v24
	v_cmp_gt_u32_e32 vcc, 8, v10
	v_cndmask_b32_e32 v10, v21, v12, vcc
	v_cndmask_b32_e32 v12, v19, v24, vcc
	v_lshlrev_b32_e32 v19, 24, v13
	v_bfrev_b32_e32 v21, 60
	v_lshlrev_b32_e32 v12, 20, v12
	v_and_b32_e32 v19, 0x80000000, v19
	v_lshl_add_u32 v10, v10, 23, v21
	v_or3_b32 v21, v19, v10, v12
.LBB595_571:
	s_or_b64 exec, exec, s[10:11]
.LBB595_572:
	s_or_b64 exec, exec, s[8:9]
.LBB595_573:
	s_or_b64 exec, exec, s[2:3]
	v_lshrrev_b16_e32 v10, 8, v13
	v_cmp_ne_u16_e32 vcc, 0, v10
	v_mov_b32_e32 v12, 0
	v_mov_b32_e32 v24, 0
	s_and_saveexec_b64 s[2:3], vcc
	s_cbranch_execz .LBB595_579
; %bb.574:
	s_movk_i32 s7, 0x80
	v_cmp_ne_u16_e32 vcc, s7, v10
	v_bfrev_b32_e32 v24, 1
	s_and_saveexec_b64 s[8:9], vcc
	s_cbranch_execz .LBB595_578
; %bb.575:
	s_movk_i32 s7, 0x7f
	v_and_b32_e32 v19, 0x7f, v10
	v_cmp_ne_u32_e32 vcc, s7, v19
	v_mov_b32_e32 v24, 0x7f800001
	s_and_saveexec_b64 s[10:11], vcc
	s_cbranch_execz .LBB595_577
; %bb.576:
	v_and_b32_e32 v26, 7, v10
	v_ffbh_u32_e32 v24, v26
	v_min_u32_e32 v29, 32, v24
	v_subrev_u32_e32 v24, 28, v29
	v_lshlrev_b64 v[24:25], v24, v[10:11]
	v_lshrrev_b32_e32 v27, 3, v19
	v_sub_u32_e32 v10, 29, v29
	v_and_b32_e32 v24, 7, v24
	v_cmp_gt_u32_e32 vcc, 8, v19
	v_cndmask_b32_e32 v10, v27, v10, vcc
	v_cndmask_b32_e32 v19, v26, v24, vcc
	v_lshlrev_b32_e32 v24, 16, v13
	v_bfrev_b32_e32 v25, 60
	v_lshlrev_b32_e32 v19, 20, v19
	v_and_b32_e32 v24, 0x80000000, v24
	v_lshl_add_u32 v10, v10, 23, v25
	v_or3_b32 v24, v24, v10, v19
.LBB595_577:
	s_or_b64 exec, exec, s[10:11]
.LBB595_578:
	s_or_b64 exec, exec, s[8:9]
.LBB595_579:
	s_or_b64 exec, exec, s[2:3]
	s_movk_i32 s2, 0xff
	v_and_b32_sdwa v19, v13, s2 dst_sel:DWORD dst_unused:UNUSED_PAD src0_sel:WORD_1 src1_sel:DWORD
	v_lshrrev_b32_e32 v10, 16, v13
	v_cmp_ne_u16_e32 vcc, 0, v19
	s_and_saveexec_b64 s[2:3], vcc
	s_cbranch_execz .LBB595_585
; %bb.580:
	s_movk_i32 s7, 0x80
	v_cmp_ne_u16_e32 vcc, s7, v19
	v_bfrev_b32_e32 v12, 1
	s_and_saveexec_b64 s[8:9], vcc
	s_cbranch_execz .LBB595_584
; %bb.581:
	v_bfe_u32 v19, v13, 16, 7
	s_movk_i32 s7, 0x7f
	v_cmp_ne_u32_e32 vcc, s7, v19
	v_mov_b32_e32 v12, 0x7f800001
	s_and_saveexec_b64 s[10:11], vcc
	s_cbranch_execz .LBB595_583
; %bb.582:
	v_and_b32_e32 v12, 7, v10
	v_ffbh_u32_e32 v26, v12
	v_min_u32_e32 v29, 32, v26
	v_subrev_u32_e32 v26, 28, v29
	v_lshlrev_b64 v[26:27], v26, v[10:11]
	v_lshrrev_b32_e32 v25, 3, v19
	v_sub_u32_e32 v10, 29, v29
	v_and_b32_e32 v26, 7, v26
	v_cmp_gt_u32_e32 vcc, 8, v19
	v_mov_b32_e32 v19, 24
	v_cndmask_b32_e32 v10, v25, v10, vcc
	v_cndmask_b32_e32 v12, v12, v26, vcc
	v_lshlrev_b32_sdwa v19, v19, v13 dst_sel:DWORD dst_unused:UNUSED_PAD src0_sel:DWORD src1_sel:WORD_1
	v_bfrev_b32_e32 v25, 60
	v_lshlrev_b32_e32 v12, 20, v12
	v_and_b32_e32 v19, 0x80000000, v19
	v_lshl_add_u32 v10, v10, 23, v25
	v_or3_b32 v12, v19, v10, v12
.LBB595_583:
	s_or_b64 exec, exec, s[10:11]
.LBB595_584:
	s_or_b64 exec, exec, s[8:9]
.LBB595_585:
	s_or_b64 exec, exec, s[2:3]
	s_mov_b32 s2, 0xffffff
	v_cmp_lt_u32_e32 vcc, s2, v13
	v_mov_b32_e32 v19, 0
	v_mov_b32_e32 v25, 0
	s_and_saveexec_b64 s[2:3], vcc
	s_cbranch_execz .LBB595_591
; %bb.586:
	v_lshrrev_b32_e32 v10, 24, v13
	s_movk_i32 s7, 0x80
	v_cmp_ne_u32_e32 vcc, s7, v10
	v_bfrev_b32_e32 v25, 1
	s_and_saveexec_b64 s[8:9], vcc
	s_cbranch_execz .LBB595_590
; %bb.587:
	v_bfe_u32 v13, v13, 24, 7
	s_movk_i32 s7, 0x7f
	v_cmp_ne_u32_e32 vcc, s7, v13
	v_mov_b32_e32 v25, 0x7f800001
	s_and_saveexec_b64 s[10:11], vcc
	s_cbranch_execz .LBB595_589
; %bb.588:
	v_and_b32_e32 v25, 7, v10
	v_ffbh_u32_e32 v26, v25
	v_min_u32_e32 v30, 32, v26
	v_subrev_u32_e32 v26, 28, v30
	v_lshlrev_b64 v[26:27], v26, v[10:11]
	v_lshrrev_b32_e32 v29, 3, v13
	v_sub_u32_e32 v27, 29, v30
	v_and_b32_e32 v26, 7, v26
	v_cmp_gt_u32_e32 vcc, 8, v13
	v_cndmask_b32_e32 v13, v29, v27, vcc
	v_cndmask_b32_e32 v25, v25, v26, vcc
	v_lshlrev_b32_e32 v10, 24, v10
	v_bfrev_b32_e32 v26, 60
	v_lshlrev_b32_e32 v25, 20, v25
	v_and_b32_e32 v10, 0x80000000, v10
	v_lshl_add_u32 v13, v13, 23, v26
	v_or3_b32 v25, v10, v13, v25
.LBB595_589:
	s_or_b64 exec, exec, s[10:11]
.LBB595_590:
	s_or_b64 exec, exec, s[8:9]
.LBB595_591:
	s_or_b64 exec, exec, s[2:3]
	v_cvt_pkrtz_f16_f32 v10, v18, v20
	v_cvt_pkrtz_f16_f32 v11, v11, v23
	ds_read_b128 v[30:33], v22 offset:2064
	s_waitcnt vmcnt(1)
	v_cmp_ne_u16_sdwa s[8:9], v6, v19 src0_sel:BYTE_0 src1_sel:DWORD
	s_waitcnt lgkmcnt(0)
	v_mfma_f32_16x16x16f16 v[14:17], v[10:11], v[30:31], v[14:17]
	v_cvt_pkrtz_f16_f32 v10, v21, v24
	v_cvt_pkrtz_f16_f32 v11, v12, v25
	s_nop 1
	v_mfma_f32_16x16x16f16 v[10:13], v[10:11], v[32:33], v[14:17]
	s_and_saveexec_b64 s[2:3], s[8:9]
	s_cbranch_execz .LBB595_597
; %bb.592:
	s_movk_i32 s7, 0x80
	v_cmp_ne_u16_sdwa s[10:11], v6, s7 src0_sel:BYTE_0 src1_sel:DWORD
	v_bfrev_b32_e32 v19, 1
	s_and_saveexec_b64 s[8:9], s[10:11]
	s_cbranch_execz .LBB595_596
; %bb.593:
	s_movk_i32 s7, 0x7f
	v_and_b32_e32 v14, 0x7f, v6
	v_cmp_ne_u32_e32 vcc, s7, v14
	v_mov_b32_e32 v19, 0x7f800001
	s_and_saveexec_b64 s[10:11], vcc
	s_cbranch_execz .LBB595_595
; %bb.594:
	v_and_b32_e32 v15, 7, v6
	v_ffbh_u32_e32 v16, v15
	v_min_u32_e32 v19, 32, v16
	v_subrev_u32_e32 v16, 28, v19
	v_lshlrev_b64 v[16:17], v16, v[6:7]
	v_lshrrev_b32_e32 v18, 3, v14
	v_sub_u32_e32 v17, 29, v19
	v_and_b32_e32 v16, 7, v16
	v_cmp_gt_u32_e32 vcc, 8, v14
	v_cndmask_b32_e32 v14, v18, v17, vcc
	v_cndmask_b32_e32 v15, v15, v16, vcc
	v_lshlrev_b32_e32 v16, 24, v6
	v_bfrev_b32_e32 v17, 60
	v_lshlrev_b32_e32 v15, 20, v15
	v_and_b32_e32 v16, 0x80000000, v16
	v_lshl_add_u32 v14, v14, 23, v17
	v_or3_b32 v19, v16, v14, v15
.LBB595_595:
	s_or_b64 exec, exec, s[10:11]
.LBB595_596:
	s_or_b64 exec, exec, s[8:9]
.LBB595_597:
	s_or_b64 exec, exec, s[2:3]
	s_nop 3
	v_lshrrev_b16_e32 v14, 8, v6
	v_cmp_ne_u16_e32 vcc, 0, v14
	v_mov_b32_e32 v15, 0
	v_mov_b32_e32 v16, 0
	s_and_saveexec_b64 s[2:3], vcc
	s_cbranch_execz .LBB595_603
; %bb.598:
	s_movk_i32 s7, 0x80
	v_cmp_ne_u16_e32 vcc, s7, v14
	v_bfrev_b32_e32 v16, 1
	s_and_saveexec_b64 s[8:9], vcc
	s_cbranch_execz .LBB595_602
; %bb.599:
	s_movk_i32 s7, 0x7f
	v_and_b32_e32 v17, 0x7f, v14
	v_cmp_ne_u32_e32 vcc, s7, v17
	v_mov_b32_e32 v16, 0x7f800001
	s_and_saveexec_b64 s[10:11], vcc
	s_cbranch_execz .LBB595_601
; %bb.600:
	v_and_b32_e32 v16, 7, v14
	v_ffbh_u32_e32 v20, v16
	v_min_u32_e32 v23, 32, v20
	v_subrev_u32_e32 v20, 28, v23
	v_lshlrev_b64 v[20:21], v20, v[14:15]
	v_lshrrev_b32_e32 v18, 3, v17
	v_sub_u32_e32 v14, 29, v23
	v_and_b32_e32 v20, 7, v20
	v_cmp_gt_u32_e32 vcc, 8, v17
	v_cndmask_b32_e32 v14, v18, v14, vcc
	v_cndmask_b32_e32 v16, v16, v20, vcc
	v_lshlrev_b32_e32 v17, 16, v6
	v_bfrev_b32_e32 v18, 60
	v_lshlrev_b32_e32 v16, 20, v16
	v_and_b32_e32 v17, 0x80000000, v17
	v_lshl_add_u32 v14, v14, 23, v18
	v_or3_b32 v16, v17, v14, v16
.LBB595_601:
	s_or_b64 exec, exec, s[10:11]
.LBB595_602:
	s_or_b64 exec, exec, s[8:9]
.LBB595_603:
	s_or_b64 exec, exec, s[2:3]
	s_movk_i32 s2, 0xff
	v_and_b32_sdwa v17, v6, s2 dst_sel:DWORD dst_unused:UNUSED_PAD src0_sel:WORD_1 src1_sel:DWORD
	v_lshrrev_b32_e32 v14, 16, v6
	v_cmp_ne_u16_e32 vcc, 0, v17
	s_and_saveexec_b64 s[2:3], vcc
	s_cbranch_execz .LBB595_609
; %bb.604:
	s_movk_i32 s7, 0x80
	v_cmp_ne_u16_e32 vcc, s7, v17
	v_bfrev_b32_e32 v15, 1
	s_and_saveexec_b64 s[8:9], vcc
	s_cbranch_execz .LBB595_608
; %bb.605:
	v_bfe_u32 v17, v6, 16, 7
	s_movk_i32 s7, 0x7f
	v_cmp_ne_u32_e32 vcc, s7, v17
	v_mov_b32_e32 v15, 0x7f800001
	s_and_saveexec_b64 s[10:11], vcc
	s_cbranch_execz .LBB595_607
; %bb.606:
	v_and_b32_e32 v18, 7, v14
	v_ffbh_u32_e32 v15, v18
	v_min_u32_e32 v21, 32, v15
	v_subrev_u32_e32 v15, 28, v21
	v_lshlrev_b64 v[14:15], v15, v[14:15]
	v_lshrrev_b32_e32 v20, 3, v17
	v_sub_u32_e32 v15, 29, v21
	v_and_b32_e32 v14, 7, v14
	v_cmp_gt_u32_e32 vcc, 8, v17
	v_mov_b32_e32 v17, 24
	v_cndmask_b32_e32 v15, v20, v15, vcc
	v_cndmask_b32_e32 v14, v18, v14, vcc
	v_lshlrev_b32_sdwa v17, v17, v6 dst_sel:DWORD dst_unused:UNUSED_PAD src0_sel:DWORD src1_sel:WORD_1
	v_bfrev_b32_e32 v18, 60
	v_lshlrev_b32_e32 v14, 20, v14
	v_and_b32_e32 v17, 0x80000000, v17
	v_lshl_add_u32 v15, v15, 23, v18
	v_or3_b32 v15, v17, v15, v14
.LBB595_607:
	s_or_b64 exec, exec, s[10:11]
.LBB595_608:
	s_or_b64 exec, exec, s[8:9]
.LBB595_609:
	s_or_b64 exec, exec, s[2:3]
	s_mov_b32 s2, 0xffffff
	v_cmp_lt_u32_e32 vcc, s2, v6
	v_mov_b32_e32 v17, 0
	v_mov_b32_e32 v18, 0
	s_and_saveexec_b64 s[2:3], vcc
	s_cbranch_execz .LBB595_615
; %bb.610:
	v_lshrrev_b32_e32 v14, 24, v6
	s_movk_i32 s7, 0x80
	v_cmp_ne_u32_e32 vcc, s7, v14
	v_bfrev_b32_e32 v18, 1
	s_and_saveexec_b64 s[8:9], vcc
	s_cbranch_execz .LBB595_614
; %bb.611:
	v_bfe_u32 v6, v6, 24, 7
	s_movk_i32 s7, 0x7f
	v_cmp_ne_u32_e32 vcc, s7, v6
	v_mov_b32_e32 v18, 0x7f800001
	s_and_saveexec_b64 s[10:11], vcc
	s_cbranch_execz .LBB595_613
; %bb.612:
	v_and_b32_e32 v18, 7, v14
	v_ffbh_u32_e32 v20, v18
	v_min_u32_e32 v24, 32, v20
	v_subrev_u32_e32 v20, 28, v24
	v_lshlrev_b64 v[20:21], v20, v[14:15]
	v_lshrrev_b32_e32 v23, 3, v6
	v_sub_u32_e32 v21, 29, v24
	v_and_b32_e32 v20, 7, v20
	v_cmp_gt_u32_e32 vcc, 8, v6
	v_cndmask_b32_e32 v6, v23, v21, vcc
	v_cndmask_b32_e32 v18, v18, v20, vcc
	v_lshlrev_b32_e32 v14, 24, v14
	v_bfrev_b32_e32 v20, 60
	v_lshlrev_b32_e32 v18, 20, v18
	v_and_b32_e32 v14, 0x80000000, v14
	v_lshl_add_u32 v6, v6, 23, v20
	v_or3_b32 v18, v14, v6, v18
.LBB595_613:
	s_or_b64 exec, exec, s[10:11]
.LBB595_614:
	s_or_b64 exec, exec, s[8:9]
.LBB595_615:
	s_or_b64 exec, exec, s[2:3]
	v_cmp_ne_u16_sdwa s[8:9], v7, v17 src0_sel:BYTE_0 src1_sel:DWORD
	s_and_saveexec_b64 s[2:3], s[8:9]
	s_cbranch_execz .LBB595_621
; %bb.616:
	s_movk_i32 s7, 0x80
	v_cmp_ne_u16_sdwa s[10:11], v7, s7 src0_sel:BYTE_0 src1_sel:DWORD
	v_bfrev_b32_e32 v17, 1
	s_and_saveexec_b64 s[8:9], s[10:11]
	s_cbranch_execz .LBB595_620
; %bb.617:
	s_movk_i32 s7, 0x7f
	v_and_b32_e32 v6, 0x7f, v7
	v_cmp_ne_u32_e32 vcc, s7, v6
	v_mov_b32_e32 v17, 0x7f800001
	s_and_saveexec_b64 s[10:11], vcc
	s_cbranch_execz .LBB595_619
; %bb.618:
	v_and_b32_e32 v17, 7, v7
	v_ffbh_u32_e32 v20, v17
	v_min_u32_e32 v24, 32, v20
	v_mov_b32_e32 v14, v7
	v_subrev_u32_e32 v20, 28, v24
	v_lshlrev_b64 v[20:21], v20, v[14:15]
	v_lshrrev_b32_e32 v23, 3, v6
	v_sub_u32_e32 v14, 29, v24
	v_and_b32_e32 v20, 7, v20
	v_cmp_gt_u32_e32 vcc, 8, v6
	v_cndmask_b32_e32 v6, v23, v14, vcc
	v_cndmask_b32_e32 v14, v17, v20, vcc
	v_lshlrev_b32_e32 v17, 24, v7
	v_bfrev_b32_e32 v20, 60
	v_lshlrev_b32_e32 v14, 20, v14
	v_and_b32_e32 v17, 0x80000000, v17
	v_lshl_add_u32 v6, v6, 23, v20
	v_or3_b32 v17, v17, v6, v14
.LBB595_619:
	s_or_b64 exec, exec, s[10:11]
.LBB595_620:
	s_or_b64 exec, exec, s[8:9]
.LBB595_621:
	s_or_b64 exec, exec, s[2:3]
	v_lshrrev_b16_e32 v6, 8, v7
	v_cmp_ne_u16_e32 vcc, 0, v6
	v_mov_b32_e32 v20, 0
	v_mov_b32_e32 v21, 0
	s_and_saveexec_b64 s[2:3], vcc
	s_cbranch_execz .LBB595_627
; %bb.622:
	s_movk_i32 s7, 0x80
	v_cmp_ne_u16_e32 vcc, s7, v6
	v_bfrev_b32_e32 v21, 1
	s_and_saveexec_b64 s[8:9], vcc
	s_cbranch_execz .LBB595_626
; %bb.623:
	s_movk_i32 s7, 0x7f
	v_and_b32_e32 v14, 0x7f, v6
	v_cmp_ne_u32_e32 vcc, s7, v14
	v_mov_b32_e32 v21, 0x7f800001
	s_and_saveexec_b64 s[10:11], vcc
	s_cbranch_execz .LBB595_625
; %bb.624:
	v_and_b32_e32 v21, 7, v6
	v_ffbh_u32_e32 v24, v21
	v_min_u32_e32 v26, 32, v24
	v_subrev_u32_e32 v24, 28, v26
	v_lshlrev_b64 v[24:25], v24, v[6:7]
	v_lshrrev_b32_e32 v23, 3, v14
	v_sub_u32_e32 v6, 29, v26
	v_and_b32_e32 v24, 7, v24
	v_cmp_gt_u32_e32 vcc, 8, v14
	v_cndmask_b32_e32 v6, v23, v6, vcc
	v_cndmask_b32_e32 v14, v21, v24, vcc
	v_lshlrev_b32_e32 v21, 16, v7
	v_bfrev_b32_e32 v23, 60
	v_lshlrev_b32_e32 v14, 20, v14
	v_and_b32_e32 v21, 0x80000000, v21
	v_lshl_add_u32 v6, v6, 23, v23
	v_or3_b32 v21, v21, v6, v14
.LBB595_625:
	s_or_b64 exec, exec, s[10:11]
.LBB595_626:
	s_or_b64 exec, exec, s[8:9]
.LBB595_627:
	s_or_b64 exec, exec, s[2:3]
	s_movk_i32 s2, 0xff
	v_and_b32_sdwa v14, v7, s2 dst_sel:DWORD dst_unused:UNUSED_PAD src0_sel:WORD_1 src1_sel:DWORD
	v_lshrrev_b32_e32 v6, 16, v7
	v_cmp_ne_u16_e32 vcc, 0, v14
	s_and_saveexec_b64 s[2:3], vcc
	s_cbranch_execz .LBB595_633
; %bb.628:
	s_movk_i32 s7, 0x80
	v_cmp_ne_u16_e32 vcc, s7, v14
	v_bfrev_b32_e32 v20, 1
	s_and_saveexec_b64 s[8:9], vcc
	s_cbranch_execz .LBB595_632
; %bb.629:
	v_bfe_u32 v14, v7, 16, 7
	s_movk_i32 s7, 0x7f
	v_cmp_ne_u32_e32 vcc, s7, v14
	v_mov_b32_e32 v20, 0x7f800001
	s_and_saveexec_b64 s[10:11], vcc
	s_cbranch_execz .LBB595_631
; %bb.630:
	v_and_b32_e32 v20, 7, v6
	v_ffbh_u32_e32 v24, v20
	v_min_u32_e32 v26, 32, v24
	v_subrev_u32_e32 v24, 28, v26
	v_lshlrev_b64 v[24:25], v24, v[6:7]
	v_and_b32_e32 v24, 7, v24
	v_cmp_gt_u32_e32 vcc, 8, v14
	v_lshrrev_b32_e32 v23, 3, v14
	v_sub_u32_e32 v6, 29, v26
	v_cndmask_b32_e32 v14, v20, v24, vcc
	v_mov_b32_e32 v20, 24
	v_cndmask_b32_e32 v6, v23, v6, vcc
	v_lshlrev_b32_sdwa v20, v20, v7 dst_sel:DWORD dst_unused:UNUSED_PAD src0_sel:DWORD src1_sel:WORD_1
	v_bfrev_b32_e32 v23, 60
	v_lshlrev_b32_e32 v14, 20, v14
	v_and_b32_e32 v20, 0x80000000, v20
	v_lshl_add_u32 v6, v6, 23, v23
	v_or3_b32 v20, v20, v6, v14
.LBB595_631:
	s_or_b64 exec, exec, s[10:11]
.LBB595_632:
	s_or_b64 exec, exec, s[8:9]
.LBB595_633:
	s_or_b64 exec, exec, s[2:3]
	s_mov_b32 s2, 0xffffff
	v_cmp_lt_u32_e32 vcc, s2, v7
	v_mov_b32_e32 v14, 0
	v_mov_b32_e32 v23, 0
	s_and_saveexec_b64 s[2:3], vcc
	s_cbranch_execz .LBB595_639
; %bb.634:
	v_lshrrev_b32_e32 v6, 24, v7
	s_movk_i32 s7, 0x80
	v_cmp_ne_u32_e32 vcc, s7, v6
	v_bfrev_b32_e32 v23, 1
	s_and_saveexec_b64 s[8:9], vcc
	s_cbranch_execz .LBB595_638
; %bb.635:
	v_bfe_u32 v7, v7, 24, 7
	s_movk_i32 s7, 0x7f
	v_cmp_ne_u32_e32 vcc, s7, v7
	v_mov_b32_e32 v23, 0x7f800001
	s_and_saveexec_b64 s[10:11], vcc
	s_cbranch_execz .LBB595_637
; %bb.636:
	v_and_b32_e32 v23, 7, v6
	v_ffbh_u32_e32 v24, v23
	v_min_u32_e32 v27, 32, v24
	v_subrev_u32_e32 v24, 28, v27
	v_lshlrev_b64 v[24:25], v24, v[6:7]
	v_lshrrev_b32_e32 v26, 3, v7
	v_sub_u32_e32 v25, 29, v27
	v_and_b32_e32 v24, 7, v24
	v_cmp_gt_u32_e32 vcc, 8, v7
	v_cndmask_b32_e32 v7, v26, v25, vcc
	v_cndmask_b32_e32 v23, v23, v24, vcc
	v_lshlrev_b32_e32 v6, 24, v6
	v_bfrev_b32_e32 v24, 60
	v_lshlrev_b32_e32 v23, 20, v23
	v_and_b32_e32 v6, 0x80000000, v6
	v_lshl_add_u32 v7, v7, 23, v24
	v_or3_b32 v23, v6, v7, v23
.LBB595_637:
	s_or_b64 exec, exec, s[10:11]
.LBB595_638:
	s_or_b64 exec, exec, s[8:9]
.LBB595_639:
	s_or_b64 exec, exec, s[2:3]
	v_cvt_pkrtz_f16_f32 v6, v19, v16
	v_cvt_pkrtz_f16_f32 v7, v15, v18
	ds_read_b128 v[24:27], v22 offset:4096
	v_cmp_ne_u16_sdwa s[8:9], v8, v14 src0_sel:BYTE_0 src1_sel:DWORD
	s_waitcnt lgkmcnt(0)
	v_mfma_f32_16x16x16f16 v[10:13], v[6:7], v[24:25], v[10:13]
	v_cvt_pkrtz_f16_f32 v6, v17, v21
	v_cvt_pkrtz_f16_f32 v7, v20, v23
	s_nop 1
	v_mfma_f32_16x16x16f16 v[10:13], v[6:7], v[26:27], v[10:13]
	s_and_saveexec_b64 s[2:3], s[8:9]
	s_cbranch_execz .LBB595_645
; %bb.640:
	s_movk_i32 s7, 0x80
	v_cmp_ne_u16_sdwa s[10:11], v8, s7 src0_sel:BYTE_0 src1_sel:DWORD
	v_bfrev_b32_e32 v14, 1
	s_and_saveexec_b64 s[8:9], s[10:11]
	s_cbranch_execz .LBB595_644
; %bb.641:
	s_movk_i32 s7, 0x7f
	v_and_b32_e32 v6, 0x7f, v8
	v_cmp_ne_u32_e32 vcc, s7, v6
	v_mov_b32_e32 v14, 0x7f800001
	s_and_saveexec_b64 s[10:11], vcc
	s_cbranch_execz .LBB595_643
; %bb.642:
	v_and_b32_e32 v7, 7, v8
	v_ffbh_u32_e32 v14, v7
	v_min_u32_e32 v17, 32, v14
	v_subrev_u32_e32 v14, 28, v17
	v_lshlrev_b64 v[14:15], v14, v[8:9]
	v_lshrrev_b32_e32 v16, 3, v6
	v_sub_u32_e32 v15, 29, v17
	v_and_b32_e32 v14, 7, v14
	v_cmp_gt_u32_e32 vcc, 8, v6
	v_cndmask_b32_e32 v6, v16, v15, vcc
	v_cndmask_b32_e32 v7, v7, v14, vcc
	v_lshlrev_b32_e32 v14, 24, v8
	v_bfrev_b32_e32 v15, 60
	v_lshlrev_b32_e32 v7, 20, v7
	v_and_b32_e32 v14, 0x80000000, v14
	v_lshl_add_u32 v6, v6, 23, v15
	v_or3_b32 v14, v14, v6, v7
.LBB595_643:
	s_or_b64 exec, exec, s[10:11]
.LBB595_644:
	s_or_b64 exec, exec, s[8:9]
.LBB595_645:
	s_or_b64 exec, exec, s[2:3]
	v_lshrrev_b16_e32 v6, 8, v8
	v_cmp_ne_u16_e32 vcc, 0, v6
	v_mov_b32_e32 v7, 0
	v_mov_b32_e32 v16, 0
	s_and_saveexec_b64 s[2:3], vcc
	s_cbranch_execz .LBB595_651
; %bb.646:
	s_movk_i32 s7, 0x80
	v_cmp_ne_u16_e32 vcc, s7, v6
	v_bfrev_b32_e32 v16, 1
	s_and_saveexec_b64 s[8:9], vcc
	s_cbranch_execz .LBB595_650
; %bb.647:
	s_movk_i32 s7, 0x7f
	v_and_b32_e32 v15, 0x7f, v6
	v_cmp_ne_u32_e32 vcc, s7, v15
	v_mov_b32_e32 v16, 0x7f800001
	s_and_saveexec_b64 s[10:11], vcc
	s_cbranch_execz .LBB595_649
; %bb.648:
	v_and_b32_e32 v18, 7, v6
	v_ffbh_u32_e32 v16, v18
	v_min_u32_e32 v20, 32, v16
	v_subrev_u32_e32 v16, 28, v20
	v_lshlrev_b64 v[16:17], v16, v[6:7]
	v_lshrrev_b32_e32 v19, 3, v15
	v_sub_u32_e32 v6, 29, v20
	v_and_b32_e32 v16, 7, v16
	v_cmp_gt_u32_e32 vcc, 8, v15
	v_cndmask_b32_e32 v6, v19, v6, vcc
	v_cndmask_b32_e32 v15, v18, v16, vcc
	v_lshlrev_b32_e32 v16, 16, v8
	v_bfrev_b32_e32 v17, 60
	v_lshlrev_b32_e32 v15, 20, v15
	v_and_b32_e32 v16, 0x80000000, v16
	v_lshl_add_u32 v6, v6, 23, v17
	v_or3_b32 v16, v16, v6, v15
.LBB595_649:
	s_or_b64 exec, exec, s[10:11]
.LBB595_650:
	s_or_b64 exec, exec, s[8:9]
.LBB595_651:
	s_or_b64 exec, exec, s[2:3]
	s_movk_i32 s2, 0xff
	v_and_b32_sdwa v15, v8, s2 dst_sel:DWORD dst_unused:UNUSED_PAD src0_sel:WORD_1 src1_sel:DWORD
	v_lshrrev_b32_e32 v6, 16, v8
	v_cmp_ne_u16_e32 vcc, 0, v15
	s_and_saveexec_b64 s[2:3], vcc
	s_cbranch_execz .LBB595_657
; %bb.652:
	s_movk_i32 s7, 0x80
	v_cmp_ne_u16_e32 vcc, s7, v15
	v_bfrev_b32_e32 v7, 1
	s_and_saveexec_b64 s[8:9], vcc
	s_cbranch_execz .LBB595_656
; %bb.653:
	v_bfe_u32 v15, v8, 16, 7
	s_movk_i32 s7, 0x7f
	v_cmp_ne_u32_e32 vcc, s7, v15
	v_mov_b32_e32 v7, 0x7f800001
	s_and_saveexec_b64 s[10:11], vcc
	s_cbranch_execz .LBB595_655
; %bb.654:
	v_and_b32_e32 v17, 7, v6
	v_ffbh_u32_e32 v7, v17
	v_min_u32_e32 v19, 32, v7
	v_subrev_u32_e32 v7, 28, v19
	v_lshlrev_b64 v[6:7], v7, v[6:7]
	v_lshrrev_b32_e32 v18, 3, v15
	v_sub_u32_e32 v7, 29, v19
	v_and_b32_e32 v6, 7, v6
	v_cmp_gt_u32_e32 vcc, 8, v15
	v_mov_b32_e32 v15, 24
	v_cndmask_b32_e32 v7, v18, v7, vcc
	v_cndmask_b32_e32 v6, v17, v6, vcc
	v_lshlrev_b32_sdwa v15, v15, v8 dst_sel:DWORD dst_unused:UNUSED_PAD src0_sel:DWORD src1_sel:WORD_1
	v_bfrev_b32_e32 v17, 60
	v_lshlrev_b32_e32 v6, 20, v6
	v_and_b32_e32 v15, 0x80000000, v15
	v_lshl_add_u32 v7, v7, 23, v17
	v_or3_b32 v7, v15, v7, v6
.LBB595_655:
	s_or_b64 exec, exec, s[10:11]
.LBB595_656:
	s_or_b64 exec, exec, s[8:9]
.LBB595_657:
	s_or_b64 exec, exec, s[2:3]
	s_mov_b32 s2, 0xffffff
	v_cmp_lt_u32_e32 vcc, s2, v8
	v_mov_b32_e32 v17, 0
	v_mov_b32_e32 v18, 0
	s_and_saveexec_b64 s[2:3], vcc
	s_cbranch_execz .LBB595_663
; %bb.658:
	v_lshrrev_b32_e32 v6, 24, v8
	s_movk_i32 s7, 0x80
	v_cmp_ne_u32_e32 vcc, s7, v6
	v_bfrev_b32_e32 v18, 1
	s_and_saveexec_b64 s[8:9], vcc
	s_cbranch_execz .LBB595_662
; %bb.659:
	v_bfe_u32 v8, v8, 24, 7
	s_movk_i32 s7, 0x7f
	v_cmp_ne_u32_e32 vcc, s7, v8
	v_mov_b32_e32 v18, 0x7f800001
	s_and_saveexec_b64 s[10:11], vcc
	s_cbranch_execz .LBB595_661
; %bb.660:
	v_and_b32_e32 v15, 7, v6
	v_ffbh_u32_e32 v18, v15
	v_min_u32_e32 v21, 32, v18
	v_subrev_u32_e32 v18, 28, v21
	v_lshlrev_b64 v[18:19], v18, v[6:7]
	v_lshrrev_b32_e32 v20, 3, v8
	v_sub_u32_e32 v19, 29, v21
	v_and_b32_e32 v18, 7, v18
	v_cmp_gt_u32_e32 vcc, 8, v8
	v_cndmask_b32_e32 v8, v20, v19, vcc
	v_cndmask_b32_e32 v15, v15, v18, vcc
	v_lshlrev_b32_e32 v6, 24, v6
	v_bfrev_b32_e32 v18, 60
	v_lshlrev_b32_e32 v15, 20, v15
	v_and_b32_e32 v6, 0x80000000, v6
	v_lshl_add_u32 v8, v8, 23, v18
	v_or3_b32 v18, v6, v8, v15
.LBB595_661:
	s_or_b64 exec, exec, s[10:11]
.LBB595_662:
	s_or_b64 exec, exec, s[8:9]
.LBB595_663:
	s_or_b64 exec, exec, s[2:3]
	v_cmp_ne_u16_sdwa s[8:9], v9, v17 src0_sel:BYTE_0 src1_sel:DWORD
	s_and_saveexec_b64 s[2:3], s[8:9]
	s_cbranch_execz .LBB595_669
; %bb.664:
	s_movk_i32 s7, 0x80
	v_cmp_ne_u16_sdwa s[10:11], v9, s7 src0_sel:BYTE_0 src1_sel:DWORD
	v_bfrev_b32_e32 v17, 1
	s_and_saveexec_b64 s[8:9], s[10:11]
	s_cbranch_execz .LBB595_668
; %bb.665:
	s_movk_i32 s7, 0x7f
	v_and_b32_e32 v6, 0x7f, v9
	v_cmp_ne_u32_e32 vcc, s7, v6
	v_mov_b32_e32 v17, 0x7f800001
	s_and_saveexec_b64 s[10:11], vcc
	s_cbranch_execz .LBB595_667
; %bb.666:
	v_and_b32_e32 v15, 7, v9
	v_ffbh_u32_e32 v19, v15
	v_min_u32_e32 v19, 32, v19
	v_mov_b32_e32 v8, v9
	v_subrev_u32_e32 v20, 28, v19
	v_lshlrev_b64 v[20:21], v20, v[8:9]
	v_lshrrev_b32_e32 v17, 3, v6
	v_sub_u32_e32 v8, 29, v19
	v_and_b32_e32 v19, 7, v20
	v_cmp_gt_u32_e32 vcc, 8, v6
	v_cndmask_b32_e32 v6, v17, v8, vcc
	v_cndmask_b32_e32 v8, v15, v19, vcc
	v_lshlrev_b32_e32 v15, 24, v9
	v_bfrev_b32_e32 v17, 60
	v_lshlrev_b32_e32 v8, 20, v8
	v_and_b32_e32 v15, 0x80000000, v15
	v_lshl_add_u32 v6, v6, 23, v17
	v_or3_b32 v17, v15, v6, v8
.LBB595_667:
	s_or_b64 exec, exec, s[10:11]
.LBB595_668:
	s_or_b64 exec, exec, s[8:9]
.LBB595_669:
	s_or_b64 exec, exec, s[2:3]
	v_lshrrev_b16_e32 v6, 8, v9
	v_cmp_ne_u16_e32 vcc, 0, v6
	v_mov_b32_e32 v8, 0
	v_mov_b32_e32 v19, 0
	s_and_saveexec_b64 s[2:3], vcc
	s_cbranch_execz .LBB595_675
; %bb.670:
	s_movk_i32 s7, 0x80
	v_cmp_ne_u16_e32 vcc, s7, v6
	v_bfrev_b32_e32 v19, 1
	s_and_saveexec_b64 s[8:9], vcc
	s_cbranch_execz .LBB595_674
; %bb.671:
	s_movk_i32 s7, 0x7f
	v_and_b32_e32 v15, 0x7f, v6
	v_cmp_ne_u32_e32 vcc, s7, v15
	v_mov_b32_e32 v19, 0x7f800001
	s_and_saveexec_b64 s[10:11], vcc
	s_cbranch_execz .LBB595_673
; %bb.672:
	v_and_b32_e32 v19, 7, v6
	v_ffbh_u32_e32 v20, v19
	v_min_u32_e32 v24, 32, v20
	v_subrev_u32_e32 v20, 28, v24
	v_lshlrev_b64 v[20:21], v20, v[6:7]
	v_lshrrev_b32_e32 v23, 3, v15
	v_sub_u32_e32 v6, 29, v24
	v_and_b32_e32 v20, 7, v20
	v_cmp_gt_u32_e32 vcc, 8, v15
	v_cndmask_b32_e32 v6, v23, v6, vcc
	v_cndmask_b32_e32 v15, v19, v20, vcc
	v_lshlrev_b32_e32 v19, 16, v9
	v_bfrev_b32_e32 v20, 60
	v_lshlrev_b32_e32 v15, 20, v15
	v_and_b32_e32 v19, 0x80000000, v19
	v_lshl_add_u32 v6, v6, 23, v20
	v_or3_b32 v19, v19, v6, v15
.LBB595_673:
	s_or_b64 exec, exec, s[10:11]
.LBB595_674:
	s_or_b64 exec, exec, s[8:9]
.LBB595_675:
	s_or_b64 exec, exec, s[2:3]
	s_movk_i32 s2, 0xff
	v_and_b32_sdwa v15, v9, s2 dst_sel:DWORD dst_unused:UNUSED_PAD src0_sel:WORD_1 src1_sel:DWORD
	v_lshrrev_b32_e32 v6, 16, v9
	v_cmp_ne_u16_e32 vcc, 0, v15
	s_and_saveexec_b64 s[2:3], vcc
	s_cbranch_execz .LBB595_681
; %bb.676:
	s_movk_i32 s7, 0x80
	v_cmp_ne_u16_e32 vcc, s7, v15
	v_bfrev_b32_e32 v8, 1
	s_and_saveexec_b64 s[8:9], vcc
	s_cbranch_execz .LBB595_680
; %bb.677:
	v_bfe_u32 v15, v9, 16, 7
	s_movk_i32 s7, 0x7f
	v_cmp_ne_u32_e32 vcc, s7, v15
	v_mov_b32_e32 v8, 0x7f800001
	s_and_saveexec_b64 s[10:11], vcc
	s_cbranch_execz .LBB595_679
; %bb.678:
	v_and_b32_e32 v8, 7, v6
	v_ffbh_u32_e32 v20, v8
	v_min_u32_e32 v24, 32, v20
	v_subrev_u32_e32 v20, 28, v24
	v_lshlrev_b64 v[20:21], v20, v[6:7]
	v_lshrrev_b32_e32 v23, 3, v15
	v_sub_u32_e32 v6, 29, v24
	v_and_b32_e32 v20, 7, v20
	v_cmp_gt_u32_e32 vcc, 8, v15
	v_mov_b32_e32 v15, 24
	v_cndmask_b32_e32 v6, v23, v6, vcc
	v_cndmask_b32_e32 v8, v8, v20, vcc
	v_lshlrev_b32_sdwa v15, v15, v9 dst_sel:DWORD dst_unused:UNUSED_PAD src0_sel:DWORD src1_sel:WORD_1
	v_bfrev_b32_e32 v20, 60
	v_lshlrev_b32_e32 v8, 20, v8
	v_and_b32_e32 v15, 0x80000000, v15
	v_lshl_add_u32 v6, v6, 23, v20
	v_or3_b32 v8, v15, v6, v8
.LBB595_679:
	s_or_b64 exec, exec, s[10:11]
.LBB595_680:
	s_or_b64 exec, exec, s[8:9]
.LBB595_681:
	s_or_b64 exec, exec, s[2:3]
	s_mov_b32 s2, 0xffffff
	v_cmp_lt_u32_e32 vcc, s2, v9
	v_mov_b32_e32 v15, 0
	v_mov_b32_e32 v20, 0
	s_and_saveexec_b64 s[2:3], vcc
	s_cbranch_execz .LBB595_687
; %bb.682:
	v_lshrrev_b32_e32 v6, 24, v9
	s_movk_i32 s7, 0x80
	v_cmp_ne_u32_e32 vcc, s7, v6
	v_bfrev_b32_e32 v20, 1
	s_and_saveexec_b64 s[8:9], vcc
	s_cbranch_execz .LBB595_686
; %bb.683:
	v_bfe_u32 v9, v9, 24, 7
	s_movk_i32 s7, 0x7f
	v_cmp_ne_u32_e32 vcc, s7, v9
	v_mov_b32_e32 v20, 0x7f800001
	s_and_saveexec_b64 s[10:11], vcc
	s_cbranch_execz .LBB595_685
; %bb.684:
	v_and_b32_e32 v23, 7, v6
	v_ffbh_u32_e32 v20, v23
	v_min_u32_e32 v25, 32, v20
	v_subrev_u32_e32 v20, 28, v25
	v_lshlrev_b64 v[20:21], v20, v[6:7]
	v_lshrrev_b32_e32 v24, 3, v9
	v_sub_u32_e32 v21, 29, v25
	v_and_b32_e32 v20, 7, v20
	v_cmp_gt_u32_e32 vcc, 8, v9
	v_cndmask_b32_e32 v9, v24, v21, vcc
	v_cndmask_b32_e32 v20, v23, v20, vcc
	v_lshlrev_b32_e32 v6, 24, v6
	v_bfrev_b32_e32 v21, 60
	v_lshlrev_b32_e32 v20, 20, v20
	v_and_b32_e32 v6, 0x80000000, v6
	v_lshl_add_u32 v9, v9, 23, v21
	v_or3_b32 v20, v6, v9, v20
.LBB595_685:
	s_or_b64 exec, exec, s[10:11]
.LBB595_686:
	s_or_b64 exec, exec, s[8:9]
.LBB595_687:
	s_or_b64 exec, exec, s[2:3]
	v_cvt_pkrtz_f16_f32 v6, v14, v16
	v_cvt_pkrtz_f16_f32 v7, v7, v18
	ds_read_b128 v[24:27], v22 offset:4112
	s_waitcnt vmcnt(0)
	v_cmp_ne_u16_sdwa s[8:9], v2, v15 src0_sel:BYTE_0 src1_sel:DWORD
	s_waitcnt lgkmcnt(0)
	v_mfma_f32_16x16x16f16 v[10:13], v[6:7], v[24:25], v[10:13]
	v_cvt_pkrtz_f16_f32 v6, v17, v19
	v_cvt_pkrtz_f16_f32 v7, v8, v20
	s_nop 1
	v_mfma_f32_16x16x16f16 v[6:9], v[6:7], v[26:27], v[10:13]
	s_and_saveexec_b64 s[2:3], s[8:9]
	s_cbranch_execz .LBB595_693
; %bb.688:
	s_movk_i32 s7, 0x80
	v_cmp_ne_u16_sdwa s[10:11], v2, s7 src0_sel:BYTE_0 src1_sel:DWORD
	v_bfrev_b32_e32 v15, 1
	s_and_saveexec_b64 s[8:9], s[10:11]
	s_cbranch_execz .LBB595_692
; %bb.689:
	s_movk_i32 s7, 0x7f
	v_and_b32_e32 v10, 0x7f, v2
	v_cmp_ne_u32_e32 vcc, s7, v10
	v_mov_b32_e32 v15, 0x7f800001
	s_and_saveexec_b64 s[10:11], vcc
	s_cbranch_execz .LBB595_691
; %bb.690:
	v_and_b32_e32 v11, 7, v2
	v_ffbh_u32_e32 v12, v11
	v_min_u32_e32 v15, 32, v12
	v_subrev_u32_e32 v12, 28, v15
	v_lshlrev_b64 v[12:13], v12, v[2:3]
	v_lshrrev_b32_e32 v14, 3, v10
	v_sub_u32_e32 v13, 29, v15
	v_and_b32_e32 v12, 7, v12
	v_cmp_gt_u32_e32 vcc, 8, v10
	v_cndmask_b32_e32 v10, v14, v13, vcc
	v_cndmask_b32_e32 v11, v11, v12, vcc
	v_lshlrev_b32_e32 v12, 24, v2
	v_bfrev_b32_e32 v13, 60
	v_lshlrev_b32_e32 v11, 20, v11
	v_and_b32_e32 v12, 0x80000000, v12
	v_lshl_add_u32 v10, v10, 23, v13
	v_or3_b32 v15, v12, v10, v11
.LBB595_691:
	s_or_b64 exec, exec, s[10:11]
.LBB595_692:
	s_or_b64 exec, exec, s[8:9]
.LBB595_693:
	s_or_b64 exec, exec, s[2:3]
	s_nop 3
	v_lshrrev_b16_e32 v10, 8, v2
	v_cmp_ne_u16_e32 vcc, 0, v10
	v_mov_b32_e32 v11, 0
	v_mov_b32_e32 v12, 0
	s_and_saveexec_b64 s[2:3], vcc
	s_cbranch_execz .LBB595_699
; %bb.694:
	s_movk_i32 s7, 0x80
	v_cmp_ne_u16_e32 vcc, s7, v10
	v_bfrev_b32_e32 v12, 1
	s_and_saveexec_b64 s[8:9], vcc
	s_cbranch_execz .LBB595_698
; %bb.695:
	s_movk_i32 s7, 0x7f
	v_and_b32_e32 v13, 0x7f, v10
	v_cmp_ne_u32_e32 vcc, s7, v13
	v_mov_b32_e32 v12, 0x7f800001
	s_and_saveexec_b64 s[10:11], vcc
	s_cbranch_execz .LBB595_697
; %bb.696:
	v_and_b32_e32 v12, 7, v10
	v_ffbh_u32_e32 v16, v12
	v_min_u32_e32 v18, 32, v16
	v_subrev_u32_e32 v16, 28, v18
	v_lshlrev_b64 v[16:17], v16, v[10:11]
	v_lshrrev_b32_e32 v14, 3, v13
	v_sub_u32_e32 v10, 29, v18
	v_and_b32_e32 v16, 7, v16
	v_cmp_gt_u32_e32 vcc, 8, v13
	v_cndmask_b32_e32 v10, v14, v10, vcc
	v_cndmask_b32_e32 v12, v12, v16, vcc
	v_lshlrev_b32_e32 v13, 16, v2
	v_bfrev_b32_e32 v14, 60
	v_lshlrev_b32_e32 v12, 20, v12
	v_and_b32_e32 v13, 0x80000000, v13
	v_lshl_add_u32 v10, v10, 23, v14
	v_or3_b32 v12, v13, v10, v12
.LBB595_697:
	s_or_b64 exec, exec, s[10:11]
.LBB595_698:
	s_or_b64 exec, exec, s[8:9]
.LBB595_699:
	s_or_b64 exec, exec, s[2:3]
	s_movk_i32 s2, 0xff
	v_and_b32_sdwa v13, v2, s2 dst_sel:DWORD dst_unused:UNUSED_PAD src0_sel:WORD_1 src1_sel:DWORD
	v_lshrrev_b32_e32 v10, 16, v2
	v_cmp_ne_u16_e32 vcc, 0, v13
	s_and_saveexec_b64 s[2:3], vcc
	s_cbranch_execz .LBB595_705
; %bb.700:
	s_movk_i32 s7, 0x80
	v_cmp_ne_u16_e32 vcc, s7, v13
	v_bfrev_b32_e32 v11, 1
	s_and_saveexec_b64 s[8:9], vcc
	s_cbranch_execz .LBB595_704
; %bb.701:
	v_bfe_u32 v13, v2, 16, 7
	s_movk_i32 s7, 0x7f
	v_cmp_ne_u32_e32 vcc, s7, v13
	v_mov_b32_e32 v11, 0x7f800001
	s_and_saveexec_b64 s[10:11], vcc
	s_cbranch_execz .LBB595_703
; %bb.702:
	v_and_b32_e32 v14, 7, v10
	v_ffbh_u32_e32 v11, v14
	v_min_u32_e32 v17, 32, v11
	v_subrev_u32_e32 v11, 28, v17
	v_lshlrev_b64 v[10:11], v11, v[10:11]
	v_lshrrev_b32_e32 v16, 3, v13
	v_sub_u32_e32 v11, 29, v17
	v_and_b32_e32 v10, 7, v10
	v_cmp_gt_u32_e32 vcc, 8, v13
	v_mov_b32_e32 v13, 24
	v_cndmask_b32_e32 v11, v16, v11, vcc
	v_cndmask_b32_e32 v10, v14, v10, vcc
	v_lshlrev_b32_sdwa v13, v13, v2 dst_sel:DWORD dst_unused:UNUSED_PAD src0_sel:DWORD src1_sel:WORD_1
	v_bfrev_b32_e32 v14, 60
	v_lshlrev_b32_e32 v10, 20, v10
	v_and_b32_e32 v13, 0x80000000, v13
	v_lshl_add_u32 v11, v11, 23, v14
	v_or3_b32 v11, v13, v11, v10
.LBB595_703:
	s_or_b64 exec, exec, s[10:11]
.LBB595_704:
	s_or_b64 exec, exec, s[8:9]
.LBB595_705:
	s_or_b64 exec, exec, s[2:3]
	s_mov_b32 s2, 0xffffff
	v_cmp_lt_u32_e32 vcc, s2, v2
	v_mov_b32_e32 v13, 0
	v_mov_b32_e32 v14, 0
	s_and_saveexec_b64 s[2:3], vcc
	s_cbranch_execz .LBB595_711
; %bb.706:
	v_lshrrev_b32_e32 v10, 24, v2
	s_movk_i32 s7, 0x80
	v_cmp_ne_u32_e32 vcc, s7, v10
	v_bfrev_b32_e32 v14, 1
	s_and_saveexec_b64 s[8:9], vcc
	s_cbranch_execz .LBB595_710
; %bb.707:
	v_bfe_u32 v2, v2, 24, 7
	s_movk_i32 s7, 0x7f
	v_cmp_ne_u32_e32 vcc, s7, v2
	v_mov_b32_e32 v14, 0x7f800001
	s_and_saveexec_b64 s[10:11], vcc
	s_cbranch_execz .LBB595_709
; %bb.708:
	v_and_b32_e32 v14, 7, v10
	v_ffbh_u32_e32 v16, v14
	v_min_u32_e32 v19, 32, v16
	v_subrev_u32_e32 v16, 28, v19
	v_lshlrev_b64 v[16:17], v16, v[10:11]
	v_lshrrev_b32_e32 v18, 3, v2
	v_sub_u32_e32 v17, 29, v19
	v_and_b32_e32 v16, 7, v16
	v_cmp_gt_u32_e32 vcc, 8, v2
	v_cndmask_b32_e32 v2, v18, v17, vcc
	v_cndmask_b32_e32 v14, v14, v16, vcc
	v_lshlrev_b32_e32 v10, 24, v10
	v_bfrev_b32_e32 v16, 60
	v_lshlrev_b32_e32 v14, 20, v14
	v_and_b32_e32 v10, 0x80000000, v10
	v_lshl_add_u32 v2, v2, 23, v16
	v_or3_b32 v14, v10, v2, v14
.LBB595_709:
	s_or_b64 exec, exec, s[10:11]
.LBB595_710:
	s_or_b64 exec, exec, s[8:9]
.LBB595_711:
	s_or_b64 exec, exec, s[2:3]
	v_cmp_ne_u16_sdwa s[8:9], v3, v13 src0_sel:BYTE_0 src1_sel:DWORD
	s_and_saveexec_b64 s[2:3], s[8:9]
	s_cbranch_execz .LBB595_717
; %bb.712:
	s_movk_i32 s7, 0x80
	v_cmp_ne_u16_sdwa s[10:11], v3, s7 src0_sel:BYTE_0 src1_sel:DWORD
	v_bfrev_b32_e32 v13, 1
	s_and_saveexec_b64 s[8:9], s[10:11]
	s_cbranch_execz .LBB595_716
; %bb.713:
	s_movk_i32 s7, 0x7f
	v_and_b32_e32 v2, 0x7f, v3
	v_cmp_ne_u32_e32 vcc, s7, v2
	v_mov_b32_e32 v13, 0x7f800001
	s_and_saveexec_b64 s[10:11], vcc
	s_cbranch_execz .LBB595_715
; %bb.714:
	v_and_b32_e32 v13, 7, v3
	v_ffbh_u32_e32 v16, v13
	v_min_u32_e32 v19, 32, v16
	v_mov_b32_e32 v10, v3
	v_subrev_u32_e32 v16, 28, v19
	v_lshlrev_b64 v[16:17], v16, v[10:11]
	v_lshrrev_b32_e32 v18, 3, v2
	v_sub_u32_e32 v10, 29, v19
	v_and_b32_e32 v16, 7, v16
	v_cmp_gt_u32_e32 vcc, 8, v2
	v_cndmask_b32_e32 v2, v18, v10, vcc
	v_cndmask_b32_e32 v10, v13, v16, vcc
	v_lshlrev_b32_e32 v13, 24, v3
	v_bfrev_b32_e32 v16, 60
	v_lshlrev_b32_e32 v10, 20, v10
	v_and_b32_e32 v13, 0x80000000, v13
	v_lshl_add_u32 v2, v2, 23, v16
	v_or3_b32 v13, v13, v2, v10
.LBB595_715:
	s_or_b64 exec, exec, s[10:11]
.LBB595_716:
	s_or_b64 exec, exec, s[8:9]
.LBB595_717:
	s_or_b64 exec, exec, s[2:3]
	v_lshrrev_b16_e32 v2, 8, v3
	v_cmp_ne_u16_e32 vcc, 0, v2
	v_mov_b32_e32 v16, 0
	v_mov_b32_e32 v17, 0
	s_and_saveexec_b64 s[2:3], vcc
	s_cbranch_execz .LBB595_723
; %bb.718:
	s_movk_i32 s7, 0x80
	v_cmp_ne_u16_e32 vcc, s7, v2
	v_bfrev_b32_e32 v17, 1
	s_and_saveexec_b64 s[8:9], vcc
	s_cbranch_execz .LBB595_722
; %bb.719:
	s_movk_i32 s7, 0x7f
	v_and_b32_e32 v10, 0x7f, v2
	v_cmp_ne_u32_e32 vcc, s7, v10
	v_mov_b32_e32 v17, 0x7f800001
	s_and_saveexec_b64 s[10:11], vcc
	s_cbranch_execz .LBB595_721
; %bb.720:
	v_and_b32_e32 v17, 7, v2
	v_ffbh_u32_e32 v18, v17
	v_min_u32_e32 v21, 32, v18
	v_subrev_u32_e32 v18, 28, v21
	v_lshlrev_b64 v[18:19], v18, v[2:3]
	v_lshrrev_b32_e32 v20, 3, v10
	v_sub_u32_e32 v2, 29, v21
	v_and_b32_e32 v18, 7, v18
	v_cmp_gt_u32_e32 vcc, 8, v10
	v_cndmask_b32_e32 v2, v20, v2, vcc
	v_cndmask_b32_e32 v10, v17, v18, vcc
	v_lshlrev_b32_e32 v17, 16, v3
	v_bfrev_b32_e32 v18, 60
	v_lshlrev_b32_e32 v10, 20, v10
	v_and_b32_e32 v17, 0x80000000, v17
	v_lshl_add_u32 v2, v2, 23, v18
	v_or3_b32 v17, v17, v2, v10
.LBB595_721:
	s_or_b64 exec, exec, s[10:11]
.LBB595_722:
	s_or_b64 exec, exec, s[8:9]
.LBB595_723:
	s_or_b64 exec, exec, s[2:3]
	s_movk_i32 s2, 0xff
	v_and_b32_sdwa v10, v3, s2 dst_sel:DWORD dst_unused:UNUSED_PAD src0_sel:WORD_1 src1_sel:DWORD
	v_lshrrev_b32_e32 v2, 16, v3
	v_cmp_ne_u16_e32 vcc, 0, v10
	s_and_saveexec_b64 s[2:3], vcc
	s_cbranch_execz .LBB595_729
; %bb.724:
	s_movk_i32 s7, 0x80
	v_cmp_ne_u16_e32 vcc, s7, v10
	v_bfrev_b32_e32 v16, 1
	s_and_saveexec_b64 s[8:9], vcc
	s_cbranch_execz .LBB595_728
; %bb.725:
	v_bfe_u32 v10, v3, 16, 7
	s_movk_i32 s7, 0x7f
	v_cmp_ne_u32_e32 vcc, s7, v10
	v_mov_b32_e32 v16, 0x7f800001
	s_and_saveexec_b64 s[10:11], vcc
	s_cbranch_execz .LBB595_727
; %bb.726:
	v_and_b32_e32 v16, 7, v2
	v_ffbh_u32_e32 v18, v16
	v_min_u32_e32 v21, 32, v18
	v_subrev_u32_e32 v18, 28, v21
	v_lshlrev_b64 v[18:19], v18, v[2:3]
	v_and_b32_e32 v18, 7, v18
	v_cmp_gt_u32_e32 vcc, 8, v10
	v_lshrrev_b32_e32 v20, 3, v10
	v_sub_u32_e32 v2, 29, v21
	v_cndmask_b32_e32 v10, v16, v18, vcc
	v_mov_b32_e32 v16, 24
	v_cndmask_b32_e32 v2, v20, v2, vcc
	v_lshlrev_b32_sdwa v16, v16, v3 dst_sel:DWORD dst_unused:UNUSED_PAD src0_sel:DWORD src1_sel:WORD_1
	v_bfrev_b32_e32 v18, 60
	v_lshlrev_b32_e32 v10, 20, v10
	v_and_b32_e32 v16, 0x80000000, v16
	v_lshl_add_u32 v2, v2, 23, v18
	v_or3_b32 v16, v16, v2, v10
.LBB595_727:
	s_or_b64 exec, exec, s[10:11]
.LBB595_728:
	s_or_b64 exec, exec, s[8:9]
.LBB595_729:
	s_or_b64 exec, exec, s[2:3]
	s_mov_b32 s2, 0xffffff
	v_cmp_lt_u32_e32 vcc, s2, v3
	v_mov_b32_e32 v10, 0
	v_mov_b32_e32 v18, 0
	s_and_saveexec_b64 s[2:3], vcc
	s_cbranch_execz .LBB595_735
; %bb.730:
	v_lshrrev_b32_e32 v2, 24, v3
	s_movk_i32 s7, 0x80
	v_cmp_ne_u32_e32 vcc, s7, v2
	v_bfrev_b32_e32 v18, 1
	s_and_saveexec_b64 s[8:9], vcc
	s_cbranch_execz .LBB595_734
; %bb.731:
	v_bfe_u32 v3, v3, 24, 7
	s_movk_i32 s7, 0x7f
	v_cmp_ne_u32_e32 vcc, s7, v3
	v_mov_b32_e32 v18, 0x7f800001
	s_and_saveexec_b64 s[10:11], vcc
	s_cbranch_execz .LBB595_733
; %bb.732:
	v_and_b32_e32 v20, 7, v2
	v_ffbh_u32_e32 v18, v20
	v_min_u32_e32 v23, 32, v18
	v_subrev_u32_e32 v18, 28, v23
	v_lshlrev_b64 v[18:19], v18, v[2:3]
	v_lshrrev_b32_e32 v21, 3, v3
	v_sub_u32_e32 v19, 29, v23
	v_and_b32_e32 v18, 7, v18
	v_cmp_gt_u32_e32 vcc, 8, v3
	v_cndmask_b32_e32 v3, v21, v19, vcc
	v_cndmask_b32_e32 v18, v20, v18, vcc
	v_lshlrev_b32_e32 v2, 24, v2
	v_bfrev_b32_e32 v19, 60
	v_lshlrev_b32_e32 v18, 20, v18
	v_and_b32_e32 v2, 0x80000000, v2
	v_lshl_add_u32 v3, v3, 23, v19
	v_or3_b32 v18, v2, v3, v18
.LBB595_733:
	s_or_b64 exec, exec, s[10:11]
.LBB595_734:
	s_or_b64 exec, exec, s[8:9]
.LBB595_735:
	s_or_b64 exec, exec, s[2:3]
	v_cvt_pkrtz_f16_f32 v2, v15, v12
	v_cvt_pkrtz_f16_f32 v3, v11, v14
	ds_read_b128 v[24:27], v22 offset:6144
	v_cmp_ne_u16_sdwa s[8:9], v4, v10 src0_sel:BYTE_0 src1_sel:DWORD
	s_waitcnt lgkmcnt(0)
	v_mfma_f32_16x16x16f16 v[6:9], v[2:3], v[24:25], v[6:9]
	v_cvt_pkrtz_f16_f32 v2, v13, v17
	v_cvt_pkrtz_f16_f32 v3, v16, v18
	s_nop 1
	v_mfma_f32_16x16x16f16 v[6:9], v[2:3], v[26:27], v[6:9]
	s_and_saveexec_b64 s[2:3], s[8:9]
	s_cbranch_execz .LBB595_741
; %bb.736:
	s_movk_i32 s7, 0x80
	v_cmp_ne_u16_sdwa s[10:11], v4, s7 src0_sel:BYTE_0 src1_sel:DWORD
	v_bfrev_b32_e32 v10, 1
	s_and_saveexec_b64 s[8:9], s[10:11]
	s_cbranch_execz .LBB595_740
; %bb.737:
	s_movk_i32 s7, 0x7f
	v_and_b32_e32 v2, 0x7f, v4
	v_cmp_ne_u32_e32 vcc, s7, v2
	v_mov_b32_e32 v10, 0x7f800001
	s_and_saveexec_b64 s[10:11], vcc
	s_cbranch_execz .LBB595_739
; %bb.738:
	v_and_b32_e32 v3, 7, v4
	v_ffbh_u32_e32 v10, v3
	v_min_u32_e32 v13, 32, v10
	v_subrev_u32_e32 v10, 28, v13
	v_lshlrev_b64 v[10:11], v10, v[4:5]
	v_lshrrev_b32_e32 v12, 3, v2
	v_sub_u32_e32 v11, 29, v13
	v_and_b32_e32 v10, 7, v10
	v_cmp_gt_u32_e32 vcc, 8, v2
	v_cndmask_b32_e32 v2, v12, v11, vcc
	v_cndmask_b32_e32 v3, v3, v10, vcc
	v_lshlrev_b32_e32 v10, 24, v4
	v_bfrev_b32_e32 v11, 60
	v_lshlrev_b32_e32 v3, 20, v3
	v_and_b32_e32 v10, 0x80000000, v10
	v_lshl_add_u32 v2, v2, 23, v11
	v_or3_b32 v10, v10, v2, v3
.LBB595_739:
	s_or_b64 exec, exec, s[10:11]
.LBB595_740:
	s_or_b64 exec, exec, s[8:9]
.LBB595_741:
	s_or_b64 exec, exec, s[2:3]
	v_lshrrev_b16_e32 v2, 8, v4
	v_cmp_ne_u16_e32 vcc, 0, v2
	v_mov_b32_e32 v3, 0
	v_mov_b32_e32 v11, 0
	s_and_saveexec_b64 s[2:3], vcc
	s_cbranch_execz .LBB595_747
; %bb.742:
	s_movk_i32 s7, 0x80
	v_cmp_ne_u16_e32 vcc, s7, v2
	v_bfrev_b32_e32 v11, 1
	s_and_saveexec_b64 s[8:9], vcc
	s_cbranch_execz .LBB595_746
; %bb.743:
	s_movk_i32 s7, 0x7f
	v_and_b32_e32 v12, 0x7f, v2
	v_cmp_ne_u32_e32 vcc, s7, v12
	v_mov_b32_e32 v11, 0x7f800001
	s_and_saveexec_b64 s[10:11], vcc
	s_cbranch_execz .LBB595_745
; %bb.744:
	v_and_b32_e32 v11, 7, v2
	v_ffbh_u32_e32 v14, v11
	v_min_u32_e32 v16, 32, v14
	v_subrev_u32_e32 v14, 28, v16
	v_lshlrev_b64 v[14:15], v14, v[2:3]
	v_lshrrev_b32_e32 v13, 3, v12
	v_sub_u32_e32 v2, 29, v16
	v_and_b32_e32 v14, 7, v14
	v_cmp_gt_u32_e32 vcc, 8, v12
	v_cndmask_b32_e32 v2, v13, v2, vcc
	v_cndmask_b32_e32 v11, v11, v14, vcc
	v_lshlrev_b32_e32 v12, 16, v4
	v_bfrev_b32_e32 v13, 60
	v_lshlrev_b32_e32 v11, 20, v11
	v_and_b32_e32 v12, 0x80000000, v12
	v_lshl_add_u32 v2, v2, 23, v13
	v_or3_b32 v11, v12, v2, v11
.LBB595_745:
	s_or_b64 exec, exec, s[10:11]
.LBB595_746:
	s_or_b64 exec, exec, s[8:9]
.LBB595_747:
	s_or_b64 exec, exec, s[2:3]
	s_movk_i32 s2, 0xff
	v_and_b32_sdwa v12, v4, s2 dst_sel:DWORD dst_unused:UNUSED_PAD src0_sel:WORD_1 src1_sel:DWORD
	v_lshrrev_b32_e32 v2, 16, v4
	v_cmp_ne_u16_e32 vcc, 0, v12
	s_and_saveexec_b64 s[2:3], vcc
	s_cbranch_execz .LBB595_753
; %bb.748:
	s_movk_i32 s7, 0x80
	v_cmp_ne_u16_e32 vcc, s7, v12
	v_bfrev_b32_e32 v3, 1
	s_and_saveexec_b64 s[8:9], vcc
	s_cbranch_execz .LBB595_752
; %bb.749:
	v_bfe_u32 v12, v4, 16, 7
	s_movk_i32 s7, 0x7f
	v_cmp_ne_u32_e32 vcc, s7, v12
	v_mov_b32_e32 v3, 0x7f800001
	s_and_saveexec_b64 s[10:11], vcc
	s_cbranch_execz .LBB595_751
; %bb.750:
	v_and_b32_e32 v13, 7, v2
	v_ffbh_u32_e32 v3, v13
	v_min_u32_e32 v15, 32, v3
	v_subrev_u32_e32 v3, 28, v15
	v_lshlrev_b64 v[2:3], v3, v[2:3]
	v_lshrrev_b32_e32 v14, 3, v12
	v_sub_u32_e32 v3, 29, v15
	v_and_b32_e32 v2, 7, v2
	v_cmp_gt_u32_e32 vcc, 8, v12
	v_mov_b32_e32 v12, 24
	v_cndmask_b32_e32 v3, v14, v3, vcc
	v_cndmask_b32_e32 v2, v13, v2, vcc
	v_lshlrev_b32_sdwa v12, v12, v4 dst_sel:DWORD dst_unused:UNUSED_PAD src0_sel:DWORD src1_sel:WORD_1
	v_bfrev_b32_e32 v13, 60
	v_lshlrev_b32_e32 v2, 20, v2
	v_and_b32_e32 v12, 0x80000000, v12
	v_lshl_add_u32 v3, v3, 23, v13
	v_or3_b32 v3, v12, v3, v2
.LBB595_751:
	s_or_b64 exec, exec, s[10:11]
.LBB595_752:
	s_or_b64 exec, exec, s[8:9]
.LBB595_753:
	s_or_b64 exec, exec, s[2:3]
	s_mov_b32 s2, 0xffffff
	v_cmp_lt_u32_e32 vcc, s2, v4
	v_mov_b32_e32 v12, 0
	v_mov_b32_e32 v13, 0
	s_and_saveexec_b64 s[2:3], vcc
	s_cbranch_execz .LBB595_759
; %bb.754:
	v_lshrrev_b32_e32 v2, 24, v4
	s_movk_i32 s7, 0x80
	v_cmp_ne_u32_e32 vcc, s7, v2
	v_bfrev_b32_e32 v13, 1
	s_and_saveexec_b64 s[8:9], vcc
	s_cbranch_execz .LBB595_758
; %bb.755:
	v_bfe_u32 v4, v4, 24, 7
	s_movk_i32 s7, 0x7f
	v_cmp_ne_u32_e32 vcc, s7, v4
	v_mov_b32_e32 v13, 0x7f800001
	s_and_saveexec_b64 s[10:11], vcc
	s_cbranch_execz .LBB595_757
; %bb.756:
	v_and_b32_e32 v13, 7, v2
	v_ffbh_u32_e32 v14, v13
	v_min_u32_e32 v17, 32, v14
	v_subrev_u32_e32 v14, 28, v17
	v_lshlrev_b64 v[14:15], v14, v[2:3]
	v_lshrrev_b32_e32 v16, 3, v4
	v_sub_u32_e32 v15, 29, v17
	v_and_b32_e32 v14, 7, v14
	v_cmp_gt_u32_e32 vcc, 8, v4
	v_cndmask_b32_e32 v4, v16, v15, vcc
	v_cndmask_b32_e32 v13, v13, v14, vcc
	v_lshlrev_b32_e32 v2, 24, v2
	v_bfrev_b32_e32 v14, 60
	v_lshlrev_b32_e32 v13, 20, v13
	v_and_b32_e32 v2, 0x80000000, v2
	v_lshl_add_u32 v4, v4, 23, v14
	v_or3_b32 v13, v2, v4, v13
.LBB595_757:
	s_or_b64 exec, exec, s[10:11]
.LBB595_758:
	s_or_b64 exec, exec, s[8:9]
.LBB595_759:
	s_or_b64 exec, exec, s[2:3]
	v_cmp_ne_u16_sdwa s[8:9], v5, v12 src0_sel:BYTE_0 src1_sel:DWORD
	s_and_saveexec_b64 s[2:3], s[8:9]
	s_cbranch_execz .LBB595_765
; %bb.760:
	s_movk_i32 s7, 0x80
	v_cmp_ne_u16_sdwa s[10:11], v5, s7 src0_sel:BYTE_0 src1_sel:DWORD
	v_bfrev_b32_e32 v12, 1
	s_and_saveexec_b64 s[8:9], s[10:11]
	s_cbranch_execz .LBB595_764
; %bb.761:
	s_movk_i32 s7, 0x7f
	v_and_b32_e32 v2, 0x7f, v5
	v_cmp_ne_u32_e32 vcc, s7, v2
	v_mov_b32_e32 v12, 0x7f800001
	s_and_saveexec_b64 s[10:11], vcc
	s_cbranch_execz .LBB595_763
; %bb.762:
	v_and_b32_e32 v12, 7, v5
	v_ffbh_u32_e32 v14, v12
	v_min_u32_e32 v17, 32, v14
	v_mov_b32_e32 v4, v5
	v_subrev_u32_e32 v14, 28, v17
	v_lshlrev_b64 v[14:15], v14, v[4:5]
	v_lshrrev_b32_e32 v16, 3, v2
	v_sub_u32_e32 v4, 29, v17
	v_and_b32_e32 v14, 7, v14
	v_cmp_gt_u32_e32 vcc, 8, v2
	v_cndmask_b32_e32 v2, v16, v4, vcc
	v_cndmask_b32_e32 v4, v12, v14, vcc
	v_lshlrev_b32_e32 v12, 24, v5
	v_bfrev_b32_e32 v14, 60
	v_lshlrev_b32_e32 v4, 20, v4
	v_and_b32_e32 v12, 0x80000000, v12
	v_lshl_add_u32 v2, v2, 23, v14
	v_or3_b32 v12, v12, v2, v4
.LBB595_763:
	s_or_b64 exec, exec, s[10:11]
.LBB595_764:
	s_or_b64 exec, exec, s[8:9]
.LBB595_765:
	s_or_b64 exec, exec, s[2:3]
	v_lshrrev_b16_e32 v2, 8, v5
	v_cmp_ne_u16_e32 vcc, 0, v2
	v_mov_b32_e32 v4, 0
	v_mov_b32_e32 v14, 0
	s_and_saveexec_b64 s[2:3], vcc
	s_cbranch_execz .LBB595_771
; %bb.766:
	s_movk_i32 s7, 0x80
	v_cmp_ne_u16_e32 vcc, s7, v2
	v_bfrev_b32_e32 v14, 1
	s_and_saveexec_b64 s[8:9], vcc
	s_cbranch_execz .LBB595_770
; %bb.767:
	s_movk_i32 s7, 0x7f
	v_and_b32_e32 v15, 0x7f, v2
	v_cmp_ne_u32_e32 vcc, s7, v15
	v_mov_b32_e32 v14, 0x7f800001
	s_and_saveexec_b64 s[10:11], vcc
	s_cbranch_execz .LBB595_769
; %bb.768:
	v_and_b32_e32 v14, 7, v2
	v_ffbh_u32_e32 v16, v14
	v_min_u32_e32 v19, 32, v16
	v_subrev_u32_e32 v16, 28, v19
	v_lshlrev_b64 v[16:17], v16, v[2:3]
	v_lshrrev_b32_e32 v18, 3, v15
	v_sub_u32_e32 v2, 29, v19
	v_and_b32_e32 v16, 7, v16
	v_cmp_gt_u32_e32 vcc, 8, v15
	v_cndmask_b32_e32 v2, v18, v2, vcc
	v_cndmask_b32_e32 v14, v14, v16, vcc
	v_lshlrev_b32_e32 v15, 16, v5
	v_bfrev_b32_e32 v16, 60
	v_lshlrev_b32_e32 v14, 20, v14
	v_and_b32_e32 v15, 0x80000000, v15
	v_lshl_add_u32 v2, v2, 23, v16
	v_or3_b32 v14, v15, v2, v14
.LBB595_769:
	s_or_b64 exec, exec, s[10:11]
.LBB595_770:
	s_or_b64 exec, exec, s[8:9]
.LBB595_771:
	s_or_b64 exec, exec, s[2:3]
	s_movk_i32 s2, 0xff
	v_and_b32_sdwa v15, v5, s2 dst_sel:DWORD dst_unused:UNUSED_PAD src0_sel:WORD_1 src1_sel:DWORD
	v_lshrrev_b32_e32 v2, 16, v5
	v_cmp_ne_u16_e32 vcc, 0, v15
	s_and_saveexec_b64 s[2:3], vcc
	s_cbranch_execz .LBB595_777
; %bb.772:
	s_movk_i32 s7, 0x80
	v_cmp_ne_u16_e32 vcc, s7, v15
	v_bfrev_b32_e32 v4, 1
	s_and_saveexec_b64 s[8:9], vcc
	s_cbranch_execz .LBB595_776
; %bb.773:
	v_bfe_u32 v15, v5, 16, 7
	s_movk_i32 s7, 0x7f
	v_cmp_ne_u32_e32 vcc, s7, v15
	v_mov_b32_e32 v4, 0x7f800001
	s_and_saveexec_b64 s[10:11], vcc
	s_cbranch_execz .LBB595_775
; %bb.774:
	v_and_b32_e32 v4, 7, v2
	v_ffbh_u32_e32 v16, v4
	v_min_u32_e32 v19, 32, v16
	v_subrev_u32_e32 v16, 28, v19
	v_lshlrev_b64 v[16:17], v16, v[2:3]
	v_lshrrev_b32_e32 v18, 3, v15
	v_sub_u32_e32 v2, 29, v19
	v_and_b32_e32 v16, 7, v16
	v_cmp_gt_u32_e32 vcc, 8, v15
	v_mov_b32_e32 v15, 24
	v_cndmask_b32_e32 v2, v18, v2, vcc
	v_cndmask_b32_e32 v4, v4, v16, vcc
	v_lshlrev_b32_sdwa v15, v15, v5 dst_sel:DWORD dst_unused:UNUSED_PAD src0_sel:DWORD src1_sel:WORD_1
	v_bfrev_b32_e32 v16, 60
	v_lshlrev_b32_e32 v4, 20, v4
	v_and_b32_e32 v15, 0x80000000, v15
	v_lshl_add_u32 v2, v2, 23, v16
	v_or3_b32 v4, v15, v2, v4
.LBB595_775:
	s_or_b64 exec, exec, s[10:11]
.LBB595_776:
	s_or_b64 exec, exec, s[8:9]
.LBB595_777:
	s_or_b64 exec, exec, s[2:3]
	s_mov_b32 s2, 0xffffff
	v_cmp_lt_u32_e32 vcc, s2, v5
	v_mov_b32_e32 v15, 0
	s_and_saveexec_b64 s[2:3], vcc
	s_cbranch_execz .LBB595_783
; %bb.778:
	v_lshrrev_b32_e32 v2, 24, v5
	s_movk_i32 s7, 0x80
	v_cmp_ne_u32_e32 vcc, s7, v2
	v_bfrev_b32_e32 v15, 1
	s_and_saveexec_b64 s[8:9], vcc
	s_cbranch_execz .LBB595_782
; %bb.779:
	v_bfe_u32 v5, v5, 24, 7
	s_movk_i32 s7, 0x7f
	v_cmp_ne_u32_e32 vcc, s7, v5
	v_mov_b32_e32 v15, 0x7f800001
	s_and_saveexec_b64 s[10:11], vcc
	s_cbranch_execz .LBB595_781
; %bb.780:
	v_and_b32_e32 v15, 7, v2
	v_ffbh_u32_e32 v16, v15
	v_min_u32_e32 v19, 32, v16
	v_subrev_u32_e32 v16, 28, v19
	v_lshlrev_b64 v[16:17], v16, v[2:3]
	v_lshrrev_b32_e32 v18, 3, v5
	v_sub_u32_e32 v17, 29, v19
	v_and_b32_e32 v16, 7, v16
	v_cmp_gt_u32_e32 vcc, 8, v5
	v_cndmask_b32_e32 v5, v18, v17, vcc
	v_cndmask_b32_e32 v15, v15, v16, vcc
	v_lshlrev_b32_e32 v2, 24, v2
	v_bfrev_b32_e32 v16, 60
	v_lshlrev_b32_e32 v15, 20, v15
	v_and_b32_e32 v2, 0x80000000, v2
	v_lshl_add_u32 v5, v5, 23, v16
	v_or3_b32 v15, v2, v5, v15
.LBB595_781:
	s_or_b64 exec, exec, s[10:11]
.LBB595_782:
	s_or_b64 exec, exec, s[8:9]
.LBB595_783:
	s_or_b64 exec, exec, s[2:3]
	v_cvt_pkrtz_f16_f32 v2, v10, v11
	v_cvt_pkrtz_f16_f32 v3, v3, v13
	ds_read_b128 v[16:19], v22 offset:6160
	s_load_dword s2, s[42:43], 0x0
	v_cmp_gt_u32_e32 vcc, 64, v0
	s_waitcnt lgkmcnt(0)
	v_mfma_f32_16x16x16f16 v[6:9], v[2:3], v[16:17], v[6:9]
	v_cvt_pkrtz_f16_f32 v2, v12, v14
	v_cvt_pkrtz_f16_f32 v3, v4, v15
	s_and_b64 s[0:1], vcc, s[0:1]
	s_barrier
	v_mfma_f32_16x16x16f16 v[2:5], v[2:3], v[18:19], v[6:9]
	s_nop 7
	s_nop 2
	v_pk_mul_f32 v[4:5], v[4:5], s[2:3] op_sel_hi:[1,0]
	v_pk_mul_f32 v[2:3], v[2:3], s[2:3] op_sel_hi:[1,0]
	v_cvt_f16_f32_e32 v2, v2
	v_cvt_f16_f32_e32 v3, v3
	;; [unrolled: 1-line block ×4, first 2 shown]
	v_pack_b32_f16 v2, v2, v3
	v_pack_b32_f16 v3, v4, v5
	ds_write_b64 v28, v[2:3]
	s_waitcnt lgkmcnt(0)
	s_barrier
	s_and_saveexec_b64 s[2:3], s[0:1]
	s_cbranch_execz .LBB595_786
; %bb.784:
	s_load_dwordx2 s[2:3], s[4:5], 0x68
	s_lshl_b32 s0, s44, 6
	s_mul_i32 s1, s12, s6
	s_mul_hi_u32 s7, s1, s0
	s_mul_i32 s6, s1, s0
	s_lshl_b64 s[6:7], s[6:7], 1
	s_waitcnt lgkmcnt(0)
	s_add_u32 s1, s2, s6
	s_mov_b32 s5, 0
	s_addc_u32 s6, s3, s7
	s_lshl_b32 s4, s24, 6
	v_lshlrev_b32_e32 v0, 10, v0
	s_lshl_b64 s[2:3], s[4:5], 1
	v_and_b32_e32 v2, 0x1800, v0
	v_lshlrev_b32_e32 v3, 5, v1
	v_and_b32_e32 v4, 16, v47
	s_add_u32 s1, s1, s2
	v_or_b32_e32 v0, 4, v1
	v_or3_b32 v2, v2, v3, v4
	s_addc_u32 s2, s6, s3
	v_add_u32_e32 v1, s25, v1
	v_mov_b32_e32 v4, s2
	v_add_co_u32_e32 v3, vcc, s1, v46
	ds_read_b128 v[6:9], v2
	v_mad_u64_u32 v[10:11], s[2:3], v1, s0, 0
	v_addc_co_u32_e32 v4, vcc, 0, v4, vcc
	v_lshlrev_b64 v[10:11], 1, v[10:11]
	v_add_co_u32_e32 v10, vcc, v3, v10
	v_addc_co_u32_e32 v11, vcc, v4, v11, vcc
	v_cmp_gt_u32_e32 vcc, 6, v0
	s_waitcnt lgkmcnt(0)
	global_store_dwordx4 v[10:11], v[6:9], off
	s_and_b64 exec, exec, vcc
	s_cbranch_execz .LBB595_786
; %bb.785:
	ds_read_b128 v[6:9], v2 offset:128
	v_add_u32_e32 v0, s25, v0
	v_mad_u64_u32 v[0:1], s[0:1], v0, s0, 0
	v_lshlrev_b64 v[0:1], 1, v[0:1]
	v_add_co_u32_e32 v0, vcc, v3, v0
	v_addc_co_u32_e32 v1, vcc, v4, v1, vcc
	s_waitcnt lgkmcnt(0)
	global_store_dwordx4 v[0:1], v[6:9], off
.LBB595_786:
	s_endpgm
	.section	.rodata,"a",@progbits
	.p2align	6, 0x0
	.amdhsa_kernel _Z39paged_attention_ll4mi_QKV_mfma16_kernelIDF16_hLN4vllm18Fp8KVCacheDataTypeE1EDF16_Li32ELi64ELi256ELb0ELi6EL8MFMAType0EEvPKT_PKT0_S8_ifPKiSA_SA_iPKfiiiPfSD_PS3_PT2_iSC_SC_
		.amdhsa_group_segment_fixed_size 8192
		.amdhsa_private_segment_fixed_size 0
		.amdhsa_kernarg_size 400
		.amdhsa_user_sgpr_count 6
		.amdhsa_user_sgpr_private_segment_buffer 1
		.amdhsa_user_sgpr_dispatch_ptr 0
		.amdhsa_user_sgpr_queue_ptr 0
		.amdhsa_user_sgpr_kernarg_segment_ptr 1
		.amdhsa_user_sgpr_dispatch_id 0
		.amdhsa_user_sgpr_flat_scratch_init 0
		.amdhsa_user_sgpr_kernarg_preload_length 0
		.amdhsa_user_sgpr_kernarg_preload_offset 0
		.amdhsa_user_sgpr_private_segment_size 0
		.amdhsa_uses_dynamic_stack 0
		.amdhsa_system_sgpr_private_segment_wavefront_offset 0
		.amdhsa_system_sgpr_workgroup_id_x 1
		.amdhsa_system_sgpr_workgroup_id_y 1
		.amdhsa_system_sgpr_workgroup_id_z 1
		.amdhsa_system_sgpr_workgroup_info 0
		.amdhsa_system_vgpr_workitem_id 0
		.amdhsa_next_free_vgpr 62
		.amdhsa_next_free_sgpr 47
		.amdhsa_accum_offset 64
		.amdhsa_reserve_vcc 1
		.amdhsa_reserve_flat_scratch 0
		.amdhsa_float_round_mode_32 0
		.amdhsa_float_round_mode_16_64 0
		.amdhsa_float_denorm_mode_32 3
		.amdhsa_float_denorm_mode_16_64 3
		.amdhsa_dx10_clamp 1
		.amdhsa_ieee_mode 1
		.amdhsa_fp16_overflow 0
		.amdhsa_tg_split 0
		.amdhsa_exception_fp_ieee_invalid_op 0
		.amdhsa_exception_fp_denorm_src 0
		.amdhsa_exception_fp_ieee_div_zero 0
		.amdhsa_exception_fp_ieee_overflow 0
		.amdhsa_exception_fp_ieee_underflow 0
		.amdhsa_exception_fp_ieee_inexact 0
		.amdhsa_exception_int_div_zero 0
	.end_amdhsa_kernel
	.section	.text._Z39paged_attention_ll4mi_QKV_mfma16_kernelIDF16_hLN4vllm18Fp8KVCacheDataTypeE1EDF16_Li32ELi64ELi256ELb0ELi6EL8MFMAType0EEvPKT_PKT0_S8_ifPKiSA_SA_iPKfiiiPfSD_PS3_PT2_iSC_SC_,"axG",@progbits,_Z39paged_attention_ll4mi_QKV_mfma16_kernelIDF16_hLN4vllm18Fp8KVCacheDataTypeE1EDF16_Li32ELi64ELi256ELb0ELi6EL8MFMAType0EEvPKT_PKT0_S8_ifPKiSA_SA_iPKfiiiPfSD_PS3_PT2_iSC_SC_,comdat
.Lfunc_end595:
	.size	_Z39paged_attention_ll4mi_QKV_mfma16_kernelIDF16_hLN4vllm18Fp8KVCacheDataTypeE1EDF16_Li32ELi64ELi256ELb0ELi6EL8MFMAType0EEvPKT_PKT0_S8_ifPKiSA_SA_iPKfiiiPfSD_PS3_PT2_iSC_SC_, .Lfunc_end595-_Z39paged_attention_ll4mi_QKV_mfma16_kernelIDF16_hLN4vllm18Fp8KVCacheDataTypeE1EDF16_Li32ELi64ELi256ELb0ELi6EL8MFMAType0EEvPKT_PKT0_S8_ifPKiSA_SA_iPKfiiiPfSD_PS3_PT2_iSC_SC_
                                        ; -- End function
	.section	.AMDGPU.csdata,"",@progbits
; Kernel info:
; codeLenInByte = 27016
; NumSgprs: 51
; NumVgprs: 62
; NumAgprs: 0
; TotalNumVgprs: 62
; ScratchSize: 0
; MemoryBound: 0
; FloatMode: 240
; IeeeMode: 1
; LDSByteSize: 8192 bytes/workgroup (compile time only)
; SGPRBlocks: 6
; VGPRBlocks: 7
; NumSGPRsForWavesPerEU: 51
; NumVGPRsForWavesPerEU: 62
; AccumOffset: 64
; Occupancy: 8
; WaveLimiterHint : 1
; COMPUTE_PGM_RSRC2:SCRATCH_EN: 0
; COMPUTE_PGM_RSRC2:USER_SGPR: 6
; COMPUTE_PGM_RSRC2:TRAP_HANDLER: 0
; COMPUTE_PGM_RSRC2:TGID_X_EN: 1
; COMPUTE_PGM_RSRC2:TGID_Y_EN: 1
; COMPUTE_PGM_RSRC2:TGID_Z_EN: 1
; COMPUTE_PGM_RSRC2:TIDIG_COMP_CNT: 0
; COMPUTE_PGM_RSRC3_GFX90A:ACCUM_OFFSET: 15
; COMPUTE_PGM_RSRC3_GFX90A:TG_SPLIT: 0
	.section	.text._Z39paged_attention_ll4mi_QKV_mfma16_kernelIDF16_hLN4vllm18Fp8KVCacheDataTypeE1EDF16_Li32ELi64ELi256ELb0ELi7EL8MFMAType0EEvPKT_PKT0_S8_ifPKiSA_SA_iPKfiiiPfSD_PS3_PT2_iSC_SC_,"axG",@progbits,_Z39paged_attention_ll4mi_QKV_mfma16_kernelIDF16_hLN4vllm18Fp8KVCacheDataTypeE1EDF16_Li32ELi64ELi256ELb0ELi7EL8MFMAType0EEvPKT_PKT0_S8_ifPKiSA_SA_iPKfiiiPfSD_PS3_PT2_iSC_SC_,comdat
	.protected	_Z39paged_attention_ll4mi_QKV_mfma16_kernelIDF16_hLN4vllm18Fp8KVCacheDataTypeE1EDF16_Li32ELi64ELi256ELb0ELi7EL8MFMAType0EEvPKT_PKT0_S8_ifPKiSA_SA_iPKfiiiPfSD_PS3_PT2_iSC_SC_ ; -- Begin function _Z39paged_attention_ll4mi_QKV_mfma16_kernelIDF16_hLN4vllm18Fp8KVCacheDataTypeE1EDF16_Li32ELi64ELi256ELb0ELi7EL8MFMAType0EEvPKT_PKT0_S8_ifPKiSA_SA_iPKfiiiPfSD_PS3_PT2_iSC_SC_
	.globl	_Z39paged_attention_ll4mi_QKV_mfma16_kernelIDF16_hLN4vllm18Fp8KVCacheDataTypeE1EDF16_Li32ELi64ELi256ELb0ELi7EL8MFMAType0EEvPKT_PKT0_S8_ifPKiSA_SA_iPKfiiiPfSD_PS3_PT2_iSC_SC_
	.p2align	8
	.type	_Z39paged_attention_ll4mi_QKV_mfma16_kernelIDF16_hLN4vllm18Fp8KVCacheDataTypeE1EDF16_Li32ELi64ELi256ELb0ELi7EL8MFMAType0EEvPKT_PKT0_S8_ifPKiSA_SA_iPKfiiiPfSD_PS3_PT2_iSC_SC_,@function
_Z39paged_attention_ll4mi_QKV_mfma16_kernelIDF16_hLN4vllm18Fp8KVCacheDataTypeE1EDF16_Li32ELi64ELi256ELb0ELi7EL8MFMAType0EEvPKT_PKT0_S8_ifPKiSA_SA_iPKfiiiPfSD_PS3_PT2_iSC_SC_: ; @_Z39paged_attention_ll4mi_QKV_mfma16_kernelIDF16_hLN4vllm18Fp8KVCacheDataTypeE1EDF16_Li32ELi64ELi256ELb0ELi7EL8MFMAType0EEvPKT_PKT0_S8_ifPKiSA_SA_iPKfiiiPfSD_PS3_PT2_iSC_SC_
; %bb.0:
	s_load_dwordx2 s[0:1], s[4:5], 0x30
	s_mov_b32 s24, s7
	s_mov_b64 s[10:11], 0
	s_waitcnt lgkmcnt(0)
	s_cmp_lg_u64 s[0:1], 0
	s_cselect_b64 s[2:3], -1, 0
	s_and_b64 vcc, exec, s[2:3]
	s_cbranch_vccz .LBB596_7
; %bb.1:
	s_add_i32 s12, s6, 1
	s_mov_b32 s13, 0
	s_lshl_b64 s[14:15], s[12:13], 2
	s_add_u32 s14, s0, s14
	s_mov_b32 s7, s13
	s_addc_u32 s15, s1, s15
	s_lshl_b64 s[12:13], s[6:7], 2
	s_add_u32 s12, s0, s12
	s_addc_u32 s13, s1, s13
	s_load_dword s9, s[14:15], 0x0
	s_load_dword s16, s[12:13], 0x0
	s_waitcnt lgkmcnt(0)
	s_sub_i32 s9, s9, s16
	s_cmp_eq_u32 s9, 1
	s_cselect_b64 s[12:13], -1, 0
	s_andn2_b64 vcc, exec, s[10:11]
	s_cbranch_vccnz .LBB596_3
.LBB596_2:
	s_mov_b32 s7, 0
	s_mov_b64 s[12:13], -1
.LBB596_3:
	s_andn2_b64 vcc, exec, s[12:13]
	s_cbranch_vccnz .LBB596_786
; %bb.4:
	s_load_dwordx2 s[12:13], s[4:5], 0x28
	s_lshl_b64 s[10:11], s[6:7], 2
	s_waitcnt lgkmcnt(0)
	s_add_u32 s12, s12, s10
	s_addc_u32 s13, s13, s11
	s_load_dword s33, s[12:13], 0x0
	s_lshl_b32 s20, s24, 8
	s_waitcnt lgkmcnt(0)
	s_cmp_ge_i32 s20, s33
	s_cbranch_scc1 .LBB596_786
; %bb.5:
	s_add_i32 s14, s33, 31
	s_load_dwordx2 s[12:13], s[4:5], 0x20
	s_load_dword s9, s[4:5], 0x38
	s_ashr_i32 s15, s14, 31
	v_and_b32_e32 v1, 0xcf, v0
	s_lshr_b32 s15, s15, 27
	v_add_u32_e32 v1, s20, v1
	s_add_i32 s14, s14, s15
	v_ashrrev_i32_e32 v2, 31, v1
	s_ashr_i32 s22, s14, 5
	v_lshrrev_b32_e32 v4, 27, v2
	s_add_i32 s22, s22, -1
	v_add_u32_e32 v2, v1, v4
	s_waitcnt lgkmcnt(0)
	s_mul_i32 s14, s6, s9
	s_mov_b32 s15, 0
	v_ashrrev_i32_e32 v2, 5, v2
	v_mov_b32_e32 v5, s22
	v_cmp_gt_i32_e32 vcc, s33, v1
	s_lshl_b64 s[14:15], s[14:15], 2
	v_cndmask_b32_e32 v2, v5, v2, vcc
	s_add_u32 s9, s12, s14
	v_ashrrev_i32_e32 v3, 31, v2
	s_addc_u32 s21, s13, s15
	v_lshlrev_b64 v[2:3], 2, v[2:3]
	v_mov_b32_e32 v7, s21
	v_add_co_u32_e32 v6, vcc, s9, v2
	v_or_b32_e32 v2, 16, v1
	v_addc_co_u32_e32 v7, vcc, v7, v3, vcc
	v_add_u32_e32 v3, v2, v4
	v_ashrrev_i32_e32 v3, 5, v3
	v_cmp_gt_i32_e32 vcc, s33, v2
	v_cndmask_b32_e32 v2, v5, v3, vcc
	v_ashrrev_i32_e32 v3, 31, v2
	v_lshlrev_b64 v[2:3], 2, v[2:3]
	v_mov_b32_e32 v9, s21
	v_add_co_u32_e32 v8, vcc, s9, v2
	v_or_b32_e32 v2, 32, v1
	v_addc_co_u32_e32 v9, vcc, v9, v3, vcc
	v_add_u32_e32 v3, v2, v4
	v_ashrrev_i32_e32 v3, 5, v3
	v_cmp_gt_i32_e32 vcc, s33, v2
	v_cndmask_b32_e32 v2, v5, v3, vcc
	v_ashrrev_i32_e32 v3, 31, v2
	;; [unrolled: 10-line block ×3, first 2 shown]
	v_lshlrev_b64 v[2:3], 2, v[2:3]
	v_mov_b32_e32 v1, s21
	v_add_co_u32_e32 v12, vcc, s9, v2
	v_addc_co_u32_e32 v13, vcc, v1, v3, vcc
	global_load_dword v5, v[6:7], off
	global_load_dword v4, v[8:9], off
	;; [unrolled: 1-line block ×4, first 2 shown]
	s_load_dwordx4 s[12:15], s[4:5], 0x8
	s_andn2_b64 vcc, exec, s[2:3]
	s_cbranch_vccnz .LBB596_8
; %bb.6:
	s_add_u32 s0, s0, s10
	s_addc_u32 s1, s1, s11
	s_load_dword s10, s[0:1], 0x0
	s_branch .LBB596_9
.LBB596_7:
	s_mov_b64 s[12:13], 0
	s_branch .LBB596_2
.LBB596_8:
	s_mov_b32 s10, s6
.LBB596_9:
	s_load_dwordx4 s[16:19], s[4:5], 0x48
	v_lshrrev_b32_e32 v50, 6, v0
	v_bfe_u32 v1, v0, 4, 2
	v_lshl_or_b32 v6, v50, 2, v1
	v_and_b32_e32 v49, 15, v0
	v_lshlrev_b32_e32 v7, 3, v49
	v_cmp_gt_u32_e32 vcc, 7, v6
	v_cmp_gt_u32_e64 s[0:1], 8, v49
	s_mul_i32 s25, s8, 7
	s_and_b64 s[26:27], s[0:1], vcc
	v_lshlrev_b32_e32 v46, 1, v7
	v_lshlrev_b32_e32 v47, 4, v0
	s_and_saveexec_b64 s[2:3], s[26:27]
	s_cbranch_execz .LBB596_11
; %bb.10:
	s_load_dwordx2 s[26:27], s[4:5], 0x0
	s_waitcnt lgkmcnt(0)
	s_ashr_i32 s11, s16, 31
	s_mul_hi_u32 s19, s10, s16
	s_mul_i32 s11, s10, s11
	s_add_i32 s11, s19, s11
	s_mul_i32 s10, s10, s16
	s_lshl_b64 s[10:11], s[10:11], 1
	v_add_lshl_u32 v8, v6, s25, 6
	s_add_u32 s10, s26, s10
	v_ashrrev_i32_e32 v9, 31, v8
	s_addc_u32 s11, s27, s11
	v_lshlrev_b64 v[8:9], 1, v[8:9]
	v_mov_b32_e32 v7, s11
	v_add_co_u32_e32 v8, vcc, s10, v8
	v_addc_co_u32_e32 v7, vcc, v7, v9, vcc
	v_add_co_u32_e32 v8, vcc, v8, v46
	v_addc_co_u32_e32 v9, vcc, 0, v7, vcc
	global_load_dwordx4 v[8:11], v[8:9], off
	v_lshlrev_b32_e32 v12, 8, v49
	v_lshlrev_b32_e32 v6, 5, v6
	v_and_b32_e32 v7, 16, v47
	v_and_b32_e32 v12, 0xe00, v12
	v_or3_b32 v6, v12, v6, v7
	s_waitcnt vmcnt(0)
	ds_write_b128 v6, v[8:11]
.LBB596_11:
	s_or_b64 exec, exec, s[2:3]
	s_waitcnt lgkmcnt(0)
	s_mul_i32 s8, s8, s18
	s_add_u32 s2, s12, s8
	s_addc_u32 s3, s13, 0
	v_and_b32_e32 v12, 48, v0
	s_ashr_i32 s10, s20, 31
	v_or_b32_e32 v13, s20, v12
	s_lshr_b32 s10, s10, 27
	v_add_u32_e32 v6, s10, v13
	v_ashrrev_i32_e32 v6, 5, v6
	v_mov_b32_e32 v14, s22
	v_cmp_gt_i32_e32 vcc, s33, v13
	v_cndmask_b32_e32 v6, v14, v6, vcc
	v_ashrrev_i32_e32 v7, 31, v6
	v_lshlrev_b64 v[6:7], 2, v[6:7]
	v_mov_b32_e32 v8, s21
	v_add_co_u32_e32 v6, vcc, s9, v6
	v_addc_co_u32_e32 v7, vcc, v8, v7, vcc
	v_or_b32_e32 v8, 64, v13
	v_add_u32_e32 v9, s10, v8
	v_ashrrev_i32_e32 v9, 5, v9
	v_cmp_gt_i32_e32 vcc, s33, v8
	v_cndmask_b32_e32 v8, v14, v9, vcc
	v_ashrrev_i32_e32 v9, 31, v8
	v_lshlrev_b64 v[8:9], 2, v[8:9]
	v_mov_b32_e32 v10, s21
	v_add_co_u32_e32 v8, vcc, s9, v8
	v_addc_co_u32_e32 v9, vcc, v10, v9, vcc
	v_or_b32_e32 v10, 0x80, v13
	v_add_u32_e32 v11, s10, v10
	v_ashrrev_i32_e32 v11, 5, v11
	v_cmp_gt_i32_e32 vcc, s33, v10
	v_cndmask_b32_e32 v10, v14, v11, vcc
	v_ashrrev_i32_e32 v11, 31, v10
	v_lshlrev_b64 v[10:11], 2, v[10:11]
	v_mov_b32_e32 v15, s21
	v_add_co_u32_e32 v10, vcc, s9, v10
	s_load_dwordx2 s[44:45], s[4:5], 0x94
	s_load_dwordx4 s[40:43], s[4:5], 0x80
	s_waitcnt lgkmcnt(0)
	s_barrier
	v_addc_co_u32_e32 v11, vcc, v15, v11, vcc
	global_load_dword v15, v[6:7], off
	global_load_dword v16, v[8:9], off
	;; [unrolled: 1-line block ×3, first 2 shown]
	v_or_b32_e32 v6, 0xc0, v13
	v_add_u32_e32 v7, s10, v6
	v_ashrrev_i32_e32 v7, 5, v7
	v_cmp_gt_i32_e32 vcc, s33, v6
	v_cndmask_b32_e32 v6, v14, v7, vcc
	v_ashrrev_i32_e32 v7, 31, v6
	v_lshlrev_b64 v[6:7], 2, v[6:7]
	v_mov_b32_e32 v8, s21
	v_add_co_u32_e32 v6, vcc, s9, v6
	v_addc_co_u32_e32 v7, vcc, v8, v7, vcc
	global_load_dword v20, v[6:7], off
	v_pk_mov_b32 v[6:7], s[2:3], s[2:3] op_sel:[0,1]
	s_waitcnt vmcnt(7)
	v_mad_i64_i32 v[8:9], s[2:3], v5, s17, v[6:7]
	v_lshlrev_b32_e32 v11, 4, v49
	v_add_co_u32_e32 v5, vcc, v8, v11
	v_lshlrev_b32_e32 v10, 5, v12
	v_addc_co_u32_e32 v9, vcc, 0, v9, vcc
	v_add_co_u32_e32 v8, vcc, v5, v10
	v_addc_co_u32_e32 v9, vcc, 0, v9, vcc
	s_waitcnt vmcnt(6)
	v_mad_i64_i32 v[4:5], s[2:3], v4, s17, v[6:7]
	v_or_b32_e32 v12, 0x100, v11
	v_add_co_u32_e32 v4, vcc, v4, v12
	v_addc_co_u32_e32 v5, vcc, 0, v5, vcc
	v_add_co_u32_e32 v4, vcc, v4, v10
	v_addc_co_u32_e32 v5, vcc, 0, v5, vcc
	global_load_dwordx4 v[30:33], v[8:9], off
	global_load_dwordx4 v[38:41], v[4:5], off
	s_waitcnt vmcnt(7)
	v_mad_i64_i32 v[4:5], s[2:3], v3, s17, v[6:7]
	v_add_co_u32_e32 v3, vcc, v4, v11
	v_addc_co_u32_e32 v5, vcc, 0, v5, vcc
	v_add_co_u32_e32 v4, vcc, v3, v10
	v_addc_co_u32_e32 v5, vcc, 0, v5, vcc
	s_waitcnt vmcnt(6)
	v_mad_i64_i32 v[2:3], s[2:3], v2, s17, v[6:7]
	v_add_co_u32_e32 v2, vcc, v2, v12
	v_addc_co_u32_e32 v3, vcc, 0, v3, vcc
	v_add_co_u32_e32 v2, vcc, v2, v10
	s_add_u32 s2, s14, s8
	v_addc_co_u32_e32 v3, vcc, 0, v3, vcc
	global_load_dwordx4 v[34:37], v[4:5], off
	global_load_dwordx4 v[22:25], v[2:3], off
	s_addc_u32 s3, s15, 0
	v_and_b32_e32 v2, 16, v0
	v_mov_b32_e32 v3, s3
	v_add_co_u32_e32 v2, vcc, s2, v2
	v_lshlrev_b32_e32 v48, 5, v49
	v_addc_co_u32_e32 v3, vcc, 0, v3, vcc
	v_lshl_or_b32 v4, v50, 9, v48
	v_add_co_u32_e32 v2, vcc, v2, v4
	v_addc_co_u32_e32 v3, vcc, 0, v3, vcc
	v_mov_b32_e32 v43, 0
	s_movk_i32 s8, 0x80
	v_mov_b32_e32 v44, 0
	s_waitcnt vmcnt(7)
	v_mad_i64_i32 v[4:5], s[2:3], v15, s17, v[2:3]
	s_waitcnt vmcnt(6)
	v_mad_i64_i32 v[6:7], s[2:3], v16, s17, v[2:3]
	s_waitcnt vmcnt(5)
	v_mad_i64_i32 v[18:19], s[2:3], v18, s17, v[2:3]
	global_load_dwordx4 v[14:17], v[4:5], off
	global_load_dwordx4 v[10:13], v[6:7], off
	s_waitcnt vmcnt(6)
	v_mad_i64_i32 v[20:21], s[2:3], v20, s17, v[2:3]
	global_load_dwordx4 v[6:9], v[18:19], off
	global_load_dwordx4 v[2:5], v[20:21], off
	v_mul_lo_u16_e32 v18, 37, v49
	v_mov_b32_e32 v19, 7
	v_mul_lo_u16_sdwa v18, v18, v19 dst_sel:DWORD dst_unused:UNUSED_PAD src0_sel:BYTE_1 src1_sel:DWORD
	v_sub_u16_e32 v18, v49, v18
	v_mov_b32_e32 v19, 5
	v_lshlrev_b32_sdwa v18, v19, v18 dst_sel:DWORD dst_unused:UNUSED_PAD src0_sel:DWORD src1_sel:BYTE_0
	v_lshl_add_u32 v18, v1, 9, v18
	ds_read_b128 v[26:29], v18
	ds_read_b128 v[18:21], v18 offset:16
	s_load_dword s12, s[40:41], 0x0
	s_waitcnt vmcnt(7)
	v_cmp_ne_u16_sdwa s[10:11], v30, v43 src0_sel:BYTE_0 src1_sel:DWORD
	s_and_saveexec_b64 s[2:3], s[10:11]
	s_cbranch_execz .LBB596_17
; %bb.12:
	v_cmp_ne_u16_sdwa s[10:11], v30, s8 src0_sel:BYTE_0 src1_sel:DWORD
	v_bfrev_b32_e32 v44, 1
	s_and_saveexec_b64 s[8:9], s[10:11]
	s_cbranch_execz .LBB596_16
; %bb.13:
	s_movk_i32 s10, 0x7f
	v_and_b32_e32 v42, 0x7f, v30
	v_cmp_ne_u32_e32 vcc, s10, v42
	v_mov_b32_e32 v44, 0x7f800001
	s_and_saveexec_b64 s[10:11], vcc
	s_cbranch_execz .LBB596_15
; %bb.14:
	v_and_b32_e32 v51, 7, v30
	v_ffbh_u32_e32 v44, v51
	v_min_u32_e32 v53, 32, v44
	v_subrev_u32_e32 v44, 28, v53
	v_lshlrev_b64 v[44:45], v44, v[30:31]
	v_lshrrev_b32_e32 v52, 3, v42
	v_sub_u32_e32 v45, 29, v53
	v_and_b32_e32 v44, 7, v44
	v_cmp_gt_u32_e32 vcc, 8, v42
	v_cndmask_b32_e32 v42, v52, v45, vcc
	v_cndmask_b32_e32 v44, v51, v44, vcc
	v_lshlrev_b32_e32 v45, 24, v30
	v_bfrev_b32_e32 v51, 60
	v_lshlrev_b32_e32 v44, 20, v44
	v_and_b32_e32 v45, 0x80000000, v45
	v_lshl_add_u32 v42, v42, 23, v51
	v_or3_b32 v44, v45, v42, v44
.LBB596_15:
	s_or_b64 exec, exec, s[10:11]
.LBB596_16:
	s_or_b64 exec, exec, s[8:9]
.LBB596_17:
	s_or_b64 exec, exec, s[2:3]
	v_lshrrev_b16_e32 v42, 8, v30
	v_cmp_ne_u16_e32 vcc, 0, v42
	s_and_saveexec_b64 s[2:3], vcc
	s_cbranch_execz .LBB596_23
; %bb.18:
	s_movk_i32 s8, 0x80
	v_cmp_ne_u16_e32 vcc, s8, v42
	v_bfrev_b32_e32 v43, 1
	s_and_saveexec_b64 s[8:9], vcc
	s_cbranch_execz .LBB596_22
; %bb.19:
	s_movk_i32 s10, 0x7f
	v_and_b32_e32 v45, 0x7f, v42
	v_cmp_ne_u32_e32 vcc, s10, v45
	v_mov_b32_e32 v43, 0x7f800001
	s_and_saveexec_b64 s[10:11], vcc
	s_cbranch_execz .LBB596_21
; %bb.20:
	v_and_b32_e32 v51, 7, v42
	v_ffbh_u32_e32 v43, v51
	v_min_u32_e32 v53, 32, v43
	v_subrev_u32_e32 v43, 28, v53
	v_lshlrev_b64 v[42:43], v43, v[42:43]
	v_lshrrev_b32_e32 v52, 3, v45
	v_sub_u32_e32 v43, 29, v53
	v_and_b32_e32 v42, 7, v42
	v_cmp_gt_u32_e32 vcc, 8, v45
	v_cndmask_b32_e32 v43, v52, v43, vcc
	v_cndmask_b32_e32 v42, v51, v42, vcc
	v_lshlrev_b32_e32 v45, 16, v30
	v_bfrev_b32_e32 v51, 60
	v_lshlrev_b32_e32 v42, 20, v42
	v_and_b32_e32 v45, 0x80000000, v45
	v_lshl_add_u32 v43, v43, 23, v51
	v_or3_b32 v43, v45, v43, v42
.LBB596_21:
	s_or_b64 exec, exec, s[10:11]
.LBB596_22:
	s_or_b64 exec, exec, s[8:9]
.LBB596_23:
	s_or_b64 exec, exec, s[2:3]
	s_movk_i32 s2, 0xff
	v_and_b32_sdwa v52, v30, s2 dst_sel:DWORD dst_unused:UNUSED_PAD src0_sel:WORD_1 src1_sel:DWORD
	v_lshrrev_b32_e32 v42, 16, v30
	v_cmp_ne_u16_e32 vcc, 0, v52
	v_mov_b32_e32 v45, 0
	v_mov_b32_e32 v51, 0
	s_and_saveexec_b64 s[2:3], vcc
	s_cbranch_execz .LBB596_29
; %bb.24:
	s_movk_i32 s8, 0x80
	v_cmp_ne_u16_e32 vcc, s8, v52
	v_bfrev_b32_e32 v51, 1
	s_and_saveexec_b64 s[8:9], vcc
	s_cbranch_execz .LBB596_28
; %bb.25:
	v_bfe_u32 v52, v30, 16, 7
	s_movk_i32 s10, 0x7f
	v_cmp_ne_u32_e32 vcc, s10, v52
	v_mov_b32_e32 v51, 0x7f800001
	s_and_saveexec_b64 s[10:11], vcc
	s_cbranch_execz .LBB596_27
; %bb.26:
	v_and_b32_e32 v51, 7, v42
	v_ffbh_u32_e32 v54, v51
	v_min_u32_e32 v56, 32, v54
	v_subrev_u32_e32 v54, 28, v56
	v_lshlrev_b64 v[54:55], v54, v[42:43]
	v_lshrrev_b32_e32 v53, 3, v52
	v_sub_u32_e32 v42, 29, v56
	v_and_b32_e32 v54, 7, v54
	v_cmp_gt_u32_e32 vcc, 8, v52
	v_mov_b32_e32 v52, 24
	v_cndmask_b32_e32 v42, v53, v42, vcc
	v_cndmask_b32_e32 v51, v51, v54, vcc
	v_lshlrev_b32_sdwa v52, v52, v30 dst_sel:DWORD dst_unused:UNUSED_PAD src0_sel:DWORD src1_sel:WORD_1
	v_bfrev_b32_e32 v53, 60
	v_lshlrev_b32_e32 v51, 20, v51
	v_and_b32_e32 v52, 0x80000000, v52
	v_lshl_add_u32 v42, v42, 23, v53
	v_or3_b32 v51, v52, v42, v51
.LBB596_27:
	s_or_b64 exec, exec, s[10:11]
.LBB596_28:
	s_or_b64 exec, exec, s[8:9]
.LBB596_29:
	s_or_b64 exec, exec, s[2:3]
	s_mov_b32 s2, 0xffffff
	v_cmp_lt_u32_e32 vcc, s2, v30
	s_and_saveexec_b64 s[2:3], vcc
	s_cbranch_execz .LBB596_35
; %bb.30:
	v_lshrrev_b32_e32 v42, 24, v30
	s_movk_i32 s8, 0x80
	v_cmp_ne_u32_e32 vcc, s8, v42
	v_bfrev_b32_e32 v45, 1
	s_and_saveexec_b64 s[8:9], vcc
	s_cbranch_execz .LBB596_34
; %bb.31:
	v_bfe_u32 v30, v30, 24, 7
	s_movk_i32 s10, 0x7f
	v_cmp_ne_u32_e32 vcc, s10, v30
	v_mov_b32_e32 v45, 0x7f800001
	s_and_saveexec_b64 s[10:11], vcc
	s_cbranch_execz .LBB596_33
; %bb.32:
	v_and_b32_e32 v45, 7, v42
	v_ffbh_u32_e32 v52, v45
	v_min_u32_e32 v55, 32, v52
	v_subrev_u32_e32 v52, 28, v55
	v_lshlrev_b64 v[52:53], v52, v[42:43]
	v_lshrrev_b32_e32 v54, 3, v30
	v_sub_u32_e32 v53, 29, v55
	v_and_b32_e32 v52, 7, v52
	v_cmp_gt_u32_e32 vcc, 8, v30
	v_cndmask_b32_e32 v30, v54, v53, vcc
	v_cndmask_b32_e32 v45, v45, v52, vcc
	v_lshlrev_b32_e32 v42, 24, v42
	v_bfrev_b32_e32 v52, 60
	v_lshlrev_b32_e32 v45, 20, v45
	v_and_b32_e32 v42, 0x80000000, v42
	v_lshl_add_u32 v30, v30, 23, v52
	v_or3_b32 v45, v42, v30, v45
.LBB596_33:
	s_or_b64 exec, exec, s[10:11]
.LBB596_34:
	s_or_b64 exec, exec, s[8:9]
.LBB596_35:
	s_or_b64 exec, exec, s[2:3]
	v_mov_b32_e32 v42, 0
	v_cmp_ne_u16_sdwa s[8:9], v31, v42 src0_sel:BYTE_0 src1_sel:DWORD
	v_mov_b32_e32 v52, 0
	s_and_saveexec_b64 s[2:3], s[8:9]
	s_cbranch_execz .LBB596_41
; %bb.36:
	s_movk_i32 s8, 0x80
	v_cmp_ne_u16_sdwa s[10:11], v31, s8 src0_sel:BYTE_0 src1_sel:DWORD
	v_bfrev_b32_e32 v52, 1
	s_and_saveexec_b64 s[8:9], s[10:11]
	s_cbranch_execz .LBB596_40
; %bb.37:
	s_movk_i32 s10, 0x7f
	v_and_b32_e32 v30, 0x7f, v31
	v_cmp_ne_u32_e32 vcc, s10, v30
	v_mov_b32_e32 v52, 0x7f800001
	s_and_saveexec_b64 s[10:11], vcc
	s_cbranch_execz .LBB596_39
; %bb.38:
	v_and_b32_e32 v54, 7, v31
	v_ffbh_u32_e32 v53, v54
	v_min_u32_e32 v56, 32, v53
	v_mov_b32_e32 v52, v31
	v_subrev_u32_e32 v53, 28, v56
	v_lshlrev_b64 v[52:53], v53, v[52:53]
	v_lshrrev_b32_e32 v55, 3, v30
	v_sub_u32_e32 v53, 29, v56
	v_and_b32_e32 v52, 7, v52
	v_cmp_gt_u32_e32 vcc, 8, v30
	v_cndmask_b32_e32 v30, v55, v53, vcc
	v_cndmask_b32_e32 v52, v54, v52, vcc
	v_lshlrev_b32_e32 v53, 24, v31
	v_bfrev_b32_e32 v54, 60
	v_lshlrev_b32_e32 v52, 20, v52
	v_and_b32_e32 v53, 0x80000000, v53
	v_lshl_add_u32 v30, v30, 23, v54
	v_or3_b32 v52, v53, v30, v52
.LBB596_39:
	s_or_b64 exec, exec, s[10:11]
.LBB596_40:
	s_or_b64 exec, exec, s[8:9]
.LBB596_41:
	s_or_b64 exec, exec, s[2:3]
	v_lshrrev_b16_e32 v30, 8, v31
	v_cmp_ne_u16_e32 vcc, 0, v30
	s_and_saveexec_b64 s[2:3], vcc
	s_cbranch_execz .LBB596_47
; %bb.42:
	s_movk_i32 s8, 0x80
	v_cmp_ne_u16_e32 vcc, s8, v30
	v_bfrev_b32_e32 v42, 1
	s_and_saveexec_b64 s[8:9], vcc
	s_cbranch_execz .LBB596_46
; %bb.43:
	s_movk_i32 s10, 0x7f
	v_and_b32_e32 v53, 0x7f, v30
	v_cmp_ne_u32_e32 vcc, s10, v53
	v_mov_b32_e32 v42, 0x7f800001
	s_and_saveexec_b64 s[10:11], vcc
	s_cbranch_execz .LBB596_45
; %bb.44:
	v_and_b32_e32 v42, 7, v30
	v_ffbh_u32_e32 v54, v42
	v_min_u32_e32 v57, 32, v54
	v_subrev_u32_e32 v54, 28, v57
	v_lshlrev_b64 v[54:55], v54, v[30:31]
	v_lshrrev_b32_e32 v56, 3, v53
	v_sub_u32_e32 v30, 29, v57
	v_and_b32_e32 v54, 7, v54
	v_cmp_gt_u32_e32 vcc, 8, v53
	v_cndmask_b32_e32 v30, v56, v30, vcc
	v_cndmask_b32_e32 v42, v42, v54, vcc
	v_lshlrev_b32_e32 v53, 16, v31
	v_bfrev_b32_e32 v54, 60
	v_lshlrev_b32_e32 v42, 20, v42
	v_and_b32_e32 v53, 0x80000000, v53
	v_lshl_add_u32 v30, v30, 23, v54
	v_or3_b32 v42, v53, v30, v42
.LBB596_45:
	s_or_b64 exec, exec, s[10:11]
.LBB596_46:
	s_or_b64 exec, exec, s[8:9]
.LBB596_47:
	s_or_b64 exec, exec, s[2:3]
	s_movk_i32 s2, 0xff
	v_and_b32_sdwa v55, v31, s2 dst_sel:DWORD dst_unused:UNUSED_PAD src0_sel:WORD_1 src1_sel:DWORD
	v_lshrrev_b32_e32 v30, 16, v31
	v_cmp_ne_u16_e32 vcc, 0, v55
	v_mov_b32_e32 v53, 0
	v_mov_b32_e32 v54, 0
	s_and_saveexec_b64 s[2:3], vcc
	s_cbranch_execz .LBB596_53
; %bb.48:
	s_movk_i32 s8, 0x80
	v_cmp_ne_u16_e32 vcc, s8, v55
	v_bfrev_b32_e32 v54, 1
	s_and_saveexec_b64 s[8:9], vcc
	s_cbranch_execz .LBB596_52
; %bb.49:
	v_bfe_u32 v55, v31, 16, 7
	s_movk_i32 s10, 0x7f
	v_cmp_ne_u32_e32 vcc, s10, v55
	v_mov_b32_e32 v54, 0x7f800001
	s_and_saveexec_b64 s[10:11], vcc
	s_cbranch_execz .LBB596_51
; %bb.50:
	v_and_b32_e32 v54, 7, v30
	v_ffbh_u32_e32 v56, v54
	v_min_u32_e32 v59, 32, v56
	v_subrev_u32_e32 v56, 28, v59
	v_lshlrev_b64 v[56:57], v56, v[30:31]
	v_lshrrev_b32_e32 v58, 3, v55
	v_sub_u32_e32 v30, 29, v59
	v_and_b32_e32 v56, 7, v56
	v_cmp_gt_u32_e32 vcc, 8, v55
	v_mov_b32_e32 v55, 24
	v_cndmask_b32_e32 v30, v58, v30, vcc
	v_cndmask_b32_e32 v54, v54, v56, vcc
	v_lshlrev_b32_sdwa v55, v55, v31 dst_sel:DWORD dst_unused:UNUSED_PAD src0_sel:DWORD src1_sel:WORD_1
	v_bfrev_b32_e32 v56, 60
	v_lshlrev_b32_e32 v54, 20, v54
	v_and_b32_e32 v55, 0x80000000, v55
	v_lshl_add_u32 v30, v30, 23, v56
	v_or3_b32 v54, v55, v30, v54
.LBB596_51:
	s_or_b64 exec, exec, s[10:11]
.LBB596_52:
	s_or_b64 exec, exec, s[8:9]
.LBB596_53:
	s_or_b64 exec, exec, s[2:3]
	s_mov_b32 s2, 0xffffff
	v_cmp_lt_u32_e32 vcc, s2, v31
	s_and_saveexec_b64 s[2:3], vcc
	s_cbranch_execz .LBB596_59
; %bb.54:
	v_lshrrev_b32_e32 v30, 24, v31
	s_movk_i32 s8, 0x80
	v_cmp_ne_u32_e32 vcc, s8, v30
	v_bfrev_b32_e32 v53, 1
	s_and_saveexec_b64 s[8:9], vcc
	s_cbranch_execz .LBB596_58
; %bb.55:
	v_bfe_u32 v31, v31, 24, 7
	s_movk_i32 s10, 0x7f
	v_cmp_ne_u32_e32 vcc, s10, v31
	v_mov_b32_e32 v53, 0x7f800001
	s_and_saveexec_b64 s[10:11], vcc
	s_cbranch_execz .LBB596_57
; %bb.56:
	v_and_b32_e32 v53, 7, v30
	v_ffbh_u32_e32 v56, v53
	v_min_u32_e32 v58, 32, v56
	v_subrev_u32_e32 v56, 28, v58
	v_lshlrev_b64 v[56:57], v56, v[30:31]
	v_lshrrev_b32_e32 v55, 3, v31
	v_sub_u32_e32 v57, 29, v58
	v_and_b32_e32 v56, 7, v56
	v_cmp_gt_u32_e32 vcc, 8, v31
	v_cndmask_b32_e32 v31, v55, v57, vcc
	v_cndmask_b32_e32 v53, v53, v56, vcc
	v_lshlrev_b32_e32 v30, 24, v30
	v_bfrev_b32_e32 v55, 60
	v_lshlrev_b32_e32 v53, 20, v53
	v_and_b32_e32 v30, 0x80000000, v30
	v_lshl_add_u32 v31, v31, 23, v55
	v_or3_b32 v53, v30, v31, v53
.LBB596_57:
	s_or_b64 exec, exec, s[10:11]
.LBB596_58:
	s_or_b64 exec, exec, s[8:9]
.LBB596_59:
	s_or_b64 exec, exec, s[2:3]
	v_cvt_pkrtz_f16_f32 v30, v44, v43
	v_cvt_pkrtz_f16_f32 v31, v51, v45
	;; [unrolled: 1-line block ×4, first 2 shown]
	v_mov_b32_e32 v52, 0
	s_waitcnt lgkmcnt(0)
	v_mfma_f32_16x16x16f16 v[56:59], v[30:31], v[26:27], 0
	v_mov_b32_e32 v31, 0
	v_cmp_ne_u16_sdwa s[8:9], v32, v31 src0_sel:BYTE_0 src1_sel:DWORD
	v_mfma_f32_16x16x16f16 v[42:45], v[42:43], v[28:29], v[56:59]
	s_and_saveexec_b64 s[2:3], s[8:9]
	s_cbranch_execz .LBB596_65
; %bb.60:
	s_movk_i32 s8, 0x80
	v_cmp_ne_u16_sdwa s[10:11], v32, s8 src0_sel:BYTE_0 src1_sel:DWORD
	v_bfrev_b32_e32 v52, 1
	s_and_saveexec_b64 s[8:9], s[10:11]
	s_cbranch_execz .LBB596_64
; %bb.61:
	s_movk_i32 s10, 0x7f
	v_and_b32_e32 v30, 0x7f, v32
	v_cmp_ne_u32_e32 vcc, s10, v30
	v_mov_b32_e32 v52, 0x7f800001
	s_and_saveexec_b64 s[10:11], vcc
	s_cbranch_execz .LBB596_63
; %bb.62:
	v_and_b32_e32 v51, 7, v32
	v_ffbh_u32_e32 v52, v51
	v_min_u32_e32 v55, 32, v52
	v_subrev_u32_e32 v52, 28, v55
	v_lshlrev_b64 v[52:53], v52, v[32:33]
	v_lshrrev_b32_e32 v54, 3, v30
	v_sub_u32_e32 v53, 29, v55
	v_and_b32_e32 v52, 7, v52
	v_cmp_gt_u32_e32 vcc, 8, v30
	v_cndmask_b32_e32 v30, v54, v53, vcc
	v_cndmask_b32_e32 v51, v51, v52, vcc
	v_lshlrev_b32_e32 v52, 24, v32
	v_bfrev_b32_e32 v53, 60
	v_lshlrev_b32_e32 v51, 20, v51
	v_and_b32_e32 v52, 0x80000000, v52
	v_lshl_add_u32 v30, v30, 23, v53
	v_or3_b32 v52, v52, v30, v51
.LBB596_63:
	s_or_b64 exec, exec, s[10:11]
.LBB596_64:
	s_or_b64 exec, exec, s[8:9]
.LBB596_65:
	s_or_b64 exec, exec, s[2:3]
	v_lshrrev_b16_e32 v30, 8, v32
	v_cmp_ne_u16_e32 vcc, 0, v30
	v_mov_b32_e32 v53, 0
	s_and_saveexec_b64 s[2:3], vcc
	s_cbranch_execz .LBB596_71
; %bb.66:
	s_movk_i32 s8, 0x80
	v_cmp_ne_u16_e32 vcc, s8, v30
	v_bfrev_b32_e32 v53, 1
	s_and_saveexec_b64 s[8:9], vcc
	s_cbranch_execz .LBB596_70
; %bb.67:
	s_movk_i32 s10, 0x7f
	v_and_b32_e32 v51, 0x7f, v30
	v_cmp_ne_u32_e32 vcc, s10, v51
	v_mov_b32_e32 v53, 0x7f800001
	s_and_saveexec_b64 s[10:11], vcc
	s_cbranch_execz .LBB596_69
; %bb.68:
	v_and_b32_e32 v53, 7, v30
	v_ffbh_u32_e32 v54, v53
	v_min_u32_e32 v57, 32, v54
	v_subrev_u32_e32 v54, 28, v57
	v_lshlrev_b64 v[54:55], v54, v[30:31]
	v_lshrrev_b32_e32 v56, 3, v51
	v_sub_u32_e32 v30, 29, v57
	v_and_b32_e32 v54, 7, v54
	v_cmp_gt_u32_e32 vcc, 8, v51
	v_cndmask_b32_e32 v30, v56, v30, vcc
	v_cndmask_b32_e32 v51, v53, v54, vcc
	v_lshlrev_b32_e32 v53, 16, v32
	v_bfrev_b32_e32 v54, 60
	v_lshlrev_b32_e32 v51, 20, v51
	v_and_b32_e32 v53, 0x80000000, v53
	v_lshl_add_u32 v30, v30, 23, v54
	v_or3_b32 v53, v53, v30, v51
.LBB596_69:
	s_or_b64 exec, exec, s[10:11]
.LBB596_70:
	s_or_b64 exec, exec, s[8:9]
.LBB596_71:
	s_or_b64 exec, exec, s[2:3]
	s_movk_i32 s2, 0xff
	v_and_b32_sdwa v51, v32, s2 dst_sel:DWORD dst_unused:UNUSED_PAD src0_sel:WORD_1 src1_sel:DWORD
	v_lshrrev_b32_e32 v30, 16, v32
	v_cmp_ne_u16_e32 vcc, 0, v51
	s_and_saveexec_b64 s[2:3], vcc
	s_cbranch_execz .LBB596_77
; %bb.72:
	s_movk_i32 s8, 0x80
	v_cmp_ne_u16_e32 vcc, s8, v51
	v_bfrev_b32_e32 v31, 1
	s_and_saveexec_b64 s[8:9], vcc
	s_cbranch_execz .LBB596_76
; %bb.73:
	v_bfe_u32 v51, v32, 16, 7
	s_movk_i32 s10, 0x7f
	v_cmp_ne_u32_e32 vcc, s10, v51
	v_mov_b32_e32 v31, 0x7f800001
	s_and_saveexec_b64 s[10:11], vcc
	s_cbranch_execz .LBB596_75
; %bb.74:
	v_and_b32_e32 v54, 7, v30
	v_ffbh_u32_e32 v31, v54
	v_min_u32_e32 v56, 32, v31
	v_subrev_u32_e32 v31, 28, v56
	v_lshlrev_b64 v[30:31], v31, v[30:31]
	v_lshrrev_b32_e32 v55, 3, v51
	v_sub_u32_e32 v31, 29, v56
	v_and_b32_e32 v30, 7, v30
	v_cmp_gt_u32_e32 vcc, 8, v51
	v_mov_b32_e32 v51, 24
	v_cndmask_b32_e32 v31, v55, v31, vcc
	v_cndmask_b32_e32 v30, v54, v30, vcc
	v_lshlrev_b32_sdwa v51, v51, v32 dst_sel:DWORD dst_unused:UNUSED_PAD src0_sel:DWORD src1_sel:WORD_1
	v_bfrev_b32_e32 v54, 60
	v_lshlrev_b32_e32 v30, 20, v30
	v_and_b32_e32 v51, 0x80000000, v51
	v_lshl_add_u32 v31, v31, 23, v54
	v_or3_b32 v31, v51, v31, v30
.LBB596_75:
	s_or_b64 exec, exec, s[10:11]
.LBB596_76:
	s_or_b64 exec, exec, s[8:9]
.LBB596_77:
	s_or_b64 exec, exec, s[2:3]
	s_mov_b32 s2, 0xffffff
	v_cmp_lt_u32_e32 vcc, s2, v32
	v_mov_b32_e32 v54, 0
	v_mov_b32_e32 v55, 0
	s_and_saveexec_b64 s[2:3], vcc
	s_cbranch_execz .LBB596_83
; %bb.78:
	v_lshrrev_b32_e32 v30, 24, v32
	s_movk_i32 s8, 0x80
	v_cmp_ne_u32_e32 vcc, s8, v30
	v_bfrev_b32_e32 v55, 1
	s_and_saveexec_b64 s[8:9], vcc
	s_cbranch_execz .LBB596_82
; %bb.79:
	v_bfe_u32 v32, v32, 24, 7
	s_movk_i32 s10, 0x7f
	v_cmp_ne_u32_e32 vcc, s10, v32
	v_mov_b32_e32 v55, 0x7f800001
	s_and_saveexec_b64 s[10:11], vcc
	s_cbranch_execz .LBB596_81
; %bb.80:
	v_and_b32_e32 v51, 7, v30
	v_ffbh_u32_e32 v56, v51
	v_min_u32_e32 v58, 32, v56
	v_subrev_u32_e32 v56, 28, v58
	v_lshlrev_b64 v[56:57], v56, v[30:31]
	v_lshrrev_b32_e32 v55, 3, v32
	v_sub_u32_e32 v57, 29, v58
	v_and_b32_e32 v56, 7, v56
	v_cmp_gt_u32_e32 vcc, 8, v32
	v_cndmask_b32_e32 v32, v55, v57, vcc
	v_cndmask_b32_e32 v51, v51, v56, vcc
	v_lshlrev_b32_e32 v30, 24, v30
	v_bfrev_b32_e32 v55, 60
	v_lshlrev_b32_e32 v51, 20, v51
	v_and_b32_e32 v30, 0x80000000, v30
	v_lshl_add_u32 v32, v32, 23, v55
	v_or3_b32 v55, v30, v32, v51
.LBB596_81:
	s_or_b64 exec, exec, s[10:11]
.LBB596_82:
	s_or_b64 exec, exec, s[8:9]
.LBB596_83:
	s_or_b64 exec, exec, s[2:3]
	v_cmp_ne_u16_sdwa s[8:9], v33, v54 src0_sel:BYTE_0 src1_sel:DWORD
	s_and_saveexec_b64 s[2:3], s[8:9]
	s_cbranch_execz .LBB596_89
; %bb.84:
	s_movk_i32 s8, 0x80
	v_cmp_ne_u16_sdwa s[10:11], v33, s8 src0_sel:BYTE_0 src1_sel:DWORD
	v_bfrev_b32_e32 v54, 1
	s_and_saveexec_b64 s[8:9], s[10:11]
	s_cbranch_execz .LBB596_88
; %bb.85:
	s_movk_i32 s10, 0x7f
	v_and_b32_e32 v30, 0x7f, v33
	v_cmp_ne_u32_e32 vcc, s10, v30
	v_mov_b32_e32 v54, 0x7f800001
	s_and_saveexec_b64 s[10:11], vcc
	s_cbranch_execz .LBB596_87
; %bb.86:
	v_and_b32_e32 v51, 7, v33
	v_ffbh_u32_e32 v56, v51
	v_min_u32_e32 v58, 32, v56
	v_mov_b32_e32 v32, v33
	v_subrev_u32_e32 v56, 28, v58
	v_lshlrev_b64 v[56:57], v56, v[32:33]
	v_lshrrev_b32_e32 v54, 3, v30
	v_sub_u32_e32 v32, 29, v58
	v_and_b32_e32 v56, 7, v56
	v_cmp_gt_u32_e32 vcc, 8, v30
	v_cndmask_b32_e32 v30, v54, v32, vcc
	v_cndmask_b32_e32 v32, v51, v56, vcc
	v_lshlrev_b32_e32 v51, 24, v33
	v_bfrev_b32_e32 v54, 60
	v_lshlrev_b32_e32 v32, 20, v32
	v_and_b32_e32 v51, 0x80000000, v51
	v_lshl_add_u32 v30, v30, 23, v54
	v_or3_b32 v54, v51, v30, v32
.LBB596_87:
	s_or_b64 exec, exec, s[10:11]
.LBB596_88:
	s_or_b64 exec, exec, s[8:9]
.LBB596_89:
	s_or_b64 exec, exec, s[2:3]
	v_lshrrev_b16_e32 v30, 8, v33
	v_cmp_ne_u16_e32 vcc, 0, v30
	v_mov_b32_e32 v32, 0
	v_mov_b32_e32 v56, 0
	s_and_saveexec_b64 s[2:3], vcc
	s_cbranch_execz .LBB596_95
; %bb.90:
	s_movk_i32 s8, 0x80
	v_cmp_ne_u16_e32 vcc, s8, v30
	v_bfrev_b32_e32 v56, 1
	s_and_saveexec_b64 s[8:9], vcc
	s_cbranch_execz .LBB596_94
; %bb.91:
	s_movk_i32 s10, 0x7f
	v_and_b32_e32 v51, 0x7f, v30
	v_cmp_ne_u32_e32 vcc, s10, v51
	v_mov_b32_e32 v56, 0x7f800001
	s_and_saveexec_b64 s[10:11], vcc
	s_cbranch_execz .LBB596_93
; %bb.92:
	v_and_b32_e32 v58, 7, v30
	v_ffbh_u32_e32 v56, v58
	v_min_u32_e32 v60, 32, v56
	v_subrev_u32_e32 v56, 28, v60
	v_lshlrev_b64 v[56:57], v56, v[30:31]
	v_lshrrev_b32_e32 v59, 3, v51
	v_sub_u32_e32 v30, 29, v60
	v_and_b32_e32 v56, 7, v56
	v_cmp_gt_u32_e32 vcc, 8, v51
	v_cndmask_b32_e32 v30, v59, v30, vcc
	v_cndmask_b32_e32 v51, v58, v56, vcc
	v_lshlrev_b32_e32 v56, 16, v33
	v_bfrev_b32_e32 v57, 60
	v_lshlrev_b32_e32 v51, 20, v51
	v_and_b32_e32 v56, 0x80000000, v56
	v_lshl_add_u32 v30, v30, 23, v57
	v_or3_b32 v56, v56, v30, v51
.LBB596_93:
	s_or_b64 exec, exec, s[10:11]
.LBB596_94:
	s_or_b64 exec, exec, s[8:9]
.LBB596_95:
	s_or_b64 exec, exec, s[2:3]
	s_movk_i32 s2, 0xff
	v_and_b32_sdwa v51, v33, s2 dst_sel:DWORD dst_unused:UNUSED_PAD src0_sel:WORD_1 src1_sel:DWORD
	v_lshrrev_b32_e32 v30, 16, v33
	v_cmp_ne_u16_e32 vcc, 0, v51
	s_and_saveexec_b64 s[2:3], vcc
	s_cbranch_execz .LBB596_101
; %bb.96:
	s_movk_i32 s8, 0x80
	v_cmp_ne_u16_e32 vcc, s8, v51
	v_bfrev_b32_e32 v32, 1
	s_and_saveexec_b64 s[8:9], vcc
	s_cbranch_execz .LBB596_100
; %bb.97:
	v_bfe_u32 v51, v33, 16, 7
	s_movk_i32 s10, 0x7f
	v_cmp_ne_u32_e32 vcc, s10, v51
	v_mov_b32_e32 v32, 0x7f800001
	s_and_saveexec_b64 s[10:11], vcc
	s_cbranch_execz .LBB596_99
; %bb.98:
	v_and_b32_e32 v32, 7, v30
	v_ffbh_u32_e32 v58, v32
	v_min_u32_e32 v60, 32, v58
	v_subrev_u32_e32 v58, 28, v60
	v_lshlrev_b64 v[58:59], v58, v[30:31]
	v_lshrrev_b32_e32 v57, 3, v51
	v_sub_u32_e32 v30, 29, v60
	v_and_b32_e32 v58, 7, v58
	v_cmp_gt_u32_e32 vcc, 8, v51
	v_mov_b32_e32 v51, 24
	v_cndmask_b32_e32 v30, v57, v30, vcc
	v_cndmask_b32_e32 v32, v32, v58, vcc
	v_lshlrev_b32_sdwa v51, v51, v33 dst_sel:DWORD dst_unused:UNUSED_PAD src0_sel:DWORD src1_sel:WORD_1
	v_bfrev_b32_e32 v57, 60
	v_lshlrev_b32_e32 v32, 20, v32
	v_and_b32_e32 v51, 0x80000000, v51
	v_lshl_add_u32 v30, v30, 23, v57
	v_or3_b32 v32, v51, v30, v32
.LBB596_99:
	s_or_b64 exec, exec, s[10:11]
.LBB596_100:
	s_or_b64 exec, exec, s[8:9]
.LBB596_101:
	s_or_b64 exec, exec, s[2:3]
	s_mov_b32 s2, 0xffffff
	v_cmp_lt_u32_e32 vcc, s2, v33
	v_mov_b32_e32 v51, 0
	v_mov_b32_e32 v57, 0
	s_and_saveexec_b64 s[2:3], vcc
	s_cbranch_execz .LBB596_107
; %bb.102:
	v_lshrrev_b32_e32 v30, 24, v33
	s_movk_i32 s8, 0x80
	v_cmp_ne_u32_e32 vcc, s8, v30
	v_bfrev_b32_e32 v57, 1
	s_and_saveexec_b64 s[8:9], vcc
	s_cbranch_execz .LBB596_106
; %bb.103:
	v_bfe_u32 v33, v33, 24, 7
	s_movk_i32 s10, 0x7f
	v_cmp_ne_u32_e32 vcc, s10, v33
	v_mov_b32_e32 v57, 0x7f800001
	s_and_saveexec_b64 s[10:11], vcc
	s_cbranch_execz .LBB596_105
; %bb.104:
	v_and_b32_e32 v57, 7, v30
	v_ffbh_u32_e32 v58, v57
	v_min_u32_e32 v61, 32, v58
	v_subrev_u32_e32 v58, 28, v61
	v_lshlrev_b64 v[58:59], v58, v[30:31]
	v_lshrrev_b32_e32 v60, 3, v33
	v_sub_u32_e32 v59, 29, v61
	v_and_b32_e32 v58, 7, v58
	v_cmp_gt_u32_e32 vcc, 8, v33
	v_cndmask_b32_e32 v33, v60, v59, vcc
	v_cndmask_b32_e32 v57, v57, v58, vcc
	v_lshlrev_b32_e32 v30, 24, v30
	v_bfrev_b32_e32 v58, 60
	v_lshlrev_b32_e32 v57, 20, v57
	v_and_b32_e32 v30, 0x80000000, v30
	v_lshl_add_u32 v33, v33, 23, v58
	v_or3_b32 v57, v30, v33, v57
.LBB596_105:
	s_or_b64 exec, exec, s[10:11]
.LBB596_106:
	s_or_b64 exec, exec, s[8:9]
.LBB596_107:
	s_or_b64 exec, exec, s[2:3]
	v_cvt_pkrtz_f16_f32 v30, v52, v53
	v_cvt_pkrtz_f16_f32 v31, v31, v55
	s_waitcnt vmcnt(6)
	v_cmp_ne_u16_sdwa s[8:9], v38, v51 src0_sel:BYTE_0 src1_sel:DWORD
	v_mfma_f32_16x16x16f16 v[42:45], v[30:31], v[18:19], v[42:45]
	v_cvt_pkrtz_f16_f32 v30, v54, v56
	v_cvt_pkrtz_f16_f32 v31, v32, v57
	s_nop 1
	v_mfma_f32_16x16x16f16 v[30:33], v[30:31], v[20:21], v[42:45]
	s_and_saveexec_b64 s[2:3], s[8:9]
	s_cbranch_execz .LBB596_113
; %bb.108:
	s_movk_i32 s8, 0x80
	v_cmp_ne_u16_sdwa s[10:11], v38, s8 src0_sel:BYTE_0 src1_sel:DWORD
	v_bfrev_b32_e32 v51, 1
	s_and_saveexec_b64 s[8:9], s[10:11]
	s_cbranch_execz .LBB596_112
; %bb.109:
	s_movk_i32 s10, 0x7f
	v_and_b32_e32 v42, 0x7f, v38
	v_cmp_ne_u32_e32 vcc, s10, v42
	v_mov_b32_e32 v51, 0x7f800001
	s_and_saveexec_b64 s[10:11], vcc
	s_cbranch_execz .LBB596_111
; %bb.110:
	v_and_b32_e32 v43, 7, v38
	v_ffbh_u32_e32 v44, v43
	v_min_u32_e32 v52, 32, v44
	v_subrev_u32_e32 v44, 28, v52
	v_lshlrev_b64 v[44:45], v44, v[38:39]
	v_lshrrev_b32_e32 v51, 3, v42
	v_sub_u32_e32 v45, 29, v52
	v_and_b32_e32 v44, 7, v44
	v_cmp_gt_u32_e32 vcc, 8, v42
	v_cndmask_b32_e32 v42, v51, v45, vcc
	v_cndmask_b32_e32 v43, v43, v44, vcc
	v_lshlrev_b32_e32 v44, 24, v38
	v_bfrev_b32_e32 v45, 60
	v_lshlrev_b32_e32 v43, 20, v43
	v_and_b32_e32 v44, 0x80000000, v44
	v_lshl_add_u32 v42, v42, 23, v45
	v_or3_b32 v51, v44, v42, v43
.LBB596_111:
	s_or_b64 exec, exec, s[10:11]
.LBB596_112:
	s_or_b64 exec, exec, s[8:9]
.LBB596_113:
	s_or_b64 exec, exec, s[2:3]
	s_nop 3
	v_lshrrev_b16_e32 v42, 8, v38
	v_cmp_ne_u16_e32 vcc, 0, v42
	v_mov_b32_e32 v43, 0
	v_mov_b32_e32 v44, 0
	s_and_saveexec_b64 s[2:3], vcc
	s_cbranch_execz .LBB596_119
; %bb.114:
	s_movk_i32 s8, 0x80
	v_cmp_ne_u16_e32 vcc, s8, v42
	v_bfrev_b32_e32 v44, 1
	s_and_saveexec_b64 s[8:9], vcc
	s_cbranch_execz .LBB596_118
; %bb.115:
	s_movk_i32 s10, 0x7f
	v_and_b32_e32 v45, 0x7f, v42
	v_cmp_ne_u32_e32 vcc, s10, v45
	v_mov_b32_e32 v44, 0x7f800001
	s_and_saveexec_b64 s[10:11], vcc
	s_cbranch_execz .LBB596_117
; %bb.116:
	v_and_b32_e32 v44, 7, v42
	v_ffbh_u32_e32 v52, v44
	v_min_u32_e32 v55, 32, v52
	v_subrev_u32_e32 v52, 28, v55
	v_lshlrev_b64 v[52:53], v52, v[42:43]
	v_lshrrev_b32_e32 v54, 3, v45
	v_sub_u32_e32 v42, 29, v55
	v_and_b32_e32 v52, 7, v52
	v_cmp_gt_u32_e32 vcc, 8, v45
	v_cndmask_b32_e32 v42, v54, v42, vcc
	v_cndmask_b32_e32 v44, v44, v52, vcc
	v_lshlrev_b32_e32 v45, 16, v38
	v_bfrev_b32_e32 v52, 60
	v_lshlrev_b32_e32 v44, 20, v44
	v_and_b32_e32 v45, 0x80000000, v45
	v_lshl_add_u32 v42, v42, 23, v52
	v_or3_b32 v44, v45, v42, v44
.LBB596_117:
	s_or_b64 exec, exec, s[10:11]
.LBB596_118:
	s_or_b64 exec, exec, s[8:9]
.LBB596_119:
	s_or_b64 exec, exec, s[2:3]
	s_movk_i32 s2, 0xff
	v_and_b32_sdwa v45, v38, s2 dst_sel:DWORD dst_unused:UNUSED_PAD src0_sel:WORD_1 src1_sel:DWORD
	v_lshrrev_b32_e32 v42, 16, v38
	v_cmp_ne_u16_e32 vcc, 0, v45
	s_and_saveexec_b64 s[2:3], vcc
	s_cbranch_execz .LBB596_125
; %bb.120:
	s_movk_i32 s8, 0x80
	v_cmp_ne_u16_e32 vcc, s8, v45
	v_bfrev_b32_e32 v43, 1
	s_and_saveexec_b64 s[8:9], vcc
	s_cbranch_execz .LBB596_124
; %bb.121:
	v_bfe_u32 v45, v38, 16, 7
	s_movk_i32 s10, 0x7f
	v_cmp_ne_u32_e32 vcc, s10, v45
	v_mov_b32_e32 v43, 0x7f800001
	s_and_saveexec_b64 s[10:11], vcc
	s_cbranch_execz .LBB596_123
; %bb.122:
	v_and_b32_e32 v52, 7, v42
	v_ffbh_u32_e32 v43, v52
	v_min_u32_e32 v54, 32, v43
	v_subrev_u32_e32 v43, 28, v54
	v_lshlrev_b64 v[42:43], v43, v[42:43]
	v_lshrrev_b32_e32 v53, 3, v45
	v_sub_u32_e32 v43, 29, v54
	v_and_b32_e32 v42, 7, v42
	v_cmp_gt_u32_e32 vcc, 8, v45
	v_mov_b32_e32 v45, 24
	v_cndmask_b32_e32 v43, v53, v43, vcc
	v_cndmask_b32_e32 v42, v52, v42, vcc
	v_lshlrev_b32_sdwa v45, v45, v38 dst_sel:DWORD dst_unused:UNUSED_PAD src0_sel:DWORD src1_sel:WORD_1
	v_bfrev_b32_e32 v52, 60
	v_lshlrev_b32_e32 v42, 20, v42
	v_and_b32_e32 v45, 0x80000000, v45
	v_lshl_add_u32 v43, v43, 23, v52
	v_or3_b32 v43, v45, v43, v42
.LBB596_123:
	s_or_b64 exec, exec, s[10:11]
.LBB596_124:
	s_or_b64 exec, exec, s[8:9]
.LBB596_125:
	s_or_b64 exec, exec, s[2:3]
	s_mov_b32 s2, 0xffffff
	v_cmp_lt_u32_e32 vcc, s2, v38
	v_mov_b32_e32 v45, 0
	v_mov_b32_e32 v53, 0
	s_and_saveexec_b64 s[2:3], vcc
	s_cbranch_execz .LBB596_131
; %bb.126:
	v_lshrrev_b32_e32 v42, 24, v38
	s_movk_i32 s8, 0x80
	v_cmp_ne_u32_e32 vcc, s8, v42
	v_bfrev_b32_e32 v53, 1
	s_and_saveexec_b64 s[8:9], vcc
	s_cbranch_execz .LBB596_130
; %bb.127:
	v_bfe_u32 v38, v38, 24, 7
	s_movk_i32 s10, 0x7f
	v_cmp_ne_u32_e32 vcc, s10, v38
	v_mov_b32_e32 v53, 0x7f800001
	s_and_saveexec_b64 s[10:11], vcc
	s_cbranch_execz .LBB596_129
; %bb.128:
	v_and_b32_e32 v54, 7, v42
	v_ffbh_u32_e32 v52, v54
	v_min_u32_e32 v56, 32, v52
	v_subrev_u32_e32 v52, 28, v56
	v_lshlrev_b64 v[52:53], v52, v[42:43]
	v_lshrrev_b32_e32 v55, 3, v38
	v_sub_u32_e32 v53, 29, v56
	v_and_b32_e32 v52, 7, v52
	v_cmp_gt_u32_e32 vcc, 8, v38
	v_cndmask_b32_e32 v38, v55, v53, vcc
	v_cndmask_b32_e32 v52, v54, v52, vcc
	v_lshlrev_b32_e32 v42, 24, v42
	v_bfrev_b32_e32 v53, 60
	v_lshlrev_b32_e32 v52, 20, v52
	v_and_b32_e32 v42, 0x80000000, v42
	v_lshl_add_u32 v38, v38, 23, v53
	v_or3_b32 v53, v42, v38, v52
.LBB596_129:
	s_or_b64 exec, exec, s[10:11]
.LBB596_130:
	s_or_b64 exec, exec, s[8:9]
.LBB596_131:
	s_or_b64 exec, exec, s[2:3]
	v_cmp_ne_u16_sdwa s[8:9], v39, v45 src0_sel:BYTE_0 src1_sel:DWORD
	s_and_saveexec_b64 s[2:3], s[8:9]
	s_cbranch_execz .LBB596_137
; %bb.132:
	s_movk_i32 s8, 0x80
	v_cmp_ne_u16_sdwa s[10:11], v39, s8 src0_sel:BYTE_0 src1_sel:DWORD
	v_bfrev_b32_e32 v45, 1
	s_and_saveexec_b64 s[8:9], s[10:11]
	s_cbranch_execz .LBB596_136
; %bb.133:
	s_movk_i32 s10, 0x7f
	v_and_b32_e32 v38, 0x7f, v39
	v_cmp_ne_u32_e32 vcc, s10, v38
	v_mov_b32_e32 v45, 0x7f800001
	s_and_saveexec_b64 s[10:11], vcc
	s_cbranch_execz .LBB596_135
; %bb.134:
	v_and_b32_e32 v45, 7, v39
	v_ffbh_u32_e32 v54, v45
	v_min_u32_e32 v56, 32, v54
	v_mov_b32_e32 v42, v39
	v_subrev_u32_e32 v54, 28, v56
	v_lshlrev_b64 v[54:55], v54, v[42:43]
	v_lshrrev_b32_e32 v52, 3, v38
	v_sub_u32_e32 v42, 29, v56
	v_and_b32_e32 v54, 7, v54
	v_cmp_gt_u32_e32 vcc, 8, v38
	v_cndmask_b32_e32 v38, v52, v42, vcc
	v_cndmask_b32_e32 v42, v45, v54, vcc
	v_lshlrev_b32_e32 v45, 24, v39
	v_bfrev_b32_e32 v52, 60
	v_lshlrev_b32_e32 v42, 20, v42
	v_and_b32_e32 v45, 0x80000000, v45
	v_lshl_add_u32 v38, v38, 23, v52
	v_or3_b32 v45, v45, v38, v42
.LBB596_135:
	s_or_b64 exec, exec, s[10:11]
.LBB596_136:
	s_or_b64 exec, exec, s[8:9]
.LBB596_137:
	s_or_b64 exec, exec, s[2:3]
	v_lshrrev_b16_e32 v38, 8, v39
	v_cmp_ne_u16_e32 vcc, 0, v38
	v_mov_b32_e32 v42, 0
	v_mov_b32_e32 v54, 0
	s_and_saveexec_b64 s[2:3], vcc
	s_cbranch_execz .LBB596_143
; %bb.138:
	s_movk_i32 s8, 0x80
	v_cmp_ne_u16_e32 vcc, s8, v38
	v_bfrev_b32_e32 v54, 1
	s_and_saveexec_b64 s[8:9], vcc
	s_cbranch_execz .LBB596_142
; %bb.139:
	s_movk_i32 s10, 0x7f
	v_and_b32_e32 v52, 0x7f, v38
	v_cmp_ne_u32_e32 vcc, s10, v52
	v_mov_b32_e32 v54, 0x7f800001
	s_and_saveexec_b64 s[10:11], vcc
	s_cbranch_execz .LBB596_141
; %bb.140:
	v_and_b32_e32 v56, 7, v38
	v_ffbh_u32_e32 v54, v56
	v_min_u32_e32 v58, 32, v54
	v_subrev_u32_e32 v54, 28, v58
	v_lshlrev_b64 v[54:55], v54, v[38:39]
	v_lshrrev_b32_e32 v57, 3, v52
	v_sub_u32_e32 v38, 29, v58
	v_and_b32_e32 v54, 7, v54
	v_cmp_gt_u32_e32 vcc, 8, v52
	v_cndmask_b32_e32 v38, v57, v38, vcc
	v_cndmask_b32_e32 v52, v56, v54, vcc
	v_lshlrev_b32_e32 v54, 16, v39
	v_bfrev_b32_e32 v55, 60
	v_lshlrev_b32_e32 v52, 20, v52
	v_and_b32_e32 v54, 0x80000000, v54
	v_lshl_add_u32 v38, v38, 23, v55
	v_or3_b32 v54, v54, v38, v52
.LBB596_141:
	s_or_b64 exec, exec, s[10:11]
.LBB596_142:
	s_or_b64 exec, exec, s[8:9]
.LBB596_143:
	s_or_b64 exec, exec, s[2:3]
	s_movk_i32 s2, 0xff
	v_and_b32_sdwa v52, v39, s2 dst_sel:DWORD dst_unused:UNUSED_PAD src0_sel:WORD_1 src1_sel:DWORD
	v_lshrrev_b32_e32 v38, 16, v39
	v_cmp_ne_u16_e32 vcc, 0, v52
	s_and_saveexec_b64 s[2:3], vcc
	s_cbranch_execz .LBB596_149
; %bb.144:
	s_movk_i32 s8, 0x80
	v_cmp_ne_u16_e32 vcc, s8, v52
	v_bfrev_b32_e32 v42, 1
	s_and_saveexec_b64 s[8:9], vcc
	s_cbranch_execz .LBB596_148
; %bb.145:
	v_bfe_u32 v52, v39, 16, 7
	s_movk_i32 s10, 0x7f
	v_cmp_ne_u32_e32 vcc, s10, v52
	v_mov_b32_e32 v42, 0x7f800001
	s_and_saveexec_b64 s[10:11], vcc
	s_cbranch_execz .LBB596_147
; %bb.146:
	v_and_b32_e32 v42, 7, v38
	v_ffbh_u32_e32 v56, v42
	v_min_u32_e32 v58, 32, v56
	v_subrev_u32_e32 v56, 28, v58
	v_lshlrev_b64 v[56:57], v56, v[38:39]
	v_lshrrev_b32_e32 v55, 3, v52
	v_sub_u32_e32 v38, 29, v58
	v_and_b32_e32 v56, 7, v56
	v_cmp_gt_u32_e32 vcc, 8, v52
	v_mov_b32_e32 v52, 24
	v_cndmask_b32_e32 v38, v55, v38, vcc
	v_cndmask_b32_e32 v42, v42, v56, vcc
	v_lshlrev_b32_sdwa v52, v52, v39 dst_sel:DWORD dst_unused:UNUSED_PAD src0_sel:DWORD src1_sel:WORD_1
	v_bfrev_b32_e32 v55, 60
	v_lshlrev_b32_e32 v42, 20, v42
	v_and_b32_e32 v52, 0x80000000, v52
	v_lshl_add_u32 v38, v38, 23, v55
	v_or3_b32 v42, v52, v38, v42
.LBB596_147:
	s_or_b64 exec, exec, s[10:11]
.LBB596_148:
	s_or_b64 exec, exec, s[8:9]
.LBB596_149:
	s_or_b64 exec, exec, s[2:3]
	s_mov_b32 s2, 0xffffff
	v_cmp_lt_u32_e32 vcc, s2, v39
	v_mov_b32_e32 v52, 0
	v_mov_b32_e32 v55, 0
	s_and_saveexec_b64 s[2:3], vcc
	s_cbranch_execz .LBB596_155
; %bb.150:
	v_lshrrev_b32_e32 v38, 24, v39
	s_movk_i32 s8, 0x80
	v_cmp_ne_u32_e32 vcc, s8, v38
	v_bfrev_b32_e32 v55, 1
	s_and_saveexec_b64 s[8:9], vcc
	s_cbranch_execz .LBB596_154
; %bb.151:
	v_bfe_u32 v39, v39, 24, 7
	s_movk_i32 s10, 0x7f
	v_cmp_ne_u32_e32 vcc, s10, v39
	v_mov_b32_e32 v55, 0x7f800001
	s_and_saveexec_b64 s[10:11], vcc
	s_cbranch_execz .LBB596_153
; %bb.152:
	v_and_b32_e32 v55, 7, v38
	v_ffbh_u32_e32 v56, v55
	v_min_u32_e32 v59, 32, v56
	v_subrev_u32_e32 v56, 28, v59
	v_lshlrev_b64 v[56:57], v56, v[38:39]
	v_lshrrev_b32_e32 v58, 3, v39
	v_sub_u32_e32 v57, 29, v59
	v_and_b32_e32 v56, 7, v56
	v_cmp_gt_u32_e32 vcc, 8, v39
	v_cndmask_b32_e32 v39, v58, v57, vcc
	v_cndmask_b32_e32 v55, v55, v56, vcc
	v_lshlrev_b32_e32 v38, 24, v38
	v_bfrev_b32_e32 v56, 60
	v_lshlrev_b32_e32 v55, 20, v55
	v_and_b32_e32 v38, 0x80000000, v38
	v_lshl_add_u32 v39, v39, 23, v56
	v_or3_b32 v55, v38, v39, v55
.LBB596_153:
	s_or_b64 exec, exec, s[10:11]
.LBB596_154:
	s_or_b64 exec, exec, s[8:9]
.LBB596_155:
	s_or_b64 exec, exec, s[2:3]
	v_cvt_pkrtz_f16_f32 v38, v51, v44
	v_cvt_pkrtz_f16_f32 v39, v43, v53
	v_cmp_ne_u16_sdwa s[8:9], v40, v52 src0_sel:BYTE_0 src1_sel:DWORD
	s_nop 0
	v_mfma_f32_16x16x16f16 v[56:59], v[38:39], v[26:27], 0
	v_cvt_pkrtz_f16_f32 v38, v45, v54
	v_cvt_pkrtz_f16_f32 v39, v42, v55
	s_nop 1
	v_mfma_f32_16x16x16f16 v[42:45], v[38:39], v[28:29], v[56:59]
	s_and_saveexec_b64 s[2:3], s[8:9]
	s_cbranch_execz .LBB596_161
; %bb.156:
	s_movk_i32 s8, 0x80
	v_cmp_ne_u16_sdwa s[10:11], v40, s8 src0_sel:BYTE_0 src1_sel:DWORD
	v_bfrev_b32_e32 v52, 1
	s_and_saveexec_b64 s[8:9], s[10:11]
	s_cbranch_execz .LBB596_160
; %bb.157:
	s_movk_i32 s10, 0x7f
	v_and_b32_e32 v38, 0x7f, v40
	v_cmp_ne_u32_e32 vcc, s10, v38
	v_mov_b32_e32 v52, 0x7f800001
	s_and_saveexec_b64 s[10:11], vcc
	s_cbranch_execz .LBB596_159
; %bb.158:
	v_and_b32_e32 v39, 7, v40
	v_ffbh_u32_e32 v52, v39
	v_min_u32_e32 v54, 32, v52
	v_subrev_u32_e32 v52, 28, v54
	v_lshlrev_b64 v[52:53], v52, v[40:41]
	v_lshrrev_b32_e32 v51, 3, v38
	v_sub_u32_e32 v53, 29, v54
	v_and_b32_e32 v52, 7, v52
	v_cmp_gt_u32_e32 vcc, 8, v38
	v_cndmask_b32_e32 v38, v51, v53, vcc
	v_cndmask_b32_e32 v39, v39, v52, vcc
	v_lshlrev_b32_e32 v51, 24, v40
	v_bfrev_b32_e32 v52, 60
	v_lshlrev_b32_e32 v39, 20, v39
	v_and_b32_e32 v51, 0x80000000, v51
	v_lshl_add_u32 v38, v38, 23, v52
	v_or3_b32 v52, v51, v38, v39
.LBB596_159:
	s_or_b64 exec, exec, s[10:11]
.LBB596_160:
	s_or_b64 exec, exec, s[8:9]
.LBB596_161:
	s_or_b64 exec, exec, s[2:3]
	v_lshrrev_b16_e32 v38, 8, v40
	v_cmp_ne_u16_e32 vcc, 0, v38
	v_mov_b32_e32 v39, 0
	v_mov_b32_e32 v53, 0
	s_and_saveexec_b64 s[2:3], vcc
	s_cbranch_execz .LBB596_167
; %bb.162:
	s_movk_i32 s8, 0x80
	v_cmp_ne_u16_e32 vcc, s8, v38
	v_bfrev_b32_e32 v53, 1
	s_and_saveexec_b64 s[8:9], vcc
	s_cbranch_execz .LBB596_166
; %bb.163:
	s_movk_i32 s10, 0x7f
	v_and_b32_e32 v51, 0x7f, v38
	v_cmp_ne_u32_e32 vcc, s10, v51
	v_mov_b32_e32 v53, 0x7f800001
	s_and_saveexec_b64 s[10:11], vcc
	s_cbranch_execz .LBB596_165
; %bb.164:
	v_and_b32_e32 v53, 7, v38
	v_ffbh_u32_e32 v54, v53
	v_min_u32_e32 v57, 32, v54
	v_subrev_u32_e32 v54, 28, v57
	v_lshlrev_b64 v[54:55], v54, v[38:39]
	v_lshrrev_b32_e32 v56, 3, v51
	v_sub_u32_e32 v38, 29, v57
	v_and_b32_e32 v54, 7, v54
	v_cmp_gt_u32_e32 vcc, 8, v51
	v_cndmask_b32_e32 v38, v56, v38, vcc
	v_cndmask_b32_e32 v51, v53, v54, vcc
	v_lshlrev_b32_e32 v53, 16, v40
	v_bfrev_b32_e32 v54, 60
	v_lshlrev_b32_e32 v51, 20, v51
	v_and_b32_e32 v53, 0x80000000, v53
	v_lshl_add_u32 v38, v38, 23, v54
	v_or3_b32 v53, v53, v38, v51
.LBB596_165:
	s_or_b64 exec, exec, s[10:11]
.LBB596_166:
	s_or_b64 exec, exec, s[8:9]
.LBB596_167:
	s_or_b64 exec, exec, s[2:3]
	s_movk_i32 s2, 0xff
	v_and_b32_sdwa v51, v40, s2 dst_sel:DWORD dst_unused:UNUSED_PAD src0_sel:WORD_1 src1_sel:DWORD
	v_lshrrev_b32_e32 v38, 16, v40
	v_cmp_ne_u16_e32 vcc, 0, v51
	s_and_saveexec_b64 s[2:3], vcc
	s_cbranch_execz .LBB596_173
; %bb.168:
	s_movk_i32 s8, 0x80
	v_cmp_ne_u16_e32 vcc, s8, v51
	v_bfrev_b32_e32 v39, 1
	s_and_saveexec_b64 s[8:9], vcc
	s_cbranch_execz .LBB596_172
; %bb.169:
	v_bfe_u32 v51, v40, 16, 7
	s_movk_i32 s10, 0x7f
	v_cmp_ne_u32_e32 vcc, s10, v51
	v_mov_b32_e32 v39, 0x7f800001
	s_and_saveexec_b64 s[10:11], vcc
	s_cbranch_execz .LBB596_171
; %bb.170:
	v_and_b32_e32 v54, 7, v38
	v_ffbh_u32_e32 v39, v54
	v_min_u32_e32 v56, 32, v39
	v_subrev_u32_e32 v39, 28, v56
	v_lshlrev_b64 v[38:39], v39, v[38:39]
	v_lshrrev_b32_e32 v55, 3, v51
	v_sub_u32_e32 v39, 29, v56
	v_and_b32_e32 v38, 7, v38
	v_cmp_gt_u32_e32 vcc, 8, v51
	v_mov_b32_e32 v51, 24
	v_cndmask_b32_e32 v39, v55, v39, vcc
	v_cndmask_b32_e32 v38, v54, v38, vcc
	v_lshlrev_b32_sdwa v51, v51, v40 dst_sel:DWORD dst_unused:UNUSED_PAD src0_sel:DWORD src1_sel:WORD_1
	v_bfrev_b32_e32 v54, 60
	v_lshlrev_b32_e32 v38, 20, v38
	v_and_b32_e32 v51, 0x80000000, v51
	v_lshl_add_u32 v39, v39, 23, v54
	v_or3_b32 v39, v51, v39, v38
.LBB596_171:
	s_or_b64 exec, exec, s[10:11]
.LBB596_172:
	s_or_b64 exec, exec, s[8:9]
.LBB596_173:
	s_or_b64 exec, exec, s[2:3]
	s_mov_b32 s2, 0xffffff
	v_cmp_lt_u32_e32 vcc, s2, v40
	v_mov_b32_e32 v54, 0
	v_mov_b32_e32 v55, 0
	s_and_saveexec_b64 s[2:3], vcc
	s_cbranch_execz .LBB596_179
; %bb.174:
	v_lshrrev_b32_e32 v38, 24, v40
	s_movk_i32 s8, 0x80
	v_cmp_ne_u32_e32 vcc, s8, v38
	v_bfrev_b32_e32 v55, 1
	s_and_saveexec_b64 s[8:9], vcc
	s_cbranch_execz .LBB596_178
; %bb.175:
	v_bfe_u32 v40, v40, 24, 7
	s_movk_i32 s10, 0x7f
	v_cmp_ne_u32_e32 vcc, s10, v40
	v_mov_b32_e32 v55, 0x7f800001
	s_and_saveexec_b64 s[10:11], vcc
	s_cbranch_execz .LBB596_177
; %bb.176:
	v_and_b32_e32 v51, 7, v38
	v_ffbh_u32_e32 v56, v51
	v_min_u32_e32 v58, 32, v56
	v_subrev_u32_e32 v56, 28, v58
	v_lshlrev_b64 v[56:57], v56, v[38:39]
	v_lshrrev_b32_e32 v55, 3, v40
	v_sub_u32_e32 v57, 29, v58
	v_and_b32_e32 v56, 7, v56
	v_cmp_gt_u32_e32 vcc, 8, v40
	v_cndmask_b32_e32 v40, v55, v57, vcc
	v_cndmask_b32_e32 v51, v51, v56, vcc
	v_lshlrev_b32_e32 v38, 24, v38
	v_bfrev_b32_e32 v55, 60
	v_lshlrev_b32_e32 v51, 20, v51
	v_and_b32_e32 v38, 0x80000000, v38
	v_lshl_add_u32 v40, v40, 23, v55
	v_or3_b32 v55, v38, v40, v51
.LBB596_177:
	s_or_b64 exec, exec, s[10:11]
.LBB596_178:
	s_or_b64 exec, exec, s[8:9]
.LBB596_179:
	s_or_b64 exec, exec, s[2:3]
	v_cmp_ne_u16_sdwa s[8:9], v41, v54 src0_sel:BYTE_0 src1_sel:DWORD
	s_and_saveexec_b64 s[2:3], s[8:9]
	s_cbranch_execz .LBB596_185
; %bb.180:
	s_movk_i32 s8, 0x80
	v_cmp_ne_u16_sdwa s[10:11], v41, s8 src0_sel:BYTE_0 src1_sel:DWORD
	v_bfrev_b32_e32 v54, 1
	s_and_saveexec_b64 s[8:9], s[10:11]
	s_cbranch_execz .LBB596_184
; %bb.181:
	s_movk_i32 s10, 0x7f
	v_and_b32_e32 v38, 0x7f, v41
	v_cmp_ne_u32_e32 vcc, s10, v38
	v_mov_b32_e32 v54, 0x7f800001
	s_and_saveexec_b64 s[10:11], vcc
	s_cbranch_execz .LBB596_183
; %bb.182:
	v_and_b32_e32 v51, 7, v41
	v_ffbh_u32_e32 v56, v51
	v_min_u32_e32 v58, 32, v56
	v_mov_b32_e32 v40, v41
	v_subrev_u32_e32 v56, 28, v58
	v_lshlrev_b64 v[56:57], v56, v[40:41]
	v_lshrrev_b32_e32 v54, 3, v38
	v_sub_u32_e32 v40, 29, v58
	v_and_b32_e32 v56, 7, v56
	v_cmp_gt_u32_e32 vcc, 8, v38
	v_cndmask_b32_e32 v38, v54, v40, vcc
	v_cndmask_b32_e32 v40, v51, v56, vcc
	v_lshlrev_b32_e32 v51, 24, v41
	v_bfrev_b32_e32 v54, 60
	v_lshlrev_b32_e32 v40, 20, v40
	v_and_b32_e32 v51, 0x80000000, v51
	v_lshl_add_u32 v38, v38, 23, v54
	v_or3_b32 v54, v51, v38, v40
.LBB596_183:
	s_or_b64 exec, exec, s[10:11]
.LBB596_184:
	s_or_b64 exec, exec, s[8:9]
.LBB596_185:
	s_or_b64 exec, exec, s[2:3]
	v_lshrrev_b16_e32 v38, 8, v41
	v_cmp_ne_u16_e32 vcc, 0, v38
	v_mov_b32_e32 v40, 0
	v_mov_b32_e32 v56, 0
	s_and_saveexec_b64 s[2:3], vcc
	s_cbranch_execz .LBB596_191
; %bb.186:
	s_movk_i32 s8, 0x80
	v_cmp_ne_u16_e32 vcc, s8, v38
	v_bfrev_b32_e32 v56, 1
	s_and_saveexec_b64 s[8:9], vcc
	s_cbranch_execz .LBB596_190
; %bb.187:
	s_movk_i32 s10, 0x7f
	v_and_b32_e32 v51, 0x7f, v38
	v_cmp_ne_u32_e32 vcc, s10, v51
	v_mov_b32_e32 v56, 0x7f800001
	s_and_saveexec_b64 s[10:11], vcc
	s_cbranch_execz .LBB596_189
; %bb.188:
	v_and_b32_e32 v58, 7, v38
	v_ffbh_u32_e32 v56, v58
	v_min_u32_e32 v60, 32, v56
	v_subrev_u32_e32 v56, 28, v60
	v_lshlrev_b64 v[56:57], v56, v[38:39]
	v_lshrrev_b32_e32 v59, 3, v51
	v_sub_u32_e32 v38, 29, v60
	v_and_b32_e32 v56, 7, v56
	v_cmp_gt_u32_e32 vcc, 8, v51
	v_cndmask_b32_e32 v38, v59, v38, vcc
	v_cndmask_b32_e32 v51, v58, v56, vcc
	v_lshlrev_b32_e32 v56, 16, v41
	v_bfrev_b32_e32 v57, 60
	v_lshlrev_b32_e32 v51, 20, v51
	v_and_b32_e32 v56, 0x80000000, v56
	v_lshl_add_u32 v38, v38, 23, v57
	v_or3_b32 v56, v56, v38, v51
.LBB596_189:
	s_or_b64 exec, exec, s[10:11]
.LBB596_190:
	s_or_b64 exec, exec, s[8:9]
.LBB596_191:
	s_or_b64 exec, exec, s[2:3]
	s_movk_i32 s2, 0xff
	v_and_b32_sdwa v51, v41, s2 dst_sel:DWORD dst_unused:UNUSED_PAD src0_sel:WORD_1 src1_sel:DWORD
	v_lshrrev_b32_e32 v38, 16, v41
	v_cmp_ne_u16_e32 vcc, 0, v51
	s_and_saveexec_b64 s[2:3], vcc
	s_cbranch_execz .LBB596_197
; %bb.192:
	s_movk_i32 s8, 0x80
	v_cmp_ne_u16_e32 vcc, s8, v51
	v_bfrev_b32_e32 v40, 1
	s_and_saveexec_b64 s[8:9], vcc
	s_cbranch_execz .LBB596_196
; %bb.193:
	v_bfe_u32 v51, v41, 16, 7
	s_movk_i32 s10, 0x7f
	v_cmp_ne_u32_e32 vcc, s10, v51
	v_mov_b32_e32 v40, 0x7f800001
	s_and_saveexec_b64 s[10:11], vcc
	s_cbranch_execz .LBB596_195
; %bb.194:
	v_and_b32_e32 v40, 7, v38
	v_ffbh_u32_e32 v58, v40
	v_min_u32_e32 v60, 32, v58
	v_subrev_u32_e32 v58, 28, v60
	v_lshlrev_b64 v[58:59], v58, v[38:39]
	v_lshrrev_b32_e32 v57, 3, v51
	v_sub_u32_e32 v38, 29, v60
	v_and_b32_e32 v58, 7, v58
	v_cmp_gt_u32_e32 vcc, 8, v51
	v_mov_b32_e32 v51, 24
	v_cndmask_b32_e32 v38, v57, v38, vcc
	v_cndmask_b32_e32 v40, v40, v58, vcc
	v_lshlrev_b32_sdwa v51, v51, v41 dst_sel:DWORD dst_unused:UNUSED_PAD src0_sel:DWORD src1_sel:WORD_1
	v_bfrev_b32_e32 v57, 60
	v_lshlrev_b32_e32 v40, 20, v40
	v_and_b32_e32 v51, 0x80000000, v51
	v_lshl_add_u32 v38, v38, 23, v57
	v_or3_b32 v40, v51, v38, v40
.LBB596_195:
	s_or_b64 exec, exec, s[10:11]
.LBB596_196:
	s_or_b64 exec, exec, s[8:9]
.LBB596_197:
	s_or_b64 exec, exec, s[2:3]
	s_mov_b32 s2, 0xffffff
	v_cmp_lt_u32_e32 vcc, s2, v41
	v_mov_b32_e32 v51, 0
	v_mov_b32_e32 v57, 0
	s_and_saveexec_b64 s[2:3], vcc
	s_cbranch_execz .LBB596_203
; %bb.198:
	v_lshrrev_b32_e32 v38, 24, v41
	s_movk_i32 s8, 0x80
	v_cmp_ne_u32_e32 vcc, s8, v38
	v_bfrev_b32_e32 v57, 1
	s_and_saveexec_b64 s[8:9], vcc
	s_cbranch_execz .LBB596_202
; %bb.199:
	v_bfe_u32 v41, v41, 24, 7
	s_movk_i32 s10, 0x7f
	v_cmp_ne_u32_e32 vcc, s10, v41
	v_mov_b32_e32 v57, 0x7f800001
	s_and_saveexec_b64 s[10:11], vcc
	s_cbranch_execz .LBB596_201
; %bb.200:
	v_and_b32_e32 v57, 7, v38
	v_ffbh_u32_e32 v58, v57
	v_min_u32_e32 v61, 32, v58
	v_subrev_u32_e32 v58, 28, v61
	v_lshlrev_b64 v[58:59], v58, v[38:39]
	v_lshrrev_b32_e32 v60, 3, v41
	v_sub_u32_e32 v59, 29, v61
	v_and_b32_e32 v58, 7, v58
	v_cmp_gt_u32_e32 vcc, 8, v41
	v_cndmask_b32_e32 v41, v60, v59, vcc
	v_cndmask_b32_e32 v57, v57, v58, vcc
	v_lshlrev_b32_e32 v38, 24, v38
	v_bfrev_b32_e32 v58, 60
	v_lshlrev_b32_e32 v57, 20, v57
	v_and_b32_e32 v38, 0x80000000, v38
	v_lshl_add_u32 v41, v41, 23, v58
	v_or3_b32 v57, v38, v41, v57
.LBB596_201:
	s_or_b64 exec, exec, s[10:11]
.LBB596_202:
	s_or_b64 exec, exec, s[8:9]
.LBB596_203:
	s_or_b64 exec, exec, s[2:3]
	v_cvt_pkrtz_f16_f32 v38, v52, v53
	v_cvt_pkrtz_f16_f32 v39, v39, v55
	s_waitcnt vmcnt(5)
	v_cmp_ne_u16_sdwa s[8:9], v34, v51 src0_sel:BYTE_0 src1_sel:DWORD
	v_mfma_f32_16x16x16f16 v[42:45], v[38:39], v[18:19], v[42:45]
	v_cvt_pkrtz_f16_f32 v38, v54, v56
	v_cvt_pkrtz_f16_f32 v39, v40, v57
	s_nop 1
	v_mfma_f32_16x16x16f16 v[38:41], v[38:39], v[20:21], v[42:45]
	s_and_saveexec_b64 s[2:3], s[8:9]
	s_cbranch_execz .LBB596_209
; %bb.204:
	s_movk_i32 s8, 0x80
	v_cmp_ne_u16_sdwa s[10:11], v34, s8 src0_sel:BYTE_0 src1_sel:DWORD
	v_bfrev_b32_e32 v51, 1
	s_and_saveexec_b64 s[8:9], s[10:11]
	s_cbranch_execz .LBB596_208
; %bb.205:
	s_movk_i32 s10, 0x7f
	v_and_b32_e32 v42, 0x7f, v34
	v_cmp_ne_u32_e32 vcc, s10, v42
	v_mov_b32_e32 v51, 0x7f800001
	s_and_saveexec_b64 s[10:11], vcc
	s_cbranch_execz .LBB596_207
; %bb.206:
	v_and_b32_e32 v43, 7, v34
	v_ffbh_u32_e32 v44, v43
	v_min_u32_e32 v52, 32, v44
	v_subrev_u32_e32 v44, 28, v52
	v_lshlrev_b64 v[44:45], v44, v[34:35]
	v_lshrrev_b32_e32 v51, 3, v42
	v_sub_u32_e32 v45, 29, v52
	v_and_b32_e32 v44, 7, v44
	v_cmp_gt_u32_e32 vcc, 8, v42
	v_cndmask_b32_e32 v42, v51, v45, vcc
	v_cndmask_b32_e32 v43, v43, v44, vcc
	v_lshlrev_b32_e32 v44, 24, v34
	v_bfrev_b32_e32 v45, 60
	v_lshlrev_b32_e32 v43, 20, v43
	v_and_b32_e32 v44, 0x80000000, v44
	v_lshl_add_u32 v42, v42, 23, v45
	v_or3_b32 v51, v44, v42, v43
.LBB596_207:
	s_or_b64 exec, exec, s[10:11]
.LBB596_208:
	s_or_b64 exec, exec, s[8:9]
.LBB596_209:
	s_or_b64 exec, exec, s[2:3]
	s_nop 3
	v_lshrrev_b16_e32 v42, 8, v34
	v_cmp_ne_u16_e32 vcc, 0, v42
	v_mov_b32_e32 v43, 0
	v_mov_b32_e32 v44, 0
	s_and_saveexec_b64 s[2:3], vcc
	s_cbranch_execz .LBB596_215
; %bb.210:
	s_movk_i32 s8, 0x80
	v_cmp_ne_u16_e32 vcc, s8, v42
	v_bfrev_b32_e32 v44, 1
	s_and_saveexec_b64 s[8:9], vcc
	s_cbranch_execz .LBB596_214
; %bb.211:
	s_movk_i32 s10, 0x7f
	v_and_b32_e32 v45, 0x7f, v42
	v_cmp_ne_u32_e32 vcc, s10, v45
	v_mov_b32_e32 v44, 0x7f800001
	s_and_saveexec_b64 s[10:11], vcc
	s_cbranch_execz .LBB596_213
; %bb.212:
	v_and_b32_e32 v44, 7, v42
	v_ffbh_u32_e32 v52, v44
	v_min_u32_e32 v55, 32, v52
	v_subrev_u32_e32 v52, 28, v55
	v_lshlrev_b64 v[52:53], v52, v[42:43]
	v_lshrrev_b32_e32 v54, 3, v45
	v_sub_u32_e32 v42, 29, v55
	v_and_b32_e32 v52, 7, v52
	v_cmp_gt_u32_e32 vcc, 8, v45
	v_cndmask_b32_e32 v42, v54, v42, vcc
	v_cndmask_b32_e32 v44, v44, v52, vcc
	v_lshlrev_b32_e32 v45, 16, v34
	v_bfrev_b32_e32 v52, 60
	v_lshlrev_b32_e32 v44, 20, v44
	v_and_b32_e32 v45, 0x80000000, v45
	v_lshl_add_u32 v42, v42, 23, v52
	v_or3_b32 v44, v45, v42, v44
.LBB596_213:
	s_or_b64 exec, exec, s[10:11]
.LBB596_214:
	s_or_b64 exec, exec, s[8:9]
.LBB596_215:
	s_or_b64 exec, exec, s[2:3]
	s_movk_i32 s2, 0xff
	v_and_b32_sdwa v45, v34, s2 dst_sel:DWORD dst_unused:UNUSED_PAD src0_sel:WORD_1 src1_sel:DWORD
	v_lshrrev_b32_e32 v42, 16, v34
	v_cmp_ne_u16_e32 vcc, 0, v45
	s_and_saveexec_b64 s[2:3], vcc
	s_cbranch_execz .LBB596_221
; %bb.216:
	s_movk_i32 s8, 0x80
	v_cmp_ne_u16_e32 vcc, s8, v45
	v_bfrev_b32_e32 v43, 1
	s_and_saveexec_b64 s[8:9], vcc
	s_cbranch_execz .LBB596_220
; %bb.217:
	v_bfe_u32 v45, v34, 16, 7
	s_movk_i32 s10, 0x7f
	v_cmp_ne_u32_e32 vcc, s10, v45
	v_mov_b32_e32 v43, 0x7f800001
	s_and_saveexec_b64 s[10:11], vcc
	s_cbranch_execz .LBB596_219
; %bb.218:
	v_and_b32_e32 v52, 7, v42
	v_ffbh_u32_e32 v43, v52
	v_min_u32_e32 v54, 32, v43
	v_subrev_u32_e32 v43, 28, v54
	v_lshlrev_b64 v[42:43], v43, v[42:43]
	v_lshrrev_b32_e32 v53, 3, v45
	v_sub_u32_e32 v43, 29, v54
	v_and_b32_e32 v42, 7, v42
	v_cmp_gt_u32_e32 vcc, 8, v45
	v_mov_b32_e32 v45, 24
	v_cndmask_b32_e32 v43, v53, v43, vcc
	v_cndmask_b32_e32 v42, v52, v42, vcc
	v_lshlrev_b32_sdwa v45, v45, v34 dst_sel:DWORD dst_unused:UNUSED_PAD src0_sel:DWORD src1_sel:WORD_1
	v_bfrev_b32_e32 v52, 60
	v_lshlrev_b32_e32 v42, 20, v42
	v_and_b32_e32 v45, 0x80000000, v45
	v_lshl_add_u32 v43, v43, 23, v52
	v_or3_b32 v43, v45, v43, v42
.LBB596_219:
	s_or_b64 exec, exec, s[10:11]
.LBB596_220:
	s_or_b64 exec, exec, s[8:9]
.LBB596_221:
	s_or_b64 exec, exec, s[2:3]
	s_mov_b32 s2, 0xffffff
	v_cmp_lt_u32_e32 vcc, s2, v34
	v_mov_b32_e32 v45, 0
	v_mov_b32_e32 v53, 0
	s_and_saveexec_b64 s[2:3], vcc
	s_cbranch_execz .LBB596_227
; %bb.222:
	v_lshrrev_b32_e32 v42, 24, v34
	s_movk_i32 s8, 0x80
	v_cmp_ne_u32_e32 vcc, s8, v42
	v_bfrev_b32_e32 v53, 1
	s_and_saveexec_b64 s[8:9], vcc
	s_cbranch_execz .LBB596_226
; %bb.223:
	v_bfe_u32 v34, v34, 24, 7
	s_movk_i32 s10, 0x7f
	v_cmp_ne_u32_e32 vcc, s10, v34
	v_mov_b32_e32 v53, 0x7f800001
	s_and_saveexec_b64 s[10:11], vcc
	s_cbranch_execz .LBB596_225
; %bb.224:
	v_and_b32_e32 v54, 7, v42
	v_ffbh_u32_e32 v52, v54
	v_min_u32_e32 v56, 32, v52
	v_subrev_u32_e32 v52, 28, v56
	v_lshlrev_b64 v[52:53], v52, v[42:43]
	v_lshrrev_b32_e32 v55, 3, v34
	v_sub_u32_e32 v53, 29, v56
	v_and_b32_e32 v52, 7, v52
	v_cmp_gt_u32_e32 vcc, 8, v34
	v_cndmask_b32_e32 v34, v55, v53, vcc
	v_cndmask_b32_e32 v52, v54, v52, vcc
	v_lshlrev_b32_e32 v42, 24, v42
	v_bfrev_b32_e32 v53, 60
	v_lshlrev_b32_e32 v52, 20, v52
	v_and_b32_e32 v42, 0x80000000, v42
	v_lshl_add_u32 v34, v34, 23, v53
	v_or3_b32 v53, v42, v34, v52
.LBB596_225:
	s_or_b64 exec, exec, s[10:11]
.LBB596_226:
	s_or_b64 exec, exec, s[8:9]
.LBB596_227:
	s_or_b64 exec, exec, s[2:3]
	v_cmp_ne_u16_sdwa s[8:9], v35, v45 src0_sel:BYTE_0 src1_sel:DWORD
	s_and_saveexec_b64 s[2:3], s[8:9]
	s_cbranch_execz .LBB596_233
; %bb.228:
	s_movk_i32 s8, 0x80
	v_cmp_ne_u16_sdwa s[10:11], v35, s8 src0_sel:BYTE_0 src1_sel:DWORD
	v_bfrev_b32_e32 v45, 1
	s_and_saveexec_b64 s[8:9], s[10:11]
	s_cbranch_execz .LBB596_232
; %bb.229:
	s_movk_i32 s10, 0x7f
	v_and_b32_e32 v34, 0x7f, v35
	v_cmp_ne_u32_e32 vcc, s10, v34
	v_mov_b32_e32 v45, 0x7f800001
	s_and_saveexec_b64 s[10:11], vcc
	s_cbranch_execz .LBB596_231
; %bb.230:
	v_and_b32_e32 v45, 7, v35
	v_ffbh_u32_e32 v54, v45
	v_min_u32_e32 v56, 32, v54
	v_mov_b32_e32 v42, v35
	v_subrev_u32_e32 v54, 28, v56
	v_lshlrev_b64 v[54:55], v54, v[42:43]
	v_lshrrev_b32_e32 v52, 3, v34
	v_sub_u32_e32 v42, 29, v56
	v_and_b32_e32 v54, 7, v54
	v_cmp_gt_u32_e32 vcc, 8, v34
	v_cndmask_b32_e32 v34, v52, v42, vcc
	v_cndmask_b32_e32 v42, v45, v54, vcc
	v_lshlrev_b32_e32 v45, 24, v35
	v_bfrev_b32_e32 v52, 60
	v_lshlrev_b32_e32 v42, 20, v42
	v_and_b32_e32 v45, 0x80000000, v45
	v_lshl_add_u32 v34, v34, 23, v52
	v_or3_b32 v45, v45, v34, v42
.LBB596_231:
	s_or_b64 exec, exec, s[10:11]
.LBB596_232:
	s_or_b64 exec, exec, s[8:9]
.LBB596_233:
	s_or_b64 exec, exec, s[2:3]
	v_lshrrev_b16_e32 v34, 8, v35
	v_cmp_ne_u16_e32 vcc, 0, v34
	v_mov_b32_e32 v42, 0
	v_mov_b32_e32 v54, 0
	s_and_saveexec_b64 s[2:3], vcc
	s_cbranch_execz .LBB596_239
; %bb.234:
	s_movk_i32 s8, 0x80
	v_cmp_ne_u16_e32 vcc, s8, v34
	v_bfrev_b32_e32 v54, 1
	s_and_saveexec_b64 s[8:9], vcc
	s_cbranch_execz .LBB596_238
; %bb.235:
	s_movk_i32 s10, 0x7f
	v_and_b32_e32 v52, 0x7f, v34
	v_cmp_ne_u32_e32 vcc, s10, v52
	v_mov_b32_e32 v54, 0x7f800001
	s_and_saveexec_b64 s[10:11], vcc
	s_cbranch_execz .LBB596_237
; %bb.236:
	v_and_b32_e32 v56, 7, v34
	v_ffbh_u32_e32 v54, v56
	v_min_u32_e32 v58, 32, v54
	v_subrev_u32_e32 v54, 28, v58
	v_lshlrev_b64 v[54:55], v54, v[34:35]
	v_lshrrev_b32_e32 v57, 3, v52
	v_sub_u32_e32 v34, 29, v58
	v_and_b32_e32 v54, 7, v54
	v_cmp_gt_u32_e32 vcc, 8, v52
	v_cndmask_b32_e32 v34, v57, v34, vcc
	v_cndmask_b32_e32 v52, v56, v54, vcc
	v_lshlrev_b32_e32 v54, 16, v35
	v_bfrev_b32_e32 v55, 60
	v_lshlrev_b32_e32 v52, 20, v52
	v_and_b32_e32 v54, 0x80000000, v54
	v_lshl_add_u32 v34, v34, 23, v55
	v_or3_b32 v54, v54, v34, v52
.LBB596_237:
	s_or_b64 exec, exec, s[10:11]
.LBB596_238:
	s_or_b64 exec, exec, s[8:9]
.LBB596_239:
	s_or_b64 exec, exec, s[2:3]
	s_movk_i32 s2, 0xff
	v_and_b32_sdwa v52, v35, s2 dst_sel:DWORD dst_unused:UNUSED_PAD src0_sel:WORD_1 src1_sel:DWORD
	v_lshrrev_b32_e32 v34, 16, v35
	v_cmp_ne_u16_e32 vcc, 0, v52
	s_and_saveexec_b64 s[2:3], vcc
	s_cbranch_execz .LBB596_245
; %bb.240:
	s_movk_i32 s8, 0x80
	v_cmp_ne_u16_e32 vcc, s8, v52
	v_bfrev_b32_e32 v42, 1
	s_and_saveexec_b64 s[8:9], vcc
	s_cbranch_execz .LBB596_244
; %bb.241:
	v_bfe_u32 v52, v35, 16, 7
	s_movk_i32 s10, 0x7f
	v_cmp_ne_u32_e32 vcc, s10, v52
	v_mov_b32_e32 v42, 0x7f800001
	s_and_saveexec_b64 s[10:11], vcc
	s_cbranch_execz .LBB596_243
; %bb.242:
	v_and_b32_e32 v42, 7, v34
	v_ffbh_u32_e32 v56, v42
	v_min_u32_e32 v58, 32, v56
	v_subrev_u32_e32 v56, 28, v58
	v_lshlrev_b64 v[56:57], v56, v[34:35]
	v_lshrrev_b32_e32 v55, 3, v52
	v_sub_u32_e32 v34, 29, v58
	v_and_b32_e32 v56, 7, v56
	v_cmp_gt_u32_e32 vcc, 8, v52
	v_mov_b32_e32 v52, 24
	v_cndmask_b32_e32 v34, v55, v34, vcc
	v_cndmask_b32_e32 v42, v42, v56, vcc
	v_lshlrev_b32_sdwa v52, v52, v35 dst_sel:DWORD dst_unused:UNUSED_PAD src0_sel:DWORD src1_sel:WORD_1
	v_bfrev_b32_e32 v55, 60
	v_lshlrev_b32_e32 v42, 20, v42
	v_and_b32_e32 v52, 0x80000000, v52
	v_lshl_add_u32 v34, v34, 23, v55
	v_or3_b32 v42, v52, v34, v42
.LBB596_243:
	s_or_b64 exec, exec, s[10:11]
.LBB596_244:
	s_or_b64 exec, exec, s[8:9]
.LBB596_245:
	s_or_b64 exec, exec, s[2:3]
	s_mov_b32 s2, 0xffffff
	v_cmp_lt_u32_e32 vcc, s2, v35
	v_mov_b32_e32 v52, 0
	v_mov_b32_e32 v55, 0
	s_and_saveexec_b64 s[2:3], vcc
	s_cbranch_execz .LBB596_251
; %bb.246:
	v_lshrrev_b32_e32 v34, 24, v35
	s_movk_i32 s8, 0x80
	v_cmp_ne_u32_e32 vcc, s8, v34
	v_bfrev_b32_e32 v55, 1
	s_and_saveexec_b64 s[8:9], vcc
	s_cbranch_execz .LBB596_250
; %bb.247:
	v_bfe_u32 v35, v35, 24, 7
	s_movk_i32 s10, 0x7f
	v_cmp_ne_u32_e32 vcc, s10, v35
	v_mov_b32_e32 v55, 0x7f800001
	s_and_saveexec_b64 s[10:11], vcc
	s_cbranch_execz .LBB596_249
; %bb.248:
	v_and_b32_e32 v55, 7, v34
	v_ffbh_u32_e32 v56, v55
	v_min_u32_e32 v59, 32, v56
	v_subrev_u32_e32 v56, 28, v59
	v_lshlrev_b64 v[56:57], v56, v[34:35]
	v_lshrrev_b32_e32 v58, 3, v35
	v_sub_u32_e32 v57, 29, v59
	v_and_b32_e32 v56, 7, v56
	v_cmp_gt_u32_e32 vcc, 8, v35
	v_cndmask_b32_e32 v35, v58, v57, vcc
	v_cndmask_b32_e32 v55, v55, v56, vcc
	v_lshlrev_b32_e32 v34, 24, v34
	v_bfrev_b32_e32 v56, 60
	v_lshlrev_b32_e32 v55, 20, v55
	v_and_b32_e32 v34, 0x80000000, v34
	v_lshl_add_u32 v35, v35, 23, v56
	v_or3_b32 v55, v34, v35, v55
.LBB596_249:
	s_or_b64 exec, exec, s[10:11]
.LBB596_250:
	s_or_b64 exec, exec, s[8:9]
.LBB596_251:
	s_or_b64 exec, exec, s[2:3]
	v_cvt_pkrtz_f16_f32 v34, v51, v44
	v_cvt_pkrtz_f16_f32 v35, v43, v53
	v_cmp_ne_u16_sdwa s[8:9], v36, v52 src0_sel:BYTE_0 src1_sel:DWORD
	s_nop 0
	v_mfma_f32_16x16x16f16 v[56:59], v[34:35], v[26:27], 0
	v_cvt_pkrtz_f16_f32 v34, v45, v54
	v_cvt_pkrtz_f16_f32 v35, v42, v55
	s_nop 1
	v_mfma_f32_16x16x16f16 v[42:45], v[34:35], v[28:29], v[56:59]
	s_and_saveexec_b64 s[2:3], s[8:9]
	s_cbranch_execz .LBB596_257
; %bb.252:
	s_movk_i32 s8, 0x80
	v_cmp_ne_u16_sdwa s[10:11], v36, s8 src0_sel:BYTE_0 src1_sel:DWORD
	v_bfrev_b32_e32 v52, 1
	s_and_saveexec_b64 s[8:9], s[10:11]
	s_cbranch_execz .LBB596_256
; %bb.253:
	s_movk_i32 s10, 0x7f
	v_and_b32_e32 v34, 0x7f, v36
	v_cmp_ne_u32_e32 vcc, s10, v34
	v_mov_b32_e32 v52, 0x7f800001
	s_and_saveexec_b64 s[10:11], vcc
	s_cbranch_execz .LBB596_255
; %bb.254:
	v_and_b32_e32 v35, 7, v36
	v_ffbh_u32_e32 v52, v35
	v_min_u32_e32 v54, 32, v52
	v_subrev_u32_e32 v52, 28, v54
	v_lshlrev_b64 v[52:53], v52, v[36:37]
	v_lshrrev_b32_e32 v51, 3, v34
	v_sub_u32_e32 v53, 29, v54
	v_and_b32_e32 v52, 7, v52
	v_cmp_gt_u32_e32 vcc, 8, v34
	v_cndmask_b32_e32 v34, v51, v53, vcc
	v_cndmask_b32_e32 v35, v35, v52, vcc
	v_lshlrev_b32_e32 v51, 24, v36
	v_bfrev_b32_e32 v52, 60
	v_lshlrev_b32_e32 v35, 20, v35
	v_and_b32_e32 v51, 0x80000000, v51
	v_lshl_add_u32 v34, v34, 23, v52
	v_or3_b32 v52, v51, v34, v35
.LBB596_255:
	s_or_b64 exec, exec, s[10:11]
.LBB596_256:
	s_or_b64 exec, exec, s[8:9]
.LBB596_257:
	s_or_b64 exec, exec, s[2:3]
	v_lshrrev_b16_e32 v34, 8, v36
	v_cmp_ne_u16_e32 vcc, 0, v34
	v_mov_b32_e32 v35, 0
	v_mov_b32_e32 v53, 0
	s_and_saveexec_b64 s[2:3], vcc
	s_cbranch_execz .LBB596_263
; %bb.258:
	s_movk_i32 s8, 0x80
	v_cmp_ne_u16_e32 vcc, s8, v34
	v_bfrev_b32_e32 v53, 1
	s_and_saveexec_b64 s[8:9], vcc
	s_cbranch_execz .LBB596_262
; %bb.259:
	s_movk_i32 s10, 0x7f
	v_and_b32_e32 v51, 0x7f, v34
	v_cmp_ne_u32_e32 vcc, s10, v51
	v_mov_b32_e32 v53, 0x7f800001
	s_and_saveexec_b64 s[10:11], vcc
	s_cbranch_execz .LBB596_261
; %bb.260:
	v_and_b32_e32 v53, 7, v34
	v_ffbh_u32_e32 v54, v53
	v_min_u32_e32 v57, 32, v54
	v_subrev_u32_e32 v54, 28, v57
	v_lshlrev_b64 v[54:55], v54, v[34:35]
	v_lshrrev_b32_e32 v56, 3, v51
	v_sub_u32_e32 v34, 29, v57
	v_and_b32_e32 v54, 7, v54
	v_cmp_gt_u32_e32 vcc, 8, v51
	v_cndmask_b32_e32 v34, v56, v34, vcc
	v_cndmask_b32_e32 v51, v53, v54, vcc
	v_lshlrev_b32_e32 v53, 16, v36
	v_bfrev_b32_e32 v54, 60
	v_lshlrev_b32_e32 v51, 20, v51
	v_and_b32_e32 v53, 0x80000000, v53
	v_lshl_add_u32 v34, v34, 23, v54
	v_or3_b32 v53, v53, v34, v51
.LBB596_261:
	s_or_b64 exec, exec, s[10:11]
.LBB596_262:
	s_or_b64 exec, exec, s[8:9]
.LBB596_263:
	s_or_b64 exec, exec, s[2:3]
	s_movk_i32 s2, 0xff
	v_and_b32_sdwa v51, v36, s2 dst_sel:DWORD dst_unused:UNUSED_PAD src0_sel:WORD_1 src1_sel:DWORD
	v_lshrrev_b32_e32 v34, 16, v36
	v_cmp_ne_u16_e32 vcc, 0, v51
	s_and_saveexec_b64 s[2:3], vcc
	s_cbranch_execz .LBB596_269
; %bb.264:
	s_movk_i32 s8, 0x80
	v_cmp_ne_u16_e32 vcc, s8, v51
	v_bfrev_b32_e32 v35, 1
	s_and_saveexec_b64 s[8:9], vcc
	s_cbranch_execz .LBB596_268
; %bb.265:
	v_bfe_u32 v51, v36, 16, 7
	s_movk_i32 s10, 0x7f
	v_cmp_ne_u32_e32 vcc, s10, v51
	v_mov_b32_e32 v35, 0x7f800001
	s_and_saveexec_b64 s[10:11], vcc
	s_cbranch_execz .LBB596_267
; %bb.266:
	v_and_b32_e32 v54, 7, v34
	v_ffbh_u32_e32 v35, v54
	v_min_u32_e32 v56, 32, v35
	v_subrev_u32_e32 v35, 28, v56
	v_lshlrev_b64 v[34:35], v35, v[34:35]
	v_lshrrev_b32_e32 v55, 3, v51
	v_sub_u32_e32 v35, 29, v56
	v_and_b32_e32 v34, 7, v34
	v_cmp_gt_u32_e32 vcc, 8, v51
	v_mov_b32_e32 v51, 24
	v_cndmask_b32_e32 v35, v55, v35, vcc
	v_cndmask_b32_e32 v34, v54, v34, vcc
	v_lshlrev_b32_sdwa v51, v51, v36 dst_sel:DWORD dst_unused:UNUSED_PAD src0_sel:DWORD src1_sel:WORD_1
	v_bfrev_b32_e32 v54, 60
	v_lshlrev_b32_e32 v34, 20, v34
	v_and_b32_e32 v51, 0x80000000, v51
	v_lshl_add_u32 v35, v35, 23, v54
	v_or3_b32 v35, v51, v35, v34
.LBB596_267:
	s_or_b64 exec, exec, s[10:11]
.LBB596_268:
	s_or_b64 exec, exec, s[8:9]
.LBB596_269:
	s_or_b64 exec, exec, s[2:3]
	s_mov_b32 s2, 0xffffff
	v_cmp_lt_u32_e32 vcc, s2, v36
	v_mov_b32_e32 v54, 0
	v_mov_b32_e32 v55, 0
	s_and_saveexec_b64 s[2:3], vcc
	s_cbranch_execz .LBB596_275
; %bb.270:
	v_lshrrev_b32_e32 v34, 24, v36
	s_movk_i32 s8, 0x80
	v_cmp_ne_u32_e32 vcc, s8, v34
	v_bfrev_b32_e32 v55, 1
	s_and_saveexec_b64 s[8:9], vcc
	s_cbranch_execz .LBB596_274
; %bb.271:
	v_bfe_u32 v36, v36, 24, 7
	s_movk_i32 s10, 0x7f
	v_cmp_ne_u32_e32 vcc, s10, v36
	v_mov_b32_e32 v55, 0x7f800001
	s_and_saveexec_b64 s[10:11], vcc
	s_cbranch_execz .LBB596_273
; %bb.272:
	v_and_b32_e32 v51, 7, v34
	v_ffbh_u32_e32 v56, v51
	v_min_u32_e32 v58, 32, v56
	v_subrev_u32_e32 v56, 28, v58
	v_lshlrev_b64 v[56:57], v56, v[34:35]
	v_lshrrev_b32_e32 v55, 3, v36
	v_sub_u32_e32 v57, 29, v58
	v_and_b32_e32 v56, 7, v56
	v_cmp_gt_u32_e32 vcc, 8, v36
	v_cndmask_b32_e32 v36, v55, v57, vcc
	v_cndmask_b32_e32 v51, v51, v56, vcc
	v_lshlrev_b32_e32 v34, 24, v34
	v_bfrev_b32_e32 v55, 60
	v_lshlrev_b32_e32 v51, 20, v51
	v_and_b32_e32 v34, 0x80000000, v34
	v_lshl_add_u32 v36, v36, 23, v55
	v_or3_b32 v55, v34, v36, v51
.LBB596_273:
	s_or_b64 exec, exec, s[10:11]
.LBB596_274:
	s_or_b64 exec, exec, s[8:9]
.LBB596_275:
	s_or_b64 exec, exec, s[2:3]
	v_cmp_ne_u16_sdwa s[8:9], v37, v54 src0_sel:BYTE_0 src1_sel:DWORD
	s_and_saveexec_b64 s[2:3], s[8:9]
	s_cbranch_execz .LBB596_281
; %bb.276:
	s_movk_i32 s8, 0x80
	v_cmp_ne_u16_sdwa s[10:11], v37, s8 src0_sel:BYTE_0 src1_sel:DWORD
	v_bfrev_b32_e32 v54, 1
	s_and_saveexec_b64 s[8:9], s[10:11]
	s_cbranch_execz .LBB596_280
; %bb.277:
	s_movk_i32 s10, 0x7f
	v_and_b32_e32 v34, 0x7f, v37
	v_cmp_ne_u32_e32 vcc, s10, v34
	v_mov_b32_e32 v54, 0x7f800001
	s_and_saveexec_b64 s[10:11], vcc
	s_cbranch_execz .LBB596_279
; %bb.278:
	v_and_b32_e32 v51, 7, v37
	v_ffbh_u32_e32 v56, v51
	v_min_u32_e32 v58, 32, v56
	v_mov_b32_e32 v36, v37
	v_subrev_u32_e32 v56, 28, v58
	v_lshlrev_b64 v[56:57], v56, v[36:37]
	v_lshrrev_b32_e32 v54, 3, v34
	v_sub_u32_e32 v36, 29, v58
	v_and_b32_e32 v56, 7, v56
	v_cmp_gt_u32_e32 vcc, 8, v34
	v_cndmask_b32_e32 v34, v54, v36, vcc
	v_cndmask_b32_e32 v36, v51, v56, vcc
	v_lshlrev_b32_e32 v51, 24, v37
	v_bfrev_b32_e32 v54, 60
	v_lshlrev_b32_e32 v36, 20, v36
	v_and_b32_e32 v51, 0x80000000, v51
	v_lshl_add_u32 v34, v34, 23, v54
	v_or3_b32 v54, v51, v34, v36
.LBB596_279:
	s_or_b64 exec, exec, s[10:11]
.LBB596_280:
	s_or_b64 exec, exec, s[8:9]
.LBB596_281:
	s_or_b64 exec, exec, s[2:3]
	v_lshrrev_b16_e32 v34, 8, v37
	v_cmp_ne_u16_e32 vcc, 0, v34
	v_mov_b32_e32 v36, 0
	v_mov_b32_e32 v56, 0
	s_and_saveexec_b64 s[2:3], vcc
	s_cbranch_execz .LBB596_287
; %bb.282:
	s_movk_i32 s8, 0x80
	v_cmp_ne_u16_e32 vcc, s8, v34
	v_bfrev_b32_e32 v56, 1
	s_and_saveexec_b64 s[8:9], vcc
	s_cbranch_execz .LBB596_286
; %bb.283:
	s_movk_i32 s10, 0x7f
	v_and_b32_e32 v51, 0x7f, v34
	v_cmp_ne_u32_e32 vcc, s10, v51
	v_mov_b32_e32 v56, 0x7f800001
	s_and_saveexec_b64 s[10:11], vcc
	s_cbranch_execz .LBB596_285
; %bb.284:
	v_and_b32_e32 v58, 7, v34
	v_ffbh_u32_e32 v56, v58
	v_min_u32_e32 v60, 32, v56
	v_subrev_u32_e32 v56, 28, v60
	v_lshlrev_b64 v[56:57], v56, v[34:35]
	v_lshrrev_b32_e32 v59, 3, v51
	v_sub_u32_e32 v34, 29, v60
	v_and_b32_e32 v56, 7, v56
	v_cmp_gt_u32_e32 vcc, 8, v51
	v_cndmask_b32_e32 v34, v59, v34, vcc
	v_cndmask_b32_e32 v51, v58, v56, vcc
	v_lshlrev_b32_e32 v56, 16, v37
	v_bfrev_b32_e32 v57, 60
	v_lshlrev_b32_e32 v51, 20, v51
	v_and_b32_e32 v56, 0x80000000, v56
	v_lshl_add_u32 v34, v34, 23, v57
	v_or3_b32 v56, v56, v34, v51
.LBB596_285:
	s_or_b64 exec, exec, s[10:11]
.LBB596_286:
	s_or_b64 exec, exec, s[8:9]
.LBB596_287:
	s_or_b64 exec, exec, s[2:3]
	s_movk_i32 s2, 0xff
	v_and_b32_sdwa v51, v37, s2 dst_sel:DWORD dst_unused:UNUSED_PAD src0_sel:WORD_1 src1_sel:DWORD
	v_lshrrev_b32_e32 v34, 16, v37
	v_cmp_ne_u16_e32 vcc, 0, v51
	s_and_saveexec_b64 s[2:3], vcc
	s_cbranch_execz .LBB596_293
; %bb.288:
	s_movk_i32 s8, 0x80
	v_cmp_ne_u16_e32 vcc, s8, v51
	v_bfrev_b32_e32 v36, 1
	s_and_saveexec_b64 s[8:9], vcc
	s_cbranch_execz .LBB596_292
; %bb.289:
	v_bfe_u32 v51, v37, 16, 7
	s_movk_i32 s10, 0x7f
	v_cmp_ne_u32_e32 vcc, s10, v51
	v_mov_b32_e32 v36, 0x7f800001
	s_and_saveexec_b64 s[10:11], vcc
	s_cbranch_execz .LBB596_291
; %bb.290:
	v_and_b32_e32 v36, 7, v34
	v_ffbh_u32_e32 v58, v36
	v_min_u32_e32 v60, 32, v58
	v_subrev_u32_e32 v58, 28, v60
	v_lshlrev_b64 v[58:59], v58, v[34:35]
	v_lshrrev_b32_e32 v57, 3, v51
	v_sub_u32_e32 v34, 29, v60
	v_and_b32_e32 v58, 7, v58
	v_cmp_gt_u32_e32 vcc, 8, v51
	v_mov_b32_e32 v51, 24
	v_cndmask_b32_e32 v34, v57, v34, vcc
	v_cndmask_b32_e32 v36, v36, v58, vcc
	v_lshlrev_b32_sdwa v51, v51, v37 dst_sel:DWORD dst_unused:UNUSED_PAD src0_sel:DWORD src1_sel:WORD_1
	v_bfrev_b32_e32 v57, 60
	v_lshlrev_b32_e32 v36, 20, v36
	v_and_b32_e32 v51, 0x80000000, v51
	v_lshl_add_u32 v34, v34, 23, v57
	v_or3_b32 v36, v51, v34, v36
.LBB596_291:
	s_or_b64 exec, exec, s[10:11]
.LBB596_292:
	s_or_b64 exec, exec, s[8:9]
.LBB596_293:
	s_or_b64 exec, exec, s[2:3]
	s_mov_b32 s2, 0xffffff
	v_cmp_lt_u32_e32 vcc, s2, v37
	v_mov_b32_e32 v51, 0
	v_mov_b32_e32 v57, 0
	s_and_saveexec_b64 s[2:3], vcc
	s_cbranch_execz .LBB596_299
; %bb.294:
	v_lshrrev_b32_e32 v34, 24, v37
	s_movk_i32 s8, 0x80
	v_cmp_ne_u32_e32 vcc, s8, v34
	v_bfrev_b32_e32 v57, 1
	s_and_saveexec_b64 s[8:9], vcc
	s_cbranch_execz .LBB596_298
; %bb.295:
	v_bfe_u32 v37, v37, 24, 7
	s_movk_i32 s10, 0x7f
	v_cmp_ne_u32_e32 vcc, s10, v37
	v_mov_b32_e32 v57, 0x7f800001
	s_and_saveexec_b64 s[10:11], vcc
	s_cbranch_execz .LBB596_297
; %bb.296:
	v_and_b32_e32 v57, 7, v34
	v_ffbh_u32_e32 v58, v57
	v_min_u32_e32 v61, 32, v58
	v_subrev_u32_e32 v58, 28, v61
	v_lshlrev_b64 v[58:59], v58, v[34:35]
	v_lshrrev_b32_e32 v60, 3, v37
	v_sub_u32_e32 v59, 29, v61
	v_and_b32_e32 v58, 7, v58
	v_cmp_gt_u32_e32 vcc, 8, v37
	v_cndmask_b32_e32 v37, v60, v59, vcc
	v_cndmask_b32_e32 v57, v57, v58, vcc
	v_lshlrev_b32_e32 v34, 24, v34
	v_bfrev_b32_e32 v58, 60
	v_lshlrev_b32_e32 v57, 20, v57
	v_and_b32_e32 v34, 0x80000000, v34
	v_lshl_add_u32 v37, v37, 23, v58
	v_or3_b32 v57, v34, v37, v57
.LBB596_297:
	s_or_b64 exec, exec, s[10:11]
.LBB596_298:
	s_or_b64 exec, exec, s[8:9]
.LBB596_299:
	s_or_b64 exec, exec, s[2:3]
	v_cvt_pkrtz_f16_f32 v34, v52, v53
	v_cvt_pkrtz_f16_f32 v35, v35, v55
	s_waitcnt vmcnt(4)
	v_cmp_ne_u16_sdwa s[8:9], v22, v51 src0_sel:BYTE_0 src1_sel:DWORD
	v_mfma_f32_16x16x16f16 v[42:45], v[34:35], v[18:19], v[42:45]
	v_cvt_pkrtz_f16_f32 v34, v54, v56
	v_cvt_pkrtz_f16_f32 v35, v36, v57
	s_nop 1
	v_mfma_f32_16x16x16f16 v[34:37], v[34:35], v[20:21], v[42:45]
	s_and_saveexec_b64 s[2:3], s[8:9]
	s_cbranch_execz .LBB596_305
; %bb.300:
	s_movk_i32 s8, 0x80
	v_cmp_ne_u16_sdwa s[10:11], v22, s8 src0_sel:BYTE_0 src1_sel:DWORD
	v_bfrev_b32_e32 v51, 1
	s_and_saveexec_b64 s[8:9], s[10:11]
	s_cbranch_execz .LBB596_304
; %bb.301:
	s_movk_i32 s10, 0x7f
	v_and_b32_e32 v42, 0x7f, v22
	v_cmp_ne_u32_e32 vcc, s10, v42
	v_mov_b32_e32 v51, 0x7f800001
	s_and_saveexec_b64 s[10:11], vcc
	s_cbranch_execz .LBB596_303
; %bb.302:
	v_and_b32_e32 v43, 7, v22
	v_ffbh_u32_e32 v44, v43
	v_min_u32_e32 v52, 32, v44
	v_subrev_u32_e32 v44, 28, v52
	v_lshlrev_b64 v[44:45], v44, v[22:23]
	v_lshrrev_b32_e32 v51, 3, v42
	v_sub_u32_e32 v45, 29, v52
	v_and_b32_e32 v44, 7, v44
	v_cmp_gt_u32_e32 vcc, 8, v42
	v_cndmask_b32_e32 v42, v51, v45, vcc
	v_cndmask_b32_e32 v43, v43, v44, vcc
	v_lshlrev_b32_e32 v44, 24, v22
	v_bfrev_b32_e32 v45, 60
	v_lshlrev_b32_e32 v43, 20, v43
	v_and_b32_e32 v44, 0x80000000, v44
	v_lshl_add_u32 v42, v42, 23, v45
	v_or3_b32 v51, v44, v42, v43
.LBB596_303:
	s_or_b64 exec, exec, s[10:11]
.LBB596_304:
	s_or_b64 exec, exec, s[8:9]
.LBB596_305:
	s_or_b64 exec, exec, s[2:3]
	s_nop 3
	v_lshrrev_b16_e32 v42, 8, v22
	v_cmp_ne_u16_e32 vcc, 0, v42
	v_mov_b32_e32 v43, 0
	v_mov_b32_e32 v44, 0
	s_and_saveexec_b64 s[2:3], vcc
	s_cbranch_execz .LBB596_311
; %bb.306:
	s_movk_i32 s8, 0x80
	v_cmp_ne_u16_e32 vcc, s8, v42
	v_bfrev_b32_e32 v44, 1
	s_and_saveexec_b64 s[8:9], vcc
	s_cbranch_execz .LBB596_310
; %bb.307:
	s_movk_i32 s10, 0x7f
	v_and_b32_e32 v45, 0x7f, v42
	v_cmp_ne_u32_e32 vcc, s10, v45
	v_mov_b32_e32 v44, 0x7f800001
	s_and_saveexec_b64 s[10:11], vcc
	s_cbranch_execz .LBB596_309
; %bb.308:
	v_and_b32_e32 v44, 7, v42
	v_ffbh_u32_e32 v52, v44
	v_min_u32_e32 v55, 32, v52
	v_subrev_u32_e32 v52, 28, v55
	v_lshlrev_b64 v[52:53], v52, v[42:43]
	v_lshrrev_b32_e32 v54, 3, v45
	v_sub_u32_e32 v42, 29, v55
	v_and_b32_e32 v52, 7, v52
	v_cmp_gt_u32_e32 vcc, 8, v45
	v_cndmask_b32_e32 v42, v54, v42, vcc
	v_cndmask_b32_e32 v44, v44, v52, vcc
	v_lshlrev_b32_e32 v45, 16, v22
	v_bfrev_b32_e32 v52, 60
	v_lshlrev_b32_e32 v44, 20, v44
	v_and_b32_e32 v45, 0x80000000, v45
	v_lshl_add_u32 v42, v42, 23, v52
	v_or3_b32 v44, v45, v42, v44
.LBB596_309:
	s_or_b64 exec, exec, s[10:11]
.LBB596_310:
	s_or_b64 exec, exec, s[8:9]
.LBB596_311:
	s_or_b64 exec, exec, s[2:3]
	s_movk_i32 s2, 0xff
	v_and_b32_sdwa v45, v22, s2 dst_sel:DWORD dst_unused:UNUSED_PAD src0_sel:WORD_1 src1_sel:DWORD
	v_lshrrev_b32_e32 v42, 16, v22
	v_cmp_ne_u16_e32 vcc, 0, v45
	s_and_saveexec_b64 s[2:3], vcc
	s_cbranch_execz .LBB596_317
; %bb.312:
	s_movk_i32 s8, 0x80
	v_cmp_ne_u16_e32 vcc, s8, v45
	v_bfrev_b32_e32 v43, 1
	s_and_saveexec_b64 s[8:9], vcc
	s_cbranch_execz .LBB596_316
; %bb.313:
	v_bfe_u32 v45, v22, 16, 7
	s_movk_i32 s10, 0x7f
	v_cmp_ne_u32_e32 vcc, s10, v45
	v_mov_b32_e32 v43, 0x7f800001
	s_and_saveexec_b64 s[10:11], vcc
	s_cbranch_execz .LBB596_315
; %bb.314:
	v_and_b32_e32 v52, 7, v42
	v_ffbh_u32_e32 v43, v52
	v_min_u32_e32 v54, 32, v43
	v_subrev_u32_e32 v43, 28, v54
	v_lshlrev_b64 v[42:43], v43, v[42:43]
	v_lshrrev_b32_e32 v53, 3, v45
	v_sub_u32_e32 v43, 29, v54
	v_and_b32_e32 v42, 7, v42
	v_cmp_gt_u32_e32 vcc, 8, v45
	v_mov_b32_e32 v45, 24
	v_cndmask_b32_e32 v43, v53, v43, vcc
	v_cndmask_b32_e32 v42, v52, v42, vcc
	v_lshlrev_b32_sdwa v45, v45, v22 dst_sel:DWORD dst_unused:UNUSED_PAD src0_sel:DWORD src1_sel:WORD_1
	v_bfrev_b32_e32 v52, 60
	v_lshlrev_b32_e32 v42, 20, v42
	v_and_b32_e32 v45, 0x80000000, v45
	v_lshl_add_u32 v43, v43, 23, v52
	v_or3_b32 v43, v45, v43, v42
.LBB596_315:
	s_or_b64 exec, exec, s[10:11]
.LBB596_316:
	s_or_b64 exec, exec, s[8:9]
.LBB596_317:
	s_or_b64 exec, exec, s[2:3]
	s_mov_b32 s2, 0xffffff
	v_cmp_lt_u32_e32 vcc, s2, v22
	v_mov_b32_e32 v45, 0
	v_mov_b32_e32 v52, 0
	s_and_saveexec_b64 s[2:3], vcc
	s_cbranch_execz .LBB596_323
; %bb.318:
	v_lshrrev_b32_e32 v42, 24, v22
	s_movk_i32 s8, 0x80
	v_cmp_ne_u32_e32 vcc, s8, v42
	v_bfrev_b32_e32 v52, 1
	s_and_saveexec_b64 s[8:9], vcc
	s_cbranch_execz .LBB596_322
; %bb.319:
	v_bfe_u32 v22, v22, 24, 7
	s_movk_i32 s10, 0x7f
	v_cmp_ne_u32_e32 vcc, s10, v22
	v_mov_b32_e32 v52, 0x7f800001
	s_and_saveexec_b64 s[10:11], vcc
	s_cbranch_execz .LBB596_321
; %bb.320:
	v_and_b32_e32 v54, 7, v42
	v_ffbh_u32_e32 v52, v54
	v_min_u32_e32 v56, 32, v52
	v_subrev_u32_e32 v52, 28, v56
	v_lshlrev_b64 v[52:53], v52, v[42:43]
	v_lshrrev_b32_e32 v55, 3, v22
	v_sub_u32_e32 v53, 29, v56
	v_and_b32_e32 v52, 7, v52
	v_cmp_gt_u32_e32 vcc, 8, v22
	v_cndmask_b32_e32 v22, v55, v53, vcc
	v_cndmask_b32_e32 v52, v54, v52, vcc
	v_lshlrev_b32_e32 v42, 24, v42
	v_bfrev_b32_e32 v53, 60
	v_lshlrev_b32_e32 v52, 20, v52
	v_and_b32_e32 v42, 0x80000000, v42
	v_lshl_add_u32 v22, v22, 23, v53
	v_or3_b32 v52, v42, v22, v52
.LBB596_321:
	s_or_b64 exec, exec, s[10:11]
.LBB596_322:
	s_or_b64 exec, exec, s[8:9]
.LBB596_323:
	s_or_b64 exec, exec, s[2:3]
	v_cmp_ne_u16_sdwa s[8:9], v23, v45 src0_sel:BYTE_0 src1_sel:DWORD
	s_and_saveexec_b64 s[2:3], s[8:9]
	s_cbranch_execz .LBB596_329
; %bb.324:
	s_movk_i32 s8, 0x80
	v_cmp_ne_u16_sdwa s[10:11], v23, s8 src0_sel:BYTE_0 src1_sel:DWORD
	v_bfrev_b32_e32 v45, 1
	s_and_saveexec_b64 s[8:9], s[10:11]
	s_cbranch_execz .LBB596_328
; %bb.325:
	s_movk_i32 s10, 0x7f
	v_and_b32_e32 v22, 0x7f, v23
	v_cmp_ne_u32_e32 vcc, s10, v22
	v_mov_b32_e32 v45, 0x7f800001
	s_and_saveexec_b64 s[10:11], vcc
	s_cbranch_execz .LBB596_327
; %bb.326:
	v_and_b32_e32 v45, 7, v23
	v_ffbh_u32_e32 v54, v45
	v_min_u32_e32 v56, 32, v54
	v_mov_b32_e32 v42, v23
	v_subrev_u32_e32 v54, 28, v56
	v_lshlrev_b64 v[54:55], v54, v[42:43]
	v_lshrrev_b32_e32 v53, 3, v22
	v_sub_u32_e32 v42, 29, v56
	v_and_b32_e32 v54, 7, v54
	v_cmp_gt_u32_e32 vcc, 8, v22
	v_cndmask_b32_e32 v22, v53, v42, vcc
	v_cndmask_b32_e32 v42, v45, v54, vcc
	v_lshlrev_b32_e32 v45, 24, v23
	v_bfrev_b32_e32 v53, 60
	v_lshlrev_b32_e32 v42, 20, v42
	v_and_b32_e32 v45, 0x80000000, v45
	v_lshl_add_u32 v22, v22, 23, v53
	v_or3_b32 v45, v45, v22, v42
.LBB596_327:
	s_or_b64 exec, exec, s[10:11]
.LBB596_328:
	s_or_b64 exec, exec, s[8:9]
.LBB596_329:
	s_or_b64 exec, exec, s[2:3]
	v_lshrrev_b16_e32 v22, 8, v23
	v_cmp_ne_u16_e32 vcc, 0, v22
	v_mov_b32_e32 v53, 0
	v_mov_b32_e32 v54, 0
	s_and_saveexec_b64 s[2:3], vcc
	s_cbranch_execz .LBB596_335
; %bb.330:
	s_movk_i32 s8, 0x80
	v_cmp_ne_u16_e32 vcc, s8, v22
	v_bfrev_b32_e32 v54, 1
	s_and_saveexec_b64 s[8:9], vcc
	s_cbranch_execz .LBB596_334
; %bb.331:
	s_movk_i32 s10, 0x7f
	v_and_b32_e32 v42, 0x7f, v22
	v_cmp_ne_u32_e32 vcc, s10, v42
	v_mov_b32_e32 v54, 0x7f800001
	s_and_saveexec_b64 s[10:11], vcc
	s_cbranch_execz .LBB596_333
; %bb.332:
	v_and_b32_e32 v56, 7, v22
	v_ffbh_u32_e32 v54, v56
	v_min_u32_e32 v58, 32, v54
	v_subrev_u32_e32 v54, 28, v58
	v_lshlrev_b64 v[54:55], v54, v[22:23]
	v_lshrrev_b32_e32 v57, 3, v42
	v_sub_u32_e32 v22, 29, v58
	v_and_b32_e32 v54, 7, v54
	v_cmp_gt_u32_e32 vcc, 8, v42
	v_cndmask_b32_e32 v22, v57, v22, vcc
	v_cndmask_b32_e32 v42, v56, v54, vcc
	v_lshlrev_b32_e32 v54, 16, v23
	v_bfrev_b32_e32 v55, 60
	v_lshlrev_b32_e32 v42, 20, v42
	v_and_b32_e32 v54, 0x80000000, v54
	v_lshl_add_u32 v22, v22, 23, v55
	v_or3_b32 v54, v54, v22, v42
.LBB596_333:
	s_or_b64 exec, exec, s[10:11]
.LBB596_334:
	s_or_b64 exec, exec, s[8:9]
.LBB596_335:
	s_or_b64 exec, exec, s[2:3]
	s_movk_i32 s2, 0xff
	v_and_b32_sdwa v42, v23, s2 dst_sel:DWORD dst_unused:UNUSED_PAD src0_sel:WORD_1 src1_sel:DWORD
	v_lshrrev_b32_e32 v22, 16, v23
	v_cmp_ne_u16_e32 vcc, 0, v42
	s_and_saveexec_b64 s[2:3], vcc
	s_cbranch_execz .LBB596_341
; %bb.336:
	s_movk_i32 s8, 0x80
	v_cmp_ne_u16_e32 vcc, s8, v42
	v_bfrev_b32_e32 v53, 1
	s_and_saveexec_b64 s[8:9], vcc
	s_cbranch_execz .LBB596_340
; %bb.337:
	v_bfe_u32 v42, v23, 16, 7
	s_movk_i32 s10, 0x7f
	v_cmp_ne_u32_e32 vcc, s10, v42
	v_mov_b32_e32 v53, 0x7f800001
	s_and_saveexec_b64 s[10:11], vcc
	s_cbranch_execz .LBB596_339
; %bb.338:
	v_and_b32_e32 v53, 7, v22
	v_ffbh_u32_e32 v56, v53
	v_min_u32_e32 v58, 32, v56
	v_subrev_u32_e32 v56, 28, v58
	v_lshlrev_b64 v[56:57], v56, v[22:23]
	v_and_b32_e32 v56, 7, v56
	v_cmp_gt_u32_e32 vcc, 8, v42
	v_lshrrev_b32_e32 v55, 3, v42
	v_sub_u32_e32 v22, 29, v58
	v_cndmask_b32_e32 v42, v53, v56, vcc
	v_mov_b32_e32 v53, 24
	v_cndmask_b32_e32 v22, v55, v22, vcc
	v_lshlrev_b32_sdwa v53, v53, v23 dst_sel:DWORD dst_unused:UNUSED_PAD src0_sel:DWORD src1_sel:WORD_1
	v_bfrev_b32_e32 v55, 60
	v_lshlrev_b32_e32 v42, 20, v42
	v_and_b32_e32 v53, 0x80000000, v53
	v_lshl_add_u32 v22, v22, 23, v55
	v_or3_b32 v53, v53, v22, v42
.LBB596_339:
	s_or_b64 exec, exec, s[10:11]
.LBB596_340:
	s_or_b64 exec, exec, s[8:9]
.LBB596_341:
	s_or_b64 exec, exec, s[2:3]
	s_mov_b32 s2, 0xffffff
	v_cmp_lt_u32_e32 vcc, s2, v23
	v_mov_b32_e32 v42, 0
	v_mov_b32_e32 v55, 0
	s_and_saveexec_b64 s[2:3], vcc
	s_cbranch_execz .LBB596_347
; %bb.342:
	v_lshrrev_b32_e32 v22, 24, v23
	s_movk_i32 s8, 0x80
	v_cmp_ne_u32_e32 vcc, s8, v22
	v_bfrev_b32_e32 v55, 1
	s_and_saveexec_b64 s[8:9], vcc
	s_cbranch_execz .LBB596_346
; %bb.343:
	v_bfe_u32 v23, v23, 24, 7
	s_movk_i32 s10, 0x7f
	v_cmp_ne_u32_e32 vcc, s10, v23
	v_mov_b32_e32 v55, 0x7f800001
	s_and_saveexec_b64 s[10:11], vcc
	s_cbranch_execz .LBB596_345
; %bb.344:
	v_and_b32_e32 v55, 7, v22
	v_ffbh_u32_e32 v56, v55
	v_min_u32_e32 v59, 32, v56
	v_subrev_u32_e32 v56, 28, v59
	v_lshlrev_b64 v[56:57], v56, v[22:23]
	v_lshrrev_b32_e32 v58, 3, v23
	v_sub_u32_e32 v57, 29, v59
	v_and_b32_e32 v56, 7, v56
	v_cmp_gt_u32_e32 vcc, 8, v23
	v_cndmask_b32_e32 v23, v58, v57, vcc
	v_cndmask_b32_e32 v55, v55, v56, vcc
	v_lshlrev_b32_e32 v22, 24, v22
	v_bfrev_b32_e32 v56, 60
	v_lshlrev_b32_e32 v55, 20, v55
	v_and_b32_e32 v22, 0x80000000, v22
	v_lshl_add_u32 v23, v23, 23, v56
	v_or3_b32 v55, v22, v23, v55
.LBB596_345:
	s_or_b64 exec, exec, s[10:11]
.LBB596_346:
	s_or_b64 exec, exec, s[8:9]
.LBB596_347:
	s_or_b64 exec, exec, s[2:3]
	v_cvt_pkrtz_f16_f32 v22, v51, v44
	v_cvt_pkrtz_f16_f32 v23, v43, v52
	v_cmp_ne_u16_sdwa s[8:9], v24, v42 src0_sel:BYTE_0 src1_sel:DWORD
	s_nop 0
	v_mfma_f32_16x16x16f16 v[56:59], v[22:23], v[26:27], 0
	v_cvt_pkrtz_f16_f32 v22, v45, v54
	v_cvt_pkrtz_f16_f32 v23, v53, v55
	s_nop 1
	v_mfma_f32_16x16x16f16 v[26:29], v[22:23], v[28:29], v[56:59]
	s_and_saveexec_b64 s[2:3], s[8:9]
	s_cbranch_execz .LBB596_353
; %bb.348:
	s_movk_i32 s8, 0x80
	v_cmp_ne_u16_sdwa s[10:11], v24, s8 src0_sel:BYTE_0 src1_sel:DWORD
	v_bfrev_b32_e32 v42, 1
	s_and_saveexec_b64 s[8:9], s[10:11]
	s_cbranch_execz .LBB596_352
; %bb.349:
	s_movk_i32 s10, 0x7f
	v_and_b32_e32 v22, 0x7f, v24
	v_cmp_ne_u32_e32 vcc, s10, v22
	v_mov_b32_e32 v42, 0x7f800001
	s_and_saveexec_b64 s[10:11], vcc
	s_cbranch_execz .LBB596_351
; %bb.350:
	v_and_b32_e32 v23, 7, v24
	v_ffbh_u32_e32 v42, v23
	v_min_u32_e32 v45, 32, v42
	v_subrev_u32_e32 v42, 28, v45
	v_lshlrev_b64 v[42:43], v42, v[24:25]
	v_lshrrev_b32_e32 v44, 3, v22
	v_sub_u32_e32 v43, 29, v45
	v_and_b32_e32 v42, 7, v42
	v_cmp_gt_u32_e32 vcc, 8, v22
	v_cndmask_b32_e32 v22, v44, v43, vcc
	v_cndmask_b32_e32 v23, v23, v42, vcc
	v_lshlrev_b32_e32 v42, 24, v24
	v_bfrev_b32_e32 v43, 60
	v_lshlrev_b32_e32 v23, 20, v23
	v_and_b32_e32 v42, 0x80000000, v42
	v_lshl_add_u32 v22, v22, 23, v43
	v_or3_b32 v42, v42, v22, v23
.LBB596_351:
	s_or_b64 exec, exec, s[10:11]
.LBB596_352:
	s_or_b64 exec, exec, s[8:9]
.LBB596_353:
	s_or_b64 exec, exec, s[2:3]
	v_lshrrev_b16_e32 v22, 8, v24
	v_cmp_ne_u16_e32 vcc, 0, v22
	v_mov_b32_e32 v23, 0
	v_mov_b32_e32 v43, 0
	s_and_saveexec_b64 s[2:3], vcc
	s_cbranch_execz .LBB596_359
; %bb.354:
	s_movk_i32 s8, 0x80
	v_cmp_ne_u16_e32 vcc, s8, v22
	v_bfrev_b32_e32 v43, 1
	s_and_saveexec_b64 s[8:9], vcc
	s_cbranch_execz .LBB596_358
; %bb.355:
	s_movk_i32 s10, 0x7f
	v_and_b32_e32 v44, 0x7f, v22
	v_cmp_ne_u32_e32 vcc, s10, v44
	v_mov_b32_e32 v43, 0x7f800001
	s_and_saveexec_b64 s[10:11], vcc
	s_cbranch_execz .LBB596_357
; %bb.356:
	v_and_b32_e32 v43, 7, v22
	v_ffbh_u32_e32 v51, v43
	v_min_u32_e32 v51, 32, v51
	v_subrev_u32_e32 v52, 28, v51
	v_lshlrev_b64 v[52:53], v52, v[22:23]
	v_lshrrev_b32_e32 v45, 3, v44
	v_sub_u32_e32 v22, 29, v51
	v_and_b32_e32 v51, 7, v52
	v_cmp_gt_u32_e32 vcc, 8, v44
	v_cndmask_b32_e32 v22, v45, v22, vcc
	v_cndmask_b32_e32 v43, v43, v51, vcc
	v_lshlrev_b32_e32 v44, 16, v24
	v_bfrev_b32_e32 v45, 60
	v_lshlrev_b32_e32 v43, 20, v43
	v_and_b32_e32 v44, 0x80000000, v44
	v_lshl_add_u32 v22, v22, 23, v45
	v_or3_b32 v43, v44, v22, v43
.LBB596_357:
	s_or_b64 exec, exec, s[10:11]
.LBB596_358:
	s_or_b64 exec, exec, s[8:9]
.LBB596_359:
	s_or_b64 exec, exec, s[2:3]
	s_movk_i32 s2, 0xff
	v_and_b32_sdwa v44, v24, s2 dst_sel:DWORD dst_unused:UNUSED_PAD src0_sel:WORD_1 src1_sel:DWORD
	v_lshrrev_b32_e32 v22, 16, v24
	v_cmp_ne_u16_e32 vcc, 0, v44
	s_and_saveexec_b64 s[2:3], vcc
	s_cbranch_execz .LBB596_365
; %bb.360:
	s_movk_i32 s8, 0x80
	v_cmp_ne_u16_e32 vcc, s8, v44
	v_bfrev_b32_e32 v23, 1
	s_and_saveexec_b64 s[8:9], vcc
	s_cbranch_execz .LBB596_364
; %bb.361:
	v_bfe_u32 v44, v24, 16, 7
	s_movk_i32 s10, 0x7f
	v_cmp_ne_u32_e32 vcc, s10, v44
	v_mov_b32_e32 v23, 0x7f800001
	s_and_saveexec_b64 s[10:11], vcc
	s_cbranch_execz .LBB596_363
; %bb.362:
	v_and_b32_e32 v45, 7, v22
	v_ffbh_u32_e32 v23, v45
	v_min_u32_e32 v52, 32, v23
	v_subrev_u32_e32 v23, 28, v52
	v_lshlrev_b64 v[22:23], v23, v[22:23]
	v_lshrrev_b32_e32 v51, 3, v44
	v_sub_u32_e32 v23, 29, v52
	v_and_b32_e32 v22, 7, v22
	v_cmp_gt_u32_e32 vcc, 8, v44
	v_mov_b32_e32 v44, 24
	v_cndmask_b32_e32 v23, v51, v23, vcc
	v_cndmask_b32_e32 v22, v45, v22, vcc
	v_lshlrev_b32_sdwa v44, v44, v24 dst_sel:DWORD dst_unused:UNUSED_PAD src0_sel:DWORD src1_sel:WORD_1
	v_bfrev_b32_e32 v45, 60
	v_lshlrev_b32_e32 v22, 20, v22
	v_and_b32_e32 v44, 0x80000000, v44
	v_lshl_add_u32 v23, v23, 23, v45
	v_or3_b32 v23, v44, v23, v22
.LBB596_363:
	s_or_b64 exec, exec, s[10:11]
.LBB596_364:
	s_or_b64 exec, exec, s[8:9]
.LBB596_365:
	s_or_b64 exec, exec, s[2:3]
	s_mov_b32 s2, 0xffffff
	v_cmp_lt_u32_e32 vcc, s2, v24
	v_mov_b32_e32 v44, 0
	v_mov_b32_e32 v45, 0
	s_and_saveexec_b64 s[2:3], vcc
	s_cbranch_execz .LBB596_371
; %bb.366:
	v_lshrrev_b32_e32 v22, 24, v24
	s_movk_i32 s8, 0x80
	v_cmp_ne_u32_e32 vcc, s8, v22
	v_bfrev_b32_e32 v45, 1
	s_and_saveexec_b64 s[8:9], vcc
	s_cbranch_execz .LBB596_370
; %bb.367:
	v_bfe_u32 v24, v24, 24, 7
	s_movk_i32 s10, 0x7f
	v_cmp_ne_u32_e32 vcc, s10, v24
	v_mov_b32_e32 v45, 0x7f800001
	s_and_saveexec_b64 s[10:11], vcc
	s_cbranch_execz .LBB596_369
; %bb.368:
	v_and_b32_e32 v45, 7, v22
	v_ffbh_u32_e32 v52, v45
	v_min_u32_e32 v54, 32, v52
	v_subrev_u32_e32 v52, 28, v54
	v_lshlrev_b64 v[52:53], v52, v[22:23]
	v_lshrrev_b32_e32 v51, 3, v24
	v_sub_u32_e32 v53, 29, v54
	v_and_b32_e32 v52, 7, v52
	v_cmp_gt_u32_e32 vcc, 8, v24
	v_cndmask_b32_e32 v24, v51, v53, vcc
	v_cndmask_b32_e32 v45, v45, v52, vcc
	v_lshlrev_b32_e32 v22, 24, v22
	v_bfrev_b32_e32 v51, 60
	v_lshlrev_b32_e32 v45, 20, v45
	v_and_b32_e32 v22, 0x80000000, v22
	v_lshl_add_u32 v24, v24, 23, v51
	v_or3_b32 v45, v22, v24, v45
.LBB596_369:
	s_or_b64 exec, exec, s[10:11]
.LBB596_370:
	s_or_b64 exec, exec, s[8:9]
.LBB596_371:
	s_or_b64 exec, exec, s[2:3]
	v_cmp_ne_u16_sdwa s[8:9], v25, v44 src0_sel:BYTE_0 src1_sel:DWORD
	s_and_saveexec_b64 s[2:3], s[8:9]
	s_cbranch_execz .LBB596_377
; %bb.372:
	s_movk_i32 s8, 0x80
	v_cmp_ne_u16_sdwa s[10:11], v25, s8 src0_sel:BYTE_0 src1_sel:DWORD
	v_bfrev_b32_e32 v44, 1
	s_and_saveexec_b64 s[8:9], s[10:11]
	s_cbranch_execz .LBB596_376
; %bb.373:
	s_movk_i32 s10, 0x7f
	v_and_b32_e32 v22, 0x7f, v25
	v_cmp_ne_u32_e32 vcc, s10, v22
	v_mov_b32_e32 v44, 0x7f800001
	s_and_saveexec_b64 s[10:11], vcc
	s_cbranch_execz .LBB596_375
; %bb.374:
	v_and_b32_e32 v44, 7, v25
	v_ffbh_u32_e32 v52, v44
	v_min_u32_e32 v54, 32, v52
	v_mov_b32_e32 v24, v25
	v_subrev_u32_e32 v52, 28, v54
	v_lshlrev_b64 v[52:53], v52, v[24:25]
	v_lshrrev_b32_e32 v51, 3, v22
	v_sub_u32_e32 v24, 29, v54
	v_and_b32_e32 v52, 7, v52
	v_cmp_gt_u32_e32 vcc, 8, v22
	v_cndmask_b32_e32 v22, v51, v24, vcc
	v_cndmask_b32_e32 v24, v44, v52, vcc
	v_lshlrev_b32_e32 v44, 24, v25
	v_bfrev_b32_e32 v51, 60
	v_lshlrev_b32_e32 v24, 20, v24
	v_and_b32_e32 v44, 0x80000000, v44
	v_lshl_add_u32 v22, v22, 23, v51
	v_or3_b32 v44, v44, v22, v24
.LBB596_375:
	s_or_b64 exec, exec, s[10:11]
.LBB596_376:
	s_or_b64 exec, exec, s[8:9]
.LBB596_377:
	s_or_b64 exec, exec, s[2:3]
	v_lshrrev_b16_e32 v22, 8, v25
	v_cmp_ne_u16_e32 vcc, 0, v22
	v_mov_b32_e32 v24, 0
	v_mov_b32_e32 v52, 0
	s_and_saveexec_b64 s[2:3], vcc
	s_cbranch_execz .LBB596_383
; %bb.378:
	s_movk_i32 s8, 0x80
	v_cmp_ne_u16_e32 vcc, s8, v22
	v_bfrev_b32_e32 v52, 1
	s_and_saveexec_b64 s[8:9], vcc
	s_cbranch_execz .LBB596_382
; %bb.379:
	s_movk_i32 s10, 0x7f
	v_and_b32_e32 v51, 0x7f, v22
	v_cmp_ne_u32_e32 vcc, s10, v51
	v_mov_b32_e32 v52, 0x7f800001
	s_and_saveexec_b64 s[10:11], vcc
	s_cbranch_execz .LBB596_381
; %bb.380:
	v_and_b32_e32 v54, 7, v22
	v_ffbh_u32_e32 v52, v54
	v_min_u32_e32 v56, 32, v52
	v_subrev_u32_e32 v52, 28, v56
	v_lshlrev_b64 v[52:53], v52, v[22:23]
	v_lshrrev_b32_e32 v55, 3, v51
	v_sub_u32_e32 v22, 29, v56
	v_and_b32_e32 v52, 7, v52
	v_cmp_gt_u32_e32 vcc, 8, v51
	v_cndmask_b32_e32 v22, v55, v22, vcc
	v_cndmask_b32_e32 v51, v54, v52, vcc
	v_lshlrev_b32_e32 v52, 16, v25
	v_bfrev_b32_e32 v53, 60
	v_lshlrev_b32_e32 v51, 20, v51
	v_and_b32_e32 v52, 0x80000000, v52
	v_lshl_add_u32 v22, v22, 23, v53
	v_or3_b32 v52, v52, v22, v51
.LBB596_381:
	s_or_b64 exec, exec, s[10:11]
.LBB596_382:
	s_or_b64 exec, exec, s[8:9]
.LBB596_383:
	s_or_b64 exec, exec, s[2:3]
	s_movk_i32 s2, 0xff
	v_and_b32_sdwa v51, v25, s2 dst_sel:DWORD dst_unused:UNUSED_PAD src0_sel:WORD_1 src1_sel:DWORD
	v_lshrrev_b32_e32 v22, 16, v25
	v_cmp_ne_u16_e32 vcc, 0, v51
	s_and_saveexec_b64 s[2:3], vcc
	s_cbranch_execz .LBB596_389
; %bb.384:
	s_movk_i32 s8, 0x80
	v_cmp_ne_u16_e32 vcc, s8, v51
	v_bfrev_b32_e32 v24, 1
	s_and_saveexec_b64 s[8:9], vcc
	s_cbranch_execz .LBB596_388
; %bb.385:
	v_bfe_u32 v51, v25, 16, 7
	s_movk_i32 s10, 0x7f
	v_cmp_ne_u32_e32 vcc, s10, v51
	v_mov_b32_e32 v24, 0x7f800001
	s_and_saveexec_b64 s[10:11], vcc
	s_cbranch_execz .LBB596_387
; %bb.386:
	v_and_b32_e32 v24, 7, v22
	v_ffbh_u32_e32 v54, v24
	v_min_u32_e32 v56, 32, v54
	v_subrev_u32_e32 v54, 28, v56
	v_lshlrev_b64 v[54:55], v54, v[22:23]
	v_lshrrev_b32_e32 v53, 3, v51
	v_sub_u32_e32 v22, 29, v56
	v_and_b32_e32 v54, 7, v54
	v_cmp_gt_u32_e32 vcc, 8, v51
	v_mov_b32_e32 v51, 24
	v_cndmask_b32_e32 v22, v53, v22, vcc
	v_cndmask_b32_e32 v24, v24, v54, vcc
	v_lshlrev_b32_sdwa v51, v51, v25 dst_sel:DWORD dst_unused:UNUSED_PAD src0_sel:DWORD src1_sel:WORD_1
	v_bfrev_b32_e32 v53, 60
	v_lshlrev_b32_e32 v24, 20, v24
	v_and_b32_e32 v51, 0x80000000, v51
	v_lshl_add_u32 v22, v22, 23, v53
	v_or3_b32 v24, v51, v22, v24
.LBB596_387:
	s_or_b64 exec, exec, s[10:11]
.LBB596_388:
	s_or_b64 exec, exec, s[8:9]
.LBB596_389:
	s_or_b64 exec, exec, s[2:3]
	s_mov_b32 s2, 0xffffff
	v_and_b32_e32 v51, 63, v0
	v_cmp_lt_u32_e32 vcc, s2, v25
	v_mov_b32_e32 v53, 0
	s_and_saveexec_b64 s[2:3], vcc
	s_cbranch_execz .LBB596_395
; %bb.390:
	v_lshrrev_b32_e32 v22, 24, v25
	s_movk_i32 s8, 0x80
	v_cmp_ne_u32_e32 vcc, s8, v22
	v_bfrev_b32_e32 v53, 1
	s_and_saveexec_b64 s[8:9], vcc
	s_cbranch_execz .LBB596_394
; %bb.391:
	v_bfe_u32 v25, v25, 24, 7
	s_movk_i32 s10, 0x7f
	v_cmp_ne_u32_e32 vcc, s10, v25
	v_mov_b32_e32 v53, 0x7f800001
	s_and_saveexec_b64 s[10:11], vcc
	s_cbranch_execz .LBB596_393
; %bb.392:
	v_and_b32_e32 v53, 7, v22
	v_ffbh_u32_e32 v54, v53
	v_min_u32_e32 v57, 32, v54
	v_subrev_u32_e32 v54, 28, v57
	v_lshlrev_b64 v[54:55], v54, v[22:23]
	v_lshrrev_b32_e32 v56, 3, v25
	v_sub_u32_e32 v55, 29, v57
	v_and_b32_e32 v54, 7, v54
	v_cmp_gt_u32_e32 vcc, 8, v25
	v_cndmask_b32_e32 v25, v56, v55, vcc
	v_cndmask_b32_e32 v53, v53, v54, vcc
	v_lshlrev_b32_e32 v22, 24, v22
	v_bfrev_b32_e32 v54, 60
	v_lshlrev_b32_e32 v53, 20, v53
	v_and_b32_e32 v22, 0x80000000, v22
	v_lshl_add_u32 v25, v25, 23, v54
	v_or3_b32 v53, v22, v25, v53
.LBB596_393:
	s_or_b64 exec, exec, s[10:11]
.LBB596_394:
	s_or_b64 exec, exec, s[8:9]
.LBB596_395:
	s_or_b64 exec, exec, s[2:3]
	v_cvt_pkrtz_f16_f32 v42, v42, v43
	v_cvt_pkrtz_f16_f32 v43, v23, v45
	s_load_dword s2, s[4:5], 0x1c
	s_mov_b32 s46, 0xff7fffff
	s_waitcnt lgkmcnt(0)
	v_mfma_f32_16x16x16f16 v[26:29], v[42:43], v[18:19], v[26:29]
	v_cvt_pkrtz_f16_f32 v18, v44, v52
	v_cvt_pkrtz_f16_f32 v19, v24, v53
	v_and_b32_e32 v24, 0xc0, v0
	v_mov_b32_e32 v22, s2
	v_add_u32_e32 v24, s20, v24
	v_mul_f32_e32 v54, s12, v22
	v_lshl_or_b32 v42, v1, 2, v24
	v_mfma_f32_16x16x16f16 v[18:21], v[18:19], v[20:21], v[26:29]
	v_pk_mul_f32 v[22:23], v[54:55], v[36:37] op_sel_hi:[0,1]
	v_pk_mul_f32 v[36:37], v[54:55], v[40:41] op_sel_hi:[0,1]
	;; [unrolled: 1-line block ×4, first 2 shown]
	v_mov_b32_e32 v43, 0xff7fffff
	v_cmp_gt_i32_e64 s[26:27], s33, v42
	v_pk_mul_f32 v[38:39], v[54:55], v[38:39] op_sel_hi:[0,1]
	s_nop 3
	v_pk_mul_f32 v[32:33], v[54:55], v[18:19] op_sel_hi:[0,1]
	v_or_b32_e32 v19, 1, v42
	v_cmp_gt_i32_e64 s[28:29], s33, v19
	v_cndmask_b32_e64 v18, v43, v30, s[26:27]
	v_cndmask_b32_e64 v19, v43, v31, s[28:29]
	v_pk_mul_f32 v[24:25], v[54:55], v[20:21] op_sel_hi:[0,1]
	v_max3_f32 v18, v18, s46, v19
	v_or_b32_e32 v19, 2, v42
	v_or_b32_e32 v20, 3, v42
	v_cmp_gt_i32_e64 s[30:31], s33, v19
	v_cmp_gt_i32_e64 s[34:35], s33, v20
	v_cndmask_b32_e64 v19, v43, v40, s[30:31]
	v_cndmask_b32_e64 v20, v43, v41, s[34:35]
	v_max3_f32 v18, v18, v19, v20
	v_or_b32_e32 v19, 16, v42
	v_or_b32_e32 v20, 17, v42
	v_cmp_gt_i32_e64 s[36:37], s33, v19
	v_cmp_gt_i32_e64 s[38:39], s33, v20
	v_cndmask_b32_e64 v19, v43, v38, s[36:37]
	v_cndmask_b32_e64 v20, v43, v39, s[38:39]
	;; [unrolled: 7-line block ×3, first 2 shown]
	v_max3_f32 v18, v18, v19, v20
	v_or_b32_e32 v19, 32, v42
	v_or_b32_e32 v20, 33, v42
	v_pk_mul_f32 v[34:35], v[54:55], v[34:35] op_sel_hi:[0,1]
	v_cmp_gt_i32_e64 s[16:17], s33, v19
	v_cmp_gt_i32_e64 s[18:19], s33, v20
	v_cndmask_b32_e64 v19, v43, v34, s[16:17]
	v_cndmask_b32_e64 v20, v43, v35, s[18:19]
	v_max3_f32 v18, v18, v19, v20
	v_or_b32_e32 v19, 34, v42
	v_or_b32_e32 v20, 35, v42
	v_cmp_gt_i32_e64 s[12:13], s33, v19
	v_cmp_gt_i32_e64 s[14:15], s33, v20
	v_cndmask_b32_e64 v19, v43, v22, s[12:13]
	v_cndmask_b32_e64 v20, v43, v23, s[14:15]
	v_max3_f32 v18, v18, v19, v20
	v_or_b32_e32 v19, 48, v42
	v_or_b32_e32 v20, 49, v42
	;; [unrolled: 7-line block ×3, first 2 shown]
	v_cmp_gt_i32_e32 vcc, s33, v19
	v_cmp_gt_i32_e64 s[2:3], s33, v20
	v_cndmask_b32_e32 v19, v43, v24, vcc
	v_cndmask_b32_e64 v20, v43, v25, s[2:3]
	v_max3_f32 v18, v18, v19, v20
	v_mbcnt_lo_u32_b32 v19, -1, 0
	v_mbcnt_hi_u32_b32 v19, -1, v19
	v_and_b32_e32 v20, 64, v19
	v_add_u32_e32 v20, 64, v20
	v_xor_b32_e32 v21, 32, v19
	v_cmp_lt_i32_e64 s[40:41], v21, v20
	v_cndmask_b32_e64 v21, v19, v21, s[40:41]
	v_lshlrev_b32_e32 v43, 2, v21
	ds_bpermute_b32 v21, v43, v18
	s_barrier
	s_waitcnt lgkmcnt(0)
	v_max_f32_e32 v21, v21, v21
	v_max_f32_e32 v18, v18, v21
	v_xor_b32_e32 v21, 16, v19
	v_cmp_lt_i32_e64 s[40:41], v21, v20
	v_cndmask_b32_e64 v19, v19, v21, s[40:41]
	v_lshlrev_b32_e32 v44, 2, v19
	ds_bpermute_b32 v19, v44, v18
	s_waitcnt lgkmcnt(0)
	v_max_f32_e32 v19, v19, v19
	v_max_f32_e32 v42, v18, v19
	v_sub_f32_e32 v21, v40, v42
	v_sub_f32_e32 v26, v41, v42
	v_mul_f32_e32 v21, 0x3fb8aa3b, v21
	v_mul_f32_e32 v26, 0x3fb8aa3b, v26
	v_sub_f32_e32 v18, v30, v42
	v_exp_f32_e32 v21, v21
	v_exp_f32_e32 v26, v26
	v_mul_f32_e32 v18, 0x3fb8aa3b, v18
	v_sub_f32_e32 v19, v31, v42
	v_exp_f32_e32 v18, v18
	v_mul_f32_e32 v19, 0x3fb8aa3b, v19
	v_exp_f32_e32 v19, v19
	v_cndmask_b32_e64 v28, 0, v21, s[30:31]
	v_cndmask_b32_e64 v29, 0, v26, s[34:35]
	v_sub_f32_e32 v21, v38, v42
	v_sub_f32_e32 v26, v39, v42
	v_mul_f32_e32 v21, 0x3fb8aa3b, v21
	v_mul_f32_e32 v26, 0x3fb8aa3b, v26
	v_cndmask_b32_e64 v18, 0, v18, s[26:27]
	v_exp_f32_e32 v21, v21
	v_exp_f32_e32 v26, v26
	v_add_f32_e32 v20, 0, v18
	v_cndmask_b32_e64 v19, 0, v19, s[28:29]
	v_add_f32_e32 v20, v20, v19
	v_add_f32_e32 v20, v20, v28
	v_add_f32_e32 v27, v20, v29
	v_cndmask_b32_e64 v20, 0, v21, s[36:37]
	v_cndmask_b32_e64 v21, 0, v26, s[38:39]
	v_sub_f32_e32 v26, v36, v42
	v_mul_f32_e32 v26, 0x3fb8aa3b, v26
	v_exp_f32_e32 v26, v26
	v_sub_f32_e32 v30, v37, v42
	v_add_f32_e32 v27, v27, v20
	v_mul_f32_e32 v30, 0x3fb8aa3b, v30
	v_exp_f32_e32 v31, v30
	v_add_f32_e32 v27, v27, v21
	v_cndmask_b32_e64 v30, 0, v26, s[20:21]
	v_add_f32_e32 v26, v27, v30
	v_sub_f32_e32 v27, v34, v42
	v_mul_f32_e32 v27, 0x3fb8aa3b, v27
	v_sub_f32_e32 v34, v35, v42
	v_exp_f32_e32 v27, v27
	v_mul_f32_e32 v34, 0x3fb8aa3b, v34
	v_sub_f32_e32 v22, v22, v42
	v_exp_f32_e32 v34, v34
	v_mul_f32_e32 v22, 0x3fb8aa3b, v22
	v_sub_f32_e32 v23, v23, v42
	v_exp_f32_e32 v22, v22
	v_mul_f32_e32 v23, 0x3fb8aa3b, v23
	v_cndmask_b32_e64 v31, 0, v31, s[22:23]
	v_exp_f32_e32 v23, v23
	v_add_f32_e32 v35, v26, v31
	v_cndmask_b32_e64 v26, 0, v27, s[16:17]
	v_add_f32_e32 v35, v35, v26
	v_cndmask_b32_e64 v27, 0, v34, s[18:19]
	;; [unrolled: 2-line block ×4, first 2 shown]
	v_sub_f32_e32 v23, v32, v42
	v_mul_f32_e32 v23, 0x3fb8aa3b, v23
	v_sub_f32_e32 v32, v33, v42
	v_exp_f32_e32 v23, v23
	v_mul_f32_e32 v32, 0x3fb8aa3b, v32
	v_sub_f32_e32 v24, v24, v42
	v_exp_f32_e32 v32, v32
	;; [unrolled: 3-line block ×3, first 2 shown]
	v_mul_f32_e32 v25, 0x3fb8aa3b, v25
	v_exp_f32_e32 v25, v25
	v_add_f32_e32 v33, v22, v35
	v_cndmask_b32_e64 v22, 0, v23, s[8:9]
	v_add_f32_e32 v33, v33, v22
	v_cndmask_b32_e64 v23, 0, v32, s[10:11]
	v_add_f32_e32 v32, v33, v23
	v_cndmask_b32_e32 v24, 0, v24, vcc
	v_add_f32_e32 v32, v32, v24
	v_cndmask_b32_e64 v25, 0, v25, s[2:3]
	v_add_f32_e32 v32, v32, v25
	ds_bpermute_b32 v33, v43, v32
	v_cmp_gt_u32_e32 vcc, 16, v51
	s_waitcnt lgkmcnt(0)
	v_add_f32_e32 v33, v32, v33
	ds_bpermute_b32 v36, v44, v33
	v_lshlrev_b32_e32 v32, 2, v49
	s_and_saveexec_b64 s[2:3], vcc
	s_cbranch_execz .LBB596_397
; %bb.396:
	s_waitcnt lgkmcnt(0)
	v_add_f32_e32 v33, v33, v36
	v_lshl_or_b32 v36, v50, 6, v32
	ds_write2st64_b32 v36, v42, v33 offset1:1
.LBB596_397:
	s_or_b64 exec, exec, s[2:3]
	s_waitcnt lgkmcnt(0)
	s_barrier
	ds_read2_b32 v[36:37], v32 offset1:16
	ds_read2_b32 v[38:39], v32 offset0:32 offset1:48
	ds_read2_b32 v[40:41], v32 offset0:64 offset1:80
	;; [unrolled: 1-line block ×3, first 2 shown]
	s_waitcnt lgkmcnt(0)
	v_max3_f32 v33, v36, s46, v37
	v_max3_f32 v33, v33, v38, v39
	v_sub_f32_e32 v36, v36, v33
	v_mul_f32_e32 v36, 0x3fb8aa3b, v36
	v_exp_f32_e32 v44, v36
	v_sub_f32_e32 v36, v37, v33
	v_mul_f32_e32 v36, 0x3fb8aa3b, v36
	v_exp_f32_e32 v37, v36
	v_sub_f32_e32 v36, v38, v33
	v_mul_f32_e32 v36, 0x3fb8aa3b, v36
	v_sub_f32_e32 v32, v39, v33
	v_exp_f32_e32 v38, v36
	v_mul_f32_e32 v32, 0x3fb8aa3b, v32
	v_exp_f32_e32 v39, v32
	v_fma_f32 v36, v44, v40, 0
	v_fmac_f32_e32 v36, v37, v41
	v_fmac_f32_e32 v36, v38, v42
	;; [unrolled: 1-line block ×3, first 2 shown]
	v_add_f32_e32 v40, 0x358637bd, v36
	v_div_scale_f32 v41, s[2:3], v40, v40, 1.0
	v_rcp_f32_e32 v42, v41
	s_barrier
	s_mul_i32 s12, s45, 7
	v_fma_f32 v43, -v41, v42, 1.0
	v_fmac_f32_e32 v42, v43, v42
	v_div_scale_f32 v43, vcc, 1.0, v40, 1.0
	v_mul_f32_e32 v45, v43, v42
	v_fma_f32 v51, -v41, v45, v43
	v_fmac_f32_e32 v45, v51, v42
	v_fma_f32 v41, -v41, v45, v43
	v_div_fmas_f32 v41, v41, v42, v45
	v_cmp_eq_u32_e32 vcc, 1, v50
	v_cndmask_b32_e32 v37, v44, v37, vcc
	v_cmp_eq_u32_e32 vcc, 2, v50
	v_cndmask_b32_e32 v37, v37, v38, vcc
	v_cmp_eq_u32_e32 vcc, 3, v50
	v_div_fixup_f32 v40, v41, v40, 1.0
	v_cndmask_b32_e32 v37, v37, v39, vcc
	v_mul_f32_e32 v38, v37, v40
	v_pk_mul_f32 v[28:29], v[38:39], v[28:29] op_sel_hi:[0,1]
	v_pk_mul_f32 v[18:19], v[38:39], v[18:19] op_sel_hi:[0,1]
	v_cvt_f16_f32_e32 v18, v18
	v_cvt_f16_f32_e32 v19, v19
	;; [unrolled: 1-line block ×4, first 2 shown]
	v_pk_mul_f32 v[20:21], v[38:39], v[20:21] op_sel_hi:[0,1]
	v_pack_b32_f16 v18, v18, v19
	v_cvt_f16_f32_e32 v20, v20
	v_pack_b32_f16 v19, v28, v29
	v_pk_mul_f32 v[28:29], v[38:39], v[30:31] op_sel_hi:[0,1]
	v_cvt_f16_f32_e32 v21, v21
	v_cvt_f16_f32_e32 v30, v28
	;; [unrolled: 1-line block ×3, first 2 shown]
	v_lshlrev_b32_e32 v37, 3, v1
	v_lshlrev_b32_e32 v28, 11, v50
	v_or3_b32 v28, v28, v48, v37
	v_pack_b32_f16 v20, v20, v21
	v_pack_b32_f16 v21, v30, v29
	ds_write2st64_b64 v28, v[18:19], v[20:21] offset1:1
	v_pk_mul_f32 v[18:19], v[38:39], v[34:35] op_sel_hi:[0,1]
	v_pk_mul_f32 v[20:21], v[38:39], v[26:27] op_sel_hi:[0,1]
	v_cvt_f16_f32_e32 v26, v20
	v_cvt_f16_f32_e32 v27, v21
	;; [unrolled: 1-line block ×4, first 2 shown]
	v_pk_mul_f32 v[18:19], v[38:39], v[24:25] op_sel_hi:[0,1]
	v_pk_mul_f32 v[20:21], v[38:39], v[22:23] op_sel_hi:[0,1]
	v_cvt_f16_f32_e32 v20, v20
	v_cvt_f16_f32_e32 v21, v21
	;; [unrolled: 1-line block ×4, first 2 shown]
	v_mov_b32_e32 v32, 0
	v_pack_b32_f16 v18, v26, v27
	v_pack_b32_f16 v19, v29, v30
	;; [unrolled: 1-line block ×4, first 2 shown]
	v_cmp_gt_u32_e32 vcc, 7, v0
	ds_write2st64_b64 v28, v[18:19], v[20:21] offset0:2 offset1:3
	s_and_saveexec_b64 s[2:3], vcc
	s_cbranch_execz .LBB596_399
; %bb.398:
	v_add_co_u32_e32 v20, vcc, s25, v49
	v_addc_co_u32_e64 v21, s[14:15], 0, 0, vcc
	v_mov_b32_e32 v18, s12
	v_mov_b32_e32 v19, 0
	v_mad_u64_u32 v[20:21], s[14:15], s6, v18, v[20:21]
	v_mov_b32_e32 v18, s24
	s_load_dwordx4 s[8:11], s[4:5], 0x58
	s_mul_i32 s7, s7, s12
	v_mad_u64_u32 v[18:19], s[14:15], v20, s44, v[18:19]
	v_add_u32_e32 v21, s7, v21
	v_mov_b32_e32 v20, v19
	v_mad_u64_u32 v[20:21], s[14:15], v21, s44, v[20:21]
	v_mov_b32_e32 v19, v20
	v_lshlrev_b64 v[18:19], 2, v[18:19]
	s_waitcnt lgkmcnt(0)
	v_mov_b32_e32 v21, s11
	v_add_co_u32_e32 v20, vcc, s10, v18
	v_addc_co_u32_e32 v21, vcc, v21, v19, vcc
	global_store_dword v[20:21], v33, off
	v_mov_b32_e32 v20, s9
	v_add_co_u32_e32 v18, vcc, s8, v18
	v_addc_co_u32_e32 v19, vcc, v20, v19, vcc
	global_store_dword v[18:19], v36, off
.LBB596_399:
	s_or_b64 exec, exec, s[2:3]
	v_mov_b32_e32 v19, 0
	s_waitcnt vmcnt(3)
	v_cmp_ne_u16_sdwa s[8:9], v14, v19 src0_sel:BYTE_0 src1_sel:DWORD
	s_waitcnt lgkmcnt(0)
	s_barrier
	s_and_saveexec_b64 s[2:3], s[8:9]
	s_cbranch_execz .LBB596_405
; %bb.400:
	s_movk_i32 s7, 0x80
	v_cmp_ne_u16_sdwa s[10:11], v14, s7 src0_sel:BYTE_0 src1_sel:DWORD
	v_bfrev_b32_e32 v32, 1
	s_and_saveexec_b64 s[8:9], s[10:11]
	s_cbranch_execz .LBB596_404
; %bb.401:
	s_movk_i32 s7, 0x7f
	v_and_b32_e32 v18, 0x7f, v14
	v_cmp_ne_u32_e32 vcc, s7, v18
	v_mov_b32_e32 v32, 0x7f800001
	s_and_saveexec_b64 s[10:11], vcc
	s_cbranch_execz .LBB596_403
; %bb.402:
	v_and_b32_e32 v22, 7, v14
	v_ffbh_u32_e32 v20, v22
	v_min_u32_e32 v24, 32, v20
	v_subrev_u32_e32 v20, 28, v24
	v_lshlrev_b64 v[20:21], v20, v[14:15]
	v_lshrrev_b32_e32 v23, 3, v18
	v_sub_u32_e32 v21, 29, v24
	v_and_b32_e32 v20, 7, v20
	v_cmp_gt_u32_e32 vcc, 8, v18
	v_cndmask_b32_e32 v18, v23, v21, vcc
	v_cndmask_b32_e32 v20, v22, v20, vcc
	v_lshlrev_b32_e32 v21, 24, v14
	v_bfrev_b32_e32 v22, 60
	v_lshlrev_b32_e32 v20, 20, v20
	v_and_b32_e32 v21, 0x80000000, v21
	v_lshl_add_u32 v18, v18, 23, v22
	v_or3_b32 v32, v21, v18, v20
.LBB596_403:
	s_or_b64 exec, exec, s[10:11]
.LBB596_404:
	s_or_b64 exec, exec, s[8:9]
.LBB596_405:
	s_or_b64 exec, exec, s[2:3]
	v_lshrrev_b16_e32 v18, 8, v14
	v_cmp_ne_u16_e32 vcc, 0, v18
	v_mov_b32_e32 v20, 0
	s_and_saveexec_b64 s[2:3], vcc
	s_cbranch_execz .LBB596_411
; %bb.406:
	s_movk_i32 s7, 0x80
	v_cmp_ne_u16_e32 vcc, s7, v18
	v_bfrev_b32_e32 v20, 1
	s_and_saveexec_b64 s[8:9], vcc
	s_cbranch_execz .LBB596_410
; %bb.407:
	s_movk_i32 s7, 0x7f
	v_and_b32_e32 v21, 0x7f, v18
	v_cmp_ne_u32_e32 vcc, s7, v21
	v_mov_b32_e32 v20, 0x7f800001
	s_and_saveexec_b64 s[10:11], vcc
	s_cbranch_execz .LBB596_409
; %bb.408:
	v_and_b32_e32 v20, 7, v18
	v_ffbh_u32_e32 v22, v20
	v_min_u32_e32 v25, 32, v22
	v_subrev_u32_e32 v22, 28, v25
	v_lshlrev_b64 v[22:23], v22, v[18:19]
	v_lshrrev_b32_e32 v24, 3, v21
	v_sub_u32_e32 v18, 29, v25
	v_and_b32_e32 v22, 7, v22
	v_cmp_gt_u32_e32 vcc, 8, v21
	v_cndmask_b32_e32 v18, v24, v18, vcc
	v_cndmask_b32_e32 v20, v20, v22, vcc
	v_lshlrev_b32_e32 v21, 16, v14
	v_bfrev_b32_e32 v22, 60
	v_lshlrev_b32_e32 v20, 20, v20
	v_and_b32_e32 v21, 0x80000000, v21
	v_lshl_add_u32 v18, v18, 23, v22
	v_or3_b32 v20, v21, v18, v20
.LBB596_409:
	s_or_b64 exec, exec, s[10:11]
.LBB596_410:
	s_or_b64 exec, exec, s[8:9]
.LBB596_411:
	s_or_b64 exec, exec, s[2:3]
	s_movk_i32 s2, 0xff
	v_and_b32_sdwa v21, v14, s2 dst_sel:DWORD dst_unused:UNUSED_PAD src0_sel:WORD_1 src1_sel:DWORD
	v_lshrrev_b32_e32 v18, 16, v14
	v_cmp_ne_u16_e32 vcc, 0, v21
	s_and_saveexec_b64 s[2:3], vcc
	s_cbranch_execz .LBB596_417
; %bb.412:
	s_movk_i32 s7, 0x80
	v_cmp_ne_u16_e32 vcc, s7, v21
	v_bfrev_b32_e32 v19, 1
	s_and_saveexec_b64 s[8:9], vcc
	s_cbranch_execz .LBB596_416
; %bb.413:
	v_bfe_u32 v21, v14, 16, 7
	s_movk_i32 s7, 0x7f
	v_cmp_ne_u32_e32 vcc, s7, v21
	v_mov_b32_e32 v19, 0x7f800001
	s_and_saveexec_b64 s[10:11], vcc
	s_cbranch_execz .LBB596_415
; %bb.414:
	v_and_b32_e32 v22, 7, v18
	v_ffbh_u32_e32 v19, v22
	v_min_u32_e32 v24, 32, v19
	v_subrev_u32_e32 v19, 28, v24
	v_lshlrev_b64 v[18:19], v19, v[18:19]
	v_lshrrev_b32_e32 v23, 3, v21
	v_sub_u32_e32 v19, 29, v24
	v_and_b32_e32 v18, 7, v18
	v_cmp_gt_u32_e32 vcc, 8, v21
	v_mov_b32_e32 v21, 24
	v_cndmask_b32_e32 v19, v23, v19, vcc
	v_cndmask_b32_e32 v18, v22, v18, vcc
	v_lshlrev_b32_sdwa v21, v21, v14 dst_sel:DWORD dst_unused:UNUSED_PAD src0_sel:DWORD src1_sel:WORD_1
	v_bfrev_b32_e32 v22, 60
	v_lshlrev_b32_e32 v18, 20, v18
	v_and_b32_e32 v21, 0x80000000, v21
	v_lshl_add_u32 v19, v19, 23, v22
	v_or3_b32 v19, v21, v19, v18
.LBB596_415:
	s_or_b64 exec, exec, s[10:11]
.LBB596_416:
	s_or_b64 exec, exec, s[8:9]
.LBB596_417:
	s_or_b64 exec, exec, s[2:3]
	s_mov_b32 s2, 0xffffff
	v_cmp_lt_u32_e32 vcc, s2, v14
	v_mov_b32_e32 v21, 0
	v_mov_b32_e32 v22, 0
	s_and_saveexec_b64 s[2:3], vcc
	s_cbranch_execz .LBB596_423
; %bb.418:
	v_lshrrev_b32_e32 v18, 24, v14
	s_movk_i32 s7, 0x80
	v_cmp_ne_u32_e32 vcc, s7, v18
	v_bfrev_b32_e32 v22, 1
	s_and_saveexec_b64 s[8:9], vcc
	s_cbranch_execz .LBB596_422
; %bb.419:
	v_bfe_u32 v14, v14, 24, 7
	s_movk_i32 s7, 0x7f
	v_cmp_ne_u32_e32 vcc, s7, v14
	v_mov_b32_e32 v22, 0x7f800001
	s_and_saveexec_b64 s[10:11], vcc
	s_cbranch_execz .LBB596_421
; %bb.420:
	v_and_b32_e32 v24, 7, v18
	v_ffbh_u32_e32 v22, v24
	v_min_u32_e32 v26, 32, v22
	v_subrev_u32_e32 v22, 28, v26
	v_lshlrev_b64 v[22:23], v22, v[18:19]
	v_lshrrev_b32_e32 v25, 3, v14
	v_sub_u32_e32 v23, 29, v26
	v_and_b32_e32 v22, 7, v22
	v_cmp_gt_u32_e32 vcc, 8, v14
	v_cndmask_b32_e32 v14, v25, v23, vcc
	v_cndmask_b32_e32 v22, v24, v22, vcc
	v_lshlrev_b32_e32 v18, 24, v18
	v_bfrev_b32_e32 v23, 60
	v_lshlrev_b32_e32 v22, 20, v22
	v_and_b32_e32 v18, 0x80000000, v18
	v_lshl_add_u32 v14, v14, 23, v23
	v_or3_b32 v22, v18, v14, v22
.LBB596_421:
	s_or_b64 exec, exec, s[10:11]
.LBB596_422:
	s_or_b64 exec, exec, s[8:9]
.LBB596_423:
	s_or_b64 exec, exec, s[2:3]
	v_cmp_ne_u16_sdwa s[8:9], v15, v21 src0_sel:BYTE_0 src1_sel:DWORD
	s_and_saveexec_b64 s[2:3], s[8:9]
	s_cbranch_execz .LBB596_429
; %bb.424:
	s_movk_i32 s7, 0x80
	v_cmp_ne_u16_sdwa s[10:11], v15, s7 src0_sel:BYTE_0 src1_sel:DWORD
	v_bfrev_b32_e32 v21, 1
	s_and_saveexec_b64 s[8:9], s[10:11]
	s_cbranch_execz .LBB596_428
; %bb.425:
	s_movk_i32 s7, 0x7f
	v_and_b32_e32 v14, 0x7f, v15
	v_cmp_ne_u32_e32 vcc, s7, v14
	v_mov_b32_e32 v21, 0x7f800001
	s_and_saveexec_b64 s[10:11], vcc
	s_cbranch_execz .LBB596_427
; %bb.426:
	v_and_b32_e32 v21, 7, v15
	v_ffbh_u32_e32 v24, v21
	v_min_u32_e32 v26, 32, v24
	v_mov_b32_e32 v18, v15
	v_subrev_u32_e32 v24, 28, v26
	v_lshlrev_b64 v[24:25], v24, v[18:19]
	v_lshrrev_b32_e32 v23, 3, v14
	v_sub_u32_e32 v18, 29, v26
	v_and_b32_e32 v24, 7, v24
	v_cmp_gt_u32_e32 vcc, 8, v14
	v_cndmask_b32_e32 v14, v23, v18, vcc
	v_cndmask_b32_e32 v18, v21, v24, vcc
	v_lshlrev_b32_e32 v21, 24, v15
	v_bfrev_b32_e32 v23, 60
	v_lshlrev_b32_e32 v18, 20, v18
	v_and_b32_e32 v21, 0x80000000, v21
	v_lshl_add_u32 v14, v14, 23, v23
	v_or3_b32 v21, v21, v14, v18
.LBB596_427:
	s_or_b64 exec, exec, s[10:11]
.LBB596_428:
	s_or_b64 exec, exec, s[8:9]
.LBB596_429:
	s_or_b64 exec, exec, s[2:3]
	v_lshrrev_b16_e32 v14, 8, v15
	v_cmp_ne_u16_e32 vcc, 0, v14
	v_mov_b32_e32 v18, 0
	v_mov_b32_e32 v24, 0
	s_and_saveexec_b64 s[2:3], vcc
	s_cbranch_execz .LBB596_435
; %bb.430:
	s_movk_i32 s7, 0x80
	v_cmp_ne_u16_e32 vcc, s7, v14
	v_bfrev_b32_e32 v24, 1
	s_and_saveexec_b64 s[8:9], vcc
	s_cbranch_execz .LBB596_434
; %bb.431:
	s_movk_i32 s7, 0x7f
	v_and_b32_e32 v23, 0x7f, v14
	v_cmp_ne_u32_e32 vcc, s7, v23
	v_mov_b32_e32 v24, 0x7f800001
	s_and_saveexec_b64 s[10:11], vcc
	s_cbranch_execz .LBB596_433
; %bb.432:
	v_and_b32_e32 v26, 7, v14
	v_ffbh_u32_e32 v24, v26
	v_min_u32_e32 v29, 32, v24
	v_subrev_u32_e32 v24, 28, v29
	v_lshlrev_b64 v[24:25], v24, v[14:15]
	v_lshrrev_b32_e32 v27, 3, v23
	v_sub_u32_e32 v14, 29, v29
	v_and_b32_e32 v24, 7, v24
	v_cmp_gt_u32_e32 vcc, 8, v23
	v_cndmask_b32_e32 v14, v27, v14, vcc
	v_cndmask_b32_e32 v23, v26, v24, vcc
	v_lshlrev_b32_e32 v24, 16, v15
	v_bfrev_b32_e32 v25, 60
	v_lshlrev_b32_e32 v23, 20, v23
	v_and_b32_e32 v24, 0x80000000, v24
	v_lshl_add_u32 v14, v14, 23, v25
	v_or3_b32 v24, v24, v14, v23
.LBB596_433:
	s_or_b64 exec, exec, s[10:11]
.LBB596_434:
	s_or_b64 exec, exec, s[8:9]
.LBB596_435:
	s_or_b64 exec, exec, s[2:3]
	s_movk_i32 s2, 0xff
	v_and_b32_sdwa v23, v15, s2 dst_sel:DWORD dst_unused:UNUSED_PAD src0_sel:WORD_1 src1_sel:DWORD
	v_lshrrev_b32_e32 v14, 16, v15
	v_cmp_ne_u16_e32 vcc, 0, v23
	s_and_saveexec_b64 s[2:3], vcc
	s_cbranch_execz .LBB596_441
; %bb.436:
	s_movk_i32 s7, 0x80
	v_cmp_ne_u16_e32 vcc, s7, v23
	v_bfrev_b32_e32 v18, 1
	s_and_saveexec_b64 s[8:9], vcc
	s_cbranch_execz .LBB596_440
; %bb.437:
	v_bfe_u32 v23, v15, 16, 7
	s_movk_i32 s7, 0x7f
	v_cmp_ne_u32_e32 vcc, s7, v23
	v_mov_b32_e32 v18, 0x7f800001
	s_and_saveexec_b64 s[10:11], vcc
	s_cbranch_execz .LBB596_439
; %bb.438:
	v_and_b32_e32 v18, 7, v14
	v_ffbh_u32_e32 v26, v18
	v_min_u32_e32 v29, 32, v26
	v_subrev_u32_e32 v26, 28, v29
	v_lshlrev_b64 v[26:27], v26, v[14:15]
	v_lshrrev_b32_e32 v25, 3, v23
	v_sub_u32_e32 v14, 29, v29
	v_and_b32_e32 v26, 7, v26
	v_cmp_gt_u32_e32 vcc, 8, v23
	v_mov_b32_e32 v23, 24
	v_cndmask_b32_e32 v14, v25, v14, vcc
	v_cndmask_b32_e32 v18, v18, v26, vcc
	v_lshlrev_b32_sdwa v23, v23, v15 dst_sel:DWORD dst_unused:UNUSED_PAD src0_sel:DWORD src1_sel:WORD_1
	v_bfrev_b32_e32 v25, 60
	v_lshlrev_b32_e32 v18, 20, v18
	v_and_b32_e32 v23, 0x80000000, v23
	v_lshl_add_u32 v14, v14, 23, v25
	v_or3_b32 v18, v23, v14, v18
.LBB596_439:
	s_or_b64 exec, exec, s[10:11]
.LBB596_440:
	s_or_b64 exec, exec, s[8:9]
.LBB596_441:
	s_or_b64 exec, exec, s[2:3]
	s_mov_b32 s2, 0xffffff
	v_cmp_lt_u32_e32 vcc, s2, v15
	v_mov_b32_e32 v23, 0
	v_mov_b32_e32 v25, 0
	s_and_saveexec_b64 s[2:3], vcc
	s_cbranch_execz .LBB596_447
; %bb.442:
	v_lshrrev_b32_e32 v14, 24, v15
	s_movk_i32 s7, 0x80
	v_cmp_ne_u32_e32 vcc, s7, v14
	v_bfrev_b32_e32 v25, 1
	s_and_saveexec_b64 s[8:9], vcc
	s_cbranch_execz .LBB596_446
; %bb.443:
	v_bfe_u32 v15, v15, 24, 7
	s_movk_i32 s7, 0x7f
	v_cmp_ne_u32_e32 vcc, s7, v15
	v_mov_b32_e32 v25, 0x7f800001
	s_and_saveexec_b64 s[10:11], vcc
	s_cbranch_execz .LBB596_445
; %bb.444:
	v_and_b32_e32 v25, 7, v14
	v_ffbh_u32_e32 v26, v25
	v_min_u32_e32 v30, 32, v26
	v_subrev_u32_e32 v26, 28, v30
	v_lshlrev_b64 v[26:27], v26, v[14:15]
	v_lshrrev_b32_e32 v29, 3, v15
	v_sub_u32_e32 v27, 29, v30
	v_and_b32_e32 v26, 7, v26
	v_cmp_gt_u32_e32 vcc, 8, v15
	v_cndmask_b32_e32 v15, v29, v27, vcc
	v_cndmask_b32_e32 v25, v25, v26, vcc
	v_lshlrev_b32_e32 v14, 24, v14
	v_bfrev_b32_e32 v26, 60
	v_lshlrev_b32_e32 v25, 20, v25
	v_and_b32_e32 v14, 0x80000000, v14
	v_lshl_add_u32 v15, v15, 23, v26
	v_or3_b32 v25, v14, v15, v25
.LBB596_445:
	s_or_b64 exec, exec, s[10:11]
.LBB596_446:
	s_or_b64 exec, exec, s[8:9]
.LBB596_447:
	s_or_b64 exec, exec, s[2:3]
	v_cvt_pkrtz_f16_f32 v15, v19, v22
	v_lshl_or_b32 v22, v1, 9, v48
	v_cvt_pkrtz_f16_f32 v14, v32, v20
	ds_read_b128 v[30:33], v22
	v_cmp_ne_u16_sdwa s[8:9], v16, v23 src0_sel:BYTE_0 src1_sel:DWORD
	s_waitcnt lgkmcnt(0)
	v_mfma_f32_16x16x16f16 v[34:37], v[14:15], v[30:31], 0
	v_cvt_pkrtz_f16_f32 v14, v21, v24
	v_cvt_pkrtz_f16_f32 v15, v18, v25
	s_nop 1
	v_mfma_f32_16x16x16f16 v[18:21], v[14:15], v[32:33], v[34:37]
	s_and_saveexec_b64 s[2:3], s[8:9]
	s_cbranch_execz .LBB596_453
; %bb.448:
	s_movk_i32 s7, 0x80
	v_cmp_ne_u16_sdwa s[10:11], v16, s7 src0_sel:BYTE_0 src1_sel:DWORD
	v_bfrev_b32_e32 v23, 1
	s_and_saveexec_b64 s[8:9], s[10:11]
	s_cbranch_execz .LBB596_452
; %bb.449:
	s_movk_i32 s7, 0x7f
	v_and_b32_e32 v14, 0x7f, v16
	v_cmp_ne_u32_e32 vcc, s7, v14
	v_mov_b32_e32 v23, 0x7f800001
	s_and_saveexec_b64 s[10:11], vcc
	s_cbranch_execz .LBB596_451
; %bb.450:
	v_and_b32_e32 v15, 7, v16
	v_ffbh_u32_e32 v24, v15
	v_min_u32_e32 v26, 32, v24
	v_subrev_u32_e32 v24, 28, v26
	v_lshlrev_b64 v[24:25], v24, v[16:17]
	v_lshrrev_b32_e32 v23, 3, v14
	v_sub_u32_e32 v25, 29, v26
	v_and_b32_e32 v24, 7, v24
	v_cmp_gt_u32_e32 vcc, 8, v14
	v_cndmask_b32_e32 v14, v23, v25, vcc
	v_cndmask_b32_e32 v15, v15, v24, vcc
	v_lshlrev_b32_e32 v23, 24, v16
	v_bfrev_b32_e32 v24, 60
	v_lshlrev_b32_e32 v15, 20, v15
	v_and_b32_e32 v23, 0x80000000, v23
	v_lshl_add_u32 v14, v14, 23, v24
	v_or3_b32 v23, v23, v14, v15
.LBB596_451:
	s_or_b64 exec, exec, s[10:11]
.LBB596_452:
	s_or_b64 exec, exec, s[8:9]
.LBB596_453:
	s_or_b64 exec, exec, s[2:3]
	v_lshrrev_b16_e32 v14, 8, v16
	v_cmp_ne_u16_e32 vcc, 0, v14
	v_mov_b32_e32 v15, 0
	v_mov_b32_e32 v25, 0
	s_and_saveexec_b64 s[2:3], vcc
	s_cbranch_execz .LBB596_459
; %bb.454:
	s_movk_i32 s7, 0x80
	v_cmp_ne_u16_e32 vcc, s7, v14
	v_bfrev_b32_e32 v25, 1
	s_and_saveexec_b64 s[8:9], vcc
	s_cbranch_execz .LBB596_458
; %bb.455:
	s_movk_i32 s7, 0x7f
	v_and_b32_e32 v24, 0x7f, v14
	v_cmp_ne_u32_e32 vcc, s7, v24
	v_mov_b32_e32 v25, 0x7f800001
	s_and_saveexec_b64 s[10:11], vcc
	s_cbranch_execz .LBB596_457
; %bb.456:
	v_and_b32_e32 v25, 7, v14
	v_ffbh_u32_e32 v26, v25
	v_min_u32_e32 v30, 32, v26
	v_subrev_u32_e32 v26, 28, v30
	v_lshlrev_b64 v[26:27], v26, v[14:15]
	v_lshrrev_b32_e32 v29, 3, v24
	v_sub_u32_e32 v14, 29, v30
	v_and_b32_e32 v26, 7, v26
	v_cmp_gt_u32_e32 vcc, 8, v24
	v_cndmask_b32_e32 v14, v29, v14, vcc
	v_cndmask_b32_e32 v24, v25, v26, vcc
	v_lshlrev_b32_e32 v25, 16, v16
	v_bfrev_b32_e32 v26, 60
	v_lshlrev_b32_e32 v24, 20, v24
	v_and_b32_e32 v25, 0x80000000, v25
	v_lshl_add_u32 v14, v14, 23, v26
	v_or3_b32 v25, v25, v14, v24
.LBB596_457:
	s_or_b64 exec, exec, s[10:11]
.LBB596_458:
	s_or_b64 exec, exec, s[8:9]
.LBB596_459:
	s_or_b64 exec, exec, s[2:3]
	s_movk_i32 s2, 0xff
	v_and_b32_sdwa v24, v16, s2 dst_sel:DWORD dst_unused:UNUSED_PAD src0_sel:WORD_1 src1_sel:DWORD
	v_lshrrev_b32_e32 v14, 16, v16
	v_cmp_ne_u16_e32 vcc, 0, v24
	s_and_saveexec_b64 s[2:3], vcc
	s_cbranch_execz .LBB596_465
; %bb.460:
	s_movk_i32 s7, 0x80
	v_cmp_ne_u16_e32 vcc, s7, v24
	v_bfrev_b32_e32 v15, 1
	s_and_saveexec_b64 s[8:9], vcc
	s_cbranch_execz .LBB596_464
; %bb.461:
	v_bfe_u32 v24, v16, 16, 7
	s_movk_i32 s7, 0x7f
	v_cmp_ne_u32_e32 vcc, s7, v24
	v_mov_b32_e32 v15, 0x7f800001
	s_and_saveexec_b64 s[10:11], vcc
	s_cbranch_execz .LBB596_463
; %bb.462:
	v_and_b32_e32 v26, 7, v14
	v_ffbh_u32_e32 v15, v26
	v_min_u32_e32 v29, 32, v15
	v_subrev_u32_e32 v15, 28, v29
	v_lshlrev_b64 v[14:15], v15, v[14:15]
	v_lshrrev_b32_e32 v27, 3, v24
	v_sub_u32_e32 v15, 29, v29
	v_and_b32_e32 v14, 7, v14
	v_cmp_gt_u32_e32 vcc, 8, v24
	v_mov_b32_e32 v24, 24
	v_cndmask_b32_e32 v15, v27, v15, vcc
	v_cndmask_b32_e32 v14, v26, v14, vcc
	v_lshlrev_b32_sdwa v24, v24, v16 dst_sel:DWORD dst_unused:UNUSED_PAD src0_sel:DWORD src1_sel:WORD_1
	v_bfrev_b32_e32 v26, 60
	v_lshlrev_b32_e32 v14, 20, v14
	v_and_b32_e32 v24, 0x80000000, v24
	v_lshl_add_u32 v15, v15, 23, v26
	v_or3_b32 v15, v24, v15, v14
.LBB596_463:
	s_or_b64 exec, exec, s[10:11]
.LBB596_464:
	s_or_b64 exec, exec, s[8:9]
.LBB596_465:
	s_or_b64 exec, exec, s[2:3]
	s_mov_b32 s2, 0xffffff
	v_cmp_lt_u32_e32 vcc, s2, v16
	v_mov_b32_e32 v26, 0
	v_mov_b32_e32 v27, 0
	s_and_saveexec_b64 s[2:3], vcc
	s_cbranch_execz .LBB596_471
; %bb.466:
	v_lshrrev_b32_e32 v14, 24, v16
	s_movk_i32 s7, 0x80
	v_cmp_ne_u32_e32 vcc, s7, v14
	v_bfrev_b32_e32 v27, 1
	s_and_saveexec_b64 s[8:9], vcc
	s_cbranch_execz .LBB596_470
; %bb.467:
	v_bfe_u32 v16, v16, 24, 7
	s_movk_i32 s7, 0x7f
	v_cmp_ne_u32_e32 vcc, s7, v16
	v_mov_b32_e32 v27, 0x7f800001
	s_and_saveexec_b64 s[10:11], vcc
	s_cbranch_execz .LBB596_469
; %bb.468:
	v_and_b32_e32 v24, 7, v14
	v_ffbh_u32_e32 v29, v24
	v_min_u32_e32 v29, 32, v29
	v_subrev_u32_e32 v30, 28, v29
	v_lshlrev_b64 v[30:31], v30, v[14:15]
	v_lshrrev_b32_e32 v27, 3, v16
	v_sub_u32_e32 v29, 29, v29
	v_and_b32_e32 v30, 7, v30
	v_cmp_gt_u32_e32 vcc, 8, v16
	v_cndmask_b32_e32 v16, v27, v29, vcc
	v_cndmask_b32_e32 v24, v24, v30, vcc
	v_lshlrev_b32_e32 v14, 24, v14
	v_bfrev_b32_e32 v27, 60
	v_lshlrev_b32_e32 v24, 20, v24
	v_and_b32_e32 v14, 0x80000000, v14
	v_lshl_add_u32 v16, v16, 23, v27
	v_or3_b32 v27, v14, v16, v24
.LBB596_469:
	s_or_b64 exec, exec, s[10:11]
.LBB596_470:
	s_or_b64 exec, exec, s[8:9]
.LBB596_471:
	s_or_b64 exec, exec, s[2:3]
	v_cmp_ne_u16_sdwa s[8:9], v17, v26 src0_sel:BYTE_0 src1_sel:DWORD
	s_and_saveexec_b64 s[2:3], s[8:9]
	s_cbranch_execz .LBB596_477
; %bb.472:
	s_movk_i32 s7, 0x80
	v_cmp_ne_u16_sdwa s[10:11], v17, s7 src0_sel:BYTE_0 src1_sel:DWORD
	v_bfrev_b32_e32 v26, 1
	s_and_saveexec_b64 s[8:9], s[10:11]
	s_cbranch_execz .LBB596_476
; %bb.473:
	s_movk_i32 s7, 0x7f
	v_and_b32_e32 v14, 0x7f, v17
	v_cmp_ne_u32_e32 vcc, s7, v14
	v_mov_b32_e32 v26, 0x7f800001
	s_and_saveexec_b64 s[10:11], vcc
	s_cbranch_execz .LBB596_475
; %bb.474:
	v_and_b32_e32 v24, 7, v17
	v_ffbh_u32_e32 v29, v24
	v_min_u32_e32 v29, 32, v29
	v_mov_b32_e32 v16, v17
	v_subrev_u32_e32 v30, 28, v29
	v_lshlrev_b64 v[30:31], v30, v[16:17]
	v_lshrrev_b32_e32 v26, 3, v14
	v_sub_u32_e32 v16, 29, v29
	v_and_b32_e32 v29, 7, v30
	v_cmp_gt_u32_e32 vcc, 8, v14
	v_cndmask_b32_e32 v14, v26, v16, vcc
	v_cndmask_b32_e32 v16, v24, v29, vcc
	v_lshlrev_b32_e32 v24, 24, v17
	v_bfrev_b32_e32 v26, 60
	v_lshlrev_b32_e32 v16, 20, v16
	v_and_b32_e32 v24, 0x80000000, v24
	v_lshl_add_u32 v14, v14, 23, v26
	v_or3_b32 v26, v24, v14, v16
.LBB596_475:
	s_or_b64 exec, exec, s[10:11]
.LBB596_476:
	s_or_b64 exec, exec, s[8:9]
.LBB596_477:
	s_or_b64 exec, exec, s[2:3]
	v_lshrrev_b16_e32 v14, 8, v17
	v_cmp_ne_u16_e32 vcc, 0, v14
	v_mov_b32_e32 v16, 0
	v_mov_b32_e32 v29, 0
	s_and_saveexec_b64 s[2:3], vcc
	s_cbranch_execz .LBB596_483
; %bb.478:
	s_movk_i32 s7, 0x80
	v_cmp_ne_u16_e32 vcc, s7, v14
	v_bfrev_b32_e32 v29, 1
	s_and_saveexec_b64 s[8:9], vcc
	s_cbranch_execz .LBB596_482
; %bb.479:
	s_movk_i32 s7, 0x7f
	v_and_b32_e32 v24, 0x7f, v14
	v_cmp_ne_u32_e32 vcc, s7, v24
	v_mov_b32_e32 v29, 0x7f800001
	s_and_saveexec_b64 s[10:11], vcc
	s_cbranch_execz .LBB596_481
; %bb.480:
	v_and_b32_e32 v29, 7, v14
	v_ffbh_u32_e32 v30, v29
	v_min_u32_e32 v33, 32, v30
	v_subrev_u32_e32 v30, 28, v33
	v_lshlrev_b64 v[30:31], v30, v[14:15]
	v_lshrrev_b32_e32 v32, 3, v24
	v_sub_u32_e32 v14, 29, v33
	v_and_b32_e32 v30, 7, v30
	v_cmp_gt_u32_e32 vcc, 8, v24
	v_cndmask_b32_e32 v14, v32, v14, vcc
	v_cndmask_b32_e32 v24, v29, v30, vcc
	v_lshlrev_b32_e32 v29, 16, v17
	v_bfrev_b32_e32 v30, 60
	v_lshlrev_b32_e32 v24, 20, v24
	v_and_b32_e32 v29, 0x80000000, v29
	v_lshl_add_u32 v14, v14, 23, v30
	v_or3_b32 v29, v29, v14, v24
.LBB596_481:
	s_or_b64 exec, exec, s[10:11]
.LBB596_482:
	s_or_b64 exec, exec, s[8:9]
.LBB596_483:
	s_or_b64 exec, exec, s[2:3]
	s_movk_i32 s2, 0xff
	v_and_b32_sdwa v24, v17, s2 dst_sel:DWORD dst_unused:UNUSED_PAD src0_sel:WORD_1 src1_sel:DWORD
	v_lshrrev_b32_e32 v14, 16, v17
	v_cmp_ne_u16_e32 vcc, 0, v24
	s_and_saveexec_b64 s[2:3], vcc
	s_cbranch_execz .LBB596_489
; %bb.484:
	s_movk_i32 s7, 0x80
	v_cmp_ne_u16_e32 vcc, s7, v24
	v_bfrev_b32_e32 v16, 1
	s_and_saveexec_b64 s[8:9], vcc
	s_cbranch_execz .LBB596_488
; %bb.485:
	v_bfe_u32 v24, v17, 16, 7
	s_movk_i32 s7, 0x7f
	v_cmp_ne_u32_e32 vcc, s7, v24
	v_mov_b32_e32 v16, 0x7f800001
	s_and_saveexec_b64 s[10:11], vcc
	s_cbranch_execz .LBB596_487
; %bb.486:
	v_and_b32_e32 v16, 7, v14
	v_ffbh_u32_e32 v30, v16
	v_min_u32_e32 v33, 32, v30
	v_subrev_u32_e32 v30, 28, v33
	v_lshlrev_b64 v[30:31], v30, v[14:15]
	v_lshrrev_b32_e32 v32, 3, v24
	v_sub_u32_e32 v14, 29, v33
	v_and_b32_e32 v30, 7, v30
	v_cmp_gt_u32_e32 vcc, 8, v24
	v_mov_b32_e32 v24, 24
	v_cndmask_b32_e32 v14, v32, v14, vcc
	v_cndmask_b32_e32 v16, v16, v30, vcc
	v_lshlrev_b32_sdwa v24, v24, v17 dst_sel:DWORD dst_unused:UNUSED_PAD src0_sel:DWORD src1_sel:WORD_1
	v_bfrev_b32_e32 v30, 60
	v_lshlrev_b32_e32 v16, 20, v16
	v_and_b32_e32 v24, 0x80000000, v24
	v_lshl_add_u32 v14, v14, 23, v30
	v_or3_b32 v16, v24, v14, v16
.LBB596_487:
	s_or_b64 exec, exec, s[10:11]
.LBB596_488:
	s_or_b64 exec, exec, s[8:9]
.LBB596_489:
	s_or_b64 exec, exec, s[2:3]
	s_mov_b32 s2, 0xffffff
	v_cmp_lt_u32_e32 vcc, s2, v17
	v_mov_b32_e32 v24, 0
	v_mov_b32_e32 v30, 0
	s_and_saveexec_b64 s[2:3], vcc
	s_cbranch_execz .LBB596_495
; %bb.490:
	v_lshrrev_b32_e32 v14, 24, v17
	s_movk_i32 s7, 0x80
	v_cmp_ne_u32_e32 vcc, s7, v14
	v_bfrev_b32_e32 v30, 1
	s_and_saveexec_b64 s[8:9], vcc
	s_cbranch_execz .LBB596_494
; %bb.491:
	v_bfe_u32 v17, v17, 24, 7
	s_movk_i32 s7, 0x7f
	v_cmp_ne_u32_e32 vcc, s7, v17
	v_mov_b32_e32 v30, 0x7f800001
	s_and_saveexec_b64 s[10:11], vcc
	s_cbranch_execz .LBB596_493
; %bb.492:
	v_and_b32_e32 v32, 7, v14
	v_ffbh_u32_e32 v30, v32
	v_min_u32_e32 v34, 32, v30
	v_subrev_u32_e32 v30, 28, v34
	v_lshlrev_b64 v[30:31], v30, v[14:15]
	v_lshrrev_b32_e32 v33, 3, v17
	v_sub_u32_e32 v31, 29, v34
	v_and_b32_e32 v30, 7, v30
	v_cmp_gt_u32_e32 vcc, 8, v17
	v_cndmask_b32_e32 v17, v33, v31, vcc
	v_cndmask_b32_e32 v30, v32, v30, vcc
	v_lshlrev_b32_e32 v14, 24, v14
	v_bfrev_b32_e32 v31, 60
	v_lshlrev_b32_e32 v30, 20, v30
	v_and_b32_e32 v14, 0x80000000, v14
	v_lshl_add_u32 v17, v17, 23, v31
	v_or3_b32 v30, v14, v17, v30
.LBB596_493:
	s_or_b64 exec, exec, s[10:11]
.LBB596_494:
	s_or_b64 exec, exec, s[8:9]
.LBB596_495:
	s_or_b64 exec, exec, s[2:3]
	v_cvt_pkrtz_f16_f32 v14, v23, v25
	v_cvt_pkrtz_f16_f32 v15, v15, v27
	ds_read_b128 v[32:35], v22 offset:16
	s_waitcnt vmcnt(2)
	v_cmp_ne_u16_sdwa s[8:9], v10, v24 src0_sel:BYTE_0 src1_sel:DWORD
	s_waitcnt lgkmcnt(0)
	v_mfma_f32_16x16x16f16 v[18:21], v[14:15], v[32:33], v[18:21]
	v_cvt_pkrtz_f16_f32 v14, v26, v29
	v_cvt_pkrtz_f16_f32 v15, v16, v30
	s_nop 1
	v_mfma_f32_16x16x16f16 v[14:17], v[14:15], v[34:35], v[18:21]
	s_and_saveexec_b64 s[2:3], s[8:9]
	s_cbranch_execz .LBB596_501
; %bb.496:
	s_movk_i32 s7, 0x80
	v_cmp_ne_u16_sdwa s[10:11], v10, s7 src0_sel:BYTE_0 src1_sel:DWORD
	v_bfrev_b32_e32 v24, 1
	s_and_saveexec_b64 s[8:9], s[10:11]
	s_cbranch_execz .LBB596_500
; %bb.497:
	s_movk_i32 s7, 0x7f
	v_and_b32_e32 v18, 0x7f, v10
	v_cmp_ne_u32_e32 vcc, s7, v18
	v_mov_b32_e32 v24, 0x7f800001
	s_and_saveexec_b64 s[10:11], vcc
	s_cbranch_execz .LBB596_499
; %bb.498:
	v_and_b32_e32 v19, 7, v10
	v_ffbh_u32_e32 v20, v19
	v_min_u32_e32 v24, 32, v20
	v_subrev_u32_e32 v20, 28, v24
	v_lshlrev_b64 v[20:21], v20, v[10:11]
	v_lshrrev_b32_e32 v23, 3, v18
	v_sub_u32_e32 v21, 29, v24
	v_and_b32_e32 v20, 7, v20
	v_cmp_gt_u32_e32 vcc, 8, v18
	v_cndmask_b32_e32 v18, v23, v21, vcc
	v_cndmask_b32_e32 v19, v19, v20, vcc
	v_lshlrev_b32_e32 v20, 24, v10
	v_bfrev_b32_e32 v21, 60
	v_lshlrev_b32_e32 v19, 20, v19
	v_and_b32_e32 v20, 0x80000000, v20
	v_lshl_add_u32 v18, v18, 23, v21
	v_or3_b32 v24, v20, v18, v19
.LBB596_499:
	s_or_b64 exec, exec, s[10:11]
.LBB596_500:
	s_or_b64 exec, exec, s[8:9]
.LBB596_501:
	s_or_b64 exec, exec, s[2:3]
	s_nop 3
	v_lshrrev_b16_e32 v18, 8, v10
	v_cmp_ne_u16_e32 vcc, 0, v18
	v_mov_b32_e32 v19, 0
	v_mov_b32_e32 v20, 0
	s_and_saveexec_b64 s[2:3], vcc
	s_cbranch_execz .LBB596_507
; %bb.502:
	s_movk_i32 s7, 0x80
	v_cmp_ne_u16_e32 vcc, s7, v18
	v_bfrev_b32_e32 v20, 1
	s_and_saveexec_b64 s[8:9], vcc
	s_cbranch_execz .LBB596_506
; %bb.503:
	s_movk_i32 s7, 0x7f
	v_and_b32_e32 v21, 0x7f, v18
	v_cmp_ne_u32_e32 vcc, s7, v21
	v_mov_b32_e32 v20, 0x7f800001
	s_and_saveexec_b64 s[10:11], vcc
	s_cbranch_execz .LBB596_505
; %bb.504:
	v_and_b32_e32 v20, 7, v18
	v_ffbh_u32_e32 v25, v20
	v_min_u32_e32 v25, 32, v25
	v_subrev_u32_e32 v26, 28, v25
	v_lshlrev_b64 v[26:27], v26, v[18:19]
	v_lshrrev_b32_e32 v23, 3, v21
	v_sub_u32_e32 v18, 29, v25
	v_and_b32_e32 v25, 7, v26
	v_cmp_gt_u32_e32 vcc, 8, v21
	v_cndmask_b32_e32 v18, v23, v18, vcc
	v_cndmask_b32_e32 v20, v20, v25, vcc
	v_lshlrev_b32_e32 v21, 16, v10
	v_bfrev_b32_e32 v23, 60
	v_lshlrev_b32_e32 v20, 20, v20
	v_and_b32_e32 v21, 0x80000000, v21
	v_lshl_add_u32 v18, v18, 23, v23
	v_or3_b32 v20, v21, v18, v20
.LBB596_505:
	s_or_b64 exec, exec, s[10:11]
.LBB596_506:
	s_or_b64 exec, exec, s[8:9]
.LBB596_507:
	s_or_b64 exec, exec, s[2:3]
	s_movk_i32 s2, 0xff
	v_and_b32_sdwa v21, v10, s2 dst_sel:DWORD dst_unused:UNUSED_PAD src0_sel:WORD_1 src1_sel:DWORD
	v_lshrrev_b32_e32 v18, 16, v10
	v_cmp_ne_u16_e32 vcc, 0, v21
	s_and_saveexec_b64 s[2:3], vcc
	s_cbranch_execz .LBB596_513
; %bb.508:
	s_movk_i32 s7, 0x80
	v_cmp_ne_u16_e32 vcc, s7, v21
	v_bfrev_b32_e32 v19, 1
	s_and_saveexec_b64 s[8:9], vcc
	s_cbranch_execz .LBB596_512
; %bb.509:
	v_bfe_u32 v21, v10, 16, 7
	s_movk_i32 s7, 0x7f
	v_cmp_ne_u32_e32 vcc, s7, v21
	v_mov_b32_e32 v19, 0x7f800001
	s_and_saveexec_b64 s[10:11], vcc
	s_cbranch_execz .LBB596_511
; %bb.510:
	v_and_b32_e32 v23, 7, v18
	v_ffbh_u32_e32 v19, v23
	v_min_u32_e32 v26, 32, v19
	v_subrev_u32_e32 v19, 28, v26
	v_lshlrev_b64 v[18:19], v19, v[18:19]
	v_lshrrev_b32_e32 v25, 3, v21
	v_sub_u32_e32 v19, 29, v26
	v_and_b32_e32 v18, 7, v18
	v_cmp_gt_u32_e32 vcc, 8, v21
	v_mov_b32_e32 v21, 24
	v_cndmask_b32_e32 v19, v25, v19, vcc
	v_cndmask_b32_e32 v18, v23, v18, vcc
	v_lshlrev_b32_sdwa v21, v21, v10 dst_sel:DWORD dst_unused:UNUSED_PAD src0_sel:DWORD src1_sel:WORD_1
	v_bfrev_b32_e32 v23, 60
	v_lshlrev_b32_e32 v18, 20, v18
	v_and_b32_e32 v21, 0x80000000, v21
	v_lshl_add_u32 v19, v19, 23, v23
	v_or3_b32 v19, v21, v19, v18
.LBB596_511:
	s_or_b64 exec, exec, s[10:11]
.LBB596_512:
	s_or_b64 exec, exec, s[8:9]
.LBB596_513:
	s_or_b64 exec, exec, s[2:3]
	s_mov_b32 s2, 0xffffff
	v_cmp_lt_u32_e32 vcc, s2, v10
	v_mov_b32_e32 v21, 0
	v_mov_b32_e32 v23, 0
	s_and_saveexec_b64 s[2:3], vcc
	s_cbranch_execz .LBB596_519
; %bb.514:
	v_lshrrev_b32_e32 v18, 24, v10
	s_movk_i32 s7, 0x80
	v_cmp_ne_u32_e32 vcc, s7, v18
	v_bfrev_b32_e32 v23, 1
	s_and_saveexec_b64 s[8:9], vcc
	s_cbranch_execz .LBB596_518
; %bb.515:
	v_bfe_u32 v10, v10, 24, 7
	s_movk_i32 s7, 0x7f
	v_cmp_ne_u32_e32 vcc, s7, v10
	v_mov_b32_e32 v23, 0x7f800001
	s_and_saveexec_b64 s[10:11], vcc
	s_cbranch_execz .LBB596_517
; %bb.516:
	v_and_b32_e32 v23, 7, v18
	v_ffbh_u32_e32 v26, v23
	v_min_u32_e32 v29, 32, v26
	v_subrev_u32_e32 v26, 28, v29
	v_lshlrev_b64 v[26:27], v26, v[18:19]
	v_lshrrev_b32_e32 v25, 3, v10
	v_sub_u32_e32 v27, 29, v29
	v_and_b32_e32 v26, 7, v26
	v_cmp_gt_u32_e32 vcc, 8, v10
	v_cndmask_b32_e32 v10, v25, v27, vcc
	v_cndmask_b32_e32 v23, v23, v26, vcc
	v_lshlrev_b32_e32 v18, 24, v18
	v_bfrev_b32_e32 v25, 60
	v_lshlrev_b32_e32 v23, 20, v23
	v_and_b32_e32 v18, 0x80000000, v18
	v_lshl_add_u32 v10, v10, 23, v25
	v_or3_b32 v23, v18, v10, v23
.LBB596_517:
	s_or_b64 exec, exec, s[10:11]
.LBB596_518:
	s_or_b64 exec, exec, s[8:9]
.LBB596_519:
	s_or_b64 exec, exec, s[2:3]
	v_cmp_ne_u16_sdwa s[8:9], v11, v21 src0_sel:BYTE_0 src1_sel:DWORD
	s_and_saveexec_b64 s[2:3], s[8:9]
	s_cbranch_execz .LBB596_525
; %bb.520:
	s_movk_i32 s7, 0x80
	v_cmp_ne_u16_sdwa s[10:11], v11, s7 src0_sel:BYTE_0 src1_sel:DWORD
	v_bfrev_b32_e32 v21, 1
	s_and_saveexec_b64 s[8:9], s[10:11]
	s_cbranch_execz .LBB596_524
; %bb.521:
	s_movk_i32 s7, 0x7f
	v_and_b32_e32 v10, 0x7f, v11
	v_cmp_ne_u32_e32 vcc, s7, v10
	v_mov_b32_e32 v21, 0x7f800001
	s_and_saveexec_b64 s[10:11], vcc
	s_cbranch_execz .LBB596_523
; %bb.522:
	v_and_b32_e32 v21, 7, v11
	v_ffbh_u32_e32 v26, v21
	v_min_u32_e32 v29, 32, v26
	v_mov_b32_e32 v18, v11
	v_subrev_u32_e32 v26, 28, v29
	v_lshlrev_b64 v[26:27], v26, v[18:19]
	v_lshrrev_b32_e32 v25, 3, v10
	v_sub_u32_e32 v18, 29, v29
	v_and_b32_e32 v26, 7, v26
	v_cmp_gt_u32_e32 vcc, 8, v10
	v_cndmask_b32_e32 v10, v25, v18, vcc
	v_cndmask_b32_e32 v18, v21, v26, vcc
	v_lshlrev_b32_e32 v21, 24, v11
	v_bfrev_b32_e32 v25, 60
	v_lshlrev_b32_e32 v18, 20, v18
	v_and_b32_e32 v21, 0x80000000, v21
	v_lshl_add_u32 v10, v10, 23, v25
	v_or3_b32 v21, v21, v10, v18
.LBB596_523:
	s_or_b64 exec, exec, s[10:11]
.LBB596_524:
	s_or_b64 exec, exec, s[8:9]
.LBB596_525:
	s_or_b64 exec, exec, s[2:3]
	v_lshrrev_b16_e32 v10, 8, v11
	v_cmp_ne_u16_e32 vcc, 0, v10
	v_mov_b32_e32 v25, 0
	v_mov_b32_e32 v26, 0
	s_and_saveexec_b64 s[2:3], vcc
	s_cbranch_execz .LBB596_531
; %bb.526:
	s_movk_i32 s7, 0x80
	v_cmp_ne_u16_e32 vcc, s7, v10
	v_bfrev_b32_e32 v26, 1
	s_and_saveexec_b64 s[8:9], vcc
	s_cbranch_execz .LBB596_530
; %bb.527:
	s_movk_i32 s7, 0x7f
	v_and_b32_e32 v18, 0x7f, v10
	v_cmp_ne_u32_e32 vcc, s7, v18
	v_mov_b32_e32 v26, 0x7f800001
	s_and_saveexec_b64 s[10:11], vcc
	s_cbranch_execz .LBB596_529
; %bb.528:
	v_and_b32_e32 v29, 7, v10
	v_ffbh_u32_e32 v26, v29
	v_min_u32_e32 v31, 32, v26
	v_subrev_u32_e32 v26, 28, v31
	v_lshlrev_b64 v[26:27], v26, v[10:11]
	v_lshrrev_b32_e32 v30, 3, v18
	v_sub_u32_e32 v10, 29, v31
	v_and_b32_e32 v26, 7, v26
	v_cmp_gt_u32_e32 vcc, 8, v18
	v_cndmask_b32_e32 v10, v30, v10, vcc
	v_cndmask_b32_e32 v18, v29, v26, vcc
	v_lshlrev_b32_e32 v26, 16, v11
	v_bfrev_b32_e32 v27, 60
	v_lshlrev_b32_e32 v18, 20, v18
	v_and_b32_e32 v26, 0x80000000, v26
	v_lshl_add_u32 v10, v10, 23, v27
	v_or3_b32 v26, v26, v10, v18
.LBB596_529:
	s_or_b64 exec, exec, s[10:11]
.LBB596_530:
	s_or_b64 exec, exec, s[8:9]
.LBB596_531:
	s_or_b64 exec, exec, s[2:3]
	s_movk_i32 s2, 0xff
	v_and_b32_sdwa v18, v11, s2 dst_sel:DWORD dst_unused:UNUSED_PAD src0_sel:WORD_1 src1_sel:DWORD
	v_lshrrev_b32_e32 v10, 16, v11
	v_cmp_ne_u16_e32 vcc, 0, v18
	s_and_saveexec_b64 s[2:3], vcc
	s_cbranch_execz .LBB596_537
; %bb.532:
	s_movk_i32 s7, 0x80
	v_cmp_ne_u16_e32 vcc, s7, v18
	v_bfrev_b32_e32 v25, 1
	s_and_saveexec_b64 s[8:9], vcc
	s_cbranch_execz .LBB596_536
; %bb.533:
	v_bfe_u32 v18, v11, 16, 7
	s_movk_i32 s7, 0x7f
	v_cmp_ne_u32_e32 vcc, s7, v18
	v_mov_b32_e32 v25, 0x7f800001
	s_and_saveexec_b64 s[10:11], vcc
	s_cbranch_execz .LBB596_535
; %bb.534:
	v_and_b32_e32 v25, 7, v10
	v_ffbh_u32_e32 v29, v25
	v_min_u32_e32 v29, 32, v29
	v_subrev_u32_e32 v30, 28, v29
	v_lshlrev_b64 v[30:31], v30, v[10:11]
	v_sub_u32_e32 v10, 29, v29
	v_and_b32_e32 v29, 7, v30
	v_cmp_gt_u32_e32 vcc, 8, v18
	v_lshrrev_b32_e32 v27, 3, v18
	v_cndmask_b32_e32 v18, v25, v29, vcc
	v_mov_b32_e32 v25, 24
	v_cndmask_b32_e32 v10, v27, v10, vcc
	v_lshlrev_b32_sdwa v25, v25, v11 dst_sel:DWORD dst_unused:UNUSED_PAD src0_sel:DWORD src1_sel:WORD_1
	v_bfrev_b32_e32 v27, 60
	v_lshlrev_b32_e32 v18, 20, v18
	v_and_b32_e32 v25, 0x80000000, v25
	v_lshl_add_u32 v10, v10, 23, v27
	v_or3_b32 v25, v25, v10, v18
.LBB596_535:
	s_or_b64 exec, exec, s[10:11]
.LBB596_536:
	s_or_b64 exec, exec, s[8:9]
.LBB596_537:
	s_or_b64 exec, exec, s[2:3]
	s_mov_b32 s2, 0xffffff
	v_cmp_lt_u32_e32 vcc, s2, v11
	v_mov_b32_e32 v18, 0
	v_mov_b32_e32 v27, 0
	s_and_saveexec_b64 s[2:3], vcc
	s_cbranch_execz .LBB596_543
; %bb.538:
	v_lshrrev_b32_e32 v10, 24, v11
	s_movk_i32 s7, 0x80
	v_cmp_ne_u32_e32 vcc, s7, v10
	v_bfrev_b32_e32 v27, 1
	s_and_saveexec_b64 s[8:9], vcc
	s_cbranch_execz .LBB596_542
; %bb.539:
	v_bfe_u32 v11, v11, 24, 7
	s_movk_i32 s7, 0x7f
	v_cmp_ne_u32_e32 vcc, s7, v11
	v_mov_b32_e32 v27, 0x7f800001
	s_and_saveexec_b64 s[10:11], vcc
	s_cbranch_execz .LBB596_541
; %bb.540:
	v_and_b32_e32 v27, 7, v10
	v_ffbh_u32_e32 v30, v27
	v_min_u32_e32 v32, 32, v30
	v_subrev_u32_e32 v30, 28, v32
	v_lshlrev_b64 v[30:31], v30, v[10:11]
	v_lshrrev_b32_e32 v29, 3, v11
	v_sub_u32_e32 v31, 29, v32
	v_and_b32_e32 v30, 7, v30
	v_cmp_gt_u32_e32 vcc, 8, v11
	v_cndmask_b32_e32 v11, v29, v31, vcc
	v_cndmask_b32_e32 v27, v27, v30, vcc
	v_lshlrev_b32_e32 v10, 24, v10
	v_bfrev_b32_e32 v29, 60
	v_lshlrev_b32_e32 v27, 20, v27
	v_and_b32_e32 v10, 0x80000000, v10
	v_lshl_add_u32 v11, v11, 23, v29
	v_or3_b32 v27, v10, v11, v27
.LBB596_541:
	s_or_b64 exec, exec, s[10:11]
.LBB596_542:
	s_or_b64 exec, exec, s[8:9]
.LBB596_543:
	s_or_b64 exec, exec, s[2:3]
	v_cvt_pkrtz_f16_f32 v10, v24, v20
	v_cvt_pkrtz_f16_f32 v11, v19, v23
	ds_read_b128 v[30:33], v22 offset:2048
	v_cmp_ne_u16_sdwa s[8:9], v12, v18 src0_sel:BYTE_0 src1_sel:DWORD
	s_waitcnt lgkmcnt(0)
	v_mfma_f32_16x16x16f16 v[14:17], v[10:11], v[30:31], v[14:17]
	v_cvt_pkrtz_f16_f32 v10, v21, v26
	v_cvt_pkrtz_f16_f32 v11, v25, v27
	s_nop 1
	v_mfma_f32_16x16x16f16 v[14:17], v[10:11], v[32:33], v[14:17]
	s_and_saveexec_b64 s[2:3], s[8:9]
	s_cbranch_execz .LBB596_549
; %bb.544:
	s_movk_i32 s7, 0x80
	v_cmp_ne_u16_sdwa s[10:11], v12, s7 src0_sel:BYTE_0 src1_sel:DWORD
	v_bfrev_b32_e32 v18, 1
	s_and_saveexec_b64 s[8:9], s[10:11]
	s_cbranch_execz .LBB596_548
; %bb.545:
	s_movk_i32 s7, 0x7f
	v_and_b32_e32 v10, 0x7f, v12
	v_cmp_ne_u32_e32 vcc, s7, v10
	v_mov_b32_e32 v18, 0x7f800001
	s_and_saveexec_b64 s[10:11], vcc
	s_cbranch_execz .LBB596_547
; %bb.546:
	v_and_b32_e32 v11, 7, v12
	v_ffbh_u32_e32 v18, v11
	v_min_u32_e32 v21, 32, v18
	v_subrev_u32_e32 v18, 28, v21
	v_lshlrev_b64 v[18:19], v18, v[12:13]
	v_lshrrev_b32_e32 v20, 3, v10
	v_sub_u32_e32 v19, 29, v21
	v_and_b32_e32 v18, 7, v18
	v_cmp_gt_u32_e32 vcc, 8, v10
	v_cndmask_b32_e32 v10, v20, v19, vcc
	v_cndmask_b32_e32 v11, v11, v18, vcc
	v_lshlrev_b32_e32 v18, 24, v12
	v_bfrev_b32_e32 v19, 60
	v_lshlrev_b32_e32 v11, 20, v11
	v_and_b32_e32 v18, 0x80000000, v18
	v_lshl_add_u32 v10, v10, 23, v19
	v_or3_b32 v18, v18, v10, v11
.LBB596_547:
	s_or_b64 exec, exec, s[10:11]
.LBB596_548:
	s_or_b64 exec, exec, s[8:9]
.LBB596_549:
	s_or_b64 exec, exec, s[2:3]
	v_lshrrev_b16_e32 v10, 8, v12
	v_cmp_ne_u16_e32 vcc, 0, v10
	v_mov_b32_e32 v11, 0
	v_mov_b32_e32 v20, 0
	s_and_saveexec_b64 s[2:3], vcc
	s_cbranch_execz .LBB596_555
; %bb.550:
	s_movk_i32 s7, 0x80
	v_cmp_ne_u16_e32 vcc, s7, v10
	v_bfrev_b32_e32 v20, 1
	s_and_saveexec_b64 s[8:9], vcc
	s_cbranch_execz .LBB596_554
; %bb.551:
	s_movk_i32 s7, 0x7f
	v_and_b32_e32 v19, 0x7f, v10
	v_cmp_ne_u32_e32 vcc, s7, v19
	v_mov_b32_e32 v20, 0x7f800001
	s_and_saveexec_b64 s[10:11], vcc
	s_cbranch_execz .LBB596_553
; %bb.552:
	v_and_b32_e32 v23, 7, v10
	v_ffbh_u32_e32 v20, v23
	v_min_u32_e32 v25, 32, v20
	v_subrev_u32_e32 v20, 28, v25
	v_lshlrev_b64 v[20:21], v20, v[10:11]
	v_lshrrev_b32_e32 v24, 3, v19
	v_sub_u32_e32 v10, 29, v25
	v_and_b32_e32 v20, 7, v20
	v_cmp_gt_u32_e32 vcc, 8, v19
	v_cndmask_b32_e32 v10, v24, v10, vcc
	v_cndmask_b32_e32 v19, v23, v20, vcc
	v_lshlrev_b32_e32 v20, 16, v12
	v_bfrev_b32_e32 v21, 60
	v_lshlrev_b32_e32 v19, 20, v19
	v_and_b32_e32 v20, 0x80000000, v20
	v_lshl_add_u32 v10, v10, 23, v21
	v_or3_b32 v20, v20, v10, v19
.LBB596_553:
	s_or_b64 exec, exec, s[10:11]
.LBB596_554:
	s_or_b64 exec, exec, s[8:9]
.LBB596_555:
	s_or_b64 exec, exec, s[2:3]
	s_movk_i32 s2, 0xff
	v_and_b32_sdwa v19, v12, s2 dst_sel:DWORD dst_unused:UNUSED_PAD src0_sel:WORD_1 src1_sel:DWORD
	v_lshrrev_b32_e32 v10, 16, v12
	v_cmp_ne_u16_e32 vcc, 0, v19
	s_and_saveexec_b64 s[2:3], vcc
	s_cbranch_execz .LBB596_561
; %bb.556:
	s_movk_i32 s7, 0x80
	v_cmp_ne_u16_e32 vcc, s7, v19
	v_bfrev_b32_e32 v11, 1
	s_and_saveexec_b64 s[8:9], vcc
	s_cbranch_execz .LBB596_560
; %bb.557:
	v_bfe_u32 v19, v12, 16, 7
	s_movk_i32 s7, 0x7f
	v_cmp_ne_u32_e32 vcc, s7, v19
	v_mov_b32_e32 v11, 0x7f800001
	s_and_saveexec_b64 s[10:11], vcc
	s_cbranch_execz .LBB596_559
; %bb.558:
	v_and_b32_e32 v21, 7, v10
	v_ffbh_u32_e32 v11, v21
	v_min_u32_e32 v24, 32, v11
	v_subrev_u32_e32 v11, 28, v24
	v_lshlrev_b64 v[10:11], v11, v[10:11]
	v_lshrrev_b32_e32 v23, 3, v19
	v_sub_u32_e32 v11, 29, v24
	v_and_b32_e32 v10, 7, v10
	v_cmp_gt_u32_e32 vcc, 8, v19
	v_mov_b32_e32 v19, 24
	v_cndmask_b32_e32 v11, v23, v11, vcc
	v_cndmask_b32_e32 v10, v21, v10, vcc
	v_lshlrev_b32_sdwa v19, v19, v12 dst_sel:DWORD dst_unused:UNUSED_PAD src0_sel:DWORD src1_sel:WORD_1
	v_bfrev_b32_e32 v21, 60
	v_lshlrev_b32_e32 v10, 20, v10
	v_and_b32_e32 v19, 0x80000000, v19
	v_lshl_add_u32 v11, v11, 23, v21
	v_or3_b32 v11, v19, v11, v10
.LBB596_559:
	s_or_b64 exec, exec, s[10:11]
.LBB596_560:
	s_or_b64 exec, exec, s[8:9]
.LBB596_561:
	s_or_b64 exec, exec, s[2:3]
	s_mov_b32 s2, 0xffffff
	v_cmp_lt_u32_e32 vcc, s2, v12
	v_mov_b32_e32 v21, 0
	v_mov_b32_e32 v23, 0
	s_and_saveexec_b64 s[2:3], vcc
	s_cbranch_execz .LBB596_567
; %bb.562:
	v_lshrrev_b32_e32 v10, 24, v12
	s_movk_i32 s7, 0x80
	v_cmp_ne_u32_e32 vcc, s7, v10
	v_bfrev_b32_e32 v23, 1
	s_and_saveexec_b64 s[8:9], vcc
	s_cbranch_execz .LBB596_566
; %bb.563:
	v_bfe_u32 v12, v12, 24, 7
	s_movk_i32 s7, 0x7f
	v_cmp_ne_u32_e32 vcc, s7, v12
	v_mov_b32_e32 v23, 0x7f800001
	s_and_saveexec_b64 s[10:11], vcc
	s_cbranch_execz .LBB596_565
; %bb.564:
	v_and_b32_e32 v19, 7, v10
	v_ffbh_u32_e32 v24, v19
	v_min_u32_e32 v26, 32, v24
	v_subrev_u32_e32 v24, 28, v26
	v_lshlrev_b64 v[24:25], v24, v[10:11]
	v_lshrrev_b32_e32 v23, 3, v12
	v_sub_u32_e32 v25, 29, v26
	v_and_b32_e32 v24, 7, v24
	v_cmp_gt_u32_e32 vcc, 8, v12
	v_cndmask_b32_e32 v12, v23, v25, vcc
	v_cndmask_b32_e32 v19, v19, v24, vcc
	v_lshlrev_b32_e32 v10, 24, v10
	v_bfrev_b32_e32 v23, 60
	v_lshlrev_b32_e32 v19, 20, v19
	v_and_b32_e32 v10, 0x80000000, v10
	v_lshl_add_u32 v12, v12, 23, v23
	v_or3_b32 v23, v10, v12, v19
.LBB596_565:
	s_or_b64 exec, exec, s[10:11]
.LBB596_566:
	s_or_b64 exec, exec, s[8:9]
.LBB596_567:
	s_or_b64 exec, exec, s[2:3]
	v_cmp_ne_u16_sdwa s[8:9], v13, v21 src0_sel:BYTE_0 src1_sel:DWORD
	s_and_saveexec_b64 s[2:3], s[8:9]
	s_cbranch_execz .LBB596_573
; %bb.568:
	s_movk_i32 s7, 0x80
	v_cmp_ne_u16_sdwa s[10:11], v13, s7 src0_sel:BYTE_0 src1_sel:DWORD
	v_bfrev_b32_e32 v21, 1
	s_and_saveexec_b64 s[8:9], s[10:11]
	s_cbranch_execz .LBB596_572
; %bb.569:
	s_movk_i32 s7, 0x7f
	v_and_b32_e32 v10, 0x7f, v13
	v_cmp_ne_u32_e32 vcc, s7, v10
	v_mov_b32_e32 v21, 0x7f800001
	s_and_saveexec_b64 s[10:11], vcc
	s_cbranch_execz .LBB596_571
; %bb.570:
	v_and_b32_e32 v19, 7, v13
	v_ffbh_u32_e32 v24, v19
	v_min_u32_e32 v26, 32, v24
	v_mov_b32_e32 v12, v13
	v_subrev_u32_e32 v24, 28, v26
	v_lshlrev_b64 v[24:25], v24, v[12:13]
	v_lshrrev_b32_e32 v21, 3, v10
	v_sub_u32_e32 v12, 29, v26
	v_and_b32_e32 v24, 7, v24
	v_cmp_gt_u32_e32 vcc, 8, v10
	v_cndmask_b32_e32 v10, v21, v12, vcc
	v_cndmask_b32_e32 v12, v19, v24, vcc
	v_lshlrev_b32_e32 v19, 24, v13
	v_bfrev_b32_e32 v21, 60
	v_lshlrev_b32_e32 v12, 20, v12
	v_and_b32_e32 v19, 0x80000000, v19
	v_lshl_add_u32 v10, v10, 23, v21
	v_or3_b32 v21, v19, v10, v12
.LBB596_571:
	s_or_b64 exec, exec, s[10:11]
.LBB596_572:
	s_or_b64 exec, exec, s[8:9]
.LBB596_573:
	s_or_b64 exec, exec, s[2:3]
	v_lshrrev_b16_e32 v10, 8, v13
	v_cmp_ne_u16_e32 vcc, 0, v10
	v_mov_b32_e32 v12, 0
	v_mov_b32_e32 v24, 0
	s_and_saveexec_b64 s[2:3], vcc
	s_cbranch_execz .LBB596_579
; %bb.574:
	s_movk_i32 s7, 0x80
	v_cmp_ne_u16_e32 vcc, s7, v10
	v_bfrev_b32_e32 v24, 1
	s_and_saveexec_b64 s[8:9], vcc
	s_cbranch_execz .LBB596_578
; %bb.575:
	s_movk_i32 s7, 0x7f
	v_and_b32_e32 v19, 0x7f, v10
	v_cmp_ne_u32_e32 vcc, s7, v19
	v_mov_b32_e32 v24, 0x7f800001
	s_and_saveexec_b64 s[10:11], vcc
	s_cbranch_execz .LBB596_577
; %bb.576:
	v_and_b32_e32 v26, 7, v10
	v_ffbh_u32_e32 v24, v26
	v_min_u32_e32 v29, 32, v24
	v_subrev_u32_e32 v24, 28, v29
	v_lshlrev_b64 v[24:25], v24, v[10:11]
	v_lshrrev_b32_e32 v27, 3, v19
	v_sub_u32_e32 v10, 29, v29
	v_and_b32_e32 v24, 7, v24
	v_cmp_gt_u32_e32 vcc, 8, v19
	v_cndmask_b32_e32 v10, v27, v10, vcc
	v_cndmask_b32_e32 v19, v26, v24, vcc
	v_lshlrev_b32_e32 v24, 16, v13
	v_bfrev_b32_e32 v25, 60
	v_lshlrev_b32_e32 v19, 20, v19
	v_and_b32_e32 v24, 0x80000000, v24
	v_lshl_add_u32 v10, v10, 23, v25
	v_or3_b32 v24, v24, v10, v19
.LBB596_577:
	s_or_b64 exec, exec, s[10:11]
.LBB596_578:
	s_or_b64 exec, exec, s[8:9]
.LBB596_579:
	s_or_b64 exec, exec, s[2:3]
	s_movk_i32 s2, 0xff
	v_and_b32_sdwa v19, v13, s2 dst_sel:DWORD dst_unused:UNUSED_PAD src0_sel:WORD_1 src1_sel:DWORD
	v_lshrrev_b32_e32 v10, 16, v13
	v_cmp_ne_u16_e32 vcc, 0, v19
	s_and_saveexec_b64 s[2:3], vcc
	s_cbranch_execz .LBB596_585
; %bb.580:
	s_movk_i32 s7, 0x80
	v_cmp_ne_u16_e32 vcc, s7, v19
	v_bfrev_b32_e32 v12, 1
	s_and_saveexec_b64 s[8:9], vcc
	s_cbranch_execz .LBB596_584
; %bb.581:
	v_bfe_u32 v19, v13, 16, 7
	s_movk_i32 s7, 0x7f
	v_cmp_ne_u32_e32 vcc, s7, v19
	v_mov_b32_e32 v12, 0x7f800001
	s_and_saveexec_b64 s[10:11], vcc
	s_cbranch_execz .LBB596_583
; %bb.582:
	v_and_b32_e32 v12, 7, v10
	v_ffbh_u32_e32 v26, v12
	v_min_u32_e32 v29, 32, v26
	v_subrev_u32_e32 v26, 28, v29
	v_lshlrev_b64 v[26:27], v26, v[10:11]
	v_lshrrev_b32_e32 v25, 3, v19
	v_sub_u32_e32 v10, 29, v29
	v_and_b32_e32 v26, 7, v26
	v_cmp_gt_u32_e32 vcc, 8, v19
	v_mov_b32_e32 v19, 24
	v_cndmask_b32_e32 v10, v25, v10, vcc
	v_cndmask_b32_e32 v12, v12, v26, vcc
	v_lshlrev_b32_sdwa v19, v19, v13 dst_sel:DWORD dst_unused:UNUSED_PAD src0_sel:DWORD src1_sel:WORD_1
	v_bfrev_b32_e32 v25, 60
	v_lshlrev_b32_e32 v12, 20, v12
	v_and_b32_e32 v19, 0x80000000, v19
	v_lshl_add_u32 v10, v10, 23, v25
	v_or3_b32 v12, v19, v10, v12
.LBB596_583:
	s_or_b64 exec, exec, s[10:11]
.LBB596_584:
	s_or_b64 exec, exec, s[8:9]
.LBB596_585:
	s_or_b64 exec, exec, s[2:3]
	s_mov_b32 s2, 0xffffff
	v_cmp_lt_u32_e32 vcc, s2, v13
	v_mov_b32_e32 v19, 0
	v_mov_b32_e32 v25, 0
	s_and_saveexec_b64 s[2:3], vcc
	s_cbranch_execz .LBB596_591
; %bb.586:
	v_lshrrev_b32_e32 v10, 24, v13
	s_movk_i32 s7, 0x80
	v_cmp_ne_u32_e32 vcc, s7, v10
	v_bfrev_b32_e32 v25, 1
	s_and_saveexec_b64 s[8:9], vcc
	s_cbranch_execz .LBB596_590
; %bb.587:
	v_bfe_u32 v13, v13, 24, 7
	s_movk_i32 s7, 0x7f
	v_cmp_ne_u32_e32 vcc, s7, v13
	v_mov_b32_e32 v25, 0x7f800001
	s_and_saveexec_b64 s[10:11], vcc
	s_cbranch_execz .LBB596_589
; %bb.588:
	v_and_b32_e32 v25, 7, v10
	v_ffbh_u32_e32 v26, v25
	v_min_u32_e32 v30, 32, v26
	v_subrev_u32_e32 v26, 28, v30
	v_lshlrev_b64 v[26:27], v26, v[10:11]
	v_lshrrev_b32_e32 v29, 3, v13
	v_sub_u32_e32 v27, 29, v30
	v_and_b32_e32 v26, 7, v26
	v_cmp_gt_u32_e32 vcc, 8, v13
	v_cndmask_b32_e32 v13, v29, v27, vcc
	v_cndmask_b32_e32 v25, v25, v26, vcc
	v_lshlrev_b32_e32 v10, 24, v10
	v_bfrev_b32_e32 v26, 60
	v_lshlrev_b32_e32 v25, 20, v25
	v_and_b32_e32 v10, 0x80000000, v10
	v_lshl_add_u32 v13, v13, 23, v26
	v_or3_b32 v25, v10, v13, v25
.LBB596_589:
	s_or_b64 exec, exec, s[10:11]
.LBB596_590:
	s_or_b64 exec, exec, s[8:9]
.LBB596_591:
	s_or_b64 exec, exec, s[2:3]
	v_cvt_pkrtz_f16_f32 v10, v18, v20
	v_cvt_pkrtz_f16_f32 v11, v11, v23
	ds_read_b128 v[30:33], v22 offset:2064
	s_waitcnt vmcnt(1)
	v_cmp_ne_u16_sdwa s[8:9], v6, v19 src0_sel:BYTE_0 src1_sel:DWORD
	s_waitcnt lgkmcnt(0)
	v_mfma_f32_16x16x16f16 v[14:17], v[10:11], v[30:31], v[14:17]
	v_cvt_pkrtz_f16_f32 v10, v21, v24
	v_cvt_pkrtz_f16_f32 v11, v12, v25
	s_nop 1
	v_mfma_f32_16x16x16f16 v[10:13], v[10:11], v[32:33], v[14:17]
	s_and_saveexec_b64 s[2:3], s[8:9]
	s_cbranch_execz .LBB596_597
; %bb.592:
	s_movk_i32 s7, 0x80
	v_cmp_ne_u16_sdwa s[10:11], v6, s7 src0_sel:BYTE_0 src1_sel:DWORD
	v_bfrev_b32_e32 v19, 1
	s_and_saveexec_b64 s[8:9], s[10:11]
	s_cbranch_execz .LBB596_596
; %bb.593:
	s_movk_i32 s7, 0x7f
	v_and_b32_e32 v14, 0x7f, v6
	v_cmp_ne_u32_e32 vcc, s7, v14
	v_mov_b32_e32 v19, 0x7f800001
	s_and_saveexec_b64 s[10:11], vcc
	s_cbranch_execz .LBB596_595
; %bb.594:
	v_and_b32_e32 v15, 7, v6
	v_ffbh_u32_e32 v16, v15
	v_min_u32_e32 v19, 32, v16
	v_subrev_u32_e32 v16, 28, v19
	v_lshlrev_b64 v[16:17], v16, v[6:7]
	v_lshrrev_b32_e32 v18, 3, v14
	v_sub_u32_e32 v17, 29, v19
	v_and_b32_e32 v16, 7, v16
	v_cmp_gt_u32_e32 vcc, 8, v14
	v_cndmask_b32_e32 v14, v18, v17, vcc
	v_cndmask_b32_e32 v15, v15, v16, vcc
	v_lshlrev_b32_e32 v16, 24, v6
	v_bfrev_b32_e32 v17, 60
	v_lshlrev_b32_e32 v15, 20, v15
	v_and_b32_e32 v16, 0x80000000, v16
	v_lshl_add_u32 v14, v14, 23, v17
	v_or3_b32 v19, v16, v14, v15
.LBB596_595:
	s_or_b64 exec, exec, s[10:11]
.LBB596_596:
	s_or_b64 exec, exec, s[8:9]
.LBB596_597:
	s_or_b64 exec, exec, s[2:3]
	s_nop 3
	v_lshrrev_b16_e32 v14, 8, v6
	v_cmp_ne_u16_e32 vcc, 0, v14
	v_mov_b32_e32 v15, 0
	v_mov_b32_e32 v16, 0
	s_and_saveexec_b64 s[2:3], vcc
	s_cbranch_execz .LBB596_603
; %bb.598:
	s_movk_i32 s7, 0x80
	v_cmp_ne_u16_e32 vcc, s7, v14
	v_bfrev_b32_e32 v16, 1
	s_and_saveexec_b64 s[8:9], vcc
	s_cbranch_execz .LBB596_602
; %bb.599:
	s_movk_i32 s7, 0x7f
	v_and_b32_e32 v17, 0x7f, v14
	v_cmp_ne_u32_e32 vcc, s7, v17
	v_mov_b32_e32 v16, 0x7f800001
	s_and_saveexec_b64 s[10:11], vcc
	s_cbranch_execz .LBB596_601
; %bb.600:
	v_and_b32_e32 v16, 7, v14
	v_ffbh_u32_e32 v20, v16
	v_min_u32_e32 v23, 32, v20
	v_subrev_u32_e32 v20, 28, v23
	v_lshlrev_b64 v[20:21], v20, v[14:15]
	v_lshrrev_b32_e32 v18, 3, v17
	v_sub_u32_e32 v14, 29, v23
	v_and_b32_e32 v20, 7, v20
	v_cmp_gt_u32_e32 vcc, 8, v17
	v_cndmask_b32_e32 v14, v18, v14, vcc
	v_cndmask_b32_e32 v16, v16, v20, vcc
	v_lshlrev_b32_e32 v17, 16, v6
	v_bfrev_b32_e32 v18, 60
	v_lshlrev_b32_e32 v16, 20, v16
	v_and_b32_e32 v17, 0x80000000, v17
	v_lshl_add_u32 v14, v14, 23, v18
	v_or3_b32 v16, v17, v14, v16
.LBB596_601:
	s_or_b64 exec, exec, s[10:11]
.LBB596_602:
	s_or_b64 exec, exec, s[8:9]
.LBB596_603:
	s_or_b64 exec, exec, s[2:3]
	s_movk_i32 s2, 0xff
	v_and_b32_sdwa v17, v6, s2 dst_sel:DWORD dst_unused:UNUSED_PAD src0_sel:WORD_1 src1_sel:DWORD
	v_lshrrev_b32_e32 v14, 16, v6
	v_cmp_ne_u16_e32 vcc, 0, v17
	s_and_saveexec_b64 s[2:3], vcc
	s_cbranch_execz .LBB596_609
; %bb.604:
	s_movk_i32 s7, 0x80
	v_cmp_ne_u16_e32 vcc, s7, v17
	v_bfrev_b32_e32 v15, 1
	s_and_saveexec_b64 s[8:9], vcc
	s_cbranch_execz .LBB596_608
; %bb.605:
	v_bfe_u32 v17, v6, 16, 7
	s_movk_i32 s7, 0x7f
	v_cmp_ne_u32_e32 vcc, s7, v17
	v_mov_b32_e32 v15, 0x7f800001
	s_and_saveexec_b64 s[10:11], vcc
	s_cbranch_execz .LBB596_607
; %bb.606:
	v_and_b32_e32 v18, 7, v14
	v_ffbh_u32_e32 v15, v18
	v_min_u32_e32 v21, 32, v15
	v_subrev_u32_e32 v15, 28, v21
	v_lshlrev_b64 v[14:15], v15, v[14:15]
	v_lshrrev_b32_e32 v20, 3, v17
	v_sub_u32_e32 v15, 29, v21
	v_and_b32_e32 v14, 7, v14
	v_cmp_gt_u32_e32 vcc, 8, v17
	v_mov_b32_e32 v17, 24
	v_cndmask_b32_e32 v15, v20, v15, vcc
	v_cndmask_b32_e32 v14, v18, v14, vcc
	v_lshlrev_b32_sdwa v17, v17, v6 dst_sel:DWORD dst_unused:UNUSED_PAD src0_sel:DWORD src1_sel:WORD_1
	v_bfrev_b32_e32 v18, 60
	v_lshlrev_b32_e32 v14, 20, v14
	v_and_b32_e32 v17, 0x80000000, v17
	v_lshl_add_u32 v15, v15, 23, v18
	v_or3_b32 v15, v17, v15, v14
.LBB596_607:
	s_or_b64 exec, exec, s[10:11]
.LBB596_608:
	s_or_b64 exec, exec, s[8:9]
.LBB596_609:
	s_or_b64 exec, exec, s[2:3]
	s_mov_b32 s2, 0xffffff
	v_cmp_lt_u32_e32 vcc, s2, v6
	v_mov_b32_e32 v17, 0
	v_mov_b32_e32 v18, 0
	s_and_saveexec_b64 s[2:3], vcc
	s_cbranch_execz .LBB596_615
; %bb.610:
	v_lshrrev_b32_e32 v14, 24, v6
	s_movk_i32 s7, 0x80
	v_cmp_ne_u32_e32 vcc, s7, v14
	v_bfrev_b32_e32 v18, 1
	s_and_saveexec_b64 s[8:9], vcc
	s_cbranch_execz .LBB596_614
; %bb.611:
	v_bfe_u32 v6, v6, 24, 7
	s_movk_i32 s7, 0x7f
	v_cmp_ne_u32_e32 vcc, s7, v6
	v_mov_b32_e32 v18, 0x7f800001
	s_and_saveexec_b64 s[10:11], vcc
	s_cbranch_execz .LBB596_613
; %bb.612:
	v_and_b32_e32 v18, 7, v14
	v_ffbh_u32_e32 v20, v18
	v_min_u32_e32 v24, 32, v20
	v_subrev_u32_e32 v20, 28, v24
	v_lshlrev_b64 v[20:21], v20, v[14:15]
	v_lshrrev_b32_e32 v23, 3, v6
	v_sub_u32_e32 v21, 29, v24
	v_and_b32_e32 v20, 7, v20
	v_cmp_gt_u32_e32 vcc, 8, v6
	v_cndmask_b32_e32 v6, v23, v21, vcc
	v_cndmask_b32_e32 v18, v18, v20, vcc
	v_lshlrev_b32_e32 v14, 24, v14
	v_bfrev_b32_e32 v20, 60
	v_lshlrev_b32_e32 v18, 20, v18
	v_and_b32_e32 v14, 0x80000000, v14
	v_lshl_add_u32 v6, v6, 23, v20
	v_or3_b32 v18, v14, v6, v18
.LBB596_613:
	s_or_b64 exec, exec, s[10:11]
.LBB596_614:
	s_or_b64 exec, exec, s[8:9]
.LBB596_615:
	s_or_b64 exec, exec, s[2:3]
	v_cmp_ne_u16_sdwa s[8:9], v7, v17 src0_sel:BYTE_0 src1_sel:DWORD
	s_and_saveexec_b64 s[2:3], s[8:9]
	s_cbranch_execz .LBB596_621
; %bb.616:
	s_movk_i32 s7, 0x80
	v_cmp_ne_u16_sdwa s[10:11], v7, s7 src0_sel:BYTE_0 src1_sel:DWORD
	v_bfrev_b32_e32 v17, 1
	s_and_saveexec_b64 s[8:9], s[10:11]
	s_cbranch_execz .LBB596_620
; %bb.617:
	s_movk_i32 s7, 0x7f
	v_and_b32_e32 v6, 0x7f, v7
	v_cmp_ne_u32_e32 vcc, s7, v6
	v_mov_b32_e32 v17, 0x7f800001
	s_and_saveexec_b64 s[10:11], vcc
	s_cbranch_execz .LBB596_619
; %bb.618:
	v_and_b32_e32 v17, 7, v7
	v_ffbh_u32_e32 v20, v17
	v_min_u32_e32 v24, 32, v20
	v_mov_b32_e32 v14, v7
	v_subrev_u32_e32 v20, 28, v24
	v_lshlrev_b64 v[20:21], v20, v[14:15]
	v_lshrrev_b32_e32 v23, 3, v6
	v_sub_u32_e32 v14, 29, v24
	v_and_b32_e32 v20, 7, v20
	v_cmp_gt_u32_e32 vcc, 8, v6
	v_cndmask_b32_e32 v6, v23, v14, vcc
	v_cndmask_b32_e32 v14, v17, v20, vcc
	v_lshlrev_b32_e32 v17, 24, v7
	v_bfrev_b32_e32 v20, 60
	v_lshlrev_b32_e32 v14, 20, v14
	v_and_b32_e32 v17, 0x80000000, v17
	v_lshl_add_u32 v6, v6, 23, v20
	v_or3_b32 v17, v17, v6, v14
.LBB596_619:
	s_or_b64 exec, exec, s[10:11]
.LBB596_620:
	s_or_b64 exec, exec, s[8:9]
.LBB596_621:
	s_or_b64 exec, exec, s[2:3]
	v_lshrrev_b16_e32 v6, 8, v7
	v_cmp_ne_u16_e32 vcc, 0, v6
	v_mov_b32_e32 v20, 0
	v_mov_b32_e32 v21, 0
	s_and_saveexec_b64 s[2:3], vcc
	s_cbranch_execz .LBB596_627
; %bb.622:
	s_movk_i32 s7, 0x80
	v_cmp_ne_u16_e32 vcc, s7, v6
	v_bfrev_b32_e32 v21, 1
	s_and_saveexec_b64 s[8:9], vcc
	s_cbranch_execz .LBB596_626
; %bb.623:
	s_movk_i32 s7, 0x7f
	v_and_b32_e32 v14, 0x7f, v6
	v_cmp_ne_u32_e32 vcc, s7, v14
	v_mov_b32_e32 v21, 0x7f800001
	s_and_saveexec_b64 s[10:11], vcc
	s_cbranch_execz .LBB596_625
; %bb.624:
	v_and_b32_e32 v21, 7, v6
	v_ffbh_u32_e32 v24, v21
	v_min_u32_e32 v26, 32, v24
	v_subrev_u32_e32 v24, 28, v26
	v_lshlrev_b64 v[24:25], v24, v[6:7]
	v_lshrrev_b32_e32 v23, 3, v14
	v_sub_u32_e32 v6, 29, v26
	v_and_b32_e32 v24, 7, v24
	v_cmp_gt_u32_e32 vcc, 8, v14
	v_cndmask_b32_e32 v6, v23, v6, vcc
	v_cndmask_b32_e32 v14, v21, v24, vcc
	v_lshlrev_b32_e32 v21, 16, v7
	v_bfrev_b32_e32 v23, 60
	v_lshlrev_b32_e32 v14, 20, v14
	v_and_b32_e32 v21, 0x80000000, v21
	v_lshl_add_u32 v6, v6, 23, v23
	v_or3_b32 v21, v21, v6, v14
.LBB596_625:
	s_or_b64 exec, exec, s[10:11]
.LBB596_626:
	s_or_b64 exec, exec, s[8:9]
.LBB596_627:
	s_or_b64 exec, exec, s[2:3]
	s_movk_i32 s2, 0xff
	v_and_b32_sdwa v14, v7, s2 dst_sel:DWORD dst_unused:UNUSED_PAD src0_sel:WORD_1 src1_sel:DWORD
	v_lshrrev_b32_e32 v6, 16, v7
	v_cmp_ne_u16_e32 vcc, 0, v14
	s_and_saveexec_b64 s[2:3], vcc
	s_cbranch_execz .LBB596_633
; %bb.628:
	s_movk_i32 s7, 0x80
	v_cmp_ne_u16_e32 vcc, s7, v14
	v_bfrev_b32_e32 v20, 1
	s_and_saveexec_b64 s[8:9], vcc
	s_cbranch_execz .LBB596_632
; %bb.629:
	v_bfe_u32 v14, v7, 16, 7
	s_movk_i32 s7, 0x7f
	v_cmp_ne_u32_e32 vcc, s7, v14
	v_mov_b32_e32 v20, 0x7f800001
	s_and_saveexec_b64 s[10:11], vcc
	s_cbranch_execz .LBB596_631
; %bb.630:
	v_and_b32_e32 v20, 7, v6
	v_ffbh_u32_e32 v24, v20
	v_min_u32_e32 v26, 32, v24
	v_subrev_u32_e32 v24, 28, v26
	v_lshlrev_b64 v[24:25], v24, v[6:7]
	v_and_b32_e32 v24, 7, v24
	v_cmp_gt_u32_e32 vcc, 8, v14
	v_lshrrev_b32_e32 v23, 3, v14
	v_sub_u32_e32 v6, 29, v26
	v_cndmask_b32_e32 v14, v20, v24, vcc
	v_mov_b32_e32 v20, 24
	v_cndmask_b32_e32 v6, v23, v6, vcc
	v_lshlrev_b32_sdwa v20, v20, v7 dst_sel:DWORD dst_unused:UNUSED_PAD src0_sel:DWORD src1_sel:WORD_1
	v_bfrev_b32_e32 v23, 60
	v_lshlrev_b32_e32 v14, 20, v14
	v_and_b32_e32 v20, 0x80000000, v20
	v_lshl_add_u32 v6, v6, 23, v23
	v_or3_b32 v20, v20, v6, v14
.LBB596_631:
	s_or_b64 exec, exec, s[10:11]
.LBB596_632:
	s_or_b64 exec, exec, s[8:9]
.LBB596_633:
	s_or_b64 exec, exec, s[2:3]
	s_mov_b32 s2, 0xffffff
	v_cmp_lt_u32_e32 vcc, s2, v7
	v_mov_b32_e32 v14, 0
	v_mov_b32_e32 v23, 0
	s_and_saveexec_b64 s[2:3], vcc
	s_cbranch_execz .LBB596_639
; %bb.634:
	v_lshrrev_b32_e32 v6, 24, v7
	s_movk_i32 s7, 0x80
	v_cmp_ne_u32_e32 vcc, s7, v6
	v_bfrev_b32_e32 v23, 1
	s_and_saveexec_b64 s[8:9], vcc
	s_cbranch_execz .LBB596_638
; %bb.635:
	v_bfe_u32 v7, v7, 24, 7
	s_movk_i32 s7, 0x7f
	v_cmp_ne_u32_e32 vcc, s7, v7
	v_mov_b32_e32 v23, 0x7f800001
	s_and_saveexec_b64 s[10:11], vcc
	s_cbranch_execz .LBB596_637
; %bb.636:
	v_and_b32_e32 v23, 7, v6
	v_ffbh_u32_e32 v24, v23
	v_min_u32_e32 v27, 32, v24
	v_subrev_u32_e32 v24, 28, v27
	v_lshlrev_b64 v[24:25], v24, v[6:7]
	v_lshrrev_b32_e32 v26, 3, v7
	v_sub_u32_e32 v25, 29, v27
	v_and_b32_e32 v24, 7, v24
	v_cmp_gt_u32_e32 vcc, 8, v7
	v_cndmask_b32_e32 v7, v26, v25, vcc
	v_cndmask_b32_e32 v23, v23, v24, vcc
	v_lshlrev_b32_e32 v6, 24, v6
	v_bfrev_b32_e32 v24, 60
	v_lshlrev_b32_e32 v23, 20, v23
	v_and_b32_e32 v6, 0x80000000, v6
	v_lshl_add_u32 v7, v7, 23, v24
	v_or3_b32 v23, v6, v7, v23
.LBB596_637:
	s_or_b64 exec, exec, s[10:11]
.LBB596_638:
	s_or_b64 exec, exec, s[8:9]
.LBB596_639:
	s_or_b64 exec, exec, s[2:3]
	v_cvt_pkrtz_f16_f32 v6, v19, v16
	v_cvt_pkrtz_f16_f32 v7, v15, v18
	ds_read_b128 v[24:27], v22 offset:4096
	v_cmp_ne_u16_sdwa s[8:9], v8, v14 src0_sel:BYTE_0 src1_sel:DWORD
	s_waitcnt lgkmcnt(0)
	v_mfma_f32_16x16x16f16 v[10:13], v[6:7], v[24:25], v[10:13]
	v_cvt_pkrtz_f16_f32 v6, v17, v21
	v_cvt_pkrtz_f16_f32 v7, v20, v23
	s_nop 1
	v_mfma_f32_16x16x16f16 v[10:13], v[6:7], v[26:27], v[10:13]
	s_and_saveexec_b64 s[2:3], s[8:9]
	s_cbranch_execz .LBB596_645
; %bb.640:
	s_movk_i32 s7, 0x80
	v_cmp_ne_u16_sdwa s[10:11], v8, s7 src0_sel:BYTE_0 src1_sel:DWORD
	v_bfrev_b32_e32 v14, 1
	s_and_saveexec_b64 s[8:9], s[10:11]
	s_cbranch_execz .LBB596_644
; %bb.641:
	s_movk_i32 s7, 0x7f
	v_and_b32_e32 v6, 0x7f, v8
	v_cmp_ne_u32_e32 vcc, s7, v6
	v_mov_b32_e32 v14, 0x7f800001
	s_and_saveexec_b64 s[10:11], vcc
	s_cbranch_execz .LBB596_643
; %bb.642:
	v_and_b32_e32 v7, 7, v8
	v_ffbh_u32_e32 v14, v7
	v_min_u32_e32 v17, 32, v14
	v_subrev_u32_e32 v14, 28, v17
	v_lshlrev_b64 v[14:15], v14, v[8:9]
	v_lshrrev_b32_e32 v16, 3, v6
	v_sub_u32_e32 v15, 29, v17
	v_and_b32_e32 v14, 7, v14
	v_cmp_gt_u32_e32 vcc, 8, v6
	v_cndmask_b32_e32 v6, v16, v15, vcc
	v_cndmask_b32_e32 v7, v7, v14, vcc
	v_lshlrev_b32_e32 v14, 24, v8
	v_bfrev_b32_e32 v15, 60
	v_lshlrev_b32_e32 v7, 20, v7
	v_and_b32_e32 v14, 0x80000000, v14
	v_lshl_add_u32 v6, v6, 23, v15
	v_or3_b32 v14, v14, v6, v7
.LBB596_643:
	s_or_b64 exec, exec, s[10:11]
.LBB596_644:
	s_or_b64 exec, exec, s[8:9]
.LBB596_645:
	s_or_b64 exec, exec, s[2:3]
	v_lshrrev_b16_e32 v6, 8, v8
	v_cmp_ne_u16_e32 vcc, 0, v6
	v_mov_b32_e32 v7, 0
	v_mov_b32_e32 v16, 0
	s_and_saveexec_b64 s[2:3], vcc
	s_cbranch_execz .LBB596_651
; %bb.646:
	s_movk_i32 s7, 0x80
	v_cmp_ne_u16_e32 vcc, s7, v6
	v_bfrev_b32_e32 v16, 1
	s_and_saveexec_b64 s[8:9], vcc
	s_cbranch_execz .LBB596_650
; %bb.647:
	s_movk_i32 s7, 0x7f
	v_and_b32_e32 v15, 0x7f, v6
	v_cmp_ne_u32_e32 vcc, s7, v15
	v_mov_b32_e32 v16, 0x7f800001
	s_and_saveexec_b64 s[10:11], vcc
	s_cbranch_execz .LBB596_649
; %bb.648:
	v_and_b32_e32 v18, 7, v6
	v_ffbh_u32_e32 v16, v18
	v_min_u32_e32 v20, 32, v16
	v_subrev_u32_e32 v16, 28, v20
	v_lshlrev_b64 v[16:17], v16, v[6:7]
	v_lshrrev_b32_e32 v19, 3, v15
	v_sub_u32_e32 v6, 29, v20
	v_and_b32_e32 v16, 7, v16
	v_cmp_gt_u32_e32 vcc, 8, v15
	v_cndmask_b32_e32 v6, v19, v6, vcc
	v_cndmask_b32_e32 v15, v18, v16, vcc
	v_lshlrev_b32_e32 v16, 16, v8
	v_bfrev_b32_e32 v17, 60
	v_lshlrev_b32_e32 v15, 20, v15
	v_and_b32_e32 v16, 0x80000000, v16
	v_lshl_add_u32 v6, v6, 23, v17
	v_or3_b32 v16, v16, v6, v15
.LBB596_649:
	s_or_b64 exec, exec, s[10:11]
.LBB596_650:
	s_or_b64 exec, exec, s[8:9]
.LBB596_651:
	s_or_b64 exec, exec, s[2:3]
	s_movk_i32 s2, 0xff
	v_and_b32_sdwa v15, v8, s2 dst_sel:DWORD dst_unused:UNUSED_PAD src0_sel:WORD_1 src1_sel:DWORD
	v_lshrrev_b32_e32 v6, 16, v8
	v_cmp_ne_u16_e32 vcc, 0, v15
	s_and_saveexec_b64 s[2:3], vcc
	s_cbranch_execz .LBB596_657
; %bb.652:
	s_movk_i32 s7, 0x80
	v_cmp_ne_u16_e32 vcc, s7, v15
	v_bfrev_b32_e32 v7, 1
	s_and_saveexec_b64 s[8:9], vcc
	s_cbranch_execz .LBB596_656
; %bb.653:
	v_bfe_u32 v15, v8, 16, 7
	s_movk_i32 s7, 0x7f
	v_cmp_ne_u32_e32 vcc, s7, v15
	v_mov_b32_e32 v7, 0x7f800001
	s_and_saveexec_b64 s[10:11], vcc
	s_cbranch_execz .LBB596_655
; %bb.654:
	v_and_b32_e32 v17, 7, v6
	v_ffbh_u32_e32 v7, v17
	v_min_u32_e32 v19, 32, v7
	v_subrev_u32_e32 v7, 28, v19
	v_lshlrev_b64 v[6:7], v7, v[6:7]
	v_lshrrev_b32_e32 v18, 3, v15
	v_sub_u32_e32 v7, 29, v19
	v_and_b32_e32 v6, 7, v6
	v_cmp_gt_u32_e32 vcc, 8, v15
	v_mov_b32_e32 v15, 24
	v_cndmask_b32_e32 v7, v18, v7, vcc
	v_cndmask_b32_e32 v6, v17, v6, vcc
	v_lshlrev_b32_sdwa v15, v15, v8 dst_sel:DWORD dst_unused:UNUSED_PAD src0_sel:DWORD src1_sel:WORD_1
	v_bfrev_b32_e32 v17, 60
	v_lshlrev_b32_e32 v6, 20, v6
	v_and_b32_e32 v15, 0x80000000, v15
	v_lshl_add_u32 v7, v7, 23, v17
	v_or3_b32 v7, v15, v7, v6
.LBB596_655:
	s_or_b64 exec, exec, s[10:11]
.LBB596_656:
	s_or_b64 exec, exec, s[8:9]
.LBB596_657:
	s_or_b64 exec, exec, s[2:3]
	s_mov_b32 s2, 0xffffff
	v_cmp_lt_u32_e32 vcc, s2, v8
	v_mov_b32_e32 v17, 0
	v_mov_b32_e32 v18, 0
	s_and_saveexec_b64 s[2:3], vcc
	s_cbranch_execz .LBB596_663
; %bb.658:
	v_lshrrev_b32_e32 v6, 24, v8
	s_movk_i32 s7, 0x80
	v_cmp_ne_u32_e32 vcc, s7, v6
	v_bfrev_b32_e32 v18, 1
	s_and_saveexec_b64 s[8:9], vcc
	s_cbranch_execz .LBB596_662
; %bb.659:
	v_bfe_u32 v8, v8, 24, 7
	s_movk_i32 s7, 0x7f
	v_cmp_ne_u32_e32 vcc, s7, v8
	v_mov_b32_e32 v18, 0x7f800001
	s_and_saveexec_b64 s[10:11], vcc
	s_cbranch_execz .LBB596_661
; %bb.660:
	v_and_b32_e32 v15, 7, v6
	v_ffbh_u32_e32 v18, v15
	v_min_u32_e32 v21, 32, v18
	v_subrev_u32_e32 v18, 28, v21
	v_lshlrev_b64 v[18:19], v18, v[6:7]
	v_lshrrev_b32_e32 v20, 3, v8
	v_sub_u32_e32 v19, 29, v21
	v_and_b32_e32 v18, 7, v18
	v_cmp_gt_u32_e32 vcc, 8, v8
	v_cndmask_b32_e32 v8, v20, v19, vcc
	v_cndmask_b32_e32 v15, v15, v18, vcc
	v_lshlrev_b32_e32 v6, 24, v6
	v_bfrev_b32_e32 v18, 60
	v_lshlrev_b32_e32 v15, 20, v15
	v_and_b32_e32 v6, 0x80000000, v6
	v_lshl_add_u32 v8, v8, 23, v18
	v_or3_b32 v18, v6, v8, v15
.LBB596_661:
	s_or_b64 exec, exec, s[10:11]
.LBB596_662:
	s_or_b64 exec, exec, s[8:9]
.LBB596_663:
	s_or_b64 exec, exec, s[2:3]
	v_cmp_ne_u16_sdwa s[8:9], v9, v17 src0_sel:BYTE_0 src1_sel:DWORD
	s_and_saveexec_b64 s[2:3], s[8:9]
	s_cbranch_execz .LBB596_669
; %bb.664:
	s_movk_i32 s7, 0x80
	v_cmp_ne_u16_sdwa s[10:11], v9, s7 src0_sel:BYTE_0 src1_sel:DWORD
	v_bfrev_b32_e32 v17, 1
	s_and_saveexec_b64 s[8:9], s[10:11]
	s_cbranch_execz .LBB596_668
; %bb.665:
	s_movk_i32 s7, 0x7f
	v_and_b32_e32 v6, 0x7f, v9
	v_cmp_ne_u32_e32 vcc, s7, v6
	v_mov_b32_e32 v17, 0x7f800001
	s_and_saveexec_b64 s[10:11], vcc
	s_cbranch_execz .LBB596_667
; %bb.666:
	v_and_b32_e32 v15, 7, v9
	v_ffbh_u32_e32 v19, v15
	v_min_u32_e32 v19, 32, v19
	v_mov_b32_e32 v8, v9
	v_subrev_u32_e32 v20, 28, v19
	v_lshlrev_b64 v[20:21], v20, v[8:9]
	v_lshrrev_b32_e32 v17, 3, v6
	v_sub_u32_e32 v8, 29, v19
	v_and_b32_e32 v19, 7, v20
	v_cmp_gt_u32_e32 vcc, 8, v6
	v_cndmask_b32_e32 v6, v17, v8, vcc
	v_cndmask_b32_e32 v8, v15, v19, vcc
	v_lshlrev_b32_e32 v15, 24, v9
	v_bfrev_b32_e32 v17, 60
	v_lshlrev_b32_e32 v8, 20, v8
	v_and_b32_e32 v15, 0x80000000, v15
	v_lshl_add_u32 v6, v6, 23, v17
	v_or3_b32 v17, v15, v6, v8
.LBB596_667:
	s_or_b64 exec, exec, s[10:11]
.LBB596_668:
	s_or_b64 exec, exec, s[8:9]
.LBB596_669:
	s_or_b64 exec, exec, s[2:3]
	v_lshrrev_b16_e32 v6, 8, v9
	v_cmp_ne_u16_e32 vcc, 0, v6
	v_mov_b32_e32 v8, 0
	v_mov_b32_e32 v19, 0
	s_and_saveexec_b64 s[2:3], vcc
	s_cbranch_execz .LBB596_675
; %bb.670:
	s_movk_i32 s7, 0x80
	v_cmp_ne_u16_e32 vcc, s7, v6
	v_bfrev_b32_e32 v19, 1
	s_and_saveexec_b64 s[8:9], vcc
	s_cbranch_execz .LBB596_674
; %bb.671:
	s_movk_i32 s7, 0x7f
	v_and_b32_e32 v15, 0x7f, v6
	v_cmp_ne_u32_e32 vcc, s7, v15
	v_mov_b32_e32 v19, 0x7f800001
	s_and_saveexec_b64 s[10:11], vcc
	s_cbranch_execz .LBB596_673
; %bb.672:
	v_and_b32_e32 v19, 7, v6
	v_ffbh_u32_e32 v20, v19
	v_min_u32_e32 v24, 32, v20
	v_subrev_u32_e32 v20, 28, v24
	v_lshlrev_b64 v[20:21], v20, v[6:7]
	v_lshrrev_b32_e32 v23, 3, v15
	v_sub_u32_e32 v6, 29, v24
	v_and_b32_e32 v20, 7, v20
	v_cmp_gt_u32_e32 vcc, 8, v15
	v_cndmask_b32_e32 v6, v23, v6, vcc
	v_cndmask_b32_e32 v15, v19, v20, vcc
	v_lshlrev_b32_e32 v19, 16, v9
	v_bfrev_b32_e32 v20, 60
	v_lshlrev_b32_e32 v15, 20, v15
	v_and_b32_e32 v19, 0x80000000, v19
	v_lshl_add_u32 v6, v6, 23, v20
	v_or3_b32 v19, v19, v6, v15
.LBB596_673:
	s_or_b64 exec, exec, s[10:11]
.LBB596_674:
	s_or_b64 exec, exec, s[8:9]
.LBB596_675:
	s_or_b64 exec, exec, s[2:3]
	s_movk_i32 s2, 0xff
	v_and_b32_sdwa v15, v9, s2 dst_sel:DWORD dst_unused:UNUSED_PAD src0_sel:WORD_1 src1_sel:DWORD
	v_lshrrev_b32_e32 v6, 16, v9
	v_cmp_ne_u16_e32 vcc, 0, v15
	s_and_saveexec_b64 s[2:3], vcc
	s_cbranch_execz .LBB596_681
; %bb.676:
	s_movk_i32 s7, 0x80
	v_cmp_ne_u16_e32 vcc, s7, v15
	v_bfrev_b32_e32 v8, 1
	s_and_saveexec_b64 s[8:9], vcc
	s_cbranch_execz .LBB596_680
; %bb.677:
	v_bfe_u32 v15, v9, 16, 7
	s_movk_i32 s7, 0x7f
	v_cmp_ne_u32_e32 vcc, s7, v15
	v_mov_b32_e32 v8, 0x7f800001
	s_and_saveexec_b64 s[10:11], vcc
	s_cbranch_execz .LBB596_679
; %bb.678:
	v_and_b32_e32 v8, 7, v6
	v_ffbh_u32_e32 v20, v8
	v_min_u32_e32 v24, 32, v20
	v_subrev_u32_e32 v20, 28, v24
	v_lshlrev_b64 v[20:21], v20, v[6:7]
	v_lshrrev_b32_e32 v23, 3, v15
	v_sub_u32_e32 v6, 29, v24
	v_and_b32_e32 v20, 7, v20
	v_cmp_gt_u32_e32 vcc, 8, v15
	v_mov_b32_e32 v15, 24
	v_cndmask_b32_e32 v6, v23, v6, vcc
	v_cndmask_b32_e32 v8, v8, v20, vcc
	v_lshlrev_b32_sdwa v15, v15, v9 dst_sel:DWORD dst_unused:UNUSED_PAD src0_sel:DWORD src1_sel:WORD_1
	v_bfrev_b32_e32 v20, 60
	v_lshlrev_b32_e32 v8, 20, v8
	v_and_b32_e32 v15, 0x80000000, v15
	v_lshl_add_u32 v6, v6, 23, v20
	v_or3_b32 v8, v15, v6, v8
.LBB596_679:
	s_or_b64 exec, exec, s[10:11]
.LBB596_680:
	s_or_b64 exec, exec, s[8:9]
.LBB596_681:
	s_or_b64 exec, exec, s[2:3]
	s_mov_b32 s2, 0xffffff
	v_cmp_lt_u32_e32 vcc, s2, v9
	v_mov_b32_e32 v15, 0
	v_mov_b32_e32 v20, 0
	s_and_saveexec_b64 s[2:3], vcc
	s_cbranch_execz .LBB596_687
; %bb.682:
	v_lshrrev_b32_e32 v6, 24, v9
	s_movk_i32 s7, 0x80
	v_cmp_ne_u32_e32 vcc, s7, v6
	v_bfrev_b32_e32 v20, 1
	s_and_saveexec_b64 s[8:9], vcc
	s_cbranch_execz .LBB596_686
; %bb.683:
	v_bfe_u32 v9, v9, 24, 7
	s_movk_i32 s7, 0x7f
	v_cmp_ne_u32_e32 vcc, s7, v9
	v_mov_b32_e32 v20, 0x7f800001
	s_and_saveexec_b64 s[10:11], vcc
	s_cbranch_execz .LBB596_685
; %bb.684:
	v_and_b32_e32 v23, 7, v6
	v_ffbh_u32_e32 v20, v23
	v_min_u32_e32 v25, 32, v20
	v_subrev_u32_e32 v20, 28, v25
	v_lshlrev_b64 v[20:21], v20, v[6:7]
	v_lshrrev_b32_e32 v24, 3, v9
	v_sub_u32_e32 v21, 29, v25
	v_and_b32_e32 v20, 7, v20
	v_cmp_gt_u32_e32 vcc, 8, v9
	v_cndmask_b32_e32 v9, v24, v21, vcc
	v_cndmask_b32_e32 v20, v23, v20, vcc
	v_lshlrev_b32_e32 v6, 24, v6
	v_bfrev_b32_e32 v21, 60
	v_lshlrev_b32_e32 v20, 20, v20
	v_and_b32_e32 v6, 0x80000000, v6
	v_lshl_add_u32 v9, v9, 23, v21
	v_or3_b32 v20, v6, v9, v20
.LBB596_685:
	s_or_b64 exec, exec, s[10:11]
.LBB596_686:
	s_or_b64 exec, exec, s[8:9]
.LBB596_687:
	s_or_b64 exec, exec, s[2:3]
	v_cvt_pkrtz_f16_f32 v6, v14, v16
	v_cvt_pkrtz_f16_f32 v7, v7, v18
	ds_read_b128 v[24:27], v22 offset:4112
	s_waitcnt vmcnt(0)
	v_cmp_ne_u16_sdwa s[8:9], v2, v15 src0_sel:BYTE_0 src1_sel:DWORD
	s_waitcnt lgkmcnt(0)
	v_mfma_f32_16x16x16f16 v[10:13], v[6:7], v[24:25], v[10:13]
	v_cvt_pkrtz_f16_f32 v6, v17, v19
	v_cvt_pkrtz_f16_f32 v7, v8, v20
	s_nop 1
	v_mfma_f32_16x16x16f16 v[6:9], v[6:7], v[26:27], v[10:13]
	s_and_saveexec_b64 s[2:3], s[8:9]
	s_cbranch_execz .LBB596_693
; %bb.688:
	s_movk_i32 s7, 0x80
	v_cmp_ne_u16_sdwa s[10:11], v2, s7 src0_sel:BYTE_0 src1_sel:DWORD
	v_bfrev_b32_e32 v15, 1
	s_and_saveexec_b64 s[8:9], s[10:11]
	s_cbranch_execz .LBB596_692
; %bb.689:
	s_movk_i32 s7, 0x7f
	v_and_b32_e32 v10, 0x7f, v2
	v_cmp_ne_u32_e32 vcc, s7, v10
	v_mov_b32_e32 v15, 0x7f800001
	s_and_saveexec_b64 s[10:11], vcc
	s_cbranch_execz .LBB596_691
; %bb.690:
	v_and_b32_e32 v11, 7, v2
	v_ffbh_u32_e32 v12, v11
	v_min_u32_e32 v15, 32, v12
	v_subrev_u32_e32 v12, 28, v15
	v_lshlrev_b64 v[12:13], v12, v[2:3]
	v_lshrrev_b32_e32 v14, 3, v10
	v_sub_u32_e32 v13, 29, v15
	v_and_b32_e32 v12, 7, v12
	v_cmp_gt_u32_e32 vcc, 8, v10
	v_cndmask_b32_e32 v10, v14, v13, vcc
	v_cndmask_b32_e32 v11, v11, v12, vcc
	v_lshlrev_b32_e32 v12, 24, v2
	v_bfrev_b32_e32 v13, 60
	v_lshlrev_b32_e32 v11, 20, v11
	v_and_b32_e32 v12, 0x80000000, v12
	v_lshl_add_u32 v10, v10, 23, v13
	v_or3_b32 v15, v12, v10, v11
.LBB596_691:
	s_or_b64 exec, exec, s[10:11]
.LBB596_692:
	s_or_b64 exec, exec, s[8:9]
.LBB596_693:
	s_or_b64 exec, exec, s[2:3]
	s_nop 3
	v_lshrrev_b16_e32 v10, 8, v2
	v_cmp_ne_u16_e32 vcc, 0, v10
	v_mov_b32_e32 v11, 0
	v_mov_b32_e32 v12, 0
	s_and_saveexec_b64 s[2:3], vcc
	s_cbranch_execz .LBB596_699
; %bb.694:
	s_movk_i32 s7, 0x80
	v_cmp_ne_u16_e32 vcc, s7, v10
	v_bfrev_b32_e32 v12, 1
	s_and_saveexec_b64 s[8:9], vcc
	s_cbranch_execz .LBB596_698
; %bb.695:
	s_movk_i32 s7, 0x7f
	v_and_b32_e32 v13, 0x7f, v10
	v_cmp_ne_u32_e32 vcc, s7, v13
	v_mov_b32_e32 v12, 0x7f800001
	s_and_saveexec_b64 s[10:11], vcc
	s_cbranch_execz .LBB596_697
; %bb.696:
	v_and_b32_e32 v12, 7, v10
	v_ffbh_u32_e32 v16, v12
	v_min_u32_e32 v18, 32, v16
	v_subrev_u32_e32 v16, 28, v18
	v_lshlrev_b64 v[16:17], v16, v[10:11]
	v_lshrrev_b32_e32 v14, 3, v13
	v_sub_u32_e32 v10, 29, v18
	v_and_b32_e32 v16, 7, v16
	v_cmp_gt_u32_e32 vcc, 8, v13
	v_cndmask_b32_e32 v10, v14, v10, vcc
	v_cndmask_b32_e32 v12, v12, v16, vcc
	v_lshlrev_b32_e32 v13, 16, v2
	v_bfrev_b32_e32 v14, 60
	v_lshlrev_b32_e32 v12, 20, v12
	v_and_b32_e32 v13, 0x80000000, v13
	v_lshl_add_u32 v10, v10, 23, v14
	v_or3_b32 v12, v13, v10, v12
.LBB596_697:
	s_or_b64 exec, exec, s[10:11]
.LBB596_698:
	s_or_b64 exec, exec, s[8:9]
.LBB596_699:
	s_or_b64 exec, exec, s[2:3]
	s_movk_i32 s2, 0xff
	v_and_b32_sdwa v13, v2, s2 dst_sel:DWORD dst_unused:UNUSED_PAD src0_sel:WORD_1 src1_sel:DWORD
	v_lshrrev_b32_e32 v10, 16, v2
	v_cmp_ne_u16_e32 vcc, 0, v13
	s_and_saveexec_b64 s[2:3], vcc
	s_cbranch_execz .LBB596_705
; %bb.700:
	s_movk_i32 s7, 0x80
	v_cmp_ne_u16_e32 vcc, s7, v13
	v_bfrev_b32_e32 v11, 1
	s_and_saveexec_b64 s[8:9], vcc
	s_cbranch_execz .LBB596_704
; %bb.701:
	v_bfe_u32 v13, v2, 16, 7
	s_movk_i32 s7, 0x7f
	v_cmp_ne_u32_e32 vcc, s7, v13
	v_mov_b32_e32 v11, 0x7f800001
	s_and_saveexec_b64 s[10:11], vcc
	s_cbranch_execz .LBB596_703
; %bb.702:
	v_and_b32_e32 v14, 7, v10
	v_ffbh_u32_e32 v11, v14
	v_min_u32_e32 v17, 32, v11
	v_subrev_u32_e32 v11, 28, v17
	v_lshlrev_b64 v[10:11], v11, v[10:11]
	v_lshrrev_b32_e32 v16, 3, v13
	v_sub_u32_e32 v11, 29, v17
	v_and_b32_e32 v10, 7, v10
	v_cmp_gt_u32_e32 vcc, 8, v13
	v_mov_b32_e32 v13, 24
	v_cndmask_b32_e32 v11, v16, v11, vcc
	v_cndmask_b32_e32 v10, v14, v10, vcc
	v_lshlrev_b32_sdwa v13, v13, v2 dst_sel:DWORD dst_unused:UNUSED_PAD src0_sel:DWORD src1_sel:WORD_1
	v_bfrev_b32_e32 v14, 60
	v_lshlrev_b32_e32 v10, 20, v10
	v_and_b32_e32 v13, 0x80000000, v13
	v_lshl_add_u32 v11, v11, 23, v14
	v_or3_b32 v11, v13, v11, v10
.LBB596_703:
	s_or_b64 exec, exec, s[10:11]
.LBB596_704:
	s_or_b64 exec, exec, s[8:9]
.LBB596_705:
	s_or_b64 exec, exec, s[2:3]
	s_mov_b32 s2, 0xffffff
	v_cmp_lt_u32_e32 vcc, s2, v2
	v_mov_b32_e32 v13, 0
	v_mov_b32_e32 v14, 0
	s_and_saveexec_b64 s[2:3], vcc
	s_cbranch_execz .LBB596_711
; %bb.706:
	v_lshrrev_b32_e32 v10, 24, v2
	s_movk_i32 s7, 0x80
	v_cmp_ne_u32_e32 vcc, s7, v10
	v_bfrev_b32_e32 v14, 1
	s_and_saveexec_b64 s[8:9], vcc
	s_cbranch_execz .LBB596_710
; %bb.707:
	v_bfe_u32 v2, v2, 24, 7
	s_movk_i32 s7, 0x7f
	v_cmp_ne_u32_e32 vcc, s7, v2
	v_mov_b32_e32 v14, 0x7f800001
	s_and_saveexec_b64 s[10:11], vcc
	s_cbranch_execz .LBB596_709
; %bb.708:
	v_and_b32_e32 v14, 7, v10
	v_ffbh_u32_e32 v16, v14
	v_min_u32_e32 v19, 32, v16
	v_subrev_u32_e32 v16, 28, v19
	v_lshlrev_b64 v[16:17], v16, v[10:11]
	v_lshrrev_b32_e32 v18, 3, v2
	v_sub_u32_e32 v17, 29, v19
	v_and_b32_e32 v16, 7, v16
	v_cmp_gt_u32_e32 vcc, 8, v2
	v_cndmask_b32_e32 v2, v18, v17, vcc
	v_cndmask_b32_e32 v14, v14, v16, vcc
	v_lshlrev_b32_e32 v10, 24, v10
	v_bfrev_b32_e32 v16, 60
	v_lshlrev_b32_e32 v14, 20, v14
	v_and_b32_e32 v10, 0x80000000, v10
	v_lshl_add_u32 v2, v2, 23, v16
	v_or3_b32 v14, v10, v2, v14
.LBB596_709:
	s_or_b64 exec, exec, s[10:11]
.LBB596_710:
	s_or_b64 exec, exec, s[8:9]
.LBB596_711:
	s_or_b64 exec, exec, s[2:3]
	v_cmp_ne_u16_sdwa s[8:9], v3, v13 src0_sel:BYTE_0 src1_sel:DWORD
	s_and_saveexec_b64 s[2:3], s[8:9]
	s_cbranch_execz .LBB596_717
; %bb.712:
	s_movk_i32 s7, 0x80
	v_cmp_ne_u16_sdwa s[10:11], v3, s7 src0_sel:BYTE_0 src1_sel:DWORD
	v_bfrev_b32_e32 v13, 1
	s_and_saveexec_b64 s[8:9], s[10:11]
	s_cbranch_execz .LBB596_716
; %bb.713:
	s_movk_i32 s7, 0x7f
	v_and_b32_e32 v2, 0x7f, v3
	v_cmp_ne_u32_e32 vcc, s7, v2
	v_mov_b32_e32 v13, 0x7f800001
	s_and_saveexec_b64 s[10:11], vcc
	s_cbranch_execz .LBB596_715
; %bb.714:
	v_and_b32_e32 v13, 7, v3
	v_ffbh_u32_e32 v16, v13
	v_min_u32_e32 v19, 32, v16
	v_mov_b32_e32 v10, v3
	v_subrev_u32_e32 v16, 28, v19
	v_lshlrev_b64 v[16:17], v16, v[10:11]
	v_lshrrev_b32_e32 v18, 3, v2
	v_sub_u32_e32 v10, 29, v19
	v_and_b32_e32 v16, 7, v16
	v_cmp_gt_u32_e32 vcc, 8, v2
	v_cndmask_b32_e32 v2, v18, v10, vcc
	v_cndmask_b32_e32 v10, v13, v16, vcc
	v_lshlrev_b32_e32 v13, 24, v3
	v_bfrev_b32_e32 v16, 60
	v_lshlrev_b32_e32 v10, 20, v10
	v_and_b32_e32 v13, 0x80000000, v13
	v_lshl_add_u32 v2, v2, 23, v16
	v_or3_b32 v13, v13, v2, v10
.LBB596_715:
	s_or_b64 exec, exec, s[10:11]
.LBB596_716:
	s_or_b64 exec, exec, s[8:9]
.LBB596_717:
	s_or_b64 exec, exec, s[2:3]
	v_lshrrev_b16_e32 v2, 8, v3
	v_cmp_ne_u16_e32 vcc, 0, v2
	v_mov_b32_e32 v16, 0
	v_mov_b32_e32 v17, 0
	s_and_saveexec_b64 s[2:3], vcc
	s_cbranch_execz .LBB596_723
; %bb.718:
	s_movk_i32 s7, 0x80
	v_cmp_ne_u16_e32 vcc, s7, v2
	v_bfrev_b32_e32 v17, 1
	s_and_saveexec_b64 s[8:9], vcc
	s_cbranch_execz .LBB596_722
; %bb.719:
	s_movk_i32 s7, 0x7f
	v_and_b32_e32 v10, 0x7f, v2
	v_cmp_ne_u32_e32 vcc, s7, v10
	v_mov_b32_e32 v17, 0x7f800001
	s_and_saveexec_b64 s[10:11], vcc
	s_cbranch_execz .LBB596_721
; %bb.720:
	v_and_b32_e32 v17, 7, v2
	v_ffbh_u32_e32 v18, v17
	v_min_u32_e32 v21, 32, v18
	v_subrev_u32_e32 v18, 28, v21
	v_lshlrev_b64 v[18:19], v18, v[2:3]
	v_lshrrev_b32_e32 v20, 3, v10
	v_sub_u32_e32 v2, 29, v21
	v_and_b32_e32 v18, 7, v18
	v_cmp_gt_u32_e32 vcc, 8, v10
	v_cndmask_b32_e32 v2, v20, v2, vcc
	v_cndmask_b32_e32 v10, v17, v18, vcc
	v_lshlrev_b32_e32 v17, 16, v3
	v_bfrev_b32_e32 v18, 60
	v_lshlrev_b32_e32 v10, 20, v10
	v_and_b32_e32 v17, 0x80000000, v17
	v_lshl_add_u32 v2, v2, 23, v18
	v_or3_b32 v17, v17, v2, v10
.LBB596_721:
	s_or_b64 exec, exec, s[10:11]
.LBB596_722:
	s_or_b64 exec, exec, s[8:9]
.LBB596_723:
	s_or_b64 exec, exec, s[2:3]
	s_movk_i32 s2, 0xff
	v_and_b32_sdwa v10, v3, s2 dst_sel:DWORD dst_unused:UNUSED_PAD src0_sel:WORD_1 src1_sel:DWORD
	v_lshrrev_b32_e32 v2, 16, v3
	v_cmp_ne_u16_e32 vcc, 0, v10
	s_and_saveexec_b64 s[2:3], vcc
	s_cbranch_execz .LBB596_729
; %bb.724:
	s_movk_i32 s7, 0x80
	v_cmp_ne_u16_e32 vcc, s7, v10
	v_bfrev_b32_e32 v16, 1
	s_and_saveexec_b64 s[8:9], vcc
	s_cbranch_execz .LBB596_728
; %bb.725:
	v_bfe_u32 v10, v3, 16, 7
	s_movk_i32 s7, 0x7f
	v_cmp_ne_u32_e32 vcc, s7, v10
	v_mov_b32_e32 v16, 0x7f800001
	s_and_saveexec_b64 s[10:11], vcc
	s_cbranch_execz .LBB596_727
; %bb.726:
	v_and_b32_e32 v16, 7, v2
	v_ffbh_u32_e32 v18, v16
	v_min_u32_e32 v21, 32, v18
	v_subrev_u32_e32 v18, 28, v21
	v_lshlrev_b64 v[18:19], v18, v[2:3]
	v_and_b32_e32 v18, 7, v18
	v_cmp_gt_u32_e32 vcc, 8, v10
	v_lshrrev_b32_e32 v20, 3, v10
	v_sub_u32_e32 v2, 29, v21
	v_cndmask_b32_e32 v10, v16, v18, vcc
	v_mov_b32_e32 v16, 24
	v_cndmask_b32_e32 v2, v20, v2, vcc
	v_lshlrev_b32_sdwa v16, v16, v3 dst_sel:DWORD dst_unused:UNUSED_PAD src0_sel:DWORD src1_sel:WORD_1
	v_bfrev_b32_e32 v18, 60
	v_lshlrev_b32_e32 v10, 20, v10
	v_and_b32_e32 v16, 0x80000000, v16
	v_lshl_add_u32 v2, v2, 23, v18
	v_or3_b32 v16, v16, v2, v10
.LBB596_727:
	s_or_b64 exec, exec, s[10:11]
.LBB596_728:
	s_or_b64 exec, exec, s[8:9]
.LBB596_729:
	s_or_b64 exec, exec, s[2:3]
	s_mov_b32 s2, 0xffffff
	v_cmp_lt_u32_e32 vcc, s2, v3
	v_mov_b32_e32 v10, 0
	v_mov_b32_e32 v18, 0
	s_and_saveexec_b64 s[2:3], vcc
	s_cbranch_execz .LBB596_735
; %bb.730:
	v_lshrrev_b32_e32 v2, 24, v3
	s_movk_i32 s7, 0x80
	v_cmp_ne_u32_e32 vcc, s7, v2
	v_bfrev_b32_e32 v18, 1
	s_and_saveexec_b64 s[8:9], vcc
	s_cbranch_execz .LBB596_734
; %bb.731:
	v_bfe_u32 v3, v3, 24, 7
	s_movk_i32 s7, 0x7f
	v_cmp_ne_u32_e32 vcc, s7, v3
	v_mov_b32_e32 v18, 0x7f800001
	s_and_saveexec_b64 s[10:11], vcc
	s_cbranch_execz .LBB596_733
; %bb.732:
	v_and_b32_e32 v20, 7, v2
	v_ffbh_u32_e32 v18, v20
	v_min_u32_e32 v23, 32, v18
	v_subrev_u32_e32 v18, 28, v23
	v_lshlrev_b64 v[18:19], v18, v[2:3]
	v_lshrrev_b32_e32 v21, 3, v3
	v_sub_u32_e32 v19, 29, v23
	v_and_b32_e32 v18, 7, v18
	v_cmp_gt_u32_e32 vcc, 8, v3
	v_cndmask_b32_e32 v3, v21, v19, vcc
	v_cndmask_b32_e32 v18, v20, v18, vcc
	v_lshlrev_b32_e32 v2, 24, v2
	v_bfrev_b32_e32 v19, 60
	v_lshlrev_b32_e32 v18, 20, v18
	v_and_b32_e32 v2, 0x80000000, v2
	v_lshl_add_u32 v3, v3, 23, v19
	v_or3_b32 v18, v2, v3, v18
.LBB596_733:
	s_or_b64 exec, exec, s[10:11]
.LBB596_734:
	s_or_b64 exec, exec, s[8:9]
.LBB596_735:
	s_or_b64 exec, exec, s[2:3]
	v_cvt_pkrtz_f16_f32 v2, v15, v12
	v_cvt_pkrtz_f16_f32 v3, v11, v14
	ds_read_b128 v[24:27], v22 offset:6144
	v_cmp_ne_u16_sdwa s[8:9], v4, v10 src0_sel:BYTE_0 src1_sel:DWORD
	s_waitcnt lgkmcnt(0)
	v_mfma_f32_16x16x16f16 v[6:9], v[2:3], v[24:25], v[6:9]
	v_cvt_pkrtz_f16_f32 v2, v13, v17
	v_cvt_pkrtz_f16_f32 v3, v16, v18
	s_nop 1
	v_mfma_f32_16x16x16f16 v[6:9], v[2:3], v[26:27], v[6:9]
	s_and_saveexec_b64 s[2:3], s[8:9]
	s_cbranch_execz .LBB596_741
; %bb.736:
	s_movk_i32 s7, 0x80
	v_cmp_ne_u16_sdwa s[10:11], v4, s7 src0_sel:BYTE_0 src1_sel:DWORD
	v_bfrev_b32_e32 v10, 1
	s_and_saveexec_b64 s[8:9], s[10:11]
	s_cbranch_execz .LBB596_740
; %bb.737:
	s_movk_i32 s7, 0x7f
	v_and_b32_e32 v2, 0x7f, v4
	v_cmp_ne_u32_e32 vcc, s7, v2
	v_mov_b32_e32 v10, 0x7f800001
	s_and_saveexec_b64 s[10:11], vcc
	s_cbranch_execz .LBB596_739
; %bb.738:
	v_and_b32_e32 v3, 7, v4
	v_ffbh_u32_e32 v10, v3
	v_min_u32_e32 v13, 32, v10
	v_subrev_u32_e32 v10, 28, v13
	v_lshlrev_b64 v[10:11], v10, v[4:5]
	v_lshrrev_b32_e32 v12, 3, v2
	v_sub_u32_e32 v11, 29, v13
	v_and_b32_e32 v10, 7, v10
	v_cmp_gt_u32_e32 vcc, 8, v2
	v_cndmask_b32_e32 v2, v12, v11, vcc
	v_cndmask_b32_e32 v3, v3, v10, vcc
	v_lshlrev_b32_e32 v10, 24, v4
	v_bfrev_b32_e32 v11, 60
	v_lshlrev_b32_e32 v3, 20, v3
	v_and_b32_e32 v10, 0x80000000, v10
	v_lshl_add_u32 v2, v2, 23, v11
	v_or3_b32 v10, v10, v2, v3
.LBB596_739:
	s_or_b64 exec, exec, s[10:11]
.LBB596_740:
	s_or_b64 exec, exec, s[8:9]
.LBB596_741:
	s_or_b64 exec, exec, s[2:3]
	v_lshrrev_b16_e32 v2, 8, v4
	v_cmp_ne_u16_e32 vcc, 0, v2
	v_mov_b32_e32 v3, 0
	v_mov_b32_e32 v11, 0
	s_and_saveexec_b64 s[2:3], vcc
	s_cbranch_execz .LBB596_747
; %bb.742:
	s_movk_i32 s7, 0x80
	v_cmp_ne_u16_e32 vcc, s7, v2
	v_bfrev_b32_e32 v11, 1
	s_and_saveexec_b64 s[8:9], vcc
	s_cbranch_execz .LBB596_746
; %bb.743:
	s_movk_i32 s7, 0x7f
	v_and_b32_e32 v12, 0x7f, v2
	v_cmp_ne_u32_e32 vcc, s7, v12
	v_mov_b32_e32 v11, 0x7f800001
	s_and_saveexec_b64 s[10:11], vcc
	s_cbranch_execz .LBB596_745
; %bb.744:
	v_and_b32_e32 v11, 7, v2
	v_ffbh_u32_e32 v14, v11
	v_min_u32_e32 v16, 32, v14
	v_subrev_u32_e32 v14, 28, v16
	v_lshlrev_b64 v[14:15], v14, v[2:3]
	v_lshrrev_b32_e32 v13, 3, v12
	v_sub_u32_e32 v2, 29, v16
	v_and_b32_e32 v14, 7, v14
	v_cmp_gt_u32_e32 vcc, 8, v12
	v_cndmask_b32_e32 v2, v13, v2, vcc
	v_cndmask_b32_e32 v11, v11, v14, vcc
	v_lshlrev_b32_e32 v12, 16, v4
	v_bfrev_b32_e32 v13, 60
	v_lshlrev_b32_e32 v11, 20, v11
	v_and_b32_e32 v12, 0x80000000, v12
	v_lshl_add_u32 v2, v2, 23, v13
	v_or3_b32 v11, v12, v2, v11
.LBB596_745:
	s_or_b64 exec, exec, s[10:11]
.LBB596_746:
	s_or_b64 exec, exec, s[8:9]
.LBB596_747:
	s_or_b64 exec, exec, s[2:3]
	s_movk_i32 s2, 0xff
	v_and_b32_sdwa v12, v4, s2 dst_sel:DWORD dst_unused:UNUSED_PAD src0_sel:WORD_1 src1_sel:DWORD
	v_lshrrev_b32_e32 v2, 16, v4
	v_cmp_ne_u16_e32 vcc, 0, v12
	s_and_saveexec_b64 s[2:3], vcc
	s_cbranch_execz .LBB596_753
; %bb.748:
	s_movk_i32 s7, 0x80
	v_cmp_ne_u16_e32 vcc, s7, v12
	v_bfrev_b32_e32 v3, 1
	s_and_saveexec_b64 s[8:9], vcc
	s_cbranch_execz .LBB596_752
; %bb.749:
	v_bfe_u32 v12, v4, 16, 7
	s_movk_i32 s7, 0x7f
	v_cmp_ne_u32_e32 vcc, s7, v12
	v_mov_b32_e32 v3, 0x7f800001
	s_and_saveexec_b64 s[10:11], vcc
	s_cbranch_execz .LBB596_751
; %bb.750:
	v_and_b32_e32 v13, 7, v2
	v_ffbh_u32_e32 v3, v13
	v_min_u32_e32 v15, 32, v3
	v_subrev_u32_e32 v3, 28, v15
	v_lshlrev_b64 v[2:3], v3, v[2:3]
	v_lshrrev_b32_e32 v14, 3, v12
	v_sub_u32_e32 v3, 29, v15
	v_and_b32_e32 v2, 7, v2
	v_cmp_gt_u32_e32 vcc, 8, v12
	v_mov_b32_e32 v12, 24
	v_cndmask_b32_e32 v3, v14, v3, vcc
	v_cndmask_b32_e32 v2, v13, v2, vcc
	v_lshlrev_b32_sdwa v12, v12, v4 dst_sel:DWORD dst_unused:UNUSED_PAD src0_sel:DWORD src1_sel:WORD_1
	v_bfrev_b32_e32 v13, 60
	v_lshlrev_b32_e32 v2, 20, v2
	v_and_b32_e32 v12, 0x80000000, v12
	v_lshl_add_u32 v3, v3, 23, v13
	v_or3_b32 v3, v12, v3, v2
.LBB596_751:
	s_or_b64 exec, exec, s[10:11]
.LBB596_752:
	s_or_b64 exec, exec, s[8:9]
.LBB596_753:
	s_or_b64 exec, exec, s[2:3]
	s_mov_b32 s2, 0xffffff
	v_cmp_lt_u32_e32 vcc, s2, v4
	v_mov_b32_e32 v12, 0
	v_mov_b32_e32 v13, 0
	s_and_saveexec_b64 s[2:3], vcc
	s_cbranch_execz .LBB596_759
; %bb.754:
	v_lshrrev_b32_e32 v2, 24, v4
	s_movk_i32 s7, 0x80
	v_cmp_ne_u32_e32 vcc, s7, v2
	v_bfrev_b32_e32 v13, 1
	s_and_saveexec_b64 s[8:9], vcc
	s_cbranch_execz .LBB596_758
; %bb.755:
	v_bfe_u32 v4, v4, 24, 7
	s_movk_i32 s7, 0x7f
	v_cmp_ne_u32_e32 vcc, s7, v4
	v_mov_b32_e32 v13, 0x7f800001
	s_and_saveexec_b64 s[10:11], vcc
	s_cbranch_execz .LBB596_757
; %bb.756:
	v_and_b32_e32 v13, 7, v2
	v_ffbh_u32_e32 v14, v13
	v_min_u32_e32 v17, 32, v14
	v_subrev_u32_e32 v14, 28, v17
	v_lshlrev_b64 v[14:15], v14, v[2:3]
	v_lshrrev_b32_e32 v16, 3, v4
	v_sub_u32_e32 v15, 29, v17
	v_and_b32_e32 v14, 7, v14
	v_cmp_gt_u32_e32 vcc, 8, v4
	v_cndmask_b32_e32 v4, v16, v15, vcc
	v_cndmask_b32_e32 v13, v13, v14, vcc
	v_lshlrev_b32_e32 v2, 24, v2
	v_bfrev_b32_e32 v14, 60
	v_lshlrev_b32_e32 v13, 20, v13
	v_and_b32_e32 v2, 0x80000000, v2
	v_lshl_add_u32 v4, v4, 23, v14
	v_or3_b32 v13, v2, v4, v13
.LBB596_757:
	s_or_b64 exec, exec, s[10:11]
.LBB596_758:
	s_or_b64 exec, exec, s[8:9]
.LBB596_759:
	s_or_b64 exec, exec, s[2:3]
	v_cmp_ne_u16_sdwa s[8:9], v5, v12 src0_sel:BYTE_0 src1_sel:DWORD
	s_and_saveexec_b64 s[2:3], s[8:9]
	s_cbranch_execz .LBB596_765
; %bb.760:
	s_movk_i32 s7, 0x80
	v_cmp_ne_u16_sdwa s[10:11], v5, s7 src0_sel:BYTE_0 src1_sel:DWORD
	v_bfrev_b32_e32 v12, 1
	s_and_saveexec_b64 s[8:9], s[10:11]
	s_cbranch_execz .LBB596_764
; %bb.761:
	s_movk_i32 s7, 0x7f
	v_and_b32_e32 v2, 0x7f, v5
	v_cmp_ne_u32_e32 vcc, s7, v2
	v_mov_b32_e32 v12, 0x7f800001
	s_and_saveexec_b64 s[10:11], vcc
	s_cbranch_execz .LBB596_763
; %bb.762:
	v_and_b32_e32 v12, 7, v5
	v_ffbh_u32_e32 v14, v12
	v_min_u32_e32 v17, 32, v14
	v_mov_b32_e32 v4, v5
	v_subrev_u32_e32 v14, 28, v17
	v_lshlrev_b64 v[14:15], v14, v[4:5]
	v_lshrrev_b32_e32 v16, 3, v2
	v_sub_u32_e32 v4, 29, v17
	v_and_b32_e32 v14, 7, v14
	v_cmp_gt_u32_e32 vcc, 8, v2
	v_cndmask_b32_e32 v2, v16, v4, vcc
	v_cndmask_b32_e32 v4, v12, v14, vcc
	v_lshlrev_b32_e32 v12, 24, v5
	v_bfrev_b32_e32 v14, 60
	v_lshlrev_b32_e32 v4, 20, v4
	v_and_b32_e32 v12, 0x80000000, v12
	v_lshl_add_u32 v2, v2, 23, v14
	v_or3_b32 v12, v12, v2, v4
.LBB596_763:
	s_or_b64 exec, exec, s[10:11]
.LBB596_764:
	s_or_b64 exec, exec, s[8:9]
.LBB596_765:
	s_or_b64 exec, exec, s[2:3]
	v_lshrrev_b16_e32 v2, 8, v5
	v_cmp_ne_u16_e32 vcc, 0, v2
	v_mov_b32_e32 v4, 0
	v_mov_b32_e32 v14, 0
	s_and_saveexec_b64 s[2:3], vcc
	s_cbranch_execz .LBB596_771
; %bb.766:
	s_movk_i32 s7, 0x80
	v_cmp_ne_u16_e32 vcc, s7, v2
	v_bfrev_b32_e32 v14, 1
	s_and_saveexec_b64 s[8:9], vcc
	s_cbranch_execz .LBB596_770
; %bb.767:
	s_movk_i32 s7, 0x7f
	v_and_b32_e32 v15, 0x7f, v2
	v_cmp_ne_u32_e32 vcc, s7, v15
	v_mov_b32_e32 v14, 0x7f800001
	s_and_saveexec_b64 s[10:11], vcc
	s_cbranch_execz .LBB596_769
; %bb.768:
	v_and_b32_e32 v14, 7, v2
	v_ffbh_u32_e32 v16, v14
	v_min_u32_e32 v19, 32, v16
	v_subrev_u32_e32 v16, 28, v19
	v_lshlrev_b64 v[16:17], v16, v[2:3]
	v_lshrrev_b32_e32 v18, 3, v15
	v_sub_u32_e32 v2, 29, v19
	v_and_b32_e32 v16, 7, v16
	v_cmp_gt_u32_e32 vcc, 8, v15
	v_cndmask_b32_e32 v2, v18, v2, vcc
	v_cndmask_b32_e32 v14, v14, v16, vcc
	v_lshlrev_b32_e32 v15, 16, v5
	v_bfrev_b32_e32 v16, 60
	v_lshlrev_b32_e32 v14, 20, v14
	v_and_b32_e32 v15, 0x80000000, v15
	v_lshl_add_u32 v2, v2, 23, v16
	v_or3_b32 v14, v15, v2, v14
.LBB596_769:
	s_or_b64 exec, exec, s[10:11]
.LBB596_770:
	s_or_b64 exec, exec, s[8:9]
.LBB596_771:
	s_or_b64 exec, exec, s[2:3]
	s_movk_i32 s2, 0xff
	v_and_b32_sdwa v15, v5, s2 dst_sel:DWORD dst_unused:UNUSED_PAD src0_sel:WORD_1 src1_sel:DWORD
	v_lshrrev_b32_e32 v2, 16, v5
	v_cmp_ne_u16_e32 vcc, 0, v15
	s_and_saveexec_b64 s[2:3], vcc
	s_cbranch_execz .LBB596_777
; %bb.772:
	s_movk_i32 s7, 0x80
	v_cmp_ne_u16_e32 vcc, s7, v15
	v_bfrev_b32_e32 v4, 1
	s_and_saveexec_b64 s[8:9], vcc
	s_cbranch_execz .LBB596_776
; %bb.773:
	v_bfe_u32 v15, v5, 16, 7
	s_movk_i32 s7, 0x7f
	v_cmp_ne_u32_e32 vcc, s7, v15
	v_mov_b32_e32 v4, 0x7f800001
	s_and_saveexec_b64 s[10:11], vcc
	s_cbranch_execz .LBB596_775
; %bb.774:
	v_and_b32_e32 v4, 7, v2
	v_ffbh_u32_e32 v16, v4
	v_min_u32_e32 v19, 32, v16
	v_subrev_u32_e32 v16, 28, v19
	v_lshlrev_b64 v[16:17], v16, v[2:3]
	v_lshrrev_b32_e32 v18, 3, v15
	v_sub_u32_e32 v2, 29, v19
	v_and_b32_e32 v16, 7, v16
	v_cmp_gt_u32_e32 vcc, 8, v15
	v_mov_b32_e32 v15, 24
	v_cndmask_b32_e32 v2, v18, v2, vcc
	v_cndmask_b32_e32 v4, v4, v16, vcc
	v_lshlrev_b32_sdwa v15, v15, v5 dst_sel:DWORD dst_unused:UNUSED_PAD src0_sel:DWORD src1_sel:WORD_1
	v_bfrev_b32_e32 v16, 60
	v_lshlrev_b32_e32 v4, 20, v4
	v_and_b32_e32 v15, 0x80000000, v15
	v_lshl_add_u32 v2, v2, 23, v16
	v_or3_b32 v4, v15, v2, v4
.LBB596_775:
	s_or_b64 exec, exec, s[10:11]
.LBB596_776:
	s_or_b64 exec, exec, s[8:9]
.LBB596_777:
	s_or_b64 exec, exec, s[2:3]
	s_mov_b32 s2, 0xffffff
	v_cmp_lt_u32_e32 vcc, s2, v5
	v_mov_b32_e32 v15, 0
	s_and_saveexec_b64 s[2:3], vcc
	s_cbranch_execz .LBB596_783
; %bb.778:
	v_lshrrev_b32_e32 v2, 24, v5
	s_movk_i32 s7, 0x80
	v_cmp_ne_u32_e32 vcc, s7, v2
	v_bfrev_b32_e32 v15, 1
	s_and_saveexec_b64 s[8:9], vcc
	s_cbranch_execz .LBB596_782
; %bb.779:
	v_bfe_u32 v5, v5, 24, 7
	s_movk_i32 s7, 0x7f
	v_cmp_ne_u32_e32 vcc, s7, v5
	v_mov_b32_e32 v15, 0x7f800001
	s_and_saveexec_b64 s[10:11], vcc
	s_cbranch_execz .LBB596_781
; %bb.780:
	v_and_b32_e32 v15, 7, v2
	v_ffbh_u32_e32 v16, v15
	v_min_u32_e32 v19, 32, v16
	v_subrev_u32_e32 v16, 28, v19
	v_lshlrev_b64 v[16:17], v16, v[2:3]
	v_lshrrev_b32_e32 v18, 3, v5
	v_sub_u32_e32 v17, 29, v19
	v_and_b32_e32 v16, 7, v16
	v_cmp_gt_u32_e32 vcc, 8, v5
	v_cndmask_b32_e32 v5, v18, v17, vcc
	v_cndmask_b32_e32 v15, v15, v16, vcc
	v_lshlrev_b32_e32 v2, 24, v2
	v_bfrev_b32_e32 v16, 60
	v_lshlrev_b32_e32 v15, 20, v15
	v_and_b32_e32 v2, 0x80000000, v2
	v_lshl_add_u32 v5, v5, 23, v16
	v_or3_b32 v15, v2, v5, v15
.LBB596_781:
	s_or_b64 exec, exec, s[10:11]
.LBB596_782:
	s_or_b64 exec, exec, s[8:9]
.LBB596_783:
	s_or_b64 exec, exec, s[2:3]
	v_cvt_pkrtz_f16_f32 v2, v10, v11
	v_cvt_pkrtz_f16_f32 v3, v3, v13
	ds_read_b128 v[16:19], v22 offset:6160
	s_load_dword s2, s[42:43], 0x0
	v_cmp_gt_u32_e32 vcc, 64, v0
	s_waitcnt lgkmcnt(0)
	v_mfma_f32_16x16x16f16 v[6:9], v[2:3], v[16:17], v[6:9]
	v_cvt_pkrtz_f16_f32 v2, v12, v14
	v_cvt_pkrtz_f16_f32 v3, v4, v15
	s_and_b64 s[0:1], vcc, s[0:1]
	s_barrier
	v_mfma_f32_16x16x16f16 v[2:5], v[2:3], v[18:19], v[6:9]
	s_nop 7
	s_nop 2
	v_pk_mul_f32 v[4:5], v[4:5], s[2:3] op_sel_hi:[1,0]
	v_pk_mul_f32 v[2:3], v[2:3], s[2:3] op_sel_hi:[1,0]
	v_cvt_f16_f32_e32 v2, v2
	v_cvt_f16_f32_e32 v3, v3
	;; [unrolled: 1-line block ×4, first 2 shown]
	v_pack_b32_f16 v2, v2, v3
	v_pack_b32_f16 v3, v4, v5
	ds_write_b64 v28, v[2:3]
	s_waitcnt lgkmcnt(0)
	s_barrier
	s_and_saveexec_b64 s[2:3], s[0:1]
	s_cbranch_execz .LBB596_786
; %bb.784:
	s_load_dwordx2 s[2:3], s[4:5], 0x68
	s_lshl_b32 s0, s44, 6
	s_mul_i32 s1, s12, s6
	s_mul_hi_u32 s7, s1, s0
	s_mul_i32 s6, s1, s0
	s_lshl_b64 s[6:7], s[6:7], 1
	s_waitcnt lgkmcnt(0)
	s_add_u32 s1, s2, s6
	s_mov_b32 s5, 0
	s_addc_u32 s6, s3, s7
	s_lshl_b32 s4, s24, 6
	v_lshlrev_b32_e32 v0, 10, v0
	s_lshl_b64 s[2:3], s[4:5], 1
	v_and_b32_e32 v0, 0x1800, v0
	v_lshlrev_b32_e32 v2, 5, v1
	v_and_b32_e32 v3, 16, v47
	s_add_u32 s1, s1, s2
	v_or3_b32 v0, v0, v2, v3
	s_addc_u32 s2, s6, s3
	v_add_u32_e32 v8, s25, v1
	v_mov_b32_e32 v3, s2
	v_add_co_u32_e32 v2, vcc, s1, v46
	ds_read_b128 v[4:7], v0
	v_mad_u64_u32 v[8:9], s[2:3], v8, s0, 0
	v_addc_co_u32_e32 v3, vcc, 0, v3, vcc
	v_lshlrev_b64 v[8:9], 1, v[8:9]
	v_add_co_u32_e32 v8, vcc, v2, v8
	v_addc_co_u32_e32 v9, vcc, v3, v9, vcc
	v_cmp_ne_u32_e32 vcc, 3, v1
	s_waitcnt lgkmcnt(0)
	global_store_dwordx4 v[8:9], v[4:7], off
	s_and_b64 exec, exec, vcc
	s_cbranch_execz .LBB596_786
; %bb.785:
	ds_read_b128 v[4:7], v0 offset:128
	v_add3_u32 v0, s25, v1, 4
	v_mad_u64_u32 v[0:1], s[0:1], v0, s0, 0
	v_lshlrev_b64 v[0:1], 1, v[0:1]
	v_add_co_u32_e32 v0, vcc, v2, v0
	v_addc_co_u32_e32 v1, vcc, v3, v1, vcc
	s_waitcnt lgkmcnt(0)
	global_store_dwordx4 v[0:1], v[4:7], off
.LBB596_786:
	s_endpgm
	.section	.rodata,"a",@progbits
	.p2align	6, 0x0
	.amdhsa_kernel _Z39paged_attention_ll4mi_QKV_mfma16_kernelIDF16_hLN4vllm18Fp8KVCacheDataTypeE1EDF16_Li32ELi64ELi256ELb0ELi7EL8MFMAType0EEvPKT_PKT0_S8_ifPKiSA_SA_iPKfiiiPfSD_PS3_PT2_iSC_SC_
		.amdhsa_group_segment_fixed_size 8192
		.amdhsa_private_segment_fixed_size 0
		.amdhsa_kernarg_size 400
		.amdhsa_user_sgpr_count 6
		.amdhsa_user_sgpr_private_segment_buffer 1
		.amdhsa_user_sgpr_dispatch_ptr 0
		.amdhsa_user_sgpr_queue_ptr 0
		.amdhsa_user_sgpr_kernarg_segment_ptr 1
		.amdhsa_user_sgpr_dispatch_id 0
		.amdhsa_user_sgpr_flat_scratch_init 0
		.amdhsa_user_sgpr_kernarg_preload_length 0
		.amdhsa_user_sgpr_kernarg_preload_offset 0
		.amdhsa_user_sgpr_private_segment_size 0
		.amdhsa_uses_dynamic_stack 0
		.amdhsa_system_sgpr_private_segment_wavefront_offset 0
		.amdhsa_system_sgpr_workgroup_id_x 1
		.amdhsa_system_sgpr_workgroup_id_y 1
		.amdhsa_system_sgpr_workgroup_id_z 1
		.amdhsa_system_sgpr_workgroup_info 0
		.amdhsa_system_vgpr_workitem_id 0
		.amdhsa_next_free_vgpr 62
		.amdhsa_next_free_sgpr 47
		.amdhsa_accum_offset 64
		.amdhsa_reserve_vcc 1
		.amdhsa_reserve_flat_scratch 0
		.amdhsa_float_round_mode_32 0
		.amdhsa_float_round_mode_16_64 0
		.amdhsa_float_denorm_mode_32 3
		.amdhsa_float_denorm_mode_16_64 3
		.amdhsa_dx10_clamp 1
		.amdhsa_ieee_mode 1
		.amdhsa_fp16_overflow 0
		.amdhsa_tg_split 0
		.amdhsa_exception_fp_ieee_invalid_op 0
		.amdhsa_exception_fp_denorm_src 0
		.amdhsa_exception_fp_ieee_div_zero 0
		.amdhsa_exception_fp_ieee_overflow 0
		.amdhsa_exception_fp_ieee_underflow 0
		.amdhsa_exception_fp_ieee_inexact 0
		.amdhsa_exception_int_div_zero 0
	.end_amdhsa_kernel
	.section	.text._Z39paged_attention_ll4mi_QKV_mfma16_kernelIDF16_hLN4vllm18Fp8KVCacheDataTypeE1EDF16_Li32ELi64ELi256ELb0ELi7EL8MFMAType0EEvPKT_PKT0_S8_ifPKiSA_SA_iPKfiiiPfSD_PS3_PT2_iSC_SC_,"axG",@progbits,_Z39paged_attention_ll4mi_QKV_mfma16_kernelIDF16_hLN4vllm18Fp8KVCacheDataTypeE1EDF16_Li32ELi64ELi256ELb0ELi7EL8MFMAType0EEvPKT_PKT0_S8_ifPKiSA_SA_iPKfiiiPfSD_PS3_PT2_iSC_SC_,comdat
.Lfunc_end596:
	.size	_Z39paged_attention_ll4mi_QKV_mfma16_kernelIDF16_hLN4vllm18Fp8KVCacheDataTypeE1EDF16_Li32ELi64ELi256ELb0ELi7EL8MFMAType0EEvPKT_PKT0_S8_ifPKiSA_SA_iPKfiiiPfSD_PS3_PT2_iSC_SC_, .Lfunc_end596-_Z39paged_attention_ll4mi_QKV_mfma16_kernelIDF16_hLN4vllm18Fp8KVCacheDataTypeE1EDF16_Li32ELi64ELi256ELb0ELi7EL8MFMAType0EEvPKT_PKT0_S8_ifPKiSA_SA_iPKfiiiPfSD_PS3_PT2_iSC_SC_
                                        ; -- End function
	.section	.AMDGPU.csdata,"",@progbits
; Kernel info:
; codeLenInByte = 27016
; NumSgprs: 51
; NumVgprs: 62
; NumAgprs: 0
; TotalNumVgprs: 62
; ScratchSize: 0
; MemoryBound: 0
; FloatMode: 240
; IeeeMode: 1
; LDSByteSize: 8192 bytes/workgroup (compile time only)
; SGPRBlocks: 6
; VGPRBlocks: 7
; NumSGPRsForWavesPerEU: 51
; NumVGPRsForWavesPerEU: 62
; AccumOffset: 64
; Occupancy: 8
; WaveLimiterHint : 1
; COMPUTE_PGM_RSRC2:SCRATCH_EN: 0
; COMPUTE_PGM_RSRC2:USER_SGPR: 6
; COMPUTE_PGM_RSRC2:TRAP_HANDLER: 0
; COMPUTE_PGM_RSRC2:TGID_X_EN: 1
; COMPUTE_PGM_RSRC2:TGID_Y_EN: 1
; COMPUTE_PGM_RSRC2:TGID_Z_EN: 1
; COMPUTE_PGM_RSRC2:TIDIG_COMP_CNT: 0
; COMPUTE_PGM_RSRC3_GFX90A:ACCUM_OFFSET: 15
; COMPUTE_PGM_RSRC3_GFX90A:TG_SPLIT: 0
	.section	.text._Z39paged_attention_ll4mi_QKV_mfma16_kernelIDF16_hLN4vllm18Fp8KVCacheDataTypeE1EDF16_Li32ELi64ELi256ELb0ELi8EL8MFMAType0EEvPKT_PKT0_S8_ifPKiSA_SA_iPKfiiiPfSD_PS3_PT2_iSC_SC_,"axG",@progbits,_Z39paged_attention_ll4mi_QKV_mfma16_kernelIDF16_hLN4vllm18Fp8KVCacheDataTypeE1EDF16_Li32ELi64ELi256ELb0ELi8EL8MFMAType0EEvPKT_PKT0_S8_ifPKiSA_SA_iPKfiiiPfSD_PS3_PT2_iSC_SC_,comdat
	.protected	_Z39paged_attention_ll4mi_QKV_mfma16_kernelIDF16_hLN4vllm18Fp8KVCacheDataTypeE1EDF16_Li32ELi64ELi256ELb0ELi8EL8MFMAType0EEvPKT_PKT0_S8_ifPKiSA_SA_iPKfiiiPfSD_PS3_PT2_iSC_SC_ ; -- Begin function _Z39paged_attention_ll4mi_QKV_mfma16_kernelIDF16_hLN4vllm18Fp8KVCacheDataTypeE1EDF16_Li32ELi64ELi256ELb0ELi8EL8MFMAType0EEvPKT_PKT0_S8_ifPKiSA_SA_iPKfiiiPfSD_PS3_PT2_iSC_SC_
	.globl	_Z39paged_attention_ll4mi_QKV_mfma16_kernelIDF16_hLN4vllm18Fp8KVCacheDataTypeE1EDF16_Li32ELi64ELi256ELb0ELi8EL8MFMAType0EEvPKT_PKT0_S8_ifPKiSA_SA_iPKfiiiPfSD_PS3_PT2_iSC_SC_
	.p2align	8
	.type	_Z39paged_attention_ll4mi_QKV_mfma16_kernelIDF16_hLN4vllm18Fp8KVCacheDataTypeE1EDF16_Li32ELi64ELi256ELb0ELi8EL8MFMAType0EEvPKT_PKT0_S8_ifPKiSA_SA_iPKfiiiPfSD_PS3_PT2_iSC_SC_,@function
_Z39paged_attention_ll4mi_QKV_mfma16_kernelIDF16_hLN4vllm18Fp8KVCacheDataTypeE1EDF16_Li32ELi64ELi256ELb0ELi8EL8MFMAType0EEvPKT_PKT0_S8_ifPKiSA_SA_iPKfiiiPfSD_PS3_PT2_iSC_SC_: ; @_Z39paged_attention_ll4mi_QKV_mfma16_kernelIDF16_hLN4vllm18Fp8KVCacheDataTypeE1EDF16_Li32ELi64ELi256ELb0ELi8EL8MFMAType0EEvPKT_PKT0_S8_ifPKiSA_SA_iPKfiiiPfSD_PS3_PT2_iSC_SC_
; %bb.0:
	s_load_dwordx2 s[0:1], s[4:5], 0x30
	s_mov_b32 s24, s7
	s_mov_b64 s[10:11], 0
	s_waitcnt lgkmcnt(0)
	s_cmp_lg_u64 s[0:1], 0
	s_cselect_b64 s[2:3], -1, 0
	s_and_b64 vcc, exec, s[2:3]
	s_cbranch_vccz .LBB597_7
; %bb.1:
	s_add_i32 s12, s6, 1
	s_mov_b32 s13, 0
	s_lshl_b64 s[14:15], s[12:13], 2
	s_add_u32 s14, s0, s14
	s_mov_b32 s7, s13
	s_addc_u32 s15, s1, s15
	s_lshl_b64 s[12:13], s[6:7], 2
	s_add_u32 s12, s0, s12
	s_addc_u32 s13, s1, s13
	s_load_dword s9, s[14:15], 0x0
	s_load_dword s16, s[12:13], 0x0
	s_waitcnt lgkmcnt(0)
	s_sub_i32 s9, s9, s16
	s_cmp_eq_u32 s9, 1
	s_cselect_b64 s[12:13], -1, 0
	s_andn2_b64 vcc, exec, s[10:11]
	s_cbranch_vccnz .LBB597_3
.LBB597_2:
	s_mov_b32 s7, 0
	s_mov_b64 s[12:13], -1
.LBB597_3:
	s_andn2_b64 vcc, exec, s[12:13]
	s_cbranch_vccnz .LBB597_785
; %bb.4:
	s_load_dwordx2 s[12:13], s[4:5], 0x28
	s_lshl_b64 s[10:11], s[6:7], 2
	s_waitcnt lgkmcnt(0)
	s_add_u32 s12, s12, s10
	s_addc_u32 s13, s13, s11
	s_load_dword s33, s[12:13], 0x0
	s_lshl_b32 s20, s24, 8
	s_waitcnt lgkmcnt(0)
	s_cmp_ge_i32 s20, s33
	s_cbranch_scc1 .LBB597_785
; %bb.5:
	s_add_i32 s14, s33, 31
	s_load_dwordx2 s[12:13], s[4:5], 0x20
	s_load_dword s9, s[4:5], 0x38
	s_ashr_i32 s15, s14, 31
	v_and_b32_e32 v1, 0xcf, v0
	s_lshr_b32 s15, s15, 27
	v_add_u32_e32 v1, s20, v1
	s_add_i32 s14, s14, s15
	v_ashrrev_i32_e32 v2, 31, v1
	s_ashr_i32 s22, s14, 5
	v_lshrrev_b32_e32 v4, 27, v2
	s_add_i32 s22, s22, -1
	v_add_u32_e32 v2, v1, v4
	s_waitcnt lgkmcnt(0)
	s_mul_i32 s14, s6, s9
	s_mov_b32 s15, 0
	v_ashrrev_i32_e32 v2, 5, v2
	v_mov_b32_e32 v5, s22
	v_cmp_gt_i32_e32 vcc, s33, v1
	s_lshl_b64 s[14:15], s[14:15], 2
	v_cndmask_b32_e32 v2, v5, v2, vcc
	s_add_u32 s9, s12, s14
	v_ashrrev_i32_e32 v3, 31, v2
	s_addc_u32 s21, s13, s15
	v_lshlrev_b64 v[2:3], 2, v[2:3]
	v_mov_b32_e32 v7, s21
	v_add_co_u32_e32 v6, vcc, s9, v2
	v_or_b32_e32 v2, 16, v1
	v_addc_co_u32_e32 v7, vcc, v7, v3, vcc
	v_add_u32_e32 v3, v2, v4
	v_ashrrev_i32_e32 v3, 5, v3
	v_cmp_gt_i32_e32 vcc, s33, v2
	v_cndmask_b32_e32 v2, v5, v3, vcc
	v_ashrrev_i32_e32 v3, 31, v2
	v_lshlrev_b64 v[2:3], 2, v[2:3]
	v_mov_b32_e32 v9, s21
	v_add_co_u32_e32 v8, vcc, s9, v2
	v_or_b32_e32 v2, 32, v1
	v_addc_co_u32_e32 v9, vcc, v9, v3, vcc
	v_add_u32_e32 v3, v2, v4
	v_ashrrev_i32_e32 v3, 5, v3
	v_cmp_gt_i32_e32 vcc, s33, v2
	v_cndmask_b32_e32 v2, v5, v3, vcc
	v_ashrrev_i32_e32 v3, 31, v2
	;; [unrolled: 10-line block ×3, first 2 shown]
	v_lshlrev_b64 v[2:3], 2, v[2:3]
	v_mov_b32_e32 v1, s21
	v_add_co_u32_e32 v12, vcc, s9, v2
	v_addc_co_u32_e32 v13, vcc, v1, v3, vcc
	global_load_dword v5, v[6:7], off
	global_load_dword v4, v[8:9], off
	;; [unrolled: 1-line block ×4, first 2 shown]
	s_load_dwordx4 s[12:15], s[4:5], 0x8
	s_andn2_b64 vcc, exec, s[2:3]
	s_cbranch_vccnz .LBB597_8
; %bb.6:
	s_add_u32 s0, s0, s10
	s_addc_u32 s1, s1, s11
	s_load_dword s10, s[0:1], 0x0
	s_branch .LBB597_9
.LBB597_7:
	s_mov_b64 s[12:13], 0
	s_branch .LBB597_2
.LBB597_8:
	s_mov_b32 s10, s6
.LBB597_9:
	s_load_dwordx4 s[16:19], s[4:5], 0x48
	v_and_b32_e32 v50, 15, v0
	s_movk_i32 s0, 0x80
	v_lshlrev_b32_e32 v6, 3, v50
	v_cmp_gt_u32_e32 vcc, s0, v0
	v_cmp_gt_u32_e64 s[0:1], 8, v50
	v_lshrrev_b32_e32 v49, 6, v0
	v_bfe_u32 v1, v0, 4, 2
	s_lshl_b32 s25, s8, 3
	s_and_b64 s[26:27], vcc, s[0:1]
	v_lshlrev_b32_e32 v46, 1, v6
	v_lshlrev_b32_e32 v47, 4, v0
	s_and_saveexec_b64 s[2:3], s[26:27]
	s_cbranch_execz .LBB597_11
; %bb.10:
	s_load_dwordx2 s[26:27], s[4:5], 0x0
	s_waitcnt lgkmcnt(0)
	s_ashr_i32 s11, s16, 31
	s_mul_hi_u32 s19, s10, s16
	s_mul_i32 s11, s10, s11
	v_lshl_or_b32 v10, v49, 2, v1
	s_add_i32 s11, s19, s11
	s_mul_i32 s10, s10, s16
	s_lshl_b64 s[10:11], s[10:11], 1
	v_add_lshl_u32 v6, v10, s25, 6
	s_add_u32 s10, s26, s10
	v_ashrrev_i32_e32 v7, 31, v6
	s_addc_u32 s11, s27, s11
	v_lshlrev_b64 v[6:7], 1, v[6:7]
	v_mov_b32_e32 v8, s11
	v_add_co_u32_e32 v6, vcc, s10, v6
	v_addc_co_u32_e32 v7, vcc, v8, v7, vcc
	v_add_co_u32_e32 v6, vcc, v6, v46
	v_addc_co_u32_e32 v7, vcc, 0, v7, vcc
	global_load_dwordx4 v[6:9], v[6:7], off
	v_lshlrev_b32_e32 v12, 8, v50
	v_lshlrev_b32_e32 v10, 5, v10
	v_and_b32_e32 v11, 16, v47
	v_and_b32_e32 v12, 0xe00, v12
	v_or3_b32 v10, v12, v10, v11
	s_waitcnt vmcnt(0)
	ds_write_b128 v10, v[6:9]
.LBB597_11:
	s_or_b64 exec, exec, s[2:3]
	s_waitcnt lgkmcnt(0)
	s_mul_i32 s8, s8, s18
	s_add_u32 s2, s12, s8
	s_addc_u32 s3, s13, 0
	v_and_b32_e32 v12, 48, v0
	s_ashr_i32 s10, s20, 31
	v_or_b32_e32 v13, s20, v12
	s_lshr_b32 s10, s10, 27
	v_add_u32_e32 v6, s10, v13
	v_ashrrev_i32_e32 v6, 5, v6
	v_mov_b32_e32 v14, s22
	v_cmp_gt_i32_e32 vcc, s33, v13
	v_cndmask_b32_e32 v6, v14, v6, vcc
	v_ashrrev_i32_e32 v7, 31, v6
	v_lshlrev_b64 v[6:7], 2, v[6:7]
	v_mov_b32_e32 v8, s21
	v_add_co_u32_e32 v6, vcc, s9, v6
	v_addc_co_u32_e32 v7, vcc, v8, v7, vcc
	v_or_b32_e32 v8, 64, v13
	v_add_u32_e32 v9, s10, v8
	v_ashrrev_i32_e32 v9, 5, v9
	v_cmp_gt_i32_e32 vcc, s33, v8
	v_cndmask_b32_e32 v8, v14, v9, vcc
	v_ashrrev_i32_e32 v9, 31, v8
	v_lshlrev_b64 v[8:9], 2, v[8:9]
	v_mov_b32_e32 v10, s21
	v_add_co_u32_e32 v8, vcc, s9, v8
	v_addc_co_u32_e32 v9, vcc, v10, v9, vcc
	v_or_b32_e32 v10, 0x80, v13
	v_add_u32_e32 v11, s10, v10
	v_ashrrev_i32_e32 v11, 5, v11
	v_cmp_gt_i32_e32 vcc, s33, v10
	v_cndmask_b32_e32 v10, v14, v11, vcc
	v_ashrrev_i32_e32 v11, 31, v10
	v_lshlrev_b64 v[10:11], 2, v[10:11]
	v_mov_b32_e32 v15, s21
	v_add_co_u32_e32 v10, vcc, s9, v10
	s_load_dwordx2 s[44:45], s[4:5], 0x94
	s_load_dwordx4 s[40:43], s[4:5], 0x80
	s_waitcnt lgkmcnt(0)
	s_barrier
	v_addc_co_u32_e32 v11, vcc, v15, v11, vcc
	global_load_dword v15, v[6:7], off
	global_load_dword v16, v[8:9], off
	;; [unrolled: 1-line block ×3, first 2 shown]
	v_or_b32_e32 v6, 0xc0, v13
	v_add_u32_e32 v7, s10, v6
	v_ashrrev_i32_e32 v7, 5, v7
	v_cmp_gt_i32_e32 vcc, s33, v6
	v_cndmask_b32_e32 v6, v14, v7, vcc
	v_ashrrev_i32_e32 v7, 31, v6
	v_lshlrev_b64 v[6:7], 2, v[6:7]
	v_mov_b32_e32 v8, s21
	v_add_co_u32_e32 v6, vcc, s9, v6
	v_addc_co_u32_e32 v7, vcc, v8, v7, vcc
	global_load_dword v20, v[6:7], off
	v_pk_mov_b32 v[6:7], s[2:3], s[2:3] op_sel:[0,1]
	s_waitcnt vmcnt(7)
	v_mad_i64_i32 v[8:9], s[2:3], v5, s17, v[6:7]
	v_lshlrev_b32_e32 v11, 4, v50
	v_add_co_u32_e32 v5, vcc, v8, v11
	v_lshlrev_b32_e32 v10, 5, v12
	v_addc_co_u32_e32 v9, vcc, 0, v9, vcc
	v_add_co_u32_e32 v8, vcc, v5, v10
	v_addc_co_u32_e32 v9, vcc, 0, v9, vcc
	s_waitcnt vmcnt(6)
	v_mad_i64_i32 v[4:5], s[2:3], v4, s17, v[6:7]
	v_or_b32_e32 v12, 0x100, v11
	v_add_co_u32_e32 v4, vcc, v4, v12
	v_addc_co_u32_e32 v5, vcc, 0, v5, vcc
	v_add_co_u32_e32 v4, vcc, v4, v10
	v_addc_co_u32_e32 v5, vcc, 0, v5, vcc
	global_load_dwordx4 v[30:33], v[8:9], off
	global_load_dwordx4 v[38:41], v[4:5], off
	s_waitcnt vmcnt(7)
	v_mad_i64_i32 v[4:5], s[2:3], v3, s17, v[6:7]
	v_add_co_u32_e32 v3, vcc, v4, v11
	v_addc_co_u32_e32 v5, vcc, 0, v5, vcc
	v_add_co_u32_e32 v4, vcc, v3, v10
	v_addc_co_u32_e32 v5, vcc, 0, v5, vcc
	s_waitcnt vmcnt(6)
	v_mad_i64_i32 v[2:3], s[2:3], v2, s17, v[6:7]
	v_add_co_u32_e32 v2, vcc, v2, v12
	v_addc_co_u32_e32 v3, vcc, 0, v3, vcc
	v_add_co_u32_e32 v2, vcc, v2, v10
	s_add_u32 s2, s14, s8
	v_addc_co_u32_e32 v3, vcc, 0, v3, vcc
	global_load_dwordx4 v[34:37], v[4:5], off
	global_load_dwordx4 v[22:25], v[2:3], off
	s_addc_u32 s3, s15, 0
	v_and_b32_e32 v2, 16, v0
	v_mov_b32_e32 v3, s3
	v_add_co_u32_e32 v2, vcc, s2, v2
	v_lshlrev_b32_e32 v48, 5, v50
	v_addc_co_u32_e32 v3, vcc, 0, v3, vcc
	v_lshl_or_b32 v4, v49, 9, v48
	v_add_co_u32_e32 v2, vcc, v2, v4
	v_addc_co_u32_e32 v3, vcc, 0, v3, vcc
	v_mov_b32_e32 v43, 0
	v_mov_b32_e32 v44, 0
	s_waitcnt vmcnt(7)
	v_mad_i64_i32 v[4:5], s[2:3], v15, s17, v[2:3]
	s_waitcnt vmcnt(6)
	v_mad_i64_i32 v[6:7], s[2:3], v16, s17, v[2:3]
	;; [unrolled: 2-line block ×3, first 2 shown]
	global_load_dwordx4 v[14:17], v[4:5], off
	global_load_dwordx4 v[10:13], v[6:7], off
	s_waitcnt vmcnt(6)
	v_mad_i64_i32 v[20:21], s[2:3], v20, s17, v[2:3]
	global_load_dwordx4 v[6:9], v[18:19], off
	global_load_dwordx4 v[2:5], v[20:21], off
	v_and_b32_e32 v18, 7, v0
	v_lshlrev_b32_e32 v18, 5, v18
	v_lshl_or_b32 v18, v1, 9, v18
	ds_read_b128 v[26:29], v18
	ds_read_b128 v[18:21], v18 offset:16
	s_load_dword s12, s[40:41], 0x0
	s_waitcnt vmcnt(7)
	v_cmp_ne_u16_sdwa s[8:9], v30, v43 src0_sel:BYTE_0 src1_sel:DWORD
	s_and_saveexec_b64 s[2:3], s[8:9]
	s_cbranch_execz .LBB597_17
; %bb.12:
	s_movk_i32 s8, 0x80
	v_cmp_ne_u16_sdwa s[10:11], v30, s8 src0_sel:BYTE_0 src1_sel:DWORD
	v_bfrev_b32_e32 v44, 1
	s_and_saveexec_b64 s[8:9], s[10:11]
	s_cbranch_execz .LBB597_16
; %bb.13:
	s_movk_i32 s10, 0x7f
	v_and_b32_e32 v42, 0x7f, v30
	v_cmp_ne_u32_e32 vcc, s10, v42
	v_mov_b32_e32 v44, 0x7f800001
	s_and_saveexec_b64 s[10:11], vcc
	s_cbranch_execz .LBB597_15
; %bb.14:
	v_and_b32_e32 v51, 7, v30
	v_ffbh_u32_e32 v44, v51
	v_min_u32_e32 v53, 32, v44
	v_subrev_u32_e32 v44, 28, v53
	v_lshlrev_b64 v[44:45], v44, v[30:31]
	v_lshrrev_b32_e32 v52, 3, v42
	v_sub_u32_e32 v45, 29, v53
	v_and_b32_e32 v44, 7, v44
	v_cmp_gt_u32_e32 vcc, 8, v42
	v_cndmask_b32_e32 v42, v52, v45, vcc
	v_cndmask_b32_e32 v44, v51, v44, vcc
	v_lshlrev_b32_e32 v45, 24, v30
	v_bfrev_b32_e32 v51, 60
	v_lshlrev_b32_e32 v44, 20, v44
	v_and_b32_e32 v45, 0x80000000, v45
	v_lshl_add_u32 v42, v42, 23, v51
	v_or3_b32 v44, v45, v42, v44
.LBB597_15:
	s_or_b64 exec, exec, s[10:11]
.LBB597_16:
	s_or_b64 exec, exec, s[8:9]
.LBB597_17:
	s_or_b64 exec, exec, s[2:3]
	v_lshrrev_b16_e32 v42, 8, v30
	v_cmp_ne_u16_e32 vcc, 0, v42
	s_and_saveexec_b64 s[2:3], vcc
	s_cbranch_execz .LBB597_23
; %bb.18:
	s_movk_i32 s8, 0x80
	v_cmp_ne_u16_e32 vcc, s8, v42
	v_bfrev_b32_e32 v43, 1
	s_and_saveexec_b64 s[8:9], vcc
	s_cbranch_execz .LBB597_22
; %bb.19:
	s_movk_i32 s10, 0x7f
	v_and_b32_e32 v45, 0x7f, v42
	v_cmp_ne_u32_e32 vcc, s10, v45
	v_mov_b32_e32 v43, 0x7f800001
	s_and_saveexec_b64 s[10:11], vcc
	s_cbranch_execz .LBB597_21
; %bb.20:
	v_and_b32_e32 v51, 7, v42
	v_ffbh_u32_e32 v43, v51
	v_min_u32_e32 v53, 32, v43
	v_subrev_u32_e32 v43, 28, v53
	v_lshlrev_b64 v[42:43], v43, v[42:43]
	v_lshrrev_b32_e32 v52, 3, v45
	v_sub_u32_e32 v43, 29, v53
	v_and_b32_e32 v42, 7, v42
	v_cmp_gt_u32_e32 vcc, 8, v45
	v_cndmask_b32_e32 v43, v52, v43, vcc
	v_cndmask_b32_e32 v42, v51, v42, vcc
	v_lshlrev_b32_e32 v45, 16, v30
	v_bfrev_b32_e32 v51, 60
	v_lshlrev_b32_e32 v42, 20, v42
	v_and_b32_e32 v45, 0x80000000, v45
	v_lshl_add_u32 v43, v43, 23, v51
	v_or3_b32 v43, v45, v43, v42
.LBB597_21:
	s_or_b64 exec, exec, s[10:11]
.LBB597_22:
	s_or_b64 exec, exec, s[8:9]
.LBB597_23:
	s_or_b64 exec, exec, s[2:3]
	s_movk_i32 s2, 0xff
	v_and_b32_sdwa v52, v30, s2 dst_sel:DWORD dst_unused:UNUSED_PAD src0_sel:WORD_1 src1_sel:DWORD
	v_lshrrev_b32_e32 v42, 16, v30
	v_cmp_ne_u16_e32 vcc, 0, v52
	v_mov_b32_e32 v45, 0
	v_mov_b32_e32 v51, 0
	s_and_saveexec_b64 s[2:3], vcc
	s_cbranch_execz .LBB597_29
; %bb.24:
	s_movk_i32 s8, 0x80
	v_cmp_ne_u16_e32 vcc, s8, v52
	v_bfrev_b32_e32 v51, 1
	s_and_saveexec_b64 s[8:9], vcc
	s_cbranch_execz .LBB597_28
; %bb.25:
	v_bfe_u32 v52, v30, 16, 7
	s_movk_i32 s10, 0x7f
	v_cmp_ne_u32_e32 vcc, s10, v52
	v_mov_b32_e32 v51, 0x7f800001
	s_and_saveexec_b64 s[10:11], vcc
	s_cbranch_execz .LBB597_27
; %bb.26:
	v_and_b32_e32 v51, 7, v42
	v_ffbh_u32_e32 v54, v51
	v_min_u32_e32 v56, 32, v54
	v_subrev_u32_e32 v54, 28, v56
	v_lshlrev_b64 v[54:55], v54, v[42:43]
	v_lshrrev_b32_e32 v53, 3, v52
	v_sub_u32_e32 v42, 29, v56
	v_and_b32_e32 v54, 7, v54
	v_cmp_gt_u32_e32 vcc, 8, v52
	v_mov_b32_e32 v52, 24
	v_cndmask_b32_e32 v42, v53, v42, vcc
	v_cndmask_b32_e32 v51, v51, v54, vcc
	v_lshlrev_b32_sdwa v52, v52, v30 dst_sel:DWORD dst_unused:UNUSED_PAD src0_sel:DWORD src1_sel:WORD_1
	v_bfrev_b32_e32 v53, 60
	v_lshlrev_b32_e32 v51, 20, v51
	v_and_b32_e32 v52, 0x80000000, v52
	v_lshl_add_u32 v42, v42, 23, v53
	v_or3_b32 v51, v52, v42, v51
.LBB597_27:
	s_or_b64 exec, exec, s[10:11]
.LBB597_28:
	s_or_b64 exec, exec, s[8:9]
.LBB597_29:
	s_or_b64 exec, exec, s[2:3]
	s_mov_b32 s2, 0xffffff
	v_cmp_lt_u32_e32 vcc, s2, v30
	s_and_saveexec_b64 s[2:3], vcc
	s_cbranch_execz .LBB597_35
; %bb.30:
	v_lshrrev_b32_e32 v42, 24, v30
	s_movk_i32 s8, 0x80
	v_cmp_ne_u32_e32 vcc, s8, v42
	v_bfrev_b32_e32 v45, 1
	s_and_saveexec_b64 s[8:9], vcc
	s_cbranch_execz .LBB597_34
; %bb.31:
	v_bfe_u32 v30, v30, 24, 7
	s_movk_i32 s10, 0x7f
	v_cmp_ne_u32_e32 vcc, s10, v30
	v_mov_b32_e32 v45, 0x7f800001
	s_and_saveexec_b64 s[10:11], vcc
	s_cbranch_execz .LBB597_33
; %bb.32:
	v_and_b32_e32 v45, 7, v42
	v_ffbh_u32_e32 v52, v45
	v_min_u32_e32 v55, 32, v52
	v_subrev_u32_e32 v52, 28, v55
	v_lshlrev_b64 v[52:53], v52, v[42:43]
	v_lshrrev_b32_e32 v54, 3, v30
	v_sub_u32_e32 v53, 29, v55
	v_and_b32_e32 v52, 7, v52
	v_cmp_gt_u32_e32 vcc, 8, v30
	v_cndmask_b32_e32 v30, v54, v53, vcc
	v_cndmask_b32_e32 v45, v45, v52, vcc
	v_lshlrev_b32_e32 v42, 24, v42
	v_bfrev_b32_e32 v52, 60
	v_lshlrev_b32_e32 v45, 20, v45
	v_and_b32_e32 v42, 0x80000000, v42
	v_lshl_add_u32 v30, v30, 23, v52
	v_or3_b32 v45, v42, v30, v45
.LBB597_33:
	s_or_b64 exec, exec, s[10:11]
.LBB597_34:
	s_or_b64 exec, exec, s[8:9]
.LBB597_35:
	s_or_b64 exec, exec, s[2:3]
	v_mov_b32_e32 v42, 0
	v_cmp_ne_u16_sdwa s[8:9], v31, v42 src0_sel:BYTE_0 src1_sel:DWORD
	v_mov_b32_e32 v52, 0
	s_and_saveexec_b64 s[2:3], s[8:9]
	s_cbranch_execz .LBB597_41
; %bb.36:
	s_movk_i32 s8, 0x80
	v_cmp_ne_u16_sdwa s[10:11], v31, s8 src0_sel:BYTE_0 src1_sel:DWORD
	v_bfrev_b32_e32 v52, 1
	s_and_saveexec_b64 s[8:9], s[10:11]
	s_cbranch_execz .LBB597_40
; %bb.37:
	s_movk_i32 s10, 0x7f
	v_and_b32_e32 v30, 0x7f, v31
	v_cmp_ne_u32_e32 vcc, s10, v30
	v_mov_b32_e32 v52, 0x7f800001
	s_and_saveexec_b64 s[10:11], vcc
	s_cbranch_execz .LBB597_39
; %bb.38:
	v_and_b32_e32 v54, 7, v31
	v_ffbh_u32_e32 v53, v54
	v_min_u32_e32 v56, 32, v53
	v_mov_b32_e32 v52, v31
	v_subrev_u32_e32 v53, 28, v56
	v_lshlrev_b64 v[52:53], v53, v[52:53]
	v_lshrrev_b32_e32 v55, 3, v30
	v_sub_u32_e32 v53, 29, v56
	v_and_b32_e32 v52, 7, v52
	v_cmp_gt_u32_e32 vcc, 8, v30
	v_cndmask_b32_e32 v30, v55, v53, vcc
	v_cndmask_b32_e32 v52, v54, v52, vcc
	v_lshlrev_b32_e32 v53, 24, v31
	v_bfrev_b32_e32 v54, 60
	v_lshlrev_b32_e32 v52, 20, v52
	v_and_b32_e32 v53, 0x80000000, v53
	v_lshl_add_u32 v30, v30, 23, v54
	v_or3_b32 v52, v53, v30, v52
.LBB597_39:
	s_or_b64 exec, exec, s[10:11]
.LBB597_40:
	s_or_b64 exec, exec, s[8:9]
.LBB597_41:
	s_or_b64 exec, exec, s[2:3]
	v_lshrrev_b16_e32 v30, 8, v31
	v_cmp_ne_u16_e32 vcc, 0, v30
	s_and_saveexec_b64 s[2:3], vcc
	s_cbranch_execz .LBB597_47
; %bb.42:
	s_movk_i32 s8, 0x80
	v_cmp_ne_u16_e32 vcc, s8, v30
	v_bfrev_b32_e32 v42, 1
	s_and_saveexec_b64 s[8:9], vcc
	s_cbranch_execz .LBB597_46
; %bb.43:
	s_movk_i32 s10, 0x7f
	v_and_b32_e32 v53, 0x7f, v30
	v_cmp_ne_u32_e32 vcc, s10, v53
	v_mov_b32_e32 v42, 0x7f800001
	s_and_saveexec_b64 s[10:11], vcc
	s_cbranch_execz .LBB597_45
; %bb.44:
	v_and_b32_e32 v42, 7, v30
	v_ffbh_u32_e32 v54, v42
	v_min_u32_e32 v57, 32, v54
	v_subrev_u32_e32 v54, 28, v57
	v_lshlrev_b64 v[54:55], v54, v[30:31]
	v_lshrrev_b32_e32 v56, 3, v53
	v_sub_u32_e32 v30, 29, v57
	v_and_b32_e32 v54, 7, v54
	v_cmp_gt_u32_e32 vcc, 8, v53
	v_cndmask_b32_e32 v30, v56, v30, vcc
	v_cndmask_b32_e32 v42, v42, v54, vcc
	v_lshlrev_b32_e32 v53, 16, v31
	v_bfrev_b32_e32 v54, 60
	v_lshlrev_b32_e32 v42, 20, v42
	v_and_b32_e32 v53, 0x80000000, v53
	v_lshl_add_u32 v30, v30, 23, v54
	v_or3_b32 v42, v53, v30, v42
.LBB597_45:
	s_or_b64 exec, exec, s[10:11]
.LBB597_46:
	s_or_b64 exec, exec, s[8:9]
.LBB597_47:
	s_or_b64 exec, exec, s[2:3]
	s_movk_i32 s2, 0xff
	v_and_b32_sdwa v55, v31, s2 dst_sel:DWORD dst_unused:UNUSED_PAD src0_sel:WORD_1 src1_sel:DWORD
	v_lshrrev_b32_e32 v30, 16, v31
	v_cmp_ne_u16_e32 vcc, 0, v55
	v_mov_b32_e32 v53, 0
	v_mov_b32_e32 v54, 0
	s_and_saveexec_b64 s[2:3], vcc
	s_cbranch_execz .LBB597_53
; %bb.48:
	s_movk_i32 s8, 0x80
	v_cmp_ne_u16_e32 vcc, s8, v55
	v_bfrev_b32_e32 v54, 1
	s_and_saveexec_b64 s[8:9], vcc
	s_cbranch_execz .LBB597_52
; %bb.49:
	v_bfe_u32 v55, v31, 16, 7
	s_movk_i32 s10, 0x7f
	v_cmp_ne_u32_e32 vcc, s10, v55
	v_mov_b32_e32 v54, 0x7f800001
	s_and_saveexec_b64 s[10:11], vcc
	s_cbranch_execz .LBB597_51
; %bb.50:
	v_and_b32_e32 v54, 7, v30
	v_ffbh_u32_e32 v56, v54
	v_min_u32_e32 v59, 32, v56
	v_subrev_u32_e32 v56, 28, v59
	v_lshlrev_b64 v[56:57], v56, v[30:31]
	v_lshrrev_b32_e32 v58, 3, v55
	v_sub_u32_e32 v30, 29, v59
	v_and_b32_e32 v56, 7, v56
	v_cmp_gt_u32_e32 vcc, 8, v55
	v_mov_b32_e32 v55, 24
	v_cndmask_b32_e32 v30, v58, v30, vcc
	v_cndmask_b32_e32 v54, v54, v56, vcc
	v_lshlrev_b32_sdwa v55, v55, v31 dst_sel:DWORD dst_unused:UNUSED_PAD src0_sel:DWORD src1_sel:WORD_1
	v_bfrev_b32_e32 v56, 60
	v_lshlrev_b32_e32 v54, 20, v54
	v_and_b32_e32 v55, 0x80000000, v55
	v_lshl_add_u32 v30, v30, 23, v56
	v_or3_b32 v54, v55, v30, v54
.LBB597_51:
	s_or_b64 exec, exec, s[10:11]
.LBB597_52:
	s_or_b64 exec, exec, s[8:9]
.LBB597_53:
	s_or_b64 exec, exec, s[2:3]
	s_mov_b32 s2, 0xffffff
	v_cmp_lt_u32_e32 vcc, s2, v31
	s_and_saveexec_b64 s[2:3], vcc
	s_cbranch_execz .LBB597_59
; %bb.54:
	v_lshrrev_b32_e32 v30, 24, v31
	s_movk_i32 s8, 0x80
	v_cmp_ne_u32_e32 vcc, s8, v30
	v_bfrev_b32_e32 v53, 1
	s_and_saveexec_b64 s[8:9], vcc
	s_cbranch_execz .LBB597_58
; %bb.55:
	v_bfe_u32 v31, v31, 24, 7
	s_movk_i32 s10, 0x7f
	v_cmp_ne_u32_e32 vcc, s10, v31
	v_mov_b32_e32 v53, 0x7f800001
	s_and_saveexec_b64 s[10:11], vcc
	s_cbranch_execz .LBB597_57
; %bb.56:
	v_and_b32_e32 v53, 7, v30
	v_ffbh_u32_e32 v56, v53
	v_min_u32_e32 v58, 32, v56
	v_subrev_u32_e32 v56, 28, v58
	v_lshlrev_b64 v[56:57], v56, v[30:31]
	v_lshrrev_b32_e32 v55, 3, v31
	v_sub_u32_e32 v57, 29, v58
	v_and_b32_e32 v56, 7, v56
	v_cmp_gt_u32_e32 vcc, 8, v31
	v_cndmask_b32_e32 v31, v55, v57, vcc
	v_cndmask_b32_e32 v53, v53, v56, vcc
	v_lshlrev_b32_e32 v30, 24, v30
	v_bfrev_b32_e32 v55, 60
	v_lshlrev_b32_e32 v53, 20, v53
	v_and_b32_e32 v30, 0x80000000, v30
	v_lshl_add_u32 v31, v31, 23, v55
	v_or3_b32 v53, v30, v31, v53
.LBB597_57:
	s_or_b64 exec, exec, s[10:11]
.LBB597_58:
	s_or_b64 exec, exec, s[8:9]
.LBB597_59:
	s_or_b64 exec, exec, s[2:3]
	v_cvt_pkrtz_f16_f32 v30, v44, v43
	v_cvt_pkrtz_f16_f32 v31, v51, v45
	;; [unrolled: 1-line block ×4, first 2 shown]
	v_mov_b32_e32 v52, 0
	s_waitcnt lgkmcnt(0)
	v_mfma_f32_16x16x16f16 v[56:59], v[30:31], v[26:27], 0
	v_mov_b32_e32 v31, 0
	v_cmp_ne_u16_sdwa s[8:9], v32, v31 src0_sel:BYTE_0 src1_sel:DWORD
	v_mfma_f32_16x16x16f16 v[42:45], v[42:43], v[28:29], v[56:59]
	s_and_saveexec_b64 s[2:3], s[8:9]
	s_cbranch_execz .LBB597_65
; %bb.60:
	s_movk_i32 s8, 0x80
	v_cmp_ne_u16_sdwa s[10:11], v32, s8 src0_sel:BYTE_0 src1_sel:DWORD
	v_bfrev_b32_e32 v52, 1
	s_and_saveexec_b64 s[8:9], s[10:11]
	s_cbranch_execz .LBB597_64
; %bb.61:
	s_movk_i32 s10, 0x7f
	v_and_b32_e32 v30, 0x7f, v32
	v_cmp_ne_u32_e32 vcc, s10, v30
	v_mov_b32_e32 v52, 0x7f800001
	s_and_saveexec_b64 s[10:11], vcc
	s_cbranch_execz .LBB597_63
; %bb.62:
	v_and_b32_e32 v51, 7, v32
	v_ffbh_u32_e32 v52, v51
	v_min_u32_e32 v55, 32, v52
	v_subrev_u32_e32 v52, 28, v55
	v_lshlrev_b64 v[52:53], v52, v[32:33]
	v_lshrrev_b32_e32 v54, 3, v30
	v_sub_u32_e32 v53, 29, v55
	v_and_b32_e32 v52, 7, v52
	v_cmp_gt_u32_e32 vcc, 8, v30
	v_cndmask_b32_e32 v30, v54, v53, vcc
	v_cndmask_b32_e32 v51, v51, v52, vcc
	v_lshlrev_b32_e32 v52, 24, v32
	v_bfrev_b32_e32 v53, 60
	v_lshlrev_b32_e32 v51, 20, v51
	v_and_b32_e32 v52, 0x80000000, v52
	v_lshl_add_u32 v30, v30, 23, v53
	v_or3_b32 v52, v52, v30, v51
.LBB597_63:
	s_or_b64 exec, exec, s[10:11]
.LBB597_64:
	s_or_b64 exec, exec, s[8:9]
.LBB597_65:
	s_or_b64 exec, exec, s[2:3]
	v_lshrrev_b16_e32 v30, 8, v32
	v_cmp_ne_u16_e32 vcc, 0, v30
	v_mov_b32_e32 v53, 0
	s_and_saveexec_b64 s[2:3], vcc
	s_cbranch_execz .LBB597_71
; %bb.66:
	s_movk_i32 s8, 0x80
	v_cmp_ne_u16_e32 vcc, s8, v30
	v_bfrev_b32_e32 v53, 1
	s_and_saveexec_b64 s[8:9], vcc
	s_cbranch_execz .LBB597_70
; %bb.67:
	s_movk_i32 s10, 0x7f
	v_and_b32_e32 v51, 0x7f, v30
	v_cmp_ne_u32_e32 vcc, s10, v51
	v_mov_b32_e32 v53, 0x7f800001
	s_and_saveexec_b64 s[10:11], vcc
	s_cbranch_execz .LBB597_69
; %bb.68:
	v_and_b32_e32 v53, 7, v30
	v_ffbh_u32_e32 v54, v53
	v_min_u32_e32 v57, 32, v54
	v_subrev_u32_e32 v54, 28, v57
	v_lshlrev_b64 v[54:55], v54, v[30:31]
	v_lshrrev_b32_e32 v56, 3, v51
	v_sub_u32_e32 v30, 29, v57
	v_and_b32_e32 v54, 7, v54
	v_cmp_gt_u32_e32 vcc, 8, v51
	v_cndmask_b32_e32 v30, v56, v30, vcc
	v_cndmask_b32_e32 v51, v53, v54, vcc
	v_lshlrev_b32_e32 v53, 16, v32
	v_bfrev_b32_e32 v54, 60
	v_lshlrev_b32_e32 v51, 20, v51
	v_and_b32_e32 v53, 0x80000000, v53
	v_lshl_add_u32 v30, v30, 23, v54
	v_or3_b32 v53, v53, v30, v51
.LBB597_69:
	s_or_b64 exec, exec, s[10:11]
.LBB597_70:
	s_or_b64 exec, exec, s[8:9]
.LBB597_71:
	s_or_b64 exec, exec, s[2:3]
	s_movk_i32 s2, 0xff
	v_and_b32_sdwa v51, v32, s2 dst_sel:DWORD dst_unused:UNUSED_PAD src0_sel:WORD_1 src1_sel:DWORD
	v_lshrrev_b32_e32 v30, 16, v32
	v_cmp_ne_u16_e32 vcc, 0, v51
	s_and_saveexec_b64 s[2:3], vcc
	s_cbranch_execz .LBB597_77
; %bb.72:
	s_movk_i32 s8, 0x80
	v_cmp_ne_u16_e32 vcc, s8, v51
	v_bfrev_b32_e32 v31, 1
	s_and_saveexec_b64 s[8:9], vcc
	s_cbranch_execz .LBB597_76
; %bb.73:
	v_bfe_u32 v51, v32, 16, 7
	s_movk_i32 s10, 0x7f
	v_cmp_ne_u32_e32 vcc, s10, v51
	v_mov_b32_e32 v31, 0x7f800001
	s_and_saveexec_b64 s[10:11], vcc
	s_cbranch_execz .LBB597_75
; %bb.74:
	v_and_b32_e32 v54, 7, v30
	v_ffbh_u32_e32 v31, v54
	v_min_u32_e32 v56, 32, v31
	v_subrev_u32_e32 v31, 28, v56
	v_lshlrev_b64 v[30:31], v31, v[30:31]
	v_lshrrev_b32_e32 v55, 3, v51
	v_sub_u32_e32 v31, 29, v56
	v_and_b32_e32 v30, 7, v30
	v_cmp_gt_u32_e32 vcc, 8, v51
	v_mov_b32_e32 v51, 24
	v_cndmask_b32_e32 v31, v55, v31, vcc
	v_cndmask_b32_e32 v30, v54, v30, vcc
	v_lshlrev_b32_sdwa v51, v51, v32 dst_sel:DWORD dst_unused:UNUSED_PAD src0_sel:DWORD src1_sel:WORD_1
	v_bfrev_b32_e32 v54, 60
	v_lshlrev_b32_e32 v30, 20, v30
	v_and_b32_e32 v51, 0x80000000, v51
	v_lshl_add_u32 v31, v31, 23, v54
	v_or3_b32 v31, v51, v31, v30
.LBB597_75:
	s_or_b64 exec, exec, s[10:11]
.LBB597_76:
	s_or_b64 exec, exec, s[8:9]
.LBB597_77:
	s_or_b64 exec, exec, s[2:3]
	s_mov_b32 s2, 0xffffff
	v_cmp_lt_u32_e32 vcc, s2, v32
	v_mov_b32_e32 v54, 0
	v_mov_b32_e32 v55, 0
	s_and_saveexec_b64 s[2:3], vcc
	s_cbranch_execz .LBB597_83
; %bb.78:
	v_lshrrev_b32_e32 v30, 24, v32
	s_movk_i32 s8, 0x80
	v_cmp_ne_u32_e32 vcc, s8, v30
	v_bfrev_b32_e32 v55, 1
	s_and_saveexec_b64 s[8:9], vcc
	s_cbranch_execz .LBB597_82
; %bb.79:
	v_bfe_u32 v32, v32, 24, 7
	s_movk_i32 s10, 0x7f
	v_cmp_ne_u32_e32 vcc, s10, v32
	v_mov_b32_e32 v55, 0x7f800001
	s_and_saveexec_b64 s[10:11], vcc
	s_cbranch_execz .LBB597_81
; %bb.80:
	v_and_b32_e32 v51, 7, v30
	v_ffbh_u32_e32 v56, v51
	v_min_u32_e32 v58, 32, v56
	v_subrev_u32_e32 v56, 28, v58
	v_lshlrev_b64 v[56:57], v56, v[30:31]
	v_lshrrev_b32_e32 v55, 3, v32
	v_sub_u32_e32 v57, 29, v58
	v_and_b32_e32 v56, 7, v56
	v_cmp_gt_u32_e32 vcc, 8, v32
	v_cndmask_b32_e32 v32, v55, v57, vcc
	v_cndmask_b32_e32 v51, v51, v56, vcc
	v_lshlrev_b32_e32 v30, 24, v30
	v_bfrev_b32_e32 v55, 60
	v_lshlrev_b32_e32 v51, 20, v51
	v_and_b32_e32 v30, 0x80000000, v30
	v_lshl_add_u32 v32, v32, 23, v55
	v_or3_b32 v55, v30, v32, v51
.LBB597_81:
	s_or_b64 exec, exec, s[10:11]
.LBB597_82:
	s_or_b64 exec, exec, s[8:9]
.LBB597_83:
	s_or_b64 exec, exec, s[2:3]
	v_cmp_ne_u16_sdwa s[8:9], v33, v54 src0_sel:BYTE_0 src1_sel:DWORD
	s_and_saveexec_b64 s[2:3], s[8:9]
	s_cbranch_execz .LBB597_89
; %bb.84:
	s_movk_i32 s8, 0x80
	v_cmp_ne_u16_sdwa s[10:11], v33, s8 src0_sel:BYTE_0 src1_sel:DWORD
	v_bfrev_b32_e32 v54, 1
	s_and_saveexec_b64 s[8:9], s[10:11]
	s_cbranch_execz .LBB597_88
; %bb.85:
	s_movk_i32 s10, 0x7f
	v_and_b32_e32 v30, 0x7f, v33
	v_cmp_ne_u32_e32 vcc, s10, v30
	v_mov_b32_e32 v54, 0x7f800001
	s_and_saveexec_b64 s[10:11], vcc
	s_cbranch_execz .LBB597_87
; %bb.86:
	v_and_b32_e32 v51, 7, v33
	v_ffbh_u32_e32 v56, v51
	v_min_u32_e32 v58, 32, v56
	v_mov_b32_e32 v32, v33
	v_subrev_u32_e32 v56, 28, v58
	v_lshlrev_b64 v[56:57], v56, v[32:33]
	v_lshrrev_b32_e32 v54, 3, v30
	v_sub_u32_e32 v32, 29, v58
	v_and_b32_e32 v56, 7, v56
	v_cmp_gt_u32_e32 vcc, 8, v30
	v_cndmask_b32_e32 v30, v54, v32, vcc
	v_cndmask_b32_e32 v32, v51, v56, vcc
	v_lshlrev_b32_e32 v51, 24, v33
	v_bfrev_b32_e32 v54, 60
	v_lshlrev_b32_e32 v32, 20, v32
	v_and_b32_e32 v51, 0x80000000, v51
	v_lshl_add_u32 v30, v30, 23, v54
	v_or3_b32 v54, v51, v30, v32
.LBB597_87:
	s_or_b64 exec, exec, s[10:11]
.LBB597_88:
	s_or_b64 exec, exec, s[8:9]
.LBB597_89:
	s_or_b64 exec, exec, s[2:3]
	v_lshrrev_b16_e32 v30, 8, v33
	v_cmp_ne_u16_e32 vcc, 0, v30
	v_mov_b32_e32 v32, 0
	v_mov_b32_e32 v56, 0
	s_and_saveexec_b64 s[2:3], vcc
	s_cbranch_execz .LBB597_95
; %bb.90:
	s_movk_i32 s8, 0x80
	v_cmp_ne_u16_e32 vcc, s8, v30
	v_bfrev_b32_e32 v56, 1
	s_and_saveexec_b64 s[8:9], vcc
	s_cbranch_execz .LBB597_94
; %bb.91:
	s_movk_i32 s10, 0x7f
	v_and_b32_e32 v51, 0x7f, v30
	v_cmp_ne_u32_e32 vcc, s10, v51
	v_mov_b32_e32 v56, 0x7f800001
	s_and_saveexec_b64 s[10:11], vcc
	s_cbranch_execz .LBB597_93
; %bb.92:
	v_and_b32_e32 v58, 7, v30
	v_ffbh_u32_e32 v56, v58
	v_min_u32_e32 v60, 32, v56
	v_subrev_u32_e32 v56, 28, v60
	v_lshlrev_b64 v[56:57], v56, v[30:31]
	v_lshrrev_b32_e32 v59, 3, v51
	v_sub_u32_e32 v30, 29, v60
	v_and_b32_e32 v56, 7, v56
	v_cmp_gt_u32_e32 vcc, 8, v51
	v_cndmask_b32_e32 v30, v59, v30, vcc
	v_cndmask_b32_e32 v51, v58, v56, vcc
	v_lshlrev_b32_e32 v56, 16, v33
	v_bfrev_b32_e32 v57, 60
	v_lshlrev_b32_e32 v51, 20, v51
	v_and_b32_e32 v56, 0x80000000, v56
	v_lshl_add_u32 v30, v30, 23, v57
	v_or3_b32 v56, v56, v30, v51
.LBB597_93:
	s_or_b64 exec, exec, s[10:11]
.LBB597_94:
	s_or_b64 exec, exec, s[8:9]
.LBB597_95:
	s_or_b64 exec, exec, s[2:3]
	s_movk_i32 s2, 0xff
	v_and_b32_sdwa v51, v33, s2 dst_sel:DWORD dst_unused:UNUSED_PAD src0_sel:WORD_1 src1_sel:DWORD
	v_lshrrev_b32_e32 v30, 16, v33
	v_cmp_ne_u16_e32 vcc, 0, v51
	s_and_saveexec_b64 s[2:3], vcc
	s_cbranch_execz .LBB597_101
; %bb.96:
	s_movk_i32 s8, 0x80
	v_cmp_ne_u16_e32 vcc, s8, v51
	v_bfrev_b32_e32 v32, 1
	s_and_saveexec_b64 s[8:9], vcc
	s_cbranch_execz .LBB597_100
; %bb.97:
	v_bfe_u32 v51, v33, 16, 7
	s_movk_i32 s10, 0x7f
	v_cmp_ne_u32_e32 vcc, s10, v51
	v_mov_b32_e32 v32, 0x7f800001
	s_and_saveexec_b64 s[10:11], vcc
	s_cbranch_execz .LBB597_99
; %bb.98:
	v_and_b32_e32 v32, 7, v30
	v_ffbh_u32_e32 v58, v32
	v_min_u32_e32 v60, 32, v58
	v_subrev_u32_e32 v58, 28, v60
	v_lshlrev_b64 v[58:59], v58, v[30:31]
	v_lshrrev_b32_e32 v57, 3, v51
	v_sub_u32_e32 v30, 29, v60
	v_and_b32_e32 v58, 7, v58
	v_cmp_gt_u32_e32 vcc, 8, v51
	v_mov_b32_e32 v51, 24
	v_cndmask_b32_e32 v30, v57, v30, vcc
	v_cndmask_b32_e32 v32, v32, v58, vcc
	v_lshlrev_b32_sdwa v51, v51, v33 dst_sel:DWORD dst_unused:UNUSED_PAD src0_sel:DWORD src1_sel:WORD_1
	v_bfrev_b32_e32 v57, 60
	v_lshlrev_b32_e32 v32, 20, v32
	v_and_b32_e32 v51, 0x80000000, v51
	v_lshl_add_u32 v30, v30, 23, v57
	v_or3_b32 v32, v51, v30, v32
.LBB597_99:
	s_or_b64 exec, exec, s[10:11]
.LBB597_100:
	s_or_b64 exec, exec, s[8:9]
.LBB597_101:
	s_or_b64 exec, exec, s[2:3]
	s_mov_b32 s2, 0xffffff
	v_cmp_lt_u32_e32 vcc, s2, v33
	v_mov_b32_e32 v51, 0
	v_mov_b32_e32 v57, 0
	s_and_saveexec_b64 s[2:3], vcc
	s_cbranch_execz .LBB597_107
; %bb.102:
	v_lshrrev_b32_e32 v30, 24, v33
	s_movk_i32 s8, 0x80
	v_cmp_ne_u32_e32 vcc, s8, v30
	v_bfrev_b32_e32 v57, 1
	s_and_saveexec_b64 s[8:9], vcc
	s_cbranch_execz .LBB597_106
; %bb.103:
	v_bfe_u32 v33, v33, 24, 7
	s_movk_i32 s10, 0x7f
	v_cmp_ne_u32_e32 vcc, s10, v33
	v_mov_b32_e32 v57, 0x7f800001
	s_and_saveexec_b64 s[10:11], vcc
	s_cbranch_execz .LBB597_105
; %bb.104:
	v_and_b32_e32 v57, 7, v30
	v_ffbh_u32_e32 v58, v57
	v_min_u32_e32 v61, 32, v58
	v_subrev_u32_e32 v58, 28, v61
	v_lshlrev_b64 v[58:59], v58, v[30:31]
	v_lshrrev_b32_e32 v60, 3, v33
	v_sub_u32_e32 v59, 29, v61
	v_and_b32_e32 v58, 7, v58
	v_cmp_gt_u32_e32 vcc, 8, v33
	v_cndmask_b32_e32 v33, v60, v59, vcc
	v_cndmask_b32_e32 v57, v57, v58, vcc
	v_lshlrev_b32_e32 v30, 24, v30
	v_bfrev_b32_e32 v58, 60
	v_lshlrev_b32_e32 v57, 20, v57
	v_and_b32_e32 v30, 0x80000000, v30
	v_lshl_add_u32 v33, v33, 23, v58
	v_or3_b32 v57, v30, v33, v57
.LBB597_105:
	s_or_b64 exec, exec, s[10:11]
.LBB597_106:
	s_or_b64 exec, exec, s[8:9]
.LBB597_107:
	s_or_b64 exec, exec, s[2:3]
	v_cvt_pkrtz_f16_f32 v30, v52, v53
	v_cvt_pkrtz_f16_f32 v31, v31, v55
	s_waitcnt vmcnt(6)
	v_cmp_ne_u16_sdwa s[8:9], v38, v51 src0_sel:BYTE_0 src1_sel:DWORD
	v_mfma_f32_16x16x16f16 v[42:45], v[30:31], v[18:19], v[42:45]
	v_cvt_pkrtz_f16_f32 v30, v54, v56
	v_cvt_pkrtz_f16_f32 v31, v32, v57
	s_nop 1
	v_mfma_f32_16x16x16f16 v[30:33], v[30:31], v[20:21], v[42:45]
	s_and_saveexec_b64 s[2:3], s[8:9]
	s_cbranch_execz .LBB597_113
; %bb.108:
	s_movk_i32 s8, 0x80
	v_cmp_ne_u16_sdwa s[10:11], v38, s8 src0_sel:BYTE_0 src1_sel:DWORD
	v_bfrev_b32_e32 v51, 1
	s_and_saveexec_b64 s[8:9], s[10:11]
	s_cbranch_execz .LBB597_112
; %bb.109:
	s_movk_i32 s10, 0x7f
	v_and_b32_e32 v42, 0x7f, v38
	v_cmp_ne_u32_e32 vcc, s10, v42
	v_mov_b32_e32 v51, 0x7f800001
	s_and_saveexec_b64 s[10:11], vcc
	s_cbranch_execz .LBB597_111
; %bb.110:
	v_and_b32_e32 v43, 7, v38
	v_ffbh_u32_e32 v44, v43
	v_min_u32_e32 v52, 32, v44
	v_subrev_u32_e32 v44, 28, v52
	v_lshlrev_b64 v[44:45], v44, v[38:39]
	v_lshrrev_b32_e32 v51, 3, v42
	v_sub_u32_e32 v45, 29, v52
	v_and_b32_e32 v44, 7, v44
	v_cmp_gt_u32_e32 vcc, 8, v42
	v_cndmask_b32_e32 v42, v51, v45, vcc
	v_cndmask_b32_e32 v43, v43, v44, vcc
	v_lshlrev_b32_e32 v44, 24, v38
	v_bfrev_b32_e32 v45, 60
	v_lshlrev_b32_e32 v43, 20, v43
	v_and_b32_e32 v44, 0x80000000, v44
	v_lshl_add_u32 v42, v42, 23, v45
	v_or3_b32 v51, v44, v42, v43
.LBB597_111:
	s_or_b64 exec, exec, s[10:11]
.LBB597_112:
	s_or_b64 exec, exec, s[8:9]
.LBB597_113:
	s_or_b64 exec, exec, s[2:3]
	s_nop 3
	v_lshrrev_b16_e32 v42, 8, v38
	v_cmp_ne_u16_e32 vcc, 0, v42
	v_mov_b32_e32 v43, 0
	v_mov_b32_e32 v44, 0
	s_and_saveexec_b64 s[2:3], vcc
	s_cbranch_execz .LBB597_119
; %bb.114:
	s_movk_i32 s8, 0x80
	v_cmp_ne_u16_e32 vcc, s8, v42
	v_bfrev_b32_e32 v44, 1
	s_and_saveexec_b64 s[8:9], vcc
	s_cbranch_execz .LBB597_118
; %bb.115:
	s_movk_i32 s10, 0x7f
	v_and_b32_e32 v45, 0x7f, v42
	v_cmp_ne_u32_e32 vcc, s10, v45
	v_mov_b32_e32 v44, 0x7f800001
	s_and_saveexec_b64 s[10:11], vcc
	s_cbranch_execz .LBB597_117
; %bb.116:
	v_and_b32_e32 v44, 7, v42
	v_ffbh_u32_e32 v52, v44
	v_min_u32_e32 v55, 32, v52
	v_subrev_u32_e32 v52, 28, v55
	v_lshlrev_b64 v[52:53], v52, v[42:43]
	v_lshrrev_b32_e32 v54, 3, v45
	v_sub_u32_e32 v42, 29, v55
	v_and_b32_e32 v52, 7, v52
	v_cmp_gt_u32_e32 vcc, 8, v45
	v_cndmask_b32_e32 v42, v54, v42, vcc
	v_cndmask_b32_e32 v44, v44, v52, vcc
	v_lshlrev_b32_e32 v45, 16, v38
	v_bfrev_b32_e32 v52, 60
	v_lshlrev_b32_e32 v44, 20, v44
	v_and_b32_e32 v45, 0x80000000, v45
	v_lshl_add_u32 v42, v42, 23, v52
	v_or3_b32 v44, v45, v42, v44
.LBB597_117:
	s_or_b64 exec, exec, s[10:11]
.LBB597_118:
	s_or_b64 exec, exec, s[8:9]
.LBB597_119:
	s_or_b64 exec, exec, s[2:3]
	s_movk_i32 s2, 0xff
	v_and_b32_sdwa v45, v38, s2 dst_sel:DWORD dst_unused:UNUSED_PAD src0_sel:WORD_1 src1_sel:DWORD
	v_lshrrev_b32_e32 v42, 16, v38
	v_cmp_ne_u16_e32 vcc, 0, v45
	s_and_saveexec_b64 s[2:3], vcc
	s_cbranch_execz .LBB597_125
; %bb.120:
	s_movk_i32 s8, 0x80
	v_cmp_ne_u16_e32 vcc, s8, v45
	v_bfrev_b32_e32 v43, 1
	s_and_saveexec_b64 s[8:9], vcc
	s_cbranch_execz .LBB597_124
; %bb.121:
	v_bfe_u32 v45, v38, 16, 7
	s_movk_i32 s10, 0x7f
	v_cmp_ne_u32_e32 vcc, s10, v45
	v_mov_b32_e32 v43, 0x7f800001
	s_and_saveexec_b64 s[10:11], vcc
	s_cbranch_execz .LBB597_123
; %bb.122:
	v_and_b32_e32 v52, 7, v42
	v_ffbh_u32_e32 v43, v52
	v_min_u32_e32 v54, 32, v43
	v_subrev_u32_e32 v43, 28, v54
	v_lshlrev_b64 v[42:43], v43, v[42:43]
	v_lshrrev_b32_e32 v53, 3, v45
	v_sub_u32_e32 v43, 29, v54
	v_and_b32_e32 v42, 7, v42
	v_cmp_gt_u32_e32 vcc, 8, v45
	v_mov_b32_e32 v45, 24
	v_cndmask_b32_e32 v43, v53, v43, vcc
	v_cndmask_b32_e32 v42, v52, v42, vcc
	v_lshlrev_b32_sdwa v45, v45, v38 dst_sel:DWORD dst_unused:UNUSED_PAD src0_sel:DWORD src1_sel:WORD_1
	v_bfrev_b32_e32 v52, 60
	v_lshlrev_b32_e32 v42, 20, v42
	v_and_b32_e32 v45, 0x80000000, v45
	v_lshl_add_u32 v43, v43, 23, v52
	v_or3_b32 v43, v45, v43, v42
.LBB597_123:
	s_or_b64 exec, exec, s[10:11]
.LBB597_124:
	s_or_b64 exec, exec, s[8:9]
.LBB597_125:
	s_or_b64 exec, exec, s[2:3]
	s_mov_b32 s2, 0xffffff
	v_cmp_lt_u32_e32 vcc, s2, v38
	v_mov_b32_e32 v45, 0
	v_mov_b32_e32 v53, 0
	s_and_saveexec_b64 s[2:3], vcc
	s_cbranch_execz .LBB597_131
; %bb.126:
	v_lshrrev_b32_e32 v42, 24, v38
	s_movk_i32 s8, 0x80
	v_cmp_ne_u32_e32 vcc, s8, v42
	v_bfrev_b32_e32 v53, 1
	s_and_saveexec_b64 s[8:9], vcc
	s_cbranch_execz .LBB597_130
; %bb.127:
	v_bfe_u32 v38, v38, 24, 7
	s_movk_i32 s10, 0x7f
	v_cmp_ne_u32_e32 vcc, s10, v38
	v_mov_b32_e32 v53, 0x7f800001
	s_and_saveexec_b64 s[10:11], vcc
	s_cbranch_execz .LBB597_129
; %bb.128:
	v_and_b32_e32 v54, 7, v42
	v_ffbh_u32_e32 v52, v54
	v_min_u32_e32 v56, 32, v52
	v_subrev_u32_e32 v52, 28, v56
	v_lshlrev_b64 v[52:53], v52, v[42:43]
	v_lshrrev_b32_e32 v55, 3, v38
	v_sub_u32_e32 v53, 29, v56
	v_and_b32_e32 v52, 7, v52
	v_cmp_gt_u32_e32 vcc, 8, v38
	v_cndmask_b32_e32 v38, v55, v53, vcc
	v_cndmask_b32_e32 v52, v54, v52, vcc
	v_lshlrev_b32_e32 v42, 24, v42
	v_bfrev_b32_e32 v53, 60
	v_lshlrev_b32_e32 v52, 20, v52
	v_and_b32_e32 v42, 0x80000000, v42
	v_lshl_add_u32 v38, v38, 23, v53
	v_or3_b32 v53, v42, v38, v52
.LBB597_129:
	s_or_b64 exec, exec, s[10:11]
.LBB597_130:
	s_or_b64 exec, exec, s[8:9]
.LBB597_131:
	s_or_b64 exec, exec, s[2:3]
	v_cmp_ne_u16_sdwa s[8:9], v39, v45 src0_sel:BYTE_0 src1_sel:DWORD
	s_and_saveexec_b64 s[2:3], s[8:9]
	s_cbranch_execz .LBB597_137
; %bb.132:
	s_movk_i32 s8, 0x80
	v_cmp_ne_u16_sdwa s[10:11], v39, s8 src0_sel:BYTE_0 src1_sel:DWORD
	v_bfrev_b32_e32 v45, 1
	s_and_saveexec_b64 s[8:9], s[10:11]
	s_cbranch_execz .LBB597_136
; %bb.133:
	s_movk_i32 s10, 0x7f
	v_and_b32_e32 v38, 0x7f, v39
	v_cmp_ne_u32_e32 vcc, s10, v38
	v_mov_b32_e32 v45, 0x7f800001
	s_and_saveexec_b64 s[10:11], vcc
	s_cbranch_execz .LBB597_135
; %bb.134:
	v_and_b32_e32 v45, 7, v39
	v_ffbh_u32_e32 v54, v45
	v_min_u32_e32 v56, 32, v54
	v_mov_b32_e32 v42, v39
	v_subrev_u32_e32 v54, 28, v56
	v_lshlrev_b64 v[54:55], v54, v[42:43]
	v_lshrrev_b32_e32 v52, 3, v38
	v_sub_u32_e32 v42, 29, v56
	v_and_b32_e32 v54, 7, v54
	v_cmp_gt_u32_e32 vcc, 8, v38
	v_cndmask_b32_e32 v38, v52, v42, vcc
	v_cndmask_b32_e32 v42, v45, v54, vcc
	v_lshlrev_b32_e32 v45, 24, v39
	v_bfrev_b32_e32 v52, 60
	v_lshlrev_b32_e32 v42, 20, v42
	v_and_b32_e32 v45, 0x80000000, v45
	v_lshl_add_u32 v38, v38, 23, v52
	v_or3_b32 v45, v45, v38, v42
.LBB597_135:
	s_or_b64 exec, exec, s[10:11]
.LBB597_136:
	s_or_b64 exec, exec, s[8:9]
.LBB597_137:
	s_or_b64 exec, exec, s[2:3]
	v_lshrrev_b16_e32 v38, 8, v39
	v_cmp_ne_u16_e32 vcc, 0, v38
	v_mov_b32_e32 v42, 0
	v_mov_b32_e32 v54, 0
	s_and_saveexec_b64 s[2:3], vcc
	s_cbranch_execz .LBB597_143
; %bb.138:
	s_movk_i32 s8, 0x80
	v_cmp_ne_u16_e32 vcc, s8, v38
	v_bfrev_b32_e32 v54, 1
	s_and_saveexec_b64 s[8:9], vcc
	s_cbranch_execz .LBB597_142
; %bb.139:
	s_movk_i32 s10, 0x7f
	v_and_b32_e32 v52, 0x7f, v38
	v_cmp_ne_u32_e32 vcc, s10, v52
	v_mov_b32_e32 v54, 0x7f800001
	s_and_saveexec_b64 s[10:11], vcc
	s_cbranch_execz .LBB597_141
; %bb.140:
	v_and_b32_e32 v56, 7, v38
	v_ffbh_u32_e32 v54, v56
	v_min_u32_e32 v58, 32, v54
	v_subrev_u32_e32 v54, 28, v58
	v_lshlrev_b64 v[54:55], v54, v[38:39]
	v_lshrrev_b32_e32 v57, 3, v52
	v_sub_u32_e32 v38, 29, v58
	v_and_b32_e32 v54, 7, v54
	v_cmp_gt_u32_e32 vcc, 8, v52
	v_cndmask_b32_e32 v38, v57, v38, vcc
	v_cndmask_b32_e32 v52, v56, v54, vcc
	v_lshlrev_b32_e32 v54, 16, v39
	v_bfrev_b32_e32 v55, 60
	v_lshlrev_b32_e32 v52, 20, v52
	v_and_b32_e32 v54, 0x80000000, v54
	v_lshl_add_u32 v38, v38, 23, v55
	v_or3_b32 v54, v54, v38, v52
.LBB597_141:
	s_or_b64 exec, exec, s[10:11]
.LBB597_142:
	s_or_b64 exec, exec, s[8:9]
.LBB597_143:
	s_or_b64 exec, exec, s[2:3]
	s_movk_i32 s2, 0xff
	v_and_b32_sdwa v52, v39, s2 dst_sel:DWORD dst_unused:UNUSED_PAD src0_sel:WORD_1 src1_sel:DWORD
	v_lshrrev_b32_e32 v38, 16, v39
	v_cmp_ne_u16_e32 vcc, 0, v52
	s_and_saveexec_b64 s[2:3], vcc
	s_cbranch_execz .LBB597_149
; %bb.144:
	s_movk_i32 s8, 0x80
	v_cmp_ne_u16_e32 vcc, s8, v52
	v_bfrev_b32_e32 v42, 1
	s_and_saveexec_b64 s[8:9], vcc
	s_cbranch_execz .LBB597_148
; %bb.145:
	v_bfe_u32 v52, v39, 16, 7
	s_movk_i32 s10, 0x7f
	v_cmp_ne_u32_e32 vcc, s10, v52
	v_mov_b32_e32 v42, 0x7f800001
	s_and_saveexec_b64 s[10:11], vcc
	s_cbranch_execz .LBB597_147
; %bb.146:
	v_and_b32_e32 v42, 7, v38
	v_ffbh_u32_e32 v56, v42
	v_min_u32_e32 v58, 32, v56
	v_subrev_u32_e32 v56, 28, v58
	v_lshlrev_b64 v[56:57], v56, v[38:39]
	v_lshrrev_b32_e32 v55, 3, v52
	v_sub_u32_e32 v38, 29, v58
	v_and_b32_e32 v56, 7, v56
	v_cmp_gt_u32_e32 vcc, 8, v52
	v_mov_b32_e32 v52, 24
	v_cndmask_b32_e32 v38, v55, v38, vcc
	v_cndmask_b32_e32 v42, v42, v56, vcc
	v_lshlrev_b32_sdwa v52, v52, v39 dst_sel:DWORD dst_unused:UNUSED_PAD src0_sel:DWORD src1_sel:WORD_1
	v_bfrev_b32_e32 v55, 60
	v_lshlrev_b32_e32 v42, 20, v42
	v_and_b32_e32 v52, 0x80000000, v52
	v_lshl_add_u32 v38, v38, 23, v55
	v_or3_b32 v42, v52, v38, v42
.LBB597_147:
	s_or_b64 exec, exec, s[10:11]
.LBB597_148:
	s_or_b64 exec, exec, s[8:9]
.LBB597_149:
	s_or_b64 exec, exec, s[2:3]
	s_mov_b32 s2, 0xffffff
	v_cmp_lt_u32_e32 vcc, s2, v39
	v_mov_b32_e32 v52, 0
	v_mov_b32_e32 v55, 0
	s_and_saveexec_b64 s[2:3], vcc
	s_cbranch_execz .LBB597_155
; %bb.150:
	v_lshrrev_b32_e32 v38, 24, v39
	s_movk_i32 s8, 0x80
	v_cmp_ne_u32_e32 vcc, s8, v38
	v_bfrev_b32_e32 v55, 1
	s_and_saveexec_b64 s[8:9], vcc
	s_cbranch_execz .LBB597_154
; %bb.151:
	v_bfe_u32 v39, v39, 24, 7
	s_movk_i32 s10, 0x7f
	v_cmp_ne_u32_e32 vcc, s10, v39
	v_mov_b32_e32 v55, 0x7f800001
	s_and_saveexec_b64 s[10:11], vcc
	s_cbranch_execz .LBB597_153
; %bb.152:
	v_and_b32_e32 v55, 7, v38
	v_ffbh_u32_e32 v56, v55
	v_min_u32_e32 v59, 32, v56
	v_subrev_u32_e32 v56, 28, v59
	v_lshlrev_b64 v[56:57], v56, v[38:39]
	v_lshrrev_b32_e32 v58, 3, v39
	v_sub_u32_e32 v57, 29, v59
	v_and_b32_e32 v56, 7, v56
	v_cmp_gt_u32_e32 vcc, 8, v39
	v_cndmask_b32_e32 v39, v58, v57, vcc
	v_cndmask_b32_e32 v55, v55, v56, vcc
	v_lshlrev_b32_e32 v38, 24, v38
	v_bfrev_b32_e32 v56, 60
	v_lshlrev_b32_e32 v55, 20, v55
	v_and_b32_e32 v38, 0x80000000, v38
	v_lshl_add_u32 v39, v39, 23, v56
	v_or3_b32 v55, v38, v39, v55
.LBB597_153:
	s_or_b64 exec, exec, s[10:11]
.LBB597_154:
	s_or_b64 exec, exec, s[8:9]
.LBB597_155:
	s_or_b64 exec, exec, s[2:3]
	v_cvt_pkrtz_f16_f32 v38, v51, v44
	v_cvt_pkrtz_f16_f32 v39, v43, v53
	v_cmp_ne_u16_sdwa s[8:9], v40, v52 src0_sel:BYTE_0 src1_sel:DWORD
	s_nop 0
	v_mfma_f32_16x16x16f16 v[56:59], v[38:39], v[26:27], 0
	v_cvt_pkrtz_f16_f32 v38, v45, v54
	v_cvt_pkrtz_f16_f32 v39, v42, v55
	s_nop 1
	v_mfma_f32_16x16x16f16 v[42:45], v[38:39], v[28:29], v[56:59]
	s_and_saveexec_b64 s[2:3], s[8:9]
	s_cbranch_execz .LBB597_161
; %bb.156:
	s_movk_i32 s8, 0x80
	v_cmp_ne_u16_sdwa s[10:11], v40, s8 src0_sel:BYTE_0 src1_sel:DWORD
	v_bfrev_b32_e32 v52, 1
	s_and_saveexec_b64 s[8:9], s[10:11]
	s_cbranch_execz .LBB597_160
; %bb.157:
	s_movk_i32 s10, 0x7f
	v_and_b32_e32 v38, 0x7f, v40
	v_cmp_ne_u32_e32 vcc, s10, v38
	v_mov_b32_e32 v52, 0x7f800001
	s_and_saveexec_b64 s[10:11], vcc
	s_cbranch_execz .LBB597_159
; %bb.158:
	v_and_b32_e32 v39, 7, v40
	v_ffbh_u32_e32 v52, v39
	v_min_u32_e32 v54, 32, v52
	v_subrev_u32_e32 v52, 28, v54
	v_lshlrev_b64 v[52:53], v52, v[40:41]
	v_lshrrev_b32_e32 v51, 3, v38
	v_sub_u32_e32 v53, 29, v54
	v_and_b32_e32 v52, 7, v52
	v_cmp_gt_u32_e32 vcc, 8, v38
	v_cndmask_b32_e32 v38, v51, v53, vcc
	v_cndmask_b32_e32 v39, v39, v52, vcc
	v_lshlrev_b32_e32 v51, 24, v40
	v_bfrev_b32_e32 v52, 60
	v_lshlrev_b32_e32 v39, 20, v39
	v_and_b32_e32 v51, 0x80000000, v51
	v_lshl_add_u32 v38, v38, 23, v52
	v_or3_b32 v52, v51, v38, v39
.LBB597_159:
	s_or_b64 exec, exec, s[10:11]
.LBB597_160:
	s_or_b64 exec, exec, s[8:9]
.LBB597_161:
	s_or_b64 exec, exec, s[2:3]
	v_lshrrev_b16_e32 v38, 8, v40
	v_cmp_ne_u16_e32 vcc, 0, v38
	v_mov_b32_e32 v39, 0
	v_mov_b32_e32 v53, 0
	s_and_saveexec_b64 s[2:3], vcc
	s_cbranch_execz .LBB597_167
; %bb.162:
	s_movk_i32 s8, 0x80
	v_cmp_ne_u16_e32 vcc, s8, v38
	v_bfrev_b32_e32 v53, 1
	s_and_saveexec_b64 s[8:9], vcc
	s_cbranch_execz .LBB597_166
; %bb.163:
	s_movk_i32 s10, 0x7f
	v_and_b32_e32 v51, 0x7f, v38
	v_cmp_ne_u32_e32 vcc, s10, v51
	v_mov_b32_e32 v53, 0x7f800001
	s_and_saveexec_b64 s[10:11], vcc
	s_cbranch_execz .LBB597_165
; %bb.164:
	v_and_b32_e32 v53, 7, v38
	v_ffbh_u32_e32 v54, v53
	v_min_u32_e32 v57, 32, v54
	v_subrev_u32_e32 v54, 28, v57
	v_lshlrev_b64 v[54:55], v54, v[38:39]
	v_lshrrev_b32_e32 v56, 3, v51
	v_sub_u32_e32 v38, 29, v57
	v_and_b32_e32 v54, 7, v54
	v_cmp_gt_u32_e32 vcc, 8, v51
	v_cndmask_b32_e32 v38, v56, v38, vcc
	v_cndmask_b32_e32 v51, v53, v54, vcc
	v_lshlrev_b32_e32 v53, 16, v40
	v_bfrev_b32_e32 v54, 60
	v_lshlrev_b32_e32 v51, 20, v51
	v_and_b32_e32 v53, 0x80000000, v53
	v_lshl_add_u32 v38, v38, 23, v54
	v_or3_b32 v53, v53, v38, v51
.LBB597_165:
	s_or_b64 exec, exec, s[10:11]
.LBB597_166:
	s_or_b64 exec, exec, s[8:9]
.LBB597_167:
	s_or_b64 exec, exec, s[2:3]
	s_movk_i32 s2, 0xff
	v_and_b32_sdwa v51, v40, s2 dst_sel:DWORD dst_unused:UNUSED_PAD src0_sel:WORD_1 src1_sel:DWORD
	v_lshrrev_b32_e32 v38, 16, v40
	v_cmp_ne_u16_e32 vcc, 0, v51
	s_and_saveexec_b64 s[2:3], vcc
	s_cbranch_execz .LBB597_173
; %bb.168:
	s_movk_i32 s8, 0x80
	v_cmp_ne_u16_e32 vcc, s8, v51
	v_bfrev_b32_e32 v39, 1
	s_and_saveexec_b64 s[8:9], vcc
	s_cbranch_execz .LBB597_172
; %bb.169:
	v_bfe_u32 v51, v40, 16, 7
	s_movk_i32 s10, 0x7f
	v_cmp_ne_u32_e32 vcc, s10, v51
	v_mov_b32_e32 v39, 0x7f800001
	s_and_saveexec_b64 s[10:11], vcc
	s_cbranch_execz .LBB597_171
; %bb.170:
	v_and_b32_e32 v54, 7, v38
	v_ffbh_u32_e32 v39, v54
	v_min_u32_e32 v56, 32, v39
	v_subrev_u32_e32 v39, 28, v56
	v_lshlrev_b64 v[38:39], v39, v[38:39]
	v_lshrrev_b32_e32 v55, 3, v51
	v_sub_u32_e32 v39, 29, v56
	v_and_b32_e32 v38, 7, v38
	v_cmp_gt_u32_e32 vcc, 8, v51
	v_mov_b32_e32 v51, 24
	v_cndmask_b32_e32 v39, v55, v39, vcc
	v_cndmask_b32_e32 v38, v54, v38, vcc
	v_lshlrev_b32_sdwa v51, v51, v40 dst_sel:DWORD dst_unused:UNUSED_PAD src0_sel:DWORD src1_sel:WORD_1
	v_bfrev_b32_e32 v54, 60
	v_lshlrev_b32_e32 v38, 20, v38
	v_and_b32_e32 v51, 0x80000000, v51
	v_lshl_add_u32 v39, v39, 23, v54
	v_or3_b32 v39, v51, v39, v38
.LBB597_171:
	s_or_b64 exec, exec, s[10:11]
.LBB597_172:
	s_or_b64 exec, exec, s[8:9]
.LBB597_173:
	s_or_b64 exec, exec, s[2:3]
	s_mov_b32 s2, 0xffffff
	v_cmp_lt_u32_e32 vcc, s2, v40
	v_mov_b32_e32 v54, 0
	v_mov_b32_e32 v55, 0
	s_and_saveexec_b64 s[2:3], vcc
	s_cbranch_execz .LBB597_179
; %bb.174:
	v_lshrrev_b32_e32 v38, 24, v40
	s_movk_i32 s8, 0x80
	v_cmp_ne_u32_e32 vcc, s8, v38
	v_bfrev_b32_e32 v55, 1
	s_and_saveexec_b64 s[8:9], vcc
	s_cbranch_execz .LBB597_178
; %bb.175:
	v_bfe_u32 v40, v40, 24, 7
	s_movk_i32 s10, 0x7f
	v_cmp_ne_u32_e32 vcc, s10, v40
	v_mov_b32_e32 v55, 0x7f800001
	s_and_saveexec_b64 s[10:11], vcc
	s_cbranch_execz .LBB597_177
; %bb.176:
	v_and_b32_e32 v51, 7, v38
	v_ffbh_u32_e32 v56, v51
	v_min_u32_e32 v58, 32, v56
	v_subrev_u32_e32 v56, 28, v58
	v_lshlrev_b64 v[56:57], v56, v[38:39]
	v_lshrrev_b32_e32 v55, 3, v40
	v_sub_u32_e32 v57, 29, v58
	v_and_b32_e32 v56, 7, v56
	v_cmp_gt_u32_e32 vcc, 8, v40
	v_cndmask_b32_e32 v40, v55, v57, vcc
	v_cndmask_b32_e32 v51, v51, v56, vcc
	v_lshlrev_b32_e32 v38, 24, v38
	v_bfrev_b32_e32 v55, 60
	v_lshlrev_b32_e32 v51, 20, v51
	v_and_b32_e32 v38, 0x80000000, v38
	v_lshl_add_u32 v40, v40, 23, v55
	v_or3_b32 v55, v38, v40, v51
.LBB597_177:
	s_or_b64 exec, exec, s[10:11]
.LBB597_178:
	s_or_b64 exec, exec, s[8:9]
.LBB597_179:
	s_or_b64 exec, exec, s[2:3]
	v_cmp_ne_u16_sdwa s[8:9], v41, v54 src0_sel:BYTE_0 src1_sel:DWORD
	s_and_saveexec_b64 s[2:3], s[8:9]
	s_cbranch_execz .LBB597_185
; %bb.180:
	s_movk_i32 s8, 0x80
	v_cmp_ne_u16_sdwa s[10:11], v41, s8 src0_sel:BYTE_0 src1_sel:DWORD
	v_bfrev_b32_e32 v54, 1
	s_and_saveexec_b64 s[8:9], s[10:11]
	s_cbranch_execz .LBB597_184
; %bb.181:
	s_movk_i32 s10, 0x7f
	v_and_b32_e32 v38, 0x7f, v41
	v_cmp_ne_u32_e32 vcc, s10, v38
	v_mov_b32_e32 v54, 0x7f800001
	s_and_saveexec_b64 s[10:11], vcc
	s_cbranch_execz .LBB597_183
; %bb.182:
	v_and_b32_e32 v51, 7, v41
	v_ffbh_u32_e32 v56, v51
	v_min_u32_e32 v58, 32, v56
	v_mov_b32_e32 v40, v41
	v_subrev_u32_e32 v56, 28, v58
	v_lshlrev_b64 v[56:57], v56, v[40:41]
	v_lshrrev_b32_e32 v54, 3, v38
	v_sub_u32_e32 v40, 29, v58
	v_and_b32_e32 v56, 7, v56
	v_cmp_gt_u32_e32 vcc, 8, v38
	v_cndmask_b32_e32 v38, v54, v40, vcc
	v_cndmask_b32_e32 v40, v51, v56, vcc
	v_lshlrev_b32_e32 v51, 24, v41
	v_bfrev_b32_e32 v54, 60
	v_lshlrev_b32_e32 v40, 20, v40
	v_and_b32_e32 v51, 0x80000000, v51
	v_lshl_add_u32 v38, v38, 23, v54
	v_or3_b32 v54, v51, v38, v40
.LBB597_183:
	s_or_b64 exec, exec, s[10:11]
.LBB597_184:
	s_or_b64 exec, exec, s[8:9]
.LBB597_185:
	s_or_b64 exec, exec, s[2:3]
	v_lshrrev_b16_e32 v38, 8, v41
	v_cmp_ne_u16_e32 vcc, 0, v38
	v_mov_b32_e32 v40, 0
	v_mov_b32_e32 v56, 0
	s_and_saveexec_b64 s[2:3], vcc
	s_cbranch_execz .LBB597_191
; %bb.186:
	s_movk_i32 s8, 0x80
	v_cmp_ne_u16_e32 vcc, s8, v38
	v_bfrev_b32_e32 v56, 1
	s_and_saveexec_b64 s[8:9], vcc
	s_cbranch_execz .LBB597_190
; %bb.187:
	s_movk_i32 s10, 0x7f
	v_and_b32_e32 v51, 0x7f, v38
	v_cmp_ne_u32_e32 vcc, s10, v51
	v_mov_b32_e32 v56, 0x7f800001
	s_and_saveexec_b64 s[10:11], vcc
	s_cbranch_execz .LBB597_189
; %bb.188:
	v_and_b32_e32 v58, 7, v38
	v_ffbh_u32_e32 v56, v58
	v_min_u32_e32 v60, 32, v56
	v_subrev_u32_e32 v56, 28, v60
	v_lshlrev_b64 v[56:57], v56, v[38:39]
	v_lshrrev_b32_e32 v59, 3, v51
	v_sub_u32_e32 v38, 29, v60
	v_and_b32_e32 v56, 7, v56
	v_cmp_gt_u32_e32 vcc, 8, v51
	v_cndmask_b32_e32 v38, v59, v38, vcc
	v_cndmask_b32_e32 v51, v58, v56, vcc
	v_lshlrev_b32_e32 v56, 16, v41
	v_bfrev_b32_e32 v57, 60
	v_lshlrev_b32_e32 v51, 20, v51
	v_and_b32_e32 v56, 0x80000000, v56
	v_lshl_add_u32 v38, v38, 23, v57
	v_or3_b32 v56, v56, v38, v51
.LBB597_189:
	s_or_b64 exec, exec, s[10:11]
.LBB597_190:
	s_or_b64 exec, exec, s[8:9]
.LBB597_191:
	s_or_b64 exec, exec, s[2:3]
	s_movk_i32 s2, 0xff
	v_and_b32_sdwa v51, v41, s2 dst_sel:DWORD dst_unused:UNUSED_PAD src0_sel:WORD_1 src1_sel:DWORD
	v_lshrrev_b32_e32 v38, 16, v41
	v_cmp_ne_u16_e32 vcc, 0, v51
	s_and_saveexec_b64 s[2:3], vcc
	s_cbranch_execz .LBB597_197
; %bb.192:
	s_movk_i32 s8, 0x80
	v_cmp_ne_u16_e32 vcc, s8, v51
	v_bfrev_b32_e32 v40, 1
	s_and_saveexec_b64 s[8:9], vcc
	s_cbranch_execz .LBB597_196
; %bb.193:
	v_bfe_u32 v51, v41, 16, 7
	s_movk_i32 s10, 0x7f
	v_cmp_ne_u32_e32 vcc, s10, v51
	v_mov_b32_e32 v40, 0x7f800001
	s_and_saveexec_b64 s[10:11], vcc
	s_cbranch_execz .LBB597_195
; %bb.194:
	v_and_b32_e32 v40, 7, v38
	v_ffbh_u32_e32 v58, v40
	v_min_u32_e32 v60, 32, v58
	v_subrev_u32_e32 v58, 28, v60
	v_lshlrev_b64 v[58:59], v58, v[38:39]
	v_lshrrev_b32_e32 v57, 3, v51
	v_sub_u32_e32 v38, 29, v60
	v_and_b32_e32 v58, 7, v58
	v_cmp_gt_u32_e32 vcc, 8, v51
	v_mov_b32_e32 v51, 24
	v_cndmask_b32_e32 v38, v57, v38, vcc
	v_cndmask_b32_e32 v40, v40, v58, vcc
	v_lshlrev_b32_sdwa v51, v51, v41 dst_sel:DWORD dst_unused:UNUSED_PAD src0_sel:DWORD src1_sel:WORD_1
	v_bfrev_b32_e32 v57, 60
	v_lshlrev_b32_e32 v40, 20, v40
	v_and_b32_e32 v51, 0x80000000, v51
	v_lshl_add_u32 v38, v38, 23, v57
	v_or3_b32 v40, v51, v38, v40
.LBB597_195:
	s_or_b64 exec, exec, s[10:11]
.LBB597_196:
	s_or_b64 exec, exec, s[8:9]
.LBB597_197:
	s_or_b64 exec, exec, s[2:3]
	s_mov_b32 s2, 0xffffff
	v_cmp_lt_u32_e32 vcc, s2, v41
	v_mov_b32_e32 v51, 0
	v_mov_b32_e32 v57, 0
	s_and_saveexec_b64 s[2:3], vcc
	s_cbranch_execz .LBB597_203
; %bb.198:
	v_lshrrev_b32_e32 v38, 24, v41
	s_movk_i32 s8, 0x80
	v_cmp_ne_u32_e32 vcc, s8, v38
	v_bfrev_b32_e32 v57, 1
	s_and_saveexec_b64 s[8:9], vcc
	s_cbranch_execz .LBB597_202
; %bb.199:
	v_bfe_u32 v41, v41, 24, 7
	s_movk_i32 s10, 0x7f
	v_cmp_ne_u32_e32 vcc, s10, v41
	v_mov_b32_e32 v57, 0x7f800001
	s_and_saveexec_b64 s[10:11], vcc
	s_cbranch_execz .LBB597_201
; %bb.200:
	v_and_b32_e32 v57, 7, v38
	v_ffbh_u32_e32 v58, v57
	v_min_u32_e32 v61, 32, v58
	v_subrev_u32_e32 v58, 28, v61
	v_lshlrev_b64 v[58:59], v58, v[38:39]
	v_lshrrev_b32_e32 v60, 3, v41
	v_sub_u32_e32 v59, 29, v61
	v_and_b32_e32 v58, 7, v58
	v_cmp_gt_u32_e32 vcc, 8, v41
	v_cndmask_b32_e32 v41, v60, v59, vcc
	v_cndmask_b32_e32 v57, v57, v58, vcc
	v_lshlrev_b32_e32 v38, 24, v38
	v_bfrev_b32_e32 v58, 60
	v_lshlrev_b32_e32 v57, 20, v57
	v_and_b32_e32 v38, 0x80000000, v38
	v_lshl_add_u32 v41, v41, 23, v58
	v_or3_b32 v57, v38, v41, v57
.LBB597_201:
	s_or_b64 exec, exec, s[10:11]
.LBB597_202:
	s_or_b64 exec, exec, s[8:9]
.LBB597_203:
	s_or_b64 exec, exec, s[2:3]
	v_cvt_pkrtz_f16_f32 v38, v52, v53
	v_cvt_pkrtz_f16_f32 v39, v39, v55
	s_waitcnt vmcnt(5)
	v_cmp_ne_u16_sdwa s[8:9], v34, v51 src0_sel:BYTE_0 src1_sel:DWORD
	v_mfma_f32_16x16x16f16 v[42:45], v[38:39], v[18:19], v[42:45]
	v_cvt_pkrtz_f16_f32 v38, v54, v56
	v_cvt_pkrtz_f16_f32 v39, v40, v57
	s_nop 1
	v_mfma_f32_16x16x16f16 v[38:41], v[38:39], v[20:21], v[42:45]
	s_and_saveexec_b64 s[2:3], s[8:9]
	s_cbranch_execz .LBB597_209
; %bb.204:
	s_movk_i32 s8, 0x80
	v_cmp_ne_u16_sdwa s[10:11], v34, s8 src0_sel:BYTE_0 src1_sel:DWORD
	v_bfrev_b32_e32 v51, 1
	s_and_saveexec_b64 s[8:9], s[10:11]
	s_cbranch_execz .LBB597_208
; %bb.205:
	s_movk_i32 s10, 0x7f
	v_and_b32_e32 v42, 0x7f, v34
	v_cmp_ne_u32_e32 vcc, s10, v42
	v_mov_b32_e32 v51, 0x7f800001
	s_and_saveexec_b64 s[10:11], vcc
	s_cbranch_execz .LBB597_207
; %bb.206:
	v_and_b32_e32 v43, 7, v34
	v_ffbh_u32_e32 v44, v43
	v_min_u32_e32 v52, 32, v44
	v_subrev_u32_e32 v44, 28, v52
	v_lshlrev_b64 v[44:45], v44, v[34:35]
	v_lshrrev_b32_e32 v51, 3, v42
	v_sub_u32_e32 v45, 29, v52
	v_and_b32_e32 v44, 7, v44
	v_cmp_gt_u32_e32 vcc, 8, v42
	v_cndmask_b32_e32 v42, v51, v45, vcc
	v_cndmask_b32_e32 v43, v43, v44, vcc
	v_lshlrev_b32_e32 v44, 24, v34
	v_bfrev_b32_e32 v45, 60
	v_lshlrev_b32_e32 v43, 20, v43
	v_and_b32_e32 v44, 0x80000000, v44
	v_lshl_add_u32 v42, v42, 23, v45
	v_or3_b32 v51, v44, v42, v43
.LBB597_207:
	s_or_b64 exec, exec, s[10:11]
.LBB597_208:
	s_or_b64 exec, exec, s[8:9]
.LBB597_209:
	s_or_b64 exec, exec, s[2:3]
	s_nop 3
	v_lshrrev_b16_e32 v42, 8, v34
	v_cmp_ne_u16_e32 vcc, 0, v42
	v_mov_b32_e32 v43, 0
	v_mov_b32_e32 v44, 0
	s_and_saveexec_b64 s[2:3], vcc
	s_cbranch_execz .LBB597_215
; %bb.210:
	s_movk_i32 s8, 0x80
	v_cmp_ne_u16_e32 vcc, s8, v42
	v_bfrev_b32_e32 v44, 1
	s_and_saveexec_b64 s[8:9], vcc
	s_cbranch_execz .LBB597_214
; %bb.211:
	s_movk_i32 s10, 0x7f
	v_and_b32_e32 v45, 0x7f, v42
	v_cmp_ne_u32_e32 vcc, s10, v45
	v_mov_b32_e32 v44, 0x7f800001
	s_and_saveexec_b64 s[10:11], vcc
	s_cbranch_execz .LBB597_213
; %bb.212:
	v_and_b32_e32 v44, 7, v42
	v_ffbh_u32_e32 v52, v44
	v_min_u32_e32 v55, 32, v52
	v_subrev_u32_e32 v52, 28, v55
	v_lshlrev_b64 v[52:53], v52, v[42:43]
	v_lshrrev_b32_e32 v54, 3, v45
	v_sub_u32_e32 v42, 29, v55
	v_and_b32_e32 v52, 7, v52
	v_cmp_gt_u32_e32 vcc, 8, v45
	v_cndmask_b32_e32 v42, v54, v42, vcc
	v_cndmask_b32_e32 v44, v44, v52, vcc
	v_lshlrev_b32_e32 v45, 16, v34
	v_bfrev_b32_e32 v52, 60
	v_lshlrev_b32_e32 v44, 20, v44
	v_and_b32_e32 v45, 0x80000000, v45
	v_lshl_add_u32 v42, v42, 23, v52
	v_or3_b32 v44, v45, v42, v44
.LBB597_213:
	s_or_b64 exec, exec, s[10:11]
.LBB597_214:
	s_or_b64 exec, exec, s[8:9]
.LBB597_215:
	s_or_b64 exec, exec, s[2:3]
	s_movk_i32 s2, 0xff
	v_and_b32_sdwa v45, v34, s2 dst_sel:DWORD dst_unused:UNUSED_PAD src0_sel:WORD_1 src1_sel:DWORD
	v_lshrrev_b32_e32 v42, 16, v34
	v_cmp_ne_u16_e32 vcc, 0, v45
	s_and_saveexec_b64 s[2:3], vcc
	s_cbranch_execz .LBB597_221
; %bb.216:
	s_movk_i32 s8, 0x80
	v_cmp_ne_u16_e32 vcc, s8, v45
	v_bfrev_b32_e32 v43, 1
	s_and_saveexec_b64 s[8:9], vcc
	s_cbranch_execz .LBB597_220
; %bb.217:
	v_bfe_u32 v45, v34, 16, 7
	s_movk_i32 s10, 0x7f
	v_cmp_ne_u32_e32 vcc, s10, v45
	v_mov_b32_e32 v43, 0x7f800001
	s_and_saveexec_b64 s[10:11], vcc
	s_cbranch_execz .LBB597_219
; %bb.218:
	v_and_b32_e32 v52, 7, v42
	v_ffbh_u32_e32 v43, v52
	v_min_u32_e32 v54, 32, v43
	v_subrev_u32_e32 v43, 28, v54
	v_lshlrev_b64 v[42:43], v43, v[42:43]
	v_lshrrev_b32_e32 v53, 3, v45
	v_sub_u32_e32 v43, 29, v54
	v_and_b32_e32 v42, 7, v42
	v_cmp_gt_u32_e32 vcc, 8, v45
	v_mov_b32_e32 v45, 24
	v_cndmask_b32_e32 v43, v53, v43, vcc
	v_cndmask_b32_e32 v42, v52, v42, vcc
	v_lshlrev_b32_sdwa v45, v45, v34 dst_sel:DWORD dst_unused:UNUSED_PAD src0_sel:DWORD src1_sel:WORD_1
	v_bfrev_b32_e32 v52, 60
	v_lshlrev_b32_e32 v42, 20, v42
	v_and_b32_e32 v45, 0x80000000, v45
	v_lshl_add_u32 v43, v43, 23, v52
	v_or3_b32 v43, v45, v43, v42
.LBB597_219:
	s_or_b64 exec, exec, s[10:11]
.LBB597_220:
	s_or_b64 exec, exec, s[8:9]
.LBB597_221:
	s_or_b64 exec, exec, s[2:3]
	s_mov_b32 s2, 0xffffff
	v_cmp_lt_u32_e32 vcc, s2, v34
	v_mov_b32_e32 v45, 0
	v_mov_b32_e32 v53, 0
	s_and_saveexec_b64 s[2:3], vcc
	s_cbranch_execz .LBB597_227
; %bb.222:
	v_lshrrev_b32_e32 v42, 24, v34
	s_movk_i32 s8, 0x80
	v_cmp_ne_u32_e32 vcc, s8, v42
	v_bfrev_b32_e32 v53, 1
	s_and_saveexec_b64 s[8:9], vcc
	s_cbranch_execz .LBB597_226
; %bb.223:
	v_bfe_u32 v34, v34, 24, 7
	s_movk_i32 s10, 0x7f
	v_cmp_ne_u32_e32 vcc, s10, v34
	v_mov_b32_e32 v53, 0x7f800001
	s_and_saveexec_b64 s[10:11], vcc
	s_cbranch_execz .LBB597_225
; %bb.224:
	v_and_b32_e32 v54, 7, v42
	v_ffbh_u32_e32 v52, v54
	v_min_u32_e32 v56, 32, v52
	v_subrev_u32_e32 v52, 28, v56
	v_lshlrev_b64 v[52:53], v52, v[42:43]
	v_lshrrev_b32_e32 v55, 3, v34
	v_sub_u32_e32 v53, 29, v56
	v_and_b32_e32 v52, 7, v52
	v_cmp_gt_u32_e32 vcc, 8, v34
	v_cndmask_b32_e32 v34, v55, v53, vcc
	v_cndmask_b32_e32 v52, v54, v52, vcc
	v_lshlrev_b32_e32 v42, 24, v42
	v_bfrev_b32_e32 v53, 60
	v_lshlrev_b32_e32 v52, 20, v52
	v_and_b32_e32 v42, 0x80000000, v42
	v_lshl_add_u32 v34, v34, 23, v53
	v_or3_b32 v53, v42, v34, v52
.LBB597_225:
	s_or_b64 exec, exec, s[10:11]
.LBB597_226:
	s_or_b64 exec, exec, s[8:9]
.LBB597_227:
	s_or_b64 exec, exec, s[2:3]
	v_cmp_ne_u16_sdwa s[8:9], v35, v45 src0_sel:BYTE_0 src1_sel:DWORD
	s_and_saveexec_b64 s[2:3], s[8:9]
	s_cbranch_execz .LBB597_233
; %bb.228:
	s_movk_i32 s8, 0x80
	v_cmp_ne_u16_sdwa s[10:11], v35, s8 src0_sel:BYTE_0 src1_sel:DWORD
	v_bfrev_b32_e32 v45, 1
	s_and_saveexec_b64 s[8:9], s[10:11]
	s_cbranch_execz .LBB597_232
; %bb.229:
	s_movk_i32 s10, 0x7f
	v_and_b32_e32 v34, 0x7f, v35
	v_cmp_ne_u32_e32 vcc, s10, v34
	v_mov_b32_e32 v45, 0x7f800001
	s_and_saveexec_b64 s[10:11], vcc
	s_cbranch_execz .LBB597_231
; %bb.230:
	v_and_b32_e32 v45, 7, v35
	v_ffbh_u32_e32 v54, v45
	v_min_u32_e32 v56, 32, v54
	v_mov_b32_e32 v42, v35
	v_subrev_u32_e32 v54, 28, v56
	v_lshlrev_b64 v[54:55], v54, v[42:43]
	v_lshrrev_b32_e32 v52, 3, v34
	v_sub_u32_e32 v42, 29, v56
	v_and_b32_e32 v54, 7, v54
	v_cmp_gt_u32_e32 vcc, 8, v34
	v_cndmask_b32_e32 v34, v52, v42, vcc
	v_cndmask_b32_e32 v42, v45, v54, vcc
	v_lshlrev_b32_e32 v45, 24, v35
	v_bfrev_b32_e32 v52, 60
	v_lshlrev_b32_e32 v42, 20, v42
	v_and_b32_e32 v45, 0x80000000, v45
	v_lshl_add_u32 v34, v34, 23, v52
	v_or3_b32 v45, v45, v34, v42
.LBB597_231:
	s_or_b64 exec, exec, s[10:11]
.LBB597_232:
	s_or_b64 exec, exec, s[8:9]
.LBB597_233:
	s_or_b64 exec, exec, s[2:3]
	v_lshrrev_b16_e32 v34, 8, v35
	v_cmp_ne_u16_e32 vcc, 0, v34
	v_mov_b32_e32 v42, 0
	v_mov_b32_e32 v54, 0
	s_and_saveexec_b64 s[2:3], vcc
	s_cbranch_execz .LBB597_239
; %bb.234:
	s_movk_i32 s8, 0x80
	v_cmp_ne_u16_e32 vcc, s8, v34
	v_bfrev_b32_e32 v54, 1
	s_and_saveexec_b64 s[8:9], vcc
	s_cbranch_execz .LBB597_238
; %bb.235:
	s_movk_i32 s10, 0x7f
	v_and_b32_e32 v52, 0x7f, v34
	v_cmp_ne_u32_e32 vcc, s10, v52
	v_mov_b32_e32 v54, 0x7f800001
	s_and_saveexec_b64 s[10:11], vcc
	s_cbranch_execz .LBB597_237
; %bb.236:
	v_and_b32_e32 v56, 7, v34
	v_ffbh_u32_e32 v54, v56
	v_min_u32_e32 v58, 32, v54
	v_subrev_u32_e32 v54, 28, v58
	v_lshlrev_b64 v[54:55], v54, v[34:35]
	v_lshrrev_b32_e32 v57, 3, v52
	v_sub_u32_e32 v34, 29, v58
	v_and_b32_e32 v54, 7, v54
	v_cmp_gt_u32_e32 vcc, 8, v52
	v_cndmask_b32_e32 v34, v57, v34, vcc
	v_cndmask_b32_e32 v52, v56, v54, vcc
	v_lshlrev_b32_e32 v54, 16, v35
	v_bfrev_b32_e32 v55, 60
	v_lshlrev_b32_e32 v52, 20, v52
	v_and_b32_e32 v54, 0x80000000, v54
	v_lshl_add_u32 v34, v34, 23, v55
	v_or3_b32 v54, v54, v34, v52
.LBB597_237:
	s_or_b64 exec, exec, s[10:11]
.LBB597_238:
	s_or_b64 exec, exec, s[8:9]
.LBB597_239:
	s_or_b64 exec, exec, s[2:3]
	s_movk_i32 s2, 0xff
	v_and_b32_sdwa v52, v35, s2 dst_sel:DWORD dst_unused:UNUSED_PAD src0_sel:WORD_1 src1_sel:DWORD
	v_lshrrev_b32_e32 v34, 16, v35
	v_cmp_ne_u16_e32 vcc, 0, v52
	s_and_saveexec_b64 s[2:3], vcc
	s_cbranch_execz .LBB597_245
; %bb.240:
	s_movk_i32 s8, 0x80
	v_cmp_ne_u16_e32 vcc, s8, v52
	v_bfrev_b32_e32 v42, 1
	s_and_saveexec_b64 s[8:9], vcc
	s_cbranch_execz .LBB597_244
; %bb.241:
	v_bfe_u32 v52, v35, 16, 7
	s_movk_i32 s10, 0x7f
	v_cmp_ne_u32_e32 vcc, s10, v52
	v_mov_b32_e32 v42, 0x7f800001
	s_and_saveexec_b64 s[10:11], vcc
	s_cbranch_execz .LBB597_243
; %bb.242:
	v_and_b32_e32 v42, 7, v34
	v_ffbh_u32_e32 v56, v42
	v_min_u32_e32 v58, 32, v56
	v_subrev_u32_e32 v56, 28, v58
	v_lshlrev_b64 v[56:57], v56, v[34:35]
	v_lshrrev_b32_e32 v55, 3, v52
	v_sub_u32_e32 v34, 29, v58
	v_and_b32_e32 v56, 7, v56
	v_cmp_gt_u32_e32 vcc, 8, v52
	v_mov_b32_e32 v52, 24
	v_cndmask_b32_e32 v34, v55, v34, vcc
	v_cndmask_b32_e32 v42, v42, v56, vcc
	v_lshlrev_b32_sdwa v52, v52, v35 dst_sel:DWORD dst_unused:UNUSED_PAD src0_sel:DWORD src1_sel:WORD_1
	v_bfrev_b32_e32 v55, 60
	v_lshlrev_b32_e32 v42, 20, v42
	v_and_b32_e32 v52, 0x80000000, v52
	v_lshl_add_u32 v34, v34, 23, v55
	v_or3_b32 v42, v52, v34, v42
.LBB597_243:
	s_or_b64 exec, exec, s[10:11]
.LBB597_244:
	s_or_b64 exec, exec, s[8:9]
.LBB597_245:
	s_or_b64 exec, exec, s[2:3]
	s_mov_b32 s2, 0xffffff
	v_cmp_lt_u32_e32 vcc, s2, v35
	v_mov_b32_e32 v52, 0
	v_mov_b32_e32 v55, 0
	s_and_saveexec_b64 s[2:3], vcc
	s_cbranch_execz .LBB597_251
; %bb.246:
	v_lshrrev_b32_e32 v34, 24, v35
	s_movk_i32 s8, 0x80
	v_cmp_ne_u32_e32 vcc, s8, v34
	v_bfrev_b32_e32 v55, 1
	s_and_saveexec_b64 s[8:9], vcc
	s_cbranch_execz .LBB597_250
; %bb.247:
	v_bfe_u32 v35, v35, 24, 7
	s_movk_i32 s10, 0x7f
	v_cmp_ne_u32_e32 vcc, s10, v35
	v_mov_b32_e32 v55, 0x7f800001
	s_and_saveexec_b64 s[10:11], vcc
	s_cbranch_execz .LBB597_249
; %bb.248:
	v_and_b32_e32 v55, 7, v34
	v_ffbh_u32_e32 v56, v55
	v_min_u32_e32 v59, 32, v56
	v_subrev_u32_e32 v56, 28, v59
	v_lshlrev_b64 v[56:57], v56, v[34:35]
	v_lshrrev_b32_e32 v58, 3, v35
	v_sub_u32_e32 v57, 29, v59
	v_and_b32_e32 v56, 7, v56
	v_cmp_gt_u32_e32 vcc, 8, v35
	v_cndmask_b32_e32 v35, v58, v57, vcc
	v_cndmask_b32_e32 v55, v55, v56, vcc
	v_lshlrev_b32_e32 v34, 24, v34
	v_bfrev_b32_e32 v56, 60
	v_lshlrev_b32_e32 v55, 20, v55
	v_and_b32_e32 v34, 0x80000000, v34
	v_lshl_add_u32 v35, v35, 23, v56
	v_or3_b32 v55, v34, v35, v55
.LBB597_249:
	s_or_b64 exec, exec, s[10:11]
.LBB597_250:
	s_or_b64 exec, exec, s[8:9]
.LBB597_251:
	s_or_b64 exec, exec, s[2:3]
	v_cvt_pkrtz_f16_f32 v34, v51, v44
	v_cvt_pkrtz_f16_f32 v35, v43, v53
	v_cmp_ne_u16_sdwa s[8:9], v36, v52 src0_sel:BYTE_0 src1_sel:DWORD
	s_nop 0
	v_mfma_f32_16x16x16f16 v[56:59], v[34:35], v[26:27], 0
	v_cvt_pkrtz_f16_f32 v34, v45, v54
	v_cvt_pkrtz_f16_f32 v35, v42, v55
	s_nop 1
	v_mfma_f32_16x16x16f16 v[42:45], v[34:35], v[28:29], v[56:59]
	s_and_saveexec_b64 s[2:3], s[8:9]
	s_cbranch_execz .LBB597_257
; %bb.252:
	s_movk_i32 s8, 0x80
	v_cmp_ne_u16_sdwa s[10:11], v36, s8 src0_sel:BYTE_0 src1_sel:DWORD
	v_bfrev_b32_e32 v52, 1
	s_and_saveexec_b64 s[8:9], s[10:11]
	s_cbranch_execz .LBB597_256
; %bb.253:
	s_movk_i32 s10, 0x7f
	v_and_b32_e32 v34, 0x7f, v36
	v_cmp_ne_u32_e32 vcc, s10, v34
	v_mov_b32_e32 v52, 0x7f800001
	s_and_saveexec_b64 s[10:11], vcc
	s_cbranch_execz .LBB597_255
; %bb.254:
	v_and_b32_e32 v35, 7, v36
	v_ffbh_u32_e32 v52, v35
	v_min_u32_e32 v54, 32, v52
	v_subrev_u32_e32 v52, 28, v54
	v_lshlrev_b64 v[52:53], v52, v[36:37]
	v_lshrrev_b32_e32 v51, 3, v34
	v_sub_u32_e32 v53, 29, v54
	v_and_b32_e32 v52, 7, v52
	v_cmp_gt_u32_e32 vcc, 8, v34
	v_cndmask_b32_e32 v34, v51, v53, vcc
	v_cndmask_b32_e32 v35, v35, v52, vcc
	v_lshlrev_b32_e32 v51, 24, v36
	v_bfrev_b32_e32 v52, 60
	v_lshlrev_b32_e32 v35, 20, v35
	v_and_b32_e32 v51, 0x80000000, v51
	v_lshl_add_u32 v34, v34, 23, v52
	v_or3_b32 v52, v51, v34, v35
.LBB597_255:
	s_or_b64 exec, exec, s[10:11]
.LBB597_256:
	s_or_b64 exec, exec, s[8:9]
.LBB597_257:
	s_or_b64 exec, exec, s[2:3]
	v_lshrrev_b16_e32 v34, 8, v36
	v_cmp_ne_u16_e32 vcc, 0, v34
	v_mov_b32_e32 v35, 0
	v_mov_b32_e32 v53, 0
	s_and_saveexec_b64 s[2:3], vcc
	s_cbranch_execz .LBB597_263
; %bb.258:
	s_movk_i32 s8, 0x80
	v_cmp_ne_u16_e32 vcc, s8, v34
	v_bfrev_b32_e32 v53, 1
	s_and_saveexec_b64 s[8:9], vcc
	s_cbranch_execz .LBB597_262
; %bb.259:
	s_movk_i32 s10, 0x7f
	v_and_b32_e32 v51, 0x7f, v34
	v_cmp_ne_u32_e32 vcc, s10, v51
	v_mov_b32_e32 v53, 0x7f800001
	s_and_saveexec_b64 s[10:11], vcc
	s_cbranch_execz .LBB597_261
; %bb.260:
	v_and_b32_e32 v53, 7, v34
	v_ffbh_u32_e32 v54, v53
	v_min_u32_e32 v57, 32, v54
	v_subrev_u32_e32 v54, 28, v57
	v_lshlrev_b64 v[54:55], v54, v[34:35]
	v_lshrrev_b32_e32 v56, 3, v51
	v_sub_u32_e32 v34, 29, v57
	v_and_b32_e32 v54, 7, v54
	v_cmp_gt_u32_e32 vcc, 8, v51
	v_cndmask_b32_e32 v34, v56, v34, vcc
	v_cndmask_b32_e32 v51, v53, v54, vcc
	v_lshlrev_b32_e32 v53, 16, v36
	v_bfrev_b32_e32 v54, 60
	v_lshlrev_b32_e32 v51, 20, v51
	v_and_b32_e32 v53, 0x80000000, v53
	v_lshl_add_u32 v34, v34, 23, v54
	v_or3_b32 v53, v53, v34, v51
.LBB597_261:
	s_or_b64 exec, exec, s[10:11]
.LBB597_262:
	s_or_b64 exec, exec, s[8:9]
.LBB597_263:
	s_or_b64 exec, exec, s[2:3]
	s_movk_i32 s2, 0xff
	v_and_b32_sdwa v51, v36, s2 dst_sel:DWORD dst_unused:UNUSED_PAD src0_sel:WORD_1 src1_sel:DWORD
	v_lshrrev_b32_e32 v34, 16, v36
	v_cmp_ne_u16_e32 vcc, 0, v51
	s_and_saveexec_b64 s[2:3], vcc
	s_cbranch_execz .LBB597_269
; %bb.264:
	s_movk_i32 s8, 0x80
	v_cmp_ne_u16_e32 vcc, s8, v51
	v_bfrev_b32_e32 v35, 1
	s_and_saveexec_b64 s[8:9], vcc
	s_cbranch_execz .LBB597_268
; %bb.265:
	v_bfe_u32 v51, v36, 16, 7
	s_movk_i32 s10, 0x7f
	v_cmp_ne_u32_e32 vcc, s10, v51
	v_mov_b32_e32 v35, 0x7f800001
	s_and_saveexec_b64 s[10:11], vcc
	s_cbranch_execz .LBB597_267
; %bb.266:
	v_and_b32_e32 v54, 7, v34
	v_ffbh_u32_e32 v35, v54
	v_min_u32_e32 v56, 32, v35
	v_subrev_u32_e32 v35, 28, v56
	v_lshlrev_b64 v[34:35], v35, v[34:35]
	v_lshrrev_b32_e32 v55, 3, v51
	v_sub_u32_e32 v35, 29, v56
	v_and_b32_e32 v34, 7, v34
	v_cmp_gt_u32_e32 vcc, 8, v51
	v_mov_b32_e32 v51, 24
	v_cndmask_b32_e32 v35, v55, v35, vcc
	v_cndmask_b32_e32 v34, v54, v34, vcc
	v_lshlrev_b32_sdwa v51, v51, v36 dst_sel:DWORD dst_unused:UNUSED_PAD src0_sel:DWORD src1_sel:WORD_1
	v_bfrev_b32_e32 v54, 60
	v_lshlrev_b32_e32 v34, 20, v34
	v_and_b32_e32 v51, 0x80000000, v51
	v_lshl_add_u32 v35, v35, 23, v54
	v_or3_b32 v35, v51, v35, v34
.LBB597_267:
	s_or_b64 exec, exec, s[10:11]
.LBB597_268:
	s_or_b64 exec, exec, s[8:9]
.LBB597_269:
	s_or_b64 exec, exec, s[2:3]
	s_mov_b32 s2, 0xffffff
	v_cmp_lt_u32_e32 vcc, s2, v36
	v_mov_b32_e32 v54, 0
	v_mov_b32_e32 v55, 0
	s_and_saveexec_b64 s[2:3], vcc
	s_cbranch_execz .LBB597_275
; %bb.270:
	v_lshrrev_b32_e32 v34, 24, v36
	s_movk_i32 s8, 0x80
	v_cmp_ne_u32_e32 vcc, s8, v34
	v_bfrev_b32_e32 v55, 1
	s_and_saveexec_b64 s[8:9], vcc
	s_cbranch_execz .LBB597_274
; %bb.271:
	v_bfe_u32 v36, v36, 24, 7
	s_movk_i32 s10, 0x7f
	v_cmp_ne_u32_e32 vcc, s10, v36
	v_mov_b32_e32 v55, 0x7f800001
	s_and_saveexec_b64 s[10:11], vcc
	s_cbranch_execz .LBB597_273
; %bb.272:
	v_and_b32_e32 v51, 7, v34
	v_ffbh_u32_e32 v56, v51
	v_min_u32_e32 v58, 32, v56
	v_subrev_u32_e32 v56, 28, v58
	v_lshlrev_b64 v[56:57], v56, v[34:35]
	v_lshrrev_b32_e32 v55, 3, v36
	v_sub_u32_e32 v57, 29, v58
	v_and_b32_e32 v56, 7, v56
	v_cmp_gt_u32_e32 vcc, 8, v36
	v_cndmask_b32_e32 v36, v55, v57, vcc
	v_cndmask_b32_e32 v51, v51, v56, vcc
	v_lshlrev_b32_e32 v34, 24, v34
	v_bfrev_b32_e32 v55, 60
	v_lshlrev_b32_e32 v51, 20, v51
	v_and_b32_e32 v34, 0x80000000, v34
	v_lshl_add_u32 v36, v36, 23, v55
	v_or3_b32 v55, v34, v36, v51
.LBB597_273:
	s_or_b64 exec, exec, s[10:11]
.LBB597_274:
	s_or_b64 exec, exec, s[8:9]
.LBB597_275:
	s_or_b64 exec, exec, s[2:3]
	v_cmp_ne_u16_sdwa s[8:9], v37, v54 src0_sel:BYTE_0 src1_sel:DWORD
	s_and_saveexec_b64 s[2:3], s[8:9]
	s_cbranch_execz .LBB597_281
; %bb.276:
	s_movk_i32 s8, 0x80
	v_cmp_ne_u16_sdwa s[10:11], v37, s8 src0_sel:BYTE_0 src1_sel:DWORD
	v_bfrev_b32_e32 v54, 1
	s_and_saveexec_b64 s[8:9], s[10:11]
	s_cbranch_execz .LBB597_280
; %bb.277:
	s_movk_i32 s10, 0x7f
	v_and_b32_e32 v34, 0x7f, v37
	v_cmp_ne_u32_e32 vcc, s10, v34
	v_mov_b32_e32 v54, 0x7f800001
	s_and_saveexec_b64 s[10:11], vcc
	s_cbranch_execz .LBB597_279
; %bb.278:
	v_and_b32_e32 v51, 7, v37
	v_ffbh_u32_e32 v56, v51
	v_min_u32_e32 v58, 32, v56
	v_mov_b32_e32 v36, v37
	v_subrev_u32_e32 v56, 28, v58
	v_lshlrev_b64 v[56:57], v56, v[36:37]
	v_lshrrev_b32_e32 v54, 3, v34
	v_sub_u32_e32 v36, 29, v58
	v_and_b32_e32 v56, 7, v56
	v_cmp_gt_u32_e32 vcc, 8, v34
	v_cndmask_b32_e32 v34, v54, v36, vcc
	v_cndmask_b32_e32 v36, v51, v56, vcc
	v_lshlrev_b32_e32 v51, 24, v37
	v_bfrev_b32_e32 v54, 60
	v_lshlrev_b32_e32 v36, 20, v36
	v_and_b32_e32 v51, 0x80000000, v51
	v_lshl_add_u32 v34, v34, 23, v54
	v_or3_b32 v54, v51, v34, v36
.LBB597_279:
	s_or_b64 exec, exec, s[10:11]
.LBB597_280:
	s_or_b64 exec, exec, s[8:9]
.LBB597_281:
	s_or_b64 exec, exec, s[2:3]
	v_lshrrev_b16_e32 v34, 8, v37
	v_cmp_ne_u16_e32 vcc, 0, v34
	v_mov_b32_e32 v36, 0
	v_mov_b32_e32 v56, 0
	s_and_saveexec_b64 s[2:3], vcc
	s_cbranch_execz .LBB597_287
; %bb.282:
	s_movk_i32 s8, 0x80
	v_cmp_ne_u16_e32 vcc, s8, v34
	v_bfrev_b32_e32 v56, 1
	s_and_saveexec_b64 s[8:9], vcc
	s_cbranch_execz .LBB597_286
; %bb.283:
	s_movk_i32 s10, 0x7f
	v_and_b32_e32 v51, 0x7f, v34
	v_cmp_ne_u32_e32 vcc, s10, v51
	v_mov_b32_e32 v56, 0x7f800001
	s_and_saveexec_b64 s[10:11], vcc
	s_cbranch_execz .LBB597_285
; %bb.284:
	v_and_b32_e32 v58, 7, v34
	v_ffbh_u32_e32 v56, v58
	v_min_u32_e32 v60, 32, v56
	v_subrev_u32_e32 v56, 28, v60
	v_lshlrev_b64 v[56:57], v56, v[34:35]
	v_lshrrev_b32_e32 v59, 3, v51
	v_sub_u32_e32 v34, 29, v60
	v_and_b32_e32 v56, 7, v56
	v_cmp_gt_u32_e32 vcc, 8, v51
	v_cndmask_b32_e32 v34, v59, v34, vcc
	v_cndmask_b32_e32 v51, v58, v56, vcc
	v_lshlrev_b32_e32 v56, 16, v37
	v_bfrev_b32_e32 v57, 60
	v_lshlrev_b32_e32 v51, 20, v51
	v_and_b32_e32 v56, 0x80000000, v56
	v_lshl_add_u32 v34, v34, 23, v57
	v_or3_b32 v56, v56, v34, v51
.LBB597_285:
	s_or_b64 exec, exec, s[10:11]
.LBB597_286:
	s_or_b64 exec, exec, s[8:9]
.LBB597_287:
	s_or_b64 exec, exec, s[2:3]
	s_movk_i32 s2, 0xff
	v_and_b32_sdwa v51, v37, s2 dst_sel:DWORD dst_unused:UNUSED_PAD src0_sel:WORD_1 src1_sel:DWORD
	v_lshrrev_b32_e32 v34, 16, v37
	v_cmp_ne_u16_e32 vcc, 0, v51
	s_and_saveexec_b64 s[2:3], vcc
	s_cbranch_execz .LBB597_293
; %bb.288:
	s_movk_i32 s8, 0x80
	v_cmp_ne_u16_e32 vcc, s8, v51
	v_bfrev_b32_e32 v36, 1
	s_and_saveexec_b64 s[8:9], vcc
	s_cbranch_execz .LBB597_292
; %bb.289:
	v_bfe_u32 v51, v37, 16, 7
	s_movk_i32 s10, 0x7f
	v_cmp_ne_u32_e32 vcc, s10, v51
	v_mov_b32_e32 v36, 0x7f800001
	s_and_saveexec_b64 s[10:11], vcc
	s_cbranch_execz .LBB597_291
; %bb.290:
	v_and_b32_e32 v36, 7, v34
	v_ffbh_u32_e32 v58, v36
	v_min_u32_e32 v60, 32, v58
	v_subrev_u32_e32 v58, 28, v60
	v_lshlrev_b64 v[58:59], v58, v[34:35]
	v_lshrrev_b32_e32 v57, 3, v51
	v_sub_u32_e32 v34, 29, v60
	v_and_b32_e32 v58, 7, v58
	v_cmp_gt_u32_e32 vcc, 8, v51
	v_mov_b32_e32 v51, 24
	v_cndmask_b32_e32 v34, v57, v34, vcc
	v_cndmask_b32_e32 v36, v36, v58, vcc
	v_lshlrev_b32_sdwa v51, v51, v37 dst_sel:DWORD dst_unused:UNUSED_PAD src0_sel:DWORD src1_sel:WORD_1
	v_bfrev_b32_e32 v57, 60
	v_lshlrev_b32_e32 v36, 20, v36
	v_and_b32_e32 v51, 0x80000000, v51
	v_lshl_add_u32 v34, v34, 23, v57
	v_or3_b32 v36, v51, v34, v36
.LBB597_291:
	s_or_b64 exec, exec, s[10:11]
.LBB597_292:
	s_or_b64 exec, exec, s[8:9]
.LBB597_293:
	s_or_b64 exec, exec, s[2:3]
	s_mov_b32 s2, 0xffffff
	v_cmp_lt_u32_e32 vcc, s2, v37
	v_mov_b32_e32 v51, 0
	v_mov_b32_e32 v57, 0
	s_and_saveexec_b64 s[2:3], vcc
	s_cbranch_execz .LBB597_299
; %bb.294:
	v_lshrrev_b32_e32 v34, 24, v37
	s_movk_i32 s8, 0x80
	v_cmp_ne_u32_e32 vcc, s8, v34
	v_bfrev_b32_e32 v57, 1
	s_and_saveexec_b64 s[8:9], vcc
	s_cbranch_execz .LBB597_298
; %bb.295:
	v_bfe_u32 v37, v37, 24, 7
	s_movk_i32 s10, 0x7f
	v_cmp_ne_u32_e32 vcc, s10, v37
	v_mov_b32_e32 v57, 0x7f800001
	s_and_saveexec_b64 s[10:11], vcc
	s_cbranch_execz .LBB597_297
; %bb.296:
	v_and_b32_e32 v57, 7, v34
	v_ffbh_u32_e32 v58, v57
	v_min_u32_e32 v61, 32, v58
	v_subrev_u32_e32 v58, 28, v61
	v_lshlrev_b64 v[58:59], v58, v[34:35]
	v_lshrrev_b32_e32 v60, 3, v37
	v_sub_u32_e32 v59, 29, v61
	v_and_b32_e32 v58, 7, v58
	v_cmp_gt_u32_e32 vcc, 8, v37
	v_cndmask_b32_e32 v37, v60, v59, vcc
	v_cndmask_b32_e32 v57, v57, v58, vcc
	v_lshlrev_b32_e32 v34, 24, v34
	v_bfrev_b32_e32 v58, 60
	v_lshlrev_b32_e32 v57, 20, v57
	v_and_b32_e32 v34, 0x80000000, v34
	v_lshl_add_u32 v37, v37, 23, v58
	v_or3_b32 v57, v34, v37, v57
.LBB597_297:
	s_or_b64 exec, exec, s[10:11]
.LBB597_298:
	s_or_b64 exec, exec, s[8:9]
.LBB597_299:
	s_or_b64 exec, exec, s[2:3]
	v_cvt_pkrtz_f16_f32 v34, v52, v53
	v_cvt_pkrtz_f16_f32 v35, v35, v55
	s_waitcnt vmcnt(4)
	v_cmp_ne_u16_sdwa s[8:9], v22, v51 src0_sel:BYTE_0 src1_sel:DWORD
	v_mfma_f32_16x16x16f16 v[42:45], v[34:35], v[18:19], v[42:45]
	v_cvt_pkrtz_f16_f32 v34, v54, v56
	v_cvt_pkrtz_f16_f32 v35, v36, v57
	s_nop 1
	v_mfma_f32_16x16x16f16 v[34:37], v[34:35], v[20:21], v[42:45]
	s_and_saveexec_b64 s[2:3], s[8:9]
	s_cbranch_execz .LBB597_305
; %bb.300:
	s_movk_i32 s8, 0x80
	v_cmp_ne_u16_sdwa s[10:11], v22, s8 src0_sel:BYTE_0 src1_sel:DWORD
	v_bfrev_b32_e32 v51, 1
	s_and_saveexec_b64 s[8:9], s[10:11]
	s_cbranch_execz .LBB597_304
; %bb.301:
	s_movk_i32 s10, 0x7f
	v_and_b32_e32 v42, 0x7f, v22
	v_cmp_ne_u32_e32 vcc, s10, v42
	v_mov_b32_e32 v51, 0x7f800001
	s_and_saveexec_b64 s[10:11], vcc
	s_cbranch_execz .LBB597_303
; %bb.302:
	v_and_b32_e32 v43, 7, v22
	v_ffbh_u32_e32 v44, v43
	v_min_u32_e32 v52, 32, v44
	v_subrev_u32_e32 v44, 28, v52
	v_lshlrev_b64 v[44:45], v44, v[22:23]
	v_lshrrev_b32_e32 v51, 3, v42
	v_sub_u32_e32 v45, 29, v52
	v_and_b32_e32 v44, 7, v44
	v_cmp_gt_u32_e32 vcc, 8, v42
	v_cndmask_b32_e32 v42, v51, v45, vcc
	v_cndmask_b32_e32 v43, v43, v44, vcc
	v_lshlrev_b32_e32 v44, 24, v22
	v_bfrev_b32_e32 v45, 60
	v_lshlrev_b32_e32 v43, 20, v43
	v_and_b32_e32 v44, 0x80000000, v44
	v_lshl_add_u32 v42, v42, 23, v45
	v_or3_b32 v51, v44, v42, v43
.LBB597_303:
	s_or_b64 exec, exec, s[10:11]
.LBB597_304:
	s_or_b64 exec, exec, s[8:9]
.LBB597_305:
	s_or_b64 exec, exec, s[2:3]
	s_nop 3
	v_lshrrev_b16_e32 v42, 8, v22
	v_cmp_ne_u16_e32 vcc, 0, v42
	v_mov_b32_e32 v43, 0
	v_mov_b32_e32 v44, 0
	s_and_saveexec_b64 s[2:3], vcc
	s_cbranch_execz .LBB597_311
; %bb.306:
	s_movk_i32 s8, 0x80
	v_cmp_ne_u16_e32 vcc, s8, v42
	v_bfrev_b32_e32 v44, 1
	s_and_saveexec_b64 s[8:9], vcc
	s_cbranch_execz .LBB597_310
; %bb.307:
	s_movk_i32 s10, 0x7f
	v_and_b32_e32 v45, 0x7f, v42
	v_cmp_ne_u32_e32 vcc, s10, v45
	v_mov_b32_e32 v44, 0x7f800001
	s_and_saveexec_b64 s[10:11], vcc
	s_cbranch_execz .LBB597_309
; %bb.308:
	v_and_b32_e32 v44, 7, v42
	v_ffbh_u32_e32 v52, v44
	v_min_u32_e32 v55, 32, v52
	v_subrev_u32_e32 v52, 28, v55
	v_lshlrev_b64 v[52:53], v52, v[42:43]
	v_lshrrev_b32_e32 v54, 3, v45
	v_sub_u32_e32 v42, 29, v55
	v_and_b32_e32 v52, 7, v52
	v_cmp_gt_u32_e32 vcc, 8, v45
	v_cndmask_b32_e32 v42, v54, v42, vcc
	v_cndmask_b32_e32 v44, v44, v52, vcc
	v_lshlrev_b32_e32 v45, 16, v22
	v_bfrev_b32_e32 v52, 60
	v_lshlrev_b32_e32 v44, 20, v44
	v_and_b32_e32 v45, 0x80000000, v45
	v_lshl_add_u32 v42, v42, 23, v52
	v_or3_b32 v44, v45, v42, v44
.LBB597_309:
	s_or_b64 exec, exec, s[10:11]
.LBB597_310:
	s_or_b64 exec, exec, s[8:9]
.LBB597_311:
	s_or_b64 exec, exec, s[2:3]
	s_movk_i32 s2, 0xff
	v_and_b32_sdwa v45, v22, s2 dst_sel:DWORD dst_unused:UNUSED_PAD src0_sel:WORD_1 src1_sel:DWORD
	v_lshrrev_b32_e32 v42, 16, v22
	v_cmp_ne_u16_e32 vcc, 0, v45
	s_and_saveexec_b64 s[2:3], vcc
	s_cbranch_execz .LBB597_317
; %bb.312:
	s_movk_i32 s8, 0x80
	v_cmp_ne_u16_e32 vcc, s8, v45
	v_bfrev_b32_e32 v43, 1
	s_and_saveexec_b64 s[8:9], vcc
	s_cbranch_execz .LBB597_316
; %bb.313:
	v_bfe_u32 v45, v22, 16, 7
	s_movk_i32 s10, 0x7f
	v_cmp_ne_u32_e32 vcc, s10, v45
	v_mov_b32_e32 v43, 0x7f800001
	s_and_saveexec_b64 s[10:11], vcc
	s_cbranch_execz .LBB597_315
; %bb.314:
	v_and_b32_e32 v52, 7, v42
	v_ffbh_u32_e32 v43, v52
	v_min_u32_e32 v54, 32, v43
	v_subrev_u32_e32 v43, 28, v54
	v_lshlrev_b64 v[42:43], v43, v[42:43]
	v_lshrrev_b32_e32 v53, 3, v45
	v_sub_u32_e32 v43, 29, v54
	v_and_b32_e32 v42, 7, v42
	v_cmp_gt_u32_e32 vcc, 8, v45
	v_mov_b32_e32 v45, 24
	v_cndmask_b32_e32 v43, v53, v43, vcc
	v_cndmask_b32_e32 v42, v52, v42, vcc
	v_lshlrev_b32_sdwa v45, v45, v22 dst_sel:DWORD dst_unused:UNUSED_PAD src0_sel:DWORD src1_sel:WORD_1
	v_bfrev_b32_e32 v52, 60
	v_lshlrev_b32_e32 v42, 20, v42
	v_and_b32_e32 v45, 0x80000000, v45
	v_lshl_add_u32 v43, v43, 23, v52
	v_or3_b32 v43, v45, v43, v42
.LBB597_315:
	s_or_b64 exec, exec, s[10:11]
.LBB597_316:
	s_or_b64 exec, exec, s[8:9]
.LBB597_317:
	s_or_b64 exec, exec, s[2:3]
	s_mov_b32 s2, 0xffffff
	v_cmp_lt_u32_e32 vcc, s2, v22
	v_mov_b32_e32 v45, 0
	v_mov_b32_e32 v52, 0
	s_and_saveexec_b64 s[2:3], vcc
	s_cbranch_execz .LBB597_323
; %bb.318:
	v_lshrrev_b32_e32 v42, 24, v22
	s_movk_i32 s8, 0x80
	v_cmp_ne_u32_e32 vcc, s8, v42
	v_bfrev_b32_e32 v52, 1
	s_and_saveexec_b64 s[8:9], vcc
	s_cbranch_execz .LBB597_322
; %bb.319:
	v_bfe_u32 v22, v22, 24, 7
	s_movk_i32 s10, 0x7f
	v_cmp_ne_u32_e32 vcc, s10, v22
	v_mov_b32_e32 v52, 0x7f800001
	s_and_saveexec_b64 s[10:11], vcc
	s_cbranch_execz .LBB597_321
; %bb.320:
	v_and_b32_e32 v54, 7, v42
	v_ffbh_u32_e32 v52, v54
	v_min_u32_e32 v56, 32, v52
	v_subrev_u32_e32 v52, 28, v56
	v_lshlrev_b64 v[52:53], v52, v[42:43]
	v_lshrrev_b32_e32 v55, 3, v22
	v_sub_u32_e32 v53, 29, v56
	v_and_b32_e32 v52, 7, v52
	v_cmp_gt_u32_e32 vcc, 8, v22
	v_cndmask_b32_e32 v22, v55, v53, vcc
	v_cndmask_b32_e32 v52, v54, v52, vcc
	v_lshlrev_b32_e32 v42, 24, v42
	v_bfrev_b32_e32 v53, 60
	v_lshlrev_b32_e32 v52, 20, v52
	v_and_b32_e32 v42, 0x80000000, v42
	v_lshl_add_u32 v22, v22, 23, v53
	v_or3_b32 v52, v42, v22, v52
.LBB597_321:
	s_or_b64 exec, exec, s[10:11]
.LBB597_322:
	s_or_b64 exec, exec, s[8:9]
.LBB597_323:
	s_or_b64 exec, exec, s[2:3]
	v_cmp_ne_u16_sdwa s[8:9], v23, v45 src0_sel:BYTE_0 src1_sel:DWORD
	s_and_saveexec_b64 s[2:3], s[8:9]
	s_cbranch_execz .LBB597_329
; %bb.324:
	s_movk_i32 s8, 0x80
	v_cmp_ne_u16_sdwa s[10:11], v23, s8 src0_sel:BYTE_0 src1_sel:DWORD
	v_bfrev_b32_e32 v45, 1
	s_and_saveexec_b64 s[8:9], s[10:11]
	s_cbranch_execz .LBB597_328
; %bb.325:
	s_movk_i32 s10, 0x7f
	v_and_b32_e32 v22, 0x7f, v23
	v_cmp_ne_u32_e32 vcc, s10, v22
	v_mov_b32_e32 v45, 0x7f800001
	s_and_saveexec_b64 s[10:11], vcc
	s_cbranch_execz .LBB597_327
; %bb.326:
	v_and_b32_e32 v45, 7, v23
	v_ffbh_u32_e32 v54, v45
	v_min_u32_e32 v56, 32, v54
	v_mov_b32_e32 v42, v23
	v_subrev_u32_e32 v54, 28, v56
	v_lshlrev_b64 v[54:55], v54, v[42:43]
	v_lshrrev_b32_e32 v53, 3, v22
	v_sub_u32_e32 v42, 29, v56
	v_and_b32_e32 v54, 7, v54
	v_cmp_gt_u32_e32 vcc, 8, v22
	v_cndmask_b32_e32 v22, v53, v42, vcc
	v_cndmask_b32_e32 v42, v45, v54, vcc
	v_lshlrev_b32_e32 v45, 24, v23
	v_bfrev_b32_e32 v53, 60
	v_lshlrev_b32_e32 v42, 20, v42
	v_and_b32_e32 v45, 0x80000000, v45
	v_lshl_add_u32 v22, v22, 23, v53
	v_or3_b32 v45, v45, v22, v42
.LBB597_327:
	s_or_b64 exec, exec, s[10:11]
.LBB597_328:
	s_or_b64 exec, exec, s[8:9]
.LBB597_329:
	s_or_b64 exec, exec, s[2:3]
	v_lshrrev_b16_e32 v22, 8, v23
	v_cmp_ne_u16_e32 vcc, 0, v22
	v_mov_b32_e32 v53, 0
	v_mov_b32_e32 v54, 0
	s_and_saveexec_b64 s[2:3], vcc
	s_cbranch_execz .LBB597_335
; %bb.330:
	s_movk_i32 s8, 0x80
	v_cmp_ne_u16_e32 vcc, s8, v22
	v_bfrev_b32_e32 v54, 1
	s_and_saveexec_b64 s[8:9], vcc
	s_cbranch_execz .LBB597_334
; %bb.331:
	s_movk_i32 s10, 0x7f
	v_and_b32_e32 v42, 0x7f, v22
	v_cmp_ne_u32_e32 vcc, s10, v42
	v_mov_b32_e32 v54, 0x7f800001
	s_and_saveexec_b64 s[10:11], vcc
	s_cbranch_execz .LBB597_333
; %bb.332:
	v_and_b32_e32 v56, 7, v22
	v_ffbh_u32_e32 v54, v56
	v_min_u32_e32 v58, 32, v54
	v_subrev_u32_e32 v54, 28, v58
	v_lshlrev_b64 v[54:55], v54, v[22:23]
	v_lshrrev_b32_e32 v57, 3, v42
	v_sub_u32_e32 v22, 29, v58
	v_and_b32_e32 v54, 7, v54
	v_cmp_gt_u32_e32 vcc, 8, v42
	v_cndmask_b32_e32 v22, v57, v22, vcc
	v_cndmask_b32_e32 v42, v56, v54, vcc
	v_lshlrev_b32_e32 v54, 16, v23
	v_bfrev_b32_e32 v55, 60
	v_lshlrev_b32_e32 v42, 20, v42
	v_and_b32_e32 v54, 0x80000000, v54
	v_lshl_add_u32 v22, v22, 23, v55
	v_or3_b32 v54, v54, v22, v42
.LBB597_333:
	s_or_b64 exec, exec, s[10:11]
.LBB597_334:
	s_or_b64 exec, exec, s[8:9]
.LBB597_335:
	s_or_b64 exec, exec, s[2:3]
	s_movk_i32 s2, 0xff
	v_and_b32_sdwa v42, v23, s2 dst_sel:DWORD dst_unused:UNUSED_PAD src0_sel:WORD_1 src1_sel:DWORD
	v_lshrrev_b32_e32 v22, 16, v23
	v_cmp_ne_u16_e32 vcc, 0, v42
	s_and_saveexec_b64 s[2:3], vcc
	s_cbranch_execz .LBB597_341
; %bb.336:
	s_movk_i32 s8, 0x80
	v_cmp_ne_u16_e32 vcc, s8, v42
	v_bfrev_b32_e32 v53, 1
	s_and_saveexec_b64 s[8:9], vcc
	s_cbranch_execz .LBB597_340
; %bb.337:
	v_bfe_u32 v42, v23, 16, 7
	s_movk_i32 s10, 0x7f
	v_cmp_ne_u32_e32 vcc, s10, v42
	v_mov_b32_e32 v53, 0x7f800001
	s_and_saveexec_b64 s[10:11], vcc
	s_cbranch_execz .LBB597_339
; %bb.338:
	v_and_b32_e32 v53, 7, v22
	v_ffbh_u32_e32 v56, v53
	v_min_u32_e32 v58, 32, v56
	v_subrev_u32_e32 v56, 28, v58
	v_lshlrev_b64 v[56:57], v56, v[22:23]
	v_and_b32_e32 v56, 7, v56
	v_cmp_gt_u32_e32 vcc, 8, v42
	v_lshrrev_b32_e32 v55, 3, v42
	v_sub_u32_e32 v22, 29, v58
	v_cndmask_b32_e32 v42, v53, v56, vcc
	v_mov_b32_e32 v53, 24
	v_cndmask_b32_e32 v22, v55, v22, vcc
	v_lshlrev_b32_sdwa v53, v53, v23 dst_sel:DWORD dst_unused:UNUSED_PAD src0_sel:DWORD src1_sel:WORD_1
	v_bfrev_b32_e32 v55, 60
	v_lshlrev_b32_e32 v42, 20, v42
	v_and_b32_e32 v53, 0x80000000, v53
	v_lshl_add_u32 v22, v22, 23, v55
	v_or3_b32 v53, v53, v22, v42
.LBB597_339:
	s_or_b64 exec, exec, s[10:11]
.LBB597_340:
	s_or_b64 exec, exec, s[8:9]
.LBB597_341:
	s_or_b64 exec, exec, s[2:3]
	s_mov_b32 s2, 0xffffff
	v_cmp_lt_u32_e32 vcc, s2, v23
	v_mov_b32_e32 v42, 0
	v_mov_b32_e32 v55, 0
	s_and_saveexec_b64 s[2:3], vcc
	s_cbranch_execz .LBB597_347
; %bb.342:
	v_lshrrev_b32_e32 v22, 24, v23
	s_movk_i32 s8, 0x80
	v_cmp_ne_u32_e32 vcc, s8, v22
	v_bfrev_b32_e32 v55, 1
	s_and_saveexec_b64 s[8:9], vcc
	s_cbranch_execz .LBB597_346
; %bb.343:
	v_bfe_u32 v23, v23, 24, 7
	s_movk_i32 s10, 0x7f
	v_cmp_ne_u32_e32 vcc, s10, v23
	v_mov_b32_e32 v55, 0x7f800001
	s_and_saveexec_b64 s[10:11], vcc
	s_cbranch_execz .LBB597_345
; %bb.344:
	v_and_b32_e32 v55, 7, v22
	v_ffbh_u32_e32 v56, v55
	v_min_u32_e32 v59, 32, v56
	v_subrev_u32_e32 v56, 28, v59
	v_lshlrev_b64 v[56:57], v56, v[22:23]
	v_lshrrev_b32_e32 v58, 3, v23
	v_sub_u32_e32 v57, 29, v59
	v_and_b32_e32 v56, 7, v56
	v_cmp_gt_u32_e32 vcc, 8, v23
	v_cndmask_b32_e32 v23, v58, v57, vcc
	v_cndmask_b32_e32 v55, v55, v56, vcc
	v_lshlrev_b32_e32 v22, 24, v22
	v_bfrev_b32_e32 v56, 60
	v_lshlrev_b32_e32 v55, 20, v55
	v_and_b32_e32 v22, 0x80000000, v22
	v_lshl_add_u32 v23, v23, 23, v56
	v_or3_b32 v55, v22, v23, v55
.LBB597_345:
	s_or_b64 exec, exec, s[10:11]
.LBB597_346:
	s_or_b64 exec, exec, s[8:9]
.LBB597_347:
	s_or_b64 exec, exec, s[2:3]
	v_cvt_pkrtz_f16_f32 v22, v51, v44
	v_cvt_pkrtz_f16_f32 v23, v43, v52
	v_cmp_ne_u16_sdwa s[8:9], v24, v42 src0_sel:BYTE_0 src1_sel:DWORD
	s_nop 0
	v_mfma_f32_16x16x16f16 v[56:59], v[22:23], v[26:27], 0
	v_cvt_pkrtz_f16_f32 v22, v45, v54
	v_cvt_pkrtz_f16_f32 v23, v53, v55
	s_nop 1
	v_mfma_f32_16x16x16f16 v[26:29], v[22:23], v[28:29], v[56:59]
	s_and_saveexec_b64 s[2:3], s[8:9]
	s_cbranch_execz .LBB597_353
; %bb.348:
	s_movk_i32 s8, 0x80
	v_cmp_ne_u16_sdwa s[10:11], v24, s8 src0_sel:BYTE_0 src1_sel:DWORD
	v_bfrev_b32_e32 v42, 1
	s_and_saveexec_b64 s[8:9], s[10:11]
	s_cbranch_execz .LBB597_352
; %bb.349:
	s_movk_i32 s10, 0x7f
	v_and_b32_e32 v22, 0x7f, v24
	v_cmp_ne_u32_e32 vcc, s10, v22
	v_mov_b32_e32 v42, 0x7f800001
	s_and_saveexec_b64 s[10:11], vcc
	s_cbranch_execz .LBB597_351
; %bb.350:
	v_and_b32_e32 v23, 7, v24
	v_ffbh_u32_e32 v42, v23
	v_min_u32_e32 v45, 32, v42
	v_subrev_u32_e32 v42, 28, v45
	v_lshlrev_b64 v[42:43], v42, v[24:25]
	v_lshrrev_b32_e32 v44, 3, v22
	v_sub_u32_e32 v43, 29, v45
	v_and_b32_e32 v42, 7, v42
	v_cmp_gt_u32_e32 vcc, 8, v22
	v_cndmask_b32_e32 v22, v44, v43, vcc
	v_cndmask_b32_e32 v23, v23, v42, vcc
	v_lshlrev_b32_e32 v42, 24, v24
	v_bfrev_b32_e32 v43, 60
	v_lshlrev_b32_e32 v23, 20, v23
	v_and_b32_e32 v42, 0x80000000, v42
	v_lshl_add_u32 v22, v22, 23, v43
	v_or3_b32 v42, v42, v22, v23
.LBB597_351:
	s_or_b64 exec, exec, s[10:11]
.LBB597_352:
	s_or_b64 exec, exec, s[8:9]
.LBB597_353:
	s_or_b64 exec, exec, s[2:3]
	v_lshrrev_b16_e32 v22, 8, v24
	v_cmp_ne_u16_e32 vcc, 0, v22
	v_mov_b32_e32 v23, 0
	v_mov_b32_e32 v43, 0
	s_and_saveexec_b64 s[2:3], vcc
	s_cbranch_execz .LBB597_359
; %bb.354:
	s_movk_i32 s8, 0x80
	v_cmp_ne_u16_e32 vcc, s8, v22
	v_bfrev_b32_e32 v43, 1
	s_and_saveexec_b64 s[8:9], vcc
	s_cbranch_execz .LBB597_358
; %bb.355:
	s_movk_i32 s10, 0x7f
	v_and_b32_e32 v44, 0x7f, v22
	v_cmp_ne_u32_e32 vcc, s10, v44
	v_mov_b32_e32 v43, 0x7f800001
	s_and_saveexec_b64 s[10:11], vcc
	s_cbranch_execz .LBB597_357
; %bb.356:
	v_and_b32_e32 v43, 7, v22
	v_ffbh_u32_e32 v51, v43
	v_min_u32_e32 v51, 32, v51
	v_subrev_u32_e32 v52, 28, v51
	v_lshlrev_b64 v[52:53], v52, v[22:23]
	v_lshrrev_b32_e32 v45, 3, v44
	v_sub_u32_e32 v22, 29, v51
	v_and_b32_e32 v51, 7, v52
	v_cmp_gt_u32_e32 vcc, 8, v44
	v_cndmask_b32_e32 v22, v45, v22, vcc
	v_cndmask_b32_e32 v43, v43, v51, vcc
	v_lshlrev_b32_e32 v44, 16, v24
	v_bfrev_b32_e32 v45, 60
	v_lshlrev_b32_e32 v43, 20, v43
	v_and_b32_e32 v44, 0x80000000, v44
	v_lshl_add_u32 v22, v22, 23, v45
	v_or3_b32 v43, v44, v22, v43
.LBB597_357:
	s_or_b64 exec, exec, s[10:11]
.LBB597_358:
	s_or_b64 exec, exec, s[8:9]
.LBB597_359:
	s_or_b64 exec, exec, s[2:3]
	s_movk_i32 s2, 0xff
	v_and_b32_sdwa v44, v24, s2 dst_sel:DWORD dst_unused:UNUSED_PAD src0_sel:WORD_1 src1_sel:DWORD
	v_lshrrev_b32_e32 v22, 16, v24
	v_cmp_ne_u16_e32 vcc, 0, v44
	s_and_saveexec_b64 s[2:3], vcc
	s_cbranch_execz .LBB597_365
; %bb.360:
	s_movk_i32 s8, 0x80
	v_cmp_ne_u16_e32 vcc, s8, v44
	v_bfrev_b32_e32 v23, 1
	s_and_saveexec_b64 s[8:9], vcc
	s_cbranch_execz .LBB597_364
; %bb.361:
	v_bfe_u32 v44, v24, 16, 7
	s_movk_i32 s10, 0x7f
	v_cmp_ne_u32_e32 vcc, s10, v44
	v_mov_b32_e32 v23, 0x7f800001
	s_and_saveexec_b64 s[10:11], vcc
	s_cbranch_execz .LBB597_363
; %bb.362:
	v_and_b32_e32 v45, 7, v22
	v_ffbh_u32_e32 v23, v45
	v_min_u32_e32 v52, 32, v23
	v_subrev_u32_e32 v23, 28, v52
	v_lshlrev_b64 v[22:23], v23, v[22:23]
	v_lshrrev_b32_e32 v51, 3, v44
	v_sub_u32_e32 v23, 29, v52
	v_and_b32_e32 v22, 7, v22
	v_cmp_gt_u32_e32 vcc, 8, v44
	v_mov_b32_e32 v44, 24
	v_cndmask_b32_e32 v23, v51, v23, vcc
	v_cndmask_b32_e32 v22, v45, v22, vcc
	v_lshlrev_b32_sdwa v44, v44, v24 dst_sel:DWORD dst_unused:UNUSED_PAD src0_sel:DWORD src1_sel:WORD_1
	v_bfrev_b32_e32 v45, 60
	v_lshlrev_b32_e32 v22, 20, v22
	v_and_b32_e32 v44, 0x80000000, v44
	v_lshl_add_u32 v23, v23, 23, v45
	v_or3_b32 v23, v44, v23, v22
.LBB597_363:
	s_or_b64 exec, exec, s[10:11]
.LBB597_364:
	s_or_b64 exec, exec, s[8:9]
.LBB597_365:
	s_or_b64 exec, exec, s[2:3]
	s_mov_b32 s2, 0xffffff
	v_cmp_lt_u32_e32 vcc, s2, v24
	v_mov_b32_e32 v44, 0
	v_mov_b32_e32 v45, 0
	s_and_saveexec_b64 s[2:3], vcc
	s_cbranch_execz .LBB597_371
; %bb.366:
	v_lshrrev_b32_e32 v22, 24, v24
	s_movk_i32 s8, 0x80
	v_cmp_ne_u32_e32 vcc, s8, v22
	v_bfrev_b32_e32 v45, 1
	s_and_saveexec_b64 s[8:9], vcc
	s_cbranch_execz .LBB597_370
; %bb.367:
	v_bfe_u32 v24, v24, 24, 7
	s_movk_i32 s10, 0x7f
	v_cmp_ne_u32_e32 vcc, s10, v24
	v_mov_b32_e32 v45, 0x7f800001
	s_and_saveexec_b64 s[10:11], vcc
	s_cbranch_execz .LBB597_369
; %bb.368:
	v_and_b32_e32 v45, 7, v22
	v_ffbh_u32_e32 v52, v45
	v_min_u32_e32 v54, 32, v52
	v_subrev_u32_e32 v52, 28, v54
	v_lshlrev_b64 v[52:53], v52, v[22:23]
	v_lshrrev_b32_e32 v51, 3, v24
	v_sub_u32_e32 v53, 29, v54
	v_and_b32_e32 v52, 7, v52
	v_cmp_gt_u32_e32 vcc, 8, v24
	v_cndmask_b32_e32 v24, v51, v53, vcc
	v_cndmask_b32_e32 v45, v45, v52, vcc
	v_lshlrev_b32_e32 v22, 24, v22
	v_bfrev_b32_e32 v51, 60
	v_lshlrev_b32_e32 v45, 20, v45
	v_and_b32_e32 v22, 0x80000000, v22
	v_lshl_add_u32 v24, v24, 23, v51
	v_or3_b32 v45, v22, v24, v45
.LBB597_369:
	s_or_b64 exec, exec, s[10:11]
.LBB597_370:
	s_or_b64 exec, exec, s[8:9]
.LBB597_371:
	s_or_b64 exec, exec, s[2:3]
	v_cmp_ne_u16_sdwa s[8:9], v25, v44 src0_sel:BYTE_0 src1_sel:DWORD
	s_and_saveexec_b64 s[2:3], s[8:9]
	s_cbranch_execz .LBB597_377
; %bb.372:
	s_movk_i32 s8, 0x80
	v_cmp_ne_u16_sdwa s[10:11], v25, s8 src0_sel:BYTE_0 src1_sel:DWORD
	v_bfrev_b32_e32 v44, 1
	s_and_saveexec_b64 s[8:9], s[10:11]
	s_cbranch_execz .LBB597_376
; %bb.373:
	s_movk_i32 s10, 0x7f
	v_and_b32_e32 v22, 0x7f, v25
	v_cmp_ne_u32_e32 vcc, s10, v22
	v_mov_b32_e32 v44, 0x7f800001
	s_and_saveexec_b64 s[10:11], vcc
	s_cbranch_execz .LBB597_375
; %bb.374:
	v_and_b32_e32 v44, 7, v25
	v_ffbh_u32_e32 v52, v44
	v_min_u32_e32 v54, 32, v52
	v_mov_b32_e32 v24, v25
	v_subrev_u32_e32 v52, 28, v54
	v_lshlrev_b64 v[52:53], v52, v[24:25]
	v_lshrrev_b32_e32 v51, 3, v22
	v_sub_u32_e32 v24, 29, v54
	v_and_b32_e32 v52, 7, v52
	v_cmp_gt_u32_e32 vcc, 8, v22
	v_cndmask_b32_e32 v22, v51, v24, vcc
	v_cndmask_b32_e32 v24, v44, v52, vcc
	v_lshlrev_b32_e32 v44, 24, v25
	v_bfrev_b32_e32 v51, 60
	v_lshlrev_b32_e32 v24, 20, v24
	v_and_b32_e32 v44, 0x80000000, v44
	v_lshl_add_u32 v22, v22, 23, v51
	v_or3_b32 v44, v44, v22, v24
.LBB597_375:
	s_or_b64 exec, exec, s[10:11]
.LBB597_376:
	s_or_b64 exec, exec, s[8:9]
.LBB597_377:
	s_or_b64 exec, exec, s[2:3]
	v_lshrrev_b16_e32 v22, 8, v25
	v_cmp_ne_u16_e32 vcc, 0, v22
	v_mov_b32_e32 v24, 0
	v_mov_b32_e32 v52, 0
	s_and_saveexec_b64 s[2:3], vcc
	s_cbranch_execz .LBB597_383
; %bb.378:
	s_movk_i32 s8, 0x80
	v_cmp_ne_u16_e32 vcc, s8, v22
	v_bfrev_b32_e32 v52, 1
	s_and_saveexec_b64 s[8:9], vcc
	s_cbranch_execz .LBB597_382
; %bb.379:
	s_movk_i32 s10, 0x7f
	v_and_b32_e32 v51, 0x7f, v22
	v_cmp_ne_u32_e32 vcc, s10, v51
	v_mov_b32_e32 v52, 0x7f800001
	s_and_saveexec_b64 s[10:11], vcc
	s_cbranch_execz .LBB597_381
; %bb.380:
	v_and_b32_e32 v54, 7, v22
	v_ffbh_u32_e32 v52, v54
	v_min_u32_e32 v56, 32, v52
	v_subrev_u32_e32 v52, 28, v56
	v_lshlrev_b64 v[52:53], v52, v[22:23]
	v_lshrrev_b32_e32 v55, 3, v51
	v_sub_u32_e32 v22, 29, v56
	v_and_b32_e32 v52, 7, v52
	v_cmp_gt_u32_e32 vcc, 8, v51
	v_cndmask_b32_e32 v22, v55, v22, vcc
	v_cndmask_b32_e32 v51, v54, v52, vcc
	v_lshlrev_b32_e32 v52, 16, v25
	v_bfrev_b32_e32 v53, 60
	v_lshlrev_b32_e32 v51, 20, v51
	v_and_b32_e32 v52, 0x80000000, v52
	v_lshl_add_u32 v22, v22, 23, v53
	v_or3_b32 v52, v52, v22, v51
.LBB597_381:
	s_or_b64 exec, exec, s[10:11]
.LBB597_382:
	s_or_b64 exec, exec, s[8:9]
.LBB597_383:
	s_or_b64 exec, exec, s[2:3]
	s_movk_i32 s2, 0xff
	v_and_b32_sdwa v51, v25, s2 dst_sel:DWORD dst_unused:UNUSED_PAD src0_sel:WORD_1 src1_sel:DWORD
	v_lshrrev_b32_e32 v22, 16, v25
	v_cmp_ne_u16_e32 vcc, 0, v51
	s_and_saveexec_b64 s[2:3], vcc
	s_cbranch_execz .LBB597_389
; %bb.384:
	s_movk_i32 s8, 0x80
	v_cmp_ne_u16_e32 vcc, s8, v51
	v_bfrev_b32_e32 v24, 1
	s_and_saveexec_b64 s[8:9], vcc
	s_cbranch_execz .LBB597_388
; %bb.385:
	v_bfe_u32 v51, v25, 16, 7
	s_movk_i32 s10, 0x7f
	v_cmp_ne_u32_e32 vcc, s10, v51
	v_mov_b32_e32 v24, 0x7f800001
	s_and_saveexec_b64 s[10:11], vcc
	s_cbranch_execz .LBB597_387
; %bb.386:
	v_and_b32_e32 v24, 7, v22
	v_ffbh_u32_e32 v54, v24
	v_min_u32_e32 v56, 32, v54
	v_subrev_u32_e32 v54, 28, v56
	v_lshlrev_b64 v[54:55], v54, v[22:23]
	v_lshrrev_b32_e32 v53, 3, v51
	v_sub_u32_e32 v22, 29, v56
	v_and_b32_e32 v54, 7, v54
	v_cmp_gt_u32_e32 vcc, 8, v51
	v_mov_b32_e32 v51, 24
	v_cndmask_b32_e32 v22, v53, v22, vcc
	v_cndmask_b32_e32 v24, v24, v54, vcc
	v_lshlrev_b32_sdwa v51, v51, v25 dst_sel:DWORD dst_unused:UNUSED_PAD src0_sel:DWORD src1_sel:WORD_1
	v_bfrev_b32_e32 v53, 60
	v_lshlrev_b32_e32 v24, 20, v24
	v_and_b32_e32 v51, 0x80000000, v51
	v_lshl_add_u32 v22, v22, 23, v53
	v_or3_b32 v24, v51, v22, v24
.LBB597_387:
	s_or_b64 exec, exec, s[10:11]
.LBB597_388:
	s_or_b64 exec, exec, s[8:9]
.LBB597_389:
	s_or_b64 exec, exec, s[2:3]
	s_mov_b32 s2, 0xffffff
	v_and_b32_e32 v51, 63, v0
	v_cmp_lt_u32_e32 vcc, s2, v25
	v_mov_b32_e32 v53, 0
	s_and_saveexec_b64 s[2:3], vcc
	s_cbranch_execz .LBB597_395
; %bb.390:
	v_lshrrev_b32_e32 v22, 24, v25
	s_movk_i32 s8, 0x80
	v_cmp_ne_u32_e32 vcc, s8, v22
	v_bfrev_b32_e32 v53, 1
	s_and_saveexec_b64 s[8:9], vcc
	s_cbranch_execz .LBB597_394
; %bb.391:
	v_bfe_u32 v25, v25, 24, 7
	s_movk_i32 s10, 0x7f
	v_cmp_ne_u32_e32 vcc, s10, v25
	v_mov_b32_e32 v53, 0x7f800001
	s_and_saveexec_b64 s[10:11], vcc
	s_cbranch_execz .LBB597_393
; %bb.392:
	v_and_b32_e32 v53, 7, v22
	v_ffbh_u32_e32 v54, v53
	v_min_u32_e32 v57, 32, v54
	v_subrev_u32_e32 v54, 28, v57
	v_lshlrev_b64 v[54:55], v54, v[22:23]
	v_lshrrev_b32_e32 v56, 3, v25
	v_sub_u32_e32 v55, 29, v57
	v_and_b32_e32 v54, 7, v54
	v_cmp_gt_u32_e32 vcc, 8, v25
	v_cndmask_b32_e32 v25, v56, v55, vcc
	v_cndmask_b32_e32 v53, v53, v54, vcc
	v_lshlrev_b32_e32 v22, 24, v22
	v_bfrev_b32_e32 v54, 60
	v_lshlrev_b32_e32 v53, 20, v53
	v_and_b32_e32 v22, 0x80000000, v22
	v_lshl_add_u32 v25, v25, 23, v54
	v_or3_b32 v53, v22, v25, v53
.LBB597_393:
	s_or_b64 exec, exec, s[10:11]
.LBB597_394:
	s_or_b64 exec, exec, s[8:9]
.LBB597_395:
	s_or_b64 exec, exec, s[2:3]
	v_cvt_pkrtz_f16_f32 v42, v42, v43
	v_cvt_pkrtz_f16_f32 v43, v23, v45
	s_load_dword s2, s[4:5], 0x1c
	s_mov_b32 s46, 0xff7fffff
	s_waitcnt lgkmcnt(0)
	v_mfma_f32_16x16x16f16 v[26:29], v[42:43], v[18:19], v[26:29]
	v_cvt_pkrtz_f16_f32 v18, v44, v52
	v_cvt_pkrtz_f16_f32 v19, v24, v53
	v_and_b32_e32 v24, 0xc0, v0
	v_mov_b32_e32 v22, s2
	v_add_u32_e32 v24, s20, v24
	v_mul_f32_e32 v54, s12, v22
	v_lshl_or_b32 v42, v1, 2, v24
	v_mfma_f32_16x16x16f16 v[18:21], v[18:19], v[20:21], v[26:29]
	v_pk_mul_f32 v[22:23], v[54:55], v[36:37] op_sel_hi:[0,1]
	v_pk_mul_f32 v[36:37], v[54:55], v[40:41] op_sel_hi:[0,1]
	;; [unrolled: 1-line block ×4, first 2 shown]
	v_mov_b32_e32 v43, 0xff7fffff
	v_cmp_gt_i32_e64 s[26:27], s33, v42
	v_pk_mul_f32 v[38:39], v[54:55], v[38:39] op_sel_hi:[0,1]
	s_nop 3
	v_pk_mul_f32 v[32:33], v[54:55], v[18:19] op_sel_hi:[0,1]
	v_or_b32_e32 v19, 1, v42
	v_cmp_gt_i32_e64 s[28:29], s33, v19
	v_cndmask_b32_e64 v18, v43, v30, s[26:27]
	v_cndmask_b32_e64 v19, v43, v31, s[28:29]
	v_pk_mul_f32 v[24:25], v[54:55], v[20:21] op_sel_hi:[0,1]
	v_max3_f32 v18, v18, s46, v19
	v_or_b32_e32 v19, 2, v42
	v_or_b32_e32 v20, 3, v42
	v_cmp_gt_i32_e64 s[30:31], s33, v19
	v_cmp_gt_i32_e64 s[34:35], s33, v20
	v_cndmask_b32_e64 v19, v43, v40, s[30:31]
	v_cndmask_b32_e64 v20, v43, v41, s[34:35]
	v_max3_f32 v18, v18, v19, v20
	v_or_b32_e32 v19, 16, v42
	v_or_b32_e32 v20, 17, v42
	v_cmp_gt_i32_e64 s[36:37], s33, v19
	v_cmp_gt_i32_e64 s[38:39], s33, v20
	v_cndmask_b32_e64 v19, v43, v38, s[36:37]
	v_cndmask_b32_e64 v20, v43, v39, s[38:39]
	;; [unrolled: 7-line block ×3, first 2 shown]
	v_max3_f32 v18, v18, v19, v20
	v_or_b32_e32 v19, 32, v42
	v_or_b32_e32 v20, 33, v42
	v_pk_mul_f32 v[34:35], v[54:55], v[34:35] op_sel_hi:[0,1]
	v_cmp_gt_i32_e64 s[16:17], s33, v19
	v_cmp_gt_i32_e64 s[18:19], s33, v20
	v_cndmask_b32_e64 v19, v43, v34, s[16:17]
	v_cndmask_b32_e64 v20, v43, v35, s[18:19]
	v_max3_f32 v18, v18, v19, v20
	v_or_b32_e32 v19, 34, v42
	v_or_b32_e32 v20, 35, v42
	v_cmp_gt_i32_e64 s[12:13], s33, v19
	v_cmp_gt_i32_e64 s[14:15], s33, v20
	v_cndmask_b32_e64 v19, v43, v22, s[12:13]
	v_cndmask_b32_e64 v20, v43, v23, s[14:15]
	v_max3_f32 v18, v18, v19, v20
	v_or_b32_e32 v19, 48, v42
	v_or_b32_e32 v20, 49, v42
	v_cmp_gt_i32_e64 s[8:9], s33, v19
	v_cmp_gt_i32_e64 s[10:11], s33, v20
	v_cndmask_b32_e64 v19, v43, v32, s[8:9]
	v_cndmask_b32_e64 v20, v43, v33, s[10:11]
	v_max3_f32 v18, v18, v19, v20
	v_or_b32_e32 v19, 50, v42
	v_or_b32_e32 v20, 51, v42
	v_cmp_gt_i32_e32 vcc, s33, v19
	v_cmp_gt_i32_e64 s[2:3], s33, v20
	v_cndmask_b32_e32 v19, v43, v24, vcc
	v_cndmask_b32_e64 v20, v43, v25, s[2:3]
	v_max3_f32 v18, v18, v19, v20
	v_mbcnt_lo_u32_b32 v19, -1, 0
	v_mbcnt_hi_u32_b32 v19, -1, v19
	v_and_b32_e32 v20, 64, v19
	v_add_u32_e32 v20, 64, v20
	v_xor_b32_e32 v21, 32, v19
	v_cmp_lt_i32_e64 s[40:41], v21, v20
	v_cndmask_b32_e64 v21, v19, v21, s[40:41]
	v_lshlrev_b32_e32 v43, 2, v21
	ds_bpermute_b32 v21, v43, v18
	s_barrier
	s_waitcnt lgkmcnt(0)
	v_max_f32_e32 v21, v21, v21
	v_max_f32_e32 v18, v18, v21
	v_xor_b32_e32 v21, 16, v19
	v_cmp_lt_i32_e64 s[40:41], v21, v20
	v_cndmask_b32_e64 v19, v19, v21, s[40:41]
	v_lshlrev_b32_e32 v44, 2, v19
	ds_bpermute_b32 v19, v44, v18
	s_waitcnt lgkmcnt(0)
	v_max_f32_e32 v19, v19, v19
	v_max_f32_e32 v42, v18, v19
	v_sub_f32_e32 v21, v40, v42
	v_sub_f32_e32 v26, v41, v42
	v_mul_f32_e32 v21, 0x3fb8aa3b, v21
	v_mul_f32_e32 v26, 0x3fb8aa3b, v26
	v_sub_f32_e32 v18, v30, v42
	v_exp_f32_e32 v21, v21
	v_exp_f32_e32 v26, v26
	v_mul_f32_e32 v18, 0x3fb8aa3b, v18
	v_sub_f32_e32 v19, v31, v42
	v_exp_f32_e32 v18, v18
	v_mul_f32_e32 v19, 0x3fb8aa3b, v19
	v_exp_f32_e32 v19, v19
	v_cndmask_b32_e64 v28, 0, v21, s[30:31]
	v_cndmask_b32_e64 v29, 0, v26, s[34:35]
	v_sub_f32_e32 v21, v38, v42
	v_sub_f32_e32 v26, v39, v42
	v_mul_f32_e32 v21, 0x3fb8aa3b, v21
	v_mul_f32_e32 v26, 0x3fb8aa3b, v26
	v_cndmask_b32_e64 v18, 0, v18, s[26:27]
	v_exp_f32_e32 v21, v21
	v_exp_f32_e32 v26, v26
	v_add_f32_e32 v20, 0, v18
	v_cndmask_b32_e64 v19, 0, v19, s[28:29]
	v_add_f32_e32 v20, v20, v19
	v_add_f32_e32 v20, v20, v28
	;; [unrolled: 1-line block ×3, first 2 shown]
	v_cndmask_b32_e64 v20, 0, v21, s[36:37]
	v_cndmask_b32_e64 v21, 0, v26, s[38:39]
	v_sub_f32_e32 v26, v36, v42
	v_mul_f32_e32 v26, 0x3fb8aa3b, v26
	v_exp_f32_e32 v26, v26
	v_sub_f32_e32 v30, v37, v42
	v_add_f32_e32 v27, v27, v20
	v_mul_f32_e32 v30, 0x3fb8aa3b, v30
	v_exp_f32_e32 v31, v30
	v_add_f32_e32 v27, v27, v21
	v_cndmask_b32_e64 v30, 0, v26, s[20:21]
	v_add_f32_e32 v26, v27, v30
	v_sub_f32_e32 v27, v34, v42
	v_mul_f32_e32 v27, 0x3fb8aa3b, v27
	v_sub_f32_e32 v34, v35, v42
	v_exp_f32_e32 v27, v27
	v_mul_f32_e32 v34, 0x3fb8aa3b, v34
	v_sub_f32_e32 v22, v22, v42
	v_exp_f32_e32 v34, v34
	;; [unrolled: 3-line block ×3, first 2 shown]
	v_mul_f32_e32 v23, 0x3fb8aa3b, v23
	v_cndmask_b32_e64 v31, 0, v31, s[22:23]
	v_exp_f32_e32 v23, v23
	v_add_f32_e32 v35, v26, v31
	v_cndmask_b32_e64 v26, 0, v27, s[16:17]
	v_add_f32_e32 v35, v35, v26
	v_cndmask_b32_e64 v27, 0, v34, s[18:19]
	;; [unrolled: 2-line block ×4, first 2 shown]
	v_sub_f32_e32 v23, v32, v42
	v_mul_f32_e32 v23, 0x3fb8aa3b, v23
	v_sub_f32_e32 v32, v33, v42
	v_exp_f32_e32 v23, v23
	v_mul_f32_e32 v32, 0x3fb8aa3b, v32
	v_sub_f32_e32 v24, v24, v42
	v_exp_f32_e32 v32, v32
	v_mul_f32_e32 v24, 0x3fb8aa3b, v24
	v_sub_f32_e32 v25, v25, v42
	v_exp_f32_e32 v24, v24
	v_mul_f32_e32 v25, 0x3fb8aa3b, v25
	v_exp_f32_e32 v25, v25
	v_add_f32_e32 v33, v22, v35
	v_cndmask_b32_e64 v22, 0, v23, s[8:9]
	v_add_f32_e32 v33, v33, v22
	v_cndmask_b32_e64 v23, 0, v32, s[10:11]
	v_add_f32_e32 v32, v33, v23
	v_cndmask_b32_e32 v24, 0, v24, vcc
	v_add_f32_e32 v32, v32, v24
	v_cndmask_b32_e64 v25, 0, v25, s[2:3]
	v_add_f32_e32 v32, v32, v25
	ds_bpermute_b32 v33, v43, v32
	v_cmp_gt_u32_e32 vcc, 16, v51
	s_waitcnt lgkmcnt(0)
	v_add_f32_e32 v33, v32, v33
	ds_bpermute_b32 v36, v44, v33
	v_lshlrev_b32_e32 v32, 2, v50
	s_and_saveexec_b64 s[2:3], vcc
	s_cbranch_execz .LBB597_397
; %bb.396:
	s_waitcnt lgkmcnt(0)
	v_add_f32_e32 v33, v33, v36
	v_lshl_or_b32 v36, v49, 6, v32
	ds_write2st64_b32 v36, v42, v33 offset1:1
.LBB597_397:
	s_or_b64 exec, exec, s[2:3]
	s_waitcnt lgkmcnt(0)
	s_barrier
	ds_read2_b32 v[36:37], v32 offset1:16
	ds_read2_b32 v[38:39], v32 offset0:32 offset1:48
	ds_read2_b32 v[40:41], v32 offset0:64 offset1:80
	;; [unrolled: 1-line block ×3, first 2 shown]
	s_waitcnt lgkmcnt(0)
	v_max3_f32 v33, v36, s46, v37
	v_max3_f32 v33, v33, v38, v39
	v_sub_f32_e32 v36, v36, v33
	v_mul_f32_e32 v36, 0x3fb8aa3b, v36
	v_exp_f32_e32 v44, v36
	v_sub_f32_e32 v36, v37, v33
	v_mul_f32_e32 v36, 0x3fb8aa3b, v36
	v_exp_f32_e32 v37, v36
	v_sub_f32_e32 v36, v38, v33
	v_mul_f32_e32 v36, 0x3fb8aa3b, v36
	v_sub_f32_e32 v32, v39, v33
	v_exp_f32_e32 v38, v36
	v_mul_f32_e32 v32, 0x3fb8aa3b, v32
	v_exp_f32_e32 v39, v32
	v_fma_f32 v36, v44, v40, 0
	v_fmac_f32_e32 v36, v37, v41
	v_fmac_f32_e32 v36, v38, v42
	;; [unrolled: 1-line block ×3, first 2 shown]
	v_add_f32_e32 v40, 0x358637bd, v36
	v_div_scale_f32 v41, s[2:3], v40, v40, 1.0
	v_rcp_f32_e32 v42, v41
	s_barrier
	s_lshl_b32 s12, s45, 3
	v_fma_f32 v43, -v41, v42, 1.0
	v_fmac_f32_e32 v42, v43, v42
	v_div_scale_f32 v43, vcc, 1.0, v40, 1.0
	v_mul_f32_e32 v45, v43, v42
	v_fma_f32 v50, -v41, v45, v43
	v_fmac_f32_e32 v45, v50, v42
	v_fma_f32 v41, -v41, v45, v43
	v_div_fmas_f32 v41, v41, v42, v45
	v_cmp_eq_u32_e32 vcc, 1, v49
	v_cndmask_b32_e32 v37, v44, v37, vcc
	v_cmp_eq_u32_e32 vcc, 2, v49
	v_cndmask_b32_e32 v37, v37, v38, vcc
	v_cmp_eq_u32_e32 vcc, 3, v49
	v_div_fixup_f32 v40, v41, v40, 1.0
	v_cndmask_b32_e32 v37, v37, v39, vcc
	v_mul_f32_e32 v38, v37, v40
	v_pk_mul_f32 v[28:29], v[38:39], v[28:29] op_sel_hi:[0,1]
	v_pk_mul_f32 v[18:19], v[38:39], v[18:19] op_sel_hi:[0,1]
	v_cvt_f16_f32_e32 v18, v18
	v_cvt_f16_f32_e32 v19, v19
	;; [unrolled: 1-line block ×4, first 2 shown]
	v_pk_mul_f32 v[20:21], v[38:39], v[20:21] op_sel_hi:[0,1]
	v_pack_b32_f16 v18, v18, v19
	v_cvt_f16_f32_e32 v20, v20
	v_pack_b32_f16 v19, v28, v29
	v_pk_mul_f32 v[28:29], v[38:39], v[30:31] op_sel_hi:[0,1]
	v_cvt_f16_f32_e32 v21, v21
	v_cvt_f16_f32_e32 v30, v28
	;; [unrolled: 1-line block ×3, first 2 shown]
	v_lshlrev_b32_e32 v37, 3, v1
	v_lshlrev_b32_e32 v28, 11, v49
	v_or3_b32 v28, v28, v48, v37
	v_pack_b32_f16 v20, v20, v21
	v_pack_b32_f16 v21, v30, v29
	ds_write2st64_b64 v28, v[18:19], v[20:21] offset1:1
	v_pk_mul_f32 v[18:19], v[38:39], v[34:35] op_sel_hi:[0,1]
	v_pk_mul_f32 v[20:21], v[38:39], v[26:27] op_sel_hi:[0,1]
	v_cvt_f16_f32_e32 v26, v20
	v_cvt_f16_f32_e32 v27, v21
	;; [unrolled: 1-line block ×4, first 2 shown]
	v_pk_mul_f32 v[18:19], v[38:39], v[24:25] op_sel_hi:[0,1]
	v_pk_mul_f32 v[20:21], v[38:39], v[22:23] op_sel_hi:[0,1]
	v_cvt_f16_f32_e32 v20, v20
	v_cvt_f16_f32_e32 v21, v21
	;; [unrolled: 1-line block ×4, first 2 shown]
	v_mov_b32_e32 v32, 0
	v_pack_b32_f16 v18, v26, v27
	v_pack_b32_f16 v19, v29, v30
	;; [unrolled: 1-line block ×4, first 2 shown]
	v_cmp_gt_u32_e32 vcc, 8, v0
	ds_write2st64_b64 v28, v[18:19], v[20:21] offset0:2 offset1:3
	s_and_saveexec_b64 s[2:3], vcc
	s_cbranch_execz .LBB597_399
; %bb.398:
	v_or_b32_e32 v18, s25, v0
	v_mov_b32_e32 v19, 0
	v_mov_b32_e32 v20, s12
	v_mad_u64_u32 v[20:21], s[14:15], s6, v20, v[18:19]
	v_mov_b32_e32 v18, s24
	s_load_dwordx4 s[8:11], s[4:5], 0x58
	s_mul_i32 s7, s7, s12
	v_mad_u64_u32 v[18:19], s[14:15], v20, s44, v[18:19]
	v_add_u32_e32 v21, s7, v21
	v_mov_b32_e32 v20, v19
	v_mad_u64_u32 v[20:21], s[14:15], v21, s44, v[20:21]
	v_mov_b32_e32 v19, v20
	v_lshlrev_b64 v[18:19], 2, v[18:19]
	s_waitcnt lgkmcnt(0)
	v_mov_b32_e32 v21, s11
	v_add_co_u32_e32 v20, vcc, s10, v18
	v_addc_co_u32_e32 v21, vcc, v21, v19, vcc
	global_store_dword v[20:21], v33, off
	v_mov_b32_e32 v20, s9
	v_add_co_u32_e32 v18, vcc, s8, v18
	v_addc_co_u32_e32 v19, vcc, v20, v19, vcc
	global_store_dword v[18:19], v36, off
.LBB597_399:
	s_or_b64 exec, exec, s[2:3]
	v_mov_b32_e32 v19, 0
	s_waitcnt vmcnt(3)
	v_cmp_ne_u16_sdwa s[8:9], v14, v19 src0_sel:BYTE_0 src1_sel:DWORD
	s_waitcnt lgkmcnt(0)
	s_barrier
	s_and_saveexec_b64 s[2:3], s[8:9]
	s_cbranch_execz .LBB597_405
; %bb.400:
	s_movk_i32 s7, 0x80
	v_cmp_ne_u16_sdwa s[10:11], v14, s7 src0_sel:BYTE_0 src1_sel:DWORD
	v_bfrev_b32_e32 v32, 1
	s_and_saveexec_b64 s[8:9], s[10:11]
	s_cbranch_execz .LBB597_404
; %bb.401:
	s_movk_i32 s7, 0x7f
	v_and_b32_e32 v18, 0x7f, v14
	v_cmp_ne_u32_e32 vcc, s7, v18
	v_mov_b32_e32 v32, 0x7f800001
	s_and_saveexec_b64 s[10:11], vcc
	s_cbranch_execz .LBB597_403
; %bb.402:
	v_and_b32_e32 v22, 7, v14
	v_ffbh_u32_e32 v20, v22
	v_min_u32_e32 v24, 32, v20
	v_subrev_u32_e32 v20, 28, v24
	v_lshlrev_b64 v[20:21], v20, v[14:15]
	v_lshrrev_b32_e32 v23, 3, v18
	v_sub_u32_e32 v21, 29, v24
	v_and_b32_e32 v20, 7, v20
	v_cmp_gt_u32_e32 vcc, 8, v18
	v_cndmask_b32_e32 v18, v23, v21, vcc
	v_cndmask_b32_e32 v20, v22, v20, vcc
	v_lshlrev_b32_e32 v21, 24, v14
	v_bfrev_b32_e32 v22, 60
	v_lshlrev_b32_e32 v20, 20, v20
	v_and_b32_e32 v21, 0x80000000, v21
	v_lshl_add_u32 v18, v18, 23, v22
	v_or3_b32 v32, v21, v18, v20
.LBB597_403:
	s_or_b64 exec, exec, s[10:11]
.LBB597_404:
	s_or_b64 exec, exec, s[8:9]
.LBB597_405:
	s_or_b64 exec, exec, s[2:3]
	v_lshrrev_b16_e32 v18, 8, v14
	v_cmp_ne_u16_e32 vcc, 0, v18
	v_mov_b32_e32 v20, 0
	s_and_saveexec_b64 s[2:3], vcc
	s_cbranch_execz .LBB597_411
; %bb.406:
	s_movk_i32 s7, 0x80
	v_cmp_ne_u16_e32 vcc, s7, v18
	v_bfrev_b32_e32 v20, 1
	s_and_saveexec_b64 s[8:9], vcc
	s_cbranch_execz .LBB597_410
; %bb.407:
	s_movk_i32 s7, 0x7f
	v_and_b32_e32 v21, 0x7f, v18
	v_cmp_ne_u32_e32 vcc, s7, v21
	v_mov_b32_e32 v20, 0x7f800001
	s_and_saveexec_b64 s[10:11], vcc
	s_cbranch_execz .LBB597_409
; %bb.408:
	v_and_b32_e32 v20, 7, v18
	v_ffbh_u32_e32 v22, v20
	v_min_u32_e32 v25, 32, v22
	v_subrev_u32_e32 v22, 28, v25
	v_lshlrev_b64 v[22:23], v22, v[18:19]
	v_lshrrev_b32_e32 v24, 3, v21
	v_sub_u32_e32 v18, 29, v25
	v_and_b32_e32 v22, 7, v22
	v_cmp_gt_u32_e32 vcc, 8, v21
	v_cndmask_b32_e32 v18, v24, v18, vcc
	v_cndmask_b32_e32 v20, v20, v22, vcc
	v_lshlrev_b32_e32 v21, 16, v14
	v_bfrev_b32_e32 v22, 60
	v_lshlrev_b32_e32 v20, 20, v20
	v_and_b32_e32 v21, 0x80000000, v21
	v_lshl_add_u32 v18, v18, 23, v22
	v_or3_b32 v20, v21, v18, v20
.LBB597_409:
	s_or_b64 exec, exec, s[10:11]
.LBB597_410:
	s_or_b64 exec, exec, s[8:9]
.LBB597_411:
	s_or_b64 exec, exec, s[2:3]
	s_movk_i32 s2, 0xff
	v_and_b32_sdwa v21, v14, s2 dst_sel:DWORD dst_unused:UNUSED_PAD src0_sel:WORD_1 src1_sel:DWORD
	v_lshrrev_b32_e32 v18, 16, v14
	v_cmp_ne_u16_e32 vcc, 0, v21
	s_and_saveexec_b64 s[2:3], vcc
	s_cbranch_execz .LBB597_417
; %bb.412:
	s_movk_i32 s7, 0x80
	v_cmp_ne_u16_e32 vcc, s7, v21
	v_bfrev_b32_e32 v19, 1
	s_and_saveexec_b64 s[8:9], vcc
	s_cbranch_execz .LBB597_416
; %bb.413:
	v_bfe_u32 v21, v14, 16, 7
	s_movk_i32 s7, 0x7f
	v_cmp_ne_u32_e32 vcc, s7, v21
	v_mov_b32_e32 v19, 0x7f800001
	s_and_saveexec_b64 s[10:11], vcc
	s_cbranch_execz .LBB597_415
; %bb.414:
	v_and_b32_e32 v22, 7, v18
	v_ffbh_u32_e32 v19, v22
	v_min_u32_e32 v24, 32, v19
	v_subrev_u32_e32 v19, 28, v24
	v_lshlrev_b64 v[18:19], v19, v[18:19]
	v_lshrrev_b32_e32 v23, 3, v21
	v_sub_u32_e32 v19, 29, v24
	v_and_b32_e32 v18, 7, v18
	v_cmp_gt_u32_e32 vcc, 8, v21
	v_mov_b32_e32 v21, 24
	v_cndmask_b32_e32 v19, v23, v19, vcc
	v_cndmask_b32_e32 v18, v22, v18, vcc
	v_lshlrev_b32_sdwa v21, v21, v14 dst_sel:DWORD dst_unused:UNUSED_PAD src0_sel:DWORD src1_sel:WORD_1
	v_bfrev_b32_e32 v22, 60
	v_lshlrev_b32_e32 v18, 20, v18
	v_and_b32_e32 v21, 0x80000000, v21
	v_lshl_add_u32 v19, v19, 23, v22
	v_or3_b32 v19, v21, v19, v18
.LBB597_415:
	s_or_b64 exec, exec, s[10:11]
.LBB597_416:
	s_or_b64 exec, exec, s[8:9]
.LBB597_417:
	s_or_b64 exec, exec, s[2:3]
	s_mov_b32 s2, 0xffffff
	v_cmp_lt_u32_e32 vcc, s2, v14
	v_mov_b32_e32 v21, 0
	v_mov_b32_e32 v22, 0
	s_and_saveexec_b64 s[2:3], vcc
	s_cbranch_execz .LBB597_423
; %bb.418:
	v_lshrrev_b32_e32 v18, 24, v14
	s_movk_i32 s7, 0x80
	v_cmp_ne_u32_e32 vcc, s7, v18
	v_bfrev_b32_e32 v22, 1
	s_and_saveexec_b64 s[8:9], vcc
	s_cbranch_execz .LBB597_422
; %bb.419:
	v_bfe_u32 v14, v14, 24, 7
	s_movk_i32 s7, 0x7f
	v_cmp_ne_u32_e32 vcc, s7, v14
	v_mov_b32_e32 v22, 0x7f800001
	s_and_saveexec_b64 s[10:11], vcc
	s_cbranch_execz .LBB597_421
; %bb.420:
	v_and_b32_e32 v24, 7, v18
	v_ffbh_u32_e32 v22, v24
	v_min_u32_e32 v26, 32, v22
	v_subrev_u32_e32 v22, 28, v26
	v_lshlrev_b64 v[22:23], v22, v[18:19]
	v_lshrrev_b32_e32 v25, 3, v14
	v_sub_u32_e32 v23, 29, v26
	v_and_b32_e32 v22, 7, v22
	v_cmp_gt_u32_e32 vcc, 8, v14
	v_cndmask_b32_e32 v14, v25, v23, vcc
	v_cndmask_b32_e32 v22, v24, v22, vcc
	v_lshlrev_b32_e32 v18, 24, v18
	v_bfrev_b32_e32 v23, 60
	v_lshlrev_b32_e32 v22, 20, v22
	v_and_b32_e32 v18, 0x80000000, v18
	v_lshl_add_u32 v14, v14, 23, v23
	v_or3_b32 v22, v18, v14, v22
.LBB597_421:
	s_or_b64 exec, exec, s[10:11]
.LBB597_422:
	s_or_b64 exec, exec, s[8:9]
.LBB597_423:
	s_or_b64 exec, exec, s[2:3]
	v_cmp_ne_u16_sdwa s[8:9], v15, v21 src0_sel:BYTE_0 src1_sel:DWORD
	s_and_saveexec_b64 s[2:3], s[8:9]
	s_cbranch_execz .LBB597_429
; %bb.424:
	s_movk_i32 s7, 0x80
	v_cmp_ne_u16_sdwa s[10:11], v15, s7 src0_sel:BYTE_0 src1_sel:DWORD
	v_bfrev_b32_e32 v21, 1
	s_and_saveexec_b64 s[8:9], s[10:11]
	s_cbranch_execz .LBB597_428
; %bb.425:
	s_movk_i32 s7, 0x7f
	v_and_b32_e32 v14, 0x7f, v15
	v_cmp_ne_u32_e32 vcc, s7, v14
	v_mov_b32_e32 v21, 0x7f800001
	s_and_saveexec_b64 s[10:11], vcc
	s_cbranch_execz .LBB597_427
; %bb.426:
	v_and_b32_e32 v21, 7, v15
	v_ffbh_u32_e32 v24, v21
	v_min_u32_e32 v26, 32, v24
	v_mov_b32_e32 v18, v15
	v_subrev_u32_e32 v24, 28, v26
	v_lshlrev_b64 v[24:25], v24, v[18:19]
	v_lshrrev_b32_e32 v23, 3, v14
	v_sub_u32_e32 v18, 29, v26
	v_and_b32_e32 v24, 7, v24
	v_cmp_gt_u32_e32 vcc, 8, v14
	v_cndmask_b32_e32 v14, v23, v18, vcc
	v_cndmask_b32_e32 v18, v21, v24, vcc
	v_lshlrev_b32_e32 v21, 24, v15
	v_bfrev_b32_e32 v23, 60
	v_lshlrev_b32_e32 v18, 20, v18
	v_and_b32_e32 v21, 0x80000000, v21
	v_lshl_add_u32 v14, v14, 23, v23
	v_or3_b32 v21, v21, v14, v18
.LBB597_427:
	s_or_b64 exec, exec, s[10:11]
.LBB597_428:
	s_or_b64 exec, exec, s[8:9]
.LBB597_429:
	s_or_b64 exec, exec, s[2:3]
	v_lshrrev_b16_e32 v14, 8, v15
	v_cmp_ne_u16_e32 vcc, 0, v14
	v_mov_b32_e32 v18, 0
	v_mov_b32_e32 v24, 0
	s_and_saveexec_b64 s[2:3], vcc
	s_cbranch_execz .LBB597_435
; %bb.430:
	s_movk_i32 s7, 0x80
	v_cmp_ne_u16_e32 vcc, s7, v14
	v_bfrev_b32_e32 v24, 1
	s_and_saveexec_b64 s[8:9], vcc
	s_cbranch_execz .LBB597_434
; %bb.431:
	s_movk_i32 s7, 0x7f
	v_and_b32_e32 v23, 0x7f, v14
	v_cmp_ne_u32_e32 vcc, s7, v23
	v_mov_b32_e32 v24, 0x7f800001
	s_and_saveexec_b64 s[10:11], vcc
	s_cbranch_execz .LBB597_433
; %bb.432:
	v_and_b32_e32 v26, 7, v14
	v_ffbh_u32_e32 v24, v26
	v_min_u32_e32 v29, 32, v24
	v_subrev_u32_e32 v24, 28, v29
	v_lshlrev_b64 v[24:25], v24, v[14:15]
	v_lshrrev_b32_e32 v27, 3, v23
	v_sub_u32_e32 v14, 29, v29
	v_and_b32_e32 v24, 7, v24
	v_cmp_gt_u32_e32 vcc, 8, v23
	v_cndmask_b32_e32 v14, v27, v14, vcc
	v_cndmask_b32_e32 v23, v26, v24, vcc
	v_lshlrev_b32_e32 v24, 16, v15
	v_bfrev_b32_e32 v25, 60
	v_lshlrev_b32_e32 v23, 20, v23
	v_and_b32_e32 v24, 0x80000000, v24
	v_lshl_add_u32 v14, v14, 23, v25
	v_or3_b32 v24, v24, v14, v23
.LBB597_433:
	s_or_b64 exec, exec, s[10:11]
.LBB597_434:
	s_or_b64 exec, exec, s[8:9]
.LBB597_435:
	s_or_b64 exec, exec, s[2:3]
	s_movk_i32 s2, 0xff
	v_and_b32_sdwa v23, v15, s2 dst_sel:DWORD dst_unused:UNUSED_PAD src0_sel:WORD_1 src1_sel:DWORD
	v_lshrrev_b32_e32 v14, 16, v15
	v_cmp_ne_u16_e32 vcc, 0, v23
	s_and_saveexec_b64 s[2:3], vcc
	s_cbranch_execz .LBB597_441
; %bb.436:
	s_movk_i32 s7, 0x80
	v_cmp_ne_u16_e32 vcc, s7, v23
	v_bfrev_b32_e32 v18, 1
	s_and_saveexec_b64 s[8:9], vcc
	s_cbranch_execz .LBB597_440
; %bb.437:
	v_bfe_u32 v23, v15, 16, 7
	s_movk_i32 s7, 0x7f
	v_cmp_ne_u32_e32 vcc, s7, v23
	v_mov_b32_e32 v18, 0x7f800001
	s_and_saveexec_b64 s[10:11], vcc
	s_cbranch_execz .LBB597_439
; %bb.438:
	v_and_b32_e32 v18, 7, v14
	v_ffbh_u32_e32 v26, v18
	v_min_u32_e32 v29, 32, v26
	v_subrev_u32_e32 v26, 28, v29
	v_lshlrev_b64 v[26:27], v26, v[14:15]
	v_lshrrev_b32_e32 v25, 3, v23
	v_sub_u32_e32 v14, 29, v29
	v_and_b32_e32 v26, 7, v26
	v_cmp_gt_u32_e32 vcc, 8, v23
	v_mov_b32_e32 v23, 24
	v_cndmask_b32_e32 v14, v25, v14, vcc
	v_cndmask_b32_e32 v18, v18, v26, vcc
	v_lshlrev_b32_sdwa v23, v23, v15 dst_sel:DWORD dst_unused:UNUSED_PAD src0_sel:DWORD src1_sel:WORD_1
	v_bfrev_b32_e32 v25, 60
	v_lshlrev_b32_e32 v18, 20, v18
	v_and_b32_e32 v23, 0x80000000, v23
	v_lshl_add_u32 v14, v14, 23, v25
	v_or3_b32 v18, v23, v14, v18
.LBB597_439:
	s_or_b64 exec, exec, s[10:11]
.LBB597_440:
	s_or_b64 exec, exec, s[8:9]
.LBB597_441:
	s_or_b64 exec, exec, s[2:3]
	s_mov_b32 s2, 0xffffff
	v_cmp_lt_u32_e32 vcc, s2, v15
	v_mov_b32_e32 v23, 0
	v_mov_b32_e32 v25, 0
	s_and_saveexec_b64 s[2:3], vcc
	s_cbranch_execz .LBB597_447
; %bb.442:
	v_lshrrev_b32_e32 v14, 24, v15
	s_movk_i32 s7, 0x80
	v_cmp_ne_u32_e32 vcc, s7, v14
	v_bfrev_b32_e32 v25, 1
	s_and_saveexec_b64 s[8:9], vcc
	s_cbranch_execz .LBB597_446
; %bb.443:
	v_bfe_u32 v15, v15, 24, 7
	s_movk_i32 s7, 0x7f
	v_cmp_ne_u32_e32 vcc, s7, v15
	v_mov_b32_e32 v25, 0x7f800001
	s_and_saveexec_b64 s[10:11], vcc
	s_cbranch_execz .LBB597_445
; %bb.444:
	v_and_b32_e32 v25, 7, v14
	v_ffbh_u32_e32 v26, v25
	v_min_u32_e32 v30, 32, v26
	v_subrev_u32_e32 v26, 28, v30
	v_lshlrev_b64 v[26:27], v26, v[14:15]
	v_lshrrev_b32_e32 v29, 3, v15
	v_sub_u32_e32 v27, 29, v30
	v_and_b32_e32 v26, 7, v26
	v_cmp_gt_u32_e32 vcc, 8, v15
	v_cndmask_b32_e32 v15, v29, v27, vcc
	v_cndmask_b32_e32 v25, v25, v26, vcc
	v_lshlrev_b32_e32 v14, 24, v14
	v_bfrev_b32_e32 v26, 60
	v_lshlrev_b32_e32 v25, 20, v25
	v_and_b32_e32 v14, 0x80000000, v14
	v_lshl_add_u32 v15, v15, 23, v26
	v_or3_b32 v25, v14, v15, v25
.LBB597_445:
	s_or_b64 exec, exec, s[10:11]
.LBB597_446:
	s_or_b64 exec, exec, s[8:9]
.LBB597_447:
	s_or_b64 exec, exec, s[2:3]
	v_cvt_pkrtz_f16_f32 v15, v19, v22
	v_lshl_or_b32 v22, v1, 9, v48
	v_cvt_pkrtz_f16_f32 v14, v32, v20
	ds_read_b128 v[30:33], v22
	v_cmp_ne_u16_sdwa s[8:9], v16, v23 src0_sel:BYTE_0 src1_sel:DWORD
	s_waitcnt lgkmcnt(0)
	v_mfma_f32_16x16x16f16 v[34:37], v[14:15], v[30:31], 0
	v_cvt_pkrtz_f16_f32 v14, v21, v24
	v_cvt_pkrtz_f16_f32 v15, v18, v25
	s_nop 1
	v_mfma_f32_16x16x16f16 v[18:21], v[14:15], v[32:33], v[34:37]
	s_and_saveexec_b64 s[2:3], s[8:9]
	s_cbranch_execz .LBB597_453
; %bb.448:
	s_movk_i32 s7, 0x80
	v_cmp_ne_u16_sdwa s[10:11], v16, s7 src0_sel:BYTE_0 src1_sel:DWORD
	v_bfrev_b32_e32 v23, 1
	s_and_saveexec_b64 s[8:9], s[10:11]
	s_cbranch_execz .LBB597_452
; %bb.449:
	s_movk_i32 s7, 0x7f
	v_and_b32_e32 v14, 0x7f, v16
	v_cmp_ne_u32_e32 vcc, s7, v14
	v_mov_b32_e32 v23, 0x7f800001
	s_and_saveexec_b64 s[10:11], vcc
	s_cbranch_execz .LBB597_451
; %bb.450:
	v_and_b32_e32 v15, 7, v16
	v_ffbh_u32_e32 v24, v15
	v_min_u32_e32 v26, 32, v24
	v_subrev_u32_e32 v24, 28, v26
	v_lshlrev_b64 v[24:25], v24, v[16:17]
	v_lshrrev_b32_e32 v23, 3, v14
	v_sub_u32_e32 v25, 29, v26
	v_and_b32_e32 v24, 7, v24
	v_cmp_gt_u32_e32 vcc, 8, v14
	v_cndmask_b32_e32 v14, v23, v25, vcc
	v_cndmask_b32_e32 v15, v15, v24, vcc
	v_lshlrev_b32_e32 v23, 24, v16
	v_bfrev_b32_e32 v24, 60
	v_lshlrev_b32_e32 v15, 20, v15
	v_and_b32_e32 v23, 0x80000000, v23
	v_lshl_add_u32 v14, v14, 23, v24
	v_or3_b32 v23, v23, v14, v15
.LBB597_451:
	s_or_b64 exec, exec, s[10:11]
.LBB597_452:
	s_or_b64 exec, exec, s[8:9]
.LBB597_453:
	s_or_b64 exec, exec, s[2:3]
	v_lshrrev_b16_e32 v14, 8, v16
	v_cmp_ne_u16_e32 vcc, 0, v14
	v_mov_b32_e32 v15, 0
	v_mov_b32_e32 v25, 0
	s_and_saveexec_b64 s[2:3], vcc
	s_cbranch_execz .LBB597_459
; %bb.454:
	s_movk_i32 s7, 0x80
	v_cmp_ne_u16_e32 vcc, s7, v14
	v_bfrev_b32_e32 v25, 1
	s_and_saveexec_b64 s[8:9], vcc
	s_cbranch_execz .LBB597_458
; %bb.455:
	s_movk_i32 s7, 0x7f
	v_and_b32_e32 v24, 0x7f, v14
	v_cmp_ne_u32_e32 vcc, s7, v24
	v_mov_b32_e32 v25, 0x7f800001
	s_and_saveexec_b64 s[10:11], vcc
	s_cbranch_execz .LBB597_457
; %bb.456:
	v_and_b32_e32 v25, 7, v14
	v_ffbh_u32_e32 v26, v25
	v_min_u32_e32 v30, 32, v26
	v_subrev_u32_e32 v26, 28, v30
	v_lshlrev_b64 v[26:27], v26, v[14:15]
	v_lshrrev_b32_e32 v29, 3, v24
	v_sub_u32_e32 v14, 29, v30
	v_and_b32_e32 v26, 7, v26
	v_cmp_gt_u32_e32 vcc, 8, v24
	v_cndmask_b32_e32 v14, v29, v14, vcc
	v_cndmask_b32_e32 v24, v25, v26, vcc
	v_lshlrev_b32_e32 v25, 16, v16
	v_bfrev_b32_e32 v26, 60
	v_lshlrev_b32_e32 v24, 20, v24
	v_and_b32_e32 v25, 0x80000000, v25
	v_lshl_add_u32 v14, v14, 23, v26
	v_or3_b32 v25, v25, v14, v24
.LBB597_457:
	s_or_b64 exec, exec, s[10:11]
.LBB597_458:
	s_or_b64 exec, exec, s[8:9]
.LBB597_459:
	s_or_b64 exec, exec, s[2:3]
	s_movk_i32 s2, 0xff
	v_and_b32_sdwa v24, v16, s2 dst_sel:DWORD dst_unused:UNUSED_PAD src0_sel:WORD_1 src1_sel:DWORD
	v_lshrrev_b32_e32 v14, 16, v16
	v_cmp_ne_u16_e32 vcc, 0, v24
	s_and_saveexec_b64 s[2:3], vcc
	s_cbranch_execz .LBB597_465
; %bb.460:
	s_movk_i32 s7, 0x80
	v_cmp_ne_u16_e32 vcc, s7, v24
	v_bfrev_b32_e32 v15, 1
	s_and_saveexec_b64 s[8:9], vcc
	s_cbranch_execz .LBB597_464
; %bb.461:
	v_bfe_u32 v24, v16, 16, 7
	s_movk_i32 s7, 0x7f
	v_cmp_ne_u32_e32 vcc, s7, v24
	v_mov_b32_e32 v15, 0x7f800001
	s_and_saveexec_b64 s[10:11], vcc
	s_cbranch_execz .LBB597_463
; %bb.462:
	v_and_b32_e32 v26, 7, v14
	v_ffbh_u32_e32 v15, v26
	v_min_u32_e32 v29, 32, v15
	v_subrev_u32_e32 v15, 28, v29
	v_lshlrev_b64 v[14:15], v15, v[14:15]
	v_lshrrev_b32_e32 v27, 3, v24
	v_sub_u32_e32 v15, 29, v29
	v_and_b32_e32 v14, 7, v14
	v_cmp_gt_u32_e32 vcc, 8, v24
	v_mov_b32_e32 v24, 24
	v_cndmask_b32_e32 v15, v27, v15, vcc
	v_cndmask_b32_e32 v14, v26, v14, vcc
	v_lshlrev_b32_sdwa v24, v24, v16 dst_sel:DWORD dst_unused:UNUSED_PAD src0_sel:DWORD src1_sel:WORD_1
	v_bfrev_b32_e32 v26, 60
	v_lshlrev_b32_e32 v14, 20, v14
	v_and_b32_e32 v24, 0x80000000, v24
	v_lshl_add_u32 v15, v15, 23, v26
	v_or3_b32 v15, v24, v15, v14
.LBB597_463:
	s_or_b64 exec, exec, s[10:11]
.LBB597_464:
	s_or_b64 exec, exec, s[8:9]
.LBB597_465:
	s_or_b64 exec, exec, s[2:3]
	s_mov_b32 s2, 0xffffff
	v_cmp_lt_u32_e32 vcc, s2, v16
	v_mov_b32_e32 v26, 0
	v_mov_b32_e32 v27, 0
	s_and_saveexec_b64 s[2:3], vcc
	s_cbranch_execz .LBB597_471
; %bb.466:
	v_lshrrev_b32_e32 v14, 24, v16
	s_movk_i32 s7, 0x80
	v_cmp_ne_u32_e32 vcc, s7, v14
	v_bfrev_b32_e32 v27, 1
	s_and_saveexec_b64 s[8:9], vcc
	s_cbranch_execz .LBB597_470
; %bb.467:
	v_bfe_u32 v16, v16, 24, 7
	s_movk_i32 s7, 0x7f
	v_cmp_ne_u32_e32 vcc, s7, v16
	v_mov_b32_e32 v27, 0x7f800001
	s_and_saveexec_b64 s[10:11], vcc
	s_cbranch_execz .LBB597_469
; %bb.468:
	v_and_b32_e32 v24, 7, v14
	v_ffbh_u32_e32 v29, v24
	v_min_u32_e32 v29, 32, v29
	v_subrev_u32_e32 v30, 28, v29
	v_lshlrev_b64 v[30:31], v30, v[14:15]
	v_lshrrev_b32_e32 v27, 3, v16
	v_sub_u32_e32 v29, 29, v29
	v_and_b32_e32 v30, 7, v30
	v_cmp_gt_u32_e32 vcc, 8, v16
	v_cndmask_b32_e32 v16, v27, v29, vcc
	v_cndmask_b32_e32 v24, v24, v30, vcc
	v_lshlrev_b32_e32 v14, 24, v14
	v_bfrev_b32_e32 v27, 60
	v_lshlrev_b32_e32 v24, 20, v24
	v_and_b32_e32 v14, 0x80000000, v14
	v_lshl_add_u32 v16, v16, 23, v27
	v_or3_b32 v27, v14, v16, v24
.LBB597_469:
	s_or_b64 exec, exec, s[10:11]
.LBB597_470:
	s_or_b64 exec, exec, s[8:9]
.LBB597_471:
	s_or_b64 exec, exec, s[2:3]
	v_cmp_ne_u16_sdwa s[8:9], v17, v26 src0_sel:BYTE_0 src1_sel:DWORD
	s_and_saveexec_b64 s[2:3], s[8:9]
	s_cbranch_execz .LBB597_477
; %bb.472:
	s_movk_i32 s7, 0x80
	v_cmp_ne_u16_sdwa s[10:11], v17, s7 src0_sel:BYTE_0 src1_sel:DWORD
	v_bfrev_b32_e32 v26, 1
	s_and_saveexec_b64 s[8:9], s[10:11]
	s_cbranch_execz .LBB597_476
; %bb.473:
	s_movk_i32 s7, 0x7f
	v_and_b32_e32 v14, 0x7f, v17
	v_cmp_ne_u32_e32 vcc, s7, v14
	v_mov_b32_e32 v26, 0x7f800001
	s_and_saveexec_b64 s[10:11], vcc
	s_cbranch_execz .LBB597_475
; %bb.474:
	v_and_b32_e32 v24, 7, v17
	v_ffbh_u32_e32 v29, v24
	v_min_u32_e32 v29, 32, v29
	v_mov_b32_e32 v16, v17
	v_subrev_u32_e32 v30, 28, v29
	v_lshlrev_b64 v[30:31], v30, v[16:17]
	v_lshrrev_b32_e32 v26, 3, v14
	v_sub_u32_e32 v16, 29, v29
	v_and_b32_e32 v29, 7, v30
	v_cmp_gt_u32_e32 vcc, 8, v14
	v_cndmask_b32_e32 v14, v26, v16, vcc
	v_cndmask_b32_e32 v16, v24, v29, vcc
	v_lshlrev_b32_e32 v24, 24, v17
	v_bfrev_b32_e32 v26, 60
	v_lshlrev_b32_e32 v16, 20, v16
	v_and_b32_e32 v24, 0x80000000, v24
	v_lshl_add_u32 v14, v14, 23, v26
	v_or3_b32 v26, v24, v14, v16
.LBB597_475:
	s_or_b64 exec, exec, s[10:11]
.LBB597_476:
	s_or_b64 exec, exec, s[8:9]
.LBB597_477:
	s_or_b64 exec, exec, s[2:3]
	v_lshrrev_b16_e32 v14, 8, v17
	v_cmp_ne_u16_e32 vcc, 0, v14
	v_mov_b32_e32 v16, 0
	v_mov_b32_e32 v29, 0
	s_and_saveexec_b64 s[2:3], vcc
	s_cbranch_execz .LBB597_483
; %bb.478:
	s_movk_i32 s7, 0x80
	v_cmp_ne_u16_e32 vcc, s7, v14
	v_bfrev_b32_e32 v29, 1
	s_and_saveexec_b64 s[8:9], vcc
	s_cbranch_execz .LBB597_482
; %bb.479:
	s_movk_i32 s7, 0x7f
	v_and_b32_e32 v24, 0x7f, v14
	v_cmp_ne_u32_e32 vcc, s7, v24
	v_mov_b32_e32 v29, 0x7f800001
	s_and_saveexec_b64 s[10:11], vcc
	s_cbranch_execz .LBB597_481
; %bb.480:
	v_and_b32_e32 v29, 7, v14
	v_ffbh_u32_e32 v30, v29
	v_min_u32_e32 v33, 32, v30
	v_subrev_u32_e32 v30, 28, v33
	v_lshlrev_b64 v[30:31], v30, v[14:15]
	v_lshrrev_b32_e32 v32, 3, v24
	v_sub_u32_e32 v14, 29, v33
	v_and_b32_e32 v30, 7, v30
	v_cmp_gt_u32_e32 vcc, 8, v24
	v_cndmask_b32_e32 v14, v32, v14, vcc
	v_cndmask_b32_e32 v24, v29, v30, vcc
	v_lshlrev_b32_e32 v29, 16, v17
	v_bfrev_b32_e32 v30, 60
	v_lshlrev_b32_e32 v24, 20, v24
	v_and_b32_e32 v29, 0x80000000, v29
	v_lshl_add_u32 v14, v14, 23, v30
	v_or3_b32 v29, v29, v14, v24
.LBB597_481:
	s_or_b64 exec, exec, s[10:11]
.LBB597_482:
	s_or_b64 exec, exec, s[8:9]
.LBB597_483:
	s_or_b64 exec, exec, s[2:3]
	s_movk_i32 s2, 0xff
	v_and_b32_sdwa v24, v17, s2 dst_sel:DWORD dst_unused:UNUSED_PAD src0_sel:WORD_1 src1_sel:DWORD
	v_lshrrev_b32_e32 v14, 16, v17
	v_cmp_ne_u16_e32 vcc, 0, v24
	s_and_saveexec_b64 s[2:3], vcc
	s_cbranch_execz .LBB597_489
; %bb.484:
	s_movk_i32 s7, 0x80
	v_cmp_ne_u16_e32 vcc, s7, v24
	v_bfrev_b32_e32 v16, 1
	s_and_saveexec_b64 s[8:9], vcc
	s_cbranch_execz .LBB597_488
; %bb.485:
	v_bfe_u32 v24, v17, 16, 7
	s_movk_i32 s7, 0x7f
	v_cmp_ne_u32_e32 vcc, s7, v24
	v_mov_b32_e32 v16, 0x7f800001
	s_and_saveexec_b64 s[10:11], vcc
	s_cbranch_execz .LBB597_487
; %bb.486:
	v_and_b32_e32 v16, 7, v14
	v_ffbh_u32_e32 v30, v16
	v_min_u32_e32 v33, 32, v30
	v_subrev_u32_e32 v30, 28, v33
	v_lshlrev_b64 v[30:31], v30, v[14:15]
	v_lshrrev_b32_e32 v32, 3, v24
	v_sub_u32_e32 v14, 29, v33
	v_and_b32_e32 v30, 7, v30
	v_cmp_gt_u32_e32 vcc, 8, v24
	v_mov_b32_e32 v24, 24
	v_cndmask_b32_e32 v14, v32, v14, vcc
	v_cndmask_b32_e32 v16, v16, v30, vcc
	v_lshlrev_b32_sdwa v24, v24, v17 dst_sel:DWORD dst_unused:UNUSED_PAD src0_sel:DWORD src1_sel:WORD_1
	v_bfrev_b32_e32 v30, 60
	v_lshlrev_b32_e32 v16, 20, v16
	v_and_b32_e32 v24, 0x80000000, v24
	v_lshl_add_u32 v14, v14, 23, v30
	v_or3_b32 v16, v24, v14, v16
.LBB597_487:
	s_or_b64 exec, exec, s[10:11]
.LBB597_488:
	s_or_b64 exec, exec, s[8:9]
.LBB597_489:
	s_or_b64 exec, exec, s[2:3]
	s_mov_b32 s2, 0xffffff
	v_cmp_lt_u32_e32 vcc, s2, v17
	v_mov_b32_e32 v24, 0
	v_mov_b32_e32 v30, 0
	s_and_saveexec_b64 s[2:3], vcc
	s_cbranch_execz .LBB597_495
; %bb.490:
	v_lshrrev_b32_e32 v14, 24, v17
	s_movk_i32 s7, 0x80
	v_cmp_ne_u32_e32 vcc, s7, v14
	v_bfrev_b32_e32 v30, 1
	s_and_saveexec_b64 s[8:9], vcc
	s_cbranch_execz .LBB597_494
; %bb.491:
	v_bfe_u32 v17, v17, 24, 7
	s_movk_i32 s7, 0x7f
	v_cmp_ne_u32_e32 vcc, s7, v17
	v_mov_b32_e32 v30, 0x7f800001
	s_and_saveexec_b64 s[10:11], vcc
	s_cbranch_execz .LBB597_493
; %bb.492:
	v_and_b32_e32 v32, 7, v14
	v_ffbh_u32_e32 v30, v32
	v_min_u32_e32 v34, 32, v30
	v_subrev_u32_e32 v30, 28, v34
	v_lshlrev_b64 v[30:31], v30, v[14:15]
	v_lshrrev_b32_e32 v33, 3, v17
	v_sub_u32_e32 v31, 29, v34
	v_and_b32_e32 v30, 7, v30
	v_cmp_gt_u32_e32 vcc, 8, v17
	v_cndmask_b32_e32 v17, v33, v31, vcc
	v_cndmask_b32_e32 v30, v32, v30, vcc
	v_lshlrev_b32_e32 v14, 24, v14
	v_bfrev_b32_e32 v31, 60
	v_lshlrev_b32_e32 v30, 20, v30
	v_and_b32_e32 v14, 0x80000000, v14
	v_lshl_add_u32 v17, v17, 23, v31
	v_or3_b32 v30, v14, v17, v30
.LBB597_493:
	s_or_b64 exec, exec, s[10:11]
.LBB597_494:
	s_or_b64 exec, exec, s[8:9]
.LBB597_495:
	s_or_b64 exec, exec, s[2:3]
	v_cvt_pkrtz_f16_f32 v14, v23, v25
	v_cvt_pkrtz_f16_f32 v15, v15, v27
	ds_read_b128 v[32:35], v22 offset:16
	s_waitcnt vmcnt(2)
	v_cmp_ne_u16_sdwa s[8:9], v10, v24 src0_sel:BYTE_0 src1_sel:DWORD
	s_waitcnt lgkmcnt(0)
	v_mfma_f32_16x16x16f16 v[18:21], v[14:15], v[32:33], v[18:21]
	v_cvt_pkrtz_f16_f32 v14, v26, v29
	v_cvt_pkrtz_f16_f32 v15, v16, v30
	s_nop 1
	v_mfma_f32_16x16x16f16 v[14:17], v[14:15], v[34:35], v[18:21]
	s_and_saveexec_b64 s[2:3], s[8:9]
	s_cbranch_execz .LBB597_501
; %bb.496:
	s_movk_i32 s7, 0x80
	v_cmp_ne_u16_sdwa s[10:11], v10, s7 src0_sel:BYTE_0 src1_sel:DWORD
	v_bfrev_b32_e32 v24, 1
	s_and_saveexec_b64 s[8:9], s[10:11]
	s_cbranch_execz .LBB597_500
; %bb.497:
	s_movk_i32 s7, 0x7f
	v_and_b32_e32 v18, 0x7f, v10
	v_cmp_ne_u32_e32 vcc, s7, v18
	v_mov_b32_e32 v24, 0x7f800001
	s_and_saveexec_b64 s[10:11], vcc
	s_cbranch_execz .LBB597_499
; %bb.498:
	v_and_b32_e32 v19, 7, v10
	v_ffbh_u32_e32 v20, v19
	v_min_u32_e32 v24, 32, v20
	v_subrev_u32_e32 v20, 28, v24
	v_lshlrev_b64 v[20:21], v20, v[10:11]
	v_lshrrev_b32_e32 v23, 3, v18
	v_sub_u32_e32 v21, 29, v24
	v_and_b32_e32 v20, 7, v20
	v_cmp_gt_u32_e32 vcc, 8, v18
	v_cndmask_b32_e32 v18, v23, v21, vcc
	v_cndmask_b32_e32 v19, v19, v20, vcc
	v_lshlrev_b32_e32 v20, 24, v10
	v_bfrev_b32_e32 v21, 60
	v_lshlrev_b32_e32 v19, 20, v19
	v_and_b32_e32 v20, 0x80000000, v20
	v_lshl_add_u32 v18, v18, 23, v21
	v_or3_b32 v24, v20, v18, v19
.LBB597_499:
	s_or_b64 exec, exec, s[10:11]
.LBB597_500:
	s_or_b64 exec, exec, s[8:9]
.LBB597_501:
	s_or_b64 exec, exec, s[2:3]
	s_nop 3
	v_lshrrev_b16_e32 v18, 8, v10
	v_cmp_ne_u16_e32 vcc, 0, v18
	v_mov_b32_e32 v19, 0
	v_mov_b32_e32 v20, 0
	s_and_saveexec_b64 s[2:3], vcc
	s_cbranch_execz .LBB597_507
; %bb.502:
	s_movk_i32 s7, 0x80
	v_cmp_ne_u16_e32 vcc, s7, v18
	v_bfrev_b32_e32 v20, 1
	s_and_saveexec_b64 s[8:9], vcc
	s_cbranch_execz .LBB597_506
; %bb.503:
	s_movk_i32 s7, 0x7f
	v_and_b32_e32 v21, 0x7f, v18
	v_cmp_ne_u32_e32 vcc, s7, v21
	v_mov_b32_e32 v20, 0x7f800001
	s_and_saveexec_b64 s[10:11], vcc
	s_cbranch_execz .LBB597_505
; %bb.504:
	v_and_b32_e32 v20, 7, v18
	v_ffbh_u32_e32 v25, v20
	v_min_u32_e32 v25, 32, v25
	v_subrev_u32_e32 v26, 28, v25
	v_lshlrev_b64 v[26:27], v26, v[18:19]
	v_lshrrev_b32_e32 v23, 3, v21
	v_sub_u32_e32 v18, 29, v25
	v_and_b32_e32 v25, 7, v26
	v_cmp_gt_u32_e32 vcc, 8, v21
	v_cndmask_b32_e32 v18, v23, v18, vcc
	v_cndmask_b32_e32 v20, v20, v25, vcc
	v_lshlrev_b32_e32 v21, 16, v10
	v_bfrev_b32_e32 v23, 60
	v_lshlrev_b32_e32 v20, 20, v20
	v_and_b32_e32 v21, 0x80000000, v21
	v_lshl_add_u32 v18, v18, 23, v23
	v_or3_b32 v20, v21, v18, v20
.LBB597_505:
	s_or_b64 exec, exec, s[10:11]
.LBB597_506:
	s_or_b64 exec, exec, s[8:9]
.LBB597_507:
	s_or_b64 exec, exec, s[2:3]
	s_movk_i32 s2, 0xff
	v_and_b32_sdwa v21, v10, s2 dst_sel:DWORD dst_unused:UNUSED_PAD src0_sel:WORD_1 src1_sel:DWORD
	v_lshrrev_b32_e32 v18, 16, v10
	v_cmp_ne_u16_e32 vcc, 0, v21
	s_and_saveexec_b64 s[2:3], vcc
	s_cbranch_execz .LBB597_513
; %bb.508:
	s_movk_i32 s7, 0x80
	v_cmp_ne_u16_e32 vcc, s7, v21
	v_bfrev_b32_e32 v19, 1
	s_and_saveexec_b64 s[8:9], vcc
	s_cbranch_execz .LBB597_512
; %bb.509:
	v_bfe_u32 v21, v10, 16, 7
	s_movk_i32 s7, 0x7f
	v_cmp_ne_u32_e32 vcc, s7, v21
	v_mov_b32_e32 v19, 0x7f800001
	s_and_saveexec_b64 s[10:11], vcc
	s_cbranch_execz .LBB597_511
; %bb.510:
	v_and_b32_e32 v23, 7, v18
	v_ffbh_u32_e32 v19, v23
	v_min_u32_e32 v26, 32, v19
	v_subrev_u32_e32 v19, 28, v26
	v_lshlrev_b64 v[18:19], v19, v[18:19]
	v_lshrrev_b32_e32 v25, 3, v21
	v_sub_u32_e32 v19, 29, v26
	v_and_b32_e32 v18, 7, v18
	v_cmp_gt_u32_e32 vcc, 8, v21
	v_mov_b32_e32 v21, 24
	v_cndmask_b32_e32 v19, v25, v19, vcc
	v_cndmask_b32_e32 v18, v23, v18, vcc
	v_lshlrev_b32_sdwa v21, v21, v10 dst_sel:DWORD dst_unused:UNUSED_PAD src0_sel:DWORD src1_sel:WORD_1
	v_bfrev_b32_e32 v23, 60
	v_lshlrev_b32_e32 v18, 20, v18
	v_and_b32_e32 v21, 0x80000000, v21
	v_lshl_add_u32 v19, v19, 23, v23
	v_or3_b32 v19, v21, v19, v18
.LBB597_511:
	s_or_b64 exec, exec, s[10:11]
.LBB597_512:
	s_or_b64 exec, exec, s[8:9]
.LBB597_513:
	s_or_b64 exec, exec, s[2:3]
	s_mov_b32 s2, 0xffffff
	v_cmp_lt_u32_e32 vcc, s2, v10
	v_mov_b32_e32 v21, 0
	v_mov_b32_e32 v23, 0
	s_and_saveexec_b64 s[2:3], vcc
	s_cbranch_execz .LBB597_519
; %bb.514:
	v_lshrrev_b32_e32 v18, 24, v10
	s_movk_i32 s7, 0x80
	v_cmp_ne_u32_e32 vcc, s7, v18
	v_bfrev_b32_e32 v23, 1
	s_and_saveexec_b64 s[8:9], vcc
	s_cbranch_execz .LBB597_518
; %bb.515:
	v_bfe_u32 v10, v10, 24, 7
	s_movk_i32 s7, 0x7f
	v_cmp_ne_u32_e32 vcc, s7, v10
	v_mov_b32_e32 v23, 0x7f800001
	s_and_saveexec_b64 s[10:11], vcc
	s_cbranch_execz .LBB597_517
; %bb.516:
	v_and_b32_e32 v23, 7, v18
	v_ffbh_u32_e32 v26, v23
	v_min_u32_e32 v29, 32, v26
	v_subrev_u32_e32 v26, 28, v29
	v_lshlrev_b64 v[26:27], v26, v[18:19]
	v_lshrrev_b32_e32 v25, 3, v10
	v_sub_u32_e32 v27, 29, v29
	v_and_b32_e32 v26, 7, v26
	v_cmp_gt_u32_e32 vcc, 8, v10
	v_cndmask_b32_e32 v10, v25, v27, vcc
	v_cndmask_b32_e32 v23, v23, v26, vcc
	v_lshlrev_b32_e32 v18, 24, v18
	v_bfrev_b32_e32 v25, 60
	v_lshlrev_b32_e32 v23, 20, v23
	v_and_b32_e32 v18, 0x80000000, v18
	v_lshl_add_u32 v10, v10, 23, v25
	v_or3_b32 v23, v18, v10, v23
.LBB597_517:
	s_or_b64 exec, exec, s[10:11]
.LBB597_518:
	s_or_b64 exec, exec, s[8:9]
.LBB597_519:
	s_or_b64 exec, exec, s[2:3]
	v_cmp_ne_u16_sdwa s[8:9], v11, v21 src0_sel:BYTE_0 src1_sel:DWORD
	s_and_saveexec_b64 s[2:3], s[8:9]
	s_cbranch_execz .LBB597_525
; %bb.520:
	s_movk_i32 s7, 0x80
	v_cmp_ne_u16_sdwa s[10:11], v11, s7 src0_sel:BYTE_0 src1_sel:DWORD
	v_bfrev_b32_e32 v21, 1
	s_and_saveexec_b64 s[8:9], s[10:11]
	s_cbranch_execz .LBB597_524
; %bb.521:
	s_movk_i32 s7, 0x7f
	v_and_b32_e32 v10, 0x7f, v11
	v_cmp_ne_u32_e32 vcc, s7, v10
	v_mov_b32_e32 v21, 0x7f800001
	s_and_saveexec_b64 s[10:11], vcc
	s_cbranch_execz .LBB597_523
; %bb.522:
	v_and_b32_e32 v21, 7, v11
	v_ffbh_u32_e32 v26, v21
	v_min_u32_e32 v29, 32, v26
	v_mov_b32_e32 v18, v11
	v_subrev_u32_e32 v26, 28, v29
	v_lshlrev_b64 v[26:27], v26, v[18:19]
	v_lshrrev_b32_e32 v25, 3, v10
	v_sub_u32_e32 v18, 29, v29
	v_and_b32_e32 v26, 7, v26
	v_cmp_gt_u32_e32 vcc, 8, v10
	v_cndmask_b32_e32 v10, v25, v18, vcc
	v_cndmask_b32_e32 v18, v21, v26, vcc
	v_lshlrev_b32_e32 v21, 24, v11
	v_bfrev_b32_e32 v25, 60
	v_lshlrev_b32_e32 v18, 20, v18
	v_and_b32_e32 v21, 0x80000000, v21
	v_lshl_add_u32 v10, v10, 23, v25
	v_or3_b32 v21, v21, v10, v18
.LBB597_523:
	s_or_b64 exec, exec, s[10:11]
.LBB597_524:
	s_or_b64 exec, exec, s[8:9]
.LBB597_525:
	s_or_b64 exec, exec, s[2:3]
	v_lshrrev_b16_e32 v10, 8, v11
	v_cmp_ne_u16_e32 vcc, 0, v10
	v_mov_b32_e32 v25, 0
	v_mov_b32_e32 v26, 0
	s_and_saveexec_b64 s[2:3], vcc
	s_cbranch_execz .LBB597_531
; %bb.526:
	s_movk_i32 s7, 0x80
	v_cmp_ne_u16_e32 vcc, s7, v10
	v_bfrev_b32_e32 v26, 1
	s_and_saveexec_b64 s[8:9], vcc
	s_cbranch_execz .LBB597_530
; %bb.527:
	s_movk_i32 s7, 0x7f
	v_and_b32_e32 v18, 0x7f, v10
	v_cmp_ne_u32_e32 vcc, s7, v18
	v_mov_b32_e32 v26, 0x7f800001
	s_and_saveexec_b64 s[10:11], vcc
	s_cbranch_execz .LBB597_529
; %bb.528:
	v_and_b32_e32 v29, 7, v10
	v_ffbh_u32_e32 v26, v29
	v_min_u32_e32 v31, 32, v26
	v_subrev_u32_e32 v26, 28, v31
	v_lshlrev_b64 v[26:27], v26, v[10:11]
	v_lshrrev_b32_e32 v30, 3, v18
	v_sub_u32_e32 v10, 29, v31
	v_and_b32_e32 v26, 7, v26
	v_cmp_gt_u32_e32 vcc, 8, v18
	v_cndmask_b32_e32 v10, v30, v10, vcc
	v_cndmask_b32_e32 v18, v29, v26, vcc
	v_lshlrev_b32_e32 v26, 16, v11
	v_bfrev_b32_e32 v27, 60
	v_lshlrev_b32_e32 v18, 20, v18
	v_and_b32_e32 v26, 0x80000000, v26
	v_lshl_add_u32 v10, v10, 23, v27
	v_or3_b32 v26, v26, v10, v18
.LBB597_529:
	s_or_b64 exec, exec, s[10:11]
.LBB597_530:
	s_or_b64 exec, exec, s[8:9]
.LBB597_531:
	s_or_b64 exec, exec, s[2:3]
	s_movk_i32 s2, 0xff
	v_and_b32_sdwa v18, v11, s2 dst_sel:DWORD dst_unused:UNUSED_PAD src0_sel:WORD_1 src1_sel:DWORD
	v_lshrrev_b32_e32 v10, 16, v11
	v_cmp_ne_u16_e32 vcc, 0, v18
	s_and_saveexec_b64 s[2:3], vcc
	s_cbranch_execz .LBB597_537
; %bb.532:
	s_movk_i32 s7, 0x80
	v_cmp_ne_u16_e32 vcc, s7, v18
	v_bfrev_b32_e32 v25, 1
	s_and_saveexec_b64 s[8:9], vcc
	s_cbranch_execz .LBB597_536
; %bb.533:
	v_bfe_u32 v18, v11, 16, 7
	s_movk_i32 s7, 0x7f
	v_cmp_ne_u32_e32 vcc, s7, v18
	v_mov_b32_e32 v25, 0x7f800001
	s_and_saveexec_b64 s[10:11], vcc
	s_cbranch_execz .LBB597_535
; %bb.534:
	v_and_b32_e32 v25, 7, v10
	v_ffbh_u32_e32 v29, v25
	v_min_u32_e32 v29, 32, v29
	v_subrev_u32_e32 v30, 28, v29
	v_lshlrev_b64 v[30:31], v30, v[10:11]
	v_sub_u32_e32 v10, 29, v29
	v_and_b32_e32 v29, 7, v30
	v_cmp_gt_u32_e32 vcc, 8, v18
	v_lshrrev_b32_e32 v27, 3, v18
	v_cndmask_b32_e32 v18, v25, v29, vcc
	v_mov_b32_e32 v25, 24
	v_cndmask_b32_e32 v10, v27, v10, vcc
	v_lshlrev_b32_sdwa v25, v25, v11 dst_sel:DWORD dst_unused:UNUSED_PAD src0_sel:DWORD src1_sel:WORD_1
	v_bfrev_b32_e32 v27, 60
	v_lshlrev_b32_e32 v18, 20, v18
	v_and_b32_e32 v25, 0x80000000, v25
	v_lshl_add_u32 v10, v10, 23, v27
	v_or3_b32 v25, v25, v10, v18
.LBB597_535:
	s_or_b64 exec, exec, s[10:11]
.LBB597_536:
	s_or_b64 exec, exec, s[8:9]
.LBB597_537:
	s_or_b64 exec, exec, s[2:3]
	s_mov_b32 s2, 0xffffff
	v_cmp_lt_u32_e32 vcc, s2, v11
	v_mov_b32_e32 v18, 0
	v_mov_b32_e32 v27, 0
	s_and_saveexec_b64 s[2:3], vcc
	s_cbranch_execz .LBB597_543
; %bb.538:
	v_lshrrev_b32_e32 v10, 24, v11
	s_movk_i32 s7, 0x80
	v_cmp_ne_u32_e32 vcc, s7, v10
	v_bfrev_b32_e32 v27, 1
	s_and_saveexec_b64 s[8:9], vcc
	s_cbranch_execz .LBB597_542
; %bb.539:
	v_bfe_u32 v11, v11, 24, 7
	s_movk_i32 s7, 0x7f
	v_cmp_ne_u32_e32 vcc, s7, v11
	v_mov_b32_e32 v27, 0x7f800001
	s_and_saveexec_b64 s[10:11], vcc
	s_cbranch_execz .LBB597_541
; %bb.540:
	v_and_b32_e32 v27, 7, v10
	v_ffbh_u32_e32 v30, v27
	v_min_u32_e32 v32, 32, v30
	v_subrev_u32_e32 v30, 28, v32
	v_lshlrev_b64 v[30:31], v30, v[10:11]
	v_lshrrev_b32_e32 v29, 3, v11
	v_sub_u32_e32 v31, 29, v32
	v_and_b32_e32 v30, 7, v30
	v_cmp_gt_u32_e32 vcc, 8, v11
	v_cndmask_b32_e32 v11, v29, v31, vcc
	v_cndmask_b32_e32 v27, v27, v30, vcc
	v_lshlrev_b32_e32 v10, 24, v10
	v_bfrev_b32_e32 v29, 60
	v_lshlrev_b32_e32 v27, 20, v27
	v_and_b32_e32 v10, 0x80000000, v10
	v_lshl_add_u32 v11, v11, 23, v29
	v_or3_b32 v27, v10, v11, v27
.LBB597_541:
	s_or_b64 exec, exec, s[10:11]
.LBB597_542:
	s_or_b64 exec, exec, s[8:9]
.LBB597_543:
	s_or_b64 exec, exec, s[2:3]
	v_cvt_pkrtz_f16_f32 v10, v24, v20
	v_cvt_pkrtz_f16_f32 v11, v19, v23
	ds_read_b128 v[30:33], v22 offset:2048
	v_cmp_ne_u16_sdwa s[8:9], v12, v18 src0_sel:BYTE_0 src1_sel:DWORD
	s_waitcnt lgkmcnt(0)
	v_mfma_f32_16x16x16f16 v[14:17], v[10:11], v[30:31], v[14:17]
	v_cvt_pkrtz_f16_f32 v10, v21, v26
	v_cvt_pkrtz_f16_f32 v11, v25, v27
	s_nop 1
	v_mfma_f32_16x16x16f16 v[14:17], v[10:11], v[32:33], v[14:17]
	s_and_saveexec_b64 s[2:3], s[8:9]
	s_cbranch_execz .LBB597_549
; %bb.544:
	s_movk_i32 s7, 0x80
	v_cmp_ne_u16_sdwa s[10:11], v12, s7 src0_sel:BYTE_0 src1_sel:DWORD
	v_bfrev_b32_e32 v18, 1
	s_and_saveexec_b64 s[8:9], s[10:11]
	s_cbranch_execz .LBB597_548
; %bb.545:
	s_movk_i32 s7, 0x7f
	v_and_b32_e32 v10, 0x7f, v12
	v_cmp_ne_u32_e32 vcc, s7, v10
	v_mov_b32_e32 v18, 0x7f800001
	s_and_saveexec_b64 s[10:11], vcc
	s_cbranch_execz .LBB597_547
; %bb.546:
	v_and_b32_e32 v11, 7, v12
	v_ffbh_u32_e32 v18, v11
	v_min_u32_e32 v21, 32, v18
	v_subrev_u32_e32 v18, 28, v21
	v_lshlrev_b64 v[18:19], v18, v[12:13]
	v_lshrrev_b32_e32 v20, 3, v10
	v_sub_u32_e32 v19, 29, v21
	v_and_b32_e32 v18, 7, v18
	v_cmp_gt_u32_e32 vcc, 8, v10
	v_cndmask_b32_e32 v10, v20, v19, vcc
	v_cndmask_b32_e32 v11, v11, v18, vcc
	v_lshlrev_b32_e32 v18, 24, v12
	v_bfrev_b32_e32 v19, 60
	v_lshlrev_b32_e32 v11, 20, v11
	v_and_b32_e32 v18, 0x80000000, v18
	v_lshl_add_u32 v10, v10, 23, v19
	v_or3_b32 v18, v18, v10, v11
.LBB597_547:
	s_or_b64 exec, exec, s[10:11]
.LBB597_548:
	s_or_b64 exec, exec, s[8:9]
.LBB597_549:
	s_or_b64 exec, exec, s[2:3]
	v_lshrrev_b16_e32 v10, 8, v12
	v_cmp_ne_u16_e32 vcc, 0, v10
	v_mov_b32_e32 v11, 0
	v_mov_b32_e32 v20, 0
	s_and_saveexec_b64 s[2:3], vcc
	s_cbranch_execz .LBB597_555
; %bb.550:
	s_movk_i32 s7, 0x80
	v_cmp_ne_u16_e32 vcc, s7, v10
	v_bfrev_b32_e32 v20, 1
	s_and_saveexec_b64 s[8:9], vcc
	s_cbranch_execz .LBB597_554
; %bb.551:
	s_movk_i32 s7, 0x7f
	v_and_b32_e32 v19, 0x7f, v10
	v_cmp_ne_u32_e32 vcc, s7, v19
	v_mov_b32_e32 v20, 0x7f800001
	s_and_saveexec_b64 s[10:11], vcc
	s_cbranch_execz .LBB597_553
; %bb.552:
	v_and_b32_e32 v23, 7, v10
	v_ffbh_u32_e32 v20, v23
	v_min_u32_e32 v25, 32, v20
	v_subrev_u32_e32 v20, 28, v25
	v_lshlrev_b64 v[20:21], v20, v[10:11]
	v_lshrrev_b32_e32 v24, 3, v19
	v_sub_u32_e32 v10, 29, v25
	v_and_b32_e32 v20, 7, v20
	v_cmp_gt_u32_e32 vcc, 8, v19
	v_cndmask_b32_e32 v10, v24, v10, vcc
	v_cndmask_b32_e32 v19, v23, v20, vcc
	v_lshlrev_b32_e32 v20, 16, v12
	v_bfrev_b32_e32 v21, 60
	v_lshlrev_b32_e32 v19, 20, v19
	v_and_b32_e32 v20, 0x80000000, v20
	v_lshl_add_u32 v10, v10, 23, v21
	v_or3_b32 v20, v20, v10, v19
.LBB597_553:
	s_or_b64 exec, exec, s[10:11]
.LBB597_554:
	s_or_b64 exec, exec, s[8:9]
.LBB597_555:
	s_or_b64 exec, exec, s[2:3]
	s_movk_i32 s2, 0xff
	v_and_b32_sdwa v19, v12, s2 dst_sel:DWORD dst_unused:UNUSED_PAD src0_sel:WORD_1 src1_sel:DWORD
	v_lshrrev_b32_e32 v10, 16, v12
	v_cmp_ne_u16_e32 vcc, 0, v19
	s_and_saveexec_b64 s[2:3], vcc
	s_cbranch_execz .LBB597_561
; %bb.556:
	s_movk_i32 s7, 0x80
	v_cmp_ne_u16_e32 vcc, s7, v19
	v_bfrev_b32_e32 v11, 1
	s_and_saveexec_b64 s[8:9], vcc
	s_cbranch_execz .LBB597_560
; %bb.557:
	v_bfe_u32 v19, v12, 16, 7
	s_movk_i32 s7, 0x7f
	v_cmp_ne_u32_e32 vcc, s7, v19
	v_mov_b32_e32 v11, 0x7f800001
	s_and_saveexec_b64 s[10:11], vcc
	s_cbranch_execz .LBB597_559
; %bb.558:
	v_and_b32_e32 v21, 7, v10
	v_ffbh_u32_e32 v11, v21
	v_min_u32_e32 v24, 32, v11
	v_subrev_u32_e32 v11, 28, v24
	v_lshlrev_b64 v[10:11], v11, v[10:11]
	v_lshrrev_b32_e32 v23, 3, v19
	v_sub_u32_e32 v11, 29, v24
	v_and_b32_e32 v10, 7, v10
	v_cmp_gt_u32_e32 vcc, 8, v19
	v_mov_b32_e32 v19, 24
	v_cndmask_b32_e32 v11, v23, v11, vcc
	v_cndmask_b32_e32 v10, v21, v10, vcc
	v_lshlrev_b32_sdwa v19, v19, v12 dst_sel:DWORD dst_unused:UNUSED_PAD src0_sel:DWORD src1_sel:WORD_1
	v_bfrev_b32_e32 v21, 60
	v_lshlrev_b32_e32 v10, 20, v10
	v_and_b32_e32 v19, 0x80000000, v19
	v_lshl_add_u32 v11, v11, 23, v21
	v_or3_b32 v11, v19, v11, v10
.LBB597_559:
	s_or_b64 exec, exec, s[10:11]
.LBB597_560:
	s_or_b64 exec, exec, s[8:9]
.LBB597_561:
	s_or_b64 exec, exec, s[2:3]
	s_mov_b32 s2, 0xffffff
	v_cmp_lt_u32_e32 vcc, s2, v12
	v_mov_b32_e32 v21, 0
	v_mov_b32_e32 v23, 0
	s_and_saveexec_b64 s[2:3], vcc
	s_cbranch_execz .LBB597_567
; %bb.562:
	v_lshrrev_b32_e32 v10, 24, v12
	s_movk_i32 s7, 0x80
	v_cmp_ne_u32_e32 vcc, s7, v10
	v_bfrev_b32_e32 v23, 1
	s_and_saveexec_b64 s[8:9], vcc
	s_cbranch_execz .LBB597_566
; %bb.563:
	v_bfe_u32 v12, v12, 24, 7
	s_movk_i32 s7, 0x7f
	v_cmp_ne_u32_e32 vcc, s7, v12
	v_mov_b32_e32 v23, 0x7f800001
	s_and_saveexec_b64 s[10:11], vcc
	s_cbranch_execz .LBB597_565
; %bb.564:
	v_and_b32_e32 v19, 7, v10
	v_ffbh_u32_e32 v24, v19
	v_min_u32_e32 v26, 32, v24
	v_subrev_u32_e32 v24, 28, v26
	v_lshlrev_b64 v[24:25], v24, v[10:11]
	v_lshrrev_b32_e32 v23, 3, v12
	v_sub_u32_e32 v25, 29, v26
	v_and_b32_e32 v24, 7, v24
	v_cmp_gt_u32_e32 vcc, 8, v12
	v_cndmask_b32_e32 v12, v23, v25, vcc
	v_cndmask_b32_e32 v19, v19, v24, vcc
	v_lshlrev_b32_e32 v10, 24, v10
	v_bfrev_b32_e32 v23, 60
	v_lshlrev_b32_e32 v19, 20, v19
	v_and_b32_e32 v10, 0x80000000, v10
	v_lshl_add_u32 v12, v12, 23, v23
	v_or3_b32 v23, v10, v12, v19
.LBB597_565:
	s_or_b64 exec, exec, s[10:11]
.LBB597_566:
	s_or_b64 exec, exec, s[8:9]
.LBB597_567:
	s_or_b64 exec, exec, s[2:3]
	v_cmp_ne_u16_sdwa s[8:9], v13, v21 src0_sel:BYTE_0 src1_sel:DWORD
	s_and_saveexec_b64 s[2:3], s[8:9]
	s_cbranch_execz .LBB597_573
; %bb.568:
	s_movk_i32 s7, 0x80
	v_cmp_ne_u16_sdwa s[10:11], v13, s7 src0_sel:BYTE_0 src1_sel:DWORD
	v_bfrev_b32_e32 v21, 1
	s_and_saveexec_b64 s[8:9], s[10:11]
	s_cbranch_execz .LBB597_572
; %bb.569:
	s_movk_i32 s7, 0x7f
	v_and_b32_e32 v10, 0x7f, v13
	v_cmp_ne_u32_e32 vcc, s7, v10
	v_mov_b32_e32 v21, 0x7f800001
	s_and_saveexec_b64 s[10:11], vcc
	s_cbranch_execz .LBB597_571
; %bb.570:
	v_and_b32_e32 v19, 7, v13
	v_ffbh_u32_e32 v24, v19
	v_min_u32_e32 v26, 32, v24
	v_mov_b32_e32 v12, v13
	v_subrev_u32_e32 v24, 28, v26
	v_lshlrev_b64 v[24:25], v24, v[12:13]
	v_lshrrev_b32_e32 v21, 3, v10
	v_sub_u32_e32 v12, 29, v26
	v_and_b32_e32 v24, 7, v24
	v_cmp_gt_u32_e32 vcc, 8, v10
	v_cndmask_b32_e32 v10, v21, v12, vcc
	v_cndmask_b32_e32 v12, v19, v24, vcc
	v_lshlrev_b32_e32 v19, 24, v13
	v_bfrev_b32_e32 v21, 60
	v_lshlrev_b32_e32 v12, 20, v12
	v_and_b32_e32 v19, 0x80000000, v19
	v_lshl_add_u32 v10, v10, 23, v21
	v_or3_b32 v21, v19, v10, v12
.LBB597_571:
	s_or_b64 exec, exec, s[10:11]
.LBB597_572:
	s_or_b64 exec, exec, s[8:9]
.LBB597_573:
	s_or_b64 exec, exec, s[2:3]
	v_lshrrev_b16_e32 v10, 8, v13
	v_cmp_ne_u16_e32 vcc, 0, v10
	v_mov_b32_e32 v12, 0
	v_mov_b32_e32 v24, 0
	s_and_saveexec_b64 s[2:3], vcc
	s_cbranch_execz .LBB597_579
; %bb.574:
	s_movk_i32 s7, 0x80
	v_cmp_ne_u16_e32 vcc, s7, v10
	v_bfrev_b32_e32 v24, 1
	s_and_saveexec_b64 s[8:9], vcc
	s_cbranch_execz .LBB597_578
; %bb.575:
	s_movk_i32 s7, 0x7f
	v_and_b32_e32 v19, 0x7f, v10
	v_cmp_ne_u32_e32 vcc, s7, v19
	v_mov_b32_e32 v24, 0x7f800001
	s_and_saveexec_b64 s[10:11], vcc
	s_cbranch_execz .LBB597_577
; %bb.576:
	v_and_b32_e32 v26, 7, v10
	v_ffbh_u32_e32 v24, v26
	v_min_u32_e32 v29, 32, v24
	v_subrev_u32_e32 v24, 28, v29
	v_lshlrev_b64 v[24:25], v24, v[10:11]
	v_lshrrev_b32_e32 v27, 3, v19
	v_sub_u32_e32 v10, 29, v29
	v_and_b32_e32 v24, 7, v24
	v_cmp_gt_u32_e32 vcc, 8, v19
	v_cndmask_b32_e32 v10, v27, v10, vcc
	v_cndmask_b32_e32 v19, v26, v24, vcc
	v_lshlrev_b32_e32 v24, 16, v13
	v_bfrev_b32_e32 v25, 60
	v_lshlrev_b32_e32 v19, 20, v19
	v_and_b32_e32 v24, 0x80000000, v24
	v_lshl_add_u32 v10, v10, 23, v25
	v_or3_b32 v24, v24, v10, v19
.LBB597_577:
	s_or_b64 exec, exec, s[10:11]
.LBB597_578:
	s_or_b64 exec, exec, s[8:9]
.LBB597_579:
	s_or_b64 exec, exec, s[2:3]
	s_movk_i32 s2, 0xff
	v_and_b32_sdwa v19, v13, s2 dst_sel:DWORD dst_unused:UNUSED_PAD src0_sel:WORD_1 src1_sel:DWORD
	v_lshrrev_b32_e32 v10, 16, v13
	v_cmp_ne_u16_e32 vcc, 0, v19
	s_and_saveexec_b64 s[2:3], vcc
	s_cbranch_execz .LBB597_585
; %bb.580:
	s_movk_i32 s7, 0x80
	v_cmp_ne_u16_e32 vcc, s7, v19
	v_bfrev_b32_e32 v12, 1
	s_and_saveexec_b64 s[8:9], vcc
	s_cbranch_execz .LBB597_584
; %bb.581:
	v_bfe_u32 v19, v13, 16, 7
	s_movk_i32 s7, 0x7f
	v_cmp_ne_u32_e32 vcc, s7, v19
	v_mov_b32_e32 v12, 0x7f800001
	s_and_saveexec_b64 s[10:11], vcc
	s_cbranch_execz .LBB597_583
; %bb.582:
	v_and_b32_e32 v12, 7, v10
	v_ffbh_u32_e32 v26, v12
	v_min_u32_e32 v29, 32, v26
	v_subrev_u32_e32 v26, 28, v29
	v_lshlrev_b64 v[26:27], v26, v[10:11]
	v_lshrrev_b32_e32 v25, 3, v19
	v_sub_u32_e32 v10, 29, v29
	v_and_b32_e32 v26, 7, v26
	v_cmp_gt_u32_e32 vcc, 8, v19
	v_mov_b32_e32 v19, 24
	v_cndmask_b32_e32 v10, v25, v10, vcc
	v_cndmask_b32_e32 v12, v12, v26, vcc
	v_lshlrev_b32_sdwa v19, v19, v13 dst_sel:DWORD dst_unused:UNUSED_PAD src0_sel:DWORD src1_sel:WORD_1
	v_bfrev_b32_e32 v25, 60
	v_lshlrev_b32_e32 v12, 20, v12
	v_and_b32_e32 v19, 0x80000000, v19
	v_lshl_add_u32 v10, v10, 23, v25
	v_or3_b32 v12, v19, v10, v12
.LBB597_583:
	s_or_b64 exec, exec, s[10:11]
.LBB597_584:
	s_or_b64 exec, exec, s[8:9]
.LBB597_585:
	s_or_b64 exec, exec, s[2:3]
	s_mov_b32 s2, 0xffffff
	v_cmp_lt_u32_e32 vcc, s2, v13
	v_mov_b32_e32 v19, 0
	v_mov_b32_e32 v25, 0
	s_and_saveexec_b64 s[2:3], vcc
	s_cbranch_execz .LBB597_591
; %bb.586:
	v_lshrrev_b32_e32 v10, 24, v13
	s_movk_i32 s7, 0x80
	v_cmp_ne_u32_e32 vcc, s7, v10
	v_bfrev_b32_e32 v25, 1
	s_and_saveexec_b64 s[8:9], vcc
	s_cbranch_execz .LBB597_590
; %bb.587:
	v_bfe_u32 v13, v13, 24, 7
	s_movk_i32 s7, 0x7f
	v_cmp_ne_u32_e32 vcc, s7, v13
	v_mov_b32_e32 v25, 0x7f800001
	s_and_saveexec_b64 s[10:11], vcc
	s_cbranch_execz .LBB597_589
; %bb.588:
	v_and_b32_e32 v25, 7, v10
	v_ffbh_u32_e32 v26, v25
	v_min_u32_e32 v30, 32, v26
	v_subrev_u32_e32 v26, 28, v30
	v_lshlrev_b64 v[26:27], v26, v[10:11]
	v_lshrrev_b32_e32 v29, 3, v13
	v_sub_u32_e32 v27, 29, v30
	v_and_b32_e32 v26, 7, v26
	v_cmp_gt_u32_e32 vcc, 8, v13
	v_cndmask_b32_e32 v13, v29, v27, vcc
	v_cndmask_b32_e32 v25, v25, v26, vcc
	v_lshlrev_b32_e32 v10, 24, v10
	v_bfrev_b32_e32 v26, 60
	v_lshlrev_b32_e32 v25, 20, v25
	v_and_b32_e32 v10, 0x80000000, v10
	v_lshl_add_u32 v13, v13, 23, v26
	v_or3_b32 v25, v10, v13, v25
.LBB597_589:
	s_or_b64 exec, exec, s[10:11]
.LBB597_590:
	s_or_b64 exec, exec, s[8:9]
.LBB597_591:
	s_or_b64 exec, exec, s[2:3]
	v_cvt_pkrtz_f16_f32 v10, v18, v20
	v_cvt_pkrtz_f16_f32 v11, v11, v23
	ds_read_b128 v[30:33], v22 offset:2064
	s_waitcnt vmcnt(1)
	v_cmp_ne_u16_sdwa s[8:9], v6, v19 src0_sel:BYTE_0 src1_sel:DWORD
	s_waitcnt lgkmcnt(0)
	v_mfma_f32_16x16x16f16 v[14:17], v[10:11], v[30:31], v[14:17]
	v_cvt_pkrtz_f16_f32 v10, v21, v24
	v_cvt_pkrtz_f16_f32 v11, v12, v25
	s_nop 1
	v_mfma_f32_16x16x16f16 v[10:13], v[10:11], v[32:33], v[14:17]
	s_and_saveexec_b64 s[2:3], s[8:9]
	s_cbranch_execz .LBB597_597
; %bb.592:
	s_movk_i32 s7, 0x80
	v_cmp_ne_u16_sdwa s[10:11], v6, s7 src0_sel:BYTE_0 src1_sel:DWORD
	v_bfrev_b32_e32 v19, 1
	s_and_saveexec_b64 s[8:9], s[10:11]
	s_cbranch_execz .LBB597_596
; %bb.593:
	s_movk_i32 s7, 0x7f
	v_and_b32_e32 v14, 0x7f, v6
	v_cmp_ne_u32_e32 vcc, s7, v14
	v_mov_b32_e32 v19, 0x7f800001
	s_and_saveexec_b64 s[10:11], vcc
	s_cbranch_execz .LBB597_595
; %bb.594:
	v_and_b32_e32 v15, 7, v6
	v_ffbh_u32_e32 v16, v15
	v_min_u32_e32 v19, 32, v16
	v_subrev_u32_e32 v16, 28, v19
	v_lshlrev_b64 v[16:17], v16, v[6:7]
	v_lshrrev_b32_e32 v18, 3, v14
	v_sub_u32_e32 v17, 29, v19
	v_and_b32_e32 v16, 7, v16
	v_cmp_gt_u32_e32 vcc, 8, v14
	v_cndmask_b32_e32 v14, v18, v17, vcc
	v_cndmask_b32_e32 v15, v15, v16, vcc
	v_lshlrev_b32_e32 v16, 24, v6
	v_bfrev_b32_e32 v17, 60
	v_lshlrev_b32_e32 v15, 20, v15
	v_and_b32_e32 v16, 0x80000000, v16
	v_lshl_add_u32 v14, v14, 23, v17
	v_or3_b32 v19, v16, v14, v15
.LBB597_595:
	s_or_b64 exec, exec, s[10:11]
.LBB597_596:
	s_or_b64 exec, exec, s[8:9]
.LBB597_597:
	s_or_b64 exec, exec, s[2:3]
	s_nop 3
	v_lshrrev_b16_e32 v14, 8, v6
	v_cmp_ne_u16_e32 vcc, 0, v14
	v_mov_b32_e32 v15, 0
	v_mov_b32_e32 v16, 0
	s_and_saveexec_b64 s[2:3], vcc
	s_cbranch_execz .LBB597_603
; %bb.598:
	s_movk_i32 s7, 0x80
	v_cmp_ne_u16_e32 vcc, s7, v14
	v_bfrev_b32_e32 v16, 1
	s_and_saveexec_b64 s[8:9], vcc
	s_cbranch_execz .LBB597_602
; %bb.599:
	s_movk_i32 s7, 0x7f
	v_and_b32_e32 v17, 0x7f, v14
	v_cmp_ne_u32_e32 vcc, s7, v17
	v_mov_b32_e32 v16, 0x7f800001
	s_and_saveexec_b64 s[10:11], vcc
	s_cbranch_execz .LBB597_601
; %bb.600:
	v_and_b32_e32 v16, 7, v14
	v_ffbh_u32_e32 v20, v16
	v_min_u32_e32 v23, 32, v20
	v_subrev_u32_e32 v20, 28, v23
	v_lshlrev_b64 v[20:21], v20, v[14:15]
	v_lshrrev_b32_e32 v18, 3, v17
	v_sub_u32_e32 v14, 29, v23
	v_and_b32_e32 v20, 7, v20
	v_cmp_gt_u32_e32 vcc, 8, v17
	v_cndmask_b32_e32 v14, v18, v14, vcc
	v_cndmask_b32_e32 v16, v16, v20, vcc
	v_lshlrev_b32_e32 v17, 16, v6
	v_bfrev_b32_e32 v18, 60
	v_lshlrev_b32_e32 v16, 20, v16
	v_and_b32_e32 v17, 0x80000000, v17
	v_lshl_add_u32 v14, v14, 23, v18
	v_or3_b32 v16, v17, v14, v16
.LBB597_601:
	s_or_b64 exec, exec, s[10:11]
.LBB597_602:
	s_or_b64 exec, exec, s[8:9]
.LBB597_603:
	s_or_b64 exec, exec, s[2:3]
	s_movk_i32 s2, 0xff
	v_and_b32_sdwa v17, v6, s2 dst_sel:DWORD dst_unused:UNUSED_PAD src0_sel:WORD_1 src1_sel:DWORD
	v_lshrrev_b32_e32 v14, 16, v6
	v_cmp_ne_u16_e32 vcc, 0, v17
	s_and_saveexec_b64 s[2:3], vcc
	s_cbranch_execz .LBB597_609
; %bb.604:
	s_movk_i32 s7, 0x80
	v_cmp_ne_u16_e32 vcc, s7, v17
	v_bfrev_b32_e32 v15, 1
	s_and_saveexec_b64 s[8:9], vcc
	s_cbranch_execz .LBB597_608
; %bb.605:
	v_bfe_u32 v17, v6, 16, 7
	s_movk_i32 s7, 0x7f
	v_cmp_ne_u32_e32 vcc, s7, v17
	v_mov_b32_e32 v15, 0x7f800001
	s_and_saveexec_b64 s[10:11], vcc
	s_cbranch_execz .LBB597_607
; %bb.606:
	v_and_b32_e32 v18, 7, v14
	v_ffbh_u32_e32 v15, v18
	v_min_u32_e32 v21, 32, v15
	v_subrev_u32_e32 v15, 28, v21
	v_lshlrev_b64 v[14:15], v15, v[14:15]
	v_lshrrev_b32_e32 v20, 3, v17
	v_sub_u32_e32 v15, 29, v21
	v_and_b32_e32 v14, 7, v14
	v_cmp_gt_u32_e32 vcc, 8, v17
	v_mov_b32_e32 v17, 24
	v_cndmask_b32_e32 v15, v20, v15, vcc
	v_cndmask_b32_e32 v14, v18, v14, vcc
	v_lshlrev_b32_sdwa v17, v17, v6 dst_sel:DWORD dst_unused:UNUSED_PAD src0_sel:DWORD src1_sel:WORD_1
	v_bfrev_b32_e32 v18, 60
	v_lshlrev_b32_e32 v14, 20, v14
	v_and_b32_e32 v17, 0x80000000, v17
	v_lshl_add_u32 v15, v15, 23, v18
	v_or3_b32 v15, v17, v15, v14
.LBB597_607:
	s_or_b64 exec, exec, s[10:11]
.LBB597_608:
	s_or_b64 exec, exec, s[8:9]
.LBB597_609:
	s_or_b64 exec, exec, s[2:3]
	s_mov_b32 s2, 0xffffff
	v_cmp_lt_u32_e32 vcc, s2, v6
	v_mov_b32_e32 v17, 0
	v_mov_b32_e32 v18, 0
	s_and_saveexec_b64 s[2:3], vcc
	s_cbranch_execz .LBB597_615
; %bb.610:
	v_lshrrev_b32_e32 v14, 24, v6
	s_movk_i32 s7, 0x80
	v_cmp_ne_u32_e32 vcc, s7, v14
	v_bfrev_b32_e32 v18, 1
	s_and_saveexec_b64 s[8:9], vcc
	s_cbranch_execz .LBB597_614
; %bb.611:
	v_bfe_u32 v6, v6, 24, 7
	s_movk_i32 s7, 0x7f
	v_cmp_ne_u32_e32 vcc, s7, v6
	v_mov_b32_e32 v18, 0x7f800001
	s_and_saveexec_b64 s[10:11], vcc
	s_cbranch_execz .LBB597_613
; %bb.612:
	v_and_b32_e32 v18, 7, v14
	v_ffbh_u32_e32 v20, v18
	v_min_u32_e32 v24, 32, v20
	v_subrev_u32_e32 v20, 28, v24
	v_lshlrev_b64 v[20:21], v20, v[14:15]
	v_lshrrev_b32_e32 v23, 3, v6
	v_sub_u32_e32 v21, 29, v24
	v_and_b32_e32 v20, 7, v20
	v_cmp_gt_u32_e32 vcc, 8, v6
	v_cndmask_b32_e32 v6, v23, v21, vcc
	v_cndmask_b32_e32 v18, v18, v20, vcc
	v_lshlrev_b32_e32 v14, 24, v14
	v_bfrev_b32_e32 v20, 60
	v_lshlrev_b32_e32 v18, 20, v18
	v_and_b32_e32 v14, 0x80000000, v14
	v_lshl_add_u32 v6, v6, 23, v20
	v_or3_b32 v18, v14, v6, v18
.LBB597_613:
	s_or_b64 exec, exec, s[10:11]
.LBB597_614:
	s_or_b64 exec, exec, s[8:9]
.LBB597_615:
	s_or_b64 exec, exec, s[2:3]
	v_cmp_ne_u16_sdwa s[8:9], v7, v17 src0_sel:BYTE_0 src1_sel:DWORD
	s_and_saveexec_b64 s[2:3], s[8:9]
	s_cbranch_execz .LBB597_621
; %bb.616:
	s_movk_i32 s7, 0x80
	v_cmp_ne_u16_sdwa s[10:11], v7, s7 src0_sel:BYTE_0 src1_sel:DWORD
	v_bfrev_b32_e32 v17, 1
	s_and_saveexec_b64 s[8:9], s[10:11]
	s_cbranch_execz .LBB597_620
; %bb.617:
	s_movk_i32 s7, 0x7f
	v_and_b32_e32 v6, 0x7f, v7
	v_cmp_ne_u32_e32 vcc, s7, v6
	v_mov_b32_e32 v17, 0x7f800001
	s_and_saveexec_b64 s[10:11], vcc
	s_cbranch_execz .LBB597_619
; %bb.618:
	v_and_b32_e32 v17, 7, v7
	v_ffbh_u32_e32 v20, v17
	v_min_u32_e32 v24, 32, v20
	v_mov_b32_e32 v14, v7
	v_subrev_u32_e32 v20, 28, v24
	v_lshlrev_b64 v[20:21], v20, v[14:15]
	v_lshrrev_b32_e32 v23, 3, v6
	v_sub_u32_e32 v14, 29, v24
	v_and_b32_e32 v20, 7, v20
	v_cmp_gt_u32_e32 vcc, 8, v6
	v_cndmask_b32_e32 v6, v23, v14, vcc
	v_cndmask_b32_e32 v14, v17, v20, vcc
	v_lshlrev_b32_e32 v17, 24, v7
	v_bfrev_b32_e32 v20, 60
	v_lshlrev_b32_e32 v14, 20, v14
	v_and_b32_e32 v17, 0x80000000, v17
	v_lshl_add_u32 v6, v6, 23, v20
	v_or3_b32 v17, v17, v6, v14
.LBB597_619:
	s_or_b64 exec, exec, s[10:11]
.LBB597_620:
	s_or_b64 exec, exec, s[8:9]
.LBB597_621:
	s_or_b64 exec, exec, s[2:3]
	v_lshrrev_b16_e32 v6, 8, v7
	v_cmp_ne_u16_e32 vcc, 0, v6
	v_mov_b32_e32 v20, 0
	v_mov_b32_e32 v21, 0
	s_and_saveexec_b64 s[2:3], vcc
	s_cbranch_execz .LBB597_627
; %bb.622:
	s_movk_i32 s7, 0x80
	v_cmp_ne_u16_e32 vcc, s7, v6
	v_bfrev_b32_e32 v21, 1
	s_and_saveexec_b64 s[8:9], vcc
	s_cbranch_execz .LBB597_626
; %bb.623:
	s_movk_i32 s7, 0x7f
	v_and_b32_e32 v14, 0x7f, v6
	v_cmp_ne_u32_e32 vcc, s7, v14
	v_mov_b32_e32 v21, 0x7f800001
	s_and_saveexec_b64 s[10:11], vcc
	s_cbranch_execz .LBB597_625
; %bb.624:
	v_and_b32_e32 v21, 7, v6
	v_ffbh_u32_e32 v24, v21
	v_min_u32_e32 v26, 32, v24
	v_subrev_u32_e32 v24, 28, v26
	v_lshlrev_b64 v[24:25], v24, v[6:7]
	v_lshrrev_b32_e32 v23, 3, v14
	v_sub_u32_e32 v6, 29, v26
	v_and_b32_e32 v24, 7, v24
	v_cmp_gt_u32_e32 vcc, 8, v14
	v_cndmask_b32_e32 v6, v23, v6, vcc
	v_cndmask_b32_e32 v14, v21, v24, vcc
	v_lshlrev_b32_e32 v21, 16, v7
	v_bfrev_b32_e32 v23, 60
	v_lshlrev_b32_e32 v14, 20, v14
	v_and_b32_e32 v21, 0x80000000, v21
	v_lshl_add_u32 v6, v6, 23, v23
	v_or3_b32 v21, v21, v6, v14
.LBB597_625:
	s_or_b64 exec, exec, s[10:11]
.LBB597_626:
	s_or_b64 exec, exec, s[8:9]
.LBB597_627:
	s_or_b64 exec, exec, s[2:3]
	s_movk_i32 s2, 0xff
	v_and_b32_sdwa v14, v7, s2 dst_sel:DWORD dst_unused:UNUSED_PAD src0_sel:WORD_1 src1_sel:DWORD
	v_lshrrev_b32_e32 v6, 16, v7
	v_cmp_ne_u16_e32 vcc, 0, v14
	s_and_saveexec_b64 s[2:3], vcc
	s_cbranch_execz .LBB597_633
; %bb.628:
	s_movk_i32 s7, 0x80
	v_cmp_ne_u16_e32 vcc, s7, v14
	v_bfrev_b32_e32 v20, 1
	s_and_saveexec_b64 s[8:9], vcc
	s_cbranch_execz .LBB597_632
; %bb.629:
	v_bfe_u32 v14, v7, 16, 7
	s_movk_i32 s7, 0x7f
	v_cmp_ne_u32_e32 vcc, s7, v14
	v_mov_b32_e32 v20, 0x7f800001
	s_and_saveexec_b64 s[10:11], vcc
	s_cbranch_execz .LBB597_631
; %bb.630:
	v_and_b32_e32 v20, 7, v6
	v_ffbh_u32_e32 v24, v20
	v_min_u32_e32 v26, 32, v24
	v_subrev_u32_e32 v24, 28, v26
	v_lshlrev_b64 v[24:25], v24, v[6:7]
	v_and_b32_e32 v24, 7, v24
	v_cmp_gt_u32_e32 vcc, 8, v14
	v_lshrrev_b32_e32 v23, 3, v14
	v_sub_u32_e32 v6, 29, v26
	v_cndmask_b32_e32 v14, v20, v24, vcc
	v_mov_b32_e32 v20, 24
	v_cndmask_b32_e32 v6, v23, v6, vcc
	v_lshlrev_b32_sdwa v20, v20, v7 dst_sel:DWORD dst_unused:UNUSED_PAD src0_sel:DWORD src1_sel:WORD_1
	v_bfrev_b32_e32 v23, 60
	v_lshlrev_b32_e32 v14, 20, v14
	v_and_b32_e32 v20, 0x80000000, v20
	v_lshl_add_u32 v6, v6, 23, v23
	v_or3_b32 v20, v20, v6, v14
.LBB597_631:
	s_or_b64 exec, exec, s[10:11]
.LBB597_632:
	s_or_b64 exec, exec, s[8:9]
.LBB597_633:
	s_or_b64 exec, exec, s[2:3]
	s_mov_b32 s2, 0xffffff
	v_cmp_lt_u32_e32 vcc, s2, v7
	v_mov_b32_e32 v14, 0
	v_mov_b32_e32 v23, 0
	s_and_saveexec_b64 s[2:3], vcc
	s_cbranch_execz .LBB597_639
; %bb.634:
	v_lshrrev_b32_e32 v6, 24, v7
	s_movk_i32 s7, 0x80
	v_cmp_ne_u32_e32 vcc, s7, v6
	v_bfrev_b32_e32 v23, 1
	s_and_saveexec_b64 s[8:9], vcc
	s_cbranch_execz .LBB597_638
; %bb.635:
	v_bfe_u32 v7, v7, 24, 7
	s_movk_i32 s7, 0x7f
	v_cmp_ne_u32_e32 vcc, s7, v7
	v_mov_b32_e32 v23, 0x7f800001
	s_and_saveexec_b64 s[10:11], vcc
	s_cbranch_execz .LBB597_637
; %bb.636:
	v_and_b32_e32 v23, 7, v6
	v_ffbh_u32_e32 v24, v23
	v_min_u32_e32 v27, 32, v24
	v_subrev_u32_e32 v24, 28, v27
	v_lshlrev_b64 v[24:25], v24, v[6:7]
	v_lshrrev_b32_e32 v26, 3, v7
	v_sub_u32_e32 v25, 29, v27
	v_and_b32_e32 v24, 7, v24
	v_cmp_gt_u32_e32 vcc, 8, v7
	v_cndmask_b32_e32 v7, v26, v25, vcc
	v_cndmask_b32_e32 v23, v23, v24, vcc
	v_lshlrev_b32_e32 v6, 24, v6
	v_bfrev_b32_e32 v24, 60
	v_lshlrev_b32_e32 v23, 20, v23
	v_and_b32_e32 v6, 0x80000000, v6
	v_lshl_add_u32 v7, v7, 23, v24
	v_or3_b32 v23, v6, v7, v23
.LBB597_637:
	s_or_b64 exec, exec, s[10:11]
.LBB597_638:
	s_or_b64 exec, exec, s[8:9]
.LBB597_639:
	s_or_b64 exec, exec, s[2:3]
	v_cvt_pkrtz_f16_f32 v6, v19, v16
	v_cvt_pkrtz_f16_f32 v7, v15, v18
	ds_read_b128 v[24:27], v22 offset:4096
	v_cmp_ne_u16_sdwa s[8:9], v8, v14 src0_sel:BYTE_0 src1_sel:DWORD
	s_waitcnt lgkmcnt(0)
	v_mfma_f32_16x16x16f16 v[10:13], v[6:7], v[24:25], v[10:13]
	v_cvt_pkrtz_f16_f32 v6, v17, v21
	v_cvt_pkrtz_f16_f32 v7, v20, v23
	s_nop 1
	v_mfma_f32_16x16x16f16 v[10:13], v[6:7], v[26:27], v[10:13]
	s_and_saveexec_b64 s[2:3], s[8:9]
	s_cbranch_execz .LBB597_645
; %bb.640:
	s_movk_i32 s7, 0x80
	v_cmp_ne_u16_sdwa s[10:11], v8, s7 src0_sel:BYTE_0 src1_sel:DWORD
	v_bfrev_b32_e32 v14, 1
	s_and_saveexec_b64 s[8:9], s[10:11]
	s_cbranch_execz .LBB597_644
; %bb.641:
	s_movk_i32 s7, 0x7f
	v_and_b32_e32 v6, 0x7f, v8
	v_cmp_ne_u32_e32 vcc, s7, v6
	v_mov_b32_e32 v14, 0x7f800001
	s_and_saveexec_b64 s[10:11], vcc
	s_cbranch_execz .LBB597_643
; %bb.642:
	v_and_b32_e32 v7, 7, v8
	v_ffbh_u32_e32 v14, v7
	v_min_u32_e32 v17, 32, v14
	v_subrev_u32_e32 v14, 28, v17
	v_lshlrev_b64 v[14:15], v14, v[8:9]
	v_lshrrev_b32_e32 v16, 3, v6
	v_sub_u32_e32 v15, 29, v17
	v_and_b32_e32 v14, 7, v14
	v_cmp_gt_u32_e32 vcc, 8, v6
	v_cndmask_b32_e32 v6, v16, v15, vcc
	v_cndmask_b32_e32 v7, v7, v14, vcc
	v_lshlrev_b32_e32 v14, 24, v8
	v_bfrev_b32_e32 v15, 60
	v_lshlrev_b32_e32 v7, 20, v7
	v_and_b32_e32 v14, 0x80000000, v14
	v_lshl_add_u32 v6, v6, 23, v15
	v_or3_b32 v14, v14, v6, v7
.LBB597_643:
	s_or_b64 exec, exec, s[10:11]
.LBB597_644:
	s_or_b64 exec, exec, s[8:9]
.LBB597_645:
	s_or_b64 exec, exec, s[2:3]
	v_lshrrev_b16_e32 v6, 8, v8
	v_cmp_ne_u16_e32 vcc, 0, v6
	v_mov_b32_e32 v7, 0
	v_mov_b32_e32 v16, 0
	s_and_saveexec_b64 s[2:3], vcc
	s_cbranch_execz .LBB597_651
; %bb.646:
	s_movk_i32 s7, 0x80
	v_cmp_ne_u16_e32 vcc, s7, v6
	v_bfrev_b32_e32 v16, 1
	s_and_saveexec_b64 s[8:9], vcc
	s_cbranch_execz .LBB597_650
; %bb.647:
	s_movk_i32 s7, 0x7f
	v_and_b32_e32 v15, 0x7f, v6
	v_cmp_ne_u32_e32 vcc, s7, v15
	v_mov_b32_e32 v16, 0x7f800001
	s_and_saveexec_b64 s[10:11], vcc
	s_cbranch_execz .LBB597_649
; %bb.648:
	v_and_b32_e32 v18, 7, v6
	v_ffbh_u32_e32 v16, v18
	v_min_u32_e32 v20, 32, v16
	v_subrev_u32_e32 v16, 28, v20
	v_lshlrev_b64 v[16:17], v16, v[6:7]
	v_lshrrev_b32_e32 v19, 3, v15
	v_sub_u32_e32 v6, 29, v20
	v_and_b32_e32 v16, 7, v16
	v_cmp_gt_u32_e32 vcc, 8, v15
	v_cndmask_b32_e32 v6, v19, v6, vcc
	v_cndmask_b32_e32 v15, v18, v16, vcc
	v_lshlrev_b32_e32 v16, 16, v8
	v_bfrev_b32_e32 v17, 60
	v_lshlrev_b32_e32 v15, 20, v15
	v_and_b32_e32 v16, 0x80000000, v16
	v_lshl_add_u32 v6, v6, 23, v17
	v_or3_b32 v16, v16, v6, v15
.LBB597_649:
	s_or_b64 exec, exec, s[10:11]
.LBB597_650:
	s_or_b64 exec, exec, s[8:9]
.LBB597_651:
	s_or_b64 exec, exec, s[2:3]
	s_movk_i32 s2, 0xff
	v_and_b32_sdwa v15, v8, s2 dst_sel:DWORD dst_unused:UNUSED_PAD src0_sel:WORD_1 src1_sel:DWORD
	v_lshrrev_b32_e32 v6, 16, v8
	v_cmp_ne_u16_e32 vcc, 0, v15
	s_and_saveexec_b64 s[2:3], vcc
	s_cbranch_execz .LBB597_657
; %bb.652:
	s_movk_i32 s7, 0x80
	v_cmp_ne_u16_e32 vcc, s7, v15
	v_bfrev_b32_e32 v7, 1
	s_and_saveexec_b64 s[8:9], vcc
	s_cbranch_execz .LBB597_656
; %bb.653:
	v_bfe_u32 v15, v8, 16, 7
	s_movk_i32 s7, 0x7f
	v_cmp_ne_u32_e32 vcc, s7, v15
	v_mov_b32_e32 v7, 0x7f800001
	s_and_saveexec_b64 s[10:11], vcc
	s_cbranch_execz .LBB597_655
; %bb.654:
	v_and_b32_e32 v17, 7, v6
	v_ffbh_u32_e32 v7, v17
	v_min_u32_e32 v19, 32, v7
	v_subrev_u32_e32 v7, 28, v19
	v_lshlrev_b64 v[6:7], v7, v[6:7]
	v_lshrrev_b32_e32 v18, 3, v15
	v_sub_u32_e32 v7, 29, v19
	v_and_b32_e32 v6, 7, v6
	v_cmp_gt_u32_e32 vcc, 8, v15
	v_mov_b32_e32 v15, 24
	v_cndmask_b32_e32 v7, v18, v7, vcc
	v_cndmask_b32_e32 v6, v17, v6, vcc
	v_lshlrev_b32_sdwa v15, v15, v8 dst_sel:DWORD dst_unused:UNUSED_PAD src0_sel:DWORD src1_sel:WORD_1
	v_bfrev_b32_e32 v17, 60
	v_lshlrev_b32_e32 v6, 20, v6
	v_and_b32_e32 v15, 0x80000000, v15
	v_lshl_add_u32 v7, v7, 23, v17
	v_or3_b32 v7, v15, v7, v6
.LBB597_655:
	s_or_b64 exec, exec, s[10:11]
.LBB597_656:
	s_or_b64 exec, exec, s[8:9]
.LBB597_657:
	s_or_b64 exec, exec, s[2:3]
	s_mov_b32 s2, 0xffffff
	v_cmp_lt_u32_e32 vcc, s2, v8
	v_mov_b32_e32 v17, 0
	v_mov_b32_e32 v18, 0
	s_and_saveexec_b64 s[2:3], vcc
	s_cbranch_execz .LBB597_663
; %bb.658:
	v_lshrrev_b32_e32 v6, 24, v8
	s_movk_i32 s7, 0x80
	v_cmp_ne_u32_e32 vcc, s7, v6
	v_bfrev_b32_e32 v18, 1
	s_and_saveexec_b64 s[8:9], vcc
	s_cbranch_execz .LBB597_662
; %bb.659:
	v_bfe_u32 v8, v8, 24, 7
	s_movk_i32 s7, 0x7f
	v_cmp_ne_u32_e32 vcc, s7, v8
	v_mov_b32_e32 v18, 0x7f800001
	s_and_saveexec_b64 s[10:11], vcc
	s_cbranch_execz .LBB597_661
; %bb.660:
	v_and_b32_e32 v15, 7, v6
	v_ffbh_u32_e32 v18, v15
	v_min_u32_e32 v21, 32, v18
	v_subrev_u32_e32 v18, 28, v21
	v_lshlrev_b64 v[18:19], v18, v[6:7]
	v_lshrrev_b32_e32 v20, 3, v8
	v_sub_u32_e32 v19, 29, v21
	v_and_b32_e32 v18, 7, v18
	v_cmp_gt_u32_e32 vcc, 8, v8
	v_cndmask_b32_e32 v8, v20, v19, vcc
	v_cndmask_b32_e32 v15, v15, v18, vcc
	v_lshlrev_b32_e32 v6, 24, v6
	v_bfrev_b32_e32 v18, 60
	v_lshlrev_b32_e32 v15, 20, v15
	v_and_b32_e32 v6, 0x80000000, v6
	v_lshl_add_u32 v8, v8, 23, v18
	v_or3_b32 v18, v6, v8, v15
.LBB597_661:
	s_or_b64 exec, exec, s[10:11]
.LBB597_662:
	s_or_b64 exec, exec, s[8:9]
.LBB597_663:
	s_or_b64 exec, exec, s[2:3]
	v_cmp_ne_u16_sdwa s[8:9], v9, v17 src0_sel:BYTE_0 src1_sel:DWORD
	s_and_saveexec_b64 s[2:3], s[8:9]
	s_cbranch_execz .LBB597_669
; %bb.664:
	s_movk_i32 s7, 0x80
	v_cmp_ne_u16_sdwa s[10:11], v9, s7 src0_sel:BYTE_0 src1_sel:DWORD
	v_bfrev_b32_e32 v17, 1
	s_and_saveexec_b64 s[8:9], s[10:11]
	s_cbranch_execz .LBB597_668
; %bb.665:
	s_movk_i32 s7, 0x7f
	v_and_b32_e32 v6, 0x7f, v9
	v_cmp_ne_u32_e32 vcc, s7, v6
	v_mov_b32_e32 v17, 0x7f800001
	s_and_saveexec_b64 s[10:11], vcc
	s_cbranch_execz .LBB597_667
; %bb.666:
	v_and_b32_e32 v15, 7, v9
	v_ffbh_u32_e32 v19, v15
	v_min_u32_e32 v19, 32, v19
	v_mov_b32_e32 v8, v9
	v_subrev_u32_e32 v20, 28, v19
	v_lshlrev_b64 v[20:21], v20, v[8:9]
	v_lshrrev_b32_e32 v17, 3, v6
	v_sub_u32_e32 v8, 29, v19
	v_and_b32_e32 v19, 7, v20
	v_cmp_gt_u32_e32 vcc, 8, v6
	v_cndmask_b32_e32 v6, v17, v8, vcc
	v_cndmask_b32_e32 v8, v15, v19, vcc
	v_lshlrev_b32_e32 v15, 24, v9
	v_bfrev_b32_e32 v17, 60
	v_lshlrev_b32_e32 v8, 20, v8
	v_and_b32_e32 v15, 0x80000000, v15
	v_lshl_add_u32 v6, v6, 23, v17
	v_or3_b32 v17, v15, v6, v8
.LBB597_667:
	s_or_b64 exec, exec, s[10:11]
.LBB597_668:
	s_or_b64 exec, exec, s[8:9]
.LBB597_669:
	s_or_b64 exec, exec, s[2:3]
	v_lshrrev_b16_e32 v6, 8, v9
	v_cmp_ne_u16_e32 vcc, 0, v6
	v_mov_b32_e32 v8, 0
	v_mov_b32_e32 v19, 0
	s_and_saveexec_b64 s[2:3], vcc
	s_cbranch_execz .LBB597_675
; %bb.670:
	s_movk_i32 s7, 0x80
	v_cmp_ne_u16_e32 vcc, s7, v6
	v_bfrev_b32_e32 v19, 1
	s_and_saveexec_b64 s[8:9], vcc
	s_cbranch_execz .LBB597_674
; %bb.671:
	s_movk_i32 s7, 0x7f
	v_and_b32_e32 v15, 0x7f, v6
	v_cmp_ne_u32_e32 vcc, s7, v15
	v_mov_b32_e32 v19, 0x7f800001
	s_and_saveexec_b64 s[10:11], vcc
	s_cbranch_execz .LBB597_673
; %bb.672:
	v_and_b32_e32 v19, 7, v6
	v_ffbh_u32_e32 v20, v19
	v_min_u32_e32 v24, 32, v20
	v_subrev_u32_e32 v20, 28, v24
	v_lshlrev_b64 v[20:21], v20, v[6:7]
	v_lshrrev_b32_e32 v23, 3, v15
	v_sub_u32_e32 v6, 29, v24
	v_and_b32_e32 v20, 7, v20
	v_cmp_gt_u32_e32 vcc, 8, v15
	v_cndmask_b32_e32 v6, v23, v6, vcc
	v_cndmask_b32_e32 v15, v19, v20, vcc
	v_lshlrev_b32_e32 v19, 16, v9
	v_bfrev_b32_e32 v20, 60
	v_lshlrev_b32_e32 v15, 20, v15
	v_and_b32_e32 v19, 0x80000000, v19
	v_lshl_add_u32 v6, v6, 23, v20
	v_or3_b32 v19, v19, v6, v15
.LBB597_673:
	s_or_b64 exec, exec, s[10:11]
.LBB597_674:
	s_or_b64 exec, exec, s[8:9]
.LBB597_675:
	s_or_b64 exec, exec, s[2:3]
	s_movk_i32 s2, 0xff
	v_and_b32_sdwa v15, v9, s2 dst_sel:DWORD dst_unused:UNUSED_PAD src0_sel:WORD_1 src1_sel:DWORD
	v_lshrrev_b32_e32 v6, 16, v9
	v_cmp_ne_u16_e32 vcc, 0, v15
	s_and_saveexec_b64 s[2:3], vcc
	s_cbranch_execz .LBB597_681
; %bb.676:
	s_movk_i32 s7, 0x80
	v_cmp_ne_u16_e32 vcc, s7, v15
	v_bfrev_b32_e32 v8, 1
	s_and_saveexec_b64 s[8:9], vcc
	s_cbranch_execz .LBB597_680
; %bb.677:
	v_bfe_u32 v15, v9, 16, 7
	s_movk_i32 s7, 0x7f
	v_cmp_ne_u32_e32 vcc, s7, v15
	v_mov_b32_e32 v8, 0x7f800001
	s_and_saveexec_b64 s[10:11], vcc
	s_cbranch_execz .LBB597_679
; %bb.678:
	v_and_b32_e32 v8, 7, v6
	v_ffbh_u32_e32 v20, v8
	v_min_u32_e32 v24, 32, v20
	v_subrev_u32_e32 v20, 28, v24
	v_lshlrev_b64 v[20:21], v20, v[6:7]
	v_lshrrev_b32_e32 v23, 3, v15
	v_sub_u32_e32 v6, 29, v24
	v_and_b32_e32 v20, 7, v20
	v_cmp_gt_u32_e32 vcc, 8, v15
	v_mov_b32_e32 v15, 24
	v_cndmask_b32_e32 v6, v23, v6, vcc
	v_cndmask_b32_e32 v8, v8, v20, vcc
	v_lshlrev_b32_sdwa v15, v15, v9 dst_sel:DWORD dst_unused:UNUSED_PAD src0_sel:DWORD src1_sel:WORD_1
	v_bfrev_b32_e32 v20, 60
	v_lshlrev_b32_e32 v8, 20, v8
	v_and_b32_e32 v15, 0x80000000, v15
	v_lshl_add_u32 v6, v6, 23, v20
	v_or3_b32 v8, v15, v6, v8
.LBB597_679:
	s_or_b64 exec, exec, s[10:11]
.LBB597_680:
	s_or_b64 exec, exec, s[8:9]
.LBB597_681:
	s_or_b64 exec, exec, s[2:3]
	s_mov_b32 s2, 0xffffff
	v_cmp_lt_u32_e32 vcc, s2, v9
	v_mov_b32_e32 v15, 0
	v_mov_b32_e32 v20, 0
	s_and_saveexec_b64 s[2:3], vcc
	s_cbranch_execz .LBB597_687
; %bb.682:
	v_lshrrev_b32_e32 v6, 24, v9
	s_movk_i32 s7, 0x80
	v_cmp_ne_u32_e32 vcc, s7, v6
	v_bfrev_b32_e32 v20, 1
	s_and_saveexec_b64 s[8:9], vcc
	s_cbranch_execz .LBB597_686
; %bb.683:
	v_bfe_u32 v9, v9, 24, 7
	s_movk_i32 s7, 0x7f
	v_cmp_ne_u32_e32 vcc, s7, v9
	v_mov_b32_e32 v20, 0x7f800001
	s_and_saveexec_b64 s[10:11], vcc
	s_cbranch_execz .LBB597_685
; %bb.684:
	v_and_b32_e32 v23, 7, v6
	v_ffbh_u32_e32 v20, v23
	v_min_u32_e32 v25, 32, v20
	v_subrev_u32_e32 v20, 28, v25
	v_lshlrev_b64 v[20:21], v20, v[6:7]
	v_lshrrev_b32_e32 v24, 3, v9
	v_sub_u32_e32 v21, 29, v25
	v_and_b32_e32 v20, 7, v20
	v_cmp_gt_u32_e32 vcc, 8, v9
	v_cndmask_b32_e32 v9, v24, v21, vcc
	v_cndmask_b32_e32 v20, v23, v20, vcc
	v_lshlrev_b32_e32 v6, 24, v6
	v_bfrev_b32_e32 v21, 60
	v_lshlrev_b32_e32 v20, 20, v20
	v_and_b32_e32 v6, 0x80000000, v6
	v_lshl_add_u32 v9, v9, 23, v21
	v_or3_b32 v20, v6, v9, v20
.LBB597_685:
	s_or_b64 exec, exec, s[10:11]
.LBB597_686:
	s_or_b64 exec, exec, s[8:9]
.LBB597_687:
	s_or_b64 exec, exec, s[2:3]
	v_cvt_pkrtz_f16_f32 v6, v14, v16
	v_cvt_pkrtz_f16_f32 v7, v7, v18
	ds_read_b128 v[24:27], v22 offset:4112
	s_waitcnt vmcnt(0)
	v_cmp_ne_u16_sdwa s[8:9], v2, v15 src0_sel:BYTE_0 src1_sel:DWORD
	s_waitcnt lgkmcnt(0)
	v_mfma_f32_16x16x16f16 v[10:13], v[6:7], v[24:25], v[10:13]
	v_cvt_pkrtz_f16_f32 v6, v17, v19
	v_cvt_pkrtz_f16_f32 v7, v8, v20
	s_nop 1
	v_mfma_f32_16x16x16f16 v[6:9], v[6:7], v[26:27], v[10:13]
	s_and_saveexec_b64 s[2:3], s[8:9]
	s_cbranch_execz .LBB597_693
; %bb.688:
	s_movk_i32 s7, 0x80
	v_cmp_ne_u16_sdwa s[10:11], v2, s7 src0_sel:BYTE_0 src1_sel:DWORD
	v_bfrev_b32_e32 v15, 1
	s_and_saveexec_b64 s[8:9], s[10:11]
	s_cbranch_execz .LBB597_692
; %bb.689:
	s_movk_i32 s7, 0x7f
	v_and_b32_e32 v10, 0x7f, v2
	v_cmp_ne_u32_e32 vcc, s7, v10
	v_mov_b32_e32 v15, 0x7f800001
	s_and_saveexec_b64 s[10:11], vcc
	s_cbranch_execz .LBB597_691
; %bb.690:
	v_and_b32_e32 v11, 7, v2
	v_ffbh_u32_e32 v12, v11
	v_min_u32_e32 v15, 32, v12
	v_subrev_u32_e32 v12, 28, v15
	v_lshlrev_b64 v[12:13], v12, v[2:3]
	v_lshrrev_b32_e32 v14, 3, v10
	v_sub_u32_e32 v13, 29, v15
	v_and_b32_e32 v12, 7, v12
	v_cmp_gt_u32_e32 vcc, 8, v10
	v_cndmask_b32_e32 v10, v14, v13, vcc
	v_cndmask_b32_e32 v11, v11, v12, vcc
	v_lshlrev_b32_e32 v12, 24, v2
	v_bfrev_b32_e32 v13, 60
	v_lshlrev_b32_e32 v11, 20, v11
	v_and_b32_e32 v12, 0x80000000, v12
	v_lshl_add_u32 v10, v10, 23, v13
	v_or3_b32 v15, v12, v10, v11
.LBB597_691:
	s_or_b64 exec, exec, s[10:11]
.LBB597_692:
	s_or_b64 exec, exec, s[8:9]
.LBB597_693:
	s_or_b64 exec, exec, s[2:3]
	s_nop 3
	v_lshrrev_b16_e32 v10, 8, v2
	v_cmp_ne_u16_e32 vcc, 0, v10
	v_mov_b32_e32 v11, 0
	v_mov_b32_e32 v12, 0
	s_and_saveexec_b64 s[2:3], vcc
	s_cbranch_execz .LBB597_699
; %bb.694:
	s_movk_i32 s7, 0x80
	v_cmp_ne_u16_e32 vcc, s7, v10
	v_bfrev_b32_e32 v12, 1
	s_and_saveexec_b64 s[8:9], vcc
	s_cbranch_execz .LBB597_698
; %bb.695:
	s_movk_i32 s7, 0x7f
	v_and_b32_e32 v13, 0x7f, v10
	v_cmp_ne_u32_e32 vcc, s7, v13
	v_mov_b32_e32 v12, 0x7f800001
	s_and_saveexec_b64 s[10:11], vcc
	s_cbranch_execz .LBB597_697
; %bb.696:
	v_and_b32_e32 v12, 7, v10
	v_ffbh_u32_e32 v16, v12
	v_min_u32_e32 v18, 32, v16
	v_subrev_u32_e32 v16, 28, v18
	v_lshlrev_b64 v[16:17], v16, v[10:11]
	v_lshrrev_b32_e32 v14, 3, v13
	v_sub_u32_e32 v10, 29, v18
	v_and_b32_e32 v16, 7, v16
	v_cmp_gt_u32_e32 vcc, 8, v13
	v_cndmask_b32_e32 v10, v14, v10, vcc
	v_cndmask_b32_e32 v12, v12, v16, vcc
	v_lshlrev_b32_e32 v13, 16, v2
	v_bfrev_b32_e32 v14, 60
	v_lshlrev_b32_e32 v12, 20, v12
	v_and_b32_e32 v13, 0x80000000, v13
	v_lshl_add_u32 v10, v10, 23, v14
	v_or3_b32 v12, v13, v10, v12
.LBB597_697:
	s_or_b64 exec, exec, s[10:11]
.LBB597_698:
	s_or_b64 exec, exec, s[8:9]
.LBB597_699:
	s_or_b64 exec, exec, s[2:3]
	s_movk_i32 s2, 0xff
	v_and_b32_sdwa v13, v2, s2 dst_sel:DWORD dst_unused:UNUSED_PAD src0_sel:WORD_1 src1_sel:DWORD
	v_lshrrev_b32_e32 v10, 16, v2
	v_cmp_ne_u16_e32 vcc, 0, v13
	s_and_saveexec_b64 s[2:3], vcc
	s_cbranch_execz .LBB597_705
; %bb.700:
	s_movk_i32 s7, 0x80
	v_cmp_ne_u16_e32 vcc, s7, v13
	v_bfrev_b32_e32 v11, 1
	s_and_saveexec_b64 s[8:9], vcc
	s_cbranch_execz .LBB597_704
; %bb.701:
	v_bfe_u32 v13, v2, 16, 7
	s_movk_i32 s7, 0x7f
	v_cmp_ne_u32_e32 vcc, s7, v13
	v_mov_b32_e32 v11, 0x7f800001
	s_and_saveexec_b64 s[10:11], vcc
	s_cbranch_execz .LBB597_703
; %bb.702:
	v_and_b32_e32 v14, 7, v10
	v_ffbh_u32_e32 v11, v14
	v_min_u32_e32 v17, 32, v11
	v_subrev_u32_e32 v11, 28, v17
	v_lshlrev_b64 v[10:11], v11, v[10:11]
	v_lshrrev_b32_e32 v16, 3, v13
	v_sub_u32_e32 v11, 29, v17
	v_and_b32_e32 v10, 7, v10
	v_cmp_gt_u32_e32 vcc, 8, v13
	v_mov_b32_e32 v13, 24
	v_cndmask_b32_e32 v11, v16, v11, vcc
	v_cndmask_b32_e32 v10, v14, v10, vcc
	v_lshlrev_b32_sdwa v13, v13, v2 dst_sel:DWORD dst_unused:UNUSED_PAD src0_sel:DWORD src1_sel:WORD_1
	v_bfrev_b32_e32 v14, 60
	v_lshlrev_b32_e32 v10, 20, v10
	v_and_b32_e32 v13, 0x80000000, v13
	v_lshl_add_u32 v11, v11, 23, v14
	v_or3_b32 v11, v13, v11, v10
.LBB597_703:
	s_or_b64 exec, exec, s[10:11]
.LBB597_704:
	s_or_b64 exec, exec, s[8:9]
.LBB597_705:
	s_or_b64 exec, exec, s[2:3]
	s_mov_b32 s2, 0xffffff
	v_cmp_lt_u32_e32 vcc, s2, v2
	v_mov_b32_e32 v13, 0
	v_mov_b32_e32 v14, 0
	s_and_saveexec_b64 s[2:3], vcc
	s_cbranch_execz .LBB597_711
; %bb.706:
	v_lshrrev_b32_e32 v10, 24, v2
	s_movk_i32 s7, 0x80
	v_cmp_ne_u32_e32 vcc, s7, v10
	v_bfrev_b32_e32 v14, 1
	s_and_saveexec_b64 s[8:9], vcc
	s_cbranch_execz .LBB597_710
; %bb.707:
	v_bfe_u32 v2, v2, 24, 7
	s_movk_i32 s7, 0x7f
	v_cmp_ne_u32_e32 vcc, s7, v2
	v_mov_b32_e32 v14, 0x7f800001
	s_and_saveexec_b64 s[10:11], vcc
	s_cbranch_execz .LBB597_709
; %bb.708:
	v_and_b32_e32 v14, 7, v10
	v_ffbh_u32_e32 v16, v14
	v_min_u32_e32 v19, 32, v16
	v_subrev_u32_e32 v16, 28, v19
	v_lshlrev_b64 v[16:17], v16, v[10:11]
	v_lshrrev_b32_e32 v18, 3, v2
	v_sub_u32_e32 v17, 29, v19
	v_and_b32_e32 v16, 7, v16
	v_cmp_gt_u32_e32 vcc, 8, v2
	v_cndmask_b32_e32 v2, v18, v17, vcc
	v_cndmask_b32_e32 v14, v14, v16, vcc
	v_lshlrev_b32_e32 v10, 24, v10
	v_bfrev_b32_e32 v16, 60
	v_lshlrev_b32_e32 v14, 20, v14
	v_and_b32_e32 v10, 0x80000000, v10
	v_lshl_add_u32 v2, v2, 23, v16
	v_or3_b32 v14, v10, v2, v14
.LBB597_709:
	s_or_b64 exec, exec, s[10:11]
.LBB597_710:
	s_or_b64 exec, exec, s[8:9]
.LBB597_711:
	s_or_b64 exec, exec, s[2:3]
	v_cmp_ne_u16_sdwa s[8:9], v3, v13 src0_sel:BYTE_0 src1_sel:DWORD
	s_and_saveexec_b64 s[2:3], s[8:9]
	s_cbranch_execz .LBB597_717
; %bb.712:
	s_movk_i32 s7, 0x80
	v_cmp_ne_u16_sdwa s[10:11], v3, s7 src0_sel:BYTE_0 src1_sel:DWORD
	v_bfrev_b32_e32 v13, 1
	s_and_saveexec_b64 s[8:9], s[10:11]
	s_cbranch_execz .LBB597_716
; %bb.713:
	s_movk_i32 s7, 0x7f
	v_and_b32_e32 v2, 0x7f, v3
	v_cmp_ne_u32_e32 vcc, s7, v2
	v_mov_b32_e32 v13, 0x7f800001
	s_and_saveexec_b64 s[10:11], vcc
	s_cbranch_execz .LBB597_715
; %bb.714:
	v_and_b32_e32 v13, 7, v3
	v_ffbh_u32_e32 v16, v13
	v_min_u32_e32 v19, 32, v16
	v_mov_b32_e32 v10, v3
	v_subrev_u32_e32 v16, 28, v19
	v_lshlrev_b64 v[16:17], v16, v[10:11]
	v_lshrrev_b32_e32 v18, 3, v2
	v_sub_u32_e32 v10, 29, v19
	v_and_b32_e32 v16, 7, v16
	v_cmp_gt_u32_e32 vcc, 8, v2
	v_cndmask_b32_e32 v2, v18, v10, vcc
	v_cndmask_b32_e32 v10, v13, v16, vcc
	v_lshlrev_b32_e32 v13, 24, v3
	v_bfrev_b32_e32 v16, 60
	v_lshlrev_b32_e32 v10, 20, v10
	v_and_b32_e32 v13, 0x80000000, v13
	v_lshl_add_u32 v2, v2, 23, v16
	v_or3_b32 v13, v13, v2, v10
.LBB597_715:
	s_or_b64 exec, exec, s[10:11]
.LBB597_716:
	s_or_b64 exec, exec, s[8:9]
.LBB597_717:
	s_or_b64 exec, exec, s[2:3]
	v_lshrrev_b16_e32 v2, 8, v3
	v_cmp_ne_u16_e32 vcc, 0, v2
	v_mov_b32_e32 v16, 0
	v_mov_b32_e32 v17, 0
	s_and_saveexec_b64 s[2:3], vcc
	s_cbranch_execz .LBB597_723
; %bb.718:
	s_movk_i32 s7, 0x80
	v_cmp_ne_u16_e32 vcc, s7, v2
	v_bfrev_b32_e32 v17, 1
	s_and_saveexec_b64 s[8:9], vcc
	s_cbranch_execz .LBB597_722
; %bb.719:
	s_movk_i32 s7, 0x7f
	v_and_b32_e32 v10, 0x7f, v2
	v_cmp_ne_u32_e32 vcc, s7, v10
	v_mov_b32_e32 v17, 0x7f800001
	s_and_saveexec_b64 s[10:11], vcc
	s_cbranch_execz .LBB597_721
; %bb.720:
	v_and_b32_e32 v17, 7, v2
	v_ffbh_u32_e32 v18, v17
	v_min_u32_e32 v21, 32, v18
	v_subrev_u32_e32 v18, 28, v21
	v_lshlrev_b64 v[18:19], v18, v[2:3]
	v_lshrrev_b32_e32 v20, 3, v10
	v_sub_u32_e32 v2, 29, v21
	v_and_b32_e32 v18, 7, v18
	v_cmp_gt_u32_e32 vcc, 8, v10
	v_cndmask_b32_e32 v2, v20, v2, vcc
	v_cndmask_b32_e32 v10, v17, v18, vcc
	v_lshlrev_b32_e32 v17, 16, v3
	v_bfrev_b32_e32 v18, 60
	v_lshlrev_b32_e32 v10, 20, v10
	v_and_b32_e32 v17, 0x80000000, v17
	v_lshl_add_u32 v2, v2, 23, v18
	v_or3_b32 v17, v17, v2, v10
.LBB597_721:
	s_or_b64 exec, exec, s[10:11]
.LBB597_722:
	s_or_b64 exec, exec, s[8:9]
.LBB597_723:
	s_or_b64 exec, exec, s[2:3]
	s_movk_i32 s2, 0xff
	v_and_b32_sdwa v10, v3, s2 dst_sel:DWORD dst_unused:UNUSED_PAD src0_sel:WORD_1 src1_sel:DWORD
	v_lshrrev_b32_e32 v2, 16, v3
	v_cmp_ne_u16_e32 vcc, 0, v10
	s_and_saveexec_b64 s[2:3], vcc
	s_cbranch_execz .LBB597_729
; %bb.724:
	s_movk_i32 s7, 0x80
	v_cmp_ne_u16_e32 vcc, s7, v10
	v_bfrev_b32_e32 v16, 1
	s_and_saveexec_b64 s[8:9], vcc
	s_cbranch_execz .LBB597_728
; %bb.725:
	v_bfe_u32 v10, v3, 16, 7
	s_movk_i32 s7, 0x7f
	v_cmp_ne_u32_e32 vcc, s7, v10
	v_mov_b32_e32 v16, 0x7f800001
	s_and_saveexec_b64 s[10:11], vcc
	s_cbranch_execz .LBB597_727
; %bb.726:
	v_and_b32_e32 v16, 7, v2
	v_ffbh_u32_e32 v18, v16
	v_min_u32_e32 v21, 32, v18
	v_subrev_u32_e32 v18, 28, v21
	v_lshlrev_b64 v[18:19], v18, v[2:3]
	v_and_b32_e32 v18, 7, v18
	v_cmp_gt_u32_e32 vcc, 8, v10
	v_lshrrev_b32_e32 v20, 3, v10
	v_sub_u32_e32 v2, 29, v21
	v_cndmask_b32_e32 v10, v16, v18, vcc
	v_mov_b32_e32 v16, 24
	v_cndmask_b32_e32 v2, v20, v2, vcc
	v_lshlrev_b32_sdwa v16, v16, v3 dst_sel:DWORD dst_unused:UNUSED_PAD src0_sel:DWORD src1_sel:WORD_1
	v_bfrev_b32_e32 v18, 60
	v_lshlrev_b32_e32 v10, 20, v10
	v_and_b32_e32 v16, 0x80000000, v16
	v_lshl_add_u32 v2, v2, 23, v18
	v_or3_b32 v16, v16, v2, v10
.LBB597_727:
	s_or_b64 exec, exec, s[10:11]
.LBB597_728:
	s_or_b64 exec, exec, s[8:9]
.LBB597_729:
	s_or_b64 exec, exec, s[2:3]
	s_mov_b32 s2, 0xffffff
	v_cmp_lt_u32_e32 vcc, s2, v3
	v_mov_b32_e32 v10, 0
	v_mov_b32_e32 v18, 0
	s_and_saveexec_b64 s[2:3], vcc
	s_cbranch_execz .LBB597_735
; %bb.730:
	v_lshrrev_b32_e32 v2, 24, v3
	s_movk_i32 s7, 0x80
	v_cmp_ne_u32_e32 vcc, s7, v2
	v_bfrev_b32_e32 v18, 1
	s_and_saveexec_b64 s[8:9], vcc
	s_cbranch_execz .LBB597_734
; %bb.731:
	v_bfe_u32 v3, v3, 24, 7
	s_movk_i32 s7, 0x7f
	v_cmp_ne_u32_e32 vcc, s7, v3
	v_mov_b32_e32 v18, 0x7f800001
	s_and_saveexec_b64 s[10:11], vcc
	s_cbranch_execz .LBB597_733
; %bb.732:
	v_and_b32_e32 v20, 7, v2
	v_ffbh_u32_e32 v18, v20
	v_min_u32_e32 v23, 32, v18
	v_subrev_u32_e32 v18, 28, v23
	v_lshlrev_b64 v[18:19], v18, v[2:3]
	v_lshrrev_b32_e32 v21, 3, v3
	v_sub_u32_e32 v19, 29, v23
	v_and_b32_e32 v18, 7, v18
	v_cmp_gt_u32_e32 vcc, 8, v3
	v_cndmask_b32_e32 v3, v21, v19, vcc
	v_cndmask_b32_e32 v18, v20, v18, vcc
	v_lshlrev_b32_e32 v2, 24, v2
	v_bfrev_b32_e32 v19, 60
	v_lshlrev_b32_e32 v18, 20, v18
	v_and_b32_e32 v2, 0x80000000, v2
	v_lshl_add_u32 v3, v3, 23, v19
	v_or3_b32 v18, v2, v3, v18
.LBB597_733:
	s_or_b64 exec, exec, s[10:11]
.LBB597_734:
	s_or_b64 exec, exec, s[8:9]
.LBB597_735:
	s_or_b64 exec, exec, s[2:3]
	v_cvt_pkrtz_f16_f32 v2, v15, v12
	v_cvt_pkrtz_f16_f32 v3, v11, v14
	ds_read_b128 v[24:27], v22 offset:6144
	v_cmp_ne_u16_sdwa s[8:9], v4, v10 src0_sel:BYTE_0 src1_sel:DWORD
	s_waitcnt lgkmcnt(0)
	v_mfma_f32_16x16x16f16 v[6:9], v[2:3], v[24:25], v[6:9]
	v_cvt_pkrtz_f16_f32 v2, v13, v17
	v_cvt_pkrtz_f16_f32 v3, v16, v18
	s_nop 1
	v_mfma_f32_16x16x16f16 v[6:9], v[2:3], v[26:27], v[6:9]
	s_and_saveexec_b64 s[2:3], s[8:9]
	s_cbranch_execz .LBB597_741
; %bb.736:
	s_movk_i32 s7, 0x80
	v_cmp_ne_u16_sdwa s[10:11], v4, s7 src0_sel:BYTE_0 src1_sel:DWORD
	v_bfrev_b32_e32 v10, 1
	s_and_saveexec_b64 s[8:9], s[10:11]
	s_cbranch_execz .LBB597_740
; %bb.737:
	s_movk_i32 s7, 0x7f
	v_and_b32_e32 v2, 0x7f, v4
	v_cmp_ne_u32_e32 vcc, s7, v2
	v_mov_b32_e32 v10, 0x7f800001
	s_and_saveexec_b64 s[10:11], vcc
	s_cbranch_execz .LBB597_739
; %bb.738:
	v_and_b32_e32 v3, 7, v4
	v_ffbh_u32_e32 v10, v3
	v_min_u32_e32 v13, 32, v10
	v_subrev_u32_e32 v10, 28, v13
	v_lshlrev_b64 v[10:11], v10, v[4:5]
	v_lshrrev_b32_e32 v12, 3, v2
	v_sub_u32_e32 v11, 29, v13
	v_and_b32_e32 v10, 7, v10
	v_cmp_gt_u32_e32 vcc, 8, v2
	v_cndmask_b32_e32 v2, v12, v11, vcc
	v_cndmask_b32_e32 v3, v3, v10, vcc
	v_lshlrev_b32_e32 v10, 24, v4
	v_bfrev_b32_e32 v11, 60
	v_lshlrev_b32_e32 v3, 20, v3
	v_and_b32_e32 v10, 0x80000000, v10
	v_lshl_add_u32 v2, v2, 23, v11
	v_or3_b32 v10, v10, v2, v3
.LBB597_739:
	s_or_b64 exec, exec, s[10:11]
.LBB597_740:
	s_or_b64 exec, exec, s[8:9]
.LBB597_741:
	s_or_b64 exec, exec, s[2:3]
	v_lshrrev_b16_e32 v2, 8, v4
	v_cmp_ne_u16_e32 vcc, 0, v2
	v_mov_b32_e32 v3, 0
	v_mov_b32_e32 v11, 0
	s_and_saveexec_b64 s[2:3], vcc
	s_cbranch_execz .LBB597_747
; %bb.742:
	s_movk_i32 s7, 0x80
	v_cmp_ne_u16_e32 vcc, s7, v2
	v_bfrev_b32_e32 v11, 1
	s_and_saveexec_b64 s[8:9], vcc
	s_cbranch_execz .LBB597_746
; %bb.743:
	s_movk_i32 s7, 0x7f
	v_and_b32_e32 v12, 0x7f, v2
	v_cmp_ne_u32_e32 vcc, s7, v12
	v_mov_b32_e32 v11, 0x7f800001
	s_and_saveexec_b64 s[10:11], vcc
	s_cbranch_execz .LBB597_745
; %bb.744:
	v_and_b32_e32 v11, 7, v2
	v_ffbh_u32_e32 v14, v11
	v_min_u32_e32 v16, 32, v14
	v_subrev_u32_e32 v14, 28, v16
	v_lshlrev_b64 v[14:15], v14, v[2:3]
	v_lshrrev_b32_e32 v13, 3, v12
	v_sub_u32_e32 v2, 29, v16
	v_and_b32_e32 v14, 7, v14
	v_cmp_gt_u32_e32 vcc, 8, v12
	v_cndmask_b32_e32 v2, v13, v2, vcc
	v_cndmask_b32_e32 v11, v11, v14, vcc
	v_lshlrev_b32_e32 v12, 16, v4
	v_bfrev_b32_e32 v13, 60
	v_lshlrev_b32_e32 v11, 20, v11
	v_and_b32_e32 v12, 0x80000000, v12
	v_lshl_add_u32 v2, v2, 23, v13
	v_or3_b32 v11, v12, v2, v11
.LBB597_745:
	s_or_b64 exec, exec, s[10:11]
.LBB597_746:
	s_or_b64 exec, exec, s[8:9]
.LBB597_747:
	s_or_b64 exec, exec, s[2:3]
	s_movk_i32 s2, 0xff
	v_and_b32_sdwa v12, v4, s2 dst_sel:DWORD dst_unused:UNUSED_PAD src0_sel:WORD_1 src1_sel:DWORD
	v_lshrrev_b32_e32 v2, 16, v4
	v_cmp_ne_u16_e32 vcc, 0, v12
	s_and_saveexec_b64 s[2:3], vcc
	s_cbranch_execz .LBB597_753
; %bb.748:
	s_movk_i32 s7, 0x80
	v_cmp_ne_u16_e32 vcc, s7, v12
	v_bfrev_b32_e32 v3, 1
	s_and_saveexec_b64 s[8:9], vcc
	s_cbranch_execz .LBB597_752
; %bb.749:
	v_bfe_u32 v12, v4, 16, 7
	s_movk_i32 s7, 0x7f
	v_cmp_ne_u32_e32 vcc, s7, v12
	v_mov_b32_e32 v3, 0x7f800001
	s_and_saveexec_b64 s[10:11], vcc
	s_cbranch_execz .LBB597_751
; %bb.750:
	v_and_b32_e32 v13, 7, v2
	v_ffbh_u32_e32 v3, v13
	v_min_u32_e32 v15, 32, v3
	v_subrev_u32_e32 v3, 28, v15
	v_lshlrev_b64 v[2:3], v3, v[2:3]
	v_lshrrev_b32_e32 v14, 3, v12
	v_sub_u32_e32 v3, 29, v15
	v_and_b32_e32 v2, 7, v2
	v_cmp_gt_u32_e32 vcc, 8, v12
	v_mov_b32_e32 v12, 24
	v_cndmask_b32_e32 v3, v14, v3, vcc
	v_cndmask_b32_e32 v2, v13, v2, vcc
	v_lshlrev_b32_sdwa v12, v12, v4 dst_sel:DWORD dst_unused:UNUSED_PAD src0_sel:DWORD src1_sel:WORD_1
	v_bfrev_b32_e32 v13, 60
	v_lshlrev_b32_e32 v2, 20, v2
	v_and_b32_e32 v12, 0x80000000, v12
	v_lshl_add_u32 v3, v3, 23, v13
	v_or3_b32 v3, v12, v3, v2
.LBB597_751:
	s_or_b64 exec, exec, s[10:11]
.LBB597_752:
	s_or_b64 exec, exec, s[8:9]
.LBB597_753:
	s_or_b64 exec, exec, s[2:3]
	s_mov_b32 s2, 0xffffff
	v_cmp_lt_u32_e32 vcc, s2, v4
	v_mov_b32_e32 v12, 0
	v_mov_b32_e32 v13, 0
	s_and_saveexec_b64 s[2:3], vcc
	s_cbranch_execz .LBB597_759
; %bb.754:
	v_lshrrev_b32_e32 v2, 24, v4
	s_movk_i32 s7, 0x80
	v_cmp_ne_u32_e32 vcc, s7, v2
	v_bfrev_b32_e32 v13, 1
	s_and_saveexec_b64 s[8:9], vcc
	s_cbranch_execz .LBB597_758
; %bb.755:
	v_bfe_u32 v4, v4, 24, 7
	s_movk_i32 s7, 0x7f
	v_cmp_ne_u32_e32 vcc, s7, v4
	v_mov_b32_e32 v13, 0x7f800001
	s_and_saveexec_b64 s[10:11], vcc
	s_cbranch_execz .LBB597_757
; %bb.756:
	v_and_b32_e32 v13, 7, v2
	v_ffbh_u32_e32 v14, v13
	v_min_u32_e32 v17, 32, v14
	v_subrev_u32_e32 v14, 28, v17
	v_lshlrev_b64 v[14:15], v14, v[2:3]
	v_lshrrev_b32_e32 v16, 3, v4
	v_sub_u32_e32 v15, 29, v17
	v_and_b32_e32 v14, 7, v14
	v_cmp_gt_u32_e32 vcc, 8, v4
	v_cndmask_b32_e32 v4, v16, v15, vcc
	v_cndmask_b32_e32 v13, v13, v14, vcc
	v_lshlrev_b32_e32 v2, 24, v2
	v_bfrev_b32_e32 v14, 60
	v_lshlrev_b32_e32 v13, 20, v13
	v_and_b32_e32 v2, 0x80000000, v2
	v_lshl_add_u32 v4, v4, 23, v14
	v_or3_b32 v13, v2, v4, v13
.LBB597_757:
	s_or_b64 exec, exec, s[10:11]
.LBB597_758:
	s_or_b64 exec, exec, s[8:9]
.LBB597_759:
	s_or_b64 exec, exec, s[2:3]
	v_cmp_ne_u16_sdwa s[8:9], v5, v12 src0_sel:BYTE_0 src1_sel:DWORD
	s_and_saveexec_b64 s[2:3], s[8:9]
	s_cbranch_execz .LBB597_765
; %bb.760:
	s_movk_i32 s7, 0x80
	v_cmp_ne_u16_sdwa s[10:11], v5, s7 src0_sel:BYTE_0 src1_sel:DWORD
	v_bfrev_b32_e32 v12, 1
	s_and_saveexec_b64 s[8:9], s[10:11]
	s_cbranch_execz .LBB597_764
; %bb.761:
	s_movk_i32 s7, 0x7f
	v_and_b32_e32 v2, 0x7f, v5
	v_cmp_ne_u32_e32 vcc, s7, v2
	v_mov_b32_e32 v12, 0x7f800001
	s_and_saveexec_b64 s[10:11], vcc
	s_cbranch_execz .LBB597_763
; %bb.762:
	v_and_b32_e32 v12, 7, v5
	v_ffbh_u32_e32 v14, v12
	v_min_u32_e32 v17, 32, v14
	v_mov_b32_e32 v4, v5
	v_subrev_u32_e32 v14, 28, v17
	v_lshlrev_b64 v[14:15], v14, v[4:5]
	v_lshrrev_b32_e32 v16, 3, v2
	v_sub_u32_e32 v4, 29, v17
	v_and_b32_e32 v14, 7, v14
	v_cmp_gt_u32_e32 vcc, 8, v2
	v_cndmask_b32_e32 v2, v16, v4, vcc
	v_cndmask_b32_e32 v4, v12, v14, vcc
	v_lshlrev_b32_e32 v12, 24, v5
	v_bfrev_b32_e32 v14, 60
	v_lshlrev_b32_e32 v4, 20, v4
	v_and_b32_e32 v12, 0x80000000, v12
	v_lshl_add_u32 v2, v2, 23, v14
	v_or3_b32 v12, v12, v2, v4
.LBB597_763:
	s_or_b64 exec, exec, s[10:11]
.LBB597_764:
	s_or_b64 exec, exec, s[8:9]
.LBB597_765:
	s_or_b64 exec, exec, s[2:3]
	v_lshrrev_b16_e32 v2, 8, v5
	v_cmp_ne_u16_e32 vcc, 0, v2
	v_mov_b32_e32 v4, 0
	v_mov_b32_e32 v14, 0
	s_and_saveexec_b64 s[2:3], vcc
	s_cbranch_execz .LBB597_771
; %bb.766:
	s_movk_i32 s7, 0x80
	v_cmp_ne_u16_e32 vcc, s7, v2
	v_bfrev_b32_e32 v14, 1
	s_and_saveexec_b64 s[8:9], vcc
	s_cbranch_execz .LBB597_770
; %bb.767:
	s_movk_i32 s7, 0x7f
	v_and_b32_e32 v15, 0x7f, v2
	v_cmp_ne_u32_e32 vcc, s7, v15
	v_mov_b32_e32 v14, 0x7f800001
	s_and_saveexec_b64 s[10:11], vcc
	s_cbranch_execz .LBB597_769
; %bb.768:
	v_and_b32_e32 v14, 7, v2
	v_ffbh_u32_e32 v16, v14
	v_min_u32_e32 v19, 32, v16
	v_subrev_u32_e32 v16, 28, v19
	v_lshlrev_b64 v[16:17], v16, v[2:3]
	v_lshrrev_b32_e32 v18, 3, v15
	v_sub_u32_e32 v2, 29, v19
	v_and_b32_e32 v16, 7, v16
	v_cmp_gt_u32_e32 vcc, 8, v15
	v_cndmask_b32_e32 v2, v18, v2, vcc
	v_cndmask_b32_e32 v14, v14, v16, vcc
	v_lshlrev_b32_e32 v15, 16, v5
	v_bfrev_b32_e32 v16, 60
	v_lshlrev_b32_e32 v14, 20, v14
	v_and_b32_e32 v15, 0x80000000, v15
	v_lshl_add_u32 v2, v2, 23, v16
	v_or3_b32 v14, v15, v2, v14
.LBB597_769:
	s_or_b64 exec, exec, s[10:11]
.LBB597_770:
	s_or_b64 exec, exec, s[8:9]
.LBB597_771:
	s_or_b64 exec, exec, s[2:3]
	s_movk_i32 s2, 0xff
	v_and_b32_sdwa v15, v5, s2 dst_sel:DWORD dst_unused:UNUSED_PAD src0_sel:WORD_1 src1_sel:DWORD
	v_lshrrev_b32_e32 v2, 16, v5
	v_cmp_ne_u16_e32 vcc, 0, v15
	s_and_saveexec_b64 s[2:3], vcc
	s_cbranch_execz .LBB597_777
; %bb.772:
	s_movk_i32 s7, 0x80
	v_cmp_ne_u16_e32 vcc, s7, v15
	v_bfrev_b32_e32 v4, 1
	s_and_saveexec_b64 s[8:9], vcc
	s_cbranch_execz .LBB597_776
; %bb.773:
	v_bfe_u32 v15, v5, 16, 7
	s_movk_i32 s7, 0x7f
	v_cmp_ne_u32_e32 vcc, s7, v15
	v_mov_b32_e32 v4, 0x7f800001
	s_and_saveexec_b64 s[10:11], vcc
	s_cbranch_execz .LBB597_775
; %bb.774:
	v_and_b32_e32 v4, 7, v2
	v_ffbh_u32_e32 v16, v4
	v_min_u32_e32 v19, 32, v16
	v_subrev_u32_e32 v16, 28, v19
	v_lshlrev_b64 v[16:17], v16, v[2:3]
	v_lshrrev_b32_e32 v18, 3, v15
	v_sub_u32_e32 v2, 29, v19
	v_and_b32_e32 v16, 7, v16
	v_cmp_gt_u32_e32 vcc, 8, v15
	v_mov_b32_e32 v15, 24
	v_cndmask_b32_e32 v2, v18, v2, vcc
	v_cndmask_b32_e32 v4, v4, v16, vcc
	v_lshlrev_b32_sdwa v15, v15, v5 dst_sel:DWORD dst_unused:UNUSED_PAD src0_sel:DWORD src1_sel:WORD_1
	v_bfrev_b32_e32 v16, 60
	v_lshlrev_b32_e32 v4, 20, v4
	v_and_b32_e32 v15, 0x80000000, v15
	v_lshl_add_u32 v2, v2, 23, v16
	v_or3_b32 v4, v15, v2, v4
.LBB597_775:
	s_or_b64 exec, exec, s[10:11]
.LBB597_776:
	s_or_b64 exec, exec, s[8:9]
.LBB597_777:
	s_or_b64 exec, exec, s[2:3]
	s_mov_b32 s2, 0xffffff
	v_cmp_lt_u32_e32 vcc, s2, v5
	v_mov_b32_e32 v15, 0
	s_and_saveexec_b64 s[2:3], vcc
	s_cbranch_execz .LBB597_783
; %bb.778:
	v_lshrrev_b32_e32 v2, 24, v5
	s_movk_i32 s7, 0x80
	v_cmp_ne_u32_e32 vcc, s7, v2
	v_bfrev_b32_e32 v15, 1
	s_and_saveexec_b64 s[8:9], vcc
	s_cbranch_execz .LBB597_782
; %bb.779:
	v_bfe_u32 v5, v5, 24, 7
	s_movk_i32 s7, 0x7f
	v_cmp_ne_u32_e32 vcc, s7, v5
	v_mov_b32_e32 v15, 0x7f800001
	s_and_saveexec_b64 s[10:11], vcc
	s_cbranch_execz .LBB597_781
; %bb.780:
	v_and_b32_e32 v15, 7, v2
	v_ffbh_u32_e32 v16, v15
	v_min_u32_e32 v19, 32, v16
	v_subrev_u32_e32 v16, 28, v19
	v_lshlrev_b64 v[16:17], v16, v[2:3]
	v_lshrrev_b32_e32 v18, 3, v5
	v_sub_u32_e32 v17, 29, v19
	v_and_b32_e32 v16, 7, v16
	v_cmp_gt_u32_e32 vcc, 8, v5
	v_cndmask_b32_e32 v5, v18, v17, vcc
	v_cndmask_b32_e32 v15, v15, v16, vcc
	v_lshlrev_b32_e32 v2, 24, v2
	v_bfrev_b32_e32 v16, 60
	v_lshlrev_b32_e32 v15, 20, v15
	v_and_b32_e32 v2, 0x80000000, v2
	v_lshl_add_u32 v5, v5, 23, v16
	v_or3_b32 v15, v2, v5, v15
.LBB597_781:
	s_or_b64 exec, exec, s[10:11]
.LBB597_782:
	s_or_b64 exec, exec, s[8:9]
.LBB597_783:
	s_or_b64 exec, exec, s[2:3]
	v_cvt_pkrtz_f16_f32 v2, v10, v11
	v_cvt_pkrtz_f16_f32 v3, v3, v13
	ds_read_b128 v[16:19], v22 offset:6160
	s_load_dword s2, s[42:43], 0x0
	v_cmp_gt_u32_e32 vcc, 64, v0
	s_waitcnt lgkmcnt(0)
	v_mfma_f32_16x16x16f16 v[6:9], v[2:3], v[16:17], v[6:9]
	v_cvt_pkrtz_f16_f32 v2, v12, v14
	v_cvt_pkrtz_f16_f32 v3, v4, v15
	s_and_b64 s[0:1], vcc, s[0:1]
	s_barrier
	v_mfma_f32_16x16x16f16 v[2:5], v[2:3], v[18:19], v[6:9]
	s_nop 7
	s_nop 2
	v_pk_mul_f32 v[4:5], v[4:5], s[2:3] op_sel_hi:[1,0]
	v_pk_mul_f32 v[2:3], v[2:3], s[2:3] op_sel_hi:[1,0]
	v_cvt_f16_f32_e32 v2, v2
	v_cvt_f16_f32_e32 v3, v3
	;; [unrolled: 1-line block ×4, first 2 shown]
	v_pack_b32_f16 v2, v2, v3
	v_pack_b32_f16 v3, v4, v5
	ds_write_b64 v28, v[2:3]
	s_waitcnt lgkmcnt(0)
	s_barrier
	s_and_saveexec_b64 s[2:3], s[0:1]
	s_cbranch_execz .LBB597_785
; %bb.784:
	s_load_dwordx2 s[0:1], s[4:5], 0x68
	s_lshl_b32 s4, s44, 6
	s_mul_i32 s2, s12, s6
	s_mul_hi_u32 s3, s2, s4
	s_mul_i32 s2, s2, s4
	s_lshl_b64 s[2:3], s[2:3], 1
	s_waitcnt lgkmcnt(0)
	s_add_u32 s2, s0, s2
	s_addc_u32 s3, s1, s3
	s_lshl_b32 s0, s24, 6
	s_mov_b32 s1, 0
	v_lshlrev_b32_e32 v0, 10, v0
	s_lshl_b64 s[0:1], s[0:1], 1
	v_and_b32_e32 v0, 0x1800, v0
	v_lshlrev_b32_e32 v2, 5, v1
	v_and_b32_e32 v3, 16, v47
	s_add_u32 s0, s2, s0
	v_or3_b32 v0, v0, v2, v3
	s_addc_u32 s1, s3, s1
	ds_read_b128 v[2:5], v0
	ds_read_b128 v[6:9], v0 offset:128
	v_mov_b32_e32 v0, s1
	v_add_co_u32_e32 v10, vcc, s0, v46
	v_or_b32_e32 v12, s25, v1
	v_addc_co_u32_e32 v11, vcc, 0, v0, vcc
	v_mad_u64_u32 v[0:1], s[0:1], v12, s4, 0
	v_lshlrev_b64 v[0:1], 1, v[0:1]
	v_add_co_u32_e32 v0, vcc, v10, v0
	v_addc_co_u32_e32 v1, vcc, v11, v1, vcc
	s_waitcnt lgkmcnt(1)
	global_store_dwordx4 v[0:1], v[2:5], off
	v_or_b32_e32 v0, 4, v12
	v_mad_u64_u32 v[0:1], s[0:1], v0, s4, 0
	v_lshlrev_b64 v[0:1], 1, v[0:1]
	v_add_co_u32_e32 v0, vcc, v10, v0
	v_addc_co_u32_e32 v1, vcc, v11, v1, vcc
	s_waitcnt lgkmcnt(0)
	global_store_dwordx4 v[0:1], v[6:9], off
.LBB597_785:
	s_endpgm
	.section	.rodata,"a",@progbits
	.p2align	6, 0x0
	.amdhsa_kernel _Z39paged_attention_ll4mi_QKV_mfma16_kernelIDF16_hLN4vllm18Fp8KVCacheDataTypeE1EDF16_Li32ELi64ELi256ELb0ELi8EL8MFMAType0EEvPKT_PKT0_S8_ifPKiSA_SA_iPKfiiiPfSD_PS3_PT2_iSC_SC_
		.amdhsa_group_segment_fixed_size 8192
		.amdhsa_private_segment_fixed_size 0
		.amdhsa_kernarg_size 400
		.amdhsa_user_sgpr_count 6
		.amdhsa_user_sgpr_private_segment_buffer 1
		.amdhsa_user_sgpr_dispatch_ptr 0
		.amdhsa_user_sgpr_queue_ptr 0
		.amdhsa_user_sgpr_kernarg_segment_ptr 1
		.amdhsa_user_sgpr_dispatch_id 0
		.amdhsa_user_sgpr_flat_scratch_init 0
		.amdhsa_user_sgpr_kernarg_preload_length 0
		.amdhsa_user_sgpr_kernarg_preload_offset 0
		.amdhsa_user_sgpr_private_segment_size 0
		.amdhsa_uses_dynamic_stack 0
		.amdhsa_system_sgpr_private_segment_wavefront_offset 0
		.amdhsa_system_sgpr_workgroup_id_x 1
		.amdhsa_system_sgpr_workgroup_id_y 1
		.amdhsa_system_sgpr_workgroup_id_z 1
		.amdhsa_system_sgpr_workgroup_info 0
		.amdhsa_system_vgpr_workitem_id 0
		.amdhsa_next_free_vgpr 62
		.amdhsa_next_free_sgpr 47
		.amdhsa_accum_offset 64
		.amdhsa_reserve_vcc 1
		.amdhsa_reserve_flat_scratch 0
		.amdhsa_float_round_mode_32 0
		.amdhsa_float_round_mode_16_64 0
		.amdhsa_float_denorm_mode_32 3
		.amdhsa_float_denorm_mode_16_64 3
		.amdhsa_dx10_clamp 1
		.amdhsa_ieee_mode 1
		.amdhsa_fp16_overflow 0
		.amdhsa_tg_split 0
		.amdhsa_exception_fp_ieee_invalid_op 0
		.amdhsa_exception_fp_denorm_src 0
		.amdhsa_exception_fp_ieee_div_zero 0
		.amdhsa_exception_fp_ieee_overflow 0
		.amdhsa_exception_fp_ieee_underflow 0
		.amdhsa_exception_fp_ieee_inexact 0
		.amdhsa_exception_int_div_zero 0
	.end_amdhsa_kernel
	.section	.text._Z39paged_attention_ll4mi_QKV_mfma16_kernelIDF16_hLN4vllm18Fp8KVCacheDataTypeE1EDF16_Li32ELi64ELi256ELb0ELi8EL8MFMAType0EEvPKT_PKT0_S8_ifPKiSA_SA_iPKfiiiPfSD_PS3_PT2_iSC_SC_,"axG",@progbits,_Z39paged_attention_ll4mi_QKV_mfma16_kernelIDF16_hLN4vllm18Fp8KVCacheDataTypeE1EDF16_Li32ELi64ELi256ELb0ELi8EL8MFMAType0EEvPKT_PKT0_S8_ifPKiSA_SA_iPKfiiiPfSD_PS3_PT2_iSC_SC_,comdat
.Lfunc_end597:
	.size	_Z39paged_attention_ll4mi_QKV_mfma16_kernelIDF16_hLN4vllm18Fp8KVCacheDataTypeE1EDF16_Li32ELi64ELi256ELb0ELi8EL8MFMAType0EEvPKT_PKT0_S8_ifPKiSA_SA_iPKfiiiPfSD_PS3_PT2_iSC_SC_, .Lfunc_end597-_Z39paged_attention_ll4mi_QKV_mfma16_kernelIDF16_hLN4vllm18Fp8KVCacheDataTypeE1EDF16_Li32ELi64ELi256ELb0ELi8EL8MFMAType0EEvPKT_PKT0_S8_ifPKiSA_SA_iPKfiiiPfSD_PS3_PT2_iSC_SC_
                                        ; -- End function
	.section	.AMDGPU.csdata,"",@progbits
; Kernel info:
; codeLenInByte = 26972
; NumSgprs: 51
; NumVgprs: 62
; NumAgprs: 0
; TotalNumVgprs: 62
; ScratchSize: 0
; MemoryBound: 0
; FloatMode: 240
; IeeeMode: 1
; LDSByteSize: 8192 bytes/workgroup (compile time only)
; SGPRBlocks: 6
; VGPRBlocks: 7
; NumSGPRsForWavesPerEU: 51
; NumVGPRsForWavesPerEU: 62
; AccumOffset: 64
; Occupancy: 8
; WaveLimiterHint : 1
; COMPUTE_PGM_RSRC2:SCRATCH_EN: 0
; COMPUTE_PGM_RSRC2:USER_SGPR: 6
; COMPUTE_PGM_RSRC2:TRAP_HANDLER: 0
; COMPUTE_PGM_RSRC2:TGID_X_EN: 1
; COMPUTE_PGM_RSRC2:TGID_Y_EN: 1
; COMPUTE_PGM_RSRC2:TGID_Z_EN: 1
; COMPUTE_PGM_RSRC2:TIDIG_COMP_CNT: 0
; COMPUTE_PGM_RSRC3_GFX90A:ACCUM_OFFSET: 15
; COMPUTE_PGM_RSRC3_GFX90A:TG_SPLIT: 0
	.section	.text._Z39paged_attention_ll4mi_QKV_mfma16_kernelIDF16_hLN4vllm18Fp8KVCacheDataTypeE1EDF16_Li32ELi64ELi256ELb0ELi9EL8MFMAType0EEvPKT_PKT0_S8_ifPKiSA_SA_iPKfiiiPfSD_PS3_PT2_iSC_SC_,"axG",@progbits,_Z39paged_attention_ll4mi_QKV_mfma16_kernelIDF16_hLN4vllm18Fp8KVCacheDataTypeE1EDF16_Li32ELi64ELi256ELb0ELi9EL8MFMAType0EEvPKT_PKT0_S8_ifPKiSA_SA_iPKfiiiPfSD_PS3_PT2_iSC_SC_,comdat
	.protected	_Z39paged_attention_ll4mi_QKV_mfma16_kernelIDF16_hLN4vllm18Fp8KVCacheDataTypeE1EDF16_Li32ELi64ELi256ELb0ELi9EL8MFMAType0EEvPKT_PKT0_S8_ifPKiSA_SA_iPKfiiiPfSD_PS3_PT2_iSC_SC_ ; -- Begin function _Z39paged_attention_ll4mi_QKV_mfma16_kernelIDF16_hLN4vllm18Fp8KVCacheDataTypeE1EDF16_Li32ELi64ELi256ELb0ELi9EL8MFMAType0EEvPKT_PKT0_S8_ifPKiSA_SA_iPKfiiiPfSD_PS3_PT2_iSC_SC_
	.globl	_Z39paged_attention_ll4mi_QKV_mfma16_kernelIDF16_hLN4vllm18Fp8KVCacheDataTypeE1EDF16_Li32ELi64ELi256ELb0ELi9EL8MFMAType0EEvPKT_PKT0_S8_ifPKiSA_SA_iPKfiiiPfSD_PS3_PT2_iSC_SC_
	.p2align	8
	.type	_Z39paged_attention_ll4mi_QKV_mfma16_kernelIDF16_hLN4vllm18Fp8KVCacheDataTypeE1EDF16_Li32ELi64ELi256ELb0ELi9EL8MFMAType0EEvPKT_PKT0_S8_ifPKiSA_SA_iPKfiiiPfSD_PS3_PT2_iSC_SC_,@function
_Z39paged_attention_ll4mi_QKV_mfma16_kernelIDF16_hLN4vllm18Fp8KVCacheDataTypeE1EDF16_Li32ELi64ELi256ELb0ELi9EL8MFMAType0EEvPKT_PKT0_S8_ifPKiSA_SA_iPKfiiiPfSD_PS3_PT2_iSC_SC_: ; @_Z39paged_attention_ll4mi_QKV_mfma16_kernelIDF16_hLN4vllm18Fp8KVCacheDataTypeE1EDF16_Li32ELi64ELi256ELb0ELi9EL8MFMAType0EEvPKT_PKT0_S8_ifPKiSA_SA_iPKfiiiPfSD_PS3_PT2_iSC_SC_
; %bb.0:
	s_load_dwordx2 s[0:1], s[4:5], 0x30
	s_mov_b32 s24, s7
	s_mov_b64 s[10:11], 0
	s_waitcnt lgkmcnt(0)
	s_cmp_lg_u64 s[0:1], 0
	s_cselect_b64 s[2:3], -1, 0
	s_and_b64 vcc, exec, s[2:3]
	s_cbranch_vccz .LBB598_7
; %bb.1:
	s_add_i32 s12, s6, 1
	s_mov_b32 s13, 0
	s_lshl_b64 s[14:15], s[12:13], 2
	s_add_u32 s14, s0, s14
	s_mov_b32 s7, s13
	s_addc_u32 s15, s1, s15
	s_lshl_b64 s[12:13], s[6:7], 2
	s_add_u32 s12, s0, s12
	s_addc_u32 s13, s1, s13
	s_load_dword s9, s[14:15], 0x0
	s_load_dword s16, s[12:13], 0x0
	s_waitcnt lgkmcnt(0)
	s_sub_i32 s9, s9, s16
	s_cmp_eq_u32 s9, 1
	s_cselect_b64 s[12:13], -1, 0
	s_andn2_b64 vcc, exec, s[10:11]
	s_cbranch_vccnz .LBB598_3
.LBB598_2:
	s_mov_b32 s7, 0
	s_mov_b64 s[12:13], -1
.LBB598_3:
	s_andn2_b64 vcc, exec, s[12:13]
	s_cbranch_vccnz .LBB598_786
; %bb.4:
	s_load_dwordx2 s[12:13], s[4:5], 0x28
	s_lshl_b64 s[10:11], s[6:7], 2
	s_waitcnt lgkmcnt(0)
	s_add_u32 s12, s12, s10
	s_addc_u32 s13, s13, s11
	s_load_dword s33, s[12:13], 0x0
	s_lshl_b32 s20, s24, 8
	s_waitcnt lgkmcnt(0)
	s_cmp_ge_i32 s20, s33
	s_cbranch_scc1 .LBB598_786
; %bb.5:
	s_add_i32 s14, s33, 31
	s_load_dwordx2 s[12:13], s[4:5], 0x20
	s_load_dword s9, s[4:5], 0x38
	s_ashr_i32 s15, s14, 31
	v_and_b32_e32 v1, 0xcf, v0
	s_lshr_b32 s15, s15, 27
	v_add_u32_e32 v1, s20, v1
	s_add_i32 s14, s14, s15
	v_ashrrev_i32_e32 v2, 31, v1
	s_ashr_i32 s22, s14, 5
	v_lshrrev_b32_e32 v4, 27, v2
	s_add_i32 s22, s22, -1
	v_add_u32_e32 v2, v1, v4
	s_waitcnt lgkmcnt(0)
	s_mul_i32 s14, s6, s9
	s_mov_b32 s15, 0
	v_ashrrev_i32_e32 v2, 5, v2
	v_mov_b32_e32 v5, s22
	v_cmp_gt_i32_e32 vcc, s33, v1
	s_lshl_b64 s[14:15], s[14:15], 2
	v_cndmask_b32_e32 v2, v5, v2, vcc
	s_add_u32 s9, s12, s14
	v_ashrrev_i32_e32 v3, 31, v2
	s_addc_u32 s21, s13, s15
	v_lshlrev_b64 v[2:3], 2, v[2:3]
	v_mov_b32_e32 v7, s21
	v_add_co_u32_e32 v6, vcc, s9, v2
	v_or_b32_e32 v2, 16, v1
	v_addc_co_u32_e32 v7, vcc, v7, v3, vcc
	v_add_u32_e32 v3, v2, v4
	v_ashrrev_i32_e32 v3, 5, v3
	v_cmp_gt_i32_e32 vcc, s33, v2
	v_cndmask_b32_e32 v2, v5, v3, vcc
	v_ashrrev_i32_e32 v3, 31, v2
	v_lshlrev_b64 v[2:3], 2, v[2:3]
	v_mov_b32_e32 v9, s21
	v_add_co_u32_e32 v8, vcc, s9, v2
	v_or_b32_e32 v2, 32, v1
	v_addc_co_u32_e32 v9, vcc, v9, v3, vcc
	v_add_u32_e32 v3, v2, v4
	v_ashrrev_i32_e32 v3, 5, v3
	v_cmp_gt_i32_e32 vcc, s33, v2
	v_cndmask_b32_e32 v2, v5, v3, vcc
	v_ashrrev_i32_e32 v3, 31, v2
	;; [unrolled: 10-line block ×3, first 2 shown]
	v_lshlrev_b64 v[2:3], 2, v[2:3]
	v_mov_b32_e32 v1, s21
	v_add_co_u32_e32 v12, vcc, s9, v2
	v_addc_co_u32_e32 v13, vcc, v1, v3, vcc
	global_load_dword v5, v[6:7], off
	global_load_dword v4, v[8:9], off
	;; [unrolled: 1-line block ×4, first 2 shown]
	s_load_dwordx4 s[12:15], s[4:5], 0x8
	s_andn2_b64 vcc, exec, s[2:3]
	s_cbranch_vccnz .LBB598_8
; %bb.6:
	s_add_u32 s0, s0, s10
	s_addc_u32 s1, s1, s11
	s_load_dword s10, s[0:1], 0x0
	s_branch .LBB598_9
.LBB598_7:
	s_mov_b64 s[12:13], 0
	s_branch .LBB598_2
.LBB598_8:
	s_mov_b32 s10, s6
.LBB598_9:
	s_load_dwordx4 s[16:19], s[4:5], 0x48
	v_lshrrev_b32_e32 v50, 6, v0
	v_bfe_u32 v1, v0, 4, 2
	v_lshl_or_b32 v6, v50, 2, v1
	v_and_b32_e32 v49, 15, v0
	v_lshlrev_b32_e32 v7, 3, v49
	v_cmp_gt_u32_e32 vcc, 9, v6
	v_cmp_gt_u32_e64 s[0:1], 8, v49
	s_mul_i32 s25, s8, 9
	s_and_b64 s[26:27], s[0:1], vcc
	v_lshlrev_b32_e32 v46, 1, v7
	v_lshlrev_b32_e32 v47, 4, v0
	s_and_saveexec_b64 s[2:3], s[26:27]
	s_cbranch_execz .LBB598_11
; %bb.10:
	s_load_dwordx2 s[26:27], s[4:5], 0x0
	s_waitcnt lgkmcnt(0)
	s_ashr_i32 s11, s16, 31
	s_mul_hi_u32 s19, s10, s16
	s_mul_i32 s11, s10, s11
	s_add_i32 s11, s19, s11
	s_mul_i32 s10, s10, s16
	s_lshl_b64 s[10:11], s[10:11], 1
	v_add_lshl_u32 v8, v6, s25, 6
	s_add_u32 s10, s26, s10
	v_ashrrev_i32_e32 v9, 31, v8
	s_addc_u32 s11, s27, s11
	v_lshlrev_b64 v[8:9], 1, v[8:9]
	v_mov_b32_e32 v7, s11
	v_add_co_u32_e32 v8, vcc, s10, v8
	v_addc_co_u32_e32 v7, vcc, v7, v9, vcc
	v_add_co_u32_e32 v8, vcc, v8, v46
	v_addc_co_u32_e32 v9, vcc, 0, v7, vcc
	global_load_dwordx4 v[8:11], v[8:9], off
	v_lshlrev_b32_e32 v12, 8, v49
	v_lshlrev_b32_e32 v6, 5, v6
	v_and_b32_e32 v7, 16, v47
	v_and_b32_e32 v12, 0xe00, v12
	v_or3_b32 v6, v12, v6, v7
	s_waitcnt vmcnt(0)
	ds_write_b128 v6, v[8:11]
.LBB598_11:
	s_or_b64 exec, exec, s[2:3]
	s_waitcnt lgkmcnt(0)
	s_mul_i32 s8, s8, s18
	s_add_u32 s2, s12, s8
	s_addc_u32 s3, s13, 0
	v_and_b32_e32 v12, 48, v0
	s_ashr_i32 s10, s20, 31
	v_or_b32_e32 v13, s20, v12
	s_lshr_b32 s10, s10, 27
	v_add_u32_e32 v6, s10, v13
	v_ashrrev_i32_e32 v6, 5, v6
	v_mov_b32_e32 v14, s22
	v_cmp_gt_i32_e32 vcc, s33, v13
	v_cndmask_b32_e32 v6, v14, v6, vcc
	v_ashrrev_i32_e32 v7, 31, v6
	v_lshlrev_b64 v[6:7], 2, v[6:7]
	v_mov_b32_e32 v8, s21
	v_add_co_u32_e32 v6, vcc, s9, v6
	v_addc_co_u32_e32 v7, vcc, v8, v7, vcc
	v_or_b32_e32 v8, 64, v13
	v_add_u32_e32 v9, s10, v8
	v_ashrrev_i32_e32 v9, 5, v9
	v_cmp_gt_i32_e32 vcc, s33, v8
	v_cndmask_b32_e32 v8, v14, v9, vcc
	v_ashrrev_i32_e32 v9, 31, v8
	v_lshlrev_b64 v[8:9], 2, v[8:9]
	v_mov_b32_e32 v10, s21
	v_add_co_u32_e32 v8, vcc, s9, v8
	v_addc_co_u32_e32 v9, vcc, v10, v9, vcc
	v_or_b32_e32 v10, 0x80, v13
	v_add_u32_e32 v11, s10, v10
	v_ashrrev_i32_e32 v11, 5, v11
	v_cmp_gt_i32_e32 vcc, s33, v10
	v_cndmask_b32_e32 v10, v14, v11, vcc
	v_ashrrev_i32_e32 v11, 31, v10
	v_lshlrev_b64 v[10:11], 2, v[10:11]
	v_mov_b32_e32 v15, s21
	v_add_co_u32_e32 v10, vcc, s9, v10
	s_load_dwordx2 s[44:45], s[4:5], 0x94
	s_load_dwordx4 s[40:43], s[4:5], 0x80
	s_waitcnt lgkmcnt(0)
	s_barrier
	v_addc_co_u32_e32 v11, vcc, v15, v11, vcc
	global_load_dword v15, v[6:7], off
	global_load_dword v16, v[8:9], off
	global_load_dword v18, v[10:11], off
	v_or_b32_e32 v6, 0xc0, v13
	v_add_u32_e32 v7, s10, v6
	v_ashrrev_i32_e32 v7, 5, v7
	v_cmp_gt_i32_e32 vcc, s33, v6
	v_cndmask_b32_e32 v6, v14, v7, vcc
	v_ashrrev_i32_e32 v7, 31, v6
	v_lshlrev_b64 v[6:7], 2, v[6:7]
	v_mov_b32_e32 v8, s21
	v_add_co_u32_e32 v6, vcc, s9, v6
	v_addc_co_u32_e32 v7, vcc, v8, v7, vcc
	global_load_dword v20, v[6:7], off
	v_pk_mov_b32 v[6:7], s[2:3], s[2:3] op_sel:[0,1]
	s_waitcnt vmcnt(7)
	v_mad_i64_i32 v[8:9], s[2:3], v5, s17, v[6:7]
	v_lshlrev_b32_e32 v11, 4, v49
	v_add_co_u32_e32 v5, vcc, v8, v11
	v_lshlrev_b32_e32 v10, 5, v12
	v_addc_co_u32_e32 v9, vcc, 0, v9, vcc
	v_add_co_u32_e32 v8, vcc, v5, v10
	v_addc_co_u32_e32 v9, vcc, 0, v9, vcc
	s_waitcnt vmcnt(6)
	v_mad_i64_i32 v[4:5], s[2:3], v4, s17, v[6:7]
	v_or_b32_e32 v12, 0x100, v11
	v_add_co_u32_e32 v4, vcc, v4, v12
	v_addc_co_u32_e32 v5, vcc, 0, v5, vcc
	v_add_co_u32_e32 v4, vcc, v4, v10
	v_addc_co_u32_e32 v5, vcc, 0, v5, vcc
	global_load_dwordx4 v[30:33], v[8:9], off
	global_load_dwordx4 v[38:41], v[4:5], off
	s_waitcnt vmcnt(7)
	v_mad_i64_i32 v[4:5], s[2:3], v3, s17, v[6:7]
	v_add_co_u32_e32 v3, vcc, v4, v11
	v_addc_co_u32_e32 v5, vcc, 0, v5, vcc
	v_add_co_u32_e32 v4, vcc, v3, v10
	v_addc_co_u32_e32 v5, vcc, 0, v5, vcc
	s_waitcnt vmcnt(6)
	v_mad_i64_i32 v[2:3], s[2:3], v2, s17, v[6:7]
	v_add_co_u32_e32 v2, vcc, v2, v12
	v_addc_co_u32_e32 v3, vcc, 0, v3, vcc
	v_add_co_u32_e32 v2, vcc, v2, v10
	s_add_u32 s2, s14, s8
	v_addc_co_u32_e32 v3, vcc, 0, v3, vcc
	global_load_dwordx4 v[34:37], v[4:5], off
	global_load_dwordx4 v[22:25], v[2:3], off
	s_addc_u32 s3, s15, 0
	v_and_b32_e32 v2, 16, v0
	v_mov_b32_e32 v3, s3
	v_add_co_u32_e32 v2, vcc, s2, v2
	v_lshlrev_b32_e32 v48, 5, v49
	v_addc_co_u32_e32 v3, vcc, 0, v3, vcc
	v_lshl_or_b32 v4, v50, 9, v48
	v_add_co_u32_e32 v2, vcc, v2, v4
	v_addc_co_u32_e32 v3, vcc, 0, v3, vcc
	v_cmp_gt_u32_e32 vcc, 9, v49
	v_mov_b32_e32 v43, 0
	s_movk_i32 s8, 0x80
	v_mov_b32_e32 v44, 0
	s_waitcnt vmcnt(7)
	v_mad_i64_i32 v[4:5], s[2:3], v15, s17, v[2:3]
	s_waitcnt vmcnt(6)
	v_mad_i64_i32 v[6:7], s[2:3], v16, s17, v[2:3]
	;; [unrolled: 2-line block ×3, first 2 shown]
	global_load_dwordx4 v[14:17], v[4:5], off
	global_load_dwordx4 v[10:13], v[6:7], off
	s_waitcnt vmcnt(6)
	v_mad_i64_i32 v[20:21], s[2:3], v20, s17, v[2:3]
	global_load_dwordx4 v[6:9], v[18:19], off
	global_load_dwordx4 v[2:5], v[20:21], off
	v_add_u32_e32 v18, -9, v49
	v_cndmask_b32_e32 v18, v18, v49, vcc
	v_lshlrev_b32_e32 v18, 5, v18
	v_lshl_add_u32 v18, v1, 9, v18
	ds_read_b128 v[26:29], v18
	ds_read_b128 v[18:21], v18 offset:16
	s_load_dword s12, s[40:41], 0x0
	s_waitcnt vmcnt(7)
	v_cmp_ne_u16_sdwa s[10:11], v30, v43 src0_sel:BYTE_0 src1_sel:DWORD
	s_and_saveexec_b64 s[2:3], s[10:11]
	s_cbranch_execz .LBB598_17
; %bb.12:
	v_cmp_ne_u16_sdwa s[10:11], v30, s8 src0_sel:BYTE_0 src1_sel:DWORD
	v_bfrev_b32_e32 v44, 1
	s_and_saveexec_b64 s[8:9], s[10:11]
	s_cbranch_execz .LBB598_16
; %bb.13:
	s_movk_i32 s10, 0x7f
	v_and_b32_e32 v42, 0x7f, v30
	v_cmp_ne_u32_e32 vcc, s10, v42
	v_mov_b32_e32 v44, 0x7f800001
	s_and_saveexec_b64 s[10:11], vcc
	s_cbranch_execz .LBB598_15
; %bb.14:
	v_and_b32_e32 v51, 7, v30
	v_ffbh_u32_e32 v44, v51
	v_min_u32_e32 v53, 32, v44
	v_subrev_u32_e32 v44, 28, v53
	v_lshlrev_b64 v[44:45], v44, v[30:31]
	v_lshrrev_b32_e32 v52, 3, v42
	v_sub_u32_e32 v45, 29, v53
	v_and_b32_e32 v44, 7, v44
	v_cmp_gt_u32_e32 vcc, 8, v42
	v_cndmask_b32_e32 v42, v52, v45, vcc
	v_cndmask_b32_e32 v44, v51, v44, vcc
	v_lshlrev_b32_e32 v45, 24, v30
	v_bfrev_b32_e32 v51, 60
	v_lshlrev_b32_e32 v44, 20, v44
	v_and_b32_e32 v45, 0x80000000, v45
	v_lshl_add_u32 v42, v42, 23, v51
	v_or3_b32 v44, v45, v42, v44
.LBB598_15:
	s_or_b64 exec, exec, s[10:11]
.LBB598_16:
	s_or_b64 exec, exec, s[8:9]
.LBB598_17:
	s_or_b64 exec, exec, s[2:3]
	v_lshrrev_b16_e32 v42, 8, v30
	v_cmp_ne_u16_e32 vcc, 0, v42
	s_and_saveexec_b64 s[2:3], vcc
	s_cbranch_execz .LBB598_23
; %bb.18:
	s_movk_i32 s8, 0x80
	v_cmp_ne_u16_e32 vcc, s8, v42
	v_bfrev_b32_e32 v43, 1
	s_and_saveexec_b64 s[8:9], vcc
	s_cbranch_execz .LBB598_22
; %bb.19:
	s_movk_i32 s10, 0x7f
	v_and_b32_e32 v45, 0x7f, v42
	v_cmp_ne_u32_e32 vcc, s10, v45
	v_mov_b32_e32 v43, 0x7f800001
	s_and_saveexec_b64 s[10:11], vcc
	s_cbranch_execz .LBB598_21
; %bb.20:
	v_and_b32_e32 v51, 7, v42
	v_ffbh_u32_e32 v43, v51
	v_min_u32_e32 v53, 32, v43
	v_subrev_u32_e32 v43, 28, v53
	v_lshlrev_b64 v[42:43], v43, v[42:43]
	v_lshrrev_b32_e32 v52, 3, v45
	v_sub_u32_e32 v43, 29, v53
	v_and_b32_e32 v42, 7, v42
	v_cmp_gt_u32_e32 vcc, 8, v45
	v_cndmask_b32_e32 v43, v52, v43, vcc
	v_cndmask_b32_e32 v42, v51, v42, vcc
	v_lshlrev_b32_e32 v45, 16, v30
	v_bfrev_b32_e32 v51, 60
	v_lshlrev_b32_e32 v42, 20, v42
	v_and_b32_e32 v45, 0x80000000, v45
	v_lshl_add_u32 v43, v43, 23, v51
	v_or3_b32 v43, v45, v43, v42
.LBB598_21:
	s_or_b64 exec, exec, s[10:11]
.LBB598_22:
	s_or_b64 exec, exec, s[8:9]
.LBB598_23:
	s_or_b64 exec, exec, s[2:3]
	s_movk_i32 s2, 0xff
	v_and_b32_sdwa v52, v30, s2 dst_sel:DWORD dst_unused:UNUSED_PAD src0_sel:WORD_1 src1_sel:DWORD
	v_lshrrev_b32_e32 v42, 16, v30
	v_cmp_ne_u16_e32 vcc, 0, v52
	v_mov_b32_e32 v45, 0
	v_mov_b32_e32 v51, 0
	s_and_saveexec_b64 s[2:3], vcc
	s_cbranch_execz .LBB598_29
; %bb.24:
	s_movk_i32 s8, 0x80
	v_cmp_ne_u16_e32 vcc, s8, v52
	v_bfrev_b32_e32 v51, 1
	s_and_saveexec_b64 s[8:9], vcc
	s_cbranch_execz .LBB598_28
; %bb.25:
	v_bfe_u32 v52, v30, 16, 7
	s_movk_i32 s10, 0x7f
	v_cmp_ne_u32_e32 vcc, s10, v52
	v_mov_b32_e32 v51, 0x7f800001
	s_and_saveexec_b64 s[10:11], vcc
	s_cbranch_execz .LBB598_27
; %bb.26:
	v_and_b32_e32 v51, 7, v42
	v_ffbh_u32_e32 v54, v51
	v_min_u32_e32 v56, 32, v54
	v_subrev_u32_e32 v54, 28, v56
	v_lshlrev_b64 v[54:55], v54, v[42:43]
	v_lshrrev_b32_e32 v53, 3, v52
	v_sub_u32_e32 v42, 29, v56
	v_and_b32_e32 v54, 7, v54
	v_cmp_gt_u32_e32 vcc, 8, v52
	v_mov_b32_e32 v52, 24
	v_cndmask_b32_e32 v42, v53, v42, vcc
	v_cndmask_b32_e32 v51, v51, v54, vcc
	v_lshlrev_b32_sdwa v52, v52, v30 dst_sel:DWORD dst_unused:UNUSED_PAD src0_sel:DWORD src1_sel:WORD_1
	v_bfrev_b32_e32 v53, 60
	v_lshlrev_b32_e32 v51, 20, v51
	v_and_b32_e32 v52, 0x80000000, v52
	v_lshl_add_u32 v42, v42, 23, v53
	v_or3_b32 v51, v52, v42, v51
.LBB598_27:
	s_or_b64 exec, exec, s[10:11]
.LBB598_28:
	s_or_b64 exec, exec, s[8:9]
.LBB598_29:
	s_or_b64 exec, exec, s[2:3]
	s_mov_b32 s2, 0xffffff
	v_cmp_lt_u32_e32 vcc, s2, v30
	s_and_saveexec_b64 s[2:3], vcc
	s_cbranch_execz .LBB598_35
; %bb.30:
	v_lshrrev_b32_e32 v42, 24, v30
	s_movk_i32 s8, 0x80
	v_cmp_ne_u32_e32 vcc, s8, v42
	v_bfrev_b32_e32 v45, 1
	s_and_saveexec_b64 s[8:9], vcc
	s_cbranch_execz .LBB598_34
; %bb.31:
	v_bfe_u32 v30, v30, 24, 7
	s_movk_i32 s10, 0x7f
	v_cmp_ne_u32_e32 vcc, s10, v30
	v_mov_b32_e32 v45, 0x7f800001
	s_and_saveexec_b64 s[10:11], vcc
	s_cbranch_execz .LBB598_33
; %bb.32:
	v_and_b32_e32 v45, 7, v42
	v_ffbh_u32_e32 v52, v45
	v_min_u32_e32 v55, 32, v52
	v_subrev_u32_e32 v52, 28, v55
	v_lshlrev_b64 v[52:53], v52, v[42:43]
	v_lshrrev_b32_e32 v54, 3, v30
	v_sub_u32_e32 v53, 29, v55
	v_and_b32_e32 v52, 7, v52
	v_cmp_gt_u32_e32 vcc, 8, v30
	v_cndmask_b32_e32 v30, v54, v53, vcc
	v_cndmask_b32_e32 v45, v45, v52, vcc
	v_lshlrev_b32_e32 v42, 24, v42
	v_bfrev_b32_e32 v52, 60
	v_lshlrev_b32_e32 v45, 20, v45
	v_and_b32_e32 v42, 0x80000000, v42
	v_lshl_add_u32 v30, v30, 23, v52
	v_or3_b32 v45, v42, v30, v45
.LBB598_33:
	s_or_b64 exec, exec, s[10:11]
.LBB598_34:
	s_or_b64 exec, exec, s[8:9]
.LBB598_35:
	s_or_b64 exec, exec, s[2:3]
	v_mov_b32_e32 v42, 0
	v_cmp_ne_u16_sdwa s[8:9], v31, v42 src0_sel:BYTE_0 src1_sel:DWORD
	v_mov_b32_e32 v52, 0
	s_and_saveexec_b64 s[2:3], s[8:9]
	s_cbranch_execz .LBB598_41
; %bb.36:
	s_movk_i32 s8, 0x80
	v_cmp_ne_u16_sdwa s[10:11], v31, s8 src0_sel:BYTE_0 src1_sel:DWORD
	v_bfrev_b32_e32 v52, 1
	s_and_saveexec_b64 s[8:9], s[10:11]
	s_cbranch_execz .LBB598_40
; %bb.37:
	s_movk_i32 s10, 0x7f
	v_and_b32_e32 v30, 0x7f, v31
	v_cmp_ne_u32_e32 vcc, s10, v30
	v_mov_b32_e32 v52, 0x7f800001
	s_and_saveexec_b64 s[10:11], vcc
	s_cbranch_execz .LBB598_39
; %bb.38:
	v_and_b32_e32 v54, 7, v31
	v_ffbh_u32_e32 v53, v54
	v_min_u32_e32 v56, 32, v53
	v_mov_b32_e32 v52, v31
	v_subrev_u32_e32 v53, 28, v56
	v_lshlrev_b64 v[52:53], v53, v[52:53]
	v_lshrrev_b32_e32 v55, 3, v30
	v_sub_u32_e32 v53, 29, v56
	v_and_b32_e32 v52, 7, v52
	v_cmp_gt_u32_e32 vcc, 8, v30
	v_cndmask_b32_e32 v30, v55, v53, vcc
	v_cndmask_b32_e32 v52, v54, v52, vcc
	v_lshlrev_b32_e32 v53, 24, v31
	v_bfrev_b32_e32 v54, 60
	v_lshlrev_b32_e32 v52, 20, v52
	v_and_b32_e32 v53, 0x80000000, v53
	v_lshl_add_u32 v30, v30, 23, v54
	v_or3_b32 v52, v53, v30, v52
.LBB598_39:
	s_or_b64 exec, exec, s[10:11]
.LBB598_40:
	s_or_b64 exec, exec, s[8:9]
.LBB598_41:
	s_or_b64 exec, exec, s[2:3]
	v_lshrrev_b16_e32 v30, 8, v31
	v_cmp_ne_u16_e32 vcc, 0, v30
	s_and_saveexec_b64 s[2:3], vcc
	s_cbranch_execz .LBB598_47
; %bb.42:
	s_movk_i32 s8, 0x80
	v_cmp_ne_u16_e32 vcc, s8, v30
	v_bfrev_b32_e32 v42, 1
	s_and_saveexec_b64 s[8:9], vcc
	s_cbranch_execz .LBB598_46
; %bb.43:
	s_movk_i32 s10, 0x7f
	v_and_b32_e32 v53, 0x7f, v30
	v_cmp_ne_u32_e32 vcc, s10, v53
	v_mov_b32_e32 v42, 0x7f800001
	s_and_saveexec_b64 s[10:11], vcc
	s_cbranch_execz .LBB598_45
; %bb.44:
	v_and_b32_e32 v42, 7, v30
	v_ffbh_u32_e32 v54, v42
	v_min_u32_e32 v57, 32, v54
	v_subrev_u32_e32 v54, 28, v57
	v_lshlrev_b64 v[54:55], v54, v[30:31]
	v_lshrrev_b32_e32 v56, 3, v53
	v_sub_u32_e32 v30, 29, v57
	v_and_b32_e32 v54, 7, v54
	v_cmp_gt_u32_e32 vcc, 8, v53
	v_cndmask_b32_e32 v30, v56, v30, vcc
	v_cndmask_b32_e32 v42, v42, v54, vcc
	v_lshlrev_b32_e32 v53, 16, v31
	v_bfrev_b32_e32 v54, 60
	v_lshlrev_b32_e32 v42, 20, v42
	v_and_b32_e32 v53, 0x80000000, v53
	v_lshl_add_u32 v30, v30, 23, v54
	v_or3_b32 v42, v53, v30, v42
.LBB598_45:
	s_or_b64 exec, exec, s[10:11]
.LBB598_46:
	s_or_b64 exec, exec, s[8:9]
.LBB598_47:
	s_or_b64 exec, exec, s[2:3]
	s_movk_i32 s2, 0xff
	v_and_b32_sdwa v55, v31, s2 dst_sel:DWORD dst_unused:UNUSED_PAD src0_sel:WORD_1 src1_sel:DWORD
	v_lshrrev_b32_e32 v30, 16, v31
	v_cmp_ne_u16_e32 vcc, 0, v55
	v_mov_b32_e32 v53, 0
	v_mov_b32_e32 v54, 0
	s_and_saveexec_b64 s[2:3], vcc
	s_cbranch_execz .LBB598_53
; %bb.48:
	s_movk_i32 s8, 0x80
	v_cmp_ne_u16_e32 vcc, s8, v55
	v_bfrev_b32_e32 v54, 1
	s_and_saveexec_b64 s[8:9], vcc
	s_cbranch_execz .LBB598_52
; %bb.49:
	v_bfe_u32 v55, v31, 16, 7
	s_movk_i32 s10, 0x7f
	v_cmp_ne_u32_e32 vcc, s10, v55
	v_mov_b32_e32 v54, 0x7f800001
	s_and_saveexec_b64 s[10:11], vcc
	s_cbranch_execz .LBB598_51
; %bb.50:
	v_and_b32_e32 v54, 7, v30
	v_ffbh_u32_e32 v56, v54
	v_min_u32_e32 v59, 32, v56
	v_subrev_u32_e32 v56, 28, v59
	v_lshlrev_b64 v[56:57], v56, v[30:31]
	v_lshrrev_b32_e32 v58, 3, v55
	v_sub_u32_e32 v30, 29, v59
	v_and_b32_e32 v56, 7, v56
	v_cmp_gt_u32_e32 vcc, 8, v55
	v_mov_b32_e32 v55, 24
	v_cndmask_b32_e32 v30, v58, v30, vcc
	v_cndmask_b32_e32 v54, v54, v56, vcc
	v_lshlrev_b32_sdwa v55, v55, v31 dst_sel:DWORD dst_unused:UNUSED_PAD src0_sel:DWORD src1_sel:WORD_1
	v_bfrev_b32_e32 v56, 60
	v_lshlrev_b32_e32 v54, 20, v54
	v_and_b32_e32 v55, 0x80000000, v55
	v_lshl_add_u32 v30, v30, 23, v56
	v_or3_b32 v54, v55, v30, v54
.LBB598_51:
	s_or_b64 exec, exec, s[10:11]
.LBB598_52:
	s_or_b64 exec, exec, s[8:9]
.LBB598_53:
	s_or_b64 exec, exec, s[2:3]
	s_mov_b32 s2, 0xffffff
	v_cmp_lt_u32_e32 vcc, s2, v31
	s_and_saveexec_b64 s[2:3], vcc
	s_cbranch_execz .LBB598_59
; %bb.54:
	v_lshrrev_b32_e32 v30, 24, v31
	s_movk_i32 s8, 0x80
	v_cmp_ne_u32_e32 vcc, s8, v30
	v_bfrev_b32_e32 v53, 1
	s_and_saveexec_b64 s[8:9], vcc
	s_cbranch_execz .LBB598_58
; %bb.55:
	v_bfe_u32 v31, v31, 24, 7
	s_movk_i32 s10, 0x7f
	v_cmp_ne_u32_e32 vcc, s10, v31
	v_mov_b32_e32 v53, 0x7f800001
	s_and_saveexec_b64 s[10:11], vcc
	s_cbranch_execz .LBB598_57
; %bb.56:
	v_and_b32_e32 v53, 7, v30
	v_ffbh_u32_e32 v56, v53
	v_min_u32_e32 v58, 32, v56
	v_subrev_u32_e32 v56, 28, v58
	v_lshlrev_b64 v[56:57], v56, v[30:31]
	v_lshrrev_b32_e32 v55, 3, v31
	v_sub_u32_e32 v57, 29, v58
	v_and_b32_e32 v56, 7, v56
	v_cmp_gt_u32_e32 vcc, 8, v31
	v_cndmask_b32_e32 v31, v55, v57, vcc
	v_cndmask_b32_e32 v53, v53, v56, vcc
	v_lshlrev_b32_e32 v30, 24, v30
	v_bfrev_b32_e32 v55, 60
	v_lshlrev_b32_e32 v53, 20, v53
	v_and_b32_e32 v30, 0x80000000, v30
	v_lshl_add_u32 v31, v31, 23, v55
	v_or3_b32 v53, v30, v31, v53
.LBB598_57:
	s_or_b64 exec, exec, s[10:11]
.LBB598_58:
	s_or_b64 exec, exec, s[8:9]
.LBB598_59:
	s_or_b64 exec, exec, s[2:3]
	v_cvt_pkrtz_f16_f32 v30, v44, v43
	v_cvt_pkrtz_f16_f32 v31, v51, v45
	;; [unrolled: 1-line block ×4, first 2 shown]
	v_mov_b32_e32 v52, 0
	s_waitcnt lgkmcnt(0)
	v_mfma_f32_16x16x16f16 v[56:59], v[30:31], v[26:27], 0
	v_mov_b32_e32 v31, 0
	v_cmp_ne_u16_sdwa s[8:9], v32, v31 src0_sel:BYTE_0 src1_sel:DWORD
	v_mfma_f32_16x16x16f16 v[42:45], v[42:43], v[28:29], v[56:59]
	s_and_saveexec_b64 s[2:3], s[8:9]
	s_cbranch_execz .LBB598_65
; %bb.60:
	s_movk_i32 s8, 0x80
	v_cmp_ne_u16_sdwa s[10:11], v32, s8 src0_sel:BYTE_0 src1_sel:DWORD
	v_bfrev_b32_e32 v52, 1
	s_and_saveexec_b64 s[8:9], s[10:11]
	s_cbranch_execz .LBB598_64
; %bb.61:
	s_movk_i32 s10, 0x7f
	v_and_b32_e32 v30, 0x7f, v32
	v_cmp_ne_u32_e32 vcc, s10, v30
	v_mov_b32_e32 v52, 0x7f800001
	s_and_saveexec_b64 s[10:11], vcc
	s_cbranch_execz .LBB598_63
; %bb.62:
	v_and_b32_e32 v51, 7, v32
	v_ffbh_u32_e32 v52, v51
	v_min_u32_e32 v55, 32, v52
	v_subrev_u32_e32 v52, 28, v55
	v_lshlrev_b64 v[52:53], v52, v[32:33]
	v_lshrrev_b32_e32 v54, 3, v30
	v_sub_u32_e32 v53, 29, v55
	v_and_b32_e32 v52, 7, v52
	v_cmp_gt_u32_e32 vcc, 8, v30
	v_cndmask_b32_e32 v30, v54, v53, vcc
	v_cndmask_b32_e32 v51, v51, v52, vcc
	v_lshlrev_b32_e32 v52, 24, v32
	v_bfrev_b32_e32 v53, 60
	v_lshlrev_b32_e32 v51, 20, v51
	v_and_b32_e32 v52, 0x80000000, v52
	v_lshl_add_u32 v30, v30, 23, v53
	v_or3_b32 v52, v52, v30, v51
.LBB598_63:
	s_or_b64 exec, exec, s[10:11]
.LBB598_64:
	s_or_b64 exec, exec, s[8:9]
.LBB598_65:
	s_or_b64 exec, exec, s[2:3]
	v_lshrrev_b16_e32 v30, 8, v32
	v_cmp_ne_u16_e32 vcc, 0, v30
	v_mov_b32_e32 v53, 0
	s_and_saveexec_b64 s[2:3], vcc
	s_cbranch_execz .LBB598_71
; %bb.66:
	s_movk_i32 s8, 0x80
	v_cmp_ne_u16_e32 vcc, s8, v30
	v_bfrev_b32_e32 v53, 1
	s_and_saveexec_b64 s[8:9], vcc
	s_cbranch_execz .LBB598_70
; %bb.67:
	s_movk_i32 s10, 0x7f
	v_and_b32_e32 v51, 0x7f, v30
	v_cmp_ne_u32_e32 vcc, s10, v51
	v_mov_b32_e32 v53, 0x7f800001
	s_and_saveexec_b64 s[10:11], vcc
	s_cbranch_execz .LBB598_69
; %bb.68:
	v_and_b32_e32 v53, 7, v30
	v_ffbh_u32_e32 v54, v53
	v_min_u32_e32 v57, 32, v54
	v_subrev_u32_e32 v54, 28, v57
	v_lshlrev_b64 v[54:55], v54, v[30:31]
	v_lshrrev_b32_e32 v56, 3, v51
	v_sub_u32_e32 v30, 29, v57
	v_and_b32_e32 v54, 7, v54
	v_cmp_gt_u32_e32 vcc, 8, v51
	v_cndmask_b32_e32 v30, v56, v30, vcc
	v_cndmask_b32_e32 v51, v53, v54, vcc
	v_lshlrev_b32_e32 v53, 16, v32
	v_bfrev_b32_e32 v54, 60
	v_lshlrev_b32_e32 v51, 20, v51
	v_and_b32_e32 v53, 0x80000000, v53
	v_lshl_add_u32 v30, v30, 23, v54
	v_or3_b32 v53, v53, v30, v51
.LBB598_69:
	s_or_b64 exec, exec, s[10:11]
.LBB598_70:
	s_or_b64 exec, exec, s[8:9]
.LBB598_71:
	s_or_b64 exec, exec, s[2:3]
	s_movk_i32 s2, 0xff
	v_and_b32_sdwa v51, v32, s2 dst_sel:DWORD dst_unused:UNUSED_PAD src0_sel:WORD_1 src1_sel:DWORD
	v_lshrrev_b32_e32 v30, 16, v32
	v_cmp_ne_u16_e32 vcc, 0, v51
	s_and_saveexec_b64 s[2:3], vcc
	s_cbranch_execz .LBB598_77
; %bb.72:
	s_movk_i32 s8, 0x80
	v_cmp_ne_u16_e32 vcc, s8, v51
	v_bfrev_b32_e32 v31, 1
	s_and_saveexec_b64 s[8:9], vcc
	s_cbranch_execz .LBB598_76
; %bb.73:
	v_bfe_u32 v51, v32, 16, 7
	s_movk_i32 s10, 0x7f
	v_cmp_ne_u32_e32 vcc, s10, v51
	v_mov_b32_e32 v31, 0x7f800001
	s_and_saveexec_b64 s[10:11], vcc
	s_cbranch_execz .LBB598_75
; %bb.74:
	v_and_b32_e32 v54, 7, v30
	v_ffbh_u32_e32 v31, v54
	v_min_u32_e32 v56, 32, v31
	v_subrev_u32_e32 v31, 28, v56
	v_lshlrev_b64 v[30:31], v31, v[30:31]
	v_lshrrev_b32_e32 v55, 3, v51
	v_sub_u32_e32 v31, 29, v56
	v_and_b32_e32 v30, 7, v30
	v_cmp_gt_u32_e32 vcc, 8, v51
	v_mov_b32_e32 v51, 24
	v_cndmask_b32_e32 v31, v55, v31, vcc
	v_cndmask_b32_e32 v30, v54, v30, vcc
	v_lshlrev_b32_sdwa v51, v51, v32 dst_sel:DWORD dst_unused:UNUSED_PAD src0_sel:DWORD src1_sel:WORD_1
	v_bfrev_b32_e32 v54, 60
	v_lshlrev_b32_e32 v30, 20, v30
	v_and_b32_e32 v51, 0x80000000, v51
	v_lshl_add_u32 v31, v31, 23, v54
	v_or3_b32 v31, v51, v31, v30
.LBB598_75:
	s_or_b64 exec, exec, s[10:11]
.LBB598_76:
	s_or_b64 exec, exec, s[8:9]
.LBB598_77:
	s_or_b64 exec, exec, s[2:3]
	s_mov_b32 s2, 0xffffff
	v_cmp_lt_u32_e32 vcc, s2, v32
	v_mov_b32_e32 v54, 0
	v_mov_b32_e32 v55, 0
	s_and_saveexec_b64 s[2:3], vcc
	s_cbranch_execz .LBB598_83
; %bb.78:
	v_lshrrev_b32_e32 v30, 24, v32
	s_movk_i32 s8, 0x80
	v_cmp_ne_u32_e32 vcc, s8, v30
	v_bfrev_b32_e32 v55, 1
	s_and_saveexec_b64 s[8:9], vcc
	s_cbranch_execz .LBB598_82
; %bb.79:
	v_bfe_u32 v32, v32, 24, 7
	s_movk_i32 s10, 0x7f
	v_cmp_ne_u32_e32 vcc, s10, v32
	v_mov_b32_e32 v55, 0x7f800001
	s_and_saveexec_b64 s[10:11], vcc
	s_cbranch_execz .LBB598_81
; %bb.80:
	v_and_b32_e32 v51, 7, v30
	v_ffbh_u32_e32 v56, v51
	v_min_u32_e32 v58, 32, v56
	v_subrev_u32_e32 v56, 28, v58
	v_lshlrev_b64 v[56:57], v56, v[30:31]
	v_lshrrev_b32_e32 v55, 3, v32
	v_sub_u32_e32 v57, 29, v58
	v_and_b32_e32 v56, 7, v56
	v_cmp_gt_u32_e32 vcc, 8, v32
	v_cndmask_b32_e32 v32, v55, v57, vcc
	v_cndmask_b32_e32 v51, v51, v56, vcc
	v_lshlrev_b32_e32 v30, 24, v30
	v_bfrev_b32_e32 v55, 60
	v_lshlrev_b32_e32 v51, 20, v51
	v_and_b32_e32 v30, 0x80000000, v30
	v_lshl_add_u32 v32, v32, 23, v55
	v_or3_b32 v55, v30, v32, v51
.LBB598_81:
	s_or_b64 exec, exec, s[10:11]
.LBB598_82:
	s_or_b64 exec, exec, s[8:9]
.LBB598_83:
	s_or_b64 exec, exec, s[2:3]
	v_cmp_ne_u16_sdwa s[8:9], v33, v54 src0_sel:BYTE_0 src1_sel:DWORD
	s_and_saveexec_b64 s[2:3], s[8:9]
	s_cbranch_execz .LBB598_89
; %bb.84:
	s_movk_i32 s8, 0x80
	v_cmp_ne_u16_sdwa s[10:11], v33, s8 src0_sel:BYTE_0 src1_sel:DWORD
	v_bfrev_b32_e32 v54, 1
	s_and_saveexec_b64 s[8:9], s[10:11]
	s_cbranch_execz .LBB598_88
; %bb.85:
	s_movk_i32 s10, 0x7f
	v_and_b32_e32 v30, 0x7f, v33
	v_cmp_ne_u32_e32 vcc, s10, v30
	v_mov_b32_e32 v54, 0x7f800001
	s_and_saveexec_b64 s[10:11], vcc
	s_cbranch_execz .LBB598_87
; %bb.86:
	v_and_b32_e32 v51, 7, v33
	v_ffbh_u32_e32 v56, v51
	v_min_u32_e32 v58, 32, v56
	v_mov_b32_e32 v32, v33
	v_subrev_u32_e32 v56, 28, v58
	v_lshlrev_b64 v[56:57], v56, v[32:33]
	v_lshrrev_b32_e32 v54, 3, v30
	v_sub_u32_e32 v32, 29, v58
	v_and_b32_e32 v56, 7, v56
	v_cmp_gt_u32_e32 vcc, 8, v30
	v_cndmask_b32_e32 v30, v54, v32, vcc
	v_cndmask_b32_e32 v32, v51, v56, vcc
	v_lshlrev_b32_e32 v51, 24, v33
	v_bfrev_b32_e32 v54, 60
	v_lshlrev_b32_e32 v32, 20, v32
	v_and_b32_e32 v51, 0x80000000, v51
	v_lshl_add_u32 v30, v30, 23, v54
	v_or3_b32 v54, v51, v30, v32
.LBB598_87:
	s_or_b64 exec, exec, s[10:11]
.LBB598_88:
	s_or_b64 exec, exec, s[8:9]
.LBB598_89:
	s_or_b64 exec, exec, s[2:3]
	v_lshrrev_b16_e32 v30, 8, v33
	v_cmp_ne_u16_e32 vcc, 0, v30
	v_mov_b32_e32 v32, 0
	v_mov_b32_e32 v56, 0
	s_and_saveexec_b64 s[2:3], vcc
	s_cbranch_execz .LBB598_95
; %bb.90:
	s_movk_i32 s8, 0x80
	v_cmp_ne_u16_e32 vcc, s8, v30
	v_bfrev_b32_e32 v56, 1
	s_and_saveexec_b64 s[8:9], vcc
	s_cbranch_execz .LBB598_94
; %bb.91:
	s_movk_i32 s10, 0x7f
	v_and_b32_e32 v51, 0x7f, v30
	v_cmp_ne_u32_e32 vcc, s10, v51
	v_mov_b32_e32 v56, 0x7f800001
	s_and_saveexec_b64 s[10:11], vcc
	s_cbranch_execz .LBB598_93
; %bb.92:
	v_and_b32_e32 v58, 7, v30
	v_ffbh_u32_e32 v56, v58
	v_min_u32_e32 v60, 32, v56
	v_subrev_u32_e32 v56, 28, v60
	v_lshlrev_b64 v[56:57], v56, v[30:31]
	v_lshrrev_b32_e32 v59, 3, v51
	v_sub_u32_e32 v30, 29, v60
	v_and_b32_e32 v56, 7, v56
	v_cmp_gt_u32_e32 vcc, 8, v51
	v_cndmask_b32_e32 v30, v59, v30, vcc
	v_cndmask_b32_e32 v51, v58, v56, vcc
	v_lshlrev_b32_e32 v56, 16, v33
	v_bfrev_b32_e32 v57, 60
	v_lshlrev_b32_e32 v51, 20, v51
	v_and_b32_e32 v56, 0x80000000, v56
	v_lshl_add_u32 v30, v30, 23, v57
	v_or3_b32 v56, v56, v30, v51
.LBB598_93:
	s_or_b64 exec, exec, s[10:11]
.LBB598_94:
	s_or_b64 exec, exec, s[8:9]
.LBB598_95:
	s_or_b64 exec, exec, s[2:3]
	s_movk_i32 s2, 0xff
	v_and_b32_sdwa v51, v33, s2 dst_sel:DWORD dst_unused:UNUSED_PAD src0_sel:WORD_1 src1_sel:DWORD
	v_lshrrev_b32_e32 v30, 16, v33
	v_cmp_ne_u16_e32 vcc, 0, v51
	s_and_saveexec_b64 s[2:3], vcc
	s_cbranch_execz .LBB598_101
; %bb.96:
	s_movk_i32 s8, 0x80
	v_cmp_ne_u16_e32 vcc, s8, v51
	v_bfrev_b32_e32 v32, 1
	s_and_saveexec_b64 s[8:9], vcc
	s_cbranch_execz .LBB598_100
; %bb.97:
	v_bfe_u32 v51, v33, 16, 7
	s_movk_i32 s10, 0x7f
	v_cmp_ne_u32_e32 vcc, s10, v51
	v_mov_b32_e32 v32, 0x7f800001
	s_and_saveexec_b64 s[10:11], vcc
	s_cbranch_execz .LBB598_99
; %bb.98:
	v_and_b32_e32 v32, 7, v30
	v_ffbh_u32_e32 v58, v32
	v_min_u32_e32 v60, 32, v58
	v_subrev_u32_e32 v58, 28, v60
	v_lshlrev_b64 v[58:59], v58, v[30:31]
	v_lshrrev_b32_e32 v57, 3, v51
	v_sub_u32_e32 v30, 29, v60
	v_and_b32_e32 v58, 7, v58
	v_cmp_gt_u32_e32 vcc, 8, v51
	v_mov_b32_e32 v51, 24
	v_cndmask_b32_e32 v30, v57, v30, vcc
	v_cndmask_b32_e32 v32, v32, v58, vcc
	v_lshlrev_b32_sdwa v51, v51, v33 dst_sel:DWORD dst_unused:UNUSED_PAD src0_sel:DWORD src1_sel:WORD_1
	v_bfrev_b32_e32 v57, 60
	v_lshlrev_b32_e32 v32, 20, v32
	v_and_b32_e32 v51, 0x80000000, v51
	v_lshl_add_u32 v30, v30, 23, v57
	v_or3_b32 v32, v51, v30, v32
.LBB598_99:
	s_or_b64 exec, exec, s[10:11]
.LBB598_100:
	s_or_b64 exec, exec, s[8:9]
.LBB598_101:
	s_or_b64 exec, exec, s[2:3]
	s_mov_b32 s2, 0xffffff
	v_cmp_lt_u32_e32 vcc, s2, v33
	v_mov_b32_e32 v51, 0
	v_mov_b32_e32 v57, 0
	s_and_saveexec_b64 s[2:3], vcc
	s_cbranch_execz .LBB598_107
; %bb.102:
	v_lshrrev_b32_e32 v30, 24, v33
	s_movk_i32 s8, 0x80
	v_cmp_ne_u32_e32 vcc, s8, v30
	v_bfrev_b32_e32 v57, 1
	s_and_saveexec_b64 s[8:9], vcc
	s_cbranch_execz .LBB598_106
; %bb.103:
	v_bfe_u32 v33, v33, 24, 7
	s_movk_i32 s10, 0x7f
	v_cmp_ne_u32_e32 vcc, s10, v33
	v_mov_b32_e32 v57, 0x7f800001
	s_and_saveexec_b64 s[10:11], vcc
	s_cbranch_execz .LBB598_105
; %bb.104:
	v_and_b32_e32 v57, 7, v30
	v_ffbh_u32_e32 v58, v57
	v_min_u32_e32 v61, 32, v58
	v_subrev_u32_e32 v58, 28, v61
	v_lshlrev_b64 v[58:59], v58, v[30:31]
	v_lshrrev_b32_e32 v60, 3, v33
	v_sub_u32_e32 v59, 29, v61
	v_and_b32_e32 v58, 7, v58
	v_cmp_gt_u32_e32 vcc, 8, v33
	v_cndmask_b32_e32 v33, v60, v59, vcc
	v_cndmask_b32_e32 v57, v57, v58, vcc
	v_lshlrev_b32_e32 v30, 24, v30
	v_bfrev_b32_e32 v58, 60
	v_lshlrev_b32_e32 v57, 20, v57
	v_and_b32_e32 v30, 0x80000000, v30
	v_lshl_add_u32 v33, v33, 23, v58
	v_or3_b32 v57, v30, v33, v57
.LBB598_105:
	s_or_b64 exec, exec, s[10:11]
.LBB598_106:
	s_or_b64 exec, exec, s[8:9]
.LBB598_107:
	s_or_b64 exec, exec, s[2:3]
	v_cvt_pkrtz_f16_f32 v30, v52, v53
	v_cvt_pkrtz_f16_f32 v31, v31, v55
	s_waitcnt vmcnt(6)
	v_cmp_ne_u16_sdwa s[8:9], v38, v51 src0_sel:BYTE_0 src1_sel:DWORD
	v_mfma_f32_16x16x16f16 v[42:45], v[30:31], v[18:19], v[42:45]
	v_cvt_pkrtz_f16_f32 v30, v54, v56
	v_cvt_pkrtz_f16_f32 v31, v32, v57
	s_nop 1
	v_mfma_f32_16x16x16f16 v[30:33], v[30:31], v[20:21], v[42:45]
	s_and_saveexec_b64 s[2:3], s[8:9]
	s_cbranch_execz .LBB598_113
; %bb.108:
	s_movk_i32 s8, 0x80
	v_cmp_ne_u16_sdwa s[10:11], v38, s8 src0_sel:BYTE_0 src1_sel:DWORD
	v_bfrev_b32_e32 v51, 1
	s_and_saveexec_b64 s[8:9], s[10:11]
	s_cbranch_execz .LBB598_112
; %bb.109:
	s_movk_i32 s10, 0x7f
	v_and_b32_e32 v42, 0x7f, v38
	v_cmp_ne_u32_e32 vcc, s10, v42
	v_mov_b32_e32 v51, 0x7f800001
	s_and_saveexec_b64 s[10:11], vcc
	s_cbranch_execz .LBB598_111
; %bb.110:
	v_and_b32_e32 v43, 7, v38
	v_ffbh_u32_e32 v44, v43
	v_min_u32_e32 v52, 32, v44
	v_subrev_u32_e32 v44, 28, v52
	v_lshlrev_b64 v[44:45], v44, v[38:39]
	v_lshrrev_b32_e32 v51, 3, v42
	v_sub_u32_e32 v45, 29, v52
	v_and_b32_e32 v44, 7, v44
	v_cmp_gt_u32_e32 vcc, 8, v42
	v_cndmask_b32_e32 v42, v51, v45, vcc
	v_cndmask_b32_e32 v43, v43, v44, vcc
	v_lshlrev_b32_e32 v44, 24, v38
	v_bfrev_b32_e32 v45, 60
	v_lshlrev_b32_e32 v43, 20, v43
	v_and_b32_e32 v44, 0x80000000, v44
	v_lshl_add_u32 v42, v42, 23, v45
	v_or3_b32 v51, v44, v42, v43
.LBB598_111:
	s_or_b64 exec, exec, s[10:11]
.LBB598_112:
	s_or_b64 exec, exec, s[8:9]
.LBB598_113:
	s_or_b64 exec, exec, s[2:3]
	s_nop 3
	v_lshrrev_b16_e32 v42, 8, v38
	v_cmp_ne_u16_e32 vcc, 0, v42
	v_mov_b32_e32 v43, 0
	v_mov_b32_e32 v44, 0
	s_and_saveexec_b64 s[2:3], vcc
	s_cbranch_execz .LBB598_119
; %bb.114:
	s_movk_i32 s8, 0x80
	v_cmp_ne_u16_e32 vcc, s8, v42
	v_bfrev_b32_e32 v44, 1
	s_and_saveexec_b64 s[8:9], vcc
	s_cbranch_execz .LBB598_118
; %bb.115:
	s_movk_i32 s10, 0x7f
	v_and_b32_e32 v45, 0x7f, v42
	v_cmp_ne_u32_e32 vcc, s10, v45
	v_mov_b32_e32 v44, 0x7f800001
	s_and_saveexec_b64 s[10:11], vcc
	s_cbranch_execz .LBB598_117
; %bb.116:
	v_and_b32_e32 v44, 7, v42
	v_ffbh_u32_e32 v52, v44
	v_min_u32_e32 v55, 32, v52
	v_subrev_u32_e32 v52, 28, v55
	v_lshlrev_b64 v[52:53], v52, v[42:43]
	v_lshrrev_b32_e32 v54, 3, v45
	v_sub_u32_e32 v42, 29, v55
	v_and_b32_e32 v52, 7, v52
	v_cmp_gt_u32_e32 vcc, 8, v45
	v_cndmask_b32_e32 v42, v54, v42, vcc
	v_cndmask_b32_e32 v44, v44, v52, vcc
	v_lshlrev_b32_e32 v45, 16, v38
	v_bfrev_b32_e32 v52, 60
	v_lshlrev_b32_e32 v44, 20, v44
	v_and_b32_e32 v45, 0x80000000, v45
	v_lshl_add_u32 v42, v42, 23, v52
	v_or3_b32 v44, v45, v42, v44
.LBB598_117:
	s_or_b64 exec, exec, s[10:11]
.LBB598_118:
	s_or_b64 exec, exec, s[8:9]
.LBB598_119:
	s_or_b64 exec, exec, s[2:3]
	s_movk_i32 s2, 0xff
	v_and_b32_sdwa v45, v38, s2 dst_sel:DWORD dst_unused:UNUSED_PAD src0_sel:WORD_1 src1_sel:DWORD
	v_lshrrev_b32_e32 v42, 16, v38
	v_cmp_ne_u16_e32 vcc, 0, v45
	s_and_saveexec_b64 s[2:3], vcc
	s_cbranch_execz .LBB598_125
; %bb.120:
	s_movk_i32 s8, 0x80
	v_cmp_ne_u16_e32 vcc, s8, v45
	v_bfrev_b32_e32 v43, 1
	s_and_saveexec_b64 s[8:9], vcc
	s_cbranch_execz .LBB598_124
; %bb.121:
	v_bfe_u32 v45, v38, 16, 7
	s_movk_i32 s10, 0x7f
	v_cmp_ne_u32_e32 vcc, s10, v45
	v_mov_b32_e32 v43, 0x7f800001
	s_and_saveexec_b64 s[10:11], vcc
	s_cbranch_execz .LBB598_123
; %bb.122:
	v_and_b32_e32 v52, 7, v42
	v_ffbh_u32_e32 v43, v52
	v_min_u32_e32 v54, 32, v43
	v_subrev_u32_e32 v43, 28, v54
	v_lshlrev_b64 v[42:43], v43, v[42:43]
	v_lshrrev_b32_e32 v53, 3, v45
	v_sub_u32_e32 v43, 29, v54
	v_and_b32_e32 v42, 7, v42
	v_cmp_gt_u32_e32 vcc, 8, v45
	v_mov_b32_e32 v45, 24
	v_cndmask_b32_e32 v43, v53, v43, vcc
	v_cndmask_b32_e32 v42, v52, v42, vcc
	v_lshlrev_b32_sdwa v45, v45, v38 dst_sel:DWORD dst_unused:UNUSED_PAD src0_sel:DWORD src1_sel:WORD_1
	v_bfrev_b32_e32 v52, 60
	v_lshlrev_b32_e32 v42, 20, v42
	v_and_b32_e32 v45, 0x80000000, v45
	v_lshl_add_u32 v43, v43, 23, v52
	v_or3_b32 v43, v45, v43, v42
.LBB598_123:
	s_or_b64 exec, exec, s[10:11]
.LBB598_124:
	s_or_b64 exec, exec, s[8:9]
.LBB598_125:
	s_or_b64 exec, exec, s[2:3]
	s_mov_b32 s2, 0xffffff
	v_cmp_lt_u32_e32 vcc, s2, v38
	v_mov_b32_e32 v45, 0
	v_mov_b32_e32 v53, 0
	s_and_saveexec_b64 s[2:3], vcc
	s_cbranch_execz .LBB598_131
; %bb.126:
	v_lshrrev_b32_e32 v42, 24, v38
	s_movk_i32 s8, 0x80
	v_cmp_ne_u32_e32 vcc, s8, v42
	v_bfrev_b32_e32 v53, 1
	s_and_saveexec_b64 s[8:9], vcc
	s_cbranch_execz .LBB598_130
; %bb.127:
	v_bfe_u32 v38, v38, 24, 7
	s_movk_i32 s10, 0x7f
	v_cmp_ne_u32_e32 vcc, s10, v38
	v_mov_b32_e32 v53, 0x7f800001
	s_and_saveexec_b64 s[10:11], vcc
	s_cbranch_execz .LBB598_129
; %bb.128:
	v_and_b32_e32 v54, 7, v42
	v_ffbh_u32_e32 v52, v54
	v_min_u32_e32 v56, 32, v52
	v_subrev_u32_e32 v52, 28, v56
	v_lshlrev_b64 v[52:53], v52, v[42:43]
	v_lshrrev_b32_e32 v55, 3, v38
	v_sub_u32_e32 v53, 29, v56
	v_and_b32_e32 v52, 7, v52
	v_cmp_gt_u32_e32 vcc, 8, v38
	v_cndmask_b32_e32 v38, v55, v53, vcc
	v_cndmask_b32_e32 v52, v54, v52, vcc
	v_lshlrev_b32_e32 v42, 24, v42
	v_bfrev_b32_e32 v53, 60
	v_lshlrev_b32_e32 v52, 20, v52
	v_and_b32_e32 v42, 0x80000000, v42
	v_lshl_add_u32 v38, v38, 23, v53
	v_or3_b32 v53, v42, v38, v52
.LBB598_129:
	s_or_b64 exec, exec, s[10:11]
.LBB598_130:
	s_or_b64 exec, exec, s[8:9]
.LBB598_131:
	s_or_b64 exec, exec, s[2:3]
	v_cmp_ne_u16_sdwa s[8:9], v39, v45 src0_sel:BYTE_0 src1_sel:DWORD
	s_and_saveexec_b64 s[2:3], s[8:9]
	s_cbranch_execz .LBB598_137
; %bb.132:
	s_movk_i32 s8, 0x80
	v_cmp_ne_u16_sdwa s[10:11], v39, s8 src0_sel:BYTE_0 src1_sel:DWORD
	v_bfrev_b32_e32 v45, 1
	s_and_saveexec_b64 s[8:9], s[10:11]
	s_cbranch_execz .LBB598_136
; %bb.133:
	s_movk_i32 s10, 0x7f
	v_and_b32_e32 v38, 0x7f, v39
	v_cmp_ne_u32_e32 vcc, s10, v38
	v_mov_b32_e32 v45, 0x7f800001
	s_and_saveexec_b64 s[10:11], vcc
	s_cbranch_execz .LBB598_135
; %bb.134:
	v_and_b32_e32 v45, 7, v39
	v_ffbh_u32_e32 v54, v45
	v_min_u32_e32 v56, 32, v54
	v_mov_b32_e32 v42, v39
	v_subrev_u32_e32 v54, 28, v56
	v_lshlrev_b64 v[54:55], v54, v[42:43]
	v_lshrrev_b32_e32 v52, 3, v38
	v_sub_u32_e32 v42, 29, v56
	v_and_b32_e32 v54, 7, v54
	v_cmp_gt_u32_e32 vcc, 8, v38
	v_cndmask_b32_e32 v38, v52, v42, vcc
	v_cndmask_b32_e32 v42, v45, v54, vcc
	v_lshlrev_b32_e32 v45, 24, v39
	v_bfrev_b32_e32 v52, 60
	v_lshlrev_b32_e32 v42, 20, v42
	v_and_b32_e32 v45, 0x80000000, v45
	v_lshl_add_u32 v38, v38, 23, v52
	v_or3_b32 v45, v45, v38, v42
.LBB598_135:
	s_or_b64 exec, exec, s[10:11]
.LBB598_136:
	s_or_b64 exec, exec, s[8:9]
.LBB598_137:
	s_or_b64 exec, exec, s[2:3]
	v_lshrrev_b16_e32 v38, 8, v39
	v_cmp_ne_u16_e32 vcc, 0, v38
	v_mov_b32_e32 v42, 0
	v_mov_b32_e32 v54, 0
	s_and_saveexec_b64 s[2:3], vcc
	s_cbranch_execz .LBB598_143
; %bb.138:
	s_movk_i32 s8, 0x80
	v_cmp_ne_u16_e32 vcc, s8, v38
	v_bfrev_b32_e32 v54, 1
	s_and_saveexec_b64 s[8:9], vcc
	s_cbranch_execz .LBB598_142
; %bb.139:
	s_movk_i32 s10, 0x7f
	v_and_b32_e32 v52, 0x7f, v38
	v_cmp_ne_u32_e32 vcc, s10, v52
	v_mov_b32_e32 v54, 0x7f800001
	s_and_saveexec_b64 s[10:11], vcc
	s_cbranch_execz .LBB598_141
; %bb.140:
	v_and_b32_e32 v56, 7, v38
	v_ffbh_u32_e32 v54, v56
	v_min_u32_e32 v58, 32, v54
	v_subrev_u32_e32 v54, 28, v58
	v_lshlrev_b64 v[54:55], v54, v[38:39]
	v_lshrrev_b32_e32 v57, 3, v52
	v_sub_u32_e32 v38, 29, v58
	v_and_b32_e32 v54, 7, v54
	v_cmp_gt_u32_e32 vcc, 8, v52
	v_cndmask_b32_e32 v38, v57, v38, vcc
	v_cndmask_b32_e32 v52, v56, v54, vcc
	v_lshlrev_b32_e32 v54, 16, v39
	v_bfrev_b32_e32 v55, 60
	v_lshlrev_b32_e32 v52, 20, v52
	v_and_b32_e32 v54, 0x80000000, v54
	v_lshl_add_u32 v38, v38, 23, v55
	v_or3_b32 v54, v54, v38, v52
.LBB598_141:
	s_or_b64 exec, exec, s[10:11]
.LBB598_142:
	s_or_b64 exec, exec, s[8:9]
.LBB598_143:
	s_or_b64 exec, exec, s[2:3]
	s_movk_i32 s2, 0xff
	v_and_b32_sdwa v52, v39, s2 dst_sel:DWORD dst_unused:UNUSED_PAD src0_sel:WORD_1 src1_sel:DWORD
	v_lshrrev_b32_e32 v38, 16, v39
	v_cmp_ne_u16_e32 vcc, 0, v52
	s_and_saveexec_b64 s[2:3], vcc
	s_cbranch_execz .LBB598_149
; %bb.144:
	s_movk_i32 s8, 0x80
	v_cmp_ne_u16_e32 vcc, s8, v52
	v_bfrev_b32_e32 v42, 1
	s_and_saveexec_b64 s[8:9], vcc
	s_cbranch_execz .LBB598_148
; %bb.145:
	v_bfe_u32 v52, v39, 16, 7
	s_movk_i32 s10, 0x7f
	v_cmp_ne_u32_e32 vcc, s10, v52
	v_mov_b32_e32 v42, 0x7f800001
	s_and_saveexec_b64 s[10:11], vcc
	s_cbranch_execz .LBB598_147
; %bb.146:
	v_and_b32_e32 v42, 7, v38
	v_ffbh_u32_e32 v56, v42
	v_min_u32_e32 v58, 32, v56
	v_subrev_u32_e32 v56, 28, v58
	v_lshlrev_b64 v[56:57], v56, v[38:39]
	v_lshrrev_b32_e32 v55, 3, v52
	v_sub_u32_e32 v38, 29, v58
	v_and_b32_e32 v56, 7, v56
	v_cmp_gt_u32_e32 vcc, 8, v52
	v_mov_b32_e32 v52, 24
	v_cndmask_b32_e32 v38, v55, v38, vcc
	v_cndmask_b32_e32 v42, v42, v56, vcc
	v_lshlrev_b32_sdwa v52, v52, v39 dst_sel:DWORD dst_unused:UNUSED_PAD src0_sel:DWORD src1_sel:WORD_1
	v_bfrev_b32_e32 v55, 60
	v_lshlrev_b32_e32 v42, 20, v42
	v_and_b32_e32 v52, 0x80000000, v52
	v_lshl_add_u32 v38, v38, 23, v55
	v_or3_b32 v42, v52, v38, v42
.LBB598_147:
	s_or_b64 exec, exec, s[10:11]
.LBB598_148:
	s_or_b64 exec, exec, s[8:9]
.LBB598_149:
	s_or_b64 exec, exec, s[2:3]
	s_mov_b32 s2, 0xffffff
	v_cmp_lt_u32_e32 vcc, s2, v39
	v_mov_b32_e32 v52, 0
	v_mov_b32_e32 v55, 0
	s_and_saveexec_b64 s[2:3], vcc
	s_cbranch_execz .LBB598_155
; %bb.150:
	v_lshrrev_b32_e32 v38, 24, v39
	s_movk_i32 s8, 0x80
	v_cmp_ne_u32_e32 vcc, s8, v38
	v_bfrev_b32_e32 v55, 1
	s_and_saveexec_b64 s[8:9], vcc
	s_cbranch_execz .LBB598_154
; %bb.151:
	v_bfe_u32 v39, v39, 24, 7
	s_movk_i32 s10, 0x7f
	v_cmp_ne_u32_e32 vcc, s10, v39
	v_mov_b32_e32 v55, 0x7f800001
	s_and_saveexec_b64 s[10:11], vcc
	s_cbranch_execz .LBB598_153
; %bb.152:
	v_and_b32_e32 v55, 7, v38
	v_ffbh_u32_e32 v56, v55
	v_min_u32_e32 v59, 32, v56
	v_subrev_u32_e32 v56, 28, v59
	v_lshlrev_b64 v[56:57], v56, v[38:39]
	v_lshrrev_b32_e32 v58, 3, v39
	v_sub_u32_e32 v57, 29, v59
	v_and_b32_e32 v56, 7, v56
	v_cmp_gt_u32_e32 vcc, 8, v39
	v_cndmask_b32_e32 v39, v58, v57, vcc
	v_cndmask_b32_e32 v55, v55, v56, vcc
	v_lshlrev_b32_e32 v38, 24, v38
	v_bfrev_b32_e32 v56, 60
	v_lshlrev_b32_e32 v55, 20, v55
	v_and_b32_e32 v38, 0x80000000, v38
	v_lshl_add_u32 v39, v39, 23, v56
	v_or3_b32 v55, v38, v39, v55
.LBB598_153:
	s_or_b64 exec, exec, s[10:11]
.LBB598_154:
	s_or_b64 exec, exec, s[8:9]
.LBB598_155:
	s_or_b64 exec, exec, s[2:3]
	v_cvt_pkrtz_f16_f32 v38, v51, v44
	v_cvt_pkrtz_f16_f32 v39, v43, v53
	v_cmp_ne_u16_sdwa s[8:9], v40, v52 src0_sel:BYTE_0 src1_sel:DWORD
	s_nop 0
	v_mfma_f32_16x16x16f16 v[56:59], v[38:39], v[26:27], 0
	v_cvt_pkrtz_f16_f32 v38, v45, v54
	v_cvt_pkrtz_f16_f32 v39, v42, v55
	s_nop 1
	v_mfma_f32_16x16x16f16 v[42:45], v[38:39], v[28:29], v[56:59]
	s_and_saveexec_b64 s[2:3], s[8:9]
	s_cbranch_execz .LBB598_161
; %bb.156:
	s_movk_i32 s8, 0x80
	v_cmp_ne_u16_sdwa s[10:11], v40, s8 src0_sel:BYTE_0 src1_sel:DWORD
	v_bfrev_b32_e32 v52, 1
	s_and_saveexec_b64 s[8:9], s[10:11]
	s_cbranch_execz .LBB598_160
; %bb.157:
	s_movk_i32 s10, 0x7f
	v_and_b32_e32 v38, 0x7f, v40
	v_cmp_ne_u32_e32 vcc, s10, v38
	v_mov_b32_e32 v52, 0x7f800001
	s_and_saveexec_b64 s[10:11], vcc
	s_cbranch_execz .LBB598_159
; %bb.158:
	v_and_b32_e32 v39, 7, v40
	v_ffbh_u32_e32 v52, v39
	v_min_u32_e32 v54, 32, v52
	v_subrev_u32_e32 v52, 28, v54
	v_lshlrev_b64 v[52:53], v52, v[40:41]
	v_lshrrev_b32_e32 v51, 3, v38
	v_sub_u32_e32 v53, 29, v54
	v_and_b32_e32 v52, 7, v52
	v_cmp_gt_u32_e32 vcc, 8, v38
	v_cndmask_b32_e32 v38, v51, v53, vcc
	v_cndmask_b32_e32 v39, v39, v52, vcc
	v_lshlrev_b32_e32 v51, 24, v40
	v_bfrev_b32_e32 v52, 60
	v_lshlrev_b32_e32 v39, 20, v39
	v_and_b32_e32 v51, 0x80000000, v51
	v_lshl_add_u32 v38, v38, 23, v52
	v_or3_b32 v52, v51, v38, v39
.LBB598_159:
	s_or_b64 exec, exec, s[10:11]
.LBB598_160:
	s_or_b64 exec, exec, s[8:9]
.LBB598_161:
	s_or_b64 exec, exec, s[2:3]
	v_lshrrev_b16_e32 v38, 8, v40
	v_cmp_ne_u16_e32 vcc, 0, v38
	v_mov_b32_e32 v39, 0
	v_mov_b32_e32 v53, 0
	s_and_saveexec_b64 s[2:3], vcc
	s_cbranch_execz .LBB598_167
; %bb.162:
	s_movk_i32 s8, 0x80
	v_cmp_ne_u16_e32 vcc, s8, v38
	v_bfrev_b32_e32 v53, 1
	s_and_saveexec_b64 s[8:9], vcc
	s_cbranch_execz .LBB598_166
; %bb.163:
	s_movk_i32 s10, 0x7f
	v_and_b32_e32 v51, 0x7f, v38
	v_cmp_ne_u32_e32 vcc, s10, v51
	v_mov_b32_e32 v53, 0x7f800001
	s_and_saveexec_b64 s[10:11], vcc
	s_cbranch_execz .LBB598_165
; %bb.164:
	v_and_b32_e32 v53, 7, v38
	v_ffbh_u32_e32 v54, v53
	v_min_u32_e32 v57, 32, v54
	v_subrev_u32_e32 v54, 28, v57
	v_lshlrev_b64 v[54:55], v54, v[38:39]
	v_lshrrev_b32_e32 v56, 3, v51
	v_sub_u32_e32 v38, 29, v57
	v_and_b32_e32 v54, 7, v54
	v_cmp_gt_u32_e32 vcc, 8, v51
	v_cndmask_b32_e32 v38, v56, v38, vcc
	v_cndmask_b32_e32 v51, v53, v54, vcc
	v_lshlrev_b32_e32 v53, 16, v40
	v_bfrev_b32_e32 v54, 60
	v_lshlrev_b32_e32 v51, 20, v51
	v_and_b32_e32 v53, 0x80000000, v53
	v_lshl_add_u32 v38, v38, 23, v54
	v_or3_b32 v53, v53, v38, v51
.LBB598_165:
	s_or_b64 exec, exec, s[10:11]
.LBB598_166:
	s_or_b64 exec, exec, s[8:9]
.LBB598_167:
	s_or_b64 exec, exec, s[2:3]
	s_movk_i32 s2, 0xff
	v_and_b32_sdwa v51, v40, s2 dst_sel:DWORD dst_unused:UNUSED_PAD src0_sel:WORD_1 src1_sel:DWORD
	v_lshrrev_b32_e32 v38, 16, v40
	v_cmp_ne_u16_e32 vcc, 0, v51
	s_and_saveexec_b64 s[2:3], vcc
	s_cbranch_execz .LBB598_173
; %bb.168:
	s_movk_i32 s8, 0x80
	v_cmp_ne_u16_e32 vcc, s8, v51
	v_bfrev_b32_e32 v39, 1
	s_and_saveexec_b64 s[8:9], vcc
	s_cbranch_execz .LBB598_172
; %bb.169:
	v_bfe_u32 v51, v40, 16, 7
	s_movk_i32 s10, 0x7f
	v_cmp_ne_u32_e32 vcc, s10, v51
	v_mov_b32_e32 v39, 0x7f800001
	s_and_saveexec_b64 s[10:11], vcc
	s_cbranch_execz .LBB598_171
; %bb.170:
	v_and_b32_e32 v54, 7, v38
	v_ffbh_u32_e32 v39, v54
	v_min_u32_e32 v56, 32, v39
	v_subrev_u32_e32 v39, 28, v56
	v_lshlrev_b64 v[38:39], v39, v[38:39]
	v_lshrrev_b32_e32 v55, 3, v51
	v_sub_u32_e32 v39, 29, v56
	v_and_b32_e32 v38, 7, v38
	v_cmp_gt_u32_e32 vcc, 8, v51
	v_mov_b32_e32 v51, 24
	v_cndmask_b32_e32 v39, v55, v39, vcc
	v_cndmask_b32_e32 v38, v54, v38, vcc
	v_lshlrev_b32_sdwa v51, v51, v40 dst_sel:DWORD dst_unused:UNUSED_PAD src0_sel:DWORD src1_sel:WORD_1
	v_bfrev_b32_e32 v54, 60
	v_lshlrev_b32_e32 v38, 20, v38
	v_and_b32_e32 v51, 0x80000000, v51
	v_lshl_add_u32 v39, v39, 23, v54
	v_or3_b32 v39, v51, v39, v38
.LBB598_171:
	s_or_b64 exec, exec, s[10:11]
.LBB598_172:
	s_or_b64 exec, exec, s[8:9]
.LBB598_173:
	s_or_b64 exec, exec, s[2:3]
	s_mov_b32 s2, 0xffffff
	v_cmp_lt_u32_e32 vcc, s2, v40
	v_mov_b32_e32 v54, 0
	v_mov_b32_e32 v55, 0
	s_and_saveexec_b64 s[2:3], vcc
	s_cbranch_execz .LBB598_179
; %bb.174:
	v_lshrrev_b32_e32 v38, 24, v40
	s_movk_i32 s8, 0x80
	v_cmp_ne_u32_e32 vcc, s8, v38
	v_bfrev_b32_e32 v55, 1
	s_and_saveexec_b64 s[8:9], vcc
	s_cbranch_execz .LBB598_178
; %bb.175:
	v_bfe_u32 v40, v40, 24, 7
	s_movk_i32 s10, 0x7f
	v_cmp_ne_u32_e32 vcc, s10, v40
	v_mov_b32_e32 v55, 0x7f800001
	s_and_saveexec_b64 s[10:11], vcc
	s_cbranch_execz .LBB598_177
; %bb.176:
	v_and_b32_e32 v51, 7, v38
	v_ffbh_u32_e32 v56, v51
	v_min_u32_e32 v58, 32, v56
	v_subrev_u32_e32 v56, 28, v58
	v_lshlrev_b64 v[56:57], v56, v[38:39]
	v_lshrrev_b32_e32 v55, 3, v40
	v_sub_u32_e32 v57, 29, v58
	v_and_b32_e32 v56, 7, v56
	v_cmp_gt_u32_e32 vcc, 8, v40
	v_cndmask_b32_e32 v40, v55, v57, vcc
	v_cndmask_b32_e32 v51, v51, v56, vcc
	v_lshlrev_b32_e32 v38, 24, v38
	v_bfrev_b32_e32 v55, 60
	v_lshlrev_b32_e32 v51, 20, v51
	v_and_b32_e32 v38, 0x80000000, v38
	v_lshl_add_u32 v40, v40, 23, v55
	v_or3_b32 v55, v38, v40, v51
.LBB598_177:
	s_or_b64 exec, exec, s[10:11]
.LBB598_178:
	s_or_b64 exec, exec, s[8:9]
.LBB598_179:
	s_or_b64 exec, exec, s[2:3]
	v_cmp_ne_u16_sdwa s[8:9], v41, v54 src0_sel:BYTE_0 src1_sel:DWORD
	s_and_saveexec_b64 s[2:3], s[8:9]
	s_cbranch_execz .LBB598_185
; %bb.180:
	s_movk_i32 s8, 0x80
	v_cmp_ne_u16_sdwa s[10:11], v41, s8 src0_sel:BYTE_0 src1_sel:DWORD
	v_bfrev_b32_e32 v54, 1
	s_and_saveexec_b64 s[8:9], s[10:11]
	s_cbranch_execz .LBB598_184
; %bb.181:
	s_movk_i32 s10, 0x7f
	v_and_b32_e32 v38, 0x7f, v41
	v_cmp_ne_u32_e32 vcc, s10, v38
	v_mov_b32_e32 v54, 0x7f800001
	s_and_saveexec_b64 s[10:11], vcc
	s_cbranch_execz .LBB598_183
; %bb.182:
	v_and_b32_e32 v51, 7, v41
	v_ffbh_u32_e32 v56, v51
	v_min_u32_e32 v58, 32, v56
	v_mov_b32_e32 v40, v41
	v_subrev_u32_e32 v56, 28, v58
	v_lshlrev_b64 v[56:57], v56, v[40:41]
	v_lshrrev_b32_e32 v54, 3, v38
	v_sub_u32_e32 v40, 29, v58
	v_and_b32_e32 v56, 7, v56
	v_cmp_gt_u32_e32 vcc, 8, v38
	v_cndmask_b32_e32 v38, v54, v40, vcc
	v_cndmask_b32_e32 v40, v51, v56, vcc
	v_lshlrev_b32_e32 v51, 24, v41
	v_bfrev_b32_e32 v54, 60
	v_lshlrev_b32_e32 v40, 20, v40
	v_and_b32_e32 v51, 0x80000000, v51
	v_lshl_add_u32 v38, v38, 23, v54
	v_or3_b32 v54, v51, v38, v40
.LBB598_183:
	s_or_b64 exec, exec, s[10:11]
.LBB598_184:
	s_or_b64 exec, exec, s[8:9]
.LBB598_185:
	s_or_b64 exec, exec, s[2:3]
	v_lshrrev_b16_e32 v38, 8, v41
	v_cmp_ne_u16_e32 vcc, 0, v38
	v_mov_b32_e32 v40, 0
	v_mov_b32_e32 v56, 0
	s_and_saveexec_b64 s[2:3], vcc
	s_cbranch_execz .LBB598_191
; %bb.186:
	s_movk_i32 s8, 0x80
	v_cmp_ne_u16_e32 vcc, s8, v38
	v_bfrev_b32_e32 v56, 1
	s_and_saveexec_b64 s[8:9], vcc
	s_cbranch_execz .LBB598_190
; %bb.187:
	s_movk_i32 s10, 0x7f
	v_and_b32_e32 v51, 0x7f, v38
	v_cmp_ne_u32_e32 vcc, s10, v51
	v_mov_b32_e32 v56, 0x7f800001
	s_and_saveexec_b64 s[10:11], vcc
	s_cbranch_execz .LBB598_189
; %bb.188:
	v_and_b32_e32 v58, 7, v38
	v_ffbh_u32_e32 v56, v58
	v_min_u32_e32 v60, 32, v56
	v_subrev_u32_e32 v56, 28, v60
	v_lshlrev_b64 v[56:57], v56, v[38:39]
	v_lshrrev_b32_e32 v59, 3, v51
	v_sub_u32_e32 v38, 29, v60
	v_and_b32_e32 v56, 7, v56
	v_cmp_gt_u32_e32 vcc, 8, v51
	v_cndmask_b32_e32 v38, v59, v38, vcc
	v_cndmask_b32_e32 v51, v58, v56, vcc
	v_lshlrev_b32_e32 v56, 16, v41
	v_bfrev_b32_e32 v57, 60
	v_lshlrev_b32_e32 v51, 20, v51
	v_and_b32_e32 v56, 0x80000000, v56
	v_lshl_add_u32 v38, v38, 23, v57
	v_or3_b32 v56, v56, v38, v51
.LBB598_189:
	s_or_b64 exec, exec, s[10:11]
.LBB598_190:
	s_or_b64 exec, exec, s[8:9]
.LBB598_191:
	s_or_b64 exec, exec, s[2:3]
	s_movk_i32 s2, 0xff
	v_and_b32_sdwa v51, v41, s2 dst_sel:DWORD dst_unused:UNUSED_PAD src0_sel:WORD_1 src1_sel:DWORD
	v_lshrrev_b32_e32 v38, 16, v41
	v_cmp_ne_u16_e32 vcc, 0, v51
	s_and_saveexec_b64 s[2:3], vcc
	s_cbranch_execz .LBB598_197
; %bb.192:
	s_movk_i32 s8, 0x80
	v_cmp_ne_u16_e32 vcc, s8, v51
	v_bfrev_b32_e32 v40, 1
	s_and_saveexec_b64 s[8:9], vcc
	s_cbranch_execz .LBB598_196
; %bb.193:
	v_bfe_u32 v51, v41, 16, 7
	s_movk_i32 s10, 0x7f
	v_cmp_ne_u32_e32 vcc, s10, v51
	v_mov_b32_e32 v40, 0x7f800001
	s_and_saveexec_b64 s[10:11], vcc
	s_cbranch_execz .LBB598_195
; %bb.194:
	v_and_b32_e32 v40, 7, v38
	v_ffbh_u32_e32 v58, v40
	v_min_u32_e32 v60, 32, v58
	v_subrev_u32_e32 v58, 28, v60
	v_lshlrev_b64 v[58:59], v58, v[38:39]
	v_lshrrev_b32_e32 v57, 3, v51
	v_sub_u32_e32 v38, 29, v60
	v_and_b32_e32 v58, 7, v58
	v_cmp_gt_u32_e32 vcc, 8, v51
	v_mov_b32_e32 v51, 24
	v_cndmask_b32_e32 v38, v57, v38, vcc
	v_cndmask_b32_e32 v40, v40, v58, vcc
	v_lshlrev_b32_sdwa v51, v51, v41 dst_sel:DWORD dst_unused:UNUSED_PAD src0_sel:DWORD src1_sel:WORD_1
	v_bfrev_b32_e32 v57, 60
	v_lshlrev_b32_e32 v40, 20, v40
	v_and_b32_e32 v51, 0x80000000, v51
	v_lshl_add_u32 v38, v38, 23, v57
	v_or3_b32 v40, v51, v38, v40
.LBB598_195:
	s_or_b64 exec, exec, s[10:11]
.LBB598_196:
	s_or_b64 exec, exec, s[8:9]
.LBB598_197:
	s_or_b64 exec, exec, s[2:3]
	s_mov_b32 s2, 0xffffff
	v_cmp_lt_u32_e32 vcc, s2, v41
	v_mov_b32_e32 v51, 0
	v_mov_b32_e32 v57, 0
	s_and_saveexec_b64 s[2:3], vcc
	s_cbranch_execz .LBB598_203
; %bb.198:
	v_lshrrev_b32_e32 v38, 24, v41
	s_movk_i32 s8, 0x80
	v_cmp_ne_u32_e32 vcc, s8, v38
	v_bfrev_b32_e32 v57, 1
	s_and_saveexec_b64 s[8:9], vcc
	s_cbranch_execz .LBB598_202
; %bb.199:
	v_bfe_u32 v41, v41, 24, 7
	s_movk_i32 s10, 0x7f
	v_cmp_ne_u32_e32 vcc, s10, v41
	v_mov_b32_e32 v57, 0x7f800001
	s_and_saveexec_b64 s[10:11], vcc
	s_cbranch_execz .LBB598_201
; %bb.200:
	v_and_b32_e32 v57, 7, v38
	v_ffbh_u32_e32 v58, v57
	v_min_u32_e32 v61, 32, v58
	v_subrev_u32_e32 v58, 28, v61
	v_lshlrev_b64 v[58:59], v58, v[38:39]
	v_lshrrev_b32_e32 v60, 3, v41
	v_sub_u32_e32 v59, 29, v61
	v_and_b32_e32 v58, 7, v58
	v_cmp_gt_u32_e32 vcc, 8, v41
	v_cndmask_b32_e32 v41, v60, v59, vcc
	v_cndmask_b32_e32 v57, v57, v58, vcc
	v_lshlrev_b32_e32 v38, 24, v38
	v_bfrev_b32_e32 v58, 60
	v_lshlrev_b32_e32 v57, 20, v57
	v_and_b32_e32 v38, 0x80000000, v38
	v_lshl_add_u32 v41, v41, 23, v58
	v_or3_b32 v57, v38, v41, v57
.LBB598_201:
	s_or_b64 exec, exec, s[10:11]
.LBB598_202:
	s_or_b64 exec, exec, s[8:9]
.LBB598_203:
	s_or_b64 exec, exec, s[2:3]
	v_cvt_pkrtz_f16_f32 v38, v52, v53
	v_cvt_pkrtz_f16_f32 v39, v39, v55
	s_waitcnt vmcnt(5)
	v_cmp_ne_u16_sdwa s[8:9], v34, v51 src0_sel:BYTE_0 src1_sel:DWORD
	v_mfma_f32_16x16x16f16 v[42:45], v[38:39], v[18:19], v[42:45]
	v_cvt_pkrtz_f16_f32 v38, v54, v56
	v_cvt_pkrtz_f16_f32 v39, v40, v57
	s_nop 1
	v_mfma_f32_16x16x16f16 v[38:41], v[38:39], v[20:21], v[42:45]
	s_and_saveexec_b64 s[2:3], s[8:9]
	s_cbranch_execz .LBB598_209
; %bb.204:
	s_movk_i32 s8, 0x80
	v_cmp_ne_u16_sdwa s[10:11], v34, s8 src0_sel:BYTE_0 src1_sel:DWORD
	v_bfrev_b32_e32 v51, 1
	s_and_saveexec_b64 s[8:9], s[10:11]
	s_cbranch_execz .LBB598_208
; %bb.205:
	s_movk_i32 s10, 0x7f
	v_and_b32_e32 v42, 0x7f, v34
	v_cmp_ne_u32_e32 vcc, s10, v42
	v_mov_b32_e32 v51, 0x7f800001
	s_and_saveexec_b64 s[10:11], vcc
	s_cbranch_execz .LBB598_207
; %bb.206:
	v_and_b32_e32 v43, 7, v34
	v_ffbh_u32_e32 v44, v43
	v_min_u32_e32 v52, 32, v44
	v_subrev_u32_e32 v44, 28, v52
	v_lshlrev_b64 v[44:45], v44, v[34:35]
	v_lshrrev_b32_e32 v51, 3, v42
	v_sub_u32_e32 v45, 29, v52
	v_and_b32_e32 v44, 7, v44
	v_cmp_gt_u32_e32 vcc, 8, v42
	v_cndmask_b32_e32 v42, v51, v45, vcc
	v_cndmask_b32_e32 v43, v43, v44, vcc
	v_lshlrev_b32_e32 v44, 24, v34
	v_bfrev_b32_e32 v45, 60
	v_lshlrev_b32_e32 v43, 20, v43
	v_and_b32_e32 v44, 0x80000000, v44
	v_lshl_add_u32 v42, v42, 23, v45
	v_or3_b32 v51, v44, v42, v43
.LBB598_207:
	s_or_b64 exec, exec, s[10:11]
.LBB598_208:
	s_or_b64 exec, exec, s[8:9]
.LBB598_209:
	s_or_b64 exec, exec, s[2:3]
	s_nop 3
	v_lshrrev_b16_e32 v42, 8, v34
	v_cmp_ne_u16_e32 vcc, 0, v42
	v_mov_b32_e32 v43, 0
	v_mov_b32_e32 v44, 0
	s_and_saveexec_b64 s[2:3], vcc
	s_cbranch_execz .LBB598_215
; %bb.210:
	s_movk_i32 s8, 0x80
	v_cmp_ne_u16_e32 vcc, s8, v42
	v_bfrev_b32_e32 v44, 1
	s_and_saveexec_b64 s[8:9], vcc
	s_cbranch_execz .LBB598_214
; %bb.211:
	s_movk_i32 s10, 0x7f
	v_and_b32_e32 v45, 0x7f, v42
	v_cmp_ne_u32_e32 vcc, s10, v45
	v_mov_b32_e32 v44, 0x7f800001
	s_and_saveexec_b64 s[10:11], vcc
	s_cbranch_execz .LBB598_213
; %bb.212:
	v_and_b32_e32 v44, 7, v42
	v_ffbh_u32_e32 v52, v44
	v_min_u32_e32 v55, 32, v52
	v_subrev_u32_e32 v52, 28, v55
	v_lshlrev_b64 v[52:53], v52, v[42:43]
	v_lshrrev_b32_e32 v54, 3, v45
	v_sub_u32_e32 v42, 29, v55
	v_and_b32_e32 v52, 7, v52
	v_cmp_gt_u32_e32 vcc, 8, v45
	v_cndmask_b32_e32 v42, v54, v42, vcc
	v_cndmask_b32_e32 v44, v44, v52, vcc
	v_lshlrev_b32_e32 v45, 16, v34
	v_bfrev_b32_e32 v52, 60
	v_lshlrev_b32_e32 v44, 20, v44
	v_and_b32_e32 v45, 0x80000000, v45
	v_lshl_add_u32 v42, v42, 23, v52
	v_or3_b32 v44, v45, v42, v44
.LBB598_213:
	s_or_b64 exec, exec, s[10:11]
.LBB598_214:
	s_or_b64 exec, exec, s[8:9]
.LBB598_215:
	s_or_b64 exec, exec, s[2:3]
	s_movk_i32 s2, 0xff
	v_and_b32_sdwa v45, v34, s2 dst_sel:DWORD dst_unused:UNUSED_PAD src0_sel:WORD_1 src1_sel:DWORD
	v_lshrrev_b32_e32 v42, 16, v34
	v_cmp_ne_u16_e32 vcc, 0, v45
	s_and_saveexec_b64 s[2:3], vcc
	s_cbranch_execz .LBB598_221
; %bb.216:
	s_movk_i32 s8, 0x80
	v_cmp_ne_u16_e32 vcc, s8, v45
	v_bfrev_b32_e32 v43, 1
	s_and_saveexec_b64 s[8:9], vcc
	s_cbranch_execz .LBB598_220
; %bb.217:
	v_bfe_u32 v45, v34, 16, 7
	s_movk_i32 s10, 0x7f
	v_cmp_ne_u32_e32 vcc, s10, v45
	v_mov_b32_e32 v43, 0x7f800001
	s_and_saveexec_b64 s[10:11], vcc
	s_cbranch_execz .LBB598_219
; %bb.218:
	v_and_b32_e32 v52, 7, v42
	v_ffbh_u32_e32 v43, v52
	v_min_u32_e32 v54, 32, v43
	v_subrev_u32_e32 v43, 28, v54
	v_lshlrev_b64 v[42:43], v43, v[42:43]
	v_lshrrev_b32_e32 v53, 3, v45
	v_sub_u32_e32 v43, 29, v54
	v_and_b32_e32 v42, 7, v42
	v_cmp_gt_u32_e32 vcc, 8, v45
	v_mov_b32_e32 v45, 24
	v_cndmask_b32_e32 v43, v53, v43, vcc
	v_cndmask_b32_e32 v42, v52, v42, vcc
	v_lshlrev_b32_sdwa v45, v45, v34 dst_sel:DWORD dst_unused:UNUSED_PAD src0_sel:DWORD src1_sel:WORD_1
	v_bfrev_b32_e32 v52, 60
	v_lshlrev_b32_e32 v42, 20, v42
	v_and_b32_e32 v45, 0x80000000, v45
	v_lshl_add_u32 v43, v43, 23, v52
	v_or3_b32 v43, v45, v43, v42
.LBB598_219:
	s_or_b64 exec, exec, s[10:11]
.LBB598_220:
	s_or_b64 exec, exec, s[8:9]
.LBB598_221:
	s_or_b64 exec, exec, s[2:3]
	s_mov_b32 s2, 0xffffff
	v_cmp_lt_u32_e32 vcc, s2, v34
	v_mov_b32_e32 v45, 0
	v_mov_b32_e32 v53, 0
	s_and_saveexec_b64 s[2:3], vcc
	s_cbranch_execz .LBB598_227
; %bb.222:
	v_lshrrev_b32_e32 v42, 24, v34
	s_movk_i32 s8, 0x80
	v_cmp_ne_u32_e32 vcc, s8, v42
	v_bfrev_b32_e32 v53, 1
	s_and_saveexec_b64 s[8:9], vcc
	s_cbranch_execz .LBB598_226
; %bb.223:
	v_bfe_u32 v34, v34, 24, 7
	s_movk_i32 s10, 0x7f
	v_cmp_ne_u32_e32 vcc, s10, v34
	v_mov_b32_e32 v53, 0x7f800001
	s_and_saveexec_b64 s[10:11], vcc
	s_cbranch_execz .LBB598_225
; %bb.224:
	v_and_b32_e32 v54, 7, v42
	v_ffbh_u32_e32 v52, v54
	v_min_u32_e32 v56, 32, v52
	v_subrev_u32_e32 v52, 28, v56
	v_lshlrev_b64 v[52:53], v52, v[42:43]
	v_lshrrev_b32_e32 v55, 3, v34
	v_sub_u32_e32 v53, 29, v56
	v_and_b32_e32 v52, 7, v52
	v_cmp_gt_u32_e32 vcc, 8, v34
	v_cndmask_b32_e32 v34, v55, v53, vcc
	v_cndmask_b32_e32 v52, v54, v52, vcc
	v_lshlrev_b32_e32 v42, 24, v42
	v_bfrev_b32_e32 v53, 60
	v_lshlrev_b32_e32 v52, 20, v52
	v_and_b32_e32 v42, 0x80000000, v42
	v_lshl_add_u32 v34, v34, 23, v53
	v_or3_b32 v53, v42, v34, v52
.LBB598_225:
	s_or_b64 exec, exec, s[10:11]
.LBB598_226:
	s_or_b64 exec, exec, s[8:9]
.LBB598_227:
	s_or_b64 exec, exec, s[2:3]
	v_cmp_ne_u16_sdwa s[8:9], v35, v45 src0_sel:BYTE_0 src1_sel:DWORD
	s_and_saveexec_b64 s[2:3], s[8:9]
	s_cbranch_execz .LBB598_233
; %bb.228:
	s_movk_i32 s8, 0x80
	v_cmp_ne_u16_sdwa s[10:11], v35, s8 src0_sel:BYTE_0 src1_sel:DWORD
	v_bfrev_b32_e32 v45, 1
	s_and_saveexec_b64 s[8:9], s[10:11]
	s_cbranch_execz .LBB598_232
; %bb.229:
	s_movk_i32 s10, 0x7f
	v_and_b32_e32 v34, 0x7f, v35
	v_cmp_ne_u32_e32 vcc, s10, v34
	v_mov_b32_e32 v45, 0x7f800001
	s_and_saveexec_b64 s[10:11], vcc
	s_cbranch_execz .LBB598_231
; %bb.230:
	v_and_b32_e32 v45, 7, v35
	v_ffbh_u32_e32 v54, v45
	v_min_u32_e32 v56, 32, v54
	v_mov_b32_e32 v42, v35
	v_subrev_u32_e32 v54, 28, v56
	v_lshlrev_b64 v[54:55], v54, v[42:43]
	v_lshrrev_b32_e32 v52, 3, v34
	v_sub_u32_e32 v42, 29, v56
	v_and_b32_e32 v54, 7, v54
	v_cmp_gt_u32_e32 vcc, 8, v34
	v_cndmask_b32_e32 v34, v52, v42, vcc
	v_cndmask_b32_e32 v42, v45, v54, vcc
	v_lshlrev_b32_e32 v45, 24, v35
	v_bfrev_b32_e32 v52, 60
	v_lshlrev_b32_e32 v42, 20, v42
	v_and_b32_e32 v45, 0x80000000, v45
	v_lshl_add_u32 v34, v34, 23, v52
	v_or3_b32 v45, v45, v34, v42
.LBB598_231:
	s_or_b64 exec, exec, s[10:11]
.LBB598_232:
	s_or_b64 exec, exec, s[8:9]
.LBB598_233:
	s_or_b64 exec, exec, s[2:3]
	v_lshrrev_b16_e32 v34, 8, v35
	v_cmp_ne_u16_e32 vcc, 0, v34
	v_mov_b32_e32 v42, 0
	v_mov_b32_e32 v54, 0
	s_and_saveexec_b64 s[2:3], vcc
	s_cbranch_execz .LBB598_239
; %bb.234:
	s_movk_i32 s8, 0x80
	v_cmp_ne_u16_e32 vcc, s8, v34
	v_bfrev_b32_e32 v54, 1
	s_and_saveexec_b64 s[8:9], vcc
	s_cbranch_execz .LBB598_238
; %bb.235:
	s_movk_i32 s10, 0x7f
	v_and_b32_e32 v52, 0x7f, v34
	v_cmp_ne_u32_e32 vcc, s10, v52
	v_mov_b32_e32 v54, 0x7f800001
	s_and_saveexec_b64 s[10:11], vcc
	s_cbranch_execz .LBB598_237
; %bb.236:
	v_and_b32_e32 v56, 7, v34
	v_ffbh_u32_e32 v54, v56
	v_min_u32_e32 v58, 32, v54
	v_subrev_u32_e32 v54, 28, v58
	v_lshlrev_b64 v[54:55], v54, v[34:35]
	v_lshrrev_b32_e32 v57, 3, v52
	v_sub_u32_e32 v34, 29, v58
	v_and_b32_e32 v54, 7, v54
	v_cmp_gt_u32_e32 vcc, 8, v52
	v_cndmask_b32_e32 v34, v57, v34, vcc
	v_cndmask_b32_e32 v52, v56, v54, vcc
	v_lshlrev_b32_e32 v54, 16, v35
	v_bfrev_b32_e32 v55, 60
	v_lshlrev_b32_e32 v52, 20, v52
	v_and_b32_e32 v54, 0x80000000, v54
	v_lshl_add_u32 v34, v34, 23, v55
	v_or3_b32 v54, v54, v34, v52
.LBB598_237:
	s_or_b64 exec, exec, s[10:11]
.LBB598_238:
	s_or_b64 exec, exec, s[8:9]
.LBB598_239:
	s_or_b64 exec, exec, s[2:3]
	s_movk_i32 s2, 0xff
	v_and_b32_sdwa v52, v35, s2 dst_sel:DWORD dst_unused:UNUSED_PAD src0_sel:WORD_1 src1_sel:DWORD
	v_lshrrev_b32_e32 v34, 16, v35
	v_cmp_ne_u16_e32 vcc, 0, v52
	s_and_saveexec_b64 s[2:3], vcc
	s_cbranch_execz .LBB598_245
; %bb.240:
	s_movk_i32 s8, 0x80
	v_cmp_ne_u16_e32 vcc, s8, v52
	v_bfrev_b32_e32 v42, 1
	s_and_saveexec_b64 s[8:9], vcc
	s_cbranch_execz .LBB598_244
; %bb.241:
	v_bfe_u32 v52, v35, 16, 7
	s_movk_i32 s10, 0x7f
	v_cmp_ne_u32_e32 vcc, s10, v52
	v_mov_b32_e32 v42, 0x7f800001
	s_and_saveexec_b64 s[10:11], vcc
	s_cbranch_execz .LBB598_243
; %bb.242:
	v_and_b32_e32 v42, 7, v34
	v_ffbh_u32_e32 v56, v42
	v_min_u32_e32 v58, 32, v56
	v_subrev_u32_e32 v56, 28, v58
	v_lshlrev_b64 v[56:57], v56, v[34:35]
	v_lshrrev_b32_e32 v55, 3, v52
	v_sub_u32_e32 v34, 29, v58
	v_and_b32_e32 v56, 7, v56
	v_cmp_gt_u32_e32 vcc, 8, v52
	v_mov_b32_e32 v52, 24
	v_cndmask_b32_e32 v34, v55, v34, vcc
	v_cndmask_b32_e32 v42, v42, v56, vcc
	v_lshlrev_b32_sdwa v52, v52, v35 dst_sel:DWORD dst_unused:UNUSED_PAD src0_sel:DWORD src1_sel:WORD_1
	v_bfrev_b32_e32 v55, 60
	v_lshlrev_b32_e32 v42, 20, v42
	v_and_b32_e32 v52, 0x80000000, v52
	v_lshl_add_u32 v34, v34, 23, v55
	v_or3_b32 v42, v52, v34, v42
.LBB598_243:
	s_or_b64 exec, exec, s[10:11]
.LBB598_244:
	s_or_b64 exec, exec, s[8:9]
.LBB598_245:
	s_or_b64 exec, exec, s[2:3]
	s_mov_b32 s2, 0xffffff
	v_cmp_lt_u32_e32 vcc, s2, v35
	v_mov_b32_e32 v52, 0
	v_mov_b32_e32 v55, 0
	s_and_saveexec_b64 s[2:3], vcc
	s_cbranch_execz .LBB598_251
; %bb.246:
	v_lshrrev_b32_e32 v34, 24, v35
	s_movk_i32 s8, 0x80
	v_cmp_ne_u32_e32 vcc, s8, v34
	v_bfrev_b32_e32 v55, 1
	s_and_saveexec_b64 s[8:9], vcc
	s_cbranch_execz .LBB598_250
; %bb.247:
	v_bfe_u32 v35, v35, 24, 7
	s_movk_i32 s10, 0x7f
	v_cmp_ne_u32_e32 vcc, s10, v35
	v_mov_b32_e32 v55, 0x7f800001
	s_and_saveexec_b64 s[10:11], vcc
	s_cbranch_execz .LBB598_249
; %bb.248:
	v_and_b32_e32 v55, 7, v34
	v_ffbh_u32_e32 v56, v55
	v_min_u32_e32 v59, 32, v56
	v_subrev_u32_e32 v56, 28, v59
	v_lshlrev_b64 v[56:57], v56, v[34:35]
	v_lshrrev_b32_e32 v58, 3, v35
	v_sub_u32_e32 v57, 29, v59
	v_and_b32_e32 v56, 7, v56
	v_cmp_gt_u32_e32 vcc, 8, v35
	v_cndmask_b32_e32 v35, v58, v57, vcc
	v_cndmask_b32_e32 v55, v55, v56, vcc
	v_lshlrev_b32_e32 v34, 24, v34
	v_bfrev_b32_e32 v56, 60
	v_lshlrev_b32_e32 v55, 20, v55
	v_and_b32_e32 v34, 0x80000000, v34
	v_lshl_add_u32 v35, v35, 23, v56
	v_or3_b32 v55, v34, v35, v55
.LBB598_249:
	s_or_b64 exec, exec, s[10:11]
.LBB598_250:
	s_or_b64 exec, exec, s[8:9]
.LBB598_251:
	s_or_b64 exec, exec, s[2:3]
	v_cvt_pkrtz_f16_f32 v34, v51, v44
	v_cvt_pkrtz_f16_f32 v35, v43, v53
	v_cmp_ne_u16_sdwa s[8:9], v36, v52 src0_sel:BYTE_0 src1_sel:DWORD
	s_nop 0
	v_mfma_f32_16x16x16f16 v[56:59], v[34:35], v[26:27], 0
	v_cvt_pkrtz_f16_f32 v34, v45, v54
	v_cvt_pkrtz_f16_f32 v35, v42, v55
	s_nop 1
	v_mfma_f32_16x16x16f16 v[42:45], v[34:35], v[28:29], v[56:59]
	s_and_saveexec_b64 s[2:3], s[8:9]
	s_cbranch_execz .LBB598_257
; %bb.252:
	s_movk_i32 s8, 0x80
	v_cmp_ne_u16_sdwa s[10:11], v36, s8 src0_sel:BYTE_0 src1_sel:DWORD
	v_bfrev_b32_e32 v52, 1
	s_and_saveexec_b64 s[8:9], s[10:11]
	s_cbranch_execz .LBB598_256
; %bb.253:
	s_movk_i32 s10, 0x7f
	v_and_b32_e32 v34, 0x7f, v36
	v_cmp_ne_u32_e32 vcc, s10, v34
	v_mov_b32_e32 v52, 0x7f800001
	s_and_saveexec_b64 s[10:11], vcc
	s_cbranch_execz .LBB598_255
; %bb.254:
	v_and_b32_e32 v35, 7, v36
	v_ffbh_u32_e32 v52, v35
	v_min_u32_e32 v54, 32, v52
	v_subrev_u32_e32 v52, 28, v54
	v_lshlrev_b64 v[52:53], v52, v[36:37]
	v_lshrrev_b32_e32 v51, 3, v34
	v_sub_u32_e32 v53, 29, v54
	v_and_b32_e32 v52, 7, v52
	v_cmp_gt_u32_e32 vcc, 8, v34
	v_cndmask_b32_e32 v34, v51, v53, vcc
	v_cndmask_b32_e32 v35, v35, v52, vcc
	v_lshlrev_b32_e32 v51, 24, v36
	v_bfrev_b32_e32 v52, 60
	v_lshlrev_b32_e32 v35, 20, v35
	v_and_b32_e32 v51, 0x80000000, v51
	v_lshl_add_u32 v34, v34, 23, v52
	v_or3_b32 v52, v51, v34, v35
.LBB598_255:
	s_or_b64 exec, exec, s[10:11]
.LBB598_256:
	s_or_b64 exec, exec, s[8:9]
.LBB598_257:
	s_or_b64 exec, exec, s[2:3]
	v_lshrrev_b16_e32 v34, 8, v36
	v_cmp_ne_u16_e32 vcc, 0, v34
	v_mov_b32_e32 v35, 0
	v_mov_b32_e32 v53, 0
	s_and_saveexec_b64 s[2:3], vcc
	s_cbranch_execz .LBB598_263
; %bb.258:
	s_movk_i32 s8, 0x80
	v_cmp_ne_u16_e32 vcc, s8, v34
	v_bfrev_b32_e32 v53, 1
	s_and_saveexec_b64 s[8:9], vcc
	s_cbranch_execz .LBB598_262
; %bb.259:
	s_movk_i32 s10, 0x7f
	v_and_b32_e32 v51, 0x7f, v34
	v_cmp_ne_u32_e32 vcc, s10, v51
	v_mov_b32_e32 v53, 0x7f800001
	s_and_saveexec_b64 s[10:11], vcc
	s_cbranch_execz .LBB598_261
; %bb.260:
	v_and_b32_e32 v53, 7, v34
	v_ffbh_u32_e32 v54, v53
	v_min_u32_e32 v57, 32, v54
	v_subrev_u32_e32 v54, 28, v57
	v_lshlrev_b64 v[54:55], v54, v[34:35]
	v_lshrrev_b32_e32 v56, 3, v51
	v_sub_u32_e32 v34, 29, v57
	v_and_b32_e32 v54, 7, v54
	v_cmp_gt_u32_e32 vcc, 8, v51
	v_cndmask_b32_e32 v34, v56, v34, vcc
	v_cndmask_b32_e32 v51, v53, v54, vcc
	v_lshlrev_b32_e32 v53, 16, v36
	v_bfrev_b32_e32 v54, 60
	v_lshlrev_b32_e32 v51, 20, v51
	v_and_b32_e32 v53, 0x80000000, v53
	v_lshl_add_u32 v34, v34, 23, v54
	v_or3_b32 v53, v53, v34, v51
.LBB598_261:
	s_or_b64 exec, exec, s[10:11]
.LBB598_262:
	s_or_b64 exec, exec, s[8:9]
.LBB598_263:
	s_or_b64 exec, exec, s[2:3]
	s_movk_i32 s2, 0xff
	v_and_b32_sdwa v51, v36, s2 dst_sel:DWORD dst_unused:UNUSED_PAD src0_sel:WORD_1 src1_sel:DWORD
	v_lshrrev_b32_e32 v34, 16, v36
	v_cmp_ne_u16_e32 vcc, 0, v51
	s_and_saveexec_b64 s[2:3], vcc
	s_cbranch_execz .LBB598_269
; %bb.264:
	s_movk_i32 s8, 0x80
	v_cmp_ne_u16_e32 vcc, s8, v51
	v_bfrev_b32_e32 v35, 1
	s_and_saveexec_b64 s[8:9], vcc
	s_cbranch_execz .LBB598_268
; %bb.265:
	v_bfe_u32 v51, v36, 16, 7
	s_movk_i32 s10, 0x7f
	v_cmp_ne_u32_e32 vcc, s10, v51
	v_mov_b32_e32 v35, 0x7f800001
	s_and_saveexec_b64 s[10:11], vcc
	s_cbranch_execz .LBB598_267
; %bb.266:
	v_and_b32_e32 v54, 7, v34
	v_ffbh_u32_e32 v35, v54
	v_min_u32_e32 v56, 32, v35
	v_subrev_u32_e32 v35, 28, v56
	v_lshlrev_b64 v[34:35], v35, v[34:35]
	v_lshrrev_b32_e32 v55, 3, v51
	v_sub_u32_e32 v35, 29, v56
	v_and_b32_e32 v34, 7, v34
	v_cmp_gt_u32_e32 vcc, 8, v51
	v_mov_b32_e32 v51, 24
	v_cndmask_b32_e32 v35, v55, v35, vcc
	v_cndmask_b32_e32 v34, v54, v34, vcc
	v_lshlrev_b32_sdwa v51, v51, v36 dst_sel:DWORD dst_unused:UNUSED_PAD src0_sel:DWORD src1_sel:WORD_1
	v_bfrev_b32_e32 v54, 60
	v_lshlrev_b32_e32 v34, 20, v34
	v_and_b32_e32 v51, 0x80000000, v51
	v_lshl_add_u32 v35, v35, 23, v54
	v_or3_b32 v35, v51, v35, v34
.LBB598_267:
	s_or_b64 exec, exec, s[10:11]
.LBB598_268:
	s_or_b64 exec, exec, s[8:9]
.LBB598_269:
	s_or_b64 exec, exec, s[2:3]
	s_mov_b32 s2, 0xffffff
	v_cmp_lt_u32_e32 vcc, s2, v36
	v_mov_b32_e32 v54, 0
	v_mov_b32_e32 v55, 0
	s_and_saveexec_b64 s[2:3], vcc
	s_cbranch_execz .LBB598_275
; %bb.270:
	v_lshrrev_b32_e32 v34, 24, v36
	s_movk_i32 s8, 0x80
	v_cmp_ne_u32_e32 vcc, s8, v34
	v_bfrev_b32_e32 v55, 1
	s_and_saveexec_b64 s[8:9], vcc
	s_cbranch_execz .LBB598_274
; %bb.271:
	v_bfe_u32 v36, v36, 24, 7
	s_movk_i32 s10, 0x7f
	v_cmp_ne_u32_e32 vcc, s10, v36
	v_mov_b32_e32 v55, 0x7f800001
	s_and_saveexec_b64 s[10:11], vcc
	s_cbranch_execz .LBB598_273
; %bb.272:
	v_and_b32_e32 v51, 7, v34
	v_ffbh_u32_e32 v56, v51
	v_min_u32_e32 v58, 32, v56
	v_subrev_u32_e32 v56, 28, v58
	v_lshlrev_b64 v[56:57], v56, v[34:35]
	v_lshrrev_b32_e32 v55, 3, v36
	v_sub_u32_e32 v57, 29, v58
	v_and_b32_e32 v56, 7, v56
	v_cmp_gt_u32_e32 vcc, 8, v36
	v_cndmask_b32_e32 v36, v55, v57, vcc
	v_cndmask_b32_e32 v51, v51, v56, vcc
	v_lshlrev_b32_e32 v34, 24, v34
	v_bfrev_b32_e32 v55, 60
	v_lshlrev_b32_e32 v51, 20, v51
	v_and_b32_e32 v34, 0x80000000, v34
	v_lshl_add_u32 v36, v36, 23, v55
	v_or3_b32 v55, v34, v36, v51
.LBB598_273:
	s_or_b64 exec, exec, s[10:11]
.LBB598_274:
	s_or_b64 exec, exec, s[8:9]
.LBB598_275:
	s_or_b64 exec, exec, s[2:3]
	v_cmp_ne_u16_sdwa s[8:9], v37, v54 src0_sel:BYTE_0 src1_sel:DWORD
	s_and_saveexec_b64 s[2:3], s[8:9]
	s_cbranch_execz .LBB598_281
; %bb.276:
	s_movk_i32 s8, 0x80
	v_cmp_ne_u16_sdwa s[10:11], v37, s8 src0_sel:BYTE_0 src1_sel:DWORD
	v_bfrev_b32_e32 v54, 1
	s_and_saveexec_b64 s[8:9], s[10:11]
	s_cbranch_execz .LBB598_280
; %bb.277:
	s_movk_i32 s10, 0x7f
	v_and_b32_e32 v34, 0x7f, v37
	v_cmp_ne_u32_e32 vcc, s10, v34
	v_mov_b32_e32 v54, 0x7f800001
	s_and_saveexec_b64 s[10:11], vcc
	s_cbranch_execz .LBB598_279
; %bb.278:
	v_and_b32_e32 v51, 7, v37
	v_ffbh_u32_e32 v56, v51
	v_min_u32_e32 v58, 32, v56
	v_mov_b32_e32 v36, v37
	v_subrev_u32_e32 v56, 28, v58
	v_lshlrev_b64 v[56:57], v56, v[36:37]
	v_lshrrev_b32_e32 v54, 3, v34
	v_sub_u32_e32 v36, 29, v58
	v_and_b32_e32 v56, 7, v56
	v_cmp_gt_u32_e32 vcc, 8, v34
	v_cndmask_b32_e32 v34, v54, v36, vcc
	v_cndmask_b32_e32 v36, v51, v56, vcc
	v_lshlrev_b32_e32 v51, 24, v37
	v_bfrev_b32_e32 v54, 60
	v_lshlrev_b32_e32 v36, 20, v36
	v_and_b32_e32 v51, 0x80000000, v51
	v_lshl_add_u32 v34, v34, 23, v54
	v_or3_b32 v54, v51, v34, v36
.LBB598_279:
	s_or_b64 exec, exec, s[10:11]
.LBB598_280:
	s_or_b64 exec, exec, s[8:9]
.LBB598_281:
	s_or_b64 exec, exec, s[2:3]
	v_lshrrev_b16_e32 v34, 8, v37
	v_cmp_ne_u16_e32 vcc, 0, v34
	v_mov_b32_e32 v36, 0
	v_mov_b32_e32 v56, 0
	s_and_saveexec_b64 s[2:3], vcc
	s_cbranch_execz .LBB598_287
; %bb.282:
	s_movk_i32 s8, 0x80
	v_cmp_ne_u16_e32 vcc, s8, v34
	v_bfrev_b32_e32 v56, 1
	s_and_saveexec_b64 s[8:9], vcc
	s_cbranch_execz .LBB598_286
; %bb.283:
	s_movk_i32 s10, 0x7f
	v_and_b32_e32 v51, 0x7f, v34
	v_cmp_ne_u32_e32 vcc, s10, v51
	v_mov_b32_e32 v56, 0x7f800001
	s_and_saveexec_b64 s[10:11], vcc
	s_cbranch_execz .LBB598_285
; %bb.284:
	v_and_b32_e32 v58, 7, v34
	v_ffbh_u32_e32 v56, v58
	v_min_u32_e32 v60, 32, v56
	v_subrev_u32_e32 v56, 28, v60
	v_lshlrev_b64 v[56:57], v56, v[34:35]
	v_lshrrev_b32_e32 v59, 3, v51
	v_sub_u32_e32 v34, 29, v60
	v_and_b32_e32 v56, 7, v56
	v_cmp_gt_u32_e32 vcc, 8, v51
	v_cndmask_b32_e32 v34, v59, v34, vcc
	v_cndmask_b32_e32 v51, v58, v56, vcc
	v_lshlrev_b32_e32 v56, 16, v37
	v_bfrev_b32_e32 v57, 60
	v_lshlrev_b32_e32 v51, 20, v51
	v_and_b32_e32 v56, 0x80000000, v56
	v_lshl_add_u32 v34, v34, 23, v57
	v_or3_b32 v56, v56, v34, v51
.LBB598_285:
	s_or_b64 exec, exec, s[10:11]
.LBB598_286:
	s_or_b64 exec, exec, s[8:9]
.LBB598_287:
	s_or_b64 exec, exec, s[2:3]
	s_movk_i32 s2, 0xff
	v_and_b32_sdwa v51, v37, s2 dst_sel:DWORD dst_unused:UNUSED_PAD src0_sel:WORD_1 src1_sel:DWORD
	v_lshrrev_b32_e32 v34, 16, v37
	v_cmp_ne_u16_e32 vcc, 0, v51
	s_and_saveexec_b64 s[2:3], vcc
	s_cbranch_execz .LBB598_293
; %bb.288:
	s_movk_i32 s8, 0x80
	v_cmp_ne_u16_e32 vcc, s8, v51
	v_bfrev_b32_e32 v36, 1
	s_and_saveexec_b64 s[8:9], vcc
	s_cbranch_execz .LBB598_292
; %bb.289:
	v_bfe_u32 v51, v37, 16, 7
	s_movk_i32 s10, 0x7f
	v_cmp_ne_u32_e32 vcc, s10, v51
	v_mov_b32_e32 v36, 0x7f800001
	s_and_saveexec_b64 s[10:11], vcc
	s_cbranch_execz .LBB598_291
; %bb.290:
	v_and_b32_e32 v36, 7, v34
	v_ffbh_u32_e32 v58, v36
	v_min_u32_e32 v60, 32, v58
	v_subrev_u32_e32 v58, 28, v60
	v_lshlrev_b64 v[58:59], v58, v[34:35]
	v_lshrrev_b32_e32 v57, 3, v51
	v_sub_u32_e32 v34, 29, v60
	v_and_b32_e32 v58, 7, v58
	v_cmp_gt_u32_e32 vcc, 8, v51
	v_mov_b32_e32 v51, 24
	v_cndmask_b32_e32 v34, v57, v34, vcc
	v_cndmask_b32_e32 v36, v36, v58, vcc
	v_lshlrev_b32_sdwa v51, v51, v37 dst_sel:DWORD dst_unused:UNUSED_PAD src0_sel:DWORD src1_sel:WORD_1
	v_bfrev_b32_e32 v57, 60
	v_lshlrev_b32_e32 v36, 20, v36
	v_and_b32_e32 v51, 0x80000000, v51
	v_lshl_add_u32 v34, v34, 23, v57
	v_or3_b32 v36, v51, v34, v36
.LBB598_291:
	s_or_b64 exec, exec, s[10:11]
.LBB598_292:
	s_or_b64 exec, exec, s[8:9]
.LBB598_293:
	s_or_b64 exec, exec, s[2:3]
	s_mov_b32 s2, 0xffffff
	v_cmp_lt_u32_e32 vcc, s2, v37
	v_mov_b32_e32 v51, 0
	v_mov_b32_e32 v57, 0
	s_and_saveexec_b64 s[2:3], vcc
	s_cbranch_execz .LBB598_299
; %bb.294:
	v_lshrrev_b32_e32 v34, 24, v37
	s_movk_i32 s8, 0x80
	v_cmp_ne_u32_e32 vcc, s8, v34
	v_bfrev_b32_e32 v57, 1
	s_and_saveexec_b64 s[8:9], vcc
	s_cbranch_execz .LBB598_298
; %bb.295:
	v_bfe_u32 v37, v37, 24, 7
	s_movk_i32 s10, 0x7f
	v_cmp_ne_u32_e32 vcc, s10, v37
	v_mov_b32_e32 v57, 0x7f800001
	s_and_saveexec_b64 s[10:11], vcc
	s_cbranch_execz .LBB598_297
; %bb.296:
	v_and_b32_e32 v57, 7, v34
	v_ffbh_u32_e32 v58, v57
	v_min_u32_e32 v61, 32, v58
	v_subrev_u32_e32 v58, 28, v61
	v_lshlrev_b64 v[58:59], v58, v[34:35]
	v_lshrrev_b32_e32 v60, 3, v37
	v_sub_u32_e32 v59, 29, v61
	v_and_b32_e32 v58, 7, v58
	v_cmp_gt_u32_e32 vcc, 8, v37
	v_cndmask_b32_e32 v37, v60, v59, vcc
	v_cndmask_b32_e32 v57, v57, v58, vcc
	v_lshlrev_b32_e32 v34, 24, v34
	v_bfrev_b32_e32 v58, 60
	v_lshlrev_b32_e32 v57, 20, v57
	v_and_b32_e32 v34, 0x80000000, v34
	v_lshl_add_u32 v37, v37, 23, v58
	v_or3_b32 v57, v34, v37, v57
.LBB598_297:
	s_or_b64 exec, exec, s[10:11]
.LBB598_298:
	s_or_b64 exec, exec, s[8:9]
.LBB598_299:
	s_or_b64 exec, exec, s[2:3]
	v_cvt_pkrtz_f16_f32 v34, v52, v53
	v_cvt_pkrtz_f16_f32 v35, v35, v55
	s_waitcnt vmcnt(4)
	v_cmp_ne_u16_sdwa s[8:9], v22, v51 src0_sel:BYTE_0 src1_sel:DWORD
	v_mfma_f32_16x16x16f16 v[42:45], v[34:35], v[18:19], v[42:45]
	v_cvt_pkrtz_f16_f32 v34, v54, v56
	v_cvt_pkrtz_f16_f32 v35, v36, v57
	s_nop 1
	v_mfma_f32_16x16x16f16 v[34:37], v[34:35], v[20:21], v[42:45]
	s_and_saveexec_b64 s[2:3], s[8:9]
	s_cbranch_execz .LBB598_305
; %bb.300:
	s_movk_i32 s8, 0x80
	v_cmp_ne_u16_sdwa s[10:11], v22, s8 src0_sel:BYTE_0 src1_sel:DWORD
	v_bfrev_b32_e32 v51, 1
	s_and_saveexec_b64 s[8:9], s[10:11]
	s_cbranch_execz .LBB598_304
; %bb.301:
	s_movk_i32 s10, 0x7f
	v_and_b32_e32 v42, 0x7f, v22
	v_cmp_ne_u32_e32 vcc, s10, v42
	v_mov_b32_e32 v51, 0x7f800001
	s_and_saveexec_b64 s[10:11], vcc
	s_cbranch_execz .LBB598_303
; %bb.302:
	v_and_b32_e32 v43, 7, v22
	v_ffbh_u32_e32 v44, v43
	v_min_u32_e32 v52, 32, v44
	v_subrev_u32_e32 v44, 28, v52
	v_lshlrev_b64 v[44:45], v44, v[22:23]
	v_lshrrev_b32_e32 v51, 3, v42
	v_sub_u32_e32 v45, 29, v52
	v_and_b32_e32 v44, 7, v44
	v_cmp_gt_u32_e32 vcc, 8, v42
	v_cndmask_b32_e32 v42, v51, v45, vcc
	v_cndmask_b32_e32 v43, v43, v44, vcc
	v_lshlrev_b32_e32 v44, 24, v22
	v_bfrev_b32_e32 v45, 60
	v_lshlrev_b32_e32 v43, 20, v43
	v_and_b32_e32 v44, 0x80000000, v44
	v_lshl_add_u32 v42, v42, 23, v45
	v_or3_b32 v51, v44, v42, v43
.LBB598_303:
	s_or_b64 exec, exec, s[10:11]
.LBB598_304:
	s_or_b64 exec, exec, s[8:9]
.LBB598_305:
	s_or_b64 exec, exec, s[2:3]
	s_nop 3
	v_lshrrev_b16_e32 v42, 8, v22
	v_cmp_ne_u16_e32 vcc, 0, v42
	v_mov_b32_e32 v43, 0
	v_mov_b32_e32 v44, 0
	s_and_saveexec_b64 s[2:3], vcc
	s_cbranch_execz .LBB598_311
; %bb.306:
	s_movk_i32 s8, 0x80
	v_cmp_ne_u16_e32 vcc, s8, v42
	v_bfrev_b32_e32 v44, 1
	s_and_saveexec_b64 s[8:9], vcc
	s_cbranch_execz .LBB598_310
; %bb.307:
	s_movk_i32 s10, 0x7f
	v_and_b32_e32 v45, 0x7f, v42
	v_cmp_ne_u32_e32 vcc, s10, v45
	v_mov_b32_e32 v44, 0x7f800001
	s_and_saveexec_b64 s[10:11], vcc
	s_cbranch_execz .LBB598_309
; %bb.308:
	v_and_b32_e32 v44, 7, v42
	v_ffbh_u32_e32 v52, v44
	v_min_u32_e32 v55, 32, v52
	v_subrev_u32_e32 v52, 28, v55
	v_lshlrev_b64 v[52:53], v52, v[42:43]
	v_lshrrev_b32_e32 v54, 3, v45
	v_sub_u32_e32 v42, 29, v55
	v_and_b32_e32 v52, 7, v52
	v_cmp_gt_u32_e32 vcc, 8, v45
	v_cndmask_b32_e32 v42, v54, v42, vcc
	v_cndmask_b32_e32 v44, v44, v52, vcc
	v_lshlrev_b32_e32 v45, 16, v22
	v_bfrev_b32_e32 v52, 60
	v_lshlrev_b32_e32 v44, 20, v44
	v_and_b32_e32 v45, 0x80000000, v45
	v_lshl_add_u32 v42, v42, 23, v52
	v_or3_b32 v44, v45, v42, v44
.LBB598_309:
	s_or_b64 exec, exec, s[10:11]
.LBB598_310:
	s_or_b64 exec, exec, s[8:9]
.LBB598_311:
	s_or_b64 exec, exec, s[2:3]
	s_movk_i32 s2, 0xff
	v_and_b32_sdwa v45, v22, s2 dst_sel:DWORD dst_unused:UNUSED_PAD src0_sel:WORD_1 src1_sel:DWORD
	v_lshrrev_b32_e32 v42, 16, v22
	v_cmp_ne_u16_e32 vcc, 0, v45
	s_and_saveexec_b64 s[2:3], vcc
	s_cbranch_execz .LBB598_317
; %bb.312:
	s_movk_i32 s8, 0x80
	v_cmp_ne_u16_e32 vcc, s8, v45
	v_bfrev_b32_e32 v43, 1
	s_and_saveexec_b64 s[8:9], vcc
	s_cbranch_execz .LBB598_316
; %bb.313:
	v_bfe_u32 v45, v22, 16, 7
	s_movk_i32 s10, 0x7f
	v_cmp_ne_u32_e32 vcc, s10, v45
	v_mov_b32_e32 v43, 0x7f800001
	s_and_saveexec_b64 s[10:11], vcc
	s_cbranch_execz .LBB598_315
; %bb.314:
	v_and_b32_e32 v52, 7, v42
	v_ffbh_u32_e32 v43, v52
	v_min_u32_e32 v54, 32, v43
	v_subrev_u32_e32 v43, 28, v54
	v_lshlrev_b64 v[42:43], v43, v[42:43]
	v_lshrrev_b32_e32 v53, 3, v45
	v_sub_u32_e32 v43, 29, v54
	v_and_b32_e32 v42, 7, v42
	v_cmp_gt_u32_e32 vcc, 8, v45
	v_mov_b32_e32 v45, 24
	v_cndmask_b32_e32 v43, v53, v43, vcc
	v_cndmask_b32_e32 v42, v52, v42, vcc
	v_lshlrev_b32_sdwa v45, v45, v22 dst_sel:DWORD dst_unused:UNUSED_PAD src0_sel:DWORD src1_sel:WORD_1
	v_bfrev_b32_e32 v52, 60
	v_lshlrev_b32_e32 v42, 20, v42
	v_and_b32_e32 v45, 0x80000000, v45
	v_lshl_add_u32 v43, v43, 23, v52
	v_or3_b32 v43, v45, v43, v42
.LBB598_315:
	s_or_b64 exec, exec, s[10:11]
.LBB598_316:
	s_or_b64 exec, exec, s[8:9]
.LBB598_317:
	s_or_b64 exec, exec, s[2:3]
	s_mov_b32 s2, 0xffffff
	v_cmp_lt_u32_e32 vcc, s2, v22
	v_mov_b32_e32 v45, 0
	v_mov_b32_e32 v52, 0
	s_and_saveexec_b64 s[2:3], vcc
	s_cbranch_execz .LBB598_323
; %bb.318:
	v_lshrrev_b32_e32 v42, 24, v22
	s_movk_i32 s8, 0x80
	v_cmp_ne_u32_e32 vcc, s8, v42
	v_bfrev_b32_e32 v52, 1
	s_and_saveexec_b64 s[8:9], vcc
	s_cbranch_execz .LBB598_322
; %bb.319:
	v_bfe_u32 v22, v22, 24, 7
	s_movk_i32 s10, 0x7f
	v_cmp_ne_u32_e32 vcc, s10, v22
	v_mov_b32_e32 v52, 0x7f800001
	s_and_saveexec_b64 s[10:11], vcc
	s_cbranch_execz .LBB598_321
; %bb.320:
	v_and_b32_e32 v54, 7, v42
	v_ffbh_u32_e32 v52, v54
	v_min_u32_e32 v56, 32, v52
	v_subrev_u32_e32 v52, 28, v56
	v_lshlrev_b64 v[52:53], v52, v[42:43]
	v_lshrrev_b32_e32 v55, 3, v22
	v_sub_u32_e32 v53, 29, v56
	v_and_b32_e32 v52, 7, v52
	v_cmp_gt_u32_e32 vcc, 8, v22
	v_cndmask_b32_e32 v22, v55, v53, vcc
	v_cndmask_b32_e32 v52, v54, v52, vcc
	v_lshlrev_b32_e32 v42, 24, v42
	v_bfrev_b32_e32 v53, 60
	v_lshlrev_b32_e32 v52, 20, v52
	v_and_b32_e32 v42, 0x80000000, v42
	v_lshl_add_u32 v22, v22, 23, v53
	v_or3_b32 v52, v42, v22, v52
.LBB598_321:
	s_or_b64 exec, exec, s[10:11]
.LBB598_322:
	s_or_b64 exec, exec, s[8:9]
.LBB598_323:
	s_or_b64 exec, exec, s[2:3]
	v_cmp_ne_u16_sdwa s[8:9], v23, v45 src0_sel:BYTE_0 src1_sel:DWORD
	s_and_saveexec_b64 s[2:3], s[8:9]
	s_cbranch_execz .LBB598_329
; %bb.324:
	s_movk_i32 s8, 0x80
	v_cmp_ne_u16_sdwa s[10:11], v23, s8 src0_sel:BYTE_0 src1_sel:DWORD
	v_bfrev_b32_e32 v45, 1
	s_and_saveexec_b64 s[8:9], s[10:11]
	s_cbranch_execz .LBB598_328
; %bb.325:
	s_movk_i32 s10, 0x7f
	v_and_b32_e32 v22, 0x7f, v23
	v_cmp_ne_u32_e32 vcc, s10, v22
	v_mov_b32_e32 v45, 0x7f800001
	s_and_saveexec_b64 s[10:11], vcc
	s_cbranch_execz .LBB598_327
; %bb.326:
	v_and_b32_e32 v45, 7, v23
	v_ffbh_u32_e32 v54, v45
	v_min_u32_e32 v56, 32, v54
	v_mov_b32_e32 v42, v23
	v_subrev_u32_e32 v54, 28, v56
	v_lshlrev_b64 v[54:55], v54, v[42:43]
	v_lshrrev_b32_e32 v53, 3, v22
	v_sub_u32_e32 v42, 29, v56
	v_and_b32_e32 v54, 7, v54
	v_cmp_gt_u32_e32 vcc, 8, v22
	v_cndmask_b32_e32 v22, v53, v42, vcc
	v_cndmask_b32_e32 v42, v45, v54, vcc
	v_lshlrev_b32_e32 v45, 24, v23
	v_bfrev_b32_e32 v53, 60
	v_lshlrev_b32_e32 v42, 20, v42
	v_and_b32_e32 v45, 0x80000000, v45
	v_lshl_add_u32 v22, v22, 23, v53
	v_or3_b32 v45, v45, v22, v42
.LBB598_327:
	s_or_b64 exec, exec, s[10:11]
.LBB598_328:
	s_or_b64 exec, exec, s[8:9]
.LBB598_329:
	s_or_b64 exec, exec, s[2:3]
	v_lshrrev_b16_e32 v22, 8, v23
	v_cmp_ne_u16_e32 vcc, 0, v22
	v_mov_b32_e32 v53, 0
	v_mov_b32_e32 v54, 0
	s_and_saveexec_b64 s[2:3], vcc
	s_cbranch_execz .LBB598_335
; %bb.330:
	s_movk_i32 s8, 0x80
	v_cmp_ne_u16_e32 vcc, s8, v22
	v_bfrev_b32_e32 v54, 1
	s_and_saveexec_b64 s[8:9], vcc
	s_cbranch_execz .LBB598_334
; %bb.331:
	s_movk_i32 s10, 0x7f
	v_and_b32_e32 v42, 0x7f, v22
	v_cmp_ne_u32_e32 vcc, s10, v42
	v_mov_b32_e32 v54, 0x7f800001
	s_and_saveexec_b64 s[10:11], vcc
	s_cbranch_execz .LBB598_333
; %bb.332:
	v_and_b32_e32 v56, 7, v22
	v_ffbh_u32_e32 v54, v56
	v_min_u32_e32 v58, 32, v54
	v_subrev_u32_e32 v54, 28, v58
	v_lshlrev_b64 v[54:55], v54, v[22:23]
	v_lshrrev_b32_e32 v57, 3, v42
	v_sub_u32_e32 v22, 29, v58
	v_and_b32_e32 v54, 7, v54
	v_cmp_gt_u32_e32 vcc, 8, v42
	v_cndmask_b32_e32 v22, v57, v22, vcc
	v_cndmask_b32_e32 v42, v56, v54, vcc
	v_lshlrev_b32_e32 v54, 16, v23
	v_bfrev_b32_e32 v55, 60
	v_lshlrev_b32_e32 v42, 20, v42
	v_and_b32_e32 v54, 0x80000000, v54
	v_lshl_add_u32 v22, v22, 23, v55
	v_or3_b32 v54, v54, v22, v42
.LBB598_333:
	s_or_b64 exec, exec, s[10:11]
.LBB598_334:
	s_or_b64 exec, exec, s[8:9]
.LBB598_335:
	s_or_b64 exec, exec, s[2:3]
	s_movk_i32 s2, 0xff
	v_and_b32_sdwa v42, v23, s2 dst_sel:DWORD dst_unused:UNUSED_PAD src0_sel:WORD_1 src1_sel:DWORD
	v_lshrrev_b32_e32 v22, 16, v23
	v_cmp_ne_u16_e32 vcc, 0, v42
	s_and_saveexec_b64 s[2:3], vcc
	s_cbranch_execz .LBB598_341
; %bb.336:
	s_movk_i32 s8, 0x80
	v_cmp_ne_u16_e32 vcc, s8, v42
	v_bfrev_b32_e32 v53, 1
	s_and_saveexec_b64 s[8:9], vcc
	s_cbranch_execz .LBB598_340
; %bb.337:
	v_bfe_u32 v42, v23, 16, 7
	s_movk_i32 s10, 0x7f
	v_cmp_ne_u32_e32 vcc, s10, v42
	v_mov_b32_e32 v53, 0x7f800001
	s_and_saveexec_b64 s[10:11], vcc
	s_cbranch_execz .LBB598_339
; %bb.338:
	v_and_b32_e32 v53, 7, v22
	v_ffbh_u32_e32 v56, v53
	v_min_u32_e32 v58, 32, v56
	v_subrev_u32_e32 v56, 28, v58
	v_lshlrev_b64 v[56:57], v56, v[22:23]
	v_and_b32_e32 v56, 7, v56
	v_cmp_gt_u32_e32 vcc, 8, v42
	v_lshrrev_b32_e32 v55, 3, v42
	v_sub_u32_e32 v22, 29, v58
	v_cndmask_b32_e32 v42, v53, v56, vcc
	v_mov_b32_e32 v53, 24
	v_cndmask_b32_e32 v22, v55, v22, vcc
	v_lshlrev_b32_sdwa v53, v53, v23 dst_sel:DWORD dst_unused:UNUSED_PAD src0_sel:DWORD src1_sel:WORD_1
	v_bfrev_b32_e32 v55, 60
	v_lshlrev_b32_e32 v42, 20, v42
	v_and_b32_e32 v53, 0x80000000, v53
	v_lshl_add_u32 v22, v22, 23, v55
	v_or3_b32 v53, v53, v22, v42
.LBB598_339:
	s_or_b64 exec, exec, s[10:11]
.LBB598_340:
	s_or_b64 exec, exec, s[8:9]
.LBB598_341:
	s_or_b64 exec, exec, s[2:3]
	s_mov_b32 s2, 0xffffff
	v_cmp_lt_u32_e32 vcc, s2, v23
	v_mov_b32_e32 v42, 0
	v_mov_b32_e32 v55, 0
	s_and_saveexec_b64 s[2:3], vcc
	s_cbranch_execz .LBB598_347
; %bb.342:
	v_lshrrev_b32_e32 v22, 24, v23
	s_movk_i32 s8, 0x80
	v_cmp_ne_u32_e32 vcc, s8, v22
	v_bfrev_b32_e32 v55, 1
	s_and_saveexec_b64 s[8:9], vcc
	s_cbranch_execz .LBB598_346
; %bb.343:
	v_bfe_u32 v23, v23, 24, 7
	s_movk_i32 s10, 0x7f
	v_cmp_ne_u32_e32 vcc, s10, v23
	v_mov_b32_e32 v55, 0x7f800001
	s_and_saveexec_b64 s[10:11], vcc
	s_cbranch_execz .LBB598_345
; %bb.344:
	v_and_b32_e32 v55, 7, v22
	v_ffbh_u32_e32 v56, v55
	v_min_u32_e32 v59, 32, v56
	v_subrev_u32_e32 v56, 28, v59
	v_lshlrev_b64 v[56:57], v56, v[22:23]
	v_lshrrev_b32_e32 v58, 3, v23
	v_sub_u32_e32 v57, 29, v59
	v_and_b32_e32 v56, 7, v56
	v_cmp_gt_u32_e32 vcc, 8, v23
	v_cndmask_b32_e32 v23, v58, v57, vcc
	v_cndmask_b32_e32 v55, v55, v56, vcc
	v_lshlrev_b32_e32 v22, 24, v22
	v_bfrev_b32_e32 v56, 60
	v_lshlrev_b32_e32 v55, 20, v55
	v_and_b32_e32 v22, 0x80000000, v22
	v_lshl_add_u32 v23, v23, 23, v56
	v_or3_b32 v55, v22, v23, v55
.LBB598_345:
	s_or_b64 exec, exec, s[10:11]
.LBB598_346:
	s_or_b64 exec, exec, s[8:9]
.LBB598_347:
	s_or_b64 exec, exec, s[2:3]
	v_cvt_pkrtz_f16_f32 v22, v51, v44
	v_cvt_pkrtz_f16_f32 v23, v43, v52
	v_cmp_ne_u16_sdwa s[8:9], v24, v42 src0_sel:BYTE_0 src1_sel:DWORD
	s_nop 0
	v_mfma_f32_16x16x16f16 v[56:59], v[22:23], v[26:27], 0
	v_cvt_pkrtz_f16_f32 v22, v45, v54
	v_cvt_pkrtz_f16_f32 v23, v53, v55
	s_nop 1
	v_mfma_f32_16x16x16f16 v[26:29], v[22:23], v[28:29], v[56:59]
	s_and_saveexec_b64 s[2:3], s[8:9]
	s_cbranch_execz .LBB598_353
; %bb.348:
	s_movk_i32 s8, 0x80
	v_cmp_ne_u16_sdwa s[10:11], v24, s8 src0_sel:BYTE_0 src1_sel:DWORD
	v_bfrev_b32_e32 v42, 1
	s_and_saveexec_b64 s[8:9], s[10:11]
	s_cbranch_execz .LBB598_352
; %bb.349:
	s_movk_i32 s10, 0x7f
	v_and_b32_e32 v22, 0x7f, v24
	v_cmp_ne_u32_e32 vcc, s10, v22
	v_mov_b32_e32 v42, 0x7f800001
	s_and_saveexec_b64 s[10:11], vcc
	s_cbranch_execz .LBB598_351
; %bb.350:
	v_and_b32_e32 v23, 7, v24
	v_ffbh_u32_e32 v42, v23
	v_min_u32_e32 v45, 32, v42
	v_subrev_u32_e32 v42, 28, v45
	v_lshlrev_b64 v[42:43], v42, v[24:25]
	v_lshrrev_b32_e32 v44, 3, v22
	v_sub_u32_e32 v43, 29, v45
	v_and_b32_e32 v42, 7, v42
	v_cmp_gt_u32_e32 vcc, 8, v22
	v_cndmask_b32_e32 v22, v44, v43, vcc
	v_cndmask_b32_e32 v23, v23, v42, vcc
	v_lshlrev_b32_e32 v42, 24, v24
	v_bfrev_b32_e32 v43, 60
	v_lshlrev_b32_e32 v23, 20, v23
	v_and_b32_e32 v42, 0x80000000, v42
	v_lshl_add_u32 v22, v22, 23, v43
	v_or3_b32 v42, v42, v22, v23
.LBB598_351:
	s_or_b64 exec, exec, s[10:11]
.LBB598_352:
	s_or_b64 exec, exec, s[8:9]
.LBB598_353:
	s_or_b64 exec, exec, s[2:3]
	v_lshrrev_b16_e32 v22, 8, v24
	v_cmp_ne_u16_e32 vcc, 0, v22
	v_mov_b32_e32 v23, 0
	v_mov_b32_e32 v43, 0
	s_and_saveexec_b64 s[2:3], vcc
	s_cbranch_execz .LBB598_359
; %bb.354:
	s_movk_i32 s8, 0x80
	v_cmp_ne_u16_e32 vcc, s8, v22
	v_bfrev_b32_e32 v43, 1
	s_and_saveexec_b64 s[8:9], vcc
	s_cbranch_execz .LBB598_358
; %bb.355:
	s_movk_i32 s10, 0x7f
	v_and_b32_e32 v44, 0x7f, v22
	v_cmp_ne_u32_e32 vcc, s10, v44
	v_mov_b32_e32 v43, 0x7f800001
	s_and_saveexec_b64 s[10:11], vcc
	s_cbranch_execz .LBB598_357
; %bb.356:
	v_and_b32_e32 v43, 7, v22
	v_ffbh_u32_e32 v51, v43
	v_min_u32_e32 v51, 32, v51
	v_subrev_u32_e32 v52, 28, v51
	v_lshlrev_b64 v[52:53], v52, v[22:23]
	v_lshrrev_b32_e32 v45, 3, v44
	v_sub_u32_e32 v22, 29, v51
	v_and_b32_e32 v51, 7, v52
	v_cmp_gt_u32_e32 vcc, 8, v44
	v_cndmask_b32_e32 v22, v45, v22, vcc
	v_cndmask_b32_e32 v43, v43, v51, vcc
	v_lshlrev_b32_e32 v44, 16, v24
	v_bfrev_b32_e32 v45, 60
	v_lshlrev_b32_e32 v43, 20, v43
	v_and_b32_e32 v44, 0x80000000, v44
	v_lshl_add_u32 v22, v22, 23, v45
	v_or3_b32 v43, v44, v22, v43
.LBB598_357:
	s_or_b64 exec, exec, s[10:11]
.LBB598_358:
	s_or_b64 exec, exec, s[8:9]
.LBB598_359:
	s_or_b64 exec, exec, s[2:3]
	s_movk_i32 s2, 0xff
	v_and_b32_sdwa v44, v24, s2 dst_sel:DWORD dst_unused:UNUSED_PAD src0_sel:WORD_1 src1_sel:DWORD
	v_lshrrev_b32_e32 v22, 16, v24
	v_cmp_ne_u16_e32 vcc, 0, v44
	s_and_saveexec_b64 s[2:3], vcc
	s_cbranch_execz .LBB598_365
; %bb.360:
	s_movk_i32 s8, 0x80
	v_cmp_ne_u16_e32 vcc, s8, v44
	v_bfrev_b32_e32 v23, 1
	s_and_saveexec_b64 s[8:9], vcc
	s_cbranch_execz .LBB598_364
; %bb.361:
	v_bfe_u32 v44, v24, 16, 7
	s_movk_i32 s10, 0x7f
	v_cmp_ne_u32_e32 vcc, s10, v44
	v_mov_b32_e32 v23, 0x7f800001
	s_and_saveexec_b64 s[10:11], vcc
	s_cbranch_execz .LBB598_363
; %bb.362:
	v_and_b32_e32 v45, 7, v22
	v_ffbh_u32_e32 v23, v45
	v_min_u32_e32 v52, 32, v23
	v_subrev_u32_e32 v23, 28, v52
	v_lshlrev_b64 v[22:23], v23, v[22:23]
	v_lshrrev_b32_e32 v51, 3, v44
	v_sub_u32_e32 v23, 29, v52
	v_and_b32_e32 v22, 7, v22
	v_cmp_gt_u32_e32 vcc, 8, v44
	v_mov_b32_e32 v44, 24
	v_cndmask_b32_e32 v23, v51, v23, vcc
	v_cndmask_b32_e32 v22, v45, v22, vcc
	v_lshlrev_b32_sdwa v44, v44, v24 dst_sel:DWORD dst_unused:UNUSED_PAD src0_sel:DWORD src1_sel:WORD_1
	v_bfrev_b32_e32 v45, 60
	v_lshlrev_b32_e32 v22, 20, v22
	v_and_b32_e32 v44, 0x80000000, v44
	v_lshl_add_u32 v23, v23, 23, v45
	v_or3_b32 v23, v44, v23, v22
.LBB598_363:
	s_or_b64 exec, exec, s[10:11]
.LBB598_364:
	s_or_b64 exec, exec, s[8:9]
.LBB598_365:
	s_or_b64 exec, exec, s[2:3]
	s_mov_b32 s2, 0xffffff
	v_cmp_lt_u32_e32 vcc, s2, v24
	v_mov_b32_e32 v44, 0
	v_mov_b32_e32 v45, 0
	s_and_saveexec_b64 s[2:3], vcc
	s_cbranch_execz .LBB598_371
; %bb.366:
	v_lshrrev_b32_e32 v22, 24, v24
	s_movk_i32 s8, 0x80
	v_cmp_ne_u32_e32 vcc, s8, v22
	v_bfrev_b32_e32 v45, 1
	s_and_saveexec_b64 s[8:9], vcc
	s_cbranch_execz .LBB598_370
; %bb.367:
	v_bfe_u32 v24, v24, 24, 7
	s_movk_i32 s10, 0x7f
	v_cmp_ne_u32_e32 vcc, s10, v24
	v_mov_b32_e32 v45, 0x7f800001
	s_and_saveexec_b64 s[10:11], vcc
	s_cbranch_execz .LBB598_369
; %bb.368:
	v_and_b32_e32 v45, 7, v22
	v_ffbh_u32_e32 v52, v45
	v_min_u32_e32 v54, 32, v52
	v_subrev_u32_e32 v52, 28, v54
	v_lshlrev_b64 v[52:53], v52, v[22:23]
	v_lshrrev_b32_e32 v51, 3, v24
	v_sub_u32_e32 v53, 29, v54
	v_and_b32_e32 v52, 7, v52
	v_cmp_gt_u32_e32 vcc, 8, v24
	v_cndmask_b32_e32 v24, v51, v53, vcc
	v_cndmask_b32_e32 v45, v45, v52, vcc
	v_lshlrev_b32_e32 v22, 24, v22
	v_bfrev_b32_e32 v51, 60
	v_lshlrev_b32_e32 v45, 20, v45
	v_and_b32_e32 v22, 0x80000000, v22
	v_lshl_add_u32 v24, v24, 23, v51
	v_or3_b32 v45, v22, v24, v45
.LBB598_369:
	s_or_b64 exec, exec, s[10:11]
.LBB598_370:
	s_or_b64 exec, exec, s[8:9]
.LBB598_371:
	s_or_b64 exec, exec, s[2:3]
	v_cmp_ne_u16_sdwa s[8:9], v25, v44 src0_sel:BYTE_0 src1_sel:DWORD
	s_and_saveexec_b64 s[2:3], s[8:9]
	s_cbranch_execz .LBB598_377
; %bb.372:
	s_movk_i32 s8, 0x80
	v_cmp_ne_u16_sdwa s[10:11], v25, s8 src0_sel:BYTE_0 src1_sel:DWORD
	v_bfrev_b32_e32 v44, 1
	s_and_saveexec_b64 s[8:9], s[10:11]
	s_cbranch_execz .LBB598_376
; %bb.373:
	s_movk_i32 s10, 0x7f
	v_and_b32_e32 v22, 0x7f, v25
	v_cmp_ne_u32_e32 vcc, s10, v22
	v_mov_b32_e32 v44, 0x7f800001
	s_and_saveexec_b64 s[10:11], vcc
	s_cbranch_execz .LBB598_375
; %bb.374:
	v_and_b32_e32 v44, 7, v25
	v_ffbh_u32_e32 v52, v44
	v_min_u32_e32 v54, 32, v52
	v_mov_b32_e32 v24, v25
	v_subrev_u32_e32 v52, 28, v54
	v_lshlrev_b64 v[52:53], v52, v[24:25]
	v_lshrrev_b32_e32 v51, 3, v22
	v_sub_u32_e32 v24, 29, v54
	v_and_b32_e32 v52, 7, v52
	v_cmp_gt_u32_e32 vcc, 8, v22
	v_cndmask_b32_e32 v22, v51, v24, vcc
	v_cndmask_b32_e32 v24, v44, v52, vcc
	v_lshlrev_b32_e32 v44, 24, v25
	v_bfrev_b32_e32 v51, 60
	v_lshlrev_b32_e32 v24, 20, v24
	v_and_b32_e32 v44, 0x80000000, v44
	v_lshl_add_u32 v22, v22, 23, v51
	v_or3_b32 v44, v44, v22, v24
.LBB598_375:
	s_or_b64 exec, exec, s[10:11]
.LBB598_376:
	s_or_b64 exec, exec, s[8:9]
.LBB598_377:
	s_or_b64 exec, exec, s[2:3]
	v_lshrrev_b16_e32 v22, 8, v25
	v_cmp_ne_u16_e32 vcc, 0, v22
	v_mov_b32_e32 v24, 0
	v_mov_b32_e32 v52, 0
	s_and_saveexec_b64 s[2:3], vcc
	s_cbranch_execz .LBB598_383
; %bb.378:
	s_movk_i32 s8, 0x80
	v_cmp_ne_u16_e32 vcc, s8, v22
	v_bfrev_b32_e32 v52, 1
	s_and_saveexec_b64 s[8:9], vcc
	s_cbranch_execz .LBB598_382
; %bb.379:
	s_movk_i32 s10, 0x7f
	v_and_b32_e32 v51, 0x7f, v22
	v_cmp_ne_u32_e32 vcc, s10, v51
	v_mov_b32_e32 v52, 0x7f800001
	s_and_saveexec_b64 s[10:11], vcc
	s_cbranch_execz .LBB598_381
; %bb.380:
	v_and_b32_e32 v54, 7, v22
	v_ffbh_u32_e32 v52, v54
	v_min_u32_e32 v56, 32, v52
	v_subrev_u32_e32 v52, 28, v56
	v_lshlrev_b64 v[52:53], v52, v[22:23]
	v_lshrrev_b32_e32 v55, 3, v51
	v_sub_u32_e32 v22, 29, v56
	v_and_b32_e32 v52, 7, v52
	v_cmp_gt_u32_e32 vcc, 8, v51
	v_cndmask_b32_e32 v22, v55, v22, vcc
	v_cndmask_b32_e32 v51, v54, v52, vcc
	v_lshlrev_b32_e32 v52, 16, v25
	v_bfrev_b32_e32 v53, 60
	v_lshlrev_b32_e32 v51, 20, v51
	v_and_b32_e32 v52, 0x80000000, v52
	v_lshl_add_u32 v22, v22, 23, v53
	v_or3_b32 v52, v52, v22, v51
.LBB598_381:
	s_or_b64 exec, exec, s[10:11]
.LBB598_382:
	s_or_b64 exec, exec, s[8:9]
.LBB598_383:
	s_or_b64 exec, exec, s[2:3]
	s_movk_i32 s2, 0xff
	v_and_b32_sdwa v51, v25, s2 dst_sel:DWORD dst_unused:UNUSED_PAD src0_sel:WORD_1 src1_sel:DWORD
	v_lshrrev_b32_e32 v22, 16, v25
	v_cmp_ne_u16_e32 vcc, 0, v51
	s_and_saveexec_b64 s[2:3], vcc
	s_cbranch_execz .LBB598_389
; %bb.384:
	s_movk_i32 s8, 0x80
	v_cmp_ne_u16_e32 vcc, s8, v51
	v_bfrev_b32_e32 v24, 1
	s_and_saveexec_b64 s[8:9], vcc
	s_cbranch_execz .LBB598_388
; %bb.385:
	v_bfe_u32 v51, v25, 16, 7
	s_movk_i32 s10, 0x7f
	v_cmp_ne_u32_e32 vcc, s10, v51
	v_mov_b32_e32 v24, 0x7f800001
	s_and_saveexec_b64 s[10:11], vcc
	s_cbranch_execz .LBB598_387
; %bb.386:
	v_and_b32_e32 v24, 7, v22
	v_ffbh_u32_e32 v54, v24
	v_min_u32_e32 v56, 32, v54
	v_subrev_u32_e32 v54, 28, v56
	v_lshlrev_b64 v[54:55], v54, v[22:23]
	v_lshrrev_b32_e32 v53, 3, v51
	v_sub_u32_e32 v22, 29, v56
	v_and_b32_e32 v54, 7, v54
	v_cmp_gt_u32_e32 vcc, 8, v51
	v_mov_b32_e32 v51, 24
	v_cndmask_b32_e32 v22, v53, v22, vcc
	v_cndmask_b32_e32 v24, v24, v54, vcc
	v_lshlrev_b32_sdwa v51, v51, v25 dst_sel:DWORD dst_unused:UNUSED_PAD src0_sel:DWORD src1_sel:WORD_1
	v_bfrev_b32_e32 v53, 60
	v_lshlrev_b32_e32 v24, 20, v24
	v_and_b32_e32 v51, 0x80000000, v51
	v_lshl_add_u32 v22, v22, 23, v53
	v_or3_b32 v24, v51, v22, v24
.LBB598_387:
	s_or_b64 exec, exec, s[10:11]
.LBB598_388:
	s_or_b64 exec, exec, s[8:9]
.LBB598_389:
	s_or_b64 exec, exec, s[2:3]
	s_mov_b32 s2, 0xffffff
	v_and_b32_e32 v51, 63, v0
	v_cmp_lt_u32_e32 vcc, s2, v25
	v_mov_b32_e32 v53, 0
	s_and_saveexec_b64 s[2:3], vcc
	s_cbranch_execz .LBB598_395
; %bb.390:
	v_lshrrev_b32_e32 v22, 24, v25
	s_movk_i32 s8, 0x80
	v_cmp_ne_u32_e32 vcc, s8, v22
	v_bfrev_b32_e32 v53, 1
	s_and_saveexec_b64 s[8:9], vcc
	s_cbranch_execz .LBB598_394
; %bb.391:
	v_bfe_u32 v25, v25, 24, 7
	s_movk_i32 s10, 0x7f
	v_cmp_ne_u32_e32 vcc, s10, v25
	v_mov_b32_e32 v53, 0x7f800001
	s_and_saveexec_b64 s[10:11], vcc
	s_cbranch_execz .LBB598_393
; %bb.392:
	v_and_b32_e32 v53, 7, v22
	v_ffbh_u32_e32 v54, v53
	v_min_u32_e32 v57, 32, v54
	v_subrev_u32_e32 v54, 28, v57
	v_lshlrev_b64 v[54:55], v54, v[22:23]
	v_lshrrev_b32_e32 v56, 3, v25
	v_sub_u32_e32 v55, 29, v57
	v_and_b32_e32 v54, 7, v54
	v_cmp_gt_u32_e32 vcc, 8, v25
	v_cndmask_b32_e32 v25, v56, v55, vcc
	v_cndmask_b32_e32 v53, v53, v54, vcc
	v_lshlrev_b32_e32 v22, 24, v22
	v_bfrev_b32_e32 v54, 60
	v_lshlrev_b32_e32 v53, 20, v53
	v_and_b32_e32 v22, 0x80000000, v22
	v_lshl_add_u32 v25, v25, 23, v54
	v_or3_b32 v53, v22, v25, v53
.LBB598_393:
	s_or_b64 exec, exec, s[10:11]
.LBB598_394:
	s_or_b64 exec, exec, s[8:9]
.LBB598_395:
	s_or_b64 exec, exec, s[2:3]
	v_cvt_pkrtz_f16_f32 v42, v42, v43
	v_cvt_pkrtz_f16_f32 v43, v23, v45
	s_load_dword s2, s[4:5], 0x1c
	s_mov_b32 s46, 0xff7fffff
	s_waitcnt lgkmcnt(0)
	v_mfma_f32_16x16x16f16 v[26:29], v[42:43], v[18:19], v[26:29]
	v_cvt_pkrtz_f16_f32 v18, v44, v52
	v_cvt_pkrtz_f16_f32 v19, v24, v53
	v_and_b32_e32 v24, 0xc0, v0
	v_mov_b32_e32 v22, s2
	v_add_u32_e32 v24, s20, v24
	v_mul_f32_e32 v54, s12, v22
	v_lshl_or_b32 v42, v1, 2, v24
	v_mfma_f32_16x16x16f16 v[18:21], v[18:19], v[20:21], v[26:29]
	v_pk_mul_f32 v[22:23], v[54:55], v[36:37] op_sel_hi:[0,1]
	v_pk_mul_f32 v[36:37], v[54:55], v[40:41] op_sel_hi:[0,1]
	;; [unrolled: 1-line block ×4, first 2 shown]
	v_mov_b32_e32 v43, 0xff7fffff
	v_cmp_gt_i32_e64 s[26:27], s33, v42
	v_pk_mul_f32 v[38:39], v[54:55], v[38:39] op_sel_hi:[0,1]
	s_nop 3
	v_pk_mul_f32 v[32:33], v[54:55], v[18:19] op_sel_hi:[0,1]
	v_or_b32_e32 v19, 1, v42
	v_cmp_gt_i32_e64 s[28:29], s33, v19
	v_cndmask_b32_e64 v18, v43, v30, s[26:27]
	v_cndmask_b32_e64 v19, v43, v31, s[28:29]
	v_pk_mul_f32 v[24:25], v[54:55], v[20:21] op_sel_hi:[0,1]
	v_max3_f32 v18, v18, s46, v19
	v_or_b32_e32 v19, 2, v42
	v_or_b32_e32 v20, 3, v42
	v_cmp_gt_i32_e64 s[30:31], s33, v19
	v_cmp_gt_i32_e64 s[34:35], s33, v20
	v_cndmask_b32_e64 v19, v43, v40, s[30:31]
	v_cndmask_b32_e64 v20, v43, v41, s[34:35]
	v_max3_f32 v18, v18, v19, v20
	v_or_b32_e32 v19, 16, v42
	v_or_b32_e32 v20, 17, v42
	v_cmp_gt_i32_e64 s[36:37], s33, v19
	v_cmp_gt_i32_e64 s[38:39], s33, v20
	v_cndmask_b32_e64 v19, v43, v38, s[36:37]
	v_cndmask_b32_e64 v20, v43, v39, s[38:39]
	;; [unrolled: 7-line block ×3, first 2 shown]
	v_max3_f32 v18, v18, v19, v20
	v_or_b32_e32 v19, 32, v42
	v_or_b32_e32 v20, 33, v42
	v_pk_mul_f32 v[34:35], v[54:55], v[34:35] op_sel_hi:[0,1]
	v_cmp_gt_i32_e64 s[16:17], s33, v19
	v_cmp_gt_i32_e64 s[18:19], s33, v20
	v_cndmask_b32_e64 v19, v43, v34, s[16:17]
	v_cndmask_b32_e64 v20, v43, v35, s[18:19]
	v_max3_f32 v18, v18, v19, v20
	v_or_b32_e32 v19, 34, v42
	v_or_b32_e32 v20, 35, v42
	v_cmp_gt_i32_e64 s[12:13], s33, v19
	v_cmp_gt_i32_e64 s[14:15], s33, v20
	v_cndmask_b32_e64 v19, v43, v22, s[12:13]
	v_cndmask_b32_e64 v20, v43, v23, s[14:15]
	v_max3_f32 v18, v18, v19, v20
	v_or_b32_e32 v19, 48, v42
	v_or_b32_e32 v20, 49, v42
	;; [unrolled: 7-line block ×3, first 2 shown]
	v_cmp_gt_i32_e32 vcc, s33, v19
	v_cmp_gt_i32_e64 s[2:3], s33, v20
	v_cndmask_b32_e32 v19, v43, v24, vcc
	v_cndmask_b32_e64 v20, v43, v25, s[2:3]
	v_max3_f32 v18, v18, v19, v20
	v_mbcnt_lo_u32_b32 v19, -1, 0
	v_mbcnt_hi_u32_b32 v19, -1, v19
	v_and_b32_e32 v20, 64, v19
	v_add_u32_e32 v20, 64, v20
	v_xor_b32_e32 v21, 32, v19
	v_cmp_lt_i32_e64 s[40:41], v21, v20
	v_cndmask_b32_e64 v21, v19, v21, s[40:41]
	v_lshlrev_b32_e32 v43, 2, v21
	ds_bpermute_b32 v21, v43, v18
	s_barrier
	s_waitcnt lgkmcnt(0)
	v_max_f32_e32 v21, v21, v21
	v_max_f32_e32 v18, v18, v21
	v_xor_b32_e32 v21, 16, v19
	v_cmp_lt_i32_e64 s[40:41], v21, v20
	v_cndmask_b32_e64 v19, v19, v21, s[40:41]
	v_lshlrev_b32_e32 v44, 2, v19
	ds_bpermute_b32 v19, v44, v18
	s_waitcnt lgkmcnt(0)
	v_max_f32_e32 v19, v19, v19
	v_max_f32_e32 v42, v18, v19
	v_sub_f32_e32 v21, v40, v42
	v_sub_f32_e32 v26, v41, v42
	v_mul_f32_e32 v21, 0x3fb8aa3b, v21
	v_mul_f32_e32 v26, 0x3fb8aa3b, v26
	v_sub_f32_e32 v18, v30, v42
	v_exp_f32_e32 v21, v21
	v_exp_f32_e32 v26, v26
	v_mul_f32_e32 v18, 0x3fb8aa3b, v18
	v_sub_f32_e32 v19, v31, v42
	v_exp_f32_e32 v18, v18
	v_mul_f32_e32 v19, 0x3fb8aa3b, v19
	v_exp_f32_e32 v19, v19
	v_cndmask_b32_e64 v28, 0, v21, s[30:31]
	v_cndmask_b32_e64 v29, 0, v26, s[34:35]
	v_sub_f32_e32 v21, v38, v42
	v_sub_f32_e32 v26, v39, v42
	v_mul_f32_e32 v21, 0x3fb8aa3b, v21
	v_mul_f32_e32 v26, 0x3fb8aa3b, v26
	v_cndmask_b32_e64 v18, 0, v18, s[26:27]
	v_exp_f32_e32 v21, v21
	v_exp_f32_e32 v26, v26
	v_add_f32_e32 v20, 0, v18
	v_cndmask_b32_e64 v19, 0, v19, s[28:29]
	v_add_f32_e32 v20, v20, v19
	v_add_f32_e32 v20, v20, v28
	;; [unrolled: 1-line block ×3, first 2 shown]
	v_cndmask_b32_e64 v20, 0, v21, s[36:37]
	v_cndmask_b32_e64 v21, 0, v26, s[38:39]
	v_sub_f32_e32 v26, v36, v42
	v_mul_f32_e32 v26, 0x3fb8aa3b, v26
	v_exp_f32_e32 v26, v26
	v_sub_f32_e32 v30, v37, v42
	v_add_f32_e32 v27, v27, v20
	v_mul_f32_e32 v30, 0x3fb8aa3b, v30
	v_exp_f32_e32 v31, v30
	v_add_f32_e32 v27, v27, v21
	v_cndmask_b32_e64 v30, 0, v26, s[20:21]
	v_add_f32_e32 v26, v27, v30
	v_sub_f32_e32 v27, v34, v42
	v_mul_f32_e32 v27, 0x3fb8aa3b, v27
	v_sub_f32_e32 v34, v35, v42
	v_exp_f32_e32 v27, v27
	v_mul_f32_e32 v34, 0x3fb8aa3b, v34
	v_sub_f32_e32 v22, v22, v42
	v_exp_f32_e32 v34, v34
	;; [unrolled: 3-line block ×3, first 2 shown]
	v_mul_f32_e32 v23, 0x3fb8aa3b, v23
	v_cndmask_b32_e64 v31, 0, v31, s[22:23]
	v_exp_f32_e32 v23, v23
	v_add_f32_e32 v35, v26, v31
	v_cndmask_b32_e64 v26, 0, v27, s[16:17]
	v_add_f32_e32 v35, v35, v26
	v_cndmask_b32_e64 v27, 0, v34, s[18:19]
	;; [unrolled: 2-line block ×4, first 2 shown]
	v_sub_f32_e32 v23, v32, v42
	v_mul_f32_e32 v23, 0x3fb8aa3b, v23
	v_sub_f32_e32 v32, v33, v42
	v_exp_f32_e32 v23, v23
	v_mul_f32_e32 v32, 0x3fb8aa3b, v32
	v_sub_f32_e32 v24, v24, v42
	v_exp_f32_e32 v32, v32
	v_mul_f32_e32 v24, 0x3fb8aa3b, v24
	v_sub_f32_e32 v25, v25, v42
	v_exp_f32_e32 v24, v24
	v_mul_f32_e32 v25, 0x3fb8aa3b, v25
	v_exp_f32_e32 v25, v25
	v_add_f32_e32 v33, v22, v35
	v_cndmask_b32_e64 v22, 0, v23, s[8:9]
	v_add_f32_e32 v33, v33, v22
	v_cndmask_b32_e64 v23, 0, v32, s[10:11]
	v_add_f32_e32 v32, v33, v23
	v_cndmask_b32_e32 v24, 0, v24, vcc
	v_add_f32_e32 v32, v32, v24
	v_cndmask_b32_e64 v25, 0, v25, s[2:3]
	v_add_f32_e32 v32, v32, v25
	ds_bpermute_b32 v33, v43, v32
	v_cmp_gt_u32_e64 s[2:3], 16, v51
	s_waitcnt lgkmcnt(0)
	v_add_f32_e32 v33, v32, v33
	ds_bpermute_b32 v36, v44, v33
	v_lshlrev_b32_e32 v32, 2, v49
	s_and_saveexec_b64 s[8:9], s[2:3]
	s_cbranch_execz .LBB598_397
; %bb.396:
	s_waitcnt lgkmcnt(0)
	v_add_f32_e32 v33, v33, v36
	v_lshl_or_b32 v36, v50, 6, v32
	ds_write2st64_b32 v36, v42, v33 offset1:1
.LBB598_397:
	s_or_b64 exec, exec, s[8:9]
	s_waitcnt lgkmcnt(0)
	s_barrier
	ds_read2_b32 v[36:37], v32 offset1:16
	ds_read2_b32 v[38:39], v32 offset0:32 offset1:48
	ds_read2_b32 v[40:41], v32 offset0:64 offset1:80
	;; [unrolled: 1-line block ×3, first 2 shown]
	s_waitcnt lgkmcnt(0)
	v_max3_f32 v33, v36, s46, v37
	v_max3_f32 v33, v33, v38, v39
	v_sub_f32_e32 v36, v36, v33
	v_mul_f32_e32 v36, 0x3fb8aa3b, v36
	v_exp_f32_e32 v44, v36
	v_sub_f32_e32 v36, v37, v33
	v_mul_f32_e32 v36, 0x3fb8aa3b, v36
	v_exp_f32_e32 v37, v36
	v_sub_f32_e32 v36, v38, v33
	v_mul_f32_e32 v36, 0x3fb8aa3b, v36
	v_sub_f32_e32 v32, v39, v33
	v_exp_f32_e32 v38, v36
	v_mul_f32_e32 v32, 0x3fb8aa3b, v32
	v_exp_f32_e32 v39, v32
	v_fma_f32 v36, v44, v40, 0
	v_fmac_f32_e32 v36, v37, v41
	v_fmac_f32_e32 v36, v38, v42
	;; [unrolled: 1-line block ×3, first 2 shown]
	v_add_f32_e32 v40, 0x358637bd, v36
	v_div_scale_f32 v41, s[8:9], v40, v40, 1.0
	v_rcp_f32_e32 v42, v41
	s_barrier
	s_mul_i32 s14, s45, 9
	v_fma_f32 v43, -v41, v42, 1.0
	v_fmac_f32_e32 v42, v43, v42
	v_div_scale_f32 v43, vcc, 1.0, v40, 1.0
	v_mul_f32_e32 v45, v43, v42
	v_fma_f32 v51, -v41, v45, v43
	v_fmac_f32_e32 v45, v51, v42
	v_fma_f32 v41, -v41, v45, v43
	v_div_fmas_f32 v41, v41, v42, v45
	v_cmp_eq_u32_e32 vcc, 1, v50
	v_cndmask_b32_e32 v37, v44, v37, vcc
	v_cmp_eq_u32_e32 vcc, 2, v50
	v_cndmask_b32_e32 v37, v37, v38, vcc
	v_cmp_eq_u32_e32 vcc, 3, v50
	v_div_fixup_f32 v40, v41, v40, 1.0
	v_cndmask_b32_e32 v37, v37, v39, vcc
	v_mul_f32_e32 v38, v37, v40
	v_pk_mul_f32 v[28:29], v[38:39], v[28:29] op_sel_hi:[0,1]
	v_pk_mul_f32 v[18:19], v[38:39], v[18:19] op_sel_hi:[0,1]
	v_cvt_f16_f32_e32 v18, v18
	v_cvt_f16_f32_e32 v19, v19
	;; [unrolled: 1-line block ×4, first 2 shown]
	v_pk_mul_f32 v[20:21], v[38:39], v[20:21] op_sel_hi:[0,1]
	v_pack_b32_f16 v18, v18, v19
	v_cvt_f16_f32_e32 v20, v20
	v_pack_b32_f16 v19, v28, v29
	v_pk_mul_f32 v[28:29], v[38:39], v[30:31] op_sel_hi:[0,1]
	v_cvt_f16_f32_e32 v21, v21
	v_cvt_f16_f32_e32 v30, v28
	;; [unrolled: 1-line block ×3, first 2 shown]
	v_lshlrev_b32_e32 v37, 3, v1
	v_lshlrev_b32_e32 v28, 11, v50
	v_or3_b32 v28, v28, v48, v37
	v_pack_b32_f16 v20, v20, v21
	v_pack_b32_f16 v21, v30, v29
	ds_write2st64_b64 v28, v[18:19], v[20:21] offset1:1
	v_pk_mul_f32 v[18:19], v[38:39], v[34:35] op_sel_hi:[0,1]
	v_pk_mul_f32 v[20:21], v[38:39], v[26:27] op_sel_hi:[0,1]
	v_cvt_f16_f32_e32 v26, v20
	v_cvt_f16_f32_e32 v27, v21
	;; [unrolled: 1-line block ×4, first 2 shown]
	v_pk_mul_f32 v[18:19], v[38:39], v[24:25] op_sel_hi:[0,1]
	v_pk_mul_f32 v[20:21], v[38:39], v[22:23] op_sel_hi:[0,1]
	v_cvt_f16_f32_e32 v20, v20
	v_cvt_f16_f32_e32 v21, v21
	;; [unrolled: 1-line block ×4, first 2 shown]
	v_mov_b32_e32 v32, 0
	v_pack_b32_f16 v18, v26, v27
	v_pack_b32_f16 v19, v29, v30
	;; [unrolled: 1-line block ×4, first 2 shown]
	v_cmp_gt_u32_e32 vcc, 9, v0
	ds_write2st64_b64 v28, v[18:19], v[20:21] offset0:2 offset1:3
	s_and_saveexec_b64 s[8:9], vcc
	s_cbranch_execz .LBB598_399
; %bb.398:
	v_add_co_u32_e32 v20, vcc, s25, v49
	v_addc_co_u32_e64 v21, s[10:11], 0, 0, vcc
	v_mov_b32_e32 v18, s14
	v_mov_b32_e32 v19, 0
	v_mad_u64_u32 v[20:21], s[10:11], s6, v18, v[20:21]
	v_mov_b32_e32 v18, s24
	s_load_dwordx4 s[16:19], s[4:5], 0x58
	s_mul_i32 s7, s7, s14
	v_mad_u64_u32 v[18:19], s[10:11], v20, s44, v[18:19]
	v_add_u32_e32 v21, s7, v21
	v_mov_b32_e32 v20, v19
	v_mad_u64_u32 v[20:21], s[10:11], v21, s44, v[20:21]
	v_mov_b32_e32 v19, v20
	v_lshlrev_b64 v[18:19], 2, v[18:19]
	s_waitcnt lgkmcnt(0)
	v_mov_b32_e32 v21, s19
	v_add_co_u32_e32 v20, vcc, s18, v18
	v_addc_co_u32_e32 v21, vcc, v21, v19, vcc
	global_store_dword v[20:21], v33, off
	v_mov_b32_e32 v20, s17
	v_add_co_u32_e32 v18, vcc, s16, v18
	v_addc_co_u32_e32 v19, vcc, v20, v19, vcc
	global_store_dword v[18:19], v36, off
.LBB598_399:
	s_or_b64 exec, exec, s[8:9]
	v_mov_b32_e32 v19, 0
	s_waitcnt vmcnt(3)
	v_cmp_ne_u16_sdwa s[10:11], v14, v19 src0_sel:BYTE_0 src1_sel:DWORD
	s_waitcnt lgkmcnt(0)
	s_barrier
	s_and_saveexec_b64 s[8:9], s[10:11]
	s_cbranch_execz .LBB598_405
; %bb.400:
	s_movk_i32 s7, 0x80
	v_cmp_ne_u16_sdwa s[12:13], v14, s7 src0_sel:BYTE_0 src1_sel:DWORD
	v_bfrev_b32_e32 v32, 1
	s_and_saveexec_b64 s[10:11], s[12:13]
	s_cbranch_execz .LBB598_404
; %bb.401:
	s_movk_i32 s7, 0x7f
	v_and_b32_e32 v18, 0x7f, v14
	v_cmp_ne_u32_e32 vcc, s7, v18
	v_mov_b32_e32 v32, 0x7f800001
	s_and_saveexec_b64 s[12:13], vcc
	s_cbranch_execz .LBB598_403
; %bb.402:
	v_and_b32_e32 v22, 7, v14
	v_ffbh_u32_e32 v20, v22
	v_min_u32_e32 v24, 32, v20
	v_subrev_u32_e32 v20, 28, v24
	v_lshlrev_b64 v[20:21], v20, v[14:15]
	v_lshrrev_b32_e32 v23, 3, v18
	v_sub_u32_e32 v21, 29, v24
	v_and_b32_e32 v20, 7, v20
	v_cmp_gt_u32_e32 vcc, 8, v18
	v_cndmask_b32_e32 v18, v23, v21, vcc
	v_cndmask_b32_e32 v20, v22, v20, vcc
	v_lshlrev_b32_e32 v21, 24, v14
	v_bfrev_b32_e32 v22, 60
	v_lshlrev_b32_e32 v20, 20, v20
	v_and_b32_e32 v21, 0x80000000, v21
	v_lshl_add_u32 v18, v18, 23, v22
	v_or3_b32 v32, v21, v18, v20
.LBB598_403:
	s_or_b64 exec, exec, s[12:13]
.LBB598_404:
	s_or_b64 exec, exec, s[10:11]
.LBB598_405:
	s_or_b64 exec, exec, s[8:9]
	v_lshrrev_b16_e32 v18, 8, v14
	v_cmp_ne_u16_e32 vcc, 0, v18
	v_mov_b32_e32 v20, 0
	s_and_saveexec_b64 s[8:9], vcc
	s_cbranch_execz .LBB598_411
; %bb.406:
	s_movk_i32 s7, 0x80
	v_cmp_ne_u16_e32 vcc, s7, v18
	v_bfrev_b32_e32 v20, 1
	s_and_saveexec_b64 s[10:11], vcc
	s_cbranch_execz .LBB598_410
; %bb.407:
	s_movk_i32 s7, 0x7f
	v_and_b32_e32 v21, 0x7f, v18
	v_cmp_ne_u32_e32 vcc, s7, v21
	v_mov_b32_e32 v20, 0x7f800001
	s_and_saveexec_b64 s[12:13], vcc
	s_cbranch_execz .LBB598_409
; %bb.408:
	v_and_b32_e32 v20, 7, v18
	v_ffbh_u32_e32 v22, v20
	v_min_u32_e32 v25, 32, v22
	v_subrev_u32_e32 v22, 28, v25
	v_lshlrev_b64 v[22:23], v22, v[18:19]
	v_lshrrev_b32_e32 v24, 3, v21
	v_sub_u32_e32 v18, 29, v25
	v_and_b32_e32 v22, 7, v22
	v_cmp_gt_u32_e32 vcc, 8, v21
	v_cndmask_b32_e32 v18, v24, v18, vcc
	v_cndmask_b32_e32 v20, v20, v22, vcc
	v_lshlrev_b32_e32 v21, 16, v14
	v_bfrev_b32_e32 v22, 60
	v_lshlrev_b32_e32 v20, 20, v20
	v_and_b32_e32 v21, 0x80000000, v21
	v_lshl_add_u32 v18, v18, 23, v22
	v_or3_b32 v20, v21, v18, v20
.LBB598_409:
	s_or_b64 exec, exec, s[12:13]
.LBB598_410:
	s_or_b64 exec, exec, s[10:11]
.LBB598_411:
	s_or_b64 exec, exec, s[8:9]
	s_movk_i32 s7, 0xff
	v_and_b32_sdwa v21, v14, s7 dst_sel:DWORD dst_unused:UNUSED_PAD src0_sel:WORD_1 src1_sel:DWORD
	v_lshrrev_b32_e32 v18, 16, v14
	v_cmp_ne_u16_e32 vcc, 0, v21
	s_and_saveexec_b64 s[8:9], vcc
	s_cbranch_execz .LBB598_417
; %bb.412:
	s_movk_i32 s7, 0x80
	v_cmp_ne_u16_e32 vcc, s7, v21
	v_bfrev_b32_e32 v19, 1
	s_and_saveexec_b64 s[10:11], vcc
	s_cbranch_execz .LBB598_416
; %bb.413:
	v_bfe_u32 v21, v14, 16, 7
	s_movk_i32 s7, 0x7f
	v_cmp_ne_u32_e32 vcc, s7, v21
	v_mov_b32_e32 v19, 0x7f800001
	s_and_saveexec_b64 s[12:13], vcc
	s_cbranch_execz .LBB598_415
; %bb.414:
	v_and_b32_e32 v22, 7, v18
	v_ffbh_u32_e32 v19, v22
	v_min_u32_e32 v24, 32, v19
	v_subrev_u32_e32 v19, 28, v24
	v_lshlrev_b64 v[18:19], v19, v[18:19]
	v_lshrrev_b32_e32 v23, 3, v21
	v_sub_u32_e32 v19, 29, v24
	v_and_b32_e32 v18, 7, v18
	v_cmp_gt_u32_e32 vcc, 8, v21
	v_mov_b32_e32 v21, 24
	v_cndmask_b32_e32 v19, v23, v19, vcc
	v_cndmask_b32_e32 v18, v22, v18, vcc
	v_lshlrev_b32_sdwa v21, v21, v14 dst_sel:DWORD dst_unused:UNUSED_PAD src0_sel:DWORD src1_sel:WORD_1
	v_bfrev_b32_e32 v22, 60
	v_lshlrev_b32_e32 v18, 20, v18
	v_and_b32_e32 v21, 0x80000000, v21
	v_lshl_add_u32 v19, v19, 23, v22
	v_or3_b32 v19, v21, v19, v18
.LBB598_415:
	s_or_b64 exec, exec, s[12:13]
.LBB598_416:
	s_or_b64 exec, exec, s[10:11]
.LBB598_417:
	s_or_b64 exec, exec, s[8:9]
	s_mov_b32 s7, 0xffffff
	v_cmp_lt_u32_e32 vcc, s7, v14
	v_mov_b32_e32 v21, 0
	v_mov_b32_e32 v22, 0
	s_and_saveexec_b64 s[8:9], vcc
	s_cbranch_execz .LBB598_423
; %bb.418:
	v_lshrrev_b32_e32 v18, 24, v14
	s_movk_i32 s7, 0x80
	v_cmp_ne_u32_e32 vcc, s7, v18
	v_bfrev_b32_e32 v22, 1
	s_and_saveexec_b64 s[10:11], vcc
	s_cbranch_execz .LBB598_422
; %bb.419:
	v_bfe_u32 v14, v14, 24, 7
	s_movk_i32 s7, 0x7f
	v_cmp_ne_u32_e32 vcc, s7, v14
	v_mov_b32_e32 v22, 0x7f800001
	s_and_saveexec_b64 s[12:13], vcc
	s_cbranch_execz .LBB598_421
; %bb.420:
	v_and_b32_e32 v24, 7, v18
	v_ffbh_u32_e32 v22, v24
	v_min_u32_e32 v26, 32, v22
	v_subrev_u32_e32 v22, 28, v26
	v_lshlrev_b64 v[22:23], v22, v[18:19]
	v_lshrrev_b32_e32 v25, 3, v14
	v_sub_u32_e32 v23, 29, v26
	v_and_b32_e32 v22, 7, v22
	v_cmp_gt_u32_e32 vcc, 8, v14
	v_cndmask_b32_e32 v14, v25, v23, vcc
	v_cndmask_b32_e32 v22, v24, v22, vcc
	v_lshlrev_b32_e32 v18, 24, v18
	v_bfrev_b32_e32 v23, 60
	v_lshlrev_b32_e32 v22, 20, v22
	v_and_b32_e32 v18, 0x80000000, v18
	v_lshl_add_u32 v14, v14, 23, v23
	v_or3_b32 v22, v18, v14, v22
.LBB598_421:
	s_or_b64 exec, exec, s[12:13]
.LBB598_422:
	s_or_b64 exec, exec, s[10:11]
.LBB598_423:
	s_or_b64 exec, exec, s[8:9]
	v_cmp_ne_u16_sdwa s[10:11], v15, v21 src0_sel:BYTE_0 src1_sel:DWORD
	s_and_saveexec_b64 s[8:9], s[10:11]
	s_cbranch_execz .LBB598_429
; %bb.424:
	s_movk_i32 s7, 0x80
	v_cmp_ne_u16_sdwa s[12:13], v15, s7 src0_sel:BYTE_0 src1_sel:DWORD
	v_bfrev_b32_e32 v21, 1
	s_and_saveexec_b64 s[10:11], s[12:13]
	s_cbranch_execz .LBB598_428
; %bb.425:
	s_movk_i32 s7, 0x7f
	v_and_b32_e32 v14, 0x7f, v15
	v_cmp_ne_u32_e32 vcc, s7, v14
	v_mov_b32_e32 v21, 0x7f800001
	s_and_saveexec_b64 s[12:13], vcc
	s_cbranch_execz .LBB598_427
; %bb.426:
	v_and_b32_e32 v21, 7, v15
	v_ffbh_u32_e32 v24, v21
	v_min_u32_e32 v26, 32, v24
	v_mov_b32_e32 v18, v15
	v_subrev_u32_e32 v24, 28, v26
	v_lshlrev_b64 v[24:25], v24, v[18:19]
	v_lshrrev_b32_e32 v23, 3, v14
	v_sub_u32_e32 v18, 29, v26
	v_and_b32_e32 v24, 7, v24
	v_cmp_gt_u32_e32 vcc, 8, v14
	v_cndmask_b32_e32 v14, v23, v18, vcc
	v_cndmask_b32_e32 v18, v21, v24, vcc
	v_lshlrev_b32_e32 v21, 24, v15
	v_bfrev_b32_e32 v23, 60
	v_lshlrev_b32_e32 v18, 20, v18
	v_and_b32_e32 v21, 0x80000000, v21
	v_lshl_add_u32 v14, v14, 23, v23
	v_or3_b32 v21, v21, v14, v18
.LBB598_427:
	s_or_b64 exec, exec, s[12:13]
.LBB598_428:
	s_or_b64 exec, exec, s[10:11]
.LBB598_429:
	s_or_b64 exec, exec, s[8:9]
	v_lshrrev_b16_e32 v14, 8, v15
	v_cmp_ne_u16_e32 vcc, 0, v14
	v_mov_b32_e32 v18, 0
	v_mov_b32_e32 v24, 0
	s_and_saveexec_b64 s[8:9], vcc
	s_cbranch_execz .LBB598_435
; %bb.430:
	s_movk_i32 s7, 0x80
	v_cmp_ne_u16_e32 vcc, s7, v14
	v_bfrev_b32_e32 v24, 1
	s_and_saveexec_b64 s[10:11], vcc
	s_cbranch_execz .LBB598_434
; %bb.431:
	s_movk_i32 s7, 0x7f
	v_and_b32_e32 v23, 0x7f, v14
	v_cmp_ne_u32_e32 vcc, s7, v23
	v_mov_b32_e32 v24, 0x7f800001
	s_and_saveexec_b64 s[12:13], vcc
	s_cbranch_execz .LBB598_433
; %bb.432:
	v_and_b32_e32 v26, 7, v14
	v_ffbh_u32_e32 v24, v26
	v_min_u32_e32 v29, 32, v24
	v_subrev_u32_e32 v24, 28, v29
	v_lshlrev_b64 v[24:25], v24, v[14:15]
	v_lshrrev_b32_e32 v27, 3, v23
	v_sub_u32_e32 v14, 29, v29
	v_and_b32_e32 v24, 7, v24
	v_cmp_gt_u32_e32 vcc, 8, v23
	v_cndmask_b32_e32 v14, v27, v14, vcc
	v_cndmask_b32_e32 v23, v26, v24, vcc
	v_lshlrev_b32_e32 v24, 16, v15
	v_bfrev_b32_e32 v25, 60
	v_lshlrev_b32_e32 v23, 20, v23
	v_and_b32_e32 v24, 0x80000000, v24
	v_lshl_add_u32 v14, v14, 23, v25
	v_or3_b32 v24, v24, v14, v23
.LBB598_433:
	s_or_b64 exec, exec, s[12:13]
.LBB598_434:
	s_or_b64 exec, exec, s[10:11]
.LBB598_435:
	s_or_b64 exec, exec, s[8:9]
	s_movk_i32 s7, 0xff
	v_and_b32_sdwa v23, v15, s7 dst_sel:DWORD dst_unused:UNUSED_PAD src0_sel:WORD_1 src1_sel:DWORD
	v_lshrrev_b32_e32 v14, 16, v15
	v_cmp_ne_u16_e32 vcc, 0, v23
	s_and_saveexec_b64 s[8:9], vcc
	s_cbranch_execz .LBB598_441
; %bb.436:
	s_movk_i32 s7, 0x80
	v_cmp_ne_u16_e32 vcc, s7, v23
	v_bfrev_b32_e32 v18, 1
	s_and_saveexec_b64 s[10:11], vcc
	s_cbranch_execz .LBB598_440
; %bb.437:
	v_bfe_u32 v23, v15, 16, 7
	s_movk_i32 s7, 0x7f
	v_cmp_ne_u32_e32 vcc, s7, v23
	v_mov_b32_e32 v18, 0x7f800001
	s_and_saveexec_b64 s[12:13], vcc
	s_cbranch_execz .LBB598_439
; %bb.438:
	v_and_b32_e32 v18, 7, v14
	v_ffbh_u32_e32 v26, v18
	v_min_u32_e32 v29, 32, v26
	v_subrev_u32_e32 v26, 28, v29
	v_lshlrev_b64 v[26:27], v26, v[14:15]
	v_lshrrev_b32_e32 v25, 3, v23
	v_sub_u32_e32 v14, 29, v29
	v_and_b32_e32 v26, 7, v26
	v_cmp_gt_u32_e32 vcc, 8, v23
	v_mov_b32_e32 v23, 24
	v_cndmask_b32_e32 v14, v25, v14, vcc
	v_cndmask_b32_e32 v18, v18, v26, vcc
	v_lshlrev_b32_sdwa v23, v23, v15 dst_sel:DWORD dst_unused:UNUSED_PAD src0_sel:DWORD src1_sel:WORD_1
	v_bfrev_b32_e32 v25, 60
	v_lshlrev_b32_e32 v18, 20, v18
	v_and_b32_e32 v23, 0x80000000, v23
	v_lshl_add_u32 v14, v14, 23, v25
	v_or3_b32 v18, v23, v14, v18
.LBB598_439:
	s_or_b64 exec, exec, s[12:13]
.LBB598_440:
	s_or_b64 exec, exec, s[10:11]
.LBB598_441:
	s_or_b64 exec, exec, s[8:9]
	s_mov_b32 s7, 0xffffff
	v_cmp_lt_u32_e32 vcc, s7, v15
	v_mov_b32_e32 v23, 0
	v_mov_b32_e32 v25, 0
	s_and_saveexec_b64 s[8:9], vcc
	s_cbranch_execz .LBB598_447
; %bb.442:
	v_lshrrev_b32_e32 v14, 24, v15
	s_movk_i32 s7, 0x80
	v_cmp_ne_u32_e32 vcc, s7, v14
	v_bfrev_b32_e32 v25, 1
	s_and_saveexec_b64 s[10:11], vcc
	s_cbranch_execz .LBB598_446
; %bb.443:
	v_bfe_u32 v15, v15, 24, 7
	s_movk_i32 s7, 0x7f
	v_cmp_ne_u32_e32 vcc, s7, v15
	v_mov_b32_e32 v25, 0x7f800001
	s_and_saveexec_b64 s[12:13], vcc
	s_cbranch_execz .LBB598_445
; %bb.444:
	v_and_b32_e32 v25, 7, v14
	v_ffbh_u32_e32 v26, v25
	v_min_u32_e32 v30, 32, v26
	v_subrev_u32_e32 v26, 28, v30
	v_lshlrev_b64 v[26:27], v26, v[14:15]
	v_lshrrev_b32_e32 v29, 3, v15
	v_sub_u32_e32 v27, 29, v30
	v_and_b32_e32 v26, 7, v26
	v_cmp_gt_u32_e32 vcc, 8, v15
	v_cndmask_b32_e32 v15, v29, v27, vcc
	v_cndmask_b32_e32 v25, v25, v26, vcc
	v_lshlrev_b32_e32 v14, 24, v14
	v_bfrev_b32_e32 v26, 60
	v_lshlrev_b32_e32 v25, 20, v25
	v_and_b32_e32 v14, 0x80000000, v14
	v_lshl_add_u32 v15, v15, 23, v26
	v_or3_b32 v25, v14, v15, v25
.LBB598_445:
	s_or_b64 exec, exec, s[12:13]
.LBB598_446:
	s_or_b64 exec, exec, s[10:11]
.LBB598_447:
	s_or_b64 exec, exec, s[8:9]
	v_cvt_pkrtz_f16_f32 v15, v19, v22
	v_lshl_or_b32 v22, v1, 9, v48
	v_cvt_pkrtz_f16_f32 v14, v32, v20
	ds_read_b128 v[30:33], v22
	v_cmp_ne_u16_sdwa s[10:11], v16, v23 src0_sel:BYTE_0 src1_sel:DWORD
	s_waitcnt lgkmcnt(0)
	v_mfma_f32_16x16x16f16 v[34:37], v[14:15], v[30:31], 0
	v_cvt_pkrtz_f16_f32 v14, v21, v24
	v_cvt_pkrtz_f16_f32 v15, v18, v25
	s_nop 1
	v_mfma_f32_16x16x16f16 v[18:21], v[14:15], v[32:33], v[34:37]
	s_and_saveexec_b64 s[8:9], s[10:11]
	s_cbranch_execz .LBB598_453
; %bb.448:
	s_movk_i32 s7, 0x80
	v_cmp_ne_u16_sdwa s[12:13], v16, s7 src0_sel:BYTE_0 src1_sel:DWORD
	v_bfrev_b32_e32 v23, 1
	s_and_saveexec_b64 s[10:11], s[12:13]
	s_cbranch_execz .LBB598_452
; %bb.449:
	s_movk_i32 s7, 0x7f
	v_and_b32_e32 v14, 0x7f, v16
	v_cmp_ne_u32_e32 vcc, s7, v14
	v_mov_b32_e32 v23, 0x7f800001
	s_and_saveexec_b64 s[12:13], vcc
	s_cbranch_execz .LBB598_451
; %bb.450:
	v_and_b32_e32 v15, 7, v16
	v_ffbh_u32_e32 v24, v15
	v_min_u32_e32 v26, 32, v24
	v_subrev_u32_e32 v24, 28, v26
	v_lshlrev_b64 v[24:25], v24, v[16:17]
	v_lshrrev_b32_e32 v23, 3, v14
	v_sub_u32_e32 v25, 29, v26
	v_and_b32_e32 v24, 7, v24
	v_cmp_gt_u32_e32 vcc, 8, v14
	v_cndmask_b32_e32 v14, v23, v25, vcc
	v_cndmask_b32_e32 v15, v15, v24, vcc
	v_lshlrev_b32_e32 v23, 24, v16
	v_bfrev_b32_e32 v24, 60
	v_lshlrev_b32_e32 v15, 20, v15
	v_and_b32_e32 v23, 0x80000000, v23
	v_lshl_add_u32 v14, v14, 23, v24
	v_or3_b32 v23, v23, v14, v15
.LBB598_451:
	s_or_b64 exec, exec, s[12:13]
.LBB598_452:
	s_or_b64 exec, exec, s[10:11]
.LBB598_453:
	s_or_b64 exec, exec, s[8:9]
	v_lshrrev_b16_e32 v14, 8, v16
	v_cmp_ne_u16_e32 vcc, 0, v14
	v_mov_b32_e32 v15, 0
	v_mov_b32_e32 v25, 0
	s_and_saveexec_b64 s[8:9], vcc
	s_cbranch_execz .LBB598_459
; %bb.454:
	s_movk_i32 s7, 0x80
	v_cmp_ne_u16_e32 vcc, s7, v14
	v_bfrev_b32_e32 v25, 1
	s_and_saveexec_b64 s[10:11], vcc
	s_cbranch_execz .LBB598_458
; %bb.455:
	s_movk_i32 s7, 0x7f
	v_and_b32_e32 v24, 0x7f, v14
	v_cmp_ne_u32_e32 vcc, s7, v24
	v_mov_b32_e32 v25, 0x7f800001
	s_and_saveexec_b64 s[12:13], vcc
	s_cbranch_execz .LBB598_457
; %bb.456:
	v_and_b32_e32 v25, 7, v14
	v_ffbh_u32_e32 v26, v25
	v_min_u32_e32 v30, 32, v26
	v_subrev_u32_e32 v26, 28, v30
	v_lshlrev_b64 v[26:27], v26, v[14:15]
	v_lshrrev_b32_e32 v29, 3, v24
	v_sub_u32_e32 v14, 29, v30
	v_and_b32_e32 v26, 7, v26
	v_cmp_gt_u32_e32 vcc, 8, v24
	v_cndmask_b32_e32 v14, v29, v14, vcc
	v_cndmask_b32_e32 v24, v25, v26, vcc
	v_lshlrev_b32_e32 v25, 16, v16
	v_bfrev_b32_e32 v26, 60
	v_lshlrev_b32_e32 v24, 20, v24
	v_and_b32_e32 v25, 0x80000000, v25
	v_lshl_add_u32 v14, v14, 23, v26
	v_or3_b32 v25, v25, v14, v24
.LBB598_457:
	s_or_b64 exec, exec, s[12:13]
.LBB598_458:
	s_or_b64 exec, exec, s[10:11]
.LBB598_459:
	s_or_b64 exec, exec, s[8:9]
	s_movk_i32 s7, 0xff
	v_and_b32_sdwa v24, v16, s7 dst_sel:DWORD dst_unused:UNUSED_PAD src0_sel:WORD_1 src1_sel:DWORD
	v_lshrrev_b32_e32 v14, 16, v16
	v_cmp_ne_u16_e32 vcc, 0, v24
	s_and_saveexec_b64 s[8:9], vcc
	s_cbranch_execz .LBB598_465
; %bb.460:
	s_movk_i32 s7, 0x80
	v_cmp_ne_u16_e32 vcc, s7, v24
	v_bfrev_b32_e32 v15, 1
	s_and_saveexec_b64 s[10:11], vcc
	s_cbranch_execz .LBB598_464
; %bb.461:
	v_bfe_u32 v24, v16, 16, 7
	s_movk_i32 s7, 0x7f
	v_cmp_ne_u32_e32 vcc, s7, v24
	v_mov_b32_e32 v15, 0x7f800001
	s_and_saveexec_b64 s[12:13], vcc
	s_cbranch_execz .LBB598_463
; %bb.462:
	v_and_b32_e32 v26, 7, v14
	v_ffbh_u32_e32 v15, v26
	v_min_u32_e32 v29, 32, v15
	v_subrev_u32_e32 v15, 28, v29
	v_lshlrev_b64 v[14:15], v15, v[14:15]
	v_lshrrev_b32_e32 v27, 3, v24
	v_sub_u32_e32 v15, 29, v29
	v_and_b32_e32 v14, 7, v14
	v_cmp_gt_u32_e32 vcc, 8, v24
	v_mov_b32_e32 v24, 24
	v_cndmask_b32_e32 v15, v27, v15, vcc
	v_cndmask_b32_e32 v14, v26, v14, vcc
	v_lshlrev_b32_sdwa v24, v24, v16 dst_sel:DWORD dst_unused:UNUSED_PAD src0_sel:DWORD src1_sel:WORD_1
	v_bfrev_b32_e32 v26, 60
	v_lshlrev_b32_e32 v14, 20, v14
	v_and_b32_e32 v24, 0x80000000, v24
	v_lshl_add_u32 v15, v15, 23, v26
	v_or3_b32 v15, v24, v15, v14
.LBB598_463:
	s_or_b64 exec, exec, s[12:13]
.LBB598_464:
	s_or_b64 exec, exec, s[10:11]
.LBB598_465:
	s_or_b64 exec, exec, s[8:9]
	s_mov_b32 s7, 0xffffff
	v_cmp_lt_u32_e32 vcc, s7, v16
	v_mov_b32_e32 v26, 0
	v_mov_b32_e32 v27, 0
	s_and_saveexec_b64 s[8:9], vcc
	s_cbranch_execz .LBB598_471
; %bb.466:
	v_lshrrev_b32_e32 v14, 24, v16
	s_movk_i32 s7, 0x80
	v_cmp_ne_u32_e32 vcc, s7, v14
	v_bfrev_b32_e32 v27, 1
	s_and_saveexec_b64 s[10:11], vcc
	s_cbranch_execz .LBB598_470
; %bb.467:
	v_bfe_u32 v16, v16, 24, 7
	s_movk_i32 s7, 0x7f
	v_cmp_ne_u32_e32 vcc, s7, v16
	v_mov_b32_e32 v27, 0x7f800001
	s_and_saveexec_b64 s[12:13], vcc
	s_cbranch_execz .LBB598_469
; %bb.468:
	v_and_b32_e32 v24, 7, v14
	v_ffbh_u32_e32 v29, v24
	v_min_u32_e32 v29, 32, v29
	v_subrev_u32_e32 v30, 28, v29
	v_lshlrev_b64 v[30:31], v30, v[14:15]
	v_lshrrev_b32_e32 v27, 3, v16
	v_sub_u32_e32 v29, 29, v29
	v_and_b32_e32 v30, 7, v30
	v_cmp_gt_u32_e32 vcc, 8, v16
	v_cndmask_b32_e32 v16, v27, v29, vcc
	v_cndmask_b32_e32 v24, v24, v30, vcc
	v_lshlrev_b32_e32 v14, 24, v14
	v_bfrev_b32_e32 v27, 60
	v_lshlrev_b32_e32 v24, 20, v24
	v_and_b32_e32 v14, 0x80000000, v14
	v_lshl_add_u32 v16, v16, 23, v27
	v_or3_b32 v27, v14, v16, v24
.LBB598_469:
	s_or_b64 exec, exec, s[12:13]
.LBB598_470:
	s_or_b64 exec, exec, s[10:11]
.LBB598_471:
	s_or_b64 exec, exec, s[8:9]
	v_cmp_ne_u16_sdwa s[10:11], v17, v26 src0_sel:BYTE_0 src1_sel:DWORD
	s_and_saveexec_b64 s[8:9], s[10:11]
	s_cbranch_execz .LBB598_477
; %bb.472:
	s_movk_i32 s7, 0x80
	v_cmp_ne_u16_sdwa s[12:13], v17, s7 src0_sel:BYTE_0 src1_sel:DWORD
	v_bfrev_b32_e32 v26, 1
	s_and_saveexec_b64 s[10:11], s[12:13]
	s_cbranch_execz .LBB598_476
; %bb.473:
	s_movk_i32 s7, 0x7f
	v_and_b32_e32 v14, 0x7f, v17
	v_cmp_ne_u32_e32 vcc, s7, v14
	v_mov_b32_e32 v26, 0x7f800001
	s_and_saveexec_b64 s[12:13], vcc
	s_cbranch_execz .LBB598_475
; %bb.474:
	v_and_b32_e32 v24, 7, v17
	v_ffbh_u32_e32 v29, v24
	v_min_u32_e32 v29, 32, v29
	v_mov_b32_e32 v16, v17
	v_subrev_u32_e32 v30, 28, v29
	v_lshlrev_b64 v[30:31], v30, v[16:17]
	v_lshrrev_b32_e32 v26, 3, v14
	v_sub_u32_e32 v16, 29, v29
	v_and_b32_e32 v29, 7, v30
	v_cmp_gt_u32_e32 vcc, 8, v14
	v_cndmask_b32_e32 v14, v26, v16, vcc
	v_cndmask_b32_e32 v16, v24, v29, vcc
	v_lshlrev_b32_e32 v24, 24, v17
	v_bfrev_b32_e32 v26, 60
	v_lshlrev_b32_e32 v16, 20, v16
	v_and_b32_e32 v24, 0x80000000, v24
	v_lshl_add_u32 v14, v14, 23, v26
	v_or3_b32 v26, v24, v14, v16
.LBB598_475:
	s_or_b64 exec, exec, s[12:13]
.LBB598_476:
	s_or_b64 exec, exec, s[10:11]
.LBB598_477:
	s_or_b64 exec, exec, s[8:9]
	v_lshrrev_b16_e32 v14, 8, v17
	v_cmp_ne_u16_e32 vcc, 0, v14
	v_mov_b32_e32 v16, 0
	v_mov_b32_e32 v29, 0
	s_and_saveexec_b64 s[8:9], vcc
	s_cbranch_execz .LBB598_483
; %bb.478:
	s_movk_i32 s7, 0x80
	v_cmp_ne_u16_e32 vcc, s7, v14
	v_bfrev_b32_e32 v29, 1
	s_and_saveexec_b64 s[10:11], vcc
	s_cbranch_execz .LBB598_482
; %bb.479:
	s_movk_i32 s7, 0x7f
	v_and_b32_e32 v24, 0x7f, v14
	v_cmp_ne_u32_e32 vcc, s7, v24
	v_mov_b32_e32 v29, 0x7f800001
	s_and_saveexec_b64 s[12:13], vcc
	s_cbranch_execz .LBB598_481
; %bb.480:
	v_and_b32_e32 v29, 7, v14
	v_ffbh_u32_e32 v30, v29
	v_min_u32_e32 v33, 32, v30
	v_subrev_u32_e32 v30, 28, v33
	v_lshlrev_b64 v[30:31], v30, v[14:15]
	v_lshrrev_b32_e32 v32, 3, v24
	v_sub_u32_e32 v14, 29, v33
	v_and_b32_e32 v30, 7, v30
	v_cmp_gt_u32_e32 vcc, 8, v24
	v_cndmask_b32_e32 v14, v32, v14, vcc
	v_cndmask_b32_e32 v24, v29, v30, vcc
	v_lshlrev_b32_e32 v29, 16, v17
	v_bfrev_b32_e32 v30, 60
	v_lshlrev_b32_e32 v24, 20, v24
	v_and_b32_e32 v29, 0x80000000, v29
	v_lshl_add_u32 v14, v14, 23, v30
	v_or3_b32 v29, v29, v14, v24
.LBB598_481:
	s_or_b64 exec, exec, s[12:13]
.LBB598_482:
	s_or_b64 exec, exec, s[10:11]
.LBB598_483:
	s_or_b64 exec, exec, s[8:9]
	s_movk_i32 s7, 0xff
	v_and_b32_sdwa v24, v17, s7 dst_sel:DWORD dst_unused:UNUSED_PAD src0_sel:WORD_1 src1_sel:DWORD
	v_lshrrev_b32_e32 v14, 16, v17
	v_cmp_ne_u16_e32 vcc, 0, v24
	s_and_saveexec_b64 s[8:9], vcc
	s_cbranch_execz .LBB598_489
; %bb.484:
	s_movk_i32 s7, 0x80
	v_cmp_ne_u16_e32 vcc, s7, v24
	v_bfrev_b32_e32 v16, 1
	s_and_saveexec_b64 s[10:11], vcc
	s_cbranch_execz .LBB598_488
; %bb.485:
	v_bfe_u32 v24, v17, 16, 7
	s_movk_i32 s7, 0x7f
	v_cmp_ne_u32_e32 vcc, s7, v24
	v_mov_b32_e32 v16, 0x7f800001
	s_and_saveexec_b64 s[12:13], vcc
	s_cbranch_execz .LBB598_487
; %bb.486:
	v_and_b32_e32 v16, 7, v14
	v_ffbh_u32_e32 v30, v16
	v_min_u32_e32 v33, 32, v30
	v_subrev_u32_e32 v30, 28, v33
	v_lshlrev_b64 v[30:31], v30, v[14:15]
	v_lshrrev_b32_e32 v32, 3, v24
	v_sub_u32_e32 v14, 29, v33
	v_and_b32_e32 v30, 7, v30
	v_cmp_gt_u32_e32 vcc, 8, v24
	v_mov_b32_e32 v24, 24
	v_cndmask_b32_e32 v14, v32, v14, vcc
	v_cndmask_b32_e32 v16, v16, v30, vcc
	v_lshlrev_b32_sdwa v24, v24, v17 dst_sel:DWORD dst_unused:UNUSED_PAD src0_sel:DWORD src1_sel:WORD_1
	v_bfrev_b32_e32 v30, 60
	v_lshlrev_b32_e32 v16, 20, v16
	v_and_b32_e32 v24, 0x80000000, v24
	v_lshl_add_u32 v14, v14, 23, v30
	v_or3_b32 v16, v24, v14, v16
.LBB598_487:
	s_or_b64 exec, exec, s[12:13]
.LBB598_488:
	s_or_b64 exec, exec, s[10:11]
.LBB598_489:
	s_or_b64 exec, exec, s[8:9]
	s_mov_b32 s7, 0xffffff
	v_cmp_lt_u32_e32 vcc, s7, v17
	v_mov_b32_e32 v24, 0
	v_mov_b32_e32 v30, 0
	s_and_saveexec_b64 s[8:9], vcc
	s_cbranch_execz .LBB598_495
; %bb.490:
	v_lshrrev_b32_e32 v14, 24, v17
	s_movk_i32 s7, 0x80
	v_cmp_ne_u32_e32 vcc, s7, v14
	v_bfrev_b32_e32 v30, 1
	s_and_saveexec_b64 s[10:11], vcc
	s_cbranch_execz .LBB598_494
; %bb.491:
	v_bfe_u32 v17, v17, 24, 7
	s_movk_i32 s7, 0x7f
	v_cmp_ne_u32_e32 vcc, s7, v17
	v_mov_b32_e32 v30, 0x7f800001
	s_and_saveexec_b64 s[12:13], vcc
	s_cbranch_execz .LBB598_493
; %bb.492:
	v_and_b32_e32 v32, 7, v14
	v_ffbh_u32_e32 v30, v32
	v_min_u32_e32 v34, 32, v30
	v_subrev_u32_e32 v30, 28, v34
	v_lshlrev_b64 v[30:31], v30, v[14:15]
	v_lshrrev_b32_e32 v33, 3, v17
	v_sub_u32_e32 v31, 29, v34
	v_and_b32_e32 v30, 7, v30
	v_cmp_gt_u32_e32 vcc, 8, v17
	v_cndmask_b32_e32 v17, v33, v31, vcc
	v_cndmask_b32_e32 v30, v32, v30, vcc
	v_lshlrev_b32_e32 v14, 24, v14
	v_bfrev_b32_e32 v31, 60
	v_lshlrev_b32_e32 v30, 20, v30
	v_and_b32_e32 v14, 0x80000000, v14
	v_lshl_add_u32 v17, v17, 23, v31
	v_or3_b32 v30, v14, v17, v30
.LBB598_493:
	s_or_b64 exec, exec, s[12:13]
.LBB598_494:
	s_or_b64 exec, exec, s[10:11]
.LBB598_495:
	s_or_b64 exec, exec, s[8:9]
	v_cvt_pkrtz_f16_f32 v14, v23, v25
	v_cvt_pkrtz_f16_f32 v15, v15, v27
	ds_read_b128 v[32:35], v22 offset:16
	s_waitcnt vmcnt(2)
	v_cmp_ne_u16_sdwa s[10:11], v10, v24 src0_sel:BYTE_0 src1_sel:DWORD
	s_waitcnt lgkmcnt(0)
	v_mfma_f32_16x16x16f16 v[18:21], v[14:15], v[32:33], v[18:21]
	v_cvt_pkrtz_f16_f32 v14, v26, v29
	v_cvt_pkrtz_f16_f32 v15, v16, v30
	s_nop 1
	v_mfma_f32_16x16x16f16 v[14:17], v[14:15], v[34:35], v[18:21]
	s_and_saveexec_b64 s[8:9], s[10:11]
	s_cbranch_execz .LBB598_501
; %bb.496:
	s_movk_i32 s7, 0x80
	v_cmp_ne_u16_sdwa s[12:13], v10, s7 src0_sel:BYTE_0 src1_sel:DWORD
	v_bfrev_b32_e32 v24, 1
	s_and_saveexec_b64 s[10:11], s[12:13]
	s_cbranch_execz .LBB598_500
; %bb.497:
	s_movk_i32 s7, 0x7f
	v_and_b32_e32 v18, 0x7f, v10
	v_cmp_ne_u32_e32 vcc, s7, v18
	v_mov_b32_e32 v24, 0x7f800001
	s_and_saveexec_b64 s[12:13], vcc
	s_cbranch_execz .LBB598_499
; %bb.498:
	v_and_b32_e32 v19, 7, v10
	v_ffbh_u32_e32 v20, v19
	v_min_u32_e32 v24, 32, v20
	v_subrev_u32_e32 v20, 28, v24
	v_lshlrev_b64 v[20:21], v20, v[10:11]
	v_lshrrev_b32_e32 v23, 3, v18
	v_sub_u32_e32 v21, 29, v24
	v_and_b32_e32 v20, 7, v20
	v_cmp_gt_u32_e32 vcc, 8, v18
	v_cndmask_b32_e32 v18, v23, v21, vcc
	v_cndmask_b32_e32 v19, v19, v20, vcc
	v_lshlrev_b32_e32 v20, 24, v10
	v_bfrev_b32_e32 v21, 60
	v_lshlrev_b32_e32 v19, 20, v19
	v_and_b32_e32 v20, 0x80000000, v20
	v_lshl_add_u32 v18, v18, 23, v21
	v_or3_b32 v24, v20, v18, v19
.LBB598_499:
	s_or_b64 exec, exec, s[12:13]
.LBB598_500:
	s_or_b64 exec, exec, s[10:11]
.LBB598_501:
	s_or_b64 exec, exec, s[8:9]
	s_nop 3
	v_lshrrev_b16_e32 v18, 8, v10
	v_cmp_ne_u16_e32 vcc, 0, v18
	v_mov_b32_e32 v19, 0
	v_mov_b32_e32 v20, 0
	s_and_saveexec_b64 s[8:9], vcc
	s_cbranch_execz .LBB598_507
; %bb.502:
	s_movk_i32 s7, 0x80
	v_cmp_ne_u16_e32 vcc, s7, v18
	v_bfrev_b32_e32 v20, 1
	s_and_saveexec_b64 s[10:11], vcc
	s_cbranch_execz .LBB598_506
; %bb.503:
	s_movk_i32 s7, 0x7f
	v_and_b32_e32 v21, 0x7f, v18
	v_cmp_ne_u32_e32 vcc, s7, v21
	v_mov_b32_e32 v20, 0x7f800001
	s_and_saveexec_b64 s[12:13], vcc
	s_cbranch_execz .LBB598_505
; %bb.504:
	v_and_b32_e32 v20, 7, v18
	v_ffbh_u32_e32 v25, v20
	v_min_u32_e32 v25, 32, v25
	v_subrev_u32_e32 v26, 28, v25
	v_lshlrev_b64 v[26:27], v26, v[18:19]
	v_lshrrev_b32_e32 v23, 3, v21
	v_sub_u32_e32 v18, 29, v25
	v_and_b32_e32 v25, 7, v26
	v_cmp_gt_u32_e32 vcc, 8, v21
	v_cndmask_b32_e32 v18, v23, v18, vcc
	v_cndmask_b32_e32 v20, v20, v25, vcc
	v_lshlrev_b32_e32 v21, 16, v10
	v_bfrev_b32_e32 v23, 60
	v_lshlrev_b32_e32 v20, 20, v20
	v_and_b32_e32 v21, 0x80000000, v21
	v_lshl_add_u32 v18, v18, 23, v23
	v_or3_b32 v20, v21, v18, v20
.LBB598_505:
	s_or_b64 exec, exec, s[12:13]
.LBB598_506:
	s_or_b64 exec, exec, s[10:11]
.LBB598_507:
	s_or_b64 exec, exec, s[8:9]
	s_movk_i32 s7, 0xff
	v_and_b32_sdwa v21, v10, s7 dst_sel:DWORD dst_unused:UNUSED_PAD src0_sel:WORD_1 src1_sel:DWORD
	v_lshrrev_b32_e32 v18, 16, v10
	v_cmp_ne_u16_e32 vcc, 0, v21
	s_and_saveexec_b64 s[8:9], vcc
	s_cbranch_execz .LBB598_513
; %bb.508:
	s_movk_i32 s7, 0x80
	v_cmp_ne_u16_e32 vcc, s7, v21
	v_bfrev_b32_e32 v19, 1
	s_and_saveexec_b64 s[10:11], vcc
	s_cbranch_execz .LBB598_512
; %bb.509:
	v_bfe_u32 v21, v10, 16, 7
	s_movk_i32 s7, 0x7f
	v_cmp_ne_u32_e32 vcc, s7, v21
	v_mov_b32_e32 v19, 0x7f800001
	s_and_saveexec_b64 s[12:13], vcc
	s_cbranch_execz .LBB598_511
; %bb.510:
	v_and_b32_e32 v23, 7, v18
	v_ffbh_u32_e32 v19, v23
	v_min_u32_e32 v26, 32, v19
	v_subrev_u32_e32 v19, 28, v26
	v_lshlrev_b64 v[18:19], v19, v[18:19]
	v_lshrrev_b32_e32 v25, 3, v21
	v_sub_u32_e32 v19, 29, v26
	v_and_b32_e32 v18, 7, v18
	v_cmp_gt_u32_e32 vcc, 8, v21
	v_mov_b32_e32 v21, 24
	v_cndmask_b32_e32 v19, v25, v19, vcc
	v_cndmask_b32_e32 v18, v23, v18, vcc
	v_lshlrev_b32_sdwa v21, v21, v10 dst_sel:DWORD dst_unused:UNUSED_PAD src0_sel:DWORD src1_sel:WORD_1
	v_bfrev_b32_e32 v23, 60
	v_lshlrev_b32_e32 v18, 20, v18
	v_and_b32_e32 v21, 0x80000000, v21
	v_lshl_add_u32 v19, v19, 23, v23
	v_or3_b32 v19, v21, v19, v18
.LBB598_511:
	s_or_b64 exec, exec, s[12:13]
.LBB598_512:
	s_or_b64 exec, exec, s[10:11]
.LBB598_513:
	s_or_b64 exec, exec, s[8:9]
	s_mov_b32 s7, 0xffffff
	v_cmp_lt_u32_e32 vcc, s7, v10
	v_mov_b32_e32 v21, 0
	v_mov_b32_e32 v23, 0
	s_and_saveexec_b64 s[8:9], vcc
	s_cbranch_execz .LBB598_519
; %bb.514:
	v_lshrrev_b32_e32 v18, 24, v10
	s_movk_i32 s7, 0x80
	v_cmp_ne_u32_e32 vcc, s7, v18
	v_bfrev_b32_e32 v23, 1
	s_and_saveexec_b64 s[10:11], vcc
	s_cbranch_execz .LBB598_518
; %bb.515:
	v_bfe_u32 v10, v10, 24, 7
	s_movk_i32 s7, 0x7f
	v_cmp_ne_u32_e32 vcc, s7, v10
	v_mov_b32_e32 v23, 0x7f800001
	s_and_saveexec_b64 s[12:13], vcc
	s_cbranch_execz .LBB598_517
; %bb.516:
	v_and_b32_e32 v23, 7, v18
	v_ffbh_u32_e32 v26, v23
	v_min_u32_e32 v29, 32, v26
	v_subrev_u32_e32 v26, 28, v29
	v_lshlrev_b64 v[26:27], v26, v[18:19]
	v_lshrrev_b32_e32 v25, 3, v10
	v_sub_u32_e32 v27, 29, v29
	v_and_b32_e32 v26, 7, v26
	v_cmp_gt_u32_e32 vcc, 8, v10
	v_cndmask_b32_e32 v10, v25, v27, vcc
	v_cndmask_b32_e32 v23, v23, v26, vcc
	v_lshlrev_b32_e32 v18, 24, v18
	v_bfrev_b32_e32 v25, 60
	v_lshlrev_b32_e32 v23, 20, v23
	v_and_b32_e32 v18, 0x80000000, v18
	v_lshl_add_u32 v10, v10, 23, v25
	v_or3_b32 v23, v18, v10, v23
.LBB598_517:
	s_or_b64 exec, exec, s[12:13]
.LBB598_518:
	s_or_b64 exec, exec, s[10:11]
.LBB598_519:
	s_or_b64 exec, exec, s[8:9]
	v_cmp_ne_u16_sdwa s[10:11], v11, v21 src0_sel:BYTE_0 src1_sel:DWORD
	s_and_saveexec_b64 s[8:9], s[10:11]
	s_cbranch_execz .LBB598_525
; %bb.520:
	s_movk_i32 s7, 0x80
	v_cmp_ne_u16_sdwa s[12:13], v11, s7 src0_sel:BYTE_0 src1_sel:DWORD
	v_bfrev_b32_e32 v21, 1
	s_and_saveexec_b64 s[10:11], s[12:13]
	s_cbranch_execz .LBB598_524
; %bb.521:
	s_movk_i32 s7, 0x7f
	v_and_b32_e32 v10, 0x7f, v11
	v_cmp_ne_u32_e32 vcc, s7, v10
	v_mov_b32_e32 v21, 0x7f800001
	s_and_saveexec_b64 s[12:13], vcc
	s_cbranch_execz .LBB598_523
; %bb.522:
	v_and_b32_e32 v21, 7, v11
	v_ffbh_u32_e32 v26, v21
	v_min_u32_e32 v29, 32, v26
	v_mov_b32_e32 v18, v11
	v_subrev_u32_e32 v26, 28, v29
	v_lshlrev_b64 v[26:27], v26, v[18:19]
	v_lshrrev_b32_e32 v25, 3, v10
	v_sub_u32_e32 v18, 29, v29
	v_and_b32_e32 v26, 7, v26
	v_cmp_gt_u32_e32 vcc, 8, v10
	v_cndmask_b32_e32 v10, v25, v18, vcc
	v_cndmask_b32_e32 v18, v21, v26, vcc
	v_lshlrev_b32_e32 v21, 24, v11
	v_bfrev_b32_e32 v25, 60
	v_lshlrev_b32_e32 v18, 20, v18
	v_and_b32_e32 v21, 0x80000000, v21
	v_lshl_add_u32 v10, v10, 23, v25
	v_or3_b32 v21, v21, v10, v18
.LBB598_523:
	s_or_b64 exec, exec, s[12:13]
.LBB598_524:
	s_or_b64 exec, exec, s[10:11]
.LBB598_525:
	s_or_b64 exec, exec, s[8:9]
	v_lshrrev_b16_e32 v10, 8, v11
	v_cmp_ne_u16_e32 vcc, 0, v10
	v_mov_b32_e32 v25, 0
	v_mov_b32_e32 v26, 0
	s_and_saveexec_b64 s[8:9], vcc
	s_cbranch_execz .LBB598_531
; %bb.526:
	s_movk_i32 s7, 0x80
	v_cmp_ne_u16_e32 vcc, s7, v10
	v_bfrev_b32_e32 v26, 1
	s_and_saveexec_b64 s[10:11], vcc
	s_cbranch_execz .LBB598_530
; %bb.527:
	s_movk_i32 s7, 0x7f
	v_and_b32_e32 v18, 0x7f, v10
	v_cmp_ne_u32_e32 vcc, s7, v18
	v_mov_b32_e32 v26, 0x7f800001
	s_and_saveexec_b64 s[12:13], vcc
	s_cbranch_execz .LBB598_529
; %bb.528:
	v_and_b32_e32 v29, 7, v10
	v_ffbh_u32_e32 v26, v29
	v_min_u32_e32 v31, 32, v26
	v_subrev_u32_e32 v26, 28, v31
	v_lshlrev_b64 v[26:27], v26, v[10:11]
	v_lshrrev_b32_e32 v30, 3, v18
	v_sub_u32_e32 v10, 29, v31
	v_and_b32_e32 v26, 7, v26
	v_cmp_gt_u32_e32 vcc, 8, v18
	v_cndmask_b32_e32 v10, v30, v10, vcc
	v_cndmask_b32_e32 v18, v29, v26, vcc
	v_lshlrev_b32_e32 v26, 16, v11
	v_bfrev_b32_e32 v27, 60
	v_lshlrev_b32_e32 v18, 20, v18
	v_and_b32_e32 v26, 0x80000000, v26
	v_lshl_add_u32 v10, v10, 23, v27
	v_or3_b32 v26, v26, v10, v18
.LBB598_529:
	s_or_b64 exec, exec, s[12:13]
.LBB598_530:
	s_or_b64 exec, exec, s[10:11]
.LBB598_531:
	s_or_b64 exec, exec, s[8:9]
	s_movk_i32 s7, 0xff
	v_and_b32_sdwa v18, v11, s7 dst_sel:DWORD dst_unused:UNUSED_PAD src0_sel:WORD_1 src1_sel:DWORD
	v_lshrrev_b32_e32 v10, 16, v11
	v_cmp_ne_u16_e32 vcc, 0, v18
	s_and_saveexec_b64 s[8:9], vcc
	s_cbranch_execz .LBB598_537
; %bb.532:
	s_movk_i32 s7, 0x80
	v_cmp_ne_u16_e32 vcc, s7, v18
	v_bfrev_b32_e32 v25, 1
	s_and_saveexec_b64 s[10:11], vcc
	s_cbranch_execz .LBB598_536
; %bb.533:
	v_bfe_u32 v18, v11, 16, 7
	s_movk_i32 s7, 0x7f
	v_cmp_ne_u32_e32 vcc, s7, v18
	v_mov_b32_e32 v25, 0x7f800001
	s_and_saveexec_b64 s[12:13], vcc
	s_cbranch_execz .LBB598_535
; %bb.534:
	v_and_b32_e32 v25, 7, v10
	v_ffbh_u32_e32 v29, v25
	v_min_u32_e32 v29, 32, v29
	v_subrev_u32_e32 v30, 28, v29
	v_lshlrev_b64 v[30:31], v30, v[10:11]
	v_sub_u32_e32 v10, 29, v29
	v_and_b32_e32 v29, 7, v30
	v_cmp_gt_u32_e32 vcc, 8, v18
	v_lshrrev_b32_e32 v27, 3, v18
	v_cndmask_b32_e32 v18, v25, v29, vcc
	v_mov_b32_e32 v25, 24
	v_cndmask_b32_e32 v10, v27, v10, vcc
	v_lshlrev_b32_sdwa v25, v25, v11 dst_sel:DWORD dst_unused:UNUSED_PAD src0_sel:DWORD src1_sel:WORD_1
	v_bfrev_b32_e32 v27, 60
	v_lshlrev_b32_e32 v18, 20, v18
	v_and_b32_e32 v25, 0x80000000, v25
	v_lshl_add_u32 v10, v10, 23, v27
	v_or3_b32 v25, v25, v10, v18
.LBB598_535:
	s_or_b64 exec, exec, s[12:13]
.LBB598_536:
	s_or_b64 exec, exec, s[10:11]
.LBB598_537:
	s_or_b64 exec, exec, s[8:9]
	s_mov_b32 s7, 0xffffff
	v_cmp_lt_u32_e32 vcc, s7, v11
	v_mov_b32_e32 v18, 0
	v_mov_b32_e32 v27, 0
	s_and_saveexec_b64 s[8:9], vcc
	s_cbranch_execz .LBB598_543
; %bb.538:
	v_lshrrev_b32_e32 v10, 24, v11
	s_movk_i32 s7, 0x80
	v_cmp_ne_u32_e32 vcc, s7, v10
	v_bfrev_b32_e32 v27, 1
	s_and_saveexec_b64 s[10:11], vcc
	s_cbranch_execz .LBB598_542
; %bb.539:
	v_bfe_u32 v11, v11, 24, 7
	s_movk_i32 s7, 0x7f
	v_cmp_ne_u32_e32 vcc, s7, v11
	v_mov_b32_e32 v27, 0x7f800001
	s_and_saveexec_b64 s[12:13], vcc
	s_cbranch_execz .LBB598_541
; %bb.540:
	v_and_b32_e32 v27, 7, v10
	v_ffbh_u32_e32 v30, v27
	v_min_u32_e32 v32, 32, v30
	v_subrev_u32_e32 v30, 28, v32
	v_lshlrev_b64 v[30:31], v30, v[10:11]
	v_lshrrev_b32_e32 v29, 3, v11
	v_sub_u32_e32 v31, 29, v32
	v_and_b32_e32 v30, 7, v30
	v_cmp_gt_u32_e32 vcc, 8, v11
	v_cndmask_b32_e32 v11, v29, v31, vcc
	v_cndmask_b32_e32 v27, v27, v30, vcc
	v_lshlrev_b32_e32 v10, 24, v10
	v_bfrev_b32_e32 v29, 60
	v_lshlrev_b32_e32 v27, 20, v27
	v_and_b32_e32 v10, 0x80000000, v10
	v_lshl_add_u32 v11, v11, 23, v29
	v_or3_b32 v27, v10, v11, v27
.LBB598_541:
	s_or_b64 exec, exec, s[12:13]
.LBB598_542:
	s_or_b64 exec, exec, s[10:11]
.LBB598_543:
	s_or_b64 exec, exec, s[8:9]
	v_cvt_pkrtz_f16_f32 v10, v24, v20
	v_cvt_pkrtz_f16_f32 v11, v19, v23
	ds_read_b128 v[30:33], v22 offset:2048
	v_cmp_ne_u16_sdwa s[10:11], v12, v18 src0_sel:BYTE_0 src1_sel:DWORD
	s_waitcnt lgkmcnt(0)
	v_mfma_f32_16x16x16f16 v[14:17], v[10:11], v[30:31], v[14:17]
	v_cvt_pkrtz_f16_f32 v10, v21, v26
	v_cvt_pkrtz_f16_f32 v11, v25, v27
	s_nop 1
	v_mfma_f32_16x16x16f16 v[14:17], v[10:11], v[32:33], v[14:17]
	s_and_saveexec_b64 s[8:9], s[10:11]
	s_cbranch_execz .LBB598_549
; %bb.544:
	s_movk_i32 s7, 0x80
	v_cmp_ne_u16_sdwa s[12:13], v12, s7 src0_sel:BYTE_0 src1_sel:DWORD
	v_bfrev_b32_e32 v18, 1
	s_and_saveexec_b64 s[10:11], s[12:13]
	s_cbranch_execz .LBB598_548
; %bb.545:
	s_movk_i32 s7, 0x7f
	v_and_b32_e32 v10, 0x7f, v12
	v_cmp_ne_u32_e32 vcc, s7, v10
	v_mov_b32_e32 v18, 0x7f800001
	s_and_saveexec_b64 s[12:13], vcc
	s_cbranch_execz .LBB598_547
; %bb.546:
	v_and_b32_e32 v11, 7, v12
	v_ffbh_u32_e32 v18, v11
	v_min_u32_e32 v21, 32, v18
	v_subrev_u32_e32 v18, 28, v21
	v_lshlrev_b64 v[18:19], v18, v[12:13]
	v_lshrrev_b32_e32 v20, 3, v10
	v_sub_u32_e32 v19, 29, v21
	v_and_b32_e32 v18, 7, v18
	v_cmp_gt_u32_e32 vcc, 8, v10
	v_cndmask_b32_e32 v10, v20, v19, vcc
	v_cndmask_b32_e32 v11, v11, v18, vcc
	v_lshlrev_b32_e32 v18, 24, v12
	v_bfrev_b32_e32 v19, 60
	v_lshlrev_b32_e32 v11, 20, v11
	v_and_b32_e32 v18, 0x80000000, v18
	v_lshl_add_u32 v10, v10, 23, v19
	v_or3_b32 v18, v18, v10, v11
.LBB598_547:
	s_or_b64 exec, exec, s[12:13]
.LBB598_548:
	s_or_b64 exec, exec, s[10:11]
.LBB598_549:
	s_or_b64 exec, exec, s[8:9]
	v_lshrrev_b16_e32 v10, 8, v12
	v_cmp_ne_u16_e32 vcc, 0, v10
	v_mov_b32_e32 v11, 0
	v_mov_b32_e32 v20, 0
	s_and_saveexec_b64 s[8:9], vcc
	s_cbranch_execz .LBB598_555
; %bb.550:
	s_movk_i32 s7, 0x80
	v_cmp_ne_u16_e32 vcc, s7, v10
	v_bfrev_b32_e32 v20, 1
	s_and_saveexec_b64 s[10:11], vcc
	s_cbranch_execz .LBB598_554
; %bb.551:
	s_movk_i32 s7, 0x7f
	v_and_b32_e32 v19, 0x7f, v10
	v_cmp_ne_u32_e32 vcc, s7, v19
	v_mov_b32_e32 v20, 0x7f800001
	s_and_saveexec_b64 s[12:13], vcc
	s_cbranch_execz .LBB598_553
; %bb.552:
	v_and_b32_e32 v23, 7, v10
	v_ffbh_u32_e32 v20, v23
	v_min_u32_e32 v25, 32, v20
	v_subrev_u32_e32 v20, 28, v25
	v_lshlrev_b64 v[20:21], v20, v[10:11]
	v_lshrrev_b32_e32 v24, 3, v19
	v_sub_u32_e32 v10, 29, v25
	v_and_b32_e32 v20, 7, v20
	v_cmp_gt_u32_e32 vcc, 8, v19
	v_cndmask_b32_e32 v10, v24, v10, vcc
	v_cndmask_b32_e32 v19, v23, v20, vcc
	v_lshlrev_b32_e32 v20, 16, v12
	v_bfrev_b32_e32 v21, 60
	v_lshlrev_b32_e32 v19, 20, v19
	v_and_b32_e32 v20, 0x80000000, v20
	v_lshl_add_u32 v10, v10, 23, v21
	v_or3_b32 v20, v20, v10, v19
.LBB598_553:
	s_or_b64 exec, exec, s[12:13]
.LBB598_554:
	s_or_b64 exec, exec, s[10:11]
.LBB598_555:
	s_or_b64 exec, exec, s[8:9]
	s_movk_i32 s7, 0xff
	v_and_b32_sdwa v19, v12, s7 dst_sel:DWORD dst_unused:UNUSED_PAD src0_sel:WORD_1 src1_sel:DWORD
	v_lshrrev_b32_e32 v10, 16, v12
	v_cmp_ne_u16_e32 vcc, 0, v19
	s_and_saveexec_b64 s[8:9], vcc
	s_cbranch_execz .LBB598_561
; %bb.556:
	s_movk_i32 s7, 0x80
	v_cmp_ne_u16_e32 vcc, s7, v19
	v_bfrev_b32_e32 v11, 1
	s_and_saveexec_b64 s[10:11], vcc
	s_cbranch_execz .LBB598_560
; %bb.557:
	v_bfe_u32 v19, v12, 16, 7
	s_movk_i32 s7, 0x7f
	v_cmp_ne_u32_e32 vcc, s7, v19
	v_mov_b32_e32 v11, 0x7f800001
	s_and_saveexec_b64 s[12:13], vcc
	s_cbranch_execz .LBB598_559
; %bb.558:
	v_and_b32_e32 v21, 7, v10
	v_ffbh_u32_e32 v11, v21
	v_min_u32_e32 v24, 32, v11
	v_subrev_u32_e32 v11, 28, v24
	v_lshlrev_b64 v[10:11], v11, v[10:11]
	v_lshrrev_b32_e32 v23, 3, v19
	v_sub_u32_e32 v11, 29, v24
	v_and_b32_e32 v10, 7, v10
	v_cmp_gt_u32_e32 vcc, 8, v19
	v_mov_b32_e32 v19, 24
	v_cndmask_b32_e32 v11, v23, v11, vcc
	v_cndmask_b32_e32 v10, v21, v10, vcc
	v_lshlrev_b32_sdwa v19, v19, v12 dst_sel:DWORD dst_unused:UNUSED_PAD src0_sel:DWORD src1_sel:WORD_1
	v_bfrev_b32_e32 v21, 60
	v_lshlrev_b32_e32 v10, 20, v10
	v_and_b32_e32 v19, 0x80000000, v19
	v_lshl_add_u32 v11, v11, 23, v21
	v_or3_b32 v11, v19, v11, v10
.LBB598_559:
	s_or_b64 exec, exec, s[12:13]
.LBB598_560:
	s_or_b64 exec, exec, s[10:11]
.LBB598_561:
	s_or_b64 exec, exec, s[8:9]
	s_mov_b32 s7, 0xffffff
	v_cmp_lt_u32_e32 vcc, s7, v12
	v_mov_b32_e32 v21, 0
	v_mov_b32_e32 v23, 0
	s_and_saveexec_b64 s[8:9], vcc
	s_cbranch_execz .LBB598_567
; %bb.562:
	v_lshrrev_b32_e32 v10, 24, v12
	s_movk_i32 s7, 0x80
	v_cmp_ne_u32_e32 vcc, s7, v10
	v_bfrev_b32_e32 v23, 1
	s_and_saveexec_b64 s[10:11], vcc
	s_cbranch_execz .LBB598_566
; %bb.563:
	v_bfe_u32 v12, v12, 24, 7
	s_movk_i32 s7, 0x7f
	v_cmp_ne_u32_e32 vcc, s7, v12
	v_mov_b32_e32 v23, 0x7f800001
	s_and_saveexec_b64 s[12:13], vcc
	s_cbranch_execz .LBB598_565
; %bb.564:
	v_and_b32_e32 v19, 7, v10
	v_ffbh_u32_e32 v24, v19
	v_min_u32_e32 v26, 32, v24
	v_subrev_u32_e32 v24, 28, v26
	v_lshlrev_b64 v[24:25], v24, v[10:11]
	v_lshrrev_b32_e32 v23, 3, v12
	v_sub_u32_e32 v25, 29, v26
	v_and_b32_e32 v24, 7, v24
	v_cmp_gt_u32_e32 vcc, 8, v12
	v_cndmask_b32_e32 v12, v23, v25, vcc
	v_cndmask_b32_e32 v19, v19, v24, vcc
	v_lshlrev_b32_e32 v10, 24, v10
	v_bfrev_b32_e32 v23, 60
	v_lshlrev_b32_e32 v19, 20, v19
	v_and_b32_e32 v10, 0x80000000, v10
	v_lshl_add_u32 v12, v12, 23, v23
	v_or3_b32 v23, v10, v12, v19
.LBB598_565:
	s_or_b64 exec, exec, s[12:13]
.LBB598_566:
	s_or_b64 exec, exec, s[10:11]
.LBB598_567:
	s_or_b64 exec, exec, s[8:9]
	v_cmp_ne_u16_sdwa s[10:11], v13, v21 src0_sel:BYTE_0 src1_sel:DWORD
	s_and_saveexec_b64 s[8:9], s[10:11]
	s_cbranch_execz .LBB598_573
; %bb.568:
	s_movk_i32 s7, 0x80
	v_cmp_ne_u16_sdwa s[12:13], v13, s7 src0_sel:BYTE_0 src1_sel:DWORD
	v_bfrev_b32_e32 v21, 1
	s_and_saveexec_b64 s[10:11], s[12:13]
	s_cbranch_execz .LBB598_572
; %bb.569:
	s_movk_i32 s7, 0x7f
	v_and_b32_e32 v10, 0x7f, v13
	v_cmp_ne_u32_e32 vcc, s7, v10
	v_mov_b32_e32 v21, 0x7f800001
	s_and_saveexec_b64 s[12:13], vcc
	s_cbranch_execz .LBB598_571
; %bb.570:
	v_and_b32_e32 v19, 7, v13
	v_ffbh_u32_e32 v24, v19
	v_min_u32_e32 v26, 32, v24
	v_mov_b32_e32 v12, v13
	v_subrev_u32_e32 v24, 28, v26
	v_lshlrev_b64 v[24:25], v24, v[12:13]
	v_lshrrev_b32_e32 v21, 3, v10
	v_sub_u32_e32 v12, 29, v26
	v_and_b32_e32 v24, 7, v24
	v_cmp_gt_u32_e32 vcc, 8, v10
	v_cndmask_b32_e32 v10, v21, v12, vcc
	v_cndmask_b32_e32 v12, v19, v24, vcc
	v_lshlrev_b32_e32 v19, 24, v13
	v_bfrev_b32_e32 v21, 60
	v_lshlrev_b32_e32 v12, 20, v12
	v_and_b32_e32 v19, 0x80000000, v19
	v_lshl_add_u32 v10, v10, 23, v21
	v_or3_b32 v21, v19, v10, v12
.LBB598_571:
	s_or_b64 exec, exec, s[12:13]
.LBB598_572:
	s_or_b64 exec, exec, s[10:11]
.LBB598_573:
	s_or_b64 exec, exec, s[8:9]
	v_lshrrev_b16_e32 v10, 8, v13
	v_cmp_ne_u16_e32 vcc, 0, v10
	v_mov_b32_e32 v12, 0
	v_mov_b32_e32 v24, 0
	s_and_saveexec_b64 s[8:9], vcc
	s_cbranch_execz .LBB598_579
; %bb.574:
	s_movk_i32 s7, 0x80
	v_cmp_ne_u16_e32 vcc, s7, v10
	v_bfrev_b32_e32 v24, 1
	s_and_saveexec_b64 s[10:11], vcc
	s_cbranch_execz .LBB598_578
; %bb.575:
	s_movk_i32 s7, 0x7f
	v_and_b32_e32 v19, 0x7f, v10
	v_cmp_ne_u32_e32 vcc, s7, v19
	v_mov_b32_e32 v24, 0x7f800001
	s_and_saveexec_b64 s[12:13], vcc
	s_cbranch_execz .LBB598_577
; %bb.576:
	v_and_b32_e32 v26, 7, v10
	v_ffbh_u32_e32 v24, v26
	v_min_u32_e32 v29, 32, v24
	v_subrev_u32_e32 v24, 28, v29
	v_lshlrev_b64 v[24:25], v24, v[10:11]
	v_lshrrev_b32_e32 v27, 3, v19
	v_sub_u32_e32 v10, 29, v29
	v_and_b32_e32 v24, 7, v24
	v_cmp_gt_u32_e32 vcc, 8, v19
	v_cndmask_b32_e32 v10, v27, v10, vcc
	v_cndmask_b32_e32 v19, v26, v24, vcc
	v_lshlrev_b32_e32 v24, 16, v13
	v_bfrev_b32_e32 v25, 60
	v_lshlrev_b32_e32 v19, 20, v19
	v_and_b32_e32 v24, 0x80000000, v24
	v_lshl_add_u32 v10, v10, 23, v25
	v_or3_b32 v24, v24, v10, v19
.LBB598_577:
	s_or_b64 exec, exec, s[12:13]
.LBB598_578:
	s_or_b64 exec, exec, s[10:11]
.LBB598_579:
	s_or_b64 exec, exec, s[8:9]
	s_movk_i32 s7, 0xff
	v_and_b32_sdwa v19, v13, s7 dst_sel:DWORD dst_unused:UNUSED_PAD src0_sel:WORD_1 src1_sel:DWORD
	v_lshrrev_b32_e32 v10, 16, v13
	v_cmp_ne_u16_e32 vcc, 0, v19
	s_and_saveexec_b64 s[8:9], vcc
	s_cbranch_execz .LBB598_585
; %bb.580:
	s_movk_i32 s7, 0x80
	v_cmp_ne_u16_e32 vcc, s7, v19
	v_bfrev_b32_e32 v12, 1
	s_and_saveexec_b64 s[10:11], vcc
	s_cbranch_execz .LBB598_584
; %bb.581:
	v_bfe_u32 v19, v13, 16, 7
	s_movk_i32 s7, 0x7f
	v_cmp_ne_u32_e32 vcc, s7, v19
	v_mov_b32_e32 v12, 0x7f800001
	s_and_saveexec_b64 s[12:13], vcc
	s_cbranch_execz .LBB598_583
; %bb.582:
	v_and_b32_e32 v12, 7, v10
	v_ffbh_u32_e32 v26, v12
	v_min_u32_e32 v29, 32, v26
	v_subrev_u32_e32 v26, 28, v29
	v_lshlrev_b64 v[26:27], v26, v[10:11]
	v_lshrrev_b32_e32 v25, 3, v19
	v_sub_u32_e32 v10, 29, v29
	v_and_b32_e32 v26, 7, v26
	v_cmp_gt_u32_e32 vcc, 8, v19
	v_mov_b32_e32 v19, 24
	v_cndmask_b32_e32 v10, v25, v10, vcc
	v_cndmask_b32_e32 v12, v12, v26, vcc
	v_lshlrev_b32_sdwa v19, v19, v13 dst_sel:DWORD dst_unused:UNUSED_PAD src0_sel:DWORD src1_sel:WORD_1
	v_bfrev_b32_e32 v25, 60
	v_lshlrev_b32_e32 v12, 20, v12
	v_and_b32_e32 v19, 0x80000000, v19
	v_lshl_add_u32 v10, v10, 23, v25
	v_or3_b32 v12, v19, v10, v12
.LBB598_583:
	s_or_b64 exec, exec, s[12:13]
.LBB598_584:
	s_or_b64 exec, exec, s[10:11]
.LBB598_585:
	s_or_b64 exec, exec, s[8:9]
	s_mov_b32 s7, 0xffffff
	v_cmp_lt_u32_e32 vcc, s7, v13
	v_mov_b32_e32 v19, 0
	v_mov_b32_e32 v25, 0
	s_and_saveexec_b64 s[8:9], vcc
	s_cbranch_execz .LBB598_591
; %bb.586:
	v_lshrrev_b32_e32 v10, 24, v13
	s_movk_i32 s7, 0x80
	v_cmp_ne_u32_e32 vcc, s7, v10
	v_bfrev_b32_e32 v25, 1
	s_and_saveexec_b64 s[10:11], vcc
	s_cbranch_execz .LBB598_590
; %bb.587:
	v_bfe_u32 v13, v13, 24, 7
	s_movk_i32 s7, 0x7f
	v_cmp_ne_u32_e32 vcc, s7, v13
	v_mov_b32_e32 v25, 0x7f800001
	s_and_saveexec_b64 s[12:13], vcc
	s_cbranch_execz .LBB598_589
; %bb.588:
	v_and_b32_e32 v25, 7, v10
	v_ffbh_u32_e32 v26, v25
	v_min_u32_e32 v30, 32, v26
	v_subrev_u32_e32 v26, 28, v30
	v_lshlrev_b64 v[26:27], v26, v[10:11]
	v_lshrrev_b32_e32 v29, 3, v13
	v_sub_u32_e32 v27, 29, v30
	v_and_b32_e32 v26, 7, v26
	v_cmp_gt_u32_e32 vcc, 8, v13
	v_cndmask_b32_e32 v13, v29, v27, vcc
	v_cndmask_b32_e32 v25, v25, v26, vcc
	v_lshlrev_b32_e32 v10, 24, v10
	v_bfrev_b32_e32 v26, 60
	v_lshlrev_b32_e32 v25, 20, v25
	v_and_b32_e32 v10, 0x80000000, v10
	v_lshl_add_u32 v13, v13, 23, v26
	v_or3_b32 v25, v10, v13, v25
.LBB598_589:
	s_or_b64 exec, exec, s[12:13]
.LBB598_590:
	s_or_b64 exec, exec, s[10:11]
.LBB598_591:
	s_or_b64 exec, exec, s[8:9]
	v_cvt_pkrtz_f16_f32 v10, v18, v20
	v_cvt_pkrtz_f16_f32 v11, v11, v23
	ds_read_b128 v[30:33], v22 offset:2064
	s_waitcnt vmcnt(1)
	v_cmp_ne_u16_sdwa s[10:11], v6, v19 src0_sel:BYTE_0 src1_sel:DWORD
	s_waitcnt lgkmcnt(0)
	v_mfma_f32_16x16x16f16 v[14:17], v[10:11], v[30:31], v[14:17]
	v_cvt_pkrtz_f16_f32 v10, v21, v24
	v_cvt_pkrtz_f16_f32 v11, v12, v25
	s_nop 1
	v_mfma_f32_16x16x16f16 v[10:13], v[10:11], v[32:33], v[14:17]
	s_and_saveexec_b64 s[8:9], s[10:11]
	s_cbranch_execz .LBB598_597
; %bb.592:
	s_movk_i32 s7, 0x80
	v_cmp_ne_u16_sdwa s[12:13], v6, s7 src0_sel:BYTE_0 src1_sel:DWORD
	v_bfrev_b32_e32 v19, 1
	s_and_saveexec_b64 s[10:11], s[12:13]
	s_cbranch_execz .LBB598_596
; %bb.593:
	s_movk_i32 s7, 0x7f
	v_and_b32_e32 v14, 0x7f, v6
	v_cmp_ne_u32_e32 vcc, s7, v14
	v_mov_b32_e32 v19, 0x7f800001
	s_and_saveexec_b64 s[12:13], vcc
	s_cbranch_execz .LBB598_595
; %bb.594:
	v_and_b32_e32 v15, 7, v6
	v_ffbh_u32_e32 v16, v15
	v_min_u32_e32 v19, 32, v16
	v_subrev_u32_e32 v16, 28, v19
	v_lshlrev_b64 v[16:17], v16, v[6:7]
	v_lshrrev_b32_e32 v18, 3, v14
	v_sub_u32_e32 v17, 29, v19
	v_and_b32_e32 v16, 7, v16
	v_cmp_gt_u32_e32 vcc, 8, v14
	v_cndmask_b32_e32 v14, v18, v17, vcc
	v_cndmask_b32_e32 v15, v15, v16, vcc
	v_lshlrev_b32_e32 v16, 24, v6
	v_bfrev_b32_e32 v17, 60
	v_lshlrev_b32_e32 v15, 20, v15
	v_and_b32_e32 v16, 0x80000000, v16
	v_lshl_add_u32 v14, v14, 23, v17
	v_or3_b32 v19, v16, v14, v15
.LBB598_595:
	s_or_b64 exec, exec, s[12:13]
.LBB598_596:
	s_or_b64 exec, exec, s[10:11]
.LBB598_597:
	s_or_b64 exec, exec, s[8:9]
	s_nop 3
	v_lshrrev_b16_e32 v14, 8, v6
	v_cmp_ne_u16_e32 vcc, 0, v14
	v_mov_b32_e32 v15, 0
	v_mov_b32_e32 v16, 0
	s_and_saveexec_b64 s[8:9], vcc
	s_cbranch_execz .LBB598_603
; %bb.598:
	s_movk_i32 s7, 0x80
	v_cmp_ne_u16_e32 vcc, s7, v14
	v_bfrev_b32_e32 v16, 1
	s_and_saveexec_b64 s[10:11], vcc
	s_cbranch_execz .LBB598_602
; %bb.599:
	s_movk_i32 s7, 0x7f
	v_and_b32_e32 v17, 0x7f, v14
	v_cmp_ne_u32_e32 vcc, s7, v17
	v_mov_b32_e32 v16, 0x7f800001
	s_and_saveexec_b64 s[12:13], vcc
	s_cbranch_execz .LBB598_601
; %bb.600:
	v_and_b32_e32 v16, 7, v14
	v_ffbh_u32_e32 v20, v16
	v_min_u32_e32 v23, 32, v20
	v_subrev_u32_e32 v20, 28, v23
	v_lshlrev_b64 v[20:21], v20, v[14:15]
	v_lshrrev_b32_e32 v18, 3, v17
	v_sub_u32_e32 v14, 29, v23
	v_and_b32_e32 v20, 7, v20
	v_cmp_gt_u32_e32 vcc, 8, v17
	v_cndmask_b32_e32 v14, v18, v14, vcc
	v_cndmask_b32_e32 v16, v16, v20, vcc
	v_lshlrev_b32_e32 v17, 16, v6
	v_bfrev_b32_e32 v18, 60
	v_lshlrev_b32_e32 v16, 20, v16
	v_and_b32_e32 v17, 0x80000000, v17
	v_lshl_add_u32 v14, v14, 23, v18
	v_or3_b32 v16, v17, v14, v16
.LBB598_601:
	s_or_b64 exec, exec, s[12:13]
.LBB598_602:
	s_or_b64 exec, exec, s[10:11]
.LBB598_603:
	s_or_b64 exec, exec, s[8:9]
	s_movk_i32 s7, 0xff
	v_and_b32_sdwa v17, v6, s7 dst_sel:DWORD dst_unused:UNUSED_PAD src0_sel:WORD_1 src1_sel:DWORD
	v_lshrrev_b32_e32 v14, 16, v6
	v_cmp_ne_u16_e32 vcc, 0, v17
	s_and_saveexec_b64 s[8:9], vcc
	s_cbranch_execz .LBB598_609
; %bb.604:
	s_movk_i32 s7, 0x80
	v_cmp_ne_u16_e32 vcc, s7, v17
	v_bfrev_b32_e32 v15, 1
	s_and_saveexec_b64 s[10:11], vcc
	s_cbranch_execz .LBB598_608
; %bb.605:
	v_bfe_u32 v17, v6, 16, 7
	s_movk_i32 s7, 0x7f
	v_cmp_ne_u32_e32 vcc, s7, v17
	v_mov_b32_e32 v15, 0x7f800001
	s_and_saveexec_b64 s[12:13], vcc
	s_cbranch_execz .LBB598_607
; %bb.606:
	v_and_b32_e32 v18, 7, v14
	v_ffbh_u32_e32 v15, v18
	v_min_u32_e32 v21, 32, v15
	v_subrev_u32_e32 v15, 28, v21
	v_lshlrev_b64 v[14:15], v15, v[14:15]
	v_lshrrev_b32_e32 v20, 3, v17
	v_sub_u32_e32 v15, 29, v21
	v_and_b32_e32 v14, 7, v14
	v_cmp_gt_u32_e32 vcc, 8, v17
	v_mov_b32_e32 v17, 24
	v_cndmask_b32_e32 v15, v20, v15, vcc
	v_cndmask_b32_e32 v14, v18, v14, vcc
	v_lshlrev_b32_sdwa v17, v17, v6 dst_sel:DWORD dst_unused:UNUSED_PAD src0_sel:DWORD src1_sel:WORD_1
	v_bfrev_b32_e32 v18, 60
	v_lshlrev_b32_e32 v14, 20, v14
	v_and_b32_e32 v17, 0x80000000, v17
	v_lshl_add_u32 v15, v15, 23, v18
	v_or3_b32 v15, v17, v15, v14
.LBB598_607:
	s_or_b64 exec, exec, s[12:13]
.LBB598_608:
	s_or_b64 exec, exec, s[10:11]
.LBB598_609:
	s_or_b64 exec, exec, s[8:9]
	s_mov_b32 s7, 0xffffff
	v_cmp_lt_u32_e32 vcc, s7, v6
	v_mov_b32_e32 v17, 0
	v_mov_b32_e32 v18, 0
	s_and_saveexec_b64 s[8:9], vcc
	s_cbranch_execz .LBB598_615
; %bb.610:
	v_lshrrev_b32_e32 v14, 24, v6
	s_movk_i32 s7, 0x80
	v_cmp_ne_u32_e32 vcc, s7, v14
	v_bfrev_b32_e32 v18, 1
	s_and_saveexec_b64 s[10:11], vcc
	s_cbranch_execz .LBB598_614
; %bb.611:
	v_bfe_u32 v6, v6, 24, 7
	s_movk_i32 s7, 0x7f
	v_cmp_ne_u32_e32 vcc, s7, v6
	v_mov_b32_e32 v18, 0x7f800001
	s_and_saveexec_b64 s[12:13], vcc
	s_cbranch_execz .LBB598_613
; %bb.612:
	v_and_b32_e32 v18, 7, v14
	v_ffbh_u32_e32 v20, v18
	v_min_u32_e32 v24, 32, v20
	v_subrev_u32_e32 v20, 28, v24
	v_lshlrev_b64 v[20:21], v20, v[14:15]
	v_lshrrev_b32_e32 v23, 3, v6
	v_sub_u32_e32 v21, 29, v24
	v_and_b32_e32 v20, 7, v20
	v_cmp_gt_u32_e32 vcc, 8, v6
	v_cndmask_b32_e32 v6, v23, v21, vcc
	v_cndmask_b32_e32 v18, v18, v20, vcc
	v_lshlrev_b32_e32 v14, 24, v14
	v_bfrev_b32_e32 v20, 60
	v_lshlrev_b32_e32 v18, 20, v18
	v_and_b32_e32 v14, 0x80000000, v14
	v_lshl_add_u32 v6, v6, 23, v20
	v_or3_b32 v18, v14, v6, v18
.LBB598_613:
	s_or_b64 exec, exec, s[12:13]
.LBB598_614:
	s_or_b64 exec, exec, s[10:11]
.LBB598_615:
	s_or_b64 exec, exec, s[8:9]
	v_cmp_ne_u16_sdwa s[10:11], v7, v17 src0_sel:BYTE_0 src1_sel:DWORD
	s_and_saveexec_b64 s[8:9], s[10:11]
	s_cbranch_execz .LBB598_621
; %bb.616:
	s_movk_i32 s7, 0x80
	v_cmp_ne_u16_sdwa s[12:13], v7, s7 src0_sel:BYTE_0 src1_sel:DWORD
	v_bfrev_b32_e32 v17, 1
	s_and_saveexec_b64 s[10:11], s[12:13]
	s_cbranch_execz .LBB598_620
; %bb.617:
	s_movk_i32 s7, 0x7f
	v_and_b32_e32 v6, 0x7f, v7
	v_cmp_ne_u32_e32 vcc, s7, v6
	v_mov_b32_e32 v17, 0x7f800001
	s_and_saveexec_b64 s[12:13], vcc
	s_cbranch_execz .LBB598_619
; %bb.618:
	v_and_b32_e32 v17, 7, v7
	v_ffbh_u32_e32 v20, v17
	v_min_u32_e32 v24, 32, v20
	v_mov_b32_e32 v14, v7
	v_subrev_u32_e32 v20, 28, v24
	v_lshlrev_b64 v[20:21], v20, v[14:15]
	v_lshrrev_b32_e32 v23, 3, v6
	v_sub_u32_e32 v14, 29, v24
	v_and_b32_e32 v20, 7, v20
	v_cmp_gt_u32_e32 vcc, 8, v6
	v_cndmask_b32_e32 v6, v23, v14, vcc
	v_cndmask_b32_e32 v14, v17, v20, vcc
	v_lshlrev_b32_e32 v17, 24, v7
	v_bfrev_b32_e32 v20, 60
	v_lshlrev_b32_e32 v14, 20, v14
	v_and_b32_e32 v17, 0x80000000, v17
	v_lshl_add_u32 v6, v6, 23, v20
	v_or3_b32 v17, v17, v6, v14
.LBB598_619:
	s_or_b64 exec, exec, s[12:13]
.LBB598_620:
	s_or_b64 exec, exec, s[10:11]
.LBB598_621:
	s_or_b64 exec, exec, s[8:9]
	v_lshrrev_b16_e32 v6, 8, v7
	v_cmp_ne_u16_e32 vcc, 0, v6
	v_mov_b32_e32 v20, 0
	v_mov_b32_e32 v21, 0
	s_and_saveexec_b64 s[8:9], vcc
	s_cbranch_execz .LBB598_627
; %bb.622:
	s_movk_i32 s7, 0x80
	v_cmp_ne_u16_e32 vcc, s7, v6
	v_bfrev_b32_e32 v21, 1
	s_and_saveexec_b64 s[10:11], vcc
	s_cbranch_execz .LBB598_626
; %bb.623:
	s_movk_i32 s7, 0x7f
	v_and_b32_e32 v14, 0x7f, v6
	v_cmp_ne_u32_e32 vcc, s7, v14
	v_mov_b32_e32 v21, 0x7f800001
	s_and_saveexec_b64 s[12:13], vcc
	s_cbranch_execz .LBB598_625
; %bb.624:
	v_and_b32_e32 v21, 7, v6
	v_ffbh_u32_e32 v24, v21
	v_min_u32_e32 v26, 32, v24
	v_subrev_u32_e32 v24, 28, v26
	v_lshlrev_b64 v[24:25], v24, v[6:7]
	v_lshrrev_b32_e32 v23, 3, v14
	v_sub_u32_e32 v6, 29, v26
	v_and_b32_e32 v24, 7, v24
	v_cmp_gt_u32_e32 vcc, 8, v14
	v_cndmask_b32_e32 v6, v23, v6, vcc
	v_cndmask_b32_e32 v14, v21, v24, vcc
	v_lshlrev_b32_e32 v21, 16, v7
	v_bfrev_b32_e32 v23, 60
	v_lshlrev_b32_e32 v14, 20, v14
	v_and_b32_e32 v21, 0x80000000, v21
	v_lshl_add_u32 v6, v6, 23, v23
	v_or3_b32 v21, v21, v6, v14
.LBB598_625:
	s_or_b64 exec, exec, s[12:13]
.LBB598_626:
	s_or_b64 exec, exec, s[10:11]
.LBB598_627:
	s_or_b64 exec, exec, s[8:9]
	s_movk_i32 s7, 0xff
	v_and_b32_sdwa v14, v7, s7 dst_sel:DWORD dst_unused:UNUSED_PAD src0_sel:WORD_1 src1_sel:DWORD
	v_lshrrev_b32_e32 v6, 16, v7
	v_cmp_ne_u16_e32 vcc, 0, v14
	s_and_saveexec_b64 s[8:9], vcc
	s_cbranch_execz .LBB598_633
; %bb.628:
	s_movk_i32 s7, 0x80
	v_cmp_ne_u16_e32 vcc, s7, v14
	v_bfrev_b32_e32 v20, 1
	s_and_saveexec_b64 s[10:11], vcc
	s_cbranch_execz .LBB598_632
; %bb.629:
	v_bfe_u32 v14, v7, 16, 7
	s_movk_i32 s7, 0x7f
	v_cmp_ne_u32_e32 vcc, s7, v14
	v_mov_b32_e32 v20, 0x7f800001
	s_and_saveexec_b64 s[12:13], vcc
	s_cbranch_execz .LBB598_631
; %bb.630:
	v_and_b32_e32 v20, 7, v6
	v_ffbh_u32_e32 v24, v20
	v_min_u32_e32 v26, 32, v24
	v_subrev_u32_e32 v24, 28, v26
	v_lshlrev_b64 v[24:25], v24, v[6:7]
	v_and_b32_e32 v24, 7, v24
	v_cmp_gt_u32_e32 vcc, 8, v14
	v_lshrrev_b32_e32 v23, 3, v14
	v_sub_u32_e32 v6, 29, v26
	v_cndmask_b32_e32 v14, v20, v24, vcc
	v_mov_b32_e32 v20, 24
	v_cndmask_b32_e32 v6, v23, v6, vcc
	v_lshlrev_b32_sdwa v20, v20, v7 dst_sel:DWORD dst_unused:UNUSED_PAD src0_sel:DWORD src1_sel:WORD_1
	v_bfrev_b32_e32 v23, 60
	v_lshlrev_b32_e32 v14, 20, v14
	v_and_b32_e32 v20, 0x80000000, v20
	v_lshl_add_u32 v6, v6, 23, v23
	v_or3_b32 v20, v20, v6, v14
.LBB598_631:
	s_or_b64 exec, exec, s[12:13]
.LBB598_632:
	s_or_b64 exec, exec, s[10:11]
.LBB598_633:
	s_or_b64 exec, exec, s[8:9]
	s_mov_b32 s7, 0xffffff
	v_cmp_lt_u32_e32 vcc, s7, v7
	v_mov_b32_e32 v14, 0
	v_mov_b32_e32 v23, 0
	s_and_saveexec_b64 s[8:9], vcc
	s_cbranch_execz .LBB598_639
; %bb.634:
	v_lshrrev_b32_e32 v6, 24, v7
	s_movk_i32 s7, 0x80
	v_cmp_ne_u32_e32 vcc, s7, v6
	v_bfrev_b32_e32 v23, 1
	s_and_saveexec_b64 s[10:11], vcc
	s_cbranch_execz .LBB598_638
; %bb.635:
	v_bfe_u32 v7, v7, 24, 7
	s_movk_i32 s7, 0x7f
	v_cmp_ne_u32_e32 vcc, s7, v7
	v_mov_b32_e32 v23, 0x7f800001
	s_and_saveexec_b64 s[12:13], vcc
	s_cbranch_execz .LBB598_637
; %bb.636:
	v_and_b32_e32 v23, 7, v6
	v_ffbh_u32_e32 v24, v23
	v_min_u32_e32 v27, 32, v24
	v_subrev_u32_e32 v24, 28, v27
	v_lshlrev_b64 v[24:25], v24, v[6:7]
	v_lshrrev_b32_e32 v26, 3, v7
	v_sub_u32_e32 v25, 29, v27
	v_and_b32_e32 v24, 7, v24
	v_cmp_gt_u32_e32 vcc, 8, v7
	v_cndmask_b32_e32 v7, v26, v25, vcc
	v_cndmask_b32_e32 v23, v23, v24, vcc
	v_lshlrev_b32_e32 v6, 24, v6
	v_bfrev_b32_e32 v24, 60
	v_lshlrev_b32_e32 v23, 20, v23
	v_and_b32_e32 v6, 0x80000000, v6
	v_lshl_add_u32 v7, v7, 23, v24
	v_or3_b32 v23, v6, v7, v23
.LBB598_637:
	s_or_b64 exec, exec, s[12:13]
.LBB598_638:
	s_or_b64 exec, exec, s[10:11]
.LBB598_639:
	s_or_b64 exec, exec, s[8:9]
	v_cvt_pkrtz_f16_f32 v6, v19, v16
	v_cvt_pkrtz_f16_f32 v7, v15, v18
	ds_read_b128 v[24:27], v22 offset:4096
	v_cmp_ne_u16_sdwa s[10:11], v8, v14 src0_sel:BYTE_0 src1_sel:DWORD
	s_waitcnt lgkmcnt(0)
	v_mfma_f32_16x16x16f16 v[10:13], v[6:7], v[24:25], v[10:13]
	v_cvt_pkrtz_f16_f32 v6, v17, v21
	v_cvt_pkrtz_f16_f32 v7, v20, v23
	s_nop 1
	v_mfma_f32_16x16x16f16 v[10:13], v[6:7], v[26:27], v[10:13]
	s_and_saveexec_b64 s[8:9], s[10:11]
	s_cbranch_execz .LBB598_645
; %bb.640:
	s_movk_i32 s7, 0x80
	v_cmp_ne_u16_sdwa s[12:13], v8, s7 src0_sel:BYTE_0 src1_sel:DWORD
	v_bfrev_b32_e32 v14, 1
	s_and_saveexec_b64 s[10:11], s[12:13]
	s_cbranch_execz .LBB598_644
; %bb.641:
	s_movk_i32 s7, 0x7f
	v_and_b32_e32 v6, 0x7f, v8
	v_cmp_ne_u32_e32 vcc, s7, v6
	v_mov_b32_e32 v14, 0x7f800001
	s_and_saveexec_b64 s[12:13], vcc
	s_cbranch_execz .LBB598_643
; %bb.642:
	v_and_b32_e32 v7, 7, v8
	v_ffbh_u32_e32 v14, v7
	v_min_u32_e32 v17, 32, v14
	v_subrev_u32_e32 v14, 28, v17
	v_lshlrev_b64 v[14:15], v14, v[8:9]
	v_lshrrev_b32_e32 v16, 3, v6
	v_sub_u32_e32 v15, 29, v17
	v_and_b32_e32 v14, 7, v14
	v_cmp_gt_u32_e32 vcc, 8, v6
	v_cndmask_b32_e32 v6, v16, v15, vcc
	v_cndmask_b32_e32 v7, v7, v14, vcc
	v_lshlrev_b32_e32 v14, 24, v8
	v_bfrev_b32_e32 v15, 60
	v_lshlrev_b32_e32 v7, 20, v7
	v_and_b32_e32 v14, 0x80000000, v14
	v_lshl_add_u32 v6, v6, 23, v15
	v_or3_b32 v14, v14, v6, v7
.LBB598_643:
	s_or_b64 exec, exec, s[12:13]
.LBB598_644:
	s_or_b64 exec, exec, s[10:11]
.LBB598_645:
	s_or_b64 exec, exec, s[8:9]
	v_lshrrev_b16_e32 v6, 8, v8
	v_cmp_ne_u16_e32 vcc, 0, v6
	v_mov_b32_e32 v7, 0
	v_mov_b32_e32 v16, 0
	s_and_saveexec_b64 s[8:9], vcc
	s_cbranch_execz .LBB598_651
; %bb.646:
	s_movk_i32 s7, 0x80
	v_cmp_ne_u16_e32 vcc, s7, v6
	v_bfrev_b32_e32 v16, 1
	s_and_saveexec_b64 s[10:11], vcc
	s_cbranch_execz .LBB598_650
; %bb.647:
	s_movk_i32 s7, 0x7f
	v_and_b32_e32 v15, 0x7f, v6
	v_cmp_ne_u32_e32 vcc, s7, v15
	v_mov_b32_e32 v16, 0x7f800001
	s_and_saveexec_b64 s[12:13], vcc
	s_cbranch_execz .LBB598_649
; %bb.648:
	v_and_b32_e32 v18, 7, v6
	v_ffbh_u32_e32 v16, v18
	v_min_u32_e32 v20, 32, v16
	v_subrev_u32_e32 v16, 28, v20
	v_lshlrev_b64 v[16:17], v16, v[6:7]
	v_lshrrev_b32_e32 v19, 3, v15
	v_sub_u32_e32 v6, 29, v20
	v_and_b32_e32 v16, 7, v16
	v_cmp_gt_u32_e32 vcc, 8, v15
	v_cndmask_b32_e32 v6, v19, v6, vcc
	v_cndmask_b32_e32 v15, v18, v16, vcc
	v_lshlrev_b32_e32 v16, 16, v8
	v_bfrev_b32_e32 v17, 60
	v_lshlrev_b32_e32 v15, 20, v15
	v_and_b32_e32 v16, 0x80000000, v16
	v_lshl_add_u32 v6, v6, 23, v17
	v_or3_b32 v16, v16, v6, v15
.LBB598_649:
	s_or_b64 exec, exec, s[12:13]
.LBB598_650:
	s_or_b64 exec, exec, s[10:11]
.LBB598_651:
	s_or_b64 exec, exec, s[8:9]
	s_movk_i32 s7, 0xff
	v_and_b32_sdwa v15, v8, s7 dst_sel:DWORD dst_unused:UNUSED_PAD src0_sel:WORD_1 src1_sel:DWORD
	v_lshrrev_b32_e32 v6, 16, v8
	v_cmp_ne_u16_e32 vcc, 0, v15
	s_and_saveexec_b64 s[8:9], vcc
	s_cbranch_execz .LBB598_657
; %bb.652:
	s_movk_i32 s7, 0x80
	v_cmp_ne_u16_e32 vcc, s7, v15
	v_bfrev_b32_e32 v7, 1
	s_and_saveexec_b64 s[10:11], vcc
	s_cbranch_execz .LBB598_656
; %bb.653:
	v_bfe_u32 v15, v8, 16, 7
	s_movk_i32 s7, 0x7f
	v_cmp_ne_u32_e32 vcc, s7, v15
	v_mov_b32_e32 v7, 0x7f800001
	s_and_saveexec_b64 s[12:13], vcc
	s_cbranch_execz .LBB598_655
; %bb.654:
	v_and_b32_e32 v17, 7, v6
	v_ffbh_u32_e32 v7, v17
	v_min_u32_e32 v19, 32, v7
	v_subrev_u32_e32 v7, 28, v19
	v_lshlrev_b64 v[6:7], v7, v[6:7]
	v_lshrrev_b32_e32 v18, 3, v15
	v_sub_u32_e32 v7, 29, v19
	v_and_b32_e32 v6, 7, v6
	v_cmp_gt_u32_e32 vcc, 8, v15
	v_mov_b32_e32 v15, 24
	v_cndmask_b32_e32 v7, v18, v7, vcc
	v_cndmask_b32_e32 v6, v17, v6, vcc
	v_lshlrev_b32_sdwa v15, v15, v8 dst_sel:DWORD dst_unused:UNUSED_PAD src0_sel:DWORD src1_sel:WORD_1
	v_bfrev_b32_e32 v17, 60
	v_lshlrev_b32_e32 v6, 20, v6
	v_and_b32_e32 v15, 0x80000000, v15
	v_lshl_add_u32 v7, v7, 23, v17
	v_or3_b32 v7, v15, v7, v6
.LBB598_655:
	s_or_b64 exec, exec, s[12:13]
.LBB598_656:
	s_or_b64 exec, exec, s[10:11]
.LBB598_657:
	s_or_b64 exec, exec, s[8:9]
	s_mov_b32 s7, 0xffffff
	v_cmp_lt_u32_e32 vcc, s7, v8
	v_mov_b32_e32 v17, 0
	v_mov_b32_e32 v18, 0
	s_and_saveexec_b64 s[8:9], vcc
	s_cbranch_execz .LBB598_663
; %bb.658:
	v_lshrrev_b32_e32 v6, 24, v8
	s_movk_i32 s7, 0x80
	v_cmp_ne_u32_e32 vcc, s7, v6
	v_bfrev_b32_e32 v18, 1
	s_and_saveexec_b64 s[10:11], vcc
	s_cbranch_execz .LBB598_662
; %bb.659:
	v_bfe_u32 v8, v8, 24, 7
	s_movk_i32 s7, 0x7f
	v_cmp_ne_u32_e32 vcc, s7, v8
	v_mov_b32_e32 v18, 0x7f800001
	s_and_saveexec_b64 s[12:13], vcc
	s_cbranch_execz .LBB598_661
; %bb.660:
	v_and_b32_e32 v15, 7, v6
	v_ffbh_u32_e32 v18, v15
	v_min_u32_e32 v21, 32, v18
	v_subrev_u32_e32 v18, 28, v21
	v_lshlrev_b64 v[18:19], v18, v[6:7]
	v_lshrrev_b32_e32 v20, 3, v8
	v_sub_u32_e32 v19, 29, v21
	v_and_b32_e32 v18, 7, v18
	v_cmp_gt_u32_e32 vcc, 8, v8
	v_cndmask_b32_e32 v8, v20, v19, vcc
	v_cndmask_b32_e32 v15, v15, v18, vcc
	v_lshlrev_b32_e32 v6, 24, v6
	v_bfrev_b32_e32 v18, 60
	v_lshlrev_b32_e32 v15, 20, v15
	v_and_b32_e32 v6, 0x80000000, v6
	v_lshl_add_u32 v8, v8, 23, v18
	v_or3_b32 v18, v6, v8, v15
.LBB598_661:
	s_or_b64 exec, exec, s[12:13]
.LBB598_662:
	s_or_b64 exec, exec, s[10:11]
.LBB598_663:
	s_or_b64 exec, exec, s[8:9]
	v_cmp_ne_u16_sdwa s[10:11], v9, v17 src0_sel:BYTE_0 src1_sel:DWORD
	s_and_saveexec_b64 s[8:9], s[10:11]
	s_cbranch_execz .LBB598_669
; %bb.664:
	s_movk_i32 s7, 0x80
	v_cmp_ne_u16_sdwa s[12:13], v9, s7 src0_sel:BYTE_0 src1_sel:DWORD
	v_bfrev_b32_e32 v17, 1
	s_and_saveexec_b64 s[10:11], s[12:13]
	s_cbranch_execz .LBB598_668
; %bb.665:
	s_movk_i32 s7, 0x7f
	v_and_b32_e32 v6, 0x7f, v9
	v_cmp_ne_u32_e32 vcc, s7, v6
	v_mov_b32_e32 v17, 0x7f800001
	s_and_saveexec_b64 s[12:13], vcc
	s_cbranch_execz .LBB598_667
; %bb.666:
	v_and_b32_e32 v15, 7, v9
	v_ffbh_u32_e32 v19, v15
	v_min_u32_e32 v19, 32, v19
	v_mov_b32_e32 v8, v9
	v_subrev_u32_e32 v20, 28, v19
	v_lshlrev_b64 v[20:21], v20, v[8:9]
	v_lshrrev_b32_e32 v17, 3, v6
	v_sub_u32_e32 v8, 29, v19
	v_and_b32_e32 v19, 7, v20
	v_cmp_gt_u32_e32 vcc, 8, v6
	v_cndmask_b32_e32 v6, v17, v8, vcc
	v_cndmask_b32_e32 v8, v15, v19, vcc
	v_lshlrev_b32_e32 v15, 24, v9
	v_bfrev_b32_e32 v17, 60
	v_lshlrev_b32_e32 v8, 20, v8
	v_and_b32_e32 v15, 0x80000000, v15
	v_lshl_add_u32 v6, v6, 23, v17
	v_or3_b32 v17, v15, v6, v8
.LBB598_667:
	s_or_b64 exec, exec, s[12:13]
.LBB598_668:
	s_or_b64 exec, exec, s[10:11]
.LBB598_669:
	s_or_b64 exec, exec, s[8:9]
	v_lshrrev_b16_e32 v6, 8, v9
	v_cmp_ne_u16_e32 vcc, 0, v6
	v_mov_b32_e32 v8, 0
	v_mov_b32_e32 v19, 0
	s_and_saveexec_b64 s[8:9], vcc
	s_cbranch_execz .LBB598_675
; %bb.670:
	s_movk_i32 s7, 0x80
	v_cmp_ne_u16_e32 vcc, s7, v6
	v_bfrev_b32_e32 v19, 1
	s_and_saveexec_b64 s[10:11], vcc
	s_cbranch_execz .LBB598_674
; %bb.671:
	s_movk_i32 s7, 0x7f
	v_and_b32_e32 v15, 0x7f, v6
	v_cmp_ne_u32_e32 vcc, s7, v15
	v_mov_b32_e32 v19, 0x7f800001
	s_and_saveexec_b64 s[12:13], vcc
	s_cbranch_execz .LBB598_673
; %bb.672:
	v_and_b32_e32 v19, 7, v6
	v_ffbh_u32_e32 v20, v19
	v_min_u32_e32 v24, 32, v20
	v_subrev_u32_e32 v20, 28, v24
	v_lshlrev_b64 v[20:21], v20, v[6:7]
	v_lshrrev_b32_e32 v23, 3, v15
	v_sub_u32_e32 v6, 29, v24
	v_and_b32_e32 v20, 7, v20
	v_cmp_gt_u32_e32 vcc, 8, v15
	v_cndmask_b32_e32 v6, v23, v6, vcc
	v_cndmask_b32_e32 v15, v19, v20, vcc
	v_lshlrev_b32_e32 v19, 16, v9
	v_bfrev_b32_e32 v20, 60
	v_lshlrev_b32_e32 v15, 20, v15
	v_and_b32_e32 v19, 0x80000000, v19
	v_lshl_add_u32 v6, v6, 23, v20
	v_or3_b32 v19, v19, v6, v15
.LBB598_673:
	s_or_b64 exec, exec, s[12:13]
.LBB598_674:
	s_or_b64 exec, exec, s[10:11]
.LBB598_675:
	s_or_b64 exec, exec, s[8:9]
	s_movk_i32 s7, 0xff
	v_and_b32_sdwa v15, v9, s7 dst_sel:DWORD dst_unused:UNUSED_PAD src0_sel:WORD_1 src1_sel:DWORD
	v_lshrrev_b32_e32 v6, 16, v9
	v_cmp_ne_u16_e32 vcc, 0, v15
	s_and_saveexec_b64 s[8:9], vcc
	s_cbranch_execz .LBB598_681
; %bb.676:
	s_movk_i32 s7, 0x80
	v_cmp_ne_u16_e32 vcc, s7, v15
	v_bfrev_b32_e32 v8, 1
	s_and_saveexec_b64 s[10:11], vcc
	s_cbranch_execz .LBB598_680
; %bb.677:
	v_bfe_u32 v15, v9, 16, 7
	s_movk_i32 s7, 0x7f
	v_cmp_ne_u32_e32 vcc, s7, v15
	v_mov_b32_e32 v8, 0x7f800001
	s_and_saveexec_b64 s[12:13], vcc
	s_cbranch_execz .LBB598_679
; %bb.678:
	v_and_b32_e32 v8, 7, v6
	v_ffbh_u32_e32 v20, v8
	v_min_u32_e32 v24, 32, v20
	v_subrev_u32_e32 v20, 28, v24
	v_lshlrev_b64 v[20:21], v20, v[6:7]
	v_lshrrev_b32_e32 v23, 3, v15
	v_sub_u32_e32 v6, 29, v24
	v_and_b32_e32 v20, 7, v20
	v_cmp_gt_u32_e32 vcc, 8, v15
	v_mov_b32_e32 v15, 24
	v_cndmask_b32_e32 v6, v23, v6, vcc
	v_cndmask_b32_e32 v8, v8, v20, vcc
	v_lshlrev_b32_sdwa v15, v15, v9 dst_sel:DWORD dst_unused:UNUSED_PAD src0_sel:DWORD src1_sel:WORD_1
	v_bfrev_b32_e32 v20, 60
	v_lshlrev_b32_e32 v8, 20, v8
	v_and_b32_e32 v15, 0x80000000, v15
	v_lshl_add_u32 v6, v6, 23, v20
	v_or3_b32 v8, v15, v6, v8
.LBB598_679:
	s_or_b64 exec, exec, s[12:13]
.LBB598_680:
	s_or_b64 exec, exec, s[10:11]
.LBB598_681:
	s_or_b64 exec, exec, s[8:9]
	s_mov_b32 s7, 0xffffff
	v_cmp_lt_u32_e32 vcc, s7, v9
	v_mov_b32_e32 v15, 0
	v_mov_b32_e32 v20, 0
	s_and_saveexec_b64 s[8:9], vcc
	s_cbranch_execz .LBB598_687
; %bb.682:
	v_lshrrev_b32_e32 v6, 24, v9
	s_movk_i32 s7, 0x80
	v_cmp_ne_u32_e32 vcc, s7, v6
	v_bfrev_b32_e32 v20, 1
	s_and_saveexec_b64 s[10:11], vcc
	s_cbranch_execz .LBB598_686
; %bb.683:
	v_bfe_u32 v9, v9, 24, 7
	s_movk_i32 s7, 0x7f
	v_cmp_ne_u32_e32 vcc, s7, v9
	v_mov_b32_e32 v20, 0x7f800001
	s_and_saveexec_b64 s[12:13], vcc
	s_cbranch_execz .LBB598_685
; %bb.684:
	v_and_b32_e32 v23, 7, v6
	v_ffbh_u32_e32 v20, v23
	v_min_u32_e32 v25, 32, v20
	v_subrev_u32_e32 v20, 28, v25
	v_lshlrev_b64 v[20:21], v20, v[6:7]
	v_lshrrev_b32_e32 v24, 3, v9
	v_sub_u32_e32 v21, 29, v25
	v_and_b32_e32 v20, 7, v20
	v_cmp_gt_u32_e32 vcc, 8, v9
	v_cndmask_b32_e32 v9, v24, v21, vcc
	v_cndmask_b32_e32 v20, v23, v20, vcc
	v_lshlrev_b32_e32 v6, 24, v6
	v_bfrev_b32_e32 v21, 60
	v_lshlrev_b32_e32 v20, 20, v20
	v_and_b32_e32 v6, 0x80000000, v6
	v_lshl_add_u32 v9, v9, 23, v21
	v_or3_b32 v20, v6, v9, v20
.LBB598_685:
	s_or_b64 exec, exec, s[12:13]
.LBB598_686:
	s_or_b64 exec, exec, s[10:11]
.LBB598_687:
	s_or_b64 exec, exec, s[8:9]
	v_cvt_pkrtz_f16_f32 v6, v14, v16
	v_cvt_pkrtz_f16_f32 v7, v7, v18
	ds_read_b128 v[24:27], v22 offset:4112
	s_waitcnt vmcnt(0)
	v_cmp_ne_u16_sdwa s[10:11], v2, v15 src0_sel:BYTE_0 src1_sel:DWORD
	s_waitcnt lgkmcnt(0)
	v_mfma_f32_16x16x16f16 v[10:13], v[6:7], v[24:25], v[10:13]
	v_cvt_pkrtz_f16_f32 v6, v17, v19
	v_cvt_pkrtz_f16_f32 v7, v8, v20
	s_nop 1
	v_mfma_f32_16x16x16f16 v[6:9], v[6:7], v[26:27], v[10:13]
	s_and_saveexec_b64 s[8:9], s[10:11]
	s_cbranch_execz .LBB598_693
; %bb.688:
	s_movk_i32 s7, 0x80
	v_cmp_ne_u16_sdwa s[12:13], v2, s7 src0_sel:BYTE_0 src1_sel:DWORD
	v_bfrev_b32_e32 v15, 1
	s_and_saveexec_b64 s[10:11], s[12:13]
	s_cbranch_execz .LBB598_692
; %bb.689:
	s_movk_i32 s7, 0x7f
	v_and_b32_e32 v10, 0x7f, v2
	v_cmp_ne_u32_e32 vcc, s7, v10
	v_mov_b32_e32 v15, 0x7f800001
	s_and_saveexec_b64 s[12:13], vcc
	s_cbranch_execz .LBB598_691
; %bb.690:
	v_and_b32_e32 v11, 7, v2
	v_ffbh_u32_e32 v12, v11
	v_min_u32_e32 v15, 32, v12
	v_subrev_u32_e32 v12, 28, v15
	v_lshlrev_b64 v[12:13], v12, v[2:3]
	v_lshrrev_b32_e32 v14, 3, v10
	v_sub_u32_e32 v13, 29, v15
	v_and_b32_e32 v12, 7, v12
	v_cmp_gt_u32_e32 vcc, 8, v10
	v_cndmask_b32_e32 v10, v14, v13, vcc
	v_cndmask_b32_e32 v11, v11, v12, vcc
	v_lshlrev_b32_e32 v12, 24, v2
	v_bfrev_b32_e32 v13, 60
	v_lshlrev_b32_e32 v11, 20, v11
	v_and_b32_e32 v12, 0x80000000, v12
	v_lshl_add_u32 v10, v10, 23, v13
	v_or3_b32 v15, v12, v10, v11
.LBB598_691:
	s_or_b64 exec, exec, s[12:13]
.LBB598_692:
	s_or_b64 exec, exec, s[10:11]
.LBB598_693:
	s_or_b64 exec, exec, s[8:9]
	s_nop 3
	v_lshrrev_b16_e32 v10, 8, v2
	v_cmp_ne_u16_e32 vcc, 0, v10
	v_mov_b32_e32 v11, 0
	v_mov_b32_e32 v12, 0
	s_and_saveexec_b64 s[8:9], vcc
	s_cbranch_execz .LBB598_699
; %bb.694:
	s_movk_i32 s7, 0x80
	v_cmp_ne_u16_e32 vcc, s7, v10
	v_bfrev_b32_e32 v12, 1
	s_and_saveexec_b64 s[10:11], vcc
	s_cbranch_execz .LBB598_698
; %bb.695:
	s_movk_i32 s7, 0x7f
	v_and_b32_e32 v13, 0x7f, v10
	v_cmp_ne_u32_e32 vcc, s7, v13
	v_mov_b32_e32 v12, 0x7f800001
	s_and_saveexec_b64 s[12:13], vcc
	s_cbranch_execz .LBB598_697
; %bb.696:
	v_and_b32_e32 v12, 7, v10
	v_ffbh_u32_e32 v16, v12
	v_min_u32_e32 v18, 32, v16
	v_subrev_u32_e32 v16, 28, v18
	v_lshlrev_b64 v[16:17], v16, v[10:11]
	v_lshrrev_b32_e32 v14, 3, v13
	v_sub_u32_e32 v10, 29, v18
	v_and_b32_e32 v16, 7, v16
	v_cmp_gt_u32_e32 vcc, 8, v13
	v_cndmask_b32_e32 v10, v14, v10, vcc
	v_cndmask_b32_e32 v12, v12, v16, vcc
	v_lshlrev_b32_e32 v13, 16, v2
	v_bfrev_b32_e32 v14, 60
	v_lshlrev_b32_e32 v12, 20, v12
	v_and_b32_e32 v13, 0x80000000, v13
	v_lshl_add_u32 v10, v10, 23, v14
	v_or3_b32 v12, v13, v10, v12
.LBB598_697:
	s_or_b64 exec, exec, s[12:13]
.LBB598_698:
	s_or_b64 exec, exec, s[10:11]
.LBB598_699:
	s_or_b64 exec, exec, s[8:9]
	s_movk_i32 s7, 0xff
	v_and_b32_sdwa v13, v2, s7 dst_sel:DWORD dst_unused:UNUSED_PAD src0_sel:WORD_1 src1_sel:DWORD
	v_lshrrev_b32_e32 v10, 16, v2
	v_cmp_ne_u16_e32 vcc, 0, v13
	s_and_saveexec_b64 s[8:9], vcc
	s_cbranch_execz .LBB598_705
; %bb.700:
	s_movk_i32 s7, 0x80
	v_cmp_ne_u16_e32 vcc, s7, v13
	v_bfrev_b32_e32 v11, 1
	s_and_saveexec_b64 s[10:11], vcc
	s_cbranch_execz .LBB598_704
; %bb.701:
	v_bfe_u32 v13, v2, 16, 7
	s_movk_i32 s7, 0x7f
	v_cmp_ne_u32_e32 vcc, s7, v13
	v_mov_b32_e32 v11, 0x7f800001
	s_and_saveexec_b64 s[12:13], vcc
	s_cbranch_execz .LBB598_703
; %bb.702:
	v_and_b32_e32 v14, 7, v10
	v_ffbh_u32_e32 v11, v14
	v_min_u32_e32 v17, 32, v11
	v_subrev_u32_e32 v11, 28, v17
	v_lshlrev_b64 v[10:11], v11, v[10:11]
	v_lshrrev_b32_e32 v16, 3, v13
	v_sub_u32_e32 v11, 29, v17
	v_and_b32_e32 v10, 7, v10
	v_cmp_gt_u32_e32 vcc, 8, v13
	v_mov_b32_e32 v13, 24
	v_cndmask_b32_e32 v11, v16, v11, vcc
	v_cndmask_b32_e32 v10, v14, v10, vcc
	v_lshlrev_b32_sdwa v13, v13, v2 dst_sel:DWORD dst_unused:UNUSED_PAD src0_sel:DWORD src1_sel:WORD_1
	v_bfrev_b32_e32 v14, 60
	v_lshlrev_b32_e32 v10, 20, v10
	v_and_b32_e32 v13, 0x80000000, v13
	v_lshl_add_u32 v11, v11, 23, v14
	v_or3_b32 v11, v13, v11, v10
.LBB598_703:
	s_or_b64 exec, exec, s[12:13]
.LBB598_704:
	s_or_b64 exec, exec, s[10:11]
.LBB598_705:
	s_or_b64 exec, exec, s[8:9]
	s_mov_b32 s7, 0xffffff
	v_cmp_lt_u32_e32 vcc, s7, v2
	v_mov_b32_e32 v13, 0
	v_mov_b32_e32 v14, 0
	s_and_saveexec_b64 s[8:9], vcc
	s_cbranch_execz .LBB598_711
; %bb.706:
	v_lshrrev_b32_e32 v10, 24, v2
	s_movk_i32 s7, 0x80
	v_cmp_ne_u32_e32 vcc, s7, v10
	v_bfrev_b32_e32 v14, 1
	s_and_saveexec_b64 s[10:11], vcc
	s_cbranch_execz .LBB598_710
; %bb.707:
	v_bfe_u32 v2, v2, 24, 7
	s_movk_i32 s7, 0x7f
	v_cmp_ne_u32_e32 vcc, s7, v2
	v_mov_b32_e32 v14, 0x7f800001
	s_and_saveexec_b64 s[12:13], vcc
	s_cbranch_execz .LBB598_709
; %bb.708:
	v_and_b32_e32 v14, 7, v10
	v_ffbh_u32_e32 v16, v14
	v_min_u32_e32 v19, 32, v16
	v_subrev_u32_e32 v16, 28, v19
	v_lshlrev_b64 v[16:17], v16, v[10:11]
	v_lshrrev_b32_e32 v18, 3, v2
	v_sub_u32_e32 v17, 29, v19
	v_and_b32_e32 v16, 7, v16
	v_cmp_gt_u32_e32 vcc, 8, v2
	v_cndmask_b32_e32 v2, v18, v17, vcc
	v_cndmask_b32_e32 v14, v14, v16, vcc
	v_lshlrev_b32_e32 v10, 24, v10
	v_bfrev_b32_e32 v16, 60
	v_lshlrev_b32_e32 v14, 20, v14
	v_and_b32_e32 v10, 0x80000000, v10
	v_lshl_add_u32 v2, v2, 23, v16
	v_or3_b32 v14, v10, v2, v14
.LBB598_709:
	s_or_b64 exec, exec, s[12:13]
.LBB598_710:
	s_or_b64 exec, exec, s[10:11]
.LBB598_711:
	s_or_b64 exec, exec, s[8:9]
	v_cmp_ne_u16_sdwa s[10:11], v3, v13 src0_sel:BYTE_0 src1_sel:DWORD
	s_and_saveexec_b64 s[8:9], s[10:11]
	s_cbranch_execz .LBB598_717
; %bb.712:
	s_movk_i32 s7, 0x80
	v_cmp_ne_u16_sdwa s[12:13], v3, s7 src0_sel:BYTE_0 src1_sel:DWORD
	v_bfrev_b32_e32 v13, 1
	s_and_saveexec_b64 s[10:11], s[12:13]
	s_cbranch_execz .LBB598_716
; %bb.713:
	s_movk_i32 s7, 0x7f
	v_and_b32_e32 v2, 0x7f, v3
	v_cmp_ne_u32_e32 vcc, s7, v2
	v_mov_b32_e32 v13, 0x7f800001
	s_and_saveexec_b64 s[12:13], vcc
	s_cbranch_execz .LBB598_715
; %bb.714:
	v_and_b32_e32 v13, 7, v3
	v_ffbh_u32_e32 v16, v13
	v_min_u32_e32 v19, 32, v16
	v_mov_b32_e32 v10, v3
	v_subrev_u32_e32 v16, 28, v19
	v_lshlrev_b64 v[16:17], v16, v[10:11]
	v_lshrrev_b32_e32 v18, 3, v2
	v_sub_u32_e32 v10, 29, v19
	v_and_b32_e32 v16, 7, v16
	v_cmp_gt_u32_e32 vcc, 8, v2
	v_cndmask_b32_e32 v2, v18, v10, vcc
	v_cndmask_b32_e32 v10, v13, v16, vcc
	v_lshlrev_b32_e32 v13, 24, v3
	v_bfrev_b32_e32 v16, 60
	v_lshlrev_b32_e32 v10, 20, v10
	v_and_b32_e32 v13, 0x80000000, v13
	v_lshl_add_u32 v2, v2, 23, v16
	v_or3_b32 v13, v13, v2, v10
.LBB598_715:
	s_or_b64 exec, exec, s[12:13]
.LBB598_716:
	s_or_b64 exec, exec, s[10:11]
.LBB598_717:
	s_or_b64 exec, exec, s[8:9]
	v_lshrrev_b16_e32 v2, 8, v3
	v_cmp_ne_u16_e32 vcc, 0, v2
	v_mov_b32_e32 v16, 0
	v_mov_b32_e32 v17, 0
	s_and_saveexec_b64 s[8:9], vcc
	s_cbranch_execz .LBB598_723
; %bb.718:
	s_movk_i32 s7, 0x80
	v_cmp_ne_u16_e32 vcc, s7, v2
	v_bfrev_b32_e32 v17, 1
	s_and_saveexec_b64 s[10:11], vcc
	s_cbranch_execz .LBB598_722
; %bb.719:
	s_movk_i32 s7, 0x7f
	v_and_b32_e32 v10, 0x7f, v2
	v_cmp_ne_u32_e32 vcc, s7, v10
	v_mov_b32_e32 v17, 0x7f800001
	s_and_saveexec_b64 s[12:13], vcc
	s_cbranch_execz .LBB598_721
; %bb.720:
	v_and_b32_e32 v17, 7, v2
	v_ffbh_u32_e32 v18, v17
	v_min_u32_e32 v21, 32, v18
	v_subrev_u32_e32 v18, 28, v21
	v_lshlrev_b64 v[18:19], v18, v[2:3]
	v_lshrrev_b32_e32 v20, 3, v10
	v_sub_u32_e32 v2, 29, v21
	v_and_b32_e32 v18, 7, v18
	v_cmp_gt_u32_e32 vcc, 8, v10
	v_cndmask_b32_e32 v2, v20, v2, vcc
	v_cndmask_b32_e32 v10, v17, v18, vcc
	v_lshlrev_b32_e32 v17, 16, v3
	v_bfrev_b32_e32 v18, 60
	v_lshlrev_b32_e32 v10, 20, v10
	v_and_b32_e32 v17, 0x80000000, v17
	v_lshl_add_u32 v2, v2, 23, v18
	v_or3_b32 v17, v17, v2, v10
.LBB598_721:
	s_or_b64 exec, exec, s[12:13]
.LBB598_722:
	s_or_b64 exec, exec, s[10:11]
.LBB598_723:
	s_or_b64 exec, exec, s[8:9]
	s_movk_i32 s7, 0xff
	v_and_b32_sdwa v10, v3, s7 dst_sel:DWORD dst_unused:UNUSED_PAD src0_sel:WORD_1 src1_sel:DWORD
	v_lshrrev_b32_e32 v2, 16, v3
	v_cmp_ne_u16_e32 vcc, 0, v10
	s_and_saveexec_b64 s[8:9], vcc
	s_cbranch_execz .LBB598_729
; %bb.724:
	s_movk_i32 s7, 0x80
	v_cmp_ne_u16_e32 vcc, s7, v10
	v_bfrev_b32_e32 v16, 1
	s_and_saveexec_b64 s[10:11], vcc
	s_cbranch_execz .LBB598_728
; %bb.725:
	v_bfe_u32 v10, v3, 16, 7
	s_movk_i32 s7, 0x7f
	v_cmp_ne_u32_e32 vcc, s7, v10
	v_mov_b32_e32 v16, 0x7f800001
	s_and_saveexec_b64 s[12:13], vcc
	s_cbranch_execz .LBB598_727
; %bb.726:
	v_and_b32_e32 v16, 7, v2
	v_ffbh_u32_e32 v18, v16
	v_min_u32_e32 v21, 32, v18
	v_subrev_u32_e32 v18, 28, v21
	v_lshlrev_b64 v[18:19], v18, v[2:3]
	v_and_b32_e32 v18, 7, v18
	v_cmp_gt_u32_e32 vcc, 8, v10
	v_lshrrev_b32_e32 v20, 3, v10
	v_sub_u32_e32 v2, 29, v21
	v_cndmask_b32_e32 v10, v16, v18, vcc
	v_mov_b32_e32 v16, 24
	v_cndmask_b32_e32 v2, v20, v2, vcc
	v_lshlrev_b32_sdwa v16, v16, v3 dst_sel:DWORD dst_unused:UNUSED_PAD src0_sel:DWORD src1_sel:WORD_1
	v_bfrev_b32_e32 v18, 60
	v_lshlrev_b32_e32 v10, 20, v10
	v_and_b32_e32 v16, 0x80000000, v16
	v_lshl_add_u32 v2, v2, 23, v18
	v_or3_b32 v16, v16, v2, v10
.LBB598_727:
	s_or_b64 exec, exec, s[12:13]
.LBB598_728:
	s_or_b64 exec, exec, s[10:11]
.LBB598_729:
	s_or_b64 exec, exec, s[8:9]
	s_mov_b32 s7, 0xffffff
	v_cmp_lt_u32_e32 vcc, s7, v3
	v_mov_b32_e32 v10, 0
	v_mov_b32_e32 v18, 0
	s_and_saveexec_b64 s[8:9], vcc
	s_cbranch_execz .LBB598_735
; %bb.730:
	v_lshrrev_b32_e32 v2, 24, v3
	s_movk_i32 s7, 0x80
	v_cmp_ne_u32_e32 vcc, s7, v2
	v_bfrev_b32_e32 v18, 1
	s_and_saveexec_b64 s[10:11], vcc
	s_cbranch_execz .LBB598_734
; %bb.731:
	v_bfe_u32 v3, v3, 24, 7
	s_movk_i32 s7, 0x7f
	v_cmp_ne_u32_e32 vcc, s7, v3
	v_mov_b32_e32 v18, 0x7f800001
	s_and_saveexec_b64 s[12:13], vcc
	s_cbranch_execz .LBB598_733
; %bb.732:
	v_and_b32_e32 v20, 7, v2
	v_ffbh_u32_e32 v18, v20
	v_min_u32_e32 v23, 32, v18
	v_subrev_u32_e32 v18, 28, v23
	v_lshlrev_b64 v[18:19], v18, v[2:3]
	v_lshrrev_b32_e32 v21, 3, v3
	v_sub_u32_e32 v19, 29, v23
	v_and_b32_e32 v18, 7, v18
	v_cmp_gt_u32_e32 vcc, 8, v3
	v_cndmask_b32_e32 v3, v21, v19, vcc
	v_cndmask_b32_e32 v18, v20, v18, vcc
	v_lshlrev_b32_e32 v2, 24, v2
	v_bfrev_b32_e32 v19, 60
	v_lshlrev_b32_e32 v18, 20, v18
	v_and_b32_e32 v2, 0x80000000, v2
	v_lshl_add_u32 v3, v3, 23, v19
	v_or3_b32 v18, v2, v3, v18
.LBB598_733:
	s_or_b64 exec, exec, s[12:13]
.LBB598_734:
	s_or_b64 exec, exec, s[10:11]
.LBB598_735:
	s_or_b64 exec, exec, s[8:9]
	v_cvt_pkrtz_f16_f32 v2, v15, v12
	v_cvt_pkrtz_f16_f32 v3, v11, v14
	ds_read_b128 v[24:27], v22 offset:6144
	v_cmp_ne_u16_sdwa s[10:11], v4, v10 src0_sel:BYTE_0 src1_sel:DWORD
	s_waitcnt lgkmcnt(0)
	v_mfma_f32_16x16x16f16 v[6:9], v[2:3], v[24:25], v[6:9]
	v_cvt_pkrtz_f16_f32 v2, v13, v17
	v_cvt_pkrtz_f16_f32 v3, v16, v18
	s_nop 1
	v_mfma_f32_16x16x16f16 v[6:9], v[2:3], v[26:27], v[6:9]
	s_and_saveexec_b64 s[8:9], s[10:11]
	s_cbranch_execz .LBB598_741
; %bb.736:
	s_movk_i32 s7, 0x80
	v_cmp_ne_u16_sdwa s[12:13], v4, s7 src0_sel:BYTE_0 src1_sel:DWORD
	v_bfrev_b32_e32 v10, 1
	s_and_saveexec_b64 s[10:11], s[12:13]
	s_cbranch_execz .LBB598_740
; %bb.737:
	s_movk_i32 s7, 0x7f
	v_and_b32_e32 v2, 0x7f, v4
	v_cmp_ne_u32_e32 vcc, s7, v2
	v_mov_b32_e32 v10, 0x7f800001
	s_and_saveexec_b64 s[12:13], vcc
	s_cbranch_execz .LBB598_739
; %bb.738:
	v_and_b32_e32 v3, 7, v4
	v_ffbh_u32_e32 v10, v3
	v_min_u32_e32 v13, 32, v10
	v_subrev_u32_e32 v10, 28, v13
	v_lshlrev_b64 v[10:11], v10, v[4:5]
	v_lshrrev_b32_e32 v12, 3, v2
	v_sub_u32_e32 v11, 29, v13
	v_and_b32_e32 v10, 7, v10
	v_cmp_gt_u32_e32 vcc, 8, v2
	v_cndmask_b32_e32 v2, v12, v11, vcc
	v_cndmask_b32_e32 v3, v3, v10, vcc
	v_lshlrev_b32_e32 v10, 24, v4
	v_bfrev_b32_e32 v11, 60
	v_lshlrev_b32_e32 v3, 20, v3
	v_and_b32_e32 v10, 0x80000000, v10
	v_lshl_add_u32 v2, v2, 23, v11
	v_or3_b32 v10, v10, v2, v3
.LBB598_739:
	s_or_b64 exec, exec, s[12:13]
.LBB598_740:
	s_or_b64 exec, exec, s[10:11]
.LBB598_741:
	s_or_b64 exec, exec, s[8:9]
	v_lshrrev_b16_e32 v2, 8, v4
	v_cmp_ne_u16_e32 vcc, 0, v2
	v_mov_b32_e32 v3, 0
	v_mov_b32_e32 v11, 0
	s_and_saveexec_b64 s[8:9], vcc
	s_cbranch_execz .LBB598_747
; %bb.742:
	s_movk_i32 s7, 0x80
	v_cmp_ne_u16_e32 vcc, s7, v2
	v_bfrev_b32_e32 v11, 1
	s_and_saveexec_b64 s[10:11], vcc
	s_cbranch_execz .LBB598_746
; %bb.743:
	s_movk_i32 s7, 0x7f
	v_and_b32_e32 v12, 0x7f, v2
	v_cmp_ne_u32_e32 vcc, s7, v12
	v_mov_b32_e32 v11, 0x7f800001
	s_and_saveexec_b64 s[12:13], vcc
	s_cbranch_execz .LBB598_745
; %bb.744:
	v_and_b32_e32 v11, 7, v2
	v_ffbh_u32_e32 v14, v11
	v_min_u32_e32 v16, 32, v14
	v_subrev_u32_e32 v14, 28, v16
	v_lshlrev_b64 v[14:15], v14, v[2:3]
	v_lshrrev_b32_e32 v13, 3, v12
	v_sub_u32_e32 v2, 29, v16
	v_and_b32_e32 v14, 7, v14
	v_cmp_gt_u32_e32 vcc, 8, v12
	v_cndmask_b32_e32 v2, v13, v2, vcc
	v_cndmask_b32_e32 v11, v11, v14, vcc
	v_lshlrev_b32_e32 v12, 16, v4
	v_bfrev_b32_e32 v13, 60
	v_lshlrev_b32_e32 v11, 20, v11
	v_and_b32_e32 v12, 0x80000000, v12
	v_lshl_add_u32 v2, v2, 23, v13
	v_or3_b32 v11, v12, v2, v11
.LBB598_745:
	s_or_b64 exec, exec, s[12:13]
.LBB598_746:
	s_or_b64 exec, exec, s[10:11]
.LBB598_747:
	s_or_b64 exec, exec, s[8:9]
	s_movk_i32 s7, 0xff
	v_and_b32_sdwa v12, v4, s7 dst_sel:DWORD dst_unused:UNUSED_PAD src0_sel:WORD_1 src1_sel:DWORD
	v_lshrrev_b32_e32 v2, 16, v4
	v_cmp_ne_u16_e32 vcc, 0, v12
	s_and_saveexec_b64 s[8:9], vcc
	s_cbranch_execz .LBB598_753
; %bb.748:
	s_movk_i32 s7, 0x80
	v_cmp_ne_u16_e32 vcc, s7, v12
	v_bfrev_b32_e32 v3, 1
	s_and_saveexec_b64 s[10:11], vcc
	s_cbranch_execz .LBB598_752
; %bb.749:
	v_bfe_u32 v12, v4, 16, 7
	s_movk_i32 s7, 0x7f
	v_cmp_ne_u32_e32 vcc, s7, v12
	v_mov_b32_e32 v3, 0x7f800001
	s_and_saveexec_b64 s[12:13], vcc
	s_cbranch_execz .LBB598_751
; %bb.750:
	v_and_b32_e32 v13, 7, v2
	v_ffbh_u32_e32 v3, v13
	v_min_u32_e32 v15, 32, v3
	v_subrev_u32_e32 v3, 28, v15
	v_lshlrev_b64 v[2:3], v3, v[2:3]
	v_lshrrev_b32_e32 v14, 3, v12
	v_sub_u32_e32 v3, 29, v15
	v_and_b32_e32 v2, 7, v2
	v_cmp_gt_u32_e32 vcc, 8, v12
	v_mov_b32_e32 v12, 24
	v_cndmask_b32_e32 v3, v14, v3, vcc
	v_cndmask_b32_e32 v2, v13, v2, vcc
	v_lshlrev_b32_sdwa v12, v12, v4 dst_sel:DWORD dst_unused:UNUSED_PAD src0_sel:DWORD src1_sel:WORD_1
	v_bfrev_b32_e32 v13, 60
	v_lshlrev_b32_e32 v2, 20, v2
	v_and_b32_e32 v12, 0x80000000, v12
	v_lshl_add_u32 v3, v3, 23, v13
	v_or3_b32 v3, v12, v3, v2
.LBB598_751:
	s_or_b64 exec, exec, s[12:13]
.LBB598_752:
	s_or_b64 exec, exec, s[10:11]
.LBB598_753:
	s_or_b64 exec, exec, s[8:9]
	s_mov_b32 s7, 0xffffff
	v_cmp_lt_u32_e32 vcc, s7, v4
	v_mov_b32_e32 v12, 0
	v_mov_b32_e32 v13, 0
	s_and_saveexec_b64 s[8:9], vcc
	s_cbranch_execz .LBB598_759
; %bb.754:
	v_lshrrev_b32_e32 v2, 24, v4
	s_movk_i32 s7, 0x80
	v_cmp_ne_u32_e32 vcc, s7, v2
	v_bfrev_b32_e32 v13, 1
	s_and_saveexec_b64 s[10:11], vcc
	s_cbranch_execz .LBB598_758
; %bb.755:
	v_bfe_u32 v4, v4, 24, 7
	s_movk_i32 s7, 0x7f
	v_cmp_ne_u32_e32 vcc, s7, v4
	v_mov_b32_e32 v13, 0x7f800001
	s_and_saveexec_b64 s[12:13], vcc
	s_cbranch_execz .LBB598_757
; %bb.756:
	v_and_b32_e32 v13, 7, v2
	v_ffbh_u32_e32 v14, v13
	v_min_u32_e32 v17, 32, v14
	v_subrev_u32_e32 v14, 28, v17
	v_lshlrev_b64 v[14:15], v14, v[2:3]
	v_lshrrev_b32_e32 v16, 3, v4
	v_sub_u32_e32 v15, 29, v17
	v_and_b32_e32 v14, 7, v14
	v_cmp_gt_u32_e32 vcc, 8, v4
	v_cndmask_b32_e32 v4, v16, v15, vcc
	v_cndmask_b32_e32 v13, v13, v14, vcc
	v_lshlrev_b32_e32 v2, 24, v2
	v_bfrev_b32_e32 v14, 60
	v_lshlrev_b32_e32 v13, 20, v13
	v_and_b32_e32 v2, 0x80000000, v2
	v_lshl_add_u32 v4, v4, 23, v14
	v_or3_b32 v13, v2, v4, v13
.LBB598_757:
	s_or_b64 exec, exec, s[12:13]
.LBB598_758:
	s_or_b64 exec, exec, s[10:11]
.LBB598_759:
	s_or_b64 exec, exec, s[8:9]
	v_cmp_ne_u16_sdwa s[10:11], v5, v12 src0_sel:BYTE_0 src1_sel:DWORD
	s_and_saveexec_b64 s[8:9], s[10:11]
	s_cbranch_execz .LBB598_765
; %bb.760:
	s_movk_i32 s7, 0x80
	v_cmp_ne_u16_sdwa s[12:13], v5, s7 src0_sel:BYTE_0 src1_sel:DWORD
	v_bfrev_b32_e32 v12, 1
	s_and_saveexec_b64 s[10:11], s[12:13]
	s_cbranch_execz .LBB598_764
; %bb.761:
	s_movk_i32 s7, 0x7f
	v_and_b32_e32 v2, 0x7f, v5
	v_cmp_ne_u32_e32 vcc, s7, v2
	v_mov_b32_e32 v12, 0x7f800001
	s_and_saveexec_b64 s[12:13], vcc
	s_cbranch_execz .LBB598_763
; %bb.762:
	v_and_b32_e32 v12, 7, v5
	v_ffbh_u32_e32 v14, v12
	v_min_u32_e32 v17, 32, v14
	v_mov_b32_e32 v4, v5
	v_subrev_u32_e32 v14, 28, v17
	v_lshlrev_b64 v[14:15], v14, v[4:5]
	v_lshrrev_b32_e32 v16, 3, v2
	v_sub_u32_e32 v4, 29, v17
	v_and_b32_e32 v14, 7, v14
	v_cmp_gt_u32_e32 vcc, 8, v2
	v_cndmask_b32_e32 v2, v16, v4, vcc
	v_cndmask_b32_e32 v4, v12, v14, vcc
	v_lshlrev_b32_e32 v12, 24, v5
	v_bfrev_b32_e32 v14, 60
	v_lshlrev_b32_e32 v4, 20, v4
	v_and_b32_e32 v12, 0x80000000, v12
	v_lshl_add_u32 v2, v2, 23, v14
	v_or3_b32 v12, v12, v2, v4
.LBB598_763:
	s_or_b64 exec, exec, s[12:13]
.LBB598_764:
	s_or_b64 exec, exec, s[10:11]
.LBB598_765:
	s_or_b64 exec, exec, s[8:9]
	v_lshrrev_b16_e32 v2, 8, v5
	v_cmp_ne_u16_e32 vcc, 0, v2
	v_mov_b32_e32 v4, 0
	v_mov_b32_e32 v14, 0
	s_and_saveexec_b64 s[8:9], vcc
	s_cbranch_execz .LBB598_771
; %bb.766:
	s_movk_i32 s7, 0x80
	v_cmp_ne_u16_e32 vcc, s7, v2
	v_bfrev_b32_e32 v14, 1
	s_and_saveexec_b64 s[10:11], vcc
	s_cbranch_execz .LBB598_770
; %bb.767:
	s_movk_i32 s7, 0x7f
	v_and_b32_e32 v15, 0x7f, v2
	v_cmp_ne_u32_e32 vcc, s7, v15
	v_mov_b32_e32 v14, 0x7f800001
	s_and_saveexec_b64 s[12:13], vcc
	s_cbranch_execz .LBB598_769
; %bb.768:
	v_and_b32_e32 v14, 7, v2
	v_ffbh_u32_e32 v16, v14
	v_min_u32_e32 v19, 32, v16
	v_subrev_u32_e32 v16, 28, v19
	v_lshlrev_b64 v[16:17], v16, v[2:3]
	v_lshrrev_b32_e32 v18, 3, v15
	v_sub_u32_e32 v2, 29, v19
	v_and_b32_e32 v16, 7, v16
	v_cmp_gt_u32_e32 vcc, 8, v15
	v_cndmask_b32_e32 v2, v18, v2, vcc
	v_cndmask_b32_e32 v14, v14, v16, vcc
	v_lshlrev_b32_e32 v15, 16, v5
	v_bfrev_b32_e32 v16, 60
	v_lshlrev_b32_e32 v14, 20, v14
	v_and_b32_e32 v15, 0x80000000, v15
	v_lshl_add_u32 v2, v2, 23, v16
	v_or3_b32 v14, v15, v2, v14
.LBB598_769:
	s_or_b64 exec, exec, s[12:13]
.LBB598_770:
	s_or_b64 exec, exec, s[10:11]
.LBB598_771:
	s_or_b64 exec, exec, s[8:9]
	s_movk_i32 s7, 0xff
	v_and_b32_sdwa v15, v5, s7 dst_sel:DWORD dst_unused:UNUSED_PAD src0_sel:WORD_1 src1_sel:DWORD
	v_lshrrev_b32_e32 v2, 16, v5
	v_cmp_ne_u16_e32 vcc, 0, v15
	s_and_saveexec_b64 s[8:9], vcc
	s_cbranch_execz .LBB598_777
; %bb.772:
	s_movk_i32 s7, 0x80
	v_cmp_ne_u16_e32 vcc, s7, v15
	v_bfrev_b32_e32 v4, 1
	s_and_saveexec_b64 s[10:11], vcc
	s_cbranch_execz .LBB598_776
; %bb.773:
	v_bfe_u32 v15, v5, 16, 7
	s_movk_i32 s7, 0x7f
	v_cmp_ne_u32_e32 vcc, s7, v15
	v_mov_b32_e32 v4, 0x7f800001
	s_and_saveexec_b64 s[12:13], vcc
	s_cbranch_execz .LBB598_775
; %bb.774:
	v_and_b32_e32 v4, 7, v2
	v_ffbh_u32_e32 v16, v4
	v_min_u32_e32 v19, 32, v16
	v_subrev_u32_e32 v16, 28, v19
	v_lshlrev_b64 v[16:17], v16, v[2:3]
	v_lshrrev_b32_e32 v18, 3, v15
	v_sub_u32_e32 v2, 29, v19
	v_and_b32_e32 v16, 7, v16
	v_cmp_gt_u32_e32 vcc, 8, v15
	v_mov_b32_e32 v15, 24
	v_cndmask_b32_e32 v2, v18, v2, vcc
	v_cndmask_b32_e32 v4, v4, v16, vcc
	v_lshlrev_b32_sdwa v15, v15, v5 dst_sel:DWORD dst_unused:UNUSED_PAD src0_sel:DWORD src1_sel:WORD_1
	v_bfrev_b32_e32 v16, 60
	v_lshlrev_b32_e32 v4, 20, v4
	v_and_b32_e32 v15, 0x80000000, v15
	v_lshl_add_u32 v2, v2, 23, v16
	v_or3_b32 v4, v15, v2, v4
.LBB598_775:
	s_or_b64 exec, exec, s[12:13]
.LBB598_776:
	s_or_b64 exec, exec, s[10:11]
.LBB598_777:
	s_or_b64 exec, exec, s[8:9]
	s_mov_b32 s7, 0xffffff
	v_cmp_lt_u32_e32 vcc, s7, v5
	v_mov_b32_e32 v15, 0
	s_and_saveexec_b64 s[8:9], vcc
	s_cbranch_execz .LBB598_783
; %bb.778:
	v_lshrrev_b32_e32 v2, 24, v5
	s_movk_i32 s7, 0x80
	v_cmp_ne_u32_e32 vcc, s7, v2
	v_bfrev_b32_e32 v15, 1
	s_and_saveexec_b64 s[10:11], vcc
	s_cbranch_execz .LBB598_782
; %bb.779:
	v_bfe_u32 v5, v5, 24, 7
	s_movk_i32 s7, 0x7f
	v_cmp_ne_u32_e32 vcc, s7, v5
	v_mov_b32_e32 v15, 0x7f800001
	s_and_saveexec_b64 s[12:13], vcc
	s_cbranch_execz .LBB598_781
; %bb.780:
	v_and_b32_e32 v15, 7, v2
	v_ffbh_u32_e32 v16, v15
	v_min_u32_e32 v19, 32, v16
	v_subrev_u32_e32 v16, 28, v19
	v_lshlrev_b64 v[16:17], v16, v[2:3]
	v_lshrrev_b32_e32 v18, 3, v5
	v_sub_u32_e32 v17, 29, v19
	v_and_b32_e32 v16, 7, v16
	v_cmp_gt_u32_e32 vcc, 8, v5
	v_cndmask_b32_e32 v5, v18, v17, vcc
	v_cndmask_b32_e32 v15, v15, v16, vcc
	v_lshlrev_b32_e32 v2, 24, v2
	v_bfrev_b32_e32 v16, 60
	v_lshlrev_b32_e32 v15, 20, v15
	v_and_b32_e32 v2, 0x80000000, v2
	v_lshl_add_u32 v5, v5, 23, v16
	v_or3_b32 v15, v2, v5, v15
.LBB598_781:
	s_or_b64 exec, exec, s[12:13]
.LBB598_782:
	s_or_b64 exec, exec, s[10:11]
.LBB598_783:
	s_or_b64 exec, exec, s[8:9]
	v_cvt_pkrtz_f16_f32 v2, v10, v11
	v_cvt_pkrtz_f16_f32 v3, v3, v13
	ds_read_b128 v[16:19], v22 offset:6160
	s_load_dword s8, s[42:43], 0x0
	v_cmp_gt_u32_e32 vcc, 64, v0
	s_waitcnt lgkmcnt(0)
	v_mfma_f32_16x16x16f16 v[6:9], v[2:3], v[16:17], v[6:9]
	v_cvt_pkrtz_f16_f32 v2, v12, v14
	v_cvt_pkrtz_f16_f32 v3, v4, v15
	s_and_b64 s[0:1], vcc, s[0:1]
	s_barrier
	v_mfma_f32_16x16x16f16 v[2:5], v[2:3], v[18:19], v[6:9]
	s_nop 7
	s_nop 2
	v_pk_mul_f32 v[4:5], v[4:5], s[8:9] op_sel_hi:[1,0]
	v_pk_mul_f32 v[2:3], v[2:3], s[8:9] op_sel_hi:[1,0]
	v_cvt_f16_f32_e32 v2, v2
	v_cvt_f16_f32_e32 v3, v3
	;; [unrolled: 1-line block ×4, first 2 shown]
	v_pack_b32_f16 v2, v2, v3
	v_pack_b32_f16 v3, v4, v5
	ds_write_b64 v28, v[2:3]
	s_waitcnt lgkmcnt(0)
	s_barrier
	s_and_saveexec_b64 s[8:9], s[0:1]
	s_cbranch_execz .LBB598_786
; %bb.784:
	s_load_dwordx2 s[4:5], s[4:5], 0x68
	s_lshl_b32 s0, s44, 6
	s_mul_i32 s1, s14, s6
	s_mul_hi_u32 s9, s1, s0
	s_mul_i32 s8, s1, s0
	s_lshl_b64 s[8:9], s[8:9], 1
	s_waitcnt lgkmcnt(0)
	s_add_u32 s1, s4, s8
	v_lshlrev_b32_e32 v0, 10, v0
	s_mov_b32 s7, 0
	s_addc_u32 s8, s5, s9
	s_lshl_b32 s6, s24, 6
	v_and_b32_e32 v0, 0x1800, v0
	v_lshlrev_b32_e32 v2, 5, v1
	v_and_b32_e32 v3, 16, v47
	s_lshl_b64 s[4:5], s[6:7], 1
	v_or3_b32 v0, v0, v2, v3
	s_add_u32 s1, s1, s4
	s_addc_u32 s4, s8, s5
	ds_read_b128 v[4:7], v0 offset:128
	ds_read_b128 v[8:11], v0
	v_add_u32_e32 v14, s25, v1
	v_mov_b32_e32 v3, s4
	v_add_co_u32_e32 v2, vcc, s1, v46
	v_mad_u64_u32 v[12:13], s[4:5], v14, s0, 0
	v_addc_co_u32_e32 v3, vcc, 0, v3, vcc
	v_lshlrev_b64 v[12:13], 1, v[12:13]
	v_add_co_u32_e32 v12, vcc, v2, v12
	v_addc_co_u32_e32 v13, vcc, v3, v13, vcc
	s_waitcnt lgkmcnt(0)
	global_store_dwordx4 v[12:13], v[8:11], off
	s_nop 0
	v_add_u32_e32 v8, 4, v14
	v_mad_u64_u32 v[8:9], s[4:5], v8, s0, 0
	v_lshlrev_b64 v[8:9], 1, v[8:9]
	v_add_co_u32_e32 v8, vcc, v2, v8
	v_addc_co_u32_e32 v9, vcc, v3, v9, vcc
	global_store_dwordx4 v[8:9], v[4:7], off
	s_and_b64 exec, exec, s[2:3]
	s_cbranch_execz .LBB598_786
; %bb.785:
	ds_read_b128 v[4:7], v0 offset:256
	v_add3_u32 v0, s25, v1, 8
	v_mad_u64_u32 v[0:1], s[0:1], v0, s0, 0
	v_lshlrev_b64 v[0:1], 1, v[0:1]
	v_add_co_u32_e32 v0, vcc, v2, v0
	v_addc_co_u32_e32 v1, vcc, v3, v1, vcc
	s_waitcnt lgkmcnt(0)
	global_store_dwordx4 v[0:1], v[4:7], off
.LBB598_786:
	s_endpgm
	.section	.rodata,"a",@progbits
	.p2align	6, 0x0
	.amdhsa_kernel _Z39paged_attention_ll4mi_QKV_mfma16_kernelIDF16_hLN4vllm18Fp8KVCacheDataTypeE1EDF16_Li32ELi64ELi256ELb0ELi9EL8MFMAType0EEvPKT_PKT0_S8_ifPKiSA_SA_iPKfiiiPfSD_PS3_PT2_iSC_SC_
		.amdhsa_group_segment_fixed_size 8192
		.amdhsa_private_segment_fixed_size 0
		.amdhsa_kernarg_size 400
		.amdhsa_user_sgpr_count 6
		.amdhsa_user_sgpr_private_segment_buffer 1
		.amdhsa_user_sgpr_dispatch_ptr 0
		.amdhsa_user_sgpr_queue_ptr 0
		.amdhsa_user_sgpr_kernarg_segment_ptr 1
		.amdhsa_user_sgpr_dispatch_id 0
		.amdhsa_user_sgpr_flat_scratch_init 0
		.amdhsa_user_sgpr_kernarg_preload_length 0
		.amdhsa_user_sgpr_kernarg_preload_offset 0
		.amdhsa_user_sgpr_private_segment_size 0
		.amdhsa_uses_dynamic_stack 0
		.amdhsa_system_sgpr_private_segment_wavefront_offset 0
		.amdhsa_system_sgpr_workgroup_id_x 1
		.amdhsa_system_sgpr_workgroup_id_y 1
		.amdhsa_system_sgpr_workgroup_id_z 1
		.amdhsa_system_sgpr_workgroup_info 0
		.amdhsa_system_vgpr_workitem_id 0
		.amdhsa_next_free_vgpr 62
		.amdhsa_next_free_sgpr 47
		.amdhsa_accum_offset 64
		.amdhsa_reserve_vcc 1
		.amdhsa_reserve_flat_scratch 0
		.amdhsa_float_round_mode_32 0
		.amdhsa_float_round_mode_16_64 0
		.amdhsa_float_denorm_mode_32 3
		.amdhsa_float_denorm_mode_16_64 3
		.amdhsa_dx10_clamp 1
		.amdhsa_ieee_mode 1
		.amdhsa_fp16_overflow 0
		.amdhsa_tg_split 0
		.amdhsa_exception_fp_ieee_invalid_op 0
		.amdhsa_exception_fp_denorm_src 0
		.amdhsa_exception_fp_ieee_div_zero 0
		.amdhsa_exception_fp_ieee_overflow 0
		.amdhsa_exception_fp_ieee_underflow 0
		.amdhsa_exception_fp_ieee_inexact 0
		.amdhsa_exception_int_div_zero 0
	.end_amdhsa_kernel
	.section	.text._Z39paged_attention_ll4mi_QKV_mfma16_kernelIDF16_hLN4vllm18Fp8KVCacheDataTypeE1EDF16_Li32ELi64ELi256ELb0ELi9EL8MFMAType0EEvPKT_PKT0_S8_ifPKiSA_SA_iPKfiiiPfSD_PS3_PT2_iSC_SC_,"axG",@progbits,_Z39paged_attention_ll4mi_QKV_mfma16_kernelIDF16_hLN4vllm18Fp8KVCacheDataTypeE1EDF16_Li32ELi64ELi256ELb0ELi9EL8MFMAType0EEvPKT_PKT0_S8_ifPKiSA_SA_iPKfiiiPfSD_PS3_PT2_iSC_SC_,comdat
.Lfunc_end598:
	.size	_Z39paged_attention_ll4mi_QKV_mfma16_kernelIDF16_hLN4vllm18Fp8KVCacheDataTypeE1EDF16_Li32ELi64ELi256ELb0ELi9EL8MFMAType0EEvPKT_PKT0_S8_ifPKiSA_SA_iPKfiiiPfSD_PS3_PT2_iSC_SC_, .Lfunc_end598-_Z39paged_attention_ll4mi_QKV_mfma16_kernelIDF16_hLN4vllm18Fp8KVCacheDataTypeE1EDF16_Li32ELi64ELi256ELb0ELi9EL8MFMAType0EEvPKT_PKT0_S8_ifPKiSA_SA_iPKfiiiPfSD_PS3_PT2_iSC_SC_
                                        ; -- End function
	.section	.AMDGPU.csdata,"",@progbits
; Kernel info:
; codeLenInByte = 27048
; NumSgprs: 51
; NumVgprs: 62
; NumAgprs: 0
; TotalNumVgprs: 62
; ScratchSize: 0
; MemoryBound: 0
; FloatMode: 240
; IeeeMode: 1
; LDSByteSize: 8192 bytes/workgroup (compile time only)
; SGPRBlocks: 6
; VGPRBlocks: 7
; NumSGPRsForWavesPerEU: 51
; NumVGPRsForWavesPerEU: 62
; AccumOffset: 64
; Occupancy: 8
; WaveLimiterHint : 1
; COMPUTE_PGM_RSRC2:SCRATCH_EN: 0
; COMPUTE_PGM_RSRC2:USER_SGPR: 6
; COMPUTE_PGM_RSRC2:TRAP_HANDLER: 0
; COMPUTE_PGM_RSRC2:TGID_X_EN: 1
; COMPUTE_PGM_RSRC2:TGID_Y_EN: 1
; COMPUTE_PGM_RSRC2:TGID_Z_EN: 1
; COMPUTE_PGM_RSRC2:TIDIG_COMP_CNT: 0
; COMPUTE_PGM_RSRC3_GFX90A:ACCUM_OFFSET: 15
; COMPUTE_PGM_RSRC3_GFX90A:TG_SPLIT: 0
	.section	.text._Z39paged_attention_ll4mi_QKV_mfma16_kernelIDF16_hLN4vllm18Fp8KVCacheDataTypeE1EDF16_Li32ELi64ELi256ELb0ELi10EL8MFMAType0EEvPKT_PKT0_S8_ifPKiSA_SA_iPKfiiiPfSD_PS3_PT2_iSC_SC_,"axG",@progbits,_Z39paged_attention_ll4mi_QKV_mfma16_kernelIDF16_hLN4vllm18Fp8KVCacheDataTypeE1EDF16_Li32ELi64ELi256ELb0ELi10EL8MFMAType0EEvPKT_PKT0_S8_ifPKiSA_SA_iPKfiiiPfSD_PS3_PT2_iSC_SC_,comdat
	.protected	_Z39paged_attention_ll4mi_QKV_mfma16_kernelIDF16_hLN4vllm18Fp8KVCacheDataTypeE1EDF16_Li32ELi64ELi256ELb0ELi10EL8MFMAType0EEvPKT_PKT0_S8_ifPKiSA_SA_iPKfiiiPfSD_PS3_PT2_iSC_SC_ ; -- Begin function _Z39paged_attention_ll4mi_QKV_mfma16_kernelIDF16_hLN4vllm18Fp8KVCacheDataTypeE1EDF16_Li32ELi64ELi256ELb0ELi10EL8MFMAType0EEvPKT_PKT0_S8_ifPKiSA_SA_iPKfiiiPfSD_PS3_PT2_iSC_SC_
	.globl	_Z39paged_attention_ll4mi_QKV_mfma16_kernelIDF16_hLN4vllm18Fp8KVCacheDataTypeE1EDF16_Li32ELi64ELi256ELb0ELi10EL8MFMAType0EEvPKT_PKT0_S8_ifPKiSA_SA_iPKfiiiPfSD_PS3_PT2_iSC_SC_
	.p2align	8
	.type	_Z39paged_attention_ll4mi_QKV_mfma16_kernelIDF16_hLN4vllm18Fp8KVCacheDataTypeE1EDF16_Li32ELi64ELi256ELb0ELi10EL8MFMAType0EEvPKT_PKT0_S8_ifPKiSA_SA_iPKfiiiPfSD_PS3_PT2_iSC_SC_,@function
_Z39paged_attention_ll4mi_QKV_mfma16_kernelIDF16_hLN4vllm18Fp8KVCacheDataTypeE1EDF16_Li32ELi64ELi256ELb0ELi10EL8MFMAType0EEvPKT_PKT0_S8_ifPKiSA_SA_iPKfiiiPfSD_PS3_PT2_iSC_SC_: ; @_Z39paged_attention_ll4mi_QKV_mfma16_kernelIDF16_hLN4vllm18Fp8KVCacheDataTypeE1EDF16_Li32ELi64ELi256ELb0ELi10EL8MFMAType0EEvPKT_PKT0_S8_ifPKiSA_SA_iPKfiiiPfSD_PS3_PT2_iSC_SC_
; %bb.0:
	s_load_dwordx2 s[0:1], s[4:5], 0x30
	s_mov_b32 s24, s7
	s_mov_b64 s[10:11], 0
	s_waitcnt lgkmcnt(0)
	s_cmp_lg_u64 s[0:1], 0
	s_cselect_b64 s[2:3], -1, 0
	s_and_b64 vcc, exec, s[2:3]
	s_cbranch_vccz .LBB599_7
; %bb.1:
	s_add_i32 s12, s6, 1
	s_mov_b32 s13, 0
	s_lshl_b64 s[14:15], s[12:13], 2
	s_add_u32 s14, s0, s14
	s_mov_b32 s7, s13
	s_addc_u32 s15, s1, s15
	s_lshl_b64 s[12:13], s[6:7], 2
	s_add_u32 s12, s0, s12
	s_addc_u32 s13, s1, s13
	s_load_dword s9, s[14:15], 0x0
	s_load_dword s16, s[12:13], 0x0
	s_waitcnt lgkmcnt(0)
	s_sub_i32 s9, s9, s16
	s_cmp_eq_u32 s9, 1
	s_cselect_b64 s[12:13], -1, 0
	s_andn2_b64 vcc, exec, s[10:11]
	s_cbranch_vccnz .LBB599_3
.LBB599_2:
	s_mov_b32 s7, 0
	s_mov_b64 s[12:13], -1
.LBB599_3:
	s_andn2_b64 vcc, exec, s[12:13]
	s_cbranch_vccnz .LBB599_786
; %bb.4:
	s_load_dwordx2 s[12:13], s[4:5], 0x28
	s_lshl_b64 s[10:11], s[6:7], 2
	s_waitcnt lgkmcnt(0)
	s_add_u32 s12, s12, s10
	s_addc_u32 s13, s13, s11
	s_load_dword s33, s[12:13], 0x0
	s_lshl_b32 s20, s24, 8
	s_waitcnt lgkmcnt(0)
	s_cmp_ge_i32 s20, s33
	s_cbranch_scc1 .LBB599_786
; %bb.5:
	s_add_i32 s14, s33, 31
	s_load_dwordx2 s[12:13], s[4:5], 0x20
	s_load_dword s9, s[4:5], 0x38
	s_ashr_i32 s15, s14, 31
	v_and_b32_e32 v1, 0xcf, v0
	s_lshr_b32 s15, s15, 27
	v_add_u32_e32 v1, s20, v1
	s_add_i32 s14, s14, s15
	v_ashrrev_i32_e32 v2, 31, v1
	s_ashr_i32 s22, s14, 5
	v_lshrrev_b32_e32 v4, 27, v2
	s_add_i32 s22, s22, -1
	v_add_u32_e32 v2, v1, v4
	s_waitcnt lgkmcnt(0)
	s_mul_i32 s14, s6, s9
	s_mov_b32 s15, 0
	v_ashrrev_i32_e32 v2, 5, v2
	v_mov_b32_e32 v5, s22
	v_cmp_gt_i32_e32 vcc, s33, v1
	s_lshl_b64 s[14:15], s[14:15], 2
	v_cndmask_b32_e32 v2, v5, v2, vcc
	s_add_u32 s9, s12, s14
	v_ashrrev_i32_e32 v3, 31, v2
	s_addc_u32 s21, s13, s15
	v_lshlrev_b64 v[2:3], 2, v[2:3]
	v_mov_b32_e32 v7, s21
	v_add_co_u32_e32 v6, vcc, s9, v2
	v_or_b32_e32 v2, 16, v1
	v_addc_co_u32_e32 v7, vcc, v7, v3, vcc
	v_add_u32_e32 v3, v2, v4
	v_ashrrev_i32_e32 v3, 5, v3
	v_cmp_gt_i32_e32 vcc, s33, v2
	v_cndmask_b32_e32 v2, v5, v3, vcc
	v_ashrrev_i32_e32 v3, 31, v2
	v_lshlrev_b64 v[2:3], 2, v[2:3]
	v_mov_b32_e32 v9, s21
	v_add_co_u32_e32 v8, vcc, s9, v2
	v_or_b32_e32 v2, 32, v1
	v_addc_co_u32_e32 v9, vcc, v9, v3, vcc
	v_add_u32_e32 v3, v2, v4
	v_ashrrev_i32_e32 v3, 5, v3
	v_cmp_gt_i32_e32 vcc, s33, v2
	v_cndmask_b32_e32 v2, v5, v3, vcc
	v_ashrrev_i32_e32 v3, 31, v2
	;; [unrolled: 10-line block ×3, first 2 shown]
	v_lshlrev_b64 v[2:3], 2, v[2:3]
	v_mov_b32_e32 v1, s21
	v_add_co_u32_e32 v12, vcc, s9, v2
	v_addc_co_u32_e32 v13, vcc, v1, v3, vcc
	global_load_dword v5, v[6:7], off
	global_load_dword v4, v[8:9], off
	;; [unrolled: 1-line block ×4, first 2 shown]
	s_load_dwordx4 s[12:15], s[4:5], 0x8
	s_andn2_b64 vcc, exec, s[2:3]
	s_cbranch_vccnz .LBB599_8
; %bb.6:
	s_add_u32 s0, s0, s10
	s_addc_u32 s1, s1, s11
	s_load_dword s10, s[0:1], 0x0
	s_branch .LBB599_9
.LBB599_7:
	s_mov_b64 s[12:13], 0
	s_branch .LBB599_2
.LBB599_8:
	s_mov_b32 s10, s6
.LBB599_9:
	s_load_dwordx4 s[16:19], s[4:5], 0x48
	v_lshrrev_b32_e32 v50, 6, v0
	v_bfe_u32 v1, v0, 4, 2
	v_lshl_or_b32 v6, v50, 2, v1
	v_and_b32_e32 v49, 15, v0
	v_lshlrev_b32_e32 v7, 3, v49
	v_cmp_gt_u32_e32 vcc, 10, v6
	v_cmp_gt_u32_e64 s[0:1], 8, v49
	s_mul_i32 s25, s8, 10
	s_and_b64 s[26:27], s[0:1], vcc
	v_lshlrev_b32_e32 v46, 1, v7
	v_lshlrev_b32_e32 v47, 4, v0
	s_and_saveexec_b64 s[2:3], s[26:27]
	s_cbranch_execz .LBB599_11
; %bb.10:
	s_load_dwordx2 s[26:27], s[4:5], 0x0
	s_waitcnt lgkmcnt(0)
	s_ashr_i32 s11, s16, 31
	s_mul_hi_u32 s19, s10, s16
	s_mul_i32 s11, s10, s11
	s_add_i32 s11, s19, s11
	s_mul_i32 s10, s10, s16
	s_lshl_b64 s[10:11], s[10:11], 1
	v_add_lshl_u32 v8, v6, s25, 6
	s_add_u32 s10, s26, s10
	v_ashrrev_i32_e32 v9, 31, v8
	s_addc_u32 s11, s27, s11
	v_lshlrev_b64 v[8:9], 1, v[8:9]
	v_mov_b32_e32 v7, s11
	v_add_co_u32_e32 v8, vcc, s10, v8
	v_addc_co_u32_e32 v7, vcc, v7, v9, vcc
	v_add_co_u32_e32 v8, vcc, v8, v46
	v_addc_co_u32_e32 v9, vcc, 0, v7, vcc
	global_load_dwordx4 v[8:11], v[8:9], off
	v_lshlrev_b32_e32 v12, 8, v49
	v_lshlrev_b32_e32 v6, 5, v6
	v_and_b32_e32 v7, 16, v47
	v_and_b32_e32 v12, 0xe00, v12
	v_or3_b32 v6, v12, v6, v7
	s_waitcnt vmcnt(0)
	ds_write_b128 v6, v[8:11]
.LBB599_11:
	s_or_b64 exec, exec, s[2:3]
	s_waitcnt lgkmcnt(0)
	s_mul_i32 s8, s8, s18
	s_add_u32 s2, s12, s8
	s_addc_u32 s3, s13, 0
	v_and_b32_e32 v12, 48, v0
	s_ashr_i32 s10, s20, 31
	v_or_b32_e32 v13, s20, v12
	s_lshr_b32 s10, s10, 27
	v_add_u32_e32 v6, s10, v13
	v_ashrrev_i32_e32 v6, 5, v6
	v_mov_b32_e32 v14, s22
	v_cmp_gt_i32_e32 vcc, s33, v13
	v_cndmask_b32_e32 v6, v14, v6, vcc
	v_ashrrev_i32_e32 v7, 31, v6
	v_lshlrev_b64 v[6:7], 2, v[6:7]
	v_mov_b32_e32 v8, s21
	v_add_co_u32_e32 v6, vcc, s9, v6
	v_addc_co_u32_e32 v7, vcc, v8, v7, vcc
	v_or_b32_e32 v8, 64, v13
	v_add_u32_e32 v9, s10, v8
	v_ashrrev_i32_e32 v9, 5, v9
	v_cmp_gt_i32_e32 vcc, s33, v8
	v_cndmask_b32_e32 v8, v14, v9, vcc
	v_ashrrev_i32_e32 v9, 31, v8
	v_lshlrev_b64 v[8:9], 2, v[8:9]
	v_mov_b32_e32 v10, s21
	v_add_co_u32_e32 v8, vcc, s9, v8
	v_addc_co_u32_e32 v9, vcc, v10, v9, vcc
	v_or_b32_e32 v10, 0x80, v13
	v_add_u32_e32 v11, s10, v10
	v_ashrrev_i32_e32 v11, 5, v11
	v_cmp_gt_i32_e32 vcc, s33, v10
	v_cndmask_b32_e32 v10, v14, v11, vcc
	v_ashrrev_i32_e32 v11, 31, v10
	v_lshlrev_b64 v[10:11], 2, v[10:11]
	v_mov_b32_e32 v15, s21
	v_add_co_u32_e32 v10, vcc, s9, v10
	s_load_dwordx2 s[44:45], s[4:5], 0x94
	s_load_dwordx4 s[40:43], s[4:5], 0x80
	s_waitcnt lgkmcnt(0)
	s_barrier
	v_addc_co_u32_e32 v11, vcc, v15, v11, vcc
	global_load_dword v15, v[6:7], off
	global_load_dword v16, v[8:9], off
	;; [unrolled: 1-line block ×3, first 2 shown]
	v_or_b32_e32 v6, 0xc0, v13
	v_add_u32_e32 v7, s10, v6
	v_ashrrev_i32_e32 v7, 5, v7
	v_cmp_gt_i32_e32 vcc, s33, v6
	v_cndmask_b32_e32 v6, v14, v7, vcc
	v_ashrrev_i32_e32 v7, 31, v6
	v_lshlrev_b64 v[6:7], 2, v[6:7]
	v_mov_b32_e32 v8, s21
	v_add_co_u32_e32 v6, vcc, s9, v6
	v_addc_co_u32_e32 v7, vcc, v8, v7, vcc
	global_load_dword v20, v[6:7], off
	v_pk_mov_b32 v[6:7], s[2:3], s[2:3] op_sel:[0,1]
	s_waitcnt vmcnt(7)
	v_mad_i64_i32 v[8:9], s[2:3], v5, s17, v[6:7]
	v_lshlrev_b32_e32 v11, 4, v49
	v_add_co_u32_e32 v5, vcc, v8, v11
	v_lshlrev_b32_e32 v10, 5, v12
	v_addc_co_u32_e32 v9, vcc, 0, v9, vcc
	v_add_co_u32_e32 v8, vcc, v5, v10
	v_addc_co_u32_e32 v9, vcc, 0, v9, vcc
	s_waitcnt vmcnt(6)
	v_mad_i64_i32 v[4:5], s[2:3], v4, s17, v[6:7]
	v_or_b32_e32 v12, 0x100, v11
	v_add_co_u32_e32 v4, vcc, v4, v12
	v_addc_co_u32_e32 v5, vcc, 0, v5, vcc
	v_add_co_u32_e32 v4, vcc, v4, v10
	v_addc_co_u32_e32 v5, vcc, 0, v5, vcc
	global_load_dwordx4 v[30:33], v[8:9], off
	global_load_dwordx4 v[38:41], v[4:5], off
	s_waitcnt vmcnt(7)
	v_mad_i64_i32 v[4:5], s[2:3], v3, s17, v[6:7]
	v_add_co_u32_e32 v3, vcc, v4, v11
	v_addc_co_u32_e32 v5, vcc, 0, v5, vcc
	v_add_co_u32_e32 v4, vcc, v3, v10
	v_addc_co_u32_e32 v5, vcc, 0, v5, vcc
	s_waitcnt vmcnt(6)
	v_mad_i64_i32 v[2:3], s[2:3], v2, s17, v[6:7]
	v_add_co_u32_e32 v2, vcc, v2, v12
	v_addc_co_u32_e32 v3, vcc, 0, v3, vcc
	v_add_co_u32_e32 v2, vcc, v2, v10
	s_add_u32 s2, s14, s8
	v_addc_co_u32_e32 v3, vcc, 0, v3, vcc
	global_load_dwordx4 v[34:37], v[4:5], off
	global_load_dwordx4 v[22:25], v[2:3], off
	s_addc_u32 s3, s15, 0
	v_and_b32_e32 v2, 16, v0
	v_mov_b32_e32 v3, s3
	v_add_co_u32_e32 v2, vcc, s2, v2
	v_lshlrev_b32_e32 v48, 5, v49
	v_addc_co_u32_e32 v3, vcc, 0, v3, vcc
	v_lshl_or_b32 v4, v50, 9, v48
	v_add_co_u32_e32 v2, vcc, v2, v4
	v_addc_co_u32_e32 v3, vcc, 0, v3, vcc
	v_cmp_gt_u32_e32 vcc, 10, v49
	v_mov_b32_e32 v43, 0
	s_movk_i32 s8, 0x80
	v_mov_b32_e32 v44, 0
	s_waitcnt vmcnt(7)
	v_mad_i64_i32 v[4:5], s[2:3], v15, s17, v[2:3]
	s_waitcnt vmcnt(6)
	v_mad_i64_i32 v[6:7], s[2:3], v16, s17, v[2:3]
	;; [unrolled: 2-line block ×3, first 2 shown]
	global_load_dwordx4 v[14:17], v[4:5], off
	global_load_dwordx4 v[10:13], v[6:7], off
	s_waitcnt vmcnt(6)
	v_mad_i64_i32 v[20:21], s[2:3], v20, s17, v[2:3]
	global_load_dwordx4 v[6:9], v[18:19], off
	global_load_dwordx4 v[2:5], v[20:21], off
	v_add_u32_e32 v18, -10, v49
	v_cndmask_b32_e32 v18, v18, v49, vcc
	v_lshlrev_b32_e32 v18, 5, v18
	v_lshl_add_u32 v18, v1, 9, v18
	ds_read_b128 v[26:29], v18
	ds_read_b128 v[18:21], v18 offset:16
	s_load_dword s12, s[40:41], 0x0
	s_waitcnt vmcnt(7)
	v_cmp_ne_u16_sdwa s[10:11], v30, v43 src0_sel:BYTE_0 src1_sel:DWORD
	s_and_saveexec_b64 s[2:3], s[10:11]
	s_cbranch_execz .LBB599_17
; %bb.12:
	v_cmp_ne_u16_sdwa s[10:11], v30, s8 src0_sel:BYTE_0 src1_sel:DWORD
	v_bfrev_b32_e32 v44, 1
	s_and_saveexec_b64 s[8:9], s[10:11]
	s_cbranch_execz .LBB599_16
; %bb.13:
	s_movk_i32 s10, 0x7f
	v_and_b32_e32 v42, 0x7f, v30
	v_cmp_ne_u32_e32 vcc, s10, v42
	v_mov_b32_e32 v44, 0x7f800001
	s_and_saveexec_b64 s[10:11], vcc
	s_cbranch_execz .LBB599_15
; %bb.14:
	v_and_b32_e32 v51, 7, v30
	v_ffbh_u32_e32 v44, v51
	v_min_u32_e32 v53, 32, v44
	v_subrev_u32_e32 v44, 28, v53
	v_lshlrev_b64 v[44:45], v44, v[30:31]
	v_lshrrev_b32_e32 v52, 3, v42
	v_sub_u32_e32 v45, 29, v53
	v_and_b32_e32 v44, 7, v44
	v_cmp_gt_u32_e32 vcc, 8, v42
	v_cndmask_b32_e32 v42, v52, v45, vcc
	v_cndmask_b32_e32 v44, v51, v44, vcc
	v_lshlrev_b32_e32 v45, 24, v30
	v_bfrev_b32_e32 v51, 60
	v_lshlrev_b32_e32 v44, 20, v44
	v_and_b32_e32 v45, 0x80000000, v45
	v_lshl_add_u32 v42, v42, 23, v51
	v_or3_b32 v44, v45, v42, v44
.LBB599_15:
	s_or_b64 exec, exec, s[10:11]
.LBB599_16:
	s_or_b64 exec, exec, s[8:9]
.LBB599_17:
	s_or_b64 exec, exec, s[2:3]
	v_lshrrev_b16_e32 v42, 8, v30
	v_cmp_ne_u16_e32 vcc, 0, v42
	s_and_saveexec_b64 s[2:3], vcc
	s_cbranch_execz .LBB599_23
; %bb.18:
	s_movk_i32 s8, 0x80
	v_cmp_ne_u16_e32 vcc, s8, v42
	v_bfrev_b32_e32 v43, 1
	s_and_saveexec_b64 s[8:9], vcc
	s_cbranch_execz .LBB599_22
; %bb.19:
	s_movk_i32 s10, 0x7f
	v_and_b32_e32 v45, 0x7f, v42
	v_cmp_ne_u32_e32 vcc, s10, v45
	v_mov_b32_e32 v43, 0x7f800001
	s_and_saveexec_b64 s[10:11], vcc
	s_cbranch_execz .LBB599_21
; %bb.20:
	v_and_b32_e32 v51, 7, v42
	v_ffbh_u32_e32 v43, v51
	v_min_u32_e32 v53, 32, v43
	v_subrev_u32_e32 v43, 28, v53
	v_lshlrev_b64 v[42:43], v43, v[42:43]
	v_lshrrev_b32_e32 v52, 3, v45
	v_sub_u32_e32 v43, 29, v53
	v_and_b32_e32 v42, 7, v42
	v_cmp_gt_u32_e32 vcc, 8, v45
	v_cndmask_b32_e32 v43, v52, v43, vcc
	v_cndmask_b32_e32 v42, v51, v42, vcc
	v_lshlrev_b32_e32 v45, 16, v30
	v_bfrev_b32_e32 v51, 60
	v_lshlrev_b32_e32 v42, 20, v42
	v_and_b32_e32 v45, 0x80000000, v45
	v_lshl_add_u32 v43, v43, 23, v51
	v_or3_b32 v43, v45, v43, v42
.LBB599_21:
	s_or_b64 exec, exec, s[10:11]
.LBB599_22:
	s_or_b64 exec, exec, s[8:9]
.LBB599_23:
	s_or_b64 exec, exec, s[2:3]
	s_movk_i32 s2, 0xff
	v_and_b32_sdwa v52, v30, s2 dst_sel:DWORD dst_unused:UNUSED_PAD src0_sel:WORD_1 src1_sel:DWORD
	v_lshrrev_b32_e32 v42, 16, v30
	v_cmp_ne_u16_e32 vcc, 0, v52
	v_mov_b32_e32 v45, 0
	v_mov_b32_e32 v51, 0
	s_and_saveexec_b64 s[2:3], vcc
	s_cbranch_execz .LBB599_29
; %bb.24:
	s_movk_i32 s8, 0x80
	v_cmp_ne_u16_e32 vcc, s8, v52
	v_bfrev_b32_e32 v51, 1
	s_and_saveexec_b64 s[8:9], vcc
	s_cbranch_execz .LBB599_28
; %bb.25:
	v_bfe_u32 v52, v30, 16, 7
	s_movk_i32 s10, 0x7f
	v_cmp_ne_u32_e32 vcc, s10, v52
	v_mov_b32_e32 v51, 0x7f800001
	s_and_saveexec_b64 s[10:11], vcc
	s_cbranch_execz .LBB599_27
; %bb.26:
	v_and_b32_e32 v51, 7, v42
	v_ffbh_u32_e32 v54, v51
	v_min_u32_e32 v56, 32, v54
	v_subrev_u32_e32 v54, 28, v56
	v_lshlrev_b64 v[54:55], v54, v[42:43]
	v_lshrrev_b32_e32 v53, 3, v52
	v_sub_u32_e32 v42, 29, v56
	v_and_b32_e32 v54, 7, v54
	v_cmp_gt_u32_e32 vcc, 8, v52
	v_mov_b32_e32 v52, 24
	v_cndmask_b32_e32 v42, v53, v42, vcc
	v_cndmask_b32_e32 v51, v51, v54, vcc
	v_lshlrev_b32_sdwa v52, v52, v30 dst_sel:DWORD dst_unused:UNUSED_PAD src0_sel:DWORD src1_sel:WORD_1
	v_bfrev_b32_e32 v53, 60
	v_lshlrev_b32_e32 v51, 20, v51
	v_and_b32_e32 v52, 0x80000000, v52
	v_lshl_add_u32 v42, v42, 23, v53
	v_or3_b32 v51, v52, v42, v51
.LBB599_27:
	s_or_b64 exec, exec, s[10:11]
.LBB599_28:
	s_or_b64 exec, exec, s[8:9]
.LBB599_29:
	s_or_b64 exec, exec, s[2:3]
	s_mov_b32 s2, 0xffffff
	v_cmp_lt_u32_e32 vcc, s2, v30
	s_and_saveexec_b64 s[2:3], vcc
	s_cbranch_execz .LBB599_35
; %bb.30:
	v_lshrrev_b32_e32 v42, 24, v30
	s_movk_i32 s8, 0x80
	v_cmp_ne_u32_e32 vcc, s8, v42
	v_bfrev_b32_e32 v45, 1
	s_and_saveexec_b64 s[8:9], vcc
	s_cbranch_execz .LBB599_34
; %bb.31:
	v_bfe_u32 v30, v30, 24, 7
	s_movk_i32 s10, 0x7f
	v_cmp_ne_u32_e32 vcc, s10, v30
	v_mov_b32_e32 v45, 0x7f800001
	s_and_saveexec_b64 s[10:11], vcc
	s_cbranch_execz .LBB599_33
; %bb.32:
	v_and_b32_e32 v45, 7, v42
	v_ffbh_u32_e32 v52, v45
	v_min_u32_e32 v55, 32, v52
	v_subrev_u32_e32 v52, 28, v55
	v_lshlrev_b64 v[52:53], v52, v[42:43]
	v_lshrrev_b32_e32 v54, 3, v30
	v_sub_u32_e32 v53, 29, v55
	v_and_b32_e32 v52, 7, v52
	v_cmp_gt_u32_e32 vcc, 8, v30
	v_cndmask_b32_e32 v30, v54, v53, vcc
	v_cndmask_b32_e32 v45, v45, v52, vcc
	v_lshlrev_b32_e32 v42, 24, v42
	v_bfrev_b32_e32 v52, 60
	v_lshlrev_b32_e32 v45, 20, v45
	v_and_b32_e32 v42, 0x80000000, v42
	v_lshl_add_u32 v30, v30, 23, v52
	v_or3_b32 v45, v42, v30, v45
.LBB599_33:
	s_or_b64 exec, exec, s[10:11]
.LBB599_34:
	s_or_b64 exec, exec, s[8:9]
.LBB599_35:
	s_or_b64 exec, exec, s[2:3]
	v_mov_b32_e32 v42, 0
	v_cmp_ne_u16_sdwa s[8:9], v31, v42 src0_sel:BYTE_0 src1_sel:DWORD
	v_mov_b32_e32 v52, 0
	s_and_saveexec_b64 s[2:3], s[8:9]
	s_cbranch_execz .LBB599_41
; %bb.36:
	s_movk_i32 s8, 0x80
	v_cmp_ne_u16_sdwa s[10:11], v31, s8 src0_sel:BYTE_0 src1_sel:DWORD
	v_bfrev_b32_e32 v52, 1
	s_and_saveexec_b64 s[8:9], s[10:11]
	s_cbranch_execz .LBB599_40
; %bb.37:
	s_movk_i32 s10, 0x7f
	v_and_b32_e32 v30, 0x7f, v31
	v_cmp_ne_u32_e32 vcc, s10, v30
	v_mov_b32_e32 v52, 0x7f800001
	s_and_saveexec_b64 s[10:11], vcc
	s_cbranch_execz .LBB599_39
; %bb.38:
	v_and_b32_e32 v54, 7, v31
	v_ffbh_u32_e32 v53, v54
	v_min_u32_e32 v56, 32, v53
	v_mov_b32_e32 v52, v31
	v_subrev_u32_e32 v53, 28, v56
	v_lshlrev_b64 v[52:53], v53, v[52:53]
	v_lshrrev_b32_e32 v55, 3, v30
	v_sub_u32_e32 v53, 29, v56
	v_and_b32_e32 v52, 7, v52
	v_cmp_gt_u32_e32 vcc, 8, v30
	v_cndmask_b32_e32 v30, v55, v53, vcc
	v_cndmask_b32_e32 v52, v54, v52, vcc
	v_lshlrev_b32_e32 v53, 24, v31
	v_bfrev_b32_e32 v54, 60
	v_lshlrev_b32_e32 v52, 20, v52
	v_and_b32_e32 v53, 0x80000000, v53
	v_lshl_add_u32 v30, v30, 23, v54
	v_or3_b32 v52, v53, v30, v52
.LBB599_39:
	s_or_b64 exec, exec, s[10:11]
.LBB599_40:
	s_or_b64 exec, exec, s[8:9]
.LBB599_41:
	s_or_b64 exec, exec, s[2:3]
	v_lshrrev_b16_e32 v30, 8, v31
	v_cmp_ne_u16_e32 vcc, 0, v30
	s_and_saveexec_b64 s[2:3], vcc
	s_cbranch_execz .LBB599_47
; %bb.42:
	s_movk_i32 s8, 0x80
	v_cmp_ne_u16_e32 vcc, s8, v30
	v_bfrev_b32_e32 v42, 1
	s_and_saveexec_b64 s[8:9], vcc
	s_cbranch_execz .LBB599_46
; %bb.43:
	s_movk_i32 s10, 0x7f
	v_and_b32_e32 v53, 0x7f, v30
	v_cmp_ne_u32_e32 vcc, s10, v53
	v_mov_b32_e32 v42, 0x7f800001
	s_and_saveexec_b64 s[10:11], vcc
	s_cbranch_execz .LBB599_45
; %bb.44:
	v_and_b32_e32 v42, 7, v30
	v_ffbh_u32_e32 v54, v42
	v_min_u32_e32 v57, 32, v54
	v_subrev_u32_e32 v54, 28, v57
	v_lshlrev_b64 v[54:55], v54, v[30:31]
	v_lshrrev_b32_e32 v56, 3, v53
	v_sub_u32_e32 v30, 29, v57
	v_and_b32_e32 v54, 7, v54
	v_cmp_gt_u32_e32 vcc, 8, v53
	v_cndmask_b32_e32 v30, v56, v30, vcc
	v_cndmask_b32_e32 v42, v42, v54, vcc
	v_lshlrev_b32_e32 v53, 16, v31
	v_bfrev_b32_e32 v54, 60
	v_lshlrev_b32_e32 v42, 20, v42
	v_and_b32_e32 v53, 0x80000000, v53
	v_lshl_add_u32 v30, v30, 23, v54
	v_or3_b32 v42, v53, v30, v42
.LBB599_45:
	s_or_b64 exec, exec, s[10:11]
.LBB599_46:
	s_or_b64 exec, exec, s[8:9]
.LBB599_47:
	s_or_b64 exec, exec, s[2:3]
	s_movk_i32 s2, 0xff
	v_and_b32_sdwa v55, v31, s2 dst_sel:DWORD dst_unused:UNUSED_PAD src0_sel:WORD_1 src1_sel:DWORD
	v_lshrrev_b32_e32 v30, 16, v31
	v_cmp_ne_u16_e32 vcc, 0, v55
	v_mov_b32_e32 v53, 0
	v_mov_b32_e32 v54, 0
	s_and_saveexec_b64 s[2:3], vcc
	s_cbranch_execz .LBB599_53
; %bb.48:
	s_movk_i32 s8, 0x80
	v_cmp_ne_u16_e32 vcc, s8, v55
	v_bfrev_b32_e32 v54, 1
	s_and_saveexec_b64 s[8:9], vcc
	s_cbranch_execz .LBB599_52
; %bb.49:
	v_bfe_u32 v55, v31, 16, 7
	s_movk_i32 s10, 0x7f
	v_cmp_ne_u32_e32 vcc, s10, v55
	v_mov_b32_e32 v54, 0x7f800001
	s_and_saveexec_b64 s[10:11], vcc
	s_cbranch_execz .LBB599_51
; %bb.50:
	v_and_b32_e32 v54, 7, v30
	v_ffbh_u32_e32 v56, v54
	v_min_u32_e32 v59, 32, v56
	v_subrev_u32_e32 v56, 28, v59
	v_lshlrev_b64 v[56:57], v56, v[30:31]
	v_lshrrev_b32_e32 v58, 3, v55
	v_sub_u32_e32 v30, 29, v59
	v_and_b32_e32 v56, 7, v56
	v_cmp_gt_u32_e32 vcc, 8, v55
	v_mov_b32_e32 v55, 24
	v_cndmask_b32_e32 v30, v58, v30, vcc
	v_cndmask_b32_e32 v54, v54, v56, vcc
	v_lshlrev_b32_sdwa v55, v55, v31 dst_sel:DWORD dst_unused:UNUSED_PAD src0_sel:DWORD src1_sel:WORD_1
	v_bfrev_b32_e32 v56, 60
	v_lshlrev_b32_e32 v54, 20, v54
	v_and_b32_e32 v55, 0x80000000, v55
	v_lshl_add_u32 v30, v30, 23, v56
	v_or3_b32 v54, v55, v30, v54
.LBB599_51:
	s_or_b64 exec, exec, s[10:11]
.LBB599_52:
	s_or_b64 exec, exec, s[8:9]
.LBB599_53:
	s_or_b64 exec, exec, s[2:3]
	s_mov_b32 s2, 0xffffff
	v_cmp_lt_u32_e32 vcc, s2, v31
	s_and_saveexec_b64 s[2:3], vcc
	s_cbranch_execz .LBB599_59
; %bb.54:
	v_lshrrev_b32_e32 v30, 24, v31
	s_movk_i32 s8, 0x80
	v_cmp_ne_u32_e32 vcc, s8, v30
	v_bfrev_b32_e32 v53, 1
	s_and_saveexec_b64 s[8:9], vcc
	s_cbranch_execz .LBB599_58
; %bb.55:
	v_bfe_u32 v31, v31, 24, 7
	s_movk_i32 s10, 0x7f
	v_cmp_ne_u32_e32 vcc, s10, v31
	v_mov_b32_e32 v53, 0x7f800001
	s_and_saveexec_b64 s[10:11], vcc
	s_cbranch_execz .LBB599_57
; %bb.56:
	v_and_b32_e32 v53, 7, v30
	v_ffbh_u32_e32 v56, v53
	v_min_u32_e32 v58, 32, v56
	v_subrev_u32_e32 v56, 28, v58
	v_lshlrev_b64 v[56:57], v56, v[30:31]
	v_lshrrev_b32_e32 v55, 3, v31
	v_sub_u32_e32 v57, 29, v58
	v_and_b32_e32 v56, 7, v56
	v_cmp_gt_u32_e32 vcc, 8, v31
	v_cndmask_b32_e32 v31, v55, v57, vcc
	v_cndmask_b32_e32 v53, v53, v56, vcc
	v_lshlrev_b32_e32 v30, 24, v30
	v_bfrev_b32_e32 v55, 60
	v_lshlrev_b32_e32 v53, 20, v53
	v_and_b32_e32 v30, 0x80000000, v30
	v_lshl_add_u32 v31, v31, 23, v55
	v_or3_b32 v53, v30, v31, v53
.LBB599_57:
	s_or_b64 exec, exec, s[10:11]
.LBB599_58:
	s_or_b64 exec, exec, s[8:9]
.LBB599_59:
	s_or_b64 exec, exec, s[2:3]
	v_cvt_pkrtz_f16_f32 v30, v44, v43
	v_cvt_pkrtz_f16_f32 v31, v51, v45
	;; [unrolled: 1-line block ×4, first 2 shown]
	v_mov_b32_e32 v52, 0
	s_waitcnt lgkmcnt(0)
	v_mfma_f32_16x16x16f16 v[56:59], v[30:31], v[26:27], 0
	v_mov_b32_e32 v31, 0
	v_cmp_ne_u16_sdwa s[8:9], v32, v31 src0_sel:BYTE_0 src1_sel:DWORD
	v_mfma_f32_16x16x16f16 v[42:45], v[42:43], v[28:29], v[56:59]
	s_and_saveexec_b64 s[2:3], s[8:9]
	s_cbranch_execz .LBB599_65
; %bb.60:
	s_movk_i32 s8, 0x80
	v_cmp_ne_u16_sdwa s[10:11], v32, s8 src0_sel:BYTE_0 src1_sel:DWORD
	v_bfrev_b32_e32 v52, 1
	s_and_saveexec_b64 s[8:9], s[10:11]
	s_cbranch_execz .LBB599_64
; %bb.61:
	s_movk_i32 s10, 0x7f
	v_and_b32_e32 v30, 0x7f, v32
	v_cmp_ne_u32_e32 vcc, s10, v30
	v_mov_b32_e32 v52, 0x7f800001
	s_and_saveexec_b64 s[10:11], vcc
	s_cbranch_execz .LBB599_63
; %bb.62:
	v_and_b32_e32 v51, 7, v32
	v_ffbh_u32_e32 v52, v51
	v_min_u32_e32 v55, 32, v52
	v_subrev_u32_e32 v52, 28, v55
	v_lshlrev_b64 v[52:53], v52, v[32:33]
	v_lshrrev_b32_e32 v54, 3, v30
	v_sub_u32_e32 v53, 29, v55
	v_and_b32_e32 v52, 7, v52
	v_cmp_gt_u32_e32 vcc, 8, v30
	v_cndmask_b32_e32 v30, v54, v53, vcc
	v_cndmask_b32_e32 v51, v51, v52, vcc
	v_lshlrev_b32_e32 v52, 24, v32
	v_bfrev_b32_e32 v53, 60
	v_lshlrev_b32_e32 v51, 20, v51
	v_and_b32_e32 v52, 0x80000000, v52
	v_lshl_add_u32 v30, v30, 23, v53
	v_or3_b32 v52, v52, v30, v51
.LBB599_63:
	s_or_b64 exec, exec, s[10:11]
.LBB599_64:
	s_or_b64 exec, exec, s[8:9]
.LBB599_65:
	s_or_b64 exec, exec, s[2:3]
	v_lshrrev_b16_e32 v30, 8, v32
	v_cmp_ne_u16_e32 vcc, 0, v30
	v_mov_b32_e32 v53, 0
	s_and_saveexec_b64 s[2:3], vcc
	s_cbranch_execz .LBB599_71
; %bb.66:
	s_movk_i32 s8, 0x80
	v_cmp_ne_u16_e32 vcc, s8, v30
	v_bfrev_b32_e32 v53, 1
	s_and_saveexec_b64 s[8:9], vcc
	s_cbranch_execz .LBB599_70
; %bb.67:
	s_movk_i32 s10, 0x7f
	v_and_b32_e32 v51, 0x7f, v30
	v_cmp_ne_u32_e32 vcc, s10, v51
	v_mov_b32_e32 v53, 0x7f800001
	s_and_saveexec_b64 s[10:11], vcc
	s_cbranch_execz .LBB599_69
; %bb.68:
	v_and_b32_e32 v53, 7, v30
	v_ffbh_u32_e32 v54, v53
	v_min_u32_e32 v57, 32, v54
	v_subrev_u32_e32 v54, 28, v57
	v_lshlrev_b64 v[54:55], v54, v[30:31]
	v_lshrrev_b32_e32 v56, 3, v51
	v_sub_u32_e32 v30, 29, v57
	v_and_b32_e32 v54, 7, v54
	v_cmp_gt_u32_e32 vcc, 8, v51
	v_cndmask_b32_e32 v30, v56, v30, vcc
	v_cndmask_b32_e32 v51, v53, v54, vcc
	v_lshlrev_b32_e32 v53, 16, v32
	v_bfrev_b32_e32 v54, 60
	v_lshlrev_b32_e32 v51, 20, v51
	v_and_b32_e32 v53, 0x80000000, v53
	v_lshl_add_u32 v30, v30, 23, v54
	v_or3_b32 v53, v53, v30, v51
.LBB599_69:
	s_or_b64 exec, exec, s[10:11]
.LBB599_70:
	s_or_b64 exec, exec, s[8:9]
.LBB599_71:
	s_or_b64 exec, exec, s[2:3]
	s_movk_i32 s2, 0xff
	v_and_b32_sdwa v51, v32, s2 dst_sel:DWORD dst_unused:UNUSED_PAD src0_sel:WORD_1 src1_sel:DWORD
	v_lshrrev_b32_e32 v30, 16, v32
	v_cmp_ne_u16_e32 vcc, 0, v51
	s_and_saveexec_b64 s[2:3], vcc
	s_cbranch_execz .LBB599_77
; %bb.72:
	s_movk_i32 s8, 0x80
	v_cmp_ne_u16_e32 vcc, s8, v51
	v_bfrev_b32_e32 v31, 1
	s_and_saveexec_b64 s[8:9], vcc
	s_cbranch_execz .LBB599_76
; %bb.73:
	v_bfe_u32 v51, v32, 16, 7
	s_movk_i32 s10, 0x7f
	v_cmp_ne_u32_e32 vcc, s10, v51
	v_mov_b32_e32 v31, 0x7f800001
	s_and_saveexec_b64 s[10:11], vcc
	s_cbranch_execz .LBB599_75
; %bb.74:
	v_and_b32_e32 v54, 7, v30
	v_ffbh_u32_e32 v31, v54
	v_min_u32_e32 v56, 32, v31
	v_subrev_u32_e32 v31, 28, v56
	v_lshlrev_b64 v[30:31], v31, v[30:31]
	v_lshrrev_b32_e32 v55, 3, v51
	v_sub_u32_e32 v31, 29, v56
	v_and_b32_e32 v30, 7, v30
	v_cmp_gt_u32_e32 vcc, 8, v51
	v_mov_b32_e32 v51, 24
	v_cndmask_b32_e32 v31, v55, v31, vcc
	v_cndmask_b32_e32 v30, v54, v30, vcc
	v_lshlrev_b32_sdwa v51, v51, v32 dst_sel:DWORD dst_unused:UNUSED_PAD src0_sel:DWORD src1_sel:WORD_1
	v_bfrev_b32_e32 v54, 60
	v_lshlrev_b32_e32 v30, 20, v30
	v_and_b32_e32 v51, 0x80000000, v51
	v_lshl_add_u32 v31, v31, 23, v54
	v_or3_b32 v31, v51, v31, v30
.LBB599_75:
	s_or_b64 exec, exec, s[10:11]
.LBB599_76:
	s_or_b64 exec, exec, s[8:9]
.LBB599_77:
	s_or_b64 exec, exec, s[2:3]
	s_mov_b32 s2, 0xffffff
	v_cmp_lt_u32_e32 vcc, s2, v32
	v_mov_b32_e32 v54, 0
	v_mov_b32_e32 v55, 0
	s_and_saveexec_b64 s[2:3], vcc
	s_cbranch_execz .LBB599_83
; %bb.78:
	v_lshrrev_b32_e32 v30, 24, v32
	s_movk_i32 s8, 0x80
	v_cmp_ne_u32_e32 vcc, s8, v30
	v_bfrev_b32_e32 v55, 1
	s_and_saveexec_b64 s[8:9], vcc
	s_cbranch_execz .LBB599_82
; %bb.79:
	v_bfe_u32 v32, v32, 24, 7
	s_movk_i32 s10, 0x7f
	v_cmp_ne_u32_e32 vcc, s10, v32
	v_mov_b32_e32 v55, 0x7f800001
	s_and_saveexec_b64 s[10:11], vcc
	s_cbranch_execz .LBB599_81
; %bb.80:
	v_and_b32_e32 v51, 7, v30
	v_ffbh_u32_e32 v56, v51
	v_min_u32_e32 v58, 32, v56
	v_subrev_u32_e32 v56, 28, v58
	v_lshlrev_b64 v[56:57], v56, v[30:31]
	v_lshrrev_b32_e32 v55, 3, v32
	v_sub_u32_e32 v57, 29, v58
	v_and_b32_e32 v56, 7, v56
	v_cmp_gt_u32_e32 vcc, 8, v32
	v_cndmask_b32_e32 v32, v55, v57, vcc
	v_cndmask_b32_e32 v51, v51, v56, vcc
	v_lshlrev_b32_e32 v30, 24, v30
	v_bfrev_b32_e32 v55, 60
	v_lshlrev_b32_e32 v51, 20, v51
	v_and_b32_e32 v30, 0x80000000, v30
	v_lshl_add_u32 v32, v32, 23, v55
	v_or3_b32 v55, v30, v32, v51
.LBB599_81:
	s_or_b64 exec, exec, s[10:11]
.LBB599_82:
	s_or_b64 exec, exec, s[8:9]
.LBB599_83:
	s_or_b64 exec, exec, s[2:3]
	v_cmp_ne_u16_sdwa s[8:9], v33, v54 src0_sel:BYTE_0 src1_sel:DWORD
	s_and_saveexec_b64 s[2:3], s[8:9]
	s_cbranch_execz .LBB599_89
; %bb.84:
	s_movk_i32 s8, 0x80
	v_cmp_ne_u16_sdwa s[10:11], v33, s8 src0_sel:BYTE_0 src1_sel:DWORD
	v_bfrev_b32_e32 v54, 1
	s_and_saveexec_b64 s[8:9], s[10:11]
	s_cbranch_execz .LBB599_88
; %bb.85:
	s_movk_i32 s10, 0x7f
	v_and_b32_e32 v30, 0x7f, v33
	v_cmp_ne_u32_e32 vcc, s10, v30
	v_mov_b32_e32 v54, 0x7f800001
	s_and_saveexec_b64 s[10:11], vcc
	s_cbranch_execz .LBB599_87
; %bb.86:
	v_and_b32_e32 v51, 7, v33
	v_ffbh_u32_e32 v56, v51
	v_min_u32_e32 v58, 32, v56
	v_mov_b32_e32 v32, v33
	v_subrev_u32_e32 v56, 28, v58
	v_lshlrev_b64 v[56:57], v56, v[32:33]
	v_lshrrev_b32_e32 v54, 3, v30
	v_sub_u32_e32 v32, 29, v58
	v_and_b32_e32 v56, 7, v56
	v_cmp_gt_u32_e32 vcc, 8, v30
	v_cndmask_b32_e32 v30, v54, v32, vcc
	v_cndmask_b32_e32 v32, v51, v56, vcc
	v_lshlrev_b32_e32 v51, 24, v33
	v_bfrev_b32_e32 v54, 60
	v_lshlrev_b32_e32 v32, 20, v32
	v_and_b32_e32 v51, 0x80000000, v51
	v_lshl_add_u32 v30, v30, 23, v54
	v_or3_b32 v54, v51, v30, v32
.LBB599_87:
	s_or_b64 exec, exec, s[10:11]
.LBB599_88:
	s_or_b64 exec, exec, s[8:9]
.LBB599_89:
	s_or_b64 exec, exec, s[2:3]
	v_lshrrev_b16_e32 v30, 8, v33
	v_cmp_ne_u16_e32 vcc, 0, v30
	v_mov_b32_e32 v32, 0
	v_mov_b32_e32 v56, 0
	s_and_saveexec_b64 s[2:3], vcc
	s_cbranch_execz .LBB599_95
; %bb.90:
	s_movk_i32 s8, 0x80
	v_cmp_ne_u16_e32 vcc, s8, v30
	v_bfrev_b32_e32 v56, 1
	s_and_saveexec_b64 s[8:9], vcc
	s_cbranch_execz .LBB599_94
; %bb.91:
	s_movk_i32 s10, 0x7f
	v_and_b32_e32 v51, 0x7f, v30
	v_cmp_ne_u32_e32 vcc, s10, v51
	v_mov_b32_e32 v56, 0x7f800001
	s_and_saveexec_b64 s[10:11], vcc
	s_cbranch_execz .LBB599_93
; %bb.92:
	v_and_b32_e32 v58, 7, v30
	v_ffbh_u32_e32 v56, v58
	v_min_u32_e32 v60, 32, v56
	v_subrev_u32_e32 v56, 28, v60
	v_lshlrev_b64 v[56:57], v56, v[30:31]
	v_lshrrev_b32_e32 v59, 3, v51
	v_sub_u32_e32 v30, 29, v60
	v_and_b32_e32 v56, 7, v56
	v_cmp_gt_u32_e32 vcc, 8, v51
	v_cndmask_b32_e32 v30, v59, v30, vcc
	v_cndmask_b32_e32 v51, v58, v56, vcc
	v_lshlrev_b32_e32 v56, 16, v33
	v_bfrev_b32_e32 v57, 60
	v_lshlrev_b32_e32 v51, 20, v51
	v_and_b32_e32 v56, 0x80000000, v56
	v_lshl_add_u32 v30, v30, 23, v57
	v_or3_b32 v56, v56, v30, v51
.LBB599_93:
	s_or_b64 exec, exec, s[10:11]
.LBB599_94:
	s_or_b64 exec, exec, s[8:9]
.LBB599_95:
	s_or_b64 exec, exec, s[2:3]
	s_movk_i32 s2, 0xff
	v_and_b32_sdwa v51, v33, s2 dst_sel:DWORD dst_unused:UNUSED_PAD src0_sel:WORD_1 src1_sel:DWORD
	v_lshrrev_b32_e32 v30, 16, v33
	v_cmp_ne_u16_e32 vcc, 0, v51
	s_and_saveexec_b64 s[2:3], vcc
	s_cbranch_execz .LBB599_101
; %bb.96:
	s_movk_i32 s8, 0x80
	v_cmp_ne_u16_e32 vcc, s8, v51
	v_bfrev_b32_e32 v32, 1
	s_and_saveexec_b64 s[8:9], vcc
	s_cbranch_execz .LBB599_100
; %bb.97:
	v_bfe_u32 v51, v33, 16, 7
	s_movk_i32 s10, 0x7f
	v_cmp_ne_u32_e32 vcc, s10, v51
	v_mov_b32_e32 v32, 0x7f800001
	s_and_saveexec_b64 s[10:11], vcc
	s_cbranch_execz .LBB599_99
; %bb.98:
	v_and_b32_e32 v32, 7, v30
	v_ffbh_u32_e32 v58, v32
	v_min_u32_e32 v60, 32, v58
	v_subrev_u32_e32 v58, 28, v60
	v_lshlrev_b64 v[58:59], v58, v[30:31]
	v_lshrrev_b32_e32 v57, 3, v51
	v_sub_u32_e32 v30, 29, v60
	v_and_b32_e32 v58, 7, v58
	v_cmp_gt_u32_e32 vcc, 8, v51
	v_mov_b32_e32 v51, 24
	v_cndmask_b32_e32 v30, v57, v30, vcc
	v_cndmask_b32_e32 v32, v32, v58, vcc
	v_lshlrev_b32_sdwa v51, v51, v33 dst_sel:DWORD dst_unused:UNUSED_PAD src0_sel:DWORD src1_sel:WORD_1
	v_bfrev_b32_e32 v57, 60
	v_lshlrev_b32_e32 v32, 20, v32
	v_and_b32_e32 v51, 0x80000000, v51
	v_lshl_add_u32 v30, v30, 23, v57
	v_or3_b32 v32, v51, v30, v32
.LBB599_99:
	s_or_b64 exec, exec, s[10:11]
.LBB599_100:
	s_or_b64 exec, exec, s[8:9]
.LBB599_101:
	s_or_b64 exec, exec, s[2:3]
	s_mov_b32 s2, 0xffffff
	v_cmp_lt_u32_e32 vcc, s2, v33
	v_mov_b32_e32 v51, 0
	v_mov_b32_e32 v57, 0
	s_and_saveexec_b64 s[2:3], vcc
	s_cbranch_execz .LBB599_107
; %bb.102:
	v_lshrrev_b32_e32 v30, 24, v33
	s_movk_i32 s8, 0x80
	v_cmp_ne_u32_e32 vcc, s8, v30
	v_bfrev_b32_e32 v57, 1
	s_and_saveexec_b64 s[8:9], vcc
	s_cbranch_execz .LBB599_106
; %bb.103:
	v_bfe_u32 v33, v33, 24, 7
	s_movk_i32 s10, 0x7f
	v_cmp_ne_u32_e32 vcc, s10, v33
	v_mov_b32_e32 v57, 0x7f800001
	s_and_saveexec_b64 s[10:11], vcc
	s_cbranch_execz .LBB599_105
; %bb.104:
	v_and_b32_e32 v57, 7, v30
	v_ffbh_u32_e32 v58, v57
	v_min_u32_e32 v61, 32, v58
	v_subrev_u32_e32 v58, 28, v61
	v_lshlrev_b64 v[58:59], v58, v[30:31]
	v_lshrrev_b32_e32 v60, 3, v33
	v_sub_u32_e32 v59, 29, v61
	v_and_b32_e32 v58, 7, v58
	v_cmp_gt_u32_e32 vcc, 8, v33
	v_cndmask_b32_e32 v33, v60, v59, vcc
	v_cndmask_b32_e32 v57, v57, v58, vcc
	v_lshlrev_b32_e32 v30, 24, v30
	v_bfrev_b32_e32 v58, 60
	v_lshlrev_b32_e32 v57, 20, v57
	v_and_b32_e32 v30, 0x80000000, v30
	v_lshl_add_u32 v33, v33, 23, v58
	v_or3_b32 v57, v30, v33, v57
.LBB599_105:
	s_or_b64 exec, exec, s[10:11]
.LBB599_106:
	s_or_b64 exec, exec, s[8:9]
.LBB599_107:
	s_or_b64 exec, exec, s[2:3]
	v_cvt_pkrtz_f16_f32 v30, v52, v53
	v_cvt_pkrtz_f16_f32 v31, v31, v55
	s_waitcnt vmcnt(6)
	v_cmp_ne_u16_sdwa s[8:9], v38, v51 src0_sel:BYTE_0 src1_sel:DWORD
	v_mfma_f32_16x16x16f16 v[42:45], v[30:31], v[18:19], v[42:45]
	v_cvt_pkrtz_f16_f32 v30, v54, v56
	v_cvt_pkrtz_f16_f32 v31, v32, v57
	s_nop 1
	v_mfma_f32_16x16x16f16 v[30:33], v[30:31], v[20:21], v[42:45]
	s_and_saveexec_b64 s[2:3], s[8:9]
	s_cbranch_execz .LBB599_113
; %bb.108:
	s_movk_i32 s8, 0x80
	v_cmp_ne_u16_sdwa s[10:11], v38, s8 src0_sel:BYTE_0 src1_sel:DWORD
	v_bfrev_b32_e32 v51, 1
	s_and_saveexec_b64 s[8:9], s[10:11]
	s_cbranch_execz .LBB599_112
; %bb.109:
	s_movk_i32 s10, 0x7f
	v_and_b32_e32 v42, 0x7f, v38
	v_cmp_ne_u32_e32 vcc, s10, v42
	v_mov_b32_e32 v51, 0x7f800001
	s_and_saveexec_b64 s[10:11], vcc
	s_cbranch_execz .LBB599_111
; %bb.110:
	v_and_b32_e32 v43, 7, v38
	v_ffbh_u32_e32 v44, v43
	v_min_u32_e32 v52, 32, v44
	v_subrev_u32_e32 v44, 28, v52
	v_lshlrev_b64 v[44:45], v44, v[38:39]
	v_lshrrev_b32_e32 v51, 3, v42
	v_sub_u32_e32 v45, 29, v52
	v_and_b32_e32 v44, 7, v44
	v_cmp_gt_u32_e32 vcc, 8, v42
	v_cndmask_b32_e32 v42, v51, v45, vcc
	v_cndmask_b32_e32 v43, v43, v44, vcc
	v_lshlrev_b32_e32 v44, 24, v38
	v_bfrev_b32_e32 v45, 60
	v_lshlrev_b32_e32 v43, 20, v43
	v_and_b32_e32 v44, 0x80000000, v44
	v_lshl_add_u32 v42, v42, 23, v45
	v_or3_b32 v51, v44, v42, v43
.LBB599_111:
	s_or_b64 exec, exec, s[10:11]
.LBB599_112:
	s_or_b64 exec, exec, s[8:9]
.LBB599_113:
	s_or_b64 exec, exec, s[2:3]
	s_nop 3
	v_lshrrev_b16_e32 v42, 8, v38
	v_cmp_ne_u16_e32 vcc, 0, v42
	v_mov_b32_e32 v43, 0
	v_mov_b32_e32 v44, 0
	s_and_saveexec_b64 s[2:3], vcc
	s_cbranch_execz .LBB599_119
; %bb.114:
	s_movk_i32 s8, 0x80
	v_cmp_ne_u16_e32 vcc, s8, v42
	v_bfrev_b32_e32 v44, 1
	s_and_saveexec_b64 s[8:9], vcc
	s_cbranch_execz .LBB599_118
; %bb.115:
	s_movk_i32 s10, 0x7f
	v_and_b32_e32 v45, 0x7f, v42
	v_cmp_ne_u32_e32 vcc, s10, v45
	v_mov_b32_e32 v44, 0x7f800001
	s_and_saveexec_b64 s[10:11], vcc
	s_cbranch_execz .LBB599_117
; %bb.116:
	v_and_b32_e32 v44, 7, v42
	v_ffbh_u32_e32 v52, v44
	v_min_u32_e32 v55, 32, v52
	v_subrev_u32_e32 v52, 28, v55
	v_lshlrev_b64 v[52:53], v52, v[42:43]
	v_lshrrev_b32_e32 v54, 3, v45
	v_sub_u32_e32 v42, 29, v55
	v_and_b32_e32 v52, 7, v52
	v_cmp_gt_u32_e32 vcc, 8, v45
	v_cndmask_b32_e32 v42, v54, v42, vcc
	v_cndmask_b32_e32 v44, v44, v52, vcc
	v_lshlrev_b32_e32 v45, 16, v38
	v_bfrev_b32_e32 v52, 60
	v_lshlrev_b32_e32 v44, 20, v44
	v_and_b32_e32 v45, 0x80000000, v45
	v_lshl_add_u32 v42, v42, 23, v52
	v_or3_b32 v44, v45, v42, v44
.LBB599_117:
	s_or_b64 exec, exec, s[10:11]
.LBB599_118:
	s_or_b64 exec, exec, s[8:9]
.LBB599_119:
	s_or_b64 exec, exec, s[2:3]
	s_movk_i32 s2, 0xff
	v_and_b32_sdwa v45, v38, s2 dst_sel:DWORD dst_unused:UNUSED_PAD src0_sel:WORD_1 src1_sel:DWORD
	v_lshrrev_b32_e32 v42, 16, v38
	v_cmp_ne_u16_e32 vcc, 0, v45
	s_and_saveexec_b64 s[2:3], vcc
	s_cbranch_execz .LBB599_125
; %bb.120:
	s_movk_i32 s8, 0x80
	v_cmp_ne_u16_e32 vcc, s8, v45
	v_bfrev_b32_e32 v43, 1
	s_and_saveexec_b64 s[8:9], vcc
	s_cbranch_execz .LBB599_124
; %bb.121:
	v_bfe_u32 v45, v38, 16, 7
	s_movk_i32 s10, 0x7f
	v_cmp_ne_u32_e32 vcc, s10, v45
	v_mov_b32_e32 v43, 0x7f800001
	s_and_saveexec_b64 s[10:11], vcc
	s_cbranch_execz .LBB599_123
; %bb.122:
	v_and_b32_e32 v52, 7, v42
	v_ffbh_u32_e32 v43, v52
	v_min_u32_e32 v54, 32, v43
	v_subrev_u32_e32 v43, 28, v54
	v_lshlrev_b64 v[42:43], v43, v[42:43]
	v_lshrrev_b32_e32 v53, 3, v45
	v_sub_u32_e32 v43, 29, v54
	v_and_b32_e32 v42, 7, v42
	v_cmp_gt_u32_e32 vcc, 8, v45
	v_mov_b32_e32 v45, 24
	v_cndmask_b32_e32 v43, v53, v43, vcc
	v_cndmask_b32_e32 v42, v52, v42, vcc
	v_lshlrev_b32_sdwa v45, v45, v38 dst_sel:DWORD dst_unused:UNUSED_PAD src0_sel:DWORD src1_sel:WORD_1
	v_bfrev_b32_e32 v52, 60
	v_lshlrev_b32_e32 v42, 20, v42
	v_and_b32_e32 v45, 0x80000000, v45
	v_lshl_add_u32 v43, v43, 23, v52
	v_or3_b32 v43, v45, v43, v42
.LBB599_123:
	s_or_b64 exec, exec, s[10:11]
.LBB599_124:
	s_or_b64 exec, exec, s[8:9]
.LBB599_125:
	s_or_b64 exec, exec, s[2:3]
	s_mov_b32 s2, 0xffffff
	v_cmp_lt_u32_e32 vcc, s2, v38
	v_mov_b32_e32 v45, 0
	v_mov_b32_e32 v53, 0
	s_and_saveexec_b64 s[2:3], vcc
	s_cbranch_execz .LBB599_131
; %bb.126:
	v_lshrrev_b32_e32 v42, 24, v38
	s_movk_i32 s8, 0x80
	v_cmp_ne_u32_e32 vcc, s8, v42
	v_bfrev_b32_e32 v53, 1
	s_and_saveexec_b64 s[8:9], vcc
	s_cbranch_execz .LBB599_130
; %bb.127:
	v_bfe_u32 v38, v38, 24, 7
	s_movk_i32 s10, 0x7f
	v_cmp_ne_u32_e32 vcc, s10, v38
	v_mov_b32_e32 v53, 0x7f800001
	s_and_saveexec_b64 s[10:11], vcc
	s_cbranch_execz .LBB599_129
; %bb.128:
	v_and_b32_e32 v54, 7, v42
	v_ffbh_u32_e32 v52, v54
	v_min_u32_e32 v56, 32, v52
	v_subrev_u32_e32 v52, 28, v56
	v_lshlrev_b64 v[52:53], v52, v[42:43]
	v_lshrrev_b32_e32 v55, 3, v38
	v_sub_u32_e32 v53, 29, v56
	v_and_b32_e32 v52, 7, v52
	v_cmp_gt_u32_e32 vcc, 8, v38
	v_cndmask_b32_e32 v38, v55, v53, vcc
	v_cndmask_b32_e32 v52, v54, v52, vcc
	v_lshlrev_b32_e32 v42, 24, v42
	v_bfrev_b32_e32 v53, 60
	v_lshlrev_b32_e32 v52, 20, v52
	v_and_b32_e32 v42, 0x80000000, v42
	v_lshl_add_u32 v38, v38, 23, v53
	v_or3_b32 v53, v42, v38, v52
.LBB599_129:
	s_or_b64 exec, exec, s[10:11]
.LBB599_130:
	s_or_b64 exec, exec, s[8:9]
.LBB599_131:
	s_or_b64 exec, exec, s[2:3]
	v_cmp_ne_u16_sdwa s[8:9], v39, v45 src0_sel:BYTE_0 src1_sel:DWORD
	s_and_saveexec_b64 s[2:3], s[8:9]
	s_cbranch_execz .LBB599_137
; %bb.132:
	s_movk_i32 s8, 0x80
	v_cmp_ne_u16_sdwa s[10:11], v39, s8 src0_sel:BYTE_0 src1_sel:DWORD
	v_bfrev_b32_e32 v45, 1
	s_and_saveexec_b64 s[8:9], s[10:11]
	s_cbranch_execz .LBB599_136
; %bb.133:
	s_movk_i32 s10, 0x7f
	v_and_b32_e32 v38, 0x7f, v39
	v_cmp_ne_u32_e32 vcc, s10, v38
	v_mov_b32_e32 v45, 0x7f800001
	s_and_saveexec_b64 s[10:11], vcc
	s_cbranch_execz .LBB599_135
; %bb.134:
	v_and_b32_e32 v45, 7, v39
	v_ffbh_u32_e32 v54, v45
	v_min_u32_e32 v56, 32, v54
	v_mov_b32_e32 v42, v39
	v_subrev_u32_e32 v54, 28, v56
	v_lshlrev_b64 v[54:55], v54, v[42:43]
	v_lshrrev_b32_e32 v52, 3, v38
	v_sub_u32_e32 v42, 29, v56
	v_and_b32_e32 v54, 7, v54
	v_cmp_gt_u32_e32 vcc, 8, v38
	v_cndmask_b32_e32 v38, v52, v42, vcc
	v_cndmask_b32_e32 v42, v45, v54, vcc
	v_lshlrev_b32_e32 v45, 24, v39
	v_bfrev_b32_e32 v52, 60
	v_lshlrev_b32_e32 v42, 20, v42
	v_and_b32_e32 v45, 0x80000000, v45
	v_lshl_add_u32 v38, v38, 23, v52
	v_or3_b32 v45, v45, v38, v42
.LBB599_135:
	s_or_b64 exec, exec, s[10:11]
.LBB599_136:
	s_or_b64 exec, exec, s[8:9]
.LBB599_137:
	s_or_b64 exec, exec, s[2:3]
	v_lshrrev_b16_e32 v38, 8, v39
	v_cmp_ne_u16_e32 vcc, 0, v38
	v_mov_b32_e32 v42, 0
	v_mov_b32_e32 v54, 0
	s_and_saveexec_b64 s[2:3], vcc
	s_cbranch_execz .LBB599_143
; %bb.138:
	s_movk_i32 s8, 0x80
	v_cmp_ne_u16_e32 vcc, s8, v38
	v_bfrev_b32_e32 v54, 1
	s_and_saveexec_b64 s[8:9], vcc
	s_cbranch_execz .LBB599_142
; %bb.139:
	s_movk_i32 s10, 0x7f
	v_and_b32_e32 v52, 0x7f, v38
	v_cmp_ne_u32_e32 vcc, s10, v52
	v_mov_b32_e32 v54, 0x7f800001
	s_and_saveexec_b64 s[10:11], vcc
	s_cbranch_execz .LBB599_141
; %bb.140:
	v_and_b32_e32 v56, 7, v38
	v_ffbh_u32_e32 v54, v56
	v_min_u32_e32 v58, 32, v54
	v_subrev_u32_e32 v54, 28, v58
	v_lshlrev_b64 v[54:55], v54, v[38:39]
	v_lshrrev_b32_e32 v57, 3, v52
	v_sub_u32_e32 v38, 29, v58
	v_and_b32_e32 v54, 7, v54
	v_cmp_gt_u32_e32 vcc, 8, v52
	v_cndmask_b32_e32 v38, v57, v38, vcc
	v_cndmask_b32_e32 v52, v56, v54, vcc
	v_lshlrev_b32_e32 v54, 16, v39
	v_bfrev_b32_e32 v55, 60
	v_lshlrev_b32_e32 v52, 20, v52
	v_and_b32_e32 v54, 0x80000000, v54
	v_lshl_add_u32 v38, v38, 23, v55
	v_or3_b32 v54, v54, v38, v52
.LBB599_141:
	s_or_b64 exec, exec, s[10:11]
.LBB599_142:
	s_or_b64 exec, exec, s[8:9]
.LBB599_143:
	s_or_b64 exec, exec, s[2:3]
	s_movk_i32 s2, 0xff
	v_and_b32_sdwa v52, v39, s2 dst_sel:DWORD dst_unused:UNUSED_PAD src0_sel:WORD_1 src1_sel:DWORD
	v_lshrrev_b32_e32 v38, 16, v39
	v_cmp_ne_u16_e32 vcc, 0, v52
	s_and_saveexec_b64 s[2:3], vcc
	s_cbranch_execz .LBB599_149
; %bb.144:
	s_movk_i32 s8, 0x80
	v_cmp_ne_u16_e32 vcc, s8, v52
	v_bfrev_b32_e32 v42, 1
	s_and_saveexec_b64 s[8:9], vcc
	s_cbranch_execz .LBB599_148
; %bb.145:
	v_bfe_u32 v52, v39, 16, 7
	s_movk_i32 s10, 0x7f
	v_cmp_ne_u32_e32 vcc, s10, v52
	v_mov_b32_e32 v42, 0x7f800001
	s_and_saveexec_b64 s[10:11], vcc
	s_cbranch_execz .LBB599_147
; %bb.146:
	v_and_b32_e32 v42, 7, v38
	v_ffbh_u32_e32 v56, v42
	v_min_u32_e32 v58, 32, v56
	v_subrev_u32_e32 v56, 28, v58
	v_lshlrev_b64 v[56:57], v56, v[38:39]
	v_lshrrev_b32_e32 v55, 3, v52
	v_sub_u32_e32 v38, 29, v58
	v_and_b32_e32 v56, 7, v56
	v_cmp_gt_u32_e32 vcc, 8, v52
	v_mov_b32_e32 v52, 24
	v_cndmask_b32_e32 v38, v55, v38, vcc
	v_cndmask_b32_e32 v42, v42, v56, vcc
	v_lshlrev_b32_sdwa v52, v52, v39 dst_sel:DWORD dst_unused:UNUSED_PAD src0_sel:DWORD src1_sel:WORD_1
	v_bfrev_b32_e32 v55, 60
	v_lshlrev_b32_e32 v42, 20, v42
	v_and_b32_e32 v52, 0x80000000, v52
	v_lshl_add_u32 v38, v38, 23, v55
	v_or3_b32 v42, v52, v38, v42
.LBB599_147:
	s_or_b64 exec, exec, s[10:11]
.LBB599_148:
	s_or_b64 exec, exec, s[8:9]
.LBB599_149:
	s_or_b64 exec, exec, s[2:3]
	s_mov_b32 s2, 0xffffff
	v_cmp_lt_u32_e32 vcc, s2, v39
	v_mov_b32_e32 v52, 0
	v_mov_b32_e32 v55, 0
	s_and_saveexec_b64 s[2:3], vcc
	s_cbranch_execz .LBB599_155
; %bb.150:
	v_lshrrev_b32_e32 v38, 24, v39
	s_movk_i32 s8, 0x80
	v_cmp_ne_u32_e32 vcc, s8, v38
	v_bfrev_b32_e32 v55, 1
	s_and_saveexec_b64 s[8:9], vcc
	s_cbranch_execz .LBB599_154
; %bb.151:
	v_bfe_u32 v39, v39, 24, 7
	s_movk_i32 s10, 0x7f
	v_cmp_ne_u32_e32 vcc, s10, v39
	v_mov_b32_e32 v55, 0x7f800001
	s_and_saveexec_b64 s[10:11], vcc
	s_cbranch_execz .LBB599_153
; %bb.152:
	v_and_b32_e32 v55, 7, v38
	v_ffbh_u32_e32 v56, v55
	v_min_u32_e32 v59, 32, v56
	v_subrev_u32_e32 v56, 28, v59
	v_lshlrev_b64 v[56:57], v56, v[38:39]
	v_lshrrev_b32_e32 v58, 3, v39
	v_sub_u32_e32 v57, 29, v59
	v_and_b32_e32 v56, 7, v56
	v_cmp_gt_u32_e32 vcc, 8, v39
	v_cndmask_b32_e32 v39, v58, v57, vcc
	v_cndmask_b32_e32 v55, v55, v56, vcc
	v_lshlrev_b32_e32 v38, 24, v38
	v_bfrev_b32_e32 v56, 60
	v_lshlrev_b32_e32 v55, 20, v55
	v_and_b32_e32 v38, 0x80000000, v38
	v_lshl_add_u32 v39, v39, 23, v56
	v_or3_b32 v55, v38, v39, v55
.LBB599_153:
	s_or_b64 exec, exec, s[10:11]
.LBB599_154:
	s_or_b64 exec, exec, s[8:9]
.LBB599_155:
	s_or_b64 exec, exec, s[2:3]
	v_cvt_pkrtz_f16_f32 v38, v51, v44
	v_cvt_pkrtz_f16_f32 v39, v43, v53
	v_cmp_ne_u16_sdwa s[8:9], v40, v52 src0_sel:BYTE_0 src1_sel:DWORD
	s_nop 0
	v_mfma_f32_16x16x16f16 v[56:59], v[38:39], v[26:27], 0
	v_cvt_pkrtz_f16_f32 v38, v45, v54
	v_cvt_pkrtz_f16_f32 v39, v42, v55
	s_nop 1
	v_mfma_f32_16x16x16f16 v[42:45], v[38:39], v[28:29], v[56:59]
	s_and_saveexec_b64 s[2:3], s[8:9]
	s_cbranch_execz .LBB599_161
; %bb.156:
	s_movk_i32 s8, 0x80
	v_cmp_ne_u16_sdwa s[10:11], v40, s8 src0_sel:BYTE_0 src1_sel:DWORD
	v_bfrev_b32_e32 v52, 1
	s_and_saveexec_b64 s[8:9], s[10:11]
	s_cbranch_execz .LBB599_160
; %bb.157:
	s_movk_i32 s10, 0x7f
	v_and_b32_e32 v38, 0x7f, v40
	v_cmp_ne_u32_e32 vcc, s10, v38
	v_mov_b32_e32 v52, 0x7f800001
	s_and_saveexec_b64 s[10:11], vcc
	s_cbranch_execz .LBB599_159
; %bb.158:
	v_and_b32_e32 v39, 7, v40
	v_ffbh_u32_e32 v52, v39
	v_min_u32_e32 v54, 32, v52
	v_subrev_u32_e32 v52, 28, v54
	v_lshlrev_b64 v[52:53], v52, v[40:41]
	v_lshrrev_b32_e32 v51, 3, v38
	v_sub_u32_e32 v53, 29, v54
	v_and_b32_e32 v52, 7, v52
	v_cmp_gt_u32_e32 vcc, 8, v38
	v_cndmask_b32_e32 v38, v51, v53, vcc
	v_cndmask_b32_e32 v39, v39, v52, vcc
	v_lshlrev_b32_e32 v51, 24, v40
	v_bfrev_b32_e32 v52, 60
	v_lshlrev_b32_e32 v39, 20, v39
	v_and_b32_e32 v51, 0x80000000, v51
	v_lshl_add_u32 v38, v38, 23, v52
	v_or3_b32 v52, v51, v38, v39
.LBB599_159:
	s_or_b64 exec, exec, s[10:11]
.LBB599_160:
	s_or_b64 exec, exec, s[8:9]
.LBB599_161:
	s_or_b64 exec, exec, s[2:3]
	v_lshrrev_b16_e32 v38, 8, v40
	v_cmp_ne_u16_e32 vcc, 0, v38
	v_mov_b32_e32 v39, 0
	v_mov_b32_e32 v53, 0
	s_and_saveexec_b64 s[2:3], vcc
	s_cbranch_execz .LBB599_167
; %bb.162:
	s_movk_i32 s8, 0x80
	v_cmp_ne_u16_e32 vcc, s8, v38
	v_bfrev_b32_e32 v53, 1
	s_and_saveexec_b64 s[8:9], vcc
	s_cbranch_execz .LBB599_166
; %bb.163:
	s_movk_i32 s10, 0x7f
	v_and_b32_e32 v51, 0x7f, v38
	v_cmp_ne_u32_e32 vcc, s10, v51
	v_mov_b32_e32 v53, 0x7f800001
	s_and_saveexec_b64 s[10:11], vcc
	s_cbranch_execz .LBB599_165
; %bb.164:
	v_and_b32_e32 v53, 7, v38
	v_ffbh_u32_e32 v54, v53
	v_min_u32_e32 v57, 32, v54
	v_subrev_u32_e32 v54, 28, v57
	v_lshlrev_b64 v[54:55], v54, v[38:39]
	v_lshrrev_b32_e32 v56, 3, v51
	v_sub_u32_e32 v38, 29, v57
	v_and_b32_e32 v54, 7, v54
	v_cmp_gt_u32_e32 vcc, 8, v51
	v_cndmask_b32_e32 v38, v56, v38, vcc
	v_cndmask_b32_e32 v51, v53, v54, vcc
	v_lshlrev_b32_e32 v53, 16, v40
	v_bfrev_b32_e32 v54, 60
	v_lshlrev_b32_e32 v51, 20, v51
	v_and_b32_e32 v53, 0x80000000, v53
	v_lshl_add_u32 v38, v38, 23, v54
	v_or3_b32 v53, v53, v38, v51
.LBB599_165:
	s_or_b64 exec, exec, s[10:11]
.LBB599_166:
	s_or_b64 exec, exec, s[8:9]
.LBB599_167:
	s_or_b64 exec, exec, s[2:3]
	s_movk_i32 s2, 0xff
	v_and_b32_sdwa v51, v40, s2 dst_sel:DWORD dst_unused:UNUSED_PAD src0_sel:WORD_1 src1_sel:DWORD
	v_lshrrev_b32_e32 v38, 16, v40
	v_cmp_ne_u16_e32 vcc, 0, v51
	s_and_saveexec_b64 s[2:3], vcc
	s_cbranch_execz .LBB599_173
; %bb.168:
	s_movk_i32 s8, 0x80
	v_cmp_ne_u16_e32 vcc, s8, v51
	v_bfrev_b32_e32 v39, 1
	s_and_saveexec_b64 s[8:9], vcc
	s_cbranch_execz .LBB599_172
; %bb.169:
	v_bfe_u32 v51, v40, 16, 7
	s_movk_i32 s10, 0x7f
	v_cmp_ne_u32_e32 vcc, s10, v51
	v_mov_b32_e32 v39, 0x7f800001
	s_and_saveexec_b64 s[10:11], vcc
	s_cbranch_execz .LBB599_171
; %bb.170:
	v_and_b32_e32 v54, 7, v38
	v_ffbh_u32_e32 v39, v54
	v_min_u32_e32 v56, 32, v39
	v_subrev_u32_e32 v39, 28, v56
	v_lshlrev_b64 v[38:39], v39, v[38:39]
	v_lshrrev_b32_e32 v55, 3, v51
	v_sub_u32_e32 v39, 29, v56
	v_and_b32_e32 v38, 7, v38
	v_cmp_gt_u32_e32 vcc, 8, v51
	v_mov_b32_e32 v51, 24
	v_cndmask_b32_e32 v39, v55, v39, vcc
	v_cndmask_b32_e32 v38, v54, v38, vcc
	v_lshlrev_b32_sdwa v51, v51, v40 dst_sel:DWORD dst_unused:UNUSED_PAD src0_sel:DWORD src1_sel:WORD_1
	v_bfrev_b32_e32 v54, 60
	v_lshlrev_b32_e32 v38, 20, v38
	v_and_b32_e32 v51, 0x80000000, v51
	v_lshl_add_u32 v39, v39, 23, v54
	v_or3_b32 v39, v51, v39, v38
.LBB599_171:
	s_or_b64 exec, exec, s[10:11]
.LBB599_172:
	s_or_b64 exec, exec, s[8:9]
.LBB599_173:
	s_or_b64 exec, exec, s[2:3]
	s_mov_b32 s2, 0xffffff
	v_cmp_lt_u32_e32 vcc, s2, v40
	v_mov_b32_e32 v54, 0
	v_mov_b32_e32 v55, 0
	s_and_saveexec_b64 s[2:3], vcc
	s_cbranch_execz .LBB599_179
; %bb.174:
	v_lshrrev_b32_e32 v38, 24, v40
	s_movk_i32 s8, 0x80
	v_cmp_ne_u32_e32 vcc, s8, v38
	v_bfrev_b32_e32 v55, 1
	s_and_saveexec_b64 s[8:9], vcc
	s_cbranch_execz .LBB599_178
; %bb.175:
	v_bfe_u32 v40, v40, 24, 7
	s_movk_i32 s10, 0x7f
	v_cmp_ne_u32_e32 vcc, s10, v40
	v_mov_b32_e32 v55, 0x7f800001
	s_and_saveexec_b64 s[10:11], vcc
	s_cbranch_execz .LBB599_177
; %bb.176:
	v_and_b32_e32 v51, 7, v38
	v_ffbh_u32_e32 v56, v51
	v_min_u32_e32 v58, 32, v56
	v_subrev_u32_e32 v56, 28, v58
	v_lshlrev_b64 v[56:57], v56, v[38:39]
	v_lshrrev_b32_e32 v55, 3, v40
	v_sub_u32_e32 v57, 29, v58
	v_and_b32_e32 v56, 7, v56
	v_cmp_gt_u32_e32 vcc, 8, v40
	v_cndmask_b32_e32 v40, v55, v57, vcc
	v_cndmask_b32_e32 v51, v51, v56, vcc
	v_lshlrev_b32_e32 v38, 24, v38
	v_bfrev_b32_e32 v55, 60
	v_lshlrev_b32_e32 v51, 20, v51
	v_and_b32_e32 v38, 0x80000000, v38
	v_lshl_add_u32 v40, v40, 23, v55
	v_or3_b32 v55, v38, v40, v51
.LBB599_177:
	s_or_b64 exec, exec, s[10:11]
.LBB599_178:
	s_or_b64 exec, exec, s[8:9]
.LBB599_179:
	s_or_b64 exec, exec, s[2:3]
	v_cmp_ne_u16_sdwa s[8:9], v41, v54 src0_sel:BYTE_0 src1_sel:DWORD
	s_and_saveexec_b64 s[2:3], s[8:9]
	s_cbranch_execz .LBB599_185
; %bb.180:
	s_movk_i32 s8, 0x80
	v_cmp_ne_u16_sdwa s[10:11], v41, s8 src0_sel:BYTE_0 src1_sel:DWORD
	v_bfrev_b32_e32 v54, 1
	s_and_saveexec_b64 s[8:9], s[10:11]
	s_cbranch_execz .LBB599_184
; %bb.181:
	s_movk_i32 s10, 0x7f
	v_and_b32_e32 v38, 0x7f, v41
	v_cmp_ne_u32_e32 vcc, s10, v38
	v_mov_b32_e32 v54, 0x7f800001
	s_and_saveexec_b64 s[10:11], vcc
	s_cbranch_execz .LBB599_183
; %bb.182:
	v_and_b32_e32 v51, 7, v41
	v_ffbh_u32_e32 v56, v51
	v_min_u32_e32 v58, 32, v56
	v_mov_b32_e32 v40, v41
	v_subrev_u32_e32 v56, 28, v58
	v_lshlrev_b64 v[56:57], v56, v[40:41]
	v_lshrrev_b32_e32 v54, 3, v38
	v_sub_u32_e32 v40, 29, v58
	v_and_b32_e32 v56, 7, v56
	v_cmp_gt_u32_e32 vcc, 8, v38
	v_cndmask_b32_e32 v38, v54, v40, vcc
	v_cndmask_b32_e32 v40, v51, v56, vcc
	v_lshlrev_b32_e32 v51, 24, v41
	v_bfrev_b32_e32 v54, 60
	v_lshlrev_b32_e32 v40, 20, v40
	v_and_b32_e32 v51, 0x80000000, v51
	v_lshl_add_u32 v38, v38, 23, v54
	v_or3_b32 v54, v51, v38, v40
.LBB599_183:
	s_or_b64 exec, exec, s[10:11]
.LBB599_184:
	s_or_b64 exec, exec, s[8:9]
.LBB599_185:
	s_or_b64 exec, exec, s[2:3]
	v_lshrrev_b16_e32 v38, 8, v41
	v_cmp_ne_u16_e32 vcc, 0, v38
	v_mov_b32_e32 v40, 0
	v_mov_b32_e32 v56, 0
	s_and_saveexec_b64 s[2:3], vcc
	s_cbranch_execz .LBB599_191
; %bb.186:
	s_movk_i32 s8, 0x80
	v_cmp_ne_u16_e32 vcc, s8, v38
	v_bfrev_b32_e32 v56, 1
	s_and_saveexec_b64 s[8:9], vcc
	s_cbranch_execz .LBB599_190
; %bb.187:
	s_movk_i32 s10, 0x7f
	v_and_b32_e32 v51, 0x7f, v38
	v_cmp_ne_u32_e32 vcc, s10, v51
	v_mov_b32_e32 v56, 0x7f800001
	s_and_saveexec_b64 s[10:11], vcc
	s_cbranch_execz .LBB599_189
; %bb.188:
	v_and_b32_e32 v58, 7, v38
	v_ffbh_u32_e32 v56, v58
	v_min_u32_e32 v60, 32, v56
	v_subrev_u32_e32 v56, 28, v60
	v_lshlrev_b64 v[56:57], v56, v[38:39]
	v_lshrrev_b32_e32 v59, 3, v51
	v_sub_u32_e32 v38, 29, v60
	v_and_b32_e32 v56, 7, v56
	v_cmp_gt_u32_e32 vcc, 8, v51
	v_cndmask_b32_e32 v38, v59, v38, vcc
	v_cndmask_b32_e32 v51, v58, v56, vcc
	v_lshlrev_b32_e32 v56, 16, v41
	v_bfrev_b32_e32 v57, 60
	v_lshlrev_b32_e32 v51, 20, v51
	v_and_b32_e32 v56, 0x80000000, v56
	v_lshl_add_u32 v38, v38, 23, v57
	v_or3_b32 v56, v56, v38, v51
.LBB599_189:
	s_or_b64 exec, exec, s[10:11]
.LBB599_190:
	s_or_b64 exec, exec, s[8:9]
.LBB599_191:
	s_or_b64 exec, exec, s[2:3]
	s_movk_i32 s2, 0xff
	v_and_b32_sdwa v51, v41, s2 dst_sel:DWORD dst_unused:UNUSED_PAD src0_sel:WORD_1 src1_sel:DWORD
	v_lshrrev_b32_e32 v38, 16, v41
	v_cmp_ne_u16_e32 vcc, 0, v51
	s_and_saveexec_b64 s[2:3], vcc
	s_cbranch_execz .LBB599_197
; %bb.192:
	s_movk_i32 s8, 0x80
	v_cmp_ne_u16_e32 vcc, s8, v51
	v_bfrev_b32_e32 v40, 1
	s_and_saveexec_b64 s[8:9], vcc
	s_cbranch_execz .LBB599_196
; %bb.193:
	v_bfe_u32 v51, v41, 16, 7
	s_movk_i32 s10, 0x7f
	v_cmp_ne_u32_e32 vcc, s10, v51
	v_mov_b32_e32 v40, 0x7f800001
	s_and_saveexec_b64 s[10:11], vcc
	s_cbranch_execz .LBB599_195
; %bb.194:
	v_and_b32_e32 v40, 7, v38
	v_ffbh_u32_e32 v58, v40
	v_min_u32_e32 v60, 32, v58
	v_subrev_u32_e32 v58, 28, v60
	v_lshlrev_b64 v[58:59], v58, v[38:39]
	v_lshrrev_b32_e32 v57, 3, v51
	v_sub_u32_e32 v38, 29, v60
	v_and_b32_e32 v58, 7, v58
	v_cmp_gt_u32_e32 vcc, 8, v51
	v_mov_b32_e32 v51, 24
	v_cndmask_b32_e32 v38, v57, v38, vcc
	v_cndmask_b32_e32 v40, v40, v58, vcc
	v_lshlrev_b32_sdwa v51, v51, v41 dst_sel:DWORD dst_unused:UNUSED_PAD src0_sel:DWORD src1_sel:WORD_1
	v_bfrev_b32_e32 v57, 60
	v_lshlrev_b32_e32 v40, 20, v40
	v_and_b32_e32 v51, 0x80000000, v51
	v_lshl_add_u32 v38, v38, 23, v57
	v_or3_b32 v40, v51, v38, v40
.LBB599_195:
	s_or_b64 exec, exec, s[10:11]
.LBB599_196:
	s_or_b64 exec, exec, s[8:9]
.LBB599_197:
	s_or_b64 exec, exec, s[2:3]
	s_mov_b32 s2, 0xffffff
	v_cmp_lt_u32_e32 vcc, s2, v41
	v_mov_b32_e32 v51, 0
	v_mov_b32_e32 v57, 0
	s_and_saveexec_b64 s[2:3], vcc
	s_cbranch_execz .LBB599_203
; %bb.198:
	v_lshrrev_b32_e32 v38, 24, v41
	s_movk_i32 s8, 0x80
	v_cmp_ne_u32_e32 vcc, s8, v38
	v_bfrev_b32_e32 v57, 1
	s_and_saveexec_b64 s[8:9], vcc
	s_cbranch_execz .LBB599_202
; %bb.199:
	v_bfe_u32 v41, v41, 24, 7
	s_movk_i32 s10, 0x7f
	v_cmp_ne_u32_e32 vcc, s10, v41
	v_mov_b32_e32 v57, 0x7f800001
	s_and_saveexec_b64 s[10:11], vcc
	s_cbranch_execz .LBB599_201
; %bb.200:
	v_and_b32_e32 v57, 7, v38
	v_ffbh_u32_e32 v58, v57
	v_min_u32_e32 v61, 32, v58
	v_subrev_u32_e32 v58, 28, v61
	v_lshlrev_b64 v[58:59], v58, v[38:39]
	v_lshrrev_b32_e32 v60, 3, v41
	v_sub_u32_e32 v59, 29, v61
	v_and_b32_e32 v58, 7, v58
	v_cmp_gt_u32_e32 vcc, 8, v41
	v_cndmask_b32_e32 v41, v60, v59, vcc
	v_cndmask_b32_e32 v57, v57, v58, vcc
	v_lshlrev_b32_e32 v38, 24, v38
	v_bfrev_b32_e32 v58, 60
	v_lshlrev_b32_e32 v57, 20, v57
	v_and_b32_e32 v38, 0x80000000, v38
	v_lshl_add_u32 v41, v41, 23, v58
	v_or3_b32 v57, v38, v41, v57
.LBB599_201:
	s_or_b64 exec, exec, s[10:11]
.LBB599_202:
	s_or_b64 exec, exec, s[8:9]
.LBB599_203:
	s_or_b64 exec, exec, s[2:3]
	v_cvt_pkrtz_f16_f32 v38, v52, v53
	v_cvt_pkrtz_f16_f32 v39, v39, v55
	s_waitcnt vmcnt(5)
	v_cmp_ne_u16_sdwa s[8:9], v34, v51 src0_sel:BYTE_0 src1_sel:DWORD
	v_mfma_f32_16x16x16f16 v[42:45], v[38:39], v[18:19], v[42:45]
	v_cvt_pkrtz_f16_f32 v38, v54, v56
	v_cvt_pkrtz_f16_f32 v39, v40, v57
	s_nop 1
	v_mfma_f32_16x16x16f16 v[38:41], v[38:39], v[20:21], v[42:45]
	s_and_saveexec_b64 s[2:3], s[8:9]
	s_cbranch_execz .LBB599_209
; %bb.204:
	s_movk_i32 s8, 0x80
	v_cmp_ne_u16_sdwa s[10:11], v34, s8 src0_sel:BYTE_0 src1_sel:DWORD
	v_bfrev_b32_e32 v51, 1
	s_and_saveexec_b64 s[8:9], s[10:11]
	s_cbranch_execz .LBB599_208
; %bb.205:
	s_movk_i32 s10, 0x7f
	v_and_b32_e32 v42, 0x7f, v34
	v_cmp_ne_u32_e32 vcc, s10, v42
	v_mov_b32_e32 v51, 0x7f800001
	s_and_saveexec_b64 s[10:11], vcc
	s_cbranch_execz .LBB599_207
; %bb.206:
	v_and_b32_e32 v43, 7, v34
	v_ffbh_u32_e32 v44, v43
	v_min_u32_e32 v52, 32, v44
	v_subrev_u32_e32 v44, 28, v52
	v_lshlrev_b64 v[44:45], v44, v[34:35]
	v_lshrrev_b32_e32 v51, 3, v42
	v_sub_u32_e32 v45, 29, v52
	v_and_b32_e32 v44, 7, v44
	v_cmp_gt_u32_e32 vcc, 8, v42
	v_cndmask_b32_e32 v42, v51, v45, vcc
	v_cndmask_b32_e32 v43, v43, v44, vcc
	v_lshlrev_b32_e32 v44, 24, v34
	v_bfrev_b32_e32 v45, 60
	v_lshlrev_b32_e32 v43, 20, v43
	v_and_b32_e32 v44, 0x80000000, v44
	v_lshl_add_u32 v42, v42, 23, v45
	v_or3_b32 v51, v44, v42, v43
.LBB599_207:
	s_or_b64 exec, exec, s[10:11]
.LBB599_208:
	s_or_b64 exec, exec, s[8:9]
.LBB599_209:
	s_or_b64 exec, exec, s[2:3]
	s_nop 3
	v_lshrrev_b16_e32 v42, 8, v34
	v_cmp_ne_u16_e32 vcc, 0, v42
	v_mov_b32_e32 v43, 0
	v_mov_b32_e32 v44, 0
	s_and_saveexec_b64 s[2:3], vcc
	s_cbranch_execz .LBB599_215
; %bb.210:
	s_movk_i32 s8, 0x80
	v_cmp_ne_u16_e32 vcc, s8, v42
	v_bfrev_b32_e32 v44, 1
	s_and_saveexec_b64 s[8:9], vcc
	s_cbranch_execz .LBB599_214
; %bb.211:
	s_movk_i32 s10, 0x7f
	v_and_b32_e32 v45, 0x7f, v42
	v_cmp_ne_u32_e32 vcc, s10, v45
	v_mov_b32_e32 v44, 0x7f800001
	s_and_saveexec_b64 s[10:11], vcc
	s_cbranch_execz .LBB599_213
; %bb.212:
	v_and_b32_e32 v44, 7, v42
	v_ffbh_u32_e32 v52, v44
	v_min_u32_e32 v55, 32, v52
	v_subrev_u32_e32 v52, 28, v55
	v_lshlrev_b64 v[52:53], v52, v[42:43]
	v_lshrrev_b32_e32 v54, 3, v45
	v_sub_u32_e32 v42, 29, v55
	v_and_b32_e32 v52, 7, v52
	v_cmp_gt_u32_e32 vcc, 8, v45
	v_cndmask_b32_e32 v42, v54, v42, vcc
	v_cndmask_b32_e32 v44, v44, v52, vcc
	v_lshlrev_b32_e32 v45, 16, v34
	v_bfrev_b32_e32 v52, 60
	v_lshlrev_b32_e32 v44, 20, v44
	v_and_b32_e32 v45, 0x80000000, v45
	v_lshl_add_u32 v42, v42, 23, v52
	v_or3_b32 v44, v45, v42, v44
.LBB599_213:
	s_or_b64 exec, exec, s[10:11]
.LBB599_214:
	s_or_b64 exec, exec, s[8:9]
.LBB599_215:
	s_or_b64 exec, exec, s[2:3]
	s_movk_i32 s2, 0xff
	v_and_b32_sdwa v45, v34, s2 dst_sel:DWORD dst_unused:UNUSED_PAD src0_sel:WORD_1 src1_sel:DWORD
	v_lshrrev_b32_e32 v42, 16, v34
	v_cmp_ne_u16_e32 vcc, 0, v45
	s_and_saveexec_b64 s[2:3], vcc
	s_cbranch_execz .LBB599_221
; %bb.216:
	s_movk_i32 s8, 0x80
	v_cmp_ne_u16_e32 vcc, s8, v45
	v_bfrev_b32_e32 v43, 1
	s_and_saveexec_b64 s[8:9], vcc
	s_cbranch_execz .LBB599_220
; %bb.217:
	v_bfe_u32 v45, v34, 16, 7
	s_movk_i32 s10, 0x7f
	v_cmp_ne_u32_e32 vcc, s10, v45
	v_mov_b32_e32 v43, 0x7f800001
	s_and_saveexec_b64 s[10:11], vcc
	s_cbranch_execz .LBB599_219
; %bb.218:
	v_and_b32_e32 v52, 7, v42
	v_ffbh_u32_e32 v43, v52
	v_min_u32_e32 v54, 32, v43
	v_subrev_u32_e32 v43, 28, v54
	v_lshlrev_b64 v[42:43], v43, v[42:43]
	v_lshrrev_b32_e32 v53, 3, v45
	v_sub_u32_e32 v43, 29, v54
	v_and_b32_e32 v42, 7, v42
	v_cmp_gt_u32_e32 vcc, 8, v45
	v_mov_b32_e32 v45, 24
	v_cndmask_b32_e32 v43, v53, v43, vcc
	v_cndmask_b32_e32 v42, v52, v42, vcc
	v_lshlrev_b32_sdwa v45, v45, v34 dst_sel:DWORD dst_unused:UNUSED_PAD src0_sel:DWORD src1_sel:WORD_1
	v_bfrev_b32_e32 v52, 60
	v_lshlrev_b32_e32 v42, 20, v42
	v_and_b32_e32 v45, 0x80000000, v45
	v_lshl_add_u32 v43, v43, 23, v52
	v_or3_b32 v43, v45, v43, v42
.LBB599_219:
	s_or_b64 exec, exec, s[10:11]
.LBB599_220:
	s_or_b64 exec, exec, s[8:9]
.LBB599_221:
	s_or_b64 exec, exec, s[2:3]
	s_mov_b32 s2, 0xffffff
	v_cmp_lt_u32_e32 vcc, s2, v34
	v_mov_b32_e32 v45, 0
	v_mov_b32_e32 v53, 0
	s_and_saveexec_b64 s[2:3], vcc
	s_cbranch_execz .LBB599_227
; %bb.222:
	v_lshrrev_b32_e32 v42, 24, v34
	s_movk_i32 s8, 0x80
	v_cmp_ne_u32_e32 vcc, s8, v42
	v_bfrev_b32_e32 v53, 1
	s_and_saveexec_b64 s[8:9], vcc
	s_cbranch_execz .LBB599_226
; %bb.223:
	v_bfe_u32 v34, v34, 24, 7
	s_movk_i32 s10, 0x7f
	v_cmp_ne_u32_e32 vcc, s10, v34
	v_mov_b32_e32 v53, 0x7f800001
	s_and_saveexec_b64 s[10:11], vcc
	s_cbranch_execz .LBB599_225
; %bb.224:
	v_and_b32_e32 v54, 7, v42
	v_ffbh_u32_e32 v52, v54
	v_min_u32_e32 v56, 32, v52
	v_subrev_u32_e32 v52, 28, v56
	v_lshlrev_b64 v[52:53], v52, v[42:43]
	v_lshrrev_b32_e32 v55, 3, v34
	v_sub_u32_e32 v53, 29, v56
	v_and_b32_e32 v52, 7, v52
	v_cmp_gt_u32_e32 vcc, 8, v34
	v_cndmask_b32_e32 v34, v55, v53, vcc
	v_cndmask_b32_e32 v52, v54, v52, vcc
	v_lshlrev_b32_e32 v42, 24, v42
	v_bfrev_b32_e32 v53, 60
	v_lshlrev_b32_e32 v52, 20, v52
	v_and_b32_e32 v42, 0x80000000, v42
	v_lshl_add_u32 v34, v34, 23, v53
	v_or3_b32 v53, v42, v34, v52
.LBB599_225:
	s_or_b64 exec, exec, s[10:11]
.LBB599_226:
	s_or_b64 exec, exec, s[8:9]
.LBB599_227:
	s_or_b64 exec, exec, s[2:3]
	v_cmp_ne_u16_sdwa s[8:9], v35, v45 src0_sel:BYTE_0 src1_sel:DWORD
	s_and_saveexec_b64 s[2:3], s[8:9]
	s_cbranch_execz .LBB599_233
; %bb.228:
	s_movk_i32 s8, 0x80
	v_cmp_ne_u16_sdwa s[10:11], v35, s8 src0_sel:BYTE_0 src1_sel:DWORD
	v_bfrev_b32_e32 v45, 1
	s_and_saveexec_b64 s[8:9], s[10:11]
	s_cbranch_execz .LBB599_232
; %bb.229:
	s_movk_i32 s10, 0x7f
	v_and_b32_e32 v34, 0x7f, v35
	v_cmp_ne_u32_e32 vcc, s10, v34
	v_mov_b32_e32 v45, 0x7f800001
	s_and_saveexec_b64 s[10:11], vcc
	s_cbranch_execz .LBB599_231
; %bb.230:
	v_and_b32_e32 v45, 7, v35
	v_ffbh_u32_e32 v54, v45
	v_min_u32_e32 v56, 32, v54
	v_mov_b32_e32 v42, v35
	v_subrev_u32_e32 v54, 28, v56
	v_lshlrev_b64 v[54:55], v54, v[42:43]
	v_lshrrev_b32_e32 v52, 3, v34
	v_sub_u32_e32 v42, 29, v56
	v_and_b32_e32 v54, 7, v54
	v_cmp_gt_u32_e32 vcc, 8, v34
	v_cndmask_b32_e32 v34, v52, v42, vcc
	v_cndmask_b32_e32 v42, v45, v54, vcc
	v_lshlrev_b32_e32 v45, 24, v35
	v_bfrev_b32_e32 v52, 60
	v_lshlrev_b32_e32 v42, 20, v42
	v_and_b32_e32 v45, 0x80000000, v45
	v_lshl_add_u32 v34, v34, 23, v52
	v_or3_b32 v45, v45, v34, v42
.LBB599_231:
	s_or_b64 exec, exec, s[10:11]
.LBB599_232:
	s_or_b64 exec, exec, s[8:9]
.LBB599_233:
	s_or_b64 exec, exec, s[2:3]
	v_lshrrev_b16_e32 v34, 8, v35
	v_cmp_ne_u16_e32 vcc, 0, v34
	v_mov_b32_e32 v42, 0
	v_mov_b32_e32 v54, 0
	s_and_saveexec_b64 s[2:3], vcc
	s_cbranch_execz .LBB599_239
; %bb.234:
	s_movk_i32 s8, 0x80
	v_cmp_ne_u16_e32 vcc, s8, v34
	v_bfrev_b32_e32 v54, 1
	s_and_saveexec_b64 s[8:9], vcc
	s_cbranch_execz .LBB599_238
; %bb.235:
	s_movk_i32 s10, 0x7f
	v_and_b32_e32 v52, 0x7f, v34
	v_cmp_ne_u32_e32 vcc, s10, v52
	v_mov_b32_e32 v54, 0x7f800001
	s_and_saveexec_b64 s[10:11], vcc
	s_cbranch_execz .LBB599_237
; %bb.236:
	v_and_b32_e32 v56, 7, v34
	v_ffbh_u32_e32 v54, v56
	v_min_u32_e32 v58, 32, v54
	v_subrev_u32_e32 v54, 28, v58
	v_lshlrev_b64 v[54:55], v54, v[34:35]
	v_lshrrev_b32_e32 v57, 3, v52
	v_sub_u32_e32 v34, 29, v58
	v_and_b32_e32 v54, 7, v54
	v_cmp_gt_u32_e32 vcc, 8, v52
	v_cndmask_b32_e32 v34, v57, v34, vcc
	v_cndmask_b32_e32 v52, v56, v54, vcc
	v_lshlrev_b32_e32 v54, 16, v35
	v_bfrev_b32_e32 v55, 60
	v_lshlrev_b32_e32 v52, 20, v52
	v_and_b32_e32 v54, 0x80000000, v54
	v_lshl_add_u32 v34, v34, 23, v55
	v_or3_b32 v54, v54, v34, v52
.LBB599_237:
	s_or_b64 exec, exec, s[10:11]
.LBB599_238:
	s_or_b64 exec, exec, s[8:9]
.LBB599_239:
	s_or_b64 exec, exec, s[2:3]
	s_movk_i32 s2, 0xff
	v_and_b32_sdwa v52, v35, s2 dst_sel:DWORD dst_unused:UNUSED_PAD src0_sel:WORD_1 src1_sel:DWORD
	v_lshrrev_b32_e32 v34, 16, v35
	v_cmp_ne_u16_e32 vcc, 0, v52
	s_and_saveexec_b64 s[2:3], vcc
	s_cbranch_execz .LBB599_245
; %bb.240:
	s_movk_i32 s8, 0x80
	v_cmp_ne_u16_e32 vcc, s8, v52
	v_bfrev_b32_e32 v42, 1
	s_and_saveexec_b64 s[8:9], vcc
	s_cbranch_execz .LBB599_244
; %bb.241:
	v_bfe_u32 v52, v35, 16, 7
	s_movk_i32 s10, 0x7f
	v_cmp_ne_u32_e32 vcc, s10, v52
	v_mov_b32_e32 v42, 0x7f800001
	s_and_saveexec_b64 s[10:11], vcc
	s_cbranch_execz .LBB599_243
; %bb.242:
	v_and_b32_e32 v42, 7, v34
	v_ffbh_u32_e32 v56, v42
	v_min_u32_e32 v58, 32, v56
	v_subrev_u32_e32 v56, 28, v58
	v_lshlrev_b64 v[56:57], v56, v[34:35]
	v_lshrrev_b32_e32 v55, 3, v52
	v_sub_u32_e32 v34, 29, v58
	v_and_b32_e32 v56, 7, v56
	v_cmp_gt_u32_e32 vcc, 8, v52
	v_mov_b32_e32 v52, 24
	v_cndmask_b32_e32 v34, v55, v34, vcc
	v_cndmask_b32_e32 v42, v42, v56, vcc
	v_lshlrev_b32_sdwa v52, v52, v35 dst_sel:DWORD dst_unused:UNUSED_PAD src0_sel:DWORD src1_sel:WORD_1
	v_bfrev_b32_e32 v55, 60
	v_lshlrev_b32_e32 v42, 20, v42
	v_and_b32_e32 v52, 0x80000000, v52
	v_lshl_add_u32 v34, v34, 23, v55
	v_or3_b32 v42, v52, v34, v42
.LBB599_243:
	s_or_b64 exec, exec, s[10:11]
.LBB599_244:
	s_or_b64 exec, exec, s[8:9]
.LBB599_245:
	s_or_b64 exec, exec, s[2:3]
	s_mov_b32 s2, 0xffffff
	v_cmp_lt_u32_e32 vcc, s2, v35
	v_mov_b32_e32 v52, 0
	v_mov_b32_e32 v55, 0
	s_and_saveexec_b64 s[2:3], vcc
	s_cbranch_execz .LBB599_251
; %bb.246:
	v_lshrrev_b32_e32 v34, 24, v35
	s_movk_i32 s8, 0x80
	v_cmp_ne_u32_e32 vcc, s8, v34
	v_bfrev_b32_e32 v55, 1
	s_and_saveexec_b64 s[8:9], vcc
	s_cbranch_execz .LBB599_250
; %bb.247:
	v_bfe_u32 v35, v35, 24, 7
	s_movk_i32 s10, 0x7f
	v_cmp_ne_u32_e32 vcc, s10, v35
	v_mov_b32_e32 v55, 0x7f800001
	s_and_saveexec_b64 s[10:11], vcc
	s_cbranch_execz .LBB599_249
; %bb.248:
	v_and_b32_e32 v55, 7, v34
	v_ffbh_u32_e32 v56, v55
	v_min_u32_e32 v59, 32, v56
	v_subrev_u32_e32 v56, 28, v59
	v_lshlrev_b64 v[56:57], v56, v[34:35]
	v_lshrrev_b32_e32 v58, 3, v35
	v_sub_u32_e32 v57, 29, v59
	v_and_b32_e32 v56, 7, v56
	v_cmp_gt_u32_e32 vcc, 8, v35
	v_cndmask_b32_e32 v35, v58, v57, vcc
	v_cndmask_b32_e32 v55, v55, v56, vcc
	v_lshlrev_b32_e32 v34, 24, v34
	v_bfrev_b32_e32 v56, 60
	v_lshlrev_b32_e32 v55, 20, v55
	v_and_b32_e32 v34, 0x80000000, v34
	v_lshl_add_u32 v35, v35, 23, v56
	v_or3_b32 v55, v34, v35, v55
.LBB599_249:
	s_or_b64 exec, exec, s[10:11]
.LBB599_250:
	s_or_b64 exec, exec, s[8:9]
.LBB599_251:
	s_or_b64 exec, exec, s[2:3]
	v_cvt_pkrtz_f16_f32 v34, v51, v44
	v_cvt_pkrtz_f16_f32 v35, v43, v53
	v_cmp_ne_u16_sdwa s[8:9], v36, v52 src0_sel:BYTE_0 src1_sel:DWORD
	s_nop 0
	v_mfma_f32_16x16x16f16 v[56:59], v[34:35], v[26:27], 0
	v_cvt_pkrtz_f16_f32 v34, v45, v54
	v_cvt_pkrtz_f16_f32 v35, v42, v55
	s_nop 1
	v_mfma_f32_16x16x16f16 v[42:45], v[34:35], v[28:29], v[56:59]
	s_and_saveexec_b64 s[2:3], s[8:9]
	s_cbranch_execz .LBB599_257
; %bb.252:
	s_movk_i32 s8, 0x80
	v_cmp_ne_u16_sdwa s[10:11], v36, s8 src0_sel:BYTE_0 src1_sel:DWORD
	v_bfrev_b32_e32 v52, 1
	s_and_saveexec_b64 s[8:9], s[10:11]
	s_cbranch_execz .LBB599_256
; %bb.253:
	s_movk_i32 s10, 0x7f
	v_and_b32_e32 v34, 0x7f, v36
	v_cmp_ne_u32_e32 vcc, s10, v34
	v_mov_b32_e32 v52, 0x7f800001
	s_and_saveexec_b64 s[10:11], vcc
	s_cbranch_execz .LBB599_255
; %bb.254:
	v_and_b32_e32 v35, 7, v36
	v_ffbh_u32_e32 v52, v35
	v_min_u32_e32 v54, 32, v52
	v_subrev_u32_e32 v52, 28, v54
	v_lshlrev_b64 v[52:53], v52, v[36:37]
	v_lshrrev_b32_e32 v51, 3, v34
	v_sub_u32_e32 v53, 29, v54
	v_and_b32_e32 v52, 7, v52
	v_cmp_gt_u32_e32 vcc, 8, v34
	v_cndmask_b32_e32 v34, v51, v53, vcc
	v_cndmask_b32_e32 v35, v35, v52, vcc
	v_lshlrev_b32_e32 v51, 24, v36
	v_bfrev_b32_e32 v52, 60
	v_lshlrev_b32_e32 v35, 20, v35
	v_and_b32_e32 v51, 0x80000000, v51
	v_lshl_add_u32 v34, v34, 23, v52
	v_or3_b32 v52, v51, v34, v35
.LBB599_255:
	s_or_b64 exec, exec, s[10:11]
.LBB599_256:
	s_or_b64 exec, exec, s[8:9]
.LBB599_257:
	s_or_b64 exec, exec, s[2:3]
	v_lshrrev_b16_e32 v34, 8, v36
	v_cmp_ne_u16_e32 vcc, 0, v34
	v_mov_b32_e32 v35, 0
	v_mov_b32_e32 v53, 0
	s_and_saveexec_b64 s[2:3], vcc
	s_cbranch_execz .LBB599_263
; %bb.258:
	s_movk_i32 s8, 0x80
	v_cmp_ne_u16_e32 vcc, s8, v34
	v_bfrev_b32_e32 v53, 1
	s_and_saveexec_b64 s[8:9], vcc
	s_cbranch_execz .LBB599_262
; %bb.259:
	s_movk_i32 s10, 0x7f
	v_and_b32_e32 v51, 0x7f, v34
	v_cmp_ne_u32_e32 vcc, s10, v51
	v_mov_b32_e32 v53, 0x7f800001
	s_and_saveexec_b64 s[10:11], vcc
	s_cbranch_execz .LBB599_261
; %bb.260:
	v_and_b32_e32 v53, 7, v34
	v_ffbh_u32_e32 v54, v53
	v_min_u32_e32 v57, 32, v54
	v_subrev_u32_e32 v54, 28, v57
	v_lshlrev_b64 v[54:55], v54, v[34:35]
	v_lshrrev_b32_e32 v56, 3, v51
	v_sub_u32_e32 v34, 29, v57
	v_and_b32_e32 v54, 7, v54
	v_cmp_gt_u32_e32 vcc, 8, v51
	v_cndmask_b32_e32 v34, v56, v34, vcc
	v_cndmask_b32_e32 v51, v53, v54, vcc
	v_lshlrev_b32_e32 v53, 16, v36
	v_bfrev_b32_e32 v54, 60
	v_lshlrev_b32_e32 v51, 20, v51
	v_and_b32_e32 v53, 0x80000000, v53
	v_lshl_add_u32 v34, v34, 23, v54
	v_or3_b32 v53, v53, v34, v51
.LBB599_261:
	s_or_b64 exec, exec, s[10:11]
.LBB599_262:
	s_or_b64 exec, exec, s[8:9]
.LBB599_263:
	s_or_b64 exec, exec, s[2:3]
	s_movk_i32 s2, 0xff
	v_and_b32_sdwa v51, v36, s2 dst_sel:DWORD dst_unused:UNUSED_PAD src0_sel:WORD_1 src1_sel:DWORD
	v_lshrrev_b32_e32 v34, 16, v36
	v_cmp_ne_u16_e32 vcc, 0, v51
	s_and_saveexec_b64 s[2:3], vcc
	s_cbranch_execz .LBB599_269
; %bb.264:
	s_movk_i32 s8, 0x80
	v_cmp_ne_u16_e32 vcc, s8, v51
	v_bfrev_b32_e32 v35, 1
	s_and_saveexec_b64 s[8:9], vcc
	s_cbranch_execz .LBB599_268
; %bb.265:
	v_bfe_u32 v51, v36, 16, 7
	s_movk_i32 s10, 0x7f
	v_cmp_ne_u32_e32 vcc, s10, v51
	v_mov_b32_e32 v35, 0x7f800001
	s_and_saveexec_b64 s[10:11], vcc
	s_cbranch_execz .LBB599_267
; %bb.266:
	v_and_b32_e32 v54, 7, v34
	v_ffbh_u32_e32 v35, v54
	v_min_u32_e32 v56, 32, v35
	v_subrev_u32_e32 v35, 28, v56
	v_lshlrev_b64 v[34:35], v35, v[34:35]
	v_lshrrev_b32_e32 v55, 3, v51
	v_sub_u32_e32 v35, 29, v56
	v_and_b32_e32 v34, 7, v34
	v_cmp_gt_u32_e32 vcc, 8, v51
	v_mov_b32_e32 v51, 24
	v_cndmask_b32_e32 v35, v55, v35, vcc
	v_cndmask_b32_e32 v34, v54, v34, vcc
	v_lshlrev_b32_sdwa v51, v51, v36 dst_sel:DWORD dst_unused:UNUSED_PAD src0_sel:DWORD src1_sel:WORD_1
	v_bfrev_b32_e32 v54, 60
	v_lshlrev_b32_e32 v34, 20, v34
	v_and_b32_e32 v51, 0x80000000, v51
	v_lshl_add_u32 v35, v35, 23, v54
	v_or3_b32 v35, v51, v35, v34
.LBB599_267:
	s_or_b64 exec, exec, s[10:11]
.LBB599_268:
	s_or_b64 exec, exec, s[8:9]
.LBB599_269:
	s_or_b64 exec, exec, s[2:3]
	s_mov_b32 s2, 0xffffff
	v_cmp_lt_u32_e32 vcc, s2, v36
	v_mov_b32_e32 v54, 0
	v_mov_b32_e32 v55, 0
	s_and_saveexec_b64 s[2:3], vcc
	s_cbranch_execz .LBB599_275
; %bb.270:
	v_lshrrev_b32_e32 v34, 24, v36
	s_movk_i32 s8, 0x80
	v_cmp_ne_u32_e32 vcc, s8, v34
	v_bfrev_b32_e32 v55, 1
	s_and_saveexec_b64 s[8:9], vcc
	s_cbranch_execz .LBB599_274
; %bb.271:
	v_bfe_u32 v36, v36, 24, 7
	s_movk_i32 s10, 0x7f
	v_cmp_ne_u32_e32 vcc, s10, v36
	v_mov_b32_e32 v55, 0x7f800001
	s_and_saveexec_b64 s[10:11], vcc
	s_cbranch_execz .LBB599_273
; %bb.272:
	v_and_b32_e32 v51, 7, v34
	v_ffbh_u32_e32 v56, v51
	v_min_u32_e32 v58, 32, v56
	v_subrev_u32_e32 v56, 28, v58
	v_lshlrev_b64 v[56:57], v56, v[34:35]
	v_lshrrev_b32_e32 v55, 3, v36
	v_sub_u32_e32 v57, 29, v58
	v_and_b32_e32 v56, 7, v56
	v_cmp_gt_u32_e32 vcc, 8, v36
	v_cndmask_b32_e32 v36, v55, v57, vcc
	v_cndmask_b32_e32 v51, v51, v56, vcc
	v_lshlrev_b32_e32 v34, 24, v34
	v_bfrev_b32_e32 v55, 60
	v_lshlrev_b32_e32 v51, 20, v51
	v_and_b32_e32 v34, 0x80000000, v34
	v_lshl_add_u32 v36, v36, 23, v55
	v_or3_b32 v55, v34, v36, v51
.LBB599_273:
	s_or_b64 exec, exec, s[10:11]
.LBB599_274:
	s_or_b64 exec, exec, s[8:9]
.LBB599_275:
	s_or_b64 exec, exec, s[2:3]
	v_cmp_ne_u16_sdwa s[8:9], v37, v54 src0_sel:BYTE_0 src1_sel:DWORD
	s_and_saveexec_b64 s[2:3], s[8:9]
	s_cbranch_execz .LBB599_281
; %bb.276:
	s_movk_i32 s8, 0x80
	v_cmp_ne_u16_sdwa s[10:11], v37, s8 src0_sel:BYTE_0 src1_sel:DWORD
	v_bfrev_b32_e32 v54, 1
	s_and_saveexec_b64 s[8:9], s[10:11]
	s_cbranch_execz .LBB599_280
; %bb.277:
	s_movk_i32 s10, 0x7f
	v_and_b32_e32 v34, 0x7f, v37
	v_cmp_ne_u32_e32 vcc, s10, v34
	v_mov_b32_e32 v54, 0x7f800001
	s_and_saveexec_b64 s[10:11], vcc
	s_cbranch_execz .LBB599_279
; %bb.278:
	v_and_b32_e32 v51, 7, v37
	v_ffbh_u32_e32 v56, v51
	v_min_u32_e32 v58, 32, v56
	v_mov_b32_e32 v36, v37
	v_subrev_u32_e32 v56, 28, v58
	v_lshlrev_b64 v[56:57], v56, v[36:37]
	v_lshrrev_b32_e32 v54, 3, v34
	v_sub_u32_e32 v36, 29, v58
	v_and_b32_e32 v56, 7, v56
	v_cmp_gt_u32_e32 vcc, 8, v34
	v_cndmask_b32_e32 v34, v54, v36, vcc
	v_cndmask_b32_e32 v36, v51, v56, vcc
	v_lshlrev_b32_e32 v51, 24, v37
	v_bfrev_b32_e32 v54, 60
	v_lshlrev_b32_e32 v36, 20, v36
	v_and_b32_e32 v51, 0x80000000, v51
	v_lshl_add_u32 v34, v34, 23, v54
	v_or3_b32 v54, v51, v34, v36
.LBB599_279:
	s_or_b64 exec, exec, s[10:11]
.LBB599_280:
	s_or_b64 exec, exec, s[8:9]
.LBB599_281:
	s_or_b64 exec, exec, s[2:3]
	v_lshrrev_b16_e32 v34, 8, v37
	v_cmp_ne_u16_e32 vcc, 0, v34
	v_mov_b32_e32 v36, 0
	v_mov_b32_e32 v56, 0
	s_and_saveexec_b64 s[2:3], vcc
	s_cbranch_execz .LBB599_287
; %bb.282:
	s_movk_i32 s8, 0x80
	v_cmp_ne_u16_e32 vcc, s8, v34
	v_bfrev_b32_e32 v56, 1
	s_and_saveexec_b64 s[8:9], vcc
	s_cbranch_execz .LBB599_286
; %bb.283:
	s_movk_i32 s10, 0x7f
	v_and_b32_e32 v51, 0x7f, v34
	v_cmp_ne_u32_e32 vcc, s10, v51
	v_mov_b32_e32 v56, 0x7f800001
	s_and_saveexec_b64 s[10:11], vcc
	s_cbranch_execz .LBB599_285
; %bb.284:
	v_and_b32_e32 v58, 7, v34
	v_ffbh_u32_e32 v56, v58
	v_min_u32_e32 v60, 32, v56
	v_subrev_u32_e32 v56, 28, v60
	v_lshlrev_b64 v[56:57], v56, v[34:35]
	v_lshrrev_b32_e32 v59, 3, v51
	v_sub_u32_e32 v34, 29, v60
	v_and_b32_e32 v56, 7, v56
	v_cmp_gt_u32_e32 vcc, 8, v51
	v_cndmask_b32_e32 v34, v59, v34, vcc
	v_cndmask_b32_e32 v51, v58, v56, vcc
	v_lshlrev_b32_e32 v56, 16, v37
	v_bfrev_b32_e32 v57, 60
	v_lshlrev_b32_e32 v51, 20, v51
	v_and_b32_e32 v56, 0x80000000, v56
	v_lshl_add_u32 v34, v34, 23, v57
	v_or3_b32 v56, v56, v34, v51
.LBB599_285:
	s_or_b64 exec, exec, s[10:11]
.LBB599_286:
	s_or_b64 exec, exec, s[8:9]
.LBB599_287:
	s_or_b64 exec, exec, s[2:3]
	s_movk_i32 s2, 0xff
	v_and_b32_sdwa v51, v37, s2 dst_sel:DWORD dst_unused:UNUSED_PAD src0_sel:WORD_1 src1_sel:DWORD
	v_lshrrev_b32_e32 v34, 16, v37
	v_cmp_ne_u16_e32 vcc, 0, v51
	s_and_saveexec_b64 s[2:3], vcc
	s_cbranch_execz .LBB599_293
; %bb.288:
	s_movk_i32 s8, 0x80
	v_cmp_ne_u16_e32 vcc, s8, v51
	v_bfrev_b32_e32 v36, 1
	s_and_saveexec_b64 s[8:9], vcc
	s_cbranch_execz .LBB599_292
; %bb.289:
	v_bfe_u32 v51, v37, 16, 7
	s_movk_i32 s10, 0x7f
	v_cmp_ne_u32_e32 vcc, s10, v51
	v_mov_b32_e32 v36, 0x7f800001
	s_and_saveexec_b64 s[10:11], vcc
	s_cbranch_execz .LBB599_291
; %bb.290:
	v_and_b32_e32 v36, 7, v34
	v_ffbh_u32_e32 v58, v36
	v_min_u32_e32 v60, 32, v58
	v_subrev_u32_e32 v58, 28, v60
	v_lshlrev_b64 v[58:59], v58, v[34:35]
	v_lshrrev_b32_e32 v57, 3, v51
	v_sub_u32_e32 v34, 29, v60
	v_and_b32_e32 v58, 7, v58
	v_cmp_gt_u32_e32 vcc, 8, v51
	v_mov_b32_e32 v51, 24
	v_cndmask_b32_e32 v34, v57, v34, vcc
	v_cndmask_b32_e32 v36, v36, v58, vcc
	v_lshlrev_b32_sdwa v51, v51, v37 dst_sel:DWORD dst_unused:UNUSED_PAD src0_sel:DWORD src1_sel:WORD_1
	v_bfrev_b32_e32 v57, 60
	v_lshlrev_b32_e32 v36, 20, v36
	v_and_b32_e32 v51, 0x80000000, v51
	v_lshl_add_u32 v34, v34, 23, v57
	v_or3_b32 v36, v51, v34, v36
.LBB599_291:
	s_or_b64 exec, exec, s[10:11]
.LBB599_292:
	s_or_b64 exec, exec, s[8:9]
.LBB599_293:
	s_or_b64 exec, exec, s[2:3]
	s_mov_b32 s2, 0xffffff
	v_cmp_lt_u32_e32 vcc, s2, v37
	v_mov_b32_e32 v51, 0
	v_mov_b32_e32 v57, 0
	s_and_saveexec_b64 s[2:3], vcc
	s_cbranch_execz .LBB599_299
; %bb.294:
	v_lshrrev_b32_e32 v34, 24, v37
	s_movk_i32 s8, 0x80
	v_cmp_ne_u32_e32 vcc, s8, v34
	v_bfrev_b32_e32 v57, 1
	s_and_saveexec_b64 s[8:9], vcc
	s_cbranch_execz .LBB599_298
; %bb.295:
	v_bfe_u32 v37, v37, 24, 7
	s_movk_i32 s10, 0x7f
	v_cmp_ne_u32_e32 vcc, s10, v37
	v_mov_b32_e32 v57, 0x7f800001
	s_and_saveexec_b64 s[10:11], vcc
	s_cbranch_execz .LBB599_297
; %bb.296:
	v_and_b32_e32 v57, 7, v34
	v_ffbh_u32_e32 v58, v57
	v_min_u32_e32 v61, 32, v58
	v_subrev_u32_e32 v58, 28, v61
	v_lshlrev_b64 v[58:59], v58, v[34:35]
	v_lshrrev_b32_e32 v60, 3, v37
	v_sub_u32_e32 v59, 29, v61
	v_and_b32_e32 v58, 7, v58
	v_cmp_gt_u32_e32 vcc, 8, v37
	v_cndmask_b32_e32 v37, v60, v59, vcc
	v_cndmask_b32_e32 v57, v57, v58, vcc
	v_lshlrev_b32_e32 v34, 24, v34
	v_bfrev_b32_e32 v58, 60
	v_lshlrev_b32_e32 v57, 20, v57
	v_and_b32_e32 v34, 0x80000000, v34
	v_lshl_add_u32 v37, v37, 23, v58
	v_or3_b32 v57, v34, v37, v57
.LBB599_297:
	s_or_b64 exec, exec, s[10:11]
.LBB599_298:
	s_or_b64 exec, exec, s[8:9]
.LBB599_299:
	s_or_b64 exec, exec, s[2:3]
	v_cvt_pkrtz_f16_f32 v34, v52, v53
	v_cvt_pkrtz_f16_f32 v35, v35, v55
	s_waitcnt vmcnt(4)
	v_cmp_ne_u16_sdwa s[8:9], v22, v51 src0_sel:BYTE_0 src1_sel:DWORD
	v_mfma_f32_16x16x16f16 v[42:45], v[34:35], v[18:19], v[42:45]
	v_cvt_pkrtz_f16_f32 v34, v54, v56
	v_cvt_pkrtz_f16_f32 v35, v36, v57
	s_nop 1
	v_mfma_f32_16x16x16f16 v[34:37], v[34:35], v[20:21], v[42:45]
	s_and_saveexec_b64 s[2:3], s[8:9]
	s_cbranch_execz .LBB599_305
; %bb.300:
	s_movk_i32 s8, 0x80
	v_cmp_ne_u16_sdwa s[10:11], v22, s8 src0_sel:BYTE_0 src1_sel:DWORD
	v_bfrev_b32_e32 v51, 1
	s_and_saveexec_b64 s[8:9], s[10:11]
	s_cbranch_execz .LBB599_304
; %bb.301:
	s_movk_i32 s10, 0x7f
	v_and_b32_e32 v42, 0x7f, v22
	v_cmp_ne_u32_e32 vcc, s10, v42
	v_mov_b32_e32 v51, 0x7f800001
	s_and_saveexec_b64 s[10:11], vcc
	s_cbranch_execz .LBB599_303
; %bb.302:
	v_and_b32_e32 v43, 7, v22
	v_ffbh_u32_e32 v44, v43
	v_min_u32_e32 v52, 32, v44
	v_subrev_u32_e32 v44, 28, v52
	v_lshlrev_b64 v[44:45], v44, v[22:23]
	v_lshrrev_b32_e32 v51, 3, v42
	v_sub_u32_e32 v45, 29, v52
	v_and_b32_e32 v44, 7, v44
	v_cmp_gt_u32_e32 vcc, 8, v42
	v_cndmask_b32_e32 v42, v51, v45, vcc
	v_cndmask_b32_e32 v43, v43, v44, vcc
	v_lshlrev_b32_e32 v44, 24, v22
	v_bfrev_b32_e32 v45, 60
	v_lshlrev_b32_e32 v43, 20, v43
	v_and_b32_e32 v44, 0x80000000, v44
	v_lshl_add_u32 v42, v42, 23, v45
	v_or3_b32 v51, v44, v42, v43
.LBB599_303:
	s_or_b64 exec, exec, s[10:11]
.LBB599_304:
	s_or_b64 exec, exec, s[8:9]
.LBB599_305:
	s_or_b64 exec, exec, s[2:3]
	s_nop 3
	v_lshrrev_b16_e32 v42, 8, v22
	v_cmp_ne_u16_e32 vcc, 0, v42
	v_mov_b32_e32 v43, 0
	v_mov_b32_e32 v44, 0
	s_and_saveexec_b64 s[2:3], vcc
	s_cbranch_execz .LBB599_311
; %bb.306:
	s_movk_i32 s8, 0x80
	v_cmp_ne_u16_e32 vcc, s8, v42
	v_bfrev_b32_e32 v44, 1
	s_and_saveexec_b64 s[8:9], vcc
	s_cbranch_execz .LBB599_310
; %bb.307:
	s_movk_i32 s10, 0x7f
	v_and_b32_e32 v45, 0x7f, v42
	v_cmp_ne_u32_e32 vcc, s10, v45
	v_mov_b32_e32 v44, 0x7f800001
	s_and_saveexec_b64 s[10:11], vcc
	s_cbranch_execz .LBB599_309
; %bb.308:
	v_and_b32_e32 v44, 7, v42
	v_ffbh_u32_e32 v52, v44
	v_min_u32_e32 v55, 32, v52
	v_subrev_u32_e32 v52, 28, v55
	v_lshlrev_b64 v[52:53], v52, v[42:43]
	v_lshrrev_b32_e32 v54, 3, v45
	v_sub_u32_e32 v42, 29, v55
	v_and_b32_e32 v52, 7, v52
	v_cmp_gt_u32_e32 vcc, 8, v45
	v_cndmask_b32_e32 v42, v54, v42, vcc
	v_cndmask_b32_e32 v44, v44, v52, vcc
	v_lshlrev_b32_e32 v45, 16, v22
	v_bfrev_b32_e32 v52, 60
	v_lshlrev_b32_e32 v44, 20, v44
	v_and_b32_e32 v45, 0x80000000, v45
	v_lshl_add_u32 v42, v42, 23, v52
	v_or3_b32 v44, v45, v42, v44
.LBB599_309:
	s_or_b64 exec, exec, s[10:11]
.LBB599_310:
	s_or_b64 exec, exec, s[8:9]
.LBB599_311:
	s_or_b64 exec, exec, s[2:3]
	s_movk_i32 s2, 0xff
	v_and_b32_sdwa v45, v22, s2 dst_sel:DWORD dst_unused:UNUSED_PAD src0_sel:WORD_1 src1_sel:DWORD
	v_lshrrev_b32_e32 v42, 16, v22
	v_cmp_ne_u16_e32 vcc, 0, v45
	s_and_saveexec_b64 s[2:3], vcc
	s_cbranch_execz .LBB599_317
; %bb.312:
	s_movk_i32 s8, 0x80
	v_cmp_ne_u16_e32 vcc, s8, v45
	v_bfrev_b32_e32 v43, 1
	s_and_saveexec_b64 s[8:9], vcc
	s_cbranch_execz .LBB599_316
; %bb.313:
	v_bfe_u32 v45, v22, 16, 7
	s_movk_i32 s10, 0x7f
	v_cmp_ne_u32_e32 vcc, s10, v45
	v_mov_b32_e32 v43, 0x7f800001
	s_and_saveexec_b64 s[10:11], vcc
	s_cbranch_execz .LBB599_315
; %bb.314:
	v_and_b32_e32 v52, 7, v42
	v_ffbh_u32_e32 v43, v52
	v_min_u32_e32 v54, 32, v43
	v_subrev_u32_e32 v43, 28, v54
	v_lshlrev_b64 v[42:43], v43, v[42:43]
	v_lshrrev_b32_e32 v53, 3, v45
	v_sub_u32_e32 v43, 29, v54
	v_and_b32_e32 v42, 7, v42
	v_cmp_gt_u32_e32 vcc, 8, v45
	v_mov_b32_e32 v45, 24
	v_cndmask_b32_e32 v43, v53, v43, vcc
	v_cndmask_b32_e32 v42, v52, v42, vcc
	v_lshlrev_b32_sdwa v45, v45, v22 dst_sel:DWORD dst_unused:UNUSED_PAD src0_sel:DWORD src1_sel:WORD_1
	v_bfrev_b32_e32 v52, 60
	v_lshlrev_b32_e32 v42, 20, v42
	v_and_b32_e32 v45, 0x80000000, v45
	v_lshl_add_u32 v43, v43, 23, v52
	v_or3_b32 v43, v45, v43, v42
.LBB599_315:
	s_or_b64 exec, exec, s[10:11]
.LBB599_316:
	s_or_b64 exec, exec, s[8:9]
.LBB599_317:
	s_or_b64 exec, exec, s[2:3]
	s_mov_b32 s2, 0xffffff
	v_cmp_lt_u32_e32 vcc, s2, v22
	v_mov_b32_e32 v45, 0
	v_mov_b32_e32 v52, 0
	s_and_saveexec_b64 s[2:3], vcc
	s_cbranch_execz .LBB599_323
; %bb.318:
	v_lshrrev_b32_e32 v42, 24, v22
	s_movk_i32 s8, 0x80
	v_cmp_ne_u32_e32 vcc, s8, v42
	v_bfrev_b32_e32 v52, 1
	s_and_saveexec_b64 s[8:9], vcc
	s_cbranch_execz .LBB599_322
; %bb.319:
	v_bfe_u32 v22, v22, 24, 7
	s_movk_i32 s10, 0x7f
	v_cmp_ne_u32_e32 vcc, s10, v22
	v_mov_b32_e32 v52, 0x7f800001
	s_and_saveexec_b64 s[10:11], vcc
	s_cbranch_execz .LBB599_321
; %bb.320:
	v_and_b32_e32 v54, 7, v42
	v_ffbh_u32_e32 v52, v54
	v_min_u32_e32 v56, 32, v52
	v_subrev_u32_e32 v52, 28, v56
	v_lshlrev_b64 v[52:53], v52, v[42:43]
	v_lshrrev_b32_e32 v55, 3, v22
	v_sub_u32_e32 v53, 29, v56
	v_and_b32_e32 v52, 7, v52
	v_cmp_gt_u32_e32 vcc, 8, v22
	v_cndmask_b32_e32 v22, v55, v53, vcc
	v_cndmask_b32_e32 v52, v54, v52, vcc
	v_lshlrev_b32_e32 v42, 24, v42
	v_bfrev_b32_e32 v53, 60
	v_lshlrev_b32_e32 v52, 20, v52
	v_and_b32_e32 v42, 0x80000000, v42
	v_lshl_add_u32 v22, v22, 23, v53
	v_or3_b32 v52, v42, v22, v52
.LBB599_321:
	s_or_b64 exec, exec, s[10:11]
.LBB599_322:
	s_or_b64 exec, exec, s[8:9]
.LBB599_323:
	s_or_b64 exec, exec, s[2:3]
	v_cmp_ne_u16_sdwa s[8:9], v23, v45 src0_sel:BYTE_0 src1_sel:DWORD
	s_and_saveexec_b64 s[2:3], s[8:9]
	s_cbranch_execz .LBB599_329
; %bb.324:
	s_movk_i32 s8, 0x80
	v_cmp_ne_u16_sdwa s[10:11], v23, s8 src0_sel:BYTE_0 src1_sel:DWORD
	v_bfrev_b32_e32 v45, 1
	s_and_saveexec_b64 s[8:9], s[10:11]
	s_cbranch_execz .LBB599_328
; %bb.325:
	s_movk_i32 s10, 0x7f
	v_and_b32_e32 v22, 0x7f, v23
	v_cmp_ne_u32_e32 vcc, s10, v22
	v_mov_b32_e32 v45, 0x7f800001
	s_and_saveexec_b64 s[10:11], vcc
	s_cbranch_execz .LBB599_327
; %bb.326:
	v_and_b32_e32 v45, 7, v23
	v_ffbh_u32_e32 v54, v45
	v_min_u32_e32 v56, 32, v54
	v_mov_b32_e32 v42, v23
	v_subrev_u32_e32 v54, 28, v56
	v_lshlrev_b64 v[54:55], v54, v[42:43]
	v_lshrrev_b32_e32 v53, 3, v22
	v_sub_u32_e32 v42, 29, v56
	v_and_b32_e32 v54, 7, v54
	v_cmp_gt_u32_e32 vcc, 8, v22
	v_cndmask_b32_e32 v22, v53, v42, vcc
	v_cndmask_b32_e32 v42, v45, v54, vcc
	v_lshlrev_b32_e32 v45, 24, v23
	v_bfrev_b32_e32 v53, 60
	v_lshlrev_b32_e32 v42, 20, v42
	v_and_b32_e32 v45, 0x80000000, v45
	v_lshl_add_u32 v22, v22, 23, v53
	v_or3_b32 v45, v45, v22, v42
.LBB599_327:
	s_or_b64 exec, exec, s[10:11]
.LBB599_328:
	s_or_b64 exec, exec, s[8:9]
.LBB599_329:
	s_or_b64 exec, exec, s[2:3]
	v_lshrrev_b16_e32 v22, 8, v23
	v_cmp_ne_u16_e32 vcc, 0, v22
	v_mov_b32_e32 v53, 0
	v_mov_b32_e32 v54, 0
	s_and_saveexec_b64 s[2:3], vcc
	s_cbranch_execz .LBB599_335
; %bb.330:
	s_movk_i32 s8, 0x80
	v_cmp_ne_u16_e32 vcc, s8, v22
	v_bfrev_b32_e32 v54, 1
	s_and_saveexec_b64 s[8:9], vcc
	s_cbranch_execz .LBB599_334
; %bb.331:
	s_movk_i32 s10, 0x7f
	v_and_b32_e32 v42, 0x7f, v22
	v_cmp_ne_u32_e32 vcc, s10, v42
	v_mov_b32_e32 v54, 0x7f800001
	s_and_saveexec_b64 s[10:11], vcc
	s_cbranch_execz .LBB599_333
; %bb.332:
	v_and_b32_e32 v56, 7, v22
	v_ffbh_u32_e32 v54, v56
	v_min_u32_e32 v58, 32, v54
	v_subrev_u32_e32 v54, 28, v58
	v_lshlrev_b64 v[54:55], v54, v[22:23]
	v_lshrrev_b32_e32 v57, 3, v42
	v_sub_u32_e32 v22, 29, v58
	v_and_b32_e32 v54, 7, v54
	v_cmp_gt_u32_e32 vcc, 8, v42
	v_cndmask_b32_e32 v22, v57, v22, vcc
	v_cndmask_b32_e32 v42, v56, v54, vcc
	v_lshlrev_b32_e32 v54, 16, v23
	v_bfrev_b32_e32 v55, 60
	v_lshlrev_b32_e32 v42, 20, v42
	v_and_b32_e32 v54, 0x80000000, v54
	v_lshl_add_u32 v22, v22, 23, v55
	v_or3_b32 v54, v54, v22, v42
.LBB599_333:
	s_or_b64 exec, exec, s[10:11]
.LBB599_334:
	s_or_b64 exec, exec, s[8:9]
.LBB599_335:
	s_or_b64 exec, exec, s[2:3]
	s_movk_i32 s2, 0xff
	v_and_b32_sdwa v42, v23, s2 dst_sel:DWORD dst_unused:UNUSED_PAD src0_sel:WORD_1 src1_sel:DWORD
	v_lshrrev_b32_e32 v22, 16, v23
	v_cmp_ne_u16_e32 vcc, 0, v42
	s_and_saveexec_b64 s[2:3], vcc
	s_cbranch_execz .LBB599_341
; %bb.336:
	s_movk_i32 s8, 0x80
	v_cmp_ne_u16_e32 vcc, s8, v42
	v_bfrev_b32_e32 v53, 1
	s_and_saveexec_b64 s[8:9], vcc
	s_cbranch_execz .LBB599_340
; %bb.337:
	v_bfe_u32 v42, v23, 16, 7
	s_movk_i32 s10, 0x7f
	v_cmp_ne_u32_e32 vcc, s10, v42
	v_mov_b32_e32 v53, 0x7f800001
	s_and_saveexec_b64 s[10:11], vcc
	s_cbranch_execz .LBB599_339
; %bb.338:
	v_and_b32_e32 v53, 7, v22
	v_ffbh_u32_e32 v56, v53
	v_min_u32_e32 v58, 32, v56
	v_subrev_u32_e32 v56, 28, v58
	v_lshlrev_b64 v[56:57], v56, v[22:23]
	v_and_b32_e32 v56, 7, v56
	v_cmp_gt_u32_e32 vcc, 8, v42
	v_lshrrev_b32_e32 v55, 3, v42
	v_sub_u32_e32 v22, 29, v58
	v_cndmask_b32_e32 v42, v53, v56, vcc
	v_mov_b32_e32 v53, 24
	v_cndmask_b32_e32 v22, v55, v22, vcc
	v_lshlrev_b32_sdwa v53, v53, v23 dst_sel:DWORD dst_unused:UNUSED_PAD src0_sel:DWORD src1_sel:WORD_1
	v_bfrev_b32_e32 v55, 60
	v_lshlrev_b32_e32 v42, 20, v42
	v_and_b32_e32 v53, 0x80000000, v53
	v_lshl_add_u32 v22, v22, 23, v55
	v_or3_b32 v53, v53, v22, v42
.LBB599_339:
	s_or_b64 exec, exec, s[10:11]
.LBB599_340:
	s_or_b64 exec, exec, s[8:9]
.LBB599_341:
	s_or_b64 exec, exec, s[2:3]
	s_mov_b32 s2, 0xffffff
	v_cmp_lt_u32_e32 vcc, s2, v23
	v_mov_b32_e32 v42, 0
	v_mov_b32_e32 v55, 0
	s_and_saveexec_b64 s[2:3], vcc
	s_cbranch_execz .LBB599_347
; %bb.342:
	v_lshrrev_b32_e32 v22, 24, v23
	s_movk_i32 s8, 0x80
	v_cmp_ne_u32_e32 vcc, s8, v22
	v_bfrev_b32_e32 v55, 1
	s_and_saveexec_b64 s[8:9], vcc
	s_cbranch_execz .LBB599_346
; %bb.343:
	v_bfe_u32 v23, v23, 24, 7
	s_movk_i32 s10, 0x7f
	v_cmp_ne_u32_e32 vcc, s10, v23
	v_mov_b32_e32 v55, 0x7f800001
	s_and_saveexec_b64 s[10:11], vcc
	s_cbranch_execz .LBB599_345
; %bb.344:
	v_and_b32_e32 v55, 7, v22
	v_ffbh_u32_e32 v56, v55
	v_min_u32_e32 v59, 32, v56
	v_subrev_u32_e32 v56, 28, v59
	v_lshlrev_b64 v[56:57], v56, v[22:23]
	v_lshrrev_b32_e32 v58, 3, v23
	v_sub_u32_e32 v57, 29, v59
	v_and_b32_e32 v56, 7, v56
	v_cmp_gt_u32_e32 vcc, 8, v23
	v_cndmask_b32_e32 v23, v58, v57, vcc
	v_cndmask_b32_e32 v55, v55, v56, vcc
	v_lshlrev_b32_e32 v22, 24, v22
	v_bfrev_b32_e32 v56, 60
	v_lshlrev_b32_e32 v55, 20, v55
	v_and_b32_e32 v22, 0x80000000, v22
	v_lshl_add_u32 v23, v23, 23, v56
	v_or3_b32 v55, v22, v23, v55
.LBB599_345:
	s_or_b64 exec, exec, s[10:11]
.LBB599_346:
	s_or_b64 exec, exec, s[8:9]
.LBB599_347:
	s_or_b64 exec, exec, s[2:3]
	v_cvt_pkrtz_f16_f32 v22, v51, v44
	v_cvt_pkrtz_f16_f32 v23, v43, v52
	v_cmp_ne_u16_sdwa s[8:9], v24, v42 src0_sel:BYTE_0 src1_sel:DWORD
	s_nop 0
	v_mfma_f32_16x16x16f16 v[56:59], v[22:23], v[26:27], 0
	v_cvt_pkrtz_f16_f32 v22, v45, v54
	v_cvt_pkrtz_f16_f32 v23, v53, v55
	s_nop 1
	v_mfma_f32_16x16x16f16 v[26:29], v[22:23], v[28:29], v[56:59]
	s_and_saveexec_b64 s[2:3], s[8:9]
	s_cbranch_execz .LBB599_353
; %bb.348:
	s_movk_i32 s8, 0x80
	v_cmp_ne_u16_sdwa s[10:11], v24, s8 src0_sel:BYTE_0 src1_sel:DWORD
	v_bfrev_b32_e32 v42, 1
	s_and_saveexec_b64 s[8:9], s[10:11]
	s_cbranch_execz .LBB599_352
; %bb.349:
	s_movk_i32 s10, 0x7f
	v_and_b32_e32 v22, 0x7f, v24
	v_cmp_ne_u32_e32 vcc, s10, v22
	v_mov_b32_e32 v42, 0x7f800001
	s_and_saveexec_b64 s[10:11], vcc
	s_cbranch_execz .LBB599_351
; %bb.350:
	v_and_b32_e32 v23, 7, v24
	v_ffbh_u32_e32 v42, v23
	v_min_u32_e32 v45, 32, v42
	v_subrev_u32_e32 v42, 28, v45
	v_lshlrev_b64 v[42:43], v42, v[24:25]
	v_lshrrev_b32_e32 v44, 3, v22
	v_sub_u32_e32 v43, 29, v45
	v_and_b32_e32 v42, 7, v42
	v_cmp_gt_u32_e32 vcc, 8, v22
	v_cndmask_b32_e32 v22, v44, v43, vcc
	v_cndmask_b32_e32 v23, v23, v42, vcc
	v_lshlrev_b32_e32 v42, 24, v24
	v_bfrev_b32_e32 v43, 60
	v_lshlrev_b32_e32 v23, 20, v23
	v_and_b32_e32 v42, 0x80000000, v42
	v_lshl_add_u32 v22, v22, 23, v43
	v_or3_b32 v42, v42, v22, v23
.LBB599_351:
	s_or_b64 exec, exec, s[10:11]
.LBB599_352:
	s_or_b64 exec, exec, s[8:9]
.LBB599_353:
	s_or_b64 exec, exec, s[2:3]
	v_lshrrev_b16_e32 v22, 8, v24
	v_cmp_ne_u16_e32 vcc, 0, v22
	v_mov_b32_e32 v23, 0
	v_mov_b32_e32 v43, 0
	s_and_saveexec_b64 s[2:3], vcc
	s_cbranch_execz .LBB599_359
; %bb.354:
	s_movk_i32 s8, 0x80
	v_cmp_ne_u16_e32 vcc, s8, v22
	v_bfrev_b32_e32 v43, 1
	s_and_saveexec_b64 s[8:9], vcc
	s_cbranch_execz .LBB599_358
; %bb.355:
	s_movk_i32 s10, 0x7f
	v_and_b32_e32 v44, 0x7f, v22
	v_cmp_ne_u32_e32 vcc, s10, v44
	v_mov_b32_e32 v43, 0x7f800001
	s_and_saveexec_b64 s[10:11], vcc
	s_cbranch_execz .LBB599_357
; %bb.356:
	v_and_b32_e32 v43, 7, v22
	v_ffbh_u32_e32 v51, v43
	v_min_u32_e32 v51, 32, v51
	v_subrev_u32_e32 v52, 28, v51
	v_lshlrev_b64 v[52:53], v52, v[22:23]
	v_lshrrev_b32_e32 v45, 3, v44
	v_sub_u32_e32 v22, 29, v51
	v_and_b32_e32 v51, 7, v52
	v_cmp_gt_u32_e32 vcc, 8, v44
	v_cndmask_b32_e32 v22, v45, v22, vcc
	v_cndmask_b32_e32 v43, v43, v51, vcc
	v_lshlrev_b32_e32 v44, 16, v24
	v_bfrev_b32_e32 v45, 60
	v_lshlrev_b32_e32 v43, 20, v43
	v_and_b32_e32 v44, 0x80000000, v44
	v_lshl_add_u32 v22, v22, 23, v45
	v_or3_b32 v43, v44, v22, v43
.LBB599_357:
	s_or_b64 exec, exec, s[10:11]
.LBB599_358:
	s_or_b64 exec, exec, s[8:9]
.LBB599_359:
	s_or_b64 exec, exec, s[2:3]
	s_movk_i32 s2, 0xff
	v_and_b32_sdwa v44, v24, s2 dst_sel:DWORD dst_unused:UNUSED_PAD src0_sel:WORD_1 src1_sel:DWORD
	v_lshrrev_b32_e32 v22, 16, v24
	v_cmp_ne_u16_e32 vcc, 0, v44
	s_and_saveexec_b64 s[2:3], vcc
	s_cbranch_execz .LBB599_365
; %bb.360:
	s_movk_i32 s8, 0x80
	v_cmp_ne_u16_e32 vcc, s8, v44
	v_bfrev_b32_e32 v23, 1
	s_and_saveexec_b64 s[8:9], vcc
	s_cbranch_execz .LBB599_364
; %bb.361:
	v_bfe_u32 v44, v24, 16, 7
	s_movk_i32 s10, 0x7f
	v_cmp_ne_u32_e32 vcc, s10, v44
	v_mov_b32_e32 v23, 0x7f800001
	s_and_saveexec_b64 s[10:11], vcc
	s_cbranch_execz .LBB599_363
; %bb.362:
	v_and_b32_e32 v45, 7, v22
	v_ffbh_u32_e32 v23, v45
	v_min_u32_e32 v52, 32, v23
	v_subrev_u32_e32 v23, 28, v52
	v_lshlrev_b64 v[22:23], v23, v[22:23]
	v_lshrrev_b32_e32 v51, 3, v44
	v_sub_u32_e32 v23, 29, v52
	v_and_b32_e32 v22, 7, v22
	v_cmp_gt_u32_e32 vcc, 8, v44
	v_mov_b32_e32 v44, 24
	v_cndmask_b32_e32 v23, v51, v23, vcc
	v_cndmask_b32_e32 v22, v45, v22, vcc
	v_lshlrev_b32_sdwa v44, v44, v24 dst_sel:DWORD dst_unused:UNUSED_PAD src0_sel:DWORD src1_sel:WORD_1
	v_bfrev_b32_e32 v45, 60
	v_lshlrev_b32_e32 v22, 20, v22
	v_and_b32_e32 v44, 0x80000000, v44
	v_lshl_add_u32 v23, v23, 23, v45
	v_or3_b32 v23, v44, v23, v22
.LBB599_363:
	s_or_b64 exec, exec, s[10:11]
.LBB599_364:
	s_or_b64 exec, exec, s[8:9]
.LBB599_365:
	s_or_b64 exec, exec, s[2:3]
	s_mov_b32 s2, 0xffffff
	v_cmp_lt_u32_e32 vcc, s2, v24
	v_mov_b32_e32 v44, 0
	v_mov_b32_e32 v45, 0
	s_and_saveexec_b64 s[2:3], vcc
	s_cbranch_execz .LBB599_371
; %bb.366:
	v_lshrrev_b32_e32 v22, 24, v24
	s_movk_i32 s8, 0x80
	v_cmp_ne_u32_e32 vcc, s8, v22
	v_bfrev_b32_e32 v45, 1
	s_and_saveexec_b64 s[8:9], vcc
	s_cbranch_execz .LBB599_370
; %bb.367:
	v_bfe_u32 v24, v24, 24, 7
	s_movk_i32 s10, 0x7f
	v_cmp_ne_u32_e32 vcc, s10, v24
	v_mov_b32_e32 v45, 0x7f800001
	s_and_saveexec_b64 s[10:11], vcc
	s_cbranch_execz .LBB599_369
; %bb.368:
	v_and_b32_e32 v45, 7, v22
	v_ffbh_u32_e32 v52, v45
	v_min_u32_e32 v54, 32, v52
	v_subrev_u32_e32 v52, 28, v54
	v_lshlrev_b64 v[52:53], v52, v[22:23]
	v_lshrrev_b32_e32 v51, 3, v24
	v_sub_u32_e32 v53, 29, v54
	v_and_b32_e32 v52, 7, v52
	v_cmp_gt_u32_e32 vcc, 8, v24
	v_cndmask_b32_e32 v24, v51, v53, vcc
	v_cndmask_b32_e32 v45, v45, v52, vcc
	v_lshlrev_b32_e32 v22, 24, v22
	v_bfrev_b32_e32 v51, 60
	v_lshlrev_b32_e32 v45, 20, v45
	v_and_b32_e32 v22, 0x80000000, v22
	v_lshl_add_u32 v24, v24, 23, v51
	v_or3_b32 v45, v22, v24, v45
.LBB599_369:
	s_or_b64 exec, exec, s[10:11]
.LBB599_370:
	s_or_b64 exec, exec, s[8:9]
.LBB599_371:
	s_or_b64 exec, exec, s[2:3]
	v_cmp_ne_u16_sdwa s[8:9], v25, v44 src0_sel:BYTE_0 src1_sel:DWORD
	s_and_saveexec_b64 s[2:3], s[8:9]
	s_cbranch_execz .LBB599_377
; %bb.372:
	s_movk_i32 s8, 0x80
	v_cmp_ne_u16_sdwa s[10:11], v25, s8 src0_sel:BYTE_0 src1_sel:DWORD
	v_bfrev_b32_e32 v44, 1
	s_and_saveexec_b64 s[8:9], s[10:11]
	s_cbranch_execz .LBB599_376
; %bb.373:
	s_movk_i32 s10, 0x7f
	v_and_b32_e32 v22, 0x7f, v25
	v_cmp_ne_u32_e32 vcc, s10, v22
	v_mov_b32_e32 v44, 0x7f800001
	s_and_saveexec_b64 s[10:11], vcc
	s_cbranch_execz .LBB599_375
; %bb.374:
	v_and_b32_e32 v44, 7, v25
	v_ffbh_u32_e32 v52, v44
	v_min_u32_e32 v54, 32, v52
	v_mov_b32_e32 v24, v25
	v_subrev_u32_e32 v52, 28, v54
	v_lshlrev_b64 v[52:53], v52, v[24:25]
	v_lshrrev_b32_e32 v51, 3, v22
	v_sub_u32_e32 v24, 29, v54
	v_and_b32_e32 v52, 7, v52
	v_cmp_gt_u32_e32 vcc, 8, v22
	v_cndmask_b32_e32 v22, v51, v24, vcc
	v_cndmask_b32_e32 v24, v44, v52, vcc
	v_lshlrev_b32_e32 v44, 24, v25
	v_bfrev_b32_e32 v51, 60
	v_lshlrev_b32_e32 v24, 20, v24
	v_and_b32_e32 v44, 0x80000000, v44
	v_lshl_add_u32 v22, v22, 23, v51
	v_or3_b32 v44, v44, v22, v24
.LBB599_375:
	s_or_b64 exec, exec, s[10:11]
.LBB599_376:
	s_or_b64 exec, exec, s[8:9]
.LBB599_377:
	s_or_b64 exec, exec, s[2:3]
	v_lshrrev_b16_e32 v22, 8, v25
	v_cmp_ne_u16_e32 vcc, 0, v22
	v_mov_b32_e32 v24, 0
	v_mov_b32_e32 v52, 0
	s_and_saveexec_b64 s[2:3], vcc
	s_cbranch_execz .LBB599_383
; %bb.378:
	s_movk_i32 s8, 0x80
	v_cmp_ne_u16_e32 vcc, s8, v22
	v_bfrev_b32_e32 v52, 1
	s_and_saveexec_b64 s[8:9], vcc
	s_cbranch_execz .LBB599_382
; %bb.379:
	s_movk_i32 s10, 0x7f
	v_and_b32_e32 v51, 0x7f, v22
	v_cmp_ne_u32_e32 vcc, s10, v51
	v_mov_b32_e32 v52, 0x7f800001
	s_and_saveexec_b64 s[10:11], vcc
	s_cbranch_execz .LBB599_381
; %bb.380:
	v_and_b32_e32 v54, 7, v22
	v_ffbh_u32_e32 v52, v54
	v_min_u32_e32 v56, 32, v52
	v_subrev_u32_e32 v52, 28, v56
	v_lshlrev_b64 v[52:53], v52, v[22:23]
	v_lshrrev_b32_e32 v55, 3, v51
	v_sub_u32_e32 v22, 29, v56
	v_and_b32_e32 v52, 7, v52
	v_cmp_gt_u32_e32 vcc, 8, v51
	v_cndmask_b32_e32 v22, v55, v22, vcc
	v_cndmask_b32_e32 v51, v54, v52, vcc
	v_lshlrev_b32_e32 v52, 16, v25
	v_bfrev_b32_e32 v53, 60
	v_lshlrev_b32_e32 v51, 20, v51
	v_and_b32_e32 v52, 0x80000000, v52
	v_lshl_add_u32 v22, v22, 23, v53
	v_or3_b32 v52, v52, v22, v51
.LBB599_381:
	s_or_b64 exec, exec, s[10:11]
.LBB599_382:
	s_or_b64 exec, exec, s[8:9]
.LBB599_383:
	s_or_b64 exec, exec, s[2:3]
	s_movk_i32 s2, 0xff
	v_and_b32_sdwa v51, v25, s2 dst_sel:DWORD dst_unused:UNUSED_PAD src0_sel:WORD_1 src1_sel:DWORD
	v_lshrrev_b32_e32 v22, 16, v25
	v_cmp_ne_u16_e32 vcc, 0, v51
	s_and_saveexec_b64 s[2:3], vcc
	s_cbranch_execz .LBB599_389
; %bb.384:
	s_movk_i32 s8, 0x80
	v_cmp_ne_u16_e32 vcc, s8, v51
	v_bfrev_b32_e32 v24, 1
	s_and_saveexec_b64 s[8:9], vcc
	s_cbranch_execz .LBB599_388
; %bb.385:
	v_bfe_u32 v51, v25, 16, 7
	s_movk_i32 s10, 0x7f
	v_cmp_ne_u32_e32 vcc, s10, v51
	v_mov_b32_e32 v24, 0x7f800001
	s_and_saveexec_b64 s[10:11], vcc
	s_cbranch_execz .LBB599_387
; %bb.386:
	v_and_b32_e32 v24, 7, v22
	v_ffbh_u32_e32 v54, v24
	v_min_u32_e32 v56, 32, v54
	v_subrev_u32_e32 v54, 28, v56
	v_lshlrev_b64 v[54:55], v54, v[22:23]
	v_lshrrev_b32_e32 v53, 3, v51
	v_sub_u32_e32 v22, 29, v56
	v_and_b32_e32 v54, 7, v54
	v_cmp_gt_u32_e32 vcc, 8, v51
	v_mov_b32_e32 v51, 24
	v_cndmask_b32_e32 v22, v53, v22, vcc
	v_cndmask_b32_e32 v24, v24, v54, vcc
	v_lshlrev_b32_sdwa v51, v51, v25 dst_sel:DWORD dst_unused:UNUSED_PAD src0_sel:DWORD src1_sel:WORD_1
	v_bfrev_b32_e32 v53, 60
	v_lshlrev_b32_e32 v24, 20, v24
	v_and_b32_e32 v51, 0x80000000, v51
	v_lshl_add_u32 v22, v22, 23, v53
	v_or3_b32 v24, v51, v22, v24
.LBB599_387:
	s_or_b64 exec, exec, s[10:11]
.LBB599_388:
	s_or_b64 exec, exec, s[8:9]
.LBB599_389:
	s_or_b64 exec, exec, s[2:3]
	s_mov_b32 s2, 0xffffff
	v_and_b32_e32 v51, 63, v0
	v_cmp_lt_u32_e32 vcc, s2, v25
	v_mov_b32_e32 v53, 0
	s_and_saveexec_b64 s[2:3], vcc
	s_cbranch_execz .LBB599_395
; %bb.390:
	v_lshrrev_b32_e32 v22, 24, v25
	s_movk_i32 s8, 0x80
	v_cmp_ne_u32_e32 vcc, s8, v22
	v_bfrev_b32_e32 v53, 1
	s_and_saveexec_b64 s[8:9], vcc
	s_cbranch_execz .LBB599_394
; %bb.391:
	v_bfe_u32 v25, v25, 24, 7
	s_movk_i32 s10, 0x7f
	v_cmp_ne_u32_e32 vcc, s10, v25
	v_mov_b32_e32 v53, 0x7f800001
	s_and_saveexec_b64 s[10:11], vcc
	s_cbranch_execz .LBB599_393
; %bb.392:
	v_and_b32_e32 v53, 7, v22
	v_ffbh_u32_e32 v54, v53
	v_min_u32_e32 v57, 32, v54
	v_subrev_u32_e32 v54, 28, v57
	v_lshlrev_b64 v[54:55], v54, v[22:23]
	v_lshrrev_b32_e32 v56, 3, v25
	v_sub_u32_e32 v55, 29, v57
	v_and_b32_e32 v54, 7, v54
	v_cmp_gt_u32_e32 vcc, 8, v25
	v_cndmask_b32_e32 v25, v56, v55, vcc
	v_cndmask_b32_e32 v53, v53, v54, vcc
	v_lshlrev_b32_e32 v22, 24, v22
	v_bfrev_b32_e32 v54, 60
	v_lshlrev_b32_e32 v53, 20, v53
	v_and_b32_e32 v22, 0x80000000, v22
	v_lshl_add_u32 v25, v25, 23, v54
	v_or3_b32 v53, v22, v25, v53
.LBB599_393:
	s_or_b64 exec, exec, s[10:11]
.LBB599_394:
	s_or_b64 exec, exec, s[8:9]
.LBB599_395:
	s_or_b64 exec, exec, s[2:3]
	v_cvt_pkrtz_f16_f32 v42, v42, v43
	v_cvt_pkrtz_f16_f32 v43, v23, v45
	s_load_dword s2, s[4:5], 0x1c
	s_mov_b32 s46, 0xff7fffff
	s_waitcnt lgkmcnt(0)
	v_mfma_f32_16x16x16f16 v[26:29], v[42:43], v[18:19], v[26:29]
	v_cvt_pkrtz_f16_f32 v18, v44, v52
	v_cvt_pkrtz_f16_f32 v19, v24, v53
	v_and_b32_e32 v24, 0xc0, v0
	v_mov_b32_e32 v22, s2
	v_add_u32_e32 v24, s20, v24
	v_mul_f32_e32 v54, s12, v22
	v_lshl_or_b32 v42, v1, 2, v24
	v_mfma_f32_16x16x16f16 v[18:21], v[18:19], v[20:21], v[26:29]
	v_pk_mul_f32 v[22:23], v[54:55], v[36:37] op_sel_hi:[0,1]
	v_pk_mul_f32 v[36:37], v[54:55], v[40:41] op_sel_hi:[0,1]
	;; [unrolled: 1-line block ×4, first 2 shown]
	v_mov_b32_e32 v43, 0xff7fffff
	v_cmp_gt_i32_e64 s[26:27], s33, v42
	v_pk_mul_f32 v[38:39], v[54:55], v[38:39] op_sel_hi:[0,1]
	s_nop 3
	v_pk_mul_f32 v[32:33], v[54:55], v[18:19] op_sel_hi:[0,1]
	v_or_b32_e32 v19, 1, v42
	v_cmp_gt_i32_e64 s[28:29], s33, v19
	v_cndmask_b32_e64 v18, v43, v30, s[26:27]
	v_cndmask_b32_e64 v19, v43, v31, s[28:29]
	v_pk_mul_f32 v[24:25], v[54:55], v[20:21] op_sel_hi:[0,1]
	v_max3_f32 v18, v18, s46, v19
	v_or_b32_e32 v19, 2, v42
	v_or_b32_e32 v20, 3, v42
	v_cmp_gt_i32_e64 s[30:31], s33, v19
	v_cmp_gt_i32_e64 s[34:35], s33, v20
	v_cndmask_b32_e64 v19, v43, v40, s[30:31]
	v_cndmask_b32_e64 v20, v43, v41, s[34:35]
	v_max3_f32 v18, v18, v19, v20
	v_or_b32_e32 v19, 16, v42
	v_or_b32_e32 v20, 17, v42
	v_cmp_gt_i32_e64 s[36:37], s33, v19
	v_cmp_gt_i32_e64 s[38:39], s33, v20
	v_cndmask_b32_e64 v19, v43, v38, s[36:37]
	v_cndmask_b32_e64 v20, v43, v39, s[38:39]
	;; [unrolled: 7-line block ×3, first 2 shown]
	v_max3_f32 v18, v18, v19, v20
	v_or_b32_e32 v19, 32, v42
	v_or_b32_e32 v20, 33, v42
	v_pk_mul_f32 v[34:35], v[54:55], v[34:35] op_sel_hi:[0,1]
	v_cmp_gt_i32_e64 s[16:17], s33, v19
	v_cmp_gt_i32_e64 s[18:19], s33, v20
	v_cndmask_b32_e64 v19, v43, v34, s[16:17]
	v_cndmask_b32_e64 v20, v43, v35, s[18:19]
	v_max3_f32 v18, v18, v19, v20
	v_or_b32_e32 v19, 34, v42
	v_or_b32_e32 v20, 35, v42
	v_cmp_gt_i32_e64 s[12:13], s33, v19
	v_cmp_gt_i32_e64 s[14:15], s33, v20
	v_cndmask_b32_e64 v19, v43, v22, s[12:13]
	v_cndmask_b32_e64 v20, v43, v23, s[14:15]
	v_max3_f32 v18, v18, v19, v20
	v_or_b32_e32 v19, 48, v42
	v_or_b32_e32 v20, 49, v42
	;; [unrolled: 7-line block ×3, first 2 shown]
	v_cmp_gt_i32_e32 vcc, s33, v19
	v_cmp_gt_i32_e64 s[2:3], s33, v20
	v_cndmask_b32_e32 v19, v43, v24, vcc
	v_cndmask_b32_e64 v20, v43, v25, s[2:3]
	v_max3_f32 v18, v18, v19, v20
	v_mbcnt_lo_u32_b32 v19, -1, 0
	v_mbcnt_hi_u32_b32 v19, -1, v19
	v_and_b32_e32 v20, 64, v19
	v_add_u32_e32 v20, 64, v20
	v_xor_b32_e32 v21, 32, v19
	v_cmp_lt_i32_e64 s[40:41], v21, v20
	v_cndmask_b32_e64 v21, v19, v21, s[40:41]
	v_lshlrev_b32_e32 v43, 2, v21
	ds_bpermute_b32 v21, v43, v18
	s_barrier
	s_waitcnt lgkmcnt(0)
	v_max_f32_e32 v21, v21, v21
	v_max_f32_e32 v18, v18, v21
	v_xor_b32_e32 v21, 16, v19
	v_cmp_lt_i32_e64 s[40:41], v21, v20
	v_cndmask_b32_e64 v19, v19, v21, s[40:41]
	v_lshlrev_b32_e32 v44, 2, v19
	ds_bpermute_b32 v19, v44, v18
	s_waitcnt lgkmcnt(0)
	v_max_f32_e32 v19, v19, v19
	v_max_f32_e32 v42, v18, v19
	v_sub_f32_e32 v21, v40, v42
	v_sub_f32_e32 v26, v41, v42
	v_mul_f32_e32 v21, 0x3fb8aa3b, v21
	v_mul_f32_e32 v26, 0x3fb8aa3b, v26
	v_sub_f32_e32 v18, v30, v42
	v_exp_f32_e32 v21, v21
	v_exp_f32_e32 v26, v26
	v_mul_f32_e32 v18, 0x3fb8aa3b, v18
	v_sub_f32_e32 v19, v31, v42
	v_exp_f32_e32 v18, v18
	v_mul_f32_e32 v19, 0x3fb8aa3b, v19
	v_exp_f32_e32 v19, v19
	v_cndmask_b32_e64 v28, 0, v21, s[30:31]
	v_cndmask_b32_e64 v29, 0, v26, s[34:35]
	v_sub_f32_e32 v21, v38, v42
	v_sub_f32_e32 v26, v39, v42
	v_mul_f32_e32 v21, 0x3fb8aa3b, v21
	v_mul_f32_e32 v26, 0x3fb8aa3b, v26
	v_cndmask_b32_e64 v18, 0, v18, s[26:27]
	v_exp_f32_e32 v21, v21
	v_exp_f32_e32 v26, v26
	v_add_f32_e32 v20, 0, v18
	v_cndmask_b32_e64 v19, 0, v19, s[28:29]
	v_add_f32_e32 v20, v20, v19
	v_add_f32_e32 v20, v20, v28
	;; [unrolled: 1-line block ×3, first 2 shown]
	v_cndmask_b32_e64 v20, 0, v21, s[36:37]
	v_cndmask_b32_e64 v21, 0, v26, s[38:39]
	v_sub_f32_e32 v26, v36, v42
	v_mul_f32_e32 v26, 0x3fb8aa3b, v26
	v_exp_f32_e32 v26, v26
	v_sub_f32_e32 v30, v37, v42
	v_add_f32_e32 v27, v27, v20
	v_mul_f32_e32 v30, 0x3fb8aa3b, v30
	v_exp_f32_e32 v31, v30
	v_add_f32_e32 v27, v27, v21
	v_cndmask_b32_e64 v30, 0, v26, s[20:21]
	v_add_f32_e32 v26, v27, v30
	v_sub_f32_e32 v27, v34, v42
	v_mul_f32_e32 v27, 0x3fb8aa3b, v27
	v_sub_f32_e32 v34, v35, v42
	v_exp_f32_e32 v27, v27
	v_mul_f32_e32 v34, 0x3fb8aa3b, v34
	v_sub_f32_e32 v22, v22, v42
	v_exp_f32_e32 v34, v34
	v_mul_f32_e32 v22, 0x3fb8aa3b, v22
	v_sub_f32_e32 v23, v23, v42
	v_exp_f32_e32 v22, v22
	v_mul_f32_e32 v23, 0x3fb8aa3b, v23
	v_cndmask_b32_e64 v31, 0, v31, s[22:23]
	v_exp_f32_e32 v23, v23
	v_add_f32_e32 v35, v26, v31
	v_cndmask_b32_e64 v26, 0, v27, s[16:17]
	v_add_f32_e32 v35, v35, v26
	v_cndmask_b32_e64 v27, 0, v34, s[18:19]
	;; [unrolled: 2-line block ×4, first 2 shown]
	v_sub_f32_e32 v23, v32, v42
	v_mul_f32_e32 v23, 0x3fb8aa3b, v23
	v_sub_f32_e32 v32, v33, v42
	v_exp_f32_e32 v23, v23
	v_mul_f32_e32 v32, 0x3fb8aa3b, v32
	v_sub_f32_e32 v24, v24, v42
	v_exp_f32_e32 v32, v32
	;; [unrolled: 3-line block ×3, first 2 shown]
	v_mul_f32_e32 v25, 0x3fb8aa3b, v25
	v_exp_f32_e32 v25, v25
	v_add_f32_e32 v33, v22, v35
	v_cndmask_b32_e64 v22, 0, v23, s[8:9]
	v_add_f32_e32 v33, v33, v22
	v_cndmask_b32_e64 v23, 0, v32, s[10:11]
	v_add_f32_e32 v32, v33, v23
	v_cndmask_b32_e32 v24, 0, v24, vcc
	v_add_f32_e32 v32, v32, v24
	v_cndmask_b32_e64 v25, 0, v25, s[2:3]
	v_add_f32_e32 v32, v32, v25
	ds_bpermute_b32 v33, v43, v32
	v_cmp_gt_u32_e32 vcc, 16, v51
	s_waitcnt lgkmcnt(0)
	v_add_f32_e32 v33, v32, v33
	ds_bpermute_b32 v36, v44, v33
	v_lshlrev_b32_e32 v32, 2, v49
	s_and_saveexec_b64 s[2:3], vcc
	s_cbranch_execz .LBB599_397
; %bb.396:
	s_waitcnt lgkmcnt(0)
	v_add_f32_e32 v33, v33, v36
	v_lshl_or_b32 v36, v50, 6, v32
	ds_write2st64_b32 v36, v42, v33 offset1:1
.LBB599_397:
	s_or_b64 exec, exec, s[2:3]
	s_waitcnt lgkmcnt(0)
	s_barrier
	ds_read2_b32 v[36:37], v32 offset1:16
	ds_read2_b32 v[38:39], v32 offset0:32 offset1:48
	ds_read2_b32 v[40:41], v32 offset0:64 offset1:80
	;; [unrolled: 1-line block ×3, first 2 shown]
	s_waitcnt lgkmcnt(0)
	v_max3_f32 v33, v36, s46, v37
	v_max3_f32 v33, v33, v38, v39
	v_sub_f32_e32 v36, v36, v33
	v_mul_f32_e32 v36, 0x3fb8aa3b, v36
	v_exp_f32_e32 v44, v36
	v_sub_f32_e32 v36, v37, v33
	v_mul_f32_e32 v36, 0x3fb8aa3b, v36
	v_exp_f32_e32 v37, v36
	v_sub_f32_e32 v36, v38, v33
	v_mul_f32_e32 v36, 0x3fb8aa3b, v36
	v_sub_f32_e32 v32, v39, v33
	v_exp_f32_e32 v38, v36
	v_mul_f32_e32 v32, 0x3fb8aa3b, v32
	v_exp_f32_e32 v39, v32
	v_fma_f32 v36, v44, v40, 0
	v_fmac_f32_e32 v36, v37, v41
	v_fmac_f32_e32 v36, v38, v42
	v_fmac_f32_e32 v36, v39, v43
	v_add_f32_e32 v40, 0x358637bd, v36
	v_div_scale_f32 v41, s[2:3], v40, v40, 1.0
	v_rcp_f32_e32 v42, v41
	s_barrier
	s_mul_i32 s12, s45, 10
	v_fma_f32 v43, -v41, v42, 1.0
	v_fmac_f32_e32 v42, v43, v42
	v_div_scale_f32 v43, vcc, 1.0, v40, 1.0
	v_mul_f32_e32 v45, v43, v42
	v_fma_f32 v51, -v41, v45, v43
	v_fmac_f32_e32 v45, v51, v42
	v_fma_f32 v41, -v41, v45, v43
	v_div_fmas_f32 v41, v41, v42, v45
	v_cmp_eq_u32_e32 vcc, 1, v50
	v_cndmask_b32_e32 v37, v44, v37, vcc
	v_cmp_eq_u32_e32 vcc, 2, v50
	v_cndmask_b32_e32 v37, v37, v38, vcc
	v_cmp_eq_u32_e32 vcc, 3, v50
	v_div_fixup_f32 v40, v41, v40, 1.0
	v_cndmask_b32_e32 v37, v37, v39, vcc
	v_mul_f32_e32 v38, v37, v40
	v_pk_mul_f32 v[28:29], v[38:39], v[28:29] op_sel_hi:[0,1]
	v_pk_mul_f32 v[18:19], v[38:39], v[18:19] op_sel_hi:[0,1]
	v_cvt_f16_f32_e32 v18, v18
	v_cvt_f16_f32_e32 v19, v19
	;; [unrolled: 1-line block ×4, first 2 shown]
	v_pk_mul_f32 v[20:21], v[38:39], v[20:21] op_sel_hi:[0,1]
	v_pack_b32_f16 v18, v18, v19
	v_cvt_f16_f32_e32 v20, v20
	v_pack_b32_f16 v19, v28, v29
	v_pk_mul_f32 v[28:29], v[38:39], v[30:31] op_sel_hi:[0,1]
	v_cvt_f16_f32_e32 v21, v21
	v_cvt_f16_f32_e32 v30, v28
	;; [unrolled: 1-line block ×3, first 2 shown]
	v_lshlrev_b32_e32 v37, 3, v1
	v_lshlrev_b32_e32 v28, 11, v50
	v_or3_b32 v28, v28, v48, v37
	v_pack_b32_f16 v20, v20, v21
	v_pack_b32_f16 v21, v30, v29
	ds_write2st64_b64 v28, v[18:19], v[20:21] offset1:1
	v_pk_mul_f32 v[18:19], v[38:39], v[34:35] op_sel_hi:[0,1]
	v_pk_mul_f32 v[20:21], v[38:39], v[26:27] op_sel_hi:[0,1]
	v_cvt_f16_f32_e32 v26, v20
	v_cvt_f16_f32_e32 v27, v21
	;; [unrolled: 1-line block ×4, first 2 shown]
	v_pk_mul_f32 v[18:19], v[38:39], v[24:25] op_sel_hi:[0,1]
	v_pk_mul_f32 v[20:21], v[38:39], v[22:23] op_sel_hi:[0,1]
	v_cvt_f16_f32_e32 v20, v20
	v_cvt_f16_f32_e32 v21, v21
	v_cvt_f16_f32_e32 v22, v18
	v_cvt_f16_f32_e32 v23, v19
	v_mov_b32_e32 v32, 0
	v_pack_b32_f16 v18, v26, v27
	v_pack_b32_f16 v19, v29, v30
	;; [unrolled: 1-line block ×4, first 2 shown]
	v_cmp_gt_u32_e32 vcc, 10, v0
	ds_write2st64_b64 v28, v[18:19], v[20:21] offset0:2 offset1:3
	s_and_saveexec_b64 s[2:3], vcc
	s_cbranch_execz .LBB599_399
; %bb.398:
	v_add_co_u32_e32 v20, vcc, s25, v49
	v_addc_co_u32_e64 v21, s[14:15], 0, 0, vcc
	v_mov_b32_e32 v18, s12
	v_mov_b32_e32 v19, 0
	v_mad_u64_u32 v[20:21], s[14:15], s6, v18, v[20:21]
	v_mov_b32_e32 v18, s24
	s_load_dwordx4 s[8:11], s[4:5], 0x58
	s_mul_i32 s7, s7, s12
	v_mad_u64_u32 v[18:19], s[14:15], v20, s44, v[18:19]
	v_add_u32_e32 v21, s7, v21
	v_mov_b32_e32 v20, v19
	v_mad_u64_u32 v[20:21], s[14:15], v21, s44, v[20:21]
	v_mov_b32_e32 v19, v20
	v_lshlrev_b64 v[18:19], 2, v[18:19]
	s_waitcnt lgkmcnt(0)
	v_mov_b32_e32 v21, s11
	v_add_co_u32_e32 v20, vcc, s10, v18
	v_addc_co_u32_e32 v21, vcc, v21, v19, vcc
	global_store_dword v[20:21], v33, off
	v_mov_b32_e32 v20, s9
	v_add_co_u32_e32 v18, vcc, s8, v18
	v_addc_co_u32_e32 v19, vcc, v20, v19, vcc
	global_store_dword v[18:19], v36, off
.LBB599_399:
	s_or_b64 exec, exec, s[2:3]
	v_mov_b32_e32 v19, 0
	s_waitcnt vmcnt(3)
	v_cmp_ne_u16_sdwa s[8:9], v14, v19 src0_sel:BYTE_0 src1_sel:DWORD
	s_waitcnt lgkmcnt(0)
	s_barrier
	s_and_saveexec_b64 s[2:3], s[8:9]
	s_cbranch_execz .LBB599_405
; %bb.400:
	s_movk_i32 s7, 0x80
	v_cmp_ne_u16_sdwa s[10:11], v14, s7 src0_sel:BYTE_0 src1_sel:DWORD
	v_bfrev_b32_e32 v32, 1
	s_and_saveexec_b64 s[8:9], s[10:11]
	s_cbranch_execz .LBB599_404
; %bb.401:
	s_movk_i32 s7, 0x7f
	v_and_b32_e32 v18, 0x7f, v14
	v_cmp_ne_u32_e32 vcc, s7, v18
	v_mov_b32_e32 v32, 0x7f800001
	s_and_saveexec_b64 s[10:11], vcc
	s_cbranch_execz .LBB599_403
; %bb.402:
	v_and_b32_e32 v22, 7, v14
	v_ffbh_u32_e32 v20, v22
	v_min_u32_e32 v24, 32, v20
	v_subrev_u32_e32 v20, 28, v24
	v_lshlrev_b64 v[20:21], v20, v[14:15]
	v_lshrrev_b32_e32 v23, 3, v18
	v_sub_u32_e32 v21, 29, v24
	v_and_b32_e32 v20, 7, v20
	v_cmp_gt_u32_e32 vcc, 8, v18
	v_cndmask_b32_e32 v18, v23, v21, vcc
	v_cndmask_b32_e32 v20, v22, v20, vcc
	v_lshlrev_b32_e32 v21, 24, v14
	v_bfrev_b32_e32 v22, 60
	v_lshlrev_b32_e32 v20, 20, v20
	v_and_b32_e32 v21, 0x80000000, v21
	v_lshl_add_u32 v18, v18, 23, v22
	v_or3_b32 v32, v21, v18, v20
.LBB599_403:
	s_or_b64 exec, exec, s[10:11]
.LBB599_404:
	s_or_b64 exec, exec, s[8:9]
.LBB599_405:
	s_or_b64 exec, exec, s[2:3]
	v_lshrrev_b16_e32 v18, 8, v14
	v_cmp_ne_u16_e32 vcc, 0, v18
	v_mov_b32_e32 v20, 0
	s_and_saveexec_b64 s[2:3], vcc
	s_cbranch_execz .LBB599_411
; %bb.406:
	s_movk_i32 s7, 0x80
	v_cmp_ne_u16_e32 vcc, s7, v18
	v_bfrev_b32_e32 v20, 1
	s_and_saveexec_b64 s[8:9], vcc
	s_cbranch_execz .LBB599_410
; %bb.407:
	s_movk_i32 s7, 0x7f
	v_and_b32_e32 v21, 0x7f, v18
	v_cmp_ne_u32_e32 vcc, s7, v21
	v_mov_b32_e32 v20, 0x7f800001
	s_and_saveexec_b64 s[10:11], vcc
	s_cbranch_execz .LBB599_409
; %bb.408:
	v_and_b32_e32 v20, 7, v18
	v_ffbh_u32_e32 v22, v20
	v_min_u32_e32 v25, 32, v22
	v_subrev_u32_e32 v22, 28, v25
	v_lshlrev_b64 v[22:23], v22, v[18:19]
	v_lshrrev_b32_e32 v24, 3, v21
	v_sub_u32_e32 v18, 29, v25
	v_and_b32_e32 v22, 7, v22
	v_cmp_gt_u32_e32 vcc, 8, v21
	v_cndmask_b32_e32 v18, v24, v18, vcc
	v_cndmask_b32_e32 v20, v20, v22, vcc
	v_lshlrev_b32_e32 v21, 16, v14
	v_bfrev_b32_e32 v22, 60
	v_lshlrev_b32_e32 v20, 20, v20
	v_and_b32_e32 v21, 0x80000000, v21
	v_lshl_add_u32 v18, v18, 23, v22
	v_or3_b32 v20, v21, v18, v20
.LBB599_409:
	s_or_b64 exec, exec, s[10:11]
.LBB599_410:
	s_or_b64 exec, exec, s[8:9]
.LBB599_411:
	s_or_b64 exec, exec, s[2:3]
	s_movk_i32 s2, 0xff
	v_and_b32_sdwa v21, v14, s2 dst_sel:DWORD dst_unused:UNUSED_PAD src0_sel:WORD_1 src1_sel:DWORD
	v_lshrrev_b32_e32 v18, 16, v14
	v_cmp_ne_u16_e32 vcc, 0, v21
	s_and_saveexec_b64 s[2:3], vcc
	s_cbranch_execz .LBB599_417
; %bb.412:
	s_movk_i32 s7, 0x80
	v_cmp_ne_u16_e32 vcc, s7, v21
	v_bfrev_b32_e32 v19, 1
	s_and_saveexec_b64 s[8:9], vcc
	s_cbranch_execz .LBB599_416
; %bb.413:
	v_bfe_u32 v21, v14, 16, 7
	s_movk_i32 s7, 0x7f
	v_cmp_ne_u32_e32 vcc, s7, v21
	v_mov_b32_e32 v19, 0x7f800001
	s_and_saveexec_b64 s[10:11], vcc
	s_cbranch_execz .LBB599_415
; %bb.414:
	v_and_b32_e32 v22, 7, v18
	v_ffbh_u32_e32 v19, v22
	v_min_u32_e32 v24, 32, v19
	v_subrev_u32_e32 v19, 28, v24
	v_lshlrev_b64 v[18:19], v19, v[18:19]
	v_lshrrev_b32_e32 v23, 3, v21
	v_sub_u32_e32 v19, 29, v24
	v_and_b32_e32 v18, 7, v18
	v_cmp_gt_u32_e32 vcc, 8, v21
	v_mov_b32_e32 v21, 24
	v_cndmask_b32_e32 v19, v23, v19, vcc
	v_cndmask_b32_e32 v18, v22, v18, vcc
	v_lshlrev_b32_sdwa v21, v21, v14 dst_sel:DWORD dst_unused:UNUSED_PAD src0_sel:DWORD src1_sel:WORD_1
	v_bfrev_b32_e32 v22, 60
	v_lshlrev_b32_e32 v18, 20, v18
	v_and_b32_e32 v21, 0x80000000, v21
	v_lshl_add_u32 v19, v19, 23, v22
	v_or3_b32 v19, v21, v19, v18
.LBB599_415:
	s_or_b64 exec, exec, s[10:11]
.LBB599_416:
	s_or_b64 exec, exec, s[8:9]
.LBB599_417:
	s_or_b64 exec, exec, s[2:3]
	s_mov_b32 s2, 0xffffff
	v_cmp_lt_u32_e32 vcc, s2, v14
	v_mov_b32_e32 v21, 0
	v_mov_b32_e32 v22, 0
	s_and_saveexec_b64 s[2:3], vcc
	s_cbranch_execz .LBB599_423
; %bb.418:
	v_lshrrev_b32_e32 v18, 24, v14
	s_movk_i32 s7, 0x80
	v_cmp_ne_u32_e32 vcc, s7, v18
	v_bfrev_b32_e32 v22, 1
	s_and_saveexec_b64 s[8:9], vcc
	s_cbranch_execz .LBB599_422
; %bb.419:
	v_bfe_u32 v14, v14, 24, 7
	s_movk_i32 s7, 0x7f
	v_cmp_ne_u32_e32 vcc, s7, v14
	v_mov_b32_e32 v22, 0x7f800001
	s_and_saveexec_b64 s[10:11], vcc
	s_cbranch_execz .LBB599_421
; %bb.420:
	v_and_b32_e32 v24, 7, v18
	v_ffbh_u32_e32 v22, v24
	v_min_u32_e32 v26, 32, v22
	v_subrev_u32_e32 v22, 28, v26
	v_lshlrev_b64 v[22:23], v22, v[18:19]
	v_lshrrev_b32_e32 v25, 3, v14
	v_sub_u32_e32 v23, 29, v26
	v_and_b32_e32 v22, 7, v22
	v_cmp_gt_u32_e32 vcc, 8, v14
	v_cndmask_b32_e32 v14, v25, v23, vcc
	v_cndmask_b32_e32 v22, v24, v22, vcc
	v_lshlrev_b32_e32 v18, 24, v18
	v_bfrev_b32_e32 v23, 60
	v_lshlrev_b32_e32 v22, 20, v22
	v_and_b32_e32 v18, 0x80000000, v18
	v_lshl_add_u32 v14, v14, 23, v23
	v_or3_b32 v22, v18, v14, v22
.LBB599_421:
	s_or_b64 exec, exec, s[10:11]
.LBB599_422:
	s_or_b64 exec, exec, s[8:9]
.LBB599_423:
	s_or_b64 exec, exec, s[2:3]
	v_cmp_ne_u16_sdwa s[8:9], v15, v21 src0_sel:BYTE_0 src1_sel:DWORD
	s_and_saveexec_b64 s[2:3], s[8:9]
	s_cbranch_execz .LBB599_429
; %bb.424:
	s_movk_i32 s7, 0x80
	v_cmp_ne_u16_sdwa s[10:11], v15, s7 src0_sel:BYTE_0 src1_sel:DWORD
	v_bfrev_b32_e32 v21, 1
	s_and_saveexec_b64 s[8:9], s[10:11]
	s_cbranch_execz .LBB599_428
; %bb.425:
	s_movk_i32 s7, 0x7f
	v_and_b32_e32 v14, 0x7f, v15
	v_cmp_ne_u32_e32 vcc, s7, v14
	v_mov_b32_e32 v21, 0x7f800001
	s_and_saveexec_b64 s[10:11], vcc
	s_cbranch_execz .LBB599_427
; %bb.426:
	v_and_b32_e32 v21, 7, v15
	v_ffbh_u32_e32 v24, v21
	v_min_u32_e32 v26, 32, v24
	v_mov_b32_e32 v18, v15
	v_subrev_u32_e32 v24, 28, v26
	v_lshlrev_b64 v[24:25], v24, v[18:19]
	v_lshrrev_b32_e32 v23, 3, v14
	v_sub_u32_e32 v18, 29, v26
	v_and_b32_e32 v24, 7, v24
	v_cmp_gt_u32_e32 vcc, 8, v14
	v_cndmask_b32_e32 v14, v23, v18, vcc
	v_cndmask_b32_e32 v18, v21, v24, vcc
	v_lshlrev_b32_e32 v21, 24, v15
	v_bfrev_b32_e32 v23, 60
	v_lshlrev_b32_e32 v18, 20, v18
	v_and_b32_e32 v21, 0x80000000, v21
	v_lshl_add_u32 v14, v14, 23, v23
	v_or3_b32 v21, v21, v14, v18
.LBB599_427:
	s_or_b64 exec, exec, s[10:11]
.LBB599_428:
	s_or_b64 exec, exec, s[8:9]
.LBB599_429:
	s_or_b64 exec, exec, s[2:3]
	v_lshrrev_b16_e32 v14, 8, v15
	v_cmp_ne_u16_e32 vcc, 0, v14
	v_mov_b32_e32 v18, 0
	v_mov_b32_e32 v24, 0
	s_and_saveexec_b64 s[2:3], vcc
	s_cbranch_execz .LBB599_435
; %bb.430:
	s_movk_i32 s7, 0x80
	v_cmp_ne_u16_e32 vcc, s7, v14
	v_bfrev_b32_e32 v24, 1
	s_and_saveexec_b64 s[8:9], vcc
	s_cbranch_execz .LBB599_434
; %bb.431:
	s_movk_i32 s7, 0x7f
	v_and_b32_e32 v23, 0x7f, v14
	v_cmp_ne_u32_e32 vcc, s7, v23
	v_mov_b32_e32 v24, 0x7f800001
	s_and_saveexec_b64 s[10:11], vcc
	s_cbranch_execz .LBB599_433
; %bb.432:
	v_and_b32_e32 v26, 7, v14
	v_ffbh_u32_e32 v24, v26
	v_min_u32_e32 v29, 32, v24
	v_subrev_u32_e32 v24, 28, v29
	v_lshlrev_b64 v[24:25], v24, v[14:15]
	v_lshrrev_b32_e32 v27, 3, v23
	v_sub_u32_e32 v14, 29, v29
	v_and_b32_e32 v24, 7, v24
	v_cmp_gt_u32_e32 vcc, 8, v23
	v_cndmask_b32_e32 v14, v27, v14, vcc
	v_cndmask_b32_e32 v23, v26, v24, vcc
	v_lshlrev_b32_e32 v24, 16, v15
	v_bfrev_b32_e32 v25, 60
	v_lshlrev_b32_e32 v23, 20, v23
	v_and_b32_e32 v24, 0x80000000, v24
	v_lshl_add_u32 v14, v14, 23, v25
	v_or3_b32 v24, v24, v14, v23
.LBB599_433:
	s_or_b64 exec, exec, s[10:11]
.LBB599_434:
	s_or_b64 exec, exec, s[8:9]
.LBB599_435:
	s_or_b64 exec, exec, s[2:3]
	s_movk_i32 s2, 0xff
	v_and_b32_sdwa v23, v15, s2 dst_sel:DWORD dst_unused:UNUSED_PAD src0_sel:WORD_1 src1_sel:DWORD
	v_lshrrev_b32_e32 v14, 16, v15
	v_cmp_ne_u16_e32 vcc, 0, v23
	s_and_saveexec_b64 s[2:3], vcc
	s_cbranch_execz .LBB599_441
; %bb.436:
	s_movk_i32 s7, 0x80
	v_cmp_ne_u16_e32 vcc, s7, v23
	v_bfrev_b32_e32 v18, 1
	s_and_saveexec_b64 s[8:9], vcc
	s_cbranch_execz .LBB599_440
; %bb.437:
	v_bfe_u32 v23, v15, 16, 7
	s_movk_i32 s7, 0x7f
	v_cmp_ne_u32_e32 vcc, s7, v23
	v_mov_b32_e32 v18, 0x7f800001
	s_and_saveexec_b64 s[10:11], vcc
	s_cbranch_execz .LBB599_439
; %bb.438:
	v_and_b32_e32 v18, 7, v14
	v_ffbh_u32_e32 v26, v18
	v_min_u32_e32 v29, 32, v26
	v_subrev_u32_e32 v26, 28, v29
	v_lshlrev_b64 v[26:27], v26, v[14:15]
	v_lshrrev_b32_e32 v25, 3, v23
	v_sub_u32_e32 v14, 29, v29
	v_and_b32_e32 v26, 7, v26
	v_cmp_gt_u32_e32 vcc, 8, v23
	v_mov_b32_e32 v23, 24
	v_cndmask_b32_e32 v14, v25, v14, vcc
	v_cndmask_b32_e32 v18, v18, v26, vcc
	v_lshlrev_b32_sdwa v23, v23, v15 dst_sel:DWORD dst_unused:UNUSED_PAD src0_sel:DWORD src1_sel:WORD_1
	v_bfrev_b32_e32 v25, 60
	v_lshlrev_b32_e32 v18, 20, v18
	v_and_b32_e32 v23, 0x80000000, v23
	v_lshl_add_u32 v14, v14, 23, v25
	v_or3_b32 v18, v23, v14, v18
.LBB599_439:
	s_or_b64 exec, exec, s[10:11]
.LBB599_440:
	s_or_b64 exec, exec, s[8:9]
.LBB599_441:
	s_or_b64 exec, exec, s[2:3]
	s_mov_b32 s2, 0xffffff
	v_cmp_lt_u32_e32 vcc, s2, v15
	v_mov_b32_e32 v23, 0
	v_mov_b32_e32 v25, 0
	s_and_saveexec_b64 s[2:3], vcc
	s_cbranch_execz .LBB599_447
; %bb.442:
	v_lshrrev_b32_e32 v14, 24, v15
	s_movk_i32 s7, 0x80
	v_cmp_ne_u32_e32 vcc, s7, v14
	v_bfrev_b32_e32 v25, 1
	s_and_saveexec_b64 s[8:9], vcc
	s_cbranch_execz .LBB599_446
; %bb.443:
	v_bfe_u32 v15, v15, 24, 7
	s_movk_i32 s7, 0x7f
	v_cmp_ne_u32_e32 vcc, s7, v15
	v_mov_b32_e32 v25, 0x7f800001
	s_and_saveexec_b64 s[10:11], vcc
	s_cbranch_execz .LBB599_445
; %bb.444:
	v_and_b32_e32 v25, 7, v14
	v_ffbh_u32_e32 v26, v25
	v_min_u32_e32 v30, 32, v26
	v_subrev_u32_e32 v26, 28, v30
	v_lshlrev_b64 v[26:27], v26, v[14:15]
	v_lshrrev_b32_e32 v29, 3, v15
	v_sub_u32_e32 v27, 29, v30
	v_and_b32_e32 v26, 7, v26
	v_cmp_gt_u32_e32 vcc, 8, v15
	v_cndmask_b32_e32 v15, v29, v27, vcc
	v_cndmask_b32_e32 v25, v25, v26, vcc
	v_lshlrev_b32_e32 v14, 24, v14
	v_bfrev_b32_e32 v26, 60
	v_lshlrev_b32_e32 v25, 20, v25
	v_and_b32_e32 v14, 0x80000000, v14
	v_lshl_add_u32 v15, v15, 23, v26
	v_or3_b32 v25, v14, v15, v25
.LBB599_445:
	s_or_b64 exec, exec, s[10:11]
.LBB599_446:
	s_or_b64 exec, exec, s[8:9]
.LBB599_447:
	s_or_b64 exec, exec, s[2:3]
	v_cvt_pkrtz_f16_f32 v15, v19, v22
	v_lshl_or_b32 v22, v1, 9, v48
	v_cvt_pkrtz_f16_f32 v14, v32, v20
	ds_read_b128 v[30:33], v22
	v_cmp_ne_u16_sdwa s[8:9], v16, v23 src0_sel:BYTE_0 src1_sel:DWORD
	s_waitcnt lgkmcnt(0)
	v_mfma_f32_16x16x16f16 v[34:37], v[14:15], v[30:31], 0
	v_cvt_pkrtz_f16_f32 v14, v21, v24
	v_cvt_pkrtz_f16_f32 v15, v18, v25
	s_nop 1
	v_mfma_f32_16x16x16f16 v[18:21], v[14:15], v[32:33], v[34:37]
	s_and_saveexec_b64 s[2:3], s[8:9]
	s_cbranch_execz .LBB599_453
; %bb.448:
	s_movk_i32 s7, 0x80
	v_cmp_ne_u16_sdwa s[10:11], v16, s7 src0_sel:BYTE_0 src1_sel:DWORD
	v_bfrev_b32_e32 v23, 1
	s_and_saveexec_b64 s[8:9], s[10:11]
	s_cbranch_execz .LBB599_452
; %bb.449:
	s_movk_i32 s7, 0x7f
	v_and_b32_e32 v14, 0x7f, v16
	v_cmp_ne_u32_e32 vcc, s7, v14
	v_mov_b32_e32 v23, 0x7f800001
	s_and_saveexec_b64 s[10:11], vcc
	s_cbranch_execz .LBB599_451
; %bb.450:
	v_and_b32_e32 v15, 7, v16
	v_ffbh_u32_e32 v24, v15
	v_min_u32_e32 v26, 32, v24
	v_subrev_u32_e32 v24, 28, v26
	v_lshlrev_b64 v[24:25], v24, v[16:17]
	v_lshrrev_b32_e32 v23, 3, v14
	v_sub_u32_e32 v25, 29, v26
	v_and_b32_e32 v24, 7, v24
	v_cmp_gt_u32_e32 vcc, 8, v14
	v_cndmask_b32_e32 v14, v23, v25, vcc
	v_cndmask_b32_e32 v15, v15, v24, vcc
	v_lshlrev_b32_e32 v23, 24, v16
	v_bfrev_b32_e32 v24, 60
	v_lshlrev_b32_e32 v15, 20, v15
	v_and_b32_e32 v23, 0x80000000, v23
	v_lshl_add_u32 v14, v14, 23, v24
	v_or3_b32 v23, v23, v14, v15
.LBB599_451:
	s_or_b64 exec, exec, s[10:11]
.LBB599_452:
	s_or_b64 exec, exec, s[8:9]
.LBB599_453:
	s_or_b64 exec, exec, s[2:3]
	v_lshrrev_b16_e32 v14, 8, v16
	v_cmp_ne_u16_e32 vcc, 0, v14
	v_mov_b32_e32 v15, 0
	v_mov_b32_e32 v25, 0
	s_and_saveexec_b64 s[2:3], vcc
	s_cbranch_execz .LBB599_459
; %bb.454:
	s_movk_i32 s7, 0x80
	v_cmp_ne_u16_e32 vcc, s7, v14
	v_bfrev_b32_e32 v25, 1
	s_and_saveexec_b64 s[8:9], vcc
	s_cbranch_execz .LBB599_458
; %bb.455:
	s_movk_i32 s7, 0x7f
	v_and_b32_e32 v24, 0x7f, v14
	v_cmp_ne_u32_e32 vcc, s7, v24
	v_mov_b32_e32 v25, 0x7f800001
	s_and_saveexec_b64 s[10:11], vcc
	s_cbranch_execz .LBB599_457
; %bb.456:
	v_and_b32_e32 v25, 7, v14
	v_ffbh_u32_e32 v26, v25
	v_min_u32_e32 v30, 32, v26
	v_subrev_u32_e32 v26, 28, v30
	v_lshlrev_b64 v[26:27], v26, v[14:15]
	v_lshrrev_b32_e32 v29, 3, v24
	v_sub_u32_e32 v14, 29, v30
	v_and_b32_e32 v26, 7, v26
	v_cmp_gt_u32_e32 vcc, 8, v24
	v_cndmask_b32_e32 v14, v29, v14, vcc
	v_cndmask_b32_e32 v24, v25, v26, vcc
	v_lshlrev_b32_e32 v25, 16, v16
	v_bfrev_b32_e32 v26, 60
	v_lshlrev_b32_e32 v24, 20, v24
	v_and_b32_e32 v25, 0x80000000, v25
	v_lshl_add_u32 v14, v14, 23, v26
	v_or3_b32 v25, v25, v14, v24
.LBB599_457:
	s_or_b64 exec, exec, s[10:11]
.LBB599_458:
	s_or_b64 exec, exec, s[8:9]
.LBB599_459:
	s_or_b64 exec, exec, s[2:3]
	s_movk_i32 s2, 0xff
	v_and_b32_sdwa v24, v16, s2 dst_sel:DWORD dst_unused:UNUSED_PAD src0_sel:WORD_1 src1_sel:DWORD
	v_lshrrev_b32_e32 v14, 16, v16
	v_cmp_ne_u16_e32 vcc, 0, v24
	s_and_saveexec_b64 s[2:3], vcc
	s_cbranch_execz .LBB599_465
; %bb.460:
	s_movk_i32 s7, 0x80
	v_cmp_ne_u16_e32 vcc, s7, v24
	v_bfrev_b32_e32 v15, 1
	s_and_saveexec_b64 s[8:9], vcc
	s_cbranch_execz .LBB599_464
; %bb.461:
	v_bfe_u32 v24, v16, 16, 7
	s_movk_i32 s7, 0x7f
	v_cmp_ne_u32_e32 vcc, s7, v24
	v_mov_b32_e32 v15, 0x7f800001
	s_and_saveexec_b64 s[10:11], vcc
	s_cbranch_execz .LBB599_463
; %bb.462:
	v_and_b32_e32 v26, 7, v14
	v_ffbh_u32_e32 v15, v26
	v_min_u32_e32 v29, 32, v15
	v_subrev_u32_e32 v15, 28, v29
	v_lshlrev_b64 v[14:15], v15, v[14:15]
	v_lshrrev_b32_e32 v27, 3, v24
	v_sub_u32_e32 v15, 29, v29
	v_and_b32_e32 v14, 7, v14
	v_cmp_gt_u32_e32 vcc, 8, v24
	v_mov_b32_e32 v24, 24
	v_cndmask_b32_e32 v15, v27, v15, vcc
	v_cndmask_b32_e32 v14, v26, v14, vcc
	v_lshlrev_b32_sdwa v24, v24, v16 dst_sel:DWORD dst_unused:UNUSED_PAD src0_sel:DWORD src1_sel:WORD_1
	v_bfrev_b32_e32 v26, 60
	v_lshlrev_b32_e32 v14, 20, v14
	v_and_b32_e32 v24, 0x80000000, v24
	v_lshl_add_u32 v15, v15, 23, v26
	v_or3_b32 v15, v24, v15, v14
.LBB599_463:
	s_or_b64 exec, exec, s[10:11]
.LBB599_464:
	s_or_b64 exec, exec, s[8:9]
.LBB599_465:
	s_or_b64 exec, exec, s[2:3]
	s_mov_b32 s2, 0xffffff
	v_cmp_lt_u32_e32 vcc, s2, v16
	v_mov_b32_e32 v26, 0
	v_mov_b32_e32 v27, 0
	s_and_saveexec_b64 s[2:3], vcc
	s_cbranch_execz .LBB599_471
; %bb.466:
	v_lshrrev_b32_e32 v14, 24, v16
	s_movk_i32 s7, 0x80
	v_cmp_ne_u32_e32 vcc, s7, v14
	v_bfrev_b32_e32 v27, 1
	s_and_saveexec_b64 s[8:9], vcc
	s_cbranch_execz .LBB599_470
; %bb.467:
	v_bfe_u32 v16, v16, 24, 7
	s_movk_i32 s7, 0x7f
	v_cmp_ne_u32_e32 vcc, s7, v16
	v_mov_b32_e32 v27, 0x7f800001
	s_and_saveexec_b64 s[10:11], vcc
	s_cbranch_execz .LBB599_469
; %bb.468:
	v_and_b32_e32 v24, 7, v14
	v_ffbh_u32_e32 v29, v24
	v_min_u32_e32 v29, 32, v29
	v_subrev_u32_e32 v30, 28, v29
	v_lshlrev_b64 v[30:31], v30, v[14:15]
	v_lshrrev_b32_e32 v27, 3, v16
	v_sub_u32_e32 v29, 29, v29
	v_and_b32_e32 v30, 7, v30
	v_cmp_gt_u32_e32 vcc, 8, v16
	v_cndmask_b32_e32 v16, v27, v29, vcc
	v_cndmask_b32_e32 v24, v24, v30, vcc
	v_lshlrev_b32_e32 v14, 24, v14
	v_bfrev_b32_e32 v27, 60
	v_lshlrev_b32_e32 v24, 20, v24
	v_and_b32_e32 v14, 0x80000000, v14
	v_lshl_add_u32 v16, v16, 23, v27
	v_or3_b32 v27, v14, v16, v24
.LBB599_469:
	s_or_b64 exec, exec, s[10:11]
.LBB599_470:
	s_or_b64 exec, exec, s[8:9]
.LBB599_471:
	s_or_b64 exec, exec, s[2:3]
	v_cmp_ne_u16_sdwa s[8:9], v17, v26 src0_sel:BYTE_0 src1_sel:DWORD
	s_and_saveexec_b64 s[2:3], s[8:9]
	s_cbranch_execz .LBB599_477
; %bb.472:
	s_movk_i32 s7, 0x80
	v_cmp_ne_u16_sdwa s[10:11], v17, s7 src0_sel:BYTE_0 src1_sel:DWORD
	v_bfrev_b32_e32 v26, 1
	s_and_saveexec_b64 s[8:9], s[10:11]
	s_cbranch_execz .LBB599_476
; %bb.473:
	s_movk_i32 s7, 0x7f
	v_and_b32_e32 v14, 0x7f, v17
	v_cmp_ne_u32_e32 vcc, s7, v14
	v_mov_b32_e32 v26, 0x7f800001
	s_and_saveexec_b64 s[10:11], vcc
	s_cbranch_execz .LBB599_475
; %bb.474:
	v_and_b32_e32 v24, 7, v17
	v_ffbh_u32_e32 v29, v24
	v_min_u32_e32 v29, 32, v29
	v_mov_b32_e32 v16, v17
	v_subrev_u32_e32 v30, 28, v29
	v_lshlrev_b64 v[30:31], v30, v[16:17]
	v_lshrrev_b32_e32 v26, 3, v14
	v_sub_u32_e32 v16, 29, v29
	v_and_b32_e32 v29, 7, v30
	v_cmp_gt_u32_e32 vcc, 8, v14
	v_cndmask_b32_e32 v14, v26, v16, vcc
	v_cndmask_b32_e32 v16, v24, v29, vcc
	v_lshlrev_b32_e32 v24, 24, v17
	v_bfrev_b32_e32 v26, 60
	v_lshlrev_b32_e32 v16, 20, v16
	v_and_b32_e32 v24, 0x80000000, v24
	v_lshl_add_u32 v14, v14, 23, v26
	v_or3_b32 v26, v24, v14, v16
.LBB599_475:
	s_or_b64 exec, exec, s[10:11]
.LBB599_476:
	s_or_b64 exec, exec, s[8:9]
.LBB599_477:
	s_or_b64 exec, exec, s[2:3]
	v_lshrrev_b16_e32 v14, 8, v17
	v_cmp_ne_u16_e32 vcc, 0, v14
	v_mov_b32_e32 v16, 0
	v_mov_b32_e32 v29, 0
	s_and_saveexec_b64 s[2:3], vcc
	s_cbranch_execz .LBB599_483
; %bb.478:
	s_movk_i32 s7, 0x80
	v_cmp_ne_u16_e32 vcc, s7, v14
	v_bfrev_b32_e32 v29, 1
	s_and_saveexec_b64 s[8:9], vcc
	s_cbranch_execz .LBB599_482
; %bb.479:
	s_movk_i32 s7, 0x7f
	v_and_b32_e32 v24, 0x7f, v14
	v_cmp_ne_u32_e32 vcc, s7, v24
	v_mov_b32_e32 v29, 0x7f800001
	s_and_saveexec_b64 s[10:11], vcc
	s_cbranch_execz .LBB599_481
; %bb.480:
	v_and_b32_e32 v29, 7, v14
	v_ffbh_u32_e32 v30, v29
	v_min_u32_e32 v33, 32, v30
	v_subrev_u32_e32 v30, 28, v33
	v_lshlrev_b64 v[30:31], v30, v[14:15]
	v_lshrrev_b32_e32 v32, 3, v24
	v_sub_u32_e32 v14, 29, v33
	v_and_b32_e32 v30, 7, v30
	v_cmp_gt_u32_e32 vcc, 8, v24
	v_cndmask_b32_e32 v14, v32, v14, vcc
	v_cndmask_b32_e32 v24, v29, v30, vcc
	v_lshlrev_b32_e32 v29, 16, v17
	v_bfrev_b32_e32 v30, 60
	v_lshlrev_b32_e32 v24, 20, v24
	v_and_b32_e32 v29, 0x80000000, v29
	v_lshl_add_u32 v14, v14, 23, v30
	v_or3_b32 v29, v29, v14, v24
.LBB599_481:
	s_or_b64 exec, exec, s[10:11]
.LBB599_482:
	s_or_b64 exec, exec, s[8:9]
.LBB599_483:
	s_or_b64 exec, exec, s[2:3]
	s_movk_i32 s2, 0xff
	v_and_b32_sdwa v24, v17, s2 dst_sel:DWORD dst_unused:UNUSED_PAD src0_sel:WORD_1 src1_sel:DWORD
	v_lshrrev_b32_e32 v14, 16, v17
	v_cmp_ne_u16_e32 vcc, 0, v24
	s_and_saveexec_b64 s[2:3], vcc
	s_cbranch_execz .LBB599_489
; %bb.484:
	s_movk_i32 s7, 0x80
	v_cmp_ne_u16_e32 vcc, s7, v24
	v_bfrev_b32_e32 v16, 1
	s_and_saveexec_b64 s[8:9], vcc
	s_cbranch_execz .LBB599_488
; %bb.485:
	v_bfe_u32 v24, v17, 16, 7
	s_movk_i32 s7, 0x7f
	v_cmp_ne_u32_e32 vcc, s7, v24
	v_mov_b32_e32 v16, 0x7f800001
	s_and_saveexec_b64 s[10:11], vcc
	s_cbranch_execz .LBB599_487
; %bb.486:
	v_and_b32_e32 v16, 7, v14
	v_ffbh_u32_e32 v30, v16
	v_min_u32_e32 v33, 32, v30
	v_subrev_u32_e32 v30, 28, v33
	v_lshlrev_b64 v[30:31], v30, v[14:15]
	v_lshrrev_b32_e32 v32, 3, v24
	v_sub_u32_e32 v14, 29, v33
	v_and_b32_e32 v30, 7, v30
	v_cmp_gt_u32_e32 vcc, 8, v24
	v_mov_b32_e32 v24, 24
	v_cndmask_b32_e32 v14, v32, v14, vcc
	v_cndmask_b32_e32 v16, v16, v30, vcc
	v_lshlrev_b32_sdwa v24, v24, v17 dst_sel:DWORD dst_unused:UNUSED_PAD src0_sel:DWORD src1_sel:WORD_1
	v_bfrev_b32_e32 v30, 60
	v_lshlrev_b32_e32 v16, 20, v16
	v_and_b32_e32 v24, 0x80000000, v24
	v_lshl_add_u32 v14, v14, 23, v30
	v_or3_b32 v16, v24, v14, v16
.LBB599_487:
	s_or_b64 exec, exec, s[10:11]
.LBB599_488:
	s_or_b64 exec, exec, s[8:9]
.LBB599_489:
	s_or_b64 exec, exec, s[2:3]
	s_mov_b32 s2, 0xffffff
	v_cmp_lt_u32_e32 vcc, s2, v17
	v_mov_b32_e32 v24, 0
	v_mov_b32_e32 v30, 0
	s_and_saveexec_b64 s[2:3], vcc
	s_cbranch_execz .LBB599_495
; %bb.490:
	v_lshrrev_b32_e32 v14, 24, v17
	s_movk_i32 s7, 0x80
	v_cmp_ne_u32_e32 vcc, s7, v14
	v_bfrev_b32_e32 v30, 1
	s_and_saveexec_b64 s[8:9], vcc
	s_cbranch_execz .LBB599_494
; %bb.491:
	v_bfe_u32 v17, v17, 24, 7
	s_movk_i32 s7, 0x7f
	v_cmp_ne_u32_e32 vcc, s7, v17
	v_mov_b32_e32 v30, 0x7f800001
	s_and_saveexec_b64 s[10:11], vcc
	s_cbranch_execz .LBB599_493
; %bb.492:
	v_and_b32_e32 v32, 7, v14
	v_ffbh_u32_e32 v30, v32
	v_min_u32_e32 v34, 32, v30
	v_subrev_u32_e32 v30, 28, v34
	v_lshlrev_b64 v[30:31], v30, v[14:15]
	v_lshrrev_b32_e32 v33, 3, v17
	v_sub_u32_e32 v31, 29, v34
	v_and_b32_e32 v30, 7, v30
	v_cmp_gt_u32_e32 vcc, 8, v17
	v_cndmask_b32_e32 v17, v33, v31, vcc
	v_cndmask_b32_e32 v30, v32, v30, vcc
	v_lshlrev_b32_e32 v14, 24, v14
	v_bfrev_b32_e32 v31, 60
	v_lshlrev_b32_e32 v30, 20, v30
	v_and_b32_e32 v14, 0x80000000, v14
	v_lshl_add_u32 v17, v17, 23, v31
	v_or3_b32 v30, v14, v17, v30
.LBB599_493:
	s_or_b64 exec, exec, s[10:11]
.LBB599_494:
	s_or_b64 exec, exec, s[8:9]
.LBB599_495:
	s_or_b64 exec, exec, s[2:3]
	v_cvt_pkrtz_f16_f32 v14, v23, v25
	v_cvt_pkrtz_f16_f32 v15, v15, v27
	ds_read_b128 v[32:35], v22 offset:16
	s_waitcnt vmcnt(2)
	v_cmp_ne_u16_sdwa s[8:9], v10, v24 src0_sel:BYTE_0 src1_sel:DWORD
	s_waitcnt lgkmcnt(0)
	v_mfma_f32_16x16x16f16 v[18:21], v[14:15], v[32:33], v[18:21]
	v_cvt_pkrtz_f16_f32 v14, v26, v29
	v_cvt_pkrtz_f16_f32 v15, v16, v30
	s_nop 1
	v_mfma_f32_16x16x16f16 v[14:17], v[14:15], v[34:35], v[18:21]
	s_and_saveexec_b64 s[2:3], s[8:9]
	s_cbranch_execz .LBB599_501
; %bb.496:
	s_movk_i32 s7, 0x80
	v_cmp_ne_u16_sdwa s[10:11], v10, s7 src0_sel:BYTE_0 src1_sel:DWORD
	v_bfrev_b32_e32 v24, 1
	s_and_saveexec_b64 s[8:9], s[10:11]
	s_cbranch_execz .LBB599_500
; %bb.497:
	s_movk_i32 s7, 0x7f
	v_and_b32_e32 v18, 0x7f, v10
	v_cmp_ne_u32_e32 vcc, s7, v18
	v_mov_b32_e32 v24, 0x7f800001
	s_and_saveexec_b64 s[10:11], vcc
	s_cbranch_execz .LBB599_499
; %bb.498:
	v_and_b32_e32 v19, 7, v10
	v_ffbh_u32_e32 v20, v19
	v_min_u32_e32 v24, 32, v20
	v_subrev_u32_e32 v20, 28, v24
	v_lshlrev_b64 v[20:21], v20, v[10:11]
	v_lshrrev_b32_e32 v23, 3, v18
	v_sub_u32_e32 v21, 29, v24
	v_and_b32_e32 v20, 7, v20
	v_cmp_gt_u32_e32 vcc, 8, v18
	v_cndmask_b32_e32 v18, v23, v21, vcc
	v_cndmask_b32_e32 v19, v19, v20, vcc
	v_lshlrev_b32_e32 v20, 24, v10
	v_bfrev_b32_e32 v21, 60
	v_lshlrev_b32_e32 v19, 20, v19
	v_and_b32_e32 v20, 0x80000000, v20
	v_lshl_add_u32 v18, v18, 23, v21
	v_or3_b32 v24, v20, v18, v19
.LBB599_499:
	s_or_b64 exec, exec, s[10:11]
.LBB599_500:
	s_or_b64 exec, exec, s[8:9]
.LBB599_501:
	s_or_b64 exec, exec, s[2:3]
	s_nop 3
	v_lshrrev_b16_e32 v18, 8, v10
	v_cmp_ne_u16_e32 vcc, 0, v18
	v_mov_b32_e32 v19, 0
	v_mov_b32_e32 v20, 0
	s_and_saveexec_b64 s[2:3], vcc
	s_cbranch_execz .LBB599_507
; %bb.502:
	s_movk_i32 s7, 0x80
	v_cmp_ne_u16_e32 vcc, s7, v18
	v_bfrev_b32_e32 v20, 1
	s_and_saveexec_b64 s[8:9], vcc
	s_cbranch_execz .LBB599_506
; %bb.503:
	s_movk_i32 s7, 0x7f
	v_and_b32_e32 v21, 0x7f, v18
	v_cmp_ne_u32_e32 vcc, s7, v21
	v_mov_b32_e32 v20, 0x7f800001
	s_and_saveexec_b64 s[10:11], vcc
	s_cbranch_execz .LBB599_505
; %bb.504:
	v_and_b32_e32 v20, 7, v18
	v_ffbh_u32_e32 v25, v20
	v_min_u32_e32 v25, 32, v25
	v_subrev_u32_e32 v26, 28, v25
	v_lshlrev_b64 v[26:27], v26, v[18:19]
	v_lshrrev_b32_e32 v23, 3, v21
	v_sub_u32_e32 v18, 29, v25
	v_and_b32_e32 v25, 7, v26
	v_cmp_gt_u32_e32 vcc, 8, v21
	v_cndmask_b32_e32 v18, v23, v18, vcc
	v_cndmask_b32_e32 v20, v20, v25, vcc
	v_lshlrev_b32_e32 v21, 16, v10
	v_bfrev_b32_e32 v23, 60
	v_lshlrev_b32_e32 v20, 20, v20
	v_and_b32_e32 v21, 0x80000000, v21
	v_lshl_add_u32 v18, v18, 23, v23
	v_or3_b32 v20, v21, v18, v20
.LBB599_505:
	s_or_b64 exec, exec, s[10:11]
.LBB599_506:
	s_or_b64 exec, exec, s[8:9]
.LBB599_507:
	s_or_b64 exec, exec, s[2:3]
	s_movk_i32 s2, 0xff
	v_and_b32_sdwa v21, v10, s2 dst_sel:DWORD dst_unused:UNUSED_PAD src0_sel:WORD_1 src1_sel:DWORD
	v_lshrrev_b32_e32 v18, 16, v10
	v_cmp_ne_u16_e32 vcc, 0, v21
	s_and_saveexec_b64 s[2:3], vcc
	s_cbranch_execz .LBB599_513
; %bb.508:
	s_movk_i32 s7, 0x80
	v_cmp_ne_u16_e32 vcc, s7, v21
	v_bfrev_b32_e32 v19, 1
	s_and_saveexec_b64 s[8:9], vcc
	s_cbranch_execz .LBB599_512
; %bb.509:
	v_bfe_u32 v21, v10, 16, 7
	s_movk_i32 s7, 0x7f
	v_cmp_ne_u32_e32 vcc, s7, v21
	v_mov_b32_e32 v19, 0x7f800001
	s_and_saveexec_b64 s[10:11], vcc
	s_cbranch_execz .LBB599_511
; %bb.510:
	v_and_b32_e32 v23, 7, v18
	v_ffbh_u32_e32 v19, v23
	v_min_u32_e32 v26, 32, v19
	v_subrev_u32_e32 v19, 28, v26
	v_lshlrev_b64 v[18:19], v19, v[18:19]
	v_lshrrev_b32_e32 v25, 3, v21
	v_sub_u32_e32 v19, 29, v26
	v_and_b32_e32 v18, 7, v18
	v_cmp_gt_u32_e32 vcc, 8, v21
	v_mov_b32_e32 v21, 24
	v_cndmask_b32_e32 v19, v25, v19, vcc
	v_cndmask_b32_e32 v18, v23, v18, vcc
	v_lshlrev_b32_sdwa v21, v21, v10 dst_sel:DWORD dst_unused:UNUSED_PAD src0_sel:DWORD src1_sel:WORD_1
	v_bfrev_b32_e32 v23, 60
	v_lshlrev_b32_e32 v18, 20, v18
	v_and_b32_e32 v21, 0x80000000, v21
	v_lshl_add_u32 v19, v19, 23, v23
	v_or3_b32 v19, v21, v19, v18
.LBB599_511:
	s_or_b64 exec, exec, s[10:11]
.LBB599_512:
	s_or_b64 exec, exec, s[8:9]
.LBB599_513:
	s_or_b64 exec, exec, s[2:3]
	s_mov_b32 s2, 0xffffff
	v_cmp_lt_u32_e32 vcc, s2, v10
	v_mov_b32_e32 v21, 0
	v_mov_b32_e32 v23, 0
	s_and_saveexec_b64 s[2:3], vcc
	s_cbranch_execz .LBB599_519
; %bb.514:
	v_lshrrev_b32_e32 v18, 24, v10
	s_movk_i32 s7, 0x80
	v_cmp_ne_u32_e32 vcc, s7, v18
	v_bfrev_b32_e32 v23, 1
	s_and_saveexec_b64 s[8:9], vcc
	s_cbranch_execz .LBB599_518
; %bb.515:
	v_bfe_u32 v10, v10, 24, 7
	s_movk_i32 s7, 0x7f
	v_cmp_ne_u32_e32 vcc, s7, v10
	v_mov_b32_e32 v23, 0x7f800001
	s_and_saveexec_b64 s[10:11], vcc
	s_cbranch_execz .LBB599_517
; %bb.516:
	v_and_b32_e32 v23, 7, v18
	v_ffbh_u32_e32 v26, v23
	v_min_u32_e32 v29, 32, v26
	v_subrev_u32_e32 v26, 28, v29
	v_lshlrev_b64 v[26:27], v26, v[18:19]
	v_lshrrev_b32_e32 v25, 3, v10
	v_sub_u32_e32 v27, 29, v29
	v_and_b32_e32 v26, 7, v26
	v_cmp_gt_u32_e32 vcc, 8, v10
	v_cndmask_b32_e32 v10, v25, v27, vcc
	v_cndmask_b32_e32 v23, v23, v26, vcc
	v_lshlrev_b32_e32 v18, 24, v18
	v_bfrev_b32_e32 v25, 60
	v_lshlrev_b32_e32 v23, 20, v23
	v_and_b32_e32 v18, 0x80000000, v18
	v_lshl_add_u32 v10, v10, 23, v25
	v_or3_b32 v23, v18, v10, v23
.LBB599_517:
	s_or_b64 exec, exec, s[10:11]
.LBB599_518:
	s_or_b64 exec, exec, s[8:9]
.LBB599_519:
	s_or_b64 exec, exec, s[2:3]
	v_cmp_ne_u16_sdwa s[8:9], v11, v21 src0_sel:BYTE_0 src1_sel:DWORD
	s_and_saveexec_b64 s[2:3], s[8:9]
	s_cbranch_execz .LBB599_525
; %bb.520:
	s_movk_i32 s7, 0x80
	v_cmp_ne_u16_sdwa s[10:11], v11, s7 src0_sel:BYTE_0 src1_sel:DWORD
	v_bfrev_b32_e32 v21, 1
	s_and_saveexec_b64 s[8:9], s[10:11]
	s_cbranch_execz .LBB599_524
; %bb.521:
	s_movk_i32 s7, 0x7f
	v_and_b32_e32 v10, 0x7f, v11
	v_cmp_ne_u32_e32 vcc, s7, v10
	v_mov_b32_e32 v21, 0x7f800001
	s_and_saveexec_b64 s[10:11], vcc
	s_cbranch_execz .LBB599_523
; %bb.522:
	v_and_b32_e32 v21, 7, v11
	v_ffbh_u32_e32 v26, v21
	v_min_u32_e32 v29, 32, v26
	v_mov_b32_e32 v18, v11
	v_subrev_u32_e32 v26, 28, v29
	v_lshlrev_b64 v[26:27], v26, v[18:19]
	v_lshrrev_b32_e32 v25, 3, v10
	v_sub_u32_e32 v18, 29, v29
	v_and_b32_e32 v26, 7, v26
	v_cmp_gt_u32_e32 vcc, 8, v10
	v_cndmask_b32_e32 v10, v25, v18, vcc
	v_cndmask_b32_e32 v18, v21, v26, vcc
	v_lshlrev_b32_e32 v21, 24, v11
	v_bfrev_b32_e32 v25, 60
	v_lshlrev_b32_e32 v18, 20, v18
	v_and_b32_e32 v21, 0x80000000, v21
	v_lshl_add_u32 v10, v10, 23, v25
	v_or3_b32 v21, v21, v10, v18
.LBB599_523:
	s_or_b64 exec, exec, s[10:11]
.LBB599_524:
	s_or_b64 exec, exec, s[8:9]
.LBB599_525:
	s_or_b64 exec, exec, s[2:3]
	v_lshrrev_b16_e32 v10, 8, v11
	v_cmp_ne_u16_e32 vcc, 0, v10
	v_mov_b32_e32 v25, 0
	v_mov_b32_e32 v26, 0
	s_and_saveexec_b64 s[2:3], vcc
	s_cbranch_execz .LBB599_531
; %bb.526:
	s_movk_i32 s7, 0x80
	v_cmp_ne_u16_e32 vcc, s7, v10
	v_bfrev_b32_e32 v26, 1
	s_and_saveexec_b64 s[8:9], vcc
	s_cbranch_execz .LBB599_530
; %bb.527:
	s_movk_i32 s7, 0x7f
	v_and_b32_e32 v18, 0x7f, v10
	v_cmp_ne_u32_e32 vcc, s7, v18
	v_mov_b32_e32 v26, 0x7f800001
	s_and_saveexec_b64 s[10:11], vcc
	s_cbranch_execz .LBB599_529
; %bb.528:
	v_and_b32_e32 v29, 7, v10
	v_ffbh_u32_e32 v26, v29
	v_min_u32_e32 v31, 32, v26
	v_subrev_u32_e32 v26, 28, v31
	v_lshlrev_b64 v[26:27], v26, v[10:11]
	v_lshrrev_b32_e32 v30, 3, v18
	v_sub_u32_e32 v10, 29, v31
	v_and_b32_e32 v26, 7, v26
	v_cmp_gt_u32_e32 vcc, 8, v18
	v_cndmask_b32_e32 v10, v30, v10, vcc
	v_cndmask_b32_e32 v18, v29, v26, vcc
	v_lshlrev_b32_e32 v26, 16, v11
	v_bfrev_b32_e32 v27, 60
	v_lshlrev_b32_e32 v18, 20, v18
	v_and_b32_e32 v26, 0x80000000, v26
	v_lshl_add_u32 v10, v10, 23, v27
	v_or3_b32 v26, v26, v10, v18
.LBB599_529:
	s_or_b64 exec, exec, s[10:11]
.LBB599_530:
	s_or_b64 exec, exec, s[8:9]
.LBB599_531:
	s_or_b64 exec, exec, s[2:3]
	s_movk_i32 s2, 0xff
	v_and_b32_sdwa v18, v11, s2 dst_sel:DWORD dst_unused:UNUSED_PAD src0_sel:WORD_1 src1_sel:DWORD
	v_lshrrev_b32_e32 v10, 16, v11
	v_cmp_ne_u16_e32 vcc, 0, v18
	s_and_saveexec_b64 s[2:3], vcc
	s_cbranch_execz .LBB599_537
; %bb.532:
	s_movk_i32 s7, 0x80
	v_cmp_ne_u16_e32 vcc, s7, v18
	v_bfrev_b32_e32 v25, 1
	s_and_saveexec_b64 s[8:9], vcc
	s_cbranch_execz .LBB599_536
; %bb.533:
	v_bfe_u32 v18, v11, 16, 7
	s_movk_i32 s7, 0x7f
	v_cmp_ne_u32_e32 vcc, s7, v18
	v_mov_b32_e32 v25, 0x7f800001
	s_and_saveexec_b64 s[10:11], vcc
	s_cbranch_execz .LBB599_535
; %bb.534:
	v_and_b32_e32 v25, 7, v10
	v_ffbh_u32_e32 v29, v25
	v_min_u32_e32 v29, 32, v29
	v_subrev_u32_e32 v30, 28, v29
	v_lshlrev_b64 v[30:31], v30, v[10:11]
	v_sub_u32_e32 v10, 29, v29
	v_and_b32_e32 v29, 7, v30
	v_cmp_gt_u32_e32 vcc, 8, v18
	v_lshrrev_b32_e32 v27, 3, v18
	v_cndmask_b32_e32 v18, v25, v29, vcc
	v_mov_b32_e32 v25, 24
	v_cndmask_b32_e32 v10, v27, v10, vcc
	v_lshlrev_b32_sdwa v25, v25, v11 dst_sel:DWORD dst_unused:UNUSED_PAD src0_sel:DWORD src1_sel:WORD_1
	v_bfrev_b32_e32 v27, 60
	v_lshlrev_b32_e32 v18, 20, v18
	v_and_b32_e32 v25, 0x80000000, v25
	v_lshl_add_u32 v10, v10, 23, v27
	v_or3_b32 v25, v25, v10, v18
.LBB599_535:
	s_or_b64 exec, exec, s[10:11]
.LBB599_536:
	s_or_b64 exec, exec, s[8:9]
.LBB599_537:
	s_or_b64 exec, exec, s[2:3]
	s_mov_b32 s2, 0xffffff
	v_cmp_lt_u32_e32 vcc, s2, v11
	v_mov_b32_e32 v18, 0
	v_mov_b32_e32 v27, 0
	s_and_saveexec_b64 s[2:3], vcc
	s_cbranch_execz .LBB599_543
; %bb.538:
	v_lshrrev_b32_e32 v10, 24, v11
	s_movk_i32 s7, 0x80
	v_cmp_ne_u32_e32 vcc, s7, v10
	v_bfrev_b32_e32 v27, 1
	s_and_saveexec_b64 s[8:9], vcc
	s_cbranch_execz .LBB599_542
; %bb.539:
	v_bfe_u32 v11, v11, 24, 7
	s_movk_i32 s7, 0x7f
	v_cmp_ne_u32_e32 vcc, s7, v11
	v_mov_b32_e32 v27, 0x7f800001
	s_and_saveexec_b64 s[10:11], vcc
	s_cbranch_execz .LBB599_541
; %bb.540:
	v_and_b32_e32 v27, 7, v10
	v_ffbh_u32_e32 v30, v27
	v_min_u32_e32 v32, 32, v30
	v_subrev_u32_e32 v30, 28, v32
	v_lshlrev_b64 v[30:31], v30, v[10:11]
	v_lshrrev_b32_e32 v29, 3, v11
	v_sub_u32_e32 v31, 29, v32
	v_and_b32_e32 v30, 7, v30
	v_cmp_gt_u32_e32 vcc, 8, v11
	v_cndmask_b32_e32 v11, v29, v31, vcc
	v_cndmask_b32_e32 v27, v27, v30, vcc
	v_lshlrev_b32_e32 v10, 24, v10
	v_bfrev_b32_e32 v29, 60
	v_lshlrev_b32_e32 v27, 20, v27
	v_and_b32_e32 v10, 0x80000000, v10
	v_lshl_add_u32 v11, v11, 23, v29
	v_or3_b32 v27, v10, v11, v27
.LBB599_541:
	s_or_b64 exec, exec, s[10:11]
.LBB599_542:
	s_or_b64 exec, exec, s[8:9]
.LBB599_543:
	s_or_b64 exec, exec, s[2:3]
	v_cvt_pkrtz_f16_f32 v10, v24, v20
	v_cvt_pkrtz_f16_f32 v11, v19, v23
	ds_read_b128 v[30:33], v22 offset:2048
	v_cmp_ne_u16_sdwa s[8:9], v12, v18 src0_sel:BYTE_0 src1_sel:DWORD
	s_waitcnt lgkmcnt(0)
	v_mfma_f32_16x16x16f16 v[14:17], v[10:11], v[30:31], v[14:17]
	v_cvt_pkrtz_f16_f32 v10, v21, v26
	v_cvt_pkrtz_f16_f32 v11, v25, v27
	s_nop 1
	v_mfma_f32_16x16x16f16 v[14:17], v[10:11], v[32:33], v[14:17]
	s_and_saveexec_b64 s[2:3], s[8:9]
	s_cbranch_execz .LBB599_549
; %bb.544:
	s_movk_i32 s7, 0x80
	v_cmp_ne_u16_sdwa s[10:11], v12, s7 src0_sel:BYTE_0 src1_sel:DWORD
	v_bfrev_b32_e32 v18, 1
	s_and_saveexec_b64 s[8:9], s[10:11]
	s_cbranch_execz .LBB599_548
; %bb.545:
	s_movk_i32 s7, 0x7f
	v_and_b32_e32 v10, 0x7f, v12
	v_cmp_ne_u32_e32 vcc, s7, v10
	v_mov_b32_e32 v18, 0x7f800001
	s_and_saveexec_b64 s[10:11], vcc
	s_cbranch_execz .LBB599_547
; %bb.546:
	v_and_b32_e32 v11, 7, v12
	v_ffbh_u32_e32 v18, v11
	v_min_u32_e32 v21, 32, v18
	v_subrev_u32_e32 v18, 28, v21
	v_lshlrev_b64 v[18:19], v18, v[12:13]
	v_lshrrev_b32_e32 v20, 3, v10
	v_sub_u32_e32 v19, 29, v21
	v_and_b32_e32 v18, 7, v18
	v_cmp_gt_u32_e32 vcc, 8, v10
	v_cndmask_b32_e32 v10, v20, v19, vcc
	v_cndmask_b32_e32 v11, v11, v18, vcc
	v_lshlrev_b32_e32 v18, 24, v12
	v_bfrev_b32_e32 v19, 60
	v_lshlrev_b32_e32 v11, 20, v11
	v_and_b32_e32 v18, 0x80000000, v18
	v_lshl_add_u32 v10, v10, 23, v19
	v_or3_b32 v18, v18, v10, v11
.LBB599_547:
	s_or_b64 exec, exec, s[10:11]
.LBB599_548:
	s_or_b64 exec, exec, s[8:9]
.LBB599_549:
	s_or_b64 exec, exec, s[2:3]
	v_lshrrev_b16_e32 v10, 8, v12
	v_cmp_ne_u16_e32 vcc, 0, v10
	v_mov_b32_e32 v11, 0
	v_mov_b32_e32 v20, 0
	s_and_saveexec_b64 s[2:3], vcc
	s_cbranch_execz .LBB599_555
; %bb.550:
	s_movk_i32 s7, 0x80
	v_cmp_ne_u16_e32 vcc, s7, v10
	v_bfrev_b32_e32 v20, 1
	s_and_saveexec_b64 s[8:9], vcc
	s_cbranch_execz .LBB599_554
; %bb.551:
	s_movk_i32 s7, 0x7f
	v_and_b32_e32 v19, 0x7f, v10
	v_cmp_ne_u32_e32 vcc, s7, v19
	v_mov_b32_e32 v20, 0x7f800001
	s_and_saveexec_b64 s[10:11], vcc
	s_cbranch_execz .LBB599_553
; %bb.552:
	v_and_b32_e32 v23, 7, v10
	v_ffbh_u32_e32 v20, v23
	v_min_u32_e32 v25, 32, v20
	v_subrev_u32_e32 v20, 28, v25
	v_lshlrev_b64 v[20:21], v20, v[10:11]
	v_lshrrev_b32_e32 v24, 3, v19
	v_sub_u32_e32 v10, 29, v25
	v_and_b32_e32 v20, 7, v20
	v_cmp_gt_u32_e32 vcc, 8, v19
	v_cndmask_b32_e32 v10, v24, v10, vcc
	v_cndmask_b32_e32 v19, v23, v20, vcc
	v_lshlrev_b32_e32 v20, 16, v12
	v_bfrev_b32_e32 v21, 60
	v_lshlrev_b32_e32 v19, 20, v19
	v_and_b32_e32 v20, 0x80000000, v20
	v_lshl_add_u32 v10, v10, 23, v21
	v_or3_b32 v20, v20, v10, v19
.LBB599_553:
	s_or_b64 exec, exec, s[10:11]
.LBB599_554:
	s_or_b64 exec, exec, s[8:9]
.LBB599_555:
	s_or_b64 exec, exec, s[2:3]
	s_movk_i32 s2, 0xff
	v_and_b32_sdwa v19, v12, s2 dst_sel:DWORD dst_unused:UNUSED_PAD src0_sel:WORD_1 src1_sel:DWORD
	v_lshrrev_b32_e32 v10, 16, v12
	v_cmp_ne_u16_e32 vcc, 0, v19
	s_and_saveexec_b64 s[2:3], vcc
	s_cbranch_execz .LBB599_561
; %bb.556:
	s_movk_i32 s7, 0x80
	v_cmp_ne_u16_e32 vcc, s7, v19
	v_bfrev_b32_e32 v11, 1
	s_and_saveexec_b64 s[8:9], vcc
	s_cbranch_execz .LBB599_560
; %bb.557:
	v_bfe_u32 v19, v12, 16, 7
	s_movk_i32 s7, 0x7f
	v_cmp_ne_u32_e32 vcc, s7, v19
	v_mov_b32_e32 v11, 0x7f800001
	s_and_saveexec_b64 s[10:11], vcc
	s_cbranch_execz .LBB599_559
; %bb.558:
	v_and_b32_e32 v21, 7, v10
	v_ffbh_u32_e32 v11, v21
	v_min_u32_e32 v24, 32, v11
	v_subrev_u32_e32 v11, 28, v24
	v_lshlrev_b64 v[10:11], v11, v[10:11]
	v_lshrrev_b32_e32 v23, 3, v19
	v_sub_u32_e32 v11, 29, v24
	v_and_b32_e32 v10, 7, v10
	v_cmp_gt_u32_e32 vcc, 8, v19
	v_mov_b32_e32 v19, 24
	v_cndmask_b32_e32 v11, v23, v11, vcc
	v_cndmask_b32_e32 v10, v21, v10, vcc
	v_lshlrev_b32_sdwa v19, v19, v12 dst_sel:DWORD dst_unused:UNUSED_PAD src0_sel:DWORD src1_sel:WORD_1
	v_bfrev_b32_e32 v21, 60
	v_lshlrev_b32_e32 v10, 20, v10
	v_and_b32_e32 v19, 0x80000000, v19
	v_lshl_add_u32 v11, v11, 23, v21
	v_or3_b32 v11, v19, v11, v10
.LBB599_559:
	s_or_b64 exec, exec, s[10:11]
.LBB599_560:
	s_or_b64 exec, exec, s[8:9]
.LBB599_561:
	s_or_b64 exec, exec, s[2:3]
	s_mov_b32 s2, 0xffffff
	v_cmp_lt_u32_e32 vcc, s2, v12
	v_mov_b32_e32 v21, 0
	v_mov_b32_e32 v23, 0
	s_and_saveexec_b64 s[2:3], vcc
	s_cbranch_execz .LBB599_567
; %bb.562:
	v_lshrrev_b32_e32 v10, 24, v12
	s_movk_i32 s7, 0x80
	v_cmp_ne_u32_e32 vcc, s7, v10
	v_bfrev_b32_e32 v23, 1
	s_and_saveexec_b64 s[8:9], vcc
	s_cbranch_execz .LBB599_566
; %bb.563:
	v_bfe_u32 v12, v12, 24, 7
	s_movk_i32 s7, 0x7f
	v_cmp_ne_u32_e32 vcc, s7, v12
	v_mov_b32_e32 v23, 0x7f800001
	s_and_saveexec_b64 s[10:11], vcc
	s_cbranch_execz .LBB599_565
; %bb.564:
	v_and_b32_e32 v19, 7, v10
	v_ffbh_u32_e32 v24, v19
	v_min_u32_e32 v26, 32, v24
	v_subrev_u32_e32 v24, 28, v26
	v_lshlrev_b64 v[24:25], v24, v[10:11]
	v_lshrrev_b32_e32 v23, 3, v12
	v_sub_u32_e32 v25, 29, v26
	v_and_b32_e32 v24, 7, v24
	v_cmp_gt_u32_e32 vcc, 8, v12
	v_cndmask_b32_e32 v12, v23, v25, vcc
	v_cndmask_b32_e32 v19, v19, v24, vcc
	v_lshlrev_b32_e32 v10, 24, v10
	v_bfrev_b32_e32 v23, 60
	v_lshlrev_b32_e32 v19, 20, v19
	v_and_b32_e32 v10, 0x80000000, v10
	v_lshl_add_u32 v12, v12, 23, v23
	v_or3_b32 v23, v10, v12, v19
.LBB599_565:
	s_or_b64 exec, exec, s[10:11]
.LBB599_566:
	s_or_b64 exec, exec, s[8:9]
.LBB599_567:
	s_or_b64 exec, exec, s[2:3]
	v_cmp_ne_u16_sdwa s[8:9], v13, v21 src0_sel:BYTE_0 src1_sel:DWORD
	s_and_saveexec_b64 s[2:3], s[8:9]
	s_cbranch_execz .LBB599_573
; %bb.568:
	s_movk_i32 s7, 0x80
	v_cmp_ne_u16_sdwa s[10:11], v13, s7 src0_sel:BYTE_0 src1_sel:DWORD
	v_bfrev_b32_e32 v21, 1
	s_and_saveexec_b64 s[8:9], s[10:11]
	s_cbranch_execz .LBB599_572
; %bb.569:
	s_movk_i32 s7, 0x7f
	v_and_b32_e32 v10, 0x7f, v13
	v_cmp_ne_u32_e32 vcc, s7, v10
	v_mov_b32_e32 v21, 0x7f800001
	s_and_saveexec_b64 s[10:11], vcc
	s_cbranch_execz .LBB599_571
; %bb.570:
	v_and_b32_e32 v19, 7, v13
	v_ffbh_u32_e32 v24, v19
	v_min_u32_e32 v26, 32, v24
	v_mov_b32_e32 v12, v13
	v_subrev_u32_e32 v24, 28, v26
	v_lshlrev_b64 v[24:25], v24, v[12:13]
	v_lshrrev_b32_e32 v21, 3, v10
	v_sub_u32_e32 v12, 29, v26
	v_and_b32_e32 v24, 7, v24
	v_cmp_gt_u32_e32 vcc, 8, v10
	v_cndmask_b32_e32 v10, v21, v12, vcc
	v_cndmask_b32_e32 v12, v19, v24, vcc
	v_lshlrev_b32_e32 v19, 24, v13
	v_bfrev_b32_e32 v21, 60
	v_lshlrev_b32_e32 v12, 20, v12
	v_and_b32_e32 v19, 0x80000000, v19
	v_lshl_add_u32 v10, v10, 23, v21
	v_or3_b32 v21, v19, v10, v12
.LBB599_571:
	s_or_b64 exec, exec, s[10:11]
.LBB599_572:
	s_or_b64 exec, exec, s[8:9]
.LBB599_573:
	s_or_b64 exec, exec, s[2:3]
	v_lshrrev_b16_e32 v10, 8, v13
	v_cmp_ne_u16_e32 vcc, 0, v10
	v_mov_b32_e32 v12, 0
	v_mov_b32_e32 v24, 0
	s_and_saveexec_b64 s[2:3], vcc
	s_cbranch_execz .LBB599_579
; %bb.574:
	s_movk_i32 s7, 0x80
	v_cmp_ne_u16_e32 vcc, s7, v10
	v_bfrev_b32_e32 v24, 1
	s_and_saveexec_b64 s[8:9], vcc
	s_cbranch_execz .LBB599_578
; %bb.575:
	s_movk_i32 s7, 0x7f
	v_and_b32_e32 v19, 0x7f, v10
	v_cmp_ne_u32_e32 vcc, s7, v19
	v_mov_b32_e32 v24, 0x7f800001
	s_and_saveexec_b64 s[10:11], vcc
	s_cbranch_execz .LBB599_577
; %bb.576:
	v_and_b32_e32 v26, 7, v10
	v_ffbh_u32_e32 v24, v26
	v_min_u32_e32 v29, 32, v24
	v_subrev_u32_e32 v24, 28, v29
	v_lshlrev_b64 v[24:25], v24, v[10:11]
	v_lshrrev_b32_e32 v27, 3, v19
	v_sub_u32_e32 v10, 29, v29
	v_and_b32_e32 v24, 7, v24
	v_cmp_gt_u32_e32 vcc, 8, v19
	v_cndmask_b32_e32 v10, v27, v10, vcc
	v_cndmask_b32_e32 v19, v26, v24, vcc
	v_lshlrev_b32_e32 v24, 16, v13
	v_bfrev_b32_e32 v25, 60
	v_lshlrev_b32_e32 v19, 20, v19
	v_and_b32_e32 v24, 0x80000000, v24
	v_lshl_add_u32 v10, v10, 23, v25
	v_or3_b32 v24, v24, v10, v19
.LBB599_577:
	s_or_b64 exec, exec, s[10:11]
.LBB599_578:
	s_or_b64 exec, exec, s[8:9]
.LBB599_579:
	s_or_b64 exec, exec, s[2:3]
	s_movk_i32 s2, 0xff
	v_and_b32_sdwa v19, v13, s2 dst_sel:DWORD dst_unused:UNUSED_PAD src0_sel:WORD_1 src1_sel:DWORD
	v_lshrrev_b32_e32 v10, 16, v13
	v_cmp_ne_u16_e32 vcc, 0, v19
	s_and_saveexec_b64 s[2:3], vcc
	s_cbranch_execz .LBB599_585
; %bb.580:
	s_movk_i32 s7, 0x80
	v_cmp_ne_u16_e32 vcc, s7, v19
	v_bfrev_b32_e32 v12, 1
	s_and_saveexec_b64 s[8:9], vcc
	s_cbranch_execz .LBB599_584
; %bb.581:
	v_bfe_u32 v19, v13, 16, 7
	s_movk_i32 s7, 0x7f
	v_cmp_ne_u32_e32 vcc, s7, v19
	v_mov_b32_e32 v12, 0x7f800001
	s_and_saveexec_b64 s[10:11], vcc
	s_cbranch_execz .LBB599_583
; %bb.582:
	v_and_b32_e32 v12, 7, v10
	v_ffbh_u32_e32 v26, v12
	v_min_u32_e32 v29, 32, v26
	v_subrev_u32_e32 v26, 28, v29
	v_lshlrev_b64 v[26:27], v26, v[10:11]
	v_lshrrev_b32_e32 v25, 3, v19
	v_sub_u32_e32 v10, 29, v29
	v_and_b32_e32 v26, 7, v26
	v_cmp_gt_u32_e32 vcc, 8, v19
	v_mov_b32_e32 v19, 24
	v_cndmask_b32_e32 v10, v25, v10, vcc
	v_cndmask_b32_e32 v12, v12, v26, vcc
	v_lshlrev_b32_sdwa v19, v19, v13 dst_sel:DWORD dst_unused:UNUSED_PAD src0_sel:DWORD src1_sel:WORD_1
	v_bfrev_b32_e32 v25, 60
	v_lshlrev_b32_e32 v12, 20, v12
	v_and_b32_e32 v19, 0x80000000, v19
	v_lshl_add_u32 v10, v10, 23, v25
	v_or3_b32 v12, v19, v10, v12
.LBB599_583:
	s_or_b64 exec, exec, s[10:11]
.LBB599_584:
	s_or_b64 exec, exec, s[8:9]
.LBB599_585:
	s_or_b64 exec, exec, s[2:3]
	s_mov_b32 s2, 0xffffff
	v_cmp_lt_u32_e32 vcc, s2, v13
	v_mov_b32_e32 v19, 0
	v_mov_b32_e32 v25, 0
	s_and_saveexec_b64 s[2:3], vcc
	s_cbranch_execz .LBB599_591
; %bb.586:
	v_lshrrev_b32_e32 v10, 24, v13
	s_movk_i32 s7, 0x80
	v_cmp_ne_u32_e32 vcc, s7, v10
	v_bfrev_b32_e32 v25, 1
	s_and_saveexec_b64 s[8:9], vcc
	s_cbranch_execz .LBB599_590
; %bb.587:
	v_bfe_u32 v13, v13, 24, 7
	s_movk_i32 s7, 0x7f
	v_cmp_ne_u32_e32 vcc, s7, v13
	v_mov_b32_e32 v25, 0x7f800001
	s_and_saveexec_b64 s[10:11], vcc
	s_cbranch_execz .LBB599_589
; %bb.588:
	v_and_b32_e32 v25, 7, v10
	v_ffbh_u32_e32 v26, v25
	v_min_u32_e32 v30, 32, v26
	v_subrev_u32_e32 v26, 28, v30
	v_lshlrev_b64 v[26:27], v26, v[10:11]
	v_lshrrev_b32_e32 v29, 3, v13
	v_sub_u32_e32 v27, 29, v30
	v_and_b32_e32 v26, 7, v26
	v_cmp_gt_u32_e32 vcc, 8, v13
	v_cndmask_b32_e32 v13, v29, v27, vcc
	v_cndmask_b32_e32 v25, v25, v26, vcc
	v_lshlrev_b32_e32 v10, 24, v10
	v_bfrev_b32_e32 v26, 60
	v_lshlrev_b32_e32 v25, 20, v25
	v_and_b32_e32 v10, 0x80000000, v10
	v_lshl_add_u32 v13, v13, 23, v26
	v_or3_b32 v25, v10, v13, v25
.LBB599_589:
	s_or_b64 exec, exec, s[10:11]
.LBB599_590:
	s_or_b64 exec, exec, s[8:9]
.LBB599_591:
	s_or_b64 exec, exec, s[2:3]
	v_cvt_pkrtz_f16_f32 v10, v18, v20
	v_cvt_pkrtz_f16_f32 v11, v11, v23
	ds_read_b128 v[30:33], v22 offset:2064
	s_waitcnt vmcnt(1)
	v_cmp_ne_u16_sdwa s[8:9], v6, v19 src0_sel:BYTE_0 src1_sel:DWORD
	s_waitcnt lgkmcnt(0)
	v_mfma_f32_16x16x16f16 v[14:17], v[10:11], v[30:31], v[14:17]
	v_cvt_pkrtz_f16_f32 v10, v21, v24
	v_cvt_pkrtz_f16_f32 v11, v12, v25
	s_nop 1
	v_mfma_f32_16x16x16f16 v[10:13], v[10:11], v[32:33], v[14:17]
	s_and_saveexec_b64 s[2:3], s[8:9]
	s_cbranch_execz .LBB599_597
; %bb.592:
	s_movk_i32 s7, 0x80
	v_cmp_ne_u16_sdwa s[10:11], v6, s7 src0_sel:BYTE_0 src1_sel:DWORD
	v_bfrev_b32_e32 v19, 1
	s_and_saveexec_b64 s[8:9], s[10:11]
	s_cbranch_execz .LBB599_596
; %bb.593:
	s_movk_i32 s7, 0x7f
	v_and_b32_e32 v14, 0x7f, v6
	v_cmp_ne_u32_e32 vcc, s7, v14
	v_mov_b32_e32 v19, 0x7f800001
	s_and_saveexec_b64 s[10:11], vcc
	s_cbranch_execz .LBB599_595
; %bb.594:
	v_and_b32_e32 v15, 7, v6
	v_ffbh_u32_e32 v16, v15
	v_min_u32_e32 v19, 32, v16
	v_subrev_u32_e32 v16, 28, v19
	v_lshlrev_b64 v[16:17], v16, v[6:7]
	v_lshrrev_b32_e32 v18, 3, v14
	v_sub_u32_e32 v17, 29, v19
	v_and_b32_e32 v16, 7, v16
	v_cmp_gt_u32_e32 vcc, 8, v14
	v_cndmask_b32_e32 v14, v18, v17, vcc
	v_cndmask_b32_e32 v15, v15, v16, vcc
	v_lshlrev_b32_e32 v16, 24, v6
	v_bfrev_b32_e32 v17, 60
	v_lshlrev_b32_e32 v15, 20, v15
	v_and_b32_e32 v16, 0x80000000, v16
	v_lshl_add_u32 v14, v14, 23, v17
	v_or3_b32 v19, v16, v14, v15
.LBB599_595:
	s_or_b64 exec, exec, s[10:11]
.LBB599_596:
	s_or_b64 exec, exec, s[8:9]
.LBB599_597:
	s_or_b64 exec, exec, s[2:3]
	s_nop 3
	v_lshrrev_b16_e32 v14, 8, v6
	v_cmp_ne_u16_e32 vcc, 0, v14
	v_mov_b32_e32 v15, 0
	v_mov_b32_e32 v16, 0
	s_and_saveexec_b64 s[2:3], vcc
	s_cbranch_execz .LBB599_603
; %bb.598:
	s_movk_i32 s7, 0x80
	v_cmp_ne_u16_e32 vcc, s7, v14
	v_bfrev_b32_e32 v16, 1
	s_and_saveexec_b64 s[8:9], vcc
	s_cbranch_execz .LBB599_602
; %bb.599:
	s_movk_i32 s7, 0x7f
	v_and_b32_e32 v17, 0x7f, v14
	v_cmp_ne_u32_e32 vcc, s7, v17
	v_mov_b32_e32 v16, 0x7f800001
	s_and_saveexec_b64 s[10:11], vcc
	s_cbranch_execz .LBB599_601
; %bb.600:
	v_and_b32_e32 v16, 7, v14
	v_ffbh_u32_e32 v20, v16
	v_min_u32_e32 v23, 32, v20
	v_subrev_u32_e32 v20, 28, v23
	v_lshlrev_b64 v[20:21], v20, v[14:15]
	v_lshrrev_b32_e32 v18, 3, v17
	v_sub_u32_e32 v14, 29, v23
	v_and_b32_e32 v20, 7, v20
	v_cmp_gt_u32_e32 vcc, 8, v17
	v_cndmask_b32_e32 v14, v18, v14, vcc
	v_cndmask_b32_e32 v16, v16, v20, vcc
	v_lshlrev_b32_e32 v17, 16, v6
	v_bfrev_b32_e32 v18, 60
	v_lshlrev_b32_e32 v16, 20, v16
	v_and_b32_e32 v17, 0x80000000, v17
	v_lshl_add_u32 v14, v14, 23, v18
	v_or3_b32 v16, v17, v14, v16
.LBB599_601:
	s_or_b64 exec, exec, s[10:11]
.LBB599_602:
	s_or_b64 exec, exec, s[8:9]
.LBB599_603:
	s_or_b64 exec, exec, s[2:3]
	s_movk_i32 s2, 0xff
	v_and_b32_sdwa v17, v6, s2 dst_sel:DWORD dst_unused:UNUSED_PAD src0_sel:WORD_1 src1_sel:DWORD
	v_lshrrev_b32_e32 v14, 16, v6
	v_cmp_ne_u16_e32 vcc, 0, v17
	s_and_saveexec_b64 s[2:3], vcc
	s_cbranch_execz .LBB599_609
; %bb.604:
	s_movk_i32 s7, 0x80
	v_cmp_ne_u16_e32 vcc, s7, v17
	v_bfrev_b32_e32 v15, 1
	s_and_saveexec_b64 s[8:9], vcc
	s_cbranch_execz .LBB599_608
; %bb.605:
	v_bfe_u32 v17, v6, 16, 7
	s_movk_i32 s7, 0x7f
	v_cmp_ne_u32_e32 vcc, s7, v17
	v_mov_b32_e32 v15, 0x7f800001
	s_and_saveexec_b64 s[10:11], vcc
	s_cbranch_execz .LBB599_607
; %bb.606:
	v_and_b32_e32 v18, 7, v14
	v_ffbh_u32_e32 v15, v18
	v_min_u32_e32 v21, 32, v15
	v_subrev_u32_e32 v15, 28, v21
	v_lshlrev_b64 v[14:15], v15, v[14:15]
	v_lshrrev_b32_e32 v20, 3, v17
	v_sub_u32_e32 v15, 29, v21
	v_and_b32_e32 v14, 7, v14
	v_cmp_gt_u32_e32 vcc, 8, v17
	v_mov_b32_e32 v17, 24
	v_cndmask_b32_e32 v15, v20, v15, vcc
	v_cndmask_b32_e32 v14, v18, v14, vcc
	v_lshlrev_b32_sdwa v17, v17, v6 dst_sel:DWORD dst_unused:UNUSED_PAD src0_sel:DWORD src1_sel:WORD_1
	v_bfrev_b32_e32 v18, 60
	v_lshlrev_b32_e32 v14, 20, v14
	v_and_b32_e32 v17, 0x80000000, v17
	v_lshl_add_u32 v15, v15, 23, v18
	v_or3_b32 v15, v17, v15, v14
.LBB599_607:
	s_or_b64 exec, exec, s[10:11]
.LBB599_608:
	s_or_b64 exec, exec, s[8:9]
.LBB599_609:
	s_or_b64 exec, exec, s[2:3]
	s_mov_b32 s2, 0xffffff
	v_cmp_lt_u32_e32 vcc, s2, v6
	v_mov_b32_e32 v17, 0
	v_mov_b32_e32 v18, 0
	s_and_saveexec_b64 s[2:3], vcc
	s_cbranch_execz .LBB599_615
; %bb.610:
	v_lshrrev_b32_e32 v14, 24, v6
	s_movk_i32 s7, 0x80
	v_cmp_ne_u32_e32 vcc, s7, v14
	v_bfrev_b32_e32 v18, 1
	s_and_saveexec_b64 s[8:9], vcc
	s_cbranch_execz .LBB599_614
; %bb.611:
	v_bfe_u32 v6, v6, 24, 7
	s_movk_i32 s7, 0x7f
	v_cmp_ne_u32_e32 vcc, s7, v6
	v_mov_b32_e32 v18, 0x7f800001
	s_and_saveexec_b64 s[10:11], vcc
	s_cbranch_execz .LBB599_613
; %bb.612:
	v_and_b32_e32 v18, 7, v14
	v_ffbh_u32_e32 v20, v18
	v_min_u32_e32 v24, 32, v20
	v_subrev_u32_e32 v20, 28, v24
	v_lshlrev_b64 v[20:21], v20, v[14:15]
	v_lshrrev_b32_e32 v23, 3, v6
	v_sub_u32_e32 v21, 29, v24
	v_and_b32_e32 v20, 7, v20
	v_cmp_gt_u32_e32 vcc, 8, v6
	v_cndmask_b32_e32 v6, v23, v21, vcc
	v_cndmask_b32_e32 v18, v18, v20, vcc
	v_lshlrev_b32_e32 v14, 24, v14
	v_bfrev_b32_e32 v20, 60
	v_lshlrev_b32_e32 v18, 20, v18
	v_and_b32_e32 v14, 0x80000000, v14
	v_lshl_add_u32 v6, v6, 23, v20
	v_or3_b32 v18, v14, v6, v18
.LBB599_613:
	s_or_b64 exec, exec, s[10:11]
.LBB599_614:
	s_or_b64 exec, exec, s[8:9]
.LBB599_615:
	s_or_b64 exec, exec, s[2:3]
	v_cmp_ne_u16_sdwa s[8:9], v7, v17 src0_sel:BYTE_0 src1_sel:DWORD
	s_and_saveexec_b64 s[2:3], s[8:9]
	s_cbranch_execz .LBB599_621
; %bb.616:
	s_movk_i32 s7, 0x80
	v_cmp_ne_u16_sdwa s[10:11], v7, s7 src0_sel:BYTE_0 src1_sel:DWORD
	v_bfrev_b32_e32 v17, 1
	s_and_saveexec_b64 s[8:9], s[10:11]
	s_cbranch_execz .LBB599_620
; %bb.617:
	s_movk_i32 s7, 0x7f
	v_and_b32_e32 v6, 0x7f, v7
	v_cmp_ne_u32_e32 vcc, s7, v6
	v_mov_b32_e32 v17, 0x7f800001
	s_and_saveexec_b64 s[10:11], vcc
	s_cbranch_execz .LBB599_619
; %bb.618:
	v_and_b32_e32 v17, 7, v7
	v_ffbh_u32_e32 v20, v17
	v_min_u32_e32 v24, 32, v20
	v_mov_b32_e32 v14, v7
	v_subrev_u32_e32 v20, 28, v24
	v_lshlrev_b64 v[20:21], v20, v[14:15]
	v_lshrrev_b32_e32 v23, 3, v6
	v_sub_u32_e32 v14, 29, v24
	v_and_b32_e32 v20, 7, v20
	v_cmp_gt_u32_e32 vcc, 8, v6
	v_cndmask_b32_e32 v6, v23, v14, vcc
	v_cndmask_b32_e32 v14, v17, v20, vcc
	v_lshlrev_b32_e32 v17, 24, v7
	v_bfrev_b32_e32 v20, 60
	v_lshlrev_b32_e32 v14, 20, v14
	v_and_b32_e32 v17, 0x80000000, v17
	v_lshl_add_u32 v6, v6, 23, v20
	v_or3_b32 v17, v17, v6, v14
.LBB599_619:
	s_or_b64 exec, exec, s[10:11]
.LBB599_620:
	s_or_b64 exec, exec, s[8:9]
.LBB599_621:
	s_or_b64 exec, exec, s[2:3]
	v_lshrrev_b16_e32 v6, 8, v7
	v_cmp_ne_u16_e32 vcc, 0, v6
	v_mov_b32_e32 v20, 0
	v_mov_b32_e32 v21, 0
	s_and_saveexec_b64 s[2:3], vcc
	s_cbranch_execz .LBB599_627
; %bb.622:
	s_movk_i32 s7, 0x80
	v_cmp_ne_u16_e32 vcc, s7, v6
	v_bfrev_b32_e32 v21, 1
	s_and_saveexec_b64 s[8:9], vcc
	s_cbranch_execz .LBB599_626
; %bb.623:
	s_movk_i32 s7, 0x7f
	v_and_b32_e32 v14, 0x7f, v6
	v_cmp_ne_u32_e32 vcc, s7, v14
	v_mov_b32_e32 v21, 0x7f800001
	s_and_saveexec_b64 s[10:11], vcc
	s_cbranch_execz .LBB599_625
; %bb.624:
	v_and_b32_e32 v21, 7, v6
	v_ffbh_u32_e32 v24, v21
	v_min_u32_e32 v26, 32, v24
	v_subrev_u32_e32 v24, 28, v26
	v_lshlrev_b64 v[24:25], v24, v[6:7]
	v_lshrrev_b32_e32 v23, 3, v14
	v_sub_u32_e32 v6, 29, v26
	v_and_b32_e32 v24, 7, v24
	v_cmp_gt_u32_e32 vcc, 8, v14
	v_cndmask_b32_e32 v6, v23, v6, vcc
	v_cndmask_b32_e32 v14, v21, v24, vcc
	v_lshlrev_b32_e32 v21, 16, v7
	v_bfrev_b32_e32 v23, 60
	v_lshlrev_b32_e32 v14, 20, v14
	v_and_b32_e32 v21, 0x80000000, v21
	v_lshl_add_u32 v6, v6, 23, v23
	v_or3_b32 v21, v21, v6, v14
.LBB599_625:
	s_or_b64 exec, exec, s[10:11]
.LBB599_626:
	s_or_b64 exec, exec, s[8:9]
.LBB599_627:
	s_or_b64 exec, exec, s[2:3]
	s_movk_i32 s2, 0xff
	v_and_b32_sdwa v14, v7, s2 dst_sel:DWORD dst_unused:UNUSED_PAD src0_sel:WORD_1 src1_sel:DWORD
	v_lshrrev_b32_e32 v6, 16, v7
	v_cmp_ne_u16_e32 vcc, 0, v14
	s_and_saveexec_b64 s[2:3], vcc
	s_cbranch_execz .LBB599_633
; %bb.628:
	s_movk_i32 s7, 0x80
	v_cmp_ne_u16_e32 vcc, s7, v14
	v_bfrev_b32_e32 v20, 1
	s_and_saveexec_b64 s[8:9], vcc
	s_cbranch_execz .LBB599_632
; %bb.629:
	v_bfe_u32 v14, v7, 16, 7
	s_movk_i32 s7, 0x7f
	v_cmp_ne_u32_e32 vcc, s7, v14
	v_mov_b32_e32 v20, 0x7f800001
	s_and_saveexec_b64 s[10:11], vcc
	s_cbranch_execz .LBB599_631
; %bb.630:
	v_and_b32_e32 v20, 7, v6
	v_ffbh_u32_e32 v24, v20
	v_min_u32_e32 v26, 32, v24
	v_subrev_u32_e32 v24, 28, v26
	v_lshlrev_b64 v[24:25], v24, v[6:7]
	v_and_b32_e32 v24, 7, v24
	v_cmp_gt_u32_e32 vcc, 8, v14
	v_lshrrev_b32_e32 v23, 3, v14
	v_sub_u32_e32 v6, 29, v26
	v_cndmask_b32_e32 v14, v20, v24, vcc
	v_mov_b32_e32 v20, 24
	v_cndmask_b32_e32 v6, v23, v6, vcc
	v_lshlrev_b32_sdwa v20, v20, v7 dst_sel:DWORD dst_unused:UNUSED_PAD src0_sel:DWORD src1_sel:WORD_1
	v_bfrev_b32_e32 v23, 60
	v_lshlrev_b32_e32 v14, 20, v14
	v_and_b32_e32 v20, 0x80000000, v20
	v_lshl_add_u32 v6, v6, 23, v23
	v_or3_b32 v20, v20, v6, v14
.LBB599_631:
	s_or_b64 exec, exec, s[10:11]
.LBB599_632:
	s_or_b64 exec, exec, s[8:9]
.LBB599_633:
	s_or_b64 exec, exec, s[2:3]
	s_mov_b32 s2, 0xffffff
	v_cmp_lt_u32_e32 vcc, s2, v7
	v_mov_b32_e32 v14, 0
	v_mov_b32_e32 v23, 0
	s_and_saveexec_b64 s[2:3], vcc
	s_cbranch_execz .LBB599_639
; %bb.634:
	v_lshrrev_b32_e32 v6, 24, v7
	s_movk_i32 s7, 0x80
	v_cmp_ne_u32_e32 vcc, s7, v6
	v_bfrev_b32_e32 v23, 1
	s_and_saveexec_b64 s[8:9], vcc
	s_cbranch_execz .LBB599_638
; %bb.635:
	v_bfe_u32 v7, v7, 24, 7
	s_movk_i32 s7, 0x7f
	v_cmp_ne_u32_e32 vcc, s7, v7
	v_mov_b32_e32 v23, 0x7f800001
	s_and_saveexec_b64 s[10:11], vcc
	s_cbranch_execz .LBB599_637
; %bb.636:
	v_and_b32_e32 v23, 7, v6
	v_ffbh_u32_e32 v24, v23
	v_min_u32_e32 v27, 32, v24
	v_subrev_u32_e32 v24, 28, v27
	v_lshlrev_b64 v[24:25], v24, v[6:7]
	v_lshrrev_b32_e32 v26, 3, v7
	v_sub_u32_e32 v25, 29, v27
	v_and_b32_e32 v24, 7, v24
	v_cmp_gt_u32_e32 vcc, 8, v7
	v_cndmask_b32_e32 v7, v26, v25, vcc
	v_cndmask_b32_e32 v23, v23, v24, vcc
	v_lshlrev_b32_e32 v6, 24, v6
	v_bfrev_b32_e32 v24, 60
	v_lshlrev_b32_e32 v23, 20, v23
	v_and_b32_e32 v6, 0x80000000, v6
	v_lshl_add_u32 v7, v7, 23, v24
	v_or3_b32 v23, v6, v7, v23
.LBB599_637:
	s_or_b64 exec, exec, s[10:11]
.LBB599_638:
	s_or_b64 exec, exec, s[8:9]
.LBB599_639:
	s_or_b64 exec, exec, s[2:3]
	v_cvt_pkrtz_f16_f32 v6, v19, v16
	v_cvt_pkrtz_f16_f32 v7, v15, v18
	ds_read_b128 v[24:27], v22 offset:4096
	v_cmp_ne_u16_sdwa s[8:9], v8, v14 src0_sel:BYTE_0 src1_sel:DWORD
	s_waitcnt lgkmcnt(0)
	v_mfma_f32_16x16x16f16 v[10:13], v[6:7], v[24:25], v[10:13]
	v_cvt_pkrtz_f16_f32 v6, v17, v21
	v_cvt_pkrtz_f16_f32 v7, v20, v23
	s_nop 1
	v_mfma_f32_16x16x16f16 v[10:13], v[6:7], v[26:27], v[10:13]
	s_and_saveexec_b64 s[2:3], s[8:9]
	s_cbranch_execz .LBB599_645
; %bb.640:
	s_movk_i32 s7, 0x80
	v_cmp_ne_u16_sdwa s[10:11], v8, s7 src0_sel:BYTE_0 src1_sel:DWORD
	v_bfrev_b32_e32 v14, 1
	s_and_saveexec_b64 s[8:9], s[10:11]
	s_cbranch_execz .LBB599_644
; %bb.641:
	s_movk_i32 s7, 0x7f
	v_and_b32_e32 v6, 0x7f, v8
	v_cmp_ne_u32_e32 vcc, s7, v6
	v_mov_b32_e32 v14, 0x7f800001
	s_and_saveexec_b64 s[10:11], vcc
	s_cbranch_execz .LBB599_643
; %bb.642:
	v_and_b32_e32 v7, 7, v8
	v_ffbh_u32_e32 v14, v7
	v_min_u32_e32 v17, 32, v14
	v_subrev_u32_e32 v14, 28, v17
	v_lshlrev_b64 v[14:15], v14, v[8:9]
	v_lshrrev_b32_e32 v16, 3, v6
	v_sub_u32_e32 v15, 29, v17
	v_and_b32_e32 v14, 7, v14
	v_cmp_gt_u32_e32 vcc, 8, v6
	v_cndmask_b32_e32 v6, v16, v15, vcc
	v_cndmask_b32_e32 v7, v7, v14, vcc
	v_lshlrev_b32_e32 v14, 24, v8
	v_bfrev_b32_e32 v15, 60
	v_lshlrev_b32_e32 v7, 20, v7
	v_and_b32_e32 v14, 0x80000000, v14
	v_lshl_add_u32 v6, v6, 23, v15
	v_or3_b32 v14, v14, v6, v7
.LBB599_643:
	s_or_b64 exec, exec, s[10:11]
.LBB599_644:
	s_or_b64 exec, exec, s[8:9]
.LBB599_645:
	s_or_b64 exec, exec, s[2:3]
	v_lshrrev_b16_e32 v6, 8, v8
	v_cmp_ne_u16_e32 vcc, 0, v6
	v_mov_b32_e32 v7, 0
	v_mov_b32_e32 v16, 0
	s_and_saveexec_b64 s[2:3], vcc
	s_cbranch_execz .LBB599_651
; %bb.646:
	s_movk_i32 s7, 0x80
	v_cmp_ne_u16_e32 vcc, s7, v6
	v_bfrev_b32_e32 v16, 1
	s_and_saveexec_b64 s[8:9], vcc
	s_cbranch_execz .LBB599_650
; %bb.647:
	s_movk_i32 s7, 0x7f
	v_and_b32_e32 v15, 0x7f, v6
	v_cmp_ne_u32_e32 vcc, s7, v15
	v_mov_b32_e32 v16, 0x7f800001
	s_and_saveexec_b64 s[10:11], vcc
	s_cbranch_execz .LBB599_649
; %bb.648:
	v_and_b32_e32 v18, 7, v6
	v_ffbh_u32_e32 v16, v18
	v_min_u32_e32 v20, 32, v16
	v_subrev_u32_e32 v16, 28, v20
	v_lshlrev_b64 v[16:17], v16, v[6:7]
	v_lshrrev_b32_e32 v19, 3, v15
	v_sub_u32_e32 v6, 29, v20
	v_and_b32_e32 v16, 7, v16
	v_cmp_gt_u32_e32 vcc, 8, v15
	v_cndmask_b32_e32 v6, v19, v6, vcc
	v_cndmask_b32_e32 v15, v18, v16, vcc
	v_lshlrev_b32_e32 v16, 16, v8
	v_bfrev_b32_e32 v17, 60
	v_lshlrev_b32_e32 v15, 20, v15
	v_and_b32_e32 v16, 0x80000000, v16
	v_lshl_add_u32 v6, v6, 23, v17
	v_or3_b32 v16, v16, v6, v15
.LBB599_649:
	s_or_b64 exec, exec, s[10:11]
.LBB599_650:
	s_or_b64 exec, exec, s[8:9]
.LBB599_651:
	s_or_b64 exec, exec, s[2:3]
	s_movk_i32 s2, 0xff
	v_and_b32_sdwa v15, v8, s2 dst_sel:DWORD dst_unused:UNUSED_PAD src0_sel:WORD_1 src1_sel:DWORD
	v_lshrrev_b32_e32 v6, 16, v8
	v_cmp_ne_u16_e32 vcc, 0, v15
	s_and_saveexec_b64 s[2:3], vcc
	s_cbranch_execz .LBB599_657
; %bb.652:
	s_movk_i32 s7, 0x80
	v_cmp_ne_u16_e32 vcc, s7, v15
	v_bfrev_b32_e32 v7, 1
	s_and_saveexec_b64 s[8:9], vcc
	s_cbranch_execz .LBB599_656
; %bb.653:
	v_bfe_u32 v15, v8, 16, 7
	s_movk_i32 s7, 0x7f
	v_cmp_ne_u32_e32 vcc, s7, v15
	v_mov_b32_e32 v7, 0x7f800001
	s_and_saveexec_b64 s[10:11], vcc
	s_cbranch_execz .LBB599_655
; %bb.654:
	v_and_b32_e32 v17, 7, v6
	v_ffbh_u32_e32 v7, v17
	v_min_u32_e32 v19, 32, v7
	v_subrev_u32_e32 v7, 28, v19
	v_lshlrev_b64 v[6:7], v7, v[6:7]
	v_lshrrev_b32_e32 v18, 3, v15
	v_sub_u32_e32 v7, 29, v19
	v_and_b32_e32 v6, 7, v6
	v_cmp_gt_u32_e32 vcc, 8, v15
	v_mov_b32_e32 v15, 24
	v_cndmask_b32_e32 v7, v18, v7, vcc
	v_cndmask_b32_e32 v6, v17, v6, vcc
	v_lshlrev_b32_sdwa v15, v15, v8 dst_sel:DWORD dst_unused:UNUSED_PAD src0_sel:DWORD src1_sel:WORD_1
	v_bfrev_b32_e32 v17, 60
	v_lshlrev_b32_e32 v6, 20, v6
	v_and_b32_e32 v15, 0x80000000, v15
	v_lshl_add_u32 v7, v7, 23, v17
	v_or3_b32 v7, v15, v7, v6
.LBB599_655:
	s_or_b64 exec, exec, s[10:11]
.LBB599_656:
	s_or_b64 exec, exec, s[8:9]
.LBB599_657:
	s_or_b64 exec, exec, s[2:3]
	s_mov_b32 s2, 0xffffff
	v_cmp_lt_u32_e32 vcc, s2, v8
	v_mov_b32_e32 v17, 0
	v_mov_b32_e32 v18, 0
	s_and_saveexec_b64 s[2:3], vcc
	s_cbranch_execz .LBB599_663
; %bb.658:
	v_lshrrev_b32_e32 v6, 24, v8
	s_movk_i32 s7, 0x80
	v_cmp_ne_u32_e32 vcc, s7, v6
	v_bfrev_b32_e32 v18, 1
	s_and_saveexec_b64 s[8:9], vcc
	s_cbranch_execz .LBB599_662
; %bb.659:
	v_bfe_u32 v8, v8, 24, 7
	s_movk_i32 s7, 0x7f
	v_cmp_ne_u32_e32 vcc, s7, v8
	v_mov_b32_e32 v18, 0x7f800001
	s_and_saveexec_b64 s[10:11], vcc
	s_cbranch_execz .LBB599_661
; %bb.660:
	v_and_b32_e32 v15, 7, v6
	v_ffbh_u32_e32 v18, v15
	v_min_u32_e32 v21, 32, v18
	v_subrev_u32_e32 v18, 28, v21
	v_lshlrev_b64 v[18:19], v18, v[6:7]
	v_lshrrev_b32_e32 v20, 3, v8
	v_sub_u32_e32 v19, 29, v21
	v_and_b32_e32 v18, 7, v18
	v_cmp_gt_u32_e32 vcc, 8, v8
	v_cndmask_b32_e32 v8, v20, v19, vcc
	v_cndmask_b32_e32 v15, v15, v18, vcc
	v_lshlrev_b32_e32 v6, 24, v6
	v_bfrev_b32_e32 v18, 60
	v_lshlrev_b32_e32 v15, 20, v15
	v_and_b32_e32 v6, 0x80000000, v6
	v_lshl_add_u32 v8, v8, 23, v18
	v_or3_b32 v18, v6, v8, v15
.LBB599_661:
	s_or_b64 exec, exec, s[10:11]
.LBB599_662:
	s_or_b64 exec, exec, s[8:9]
.LBB599_663:
	s_or_b64 exec, exec, s[2:3]
	v_cmp_ne_u16_sdwa s[8:9], v9, v17 src0_sel:BYTE_0 src1_sel:DWORD
	s_and_saveexec_b64 s[2:3], s[8:9]
	s_cbranch_execz .LBB599_669
; %bb.664:
	s_movk_i32 s7, 0x80
	v_cmp_ne_u16_sdwa s[10:11], v9, s7 src0_sel:BYTE_0 src1_sel:DWORD
	v_bfrev_b32_e32 v17, 1
	s_and_saveexec_b64 s[8:9], s[10:11]
	s_cbranch_execz .LBB599_668
; %bb.665:
	s_movk_i32 s7, 0x7f
	v_and_b32_e32 v6, 0x7f, v9
	v_cmp_ne_u32_e32 vcc, s7, v6
	v_mov_b32_e32 v17, 0x7f800001
	s_and_saveexec_b64 s[10:11], vcc
	s_cbranch_execz .LBB599_667
; %bb.666:
	v_and_b32_e32 v15, 7, v9
	v_ffbh_u32_e32 v19, v15
	v_min_u32_e32 v19, 32, v19
	v_mov_b32_e32 v8, v9
	v_subrev_u32_e32 v20, 28, v19
	v_lshlrev_b64 v[20:21], v20, v[8:9]
	v_lshrrev_b32_e32 v17, 3, v6
	v_sub_u32_e32 v8, 29, v19
	v_and_b32_e32 v19, 7, v20
	v_cmp_gt_u32_e32 vcc, 8, v6
	v_cndmask_b32_e32 v6, v17, v8, vcc
	v_cndmask_b32_e32 v8, v15, v19, vcc
	v_lshlrev_b32_e32 v15, 24, v9
	v_bfrev_b32_e32 v17, 60
	v_lshlrev_b32_e32 v8, 20, v8
	v_and_b32_e32 v15, 0x80000000, v15
	v_lshl_add_u32 v6, v6, 23, v17
	v_or3_b32 v17, v15, v6, v8
.LBB599_667:
	s_or_b64 exec, exec, s[10:11]
.LBB599_668:
	s_or_b64 exec, exec, s[8:9]
.LBB599_669:
	s_or_b64 exec, exec, s[2:3]
	v_lshrrev_b16_e32 v6, 8, v9
	v_cmp_ne_u16_e32 vcc, 0, v6
	v_mov_b32_e32 v8, 0
	v_mov_b32_e32 v19, 0
	s_and_saveexec_b64 s[2:3], vcc
	s_cbranch_execz .LBB599_675
; %bb.670:
	s_movk_i32 s7, 0x80
	v_cmp_ne_u16_e32 vcc, s7, v6
	v_bfrev_b32_e32 v19, 1
	s_and_saveexec_b64 s[8:9], vcc
	s_cbranch_execz .LBB599_674
; %bb.671:
	s_movk_i32 s7, 0x7f
	v_and_b32_e32 v15, 0x7f, v6
	v_cmp_ne_u32_e32 vcc, s7, v15
	v_mov_b32_e32 v19, 0x7f800001
	s_and_saveexec_b64 s[10:11], vcc
	s_cbranch_execz .LBB599_673
; %bb.672:
	v_and_b32_e32 v19, 7, v6
	v_ffbh_u32_e32 v20, v19
	v_min_u32_e32 v24, 32, v20
	v_subrev_u32_e32 v20, 28, v24
	v_lshlrev_b64 v[20:21], v20, v[6:7]
	v_lshrrev_b32_e32 v23, 3, v15
	v_sub_u32_e32 v6, 29, v24
	v_and_b32_e32 v20, 7, v20
	v_cmp_gt_u32_e32 vcc, 8, v15
	v_cndmask_b32_e32 v6, v23, v6, vcc
	v_cndmask_b32_e32 v15, v19, v20, vcc
	v_lshlrev_b32_e32 v19, 16, v9
	v_bfrev_b32_e32 v20, 60
	v_lshlrev_b32_e32 v15, 20, v15
	v_and_b32_e32 v19, 0x80000000, v19
	v_lshl_add_u32 v6, v6, 23, v20
	v_or3_b32 v19, v19, v6, v15
.LBB599_673:
	s_or_b64 exec, exec, s[10:11]
.LBB599_674:
	s_or_b64 exec, exec, s[8:9]
.LBB599_675:
	s_or_b64 exec, exec, s[2:3]
	s_movk_i32 s2, 0xff
	v_and_b32_sdwa v15, v9, s2 dst_sel:DWORD dst_unused:UNUSED_PAD src0_sel:WORD_1 src1_sel:DWORD
	v_lshrrev_b32_e32 v6, 16, v9
	v_cmp_ne_u16_e32 vcc, 0, v15
	s_and_saveexec_b64 s[2:3], vcc
	s_cbranch_execz .LBB599_681
; %bb.676:
	s_movk_i32 s7, 0x80
	v_cmp_ne_u16_e32 vcc, s7, v15
	v_bfrev_b32_e32 v8, 1
	s_and_saveexec_b64 s[8:9], vcc
	s_cbranch_execz .LBB599_680
; %bb.677:
	v_bfe_u32 v15, v9, 16, 7
	s_movk_i32 s7, 0x7f
	v_cmp_ne_u32_e32 vcc, s7, v15
	v_mov_b32_e32 v8, 0x7f800001
	s_and_saveexec_b64 s[10:11], vcc
	s_cbranch_execz .LBB599_679
; %bb.678:
	v_and_b32_e32 v8, 7, v6
	v_ffbh_u32_e32 v20, v8
	v_min_u32_e32 v24, 32, v20
	v_subrev_u32_e32 v20, 28, v24
	v_lshlrev_b64 v[20:21], v20, v[6:7]
	v_lshrrev_b32_e32 v23, 3, v15
	v_sub_u32_e32 v6, 29, v24
	v_and_b32_e32 v20, 7, v20
	v_cmp_gt_u32_e32 vcc, 8, v15
	v_mov_b32_e32 v15, 24
	v_cndmask_b32_e32 v6, v23, v6, vcc
	v_cndmask_b32_e32 v8, v8, v20, vcc
	v_lshlrev_b32_sdwa v15, v15, v9 dst_sel:DWORD dst_unused:UNUSED_PAD src0_sel:DWORD src1_sel:WORD_1
	v_bfrev_b32_e32 v20, 60
	v_lshlrev_b32_e32 v8, 20, v8
	v_and_b32_e32 v15, 0x80000000, v15
	v_lshl_add_u32 v6, v6, 23, v20
	v_or3_b32 v8, v15, v6, v8
.LBB599_679:
	s_or_b64 exec, exec, s[10:11]
.LBB599_680:
	s_or_b64 exec, exec, s[8:9]
.LBB599_681:
	s_or_b64 exec, exec, s[2:3]
	s_mov_b32 s2, 0xffffff
	v_cmp_lt_u32_e32 vcc, s2, v9
	v_mov_b32_e32 v15, 0
	v_mov_b32_e32 v20, 0
	s_and_saveexec_b64 s[2:3], vcc
	s_cbranch_execz .LBB599_687
; %bb.682:
	v_lshrrev_b32_e32 v6, 24, v9
	s_movk_i32 s7, 0x80
	v_cmp_ne_u32_e32 vcc, s7, v6
	v_bfrev_b32_e32 v20, 1
	s_and_saveexec_b64 s[8:9], vcc
	s_cbranch_execz .LBB599_686
; %bb.683:
	v_bfe_u32 v9, v9, 24, 7
	s_movk_i32 s7, 0x7f
	v_cmp_ne_u32_e32 vcc, s7, v9
	v_mov_b32_e32 v20, 0x7f800001
	s_and_saveexec_b64 s[10:11], vcc
	s_cbranch_execz .LBB599_685
; %bb.684:
	v_and_b32_e32 v23, 7, v6
	v_ffbh_u32_e32 v20, v23
	v_min_u32_e32 v25, 32, v20
	v_subrev_u32_e32 v20, 28, v25
	v_lshlrev_b64 v[20:21], v20, v[6:7]
	v_lshrrev_b32_e32 v24, 3, v9
	v_sub_u32_e32 v21, 29, v25
	v_and_b32_e32 v20, 7, v20
	v_cmp_gt_u32_e32 vcc, 8, v9
	v_cndmask_b32_e32 v9, v24, v21, vcc
	v_cndmask_b32_e32 v20, v23, v20, vcc
	v_lshlrev_b32_e32 v6, 24, v6
	v_bfrev_b32_e32 v21, 60
	v_lshlrev_b32_e32 v20, 20, v20
	v_and_b32_e32 v6, 0x80000000, v6
	v_lshl_add_u32 v9, v9, 23, v21
	v_or3_b32 v20, v6, v9, v20
.LBB599_685:
	s_or_b64 exec, exec, s[10:11]
.LBB599_686:
	s_or_b64 exec, exec, s[8:9]
.LBB599_687:
	s_or_b64 exec, exec, s[2:3]
	v_cvt_pkrtz_f16_f32 v6, v14, v16
	v_cvt_pkrtz_f16_f32 v7, v7, v18
	ds_read_b128 v[24:27], v22 offset:4112
	s_waitcnt vmcnt(0)
	v_cmp_ne_u16_sdwa s[8:9], v2, v15 src0_sel:BYTE_0 src1_sel:DWORD
	s_waitcnt lgkmcnt(0)
	v_mfma_f32_16x16x16f16 v[10:13], v[6:7], v[24:25], v[10:13]
	v_cvt_pkrtz_f16_f32 v6, v17, v19
	v_cvt_pkrtz_f16_f32 v7, v8, v20
	s_nop 1
	v_mfma_f32_16x16x16f16 v[6:9], v[6:7], v[26:27], v[10:13]
	s_and_saveexec_b64 s[2:3], s[8:9]
	s_cbranch_execz .LBB599_693
; %bb.688:
	s_movk_i32 s7, 0x80
	v_cmp_ne_u16_sdwa s[10:11], v2, s7 src0_sel:BYTE_0 src1_sel:DWORD
	v_bfrev_b32_e32 v15, 1
	s_and_saveexec_b64 s[8:9], s[10:11]
	s_cbranch_execz .LBB599_692
; %bb.689:
	s_movk_i32 s7, 0x7f
	v_and_b32_e32 v10, 0x7f, v2
	v_cmp_ne_u32_e32 vcc, s7, v10
	v_mov_b32_e32 v15, 0x7f800001
	s_and_saveexec_b64 s[10:11], vcc
	s_cbranch_execz .LBB599_691
; %bb.690:
	v_and_b32_e32 v11, 7, v2
	v_ffbh_u32_e32 v12, v11
	v_min_u32_e32 v15, 32, v12
	v_subrev_u32_e32 v12, 28, v15
	v_lshlrev_b64 v[12:13], v12, v[2:3]
	v_lshrrev_b32_e32 v14, 3, v10
	v_sub_u32_e32 v13, 29, v15
	v_and_b32_e32 v12, 7, v12
	v_cmp_gt_u32_e32 vcc, 8, v10
	v_cndmask_b32_e32 v10, v14, v13, vcc
	v_cndmask_b32_e32 v11, v11, v12, vcc
	v_lshlrev_b32_e32 v12, 24, v2
	v_bfrev_b32_e32 v13, 60
	v_lshlrev_b32_e32 v11, 20, v11
	v_and_b32_e32 v12, 0x80000000, v12
	v_lshl_add_u32 v10, v10, 23, v13
	v_or3_b32 v15, v12, v10, v11
.LBB599_691:
	s_or_b64 exec, exec, s[10:11]
.LBB599_692:
	s_or_b64 exec, exec, s[8:9]
.LBB599_693:
	s_or_b64 exec, exec, s[2:3]
	s_nop 3
	v_lshrrev_b16_e32 v10, 8, v2
	v_cmp_ne_u16_e32 vcc, 0, v10
	v_mov_b32_e32 v11, 0
	v_mov_b32_e32 v12, 0
	s_and_saveexec_b64 s[2:3], vcc
	s_cbranch_execz .LBB599_699
; %bb.694:
	s_movk_i32 s7, 0x80
	v_cmp_ne_u16_e32 vcc, s7, v10
	v_bfrev_b32_e32 v12, 1
	s_and_saveexec_b64 s[8:9], vcc
	s_cbranch_execz .LBB599_698
; %bb.695:
	s_movk_i32 s7, 0x7f
	v_and_b32_e32 v13, 0x7f, v10
	v_cmp_ne_u32_e32 vcc, s7, v13
	v_mov_b32_e32 v12, 0x7f800001
	s_and_saveexec_b64 s[10:11], vcc
	s_cbranch_execz .LBB599_697
; %bb.696:
	v_and_b32_e32 v12, 7, v10
	v_ffbh_u32_e32 v16, v12
	v_min_u32_e32 v18, 32, v16
	v_subrev_u32_e32 v16, 28, v18
	v_lshlrev_b64 v[16:17], v16, v[10:11]
	v_lshrrev_b32_e32 v14, 3, v13
	v_sub_u32_e32 v10, 29, v18
	v_and_b32_e32 v16, 7, v16
	v_cmp_gt_u32_e32 vcc, 8, v13
	v_cndmask_b32_e32 v10, v14, v10, vcc
	v_cndmask_b32_e32 v12, v12, v16, vcc
	v_lshlrev_b32_e32 v13, 16, v2
	v_bfrev_b32_e32 v14, 60
	v_lshlrev_b32_e32 v12, 20, v12
	v_and_b32_e32 v13, 0x80000000, v13
	v_lshl_add_u32 v10, v10, 23, v14
	v_or3_b32 v12, v13, v10, v12
.LBB599_697:
	s_or_b64 exec, exec, s[10:11]
.LBB599_698:
	s_or_b64 exec, exec, s[8:9]
.LBB599_699:
	s_or_b64 exec, exec, s[2:3]
	s_movk_i32 s2, 0xff
	v_and_b32_sdwa v13, v2, s2 dst_sel:DWORD dst_unused:UNUSED_PAD src0_sel:WORD_1 src1_sel:DWORD
	v_lshrrev_b32_e32 v10, 16, v2
	v_cmp_ne_u16_e32 vcc, 0, v13
	s_and_saveexec_b64 s[2:3], vcc
	s_cbranch_execz .LBB599_705
; %bb.700:
	s_movk_i32 s7, 0x80
	v_cmp_ne_u16_e32 vcc, s7, v13
	v_bfrev_b32_e32 v11, 1
	s_and_saveexec_b64 s[8:9], vcc
	s_cbranch_execz .LBB599_704
; %bb.701:
	v_bfe_u32 v13, v2, 16, 7
	s_movk_i32 s7, 0x7f
	v_cmp_ne_u32_e32 vcc, s7, v13
	v_mov_b32_e32 v11, 0x7f800001
	s_and_saveexec_b64 s[10:11], vcc
	s_cbranch_execz .LBB599_703
; %bb.702:
	v_and_b32_e32 v14, 7, v10
	v_ffbh_u32_e32 v11, v14
	v_min_u32_e32 v17, 32, v11
	v_subrev_u32_e32 v11, 28, v17
	v_lshlrev_b64 v[10:11], v11, v[10:11]
	v_lshrrev_b32_e32 v16, 3, v13
	v_sub_u32_e32 v11, 29, v17
	v_and_b32_e32 v10, 7, v10
	v_cmp_gt_u32_e32 vcc, 8, v13
	v_mov_b32_e32 v13, 24
	v_cndmask_b32_e32 v11, v16, v11, vcc
	v_cndmask_b32_e32 v10, v14, v10, vcc
	v_lshlrev_b32_sdwa v13, v13, v2 dst_sel:DWORD dst_unused:UNUSED_PAD src0_sel:DWORD src1_sel:WORD_1
	v_bfrev_b32_e32 v14, 60
	v_lshlrev_b32_e32 v10, 20, v10
	v_and_b32_e32 v13, 0x80000000, v13
	v_lshl_add_u32 v11, v11, 23, v14
	v_or3_b32 v11, v13, v11, v10
.LBB599_703:
	s_or_b64 exec, exec, s[10:11]
.LBB599_704:
	s_or_b64 exec, exec, s[8:9]
.LBB599_705:
	s_or_b64 exec, exec, s[2:3]
	s_mov_b32 s2, 0xffffff
	v_cmp_lt_u32_e32 vcc, s2, v2
	v_mov_b32_e32 v13, 0
	v_mov_b32_e32 v14, 0
	s_and_saveexec_b64 s[2:3], vcc
	s_cbranch_execz .LBB599_711
; %bb.706:
	v_lshrrev_b32_e32 v10, 24, v2
	s_movk_i32 s7, 0x80
	v_cmp_ne_u32_e32 vcc, s7, v10
	v_bfrev_b32_e32 v14, 1
	s_and_saveexec_b64 s[8:9], vcc
	s_cbranch_execz .LBB599_710
; %bb.707:
	v_bfe_u32 v2, v2, 24, 7
	s_movk_i32 s7, 0x7f
	v_cmp_ne_u32_e32 vcc, s7, v2
	v_mov_b32_e32 v14, 0x7f800001
	s_and_saveexec_b64 s[10:11], vcc
	s_cbranch_execz .LBB599_709
; %bb.708:
	v_and_b32_e32 v14, 7, v10
	v_ffbh_u32_e32 v16, v14
	v_min_u32_e32 v19, 32, v16
	v_subrev_u32_e32 v16, 28, v19
	v_lshlrev_b64 v[16:17], v16, v[10:11]
	v_lshrrev_b32_e32 v18, 3, v2
	v_sub_u32_e32 v17, 29, v19
	v_and_b32_e32 v16, 7, v16
	v_cmp_gt_u32_e32 vcc, 8, v2
	v_cndmask_b32_e32 v2, v18, v17, vcc
	v_cndmask_b32_e32 v14, v14, v16, vcc
	v_lshlrev_b32_e32 v10, 24, v10
	v_bfrev_b32_e32 v16, 60
	v_lshlrev_b32_e32 v14, 20, v14
	v_and_b32_e32 v10, 0x80000000, v10
	v_lshl_add_u32 v2, v2, 23, v16
	v_or3_b32 v14, v10, v2, v14
.LBB599_709:
	s_or_b64 exec, exec, s[10:11]
.LBB599_710:
	s_or_b64 exec, exec, s[8:9]
.LBB599_711:
	s_or_b64 exec, exec, s[2:3]
	v_cmp_ne_u16_sdwa s[8:9], v3, v13 src0_sel:BYTE_0 src1_sel:DWORD
	s_and_saveexec_b64 s[2:3], s[8:9]
	s_cbranch_execz .LBB599_717
; %bb.712:
	s_movk_i32 s7, 0x80
	v_cmp_ne_u16_sdwa s[10:11], v3, s7 src0_sel:BYTE_0 src1_sel:DWORD
	v_bfrev_b32_e32 v13, 1
	s_and_saveexec_b64 s[8:9], s[10:11]
	s_cbranch_execz .LBB599_716
; %bb.713:
	s_movk_i32 s7, 0x7f
	v_and_b32_e32 v2, 0x7f, v3
	v_cmp_ne_u32_e32 vcc, s7, v2
	v_mov_b32_e32 v13, 0x7f800001
	s_and_saveexec_b64 s[10:11], vcc
	s_cbranch_execz .LBB599_715
; %bb.714:
	v_and_b32_e32 v13, 7, v3
	v_ffbh_u32_e32 v16, v13
	v_min_u32_e32 v19, 32, v16
	v_mov_b32_e32 v10, v3
	v_subrev_u32_e32 v16, 28, v19
	v_lshlrev_b64 v[16:17], v16, v[10:11]
	v_lshrrev_b32_e32 v18, 3, v2
	v_sub_u32_e32 v10, 29, v19
	v_and_b32_e32 v16, 7, v16
	v_cmp_gt_u32_e32 vcc, 8, v2
	v_cndmask_b32_e32 v2, v18, v10, vcc
	v_cndmask_b32_e32 v10, v13, v16, vcc
	v_lshlrev_b32_e32 v13, 24, v3
	v_bfrev_b32_e32 v16, 60
	v_lshlrev_b32_e32 v10, 20, v10
	v_and_b32_e32 v13, 0x80000000, v13
	v_lshl_add_u32 v2, v2, 23, v16
	v_or3_b32 v13, v13, v2, v10
.LBB599_715:
	s_or_b64 exec, exec, s[10:11]
.LBB599_716:
	s_or_b64 exec, exec, s[8:9]
.LBB599_717:
	s_or_b64 exec, exec, s[2:3]
	v_lshrrev_b16_e32 v2, 8, v3
	v_cmp_ne_u16_e32 vcc, 0, v2
	v_mov_b32_e32 v16, 0
	v_mov_b32_e32 v17, 0
	s_and_saveexec_b64 s[2:3], vcc
	s_cbranch_execz .LBB599_723
; %bb.718:
	s_movk_i32 s7, 0x80
	v_cmp_ne_u16_e32 vcc, s7, v2
	v_bfrev_b32_e32 v17, 1
	s_and_saveexec_b64 s[8:9], vcc
	s_cbranch_execz .LBB599_722
; %bb.719:
	s_movk_i32 s7, 0x7f
	v_and_b32_e32 v10, 0x7f, v2
	v_cmp_ne_u32_e32 vcc, s7, v10
	v_mov_b32_e32 v17, 0x7f800001
	s_and_saveexec_b64 s[10:11], vcc
	s_cbranch_execz .LBB599_721
; %bb.720:
	v_and_b32_e32 v17, 7, v2
	v_ffbh_u32_e32 v18, v17
	v_min_u32_e32 v21, 32, v18
	v_subrev_u32_e32 v18, 28, v21
	v_lshlrev_b64 v[18:19], v18, v[2:3]
	v_lshrrev_b32_e32 v20, 3, v10
	v_sub_u32_e32 v2, 29, v21
	v_and_b32_e32 v18, 7, v18
	v_cmp_gt_u32_e32 vcc, 8, v10
	v_cndmask_b32_e32 v2, v20, v2, vcc
	v_cndmask_b32_e32 v10, v17, v18, vcc
	v_lshlrev_b32_e32 v17, 16, v3
	v_bfrev_b32_e32 v18, 60
	v_lshlrev_b32_e32 v10, 20, v10
	v_and_b32_e32 v17, 0x80000000, v17
	v_lshl_add_u32 v2, v2, 23, v18
	v_or3_b32 v17, v17, v2, v10
.LBB599_721:
	s_or_b64 exec, exec, s[10:11]
.LBB599_722:
	s_or_b64 exec, exec, s[8:9]
.LBB599_723:
	s_or_b64 exec, exec, s[2:3]
	s_movk_i32 s2, 0xff
	v_and_b32_sdwa v10, v3, s2 dst_sel:DWORD dst_unused:UNUSED_PAD src0_sel:WORD_1 src1_sel:DWORD
	v_lshrrev_b32_e32 v2, 16, v3
	v_cmp_ne_u16_e32 vcc, 0, v10
	s_and_saveexec_b64 s[2:3], vcc
	s_cbranch_execz .LBB599_729
; %bb.724:
	s_movk_i32 s7, 0x80
	v_cmp_ne_u16_e32 vcc, s7, v10
	v_bfrev_b32_e32 v16, 1
	s_and_saveexec_b64 s[8:9], vcc
	s_cbranch_execz .LBB599_728
; %bb.725:
	v_bfe_u32 v10, v3, 16, 7
	s_movk_i32 s7, 0x7f
	v_cmp_ne_u32_e32 vcc, s7, v10
	v_mov_b32_e32 v16, 0x7f800001
	s_and_saveexec_b64 s[10:11], vcc
	s_cbranch_execz .LBB599_727
; %bb.726:
	v_and_b32_e32 v16, 7, v2
	v_ffbh_u32_e32 v18, v16
	v_min_u32_e32 v21, 32, v18
	v_subrev_u32_e32 v18, 28, v21
	v_lshlrev_b64 v[18:19], v18, v[2:3]
	v_and_b32_e32 v18, 7, v18
	v_cmp_gt_u32_e32 vcc, 8, v10
	v_lshrrev_b32_e32 v20, 3, v10
	v_sub_u32_e32 v2, 29, v21
	v_cndmask_b32_e32 v10, v16, v18, vcc
	v_mov_b32_e32 v16, 24
	v_cndmask_b32_e32 v2, v20, v2, vcc
	v_lshlrev_b32_sdwa v16, v16, v3 dst_sel:DWORD dst_unused:UNUSED_PAD src0_sel:DWORD src1_sel:WORD_1
	v_bfrev_b32_e32 v18, 60
	v_lshlrev_b32_e32 v10, 20, v10
	v_and_b32_e32 v16, 0x80000000, v16
	v_lshl_add_u32 v2, v2, 23, v18
	v_or3_b32 v16, v16, v2, v10
.LBB599_727:
	s_or_b64 exec, exec, s[10:11]
.LBB599_728:
	s_or_b64 exec, exec, s[8:9]
.LBB599_729:
	s_or_b64 exec, exec, s[2:3]
	s_mov_b32 s2, 0xffffff
	v_cmp_lt_u32_e32 vcc, s2, v3
	v_mov_b32_e32 v10, 0
	v_mov_b32_e32 v18, 0
	s_and_saveexec_b64 s[2:3], vcc
	s_cbranch_execz .LBB599_735
; %bb.730:
	v_lshrrev_b32_e32 v2, 24, v3
	s_movk_i32 s7, 0x80
	v_cmp_ne_u32_e32 vcc, s7, v2
	v_bfrev_b32_e32 v18, 1
	s_and_saveexec_b64 s[8:9], vcc
	s_cbranch_execz .LBB599_734
; %bb.731:
	v_bfe_u32 v3, v3, 24, 7
	s_movk_i32 s7, 0x7f
	v_cmp_ne_u32_e32 vcc, s7, v3
	v_mov_b32_e32 v18, 0x7f800001
	s_and_saveexec_b64 s[10:11], vcc
	s_cbranch_execz .LBB599_733
; %bb.732:
	v_and_b32_e32 v20, 7, v2
	v_ffbh_u32_e32 v18, v20
	v_min_u32_e32 v23, 32, v18
	v_subrev_u32_e32 v18, 28, v23
	v_lshlrev_b64 v[18:19], v18, v[2:3]
	v_lshrrev_b32_e32 v21, 3, v3
	v_sub_u32_e32 v19, 29, v23
	v_and_b32_e32 v18, 7, v18
	v_cmp_gt_u32_e32 vcc, 8, v3
	v_cndmask_b32_e32 v3, v21, v19, vcc
	v_cndmask_b32_e32 v18, v20, v18, vcc
	v_lshlrev_b32_e32 v2, 24, v2
	v_bfrev_b32_e32 v19, 60
	v_lshlrev_b32_e32 v18, 20, v18
	v_and_b32_e32 v2, 0x80000000, v2
	v_lshl_add_u32 v3, v3, 23, v19
	v_or3_b32 v18, v2, v3, v18
.LBB599_733:
	s_or_b64 exec, exec, s[10:11]
.LBB599_734:
	s_or_b64 exec, exec, s[8:9]
.LBB599_735:
	s_or_b64 exec, exec, s[2:3]
	v_cvt_pkrtz_f16_f32 v2, v15, v12
	v_cvt_pkrtz_f16_f32 v3, v11, v14
	ds_read_b128 v[24:27], v22 offset:6144
	v_cmp_ne_u16_sdwa s[8:9], v4, v10 src0_sel:BYTE_0 src1_sel:DWORD
	s_waitcnt lgkmcnt(0)
	v_mfma_f32_16x16x16f16 v[6:9], v[2:3], v[24:25], v[6:9]
	v_cvt_pkrtz_f16_f32 v2, v13, v17
	v_cvt_pkrtz_f16_f32 v3, v16, v18
	s_nop 1
	v_mfma_f32_16x16x16f16 v[6:9], v[2:3], v[26:27], v[6:9]
	s_and_saveexec_b64 s[2:3], s[8:9]
	s_cbranch_execz .LBB599_741
; %bb.736:
	s_movk_i32 s7, 0x80
	v_cmp_ne_u16_sdwa s[10:11], v4, s7 src0_sel:BYTE_0 src1_sel:DWORD
	v_bfrev_b32_e32 v10, 1
	s_and_saveexec_b64 s[8:9], s[10:11]
	s_cbranch_execz .LBB599_740
; %bb.737:
	s_movk_i32 s7, 0x7f
	v_and_b32_e32 v2, 0x7f, v4
	v_cmp_ne_u32_e32 vcc, s7, v2
	v_mov_b32_e32 v10, 0x7f800001
	s_and_saveexec_b64 s[10:11], vcc
	s_cbranch_execz .LBB599_739
; %bb.738:
	v_and_b32_e32 v3, 7, v4
	v_ffbh_u32_e32 v10, v3
	v_min_u32_e32 v13, 32, v10
	v_subrev_u32_e32 v10, 28, v13
	v_lshlrev_b64 v[10:11], v10, v[4:5]
	v_lshrrev_b32_e32 v12, 3, v2
	v_sub_u32_e32 v11, 29, v13
	v_and_b32_e32 v10, 7, v10
	v_cmp_gt_u32_e32 vcc, 8, v2
	v_cndmask_b32_e32 v2, v12, v11, vcc
	v_cndmask_b32_e32 v3, v3, v10, vcc
	v_lshlrev_b32_e32 v10, 24, v4
	v_bfrev_b32_e32 v11, 60
	v_lshlrev_b32_e32 v3, 20, v3
	v_and_b32_e32 v10, 0x80000000, v10
	v_lshl_add_u32 v2, v2, 23, v11
	v_or3_b32 v10, v10, v2, v3
.LBB599_739:
	s_or_b64 exec, exec, s[10:11]
.LBB599_740:
	s_or_b64 exec, exec, s[8:9]
.LBB599_741:
	s_or_b64 exec, exec, s[2:3]
	v_lshrrev_b16_e32 v2, 8, v4
	v_cmp_ne_u16_e32 vcc, 0, v2
	v_mov_b32_e32 v3, 0
	v_mov_b32_e32 v11, 0
	s_and_saveexec_b64 s[2:3], vcc
	s_cbranch_execz .LBB599_747
; %bb.742:
	s_movk_i32 s7, 0x80
	v_cmp_ne_u16_e32 vcc, s7, v2
	v_bfrev_b32_e32 v11, 1
	s_and_saveexec_b64 s[8:9], vcc
	s_cbranch_execz .LBB599_746
; %bb.743:
	s_movk_i32 s7, 0x7f
	v_and_b32_e32 v12, 0x7f, v2
	v_cmp_ne_u32_e32 vcc, s7, v12
	v_mov_b32_e32 v11, 0x7f800001
	s_and_saveexec_b64 s[10:11], vcc
	s_cbranch_execz .LBB599_745
; %bb.744:
	v_and_b32_e32 v11, 7, v2
	v_ffbh_u32_e32 v14, v11
	v_min_u32_e32 v16, 32, v14
	v_subrev_u32_e32 v14, 28, v16
	v_lshlrev_b64 v[14:15], v14, v[2:3]
	v_lshrrev_b32_e32 v13, 3, v12
	v_sub_u32_e32 v2, 29, v16
	v_and_b32_e32 v14, 7, v14
	v_cmp_gt_u32_e32 vcc, 8, v12
	v_cndmask_b32_e32 v2, v13, v2, vcc
	v_cndmask_b32_e32 v11, v11, v14, vcc
	v_lshlrev_b32_e32 v12, 16, v4
	v_bfrev_b32_e32 v13, 60
	v_lshlrev_b32_e32 v11, 20, v11
	v_and_b32_e32 v12, 0x80000000, v12
	v_lshl_add_u32 v2, v2, 23, v13
	v_or3_b32 v11, v12, v2, v11
.LBB599_745:
	s_or_b64 exec, exec, s[10:11]
.LBB599_746:
	s_or_b64 exec, exec, s[8:9]
.LBB599_747:
	s_or_b64 exec, exec, s[2:3]
	s_movk_i32 s2, 0xff
	v_and_b32_sdwa v12, v4, s2 dst_sel:DWORD dst_unused:UNUSED_PAD src0_sel:WORD_1 src1_sel:DWORD
	v_lshrrev_b32_e32 v2, 16, v4
	v_cmp_ne_u16_e32 vcc, 0, v12
	s_and_saveexec_b64 s[2:3], vcc
	s_cbranch_execz .LBB599_753
; %bb.748:
	s_movk_i32 s7, 0x80
	v_cmp_ne_u16_e32 vcc, s7, v12
	v_bfrev_b32_e32 v3, 1
	s_and_saveexec_b64 s[8:9], vcc
	s_cbranch_execz .LBB599_752
; %bb.749:
	v_bfe_u32 v12, v4, 16, 7
	s_movk_i32 s7, 0x7f
	v_cmp_ne_u32_e32 vcc, s7, v12
	v_mov_b32_e32 v3, 0x7f800001
	s_and_saveexec_b64 s[10:11], vcc
	s_cbranch_execz .LBB599_751
; %bb.750:
	v_and_b32_e32 v13, 7, v2
	v_ffbh_u32_e32 v3, v13
	v_min_u32_e32 v15, 32, v3
	v_subrev_u32_e32 v3, 28, v15
	v_lshlrev_b64 v[2:3], v3, v[2:3]
	v_lshrrev_b32_e32 v14, 3, v12
	v_sub_u32_e32 v3, 29, v15
	v_and_b32_e32 v2, 7, v2
	v_cmp_gt_u32_e32 vcc, 8, v12
	v_mov_b32_e32 v12, 24
	v_cndmask_b32_e32 v3, v14, v3, vcc
	v_cndmask_b32_e32 v2, v13, v2, vcc
	v_lshlrev_b32_sdwa v12, v12, v4 dst_sel:DWORD dst_unused:UNUSED_PAD src0_sel:DWORD src1_sel:WORD_1
	v_bfrev_b32_e32 v13, 60
	v_lshlrev_b32_e32 v2, 20, v2
	v_and_b32_e32 v12, 0x80000000, v12
	v_lshl_add_u32 v3, v3, 23, v13
	v_or3_b32 v3, v12, v3, v2
.LBB599_751:
	s_or_b64 exec, exec, s[10:11]
.LBB599_752:
	s_or_b64 exec, exec, s[8:9]
.LBB599_753:
	s_or_b64 exec, exec, s[2:3]
	s_mov_b32 s2, 0xffffff
	v_cmp_lt_u32_e32 vcc, s2, v4
	v_mov_b32_e32 v12, 0
	v_mov_b32_e32 v13, 0
	s_and_saveexec_b64 s[2:3], vcc
	s_cbranch_execz .LBB599_759
; %bb.754:
	v_lshrrev_b32_e32 v2, 24, v4
	s_movk_i32 s7, 0x80
	v_cmp_ne_u32_e32 vcc, s7, v2
	v_bfrev_b32_e32 v13, 1
	s_and_saveexec_b64 s[8:9], vcc
	s_cbranch_execz .LBB599_758
; %bb.755:
	v_bfe_u32 v4, v4, 24, 7
	s_movk_i32 s7, 0x7f
	v_cmp_ne_u32_e32 vcc, s7, v4
	v_mov_b32_e32 v13, 0x7f800001
	s_and_saveexec_b64 s[10:11], vcc
	s_cbranch_execz .LBB599_757
; %bb.756:
	v_and_b32_e32 v13, 7, v2
	v_ffbh_u32_e32 v14, v13
	v_min_u32_e32 v17, 32, v14
	v_subrev_u32_e32 v14, 28, v17
	v_lshlrev_b64 v[14:15], v14, v[2:3]
	v_lshrrev_b32_e32 v16, 3, v4
	v_sub_u32_e32 v15, 29, v17
	v_and_b32_e32 v14, 7, v14
	v_cmp_gt_u32_e32 vcc, 8, v4
	v_cndmask_b32_e32 v4, v16, v15, vcc
	v_cndmask_b32_e32 v13, v13, v14, vcc
	v_lshlrev_b32_e32 v2, 24, v2
	v_bfrev_b32_e32 v14, 60
	v_lshlrev_b32_e32 v13, 20, v13
	v_and_b32_e32 v2, 0x80000000, v2
	v_lshl_add_u32 v4, v4, 23, v14
	v_or3_b32 v13, v2, v4, v13
.LBB599_757:
	s_or_b64 exec, exec, s[10:11]
.LBB599_758:
	s_or_b64 exec, exec, s[8:9]
.LBB599_759:
	s_or_b64 exec, exec, s[2:3]
	v_cmp_ne_u16_sdwa s[8:9], v5, v12 src0_sel:BYTE_0 src1_sel:DWORD
	s_and_saveexec_b64 s[2:3], s[8:9]
	s_cbranch_execz .LBB599_765
; %bb.760:
	s_movk_i32 s7, 0x80
	v_cmp_ne_u16_sdwa s[10:11], v5, s7 src0_sel:BYTE_0 src1_sel:DWORD
	v_bfrev_b32_e32 v12, 1
	s_and_saveexec_b64 s[8:9], s[10:11]
	s_cbranch_execz .LBB599_764
; %bb.761:
	s_movk_i32 s7, 0x7f
	v_and_b32_e32 v2, 0x7f, v5
	v_cmp_ne_u32_e32 vcc, s7, v2
	v_mov_b32_e32 v12, 0x7f800001
	s_and_saveexec_b64 s[10:11], vcc
	s_cbranch_execz .LBB599_763
; %bb.762:
	v_and_b32_e32 v12, 7, v5
	v_ffbh_u32_e32 v14, v12
	v_min_u32_e32 v17, 32, v14
	v_mov_b32_e32 v4, v5
	v_subrev_u32_e32 v14, 28, v17
	v_lshlrev_b64 v[14:15], v14, v[4:5]
	v_lshrrev_b32_e32 v16, 3, v2
	v_sub_u32_e32 v4, 29, v17
	v_and_b32_e32 v14, 7, v14
	v_cmp_gt_u32_e32 vcc, 8, v2
	v_cndmask_b32_e32 v2, v16, v4, vcc
	v_cndmask_b32_e32 v4, v12, v14, vcc
	v_lshlrev_b32_e32 v12, 24, v5
	v_bfrev_b32_e32 v14, 60
	v_lshlrev_b32_e32 v4, 20, v4
	v_and_b32_e32 v12, 0x80000000, v12
	v_lshl_add_u32 v2, v2, 23, v14
	v_or3_b32 v12, v12, v2, v4
.LBB599_763:
	s_or_b64 exec, exec, s[10:11]
.LBB599_764:
	s_or_b64 exec, exec, s[8:9]
.LBB599_765:
	s_or_b64 exec, exec, s[2:3]
	v_lshrrev_b16_e32 v2, 8, v5
	v_cmp_ne_u16_e32 vcc, 0, v2
	v_mov_b32_e32 v4, 0
	v_mov_b32_e32 v14, 0
	s_and_saveexec_b64 s[2:3], vcc
	s_cbranch_execz .LBB599_771
; %bb.766:
	s_movk_i32 s7, 0x80
	v_cmp_ne_u16_e32 vcc, s7, v2
	v_bfrev_b32_e32 v14, 1
	s_and_saveexec_b64 s[8:9], vcc
	s_cbranch_execz .LBB599_770
; %bb.767:
	s_movk_i32 s7, 0x7f
	v_and_b32_e32 v15, 0x7f, v2
	v_cmp_ne_u32_e32 vcc, s7, v15
	v_mov_b32_e32 v14, 0x7f800001
	s_and_saveexec_b64 s[10:11], vcc
	s_cbranch_execz .LBB599_769
; %bb.768:
	v_and_b32_e32 v14, 7, v2
	v_ffbh_u32_e32 v16, v14
	v_min_u32_e32 v19, 32, v16
	v_subrev_u32_e32 v16, 28, v19
	v_lshlrev_b64 v[16:17], v16, v[2:3]
	v_lshrrev_b32_e32 v18, 3, v15
	v_sub_u32_e32 v2, 29, v19
	v_and_b32_e32 v16, 7, v16
	v_cmp_gt_u32_e32 vcc, 8, v15
	v_cndmask_b32_e32 v2, v18, v2, vcc
	v_cndmask_b32_e32 v14, v14, v16, vcc
	v_lshlrev_b32_e32 v15, 16, v5
	v_bfrev_b32_e32 v16, 60
	v_lshlrev_b32_e32 v14, 20, v14
	v_and_b32_e32 v15, 0x80000000, v15
	v_lshl_add_u32 v2, v2, 23, v16
	v_or3_b32 v14, v15, v2, v14
.LBB599_769:
	s_or_b64 exec, exec, s[10:11]
.LBB599_770:
	s_or_b64 exec, exec, s[8:9]
.LBB599_771:
	s_or_b64 exec, exec, s[2:3]
	s_movk_i32 s2, 0xff
	v_and_b32_sdwa v15, v5, s2 dst_sel:DWORD dst_unused:UNUSED_PAD src0_sel:WORD_1 src1_sel:DWORD
	v_lshrrev_b32_e32 v2, 16, v5
	v_cmp_ne_u16_e32 vcc, 0, v15
	s_and_saveexec_b64 s[2:3], vcc
	s_cbranch_execz .LBB599_777
; %bb.772:
	s_movk_i32 s7, 0x80
	v_cmp_ne_u16_e32 vcc, s7, v15
	v_bfrev_b32_e32 v4, 1
	s_and_saveexec_b64 s[8:9], vcc
	s_cbranch_execz .LBB599_776
; %bb.773:
	v_bfe_u32 v15, v5, 16, 7
	s_movk_i32 s7, 0x7f
	v_cmp_ne_u32_e32 vcc, s7, v15
	v_mov_b32_e32 v4, 0x7f800001
	s_and_saveexec_b64 s[10:11], vcc
	s_cbranch_execz .LBB599_775
; %bb.774:
	v_and_b32_e32 v4, 7, v2
	v_ffbh_u32_e32 v16, v4
	v_min_u32_e32 v19, 32, v16
	v_subrev_u32_e32 v16, 28, v19
	v_lshlrev_b64 v[16:17], v16, v[2:3]
	v_lshrrev_b32_e32 v18, 3, v15
	v_sub_u32_e32 v2, 29, v19
	v_and_b32_e32 v16, 7, v16
	v_cmp_gt_u32_e32 vcc, 8, v15
	v_mov_b32_e32 v15, 24
	v_cndmask_b32_e32 v2, v18, v2, vcc
	v_cndmask_b32_e32 v4, v4, v16, vcc
	v_lshlrev_b32_sdwa v15, v15, v5 dst_sel:DWORD dst_unused:UNUSED_PAD src0_sel:DWORD src1_sel:WORD_1
	v_bfrev_b32_e32 v16, 60
	v_lshlrev_b32_e32 v4, 20, v4
	v_and_b32_e32 v15, 0x80000000, v15
	v_lshl_add_u32 v2, v2, 23, v16
	v_or3_b32 v4, v15, v2, v4
.LBB599_775:
	s_or_b64 exec, exec, s[10:11]
.LBB599_776:
	s_or_b64 exec, exec, s[8:9]
.LBB599_777:
	s_or_b64 exec, exec, s[2:3]
	s_mov_b32 s2, 0xffffff
	v_cmp_lt_u32_e32 vcc, s2, v5
	v_mov_b32_e32 v15, 0
	s_and_saveexec_b64 s[2:3], vcc
	s_cbranch_execz .LBB599_783
; %bb.778:
	v_lshrrev_b32_e32 v2, 24, v5
	s_movk_i32 s7, 0x80
	v_cmp_ne_u32_e32 vcc, s7, v2
	v_bfrev_b32_e32 v15, 1
	s_and_saveexec_b64 s[8:9], vcc
	s_cbranch_execz .LBB599_782
; %bb.779:
	v_bfe_u32 v5, v5, 24, 7
	s_movk_i32 s7, 0x7f
	v_cmp_ne_u32_e32 vcc, s7, v5
	v_mov_b32_e32 v15, 0x7f800001
	s_and_saveexec_b64 s[10:11], vcc
	s_cbranch_execz .LBB599_781
; %bb.780:
	v_and_b32_e32 v15, 7, v2
	v_ffbh_u32_e32 v16, v15
	v_min_u32_e32 v19, 32, v16
	v_subrev_u32_e32 v16, 28, v19
	v_lshlrev_b64 v[16:17], v16, v[2:3]
	v_lshrrev_b32_e32 v18, 3, v5
	v_sub_u32_e32 v17, 29, v19
	v_and_b32_e32 v16, 7, v16
	v_cmp_gt_u32_e32 vcc, 8, v5
	v_cndmask_b32_e32 v5, v18, v17, vcc
	v_cndmask_b32_e32 v15, v15, v16, vcc
	v_lshlrev_b32_e32 v2, 24, v2
	v_bfrev_b32_e32 v16, 60
	v_lshlrev_b32_e32 v15, 20, v15
	v_and_b32_e32 v2, 0x80000000, v2
	v_lshl_add_u32 v5, v5, 23, v16
	v_or3_b32 v15, v2, v5, v15
.LBB599_781:
	s_or_b64 exec, exec, s[10:11]
.LBB599_782:
	s_or_b64 exec, exec, s[8:9]
.LBB599_783:
	s_or_b64 exec, exec, s[2:3]
	v_cvt_pkrtz_f16_f32 v2, v10, v11
	v_cvt_pkrtz_f16_f32 v3, v3, v13
	ds_read_b128 v[16:19], v22 offset:6160
	s_load_dword s2, s[42:43], 0x0
	v_cmp_gt_u32_e32 vcc, 64, v0
	s_waitcnt lgkmcnt(0)
	v_mfma_f32_16x16x16f16 v[6:9], v[2:3], v[16:17], v[6:9]
	v_cvt_pkrtz_f16_f32 v2, v12, v14
	v_cvt_pkrtz_f16_f32 v3, v4, v15
	s_and_b64 s[0:1], vcc, s[0:1]
	s_barrier
	v_mfma_f32_16x16x16f16 v[2:5], v[2:3], v[18:19], v[6:9]
	s_nop 7
	s_nop 2
	v_pk_mul_f32 v[4:5], v[4:5], s[2:3] op_sel_hi:[1,0]
	v_pk_mul_f32 v[2:3], v[2:3], s[2:3] op_sel_hi:[1,0]
	v_cvt_f16_f32_e32 v2, v2
	v_cvt_f16_f32_e32 v3, v3
	;; [unrolled: 1-line block ×4, first 2 shown]
	v_pack_b32_f16 v2, v2, v3
	v_pack_b32_f16 v3, v4, v5
	ds_write_b64 v28, v[2:3]
	s_waitcnt lgkmcnt(0)
	s_barrier
	s_and_saveexec_b64 s[2:3], s[0:1]
	s_cbranch_execz .LBB599_786
; %bb.784:
	s_load_dwordx2 s[2:3], s[4:5], 0x68
	s_lshl_b32 s0, s44, 6
	s_mul_i32 s1, s12, s6
	s_mul_hi_u32 s7, s1, s0
	s_mul_i32 s6, s1, s0
	s_lshl_b64 s[6:7], s[6:7], 1
	s_waitcnt lgkmcnt(0)
	s_add_u32 s1, s2, s6
	v_lshlrev_b32_e32 v0, 10, v0
	s_mov_b32 s5, 0
	s_addc_u32 s6, s3, s7
	s_lshl_b32 s4, s24, 6
	v_and_b32_e32 v0, 0x1800, v0
	v_lshlrev_b32_e32 v2, 5, v1
	v_and_b32_e32 v3, 16, v47
	s_lshl_b64 s[2:3], s[4:5], 1
	v_or3_b32 v0, v0, v2, v3
	s_add_u32 s1, s1, s2
	v_or_b32_e32 v2, 8, v1
	s_addc_u32 s2, s6, s3
	ds_read_b128 v[6:9], v0 offset:128
	ds_read_b128 v[10:13], v0
	v_add_u32_e32 v1, s25, v1
	v_mov_b32_e32 v4, s2
	v_add_co_u32_e32 v3, vcc, s1, v46
	v_mad_u64_u32 v[14:15], s[2:3], v1, s0, 0
	v_addc_co_u32_e32 v4, vcc, 0, v4, vcc
	v_lshlrev_b64 v[14:15], 1, v[14:15]
	v_add_co_u32_e32 v14, vcc, v3, v14
	v_addc_co_u32_e32 v15, vcc, v4, v15, vcc
	v_add_u32_e32 v1, 4, v1
	s_waitcnt lgkmcnt(0)
	global_store_dwordx4 v[14:15], v[10:13], off
	s_nop 0
	v_mad_u64_u32 v[10:11], s[2:3], v1, s0, 0
	v_lshlrev_b64 v[10:11], 1, v[10:11]
	v_add_co_u32_e32 v10, vcc, v3, v10
	v_addc_co_u32_e32 v11, vcc, v4, v11, vcc
	v_cmp_gt_u32_e32 vcc, 10, v2
	global_store_dwordx4 v[10:11], v[6:9], off
	s_and_b64 exec, exec, vcc
	s_cbranch_execz .LBB599_786
; %bb.785:
	ds_read_b128 v[6:9], v0 offset:256
	v_add_u32_e32 v0, s25, v2
	v_mad_u64_u32 v[0:1], s[0:1], v0, s0, 0
	v_lshlrev_b64 v[0:1], 1, v[0:1]
	v_add_co_u32_e32 v0, vcc, v3, v0
	v_addc_co_u32_e32 v1, vcc, v4, v1, vcc
	s_waitcnt lgkmcnt(0)
	global_store_dwordx4 v[0:1], v[6:9], off
.LBB599_786:
	s_endpgm
	.section	.rodata,"a",@progbits
	.p2align	6, 0x0
	.amdhsa_kernel _Z39paged_attention_ll4mi_QKV_mfma16_kernelIDF16_hLN4vllm18Fp8KVCacheDataTypeE1EDF16_Li32ELi64ELi256ELb0ELi10EL8MFMAType0EEvPKT_PKT0_S8_ifPKiSA_SA_iPKfiiiPfSD_PS3_PT2_iSC_SC_
		.amdhsa_group_segment_fixed_size 8192
		.amdhsa_private_segment_fixed_size 0
		.amdhsa_kernarg_size 400
		.amdhsa_user_sgpr_count 6
		.amdhsa_user_sgpr_private_segment_buffer 1
		.amdhsa_user_sgpr_dispatch_ptr 0
		.amdhsa_user_sgpr_queue_ptr 0
		.amdhsa_user_sgpr_kernarg_segment_ptr 1
		.amdhsa_user_sgpr_dispatch_id 0
		.amdhsa_user_sgpr_flat_scratch_init 0
		.amdhsa_user_sgpr_kernarg_preload_length 0
		.amdhsa_user_sgpr_kernarg_preload_offset 0
		.amdhsa_user_sgpr_private_segment_size 0
		.amdhsa_uses_dynamic_stack 0
		.amdhsa_system_sgpr_private_segment_wavefront_offset 0
		.amdhsa_system_sgpr_workgroup_id_x 1
		.amdhsa_system_sgpr_workgroup_id_y 1
		.amdhsa_system_sgpr_workgroup_id_z 1
		.amdhsa_system_sgpr_workgroup_info 0
		.amdhsa_system_vgpr_workitem_id 0
		.amdhsa_next_free_vgpr 62
		.amdhsa_next_free_sgpr 47
		.amdhsa_accum_offset 64
		.amdhsa_reserve_vcc 1
		.amdhsa_reserve_flat_scratch 0
		.amdhsa_float_round_mode_32 0
		.amdhsa_float_round_mode_16_64 0
		.amdhsa_float_denorm_mode_32 3
		.amdhsa_float_denorm_mode_16_64 3
		.amdhsa_dx10_clamp 1
		.amdhsa_ieee_mode 1
		.amdhsa_fp16_overflow 0
		.amdhsa_tg_split 0
		.amdhsa_exception_fp_ieee_invalid_op 0
		.amdhsa_exception_fp_denorm_src 0
		.amdhsa_exception_fp_ieee_div_zero 0
		.amdhsa_exception_fp_ieee_overflow 0
		.amdhsa_exception_fp_ieee_underflow 0
		.amdhsa_exception_fp_ieee_inexact 0
		.amdhsa_exception_int_div_zero 0
	.end_amdhsa_kernel
	.section	.text._Z39paged_attention_ll4mi_QKV_mfma16_kernelIDF16_hLN4vllm18Fp8KVCacheDataTypeE1EDF16_Li32ELi64ELi256ELb0ELi10EL8MFMAType0EEvPKT_PKT0_S8_ifPKiSA_SA_iPKfiiiPfSD_PS3_PT2_iSC_SC_,"axG",@progbits,_Z39paged_attention_ll4mi_QKV_mfma16_kernelIDF16_hLN4vllm18Fp8KVCacheDataTypeE1EDF16_Li32ELi64ELi256ELb0ELi10EL8MFMAType0EEvPKT_PKT0_S8_ifPKiSA_SA_iPKfiiiPfSD_PS3_PT2_iSC_SC_,comdat
.Lfunc_end599:
	.size	_Z39paged_attention_ll4mi_QKV_mfma16_kernelIDF16_hLN4vllm18Fp8KVCacheDataTypeE1EDF16_Li32ELi64ELi256ELb0ELi10EL8MFMAType0EEvPKT_PKT0_S8_ifPKiSA_SA_iPKfiiiPfSD_PS3_PT2_iSC_SC_, .Lfunc_end599-_Z39paged_attention_ll4mi_QKV_mfma16_kernelIDF16_hLN4vllm18Fp8KVCacheDataTypeE1EDF16_Li32ELi64ELi256ELb0ELi10EL8MFMAType0EEvPKT_PKT0_S8_ifPKiSA_SA_iPKfiiiPfSD_PS3_PT2_iSC_SC_
                                        ; -- End function
	.section	.AMDGPU.csdata,"",@progbits
; Kernel info:
; codeLenInByte = 27048
; NumSgprs: 51
; NumVgprs: 62
; NumAgprs: 0
; TotalNumVgprs: 62
; ScratchSize: 0
; MemoryBound: 0
; FloatMode: 240
; IeeeMode: 1
; LDSByteSize: 8192 bytes/workgroup (compile time only)
; SGPRBlocks: 6
; VGPRBlocks: 7
; NumSGPRsForWavesPerEU: 51
; NumVGPRsForWavesPerEU: 62
; AccumOffset: 64
; Occupancy: 8
; WaveLimiterHint : 1
; COMPUTE_PGM_RSRC2:SCRATCH_EN: 0
; COMPUTE_PGM_RSRC2:USER_SGPR: 6
; COMPUTE_PGM_RSRC2:TRAP_HANDLER: 0
; COMPUTE_PGM_RSRC2:TGID_X_EN: 1
; COMPUTE_PGM_RSRC2:TGID_Y_EN: 1
; COMPUTE_PGM_RSRC2:TGID_Z_EN: 1
; COMPUTE_PGM_RSRC2:TIDIG_COMP_CNT: 0
; COMPUTE_PGM_RSRC3_GFX90A:ACCUM_OFFSET: 15
; COMPUTE_PGM_RSRC3_GFX90A:TG_SPLIT: 0
	.section	.text._Z39paged_attention_ll4mi_QKV_mfma16_kernelIDF16_hLN4vllm18Fp8KVCacheDataTypeE1EDF16_Li32ELi64ELi256ELb0ELi11EL8MFMAType0EEvPKT_PKT0_S8_ifPKiSA_SA_iPKfiiiPfSD_PS3_PT2_iSC_SC_,"axG",@progbits,_Z39paged_attention_ll4mi_QKV_mfma16_kernelIDF16_hLN4vllm18Fp8KVCacheDataTypeE1EDF16_Li32ELi64ELi256ELb0ELi11EL8MFMAType0EEvPKT_PKT0_S8_ifPKiSA_SA_iPKfiiiPfSD_PS3_PT2_iSC_SC_,comdat
	.protected	_Z39paged_attention_ll4mi_QKV_mfma16_kernelIDF16_hLN4vllm18Fp8KVCacheDataTypeE1EDF16_Li32ELi64ELi256ELb0ELi11EL8MFMAType0EEvPKT_PKT0_S8_ifPKiSA_SA_iPKfiiiPfSD_PS3_PT2_iSC_SC_ ; -- Begin function _Z39paged_attention_ll4mi_QKV_mfma16_kernelIDF16_hLN4vllm18Fp8KVCacheDataTypeE1EDF16_Li32ELi64ELi256ELb0ELi11EL8MFMAType0EEvPKT_PKT0_S8_ifPKiSA_SA_iPKfiiiPfSD_PS3_PT2_iSC_SC_
	.globl	_Z39paged_attention_ll4mi_QKV_mfma16_kernelIDF16_hLN4vllm18Fp8KVCacheDataTypeE1EDF16_Li32ELi64ELi256ELb0ELi11EL8MFMAType0EEvPKT_PKT0_S8_ifPKiSA_SA_iPKfiiiPfSD_PS3_PT2_iSC_SC_
	.p2align	8
	.type	_Z39paged_attention_ll4mi_QKV_mfma16_kernelIDF16_hLN4vllm18Fp8KVCacheDataTypeE1EDF16_Li32ELi64ELi256ELb0ELi11EL8MFMAType0EEvPKT_PKT0_S8_ifPKiSA_SA_iPKfiiiPfSD_PS3_PT2_iSC_SC_,@function
_Z39paged_attention_ll4mi_QKV_mfma16_kernelIDF16_hLN4vllm18Fp8KVCacheDataTypeE1EDF16_Li32ELi64ELi256ELb0ELi11EL8MFMAType0EEvPKT_PKT0_S8_ifPKiSA_SA_iPKfiiiPfSD_PS3_PT2_iSC_SC_: ; @_Z39paged_attention_ll4mi_QKV_mfma16_kernelIDF16_hLN4vllm18Fp8KVCacheDataTypeE1EDF16_Li32ELi64ELi256ELb0ELi11EL8MFMAType0EEvPKT_PKT0_S8_ifPKiSA_SA_iPKfiiiPfSD_PS3_PT2_iSC_SC_
; %bb.0:
	s_load_dwordx2 s[0:1], s[4:5], 0x30
	s_mov_b32 s24, s7
	s_mov_b64 s[10:11], 0
	s_waitcnt lgkmcnt(0)
	s_cmp_lg_u64 s[0:1], 0
	s_cselect_b64 s[2:3], -1, 0
	s_and_b64 vcc, exec, s[2:3]
	s_cbranch_vccz .LBB600_7
; %bb.1:
	s_add_i32 s12, s6, 1
	s_mov_b32 s13, 0
	s_lshl_b64 s[14:15], s[12:13], 2
	s_add_u32 s14, s0, s14
	s_mov_b32 s7, s13
	s_addc_u32 s15, s1, s15
	s_lshl_b64 s[12:13], s[6:7], 2
	s_add_u32 s12, s0, s12
	s_addc_u32 s13, s1, s13
	s_load_dword s9, s[14:15], 0x0
	s_load_dword s16, s[12:13], 0x0
	s_waitcnt lgkmcnt(0)
	s_sub_i32 s9, s9, s16
	s_cmp_eq_u32 s9, 1
	s_cselect_b64 s[12:13], -1, 0
	s_andn2_b64 vcc, exec, s[10:11]
	s_cbranch_vccnz .LBB600_3
.LBB600_2:
	s_mov_b32 s7, 0
	s_mov_b64 s[12:13], -1
.LBB600_3:
	s_andn2_b64 vcc, exec, s[12:13]
	s_cbranch_vccnz .LBB600_786
; %bb.4:
	s_load_dwordx2 s[12:13], s[4:5], 0x28
	s_lshl_b64 s[10:11], s[6:7], 2
	s_waitcnt lgkmcnt(0)
	s_add_u32 s12, s12, s10
	s_addc_u32 s13, s13, s11
	s_load_dword s33, s[12:13], 0x0
	s_lshl_b32 s20, s24, 8
	s_waitcnt lgkmcnt(0)
	s_cmp_ge_i32 s20, s33
	s_cbranch_scc1 .LBB600_786
; %bb.5:
	s_add_i32 s14, s33, 31
	s_load_dwordx2 s[12:13], s[4:5], 0x20
	s_load_dword s9, s[4:5], 0x38
	s_ashr_i32 s15, s14, 31
	v_and_b32_e32 v1, 0xcf, v0
	s_lshr_b32 s15, s15, 27
	v_add_u32_e32 v1, s20, v1
	s_add_i32 s14, s14, s15
	v_ashrrev_i32_e32 v2, 31, v1
	s_ashr_i32 s22, s14, 5
	v_lshrrev_b32_e32 v4, 27, v2
	s_add_i32 s22, s22, -1
	v_add_u32_e32 v2, v1, v4
	s_waitcnt lgkmcnt(0)
	s_mul_i32 s14, s6, s9
	s_mov_b32 s15, 0
	v_ashrrev_i32_e32 v2, 5, v2
	v_mov_b32_e32 v5, s22
	v_cmp_gt_i32_e32 vcc, s33, v1
	s_lshl_b64 s[14:15], s[14:15], 2
	v_cndmask_b32_e32 v2, v5, v2, vcc
	s_add_u32 s9, s12, s14
	v_ashrrev_i32_e32 v3, 31, v2
	s_addc_u32 s21, s13, s15
	v_lshlrev_b64 v[2:3], 2, v[2:3]
	v_mov_b32_e32 v7, s21
	v_add_co_u32_e32 v6, vcc, s9, v2
	v_or_b32_e32 v2, 16, v1
	v_addc_co_u32_e32 v7, vcc, v7, v3, vcc
	v_add_u32_e32 v3, v2, v4
	v_ashrrev_i32_e32 v3, 5, v3
	v_cmp_gt_i32_e32 vcc, s33, v2
	v_cndmask_b32_e32 v2, v5, v3, vcc
	v_ashrrev_i32_e32 v3, 31, v2
	v_lshlrev_b64 v[2:3], 2, v[2:3]
	v_mov_b32_e32 v9, s21
	v_add_co_u32_e32 v8, vcc, s9, v2
	v_or_b32_e32 v2, 32, v1
	v_addc_co_u32_e32 v9, vcc, v9, v3, vcc
	v_add_u32_e32 v3, v2, v4
	v_ashrrev_i32_e32 v3, 5, v3
	v_cmp_gt_i32_e32 vcc, s33, v2
	v_cndmask_b32_e32 v2, v5, v3, vcc
	v_ashrrev_i32_e32 v3, 31, v2
	;; [unrolled: 10-line block ×3, first 2 shown]
	v_lshlrev_b64 v[2:3], 2, v[2:3]
	v_mov_b32_e32 v1, s21
	v_add_co_u32_e32 v12, vcc, s9, v2
	v_addc_co_u32_e32 v13, vcc, v1, v3, vcc
	global_load_dword v5, v[6:7], off
	global_load_dword v4, v[8:9], off
	;; [unrolled: 1-line block ×4, first 2 shown]
	s_load_dwordx4 s[12:15], s[4:5], 0x8
	s_andn2_b64 vcc, exec, s[2:3]
	s_cbranch_vccnz .LBB600_8
; %bb.6:
	s_add_u32 s0, s0, s10
	s_addc_u32 s1, s1, s11
	s_load_dword s10, s[0:1], 0x0
	s_branch .LBB600_9
.LBB600_7:
	s_mov_b64 s[12:13], 0
	s_branch .LBB600_2
.LBB600_8:
	s_mov_b32 s10, s6
.LBB600_9:
	s_load_dwordx4 s[16:19], s[4:5], 0x48
	v_lshrrev_b32_e32 v50, 6, v0
	v_bfe_u32 v1, v0, 4, 2
	v_lshl_or_b32 v6, v50, 2, v1
	v_and_b32_e32 v49, 15, v0
	v_lshlrev_b32_e32 v7, 3, v49
	v_cmp_gt_u32_e32 vcc, 11, v6
	v_cmp_gt_u32_e64 s[0:1], 8, v49
	s_mul_i32 s25, s8, 11
	s_and_b64 s[26:27], s[0:1], vcc
	v_lshlrev_b32_e32 v46, 1, v7
	v_lshlrev_b32_e32 v47, 4, v0
	s_and_saveexec_b64 s[2:3], s[26:27]
	s_cbranch_execz .LBB600_11
; %bb.10:
	s_load_dwordx2 s[26:27], s[4:5], 0x0
	s_waitcnt lgkmcnt(0)
	s_ashr_i32 s11, s16, 31
	s_mul_hi_u32 s19, s10, s16
	s_mul_i32 s11, s10, s11
	s_add_i32 s11, s19, s11
	s_mul_i32 s10, s10, s16
	s_lshl_b64 s[10:11], s[10:11], 1
	v_add_lshl_u32 v8, v6, s25, 6
	s_add_u32 s10, s26, s10
	v_ashrrev_i32_e32 v9, 31, v8
	s_addc_u32 s11, s27, s11
	v_lshlrev_b64 v[8:9], 1, v[8:9]
	v_mov_b32_e32 v7, s11
	v_add_co_u32_e32 v8, vcc, s10, v8
	v_addc_co_u32_e32 v7, vcc, v7, v9, vcc
	v_add_co_u32_e32 v8, vcc, v8, v46
	v_addc_co_u32_e32 v9, vcc, 0, v7, vcc
	global_load_dwordx4 v[8:11], v[8:9], off
	v_lshlrev_b32_e32 v12, 8, v49
	v_lshlrev_b32_e32 v6, 5, v6
	v_and_b32_e32 v7, 16, v47
	v_and_b32_e32 v12, 0xe00, v12
	v_or3_b32 v6, v12, v6, v7
	s_waitcnt vmcnt(0)
	ds_write_b128 v6, v[8:11]
.LBB600_11:
	s_or_b64 exec, exec, s[2:3]
	s_waitcnt lgkmcnt(0)
	s_mul_i32 s8, s8, s18
	s_add_u32 s2, s12, s8
	s_addc_u32 s3, s13, 0
	v_and_b32_e32 v12, 48, v0
	s_ashr_i32 s10, s20, 31
	v_or_b32_e32 v13, s20, v12
	s_lshr_b32 s10, s10, 27
	v_add_u32_e32 v6, s10, v13
	v_ashrrev_i32_e32 v6, 5, v6
	v_mov_b32_e32 v14, s22
	v_cmp_gt_i32_e32 vcc, s33, v13
	v_cndmask_b32_e32 v6, v14, v6, vcc
	v_ashrrev_i32_e32 v7, 31, v6
	v_lshlrev_b64 v[6:7], 2, v[6:7]
	v_mov_b32_e32 v8, s21
	v_add_co_u32_e32 v6, vcc, s9, v6
	v_addc_co_u32_e32 v7, vcc, v8, v7, vcc
	v_or_b32_e32 v8, 64, v13
	v_add_u32_e32 v9, s10, v8
	v_ashrrev_i32_e32 v9, 5, v9
	v_cmp_gt_i32_e32 vcc, s33, v8
	v_cndmask_b32_e32 v8, v14, v9, vcc
	v_ashrrev_i32_e32 v9, 31, v8
	v_lshlrev_b64 v[8:9], 2, v[8:9]
	v_mov_b32_e32 v10, s21
	v_add_co_u32_e32 v8, vcc, s9, v8
	v_addc_co_u32_e32 v9, vcc, v10, v9, vcc
	v_or_b32_e32 v10, 0x80, v13
	v_add_u32_e32 v11, s10, v10
	v_ashrrev_i32_e32 v11, 5, v11
	v_cmp_gt_i32_e32 vcc, s33, v10
	v_cndmask_b32_e32 v10, v14, v11, vcc
	v_ashrrev_i32_e32 v11, 31, v10
	v_lshlrev_b64 v[10:11], 2, v[10:11]
	v_mov_b32_e32 v15, s21
	v_add_co_u32_e32 v10, vcc, s9, v10
	s_load_dwordx2 s[44:45], s[4:5], 0x94
	s_load_dwordx4 s[40:43], s[4:5], 0x80
	s_waitcnt lgkmcnt(0)
	s_barrier
	v_addc_co_u32_e32 v11, vcc, v15, v11, vcc
	global_load_dword v15, v[6:7], off
	global_load_dword v16, v[8:9], off
	;; [unrolled: 1-line block ×3, first 2 shown]
	v_or_b32_e32 v6, 0xc0, v13
	v_add_u32_e32 v7, s10, v6
	v_ashrrev_i32_e32 v7, 5, v7
	v_cmp_gt_i32_e32 vcc, s33, v6
	v_cndmask_b32_e32 v6, v14, v7, vcc
	v_ashrrev_i32_e32 v7, 31, v6
	v_lshlrev_b64 v[6:7], 2, v[6:7]
	v_mov_b32_e32 v8, s21
	v_add_co_u32_e32 v6, vcc, s9, v6
	v_addc_co_u32_e32 v7, vcc, v8, v7, vcc
	global_load_dword v20, v[6:7], off
	v_pk_mov_b32 v[6:7], s[2:3], s[2:3] op_sel:[0,1]
	s_waitcnt vmcnt(7)
	v_mad_i64_i32 v[8:9], s[2:3], v5, s17, v[6:7]
	v_lshlrev_b32_e32 v11, 4, v49
	v_add_co_u32_e32 v5, vcc, v8, v11
	v_lshlrev_b32_e32 v10, 5, v12
	v_addc_co_u32_e32 v9, vcc, 0, v9, vcc
	v_add_co_u32_e32 v8, vcc, v5, v10
	v_addc_co_u32_e32 v9, vcc, 0, v9, vcc
	s_waitcnt vmcnt(6)
	v_mad_i64_i32 v[4:5], s[2:3], v4, s17, v[6:7]
	v_or_b32_e32 v12, 0x100, v11
	v_add_co_u32_e32 v4, vcc, v4, v12
	v_addc_co_u32_e32 v5, vcc, 0, v5, vcc
	v_add_co_u32_e32 v4, vcc, v4, v10
	v_addc_co_u32_e32 v5, vcc, 0, v5, vcc
	global_load_dwordx4 v[30:33], v[8:9], off
	global_load_dwordx4 v[38:41], v[4:5], off
	s_waitcnt vmcnt(7)
	v_mad_i64_i32 v[4:5], s[2:3], v3, s17, v[6:7]
	v_add_co_u32_e32 v3, vcc, v4, v11
	v_addc_co_u32_e32 v5, vcc, 0, v5, vcc
	v_add_co_u32_e32 v4, vcc, v3, v10
	v_addc_co_u32_e32 v5, vcc, 0, v5, vcc
	s_waitcnt vmcnt(6)
	v_mad_i64_i32 v[2:3], s[2:3], v2, s17, v[6:7]
	v_add_co_u32_e32 v2, vcc, v2, v12
	v_addc_co_u32_e32 v3, vcc, 0, v3, vcc
	v_add_co_u32_e32 v2, vcc, v2, v10
	s_add_u32 s2, s14, s8
	v_addc_co_u32_e32 v3, vcc, 0, v3, vcc
	global_load_dwordx4 v[34:37], v[4:5], off
	global_load_dwordx4 v[22:25], v[2:3], off
	s_addc_u32 s3, s15, 0
	v_and_b32_e32 v2, 16, v0
	v_mov_b32_e32 v3, s3
	v_add_co_u32_e32 v2, vcc, s2, v2
	v_lshlrev_b32_e32 v48, 5, v49
	v_addc_co_u32_e32 v3, vcc, 0, v3, vcc
	v_lshl_or_b32 v4, v50, 9, v48
	v_add_co_u32_e32 v2, vcc, v2, v4
	v_addc_co_u32_e32 v3, vcc, 0, v3, vcc
	v_cmp_gt_u32_e32 vcc, 11, v49
	v_mov_b32_e32 v43, 0
	s_movk_i32 s8, 0x80
	v_mov_b32_e32 v44, 0
	s_waitcnt vmcnt(7)
	v_mad_i64_i32 v[4:5], s[2:3], v15, s17, v[2:3]
	s_waitcnt vmcnt(6)
	v_mad_i64_i32 v[6:7], s[2:3], v16, s17, v[2:3]
	;; [unrolled: 2-line block ×3, first 2 shown]
	global_load_dwordx4 v[14:17], v[4:5], off
	global_load_dwordx4 v[10:13], v[6:7], off
	s_waitcnt vmcnt(6)
	v_mad_i64_i32 v[20:21], s[2:3], v20, s17, v[2:3]
	global_load_dwordx4 v[6:9], v[18:19], off
	global_load_dwordx4 v[2:5], v[20:21], off
	v_add_u32_e32 v18, -11, v49
	v_cndmask_b32_e32 v18, v18, v49, vcc
	v_lshlrev_b32_e32 v18, 5, v18
	v_lshl_add_u32 v18, v1, 9, v18
	ds_read_b128 v[26:29], v18
	ds_read_b128 v[18:21], v18 offset:16
	s_load_dword s12, s[40:41], 0x0
	s_waitcnt vmcnt(7)
	v_cmp_ne_u16_sdwa s[10:11], v30, v43 src0_sel:BYTE_0 src1_sel:DWORD
	s_and_saveexec_b64 s[2:3], s[10:11]
	s_cbranch_execz .LBB600_17
; %bb.12:
	v_cmp_ne_u16_sdwa s[10:11], v30, s8 src0_sel:BYTE_0 src1_sel:DWORD
	v_bfrev_b32_e32 v44, 1
	s_and_saveexec_b64 s[8:9], s[10:11]
	s_cbranch_execz .LBB600_16
; %bb.13:
	s_movk_i32 s10, 0x7f
	v_and_b32_e32 v42, 0x7f, v30
	v_cmp_ne_u32_e32 vcc, s10, v42
	v_mov_b32_e32 v44, 0x7f800001
	s_and_saveexec_b64 s[10:11], vcc
	s_cbranch_execz .LBB600_15
; %bb.14:
	v_and_b32_e32 v51, 7, v30
	v_ffbh_u32_e32 v44, v51
	v_min_u32_e32 v53, 32, v44
	v_subrev_u32_e32 v44, 28, v53
	v_lshlrev_b64 v[44:45], v44, v[30:31]
	v_lshrrev_b32_e32 v52, 3, v42
	v_sub_u32_e32 v45, 29, v53
	v_and_b32_e32 v44, 7, v44
	v_cmp_gt_u32_e32 vcc, 8, v42
	v_cndmask_b32_e32 v42, v52, v45, vcc
	v_cndmask_b32_e32 v44, v51, v44, vcc
	v_lshlrev_b32_e32 v45, 24, v30
	v_bfrev_b32_e32 v51, 60
	v_lshlrev_b32_e32 v44, 20, v44
	v_and_b32_e32 v45, 0x80000000, v45
	v_lshl_add_u32 v42, v42, 23, v51
	v_or3_b32 v44, v45, v42, v44
.LBB600_15:
	s_or_b64 exec, exec, s[10:11]
.LBB600_16:
	s_or_b64 exec, exec, s[8:9]
.LBB600_17:
	s_or_b64 exec, exec, s[2:3]
	v_lshrrev_b16_e32 v42, 8, v30
	v_cmp_ne_u16_e32 vcc, 0, v42
	s_and_saveexec_b64 s[2:3], vcc
	s_cbranch_execz .LBB600_23
; %bb.18:
	s_movk_i32 s8, 0x80
	v_cmp_ne_u16_e32 vcc, s8, v42
	v_bfrev_b32_e32 v43, 1
	s_and_saveexec_b64 s[8:9], vcc
	s_cbranch_execz .LBB600_22
; %bb.19:
	s_movk_i32 s10, 0x7f
	v_and_b32_e32 v45, 0x7f, v42
	v_cmp_ne_u32_e32 vcc, s10, v45
	v_mov_b32_e32 v43, 0x7f800001
	s_and_saveexec_b64 s[10:11], vcc
	s_cbranch_execz .LBB600_21
; %bb.20:
	v_and_b32_e32 v51, 7, v42
	v_ffbh_u32_e32 v43, v51
	v_min_u32_e32 v53, 32, v43
	v_subrev_u32_e32 v43, 28, v53
	v_lshlrev_b64 v[42:43], v43, v[42:43]
	v_lshrrev_b32_e32 v52, 3, v45
	v_sub_u32_e32 v43, 29, v53
	v_and_b32_e32 v42, 7, v42
	v_cmp_gt_u32_e32 vcc, 8, v45
	v_cndmask_b32_e32 v43, v52, v43, vcc
	v_cndmask_b32_e32 v42, v51, v42, vcc
	v_lshlrev_b32_e32 v45, 16, v30
	v_bfrev_b32_e32 v51, 60
	v_lshlrev_b32_e32 v42, 20, v42
	v_and_b32_e32 v45, 0x80000000, v45
	v_lshl_add_u32 v43, v43, 23, v51
	v_or3_b32 v43, v45, v43, v42
.LBB600_21:
	s_or_b64 exec, exec, s[10:11]
.LBB600_22:
	s_or_b64 exec, exec, s[8:9]
.LBB600_23:
	s_or_b64 exec, exec, s[2:3]
	s_movk_i32 s2, 0xff
	v_and_b32_sdwa v52, v30, s2 dst_sel:DWORD dst_unused:UNUSED_PAD src0_sel:WORD_1 src1_sel:DWORD
	v_lshrrev_b32_e32 v42, 16, v30
	v_cmp_ne_u16_e32 vcc, 0, v52
	v_mov_b32_e32 v45, 0
	v_mov_b32_e32 v51, 0
	s_and_saveexec_b64 s[2:3], vcc
	s_cbranch_execz .LBB600_29
; %bb.24:
	s_movk_i32 s8, 0x80
	v_cmp_ne_u16_e32 vcc, s8, v52
	v_bfrev_b32_e32 v51, 1
	s_and_saveexec_b64 s[8:9], vcc
	s_cbranch_execz .LBB600_28
; %bb.25:
	v_bfe_u32 v52, v30, 16, 7
	s_movk_i32 s10, 0x7f
	v_cmp_ne_u32_e32 vcc, s10, v52
	v_mov_b32_e32 v51, 0x7f800001
	s_and_saveexec_b64 s[10:11], vcc
	s_cbranch_execz .LBB600_27
; %bb.26:
	v_and_b32_e32 v51, 7, v42
	v_ffbh_u32_e32 v54, v51
	v_min_u32_e32 v56, 32, v54
	v_subrev_u32_e32 v54, 28, v56
	v_lshlrev_b64 v[54:55], v54, v[42:43]
	v_lshrrev_b32_e32 v53, 3, v52
	v_sub_u32_e32 v42, 29, v56
	v_and_b32_e32 v54, 7, v54
	v_cmp_gt_u32_e32 vcc, 8, v52
	v_mov_b32_e32 v52, 24
	v_cndmask_b32_e32 v42, v53, v42, vcc
	v_cndmask_b32_e32 v51, v51, v54, vcc
	v_lshlrev_b32_sdwa v52, v52, v30 dst_sel:DWORD dst_unused:UNUSED_PAD src0_sel:DWORD src1_sel:WORD_1
	v_bfrev_b32_e32 v53, 60
	v_lshlrev_b32_e32 v51, 20, v51
	v_and_b32_e32 v52, 0x80000000, v52
	v_lshl_add_u32 v42, v42, 23, v53
	v_or3_b32 v51, v52, v42, v51
.LBB600_27:
	s_or_b64 exec, exec, s[10:11]
.LBB600_28:
	s_or_b64 exec, exec, s[8:9]
.LBB600_29:
	s_or_b64 exec, exec, s[2:3]
	s_mov_b32 s2, 0xffffff
	v_cmp_lt_u32_e32 vcc, s2, v30
	s_and_saveexec_b64 s[2:3], vcc
	s_cbranch_execz .LBB600_35
; %bb.30:
	v_lshrrev_b32_e32 v42, 24, v30
	s_movk_i32 s8, 0x80
	v_cmp_ne_u32_e32 vcc, s8, v42
	v_bfrev_b32_e32 v45, 1
	s_and_saveexec_b64 s[8:9], vcc
	s_cbranch_execz .LBB600_34
; %bb.31:
	v_bfe_u32 v30, v30, 24, 7
	s_movk_i32 s10, 0x7f
	v_cmp_ne_u32_e32 vcc, s10, v30
	v_mov_b32_e32 v45, 0x7f800001
	s_and_saveexec_b64 s[10:11], vcc
	s_cbranch_execz .LBB600_33
; %bb.32:
	v_and_b32_e32 v45, 7, v42
	v_ffbh_u32_e32 v52, v45
	v_min_u32_e32 v55, 32, v52
	v_subrev_u32_e32 v52, 28, v55
	v_lshlrev_b64 v[52:53], v52, v[42:43]
	v_lshrrev_b32_e32 v54, 3, v30
	v_sub_u32_e32 v53, 29, v55
	v_and_b32_e32 v52, 7, v52
	v_cmp_gt_u32_e32 vcc, 8, v30
	v_cndmask_b32_e32 v30, v54, v53, vcc
	v_cndmask_b32_e32 v45, v45, v52, vcc
	v_lshlrev_b32_e32 v42, 24, v42
	v_bfrev_b32_e32 v52, 60
	v_lshlrev_b32_e32 v45, 20, v45
	v_and_b32_e32 v42, 0x80000000, v42
	v_lshl_add_u32 v30, v30, 23, v52
	v_or3_b32 v45, v42, v30, v45
.LBB600_33:
	s_or_b64 exec, exec, s[10:11]
.LBB600_34:
	s_or_b64 exec, exec, s[8:9]
.LBB600_35:
	s_or_b64 exec, exec, s[2:3]
	v_mov_b32_e32 v42, 0
	v_cmp_ne_u16_sdwa s[8:9], v31, v42 src0_sel:BYTE_0 src1_sel:DWORD
	v_mov_b32_e32 v52, 0
	s_and_saveexec_b64 s[2:3], s[8:9]
	s_cbranch_execz .LBB600_41
; %bb.36:
	s_movk_i32 s8, 0x80
	v_cmp_ne_u16_sdwa s[10:11], v31, s8 src0_sel:BYTE_0 src1_sel:DWORD
	v_bfrev_b32_e32 v52, 1
	s_and_saveexec_b64 s[8:9], s[10:11]
	s_cbranch_execz .LBB600_40
; %bb.37:
	s_movk_i32 s10, 0x7f
	v_and_b32_e32 v30, 0x7f, v31
	v_cmp_ne_u32_e32 vcc, s10, v30
	v_mov_b32_e32 v52, 0x7f800001
	s_and_saveexec_b64 s[10:11], vcc
	s_cbranch_execz .LBB600_39
; %bb.38:
	v_and_b32_e32 v54, 7, v31
	v_ffbh_u32_e32 v53, v54
	v_min_u32_e32 v56, 32, v53
	v_mov_b32_e32 v52, v31
	v_subrev_u32_e32 v53, 28, v56
	v_lshlrev_b64 v[52:53], v53, v[52:53]
	v_lshrrev_b32_e32 v55, 3, v30
	v_sub_u32_e32 v53, 29, v56
	v_and_b32_e32 v52, 7, v52
	v_cmp_gt_u32_e32 vcc, 8, v30
	v_cndmask_b32_e32 v30, v55, v53, vcc
	v_cndmask_b32_e32 v52, v54, v52, vcc
	v_lshlrev_b32_e32 v53, 24, v31
	v_bfrev_b32_e32 v54, 60
	v_lshlrev_b32_e32 v52, 20, v52
	v_and_b32_e32 v53, 0x80000000, v53
	v_lshl_add_u32 v30, v30, 23, v54
	v_or3_b32 v52, v53, v30, v52
.LBB600_39:
	s_or_b64 exec, exec, s[10:11]
.LBB600_40:
	s_or_b64 exec, exec, s[8:9]
.LBB600_41:
	s_or_b64 exec, exec, s[2:3]
	v_lshrrev_b16_e32 v30, 8, v31
	v_cmp_ne_u16_e32 vcc, 0, v30
	s_and_saveexec_b64 s[2:3], vcc
	s_cbranch_execz .LBB600_47
; %bb.42:
	s_movk_i32 s8, 0x80
	v_cmp_ne_u16_e32 vcc, s8, v30
	v_bfrev_b32_e32 v42, 1
	s_and_saveexec_b64 s[8:9], vcc
	s_cbranch_execz .LBB600_46
; %bb.43:
	s_movk_i32 s10, 0x7f
	v_and_b32_e32 v53, 0x7f, v30
	v_cmp_ne_u32_e32 vcc, s10, v53
	v_mov_b32_e32 v42, 0x7f800001
	s_and_saveexec_b64 s[10:11], vcc
	s_cbranch_execz .LBB600_45
; %bb.44:
	v_and_b32_e32 v42, 7, v30
	v_ffbh_u32_e32 v54, v42
	v_min_u32_e32 v57, 32, v54
	v_subrev_u32_e32 v54, 28, v57
	v_lshlrev_b64 v[54:55], v54, v[30:31]
	v_lshrrev_b32_e32 v56, 3, v53
	v_sub_u32_e32 v30, 29, v57
	v_and_b32_e32 v54, 7, v54
	v_cmp_gt_u32_e32 vcc, 8, v53
	v_cndmask_b32_e32 v30, v56, v30, vcc
	v_cndmask_b32_e32 v42, v42, v54, vcc
	v_lshlrev_b32_e32 v53, 16, v31
	v_bfrev_b32_e32 v54, 60
	v_lshlrev_b32_e32 v42, 20, v42
	v_and_b32_e32 v53, 0x80000000, v53
	v_lshl_add_u32 v30, v30, 23, v54
	v_or3_b32 v42, v53, v30, v42
.LBB600_45:
	s_or_b64 exec, exec, s[10:11]
.LBB600_46:
	s_or_b64 exec, exec, s[8:9]
.LBB600_47:
	s_or_b64 exec, exec, s[2:3]
	s_movk_i32 s2, 0xff
	v_and_b32_sdwa v55, v31, s2 dst_sel:DWORD dst_unused:UNUSED_PAD src0_sel:WORD_1 src1_sel:DWORD
	v_lshrrev_b32_e32 v30, 16, v31
	v_cmp_ne_u16_e32 vcc, 0, v55
	v_mov_b32_e32 v53, 0
	v_mov_b32_e32 v54, 0
	s_and_saveexec_b64 s[2:3], vcc
	s_cbranch_execz .LBB600_53
; %bb.48:
	s_movk_i32 s8, 0x80
	v_cmp_ne_u16_e32 vcc, s8, v55
	v_bfrev_b32_e32 v54, 1
	s_and_saveexec_b64 s[8:9], vcc
	s_cbranch_execz .LBB600_52
; %bb.49:
	v_bfe_u32 v55, v31, 16, 7
	s_movk_i32 s10, 0x7f
	v_cmp_ne_u32_e32 vcc, s10, v55
	v_mov_b32_e32 v54, 0x7f800001
	s_and_saveexec_b64 s[10:11], vcc
	s_cbranch_execz .LBB600_51
; %bb.50:
	v_and_b32_e32 v54, 7, v30
	v_ffbh_u32_e32 v56, v54
	v_min_u32_e32 v59, 32, v56
	v_subrev_u32_e32 v56, 28, v59
	v_lshlrev_b64 v[56:57], v56, v[30:31]
	v_lshrrev_b32_e32 v58, 3, v55
	v_sub_u32_e32 v30, 29, v59
	v_and_b32_e32 v56, 7, v56
	v_cmp_gt_u32_e32 vcc, 8, v55
	v_mov_b32_e32 v55, 24
	v_cndmask_b32_e32 v30, v58, v30, vcc
	v_cndmask_b32_e32 v54, v54, v56, vcc
	v_lshlrev_b32_sdwa v55, v55, v31 dst_sel:DWORD dst_unused:UNUSED_PAD src0_sel:DWORD src1_sel:WORD_1
	v_bfrev_b32_e32 v56, 60
	v_lshlrev_b32_e32 v54, 20, v54
	v_and_b32_e32 v55, 0x80000000, v55
	v_lshl_add_u32 v30, v30, 23, v56
	v_or3_b32 v54, v55, v30, v54
.LBB600_51:
	s_or_b64 exec, exec, s[10:11]
.LBB600_52:
	s_or_b64 exec, exec, s[8:9]
.LBB600_53:
	s_or_b64 exec, exec, s[2:3]
	s_mov_b32 s2, 0xffffff
	v_cmp_lt_u32_e32 vcc, s2, v31
	s_and_saveexec_b64 s[2:3], vcc
	s_cbranch_execz .LBB600_59
; %bb.54:
	v_lshrrev_b32_e32 v30, 24, v31
	s_movk_i32 s8, 0x80
	v_cmp_ne_u32_e32 vcc, s8, v30
	v_bfrev_b32_e32 v53, 1
	s_and_saveexec_b64 s[8:9], vcc
	s_cbranch_execz .LBB600_58
; %bb.55:
	v_bfe_u32 v31, v31, 24, 7
	s_movk_i32 s10, 0x7f
	v_cmp_ne_u32_e32 vcc, s10, v31
	v_mov_b32_e32 v53, 0x7f800001
	s_and_saveexec_b64 s[10:11], vcc
	s_cbranch_execz .LBB600_57
; %bb.56:
	v_and_b32_e32 v53, 7, v30
	v_ffbh_u32_e32 v56, v53
	v_min_u32_e32 v58, 32, v56
	v_subrev_u32_e32 v56, 28, v58
	v_lshlrev_b64 v[56:57], v56, v[30:31]
	v_lshrrev_b32_e32 v55, 3, v31
	v_sub_u32_e32 v57, 29, v58
	v_and_b32_e32 v56, 7, v56
	v_cmp_gt_u32_e32 vcc, 8, v31
	v_cndmask_b32_e32 v31, v55, v57, vcc
	v_cndmask_b32_e32 v53, v53, v56, vcc
	v_lshlrev_b32_e32 v30, 24, v30
	v_bfrev_b32_e32 v55, 60
	v_lshlrev_b32_e32 v53, 20, v53
	v_and_b32_e32 v30, 0x80000000, v30
	v_lshl_add_u32 v31, v31, 23, v55
	v_or3_b32 v53, v30, v31, v53
.LBB600_57:
	s_or_b64 exec, exec, s[10:11]
.LBB600_58:
	s_or_b64 exec, exec, s[8:9]
.LBB600_59:
	s_or_b64 exec, exec, s[2:3]
	v_cvt_pkrtz_f16_f32 v30, v44, v43
	v_cvt_pkrtz_f16_f32 v31, v51, v45
	;; [unrolled: 1-line block ×4, first 2 shown]
	v_mov_b32_e32 v52, 0
	s_waitcnt lgkmcnt(0)
	v_mfma_f32_16x16x16f16 v[56:59], v[30:31], v[26:27], 0
	v_mov_b32_e32 v31, 0
	v_cmp_ne_u16_sdwa s[8:9], v32, v31 src0_sel:BYTE_0 src1_sel:DWORD
	v_mfma_f32_16x16x16f16 v[42:45], v[42:43], v[28:29], v[56:59]
	s_and_saveexec_b64 s[2:3], s[8:9]
	s_cbranch_execz .LBB600_65
; %bb.60:
	s_movk_i32 s8, 0x80
	v_cmp_ne_u16_sdwa s[10:11], v32, s8 src0_sel:BYTE_0 src1_sel:DWORD
	v_bfrev_b32_e32 v52, 1
	s_and_saveexec_b64 s[8:9], s[10:11]
	s_cbranch_execz .LBB600_64
; %bb.61:
	s_movk_i32 s10, 0x7f
	v_and_b32_e32 v30, 0x7f, v32
	v_cmp_ne_u32_e32 vcc, s10, v30
	v_mov_b32_e32 v52, 0x7f800001
	s_and_saveexec_b64 s[10:11], vcc
	s_cbranch_execz .LBB600_63
; %bb.62:
	v_and_b32_e32 v51, 7, v32
	v_ffbh_u32_e32 v52, v51
	v_min_u32_e32 v55, 32, v52
	v_subrev_u32_e32 v52, 28, v55
	v_lshlrev_b64 v[52:53], v52, v[32:33]
	v_lshrrev_b32_e32 v54, 3, v30
	v_sub_u32_e32 v53, 29, v55
	v_and_b32_e32 v52, 7, v52
	v_cmp_gt_u32_e32 vcc, 8, v30
	v_cndmask_b32_e32 v30, v54, v53, vcc
	v_cndmask_b32_e32 v51, v51, v52, vcc
	v_lshlrev_b32_e32 v52, 24, v32
	v_bfrev_b32_e32 v53, 60
	v_lshlrev_b32_e32 v51, 20, v51
	v_and_b32_e32 v52, 0x80000000, v52
	v_lshl_add_u32 v30, v30, 23, v53
	v_or3_b32 v52, v52, v30, v51
.LBB600_63:
	s_or_b64 exec, exec, s[10:11]
.LBB600_64:
	s_or_b64 exec, exec, s[8:9]
.LBB600_65:
	s_or_b64 exec, exec, s[2:3]
	v_lshrrev_b16_e32 v30, 8, v32
	v_cmp_ne_u16_e32 vcc, 0, v30
	v_mov_b32_e32 v53, 0
	s_and_saveexec_b64 s[2:3], vcc
	s_cbranch_execz .LBB600_71
; %bb.66:
	s_movk_i32 s8, 0x80
	v_cmp_ne_u16_e32 vcc, s8, v30
	v_bfrev_b32_e32 v53, 1
	s_and_saveexec_b64 s[8:9], vcc
	s_cbranch_execz .LBB600_70
; %bb.67:
	s_movk_i32 s10, 0x7f
	v_and_b32_e32 v51, 0x7f, v30
	v_cmp_ne_u32_e32 vcc, s10, v51
	v_mov_b32_e32 v53, 0x7f800001
	s_and_saveexec_b64 s[10:11], vcc
	s_cbranch_execz .LBB600_69
; %bb.68:
	v_and_b32_e32 v53, 7, v30
	v_ffbh_u32_e32 v54, v53
	v_min_u32_e32 v57, 32, v54
	v_subrev_u32_e32 v54, 28, v57
	v_lshlrev_b64 v[54:55], v54, v[30:31]
	v_lshrrev_b32_e32 v56, 3, v51
	v_sub_u32_e32 v30, 29, v57
	v_and_b32_e32 v54, 7, v54
	v_cmp_gt_u32_e32 vcc, 8, v51
	v_cndmask_b32_e32 v30, v56, v30, vcc
	v_cndmask_b32_e32 v51, v53, v54, vcc
	v_lshlrev_b32_e32 v53, 16, v32
	v_bfrev_b32_e32 v54, 60
	v_lshlrev_b32_e32 v51, 20, v51
	v_and_b32_e32 v53, 0x80000000, v53
	v_lshl_add_u32 v30, v30, 23, v54
	v_or3_b32 v53, v53, v30, v51
.LBB600_69:
	s_or_b64 exec, exec, s[10:11]
.LBB600_70:
	s_or_b64 exec, exec, s[8:9]
.LBB600_71:
	s_or_b64 exec, exec, s[2:3]
	s_movk_i32 s2, 0xff
	v_and_b32_sdwa v51, v32, s2 dst_sel:DWORD dst_unused:UNUSED_PAD src0_sel:WORD_1 src1_sel:DWORD
	v_lshrrev_b32_e32 v30, 16, v32
	v_cmp_ne_u16_e32 vcc, 0, v51
	s_and_saveexec_b64 s[2:3], vcc
	s_cbranch_execz .LBB600_77
; %bb.72:
	s_movk_i32 s8, 0x80
	v_cmp_ne_u16_e32 vcc, s8, v51
	v_bfrev_b32_e32 v31, 1
	s_and_saveexec_b64 s[8:9], vcc
	s_cbranch_execz .LBB600_76
; %bb.73:
	v_bfe_u32 v51, v32, 16, 7
	s_movk_i32 s10, 0x7f
	v_cmp_ne_u32_e32 vcc, s10, v51
	v_mov_b32_e32 v31, 0x7f800001
	s_and_saveexec_b64 s[10:11], vcc
	s_cbranch_execz .LBB600_75
; %bb.74:
	v_and_b32_e32 v54, 7, v30
	v_ffbh_u32_e32 v31, v54
	v_min_u32_e32 v56, 32, v31
	v_subrev_u32_e32 v31, 28, v56
	v_lshlrev_b64 v[30:31], v31, v[30:31]
	v_lshrrev_b32_e32 v55, 3, v51
	v_sub_u32_e32 v31, 29, v56
	v_and_b32_e32 v30, 7, v30
	v_cmp_gt_u32_e32 vcc, 8, v51
	v_mov_b32_e32 v51, 24
	v_cndmask_b32_e32 v31, v55, v31, vcc
	v_cndmask_b32_e32 v30, v54, v30, vcc
	v_lshlrev_b32_sdwa v51, v51, v32 dst_sel:DWORD dst_unused:UNUSED_PAD src0_sel:DWORD src1_sel:WORD_1
	v_bfrev_b32_e32 v54, 60
	v_lshlrev_b32_e32 v30, 20, v30
	v_and_b32_e32 v51, 0x80000000, v51
	v_lshl_add_u32 v31, v31, 23, v54
	v_or3_b32 v31, v51, v31, v30
.LBB600_75:
	s_or_b64 exec, exec, s[10:11]
.LBB600_76:
	s_or_b64 exec, exec, s[8:9]
.LBB600_77:
	s_or_b64 exec, exec, s[2:3]
	s_mov_b32 s2, 0xffffff
	v_cmp_lt_u32_e32 vcc, s2, v32
	v_mov_b32_e32 v54, 0
	v_mov_b32_e32 v55, 0
	s_and_saveexec_b64 s[2:3], vcc
	s_cbranch_execz .LBB600_83
; %bb.78:
	v_lshrrev_b32_e32 v30, 24, v32
	s_movk_i32 s8, 0x80
	v_cmp_ne_u32_e32 vcc, s8, v30
	v_bfrev_b32_e32 v55, 1
	s_and_saveexec_b64 s[8:9], vcc
	s_cbranch_execz .LBB600_82
; %bb.79:
	v_bfe_u32 v32, v32, 24, 7
	s_movk_i32 s10, 0x7f
	v_cmp_ne_u32_e32 vcc, s10, v32
	v_mov_b32_e32 v55, 0x7f800001
	s_and_saveexec_b64 s[10:11], vcc
	s_cbranch_execz .LBB600_81
; %bb.80:
	v_and_b32_e32 v51, 7, v30
	v_ffbh_u32_e32 v56, v51
	v_min_u32_e32 v58, 32, v56
	v_subrev_u32_e32 v56, 28, v58
	v_lshlrev_b64 v[56:57], v56, v[30:31]
	v_lshrrev_b32_e32 v55, 3, v32
	v_sub_u32_e32 v57, 29, v58
	v_and_b32_e32 v56, 7, v56
	v_cmp_gt_u32_e32 vcc, 8, v32
	v_cndmask_b32_e32 v32, v55, v57, vcc
	v_cndmask_b32_e32 v51, v51, v56, vcc
	v_lshlrev_b32_e32 v30, 24, v30
	v_bfrev_b32_e32 v55, 60
	v_lshlrev_b32_e32 v51, 20, v51
	v_and_b32_e32 v30, 0x80000000, v30
	v_lshl_add_u32 v32, v32, 23, v55
	v_or3_b32 v55, v30, v32, v51
.LBB600_81:
	s_or_b64 exec, exec, s[10:11]
.LBB600_82:
	s_or_b64 exec, exec, s[8:9]
.LBB600_83:
	s_or_b64 exec, exec, s[2:3]
	v_cmp_ne_u16_sdwa s[8:9], v33, v54 src0_sel:BYTE_0 src1_sel:DWORD
	s_and_saveexec_b64 s[2:3], s[8:9]
	s_cbranch_execz .LBB600_89
; %bb.84:
	s_movk_i32 s8, 0x80
	v_cmp_ne_u16_sdwa s[10:11], v33, s8 src0_sel:BYTE_0 src1_sel:DWORD
	v_bfrev_b32_e32 v54, 1
	s_and_saveexec_b64 s[8:9], s[10:11]
	s_cbranch_execz .LBB600_88
; %bb.85:
	s_movk_i32 s10, 0x7f
	v_and_b32_e32 v30, 0x7f, v33
	v_cmp_ne_u32_e32 vcc, s10, v30
	v_mov_b32_e32 v54, 0x7f800001
	s_and_saveexec_b64 s[10:11], vcc
	s_cbranch_execz .LBB600_87
; %bb.86:
	v_and_b32_e32 v51, 7, v33
	v_ffbh_u32_e32 v56, v51
	v_min_u32_e32 v58, 32, v56
	v_mov_b32_e32 v32, v33
	v_subrev_u32_e32 v56, 28, v58
	v_lshlrev_b64 v[56:57], v56, v[32:33]
	v_lshrrev_b32_e32 v54, 3, v30
	v_sub_u32_e32 v32, 29, v58
	v_and_b32_e32 v56, 7, v56
	v_cmp_gt_u32_e32 vcc, 8, v30
	v_cndmask_b32_e32 v30, v54, v32, vcc
	v_cndmask_b32_e32 v32, v51, v56, vcc
	v_lshlrev_b32_e32 v51, 24, v33
	v_bfrev_b32_e32 v54, 60
	v_lshlrev_b32_e32 v32, 20, v32
	v_and_b32_e32 v51, 0x80000000, v51
	v_lshl_add_u32 v30, v30, 23, v54
	v_or3_b32 v54, v51, v30, v32
.LBB600_87:
	s_or_b64 exec, exec, s[10:11]
.LBB600_88:
	s_or_b64 exec, exec, s[8:9]
.LBB600_89:
	s_or_b64 exec, exec, s[2:3]
	v_lshrrev_b16_e32 v30, 8, v33
	v_cmp_ne_u16_e32 vcc, 0, v30
	v_mov_b32_e32 v32, 0
	v_mov_b32_e32 v56, 0
	s_and_saveexec_b64 s[2:3], vcc
	s_cbranch_execz .LBB600_95
; %bb.90:
	s_movk_i32 s8, 0x80
	v_cmp_ne_u16_e32 vcc, s8, v30
	v_bfrev_b32_e32 v56, 1
	s_and_saveexec_b64 s[8:9], vcc
	s_cbranch_execz .LBB600_94
; %bb.91:
	s_movk_i32 s10, 0x7f
	v_and_b32_e32 v51, 0x7f, v30
	v_cmp_ne_u32_e32 vcc, s10, v51
	v_mov_b32_e32 v56, 0x7f800001
	s_and_saveexec_b64 s[10:11], vcc
	s_cbranch_execz .LBB600_93
; %bb.92:
	v_and_b32_e32 v58, 7, v30
	v_ffbh_u32_e32 v56, v58
	v_min_u32_e32 v60, 32, v56
	v_subrev_u32_e32 v56, 28, v60
	v_lshlrev_b64 v[56:57], v56, v[30:31]
	v_lshrrev_b32_e32 v59, 3, v51
	v_sub_u32_e32 v30, 29, v60
	v_and_b32_e32 v56, 7, v56
	v_cmp_gt_u32_e32 vcc, 8, v51
	v_cndmask_b32_e32 v30, v59, v30, vcc
	v_cndmask_b32_e32 v51, v58, v56, vcc
	v_lshlrev_b32_e32 v56, 16, v33
	v_bfrev_b32_e32 v57, 60
	v_lshlrev_b32_e32 v51, 20, v51
	v_and_b32_e32 v56, 0x80000000, v56
	v_lshl_add_u32 v30, v30, 23, v57
	v_or3_b32 v56, v56, v30, v51
.LBB600_93:
	s_or_b64 exec, exec, s[10:11]
.LBB600_94:
	s_or_b64 exec, exec, s[8:9]
.LBB600_95:
	s_or_b64 exec, exec, s[2:3]
	s_movk_i32 s2, 0xff
	v_and_b32_sdwa v51, v33, s2 dst_sel:DWORD dst_unused:UNUSED_PAD src0_sel:WORD_1 src1_sel:DWORD
	v_lshrrev_b32_e32 v30, 16, v33
	v_cmp_ne_u16_e32 vcc, 0, v51
	s_and_saveexec_b64 s[2:3], vcc
	s_cbranch_execz .LBB600_101
; %bb.96:
	s_movk_i32 s8, 0x80
	v_cmp_ne_u16_e32 vcc, s8, v51
	v_bfrev_b32_e32 v32, 1
	s_and_saveexec_b64 s[8:9], vcc
	s_cbranch_execz .LBB600_100
; %bb.97:
	v_bfe_u32 v51, v33, 16, 7
	s_movk_i32 s10, 0x7f
	v_cmp_ne_u32_e32 vcc, s10, v51
	v_mov_b32_e32 v32, 0x7f800001
	s_and_saveexec_b64 s[10:11], vcc
	s_cbranch_execz .LBB600_99
; %bb.98:
	v_and_b32_e32 v32, 7, v30
	v_ffbh_u32_e32 v58, v32
	v_min_u32_e32 v60, 32, v58
	v_subrev_u32_e32 v58, 28, v60
	v_lshlrev_b64 v[58:59], v58, v[30:31]
	v_lshrrev_b32_e32 v57, 3, v51
	v_sub_u32_e32 v30, 29, v60
	v_and_b32_e32 v58, 7, v58
	v_cmp_gt_u32_e32 vcc, 8, v51
	v_mov_b32_e32 v51, 24
	v_cndmask_b32_e32 v30, v57, v30, vcc
	v_cndmask_b32_e32 v32, v32, v58, vcc
	v_lshlrev_b32_sdwa v51, v51, v33 dst_sel:DWORD dst_unused:UNUSED_PAD src0_sel:DWORD src1_sel:WORD_1
	v_bfrev_b32_e32 v57, 60
	v_lshlrev_b32_e32 v32, 20, v32
	v_and_b32_e32 v51, 0x80000000, v51
	v_lshl_add_u32 v30, v30, 23, v57
	v_or3_b32 v32, v51, v30, v32
.LBB600_99:
	s_or_b64 exec, exec, s[10:11]
.LBB600_100:
	s_or_b64 exec, exec, s[8:9]
.LBB600_101:
	s_or_b64 exec, exec, s[2:3]
	s_mov_b32 s2, 0xffffff
	v_cmp_lt_u32_e32 vcc, s2, v33
	v_mov_b32_e32 v51, 0
	v_mov_b32_e32 v57, 0
	s_and_saveexec_b64 s[2:3], vcc
	s_cbranch_execz .LBB600_107
; %bb.102:
	v_lshrrev_b32_e32 v30, 24, v33
	s_movk_i32 s8, 0x80
	v_cmp_ne_u32_e32 vcc, s8, v30
	v_bfrev_b32_e32 v57, 1
	s_and_saveexec_b64 s[8:9], vcc
	s_cbranch_execz .LBB600_106
; %bb.103:
	v_bfe_u32 v33, v33, 24, 7
	s_movk_i32 s10, 0x7f
	v_cmp_ne_u32_e32 vcc, s10, v33
	v_mov_b32_e32 v57, 0x7f800001
	s_and_saveexec_b64 s[10:11], vcc
	s_cbranch_execz .LBB600_105
; %bb.104:
	v_and_b32_e32 v57, 7, v30
	v_ffbh_u32_e32 v58, v57
	v_min_u32_e32 v61, 32, v58
	v_subrev_u32_e32 v58, 28, v61
	v_lshlrev_b64 v[58:59], v58, v[30:31]
	v_lshrrev_b32_e32 v60, 3, v33
	v_sub_u32_e32 v59, 29, v61
	v_and_b32_e32 v58, 7, v58
	v_cmp_gt_u32_e32 vcc, 8, v33
	v_cndmask_b32_e32 v33, v60, v59, vcc
	v_cndmask_b32_e32 v57, v57, v58, vcc
	v_lshlrev_b32_e32 v30, 24, v30
	v_bfrev_b32_e32 v58, 60
	v_lshlrev_b32_e32 v57, 20, v57
	v_and_b32_e32 v30, 0x80000000, v30
	v_lshl_add_u32 v33, v33, 23, v58
	v_or3_b32 v57, v30, v33, v57
.LBB600_105:
	s_or_b64 exec, exec, s[10:11]
.LBB600_106:
	s_or_b64 exec, exec, s[8:9]
.LBB600_107:
	s_or_b64 exec, exec, s[2:3]
	v_cvt_pkrtz_f16_f32 v30, v52, v53
	v_cvt_pkrtz_f16_f32 v31, v31, v55
	s_waitcnt vmcnt(6)
	v_cmp_ne_u16_sdwa s[8:9], v38, v51 src0_sel:BYTE_0 src1_sel:DWORD
	v_mfma_f32_16x16x16f16 v[42:45], v[30:31], v[18:19], v[42:45]
	v_cvt_pkrtz_f16_f32 v30, v54, v56
	v_cvt_pkrtz_f16_f32 v31, v32, v57
	s_nop 1
	v_mfma_f32_16x16x16f16 v[30:33], v[30:31], v[20:21], v[42:45]
	s_and_saveexec_b64 s[2:3], s[8:9]
	s_cbranch_execz .LBB600_113
; %bb.108:
	s_movk_i32 s8, 0x80
	v_cmp_ne_u16_sdwa s[10:11], v38, s8 src0_sel:BYTE_0 src1_sel:DWORD
	v_bfrev_b32_e32 v51, 1
	s_and_saveexec_b64 s[8:9], s[10:11]
	s_cbranch_execz .LBB600_112
; %bb.109:
	s_movk_i32 s10, 0x7f
	v_and_b32_e32 v42, 0x7f, v38
	v_cmp_ne_u32_e32 vcc, s10, v42
	v_mov_b32_e32 v51, 0x7f800001
	s_and_saveexec_b64 s[10:11], vcc
	s_cbranch_execz .LBB600_111
; %bb.110:
	v_and_b32_e32 v43, 7, v38
	v_ffbh_u32_e32 v44, v43
	v_min_u32_e32 v52, 32, v44
	v_subrev_u32_e32 v44, 28, v52
	v_lshlrev_b64 v[44:45], v44, v[38:39]
	v_lshrrev_b32_e32 v51, 3, v42
	v_sub_u32_e32 v45, 29, v52
	v_and_b32_e32 v44, 7, v44
	v_cmp_gt_u32_e32 vcc, 8, v42
	v_cndmask_b32_e32 v42, v51, v45, vcc
	v_cndmask_b32_e32 v43, v43, v44, vcc
	v_lshlrev_b32_e32 v44, 24, v38
	v_bfrev_b32_e32 v45, 60
	v_lshlrev_b32_e32 v43, 20, v43
	v_and_b32_e32 v44, 0x80000000, v44
	v_lshl_add_u32 v42, v42, 23, v45
	v_or3_b32 v51, v44, v42, v43
.LBB600_111:
	s_or_b64 exec, exec, s[10:11]
.LBB600_112:
	s_or_b64 exec, exec, s[8:9]
.LBB600_113:
	s_or_b64 exec, exec, s[2:3]
	s_nop 3
	v_lshrrev_b16_e32 v42, 8, v38
	v_cmp_ne_u16_e32 vcc, 0, v42
	v_mov_b32_e32 v43, 0
	v_mov_b32_e32 v44, 0
	s_and_saveexec_b64 s[2:3], vcc
	s_cbranch_execz .LBB600_119
; %bb.114:
	s_movk_i32 s8, 0x80
	v_cmp_ne_u16_e32 vcc, s8, v42
	v_bfrev_b32_e32 v44, 1
	s_and_saveexec_b64 s[8:9], vcc
	s_cbranch_execz .LBB600_118
; %bb.115:
	s_movk_i32 s10, 0x7f
	v_and_b32_e32 v45, 0x7f, v42
	v_cmp_ne_u32_e32 vcc, s10, v45
	v_mov_b32_e32 v44, 0x7f800001
	s_and_saveexec_b64 s[10:11], vcc
	s_cbranch_execz .LBB600_117
; %bb.116:
	v_and_b32_e32 v44, 7, v42
	v_ffbh_u32_e32 v52, v44
	v_min_u32_e32 v55, 32, v52
	v_subrev_u32_e32 v52, 28, v55
	v_lshlrev_b64 v[52:53], v52, v[42:43]
	v_lshrrev_b32_e32 v54, 3, v45
	v_sub_u32_e32 v42, 29, v55
	v_and_b32_e32 v52, 7, v52
	v_cmp_gt_u32_e32 vcc, 8, v45
	v_cndmask_b32_e32 v42, v54, v42, vcc
	v_cndmask_b32_e32 v44, v44, v52, vcc
	v_lshlrev_b32_e32 v45, 16, v38
	v_bfrev_b32_e32 v52, 60
	v_lshlrev_b32_e32 v44, 20, v44
	v_and_b32_e32 v45, 0x80000000, v45
	v_lshl_add_u32 v42, v42, 23, v52
	v_or3_b32 v44, v45, v42, v44
.LBB600_117:
	s_or_b64 exec, exec, s[10:11]
.LBB600_118:
	s_or_b64 exec, exec, s[8:9]
.LBB600_119:
	s_or_b64 exec, exec, s[2:3]
	s_movk_i32 s2, 0xff
	v_and_b32_sdwa v45, v38, s2 dst_sel:DWORD dst_unused:UNUSED_PAD src0_sel:WORD_1 src1_sel:DWORD
	v_lshrrev_b32_e32 v42, 16, v38
	v_cmp_ne_u16_e32 vcc, 0, v45
	s_and_saveexec_b64 s[2:3], vcc
	s_cbranch_execz .LBB600_125
; %bb.120:
	s_movk_i32 s8, 0x80
	v_cmp_ne_u16_e32 vcc, s8, v45
	v_bfrev_b32_e32 v43, 1
	s_and_saveexec_b64 s[8:9], vcc
	s_cbranch_execz .LBB600_124
; %bb.121:
	v_bfe_u32 v45, v38, 16, 7
	s_movk_i32 s10, 0x7f
	v_cmp_ne_u32_e32 vcc, s10, v45
	v_mov_b32_e32 v43, 0x7f800001
	s_and_saveexec_b64 s[10:11], vcc
	s_cbranch_execz .LBB600_123
; %bb.122:
	v_and_b32_e32 v52, 7, v42
	v_ffbh_u32_e32 v43, v52
	v_min_u32_e32 v54, 32, v43
	v_subrev_u32_e32 v43, 28, v54
	v_lshlrev_b64 v[42:43], v43, v[42:43]
	v_lshrrev_b32_e32 v53, 3, v45
	v_sub_u32_e32 v43, 29, v54
	v_and_b32_e32 v42, 7, v42
	v_cmp_gt_u32_e32 vcc, 8, v45
	v_mov_b32_e32 v45, 24
	v_cndmask_b32_e32 v43, v53, v43, vcc
	v_cndmask_b32_e32 v42, v52, v42, vcc
	v_lshlrev_b32_sdwa v45, v45, v38 dst_sel:DWORD dst_unused:UNUSED_PAD src0_sel:DWORD src1_sel:WORD_1
	v_bfrev_b32_e32 v52, 60
	v_lshlrev_b32_e32 v42, 20, v42
	v_and_b32_e32 v45, 0x80000000, v45
	v_lshl_add_u32 v43, v43, 23, v52
	v_or3_b32 v43, v45, v43, v42
.LBB600_123:
	s_or_b64 exec, exec, s[10:11]
.LBB600_124:
	s_or_b64 exec, exec, s[8:9]
.LBB600_125:
	s_or_b64 exec, exec, s[2:3]
	s_mov_b32 s2, 0xffffff
	v_cmp_lt_u32_e32 vcc, s2, v38
	v_mov_b32_e32 v45, 0
	v_mov_b32_e32 v53, 0
	s_and_saveexec_b64 s[2:3], vcc
	s_cbranch_execz .LBB600_131
; %bb.126:
	v_lshrrev_b32_e32 v42, 24, v38
	s_movk_i32 s8, 0x80
	v_cmp_ne_u32_e32 vcc, s8, v42
	v_bfrev_b32_e32 v53, 1
	s_and_saveexec_b64 s[8:9], vcc
	s_cbranch_execz .LBB600_130
; %bb.127:
	v_bfe_u32 v38, v38, 24, 7
	s_movk_i32 s10, 0x7f
	v_cmp_ne_u32_e32 vcc, s10, v38
	v_mov_b32_e32 v53, 0x7f800001
	s_and_saveexec_b64 s[10:11], vcc
	s_cbranch_execz .LBB600_129
; %bb.128:
	v_and_b32_e32 v54, 7, v42
	v_ffbh_u32_e32 v52, v54
	v_min_u32_e32 v56, 32, v52
	v_subrev_u32_e32 v52, 28, v56
	v_lshlrev_b64 v[52:53], v52, v[42:43]
	v_lshrrev_b32_e32 v55, 3, v38
	v_sub_u32_e32 v53, 29, v56
	v_and_b32_e32 v52, 7, v52
	v_cmp_gt_u32_e32 vcc, 8, v38
	v_cndmask_b32_e32 v38, v55, v53, vcc
	v_cndmask_b32_e32 v52, v54, v52, vcc
	v_lshlrev_b32_e32 v42, 24, v42
	v_bfrev_b32_e32 v53, 60
	v_lshlrev_b32_e32 v52, 20, v52
	v_and_b32_e32 v42, 0x80000000, v42
	v_lshl_add_u32 v38, v38, 23, v53
	v_or3_b32 v53, v42, v38, v52
.LBB600_129:
	s_or_b64 exec, exec, s[10:11]
.LBB600_130:
	s_or_b64 exec, exec, s[8:9]
.LBB600_131:
	s_or_b64 exec, exec, s[2:3]
	v_cmp_ne_u16_sdwa s[8:9], v39, v45 src0_sel:BYTE_0 src1_sel:DWORD
	s_and_saveexec_b64 s[2:3], s[8:9]
	s_cbranch_execz .LBB600_137
; %bb.132:
	s_movk_i32 s8, 0x80
	v_cmp_ne_u16_sdwa s[10:11], v39, s8 src0_sel:BYTE_0 src1_sel:DWORD
	v_bfrev_b32_e32 v45, 1
	s_and_saveexec_b64 s[8:9], s[10:11]
	s_cbranch_execz .LBB600_136
; %bb.133:
	s_movk_i32 s10, 0x7f
	v_and_b32_e32 v38, 0x7f, v39
	v_cmp_ne_u32_e32 vcc, s10, v38
	v_mov_b32_e32 v45, 0x7f800001
	s_and_saveexec_b64 s[10:11], vcc
	s_cbranch_execz .LBB600_135
; %bb.134:
	v_and_b32_e32 v45, 7, v39
	v_ffbh_u32_e32 v54, v45
	v_min_u32_e32 v56, 32, v54
	v_mov_b32_e32 v42, v39
	v_subrev_u32_e32 v54, 28, v56
	v_lshlrev_b64 v[54:55], v54, v[42:43]
	v_lshrrev_b32_e32 v52, 3, v38
	v_sub_u32_e32 v42, 29, v56
	v_and_b32_e32 v54, 7, v54
	v_cmp_gt_u32_e32 vcc, 8, v38
	v_cndmask_b32_e32 v38, v52, v42, vcc
	v_cndmask_b32_e32 v42, v45, v54, vcc
	v_lshlrev_b32_e32 v45, 24, v39
	v_bfrev_b32_e32 v52, 60
	v_lshlrev_b32_e32 v42, 20, v42
	v_and_b32_e32 v45, 0x80000000, v45
	v_lshl_add_u32 v38, v38, 23, v52
	v_or3_b32 v45, v45, v38, v42
.LBB600_135:
	s_or_b64 exec, exec, s[10:11]
.LBB600_136:
	s_or_b64 exec, exec, s[8:9]
.LBB600_137:
	s_or_b64 exec, exec, s[2:3]
	v_lshrrev_b16_e32 v38, 8, v39
	v_cmp_ne_u16_e32 vcc, 0, v38
	v_mov_b32_e32 v42, 0
	v_mov_b32_e32 v54, 0
	s_and_saveexec_b64 s[2:3], vcc
	s_cbranch_execz .LBB600_143
; %bb.138:
	s_movk_i32 s8, 0x80
	v_cmp_ne_u16_e32 vcc, s8, v38
	v_bfrev_b32_e32 v54, 1
	s_and_saveexec_b64 s[8:9], vcc
	s_cbranch_execz .LBB600_142
; %bb.139:
	s_movk_i32 s10, 0x7f
	v_and_b32_e32 v52, 0x7f, v38
	v_cmp_ne_u32_e32 vcc, s10, v52
	v_mov_b32_e32 v54, 0x7f800001
	s_and_saveexec_b64 s[10:11], vcc
	s_cbranch_execz .LBB600_141
; %bb.140:
	v_and_b32_e32 v56, 7, v38
	v_ffbh_u32_e32 v54, v56
	v_min_u32_e32 v58, 32, v54
	v_subrev_u32_e32 v54, 28, v58
	v_lshlrev_b64 v[54:55], v54, v[38:39]
	v_lshrrev_b32_e32 v57, 3, v52
	v_sub_u32_e32 v38, 29, v58
	v_and_b32_e32 v54, 7, v54
	v_cmp_gt_u32_e32 vcc, 8, v52
	v_cndmask_b32_e32 v38, v57, v38, vcc
	v_cndmask_b32_e32 v52, v56, v54, vcc
	v_lshlrev_b32_e32 v54, 16, v39
	v_bfrev_b32_e32 v55, 60
	v_lshlrev_b32_e32 v52, 20, v52
	v_and_b32_e32 v54, 0x80000000, v54
	v_lshl_add_u32 v38, v38, 23, v55
	v_or3_b32 v54, v54, v38, v52
.LBB600_141:
	s_or_b64 exec, exec, s[10:11]
.LBB600_142:
	s_or_b64 exec, exec, s[8:9]
.LBB600_143:
	s_or_b64 exec, exec, s[2:3]
	s_movk_i32 s2, 0xff
	v_and_b32_sdwa v52, v39, s2 dst_sel:DWORD dst_unused:UNUSED_PAD src0_sel:WORD_1 src1_sel:DWORD
	v_lshrrev_b32_e32 v38, 16, v39
	v_cmp_ne_u16_e32 vcc, 0, v52
	s_and_saveexec_b64 s[2:3], vcc
	s_cbranch_execz .LBB600_149
; %bb.144:
	s_movk_i32 s8, 0x80
	v_cmp_ne_u16_e32 vcc, s8, v52
	v_bfrev_b32_e32 v42, 1
	s_and_saveexec_b64 s[8:9], vcc
	s_cbranch_execz .LBB600_148
; %bb.145:
	v_bfe_u32 v52, v39, 16, 7
	s_movk_i32 s10, 0x7f
	v_cmp_ne_u32_e32 vcc, s10, v52
	v_mov_b32_e32 v42, 0x7f800001
	s_and_saveexec_b64 s[10:11], vcc
	s_cbranch_execz .LBB600_147
; %bb.146:
	v_and_b32_e32 v42, 7, v38
	v_ffbh_u32_e32 v56, v42
	v_min_u32_e32 v58, 32, v56
	v_subrev_u32_e32 v56, 28, v58
	v_lshlrev_b64 v[56:57], v56, v[38:39]
	v_lshrrev_b32_e32 v55, 3, v52
	v_sub_u32_e32 v38, 29, v58
	v_and_b32_e32 v56, 7, v56
	v_cmp_gt_u32_e32 vcc, 8, v52
	v_mov_b32_e32 v52, 24
	v_cndmask_b32_e32 v38, v55, v38, vcc
	v_cndmask_b32_e32 v42, v42, v56, vcc
	v_lshlrev_b32_sdwa v52, v52, v39 dst_sel:DWORD dst_unused:UNUSED_PAD src0_sel:DWORD src1_sel:WORD_1
	v_bfrev_b32_e32 v55, 60
	v_lshlrev_b32_e32 v42, 20, v42
	v_and_b32_e32 v52, 0x80000000, v52
	v_lshl_add_u32 v38, v38, 23, v55
	v_or3_b32 v42, v52, v38, v42
.LBB600_147:
	s_or_b64 exec, exec, s[10:11]
.LBB600_148:
	s_or_b64 exec, exec, s[8:9]
.LBB600_149:
	s_or_b64 exec, exec, s[2:3]
	s_mov_b32 s2, 0xffffff
	v_cmp_lt_u32_e32 vcc, s2, v39
	v_mov_b32_e32 v52, 0
	v_mov_b32_e32 v55, 0
	s_and_saveexec_b64 s[2:3], vcc
	s_cbranch_execz .LBB600_155
; %bb.150:
	v_lshrrev_b32_e32 v38, 24, v39
	s_movk_i32 s8, 0x80
	v_cmp_ne_u32_e32 vcc, s8, v38
	v_bfrev_b32_e32 v55, 1
	s_and_saveexec_b64 s[8:9], vcc
	s_cbranch_execz .LBB600_154
; %bb.151:
	v_bfe_u32 v39, v39, 24, 7
	s_movk_i32 s10, 0x7f
	v_cmp_ne_u32_e32 vcc, s10, v39
	v_mov_b32_e32 v55, 0x7f800001
	s_and_saveexec_b64 s[10:11], vcc
	s_cbranch_execz .LBB600_153
; %bb.152:
	v_and_b32_e32 v55, 7, v38
	v_ffbh_u32_e32 v56, v55
	v_min_u32_e32 v59, 32, v56
	v_subrev_u32_e32 v56, 28, v59
	v_lshlrev_b64 v[56:57], v56, v[38:39]
	v_lshrrev_b32_e32 v58, 3, v39
	v_sub_u32_e32 v57, 29, v59
	v_and_b32_e32 v56, 7, v56
	v_cmp_gt_u32_e32 vcc, 8, v39
	v_cndmask_b32_e32 v39, v58, v57, vcc
	v_cndmask_b32_e32 v55, v55, v56, vcc
	v_lshlrev_b32_e32 v38, 24, v38
	v_bfrev_b32_e32 v56, 60
	v_lshlrev_b32_e32 v55, 20, v55
	v_and_b32_e32 v38, 0x80000000, v38
	v_lshl_add_u32 v39, v39, 23, v56
	v_or3_b32 v55, v38, v39, v55
.LBB600_153:
	s_or_b64 exec, exec, s[10:11]
.LBB600_154:
	s_or_b64 exec, exec, s[8:9]
.LBB600_155:
	s_or_b64 exec, exec, s[2:3]
	v_cvt_pkrtz_f16_f32 v38, v51, v44
	v_cvt_pkrtz_f16_f32 v39, v43, v53
	v_cmp_ne_u16_sdwa s[8:9], v40, v52 src0_sel:BYTE_0 src1_sel:DWORD
	s_nop 0
	v_mfma_f32_16x16x16f16 v[56:59], v[38:39], v[26:27], 0
	v_cvt_pkrtz_f16_f32 v38, v45, v54
	v_cvt_pkrtz_f16_f32 v39, v42, v55
	s_nop 1
	v_mfma_f32_16x16x16f16 v[42:45], v[38:39], v[28:29], v[56:59]
	s_and_saveexec_b64 s[2:3], s[8:9]
	s_cbranch_execz .LBB600_161
; %bb.156:
	s_movk_i32 s8, 0x80
	v_cmp_ne_u16_sdwa s[10:11], v40, s8 src0_sel:BYTE_0 src1_sel:DWORD
	v_bfrev_b32_e32 v52, 1
	s_and_saveexec_b64 s[8:9], s[10:11]
	s_cbranch_execz .LBB600_160
; %bb.157:
	s_movk_i32 s10, 0x7f
	v_and_b32_e32 v38, 0x7f, v40
	v_cmp_ne_u32_e32 vcc, s10, v38
	v_mov_b32_e32 v52, 0x7f800001
	s_and_saveexec_b64 s[10:11], vcc
	s_cbranch_execz .LBB600_159
; %bb.158:
	v_and_b32_e32 v39, 7, v40
	v_ffbh_u32_e32 v52, v39
	v_min_u32_e32 v54, 32, v52
	v_subrev_u32_e32 v52, 28, v54
	v_lshlrev_b64 v[52:53], v52, v[40:41]
	v_lshrrev_b32_e32 v51, 3, v38
	v_sub_u32_e32 v53, 29, v54
	v_and_b32_e32 v52, 7, v52
	v_cmp_gt_u32_e32 vcc, 8, v38
	v_cndmask_b32_e32 v38, v51, v53, vcc
	v_cndmask_b32_e32 v39, v39, v52, vcc
	v_lshlrev_b32_e32 v51, 24, v40
	v_bfrev_b32_e32 v52, 60
	v_lshlrev_b32_e32 v39, 20, v39
	v_and_b32_e32 v51, 0x80000000, v51
	v_lshl_add_u32 v38, v38, 23, v52
	v_or3_b32 v52, v51, v38, v39
.LBB600_159:
	s_or_b64 exec, exec, s[10:11]
.LBB600_160:
	s_or_b64 exec, exec, s[8:9]
.LBB600_161:
	s_or_b64 exec, exec, s[2:3]
	v_lshrrev_b16_e32 v38, 8, v40
	v_cmp_ne_u16_e32 vcc, 0, v38
	v_mov_b32_e32 v39, 0
	v_mov_b32_e32 v53, 0
	s_and_saveexec_b64 s[2:3], vcc
	s_cbranch_execz .LBB600_167
; %bb.162:
	s_movk_i32 s8, 0x80
	v_cmp_ne_u16_e32 vcc, s8, v38
	v_bfrev_b32_e32 v53, 1
	s_and_saveexec_b64 s[8:9], vcc
	s_cbranch_execz .LBB600_166
; %bb.163:
	s_movk_i32 s10, 0x7f
	v_and_b32_e32 v51, 0x7f, v38
	v_cmp_ne_u32_e32 vcc, s10, v51
	v_mov_b32_e32 v53, 0x7f800001
	s_and_saveexec_b64 s[10:11], vcc
	s_cbranch_execz .LBB600_165
; %bb.164:
	v_and_b32_e32 v53, 7, v38
	v_ffbh_u32_e32 v54, v53
	v_min_u32_e32 v57, 32, v54
	v_subrev_u32_e32 v54, 28, v57
	v_lshlrev_b64 v[54:55], v54, v[38:39]
	v_lshrrev_b32_e32 v56, 3, v51
	v_sub_u32_e32 v38, 29, v57
	v_and_b32_e32 v54, 7, v54
	v_cmp_gt_u32_e32 vcc, 8, v51
	v_cndmask_b32_e32 v38, v56, v38, vcc
	v_cndmask_b32_e32 v51, v53, v54, vcc
	v_lshlrev_b32_e32 v53, 16, v40
	v_bfrev_b32_e32 v54, 60
	v_lshlrev_b32_e32 v51, 20, v51
	v_and_b32_e32 v53, 0x80000000, v53
	v_lshl_add_u32 v38, v38, 23, v54
	v_or3_b32 v53, v53, v38, v51
.LBB600_165:
	s_or_b64 exec, exec, s[10:11]
.LBB600_166:
	s_or_b64 exec, exec, s[8:9]
.LBB600_167:
	s_or_b64 exec, exec, s[2:3]
	s_movk_i32 s2, 0xff
	v_and_b32_sdwa v51, v40, s2 dst_sel:DWORD dst_unused:UNUSED_PAD src0_sel:WORD_1 src1_sel:DWORD
	v_lshrrev_b32_e32 v38, 16, v40
	v_cmp_ne_u16_e32 vcc, 0, v51
	s_and_saveexec_b64 s[2:3], vcc
	s_cbranch_execz .LBB600_173
; %bb.168:
	s_movk_i32 s8, 0x80
	v_cmp_ne_u16_e32 vcc, s8, v51
	v_bfrev_b32_e32 v39, 1
	s_and_saveexec_b64 s[8:9], vcc
	s_cbranch_execz .LBB600_172
; %bb.169:
	v_bfe_u32 v51, v40, 16, 7
	s_movk_i32 s10, 0x7f
	v_cmp_ne_u32_e32 vcc, s10, v51
	v_mov_b32_e32 v39, 0x7f800001
	s_and_saveexec_b64 s[10:11], vcc
	s_cbranch_execz .LBB600_171
; %bb.170:
	v_and_b32_e32 v54, 7, v38
	v_ffbh_u32_e32 v39, v54
	v_min_u32_e32 v56, 32, v39
	v_subrev_u32_e32 v39, 28, v56
	v_lshlrev_b64 v[38:39], v39, v[38:39]
	v_lshrrev_b32_e32 v55, 3, v51
	v_sub_u32_e32 v39, 29, v56
	v_and_b32_e32 v38, 7, v38
	v_cmp_gt_u32_e32 vcc, 8, v51
	v_mov_b32_e32 v51, 24
	v_cndmask_b32_e32 v39, v55, v39, vcc
	v_cndmask_b32_e32 v38, v54, v38, vcc
	v_lshlrev_b32_sdwa v51, v51, v40 dst_sel:DWORD dst_unused:UNUSED_PAD src0_sel:DWORD src1_sel:WORD_1
	v_bfrev_b32_e32 v54, 60
	v_lshlrev_b32_e32 v38, 20, v38
	v_and_b32_e32 v51, 0x80000000, v51
	v_lshl_add_u32 v39, v39, 23, v54
	v_or3_b32 v39, v51, v39, v38
.LBB600_171:
	s_or_b64 exec, exec, s[10:11]
.LBB600_172:
	s_or_b64 exec, exec, s[8:9]
.LBB600_173:
	s_or_b64 exec, exec, s[2:3]
	s_mov_b32 s2, 0xffffff
	v_cmp_lt_u32_e32 vcc, s2, v40
	v_mov_b32_e32 v54, 0
	v_mov_b32_e32 v55, 0
	s_and_saveexec_b64 s[2:3], vcc
	s_cbranch_execz .LBB600_179
; %bb.174:
	v_lshrrev_b32_e32 v38, 24, v40
	s_movk_i32 s8, 0x80
	v_cmp_ne_u32_e32 vcc, s8, v38
	v_bfrev_b32_e32 v55, 1
	s_and_saveexec_b64 s[8:9], vcc
	s_cbranch_execz .LBB600_178
; %bb.175:
	v_bfe_u32 v40, v40, 24, 7
	s_movk_i32 s10, 0x7f
	v_cmp_ne_u32_e32 vcc, s10, v40
	v_mov_b32_e32 v55, 0x7f800001
	s_and_saveexec_b64 s[10:11], vcc
	s_cbranch_execz .LBB600_177
; %bb.176:
	v_and_b32_e32 v51, 7, v38
	v_ffbh_u32_e32 v56, v51
	v_min_u32_e32 v58, 32, v56
	v_subrev_u32_e32 v56, 28, v58
	v_lshlrev_b64 v[56:57], v56, v[38:39]
	v_lshrrev_b32_e32 v55, 3, v40
	v_sub_u32_e32 v57, 29, v58
	v_and_b32_e32 v56, 7, v56
	v_cmp_gt_u32_e32 vcc, 8, v40
	v_cndmask_b32_e32 v40, v55, v57, vcc
	v_cndmask_b32_e32 v51, v51, v56, vcc
	v_lshlrev_b32_e32 v38, 24, v38
	v_bfrev_b32_e32 v55, 60
	v_lshlrev_b32_e32 v51, 20, v51
	v_and_b32_e32 v38, 0x80000000, v38
	v_lshl_add_u32 v40, v40, 23, v55
	v_or3_b32 v55, v38, v40, v51
.LBB600_177:
	s_or_b64 exec, exec, s[10:11]
.LBB600_178:
	s_or_b64 exec, exec, s[8:9]
.LBB600_179:
	s_or_b64 exec, exec, s[2:3]
	v_cmp_ne_u16_sdwa s[8:9], v41, v54 src0_sel:BYTE_0 src1_sel:DWORD
	s_and_saveexec_b64 s[2:3], s[8:9]
	s_cbranch_execz .LBB600_185
; %bb.180:
	s_movk_i32 s8, 0x80
	v_cmp_ne_u16_sdwa s[10:11], v41, s8 src0_sel:BYTE_0 src1_sel:DWORD
	v_bfrev_b32_e32 v54, 1
	s_and_saveexec_b64 s[8:9], s[10:11]
	s_cbranch_execz .LBB600_184
; %bb.181:
	s_movk_i32 s10, 0x7f
	v_and_b32_e32 v38, 0x7f, v41
	v_cmp_ne_u32_e32 vcc, s10, v38
	v_mov_b32_e32 v54, 0x7f800001
	s_and_saveexec_b64 s[10:11], vcc
	s_cbranch_execz .LBB600_183
; %bb.182:
	v_and_b32_e32 v51, 7, v41
	v_ffbh_u32_e32 v56, v51
	v_min_u32_e32 v58, 32, v56
	v_mov_b32_e32 v40, v41
	v_subrev_u32_e32 v56, 28, v58
	v_lshlrev_b64 v[56:57], v56, v[40:41]
	v_lshrrev_b32_e32 v54, 3, v38
	v_sub_u32_e32 v40, 29, v58
	v_and_b32_e32 v56, 7, v56
	v_cmp_gt_u32_e32 vcc, 8, v38
	v_cndmask_b32_e32 v38, v54, v40, vcc
	v_cndmask_b32_e32 v40, v51, v56, vcc
	v_lshlrev_b32_e32 v51, 24, v41
	v_bfrev_b32_e32 v54, 60
	v_lshlrev_b32_e32 v40, 20, v40
	v_and_b32_e32 v51, 0x80000000, v51
	v_lshl_add_u32 v38, v38, 23, v54
	v_or3_b32 v54, v51, v38, v40
.LBB600_183:
	s_or_b64 exec, exec, s[10:11]
.LBB600_184:
	s_or_b64 exec, exec, s[8:9]
.LBB600_185:
	s_or_b64 exec, exec, s[2:3]
	v_lshrrev_b16_e32 v38, 8, v41
	v_cmp_ne_u16_e32 vcc, 0, v38
	v_mov_b32_e32 v40, 0
	v_mov_b32_e32 v56, 0
	s_and_saveexec_b64 s[2:3], vcc
	s_cbranch_execz .LBB600_191
; %bb.186:
	s_movk_i32 s8, 0x80
	v_cmp_ne_u16_e32 vcc, s8, v38
	v_bfrev_b32_e32 v56, 1
	s_and_saveexec_b64 s[8:9], vcc
	s_cbranch_execz .LBB600_190
; %bb.187:
	s_movk_i32 s10, 0x7f
	v_and_b32_e32 v51, 0x7f, v38
	v_cmp_ne_u32_e32 vcc, s10, v51
	v_mov_b32_e32 v56, 0x7f800001
	s_and_saveexec_b64 s[10:11], vcc
	s_cbranch_execz .LBB600_189
; %bb.188:
	v_and_b32_e32 v58, 7, v38
	v_ffbh_u32_e32 v56, v58
	v_min_u32_e32 v60, 32, v56
	v_subrev_u32_e32 v56, 28, v60
	v_lshlrev_b64 v[56:57], v56, v[38:39]
	v_lshrrev_b32_e32 v59, 3, v51
	v_sub_u32_e32 v38, 29, v60
	v_and_b32_e32 v56, 7, v56
	v_cmp_gt_u32_e32 vcc, 8, v51
	v_cndmask_b32_e32 v38, v59, v38, vcc
	v_cndmask_b32_e32 v51, v58, v56, vcc
	v_lshlrev_b32_e32 v56, 16, v41
	v_bfrev_b32_e32 v57, 60
	v_lshlrev_b32_e32 v51, 20, v51
	v_and_b32_e32 v56, 0x80000000, v56
	v_lshl_add_u32 v38, v38, 23, v57
	v_or3_b32 v56, v56, v38, v51
.LBB600_189:
	s_or_b64 exec, exec, s[10:11]
.LBB600_190:
	s_or_b64 exec, exec, s[8:9]
.LBB600_191:
	s_or_b64 exec, exec, s[2:3]
	s_movk_i32 s2, 0xff
	v_and_b32_sdwa v51, v41, s2 dst_sel:DWORD dst_unused:UNUSED_PAD src0_sel:WORD_1 src1_sel:DWORD
	v_lshrrev_b32_e32 v38, 16, v41
	v_cmp_ne_u16_e32 vcc, 0, v51
	s_and_saveexec_b64 s[2:3], vcc
	s_cbranch_execz .LBB600_197
; %bb.192:
	s_movk_i32 s8, 0x80
	v_cmp_ne_u16_e32 vcc, s8, v51
	v_bfrev_b32_e32 v40, 1
	s_and_saveexec_b64 s[8:9], vcc
	s_cbranch_execz .LBB600_196
; %bb.193:
	v_bfe_u32 v51, v41, 16, 7
	s_movk_i32 s10, 0x7f
	v_cmp_ne_u32_e32 vcc, s10, v51
	v_mov_b32_e32 v40, 0x7f800001
	s_and_saveexec_b64 s[10:11], vcc
	s_cbranch_execz .LBB600_195
; %bb.194:
	v_and_b32_e32 v40, 7, v38
	v_ffbh_u32_e32 v58, v40
	v_min_u32_e32 v60, 32, v58
	v_subrev_u32_e32 v58, 28, v60
	v_lshlrev_b64 v[58:59], v58, v[38:39]
	v_lshrrev_b32_e32 v57, 3, v51
	v_sub_u32_e32 v38, 29, v60
	v_and_b32_e32 v58, 7, v58
	v_cmp_gt_u32_e32 vcc, 8, v51
	v_mov_b32_e32 v51, 24
	v_cndmask_b32_e32 v38, v57, v38, vcc
	v_cndmask_b32_e32 v40, v40, v58, vcc
	v_lshlrev_b32_sdwa v51, v51, v41 dst_sel:DWORD dst_unused:UNUSED_PAD src0_sel:DWORD src1_sel:WORD_1
	v_bfrev_b32_e32 v57, 60
	v_lshlrev_b32_e32 v40, 20, v40
	v_and_b32_e32 v51, 0x80000000, v51
	v_lshl_add_u32 v38, v38, 23, v57
	v_or3_b32 v40, v51, v38, v40
.LBB600_195:
	s_or_b64 exec, exec, s[10:11]
.LBB600_196:
	s_or_b64 exec, exec, s[8:9]
.LBB600_197:
	s_or_b64 exec, exec, s[2:3]
	s_mov_b32 s2, 0xffffff
	v_cmp_lt_u32_e32 vcc, s2, v41
	v_mov_b32_e32 v51, 0
	v_mov_b32_e32 v57, 0
	s_and_saveexec_b64 s[2:3], vcc
	s_cbranch_execz .LBB600_203
; %bb.198:
	v_lshrrev_b32_e32 v38, 24, v41
	s_movk_i32 s8, 0x80
	v_cmp_ne_u32_e32 vcc, s8, v38
	v_bfrev_b32_e32 v57, 1
	s_and_saveexec_b64 s[8:9], vcc
	s_cbranch_execz .LBB600_202
; %bb.199:
	v_bfe_u32 v41, v41, 24, 7
	s_movk_i32 s10, 0x7f
	v_cmp_ne_u32_e32 vcc, s10, v41
	v_mov_b32_e32 v57, 0x7f800001
	s_and_saveexec_b64 s[10:11], vcc
	s_cbranch_execz .LBB600_201
; %bb.200:
	v_and_b32_e32 v57, 7, v38
	v_ffbh_u32_e32 v58, v57
	v_min_u32_e32 v61, 32, v58
	v_subrev_u32_e32 v58, 28, v61
	v_lshlrev_b64 v[58:59], v58, v[38:39]
	v_lshrrev_b32_e32 v60, 3, v41
	v_sub_u32_e32 v59, 29, v61
	v_and_b32_e32 v58, 7, v58
	v_cmp_gt_u32_e32 vcc, 8, v41
	v_cndmask_b32_e32 v41, v60, v59, vcc
	v_cndmask_b32_e32 v57, v57, v58, vcc
	v_lshlrev_b32_e32 v38, 24, v38
	v_bfrev_b32_e32 v58, 60
	v_lshlrev_b32_e32 v57, 20, v57
	v_and_b32_e32 v38, 0x80000000, v38
	v_lshl_add_u32 v41, v41, 23, v58
	v_or3_b32 v57, v38, v41, v57
.LBB600_201:
	s_or_b64 exec, exec, s[10:11]
.LBB600_202:
	s_or_b64 exec, exec, s[8:9]
.LBB600_203:
	s_or_b64 exec, exec, s[2:3]
	v_cvt_pkrtz_f16_f32 v38, v52, v53
	v_cvt_pkrtz_f16_f32 v39, v39, v55
	s_waitcnt vmcnt(5)
	v_cmp_ne_u16_sdwa s[8:9], v34, v51 src0_sel:BYTE_0 src1_sel:DWORD
	v_mfma_f32_16x16x16f16 v[42:45], v[38:39], v[18:19], v[42:45]
	v_cvt_pkrtz_f16_f32 v38, v54, v56
	v_cvt_pkrtz_f16_f32 v39, v40, v57
	s_nop 1
	v_mfma_f32_16x16x16f16 v[38:41], v[38:39], v[20:21], v[42:45]
	s_and_saveexec_b64 s[2:3], s[8:9]
	s_cbranch_execz .LBB600_209
; %bb.204:
	s_movk_i32 s8, 0x80
	v_cmp_ne_u16_sdwa s[10:11], v34, s8 src0_sel:BYTE_0 src1_sel:DWORD
	v_bfrev_b32_e32 v51, 1
	s_and_saveexec_b64 s[8:9], s[10:11]
	s_cbranch_execz .LBB600_208
; %bb.205:
	s_movk_i32 s10, 0x7f
	v_and_b32_e32 v42, 0x7f, v34
	v_cmp_ne_u32_e32 vcc, s10, v42
	v_mov_b32_e32 v51, 0x7f800001
	s_and_saveexec_b64 s[10:11], vcc
	s_cbranch_execz .LBB600_207
; %bb.206:
	v_and_b32_e32 v43, 7, v34
	v_ffbh_u32_e32 v44, v43
	v_min_u32_e32 v52, 32, v44
	v_subrev_u32_e32 v44, 28, v52
	v_lshlrev_b64 v[44:45], v44, v[34:35]
	v_lshrrev_b32_e32 v51, 3, v42
	v_sub_u32_e32 v45, 29, v52
	v_and_b32_e32 v44, 7, v44
	v_cmp_gt_u32_e32 vcc, 8, v42
	v_cndmask_b32_e32 v42, v51, v45, vcc
	v_cndmask_b32_e32 v43, v43, v44, vcc
	v_lshlrev_b32_e32 v44, 24, v34
	v_bfrev_b32_e32 v45, 60
	v_lshlrev_b32_e32 v43, 20, v43
	v_and_b32_e32 v44, 0x80000000, v44
	v_lshl_add_u32 v42, v42, 23, v45
	v_or3_b32 v51, v44, v42, v43
.LBB600_207:
	s_or_b64 exec, exec, s[10:11]
.LBB600_208:
	s_or_b64 exec, exec, s[8:9]
.LBB600_209:
	s_or_b64 exec, exec, s[2:3]
	s_nop 3
	v_lshrrev_b16_e32 v42, 8, v34
	v_cmp_ne_u16_e32 vcc, 0, v42
	v_mov_b32_e32 v43, 0
	v_mov_b32_e32 v44, 0
	s_and_saveexec_b64 s[2:3], vcc
	s_cbranch_execz .LBB600_215
; %bb.210:
	s_movk_i32 s8, 0x80
	v_cmp_ne_u16_e32 vcc, s8, v42
	v_bfrev_b32_e32 v44, 1
	s_and_saveexec_b64 s[8:9], vcc
	s_cbranch_execz .LBB600_214
; %bb.211:
	s_movk_i32 s10, 0x7f
	v_and_b32_e32 v45, 0x7f, v42
	v_cmp_ne_u32_e32 vcc, s10, v45
	v_mov_b32_e32 v44, 0x7f800001
	s_and_saveexec_b64 s[10:11], vcc
	s_cbranch_execz .LBB600_213
; %bb.212:
	v_and_b32_e32 v44, 7, v42
	v_ffbh_u32_e32 v52, v44
	v_min_u32_e32 v55, 32, v52
	v_subrev_u32_e32 v52, 28, v55
	v_lshlrev_b64 v[52:53], v52, v[42:43]
	v_lshrrev_b32_e32 v54, 3, v45
	v_sub_u32_e32 v42, 29, v55
	v_and_b32_e32 v52, 7, v52
	v_cmp_gt_u32_e32 vcc, 8, v45
	v_cndmask_b32_e32 v42, v54, v42, vcc
	v_cndmask_b32_e32 v44, v44, v52, vcc
	v_lshlrev_b32_e32 v45, 16, v34
	v_bfrev_b32_e32 v52, 60
	v_lshlrev_b32_e32 v44, 20, v44
	v_and_b32_e32 v45, 0x80000000, v45
	v_lshl_add_u32 v42, v42, 23, v52
	v_or3_b32 v44, v45, v42, v44
.LBB600_213:
	s_or_b64 exec, exec, s[10:11]
.LBB600_214:
	s_or_b64 exec, exec, s[8:9]
.LBB600_215:
	s_or_b64 exec, exec, s[2:3]
	s_movk_i32 s2, 0xff
	v_and_b32_sdwa v45, v34, s2 dst_sel:DWORD dst_unused:UNUSED_PAD src0_sel:WORD_1 src1_sel:DWORD
	v_lshrrev_b32_e32 v42, 16, v34
	v_cmp_ne_u16_e32 vcc, 0, v45
	s_and_saveexec_b64 s[2:3], vcc
	s_cbranch_execz .LBB600_221
; %bb.216:
	s_movk_i32 s8, 0x80
	v_cmp_ne_u16_e32 vcc, s8, v45
	v_bfrev_b32_e32 v43, 1
	s_and_saveexec_b64 s[8:9], vcc
	s_cbranch_execz .LBB600_220
; %bb.217:
	v_bfe_u32 v45, v34, 16, 7
	s_movk_i32 s10, 0x7f
	v_cmp_ne_u32_e32 vcc, s10, v45
	v_mov_b32_e32 v43, 0x7f800001
	s_and_saveexec_b64 s[10:11], vcc
	s_cbranch_execz .LBB600_219
; %bb.218:
	v_and_b32_e32 v52, 7, v42
	v_ffbh_u32_e32 v43, v52
	v_min_u32_e32 v54, 32, v43
	v_subrev_u32_e32 v43, 28, v54
	v_lshlrev_b64 v[42:43], v43, v[42:43]
	v_lshrrev_b32_e32 v53, 3, v45
	v_sub_u32_e32 v43, 29, v54
	v_and_b32_e32 v42, 7, v42
	v_cmp_gt_u32_e32 vcc, 8, v45
	v_mov_b32_e32 v45, 24
	v_cndmask_b32_e32 v43, v53, v43, vcc
	v_cndmask_b32_e32 v42, v52, v42, vcc
	v_lshlrev_b32_sdwa v45, v45, v34 dst_sel:DWORD dst_unused:UNUSED_PAD src0_sel:DWORD src1_sel:WORD_1
	v_bfrev_b32_e32 v52, 60
	v_lshlrev_b32_e32 v42, 20, v42
	v_and_b32_e32 v45, 0x80000000, v45
	v_lshl_add_u32 v43, v43, 23, v52
	v_or3_b32 v43, v45, v43, v42
.LBB600_219:
	s_or_b64 exec, exec, s[10:11]
.LBB600_220:
	s_or_b64 exec, exec, s[8:9]
.LBB600_221:
	s_or_b64 exec, exec, s[2:3]
	s_mov_b32 s2, 0xffffff
	v_cmp_lt_u32_e32 vcc, s2, v34
	v_mov_b32_e32 v45, 0
	v_mov_b32_e32 v53, 0
	s_and_saveexec_b64 s[2:3], vcc
	s_cbranch_execz .LBB600_227
; %bb.222:
	v_lshrrev_b32_e32 v42, 24, v34
	s_movk_i32 s8, 0x80
	v_cmp_ne_u32_e32 vcc, s8, v42
	v_bfrev_b32_e32 v53, 1
	s_and_saveexec_b64 s[8:9], vcc
	s_cbranch_execz .LBB600_226
; %bb.223:
	v_bfe_u32 v34, v34, 24, 7
	s_movk_i32 s10, 0x7f
	v_cmp_ne_u32_e32 vcc, s10, v34
	v_mov_b32_e32 v53, 0x7f800001
	s_and_saveexec_b64 s[10:11], vcc
	s_cbranch_execz .LBB600_225
; %bb.224:
	v_and_b32_e32 v54, 7, v42
	v_ffbh_u32_e32 v52, v54
	v_min_u32_e32 v56, 32, v52
	v_subrev_u32_e32 v52, 28, v56
	v_lshlrev_b64 v[52:53], v52, v[42:43]
	v_lshrrev_b32_e32 v55, 3, v34
	v_sub_u32_e32 v53, 29, v56
	v_and_b32_e32 v52, 7, v52
	v_cmp_gt_u32_e32 vcc, 8, v34
	v_cndmask_b32_e32 v34, v55, v53, vcc
	v_cndmask_b32_e32 v52, v54, v52, vcc
	v_lshlrev_b32_e32 v42, 24, v42
	v_bfrev_b32_e32 v53, 60
	v_lshlrev_b32_e32 v52, 20, v52
	v_and_b32_e32 v42, 0x80000000, v42
	v_lshl_add_u32 v34, v34, 23, v53
	v_or3_b32 v53, v42, v34, v52
.LBB600_225:
	s_or_b64 exec, exec, s[10:11]
.LBB600_226:
	s_or_b64 exec, exec, s[8:9]
.LBB600_227:
	s_or_b64 exec, exec, s[2:3]
	v_cmp_ne_u16_sdwa s[8:9], v35, v45 src0_sel:BYTE_0 src1_sel:DWORD
	s_and_saveexec_b64 s[2:3], s[8:9]
	s_cbranch_execz .LBB600_233
; %bb.228:
	s_movk_i32 s8, 0x80
	v_cmp_ne_u16_sdwa s[10:11], v35, s8 src0_sel:BYTE_0 src1_sel:DWORD
	v_bfrev_b32_e32 v45, 1
	s_and_saveexec_b64 s[8:9], s[10:11]
	s_cbranch_execz .LBB600_232
; %bb.229:
	s_movk_i32 s10, 0x7f
	v_and_b32_e32 v34, 0x7f, v35
	v_cmp_ne_u32_e32 vcc, s10, v34
	v_mov_b32_e32 v45, 0x7f800001
	s_and_saveexec_b64 s[10:11], vcc
	s_cbranch_execz .LBB600_231
; %bb.230:
	v_and_b32_e32 v45, 7, v35
	v_ffbh_u32_e32 v54, v45
	v_min_u32_e32 v56, 32, v54
	v_mov_b32_e32 v42, v35
	v_subrev_u32_e32 v54, 28, v56
	v_lshlrev_b64 v[54:55], v54, v[42:43]
	v_lshrrev_b32_e32 v52, 3, v34
	v_sub_u32_e32 v42, 29, v56
	v_and_b32_e32 v54, 7, v54
	v_cmp_gt_u32_e32 vcc, 8, v34
	v_cndmask_b32_e32 v34, v52, v42, vcc
	v_cndmask_b32_e32 v42, v45, v54, vcc
	v_lshlrev_b32_e32 v45, 24, v35
	v_bfrev_b32_e32 v52, 60
	v_lshlrev_b32_e32 v42, 20, v42
	v_and_b32_e32 v45, 0x80000000, v45
	v_lshl_add_u32 v34, v34, 23, v52
	v_or3_b32 v45, v45, v34, v42
.LBB600_231:
	s_or_b64 exec, exec, s[10:11]
.LBB600_232:
	s_or_b64 exec, exec, s[8:9]
.LBB600_233:
	s_or_b64 exec, exec, s[2:3]
	v_lshrrev_b16_e32 v34, 8, v35
	v_cmp_ne_u16_e32 vcc, 0, v34
	v_mov_b32_e32 v42, 0
	v_mov_b32_e32 v54, 0
	s_and_saveexec_b64 s[2:3], vcc
	s_cbranch_execz .LBB600_239
; %bb.234:
	s_movk_i32 s8, 0x80
	v_cmp_ne_u16_e32 vcc, s8, v34
	v_bfrev_b32_e32 v54, 1
	s_and_saveexec_b64 s[8:9], vcc
	s_cbranch_execz .LBB600_238
; %bb.235:
	s_movk_i32 s10, 0x7f
	v_and_b32_e32 v52, 0x7f, v34
	v_cmp_ne_u32_e32 vcc, s10, v52
	v_mov_b32_e32 v54, 0x7f800001
	s_and_saveexec_b64 s[10:11], vcc
	s_cbranch_execz .LBB600_237
; %bb.236:
	v_and_b32_e32 v56, 7, v34
	v_ffbh_u32_e32 v54, v56
	v_min_u32_e32 v58, 32, v54
	v_subrev_u32_e32 v54, 28, v58
	v_lshlrev_b64 v[54:55], v54, v[34:35]
	v_lshrrev_b32_e32 v57, 3, v52
	v_sub_u32_e32 v34, 29, v58
	v_and_b32_e32 v54, 7, v54
	v_cmp_gt_u32_e32 vcc, 8, v52
	v_cndmask_b32_e32 v34, v57, v34, vcc
	v_cndmask_b32_e32 v52, v56, v54, vcc
	v_lshlrev_b32_e32 v54, 16, v35
	v_bfrev_b32_e32 v55, 60
	v_lshlrev_b32_e32 v52, 20, v52
	v_and_b32_e32 v54, 0x80000000, v54
	v_lshl_add_u32 v34, v34, 23, v55
	v_or3_b32 v54, v54, v34, v52
.LBB600_237:
	s_or_b64 exec, exec, s[10:11]
.LBB600_238:
	s_or_b64 exec, exec, s[8:9]
.LBB600_239:
	s_or_b64 exec, exec, s[2:3]
	s_movk_i32 s2, 0xff
	v_and_b32_sdwa v52, v35, s2 dst_sel:DWORD dst_unused:UNUSED_PAD src0_sel:WORD_1 src1_sel:DWORD
	v_lshrrev_b32_e32 v34, 16, v35
	v_cmp_ne_u16_e32 vcc, 0, v52
	s_and_saveexec_b64 s[2:3], vcc
	s_cbranch_execz .LBB600_245
; %bb.240:
	s_movk_i32 s8, 0x80
	v_cmp_ne_u16_e32 vcc, s8, v52
	v_bfrev_b32_e32 v42, 1
	s_and_saveexec_b64 s[8:9], vcc
	s_cbranch_execz .LBB600_244
; %bb.241:
	v_bfe_u32 v52, v35, 16, 7
	s_movk_i32 s10, 0x7f
	v_cmp_ne_u32_e32 vcc, s10, v52
	v_mov_b32_e32 v42, 0x7f800001
	s_and_saveexec_b64 s[10:11], vcc
	s_cbranch_execz .LBB600_243
; %bb.242:
	v_and_b32_e32 v42, 7, v34
	v_ffbh_u32_e32 v56, v42
	v_min_u32_e32 v58, 32, v56
	v_subrev_u32_e32 v56, 28, v58
	v_lshlrev_b64 v[56:57], v56, v[34:35]
	v_lshrrev_b32_e32 v55, 3, v52
	v_sub_u32_e32 v34, 29, v58
	v_and_b32_e32 v56, 7, v56
	v_cmp_gt_u32_e32 vcc, 8, v52
	v_mov_b32_e32 v52, 24
	v_cndmask_b32_e32 v34, v55, v34, vcc
	v_cndmask_b32_e32 v42, v42, v56, vcc
	v_lshlrev_b32_sdwa v52, v52, v35 dst_sel:DWORD dst_unused:UNUSED_PAD src0_sel:DWORD src1_sel:WORD_1
	v_bfrev_b32_e32 v55, 60
	v_lshlrev_b32_e32 v42, 20, v42
	v_and_b32_e32 v52, 0x80000000, v52
	v_lshl_add_u32 v34, v34, 23, v55
	v_or3_b32 v42, v52, v34, v42
.LBB600_243:
	s_or_b64 exec, exec, s[10:11]
.LBB600_244:
	s_or_b64 exec, exec, s[8:9]
.LBB600_245:
	s_or_b64 exec, exec, s[2:3]
	s_mov_b32 s2, 0xffffff
	v_cmp_lt_u32_e32 vcc, s2, v35
	v_mov_b32_e32 v52, 0
	v_mov_b32_e32 v55, 0
	s_and_saveexec_b64 s[2:3], vcc
	s_cbranch_execz .LBB600_251
; %bb.246:
	v_lshrrev_b32_e32 v34, 24, v35
	s_movk_i32 s8, 0x80
	v_cmp_ne_u32_e32 vcc, s8, v34
	v_bfrev_b32_e32 v55, 1
	s_and_saveexec_b64 s[8:9], vcc
	s_cbranch_execz .LBB600_250
; %bb.247:
	v_bfe_u32 v35, v35, 24, 7
	s_movk_i32 s10, 0x7f
	v_cmp_ne_u32_e32 vcc, s10, v35
	v_mov_b32_e32 v55, 0x7f800001
	s_and_saveexec_b64 s[10:11], vcc
	s_cbranch_execz .LBB600_249
; %bb.248:
	v_and_b32_e32 v55, 7, v34
	v_ffbh_u32_e32 v56, v55
	v_min_u32_e32 v59, 32, v56
	v_subrev_u32_e32 v56, 28, v59
	v_lshlrev_b64 v[56:57], v56, v[34:35]
	v_lshrrev_b32_e32 v58, 3, v35
	v_sub_u32_e32 v57, 29, v59
	v_and_b32_e32 v56, 7, v56
	v_cmp_gt_u32_e32 vcc, 8, v35
	v_cndmask_b32_e32 v35, v58, v57, vcc
	v_cndmask_b32_e32 v55, v55, v56, vcc
	v_lshlrev_b32_e32 v34, 24, v34
	v_bfrev_b32_e32 v56, 60
	v_lshlrev_b32_e32 v55, 20, v55
	v_and_b32_e32 v34, 0x80000000, v34
	v_lshl_add_u32 v35, v35, 23, v56
	v_or3_b32 v55, v34, v35, v55
.LBB600_249:
	s_or_b64 exec, exec, s[10:11]
.LBB600_250:
	s_or_b64 exec, exec, s[8:9]
.LBB600_251:
	s_or_b64 exec, exec, s[2:3]
	v_cvt_pkrtz_f16_f32 v34, v51, v44
	v_cvt_pkrtz_f16_f32 v35, v43, v53
	v_cmp_ne_u16_sdwa s[8:9], v36, v52 src0_sel:BYTE_0 src1_sel:DWORD
	s_nop 0
	v_mfma_f32_16x16x16f16 v[56:59], v[34:35], v[26:27], 0
	v_cvt_pkrtz_f16_f32 v34, v45, v54
	v_cvt_pkrtz_f16_f32 v35, v42, v55
	s_nop 1
	v_mfma_f32_16x16x16f16 v[42:45], v[34:35], v[28:29], v[56:59]
	s_and_saveexec_b64 s[2:3], s[8:9]
	s_cbranch_execz .LBB600_257
; %bb.252:
	s_movk_i32 s8, 0x80
	v_cmp_ne_u16_sdwa s[10:11], v36, s8 src0_sel:BYTE_0 src1_sel:DWORD
	v_bfrev_b32_e32 v52, 1
	s_and_saveexec_b64 s[8:9], s[10:11]
	s_cbranch_execz .LBB600_256
; %bb.253:
	s_movk_i32 s10, 0x7f
	v_and_b32_e32 v34, 0x7f, v36
	v_cmp_ne_u32_e32 vcc, s10, v34
	v_mov_b32_e32 v52, 0x7f800001
	s_and_saveexec_b64 s[10:11], vcc
	s_cbranch_execz .LBB600_255
; %bb.254:
	v_and_b32_e32 v35, 7, v36
	v_ffbh_u32_e32 v52, v35
	v_min_u32_e32 v54, 32, v52
	v_subrev_u32_e32 v52, 28, v54
	v_lshlrev_b64 v[52:53], v52, v[36:37]
	v_lshrrev_b32_e32 v51, 3, v34
	v_sub_u32_e32 v53, 29, v54
	v_and_b32_e32 v52, 7, v52
	v_cmp_gt_u32_e32 vcc, 8, v34
	v_cndmask_b32_e32 v34, v51, v53, vcc
	v_cndmask_b32_e32 v35, v35, v52, vcc
	v_lshlrev_b32_e32 v51, 24, v36
	v_bfrev_b32_e32 v52, 60
	v_lshlrev_b32_e32 v35, 20, v35
	v_and_b32_e32 v51, 0x80000000, v51
	v_lshl_add_u32 v34, v34, 23, v52
	v_or3_b32 v52, v51, v34, v35
.LBB600_255:
	s_or_b64 exec, exec, s[10:11]
.LBB600_256:
	s_or_b64 exec, exec, s[8:9]
.LBB600_257:
	s_or_b64 exec, exec, s[2:3]
	v_lshrrev_b16_e32 v34, 8, v36
	v_cmp_ne_u16_e32 vcc, 0, v34
	v_mov_b32_e32 v35, 0
	v_mov_b32_e32 v53, 0
	s_and_saveexec_b64 s[2:3], vcc
	s_cbranch_execz .LBB600_263
; %bb.258:
	s_movk_i32 s8, 0x80
	v_cmp_ne_u16_e32 vcc, s8, v34
	v_bfrev_b32_e32 v53, 1
	s_and_saveexec_b64 s[8:9], vcc
	s_cbranch_execz .LBB600_262
; %bb.259:
	s_movk_i32 s10, 0x7f
	v_and_b32_e32 v51, 0x7f, v34
	v_cmp_ne_u32_e32 vcc, s10, v51
	v_mov_b32_e32 v53, 0x7f800001
	s_and_saveexec_b64 s[10:11], vcc
	s_cbranch_execz .LBB600_261
; %bb.260:
	v_and_b32_e32 v53, 7, v34
	v_ffbh_u32_e32 v54, v53
	v_min_u32_e32 v57, 32, v54
	v_subrev_u32_e32 v54, 28, v57
	v_lshlrev_b64 v[54:55], v54, v[34:35]
	v_lshrrev_b32_e32 v56, 3, v51
	v_sub_u32_e32 v34, 29, v57
	v_and_b32_e32 v54, 7, v54
	v_cmp_gt_u32_e32 vcc, 8, v51
	v_cndmask_b32_e32 v34, v56, v34, vcc
	v_cndmask_b32_e32 v51, v53, v54, vcc
	v_lshlrev_b32_e32 v53, 16, v36
	v_bfrev_b32_e32 v54, 60
	v_lshlrev_b32_e32 v51, 20, v51
	v_and_b32_e32 v53, 0x80000000, v53
	v_lshl_add_u32 v34, v34, 23, v54
	v_or3_b32 v53, v53, v34, v51
.LBB600_261:
	s_or_b64 exec, exec, s[10:11]
.LBB600_262:
	s_or_b64 exec, exec, s[8:9]
.LBB600_263:
	s_or_b64 exec, exec, s[2:3]
	s_movk_i32 s2, 0xff
	v_and_b32_sdwa v51, v36, s2 dst_sel:DWORD dst_unused:UNUSED_PAD src0_sel:WORD_1 src1_sel:DWORD
	v_lshrrev_b32_e32 v34, 16, v36
	v_cmp_ne_u16_e32 vcc, 0, v51
	s_and_saveexec_b64 s[2:3], vcc
	s_cbranch_execz .LBB600_269
; %bb.264:
	s_movk_i32 s8, 0x80
	v_cmp_ne_u16_e32 vcc, s8, v51
	v_bfrev_b32_e32 v35, 1
	s_and_saveexec_b64 s[8:9], vcc
	s_cbranch_execz .LBB600_268
; %bb.265:
	v_bfe_u32 v51, v36, 16, 7
	s_movk_i32 s10, 0x7f
	v_cmp_ne_u32_e32 vcc, s10, v51
	v_mov_b32_e32 v35, 0x7f800001
	s_and_saveexec_b64 s[10:11], vcc
	s_cbranch_execz .LBB600_267
; %bb.266:
	v_and_b32_e32 v54, 7, v34
	v_ffbh_u32_e32 v35, v54
	v_min_u32_e32 v56, 32, v35
	v_subrev_u32_e32 v35, 28, v56
	v_lshlrev_b64 v[34:35], v35, v[34:35]
	v_lshrrev_b32_e32 v55, 3, v51
	v_sub_u32_e32 v35, 29, v56
	v_and_b32_e32 v34, 7, v34
	v_cmp_gt_u32_e32 vcc, 8, v51
	v_mov_b32_e32 v51, 24
	v_cndmask_b32_e32 v35, v55, v35, vcc
	v_cndmask_b32_e32 v34, v54, v34, vcc
	v_lshlrev_b32_sdwa v51, v51, v36 dst_sel:DWORD dst_unused:UNUSED_PAD src0_sel:DWORD src1_sel:WORD_1
	v_bfrev_b32_e32 v54, 60
	v_lshlrev_b32_e32 v34, 20, v34
	v_and_b32_e32 v51, 0x80000000, v51
	v_lshl_add_u32 v35, v35, 23, v54
	v_or3_b32 v35, v51, v35, v34
.LBB600_267:
	s_or_b64 exec, exec, s[10:11]
.LBB600_268:
	s_or_b64 exec, exec, s[8:9]
.LBB600_269:
	s_or_b64 exec, exec, s[2:3]
	s_mov_b32 s2, 0xffffff
	v_cmp_lt_u32_e32 vcc, s2, v36
	v_mov_b32_e32 v54, 0
	v_mov_b32_e32 v55, 0
	s_and_saveexec_b64 s[2:3], vcc
	s_cbranch_execz .LBB600_275
; %bb.270:
	v_lshrrev_b32_e32 v34, 24, v36
	s_movk_i32 s8, 0x80
	v_cmp_ne_u32_e32 vcc, s8, v34
	v_bfrev_b32_e32 v55, 1
	s_and_saveexec_b64 s[8:9], vcc
	s_cbranch_execz .LBB600_274
; %bb.271:
	v_bfe_u32 v36, v36, 24, 7
	s_movk_i32 s10, 0x7f
	v_cmp_ne_u32_e32 vcc, s10, v36
	v_mov_b32_e32 v55, 0x7f800001
	s_and_saveexec_b64 s[10:11], vcc
	s_cbranch_execz .LBB600_273
; %bb.272:
	v_and_b32_e32 v51, 7, v34
	v_ffbh_u32_e32 v56, v51
	v_min_u32_e32 v58, 32, v56
	v_subrev_u32_e32 v56, 28, v58
	v_lshlrev_b64 v[56:57], v56, v[34:35]
	v_lshrrev_b32_e32 v55, 3, v36
	v_sub_u32_e32 v57, 29, v58
	v_and_b32_e32 v56, 7, v56
	v_cmp_gt_u32_e32 vcc, 8, v36
	v_cndmask_b32_e32 v36, v55, v57, vcc
	v_cndmask_b32_e32 v51, v51, v56, vcc
	v_lshlrev_b32_e32 v34, 24, v34
	v_bfrev_b32_e32 v55, 60
	v_lshlrev_b32_e32 v51, 20, v51
	v_and_b32_e32 v34, 0x80000000, v34
	v_lshl_add_u32 v36, v36, 23, v55
	v_or3_b32 v55, v34, v36, v51
.LBB600_273:
	s_or_b64 exec, exec, s[10:11]
.LBB600_274:
	s_or_b64 exec, exec, s[8:9]
.LBB600_275:
	s_or_b64 exec, exec, s[2:3]
	v_cmp_ne_u16_sdwa s[8:9], v37, v54 src0_sel:BYTE_0 src1_sel:DWORD
	s_and_saveexec_b64 s[2:3], s[8:9]
	s_cbranch_execz .LBB600_281
; %bb.276:
	s_movk_i32 s8, 0x80
	v_cmp_ne_u16_sdwa s[10:11], v37, s8 src0_sel:BYTE_0 src1_sel:DWORD
	v_bfrev_b32_e32 v54, 1
	s_and_saveexec_b64 s[8:9], s[10:11]
	s_cbranch_execz .LBB600_280
; %bb.277:
	s_movk_i32 s10, 0x7f
	v_and_b32_e32 v34, 0x7f, v37
	v_cmp_ne_u32_e32 vcc, s10, v34
	v_mov_b32_e32 v54, 0x7f800001
	s_and_saveexec_b64 s[10:11], vcc
	s_cbranch_execz .LBB600_279
; %bb.278:
	v_and_b32_e32 v51, 7, v37
	v_ffbh_u32_e32 v56, v51
	v_min_u32_e32 v58, 32, v56
	v_mov_b32_e32 v36, v37
	v_subrev_u32_e32 v56, 28, v58
	v_lshlrev_b64 v[56:57], v56, v[36:37]
	v_lshrrev_b32_e32 v54, 3, v34
	v_sub_u32_e32 v36, 29, v58
	v_and_b32_e32 v56, 7, v56
	v_cmp_gt_u32_e32 vcc, 8, v34
	v_cndmask_b32_e32 v34, v54, v36, vcc
	v_cndmask_b32_e32 v36, v51, v56, vcc
	v_lshlrev_b32_e32 v51, 24, v37
	v_bfrev_b32_e32 v54, 60
	v_lshlrev_b32_e32 v36, 20, v36
	v_and_b32_e32 v51, 0x80000000, v51
	v_lshl_add_u32 v34, v34, 23, v54
	v_or3_b32 v54, v51, v34, v36
.LBB600_279:
	s_or_b64 exec, exec, s[10:11]
.LBB600_280:
	s_or_b64 exec, exec, s[8:9]
.LBB600_281:
	s_or_b64 exec, exec, s[2:3]
	v_lshrrev_b16_e32 v34, 8, v37
	v_cmp_ne_u16_e32 vcc, 0, v34
	v_mov_b32_e32 v36, 0
	v_mov_b32_e32 v56, 0
	s_and_saveexec_b64 s[2:3], vcc
	s_cbranch_execz .LBB600_287
; %bb.282:
	s_movk_i32 s8, 0x80
	v_cmp_ne_u16_e32 vcc, s8, v34
	v_bfrev_b32_e32 v56, 1
	s_and_saveexec_b64 s[8:9], vcc
	s_cbranch_execz .LBB600_286
; %bb.283:
	s_movk_i32 s10, 0x7f
	v_and_b32_e32 v51, 0x7f, v34
	v_cmp_ne_u32_e32 vcc, s10, v51
	v_mov_b32_e32 v56, 0x7f800001
	s_and_saveexec_b64 s[10:11], vcc
	s_cbranch_execz .LBB600_285
; %bb.284:
	v_and_b32_e32 v58, 7, v34
	v_ffbh_u32_e32 v56, v58
	v_min_u32_e32 v60, 32, v56
	v_subrev_u32_e32 v56, 28, v60
	v_lshlrev_b64 v[56:57], v56, v[34:35]
	v_lshrrev_b32_e32 v59, 3, v51
	v_sub_u32_e32 v34, 29, v60
	v_and_b32_e32 v56, 7, v56
	v_cmp_gt_u32_e32 vcc, 8, v51
	v_cndmask_b32_e32 v34, v59, v34, vcc
	v_cndmask_b32_e32 v51, v58, v56, vcc
	v_lshlrev_b32_e32 v56, 16, v37
	v_bfrev_b32_e32 v57, 60
	v_lshlrev_b32_e32 v51, 20, v51
	v_and_b32_e32 v56, 0x80000000, v56
	v_lshl_add_u32 v34, v34, 23, v57
	v_or3_b32 v56, v56, v34, v51
.LBB600_285:
	s_or_b64 exec, exec, s[10:11]
.LBB600_286:
	s_or_b64 exec, exec, s[8:9]
.LBB600_287:
	s_or_b64 exec, exec, s[2:3]
	s_movk_i32 s2, 0xff
	v_and_b32_sdwa v51, v37, s2 dst_sel:DWORD dst_unused:UNUSED_PAD src0_sel:WORD_1 src1_sel:DWORD
	v_lshrrev_b32_e32 v34, 16, v37
	v_cmp_ne_u16_e32 vcc, 0, v51
	s_and_saveexec_b64 s[2:3], vcc
	s_cbranch_execz .LBB600_293
; %bb.288:
	s_movk_i32 s8, 0x80
	v_cmp_ne_u16_e32 vcc, s8, v51
	v_bfrev_b32_e32 v36, 1
	s_and_saveexec_b64 s[8:9], vcc
	s_cbranch_execz .LBB600_292
; %bb.289:
	v_bfe_u32 v51, v37, 16, 7
	s_movk_i32 s10, 0x7f
	v_cmp_ne_u32_e32 vcc, s10, v51
	v_mov_b32_e32 v36, 0x7f800001
	s_and_saveexec_b64 s[10:11], vcc
	s_cbranch_execz .LBB600_291
; %bb.290:
	v_and_b32_e32 v36, 7, v34
	v_ffbh_u32_e32 v58, v36
	v_min_u32_e32 v60, 32, v58
	v_subrev_u32_e32 v58, 28, v60
	v_lshlrev_b64 v[58:59], v58, v[34:35]
	v_lshrrev_b32_e32 v57, 3, v51
	v_sub_u32_e32 v34, 29, v60
	v_and_b32_e32 v58, 7, v58
	v_cmp_gt_u32_e32 vcc, 8, v51
	v_mov_b32_e32 v51, 24
	v_cndmask_b32_e32 v34, v57, v34, vcc
	v_cndmask_b32_e32 v36, v36, v58, vcc
	v_lshlrev_b32_sdwa v51, v51, v37 dst_sel:DWORD dst_unused:UNUSED_PAD src0_sel:DWORD src1_sel:WORD_1
	v_bfrev_b32_e32 v57, 60
	v_lshlrev_b32_e32 v36, 20, v36
	v_and_b32_e32 v51, 0x80000000, v51
	v_lshl_add_u32 v34, v34, 23, v57
	v_or3_b32 v36, v51, v34, v36
.LBB600_291:
	s_or_b64 exec, exec, s[10:11]
.LBB600_292:
	s_or_b64 exec, exec, s[8:9]
.LBB600_293:
	s_or_b64 exec, exec, s[2:3]
	s_mov_b32 s2, 0xffffff
	v_cmp_lt_u32_e32 vcc, s2, v37
	v_mov_b32_e32 v51, 0
	v_mov_b32_e32 v57, 0
	s_and_saveexec_b64 s[2:3], vcc
	s_cbranch_execz .LBB600_299
; %bb.294:
	v_lshrrev_b32_e32 v34, 24, v37
	s_movk_i32 s8, 0x80
	v_cmp_ne_u32_e32 vcc, s8, v34
	v_bfrev_b32_e32 v57, 1
	s_and_saveexec_b64 s[8:9], vcc
	s_cbranch_execz .LBB600_298
; %bb.295:
	v_bfe_u32 v37, v37, 24, 7
	s_movk_i32 s10, 0x7f
	v_cmp_ne_u32_e32 vcc, s10, v37
	v_mov_b32_e32 v57, 0x7f800001
	s_and_saveexec_b64 s[10:11], vcc
	s_cbranch_execz .LBB600_297
; %bb.296:
	v_and_b32_e32 v57, 7, v34
	v_ffbh_u32_e32 v58, v57
	v_min_u32_e32 v61, 32, v58
	v_subrev_u32_e32 v58, 28, v61
	v_lshlrev_b64 v[58:59], v58, v[34:35]
	v_lshrrev_b32_e32 v60, 3, v37
	v_sub_u32_e32 v59, 29, v61
	v_and_b32_e32 v58, 7, v58
	v_cmp_gt_u32_e32 vcc, 8, v37
	v_cndmask_b32_e32 v37, v60, v59, vcc
	v_cndmask_b32_e32 v57, v57, v58, vcc
	v_lshlrev_b32_e32 v34, 24, v34
	v_bfrev_b32_e32 v58, 60
	v_lshlrev_b32_e32 v57, 20, v57
	v_and_b32_e32 v34, 0x80000000, v34
	v_lshl_add_u32 v37, v37, 23, v58
	v_or3_b32 v57, v34, v37, v57
.LBB600_297:
	s_or_b64 exec, exec, s[10:11]
.LBB600_298:
	s_or_b64 exec, exec, s[8:9]
.LBB600_299:
	s_or_b64 exec, exec, s[2:3]
	v_cvt_pkrtz_f16_f32 v34, v52, v53
	v_cvt_pkrtz_f16_f32 v35, v35, v55
	s_waitcnt vmcnt(4)
	v_cmp_ne_u16_sdwa s[8:9], v22, v51 src0_sel:BYTE_0 src1_sel:DWORD
	v_mfma_f32_16x16x16f16 v[42:45], v[34:35], v[18:19], v[42:45]
	v_cvt_pkrtz_f16_f32 v34, v54, v56
	v_cvt_pkrtz_f16_f32 v35, v36, v57
	s_nop 1
	v_mfma_f32_16x16x16f16 v[34:37], v[34:35], v[20:21], v[42:45]
	s_and_saveexec_b64 s[2:3], s[8:9]
	s_cbranch_execz .LBB600_305
; %bb.300:
	s_movk_i32 s8, 0x80
	v_cmp_ne_u16_sdwa s[10:11], v22, s8 src0_sel:BYTE_0 src1_sel:DWORD
	v_bfrev_b32_e32 v51, 1
	s_and_saveexec_b64 s[8:9], s[10:11]
	s_cbranch_execz .LBB600_304
; %bb.301:
	s_movk_i32 s10, 0x7f
	v_and_b32_e32 v42, 0x7f, v22
	v_cmp_ne_u32_e32 vcc, s10, v42
	v_mov_b32_e32 v51, 0x7f800001
	s_and_saveexec_b64 s[10:11], vcc
	s_cbranch_execz .LBB600_303
; %bb.302:
	v_and_b32_e32 v43, 7, v22
	v_ffbh_u32_e32 v44, v43
	v_min_u32_e32 v52, 32, v44
	v_subrev_u32_e32 v44, 28, v52
	v_lshlrev_b64 v[44:45], v44, v[22:23]
	v_lshrrev_b32_e32 v51, 3, v42
	v_sub_u32_e32 v45, 29, v52
	v_and_b32_e32 v44, 7, v44
	v_cmp_gt_u32_e32 vcc, 8, v42
	v_cndmask_b32_e32 v42, v51, v45, vcc
	v_cndmask_b32_e32 v43, v43, v44, vcc
	v_lshlrev_b32_e32 v44, 24, v22
	v_bfrev_b32_e32 v45, 60
	v_lshlrev_b32_e32 v43, 20, v43
	v_and_b32_e32 v44, 0x80000000, v44
	v_lshl_add_u32 v42, v42, 23, v45
	v_or3_b32 v51, v44, v42, v43
.LBB600_303:
	s_or_b64 exec, exec, s[10:11]
.LBB600_304:
	s_or_b64 exec, exec, s[8:9]
.LBB600_305:
	s_or_b64 exec, exec, s[2:3]
	s_nop 3
	v_lshrrev_b16_e32 v42, 8, v22
	v_cmp_ne_u16_e32 vcc, 0, v42
	v_mov_b32_e32 v43, 0
	v_mov_b32_e32 v44, 0
	s_and_saveexec_b64 s[2:3], vcc
	s_cbranch_execz .LBB600_311
; %bb.306:
	s_movk_i32 s8, 0x80
	v_cmp_ne_u16_e32 vcc, s8, v42
	v_bfrev_b32_e32 v44, 1
	s_and_saveexec_b64 s[8:9], vcc
	s_cbranch_execz .LBB600_310
; %bb.307:
	s_movk_i32 s10, 0x7f
	v_and_b32_e32 v45, 0x7f, v42
	v_cmp_ne_u32_e32 vcc, s10, v45
	v_mov_b32_e32 v44, 0x7f800001
	s_and_saveexec_b64 s[10:11], vcc
	s_cbranch_execz .LBB600_309
; %bb.308:
	v_and_b32_e32 v44, 7, v42
	v_ffbh_u32_e32 v52, v44
	v_min_u32_e32 v55, 32, v52
	v_subrev_u32_e32 v52, 28, v55
	v_lshlrev_b64 v[52:53], v52, v[42:43]
	v_lshrrev_b32_e32 v54, 3, v45
	v_sub_u32_e32 v42, 29, v55
	v_and_b32_e32 v52, 7, v52
	v_cmp_gt_u32_e32 vcc, 8, v45
	v_cndmask_b32_e32 v42, v54, v42, vcc
	v_cndmask_b32_e32 v44, v44, v52, vcc
	v_lshlrev_b32_e32 v45, 16, v22
	v_bfrev_b32_e32 v52, 60
	v_lshlrev_b32_e32 v44, 20, v44
	v_and_b32_e32 v45, 0x80000000, v45
	v_lshl_add_u32 v42, v42, 23, v52
	v_or3_b32 v44, v45, v42, v44
.LBB600_309:
	s_or_b64 exec, exec, s[10:11]
.LBB600_310:
	s_or_b64 exec, exec, s[8:9]
.LBB600_311:
	s_or_b64 exec, exec, s[2:3]
	s_movk_i32 s2, 0xff
	v_and_b32_sdwa v45, v22, s2 dst_sel:DWORD dst_unused:UNUSED_PAD src0_sel:WORD_1 src1_sel:DWORD
	v_lshrrev_b32_e32 v42, 16, v22
	v_cmp_ne_u16_e32 vcc, 0, v45
	s_and_saveexec_b64 s[2:3], vcc
	s_cbranch_execz .LBB600_317
; %bb.312:
	s_movk_i32 s8, 0x80
	v_cmp_ne_u16_e32 vcc, s8, v45
	v_bfrev_b32_e32 v43, 1
	s_and_saveexec_b64 s[8:9], vcc
	s_cbranch_execz .LBB600_316
; %bb.313:
	v_bfe_u32 v45, v22, 16, 7
	s_movk_i32 s10, 0x7f
	v_cmp_ne_u32_e32 vcc, s10, v45
	v_mov_b32_e32 v43, 0x7f800001
	s_and_saveexec_b64 s[10:11], vcc
	s_cbranch_execz .LBB600_315
; %bb.314:
	v_and_b32_e32 v52, 7, v42
	v_ffbh_u32_e32 v43, v52
	v_min_u32_e32 v54, 32, v43
	v_subrev_u32_e32 v43, 28, v54
	v_lshlrev_b64 v[42:43], v43, v[42:43]
	v_lshrrev_b32_e32 v53, 3, v45
	v_sub_u32_e32 v43, 29, v54
	v_and_b32_e32 v42, 7, v42
	v_cmp_gt_u32_e32 vcc, 8, v45
	v_mov_b32_e32 v45, 24
	v_cndmask_b32_e32 v43, v53, v43, vcc
	v_cndmask_b32_e32 v42, v52, v42, vcc
	v_lshlrev_b32_sdwa v45, v45, v22 dst_sel:DWORD dst_unused:UNUSED_PAD src0_sel:DWORD src1_sel:WORD_1
	v_bfrev_b32_e32 v52, 60
	v_lshlrev_b32_e32 v42, 20, v42
	v_and_b32_e32 v45, 0x80000000, v45
	v_lshl_add_u32 v43, v43, 23, v52
	v_or3_b32 v43, v45, v43, v42
.LBB600_315:
	s_or_b64 exec, exec, s[10:11]
.LBB600_316:
	s_or_b64 exec, exec, s[8:9]
.LBB600_317:
	s_or_b64 exec, exec, s[2:3]
	s_mov_b32 s2, 0xffffff
	v_cmp_lt_u32_e32 vcc, s2, v22
	v_mov_b32_e32 v45, 0
	v_mov_b32_e32 v52, 0
	s_and_saveexec_b64 s[2:3], vcc
	s_cbranch_execz .LBB600_323
; %bb.318:
	v_lshrrev_b32_e32 v42, 24, v22
	s_movk_i32 s8, 0x80
	v_cmp_ne_u32_e32 vcc, s8, v42
	v_bfrev_b32_e32 v52, 1
	s_and_saveexec_b64 s[8:9], vcc
	s_cbranch_execz .LBB600_322
; %bb.319:
	v_bfe_u32 v22, v22, 24, 7
	s_movk_i32 s10, 0x7f
	v_cmp_ne_u32_e32 vcc, s10, v22
	v_mov_b32_e32 v52, 0x7f800001
	s_and_saveexec_b64 s[10:11], vcc
	s_cbranch_execz .LBB600_321
; %bb.320:
	v_and_b32_e32 v54, 7, v42
	v_ffbh_u32_e32 v52, v54
	v_min_u32_e32 v56, 32, v52
	v_subrev_u32_e32 v52, 28, v56
	v_lshlrev_b64 v[52:53], v52, v[42:43]
	v_lshrrev_b32_e32 v55, 3, v22
	v_sub_u32_e32 v53, 29, v56
	v_and_b32_e32 v52, 7, v52
	v_cmp_gt_u32_e32 vcc, 8, v22
	v_cndmask_b32_e32 v22, v55, v53, vcc
	v_cndmask_b32_e32 v52, v54, v52, vcc
	v_lshlrev_b32_e32 v42, 24, v42
	v_bfrev_b32_e32 v53, 60
	v_lshlrev_b32_e32 v52, 20, v52
	v_and_b32_e32 v42, 0x80000000, v42
	v_lshl_add_u32 v22, v22, 23, v53
	v_or3_b32 v52, v42, v22, v52
.LBB600_321:
	s_or_b64 exec, exec, s[10:11]
.LBB600_322:
	s_or_b64 exec, exec, s[8:9]
.LBB600_323:
	s_or_b64 exec, exec, s[2:3]
	v_cmp_ne_u16_sdwa s[8:9], v23, v45 src0_sel:BYTE_0 src1_sel:DWORD
	s_and_saveexec_b64 s[2:3], s[8:9]
	s_cbranch_execz .LBB600_329
; %bb.324:
	s_movk_i32 s8, 0x80
	v_cmp_ne_u16_sdwa s[10:11], v23, s8 src0_sel:BYTE_0 src1_sel:DWORD
	v_bfrev_b32_e32 v45, 1
	s_and_saveexec_b64 s[8:9], s[10:11]
	s_cbranch_execz .LBB600_328
; %bb.325:
	s_movk_i32 s10, 0x7f
	v_and_b32_e32 v22, 0x7f, v23
	v_cmp_ne_u32_e32 vcc, s10, v22
	v_mov_b32_e32 v45, 0x7f800001
	s_and_saveexec_b64 s[10:11], vcc
	s_cbranch_execz .LBB600_327
; %bb.326:
	v_and_b32_e32 v45, 7, v23
	v_ffbh_u32_e32 v54, v45
	v_min_u32_e32 v56, 32, v54
	v_mov_b32_e32 v42, v23
	v_subrev_u32_e32 v54, 28, v56
	v_lshlrev_b64 v[54:55], v54, v[42:43]
	v_lshrrev_b32_e32 v53, 3, v22
	v_sub_u32_e32 v42, 29, v56
	v_and_b32_e32 v54, 7, v54
	v_cmp_gt_u32_e32 vcc, 8, v22
	v_cndmask_b32_e32 v22, v53, v42, vcc
	v_cndmask_b32_e32 v42, v45, v54, vcc
	v_lshlrev_b32_e32 v45, 24, v23
	v_bfrev_b32_e32 v53, 60
	v_lshlrev_b32_e32 v42, 20, v42
	v_and_b32_e32 v45, 0x80000000, v45
	v_lshl_add_u32 v22, v22, 23, v53
	v_or3_b32 v45, v45, v22, v42
.LBB600_327:
	s_or_b64 exec, exec, s[10:11]
.LBB600_328:
	s_or_b64 exec, exec, s[8:9]
.LBB600_329:
	s_or_b64 exec, exec, s[2:3]
	v_lshrrev_b16_e32 v22, 8, v23
	v_cmp_ne_u16_e32 vcc, 0, v22
	v_mov_b32_e32 v53, 0
	v_mov_b32_e32 v54, 0
	s_and_saveexec_b64 s[2:3], vcc
	s_cbranch_execz .LBB600_335
; %bb.330:
	s_movk_i32 s8, 0x80
	v_cmp_ne_u16_e32 vcc, s8, v22
	v_bfrev_b32_e32 v54, 1
	s_and_saveexec_b64 s[8:9], vcc
	s_cbranch_execz .LBB600_334
; %bb.331:
	s_movk_i32 s10, 0x7f
	v_and_b32_e32 v42, 0x7f, v22
	v_cmp_ne_u32_e32 vcc, s10, v42
	v_mov_b32_e32 v54, 0x7f800001
	s_and_saveexec_b64 s[10:11], vcc
	s_cbranch_execz .LBB600_333
; %bb.332:
	v_and_b32_e32 v56, 7, v22
	v_ffbh_u32_e32 v54, v56
	v_min_u32_e32 v58, 32, v54
	v_subrev_u32_e32 v54, 28, v58
	v_lshlrev_b64 v[54:55], v54, v[22:23]
	v_lshrrev_b32_e32 v57, 3, v42
	v_sub_u32_e32 v22, 29, v58
	v_and_b32_e32 v54, 7, v54
	v_cmp_gt_u32_e32 vcc, 8, v42
	v_cndmask_b32_e32 v22, v57, v22, vcc
	v_cndmask_b32_e32 v42, v56, v54, vcc
	v_lshlrev_b32_e32 v54, 16, v23
	v_bfrev_b32_e32 v55, 60
	v_lshlrev_b32_e32 v42, 20, v42
	v_and_b32_e32 v54, 0x80000000, v54
	v_lshl_add_u32 v22, v22, 23, v55
	v_or3_b32 v54, v54, v22, v42
.LBB600_333:
	s_or_b64 exec, exec, s[10:11]
.LBB600_334:
	s_or_b64 exec, exec, s[8:9]
.LBB600_335:
	s_or_b64 exec, exec, s[2:3]
	s_movk_i32 s2, 0xff
	v_and_b32_sdwa v42, v23, s2 dst_sel:DWORD dst_unused:UNUSED_PAD src0_sel:WORD_1 src1_sel:DWORD
	v_lshrrev_b32_e32 v22, 16, v23
	v_cmp_ne_u16_e32 vcc, 0, v42
	s_and_saveexec_b64 s[2:3], vcc
	s_cbranch_execz .LBB600_341
; %bb.336:
	s_movk_i32 s8, 0x80
	v_cmp_ne_u16_e32 vcc, s8, v42
	v_bfrev_b32_e32 v53, 1
	s_and_saveexec_b64 s[8:9], vcc
	s_cbranch_execz .LBB600_340
; %bb.337:
	v_bfe_u32 v42, v23, 16, 7
	s_movk_i32 s10, 0x7f
	v_cmp_ne_u32_e32 vcc, s10, v42
	v_mov_b32_e32 v53, 0x7f800001
	s_and_saveexec_b64 s[10:11], vcc
	s_cbranch_execz .LBB600_339
; %bb.338:
	v_and_b32_e32 v53, 7, v22
	v_ffbh_u32_e32 v56, v53
	v_min_u32_e32 v58, 32, v56
	v_subrev_u32_e32 v56, 28, v58
	v_lshlrev_b64 v[56:57], v56, v[22:23]
	v_and_b32_e32 v56, 7, v56
	v_cmp_gt_u32_e32 vcc, 8, v42
	v_lshrrev_b32_e32 v55, 3, v42
	v_sub_u32_e32 v22, 29, v58
	v_cndmask_b32_e32 v42, v53, v56, vcc
	v_mov_b32_e32 v53, 24
	v_cndmask_b32_e32 v22, v55, v22, vcc
	v_lshlrev_b32_sdwa v53, v53, v23 dst_sel:DWORD dst_unused:UNUSED_PAD src0_sel:DWORD src1_sel:WORD_1
	v_bfrev_b32_e32 v55, 60
	v_lshlrev_b32_e32 v42, 20, v42
	v_and_b32_e32 v53, 0x80000000, v53
	v_lshl_add_u32 v22, v22, 23, v55
	v_or3_b32 v53, v53, v22, v42
.LBB600_339:
	s_or_b64 exec, exec, s[10:11]
.LBB600_340:
	s_or_b64 exec, exec, s[8:9]
.LBB600_341:
	s_or_b64 exec, exec, s[2:3]
	s_mov_b32 s2, 0xffffff
	v_cmp_lt_u32_e32 vcc, s2, v23
	v_mov_b32_e32 v42, 0
	v_mov_b32_e32 v55, 0
	s_and_saveexec_b64 s[2:3], vcc
	s_cbranch_execz .LBB600_347
; %bb.342:
	v_lshrrev_b32_e32 v22, 24, v23
	s_movk_i32 s8, 0x80
	v_cmp_ne_u32_e32 vcc, s8, v22
	v_bfrev_b32_e32 v55, 1
	s_and_saveexec_b64 s[8:9], vcc
	s_cbranch_execz .LBB600_346
; %bb.343:
	v_bfe_u32 v23, v23, 24, 7
	s_movk_i32 s10, 0x7f
	v_cmp_ne_u32_e32 vcc, s10, v23
	v_mov_b32_e32 v55, 0x7f800001
	s_and_saveexec_b64 s[10:11], vcc
	s_cbranch_execz .LBB600_345
; %bb.344:
	v_and_b32_e32 v55, 7, v22
	v_ffbh_u32_e32 v56, v55
	v_min_u32_e32 v59, 32, v56
	v_subrev_u32_e32 v56, 28, v59
	v_lshlrev_b64 v[56:57], v56, v[22:23]
	v_lshrrev_b32_e32 v58, 3, v23
	v_sub_u32_e32 v57, 29, v59
	v_and_b32_e32 v56, 7, v56
	v_cmp_gt_u32_e32 vcc, 8, v23
	v_cndmask_b32_e32 v23, v58, v57, vcc
	v_cndmask_b32_e32 v55, v55, v56, vcc
	v_lshlrev_b32_e32 v22, 24, v22
	v_bfrev_b32_e32 v56, 60
	v_lshlrev_b32_e32 v55, 20, v55
	v_and_b32_e32 v22, 0x80000000, v22
	v_lshl_add_u32 v23, v23, 23, v56
	v_or3_b32 v55, v22, v23, v55
.LBB600_345:
	s_or_b64 exec, exec, s[10:11]
.LBB600_346:
	s_or_b64 exec, exec, s[8:9]
.LBB600_347:
	s_or_b64 exec, exec, s[2:3]
	v_cvt_pkrtz_f16_f32 v22, v51, v44
	v_cvt_pkrtz_f16_f32 v23, v43, v52
	v_cmp_ne_u16_sdwa s[8:9], v24, v42 src0_sel:BYTE_0 src1_sel:DWORD
	s_nop 0
	v_mfma_f32_16x16x16f16 v[56:59], v[22:23], v[26:27], 0
	v_cvt_pkrtz_f16_f32 v22, v45, v54
	v_cvt_pkrtz_f16_f32 v23, v53, v55
	s_nop 1
	v_mfma_f32_16x16x16f16 v[26:29], v[22:23], v[28:29], v[56:59]
	s_and_saveexec_b64 s[2:3], s[8:9]
	s_cbranch_execz .LBB600_353
; %bb.348:
	s_movk_i32 s8, 0x80
	v_cmp_ne_u16_sdwa s[10:11], v24, s8 src0_sel:BYTE_0 src1_sel:DWORD
	v_bfrev_b32_e32 v42, 1
	s_and_saveexec_b64 s[8:9], s[10:11]
	s_cbranch_execz .LBB600_352
; %bb.349:
	s_movk_i32 s10, 0x7f
	v_and_b32_e32 v22, 0x7f, v24
	v_cmp_ne_u32_e32 vcc, s10, v22
	v_mov_b32_e32 v42, 0x7f800001
	s_and_saveexec_b64 s[10:11], vcc
	s_cbranch_execz .LBB600_351
; %bb.350:
	v_and_b32_e32 v23, 7, v24
	v_ffbh_u32_e32 v42, v23
	v_min_u32_e32 v45, 32, v42
	v_subrev_u32_e32 v42, 28, v45
	v_lshlrev_b64 v[42:43], v42, v[24:25]
	v_lshrrev_b32_e32 v44, 3, v22
	v_sub_u32_e32 v43, 29, v45
	v_and_b32_e32 v42, 7, v42
	v_cmp_gt_u32_e32 vcc, 8, v22
	v_cndmask_b32_e32 v22, v44, v43, vcc
	v_cndmask_b32_e32 v23, v23, v42, vcc
	v_lshlrev_b32_e32 v42, 24, v24
	v_bfrev_b32_e32 v43, 60
	v_lshlrev_b32_e32 v23, 20, v23
	v_and_b32_e32 v42, 0x80000000, v42
	v_lshl_add_u32 v22, v22, 23, v43
	v_or3_b32 v42, v42, v22, v23
.LBB600_351:
	s_or_b64 exec, exec, s[10:11]
.LBB600_352:
	s_or_b64 exec, exec, s[8:9]
.LBB600_353:
	s_or_b64 exec, exec, s[2:3]
	v_lshrrev_b16_e32 v22, 8, v24
	v_cmp_ne_u16_e32 vcc, 0, v22
	v_mov_b32_e32 v23, 0
	v_mov_b32_e32 v43, 0
	s_and_saveexec_b64 s[2:3], vcc
	s_cbranch_execz .LBB600_359
; %bb.354:
	s_movk_i32 s8, 0x80
	v_cmp_ne_u16_e32 vcc, s8, v22
	v_bfrev_b32_e32 v43, 1
	s_and_saveexec_b64 s[8:9], vcc
	s_cbranch_execz .LBB600_358
; %bb.355:
	s_movk_i32 s10, 0x7f
	v_and_b32_e32 v44, 0x7f, v22
	v_cmp_ne_u32_e32 vcc, s10, v44
	v_mov_b32_e32 v43, 0x7f800001
	s_and_saveexec_b64 s[10:11], vcc
	s_cbranch_execz .LBB600_357
; %bb.356:
	v_and_b32_e32 v43, 7, v22
	v_ffbh_u32_e32 v51, v43
	v_min_u32_e32 v51, 32, v51
	v_subrev_u32_e32 v52, 28, v51
	v_lshlrev_b64 v[52:53], v52, v[22:23]
	v_lshrrev_b32_e32 v45, 3, v44
	v_sub_u32_e32 v22, 29, v51
	v_and_b32_e32 v51, 7, v52
	v_cmp_gt_u32_e32 vcc, 8, v44
	v_cndmask_b32_e32 v22, v45, v22, vcc
	v_cndmask_b32_e32 v43, v43, v51, vcc
	v_lshlrev_b32_e32 v44, 16, v24
	v_bfrev_b32_e32 v45, 60
	v_lshlrev_b32_e32 v43, 20, v43
	v_and_b32_e32 v44, 0x80000000, v44
	v_lshl_add_u32 v22, v22, 23, v45
	v_or3_b32 v43, v44, v22, v43
.LBB600_357:
	s_or_b64 exec, exec, s[10:11]
.LBB600_358:
	s_or_b64 exec, exec, s[8:9]
.LBB600_359:
	s_or_b64 exec, exec, s[2:3]
	s_movk_i32 s2, 0xff
	v_and_b32_sdwa v44, v24, s2 dst_sel:DWORD dst_unused:UNUSED_PAD src0_sel:WORD_1 src1_sel:DWORD
	v_lshrrev_b32_e32 v22, 16, v24
	v_cmp_ne_u16_e32 vcc, 0, v44
	s_and_saveexec_b64 s[2:3], vcc
	s_cbranch_execz .LBB600_365
; %bb.360:
	s_movk_i32 s8, 0x80
	v_cmp_ne_u16_e32 vcc, s8, v44
	v_bfrev_b32_e32 v23, 1
	s_and_saveexec_b64 s[8:9], vcc
	s_cbranch_execz .LBB600_364
; %bb.361:
	v_bfe_u32 v44, v24, 16, 7
	s_movk_i32 s10, 0x7f
	v_cmp_ne_u32_e32 vcc, s10, v44
	v_mov_b32_e32 v23, 0x7f800001
	s_and_saveexec_b64 s[10:11], vcc
	s_cbranch_execz .LBB600_363
; %bb.362:
	v_and_b32_e32 v45, 7, v22
	v_ffbh_u32_e32 v23, v45
	v_min_u32_e32 v52, 32, v23
	v_subrev_u32_e32 v23, 28, v52
	v_lshlrev_b64 v[22:23], v23, v[22:23]
	v_lshrrev_b32_e32 v51, 3, v44
	v_sub_u32_e32 v23, 29, v52
	v_and_b32_e32 v22, 7, v22
	v_cmp_gt_u32_e32 vcc, 8, v44
	v_mov_b32_e32 v44, 24
	v_cndmask_b32_e32 v23, v51, v23, vcc
	v_cndmask_b32_e32 v22, v45, v22, vcc
	v_lshlrev_b32_sdwa v44, v44, v24 dst_sel:DWORD dst_unused:UNUSED_PAD src0_sel:DWORD src1_sel:WORD_1
	v_bfrev_b32_e32 v45, 60
	v_lshlrev_b32_e32 v22, 20, v22
	v_and_b32_e32 v44, 0x80000000, v44
	v_lshl_add_u32 v23, v23, 23, v45
	v_or3_b32 v23, v44, v23, v22
.LBB600_363:
	s_or_b64 exec, exec, s[10:11]
.LBB600_364:
	s_or_b64 exec, exec, s[8:9]
.LBB600_365:
	s_or_b64 exec, exec, s[2:3]
	s_mov_b32 s2, 0xffffff
	v_cmp_lt_u32_e32 vcc, s2, v24
	v_mov_b32_e32 v44, 0
	v_mov_b32_e32 v45, 0
	s_and_saveexec_b64 s[2:3], vcc
	s_cbranch_execz .LBB600_371
; %bb.366:
	v_lshrrev_b32_e32 v22, 24, v24
	s_movk_i32 s8, 0x80
	v_cmp_ne_u32_e32 vcc, s8, v22
	v_bfrev_b32_e32 v45, 1
	s_and_saveexec_b64 s[8:9], vcc
	s_cbranch_execz .LBB600_370
; %bb.367:
	v_bfe_u32 v24, v24, 24, 7
	s_movk_i32 s10, 0x7f
	v_cmp_ne_u32_e32 vcc, s10, v24
	v_mov_b32_e32 v45, 0x7f800001
	s_and_saveexec_b64 s[10:11], vcc
	s_cbranch_execz .LBB600_369
; %bb.368:
	v_and_b32_e32 v45, 7, v22
	v_ffbh_u32_e32 v52, v45
	v_min_u32_e32 v54, 32, v52
	v_subrev_u32_e32 v52, 28, v54
	v_lshlrev_b64 v[52:53], v52, v[22:23]
	v_lshrrev_b32_e32 v51, 3, v24
	v_sub_u32_e32 v53, 29, v54
	v_and_b32_e32 v52, 7, v52
	v_cmp_gt_u32_e32 vcc, 8, v24
	v_cndmask_b32_e32 v24, v51, v53, vcc
	v_cndmask_b32_e32 v45, v45, v52, vcc
	v_lshlrev_b32_e32 v22, 24, v22
	v_bfrev_b32_e32 v51, 60
	v_lshlrev_b32_e32 v45, 20, v45
	v_and_b32_e32 v22, 0x80000000, v22
	v_lshl_add_u32 v24, v24, 23, v51
	v_or3_b32 v45, v22, v24, v45
.LBB600_369:
	s_or_b64 exec, exec, s[10:11]
.LBB600_370:
	s_or_b64 exec, exec, s[8:9]
.LBB600_371:
	s_or_b64 exec, exec, s[2:3]
	v_cmp_ne_u16_sdwa s[8:9], v25, v44 src0_sel:BYTE_0 src1_sel:DWORD
	s_and_saveexec_b64 s[2:3], s[8:9]
	s_cbranch_execz .LBB600_377
; %bb.372:
	s_movk_i32 s8, 0x80
	v_cmp_ne_u16_sdwa s[10:11], v25, s8 src0_sel:BYTE_0 src1_sel:DWORD
	v_bfrev_b32_e32 v44, 1
	s_and_saveexec_b64 s[8:9], s[10:11]
	s_cbranch_execz .LBB600_376
; %bb.373:
	s_movk_i32 s10, 0x7f
	v_and_b32_e32 v22, 0x7f, v25
	v_cmp_ne_u32_e32 vcc, s10, v22
	v_mov_b32_e32 v44, 0x7f800001
	s_and_saveexec_b64 s[10:11], vcc
	s_cbranch_execz .LBB600_375
; %bb.374:
	v_and_b32_e32 v44, 7, v25
	v_ffbh_u32_e32 v52, v44
	v_min_u32_e32 v54, 32, v52
	v_mov_b32_e32 v24, v25
	v_subrev_u32_e32 v52, 28, v54
	v_lshlrev_b64 v[52:53], v52, v[24:25]
	v_lshrrev_b32_e32 v51, 3, v22
	v_sub_u32_e32 v24, 29, v54
	v_and_b32_e32 v52, 7, v52
	v_cmp_gt_u32_e32 vcc, 8, v22
	v_cndmask_b32_e32 v22, v51, v24, vcc
	v_cndmask_b32_e32 v24, v44, v52, vcc
	v_lshlrev_b32_e32 v44, 24, v25
	v_bfrev_b32_e32 v51, 60
	v_lshlrev_b32_e32 v24, 20, v24
	v_and_b32_e32 v44, 0x80000000, v44
	v_lshl_add_u32 v22, v22, 23, v51
	v_or3_b32 v44, v44, v22, v24
.LBB600_375:
	s_or_b64 exec, exec, s[10:11]
.LBB600_376:
	s_or_b64 exec, exec, s[8:9]
.LBB600_377:
	s_or_b64 exec, exec, s[2:3]
	v_lshrrev_b16_e32 v22, 8, v25
	v_cmp_ne_u16_e32 vcc, 0, v22
	v_mov_b32_e32 v24, 0
	v_mov_b32_e32 v52, 0
	s_and_saveexec_b64 s[2:3], vcc
	s_cbranch_execz .LBB600_383
; %bb.378:
	s_movk_i32 s8, 0x80
	v_cmp_ne_u16_e32 vcc, s8, v22
	v_bfrev_b32_e32 v52, 1
	s_and_saveexec_b64 s[8:9], vcc
	s_cbranch_execz .LBB600_382
; %bb.379:
	s_movk_i32 s10, 0x7f
	v_and_b32_e32 v51, 0x7f, v22
	v_cmp_ne_u32_e32 vcc, s10, v51
	v_mov_b32_e32 v52, 0x7f800001
	s_and_saveexec_b64 s[10:11], vcc
	s_cbranch_execz .LBB600_381
; %bb.380:
	v_and_b32_e32 v54, 7, v22
	v_ffbh_u32_e32 v52, v54
	v_min_u32_e32 v56, 32, v52
	v_subrev_u32_e32 v52, 28, v56
	v_lshlrev_b64 v[52:53], v52, v[22:23]
	v_lshrrev_b32_e32 v55, 3, v51
	v_sub_u32_e32 v22, 29, v56
	v_and_b32_e32 v52, 7, v52
	v_cmp_gt_u32_e32 vcc, 8, v51
	v_cndmask_b32_e32 v22, v55, v22, vcc
	v_cndmask_b32_e32 v51, v54, v52, vcc
	v_lshlrev_b32_e32 v52, 16, v25
	v_bfrev_b32_e32 v53, 60
	v_lshlrev_b32_e32 v51, 20, v51
	v_and_b32_e32 v52, 0x80000000, v52
	v_lshl_add_u32 v22, v22, 23, v53
	v_or3_b32 v52, v52, v22, v51
.LBB600_381:
	s_or_b64 exec, exec, s[10:11]
.LBB600_382:
	s_or_b64 exec, exec, s[8:9]
.LBB600_383:
	s_or_b64 exec, exec, s[2:3]
	s_movk_i32 s2, 0xff
	v_and_b32_sdwa v51, v25, s2 dst_sel:DWORD dst_unused:UNUSED_PAD src0_sel:WORD_1 src1_sel:DWORD
	v_lshrrev_b32_e32 v22, 16, v25
	v_cmp_ne_u16_e32 vcc, 0, v51
	s_and_saveexec_b64 s[2:3], vcc
	s_cbranch_execz .LBB600_389
; %bb.384:
	s_movk_i32 s8, 0x80
	v_cmp_ne_u16_e32 vcc, s8, v51
	v_bfrev_b32_e32 v24, 1
	s_and_saveexec_b64 s[8:9], vcc
	s_cbranch_execz .LBB600_388
; %bb.385:
	v_bfe_u32 v51, v25, 16, 7
	s_movk_i32 s10, 0x7f
	v_cmp_ne_u32_e32 vcc, s10, v51
	v_mov_b32_e32 v24, 0x7f800001
	s_and_saveexec_b64 s[10:11], vcc
	s_cbranch_execz .LBB600_387
; %bb.386:
	v_and_b32_e32 v24, 7, v22
	v_ffbh_u32_e32 v54, v24
	v_min_u32_e32 v56, 32, v54
	v_subrev_u32_e32 v54, 28, v56
	v_lshlrev_b64 v[54:55], v54, v[22:23]
	v_lshrrev_b32_e32 v53, 3, v51
	v_sub_u32_e32 v22, 29, v56
	v_and_b32_e32 v54, 7, v54
	v_cmp_gt_u32_e32 vcc, 8, v51
	v_mov_b32_e32 v51, 24
	v_cndmask_b32_e32 v22, v53, v22, vcc
	v_cndmask_b32_e32 v24, v24, v54, vcc
	v_lshlrev_b32_sdwa v51, v51, v25 dst_sel:DWORD dst_unused:UNUSED_PAD src0_sel:DWORD src1_sel:WORD_1
	v_bfrev_b32_e32 v53, 60
	v_lshlrev_b32_e32 v24, 20, v24
	v_and_b32_e32 v51, 0x80000000, v51
	v_lshl_add_u32 v22, v22, 23, v53
	v_or3_b32 v24, v51, v22, v24
.LBB600_387:
	s_or_b64 exec, exec, s[10:11]
.LBB600_388:
	s_or_b64 exec, exec, s[8:9]
.LBB600_389:
	s_or_b64 exec, exec, s[2:3]
	s_mov_b32 s2, 0xffffff
	v_and_b32_e32 v51, 63, v0
	v_cmp_lt_u32_e32 vcc, s2, v25
	v_mov_b32_e32 v53, 0
	s_and_saveexec_b64 s[2:3], vcc
	s_cbranch_execz .LBB600_395
; %bb.390:
	v_lshrrev_b32_e32 v22, 24, v25
	s_movk_i32 s8, 0x80
	v_cmp_ne_u32_e32 vcc, s8, v22
	v_bfrev_b32_e32 v53, 1
	s_and_saveexec_b64 s[8:9], vcc
	s_cbranch_execz .LBB600_394
; %bb.391:
	v_bfe_u32 v25, v25, 24, 7
	s_movk_i32 s10, 0x7f
	v_cmp_ne_u32_e32 vcc, s10, v25
	v_mov_b32_e32 v53, 0x7f800001
	s_and_saveexec_b64 s[10:11], vcc
	s_cbranch_execz .LBB600_393
; %bb.392:
	v_and_b32_e32 v53, 7, v22
	v_ffbh_u32_e32 v54, v53
	v_min_u32_e32 v57, 32, v54
	v_subrev_u32_e32 v54, 28, v57
	v_lshlrev_b64 v[54:55], v54, v[22:23]
	v_lshrrev_b32_e32 v56, 3, v25
	v_sub_u32_e32 v55, 29, v57
	v_and_b32_e32 v54, 7, v54
	v_cmp_gt_u32_e32 vcc, 8, v25
	v_cndmask_b32_e32 v25, v56, v55, vcc
	v_cndmask_b32_e32 v53, v53, v54, vcc
	v_lshlrev_b32_e32 v22, 24, v22
	v_bfrev_b32_e32 v54, 60
	v_lshlrev_b32_e32 v53, 20, v53
	v_and_b32_e32 v22, 0x80000000, v22
	v_lshl_add_u32 v25, v25, 23, v54
	v_or3_b32 v53, v22, v25, v53
.LBB600_393:
	s_or_b64 exec, exec, s[10:11]
.LBB600_394:
	s_or_b64 exec, exec, s[8:9]
.LBB600_395:
	s_or_b64 exec, exec, s[2:3]
	v_cvt_pkrtz_f16_f32 v42, v42, v43
	v_cvt_pkrtz_f16_f32 v43, v23, v45
	s_load_dword s2, s[4:5], 0x1c
	s_mov_b32 s46, 0xff7fffff
	s_waitcnt lgkmcnt(0)
	v_mfma_f32_16x16x16f16 v[26:29], v[42:43], v[18:19], v[26:29]
	v_cvt_pkrtz_f16_f32 v18, v44, v52
	v_cvt_pkrtz_f16_f32 v19, v24, v53
	v_and_b32_e32 v24, 0xc0, v0
	v_mov_b32_e32 v22, s2
	v_add_u32_e32 v24, s20, v24
	v_mul_f32_e32 v54, s12, v22
	v_lshl_or_b32 v42, v1, 2, v24
	v_mfma_f32_16x16x16f16 v[18:21], v[18:19], v[20:21], v[26:29]
	v_pk_mul_f32 v[22:23], v[54:55], v[36:37] op_sel_hi:[0,1]
	v_pk_mul_f32 v[36:37], v[54:55], v[40:41] op_sel_hi:[0,1]
	;; [unrolled: 1-line block ×4, first 2 shown]
	v_mov_b32_e32 v43, 0xff7fffff
	v_cmp_gt_i32_e64 s[26:27], s33, v42
	v_pk_mul_f32 v[38:39], v[54:55], v[38:39] op_sel_hi:[0,1]
	s_nop 3
	v_pk_mul_f32 v[32:33], v[54:55], v[18:19] op_sel_hi:[0,1]
	v_or_b32_e32 v19, 1, v42
	v_cmp_gt_i32_e64 s[28:29], s33, v19
	v_cndmask_b32_e64 v18, v43, v30, s[26:27]
	v_cndmask_b32_e64 v19, v43, v31, s[28:29]
	v_pk_mul_f32 v[24:25], v[54:55], v[20:21] op_sel_hi:[0,1]
	v_max3_f32 v18, v18, s46, v19
	v_or_b32_e32 v19, 2, v42
	v_or_b32_e32 v20, 3, v42
	v_cmp_gt_i32_e64 s[30:31], s33, v19
	v_cmp_gt_i32_e64 s[34:35], s33, v20
	v_cndmask_b32_e64 v19, v43, v40, s[30:31]
	v_cndmask_b32_e64 v20, v43, v41, s[34:35]
	v_max3_f32 v18, v18, v19, v20
	v_or_b32_e32 v19, 16, v42
	v_or_b32_e32 v20, 17, v42
	v_cmp_gt_i32_e64 s[36:37], s33, v19
	v_cmp_gt_i32_e64 s[38:39], s33, v20
	v_cndmask_b32_e64 v19, v43, v38, s[36:37]
	v_cndmask_b32_e64 v20, v43, v39, s[38:39]
	;; [unrolled: 7-line block ×3, first 2 shown]
	v_max3_f32 v18, v18, v19, v20
	v_or_b32_e32 v19, 32, v42
	v_or_b32_e32 v20, 33, v42
	v_pk_mul_f32 v[34:35], v[54:55], v[34:35] op_sel_hi:[0,1]
	v_cmp_gt_i32_e64 s[16:17], s33, v19
	v_cmp_gt_i32_e64 s[18:19], s33, v20
	v_cndmask_b32_e64 v19, v43, v34, s[16:17]
	v_cndmask_b32_e64 v20, v43, v35, s[18:19]
	v_max3_f32 v18, v18, v19, v20
	v_or_b32_e32 v19, 34, v42
	v_or_b32_e32 v20, 35, v42
	v_cmp_gt_i32_e64 s[12:13], s33, v19
	v_cmp_gt_i32_e64 s[14:15], s33, v20
	v_cndmask_b32_e64 v19, v43, v22, s[12:13]
	v_cndmask_b32_e64 v20, v43, v23, s[14:15]
	v_max3_f32 v18, v18, v19, v20
	v_or_b32_e32 v19, 48, v42
	v_or_b32_e32 v20, 49, v42
	;; [unrolled: 7-line block ×3, first 2 shown]
	v_cmp_gt_i32_e32 vcc, s33, v19
	v_cmp_gt_i32_e64 s[2:3], s33, v20
	v_cndmask_b32_e32 v19, v43, v24, vcc
	v_cndmask_b32_e64 v20, v43, v25, s[2:3]
	v_max3_f32 v18, v18, v19, v20
	v_mbcnt_lo_u32_b32 v19, -1, 0
	v_mbcnt_hi_u32_b32 v19, -1, v19
	v_and_b32_e32 v20, 64, v19
	v_add_u32_e32 v20, 64, v20
	v_xor_b32_e32 v21, 32, v19
	v_cmp_lt_i32_e64 s[40:41], v21, v20
	v_cndmask_b32_e64 v21, v19, v21, s[40:41]
	v_lshlrev_b32_e32 v43, 2, v21
	ds_bpermute_b32 v21, v43, v18
	s_barrier
	s_waitcnt lgkmcnt(0)
	v_max_f32_e32 v21, v21, v21
	v_max_f32_e32 v18, v18, v21
	v_xor_b32_e32 v21, 16, v19
	v_cmp_lt_i32_e64 s[40:41], v21, v20
	v_cndmask_b32_e64 v19, v19, v21, s[40:41]
	v_lshlrev_b32_e32 v44, 2, v19
	ds_bpermute_b32 v19, v44, v18
	s_waitcnt lgkmcnt(0)
	v_max_f32_e32 v19, v19, v19
	v_max_f32_e32 v42, v18, v19
	v_sub_f32_e32 v21, v40, v42
	v_sub_f32_e32 v26, v41, v42
	v_mul_f32_e32 v21, 0x3fb8aa3b, v21
	v_mul_f32_e32 v26, 0x3fb8aa3b, v26
	v_sub_f32_e32 v18, v30, v42
	v_exp_f32_e32 v21, v21
	v_exp_f32_e32 v26, v26
	v_mul_f32_e32 v18, 0x3fb8aa3b, v18
	v_sub_f32_e32 v19, v31, v42
	v_exp_f32_e32 v18, v18
	v_mul_f32_e32 v19, 0x3fb8aa3b, v19
	v_exp_f32_e32 v19, v19
	v_cndmask_b32_e64 v28, 0, v21, s[30:31]
	v_cndmask_b32_e64 v29, 0, v26, s[34:35]
	v_sub_f32_e32 v21, v38, v42
	v_sub_f32_e32 v26, v39, v42
	v_mul_f32_e32 v21, 0x3fb8aa3b, v21
	v_mul_f32_e32 v26, 0x3fb8aa3b, v26
	v_cndmask_b32_e64 v18, 0, v18, s[26:27]
	v_exp_f32_e32 v21, v21
	v_exp_f32_e32 v26, v26
	v_add_f32_e32 v20, 0, v18
	v_cndmask_b32_e64 v19, 0, v19, s[28:29]
	v_add_f32_e32 v20, v20, v19
	v_add_f32_e32 v20, v20, v28
	;; [unrolled: 1-line block ×3, first 2 shown]
	v_cndmask_b32_e64 v20, 0, v21, s[36:37]
	v_cndmask_b32_e64 v21, 0, v26, s[38:39]
	v_sub_f32_e32 v26, v36, v42
	v_mul_f32_e32 v26, 0x3fb8aa3b, v26
	v_exp_f32_e32 v26, v26
	v_sub_f32_e32 v30, v37, v42
	v_add_f32_e32 v27, v27, v20
	v_mul_f32_e32 v30, 0x3fb8aa3b, v30
	v_exp_f32_e32 v31, v30
	v_add_f32_e32 v27, v27, v21
	v_cndmask_b32_e64 v30, 0, v26, s[20:21]
	v_add_f32_e32 v26, v27, v30
	v_sub_f32_e32 v27, v34, v42
	v_mul_f32_e32 v27, 0x3fb8aa3b, v27
	v_sub_f32_e32 v34, v35, v42
	v_exp_f32_e32 v27, v27
	v_mul_f32_e32 v34, 0x3fb8aa3b, v34
	v_sub_f32_e32 v22, v22, v42
	v_exp_f32_e32 v34, v34
	;; [unrolled: 3-line block ×3, first 2 shown]
	v_mul_f32_e32 v23, 0x3fb8aa3b, v23
	v_cndmask_b32_e64 v31, 0, v31, s[22:23]
	v_exp_f32_e32 v23, v23
	v_add_f32_e32 v35, v26, v31
	v_cndmask_b32_e64 v26, 0, v27, s[16:17]
	v_add_f32_e32 v35, v35, v26
	v_cndmask_b32_e64 v27, 0, v34, s[18:19]
	;; [unrolled: 2-line block ×4, first 2 shown]
	v_sub_f32_e32 v23, v32, v42
	v_mul_f32_e32 v23, 0x3fb8aa3b, v23
	v_sub_f32_e32 v32, v33, v42
	v_exp_f32_e32 v23, v23
	v_mul_f32_e32 v32, 0x3fb8aa3b, v32
	v_sub_f32_e32 v24, v24, v42
	v_exp_f32_e32 v32, v32
	v_mul_f32_e32 v24, 0x3fb8aa3b, v24
	v_sub_f32_e32 v25, v25, v42
	v_exp_f32_e32 v24, v24
	v_mul_f32_e32 v25, 0x3fb8aa3b, v25
	v_exp_f32_e32 v25, v25
	v_add_f32_e32 v33, v22, v35
	v_cndmask_b32_e64 v22, 0, v23, s[8:9]
	v_add_f32_e32 v33, v33, v22
	v_cndmask_b32_e64 v23, 0, v32, s[10:11]
	v_add_f32_e32 v32, v33, v23
	v_cndmask_b32_e32 v24, 0, v24, vcc
	v_add_f32_e32 v32, v32, v24
	v_cndmask_b32_e64 v25, 0, v25, s[2:3]
	v_add_f32_e32 v32, v32, v25
	ds_bpermute_b32 v33, v43, v32
	v_cmp_gt_u32_e32 vcc, 16, v51
	s_waitcnt lgkmcnt(0)
	v_add_f32_e32 v33, v32, v33
	ds_bpermute_b32 v36, v44, v33
	v_lshlrev_b32_e32 v32, 2, v49
	s_and_saveexec_b64 s[2:3], vcc
	s_cbranch_execz .LBB600_397
; %bb.396:
	s_waitcnt lgkmcnt(0)
	v_add_f32_e32 v33, v33, v36
	v_lshl_or_b32 v36, v50, 6, v32
	ds_write2st64_b32 v36, v42, v33 offset1:1
.LBB600_397:
	s_or_b64 exec, exec, s[2:3]
	s_waitcnt lgkmcnt(0)
	s_barrier
	ds_read2_b32 v[36:37], v32 offset1:16
	ds_read2_b32 v[38:39], v32 offset0:32 offset1:48
	ds_read2_b32 v[40:41], v32 offset0:64 offset1:80
	;; [unrolled: 1-line block ×3, first 2 shown]
	s_waitcnt lgkmcnt(0)
	v_max3_f32 v33, v36, s46, v37
	v_max3_f32 v33, v33, v38, v39
	v_sub_f32_e32 v36, v36, v33
	v_mul_f32_e32 v36, 0x3fb8aa3b, v36
	v_exp_f32_e32 v44, v36
	v_sub_f32_e32 v36, v37, v33
	v_mul_f32_e32 v36, 0x3fb8aa3b, v36
	v_exp_f32_e32 v37, v36
	v_sub_f32_e32 v36, v38, v33
	v_mul_f32_e32 v36, 0x3fb8aa3b, v36
	v_sub_f32_e32 v32, v39, v33
	v_exp_f32_e32 v38, v36
	v_mul_f32_e32 v32, 0x3fb8aa3b, v32
	v_exp_f32_e32 v39, v32
	v_fma_f32 v36, v44, v40, 0
	v_fmac_f32_e32 v36, v37, v41
	v_fmac_f32_e32 v36, v38, v42
	;; [unrolled: 1-line block ×3, first 2 shown]
	v_add_f32_e32 v40, 0x358637bd, v36
	v_div_scale_f32 v41, s[2:3], v40, v40, 1.0
	v_rcp_f32_e32 v42, v41
	s_barrier
	s_mul_i32 s12, s45, 11
	v_fma_f32 v43, -v41, v42, 1.0
	v_fmac_f32_e32 v42, v43, v42
	v_div_scale_f32 v43, vcc, 1.0, v40, 1.0
	v_mul_f32_e32 v45, v43, v42
	v_fma_f32 v51, -v41, v45, v43
	v_fmac_f32_e32 v45, v51, v42
	v_fma_f32 v41, -v41, v45, v43
	v_div_fmas_f32 v41, v41, v42, v45
	v_cmp_eq_u32_e32 vcc, 1, v50
	v_cndmask_b32_e32 v37, v44, v37, vcc
	v_cmp_eq_u32_e32 vcc, 2, v50
	v_cndmask_b32_e32 v37, v37, v38, vcc
	v_cmp_eq_u32_e32 vcc, 3, v50
	v_div_fixup_f32 v40, v41, v40, 1.0
	v_cndmask_b32_e32 v37, v37, v39, vcc
	v_mul_f32_e32 v38, v37, v40
	v_pk_mul_f32 v[28:29], v[38:39], v[28:29] op_sel_hi:[0,1]
	v_pk_mul_f32 v[18:19], v[38:39], v[18:19] op_sel_hi:[0,1]
	v_cvt_f16_f32_e32 v18, v18
	v_cvt_f16_f32_e32 v19, v19
	;; [unrolled: 1-line block ×4, first 2 shown]
	v_pk_mul_f32 v[20:21], v[38:39], v[20:21] op_sel_hi:[0,1]
	v_pack_b32_f16 v18, v18, v19
	v_cvt_f16_f32_e32 v20, v20
	v_pack_b32_f16 v19, v28, v29
	v_pk_mul_f32 v[28:29], v[38:39], v[30:31] op_sel_hi:[0,1]
	v_cvt_f16_f32_e32 v21, v21
	v_cvt_f16_f32_e32 v30, v28
	;; [unrolled: 1-line block ×3, first 2 shown]
	v_lshlrev_b32_e32 v37, 3, v1
	v_lshlrev_b32_e32 v28, 11, v50
	v_or3_b32 v28, v28, v48, v37
	v_pack_b32_f16 v20, v20, v21
	v_pack_b32_f16 v21, v30, v29
	ds_write2st64_b64 v28, v[18:19], v[20:21] offset1:1
	v_pk_mul_f32 v[18:19], v[38:39], v[34:35] op_sel_hi:[0,1]
	v_pk_mul_f32 v[20:21], v[38:39], v[26:27] op_sel_hi:[0,1]
	v_cvt_f16_f32_e32 v26, v20
	v_cvt_f16_f32_e32 v27, v21
	;; [unrolled: 1-line block ×4, first 2 shown]
	v_pk_mul_f32 v[18:19], v[38:39], v[24:25] op_sel_hi:[0,1]
	v_pk_mul_f32 v[20:21], v[38:39], v[22:23] op_sel_hi:[0,1]
	v_cvt_f16_f32_e32 v20, v20
	v_cvt_f16_f32_e32 v21, v21
	v_cvt_f16_f32_e32 v22, v18
	v_cvt_f16_f32_e32 v23, v19
	v_mov_b32_e32 v32, 0
	v_pack_b32_f16 v18, v26, v27
	v_pack_b32_f16 v19, v29, v30
	;; [unrolled: 1-line block ×4, first 2 shown]
	v_cmp_gt_u32_e32 vcc, 11, v0
	ds_write2st64_b64 v28, v[18:19], v[20:21] offset0:2 offset1:3
	s_and_saveexec_b64 s[2:3], vcc
	s_cbranch_execz .LBB600_399
; %bb.398:
	v_add_co_u32_e32 v20, vcc, s25, v49
	v_addc_co_u32_e64 v21, s[14:15], 0, 0, vcc
	v_mov_b32_e32 v18, s12
	v_mov_b32_e32 v19, 0
	v_mad_u64_u32 v[20:21], s[14:15], s6, v18, v[20:21]
	v_mov_b32_e32 v18, s24
	s_load_dwordx4 s[8:11], s[4:5], 0x58
	s_mul_i32 s7, s7, s12
	v_mad_u64_u32 v[18:19], s[14:15], v20, s44, v[18:19]
	v_add_u32_e32 v21, s7, v21
	v_mov_b32_e32 v20, v19
	v_mad_u64_u32 v[20:21], s[14:15], v21, s44, v[20:21]
	v_mov_b32_e32 v19, v20
	v_lshlrev_b64 v[18:19], 2, v[18:19]
	s_waitcnt lgkmcnt(0)
	v_mov_b32_e32 v21, s11
	v_add_co_u32_e32 v20, vcc, s10, v18
	v_addc_co_u32_e32 v21, vcc, v21, v19, vcc
	global_store_dword v[20:21], v33, off
	v_mov_b32_e32 v20, s9
	v_add_co_u32_e32 v18, vcc, s8, v18
	v_addc_co_u32_e32 v19, vcc, v20, v19, vcc
	global_store_dword v[18:19], v36, off
.LBB600_399:
	s_or_b64 exec, exec, s[2:3]
	v_mov_b32_e32 v19, 0
	s_waitcnt vmcnt(3)
	v_cmp_ne_u16_sdwa s[8:9], v14, v19 src0_sel:BYTE_0 src1_sel:DWORD
	s_waitcnt lgkmcnt(0)
	s_barrier
	s_and_saveexec_b64 s[2:3], s[8:9]
	s_cbranch_execz .LBB600_405
; %bb.400:
	s_movk_i32 s7, 0x80
	v_cmp_ne_u16_sdwa s[10:11], v14, s7 src0_sel:BYTE_0 src1_sel:DWORD
	v_bfrev_b32_e32 v32, 1
	s_and_saveexec_b64 s[8:9], s[10:11]
	s_cbranch_execz .LBB600_404
; %bb.401:
	s_movk_i32 s7, 0x7f
	v_and_b32_e32 v18, 0x7f, v14
	v_cmp_ne_u32_e32 vcc, s7, v18
	v_mov_b32_e32 v32, 0x7f800001
	s_and_saveexec_b64 s[10:11], vcc
	s_cbranch_execz .LBB600_403
; %bb.402:
	v_and_b32_e32 v22, 7, v14
	v_ffbh_u32_e32 v20, v22
	v_min_u32_e32 v24, 32, v20
	v_subrev_u32_e32 v20, 28, v24
	v_lshlrev_b64 v[20:21], v20, v[14:15]
	v_lshrrev_b32_e32 v23, 3, v18
	v_sub_u32_e32 v21, 29, v24
	v_and_b32_e32 v20, 7, v20
	v_cmp_gt_u32_e32 vcc, 8, v18
	v_cndmask_b32_e32 v18, v23, v21, vcc
	v_cndmask_b32_e32 v20, v22, v20, vcc
	v_lshlrev_b32_e32 v21, 24, v14
	v_bfrev_b32_e32 v22, 60
	v_lshlrev_b32_e32 v20, 20, v20
	v_and_b32_e32 v21, 0x80000000, v21
	v_lshl_add_u32 v18, v18, 23, v22
	v_or3_b32 v32, v21, v18, v20
.LBB600_403:
	s_or_b64 exec, exec, s[10:11]
.LBB600_404:
	s_or_b64 exec, exec, s[8:9]
.LBB600_405:
	s_or_b64 exec, exec, s[2:3]
	v_lshrrev_b16_e32 v18, 8, v14
	v_cmp_ne_u16_e32 vcc, 0, v18
	v_mov_b32_e32 v20, 0
	s_and_saveexec_b64 s[2:3], vcc
	s_cbranch_execz .LBB600_411
; %bb.406:
	s_movk_i32 s7, 0x80
	v_cmp_ne_u16_e32 vcc, s7, v18
	v_bfrev_b32_e32 v20, 1
	s_and_saveexec_b64 s[8:9], vcc
	s_cbranch_execz .LBB600_410
; %bb.407:
	s_movk_i32 s7, 0x7f
	v_and_b32_e32 v21, 0x7f, v18
	v_cmp_ne_u32_e32 vcc, s7, v21
	v_mov_b32_e32 v20, 0x7f800001
	s_and_saveexec_b64 s[10:11], vcc
	s_cbranch_execz .LBB600_409
; %bb.408:
	v_and_b32_e32 v20, 7, v18
	v_ffbh_u32_e32 v22, v20
	v_min_u32_e32 v25, 32, v22
	v_subrev_u32_e32 v22, 28, v25
	v_lshlrev_b64 v[22:23], v22, v[18:19]
	v_lshrrev_b32_e32 v24, 3, v21
	v_sub_u32_e32 v18, 29, v25
	v_and_b32_e32 v22, 7, v22
	v_cmp_gt_u32_e32 vcc, 8, v21
	v_cndmask_b32_e32 v18, v24, v18, vcc
	v_cndmask_b32_e32 v20, v20, v22, vcc
	v_lshlrev_b32_e32 v21, 16, v14
	v_bfrev_b32_e32 v22, 60
	v_lshlrev_b32_e32 v20, 20, v20
	v_and_b32_e32 v21, 0x80000000, v21
	v_lshl_add_u32 v18, v18, 23, v22
	v_or3_b32 v20, v21, v18, v20
.LBB600_409:
	s_or_b64 exec, exec, s[10:11]
.LBB600_410:
	s_or_b64 exec, exec, s[8:9]
.LBB600_411:
	s_or_b64 exec, exec, s[2:3]
	s_movk_i32 s2, 0xff
	v_and_b32_sdwa v21, v14, s2 dst_sel:DWORD dst_unused:UNUSED_PAD src0_sel:WORD_1 src1_sel:DWORD
	v_lshrrev_b32_e32 v18, 16, v14
	v_cmp_ne_u16_e32 vcc, 0, v21
	s_and_saveexec_b64 s[2:3], vcc
	s_cbranch_execz .LBB600_417
; %bb.412:
	s_movk_i32 s7, 0x80
	v_cmp_ne_u16_e32 vcc, s7, v21
	v_bfrev_b32_e32 v19, 1
	s_and_saveexec_b64 s[8:9], vcc
	s_cbranch_execz .LBB600_416
; %bb.413:
	v_bfe_u32 v21, v14, 16, 7
	s_movk_i32 s7, 0x7f
	v_cmp_ne_u32_e32 vcc, s7, v21
	v_mov_b32_e32 v19, 0x7f800001
	s_and_saveexec_b64 s[10:11], vcc
	s_cbranch_execz .LBB600_415
; %bb.414:
	v_and_b32_e32 v22, 7, v18
	v_ffbh_u32_e32 v19, v22
	v_min_u32_e32 v24, 32, v19
	v_subrev_u32_e32 v19, 28, v24
	v_lshlrev_b64 v[18:19], v19, v[18:19]
	v_lshrrev_b32_e32 v23, 3, v21
	v_sub_u32_e32 v19, 29, v24
	v_and_b32_e32 v18, 7, v18
	v_cmp_gt_u32_e32 vcc, 8, v21
	v_mov_b32_e32 v21, 24
	v_cndmask_b32_e32 v19, v23, v19, vcc
	v_cndmask_b32_e32 v18, v22, v18, vcc
	v_lshlrev_b32_sdwa v21, v21, v14 dst_sel:DWORD dst_unused:UNUSED_PAD src0_sel:DWORD src1_sel:WORD_1
	v_bfrev_b32_e32 v22, 60
	v_lshlrev_b32_e32 v18, 20, v18
	v_and_b32_e32 v21, 0x80000000, v21
	v_lshl_add_u32 v19, v19, 23, v22
	v_or3_b32 v19, v21, v19, v18
.LBB600_415:
	s_or_b64 exec, exec, s[10:11]
.LBB600_416:
	s_or_b64 exec, exec, s[8:9]
.LBB600_417:
	s_or_b64 exec, exec, s[2:3]
	s_mov_b32 s2, 0xffffff
	v_cmp_lt_u32_e32 vcc, s2, v14
	v_mov_b32_e32 v21, 0
	v_mov_b32_e32 v22, 0
	s_and_saveexec_b64 s[2:3], vcc
	s_cbranch_execz .LBB600_423
; %bb.418:
	v_lshrrev_b32_e32 v18, 24, v14
	s_movk_i32 s7, 0x80
	v_cmp_ne_u32_e32 vcc, s7, v18
	v_bfrev_b32_e32 v22, 1
	s_and_saveexec_b64 s[8:9], vcc
	s_cbranch_execz .LBB600_422
; %bb.419:
	v_bfe_u32 v14, v14, 24, 7
	s_movk_i32 s7, 0x7f
	v_cmp_ne_u32_e32 vcc, s7, v14
	v_mov_b32_e32 v22, 0x7f800001
	s_and_saveexec_b64 s[10:11], vcc
	s_cbranch_execz .LBB600_421
; %bb.420:
	v_and_b32_e32 v24, 7, v18
	v_ffbh_u32_e32 v22, v24
	v_min_u32_e32 v26, 32, v22
	v_subrev_u32_e32 v22, 28, v26
	v_lshlrev_b64 v[22:23], v22, v[18:19]
	v_lshrrev_b32_e32 v25, 3, v14
	v_sub_u32_e32 v23, 29, v26
	v_and_b32_e32 v22, 7, v22
	v_cmp_gt_u32_e32 vcc, 8, v14
	v_cndmask_b32_e32 v14, v25, v23, vcc
	v_cndmask_b32_e32 v22, v24, v22, vcc
	v_lshlrev_b32_e32 v18, 24, v18
	v_bfrev_b32_e32 v23, 60
	v_lshlrev_b32_e32 v22, 20, v22
	v_and_b32_e32 v18, 0x80000000, v18
	v_lshl_add_u32 v14, v14, 23, v23
	v_or3_b32 v22, v18, v14, v22
.LBB600_421:
	s_or_b64 exec, exec, s[10:11]
.LBB600_422:
	s_or_b64 exec, exec, s[8:9]
.LBB600_423:
	s_or_b64 exec, exec, s[2:3]
	v_cmp_ne_u16_sdwa s[8:9], v15, v21 src0_sel:BYTE_0 src1_sel:DWORD
	s_and_saveexec_b64 s[2:3], s[8:9]
	s_cbranch_execz .LBB600_429
; %bb.424:
	s_movk_i32 s7, 0x80
	v_cmp_ne_u16_sdwa s[10:11], v15, s7 src0_sel:BYTE_0 src1_sel:DWORD
	v_bfrev_b32_e32 v21, 1
	s_and_saveexec_b64 s[8:9], s[10:11]
	s_cbranch_execz .LBB600_428
; %bb.425:
	s_movk_i32 s7, 0x7f
	v_and_b32_e32 v14, 0x7f, v15
	v_cmp_ne_u32_e32 vcc, s7, v14
	v_mov_b32_e32 v21, 0x7f800001
	s_and_saveexec_b64 s[10:11], vcc
	s_cbranch_execz .LBB600_427
; %bb.426:
	v_and_b32_e32 v21, 7, v15
	v_ffbh_u32_e32 v24, v21
	v_min_u32_e32 v26, 32, v24
	v_mov_b32_e32 v18, v15
	v_subrev_u32_e32 v24, 28, v26
	v_lshlrev_b64 v[24:25], v24, v[18:19]
	v_lshrrev_b32_e32 v23, 3, v14
	v_sub_u32_e32 v18, 29, v26
	v_and_b32_e32 v24, 7, v24
	v_cmp_gt_u32_e32 vcc, 8, v14
	v_cndmask_b32_e32 v14, v23, v18, vcc
	v_cndmask_b32_e32 v18, v21, v24, vcc
	v_lshlrev_b32_e32 v21, 24, v15
	v_bfrev_b32_e32 v23, 60
	v_lshlrev_b32_e32 v18, 20, v18
	v_and_b32_e32 v21, 0x80000000, v21
	v_lshl_add_u32 v14, v14, 23, v23
	v_or3_b32 v21, v21, v14, v18
.LBB600_427:
	s_or_b64 exec, exec, s[10:11]
.LBB600_428:
	s_or_b64 exec, exec, s[8:9]
.LBB600_429:
	s_or_b64 exec, exec, s[2:3]
	v_lshrrev_b16_e32 v14, 8, v15
	v_cmp_ne_u16_e32 vcc, 0, v14
	v_mov_b32_e32 v18, 0
	v_mov_b32_e32 v24, 0
	s_and_saveexec_b64 s[2:3], vcc
	s_cbranch_execz .LBB600_435
; %bb.430:
	s_movk_i32 s7, 0x80
	v_cmp_ne_u16_e32 vcc, s7, v14
	v_bfrev_b32_e32 v24, 1
	s_and_saveexec_b64 s[8:9], vcc
	s_cbranch_execz .LBB600_434
; %bb.431:
	s_movk_i32 s7, 0x7f
	v_and_b32_e32 v23, 0x7f, v14
	v_cmp_ne_u32_e32 vcc, s7, v23
	v_mov_b32_e32 v24, 0x7f800001
	s_and_saveexec_b64 s[10:11], vcc
	s_cbranch_execz .LBB600_433
; %bb.432:
	v_and_b32_e32 v26, 7, v14
	v_ffbh_u32_e32 v24, v26
	v_min_u32_e32 v29, 32, v24
	v_subrev_u32_e32 v24, 28, v29
	v_lshlrev_b64 v[24:25], v24, v[14:15]
	v_lshrrev_b32_e32 v27, 3, v23
	v_sub_u32_e32 v14, 29, v29
	v_and_b32_e32 v24, 7, v24
	v_cmp_gt_u32_e32 vcc, 8, v23
	v_cndmask_b32_e32 v14, v27, v14, vcc
	v_cndmask_b32_e32 v23, v26, v24, vcc
	v_lshlrev_b32_e32 v24, 16, v15
	v_bfrev_b32_e32 v25, 60
	v_lshlrev_b32_e32 v23, 20, v23
	v_and_b32_e32 v24, 0x80000000, v24
	v_lshl_add_u32 v14, v14, 23, v25
	v_or3_b32 v24, v24, v14, v23
.LBB600_433:
	s_or_b64 exec, exec, s[10:11]
.LBB600_434:
	s_or_b64 exec, exec, s[8:9]
.LBB600_435:
	s_or_b64 exec, exec, s[2:3]
	s_movk_i32 s2, 0xff
	v_and_b32_sdwa v23, v15, s2 dst_sel:DWORD dst_unused:UNUSED_PAD src0_sel:WORD_1 src1_sel:DWORD
	v_lshrrev_b32_e32 v14, 16, v15
	v_cmp_ne_u16_e32 vcc, 0, v23
	s_and_saveexec_b64 s[2:3], vcc
	s_cbranch_execz .LBB600_441
; %bb.436:
	s_movk_i32 s7, 0x80
	v_cmp_ne_u16_e32 vcc, s7, v23
	v_bfrev_b32_e32 v18, 1
	s_and_saveexec_b64 s[8:9], vcc
	s_cbranch_execz .LBB600_440
; %bb.437:
	v_bfe_u32 v23, v15, 16, 7
	s_movk_i32 s7, 0x7f
	v_cmp_ne_u32_e32 vcc, s7, v23
	v_mov_b32_e32 v18, 0x7f800001
	s_and_saveexec_b64 s[10:11], vcc
	s_cbranch_execz .LBB600_439
; %bb.438:
	v_and_b32_e32 v18, 7, v14
	v_ffbh_u32_e32 v26, v18
	v_min_u32_e32 v29, 32, v26
	v_subrev_u32_e32 v26, 28, v29
	v_lshlrev_b64 v[26:27], v26, v[14:15]
	v_lshrrev_b32_e32 v25, 3, v23
	v_sub_u32_e32 v14, 29, v29
	v_and_b32_e32 v26, 7, v26
	v_cmp_gt_u32_e32 vcc, 8, v23
	v_mov_b32_e32 v23, 24
	v_cndmask_b32_e32 v14, v25, v14, vcc
	v_cndmask_b32_e32 v18, v18, v26, vcc
	v_lshlrev_b32_sdwa v23, v23, v15 dst_sel:DWORD dst_unused:UNUSED_PAD src0_sel:DWORD src1_sel:WORD_1
	v_bfrev_b32_e32 v25, 60
	v_lshlrev_b32_e32 v18, 20, v18
	v_and_b32_e32 v23, 0x80000000, v23
	v_lshl_add_u32 v14, v14, 23, v25
	v_or3_b32 v18, v23, v14, v18
.LBB600_439:
	s_or_b64 exec, exec, s[10:11]
.LBB600_440:
	s_or_b64 exec, exec, s[8:9]
.LBB600_441:
	s_or_b64 exec, exec, s[2:3]
	s_mov_b32 s2, 0xffffff
	v_cmp_lt_u32_e32 vcc, s2, v15
	v_mov_b32_e32 v23, 0
	v_mov_b32_e32 v25, 0
	s_and_saveexec_b64 s[2:3], vcc
	s_cbranch_execz .LBB600_447
; %bb.442:
	v_lshrrev_b32_e32 v14, 24, v15
	s_movk_i32 s7, 0x80
	v_cmp_ne_u32_e32 vcc, s7, v14
	v_bfrev_b32_e32 v25, 1
	s_and_saveexec_b64 s[8:9], vcc
	s_cbranch_execz .LBB600_446
; %bb.443:
	v_bfe_u32 v15, v15, 24, 7
	s_movk_i32 s7, 0x7f
	v_cmp_ne_u32_e32 vcc, s7, v15
	v_mov_b32_e32 v25, 0x7f800001
	s_and_saveexec_b64 s[10:11], vcc
	s_cbranch_execz .LBB600_445
; %bb.444:
	v_and_b32_e32 v25, 7, v14
	v_ffbh_u32_e32 v26, v25
	v_min_u32_e32 v30, 32, v26
	v_subrev_u32_e32 v26, 28, v30
	v_lshlrev_b64 v[26:27], v26, v[14:15]
	v_lshrrev_b32_e32 v29, 3, v15
	v_sub_u32_e32 v27, 29, v30
	v_and_b32_e32 v26, 7, v26
	v_cmp_gt_u32_e32 vcc, 8, v15
	v_cndmask_b32_e32 v15, v29, v27, vcc
	v_cndmask_b32_e32 v25, v25, v26, vcc
	v_lshlrev_b32_e32 v14, 24, v14
	v_bfrev_b32_e32 v26, 60
	v_lshlrev_b32_e32 v25, 20, v25
	v_and_b32_e32 v14, 0x80000000, v14
	v_lshl_add_u32 v15, v15, 23, v26
	v_or3_b32 v25, v14, v15, v25
.LBB600_445:
	s_or_b64 exec, exec, s[10:11]
.LBB600_446:
	s_or_b64 exec, exec, s[8:9]
.LBB600_447:
	s_or_b64 exec, exec, s[2:3]
	v_cvt_pkrtz_f16_f32 v15, v19, v22
	v_lshl_or_b32 v22, v1, 9, v48
	v_cvt_pkrtz_f16_f32 v14, v32, v20
	ds_read_b128 v[30:33], v22
	v_cmp_ne_u16_sdwa s[8:9], v16, v23 src0_sel:BYTE_0 src1_sel:DWORD
	s_waitcnt lgkmcnt(0)
	v_mfma_f32_16x16x16f16 v[34:37], v[14:15], v[30:31], 0
	v_cvt_pkrtz_f16_f32 v14, v21, v24
	v_cvt_pkrtz_f16_f32 v15, v18, v25
	s_nop 1
	v_mfma_f32_16x16x16f16 v[18:21], v[14:15], v[32:33], v[34:37]
	s_and_saveexec_b64 s[2:3], s[8:9]
	s_cbranch_execz .LBB600_453
; %bb.448:
	s_movk_i32 s7, 0x80
	v_cmp_ne_u16_sdwa s[10:11], v16, s7 src0_sel:BYTE_0 src1_sel:DWORD
	v_bfrev_b32_e32 v23, 1
	s_and_saveexec_b64 s[8:9], s[10:11]
	s_cbranch_execz .LBB600_452
; %bb.449:
	s_movk_i32 s7, 0x7f
	v_and_b32_e32 v14, 0x7f, v16
	v_cmp_ne_u32_e32 vcc, s7, v14
	v_mov_b32_e32 v23, 0x7f800001
	s_and_saveexec_b64 s[10:11], vcc
	s_cbranch_execz .LBB600_451
; %bb.450:
	v_and_b32_e32 v15, 7, v16
	v_ffbh_u32_e32 v24, v15
	v_min_u32_e32 v26, 32, v24
	v_subrev_u32_e32 v24, 28, v26
	v_lshlrev_b64 v[24:25], v24, v[16:17]
	v_lshrrev_b32_e32 v23, 3, v14
	v_sub_u32_e32 v25, 29, v26
	v_and_b32_e32 v24, 7, v24
	v_cmp_gt_u32_e32 vcc, 8, v14
	v_cndmask_b32_e32 v14, v23, v25, vcc
	v_cndmask_b32_e32 v15, v15, v24, vcc
	v_lshlrev_b32_e32 v23, 24, v16
	v_bfrev_b32_e32 v24, 60
	v_lshlrev_b32_e32 v15, 20, v15
	v_and_b32_e32 v23, 0x80000000, v23
	v_lshl_add_u32 v14, v14, 23, v24
	v_or3_b32 v23, v23, v14, v15
.LBB600_451:
	s_or_b64 exec, exec, s[10:11]
.LBB600_452:
	s_or_b64 exec, exec, s[8:9]
.LBB600_453:
	s_or_b64 exec, exec, s[2:3]
	v_lshrrev_b16_e32 v14, 8, v16
	v_cmp_ne_u16_e32 vcc, 0, v14
	v_mov_b32_e32 v15, 0
	v_mov_b32_e32 v25, 0
	s_and_saveexec_b64 s[2:3], vcc
	s_cbranch_execz .LBB600_459
; %bb.454:
	s_movk_i32 s7, 0x80
	v_cmp_ne_u16_e32 vcc, s7, v14
	v_bfrev_b32_e32 v25, 1
	s_and_saveexec_b64 s[8:9], vcc
	s_cbranch_execz .LBB600_458
; %bb.455:
	s_movk_i32 s7, 0x7f
	v_and_b32_e32 v24, 0x7f, v14
	v_cmp_ne_u32_e32 vcc, s7, v24
	v_mov_b32_e32 v25, 0x7f800001
	s_and_saveexec_b64 s[10:11], vcc
	s_cbranch_execz .LBB600_457
; %bb.456:
	v_and_b32_e32 v25, 7, v14
	v_ffbh_u32_e32 v26, v25
	v_min_u32_e32 v30, 32, v26
	v_subrev_u32_e32 v26, 28, v30
	v_lshlrev_b64 v[26:27], v26, v[14:15]
	v_lshrrev_b32_e32 v29, 3, v24
	v_sub_u32_e32 v14, 29, v30
	v_and_b32_e32 v26, 7, v26
	v_cmp_gt_u32_e32 vcc, 8, v24
	v_cndmask_b32_e32 v14, v29, v14, vcc
	v_cndmask_b32_e32 v24, v25, v26, vcc
	v_lshlrev_b32_e32 v25, 16, v16
	v_bfrev_b32_e32 v26, 60
	v_lshlrev_b32_e32 v24, 20, v24
	v_and_b32_e32 v25, 0x80000000, v25
	v_lshl_add_u32 v14, v14, 23, v26
	v_or3_b32 v25, v25, v14, v24
.LBB600_457:
	s_or_b64 exec, exec, s[10:11]
.LBB600_458:
	s_or_b64 exec, exec, s[8:9]
.LBB600_459:
	s_or_b64 exec, exec, s[2:3]
	s_movk_i32 s2, 0xff
	v_and_b32_sdwa v24, v16, s2 dst_sel:DWORD dst_unused:UNUSED_PAD src0_sel:WORD_1 src1_sel:DWORD
	v_lshrrev_b32_e32 v14, 16, v16
	v_cmp_ne_u16_e32 vcc, 0, v24
	s_and_saveexec_b64 s[2:3], vcc
	s_cbranch_execz .LBB600_465
; %bb.460:
	s_movk_i32 s7, 0x80
	v_cmp_ne_u16_e32 vcc, s7, v24
	v_bfrev_b32_e32 v15, 1
	s_and_saveexec_b64 s[8:9], vcc
	s_cbranch_execz .LBB600_464
; %bb.461:
	v_bfe_u32 v24, v16, 16, 7
	s_movk_i32 s7, 0x7f
	v_cmp_ne_u32_e32 vcc, s7, v24
	v_mov_b32_e32 v15, 0x7f800001
	s_and_saveexec_b64 s[10:11], vcc
	s_cbranch_execz .LBB600_463
; %bb.462:
	v_and_b32_e32 v26, 7, v14
	v_ffbh_u32_e32 v15, v26
	v_min_u32_e32 v29, 32, v15
	v_subrev_u32_e32 v15, 28, v29
	v_lshlrev_b64 v[14:15], v15, v[14:15]
	v_lshrrev_b32_e32 v27, 3, v24
	v_sub_u32_e32 v15, 29, v29
	v_and_b32_e32 v14, 7, v14
	v_cmp_gt_u32_e32 vcc, 8, v24
	v_mov_b32_e32 v24, 24
	v_cndmask_b32_e32 v15, v27, v15, vcc
	v_cndmask_b32_e32 v14, v26, v14, vcc
	v_lshlrev_b32_sdwa v24, v24, v16 dst_sel:DWORD dst_unused:UNUSED_PAD src0_sel:DWORD src1_sel:WORD_1
	v_bfrev_b32_e32 v26, 60
	v_lshlrev_b32_e32 v14, 20, v14
	v_and_b32_e32 v24, 0x80000000, v24
	v_lshl_add_u32 v15, v15, 23, v26
	v_or3_b32 v15, v24, v15, v14
.LBB600_463:
	s_or_b64 exec, exec, s[10:11]
.LBB600_464:
	s_or_b64 exec, exec, s[8:9]
.LBB600_465:
	s_or_b64 exec, exec, s[2:3]
	s_mov_b32 s2, 0xffffff
	v_cmp_lt_u32_e32 vcc, s2, v16
	v_mov_b32_e32 v26, 0
	v_mov_b32_e32 v27, 0
	s_and_saveexec_b64 s[2:3], vcc
	s_cbranch_execz .LBB600_471
; %bb.466:
	v_lshrrev_b32_e32 v14, 24, v16
	s_movk_i32 s7, 0x80
	v_cmp_ne_u32_e32 vcc, s7, v14
	v_bfrev_b32_e32 v27, 1
	s_and_saveexec_b64 s[8:9], vcc
	s_cbranch_execz .LBB600_470
; %bb.467:
	v_bfe_u32 v16, v16, 24, 7
	s_movk_i32 s7, 0x7f
	v_cmp_ne_u32_e32 vcc, s7, v16
	v_mov_b32_e32 v27, 0x7f800001
	s_and_saveexec_b64 s[10:11], vcc
	s_cbranch_execz .LBB600_469
; %bb.468:
	v_and_b32_e32 v24, 7, v14
	v_ffbh_u32_e32 v29, v24
	v_min_u32_e32 v29, 32, v29
	v_subrev_u32_e32 v30, 28, v29
	v_lshlrev_b64 v[30:31], v30, v[14:15]
	v_lshrrev_b32_e32 v27, 3, v16
	v_sub_u32_e32 v29, 29, v29
	v_and_b32_e32 v30, 7, v30
	v_cmp_gt_u32_e32 vcc, 8, v16
	v_cndmask_b32_e32 v16, v27, v29, vcc
	v_cndmask_b32_e32 v24, v24, v30, vcc
	v_lshlrev_b32_e32 v14, 24, v14
	v_bfrev_b32_e32 v27, 60
	v_lshlrev_b32_e32 v24, 20, v24
	v_and_b32_e32 v14, 0x80000000, v14
	v_lshl_add_u32 v16, v16, 23, v27
	v_or3_b32 v27, v14, v16, v24
.LBB600_469:
	s_or_b64 exec, exec, s[10:11]
.LBB600_470:
	s_or_b64 exec, exec, s[8:9]
.LBB600_471:
	s_or_b64 exec, exec, s[2:3]
	v_cmp_ne_u16_sdwa s[8:9], v17, v26 src0_sel:BYTE_0 src1_sel:DWORD
	s_and_saveexec_b64 s[2:3], s[8:9]
	s_cbranch_execz .LBB600_477
; %bb.472:
	s_movk_i32 s7, 0x80
	v_cmp_ne_u16_sdwa s[10:11], v17, s7 src0_sel:BYTE_0 src1_sel:DWORD
	v_bfrev_b32_e32 v26, 1
	s_and_saveexec_b64 s[8:9], s[10:11]
	s_cbranch_execz .LBB600_476
; %bb.473:
	s_movk_i32 s7, 0x7f
	v_and_b32_e32 v14, 0x7f, v17
	v_cmp_ne_u32_e32 vcc, s7, v14
	v_mov_b32_e32 v26, 0x7f800001
	s_and_saveexec_b64 s[10:11], vcc
	s_cbranch_execz .LBB600_475
; %bb.474:
	v_and_b32_e32 v24, 7, v17
	v_ffbh_u32_e32 v29, v24
	v_min_u32_e32 v29, 32, v29
	v_mov_b32_e32 v16, v17
	v_subrev_u32_e32 v30, 28, v29
	v_lshlrev_b64 v[30:31], v30, v[16:17]
	v_lshrrev_b32_e32 v26, 3, v14
	v_sub_u32_e32 v16, 29, v29
	v_and_b32_e32 v29, 7, v30
	v_cmp_gt_u32_e32 vcc, 8, v14
	v_cndmask_b32_e32 v14, v26, v16, vcc
	v_cndmask_b32_e32 v16, v24, v29, vcc
	v_lshlrev_b32_e32 v24, 24, v17
	v_bfrev_b32_e32 v26, 60
	v_lshlrev_b32_e32 v16, 20, v16
	v_and_b32_e32 v24, 0x80000000, v24
	v_lshl_add_u32 v14, v14, 23, v26
	v_or3_b32 v26, v24, v14, v16
.LBB600_475:
	s_or_b64 exec, exec, s[10:11]
.LBB600_476:
	s_or_b64 exec, exec, s[8:9]
.LBB600_477:
	s_or_b64 exec, exec, s[2:3]
	v_lshrrev_b16_e32 v14, 8, v17
	v_cmp_ne_u16_e32 vcc, 0, v14
	v_mov_b32_e32 v16, 0
	v_mov_b32_e32 v29, 0
	s_and_saveexec_b64 s[2:3], vcc
	s_cbranch_execz .LBB600_483
; %bb.478:
	s_movk_i32 s7, 0x80
	v_cmp_ne_u16_e32 vcc, s7, v14
	v_bfrev_b32_e32 v29, 1
	s_and_saveexec_b64 s[8:9], vcc
	s_cbranch_execz .LBB600_482
; %bb.479:
	s_movk_i32 s7, 0x7f
	v_and_b32_e32 v24, 0x7f, v14
	v_cmp_ne_u32_e32 vcc, s7, v24
	v_mov_b32_e32 v29, 0x7f800001
	s_and_saveexec_b64 s[10:11], vcc
	s_cbranch_execz .LBB600_481
; %bb.480:
	v_and_b32_e32 v29, 7, v14
	v_ffbh_u32_e32 v30, v29
	v_min_u32_e32 v33, 32, v30
	v_subrev_u32_e32 v30, 28, v33
	v_lshlrev_b64 v[30:31], v30, v[14:15]
	v_lshrrev_b32_e32 v32, 3, v24
	v_sub_u32_e32 v14, 29, v33
	v_and_b32_e32 v30, 7, v30
	v_cmp_gt_u32_e32 vcc, 8, v24
	v_cndmask_b32_e32 v14, v32, v14, vcc
	v_cndmask_b32_e32 v24, v29, v30, vcc
	v_lshlrev_b32_e32 v29, 16, v17
	v_bfrev_b32_e32 v30, 60
	v_lshlrev_b32_e32 v24, 20, v24
	v_and_b32_e32 v29, 0x80000000, v29
	v_lshl_add_u32 v14, v14, 23, v30
	v_or3_b32 v29, v29, v14, v24
.LBB600_481:
	s_or_b64 exec, exec, s[10:11]
.LBB600_482:
	s_or_b64 exec, exec, s[8:9]
.LBB600_483:
	s_or_b64 exec, exec, s[2:3]
	s_movk_i32 s2, 0xff
	v_and_b32_sdwa v24, v17, s2 dst_sel:DWORD dst_unused:UNUSED_PAD src0_sel:WORD_1 src1_sel:DWORD
	v_lshrrev_b32_e32 v14, 16, v17
	v_cmp_ne_u16_e32 vcc, 0, v24
	s_and_saveexec_b64 s[2:3], vcc
	s_cbranch_execz .LBB600_489
; %bb.484:
	s_movk_i32 s7, 0x80
	v_cmp_ne_u16_e32 vcc, s7, v24
	v_bfrev_b32_e32 v16, 1
	s_and_saveexec_b64 s[8:9], vcc
	s_cbranch_execz .LBB600_488
; %bb.485:
	v_bfe_u32 v24, v17, 16, 7
	s_movk_i32 s7, 0x7f
	v_cmp_ne_u32_e32 vcc, s7, v24
	v_mov_b32_e32 v16, 0x7f800001
	s_and_saveexec_b64 s[10:11], vcc
	s_cbranch_execz .LBB600_487
; %bb.486:
	v_and_b32_e32 v16, 7, v14
	v_ffbh_u32_e32 v30, v16
	v_min_u32_e32 v33, 32, v30
	v_subrev_u32_e32 v30, 28, v33
	v_lshlrev_b64 v[30:31], v30, v[14:15]
	v_lshrrev_b32_e32 v32, 3, v24
	v_sub_u32_e32 v14, 29, v33
	v_and_b32_e32 v30, 7, v30
	v_cmp_gt_u32_e32 vcc, 8, v24
	v_mov_b32_e32 v24, 24
	v_cndmask_b32_e32 v14, v32, v14, vcc
	v_cndmask_b32_e32 v16, v16, v30, vcc
	v_lshlrev_b32_sdwa v24, v24, v17 dst_sel:DWORD dst_unused:UNUSED_PAD src0_sel:DWORD src1_sel:WORD_1
	v_bfrev_b32_e32 v30, 60
	v_lshlrev_b32_e32 v16, 20, v16
	v_and_b32_e32 v24, 0x80000000, v24
	v_lshl_add_u32 v14, v14, 23, v30
	v_or3_b32 v16, v24, v14, v16
.LBB600_487:
	s_or_b64 exec, exec, s[10:11]
.LBB600_488:
	s_or_b64 exec, exec, s[8:9]
.LBB600_489:
	s_or_b64 exec, exec, s[2:3]
	s_mov_b32 s2, 0xffffff
	v_cmp_lt_u32_e32 vcc, s2, v17
	v_mov_b32_e32 v24, 0
	v_mov_b32_e32 v30, 0
	s_and_saveexec_b64 s[2:3], vcc
	s_cbranch_execz .LBB600_495
; %bb.490:
	v_lshrrev_b32_e32 v14, 24, v17
	s_movk_i32 s7, 0x80
	v_cmp_ne_u32_e32 vcc, s7, v14
	v_bfrev_b32_e32 v30, 1
	s_and_saveexec_b64 s[8:9], vcc
	s_cbranch_execz .LBB600_494
; %bb.491:
	v_bfe_u32 v17, v17, 24, 7
	s_movk_i32 s7, 0x7f
	v_cmp_ne_u32_e32 vcc, s7, v17
	v_mov_b32_e32 v30, 0x7f800001
	s_and_saveexec_b64 s[10:11], vcc
	s_cbranch_execz .LBB600_493
; %bb.492:
	v_and_b32_e32 v32, 7, v14
	v_ffbh_u32_e32 v30, v32
	v_min_u32_e32 v34, 32, v30
	v_subrev_u32_e32 v30, 28, v34
	v_lshlrev_b64 v[30:31], v30, v[14:15]
	v_lshrrev_b32_e32 v33, 3, v17
	v_sub_u32_e32 v31, 29, v34
	v_and_b32_e32 v30, 7, v30
	v_cmp_gt_u32_e32 vcc, 8, v17
	v_cndmask_b32_e32 v17, v33, v31, vcc
	v_cndmask_b32_e32 v30, v32, v30, vcc
	v_lshlrev_b32_e32 v14, 24, v14
	v_bfrev_b32_e32 v31, 60
	v_lshlrev_b32_e32 v30, 20, v30
	v_and_b32_e32 v14, 0x80000000, v14
	v_lshl_add_u32 v17, v17, 23, v31
	v_or3_b32 v30, v14, v17, v30
.LBB600_493:
	s_or_b64 exec, exec, s[10:11]
.LBB600_494:
	s_or_b64 exec, exec, s[8:9]
.LBB600_495:
	s_or_b64 exec, exec, s[2:3]
	v_cvt_pkrtz_f16_f32 v14, v23, v25
	v_cvt_pkrtz_f16_f32 v15, v15, v27
	ds_read_b128 v[32:35], v22 offset:16
	s_waitcnt vmcnt(2)
	v_cmp_ne_u16_sdwa s[8:9], v10, v24 src0_sel:BYTE_0 src1_sel:DWORD
	s_waitcnt lgkmcnt(0)
	v_mfma_f32_16x16x16f16 v[18:21], v[14:15], v[32:33], v[18:21]
	v_cvt_pkrtz_f16_f32 v14, v26, v29
	v_cvt_pkrtz_f16_f32 v15, v16, v30
	s_nop 1
	v_mfma_f32_16x16x16f16 v[14:17], v[14:15], v[34:35], v[18:21]
	s_and_saveexec_b64 s[2:3], s[8:9]
	s_cbranch_execz .LBB600_501
; %bb.496:
	s_movk_i32 s7, 0x80
	v_cmp_ne_u16_sdwa s[10:11], v10, s7 src0_sel:BYTE_0 src1_sel:DWORD
	v_bfrev_b32_e32 v24, 1
	s_and_saveexec_b64 s[8:9], s[10:11]
	s_cbranch_execz .LBB600_500
; %bb.497:
	s_movk_i32 s7, 0x7f
	v_and_b32_e32 v18, 0x7f, v10
	v_cmp_ne_u32_e32 vcc, s7, v18
	v_mov_b32_e32 v24, 0x7f800001
	s_and_saveexec_b64 s[10:11], vcc
	s_cbranch_execz .LBB600_499
; %bb.498:
	v_and_b32_e32 v19, 7, v10
	v_ffbh_u32_e32 v20, v19
	v_min_u32_e32 v24, 32, v20
	v_subrev_u32_e32 v20, 28, v24
	v_lshlrev_b64 v[20:21], v20, v[10:11]
	v_lshrrev_b32_e32 v23, 3, v18
	v_sub_u32_e32 v21, 29, v24
	v_and_b32_e32 v20, 7, v20
	v_cmp_gt_u32_e32 vcc, 8, v18
	v_cndmask_b32_e32 v18, v23, v21, vcc
	v_cndmask_b32_e32 v19, v19, v20, vcc
	v_lshlrev_b32_e32 v20, 24, v10
	v_bfrev_b32_e32 v21, 60
	v_lshlrev_b32_e32 v19, 20, v19
	v_and_b32_e32 v20, 0x80000000, v20
	v_lshl_add_u32 v18, v18, 23, v21
	v_or3_b32 v24, v20, v18, v19
.LBB600_499:
	s_or_b64 exec, exec, s[10:11]
.LBB600_500:
	s_or_b64 exec, exec, s[8:9]
.LBB600_501:
	s_or_b64 exec, exec, s[2:3]
	s_nop 3
	v_lshrrev_b16_e32 v18, 8, v10
	v_cmp_ne_u16_e32 vcc, 0, v18
	v_mov_b32_e32 v19, 0
	v_mov_b32_e32 v20, 0
	s_and_saveexec_b64 s[2:3], vcc
	s_cbranch_execz .LBB600_507
; %bb.502:
	s_movk_i32 s7, 0x80
	v_cmp_ne_u16_e32 vcc, s7, v18
	v_bfrev_b32_e32 v20, 1
	s_and_saveexec_b64 s[8:9], vcc
	s_cbranch_execz .LBB600_506
; %bb.503:
	s_movk_i32 s7, 0x7f
	v_and_b32_e32 v21, 0x7f, v18
	v_cmp_ne_u32_e32 vcc, s7, v21
	v_mov_b32_e32 v20, 0x7f800001
	s_and_saveexec_b64 s[10:11], vcc
	s_cbranch_execz .LBB600_505
; %bb.504:
	v_and_b32_e32 v20, 7, v18
	v_ffbh_u32_e32 v25, v20
	v_min_u32_e32 v25, 32, v25
	v_subrev_u32_e32 v26, 28, v25
	v_lshlrev_b64 v[26:27], v26, v[18:19]
	v_lshrrev_b32_e32 v23, 3, v21
	v_sub_u32_e32 v18, 29, v25
	v_and_b32_e32 v25, 7, v26
	v_cmp_gt_u32_e32 vcc, 8, v21
	v_cndmask_b32_e32 v18, v23, v18, vcc
	v_cndmask_b32_e32 v20, v20, v25, vcc
	v_lshlrev_b32_e32 v21, 16, v10
	v_bfrev_b32_e32 v23, 60
	v_lshlrev_b32_e32 v20, 20, v20
	v_and_b32_e32 v21, 0x80000000, v21
	v_lshl_add_u32 v18, v18, 23, v23
	v_or3_b32 v20, v21, v18, v20
.LBB600_505:
	s_or_b64 exec, exec, s[10:11]
.LBB600_506:
	s_or_b64 exec, exec, s[8:9]
.LBB600_507:
	s_or_b64 exec, exec, s[2:3]
	s_movk_i32 s2, 0xff
	v_and_b32_sdwa v21, v10, s2 dst_sel:DWORD dst_unused:UNUSED_PAD src0_sel:WORD_1 src1_sel:DWORD
	v_lshrrev_b32_e32 v18, 16, v10
	v_cmp_ne_u16_e32 vcc, 0, v21
	s_and_saveexec_b64 s[2:3], vcc
	s_cbranch_execz .LBB600_513
; %bb.508:
	s_movk_i32 s7, 0x80
	v_cmp_ne_u16_e32 vcc, s7, v21
	v_bfrev_b32_e32 v19, 1
	s_and_saveexec_b64 s[8:9], vcc
	s_cbranch_execz .LBB600_512
; %bb.509:
	v_bfe_u32 v21, v10, 16, 7
	s_movk_i32 s7, 0x7f
	v_cmp_ne_u32_e32 vcc, s7, v21
	v_mov_b32_e32 v19, 0x7f800001
	s_and_saveexec_b64 s[10:11], vcc
	s_cbranch_execz .LBB600_511
; %bb.510:
	v_and_b32_e32 v23, 7, v18
	v_ffbh_u32_e32 v19, v23
	v_min_u32_e32 v26, 32, v19
	v_subrev_u32_e32 v19, 28, v26
	v_lshlrev_b64 v[18:19], v19, v[18:19]
	v_lshrrev_b32_e32 v25, 3, v21
	v_sub_u32_e32 v19, 29, v26
	v_and_b32_e32 v18, 7, v18
	v_cmp_gt_u32_e32 vcc, 8, v21
	v_mov_b32_e32 v21, 24
	v_cndmask_b32_e32 v19, v25, v19, vcc
	v_cndmask_b32_e32 v18, v23, v18, vcc
	v_lshlrev_b32_sdwa v21, v21, v10 dst_sel:DWORD dst_unused:UNUSED_PAD src0_sel:DWORD src1_sel:WORD_1
	v_bfrev_b32_e32 v23, 60
	v_lshlrev_b32_e32 v18, 20, v18
	v_and_b32_e32 v21, 0x80000000, v21
	v_lshl_add_u32 v19, v19, 23, v23
	v_or3_b32 v19, v21, v19, v18
.LBB600_511:
	s_or_b64 exec, exec, s[10:11]
.LBB600_512:
	s_or_b64 exec, exec, s[8:9]
.LBB600_513:
	s_or_b64 exec, exec, s[2:3]
	s_mov_b32 s2, 0xffffff
	v_cmp_lt_u32_e32 vcc, s2, v10
	v_mov_b32_e32 v21, 0
	v_mov_b32_e32 v23, 0
	s_and_saveexec_b64 s[2:3], vcc
	s_cbranch_execz .LBB600_519
; %bb.514:
	v_lshrrev_b32_e32 v18, 24, v10
	s_movk_i32 s7, 0x80
	v_cmp_ne_u32_e32 vcc, s7, v18
	v_bfrev_b32_e32 v23, 1
	s_and_saveexec_b64 s[8:9], vcc
	s_cbranch_execz .LBB600_518
; %bb.515:
	v_bfe_u32 v10, v10, 24, 7
	s_movk_i32 s7, 0x7f
	v_cmp_ne_u32_e32 vcc, s7, v10
	v_mov_b32_e32 v23, 0x7f800001
	s_and_saveexec_b64 s[10:11], vcc
	s_cbranch_execz .LBB600_517
; %bb.516:
	v_and_b32_e32 v23, 7, v18
	v_ffbh_u32_e32 v26, v23
	v_min_u32_e32 v29, 32, v26
	v_subrev_u32_e32 v26, 28, v29
	v_lshlrev_b64 v[26:27], v26, v[18:19]
	v_lshrrev_b32_e32 v25, 3, v10
	v_sub_u32_e32 v27, 29, v29
	v_and_b32_e32 v26, 7, v26
	v_cmp_gt_u32_e32 vcc, 8, v10
	v_cndmask_b32_e32 v10, v25, v27, vcc
	v_cndmask_b32_e32 v23, v23, v26, vcc
	v_lshlrev_b32_e32 v18, 24, v18
	v_bfrev_b32_e32 v25, 60
	v_lshlrev_b32_e32 v23, 20, v23
	v_and_b32_e32 v18, 0x80000000, v18
	v_lshl_add_u32 v10, v10, 23, v25
	v_or3_b32 v23, v18, v10, v23
.LBB600_517:
	s_or_b64 exec, exec, s[10:11]
.LBB600_518:
	s_or_b64 exec, exec, s[8:9]
.LBB600_519:
	s_or_b64 exec, exec, s[2:3]
	v_cmp_ne_u16_sdwa s[8:9], v11, v21 src0_sel:BYTE_0 src1_sel:DWORD
	s_and_saveexec_b64 s[2:3], s[8:9]
	s_cbranch_execz .LBB600_525
; %bb.520:
	s_movk_i32 s7, 0x80
	v_cmp_ne_u16_sdwa s[10:11], v11, s7 src0_sel:BYTE_0 src1_sel:DWORD
	v_bfrev_b32_e32 v21, 1
	s_and_saveexec_b64 s[8:9], s[10:11]
	s_cbranch_execz .LBB600_524
; %bb.521:
	s_movk_i32 s7, 0x7f
	v_and_b32_e32 v10, 0x7f, v11
	v_cmp_ne_u32_e32 vcc, s7, v10
	v_mov_b32_e32 v21, 0x7f800001
	s_and_saveexec_b64 s[10:11], vcc
	s_cbranch_execz .LBB600_523
; %bb.522:
	v_and_b32_e32 v21, 7, v11
	v_ffbh_u32_e32 v26, v21
	v_min_u32_e32 v29, 32, v26
	v_mov_b32_e32 v18, v11
	v_subrev_u32_e32 v26, 28, v29
	v_lshlrev_b64 v[26:27], v26, v[18:19]
	v_lshrrev_b32_e32 v25, 3, v10
	v_sub_u32_e32 v18, 29, v29
	v_and_b32_e32 v26, 7, v26
	v_cmp_gt_u32_e32 vcc, 8, v10
	v_cndmask_b32_e32 v10, v25, v18, vcc
	v_cndmask_b32_e32 v18, v21, v26, vcc
	v_lshlrev_b32_e32 v21, 24, v11
	v_bfrev_b32_e32 v25, 60
	v_lshlrev_b32_e32 v18, 20, v18
	v_and_b32_e32 v21, 0x80000000, v21
	v_lshl_add_u32 v10, v10, 23, v25
	v_or3_b32 v21, v21, v10, v18
.LBB600_523:
	s_or_b64 exec, exec, s[10:11]
.LBB600_524:
	s_or_b64 exec, exec, s[8:9]
.LBB600_525:
	s_or_b64 exec, exec, s[2:3]
	v_lshrrev_b16_e32 v10, 8, v11
	v_cmp_ne_u16_e32 vcc, 0, v10
	v_mov_b32_e32 v25, 0
	v_mov_b32_e32 v26, 0
	s_and_saveexec_b64 s[2:3], vcc
	s_cbranch_execz .LBB600_531
; %bb.526:
	s_movk_i32 s7, 0x80
	v_cmp_ne_u16_e32 vcc, s7, v10
	v_bfrev_b32_e32 v26, 1
	s_and_saveexec_b64 s[8:9], vcc
	s_cbranch_execz .LBB600_530
; %bb.527:
	s_movk_i32 s7, 0x7f
	v_and_b32_e32 v18, 0x7f, v10
	v_cmp_ne_u32_e32 vcc, s7, v18
	v_mov_b32_e32 v26, 0x7f800001
	s_and_saveexec_b64 s[10:11], vcc
	s_cbranch_execz .LBB600_529
; %bb.528:
	v_and_b32_e32 v29, 7, v10
	v_ffbh_u32_e32 v26, v29
	v_min_u32_e32 v31, 32, v26
	v_subrev_u32_e32 v26, 28, v31
	v_lshlrev_b64 v[26:27], v26, v[10:11]
	v_lshrrev_b32_e32 v30, 3, v18
	v_sub_u32_e32 v10, 29, v31
	v_and_b32_e32 v26, 7, v26
	v_cmp_gt_u32_e32 vcc, 8, v18
	v_cndmask_b32_e32 v10, v30, v10, vcc
	v_cndmask_b32_e32 v18, v29, v26, vcc
	v_lshlrev_b32_e32 v26, 16, v11
	v_bfrev_b32_e32 v27, 60
	v_lshlrev_b32_e32 v18, 20, v18
	v_and_b32_e32 v26, 0x80000000, v26
	v_lshl_add_u32 v10, v10, 23, v27
	v_or3_b32 v26, v26, v10, v18
.LBB600_529:
	s_or_b64 exec, exec, s[10:11]
.LBB600_530:
	s_or_b64 exec, exec, s[8:9]
.LBB600_531:
	s_or_b64 exec, exec, s[2:3]
	s_movk_i32 s2, 0xff
	v_and_b32_sdwa v18, v11, s2 dst_sel:DWORD dst_unused:UNUSED_PAD src0_sel:WORD_1 src1_sel:DWORD
	v_lshrrev_b32_e32 v10, 16, v11
	v_cmp_ne_u16_e32 vcc, 0, v18
	s_and_saveexec_b64 s[2:3], vcc
	s_cbranch_execz .LBB600_537
; %bb.532:
	s_movk_i32 s7, 0x80
	v_cmp_ne_u16_e32 vcc, s7, v18
	v_bfrev_b32_e32 v25, 1
	s_and_saveexec_b64 s[8:9], vcc
	s_cbranch_execz .LBB600_536
; %bb.533:
	v_bfe_u32 v18, v11, 16, 7
	s_movk_i32 s7, 0x7f
	v_cmp_ne_u32_e32 vcc, s7, v18
	v_mov_b32_e32 v25, 0x7f800001
	s_and_saveexec_b64 s[10:11], vcc
	s_cbranch_execz .LBB600_535
; %bb.534:
	v_and_b32_e32 v25, 7, v10
	v_ffbh_u32_e32 v29, v25
	v_min_u32_e32 v29, 32, v29
	v_subrev_u32_e32 v30, 28, v29
	v_lshlrev_b64 v[30:31], v30, v[10:11]
	v_sub_u32_e32 v10, 29, v29
	v_and_b32_e32 v29, 7, v30
	v_cmp_gt_u32_e32 vcc, 8, v18
	v_lshrrev_b32_e32 v27, 3, v18
	v_cndmask_b32_e32 v18, v25, v29, vcc
	v_mov_b32_e32 v25, 24
	v_cndmask_b32_e32 v10, v27, v10, vcc
	v_lshlrev_b32_sdwa v25, v25, v11 dst_sel:DWORD dst_unused:UNUSED_PAD src0_sel:DWORD src1_sel:WORD_1
	v_bfrev_b32_e32 v27, 60
	v_lshlrev_b32_e32 v18, 20, v18
	v_and_b32_e32 v25, 0x80000000, v25
	v_lshl_add_u32 v10, v10, 23, v27
	v_or3_b32 v25, v25, v10, v18
.LBB600_535:
	s_or_b64 exec, exec, s[10:11]
.LBB600_536:
	s_or_b64 exec, exec, s[8:9]
.LBB600_537:
	s_or_b64 exec, exec, s[2:3]
	s_mov_b32 s2, 0xffffff
	v_cmp_lt_u32_e32 vcc, s2, v11
	v_mov_b32_e32 v18, 0
	v_mov_b32_e32 v27, 0
	s_and_saveexec_b64 s[2:3], vcc
	s_cbranch_execz .LBB600_543
; %bb.538:
	v_lshrrev_b32_e32 v10, 24, v11
	s_movk_i32 s7, 0x80
	v_cmp_ne_u32_e32 vcc, s7, v10
	v_bfrev_b32_e32 v27, 1
	s_and_saveexec_b64 s[8:9], vcc
	s_cbranch_execz .LBB600_542
; %bb.539:
	v_bfe_u32 v11, v11, 24, 7
	s_movk_i32 s7, 0x7f
	v_cmp_ne_u32_e32 vcc, s7, v11
	v_mov_b32_e32 v27, 0x7f800001
	s_and_saveexec_b64 s[10:11], vcc
	s_cbranch_execz .LBB600_541
; %bb.540:
	v_and_b32_e32 v27, 7, v10
	v_ffbh_u32_e32 v30, v27
	v_min_u32_e32 v32, 32, v30
	v_subrev_u32_e32 v30, 28, v32
	v_lshlrev_b64 v[30:31], v30, v[10:11]
	v_lshrrev_b32_e32 v29, 3, v11
	v_sub_u32_e32 v31, 29, v32
	v_and_b32_e32 v30, 7, v30
	v_cmp_gt_u32_e32 vcc, 8, v11
	v_cndmask_b32_e32 v11, v29, v31, vcc
	v_cndmask_b32_e32 v27, v27, v30, vcc
	v_lshlrev_b32_e32 v10, 24, v10
	v_bfrev_b32_e32 v29, 60
	v_lshlrev_b32_e32 v27, 20, v27
	v_and_b32_e32 v10, 0x80000000, v10
	v_lshl_add_u32 v11, v11, 23, v29
	v_or3_b32 v27, v10, v11, v27
.LBB600_541:
	s_or_b64 exec, exec, s[10:11]
.LBB600_542:
	s_or_b64 exec, exec, s[8:9]
.LBB600_543:
	s_or_b64 exec, exec, s[2:3]
	v_cvt_pkrtz_f16_f32 v10, v24, v20
	v_cvt_pkrtz_f16_f32 v11, v19, v23
	ds_read_b128 v[30:33], v22 offset:2048
	v_cmp_ne_u16_sdwa s[8:9], v12, v18 src0_sel:BYTE_0 src1_sel:DWORD
	s_waitcnt lgkmcnt(0)
	v_mfma_f32_16x16x16f16 v[14:17], v[10:11], v[30:31], v[14:17]
	v_cvt_pkrtz_f16_f32 v10, v21, v26
	v_cvt_pkrtz_f16_f32 v11, v25, v27
	s_nop 1
	v_mfma_f32_16x16x16f16 v[14:17], v[10:11], v[32:33], v[14:17]
	s_and_saveexec_b64 s[2:3], s[8:9]
	s_cbranch_execz .LBB600_549
; %bb.544:
	s_movk_i32 s7, 0x80
	v_cmp_ne_u16_sdwa s[10:11], v12, s7 src0_sel:BYTE_0 src1_sel:DWORD
	v_bfrev_b32_e32 v18, 1
	s_and_saveexec_b64 s[8:9], s[10:11]
	s_cbranch_execz .LBB600_548
; %bb.545:
	s_movk_i32 s7, 0x7f
	v_and_b32_e32 v10, 0x7f, v12
	v_cmp_ne_u32_e32 vcc, s7, v10
	v_mov_b32_e32 v18, 0x7f800001
	s_and_saveexec_b64 s[10:11], vcc
	s_cbranch_execz .LBB600_547
; %bb.546:
	v_and_b32_e32 v11, 7, v12
	v_ffbh_u32_e32 v18, v11
	v_min_u32_e32 v21, 32, v18
	v_subrev_u32_e32 v18, 28, v21
	v_lshlrev_b64 v[18:19], v18, v[12:13]
	v_lshrrev_b32_e32 v20, 3, v10
	v_sub_u32_e32 v19, 29, v21
	v_and_b32_e32 v18, 7, v18
	v_cmp_gt_u32_e32 vcc, 8, v10
	v_cndmask_b32_e32 v10, v20, v19, vcc
	v_cndmask_b32_e32 v11, v11, v18, vcc
	v_lshlrev_b32_e32 v18, 24, v12
	v_bfrev_b32_e32 v19, 60
	v_lshlrev_b32_e32 v11, 20, v11
	v_and_b32_e32 v18, 0x80000000, v18
	v_lshl_add_u32 v10, v10, 23, v19
	v_or3_b32 v18, v18, v10, v11
.LBB600_547:
	s_or_b64 exec, exec, s[10:11]
.LBB600_548:
	s_or_b64 exec, exec, s[8:9]
.LBB600_549:
	s_or_b64 exec, exec, s[2:3]
	v_lshrrev_b16_e32 v10, 8, v12
	v_cmp_ne_u16_e32 vcc, 0, v10
	v_mov_b32_e32 v11, 0
	v_mov_b32_e32 v20, 0
	s_and_saveexec_b64 s[2:3], vcc
	s_cbranch_execz .LBB600_555
; %bb.550:
	s_movk_i32 s7, 0x80
	v_cmp_ne_u16_e32 vcc, s7, v10
	v_bfrev_b32_e32 v20, 1
	s_and_saveexec_b64 s[8:9], vcc
	s_cbranch_execz .LBB600_554
; %bb.551:
	s_movk_i32 s7, 0x7f
	v_and_b32_e32 v19, 0x7f, v10
	v_cmp_ne_u32_e32 vcc, s7, v19
	v_mov_b32_e32 v20, 0x7f800001
	s_and_saveexec_b64 s[10:11], vcc
	s_cbranch_execz .LBB600_553
; %bb.552:
	v_and_b32_e32 v23, 7, v10
	v_ffbh_u32_e32 v20, v23
	v_min_u32_e32 v25, 32, v20
	v_subrev_u32_e32 v20, 28, v25
	v_lshlrev_b64 v[20:21], v20, v[10:11]
	v_lshrrev_b32_e32 v24, 3, v19
	v_sub_u32_e32 v10, 29, v25
	v_and_b32_e32 v20, 7, v20
	v_cmp_gt_u32_e32 vcc, 8, v19
	v_cndmask_b32_e32 v10, v24, v10, vcc
	v_cndmask_b32_e32 v19, v23, v20, vcc
	v_lshlrev_b32_e32 v20, 16, v12
	v_bfrev_b32_e32 v21, 60
	v_lshlrev_b32_e32 v19, 20, v19
	v_and_b32_e32 v20, 0x80000000, v20
	v_lshl_add_u32 v10, v10, 23, v21
	v_or3_b32 v20, v20, v10, v19
.LBB600_553:
	s_or_b64 exec, exec, s[10:11]
.LBB600_554:
	s_or_b64 exec, exec, s[8:9]
.LBB600_555:
	s_or_b64 exec, exec, s[2:3]
	s_movk_i32 s2, 0xff
	v_and_b32_sdwa v19, v12, s2 dst_sel:DWORD dst_unused:UNUSED_PAD src0_sel:WORD_1 src1_sel:DWORD
	v_lshrrev_b32_e32 v10, 16, v12
	v_cmp_ne_u16_e32 vcc, 0, v19
	s_and_saveexec_b64 s[2:3], vcc
	s_cbranch_execz .LBB600_561
; %bb.556:
	s_movk_i32 s7, 0x80
	v_cmp_ne_u16_e32 vcc, s7, v19
	v_bfrev_b32_e32 v11, 1
	s_and_saveexec_b64 s[8:9], vcc
	s_cbranch_execz .LBB600_560
; %bb.557:
	v_bfe_u32 v19, v12, 16, 7
	s_movk_i32 s7, 0x7f
	v_cmp_ne_u32_e32 vcc, s7, v19
	v_mov_b32_e32 v11, 0x7f800001
	s_and_saveexec_b64 s[10:11], vcc
	s_cbranch_execz .LBB600_559
; %bb.558:
	v_and_b32_e32 v21, 7, v10
	v_ffbh_u32_e32 v11, v21
	v_min_u32_e32 v24, 32, v11
	v_subrev_u32_e32 v11, 28, v24
	v_lshlrev_b64 v[10:11], v11, v[10:11]
	v_lshrrev_b32_e32 v23, 3, v19
	v_sub_u32_e32 v11, 29, v24
	v_and_b32_e32 v10, 7, v10
	v_cmp_gt_u32_e32 vcc, 8, v19
	v_mov_b32_e32 v19, 24
	v_cndmask_b32_e32 v11, v23, v11, vcc
	v_cndmask_b32_e32 v10, v21, v10, vcc
	v_lshlrev_b32_sdwa v19, v19, v12 dst_sel:DWORD dst_unused:UNUSED_PAD src0_sel:DWORD src1_sel:WORD_1
	v_bfrev_b32_e32 v21, 60
	v_lshlrev_b32_e32 v10, 20, v10
	v_and_b32_e32 v19, 0x80000000, v19
	v_lshl_add_u32 v11, v11, 23, v21
	v_or3_b32 v11, v19, v11, v10
.LBB600_559:
	s_or_b64 exec, exec, s[10:11]
.LBB600_560:
	s_or_b64 exec, exec, s[8:9]
.LBB600_561:
	s_or_b64 exec, exec, s[2:3]
	s_mov_b32 s2, 0xffffff
	v_cmp_lt_u32_e32 vcc, s2, v12
	v_mov_b32_e32 v21, 0
	v_mov_b32_e32 v23, 0
	s_and_saveexec_b64 s[2:3], vcc
	s_cbranch_execz .LBB600_567
; %bb.562:
	v_lshrrev_b32_e32 v10, 24, v12
	s_movk_i32 s7, 0x80
	v_cmp_ne_u32_e32 vcc, s7, v10
	v_bfrev_b32_e32 v23, 1
	s_and_saveexec_b64 s[8:9], vcc
	s_cbranch_execz .LBB600_566
; %bb.563:
	v_bfe_u32 v12, v12, 24, 7
	s_movk_i32 s7, 0x7f
	v_cmp_ne_u32_e32 vcc, s7, v12
	v_mov_b32_e32 v23, 0x7f800001
	s_and_saveexec_b64 s[10:11], vcc
	s_cbranch_execz .LBB600_565
; %bb.564:
	v_and_b32_e32 v19, 7, v10
	v_ffbh_u32_e32 v24, v19
	v_min_u32_e32 v26, 32, v24
	v_subrev_u32_e32 v24, 28, v26
	v_lshlrev_b64 v[24:25], v24, v[10:11]
	v_lshrrev_b32_e32 v23, 3, v12
	v_sub_u32_e32 v25, 29, v26
	v_and_b32_e32 v24, 7, v24
	v_cmp_gt_u32_e32 vcc, 8, v12
	v_cndmask_b32_e32 v12, v23, v25, vcc
	v_cndmask_b32_e32 v19, v19, v24, vcc
	v_lshlrev_b32_e32 v10, 24, v10
	v_bfrev_b32_e32 v23, 60
	v_lshlrev_b32_e32 v19, 20, v19
	v_and_b32_e32 v10, 0x80000000, v10
	v_lshl_add_u32 v12, v12, 23, v23
	v_or3_b32 v23, v10, v12, v19
.LBB600_565:
	s_or_b64 exec, exec, s[10:11]
.LBB600_566:
	s_or_b64 exec, exec, s[8:9]
.LBB600_567:
	s_or_b64 exec, exec, s[2:3]
	v_cmp_ne_u16_sdwa s[8:9], v13, v21 src0_sel:BYTE_0 src1_sel:DWORD
	s_and_saveexec_b64 s[2:3], s[8:9]
	s_cbranch_execz .LBB600_573
; %bb.568:
	s_movk_i32 s7, 0x80
	v_cmp_ne_u16_sdwa s[10:11], v13, s7 src0_sel:BYTE_0 src1_sel:DWORD
	v_bfrev_b32_e32 v21, 1
	s_and_saveexec_b64 s[8:9], s[10:11]
	s_cbranch_execz .LBB600_572
; %bb.569:
	s_movk_i32 s7, 0x7f
	v_and_b32_e32 v10, 0x7f, v13
	v_cmp_ne_u32_e32 vcc, s7, v10
	v_mov_b32_e32 v21, 0x7f800001
	s_and_saveexec_b64 s[10:11], vcc
	s_cbranch_execz .LBB600_571
; %bb.570:
	v_and_b32_e32 v19, 7, v13
	v_ffbh_u32_e32 v24, v19
	v_min_u32_e32 v26, 32, v24
	v_mov_b32_e32 v12, v13
	v_subrev_u32_e32 v24, 28, v26
	v_lshlrev_b64 v[24:25], v24, v[12:13]
	v_lshrrev_b32_e32 v21, 3, v10
	v_sub_u32_e32 v12, 29, v26
	v_and_b32_e32 v24, 7, v24
	v_cmp_gt_u32_e32 vcc, 8, v10
	v_cndmask_b32_e32 v10, v21, v12, vcc
	v_cndmask_b32_e32 v12, v19, v24, vcc
	v_lshlrev_b32_e32 v19, 24, v13
	v_bfrev_b32_e32 v21, 60
	v_lshlrev_b32_e32 v12, 20, v12
	v_and_b32_e32 v19, 0x80000000, v19
	v_lshl_add_u32 v10, v10, 23, v21
	v_or3_b32 v21, v19, v10, v12
.LBB600_571:
	s_or_b64 exec, exec, s[10:11]
.LBB600_572:
	s_or_b64 exec, exec, s[8:9]
.LBB600_573:
	s_or_b64 exec, exec, s[2:3]
	v_lshrrev_b16_e32 v10, 8, v13
	v_cmp_ne_u16_e32 vcc, 0, v10
	v_mov_b32_e32 v12, 0
	v_mov_b32_e32 v24, 0
	s_and_saveexec_b64 s[2:3], vcc
	s_cbranch_execz .LBB600_579
; %bb.574:
	s_movk_i32 s7, 0x80
	v_cmp_ne_u16_e32 vcc, s7, v10
	v_bfrev_b32_e32 v24, 1
	s_and_saveexec_b64 s[8:9], vcc
	s_cbranch_execz .LBB600_578
; %bb.575:
	s_movk_i32 s7, 0x7f
	v_and_b32_e32 v19, 0x7f, v10
	v_cmp_ne_u32_e32 vcc, s7, v19
	v_mov_b32_e32 v24, 0x7f800001
	s_and_saveexec_b64 s[10:11], vcc
	s_cbranch_execz .LBB600_577
; %bb.576:
	v_and_b32_e32 v26, 7, v10
	v_ffbh_u32_e32 v24, v26
	v_min_u32_e32 v29, 32, v24
	v_subrev_u32_e32 v24, 28, v29
	v_lshlrev_b64 v[24:25], v24, v[10:11]
	v_lshrrev_b32_e32 v27, 3, v19
	v_sub_u32_e32 v10, 29, v29
	v_and_b32_e32 v24, 7, v24
	v_cmp_gt_u32_e32 vcc, 8, v19
	v_cndmask_b32_e32 v10, v27, v10, vcc
	v_cndmask_b32_e32 v19, v26, v24, vcc
	v_lshlrev_b32_e32 v24, 16, v13
	v_bfrev_b32_e32 v25, 60
	v_lshlrev_b32_e32 v19, 20, v19
	v_and_b32_e32 v24, 0x80000000, v24
	v_lshl_add_u32 v10, v10, 23, v25
	v_or3_b32 v24, v24, v10, v19
.LBB600_577:
	s_or_b64 exec, exec, s[10:11]
.LBB600_578:
	s_or_b64 exec, exec, s[8:9]
.LBB600_579:
	s_or_b64 exec, exec, s[2:3]
	s_movk_i32 s2, 0xff
	v_and_b32_sdwa v19, v13, s2 dst_sel:DWORD dst_unused:UNUSED_PAD src0_sel:WORD_1 src1_sel:DWORD
	v_lshrrev_b32_e32 v10, 16, v13
	v_cmp_ne_u16_e32 vcc, 0, v19
	s_and_saveexec_b64 s[2:3], vcc
	s_cbranch_execz .LBB600_585
; %bb.580:
	s_movk_i32 s7, 0x80
	v_cmp_ne_u16_e32 vcc, s7, v19
	v_bfrev_b32_e32 v12, 1
	s_and_saveexec_b64 s[8:9], vcc
	s_cbranch_execz .LBB600_584
; %bb.581:
	v_bfe_u32 v19, v13, 16, 7
	s_movk_i32 s7, 0x7f
	v_cmp_ne_u32_e32 vcc, s7, v19
	v_mov_b32_e32 v12, 0x7f800001
	s_and_saveexec_b64 s[10:11], vcc
	s_cbranch_execz .LBB600_583
; %bb.582:
	v_and_b32_e32 v12, 7, v10
	v_ffbh_u32_e32 v26, v12
	v_min_u32_e32 v29, 32, v26
	v_subrev_u32_e32 v26, 28, v29
	v_lshlrev_b64 v[26:27], v26, v[10:11]
	v_lshrrev_b32_e32 v25, 3, v19
	v_sub_u32_e32 v10, 29, v29
	v_and_b32_e32 v26, 7, v26
	v_cmp_gt_u32_e32 vcc, 8, v19
	v_mov_b32_e32 v19, 24
	v_cndmask_b32_e32 v10, v25, v10, vcc
	v_cndmask_b32_e32 v12, v12, v26, vcc
	v_lshlrev_b32_sdwa v19, v19, v13 dst_sel:DWORD dst_unused:UNUSED_PAD src0_sel:DWORD src1_sel:WORD_1
	v_bfrev_b32_e32 v25, 60
	v_lshlrev_b32_e32 v12, 20, v12
	v_and_b32_e32 v19, 0x80000000, v19
	v_lshl_add_u32 v10, v10, 23, v25
	v_or3_b32 v12, v19, v10, v12
.LBB600_583:
	s_or_b64 exec, exec, s[10:11]
.LBB600_584:
	s_or_b64 exec, exec, s[8:9]
.LBB600_585:
	s_or_b64 exec, exec, s[2:3]
	s_mov_b32 s2, 0xffffff
	v_cmp_lt_u32_e32 vcc, s2, v13
	v_mov_b32_e32 v19, 0
	v_mov_b32_e32 v25, 0
	s_and_saveexec_b64 s[2:3], vcc
	s_cbranch_execz .LBB600_591
; %bb.586:
	v_lshrrev_b32_e32 v10, 24, v13
	s_movk_i32 s7, 0x80
	v_cmp_ne_u32_e32 vcc, s7, v10
	v_bfrev_b32_e32 v25, 1
	s_and_saveexec_b64 s[8:9], vcc
	s_cbranch_execz .LBB600_590
; %bb.587:
	v_bfe_u32 v13, v13, 24, 7
	s_movk_i32 s7, 0x7f
	v_cmp_ne_u32_e32 vcc, s7, v13
	v_mov_b32_e32 v25, 0x7f800001
	s_and_saveexec_b64 s[10:11], vcc
	s_cbranch_execz .LBB600_589
; %bb.588:
	v_and_b32_e32 v25, 7, v10
	v_ffbh_u32_e32 v26, v25
	v_min_u32_e32 v30, 32, v26
	v_subrev_u32_e32 v26, 28, v30
	v_lshlrev_b64 v[26:27], v26, v[10:11]
	v_lshrrev_b32_e32 v29, 3, v13
	v_sub_u32_e32 v27, 29, v30
	v_and_b32_e32 v26, 7, v26
	v_cmp_gt_u32_e32 vcc, 8, v13
	v_cndmask_b32_e32 v13, v29, v27, vcc
	v_cndmask_b32_e32 v25, v25, v26, vcc
	v_lshlrev_b32_e32 v10, 24, v10
	v_bfrev_b32_e32 v26, 60
	v_lshlrev_b32_e32 v25, 20, v25
	v_and_b32_e32 v10, 0x80000000, v10
	v_lshl_add_u32 v13, v13, 23, v26
	v_or3_b32 v25, v10, v13, v25
.LBB600_589:
	s_or_b64 exec, exec, s[10:11]
.LBB600_590:
	s_or_b64 exec, exec, s[8:9]
.LBB600_591:
	s_or_b64 exec, exec, s[2:3]
	v_cvt_pkrtz_f16_f32 v10, v18, v20
	v_cvt_pkrtz_f16_f32 v11, v11, v23
	ds_read_b128 v[30:33], v22 offset:2064
	s_waitcnt vmcnt(1)
	v_cmp_ne_u16_sdwa s[8:9], v6, v19 src0_sel:BYTE_0 src1_sel:DWORD
	s_waitcnt lgkmcnt(0)
	v_mfma_f32_16x16x16f16 v[14:17], v[10:11], v[30:31], v[14:17]
	v_cvt_pkrtz_f16_f32 v10, v21, v24
	v_cvt_pkrtz_f16_f32 v11, v12, v25
	s_nop 1
	v_mfma_f32_16x16x16f16 v[10:13], v[10:11], v[32:33], v[14:17]
	s_and_saveexec_b64 s[2:3], s[8:9]
	s_cbranch_execz .LBB600_597
; %bb.592:
	s_movk_i32 s7, 0x80
	v_cmp_ne_u16_sdwa s[10:11], v6, s7 src0_sel:BYTE_0 src1_sel:DWORD
	v_bfrev_b32_e32 v19, 1
	s_and_saveexec_b64 s[8:9], s[10:11]
	s_cbranch_execz .LBB600_596
; %bb.593:
	s_movk_i32 s7, 0x7f
	v_and_b32_e32 v14, 0x7f, v6
	v_cmp_ne_u32_e32 vcc, s7, v14
	v_mov_b32_e32 v19, 0x7f800001
	s_and_saveexec_b64 s[10:11], vcc
	s_cbranch_execz .LBB600_595
; %bb.594:
	v_and_b32_e32 v15, 7, v6
	v_ffbh_u32_e32 v16, v15
	v_min_u32_e32 v19, 32, v16
	v_subrev_u32_e32 v16, 28, v19
	v_lshlrev_b64 v[16:17], v16, v[6:7]
	v_lshrrev_b32_e32 v18, 3, v14
	v_sub_u32_e32 v17, 29, v19
	v_and_b32_e32 v16, 7, v16
	v_cmp_gt_u32_e32 vcc, 8, v14
	v_cndmask_b32_e32 v14, v18, v17, vcc
	v_cndmask_b32_e32 v15, v15, v16, vcc
	v_lshlrev_b32_e32 v16, 24, v6
	v_bfrev_b32_e32 v17, 60
	v_lshlrev_b32_e32 v15, 20, v15
	v_and_b32_e32 v16, 0x80000000, v16
	v_lshl_add_u32 v14, v14, 23, v17
	v_or3_b32 v19, v16, v14, v15
.LBB600_595:
	s_or_b64 exec, exec, s[10:11]
.LBB600_596:
	s_or_b64 exec, exec, s[8:9]
.LBB600_597:
	s_or_b64 exec, exec, s[2:3]
	s_nop 3
	v_lshrrev_b16_e32 v14, 8, v6
	v_cmp_ne_u16_e32 vcc, 0, v14
	v_mov_b32_e32 v15, 0
	v_mov_b32_e32 v16, 0
	s_and_saveexec_b64 s[2:3], vcc
	s_cbranch_execz .LBB600_603
; %bb.598:
	s_movk_i32 s7, 0x80
	v_cmp_ne_u16_e32 vcc, s7, v14
	v_bfrev_b32_e32 v16, 1
	s_and_saveexec_b64 s[8:9], vcc
	s_cbranch_execz .LBB600_602
; %bb.599:
	s_movk_i32 s7, 0x7f
	v_and_b32_e32 v17, 0x7f, v14
	v_cmp_ne_u32_e32 vcc, s7, v17
	v_mov_b32_e32 v16, 0x7f800001
	s_and_saveexec_b64 s[10:11], vcc
	s_cbranch_execz .LBB600_601
; %bb.600:
	v_and_b32_e32 v16, 7, v14
	v_ffbh_u32_e32 v20, v16
	v_min_u32_e32 v23, 32, v20
	v_subrev_u32_e32 v20, 28, v23
	v_lshlrev_b64 v[20:21], v20, v[14:15]
	v_lshrrev_b32_e32 v18, 3, v17
	v_sub_u32_e32 v14, 29, v23
	v_and_b32_e32 v20, 7, v20
	v_cmp_gt_u32_e32 vcc, 8, v17
	v_cndmask_b32_e32 v14, v18, v14, vcc
	v_cndmask_b32_e32 v16, v16, v20, vcc
	v_lshlrev_b32_e32 v17, 16, v6
	v_bfrev_b32_e32 v18, 60
	v_lshlrev_b32_e32 v16, 20, v16
	v_and_b32_e32 v17, 0x80000000, v17
	v_lshl_add_u32 v14, v14, 23, v18
	v_or3_b32 v16, v17, v14, v16
.LBB600_601:
	s_or_b64 exec, exec, s[10:11]
.LBB600_602:
	s_or_b64 exec, exec, s[8:9]
.LBB600_603:
	s_or_b64 exec, exec, s[2:3]
	s_movk_i32 s2, 0xff
	v_and_b32_sdwa v17, v6, s2 dst_sel:DWORD dst_unused:UNUSED_PAD src0_sel:WORD_1 src1_sel:DWORD
	v_lshrrev_b32_e32 v14, 16, v6
	v_cmp_ne_u16_e32 vcc, 0, v17
	s_and_saveexec_b64 s[2:3], vcc
	s_cbranch_execz .LBB600_609
; %bb.604:
	s_movk_i32 s7, 0x80
	v_cmp_ne_u16_e32 vcc, s7, v17
	v_bfrev_b32_e32 v15, 1
	s_and_saveexec_b64 s[8:9], vcc
	s_cbranch_execz .LBB600_608
; %bb.605:
	v_bfe_u32 v17, v6, 16, 7
	s_movk_i32 s7, 0x7f
	v_cmp_ne_u32_e32 vcc, s7, v17
	v_mov_b32_e32 v15, 0x7f800001
	s_and_saveexec_b64 s[10:11], vcc
	s_cbranch_execz .LBB600_607
; %bb.606:
	v_and_b32_e32 v18, 7, v14
	v_ffbh_u32_e32 v15, v18
	v_min_u32_e32 v21, 32, v15
	v_subrev_u32_e32 v15, 28, v21
	v_lshlrev_b64 v[14:15], v15, v[14:15]
	v_lshrrev_b32_e32 v20, 3, v17
	v_sub_u32_e32 v15, 29, v21
	v_and_b32_e32 v14, 7, v14
	v_cmp_gt_u32_e32 vcc, 8, v17
	v_mov_b32_e32 v17, 24
	v_cndmask_b32_e32 v15, v20, v15, vcc
	v_cndmask_b32_e32 v14, v18, v14, vcc
	v_lshlrev_b32_sdwa v17, v17, v6 dst_sel:DWORD dst_unused:UNUSED_PAD src0_sel:DWORD src1_sel:WORD_1
	v_bfrev_b32_e32 v18, 60
	v_lshlrev_b32_e32 v14, 20, v14
	v_and_b32_e32 v17, 0x80000000, v17
	v_lshl_add_u32 v15, v15, 23, v18
	v_or3_b32 v15, v17, v15, v14
.LBB600_607:
	s_or_b64 exec, exec, s[10:11]
.LBB600_608:
	s_or_b64 exec, exec, s[8:9]
.LBB600_609:
	s_or_b64 exec, exec, s[2:3]
	s_mov_b32 s2, 0xffffff
	v_cmp_lt_u32_e32 vcc, s2, v6
	v_mov_b32_e32 v17, 0
	v_mov_b32_e32 v18, 0
	s_and_saveexec_b64 s[2:3], vcc
	s_cbranch_execz .LBB600_615
; %bb.610:
	v_lshrrev_b32_e32 v14, 24, v6
	s_movk_i32 s7, 0x80
	v_cmp_ne_u32_e32 vcc, s7, v14
	v_bfrev_b32_e32 v18, 1
	s_and_saveexec_b64 s[8:9], vcc
	s_cbranch_execz .LBB600_614
; %bb.611:
	v_bfe_u32 v6, v6, 24, 7
	s_movk_i32 s7, 0x7f
	v_cmp_ne_u32_e32 vcc, s7, v6
	v_mov_b32_e32 v18, 0x7f800001
	s_and_saveexec_b64 s[10:11], vcc
	s_cbranch_execz .LBB600_613
; %bb.612:
	v_and_b32_e32 v18, 7, v14
	v_ffbh_u32_e32 v20, v18
	v_min_u32_e32 v24, 32, v20
	v_subrev_u32_e32 v20, 28, v24
	v_lshlrev_b64 v[20:21], v20, v[14:15]
	v_lshrrev_b32_e32 v23, 3, v6
	v_sub_u32_e32 v21, 29, v24
	v_and_b32_e32 v20, 7, v20
	v_cmp_gt_u32_e32 vcc, 8, v6
	v_cndmask_b32_e32 v6, v23, v21, vcc
	v_cndmask_b32_e32 v18, v18, v20, vcc
	v_lshlrev_b32_e32 v14, 24, v14
	v_bfrev_b32_e32 v20, 60
	v_lshlrev_b32_e32 v18, 20, v18
	v_and_b32_e32 v14, 0x80000000, v14
	v_lshl_add_u32 v6, v6, 23, v20
	v_or3_b32 v18, v14, v6, v18
.LBB600_613:
	s_or_b64 exec, exec, s[10:11]
.LBB600_614:
	s_or_b64 exec, exec, s[8:9]
.LBB600_615:
	s_or_b64 exec, exec, s[2:3]
	v_cmp_ne_u16_sdwa s[8:9], v7, v17 src0_sel:BYTE_0 src1_sel:DWORD
	s_and_saveexec_b64 s[2:3], s[8:9]
	s_cbranch_execz .LBB600_621
; %bb.616:
	s_movk_i32 s7, 0x80
	v_cmp_ne_u16_sdwa s[10:11], v7, s7 src0_sel:BYTE_0 src1_sel:DWORD
	v_bfrev_b32_e32 v17, 1
	s_and_saveexec_b64 s[8:9], s[10:11]
	s_cbranch_execz .LBB600_620
; %bb.617:
	s_movk_i32 s7, 0x7f
	v_and_b32_e32 v6, 0x7f, v7
	v_cmp_ne_u32_e32 vcc, s7, v6
	v_mov_b32_e32 v17, 0x7f800001
	s_and_saveexec_b64 s[10:11], vcc
	s_cbranch_execz .LBB600_619
; %bb.618:
	v_and_b32_e32 v17, 7, v7
	v_ffbh_u32_e32 v20, v17
	v_min_u32_e32 v24, 32, v20
	v_mov_b32_e32 v14, v7
	v_subrev_u32_e32 v20, 28, v24
	v_lshlrev_b64 v[20:21], v20, v[14:15]
	v_lshrrev_b32_e32 v23, 3, v6
	v_sub_u32_e32 v14, 29, v24
	v_and_b32_e32 v20, 7, v20
	v_cmp_gt_u32_e32 vcc, 8, v6
	v_cndmask_b32_e32 v6, v23, v14, vcc
	v_cndmask_b32_e32 v14, v17, v20, vcc
	v_lshlrev_b32_e32 v17, 24, v7
	v_bfrev_b32_e32 v20, 60
	v_lshlrev_b32_e32 v14, 20, v14
	v_and_b32_e32 v17, 0x80000000, v17
	v_lshl_add_u32 v6, v6, 23, v20
	v_or3_b32 v17, v17, v6, v14
.LBB600_619:
	s_or_b64 exec, exec, s[10:11]
.LBB600_620:
	s_or_b64 exec, exec, s[8:9]
.LBB600_621:
	s_or_b64 exec, exec, s[2:3]
	v_lshrrev_b16_e32 v6, 8, v7
	v_cmp_ne_u16_e32 vcc, 0, v6
	v_mov_b32_e32 v20, 0
	v_mov_b32_e32 v21, 0
	s_and_saveexec_b64 s[2:3], vcc
	s_cbranch_execz .LBB600_627
; %bb.622:
	s_movk_i32 s7, 0x80
	v_cmp_ne_u16_e32 vcc, s7, v6
	v_bfrev_b32_e32 v21, 1
	s_and_saveexec_b64 s[8:9], vcc
	s_cbranch_execz .LBB600_626
; %bb.623:
	s_movk_i32 s7, 0x7f
	v_and_b32_e32 v14, 0x7f, v6
	v_cmp_ne_u32_e32 vcc, s7, v14
	v_mov_b32_e32 v21, 0x7f800001
	s_and_saveexec_b64 s[10:11], vcc
	s_cbranch_execz .LBB600_625
; %bb.624:
	v_and_b32_e32 v21, 7, v6
	v_ffbh_u32_e32 v24, v21
	v_min_u32_e32 v26, 32, v24
	v_subrev_u32_e32 v24, 28, v26
	v_lshlrev_b64 v[24:25], v24, v[6:7]
	v_lshrrev_b32_e32 v23, 3, v14
	v_sub_u32_e32 v6, 29, v26
	v_and_b32_e32 v24, 7, v24
	v_cmp_gt_u32_e32 vcc, 8, v14
	v_cndmask_b32_e32 v6, v23, v6, vcc
	v_cndmask_b32_e32 v14, v21, v24, vcc
	v_lshlrev_b32_e32 v21, 16, v7
	v_bfrev_b32_e32 v23, 60
	v_lshlrev_b32_e32 v14, 20, v14
	v_and_b32_e32 v21, 0x80000000, v21
	v_lshl_add_u32 v6, v6, 23, v23
	v_or3_b32 v21, v21, v6, v14
.LBB600_625:
	s_or_b64 exec, exec, s[10:11]
.LBB600_626:
	s_or_b64 exec, exec, s[8:9]
.LBB600_627:
	s_or_b64 exec, exec, s[2:3]
	s_movk_i32 s2, 0xff
	v_and_b32_sdwa v14, v7, s2 dst_sel:DWORD dst_unused:UNUSED_PAD src0_sel:WORD_1 src1_sel:DWORD
	v_lshrrev_b32_e32 v6, 16, v7
	v_cmp_ne_u16_e32 vcc, 0, v14
	s_and_saveexec_b64 s[2:3], vcc
	s_cbranch_execz .LBB600_633
; %bb.628:
	s_movk_i32 s7, 0x80
	v_cmp_ne_u16_e32 vcc, s7, v14
	v_bfrev_b32_e32 v20, 1
	s_and_saveexec_b64 s[8:9], vcc
	s_cbranch_execz .LBB600_632
; %bb.629:
	v_bfe_u32 v14, v7, 16, 7
	s_movk_i32 s7, 0x7f
	v_cmp_ne_u32_e32 vcc, s7, v14
	v_mov_b32_e32 v20, 0x7f800001
	s_and_saveexec_b64 s[10:11], vcc
	s_cbranch_execz .LBB600_631
; %bb.630:
	v_and_b32_e32 v20, 7, v6
	v_ffbh_u32_e32 v24, v20
	v_min_u32_e32 v26, 32, v24
	v_subrev_u32_e32 v24, 28, v26
	v_lshlrev_b64 v[24:25], v24, v[6:7]
	v_and_b32_e32 v24, 7, v24
	v_cmp_gt_u32_e32 vcc, 8, v14
	v_lshrrev_b32_e32 v23, 3, v14
	v_sub_u32_e32 v6, 29, v26
	v_cndmask_b32_e32 v14, v20, v24, vcc
	v_mov_b32_e32 v20, 24
	v_cndmask_b32_e32 v6, v23, v6, vcc
	v_lshlrev_b32_sdwa v20, v20, v7 dst_sel:DWORD dst_unused:UNUSED_PAD src0_sel:DWORD src1_sel:WORD_1
	v_bfrev_b32_e32 v23, 60
	v_lshlrev_b32_e32 v14, 20, v14
	v_and_b32_e32 v20, 0x80000000, v20
	v_lshl_add_u32 v6, v6, 23, v23
	v_or3_b32 v20, v20, v6, v14
.LBB600_631:
	s_or_b64 exec, exec, s[10:11]
.LBB600_632:
	s_or_b64 exec, exec, s[8:9]
.LBB600_633:
	s_or_b64 exec, exec, s[2:3]
	s_mov_b32 s2, 0xffffff
	v_cmp_lt_u32_e32 vcc, s2, v7
	v_mov_b32_e32 v14, 0
	v_mov_b32_e32 v23, 0
	s_and_saveexec_b64 s[2:3], vcc
	s_cbranch_execz .LBB600_639
; %bb.634:
	v_lshrrev_b32_e32 v6, 24, v7
	s_movk_i32 s7, 0x80
	v_cmp_ne_u32_e32 vcc, s7, v6
	v_bfrev_b32_e32 v23, 1
	s_and_saveexec_b64 s[8:9], vcc
	s_cbranch_execz .LBB600_638
; %bb.635:
	v_bfe_u32 v7, v7, 24, 7
	s_movk_i32 s7, 0x7f
	v_cmp_ne_u32_e32 vcc, s7, v7
	v_mov_b32_e32 v23, 0x7f800001
	s_and_saveexec_b64 s[10:11], vcc
	s_cbranch_execz .LBB600_637
; %bb.636:
	v_and_b32_e32 v23, 7, v6
	v_ffbh_u32_e32 v24, v23
	v_min_u32_e32 v27, 32, v24
	v_subrev_u32_e32 v24, 28, v27
	v_lshlrev_b64 v[24:25], v24, v[6:7]
	v_lshrrev_b32_e32 v26, 3, v7
	v_sub_u32_e32 v25, 29, v27
	v_and_b32_e32 v24, 7, v24
	v_cmp_gt_u32_e32 vcc, 8, v7
	v_cndmask_b32_e32 v7, v26, v25, vcc
	v_cndmask_b32_e32 v23, v23, v24, vcc
	v_lshlrev_b32_e32 v6, 24, v6
	v_bfrev_b32_e32 v24, 60
	v_lshlrev_b32_e32 v23, 20, v23
	v_and_b32_e32 v6, 0x80000000, v6
	v_lshl_add_u32 v7, v7, 23, v24
	v_or3_b32 v23, v6, v7, v23
.LBB600_637:
	s_or_b64 exec, exec, s[10:11]
.LBB600_638:
	s_or_b64 exec, exec, s[8:9]
.LBB600_639:
	s_or_b64 exec, exec, s[2:3]
	v_cvt_pkrtz_f16_f32 v6, v19, v16
	v_cvt_pkrtz_f16_f32 v7, v15, v18
	ds_read_b128 v[24:27], v22 offset:4096
	v_cmp_ne_u16_sdwa s[8:9], v8, v14 src0_sel:BYTE_0 src1_sel:DWORD
	s_waitcnt lgkmcnt(0)
	v_mfma_f32_16x16x16f16 v[10:13], v[6:7], v[24:25], v[10:13]
	v_cvt_pkrtz_f16_f32 v6, v17, v21
	v_cvt_pkrtz_f16_f32 v7, v20, v23
	s_nop 1
	v_mfma_f32_16x16x16f16 v[10:13], v[6:7], v[26:27], v[10:13]
	s_and_saveexec_b64 s[2:3], s[8:9]
	s_cbranch_execz .LBB600_645
; %bb.640:
	s_movk_i32 s7, 0x80
	v_cmp_ne_u16_sdwa s[10:11], v8, s7 src0_sel:BYTE_0 src1_sel:DWORD
	v_bfrev_b32_e32 v14, 1
	s_and_saveexec_b64 s[8:9], s[10:11]
	s_cbranch_execz .LBB600_644
; %bb.641:
	s_movk_i32 s7, 0x7f
	v_and_b32_e32 v6, 0x7f, v8
	v_cmp_ne_u32_e32 vcc, s7, v6
	v_mov_b32_e32 v14, 0x7f800001
	s_and_saveexec_b64 s[10:11], vcc
	s_cbranch_execz .LBB600_643
; %bb.642:
	v_and_b32_e32 v7, 7, v8
	v_ffbh_u32_e32 v14, v7
	v_min_u32_e32 v17, 32, v14
	v_subrev_u32_e32 v14, 28, v17
	v_lshlrev_b64 v[14:15], v14, v[8:9]
	v_lshrrev_b32_e32 v16, 3, v6
	v_sub_u32_e32 v15, 29, v17
	v_and_b32_e32 v14, 7, v14
	v_cmp_gt_u32_e32 vcc, 8, v6
	v_cndmask_b32_e32 v6, v16, v15, vcc
	v_cndmask_b32_e32 v7, v7, v14, vcc
	v_lshlrev_b32_e32 v14, 24, v8
	v_bfrev_b32_e32 v15, 60
	v_lshlrev_b32_e32 v7, 20, v7
	v_and_b32_e32 v14, 0x80000000, v14
	v_lshl_add_u32 v6, v6, 23, v15
	v_or3_b32 v14, v14, v6, v7
.LBB600_643:
	s_or_b64 exec, exec, s[10:11]
.LBB600_644:
	s_or_b64 exec, exec, s[8:9]
.LBB600_645:
	s_or_b64 exec, exec, s[2:3]
	v_lshrrev_b16_e32 v6, 8, v8
	v_cmp_ne_u16_e32 vcc, 0, v6
	v_mov_b32_e32 v7, 0
	v_mov_b32_e32 v16, 0
	s_and_saveexec_b64 s[2:3], vcc
	s_cbranch_execz .LBB600_651
; %bb.646:
	s_movk_i32 s7, 0x80
	v_cmp_ne_u16_e32 vcc, s7, v6
	v_bfrev_b32_e32 v16, 1
	s_and_saveexec_b64 s[8:9], vcc
	s_cbranch_execz .LBB600_650
; %bb.647:
	s_movk_i32 s7, 0x7f
	v_and_b32_e32 v15, 0x7f, v6
	v_cmp_ne_u32_e32 vcc, s7, v15
	v_mov_b32_e32 v16, 0x7f800001
	s_and_saveexec_b64 s[10:11], vcc
	s_cbranch_execz .LBB600_649
; %bb.648:
	v_and_b32_e32 v18, 7, v6
	v_ffbh_u32_e32 v16, v18
	v_min_u32_e32 v20, 32, v16
	v_subrev_u32_e32 v16, 28, v20
	v_lshlrev_b64 v[16:17], v16, v[6:7]
	v_lshrrev_b32_e32 v19, 3, v15
	v_sub_u32_e32 v6, 29, v20
	v_and_b32_e32 v16, 7, v16
	v_cmp_gt_u32_e32 vcc, 8, v15
	v_cndmask_b32_e32 v6, v19, v6, vcc
	v_cndmask_b32_e32 v15, v18, v16, vcc
	v_lshlrev_b32_e32 v16, 16, v8
	v_bfrev_b32_e32 v17, 60
	v_lshlrev_b32_e32 v15, 20, v15
	v_and_b32_e32 v16, 0x80000000, v16
	v_lshl_add_u32 v6, v6, 23, v17
	v_or3_b32 v16, v16, v6, v15
.LBB600_649:
	s_or_b64 exec, exec, s[10:11]
.LBB600_650:
	s_or_b64 exec, exec, s[8:9]
.LBB600_651:
	s_or_b64 exec, exec, s[2:3]
	s_movk_i32 s2, 0xff
	v_and_b32_sdwa v15, v8, s2 dst_sel:DWORD dst_unused:UNUSED_PAD src0_sel:WORD_1 src1_sel:DWORD
	v_lshrrev_b32_e32 v6, 16, v8
	v_cmp_ne_u16_e32 vcc, 0, v15
	s_and_saveexec_b64 s[2:3], vcc
	s_cbranch_execz .LBB600_657
; %bb.652:
	s_movk_i32 s7, 0x80
	v_cmp_ne_u16_e32 vcc, s7, v15
	v_bfrev_b32_e32 v7, 1
	s_and_saveexec_b64 s[8:9], vcc
	s_cbranch_execz .LBB600_656
; %bb.653:
	v_bfe_u32 v15, v8, 16, 7
	s_movk_i32 s7, 0x7f
	v_cmp_ne_u32_e32 vcc, s7, v15
	v_mov_b32_e32 v7, 0x7f800001
	s_and_saveexec_b64 s[10:11], vcc
	s_cbranch_execz .LBB600_655
; %bb.654:
	v_and_b32_e32 v17, 7, v6
	v_ffbh_u32_e32 v7, v17
	v_min_u32_e32 v19, 32, v7
	v_subrev_u32_e32 v7, 28, v19
	v_lshlrev_b64 v[6:7], v7, v[6:7]
	v_lshrrev_b32_e32 v18, 3, v15
	v_sub_u32_e32 v7, 29, v19
	v_and_b32_e32 v6, 7, v6
	v_cmp_gt_u32_e32 vcc, 8, v15
	v_mov_b32_e32 v15, 24
	v_cndmask_b32_e32 v7, v18, v7, vcc
	v_cndmask_b32_e32 v6, v17, v6, vcc
	v_lshlrev_b32_sdwa v15, v15, v8 dst_sel:DWORD dst_unused:UNUSED_PAD src0_sel:DWORD src1_sel:WORD_1
	v_bfrev_b32_e32 v17, 60
	v_lshlrev_b32_e32 v6, 20, v6
	v_and_b32_e32 v15, 0x80000000, v15
	v_lshl_add_u32 v7, v7, 23, v17
	v_or3_b32 v7, v15, v7, v6
.LBB600_655:
	s_or_b64 exec, exec, s[10:11]
.LBB600_656:
	s_or_b64 exec, exec, s[8:9]
.LBB600_657:
	s_or_b64 exec, exec, s[2:3]
	s_mov_b32 s2, 0xffffff
	v_cmp_lt_u32_e32 vcc, s2, v8
	v_mov_b32_e32 v17, 0
	v_mov_b32_e32 v18, 0
	s_and_saveexec_b64 s[2:3], vcc
	s_cbranch_execz .LBB600_663
; %bb.658:
	v_lshrrev_b32_e32 v6, 24, v8
	s_movk_i32 s7, 0x80
	v_cmp_ne_u32_e32 vcc, s7, v6
	v_bfrev_b32_e32 v18, 1
	s_and_saveexec_b64 s[8:9], vcc
	s_cbranch_execz .LBB600_662
; %bb.659:
	v_bfe_u32 v8, v8, 24, 7
	s_movk_i32 s7, 0x7f
	v_cmp_ne_u32_e32 vcc, s7, v8
	v_mov_b32_e32 v18, 0x7f800001
	s_and_saveexec_b64 s[10:11], vcc
	s_cbranch_execz .LBB600_661
; %bb.660:
	v_and_b32_e32 v15, 7, v6
	v_ffbh_u32_e32 v18, v15
	v_min_u32_e32 v21, 32, v18
	v_subrev_u32_e32 v18, 28, v21
	v_lshlrev_b64 v[18:19], v18, v[6:7]
	v_lshrrev_b32_e32 v20, 3, v8
	v_sub_u32_e32 v19, 29, v21
	v_and_b32_e32 v18, 7, v18
	v_cmp_gt_u32_e32 vcc, 8, v8
	v_cndmask_b32_e32 v8, v20, v19, vcc
	v_cndmask_b32_e32 v15, v15, v18, vcc
	v_lshlrev_b32_e32 v6, 24, v6
	v_bfrev_b32_e32 v18, 60
	v_lshlrev_b32_e32 v15, 20, v15
	v_and_b32_e32 v6, 0x80000000, v6
	v_lshl_add_u32 v8, v8, 23, v18
	v_or3_b32 v18, v6, v8, v15
.LBB600_661:
	s_or_b64 exec, exec, s[10:11]
.LBB600_662:
	s_or_b64 exec, exec, s[8:9]
.LBB600_663:
	s_or_b64 exec, exec, s[2:3]
	v_cmp_ne_u16_sdwa s[8:9], v9, v17 src0_sel:BYTE_0 src1_sel:DWORD
	s_and_saveexec_b64 s[2:3], s[8:9]
	s_cbranch_execz .LBB600_669
; %bb.664:
	s_movk_i32 s7, 0x80
	v_cmp_ne_u16_sdwa s[10:11], v9, s7 src0_sel:BYTE_0 src1_sel:DWORD
	v_bfrev_b32_e32 v17, 1
	s_and_saveexec_b64 s[8:9], s[10:11]
	s_cbranch_execz .LBB600_668
; %bb.665:
	s_movk_i32 s7, 0x7f
	v_and_b32_e32 v6, 0x7f, v9
	v_cmp_ne_u32_e32 vcc, s7, v6
	v_mov_b32_e32 v17, 0x7f800001
	s_and_saveexec_b64 s[10:11], vcc
	s_cbranch_execz .LBB600_667
; %bb.666:
	v_and_b32_e32 v15, 7, v9
	v_ffbh_u32_e32 v19, v15
	v_min_u32_e32 v19, 32, v19
	v_mov_b32_e32 v8, v9
	v_subrev_u32_e32 v20, 28, v19
	v_lshlrev_b64 v[20:21], v20, v[8:9]
	v_lshrrev_b32_e32 v17, 3, v6
	v_sub_u32_e32 v8, 29, v19
	v_and_b32_e32 v19, 7, v20
	v_cmp_gt_u32_e32 vcc, 8, v6
	v_cndmask_b32_e32 v6, v17, v8, vcc
	v_cndmask_b32_e32 v8, v15, v19, vcc
	v_lshlrev_b32_e32 v15, 24, v9
	v_bfrev_b32_e32 v17, 60
	v_lshlrev_b32_e32 v8, 20, v8
	v_and_b32_e32 v15, 0x80000000, v15
	v_lshl_add_u32 v6, v6, 23, v17
	v_or3_b32 v17, v15, v6, v8
.LBB600_667:
	s_or_b64 exec, exec, s[10:11]
.LBB600_668:
	s_or_b64 exec, exec, s[8:9]
.LBB600_669:
	s_or_b64 exec, exec, s[2:3]
	v_lshrrev_b16_e32 v6, 8, v9
	v_cmp_ne_u16_e32 vcc, 0, v6
	v_mov_b32_e32 v8, 0
	v_mov_b32_e32 v19, 0
	s_and_saveexec_b64 s[2:3], vcc
	s_cbranch_execz .LBB600_675
; %bb.670:
	s_movk_i32 s7, 0x80
	v_cmp_ne_u16_e32 vcc, s7, v6
	v_bfrev_b32_e32 v19, 1
	s_and_saveexec_b64 s[8:9], vcc
	s_cbranch_execz .LBB600_674
; %bb.671:
	s_movk_i32 s7, 0x7f
	v_and_b32_e32 v15, 0x7f, v6
	v_cmp_ne_u32_e32 vcc, s7, v15
	v_mov_b32_e32 v19, 0x7f800001
	s_and_saveexec_b64 s[10:11], vcc
	s_cbranch_execz .LBB600_673
; %bb.672:
	v_and_b32_e32 v19, 7, v6
	v_ffbh_u32_e32 v20, v19
	v_min_u32_e32 v24, 32, v20
	v_subrev_u32_e32 v20, 28, v24
	v_lshlrev_b64 v[20:21], v20, v[6:7]
	v_lshrrev_b32_e32 v23, 3, v15
	v_sub_u32_e32 v6, 29, v24
	v_and_b32_e32 v20, 7, v20
	v_cmp_gt_u32_e32 vcc, 8, v15
	v_cndmask_b32_e32 v6, v23, v6, vcc
	v_cndmask_b32_e32 v15, v19, v20, vcc
	v_lshlrev_b32_e32 v19, 16, v9
	v_bfrev_b32_e32 v20, 60
	v_lshlrev_b32_e32 v15, 20, v15
	v_and_b32_e32 v19, 0x80000000, v19
	v_lshl_add_u32 v6, v6, 23, v20
	v_or3_b32 v19, v19, v6, v15
.LBB600_673:
	s_or_b64 exec, exec, s[10:11]
.LBB600_674:
	s_or_b64 exec, exec, s[8:9]
.LBB600_675:
	s_or_b64 exec, exec, s[2:3]
	s_movk_i32 s2, 0xff
	v_and_b32_sdwa v15, v9, s2 dst_sel:DWORD dst_unused:UNUSED_PAD src0_sel:WORD_1 src1_sel:DWORD
	v_lshrrev_b32_e32 v6, 16, v9
	v_cmp_ne_u16_e32 vcc, 0, v15
	s_and_saveexec_b64 s[2:3], vcc
	s_cbranch_execz .LBB600_681
; %bb.676:
	s_movk_i32 s7, 0x80
	v_cmp_ne_u16_e32 vcc, s7, v15
	v_bfrev_b32_e32 v8, 1
	s_and_saveexec_b64 s[8:9], vcc
	s_cbranch_execz .LBB600_680
; %bb.677:
	v_bfe_u32 v15, v9, 16, 7
	s_movk_i32 s7, 0x7f
	v_cmp_ne_u32_e32 vcc, s7, v15
	v_mov_b32_e32 v8, 0x7f800001
	s_and_saveexec_b64 s[10:11], vcc
	s_cbranch_execz .LBB600_679
; %bb.678:
	v_and_b32_e32 v8, 7, v6
	v_ffbh_u32_e32 v20, v8
	v_min_u32_e32 v24, 32, v20
	v_subrev_u32_e32 v20, 28, v24
	v_lshlrev_b64 v[20:21], v20, v[6:7]
	v_lshrrev_b32_e32 v23, 3, v15
	v_sub_u32_e32 v6, 29, v24
	v_and_b32_e32 v20, 7, v20
	v_cmp_gt_u32_e32 vcc, 8, v15
	v_mov_b32_e32 v15, 24
	v_cndmask_b32_e32 v6, v23, v6, vcc
	v_cndmask_b32_e32 v8, v8, v20, vcc
	v_lshlrev_b32_sdwa v15, v15, v9 dst_sel:DWORD dst_unused:UNUSED_PAD src0_sel:DWORD src1_sel:WORD_1
	v_bfrev_b32_e32 v20, 60
	v_lshlrev_b32_e32 v8, 20, v8
	v_and_b32_e32 v15, 0x80000000, v15
	v_lshl_add_u32 v6, v6, 23, v20
	v_or3_b32 v8, v15, v6, v8
.LBB600_679:
	s_or_b64 exec, exec, s[10:11]
.LBB600_680:
	s_or_b64 exec, exec, s[8:9]
.LBB600_681:
	s_or_b64 exec, exec, s[2:3]
	s_mov_b32 s2, 0xffffff
	v_cmp_lt_u32_e32 vcc, s2, v9
	v_mov_b32_e32 v15, 0
	v_mov_b32_e32 v20, 0
	s_and_saveexec_b64 s[2:3], vcc
	s_cbranch_execz .LBB600_687
; %bb.682:
	v_lshrrev_b32_e32 v6, 24, v9
	s_movk_i32 s7, 0x80
	v_cmp_ne_u32_e32 vcc, s7, v6
	v_bfrev_b32_e32 v20, 1
	s_and_saveexec_b64 s[8:9], vcc
	s_cbranch_execz .LBB600_686
; %bb.683:
	v_bfe_u32 v9, v9, 24, 7
	s_movk_i32 s7, 0x7f
	v_cmp_ne_u32_e32 vcc, s7, v9
	v_mov_b32_e32 v20, 0x7f800001
	s_and_saveexec_b64 s[10:11], vcc
	s_cbranch_execz .LBB600_685
; %bb.684:
	v_and_b32_e32 v23, 7, v6
	v_ffbh_u32_e32 v20, v23
	v_min_u32_e32 v25, 32, v20
	v_subrev_u32_e32 v20, 28, v25
	v_lshlrev_b64 v[20:21], v20, v[6:7]
	v_lshrrev_b32_e32 v24, 3, v9
	v_sub_u32_e32 v21, 29, v25
	v_and_b32_e32 v20, 7, v20
	v_cmp_gt_u32_e32 vcc, 8, v9
	v_cndmask_b32_e32 v9, v24, v21, vcc
	v_cndmask_b32_e32 v20, v23, v20, vcc
	v_lshlrev_b32_e32 v6, 24, v6
	v_bfrev_b32_e32 v21, 60
	v_lshlrev_b32_e32 v20, 20, v20
	v_and_b32_e32 v6, 0x80000000, v6
	v_lshl_add_u32 v9, v9, 23, v21
	v_or3_b32 v20, v6, v9, v20
.LBB600_685:
	s_or_b64 exec, exec, s[10:11]
.LBB600_686:
	s_or_b64 exec, exec, s[8:9]
.LBB600_687:
	s_or_b64 exec, exec, s[2:3]
	v_cvt_pkrtz_f16_f32 v6, v14, v16
	v_cvt_pkrtz_f16_f32 v7, v7, v18
	ds_read_b128 v[24:27], v22 offset:4112
	s_waitcnt vmcnt(0)
	v_cmp_ne_u16_sdwa s[8:9], v2, v15 src0_sel:BYTE_0 src1_sel:DWORD
	s_waitcnt lgkmcnt(0)
	v_mfma_f32_16x16x16f16 v[10:13], v[6:7], v[24:25], v[10:13]
	v_cvt_pkrtz_f16_f32 v6, v17, v19
	v_cvt_pkrtz_f16_f32 v7, v8, v20
	s_nop 1
	v_mfma_f32_16x16x16f16 v[6:9], v[6:7], v[26:27], v[10:13]
	s_and_saveexec_b64 s[2:3], s[8:9]
	s_cbranch_execz .LBB600_693
; %bb.688:
	s_movk_i32 s7, 0x80
	v_cmp_ne_u16_sdwa s[10:11], v2, s7 src0_sel:BYTE_0 src1_sel:DWORD
	v_bfrev_b32_e32 v15, 1
	s_and_saveexec_b64 s[8:9], s[10:11]
	s_cbranch_execz .LBB600_692
; %bb.689:
	s_movk_i32 s7, 0x7f
	v_and_b32_e32 v10, 0x7f, v2
	v_cmp_ne_u32_e32 vcc, s7, v10
	v_mov_b32_e32 v15, 0x7f800001
	s_and_saveexec_b64 s[10:11], vcc
	s_cbranch_execz .LBB600_691
; %bb.690:
	v_and_b32_e32 v11, 7, v2
	v_ffbh_u32_e32 v12, v11
	v_min_u32_e32 v15, 32, v12
	v_subrev_u32_e32 v12, 28, v15
	v_lshlrev_b64 v[12:13], v12, v[2:3]
	v_lshrrev_b32_e32 v14, 3, v10
	v_sub_u32_e32 v13, 29, v15
	v_and_b32_e32 v12, 7, v12
	v_cmp_gt_u32_e32 vcc, 8, v10
	v_cndmask_b32_e32 v10, v14, v13, vcc
	v_cndmask_b32_e32 v11, v11, v12, vcc
	v_lshlrev_b32_e32 v12, 24, v2
	v_bfrev_b32_e32 v13, 60
	v_lshlrev_b32_e32 v11, 20, v11
	v_and_b32_e32 v12, 0x80000000, v12
	v_lshl_add_u32 v10, v10, 23, v13
	v_or3_b32 v15, v12, v10, v11
.LBB600_691:
	s_or_b64 exec, exec, s[10:11]
.LBB600_692:
	s_or_b64 exec, exec, s[8:9]
.LBB600_693:
	s_or_b64 exec, exec, s[2:3]
	s_nop 3
	v_lshrrev_b16_e32 v10, 8, v2
	v_cmp_ne_u16_e32 vcc, 0, v10
	v_mov_b32_e32 v11, 0
	v_mov_b32_e32 v12, 0
	s_and_saveexec_b64 s[2:3], vcc
	s_cbranch_execz .LBB600_699
; %bb.694:
	s_movk_i32 s7, 0x80
	v_cmp_ne_u16_e32 vcc, s7, v10
	v_bfrev_b32_e32 v12, 1
	s_and_saveexec_b64 s[8:9], vcc
	s_cbranch_execz .LBB600_698
; %bb.695:
	s_movk_i32 s7, 0x7f
	v_and_b32_e32 v13, 0x7f, v10
	v_cmp_ne_u32_e32 vcc, s7, v13
	v_mov_b32_e32 v12, 0x7f800001
	s_and_saveexec_b64 s[10:11], vcc
	s_cbranch_execz .LBB600_697
; %bb.696:
	v_and_b32_e32 v12, 7, v10
	v_ffbh_u32_e32 v16, v12
	v_min_u32_e32 v18, 32, v16
	v_subrev_u32_e32 v16, 28, v18
	v_lshlrev_b64 v[16:17], v16, v[10:11]
	v_lshrrev_b32_e32 v14, 3, v13
	v_sub_u32_e32 v10, 29, v18
	v_and_b32_e32 v16, 7, v16
	v_cmp_gt_u32_e32 vcc, 8, v13
	v_cndmask_b32_e32 v10, v14, v10, vcc
	v_cndmask_b32_e32 v12, v12, v16, vcc
	v_lshlrev_b32_e32 v13, 16, v2
	v_bfrev_b32_e32 v14, 60
	v_lshlrev_b32_e32 v12, 20, v12
	v_and_b32_e32 v13, 0x80000000, v13
	v_lshl_add_u32 v10, v10, 23, v14
	v_or3_b32 v12, v13, v10, v12
.LBB600_697:
	s_or_b64 exec, exec, s[10:11]
.LBB600_698:
	s_or_b64 exec, exec, s[8:9]
.LBB600_699:
	s_or_b64 exec, exec, s[2:3]
	s_movk_i32 s2, 0xff
	v_and_b32_sdwa v13, v2, s2 dst_sel:DWORD dst_unused:UNUSED_PAD src0_sel:WORD_1 src1_sel:DWORD
	v_lshrrev_b32_e32 v10, 16, v2
	v_cmp_ne_u16_e32 vcc, 0, v13
	s_and_saveexec_b64 s[2:3], vcc
	s_cbranch_execz .LBB600_705
; %bb.700:
	s_movk_i32 s7, 0x80
	v_cmp_ne_u16_e32 vcc, s7, v13
	v_bfrev_b32_e32 v11, 1
	s_and_saveexec_b64 s[8:9], vcc
	s_cbranch_execz .LBB600_704
; %bb.701:
	v_bfe_u32 v13, v2, 16, 7
	s_movk_i32 s7, 0x7f
	v_cmp_ne_u32_e32 vcc, s7, v13
	v_mov_b32_e32 v11, 0x7f800001
	s_and_saveexec_b64 s[10:11], vcc
	s_cbranch_execz .LBB600_703
; %bb.702:
	v_and_b32_e32 v14, 7, v10
	v_ffbh_u32_e32 v11, v14
	v_min_u32_e32 v17, 32, v11
	v_subrev_u32_e32 v11, 28, v17
	v_lshlrev_b64 v[10:11], v11, v[10:11]
	v_lshrrev_b32_e32 v16, 3, v13
	v_sub_u32_e32 v11, 29, v17
	v_and_b32_e32 v10, 7, v10
	v_cmp_gt_u32_e32 vcc, 8, v13
	v_mov_b32_e32 v13, 24
	v_cndmask_b32_e32 v11, v16, v11, vcc
	v_cndmask_b32_e32 v10, v14, v10, vcc
	v_lshlrev_b32_sdwa v13, v13, v2 dst_sel:DWORD dst_unused:UNUSED_PAD src0_sel:DWORD src1_sel:WORD_1
	v_bfrev_b32_e32 v14, 60
	v_lshlrev_b32_e32 v10, 20, v10
	v_and_b32_e32 v13, 0x80000000, v13
	v_lshl_add_u32 v11, v11, 23, v14
	v_or3_b32 v11, v13, v11, v10
.LBB600_703:
	s_or_b64 exec, exec, s[10:11]
.LBB600_704:
	s_or_b64 exec, exec, s[8:9]
.LBB600_705:
	s_or_b64 exec, exec, s[2:3]
	s_mov_b32 s2, 0xffffff
	v_cmp_lt_u32_e32 vcc, s2, v2
	v_mov_b32_e32 v13, 0
	v_mov_b32_e32 v14, 0
	s_and_saveexec_b64 s[2:3], vcc
	s_cbranch_execz .LBB600_711
; %bb.706:
	v_lshrrev_b32_e32 v10, 24, v2
	s_movk_i32 s7, 0x80
	v_cmp_ne_u32_e32 vcc, s7, v10
	v_bfrev_b32_e32 v14, 1
	s_and_saveexec_b64 s[8:9], vcc
	s_cbranch_execz .LBB600_710
; %bb.707:
	v_bfe_u32 v2, v2, 24, 7
	s_movk_i32 s7, 0x7f
	v_cmp_ne_u32_e32 vcc, s7, v2
	v_mov_b32_e32 v14, 0x7f800001
	s_and_saveexec_b64 s[10:11], vcc
	s_cbranch_execz .LBB600_709
; %bb.708:
	v_and_b32_e32 v14, 7, v10
	v_ffbh_u32_e32 v16, v14
	v_min_u32_e32 v19, 32, v16
	v_subrev_u32_e32 v16, 28, v19
	v_lshlrev_b64 v[16:17], v16, v[10:11]
	v_lshrrev_b32_e32 v18, 3, v2
	v_sub_u32_e32 v17, 29, v19
	v_and_b32_e32 v16, 7, v16
	v_cmp_gt_u32_e32 vcc, 8, v2
	v_cndmask_b32_e32 v2, v18, v17, vcc
	v_cndmask_b32_e32 v14, v14, v16, vcc
	v_lshlrev_b32_e32 v10, 24, v10
	v_bfrev_b32_e32 v16, 60
	v_lshlrev_b32_e32 v14, 20, v14
	v_and_b32_e32 v10, 0x80000000, v10
	v_lshl_add_u32 v2, v2, 23, v16
	v_or3_b32 v14, v10, v2, v14
.LBB600_709:
	s_or_b64 exec, exec, s[10:11]
.LBB600_710:
	s_or_b64 exec, exec, s[8:9]
.LBB600_711:
	s_or_b64 exec, exec, s[2:3]
	v_cmp_ne_u16_sdwa s[8:9], v3, v13 src0_sel:BYTE_0 src1_sel:DWORD
	s_and_saveexec_b64 s[2:3], s[8:9]
	s_cbranch_execz .LBB600_717
; %bb.712:
	s_movk_i32 s7, 0x80
	v_cmp_ne_u16_sdwa s[10:11], v3, s7 src0_sel:BYTE_0 src1_sel:DWORD
	v_bfrev_b32_e32 v13, 1
	s_and_saveexec_b64 s[8:9], s[10:11]
	s_cbranch_execz .LBB600_716
; %bb.713:
	s_movk_i32 s7, 0x7f
	v_and_b32_e32 v2, 0x7f, v3
	v_cmp_ne_u32_e32 vcc, s7, v2
	v_mov_b32_e32 v13, 0x7f800001
	s_and_saveexec_b64 s[10:11], vcc
	s_cbranch_execz .LBB600_715
; %bb.714:
	v_and_b32_e32 v13, 7, v3
	v_ffbh_u32_e32 v16, v13
	v_min_u32_e32 v19, 32, v16
	v_mov_b32_e32 v10, v3
	v_subrev_u32_e32 v16, 28, v19
	v_lshlrev_b64 v[16:17], v16, v[10:11]
	v_lshrrev_b32_e32 v18, 3, v2
	v_sub_u32_e32 v10, 29, v19
	v_and_b32_e32 v16, 7, v16
	v_cmp_gt_u32_e32 vcc, 8, v2
	v_cndmask_b32_e32 v2, v18, v10, vcc
	v_cndmask_b32_e32 v10, v13, v16, vcc
	v_lshlrev_b32_e32 v13, 24, v3
	v_bfrev_b32_e32 v16, 60
	v_lshlrev_b32_e32 v10, 20, v10
	v_and_b32_e32 v13, 0x80000000, v13
	v_lshl_add_u32 v2, v2, 23, v16
	v_or3_b32 v13, v13, v2, v10
.LBB600_715:
	s_or_b64 exec, exec, s[10:11]
.LBB600_716:
	s_or_b64 exec, exec, s[8:9]
.LBB600_717:
	s_or_b64 exec, exec, s[2:3]
	v_lshrrev_b16_e32 v2, 8, v3
	v_cmp_ne_u16_e32 vcc, 0, v2
	v_mov_b32_e32 v16, 0
	v_mov_b32_e32 v17, 0
	s_and_saveexec_b64 s[2:3], vcc
	s_cbranch_execz .LBB600_723
; %bb.718:
	s_movk_i32 s7, 0x80
	v_cmp_ne_u16_e32 vcc, s7, v2
	v_bfrev_b32_e32 v17, 1
	s_and_saveexec_b64 s[8:9], vcc
	s_cbranch_execz .LBB600_722
; %bb.719:
	s_movk_i32 s7, 0x7f
	v_and_b32_e32 v10, 0x7f, v2
	v_cmp_ne_u32_e32 vcc, s7, v10
	v_mov_b32_e32 v17, 0x7f800001
	s_and_saveexec_b64 s[10:11], vcc
	s_cbranch_execz .LBB600_721
; %bb.720:
	v_and_b32_e32 v17, 7, v2
	v_ffbh_u32_e32 v18, v17
	v_min_u32_e32 v21, 32, v18
	v_subrev_u32_e32 v18, 28, v21
	v_lshlrev_b64 v[18:19], v18, v[2:3]
	v_lshrrev_b32_e32 v20, 3, v10
	v_sub_u32_e32 v2, 29, v21
	v_and_b32_e32 v18, 7, v18
	v_cmp_gt_u32_e32 vcc, 8, v10
	v_cndmask_b32_e32 v2, v20, v2, vcc
	v_cndmask_b32_e32 v10, v17, v18, vcc
	v_lshlrev_b32_e32 v17, 16, v3
	v_bfrev_b32_e32 v18, 60
	v_lshlrev_b32_e32 v10, 20, v10
	v_and_b32_e32 v17, 0x80000000, v17
	v_lshl_add_u32 v2, v2, 23, v18
	v_or3_b32 v17, v17, v2, v10
.LBB600_721:
	s_or_b64 exec, exec, s[10:11]
.LBB600_722:
	s_or_b64 exec, exec, s[8:9]
.LBB600_723:
	s_or_b64 exec, exec, s[2:3]
	s_movk_i32 s2, 0xff
	v_and_b32_sdwa v10, v3, s2 dst_sel:DWORD dst_unused:UNUSED_PAD src0_sel:WORD_1 src1_sel:DWORD
	v_lshrrev_b32_e32 v2, 16, v3
	v_cmp_ne_u16_e32 vcc, 0, v10
	s_and_saveexec_b64 s[2:3], vcc
	s_cbranch_execz .LBB600_729
; %bb.724:
	s_movk_i32 s7, 0x80
	v_cmp_ne_u16_e32 vcc, s7, v10
	v_bfrev_b32_e32 v16, 1
	s_and_saveexec_b64 s[8:9], vcc
	s_cbranch_execz .LBB600_728
; %bb.725:
	v_bfe_u32 v10, v3, 16, 7
	s_movk_i32 s7, 0x7f
	v_cmp_ne_u32_e32 vcc, s7, v10
	v_mov_b32_e32 v16, 0x7f800001
	s_and_saveexec_b64 s[10:11], vcc
	s_cbranch_execz .LBB600_727
; %bb.726:
	v_and_b32_e32 v16, 7, v2
	v_ffbh_u32_e32 v18, v16
	v_min_u32_e32 v21, 32, v18
	v_subrev_u32_e32 v18, 28, v21
	v_lshlrev_b64 v[18:19], v18, v[2:3]
	v_and_b32_e32 v18, 7, v18
	v_cmp_gt_u32_e32 vcc, 8, v10
	v_lshrrev_b32_e32 v20, 3, v10
	v_sub_u32_e32 v2, 29, v21
	v_cndmask_b32_e32 v10, v16, v18, vcc
	v_mov_b32_e32 v16, 24
	v_cndmask_b32_e32 v2, v20, v2, vcc
	v_lshlrev_b32_sdwa v16, v16, v3 dst_sel:DWORD dst_unused:UNUSED_PAD src0_sel:DWORD src1_sel:WORD_1
	v_bfrev_b32_e32 v18, 60
	v_lshlrev_b32_e32 v10, 20, v10
	v_and_b32_e32 v16, 0x80000000, v16
	v_lshl_add_u32 v2, v2, 23, v18
	v_or3_b32 v16, v16, v2, v10
.LBB600_727:
	s_or_b64 exec, exec, s[10:11]
.LBB600_728:
	s_or_b64 exec, exec, s[8:9]
.LBB600_729:
	s_or_b64 exec, exec, s[2:3]
	s_mov_b32 s2, 0xffffff
	v_cmp_lt_u32_e32 vcc, s2, v3
	v_mov_b32_e32 v10, 0
	v_mov_b32_e32 v18, 0
	s_and_saveexec_b64 s[2:3], vcc
	s_cbranch_execz .LBB600_735
; %bb.730:
	v_lshrrev_b32_e32 v2, 24, v3
	s_movk_i32 s7, 0x80
	v_cmp_ne_u32_e32 vcc, s7, v2
	v_bfrev_b32_e32 v18, 1
	s_and_saveexec_b64 s[8:9], vcc
	s_cbranch_execz .LBB600_734
; %bb.731:
	v_bfe_u32 v3, v3, 24, 7
	s_movk_i32 s7, 0x7f
	v_cmp_ne_u32_e32 vcc, s7, v3
	v_mov_b32_e32 v18, 0x7f800001
	s_and_saveexec_b64 s[10:11], vcc
	s_cbranch_execz .LBB600_733
; %bb.732:
	v_and_b32_e32 v20, 7, v2
	v_ffbh_u32_e32 v18, v20
	v_min_u32_e32 v23, 32, v18
	v_subrev_u32_e32 v18, 28, v23
	v_lshlrev_b64 v[18:19], v18, v[2:3]
	v_lshrrev_b32_e32 v21, 3, v3
	v_sub_u32_e32 v19, 29, v23
	v_and_b32_e32 v18, 7, v18
	v_cmp_gt_u32_e32 vcc, 8, v3
	v_cndmask_b32_e32 v3, v21, v19, vcc
	v_cndmask_b32_e32 v18, v20, v18, vcc
	v_lshlrev_b32_e32 v2, 24, v2
	v_bfrev_b32_e32 v19, 60
	v_lshlrev_b32_e32 v18, 20, v18
	v_and_b32_e32 v2, 0x80000000, v2
	v_lshl_add_u32 v3, v3, 23, v19
	v_or3_b32 v18, v2, v3, v18
.LBB600_733:
	s_or_b64 exec, exec, s[10:11]
.LBB600_734:
	s_or_b64 exec, exec, s[8:9]
.LBB600_735:
	s_or_b64 exec, exec, s[2:3]
	v_cvt_pkrtz_f16_f32 v2, v15, v12
	v_cvt_pkrtz_f16_f32 v3, v11, v14
	ds_read_b128 v[24:27], v22 offset:6144
	v_cmp_ne_u16_sdwa s[8:9], v4, v10 src0_sel:BYTE_0 src1_sel:DWORD
	s_waitcnt lgkmcnt(0)
	v_mfma_f32_16x16x16f16 v[6:9], v[2:3], v[24:25], v[6:9]
	v_cvt_pkrtz_f16_f32 v2, v13, v17
	v_cvt_pkrtz_f16_f32 v3, v16, v18
	s_nop 1
	v_mfma_f32_16x16x16f16 v[6:9], v[2:3], v[26:27], v[6:9]
	s_and_saveexec_b64 s[2:3], s[8:9]
	s_cbranch_execz .LBB600_741
; %bb.736:
	s_movk_i32 s7, 0x80
	v_cmp_ne_u16_sdwa s[10:11], v4, s7 src0_sel:BYTE_0 src1_sel:DWORD
	v_bfrev_b32_e32 v10, 1
	s_and_saveexec_b64 s[8:9], s[10:11]
	s_cbranch_execz .LBB600_740
; %bb.737:
	s_movk_i32 s7, 0x7f
	v_and_b32_e32 v2, 0x7f, v4
	v_cmp_ne_u32_e32 vcc, s7, v2
	v_mov_b32_e32 v10, 0x7f800001
	s_and_saveexec_b64 s[10:11], vcc
	s_cbranch_execz .LBB600_739
; %bb.738:
	v_and_b32_e32 v3, 7, v4
	v_ffbh_u32_e32 v10, v3
	v_min_u32_e32 v13, 32, v10
	v_subrev_u32_e32 v10, 28, v13
	v_lshlrev_b64 v[10:11], v10, v[4:5]
	v_lshrrev_b32_e32 v12, 3, v2
	v_sub_u32_e32 v11, 29, v13
	v_and_b32_e32 v10, 7, v10
	v_cmp_gt_u32_e32 vcc, 8, v2
	v_cndmask_b32_e32 v2, v12, v11, vcc
	v_cndmask_b32_e32 v3, v3, v10, vcc
	v_lshlrev_b32_e32 v10, 24, v4
	v_bfrev_b32_e32 v11, 60
	v_lshlrev_b32_e32 v3, 20, v3
	v_and_b32_e32 v10, 0x80000000, v10
	v_lshl_add_u32 v2, v2, 23, v11
	v_or3_b32 v10, v10, v2, v3
.LBB600_739:
	s_or_b64 exec, exec, s[10:11]
.LBB600_740:
	s_or_b64 exec, exec, s[8:9]
.LBB600_741:
	s_or_b64 exec, exec, s[2:3]
	v_lshrrev_b16_e32 v2, 8, v4
	v_cmp_ne_u16_e32 vcc, 0, v2
	v_mov_b32_e32 v3, 0
	v_mov_b32_e32 v11, 0
	s_and_saveexec_b64 s[2:3], vcc
	s_cbranch_execz .LBB600_747
; %bb.742:
	s_movk_i32 s7, 0x80
	v_cmp_ne_u16_e32 vcc, s7, v2
	v_bfrev_b32_e32 v11, 1
	s_and_saveexec_b64 s[8:9], vcc
	s_cbranch_execz .LBB600_746
; %bb.743:
	s_movk_i32 s7, 0x7f
	v_and_b32_e32 v12, 0x7f, v2
	v_cmp_ne_u32_e32 vcc, s7, v12
	v_mov_b32_e32 v11, 0x7f800001
	s_and_saveexec_b64 s[10:11], vcc
	s_cbranch_execz .LBB600_745
; %bb.744:
	v_and_b32_e32 v11, 7, v2
	v_ffbh_u32_e32 v14, v11
	v_min_u32_e32 v16, 32, v14
	v_subrev_u32_e32 v14, 28, v16
	v_lshlrev_b64 v[14:15], v14, v[2:3]
	v_lshrrev_b32_e32 v13, 3, v12
	v_sub_u32_e32 v2, 29, v16
	v_and_b32_e32 v14, 7, v14
	v_cmp_gt_u32_e32 vcc, 8, v12
	v_cndmask_b32_e32 v2, v13, v2, vcc
	v_cndmask_b32_e32 v11, v11, v14, vcc
	v_lshlrev_b32_e32 v12, 16, v4
	v_bfrev_b32_e32 v13, 60
	v_lshlrev_b32_e32 v11, 20, v11
	v_and_b32_e32 v12, 0x80000000, v12
	v_lshl_add_u32 v2, v2, 23, v13
	v_or3_b32 v11, v12, v2, v11
.LBB600_745:
	s_or_b64 exec, exec, s[10:11]
.LBB600_746:
	s_or_b64 exec, exec, s[8:9]
.LBB600_747:
	s_or_b64 exec, exec, s[2:3]
	s_movk_i32 s2, 0xff
	v_and_b32_sdwa v12, v4, s2 dst_sel:DWORD dst_unused:UNUSED_PAD src0_sel:WORD_1 src1_sel:DWORD
	v_lshrrev_b32_e32 v2, 16, v4
	v_cmp_ne_u16_e32 vcc, 0, v12
	s_and_saveexec_b64 s[2:3], vcc
	s_cbranch_execz .LBB600_753
; %bb.748:
	s_movk_i32 s7, 0x80
	v_cmp_ne_u16_e32 vcc, s7, v12
	v_bfrev_b32_e32 v3, 1
	s_and_saveexec_b64 s[8:9], vcc
	s_cbranch_execz .LBB600_752
; %bb.749:
	v_bfe_u32 v12, v4, 16, 7
	s_movk_i32 s7, 0x7f
	v_cmp_ne_u32_e32 vcc, s7, v12
	v_mov_b32_e32 v3, 0x7f800001
	s_and_saveexec_b64 s[10:11], vcc
	s_cbranch_execz .LBB600_751
; %bb.750:
	v_and_b32_e32 v13, 7, v2
	v_ffbh_u32_e32 v3, v13
	v_min_u32_e32 v15, 32, v3
	v_subrev_u32_e32 v3, 28, v15
	v_lshlrev_b64 v[2:3], v3, v[2:3]
	v_lshrrev_b32_e32 v14, 3, v12
	v_sub_u32_e32 v3, 29, v15
	v_and_b32_e32 v2, 7, v2
	v_cmp_gt_u32_e32 vcc, 8, v12
	v_mov_b32_e32 v12, 24
	v_cndmask_b32_e32 v3, v14, v3, vcc
	v_cndmask_b32_e32 v2, v13, v2, vcc
	v_lshlrev_b32_sdwa v12, v12, v4 dst_sel:DWORD dst_unused:UNUSED_PAD src0_sel:DWORD src1_sel:WORD_1
	v_bfrev_b32_e32 v13, 60
	v_lshlrev_b32_e32 v2, 20, v2
	v_and_b32_e32 v12, 0x80000000, v12
	v_lshl_add_u32 v3, v3, 23, v13
	v_or3_b32 v3, v12, v3, v2
.LBB600_751:
	s_or_b64 exec, exec, s[10:11]
.LBB600_752:
	s_or_b64 exec, exec, s[8:9]
.LBB600_753:
	s_or_b64 exec, exec, s[2:3]
	s_mov_b32 s2, 0xffffff
	v_cmp_lt_u32_e32 vcc, s2, v4
	v_mov_b32_e32 v12, 0
	v_mov_b32_e32 v13, 0
	s_and_saveexec_b64 s[2:3], vcc
	s_cbranch_execz .LBB600_759
; %bb.754:
	v_lshrrev_b32_e32 v2, 24, v4
	s_movk_i32 s7, 0x80
	v_cmp_ne_u32_e32 vcc, s7, v2
	v_bfrev_b32_e32 v13, 1
	s_and_saveexec_b64 s[8:9], vcc
	s_cbranch_execz .LBB600_758
; %bb.755:
	v_bfe_u32 v4, v4, 24, 7
	s_movk_i32 s7, 0x7f
	v_cmp_ne_u32_e32 vcc, s7, v4
	v_mov_b32_e32 v13, 0x7f800001
	s_and_saveexec_b64 s[10:11], vcc
	s_cbranch_execz .LBB600_757
; %bb.756:
	v_and_b32_e32 v13, 7, v2
	v_ffbh_u32_e32 v14, v13
	v_min_u32_e32 v17, 32, v14
	v_subrev_u32_e32 v14, 28, v17
	v_lshlrev_b64 v[14:15], v14, v[2:3]
	v_lshrrev_b32_e32 v16, 3, v4
	v_sub_u32_e32 v15, 29, v17
	v_and_b32_e32 v14, 7, v14
	v_cmp_gt_u32_e32 vcc, 8, v4
	v_cndmask_b32_e32 v4, v16, v15, vcc
	v_cndmask_b32_e32 v13, v13, v14, vcc
	v_lshlrev_b32_e32 v2, 24, v2
	v_bfrev_b32_e32 v14, 60
	v_lshlrev_b32_e32 v13, 20, v13
	v_and_b32_e32 v2, 0x80000000, v2
	v_lshl_add_u32 v4, v4, 23, v14
	v_or3_b32 v13, v2, v4, v13
.LBB600_757:
	s_or_b64 exec, exec, s[10:11]
.LBB600_758:
	s_or_b64 exec, exec, s[8:9]
.LBB600_759:
	s_or_b64 exec, exec, s[2:3]
	v_cmp_ne_u16_sdwa s[8:9], v5, v12 src0_sel:BYTE_0 src1_sel:DWORD
	s_and_saveexec_b64 s[2:3], s[8:9]
	s_cbranch_execz .LBB600_765
; %bb.760:
	s_movk_i32 s7, 0x80
	v_cmp_ne_u16_sdwa s[10:11], v5, s7 src0_sel:BYTE_0 src1_sel:DWORD
	v_bfrev_b32_e32 v12, 1
	s_and_saveexec_b64 s[8:9], s[10:11]
	s_cbranch_execz .LBB600_764
; %bb.761:
	s_movk_i32 s7, 0x7f
	v_and_b32_e32 v2, 0x7f, v5
	v_cmp_ne_u32_e32 vcc, s7, v2
	v_mov_b32_e32 v12, 0x7f800001
	s_and_saveexec_b64 s[10:11], vcc
	s_cbranch_execz .LBB600_763
; %bb.762:
	v_and_b32_e32 v12, 7, v5
	v_ffbh_u32_e32 v14, v12
	v_min_u32_e32 v17, 32, v14
	v_mov_b32_e32 v4, v5
	v_subrev_u32_e32 v14, 28, v17
	v_lshlrev_b64 v[14:15], v14, v[4:5]
	v_lshrrev_b32_e32 v16, 3, v2
	v_sub_u32_e32 v4, 29, v17
	v_and_b32_e32 v14, 7, v14
	v_cmp_gt_u32_e32 vcc, 8, v2
	v_cndmask_b32_e32 v2, v16, v4, vcc
	v_cndmask_b32_e32 v4, v12, v14, vcc
	v_lshlrev_b32_e32 v12, 24, v5
	v_bfrev_b32_e32 v14, 60
	v_lshlrev_b32_e32 v4, 20, v4
	v_and_b32_e32 v12, 0x80000000, v12
	v_lshl_add_u32 v2, v2, 23, v14
	v_or3_b32 v12, v12, v2, v4
.LBB600_763:
	s_or_b64 exec, exec, s[10:11]
.LBB600_764:
	s_or_b64 exec, exec, s[8:9]
.LBB600_765:
	s_or_b64 exec, exec, s[2:3]
	v_lshrrev_b16_e32 v2, 8, v5
	v_cmp_ne_u16_e32 vcc, 0, v2
	v_mov_b32_e32 v4, 0
	v_mov_b32_e32 v14, 0
	s_and_saveexec_b64 s[2:3], vcc
	s_cbranch_execz .LBB600_771
; %bb.766:
	s_movk_i32 s7, 0x80
	v_cmp_ne_u16_e32 vcc, s7, v2
	v_bfrev_b32_e32 v14, 1
	s_and_saveexec_b64 s[8:9], vcc
	s_cbranch_execz .LBB600_770
; %bb.767:
	s_movk_i32 s7, 0x7f
	v_and_b32_e32 v15, 0x7f, v2
	v_cmp_ne_u32_e32 vcc, s7, v15
	v_mov_b32_e32 v14, 0x7f800001
	s_and_saveexec_b64 s[10:11], vcc
	s_cbranch_execz .LBB600_769
; %bb.768:
	v_and_b32_e32 v14, 7, v2
	v_ffbh_u32_e32 v16, v14
	v_min_u32_e32 v19, 32, v16
	v_subrev_u32_e32 v16, 28, v19
	v_lshlrev_b64 v[16:17], v16, v[2:3]
	v_lshrrev_b32_e32 v18, 3, v15
	v_sub_u32_e32 v2, 29, v19
	v_and_b32_e32 v16, 7, v16
	v_cmp_gt_u32_e32 vcc, 8, v15
	v_cndmask_b32_e32 v2, v18, v2, vcc
	v_cndmask_b32_e32 v14, v14, v16, vcc
	v_lshlrev_b32_e32 v15, 16, v5
	v_bfrev_b32_e32 v16, 60
	v_lshlrev_b32_e32 v14, 20, v14
	v_and_b32_e32 v15, 0x80000000, v15
	v_lshl_add_u32 v2, v2, 23, v16
	v_or3_b32 v14, v15, v2, v14
.LBB600_769:
	s_or_b64 exec, exec, s[10:11]
.LBB600_770:
	s_or_b64 exec, exec, s[8:9]
.LBB600_771:
	s_or_b64 exec, exec, s[2:3]
	s_movk_i32 s2, 0xff
	v_and_b32_sdwa v15, v5, s2 dst_sel:DWORD dst_unused:UNUSED_PAD src0_sel:WORD_1 src1_sel:DWORD
	v_lshrrev_b32_e32 v2, 16, v5
	v_cmp_ne_u16_e32 vcc, 0, v15
	s_and_saveexec_b64 s[2:3], vcc
	s_cbranch_execz .LBB600_777
; %bb.772:
	s_movk_i32 s7, 0x80
	v_cmp_ne_u16_e32 vcc, s7, v15
	v_bfrev_b32_e32 v4, 1
	s_and_saveexec_b64 s[8:9], vcc
	s_cbranch_execz .LBB600_776
; %bb.773:
	v_bfe_u32 v15, v5, 16, 7
	s_movk_i32 s7, 0x7f
	v_cmp_ne_u32_e32 vcc, s7, v15
	v_mov_b32_e32 v4, 0x7f800001
	s_and_saveexec_b64 s[10:11], vcc
	s_cbranch_execz .LBB600_775
; %bb.774:
	v_and_b32_e32 v4, 7, v2
	v_ffbh_u32_e32 v16, v4
	v_min_u32_e32 v19, 32, v16
	v_subrev_u32_e32 v16, 28, v19
	v_lshlrev_b64 v[16:17], v16, v[2:3]
	v_lshrrev_b32_e32 v18, 3, v15
	v_sub_u32_e32 v2, 29, v19
	v_and_b32_e32 v16, 7, v16
	v_cmp_gt_u32_e32 vcc, 8, v15
	v_mov_b32_e32 v15, 24
	v_cndmask_b32_e32 v2, v18, v2, vcc
	v_cndmask_b32_e32 v4, v4, v16, vcc
	v_lshlrev_b32_sdwa v15, v15, v5 dst_sel:DWORD dst_unused:UNUSED_PAD src0_sel:DWORD src1_sel:WORD_1
	v_bfrev_b32_e32 v16, 60
	v_lshlrev_b32_e32 v4, 20, v4
	v_and_b32_e32 v15, 0x80000000, v15
	v_lshl_add_u32 v2, v2, 23, v16
	v_or3_b32 v4, v15, v2, v4
.LBB600_775:
	s_or_b64 exec, exec, s[10:11]
.LBB600_776:
	s_or_b64 exec, exec, s[8:9]
.LBB600_777:
	s_or_b64 exec, exec, s[2:3]
	s_mov_b32 s2, 0xffffff
	v_cmp_lt_u32_e32 vcc, s2, v5
	v_mov_b32_e32 v15, 0
	s_and_saveexec_b64 s[2:3], vcc
	s_cbranch_execz .LBB600_783
; %bb.778:
	v_lshrrev_b32_e32 v2, 24, v5
	s_movk_i32 s7, 0x80
	v_cmp_ne_u32_e32 vcc, s7, v2
	v_bfrev_b32_e32 v15, 1
	s_and_saveexec_b64 s[8:9], vcc
	s_cbranch_execz .LBB600_782
; %bb.779:
	v_bfe_u32 v5, v5, 24, 7
	s_movk_i32 s7, 0x7f
	v_cmp_ne_u32_e32 vcc, s7, v5
	v_mov_b32_e32 v15, 0x7f800001
	s_and_saveexec_b64 s[10:11], vcc
	s_cbranch_execz .LBB600_781
; %bb.780:
	v_and_b32_e32 v15, 7, v2
	v_ffbh_u32_e32 v16, v15
	v_min_u32_e32 v19, 32, v16
	v_subrev_u32_e32 v16, 28, v19
	v_lshlrev_b64 v[16:17], v16, v[2:3]
	v_lshrrev_b32_e32 v18, 3, v5
	v_sub_u32_e32 v17, 29, v19
	v_and_b32_e32 v16, 7, v16
	v_cmp_gt_u32_e32 vcc, 8, v5
	v_cndmask_b32_e32 v5, v18, v17, vcc
	v_cndmask_b32_e32 v15, v15, v16, vcc
	v_lshlrev_b32_e32 v2, 24, v2
	v_bfrev_b32_e32 v16, 60
	v_lshlrev_b32_e32 v15, 20, v15
	v_and_b32_e32 v2, 0x80000000, v2
	v_lshl_add_u32 v5, v5, 23, v16
	v_or3_b32 v15, v2, v5, v15
.LBB600_781:
	s_or_b64 exec, exec, s[10:11]
.LBB600_782:
	s_or_b64 exec, exec, s[8:9]
.LBB600_783:
	s_or_b64 exec, exec, s[2:3]
	v_cvt_pkrtz_f16_f32 v2, v10, v11
	v_cvt_pkrtz_f16_f32 v3, v3, v13
	ds_read_b128 v[16:19], v22 offset:6160
	s_load_dword s2, s[42:43], 0x0
	v_cmp_gt_u32_e32 vcc, 64, v0
	s_waitcnt lgkmcnt(0)
	v_mfma_f32_16x16x16f16 v[6:9], v[2:3], v[16:17], v[6:9]
	v_cvt_pkrtz_f16_f32 v2, v12, v14
	v_cvt_pkrtz_f16_f32 v3, v4, v15
	s_and_b64 s[0:1], vcc, s[0:1]
	s_barrier
	v_mfma_f32_16x16x16f16 v[2:5], v[2:3], v[18:19], v[6:9]
	s_nop 7
	s_nop 2
	v_pk_mul_f32 v[4:5], v[4:5], s[2:3] op_sel_hi:[1,0]
	v_pk_mul_f32 v[2:3], v[2:3], s[2:3] op_sel_hi:[1,0]
	v_cvt_f16_f32_e32 v2, v2
	v_cvt_f16_f32_e32 v3, v3
	;; [unrolled: 1-line block ×4, first 2 shown]
	v_pack_b32_f16 v2, v2, v3
	v_pack_b32_f16 v3, v4, v5
	ds_write_b64 v28, v[2:3]
	s_waitcnt lgkmcnt(0)
	s_barrier
	s_and_saveexec_b64 s[2:3], s[0:1]
	s_cbranch_execz .LBB600_786
; %bb.784:
	s_load_dwordx2 s[2:3], s[4:5], 0x68
	s_lshl_b32 s0, s44, 6
	s_mul_i32 s1, s12, s6
	s_mul_hi_u32 s7, s1, s0
	s_mul_i32 s6, s1, s0
	s_lshl_b64 s[6:7], s[6:7], 1
	s_waitcnt lgkmcnt(0)
	s_add_u32 s1, s2, s6
	v_lshlrev_b32_e32 v0, 10, v0
	s_mov_b32 s5, 0
	s_addc_u32 s6, s3, s7
	s_lshl_b32 s4, s24, 6
	v_and_b32_e32 v0, 0x1800, v0
	v_lshlrev_b32_e32 v2, 5, v1
	v_and_b32_e32 v3, 16, v47
	s_lshl_b64 s[2:3], s[4:5], 1
	v_or3_b32 v0, v0, v2, v3
	s_add_u32 s1, s1, s2
	s_addc_u32 s2, s6, s3
	ds_read_b128 v[4:7], v0 offset:128
	ds_read_b128 v[8:11], v0
	v_add_u32_e32 v14, s25, v1
	v_mov_b32_e32 v3, s2
	v_add_co_u32_e32 v2, vcc, s1, v46
	v_mad_u64_u32 v[12:13], s[2:3], v14, s0, 0
	v_addc_co_u32_e32 v3, vcc, 0, v3, vcc
	v_lshlrev_b64 v[12:13], 1, v[12:13]
	v_add_co_u32_e32 v12, vcc, v2, v12
	v_addc_co_u32_e32 v13, vcc, v3, v13, vcc
	s_waitcnt lgkmcnt(0)
	global_store_dwordx4 v[12:13], v[8:11], off
	s_nop 0
	v_add_u32_e32 v8, 4, v14
	v_mad_u64_u32 v[8:9], s[2:3], v8, s0, 0
	v_lshlrev_b64 v[8:9], 1, v[8:9]
	v_add_co_u32_e32 v8, vcc, v2, v8
	v_addc_co_u32_e32 v9, vcc, v3, v9, vcc
	v_cmp_ne_u32_e32 vcc, 3, v1
	global_store_dwordx4 v[8:9], v[4:7], off
	s_and_b64 exec, exec, vcc
	s_cbranch_execz .LBB600_786
; %bb.785:
	ds_read_b128 v[4:7], v0 offset:256
	v_add3_u32 v0, s25, v1, 8
	v_mad_u64_u32 v[0:1], s[0:1], v0, s0, 0
	v_lshlrev_b64 v[0:1], 1, v[0:1]
	v_add_co_u32_e32 v0, vcc, v2, v0
	v_addc_co_u32_e32 v1, vcc, v3, v1, vcc
	s_waitcnt lgkmcnt(0)
	global_store_dwordx4 v[0:1], v[4:7], off
.LBB600_786:
	s_endpgm
	.section	.rodata,"a",@progbits
	.p2align	6, 0x0
	.amdhsa_kernel _Z39paged_attention_ll4mi_QKV_mfma16_kernelIDF16_hLN4vllm18Fp8KVCacheDataTypeE1EDF16_Li32ELi64ELi256ELb0ELi11EL8MFMAType0EEvPKT_PKT0_S8_ifPKiSA_SA_iPKfiiiPfSD_PS3_PT2_iSC_SC_
		.amdhsa_group_segment_fixed_size 8192
		.amdhsa_private_segment_fixed_size 0
		.amdhsa_kernarg_size 400
		.amdhsa_user_sgpr_count 6
		.amdhsa_user_sgpr_private_segment_buffer 1
		.amdhsa_user_sgpr_dispatch_ptr 0
		.amdhsa_user_sgpr_queue_ptr 0
		.amdhsa_user_sgpr_kernarg_segment_ptr 1
		.amdhsa_user_sgpr_dispatch_id 0
		.amdhsa_user_sgpr_flat_scratch_init 0
		.amdhsa_user_sgpr_kernarg_preload_length 0
		.amdhsa_user_sgpr_kernarg_preload_offset 0
		.amdhsa_user_sgpr_private_segment_size 0
		.amdhsa_uses_dynamic_stack 0
		.amdhsa_system_sgpr_private_segment_wavefront_offset 0
		.amdhsa_system_sgpr_workgroup_id_x 1
		.amdhsa_system_sgpr_workgroup_id_y 1
		.amdhsa_system_sgpr_workgroup_id_z 1
		.amdhsa_system_sgpr_workgroup_info 0
		.amdhsa_system_vgpr_workitem_id 0
		.amdhsa_next_free_vgpr 62
		.amdhsa_next_free_sgpr 47
		.amdhsa_accum_offset 64
		.amdhsa_reserve_vcc 1
		.amdhsa_reserve_flat_scratch 0
		.amdhsa_float_round_mode_32 0
		.amdhsa_float_round_mode_16_64 0
		.amdhsa_float_denorm_mode_32 3
		.amdhsa_float_denorm_mode_16_64 3
		.amdhsa_dx10_clamp 1
		.amdhsa_ieee_mode 1
		.amdhsa_fp16_overflow 0
		.amdhsa_tg_split 0
		.amdhsa_exception_fp_ieee_invalid_op 0
		.amdhsa_exception_fp_denorm_src 0
		.amdhsa_exception_fp_ieee_div_zero 0
		.amdhsa_exception_fp_ieee_overflow 0
		.amdhsa_exception_fp_ieee_underflow 0
		.amdhsa_exception_fp_ieee_inexact 0
		.amdhsa_exception_int_div_zero 0
	.end_amdhsa_kernel
	.section	.text._Z39paged_attention_ll4mi_QKV_mfma16_kernelIDF16_hLN4vllm18Fp8KVCacheDataTypeE1EDF16_Li32ELi64ELi256ELb0ELi11EL8MFMAType0EEvPKT_PKT0_S8_ifPKiSA_SA_iPKfiiiPfSD_PS3_PT2_iSC_SC_,"axG",@progbits,_Z39paged_attention_ll4mi_QKV_mfma16_kernelIDF16_hLN4vllm18Fp8KVCacheDataTypeE1EDF16_Li32ELi64ELi256ELb0ELi11EL8MFMAType0EEvPKT_PKT0_S8_ifPKiSA_SA_iPKfiiiPfSD_PS3_PT2_iSC_SC_,comdat
.Lfunc_end600:
	.size	_Z39paged_attention_ll4mi_QKV_mfma16_kernelIDF16_hLN4vllm18Fp8KVCacheDataTypeE1EDF16_Li32ELi64ELi256ELb0ELi11EL8MFMAType0EEvPKT_PKT0_S8_ifPKiSA_SA_iPKfiiiPfSD_PS3_PT2_iSC_SC_, .Lfunc_end600-_Z39paged_attention_ll4mi_QKV_mfma16_kernelIDF16_hLN4vllm18Fp8KVCacheDataTypeE1EDF16_Li32ELi64ELi256ELb0ELi11EL8MFMAType0EEvPKT_PKT0_S8_ifPKiSA_SA_iPKfiiiPfSD_PS3_PT2_iSC_SC_
                                        ; -- End function
	.section	.AMDGPU.csdata,"",@progbits
; Kernel info:
; codeLenInByte = 27048
; NumSgprs: 51
; NumVgprs: 62
; NumAgprs: 0
; TotalNumVgprs: 62
; ScratchSize: 0
; MemoryBound: 0
; FloatMode: 240
; IeeeMode: 1
; LDSByteSize: 8192 bytes/workgroup (compile time only)
; SGPRBlocks: 6
; VGPRBlocks: 7
; NumSGPRsForWavesPerEU: 51
; NumVGPRsForWavesPerEU: 62
; AccumOffset: 64
; Occupancy: 8
; WaveLimiterHint : 1
; COMPUTE_PGM_RSRC2:SCRATCH_EN: 0
; COMPUTE_PGM_RSRC2:USER_SGPR: 6
; COMPUTE_PGM_RSRC2:TRAP_HANDLER: 0
; COMPUTE_PGM_RSRC2:TGID_X_EN: 1
; COMPUTE_PGM_RSRC2:TGID_Y_EN: 1
; COMPUTE_PGM_RSRC2:TGID_Z_EN: 1
; COMPUTE_PGM_RSRC2:TIDIG_COMP_CNT: 0
; COMPUTE_PGM_RSRC3_GFX90A:ACCUM_OFFSET: 15
; COMPUTE_PGM_RSRC3_GFX90A:TG_SPLIT: 0
	.section	.text._Z39paged_attention_ll4mi_QKV_mfma16_kernelIDF16_hLN4vllm18Fp8KVCacheDataTypeE1EDF16_Li32ELi64ELi256ELb0ELi12EL8MFMAType0EEvPKT_PKT0_S8_ifPKiSA_SA_iPKfiiiPfSD_PS3_PT2_iSC_SC_,"axG",@progbits,_Z39paged_attention_ll4mi_QKV_mfma16_kernelIDF16_hLN4vllm18Fp8KVCacheDataTypeE1EDF16_Li32ELi64ELi256ELb0ELi12EL8MFMAType0EEvPKT_PKT0_S8_ifPKiSA_SA_iPKfiiiPfSD_PS3_PT2_iSC_SC_,comdat
	.protected	_Z39paged_attention_ll4mi_QKV_mfma16_kernelIDF16_hLN4vllm18Fp8KVCacheDataTypeE1EDF16_Li32ELi64ELi256ELb0ELi12EL8MFMAType0EEvPKT_PKT0_S8_ifPKiSA_SA_iPKfiiiPfSD_PS3_PT2_iSC_SC_ ; -- Begin function _Z39paged_attention_ll4mi_QKV_mfma16_kernelIDF16_hLN4vllm18Fp8KVCacheDataTypeE1EDF16_Li32ELi64ELi256ELb0ELi12EL8MFMAType0EEvPKT_PKT0_S8_ifPKiSA_SA_iPKfiiiPfSD_PS3_PT2_iSC_SC_
	.globl	_Z39paged_attention_ll4mi_QKV_mfma16_kernelIDF16_hLN4vllm18Fp8KVCacheDataTypeE1EDF16_Li32ELi64ELi256ELb0ELi12EL8MFMAType0EEvPKT_PKT0_S8_ifPKiSA_SA_iPKfiiiPfSD_PS3_PT2_iSC_SC_
	.p2align	8
	.type	_Z39paged_attention_ll4mi_QKV_mfma16_kernelIDF16_hLN4vllm18Fp8KVCacheDataTypeE1EDF16_Li32ELi64ELi256ELb0ELi12EL8MFMAType0EEvPKT_PKT0_S8_ifPKiSA_SA_iPKfiiiPfSD_PS3_PT2_iSC_SC_,@function
_Z39paged_attention_ll4mi_QKV_mfma16_kernelIDF16_hLN4vllm18Fp8KVCacheDataTypeE1EDF16_Li32ELi64ELi256ELb0ELi12EL8MFMAType0EEvPKT_PKT0_S8_ifPKiSA_SA_iPKfiiiPfSD_PS3_PT2_iSC_SC_: ; @_Z39paged_attention_ll4mi_QKV_mfma16_kernelIDF16_hLN4vllm18Fp8KVCacheDataTypeE1EDF16_Li32ELi64ELi256ELb0ELi12EL8MFMAType0EEvPKT_PKT0_S8_ifPKiSA_SA_iPKfiiiPfSD_PS3_PT2_iSC_SC_
; %bb.0:
	s_load_dwordx2 s[0:1], s[4:5], 0x30
	s_mov_b32 s24, s7
	s_mov_b64 s[10:11], 0
	s_waitcnt lgkmcnt(0)
	s_cmp_lg_u64 s[0:1], 0
	s_cselect_b64 s[2:3], -1, 0
	s_and_b64 vcc, exec, s[2:3]
	s_cbranch_vccz .LBB601_7
; %bb.1:
	s_add_i32 s12, s6, 1
	s_mov_b32 s13, 0
	s_lshl_b64 s[14:15], s[12:13], 2
	s_add_u32 s14, s0, s14
	s_mov_b32 s7, s13
	s_addc_u32 s15, s1, s15
	s_lshl_b64 s[12:13], s[6:7], 2
	s_add_u32 s12, s0, s12
	s_addc_u32 s13, s1, s13
	s_load_dword s9, s[14:15], 0x0
	s_load_dword s16, s[12:13], 0x0
	s_waitcnt lgkmcnt(0)
	s_sub_i32 s9, s9, s16
	s_cmp_eq_u32 s9, 1
	s_cselect_b64 s[12:13], -1, 0
	s_andn2_b64 vcc, exec, s[10:11]
	s_cbranch_vccnz .LBB601_3
.LBB601_2:
	s_mov_b32 s7, 0
	s_mov_b64 s[12:13], -1
.LBB601_3:
	s_andn2_b64 vcc, exec, s[12:13]
	s_cbranch_vccnz .LBB601_785
; %bb.4:
	s_load_dwordx2 s[12:13], s[4:5], 0x28
	s_lshl_b64 s[10:11], s[6:7], 2
	s_waitcnt lgkmcnt(0)
	s_add_u32 s12, s12, s10
	s_addc_u32 s13, s13, s11
	s_load_dword s33, s[12:13], 0x0
	s_lshl_b32 s20, s24, 8
	s_waitcnt lgkmcnt(0)
	s_cmp_ge_i32 s20, s33
	s_cbranch_scc1 .LBB601_785
; %bb.5:
	s_add_i32 s14, s33, 31
	s_load_dwordx2 s[12:13], s[4:5], 0x20
	s_load_dword s9, s[4:5], 0x38
	s_ashr_i32 s15, s14, 31
	v_and_b32_e32 v1, 0xcf, v0
	s_lshr_b32 s15, s15, 27
	v_add_u32_e32 v1, s20, v1
	s_add_i32 s14, s14, s15
	v_ashrrev_i32_e32 v2, 31, v1
	s_ashr_i32 s22, s14, 5
	v_lshrrev_b32_e32 v4, 27, v2
	s_add_i32 s22, s22, -1
	v_add_u32_e32 v2, v1, v4
	s_waitcnt lgkmcnt(0)
	s_mul_i32 s14, s6, s9
	s_mov_b32 s15, 0
	v_ashrrev_i32_e32 v2, 5, v2
	v_mov_b32_e32 v5, s22
	v_cmp_gt_i32_e32 vcc, s33, v1
	s_lshl_b64 s[14:15], s[14:15], 2
	v_cndmask_b32_e32 v2, v5, v2, vcc
	s_add_u32 s9, s12, s14
	v_ashrrev_i32_e32 v3, 31, v2
	s_addc_u32 s21, s13, s15
	v_lshlrev_b64 v[2:3], 2, v[2:3]
	v_mov_b32_e32 v7, s21
	v_add_co_u32_e32 v6, vcc, s9, v2
	v_or_b32_e32 v2, 16, v1
	v_addc_co_u32_e32 v7, vcc, v7, v3, vcc
	v_add_u32_e32 v3, v2, v4
	v_ashrrev_i32_e32 v3, 5, v3
	v_cmp_gt_i32_e32 vcc, s33, v2
	v_cndmask_b32_e32 v2, v5, v3, vcc
	v_ashrrev_i32_e32 v3, 31, v2
	v_lshlrev_b64 v[2:3], 2, v[2:3]
	v_mov_b32_e32 v9, s21
	v_add_co_u32_e32 v8, vcc, s9, v2
	v_or_b32_e32 v2, 32, v1
	v_addc_co_u32_e32 v9, vcc, v9, v3, vcc
	v_add_u32_e32 v3, v2, v4
	v_ashrrev_i32_e32 v3, 5, v3
	v_cmp_gt_i32_e32 vcc, s33, v2
	v_cndmask_b32_e32 v2, v5, v3, vcc
	v_ashrrev_i32_e32 v3, 31, v2
	;; [unrolled: 10-line block ×3, first 2 shown]
	v_lshlrev_b64 v[2:3], 2, v[2:3]
	v_mov_b32_e32 v1, s21
	v_add_co_u32_e32 v12, vcc, s9, v2
	v_addc_co_u32_e32 v13, vcc, v1, v3, vcc
	global_load_dword v5, v[6:7], off
	global_load_dword v4, v[8:9], off
	;; [unrolled: 1-line block ×4, first 2 shown]
	s_load_dwordx4 s[12:15], s[4:5], 0x8
	s_andn2_b64 vcc, exec, s[2:3]
	s_cbranch_vccnz .LBB601_8
; %bb.6:
	s_add_u32 s0, s0, s10
	s_addc_u32 s1, s1, s11
	s_load_dword s10, s[0:1], 0x0
	s_branch .LBB601_9
.LBB601_7:
	s_mov_b64 s[12:13], 0
	s_branch .LBB601_2
.LBB601_8:
	s_mov_b32 s10, s6
.LBB601_9:
	s_load_dwordx4 s[16:19], s[4:5], 0x48
	v_and_b32_e32 v49, 15, v0
	s_movk_i32 s0, 0xc0
	v_lshlrev_b32_e32 v6, 3, v49
	v_cmp_gt_u32_e32 vcc, s0, v0
	v_cmp_gt_u32_e64 s[0:1], 8, v49
	v_lshrrev_b32_e32 v50, 6, v0
	v_bfe_u32 v1, v0, 4, 2
	s_mul_i32 s25, s8, 12
	s_and_b64 s[26:27], vcc, s[0:1]
	v_lshlrev_b32_e32 v46, 1, v6
	v_lshlrev_b32_e32 v47, 4, v0
	s_and_saveexec_b64 s[2:3], s[26:27]
	s_cbranch_execz .LBB601_11
; %bb.10:
	s_load_dwordx2 s[26:27], s[4:5], 0x0
	s_waitcnt lgkmcnt(0)
	s_ashr_i32 s11, s16, 31
	s_mul_hi_u32 s19, s10, s16
	s_mul_i32 s11, s10, s11
	v_lshl_or_b32 v10, v50, 2, v1
	s_add_i32 s11, s19, s11
	s_mul_i32 s10, s10, s16
	s_lshl_b64 s[10:11], s[10:11], 1
	v_add_lshl_u32 v6, v10, s25, 6
	s_add_u32 s10, s26, s10
	v_ashrrev_i32_e32 v7, 31, v6
	s_addc_u32 s11, s27, s11
	v_lshlrev_b64 v[6:7], 1, v[6:7]
	v_mov_b32_e32 v8, s11
	v_add_co_u32_e32 v6, vcc, s10, v6
	v_addc_co_u32_e32 v7, vcc, v8, v7, vcc
	v_add_co_u32_e32 v6, vcc, v6, v46
	v_addc_co_u32_e32 v7, vcc, 0, v7, vcc
	global_load_dwordx4 v[6:9], v[6:7], off
	v_lshlrev_b32_e32 v12, 8, v49
	v_lshlrev_b32_e32 v10, 5, v10
	v_and_b32_e32 v11, 16, v47
	v_and_b32_e32 v12, 0xe00, v12
	v_or3_b32 v10, v12, v10, v11
	s_waitcnt vmcnt(0)
	ds_write_b128 v10, v[6:9]
.LBB601_11:
	s_or_b64 exec, exec, s[2:3]
	s_waitcnt lgkmcnt(0)
	s_mul_i32 s8, s8, s18
	s_add_u32 s2, s12, s8
	s_addc_u32 s3, s13, 0
	v_and_b32_e32 v12, 48, v0
	s_ashr_i32 s10, s20, 31
	v_or_b32_e32 v13, s20, v12
	s_lshr_b32 s10, s10, 27
	v_add_u32_e32 v6, s10, v13
	v_ashrrev_i32_e32 v6, 5, v6
	v_mov_b32_e32 v14, s22
	v_cmp_gt_i32_e32 vcc, s33, v13
	v_cndmask_b32_e32 v6, v14, v6, vcc
	v_ashrrev_i32_e32 v7, 31, v6
	v_lshlrev_b64 v[6:7], 2, v[6:7]
	v_mov_b32_e32 v8, s21
	v_add_co_u32_e32 v6, vcc, s9, v6
	v_addc_co_u32_e32 v7, vcc, v8, v7, vcc
	v_or_b32_e32 v8, 64, v13
	v_add_u32_e32 v9, s10, v8
	v_ashrrev_i32_e32 v9, 5, v9
	v_cmp_gt_i32_e32 vcc, s33, v8
	v_cndmask_b32_e32 v8, v14, v9, vcc
	v_ashrrev_i32_e32 v9, 31, v8
	v_lshlrev_b64 v[8:9], 2, v[8:9]
	v_mov_b32_e32 v10, s21
	v_add_co_u32_e32 v8, vcc, s9, v8
	v_addc_co_u32_e32 v9, vcc, v10, v9, vcc
	v_or_b32_e32 v10, 0x80, v13
	v_add_u32_e32 v11, s10, v10
	v_ashrrev_i32_e32 v11, 5, v11
	v_cmp_gt_i32_e32 vcc, s33, v10
	v_cndmask_b32_e32 v10, v14, v11, vcc
	v_ashrrev_i32_e32 v11, 31, v10
	v_lshlrev_b64 v[10:11], 2, v[10:11]
	v_mov_b32_e32 v15, s21
	v_add_co_u32_e32 v10, vcc, s9, v10
	s_load_dwordx2 s[44:45], s[4:5], 0x94
	s_load_dwordx4 s[40:43], s[4:5], 0x80
	s_waitcnt lgkmcnt(0)
	s_barrier
	v_addc_co_u32_e32 v11, vcc, v15, v11, vcc
	global_load_dword v15, v[6:7], off
	global_load_dword v16, v[8:9], off
	;; [unrolled: 1-line block ×3, first 2 shown]
	v_or_b32_e32 v6, 0xc0, v13
	v_add_u32_e32 v7, s10, v6
	v_ashrrev_i32_e32 v7, 5, v7
	v_cmp_gt_i32_e32 vcc, s33, v6
	v_cndmask_b32_e32 v6, v14, v7, vcc
	v_ashrrev_i32_e32 v7, 31, v6
	v_lshlrev_b64 v[6:7], 2, v[6:7]
	v_mov_b32_e32 v8, s21
	v_add_co_u32_e32 v6, vcc, s9, v6
	v_addc_co_u32_e32 v7, vcc, v8, v7, vcc
	global_load_dword v20, v[6:7], off
	v_pk_mov_b32 v[6:7], s[2:3], s[2:3] op_sel:[0,1]
	s_waitcnt vmcnt(7)
	v_mad_i64_i32 v[8:9], s[2:3], v5, s17, v[6:7]
	v_lshlrev_b32_e32 v11, 4, v49
	v_add_co_u32_e32 v5, vcc, v8, v11
	v_lshlrev_b32_e32 v10, 5, v12
	v_addc_co_u32_e32 v9, vcc, 0, v9, vcc
	v_add_co_u32_e32 v8, vcc, v5, v10
	v_addc_co_u32_e32 v9, vcc, 0, v9, vcc
	s_waitcnt vmcnt(6)
	v_mad_i64_i32 v[4:5], s[2:3], v4, s17, v[6:7]
	v_or_b32_e32 v12, 0x100, v11
	v_add_co_u32_e32 v4, vcc, v4, v12
	v_addc_co_u32_e32 v5, vcc, 0, v5, vcc
	v_add_co_u32_e32 v4, vcc, v4, v10
	v_addc_co_u32_e32 v5, vcc, 0, v5, vcc
	global_load_dwordx4 v[30:33], v[8:9], off
	global_load_dwordx4 v[38:41], v[4:5], off
	s_waitcnt vmcnt(7)
	v_mad_i64_i32 v[4:5], s[2:3], v3, s17, v[6:7]
	v_add_co_u32_e32 v3, vcc, v4, v11
	v_addc_co_u32_e32 v5, vcc, 0, v5, vcc
	v_add_co_u32_e32 v4, vcc, v3, v10
	v_addc_co_u32_e32 v5, vcc, 0, v5, vcc
	s_waitcnt vmcnt(6)
	v_mad_i64_i32 v[2:3], s[2:3], v2, s17, v[6:7]
	v_add_co_u32_e32 v2, vcc, v2, v12
	v_addc_co_u32_e32 v3, vcc, 0, v3, vcc
	v_add_co_u32_e32 v2, vcc, v2, v10
	s_add_u32 s2, s14, s8
	v_addc_co_u32_e32 v3, vcc, 0, v3, vcc
	global_load_dwordx4 v[34:37], v[4:5], off
	global_load_dwordx4 v[22:25], v[2:3], off
	s_addc_u32 s3, s15, 0
	v_and_b32_e32 v2, 16, v0
	v_mov_b32_e32 v3, s3
	v_add_co_u32_e32 v2, vcc, s2, v2
	v_lshlrev_b32_e32 v48, 5, v49
	v_addc_co_u32_e32 v3, vcc, 0, v3, vcc
	v_lshl_or_b32 v4, v50, 9, v48
	v_add_co_u32_e32 v2, vcc, v2, v4
	v_addc_co_u32_e32 v3, vcc, 0, v3, vcc
	v_cmp_gt_u32_e32 vcc, 12, v49
	v_mov_b32_e32 v43, 0
	s_movk_i32 s8, 0x80
	v_mov_b32_e32 v44, 0
	s_waitcnt vmcnt(7)
	v_mad_i64_i32 v[4:5], s[2:3], v15, s17, v[2:3]
	s_waitcnt vmcnt(6)
	v_mad_i64_i32 v[6:7], s[2:3], v16, s17, v[2:3]
	;; [unrolled: 2-line block ×3, first 2 shown]
	global_load_dwordx4 v[14:17], v[4:5], off
	global_load_dwordx4 v[10:13], v[6:7], off
	s_waitcnt vmcnt(6)
	v_mad_i64_i32 v[20:21], s[2:3], v20, s17, v[2:3]
	global_load_dwordx4 v[6:9], v[18:19], off
	global_load_dwordx4 v[2:5], v[20:21], off
	v_add_u32_e32 v18, -12, v49
	v_cndmask_b32_e32 v18, v18, v49, vcc
	v_lshlrev_b32_e32 v18, 5, v18
	v_lshl_add_u32 v18, v1, 9, v18
	ds_read_b128 v[26:29], v18
	ds_read_b128 v[18:21], v18 offset:16
	s_load_dword s12, s[40:41], 0x0
	s_waitcnt vmcnt(7)
	v_cmp_ne_u16_sdwa s[10:11], v30, v43 src0_sel:BYTE_0 src1_sel:DWORD
	s_and_saveexec_b64 s[2:3], s[10:11]
	s_cbranch_execz .LBB601_17
; %bb.12:
	v_cmp_ne_u16_sdwa s[10:11], v30, s8 src0_sel:BYTE_0 src1_sel:DWORD
	v_bfrev_b32_e32 v44, 1
	s_and_saveexec_b64 s[8:9], s[10:11]
	s_cbranch_execz .LBB601_16
; %bb.13:
	s_movk_i32 s10, 0x7f
	v_and_b32_e32 v42, 0x7f, v30
	v_cmp_ne_u32_e32 vcc, s10, v42
	v_mov_b32_e32 v44, 0x7f800001
	s_and_saveexec_b64 s[10:11], vcc
	s_cbranch_execz .LBB601_15
; %bb.14:
	v_and_b32_e32 v51, 7, v30
	v_ffbh_u32_e32 v44, v51
	v_min_u32_e32 v53, 32, v44
	v_subrev_u32_e32 v44, 28, v53
	v_lshlrev_b64 v[44:45], v44, v[30:31]
	v_lshrrev_b32_e32 v52, 3, v42
	v_sub_u32_e32 v45, 29, v53
	v_and_b32_e32 v44, 7, v44
	v_cmp_gt_u32_e32 vcc, 8, v42
	v_cndmask_b32_e32 v42, v52, v45, vcc
	v_cndmask_b32_e32 v44, v51, v44, vcc
	v_lshlrev_b32_e32 v45, 24, v30
	v_bfrev_b32_e32 v51, 60
	v_lshlrev_b32_e32 v44, 20, v44
	v_and_b32_e32 v45, 0x80000000, v45
	v_lshl_add_u32 v42, v42, 23, v51
	v_or3_b32 v44, v45, v42, v44
.LBB601_15:
	s_or_b64 exec, exec, s[10:11]
.LBB601_16:
	s_or_b64 exec, exec, s[8:9]
.LBB601_17:
	s_or_b64 exec, exec, s[2:3]
	v_lshrrev_b16_e32 v42, 8, v30
	v_cmp_ne_u16_e32 vcc, 0, v42
	s_and_saveexec_b64 s[2:3], vcc
	s_cbranch_execz .LBB601_23
; %bb.18:
	s_movk_i32 s8, 0x80
	v_cmp_ne_u16_e32 vcc, s8, v42
	v_bfrev_b32_e32 v43, 1
	s_and_saveexec_b64 s[8:9], vcc
	s_cbranch_execz .LBB601_22
; %bb.19:
	s_movk_i32 s10, 0x7f
	v_and_b32_e32 v45, 0x7f, v42
	v_cmp_ne_u32_e32 vcc, s10, v45
	v_mov_b32_e32 v43, 0x7f800001
	s_and_saveexec_b64 s[10:11], vcc
	s_cbranch_execz .LBB601_21
; %bb.20:
	v_and_b32_e32 v51, 7, v42
	v_ffbh_u32_e32 v43, v51
	v_min_u32_e32 v53, 32, v43
	v_subrev_u32_e32 v43, 28, v53
	v_lshlrev_b64 v[42:43], v43, v[42:43]
	v_lshrrev_b32_e32 v52, 3, v45
	v_sub_u32_e32 v43, 29, v53
	v_and_b32_e32 v42, 7, v42
	v_cmp_gt_u32_e32 vcc, 8, v45
	v_cndmask_b32_e32 v43, v52, v43, vcc
	v_cndmask_b32_e32 v42, v51, v42, vcc
	v_lshlrev_b32_e32 v45, 16, v30
	v_bfrev_b32_e32 v51, 60
	v_lshlrev_b32_e32 v42, 20, v42
	v_and_b32_e32 v45, 0x80000000, v45
	v_lshl_add_u32 v43, v43, 23, v51
	v_or3_b32 v43, v45, v43, v42
.LBB601_21:
	s_or_b64 exec, exec, s[10:11]
.LBB601_22:
	s_or_b64 exec, exec, s[8:9]
.LBB601_23:
	s_or_b64 exec, exec, s[2:3]
	s_movk_i32 s2, 0xff
	v_and_b32_sdwa v52, v30, s2 dst_sel:DWORD dst_unused:UNUSED_PAD src0_sel:WORD_1 src1_sel:DWORD
	v_lshrrev_b32_e32 v42, 16, v30
	v_cmp_ne_u16_e32 vcc, 0, v52
	v_mov_b32_e32 v45, 0
	v_mov_b32_e32 v51, 0
	s_and_saveexec_b64 s[2:3], vcc
	s_cbranch_execz .LBB601_29
; %bb.24:
	s_movk_i32 s8, 0x80
	v_cmp_ne_u16_e32 vcc, s8, v52
	v_bfrev_b32_e32 v51, 1
	s_and_saveexec_b64 s[8:9], vcc
	s_cbranch_execz .LBB601_28
; %bb.25:
	v_bfe_u32 v52, v30, 16, 7
	s_movk_i32 s10, 0x7f
	v_cmp_ne_u32_e32 vcc, s10, v52
	v_mov_b32_e32 v51, 0x7f800001
	s_and_saveexec_b64 s[10:11], vcc
	s_cbranch_execz .LBB601_27
; %bb.26:
	v_and_b32_e32 v51, 7, v42
	v_ffbh_u32_e32 v54, v51
	v_min_u32_e32 v56, 32, v54
	v_subrev_u32_e32 v54, 28, v56
	v_lshlrev_b64 v[54:55], v54, v[42:43]
	v_lshrrev_b32_e32 v53, 3, v52
	v_sub_u32_e32 v42, 29, v56
	v_and_b32_e32 v54, 7, v54
	v_cmp_gt_u32_e32 vcc, 8, v52
	v_mov_b32_e32 v52, 24
	v_cndmask_b32_e32 v42, v53, v42, vcc
	v_cndmask_b32_e32 v51, v51, v54, vcc
	v_lshlrev_b32_sdwa v52, v52, v30 dst_sel:DWORD dst_unused:UNUSED_PAD src0_sel:DWORD src1_sel:WORD_1
	v_bfrev_b32_e32 v53, 60
	v_lshlrev_b32_e32 v51, 20, v51
	v_and_b32_e32 v52, 0x80000000, v52
	v_lshl_add_u32 v42, v42, 23, v53
	v_or3_b32 v51, v52, v42, v51
.LBB601_27:
	s_or_b64 exec, exec, s[10:11]
.LBB601_28:
	s_or_b64 exec, exec, s[8:9]
.LBB601_29:
	s_or_b64 exec, exec, s[2:3]
	s_mov_b32 s2, 0xffffff
	v_cmp_lt_u32_e32 vcc, s2, v30
	s_and_saveexec_b64 s[2:3], vcc
	s_cbranch_execz .LBB601_35
; %bb.30:
	v_lshrrev_b32_e32 v42, 24, v30
	s_movk_i32 s8, 0x80
	v_cmp_ne_u32_e32 vcc, s8, v42
	v_bfrev_b32_e32 v45, 1
	s_and_saveexec_b64 s[8:9], vcc
	s_cbranch_execz .LBB601_34
; %bb.31:
	v_bfe_u32 v30, v30, 24, 7
	s_movk_i32 s10, 0x7f
	v_cmp_ne_u32_e32 vcc, s10, v30
	v_mov_b32_e32 v45, 0x7f800001
	s_and_saveexec_b64 s[10:11], vcc
	s_cbranch_execz .LBB601_33
; %bb.32:
	v_and_b32_e32 v45, 7, v42
	v_ffbh_u32_e32 v52, v45
	v_min_u32_e32 v55, 32, v52
	v_subrev_u32_e32 v52, 28, v55
	v_lshlrev_b64 v[52:53], v52, v[42:43]
	v_lshrrev_b32_e32 v54, 3, v30
	v_sub_u32_e32 v53, 29, v55
	v_and_b32_e32 v52, 7, v52
	v_cmp_gt_u32_e32 vcc, 8, v30
	v_cndmask_b32_e32 v30, v54, v53, vcc
	v_cndmask_b32_e32 v45, v45, v52, vcc
	v_lshlrev_b32_e32 v42, 24, v42
	v_bfrev_b32_e32 v52, 60
	v_lshlrev_b32_e32 v45, 20, v45
	v_and_b32_e32 v42, 0x80000000, v42
	v_lshl_add_u32 v30, v30, 23, v52
	v_or3_b32 v45, v42, v30, v45
.LBB601_33:
	s_or_b64 exec, exec, s[10:11]
.LBB601_34:
	s_or_b64 exec, exec, s[8:9]
.LBB601_35:
	s_or_b64 exec, exec, s[2:3]
	v_mov_b32_e32 v42, 0
	v_cmp_ne_u16_sdwa s[8:9], v31, v42 src0_sel:BYTE_0 src1_sel:DWORD
	v_mov_b32_e32 v52, 0
	s_and_saveexec_b64 s[2:3], s[8:9]
	s_cbranch_execz .LBB601_41
; %bb.36:
	s_movk_i32 s8, 0x80
	v_cmp_ne_u16_sdwa s[10:11], v31, s8 src0_sel:BYTE_0 src1_sel:DWORD
	v_bfrev_b32_e32 v52, 1
	s_and_saveexec_b64 s[8:9], s[10:11]
	s_cbranch_execz .LBB601_40
; %bb.37:
	s_movk_i32 s10, 0x7f
	v_and_b32_e32 v30, 0x7f, v31
	v_cmp_ne_u32_e32 vcc, s10, v30
	v_mov_b32_e32 v52, 0x7f800001
	s_and_saveexec_b64 s[10:11], vcc
	s_cbranch_execz .LBB601_39
; %bb.38:
	v_and_b32_e32 v54, 7, v31
	v_ffbh_u32_e32 v53, v54
	v_min_u32_e32 v56, 32, v53
	v_mov_b32_e32 v52, v31
	v_subrev_u32_e32 v53, 28, v56
	v_lshlrev_b64 v[52:53], v53, v[52:53]
	v_lshrrev_b32_e32 v55, 3, v30
	v_sub_u32_e32 v53, 29, v56
	v_and_b32_e32 v52, 7, v52
	v_cmp_gt_u32_e32 vcc, 8, v30
	v_cndmask_b32_e32 v30, v55, v53, vcc
	v_cndmask_b32_e32 v52, v54, v52, vcc
	v_lshlrev_b32_e32 v53, 24, v31
	v_bfrev_b32_e32 v54, 60
	v_lshlrev_b32_e32 v52, 20, v52
	v_and_b32_e32 v53, 0x80000000, v53
	v_lshl_add_u32 v30, v30, 23, v54
	v_or3_b32 v52, v53, v30, v52
.LBB601_39:
	s_or_b64 exec, exec, s[10:11]
.LBB601_40:
	s_or_b64 exec, exec, s[8:9]
.LBB601_41:
	s_or_b64 exec, exec, s[2:3]
	v_lshrrev_b16_e32 v30, 8, v31
	v_cmp_ne_u16_e32 vcc, 0, v30
	s_and_saveexec_b64 s[2:3], vcc
	s_cbranch_execz .LBB601_47
; %bb.42:
	s_movk_i32 s8, 0x80
	v_cmp_ne_u16_e32 vcc, s8, v30
	v_bfrev_b32_e32 v42, 1
	s_and_saveexec_b64 s[8:9], vcc
	s_cbranch_execz .LBB601_46
; %bb.43:
	s_movk_i32 s10, 0x7f
	v_and_b32_e32 v53, 0x7f, v30
	v_cmp_ne_u32_e32 vcc, s10, v53
	v_mov_b32_e32 v42, 0x7f800001
	s_and_saveexec_b64 s[10:11], vcc
	s_cbranch_execz .LBB601_45
; %bb.44:
	v_and_b32_e32 v42, 7, v30
	v_ffbh_u32_e32 v54, v42
	v_min_u32_e32 v57, 32, v54
	v_subrev_u32_e32 v54, 28, v57
	v_lshlrev_b64 v[54:55], v54, v[30:31]
	v_lshrrev_b32_e32 v56, 3, v53
	v_sub_u32_e32 v30, 29, v57
	v_and_b32_e32 v54, 7, v54
	v_cmp_gt_u32_e32 vcc, 8, v53
	v_cndmask_b32_e32 v30, v56, v30, vcc
	v_cndmask_b32_e32 v42, v42, v54, vcc
	v_lshlrev_b32_e32 v53, 16, v31
	v_bfrev_b32_e32 v54, 60
	v_lshlrev_b32_e32 v42, 20, v42
	v_and_b32_e32 v53, 0x80000000, v53
	v_lshl_add_u32 v30, v30, 23, v54
	v_or3_b32 v42, v53, v30, v42
.LBB601_45:
	s_or_b64 exec, exec, s[10:11]
.LBB601_46:
	s_or_b64 exec, exec, s[8:9]
.LBB601_47:
	s_or_b64 exec, exec, s[2:3]
	s_movk_i32 s2, 0xff
	v_and_b32_sdwa v55, v31, s2 dst_sel:DWORD dst_unused:UNUSED_PAD src0_sel:WORD_1 src1_sel:DWORD
	v_lshrrev_b32_e32 v30, 16, v31
	v_cmp_ne_u16_e32 vcc, 0, v55
	v_mov_b32_e32 v53, 0
	v_mov_b32_e32 v54, 0
	s_and_saveexec_b64 s[2:3], vcc
	s_cbranch_execz .LBB601_53
; %bb.48:
	s_movk_i32 s8, 0x80
	v_cmp_ne_u16_e32 vcc, s8, v55
	v_bfrev_b32_e32 v54, 1
	s_and_saveexec_b64 s[8:9], vcc
	s_cbranch_execz .LBB601_52
; %bb.49:
	v_bfe_u32 v55, v31, 16, 7
	s_movk_i32 s10, 0x7f
	v_cmp_ne_u32_e32 vcc, s10, v55
	v_mov_b32_e32 v54, 0x7f800001
	s_and_saveexec_b64 s[10:11], vcc
	s_cbranch_execz .LBB601_51
; %bb.50:
	v_and_b32_e32 v54, 7, v30
	v_ffbh_u32_e32 v56, v54
	v_min_u32_e32 v59, 32, v56
	v_subrev_u32_e32 v56, 28, v59
	v_lshlrev_b64 v[56:57], v56, v[30:31]
	v_lshrrev_b32_e32 v58, 3, v55
	v_sub_u32_e32 v30, 29, v59
	v_and_b32_e32 v56, 7, v56
	v_cmp_gt_u32_e32 vcc, 8, v55
	v_mov_b32_e32 v55, 24
	v_cndmask_b32_e32 v30, v58, v30, vcc
	v_cndmask_b32_e32 v54, v54, v56, vcc
	v_lshlrev_b32_sdwa v55, v55, v31 dst_sel:DWORD dst_unused:UNUSED_PAD src0_sel:DWORD src1_sel:WORD_1
	v_bfrev_b32_e32 v56, 60
	v_lshlrev_b32_e32 v54, 20, v54
	v_and_b32_e32 v55, 0x80000000, v55
	v_lshl_add_u32 v30, v30, 23, v56
	v_or3_b32 v54, v55, v30, v54
.LBB601_51:
	s_or_b64 exec, exec, s[10:11]
.LBB601_52:
	s_or_b64 exec, exec, s[8:9]
.LBB601_53:
	s_or_b64 exec, exec, s[2:3]
	s_mov_b32 s2, 0xffffff
	v_cmp_lt_u32_e32 vcc, s2, v31
	s_and_saveexec_b64 s[2:3], vcc
	s_cbranch_execz .LBB601_59
; %bb.54:
	v_lshrrev_b32_e32 v30, 24, v31
	s_movk_i32 s8, 0x80
	v_cmp_ne_u32_e32 vcc, s8, v30
	v_bfrev_b32_e32 v53, 1
	s_and_saveexec_b64 s[8:9], vcc
	s_cbranch_execz .LBB601_58
; %bb.55:
	v_bfe_u32 v31, v31, 24, 7
	s_movk_i32 s10, 0x7f
	v_cmp_ne_u32_e32 vcc, s10, v31
	v_mov_b32_e32 v53, 0x7f800001
	s_and_saveexec_b64 s[10:11], vcc
	s_cbranch_execz .LBB601_57
; %bb.56:
	v_and_b32_e32 v53, 7, v30
	v_ffbh_u32_e32 v56, v53
	v_min_u32_e32 v58, 32, v56
	v_subrev_u32_e32 v56, 28, v58
	v_lshlrev_b64 v[56:57], v56, v[30:31]
	v_lshrrev_b32_e32 v55, 3, v31
	v_sub_u32_e32 v57, 29, v58
	v_and_b32_e32 v56, 7, v56
	v_cmp_gt_u32_e32 vcc, 8, v31
	v_cndmask_b32_e32 v31, v55, v57, vcc
	v_cndmask_b32_e32 v53, v53, v56, vcc
	v_lshlrev_b32_e32 v30, 24, v30
	v_bfrev_b32_e32 v55, 60
	v_lshlrev_b32_e32 v53, 20, v53
	v_and_b32_e32 v30, 0x80000000, v30
	v_lshl_add_u32 v31, v31, 23, v55
	v_or3_b32 v53, v30, v31, v53
.LBB601_57:
	s_or_b64 exec, exec, s[10:11]
.LBB601_58:
	s_or_b64 exec, exec, s[8:9]
.LBB601_59:
	s_or_b64 exec, exec, s[2:3]
	v_cvt_pkrtz_f16_f32 v30, v44, v43
	v_cvt_pkrtz_f16_f32 v31, v51, v45
	;; [unrolled: 1-line block ×4, first 2 shown]
	v_mov_b32_e32 v52, 0
	s_waitcnt lgkmcnt(0)
	v_mfma_f32_16x16x16f16 v[56:59], v[30:31], v[26:27], 0
	v_mov_b32_e32 v31, 0
	v_cmp_ne_u16_sdwa s[8:9], v32, v31 src0_sel:BYTE_0 src1_sel:DWORD
	v_mfma_f32_16x16x16f16 v[42:45], v[42:43], v[28:29], v[56:59]
	s_and_saveexec_b64 s[2:3], s[8:9]
	s_cbranch_execz .LBB601_65
; %bb.60:
	s_movk_i32 s8, 0x80
	v_cmp_ne_u16_sdwa s[10:11], v32, s8 src0_sel:BYTE_0 src1_sel:DWORD
	v_bfrev_b32_e32 v52, 1
	s_and_saveexec_b64 s[8:9], s[10:11]
	s_cbranch_execz .LBB601_64
; %bb.61:
	s_movk_i32 s10, 0x7f
	v_and_b32_e32 v30, 0x7f, v32
	v_cmp_ne_u32_e32 vcc, s10, v30
	v_mov_b32_e32 v52, 0x7f800001
	s_and_saveexec_b64 s[10:11], vcc
	s_cbranch_execz .LBB601_63
; %bb.62:
	v_and_b32_e32 v51, 7, v32
	v_ffbh_u32_e32 v52, v51
	v_min_u32_e32 v55, 32, v52
	v_subrev_u32_e32 v52, 28, v55
	v_lshlrev_b64 v[52:53], v52, v[32:33]
	v_lshrrev_b32_e32 v54, 3, v30
	v_sub_u32_e32 v53, 29, v55
	v_and_b32_e32 v52, 7, v52
	v_cmp_gt_u32_e32 vcc, 8, v30
	v_cndmask_b32_e32 v30, v54, v53, vcc
	v_cndmask_b32_e32 v51, v51, v52, vcc
	v_lshlrev_b32_e32 v52, 24, v32
	v_bfrev_b32_e32 v53, 60
	v_lshlrev_b32_e32 v51, 20, v51
	v_and_b32_e32 v52, 0x80000000, v52
	v_lshl_add_u32 v30, v30, 23, v53
	v_or3_b32 v52, v52, v30, v51
.LBB601_63:
	s_or_b64 exec, exec, s[10:11]
.LBB601_64:
	s_or_b64 exec, exec, s[8:9]
.LBB601_65:
	s_or_b64 exec, exec, s[2:3]
	v_lshrrev_b16_e32 v30, 8, v32
	v_cmp_ne_u16_e32 vcc, 0, v30
	v_mov_b32_e32 v53, 0
	s_and_saveexec_b64 s[2:3], vcc
	s_cbranch_execz .LBB601_71
; %bb.66:
	s_movk_i32 s8, 0x80
	v_cmp_ne_u16_e32 vcc, s8, v30
	v_bfrev_b32_e32 v53, 1
	s_and_saveexec_b64 s[8:9], vcc
	s_cbranch_execz .LBB601_70
; %bb.67:
	s_movk_i32 s10, 0x7f
	v_and_b32_e32 v51, 0x7f, v30
	v_cmp_ne_u32_e32 vcc, s10, v51
	v_mov_b32_e32 v53, 0x7f800001
	s_and_saveexec_b64 s[10:11], vcc
	s_cbranch_execz .LBB601_69
; %bb.68:
	v_and_b32_e32 v53, 7, v30
	v_ffbh_u32_e32 v54, v53
	v_min_u32_e32 v57, 32, v54
	v_subrev_u32_e32 v54, 28, v57
	v_lshlrev_b64 v[54:55], v54, v[30:31]
	v_lshrrev_b32_e32 v56, 3, v51
	v_sub_u32_e32 v30, 29, v57
	v_and_b32_e32 v54, 7, v54
	v_cmp_gt_u32_e32 vcc, 8, v51
	v_cndmask_b32_e32 v30, v56, v30, vcc
	v_cndmask_b32_e32 v51, v53, v54, vcc
	v_lshlrev_b32_e32 v53, 16, v32
	v_bfrev_b32_e32 v54, 60
	v_lshlrev_b32_e32 v51, 20, v51
	v_and_b32_e32 v53, 0x80000000, v53
	v_lshl_add_u32 v30, v30, 23, v54
	v_or3_b32 v53, v53, v30, v51
.LBB601_69:
	s_or_b64 exec, exec, s[10:11]
.LBB601_70:
	s_or_b64 exec, exec, s[8:9]
.LBB601_71:
	s_or_b64 exec, exec, s[2:3]
	s_movk_i32 s2, 0xff
	v_and_b32_sdwa v51, v32, s2 dst_sel:DWORD dst_unused:UNUSED_PAD src0_sel:WORD_1 src1_sel:DWORD
	v_lshrrev_b32_e32 v30, 16, v32
	v_cmp_ne_u16_e32 vcc, 0, v51
	s_and_saveexec_b64 s[2:3], vcc
	s_cbranch_execz .LBB601_77
; %bb.72:
	s_movk_i32 s8, 0x80
	v_cmp_ne_u16_e32 vcc, s8, v51
	v_bfrev_b32_e32 v31, 1
	s_and_saveexec_b64 s[8:9], vcc
	s_cbranch_execz .LBB601_76
; %bb.73:
	v_bfe_u32 v51, v32, 16, 7
	s_movk_i32 s10, 0x7f
	v_cmp_ne_u32_e32 vcc, s10, v51
	v_mov_b32_e32 v31, 0x7f800001
	s_and_saveexec_b64 s[10:11], vcc
	s_cbranch_execz .LBB601_75
; %bb.74:
	v_and_b32_e32 v54, 7, v30
	v_ffbh_u32_e32 v31, v54
	v_min_u32_e32 v56, 32, v31
	v_subrev_u32_e32 v31, 28, v56
	v_lshlrev_b64 v[30:31], v31, v[30:31]
	v_lshrrev_b32_e32 v55, 3, v51
	v_sub_u32_e32 v31, 29, v56
	v_and_b32_e32 v30, 7, v30
	v_cmp_gt_u32_e32 vcc, 8, v51
	v_mov_b32_e32 v51, 24
	v_cndmask_b32_e32 v31, v55, v31, vcc
	v_cndmask_b32_e32 v30, v54, v30, vcc
	v_lshlrev_b32_sdwa v51, v51, v32 dst_sel:DWORD dst_unused:UNUSED_PAD src0_sel:DWORD src1_sel:WORD_1
	v_bfrev_b32_e32 v54, 60
	v_lshlrev_b32_e32 v30, 20, v30
	v_and_b32_e32 v51, 0x80000000, v51
	v_lshl_add_u32 v31, v31, 23, v54
	v_or3_b32 v31, v51, v31, v30
.LBB601_75:
	s_or_b64 exec, exec, s[10:11]
.LBB601_76:
	s_or_b64 exec, exec, s[8:9]
.LBB601_77:
	s_or_b64 exec, exec, s[2:3]
	s_mov_b32 s2, 0xffffff
	v_cmp_lt_u32_e32 vcc, s2, v32
	v_mov_b32_e32 v54, 0
	v_mov_b32_e32 v55, 0
	s_and_saveexec_b64 s[2:3], vcc
	s_cbranch_execz .LBB601_83
; %bb.78:
	v_lshrrev_b32_e32 v30, 24, v32
	s_movk_i32 s8, 0x80
	v_cmp_ne_u32_e32 vcc, s8, v30
	v_bfrev_b32_e32 v55, 1
	s_and_saveexec_b64 s[8:9], vcc
	s_cbranch_execz .LBB601_82
; %bb.79:
	v_bfe_u32 v32, v32, 24, 7
	s_movk_i32 s10, 0x7f
	v_cmp_ne_u32_e32 vcc, s10, v32
	v_mov_b32_e32 v55, 0x7f800001
	s_and_saveexec_b64 s[10:11], vcc
	s_cbranch_execz .LBB601_81
; %bb.80:
	v_and_b32_e32 v51, 7, v30
	v_ffbh_u32_e32 v56, v51
	v_min_u32_e32 v58, 32, v56
	v_subrev_u32_e32 v56, 28, v58
	v_lshlrev_b64 v[56:57], v56, v[30:31]
	v_lshrrev_b32_e32 v55, 3, v32
	v_sub_u32_e32 v57, 29, v58
	v_and_b32_e32 v56, 7, v56
	v_cmp_gt_u32_e32 vcc, 8, v32
	v_cndmask_b32_e32 v32, v55, v57, vcc
	v_cndmask_b32_e32 v51, v51, v56, vcc
	v_lshlrev_b32_e32 v30, 24, v30
	v_bfrev_b32_e32 v55, 60
	v_lshlrev_b32_e32 v51, 20, v51
	v_and_b32_e32 v30, 0x80000000, v30
	v_lshl_add_u32 v32, v32, 23, v55
	v_or3_b32 v55, v30, v32, v51
.LBB601_81:
	s_or_b64 exec, exec, s[10:11]
.LBB601_82:
	s_or_b64 exec, exec, s[8:9]
.LBB601_83:
	s_or_b64 exec, exec, s[2:3]
	v_cmp_ne_u16_sdwa s[8:9], v33, v54 src0_sel:BYTE_0 src1_sel:DWORD
	s_and_saveexec_b64 s[2:3], s[8:9]
	s_cbranch_execz .LBB601_89
; %bb.84:
	s_movk_i32 s8, 0x80
	v_cmp_ne_u16_sdwa s[10:11], v33, s8 src0_sel:BYTE_0 src1_sel:DWORD
	v_bfrev_b32_e32 v54, 1
	s_and_saveexec_b64 s[8:9], s[10:11]
	s_cbranch_execz .LBB601_88
; %bb.85:
	s_movk_i32 s10, 0x7f
	v_and_b32_e32 v30, 0x7f, v33
	v_cmp_ne_u32_e32 vcc, s10, v30
	v_mov_b32_e32 v54, 0x7f800001
	s_and_saveexec_b64 s[10:11], vcc
	s_cbranch_execz .LBB601_87
; %bb.86:
	v_and_b32_e32 v51, 7, v33
	v_ffbh_u32_e32 v56, v51
	v_min_u32_e32 v58, 32, v56
	v_mov_b32_e32 v32, v33
	v_subrev_u32_e32 v56, 28, v58
	v_lshlrev_b64 v[56:57], v56, v[32:33]
	v_lshrrev_b32_e32 v54, 3, v30
	v_sub_u32_e32 v32, 29, v58
	v_and_b32_e32 v56, 7, v56
	v_cmp_gt_u32_e32 vcc, 8, v30
	v_cndmask_b32_e32 v30, v54, v32, vcc
	v_cndmask_b32_e32 v32, v51, v56, vcc
	v_lshlrev_b32_e32 v51, 24, v33
	v_bfrev_b32_e32 v54, 60
	v_lshlrev_b32_e32 v32, 20, v32
	v_and_b32_e32 v51, 0x80000000, v51
	v_lshl_add_u32 v30, v30, 23, v54
	v_or3_b32 v54, v51, v30, v32
.LBB601_87:
	s_or_b64 exec, exec, s[10:11]
.LBB601_88:
	s_or_b64 exec, exec, s[8:9]
.LBB601_89:
	s_or_b64 exec, exec, s[2:3]
	v_lshrrev_b16_e32 v30, 8, v33
	v_cmp_ne_u16_e32 vcc, 0, v30
	v_mov_b32_e32 v32, 0
	v_mov_b32_e32 v56, 0
	s_and_saveexec_b64 s[2:3], vcc
	s_cbranch_execz .LBB601_95
; %bb.90:
	s_movk_i32 s8, 0x80
	v_cmp_ne_u16_e32 vcc, s8, v30
	v_bfrev_b32_e32 v56, 1
	s_and_saveexec_b64 s[8:9], vcc
	s_cbranch_execz .LBB601_94
; %bb.91:
	s_movk_i32 s10, 0x7f
	v_and_b32_e32 v51, 0x7f, v30
	v_cmp_ne_u32_e32 vcc, s10, v51
	v_mov_b32_e32 v56, 0x7f800001
	s_and_saveexec_b64 s[10:11], vcc
	s_cbranch_execz .LBB601_93
; %bb.92:
	v_and_b32_e32 v58, 7, v30
	v_ffbh_u32_e32 v56, v58
	v_min_u32_e32 v60, 32, v56
	v_subrev_u32_e32 v56, 28, v60
	v_lshlrev_b64 v[56:57], v56, v[30:31]
	v_lshrrev_b32_e32 v59, 3, v51
	v_sub_u32_e32 v30, 29, v60
	v_and_b32_e32 v56, 7, v56
	v_cmp_gt_u32_e32 vcc, 8, v51
	v_cndmask_b32_e32 v30, v59, v30, vcc
	v_cndmask_b32_e32 v51, v58, v56, vcc
	v_lshlrev_b32_e32 v56, 16, v33
	v_bfrev_b32_e32 v57, 60
	v_lshlrev_b32_e32 v51, 20, v51
	v_and_b32_e32 v56, 0x80000000, v56
	v_lshl_add_u32 v30, v30, 23, v57
	v_or3_b32 v56, v56, v30, v51
.LBB601_93:
	s_or_b64 exec, exec, s[10:11]
.LBB601_94:
	s_or_b64 exec, exec, s[8:9]
.LBB601_95:
	s_or_b64 exec, exec, s[2:3]
	s_movk_i32 s2, 0xff
	v_and_b32_sdwa v51, v33, s2 dst_sel:DWORD dst_unused:UNUSED_PAD src0_sel:WORD_1 src1_sel:DWORD
	v_lshrrev_b32_e32 v30, 16, v33
	v_cmp_ne_u16_e32 vcc, 0, v51
	s_and_saveexec_b64 s[2:3], vcc
	s_cbranch_execz .LBB601_101
; %bb.96:
	s_movk_i32 s8, 0x80
	v_cmp_ne_u16_e32 vcc, s8, v51
	v_bfrev_b32_e32 v32, 1
	s_and_saveexec_b64 s[8:9], vcc
	s_cbranch_execz .LBB601_100
; %bb.97:
	v_bfe_u32 v51, v33, 16, 7
	s_movk_i32 s10, 0x7f
	v_cmp_ne_u32_e32 vcc, s10, v51
	v_mov_b32_e32 v32, 0x7f800001
	s_and_saveexec_b64 s[10:11], vcc
	s_cbranch_execz .LBB601_99
; %bb.98:
	v_and_b32_e32 v32, 7, v30
	v_ffbh_u32_e32 v58, v32
	v_min_u32_e32 v60, 32, v58
	v_subrev_u32_e32 v58, 28, v60
	v_lshlrev_b64 v[58:59], v58, v[30:31]
	v_lshrrev_b32_e32 v57, 3, v51
	v_sub_u32_e32 v30, 29, v60
	v_and_b32_e32 v58, 7, v58
	v_cmp_gt_u32_e32 vcc, 8, v51
	v_mov_b32_e32 v51, 24
	v_cndmask_b32_e32 v30, v57, v30, vcc
	v_cndmask_b32_e32 v32, v32, v58, vcc
	v_lshlrev_b32_sdwa v51, v51, v33 dst_sel:DWORD dst_unused:UNUSED_PAD src0_sel:DWORD src1_sel:WORD_1
	v_bfrev_b32_e32 v57, 60
	v_lshlrev_b32_e32 v32, 20, v32
	v_and_b32_e32 v51, 0x80000000, v51
	v_lshl_add_u32 v30, v30, 23, v57
	v_or3_b32 v32, v51, v30, v32
.LBB601_99:
	s_or_b64 exec, exec, s[10:11]
.LBB601_100:
	s_or_b64 exec, exec, s[8:9]
.LBB601_101:
	s_or_b64 exec, exec, s[2:3]
	s_mov_b32 s2, 0xffffff
	v_cmp_lt_u32_e32 vcc, s2, v33
	v_mov_b32_e32 v51, 0
	v_mov_b32_e32 v57, 0
	s_and_saveexec_b64 s[2:3], vcc
	s_cbranch_execz .LBB601_107
; %bb.102:
	v_lshrrev_b32_e32 v30, 24, v33
	s_movk_i32 s8, 0x80
	v_cmp_ne_u32_e32 vcc, s8, v30
	v_bfrev_b32_e32 v57, 1
	s_and_saveexec_b64 s[8:9], vcc
	s_cbranch_execz .LBB601_106
; %bb.103:
	v_bfe_u32 v33, v33, 24, 7
	s_movk_i32 s10, 0x7f
	v_cmp_ne_u32_e32 vcc, s10, v33
	v_mov_b32_e32 v57, 0x7f800001
	s_and_saveexec_b64 s[10:11], vcc
	s_cbranch_execz .LBB601_105
; %bb.104:
	v_and_b32_e32 v57, 7, v30
	v_ffbh_u32_e32 v58, v57
	v_min_u32_e32 v61, 32, v58
	v_subrev_u32_e32 v58, 28, v61
	v_lshlrev_b64 v[58:59], v58, v[30:31]
	v_lshrrev_b32_e32 v60, 3, v33
	v_sub_u32_e32 v59, 29, v61
	v_and_b32_e32 v58, 7, v58
	v_cmp_gt_u32_e32 vcc, 8, v33
	v_cndmask_b32_e32 v33, v60, v59, vcc
	v_cndmask_b32_e32 v57, v57, v58, vcc
	v_lshlrev_b32_e32 v30, 24, v30
	v_bfrev_b32_e32 v58, 60
	v_lshlrev_b32_e32 v57, 20, v57
	v_and_b32_e32 v30, 0x80000000, v30
	v_lshl_add_u32 v33, v33, 23, v58
	v_or3_b32 v57, v30, v33, v57
.LBB601_105:
	s_or_b64 exec, exec, s[10:11]
.LBB601_106:
	s_or_b64 exec, exec, s[8:9]
.LBB601_107:
	s_or_b64 exec, exec, s[2:3]
	v_cvt_pkrtz_f16_f32 v30, v52, v53
	v_cvt_pkrtz_f16_f32 v31, v31, v55
	s_waitcnt vmcnt(6)
	v_cmp_ne_u16_sdwa s[8:9], v38, v51 src0_sel:BYTE_0 src1_sel:DWORD
	v_mfma_f32_16x16x16f16 v[42:45], v[30:31], v[18:19], v[42:45]
	v_cvt_pkrtz_f16_f32 v30, v54, v56
	v_cvt_pkrtz_f16_f32 v31, v32, v57
	s_nop 1
	v_mfma_f32_16x16x16f16 v[30:33], v[30:31], v[20:21], v[42:45]
	s_and_saveexec_b64 s[2:3], s[8:9]
	s_cbranch_execz .LBB601_113
; %bb.108:
	s_movk_i32 s8, 0x80
	v_cmp_ne_u16_sdwa s[10:11], v38, s8 src0_sel:BYTE_0 src1_sel:DWORD
	v_bfrev_b32_e32 v51, 1
	s_and_saveexec_b64 s[8:9], s[10:11]
	s_cbranch_execz .LBB601_112
; %bb.109:
	s_movk_i32 s10, 0x7f
	v_and_b32_e32 v42, 0x7f, v38
	v_cmp_ne_u32_e32 vcc, s10, v42
	v_mov_b32_e32 v51, 0x7f800001
	s_and_saveexec_b64 s[10:11], vcc
	s_cbranch_execz .LBB601_111
; %bb.110:
	v_and_b32_e32 v43, 7, v38
	v_ffbh_u32_e32 v44, v43
	v_min_u32_e32 v52, 32, v44
	v_subrev_u32_e32 v44, 28, v52
	v_lshlrev_b64 v[44:45], v44, v[38:39]
	v_lshrrev_b32_e32 v51, 3, v42
	v_sub_u32_e32 v45, 29, v52
	v_and_b32_e32 v44, 7, v44
	v_cmp_gt_u32_e32 vcc, 8, v42
	v_cndmask_b32_e32 v42, v51, v45, vcc
	v_cndmask_b32_e32 v43, v43, v44, vcc
	v_lshlrev_b32_e32 v44, 24, v38
	v_bfrev_b32_e32 v45, 60
	v_lshlrev_b32_e32 v43, 20, v43
	v_and_b32_e32 v44, 0x80000000, v44
	v_lshl_add_u32 v42, v42, 23, v45
	v_or3_b32 v51, v44, v42, v43
.LBB601_111:
	s_or_b64 exec, exec, s[10:11]
.LBB601_112:
	s_or_b64 exec, exec, s[8:9]
.LBB601_113:
	s_or_b64 exec, exec, s[2:3]
	s_nop 3
	v_lshrrev_b16_e32 v42, 8, v38
	v_cmp_ne_u16_e32 vcc, 0, v42
	v_mov_b32_e32 v43, 0
	v_mov_b32_e32 v44, 0
	s_and_saveexec_b64 s[2:3], vcc
	s_cbranch_execz .LBB601_119
; %bb.114:
	s_movk_i32 s8, 0x80
	v_cmp_ne_u16_e32 vcc, s8, v42
	v_bfrev_b32_e32 v44, 1
	s_and_saveexec_b64 s[8:9], vcc
	s_cbranch_execz .LBB601_118
; %bb.115:
	s_movk_i32 s10, 0x7f
	v_and_b32_e32 v45, 0x7f, v42
	v_cmp_ne_u32_e32 vcc, s10, v45
	v_mov_b32_e32 v44, 0x7f800001
	s_and_saveexec_b64 s[10:11], vcc
	s_cbranch_execz .LBB601_117
; %bb.116:
	v_and_b32_e32 v44, 7, v42
	v_ffbh_u32_e32 v52, v44
	v_min_u32_e32 v55, 32, v52
	v_subrev_u32_e32 v52, 28, v55
	v_lshlrev_b64 v[52:53], v52, v[42:43]
	v_lshrrev_b32_e32 v54, 3, v45
	v_sub_u32_e32 v42, 29, v55
	v_and_b32_e32 v52, 7, v52
	v_cmp_gt_u32_e32 vcc, 8, v45
	v_cndmask_b32_e32 v42, v54, v42, vcc
	v_cndmask_b32_e32 v44, v44, v52, vcc
	v_lshlrev_b32_e32 v45, 16, v38
	v_bfrev_b32_e32 v52, 60
	v_lshlrev_b32_e32 v44, 20, v44
	v_and_b32_e32 v45, 0x80000000, v45
	v_lshl_add_u32 v42, v42, 23, v52
	v_or3_b32 v44, v45, v42, v44
.LBB601_117:
	s_or_b64 exec, exec, s[10:11]
.LBB601_118:
	s_or_b64 exec, exec, s[8:9]
.LBB601_119:
	s_or_b64 exec, exec, s[2:3]
	s_movk_i32 s2, 0xff
	v_and_b32_sdwa v45, v38, s2 dst_sel:DWORD dst_unused:UNUSED_PAD src0_sel:WORD_1 src1_sel:DWORD
	v_lshrrev_b32_e32 v42, 16, v38
	v_cmp_ne_u16_e32 vcc, 0, v45
	s_and_saveexec_b64 s[2:3], vcc
	s_cbranch_execz .LBB601_125
; %bb.120:
	s_movk_i32 s8, 0x80
	v_cmp_ne_u16_e32 vcc, s8, v45
	v_bfrev_b32_e32 v43, 1
	s_and_saveexec_b64 s[8:9], vcc
	s_cbranch_execz .LBB601_124
; %bb.121:
	v_bfe_u32 v45, v38, 16, 7
	s_movk_i32 s10, 0x7f
	v_cmp_ne_u32_e32 vcc, s10, v45
	v_mov_b32_e32 v43, 0x7f800001
	s_and_saveexec_b64 s[10:11], vcc
	s_cbranch_execz .LBB601_123
; %bb.122:
	v_and_b32_e32 v52, 7, v42
	v_ffbh_u32_e32 v43, v52
	v_min_u32_e32 v54, 32, v43
	v_subrev_u32_e32 v43, 28, v54
	v_lshlrev_b64 v[42:43], v43, v[42:43]
	v_lshrrev_b32_e32 v53, 3, v45
	v_sub_u32_e32 v43, 29, v54
	v_and_b32_e32 v42, 7, v42
	v_cmp_gt_u32_e32 vcc, 8, v45
	v_mov_b32_e32 v45, 24
	v_cndmask_b32_e32 v43, v53, v43, vcc
	v_cndmask_b32_e32 v42, v52, v42, vcc
	v_lshlrev_b32_sdwa v45, v45, v38 dst_sel:DWORD dst_unused:UNUSED_PAD src0_sel:DWORD src1_sel:WORD_1
	v_bfrev_b32_e32 v52, 60
	v_lshlrev_b32_e32 v42, 20, v42
	v_and_b32_e32 v45, 0x80000000, v45
	v_lshl_add_u32 v43, v43, 23, v52
	v_or3_b32 v43, v45, v43, v42
.LBB601_123:
	s_or_b64 exec, exec, s[10:11]
.LBB601_124:
	s_or_b64 exec, exec, s[8:9]
.LBB601_125:
	s_or_b64 exec, exec, s[2:3]
	s_mov_b32 s2, 0xffffff
	v_cmp_lt_u32_e32 vcc, s2, v38
	v_mov_b32_e32 v45, 0
	v_mov_b32_e32 v53, 0
	s_and_saveexec_b64 s[2:3], vcc
	s_cbranch_execz .LBB601_131
; %bb.126:
	v_lshrrev_b32_e32 v42, 24, v38
	s_movk_i32 s8, 0x80
	v_cmp_ne_u32_e32 vcc, s8, v42
	v_bfrev_b32_e32 v53, 1
	s_and_saveexec_b64 s[8:9], vcc
	s_cbranch_execz .LBB601_130
; %bb.127:
	v_bfe_u32 v38, v38, 24, 7
	s_movk_i32 s10, 0x7f
	v_cmp_ne_u32_e32 vcc, s10, v38
	v_mov_b32_e32 v53, 0x7f800001
	s_and_saveexec_b64 s[10:11], vcc
	s_cbranch_execz .LBB601_129
; %bb.128:
	v_and_b32_e32 v54, 7, v42
	v_ffbh_u32_e32 v52, v54
	v_min_u32_e32 v56, 32, v52
	v_subrev_u32_e32 v52, 28, v56
	v_lshlrev_b64 v[52:53], v52, v[42:43]
	v_lshrrev_b32_e32 v55, 3, v38
	v_sub_u32_e32 v53, 29, v56
	v_and_b32_e32 v52, 7, v52
	v_cmp_gt_u32_e32 vcc, 8, v38
	v_cndmask_b32_e32 v38, v55, v53, vcc
	v_cndmask_b32_e32 v52, v54, v52, vcc
	v_lshlrev_b32_e32 v42, 24, v42
	v_bfrev_b32_e32 v53, 60
	v_lshlrev_b32_e32 v52, 20, v52
	v_and_b32_e32 v42, 0x80000000, v42
	v_lshl_add_u32 v38, v38, 23, v53
	v_or3_b32 v53, v42, v38, v52
.LBB601_129:
	s_or_b64 exec, exec, s[10:11]
.LBB601_130:
	s_or_b64 exec, exec, s[8:9]
.LBB601_131:
	s_or_b64 exec, exec, s[2:3]
	v_cmp_ne_u16_sdwa s[8:9], v39, v45 src0_sel:BYTE_0 src1_sel:DWORD
	s_and_saveexec_b64 s[2:3], s[8:9]
	s_cbranch_execz .LBB601_137
; %bb.132:
	s_movk_i32 s8, 0x80
	v_cmp_ne_u16_sdwa s[10:11], v39, s8 src0_sel:BYTE_0 src1_sel:DWORD
	v_bfrev_b32_e32 v45, 1
	s_and_saveexec_b64 s[8:9], s[10:11]
	s_cbranch_execz .LBB601_136
; %bb.133:
	s_movk_i32 s10, 0x7f
	v_and_b32_e32 v38, 0x7f, v39
	v_cmp_ne_u32_e32 vcc, s10, v38
	v_mov_b32_e32 v45, 0x7f800001
	s_and_saveexec_b64 s[10:11], vcc
	s_cbranch_execz .LBB601_135
; %bb.134:
	v_and_b32_e32 v45, 7, v39
	v_ffbh_u32_e32 v54, v45
	v_min_u32_e32 v56, 32, v54
	v_mov_b32_e32 v42, v39
	v_subrev_u32_e32 v54, 28, v56
	v_lshlrev_b64 v[54:55], v54, v[42:43]
	v_lshrrev_b32_e32 v52, 3, v38
	v_sub_u32_e32 v42, 29, v56
	v_and_b32_e32 v54, 7, v54
	v_cmp_gt_u32_e32 vcc, 8, v38
	v_cndmask_b32_e32 v38, v52, v42, vcc
	v_cndmask_b32_e32 v42, v45, v54, vcc
	v_lshlrev_b32_e32 v45, 24, v39
	v_bfrev_b32_e32 v52, 60
	v_lshlrev_b32_e32 v42, 20, v42
	v_and_b32_e32 v45, 0x80000000, v45
	v_lshl_add_u32 v38, v38, 23, v52
	v_or3_b32 v45, v45, v38, v42
.LBB601_135:
	s_or_b64 exec, exec, s[10:11]
.LBB601_136:
	s_or_b64 exec, exec, s[8:9]
.LBB601_137:
	s_or_b64 exec, exec, s[2:3]
	v_lshrrev_b16_e32 v38, 8, v39
	v_cmp_ne_u16_e32 vcc, 0, v38
	v_mov_b32_e32 v42, 0
	v_mov_b32_e32 v54, 0
	s_and_saveexec_b64 s[2:3], vcc
	s_cbranch_execz .LBB601_143
; %bb.138:
	s_movk_i32 s8, 0x80
	v_cmp_ne_u16_e32 vcc, s8, v38
	v_bfrev_b32_e32 v54, 1
	s_and_saveexec_b64 s[8:9], vcc
	s_cbranch_execz .LBB601_142
; %bb.139:
	s_movk_i32 s10, 0x7f
	v_and_b32_e32 v52, 0x7f, v38
	v_cmp_ne_u32_e32 vcc, s10, v52
	v_mov_b32_e32 v54, 0x7f800001
	s_and_saveexec_b64 s[10:11], vcc
	s_cbranch_execz .LBB601_141
; %bb.140:
	v_and_b32_e32 v56, 7, v38
	v_ffbh_u32_e32 v54, v56
	v_min_u32_e32 v58, 32, v54
	v_subrev_u32_e32 v54, 28, v58
	v_lshlrev_b64 v[54:55], v54, v[38:39]
	v_lshrrev_b32_e32 v57, 3, v52
	v_sub_u32_e32 v38, 29, v58
	v_and_b32_e32 v54, 7, v54
	v_cmp_gt_u32_e32 vcc, 8, v52
	v_cndmask_b32_e32 v38, v57, v38, vcc
	v_cndmask_b32_e32 v52, v56, v54, vcc
	v_lshlrev_b32_e32 v54, 16, v39
	v_bfrev_b32_e32 v55, 60
	v_lshlrev_b32_e32 v52, 20, v52
	v_and_b32_e32 v54, 0x80000000, v54
	v_lshl_add_u32 v38, v38, 23, v55
	v_or3_b32 v54, v54, v38, v52
.LBB601_141:
	s_or_b64 exec, exec, s[10:11]
.LBB601_142:
	s_or_b64 exec, exec, s[8:9]
.LBB601_143:
	s_or_b64 exec, exec, s[2:3]
	s_movk_i32 s2, 0xff
	v_and_b32_sdwa v52, v39, s2 dst_sel:DWORD dst_unused:UNUSED_PAD src0_sel:WORD_1 src1_sel:DWORD
	v_lshrrev_b32_e32 v38, 16, v39
	v_cmp_ne_u16_e32 vcc, 0, v52
	s_and_saveexec_b64 s[2:3], vcc
	s_cbranch_execz .LBB601_149
; %bb.144:
	s_movk_i32 s8, 0x80
	v_cmp_ne_u16_e32 vcc, s8, v52
	v_bfrev_b32_e32 v42, 1
	s_and_saveexec_b64 s[8:9], vcc
	s_cbranch_execz .LBB601_148
; %bb.145:
	v_bfe_u32 v52, v39, 16, 7
	s_movk_i32 s10, 0x7f
	v_cmp_ne_u32_e32 vcc, s10, v52
	v_mov_b32_e32 v42, 0x7f800001
	s_and_saveexec_b64 s[10:11], vcc
	s_cbranch_execz .LBB601_147
; %bb.146:
	v_and_b32_e32 v42, 7, v38
	v_ffbh_u32_e32 v56, v42
	v_min_u32_e32 v58, 32, v56
	v_subrev_u32_e32 v56, 28, v58
	v_lshlrev_b64 v[56:57], v56, v[38:39]
	v_lshrrev_b32_e32 v55, 3, v52
	v_sub_u32_e32 v38, 29, v58
	v_and_b32_e32 v56, 7, v56
	v_cmp_gt_u32_e32 vcc, 8, v52
	v_mov_b32_e32 v52, 24
	v_cndmask_b32_e32 v38, v55, v38, vcc
	v_cndmask_b32_e32 v42, v42, v56, vcc
	v_lshlrev_b32_sdwa v52, v52, v39 dst_sel:DWORD dst_unused:UNUSED_PAD src0_sel:DWORD src1_sel:WORD_1
	v_bfrev_b32_e32 v55, 60
	v_lshlrev_b32_e32 v42, 20, v42
	v_and_b32_e32 v52, 0x80000000, v52
	v_lshl_add_u32 v38, v38, 23, v55
	v_or3_b32 v42, v52, v38, v42
.LBB601_147:
	s_or_b64 exec, exec, s[10:11]
.LBB601_148:
	s_or_b64 exec, exec, s[8:9]
.LBB601_149:
	s_or_b64 exec, exec, s[2:3]
	s_mov_b32 s2, 0xffffff
	v_cmp_lt_u32_e32 vcc, s2, v39
	v_mov_b32_e32 v52, 0
	v_mov_b32_e32 v55, 0
	s_and_saveexec_b64 s[2:3], vcc
	s_cbranch_execz .LBB601_155
; %bb.150:
	v_lshrrev_b32_e32 v38, 24, v39
	s_movk_i32 s8, 0x80
	v_cmp_ne_u32_e32 vcc, s8, v38
	v_bfrev_b32_e32 v55, 1
	s_and_saveexec_b64 s[8:9], vcc
	s_cbranch_execz .LBB601_154
; %bb.151:
	v_bfe_u32 v39, v39, 24, 7
	s_movk_i32 s10, 0x7f
	v_cmp_ne_u32_e32 vcc, s10, v39
	v_mov_b32_e32 v55, 0x7f800001
	s_and_saveexec_b64 s[10:11], vcc
	s_cbranch_execz .LBB601_153
; %bb.152:
	v_and_b32_e32 v55, 7, v38
	v_ffbh_u32_e32 v56, v55
	v_min_u32_e32 v59, 32, v56
	v_subrev_u32_e32 v56, 28, v59
	v_lshlrev_b64 v[56:57], v56, v[38:39]
	v_lshrrev_b32_e32 v58, 3, v39
	v_sub_u32_e32 v57, 29, v59
	v_and_b32_e32 v56, 7, v56
	v_cmp_gt_u32_e32 vcc, 8, v39
	v_cndmask_b32_e32 v39, v58, v57, vcc
	v_cndmask_b32_e32 v55, v55, v56, vcc
	v_lshlrev_b32_e32 v38, 24, v38
	v_bfrev_b32_e32 v56, 60
	v_lshlrev_b32_e32 v55, 20, v55
	v_and_b32_e32 v38, 0x80000000, v38
	v_lshl_add_u32 v39, v39, 23, v56
	v_or3_b32 v55, v38, v39, v55
.LBB601_153:
	s_or_b64 exec, exec, s[10:11]
.LBB601_154:
	s_or_b64 exec, exec, s[8:9]
.LBB601_155:
	s_or_b64 exec, exec, s[2:3]
	v_cvt_pkrtz_f16_f32 v38, v51, v44
	v_cvt_pkrtz_f16_f32 v39, v43, v53
	v_cmp_ne_u16_sdwa s[8:9], v40, v52 src0_sel:BYTE_0 src1_sel:DWORD
	s_nop 0
	v_mfma_f32_16x16x16f16 v[56:59], v[38:39], v[26:27], 0
	v_cvt_pkrtz_f16_f32 v38, v45, v54
	v_cvt_pkrtz_f16_f32 v39, v42, v55
	s_nop 1
	v_mfma_f32_16x16x16f16 v[42:45], v[38:39], v[28:29], v[56:59]
	s_and_saveexec_b64 s[2:3], s[8:9]
	s_cbranch_execz .LBB601_161
; %bb.156:
	s_movk_i32 s8, 0x80
	v_cmp_ne_u16_sdwa s[10:11], v40, s8 src0_sel:BYTE_0 src1_sel:DWORD
	v_bfrev_b32_e32 v52, 1
	s_and_saveexec_b64 s[8:9], s[10:11]
	s_cbranch_execz .LBB601_160
; %bb.157:
	s_movk_i32 s10, 0x7f
	v_and_b32_e32 v38, 0x7f, v40
	v_cmp_ne_u32_e32 vcc, s10, v38
	v_mov_b32_e32 v52, 0x7f800001
	s_and_saveexec_b64 s[10:11], vcc
	s_cbranch_execz .LBB601_159
; %bb.158:
	v_and_b32_e32 v39, 7, v40
	v_ffbh_u32_e32 v52, v39
	v_min_u32_e32 v54, 32, v52
	v_subrev_u32_e32 v52, 28, v54
	v_lshlrev_b64 v[52:53], v52, v[40:41]
	v_lshrrev_b32_e32 v51, 3, v38
	v_sub_u32_e32 v53, 29, v54
	v_and_b32_e32 v52, 7, v52
	v_cmp_gt_u32_e32 vcc, 8, v38
	v_cndmask_b32_e32 v38, v51, v53, vcc
	v_cndmask_b32_e32 v39, v39, v52, vcc
	v_lshlrev_b32_e32 v51, 24, v40
	v_bfrev_b32_e32 v52, 60
	v_lshlrev_b32_e32 v39, 20, v39
	v_and_b32_e32 v51, 0x80000000, v51
	v_lshl_add_u32 v38, v38, 23, v52
	v_or3_b32 v52, v51, v38, v39
.LBB601_159:
	s_or_b64 exec, exec, s[10:11]
.LBB601_160:
	s_or_b64 exec, exec, s[8:9]
.LBB601_161:
	s_or_b64 exec, exec, s[2:3]
	v_lshrrev_b16_e32 v38, 8, v40
	v_cmp_ne_u16_e32 vcc, 0, v38
	v_mov_b32_e32 v39, 0
	v_mov_b32_e32 v53, 0
	s_and_saveexec_b64 s[2:3], vcc
	s_cbranch_execz .LBB601_167
; %bb.162:
	s_movk_i32 s8, 0x80
	v_cmp_ne_u16_e32 vcc, s8, v38
	v_bfrev_b32_e32 v53, 1
	s_and_saveexec_b64 s[8:9], vcc
	s_cbranch_execz .LBB601_166
; %bb.163:
	s_movk_i32 s10, 0x7f
	v_and_b32_e32 v51, 0x7f, v38
	v_cmp_ne_u32_e32 vcc, s10, v51
	v_mov_b32_e32 v53, 0x7f800001
	s_and_saveexec_b64 s[10:11], vcc
	s_cbranch_execz .LBB601_165
; %bb.164:
	v_and_b32_e32 v53, 7, v38
	v_ffbh_u32_e32 v54, v53
	v_min_u32_e32 v57, 32, v54
	v_subrev_u32_e32 v54, 28, v57
	v_lshlrev_b64 v[54:55], v54, v[38:39]
	v_lshrrev_b32_e32 v56, 3, v51
	v_sub_u32_e32 v38, 29, v57
	v_and_b32_e32 v54, 7, v54
	v_cmp_gt_u32_e32 vcc, 8, v51
	v_cndmask_b32_e32 v38, v56, v38, vcc
	v_cndmask_b32_e32 v51, v53, v54, vcc
	v_lshlrev_b32_e32 v53, 16, v40
	v_bfrev_b32_e32 v54, 60
	v_lshlrev_b32_e32 v51, 20, v51
	v_and_b32_e32 v53, 0x80000000, v53
	v_lshl_add_u32 v38, v38, 23, v54
	v_or3_b32 v53, v53, v38, v51
.LBB601_165:
	s_or_b64 exec, exec, s[10:11]
.LBB601_166:
	s_or_b64 exec, exec, s[8:9]
.LBB601_167:
	s_or_b64 exec, exec, s[2:3]
	s_movk_i32 s2, 0xff
	v_and_b32_sdwa v51, v40, s2 dst_sel:DWORD dst_unused:UNUSED_PAD src0_sel:WORD_1 src1_sel:DWORD
	v_lshrrev_b32_e32 v38, 16, v40
	v_cmp_ne_u16_e32 vcc, 0, v51
	s_and_saveexec_b64 s[2:3], vcc
	s_cbranch_execz .LBB601_173
; %bb.168:
	s_movk_i32 s8, 0x80
	v_cmp_ne_u16_e32 vcc, s8, v51
	v_bfrev_b32_e32 v39, 1
	s_and_saveexec_b64 s[8:9], vcc
	s_cbranch_execz .LBB601_172
; %bb.169:
	v_bfe_u32 v51, v40, 16, 7
	s_movk_i32 s10, 0x7f
	v_cmp_ne_u32_e32 vcc, s10, v51
	v_mov_b32_e32 v39, 0x7f800001
	s_and_saveexec_b64 s[10:11], vcc
	s_cbranch_execz .LBB601_171
; %bb.170:
	v_and_b32_e32 v54, 7, v38
	v_ffbh_u32_e32 v39, v54
	v_min_u32_e32 v56, 32, v39
	v_subrev_u32_e32 v39, 28, v56
	v_lshlrev_b64 v[38:39], v39, v[38:39]
	v_lshrrev_b32_e32 v55, 3, v51
	v_sub_u32_e32 v39, 29, v56
	v_and_b32_e32 v38, 7, v38
	v_cmp_gt_u32_e32 vcc, 8, v51
	v_mov_b32_e32 v51, 24
	v_cndmask_b32_e32 v39, v55, v39, vcc
	v_cndmask_b32_e32 v38, v54, v38, vcc
	v_lshlrev_b32_sdwa v51, v51, v40 dst_sel:DWORD dst_unused:UNUSED_PAD src0_sel:DWORD src1_sel:WORD_1
	v_bfrev_b32_e32 v54, 60
	v_lshlrev_b32_e32 v38, 20, v38
	v_and_b32_e32 v51, 0x80000000, v51
	v_lshl_add_u32 v39, v39, 23, v54
	v_or3_b32 v39, v51, v39, v38
.LBB601_171:
	s_or_b64 exec, exec, s[10:11]
.LBB601_172:
	s_or_b64 exec, exec, s[8:9]
.LBB601_173:
	s_or_b64 exec, exec, s[2:3]
	s_mov_b32 s2, 0xffffff
	v_cmp_lt_u32_e32 vcc, s2, v40
	v_mov_b32_e32 v54, 0
	v_mov_b32_e32 v55, 0
	s_and_saveexec_b64 s[2:3], vcc
	s_cbranch_execz .LBB601_179
; %bb.174:
	v_lshrrev_b32_e32 v38, 24, v40
	s_movk_i32 s8, 0x80
	v_cmp_ne_u32_e32 vcc, s8, v38
	v_bfrev_b32_e32 v55, 1
	s_and_saveexec_b64 s[8:9], vcc
	s_cbranch_execz .LBB601_178
; %bb.175:
	v_bfe_u32 v40, v40, 24, 7
	s_movk_i32 s10, 0x7f
	v_cmp_ne_u32_e32 vcc, s10, v40
	v_mov_b32_e32 v55, 0x7f800001
	s_and_saveexec_b64 s[10:11], vcc
	s_cbranch_execz .LBB601_177
; %bb.176:
	v_and_b32_e32 v51, 7, v38
	v_ffbh_u32_e32 v56, v51
	v_min_u32_e32 v58, 32, v56
	v_subrev_u32_e32 v56, 28, v58
	v_lshlrev_b64 v[56:57], v56, v[38:39]
	v_lshrrev_b32_e32 v55, 3, v40
	v_sub_u32_e32 v57, 29, v58
	v_and_b32_e32 v56, 7, v56
	v_cmp_gt_u32_e32 vcc, 8, v40
	v_cndmask_b32_e32 v40, v55, v57, vcc
	v_cndmask_b32_e32 v51, v51, v56, vcc
	v_lshlrev_b32_e32 v38, 24, v38
	v_bfrev_b32_e32 v55, 60
	v_lshlrev_b32_e32 v51, 20, v51
	v_and_b32_e32 v38, 0x80000000, v38
	v_lshl_add_u32 v40, v40, 23, v55
	v_or3_b32 v55, v38, v40, v51
.LBB601_177:
	s_or_b64 exec, exec, s[10:11]
.LBB601_178:
	s_or_b64 exec, exec, s[8:9]
.LBB601_179:
	s_or_b64 exec, exec, s[2:3]
	v_cmp_ne_u16_sdwa s[8:9], v41, v54 src0_sel:BYTE_0 src1_sel:DWORD
	s_and_saveexec_b64 s[2:3], s[8:9]
	s_cbranch_execz .LBB601_185
; %bb.180:
	s_movk_i32 s8, 0x80
	v_cmp_ne_u16_sdwa s[10:11], v41, s8 src0_sel:BYTE_0 src1_sel:DWORD
	v_bfrev_b32_e32 v54, 1
	s_and_saveexec_b64 s[8:9], s[10:11]
	s_cbranch_execz .LBB601_184
; %bb.181:
	s_movk_i32 s10, 0x7f
	v_and_b32_e32 v38, 0x7f, v41
	v_cmp_ne_u32_e32 vcc, s10, v38
	v_mov_b32_e32 v54, 0x7f800001
	s_and_saveexec_b64 s[10:11], vcc
	s_cbranch_execz .LBB601_183
; %bb.182:
	v_and_b32_e32 v51, 7, v41
	v_ffbh_u32_e32 v56, v51
	v_min_u32_e32 v58, 32, v56
	v_mov_b32_e32 v40, v41
	v_subrev_u32_e32 v56, 28, v58
	v_lshlrev_b64 v[56:57], v56, v[40:41]
	v_lshrrev_b32_e32 v54, 3, v38
	v_sub_u32_e32 v40, 29, v58
	v_and_b32_e32 v56, 7, v56
	v_cmp_gt_u32_e32 vcc, 8, v38
	v_cndmask_b32_e32 v38, v54, v40, vcc
	v_cndmask_b32_e32 v40, v51, v56, vcc
	v_lshlrev_b32_e32 v51, 24, v41
	v_bfrev_b32_e32 v54, 60
	v_lshlrev_b32_e32 v40, 20, v40
	v_and_b32_e32 v51, 0x80000000, v51
	v_lshl_add_u32 v38, v38, 23, v54
	v_or3_b32 v54, v51, v38, v40
.LBB601_183:
	s_or_b64 exec, exec, s[10:11]
.LBB601_184:
	s_or_b64 exec, exec, s[8:9]
.LBB601_185:
	s_or_b64 exec, exec, s[2:3]
	v_lshrrev_b16_e32 v38, 8, v41
	v_cmp_ne_u16_e32 vcc, 0, v38
	v_mov_b32_e32 v40, 0
	v_mov_b32_e32 v56, 0
	s_and_saveexec_b64 s[2:3], vcc
	s_cbranch_execz .LBB601_191
; %bb.186:
	s_movk_i32 s8, 0x80
	v_cmp_ne_u16_e32 vcc, s8, v38
	v_bfrev_b32_e32 v56, 1
	s_and_saveexec_b64 s[8:9], vcc
	s_cbranch_execz .LBB601_190
; %bb.187:
	s_movk_i32 s10, 0x7f
	v_and_b32_e32 v51, 0x7f, v38
	v_cmp_ne_u32_e32 vcc, s10, v51
	v_mov_b32_e32 v56, 0x7f800001
	s_and_saveexec_b64 s[10:11], vcc
	s_cbranch_execz .LBB601_189
; %bb.188:
	v_and_b32_e32 v58, 7, v38
	v_ffbh_u32_e32 v56, v58
	v_min_u32_e32 v60, 32, v56
	v_subrev_u32_e32 v56, 28, v60
	v_lshlrev_b64 v[56:57], v56, v[38:39]
	v_lshrrev_b32_e32 v59, 3, v51
	v_sub_u32_e32 v38, 29, v60
	v_and_b32_e32 v56, 7, v56
	v_cmp_gt_u32_e32 vcc, 8, v51
	v_cndmask_b32_e32 v38, v59, v38, vcc
	v_cndmask_b32_e32 v51, v58, v56, vcc
	v_lshlrev_b32_e32 v56, 16, v41
	v_bfrev_b32_e32 v57, 60
	v_lshlrev_b32_e32 v51, 20, v51
	v_and_b32_e32 v56, 0x80000000, v56
	v_lshl_add_u32 v38, v38, 23, v57
	v_or3_b32 v56, v56, v38, v51
.LBB601_189:
	s_or_b64 exec, exec, s[10:11]
.LBB601_190:
	s_or_b64 exec, exec, s[8:9]
.LBB601_191:
	s_or_b64 exec, exec, s[2:3]
	s_movk_i32 s2, 0xff
	v_and_b32_sdwa v51, v41, s2 dst_sel:DWORD dst_unused:UNUSED_PAD src0_sel:WORD_1 src1_sel:DWORD
	v_lshrrev_b32_e32 v38, 16, v41
	v_cmp_ne_u16_e32 vcc, 0, v51
	s_and_saveexec_b64 s[2:3], vcc
	s_cbranch_execz .LBB601_197
; %bb.192:
	s_movk_i32 s8, 0x80
	v_cmp_ne_u16_e32 vcc, s8, v51
	v_bfrev_b32_e32 v40, 1
	s_and_saveexec_b64 s[8:9], vcc
	s_cbranch_execz .LBB601_196
; %bb.193:
	v_bfe_u32 v51, v41, 16, 7
	s_movk_i32 s10, 0x7f
	v_cmp_ne_u32_e32 vcc, s10, v51
	v_mov_b32_e32 v40, 0x7f800001
	s_and_saveexec_b64 s[10:11], vcc
	s_cbranch_execz .LBB601_195
; %bb.194:
	v_and_b32_e32 v40, 7, v38
	v_ffbh_u32_e32 v58, v40
	v_min_u32_e32 v60, 32, v58
	v_subrev_u32_e32 v58, 28, v60
	v_lshlrev_b64 v[58:59], v58, v[38:39]
	v_lshrrev_b32_e32 v57, 3, v51
	v_sub_u32_e32 v38, 29, v60
	v_and_b32_e32 v58, 7, v58
	v_cmp_gt_u32_e32 vcc, 8, v51
	v_mov_b32_e32 v51, 24
	v_cndmask_b32_e32 v38, v57, v38, vcc
	v_cndmask_b32_e32 v40, v40, v58, vcc
	v_lshlrev_b32_sdwa v51, v51, v41 dst_sel:DWORD dst_unused:UNUSED_PAD src0_sel:DWORD src1_sel:WORD_1
	v_bfrev_b32_e32 v57, 60
	v_lshlrev_b32_e32 v40, 20, v40
	v_and_b32_e32 v51, 0x80000000, v51
	v_lshl_add_u32 v38, v38, 23, v57
	v_or3_b32 v40, v51, v38, v40
.LBB601_195:
	s_or_b64 exec, exec, s[10:11]
.LBB601_196:
	s_or_b64 exec, exec, s[8:9]
.LBB601_197:
	s_or_b64 exec, exec, s[2:3]
	s_mov_b32 s2, 0xffffff
	v_cmp_lt_u32_e32 vcc, s2, v41
	v_mov_b32_e32 v51, 0
	v_mov_b32_e32 v57, 0
	s_and_saveexec_b64 s[2:3], vcc
	s_cbranch_execz .LBB601_203
; %bb.198:
	v_lshrrev_b32_e32 v38, 24, v41
	s_movk_i32 s8, 0x80
	v_cmp_ne_u32_e32 vcc, s8, v38
	v_bfrev_b32_e32 v57, 1
	s_and_saveexec_b64 s[8:9], vcc
	s_cbranch_execz .LBB601_202
; %bb.199:
	v_bfe_u32 v41, v41, 24, 7
	s_movk_i32 s10, 0x7f
	v_cmp_ne_u32_e32 vcc, s10, v41
	v_mov_b32_e32 v57, 0x7f800001
	s_and_saveexec_b64 s[10:11], vcc
	s_cbranch_execz .LBB601_201
; %bb.200:
	v_and_b32_e32 v57, 7, v38
	v_ffbh_u32_e32 v58, v57
	v_min_u32_e32 v61, 32, v58
	v_subrev_u32_e32 v58, 28, v61
	v_lshlrev_b64 v[58:59], v58, v[38:39]
	v_lshrrev_b32_e32 v60, 3, v41
	v_sub_u32_e32 v59, 29, v61
	v_and_b32_e32 v58, 7, v58
	v_cmp_gt_u32_e32 vcc, 8, v41
	v_cndmask_b32_e32 v41, v60, v59, vcc
	v_cndmask_b32_e32 v57, v57, v58, vcc
	v_lshlrev_b32_e32 v38, 24, v38
	v_bfrev_b32_e32 v58, 60
	v_lshlrev_b32_e32 v57, 20, v57
	v_and_b32_e32 v38, 0x80000000, v38
	v_lshl_add_u32 v41, v41, 23, v58
	v_or3_b32 v57, v38, v41, v57
.LBB601_201:
	s_or_b64 exec, exec, s[10:11]
.LBB601_202:
	s_or_b64 exec, exec, s[8:9]
.LBB601_203:
	s_or_b64 exec, exec, s[2:3]
	v_cvt_pkrtz_f16_f32 v38, v52, v53
	v_cvt_pkrtz_f16_f32 v39, v39, v55
	s_waitcnt vmcnt(5)
	v_cmp_ne_u16_sdwa s[8:9], v34, v51 src0_sel:BYTE_0 src1_sel:DWORD
	v_mfma_f32_16x16x16f16 v[42:45], v[38:39], v[18:19], v[42:45]
	v_cvt_pkrtz_f16_f32 v38, v54, v56
	v_cvt_pkrtz_f16_f32 v39, v40, v57
	s_nop 1
	v_mfma_f32_16x16x16f16 v[38:41], v[38:39], v[20:21], v[42:45]
	s_and_saveexec_b64 s[2:3], s[8:9]
	s_cbranch_execz .LBB601_209
; %bb.204:
	s_movk_i32 s8, 0x80
	v_cmp_ne_u16_sdwa s[10:11], v34, s8 src0_sel:BYTE_0 src1_sel:DWORD
	v_bfrev_b32_e32 v51, 1
	s_and_saveexec_b64 s[8:9], s[10:11]
	s_cbranch_execz .LBB601_208
; %bb.205:
	s_movk_i32 s10, 0x7f
	v_and_b32_e32 v42, 0x7f, v34
	v_cmp_ne_u32_e32 vcc, s10, v42
	v_mov_b32_e32 v51, 0x7f800001
	s_and_saveexec_b64 s[10:11], vcc
	s_cbranch_execz .LBB601_207
; %bb.206:
	v_and_b32_e32 v43, 7, v34
	v_ffbh_u32_e32 v44, v43
	v_min_u32_e32 v52, 32, v44
	v_subrev_u32_e32 v44, 28, v52
	v_lshlrev_b64 v[44:45], v44, v[34:35]
	v_lshrrev_b32_e32 v51, 3, v42
	v_sub_u32_e32 v45, 29, v52
	v_and_b32_e32 v44, 7, v44
	v_cmp_gt_u32_e32 vcc, 8, v42
	v_cndmask_b32_e32 v42, v51, v45, vcc
	v_cndmask_b32_e32 v43, v43, v44, vcc
	v_lshlrev_b32_e32 v44, 24, v34
	v_bfrev_b32_e32 v45, 60
	v_lshlrev_b32_e32 v43, 20, v43
	v_and_b32_e32 v44, 0x80000000, v44
	v_lshl_add_u32 v42, v42, 23, v45
	v_or3_b32 v51, v44, v42, v43
.LBB601_207:
	s_or_b64 exec, exec, s[10:11]
.LBB601_208:
	s_or_b64 exec, exec, s[8:9]
.LBB601_209:
	s_or_b64 exec, exec, s[2:3]
	s_nop 3
	v_lshrrev_b16_e32 v42, 8, v34
	v_cmp_ne_u16_e32 vcc, 0, v42
	v_mov_b32_e32 v43, 0
	v_mov_b32_e32 v44, 0
	s_and_saveexec_b64 s[2:3], vcc
	s_cbranch_execz .LBB601_215
; %bb.210:
	s_movk_i32 s8, 0x80
	v_cmp_ne_u16_e32 vcc, s8, v42
	v_bfrev_b32_e32 v44, 1
	s_and_saveexec_b64 s[8:9], vcc
	s_cbranch_execz .LBB601_214
; %bb.211:
	s_movk_i32 s10, 0x7f
	v_and_b32_e32 v45, 0x7f, v42
	v_cmp_ne_u32_e32 vcc, s10, v45
	v_mov_b32_e32 v44, 0x7f800001
	s_and_saveexec_b64 s[10:11], vcc
	s_cbranch_execz .LBB601_213
; %bb.212:
	v_and_b32_e32 v44, 7, v42
	v_ffbh_u32_e32 v52, v44
	v_min_u32_e32 v55, 32, v52
	v_subrev_u32_e32 v52, 28, v55
	v_lshlrev_b64 v[52:53], v52, v[42:43]
	v_lshrrev_b32_e32 v54, 3, v45
	v_sub_u32_e32 v42, 29, v55
	v_and_b32_e32 v52, 7, v52
	v_cmp_gt_u32_e32 vcc, 8, v45
	v_cndmask_b32_e32 v42, v54, v42, vcc
	v_cndmask_b32_e32 v44, v44, v52, vcc
	v_lshlrev_b32_e32 v45, 16, v34
	v_bfrev_b32_e32 v52, 60
	v_lshlrev_b32_e32 v44, 20, v44
	v_and_b32_e32 v45, 0x80000000, v45
	v_lshl_add_u32 v42, v42, 23, v52
	v_or3_b32 v44, v45, v42, v44
.LBB601_213:
	s_or_b64 exec, exec, s[10:11]
.LBB601_214:
	s_or_b64 exec, exec, s[8:9]
.LBB601_215:
	s_or_b64 exec, exec, s[2:3]
	s_movk_i32 s2, 0xff
	v_and_b32_sdwa v45, v34, s2 dst_sel:DWORD dst_unused:UNUSED_PAD src0_sel:WORD_1 src1_sel:DWORD
	v_lshrrev_b32_e32 v42, 16, v34
	v_cmp_ne_u16_e32 vcc, 0, v45
	s_and_saveexec_b64 s[2:3], vcc
	s_cbranch_execz .LBB601_221
; %bb.216:
	s_movk_i32 s8, 0x80
	v_cmp_ne_u16_e32 vcc, s8, v45
	v_bfrev_b32_e32 v43, 1
	s_and_saveexec_b64 s[8:9], vcc
	s_cbranch_execz .LBB601_220
; %bb.217:
	v_bfe_u32 v45, v34, 16, 7
	s_movk_i32 s10, 0x7f
	v_cmp_ne_u32_e32 vcc, s10, v45
	v_mov_b32_e32 v43, 0x7f800001
	s_and_saveexec_b64 s[10:11], vcc
	s_cbranch_execz .LBB601_219
; %bb.218:
	v_and_b32_e32 v52, 7, v42
	v_ffbh_u32_e32 v43, v52
	v_min_u32_e32 v54, 32, v43
	v_subrev_u32_e32 v43, 28, v54
	v_lshlrev_b64 v[42:43], v43, v[42:43]
	v_lshrrev_b32_e32 v53, 3, v45
	v_sub_u32_e32 v43, 29, v54
	v_and_b32_e32 v42, 7, v42
	v_cmp_gt_u32_e32 vcc, 8, v45
	v_mov_b32_e32 v45, 24
	v_cndmask_b32_e32 v43, v53, v43, vcc
	v_cndmask_b32_e32 v42, v52, v42, vcc
	v_lshlrev_b32_sdwa v45, v45, v34 dst_sel:DWORD dst_unused:UNUSED_PAD src0_sel:DWORD src1_sel:WORD_1
	v_bfrev_b32_e32 v52, 60
	v_lshlrev_b32_e32 v42, 20, v42
	v_and_b32_e32 v45, 0x80000000, v45
	v_lshl_add_u32 v43, v43, 23, v52
	v_or3_b32 v43, v45, v43, v42
.LBB601_219:
	s_or_b64 exec, exec, s[10:11]
.LBB601_220:
	s_or_b64 exec, exec, s[8:9]
.LBB601_221:
	s_or_b64 exec, exec, s[2:3]
	s_mov_b32 s2, 0xffffff
	v_cmp_lt_u32_e32 vcc, s2, v34
	v_mov_b32_e32 v45, 0
	v_mov_b32_e32 v53, 0
	s_and_saveexec_b64 s[2:3], vcc
	s_cbranch_execz .LBB601_227
; %bb.222:
	v_lshrrev_b32_e32 v42, 24, v34
	s_movk_i32 s8, 0x80
	v_cmp_ne_u32_e32 vcc, s8, v42
	v_bfrev_b32_e32 v53, 1
	s_and_saveexec_b64 s[8:9], vcc
	s_cbranch_execz .LBB601_226
; %bb.223:
	v_bfe_u32 v34, v34, 24, 7
	s_movk_i32 s10, 0x7f
	v_cmp_ne_u32_e32 vcc, s10, v34
	v_mov_b32_e32 v53, 0x7f800001
	s_and_saveexec_b64 s[10:11], vcc
	s_cbranch_execz .LBB601_225
; %bb.224:
	v_and_b32_e32 v54, 7, v42
	v_ffbh_u32_e32 v52, v54
	v_min_u32_e32 v56, 32, v52
	v_subrev_u32_e32 v52, 28, v56
	v_lshlrev_b64 v[52:53], v52, v[42:43]
	v_lshrrev_b32_e32 v55, 3, v34
	v_sub_u32_e32 v53, 29, v56
	v_and_b32_e32 v52, 7, v52
	v_cmp_gt_u32_e32 vcc, 8, v34
	v_cndmask_b32_e32 v34, v55, v53, vcc
	v_cndmask_b32_e32 v52, v54, v52, vcc
	v_lshlrev_b32_e32 v42, 24, v42
	v_bfrev_b32_e32 v53, 60
	v_lshlrev_b32_e32 v52, 20, v52
	v_and_b32_e32 v42, 0x80000000, v42
	v_lshl_add_u32 v34, v34, 23, v53
	v_or3_b32 v53, v42, v34, v52
.LBB601_225:
	s_or_b64 exec, exec, s[10:11]
.LBB601_226:
	s_or_b64 exec, exec, s[8:9]
.LBB601_227:
	s_or_b64 exec, exec, s[2:3]
	v_cmp_ne_u16_sdwa s[8:9], v35, v45 src0_sel:BYTE_0 src1_sel:DWORD
	s_and_saveexec_b64 s[2:3], s[8:9]
	s_cbranch_execz .LBB601_233
; %bb.228:
	s_movk_i32 s8, 0x80
	v_cmp_ne_u16_sdwa s[10:11], v35, s8 src0_sel:BYTE_0 src1_sel:DWORD
	v_bfrev_b32_e32 v45, 1
	s_and_saveexec_b64 s[8:9], s[10:11]
	s_cbranch_execz .LBB601_232
; %bb.229:
	s_movk_i32 s10, 0x7f
	v_and_b32_e32 v34, 0x7f, v35
	v_cmp_ne_u32_e32 vcc, s10, v34
	v_mov_b32_e32 v45, 0x7f800001
	s_and_saveexec_b64 s[10:11], vcc
	s_cbranch_execz .LBB601_231
; %bb.230:
	v_and_b32_e32 v45, 7, v35
	v_ffbh_u32_e32 v54, v45
	v_min_u32_e32 v56, 32, v54
	v_mov_b32_e32 v42, v35
	v_subrev_u32_e32 v54, 28, v56
	v_lshlrev_b64 v[54:55], v54, v[42:43]
	v_lshrrev_b32_e32 v52, 3, v34
	v_sub_u32_e32 v42, 29, v56
	v_and_b32_e32 v54, 7, v54
	v_cmp_gt_u32_e32 vcc, 8, v34
	v_cndmask_b32_e32 v34, v52, v42, vcc
	v_cndmask_b32_e32 v42, v45, v54, vcc
	v_lshlrev_b32_e32 v45, 24, v35
	v_bfrev_b32_e32 v52, 60
	v_lshlrev_b32_e32 v42, 20, v42
	v_and_b32_e32 v45, 0x80000000, v45
	v_lshl_add_u32 v34, v34, 23, v52
	v_or3_b32 v45, v45, v34, v42
.LBB601_231:
	s_or_b64 exec, exec, s[10:11]
.LBB601_232:
	s_or_b64 exec, exec, s[8:9]
.LBB601_233:
	s_or_b64 exec, exec, s[2:3]
	v_lshrrev_b16_e32 v34, 8, v35
	v_cmp_ne_u16_e32 vcc, 0, v34
	v_mov_b32_e32 v42, 0
	v_mov_b32_e32 v54, 0
	s_and_saveexec_b64 s[2:3], vcc
	s_cbranch_execz .LBB601_239
; %bb.234:
	s_movk_i32 s8, 0x80
	v_cmp_ne_u16_e32 vcc, s8, v34
	v_bfrev_b32_e32 v54, 1
	s_and_saveexec_b64 s[8:9], vcc
	s_cbranch_execz .LBB601_238
; %bb.235:
	s_movk_i32 s10, 0x7f
	v_and_b32_e32 v52, 0x7f, v34
	v_cmp_ne_u32_e32 vcc, s10, v52
	v_mov_b32_e32 v54, 0x7f800001
	s_and_saveexec_b64 s[10:11], vcc
	s_cbranch_execz .LBB601_237
; %bb.236:
	v_and_b32_e32 v56, 7, v34
	v_ffbh_u32_e32 v54, v56
	v_min_u32_e32 v58, 32, v54
	v_subrev_u32_e32 v54, 28, v58
	v_lshlrev_b64 v[54:55], v54, v[34:35]
	v_lshrrev_b32_e32 v57, 3, v52
	v_sub_u32_e32 v34, 29, v58
	v_and_b32_e32 v54, 7, v54
	v_cmp_gt_u32_e32 vcc, 8, v52
	v_cndmask_b32_e32 v34, v57, v34, vcc
	v_cndmask_b32_e32 v52, v56, v54, vcc
	v_lshlrev_b32_e32 v54, 16, v35
	v_bfrev_b32_e32 v55, 60
	v_lshlrev_b32_e32 v52, 20, v52
	v_and_b32_e32 v54, 0x80000000, v54
	v_lshl_add_u32 v34, v34, 23, v55
	v_or3_b32 v54, v54, v34, v52
.LBB601_237:
	s_or_b64 exec, exec, s[10:11]
.LBB601_238:
	s_or_b64 exec, exec, s[8:9]
.LBB601_239:
	s_or_b64 exec, exec, s[2:3]
	s_movk_i32 s2, 0xff
	v_and_b32_sdwa v52, v35, s2 dst_sel:DWORD dst_unused:UNUSED_PAD src0_sel:WORD_1 src1_sel:DWORD
	v_lshrrev_b32_e32 v34, 16, v35
	v_cmp_ne_u16_e32 vcc, 0, v52
	s_and_saveexec_b64 s[2:3], vcc
	s_cbranch_execz .LBB601_245
; %bb.240:
	s_movk_i32 s8, 0x80
	v_cmp_ne_u16_e32 vcc, s8, v52
	v_bfrev_b32_e32 v42, 1
	s_and_saveexec_b64 s[8:9], vcc
	s_cbranch_execz .LBB601_244
; %bb.241:
	v_bfe_u32 v52, v35, 16, 7
	s_movk_i32 s10, 0x7f
	v_cmp_ne_u32_e32 vcc, s10, v52
	v_mov_b32_e32 v42, 0x7f800001
	s_and_saveexec_b64 s[10:11], vcc
	s_cbranch_execz .LBB601_243
; %bb.242:
	v_and_b32_e32 v42, 7, v34
	v_ffbh_u32_e32 v56, v42
	v_min_u32_e32 v58, 32, v56
	v_subrev_u32_e32 v56, 28, v58
	v_lshlrev_b64 v[56:57], v56, v[34:35]
	v_lshrrev_b32_e32 v55, 3, v52
	v_sub_u32_e32 v34, 29, v58
	v_and_b32_e32 v56, 7, v56
	v_cmp_gt_u32_e32 vcc, 8, v52
	v_mov_b32_e32 v52, 24
	v_cndmask_b32_e32 v34, v55, v34, vcc
	v_cndmask_b32_e32 v42, v42, v56, vcc
	v_lshlrev_b32_sdwa v52, v52, v35 dst_sel:DWORD dst_unused:UNUSED_PAD src0_sel:DWORD src1_sel:WORD_1
	v_bfrev_b32_e32 v55, 60
	v_lshlrev_b32_e32 v42, 20, v42
	v_and_b32_e32 v52, 0x80000000, v52
	v_lshl_add_u32 v34, v34, 23, v55
	v_or3_b32 v42, v52, v34, v42
.LBB601_243:
	s_or_b64 exec, exec, s[10:11]
.LBB601_244:
	s_or_b64 exec, exec, s[8:9]
.LBB601_245:
	s_or_b64 exec, exec, s[2:3]
	s_mov_b32 s2, 0xffffff
	v_cmp_lt_u32_e32 vcc, s2, v35
	v_mov_b32_e32 v52, 0
	v_mov_b32_e32 v55, 0
	s_and_saveexec_b64 s[2:3], vcc
	s_cbranch_execz .LBB601_251
; %bb.246:
	v_lshrrev_b32_e32 v34, 24, v35
	s_movk_i32 s8, 0x80
	v_cmp_ne_u32_e32 vcc, s8, v34
	v_bfrev_b32_e32 v55, 1
	s_and_saveexec_b64 s[8:9], vcc
	s_cbranch_execz .LBB601_250
; %bb.247:
	v_bfe_u32 v35, v35, 24, 7
	s_movk_i32 s10, 0x7f
	v_cmp_ne_u32_e32 vcc, s10, v35
	v_mov_b32_e32 v55, 0x7f800001
	s_and_saveexec_b64 s[10:11], vcc
	s_cbranch_execz .LBB601_249
; %bb.248:
	v_and_b32_e32 v55, 7, v34
	v_ffbh_u32_e32 v56, v55
	v_min_u32_e32 v59, 32, v56
	v_subrev_u32_e32 v56, 28, v59
	v_lshlrev_b64 v[56:57], v56, v[34:35]
	v_lshrrev_b32_e32 v58, 3, v35
	v_sub_u32_e32 v57, 29, v59
	v_and_b32_e32 v56, 7, v56
	v_cmp_gt_u32_e32 vcc, 8, v35
	v_cndmask_b32_e32 v35, v58, v57, vcc
	v_cndmask_b32_e32 v55, v55, v56, vcc
	v_lshlrev_b32_e32 v34, 24, v34
	v_bfrev_b32_e32 v56, 60
	v_lshlrev_b32_e32 v55, 20, v55
	v_and_b32_e32 v34, 0x80000000, v34
	v_lshl_add_u32 v35, v35, 23, v56
	v_or3_b32 v55, v34, v35, v55
.LBB601_249:
	s_or_b64 exec, exec, s[10:11]
.LBB601_250:
	s_or_b64 exec, exec, s[8:9]
.LBB601_251:
	s_or_b64 exec, exec, s[2:3]
	v_cvt_pkrtz_f16_f32 v34, v51, v44
	v_cvt_pkrtz_f16_f32 v35, v43, v53
	v_cmp_ne_u16_sdwa s[8:9], v36, v52 src0_sel:BYTE_0 src1_sel:DWORD
	s_nop 0
	v_mfma_f32_16x16x16f16 v[56:59], v[34:35], v[26:27], 0
	v_cvt_pkrtz_f16_f32 v34, v45, v54
	v_cvt_pkrtz_f16_f32 v35, v42, v55
	s_nop 1
	v_mfma_f32_16x16x16f16 v[42:45], v[34:35], v[28:29], v[56:59]
	s_and_saveexec_b64 s[2:3], s[8:9]
	s_cbranch_execz .LBB601_257
; %bb.252:
	s_movk_i32 s8, 0x80
	v_cmp_ne_u16_sdwa s[10:11], v36, s8 src0_sel:BYTE_0 src1_sel:DWORD
	v_bfrev_b32_e32 v52, 1
	s_and_saveexec_b64 s[8:9], s[10:11]
	s_cbranch_execz .LBB601_256
; %bb.253:
	s_movk_i32 s10, 0x7f
	v_and_b32_e32 v34, 0x7f, v36
	v_cmp_ne_u32_e32 vcc, s10, v34
	v_mov_b32_e32 v52, 0x7f800001
	s_and_saveexec_b64 s[10:11], vcc
	s_cbranch_execz .LBB601_255
; %bb.254:
	v_and_b32_e32 v35, 7, v36
	v_ffbh_u32_e32 v52, v35
	v_min_u32_e32 v54, 32, v52
	v_subrev_u32_e32 v52, 28, v54
	v_lshlrev_b64 v[52:53], v52, v[36:37]
	v_lshrrev_b32_e32 v51, 3, v34
	v_sub_u32_e32 v53, 29, v54
	v_and_b32_e32 v52, 7, v52
	v_cmp_gt_u32_e32 vcc, 8, v34
	v_cndmask_b32_e32 v34, v51, v53, vcc
	v_cndmask_b32_e32 v35, v35, v52, vcc
	v_lshlrev_b32_e32 v51, 24, v36
	v_bfrev_b32_e32 v52, 60
	v_lshlrev_b32_e32 v35, 20, v35
	v_and_b32_e32 v51, 0x80000000, v51
	v_lshl_add_u32 v34, v34, 23, v52
	v_or3_b32 v52, v51, v34, v35
.LBB601_255:
	s_or_b64 exec, exec, s[10:11]
.LBB601_256:
	s_or_b64 exec, exec, s[8:9]
.LBB601_257:
	s_or_b64 exec, exec, s[2:3]
	v_lshrrev_b16_e32 v34, 8, v36
	v_cmp_ne_u16_e32 vcc, 0, v34
	v_mov_b32_e32 v35, 0
	v_mov_b32_e32 v53, 0
	s_and_saveexec_b64 s[2:3], vcc
	s_cbranch_execz .LBB601_263
; %bb.258:
	s_movk_i32 s8, 0x80
	v_cmp_ne_u16_e32 vcc, s8, v34
	v_bfrev_b32_e32 v53, 1
	s_and_saveexec_b64 s[8:9], vcc
	s_cbranch_execz .LBB601_262
; %bb.259:
	s_movk_i32 s10, 0x7f
	v_and_b32_e32 v51, 0x7f, v34
	v_cmp_ne_u32_e32 vcc, s10, v51
	v_mov_b32_e32 v53, 0x7f800001
	s_and_saveexec_b64 s[10:11], vcc
	s_cbranch_execz .LBB601_261
; %bb.260:
	v_and_b32_e32 v53, 7, v34
	v_ffbh_u32_e32 v54, v53
	v_min_u32_e32 v57, 32, v54
	v_subrev_u32_e32 v54, 28, v57
	v_lshlrev_b64 v[54:55], v54, v[34:35]
	v_lshrrev_b32_e32 v56, 3, v51
	v_sub_u32_e32 v34, 29, v57
	v_and_b32_e32 v54, 7, v54
	v_cmp_gt_u32_e32 vcc, 8, v51
	v_cndmask_b32_e32 v34, v56, v34, vcc
	v_cndmask_b32_e32 v51, v53, v54, vcc
	v_lshlrev_b32_e32 v53, 16, v36
	v_bfrev_b32_e32 v54, 60
	v_lshlrev_b32_e32 v51, 20, v51
	v_and_b32_e32 v53, 0x80000000, v53
	v_lshl_add_u32 v34, v34, 23, v54
	v_or3_b32 v53, v53, v34, v51
.LBB601_261:
	s_or_b64 exec, exec, s[10:11]
.LBB601_262:
	s_or_b64 exec, exec, s[8:9]
.LBB601_263:
	s_or_b64 exec, exec, s[2:3]
	s_movk_i32 s2, 0xff
	v_and_b32_sdwa v51, v36, s2 dst_sel:DWORD dst_unused:UNUSED_PAD src0_sel:WORD_1 src1_sel:DWORD
	v_lshrrev_b32_e32 v34, 16, v36
	v_cmp_ne_u16_e32 vcc, 0, v51
	s_and_saveexec_b64 s[2:3], vcc
	s_cbranch_execz .LBB601_269
; %bb.264:
	s_movk_i32 s8, 0x80
	v_cmp_ne_u16_e32 vcc, s8, v51
	v_bfrev_b32_e32 v35, 1
	s_and_saveexec_b64 s[8:9], vcc
	s_cbranch_execz .LBB601_268
; %bb.265:
	v_bfe_u32 v51, v36, 16, 7
	s_movk_i32 s10, 0x7f
	v_cmp_ne_u32_e32 vcc, s10, v51
	v_mov_b32_e32 v35, 0x7f800001
	s_and_saveexec_b64 s[10:11], vcc
	s_cbranch_execz .LBB601_267
; %bb.266:
	v_and_b32_e32 v54, 7, v34
	v_ffbh_u32_e32 v35, v54
	v_min_u32_e32 v56, 32, v35
	v_subrev_u32_e32 v35, 28, v56
	v_lshlrev_b64 v[34:35], v35, v[34:35]
	v_lshrrev_b32_e32 v55, 3, v51
	v_sub_u32_e32 v35, 29, v56
	v_and_b32_e32 v34, 7, v34
	v_cmp_gt_u32_e32 vcc, 8, v51
	v_mov_b32_e32 v51, 24
	v_cndmask_b32_e32 v35, v55, v35, vcc
	v_cndmask_b32_e32 v34, v54, v34, vcc
	v_lshlrev_b32_sdwa v51, v51, v36 dst_sel:DWORD dst_unused:UNUSED_PAD src0_sel:DWORD src1_sel:WORD_1
	v_bfrev_b32_e32 v54, 60
	v_lshlrev_b32_e32 v34, 20, v34
	v_and_b32_e32 v51, 0x80000000, v51
	v_lshl_add_u32 v35, v35, 23, v54
	v_or3_b32 v35, v51, v35, v34
.LBB601_267:
	s_or_b64 exec, exec, s[10:11]
.LBB601_268:
	s_or_b64 exec, exec, s[8:9]
.LBB601_269:
	s_or_b64 exec, exec, s[2:3]
	s_mov_b32 s2, 0xffffff
	v_cmp_lt_u32_e32 vcc, s2, v36
	v_mov_b32_e32 v54, 0
	v_mov_b32_e32 v55, 0
	s_and_saveexec_b64 s[2:3], vcc
	s_cbranch_execz .LBB601_275
; %bb.270:
	v_lshrrev_b32_e32 v34, 24, v36
	s_movk_i32 s8, 0x80
	v_cmp_ne_u32_e32 vcc, s8, v34
	v_bfrev_b32_e32 v55, 1
	s_and_saveexec_b64 s[8:9], vcc
	s_cbranch_execz .LBB601_274
; %bb.271:
	v_bfe_u32 v36, v36, 24, 7
	s_movk_i32 s10, 0x7f
	v_cmp_ne_u32_e32 vcc, s10, v36
	v_mov_b32_e32 v55, 0x7f800001
	s_and_saveexec_b64 s[10:11], vcc
	s_cbranch_execz .LBB601_273
; %bb.272:
	v_and_b32_e32 v51, 7, v34
	v_ffbh_u32_e32 v56, v51
	v_min_u32_e32 v58, 32, v56
	v_subrev_u32_e32 v56, 28, v58
	v_lshlrev_b64 v[56:57], v56, v[34:35]
	v_lshrrev_b32_e32 v55, 3, v36
	v_sub_u32_e32 v57, 29, v58
	v_and_b32_e32 v56, 7, v56
	v_cmp_gt_u32_e32 vcc, 8, v36
	v_cndmask_b32_e32 v36, v55, v57, vcc
	v_cndmask_b32_e32 v51, v51, v56, vcc
	v_lshlrev_b32_e32 v34, 24, v34
	v_bfrev_b32_e32 v55, 60
	v_lshlrev_b32_e32 v51, 20, v51
	v_and_b32_e32 v34, 0x80000000, v34
	v_lshl_add_u32 v36, v36, 23, v55
	v_or3_b32 v55, v34, v36, v51
.LBB601_273:
	s_or_b64 exec, exec, s[10:11]
.LBB601_274:
	s_or_b64 exec, exec, s[8:9]
.LBB601_275:
	s_or_b64 exec, exec, s[2:3]
	v_cmp_ne_u16_sdwa s[8:9], v37, v54 src0_sel:BYTE_0 src1_sel:DWORD
	s_and_saveexec_b64 s[2:3], s[8:9]
	s_cbranch_execz .LBB601_281
; %bb.276:
	s_movk_i32 s8, 0x80
	v_cmp_ne_u16_sdwa s[10:11], v37, s8 src0_sel:BYTE_0 src1_sel:DWORD
	v_bfrev_b32_e32 v54, 1
	s_and_saveexec_b64 s[8:9], s[10:11]
	s_cbranch_execz .LBB601_280
; %bb.277:
	s_movk_i32 s10, 0x7f
	v_and_b32_e32 v34, 0x7f, v37
	v_cmp_ne_u32_e32 vcc, s10, v34
	v_mov_b32_e32 v54, 0x7f800001
	s_and_saveexec_b64 s[10:11], vcc
	s_cbranch_execz .LBB601_279
; %bb.278:
	v_and_b32_e32 v51, 7, v37
	v_ffbh_u32_e32 v56, v51
	v_min_u32_e32 v58, 32, v56
	v_mov_b32_e32 v36, v37
	v_subrev_u32_e32 v56, 28, v58
	v_lshlrev_b64 v[56:57], v56, v[36:37]
	v_lshrrev_b32_e32 v54, 3, v34
	v_sub_u32_e32 v36, 29, v58
	v_and_b32_e32 v56, 7, v56
	v_cmp_gt_u32_e32 vcc, 8, v34
	v_cndmask_b32_e32 v34, v54, v36, vcc
	v_cndmask_b32_e32 v36, v51, v56, vcc
	v_lshlrev_b32_e32 v51, 24, v37
	v_bfrev_b32_e32 v54, 60
	v_lshlrev_b32_e32 v36, 20, v36
	v_and_b32_e32 v51, 0x80000000, v51
	v_lshl_add_u32 v34, v34, 23, v54
	v_or3_b32 v54, v51, v34, v36
.LBB601_279:
	s_or_b64 exec, exec, s[10:11]
.LBB601_280:
	s_or_b64 exec, exec, s[8:9]
.LBB601_281:
	s_or_b64 exec, exec, s[2:3]
	v_lshrrev_b16_e32 v34, 8, v37
	v_cmp_ne_u16_e32 vcc, 0, v34
	v_mov_b32_e32 v36, 0
	v_mov_b32_e32 v56, 0
	s_and_saveexec_b64 s[2:3], vcc
	s_cbranch_execz .LBB601_287
; %bb.282:
	s_movk_i32 s8, 0x80
	v_cmp_ne_u16_e32 vcc, s8, v34
	v_bfrev_b32_e32 v56, 1
	s_and_saveexec_b64 s[8:9], vcc
	s_cbranch_execz .LBB601_286
; %bb.283:
	s_movk_i32 s10, 0x7f
	v_and_b32_e32 v51, 0x7f, v34
	v_cmp_ne_u32_e32 vcc, s10, v51
	v_mov_b32_e32 v56, 0x7f800001
	s_and_saveexec_b64 s[10:11], vcc
	s_cbranch_execz .LBB601_285
; %bb.284:
	v_and_b32_e32 v58, 7, v34
	v_ffbh_u32_e32 v56, v58
	v_min_u32_e32 v60, 32, v56
	v_subrev_u32_e32 v56, 28, v60
	v_lshlrev_b64 v[56:57], v56, v[34:35]
	v_lshrrev_b32_e32 v59, 3, v51
	v_sub_u32_e32 v34, 29, v60
	v_and_b32_e32 v56, 7, v56
	v_cmp_gt_u32_e32 vcc, 8, v51
	v_cndmask_b32_e32 v34, v59, v34, vcc
	v_cndmask_b32_e32 v51, v58, v56, vcc
	v_lshlrev_b32_e32 v56, 16, v37
	v_bfrev_b32_e32 v57, 60
	v_lshlrev_b32_e32 v51, 20, v51
	v_and_b32_e32 v56, 0x80000000, v56
	v_lshl_add_u32 v34, v34, 23, v57
	v_or3_b32 v56, v56, v34, v51
.LBB601_285:
	s_or_b64 exec, exec, s[10:11]
.LBB601_286:
	s_or_b64 exec, exec, s[8:9]
.LBB601_287:
	s_or_b64 exec, exec, s[2:3]
	s_movk_i32 s2, 0xff
	v_and_b32_sdwa v51, v37, s2 dst_sel:DWORD dst_unused:UNUSED_PAD src0_sel:WORD_1 src1_sel:DWORD
	v_lshrrev_b32_e32 v34, 16, v37
	v_cmp_ne_u16_e32 vcc, 0, v51
	s_and_saveexec_b64 s[2:3], vcc
	s_cbranch_execz .LBB601_293
; %bb.288:
	s_movk_i32 s8, 0x80
	v_cmp_ne_u16_e32 vcc, s8, v51
	v_bfrev_b32_e32 v36, 1
	s_and_saveexec_b64 s[8:9], vcc
	s_cbranch_execz .LBB601_292
; %bb.289:
	v_bfe_u32 v51, v37, 16, 7
	s_movk_i32 s10, 0x7f
	v_cmp_ne_u32_e32 vcc, s10, v51
	v_mov_b32_e32 v36, 0x7f800001
	s_and_saveexec_b64 s[10:11], vcc
	s_cbranch_execz .LBB601_291
; %bb.290:
	v_and_b32_e32 v36, 7, v34
	v_ffbh_u32_e32 v58, v36
	v_min_u32_e32 v60, 32, v58
	v_subrev_u32_e32 v58, 28, v60
	v_lshlrev_b64 v[58:59], v58, v[34:35]
	v_lshrrev_b32_e32 v57, 3, v51
	v_sub_u32_e32 v34, 29, v60
	v_and_b32_e32 v58, 7, v58
	v_cmp_gt_u32_e32 vcc, 8, v51
	v_mov_b32_e32 v51, 24
	v_cndmask_b32_e32 v34, v57, v34, vcc
	v_cndmask_b32_e32 v36, v36, v58, vcc
	v_lshlrev_b32_sdwa v51, v51, v37 dst_sel:DWORD dst_unused:UNUSED_PAD src0_sel:DWORD src1_sel:WORD_1
	v_bfrev_b32_e32 v57, 60
	v_lshlrev_b32_e32 v36, 20, v36
	v_and_b32_e32 v51, 0x80000000, v51
	v_lshl_add_u32 v34, v34, 23, v57
	v_or3_b32 v36, v51, v34, v36
.LBB601_291:
	s_or_b64 exec, exec, s[10:11]
.LBB601_292:
	s_or_b64 exec, exec, s[8:9]
.LBB601_293:
	s_or_b64 exec, exec, s[2:3]
	s_mov_b32 s2, 0xffffff
	v_cmp_lt_u32_e32 vcc, s2, v37
	v_mov_b32_e32 v51, 0
	v_mov_b32_e32 v57, 0
	s_and_saveexec_b64 s[2:3], vcc
	s_cbranch_execz .LBB601_299
; %bb.294:
	v_lshrrev_b32_e32 v34, 24, v37
	s_movk_i32 s8, 0x80
	v_cmp_ne_u32_e32 vcc, s8, v34
	v_bfrev_b32_e32 v57, 1
	s_and_saveexec_b64 s[8:9], vcc
	s_cbranch_execz .LBB601_298
; %bb.295:
	v_bfe_u32 v37, v37, 24, 7
	s_movk_i32 s10, 0x7f
	v_cmp_ne_u32_e32 vcc, s10, v37
	v_mov_b32_e32 v57, 0x7f800001
	s_and_saveexec_b64 s[10:11], vcc
	s_cbranch_execz .LBB601_297
; %bb.296:
	v_and_b32_e32 v57, 7, v34
	v_ffbh_u32_e32 v58, v57
	v_min_u32_e32 v61, 32, v58
	v_subrev_u32_e32 v58, 28, v61
	v_lshlrev_b64 v[58:59], v58, v[34:35]
	v_lshrrev_b32_e32 v60, 3, v37
	v_sub_u32_e32 v59, 29, v61
	v_and_b32_e32 v58, 7, v58
	v_cmp_gt_u32_e32 vcc, 8, v37
	v_cndmask_b32_e32 v37, v60, v59, vcc
	v_cndmask_b32_e32 v57, v57, v58, vcc
	v_lshlrev_b32_e32 v34, 24, v34
	v_bfrev_b32_e32 v58, 60
	v_lshlrev_b32_e32 v57, 20, v57
	v_and_b32_e32 v34, 0x80000000, v34
	v_lshl_add_u32 v37, v37, 23, v58
	v_or3_b32 v57, v34, v37, v57
.LBB601_297:
	s_or_b64 exec, exec, s[10:11]
.LBB601_298:
	s_or_b64 exec, exec, s[8:9]
.LBB601_299:
	s_or_b64 exec, exec, s[2:3]
	v_cvt_pkrtz_f16_f32 v34, v52, v53
	v_cvt_pkrtz_f16_f32 v35, v35, v55
	s_waitcnt vmcnt(4)
	v_cmp_ne_u16_sdwa s[8:9], v22, v51 src0_sel:BYTE_0 src1_sel:DWORD
	v_mfma_f32_16x16x16f16 v[42:45], v[34:35], v[18:19], v[42:45]
	v_cvt_pkrtz_f16_f32 v34, v54, v56
	v_cvt_pkrtz_f16_f32 v35, v36, v57
	s_nop 1
	v_mfma_f32_16x16x16f16 v[34:37], v[34:35], v[20:21], v[42:45]
	s_and_saveexec_b64 s[2:3], s[8:9]
	s_cbranch_execz .LBB601_305
; %bb.300:
	s_movk_i32 s8, 0x80
	v_cmp_ne_u16_sdwa s[10:11], v22, s8 src0_sel:BYTE_0 src1_sel:DWORD
	v_bfrev_b32_e32 v51, 1
	s_and_saveexec_b64 s[8:9], s[10:11]
	s_cbranch_execz .LBB601_304
; %bb.301:
	s_movk_i32 s10, 0x7f
	v_and_b32_e32 v42, 0x7f, v22
	v_cmp_ne_u32_e32 vcc, s10, v42
	v_mov_b32_e32 v51, 0x7f800001
	s_and_saveexec_b64 s[10:11], vcc
	s_cbranch_execz .LBB601_303
; %bb.302:
	v_and_b32_e32 v43, 7, v22
	v_ffbh_u32_e32 v44, v43
	v_min_u32_e32 v52, 32, v44
	v_subrev_u32_e32 v44, 28, v52
	v_lshlrev_b64 v[44:45], v44, v[22:23]
	v_lshrrev_b32_e32 v51, 3, v42
	v_sub_u32_e32 v45, 29, v52
	v_and_b32_e32 v44, 7, v44
	v_cmp_gt_u32_e32 vcc, 8, v42
	v_cndmask_b32_e32 v42, v51, v45, vcc
	v_cndmask_b32_e32 v43, v43, v44, vcc
	v_lshlrev_b32_e32 v44, 24, v22
	v_bfrev_b32_e32 v45, 60
	v_lshlrev_b32_e32 v43, 20, v43
	v_and_b32_e32 v44, 0x80000000, v44
	v_lshl_add_u32 v42, v42, 23, v45
	v_or3_b32 v51, v44, v42, v43
.LBB601_303:
	s_or_b64 exec, exec, s[10:11]
.LBB601_304:
	s_or_b64 exec, exec, s[8:9]
.LBB601_305:
	s_or_b64 exec, exec, s[2:3]
	s_nop 3
	v_lshrrev_b16_e32 v42, 8, v22
	v_cmp_ne_u16_e32 vcc, 0, v42
	v_mov_b32_e32 v43, 0
	v_mov_b32_e32 v44, 0
	s_and_saveexec_b64 s[2:3], vcc
	s_cbranch_execz .LBB601_311
; %bb.306:
	s_movk_i32 s8, 0x80
	v_cmp_ne_u16_e32 vcc, s8, v42
	v_bfrev_b32_e32 v44, 1
	s_and_saveexec_b64 s[8:9], vcc
	s_cbranch_execz .LBB601_310
; %bb.307:
	s_movk_i32 s10, 0x7f
	v_and_b32_e32 v45, 0x7f, v42
	v_cmp_ne_u32_e32 vcc, s10, v45
	v_mov_b32_e32 v44, 0x7f800001
	s_and_saveexec_b64 s[10:11], vcc
	s_cbranch_execz .LBB601_309
; %bb.308:
	v_and_b32_e32 v44, 7, v42
	v_ffbh_u32_e32 v52, v44
	v_min_u32_e32 v55, 32, v52
	v_subrev_u32_e32 v52, 28, v55
	v_lshlrev_b64 v[52:53], v52, v[42:43]
	v_lshrrev_b32_e32 v54, 3, v45
	v_sub_u32_e32 v42, 29, v55
	v_and_b32_e32 v52, 7, v52
	v_cmp_gt_u32_e32 vcc, 8, v45
	v_cndmask_b32_e32 v42, v54, v42, vcc
	v_cndmask_b32_e32 v44, v44, v52, vcc
	v_lshlrev_b32_e32 v45, 16, v22
	v_bfrev_b32_e32 v52, 60
	v_lshlrev_b32_e32 v44, 20, v44
	v_and_b32_e32 v45, 0x80000000, v45
	v_lshl_add_u32 v42, v42, 23, v52
	v_or3_b32 v44, v45, v42, v44
.LBB601_309:
	s_or_b64 exec, exec, s[10:11]
.LBB601_310:
	s_or_b64 exec, exec, s[8:9]
.LBB601_311:
	s_or_b64 exec, exec, s[2:3]
	s_movk_i32 s2, 0xff
	v_and_b32_sdwa v45, v22, s2 dst_sel:DWORD dst_unused:UNUSED_PAD src0_sel:WORD_1 src1_sel:DWORD
	v_lshrrev_b32_e32 v42, 16, v22
	v_cmp_ne_u16_e32 vcc, 0, v45
	s_and_saveexec_b64 s[2:3], vcc
	s_cbranch_execz .LBB601_317
; %bb.312:
	s_movk_i32 s8, 0x80
	v_cmp_ne_u16_e32 vcc, s8, v45
	v_bfrev_b32_e32 v43, 1
	s_and_saveexec_b64 s[8:9], vcc
	s_cbranch_execz .LBB601_316
; %bb.313:
	v_bfe_u32 v45, v22, 16, 7
	s_movk_i32 s10, 0x7f
	v_cmp_ne_u32_e32 vcc, s10, v45
	v_mov_b32_e32 v43, 0x7f800001
	s_and_saveexec_b64 s[10:11], vcc
	s_cbranch_execz .LBB601_315
; %bb.314:
	v_and_b32_e32 v52, 7, v42
	v_ffbh_u32_e32 v43, v52
	v_min_u32_e32 v54, 32, v43
	v_subrev_u32_e32 v43, 28, v54
	v_lshlrev_b64 v[42:43], v43, v[42:43]
	v_lshrrev_b32_e32 v53, 3, v45
	v_sub_u32_e32 v43, 29, v54
	v_and_b32_e32 v42, 7, v42
	v_cmp_gt_u32_e32 vcc, 8, v45
	v_mov_b32_e32 v45, 24
	v_cndmask_b32_e32 v43, v53, v43, vcc
	v_cndmask_b32_e32 v42, v52, v42, vcc
	v_lshlrev_b32_sdwa v45, v45, v22 dst_sel:DWORD dst_unused:UNUSED_PAD src0_sel:DWORD src1_sel:WORD_1
	v_bfrev_b32_e32 v52, 60
	v_lshlrev_b32_e32 v42, 20, v42
	v_and_b32_e32 v45, 0x80000000, v45
	v_lshl_add_u32 v43, v43, 23, v52
	v_or3_b32 v43, v45, v43, v42
.LBB601_315:
	s_or_b64 exec, exec, s[10:11]
.LBB601_316:
	s_or_b64 exec, exec, s[8:9]
.LBB601_317:
	s_or_b64 exec, exec, s[2:3]
	s_mov_b32 s2, 0xffffff
	v_cmp_lt_u32_e32 vcc, s2, v22
	v_mov_b32_e32 v45, 0
	v_mov_b32_e32 v52, 0
	s_and_saveexec_b64 s[2:3], vcc
	s_cbranch_execz .LBB601_323
; %bb.318:
	v_lshrrev_b32_e32 v42, 24, v22
	s_movk_i32 s8, 0x80
	v_cmp_ne_u32_e32 vcc, s8, v42
	v_bfrev_b32_e32 v52, 1
	s_and_saveexec_b64 s[8:9], vcc
	s_cbranch_execz .LBB601_322
; %bb.319:
	v_bfe_u32 v22, v22, 24, 7
	s_movk_i32 s10, 0x7f
	v_cmp_ne_u32_e32 vcc, s10, v22
	v_mov_b32_e32 v52, 0x7f800001
	s_and_saveexec_b64 s[10:11], vcc
	s_cbranch_execz .LBB601_321
; %bb.320:
	v_and_b32_e32 v54, 7, v42
	v_ffbh_u32_e32 v52, v54
	v_min_u32_e32 v56, 32, v52
	v_subrev_u32_e32 v52, 28, v56
	v_lshlrev_b64 v[52:53], v52, v[42:43]
	v_lshrrev_b32_e32 v55, 3, v22
	v_sub_u32_e32 v53, 29, v56
	v_and_b32_e32 v52, 7, v52
	v_cmp_gt_u32_e32 vcc, 8, v22
	v_cndmask_b32_e32 v22, v55, v53, vcc
	v_cndmask_b32_e32 v52, v54, v52, vcc
	v_lshlrev_b32_e32 v42, 24, v42
	v_bfrev_b32_e32 v53, 60
	v_lshlrev_b32_e32 v52, 20, v52
	v_and_b32_e32 v42, 0x80000000, v42
	v_lshl_add_u32 v22, v22, 23, v53
	v_or3_b32 v52, v42, v22, v52
.LBB601_321:
	s_or_b64 exec, exec, s[10:11]
.LBB601_322:
	s_or_b64 exec, exec, s[8:9]
.LBB601_323:
	s_or_b64 exec, exec, s[2:3]
	v_cmp_ne_u16_sdwa s[8:9], v23, v45 src0_sel:BYTE_0 src1_sel:DWORD
	s_and_saveexec_b64 s[2:3], s[8:9]
	s_cbranch_execz .LBB601_329
; %bb.324:
	s_movk_i32 s8, 0x80
	v_cmp_ne_u16_sdwa s[10:11], v23, s8 src0_sel:BYTE_0 src1_sel:DWORD
	v_bfrev_b32_e32 v45, 1
	s_and_saveexec_b64 s[8:9], s[10:11]
	s_cbranch_execz .LBB601_328
; %bb.325:
	s_movk_i32 s10, 0x7f
	v_and_b32_e32 v22, 0x7f, v23
	v_cmp_ne_u32_e32 vcc, s10, v22
	v_mov_b32_e32 v45, 0x7f800001
	s_and_saveexec_b64 s[10:11], vcc
	s_cbranch_execz .LBB601_327
; %bb.326:
	v_and_b32_e32 v45, 7, v23
	v_ffbh_u32_e32 v54, v45
	v_min_u32_e32 v56, 32, v54
	v_mov_b32_e32 v42, v23
	v_subrev_u32_e32 v54, 28, v56
	v_lshlrev_b64 v[54:55], v54, v[42:43]
	v_lshrrev_b32_e32 v53, 3, v22
	v_sub_u32_e32 v42, 29, v56
	v_and_b32_e32 v54, 7, v54
	v_cmp_gt_u32_e32 vcc, 8, v22
	v_cndmask_b32_e32 v22, v53, v42, vcc
	v_cndmask_b32_e32 v42, v45, v54, vcc
	v_lshlrev_b32_e32 v45, 24, v23
	v_bfrev_b32_e32 v53, 60
	v_lshlrev_b32_e32 v42, 20, v42
	v_and_b32_e32 v45, 0x80000000, v45
	v_lshl_add_u32 v22, v22, 23, v53
	v_or3_b32 v45, v45, v22, v42
.LBB601_327:
	s_or_b64 exec, exec, s[10:11]
.LBB601_328:
	s_or_b64 exec, exec, s[8:9]
.LBB601_329:
	s_or_b64 exec, exec, s[2:3]
	v_lshrrev_b16_e32 v22, 8, v23
	v_cmp_ne_u16_e32 vcc, 0, v22
	v_mov_b32_e32 v53, 0
	v_mov_b32_e32 v54, 0
	s_and_saveexec_b64 s[2:3], vcc
	s_cbranch_execz .LBB601_335
; %bb.330:
	s_movk_i32 s8, 0x80
	v_cmp_ne_u16_e32 vcc, s8, v22
	v_bfrev_b32_e32 v54, 1
	s_and_saveexec_b64 s[8:9], vcc
	s_cbranch_execz .LBB601_334
; %bb.331:
	s_movk_i32 s10, 0x7f
	v_and_b32_e32 v42, 0x7f, v22
	v_cmp_ne_u32_e32 vcc, s10, v42
	v_mov_b32_e32 v54, 0x7f800001
	s_and_saveexec_b64 s[10:11], vcc
	s_cbranch_execz .LBB601_333
; %bb.332:
	v_and_b32_e32 v56, 7, v22
	v_ffbh_u32_e32 v54, v56
	v_min_u32_e32 v58, 32, v54
	v_subrev_u32_e32 v54, 28, v58
	v_lshlrev_b64 v[54:55], v54, v[22:23]
	v_lshrrev_b32_e32 v57, 3, v42
	v_sub_u32_e32 v22, 29, v58
	v_and_b32_e32 v54, 7, v54
	v_cmp_gt_u32_e32 vcc, 8, v42
	v_cndmask_b32_e32 v22, v57, v22, vcc
	v_cndmask_b32_e32 v42, v56, v54, vcc
	v_lshlrev_b32_e32 v54, 16, v23
	v_bfrev_b32_e32 v55, 60
	v_lshlrev_b32_e32 v42, 20, v42
	v_and_b32_e32 v54, 0x80000000, v54
	v_lshl_add_u32 v22, v22, 23, v55
	v_or3_b32 v54, v54, v22, v42
.LBB601_333:
	s_or_b64 exec, exec, s[10:11]
.LBB601_334:
	s_or_b64 exec, exec, s[8:9]
.LBB601_335:
	s_or_b64 exec, exec, s[2:3]
	s_movk_i32 s2, 0xff
	v_and_b32_sdwa v42, v23, s2 dst_sel:DWORD dst_unused:UNUSED_PAD src0_sel:WORD_1 src1_sel:DWORD
	v_lshrrev_b32_e32 v22, 16, v23
	v_cmp_ne_u16_e32 vcc, 0, v42
	s_and_saveexec_b64 s[2:3], vcc
	s_cbranch_execz .LBB601_341
; %bb.336:
	s_movk_i32 s8, 0x80
	v_cmp_ne_u16_e32 vcc, s8, v42
	v_bfrev_b32_e32 v53, 1
	s_and_saveexec_b64 s[8:9], vcc
	s_cbranch_execz .LBB601_340
; %bb.337:
	v_bfe_u32 v42, v23, 16, 7
	s_movk_i32 s10, 0x7f
	v_cmp_ne_u32_e32 vcc, s10, v42
	v_mov_b32_e32 v53, 0x7f800001
	s_and_saveexec_b64 s[10:11], vcc
	s_cbranch_execz .LBB601_339
; %bb.338:
	v_and_b32_e32 v53, 7, v22
	v_ffbh_u32_e32 v56, v53
	v_min_u32_e32 v58, 32, v56
	v_subrev_u32_e32 v56, 28, v58
	v_lshlrev_b64 v[56:57], v56, v[22:23]
	v_and_b32_e32 v56, 7, v56
	v_cmp_gt_u32_e32 vcc, 8, v42
	v_lshrrev_b32_e32 v55, 3, v42
	v_sub_u32_e32 v22, 29, v58
	v_cndmask_b32_e32 v42, v53, v56, vcc
	v_mov_b32_e32 v53, 24
	v_cndmask_b32_e32 v22, v55, v22, vcc
	v_lshlrev_b32_sdwa v53, v53, v23 dst_sel:DWORD dst_unused:UNUSED_PAD src0_sel:DWORD src1_sel:WORD_1
	v_bfrev_b32_e32 v55, 60
	v_lshlrev_b32_e32 v42, 20, v42
	v_and_b32_e32 v53, 0x80000000, v53
	v_lshl_add_u32 v22, v22, 23, v55
	v_or3_b32 v53, v53, v22, v42
.LBB601_339:
	s_or_b64 exec, exec, s[10:11]
.LBB601_340:
	s_or_b64 exec, exec, s[8:9]
.LBB601_341:
	s_or_b64 exec, exec, s[2:3]
	s_mov_b32 s2, 0xffffff
	v_cmp_lt_u32_e32 vcc, s2, v23
	v_mov_b32_e32 v42, 0
	v_mov_b32_e32 v55, 0
	s_and_saveexec_b64 s[2:3], vcc
	s_cbranch_execz .LBB601_347
; %bb.342:
	v_lshrrev_b32_e32 v22, 24, v23
	s_movk_i32 s8, 0x80
	v_cmp_ne_u32_e32 vcc, s8, v22
	v_bfrev_b32_e32 v55, 1
	s_and_saveexec_b64 s[8:9], vcc
	s_cbranch_execz .LBB601_346
; %bb.343:
	v_bfe_u32 v23, v23, 24, 7
	s_movk_i32 s10, 0x7f
	v_cmp_ne_u32_e32 vcc, s10, v23
	v_mov_b32_e32 v55, 0x7f800001
	s_and_saveexec_b64 s[10:11], vcc
	s_cbranch_execz .LBB601_345
; %bb.344:
	v_and_b32_e32 v55, 7, v22
	v_ffbh_u32_e32 v56, v55
	v_min_u32_e32 v59, 32, v56
	v_subrev_u32_e32 v56, 28, v59
	v_lshlrev_b64 v[56:57], v56, v[22:23]
	v_lshrrev_b32_e32 v58, 3, v23
	v_sub_u32_e32 v57, 29, v59
	v_and_b32_e32 v56, 7, v56
	v_cmp_gt_u32_e32 vcc, 8, v23
	v_cndmask_b32_e32 v23, v58, v57, vcc
	v_cndmask_b32_e32 v55, v55, v56, vcc
	v_lshlrev_b32_e32 v22, 24, v22
	v_bfrev_b32_e32 v56, 60
	v_lshlrev_b32_e32 v55, 20, v55
	v_and_b32_e32 v22, 0x80000000, v22
	v_lshl_add_u32 v23, v23, 23, v56
	v_or3_b32 v55, v22, v23, v55
.LBB601_345:
	s_or_b64 exec, exec, s[10:11]
.LBB601_346:
	s_or_b64 exec, exec, s[8:9]
.LBB601_347:
	s_or_b64 exec, exec, s[2:3]
	v_cvt_pkrtz_f16_f32 v22, v51, v44
	v_cvt_pkrtz_f16_f32 v23, v43, v52
	v_cmp_ne_u16_sdwa s[8:9], v24, v42 src0_sel:BYTE_0 src1_sel:DWORD
	s_nop 0
	v_mfma_f32_16x16x16f16 v[56:59], v[22:23], v[26:27], 0
	v_cvt_pkrtz_f16_f32 v22, v45, v54
	v_cvt_pkrtz_f16_f32 v23, v53, v55
	s_nop 1
	v_mfma_f32_16x16x16f16 v[26:29], v[22:23], v[28:29], v[56:59]
	s_and_saveexec_b64 s[2:3], s[8:9]
	s_cbranch_execz .LBB601_353
; %bb.348:
	s_movk_i32 s8, 0x80
	v_cmp_ne_u16_sdwa s[10:11], v24, s8 src0_sel:BYTE_0 src1_sel:DWORD
	v_bfrev_b32_e32 v42, 1
	s_and_saveexec_b64 s[8:9], s[10:11]
	s_cbranch_execz .LBB601_352
; %bb.349:
	s_movk_i32 s10, 0x7f
	v_and_b32_e32 v22, 0x7f, v24
	v_cmp_ne_u32_e32 vcc, s10, v22
	v_mov_b32_e32 v42, 0x7f800001
	s_and_saveexec_b64 s[10:11], vcc
	s_cbranch_execz .LBB601_351
; %bb.350:
	v_and_b32_e32 v23, 7, v24
	v_ffbh_u32_e32 v42, v23
	v_min_u32_e32 v45, 32, v42
	v_subrev_u32_e32 v42, 28, v45
	v_lshlrev_b64 v[42:43], v42, v[24:25]
	v_lshrrev_b32_e32 v44, 3, v22
	v_sub_u32_e32 v43, 29, v45
	v_and_b32_e32 v42, 7, v42
	v_cmp_gt_u32_e32 vcc, 8, v22
	v_cndmask_b32_e32 v22, v44, v43, vcc
	v_cndmask_b32_e32 v23, v23, v42, vcc
	v_lshlrev_b32_e32 v42, 24, v24
	v_bfrev_b32_e32 v43, 60
	v_lshlrev_b32_e32 v23, 20, v23
	v_and_b32_e32 v42, 0x80000000, v42
	v_lshl_add_u32 v22, v22, 23, v43
	v_or3_b32 v42, v42, v22, v23
.LBB601_351:
	s_or_b64 exec, exec, s[10:11]
.LBB601_352:
	s_or_b64 exec, exec, s[8:9]
.LBB601_353:
	s_or_b64 exec, exec, s[2:3]
	v_lshrrev_b16_e32 v22, 8, v24
	v_cmp_ne_u16_e32 vcc, 0, v22
	v_mov_b32_e32 v23, 0
	v_mov_b32_e32 v43, 0
	s_and_saveexec_b64 s[2:3], vcc
	s_cbranch_execz .LBB601_359
; %bb.354:
	s_movk_i32 s8, 0x80
	v_cmp_ne_u16_e32 vcc, s8, v22
	v_bfrev_b32_e32 v43, 1
	s_and_saveexec_b64 s[8:9], vcc
	s_cbranch_execz .LBB601_358
; %bb.355:
	s_movk_i32 s10, 0x7f
	v_and_b32_e32 v44, 0x7f, v22
	v_cmp_ne_u32_e32 vcc, s10, v44
	v_mov_b32_e32 v43, 0x7f800001
	s_and_saveexec_b64 s[10:11], vcc
	s_cbranch_execz .LBB601_357
; %bb.356:
	v_and_b32_e32 v43, 7, v22
	v_ffbh_u32_e32 v51, v43
	v_min_u32_e32 v51, 32, v51
	v_subrev_u32_e32 v52, 28, v51
	v_lshlrev_b64 v[52:53], v52, v[22:23]
	v_lshrrev_b32_e32 v45, 3, v44
	v_sub_u32_e32 v22, 29, v51
	v_and_b32_e32 v51, 7, v52
	v_cmp_gt_u32_e32 vcc, 8, v44
	v_cndmask_b32_e32 v22, v45, v22, vcc
	v_cndmask_b32_e32 v43, v43, v51, vcc
	v_lshlrev_b32_e32 v44, 16, v24
	v_bfrev_b32_e32 v45, 60
	v_lshlrev_b32_e32 v43, 20, v43
	v_and_b32_e32 v44, 0x80000000, v44
	v_lshl_add_u32 v22, v22, 23, v45
	v_or3_b32 v43, v44, v22, v43
.LBB601_357:
	s_or_b64 exec, exec, s[10:11]
.LBB601_358:
	s_or_b64 exec, exec, s[8:9]
.LBB601_359:
	s_or_b64 exec, exec, s[2:3]
	s_movk_i32 s2, 0xff
	v_and_b32_sdwa v44, v24, s2 dst_sel:DWORD dst_unused:UNUSED_PAD src0_sel:WORD_1 src1_sel:DWORD
	v_lshrrev_b32_e32 v22, 16, v24
	v_cmp_ne_u16_e32 vcc, 0, v44
	s_and_saveexec_b64 s[2:3], vcc
	s_cbranch_execz .LBB601_365
; %bb.360:
	s_movk_i32 s8, 0x80
	v_cmp_ne_u16_e32 vcc, s8, v44
	v_bfrev_b32_e32 v23, 1
	s_and_saveexec_b64 s[8:9], vcc
	s_cbranch_execz .LBB601_364
; %bb.361:
	v_bfe_u32 v44, v24, 16, 7
	s_movk_i32 s10, 0x7f
	v_cmp_ne_u32_e32 vcc, s10, v44
	v_mov_b32_e32 v23, 0x7f800001
	s_and_saveexec_b64 s[10:11], vcc
	s_cbranch_execz .LBB601_363
; %bb.362:
	v_and_b32_e32 v45, 7, v22
	v_ffbh_u32_e32 v23, v45
	v_min_u32_e32 v52, 32, v23
	v_subrev_u32_e32 v23, 28, v52
	v_lshlrev_b64 v[22:23], v23, v[22:23]
	v_lshrrev_b32_e32 v51, 3, v44
	v_sub_u32_e32 v23, 29, v52
	v_and_b32_e32 v22, 7, v22
	v_cmp_gt_u32_e32 vcc, 8, v44
	v_mov_b32_e32 v44, 24
	v_cndmask_b32_e32 v23, v51, v23, vcc
	v_cndmask_b32_e32 v22, v45, v22, vcc
	v_lshlrev_b32_sdwa v44, v44, v24 dst_sel:DWORD dst_unused:UNUSED_PAD src0_sel:DWORD src1_sel:WORD_1
	v_bfrev_b32_e32 v45, 60
	v_lshlrev_b32_e32 v22, 20, v22
	v_and_b32_e32 v44, 0x80000000, v44
	v_lshl_add_u32 v23, v23, 23, v45
	v_or3_b32 v23, v44, v23, v22
.LBB601_363:
	s_or_b64 exec, exec, s[10:11]
.LBB601_364:
	s_or_b64 exec, exec, s[8:9]
.LBB601_365:
	s_or_b64 exec, exec, s[2:3]
	s_mov_b32 s2, 0xffffff
	v_cmp_lt_u32_e32 vcc, s2, v24
	v_mov_b32_e32 v44, 0
	v_mov_b32_e32 v45, 0
	s_and_saveexec_b64 s[2:3], vcc
	s_cbranch_execz .LBB601_371
; %bb.366:
	v_lshrrev_b32_e32 v22, 24, v24
	s_movk_i32 s8, 0x80
	v_cmp_ne_u32_e32 vcc, s8, v22
	v_bfrev_b32_e32 v45, 1
	s_and_saveexec_b64 s[8:9], vcc
	s_cbranch_execz .LBB601_370
; %bb.367:
	v_bfe_u32 v24, v24, 24, 7
	s_movk_i32 s10, 0x7f
	v_cmp_ne_u32_e32 vcc, s10, v24
	v_mov_b32_e32 v45, 0x7f800001
	s_and_saveexec_b64 s[10:11], vcc
	s_cbranch_execz .LBB601_369
; %bb.368:
	v_and_b32_e32 v45, 7, v22
	v_ffbh_u32_e32 v52, v45
	v_min_u32_e32 v54, 32, v52
	v_subrev_u32_e32 v52, 28, v54
	v_lshlrev_b64 v[52:53], v52, v[22:23]
	v_lshrrev_b32_e32 v51, 3, v24
	v_sub_u32_e32 v53, 29, v54
	v_and_b32_e32 v52, 7, v52
	v_cmp_gt_u32_e32 vcc, 8, v24
	v_cndmask_b32_e32 v24, v51, v53, vcc
	v_cndmask_b32_e32 v45, v45, v52, vcc
	v_lshlrev_b32_e32 v22, 24, v22
	v_bfrev_b32_e32 v51, 60
	v_lshlrev_b32_e32 v45, 20, v45
	v_and_b32_e32 v22, 0x80000000, v22
	v_lshl_add_u32 v24, v24, 23, v51
	v_or3_b32 v45, v22, v24, v45
.LBB601_369:
	s_or_b64 exec, exec, s[10:11]
.LBB601_370:
	s_or_b64 exec, exec, s[8:9]
.LBB601_371:
	s_or_b64 exec, exec, s[2:3]
	v_cmp_ne_u16_sdwa s[8:9], v25, v44 src0_sel:BYTE_0 src1_sel:DWORD
	s_and_saveexec_b64 s[2:3], s[8:9]
	s_cbranch_execz .LBB601_377
; %bb.372:
	s_movk_i32 s8, 0x80
	v_cmp_ne_u16_sdwa s[10:11], v25, s8 src0_sel:BYTE_0 src1_sel:DWORD
	v_bfrev_b32_e32 v44, 1
	s_and_saveexec_b64 s[8:9], s[10:11]
	s_cbranch_execz .LBB601_376
; %bb.373:
	s_movk_i32 s10, 0x7f
	v_and_b32_e32 v22, 0x7f, v25
	v_cmp_ne_u32_e32 vcc, s10, v22
	v_mov_b32_e32 v44, 0x7f800001
	s_and_saveexec_b64 s[10:11], vcc
	s_cbranch_execz .LBB601_375
; %bb.374:
	v_and_b32_e32 v44, 7, v25
	v_ffbh_u32_e32 v52, v44
	v_min_u32_e32 v54, 32, v52
	v_mov_b32_e32 v24, v25
	v_subrev_u32_e32 v52, 28, v54
	v_lshlrev_b64 v[52:53], v52, v[24:25]
	v_lshrrev_b32_e32 v51, 3, v22
	v_sub_u32_e32 v24, 29, v54
	v_and_b32_e32 v52, 7, v52
	v_cmp_gt_u32_e32 vcc, 8, v22
	v_cndmask_b32_e32 v22, v51, v24, vcc
	v_cndmask_b32_e32 v24, v44, v52, vcc
	v_lshlrev_b32_e32 v44, 24, v25
	v_bfrev_b32_e32 v51, 60
	v_lshlrev_b32_e32 v24, 20, v24
	v_and_b32_e32 v44, 0x80000000, v44
	v_lshl_add_u32 v22, v22, 23, v51
	v_or3_b32 v44, v44, v22, v24
.LBB601_375:
	s_or_b64 exec, exec, s[10:11]
.LBB601_376:
	s_or_b64 exec, exec, s[8:9]
.LBB601_377:
	s_or_b64 exec, exec, s[2:3]
	v_lshrrev_b16_e32 v22, 8, v25
	v_cmp_ne_u16_e32 vcc, 0, v22
	v_mov_b32_e32 v24, 0
	v_mov_b32_e32 v52, 0
	s_and_saveexec_b64 s[2:3], vcc
	s_cbranch_execz .LBB601_383
; %bb.378:
	s_movk_i32 s8, 0x80
	v_cmp_ne_u16_e32 vcc, s8, v22
	v_bfrev_b32_e32 v52, 1
	s_and_saveexec_b64 s[8:9], vcc
	s_cbranch_execz .LBB601_382
; %bb.379:
	s_movk_i32 s10, 0x7f
	v_and_b32_e32 v51, 0x7f, v22
	v_cmp_ne_u32_e32 vcc, s10, v51
	v_mov_b32_e32 v52, 0x7f800001
	s_and_saveexec_b64 s[10:11], vcc
	s_cbranch_execz .LBB601_381
; %bb.380:
	v_and_b32_e32 v54, 7, v22
	v_ffbh_u32_e32 v52, v54
	v_min_u32_e32 v56, 32, v52
	v_subrev_u32_e32 v52, 28, v56
	v_lshlrev_b64 v[52:53], v52, v[22:23]
	v_lshrrev_b32_e32 v55, 3, v51
	v_sub_u32_e32 v22, 29, v56
	v_and_b32_e32 v52, 7, v52
	v_cmp_gt_u32_e32 vcc, 8, v51
	v_cndmask_b32_e32 v22, v55, v22, vcc
	v_cndmask_b32_e32 v51, v54, v52, vcc
	v_lshlrev_b32_e32 v52, 16, v25
	v_bfrev_b32_e32 v53, 60
	v_lshlrev_b32_e32 v51, 20, v51
	v_and_b32_e32 v52, 0x80000000, v52
	v_lshl_add_u32 v22, v22, 23, v53
	v_or3_b32 v52, v52, v22, v51
.LBB601_381:
	s_or_b64 exec, exec, s[10:11]
.LBB601_382:
	s_or_b64 exec, exec, s[8:9]
.LBB601_383:
	s_or_b64 exec, exec, s[2:3]
	s_movk_i32 s2, 0xff
	v_and_b32_sdwa v51, v25, s2 dst_sel:DWORD dst_unused:UNUSED_PAD src0_sel:WORD_1 src1_sel:DWORD
	v_lshrrev_b32_e32 v22, 16, v25
	v_cmp_ne_u16_e32 vcc, 0, v51
	s_and_saveexec_b64 s[2:3], vcc
	s_cbranch_execz .LBB601_389
; %bb.384:
	s_movk_i32 s8, 0x80
	v_cmp_ne_u16_e32 vcc, s8, v51
	v_bfrev_b32_e32 v24, 1
	s_and_saveexec_b64 s[8:9], vcc
	s_cbranch_execz .LBB601_388
; %bb.385:
	v_bfe_u32 v51, v25, 16, 7
	s_movk_i32 s10, 0x7f
	v_cmp_ne_u32_e32 vcc, s10, v51
	v_mov_b32_e32 v24, 0x7f800001
	s_and_saveexec_b64 s[10:11], vcc
	s_cbranch_execz .LBB601_387
; %bb.386:
	v_and_b32_e32 v24, 7, v22
	v_ffbh_u32_e32 v54, v24
	v_min_u32_e32 v56, 32, v54
	v_subrev_u32_e32 v54, 28, v56
	v_lshlrev_b64 v[54:55], v54, v[22:23]
	v_lshrrev_b32_e32 v53, 3, v51
	v_sub_u32_e32 v22, 29, v56
	v_and_b32_e32 v54, 7, v54
	v_cmp_gt_u32_e32 vcc, 8, v51
	v_mov_b32_e32 v51, 24
	v_cndmask_b32_e32 v22, v53, v22, vcc
	v_cndmask_b32_e32 v24, v24, v54, vcc
	v_lshlrev_b32_sdwa v51, v51, v25 dst_sel:DWORD dst_unused:UNUSED_PAD src0_sel:DWORD src1_sel:WORD_1
	v_bfrev_b32_e32 v53, 60
	v_lshlrev_b32_e32 v24, 20, v24
	v_and_b32_e32 v51, 0x80000000, v51
	v_lshl_add_u32 v22, v22, 23, v53
	v_or3_b32 v24, v51, v22, v24
.LBB601_387:
	s_or_b64 exec, exec, s[10:11]
.LBB601_388:
	s_or_b64 exec, exec, s[8:9]
.LBB601_389:
	s_or_b64 exec, exec, s[2:3]
	s_mov_b32 s2, 0xffffff
	v_and_b32_e32 v51, 63, v0
	v_cmp_lt_u32_e32 vcc, s2, v25
	v_mov_b32_e32 v53, 0
	s_and_saveexec_b64 s[2:3], vcc
	s_cbranch_execz .LBB601_395
; %bb.390:
	v_lshrrev_b32_e32 v22, 24, v25
	s_movk_i32 s8, 0x80
	v_cmp_ne_u32_e32 vcc, s8, v22
	v_bfrev_b32_e32 v53, 1
	s_and_saveexec_b64 s[8:9], vcc
	s_cbranch_execz .LBB601_394
; %bb.391:
	v_bfe_u32 v25, v25, 24, 7
	s_movk_i32 s10, 0x7f
	v_cmp_ne_u32_e32 vcc, s10, v25
	v_mov_b32_e32 v53, 0x7f800001
	s_and_saveexec_b64 s[10:11], vcc
	s_cbranch_execz .LBB601_393
; %bb.392:
	v_and_b32_e32 v53, 7, v22
	v_ffbh_u32_e32 v54, v53
	v_min_u32_e32 v57, 32, v54
	v_subrev_u32_e32 v54, 28, v57
	v_lshlrev_b64 v[54:55], v54, v[22:23]
	v_lshrrev_b32_e32 v56, 3, v25
	v_sub_u32_e32 v55, 29, v57
	v_and_b32_e32 v54, 7, v54
	v_cmp_gt_u32_e32 vcc, 8, v25
	v_cndmask_b32_e32 v25, v56, v55, vcc
	v_cndmask_b32_e32 v53, v53, v54, vcc
	v_lshlrev_b32_e32 v22, 24, v22
	v_bfrev_b32_e32 v54, 60
	v_lshlrev_b32_e32 v53, 20, v53
	v_and_b32_e32 v22, 0x80000000, v22
	v_lshl_add_u32 v25, v25, 23, v54
	v_or3_b32 v53, v22, v25, v53
.LBB601_393:
	s_or_b64 exec, exec, s[10:11]
.LBB601_394:
	s_or_b64 exec, exec, s[8:9]
.LBB601_395:
	s_or_b64 exec, exec, s[2:3]
	v_cvt_pkrtz_f16_f32 v42, v42, v43
	v_cvt_pkrtz_f16_f32 v43, v23, v45
	s_load_dword s2, s[4:5], 0x1c
	s_mov_b32 s46, 0xff7fffff
	s_waitcnt lgkmcnt(0)
	v_mfma_f32_16x16x16f16 v[26:29], v[42:43], v[18:19], v[26:29]
	v_cvt_pkrtz_f16_f32 v18, v44, v52
	v_cvt_pkrtz_f16_f32 v19, v24, v53
	v_and_b32_e32 v24, 0xc0, v0
	v_mov_b32_e32 v22, s2
	v_add_u32_e32 v24, s20, v24
	v_mul_f32_e32 v54, s12, v22
	v_lshl_or_b32 v42, v1, 2, v24
	v_mfma_f32_16x16x16f16 v[18:21], v[18:19], v[20:21], v[26:29]
	v_pk_mul_f32 v[22:23], v[54:55], v[36:37] op_sel_hi:[0,1]
	v_pk_mul_f32 v[36:37], v[54:55], v[40:41] op_sel_hi:[0,1]
	;; [unrolled: 1-line block ×4, first 2 shown]
	v_mov_b32_e32 v43, 0xff7fffff
	v_cmp_gt_i32_e64 s[26:27], s33, v42
	v_pk_mul_f32 v[38:39], v[54:55], v[38:39] op_sel_hi:[0,1]
	s_nop 3
	v_pk_mul_f32 v[32:33], v[54:55], v[18:19] op_sel_hi:[0,1]
	v_or_b32_e32 v19, 1, v42
	v_cmp_gt_i32_e64 s[28:29], s33, v19
	v_cndmask_b32_e64 v18, v43, v30, s[26:27]
	v_cndmask_b32_e64 v19, v43, v31, s[28:29]
	v_pk_mul_f32 v[24:25], v[54:55], v[20:21] op_sel_hi:[0,1]
	v_max3_f32 v18, v18, s46, v19
	v_or_b32_e32 v19, 2, v42
	v_or_b32_e32 v20, 3, v42
	v_cmp_gt_i32_e64 s[30:31], s33, v19
	v_cmp_gt_i32_e64 s[34:35], s33, v20
	v_cndmask_b32_e64 v19, v43, v40, s[30:31]
	v_cndmask_b32_e64 v20, v43, v41, s[34:35]
	v_max3_f32 v18, v18, v19, v20
	v_or_b32_e32 v19, 16, v42
	v_or_b32_e32 v20, 17, v42
	v_cmp_gt_i32_e64 s[36:37], s33, v19
	v_cmp_gt_i32_e64 s[38:39], s33, v20
	v_cndmask_b32_e64 v19, v43, v38, s[36:37]
	v_cndmask_b32_e64 v20, v43, v39, s[38:39]
	;; [unrolled: 7-line block ×3, first 2 shown]
	v_max3_f32 v18, v18, v19, v20
	v_or_b32_e32 v19, 32, v42
	v_or_b32_e32 v20, 33, v42
	v_pk_mul_f32 v[34:35], v[54:55], v[34:35] op_sel_hi:[0,1]
	v_cmp_gt_i32_e64 s[16:17], s33, v19
	v_cmp_gt_i32_e64 s[18:19], s33, v20
	v_cndmask_b32_e64 v19, v43, v34, s[16:17]
	v_cndmask_b32_e64 v20, v43, v35, s[18:19]
	v_max3_f32 v18, v18, v19, v20
	v_or_b32_e32 v19, 34, v42
	v_or_b32_e32 v20, 35, v42
	v_cmp_gt_i32_e64 s[12:13], s33, v19
	v_cmp_gt_i32_e64 s[14:15], s33, v20
	v_cndmask_b32_e64 v19, v43, v22, s[12:13]
	v_cndmask_b32_e64 v20, v43, v23, s[14:15]
	v_max3_f32 v18, v18, v19, v20
	v_or_b32_e32 v19, 48, v42
	v_or_b32_e32 v20, 49, v42
	;; [unrolled: 7-line block ×3, first 2 shown]
	v_cmp_gt_i32_e32 vcc, s33, v19
	v_cmp_gt_i32_e64 s[2:3], s33, v20
	v_cndmask_b32_e32 v19, v43, v24, vcc
	v_cndmask_b32_e64 v20, v43, v25, s[2:3]
	v_max3_f32 v18, v18, v19, v20
	v_mbcnt_lo_u32_b32 v19, -1, 0
	v_mbcnt_hi_u32_b32 v19, -1, v19
	v_and_b32_e32 v20, 64, v19
	v_add_u32_e32 v20, 64, v20
	v_xor_b32_e32 v21, 32, v19
	v_cmp_lt_i32_e64 s[40:41], v21, v20
	v_cndmask_b32_e64 v21, v19, v21, s[40:41]
	v_lshlrev_b32_e32 v43, 2, v21
	ds_bpermute_b32 v21, v43, v18
	s_barrier
	s_waitcnt lgkmcnt(0)
	v_max_f32_e32 v21, v21, v21
	v_max_f32_e32 v18, v18, v21
	v_xor_b32_e32 v21, 16, v19
	v_cmp_lt_i32_e64 s[40:41], v21, v20
	v_cndmask_b32_e64 v19, v19, v21, s[40:41]
	v_lshlrev_b32_e32 v44, 2, v19
	ds_bpermute_b32 v19, v44, v18
	s_waitcnt lgkmcnt(0)
	v_max_f32_e32 v19, v19, v19
	v_max_f32_e32 v42, v18, v19
	v_sub_f32_e32 v21, v40, v42
	v_sub_f32_e32 v26, v41, v42
	v_mul_f32_e32 v21, 0x3fb8aa3b, v21
	v_mul_f32_e32 v26, 0x3fb8aa3b, v26
	v_sub_f32_e32 v18, v30, v42
	v_exp_f32_e32 v21, v21
	v_exp_f32_e32 v26, v26
	v_mul_f32_e32 v18, 0x3fb8aa3b, v18
	v_sub_f32_e32 v19, v31, v42
	v_exp_f32_e32 v18, v18
	v_mul_f32_e32 v19, 0x3fb8aa3b, v19
	v_exp_f32_e32 v19, v19
	v_cndmask_b32_e64 v28, 0, v21, s[30:31]
	v_cndmask_b32_e64 v29, 0, v26, s[34:35]
	v_sub_f32_e32 v21, v38, v42
	v_sub_f32_e32 v26, v39, v42
	v_mul_f32_e32 v21, 0x3fb8aa3b, v21
	v_mul_f32_e32 v26, 0x3fb8aa3b, v26
	v_cndmask_b32_e64 v18, 0, v18, s[26:27]
	v_exp_f32_e32 v21, v21
	v_exp_f32_e32 v26, v26
	v_add_f32_e32 v20, 0, v18
	v_cndmask_b32_e64 v19, 0, v19, s[28:29]
	v_add_f32_e32 v20, v20, v19
	v_add_f32_e32 v20, v20, v28
	;; [unrolled: 1-line block ×3, first 2 shown]
	v_cndmask_b32_e64 v20, 0, v21, s[36:37]
	v_cndmask_b32_e64 v21, 0, v26, s[38:39]
	v_sub_f32_e32 v26, v36, v42
	v_mul_f32_e32 v26, 0x3fb8aa3b, v26
	v_exp_f32_e32 v26, v26
	v_sub_f32_e32 v30, v37, v42
	v_add_f32_e32 v27, v27, v20
	v_mul_f32_e32 v30, 0x3fb8aa3b, v30
	v_exp_f32_e32 v31, v30
	v_add_f32_e32 v27, v27, v21
	v_cndmask_b32_e64 v30, 0, v26, s[20:21]
	v_add_f32_e32 v26, v27, v30
	v_sub_f32_e32 v27, v34, v42
	v_mul_f32_e32 v27, 0x3fb8aa3b, v27
	v_sub_f32_e32 v34, v35, v42
	v_exp_f32_e32 v27, v27
	v_mul_f32_e32 v34, 0x3fb8aa3b, v34
	v_sub_f32_e32 v22, v22, v42
	v_exp_f32_e32 v34, v34
	;; [unrolled: 3-line block ×3, first 2 shown]
	v_mul_f32_e32 v23, 0x3fb8aa3b, v23
	v_cndmask_b32_e64 v31, 0, v31, s[22:23]
	v_exp_f32_e32 v23, v23
	v_add_f32_e32 v35, v26, v31
	v_cndmask_b32_e64 v26, 0, v27, s[16:17]
	v_add_f32_e32 v35, v35, v26
	v_cndmask_b32_e64 v27, 0, v34, s[18:19]
	;; [unrolled: 2-line block ×4, first 2 shown]
	v_sub_f32_e32 v23, v32, v42
	v_mul_f32_e32 v23, 0x3fb8aa3b, v23
	v_sub_f32_e32 v32, v33, v42
	v_exp_f32_e32 v23, v23
	v_mul_f32_e32 v32, 0x3fb8aa3b, v32
	v_sub_f32_e32 v24, v24, v42
	v_exp_f32_e32 v32, v32
	;; [unrolled: 3-line block ×3, first 2 shown]
	v_mul_f32_e32 v25, 0x3fb8aa3b, v25
	v_exp_f32_e32 v25, v25
	v_add_f32_e32 v33, v22, v35
	v_cndmask_b32_e64 v22, 0, v23, s[8:9]
	v_add_f32_e32 v33, v33, v22
	v_cndmask_b32_e64 v23, 0, v32, s[10:11]
	v_add_f32_e32 v32, v33, v23
	v_cndmask_b32_e32 v24, 0, v24, vcc
	v_add_f32_e32 v32, v32, v24
	v_cndmask_b32_e64 v25, 0, v25, s[2:3]
	v_add_f32_e32 v32, v32, v25
	ds_bpermute_b32 v33, v43, v32
	v_cmp_gt_u32_e32 vcc, 16, v51
	s_waitcnt lgkmcnt(0)
	v_add_f32_e32 v33, v32, v33
	ds_bpermute_b32 v36, v44, v33
	v_lshlrev_b32_e32 v32, 2, v49
	s_and_saveexec_b64 s[2:3], vcc
	s_cbranch_execz .LBB601_397
; %bb.396:
	s_waitcnt lgkmcnt(0)
	v_add_f32_e32 v33, v33, v36
	v_lshl_or_b32 v36, v50, 6, v32
	ds_write2st64_b32 v36, v42, v33 offset1:1
.LBB601_397:
	s_or_b64 exec, exec, s[2:3]
	s_waitcnt lgkmcnt(0)
	s_barrier
	ds_read2_b32 v[36:37], v32 offset1:16
	ds_read2_b32 v[38:39], v32 offset0:32 offset1:48
	ds_read2_b32 v[40:41], v32 offset0:64 offset1:80
	;; [unrolled: 1-line block ×3, first 2 shown]
	s_waitcnt lgkmcnt(0)
	v_max3_f32 v33, v36, s46, v37
	v_max3_f32 v33, v33, v38, v39
	v_sub_f32_e32 v36, v36, v33
	v_mul_f32_e32 v36, 0x3fb8aa3b, v36
	v_exp_f32_e32 v44, v36
	v_sub_f32_e32 v36, v37, v33
	v_mul_f32_e32 v36, 0x3fb8aa3b, v36
	v_exp_f32_e32 v37, v36
	v_sub_f32_e32 v36, v38, v33
	v_mul_f32_e32 v36, 0x3fb8aa3b, v36
	v_sub_f32_e32 v32, v39, v33
	v_exp_f32_e32 v38, v36
	v_mul_f32_e32 v32, 0x3fb8aa3b, v32
	v_exp_f32_e32 v39, v32
	v_fma_f32 v36, v44, v40, 0
	v_fmac_f32_e32 v36, v37, v41
	v_fmac_f32_e32 v36, v38, v42
	;; [unrolled: 1-line block ×3, first 2 shown]
	v_add_f32_e32 v40, 0x358637bd, v36
	v_div_scale_f32 v41, s[2:3], v40, v40, 1.0
	v_rcp_f32_e32 v42, v41
	s_barrier
	s_mul_i32 s12, s45, 12
	v_fma_f32 v43, -v41, v42, 1.0
	v_fmac_f32_e32 v42, v43, v42
	v_div_scale_f32 v43, vcc, 1.0, v40, 1.0
	v_mul_f32_e32 v45, v43, v42
	v_fma_f32 v51, -v41, v45, v43
	v_fmac_f32_e32 v45, v51, v42
	v_fma_f32 v41, -v41, v45, v43
	v_div_fmas_f32 v41, v41, v42, v45
	v_cmp_eq_u32_e32 vcc, 1, v50
	v_cndmask_b32_e32 v37, v44, v37, vcc
	v_cmp_eq_u32_e32 vcc, 2, v50
	v_cndmask_b32_e32 v37, v37, v38, vcc
	v_cmp_eq_u32_e32 vcc, 3, v50
	v_div_fixup_f32 v40, v41, v40, 1.0
	v_cndmask_b32_e32 v37, v37, v39, vcc
	v_mul_f32_e32 v38, v37, v40
	v_pk_mul_f32 v[28:29], v[38:39], v[28:29] op_sel_hi:[0,1]
	v_pk_mul_f32 v[18:19], v[38:39], v[18:19] op_sel_hi:[0,1]
	v_cvt_f16_f32_e32 v18, v18
	v_cvt_f16_f32_e32 v19, v19
	;; [unrolled: 1-line block ×4, first 2 shown]
	v_pk_mul_f32 v[20:21], v[38:39], v[20:21] op_sel_hi:[0,1]
	v_pack_b32_f16 v18, v18, v19
	v_cvt_f16_f32_e32 v20, v20
	v_pack_b32_f16 v19, v28, v29
	v_pk_mul_f32 v[28:29], v[38:39], v[30:31] op_sel_hi:[0,1]
	v_cvt_f16_f32_e32 v21, v21
	v_cvt_f16_f32_e32 v30, v28
	;; [unrolled: 1-line block ×3, first 2 shown]
	v_lshlrev_b32_e32 v37, 3, v1
	v_lshlrev_b32_e32 v28, 11, v50
	v_or3_b32 v28, v28, v48, v37
	v_pack_b32_f16 v20, v20, v21
	v_pack_b32_f16 v21, v30, v29
	ds_write2st64_b64 v28, v[18:19], v[20:21] offset1:1
	v_pk_mul_f32 v[18:19], v[38:39], v[34:35] op_sel_hi:[0,1]
	v_pk_mul_f32 v[20:21], v[38:39], v[26:27] op_sel_hi:[0,1]
	v_cvt_f16_f32_e32 v26, v20
	v_cvt_f16_f32_e32 v27, v21
	;; [unrolled: 1-line block ×4, first 2 shown]
	v_pk_mul_f32 v[18:19], v[38:39], v[24:25] op_sel_hi:[0,1]
	v_pk_mul_f32 v[20:21], v[38:39], v[22:23] op_sel_hi:[0,1]
	v_cvt_f16_f32_e32 v20, v20
	v_cvt_f16_f32_e32 v21, v21
	;; [unrolled: 1-line block ×4, first 2 shown]
	v_mov_b32_e32 v32, 0
	v_pack_b32_f16 v18, v26, v27
	v_pack_b32_f16 v19, v29, v30
	;; [unrolled: 1-line block ×4, first 2 shown]
	v_cmp_gt_u32_e32 vcc, 12, v0
	ds_write2st64_b64 v28, v[18:19], v[20:21] offset0:2 offset1:3
	s_and_saveexec_b64 s[2:3], vcc
	s_cbranch_execz .LBB601_399
; %bb.398:
	v_add_co_u32_e32 v20, vcc, s25, v49
	v_addc_co_u32_e64 v21, s[14:15], 0, 0, vcc
	v_mov_b32_e32 v18, s12
	v_mov_b32_e32 v19, 0
	v_mad_u64_u32 v[20:21], s[14:15], s6, v18, v[20:21]
	v_mov_b32_e32 v18, s24
	s_load_dwordx4 s[8:11], s[4:5], 0x58
	s_mul_i32 s7, s7, s12
	v_mad_u64_u32 v[18:19], s[14:15], v20, s44, v[18:19]
	v_add_u32_e32 v21, s7, v21
	v_mov_b32_e32 v20, v19
	v_mad_u64_u32 v[20:21], s[14:15], v21, s44, v[20:21]
	v_mov_b32_e32 v19, v20
	v_lshlrev_b64 v[18:19], 2, v[18:19]
	s_waitcnt lgkmcnt(0)
	v_mov_b32_e32 v21, s11
	v_add_co_u32_e32 v20, vcc, s10, v18
	v_addc_co_u32_e32 v21, vcc, v21, v19, vcc
	global_store_dword v[20:21], v33, off
	v_mov_b32_e32 v20, s9
	v_add_co_u32_e32 v18, vcc, s8, v18
	v_addc_co_u32_e32 v19, vcc, v20, v19, vcc
	global_store_dword v[18:19], v36, off
.LBB601_399:
	s_or_b64 exec, exec, s[2:3]
	v_mov_b32_e32 v19, 0
	s_waitcnt vmcnt(3)
	v_cmp_ne_u16_sdwa s[8:9], v14, v19 src0_sel:BYTE_0 src1_sel:DWORD
	s_waitcnt lgkmcnt(0)
	s_barrier
	s_and_saveexec_b64 s[2:3], s[8:9]
	s_cbranch_execz .LBB601_405
; %bb.400:
	s_movk_i32 s7, 0x80
	v_cmp_ne_u16_sdwa s[10:11], v14, s7 src0_sel:BYTE_0 src1_sel:DWORD
	v_bfrev_b32_e32 v32, 1
	s_and_saveexec_b64 s[8:9], s[10:11]
	s_cbranch_execz .LBB601_404
; %bb.401:
	s_movk_i32 s7, 0x7f
	v_and_b32_e32 v18, 0x7f, v14
	v_cmp_ne_u32_e32 vcc, s7, v18
	v_mov_b32_e32 v32, 0x7f800001
	s_and_saveexec_b64 s[10:11], vcc
	s_cbranch_execz .LBB601_403
; %bb.402:
	v_and_b32_e32 v22, 7, v14
	v_ffbh_u32_e32 v20, v22
	v_min_u32_e32 v24, 32, v20
	v_subrev_u32_e32 v20, 28, v24
	v_lshlrev_b64 v[20:21], v20, v[14:15]
	v_lshrrev_b32_e32 v23, 3, v18
	v_sub_u32_e32 v21, 29, v24
	v_and_b32_e32 v20, 7, v20
	v_cmp_gt_u32_e32 vcc, 8, v18
	v_cndmask_b32_e32 v18, v23, v21, vcc
	v_cndmask_b32_e32 v20, v22, v20, vcc
	v_lshlrev_b32_e32 v21, 24, v14
	v_bfrev_b32_e32 v22, 60
	v_lshlrev_b32_e32 v20, 20, v20
	v_and_b32_e32 v21, 0x80000000, v21
	v_lshl_add_u32 v18, v18, 23, v22
	v_or3_b32 v32, v21, v18, v20
.LBB601_403:
	s_or_b64 exec, exec, s[10:11]
.LBB601_404:
	s_or_b64 exec, exec, s[8:9]
.LBB601_405:
	s_or_b64 exec, exec, s[2:3]
	v_lshrrev_b16_e32 v18, 8, v14
	v_cmp_ne_u16_e32 vcc, 0, v18
	v_mov_b32_e32 v20, 0
	s_and_saveexec_b64 s[2:3], vcc
	s_cbranch_execz .LBB601_411
; %bb.406:
	s_movk_i32 s7, 0x80
	v_cmp_ne_u16_e32 vcc, s7, v18
	v_bfrev_b32_e32 v20, 1
	s_and_saveexec_b64 s[8:9], vcc
	s_cbranch_execz .LBB601_410
; %bb.407:
	s_movk_i32 s7, 0x7f
	v_and_b32_e32 v21, 0x7f, v18
	v_cmp_ne_u32_e32 vcc, s7, v21
	v_mov_b32_e32 v20, 0x7f800001
	s_and_saveexec_b64 s[10:11], vcc
	s_cbranch_execz .LBB601_409
; %bb.408:
	v_and_b32_e32 v20, 7, v18
	v_ffbh_u32_e32 v22, v20
	v_min_u32_e32 v25, 32, v22
	v_subrev_u32_e32 v22, 28, v25
	v_lshlrev_b64 v[22:23], v22, v[18:19]
	v_lshrrev_b32_e32 v24, 3, v21
	v_sub_u32_e32 v18, 29, v25
	v_and_b32_e32 v22, 7, v22
	v_cmp_gt_u32_e32 vcc, 8, v21
	v_cndmask_b32_e32 v18, v24, v18, vcc
	v_cndmask_b32_e32 v20, v20, v22, vcc
	v_lshlrev_b32_e32 v21, 16, v14
	v_bfrev_b32_e32 v22, 60
	v_lshlrev_b32_e32 v20, 20, v20
	v_and_b32_e32 v21, 0x80000000, v21
	v_lshl_add_u32 v18, v18, 23, v22
	v_or3_b32 v20, v21, v18, v20
.LBB601_409:
	s_or_b64 exec, exec, s[10:11]
.LBB601_410:
	s_or_b64 exec, exec, s[8:9]
.LBB601_411:
	s_or_b64 exec, exec, s[2:3]
	s_movk_i32 s2, 0xff
	v_and_b32_sdwa v21, v14, s2 dst_sel:DWORD dst_unused:UNUSED_PAD src0_sel:WORD_1 src1_sel:DWORD
	v_lshrrev_b32_e32 v18, 16, v14
	v_cmp_ne_u16_e32 vcc, 0, v21
	s_and_saveexec_b64 s[2:3], vcc
	s_cbranch_execz .LBB601_417
; %bb.412:
	s_movk_i32 s7, 0x80
	v_cmp_ne_u16_e32 vcc, s7, v21
	v_bfrev_b32_e32 v19, 1
	s_and_saveexec_b64 s[8:9], vcc
	s_cbranch_execz .LBB601_416
; %bb.413:
	v_bfe_u32 v21, v14, 16, 7
	s_movk_i32 s7, 0x7f
	v_cmp_ne_u32_e32 vcc, s7, v21
	v_mov_b32_e32 v19, 0x7f800001
	s_and_saveexec_b64 s[10:11], vcc
	s_cbranch_execz .LBB601_415
; %bb.414:
	v_and_b32_e32 v22, 7, v18
	v_ffbh_u32_e32 v19, v22
	v_min_u32_e32 v24, 32, v19
	v_subrev_u32_e32 v19, 28, v24
	v_lshlrev_b64 v[18:19], v19, v[18:19]
	v_lshrrev_b32_e32 v23, 3, v21
	v_sub_u32_e32 v19, 29, v24
	v_and_b32_e32 v18, 7, v18
	v_cmp_gt_u32_e32 vcc, 8, v21
	v_mov_b32_e32 v21, 24
	v_cndmask_b32_e32 v19, v23, v19, vcc
	v_cndmask_b32_e32 v18, v22, v18, vcc
	v_lshlrev_b32_sdwa v21, v21, v14 dst_sel:DWORD dst_unused:UNUSED_PAD src0_sel:DWORD src1_sel:WORD_1
	v_bfrev_b32_e32 v22, 60
	v_lshlrev_b32_e32 v18, 20, v18
	v_and_b32_e32 v21, 0x80000000, v21
	v_lshl_add_u32 v19, v19, 23, v22
	v_or3_b32 v19, v21, v19, v18
.LBB601_415:
	s_or_b64 exec, exec, s[10:11]
.LBB601_416:
	s_or_b64 exec, exec, s[8:9]
.LBB601_417:
	s_or_b64 exec, exec, s[2:3]
	s_mov_b32 s2, 0xffffff
	v_cmp_lt_u32_e32 vcc, s2, v14
	v_mov_b32_e32 v21, 0
	v_mov_b32_e32 v22, 0
	s_and_saveexec_b64 s[2:3], vcc
	s_cbranch_execz .LBB601_423
; %bb.418:
	v_lshrrev_b32_e32 v18, 24, v14
	s_movk_i32 s7, 0x80
	v_cmp_ne_u32_e32 vcc, s7, v18
	v_bfrev_b32_e32 v22, 1
	s_and_saveexec_b64 s[8:9], vcc
	s_cbranch_execz .LBB601_422
; %bb.419:
	v_bfe_u32 v14, v14, 24, 7
	s_movk_i32 s7, 0x7f
	v_cmp_ne_u32_e32 vcc, s7, v14
	v_mov_b32_e32 v22, 0x7f800001
	s_and_saveexec_b64 s[10:11], vcc
	s_cbranch_execz .LBB601_421
; %bb.420:
	v_and_b32_e32 v24, 7, v18
	v_ffbh_u32_e32 v22, v24
	v_min_u32_e32 v26, 32, v22
	v_subrev_u32_e32 v22, 28, v26
	v_lshlrev_b64 v[22:23], v22, v[18:19]
	v_lshrrev_b32_e32 v25, 3, v14
	v_sub_u32_e32 v23, 29, v26
	v_and_b32_e32 v22, 7, v22
	v_cmp_gt_u32_e32 vcc, 8, v14
	v_cndmask_b32_e32 v14, v25, v23, vcc
	v_cndmask_b32_e32 v22, v24, v22, vcc
	v_lshlrev_b32_e32 v18, 24, v18
	v_bfrev_b32_e32 v23, 60
	v_lshlrev_b32_e32 v22, 20, v22
	v_and_b32_e32 v18, 0x80000000, v18
	v_lshl_add_u32 v14, v14, 23, v23
	v_or3_b32 v22, v18, v14, v22
.LBB601_421:
	s_or_b64 exec, exec, s[10:11]
.LBB601_422:
	s_or_b64 exec, exec, s[8:9]
.LBB601_423:
	s_or_b64 exec, exec, s[2:3]
	v_cmp_ne_u16_sdwa s[8:9], v15, v21 src0_sel:BYTE_0 src1_sel:DWORD
	s_and_saveexec_b64 s[2:3], s[8:9]
	s_cbranch_execz .LBB601_429
; %bb.424:
	s_movk_i32 s7, 0x80
	v_cmp_ne_u16_sdwa s[10:11], v15, s7 src0_sel:BYTE_0 src1_sel:DWORD
	v_bfrev_b32_e32 v21, 1
	s_and_saveexec_b64 s[8:9], s[10:11]
	s_cbranch_execz .LBB601_428
; %bb.425:
	s_movk_i32 s7, 0x7f
	v_and_b32_e32 v14, 0x7f, v15
	v_cmp_ne_u32_e32 vcc, s7, v14
	v_mov_b32_e32 v21, 0x7f800001
	s_and_saveexec_b64 s[10:11], vcc
	s_cbranch_execz .LBB601_427
; %bb.426:
	v_and_b32_e32 v21, 7, v15
	v_ffbh_u32_e32 v24, v21
	v_min_u32_e32 v26, 32, v24
	v_mov_b32_e32 v18, v15
	v_subrev_u32_e32 v24, 28, v26
	v_lshlrev_b64 v[24:25], v24, v[18:19]
	v_lshrrev_b32_e32 v23, 3, v14
	v_sub_u32_e32 v18, 29, v26
	v_and_b32_e32 v24, 7, v24
	v_cmp_gt_u32_e32 vcc, 8, v14
	v_cndmask_b32_e32 v14, v23, v18, vcc
	v_cndmask_b32_e32 v18, v21, v24, vcc
	v_lshlrev_b32_e32 v21, 24, v15
	v_bfrev_b32_e32 v23, 60
	v_lshlrev_b32_e32 v18, 20, v18
	v_and_b32_e32 v21, 0x80000000, v21
	v_lshl_add_u32 v14, v14, 23, v23
	v_or3_b32 v21, v21, v14, v18
.LBB601_427:
	s_or_b64 exec, exec, s[10:11]
.LBB601_428:
	s_or_b64 exec, exec, s[8:9]
.LBB601_429:
	s_or_b64 exec, exec, s[2:3]
	v_lshrrev_b16_e32 v14, 8, v15
	v_cmp_ne_u16_e32 vcc, 0, v14
	v_mov_b32_e32 v18, 0
	v_mov_b32_e32 v24, 0
	s_and_saveexec_b64 s[2:3], vcc
	s_cbranch_execz .LBB601_435
; %bb.430:
	s_movk_i32 s7, 0x80
	v_cmp_ne_u16_e32 vcc, s7, v14
	v_bfrev_b32_e32 v24, 1
	s_and_saveexec_b64 s[8:9], vcc
	s_cbranch_execz .LBB601_434
; %bb.431:
	s_movk_i32 s7, 0x7f
	v_and_b32_e32 v23, 0x7f, v14
	v_cmp_ne_u32_e32 vcc, s7, v23
	v_mov_b32_e32 v24, 0x7f800001
	s_and_saveexec_b64 s[10:11], vcc
	s_cbranch_execz .LBB601_433
; %bb.432:
	v_and_b32_e32 v26, 7, v14
	v_ffbh_u32_e32 v24, v26
	v_min_u32_e32 v29, 32, v24
	v_subrev_u32_e32 v24, 28, v29
	v_lshlrev_b64 v[24:25], v24, v[14:15]
	v_lshrrev_b32_e32 v27, 3, v23
	v_sub_u32_e32 v14, 29, v29
	v_and_b32_e32 v24, 7, v24
	v_cmp_gt_u32_e32 vcc, 8, v23
	v_cndmask_b32_e32 v14, v27, v14, vcc
	v_cndmask_b32_e32 v23, v26, v24, vcc
	v_lshlrev_b32_e32 v24, 16, v15
	v_bfrev_b32_e32 v25, 60
	v_lshlrev_b32_e32 v23, 20, v23
	v_and_b32_e32 v24, 0x80000000, v24
	v_lshl_add_u32 v14, v14, 23, v25
	v_or3_b32 v24, v24, v14, v23
.LBB601_433:
	s_or_b64 exec, exec, s[10:11]
.LBB601_434:
	s_or_b64 exec, exec, s[8:9]
.LBB601_435:
	s_or_b64 exec, exec, s[2:3]
	s_movk_i32 s2, 0xff
	v_and_b32_sdwa v23, v15, s2 dst_sel:DWORD dst_unused:UNUSED_PAD src0_sel:WORD_1 src1_sel:DWORD
	v_lshrrev_b32_e32 v14, 16, v15
	v_cmp_ne_u16_e32 vcc, 0, v23
	s_and_saveexec_b64 s[2:3], vcc
	s_cbranch_execz .LBB601_441
; %bb.436:
	s_movk_i32 s7, 0x80
	v_cmp_ne_u16_e32 vcc, s7, v23
	v_bfrev_b32_e32 v18, 1
	s_and_saveexec_b64 s[8:9], vcc
	s_cbranch_execz .LBB601_440
; %bb.437:
	v_bfe_u32 v23, v15, 16, 7
	s_movk_i32 s7, 0x7f
	v_cmp_ne_u32_e32 vcc, s7, v23
	v_mov_b32_e32 v18, 0x7f800001
	s_and_saveexec_b64 s[10:11], vcc
	s_cbranch_execz .LBB601_439
; %bb.438:
	v_and_b32_e32 v18, 7, v14
	v_ffbh_u32_e32 v26, v18
	v_min_u32_e32 v29, 32, v26
	v_subrev_u32_e32 v26, 28, v29
	v_lshlrev_b64 v[26:27], v26, v[14:15]
	v_lshrrev_b32_e32 v25, 3, v23
	v_sub_u32_e32 v14, 29, v29
	v_and_b32_e32 v26, 7, v26
	v_cmp_gt_u32_e32 vcc, 8, v23
	v_mov_b32_e32 v23, 24
	v_cndmask_b32_e32 v14, v25, v14, vcc
	v_cndmask_b32_e32 v18, v18, v26, vcc
	v_lshlrev_b32_sdwa v23, v23, v15 dst_sel:DWORD dst_unused:UNUSED_PAD src0_sel:DWORD src1_sel:WORD_1
	v_bfrev_b32_e32 v25, 60
	v_lshlrev_b32_e32 v18, 20, v18
	v_and_b32_e32 v23, 0x80000000, v23
	v_lshl_add_u32 v14, v14, 23, v25
	v_or3_b32 v18, v23, v14, v18
.LBB601_439:
	s_or_b64 exec, exec, s[10:11]
.LBB601_440:
	s_or_b64 exec, exec, s[8:9]
.LBB601_441:
	s_or_b64 exec, exec, s[2:3]
	s_mov_b32 s2, 0xffffff
	v_cmp_lt_u32_e32 vcc, s2, v15
	v_mov_b32_e32 v23, 0
	v_mov_b32_e32 v25, 0
	s_and_saveexec_b64 s[2:3], vcc
	s_cbranch_execz .LBB601_447
; %bb.442:
	v_lshrrev_b32_e32 v14, 24, v15
	s_movk_i32 s7, 0x80
	v_cmp_ne_u32_e32 vcc, s7, v14
	v_bfrev_b32_e32 v25, 1
	s_and_saveexec_b64 s[8:9], vcc
	s_cbranch_execz .LBB601_446
; %bb.443:
	v_bfe_u32 v15, v15, 24, 7
	s_movk_i32 s7, 0x7f
	v_cmp_ne_u32_e32 vcc, s7, v15
	v_mov_b32_e32 v25, 0x7f800001
	s_and_saveexec_b64 s[10:11], vcc
	s_cbranch_execz .LBB601_445
; %bb.444:
	v_and_b32_e32 v25, 7, v14
	v_ffbh_u32_e32 v26, v25
	v_min_u32_e32 v30, 32, v26
	v_subrev_u32_e32 v26, 28, v30
	v_lshlrev_b64 v[26:27], v26, v[14:15]
	v_lshrrev_b32_e32 v29, 3, v15
	v_sub_u32_e32 v27, 29, v30
	v_and_b32_e32 v26, 7, v26
	v_cmp_gt_u32_e32 vcc, 8, v15
	v_cndmask_b32_e32 v15, v29, v27, vcc
	v_cndmask_b32_e32 v25, v25, v26, vcc
	v_lshlrev_b32_e32 v14, 24, v14
	v_bfrev_b32_e32 v26, 60
	v_lshlrev_b32_e32 v25, 20, v25
	v_and_b32_e32 v14, 0x80000000, v14
	v_lshl_add_u32 v15, v15, 23, v26
	v_or3_b32 v25, v14, v15, v25
.LBB601_445:
	s_or_b64 exec, exec, s[10:11]
.LBB601_446:
	s_or_b64 exec, exec, s[8:9]
.LBB601_447:
	s_or_b64 exec, exec, s[2:3]
	v_cvt_pkrtz_f16_f32 v15, v19, v22
	v_lshl_or_b32 v22, v1, 9, v48
	v_cvt_pkrtz_f16_f32 v14, v32, v20
	ds_read_b128 v[30:33], v22
	v_cmp_ne_u16_sdwa s[8:9], v16, v23 src0_sel:BYTE_0 src1_sel:DWORD
	s_waitcnt lgkmcnt(0)
	v_mfma_f32_16x16x16f16 v[34:37], v[14:15], v[30:31], 0
	v_cvt_pkrtz_f16_f32 v14, v21, v24
	v_cvt_pkrtz_f16_f32 v15, v18, v25
	s_nop 1
	v_mfma_f32_16x16x16f16 v[18:21], v[14:15], v[32:33], v[34:37]
	s_and_saveexec_b64 s[2:3], s[8:9]
	s_cbranch_execz .LBB601_453
; %bb.448:
	s_movk_i32 s7, 0x80
	v_cmp_ne_u16_sdwa s[10:11], v16, s7 src0_sel:BYTE_0 src1_sel:DWORD
	v_bfrev_b32_e32 v23, 1
	s_and_saveexec_b64 s[8:9], s[10:11]
	s_cbranch_execz .LBB601_452
; %bb.449:
	s_movk_i32 s7, 0x7f
	v_and_b32_e32 v14, 0x7f, v16
	v_cmp_ne_u32_e32 vcc, s7, v14
	v_mov_b32_e32 v23, 0x7f800001
	s_and_saveexec_b64 s[10:11], vcc
	s_cbranch_execz .LBB601_451
; %bb.450:
	v_and_b32_e32 v15, 7, v16
	v_ffbh_u32_e32 v24, v15
	v_min_u32_e32 v26, 32, v24
	v_subrev_u32_e32 v24, 28, v26
	v_lshlrev_b64 v[24:25], v24, v[16:17]
	v_lshrrev_b32_e32 v23, 3, v14
	v_sub_u32_e32 v25, 29, v26
	v_and_b32_e32 v24, 7, v24
	v_cmp_gt_u32_e32 vcc, 8, v14
	v_cndmask_b32_e32 v14, v23, v25, vcc
	v_cndmask_b32_e32 v15, v15, v24, vcc
	v_lshlrev_b32_e32 v23, 24, v16
	v_bfrev_b32_e32 v24, 60
	v_lshlrev_b32_e32 v15, 20, v15
	v_and_b32_e32 v23, 0x80000000, v23
	v_lshl_add_u32 v14, v14, 23, v24
	v_or3_b32 v23, v23, v14, v15
.LBB601_451:
	s_or_b64 exec, exec, s[10:11]
.LBB601_452:
	s_or_b64 exec, exec, s[8:9]
.LBB601_453:
	s_or_b64 exec, exec, s[2:3]
	v_lshrrev_b16_e32 v14, 8, v16
	v_cmp_ne_u16_e32 vcc, 0, v14
	v_mov_b32_e32 v15, 0
	v_mov_b32_e32 v25, 0
	s_and_saveexec_b64 s[2:3], vcc
	s_cbranch_execz .LBB601_459
; %bb.454:
	s_movk_i32 s7, 0x80
	v_cmp_ne_u16_e32 vcc, s7, v14
	v_bfrev_b32_e32 v25, 1
	s_and_saveexec_b64 s[8:9], vcc
	s_cbranch_execz .LBB601_458
; %bb.455:
	s_movk_i32 s7, 0x7f
	v_and_b32_e32 v24, 0x7f, v14
	v_cmp_ne_u32_e32 vcc, s7, v24
	v_mov_b32_e32 v25, 0x7f800001
	s_and_saveexec_b64 s[10:11], vcc
	s_cbranch_execz .LBB601_457
; %bb.456:
	v_and_b32_e32 v25, 7, v14
	v_ffbh_u32_e32 v26, v25
	v_min_u32_e32 v30, 32, v26
	v_subrev_u32_e32 v26, 28, v30
	v_lshlrev_b64 v[26:27], v26, v[14:15]
	v_lshrrev_b32_e32 v29, 3, v24
	v_sub_u32_e32 v14, 29, v30
	v_and_b32_e32 v26, 7, v26
	v_cmp_gt_u32_e32 vcc, 8, v24
	v_cndmask_b32_e32 v14, v29, v14, vcc
	v_cndmask_b32_e32 v24, v25, v26, vcc
	v_lshlrev_b32_e32 v25, 16, v16
	v_bfrev_b32_e32 v26, 60
	v_lshlrev_b32_e32 v24, 20, v24
	v_and_b32_e32 v25, 0x80000000, v25
	v_lshl_add_u32 v14, v14, 23, v26
	v_or3_b32 v25, v25, v14, v24
.LBB601_457:
	s_or_b64 exec, exec, s[10:11]
.LBB601_458:
	s_or_b64 exec, exec, s[8:9]
.LBB601_459:
	s_or_b64 exec, exec, s[2:3]
	s_movk_i32 s2, 0xff
	v_and_b32_sdwa v24, v16, s2 dst_sel:DWORD dst_unused:UNUSED_PAD src0_sel:WORD_1 src1_sel:DWORD
	v_lshrrev_b32_e32 v14, 16, v16
	v_cmp_ne_u16_e32 vcc, 0, v24
	s_and_saveexec_b64 s[2:3], vcc
	s_cbranch_execz .LBB601_465
; %bb.460:
	s_movk_i32 s7, 0x80
	v_cmp_ne_u16_e32 vcc, s7, v24
	v_bfrev_b32_e32 v15, 1
	s_and_saveexec_b64 s[8:9], vcc
	s_cbranch_execz .LBB601_464
; %bb.461:
	v_bfe_u32 v24, v16, 16, 7
	s_movk_i32 s7, 0x7f
	v_cmp_ne_u32_e32 vcc, s7, v24
	v_mov_b32_e32 v15, 0x7f800001
	s_and_saveexec_b64 s[10:11], vcc
	s_cbranch_execz .LBB601_463
; %bb.462:
	v_and_b32_e32 v26, 7, v14
	v_ffbh_u32_e32 v15, v26
	v_min_u32_e32 v29, 32, v15
	v_subrev_u32_e32 v15, 28, v29
	v_lshlrev_b64 v[14:15], v15, v[14:15]
	v_lshrrev_b32_e32 v27, 3, v24
	v_sub_u32_e32 v15, 29, v29
	v_and_b32_e32 v14, 7, v14
	v_cmp_gt_u32_e32 vcc, 8, v24
	v_mov_b32_e32 v24, 24
	v_cndmask_b32_e32 v15, v27, v15, vcc
	v_cndmask_b32_e32 v14, v26, v14, vcc
	v_lshlrev_b32_sdwa v24, v24, v16 dst_sel:DWORD dst_unused:UNUSED_PAD src0_sel:DWORD src1_sel:WORD_1
	v_bfrev_b32_e32 v26, 60
	v_lshlrev_b32_e32 v14, 20, v14
	v_and_b32_e32 v24, 0x80000000, v24
	v_lshl_add_u32 v15, v15, 23, v26
	v_or3_b32 v15, v24, v15, v14
.LBB601_463:
	s_or_b64 exec, exec, s[10:11]
.LBB601_464:
	s_or_b64 exec, exec, s[8:9]
.LBB601_465:
	s_or_b64 exec, exec, s[2:3]
	s_mov_b32 s2, 0xffffff
	v_cmp_lt_u32_e32 vcc, s2, v16
	v_mov_b32_e32 v26, 0
	v_mov_b32_e32 v27, 0
	s_and_saveexec_b64 s[2:3], vcc
	s_cbranch_execz .LBB601_471
; %bb.466:
	v_lshrrev_b32_e32 v14, 24, v16
	s_movk_i32 s7, 0x80
	v_cmp_ne_u32_e32 vcc, s7, v14
	v_bfrev_b32_e32 v27, 1
	s_and_saveexec_b64 s[8:9], vcc
	s_cbranch_execz .LBB601_470
; %bb.467:
	v_bfe_u32 v16, v16, 24, 7
	s_movk_i32 s7, 0x7f
	v_cmp_ne_u32_e32 vcc, s7, v16
	v_mov_b32_e32 v27, 0x7f800001
	s_and_saveexec_b64 s[10:11], vcc
	s_cbranch_execz .LBB601_469
; %bb.468:
	v_and_b32_e32 v24, 7, v14
	v_ffbh_u32_e32 v29, v24
	v_min_u32_e32 v29, 32, v29
	v_subrev_u32_e32 v30, 28, v29
	v_lshlrev_b64 v[30:31], v30, v[14:15]
	v_lshrrev_b32_e32 v27, 3, v16
	v_sub_u32_e32 v29, 29, v29
	v_and_b32_e32 v30, 7, v30
	v_cmp_gt_u32_e32 vcc, 8, v16
	v_cndmask_b32_e32 v16, v27, v29, vcc
	v_cndmask_b32_e32 v24, v24, v30, vcc
	v_lshlrev_b32_e32 v14, 24, v14
	v_bfrev_b32_e32 v27, 60
	v_lshlrev_b32_e32 v24, 20, v24
	v_and_b32_e32 v14, 0x80000000, v14
	v_lshl_add_u32 v16, v16, 23, v27
	v_or3_b32 v27, v14, v16, v24
.LBB601_469:
	s_or_b64 exec, exec, s[10:11]
.LBB601_470:
	s_or_b64 exec, exec, s[8:9]
.LBB601_471:
	s_or_b64 exec, exec, s[2:3]
	v_cmp_ne_u16_sdwa s[8:9], v17, v26 src0_sel:BYTE_0 src1_sel:DWORD
	s_and_saveexec_b64 s[2:3], s[8:9]
	s_cbranch_execz .LBB601_477
; %bb.472:
	s_movk_i32 s7, 0x80
	v_cmp_ne_u16_sdwa s[10:11], v17, s7 src0_sel:BYTE_0 src1_sel:DWORD
	v_bfrev_b32_e32 v26, 1
	s_and_saveexec_b64 s[8:9], s[10:11]
	s_cbranch_execz .LBB601_476
; %bb.473:
	s_movk_i32 s7, 0x7f
	v_and_b32_e32 v14, 0x7f, v17
	v_cmp_ne_u32_e32 vcc, s7, v14
	v_mov_b32_e32 v26, 0x7f800001
	s_and_saveexec_b64 s[10:11], vcc
	s_cbranch_execz .LBB601_475
; %bb.474:
	v_and_b32_e32 v24, 7, v17
	v_ffbh_u32_e32 v29, v24
	v_min_u32_e32 v29, 32, v29
	v_mov_b32_e32 v16, v17
	v_subrev_u32_e32 v30, 28, v29
	v_lshlrev_b64 v[30:31], v30, v[16:17]
	v_lshrrev_b32_e32 v26, 3, v14
	v_sub_u32_e32 v16, 29, v29
	v_and_b32_e32 v29, 7, v30
	v_cmp_gt_u32_e32 vcc, 8, v14
	v_cndmask_b32_e32 v14, v26, v16, vcc
	v_cndmask_b32_e32 v16, v24, v29, vcc
	v_lshlrev_b32_e32 v24, 24, v17
	v_bfrev_b32_e32 v26, 60
	v_lshlrev_b32_e32 v16, 20, v16
	v_and_b32_e32 v24, 0x80000000, v24
	v_lshl_add_u32 v14, v14, 23, v26
	v_or3_b32 v26, v24, v14, v16
.LBB601_475:
	s_or_b64 exec, exec, s[10:11]
.LBB601_476:
	s_or_b64 exec, exec, s[8:9]
.LBB601_477:
	s_or_b64 exec, exec, s[2:3]
	v_lshrrev_b16_e32 v14, 8, v17
	v_cmp_ne_u16_e32 vcc, 0, v14
	v_mov_b32_e32 v16, 0
	v_mov_b32_e32 v29, 0
	s_and_saveexec_b64 s[2:3], vcc
	s_cbranch_execz .LBB601_483
; %bb.478:
	s_movk_i32 s7, 0x80
	v_cmp_ne_u16_e32 vcc, s7, v14
	v_bfrev_b32_e32 v29, 1
	s_and_saveexec_b64 s[8:9], vcc
	s_cbranch_execz .LBB601_482
; %bb.479:
	s_movk_i32 s7, 0x7f
	v_and_b32_e32 v24, 0x7f, v14
	v_cmp_ne_u32_e32 vcc, s7, v24
	v_mov_b32_e32 v29, 0x7f800001
	s_and_saveexec_b64 s[10:11], vcc
	s_cbranch_execz .LBB601_481
; %bb.480:
	v_and_b32_e32 v29, 7, v14
	v_ffbh_u32_e32 v30, v29
	v_min_u32_e32 v33, 32, v30
	v_subrev_u32_e32 v30, 28, v33
	v_lshlrev_b64 v[30:31], v30, v[14:15]
	v_lshrrev_b32_e32 v32, 3, v24
	v_sub_u32_e32 v14, 29, v33
	v_and_b32_e32 v30, 7, v30
	v_cmp_gt_u32_e32 vcc, 8, v24
	v_cndmask_b32_e32 v14, v32, v14, vcc
	v_cndmask_b32_e32 v24, v29, v30, vcc
	v_lshlrev_b32_e32 v29, 16, v17
	v_bfrev_b32_e32 v30, 60
	v_lshlrev_b32_e32 v24, 20, v24
	v_and_b32_e32 v29, 0x80000000, v29
	v_lshl_add_u32 v14, v14, 23, v30
	v_or3_b32 v29, v29, v14, v24
.LBB601_481:
	s_or_b64 exec, exec, s[10:11]
.LBB601_482:
	s_or_b64 exec, exec, s[8:9]
.LBB601_483:
	s_or_b64 exec, exec, s[2:3]
	s_movk_i32 s2, 0xff
	v_and_b32_sdwa v24, v17, s2 dst_sel:DWORD dst_unused:UNUSED_PAD src0_sel:WORD_1 src1_sel:DWORD
	v_lshrrev_b32_e32 v14, 16, v17
	v_cmp_ne_u16_e32 vcc, 0, v24
	s_and_saveexec_b64 s[2:3], vcc
	s_cbranch_execz .LBB601_489
; %bb.484:
	s_movk_i32 s7, 0x80
	v_cmp_ne_u16_e32 vcc, s7, v24
	v_bfrev_b32_e32 v16, 1
	s_and_saveexec_b64 s[8:9], vcc
	s_cbranch_execz .LBB601_488
; %bb.485:
	v_bfe_u32 v24, v17, 16, 7
	s_movk_i32 s7, 0x7f
	v_cmp_ne_u32_e32 vcc, s7, v24
	v_mov_b32_e32 v16, 0x7f800001
	s_and_saveexec_b64 s[10:11], vcc
	s_cbranch_execz .LBB601_487
; %bb.486:
	v_and_b32_e32 v16, 7, v14
	v_ffbh_u32_e32 v30, v16
	v_min_u32_e32 v33, 32, v30
	v_subrev_u32_e32 v30, 28, v33
	v_lshlrev_b64 v[30:31], v30, v[14:15]
	v_lshrrev_b32_e32 v32, 3, v24
	v_sub_u32_e32 v14, 29, v33
	v_and_b32_e32 v30, 7, v30
	v_cmp_gt_u32_e32 vcc, 8, v24
	v_mov_b32_e32 v24, 24
	v_cndmask_b32_e32 v14, v32, v14, vcc
	v_cndmask_b32_e32 v16, v16, v30, vcc
	v_lshlrev_b32_sdwa v24, v24, v17 dst_sel:DWORD dst_unused:UNUSED_PAD src0_sel:DWORD src1_sel:WORD_1
	v_bfrev_b32_e32 v30, 60
	v_lshlrev_b32_e32 v16, 20, v16
	v_and_b32_e32 v24, 0x80000000, v24
	v_lshl_add_u32 v14, v14, 23, v30
	v_or3_b32 v16, v24, v14, v16
.LBB601_487:
	s_or_b64 exec, exec, s[10:11]
.LBB601_488:
	s_or_b64 exec, exec, s[8:9]
.LBB601_489:
	s_or_b64 exec, exec, s[2:3]
	s_mov_b32 s2, 0xffffff
	v_cmp_lt_u32_e32 vcc, s2, v17
	v_mov_b32_e32 v24, 0
	v_mov_b32_e32 v30, 0
	s_and_saveexec_b64 s[2:3], vcc
	s_cbranch_execz .LBB601_495
; %bb.490:
	v_lshrrev_b32_e32 v14, 24, v17
	s_movk_i32 s7, 0x80
	v_cmp_ne_u32_e32 vcc, s7, v14
	v_bfrev_b32_e32 v30, 1
	s_and_saveexec_b64 s[8:9], vcc
	s_cbranch_execz .LBB601_494
; %bb.491:
	v_bfe_u32 v17, v17, 24, 7
	s_movk_i32 s7, 0x7f
	v_cmp_ne_u32_e32 vcc, s7, v17
	v_mov_b32_e32 v30, 0x7f800001
	s_and_saveexec_b64 s[10:11], vcc
	s_cbranch_execz .LBB601_493
; %bb.492:
	v_and_b32_e32 v32, 7, v14
	v_ffbh_u32_e32 v30, v32
	v_min_u32_e32 v34, 32, v30
	v_subrev_u32_e32 v30, 28, v34
	v_lshlrev_b64 v[30:31], v30, v[14:15]
	v_lshrrev_b32_e32 v33, 3, v17
	v_sub_u32_e32 v31, 29, v34
	v_and_b32_e32 v30, 7, v30
	v_cmp_gt_u32_e32 vcc, 8, v17
	v_cndmask_b32_e32 v17, v33, v31, vcc
	v_cndmask_b32_e32 v30, v32, v30, vcc
	v_lshlrev_b32_e32 v14, 24, v14
	v_bfrev_b32_e32 v31, 60
	v_lshlrev_b32_e32 v30, 20, v30
	v_and_b32_e32 v14, 0x80000000, v14
	v_lshl_add_u32 v17, v17, 23, v31
	v_or3_b32 v30, v14, v17, v30
.LBB601_493:
	s_or_b64 exec, exec, s[10:11]
.LBB601_494:
	s_or_b64 exec, exec, s[8:9]
.LBB601_495:
	s_or_b64 exec, exec, s[2:3]
	v_cvt_pkrtz_f16_f32 v14, v23, v25
	v_cvt_pkrtz_f16_f32 v15, v15, v27
	ds_read_b128 v[32:35], v22 offset:16
	s_waitcnt vmcnt(2)
	v_cmp_ne_u16_sdwa s[8:9], v10, v24 src0_sel:BYTE_0 src1_sel:DWORD
	s_waitcnt lgkmcnt(0)
	v_mfma_f32_16x16x16f16 v[18:21], v[14:15], v[32:33], v[18:21]
	v_cvt_pkrtz_f16_f32 v14, v26, v29
	v_cvt_pkrtz_f16_f32 v15, v16, v30
	s_nop 1
	v_mfma_f32_16x16x16f16 v[14:17], v[14:15], v[34:35], v[18:21]
	s_and_saveexec_b64 s[2:3], s[8:9]
	s_cbranch_execz .LBB601_501
; %bb.496:
	s_movk_i32 s7, 0x80
	v_cmp_ne_u16_sdwa s[10:11], v10, s7 src0_sel:BYTE_0 src1_sel:DWORD
	v_bfrev_b32_e32 v24, 1
	s_and_saveexec_b64 s[8:9], s[10:11]
	s_cbranch_execz .LBB601_500
; %bb.497:
	s_movk_i32 s7, 0x7f
	v_and_b32_e32 v18, 0x7f, v10
	v_cmp_ne_u32_e32 vcc, s7, v18
	v_mov_b32_e32 v24, 0x7f800001
	s_and_saveexec_b64 s[10:11], vcc
	s_cbranch_execz .LBB601_499
; %bb.498:
	v_and_b32_e32 v19, 7, v10
	v_ffbh_u32_e32 v20, v19
	v_min_u32_e32 v24, 32, v20
	v_subrev_u32_e32 v20, 28, v24
	v_lshlrev_b64 v[20:21], v20, v[10:11]
	v_lshrrev_b32_e32 v23, 3, v18
	v_sub_u32_e32 v21, 29, v24
	v_and_b32_e32 v20, 7, v20
	v_cmp_gt_u32_e32 vcc, 8, v18
	v_cndmask_b32_e32 v18, v23, v21, vcc
	v_cndmask_b32_e32 v19, v19, v20, vcc
	v_lshlrev_b32_e32 v20, 24, v10
	v_bfrev_b32_e32 v21, 60
	v_lshlrev_b32_e32 v19, 20, v19
	v_and_b32_e32 v20, 0x80000000, v20
	v_lshl_add_u32 v18, v18, 23, v21
	v_or3_b32 v24, v20, v18, v19
.LBB601_499:
	s_or_b64 exec, exec, s[10:11]
.LBB601_500:
	s_or_b64 exec, exec, s[8:9]
.LBB601_501:
	s_or_b64 exec, exec, s[2:3]
	s_nop 3
	v_lshrrev_b16_e32 v18, 8, v10
	v_cmp_ne_u16_e32 vcc, 0, v18
	v_mov_b32_e32 v19, 0
	v_mov_b32_e32 v20, 0
	s_and_saveexec_b64 s[2:3], vcc
	s_cbranch_execz .LBB601_507
; %bb.502:
	s_movk_i32 s7, 0x80
	v_cmp_ne_u16_e32 vcc, s7, v18
	v_bfrev_b32_e32 v20, 1
	s_and_saveexec_b64 s[8:9], vcc
	s_cbranch_execz .LBB601_506
; %bb.503:
	s_movk_i32 s7, 0x7f
	v_and_b32_e32 v21, 0x7f, v18
	v_cmp_ne_u32_e32 vcc, s7, v21
	v_mov_b32_e32 v20, 0x7f800001
	s_and_saveexec_b64 s[10:11], vcc
	s_cbranch_execz .LBB601_505
; %bb.504:
	v_and_b32_e32 v20, 7, v18
	v_ffbh_u32_e32 v25, v20
	v_min_u32_e32 v25, 32, v25
	v_subrev_u32_e32 v26, 28, v25
	v_lshlrev_b64 v[26:27], v26, v[18:19]
	v_lshrrev_b32_e32 v23, 3, v21
	v_sub_u32_e32 v18, 29, v25
	v_and_b32_e32 v25, 7, v26
	v_cmp_gt_u32_e32 vcc, 8, v21
	v_cndmask_b32_e32 v18, v23, v18, vcc
	v_cndmask_b32_e32 v20, v20, v25, vcc
	v_lshlrev_b32_e32 v21, 16, v10
	v_bfrev_b32_e32 v23, 60
	v_lshlrev_b32_e32 v20, 20, v20
	v_and_b32_e32 v21, 0x80000000, v21
	v_lshl_add_u32 v18, v18, 23, v23
	v_or3_b32 v20, v21, v18, v20
.LBB601_505:
	s_or_b64 exec, exec, s[10:11]
.LBB601_506:
	s_or_b64 exec, exec, s[8:9]
.LBB601_507:
	s_or_b64 exec, exec, s[2:3]
	s_movk_i32 s2, 0xff
	v_and_b32_sdwa v21, v10, s2 dst_sel:DWORD dst_unused:UNUSED_PAD src0_sel:WORD_1 src1_sel:DWORD
	v_lshrrev_b32_e32 v18, 16, v10
	v_cmp_ne_u16_e32 vcc, 0, v21
	s_and_saveexec_b64 s[2:3], vcc
	s_cbranch_execz .LBB601_513
; %bb.508:
	s_movk_i32 s7, 0x80
	v_cmp_ne_u16_e32 vcc, s7, v21
	v_bfrev_b32_e32 v19, 1
	s_and_saveexec_b64 s[8:9], vcc
	s_cbranch_execz .LBB601_512
; %bb.509:
	v_bfe_u32 v21, v10, 16, 7
	s_movk_i32 s7, 0x7f
	v_cmp_ne_u32_e32 vcc, s7, v21
	v_mov_b32_e32 v19, 0x7f800001
	s_and_saveexec_b64 s[10:11], vcc
	s_cbranch_execz .LBB601_511
; %bb.510:
	v_and_b32_e32 v23, 7, v18
	v_ffbh_u32_e32 v19, v23
	v_min_u32_e32 v26, 32, v19
	v_subrev_u32_e32 v19, 28, v26
	v_lshlrev_b64 v[18:19], v19, v[18:19]
	v_lshrrev_b32_e32 v25, 3, v21
	v_sub_u32_e32 v19, 29, v26
	v_and_b32_e32 v18, 7, v18
	v_cmp_gt_u32_e32 vcc, 8, v21
	v_mov_b32_e32 v21, 24
	v_cndmask_b32_e32 v19, v25, v19, vcc
	v_cndmask_b32_e32 v18, v23, v18, vcc
	v_lshlrev_b32_sdwa v21, v21, v10 dst_sel:DWORD dst_unused:UNUSED_PAD src0_sel:DWORD src1_sel:WORD_1
	v_bfrev_b32_e32 v23, 60
	v_lshlrev_b32_e32 v18, 20, v18
	v_and_b32_e32 v21, 0x80000000, v21
	v_lshl_add_u32 v19, v19, 23, v23
	v_or3_b32 v19, v21, v19, v18
.LBB601_511:
	s_or_b64 exec, exec, s[10:11]
.LBB601_512:
	s_or_b64 exec, exec, s[8:9]
.LBB601_513:
	s_or_b64 exec, exec, s[2:3]
	s_mov_b32 s2, 0xffffff
	v_cmp_lt_u32_e32 vcc, s2, v10
	v_mov_b32_e32 v21, 0
	v_mov_b32_e32 v23, 0
	s_and_saveexec_b64 s[2:3], vcc
	s_cbranch_execz .LBB601_519
; %bb.514:
	v_lshrrev_b32_e32 v18, 24, v10
	s_movk_i32 s7, 0x80
	v_cmp_ne_u32_e32 vcc, s7, v18
	v_bfrev_b32_e32 v23, 1
	s_and_saveexec_b64 s[8:9], vcc
	s_cbranch_execz .LBB601_518
; %bb.515:
	v_bfe_u32 v10, v10, 24, 7
	s_movk_i32 s7, 0x7f
	v_cmp_ne_u32_e32 vcc, s7, v10
	v_mov_b32_e32 v23, 0x7f800001
	s_and_saveexec_b64 s[10:11], vcc
	s_cbranch_execz .LBB601_517
; %bb.516:
	v_and_b32_e32 v23, 7, v18
	v_ffbh_u32_e32 v26, v23
	v_min_u32_e32 v29, 32, v26
	v_subrev_u32_e32 v26, 28, v29
	v_lshlrev_b64 v[26:27], v26, v[18:19]
	v_lshrrev_b32_e32 v25, 3, v10
	v_sub_u32_e32 v27, 29, v29
	v_and_b32_e32 v26, 7, v26
	v_cmp_gt_u32_e32 vcc, 8, v10
	v_cndmask_b32_e32 v10, v25, v27, vcc
	v_cndmask_b32_e32 v23, v23, v26, vcc
	v_lshlrev_b32_e32 v18, 24, v18
	v_bfrev_b32_e32 v25, 60
	v_lshlrev_b32_e32 v23, 20, v23
	v_and_b32_e32 v18, 0x80000000, v18
	v_lshl_add_u32 v10, v10, 23, v25
	v_or3_b32 v23, v18, v10, v23
.LBB601_517:
	s_or_b64 exec, exec, s[10:11]
.LBB601_518:
	s_or_b64 exec, exec, s[8:9]
.LBB601_519:
	s_or_b64 exec, exec, s[2:3]
	v_cmp_ne_u16_sdwa s[8:9], v11, v21 src0_sel:BYTE_0 src1_sel:DWORD
	s_and_saveexec_b64 s[2:3], s[8:9]
	s_cbranch_execz .LBB601_525
; %bb.520:
	s_movk_i32 s7, 0x80
	v_cmp_ne_u16_sdwa s[10:11], v11, s7 src0_sel:BYTE_0 src1_sel:DWORD
	v_bfrev_b32_e32 v21, 1
	s_and_saveexec_b64 s[8:9], s[10:11]
	s_cbranch_execz .LBB601_524
; %bb.521:
	s_movk_i32 s7, 0x7f
	v_and_b32_e32 v10, 0x7f, v11
	v_cmp_ne_u32_e32 vcc, s7, v10
	v_mov_b32_e32 v21, 0x7f800001
	s_and_saveexec_b64 s[10:11], vcc
	s_cbranch_execz .LBB601_523
; %bb.522:
	v_and_b32_e32 v21, 7, v11
	v_ffbh_u32_e32 v26, v21
	v_min_u32_e32 v29, 32, v26
	v_mov_b32_e32 v18, v11
	v_subrev_u32_e32 v26, 28, v29
	v_lshlrev_b64 v[26:27], v26, v[18:19]
	v_lshrrev_b32_e32 v25, 3, v10
	v_sub_u32_e32 v18, 29, v29
	v_and_b32_e32 v26, 7, v26
	v_cmp_gt_u32_e32 vcc, 8, v10
	v_cndmask_b32_e32 v10, v25, v18, vcc
	v_cndmask_b32_e32 v18, v21, v26, vcc
	v_lshlrev_b32_e32 v21, 24, v11
	v_bfrev_b32_e32 v25, 60
	v_lshlrev_b32_e32 v18, 20, v18
	v_and_b32_e32 v21, 0x80000000, v21
	v_lshl_add_u32 v10, v10, 23, v25
	v_or3_b32 v21, v21, v10, v18
.LBB601_523:
	s_or_b64 exec, exec, s[10:11]
.LBB601_524:
	s_or_b64 exec, exec, s[8:9]
.LBB601_525:
	s_or_b64 exec, exec, s[2:3]
	v_lshrrev_b16_e32 v10, 8, v11
	v_cmp_ne_u16_e32 vcc, 0, v10
	v_mov_b32_e32 v25, 0
	v_mov_b32_e32 v26, 0
	s_and_saveexec_b64 s[2:3], vcc
	s_cbranch_execz .LBB601_531
; %bb.526:
	s_movk_i32 s7, 0x80
	v_cmp_ne_u16_e32 vcc, s7, v10
	v_bfrev_b32_e32 v26, 1
	s_and_saveexec_b64 s[8:9], vcc
	s_cbranch_execz .LBB601_530
; %bb.527:
	s_movk_i32 s7, 0x7f
	v_and_b32_e32 v18, 0x7f, v10
	v_cmp_ne_u32_e32 vcc, s7, v18
	v_mov_b32_e32 v26, 0x7f800001
	s_and_saveexec_b64 s[10:11], vcc
	s_cbranch_execz .LBB601_529
; %bb.528:
	v_and_b32_e32 v29, 7, v10
	v_ffbh_u32_e32 v26, v29
	v_min_u32_e32 v31, 32, v26
	v_subrev_u32_e32 v26, 28, v31
	v_lshlrev_b64 v[26:27], v26, v[10:11]
	v_lshrrev_b32_e32 v30, 3, v18
	v_sub_u32_e32 v10, 29, v31
	v_and_b32_e32 v26, 7, v26
	v_cmp_gt_u32_e32 vcc, 8, v18
	v_cndmask_b32_e32 v10, v30, v10, vcc
	v_cndmask_b32_e32 v18, v29, v26, vcc
	v_lshlrev_b32_e32 v26, 16, v11
	v_bfrev_b32_e32 v27, 60
	v_lshlrev_b32_e32 v18, 20, v18
	v_and_b32_e32 v26, 0x80000000, v26
	v_lshl_add_u32 v10, v10, 23, v27
	v_or3_b32 v26, v26, v10, v18
.LBB601_529:
	s_or_b64 exec, exec, s[10:11]
.LBB601_530:
	s_or_b64 exec, exec, s[8:9]
.LBB601_531:
	s_or_b64 exec, exec, s[2:3]
	s_movk_i32 s2, 0xff
	v_and_b32_sdwa v18, v11, s2 dst_sel:DWORD dst_unused:UNUSED_PAD src0_sel:WORD_1 src1_sel:DWORD
	v_lshrrev_b32_e32 v10, 16, v11
	v_cmp_ne_u16_e32 vcc, 0, v18
	s_and_saveexec_b64 s[2:3], vcc
	s_cbranch_execz .LBB601_537
; %bb.532:
	s_movk_i32 s7, 0x80
	v_cmp_ne_u16_e32 vcc, s7, v18
	v_bfrev_b32_e32 v25, 1
	s_and_saveexec_b64 s[8:9], vcc
	s_cbranch_execz .LBB601_536
; %bb.533:
	v_bfe_u32 v18, v11, 16, 7
	s_movk_i32 s7, 0x7f
	v_cmp_ne_u32_e32 vcc, s7, v18
	v_mov_b32_e32 v25, 0x7f800001
	s_and_saveexec_b64 s[10:11], vcc
	s_cbranch_execz .LBB601_535
; %bb.534:
	v_and_b32_e32 v25, 7, v10
	v_ffbh_u32_e32 v29, v25
	v_min_u32_e32 v29, 32, v29
	v_subrev_u32_e32 v30, 28, v29
	v_lshlrev_b64 v[30:31], v30, v[10:11]
	v_sub_u32_e32 v10, 29, v29
	v_and_b32_e32 v29, 7, v30
	v_cmp_gt_u32_e32 vcc, 8, v18
	v_lshrrev_b32_e32 v27, 3, v18
	v_cndmask_b32_e32 v18, v25, v29, vcc
	v_mov_b32_e32 v25, 24
	v_cndmask_b32_e32 v10, v27, v10, vcc
	v_lshlrev_b32_sdwa v25, v25, v11 dst_sel:DWORD dst_unused:UNUSED_PAD src0_sel:DWORD src1_sel:WORD_1
	v_bfrev_b32_e32 v27, 60
	v_lshlrev_b32_e32 v18, 20, v18
	v_and_b32_e32 v25, 0x80000000, v25
	v_lshl_add_u32 v10, v10, 23, v27
	v_or3_b32 v25, v25, v10, v18
.LBB601_535:
	s_or_b64 exec, exec, s[10:11]
.LBB601_536:
	s_or_b64 exec, exec, s[8:9]
.LBB601_537:
	s_or_b64 exec, exec, s[2:3]
	s_mov_b32 s2, 0xffffff
	v_cmp_lt_u32_e32 vcc, s2, v11
	v_mov_b32_e32 v18, 0
	v_mov_b32_e32 v27, 0
	s_and_saveexec_b64 s[2:3], vcc
	s_cbranch_execz .LBB601_543
; %bb.538:
	v_lshrrev_b32_e32 v10, 24, v11
	s_movk_i32 s7, 0x80
	v_cmp_ne_u32_e32 vcc, s7, v10
	v_bfrev_b32_e32 v27, 1
	s_and_saveexec_b64 s[8:9], vcc
	s_cbranch_execz .LBB601_542
; %bb.539:
	v_bfe_u32 v11, v11, 24, 7
	s_movk_i32 s7, 0x7f
	v_cmp_ne_u32_e32 vcc, s7, v11
	v_mov_b32_e32 v27, 0x7f800001
	s_and_saveexec_b64 s[10:11], vcc
	s_cbranch_execz .LBB601_541
; %bb.540:
	v_and_b32_e32 v27, 7, v10
	v_ffbh_u32_e32 v30, v27
	v_min_u32_e32 v32, 32, v30
	v_subrev_u32_e32 v30, 28, v32
	v_lshlrev_b64 v[30:31], v30, v[10:11]
	v_lshrrev_b32_e32 v29, 3, v11
	v_sub_u32_e32 v31, 29, v32
	v_and_b32_e32 v30, 7, v30
	v_cmp_gt_u32_e32 vcc, 8, v11
	v_cndmask_b32_e32 v11, v29, v31, vcc
	v_cndmask_b32_e32 v27, v27, v30, vcc
	v_lshlrev_b32_e32 v10, 24, v10
	v_bfrev_b32_e32 v29, 60
	v_lshlrev_b32_e32 v27, 20, v27
	v_and_b32_e32 v10, 0x80000000, v10
	v_lshl_add_u32 v11, v11, 23, v29
	v_or3_b32 v27, v10, v11, v27
.LBB601_541:
	s_or_b64 exec, exec, s[10:11]
.LBB601_542:
	s_or_b64 exec, exec, s[8:9]
.LBB601_543:
	s_or_b64 exec, exec, s[2:3]
	v_cvt_pkrtz_f16_f32 v10, v24, v20
	v_cvt_pkrtz_f16_f32 v11, v19, v23
	ds_read_b128 v[30:33], v22 offset:2048
	v_cmp_ne_u16_sdwa s[8:9], v12, v18 src0_sel:BYTE_0 src1_sel:DWORD
	s_waitcnt lgkmcnt(0)
	v_mfma_f32_16x16x16f16 v[14:17], v[10:11], v[30:31], v[14:17]
	v_cvt_pkrtz_f16_f32 v10, v21, v26
	v_cvt_pkrtz_f16_f32 v11, v25, v27
	s_nop 1
	v_mfma_f32_16x16x16f16 v[14:17], v[10:11], v[32:33], v[14:17]
	s_and_saveexec_b64 s[2:3], s[8:9]
	s_cbranch_execz .LBB601_549
; %bb.544:
	s_movk_i32 s7, 0x80
	v_cmp_ne_u16_sdwa s[10:11], v12, s7 src0_sel:BYTE_0 src1_sel:DWORD
	v_bfrev_b32_e32 v18, 1
	s_and_saveexec_b64 s[8:9], s[10:11]
	s_cbranch_execz .LBB601_548
; %bb.545:
	s_movk_i32 s7, 0x7f
	v_and_b32_e32 v10, 0x7f, v12
	v_cmp_ne_u32_e32 vcc, s7, v10
	v_mov_b32_e32 v18, 0x7f800001
	s_and_saveexec_b64 s[10:11], vcc
	s_cbranch_execz .LBB601_547
; %bb.546:
	v_and_b32_e32 v11, 7, v12
	v_ffbh_u32_e32 v18, v11
	v_min_u32_e32 v21, 32, v18
	v_subrev_u32_e32 v18, 28, v21
	v_lshlrev_b64 v[18:19], v18, v[12:13]
	v_lshrrev_b32_e32 v20, 3, v10
	v_sub_u32_e32 v19, 29, v21
	v_and_b32_e32 v18, 7, v18
	v_cmp_gt_u32_e32 vcc, 8, v10
	v_cndmask_b32_e32 v10, v20, v19, vcc
	v_cndmask_b32_e32 v11, v11, v18, vcc
	v_lshlrev_b32_e32 v18, 24, v12
	v_bfrev_b32_e32 v19, 60
	v_lshlrev_b32_e32 v11, 20, v11
	v_and_b32_e32 v18, 0x80000000, v18
	v_lshl_add_u32 v10, v10, 23, v19
	v_or3_b32 v18, v18, v10, v11
.LBB601_547:
	s_or_b64 exec, exec, s[10:11]
.LBB601_548:
	s_or_b64 exec, exec, s[8:9]
.LBB601_549:
	s_or_b64 exec, exec, s[2:3]
	v_lshrrev_b16_e32 v10, 8, v12
	v_cmp_ne_u16_e32 vcc, 0, v10
	v_mov_b32_e32 v11, 0
	v_mov_b32_e32 v20, 0
	s_and_saveexec_b64 s[2:3], vcc
	s_cbranch_execz .LBB601_555
; %bb.550:
	s_movk_i32 s7, 0x80
	v_cmp_ne_u16_e32 vcc, s7, v10
	v_bfrev_b32_e32 v20, 1
	s_and_saveexec_b64 s[8:9], vcc
	s_cbranch_execz .LBB601_554
; %bb.551:
	s_movk_i32 s7, 0x7f
	v_and_b32_e32 v19, 0x7f, v10
	v_cmp_ne_u32_e32 vcc, s7, v19
	v_mov_b32_e32 v20, 0x7f800001
	s_and_saveexec_b64 s[10:11], vcc
	s_cbranch_execz .LBB601_553
; %bb.552:
	v_and_b32_e32 v23, 7, v10
	v_ffbh_u32_e32 v20, v23
	v_min_u32_e32 v25, 32, v20
	v_subrev_u32_e32 v20, 28, v25
	v_lshlrev_b64 v[20:21], v20, v[10:11]
	v_lshrrev_b32_e32 v24, 3, v19
	v_sub_u32_e32 v10, 29, v25
	v_and_b32_e32 v20, 7, v20
	v_cmp_gt_u32_e32 vcc, 8, v19
	v_cndmask_b32_e32 v10, v24, v10, vcc
	v_cndmask_b32_e32 v19, v23, v20, vcc
	v_lshlrev_b32_e32 v20, 16, v12
	v_bfrev_b32_e32 v21, 60
	v_lshlrev_b32_e32 v19, 20, v19
	v_and_b32_e32 v20, 0x80000000, v20
	v_lshl_add_u32 v10, v10, 23, v21
	v_or3_b32 v20, v20, v10, v19
.LBB601_553:
	s_or_b64 exec, exec, s[10:11]
.LBB601_554:
	s_or_b64 exec, exec, s[8:9]
.LBB601_555:
	s_or_b64 exec, exec, s[2:3]
	s_movk_i32 s2, 0xff
	v_and_b32_sdwa v19, v12, s2 dst_sel:DWORD dst_unused:UNUSED_PAD src0_sel:WORD_1 src1_sel:DWORD
	v_lshrrev_b32_e32 v10, 16, v12
	v_cmp_ne_u16_e32 vcc, 0, v19
	s_and_saveexec_b64 s[2:3], vcc
	s_cbranch_execz .LBB601_561
; %bb.556:
	s_movk_i32 s7, 0x80
	v_cmp_ne_u16_e32 vcc, s7, v19
	v_bfrev_b32_e32 v11, 1
	s_and_saveexec_b64 s[8:9], vcc
	s_cbranch_execz .LBB601_560
; %bb.557:
	v_bfe_u32 v19, v12, 16, 7
	s_movk_i32 s7, 0x7f
	v_cmp_ne_u32_e32 vcc, s7, v19
	v_mov_b32_e32 v11, 0x7f800001
	s_and_saveexec_b64 s[10:11], vcc
	s_cbranch_execz .LBB601_559
; %bb.558:
	v_and_b32_e32 v21, 7, v10
	v_ffbh_u32_e32 v11, v21
	v_min_u32_e32 v24, 32, v11
	v_subrev_u32_e32 v11, 28, v24
	v_lshlrev_b64 v[10:11], v11, v[10:11]
	v_lshrrev_b32_e32 v23, 3, v19
	v_sub_u32_e32 v11, 29, v24
	v_and_b32_e32 v10, 7, v10
	v_cmp_gt_u32_e32 vcc, 8, v19
	v_mov_b32_e32 v19, 24
	v_cndmask_b32_e32 v11, v23, v11, vcc
	v_cndmask_b32_e32 v10, v21, v10, vcc
	v_lshlrev_b32_sdwa v19, v19, v12 dst_sel:DWORD dst_unused:UNUSED_PAD src0_sel:DWORD src1_sel:WORD_1
	v_bfrev_b32_e32 v21, 60
	v_lshlrev_b32_e32 v10, 20, v10
	v_and_b32_e32 v19, 0x80000000, v19
	v_lshl_add_u32 v11, v11, 23, v21
	v_or3_b32 v11, v19, v11, v10
.LBB601_559:
	s_or_b64 exec, exec, s[10:11]
.LBB601_560:
	s_or_b64 exec, exec, s[8:9]
.LBB601_561:
	s_or_b64 exec, exec, s[2:3]
	s_mov_b32 s2, 0xffffff
	v_cmp_lt_u32_e32 vcc, s2, v12
	v_mov_b32_e32 v21, 0
	v_mov_b32_e32 v23, 0
	s_and_saveexec_b64 s[2:3], vcc
	s_cbranch_execz .LBB601_567
; %bb.562:
	v_lshrrev_b32_e32 v10, 24, v12
	s_movk_i32 s7, 0x80
	v_cmp_ne_u32_e32 vcc, s7, v10
	v_bfrev_b32_e32 v23, 1
	s_and_saveexec_b64 s[8:9], vcc
	s_cbranch_execz .LBB601_566
; %bb.563:
	v_bfe_u32 v12, v12, 24, 7
	s_movk_i32 s7, 0x7f
	v_cmp_ne_u32_e32 vcc, s7, v12
	v_mov_b32_e32 v23, 0x7f800001
	s_and_saveexec_b64 s[10:11], vcc
	s_cbranch_execz .LBB601_565
; %bb.564:
	v_and_b32_e32 v19, 7, v10
	v_ffbh_u32_e32 v24, v19
	v_min_u32_e32 v26, 32, v24
	v_subrev_u32_e32 v24, 28, v26
	v_lshlrev_b64 v[24:25], v24, v[10:11]
	v_lshrrev_b32_e32 v23, 3, v12
	v_sub_u32_e32 v25, 29, v26
	v_and_b32_e32 v24, 7, v24
	v_cmp_gt_u32_e32 vcc, 8, v12
	v_cndmask_b32_e32 v12, v23, v25, vcc
	v_cndmask_b32_e32 v19, v19, v24, vcc
	v_lshlrev_b32_e32 v10, 24, v10
	v_bfrev_b32_e32 v23, 60
	v_lshlrev_b32_e32 v19, 20, v19
	v_and_b32_e32 v10, 0x80000000, v10
	v_lshl_add_u32 v12, v12, 23, v23
	v_or3_b32 v23, v10, v12, v19
.LBB601_565:
	s_or_b64 exec, exec, s[10:11]
.LBB601_566:
	s_or_b64 exec, exec, s[8:9]
.LBB601_567:
	s_or_b64 exec, exec, s[2:3]
	v_cmp_ne_u16_sdwa s[8:9], v13, v21 src0_sel:BYTE_0 src1_sel:DWORD
	s_and_saveexec_b64 s[2:3], s[8:9]
	s_cbranch_execz .LBB601_573
; %bb.568:
	s_movk_i32 s7, 0x80
	v_cmp_ne_u16_sdwa s[10:11], v13, s7 src0_sel:BYTE_0 src1_sel:DWORD
	v_bfrev_b32_e32 v21, 1
	s_and_saveexec_b64 s[8:9], s[10:11]
	s_cbranch_execz .LBB601_572
; %bb.569:
	s_movk_i32 s7, 0x7f
	v_and_b32_e32 v10, 0x7f, v13
	v_cmp_ne_u32_e32 vcc, s7, v10
	v_mov_b32_e32 v21, 0x7f800001
	s_and_saveexec_b64 s[10:11], vcc
	s_cbranch_execz .LBB601_571
; %bb.570:
	v_and_b32_e32 v19, 7, v13
	v_ffbh_u32_e32 v24, v19
	v_min_u32_e32 v26, 32, v24
	v_mov_b32_e32 v12, v13
	v_subrev_u32_e32 v24, 28, v26
	v_lshlrev_b64 v[24:25], v24, v[12:13]
	v_lshrrev_b32_e32 v21, 3, v10
	v_sub_u32_e32 v12, 29, v26
	v_and_b32_e32 v24, 7, v24
	v_cmp_gt_u32_e32 vcc, 8, v10
	v_cndmask_b32_e32 v10, v21, v12, vcc
	v_cndmask_b32_e32 v12, v19, v24, vcc
	v_lshlrev_b32_e32 v19, 24, v13
	v_bfrev_b32_e32 v21, 60
	v_lshlrev_b32_e32 v12, 20, v12
	v_and_b32_e32 v19, 0x80000000, v19
	v_lshl_add_u32 v10, v10, 23, v21
	v_or3_b32 v21, v19, v10, v12
.LBB601_571:
	s_or_b64 exec, exec, s[10:11]
.LBB601_572:
	s_or_b64 exec, exec, s[8:9]
.LBB601_573:
	s_or_b64 exec, exec, s[2:3]
	v_lshrrev_b16_e32 v10, 8, v13
	v_cmp_ne_u16_e32 vcc, 0, v10
	v_mov_b32_e32 v12, 0
	v_mov_b32_e32 v24, 0
	s_and_saveexec_b64 s[2:3], vcc
	s_cbranch_execz .LBB601_579
; %bb.574:
	s_movk_i32 s7, 0x80
	v_cmp_ne_u16_e32 vcc, s7, v10
	v_bfrev_b32_e32 v24, 1
	s_and_saveexec_b64 s[8:9], vcc
	s_cbranch_execz .LBB601_578
; %bb.575:
	s_movk_i32 s7, 0x7f
	v_and_b32_e32 v19, 0x7f, v10
	v_cmp_ne_u32_e32 vcc, s7, v19
	v_mov_b32_e32 v24, 0x7f800001
	s_and_saveexec_b64 s[10:11], vcc
	s_cbranch_execz .LBB601_577
; %bb.576:
	v_and_b32_e32 v26, 7, v10
	v_ffbh_u32_e32 v24, v26
	v_min_u32_e32 v29, 32, v24
	v_subrev_u32_e32 v24, 28, v29
	v_lshlrev_b64 v[24:25], v24, v[10:11]
	v_lshrrev_b32_e32 v27, 3, v19
	v_sub_u32_e32 v10, 29, v29
	v_and_b32_e32 v24, 7, v24
	v_cmp_gt_u32_e32 vcc, 8, v19
	v_cndmask_b32_e32 v10, v27, v10, vcc
	v_cndmask_b32_e32 v19, v26, v24, vcc
	v_lshlrev_b32_e32 v24, 16, v13
	v_bfrev_b32_e32 v25, 60
	v_lshlrev_b32_e32 v19, 20, v19
	v_and_b32_e32 v24, 0x80000000, v24
	v_lshl_add_u32 v10, v10, 23, v25
	v_or3_b32 v24, v24, v10, v19
.LBB601_577:
	s_or_b64 exec, exec, s[10:11]
.LBB601_578:
	s_or_b64 exec, exec, s[8:9]
.LBB601_579:
	s_or_b64 exec, exec, s[2:3]
	s_movk_i32 s2, 0xff
	v_and_b32_sdwa v19, v13, s2 dst_sel:DWORD dst_unused:UNUSED_PAD src0_sel:WORD_1 src1_sel:DWORD
	v_lshrrev_b32_e32 v10, 16, v13
	v_cmp_ne_u16_e32 vcc, 0, v19
	s_and_saveexec_b64 s[2:3], vcc
	s_cbranch_execz .LBB601_585
; %bb.580:
	s_movk_i32 s7, 0x80
	v_cmp_ne_u16_e32 vcc, s7, v19
	v_bfrev_b32_e32 v12, 1
	s_and_saveexec_b64 s[8:9], vcc
	s_cbranch_execz .LBB601_584
; %bb.581:
	v_bfe_u32 v19, v13, 16, 7
	s_movk_i32 s7, 0x7f
	v_cmp_ne_u32_e32 vcc, s7, v19
	v_mov_b32_e32 v12, 0x7f800001
	s_and_saveexec_b64 s[10:11], vcc
	s_cbranch_execz .LBB601_583
; %bb.582:
	v_and_b32_e32 v12, 7, v10
	v_ffbh_u32_e32 v26, v12
	v_min_u32_e32 v29, 32, v26
	v_subrev_u32_e32 v26, 28, v29
	v_lshlrev_b64 v[26:27], v26, v[10:11]
	v_lshrrev_b32_e32 v25, 3, v19
	v_sub_u32_e32 v10, 29, v29
	v_and_b32_e32 v26, 7, v26
	v_cmp_gt_u32_e32 vcc, 8, v19
	v_mov_b32_e32 v19, 24
	v_cndmask_b32_e32 v10, v25, v10, vcc
	v_cndmask_b32_e32 v12, v12, v26, vcc
	v_lshlrev_b32_sdwa v19, v19, v13 dst_sel:DWORD dst_unused:UNUSED_PAD src0_sel:DWORD src1_sel:WORD_1
	v_bfrev_b32_e32 v25, 60
	v_lshlrev_b32_e32 v12, 20, v12
	v_and_b32_e32 v19, 0x80000000, v19
	v_lshl_add_u32 v10, v10, 23, v25
	v_or3_b32 v12, v19, v10, v12
.LBB601_583:
	s_or_b64 exec, exec, s[10:11]
.LBB601_584:
	s_or_b64 exec, exec, s[8:9]
.LBB601_585:
	s_or_b64 exec, exec, s[2:3]
	s_mov_b32 s2, 0xffffff
	v_cmp_lt_u32_e32 vcc, s2, v13
	v_mov_b32_e32 v19, 0
	v_mov_b32_e32 v25, 0
	s_and_saveexec_b64 s[2:3], vcc
	s_cbranch_execz .LBB601_591
; %bb.586:
	v_lshrrev_b32_e32 v10, 24, v13
	s_movk_i32 s7, 0x80
	v_cmp_ne_u32_e32 vcc, s7, v10
	v_bfrev_b32_e32 v25, 1
	s_and_saveexec_b64 s[8:9], vcc
	s_cbranch_execz .LBB601_590
; %bb.587:
	v_bfe_u32 v13, v13, 24, 7
	s_movk_i32 s7, 0x7f
	v_cmp_ne_u32_e32 vcc, s7, v13
	v_mov_b32_e32 v25, 0x7f800001
	s_and_saveexec_b64 s[10:11], vcc
	s_cbranch_execz .LBB601_589
; %bb.588:
	v_and_b32_e32 v25, 7, v10
	v_ffbh_u32_e32 v26, v25
	v_min_u32_e32 v30, 32, v26
	v_subrev_u32_e32 v26, 28, v30
	v_lshlrev_b64 v[26:27], v26, v[10:11]
	v_lshrrev_b32_e32 v29, 3, v13
	v_sub_u32_e32 v27, 29, v30
	v_and_b32_e32 v26, 7, v26
	v_cmp_gt_u32_e32 vcc, 8, v13
	v_cndmask_b32_e32 v13, v29, v27, vcc
	v_cndmask_b32_e32 v25, v25, v26, vcc
	v_lshlrev_b32_e32 v10, 24, v10
	v_bfrev_b32_e32 v26, 60
	v_lshlrev_b32_e32 v25, 20, v25
	v_and_b32_e32 v10, 0x80000000, v10
	v_lshl_add_u32 v13, v13, 23, v26
	v_or3_b32 v25, v10, v13, v25
.LBB601_589:
	s_or_b64 exec, exec, s[10:11]
.LBB601_590:
	s_or_b64 exec, exec, s[8:9]
.LBB601_591:
	s_or_b64 exec, exec, s[2:3]
	v_cvt_pkrtz_f16_f32 v10, v18, v20
	v_cvt_pkrtz_f16_f32 v11, v11, v23
	ds_read_b128 v[30:33], v22 offset:2064
	s_waitcnt vmcnt(1)
	v_cmp_ne_u16_sdwa s[8:9], v6, v19 src0_sel:BYTE_0 src1_sel:DWORD
	s_waitcnt lgkmcnt(0)
	v_mfma_f32_16x16x16f16 v[14:17], v[10:11], v[30:31], v[14:17]
	v_cvt_pkrtz_f16_f32 v10, v21, v24
	v_cvt_pkrtz_f16_f32 v11, v12, v25
	s_nop 1
	v_mfma_f32_16x16x16f16 v[10:13], v[10:11], v[32:33], v[14:17]
	s_and_saveexec_b64 s[2:3], s[8:9]
	s_cbranch_execz .LBB601_597
; %bb.592:
	s_movk_i32 s7, 0x80
	v_cmp_ne_u16_sdwa s[10:11], v6, s7 src0_sel:BYTE_0 src1_sel:DWORD
	v_bfrev_b32_e32 v19, 1
	s_and_saveexec_b64 s[8:9], s[10:11]
	s_cbranch_execz .LBB601_596
; %bb.593:
	s_movk_i32 s7, 0x7f
	v_and_b32_e32 v14, 0x7f, v6
	v_cmp_ne_u32_e32 vcc, s7, v14
	v_mov_b32_e32 v19, 0x7f800001
	s_and_saveexec_b64 s[10:11], vcc
	s_cbranch_execz .LBB601_595
; %bb.594:
	v_and_b32_e32 v15, 7, v6
	v_ffbh_u32_e32 v16, v15
	v_min_u32_e32 v19, 32, v16
	v_subrev_u32_e32 v16, 28, v19
	v_lshlrev_b64 v[16:17], v16, v[6:7]
	v_lshrrev_b32_e32 v18, 3, v14
	v_sub_u32_e32 v17, 29, v19
	v_and_b32_e32 v16, 7, v16
	v_cmp_gt_u32_e32 vcc, 8, v14
	v_cndmask_b32_e32 v14, v18, v17, vcc
	v_cndmask_b32_e32 v15, v15, v16, vcc
	v_lshlrev_b32_e32 v16, 24, v6
	v_bfrev_b32_e32 v17, 60
	v_lshlrev_b32_e32 v15, 20, v15
	v_and_b32_e32 v16, 0x80000000, v16
	v_lshl_add_u32 v14, v14, 23, v17
	v_or3_b32 v19, v16, v14, v15
.LBB601_595:
	s_or_b64 exec, exec, s[10:11]
.LBB601_596:
	s_or_b64 exec, exec, s[8:9]
.LBB601_597:
	s_or_b64 exec, exec, s[2:3]
	s_nop 3
	v_lshrrev_b16_e32 v14, 8, v6
	v_cmp_ne_u16_e32 vcc, 0, v14
	v_mov_b32_e32 v15, 0
	v_mov_b32_e32 v16, 0
	s_and_saveexec_b64 s[2:3], vcc
	s_cbranch_execz .LBB601_603
; %bb.598:
	s_movk_i32 s7, 0x80
	v_cmp_ne_u16_e32 vcc, s7, v14
	v_bfrev_b32_e32 v16, 1
	s_and_saveexec_b64 s[8:9], vcc
	s_cbranch_execz .LBB601_602
; %bb.599:
	s_movk_i32 s7, 0x7f
	v_and_b32_e32 v17, 0x7f, v14
	v_cmp_ne_u32_e32 vcc, s7, v17
	v_mov_b32_e32 v16, 0x7f800001
	s_and_saveexec_b64 s[10:11], vcc
	s_cbranch_execz .LBB601_601
; %bb.600:
	v_and_b32_e32 v16, 7, v14
	v_ffbh_u32_e32 v20, v16
	v_min_u32_e32 v23, 32, v20
	v_subrev_u32_e32 v20, 28, v23
	v_lshlrev_b64 v[20:21], v20, v[14:15]
	v_lshrrev_b32_e32 v18, 3, v17
	v_sub_u32_e32 v14, 29, v23
	v_and_b32_e32 v20, 7, v20
	v_cmp_gt_u32_e32 vcc, 8, v17
	v_cndmask_b32_e32 v14, v18, v14, vcc
	v_cndmask_b32_e32 v16, v16, v20, vcc
	v_lshlrev_b32_e32 v17, 16, v6
	v_bfrev_b32_e32 v18, 60
	v_lshlrev_b32_e32 v16, 20, v16
	v_and_b32_e32 v17, 0x80000000, v17
	v_lshl_add_u32 v14, v14, 23, v18
	v_or3_b32 v16, v17, v14, v16
.LBB601_601:
	s_or_b64 exec, exec, s[10:11]
.LBB601_602:
	s_or_b64 exec, exec, s[8:9]
.LBB601_603:
	s_or_b64 exec, exec, s[2:3]
	s_movk_i32 s2, 0xff
	v_and_b32_sdwa v17, v6, s2 dst_sel:DWORD dst_unused:UNUSED_PAD src0_sel:WORD_1 src1_sel:DWORD
	v_lshrrev_b32_e32 v14, 16, v6
	v_cmp_ne_u16_e32 vcc, 0, v17
	s_and_saveexec_b64 s[2:3], vcc
	s_cbranch_execz .LBB601_609
; %bb.604:
	s_movk_i32 s7, 0x80
	v_cmp_ne_u16_e32 vcc, s7, v17
	v_bfrev_b32_e32 v15, 1
	s_and_saveexec_b64 s[8:9], vcc
	s_cbranch_execz .LBB601_608
; %bb.605:
	v_bfe_u32 v17, v6, 16, 7
	s_movk_i32 s7, 0x7f
	v_cmp_ne_u32_e32 vcc, s7, v17
	v_mov_b32_e32 v15, 0x7f800001
	s_and_saveexec_b64 s[10:11], vcc
	s_cbranch_execz .LBB601_607
; %bb.606:
	v_and_b32_e32 v18, 7, v14
	v_ffbh_u32_e32 v15, v18
	v_min_u32_e32 v21, 32, v15
	v_subrev_u32_e32 v15, 28, v21
	v_lshlrev_b64 v[14:15], v15, v[14:15]
	v_lshrrev_b32_e32 v20, 3, v17
	v_sub_u32_e32 v15, 29, v21
	v_and_b32_e32 v14, 7, v14
	v_cmp_gt_u32_e32 vcc, 8, v17
	v_mov_b32_e32 v17, 24
	v_cndmask_b32_e32 v15, v20, v15, vcc
	v_cndmask_b32_e32 v14, v18, v14, vcc
	v_lshlrev_b32_sdwa v17, v17, v6 dst_sel:DWORD dst_unused:UNUSED_PAD src0_sel:DWORD src1_sel:WORD_1
	v_bfrev_b32_e32 v18, 60
	v_lshlrev_b32_e32 v14, 20, v14
	v_and_b32_e32 v17, 0x80000000, v17
	v_lshl_add_u32 v15, v15, 23, v18
	v_or3_b32 v15, v17, v15, v14
.LBB601_607:
	s_or_b64 exec, exec, s[10:11]
.LBB601_608:
	s_or_b64 exec, exec, s[8:9]
.LBB601_609:
	s_or_b64 exec, exec, s[2:3]
	s_mov_b32 s2, 0xffffff
	v_cmp_lt_u32_e32 vcc, s2, v6
	v_mov_b32_e32 v17, 0
	v_mov_b32_e32 v18, 0
	s_and_saveexec_b64 s[2:3], vcc
	s_cbranch_execz .LBB601_615
; %bb.610:
	v_lshrrev_b32_e32 v14, 24, v6
	s_movk_i32 s7, 0x80
	v_cmp_ne_u32_e32 vcc, s7, v14
	v_bfrev_b32_e32 v18, 1
	s_and_saveexec_b64 s[8:9], vcc
	s_cbranch_execz .LBB601_614
; %bb.611:
	v_bfe_u32 v6, v6, 24, 7
	s_movk_i32 s7, 0x7f
	v_cmp_ne_u32_e32 vcc, s7, v6
	v_mov_b32_e32 v18, 0x7f800001
	s_and_saveexec_b64 s[10:11], vcc
	s_cbranch_execz .LBB601_613
; %bb.612:
	v_and_b32_e32 v18, 7, v14
	v_ffbh_u32_e32 v20, v18
	v_min_u32_e32 v24, 32, v20
	v_subrev_u32_e32 v20, 28, v24
	v_lshlrev_b64 v[20:21], v20, v[14:15]
	v_lshrrev_b32_e32 v23, 3, v6
	v_sub_u32_e32 v21, 29, v24
	v_and_b32_e32 v20, 7, v20
	v_cmp_gt_u32_e32 vcc, 8, v6
	v_cndmask_b32_e32 v6, v23, v21, vcc
	v_cndmask_b32_e32 v18, v18, v20, vcc
	v_lshlrev_b32_e32 v14, 24, v14
	v_bfrev_b32_e32 v20, 60
	v_lshlrev_b32_e32 v18, 20, v18
	v_and_b32_e32 v14, 0x80000000, v14
	v_lshl_add_u32 v6, v6, 23, v20
	v_or3_b32 v18, v14, v6, v18
.LBB601_613:
	s_or_b64 exec, exec, s[10:11]
.LBB601_614:
	s_or_b64 exec, exec, s[8:9]
.LBB601_615:
	s_or_b64 exec, exec, s[2:3]
	v_cmp_ne_u16_sdwa s[8:9], v7, v17 src0_sel:BYTE_0 src1_sel:DWORD
	s_and_saveexec_b64 s[2:3], s[8:9]
	s_cbranch_execz .LBB601_621
; %bb.616:
	s_movk_i32 s7, 0x80
	v_cmp_ne_u16_sdwa s[10:11], v7, s7 src0_sel:BYTE_0 src1_sel:DWORD
	v_bfrev_b32_e32 v17, 1
	s_and_saveexec_b64 s[8:9], s[10:11]
	s_cbranch_execz .LBB601_620
; %bb.617:
	s_movk_i32 s7, 0x7f
	v_and_b32_e32 v6, 0x7f, v7
	v_cmp_ne_u32_e32 vcc, s7, v6
	v_mov_b32_e32 v17, 0x7f800001
	s_and_saveexec_b64 s[10:11], vcc
	s_cbranch_execz .LBB601_619
; %bb.618:
	v_and_b32_e32 v17, 7, v7
	v_ffbh_u32_e32 v20, v17
	v_min_u32_e32 v24, 32, v20
	v_mov_b32_e32 v14, v7
	v_subrev_u32_e32 v20, 28, v24
	v_lshlrev_b64 v[20:21], v20, v[14:15]
	v_lshrrev_b32_e32 v23, 3, v6
	v_sub_u32_e32 v14, 29, v24
	v_and_b32_e32 v20, 7, v20
	v_cmp_gt_u32_e32 vcc, 8, v6
	v_cndmask_b32_e32 v6, v23, v14, vcc
	v_cndmask_b32_e32 v14, v17, v20, vcc
	v_lshlrev_b32_e32 v17, 24, v7
	v_bfrev_b32_e32 v20, 60
	v_lshlrev_b32_e32 v14, 20, v14
	v_and_b32_e32 v17, 0x80000000, v17
	v_lshl_add_u32 v6, v6, 23, v20
	v_or3_b32 v17, v17, v6, v14
.LBB601_619:
	s_or_b64 exec, exec, s[10:11]
.LBB601_620:
	s_or_b64 exec, exec, s[8:9]
.LBB601_621:
	s_or_b64 exec, exec, s[2:3]
	v_lshrrev_b16_e32 v6, 8, v7
	v_cmp_ne_u16_e32 vcc, 0, v6
	v_mov_b32_e32 v20, 0
	v_mov_b32_e32 v21, 0
	s_and_saveexec_b64 s[2:3], vcc
	s_cbranch_execz .LBB601_627
; %bb.622:
	s_movk_i32 s7, 0x80
	v_cmp_ne_u16_e32 vcc, s7, v6
	v_bfrev_b32_e32 v21, 1
	s_and_saveexec_b64 s[8:9], vcc
	s_cbranch_execz .LBB601_626
; %bb.623:
	s_movk_i32 s7, 0x7f
	v_and_b32_e32 v14, 0x7f, v6
	v_cmp_ne_u32_e32 vcc, s7, v14
	v_mov_b32_e32 v21, 0x7f800001
	s_and_saveexec_b64 s[10:11], vcc
	s_cbranch_execz .LBB601_625
; %bb.624:
	v_and_b32_e32 v21, 7, v6
	v_ffbh_u32_e32 v24, v21
	v_min_u32_e32 v26, 32, v24
	v_subrev_u32_e32 v24, 28, v26
	v_lshlrev_b64 v[24:25], v24, v[6:7]
	v_lshrrev_b32_e32 v23, 3, v14
	v_sub_u32_e32 v6, 29, v26
	v_and_b32_e32 v24, 7, v24
	v_cmp_gt_u32_e32 vcc, 8, v14
	v_cndmask_b32_e32 v6, v23, v6, vcc
	v_cndmask_b32_e32 v14, v21, v24, vcc
	v_lshlrev_b32_e32 v21, 16, v7
	v_bfrev_b32_e32 v23, 60
	v_lshlrev_b32_e32 v14, 20, v14
	v_and_b32_e32 v21, 0x80000000, v21
	v_lshl_add_u32 v6, v6, 23, v23
	v_or3_b32 v21, v21, v6, v14
.LBB601_625:
	s_or_b64 exec, exec, s[10:11]
.LBB601_626:
	s_or_b64 exec, exec, s[8:9]
.LBB601_627:
	s_or_b64 exec, exec, s[2:3]
	s_movk_i32 s2, 0xff
	v_and_b32_sdwa v14, v7, s2 dst_sel:DWORD dst_unused:UNUSED_PAD src0_sel:WORD_1 src1_sel:DWORD
	v_lshrrev_b32_e32 v6, 16, v7
	v_cmp_ne_u16_e32 vcc, 0, v14
	s_and_saveexec_b64 s[2:3], vcc
	s_cbranch_execz .LBB601_633
; %bb.628:
	s_movk_i32 s7, 0x80
	v_cmp_ne_u16_e32 vcc, s7, v14
	v_bfrev_b32_e32 v20, 1
	s_and_saveexec_b64 s[8:9], vcc
	s_cbranch_execz .LBB601_632
; %bb.629:
	v_bfe_u32 v14, v7, 16, 7
	s_movk_i32 s7, 0x7f
	v_cmp_ne_u32_e32 vcc, s7, v14
	v_mov_b32_e32 v20, 0x7f800001
	s_and_saveexec_b64 s[10:11], vcc
	s_cbranch_execz .LBB601_631
; %bb.630:
	v_and_b32_e32 v20, 7, v6
	v_ffbh_u32_e32 v24, v20
	v_min_u32_e32 v26, 32, v24
	v_subrev_u32_e32 v24, 28, v26
	v_lshlrev_b64 v[24:25], v24, v[6:7]
	v_and_b32_e32 v24, 7, v24
	v_cmp_gt_u32_e32 vcc, 8, v14
	v_lshrrev_b32_e32 v23, 3, v14
	v_sub_u32_e32 v6, 29, v26
	v_cndmask_b32_e32 v14, v20, v24, vcc
	v_mov_b32_e32 v20, 24
	v_cndmask_b32_e32 v6, v23, v6, vcc
	v_lshlrev_b32_sdwa v20, v20, v7 dst_sel:DWORD dst_unused:UNUSED_PAD src0_sel:DWORD src1_sel:WORD_1
	v_bfrev_b32_e32 v23, 60
	v_lshlrev_b32_e32 v14, 20, v14
	v_and_b32_e32 v20, 0x80000000, v20
	v_lshl_add_u32 v6, v6, 23, v23
	v_or3_b32 v20, v20, v6, v14
.LBB601_631:
	s_or_b64 exec, exec, s[10:11]
.LBB601_632:
	s_or_b64 exec, exec, s[8:9]
.LBB601_633:
	s_or_b64 exec, exec, s[2:3]
	s_mov_b32 s2, 0xffffff
	v_cmp_lt_u32_e32 vcc, s2, v7
	v_mov_b32_e32 v14, 0
	v_mov_b32_e32 v23, 0
	s_and_saveexec_b64 s[2:3], vcc
	s_cbranch_execz .LBB601_639
; %bb.634:
	v_lshrrev_b32_e32 v6, 24, v7
	s_movk_i32 s7, 0x80
	v_cmp_ne_u32_e32 vcc, s7, v6
	v_bfrev_b32_e32 v23, 1
	s_and_saveexec_b64 s[8:9], vcc
	s_cbranch_execz .LBB601_638
; %bb.635:
	v_bfe_u32 v7, v7, 24, 7
	s_movk_i32 s7, 0x7f
	v_cmp_ne_u32_e32 vcc, s7, v7
	v_mov_b32_e32 v23, 0x7f800001
	s_and_saveexec_b64 s[10:11], vcc
	s_cbranch_execz .LBB601_637
; %bb.636:
	v_and_b32_e32 v23, 7, v6
	v_ffbh_u32_e32 v24, v23
	v_min_u32_e32 v27, 32, v24
	v_subrev_u32_e32 v24, 28, v27
	v_lshlrev_b64 v[24:25], v24, v[6:7]
	v_lshrrev_b32_e32 v26, 3, v7
	v_sub_u32_e32 v25, 29, v27
	v_and_b32_e32 v24, 7, v24
	v_cmp_gt_u32_e32 vcc, 8, v7
	v_cndmask_b32_e32 v7, v26, v25, vcc
	v_cndmask_b32_e32 v23, v23, v24, vcc
	v_lshlrev_b32_e32 v6, 24, v6
	v_bfrev_b32_e32 v24, 60
	v_lshlrev_b32_e32 v23, 20, v23
	v_and_b32_e32 v6, 0x80000000, v6
	v_lshl_add_u32 v7, v7, 23, v24
	v_or3_b32 v23, v6, v7, v23
.LBB601_637:
	s_or_b64 exec, exec, s[10:11]
.LBB601_638:
	s_or_b64 exec, exec, s[8:9]
.LBB601_639:
	s_or_b64 exec, exec, s[2:3]
	v_cvt_pkrtz_f16_f32 v6, v19, v16
	v_cvt_pkrtz_f16_f32 v7, v15, v18
	ds_read_b128 v[24:27], v22 offset:4096
	v_cmp_ne_u16_sdwa s[8:9], v8, v14 src0_sel:BYTE_0 src1_sel:DWORD
	s_waitcnt lgkmcnt(0)
	v_mfma_f32_16x16x16f16 v[10:13], v[6:7], v[24:25], v[10:13]
	v_cvt_pkrtz_f16_f32 v6, v17, v21
	v_cvt_pkrtz_f16_f32 v7, v20, v23
	s_nop 1
	v_mfma_f32_16x16x16f16 v[10:13], v[6:7], v[26:27], v[10:13]
	s_and_saveexec_b64 s[2:3], s[8:9]
	s_cbranch_execz .LBB601_645
; %bb.640:
	s_movk_i32 s7, 0x80
	v_cmp_ne_u16_sdwa s[10:11], v8, s7 src0_sel:BYTE_0 src1_sel:DWORD
	v_bfrev_b32_e32 v14, 1
	s_and_saveexec_b64 s[8:9], s[10:11]
	s_cbranch_execz .LBB601_644
; %bb.641:
	s_movk_i32 s7, 0x7f
	v_and_b32_e32 v6, 0x7f, v8
	v_cmp_ne_u32_e32 vcc, s7, v6
	v_mov_b32_e32 v14, 0x7f800001
	s_and_saveexec_b64 s[10:11], vcc
	s_cbranch_execz .LBB601_643
; %bb.642:
	v_and_b32_e32 v7, 7, v8
	v_ffbh_u32_e32 v14, v7
	v_min_u32_e32 v17, 32, v14
	v_subrev_u32_e32 v14, 28, v17
	v_lshlrev_b64 v[14:15], v14, v[8:9]
	v_lshrrev_b32_e32 v16, 3, v6
	v_sub_u32_e32 v15, 29, v17
	v_and_b32_e32 v14, 7, v14
	v_cmp_gt_u32_e32 vcc, 8, v6
	v_cndmask_b32_e32 v6, v16, v15, vcc
	v_cndmask_b32_e32 v7, v7, v14, vcc
	v_lshlrev_b32_e32 v14, 24, v8
	v_bfrev_b32_e32 v15, 60
	v_lshlrev_b32_e32 v7, 20, v7
	v_and_b32_e32 v14, 0x80000000, v14
	v_lshl_add_u32 v6, v6, 23, v15
	v_or3_b32 v14, v14, v6, v7
.LBB601_643:
	s_or_b64 exec, exec, s[10:11]
.LBB601_644:
	s_or_b64 exec, exec, s[8:9]
.LBB601_645:
	s_or_b64 exec, exec, s[2:3]
	v_lshrrev_b16_e32 v6, 8, v8
	v_cmp_ne_u16_e32 vcc, 0, v6
	v_mov_b32_e32 v7, 0
	v_mov_b32_e32 v16, 0
	s_and_saveexec_b64 s[2:3], vcc
	s_cbranch_execz .LBB601_651
; %bb.646:
	s_movk_i32 s7, 0x80
	v_cmp_ne_u16_e32 vcc, s7, v6
	v_bfrev_b32_e32 v16, 1
	s_and_saveexec_b64 s[8:9], vcc
	s_cbranch_execz .LBB601_650
; %bb.647:
	s_movk_i32 s7, 0x7f
	v_and_b32_e32 v15, 0x7f, v6
	v_cmp_ne_u32_e32 vcc, s7, v15
	v_mov_b32_e32 v16, 0x7f800001
	s_and_saveexec_b64 s[10:11], vcc
	s_cbranch_execz .LBB601_649
; %bb.648:
	v_and_b32_e32 v18, 7, v6
	v_ffbh_u32_e32 v16, v18
	v_min_u32_e32 v20, 32, v16
	v_subrev_u32_e32 v16, 28, v20
	v_lshlrev_b64 v[16:17], v16, v[6:7]
	v_lshrrev_b32_e32 v19, 3, v15
	v_sub_u32_e32 v6, 29, v20
	v_and_b32_e32 v16, 7, v16
	v_cmp_gt_u32_e32 vcc, 8, v15
	v_cndmask_b32_e32 v6, v19, v6, vcc
	v_cndmask_b32_e32 v15, v18, v16, vcc
	v_lshlrev_b32_e32 v16, 16, v8
	v_bfrev_b32_e32 v17, 60
	v_lshlrev_b32_e32 v15, 20, v15
	v_and_b32_e32 v16, 0x80000000, v16
	v_lshl_add_u32 v6, v6, 23, v17
	v_or3_b32 v16, v16, v6, v15
.LBB601_649:
	s_or_b64 exec, exec, s[10:11]
.LBB601_650:
	s_or_b64 exec, exec, s[8:9]
.LBB601_651:
	s_or_b64 exec, exec, s[2:3]
	s_movk_i32 s2, 0xff
	v_and_b32_sdwa v15, v8, s2 dst_sel:DWORD dst_unused:UNUSED_PAD src0_sel:WORD_1 src1_sel:DWORD
	v_lshrrev_b32_e32 v6, 16, v8
	v_cmp_ne_u16_e32 vcc, 0, v15
	s_and_saveexec_b64 s[2:3], vcc
	s_cbranch_execz .LBB601_657
; %bb.652:
	s_movk_i32 s7, 0x80
	v_cmp_ne_u16_e32 vcc, s7, v15
	v_bfrev_b32_e32 v7, 1
	s_and_saveexec_b64 s[8:9], vcc
	s_cbranch_execz .LBB601_656
; %bb.653:
	v_bfe_u32 v15, v8, 16, 7
	s_movk_i32 s7, 0x7f
	v_cmp_ne_u32_e32 vcc, s7, v15
	v_mov_b32_e32 v7, 0x7f800001
	s_and_saveexec_b64 s[10:11], vcc
	s_cbranch_execz .LBB601_655
; %bb.654:
	v_and_b32_e32 v17, 7, v6
	v_ffbh_u32_e32 v7, v17
	v_min_u32_e32 v19, 32, v7
	v_subrev_u32_e32 v7, 28, v19
	v_lshlrev_b64 v[6:7], v7, v[6:7]
	v_lshrrev_b32_e32 v18, 3, v15
	v_sub_u32_e32 v7, 29, v19
	v_and_b32_e32 v6, 7, v6
	v_cmp_gt_u32_e32 vcc, 8, v15
	v_mov_b32_e32 v15, 24
	v_cndmask_b32_e32 v7, v18, v7, vcc
	v_cndmask_b32_e32 v6, v17, v6, vcc
	v_lshlrev_b32_sdwa v15, v15, v8 dst_sel:DWORD dst_unused:UNUSED_PAD src0_sel:DWORD src1_sel:WORD_1
	v_bfrev_b32_e32 v17, 60
	v_lshlrev_b32_e32 v6, 20, v6
	v_and_b32_e32 v15, 0x80000000, v15
	v_lshl_add_u32 v7, v7, 23, v17
	v_or3_b32 v7, v15, v7, v6
.LBB601_655:
	s_or_b64 exec, exec, s[10:11]
.LBB601_656:
	s_or_b64 exec, exec, s[8:9]
.LBB601_657:
	s_or_b64 exec, exec, s[2:3]
	s_mov_b32 s2, 0xffffff
	v_cmp_lt_u32_e32 vcc, s2, v8
	v_mov_b32_e32 v17, 0
	v_mov_b32_e32 v18, 0
	s_and_saveexec_b64 s[2:3], vcc
	s_cbranch_execz .LBB601_663
; %bb.658:
	v_lshrrev_b32_e32 v6, 24, v8
	s_movk_i32 s7, 0x80
	v_cmp_ne_u32_e32 vcc, s7, v6
	v_bfrev_b32_e32 v18, 1
	s_and_saveexec_b64 s[8:9], vcc
	s_cbranch_execz .LBB601_662
; %bb.659:
	v_bfe_u32 v8, v8, 24, 7
	s_movk_i32 s7, 0x7f
	v_cmp_ne_u32_e32 vcc, s7, v8
	v_mov_b32_e32 v18, 0x7f800001
	s_and_saveexec_b64 s[10:11], vcc
	s_cbranch_execz .LBB601_661
; %bb.660:
	v_and_b32_e32 v15, 7, v6
	v_ffbh_u32_e32 v18, v15
	v_min_u32_e32 v21, 32, v18
	v_subrev_u32_e32 v18, 28, v21
	v_lshlrev_b64 v[18:19], v18, v[6:7]
	v_lshrrev_b32_e32 v20, 3, v8
	v_sub_u32_e32 v19, 29, v21
	v_and_b32_e32 v18, 7, v18
	v_cmp_gt_u32_e32 vcc, 8, v8
	v_cndmask_b32_e32 v8, v20, v19, vcc
	v_cndmask_b32_e32 v15, v15, v18, vcc
	v_lshlrev_b32_e32 v6, 24, v6
	v_bfrev_b32_e32 v18, 60
	v_lshlrev_b32_e32 v15, 20, v15
	v_and_b32_e32 v6, 0x80000000, v6
	v_lshl_add_u32 v8, v8, 23, v18
	v_or3_b32 v18, v6, v8, v15
.LBB601_661:
	s_or_b64 exec, exec, s[10:11]
.LBB601_662:
	s_or_b64 exec, exec, s[8:9]
.LBB601_663:
	s_or_b64 exec, exec, s[2:3]
	v_cmp_ne_u16_sdwa s[8:9], v9, v17 src0_sel:BYTE_0 src1_sel:DWORD
	s_and_saveexec_b64 s[2:3], s[8:9]
	s_cbranch_execz .LBB601_669
; %bb.664:
	s_movk_i32 s7, 0x80
	v_cmp_ne_u16_sdwa s[10:11], v9, s7 src0_sel:BYTE_0 src1_sel:DWORD
	v_bfrev_b32_e32 v17, 1
	s_and_saveexec_b64 s[8:9], s[10:11]
	s_cbranch_execz .LBB601_668
; %bb.665:
	s_movk_i32 s7, 0x7f
	v_and_b32_e32 v6, 0x7f, v9
	v_cmp_ne_u32_e32 vcc, s7, v6
	v_mov_b32_e32 v17, 0x7f800001
	s_and_saveexec_b64 s[10:11], vcc
	s_cbranch_execz .LBB601_667
; %bb.666:
	v_and_b32_e32 v15, 7, v9
	v_ffbh_u32_e32 v19, v15
	v_min_u32_e32 v19, 32, v19
	v_mov_b32_e32 v8, v9
	v_subrev_u32_e32 v20, 28, v19
	v_lshlrev_b64 v[20:21], v20, v[8:9]
	v_lshrrev_b32_e32 v17, 3, v6
	v_sub_u32_e32 v8, 29, v19
	v_and_b32_e32 v19, 7, v20
	v_cmp_gt_u32_e32 vcc, 8, v6
	v_cndmask_b32_e32 v6, v17, v8, vcc
	v_cndmask_b32_e32 v8, v15, v19, vcc
	v_lshlrev_b32_e32 v15, 24, v9
	v_bfrev_b32_e32 v17, 60
	v_lshlrev_b32_e32 v8, 20, v8
	v_and_b32_e32 v15, 0x80000000, v15
	v_lshl_add_u32 v6, v6, 23, v17
	v_or3_b32 v17, v15, v6, v8
.LBB601_667:
	s_or_b64 exec, exec, s[10:11]
.LBB601_668:
	s_or_b64 exec, exec, s[8:9]
.LBB601_669:
	s_or_b64 exec, exec, s[2:3]
	v_lshrrev_b16_e32 v6, 8, v9
	v_cmp_ne_u16_e32 vcc, 0, v6
	v_mov_b32_e32 v8, 0
	v_mov_b32_e32 v19, 0
	s_and_saveexec_b64 s[2:3], vcc
	s_cbranch_execz .LBB601_675
; %bb.670:
	s_movk_i32 s7, 0x80
	v_cmp_ne_u16_e32 vcc, s7, v6
	v_bfrev_b32_e32 v19, 1
	s_and_saveexec_b64 s[8:9], vcc
	s_cbranch_execz .LBB601_674
; %bb.671:
	s_movk_i32 s7, 0x7f
	v_and_b32_e32 v15, 0x7f, v6
	v_cmp_ne_u32_e32 vcc, s7, v15
	v_mov_b32_e32 v19, 0x7f800001
	s_and_saveexec_b64 s[10:11], vcc
	s_cbranch_execz .LBB601_673
; %bb.672:
	v_and_b32_e32 v19, 7, v6
	v_ffbh_u32_e32 v20, v19
	v_min_u32_e32 v24, 32, v20
	v_subrev_u32_e32 v20, 28, v24
	v_lshlrev_b64 v[20:21], v20, v[6:7]
	v_lshrrev_b32_e32 v23, 3, v15
	v_sub_u32_e32 v6, 29, v24
	v_and_b32_e32 v20, 7, v20
	v_cmp_gt_u32_e32 vcc, 8, v15
	v_cndmask_b32_e32 v6, v23, v6, vcc
	v_cndmask_b32_e32 v15, v19, v20, vcc
	v_lshlrev_b32_e32 v19, 16, v9
	v_bfrev_b32_e32 v20, 60
	v_lshlrev_b32_e32 v15, 20, v15
	v_and_b32_e32 v19, 0x80000000, v19
	v_lshl_add_u32 v6, v6, 23, v20
	v_or3_b32 v19, v19, v6, v15
.LBB601_673:
	s_or_b64 exec, exec, s[10:11]
.LBB601_674:
	s_or_b64 exec, exec, s[8:9]
.LBB601_675:
	s_or_b64 exec, exec, s[2:3]
	s_movk_i32 s2, 0xff
	v_and_b32_sdwa v15, v9, s2 dst_sel:DWORD dst_unused:UNUSED_PAD src0_sel:WORD_1 src1_sel:DWORD
	v_lshrrev_b32_e32 v6, 16, v9
	v_cmp_ne_u16_e32 vcc, 0, v15
	s_and_saveexec_b64 s[2:3], vcc
	s_cbranch_execz .LBB601_681
; %bb.676:
	s_movk_i32 s7, 0x80
	v_cmp_ne_u16_e32 vcc, s7, v15
	v_bfrev_b32_e32 v8, 1
	s_and_saveexec_b64 s[8:9], vcc
	s_cbranch_execz .LBB601_680
; %bb.677:
	v_bfe_u32 v15, v9, 16, 7
	s_movk_i32 s7, 0x7f
	v_cmp_ne_u32_e32 vcc, s7, v15
	v_mov_b32_e32 v8, 0x7f800001
	s_and_saveexec_b64 s[10:11], vcc
	s_cbranch_execz .LBB601_679
; %bb.678:
	v_and_b32_e32 v8, 7, v6
	v_ffbh_u32_e32 v20, v8
	v_min_u32_e32 v24, 32, v20
	v_subrev_u32_e32 v20, 28, v24
	v_lshlrev_b64 v[20:21], v20, v[6:7]
	v_lshrrev_b32_e32 v23, 3, v15
	v_sub_u32_e32 v6, 29, v24
	v_and_b32_e32 v20, 7, v20
	v_cmp_gt_u32_e32 vcc, 8, v15
	v_mov_b32_e32 v15, 24
	v_cndmask_b32_e32 v6, v23, v6, vcc
	v_cndmask_b32_e32 v8, v8, v20, vcc
	v_lshlrev_b32_sdwa v15, v15, v9 dst_sel:DWORD dst_unused:UNUSED_PAD src0_sel:DWORD src1_sel:WORD_1
	v_bfrev_b32_e32 v20, 60
	v_lshlrev_b32_e32 v8, 20, v8
	v_and_b32_e32 v15, 0x80000000, v15
	v_lshl_add_u32 v6, v6, 23, v20
	v_or3_b32 v8, v15, v6, v8
.LBB601_679:
	s_or_b64 exec, exec, s[10:11]
.LBB601_680:
	s_or_b64 exec, exec, s[8:9]
.LBB601_681:
	s_or_b64 exec, exec, s[2:3]
	s_mov_b32 s2, 0xffffff
	v_cmp_lt_u32_e32 vcc, s2, v9
	v_mov_b32_e32 v15, 0
	v_mov_b32_e32 v20, 0
	s_and_saveexec_b64 s[2:3], vcc
	s_cbranch_execz .LBB601_687
; %bb.682:
	v_lshrrev_b32_e32 v6, 24, v9
	s_movk_i32 s7, 0x80
	v_cmp_ne_u32_e32 vcc, s7, v6
	v_bfrev_b32_e32 v20, 1
	s_and_saveexec_b64 s[8:9], vcc
	s_cbranch_execz .LBB601_686
; %bb.683:
	v_bfe_u32 v9, v9, 24, 7
	s_movk_i32 s7, 0x7f
	v_cmp_ne_u32_e32 vcc, s7, v9
	v_mov_b32_e32 v20, 0x7f800001
	s_and_saveexec_b64 s[10:11], vcc
	s_cbranch_execz .LBB601_685
; %bb.684:
	v_and_b32_e32 v23, 7, v6
	v_ffbh_u32_e32 v20, v23
	v_min_u32_e32 v25, 32, v20
	v_subrev_u32_e32 v20, 28, v25
	v_lshlrev_b64 v[20:21], v20, v[6:7]
	v_lshrrev_b32_e32 v24, 3, v9
	v_sub_u32_e32 v21, 29, v25
	v_and_b32_e32 v20, 7, v20
	v_cmp_gt_u32_e32 vcc, 8, v9
	v_cndmask_b32_e32 v9, v24, v21, vcc
	v_cndmask_b32_e32 v20, v23, v20, vcc
	v_lshlrev_b32_e32 v6, 24, v6
	v_bfrev_b32_e32 v21, 60
	v_lshlrev_b32_e32 v20, 20, v20
	v_and_b32_e32 v6, 0x80000000, v6
	v_lshl_add_u32 v9, v9, 23, v21
	v_or3_b32 v20, v6, v9, v20
.LBB601_685:
	s_or_b64 exec, exec, s[10:11]
.LBB601_686:
	s_or_b64 exec, exec, s[8:9]
.LBB601_687:
	s_or_b64 exec, exec, s[2:3]
	v_cvt_pkrtz_f16_f32 v6, v14, v16
	v_cvt_pkrtz_f16_f32 v7, v7, v18
	ds_read_b128 v[24:27], v22 offset:4112
	s_waitcnt vmcnt(0)
	v_cmp_ne_u16_sdwa s[8:9], v2, v15 src0_sel:BYTE_0 src1_sel:DWORD
	s_waitcnt lgkmcnt(0)
	v_mfma_f32_16x16x16f16 v[10:13], v[6:7], v[24:25], v[10:13]
	v_cvt_pkrtz_f16_f32 v6, v17, v19
	v_cvt_pkrtz_f16_f32 v7, v8, v20
	s_nop 1
	v_mfma_f32_16x16x16f16 v[6:9], v[6:7], v[26:27], v[10:13]
	s_and_saveexec_b64 s[2:3], s[8:9]
	s_cbranch_execz .LBB601_693
; %bb.688:
	s_movk_i32 s7, 0x80
	v_cmp_ne_u16_sdwa s[10:11], v2, s7 src0_sel:BYTE_0 src1_sel:DWORD
	v_bfrev_b32_e32 v15, 1
	s_and_saveexec_b64 s[8:9], s[10:11]
	s_cbranch_execz .LBB601_692
; %bb.689:
	s_movk_i32 s7, 0x7f
	v_and_b32_e32 v10, 0x7f, v2
	v_cmp_ne_u32_e32 vcc, s7, v10
	v_mov_b32_e32 v15, 0x7f800001
	s_and_saveexec_b64 s[10:11], vcc
	s_cbranch_execz .LBB601_691
; %bb.690:
	v_and_b32_e32 v11, 7, v2
	v_ffbh_u32_e32 v12, v11
	v_min_u32_e32 v15, 32, v12
	v_subrev_u32_e32 v12, 28, v15
	v_lshlrev_b64 v[12:13], v12, v[2:3]
	v_lshrrev_b32_e32 v14, 3, v10
	v_sub_u32_e32 v13, 29, v15
	v_and_b32_e32 v12, 7, v12
	v_cmp_gt_u32_e32 vcc, 8, v10
	v_cndmask_b32_e32 v10, v14, v13, vcc
	v_cndmask_b32_e32 v11, v11, v12, vcc
	v_lshlrev_b32_e32 v12, 24, v2
	v_bfrev_b32_e32 v13, 60
	v_lshlrev_b32_e32 v11, 20, v11
	v_and_b32_e32 v12, 0x80000000, v12
	v_lshl_add_u32 v10, v10, 23, v13
	v_or3_b32 v15, v12, v10, v11
.LBB601_691:
	s_or_b64 exec, exec, s[10:11]
.LBB601_692:
	s_or_b64 exec, exec, s[8:9]
.LBB601_693:
	s_or_b64 exec, exec, s[2:3]
	s_nop 3
	v_lshrrev_b16_e32 v10, 8, v2
	v_cmp_ne_u16_e32 vcc, 0, v10
	v_mov_b32_e32 v11, 0
	v_mov_b32_e32 v12, 0
	s_and_saveexec_b64 s[2:3], vcc
	s_cbranch_execz .LBB601_699
; %bb.694:
	s_movk_i32 s7, 0x80
	v_cmp_ne_u16_e32 vcc, s7, v10
	v_bfrev_b32_e32 v12, 1
	s_and_saveexec_b64 s[8:9], vcc
	s_cbranch_execz .LBB601_698
; %bb.695:
	s_movk_i32 s7, 0x7f
	v_and_b32_e32 v13, 0x7f, v10
	v_cmp_ne_u32_e32 vcc, s7, v13
	v_mov_b32_e32 v12, 0x7f800001
	s_and_saveexec_b64 s[10:11], vcc
	s_cbranch_execz .LBB601_697
; %bb.696:
	v_and_b32_e32 v12, 7, v10
	v_ffbh_u32_e32 v16, v12
	v_min_u32_e32 v18, 32, v16
	v_subrev_u32_e32 v16, 28, v18
	v_lshlrev_b64 v[16:17], v16, v[10:11]
	v_lshrrev_b32_e32 v14, 3, v13
	v_sub_u32_e32 v10, 29, v18
	v_and_b32_e32 v16, 7, v16
	v_cmp_gt_u32_e32 vcc, 8, v13
	v_cndmask_b32_e32 v10, v14, v10, vcc
	v_cndmask_b32_e32 v12, v12, v16, vcc
	v_lshlrev_b32_e32 v13, 16, v2
	v_bfrev_b32_e32 v14, 60
	v_lshlrev_b32_e32 v12, 20, v12
	v_and_b32_e32 v13, 0x80000000, v13
	v_lshl_add_u32 v10, v10, 23, v14
	v_or3_b32 v12, v13, v10, v12
.LBB601_697:
	s_or_b64 exec, exec, s[10:11]
.LBB601_698:
	s_or_b64 exec, exec, s[8:9]
.LBB601_699:
	s_or_b64 exec, exec, s[2:3]
	s_movk_i32 s2, 0xff
	v_and_b32_sdwa v13, v2, s2 dst_sel:DWORD dst_unused:UNUSED_PAD src0_sel:WORD_1 src1_sel:DWORD
	v_lshrrev_b32_e32 v10, 16, v2
	v_cmp_ne_u16_e32 vcc, 0, v13
	s_and_saveexec_b64 s[2:3], vcc
	s_cbranch_execz .LBB601_705
; %bb.700:
	s_movk_i32 s7, 0x80
	v_cmp_ne_u16_e32 vcc, s7, v13
	v_bfrev_b32_e32 v11, 1
	s_and_saveexec_b64 s[8:9], vcc
	s_cbranch_execz .LBB601_704
; %bb.701:
	v_bfe_u32 v13, v2, 16, 7
	s_movk_i32 s7, 0x7f
	v_cmp_ne_u32_e32 vcc, s7, v13
	v_mov_b32_e32 v11, 0x7f800001
	s_and_saveexec_b64 s[10:11], vcc
	s_cbranch_execz .LBB601_703
; %bb.702:
	v_and_b32_e32 v14, 7, v10
	v_ffbh_u32_e32 v11, v14
	v_min_u32_e32 v17, 32, v11
	v_subrev_u32_e32 v11, 28, v17
	v_lshlrev_b64 v[10:11], v11, v[10:11]
	v_lshrrev_b32_e32 v16, 3, v13
	v_sub_u32_e32 v11, 29, v17
	v_and_b32_e32 v10, 7, v10
	v_cmp_gt_u32_e32 vcc, 8, v13
	v_mov_b32_e32 v13, 24
	v_cndmask_b32_e32 v11, v16, v11, vcc
	v_cndmask_b32_e32 v10, v14, v10, vcc
	v_lshlrev_b32_sdwa v13, v13, v2 dst_sel:DWORD dst_unused:UNUSED_PAD src0_sel:DWORD src1_sel:WORD_1
	v_bfrev_b32_e32 v14, 60
	v_lshlrev_b32_e32 v10, 20, v10
	v_and_b32_e32 v13, 0x80000000, v13
	v_lshl_add_u32 v11, v11, 23, v14
	v_or3_b32 v11, v13, v11, v10
.LBB601_703:
	s_or_b64 exec, exec, s[10:11]
.LBB601_704:
	s_or_b64 exec, exec, s[8:9]
.LBB601_705:
	s_or_b64 exec, exec, s[2:3]
	s_mov_b32 s2, 0xffffff
	v_cmp_lt_u32_e32 vcc, s2, v2
	v_mov_b32_e32 v13, 0
	v_mov_b32_e32 v14, 0
	s_and_saveexec_b64 s[2:3], vcc
	s_cbranch_execz .LBB601_711
; %bb.706:
	v_lshrrev_b32_e32 v10, 24, v2
	s_movk_i32 s7, 0x80
	v_cmp_ne_u32_e32 vcc, s7, v10
	v_bfrev_b32_e32 v14, 1
	s_and_saveexec_b64 s[8:9], vcc
	s_cbranch_execz .LBB601_710
; %bb.707:
	v_bfe_u32 v2, v2, 24, 7
	s_movk_i32 s7, 0x7f
	v_cmp_ne_u32_e32 vcc, s7, v2
	v_mov_b32_e32 v14, 0x7f800001
	s_and_saveexec_b64 s[10:11], vcc
	s_cbranch_execz .LBB601_709
; %bb.708:
	v_and_b32_e32 v14, 7, v10
	v_ffbh_u32_e32 v16, v14
	v_min_u32_e32 v19, 32, v16
	v_subrev_u32_e32 v16, 28, v19
	v_lshlrev_b64 v[16:17], v16, v[10:11]
	v_lshrrev_b32_e32 v18, 3, v2
	v_sub_u32_e32 v17, 29, v19
	v_and_b32_e32 v16, 7, v16
	v_cmp_gt_u32_e32 vcc, 8, v2
	v_cndmask_b32_e32 v2, v18, v17, vcc
	v_cndmask_b32_e32 v14, v14, v16, vcc
	v_lshlrev_b32_e32 v10, 24, v10
	v_bfrev_b32_e32 v16, 60
	v_lshlrev_b32_e32 v14, 20, v14
	v_and_b32_e32 v10, 0x80000000, v10
	v_lshl_add_u32 v2, v2, 23, v16
	v_or3_b32 v14, v10, v2, v14
.LBB601_709:
	s_or_b64 exec, exec, s[10:11]
.LBB601_710:
	s_or_b64 exec, exec, s[8:9]
.LBB601_711:
	s_or_b64 exec, exec, s[2:3]
	v_cmp_ne_u16_sdwa s[8:9], v3, v13 src0_sel:BYTE_0 src1_sel:DWORD
	s_and_saveexec_b64 s[2:3], s[8:9]
	s_cbranch_execz .LBB601_717
; %bb.712:
	s_movk_i32 s7, 0x80
	v_cmp_ne_u16_sdwa s[10:11], v3, s7 src0_sel:BYTE_0 src1_sel:DWORD
	v_bfrev_b32_e32 v13, 1
	s_and_saveexec_b64 s[8:9], s[10:11]
	s_cbranch_execz .LBB601_716
; %bb.713:
	s_movk_i32 s7, 0x7f
	v_and_b32_e32 v2, 0x7f, v3
	v_cmp_ne_u32_e32 vcc, s7, v2
	v_mov_b32_e32 v13, 0x7f800001
	s_and_saveexec_b64 s[10:11], vcc
	s_cbranch_execz .LBB601_715
; %bb.714:
	v_and_b32_e32 v13, 7, v3
	v_ffbh_u32_e32 v16, v13
	v_min_u32_e32 v19, 32, v16
	v_mov_b32_e32 v10, v3
	v_subrev_u32_e32 v16, 28, v19
	v_lshlrev_b64 v[16:17], v16, v[10:11]
	v_lshrrev_b32_e32 v18, 3, v2
	v_sub_u32_e32 v10, 29, v19
	v_and_b32_e32 v16, 7, v16
	v_cmp_gt_u32_e32 vcc, 8, v2
	v_cndmask_b32_e32 v2, v18, v10, vcc
	v_cndmask_b32_e32 v10, v13, v16, vcc
	v_lshlrev_b32_e32 v13, 24, v3
	v_bfrev_b32_e32 v16, 60
	v_lshlrev_b32_e32 v10, 20, v10
	v_and_b32_e32 v13, 0x80000000, v13
	v_lshl_add_u32 v2, v2, 23, v16
	v_or3_b32 v13, v13, v2, v10
.LBB601_715:
	s_or_b64 exec, exec, s[10:11]
.LBB601_716:
	s_or_b64 exec, exec, s[8:9]
.LBB601_717:
	s_or_b64 exec, exec, s[2:3]
	v_lshrrev_b16_e32 v2, 8, v3
	v_cmp_ne_u16_e32 vcc, 0, v2
	v_mov_b32_e32 v16, 0
	v_mov_b32_e32 v17, 0
	s_and_saveexec_b64 s[2:3], vcc
	s_cbranch_execz .LBB601_723
; %bb.718:
	s_movk_i32 s7, 0x80
	v_cmp_ne_u16_e32 vcc, s7, v2
	v_bfrev_b32_e32 v17, 1
	s_and_saveexec_b64 s[8:9], vcc
	s_cbranch_execz .LBB601_722
; %bb.719:
	s_movk_i32 s7, 0x7f
	v_and_b32_e32 v10, 0x7f, v2
	v_cmp_ne_u32_e32 vcc, s7, v10
	v_mov_b32_e32 v17, 0x7f800001
	s_and_saveexec_b64 s[10:11], vcc
	s_cbranch_execz .LBB601_721
; %bb.720:
	v_and_b32_e32 v17, 7, v2
	v_ffbh_u32_e32 v18, v17
	v_min_u32_e32 v21, 32, v18
	v_subrev_u32_e32 v18, 28, v21
	v_lshlrev_b64 v[18:19], v18, v[2:3]
	v_lshrrev_b32_e32 v20, 3, v10
	v_sub_u32_e32 v2, 29, v21
	v_and_b32_e32 v18, 7, v18
	v_cmp_gt_u32_e32 vcc, 8, v10
	v_cndmask_b32_e32 v2, v20, v2, vcc
	v_cndmask_b32_e32 v10, v17, v18, vcc
	v_lshlrev_b32_e32 v17, 16, v3
	v_bfrev_b32_e32 v18, 60
	v_lshlrev_b32_e32 v10, 20, v10
	v_and_b32_e32 v17, 0x80000000, v17
	v_lshl_add_u32 v2, v2, 23, v18
	v_or3_b32 v17, v17, v2, v10
.LBB601_721:
	s_or_b64 exec, exec, s[10:11]
.LBB601_722:
	s_or_b64 exec, exec, s[8:9]
.LBB601_723:
	s_or_b64 exec, exec, s[2:3]
	s_movk_i32 s2, 0xff
	v_and_b32_sdwa v10, v3, s2 dst_sel:DWORD dst_unused:UNUSED_PAD src0_sel:WORD_1 src1_sel:DWORD
	v_lshrrev_b32_e32 v2, 16, v3
	v_cmp_ne_u16_e32 vcc, 0, v10
	s_and_saveexec_b64 s[2:3], vcc
	s_cbranch_execz .LBB601_729
; %bb.724:
	s_movk_i32 s7, 0x80
	v_cmp_ne_u16_e32 vcc, s7, v10
	v_bfrev_b32_e32 v16, 1
	s_and_saveexec_b64 s[8:9], vcc
	s_cbranch_execz .LBB601_728
; %bb.725:
	v_bfe_u32 v10, v3, 16, 7
	s_movk_i32 s7, 0x7f
	v_cmp_ne_u32_e32 vcc, s7, v10
	v_mov_b32_e32 v16, 0x7f800001
	s_and_saveexec_b64 s[10:11], vcc
	s_cbranch_execz .LBB601_727
; %bb.726:
	v_and_b32_e32 v16, 7, v2
	v_ffbh_u32_e32 v18, v16
	v_min_u32_e32 v21, 32, v18
	v_subrev_u32_e32 v18, 28, v21
	v_lshlrev_b64 v[18:19], v18, v[2:3]
	v_and_b32_e32 v18, 7, v18
	v_cmp_gt_u32_e32 vcc, 8, v10
	v_lshrrev_b32_e32 v20, 3, v10
	v_sub_u32_e32 v2, 29, v21
	v_cndmask_b32_e32 v10, v16, v18, vcc
	v_mov_b32_e32 v16, 24
	v_cndmask_b32_e32 v2, v20, v2, vcc
	v_lshlrev_b32_sdwa v16, v16, v3 dst_sel:DWORD dst_unused:UNUSED_PAD src0_sel:DWORD src1_sel:WORD_1
	v_bfrev_b32_e32 v18, 60
	v_lshlrev_b32_e32 v10, 20, v10
	v_and_b32_e32 v16, 0x80000000, v16
	v_lshl_add_u32 v2, v2, 23, v18
	v_or3_b32 v16, v16, v2, v10
.LBB601_727:
	s_or_b64 exec, exec, s[10:11]
.LBB601_728:
	s_or_b64 exec, exec, s[8:9]
.LBB601_729:
	s_or_b64 exec, exec, s[2:3]
	s_mov_b32 s2, 0xffffff
	v_cmp_lt_u32_e32 vcc, s2, v3
	v_mov_b32_e32 v10, 0
	v_mov_b32_e32 v18, 0
	s_and_saveexec_b64 s[2:3], vcc
	s_cbranch_execz .LBB601_735
; %bb.730:
	v_lshrrev_b32_e32 v2, 24, v3
	s_movk_i32 s7, 0x80
	v_cmp_ne_u32_e32 vcc, s7, v2
	v_bfrev_b32_e32 v18, 1
	s_and_saveexec_b64 s[8:9], vcc
	s_cbranch_execz .LBB601_734
; %bb.731:
	v_bfe_u32 v3, v3, 24, 7
	s_movk_i32 s7, 0x7f
	v_cmp_ne_u32_e32 vcc, s7, v3
	v_mov_b32_e32 v18, 0x7f800001
	s_and_saveexec_b64 s[10:11], vcc
	s_cbranch_execz .LBB601_733
; %bb.732:
	v_and_b32_e32 v20, 7, v2
	v_ffbh_u32_e32 v18, v20
	v_min_u32_e32 v23, 32, v18
	v_subrev_u32_e32 v18, 28, v23
	v_lshlrev_b64 v[18:19], v18, v[2:3]
	v_lshrrev_b32_e32 v21, 3, v3
	v_sub_u32_e32 v19, 29, v23
	v_and_b32_e32 v18, 7, v18
	v_cmp_gt_u32_e32 vcc, 8, v3
	v_cndmask_b32_e32 v3, v21, v19, vcc
	v_cndmask_b32_e32 v18, v20, v18, vcc
	v_lshlrev_b32_e32 v2, 24, v2
	v_bfrev_b32_e32 v19, 60
	v_lshlrev_b32_e32 v18, 20, v18
	v_and_b32_e32 v2, 0x80000000, v2
	v_lshl_add_u32 v3, v3, 23, v19
	v_or3_b32 v18, v2, v3, v18
.LBB601_733:
	s_or_b64 exec, exec, s[10:11]
.LBB601_734:
	s_or_b64 exec, exec, s[8:9]
.LBB601_735:
	s_or_b64 exec, exec, s[2:3]
	v_cvt_pkrtz_f16_f32 v2, v15, v12
	v_cvt_pkrtz_f16_f32 v3, v11, v14
	ds_read_b128 v[24:27], v22 offset:6144
	v_cmp_ne_u16_sdwa s[8:9], v4, v10 src0_sel:BYTE_0 src1_sel:DWORD
	s_waitcnt lgkmcnt(0)
	v_mfma_f32_16x16x16f16 v[6:9], v[2:3], v[24:25], v[6:9]
	v_cvt_pkrtz_f16_f32 v2, v13, v17
	v_cvt_pkrtz_f16_f32 v3, v16, v18
	s_nop 1
	v_mfma_f32_16x16x16f16 v[6:9], v[2:3], v[26:27], v[6:9]
	s_and_saveexec_b64 s[2:3], s[8:9]
	s_cbranch_execz .LBB601_741
; %bb.736:
	s_movk_i32 s7, 0x80
	v_cmp_ne_u16_sdwa s[10:11], v4, s7 src0_sel:BYTE_0 src1_sel:DWORD
	v_bfrev_b32_e32 v10, 1
	s_and_saveexec_b64 s[8:9], s[10:11]
	s_cbranch_execz .LBB601_740
; %bb.737:
	s_movk_i32 s7, 0x7f
	v_and_b32_e32 v2, 0x7f, v4
	v_cmp_ne_u32_e32 vcc, s7, v2
	v_mov_b32_e32 v10, 0x7f800001
	s_and_saveexec_b64 s[10:11], vcc
	s_cbranch_execz .LBB601_739
; %bb.738:
	v_and_b32_e32 v3, 7, v4
	v_ffbh_u32_e32 v10, v3
	v_min_u32_e32 v13, 32, v10
	v_subrev_u32_e32 v10, 28, v13
	v_lshlrev_b64 v[10:11], v10, v[4:5]
	v_lshrrev_b32_e32 v12, 3, v2
	v_sub_u32_e32 v11, 29, v13
	v_and_b32_e32 v10, 7, v10
	v_cmp_gt_u32_e32 vcc, 8, v2
	v_cndmask_b32_e32 v2, v12, v11, vcc
	v_cndmask_b32_e32 v3, v3, v10, vcc
	v_lshlrev_b32_e32 v10, 24, v4
	v_bfrev_b32_e32 v11, 60
	v_lshlrev_b32_e32 v3, 20, v3
	v_and_b32_e32 v10, 0x80000000, v10
	v_lshl_add_u32 v2, v2, 23, v11
	v_or3_b32 v10, v10, v2, v3
.LBB601_739:
	s_or_b64 exec, exec, s[10:11]
.LBB601_740:
	s_or_b64 exec, exec, s[8:9]
.LBB601_741:
	s_or_b64 exec, exec, s[2:3]
	v_lshrrev_b16_e32 v2, 8, v4
	v_cmp_ne_u16_e32 vcc, 0, v2
	v_mov_b32_e32 v3, 0
	v_mov_b32_e32 v11, 0
	s_and_saveexec_b64 s[2:3], vcc
	s_cbranch_execz .LBB601_747
; %bb.742:
	s_movk_i32 s7, 0x80
	v_cmp_ne_u16_e32 vcc, s7, v2
	v_bfrev_b32_e32 v11, 1
	s_and_saveexec_b64 s[8:9], vcc
	s_cbranch_execz .LBB601_746
; %bb.743:
	s_movk_i32 s7, 0x7f
	v_and_b32_e32 v12, 0x7f, v2
	v_cmp_ne_u32_e32 vcc, s7, v12
	v_mov_b32_e32 v11, 0x7f800001
	s_and_saveexec_b64 s[10:11], vcc
	s_cbranch_execz .LBB601_745
; %bb.744:
	v_and_b32_e32 v11, 7, v2
	v_ffbh_u32_e32 v14, v11
	v_min_u32_e32 v16, 32, v14
	v_subrev_u32_e32 v14, 28, v16
	v_lshlrev_b64 v[14:15], v14, v[2:3]
	v_lshrrev_b32_e32 v13, 3, v12
	v_sub_u32_e32 v2, 29, v16
	v_and_b32_e32 v14, 7, v14
	v_cmp_gt_u32_e32 vcc, 8, v12
	v_cndmask_b32_e32 v2, v13, v2, vcc
	v_cndmask_b32_e32 v11, v11, v14, vcc
	v_lshlrev_b32_e32 v12, 16, v4
	v_bfrev_b32_e32 v13, 60
	v_lshlrev_b32_e32 v11, 20, v11
	v_and_b32_e32 v12, 0x80000000, v12
	v_lshl_add_u32 v2, v2, 23, v13
	v_or3_b32 v11, v12, v2, v11
.LBB601_745:
	s_or_b64 exec, exec, s[10:11]
.LBB601_746:
	s_or_b64 exec, exec, s[8:9]
.LBB601_747:
	s_or_b64 exec, exec, s[2:3]
	s_movk_i32 s2, 0xff
	v_and_b32_sdwa v12, v4, s2 dst_sel:DWORD dst_unused:UNUSED_PAD src0_sel:WORD_1 src1_sel:DWORD
	v_lshrrev_b32_e32 v2, 16, v4
	v_cmp_ne_u16_e32 vcc, 0, v12
	s_and_saveexec_b64 s[2:3], vcc
	s_cbranch_execz .LBB601_753
; %bb.748:
	s_movk_i32 s7, 0x80
	v_cmp_ne_u16_e32 vcc, s7, v12
	v_bfrev_b32_e32 v3, 1
	s_and_saveexec_b64 s[8:9], vcc
	s_cbranch_execz .LBB601_752
; %bb.749:
	v_bfe_u32 v12, v4, 16, 7
	s_movk_i32 s7, 0x7f
	v_cmp_ne_u32_e32 vcc, s7, v12
	v_mov_b32_e32 v3, 0x7f800001
	s_and_saveexec_b64 s[10:11], vcc
	s_cbranch_execz .LBB601_751
; %bb.750:
	v_and_b32_e32 v13, 7, v2
	v_ffbh_u32_e32 v3, v13
	v_min_u32_e32 v15, 32, v3
	v_subrev_u32_e32 v3, 28, v15
	v_lshlrev_b64 v[2:3], v3, v[2:3]
	v_lshrrev_b32_e32 v14, 3, v12
	v_sub_u32_e32 v3, 29, v15
	v_and_b32_e32 v2, 7, v2
	v_cmp_gt_u32_e32 vcc, 8, v12
	v_mov_b32_e32 v12, 24
	v_cndmask_b32_e32 v3, v14, v3, vcc
	v_cndmask_b32_e32 v2, v13, v2, vcc
	v_lshlrev_b32_sdwa v12, v12, v4 dst_sel:DWORD dst_unused:UNUSED_PAD src0_sel:DWORD src1_sel:WORD_1
	v_bfrev_b32_e32 v13, 60
	v_lshlrev_b32_e32 v2, 20, v2
	v_and_b32_e32 v12, 0x80000000, v12
	v_lshl_add_u32 v3, v3, 23, v13
	v_or3_b32 v3, v12, v3, v2
.LBB601_751:
	s_or_b64 exec, exec, s[10:11]
.LBB601_752:
	s_or_b64 exec, exec, s[8:9]
.LBB601_753:
	s_or_b64 exec, exec, s[2:3]
	s_mov_b32 s2, 0xffffff
	v_cmp_lt_u32_e32 vcc, s2, v4
	v_mov_b32_e32 v12, 0
	v_mov_b32_e32 v13, 0
	s_and_saveexec_b64 s[2:3], vcc
	s_cbranch_execz .LBB601_759
; %bb.754:
	v_lshrrev_b32_e32 v2, 24, v4
	s_movk_i32 s7, 0x80
	v_cmp_ne_u32_e32 vcc, s7, v2
	v_bfrev_b32_e32 v13, 1
	s_and_saveexec_b64 s[8:9], vcc
	s_cbranch_execz .LBB601_758
; %bb.755:
	v_bfe_u32 v4, v4, 24, 7
	s_movk_i32 s7, 0x7f
	v_cmp_ne_u32_e32 vcc, s7, v4
	v_mov_b32_e32 v13, 0x7f800001
	s_and_saveexec_b64 s[10:11], vcc
	s_cbranch_execz .LBB601_757
; %bb.756:
	v_and_b32_e32 v13, 7, v2
	v_ffbh_u32_e32 v14, v13
	v_min_u32_e32 v17, 32, v14
	v_subrev_u32_e32 v14, 28, v17
	v_lshlrev_b64 v[14:15], v14, v[2:3]
	v_lshrrev_b32_e32 v16, 3, v4
	v_sub_u32_e32 v15, 29, v17
	v_and_b32_e32 v14, 7, v14
	v_cmp_gt_u32_e32 vcc, 8, v4
	v_cndmask_b32_e32 v4, v16, v15, vcc
	v_cndmask_b32_e32 v13, v13, v14, vcc
	v_lshlrev_b32_e32 v2, 24, v2
	v_bfrev_b32_e32 v14, 60
	v_lshlrev_b32_e32 v13, 20, v13
	v_and_b32_e32 v2, 0x80000000, v2
	v_lshl_add_u32 v4, v4, 23, v14
	v_or3_b32 v13, v2, v4, v13
.LBB601_757:
	s_or_b64 exec, exec, s[10:11]
.LBB601_758:
	s_or_b64 exec, exec, s[8:9]
.LBB601_759:
	s_or_b64 exec, exec, s[2:3]
	v_cmp_ne_u16_sdwa s[8:9], v5, v12 src0_sel:BYTE_0 src1_sel:DWORD
	s_and_saveexec_b64 s[2:3], s[8:9]
	s_cbranch_execz .LBB601_765
; %bb.760:
	s_movk_i32 s7, 0x80
	v_cmp_ne_u16_sdwa s[10:11], v5, s7 src0_sel:BYTE_0 src1_sel:DWORD
	v_bfrev_b32_e32 v12, 1
	s_and_saveexec_b64 s[8:9], s[10:11]
	s_cbranch_execz .LBB601_764
; %bb.761:
	s_movk_i32 s7, 0x7f
	v_and_b32_e32 v2, 0x7f, v5
	v_cmp_ne_u32_e32 vcc, s7, v2
	v_mov_b32_e32 v12, 0x7f800001
	s_and_saveexec_b64 s[10:11], vcc
	s_cbranch_execz .LBB601_763
; %bb.762:
	v_and_b32_e32 v12, 7, v5
	v_ffbh_u32_e32 v14, v12
	v_min_u32_e32 v17, 32, v14
	v_mov_b32_e32 v4, v5
	v_subrev_u32_e32 v14, 28, v17
	v_lshlrev_b64 v[14:15], v14, v[4:5]
	v_lshrrev_b32_e32 v16, 3, v2
	v_sub_u32_e32 v4, 29, v17
	v_and_b32_e32 v14, 7, v14
	v_cmp_gt_u32_e32 vcc, 8, v2
	v_cndmask_b32_e32 v2, v16, v4, vcc
	v_cndmask_b32_e32 v4, v12, v14, vcc
	v_lshlrev_b32_e32 v12, 24, v5
	v_bfrev_b32_e32 v14, 60
	v_lshlrev_b32_e32 v4, 20, v4
	v_and_b32_e32 v12, 0x80000000, v12
	v_lshl_add_u32 v2, v2, 23, v14
	v_or3_b32 v12, v12, v2, v4
.LBB601_763:
	s_or_b64 exec, exec, s[10:11]
.LBB601_764:
	s_or_b64 exec, exec, s[8:9]
.LBB601_765:
	s_or_b64 exec, exec, s[2:3]
	v_lshrrev_b16_e32 v2, 8, v5
	v_cmp_ne_u16_e32 vcc, 0, v2
	v_mov_b32_e32 v4, 0
	v_mov_b32_e32 v14, 0
	s_and_saveexec_b64 s[2:3], vcc
	s_cbranch_execz .LBB601_771
; %bb.766:
	s_movk_i32 s7, 0x80
	v_cmp_ne_u16_e32 vcc, s7, v2
	v_bfrev_b32_e32 v14, 1
	s_and_saveexec_b64 s[8:9], vcc
	s_cbranch_execz .LBB601_770
; %bb.767:
	s_movk_i32 s7, 0x7f
	v_and_b32_e32 v15, 0x7f, v2
	v_cmp_ne_u32_e32 vcc, s7, v15
	v_mov_b32_e32 v14, 0x7f800001
	s_and_saveexec_b64 s[10:11], vcc
	s_cbranch_execz .LBB601_769
; %bb.768:
	v_and_b32_e32 v14, 7, v2
	v_ffbh_u32_e32 v16, v14
	v_min_u32_e32 v19, 32, v16
	v_subrev_u32_e32 v16, 28, v19
	v_lshlrev_b64 v[16:17], v16, v[2:3]
	v_lshrrev_b32_e32 v18, 3, v15
	v_sub_u32_e32 v2, 29, v19
	v_and_b32_e32 v16, 7, v16
	v_cmp_gt_u32_e32 vcc, 8, v15
	v_cndmask_b32_e32 v2, v18, v2, vcc
	v_cndmask_b32_e32 v14, v14, v16, vcc
	v_lshlrev_b32_e32 v15, 16, v5
	v_bfrev_b32_e32 v16, 60
	v_lshlrev_b32_e32 v14, 20, v14
	v_and_b32_e32 v15, 0x80000000, v15
	v_lshl_add_u32 v2, v2, 23, v16
	v_or3_b32 v14, v15, v2, v14
.LBB601_769:
	s_or_b64 exec, exec, s[10:11]
.LBB601_770:
	s_or_b64 exec, exec, s[8:9]
.LBB601_771:
	s_or_b64 exec, exec, s[2:3]
	s_movk_i32 s2, 0xff
	v_and_b32_sdwa v15, v5, s2 dst_sel:DWORD dst_unused:UNUSED_PAD src0_sel:WORD_1 src1_sel:DWORD
	v_lshrrev_b32_e32 v2, 16, v5
	v_cmp_ne_u16_e32 vcc, 0, v15
	s_and_saveexec_b64 s[2:3], vcc
	s_cbranch_execz .LBB601_777
; %bb.772:
	s_movk_i32 s7, 0x80
	v_cmp_ne_u16_e32 vcc, s7, v15
	v_bfrev_b32_e32 v4, 1
	s_and_saveexec_b64 s[8:9], vcc
	s_cbranch_execz .LBB601_776
; %bb.773:
	v_bfe_u32 v15, v5, 16, 7
	s_movk_i32 s7, 0x7f
	v_cmp_ne_u32_e32 vcc, s7, v15
	v_mov_b32_e32 v4, 0x7f800001
	s_and_saveexec_b64 s[10:11], vcc
	s_cbranch_execz .LBB601_775
; %bb.774:
	v_and_b32_e32 v4, 7, v2
	v_ffbh_u32_e32 v16, v4
	v_min_u32_e32 v19, 32, v16
	v_subrev_u32_e32 v16, 28, v19
	v_lshlrev_b64 v[16:17], v16, v[2:3]
	v_lshrrev_b32_e32 v18, 3, v15
	v_sub_u32_e32 v2, 29, v19
	v_and_b32_e32 v16, 7, v16
	v_cmp_gt_u32_e32 vcc, 8, v15
	v_mov_b32_e32 v15, 24
	v_cndmask_b32_e32 v2, v18, v2, vcc
	v_cndmask_b32_e32 v4, v4, v16, vcc
	v_lshlrev_b32_sdwa v15, v15, v5 dst_sel:DWORD dst_unused:UNUSED_PAD src0_sel:DWORD src1_sel:WORD_1
	v_bfrev_b32_e32 v16, 60
	v_lshlrev_b32_e32 v4, 20, v4
	v_and_b32_e32 v15, 0x80000000, v15
	v_lshl_add_u32 v2, v2, 23, v16
	v_or3_b32 v4, v15, v2, v4
.LBB601_775:
	s_or_b64 exec, exec, s[10:11]
.LBB601_776:
	s_or_b64 exec, exec, s[8:9]
.LBB601_777:
	s_or_b64 exec, exec, s[2:3]
	s_mov_b32 s2, 0xffffff
	v_cmp_lt_u32_e32 vcc, s2, v5
	v_mov_b32_e32 v15, 0
	s_and_saveexec_b64 s[2:3], vcc
	s_cbranch_execz .LBB601_783
; %bb.778:
	v_lshrrev_b32_e32 v2, 24, v5
	s_movk_i32 s7, 0x80
	v_cmp_ne_u32_e32 vcc, s7, v2
	v_bfrev_b32_e32 v15, 1
	s_and_saveexec_b64 s[8:9], vcc
	s_cbranch_execz .LBB601_782
; %bb.779:
	v_bfe_u32 v5, v5, 24, 7
	s_movk_i32 s7, 0x7f
	v_cmp_ne_u32_e32 vcc, s7, v5
	v_mov_b32_e32 v15, 0x7f800001
	s_and_saveexec_b64 s[10:11], vcc
	s_cbranch_execz .LBB601_781
; %bb.780:
	v_and_b32_e32 v15, 7, v2
	v_ffbh_u32_e32 v16, v15
	v_min_u32_e32 v19, 32, v16
	v_subrev_u32_e32 v16, 28, v19
	v_lshlrev_b64 v[16:17], v16, v[2:3]
	v_lshrrev_b32_e32 v18, 3, v5
	v_sub_u32_e32 v17, 29, v19
	v_and_b32_e32 v16, 7, v16
	v_cmp_gt_u32_e32 vcc, 8, v5
	v_cndmask_b32_e32 v5, v18, v17, vcc
	v_cndmask_b32_e32 v15, v15, v16, vcc
	v_lshlrev_b32_e32 v2, 24, v2
	v_bfrev_b32_e32 v16, 60
	v_lshlrev_b32_e32 v15, 20, v15
	v_and_b32_e32 v2, 0x80000000, v2
	v_lshl_add_u32 v5, v5, 23, v16
	v_or3_b32 v15, v2, v5, v15
.LBB601_781:
	s_or_b64 exec, exec, s[10:11]
.LBB601_782:
	s_or_b64 exec, exec, s[8:9]
.LBB601_783:
	s_or_b64 exec, exec, s[2:3]
	v_cvt_pkrtz_f16_f32 v2, v10, v11
	v_cvt_pkrtz_f16_f32 v3, v3, v13
	ds_read_b128 v[16:19], v22 offset:6160
	s_load_dword s2, s[42:43], 0x0
	v_cmp_gt_u32_e32 vcc, 64, v0
	s_waitcnt lgkmcnt(0)
	v_mfma_f32_16x16x16f16 v[6:9], v[2:3], v[16:17], v[6:9]
	v_cvt_pkrtz_f16_f32 v2, v12, v14
	v_cvt_pkrtz_f16_f32 v3, v4, v15
	s_and_b64 s[0:1], vcc, s[0:1]
	s_barrier
	v_mfma_f32_16x16x16f16 v[2:5], v[2:3], v[18:19], v[6:9]
	s_nop 7
	s_nop 2
	v_pk_mul_f32 v[4:5], v[4:5], s[2:3] op_sel_hi:[1,0]
	v_pk_mul_f32 v[2:3], v[2:3], s[2:3] op_sel_hi:[1,0]
	v_cvt_f16_f32_e32 v2, v2
	v_cvt_f16_f32_e32 v3, v3
	;; [unrolled: 1-line block ×4, first 2 shown]
	v_pack_b32_f16 v2, v2, v3
	v_pack_b32_f16 v3, v4, v5
	ds_write_b64 v28, v[2:3]
	s_waitcnt lgkmcnt(0)
	s_barrier
	s_and_saveexec_b64 s[2:3], s[0:1]
	s_cbranch_execz .LBB601_785
; %bb.784:
	s_load_dwordx2 s[0:1], s[4:5], 0x68
	s_lshl_b32 s4, s44, 6
	s_mul_i32 s2, s12, s6
	s_mul_hi_u32 s3, s2, s4
	s_mul_i32 s2, s2, s4
	s_lshl_b64 s[2:3], s[2:3], 1
	s_waitcnt lgkmcnt(0)
	s_add_u32 s2, s0, s2
	s_addc_u32 s3, s1, s3
	s_lshl_b32 s0, s24, 6
	s_mov_b32 s1, 0
	v_lshlrev_b32_e32 v0, 10, v0
	s_lshl_b64 s[0:1], s[0:1], 1
	v_and_b32_e32 v0, 0x1800, v0
	v_lshlrev_b32_e32 v2, 5, v1
	v_and_b32_e32 v3, 16, v47
	s_add_u32 s0, s2, s0
	v_or3_b32 v0, v0, v2, v3
	s_addc_u32 s1, s3, s1
	ds_read_b128 v[2:5], v0
	ds_read_b128 v[6:9], v0 offset:128
	ds_read_b128 v[10:13], v0 offset:256
	v_or_b32_e32 v14, s25, v1
	v_mov_b32_e32 v0, s1
	v_add_co_u32_e32 v15, vcc, s0, v46
	v_addc_co_u32_e32 v16, vcc, 0, v0, vcc
	v_mad_u64_u32 v[0:1], s[0:1], v14, s4, 0
	v_lshlrev_b64 v[0:1], 1, v[0:1]
	v_add_co_u32_e32 v0, vcc, v15, v0
	v_addc_co_u32_e32 v1, vcc, v16, v1, vcc
	s_waitcnt lgkmcnt(2)
	global_store_dwordx4 v[0:1], v[2:5], off
	v_add_u32_e32 v0, 4, v14
	v_mad_u64_u32 v[0:1], s[0:1], v0, s4, 0
	v_lshlrev_b64 v[0:1], 1, v[0:1]
	v_add_co_u32_e32 v0, vcc, v15, v0
	v_addc_co_u32_e32 v1, vcc, v16, v1, vcc
	s_waitcnt lgkmcnt(1)
	global_store_dwordx4 v[0:1], v[6:9], off
	v_add_u32_e32 v0, 8, v14
	v_mad_u64_u32 v[0:1], s[0:1], v0, s4, 0
	v_lshlrev_b64 v[0:1], 1, v[0:1]
	v_add_co_u32_e32 v0, vcc, v15, v0
	v_addc_co_u32_e32 v1, vcc, v16, v1, vcc
	s_waitcnt lgkmcnt(0)
	global_store_dwordx4 v[0:1], v[10:13], off
.LBB601_785:
	s_endpgm
	.section	.rodata,"a",@progbits
	.p2align	6, 0x0
	.amdhsa_kernel _Z39paged_attention_ll4mi_QKV_mfma16_kernelIDF16_hLN4vllm18Fp8KVCacheDataTypeE1EDF16_Li32ELi64ELi256ELb0ELi12EL8MFMAType0EEvPKT_PKT0_S8_ifPKiSA_SA_iPKfiiiPfSD_PS3_PT2_iSC_SC_
		.amdhsa_group_segment_fixed_size 8192
		.amdhsa_private_segment_fixed_size 0
		.amdhsa_kernarg_size 400
		.amdhsa_user_sgpr_count 6
		.amdhsa_user_sgpr_private_segment_buffer 1
		.amdhsa_user_sgpr_dispatch_ptr 0
		.amdhsa_user_sgpr_queue_ptr 0
		.amdhsa_user_sgpr_kernarg_segment_ptr 1
		.amdhsa_user_sgpr_dispatch_id 0
		.amdhsa_user_sgpr_flat_scratch_init 0
		.amdhsa_user_sgpr_kernarg_preload_length 0
		.amdhsa_user_sgpr_kernarg_preload_offset 0
		.amdhsa_user_sgpr_private_segment_size 0
		.amdhsa_uses_dynamic_stack 0
		.amdhsa_system_sgpr_private_segment_wavefront_offset 0
		.amdhsa_system_sgpr_workgroup_id_x 1
		.amdhsa_system_sgpr_workgroup_id_y 1
		.amdhsa_system_sgpr_workgroup_id_z 1
		.amdhsa_system_sgpr_workgroup_info 0
		.amdhsa_system_vgpr_workitem_id 0
		.amdhsa_next_free_vgpr 62
		.amdhsa_next_free_sgpr 47
		.amdhsa_accum_offset 64
		.amdhsa_reserve_vcc 1
		.amdhsa_reserve_flat_scratch 0
		.amdhsa_float_round_mode_32 0
		.amdhsa_float_round_mode_16_64 0
		.amdhsa_float_denorm_mode_32 3
		.amdhsa_float_denorm_mode_16_64 3
		.amdhsa_dx10_clamp 1
		.amdhsa_ieee_mode 1
		.amdhsa_fp16_overflow 0
		.amdhsa_tg_split 0
		.amdhsa_exception_fp_ieee_invalid_op 0
		.amdhsa_exception_fp_denorm_src 0
		.amdhsa_exception_fp_ieee_div_zero 0
		.amdhsa_exception_fp_ieee_overflow 0
		.amdhsa_exception_fp_ieee_underflow 0
		.amdhsa_exception_fp_ieee_inexact 0
		.amdhsa_exception_int_div_zero 0
	.end_amdhsa_kernel
	.section	.text._Z39paged_attention_ll4mi_QKV_mfma16_kernelIDF16_hLN4vllm18Fp8KVCacheDataTypeE1EDF16_Li32ELi64ELi256ELb0ELi12EL8MFMAType0EEvPKT_PKT0_S8_ifPKiSA_SA_iPKfiiiPfSD_PS3_PT2_iSC_SC_,"axG",@progbits,_Z39paged_attention_ll4mi_QKV_mfma16_kernelIDF16_hLN4vllm18Fp8KVCacheDataTypeE1EDF16_Li32ELi64ELi256ELb0ELi12EL8MFMAType0EEvPKT_PKT0_S8_ifPKiSA_SA_iPKfiiiPfSD_PS3_PT2_iSC_SC_,comdat
.Lfunc_end601:
	.size	_Z39paged_attention_ll4mi_QKV_mfma16_kernelIDF16_hLN4vllm18Fp8KVCacheDataTypeE1EDF16_Li32ELi64ELi256ELb0ELi12EL8MFMAType0EEvPKT_PKT0_S8_ifPKiSA_SA_iPKfiiiPfSD_PS3_PT2_iSC_SC_, .Lfunc_end601-_Z39paged_attention_ll4mi_QKV_mfma16_kernelIDF16_hLN4vllm18Fp8KVCacheDataTypeE1EDF16_Li32ELi64ELi256ELb0ELi12EL8MFMAType0EEvPKT_PKT0_S8_ifPKiSA_SA_iPKfiiiPfSD_PS3_PT2_iSC_SC_
                                        ; -- End function
	.section	.AMDGPU.csdata,"",@progbits
; Kernel info:
; codeLenInByte = 27036
; NumSgprs: 51
; NumVgprs: 62
; NumAgprs: 0
; TotalNumVgprs: 62
; ScratchSize: 0
; MemoryBound: 0
; FloatMode: 240
; IeeeMode: 1
; LDSByteSize: 8192 bytes/workgroup (compile time only)
; SGPRBlocks: 6
; VGPRBlocks: 7
; NumSGPRsForWavesPerEU: 51
; NumVGPRsForWavesPerEU: 62
; AccumOffset: 64
; Occupancy: 8
; WaveLimiterHint : 1
; COMPUTE_PGM_RSRC2:SCRATCH_EN: 0
; COMPUTE_PGM_RSRC2:USER_SGPR: 6
; COMPUTE_PGM_RSRC2:TRAP_HANDLER: 0
; COMPUTE_PGM_RSRC2:TGID_X_EN: 1
; COMPUTE_PGM_RSRC2:TGID_Y_EN: 1
; COMPUTE_PGM_RSRC2:TGID_Z_EN: 1
; COMPUTE_PGM_RSRC2:TIDIG_COMP_CNT: 0
; COMPUTE_PGM_RSRC3_GFX90A:ACCUM_OFFSET: 15
; COMPUTE_PGM_RSRC3_GFX90A:TG_SPLIT: 0
	.section	.text._Z39paged_attention_ll4mi_QKV_mfma16_kernelIDF16_hLN4vllm18Fp8KVCacheDataTypeE1EDF16_Li32ELi64ELi256ELb0ELi13EL8MFMAType0EEvPKT_PKT0_S8_ifPKiSA_SA_iPKfiiiPfSD_PS3_PT2_iSC_SC_,"axG",@progbits,_Z39paged_attention_ll4mi_QKV_mfma16_kernelIDF16_hLN4vllm18Fp8KVCacheDataTypeE1EDF16_Li32ELi64ELi256ELb0ELi13EL8MFMAType0EEvPKT_PKT0_S8_ifPKiSA_SA_iPKfiiiPfSD_PS3_PT2_iSC_SC_,comdat
	.protected	_Z39paged_attention_ll4mi_QKV_mfma16_kernelIDF16_hLN4vllm18Fp8KVCacheDataTypeE1EDF16_Li32ELi64ELi256ELb0ELi13EL8MFMAType0EEvPKT_PKT0_S8_ifPKiSA_SA_iPKfiiiPfSD_PS3_PT2_iSC_SC_ ; -- Begin function _Z39paged_attention_ll4mi_QKV_mfma16_kernelIDF16_hLN4vllm18Fp8KVCacheDataTypeE1EDF16_Li32ELi64ELi256ELb0ELi13EL8MFMAType0EEvPKT_PKT0_S8_ifPKiSA_SA_iPKfiiiPfSD_PS3_PT2_iSC_SC_
	.globl	_Z39paged_attention_ll4mi_QKV_mfma16_kernelIDF16_hLN4vllm18Fp8KVCacheDataTypeE1EDF16_Li32ELi64ELi256ELb0ELi13EL8MFMAType0EEvPKT_PKT0_S8_ifPKiSA_SA_iPKfiiiPfSD_PS3_PT2_iSC_SC_
	.p2align	8
	.type	_Z39paged_attention_ll4mi_QKV_mfma16_kernelIDF16_hLN4vllm18Fp8KVCacheDataTypeE1EDF16_Li32ELi64ELi256ELb0ELi13EL8MFMAType0EEvPKT_PKT0_S8_ifPKiSA_SA_iPKfiiiPfSD_PS3_PT2_iSC_SC_,@function
_Z39paged_attention_ll4mi_QKV_mfma16_kernelIDF16_hLN4vllm18Fp8KVCacheDataTypeE1EDF16_Li32ELi64ELi256ELb0ELi13EL8MFMAType0EEvPKT_PKT0_S8_ifPKiSA_SA_iPKfiiiPfSD_PS3_PT2_iSC_SC_: ; @_Z39paged_attention_ll4mi_QKV_mfma16_kernelIDF16_hLN4vllm18Fp8KVCacheDataTypeE1EDF16_Li32ELi64ELi256ELb0ELi13EL8MFMAType0EEvPKT_PKT0_S8_ifPKiSA_SA_iPKfiiiPfSD_PS3_PT2_iSC_SC_
; %bb.0:
	s_load_dwordx2 s[0:1], s[4:5], 0x30
	s_mov_b32 s24, s7
	s_mov_b64 s[10:11], 0
	s_waitcnt lgkmcnt(0)
	s_cmp_lg_u64 s[0:1], 0
	s_cselect_b64 s[2:3], -1, 0
	s_and_b64 vcc, exec, s[2:3]
	s_cbranch_vccz .LBB602_7
; %bb.1:
	s_add_i32 s12, s6, 1
	s_mov_b32 s13, 0
	s_lshl_b64 s[14:15], s[12:13], 2
	s_add_u32 s14, s0, s14
	s_mov_b32 s7, s13
	s_addc_u32 s15, s1, s15
	s_lshl_b64 s[12:13], s[6:7], 2
	s_add_u32 s12, s0, s12
	s_addc_u32 s13, s1, s13
	s_load_dword s9, s[14:15], 0x0
	s_load_dword s16, s[12:13], 0x0
	s_waitcnt lgkmcnt(0)
	s_sub_i32 s9, s9, s16
	s_cmp_eq_u32 s9, 1
	s_cselect_b64 s[12:13], -1, 0
	s_andn2_b64 vcc, exec, s[10:11]
	s_cbranch_vccnz .LBB602_3
.LBB602_2:
	s_mov_b32 s7, 0
	s_mov_b64 s[12:13], -1
.LBB602_3:
	s_andn2_b64 vcc, exec, s[12:13]
	s_cbranch_vccnz .LBB602_786
; %bb.4:
	s_load_dwordx2 s[12:13], s[4:5], 0x28
	s_lshl_b64 s[10:11], s[6:7], 2
	s_waitcnt lgkmcnt(0)
	s_add_u32 s12, s12, s10
	s_addc_u32 s13, s13, s11
	s_load_dword s33, s[12:13], 0x0
	s_lshl_b32 s20, s24, 8
	s_waitcnt lgkmcnt(0)
	s_cmp_ge_i32 s20, s33
	s_cbranch_scc1 .LBB602_786
; %bb.5:
	s_add_i32 s14, s33, 31
	s_load_dwordx2 s[12:13], s[4:5], 0x20
	s_load_dword s9, s[4:5], 0x38
	s_ashr_i32 s15, s14, 31
	v_and_b32_e32 v1, 0xcf, v0
	s_lshr_b32 s15, s15, 27
	v_add_u32_e32 v1, s20, v1
	s_add_i32 s14, s14, s15
	v_ashrrev_i32_e32 v2, 31, v1
	s_ashr_i32 s22, s14, 5
	v_lshrrev_b32_e32 v4, 27, v2
	s_add_i32 s22, s22, -1
	v_add_u32_e32 v2, v1, v4
	s_waitcnt lgkmcnt(0)
	s_mul_i32 s14, s6, s9
	s_mov_b32 s15, 0
	v_ashrrev_i32_e32 v2, 5, v2
	v_mov_b32_e32 v5, s22
	v_cmp_gt_i32_e32 vcc, s33, v1
	s_lshl_b64 s[14:15], s[14:15], 2
	v_cndmask_b32_e32 v2, v5, v2, vcc
	s_add_u32 s9, s12, s14
	v_ashrrev_i32_e32 v3, 31, v2
	s_addc_u32 s21, s13, s15
	v_lshlrev_b64 v[2:3], 2, v[2:3]
	v_mov_b32_e32 v7, s21
	v_add_co_u32_e32 v6, vcc, s9, v2
	v_or_b32_e32 v2, 16, v1
	v_addc_co_u32_e32 v7, vcc, v7, v3, vcc
	v_add_u32_e32 v3, v2, v4
	v_ashrrev_i32_e32 v3, 5, v3
	v_cmp_gt_i32_e32 vcc, s33, v2
	v_cndmask_b32_e32 v2, v5, v3, vcc
	v_ashrrev_i32_e32 v3, 31, v2
	v_lshlrev_b64 v[2:3], 2, v[2:3]
	v_mov_b32_e32 v9, s21
	v_add_co_u32_e32 v8, vcc, s9, v2
	v_or_b32_e32 v2, 32, v1
	v_addc_co_u32_e32 v9, vcc, v9, v3, vcc
	v_add_u32_e32 v3, v2, v4
	v_ashrrev_i32_e32 v3, 5, v3
	v_cmp_gt_i32_e32 vcc, s33, v2
	v_cndmask_b32_e32 v2, v5, v3, vcc
	v_ashrrev_i32_e32 v3, 31, v2
	;; [unrolled: 10-line block ×3, first 2 shown]
	v_lshlrev_b64 v[2:3], 2, v[2:3]
	v_mov_b32_e32 v1, s21
	v_add_co_u32_e32 v12, vcc, s9, v2
	v_addc_co_u32_e32 v13, vcc, v1, v3, vcc
	global_load_dword v5, v[6:7], off
	global_load_dword v4, v[8:9], off
	;; [unrolled: 1-line block ×4, first 2 shown]
	s_load_dwordx4 s[12:15], s[4:5], 0x8
	s_andn2_b64 vcc, exec, s[2:3]
	s_cbranch_vccnz .LBB602_8
; %bb.6:
	s_add_u32 s0, s0, s10
	s_addc_u32 s1, s1, s11
	s_load_dword s10, s[0:1], 0x0
	s_branch .LBB602_9
.LBB602_7:
	s_mov_b64 s[12:13], 0
	s_branch .LBB602_2
.LBB602_8:
	s_mov_b32 s10, s6
.LBB602_9:
	s_load_dwordx4 s[16:19], s[4:5], 0x48
	v_lshrrev_b32_e32 v50, 6, v0
	v_bfe_u32 v1, v0, 4, 2
	v_lshl_or_b32 v6, v50, 2, v1
	v_and_b32_e32 v49, 15, v0
	v_lshlrev_b32_e32 v7, 3, v49
	v_cmp_gt_u32_e32 vcc, 13, v6
	v_cmp_gt_u32_e64 s[0:1], 8, v49
	s_mul_i32 s25, s8, 13
	s_and_b64 s[26:27], s[0:1], vcc
	v_lshlrev_b32_e32 v46, 1, v7
	v_lshlrev_b32_e32 v47, 4, v0
	s_and_saveexec_b64 s[2:3], s[26:27]
	s_cbranch_execz .LBB602_11
; %bb.10:
	s_load_dwordx2 s[26:27], s[4:5], 0x0
	s_waitcnt lgkmcnt(0)
	s_ashr_i32 s11, s16, 31
	s_mul_hi_u32 s19, s10, s16
	s_mul_i32 s11, s10, s11
	s_add_i32 s11, s19, s11
	s_mul_i32 s10, s10, s16
	s_lshl_b64 s[10:11], s[10:11], 1
	v_add_lshl_u32 v8, v6, s25, 6
	s_add_u32 s10, s26, s10
	v_ashrrev_i32_e32 v9, 31, v8
	s_addc_u32 s11, s27, s11
	v_lshlrev_b64 v[8:9], 1, v[8:9]
	v_mov_b32_e32 v7, s11
	v_add_co_u32_e32 v8, vcc, s10, v8
	v_addc_co_u32_e32 v7, vcc, v7, v9, vcc
	v_add_co_u32_e32 v8, vcc, v8, v46
	v_addc_co_u32_e32 v9, vcc, 0, v7, vcc
	global_load_dwordx4 v[8:11], v[8:9], off
	v_lshlrev_b32_e32 v12, 8, v49
	v_lshlrev_b32_e32 v6, 5, v6
	v_and_b32_e32 v7, 16, v47
	v_and_b32_e32 v12, 0xe00, v12
	v_or3_b32 v6, v12, v6, v7
	s_waitcnt vmcnt(0)
	ds_write_b128 v6, v[8:11]
.LBB602_11:
	s_or_b64 exec, exec, s[2:3]
	s_waitcnt lgkmcnt(0)
	s_mul_i32 s8, s8, s18
	s_add_u32 s2, s12, s8
	s_addc_u32 s3, s13, 0
	v_and_b32_e32 v12, 48, v0
	s_ashr_i32 s10, s20, 31
	v_or_b32_e32 v13, s20, v12
	s_lshr_b32 s10, s10, 27
	v_add_u32_e32 v6, s10, v13
	v_ashrrev_i32_e32 v6, 5, v6
	v_mov_b32_e32 v14, s22
	v_cmp_gt_i32_e32 vcc, s33, v13
	v_cndmask_b32_e32 v6, v14, v6, vcc
	v_ashrrev_i32_e32 v7, 31, v6
	v_lshlrev_b64 v[6:7], 2, v[6:7]
	v_mov_b32_e32 v8, s21
	v_add_co_u32_e32 v6, vcc, s9, v6
	v_addc_co_u32_e32 v7, vcc, v8, v7, vcc
	v_or_b32_e32 v8, 64, v13
	v_add_u32_e32 v9, s10, v8
	v_ashrrev_i32_e32 v9, 5, v9
	v_cmp_gt_i32_e32 vcc, s33, v8
	v_cndmask_b32_e32 v8, v14, v9, vcc
	v_ashrrev_i32_e32 v9, 31, v8
	v_lshlrev_b64 v[8:9], 2, v[8:9]
	v_mov_b32_e32 v10, s21
	v_add_co_u32_e32 v8, vcc, s9, v8
	v_addc_co_u32_e32 v9, vcc, v10, v9, vcc
	v_or_b32_e32 v10, 0x80, v13
	v_add_u32_e32 v11, s10, v10
	v_ashrrev_i32_e32 v11, 5, v11
	v_cmp_gt_i32_e32 vcc, s33, v10
	v_cndmask_b32_e32 v10, v14, v11, vcc
	v_ashrrev_i32_e32 v11, 31, v10
	v_lshlrev_b64 v[10:11], 2, v[10:11]
	v_mov_b32_e32 v15, s21
	v_add_co_u32_e32 v10, vcc, s9, v10
	s_load_dwordx2 s[44:45], s[4:5], 0x94
	s_load_dwordx4 s[40:43], s[4:5], 0x80
	s_waitcnt lgkmcnt(0)
	s_barrier
	v_addc_co_u32_e32 v11, vcc, v15, v11, vcc
	global_load_dword v15, v[6:7], off
	global_load_dword v16, v[8:9], off
	;; [unrolled: 1-line block ×3, first 2 shown]
	v_or_b32_e32 v6, 0xc0, v13
	v_add_u32_e32 v7, s10, v6
	v_ashrrev_i32_e32 v7, 5, v7
	v_cmp_gt_i32_e32 vcc, s33, v6
	v_cndmask_b32_e32 v6, v14, v7, vcc
	v_ashrrev_i32_e32 v7, 31, v6
	v_lshlrev_b64 v[6:7], 2, v[6:7]
	v_mov_b32_e32 v8, s21
	v_add_co_u32_e32 v6, vcc, s9, v6
	v_addc_co_u32_e32 v7, vcc, v8, v7, vcc
	global_load_dword v20, v[6:7], off
	v_pk_mov_b32 v[6:7], s[2:3], s[2:3] op_sel:[0,1]
	s_waitcnt vmcnt(7)
	v_mad_i64_i32 v[8:9], s[2:3], v5, s17, v[6:7]
	v_lshlrev_b32_e32 v11, 4, v49
	v_add_co_u32_e32 v5, vcc, v8, v11
	v_lshlrev_b32_e32 v10, 5, v12
	v_addc_co_u32_e32 v9, vcc, 0, v9, vcc
	v_add_co_u32_e32 v8, vcc, v5, v10
	v_addc_co_u32_e32 v9, vcc, 0, v9, vcc
	s_waitcnt vmcnt(6)
	v_mad_i64_i32 v[4:5], s[2:3], v4, s17, v[6:7]
	v_or_b32_e32 v12, 0x100, v11
	v_add_co_u32_e32 v4, vcc, v4, v12
	v_addc_co_u32_e32 v5, vcc, 0, v5, vcc
	v_add_co_u32_e32 v4, vcc, v4, v10
	v_addc_co_u32_e32 v5, vcc, 0, v5, vcc
	global_load_dwordx4 v[30:33], v[8:9], off
	global_load_dwordx4 v[38:41], v[4:5], off
	s_waitcnt vmcnt(7)
	v_mad_i64_i32 v[4:5], s[2:3], v3, s17, v[6:7]
	v_add_co_u32_e32 v3, vcc, v4, v11
	v_addc_co_u32_e32 v5, vcc, 0, v5, vcc
	v_add_co_u32_e32 v4, vcc, v3, v10
	v_addc_co_u32_e32 v5, vcc, 0, v5, vcc
	s_waitcnt vmcnt(6)
	v_mad_i64_i32 v[2:3], s[2:3], v2, s17, v[6:7]
	v_add_co_u32_e32 v2, vcc, v2, v12
	v_addc_co_u32_e32 v3, vcc, 0, v3, vcc
	v_add_co_u32_e32 v2, vcc, v2, v10
	s_add_u32 s2, s14, s8
	v_addc_co_u32_e32 v3, vcc, 0, v3, vcc
	global_load_dwordx4 v[34:37], v[4:5], off
	global_load_dwordx4 v[22:25], v[2:3], off
	s_addc_u32 s3, s15, 0
	v_and_b32_e32 v2, 16, v0
	v_mov_b32_e32 v3, s3
	v_add_co_u32_e32 v2, vcc, s2, v2
	v_lshlrev_b32_e32 v48, 5, v49
	v_addc_co_u32_e32 v3, vcc, 0, v3, vcc
	v_lshl_or_b32 v4, v50, 9, v48
	v_add_co_u32_e32 v2, vcc, v2, v4
	v_addc_co_u32_e32 v3, vcc, 0, v3, vcc
	v_cmp_gt_u32_e32 vcc, 13, v49
	v_mov_b32_e32 v43, 0
	s_movk_i32 s8, 0x80
	v_mov_b32_e32 v44, 0
	s_waitcnt vmcnt(7)
	v_mad_i64_i32 v[4:5], s[2:3], v15, s17, v[2:3]
	s_waitcnt vmcnt(6)
	v_mad_i64_i32 v[6:7], s[2:3], v16, s17, v[2:3]
	;; [unrolled: 2-line block ×3, first 2 shown]
	global_load_dwordx4 v[14:17], v[4:5], off
	global_load_dwordx4 v[10:13], v[6:7], off
	s_waitcnt vmcnt(6)
	v_mad_i64_i32 v[20:21], s[2:3], v20, s17, v[2:3]
	global_load_dwordx4 v[6:9], v[18:19], off
	global_load_dwordx4 v[2:5], v[20:21], off
	v_add_u32_e32 v18, -13, v49
	v_cndmask_b32_e32 v18, v18, v49, vcc
	v_lshlrev_b32_e32 v18, 5, v18
	v_lshl_add_u32 v18, v1, 9, v18
	ds_read_b128 v[26:29], v18
	ds_read_b128 v[18:21], v18 offset:16
	s_load_dword s12, s[40:41], 0x0
	s_waitcnt vmcnt(7)
	v_cmp_ne_u16_sdwa s[10:11], v30, v43 src0_sel:BYTE_0 src1_sel:DWORD
	s_and_saveexec_b64 s[2:3], s[10:11]
	s_cbranch_execz .LBB602_17
; %bb.12:
	v_cmp_ne_u16_sdwa s[10:11], v30, s8 src0_sel:BYTE_0 src1_sel:DWORD
	v_bfrev_b32_e32 v44, 1
	s_and_saveexec_b64 s[8:9], s[10:11]
	s_cbranch_execz .LBB602_16
; %bb.13:
	s_movk_i32 s10, 0x7f
	v_and_b32_e32 v42, 0x7f, v30
	v_cmp_ne_u32_e32 vcc, s10, v42
	v_mov_b32_e32 v44, 0x7f800001
	s_and_saveexec_b64 s[10:11], vcc
	s_cbranch_execz .LBB602_15
; %bb.14:
	v_and_b32_e32 v51, 7, v30
	v_ffbh_u32_e32 v44, v51
	v_min_u32_e32 v53, 32, v44
	v_subrev_u32_e32 v44, 28, v53
	v_lshlrev_b64 v[44:45], v44, v[30:31]
	v_lshrrev_b32_e32 v52, 3, v42
	v_sub_u32_e32 v45, 29, v53
	v_and_b32_e32 v44, 7, v44
	v_cmp_gt_u32_e32 vcc, 8, v42
	v_cndmask_b32_e32 v42, v52, v45, vcc
	v_cndmask_b32_e32 v44, v51, v44, vcc
	v_lshlrev_b32_e32 v45, 24, v30
	v_bfrev_b32_e32 v51, 60
	v_lshlrev_b32_e32 v44, 20, v44
	v_and_b32_e32 v45, 0x80000000, v45
	v_lshl_add_u32 v42, v42, 23, v51
	v_or3_b32 v44, v45, v42, v44
.LBB602_15:
	s_or_b64 exec, exec, s[10:11]
.LBB602_16:
	s_or_b64 exec, exec, s[8:9]
.LBB602_17:
	s_or_b64 exec, exec, s[2:3]
	v_lshrrev_b16_e32 v42, 8, v30
	v_cmp_ne_u16_e32 vcc, 0, v42
	s_and_saveexec_b64 s[2:3], vcc
	s_cbranch_execz .LBB602_23
; %bb.18:
	s_movk_i32 s8, 0x80
	v_cmp_ne_u16_e32 vcc, s8, v42
	v_bfrev_b32_e32 v43, 1
	s_and_saveexec_b64 s[8:9], vcc
	s_cbranch_execz .LBB602_22
; %bb.19:
	s_movk_i32 s10, 0x7f
	v_and_b32_e32 v45, 0x7f, v42
	v_cmp_ne_u32_e32 vcc, s10, v45
	v_mov_b32_e32 v43, 0x7f800001
	s_and_saveexec_b64 s[10:11], vcc
	s_cbranch_execz .LBB602_21
; %bb.20:
	v_and_b32_e32 v51, 7, v42
	v_ffbh_u32_e32 v43, v51
	v_min_u32_e32 v53, 32, v43
	v_subrev_u32_e32 v43, 28, v53
	v_lshlrev_b64 v[42:43], v43, v[42:43]
	v_lshrrev_b32_e32 v52, 3, v45
	v_sub_u32_e32 v43, 29, v53
	v_and_b32_e32 v42, 7, v42
	v_cmp_gt_u32_e32 vcc, 8, v45
	v_cndmask_b32_e32 v43, v52, v43, vcc
	v_cndmask_b32_e32 v42, v51, v42, vcc
	v_lshlrev_b32_e32 v45, 16, v30
	v_bfrev_b32_e32 v51, 60
	v_lshlrev_b32_e32 v42, 20, v42
	v_and_b32_e32 v45, 0x80000000, v45
	v_lshl_add_u32 v43, v43, 23, v51
	v_or3_b32 v43, v45, v43, v42
.LBB602_21:
	s_or_b64 exec, exec, s[10:11]
.LBB602_22:
	s_or_b64 exec, exec, s[8:9]
.LBB602_23:
	s_or_b64 exec, exec, s[2:3]
	s_movk_i32 s2, 0xff
	v_and_b32_sdwa v52, v30, s2 dst_sel:DWORD dst_unused:UNUSED_PAD src0_sel:WORD_1 src1_sel:DWORD
	v_lshrrev_b32_e32 v42, 16, v30
	v_cmp_ne_u16_e32 vcc, 0, v52
	v_mov_b32_e32 v45, 0
	v_mov_b32_e32 v51, 0
	s_and_saveexec_b64 s[2:3], vcc
	s_cbranch_execz .LBB602_29
; %bb.24:
	s_movk_i32 s8, 0x80
	v_cmp_ne_u16_e32 vcc, s8, v52
	v_bfrev_b32_e32 v51, 1
	s_and_saveexec_b64 s[8:9], vcc
	s_cbranch_execz .LBB602_28
; %bb.25:
	v_bfe_u32 v52, v30, 16, 7
	s_movk_i32 s10, 0x7f
	v_cmp_ne_u32_e32 vcc, s10, v52
	v_mov_b32_e32 v51, 0x7f800001
	s_and_saveexec_b64 s[10:11], vcc
	s_cbranch_execz .LBB602_27
; %bb.26:
	v_and_b32_e32 v51, 7, v42
	v_ffbh_u32_e32 v54, v51
	v_min_u32_e32 v56, 32, v54
	v_subrev_u32_e32 v54, 28, v56
	v_lshlrev_b64 v[54:55], v54, v[42:43]
	v_lshrrev_b32_e32 v53, 3, v52
	v_sub_u32_e32 v42, 29, v56
	v_and_b32_e32 v54, 7, v54
	v_cmp_gt_u32_e32 vcc, 8, v52
	v_mov_b32_e32 v52, 24
	v_cndmask_b32_e32 v42, v53, v42, vcc
	v_cndmask_b32_e32 v51, v51, v54, vcc
	v_lshlrev_b32_sdwa v52, v52, v30 dst_sel:DWORD dst_unused:UNUSED_PAD src0_sel:DWORD src1_sel:WORD_1
	v_bfrev_b32_e32 v53, 60
	v_lshlrev_b32_e32 v51, 20, v51
	v_and_b32_e32 v52, 0x80000000, v52
	v_lshl_add_u32 v42, v42, 23, v53
	v_or3_b32 v51, v52, v42, v51
.LBB602_27:
	s_or_b64 exec, exec, s[10:11]
.LBB602_28:
	s_or_b64 exec, exec, s[8:9]
.LBB602_29:
	s_or_b64 exec, exec, s[2:3]
	s_mov_b32 s2, 0xffffff
	v_cmp_lt_u32_e32 vcc, s2, v30
	s_and_saveexec_b64 s[2:3], vcc
	s_cbranch_execz .LBB602_35
; %bb.30:
	v_lshrrev_b32_e32 v42, 24, v30
	s_movk_i32 s8, 0x80
	v_cmp_ne_u32_e32 vcc, s8, v42
	v_bfrev_b32_e32 v45, 1
	s_and_saveexec_b64 s[8:9], vcc
	s_cbranch_execz .LBB602_34
; %bb.31:
	v_bfe_u32 v30, v30, 24, 7
	s_movk_i32 s10, 0x7f
	v_cmp_ne_u32_e32 vcc, s10, v30
	v_mov_b32_e32 v45, 0x7f800001
	s_and_saveexec_b64 s[10:11], vcc
	s_cbranch_execz .LBB602_33
; %bb.32:
	v_and_b32_e32 v45, 7, v42
	v_ffbh_u32_e32 v52, v45
	v_min_u32_e32 v55, 32, v52
	v_subrev_u32_e32 v52, 28, v55
	v_lshlrev_b64 v[52:53], v52, v[42:43]
	v_lshrrev_b32_e32 v54, 3, v30
	v_sub_u32_e32 v53, 29, v55
	v_and_b32_e32 v52, 7, v52
	v_cmp_gt_u32_e32 vcc, 8, v30
	v_cndmask_b32_e32 v30, v54, v53, vcc
	v_cndmask_b32_e32 v45, v45, v52, vcc
	v_lshlrev_b32_e32 v42, 24, v42
	v_bfrev_b32_e32 v52, 60
	v_lshlrev_b32_e32 v45, 20, v45
	v_and_b32_e32 v42, 0x80000000, v42
	v_lshl_add_u32 v30, v30, 23, v52
	v_or3_b32 v45, v42, v30, v45
.LBB602_33:
	s_or_b64 exec, exec, s[10:11]
.LBB602_34:
	s_or_b64 exec, exec, s[8:9]
.LBB602_35:
	s_or_b64 exec, exec, s[2:3]
	v_mov_b32_e32 v42, 0
	v_cmp_ne_u16_sdwa s[8:9], v31, v42 src0_sel:BYTE_0 src1_sel:DWORD
	v_mov_b32_e32 v52, 0
	s_and_saveexec_b64 s[2:3], s[8:9]
	s_cbranch_execz .LBB602_41
; %bb.36:
	s_movk_i32 s8, 0x80
	v_cmp_ne_u16_sdwa s[10:11], v31, s8 src0_sel:BYTE_0 src1_sel:DWORD
	v_bfrev_b32_e32 v52, 1
	s_and_saveexec_b64 s[8:9], s[10:11]
	s_cbranch_execz .LBB602_40
; %bb.37:
	s_movk_i32 s10, 0x7f
	v_and_b32_e32 v30, 0x7f, v31
	v_cmp_ne_u32_e32 vcc, s10, v30
	v_mov_b32_e32 v52, 0x7f800001
	s_and_saveexec_b64 s[10:11], vcc
	s_cbranch_execz .LBB602_39
; %bb.38:
	v_and_b32_e32 v54, 7, v31
	v_ffbh_u32_e32 v53, v54
	v_min_u32_e32 v56, 32, v53
	v_mov_b32_e32 v52, v31
	v_subrev_u32_e32 v53, 28, v56
	v_lshlrev_b64 v[52:53], v53, v[52:53]
	v_lshrrev_b32_e32 v55, 3, v30
	v_sub_u32_e32 v53, 29, v56
	v_and_b32_e32 v52, 7, v52
	v_cmp_gt_u32_e32 vcc, 8, v30
	v_cndmask_b32_e32 v30, v55, v53, vcc
	v_cndmask_b32_e32 v52, v54, v52, vcc
	v_lshlrev_b32_e32 v53, 24, v31
	v_bfrev_b32_e32 v54, 60
	v_lshlrev_b32_e32 v52, 20, v52
	v_and_b32_e32 v53, 0x80000000, v53
	v_lshl_add_u32 v30, v30, 23, v54
	v_or3_b32 v52, v53, v30, v52
.LBB602_39:
	s_or_b64 exec, exec, s[10:11]
.LBB602_40:
	s_or_b64 exec, exec, s[8:9]
.LBB602_41:
	s_or_b64 exec, exec, s[2:3]
	v_lshrrev_b16_e32 v30, 8, v31
	v_cmp_ne_u16_e32 vcc, 0, v30
	s_and_saveexec_b64 s[2:3], vcc
	s_cbranch_execz .LBB602_47
; %bb.42:
	s_movk_i32 s8, 0x80
	v_cmp_ne_u16_e32 vcc, s8, v30
	v_bfrev_b32_e32 v42, 1
	s_and_saveexec_b64 s[8:9], vcc
	s_cbranch_execz .LBB602_46
; %bb.43:
	s_movk_i32 s10, 0x7f
	v_and_b32_e32 v53, 0x7f, v30
	v_cmp_ne_u32_e32 vcc, s10, v53
	v_mov_b32_e32 v42, 0x7f800001
	s_and_saveexec_b64 s[10:11], vcc
	s_cbranch_execz .LBB602_45
; %bb.44:
	v_and_b32_e32 v42, 7, v30
	v_ffbh_u32_e32 v54, v42
	v_min_u32_e32 v57, 32, v54
	v_subrev_u32_e32 v54, 28, v57
	v_lshlrev_b64 v[54:55], v54, v[30:31]
	v_lshrrev_b32_e32 v56, 3, v53
	v_sub_u32_e32 v30, 29, v57
	v_and_b32_e32 v54, 7, v54
	v_cmp_gt_u32_e32 vcc, 8, v53
	v_cndmask_b32_e32 v30, v56, v30, vcc
	v_cndmask_b32_e32 v42, v42, v54, vcc
	v_lshlrev_b32_e32 v53, 16, v31
	v_bfrev_b32_e32 v54, 60
	v_lshlrev_b32_e32 v42, 20, v42
	v_and_b32_e32 v53, 0x80000000, v53
	v_lshl_add_u32 v30, v30, 23, v54
	v_or3_b32 v42, v53, v30, v42
.LBB602_45:
	s_or_b64 exec, exec, s[10:11]
.LBB602_46:
	s_or_b64 exec, exec, s[8:9]
.LBB602_47:
	s_or_b64 exec, exec, s[2:3]
	s_movk_i32 s2, 0xff
	v_and_b32_sdwa v55, v31, s2 dst_sel:DWORD dst_unused:UNUSED_PAD src0_sel:WORD_1 src1_sel:DWORD
	v_lshrrev_b32_e32 v30, 16, v31
	v_cmp_ne_u16_e32 vcc, 0, v55
	v_mov_b32_e32 v53, 0
	v_mov_b32_e32 v54, 0
	s_and_saveexec_b64 s[2:3], vcc
	s_cbranch_execz .LBB602_53
; %bb.48:
	s_movk_i32 s8, 0x80
	v_cmp_ne_u16_e32 vcc, s8, v55
	v_bfrev_b32_e32 v54, 1
	s_and_saveexec_b64 s[8:9], vcc
	s_cbranch_execz .LBB602_52
; %bb.49:
	v_bfe_u32 v55, v31, 16, 7
	s_movk_i32 s10, 0x7f
	v_cmp_ne_u32_e32 vcc, s10, v55
	v_mov_b32_e32 v54, 0x7f800001
	s_and_saveexec_b64 s[10:11], vcc
	s_cbranch_execz .LBB602_51
; %bb.50:
	v_and_b32_e32 v54, 7, v30
	v_ffbh_u32_e32 v56, v54
	v_min_u32_e32 v59, 32, v56
	v_subrev_u32_e32 v56, 28, v59
	v_lshlrev_b64 v[56:57], v56, v[30:31]
	v_lshrrev_b32_e32 v58, 3, v55
	v_sub_u32_e32 v30, 29, v59
	v_and_b32_e32 v56, 7, v56
	v_cmp_gt_u32_e32 vcc, 8, v55
	v_mov_b32_e32 v55, 24
	v_cndmask_b32_e32 v30, v58, v30, vcc
	v_cndmask_b32_e32 v54, v54, v56, vcc
	v_lshlrev_b32_sdwa v55, v55, v31 dst_sel:DWORD dst_unused:UNUSED_PAD src0_sel:DWORD src1_sel:WORD_1
	v_bfrev_b32_e32 v56, 60
	v_lshlrev_b32_e32 v54, 20, v54
	v_and_b32_e32 v55, 0x80000000, v55
	v_lshl_add_u32 v30, v30, 23, v56
	v_or3_b32 v54, v55, v30, v54
.LBB602_51:
	s_or_b64 exec, exec, s[10:11]
.LBB602_52:
	s_or_b64 exec, exec, s[8:9]
.LBB602_53:
	s_or_b64 exec, exec, s[2:3]
	s_mov_b32 s2, 0xffffff
	v_cmp_lt_u32_e32 vcc, s2, v31
	s_and_saveexec_b64 s[2:3], vcc
	s_cbranch_execz .LBB602_59
; %bb.54:
	v_lshrrev_b32_e32 v30, 24, v31
	s_movk_i32 s8, 0x80
	v_cmp_ne_u32_e32 vcc, s8, v30
	v_bfrev_b32_e32 v53, 1
	s_and_saveexec_b64 s[8:9], vcc
	s_cbranch_execz .LBB602_58
; %bb.55:
	v_bfe_u32 v31, v31, 24, 7
	s_movk_i32 s10, 0x7f
	v_cmp_ne_u32_e32 vcc, s10, v31
	v_mov_b32_e32 v53, 0x7f800001
	s_and_saveexec_b64 s[10:11], vcc
	s_cbranch_execz .LBB602_57
; %bb.56:
	v_and_b32_e32 v53, 7, v30
	v_ffbh_u32_e32 v56, v53
	v_min_u32_e32 v58, 32, v56
	v_subrev_u32_e32 v56, 28, v58
	v_lshlrev_b64 v[56:57], v56, v[30:31]
	v_lshrrev_b32_e32 v55, 3, v31
	v_sub_u32_e32 v57, 29, v58
	v_and_b32_e32 v56, 7, v56
	v_cmp_gt_u32_e32 vcc, 8, v31
	v_cndmask_b32_e32 v31, v55, v57, vcc
	v_cndmask_b32_e32 v53, v53, v56, vcc
	v_lshlrev_b32_e32 v30, 24, v30
	v_bfrev_b32_e32 v55, 60
	v_lshlrev_b32_e32 v53, 20, v53
	v_and_b32_e32 v30, 0x80000000, v30
	v_lshl_add_u32 v31, v31, 23, v55
	v_or3_b32 v53, v30, v31, v53
.LBB602_57:
	s_or_b64 exec, exec, s[10:11]
.LBB602_58:
	s_or_b64 exec, exec, s[8:9]
.LBB602_59:
	s_or_b64 exec, exec, s[2:3]
	v_cvt_pkrtz_f16_f32 v30, v44, v43
	v_cvt_pkrtz_f16_f32 v31, v51, v45
	;; [unrolled: 1-line block ×4, first 2 shown]
	v_mov_b32_e32 v52, 0
	s_waitcnt lgkmcnt(0)
	v_mfma_f32_16x16x16f16 v[56:59], v[30:31], v[26:27], 0
	v_mov_b32_e32 v31, 0
	v_cmp_ne_u16_sdwa s[8:9], v32, v31 src0_sel:BYTE_0 src1_sel:DWORD
	v_mfma_f32_16x16x16f16 v[42:45], v[42:43], v[28:29], v[56:59]
	s_and_saveexec_b64 s[2:3], s[8:9]
	s_cbranch_execz .LBB602_65
; %bb.60:
	s_movk_i32 s8, 0x80
	v_cmp_ne_u16_sdwa s[10:11], v32, s8 src0_sel:BYTE_0 src1_sel:DWORD
	v_bfrev_b32_e32 v52, 1
	s_and_saveexec_b64 s[8:9], s[10:11]
	s_cbranch_execz .LBB602_64
; %bb.61:
	s_movk_i32 s10, 0x7f
	v_and_b32_e32 v30, 0x7f, v32
	v_cmp_ne_u32_e32 vcc, s10, v30
	v_mov_b32_e32 v52, 0x7f800001
	s_and_saveexec_b64 s[10:11], vcc
	s_cbranch_execz .LBB602_63
; %bb.62:
	v_and_b32_e32 v51, 7, v32
	v_ffbh_u32_e32 v52, v51
	v_min_u32_e32 v55, 32, v52
	v_subrev_u32_e32 v52, 28, v55
	v_lshlrev_b64 v[52:53], v52, v[32:33]
	v_lshrrev_b32_e32 v54, 3, v30
	v_sub_u32_e32 v53, 29, v55
	v_and_b32_e32 v52, 7, v52
	v_cmp_gt_u32_e32 vcc, 8, v30
	v_cndmask_b32_e32 v30, v54, v53, vcc
	v_cndmask_b32_e32 v51, v51, v52, vcc
	v_lshlrev_b32_e32 v52, 24, v32
	v_bfrev_b32_e32 v53, 60
	v_lshlrev_b32_e32 v51, 20, v51
	v_and_b32_e32 v52, 0x80000000, v52
	v_lshl_add_u32 v30, v30, 23, v53
	v_or3_b32 v52, v52, v30, v51
.LBB602_63:
	s_or_b64 exec, exec, s[10:11]
.LBB602_64:
	s_or_b64 exec, exec, s[8:9]
.LBB602_65:
	s_or_b64 exec, exec, s[2:3]
	v_lshrrev_b16_e32 v30, 8, v32
	v_cmp_ne_u16_e32 vcc, 0, v30
	v_mov_b32_e32 v53, 0
	s_and_saveexec_b64 s[2:3], vcc
	s_cbranch_execz .LBB602_71
; %bb.66:
	s_movk_i32 s8, 0x80
	v_cmp_ne_u16_e32 vcc, s8, v30
	v_bfrev_b32_e32 v53, 1
	s_and_saveexec_b64 s[8:9], vcc
	s_cbranch_execz .LBB602_70
; %bb.67:
	s_movk_i32 s10, 0x7f
	v_and_b32_e32 v51, 0x7f, v30
	v_cmp_ne_u32_e32 vcc, s10, v51
	v_mov_b32_e32 v53, 0x7f800001
	s_and_saveexec_b64 s[10:11], vcc
	s_cbranch_execz .LBB602_69
; %bb.68:
	v_and_b32_e32 v53, 7, v30
	v_ffbh_u32_e32 v54, v53
	v_min_u32_e32 v57, 32, v54
	v_subrev_u32_e32 v54, 28, v57
	v_lshlrev_b64 v[54:55], v54, v[30:31]
	v_lshrrev_b32_e32 v56, 3, v51
	v_sub_u32_e32 v30, 29, v57
	v_and_b32_e32 v54, 7, v54
	v_cmp_gt_u32_e32 vcc, 8, v51
	v_cndmask_b32_e32 v30, v56, v30, vcc
	v_cndmask_b32_e32 v51, v53, v54, vcc
	v_lshlrev_b32_e32 v53, 16, v32
	v_bfrev_b32_e32 v54, 60
	v_lshlrev_b32_e32 v51, 20, v51
	v_and_b32_e32 v53, 0x80000000, v53
	v_lshl_add_u32 v30, v30, 23, v54
	v_or3_b32 v53, v53, v30, v51
.LBB602_69:
	s_or_b64 exec, exec, s[10:11]
.LBB602_70:
	s_or_b64 exec, exec, s[8:9]
.LBB602_71:
	s_or_b64 exec, exec, s[2:3]
	s_movk_i32 s2, 0xff
	v_and_b32_sdwa v51, v32, s2 dst_sel:DWORD dst_unused:UNUSED_PAD src0_sel:WORD_1 src1_sel:DWORD
	v_lshrrev_b32_e32 v30, 16, v32
	v_cmp_ne_u16_e32 vcc, 0, v51
	s_and_saveexec_b64 s[2:3], vcc
	s_cbranch_execz .LBB602_77
; %bb.72:
	s_movk_i32 s8, 0x80
	v_cmp_ne_u16_e32 vcc, s8, v51
	v_bfrev_b32_e32 v31, 1
	s_and_saveexec_b64 s[8:9], vcc
	s_cbranch_execz .LBB602_76
; %bb.73:
	v_bfe_u32 v51, v32, 16, 7
	s_movk_i32 s10, 0x7f
	v_cmp_ne_u32_e32 vcc, s10, v51
	v_mov_b32_e32 v31, 0x7f800001
	s_and_saveexec_b64 s[10:11], vcc
	s_cbranch_execz .LBB602_75
; %bb.74:
	v_and_b32_e32 v54, 7, v30
	v_ffbh_u32_e32 v31, v54
	v_min_u32_e32 v56, 32, v31
	v_subrev_u32_e32 v31, 28, v56
	v_lshlrev_b64 v[30:31], v31, v[30:31]
	v_lshrrev_b32_e32 v55, 3, v51
	v_sub_u32_e32 v31, 29, v56
	v_and_b32_e32 v30, 7, v30
	v_cmp_gt_u32_e32 vcc, 8, v51
	v_mov_b32_e32 v51, 24
	v_cndmask_b32_e32 v31, v55, v31, vcc
	v_cndmask_b32_e32 v30, v54, v30, vcc
	v_lshlrev_b32_sdwa v51, v51, v32 dst_sel:DWORD dst_unused:UNUSED_PAD src0_sel:DWORD src1_sel:WORD_1
	v_bfrev_b32_e32 v54, 60
	v_lshlrev_b32_e32 v30, 20, v30
	v_and_b32_e32 v51, 0x80000000, v51
	v_lshl_add_u32 v31, v31, 23, v54
	v_or3_b32 v31, v51, v31, v30
.LBB602_75:
	s_or_b64 exec, exec, s[10:11]
.LBB602_76:
	s_or_b64 exec, exec, s[8:9]
.LBB602_77:
	s_or_b64 exec, exec, s[2:3]
	s_mov_b32 s2, 0xffffff
	v_cmp_lt_u32_e32 vcc, s2, v32
	v_mov_b32_e32 v54, 0
	v_mov_b32_e32 v55, 0
	s_and_saveexec_b64 s[2:3], vcc
	s_cbranch_execz .LBB602_83
; %bb.78:
	v_lshrrev_b32_e32 v30, 24, v32
	s_movk_i32 s8, 0x80
	v_cmp_ne_u32_e32 vcc, s8, v30
	v_bfrev_b32_e32 v55, 1
	s_and_saveexec_b64 s[8:9], vcc
	s_cbranch_execz .LBB602_82
; %bb.79:
	v_bfe_u32 v32, v32, 24, 7
	s_movk_i32 s10, 0x7f
	v_cmp_ne_u32_e32 vcc, s10, v32
	v_mov_b32_e32 v55, 0x7f800001
	s_and_saveexec_b64 s[10:11], vcc
	s_cbranch_execz .LBB602_81
; %bb.80:
	v_and_b32_e32 v51, 7, v30
	v_ffbh_u32_e32 v56, v51
	v_min_u32_e32 v58, 32, v56
	v_subrev_u32_e32 v56, 28, v58
	v_lshlrev_b64 v[56:57], v56, v[30:31]
	v_lshrrev_b32_e32 v55, 3, v32
	v_sub_u32_e32 v57, 29, v58
	v_and_b32_e32 v56, 7, v56
	v_cmp_gt_u32_e32 vcc, 8, v32
	v_cndmask_b32_e32 v32, v55, v57, vcc
	v_cndmask_b32_e32 v51, v51, v56, vcc
	v_lshlrev_b32_e32 v30, 24, v30
	v_bfrev_b32_e32 v55, 60
	v_lshlrev_b32_e32 v51, 20, v51
	v_and_b32_e32 v30, 0x80000000, v30
	v_lshl_add_u32 v32, v32, 23, v55
	v_or3_b32 v55, v30, v32, v51
.LBB602_81:
	s_or_b64 exec, exec, s[10:11]
.LBB602_82:
	s_or_b64 exec, exec, s[8:9]
.LBB602_83:
	s_or_b64 exec, exec, s[2:3]
	v_cmp_ne_u16_sdwa s[8:9], v33, v54 src0_sel:BYTE_0 src1_sel:DWORD
	s_and_saveexec_b64 s[2:3], s[8:9]
	s_cbranch_execz .LBB602_89
; %bb.84:
	s_movk_i32 s8, 0x80
	v_cmp_ne_u16_sdwa s[10:11], v33, s8 src0_sel:BYTE_0 src1_sel:DWORD
	v_bfrev_b32_e32 v54, 1
	s_and_saveexec_b64 s[8:9], s[10:11]
	s_cbranch_execz .LBB602_88
; %bb.85:
	s_movk_i32 s10, 0x7f
	v_and_b32_e32 v30, 0x7f, v33
	v_cmp_ne_u32_e32 vcc, s10, v30
	v_mov_b32_e32 v54, 0x7f800001
	s_and_saveexec_b64 s[10:11], vcc
	s_cbranch_execz .LBB602_87
; %bb.86:
	v_and_b32_e32 v51, 7, v33
	v_ffbh_u32_e32 v56, v51
	v_min_u32_e32 v58, 32, v56
	v_mov_b32_e32 v32, v33
	v_subrev_u32_e32 v56, 28, v58
	v_lshlrev_b64 v[56:57], v56, v[32:33]
	v_lshrrev_b32_e32 v54, 3, v30
	v_sub_u32_e32 v32, 29, v58
	v_and_b32_e32 v56, 7, v56
	v_cmp_gt_u32_e32 vcc, 8, v30
	v_cndmask_b32_e32 v30, v54, v32, vcc
	v_cndmask_b32_e32 v32, v51, v56, vcc
	v_lshlrev_b32_e32 v51, 24, v33
	v_bfrev_b32_e32 v54, 60
	v_lshlrev_b32_e32 v32, 20, v32
	v_and_b32_e32 v51, 0x80000000, v51
	v_lshl_add_u32 v30, v30, 23, v54
	v_or3_b32 v54, v51, v30, v32
.LBB602_87:
	s_or_b64 exec, exec, s[10:11]
.LBB602_88:
	s_or_b64 exec, exec, s[8:9]
.LBB602_89:
	s_or_b64 exec, exec, s[2:3]
	v_lshrrev_b16_e32 v30, 8, v33
	v_cmp_ne_u16_e32 vcc, 0, v30
	v_mov_b32_e32 v32, 0
	v_mov_b32_e32 v56, 0
	s_and_saveexec_b64 s[2:3], vcc
	s_cbranch_execz .LBB602_95
; %bb.90:
	s_movk_i32 s8, 0x80
	v_cmp_ne_u16_e32 vcc, s8, v30
	v_bfrev_b32_e32 v56, 1
	s_and_saveexec_b64 s[8:9], vcc
	s_cbranch_execz .LBB602_94
; %bb.91:
	s_movk_i32 s10, 0x7f
	v_and_b32_e32 v51, 0x7f, v30
	v_cmp_ne_u32_e32 vcc, s10, v51
	v_mov_b32_e32 v56, 0x7f800001
	s_and_saveexec_b64 s[10:11], vcc
	s_cbranch_execz .LBB602_93
; %bb.92:
	v_and_b32_e32 v58, 7, v30
	v_ffbh_u32_e32 v56, v58
	v_min_u32_e32 v60, 32, v56
	v_subrev_u32_e32 v56, 28, v60
	v_lshlrev_b64 v[56:57], v56, v[30:31]
	v_lshrrev_b32_e32 v59, 3, v51
	v_sub_u32_e32 v30, 29, v60
	v_and_b32_e32 v56, 7, v56
	v_cmp_gt_u32_e32 vcc, 8, v51
	v_cndmask_b32_e32 v30, v59, v30, vcc
	v_cndmask_b32_e32 v51, v58, v56, vcc
	v_lshlrev_b32_e32 v56, 16, v33
	v_bfrev_b32_e32 v57, 60
	v_lshlrev_b32_e32 v51, 20, v51
	v_and_b32_e32 v56, 0x80000000, v56
	v_lshl_add_u32 v30, v30, 23, v57
	v_or3_b32 v56, v56, v30, v51
.LBB602_93:
	s_or_b64 exec, exec, s[10:11]
.LBB602_94:
	s_or_b64 exec, exec, s[8:9]
.LBB602_95:
	s_or_b64 exec, exec, s[2:3]
	s_movk_i32 s2, 0xff
	v_and_b32_sdwa v51, v33, s2 dst_sel:DWORD dst_unused:UNUSED_PAD src0_sel:WORD_1 src1_sel:DWORD
	v_lshrrev_b32_e32 v30, 16, v33
	v_cmp_ne_u16_e32 vcc, 0, v51
	s_and_saveexec_b64 s[2:3], vcc
	s_cbranch_execz .LBB602_101
; %bb.96:
	s_movk_i32 s8, 0x80
	v_cmp_ne_u16_e32 vcc, s8, v51
	v_bfrev_b32_e32 v32, 1
	s_and_saveexec_b64 s[8:9], vcc
	s_cbranch_execz .LBB602_100
; %bb.97:
	v_bfe_u32 v51, v33, 16, 7
	s_movk_i32 s10, 0x7f
	v_cmp_ne_u32_e32 vcc, s10, v51
	v_mov_b32_e32 v32, 0x7f800001
	s_and_saveexec_b64 s[10:11], vcc
	s_cbranch_execz .LBB602_99
; %bb.98:
	v_and_b32_e32 v32, 7, v30
	v_ffbh_u32_e32 v58, v32
	v_min_u32_e32 v60, 32, v58
	v_subrev_u32_e32 v58, 28, v60
	v_lshlrev_b64 v[58:59], v58, v[30:31]
	v_lshrrev_b32_e32 v57, 3, v51
	v_sub_u32_e32 v30, 29, v60
	v_and_b32_e32 v58, 7, v58
	v_cmp_gt_u32_e32 vcc, 8, v51
	v_mov_b32_e32 v51, 24
	v_cndmask_b32_e32 v30, v57, v30, vcc
	v_cndmask_b32_e32 v32, v32, v58, vcc
	v_lshlrev_b32_sdwa v51, v51, v33 dst_sel:DWORD dst_unused:UNUSED_PAD src0_sel:DWORD src1_sel:WORD_1
	v_bfrev_b32_e32 v57, 60
	v_lshlrev_b32_e32 v32, 20, v32
	v_and_b32_e32 v51, 0x80000000, v51
	v_lshl_add_u32 v30, v30, 23, v57
	v_or3_b32 v32, v51, v30, v32
.LBB602_99:
	s_or_b64 exec, exec, s[10:11]
.LBB602_100:
	s_or_b64 exec, exec, s[8:9]
.LBB602_101:
	s_or_b64 exec, exec, s[2:3]
	s_mov_b32 s2, 0xffffff
	v_cmp_lt_u32_e32 vcc, s2, v33
	v_mov_b32_e32 v51, 0
	v_mov_b32_e32 v57, 0
	s_and_saveexec_b64 s[2:3], vcc
	s_cbranch_execz .LBB602_107
; %bb.102:
	v_lshrrev_b32_e32 v30, 24, v33
	s_movk_i32 s8, 0x80
	v_cmp_ne_u32_e32 vcc, s8, v30
	v_bfrev_b32_e32 v57, 1
	s_and_saveexec_b64 s[8:9], vcc
	s_cbranch_execz .LBB602_106
; %bb.103:
	v_bfe_u32 v33, v33, 24, 7
	s_movk_i32 s10, 0x7f
	v_cmp_ne_u32_e32 vcc, s10, v33
	v_mov_b32_e32 v57, 0x7f800001
	s_and_saveexec_b64 s[10:11], vcc
	s_cbranch_execz .LBB602_105
; %bb.104:
	v_and_b32_e32 v57, 7, v30
	v_ffbh_u32_e32 v58, v57
	v_min_u32_e32 v61, 32, v58
	v_subrev_u32_e32 v58, 28, v61
	v_lshlrev_b64 v[58:59], v58, v[30:31]
	v_lshrrev_b32_e32 v60, 3, v33
	v_sub_u32_e32 v59, 29, v61
	v_and_b32_e32 v58, 7, v58
	v_cmp_gt_u32_e32 vcc, 8, v33
	v_cndmask_b32_e32 v33, v60, v59, vcc
	v_cndmask_b32_e32 v57, v57, v58, vcc
	v_lshlrev_b32_e32 v30, 24, v30
	v_bfrev_b32_e32 v58, 60
	v_lshlrev_b32_e32 v57, 20, v57
	v_and_b32_e32 v30, 0x80000000, v30
	v_lshl_add_u32 v33, v33, 23, v58
	v_or3_b32 v57, v30, v33, v57
.LBB602_105:
	s_or_b64 exec, exec, s[10:11]
.LBB602_106:
	s_or_b64 exec, exec, s[8:9]
.LBB602_107:
	s_or_b64 exec, exec, s[2:3]
	v_cvt_pkrtz_f16_f32 v30, v52, v53
	v_cvt_pkrtz_f16_f32 v31, v31, v55
	s_waitcnt vmcnt(6)
	v_cmp_ne_u16_sdwa s[8:9], v38, v51 src0_sel:BYTE_0 src1_sel:DWORD
	v_mfma_f32_16x16x16f16 v[42:45], v[30:31], v[18:19], v[42:45]
	v_cvt_pkrtz_f16_f32 v30, v54, v56
	v_cvt_pkrtz_f16_f32 v31, v32, v57
	s_nop 1
	v_mfma_f32_16x16x16f16 v[30:33], v[30:31], v[20:21], v[42:45]
	s_and_saveexec_b64 s[2:3], s[8:9]
	s_cbranch_execz .LBB602_113
; %bb.108:
	s_movk_i32 s8, 0x80
	v_cmp_ne_u16_sdwa s[10:11], v38, s8 src0_sel:BYTE_0 src1_sel:DWORD
	v_bfrev_b32_e32 v51, 1
	s_and_saveexec_b64 s[8:9], s[10:11]
	s_cbranch_execz .LBB602_112
; %bb.109:
	s_movk_i32 s10, 0x7f
	v_and_b32_e32 v42, 0x7f, v38
	v_cmp_ne_u32_e32 vcc, s10, v42
	v_mov_b32_e32 v51, 0x7f800001
	s_and_saveexec_b64 s[10:11], vcc
	s_cbranch_execz .LBB602_111
; %bb.110:
	v_and_b32_e32 v43, 7, v38
	v_ffbh_u32_e32 v44, v43
	v_min_u32_e32 v52, 32, v44
	v_subrev_u32_e32 v44, 28, v52
	v_lshlrev_b64 v[44:45], v44, v[38:39]
	v_lshrrev_b32_e32 v51, 3, v42
	v_sub_u32_e32 v45, 29, v52
	v_and_b32_e32 v44, 7, v44
	v_cmp_gt_u32_e32 vcc, 8, v42
	v_cndmask_b32_e32 v42, v51, v45, vcc
	v_cndmask_b32_e32 v43, v43, v44, vcc
	v_lshlrev_b32_e32 v44, 24, v38
	v_bfrev_b32_e32 v45, 60
	v_lshlrev_b32_e32 v43, 20, v43
	v_and_b32_e32 v44, 0x80000000, v44
	v_lshl_add_u32 v42, v42, 23, v45
	v_or3_b32 v51, v44, v42, v43
.LBB602_111:
	s_or_b64 exec, exec, s[10:11]
.LBB602_112:
	s_or_b64 exec, exec, s[8:9]
.LBB602_113:
	s_or_b64 exec, exec, s[2:3]
	s_nop 3
	v_lshrrev_b16_e32 v42, 8, v38
	v_cmp_ne_u16_e32 vcc, 0, v42
	v_mov_b32_e32 v43, 0
	v_mov_b32_e32 v44, 0
	s_and_saveexec_b64 s[2:3], vcc
	s_cbranch_execz .LBB602_119
; %bb.114:
	s_movk_i32 s8, 0x80
	v_cmp_ne_u16_e32 vcc, s8, v42
	v_bfrev_b32_e32 v44, 1
	s_and_saveexec_b64 s[8:9], vcc
	s_cbranch_execz .LBB602_118
; %bb.115:
	s_movk_i32 s10, 0x7f
	v_and_b32_e32 v45, 0x7f, v42
	v_cmp_ne_u32_e32 vcc, s10, v45
	v_mov_b32_e32 v44, 0x7f800001
	s_and_saveexec_b64 s[10:11], vcc
	s_cbranch_execz .LBB602_117
; %bb.116:
	v_and_b32_e32 v44, 7, v42
	v_ffbh_u32_e32 v52, v44
	v_min_u32_e32 v55, 32, v52
	v_subrev_u32_e32 v52, 28, v55
	v_lshlrev_b64 v[52:53], v52, v[42:43]
	v_lshrrev_b32_e32 v54, 3, v45
	v_sub_u32_e32 v42, 29, v55
	v_and_b32_e32 v52, 7, v52
	v_cmp_gt_u32_e32 vcc, 8, v45
	v_cndmask_b32_e32 v42, v54, v42, vcc
	v_cndmask_b32_e32 v44, v44, v52, vcc
	v_lshlrev_b32_e32 v45, 16, v38
	v_bfrev_b32_e32 v52, 60
	v_lshlrev_b32_e32 v44, 20, v44
	v_and_b32_e32 v45, 0x80000000, v45
	v_lshl_add_u32 v42, v42, 23, v52
	v_or3_b32 v44, v45, v42, v44
.LBB602_117:
	s_or_b64 exec, exec, s[10:11]
.LBB602_118:
	s_or_b64 exec, exec, s[8:9]
.LBB602_119:
	s_or_b64 exec, exec, s[2:3]
	s_movk_i32 s2, 0xff
	v_and_b32_sdwa v45, v38, s2 dst_sel:DWORD dst_unused:UNUSED_PAD src0_sel:WORD_1 src1_sel:DWORD
	v_lshrrev_b32_e32 v42, 16, v38
	v_cmp_ne_u16_e32 vcc, 0, v45
	s_and_saveexec_b64 s[2:3], vcc
	s_cbranch_execz .LBB602_125
; %bb.120:
	s_movk_i32 s8, 0x80
	v_cmp_ne_u16_e32 vcc, s8, v45
	v_bfrev_b32_e32 v43, 1
	s_and_saveexec_b64 s[8:9], vcc
	s_cbranch_execz .LBB602_124
; %bb.121:
	v_bfe_u32 v45, v38, 16, 7
	s_movk_i32 s10, 0x7f
	v_cmp_ne_u32_e32 vcc, s10, v45
	v_mov_b32_e32 v43, 0x7f800001
	s_and_saveexec_b64 s[10:11], vcc
	s_cbranch_execz .LBB602_123
; %bb.122:
	v_and_b32_e32 v52, 7, v42
	v_ffbh_u32_e32 v43, v52
	v_min_u32_e32 v54, 32, v43
	v_subrev_u32_e32 v43, 28, v54
	v_lshlrev_b64 v[42:43], v43, v[42:43]
	v_lshrrev_b32_e32 v53, 3, v45
	v_sub_u32_e32 v43, 29, v54
	v_and_b32_e32 v42, 7, v42
	v_cmp_gt_u32_e32 vcc, 8, v45
	v_mov_b32_e32 v45, 24
	v_cndmask_b32_e32 v43, v53, v43, vcc
	v_cndmask_b32_e32 v42, v52, v42, vcc
	v_lshlrev_b32_sdwa v45, v45, v38 dst_sel:DWORD dst_unused:UNUSED_PAD src0_sel:DWORD src1_sel:WORD_1
	v_bfrev_b32_e32 v52, 60
	v_lshlrev_b32_e32 v42, 20, v42
	v_and_b32_e32 v45, 0x80000000, v45
	v_lshl_add_u32 v43, v43, 23, v52
	v_or3_b32 v43, v45, v43, v42
.LBB602_123:
	s_or_b64 exec, exec, s[10:11]
.LBB602_124:
	s_or_b64 exec, exec, s[8:9]
.LBB602_125:
	s_or_b64 exec, exec, s[2:3]
	s_mov_b32 s2, 0xffffff
	v_cmp_lt_u32_e32 vcc, s2, v38
	v_mov_b32_e32 v45, 0
	v_mov_b32_e32 v53, 0
	s_and_saveexec_b64 s[2:3], vcc
	s_cbranch_execz .LBB602_131
; %bb.126:
	v_lshrrev_b32_e32 v42, 24, v38
	s_movk_i32 s8, 0x80
	v_cmp_ne_u32_e32 vcc, s8, v42
	v_bfrev_b32_e32 v53, 1
	s_and_saveexec_b64 s[8:9], vcc
	s_cbranch_execz .LBB602_130
; %bb.127:
	v_bfe_u32 v38, v38, 24, 7
	s_movk_i32 s10, 0x7f
	v_cmp_ne_u32_e32 vcc, s10, v38
	v_mov_b32_e32 v53, 0x7f800001
	s_and_saveexec_b64 s[10:11], vcc
	s_cbranch_execz .LBB602_129
; %bb.128:
	v_and_b32_e32 v54, 7, v42
	v_ffbh_u32_e32 v52, v54
	v_min_u32_e32 v56, 32, v52
	v_subrev_u32_e32 v52, 28, v56
	v_lshlrev_b64 v[52:53], v52, v[42:43]
	v_lshrrev_b32_e32 v55, 3, v38
	v_sub_u32_e32 v53, 29, v56
	v_and_b32_e32 v52, 7, v52
	v_cmp_gt_u32_e32 vcc, 8, v38
	v_cndmask_b32_e32 v38, v55, v53, vcc
	v_cndmask_b32_e32 v52, v54, v52, vcc
	v_lshlrev_b32_e32 v42, 24, v42
	v_bfrev_b32_e32 v53, 60
	v_lshlrev_b32_e32 v52, 20, v52
	v_and_b32_e32 v42, 0x80000000, v42
	v_lshl_add_u32 v38, v38, 23, v53
	v_or3_b32 v53, v42, v38, v52
.LBB602_129:
	s_or_b64 exec, exec, s[10:11]
.LBB602_130:
	s_or_b64 exec, exec, s[8:9]
.LBB602_131:
	s_or_b64 exec, exec, s[2:3]
	v_cmp_ne_u16_sdwa s[8:9], v39, v45 src0_sel:BYTE_0 src1_sel:DWORD
	s_and_saveexec_b64 s[2:3], s[8:9]
	s_cbranch_execz .LBB602_137
; %bb.132:
	s_movk_i32 s8, 0x80
	v_cmp_ne_u16_sdwa s[10:11], v39, s8 src0_sel:BYTE_0 src1_sel:DWORD
	v_bfrev_b32_e32 v45, 1
	s_and_saveexec_b64 s[8:9], s[10:11]
	s_cbranch_execz .LBB602_136
; %bb.133:
	s_movk_i32 s10, 0x7f
	v_and_b32_e32 v38, 0x7f, v39
	v_cmp_ne_u32_e32 vcc, s10, v38
	v_mov_b32_e32 v45, 0x7f800001
	s_and_saveexec_b64 s[10:11], vcc
	s_cbranch_execz .LBB602_135
; %bb.134:
	v_and_b32_e32 v45, 7, v39
	v_ffbh_u32_e32 v54, v45
	v_min_u32_e32 v56, 32, v54
	v_mov_b32_e32 v42, v39
	v_subrev_u32_e32 v54, 28, v56
	v_lshlrev_b64 v[54:55], v54, v[42:43]
	v_lshrrev_b32_e32 v52, 3, v38
	v_sub_u32_e32 v42, 29, v56
	v_and_b32_e32 v54, 7, v54
	v_cmp_gt_u32_e32 vcc, 8, v38
	v_cndmask_b32_e32 v38, v52, v42, vcc
	v_cndmask_b32_e32 v42, v45, v54, vcc
	v_lshlrev_b32_e32 v45, 24, v39
	v_bfrev_b32_e32 v52, 60
	v_lshlrev_b32_e32 v42, 20, v42
	v_and_b32_e32 v45, 0x80000000, v45
	v_lshl_add_u32 v38, v38, 23, v52
	v_or3_b32 v45, v45, v38, v42
.LBB602_135:
	s_or_b64 exec, exec, s[10:11]
.LBB602_136:
	s_or_b64 exec, exec, s[8:9]
.LBB602_137:
	s_or_b64 exec, exec, s[2:3]
	v_lshrrev_b16_e32 v38, 8, v39
	v_cmp_ne_u16_e32 vcc, 0, v38
	v_mov_b32_e32 v42, 0
	v_mov_b32_e32 v54, 0
	s_and_saveexec_b64 s[2:3], vcc
	s_cbranch_execz .LBB602_143
; %bb.138:
	s_movk_i32 s8, 0x80
	v_cmp_ne_u16_e32 vcc, s8, v38
	v_bfrev_b32_e32 v54, 1
	s_and_saveexec_b64 s[8:9], vcc
	s_cbranch_execz .LBB602_142
; %bb.139:
	s_movk_i32 s10, 0x7f
	v_and_b32_e32 v52, 0x7f, v38
	v_cmp_ne_u32_e32 vcc, s10, v52
	v_mov_b32_e32 v54, 0x7f800001
	s_and_saveexec_b64 s[10:11], vcc
	s_cbranch_execz .LBB602_141
; %bb.140:
	v_and_b32_e32 v56, 7, v38
	v_ffbh_u32_e32 v54, v56
	v_min_u32_e32 v58, 32, v54
	v_subrev_u32_e32 v54, 28, v58
	v_lshlrev_b64 v[54:55], v54, v[38:39]
	v_lshrrev_b32_e32 v57, 3, v52
	v_sub_u32_e32 v38, 29, v58
	v_and_b32_e32 v54, 7, v54
	v_cmp_gt_u32_e32 vcc, 8, v52
	v_cndmask_b32_e32 v38, v57, v38, vcc
	v_cndmask_b32_e32 v52, v56, v54, vcc
	v_lshlrev_b32_e32 v54, 16, v39
	v_bfrev_b32_e32 v55, 60
	v_lshlrev_b32_e32 v52, 20, v52
	v_and_b32_e32 v54, 0x80000000, v54
	v_lshl_add_u32 v38, v38, 23, v55
	v_or3_b32 v54, v54, v38, v52
.LBB602_141:
	s_or_b64 exec, exec, s[10:11]
.LBB602_142:
	s_or_b64 exec, exec, s[8:9]
.LBB602_143:
	s_or_b64 exec, exec, s[2:3]
	s_movk_i32 s2, 0xff
	v_and_b32_sdwa v52, v39, s2 dst_sel:DWORD dst_unused:UNUSED_PAD src0_sel:WORD_1 src1_sel:DWORD
	v_lshrrev_b32_e32 v38, 16, v39
	v_cmp_ne_u16_e32 vcc, 0, v52
	s_and_saveexec_b64 s[2:3], vcc
	s_cbranch_execz .LBB602_149
; %bb.144:
	s_movk_i32 s8, 0x80
	v_cmp_ne_u16_e32 vcc, s8, v52
	v_bfrev_b32_e32 v42, 1
	s_and_saveexec_b64 s[8:9], vcc
	s_cbranch_execz .LBB602_148
; %bb.145:
	v_bfe_u32 v52, v39, 16, 7
	s_movk_i32 s10, 0x7f
	v_cmp_ne_u32_e32 vcc, s10, v52
	v_mov_b32_e32 v42, 0x7f800001
	s_and_saveexec_b64 s[10:11], vcc
	s_cbranch_execz .LBB602_147
; %bb.146:
	v_and_b32_e32 v42, 7, v38
	v_ffbh_u32_e32 v56, v42
	v_min_u32_e32 v58, 32, v56
	v_subrev_u32_e32 v56, 28, v58
	v_lshlrev_b64 v[56:57], v56, v[38:39]
	v_lshrrev_b32_e32 v55, 3, v52
	v_sub_u32_e32 v38, 29, v58
	v_and_b32_e32 v56, 7, v56
	v_cmp_gt_u32_e32 vcc, 8, v52
	v_mov_b32_e32 v52, 24
	v_cndmask_b32_e32 v38, v55, v38, vcc
	v_cndmask_b32_e32 v42, v42, v56, vcc
	v_lshlrev_b32_sdwa v52, v52, v39 dst_sel:DWORD dst_unused:UNUSED_PAD src0_sel:DWORD src1_sel:WORD_1
	v_bfrev_b32_e32 v55, 60
	v_lshlrev_b32_e32 v42, 20, v42
	v_and_b32_e32 v52, 0x80000000, v52
	v_lshl_add_u32 v38, v38, 23, v55
	v_or3_b32 v42, v52, v38, v42
.LBB602_147:
	s_or_b64 exec, exec, s[10:11]
.LBB602_148:
	s_or_b64 exec, exec, s[8:9]
.LBB602_149:
	s_or_b64 exec, exec, s[2:3]
	s_mov_b32 s2, 0xffffff
	v_cmp_lt_u32_e32 vcc, s2, v39
	v_mov_b32_e32 v52, 0
	v_mov_b32_e32 v55, 0
	s_and_saveexec_b64 s[2:3], vcc
	s_cbranch_execz .LBB602_155
; %bb.150:
	v_lshrrev_b32_e32 v38, 24, v39
	s_movk_i32 s8, 0x80
	v_cmp_ne_u32_e32 vcc, s8, v38
	v_bfrev_b32_e32 v55, 1
	s_and_saveexec_b64 s[8:9], vcc
	s_cbranch_execz .LBB602_154
; %bb.151:
	v_bfe_u32 v39, v39, 24, 7
	s_movk_i32 s10, 0x7f
	v_cmp_ne_u32_e32 vcc, s10, v39
	v_mov_b32_e32 v55, 0x7f800001
	s_and_saveexec_b64 s[10:11], vcc
	s_cbranch_execz .LBB602_153
; %bb.152:
	v_and_b32_e32 v55, 7, v38
	v_ffbh_u32_e32 v56, v55
	v_min_u32_e32 v59, 32, v56
	v_subrev_u32_e32 v56, 28, v59
	v_lshlrev_b64 v[56:57], v56, v[38:39]
	v_lshrrev_b32_e32 v58, 3, v39
	v_sub_u32_e32 v57, 29, v59
	v_and_b32_e32 v56, 7, v56
	v_cmp_gt_u32_e32 vcc, 8, v39
	v_cndmask_b32_e32 v39, v58, v57, vcc
	v_cndmask_b32_e32 v55, v55, v56, vcc
	v_lshlrev_b32_e32 v38, 24, v38
	v_bfrev_b32_e32 v56, 60
	v_lshlrev_b32_e32 v55, 20, v55
	v_and_b32_e32 v38, 0x80000000, v38
	v_lshl_add_u32 v39, v39, 23, v56
	v_or3_b32 v55, v38, v39, v55
.LBB602_153:
	s_or_b64 exec, exec, s[10:11]
.LBB602_154:
	s_or_b64 exec, exec, s[8:9]
.LBB602_155:
	s_or_b64 exec, exec, s[2:3]
	v_cvt_pkrtz_f16_f32 v38, v51, v44
	v_cvt_pkrtz_f16_f32 v39, v43, v53
	v_cmp_ne_u16_sdwa s[8:9], v40, v52 src0_sel:BYTE_0 src1_sel:DWORD
	s_nop 0
	v_mfma_f32_16x16x16f16 v[56:59], v[38:39], v[26:27], 0
	v_cvt_pkrtz_f16_f32 v38, v45, v54
	v_cvt_pkrtz_f16_f32 v39, v42, v55
	s_nop 1
	v_mfma_f32_16x16x16f16 v[42:45], v[38:39], v[28:29], v[56:59]
	s_and_saveexec_b64 s[2:3], s[8:9]
	s_cbranch_execz .LBB602_161
; %bb.156:
	s_movk_i32 s8, 0x80
	v_cmp_ne_u16_sdwa s[10:11], v40, s8 src0_sel:BYTE_0 src1_sel:DWORD
	v_bfrev_b32_e32 v52, 1
	s_and_saveexec_b64 s[8:9], s[10:11]
	s_cbranch_execz .LBB602_160
; %bb.157:
	s_movk_i32 s10, 0x7f
	v_and_b32_e32 v38, 0x7f, v40
	v_cmp_ne_u32_e32 vcc, s10, v38
	v_mov_b32_e32 v52, 0x7f800001
	s_and_saveexec_b64 s[10:11], vcc
	s_cbranch_execz .LBB602_159
; %bb.158:
	v_and_b32_e32 v39, 7, v40
	v_ffbh_u32_e32 v52, v39
	v_min_u32_e32 v54, 32, v52
	v_subrev_u32_e32 v52, 28, v54
	v_lshlrev_b64 v[52:53], v52, v[40:41]
	v_lshrrev_b32_e32 v51, 3, v38
	v_sub_u32_e32 v53, 29, v54
	v_and_b32_e32 v52, 7, v52
	v_cmp_gt_u32_e32 vcc, 8, v38
	v_cndmask_b32_e32 v38, v51, v53, vcc
	v_cndmask_b32_e32 v39, v39, v52, vcc
	v_lshlrev_b32_e32 v51, 24, v40
	v_bfrev_b32_e32 v52, 60
	v_lshlrev_b32_e32 v39, 20, v39
	v_and_b32_e32 v51, 0x80000000, v51
	v_lshl_add_u32 v38, v38, 23, v52
	v_or3_b32 v52, v51, v38, v39
.LBB602_159:
	s_or_b64 exec, exec, s[10:11]
.LBB602_160:
	s_or_b64 exec, exec, s[8:9]
.LBB602_161:
	s_or_b64 exec, exec, s[2:3]
	v_lshrrev_b16_e32 v38, 8, v40
	v_cmp_ne_u16_e32 vcc, 0, v38
	v_mov_b32_e32 v39, 0
	v_mov_b32_e32 v53, 0
	s_and_saveexec_b64 s[2:3], vcc
	s_cbranch_execz .LBB602_167
; %bb.162:
	s_movk_i32 s8, 0x80
	v_cmp_ne_u16_e32 vcc, s8, v38
	v_bfrev_b32_e32 v53, 1
	s_and_saveexec_b64 s[8:9], vcc
	s_cbranch_execz .LBB602_166
; %bb.163:
	s_movk_i32 s10, 0x7f
	v_and_b32_e32 v51, 0x7f, v38
	v_cmp_ne_u32_e32 vcc, s10, v51
	v_mov_b32_e32 v53, 0x7f800001
	s_and_saveexec_b64 s[10:11], vcc
	s_cbranch_execz .LBB602_165
; %bb.164:
	v_and_b32_e32 v53, 7, v38
	v_ffbh_u32_e32 v54, v53
	v_min_u32_e32 v57, 32, v54
	v_subrev_u32_e32 v54, 28, v57
	v_lshlrev_b64 v[54:55], v54, v[38:39]
	v_lshrrev_b32_e32 v56, 3, v51
	v_sub_u32_e32 v38, 29, v57
	v_and_b32_e32 v54, 7, v54
	v_cmp_gt_u32_e32 vcc, 8, v51
	v_cndmask_b32_e32 v38, v56, v38, vcc
	v_cndmask_b32_e32 v51, v53, v54, vcc
	v_lshlrev_b32_e32 v53, 16, v40
	v_bfrev_b32_e32 v54, 60
	v_lshlrev_b32_e32 v51, 20, v51
	v_and_b32_e32 v53, 0x80000000, v53
	v_lshl_add_u32 v38, v38, 23, v54
	v_or3_b32 v53, v53, v38, v51
.LBB602_165:
	s_or_b64 exec, exec, s[10:11]
.LBB602_166:
	s_or_b64 exec, exec, s[8:9]
.LBB602_167:
	s_or_b64 exec, exec, s[2:3]
	s_movk_i32 s2, 0xff
	v_and_b32_sdwa v51, v40, s2 dst_sel:DWORD dst_unused:UNUSED_PAD src0_sel:WORD_1 src1_sel:DWORD
	v_lshrrev_b32_e32 v38, 16, v40
	v_cmp_ne_u16_e32 vcc, 0, v51
	s_and_saveexec_b64 s[2:3], vcc
	s_cbranch_execz .LBB602_173
; %bb.168:
	s_movk_i32 s8, 0x80
	v_cmp_ne_u16_e32 vcc, s8, v51
	v_bfrev_b32_e32 v39, 1
	s_and_saveexec_b64 s[8:9], vcc
	s_cbranch_execz .LBB602_172
; %bb.169:
	v_bfe_u32 v51, v40, 16, 7
	s_movk_i32 s10, 0x7f
	v_cmp_ne_u32_e32 vcc, s10, v51
	v_mov_b32_e32 v39, 0x7f800001
	s_and_saveexec_b64 s[10:11], vcc
	s_cbranch_execz .LBB602_171
; %bb.170:
	v_and_b32_e32 v54, 7, v38
	v_ffbh_u32_e32 v39, v54
	v_min_u32_e32 v56, 32, v39
	v_subrev_u32_e32 v39, 28, v56
	v_lshlrev_b64 v[38:39], v39, v[38:39]
	v_lshrrev_b32_e32 v55, 3, v51
	v_sub_u32_e32 v39, 29, v56
	v_and_b32_e32 v38, 7, v38
	v_cmp_gt_u32_e32 vcc, 8, v51
	v_mov_b32_e32 v51, 24
	v_cndmask_b32_e32 v39, v55, v39, vcc
	v_cndmask_b32_e32 v38, v54, v38, vcc
	v_lshlrev_b32_sdwa v51, v51, v40 dst_sel:DWORD dst_unused:UNUSED_PAD src0_sel:DWORD src1_sel:WORD_1
	v_bfrev_b32_e32 v54, 60
	v_lshlrev_b32_e32 v38, 20, v38
	v_and_b32_e32 v51, 0x80000000, v51
	v_lshl_add_u32 v39, v39, 23, v54
	v_or3_b32 v39, v51, v39, v38
.LBB602_171:
	s_or_b64 exec, exec, s[10:11]
.LBB602_172:
	s_or_b64 exec, exec, s[8:9]
.LBB602_173:
	s_or_b64 exec, exec, s[2:3]
	s_mov_b32 s2, 0xffffff
	v_cmp_lt_u32_e32 vcc, s2, v40
	v_mov_b32_e32 v54, 0
	v_mov_b32_e32 v55, 0
	s_and_saveexec_b64 s[2:3], vcc
	s_cbranch_execz .LBB602_179
; %bb.174:
	v_lshrrev_b32_e32 v38, 24, v40
	s_movk_i32 s8, 0x80
	v_cmp_ne_u32_e32 vcc, s8, v38
	v_bfrev_b32_e32 v55, 1
	s_and_saveexec_b64 s[8:9], vcc
	s_cbranch_execz .LBB602_178
; %bb.175:
	v_bfe_u32 v40, v40, 24, 7
	s_movk_i32 s10, 0x7f
	v_cmp_ne_u32_e32 vcc, s10, v40
	v_mov_b32_e32 v55, 0x7f800001
	s_and_saveexec_b64 s[10:11], vcc
	s_cbranch_execz .LBB602_177
; %bb.176:
	v_and_b32_e32 v51, 7, v38
	v_ffbh_u32_e32 v56, v51
	v_min_u32_e32 v58, 32, v56
	v_subrev_u32_e32 v56, 28, v58
	v_lshlrev_b64 v[56:57], v56, v[38:39]
	v_lshrrev_b32_e32 v55, 3, v40
	v_sub_u32_e32 v57, 29, v58
	v_and_b32_e32 v56, 7, v56
	v_cmp_gt_u32_e32 vcc, 8, v40
	v_cndmask_b32_e32 v40, v55, v57, vcc
	v_cndmask_b32_e32 v51, v51, v56, vcc
	v_lshlrev_b32_e32 v38, 24, v38
	v_bfrev_b32_e32 v55, 60
	v_lshlrev_b32_e32 v51, 20, v51
	v_and_b32_e32 v38, 0x80000000, v38
	v_lshl_add_u32 v40, v40, 23, v55
	v_or3_b32 v55, v38, v40, v51
.LBB602_177:
	s_or_b64 exec, exec, s[10:11]
.LBB602_178:
	s_or_b64 exec, exec, s[8:9]
.LBB602_179:
	s_or_b64 exec, exec, s[2:3]
	v_cmp_ne_u16_sdwa s[8:9], v41, v54 src0_sel:BYTE_0 src1_sel:DWORD
	s_and_saveexec_b64 s[2:3], s[8:9]
	s_cbranch_execz .LBB602_185
; %bb.180:
	s_movk_i32 s8, 0x80
	v_cmp_ne_u16_sdwa s[10:11], v41, s8 src0_sel:BYTE_0 src1_sel:DWORD
	v_bfrev_b32_e32 v54, 1
	s_and_saveexec_b64 s[8:9], s[10:11]
	s_cbranch_execz .LBB602_184
; %bb.181:
	s_movk_i32 s10, 0x7f
	v_and_b32_e32 v38, 0x7f, v41
	v_cmp_ne_u32_e32 vcc, s10, v38
	v_mov_b32_e32 v54, 0x7f800001
	s_and_saveexec_b64 s[10:11], vcc
	s_cbranch_execz .LBB602_183
; %bb.182:
	v_and_b32_e32 v51, 7, v41
	v_ffbh_u32_e32 v56, v51
	v_min_u32_e32 v58, 32, v56
	v_mov_b32_e32 v40, v41
	v_subrev_u32_e32 v56, 28, v58
	v_lshlrev_b64 v[56:57], v56, v[40:41]
	v_lshrrev_b32_e32 v54, 3, v38
	v_sub_u32_e32 v40, 29, v58
	v_and_b32_e32 v56, 7, v56
	v_cmp_gt_u32_e32 vcc, 8, v38
	v_cndmask_b32_e32 v38, v54, v40, vcc
	v_cndmask_b32_e32 v40, v51, v56, vcc
	v_lshlrev_b32_e32 v51, 24, v41
	v_bfrev_b32_e32 v54, 60
	v_lshlrev_b32_e32 v40, 20, v40
	v_and_b32_e32 v51, 0x80000000, v51
	v_lshl_add_u32 v38, v38, 23, v54
	v_or3_b32 v54, v51, v38, v40
.LBB602_183:
	s_or_b64 exec, exec, s[10:11]
.LBB602_184:
	s_or_b64 exec, exec, s[8:9]
.LBB602_185:
	s_or_b64 exec, exec, s[2:3]
	v_lshrrev_b16_e32 v38, 8, v41
	v_cmp_ne_u16_e32 vcc, 0, v38
	v_mov_b32_e32 v40, 0
	v_mov_b32_e32 v56, 0
	s_and_saveexec_b64 s[2:3], vcc
	s_cbranch_execz .LBB602_191
; %bb.186:
	s_movk_i32 s8, 0x80
	v_cmp_ne_u16_e32 vcc, s8, v38
	v_bfrev_b32_e32 v56, 1
	s_and_saveexec_b64 s[8:9], vcc
	s_cbranch_execz .LBB602_190
; %bb.187:
	s_movk_i32 s10, 0x7f
	v_and_b32_e32 v51, 0x7f, v38
	v_cmp_ne_u32_e32 vcc, s10, v51
	v_mov_b32_e32 v56, 0x7f800001
	s_and_saveexec_b64 s[10:11], vcc
	s_cbranch_execz .LBB602_189
; %bb.188:
	v_and_b32_e32 v58, 7, v38
	v_ffbh_u32_e32 v56, v58
	v_min_u32_e32 v60, 32, v56
	v_subrev_u32_e32 v56, 28, v60
	v_lshlrev_b64 v[56:57], v56, v[38:39]
	v_lshrrev_b32_e32 v59, 3, v51
	v_sub_u32_e32 v38, 29, v60
	v_and_b32_e32 v56, 7, v56
	v_cmp_gt_u32_e32 vcc, 8, v51
	v_cndmask_b32_e32 v38, v59, v38, vcc
	v_cndmask_b32_e32 v51, v58, v56, vcc
	v_lshlrev_b32_e32 v56, 16, v41
	v_bfrev_b32_e32 v57, 60
	v_lshlrev_b32_e32 v51, 20, v51
	v_and_b32_e32 v56, 0x80000000, v56
	v_lshl_add_u32 v38, v38, 23, v57
	v_or3_b32 v56, v56, v38, v51
.LBB602_189:
	s_or_b64 exec, exec, s[10:11]
.LBB602_190:
	s_or_b64 exec, exec, s[8:9]
.LBB602_191:
	s_or_b64 exec, exec, s[2:3]
	s_movk_i32 s2, 0xff
	v_and_b32_sdwa v51, v41, s2 dst_sel:DWORD dst_unused:UNUSED_PAD src0_sel:WORD_1 src1_sel:DWORD
	v_lshrrev_b32_e32 v38, 16, v41
	v_cmp_ne_u16_e32 vcc, 0, v51
	s_and_saveexec_b64 s[2:3], vcc
	s_cbranch_execz .LBB602_197
; %bb.192:
	s_movk_i32 s8, 0x80
	v_cmp_ne_u16_e32 vcc, s8, v51
	v_bfrev_b32_e32 v40, 1
	s_and_saveexec_b64 s[8:9], vcc
	s_cbranch_execz .LBB602_196
; %bb.193:
	v_bfe_u32 v51, v41, 16, 7
	s_movk_i32 s10, 0x7f
	v_cmp_ne_u32_e32 vcc, s10, v51
	v_mov_b32_e32 v40, 0x7f800001
	s_and_saveexec_b64 s[10:11], vcc
	s_cbranch_execz .LBB602_195
; %bb.194:
	v_and_b32_e32 v40, 7, v38
	v_ffbh_u32_e32 v58, v40
	v_min_u32_e32 v60, 32, v58
	v_subrev_u32_e32 v58, 28, v60
	v_lshlrev_b64 v[58:59], v58, v[38:39]
	v_lshrrev_b32_e32 v57, 3, v51
	v_sub_u32_e32 v38, 29, v60
	v_and_b32_e32 v58, 7, v58
	v_cmp_gt_u32_e32 vcc, 8, v51
	v_mov_b32_e32 v51, 24
	v_cndmask_b32_e32 v38, v57, v38, vcc
	v_cndmask_b32_e32 v40, v40, v58, vcc
	v_lshlrev_b32_sdwa v51, v51, v41 dst_sel:DWORD dst_unused:UNUSED_PAD src0_sel:DWORD src1_sel:WORD_1
	v_bfrev_b32_e32 v57, 60
	v_lshlrev_b32_e32 v40, 20, v40
	v_and_b32_e32 v51, 0x80000000, v51
	v_lshl_add_u32 v38, v38, 23, v57
	v_or3_b32 v40, v51, v38, v40
.LBB602_195:
	s_or_b64 exec, exec, s[10:11]
.LBB602_196:
	s_or_b64 exec, exec, s[8:9]
.LBB602_197:
	s_or_b64 exec, exec, s[2:3]
	s_mov_b32 s2, 0xffffff
	v_cmp_lt_u32_e32 vcc, s2, v41
	v_mov_b32_e32 v51, 0
	v_mov_b32_e32 v57, 0
	s_and_saveexec_b64 s[2:3], vcc
	s_cbranch_execz .LBB602_203
; %bb.198:
	v_lshrrev_b32_e32 v38, 24, v41
	s_movk_i32 s8, 0x80
	v_cmp_ne_u32_e32 vcc, s8, v38
	v_bfrev_b32_e32 v57, 1
	s_and_saveexec_b64 s[8:9], vcc
	s_cbranch_execz .LBB602_202
; %bb.199:
	v_bfe_u32 v41, v41, 24, 7
	s_movk_i32 s10, 0x7f
	v_cmp_ne_u32_e32 vcc, s10, v41
	v_mov_b32_e32 v57, 0x7f800001
	s_and_saveexec_b64 s[10:11], vcc
	s_cbranch_execz .LBB602_201
; %bb.200:
	v_and_b32_e32 v57, 7, v38
	v_ffbh_u32_e32 v58, v57
	v_min_u32_e32 v61, 32, v58
	v_subrev_u32_e32 v58, 28, v61
	v_lshlrev_b64 v[58:59], v58, v[38:39]
	v_lshrrev_b32_e32 v60, 3, v41
	v_sub_u32_e32 v59, 29, v61
	v_and_b32_e32 v58, 7, v58
	v_cmp_gt_u32_e32 vcc, 8, v41
	v_cndmask_b32_e32 v41, v60, v59, vcc
	v_cndmask_b32_e32 v57, v57, v58, vcc
	v_lshlrev_b32_e32 v38, 24, v38
	v_bfrev_b32_e32 v58, 60
	v_lshlrev_b32_e32 v57, 20, v57
	v_and_b32_e32 v38, 0x80000000, v38
	v_lshl_add_u32 v41, v41, 23, v58
	v_or3_b32 v57, v38, v41, v57
.LBB602_201:
	s_or_b64 exec, exec, s[10:11]
.LBB602_202:
	s_or_b64 exec, exec, s[8:9]
.LBB602_203:
	s_or_b64 exec, exec, s[2:3]
	v_cvt_pkrtz_f16_f32 v38, v52, v53
	v_cvt_pkrtz_f16_f32 v39, v39, v55
	s_waitcnt vmcnt(5)
	v_cmp_ne_u16_sdwa s[8:9], v34, v51 src0_sel:BYTE_0 src1_sel:DWORD
	v_mfma_f32_16x16x16f16 v[42:45], v[38:39], v[18:19], v[42:45]
	v_cvt_pkrtz_f16_f32 v38, v54, v56
	v_cvt_pkrtz_f16_f32 v39, v40, v57
	s_nop 1
	v_mfma_f32_16x16x16f16 v[38:41], v[38:39], v[20:21], v[42:45]
	s_and_saveexec_b64 s[2:3], s[8:9]
	s_cbranch_execz .LBB602_209
; %bb.204:
	s_movk_i32 s8, 0x80
	v_cmp_ne_u16_sdwa s[10:11], v34, s8 src0_sel:BYTE_0 src1_sel:DWORD
	v_bfrev_b32_e32 v51, 1
	s_and_saveexec_b64 s[8:9], s[10:11]
	s_cbranch_execz .LBB602_208
; %bb.205:
	s_movk_i32 s10, 0x7f
	v_and_b32_e32 v42, 0x7f, v34
	v_cmp_ne_u32_e32 vcc, s10, v42
	v_mov_b32_e32 v51, 0x7f800001
	s_and_saveexec_b64 s[10:11], vcc
	s_cbranch_execz .LBB602_207
; %bb.206:
	v_and_b32_e32 v43, 7, v34
	v_ffbh_u32_e32 v44, v43
	v_min_u32_e32 v52, 32, v44
	v_subrev_u32_e32 v44, 28, v52
	v_lshlrev_b64 v[44:45], v44, v[34:35]
	v_lshrrev_b32_e32 v51, 3, v42
	v_sub_u32_e32 v45, 29, v52
	v_and_b32_e32 v44, 7, v44
	v_cmp_gt_u32_e32 vcc, 8, v42
	v_cndmask_b32_e32 v42, v51, v45, vcc
	v_cndmask_b32_e32 v43, v43, v44, vcc
	v_lshlrev_b32_e32 v44, 24, v34
	v_bfrev_b32_e32 v45, 60
	v_lshlrev_b32_e32 v43, 20, v43
	v_and_b32_e32 v44, 0x80000000, v44
	v_lshl_add_u32 v42, v42, 23, v45
	v_or3_b32 v51, v44, v42, v43
.LBB602_207:
	s_or_b64 exec, exec, s[10:11]
.LBB602_208:
	s_or_b64 exec, exec, s[8:9]
.LBB602_209:
	s_or_b64 exec, exec, s[2:3]
	s_nop 3
	v_lshrrev_b16_e32 v42, 8, v34
	v_cmp_ne_u16_e32 vcc, 0, v42
	v_mov_b32_e32 v43, 0
	v_mov_b32_e32 v44, 0
	s_and_saveexec_b64 s[2:3], vcc
	s_cbranch_execz .LBB602_215
; %bb.210:
	s_movk_i32 s8, 0x80
	v_cmp_ne_u16_e32 vcc, s8, v42
	v_bfrev_b32_e32 v44, 1
	s_and_saveexec_b64 s[8:9], vcc
	s_cbranch_execz .LBB602_214
; %bb.211:
	s_movk_i32 s10, 0x7f
	v_and_b32_e32 v45, 0x7f, v42
	v_cmp_ne_u32_e32 vcc, s10, v45
	v_mov_b32_e32 v44, 0x7f800001
	s_and_saveexec_b64 s[10:11], vcc
	s_cbranch_execz .LBB602_213
; %bb.212:
	v_and_b32_e32 v44, 7, v42
	v_ffbh_u32_e32 v52, v44
	v_min_u32_e32 v55, 32, v52
	v_subrev_u32_e32 v52, 28, v55
	v_lshlrev_b64 v[52:53], v52, v[42:43]
	v_lshrrev_b32_e32 v54, 3, v45
	v_sub_u32_e32 v42, 29, v55
	v_and_b32_e32 v52, 7, v52
	v_cmp_gt_u32_e32 vcc, 8, v45
	v_cndmask_b32_e32 v42, v54, v42, vcc
	v_cndmask_b32_e32 v44, v44, v52, vcc
	v_lshlrev_b32_e32 v45, 16, v34
	v_bfrev_b32_e32 v52, 60
	v_lshlrev_b32_e32 v44, 20, v44
	v_and_b32_e32 v45, 0x80000000, v45
	v_lshl_add_u32 v42, v42, 23, v52
	v_or3_b32 v44, v45, v42, v44
.LBB602_213:
	s_or_b64 exec, exec, s[10:11]
.LBB602_214:
	s_or_b64 exec, exec, s[8:9]
.LBB602_215:
	s_or_b64 exec, exec, s[2:3]
	s_movk_i32 s2, 0xff
	v_and_b32_sdwa v45, v34, s2 dst_sel:DWORD dst_unused:UNUSED_PAD src0_sel:WORD_1 src1_sel:DWORD
	v_lshrrev_b32_e32 v42, 16, v34
	v_cmp_ne_u16_e32 vcc, 0, v45
	s_and_saveexec_b64 s[2:3], vcc
	s_cbranch_execz .LBB602_221
; %bb.216:
	s_movk_i32 s8, 0x80
	v_cmp_ne_u16_e32 vcc, s8, v45
	v_bfrev_b32_e32 v43, 1
	s_and_saveexec_b64 s[8:9], vcc
	s_cbranch_execz .LBB602_220
; %bb.217:
	v_bfe_u32 v45, v34, 16, 7
	s_movk_i32 s10, 0x7f
	v_cmp_ne_u32_e32 vcc, s10, v45
	v_mov_b32_e32 v43, 0x7f800001
	s_and_saveexec_b64 s[10:11], vcc
	s_cbranch_execz .LBB602_219
; %bb.218:
	v_and_b32_e32 v52, 7, v42
	v_ffbh_u32_e32 v43, v52
	v_min_u32_e32 v54, 32, v43
	v_subrev_u32_e32 v43, 28, v54
	v_lshlrev_b64 v[42:43], v43, v[42:43]
	v_lshrrev_b32_e32 v53, 3, v45
	v_sub_u32_e32 v43, 29, v54
	v_and_b32_e32 v42, 7, v42
	v_cmp_gt_u32_e32 vcc, 8, v45
	v_mov_b32_e32 v45, 24
	v_cndmask_b32_e32 v43, v53, v43, vcc
	v_cndmask_b32_e32 v42, v52, v42, vcc
	v_lshlrev_b32_sdwa v45, v45, v34 dst_sel:DWORD dst_unused:UNUSED_PAD src0_sel:DWORD src1_sel:WORD_1
	v_bfrev_b32_e32 v52, 60
	v_lshlrev_b32_e32 v42, 20, v42
	v_and_b32_e32 v45, 0x80000000, v45
	v_lshl_add_u32 v43, v43, 23, v52
	v_or3_b32 v43, v45, v43, v42
.LBB602_219:
	s_or_b64 exec, exec, s[10:11]
.LBB602_220:
	s_or_b64 exec, exec, s[8:9]
.LBB602_221:
	s_or_b64 exec, exec, s[2:3]
	s_mov_b32 s2, 0xffffff
	v_cmp_lt_u32_e32 vcc, s2, v34
	v_mov_b32_e32 v45, 0
	v_mov_b32_e32 v53, 0
	s_and_saveexec_b64 s[2:3], vcc
	s_cbranch_execz .LBB602_227
; %bb.222:
	v_lshrrev_b32_e32 v42, 24, v34
	s_movk_i32 s8, 0x80
	v_cmp_ne_u32_e32 vcc, s8, v42
	v_bfrev_b32_e32 v53, 1
	s_and_saveexec_b64 s[8:9], vcc
	s_cbranch_execz .LBB602_226
; %bb.223:
	v_bfe_u32 v34, v34, 24, 7
	s_movk_i32 s10, 0x7f
	v_cmp_ne_u32_e32 vcc, s10, v34
	v_mov_b32_e32 v53, 0x7f800001
	s_and_saveexec_b64 s[10:11], vcc
	s_cbranch_execz .LBB602_225
; %bb.224:
	v_and_b32_e32 v54, 7, v42
	v_ffbh_u32_e32 v52, v54
	v_min_u32_e32 v56, 32, v52
	v_subrev_u32_e32 v52, 28, v56
	v_lshlrev_b64 v[52:53], v52, v[42:43]
	v_lshrrev_b32_e32 v55, 3, v34
	v_sub_u32_e32 v53, 29, v56
	v_and_b32_e32 v52, 7, v52
	v_cmp_gt_u32_e32 vcc, 8, v34
	v_cndmask_b32_e32 v34, v55, v53, vcc
	v_cndmask_b32_e32 v52, v54, v52, vcc
	v_lshlrev_b32_e32 v42, 24, v42
	v_bfrev_b32_e32 v53, 60
	v_lshlrev_b32_e32 v52, 20, v52
	v_and_b32_e32 v42, 0x80000000, v42
	v_lshl_add_u32 v34, v34, 23, v53
	v_or3_b32 v53, v42, v34, v52
.LBB602_225:
	s_or_b64 exec, exec, s[10:11]
.LBB602_226:
	s_or_b64 exec, exec, s[8:9]
.LBB602_227:
	s_or_b64 exec, exec, s[2:3]
	v_cmp_ne_u16_sdwa s[8:9], v35, v45 src0_sel:BYTE_0 src1_sel:DWORD
	s_and_saveexec_b64 s[2:3], s[8:9]
	s_cbranch_execz .LBB602_233
; %bb.228:
	s_movk_i32 s8, 0x80
	v_cmp_ne_u16_sdwa s[10:11], v35, s8 src0_sel:BYTE_0 src1_sel:DWORD
	v_bfrev_b32_e32 v45, 1
	s_and_saveexec_b64 s[8:9], s[10:11]
	s_cbranch_execz .LBB602_232
; %bb.229:
	s_movk_i32 s10, 0x7f
	v_and_b32_e32 v34, 0x7f, v35
	v_cmp_ne_u32_e32 vcc, s10, v34
	v_mov_b32_e32 v45, 0x7f800001
	s_and_saveexec_b64 s[10:11], vcc
	s_cbranch_execz .LBB602_231
; %bb.230:
	v_and_b32_e32 v45, 7, v35
	v_ffbh_u32_e32 v54, v45
	v_min_u32_e32 v56, 32, v54
	v_mov_b32_e32 v42, v35
	v_subrev_u32_e32 v54, 28, v56
	v_lshlrev_b64 v[54:55], v54, v[42:43]
	v_lshrrev_b32_e32 v52, 3, v34
	v_sub_u32_e32 v42, 29, v56
	v_and_b32_e32 v54, 7, v54
	v_cmp_gt_u32_e32 vcc, 8, v34
	v_cndmask_b32_e32 v34, v52, v42, vcc
	v_cndmask_b32_e32 v42, v45, v54, vcc
	v_lshlrev_b32_e32 v45, 24, v35
	v_bfrev_b32_e32 v52, 60
	v_lshlrev_b32_e32 v42, 20, v42
	v_and_b32_e32 v45, 0x80000000, v45
	v_lshl_add_u32 v34, v34, 23, v52
	v_or3_b32 v45, v45, v34, v42
.LBB602_231:
	s_or_b64 exec, exec, s[10:11]
.LBB602_232:
	s_or_b64 exec, exec, s[8:9]
.LBB602_233:
	s_or_b64 exec, exec, s[2:3]
	v_lshrrev_b16_e32 v34, 8, v35
	v_cmp_ne_u16_e32 vcc, 0, v34
	v_mov_b32_e32 v42, 0
	v_mov_b32_e32 v54, 0
	s_and_saveexec_b64 s[2:3], vcc
	s_cbranch_execz .LBB602_239
; %bb.234:
	s_movk_i32 s8, 0x80
	v_cmp_ne_u16_e32 vcc, s8, v34
	v_bfrev_b32_e32 v54, 1
	s_and_saveexec_b64 s[8:9], vcc
	s_cbranch_execz .LBB602_238
; %bb.235:
	s_movk_i32 s10, 0x7f
	v_and_b32_e32 v52, 0x7f, v34
	v_cmp_ne_u32_e32 vcc, s10, v52
	v_mov_b32_e32 v54, 0x7f800001
	s_and_saveexec_b64 s[10:11], vcc
	s_cbranch_execz .LBB602_237
; %bb.236:
	v_and_b32_e32 v56, 7, v34
	v_ffbh_u32_e32 v54, v56
	v_min_u32_e32 v58, 32, v54
	v_subrev_u32_e32 v54, 28, v58
	v_lshlrev_b64 v[54:55], v54, v[34:35]
	v_lshrrev_b32_e32 v57, 3, v52
	v_sub_u32_e32 v34, 29, v58
	v_and_b32_e32 v54, 7, v54
	v_cmp_gt_u32_e32 vcc, 8, v52
	v_cndmask_b32_e32 v34, v57, v34, vcc
	v_cndmask_b32_e32 v52, v56, v54, vcc
	v_lshlrev_b32_e32 v54, 16, v35
	v_bfrev_b32_e32 v55, 60
	v_lshlrev_b32_e32 v52, 20, v52
	v_and_b32_e32 v54, 0x80000000, v54
	v_lshl_add_u32 v34, v34, 23, v55
	v_or3_b32 v54, v54, v34, v52
.LBB602_237:
	s_or_b64 exec, exec, s[10:11]
.LBB602_238:
	s_or_b64 exec, exec, s[8:9]
.LBB602_239:
	s_or_b64 exec, exec, s[2:3]
	s_movk_i32 s2, 0xff
	v_and_b32_sdwa v52, v35, s2 dst_sel:DWORD dst_unused:UNUSED_PAD src0_sel:WORD_1 src1_sel:DWORD
	v_lshrrev_b32_e32 v34, 16, v35
	v_cmp_ne_u16_e32 vcc, 0, v52
	s_and_saveexec_b64 s[2:3], vcc
	s_cbranch_execz .LBB602_245
; %bb.240:
	s_movk_i32 s8, 0x80
	v_cmp_ne_u16_e32 vcc, s8, v52
	v_bfrev_b32_e32 v42, 1
	s_and_saveexec_b64 s[8:9], vcc
	s_cbranch_execz .LBB602_244
; %bb.241:
	v_bfe_u32 v52, v35, 16, 7
	s_movk_i32 s10, 0x7f
	v_cmp_ne_u32_e32 vcc, s10, v52
	v_mov_b32_e32 v42, 0x7f800001
	s_and_saveexec_b64 s[10:11], vcc
	s_cbranch_execz .LBB602_243
; %bb.242:
	v_and_b32_e32 v42, 7, v34
	v_ffbh_u32_e32 v56, v42
	v_min_u32_e32 v58, 32, v56
	v_subrev_u32_e32 v56, 28, v58
	v_lshlrev_b64 v[56:57], v56, v[34:35]
	v_lshrrev_b32_e32 v55, 3, v52
	v_sub_u32_e32 v34, 29, v58
	v_and_b32_e32 v56, 7, v56
	v_cmp_gt_u32_e32 vcc, 8, v52
	v_mov_b32_e32 v52, 24
	v_cndmask_b32_e32 v34, v55, v34, vcc
	v_cndmask_b32_e32 v42, v42, v56, vcc
	v_lshlrev_b32_sdwa v52, v52, v35 dst_sel:DWORD dst_unused:UNUSED_PAD src0_sel:DWORD src1_sel:WORD_1
	v_bfrev_b32_e32 v55, 60
	v_lshlrev_b32_e32 v42, 20, v42
	v_and_b32_e32 v52, 0x80000000, v52
	v_lshl_add_u32 v34, v34, 23, v55
	v_or3_b32 v42, v52, v34, v42
.LBB602_243:
	s_or_b64 exec, exec, s[10:11]
.LBB602_244:
	s_or_b64 exec, exec, s[8:9]
.LBB602_245:
	s_or_b64 exec, exec, s[2:3]
	s_mov_b32 s2, 0xffffff
	v_cmp_lt_u32_e32 vcc, s2, v35
	v_mov_b32_e32 v52, 0
	v_mov_b32_e32 v55, 0
	s_and_saveexec_b64 s[2:3], vcc
	s_cbranch_execz .LBB602_251
; %bb.246:
	v_lshrrev_b32_e32 v34, 24, v35
	s_movk_i32 s8, 0x80
	v_cmp_ne_u32_e32 vcc, s8, v34
	v_bfrev_b32_e32 v55, 1
	s_and_saveexec_b64 s[8:9], vcc
	s_cbranch_execz .LBB602_250
; %bb.247:
	v_bfe_u32 v35, v35, 24, 7
	s_movk_i32 s10, 0x7f
	v_cmp_ne_u32_e32 vcc, s10, v35
	v_mov_b32_e32 v55, 0x7f800001
	s_and_saveexec_b64 s[10:11], vcc
	s_cbranch_execz .LBB602_249
; %bb.248:
	v_and_b32_e32 v55, 7, v34
	v_ffbh_u32_e32 v56, v55
	v_min_u32_e32 v59, 32, v56
	v_subrev_u32_e32 v56, 28, v59
	v_lshlrev_b64 v[56:57], v56, v[34:35]
	v_lshrrev_b32_e32 v58, 3, v35
	v_sub_u32_e32 v57, 29, v59
	v_and_b32_e32 v56, 7, v56
	v_cmp_gt_u32_e32 vcc, 8, v35
	v_cndmask_b32_e32 v35, v58, v57, vcc
	v_cndmask_b32_e32 v55, v55, v56, vcc
	v_lshlrev_b32_e32 v34, 24, v34
	v_bfrev_b32_e32 v56, 60
	v_lshlrev_b32_e32 v55, 20, v55
	v_and_b32_e32 v34, 0x80000000, v34
	v_lshl_add_u32 v35, v35, 23, v56
	v_or3_b32 v55, v34, v35, v55
.LBB602_249:
	s_or_b64 exec, exec, s[10:11]
.LBB602_250:
	s_or_b64 exec, exec, s[8:9]
.LBB602_251:
	s_or_b64 exec, exec, s[2:3]
	v_cvt_pkrtz_f16_f32 v34, v51, v44
	v_cvt_pkrtz_f16_f32 v35, v43, v53
	v_cmp_ne_u16_sdwa s[8:9], v36, v52 src0_sel:BYTE_0 src1_sel:DWORD
	s_nop 0
	v_mfma_f32_16x16x16f16 v[56:59], v[34:35], v[26:27], 0
	v_cvt_pkrtz_f16_f32 v34, v45, v54
	v_cvt_pkrtz_f16_f32 v35, v42, v55
	s_nop 1
	v_mfma_f32_16x16x16f16 v[42:45], v[34:35], v[28:29], v[56:59]
	s_and_saveexec_b64 s[2:3], s[8:9]
	s_cbranch_execz .LBB602_257
; %bb.252:
	s_movk_i32 s8, 0x80
	v_cmp_ne_u16_sdwa s[10:11], v36, s8 src0_sel:BYTE_0 src1_sel:DWORD
	v_bfrev_b32_e32 v52, 1
	s_and_saveexec_b64 s[8:9], s[10:11]
	s_cbranch_execz .LBB602_256
; %bb.253:
	s_movk_i32 s10, 0x7f
	v_and_b32_e32 v34, 0x7f, v36
	v_cmp_ne_u32_e32 vcc, s10, v34
	v_mov_b32_e32 v52, 0x7f800001
	s_and_saveexec_b64 s[10:11], vcc
	s_cbranch_execz .LBB602_255
; %bb.254:
	v_and_b32_e32 v35, 7, v36
	v_ffbh_u32_e32 v52, v35
	v_min_u32_e32 v54, 32, v52
	v_subrev_u32_e32 v52, 28, v54
	v_lshlrev_b64 v[52:53], v52, v[36:37]
	v_lshrrev_b32_e32 v51, 3, v34
	v_sub_u32_e32 v53, 29, v54
	v_and_b32_e32 v52, 7, v52
	v_cmp_gt_u32_e32 vcc, 8, v34
	v_cndmask_b32_e32 v34, v51, v53, vcc
	v_cndmask_b32_e32 v35, v35, v52, vcc
	v_lshlrev_b32_e32 v51, 24, v36
	v_bfrev_b32_e32 v52, 60
	v_lshlrev_b32_e32 v35, 20, v35
	v_and_b32_e32 v51, 0x80000000, v51
	v_lshl_add_u32 v34, v34, 23, v52
	v_or3_b32 v52, v51, v34, v35
.LBB602_255:
	s_or_b64 exec, exec, s[10:11]
.LBB602_256:
	s_or_b64 exec, exec, s[8:9]
.LBB602_257:
	s_or_b64 exec, exec, s[2:3]
	v_lshrrev_b16_e32 v34, 8, v36
	v_cmp_ne_u16_e32 vcc, 0, v34
	v_mov_b32_e32 v35, 0
	v_mov_b32_e32 v53, 0
	s_and_saveexec_b64 s[2:3], vcc
	s_cbranch_execz .LBB602_263
; %bb.258:
	s_movk_i32 s8, 0x80
	v_cmp_ne_u16_e32 vcc, s8, v34
	v_bfrev_b32_e32 v53, 1
	s_and_saveexec_b64 s[8:9], vcc
	s_cbranch_execz .LBB602_262
; %bb.259:
	s_movk_i32 s10, 0x7f
	v_and_b32_e32 v51, 0x7f, v34
	v_cmp_ne_u32_e32 vcc, s10, v51
	v_mov_b32_e32 v53, 0x7f800001
	s_and_saveexec_b64 s[10:11], vcc
	s_cbranch_execz .LBB602_261
; %bb.260:
	v_and_b32_e32 v53, 7, v34
	v_ffbh_u32_e32 v54, v53
	v_min_u32_e32 v57, 32, v54
	v_subrev_u32_e32 v54, 28, v57
	v_lshlrev_b64 v[54:55], v54, v[34:35]
	v_lshrrev_b32_e32 v56, 3, v51
	v_sub_u32_e32 v34, 29, v57
	v_and_b32_e32 v54, 7, v54
	v_cmp_gt_u32_e32 vcc, 8, v51
	v_cndmask_b32_e32 v34, v56, v34, vcc
	v_cndmask_b32_e32 v51, v53, v54, vcc
	v_lshlrev_b32_e32 v53, 16, v36
	v_bfrev_b32_e32 v54, 60
	v_lshlrev_b32_e32 v51, 20, v51
	v_and_b32_e32 v53, 0x80000000, v53
	v_lshl_add_u32 v34, v34, 23, v54
	v_or3_b32 v53, v53, v34, v51
.LBB602_261:
	s_or_b64 exec, exec, s[10:11]
.LBB602_262:
	s_or_b64 exec, exec, s[8:9]
.LBB602_263:
	s_or_b64 exec, exec, s[2:3]
	s_movk_i32 s2, 0xff
	v_and_b32_sdwa v51, v36, s2 dst_sel:DWORD dst_unused:UNUSED_PAD src0_sel:WORD_1 src1_sel:DWORD
	v_lshrrev_b32_e32 v34, 16, v36
	v_cmp_ne_u16_e32 vcc, 0, v51
	s_and_saveexec_b64 s[2:3], vcc
	s_cbranch_execz .LBB602_269
; %bb.264:
	s_movk_i32 s8, 0x80
	v_cmp_ne_u16_e32 vcc, s8, v51
	v_bfrev_b32_e32 v35, 1
	s_and_saveexec_b64 s[8:9], vcc
	s_cbranch_execz .LBB602_268
; %bb.265:
	v_bfe_u32 v51, v36, 16, 7
	s_movk_i32 s10, 0x7f
	v_cmp_ne_u32_e32 vcc, s10, v51
	v_mov_b32_e32 v35, 0x7f800001
	s_and_saveexec_b64 s[10:11], vcc
	s_cbranch_execz .LBB602_267
; %bb.266:
	v_and_b32_e32 v54, 7, v34
	v_ffbh_u32_e32 v35, v54
	v_min_u32_e32 v56, 32, v35
	v_subrev_u32_e32 v35, 28, v56
	v_lshlrev_b64 v[34:35], v35, v[34:35]
	v_lshrrev_b32_e32 v55, 3, v51
	v_sub_u32_e32 v35, 29, v56
	v_and_b32_e32 v34, 7, v34
	v_cmp_gt_u32_e32 vcc, 8, v51
	v_mov_b32_e32 v51, 24
	v_cndmask_b32_e32 v35, v55, v35, vcc
	v_cndmask_b32_e32 v34, v54, v34, vcc
	v_lshlrev_b32_sdwa v51, v51, v36 dst_sel:DWORD dst_unused:UNUSED_PAD src0_sel:DWORD src1_sel:WORD_1
	v_bfrev_b32_e32 v54, 60
	v_lshlrev_b32_e32 v34, 20, v34
	v_and_b32_e32 v51, 0x80000000, v51
	v_lshl_add_u32 v35, v35, 23, v54
	v_or3_b32 v35, v51, v35, v34
.LBB602_267:
	s_or_b64 exec, exec, s[10:11]
.LBB602_268:
	s_or_b64 exec, exec, s[8:9]
.LBB602_269:
	s_or_b64 exec, exec, s[2:3]
	s_mov_b32 s2, 0xffffff
	v_cmp_lt_u32_e32 vcc, s2, v36
	v_mov_b32_e32 v54, 0
	v_mov_b32_e32 v55, 0
	s_and_saveexec_b64 s[2:3], vcc
	s_cbranch_execz .LBB602_275
; %bb.270:
	v_lshrrev_b32_e32 v34, 24, v36
	s_movk_i32 s8, 0x80
	v_cmp_ne_u32_e32 vcc, s8, v34
	v_bfrev_b32_e32 v55, 1
	s_and_saveexec_b64 s[8:9], vcc
	s_cbranch_execz .LBB602_274
; %bb.271:
	v_bfe_u32 v36, v36, 24, 7
	s_movk_i32 s10, 0x7f
	v_cmp_ne_u32_e32 vcc, s10, v36
	v_mov_b32_e32 v55, 0x7f800001
	s_and_saveexec_b64 s[10:11], vcc
	s_cbranch_execz .LBB602_273
; %bb.272:
	v_and_b32_e32 v51, 7, v34
	v_ffbh_u32_e32 v56, v51
	v_min_u32_e32 v58, 32, v56
	v_subrev_u32_e32 v56, 28, v58
	v_lshlrev_b64 v[56:57], v56, v[34:35]
	v_lshrrev_b32_e32 v55, 3, v36
	v_sub_u32_e32 v57, 29, v58
	v_and_b32_e32 v56, 7, v56
	v_cmp_gt_u32_e32 vcc, 8, v36
	v_cndmask_b32_e32 v36, v55, v57, vcc
	v_cndmask_b32_e32 v51, v51, v56, vcc
	v_lshlrev_b32_e32 v34, 24, v34
	v_bfrev_b32_e32 v55, 60
	v_lshlrev_b32_e32 v51, 20, v51
	v_and_b32_e32 v34, 0x80000000, v34
	v_lshl_add_u32 v36, v36, 23, v55
	v_or3_b32 v55, v34, v36, v51
.LBB602_273:
	s_or_b64 exec, exec, s[10:11]
.LBB602_274:
	s_or_b64 exec, exec, s[8:9]
.LBB602_275:
	s_or_b64 exec, exec, s[2:3]
	v_cmp_ne_u16_sdwa s[8:9], v37, v54 src0_sel:BYTE_0 src1_sel:DWORD
	s_and_saveexec_b64 s[2:3], s[8:9]
	s_cbranch_execz .LBB602_281
; %bb.276:
	s_movk_i32 s8, 0x80
	v_cmp_ne_u16_sdwa s[10:11], v37, s8 src0_sel:BYTE_0 src1_sel:DWORD
	v_bfrev_b32_e32 v54, 1
	s_and_saveexec_b64 s[8:9], s[10:11]
	s_cbranch_execz .LBB602_280
; %bb.277:
	s_movk_i32 s10, 0x7f
	v_and_b32_e32 v34, 0x7f, v37
	v_cmp_ne_u32_e32 vcc, s10, v34
	v_mov_b32_e32 v54, 0x7f800001
	s_and_saveexec_b64 s[10:11], vcc
	s_cbranch_execz .LBB602_279
; %bb.278:
	v_and_b32_e32 v51, 7, v37
	v_ffbh_u32_e32 v56, v51
	v_min_u32_e32 v58, 32, v56
	v_mov_b32_e32 v36, v37
	v_subrev_u32_e32 v56, 28, v58
	v_lshlrev_b64 v[56:57], v56, v[36:37]
	v_lshrrev_b32_e32 v54, 3, v34
	v_sub_u32_e32 v36, 29, v58
	v_and_b32_e32 v56, 7, v56
	v_cmp_gt_u32_e32 vcc, 8, v34
	v_cndmask_b32_e32 v34, v54, v36, vcc
	v_cndmask_b32_e32 v36, v51, v56, vcc
	v_lshlrev_b32_e32 v51, 24, v37
	v_bfrev_b32_e32 v54, 60
	v_lshlrev_b32_e32 v36, 20, v36
	v_and_b32_e32 v51, 0x80000000, v51
	v_lshl_add_u32 v34, v34, 23, v54
	v_or3_b32 v54, v51, v34, v36
.LBB602_279:
	s_or_b64 exec, exec, s[10:11]
.LBB602_280:
	s_or_b64 exec, exec, s[8:9]
.LBB602_281:
	s_or_b64 exec, exec, s[2:3]
	v_lshrrev_b16_e32 v34, 8, v37
	v_cmp_ne_u16_e32 vcc, 0, v34
	v_mov_b32_e32 v36, 0
	v_mov_b32_e32 v56, 0
	s_and_saveexec_b64 s[2:3], vcc
	s_cbranch_execz .LBB602_287
; %bb.282:
	s_movk_i32 s8, 0x80
	v_cmp_ne_u16_e32 vcc, s8, v34
	v_bfrev_b32_e32 v56, 1
	s_and_saveexec_b64 s[8:9], vcc
	s_cbranch_execz .LBB602_286
; %bb.283:
	s_movk_i32 s10, 0x7f
	v_and_b32_e32 v51, 0x7f, v34
	v_cmp_ne_u32_e32 vcc, s10, v51
	v_mov_b32_e32 v56, 0x7f800001
	s_and_saveexec_b64 s[10:11], vcc
	s_cbranch_execz .LBB602_285
; %bb.284:
	v_and_b32_e32 v58, 7, v34
	v_ffbh_u32_e32 v56, v58
	v_min_u32_e32 v60, 32, v56
	v_subrev_u32_e32 v56, 28, v60
	v_lshlrev_b64 v[56:57], v56, v[34:35]
	v_lshrrev_b32_e32 v59, 3, v51
	v_sub_u32_e32 v34, 29, v60
	v_and_b32_e32 v56, 7, v56
	v_cmp_gt_u32_e32 vcc, 8, v51
	v_cndmask_b32_e32 v34, v59, v34, vcc
	v_cndmask_b32_e32 v51, v58, v56, vcc
	v_lshlrev_b32_e32 v56, 16, v37
	v_bfrev_b32_e32 v57, 60
	v_lshlrev_b32_e32 v51, 20, v51
	v_and_b32_e32 v56, 0x80000000, v56
	v_lshl_add_u32 v34, v34, 23, v57
	v_or3_b32 v56, v56, v34, v51
.LBB602_285:
	s_or_b64 exec, exec, s[10:11]
.LBB602_286:
	s_or_b64 exec, exec, s[8:9]
.LBB602_287:
	s_or_b64 exec, exec, s[2:3]
	s_movk_i32 s2, 0xff
	v_and_b32_sdwa v51, v37, s2 dst_sel:DWORD dst_unused:UNUSED_PAD src0_sel:WORD_1 src1_sel:DWORD
	v_lshrrev_b32_e32 v34, 16, v37
	v_cmp_ne_u16_e32 vcc, 0, v51
	s_and_saveexec_b64 s[2:3], vcc
	s_cbranch_execz .LBB602_293
; %bb.288:
	s_movk_i32 s8, 0x80
	v_cmp_ne_u16_e32 vcc, s8, v51
	v_bfrev_b32_e32 v36, 1
	s_and_saveexec_b64 s[8:9], vcc
	s_cbranch_execz .LBB602_292
; %bb.289:
	v_bfe_u32 v51, v37, 16, 7
	s_movk_i32 s10, 0x7f
	v_cmp_ne_u32_e32 vcc, s10, v51
	v_mov_b32_e32 v36, 0x7f800001
	s_and_saveexec_b64 s[10:11], vcc
	s_cbranch_execz .LBB602_291
; %bb.290:
	v_and_b32_e32 v36, 7, v34
	v_ffbh_u32_e32 v58, v36
	v_min_u32_e32 v60, 32, v58
	v_subrev_u32_e32 v58, 28, v60
	v_lshlrev_b64 v[58:59], v58, v[34:35]
	v_lshrrev_b32_e32 v57, 3, v51
	v_sub_u32_e32 v34, 29, v60
	v_and_b32_e32 v58, 7, v58
	v_cmp_gt_u32_e32 vcc, 8, v51
	v_mov_b32_e32 v51, 24
	v_cndmask_b32_e32 v34, v57, v34, vcc
	v_cndmask_b32_e32 v36, v36, v58, vcc
	v_lshlrev_b32_sdwa v51, v51, v37 dst_sel:DWORD dst_unused:UNUSED_PAD src0_sel:DWORD src1_sel:WORD_1
	v_bfrev_b32_e32 v57, 60
	v_lshlrev_b32_e32 v36, 20, v36
	v_and_b32_e32 v51, 0x80000000, v51
	v_lshl_add_u32 v34, v34, 23, v57
	v_or3_b32 v36, v51, v34, v36
.LBB602_291:
	s_or_b64 exec, exec, s[10:11]
.LBB602_292:
	s_or_b64 exec, exec, s[8:9]
.LBB602_293:
	s_or_b64 exec, exec, s[2:3]
	s_mov_b32 s2, 0xffffff
	v_cmp_lt_u32_e32 vcc, s2, v37
	v_mov_b32_e32 v51, 0
	v_mov_b32_e32 v57, 0
	s_and_saveexec_b64 s[2:3], vcc
	s_cbranch_execz .LBB602_299
; %bb.294:
	v_lshrrev_b32_e32 v34, 24, v37
	s_movk_i32 s8, 0x80
	v_cmp_ne_u32_e32 vcc, s8, v34
	v_bfrev_b32_e32 v57, 1
	s_and_saveexec_b64 s[8:9], vcc
	s_cbranch_execz .LBB602_298
; %bb.295:
	v_bfe_u32 v37, v37, 24, 7
	s_movk_i32 s10, 0x7f
	v_cmp_ne_u32_e32 vcc, s10, v37
	v_mov_b32_e32 v57, 0x7f800001
	s_and_saveexec_b64 s[10:11], vcc
	s_cbranch_execz .LBB602_297
; %bb.296:
	v_and_b32_e32 v57, 7, v34
	v_ffbh_u32_e32 v58, v57
	v_min_u32_e32 v61, 32, v58
	v_subrev_u32_e32 v58, 28, v61
	v_lshlrev_b64 v[58:59], v58, v[34:35]
	v_lshrrev_b32_e32 v60, 3, v37
	v_sub_u32_e32 v59, 29, v61
	v_and_b32_e32 v58, 7, v58
	v_cmp_gt_u32_e32 vcc, 8, v37
	v_cndmask_b32_e32 v37, v60, v59, vcc
	v_cndmask_b32_e32 v57, v57, v58, vcc
	v_lshlrev_b32_e32 v34, 24, v34
	v_bfrev_b32_e32 v58, 60
	v_lshlrev_b32_e32 v57, 20, v57
	v_and_b32_e32 v34, 0x80000000, v34
	v_lshl_add_u32 v37, v37, 23, v58
	v_or3_b32 v57, v34, v37, v57
.LBB602_297:
	s_or_b64 exec, exec, s[10:11]
.LBB602_298:
	s_or_b64 exec, exec, s[8:9]
.LBB602_299:
	s_or_b64 exec, exec, s[2:3]
	v_cvt_pkrtz_f16_f32 v34, v52, v53
	v_cvt_pkrtz_f16_f32 v35, v35, v55
	s_waitcnt vmcnt(4)
	v_cmp_ne_u16_sdwa s[8:9], v22, v51 src0_sel:BYTE_0 src1_sel:DWORD
	v_mfma_f32_16x16x16f16 v[42:45], v[34:35], v[18:19], v[42:45]
	v_cvt_pkrtz_f16_f32 v34, v54, v56
	v_cvt_pkrtz_f16_f32 v35, v36, v57
	s_nop 1
	v_mfma_f32_16x16x16f16 v[34:37], v[34:35], v[20:21], v[42:45]
	s_and_saveexec_b64 s[2:3], s[8:9]
	s_cbranch_execz .LBB602_305
; %bb.300:
	s_movk_i32 s8, 0x80
	v_cmp_ne_u16_sdwa s[10:11], v22, s8 src0_sel:BYTE_0 src1_sel:DWORD
	v_bfrev_b32_e32 v51, 1
	s_and_saveexec_b64 s[8:9], s[10:11]
	s_cbranch_execz .LBB602_304
; %bb.301:
	s_movk_i32 s10, 0x7f
	v_and_b32_e32 v42, 0x7f, v22
	v_cmp_ne_u32_e32 vcc, s10, v42
	v_mov_b32_e32 v51, 0x7f800001
	s_and_saveexec_b64 s[10:11], vcc
	s_cbranch_execz .LBB602_303
; %bb.302:
	v_and_b32_e32 v43, 7, v22
	v_ffbh_u32_e32 v44, v43
	v_min_u32_e32 v52, 32, v44
	v_subrev_u32_e32 v44, 28, v52
	v_lshlrev_b64 v[44:45], v44, v[22:23]
	v_lshrrev_b32_e32 v51, 3, v42
	v_sub_u32_e32 v45, 29, v52
	v_and_b32_e32 v44, 7, v44
	v_cmp_gt_u32_e32 vcc, 8, v42
	v_cndmask_b32_e32 v42, v51, v45, vcc
	v_cndmask_b32_e32 v43, v43, v44, vcc
	v_lshlrev_b32_e32 v44, 24, v22
	v_bfrev_b32_e32 v45, 60
	v_lshlrev_b32_e32 v43, 20, v43
	v_and_b32_e32 v44, 0x80000000, v44
	v_lshl_add_u32 v42, v42, 23, v45
	v_or3_b32 v51, v44, v42, v43
.LBB602_303:
	s_or_b64 exec, exec, s[10:11]
.LBB602_304:
	s_or_b64 exec, exec, s[8:9]
.LBB602_305:
	s_or_b64 exec, exec, s[2:3]
	s_nop 3
	v_lshrrev_b16_e32 v42, 8, v22
	v_cmp_ne_u16_e32 vcc, 0, v42
	v_mov_b32_e32 v43, 0
	v_mov_b32_e32 v44, 0
	s_and_saveexec_b64 s[2:3], vcc
	s_cbranch_execz .LBB602_311
; %bb.306:
	s_movk_i32 s8, 0x80
	v_cmp_ne_u16_e32 vcc, s8, v42
	v_bfrev_b32_e32 v44, 1
	s_and_saveexec_b64 s[8:9], vcc
	s_cbranch_execz .LBB602_310
; %bb.307:
	s_movk_i32 s10, 0x7f
	v_and_b32_e32 v45, 0x7f, v42
	v_cmp_ne_u32_e32 vcc, s10, v45
	v_mov_b32_e32 v44, 0x7f800001
	s_and_saveexec_b64 s[10:11], vcc
	s_cbranch_execz .LBB602_309
; %bb.308:
	v_and_b32_e32 v44, 7, v42
	v_ffbh_u32_e32 v52, v44
	v_min_u32_e32 v55, 32, v52
	v_subrev_u32_e32 v52, 28, v55
	v_lshlrev_b64 v[52:53], v52, v[42:43]
	v_lshrrev_b32_e32 v54, 3, v45
	v_sub_u32_e32 v42, 29, v55
	v_and_b32_e32 v52, 7, v52
	v_cmp_gt_u32_e32 vcc, 8, v45
	v_cndmask_b32_e32 v42, v54, v42, vcc
	v_cndmask_b32_e32 v44, v44, v52, vcc
	v_lshlrev_b32_e32 v45, 16, v22
	v_bfrev_b32_e32 v52, 60
	v_lshlrev_b32_e32 v44, 20, v44
	v_and_b32_e32 v45, 0x80000000, v45
	v_lshl_add_u32 v42, v42, 23, v52
	v_or3_b32 v44, v45, v42, v44
.LBB602_309:
	s_or_b64 exec, exec, s[10:11]
.LBB602_310:
	s_or_b64 exec, exec, s[8:9]
.LBB602_311:
	s_or_b64 exec, exec, s[2:3]
	s_movk_i32 s2, 0xff
	v_and_b32_sdwa v45, v22, s2 dst_sel:DWORD dst_unused:UNUSED_PAD src0_sel:WORD_1 src1_sel:DWORD
	v_lshrrev_b32_e32 v42, 16, v22
	v_cmp_ne_u16_e32 vcc, 0, v45
	s_and_saveexec_b64 s[2:3], vcc
	s_cbranch_execz .LBB602_317
; %bb.312:
	s_movk_i32 s8, 0x80
	v_cmp_ne_u16_e32 vcc, s8, v45
	v_bfrev_b32_e32 v43, 1
	s_and_saveexec_b64 s[8:9], vcc
	s_cbranch_execz .LBB602_316
; %bb.313:
	v_bfe_u32 v45, v22, 16, 7
	s_movk_i32 s10, 0x7f
	v_cmp_ne_u32_e32 vcc, s10, v45
	v_mov_b32_e32 v43, 0x7f800001
	s_and_saveexec_b64 s[10:11], vcc
	s_cbranch_execz .LBB602_315
; %bb.314:
	v_and_b32_e32 v52, 7, v42
	v_ffbh_u32_e32 v43, v52
	v_min_u32_e32 v54, 32, v43
	v_subrev_u32_e32 v43, 28, v54
	v_lshlrev_b64 v[42:43], v43, v[42:43]
	v_lshrrev_b32_e32 v53, 3, v45
	v_sub_u32_e32 v43, 29, v54
	v_and_b32_e32 v42, 7, v42
	v_cmp_gt_u32_e32 vcc, 8, v45
	v_mov_b32_e32 v45, 24
	v_cndmask_b32_e32 v43, v53, v43, vcc
	v_cndmask_b32_e32 v42, v52, v42, vcc
	v_lshlrev_b32_sdwa v45, v45, v22 dst_sel:DWORD dst_unused:UNUSED_PAD src0_sel:DWORD src1_sel:WORD_1
	v_bfrev_b32_e32 v52, 60
	v_lshlrev_b32_e32 v42, 20, v42
	v_and_b32_e32 v45, 0x80000000, v45
	v_lshl_add_u32 v43, v43, 23, v52
	v_or3_b32 v43, v45, v43, v42
.LBB602_315:
	s_or_b64 exec, exec, s[10:11]
.LBB602_316:
	s_or_b64 exec, exec, s[8:9]
.LBB602_317:
	s_or_b64 exec, exec, s[2:3]
	s_mov_b32 s2, 0xffffff
	v_cmp_lt_u32_e32 vcc, s2, v22
	v_mov_b32_e32 v45, 0
	v_mov_b32_e32 v52, 0
	s_and_saveexec_b64 s[2:3], vcc
	s_cbranch_execz .LBB602_323
; %bb.318:
	v_lshrrev_b32_e32 v42, 24, v22
	s_movk_i32 s8, 0x80
	v_cmp_ne_u32_e32 vcc, s8, v42
	v_bfrev_b32_e32 v52, 1
	s_and_saveexec_b64 s[8:9], vcc
	s_cbranch_execz .LBB602_322
; %bb.319:
	v_bfe_u32 v22, v22, 24, 7
	s_movk_i32 s10, 0x7f
	v_cmp_ne_u32_e32 vcc, s10, v22
	v_mov_b32_e32 v52, 0x7f800001
	s_and_saveexec_b64 s[10:11], vcc
	s_cbranch_execz .LBB602_321
; %bb.320:
	v_and_b32_e32 v54, 7, v42
	v_ffbh_u32_e32 v52, v54
	v_min_u32_e32 v56, 32, v52
	v_subrev_u32_e32 v52, 28, v56
	v_lshlrev_b64 v[52:53], v52, v[42:43]
	v_lshrrev_b32_e32 v55, 3, v22
	v_sub_u32_e32 v53, 29, v56
	v_and_b32_e32 v52, 7, v52
	v_cmp_gt_u32_e32 vcc, 8, v22
	v_cndmask_b32_e32 v22, v55, v53, vcc
	v_cndmask_b32_e32 v52, v54, v52, vcc
	v_lshlrev_b32_e32 v42, 24, v42
	v_bfrev_b32_e32 v53, 60
	v_lshlrev_b32_e32 v52, 20, v52
	v_and_b32_e32 v42, 0x80000000, v42
	v_lshl_add_u32 v22, v22, 23, v53
	v_or3_b32 v52, v42, v22, v52
.LBB602_321:
	s_or_b64 exec, exec, s[10:11]
.LBB602_322:
	s_or_b64 exec, exec, s[8:9]
.LBB602_323:
	s_or_b64 exec, exec, s[2:3]
	v_cmp_ne_u16_sdwa s[8:9], v23, v45 src0_sel:BYTE_0 src1_sel:DWORD
	s_and_saveexec_b64 s[2:3], s[8:9]
	s_cbranch_execz .LBB602_329
; %bb.324:
	s_movk_i32 s8, 0x80
	v_cmp_ne_u16_sdwa s[10:11], v23, s8 src0_sel:BYTE_0 src1_sel:DWORD
	v_bfrev_b32_e32 v45, 1
	s_and_saveexec_b64 s[8:9], s[10:11]
	s_cbranch_execz .LBB602_328
; %bb.325:
	s_movk_i32 s10, 0x7f
	v_and_b32_e32 v22, 0x7f, v23
	v_cmp_ne_u32_e32 vcc, s10, v22
	v_mov_b32_e32 v45, 0x7f800001
	s_and_saveexec_b64 s[10:11], vcc
	s_cbranch_execz .LBB602_327
; %bb.326:
	v_and_b32_e32 v45, 7, v23
	v_ffbh_u32_e32 v54, v45
	v_min_u32_e32 v56, 32, v54
	v_mov_b32_e32 v42, v23
	v_subrev_u32_e32 v54, 28, v56
	v_lshlrev_b64 v[54:55], v54, v[42:43]
	v_lshrrev_b32_e32 v53, 3, v22
	v_sub_u32_e32 v42, 29, v56
	v_and_b32_e32 v54, 7, v54
	v_cmp_gt_u32_e32 vcc, 8, v22
	v_cndmask_b32_e32 v22, v53, v42, vcc
	v_cndmask_b32_e32 v42, v45, v54, vcc
	v_lshlrev_b32_e32 v45, 24, v23
	v_bfrev_b32_e32 v53, 60
	v_lshlrev_b32_e32 v42, 20, v42
	v_and_b32_e32 v45, 0x80000000, v45
	v_lshl_add_u32 v22, v22, 23, v53
	v_or3_b32 v45, v45, v22, v42
.LBB602_327:
	s_or_b64 exec, exec, s[10:11]
.LBB602_328:
	s_or_b64 exec, exec, s[8:9]
.LBB602_329:
	s_or_b64 exec, exec, s[2:3]
	v_lshrrev_b16_e32 v22, 8, v23
	v_cmp_ne_u16_e32 vcc, 0, v22
	v_mov_b32_e32 v53, 0
	v_mov_b32_e32 v54, 0
	s_and_saveexec_b64 s[2:3], vcc
	s_cbranch_execz .LBB602_335
; %bb.330:
	s_movk_i32 s8, 0x80
	v_cmp_ne_u16_e32 vcc, s8, v22
	v_bfrev_b32_e32 v54, 1
	s_and_saveexec_b64 s[8:9], vcc
	s_cbranch_execz .LBB602_334
; %bb.331:
	s_movk_i32 s10, 0x7f
	v_and_b32_e32 v42, 0x7f, v22
	v_cmp_ne_u32_e32 vcc, s10, v42
	v_mov_b32_e32 v54, 0x7f800001
	s_and_saveexec_b64 s[10:11], vcc
	s_cbranch_execz .LBB602_333
; %bb.332:
	v_and_b32_e32 v56, 7, v22
	v_ffbh_u32_e32 v54, v56
	v_min_u32_e32 v58, 32, v54
	v_subrev_u32_e32 v54, 28, v58
	v_lshlrev_b64 v[54:55], v54, v[22:23]
	v_lshrrev_b32_e32 v57, 3, v42
	v_sub_u32_e32 v22, 29, v58
	v_and_b32_e32 v54, 7, v54
	v_cmp_gt_u32_e32 vcc, 8, v42
	v_cndmask_b32_e32 v22, v57, v22, vcc
	v_cndmask_b32_e32 v42, v56, v54, vcc
	v_lshlrev_b32_e32 v54, 16, v23
	v_bfrev_b32_e32 v55, 60
	v_lshlrev_b32_e32 v42, 20, v42
	v_and_b32_e32 v54, 0x80000000, v54
	v_lshl_add_u32 v22, v22, 23, v55
	v_or3_b32 v54, v54, v22, v42
.LBB602_333:
	s_or_b64 exec, exec, s[10:11]
.LBB602_334:
	s_or_b64 exec, exec, s[8:9]
.LBB602_335:
	s_or_b64 exec, exec, s[2:3]
	s_movk_i32 s2, 0xff
	v_and_b32_sdwa v42, v23, s2 dst_sel:DWORD dst_unused:UNUSED_PAD src0_sel:WORD_1 src1_sel:DWORD
	v_lshrrev_b32_e32 v22, 16, v23
	v_cmp_ne_u16_e32 vcc, 0, v42
	s_and_saveexec_b64 s[2:3], vcc
	s_cbranch_execz .LBB602_341
; %bb.336:
	s_movk_i32 s8, 0x80
	v_cmp_ne_u16_e32 vcc, s8, v42
	v_bfrev_b32_e32 v53, 1
	s_and_saveexec_b64 s[8:9], vcc
	s_cbranch_execz .LBB602_340
; %bb.337:
	v_bfe_u32 v42, v23, 16, 7
	s_movk_i32 s10, 0x7f
	v_cmp_ne_u32_e32 vcc, s10, v42
	v_mov_b32_e32 v53, 0x7f800001
	s_and_saveexec_b64 s[10:11], vcc
	s_cbranch_execz .LBB602_339
; %bb.338:
	v_and_b32_e32 v53, 7, v22
	v_ffbh_u32_e32 v56, v53
	v_min_u32_e32 v58, 32, v56
	v_subrev_u32_e32 v56, 28, v58
	v_lshlrev_b64 v[56:57], v56, v[22:23]
	v_and_b32_e32 v56, 7, v56
	v_cmp_gt_u32_e32 vcc, 8, v42
	v_lshrrev_b32_e32 v55, 3, v42
	v_sub_u32_e32 v22, 29, v58
	v_cndmask_b32_e32 v42, v53, v56, vcc
	v_mov_b32_e32 v53, 24
	v_cndmask_b32_e32 v22, v55, v22, vcc
	v_lshlrev_b32_sdwa v53, v53, v23 dst_sel:DWORD dst_unused:UNUSED_PAD src0_sel:DWORD src1_sel:WORD_1
	v_bfrev_b32_e32 v55, 60
	v_lshlrev_b32_e32 v42, 20, v42
	v_and_b32_e32 v53, 0x80000000, v53
	v_lshl_add_u32 v22, v22, 23, v55
	v_or3_b32 v53, v53, v22, v42
.LBB602_339:
	s_or_b64 exec, exec, s[10:11]
.LBB602_340:
	s_or_b64 exec, exec, s[8:9]
.LBB602_341:
	s_or_b64 exec, exec, s[2:3]
	s_mov_b32 s2, 0xffffff
	v_cmp_lt_u32_e32 vcc, s2, v23
	v_mov_b32_e32 v42, 0
	v_mov_b32_e32 v55, 0
	s_and_saveexec_b64 s[2:3], vcc
	s_cbranch_execz .LBB602_347
; %bb.342:
	v_lshrrev_b32_e32 v22, 24, v23
	s_movk_i32 s8, 0x80
	v_cmp_ne_u32_e32 vcc, s8, v22
	v_bfrev_b32_e32 v55, 1
	s_and_saveexec_b64 s[8:9], vcc
	s_cbranch_execz .LBB602_346
; %bb.343:
	v_bfe_u32 v23, v23, 24, 7
	s_movk_i32 s10, 0x7f
	v_cmp_ne_u32_e32 vcc, s10, v23
	v_mov_b32_e32 v55, 0x7f800001
	s_and_saveexec_b64 s[10:11], vcc
	s_cbranch_execz .LBB602_345
; %bb.344:
	v_and_b32_e32 v55, 7, v22
	v_ffbh_u32_e32 v56, v55
	v_min_u32_e32 v59, 32, v56
	v_subrev_u32_e32 v56, 28, v59
	v_lshlrev_b64 v[56:57], v56, v[22:23]
	v_lshrrev_b32_e32 v58, 3, v23
	v_sub_u32_e32 v57, 29, v59
	v_and_b32_e32 v56, 7, v56
	v_cmp_gt_u32_e32 vcc, 8, v23
	v_cndmask_b32_e32 v23, v58, v57, vcc
	v_cndmask_b32_e32 v55, v55, v56, vcc
	v_lshlrev_b32_e32 v22, 24, v22
	v_bfrev_b32_e32 v56, 60
	v_lshlrev_b32_e32 v55, 20, v55
	v_and_b32_e32 v22, 0x80000000, v22
	v_lshl_add_u32 v23, v23, 23, v56
	v_or3_b32 v55, v22, v23, v55
.LBB602_345:
	s_or_b64 exec, exec, s[10:11]
.LBB602_346:
	s_or_b64 exec, exec, s[8:9]
.LBB602_347:
	s_or_b64 exec, exec, s[2:3]
	v_cvt_pkrtz_f16_f32 v22, v51, v44
	v_cvt_pkrtz_f16_f32 v23, v43, v52
	v_cmp_ne_u16_sdwa s[8:9], v24, v42 src0_sel:BYTE_0 src1_sel:DWORD
	s_nop 0
	v_mfma_f32_16x16x16f16 v[56:59], v[22:23], v[26:27], 0
	v_cvt_pkrtz_f16_f32 v22, v45, v54
	v_cvt_pkrtz_f16_f32 v23, v53, v55
	s_nop 1
	v_mfma_f32_16x16x16f16 v[26:29], v[22:23], v[28:29], v[56:59]
	s_and_saveexec_b64 s[2:3], s[8:9]
	s_cbranch_execz .LBB602_353
; %bb.348:
	s_movk_i32 s8, 0x80
	v_cmp_ne_u16_sdwa s[10:11], v24, s8 src0_sel:BYTE_0 src1_sel:DWORD
	v_bfrev_b32_e32 v42, 1
	s_and_saveexec_b64 s[8:9], s[10:11]
	s_cbranch_execz .LBB602_352
; %bb.349:
	s_movk_i32 s10, 0x7f
	v_and_b32_e32 v22, 0x7f, v24
	v_cmp_ne_u32_e32 vcc, s10, v22
	v_mov_b32_e32 v42, 0x7f800001
	s_and_saveexec_b64 s[10:11], vcc
	s_cbranch_execz .LBB602_351
; %bb.350:
	v_and_b32_e32 v23, 7, v24
	v_ffbh_u32_e32 v42, v23
	v_min_u32_e32 v45, 32, v42
	v_subrev_u32_e32 v42, 28, v45
	v_lshlrev_b64 v[42:43], v42, v[24:25]
	v_lshrrev_b32_e32 v44, 3, v22
	v_sub_u32_e32 v43, 29, v45
	v_and_b32_e32 v42, 7, v42
	v_cmp_gt_u32_e32 vcc, 8, v22
	v_cndmask_b32_e32 v22, v44, v43, vcc
	v_cndmask_b32_e32 v23, v23, v42, vcc
	v_lshlrev_b32_e32 v42, 24, v24
	v_bfrev_b32_e32 v43, 60
	v_lshlrev_b32_e32 v23, 20, v23
	v_and_b32_e32 v42, 0x80000000, v42
	v_lshl_add_u32 v22, v22, 23, v43
	v_or3_b32 v42, v42, v22, v23
.LBB602_351:
	s_or_b64 exec, exec, s[10:11]
.LBB602_352:
	s_or_b64 exec, exec, s[8:9]
.LBB602_353:
	s_or_b64 exec, exec, s[2:3]
	v_lshrrev_b16_e32 v22, 8, v24
	v_cmp_ne_u16_e32 vcc, 0, v22
	v_mov_b32_e32 v23, 0
	v_mov_b32_e32 v43, 0
	s_and_saveexec_b64 s[2:3], vcc
	s_cbranch_execz .LBB602_359
; %bb.354:
	s_movk_i32 s8, 0x80
	v_cmp_ne_u16_e32 vcc, s8, v22
	v_bfrev_b32_e32 v43, 1
	s_and_saveexec_b64 s[8:9], vcc
	s_cbranch_execz .LBB602_358
; %bb.355:
	s_movk_i32 s10, 0x7f
	v_and_b32_e32 v44, 0x7f, v22
	v_cmp_ne_u32_e32 vcc, s10, v44
	v_mov_b32_e32 v43, 0x7f800001
	s_and_saveexec_b64 s[10:11], vcc
	s_cbranch_execz .LBB602_357
; %bb.356:
	v_and_b32_e32 v43, 7, v22
	v_ffbh_u32_e32 v51, v43
	v_min_u32_e32 v51, 32, v51
	v_subrev_u32_e32 v52, 28, v51
	v_lshlrev_b64 v[52:53], v52, v[22:23]
	v_lshrrev_b32_e32 v45, 3, v44
	v_sub_u32_e32 v22, 29, v51
	v_and_b32_e32 v51, 7, v52
	v_cmp_gt_u32_e32 vcc, 8, v44
	v_cndmask_b32_e32 v22, v45, v22, vcc
	v_cndmask_b32_e32 v43, v43, v51, vcc
	v_lshlrev_b32_e32 v44, 16, v24
	v_bfrev_b32_e32 v45, 60
	v_lshlrev_b32_e32 v43, 20, v43
	v_and_b32_e32 v44, 0x80000000, v44
	v_lshl_add_u32 v22, v22, 23, v45
	v_or3_b32 v43, v44, v22, v43
.LBB602_357:
	s_or_b64 exec, exec, s[10:11]
.LBB602_358:
	s_or_b64 exec, exec, s[8:9]
.LBB602_359:
	s_or_b64 exec, exec, s[2:3]
	s_movk_i32 s2, 0xff
	v_and_b32_sdwa v44, v24, s2 dst_sel:DWORD dst_unused:UNUSED_PAD src0_sel:WORD_1 src1_sel:DWORD
	v_lshrrev_b32_e32 v22, 16, v24
	v_cmp_ne_u16_e32 vcc, 0, v44
	s_and_saveexec_b64 s[2:3], vcc
	s_cbranch_execz .LBB602_365
; %bb.360:
	s_movk_i32 s8, 0x80
	v_cmp_ne_u16_e32 vcc, s8, v44
	v_bfrev_b32_e32 v23, 1
	s_and_saveexec_b64 s[8:9], vcc
	s_cbranch_execz .LBB602_364
; %bb.361:
	v_bfe_u32 v44, v24, 16, 7
	s_movk_i32 s10, 0x7f
	v_cmp_ne_u32_e32 vcc, s10, v44
	v_mov_b32_e32 v23, 0x7f800001
	s_and_saveexec_b64 s[10:11], vcc
	s_cbranch_execz .LBB602_363
; %bb.362:
	v_and_b32_e32 v45, 7, v22
	v_ffbh_u32_e32 v23, v45
	v_min_u32_e32 v52, 32, v23
	v_subrev_u32_e32 v23, 28, v52
	v_lshlrev_b64 v[22:23], v23, v[22:23]
	v_lshrrev_b32_e32 v51, 3, v44
	v_sub_u32_e32 v23, 29, v52
	v_and_b32_e32 v22, 7, v22
	v_cmp_gt_u32_e32 vcc, 8, v44
	v_mov_b32_e32 v44, 24
	v_cndmask_b32_e32 v23, v51, v23, vcc
	v_cndmask_b32_e32 v22, v45, v22, vcc
	v_lshlrev_b32_sdwa v44, v44, v24 dst_sel:DWORD dst_unused:UNUSED_PAD src0_sel:DWORD src1_sel:WORD_1
	v_bfrev_b32_e32 v45, 60
	v_lshlrev_b32_e32 v22, 20, v22
	v_and_b32_e32 v44, 0x80000000, v44
	v_lshl_add_u32 v23, v23, 23, v45
	v_or3_b32 v23, v44, v23, v22
.LBB602_363:
	s_or_b64 exec, exec, s[10:11]
.LBB602_364:
	s_or_b64 exec, exec, s[8:9]
.LBB602_365:
	s_or_b64 exec, exec, s[2:3]
	s_mov_b32 s2, 0xffffff
	v_cmp_lt_u32_e32 vcc, s2, v24
	v_mov_b32_e32 v44, 0
	v_mov_b32_e32 v45, 0
	s_and_saveexec_b64 s[2:3], vcc
	s_cbranch_execz .LBB602_371
; %bb.366:
	v_lshrrev_b32_e32 v22, 24, v24
	s_movk_i32 s8, 0x80
	v_cmp_ne_u32_e32 vcc, s8, v22
	v_bfrev_b32_e32 v45, 1
	s_and_saveexec_b64 s[8:9], vcc
	s_cbranch_execz .LBB602_370
; %bb.367:
	v_bfe_u32 v24, v24, 24, 7
	s_movk_i32 s10, 0x7f
	v_cmp_ne_u32_e32 vcc, s10, v24
	v_mov_b32_e32 v45, 0x7f800001
	s_and_saveexec_b64 s[10:11], vcc
	s_cbranch_execz .LBB602_369
; %bb.368:
	v_and_b32_e32 v45, 7, v22
	v_ffbh_u32_e32 v52, v45
	v_min_u32_e32 v54, 32, v52
	v_subrev_u32_e32 v52, 28, v54
	v_lshlrev_b64 v[52:53], v52, v[22:23]
	v_lshrrev_b32_e32 v51, 3, v24
	v_sub_u32_e32 v53, 29, v54
	v_and_b32_e32 v52, 7, v52
	v_cmp_gt_u32_e32 vcc, 8, v24
	v_cndmask_b32_e32 v24, v51, v53, vcc
	v_cndmask_b32_e32 v45, v45, v52, vcc
	v_lshlrev_b32_e32 v22, 24, v22
	v_bfrev_b32_e32 v51, 60
	v_lshlrev_b32_e32 v45, 20, v45
	v_and_b32_e32 v22, 0x80000000, v22
	v_lshl_add_u32 v24, v24, 23, v51
	v_or3_b32 v45, v22, v24, v45
.LBB602_369:
	s_or_b64 exec, exec, s[10:11]
.LBB602_370:
	s_or_b64 exec, exec, s[8:9]
.LBB602_371:
	s_or_b64 exec, exec, s[2:3]
	v_cmp_ne_u16_sdwa s[8:9], v25, v44 src0_sel:BYTE_0 src1_sel:DWORD
	s_and_saveexec_b64 s[2:3], s[8:9]
	s_cbranch_execz .LBB602_377
; %bb.372:
	s_movk_i32 s8, 0x80
	v_cmp_ne_u16_sdwa s[10:11], v25, s8 src0_sel:BYTE_0 src1_sel:DWORD
	v_bfrev_b32_e32 v44, 1
	s_and_saveexec_b64 s[8:9], s[10:11]
	s_cbranch_execz .LBB602_376
; %bb.373:
	s_movk_i32 s10, 0x7f
	v_and_b32_e32 v22, 0x7f, v25
	v_cmp_ne_u32_e32 vcc, s10, v22
	v_mov_b32_e32 v44, 0x7f800001
	s_and_saveexec_b64 s[10:11], vcc
	s_cbranch_execz .LBB602_375
; %bb.374:
	v_and_b32_e32 v44, 7, v25
	v_ffbh_u32_e32 v52, v44
	v_min_u32_e32 v54, 32, v52
	v_mov_b32_e32 v24, v25
	v_subrev_u32_e32 v52, 28, v54
	v_lshlrev_b64 v[52:53], v52, v[24:25]
	v_lshrrev_b32_e32 v51, 3, v22
	v_sub_u32_e32 v24, 29, v54
	v_and_b32_e32 v52, 7, v52
	v_cmp_gt_u32_e32 vcc, 8, v22
	v_cndmask_b32_e32 v22, v51, v24, vcc
	v_cndmask_b32_e32 v24, v44, v52, vcc
	v_lshlrev_b32_e32 v44, 24, v25
	v_bfrev_b32_e32 v51, 60
	v_lshlrev_b32_e32 v24, 20, v24
	v_and_b32_e32 v44, 0x80000000, v44
	v_lshl_add_u32 v22, v22, 23, v51
	v_or3_b32 v44, v44, v22, v24
.LBB602_375:
	s_or_b64 exec, exec, s[10:11]
.LBB602_376:
	s_or_b64 exec, exec, s[8:9]
.LBB602_377:
	s_or_b64 exec, exec, s[2:3]
	v_lshrrev_b16_e32 v22, 8, v25
	v_cmp_ne_u16_e32 vcc, 0, v22
	v_mov_b32_e32 v24, 0
	v_mov_b32_e32 v52, 0
	s_and_saveexec_b64 s[2:3], vcc
	s_cbranch_execz .LBB602_383
; %bb.378:
	s_movk_i32 s8, 0x80
	v_cmp_ne_u16_e32 vcc, s8, v22
	v_bfrev_b32_e32 v52, 1
	s_and_saveexec_b64 s[8:9], vcc
	s_cbranch_execz .LBB602_382
; %bb.379:
	s_movk_i32 s10, 0x7f
	v_and_b32_e32 v51, 0x7f, v22
	v_cmp_ne_u32_e32 vcc, s10, v51
	v_mov_b32_e32 v52, 0x7f800001
	s_and_saveexec_b64 s[10:11], vcc
	s_cbranch_execz .LBB602_381
; %bb.380:
	v_and_b32_e32 v54, 7, v22
	v_ffbh_u32_e32 v52, v54
	v_min_u32_e32 v56, 32, v52
	v_subrev_u32_e32 v52, 28, v56
	v_lshlrev_b64 v[52:53], v52, v[22:23]
	v_lshrrev_b32_e32 v55, 3, v51
	v_sub_u32_e32 v22, 29, v56
	v_and_b32_e32 v52, 7, v52
	v_cmp_gt_u32_e32 vcc, 8, v51
	v_cndmask_b32_e32 v22, v55, v22, vcc
	v_cndmask_b32_e32 v51, v54, v52, vcc
	v_lshlrev_b32_e32 v52, 16, v25
	v_bfrev_b32_e32 v53, 60
	v_lshlrev_b32_e32 v51, 20, v51
	v_and_b32_e32 v52, 0x80000000, v52
	v_lshl_add_u32 v22, v22, 23, v53
	v_or3_b32 v52, v52, v22, v51
.LBB602_381:
	s_or_b64 exec, exec, s[10:11]
.LBB602_382:
	s_or_b64 exec, exec, s[8:9]
.LBB602_383:
	s_or_b64 exec, exec, s[2:3]
	s_movk_i32 s2, 0xff
	v_and_b32_sdwa v51, v25, s2 dst_sel:DWORD dst_unused:UNUSED_PAD src0_sel:WORD_1 src1_sel:DWORD
	v_lshrrev_b32_e32 v22, 16, v25
	v_cmp_ne_u16_e32 vcc, 0, v51
	s_and_saveexec_b64 s[2:3], vcc
	s_cbranch_execz .LBB602_389
; %bb.384:
	s_movk_i32 s8, 0x80
	v_cmp_ne_u16_e32 vcc, s8, v51
	v_bfrev_b32_e32 v24, 1
	s_and_saveexec_b64 s[8:9], vcc
	s_cbranch_execz .LBB602_388
; %bb.385:
	v_bfe_u32 v51, v25, 16, 7
	s_movk_i32 s10, 0x7f
	v_cmp_ne_u32_e32 vcc, s10, v51
	v_mov_b32_e32 v24, 0x7f800001
	s_and_saveexec_b64 s[10:11], vcc
	s_cbranch_execz .LBB602_387
; %bb.386:
	v_and_b32_e32 v24, 7, v22
	v_ffbh_u32_e32 v54, v24
	v_min_u32_e32 v56, 32, v54
	v_subrev_u32_e32 v54, 28, v56
	v_lshlrev_b64 v[54:55], v54, v[22:23]
	v_lshrrev_b32_e32 v53, 3, v51
	v_sub_u32_e32 v22, 29, v56
	v_and_b32_e32 v54, 7, v54
	v_cmp_gt_u32_e32 vcc, 8, v51
	v_mov_b32_e32 v51, 24
	v_cndmask_b32_e32 v22, v53, v22, vcc
	v_cndmask_b32_e32 v24, v24, v54, vcc
	v_lshlrev_b32_sdwa v51, v51, v25 dst_sel:DWORD dst_unused:UNUSED_PAD src0_sel:DWORD src1_sel:WORD_1
	v_bfrev_b32_e32 v53, 60
	v_lshlrev_b32_e32 v24, 20, v24
	v_and_b32_e32 v51, 0x80000000, v51
	v_lshl_add_u32 v22, v22, 23, v53
	v_or3_b32 v24, v51, v22, v24
.LBB602_387:
	s_or_b64 exec, exec, s[10:11]
.LBB602_388:
	s_or_b64 exec, exec, s[8:9]
.LBB602_389:
	s_or_b64 exec, exec, s[2:3]
	s_mov_b32 s2, 0xffffff
	v_and_b32_e32 v51, 63, v0
	v_cmp_lt_u32_e32 vcc, s2, v25
	v_mov_b32_e32 v53, 0
	s_and_saveexec_b64 s[2:3], vcc
	s_cbranch_execz .LBB602_395
; %bb.390:
	v_lshrrev_b32_e32 v22, 24, v25
	s_movk_i32 s8, 0x80
	v_cmp_ne_u32_e32 vcc, s8, v22
	v_bfrev_b32_e32 v53, 1
	s_and_saveexec_b64 s[8:9], vcc
	s_cbranch_execz .LBB602_394
; %bb.391:
	v_bfe_u32 v25, v25, 24, 7
	s_movk_i32 s10, 0x7f
	v_cmp_ne_u32_e32 vcc, s10, v25
	v_mov_b32_e32 v53, 0x7f800001
	s_and_saveexec_b64 s[10:11], vcc
	s_cbranch_execz .LBB602_393
; %bb.392:
	v_and_b32_e32 v53, 7, v22
	v_ffbh_u32_e32 v54, v53
	v_min_u32_e32 v57, 32, v54
	v_subrev_u32_e32 v54, 28, v57
	v_lshlrev_b64 v[54:55], v54, v[22:23]
	v_lshrrev_b32_e32 v56, 3, v25
	v_sub_u32_e32 v55, 29, v57
	v_and_b32_e32 v54, 7, v54
	v_cmp_gt_u32_e32 vcc, 8, v25
	v_cndmask_b32_e32 v25, v56, v55, vcc
	v_cndmask_b32_e32 v53, v53, v54, vcc
	v_lshlrev_b32_e32 v22, 24, v22
	v_bfrev_b32_e32 v54, 60
	v_lshlrev_b32_e32 v53, 20, v53
	v_and_b32_e32 v22, 0x80000000, v22
	v_lshl_add_u32 v25, v25, 23, v54
	v_or3_b32 v53, v22, v25, v53
.LBB602_393:
	s_or_b64 exec, exec, s[10:11]
.LBB602_394:
	s_or_b64 exec, exec, s[8:9]
.LBB602_395:
	s_or_b64 exec, exec, s[2:3]
	v_cvt_pkrtz_f16_f32 v42, v42, v43
	v_cvt_pkrtz_f16_f32 v43, v23, v45
	s_load_dword s2, s[4:5], 0x1c
	s_mov_b32 s46, 0xff7fffff
	s_waitcnt lgkmcnt(0)
	v_mfma_f32_16x16x16f16 v[26:29], v[42:43], v[18:19], v[26:29]
	v_cvt_pkrtz_f16_f32 v18, v44, v52
	v_cvt_pkrtz_f16_f32 v19, v24, v53
	v_and_b32_e32 v24, 0xc0, v0
	v_mov_b32_e32 v22, s2
	v_add_u32_e32 v24, s20, v24
	v_mul_f32_e32 v54, s12, v22
	v_lshl_or_b32 v42, v1, 2, v24
	v_mfma_f32_16x16x16f16 v[18:21], v[18:19], v[20:21], v[26:29]
	v_pk_mul_f32 v[22:23], v[54:55], v[36:37] op_sel_hi:[0,1]
	v_pk_mul_f32 v[36:37], v[54:55], v[40:41] op_sel_hi:[0,1]
	;; [unrolled: 1-line block ×4, first 2 shown]
	v_mov_b32_e32 v43, 0xff7fffff
	v_cmp_gt_i32_e64 s[26:27], s33, v42
	v_pk_mul_f32 v[38:39], v[54:55], v[38:39] op_sel_hi:[0,1]
	s_nop 3
	v_pk_mul_f32 v[32:33], v[54:55], v[18:19] op_sel_hi:[0,1]
	v_or_b32_e32 v19, 1, v42
	v_cmp_gt_i32_e64 s[28:29], s33, v19
	v_cndmask_b32_e64 v18, v43, v30, s[26:27]
	v_cndmask_b32_e64 v19, v43, v31, s[28:29]
	v_pk_mul_f32 v[24:25], v[54:55], v[20:21] op_sel_hi:[0,1]
	v_max3_f32 v18, v18, s46, v19
	v_or_b32_e32 v19, 2, v42
	v_or_b32_e32 v20, 3, v42
	v_cmp_gt_i32_e64 s[30:31], s33, v19
	v_cmp_gt_i32_e64 s[34:35], s33, v20
	v_cndmask_b32_e64 v19, v43, v40, s[30:31]
	v_cndmask_b32_e64 v20, v43, v41, s[34:35]
	v_max3_f32 v18, v18, v19, v20
	v_or_b32_e32 v19, 16, v42
	v_or_b32_e32 v20, 17, v42
	v_cmp_gt_i32_e64 s[36:37], s33, v19
	v_cmp_gt_i32_e64 s[38:39], s33, v20
	v_cndmask_b32_e64 v19, v43, v38, s[36:37]
	v_cndmask_b32_e64 v20, v43, v39, s[38:39]
	;; [unrolled: 7-line block ×3, first 2 shown]
	v_max3_f32 v18, v18, v19, v20
	v_or_b32_e32 v19, 32, v42
	v_or_b32_e32 v20, 33, v42
	v_pk_mul_f32 v[34:35], v[54:55], v[34:35] op_sel_hi:[0,1]
	v_cmp_gt_i32_e64 s[16:17], s33, v19
	v_cmp_gt_i32_e64 s[18:19], s33, v20
	v_cndmask_b32_e64 v19, v43, v34, s[16:17]
	v_cndmask_b32_e64 v20, v43, v35, s[18:19]
	v_max3_f32 v18, v18, v19, v20
	v_or_b32_e32 v19, 34, v42
	v_or_b32_e32 v20, 35, v42
	v_cmp_gt_i32_e64 s[12:13], s33, v19
	v_cmp_gt_i32_e64 s[14:15], s33, v20
	v_cndmask_b32_e64 v19, v43, v22, s[12:13]
	v_cndmask_b32_e64 v20, v43, v23, s[14:15]
	v_max3_f32 v18, v18, v19, v20
	v_or_b32_e32 v19, 48, v42
	v_or_b32_e32 v20, 49, v42
	;; [unrolled: 7-line block ×3, first 2 shown]
	v_cmp_gt_i32_e32 vcc, s33, v19
	v_cmp_gt_i32_e64 s[2:3], s33, v20
	v_cndmask_b32_e32 v19, v43, v24, vcc
	v_cndmask_b32_e64 v20, v43, v25, s[2:3]
	v_max3_f32 v18, v18, v19, v20
	v_mbcnt_lo_u32_b32 v19, -1, 0
	v_mbcnt_hi_u32_b32 v19, -1, v19
	v_and_b32_e32 v20, 64, v19
	v_add_u32_e32 v20, 64, v20
	v_xor_b32_e32 v21, 32, v19
	v_cmp_lt_i32_e64 s[40:41], v21, v20
	v_cndmask_b32_e64 v21, v19, v21, s[40:41]
	v_lshlrev_b32_e32 v43, 2, v21
	ds_bpermute_b32 v21, v43, v18
	s_barrier
	s_waitcnt lgkmcnt(0)
	v_max_f32_e32 v21, v21, v21
	v_max_f32_e32 v18, v18, v21
	v_xor_b32_e32 v21, 16, v19
	v_cmp_lt_i32_e64 s[40:41], v21, v20
	v_cndmask_b32_e64 v19, v19, v21, s[40:41]
	v_lshlrev_b32_e32 v44, 2, v19
	ds_bpermute_b32 v19, v44, v18
	s_waitcnt lgkmcnt(0)
	v_max_f32_e32 v19, v19, v19
	v_max_f32_e32 v42, v18, v19
	v_sub_f32_e32 v21, v40, v42
	v_sub_f32_e32 v26, v41, v42
	v_mul_f32_e32 v21, 0x3fb8aa3b, v21
	v_mul_f32_e32 v26, 0x3fb8aa3b, v26
	v_sub_f32_e32 v18, v30, v42
	v_exp_f32_e32 v21, v21
	v_exp_f32_e32 v26, v26
	v_mul_f32_e32 v18, 0x3fb8aa3b, v18
	v_sub_f32_e32 v19, v31, v42
	v_exp_f32_e32 v18, v18
	v_mul_f32_e32 v19, 0x3fb8aa3b, v19
	v_exp_f32_e32 v19, v19
	v_cndmask_b32_e64 v28, 0, v21, s[30:31]
	v_cndmask_b32_e64 v29, 0, v26, s[34:35]
	v_sub_f32_e32 v21, v38, v42
	v_sub_f32_e32 v26, v39, v42
	v_mul_f32_e32 v21, 0x3fb8aa3b, v21
	v_mul_f32_e32 v26, 0x3fb8aa3b, v26
	v_cndmask_b32_e64 v18, 0, v18, s[26:27]
	v_exp_f32_e32 v21, v21
	v_exp_f32_e32 v26, v26
	v_add_f32_e32 v20, 0, v18
	v_cndmask_b32_e64 v19, 0, v19, s[28:29]
	v_add_f32_e32 v20, v20, v19
	v_add_f32_e32 v20, v20, v28
	;; [unrolled: 1-line block ×3, first 2 shown]
	v_cndmask_b32_e64 v20, 0, v21, s[36:37]
	v_cndmask_b32_e64 v21, 0, v26, s[38:39]
	v_sub_f32_e32 v26, v36, v42
	v_mul_f32_e32 v26, 0x3fb8aa3b, v26
	v_exp_f32_e32 v26, v26
	v_sub_f32_e32 v30, v37, v42
	v_add_f32_e32 v27, v27, v20
	v_mul_f32_e32 v30, 0x3fb8aa3b, v30
	v_exp_f32_e32 v31, v30
	v_add_f32_e32 v27, v27, v21
	v_cndmask_b32_e64 v30, 0, v26, s[20:21]
	v_add_f32_e32 v26, v27, v30
	v_sub_f32_e32 v27, v34, v42
	v_mul_f32_e32 v27, 0x3fb8aa3b, v27
	v_sub_f32_e32 v34, v35, v42
	v_exp_f32_e32 v27, v27
	v_mul_f32_e32 v34, 0x3fb8aa3b, v34
	v_sub_f32_e32 v22, v22, v42
	v_exp_f32_e32 v34, v34
	v_mul_f32_e32 v22, 0x3fb8aa3b, v22
	v_sub_f32_e32 v23, v23, v42
	v_exp_f32_e32 v22, v22
	v_mul_f32_e32 v23, 0x3fb8aa3b, v23
	v_cndmask_b32_e64 v31, 0, v31, s[22:23]
	v_exp_f32_e32 v23, v23
	v_add_f32_e32 v35, v26, v31
	v_cndmask_b32_e64 v26, 0, v27, s[16:17]
	v_add_f32_e32 v35, v35, v26
	v_cndmask_b32_e64 v27, 0, v34, s[18:19]
	;; [unrolled: 2-line block ×4, first 2 shown]
	v_sub_f32_e32 v23, v32, v42
	v_mul_f32_e32 v23, 0x3fb8aa3b, v23
	v_sub_f32_e32 v32, v33, v42
	v_exp_f32_e32 v23, v23
	v_mul_f32_e32 v32, 0x3fb8aa3b, v32
	v_sub_f32_e32 v24, v24, v42
	v_exp_f32_e32 v32, v32
	;; [unrolled: 3-line block ×3, first 2 shown]
	v_mul_f32_e32 v25, 0x3fb8aa3b, v25
	v_exp_f32_e32 v25, v25
	v_add_f32_e32 v33, v22, v35
	v_cndmask_b32_e64 v22, 0, v23, s[8:9]
	v_add_f32_e32 v33, v33, v22
	v_cndmask_b32_e64 v23, 0, v32, s[10:11]
	v_add_f32_e32 v32, v33, v23
	v_cndmask_b32_e32 v24, 0, v24, vcc
	v_add_f32_e32 v32, v32, v24
	v_cndmask_b32_e64 v25, 0, v25, s[2:3]
	v_add_f32_e32 v32, v32, v25
	ds_bpermute_b32 v33, v43, v32
	v_cmp_gt_u32_e64 s[2:3], 16, v51
	s_waitcnt lgkmcnt(0)
	v_add_f32_e32 v33, v32, v33
	ds_bpermute_b32 v36, v44, v33
	v_lshlrev_b32_e32 v32, 2, v49
	s_and_saveexec_b64 s[8:9], s[2:3]
	s_cbranch_execz .LBB602_397
; %bb.396:
	s_waitcnt lgkmcnt(0)
	v_add_f32_e32 v33, v33, v36
	v_lshl_or_b32 v36, v50, 6, v32
	ds_write2st64_b32 v36, v42, v33 offset1:1
.LBB602_397:
	s_or_b64 exec, exec, s[8:9]
	s_waitcnt lgkmcnt(0)
	s_barrier
	ds_read2_b32 v[36:37], v32 offset1:16
	ds_read2_b32 v[38:39], v32 offset0:32 offset1:48
	ds_read2_b32 v[40:41], v32 offset0:64 offset1:80
	;; [unrolled: 1-line block ×3, first 2 shown]
	s_waitcnt lgkmcnt(0)
	v_max3_f32 v33, v36, s46, v37
	v_max3_f32 v33, v33, v38, v39
	v_sub_f32_e32 v36, v36, v33
	v_mul_f32_e32 v36, 0x3fb8aa3b, v36
	v_exp_f32_e32 v44, v36
	v_sub_f32_e32 v36, v37, v33
	v_mul_f32_e32 v36, 0x3fb8aa3b, v36
	v_exp_f32_e32 v37, v36
	v_sub_f32_e32 v36, v38, v33
	v_mul_f32_e32 v36, 0x3fb8aa3b, v36
	v_sub_f32_e32 v32, v39, v33
	v_exp_f32_e32 v38, v36
	v_mul_f32_e32 v32, 0x3fb8aa3b, v32
	v_exp_f32_e32 v39, v32
	v_fma_f32 v36, v44, v40, 0
	v_fmac_f32_e32 v36, v37, v41
	v_fmac_f32_e32 v36, v38, v42
	v_fmac_f32_e32 v36, v39, v43
	v_add_f32_e32 v40, 0x358637bd, v36
	v_div_scale_f32 v41, s[8:9], v40, v40, 1.0
	v_rcp_f32_e32 v42, v41
	s_barrier
	s_mul_i32 s14, s45, 13
	v_fma_f32 v43, -v41, v42, 1.0
	v_fmac_f32_e32 v42, v43, v42
	v_div_scale_f32 v43, vcc, 1.0, v40, 1.0
	v_mul_f32_e32 v45, v43, v42
	v_fma_f32 v51, -v41, v45, v43
	v_fmac_f32_e32 v45, v51, v42
	v_fma_f32 v41, -v41, v45, v43
	v_div_fmas_f32 v41, v41, v42, v45
	v_cmp_eq_u32_e32 vcc, 1, v50
	v_cndmask_b32_e32 v37, v44, v37, vcc
	v_cmp_eq_u32_e32 vcc, 2, v50
	v_cndmask_b32_e32 v37, v37, v38, vcc
	v_cmp_eq_u32_e32 vcc, 3, v50
	v_div_fixup_f32 v40, v41, v40, 1.0
	v_cndmask_b32_e32 v37, v37, v39, vcc
	v_mul_f32_e32 v38, v37, v40
	v_pk_mul_f32 v[28:29], v[38:39], v[28:29] op_sel_hi:[0,1]
	v_pk_mul_f32 v[18:19], v[38:39], v[18:19] op_sel_hi:[0,1]
	v_cvt_f16_f32_e32 v18, v18
	v_cvt_f16_f32_e32 v19, v19
	;; [unrolled: 1-line block ×4, first 2 shown]
	v_pk_mul_f32 v[20:21], v[38:39], v[20:21] op_sel_hi:[0,1]
	v_pack_b32_f16 v18, v18, v19
	v_cvt_f16_f32_e32 v20, v20
	v_pack_b32_f16 v19, v28, v29
	v_pk_mul_f32 v[28:29], v[38:39], v[30:31] op_sel_hi:[0,1]
	v_cvt_f16_f32_e32 v21, v21
	v_cvt_f16_f32_e32 v30, v28
	;; [unrolled: 1-line block ×3, first 2 shown]
	v_lshlrev_b32_e32 v37, 3, v1
	v_lshlrev_b32_e32 v28, 11, v50
	v_or3_b32 v28, v28, v48, v37
	v_pack_b32_f16 v20, v20, v21
	v_pack_b32_f16 v21, v30, v29
	ds_write2st64_b64 v28, v[18:19], v[20:21] offset1:1
	v_pk_mul_f32 v[18:19], v[38:39], v[34:35] op_sel_hi:[0,1]
	v_pk_mul_f32 v[20:21], v[38:39], v[26:27] op_sel_hi:[0,1]
	v_cvt_f16_f32_e32 v26, v20
	v_cvt_f16_f32_e32 v27, v21
	;; [unrolled: 1-line block ×4, first 2 shown]
	v_pk_mul_f32 v[18:19], v[38:39], v[24:25] op_sel_hi:[0,1]
	v_pk_mul_f32 v[20:21], v[38:39], v[22:23] op_sel_hi:[0,1]
	v_cvt_f16_f32_e32 v20, v20
	v_cvt_f16_f32_e32 v21, v21
	;; [unrolled: 1-line block ×4, first 2 shown]
	v_mov_b32_e32 v32, 0
	v_pack_b32_f16 v18, v26, v27
	v_pack_b32_f16 v19, v29, v30
	;; [unrolled: 1-line block ×4, first 2 shown]
	v_cmp_gt_u32_e32 vcc, 13, v0
	ds_write2st64_b64 v28, v[18:19], v[20:21] offset0:2 offset1:3
	s_and_saveexec_b64 s[8:9], vcc
	s_cbranch_execz .LBB602_399
; %bb.398:
	v_add_co_u32_e32 v20, vcc, s25, v49
	v_addc_co_u32_e64 v21, s[10:11], 0, 0, vcc
	v_mov_b32_e32 v18, s14
	v_mov_b32_e32 v19, 0
	v_mad_u64_u32 v[20:21], s[10:11], s6, v18, v[20:21]
	v_mov_b32_e32 v18, s24
	s_load_dwordx4 s[16:19], s[4:5], 0x58
	s_mul_i32 s7, s7, s14
	v_mad_u64_u32 v[18:19], s[10:11], v20, s44, v[18:19]
	v_add_u32_e32 v21, s7, v21
	v_mov_b32_e32 v20, v19
	v_mad_u64_u32 v[20:21], s[10:11], v21, s44, v[20:21]
	v_mov_b32_e32 v19, v20
	v_lshlrev_b64 v[18:19], 2, v[18:19]
	s_waitcnt lgkmcnt(0)
	v_mov_b32_e32 v21, s19
	v_add_co_u32_e32 v20, vcc, s18, v18
	v_addc_co_u32_e32 v21, vcc, v21, v19, vcc
	global_store_dword v[20:21], v33, off
	v_mov_b32_e32 v20, s17
	v_add_co_u32_e32 v18, vcc, s16, v18
	v_addc_co_u32_e32 v19, vcc, v20, v19, vcc
	global_store_dword v[18:19], v36, off
.LBB602_399:
	s_or_b64 exec, exec, s[8:9]
	v_mov_b32_e32 v19, 0
	s_waitcnt vmcnt(3)
	v_cmp_ne_u16_sdwa s[10:11], v14, v19 src0_sel:BYTE_0 src1_sel:DWORD
	s_waitcnt lgkmcnt(0)
	s_barrier
	s_and_saveexec_b64 s[8:9], s[10:11]
	s_cbranch_execz .LBB602_405
; %bb.400:
	s_movk_i32 s7, 0x80
	v_cmp_ne_u16_sdwa s[12:13], v14, s7 src0_sel:BYTE_0 src1_sel:DWORD
	v_bfrev_b32_e32 v32, 1
	s_and_saveexec_b64 s[10:11], s[12:13]
	s_cbranch_execz .LBB602_404
; %bb.401:
	s_movk_i32 s7, 0x7f
	v_and_b32_e32 v18, 0x7f, v14
	v_cmp_ne_u32_e32 vcc, s7, v18
	v_mov_b32_e32 v32, 0x7f800001
	s_and_saveexec_b64 s[12:13], vcc
	s_cbranch_execz .LBB602_403
; %bb.402:
	v_and_b32_e32 v22, 7, v14
	v_ffbh_u32_e32 v20, v22
	v_min_u32_e32 v24, 32, v20
	v_subrev_u32_e32 v20, 28, v24
	v_lshlrev_b64 v[20:21], v20, v[14:15]
	v_lshrrev_b32_e32 v23, 3, v18
	v_sub_u32_e32 v21, 29, v24
	v_and_b32_e32 v20, 7, v20
	v_cmp_gt_u32_e32 vcc, 8, v18
	v_cndmask_b32_e32 v18, v23, v21, vcc
	v_cndmask_b32_e32 v20, v22, v20, vcc
	v_lshlrev_b32_e32 v21, 24, v14
	v_bfrev_b32_e32 v22, 60
	v_lshlrev_b32_e32 v20, 20, v20
	v_and_b32_e32 v21, 0x80000000, v21
	v_lshl_add_u32 v18, v18, 23, v22
	v_or3_b32 v32, v21, v18, v20
.LBB602_403:
	s_or_b64 exec, exec, s[12:13]
.LBB602_404:
	s_or_b64 exec, exec, s[10:11]
.LBB602_405:
	s_or_b64 exec, exec, s[8:9]
	v_lshrrev_b16_e32 v18, 8, v14
	v_cmp_ne_u16_e32 vcc, 0, v18
	v_mov_b32_e32 v20, 0
	s_and_saveexec_b64 s[8:9], vcc
	s_cbranch_execz .LBB602_411
; %bb.406:
	s_movk_i32 s7, 0x80
	v_cmp_ne_u16_e32 vcc, s7, v18
	v_bfrev_b32_e32 v20, 1
	s_and_saveexec_b64 s[10:11], vcc
	s_cbranch_execz .LBB602_410
; %bb.407:
	s_movk_i32 s7, 0x7f
	v_and_b32_e32 v21, 0x7f, v18
	v_cmp_ne_u32_e32 vcc, s7, v21
	v_mov_b32_e32 v20, 0x7f800001
	s_and_saveexec_b64 s[12:13], vcc
	s_cbranch_execz .LBB602_409
; %bb.408:
	v_and_b32_e32 v20, 7, v18
	v_ffbh_u32_e32 v22, v20
	v_min_u32_e32 v25, 32, v22
	v_subrev_u32_e32 v22, 28, v25
	v_lshlrev_b64 v[22:23], v22, v[18:19]
	v_lshrrev_b32_e32 v24, 3, v21
	v_sub_u32_e32 v18, 29, v25
	v_and_b32_e32 v22, 7, v22
	v_cmp_gt_u32_e32 vcc, 8, v21
	v_cndmask_b32_e32 v18, v24, v18, vcc
	v_cndmask_b32_e32 v20, v20, v22, vcc
	v_lshlrev_b32_e32 v21, 16, v14
	v_bfrev_b32_e32 v22, 60
	v_lshlrev_b32_e32 v20, 20, v20
	v_and_b32_e32 v21, 0x80000000, v21
	v_lshl_add_u32 v18, v18, 23, v22
	v_or3_b32 v20, v21, v18, v20
.LBB602_409:
	s_or_b64 exec, exec, s[12:13]
.LBB602_410:
	s_or_b64 exec, exec, s[10:11]
.LBB602_411:
	s_or_b64 exec, exec, s[8:9]
	s_movk_i32 s7, 0xff
	v_and_b32_sdwa v21, v14, s7 dst_sel:DWORD dst_unused:UNUSED_PAD src0_sel:WORD_1 src1_sel:DWORD
	v_lshrrev_b32_e32 v18, 16, v14
	v_cmp_ne_u16_e32 vcc, 0, v21
	s_and_saveexec_b64 s[8:9], vcc
	s_cbranch_execz .LBB602_417
; %bb.412:
	s_movk_i32 s7, 0x80
	v_cmp_ne_u16_e32 vcc, s7, v21
	v_bfrev_b32_e32 v19, 1
	s_and_saveexec_b64 s[10:11], vcc
	s_cbranch_execz .LBB602_416
; %bb.413:
	v_bfe_u32 v21, v14, 16, 7
	s_movk_i32 s7, 0x7f
	v_cmp_ne_u32_e32 vcc, s7, v21
	v_mov_b32_e32 v19, 0x7f800001
	s_and_saveexec_b64 s[12:13], vcc
	s_cbranch_execz .LBB602_415
; %bb.414:
	v_and_b32_e32 v22, 7, v18
	v_ffbh_u32_e32 v19, v22
	v_min_u32_e32 v24, 32, v19
	v_subrev_u32_e32 v19, 28, v24
	v_lshlrev_b64 v[18:19], v19, v[18:19]
	v_lshrrev_b32_e32 v23, 3, v21
	v_sub_u32_e32 v19, 29, v24
	v_and_b32_e32 v18, 7, v18
	v_cmp_gt_u32_e32 vcc, 8, v21
	v_mov_b32_e32 v21, 24
	v_cndmask_b32_e32 v19, v23, v19, vcc
	v_cndmask_b32_e32 v18, v22, v18, vcc
	v_lshlrev_b32_sdwa v21, v21, v14 dst_sel:DWORD dst_unused:UNUSED_PAD src0_sel:DWORD src1_sel:WORD_1
	v_bfrev_b32_e32 v22, 60
	v_lshlrev_b32_e32 v18, 20, v18
	v_and_b32_e32 v21, 0x80000000, v21
	v_lshl_add_u32 v19, v19, 23, v22
	v_or3_b32 v19, v21, v19, v18
.LBB602_415:
	s_or_b64 exec, exec, s[12:13]
.LBB602_416:
	s_or_b64 exec, exec, s[10:11]
.LBB602_417:
	s_or_b64 exec, exec, s[8:9]
	s_mov_b32 s7, 0xffffff
	v_cmp_lt_u32_e32 vcc, s7, v14
	v_mov_b32_e32 v21, 0
	v_mov_b32_e32 v22, 0
	s_and_saveexec_b64 s[8:9], vcc
	s_cbranch_execz .LBB602_423
; %bb.418:
	v_lshrrev_b32_e32 v18, 24, v14
	s_movk_i32 s7, 0x80
	v_cmp_ne_u32_e32 vcc, s7, v18
	v_bfrev_b32_e32 v22, 1
	s_and_saveexec_b64 s[10:11], vcc
	s_cbranch_execz .LBB602_422
; %bb.419:
	v_bfe_u32 v14, v14, 24, 7
	s_movk_i32 s7, 0x7f
	v_cmp_ne_u32_e32 vcc, s7, v14
	v_mov_b32_e32 v22, 0x7f800001
	s_and_saveexec_b64 s[12:13], vcc
	s_cbranch_execz .LBB602_421
; %bb.420:
	v_and_b32_e32 v24, 7, v18
	v_ffbh_u32_e32 v22, v24
	v_min_u32_e32 v26, 32, v22
	v_subrev_u32_e32 v22, 28, v26
	v_lshlrev_b64 v[22:23], v22, v[18:19]
	v_lshrrev_b32_e32 v25, 3, v14
	v_sub_u32_e32 v23, 29, v26
	v_and_b32_e32 v22, 7, v22
	v_cmp_gt_u32_e32 vcc, 8, v14
	v_cndmask_b32_e32 v14, v25, v23, vcc
	v_cndmask_b32_e32 v22, v24, v22, vcc
	v_lshlrev_b32_e32 v18, 24, v18
	v_bfrev_b32_e32 v23, 60
	v_lshlrev_b32_e32 v22, 20, v22
	v_and_b32_e32 v18, 0x80000000, v18
	v_lshl_add_u32 v14, v14, 23, v23
	v_or3_b32 v22, v18, v14, v22
.LBB602_421:
	s_or_b64 exec, exec, s[12:13]
.LBB602_422:
	s_or_b64 exec, exec, s[10:11]
.LBB602_423:
	s_or_b64 exec, exec, s[8:9]
	v_cmp_ne_u16_sdwa s[10:11], v15, v21 src0_sel:BYTE_0 src1_sel:DWORD
	s_and_saveexec_b64 s[8:9], s[10:11]
	s_cbranch_execz .LBB602_429
; %bb.424:
	s_movk_i32 s7, 0x80
	v_cmp_ne_u16_sdwa s[12:13], v15, s7 src0_sel:BYTE_0 src1_sel:DWORD
	v_bfrev_b32_e32 v21, 1
	s_and_saveexec_b64 s[10:11], s[12:13]
	s_cbranch_execz .LBB602_428
; %bb.425:
	s_movk_i32 s7, 0x7f
	v_and_b32_e32 v14, 0x7f, v15
	v_cmp_ne_u32_e32 vcc, s7, v14
	v_mov_b32_e32 v21, 0x7f800001
	s_and_saveexec_b64 s[12:13], vcc
	s_cbranch_execz .LBB602_427
; %bb.426:
	v_and_b32_e32 v21, 7, v15
	v_ffbh_u32_e32 v24, v21
	v_min_u32_e32 v26, 32, v24
	v_mov_b32_e32 v18, v15
	v_subrev_u32_e32 v24, 28, v26
	v_lshlrev_b64 v[24:25], v24, v[18:19]
	v_lshrrev_b32_e32 v23, 3, v14
	v_sub_u32_e32 v18, 29, v26
	v_and_b32_e32 v24, 7, v24
	v_cmp_gt_u32_e32 vcc, 8, v14
	v_cndmask_b32_e32 v14, v23, v18, vcc
	v_cndmask_b32_e32 v18, v21, v24, vcc
	v_lshlrev_b32_e32 v21, 24, v15
	v_bfrev_b32_e32 v23, 60
	v_lshlrev_b32_e32 v18, 20, v18
	v_and_b32_e32 v21, 0x80000000, v21
	v_lshl_add_u32 v14, v14, 23, v23
	v_or3_b32 v21, v21, v14, v18
.LBB602_427:
	s_or_b64 exec, exec, s[12:13]
.LBB602_428:
	s_or_b64 exec, exec, s[10:11]
.LBB602_429:
	s_or_b64 exec, exec, s[8:9]
	v_lshrrev_b16_e32 v14, 8, v15
	v_cmp_ne_u16_e32 vcc, 0, v14
	v_mov_b32_e32 v18, 0
	v_mov_b32_e32 v24, 0
	s_and_saveexec_b64 s[8:9], vcc
	s_cbranch_execz .LBB602_435
; %bb.430:
	s_movk_i32 s7, 0x80
	v_cmp_ne_u16_e32 vcc, s7, v14
	v_bfrev_b32_e32 v24, 1
	s_and_saveexec_b64 s[10:11], vcc
	s_cbranch_execz .LBB602_434
; %bb.431:
	s_movk_i32 s7, 0x7f
	v_and_b32_e32 v23, 0x7f, v14
	v_cmp_ne_u32_e32 vcc, s7, v23
	v_mov_b32_e32 v24, 0x7f800001
	s_and_saveexec_b64 s[12:13], vcc
	s_cbranch_execz .LBB602_433
; %bb.432:
	v_and_b32_e32 v26, 7, v14
	v_ffbh_u32_e32 v24, v26
	v_min_u32_e32 v29, 32, v24
	v_subrev_u32_e32 v24, 28, v29
	v_lshlrev_b64 v[24:25], v24, v[14:15]
	v_lshrrev_b32_e32 v27, 3, v23
	v_sub_u32_e32 v14, 29, v29
	v_and_b32_e32 v24, 7, v24
	v_cmp_gt_u32_e32 vcc, 8, v23
	v_cndmask_b32_e32 v14, v27, v14, vcc
	v_cndmask_b32_e32 v23, v26, v24, vcc
	v_lshlrev_b32_e32 v24, 16, v15
	v_bfrev_b32_e32 v25, 60
	v_lshlrev_b32_e32 v23, 20, v23
	v_and_b32_e32 v24, 0x80000000, v24
	v_lshl_add_u32 v14, v14, 23, v25
	v_or3_b32 v24, v24, v14, v23
.LBB602_433:
	s_or_b64 exec, exec, s[12:13]
.LBB602_434:
	s_or_b64 exec, exec, s[10:11]
.LBB602_435:
	s_or_b64 exec, exec, s[8:9]
	s_movk_i32 s7, 0xff
	v_and_b32_sdwa v23, v15, s7 dst_sel:DWORD dst_unused:UNUSED_PAD src0_sel:WORD_1 src1_sel:DWORD
	v_lshrrev_b32_e32 v14, 16, v15
	v_cmp_ne_u16_e32 vcc, 0, v23
	s_and_saveexec_b64 s[8:9], vcc
	s_cbranch_execz .LBB602_441
; %bb.436:
	s_movk_i32 s7, 0x80
	v_cmp_ne_u16_e32 vcc, s7, v23
	v_bfrev_b32_e32 v18, 1
	s_and_saveexec_b64 s[10:11], vcc
	s_cbranch_execz .LBB602_440
; %bb.437:
	v_bfe_u32 v23, v15, 16, 7
	s_movk_i32 s7, 0x7f
	v_cmp_ne_u32_e32 vcc, s7, v23
	v_mov_b32_e32 v18, 0x7f800001
	s_and_saveexec_b64 s[12:13], vcc
	s_cbranch_execz .LBB602_439
; %bb.438:
	v_and_b32_e32 v18, 7, v14
	v_ffbh_u32_e32 v26, v18
	v_min_u32_e32 v29, 32, v26
	v_subrev_u32_e32 v26, 28, v29
	v_lshlrev_b64 v[26:27], v26, v[14:15]
	v_lshrrev_b32_e32 v25, 3, v23
	v_sub_u32_e32 v14, 29, v29
	v_and_b32_e32 v26, 7, v26
	v_cmp_gt_u32_e32 vcc, 8, v23
	v_mov_b32_e32 v23, 24
	v_cndmask_b32_e32 v14, v25, v14, vcc
	v_cndmask_b32_e32 v18, v18, v26, vcc
	v_lshlrev_b32_sdwa v23, v23, v15 dst_sel:DWORD dst_unused:UNUSED_PAD src0_sel:DWORD src1_sel:WORD_1
	v_bfrev_b32_e32 v25, 60
	v_lshlrev_b32_e32 v18, 20, v18
	v_and_b32_e32 v23, 0x80000000, v23
	v_lshl_add_u32 v14, v14, 23, v25
	v_or3_b32 v18, v23, v14, v18
.LBB602_439:
	s_or_b64 exec, exec, s[12:13]
.LBB602_440:
	s_or_b64 exec, exec, s[10:11]
.LBB602_441:
	s_or_b64 exec, exec, s[8:9]
	s_mov_b32 s7, 0xffffff
	v_cmp_lt_u32_e32 vcc, s7, v15
	v_mov_b32_e32 v23, 0
	v_mov_b32_e32 v25, 0
	s_and_saveexec_b64 s[8:9], vcc
	s_cbranch_execz .LBB602_447
; %bb.442:
	v_lshrrev_b32_e32 v14, 24, v15
	s_movk_i32 s7, 0x80
	v_cmp_ne_u32_e32 vcc, s7, v14
	v_bfrev_b32_e32 v25, 1
	s_and_saveexec_b64 s[10:11], vcc
	s_cbranch_execz .LBB602_446
; %bb.443:
	v_bfe_u32 v15, v15, 24, 7
	s_movk_i32 s7, 0x7f
	v_cmp_ne_u32_e32 vcc, s7, v15
	v_mov_b32_e32 v25, 0x7f800001
	s_and_saveexec_b64 s[12:13], vcc
	s_cbranch_execz .LBB602_445
; %bb.444:
	v_and_b32_e32 v25, 7, v14
	v_ffbh_u32_e32 v26, v25
	v_min_u32_e32 v30, 32, v26
	v_subrev_u32_e32 v26, 28, v30
	v_lshlrev_b64 v[26:27], v26, v[14:15]
	v_lshrrev_b32_e32 v29, 3, v15
	v_sub_u32_e32 v27, 29, v30
	v_and_b32_e32 v26, 7, v26
	v_cmp_gt_u32_e32 vcc, 8, v15
	v_cndmask_b32_e32 v15, v29, v27, vcc
	v_cndmask_b32_e32 v25, v25, v26, vcc
	v_lshlrev_b32_e32 v14, 24, v14
	v_bfrev_b32_e32 v26, 60
	v_lshlrev_b32_e32 v25, 20, v25
	v_and_b32_e32 v14, 0x80000000, v14
	v_lshl_add_u32 v15, v15, 23, v26
	v_or3_b32 v25, v14, v15, v25
.LBB602_445:
	s_or_b64 exec, exec, s[12:13]
.LBB602_446:
	s_or_b64 exec, exec, s[10:11]
.LBB602_447:
	s_or_b64 exec, exec, s[8:9]
	v_cvt_pkrtz_f16_f32 v15, v19, v22
	v_lshl_or_b32 v22, v1, 9, v48
	v_cvt_pkrtz_f16_f32 v14, v32, v20
	ds_read_b128 v[30:33], v22
	v_cmp_ne_u16_sdwa s[10:11], v16, v23 src0_sel:BYTE_0 src1_sel:DWORD
	s_waitcnt lgkmcnt(0)
	v_mfma_f32_16x16x16f16 v[34:37], v[14:15], v[30:31], 0
	v_cvt_pkrtz_f16_f32 v14, v21, v24
	v_cvt_pkrtz_f16_f32 v15, v18, v25
	s_nop 1
	v_mfma_f32_16x16x16f16 v[18:21], v[14:15], v[32:33], v[34:37]
	s_and_saveexec_b64 s[8:9], s[10:11]
	s_cbranch_execz .LBB602_453
; %bb.448:
	s_movk_i32 s7, 0x80
	v_cmp_ne_u16_sdwa s[12:13], v16, s7 src0_sel:BYTE_0 src1_sel:DWORD
	v_bfrev_b32_e32 v23, 1
	s_and_saveexec_b64 s[10:11], s[12:13]
	s_cbranch_execz .LBB602_452
; %bb.449:
	s_movk_i32 s7, 0x7f
	v_and_b32_e32 v14, 0x7f, v16
	v_cmp_ne_u32_e32 vcc, s7, v14
	v_mov_b32_e32 v23, 0x7f800001
	s_and_saveexec_b64 s[12:13], vcc
	s_cbranch_execz .LBB602_451
; %bb.450:
	v_and_b32_e32 v15, 7, v16
	v_ffbh_u32_e32 v24, v15
	v_min_u32_e32 v26, 32, v24
	v_subrev_u32_e32 v24, 28, v26
	v_lshlrev_b64 v[24:25], v24, v[16:17]
	v_lshrrev_b32_e32 v23, 3, v14
	v_sub_u32_e32 v25, 29, v26
	v_and_b32_e32 v24, 7, v24
	v_cmp_gt_u32_e32 vcc, 8, v14
	v_cndmask_b32_e32 v14, v23, v25, vcc
	v_cndmask_b32_e32 v15, v15, v24, vcc
	v_lshlrev_b32_e32 v23, 24, v16
	v_bfrev_b32_e32 v24, 60
	v_lshlrev_b32_e32 v15, 20, v15
	v_and_b32_e32 v23, 0x80000000, v23
	v_lshl_add_u32 v14, v14, 23, v24
	v_or3_b32 v23, v23, v14, v15
.LBB602_451:
	s_or_b64 exec, exec, s[12:13]
.LBB602_452:
	s_or_b64 exec, exec, s[10:11]
.LBB602_453:
	s_or_b64 exec, exec, s[8:9]
	v_lshrrev_b16_e32 v14, 8, v16
	v_cmp_ne_u16_e32 vcc, 0, v14
	v_mov_b32_e32 v15, 0
	v_mov_b32_e32 v25, 0
	s_and_saveexec_b64 s[8:9], vcc
	s_cbranch_execz .LBB602_459
; %bb.454:
	s_movk_i32 s7, 0x80
	v_cmp_ne_u16_e32 vcc, s7, v14
	v_bfrev_b32_e32 v25, 1
	s_and_saveexec_b64 s[10:11], vcc
	s_cbranch_execz .LBB602_458
; %bb.455:
	s_movk_i32 s7, 0x7f
	v_and_b32_e32 v24, 0x7f, v14
	v_cmp_ne_u32_e32 vcc, s7, v24
	v_mov_b32_e32 v25, 0x7f800001
	s_and_saveexec_b64 s[12:13], vcc
	s_cbranch_execz .LBB602_457
; %bb.456:
	v_and_b32_e32 v25, 7, v14
	v_ffbh_u32_e32 v26, v25
	v_min_u32_e32 v30, 32, v26
	v_subrev_u32_e32 v26, 28, v30
	v_lshlrev_b64 v[26:27], v26, v[14:15]
	v_lshrrev_b32_e32 v29, 3, v24
	v_sub_u32_e32 v14, 29, v30
	v_and_b32_e32 v26, 7, v26
	v_cmp_gt_u32_e32 vcc, 8, v24
	v_cndmask_b32_e32 v14, v29, v14, vcc
	v_cndmask_b32_e32 v24, v25, v26, vcc
	v_lshlrev_b32_e32 v25, 16, v16
	v_bfrev_b32_e32 v26, 60
	v_lshlrev_b32_e32 v24, 20, v24
	v_and_b32_e32 v25, 0x80000000, v25
	v_lshl_add_u32 v14, v14, 23, v26
	v_or3_b32 v25, v25, v14, v24
.LBB602_457:
	s_or_b64 exec, exec, s[12:13]
.LBB602_458:
	s_or_b64 exec, exec, s[10:11]
.LBB602_459:
	s_or_b64 exec, exec, s[8:9]
	s_movk_i32 s7, 0xff
	v_and_b32_sdwa v24, v16, s7 dst_sel:DWORD dst_unused:UNUSED_PAD src0_sel:WORD_1 src1_sel:DWORD
	v_lshrrev_b32_e32 v14, 16, v16
	v_cmp_ne_u16_e32 vcc, 0, v24
	s_and_saveexec_b64 s[8:9], vcc
	s_cbranch_execz .LBB602_465
; %bb.460:
	s_movk_i32 s7, 0x80
	v_cmp_ne_u16_e32 vcc, s7, v24
	v_bfrev_b32_e32 v15, 1
	s_and_saveexec_b64 s[10:11], vcc
	s_cbranch_execz .LBB602_464
; %bb.461:
	v_bfe_u32 v24, v16, 16, 7
	s_movk_i32 s7, 0x7f
	v_cmp_ne_u32_e32 vcc, s7, v24
	v_mov_b32_e32 v15, 0x7f800001
	s_and_saveexec_b64 s[12:13], vcc
	s_cbranch_execz .LBB602_463
; %bb.462:
	v_and_b32_e32 v26, 7, v14
	v_ffbh_u32_e32 v15, v26
	v_min_u32_e32 v29, 32, v15
	v_subrev_u32_e32 v15, 28, v29
	v_lshlrev_b64 v[14:15], v15, v[14:15]
	v_lshrrev_b32_e32 v27, 3, v24
	v_sub_u32_e32 v15, 29, v29
	v_and_b32_e32 v14, 7, v14
	v_cmp_gt_u32_e32 vcc, 8, v24
	v_mov_b32_e32 v24, 24
	v_cndmask_b32_e32 v15, v27, v15, vcc
	v_cndmask_b32_e32 v14, v26, v14, vcc
	v_lshlrev_b32_sdwa v24, v24, v16 dst_sel:DWORD dst_unused:UNUSED_PAD src0_sel:DWORD src1_sel:WORD_1
	v_bfrev_b32_e32 v26, 60
	v_lshlrev_b32_e32 v14, 20, v14
	v_and_b32_e32 v24, 0x80000000, v24
	v_lshl_add_u32 v15, v15, 23, v26
	v_or3_b32 v15, v24, v15, v14
.LBB602_463:
	s_or_b64 exec, exec, s[12:13]
.LBB602_464:
	s_or_b64 exec, exec, s[10:11]
.LBB602_465:
	s_or_b64 exec, exec, s[8:9]
	s_mov_b32 s7, 0xffffff
	v_cmp_lt_u32_e32 vcc, s7, v16
	v_mov_b32_e32 v26, 0
	v_mov_b32_e32 v27, 0
	s_and_saveexec_b64 s[8:9], vcc
	s_cbranch_execz .LBB602_471
; %bb.466:
	v_lshrrev_b32_e32 v14, 24, v16
	s_movk_i32 s7, 0x80
	v_cmp_ne_u32_e32 vcc, s7, v14
	v_bfrev_b32_e32 v27, 1
	s_and_saveexec_b64 s[10:11], vcc
	s_cbranch_execz .LBB602_470
; %bb.467:
	v_bfe_u32 v16, v16, 24, 7
	s_movk_i32 s7, 0x7f
	v_cmp_ne_u32_e32 vcc, s7, v16
	v_mov_b32_e32 v27, 0x7f800001
	s_and_saveexec_b64 s[12:13], vcc
	s_cbranch_execz .LBB602_469
; %bb.468:
	v_and_b32_e32 v24, 7, v14
	v_ffbh_u32_e32 v29, v24
	v_min_u32_e32 v29, 32, v29
	v_subrev_u32_e32 v30, 28, v29
	v_lshlrev_b64 v[30:31], v30, v[14:15]
	v_lshrrev_b32_e32 v27, 3, v16
	v_sub_u32_e32 v29, 29, v29
	v_and_b32_e32 v30, 7, v30
	v_cmp_gt_u32_e32 vcc, 8, v16
	v_cndmask_b32_e32 v16, v27, v29, vcc
	v_cndmask_b32_e32 v24, v24, v30, vcc
	v_lshlrev_b32_e32 v14, 24, v14
	v_bfrev_b32_e32 v27, 60
	v_lshlrev_b32_e32 v24, 20, v24
	v_and_b32_e32 v14, 0x80000000, v14
	v_lshl_add_u32 v16, v16, 23, v27
	v_or3_b32 v27, v14, v16, v24
.LBB602_469:
	s_or_b64 exec, exec, s[12:13]
.LBB602_470:
	s_or_b64 exec, exec, s[10:11]
.LBB602_471:
	s_or_b64 exec, exec, s[8:9]
	v_cmp_ne_u16_sdwa s[10:11], v17, v26 src0_sel:BYTE_0 src1_sel:DWORD
	s_and_saveexec_b64 s[8:9], s[10:11]
	s_cbranch_execz .LBB602_477
; %bb.472:
	s_movk_i32 s7, 0x80
	v_cmp_ne_u16_sdwa s[12:13], v17, s7 src0_sel:BYTE_0 src1_sel:DWORD
	v_bfrev_b32_e32 v26, 1
	s_and_saveexec_b64 s[10:11], s[12:13]
	s_cbranch_execz .LBB602_476
; %bb.473:
	s_movk_i32 s7, 0x7f
	v_and_b32_e32 v14, 0x7f, v17
	v_cmp_ne_u32_e32 vcc, s7, v14
	v_mov_b32_e32 v26, 0x7f800001
	s_and_saveexec_b64 s[12:13], vcc
	s_cbranch_execz .LBB602_475
; %bb.474:
	v_and_b32_e32 v24, 7, v17
	v_ffbh_u32_e32 v29, v24
	v_min_u32_e32 v29, 32, v29
	v_mov_b32_e32 v16, v17
	v_subrev_u32_e32 v30, 28, v29
	v_lshlrev_b64 v[30:31], v30, v[16:17]
	v_lshrrev_b32_e32 v26, 3, v14
	v_sub_u32_e32 v16, 29, v29
	v_and_b32_e32 v29, 7, v30
	v_cmp_gt_u32_e32 vcc, 8, v14
	v_cndmask_b32_e32 v14, v26, v16, vcc
	v_cndmask_b32_e32 v16, v24, v29, vcc
	v_lshlrev_b32_e32 v24, 24, v17
	v_bfrev_b32_e32 v26, 60
	v_lshlrev_b32_e32 v16, 20, v16
	v_and_b32_e32 v24, 0x80000000, v24
	v_lshl_add_u32 v14, v14, 23, v26
	v_or3_b32 v26, v24, v14, v16
.LBB602_475:
	s_or_b64 exec, exec, s[12:13]
.LBB602_476:
	s_or_b64 exec, exec, s[10:11]
.LBB602_477:
	s_or_b64 exec, exec, s[8:9]
	v_lshrrev_b16_e32 v14, 8, v17
	v_cmp_ne_u16_e32 vcc, 0, v14
	v_mov_b32_e32 v16, 0
	v_mov_b32_e32 v29, 0
	s_and_saveexec_b64 s[8:9], vcc
	s_cbranch_execz .LBB602_483
; %bb.478:
	s_movk_i32 s7, 0x80
	v_cmp_ne_u16_e32 vcc, s7, v14
	v_bfrev_b32_e32 v29, 1
	s_and_saveexec_b64 s[10:11], vcc
	s_cbranch_execz .LBB602_482
; %bb.479:
	s_movk_i32 s7, 0x7f
	v_and_b32_e32 v24, 0x7f, v14
	v_cmp_ne_u32_e32 vcc, s7, v24
	v_mov_b32_e32 v29, 0x7f800001
	s_and_saveexec_b64 s[12:13], vcc
	s_cbranch_execz .LBB602_481
; %bb.480:
	v_and_b32_e32 v29, 7, v14
	v_ffbh_u32_e32 v30, v29
	v_min_u32_e32 v33, 32, v30
	v_subrev_u32_e32 v30, 28, v33
	v_lshlrev_b64 v[30:31], v30, v[14:15]
	v_lshrrev_b32_e32 v32, 3, v24
	v_sub_u32_e32 v14, 29, v33
	v_and_b32_e32 v30, 7, v30
	v_cmp_gt_u32_e32 vcc, 8, v24
	v_cndmask_b32_e32 v14, v32, v14, vcc
	v_cndmask_b32_e32 v24, v29, v30, vcc
	v_lshlrev_b32_e32 v29, 16, v17
	v_bfrev_b32_e32 v30, 60
	v_lshlrev_b32_e32 v24, 20, v24
	v_and_b32_e32 v29, 0x80000000, v29
	v_lshl_add_u32 v14, v14, 23, v30
	v_or3_b32 v29, v29, v14, v24
.LBB602_481:
	s_or_b64 exec, exec, s[12:13]
.LBB602_482:
	s_or_b64 exec, exec, s[10:11]
.LBB602_483:
	s_or_b64 exec, exec, s[8:9]
	s_movk_i32 s7, 0xff
	v_and_b32_sdwa v24, v17, s7 dst_sel:DWORD dst_unused:UNUSED_PAD src0_sel:WORD_1 src1_sel:DWORD
	v_lshrrev_b32_e32 v14, 16, v17
	v_cmp_ne_u16_e32 vcc, 0, v24
	s_and_saveexec_b64 s[8:9], vcc
	s_cbranch_execz .LBB602_489
; %bb.484:
	s_movk_i32 s7, 0x80
	v_cmp_ne_u16_e32 vcc, s7, v24
	v_bfrev_b32_e32 v16, 1
	s_and_saveexec_b64 s[10:11], vcc
	s_cbranch_execz .LBB602_488
; %bb.485:
	v_bfe_u32 v24, v17, 16, 7
	s_movk_i32 s7, 0x7f
	v_cmp_ne_u32_e32 vcc, s7, v24
	v_mov_b32_e32 v16, 0x7f800001
	s_and_saveexec_b64 s[12:13], vcc
	s_cbranch_execz .LBB602_487
; %bb.486:
	v_and_b32_e32 v16, 7, v14
	v_ffbh_u32_e32 v30, v16
	v_min_u32_e32 v33, 32, v30
	v_subrev_u32_e32 v30, 28, v33
	v_lshlrev_b64 v[30:31], v30, v[14:15]
	v_lshrrev_b32_e32 v32, 3, v24
	v_sub_u32_e32 v14, 29, v33
	v_and_b32_e32 v30, 7, v30
	v_cmp_gt_u32_e32 vcc, 8, v24
	v_mov_b32_e32 v24, 24
	v_cndmask_b32_e32 v14, v32, v14, vcc
	v_cndmask_b32_e32 v16, v16, v30, vcc
	v_lshlrev_b32_sdwa v24, v24, v17 dst_sel:DWORD dst_unused:UNUSED_PAD src0_sel:DWORD src1_sel:WORD_1
	v_bfrev_b32_e32 v30, 60
	v_lshlrev_b32_e32 v16, 20, v16
	v_and_b32_e32 v24, 0x80000000, v24
	v_lshl_add_u32 v14, v14, 23, v30
	v_or3_b32 v16, v24, v14, v16
.LBB602_487:
	s_or_b64 exec, exec, s[12:13]
.LBB602_488:
	s_or_b64 exec, exec, s[10:11]
.LBB602_489:
	s_or_b64 exec, exec, s[8:9]
	s_mov_b32 s7, 0xffffff
	v_cmp_lt_u32_e32 vcc, s7, v17
	v_mov_b32_e32 v24, 0
	v_mov_b32_e32 v30, 0
	s_and_saveexec_b64 s[8:9], vcc
	s_cbranch_execz .LBB602_495
; %bb.490:
	v_lshrrev_b32_e32 v14, 24, v17
	s_movk_i32 s7, 0x80
	v_cmp_ne_u32_e32 vcc, s7, v14
	v_bfrev_b32_e32 v30, 1
	s_and_saveexec_b64 s[10:11], vcc
	s_cbranch_execz .LBB602_494
; %bb.491:
	v_bfe_u32 v17, v17, 24, 7
	s_movk_i32 s7, 0x7f
	v_cmp_ne_u32_e32 vcc, s7, v17
	v_mov_b32_e32 v30, 0x7f800001
	s_and_saveexec_b64 s[12:13], vcc
	s_cbranch_execz .LBB602_493
; %bb.492:
	v_and_b32_e32 v32, 7, v14
	v_ffbh_u32_e32 v30, v32
	v_min_u32_e32 v34, 32, v30
	v_subrev_u32_e32 v30, 28, v34
	v_lshlrev_b64 v[30:31], v30, v[14:15]
	v_lshrrev_b32_e32 v33, 3, v17
	v_sub_u32_e32 v31, 29, v34
	v_and_b32_e32 v30, 7, v30
	v_cmp_gt_u32_e32 vcc, 8, v17
	v_cndmask_b32_e32 v17, v33, v31, vcc
	v_cndmask_b32_e32 v30, v32, v30, vcc
	v_lshlrev_b32_e32 v14, 24, v14
	v_bfrev_b32_e32 v31, 60
	v_lshlrev_b32_e32 v30, 20, v30
	v_and_b32_e32 v14, 0x80000000, v14
	v_lshl_add_u32 v17, v17, 23, v31
	v_or3_b32 v30, v14, v17, v30
.LBB602_493:
	s_or_b64 exec, exec, s[12:13]
.LBB602_494:
	s_or_b64 exec, exec, s[10:11]
.LBB602_495:
	s_or_b64 exec, exec, s[8:9]
	v_cvt_pkrtz_f16_f32 v14, v23, v25
	v_cvt_pkrtz_f16_f32 v15, v15, v27
	ds_read_b128 v[32:35], v22 offset:16
	s_waitcnt vmcnt(2)
	v_cmp_ne_u16_sdwa s[10:11], v10, v24 src0_sel:BYTE_0 src1_sel:DWORD
	s_waitcnt lgkmcnt(0)
	v_mfma_f32_16x16x16f16 v[18:21], v[14:15], v[32:33], v[18:21]
	v_cvt_pkrtz_f16_f32 v14, v26, v29
	v_cvt_pkrtz_f16_f32 v15, v16, v30
	s_nop 1
	v_mfma_f32_16x16x16f16 v[14:17], v[14:15], v[34:35], v[18:21]
	s_and_saveexec_b64 s[8:9], s[10:11]
	s_cbranch_execz .LBB602_501
; %bb.496:
	s_movk_i32 s7, 0x80
	v_cmp_ne_u16_sdwa s[12:13], v10, s7 src0_sel:BYTE_0 src1_sel:DWORD
	v_bfrev_b32_e32 v24, 1
	s_and_saveexec_b64 s[10:11], s[12:13]
	s_cbranch_execz .LBB602_500
; %bb.497:
	s_movk_i32 s7, 0x7f
	v_and_b32_e32 v18, 0x7f, v10
	v_cmp_ne_u32_e32 vcc, s7, v18
	v_mov_b32_e32 v24, 0x7f800001
	s_and_saveexec_b64 s[12:13], vcc
	s_cbranch_execz .LBB602_499
; %bb.498:
	v_and_b32_e32 v19, 7, v10
	v_ffbh_u32_e32 v20, v19
	v_min_u32_e32 v24, 32, v20
	v_subrev_u32_e32 v20, 28, v24
	v_lshlrev_b64 v[20:21], v20, v[10:11]
	v_lshrrev_b32_e32 v23, 3, v18
	v_sub_u32_e32 v21, 29, v24
	v_and_b32_e32 v20, 7, v20
	v_cmp_gt_u32_e32 vcc, 8, v18
	v_cndmask_b32_e32 v18, v23, v21, vcc
	v_cndmask_b32_e32 v19, v19, v20, vcc
	v_lshlrev_b32_e32 v20, 24, v10
	v_bfrev_b32_e32 v21, 60
	v_lshlrev_b32_e32 v19, 20, v19
	v_and_b32_e32 v20, 0x80000000, v20
	v_lshl_add_u32 v18, v18, 23, v21
	v_or3_b32 v24, v20, v18, v19
.LBB602_499:
	s_or_b64 exec, exec, s[12:13]
.LBB602_500:
	s_or_b64 exec, exec, s[10:11]
.LBB602_501:
	s_or_b64 exec, exec, s[8:9]
	s_nop 3
	v_lshrrev_b16_e32 v18, 8, v10
	v_cmp_ne_u16_e32 vcc, 0, v18
	v_mov_b32_e32 v19, 0
	v_mov_b32_e32 v20, 0
	s_and_saveexec_b64 s[8:9], vcc
	s_cbranch_execz .LBB602_507
; %bb.502:
	s_movk_i32 s7, 0x80
	v_cmp_ne_u16_e32 vcc, s7, v18
	v_bfrev_b32_e32 v20, 1
	s_and_saveexec_b64 s[10:11], vcc
	s_cbranch_execz .LBB602_506
; %bb.503:
	s_movk_i32 s7, 0x7f
	v_and_b32_e32 v21, 0x7f, v18
	v_cmp_ne_u32_e32 vcc, s7, v21
	v_mov_b32_e32 v20, 0x7f800001
	s_and_saveexec_b64 s[12:13], vcc
	s_cbranch_execz .LBB602_505
; %bb.504:
	v_and_b32_e32 v20, 7, v18
	v_ffbh_u32_e32 v25, v20
	v_min_u32_e32 v25, 32, v25
	v_subrev_u32_e32 v26, 28, v25
	v_lshlrev_b64 v[26:27], v26, v[18:19]
	v_lshrrev_b32_e32 v23, 3, v21
	v_sub_u32_e32 v18, 29, v25
	v_and_b32_e32 v25, 7, v26
	v_cmp_gt_u32_e32 vcc, 8, v21
	v_cndmask_b32_e32 v18, v23, v18, vcc
	v_cndmask_b32_e32 v20, v20, v25, vcc
	v_lshlrev_b32_e32 v21, 16, v10
	v_bfrev_b32_e32 v23, 60
	v_lshlrev_b32_e32 v20, 20, v20
	v_and_b32_e32 v21, 0x80000000, v21
	v_lshl_add_u32 v18, v18, 23, v23
	v_or3_b32 v20, v21, v18, v20
.LBB602_505:
	s_or_b64 exec, exec, s[12:13]
.LBB602_506:
	s_or_b64 exec, exec, s[10:11]
.LBB602_507:
	s_or_b64 exec, exec, s[8:9]
	s_movk_i32 s7, 0xff
	v_and_b32_sdwa v21, v10, s7 dst_sel:DWORD dst_unused:UNUSED_PAD src0_sel:WORD_1 src1_sel:DWORD
	v_lshrrev_b32_e32 v18, 16, v10
	v_cmp_ne_u16_e32 vcc, 0, v21
	s_and_saveexec_b64 s[8:9], vcc
	s_cbranch_execz .LBB602_513
; %bb.508:
	s_movk_i32 s7, 0x80
	v_cmp_ne_u16_e32 vcc, s7, v21
	v_bfrev_b32_e32 v19, 1
	s_and_saveexec_b64 s[10:11], vcc
	s_cbranch_execz .LBB602_512
; %bb.509:
	v_bfe_u32 v21, v10, 16, 7
	s_movk_i32 s7, 0x7f
	v_cmp_ne_u32_e32 vcc, s7, v21
	v_mov_b32_e32 v19, 0x7f800001
	s_and_saveexec_b64 s[12:13], vcc
	s_cbranch_execz .LBB602_511
; %bb.510:
	v_and_b32_e32 v23, 7, v18
	v_ffbh_u32_e32 v19, v23
	v_min_u32_e32 v26, 32, v19
	v_subrev_u32_e32 v19, 28, v26
	v_lshlrev_b64 v[18:19], v19, v[18:19]
	v_lshrrev_b32_e32 v25, 3, v21
	v_sub_u32_e32 v19, 29, v26
	v_and_b32_e32 v18, 7, v18
	v_cmp_gt_u32_e32 vcc, 8, v21
	v_mov_b32_e32 v21, 24
	v_cndmask_b32_e32 v19, v25, v19, vcc
	v_cndmask_b32_e32 v18, v23, v18, vcc
	v_lshlrev_b32_sdwa v21, v21, v10 dst_sel:DWORD dst_unused:UNUSED_PAD src0_sel:DWORD src1_sel:WORD_1
	v_bfrev_b32_e32 v23, 60
	v_lshlrev_b32_e32 v18, 20, v18
	v_and_b32_e32 v21, 0x80000000, v21
	v_lshl_add_u32 v19, v19, 23, v23
	v_or3_b32 v19, v21, v19, v18
.LBB602_511:
	s_or_b64 exec, exec, s[12:13]
.LBB602_512:
	s_or_b64 exec, exec, s[10:11]
.LBB602_513:
	s_or_b64 exec, exec, s[8:9]
	s_mov_b32 s7, 0xffffff
	v_cmp_lt_u32_e32 vcc, s7, v10
	v_mov_b32_e32 v21, 0
	v_mov_b32_e32 v23, 0
	s_and_saveexec_b64 s[8:9], vcc
	s_cbranch_execz .LBB602_519
; %bb.514:
	v_lshrrev_b32_e32 v18, 24, v10
	s_movk_i32 s7, 0x80
	v_cmp_ne_u32_e32 vcc, s7, v18
	v_bfrev_b32_e32 v23, 1
	s_and_saveexec_b64 s[10:11], vcc
	s_cbranch_execz .LBB602_518
; %bb.515:
	v_bfe_u32 v10, v10, 24, 7
	s_movk_i32 s7, 0x7f
	v_cmp_ne_u32_e32 vcc, s7, v10
	v_mov_b32_e32 v23, 0x7f800001
	s_and_saveexec_b64 s[12:13], vcc
	s_cbranch_execz .LBB602_517
; %bb.516:
	v_and_b32_e32 v23, 7, v18
	v_ffbh_u32_e32 v26, v23
	v_min_u32_e32 v29, 32, v26
	v_subrev_u32_e32 v26, 28, v29
	v_lshlrev_b64 v[26:27], v26, v[18:19]
	v_lshrrev_b32_e32 v25, 3, v10
	v_sub_u32_e32 v27, 29, v29
	v_and_b32_e32 v26, 7, v26
	v_cmp_gt_u32_e32 vcc, 8, v10
	v_cndmask_b32_e32 v10, v25, v27, vcc
	v_cndmask_b32_e32 v23, v23, v26, vcc
	v_lshlrev_b32_e32 v18, 24, v18
	v_bfrev_b32_e32 v25, 60
	v_lshlrev_b32_e32 v23, 20, v23
	v_and_b32_e32 v18, 0x80000000, v18
	v_lshl_add_u32 v10, v10, 23, v25
	v_or3_b32 v23, v18, v10, v23
.LBB602_517:
	s_or_b64 exec, exec, s[12:13]
.LBB602_518:
	s_or_b64 exec, exec, s[10:11]
.LBB602_519:
	s_or_b64 exec, exec, s[8:9]
	v_cmp_ne_u16_sdwa s[10:11], v11, v21 src0_sel:BYTE_0 src1_sel:DWORD
	s_and_saveexec_b64 s[8:9], s[10:11]
	s_cbranch_execz .LBB602_525
; %bb.520:
	s_movk_i32 s7, 0x80
	v_cmp_ne_u16_sdwa s[12:13], v11, s7 src0_sel:BYTE_0 src1_sel:DWORD
	v_bfrev_b32_e32 v21, 1
	s_and_saveexec_b64 s[10:11], s[12:13]
	s_cbranch_execz .LBB602_524
; %bb.521:
	s_movk_i32 s7, 0x7f
	v_and_b32_e32 v10, 0x7f, v11
	v_cmp_ne_u32_e32 vcc, s7, v10
	v_mov_b32_e32 v21, 0x7f800001
	s_and_saveexec_b64 s[12:13], vcc
	s_cbranch_execz .LBB602_523
; %bb.522:
	v_and_b32_e32 v21, 7, v11
	v_ffbh_u32_e32 v26, v21
	v_min_u32_e32 v29, 32, v26
	v_mov_b32_e32 v18, v11
	v_subrev_u32_e32 v26, 28, v29
	v_lshlrev_b64 v[26:27], v26, v[18:19]
	v_lshrrev_b32_e32 v25, 3, v10
	v_sub_u32_e32 v18, 29, v29
	v_and_b32_e32 v26, 7, v26
	v_cmp_gt_u32_e32 vcc, 8, v10
	v_cndmask_b32_e32 v10, v25, v18, vcc
	v_cndmask_b32_e32 v18, v21, v26, vcc
	v_lshlrev_b32_e32 v21, 24, v11
	v_bfrev_b32_e32 v25, 60
	v_lshlrev_b32_e32 v18, 20, v18
	v_and_b32_e32 v21, 0x80000000, v21
	v_lshl_add_u32 v10, v10, 23, v25
	v_or3_b32 v21, v21, v10, v18
.LBB602_523:
	s_or_b64 exec, exec, s[12:13]
.LBB602_524:
	s_or_b64 exec, exec, s[10:11]
.LBB602_525:
	s_or_b64 exec, exec, s[8:9]
	v_lshrrev_b16_e32 v10, 8, v11
	v_cmp_ne_u16_e32 vcc, 0, v10
	v_mov_b32_e32 v25, 0
	v_mov_b32_e32 v26, 0
	s_and_saveexec_b64 s[8:9], vcc
	s_cbranch_execz .LBB602_531
; %bb.526:
	s_movk_i32 s7, 0x80
	v_cmp_ne_u16_e32 vcc, s7, v10
	v_bfrev_b32_e32 v26, 1
	s_and_saveexec_b64 s[10:11], vcc
	s_cbranch_execz .LBB602_530
; %bb.527:
	s_movk_i32 s7, 0x7f
	v_and_b32_e32 v18, 0x7f, v10
	v_cmp_ne_u32_e32 vcc, s7, v18
	v_mov_b32_e32 v26, 0x7f800001
	s_and_saveexec_b64 s[12:13], vcc
	s_cbranch_execz .LBB602_529
; %bb.528:
	v_and_b32_e32 v29, 7, v10
	v_ffbh_u32_e32 v26, v29
	v_min_u32_e32 v31, 32, v26
	v_subrev_u32_e32 v26, 28, v31
	v_lshlrev_b64 v[26:27], v26, v[10:11]
	v_lshrrev_b32_e32 v30, 3, v18
	v_sub_u32_e32 v10, 29, v31
	v_and_b32_e32 v26, 7, v26
	v_cmp_gt_u32_e32 vcc, 8, v18
	v_cndmask_b32_e32 v10, v30, v10, vcc
	v_cndmask_b32_e32 v18, v29, v26, vcc
	v_lshlrev_b32_e32 v26, 16, v11
	v_bfrev_b32_e32 v27, 60
	v_lshlrev_b32_e32 v18, 20, v18
	v_and_b32_e32 v26, 0x80000000, v26
	v_lshl_add_u32 v10, v10, 23, v27
	v_or3_b32 v26, v26, v10, v18
.LBB602_529:
	s_or_b64 exec, exec, s[12:13]
.LBB602_530:
	s_or_b64 exec, exec, s[10:11]
.LBB602_531:
	s_or_b64 exec, exec, s[8:9]
	s_movk_i32 s7, 0xff
	v_and_b32_sdwa v18, v11, s7 dst_sel:DWORD dst_unused:UNUSED_PAD src0_sel:WORD_1 src1_sel:DWORD
	v_lshrrev_b32_e32 v10, 16, v11
	v_cmp_ne_u16_e32 vcc, 0, v18
	s_and_saveexec_b64 s[8:9], vcc
	s_cbranch_execz .LBB602_537
; %bb.532:
	s_movk_i32 s7, 0x80
	v_cmp_ne_u16_e32 vcc, s7, v18
	v_bfrev_b32_e32 v25, 1
	s_and_saveexec_b64 s[10:11], vcc
	s_cbranch_execz .LBB602_536
; %bb.533:
	v_bfe_u32 v18, v11, 16, 7
	s_movk_i32 s7, 0x7f
	v_cmp_ne_u32_e32 vcc, s7, v18
	v_mov_b32_e32 v25, 0x7f800001
	s_and_saveexec_b64 s[12:13], vcc
	s_cbranch_execz .LBB602_535
; %bb.534:
	v_and_b32_e32 v25, 7, v10
	v_ffbh_u32_e32 v29, v25
	v_min_u32_e32 v29, 32, v29
	v_subrev_u32_e32 v30, 28, v29
	v_lshlrev_b64 v[30:31], v30, v[10:11]
	v_sub_u32_e32 v10, 29, v29
	v_and_b32_e32 v29, 7, v30
	v_cmp_gt_u32_e32 vcc, 8, v18
	v_lshrrev_b32_e32 v27, 3, v18
	v_cndmask_b32_e32 v18, v25, v29, vcc
	v_mov_b32_e32 v25, 24
	v_cndmask_b32_e32 v10, v27, v10, vcc
	v_lshlrev_b32_sdwa v25, v25, v11 dst_sel:DWORD dst_unused:UNUSED_PAD src0_sel:DWORD src1_sel:WORD_1
	v_bfrev_b32_e32 v27, 60
	v_lshlrev_b32_e32 v18, 20, v18
	v_and_b32_e32 v25, 0x80000000, v25
	v_lshl_add_u32 v10, v10, 23, v27
	v_or3_b32 v25, v25, v10, v18
.LBB602_535:
	s_or_b64 exec, exec, s[12:13]
.LBB602_536:
	s_or_b64 exec, exec, s[10:11]
.LBB602_537:
	s_or_b64 exec, exec, s[8:9]
	s_mov_b32 s7, 0xffffff
	v_cmp_lt_u32_e32 vcc, s7, v11
	v_mov_b32_e32 v18, 0
	v_mov_b32_e32 v27, 0
	s_and_saveexec_b64 s[8:9], vcc
	s_cbranch_execz .LBB602_543
; %bb.538:
	v_lshrrev_b32_e32 v10, 24, v11
	s_movk_i32 s7, 0x80
	v_cmp_ne_u32_e32 vcc, s7, v10
	v_bfrev_b32_e32 v27, 1
	s_and_saveexec_b64 s[10:11], vcc
	s_cbranch_execz .LBB602_542
; %bb.539:
	v_bfe_u32 v11, v11, 24, 7
	s_movk_i32 s7, 0x7f
	v_cmp_ne_u32_e32 vcc, s7, v11
	v_mov_b32_e32 v27, 0x7f800001
	s_and_saveexec_b64 s[12:13], vcc
	s_cbranch_execz .LBB602_541
; %bb.540:
	v_and_b32_e32 v27, 7, v10
	v_ffbh_u32_e32 v30, v27
	v_min_u32_e32 v32, 32, v30
	v_subrev_u32_e32 v30, 28, v32
	v_lshlrev_b64 v[30:31], v30, v[10:11]
	v_lshrrev_b32_e32 v29, 3, v11
	v_sub_u32_e32 v31, 29, v32
	v_and_b32_e32 v30, 7, v30
	v_cmp_gt_u32_e32 vcc, 8, v11
	v_cndmask_b32_e32 v11, v29, v31, vcc
	v_cndmask_b32_e32 v27, v27, v30, vcc
	v_lshlrev_b32_e32 v10, 24, v10
	v_bfrev_b32_e32 v29, 60
	v_lshlrev_b32_e32 v27, 20, v27
	v_and_b32_e32 v10, 0x80000000, v10
	v_lshl_add_u32 v11, v11, 23, v29
	v_or3_b32 v27, v10, v11, v27
.LBB602_541:
	s_or_b64 exec, exec, s[12:13]
.LBB602_542:
	s_or_b64 exec, exec, s[10:11]
.LBB602_543:
	s_or_b64 exec, exec, s[8:9]
	v_cvt_pkrtz_f16_f32 v10, v24, v20
	v_cvt_pkrtz_f16_f32 v11, v19, v23
	ds_read_b128 v[30:33], v22 offset:2048
	v_cmp_ne_u16_sdwa s[10:11], v12, v18 src0_sel:BYTE_0 src1_sel:DWORD
	s_waitcnt lgkmcnt(0)
	v_mfma_f32_16x16x16f16 v[14:17], v[10:11], v[30:31], v[14:17]
	v_cvt_pkrtz_f16_f32 v10, v21, v26
	v_cvt_pkrtz_f16_f32 v11, v25, v27
	s_nop 1
	v_mfma_f32_16x16x16f16 v[14:17], v[10:11], v[32:33], v[14:17]
	s_and_saveexec_b64 s[8:9], s[10:11]
	s_cbranch_execz .LBB602_549
; %bb.544:
	s_movk_i32 s7, 0x80
	v_cmp_ne_u16_sdwa s[12:13], v12, s7 src0_sel:BYTE_0 src1_sel:DWORD
	v_bfrev_b32_e32 v18, 1
	s_and_saveexec_b64 s[10:11], s[12:13]
	s_cbranch_execz .LBB602_548
; %bb.545:
	s_movk_i32 s7, 0x7f
	v_and_b32_e32 v10, 0x7f, v12
	v_cmp_ne_u32_e32 vcc, s7, v10
	v_mov_b32_e32 v18, 0x7f800001
	s_and_saveexec_b64 s[12:13], vcc
	s_cbranch_execz .LBB602_547
; %bb.546:
	v_and_b32_e32 v11, 7, v12
	v_ffbh_u32_e32 v18, v11
	v_min_u32_e32 v21, 32, v18
	v_subrev_u32_e32 v18, 28, v21
	v_lshlrev_b64 v[18:19], v18, v[12:13]
	v_lshrrev_b32_e32 v20, 3, v10
	v_sub_u32_e32 v19, 29, v21
	v_and_b32_e32 v18, 7, v18
	v_cmp_gt_u32_e32 vcc, 8, v10
	v_cndmask_b32_e32 v10, v20, v19, vcc
	v_cndmask_b32_e32 v11, v11, v18, vcc
	v_lshlrev_b32_e32 v18, 24, v12
	v_bfrev_b32_e32 v19, 60
	v_lshlrev_b32_e32 v11, 20, v11
	v_and_b32_e32 v18, 0x80000000, v18
	v_lshl_add_u32 v10, v10, 23, v19
	v_or3_b32 v18, v18, v10, v11
.LBB602_547:
	s_or_b64 exec, exec, s[12:13]
.LBB602_548:
	s_or_b64 exec, exec, s[10:11]
.LBB602_549:
	s_or_b64 exec, exec, s[8:9]
	v_lshrrev_b16_e32 v10, 8, v12
	v_cmp_ne_u16_e32 vcc, 0, v10
	v_mov_b32_e32 v11, 0
	v_mov_b32_e32 v20, 0
	s_and_saveexec_b64 s[8:9], vcc
	s_cbranch_execz .LBB602_555
; %bb.550:
	s_movk_i32 s7, 0x80
	v_cmp_ne_u16_e32 vcc, s7, v10
	v_bfrev_b32_e32 v20, 1
	s_and_saveexec_b64 s[10:11], vcc
	s_cbranch_execz .LBB602_554
; %bb.551:
	s_movk_i32 s7, 0x7f
	v_and_b32_e32 v19, 0x7f, v10
	v_cmp_ne_u32_e32 vcc, s7, v19
	v_mov_b32_e32 v20, 0x7f800001
	s_and_saveexec_b64 s[12:13], vcc
	s_cbranch_execz .LBB602_553
; %bb.552:
	v_and_b32_e32 v23, 7, v10
	v_ffbh_u32_e32 v20, v23
	v_min_u32_e32 v25, 32, v20
	v_subrev_u32_e32 v20, 28, v25
	v_lshlrev_b64 v[20:21], v20, v[10:11]
	v_lshrrev_b32_e32 v24, 3, v19
	v_sub_u32_e32 v10, 29, v25
	v_and_b32_e32 v20, 7, v20
	v_cmp_gt_u32_e32 vcc, 8, v19
	v_cndmask_b32_e32 v10, v24, v10, vcc
	v_cndmask_b32_e32 v19, v23, v20, vcc
	v_lshlrev_b32_e32 v20, 16, v12
	v_bfrev_b32_e32 v21, 60
	v_lshlrev_b32_e32 v19, 20, v19
	v_and_b32_e32 v20, 0x80000000, v20
	v_lshl_add_u32 v10, v10, 23, v21
	v_or3_b32 v20, v20, v10, v19
.LBB602_553:
	s_or_b64 exec, exec, s[12:13]
.LBB602_554:
	s_or_b64 exec, exec, s[10:11]
.LBB602_555:
	s_or_b64 exec, exec, s[8:9]
	s_movk_i32 s7, 0xff
	v_and_b32_sdwa v19, v12, s7 dst_sel:DWORD dst_unused:UNUSED_PAD src0_sel:WORD_1 src1_sel:DWORD
	v_lshrrev_b32_e32 v10, 16, v12
	v_cmp_ne_u16_e32 vcc, 0, v19
	s_and_saveexec_b64 s[8:9], vcc
	s_cbranch_execz .LBB602_561
; %bb.556:
	s_movk_i32 s7, 0x80
	v_cmp_ne_u16_e32 vcc, s7, v19
	v_bfrev_b32_e32 v11, 1
	s_and_saveexec_b64 s[10:11], vcc
	s_cbranch_execz .LBB602_560
; %bb.557:
	v_bfe_u32 v19, v12, 16, 7
	s_movk_i32 s7, 0x7f
	v_cmp_ne_u32_e32 vcc, s7, v19
	v_mov_b32_e32 v11, 0x7f800001
	s_and_saveexec_b64 s[12:13], vcc
	s_cbranch_execz .LBB602_559
; %bb.558:
	v_and_b32_e32 v21, 7, v10
	v_ffbh_u32_e32 v11, v21
	v_min_u32_e32 v24, 32, v11
	v_subrev_u32_e32 v11, 28, v24
	v_lshlrev_b64 v[10:11], v11, v[10:11]
	v_lshrrev_b32_e32 v23, 3, v19
	v_sub_u32_e32 v11, 29, v24
	v_and_b32_e32 v10, 7, v10
	v_cmp_gt_u32_e32 vcc, 8, v19
	v_mov_b32_e32 v19, 24
	v_cndmask_b32_e32 v11, v23, v11, vcc
	v_cndmask_b32_e32 v10, v21, v10, vcc
	v_lshlrev_b32_sdwa v19, v19, v12 dst_sel:DWORD dst_unused:UNUSED_PAD src0_sel:DWORD src1_sel:WORD_1
	v_bfrev_b32_e32 v21, 60
	v_lshlrev_b32_e32 v10, 20, v10
	v_and_b32_e32 v19, 0x80000000, v19
	v_lshl_add_u32 v11, v11, 23, v21
	v_or3_b32 v11, v19, v11, v10
.LBB602_559:
	s_or_b64 exec, exec, s[12:13]
.LBB602_560:
	s_or_b64 exec, exec, s[10:11]
.LBB602_561:
	s_or_b64 exec, exec, s[8:9]
	s_mov_b32 s7, 0xffffff
	v_cmp_lt_u32_e32 vcc, s7, v12
	v_mov_b32_e32 v21, 0
	v_mov_b32_e32 v23, 0
	s_and_saveexec_b64 s[8:9], vcc
	s_cbranch_execz .LBB602_567
; %bb.562:
	v_lshrrev_b32_e32 v10, 24, v12
	s_movk_i32 s7, 0x80
	v_cmp_ne_u32_e32 vcc, s7, v10
	v_bfrev_b32_e32 v23, 1
	s_and_saveexec_b64 s[10:11], vcc
	s_cbranch_execz .LBB602_566
; %bb.563:
	v_bfe_u32 v12, v12, 24, 7
	s_movk_i32 s7, 0x7f
	v_cmp_ne_u32_e32 vcc, s7, v12
	v_mov_b32_e32 v23, 0x7f800001
	s_and_saveexec_b64 s[12:13], vcc
	s_cbranch_execz .LBB602_565
; %bb.564:
	v_and_b32_e32 v19, 7, v10
	v_ffbh_u32_e32 v24, v19
	v_min_u32_e32 v26, 32, v24
	v_subrev_u32_e32 v24, 28, v26
	v_lshlrev_b64 v[24:25], v24, v[10:11]
	v_lshrrev_b32_e32 v23, 3, v12
	v_sub_u32_e32 v25, 29, v26
	v_and_b32_e32 v24, 7, v24
	v_cmp_gt_u32_e32 vcc, 8, v12
	v_cndmask_b32_e32 v12, v23, v25, vcc
	v_cndmask_b32_e32 v19, v19, v24, vcc
	v_lshlrev_b32_e32 v10, 24, v10
	v_bfrev_b32_e32 v23, 60
	v_lshlrev_b32_e32 v19, 20, v19
	v_and_b32_e32 v10, 0x80000000, v10
	v_lshl_add_u32 v12, v12, 23, v23
	v_or3_b32 v23, v10, v12, v19
.LBB602_565:
	s_or_b64 exec, exec, s[12:13]
.LBB602_566:
	s_or_b64 exec, exec, s[10:11]
.LBB602_567:
	s_or_b64 exec, exec, s[8:9]
	v_cmp_ne_u16_sdwa s[10:11], v13, v21 src0_sel:BYTE_0 src1_sel:DWORD
	s_and_saveexec_b64 s[8:9], s[10:11]
	s_cbranch_execz .LBB602_573
; %bb.568:
	s_movk_i32 s7, 0x80
	v_cmp_ne_u16_sdwa s[12:13], v13, s7 src0_sel:BYTE_0 src1_sel:DWORD
	v_bfrev_b32_e32 v21, 1
	s_and_saveexec_b64 s[10:11], s[12:13]
	s_cbranch_execz .LBB602_572
; %bb.569:
	s_movk_i32 s7, 0x7f
	v_and_b32_e32 v10, 0x7f, v13
	v_cmp_ne_u32_e32 vcc, s7, v10
	v_mov_b32_e32 v21, 0x7f800001
	s_and_saveexec_b64 s[12:13], vcc
	s_cbranch_execz .LBB602_571
; %bb.570:
	v_and_b32_e32 v19, 7, v13
	v_ffbh_u32_e32 v24, v19
	v_min_u32_e32 v26, 32, v24
	v_mov_b32_e32 v12, v13
	v_subrev_u32_e32 v24, 28, v26
	v_lshlrev_b64 v[24:25], v24, v[12:13]
	v_lshrrev_b32_e32 v21, 3, v10
	v_sub_u32_e32 v12, 29, v26
	v_and_b32_e32 v24, 7, v24
	v_cmp_gt_u32_e32 vcc, 8, v10
	v_cndmask_b32_e32 v10, v21, v12, vcc
	v_cndmask_b32_e32 v12, v19, v24, vcc
	v_lshlrev_b32_e32 v19, 24, v13
	v_bfrev_b32_e32 v21, 60
	v_lshlrev_b32_e32 v12, 20, v12
	v_and_b32_e32 v19, 0x80000000, v19
	v_lshl_add_u32 v10, v10, 23, v21
	v_or3_b32 v21, v19, v10, v12
.LBB602_571:
	s_or_b64 exec, exec, s[12:13]
.LBB602_572:
	s_or_b64 exec, exec, s[10:11]
.LBB602_573:
	s_or_b64 exec, exec, s[8:9]
	v_lshrrev_b16_e32 v10, 8, v13
	v_cmp_ne_u16_e32 vcc, 0, v10
	v_mov_b32_e32 v12, 0
	v_mov_b32_e32 v24, 0
	s_and_saveexec_b64 s[8:9], vcc
	s_cbranch_execz .LBB602_579
; %bb.574:
	s_movk_i32 s7, 0x80
	v_cmp_ne_u16_e32 vcc, s7, v10
	v_bfrev_b32_e32 v24, 1
	s_and_saveexec_b64 s[10:11], vcc
	s_cbranch_execz .LBB602_578
; %bb.575:
	s_movk_i32 s7, 0x7f
	v_and_b32_e32 v19, 0x7f, v10
	v_cmp_ne_u32_e32 vcc, s7, v19
	v_mov_b32_e32 v24, 0x7f800001
	s_and_saveexec_b64 s[12:13], vcc
	s_cbranch_execz .LBB602_577
; %bb.576:
	v_and_b32_e32 v26, 7, v10
	v_ffbh_u32_e32 v24, v26
	v_min_u32_e32 v29, 32, v24
	v_subrev_u32_e32 v24, 28, v29
	v_lshlrev_b64 v[24:25], v24, v[10:11]
	v_lshrrev_b32_e32 v27, 3, v19
	v_sub_u32_e32 v10, 29, v29
	v_and_b32_e32 v24, 7, v24
	v_cmp_gt_u32_e32 vcc, 8, v19
	v_cndmask_b32_e32 v10, v27, v10, vcc
	v_cndmask_b32_e32 v19, v26, v24, vcc
	v_lshlrev_b32_e32 v24, 16, v13
	v_bfrev_b32_e32 v25, 60
	v_lshlrev_b32_e32 v19, 20, v19
	v_and_b32_e32 v24, 0x80000000, v24
	v_lshl_add_u32 v10, v10, 23, v25
	v_or3_b32 v24, v24, v10, v19
.LBB602_577:
	s_or_b64 exec, exec, s[12:13]
.LBB602_578:
	s_or_b64 exec, exec, s[10:11]
.LBB602_579:
	s_or_b64 exec, exec, s[8:9]
	s_movk_i32 s7, 0xff
	v_and_b32_sdwa v19, v13, s7 dst_sel:DWORD dst_unused:UNUSED_PAD src0_sel:WORD_1 src1_sel:DWORD
	v_lshrrev_b32_e32 v10, 16, v13
	v_cmp_ne_u16_e32 vcc, 0, v19
	s_and_saveexec_b64 s[8:9], vcc
	s_cbranch_execz .LBB602_585
; %bb.580:
	s_movk_i32 s7, 0x80
	v_cmp_ne_u16_e32 vcc, s7, v19
	v_bfrev_b32_e32 v12, 1
	s_and_saveexec_b64 s[10:11], vcc
	s_cbranch_execz .LBB602_584
; %bb.581:
	v_bfe_u32 v19, v13, 16, 7
	s_movk_i32 s7, 0x7f
	v_cmp_ne_u32_e32 vcc, s7, v19
	v_mov_b32_e32 v12, 0x7f800001
	s_and_saveexec_b64 s[12:13], vcc
	s_cbranch_execz .LBB602_583
; %bb.582:
	v_and_b32_e32 v12, 7, v10
	v_ffbh_u32_e32 v26, v12
	v_min_u32_e32 v29, 32, v26
	v_subrev_u32_e32 v26, 28, v29
	v_lshlrev_b64 v[26:27], v26, v[10:11]
	v_lshrrev_b32_e32 v25, 3, v19
	v_sub_u32_e32 v10, 29, v29
	v_and_b32_e32 v26, 7, v26
	v_cmp_gt_u32_e32 vcc, 8, v19
	v_mov_b32_e32 v19, 24
	v_cndmask_b32_e32 v10, v25, v10, vcc
	v_cndmask_b32_e32 v12, v12, v26, vcc
	v_lshlrev_b32_sdwa v19, v19, v13 dst_sel:DWORD dst_unused:UNUSED_PAD src0_sel:DWORD src1_sel:WORD_1
	v_bfrev_b32_e32 v25, 60
	v_lshlrev_b32_e32 v12, 20, v12
	v_and_b32_e32 v19, 0x80000000, v19
	v_lshl_add_u32 v10, v10, 23, v25
	v_or3_b32 v12, v19, v10, v12
.LBB602_583:
	s_or_b64 exec, exec, s[12:13]
.LBB602_584:
	s_or_b64 exec, exec, s[10:11]
.LBB602_585:
	s_or_b64 exec, exec, s[8:9]
	s_mov_b32 s7, 0xffffff
	v_cmp_lt_u32_e32 vcc, s7, v13
	v_mov_b32_e32 v19, 0
	v_mov_b32_e32 v25, 0
	s_and_saveexec_b64 s[8:9], vcc
	s_cbranch_execz .LBB602_591
; %bb.586:
	v_lshrrev_b32_e32 v10, 24, v13
	s_movk_i32 s7, 0x80
	v_cmp_ne_u32_e32 vcc, s7, v10
	v_bfrev_b32_e32 v25, 1
	s_and_saveexec_b64 s[10:11], vcc
	s_cbranch_execz .LBB602_590
; %bb.587:
	v_bfe_u32 v13, v13, 24, 7
	s_movk_i32 s7, 0x7f
	v_cmp_ne_u32_e32 vcc, s7, v13
	v_mov_b32_e32 v25, 0x7f800001
	s_and_saveexec_b64 s[12:13], vcc
	s_cbranch_execz .LBB602_589
; %bb.588:
	v_and_b32_e32 v25, 7, v10
	v_ffbh_u32_e32 v26, v25
	v_min_u32_e32 v30, 32, v26
	v_subrev_u32_e32 v26, 28, v30
	v_lshlrev_b64 v[26:27], v26, v[10:11]
	v_lshrrev_b32_e32 v29, 3, v13
	v_sub_u32_e32 v27, 29, v30
	v_and_b32_e32 v26, 7, v26
	v_cmp_gt_u32_e32 vcc, 8, v13
	v_cndmask_b32_e32 v13, v29, v27, vcc
	v_cndmask_b32_e32 v25, v25, v26, vcc
	v_lshlrev_b32_e32 v10, 24, v10
	v_bfrev_b32_e32 v26, 60
	v_lshlrev_b32_e32 v25, 20, v25
	v_and_b32_e32 v10, 0x80000000, v10
	v_lshl_add_u32 v13, v13, 23, v26
	v_or3_b32 v25, v10, v13, v25
.LBB602_589:
	s_or_b64 exec, exec, s[12:13]
.LBB602_590:
	s_or_b64 exec, exec, s[10:11]
.LBB602_591:
	s_or_b64 exec, exec, s[8:9]
	v_cvt_pkrtz_f16_f32 v10, v18, v20
	v_cvt_pkrtz_f16_f32 v11, v11, v23
	ds_read_b128 v[30:33], v22 offset:2064
	s_waitcnt vmcnt(1)
	v_cmp_ne_u16_sdwa s[10:11], v6, v19 src0_sel:BYTE_0 src1_sel:DWORD
	s_waitcnt lgkmcnt(0)
	v_mfma_f32_16x16x16f16 v[14:17], v[10:11], v[30:31], v[14:17]
	v_cvt_pkrtz_f16_f32 v10, v21, v24
	v_cvt_pkrtz_f16_f32 v11, v12, v25
	s_nop 1
	v_mfma_f32_16x16x16f16 v[10:13], v[10:11], v[32:33], v[14:17]
	s_and_saveexec_b64 s[8:9], s[10:11]
	s_cbranch_execz .LBB602_597
; %bb.592:
	s_movk_i32 s7, 0x80
	v_cmp_ne_u16_sdwa s[12:13], v6, s7 src0_sel:BYTE_0 src1_sel:DWORD
	v_bfrev_b32_e32 v19, 1
	s_and_saveexec_b64 s[10:11], s[12:13]
	s_cbranch_execz .LBB602_596
; %bb.593:
	s_movk_i32 s7, 0x7f
	v_and_b32_e32 v14, 0x7f, v6
	v_cmp_ne_u32_e32 vcc, s7, v14
	v_mov_b32_e32 v19, 0x7f800001
	s_and_saveexec_b64 s[12:13], vcc
	s_cbranch_execz .LBB602_595
; %bb.594:
	v_and_b32_e32 v15, 7, v6
	v_ffbh_u32_e32 v16, v15
	v_min_u32_e32 v19, 32, v16
	v_subrev_u32_e32 v16, 28, v19
	v_lshlrev_b64 v[16:17], v16, v[6:7]
	v_lshrrev_b32_e32 v18, 3, v14
	v_sub_u32_e32 v17, 29, v19
	v_and_b32_e32 v16, 7, v16
	v_cmp_gt_u32_e32 vcc, 8, v14
	v_cndmask_b32_e32 v14, v18, v17, vcc
	v_cndmask_b32_e32 v15, v15, v16, vcc
	v_lshlrev_b32_e32 v16, 24, v6
	v_bfrev_b32_e32 v17, 60
	v_lshlrev_b32_e32 v15, 20, v15
	v_and_b32_e32 v16, 0x80000000, v16
	v_lshl_add_u32 v14, v14, 23, v17
	v_or3_b32 v19, v16, v14, v15
.LBB602_595:
	s_or_b64 exec, exec, s[12:13]
.LBB602_596:
	s_or_b64 exec, exec, s[10:11]
.LBB602_597:
	s_or_b64 exec, exec, s[8:9]
	s_nop 3
	v_lshrrev_b16_e32 v14, 8, v6
	v_cmp_ne_u16_e32 vcc, 0, v14
	v_mov_b32_e32 v15, 0
	v_mov_b32_e32 v16, 0
	s_and_saveexec_b64 s[8:9], vcc
	s_cbranch_execz .LBB602_603
; %bb.598:
	s_movk_i32 s7, 0x80
	v_cmp_ne_u16_e32 vcc, s7, v14
	v_bfrev_b32_e32 v16, 1
	s_and_saveexec_b64 s[10:11], vcc
	s_cbranch_execz .LBB602_602
; %bb.599:
	s_movk_i32 s7, 0x7f
	v_and_b32_e32 v17, 0x7f, v14
	v_cmp_ne_u32_e32 vcc, s7, v17
	v_mov_b32_e32 v16, 0x7f800001
	s_and_saveexec_b64 s[12:13], vcc
	s_cbranch_execz .LBB602_601
; %bb.600:
	v_and_b32_e32 v16, 7, v14
	v_ffbh_u32_e32 v20, v16
	v_min_u32_e32 v23, 32, v20
	v_subrev_u32_e32 v20, 28, v23
	v_lshlrev_b64 v[20:21], v20, v[14:15]
	v_lshrrev_b32_e32 v18, 3, v17
	v_sub_u32_e32 v14, 29, v23
	v_and_b32_e32 v20, 7, v20
	v_cmp_gt_u32_e32 vcc, 8, v17
	v_cndmask_b32_e32 v14, v18, v14, vcc
	v_cndmask_b32_e32 v16, v16, v20, vcc
	v_lshlrev_b32_e32 v17, 16, v6
	v_bfrev_b32_e32 v18, 60
	v_lshlrev_b32_e32 v16, 20, v16
	v_and_b32_e32 v17, 0x80000000, v17
	v_lshl_add_u32 v14, v14, 23, v18
	v_or3_b32 v16, v17, v14, v16
.LBB602_601:
	s_or_b64 exec, exec, s[12:13]
.LBB602_602:
	s_or_b64 exec, exec, s[10:11]
.LBB602_603:
	s_or_b64 exec, exec, s[8:9]
	s_movk_i32 s7, 0xff
	v_and_b32_sdwa v17, v6, s7 dst_sel:DWORD dst_unused:UNUSED_PAD src0_sel:WORD_1 src1_sel:DWORD
	v_lshrrev_b32_e32 v14, 16, v6
	v_cmp_ne_u16_e32 vcc, 0, v17
	s_and_saveexec_b64 s[8:9], vcc
	s_cbranch_execz .LBB602_609
; %bb.604:
	s_movk_i32 s7, 0x80
	v_cmp_ne_u16_e32 vcc, s7, v17
	v_bfrev_b32_e32 v15, 1
	s_and_saveexec_b64 s[10:11], vcc
	s_cbranch_execz .LBB602_608
; %bb.605:
	v_bfe_u32 v17, v6, 16, 7
	s_movk_i32 s7, 0x7f
	v_cmp_ne_u32_e32 vcc, s7, v17
	v_mov_b32_e32 v15, 0x7f800001
	s_and_saveexec_b64 s[12:13], vcc
	s_cbranch_execz .LBB602_607
; %bb.606:
	v_and_b32_e32 v18, 7, v14
	v_ffbh_u32_e32 v15, v18
	v_min_u32_e32 v21, 32, v15
	v_subrev_u32_e32 v15, 28, v21
	v_lshlrev_b64 v[14:15], v15, v[14:15]
	v_lshrrev_b32_e32 v20, 3, v17
	v_sub_u32_e32 v15, 29, v21
	v_and_b32_e32 v14, 7, v14
	v_cmp_gt_u32_e32 vcc, 8, v17
	v_mov_b32_e32 v17, 24
	v_cndmask_b32_e32 v15, v20, v15, vcc
	v_cndmask_b32_e32 v14, v18, v14, vcc
	v_lshlrev_b32_sdwa v17, v17, v6 dst_sel:DWORD dst_unused:UNUSED_PAD src0_sel:DWORD src1_sel:WORD_1
	v_bfrev_b32_e32 v18, 60
	v_lshlrev_b32_e32 v14, 20, v14
	v_and_b32_e32 v17, 0x80000000, v17
	v_lshl_add_u32 v15, v15, 23, v18
	v_or3_b32 v15, v17, v15, v14
.LBB602_607:
	s_or_b64 exec, exec, s[12:13]
.LBB602_608:
	s_or_b64 exec, exec, s[10:11]
.LBB602_609:
	s_or_b64 exec, exec, s[8:9]
	s_mov_b32 s7, 0xffffff
	v_cmp_lt_u32_e32 vcc, s7, v6
	v_mov_b32_e32 v17, 0
	v_mov_b32_e32 v18, 0
	s_and_saveexec_b64 s[8:9], vcc
	s_cbranch_execz .LBB602_615
; %bb.610:
	v_lshrrev_b32_e32 v14, 24, v6
	s_movk_i32 s7, 0x80
	v_cmp_ne_u32_e32 vcc, s7, v14
	v_bfrev_b32_e32 v18, 1
	s_and_saveexec_b64 s[10:11], vcc
	s_cbranch_execz .LBB602_614
; %bb.611:
	v_bfe_u32 v6, v6, 24, 7
	s_movk_i32 s7, 0x7f
	v_cmp_ne_u32_e32 vcc, s7, v6
	v_mov_b32_e32 v18, 0x7f800001
	s_and_saveexec_b64 s[12:13], vcc
	s_cbranch_execz .LBB602_613
; %bb.612:
	v_and_b32_e32 v18, 7, v14
	v_ffbh_u32_e32 v20, v18
	v_min_u32_e32 v24, 32, v20
	v_subrev_u32_e32 v20, 28, v24
	v_lshlrev_b64 v[20:21], v20, v[14:15]
	v_lshrrev_b32_e32 v23, 3, v6
	v_sub_u32_e32 v21, 29, v24
	v_and_b32_e32 v20, 7, v20
	v_cmp_gt_u32_e32 vcc, 8, v6
	v_cndmask_b32_e32 v6, v23, v21, vcc
	v_cndmask_b32_e32 v18, v18, v20, vcc
	v_lshlrev_b32_e32 v14, 24, v14
	v_bfrev_b32_e32 v20, 60
	v_lshlrev_b32_e32 v18, 20, v18
	v_and_b32_e32 v14, 0x80000000, v14
	v_lshl_add_u32 v6, v6, 23, v20
	v_or3_b32 v18, v14, v6, v18
.LBB602_613:
	s_or_b64 exec, exec, s[12:13]
.LBB602_614:
	s_or_b64 exec, exec, s[10:11]
.LBB602_615:
	s_or_b64 exec, exec, s[8:9]
	v_cmp_ne_u16_sdwa s[10:11], v7, v17 src0_sel:BYTE_0 src1_sel:DWORD
	s_and_saveexec_b64 s[8:9], s[10:11]
	s_cbranch_execz .LBB602_621
; %bb.616:
	s_movk_i32 s7, 0x80
	v_cmp_ne_u16_sdwa s[12:13], v7, s7 src0_sel:BYTE_0 src1_sel:DWORD
	v_bfrev_b32_e32 v17, 1
	s_and_saveexec_b64 s[10:11], s[12:13]
	s_cbranch_execz .LBB602_620
; %bb.617:
	s_movk_i32 s7, 0x7f
	v_and_b32_e32 v6, 0x7f, v7
	v_cmp_ne_u32_e32 vcc, s7, v6
	v_mov_b32_e32 v17, 0x7f800001
	s_and_saveexec_b64 s[12:13], vcc
	s_cbranch_execz .LBB602_619
; %bb.618:
	v_and_b32_e32 v17, 7, v7
	v_ffbh_u32_e32 v20, v17
	v_min_u32_e32 v24, 32, v20
	v_mov_b32_e32 v14, v7
	v_subrev_u32_e32 v20, 28, v24
	v_lshlrev_b64 v[20:21], v20, v[14:15]
	v_lshrrev_b32_e32 v23, 3, v6
	v_sub_u32_e32 v14, 29, v24
	v_and_b32_e32 v20, 7, v20
	v_cmp_gt_u32_e32 vcc, 8, v6
	v_cndmask_b32_e32 v6, v23, v14, vcc
	v_cndmask_b32_e32 v14, v17, v20, vcc
	v_lshlrev_b32_e32 v17, 24, v7
	v_bfrev_b32_e32 v20, 60
	v_lshlrev_b32_e32 v14, 20, v14
	v_and_b32_e32 v17, 0x80000000, v17
	v_lshl_add_u32 v6, v6, 23, v20
	v_or3_b32 v17, v17, v6, v14
.LBB602_619:
	s_or_b64 exec, exec, s[12:13]
.LBB602_620:
	s_or_b64 exec, exec, s[10:11]
.LBB602_621:
	s_or_b64 exec, exec, s[8:9]
	v_lshrrev_b16_e32 v6, 8, v7
	v_cmp_ne_u16_e32 vcc, 0, v6
	v_mov_b32_e32 v20, 0
	v_mov_b32_e32 v21, 0
	s_and_saveexec_b64 s[8:9], vcc
	s_cbranch_execz .LBB602_627
; %bb.622:
	s_movk_i32 s7, 0x80
	v_cmp_ne_u16_e32 vcc, s7, v6
	v_bfrev_b32_e32 v21, 1
	s_and_saveexec_b64 s[10:11], vcc
	s_cbranch_execz .LBB602_626
; %bb.623:
	s_movk_i32 s7, 0x7f
	v_and_b32_e32 v14, 0x7f, v6
	v_cmp_ne_u32_e32 vcc, s7, v14
	v_mov_b32_e32 v21, 0x7f800001
	s_and_saveexec_b64 s[12:13], vcc
	s_cbranch_execz .LBB602_625
; %bb.624:
	v_and_b32_e32 v21, 7, v6
	v_ffbh_u32_e32 v24, v21
	v_min_u32_e32 v26, 32, v24
	v_subrev_u32_e32 v24, 28, v26
	v_lshlrev_b64 v[24:25], v24, v[6:7]
	v_lshrrev_b32_e32 v23, 3, v14
	v_sub_u32_e32 v6, 29, v26
	v_and_b32_e32 v24, 7, v24
	v_cmp_gt_u32_e32 vcc, 8, v14
	v_cndmask_b32_e32 v6, v23, v6, vcc
	v_cndmask_b32_e32 v14, v21, v24, vcc
	v_lshlrev_b32_e32 v21, 16, v7
	v_bfrev_b32_e32 v23, 60
	v_lshlrev_b32_e32 v14, 20, v14
	v_and_b32_e32 v21, 0x80000000, v21
	v_lshl_add_u32 v6, v6, 23, v23
	v_or3_b32 v21, v21, v6, v14
.LBB602_625:
	s_or_b64 exec, exec, s[12:13]
.LBB602_626:
	s_or_b64 exec, exec, s[10:11]
.LBB602_627:
	s_or_b64 exec, exec, s[8:9]
	s_movk_i32 s7, 0xff
	v_and_b32_sdwa v14, v7, s7 dst_sel:DWORD dst_unused:UNUSED_PAD src0_sel:WORD_1 src1_sel:DWORD
	v_lshrrev_b32_e32 v6, 16, v7
	v_cmp_ne_u16_e32 vcc, 0, v14
	s_and_saveexec_b64 s[8:9], vcc
	s_cbranch_execz .LBB602_633
; %bb.628:
	s_movk_i32 s7, 0x80
	v_cmp_ne_u16_e32 vcc, s7, v14
	v_bfrev_b32_e32 v20, 1
	s_and_saveexec_b64 s[10:11], vcc
	s_cbranch_execz .LBB602_632
; %bb.629:
	v_bfe_u32 v14, v7, 16, 7
	s_movk_i32 s7, 0x7f
	v_cmp_ne_u32_e32 vcc, s7, v14
	v_mov_b32_e32 v20, 0x7f800001
	s_and_saveexec_b64 s[12:13], vcc
	s_cbranch_execz .LBB602_631
; %bb.630:
	v_and_b32_e32 v20, 7, v6
	v_ffbh_u32_e32 v24, v20
	v_min_u32_e32 v26, 32, v24
	v_subrev_u32_e32 v24, 28, v26
	v_lshlrev_b64 v[24:25], v24, v[6:7]
	v_and_b32_e32 v24, 7, v24
	v_cmp_gt_u32_e32 vcc, 8, v14
	v_lshrrev_b32_e32 v23, 3, v14
	v_sub_u32_e32 v6, 29, v26
	v_cndmask_b32_e32 v14, v20, v24, vcc
	v_mov_b32_e32 v20, 24
	v_cndmask_b32_e32 v6, v23, v6, vcc
	v_lshlrev_b32_sdwa v20, v20, v7 dst_sel:DWORD dst_unused:UNUSED_PAD src0_sel:DWORD src1_sel:WORD_1
	v_bfrev_b32_e32 v23, 60
	v_lshlrev_b32_e32 v14, 20, v14
	v_and_b32_e32 v20, 0x80000000, v20
	v_lshl_add_u32 v6, v6, 23, v23
	v_or3_b32 v20, v20, v6, v14
.LBB602_631:
	s_or_b64 exec, exec, s[12:13]
.LBB602_632:
	s_or_b64 exec, exec, s[10:11]
.LBB602_633:
	s_or_b64 exec, exec, s[8:9]
	s_mov_b32 s7, 0xffffff
	v_cmp_lt_u32_e32 vcc, s7, v7
	v_mov_b32_e32 v14, 0
	v_mov_b32_e32 v23, 0
	s_and_saveexec_b64 s[8:9], vcc
	s_cbranch_execz .LBB602_639
; %bb.634:
	v_lshrrev_b32_e32 v6, 24, v7
	s_movk_i32 s7, 0x80
	v_cmp_ne_u32_e32 vcc, s7, v6
	v_bfrev_b32_e32 v23, 1
	s_and_saveexec_b64 s[10:11], vcc
	s_cbranch_execz .LBB602_638
; %bb.635:
	v_bfe_u32 v7, v7, 24, 7
	s_movk_i32 s7, 0x7f
	v_cmp_ne_u32_e32 vcc, s7, v7
	v_mov_b32_e32 v23, 0x7f800001
	s_and_saveexec_b64 s[12:13], vcc
	s_cbranch_execz .LBB602_637
; %bb.636:
	v_and_b32_e32 v23, 7, v6
	v_ffbh_u32_e32 v24, v23
	v_min_u32_e32 v27, 32, v24
	v_subrev_u32_e32 v24, 28, v27
	v_lshlrev_b64 v[24:25], v24, v[6:7]
	v_lshrrev_b32_e32 v26, 3, v7
	v_sub_u32_e32 v25, 29, v27
	v_and_b32_e32 v24, 7, v24
	v_cmp_gt_u32_e32 vcc, 8, v7
	v_cndmask_b32_e32 v7, v26, v25, vcc
	v_cndmask_b32_e32 v23, v23, v24, vcc
	v_lshlrev_b32_e32 v6, 24, v6
	v_bfrev_b32_e32 v24, 60
	v_lshlrev_b32_e32 v23, 20, v23
	v_and_b32_e32 v6, 0x80000000, v6
	v_lshl_add_u32 v7, v7, 23, v24
	v_or3_b32 v23, v6, v7, v23
.LBB602_637:
	s_or_b64 exec, exec, s[12:13]
.LBB602_638:
	s_or_b64 exec, exec, s[10:11]
.LBB602_639:
	s_or_b64 exec, exec, s[8:9]
	v_cvt_pkrtz_f16_f32 v6, v19, v16
	v_cvt_pkrtz_f16_f32 v7, v15, v18
	ds_read_b128 v[24:27], v22 offset:4096
	v_cmp_ne_u16_sdwa s[10:11], v8, v14 src0_sel:BYTE_0 src1_sel:DWORD
	s_waitcnt lgkmcnt(0)
	v_mfma_f32_16x16x16f16 v[10:13], v[6:7], v[24:25], v[10:13]
	v_cvt_pkrtz_f16_f32 v6, v17, v21
	v_cvt_pkrtz_f16_f32 v7, v20, v23
	s_nop 1
	v_mfma_f32_16x16x16f16 v[10:13], v[6:7], v[26:27], v[10:13]
	s_and_saveexec_b64 s[8:9], s[10:11]
	s_cbranch_execz .LBB602_645
; %bb.640:
	s_movk_i32 s7, 0x80
	v_cmp_ne_u16_sdwa s[12:13], v8, s7 src0_sel:BYTE_0 src1_sel:DWORD
	v_bfrev_b32_e32 v14, 1
	s_and_saveexec_b64 s[10:11], s[12:13]
	s_cbranch_execz .LBB602_644
; %bb.641:
	s_movk_i32 s7, 0x7f
	v_and_b32_e32 v6, 0x7f, v8
	v_cmp_ne_u32_e32 vcc, s7, v6
	v_mov_b32_e32 v14, 0x7f800001
	s_and_saveexec_b64 s[12:13], vcc
	s_cbranch_execz .LBB602_643
; %bb.642:
	v_and_b32_e32 v7, 7, v8
	v_ffbh_u32_e32 v14, v7
	v_min_u32_e32 v17, 32, v14
	v_subrev_u32_e32 v14, 28, v17
	v_lshlrev_b64 v[14:15], v14, v[8:9]
	v_lshrrev_b32_e32 v16, 3, v6
	v_sub_u32_e32 v15, 29, v17
	v_and_b32_e32 v14, 7, v14
	v_cmp_gt_u32_e32 vcc, 8, v6
	v_cndmask_b32_e32 v6, v16, v15, vcc
	v_cndmask_b32_e32 v7, v7, v14, vcc
	v_lshlrev_b32_e32 v14, 24, v8
	v_bfrev_b32_e32 v15, 60
	v_lshlrev_b32_e32 v7, 20, v7
	v_and_b32_e32 v14, 0x80000000, v14
	v_lshl_add_u32 v6, v6, 23, v15
	v_or3_b32 v14, v14, v6, v7
.LBB602_643:
	s_or_b64 exec, exec, s[12:13]
.LBB602_644:
	s_or_b64 exec, exec, s[10:11]
.LBB602_645:
	s_or_b64 exec, exec, s[8:9]
	v_lshrrev_b16_e32 v6, 8, v8
	v_cmp_ne_u16_e32 vcc, 0, v6
	v_mov_b32_e32 v7, 0
	v_mov_b32_e32 v16, 0
	s_and_saveexec_b64 s[8:9], vcc
	s_cbranch_execz .LBB602_651
; %bb.646:
	s_movk_i32 s7, 0x80
	v_cmp_ne_u16_e32 vcc, s7, v6
	v_bfrev_b32_e32 v16, 1
	s_and_saveexec_b64 s[10:11], vcc
	s_cbranch_execz .LBB602_650
; %bb.647:
	s_movk_i32 s7, 0x7f
	v_and_b32_e32 v15, 0x7f, v6
	v_cmp_ne_u32_e32 vcc, s7, v15
	v_mov_b32_e32 v16, 0x7f800001
	s_and_saveexec_b64 s[12:13], vcc
	s_cbranch_execz .LBB602_649
; %bb.648:
	v_and_b32_e32 v18, 7, v6
	v_ffbh_u32_e32 v16, v18
	v_min_u32_e32 v20, 32, v16
	v_subrev_u32_e32 v16, 28, v20
	v_lshlrev_b64 v[16:17], v16, v[6:7]
	v_lshrrev_b32_e32 v19, 3, v15
	v_sub_u32_e32 v6, 29, v20
	v_and_b32_e32 v16, 7, v16
	v_cmp_gt_u32_e32 vcc, 8, v15
	v_cndmask_b32_e32 v6, v19, v6, vcc
	v_cndmask_b32_e32 v15, v18, v16, vcc
	v_lshlrev_b32_e32 v16, 16, v8
	v_bfrev_b32_e32 v17, 60
	v_lshlrev_b32_e32 v15, 20, v15
	v_and_b32_e32 v16, 0x80000000, v16
	v_lshl_add_u32 v6, v6, 23, v17
	v_or3_b32 v16, v16, v6, v15
.LBB602_649:
	s_or_b64 exec, exec, s[12:13]
.LBB602_650:
	s_or_b64 exec, exec, s[10:11]
.LBB602_651:
	s_or_b64 exec, exec, s[8:9]
	s_movk_i32 s7, 0xff
	v_and_b32_sdwa v15, v8, s7 dst_sel:DWORD dst_unused:UNUSED_PAD src0_sel:WORD_1 src1_sel:DWORD
	v_lshrrev_b32_e32 v6, 16, v8
	v_cmp_ne_u16_e32 vcc, 0, v15
	s_and_saveexec_b64 s[8:9], vcc
	s_cbranch_execz .LBB602_657
; %bb.652:
	s_movk_i32 s7, 0x80
	v_cmp_ne_u16_e32 vcc, s7, v15
	v_bfrev_b32_e32 v7, 1
	s_and_saveexec_b64 s[10:11], vcc
	s_cbranch_execz .LBB602_656
; %bb.653:
	v_bfe_u32 v15, v8, 16, 7
	s_movk_i32 s7, 0x7f
	v_cmp_ne_u32_e32 vcc, s7, v15
	v_mov_b32_e32 v7, 0x7f800001
	s_and_saveexec_b64 s[12:13], vcc
	s_cbranch_execz .LBB602_655
; %bb.654:
	v_and_b32_e32 v17, 7, v6
	v_ffbh_u32_e32 v7, v17
	v_min_u32_e32 v19, 32, v7
	v_subrev_u32_e32 v7, 28, v19
	v_lshlrev_b64 v[6:7], v7, v[6:7]
	v_lshrrev_b32_e32 v18, 3, v15
	v_sub_u32_e32 v7, 29, v19
	v_and_b32_e32 v6, 7, v6
	v_cmp_gt_u32_e32 vcc, 8, v15
	v_mov_b32_e32 v15, 24
	v_cndmask_b32_e32 v7, v18, v7, vcc
	v_cndmask_b32_e32 v6, v17, v6, vcc
	v_lshlrev_b32_sdwa v15, v15, v8 dst_sel:DWORD dst_unused:UNUSED_PAD src0_sel:DWORD src1_sel:WORD_1
	v_bfrev_b32_e32 v17, 60
	v_lshlrev_b32_e32 v6, 20, v6
	v_and_b32_e32 v15, 0x80000000, v15
	v_lshl_add_u32 v7, v7, 23, v17
	v_or3_b32 v7, v15, v7, v6
.LBB602_655:
	s_or_b64 exec, exec, s[12:13]
.LBB602_656:
	s_or_b64 exec, exec, s[10:11]
.LBB602_657:
	s_or_b64 exec, exec, s[8:9]
	s_mov_b32 s7, 0xffffff
	v_cmp_lt_u32_e32 vcc, s7, v8
	v_mov_b32_e32 v17, 0
	v_mov_b32_e32 v18, 0
	s_and_saveexec_b64 s[8:9], vcc
	s_cbranch_execz .LBB602_663
; %bb.658:
	v_lshrrev_b32_e32 v6, 24, v8
	s_movk_i32 s7, 0x80
	v_cmp_ne_u32_e32 vcc, s7, v6
	v_bfrev_b32_e32 v18, 1
	s_and_saveexec_b64 s[10:11], vcc
	s_cbranch_execz .LBB602_662
; %bb.659:
	v_bfe_u32 v8, v8, 24, 7
	s_movk_i32 s7, 0x7f
	v_cmp_ne_u32_e32 vcc, s7, v8
	v_mov_b32_e32 v18, 0x7f800001
	s_and_saveexec_b64 s[12:13], vcc
	s_cbranch_execz .LBB602_661
; %bb.660:
	v_and_b32_e32 v15, 7, v6
	v_ffbh_u32_e32 v18, v15
	v_min_u32_e32 v21, 32, v18
	v_subrev_u32_e32 v18, 28, v21
	v_lshlrev_b64 v[18:19], v18, v[6:7]
	v_lshrrev_b32_e32 v20, 3, v8
	v_sub_u32_e32 v19, 29, v21
	v_and_b32_e32 v18, 7, v18
	v_cmp_gt_u32_e32 vcc, 8, v8
	v_cndmask_b32_e32 v8, v20, v19, vcc
	v_cndmask_b32_e32 v15, v15, v18, vcc
	v_lshlrev_b32_e32 v6, 24, v6
	v_bfrev_b32_e32 v18, 60
	v_lshlrev_b32_e32 v15, 20, v15
	v_and_b32_e32 v6, 0x80000000, v6
	v_lshl_add_u32 v8, v8, 23, v18
	v_or3_b32 v18, v6, v8, v15
.LBB602_661:
	s_or_b64 exec, exec, s[12:13]
.LBB602_662:
	s_or_b64 exec, exec, s[10:11]
.LBB602_663:
	s_or_b64 exec, exec, s[8:9]
	v_cmp_ne_u16_sdwa s[10:11], v9, v17 src0_sel:BYTE_0 src1_sel:DWORD
	s_and_saveexec_b64 s[8:9], s[10:11]
	s_cbranch_execz .LBB602_669
; %bb.664:
	s_movk_i32 s7, 0x80
	v_cmp_ne_u16_sdwa s[12:13], v9, s7 src0_sel:BYTE_0 src1_sel:DWORD
	v_bfrev_b32_e32 v17, 1
	s_and_saveexec_b64 s[10:11], s[12:13]
	s_cbranch_execz .LBB602_668
; %bb.665:
	s_movk_i32 s7, 0x7f
	v_and_b32_e32 v6, 0x7f, v9
	v_cmp_ne_u32_e32 vcc, s7, v6
	v_mov_b32_e32 v17, 0x7f800001
	s_and_saveexec_b64 s[12:13], vcc
	s_cbranch_execz .LBB602_667
; %bb.666:
	v_and_b32_e32 v15, 7, v9
	v_ffbh_u32_e32 v19, v15
	v_min_u32_e32 v19, 32, v19
	v_mov_b32_e32 v8, v9
	v_subrev_u32_e32 v20, 28, v19
	v_lshlrev_b64 v[20:21], v20, v[8:9]
	v_lshrrev_b32_e32 v17, 3, v6
	v_sub_u32_e32 v8, 29, v19
	v_and_b32_e32 v19, 7, v20
	v_cmp_gt_u32_e32 vcc, 8, v6
	v_cndmask_b32_e32 v6, v17, v8, vcc
	v_cndmask_b32_e32 v8, v15, v19, vcc
	v_lshlrev_b32_e32 v15, 24, v9
	v_bfrev_b32_e32 v17, 60
	v_lshlrev_b32_e32 v8, 20, v8
	v_and_b32_e32 v15, 0x80000000, v15
	v_lshl_add_u32 v6, v6, 23, v17
	v_or3_b32 v17, v15, v6, v8
.LBB602_667:
	s_or_b64 exec, exec, s[12:13]
.LBB602_668:
	s_or_b64 exec, exec, s[10:11]
.LBB602_669:
	s_or_b64 exec, exec, s[8:9]
	v_lshrrev_b16_e32 v6, 8, v9
	v_cmp_ne_u16_e32 vcc, 0, v6
	v_mov_b32_e32 v8, 0
	v_mov_b32_e32 v19, 0
	s_and_saveexec_b64 s[8:9], vcc
	s_cbranch_execz .LBB602_675
; %bb.670:
	s_movk_i32 s7, 0x80
	v_cmp_ne_u16_e32 vcc, s7, v6
	v_bfrev_b32_e32 v19, 1
	s_and_saveexec_b64 s[10:11], vcc
	s_cbranch_execz .LBB602_674
; %bb.671:
	s_movk_i32 s7, 0x7f
	v_and_b32_e32 v15, 0x7f, v6
	v_cmp_ne_u32_e32 vcc, s7, v15
	v_mov_b32_e32 v19, 0x7f800001
	s_and_saveexec_b64 s[12:13], vcc
	s_cbranch_execz .LBB602_673
; %bb.672:
	v_and_b32_e32 v19, 7, v6
	v_ffbh_u32_e32 v20, v19
	v_min_u32_e32 v24, 32, v20
	v_subrev_u32_e32 v20, 28, v24
	v_lshlrev_b64 v[20:21], v20, v[6:7]
	v_lshrrev_b32_e32 v23, 3, v15
	v_sub_u32_e32 v6, 29, v24
	v_and_b32_e32 v20, 7, v20
	v_cmp_gt_u32_e32 vcc, 8, v15
	v_cndmask_b32_e32 v6, v23, v6, vcc
	v_cndmask_b32_e32 v15, v19, v20, vcc
	v_lshlrev_b32_e32 v19, 16, v9
	v_bfrev_b32_e32 v20, 60
	v_lshlrev_b32_e32 v15, 20, v15
	v_and_b32_e32 v19, 0x80000000, v19
	v_lshl_add_u32 v6, v6, 23, v20
	v_or3_b32 v19, v19, v6, v15
.LBB602_673:
	s_or_b64 exec, exec, s[12:13]
.LBB602_674:
	s_or_b64 exec, exec, s[10:11]
.LBB602_675:
	s_or_b64 exec, exec, s[8:9]
	s_movk_i32 s7, 0xff
	v_and_b32_sdwa v15, v9, s7 dst_sel:DWORD dst_unused:UNUSED_PAD src0_sel:WORD_1 src1_sel:DWORD
	v_lshrrev_b32_e32 v6, 16, v9
	v_cmp_ne_u16_e32 vcc, 0, v15
	s_and_saveexec_b64 s[8:9], vcc
	s_cbranch_execz .LBB602_681
; %bb.676:
	s_movk_i32 s7, 0x80
	v_cmp_ne_u16_e32 vcc, s7, v15
	v_bfrev_b32_e32 v8, 1
	s_and_saveexec_b64 s[10:11], vcc
	s_cbranch_execz .LBB602_680
; %bb.677:
	v_bfe_u32 v15, v9, 16, 7
	s_movk_i32 s7, 0x7f
	v_cmp_ne_u32_e32 vcc, s7, v15
	v_mov_b32_e32 v8, 0x7f800001
	s_and_saveexec_b64 s[12:13], vcc
	s_cbranch_execz .LBB602_679
; %bb.678:
	v_and_b32_e32 v8, 7, v6
	v_ffbh_u32_e32 v20, v8
	v_min_u32_e32 v24, 32, v20
	v_subrev_u32_e32 v20, 28, v24
	v_lshlrev_b64 v[20:21], v20, v[6:7]
	v_lshrrev_b32_e32 v23, 3, v15
	v_sub_u32_e32 v6, 29, v24
	v_and_b32_e32 v20, 7, v20
	v_cmp_gt_u32_e32 vcc, 8, v15
	v_mov_b32_e32 v15, 24
	v_cndmask_b32_e32 v6, v23, v6, vcc
	v_cndmask_b32_e32 v8, v8, v20, vcc
	v_lshlrev_b32_sdwa v15, v15, v9 dst_sel:DWORD dst_unused:UNUSED_PAD src0_sel:DWORD src1_sel:WORD_1
	v_bfrev_b32_e32 v20, 60
	v_lshlrev_b32_e32 v8, 20, v8
	v_and_b32_e32 v15, 0x80000000, v15
	v_lshl_add_u32 v6, v6, 23, v20
	v_or3_b32 v8, v15, v6, v8
.LBB602_679:
	s_or_b64 exec, exec, s[12:13]
.LBB602_680:
	s_or_b64 exec, exec, s[10:11]
.LBB602_681:
	s_or_b64 exec, exec, s[8:9]
	s_mov_b32 s7, 0xffffff
	v_cmp_lt_u32_e32 vcc, s7, v9
	v_mov_b32_e32 v15, 0
	v_mov_b32_e32 v20, 0
	s_and_saveexec_b64 s[8:9], vcc
	s_cbranch_execz .LBB602_687
; %bb.682:
	v_lshrrev_b32_e32 v6, 24, v9
	s_movk_i32 s7, 0x80
	v_cmp_ne_u32_e32 vcc, s7, v6
	v_bfrev_b32_e32 v20, 1
	s_and_saveexec_b64 s[10:11], vcc
	s_cbranch_execz .LBB602_686
; %bb.683:
	v_bfe_u32 v9, v9, 24, 7
	s_movk_i32 s7, 0x7f
	v_cmp_ne_u32_e32 vcc, s7, v9
	v_mov_b32_e32 v20, 0x7f800001
	s_and_saveexec_b64 s[12:13], vcc
	s_cbranch_execz .LBB602_685
; %bb.684:
	v_and_b32_e32 v23, 7, v6
	v_ffbh_u32_e32 v20, v23
	v_min_u32_e32 v25, 32, v20
	v_subrev_u32_e32 v20, 28, v25
	v_lshlrev_b64 v[20:21], v20, v[6:7]
	v_lshrrev_b32_e32 v24, 3, v9
	v_sub_u32_e32 v21, 29, v25
	v_and_b32_e32 v20, 7, v20
	v_cmp_gt_u32_e32 vcc, 8, v9
	v_cndmask_b32_e32 v9, v24, v21, vcc
	v_cndmask_b32_e32 v20, v23, v20, vcc
	v_lshlrev_b32_e32 v6, 24, v6
	v_bfrev_b32_e32 v21, 60
	v_lshlrev_b32_e32 v20, 20, v20
	v_and_b32_e32 v6, 0x80000000, v6
	v_lshl_add_u32 v9, v9, 23, v21
	v_or3_b32 v20, v6, v9, v20
.LBB602_685:
	s_or_b64 exec, exec, s[12:13]
.LBB602_686:
	s_or_b64 exec, exec, s[10:11]
.LBB602_687:
	s_or_b64 exec, exec, s[8:9]
	v_cvt_pkrtz_f16_f32 v6, v14, v16
	v_cvt_pkrtz_f16_f32 v7, v7, v18
	ds_read_b128 v[24:27], v22 offset:4112
	s_waitcnt vmcnt(0)
	v_cmp_ne_u16_sdwa s[10:11], v2, v15 src0_sel:BYTE_0 src1_sel:DWORD
	s_waitcnt lgkmcnt(0)
	v_mfma_f32_16x16x16f16 v[10:13], v[6:7], v[24:25], v[10:13]
	v_cvt_pkrtz_f16_f32 v6, v17, v19
	v_cvt_pkrtz_f16_f32 v7, v8, v20
	s_nop 1
	v_mfma_f32_16x16x16f16 v[6:9], v[6:7], v[26:27], v[10:13]
	s_and_saveexec_b64 s[8:9], s[10:11]
	s_cbranch_execz .LBB602_693
; %bb.688:
	s_movk_i32 s7, 0x80
	v_cmp_ne_u16_sdwa s[12:13], v2, s7 src0_sel:BYTE_0 src1_sel:DWORD
	v_bfrev_b32_e32 v15, 1
	s_and_saveexec_b64 s[10:11], s[12:13]
	s_cbranch_execz .LBB602_692
; %bb.689:
	s_movk_i32 s7, 0x7f
	v_and_b32_e32 v10, 0x7f, v2
	v_cmp_ne_u32_e32 vcc, s7, v10
	v_mov_b32_e32 v15, 0x7f800001
	s_and_saveexec_b64 s[12:13], vcc
	s_cbranch_execz .LBB602_691
; %bb.690:
	v_and_b32_e32 v11, 7, v2
	v_ffbh_u32_e32 v12, v11
	v_min_u32_e32 v15, 32, v12
	v_subrev_u32_e32 v12, 28, v15
	v_lshlrev_b64 v[12:13], v12, v[2:3]
	v_lshrrev_b32_e32 v14, 3, v10
	v_sub_u32_e32 v13, 29, v15
	v_and_b32_e32 v12, 7, v12
	v_cmp_gt_u32_e32 vcc, 8, v10
	v_cndmask_b32_e32 v10, v14, v13, vcc
	v_cndmask_b32_e32 v11, v11, v12, vcc
	v_lshlrev_b32_e32 v12, 24, v2
	v_bfrev_b32_e32 v13, 60
	v_lshlrev_b32_e32 v11, 20, v11
	v_and_b32_e32 v12, 0x80000000, v12
	v_lshl_add_u32 v10, v10, 23, v13
	v_or3_b32 v15, v12, v10, v11
.LBB602_691:
	s_or_b64 exec, exec, s[12:13]
.LBB602_692:
	s_or_b64 exec, exec, s[10:11]
.LBB602_693:
	s_or_b64 exec, exec, s[8:9]
	s_nop 3
	v_lshrrev_b16_e32 v10, 8, v2
	v_cmp_ne_u16_e32 vcc, 0, v10
	v_mov_b32_e32 v11, 0
	v_mov_b32_e32 v12, 0
	s_and_saveexec_b64 s[8:9], vcc
	s_cbranch_execz .LBB602_699
; %bb.694:
	s_movk_i32 s7, 0x80
	v_cmp_ne_u16_e32 vcc, s7, v10
	v_bfrev_b32_e32 v12, 1
	s_and_saveexec_b64 s[10:11], vcc
	s_cbranch_execz .LBB602_698
; %bb.695:
	s_movk_i32 s7, 0x7f
	v_and_b32_e32 v13, 0x7f, v10
	v_cmp_ne_u32_e32 vcc, s7, v13
	v_mov_b32_e32 v12, 0x7f800001
	s_and_saveexec_b64 s[12:13], vcc
	s_cbranch_execz .LBB602_697
; %bb.696:
	v_and_b32_e32 v12, 7, v10
	v_ffbh_u32_e32 v16, v12
	v_min_u32_e32 v18, 32, v16
	v_subrev_u32_e32 v16, 28, v18
	v_lshlrev_b64 v[16:17], v16, v[10:11]
	v_lshrrev_b32_e32 v14, 3, v13
	v_sub_u32_e32 v10, 29, v18
	v_and_b32_e32 v16, 7, v16
	v_cmp_gt_u32_e32 vcc, 8, v13
	v_cndmask_b32_e32 v10, v14, v10, vcc
	v_cndmask_b32_e32 v12, v12, v16, vcc
	v_lshlrev_b32_e32 v13, 16, v2
	v_bfrev_b32_e32 v14, 60
	v_lshlrev_b32_e32 v12, 20, v12
	v_and_b32_e32 v13, 0x80000000, v13
	v_lshl_add_u32 v10, v10, 23, v14
	v_or3_b32 v12, v13, v10, v12
.LBB602_697:
	s_or_b64 exec, exec, s[12:13]
.LBB602_698:
	s_or_b64 exec, exec, s[10:11]
.LBB602_699:
	s_or_b64 exec, exec, s[8:9]
	s_movk_i32 s7, 0xff
	v_and_b32_sdwa v13, v2, s7 dst_sel:DWORD dst_unused:UNUSED_PAD src0_sel:WORD_1 src1_sel:DWORD
	v_lshrrev_b32_e32 v10, 16, v2
	v_cmp_ne_u16_e32 vcc, 0, v13
	s_and_saveexec_b64 s[8:9], vcc
	s_cbranch_execz .LBB602_705
; %bb.700:
	s_movk_i32 s7, 0x80
	v_cmp_ne_u16_e32 vcc, s7, v13
	v_bfrev_b32_e32 v11, 1
	s_and_saveexec_b64 s[10:11], vcc
	s_cbranch_execz .LBB602_704
; %bb.701:
	v_bfe_u32 v13, v2, 16, 7
	s_movk_i32 s7, 0x7f
	v_cmp_ne_u32_e32 vcc, s7, v13
	v_mov_b32_e32 v11, 0x7f800001
	s_and_saveexec_b64 s[12:13], vcc
	s_cbranch_execz .LBB602_703
; %bb.702:
	v_and_b32_e32 v14, 7, v10
	v_ffbh_u32_e32 v11, v14
	v_min_u32_e32 v17, 32, v11
	v_subrev_u32_e32 v11, 28, v17
	v_lshlrev_b64 v[10:11], v11, v[10:11]
	v_lshrrev_b32_e32 v16, 3, v13
	v_sub_u32_e32 v11, 29, v17
	v_and_b32_e32 v10, 7, v10
	v_cmp_gt_u32_e32 vcc, 8, v13
	v_mov_b32_e32 v13, 24
	v_cndmask_b32_e32 v11, v16, v11, vcc
	v_cndmask_b32_e32 v10, v14, v10, vcc
	v_lshlrev_b32_sdwa v13, v13, v2 dst_sel:DWORD dst_unused:UNUSED_PAD src0_sel:DWORD src1_sel:WORD_1
	v_bfrev_b32_e32 v14, 60
	v_lshlrev_b32_e32 v10, 20, v10
	v_and_b32_e32 v13, 0x80000000, v13
	v_lshl_add_u32 v11, v11, 23, v14
	v_or3_b32 v11, v13, v11, v10
.LBB602_703:
	s_or_b64 exec, exec, s[12:13]
.LBB602_704:
	s_or_b64 exec, exec, s[10:11]
.LBB602_705:
	s_or_b64 exec, exec, s[8:9]
	s_mov_b32 s7, 0xffffff
	v_cmp_lt_u32_e32 vcc, s7, v2
	v_mov_b32_e32 v13, 0
	v_mov_b32_e32 v14, 0
	s_and_saveexec_b64 s[8:9], vcc
	s_cbranch_execz .LBB602_711
; %bb.706:
	v_lshrrev_b32_e32 v10, 24, v2
	s_movk_i32 s7, 0x80
	v_cmp_ne_u32_e32 vcc, s7, v10
	v_bfrev_b32_e32 v14, 1
	s_and_saveexec_b64 s[10:11], vcc
	s_cbranch_execz .LBB602_710
; %bb.707:
	v_bfe_u32 v2, v2, 24, 7
	s_movk_i32 s7, 0x7f
	v_cmp_ne_u32_e32 vcc, s7, v2
	v_mov_b32_e32 v14, 0x7f800001
	s_and_saveexec_b64 s[12:13], vcc
	s_cbranch_execz .LBB602_709
; %bb.708:
	v_and_b32_e32 v14, 7, v10
	v_ffbh_u32_e32 v16, v14
	v_min_u32_e32 v19, 32, v16
	v_subrev_u32_e32 v16, 28, v19
	v_lshlrev_b64 v[16:17], v16, v[10:11]
	v_lshrrev_b32_e32 v18, 3, v2
	v_sub_u32_e32 v17, 29, v19
	v_and_b32_e32 v16, 7, v16
	v_cmp_gt_u32_e32 vcc, 8, v2
	v_cndmask_b32_e32 v2, v18, v17, vcc
	v_cndmask_b32_e32 v14, v14, v16, vcc
	v_lshlrev_b32_e32 v10, 24, v10
	v_bfrev_b32_e32 v16, 60
	v_lshlrev_b32_e32 v14, 20, v14
	v_and_b32_e32 v10, 0x80000000, v10
	v_lshl_add_u32 v2, v2, 23, v16
	v_or3_b32 v14, v10, v2, v14
.LBB602_709:
	s_or_b64 exec, exec, s[12:13]
.LBB602_710:
	s_or_b64 exec, exec, s[10:11]
.LBB602_711:
	s_or_b64 exec, exec, s[8:9]
	v_cmp_ne_u16_sdwa s[10:11], v3, v13 src0_sel:BYTE_0 src1_sel:DWORD
	s_and_saveexec_b64 s[8:9], s[10:11]
	s_cbranch_execz .LBB602_717
; %bb.712:
	s_movk_i32 s7, 0x80
	v_cmp_ne_u16_sdwa s[12:13], v3, s7 src0_sel:BYTE_0 src1_sel:DWORD
	v_bfrev_b32_e32 v13, 1
	s_and_saveexec_b64 s[10:11], s[12:13]
	s_cbranch_execz .LBB602_716
; %bb.713:
	s_movk_i32 s7, 0x7f
	v_and_b32_e32 v2, 0x7f, v3
	v_cmp_ne_u32_e32 vcc, s7, v2
	v_mov_b32_e32 v13, 0x7f800001
	s_and_saveexec_b64 s[12:13], vcc
	s_cbranch_execz .LBB602_715
; %bb.714:
	v_and_b32_e32 v13, 7, v3
	v_ffbh_u32_e32 v16, v13
	v_min_u32_e32 v19, 32, v16
	v_mov_b32_e32 v10, v3
	v_subrev_u32_e32 v16, 28, v19
	v_lshlrev_b64 v[16:17], v16, v[10:11]
	v_lshrrev_b32_e32 v18, 3, v2
	v_sub_u32_e32 v10, 29, v19
	v_and_b32_e32 v16, 7, v16
	v_cmp_gt_u32_e32 vcc, 8, v2
	v_cndmask_b32_e32 v2, v18, v10, vcc
	v_cndmask_b32_e32 v10, v13, v16, vcc
	v_lshlrev_b32_e32 v13, 24, v3
	v_bfrev_b32_e32 v16, 60
	v_lshlrev_b32_e32 v10, 20, v10
	v_and_b32_e32 v13, 0x80000000, v13
	v_lshl_add_u32 v2, v2, 23, v16
	v_or3_b32 v13, v13, v2, v10
.LBB602_715:
	s_or_b64 exec, exec, s[12:13]
.LBB602_716:
	s_or_b64 exec, exec, s[10:11]
.LBB602_717:
	s_or_b64 exec, exec, s[8:9]
	v_lshrrev_b16_e32 v2, 8, v3
	v_cmp_ne_u16_e32 vcc, 0, v2
	v_mov_b32_e32 v16, 0
	v_mov_b32_e32 v17, 0
	s_and_saveexec_b64 s[8:9], vcc
	s_cbranch_execz .LBB602_723
; %bb.718:
	s_movk_i32 s7, 0x80
	v_cmp_ne_u16_e32 vcc, s7, v2
	v_bfrev_b32_e32 v17, 1
	s_and_saveexec_b64 s[10:11], vcc
	s_cbranch_execz .LBB602_722
; %bb.719:
	s_movk_i32 s7, 0x7f
	v_and_b32_e32 v10, 0x7f, v2
	v_cmp_ne_u32_e32 vcc, s7, v10
	v_mov_b32_e32 v17, 0x7f800001
	s_and_saveexec_b64 s[12:13], vcc
	s_cbranch_execz .LBB602_721
; %bb.720:
	v_and_b32_e32 v17, 7, v2
	v_ffbh_u32_e32 v18, v17
	v_min_u32_e32 v21, 32, v18
	v_subrev_u32_e32 v18, 28, v21
	v_lshlrev_b64 v[18:19], v18, v[2:3]
	v_lshrrev_b32_e32 v20, 3, v10
	v_sub_u32_e32 v2, 29, v21
	v_and_b32_e32 v18, 7, v18
	v_cmp_gt_u32_e32 vcc, 8, v10
	v_cndmask_b32_e32 v2, v20, v2, vcc
	v_cndmask_b32_e32 v10, v17, v18, vcc
	v_lshlrev_b32_e32 v17, 16, v3
	v_bfrev_b32_e32 v18, 60
	v_lshlrev_b32_e32 v10, 20, v10
	v_and_b32_e32 v17, 0x80000000, v17
	v_lshl_add_u32 v2, v2, 23, v18
	v_or3_b32 v17, v17, v2, v10
.LBB602_721:
	s_or_b64 exec, exec, s[12:13]
.LBB602_722:
	s_or_b64 exec, exec, s[10:11]
.LBB602_723:
	s_or_b64 exec, exec, s[8:9]
	s_movk_i32 s7, 0xff
	v_and_b32_sdwa v10, v3, s7 dst_sel:DWORD dst_unused:UNUSED_PAD src0_sel:WORD_1 src1_sel:DWORD
	v_lshrrev_b32_e32 v2, 16, v3
	v_cmp_ne_u16_e32 vcc, 0, v10
	s_and_saveexec_b64 s[8:9], vcc
	s_cbranch_execz .LBB602_729
; %bb.724:
	s_movk_i32 s7, 0x80
	v_cmp_ne_u16_e32 vcc, s7, v10
	v_bfrev_b32_e32 v16, 1
	s_and_saveexec_b64 s[10:11], vcc
	s_cbranch_execz .LBB602_728
; %bb.725:
	v_bfe_u32 v10, v3, 16, 7
	s_movk_i32 s7, 0x7f
	v_cmp_ne_u32_e32 vcc, s7, v10
	v_mov_b32_e32 v16, 0x7f800001
	s_and_saveexec_b64 s[12:13], vcc
	s_cbranch_execz .LBB602_727
; %bb.726:
	v_and_b32_e32 v16, 7, v2
	v_ffbh_u32_e32 v18, v16
	v_min_u32_e32 v21, 32, v18
	v_subrev_u32_e32 v18, 28, v21
	v_lshlrev_b64 v[18:19], v18, v[2:3]
	v_and_b32_e32 v18, 7, v18
	v_cmp_gt_u32_e32 vcc, 8, v10
	v_lshrrev_b32_e32 v20, 3, v10
	v_sub_u32_e32 v2, 29, v21
	v_cndmask_b32_e32 v10, v16, v18, vcc
	v_mov_b32_e32 v16, 24
	v_cndmask_b32_e32 v2, v20, v2, vcc
	v_lshlrev_b32_sdwa v16, v16, v3 dst_sel:DWORD dst_unused:UNUSED_PAD src0_sel:DWORD src1_sel:WORD_1
	v_bfrev_b32_e32 v18, 60
	v_lshlrev_b32_e32 v10, 20, v10
	v_and_b32_e32 v16, 0x80000000, v16
	v_lshl_add_u32 v2, v2, 23, v18
	v_or3_b32 v16, v16, v2, v10
.LBB602_727:
	s_or_b64 exec, exec, s[12:13]
.LBB602_728:
	s_or_b64 exec, exec, s[10:11]
.LBB602_729:
	s_or_b64 exec, exec, s[8:9]
	s_mov_b32 s7, 0xffffff
	v_cmp_lt_u32_e32 vcc, s7, v3
	v_mov_b32_e32 v10, 0
	v_mov_b32_e32 v18, 0
	s_and_saveexec_b64 s[8:9], vcc
	s_cbranch_execz .LBB602_735
; %bb.730:
	v_lshrrev_b32_e32 v2, 24, v3
	s_movk_i32 s7, 0x80
	v_cmp_ne_u32_e32 vcc, s7, v2
	v_bfrev_b32_e32 v18, 1
	s_and_saveexec_b64 s[10:11], vcc
	s_cbranch_execz .LBB602_734
; %bb.731:
	v_bfe_u32 v3, v3, 24, 7
	s_movk_i32 s7, 0x7f
	v_cmp_ne_u32_e32 vcc, s7, v3
	v_mov_b32_e32 v18, 0x7f800001
	s_and_saveexec_b64 s[12:13], vcc
	s_cbranch_execz .LBB602_733
; %bb.732:
	v_and_b32_e32 v20, 7, v2
	v_ffbh_u32_e32 v18, v20
	v_min_u32_e32 v23, 32, v18
	v_subrev_u32_e32 v18, 28, v23
	v_lshlrev_b64 v[18:19], v18, v[2:3]
	v_lshrrev_b32_e32 v21, 3, v3
	v_sub_u32_e32 v19, 29, v23
	v_and_b32_e32 v18, 7, v18
	v_cmp_gt_u32_e32 vcc, 8, v3
	v_cndmask_b32_e32 v3, v21, v19, vcc
	v_cndmask_b32_e32 v18, v20, v18, vcc
	v_lshlrev_b32_e32 v2, 24, v2
	v_bfrev_b32_e32 v19, 60
	v_lshlrev_b32_e32 v18, 20, v18
	v_and_b32_e32 v2, 0x80000000, v2
	v_lshl_add_u32 v3, v3, 23, v19
	v_or3_b32 v18, v2, v3, v18
.LBB602_733:
	s_or_b64 exec, exec, s[12:13]
.LBB602_734:
	s_or_b64 exec, exec, s[10:11]
.LBB602_735:
	s_or_b64 exec, exec, s[8:9]
	v_cvt_pkrtz_f16_f32 v2, v15, v12
	v_cvt_pkrtz_f16_f32 v3, v11, v14
	ds_read_b128 v[24:27], v22 offset:6144
	v_cmp_ne_u16_sdwa s[10:11], v4, v10 src0_sel:BYTE_0 src1_sel:DWORD
	s_waitcnt lgkmcnt(0)
	v_mfma_f32_16x16x16f16 v[6:9], v[2:3], v[24:25], v[6:9]
	v_cvt_pkrtz_f16_f32 v2, v13, v17
	v_cvt_pkrtz_f16_f32 v3, v16, v18
	s_nop 1
	v_mfma_f32_16x16x16f16 v[6:9], v[2:3], v[26:27], v[6:9]
	s_and_saveexec_b64 s[8:9], s[10:11]
	s_cbranch_execz .LBB602_741
; %bb.736:
	s_movk_i32 s7, 0x80
	v_cmp_ne_u16_sdwa s[12:13], v4, s7 src0_sel:BYTE_0 src1_sel:DWORD
	v_bfrev_b32_e32 v10, 1
	s_and_saveexec_b64 s[10:11], s[12:13]
	s_cbranch_execz .LBB602_740
; %bb.737:
	s_movk_i32 s7, 0x7f
	v_and_b32_e32 v2, 0x7f, v4
	v_cmp_ne_u32_e32 vcc, s7, v2
	v_mov_b32_e32 v10, 0x7f800001
	s_and_saveexec_b64 s[12:13], vcc
	s_cbranch_execz .LBB602_739
; %bb.738:
	v_and_b32_e32 v3, 7, v4
	v_ffbh_u32_e32 v10, v3
	v_min_u32_e32 v13, 32, v10
	v_subrev_u32_e32 v10, 28, v13
	v_lshlrev_b64 v[10:11], v10, v[4:5]
	v_lshrrev_b32_e32 v12, 3, v2
	v_sub_u32_e32 v11, 29, v13
	v_and_b32_e32 v10, 7, v10
	v_cmp_gt_u32_e32 vcc, 8, v2
	v_cndmask_b32_e32 v2, v12, v11, vcc
	v_cndmask_b32_e32 v3, v3, v10, vcc
	v_lshlrev_b32_e32 v10, 24, v4
	v_bfrev_b32_e32 v11, 60
	v_lshlrev_b32_e32 v3, 20, v3
	v_and_b32_e32 v10, 0x80000000, v10
	v_lshl_add_u32 v2, v2, 23, v11
	v_or3_b32 v10, v10, v2, v3
.LBB602_739:
	s_or_b64 exec, exec, s[12:13]
.LBB602_740:
	s_or_b64 exec, exec, s[10:11]
.LBB602_741:
	s_or_b64 exec, exec, s[8:9]
	v_lshrrev_b16_e32 v2, 8, v4
	v_cmp_ne_u16_e32 vcc, 0, v2
	v_mov_b32_e32 v3, 0
	v_mov_b32_e32 v11, 0
	s_and_saveexec_b64 s[8:9], vcc
	s_cbranch_execz .LBB602_747
; %bb.742:
	s_movk_i32 s7, 0x80
	v_cmp_ne_u16_e32 vcc, s7, v2
	v_bfrev_b32_e32 v11, 1
	s_and_saveexec_b64 s[10:11], vcc
	s_cbranch_execz .LBB602_746
; %bb.743:
	s_movk_i32 s7, 0x7f
	v_and_b32_e32 v12, 0x7f, v2
	v_cmp_ne_u32_e32 vcc, s7, v12
	v_mov_b32_e32 v11, 0x7f800001
	s_and_saveexec_b64 s[12:13], vcc
	s_cbranch_execz .LBB602_745
; %bb.744:
	v_and_b32_e32 v11, 7, v2
	v_ffbh_u32_e32 v14, v11
	v_min_u32_e32 v16, 32, v14
	v_subrev_u32_e32 v14, 28, v16
	v_lshlrev_b64 v[14:15], v14, v[2:3]
	v_lshrrev_b32_e32 v13, 3, v12
	v_sub_u32_e32 v2, 29, v16
	v_and_b32_e32 v14, 7, v14
	v_cmp_gt_u32_e32 vcc, 8, v12
	v_cndmask_b32_e32 v2, v13, v2, vcc
	v_cndmask_b32_e32 v11, v11, v14, vcc
	v_lshlrev_b32_e32 v12, 16, v4
	v_bfrev_b32_e32 v13, 60
	v_lshlrev_b32_e32 v11, 20, v11
	v_and_b32_e32 v12, 0x80000000, v12
	v_lshl_add_u32 v2, v2, 23, v13
	v_or3_b32 v11, v12, v2, v11
.LBB602_745:
	s_or_b64 exec, exec, s[12:13]
.LBB602_746:
	s_or_b64 exec, exec, s[10:11]
.LBB602_747:
	s_or_b64 exec, exec, s[8:9]
	s_movk_i32 s7, 0xff
	v_and_b32_sdwa v12, v4, s7 dst_sel:DWORD dst_unused:UNUSED_PAD src0_sel:WORD_1 src1_sel:DWORD
	v_lshrrev_b32_e32 v2, 16, v4
	v_cmp_ne_u16_e32 vcc, 0, v12
	s_and_saveexec_b64 s[8:9], vcc
	s_cbranch_execz .LBB602_753
; %bb.748:
	s_movk_i32 s7, 0x80
	v_cmp_ne_u16_e32 vcc, s7, v12
	v_bfrev_b32_e32 v3, 1
	s_and_saveexec_b64 s[10:11], vcc
	s_cbranch_execz .LBB602_752
; %bb.749:
	v_bfe_u32 v12, v4, 16, 7
	s_movk_i32 s7, 0x7f
	v_cmp_ne_u32_e32 vcc, s7, v12
	v_mov_b32_e32 v3, 0x7f800001
	s_and_saveexec_b64 s[12:13], vcc
	s_cbranch_execz .LBB602_751
; %bb.750:
	v_and_b32_e32 v13, 7, v2
	v_ffbh_u32_e32 v3, v13
	v_min_u32_e32 v15, 32, v3
	v_subrev_u32_e32 v3, 28, v15
	v_lshlrev_b64 v[2:3], v3, v[2:3]
	v_lshrrev_b32_e32 v14, 3, v12
	v_sub_u32_e32 v3, 29, v15
	v_and_b32_e32 v2, 7, v2
	v_cmp_gt_u32_e32 vcc, 8, v12
	v_mov_b32_e32 v12, 24
	v_cndmask_b32_e32 v3, v14, v3, vcc
	v_cndmask_b32_e32 v2, v13, v2, vcc
	v_lshlrev_b32_sdwa v12, v12, v4 dst_sel:DWORD dst_unused:UNUSED_PAD src0_sel:DWORD src1_sel:WORD_1
	v_bfrev_b32_e32 v13, 60
	v_lshlrev_b32_e32 v2, 20, v2
	v_and_b32_e32 v12, 0x80000000, v12
	v_lshl_add_u32 v3, v3, 23, v13
	v_or3_b32 v3, v12, v3, v2
.LBB602_751:
	s_or_b64 exec, exec, s[12:13]
.LBB602_752:
	s_or_b64 exec, exec, s[10:11]
.LBB602_753:
	s_or_b64 exec, exec, s[8:9]
	s_mov_b32 s7, 0xffffff
	v_cmp_lt_u32_e32 vcc, s7, v4
	v_mov_b32_e32 v12, 0
	v_mov_b32_e32 v13, 0
	s_and_saveexec_b64 s[8:9], vcc
	s_cbranch_execz .LBB602_759
; %bb.754:
	v_lshrrev_b32_e32 v2, 24, v4
	s_movk_i32 s7, 0x80
	v_cmp_ne_u32_e32 vcc, s7, v2
	v_bfrev_b32_e32 v13, 1
	s_and_saveexec_b64 s[10:11], vcc
	s_cbranch_execz .LBB602_758
; %bb.755:
	v_bfe_u32 v4, v4, 24, 7
	s_movk_i32 s7, 0x7f
	v_cmp_ne_u32_e32 vcc, s7, v4
	v_mov_b32_e32 v13, 0x7f800001
	s_and_saveexec_b64 s[12:13], vcc
	s_cbranch_execz .LBB602_757
; %bb.756:
	v_and_b32_e32 v13, 7, v2
	v_ffbh_u32_e32 v14, v13
	v_min_u32_e32 v17, 32, v14
	v_subrev_u32_e32 v14, 28, v17
	v_lshlrev_b64 v[14:15], v14, v[2:3]
	v_lshrrev_b32_e32 v16, 3, v4
	v_sub_u32_e32 v15, 29, v17
	v_and_b32_e32 v14, 7, v14
	v_cmp_gt_u32_e32 vcc, 8, v4
	v_cndmask_b32_e32 v4, v16, v15, vcc
	v_cndmask_b32_e32 v13, v13, v14, vcc
	v_lshlrev_b32_e32 v2, 24, v2
	v_bfrev_b32_e32 v14, 60
	v_lshlrev_b32_e32 v13, 20, v13
	v_and_b32_e32 v2, 0x80000000, v2
	v_lshl_add_u32 v4, v4, 23, v14
	v_or3_b32 v13, v2, v4, v13
.LBB602_757:
	s_or_b64 exec, exec, s[12:13]
.LBB602_758:
	s_or_b64 exec, exec, s[10:11]
.LBB602_759:
	s_or_b64 exec, exec, s[8:9]
	v_cmp_ne_u16_sdwa s[10:11], v5, v12 src0_sel:BYTE_0 src1_sel:DWORD
	s_and_saveexec_b64 s[8:9], s[10:11]
	s_cbranch_execz .LBB602_765
; %bb.760:
	s_movk_i32 s7, 0x80
	v_cmp_ne_u16_sdwa s[12:13], v5, s7 src0_sel:BYTE_0 src1_sel:DWORD
	v_bfrev_b32_e32 v12, 1
	s_and_saveexec_b64 s[10:11], s[12:13]
	s_cbranch_execz .LBB602_764
; %bb.761:
	s_movk_i32 s7, 0x7f
	v_and_b32_e32 v2, 0x7f, v5
	v_cmp_ne_u32_e32 vcc, s7, v2
	v_mov_b32_e32 v12, 0x7f800001
	s_and_saveexec_b64 s[12:13], vcc
	s_cbranch_execz .LBB602_763
; %bb.762:
	v_and_b32_e32 v12, 7, v5
	v_ffbh_u32_e32 v14, v12
	v_min_u32_e32 v17, 32, v14
	v_mov_b32_e32 v4, v5
	v_subrev_u32_e32 v14, 28, v17
	v_lshlrev_b64 v[14:15], v14, v[4:5]
	v_lshrrev_b32_e32 v16, 3, v2
	v_sub_u32_e32 v4, 29, v17
	v_and_b32_e32 v14, 7, v14
	v_cmp_gt_u32_e32 vcc, 8, v2
	v_cndmask_b32_e32 v2, v16, v4, vcc
	v_cndmask_b32_e32 v4, v12, v14, vcc
	v_lshlrev_b32_e32 v12, 24, v5
	v_bfrev_b32_e32 v14, 60
	v_lshlrev_b32_e32 v4, 20, v4
	v_and_b32_e32 v12, 0x80000000, v12
	v_lshl_add_u32 v2, v2, 23, v14
	v_or3_b32 v12, v12, v2, v4
.LBB602_763:
	s_or_b64 exec, exec, s[12:13]
.LBB602_764:
	s_or_b64 exec, exec, s[10:11]
.LBB602_765:
	s_or_b64 exec, exec, s[8:9]
	v_lshrrev_b16_e32 v2, 8, v5
	v_cmp_ne_u16_e32 vcc, 0, v2
	v_mov_b32_e32 v4, 0
	v_mov_b32_e32 v14, 0
	s_and_saveexec_b64 s[8:9], vcc
	s_cbranch_execz .LBB602_771
; %bb.766:
	s_movk_i32 s7, 0x80
	v_cmp_ne_u16_e32 vcc, s7, v2
	v_bfrev_b32_e32 v14, 1
	s_and_saveexec_b64 s[10:11], vcc
	s_cbranch_execz .LBB602_770
; %bb.767:
	s_movk_i32 s7, 0x7f
	v_and_b32_e32 v15, 0x7f, v2
	v_cmp_ne_u32_e32 vcc, s7, v15
	v_mov_b32_e32 v14, 0x7f800001
	s_and_saveexec_b64 s[12:13], vcc
	s_cbranch_execz .LBB602_769
; %bb.768:
	v_and_b32_e32 v14, 7, v2
	v_ffbh_u32_e32 v16, v14
	v_min_u32_e32 v19, 32, v16
	v_subrev_u32_e32 v16, 28, v19
	v_lshlrev_b64 v[16:17], v16, v[2:3]
	v_lshrrev_b32_e32 v18, 3, v15
	v_sub_u32_e32 v2, 29, v19
	v_and_b32_e32 v16, 7, v16
	v_cmp_gt_u32_e32 vcc, 8, v15
	v_cndmask_b32_e32 v2, v18, v2, vcc
	v_cndmask_b32_e32 v14, v14, v16, vcc
	v_lshlrev_b32_e32 v15, 16, v5
	v_bfrev_b32_e32 v16, 60
	v_lshlrev_b32_e32 v14, 20, v14
	v_and_b32_e32 v15, 0x80000000, v15
	v_lshl_add_u32 v2, v2, 23, v16
	v_or3_b32 v14, v15, v2, v14
.LBB602_769:
	s_or_b64 exec, exec, s[12:13]
.LBB602_770:
	s_or_b64 exec, exec, s[10:11]
.LBB602_771:
	s_or_b64 exec, exec, s[8:9]
	s_movk_i32 s7, 0xff
	v_and_b32_sdwa v15, v5, s7 dst_sel:DWORD dst_unused:UNUSED_PAD src0_sel:WORD_1 src1_sel:DWORD
	v_lshrrev_b32_e32 v2, 16, v5
	v_cmp_ne_u16_e32 vcc, 0, v15
	s_and_saveexec_b64 s[8:9], vcc
	s_cbranch_execz .LBB602_777
; %bb.772:
	s_movk_i32 s7, 0x80
	v_cmp_ne_u16_e32 vcc, s7, v15
	v_bfrev_b32_e32 v4, 1
	s_and_saveexec_b64 s[10:11], vcc
	s_cbranch_execz .LBB602_776
; %bb.773:
	v_bfe_u32 v15, v5, 16, 7
	s_movk_i32 s7, 0x7f
	v_cmp_ne_u32_e32 vcc, s7, v15
	v_mov_b32_e32 v4, 0x7f800001
	s_and_saveexec_b64 s[12:13], vcc
	s_cbranch_execz .LBB602_775
; %bb.774:
	v_and_b32_e32 v4, 7, v2
	v_ffbh_u32_e32 v16, v4
	v_min_u32_e32 v19, 32, v16
	v_subrev_u32_e32 v16, 28, v19
	v_lshlrev_b64 v[16:17], v16, v[2:3]
	v_lshrrev_b32_e32 v18, 3, v15
	v_sub_u32_e32 v2, 29, v19
	v_and_b32_e32 v16, 7, v16
	v_cmp_gt_u32_e32 vcc, 8, v15
	v_mov_b32_e32 v15, 24
	v_cndmask_b32_e32 v2, v18, v2, vcc
	v_cndmask_b32_e32 v4, v4, v16, vcc
	v_lshlrev_b32_sdwa v15, v15, v5 dst_sel:DWORD dst_unused:UNUSED_PAD src0_sel:DWORD src1_sel:WORD_1
	v_bfrev_b32_e32 v16, 60
	v_lshlrev_b32_e32 v4, 20, v4
	v_and_b32_e32 v15, 0x80000000, v15
	v_lshl_add_u32 v2, v2, 23, v16
	v_or3_b32 v4, v15, v2, v4
.LBB602_775:
	s_or_b64 exec, exec, s[12:13]
.LBB602_776:
	s_or_b64 exec, exec, s[10:11]
.LBB602_777:
	s_or_b64 exec, exec, s[8:9]
	s_mov_b32 s7, 0xffffff
	v_cmp_lt_u32_e32 vcc, s7, v5
	v_mov_b32_e32 v15, 0
	s_and_saveexec_b64 s[8:9], vcc
	s_cbranch_execz .LBB602_783
; %bb.778:
	v_lshrrev_b32_e32 v2, 24, v5
	s_movk_i32 s7, 0x80
	v_cmp_ne_u32_e32 vcc, s7, v2
	v_bfrev_b32_e32 v15, 1
	s_and_saveexec_b64 s[10:11], vcc
	s_cbranch_execz .LBB602_782
; %bb.779:
	v_bfe_u32 v5, v5, 24, 7
	s_movk_i32 s7, 0x7f
	v_cmp_ne_u32_e32 vcc, s7, v5
	v_mov_b32_e32 v15, 0x7f800001
	s_and_saveexec_b64 s[12:13], vcc
	s_cbranch_execz .LBB602_781
; %bb.780:
	v_and_b32_e32 v15, 7, v2
	v_ffbh_u32_e32 v16, v15
	v_min_u32_e32 v19, 32, v16
	v_subrev_u32_e32 v16, 28, v19
	v_lshlrev_b64 v[16:17], v16, v[2:3]
	v_lshrrev_b32_e32 v18, 3, v5
	v_sub_u32_e32 v17, 29, v19
	v_and_b32_e32 v16, 7, v16
	v_cmp_gt_u32_e32 vcc, 8, v5
	v_cndmask_b32_e32 v5, v18, v17, vcc
	v_cndmask_b32_e32 v15, v15, v16, vcc
	v_lshlrev_b32_e32 v2, 24, v2
	v_bfrev_b32_e32 v16, 60
	v_lshlrev_b32_e32 v15, 20, v15
	v_and_b32_e32 v2, 0x80000000, v2
	v_lshl_add_u32 v5, v5, 23, v16
	v_or3_b32 v15, v2, v5, v15
.LBB602_781:
	s_or_b64 exec, exec, s[12:13]
.LBB602_782:
	s_or_b64 exec, exec, s[10:11]
.LBB602_783:
	s_or_b64 exec, exec, s[8:9]
	v_cvt_pkrtz_f16_f32 v2, v10, v11
	v_cvt_pkrtz_f16_f32 v3, v3, v13
	ds_read_b128 v[16:19], v22 offset:6160
	s_load_dword s8, s[42:43], 0x0
	v_cmp_gt_u32_e32 vcc, 64, v0
	s_waitcnt lgkmcnt(0)
	v_mfma_f32_16x16x16f16 v[6:9], v[2:3], v[16:17], v[6:9]
	v_cvt_pkrtz_f16_f32 v2, v12, v14
	v_cvt_pkrtz_f16_f32 v3, v4, v15
	s_and_b64 s[0:1], vcc, s[0:1]
	s_barrier
	v_mfma_f32_16x16x16f16 v[2:5], v[2:3], v[18:19], v[6:9]
	s_nop 7
	s_nop 2
	v_pk_mul_f32 v[4:5], v[4:5], s[8:9] op_sel_hi:[1,0]
	v_pk_mul_f32 v[2:3], v[2:3], s[8:9] op_sel_hi:[1,0]
	v_cvt_f16_f32_e32 v2, v2
	v_cvt_f16_f32_e32 v3, v3
	;; [unrolled: 1-line block ×4, first 2 shown]
	v_pack_b32_f16 v2, v2, v3
	v_pack_b32_f16 v3, v4, v5
	ds_write_b64 v28, v[2:3]
	s_waitcnt lgkmcnt(0)
	s_barrier
	s_and_saveexec_b64 s[8:9], s[0:1]
	s_cbranch_execz .LBB602_786
; %bb.784:
	s_load_dwordx2 s[4:5], s[4:5], 0x68
	s_lshl_b32 s0, s44, 6
	s_mul_i32 s1, s14, s6
	s_mul_hi_u32 s9, s1, s0
	s_mul_i32 s8, s1, s0
	s_lshl_b64 s[8:9], s[8:9], 1
	s_waitcnt lgkmcnt(0)
	s_add_u32 s1, s4, s8
	v_lshlrev_b32_e32 v0, 10, v0
	s_mov_b32 s7, 0
	s_addc_u32 s8, s5, s9
	s_lshl_b32 s6, s24, 6
	v_and_b32_e32 v0, 0x1800, v0
	v_lshlrev_b32_e32 v2, 5, v1
	v_and_b32_e32 v3, 16, v47
	s_lshl_b64 s[4:5], s[6:7], 1
	v_or3_b32 v0, v0, v2, v3
	s_add_u32 s1, s1, s4
	ds_read_b128 v[4:7], v0 offset:256
	s_addc_u32 s4, s8, s5
	ds_read_b128 v[8:11], v0 offset:128
	ds_read_b128 v[12:15], v0
	v_add_u32_e32 v18, s25, v1
	v_mov_b32_e32 v3, s4
	v_add_co_u32_e32 v2, vcc, s1, v46
	v_mad_u64_u32 v[16:17], s[4:5], v18, s0, 0
	v_addc_co_u32_e32 v3, vcc, 0, v3, vcc
	v_lshlrev_b64 v[16:17], 1, v[16:17]
	v_add_co_u32_e32 v16, vcc, v2, v16
	v_addc_co_u32_e32 v17, vcc, v3, v17, vcc
	s_waitcnt lgkmcnt(0)
	global_store_dwordx4 v[16:17], v[12:15], off
	s_nop 0
	v_add_u32_e32 v12, 4, v18
	v_mad_u64_u32 v[12:13], s[4:5], v12, s0, 0
	v_lshlrev_b64 v[12:13], 1, v[12:13]
	v_add_co_u32_e32 v12, vcc, v2, v12
	v_addc_co_u32_e32 v13, vcc, v3, v13, vcc
	global_store_dwordx4 v[12:13], v[8:11], off
	s_nop 0
	v_add_u32_e32 v8, 8, v18
	v_mad_u64_u32 v[8:9], s[4:5], v8, s0, 0
	v_lshlrev_b64 v[8:9], 1, v[8:9]
	v_add_co_u32_e32 v8, vcc, v2, v8
	v_addc_co_u32_e32 v9, vcc, v3, v9, vcc
	global_store_dwordx4 v[8:9], v[4:7], off
	s_and_b64 exec, exec, s[2:3]
	s_cbranch_execz .LBB602_786
; %bb.785:
	ds_read_b128 v[4:7], v0 offset:384
	v_add3_u32 v0, s25, v1, 12
	v_mad_u64_u32 v[0:1], s[0:1], v0, s0, 0
	v_lshlrev_b64 v[0:1], 1, v[0:1]
	v_add_co_u32_e32 v0, vcc, v2, v0
	v_addc_co_u32_e32 v1, vcc, v3, v1, vcc
	s_waitcnt lgkmcnt(0)
	global_store_dwordx4 v[0:1], v[4:7], off
.LBB602_786:
	s_endpgm
	.section	.rodata,"a",@progbits
	.p2align	6, 0x0
	.amdhsa_kernel _Z39paged_attention_ll4mi_QKV_mfma16_kernelIDF16_hLN4vllm18Fp8KVCacheDataTypeE1EDF16_Li32ELi64ELi256ELb0ELi13EL8MFMAType0EEvPKT_PKT0_S8_ifPKiSA_SA_iPKfiiiPfSD_PS3_PT2_iSC_SC_
		.amdhsa_group_segment_fixed_size 8192
		.amdhsa_private_segment_fixed_size 0
		.amdhsa_kernarg_size 400
		.amdhsa_user_sgpr_count 6
		.amdhsa_user_sgpr_private_segment_buffer 1
		.amdhsa_user_sgpr_dispatch_ptr 0
		.amdhsa_user_sgpr_queue_ptr 0
		.amdhsa_user_sgpr_kernarg_segment_ptr 1
		.amdhsa_user_sgpr_dispatch_id 0
		.amdhsa_user_sgpr_flat_scratch_init 0
		.amdhsa_user_sgpr_kernarg_preload_length 0
		.amdhsa_user_sgpr_kernarg_preload_offset 0
		.amdhsa_user_sgpr_private_segment_size 0
		.amdhsa_uses_dynamic_stack 0
		.amdhsa_system_sgpr_private_segment_wavefront_offset 0
		.amdhsa_system_sgpr_workgroup_id_x 1
		.amdhsa_system_sgpr_workgroup_id_y 1
		.amdhsa_system_sgpr_workgroup_id_z 1
		.amdhsa_system_sgpr_workgroup_info 0
		.amdhsa_system_vgpr_workitem_id 0
		.amdhsa_next_free_vgpr 62
		.amdhsa_next_free_sgpr 47
		.amdhsa_accum_offset 64
		.amdhsa_reserve_vcc 1
		.amdhsa_reserve_flat_scratch 0
		.amdhsa_float_round_mode_32 0
		.amdhsa_float_round_mode_16_64 0
		.amdhsa_float_denorm_mode_32 3
		.amdhsa_float_denorm_mode_16_64 3
		.amdhsa_dx10_clamp 1
		.amdhsa_ieee_mode 1
		.amdhsa_fp16_overflow 0
		.amdhsa_tg_split 0
		.amdhsa_exception_fp_ieee_invalid_op 0
		.amdhsa_exception_fp_denorm_src 0
		.amdhsa_exception_fp_ieee_div_zero 0
		.amdhsa_exception_fp_ieee_overflow 0
		.amdhsa_exception_fp_ieee_underflow 0
		.amdhsa_exception_fp_ieee_inexact 0
		.amdhsa_exception_int_div_zero 0
	.end_amdhsa_kernel
	.section	.text._Z39paged_attention_ll4mi_QKV_mfma16_kernelIDF16_hLN4vllm18Fp8KVCacheDataTypeE1EDF16_Li32ELi64ELi256ELb0ELi13EL8MFMAType0EEvPKT_PKT0_S8_ifPKiSA_SA_iPKfiiiPfSD_PS3_PT2_iSC_SC_,"axG",@progbits,_Z39paged_attention_ll4mi_QKV_mfma16_kernelIDF16_hLN4vllm18Fp8KVCacheDataTypeE1EDF16_Li32ELi64ELi256ELb0ELi13EL8MFMAType0EEvPKT_PKT0_S8_ifPKiSA_SA_iPKfiiiPfSD_PS3_PT2_iSC_SC_,comdat
.Lfunc_end602:
	.size	_Z39paged_attention_ll4mi_QKV_mfma16_kernelIDF16_hLN4vllm18Fp8KVCacheDataTypeE1EDF16_Li32ELi64ELi256ELb0ELi13EL8MFMAType0EEvPKT_PKT0_S8_ifPKiSA_SA_iPKfiiiPfSD_PS3_PT2_iSC_SC_, .Lfunc_end602-_Z39paged_attention_ll4mi_QKV_mfma16_kernelIDF16_hLN4vllm18Fp8KVCacheDataTypeE1EDF16_Li32ELi64ELi256ELb0ELi13EL8MFMAType0EEvPKT_PKT0_S8_ifPKiSA_SA_iPKfiiiPfSD_PS3_PT2_iSC_SC_
                                        ; -- End function
	.section	.AMDGPU.csdata,"",@progbits
; Kernel info:
; codeLenInByte = 27096
; NumSgprs: 51
; NumVgprs: 62
; NumAgprs: 0
; TotalNumVgprs: 62
; ScratchSize: 0
; MemoryBound: 0
; FloatMode: 240
; IeeeMode: 1
; LDSByteSize: 8192 bytes/workgroup (compile time only)
; SGPRBlocks: 6
; VGPRBlocks: 7
; NumSGPRsForWavesPerEU: 51
; NumVGPRsForWavesPerEU: 62
; AccumOffset: 64
; Occupancy: 8
; WaveLimiterHint : 1
; COMPUTE_PGM_RSRC2:SCRATCH_EN: 0
; COMPUTE_PGM_RSRC2:USER_SGPR: 6
; COMPUTE_PGM_RSRC2:TRAP_HANDLER: 0
; COMPUTE_PGM_RSRC2:TGID_X_EN: 1
; COMPUTE_PGM_RSRC2:TGID_Y_EN: 1
; COMPUTE_PGM_RSRC2:TGID_Z_EN: 1
; COMPUTE_PGM_RSRC2:TIDIG_COMP_CNT: 0
; COMPUTE_PGM_RSRC3_GFX90A:ACCUM_OFFSET: 15
; COMPUTE_PGM_RSRC3_GFX90A:TG_SPLIT: 0
	.section	.text._Z39paged_attention_ll4mi_QKV_mfma16_kernelIDF16_hLN4vllm18Fp8KVCacheDataTypeE1EDF16_Li32ELi64ELi256ELb0ELi14EL8MFMAType0EEvPKT_PKT0_S8_ifPKiSA_SA_iPKfiiiPfSD_PS3_PT2_iSC_SC_,"axG",@progbits,_Z39paged_attention_ll4mi_QKV_mfma16_kernelIDF16_hLN4vllm18Fp8KVCacheDataTypeE1EDF16_Li32ELi64ELi256ELb0ELi14EL8MFMAType0EEvPKT_PKT0_S8_ifPKiSA_SA_iPKfiiiPfSD_PS3_PT2_iSC_SC_,comdat
	.protected	_Z39paged_attention_ll4mi_QKV_mfma16_kernelIDF16_hLN4vllm18Fp8KVCacheDataTypeE1EDF16_Li32ELi64ELi256ELb0ELi14EL8MFMAType0EEvPKT_PKT0_S8_ifPKiSA_SA_iPKfiiiPfSD_PS3_PT2_iSC_SC_ ; -- Begin function _Z39paged_attention_ll4mi_QKV_mfma16_kernelIDF16_hLN4vllm18Fp8KVCacheDataTypeE1EDF16_Li32ELi64ELi256ELb0ELi14EL8MFMAType0EEvPKT_PKT0_S8_ifPKiSA_SA_iPKfiiiPfSD_PS3_PT2_iSC_SC_
	.globl	_Z39paged_attention_ll4mi_QKV_mfma16_kernelIDF16_hLN4vllm18Fp8KVCacheDataTypeE1EDF16_Li32ELi64ELi256ELb0ELi14EL8MFMAType0EEvPKT_PKT0_S8_ifPKiSA_SA_iPKfiiiPfSD_PS3_PT2_iSC_SC_
	.p2align	8
	.type	_Z39paged_attention_ll4mi_QKV_mfma16_kernelIDF16_hLN4vllm18Fp8KVCacheDataTypeE1EDF16_Li32ELi64ELi256ELb0ELi14EL8MFMAType0EEvPKT_PKT0_S8_ifPKiSA_SA_iPKfiiiPfSD_PS3_PT2_iSC_SC_,@function
_Z39paged_attention_ll4mi_QKV_mfma16_kernelIDF16_hLN4vllm18Fp8KVCacheDataTypeE1EDF16_Li32ELi64ELi256ELb0ELi14EL8MFMAType0EEvPKT_PKT0_S8_ifPKiSA_SA_iPKfiiiPfSD_PS3_PT2_iSC_SC_: ; @_Z39paged_attention_ll4mi_QKV_mfma16_kernelIDF16_hLN4vllm18Fp8KVCacheDataTypeE1EDF16_Li32ELi64ELi256ELb0ELi14EL8MFMAType0EEvPKT_PKT0_S8_ifPKiSA_SA_iPKfiiiPfSD_PS3_PT2_iSC_SC_
; %bb.0:
	s_load_dwordx2 s[0:1], s[4:5], 0x30
	s_mov_b32 s24, s7
	s_mov_b64 s[10:11], 0
	s_waitcnt lgkmcnt(0)
	s_cmp_lg_u64 s[0:1], 0
	s_cselect_b64 s[2:3], -1, 0
	s_and_b64 vcc, exec, s[2:3]
	s_cbranch_vccz .LBB603_7
; %bb.1:
	s_add_i32 s12, s6, 1
	s_mov_b32 s13, 0
	s_lshl_b64 s[14:15], s[12:13], 2
	s_add_u32 s14, s0, s14
	s_mov_b32 s7, s13
	s_addc_u32 s15, s1, s15
	s_lshl_b64 s[12:13], s[6:7], 2
	s_add_u32 s12, s0, s12
	s_addc_u32 s13, s1, s13
	s_load_dword s9, s[14:15], 0x0
	s_load_dword s16, s[12:13], 0x0
	s_waitcnt lgkmcnt(0)
	s_sub_i32 s9, s9, s16
	s_cmp_eq_u32 s9, 1
	s_cselect_b64 s[12:13], -1, 0
	s_andn2_b64 vcc, exec, s[10:11]
	s_cbranch_vccnz .LBB603_3
.LBB603_2:
	s_mov_b32 s7, 0
	s_mov_b64 s[12:13], -1
.LBB603_3:
	s_andn2_b64 vcc, exec, s[12:13]
	s_cbranch_vccnz .LBB603_786
; %bb.4:
	s_load_dwordx2 s[12:13], s[4:5], 0x28
	s_lshl_b64 s[10:11], s[6:7], 2
	s_waitcnt lgkmcnt(0)
	s_add_u32 s12, s12, s10
	s_addc_u32 s13, s13, s11
	s_load_dword s33, s[12:13], 0x0
	s_lshl_b32 s20, s24, 8
	s_waitcnt lgkmcnt(0)
	s_cmp_ge_i32 s20, s33
	s_cbranch_scc1 .LBB603_786
; %bb.5:
	s_add_i32 s14, s33, 31
	s_load_dwordx2 s[12:13], s[4:5], 0x20
	s_load_dword s9, s[4:5], 0x38
	s_ashr_i32 s15, s14, 31
	v_and_b32_e32 v1, 0xcf, v0
	s_lshr_b32 s15, s15, 27
	v_add_u32_e32 v1, s20, v1
	s_add_i32 s14, s14, s15
	v_ashrrev_i32_e32 v2, 31, v1
	s_ashr_i32 s22, s14, 5
	v_lshrrev_b32_e32 v4, 27, v2
	s_add_i32 s22, s22, -1
	v_add_u32_e32 v2, v1, v4
	s_waitcnt lgkmcnt(0)
	s_mul_i32 s14, s6, s9
	s_mov_b32 s15, 0
	v_ashrrev_i32_e32 v2, 5, v2
	v_mov_b32_e32 v5, s22
	v_cmp_gt_i32_e32 vcc, s33, v1
	s_lshl_b64 s[14:15], s[14:15], 2
	v_cndmask_b32_e32 v2, v5, v2, vcc
	s_add_u32 s9, s12, s14
	v_ashrrev_i32_e32 v3, 31, v2
	s_addc_u32 s21, s13, s15
	v_lshlrev_b64 v[2:3], 2, v[2:3]
	v_mov_b32_e32 v7, s21
	v_add_co_u32_e32 v6, vcc, s9, v2
	v_or_b32_e32 v2, 16, v1
	v_addc_co_u32_e32 v7, vcc, v7, v3, vcc
	v_add_u32_e32 v3, v2, v4
	v_ashrrev_i32_e32 v3, 5, v3
	v_cmp_gt_i32_e32 vcc, s33, v2
	v_cndmask_b32_e32 v2, v5, v3, vcc
	v_ashrrev_i32_e32 v3, 31, v2
	v_lshlrev_b64 v[2:3], 2, v[2:3]
	v_mov_b32_e32 v9, s21
	v_add_co_u32_e32 v8, vcc, s9, v2
	v_or_b32_e32 v2, 32, v1
	v_addc_co_u32_e32 v9, vcc, v9, v3, vcc
	v_add_u32_e32 v3, v2, v4
	v_ashrrev_i32_e32 v3, 5, v3
	v_cmp_gt_i32_e32 vcc, s33, v2
	v_cndmask_b32_e32 v2, v5, v3, vcc
	v_ashrrev_i32_e32 v3, 31, v2
	;; [unrolled: 10-line block ×3, first 2 shown]
	v_lshlrev_b64 v[2:3], 2, v[2:3]
	v_mov_b32_e32 v1, s21
	v_add_co_u32_e32 v12, vcc, s9, v2
	v_addc_co_u32_e32 v13, vcc, v1, v3, vcc
	global_load_dword v5, v[6:7], off
	global_load_dword v4, v[8:9], off
	;; [unrolled: 1-line block ×4, first 2 shown]
	s_load_dwordx4 s[12:15], s[4:5], 0x8
	s_andn2_b64 vcc, exec, s[2:3]
	s_cbranch_vccnz .LBB603_8
; %bb.6:
	s_add_u32 s0, s0, s10
	s_addc_u32 s1, s1, s11
	s_load_dword s10, s[0:1], 0x0
	s_branch .LBB603_9
.LBB603_7:
	s_mov_b64 s[12:13], 0
	s_branch .LBB603_2
.LBB603_8:
	s_mov_b32 s10, s6
.LBB603_9:
	s_load_dwordx4 s[16:19], s[4:5], 0x48
	v_lshrrev_b32_e32 v50, 6, v0
	v_bfe_u32 v1, v0, 4, 2
	v_lshl_or_b32 v6, v50, 2, v1
	v_and_b32_e32 v49, 15, v0
	v_lshlrev_b32_e32 v7, 3, v49
	v_cmp_gt_u32_e32 vcc, 14, v6
	v_cmp_gt_u32_e64 s[0:1], 8, v49
	s_mul_i32 s25, s8, 14
	s_and_b64 s[26:27], s[0:1], vcc
	v_lshlrev_b32_e32 v46, 1, v7
	v_lshlrev_b32_e32 v47, 4, v0
	s_and_saveexec_b64 s[2:3], s[26:27]
	s_cbranch_execz .LBB603_11
; %bb.10:
	s_load_dwordx2 s[26:27], s[4:5], 0x0
	s_waitcnt lgkmcnt(0)
	s_ashr_i32 s11, s16, 31
	s_mul_hi_u32 s19, s10, s16
	s_mul_i32 s11, s10, s11
	s_add_i32 s11, s19, s11
	s_mul_i32 s10, s10, s16
	s_lshl_b64 s[10:11], s[10:11], 1
	v_add_lshl_u32 v8, v6, s25, 6
	s_add_u32 s10, s26, s10
	v_ashrrev_i32_e32 v9, 31, v8
	s_addc_u32 s11, s27, s11
	v_lshlrev_b64 v[8:9], 1, v[8:9]
	v_mov_b32_e32 v7, s11
	v_add_co_u32_e32 v8, vcc, s10, v8
	v_addc_co_u32_e32 v7, vcc, v7, v9, vcc
	v_add_co_u32_e32 v8, vcc, v8, v46
	v_addc_co_u32_e32 v9, vcc, 0, v7, vcc
	global_load_dwordx4 v[8:11], v[8:9], off
	v_lshlrev_b32_e32 v12, 8, v49
	v_lshlrev_b32_e32 v6, 5, v6
	v_and_b32_e32 v7, 16, v47
	v_and_b32_e32 v12, 0xe00, v12
	v_or3_b32 v6, v12, v6, v7
	s_waitcnt vmcnt(0)
	ds_write_b128 v6, v[8:11]
.LBB603_11:
	s_or_b64 exec, exec, s[2:3]
	s_waitcnt lgkmcnt(0)
	s_mul_i32 s8, s8, s18
	s_add_u32 s2, s12, s8
	s_addc_u32 s3, s13, 0
	v_and_b32_e32 v12, 48, v0
	s_ashr_i32 s10, s20, 31
	v_or_b32_e32 v13, s20, v12
	s_lshr_b32 s10, s10, 27
	v_add_u32_e32 v6, s10, v13
	v_ashrrev_i32_e32 v6, 5, v6
	v_mov_b32_e32 v14, s22
	v_cmp_gt_i32_e32 vcc, s33, v13
	v_cndmask_b32_e32 v6, v14, v6, vcc
	v_ashrrev_i32_e32 v7, 31, v6
	v_lshlrev_b64 v[6:7], 2, v[6:7]
	v_mov_b32_e32 v8, s21
	v_add_co_u32_e32 v6, vcc, s9, v6
	v_addc_co_u32_e32 v7, vcc, v8, v7, vcc
	v_or_b32_e32 v8, 64, v13
	v_add_u32_e32 v9, s10, v8
	v_ashrrev_i32_e32 v9, 5, v9
	v_cmp_gt_i32_e32 vcc, s33, v8
	v_cndmask_b32_e32 v8, v14, v9, vcc
	v_ashrrev_i32_e32 v9, 31, v8
	v_lshlrev_b64 v[8:9], 2, v[8:9]
	v_mov_b32_e32 v10, s21
	v_add_co_u32_e32 v8, vcc, s9, v8
	v_addc_co_u32_e32 v9, vcc, v10, v9, vcc
	v_or_b32_e32 v10, 0x80, v13
	v_add_u32_e32 v11, s10, v10
	v_ashrrev_i32_e32 v11, 5, v11
	v_cmp_gt_i32_e32 vcc, s33, v10
	v_cndmask_b32_e32 v10, v14, v11, vcc
	v_ashrrev_i32_e32 v11, 31, v10
	v_lshlrev_b64 v[10:11], 2, v[10:11]
	v_mov_b32_e32 v15, s21
	v_add_co_u32_e32 v10, vcc, s9, v10
	s_load_dwordx2 s[44:45], s[4:5], 0x94
	s_load_dwordx4 s[40:43], s[4:5], 0x80
	s_waitcnt lgkmcnt(0)
	s_barrier
	v_addc_co_u32_e32 v11, vcc, v15, v11, vcc
	global_load_dword v15, v[6:7], off
	global_load_dword v16, v[8:9], off
	;; [unrolled: 1-line block ×3, first 2 shown]
	v_or_b32_e32 v6, 0xc0, v13
	v_add_u32_e32 v7, s10, v6
	v_ashrrev_i32_e32 v7, 5, v7
	v_cmp_gt_i32_e32 vcc, s33, v6
	v_cndmask_b32_e32 v6, v14, v7, vcc
	v_ashrrev_i32_e32 v7, 31, v6
	v_lshlrev_b64 v[6:7], 2, v[6:7]
	v_mov_b32_e32 v8, s21
	v_add_co_u32_e32 v6, vcc, s9, v6
	v_addc_co_u32_e32 v7, vcc, v8, v7, vcc
	global_load_dword v20, v[6:7], off
	v_pk_mov_b32 v[6:7], s[2:3], s[2:3] op_sel:[0,1]
	s_waitcnt vmcnt(7)
	v_mad_i64_i32 v[8:9], s[2:3], v5, s17, v[6:7]
	v_lshlrev_b32_e32 v11, 4, v49
	v_add_co_u32_e32 v5, vcc, v8, v11
	v_lshlrev_b32_e32 v10, 5, v12
	v_addc_co_u32_e32 v9, vcc, 0, v9, vcc
	v_add_co_u32_e32 v8, vcc, v5, v10
	v_addc_co_u32_e32 v9, vcc, 0, v9, vcc
	s_waitcnt vmcnt(6)
	v_mad_i64_i32 v[4:5], s[2:3], v4, s17, v[6:7]
	v_or_b32_e32 v12, 0x100, v11
	v_add_co_u32_e32 v4, vcc, v4, v12
	v_addc_co_u32_e32 v5, vcc, 0, v5, vcc
	v_add_co_u32_e32 v4, vcc, v4, v10
	v_addc_co_u32_e32 v5, vcc, 0, v5, vcc
	global_load_dwordx4 v[30:33], v[8:9], off
	global_load_dwordx4 v[38:41], v[4:5], off
	s_waitcnt vmcnt(7)
	v_mad_i64_i32 v[4:5], s[2:3], v3, s17, v[6:7]
	v_add_co_u32_e32 v3, vcc, v4, v11
	v_addc_co_u32_e32 v5, vcc, 0, v5, vcc
	v_add_co_u32_e32 v4, vcc, v3, v10
	v_addc_co_u32_e32 v5, vcc, 0, v5, vcc
	s_waitcnt vmcnt(6)
	v_mad_i64_i32 v[2:3], s[2:3], v2, s17, v[6:7]
	v_add_co_u32_e32 v2, vcc, v2, v12
	v_addc_co_u32_e32 v3, vcc, 0, v3, vcc
	v_add_co_u32_e32 v2, vcc, v2, v10
	s_add_u32 s2, s14, s8
	v_addc_co_u32_e32 v3, vcc, 0, v3, vcc
	global_load_dwordx4 v[34:37], v[4:5], off
	global_load_dwordx4 v[22:25], v[2:3], off
	s_addc_u32 s3, s15, 0
	v_and_b32_e32 v2, 16, v0
	v_mov_b32_e32 v3, s3
	v_add_co_u32_e32 v2, vcc, s2, v2
	v_lshlrev_b32_e32 v48, 5, v49
	v_addc_co_u32_e32 v3, vcc, 0, v3, vcc
	v_lshl_or_b32 v4, v50, 9, v48
	v_add_co_u32_e32 v2, vcc, v2, v4
	v_addc_co_u32_e32 v3, vcc, 0, v3, vcc
	v_cmp_gt_u32_e32 vcc, 14, v49
	v_mov_b32_e32 v43, 0
	s_movk_i32 s8, 0x80
	v_mov_b32_e32 v44, 0
	s_waitcnt vmcnt(7)
	v_mad_i64_i32 v[4:5], s[2:3], v15, s17, v[2:3]
	s_waitcnt vmcnt(6)
	v_mad_i64_i32 v[6:7], s[2:3], v16, s17, v[2:3]
	;; [unrolled: 2-line block ×3, first 2 shown]
	global_load_dwordx4 v[14:17], v[4:5], off
	global_load_dwordx4 v[10:13], v[6:7], off
	s_waitcnt vmcnt(6)
	v_mad_i64_i32 v[20:21], s[2:3], v20, s17, v[2:3]
	global_load_dwordx4 v[6:9], v[18:19], off
	global_load_dwordx4 v[2:5], v[20:21], off
	v_add_u32_e32 v18, -14, v49
	v_cndmask_b32_e32 v18, v18, v49, vcc
	v_lshlrev_b32_e32 v18, 5, v18
	v_lshl_add_u32 v18, v1, 9, v18
	ds_read_b128 v[26:29], v18
	ds_read_b128 v[18:21], v18 offset:16
	s_load_dword s12, s[40:41], 0x0
	s_waitcnt vmcnt(7)
	v_cmp_ne_u16_sdwa s[10:11], v30, v43 src0_sel:BYTE_0 src1_sel:DWORD
	s_and_saveexec_b64 s[2:3], s[10:11]
	s_cbranch_execz .LBB603_17
; %bb.12:
	v_cmp_ne_u16_sdwa s[10:11], v30, s8 src0_sel:BYTE_0 src1_sel:DWORD
	v_bfrev_b32_e32 v44, 1
	s_and_saveexec_b64 s[8:9], s[10:11]
	s_cbranch_execz .LBB603_16
; %bb.13:
	s_movk_i32 s10, 0x7f
	v_and_b32_e32 v42, 0x7f, v30
	v_cmp_ne_u32_e32 vcc, s10, v42
	v_mov_b32_e32 v44, 0x7f800001
	s_and_saveexec_b64 s[10:11], vcc
	s_cbranch_execz .LBB603_15
; %bb.14:
	v_and_b32_e32 v51, 7, v30
	v_ffbh_u32_e32 v44, v51
	v_min_u32_e32 v53, 32, v44
	v_subrev_u32_e32 v44, 28, v53
	v_lshlrev_b64 v[44:45], v44, v[30:31]
	v_lshrrev_b32_e32 v52, 3, v42
	v_sub_u32_e32 v45, 29, v53
	v_and_b32_e32 v44, 7, v44
	v_cmp_gt_u32_e32 vcc, 8, v42
	v_cndmask_b32_e32 v42, v52, v45, vcc
	v_cndmask_b32_e32 v44, v51, v44, vcc
	v_lshlrev_b32_e32 v45, 24, v30
	v_bfrev_b32_e32 v51, 60
	v_lshlrev_b32_e32 v44, 20, v44
	v_and_b32_e32 v45, 0x80000000, v45
	v_lshl_add_u32 v42, v42, 23, v51
	v_or3_b32 v44, v45, v42, v44
.LBB603_15:
	s_or_b64 exec, exec, s[10:11]
.LBB603_16:
	s_or_b64 exec, exec, s[8:9]
.LBB603_17:
	s_or_b64 exec, exec, s[2:3]
	v_lshrrev_b16_e32 v42, 8, v30
	v_cmp_ne_u16_e32 vcc, 0, v42
	s_and_saveexec_b64 s[2:3], vcc
	s_cbranch_execz .LBB603_23
; %bb.18:
	s_movk_i32 s8, 0x80
	v_cmp_ne_u16_e32 vcc, s8, v42
	v_bfrev_b32_e32 v43, 1
	s_and_saveexec_b64 s[8:9], vcc
	s_cbranch_execz .LBB603_22
; %bb.19:
	s_movk_i32 s10, 0x7f
	v_and_b32_e32 v45, 0x7f, v42
	v_cmp_ne_u32_e32 vcc, s10, v45
	v_mov_b32_e32 v43, 0x7f800001
	s_and_saveexec_b64 s[10:11], vcc
	s_cbranch_execz .LBB603_21
; %bb.20:
	v_and_b32_e32 v51, 7, v42
	v_ffbh_u32_e32 v43, v51
	v_min_u32_e32 v53, 32, v43
	v_subrev_u32_e32 v43, 28, v53
	v_lshlrev_b64 v[42:43], v43, v[42:43]
	v_lshrrev_b32_e32 v52, 3, v45
	v_sub_u32_e32 v43, 29, v53
	v_and_b32_e32 v42, 7, v42
	v_cmp_gt_u32_e32 vcc, 8, v45
	v_cndmask_b32_e32 v43, v52, v43, vcc
	v_cndmask_b32_e32 v42, v51, v42, vcc
	v_lshlrev_b32_e32 v45, 16, v30
	v_bfrev_b32_e32 v51, 60
	v_lshlrev_b32_e32 v42, 20, v42
	v_and_b32_e32 v45, 0x80000000, v45
	v_lshl_add_u32 v43, v43, 23, v51
	v_or3_b32 v43, v45, v43, v42
.LBB603_21:
	s_or_b64 exec, exec, s[10:11]
.LBB603_22:
	s_or_b64 exec, exec, s[8:9]
.LBB603_23:
	s_or_b64 exec, exec, s[2:3]
	s_movk_i32 s2, 0xff
	v_and_b32_sdwa v52, v30, s2 dst_sel:DWORD dst_unused:UNUSED_PAD src0_sel:WORD_1 src1_sel:DWORD
	v_lshrrev_b32_e32 v42, 16, v30
	v_cmp_ne_u16_e32 vcc, 0, v52
	v_mov_b32_e32 v45, 0
	v_mov_b32_e32 v51, 0
	s_and_saveexec_b64 s[2:3], vcc
	s_cbranch_execz .LBB603_29
; %bb.24:
	s_movk_i32 s8, 0x80
	v_cmp_ne_u16_e32 vcc, s8, v52
	v_bfrev_b32_e32 v51, 1
	s_and_saveexec_b64 s[8:9], vcc
	s_cbranch_execz .LBB603_28
; %bb.25:
	v_bfe_u32 v52, v30, 16, 7
	s_movk_i32 s10, 0x7f
	v_cmp_ne_u32_e32 vcc, s10, v52
	v_mov_b32_e32 v51, 0x7f800001
	s_and_saveexec_b64 s[10:11], vcc
	s_cbranch_execz .LBB603_27
; %bb.26:
	v_and_b32_e32 v51, 7, v42
	v_ffbh_u32_e32 v54, v51
	v_min_u32_e32 v56, 32, v54
	v_subrev_u32_e32 v54, 28, v56
	v_lshlrev_b64 v[54:55], v54, v[42:43]
	v_lshrrev_b32_e32 v53, 3, v52
	v_sub_u32_e32 v42, 29, v56
	v_and_b32_e32 v54, 7, v54
	v_cmp_gt_u32_e32 vcc, 8, v52
	v_mov_b32_e32 v52, 24
	v_cndmask_b32_e32 v42, v53, v42, vcc
	v_cndmask_b32_e32 v51, v51, v54, vcc
	v_lshlrev_b32_sdwa v52, v52, v30 dst_sel:DWORD dst_unused:UNUSED_PAD src0_sel:DWORD src1_sel:WORD_1
	v_bfrev_b32_e32 v53, 60
	v_lshlrev_b32_e32 v51, 20, v51
	v_and_b32_e32 v52, 0x80000000, v52
	v_lshl_add_u32 v42, v42, 23, v53
	v_or3_b32 v51, v52, v42, v51
.LBB603_27:
	s_or_b64 exec, exec, s[10:11]
.LBB603_28:
	s_or_b64 exec, exec, s[8:9]
.LBB603_29:
	s_or_b64 exec, exec, s[2:3]
	s_mov_b32 s2, 0xffffff
	v_cmp_lt_u32_e32 vcc, s2, v30
	s_and_saveexec_b64 s[2:3], vcc
	s_cbranch_execz .LBB603_35
; %bb.30:
	v_lshrrev_b32_e32 v42, 24, v30
	s_movk_i32 s8, 0x80
	v_cmp_ne_u32_e32 vcc, s8, v42
	v_bfrev_b32_e32 v45, 1
	s_and_saveexec_b64 s[8:9], vcc
	s_cbranch_execz .LBB603_34
; %bb.31:
	v_bfe_u32 v30, v30, 24, 7
	s_movk_i32 s10, 0x7f
	v_cmp_ne_u32_e32 vcc, s10, v30
	v_mov_b32_e32 v45, 0x7f800001
	s_and_saveexec_b64 s[10:11], vcc
	s_cbranch_execz .LBB603_33
; %bb.32:
	v_and_b32_e32 v45, 7, v42
	v_ffbh_u32_e32 v52, v45
	v_min_u32_e32 v55, 32, v52
	v_subrev_u32_e32 v52, 28, v55
	v_lshlrev_b64 v[52:53], v52, v[42:43]
	v_lshrrev_b32_e32 v54, 3, v30
	v_sub_u32_e32 v53, 29, v55
	v_and_b32_e32 v52, 7, v52
	v_cmp_gt_u32_e32 vcc, 8, v30
	v_cndmask_b32_e32 v30, v54, v53, vcc
	v_cndmask_b32_e32 v45, v45, v52, vcc
	v_lshlrev_b32_e32 v42, 24, v42
	v_bfrev_b32_e32 v52, 60
	v_lshlrev_b32_e32 v45, 20, v45
	v_and_b32_e32 v42, 0x80000000, v42
	v_lshl_add_u32 v30, v30, 23, v52
	v_or3_b32 v45, v42, v30, v45
.LBB603_33:
	s_or_b64 exec, exec, s[10:11]
.LBB603_34:
	s_or_b64 exec, exec, s[8:9]
.LBB603_35:
	s_or_b64 exec, exec, s[2:3]
	v_mov_b32_e32 v42, 0
	v_cmp_ne_u16_sdwa s[8:9], v31, v42 src0_sel:BYTE_0 src1_sel:DWORD
	v_mov_b32_e32 v52, 0
	s_and_saveexec_b64 s[2:3], s[8:9]
	s_cbranch_execz .LBB603_41
; %bb.36:
	s_movk_i32 s8, 0x80
	v_cmp_ne_u16_sdwa s[10:11], v31, s8 src0_sel:BYTE_0 src1_sel:DWORD
	v_bfrev_b32_e32 v52, 1
	s_and_saveexec_b64 s[8:9], s[10:11]
	s_cbranch_execz .LBB603_40
; %bb.37:
	s_movk_i32 s10, 0x7f
	v_and_b32_e32 v30, 0x7f, v31
	v_cmp_ne_u32_e32 vcc, s10, v30
	v_mov_b32_e32 v52, 0x7f800001
	s_and_saveexec_b64 s[10:11], vcc
	s_cbranch_execz .LBB603_39
; %bb.38:
	v_and_b32_e32 v54, 7, v31
	v_ffbh_u32_e32 v53, v54
	v_min_u32_e32 v56, 32, v53
	v_mov_b32_e32 v52, v31
	v_subrev_u32_e32 v53, 28, v56
	v_lshlrev_b64 v[52:53], v53, v[52:53]
	v_lshrrev_b32_e32 v55, 3, v30
	v_sub_u32_e32 v53, 29, v56
	v_and_b32_e32 v52, 7, v52
	v_cmp_gt_u32_e32 vcc, 8, v30
	v_cndmask_b32_e32 v30, v55, v53, vcc
	v_cndmask_b32_e32 v52, v54, v52, vcc
	v_lshlrev_b32_e32 v53, 24, v31
	v_bfrev_b32_e32 v54, 60
	v_lshlrev_b32_e32 v52, 20, v52
	v_and_b32_e32 v53, 0x80000000, v53
	v_lshl_add_u32 v30, v30, 23, v54
	v_or3_b32 v52, v53, v30, v52
.LBB603_39:
	s_or_b64 exec, exec, s[10:11]
.LBB603_40:
	s_or_b64 exec, exec, s[8:9]
.LBB603_41:
	s_or_b64 exec, exec, s[2:3]
	v_lshrrev_b16_e32 v30, 8, v31
	v_cmp_ne_u16_e32 vcc, 0, v30
	s_and_saveexec_b64 s[2:3], vcc
	s_cbranch_execz .LBB603_47
; %bb.42:
	s_movk_i32 s8, 0x80
	v_cmp_ne_u16_e32 vcc, s8, v30
	v_bfrev_b32_e32 v42, 1
	s_and_saveexec_b64 s[8:9], vcc
	s_cbranch_execz .LBB603_46
; %bb.43:
	s_movk_i32 s10, 0x7f
	v_and_b32_e32 v53, 0x7f, v30
	v_cmp_ne_u32_e32 vcc, s10, v53
	v_mov_b32_e32 v42, 0x7f800001
	s_and_saveexec_b64 s[10:11], vcc
	s_cbranch_execz .LBB603_45
; %bb.44:
	v_and_b32_e32 v42, 7, v30
	v_ffbh_u32_e32 v54, v42
	v_min_u32_e32 v57, 32, v54
	v_subrev_u32_e32 v54, 28, v57
	v_lshlrev_b64 v[54:55], v54, v[30:31]
	v_lshrrev_b32_e32 v56, 3, v53
	v_sub_u32_e32 v30, 29, v57
	v_and_b32_e32 v54, 7, v54
	v_cmp_gt_u32_e32 vcc, 8, v53
	v_cndmask_b32_e32 v30, v56, v30, vcc
	v_cndmask_b32_e32 v42, v42, v54, vcc
	v_lshlrev_b32_e32 v53, 16, v31
	v_bfrev_b32_e32 v54, 60
	v_lshlrev_b32_e32 v42, 20, v42
	v_and_b32_e32 v53, 0x80000000, v53
	v_lshl_add_u32 v30, v30, 23, v54
	v_or3_b32 v42, v53, v30, v42
.LBB603_45:
	s_or_b64 exec, exec, s[10:11]
.LBB603_46:
	s_or_b64 exec, exec, s[8:9]
.LBB603_47:
	s_or_b64 exec, exec, s[2:3]
	s_movk_i32 s2, 0xff
	v_and_b32_sdwa v55, v31, s2 dst_sel:DWORD dst_unused:UNUSED_PAD src0_sel:WORD_1 src1_sel:DWORD
	v_lshrrev_b32_e32 v30, 16, v31
	v_cmp_ne_u16_e32 vcc, 0, v55
	v_mov_b32_e32 v53, 0
	v_mov_b32_e32 v54, 0
	s_and_saveexec_b64 s[2:3], vcc
	s_cbranch_execz .LBB603_53
; %bb.48:
	s_movk_i32 s8, 0x80
	v_cmp_ne_u16_e32 vcc, s8, v55
	v_bfrev_b32_e32 v54, 1
	s_and_saveexec_b64 s[8:9], vcc
	s_cbranch_execz .LBB603_52
; %bb.49:
	v_bfe_u32 v55, v31, 16, 7
	s_movk_i32 s10, 0x7f
	v_cmp_ne_u32_e32 vcc, s10, v55
	v_mov_b32_e32 v54, 0x7f800001
	s_and_saveexec_b64 s[10:11], vcc
	s_cbranch_execz .LBB603_51
; %bb.50:
	v_and_b32_e32 v54, 7, v30
	v_ffbh_u32_e32 v56, v54
	v_min_u32_e32 v59, 32, v56
	v_subrev_u32_e32 v56, 28, v59
	v_lshlrev_b64 v[56:57], v56, v[30:31]
	v_lshrrev_b32_e32 v58, 3, v55
	v_sub_u32_e32 v30, 29, v59
	v_and_b32_e32 v56, 7, v56
	v_cmp_gt_u32_e32 vcc, 8, v55
	v_mov_b32_e32 v55, 24
	v_cndmask_b32_e32 v30, v58, v30, vcc
	v_cndmask_b32_e32 v54, v54, v56, vcc
	v_lshlrev_b32_sdwa v55, v55, v31 dst_sel:DWORD dst_unused:UNUSED_PAD src0_sel:DWORD src1_sel:WORD_1
	v_bfrev_b32_e32 v56, 60
	v_lshlrev_b32_e32 v54, 20, v54
	v_and_b32_e32 v55, 0x80000000, v55
	v_lshl_add_u32 v30, v30, 23, v56
	v_or3_b32 v54, v55, v30, v54
.LBB603_51:
	s_or_b64 exec, exec, s[10:11]
.LBB603_52:
	s_or_b64 exec, exec, s[8:9]
.LBB603_53:
	s_or_b64 exec, exec, s[2:3]
	s_mov_b32 s2, 0xffffff
	v_cmp_lt_u32_e32 vcc, s2, v31
	s_and_saveexec_b64 s[2:3], vcc
	s_cbranch_execz .LBB603_59
; %bb.54:
	v_lshrrev_b32_e32 v30, 24, v31
	s_movk_i32 s8, 0x80
	v_cmp_ne_u32_e32 vcc, s8, v30
	v_bfrev_b32_e32 v53, 1
	s_and_saveexec_b64 s[8:9], vcc
	s_cbranch_execz .LBB603_58
; %bb.55:
	v_bfe_u32 v31, v31, 24, 7
	s_movk_i32 s10, 0x7f
	v_cmp_ne_u32_e32 vcc, s10, v31
	v_mov_b32_e32 v53, 0x7f800001
	s_and_saveexec_b64 s[10:11], vcc
	s_cbranch_execz .LBB603_57
; %bb.56:
	v_and_b32_e32 v53, 7, v30
	v_ffbh_u32_e32 v56, v53
	v_min_u32_e32 v58, 32, v56
	v_subrev_u32_e32 v56, 28, v58
	v_lshlrev_b64 v[56:57], v56, v[30:31]
	v_lshrrev_b32_e32 v55, 3, v31
	v_sub_u32_e32 v57, 29, v58
	v_and_b32_e32 v56, 7, v56
	v_cmp_gt_u32_e32 vcc, 8, v31
	v_cndmask_b32_e32 v31, v55, v57, vcc
	v_cndmask_b32_e32 v53, v53, v56, vcc
	v_lshlrev_b32_e32 v30, 24, v30
	v_bfrev_b32_e32 v55, 60
	v_lshlrev_b32_e32 v53, 20, v53
	v_and_b32_e32 v30, 0x80000000, v30
	v_lshl_add_u32 v31, v31, 23, v55
	v_or3_b32 v53, v30, v31, v53
.LBB603_57:
	s_or_b64 exec, exec, s[10:11]
.LBB603_58:
	s_or_b64 exec, exec, s[8:9]
.LBB603_59:
	s_or_b64 exec, exec, s[2:3]
	v_cvt_pkrtz_f16_f32 v30, v44, v43
	v_cvt_pkrtz_f16_f32 v31, v51, v45
	;; [unrolled: 1-line block ×4, first 2 shown]
	v_mov_b32_e32 v52, 0
	s_waitcnt lgkmcnt(0)
	v_mfma_f32_16x16x16f16 v[56:59], v[30:31], v[26:27], 0
	v_mov_b32_e32 v31, 0
	v_cmp_ne_u16_sdwa s[8:9], v32, v31 src0_sel:BYTE_0 src1_sel:DWORD
	v_mfma_f32_16x16x16f16 v[42:45], v[42:43], v[28:29], v[56:59]
	s_and_saveexec_b64 s[2:3], s[8:9]
	s_cbranch_execz .LBB603_65
; %bb.60:
	s_movk_i32 s8, 0x80
	v_cmp_ne_u16_sdwa s[10:11], v32, s8 src0_sel:BYTE_0 src1_sel:DWORD
	v_bfrev_b32_e32 v52, 1
	s_and_saveexec_b64 s[8:9], s[10:11]
	s_cbranch_execz .LBB603_64
; %bb.61:
	s_movk_i32 s10, 0x7f
	v_and_b32_e32 v30, 0x7f, v32
	v_cmp_ne_u32_e32 vcc, s10, v30
	v_mov_b32_e32 v52, 0x7f800001
	s_and_saveexec_b64 s[10:11], vcc
	s_cbranch_execz .LBB603_63
; %bb.62:
	v_and_b32_e32 v51, 7, v32
	v_ffbh_u32_e32 v52, v51
	v_min_u32_e32 v55, 32, v52
	v_subrev_u32_e32 v52, 28, v55
	v_lshlrev_b64 v[52:53], v52, v[32:33]
	v_lshrrev_b32_e32 v54, 3, v30
	v_sub_u32_e32 v53, 29, v55
	v_and_b32_e32 v52, 7, v52
	v_cmp_gt_u32_e32 vcc, 8, v30
	v_cndmask_b32_e32 v30, v54, v53, vcc
	v_cndmask_b32_e32 v51, v51, v52, vcc
	v_lshlrev_b32_e32 v52, 24, v32
	v_bfrev_b32_e32 v53, 60
	v_lshlrev_b32_e32 v51, 20, v51
	v_and_b32_e32 v52, 0x80000000, v52
	v_lshl_add_u32 v30, v30, 23, v53
	v_or3_b32 v52, v52, v30, v51
.LBB603_63:
	s_or_b64 exec, exec, s[10:11]
.LBB603_64:
	s_or_b64 exec, exec, s[8:9]
.LBB603_65:
	s_or_b64 exec, exec, s[2:3]
	v_lshrrev_b16_e32 v30, 8, v32
	v_cmp_ne_u16_e32 vcc, 0, v30
	v_mov_b32_e32 v53, 0
	s_and_saveexec_b64 s[2:3], vcc
	s_cbranch_execz .LBB603_71
; %bb.66:
	s_movk_i32 s8, 0x80
	v_cmp_ne_u16_e32 vcc, s8, v30
	v_bfrev_b32_e32 v53, 1
	s_and_saveexec_b64 s[8:9], vcc
	s_cbranch_execz .LBB603_70
; %bb.67:
	s_movk_i32 s10, 0x7f
	v_and_b32_e32 v51, 0x7f, v30
	v_cmp_ne_u32_e32 vcc, s10, v51
	v_mov_b32_e32 v53, 0x7f800001
	s_and_saveexec_b64 s[10:11], vcc
	s_cbranch_execz .LBB603_69
; %bb.68:
	v_and_b32_e32 v53, 7, v30
	v_ffbh_u32_e32 v54, v53
	v_min_u32_e32 v57, 32, v54
	v_subrev_u32_e32 v54, 28, v57
	v_lshlrev_b64 v[54:55], v54, v[30:31]
	v_lshrrev_b32_e32 v56, 3, v51
	v_sub_u32_e32 v30, 29, v57
	v_and_b32_e32 v54, 7, v54
	v_cmp_gt_u32_e32 vcc, 8, v51
	v_cndmask_b32_e32 v30, v56, v30, vcc
	v_cndmask_b32_e32 v51, v53, v54, vcc
	v_lshlrev_b32_e32 v53, 16, v32
	v_bfrev_b32_e32 v54, 60
	v_lshlrev_b32_e32 v51, 20, v51
	v_and_b32_e32 v53, 0x80000000, v53
	v_lshl_add_u32 v30, v30, 23, v54
	v_or3_b32 v53, v53, v30, v51
.LBB603_69:
	s_or_b64 exec, exec, s[10:11]
.LBB603_70:
	s_or_b64 exec, exec, s[8:9]
.LBB603_71:
	s_or_b64 exec, exec, s[2:3]
	s_movk_i32 s2, 0xff
	v_and_b32_sdwa v51, v32, s2 dst_sel:DWORD dst_unused:UNUSED_PAD src0_sel:WORD_1 src1_sel:DWORD
	v_lshrrev_b32_e32 v30, 16, v32
	v_cmp_ne_u16_e32 vcc, 0, v51
	s_and_saveexec_b64 s[2:3], vcc
	s_cbranch_execz .LBB603_77
; %bb.72:
	s_movk_i32 s8, 0x80
	v_cmp_ne_u16_e32 vcc, s8, v51
	v_bfrev_b32_e32 v31, 1
	s_and_saveexec_b64 s[8:9], vcc
	s_cbranch_execz .LBB603_76
; %bb.73:
	v_bfe_u32 v51, v32, 16, 7
	s_movk_i32 s10, 0x7f
	v_cmp_ne_u32_e32 vcc, s10, v51
	v_mov_b32_e32 v31, 0x7f800001
	s_and_saveexec_b64 s[10:11], vcc
	s_cbranch_execz .LBB603_75
; %bb.74:
	v_and_b32_e32 v54, 7, v30
	v_ffbh_u32_e32 v31, v54
	v_min_u32_e32 v56, 32, v31
	v_subrev_u32_e32 v31, 28, v56
	v_lshlrev_b64 v[30:31], v31, v[30:31]
	v_lshrrev_b32_e32 v55, 3, v51
	v_sub_u32_e32 v31, 29, v56
	v_and_b32_e32 v30, 7, v30
	v_cmp_gt_u32_e32 vcc, 8, v51
	v_mov_b32_e32 v51, 24
	v_cndmask_b32_e32 v31, v55, v31, vcc
	v_cndmask_b32_e32 v30, v54, v30, vcc
	v_lshlrev_b32_sdwa v51, v51, v32 dst_sel:DWORD dst_unused:UNUSED_PAD src0_sel:DWORD src1_sel:WORD_1
	v_bfrev_b32_e32 v54, 60
	v_lshlrev_b32_e32 v30, 20, v30
	v_and_b32_e32 v51, 0x80000000, v51
	v_lshl_add_u32 v31, v31, 23, v54
	v_or3_b32 v31, v51, v31, v30
.LBB603_75:
	s_or_b64 exec, exec, s[10:11]
.LBB603_76:
	s_or_b64 exec, exec, s[8:9]
.LBB603_77:
	s_or_b64 exec, exec, s[2:3]
	s_mov_b32 s2, 0xffffff
	v_cmp_lt_u32_e32 vcc, s2, v32
	v_mov_b32_e32 v54, 0
	v_mov_b32_e32 v55, 0
	s_and_saveexec_b64 s[2:3], vcc
	s_cbranch_execz .LBB603_83
; %bb.78:
	v_lshrrev_b32_e32 v30, 24, v32
	s_movk_i32 s8, 0x80
	v_cmp_ne_u32_e32 vcc, s8, v30
	v_bfrev_b32_e32 v55, 1
	s_and_saveexec_b64 s[8:9], vcc
	s_cbranch_execz .LBB603_82
; %bb.79:
	v_bfe_u32 v32, v32, 24, 7
	s_movk_i32 s10, 0x7f
	v_cmp_ne_u32_e32 vcc, s10, v32
	v_mov_b32_e32 v55, 0x7f800001
	s_and_saveexec_b64 s[10:11], vcc
	s_cbranch_execz .LBB603_81
; %bb.80:
	v_and_b32_e32 v51, 7, v30
	v_ffbh_u32_e32 v56, v51
	v_min_u32_e32 v58, 32, v56
	v_subrev_u32_e32 v56, 28, v58
	v_lshlrev_b64 v[56:57], v56, v[30:31]
	v_lshrrev_b32_e32 v55, 3, v32
	v_sub_u32_e32 v57, 29, v58
	v_and_b32_e32 v56, 7, v56
	v_cmp_gt_u32_e32 vcc, 8, v32
	v_cndmask_b32_e32 v32, v55, v57, vcc
	v_cndmask_b32_e32 v51, v51, v56, vcc
	v_lshlrev_b32_e32 v30, 24, v30
	v_bfrev_b32_e32 v55, 60
	v_lshlrev_b32_e32 v51, 20, v51
	v_and_b32_e32 v30, 0x80000000, v30
	v_lshl_add_u32 v32, v32, 23, v55
	v_or3_b32 v55, v30, v32, v51
.LBB603_81:
	s_or_b64 exec, exec, s[10:11]
.LBB603_82:
	s_or_b64 exec, exec, s[8:9]
.LBB603_83:
	s_or_b64 exec, exec, s[2:3]
	v_cmp_ne_u16_sdwa s[8:9], v33, v54 src0_sel:BYTE_0 src1_sel:DWORD
	s_and_saveexec_b64 s[2:3], s[8:9]
	s_cbranch_execz .LBB603_89
; %bb.84:
	s_movk_i32 s8, 0x80
	v_cmp_ne_u16_sdwa s[10:11], v33, s8 src0_sel:BYTE_0 src1_sel:DWORD
	v_bfrev_b32_e32 v54, 1
	s_and_saveexec_b64 s[8:9], s[10:11]
	s_cbranch_execz .LBB603_88
; %bb.85:
	s_movk_i32 s10, 0x7f
	v_and_b32_e32 v30, 0x7f, v33
	v_cmp_ne_u32_e32 vcc, s10, v30
	v_mov_b32_e32 v54, 0x7f800001
	s_and_saveexec_b64 s[10:11], vcc
	s_cbranch_execz .LBB603_87
; %bb.86:
	v_and_b32_e32 v51, 7, v33
	v_ffbh_u32_e32 v56, v51
	v_min_u32_e32 v58, 32, v56
	v_mov_b32_e32 v32, v33
	v_subrev_u32_e32 v56, 28, v58
	v_lshlrev_b64 v[56:57], v56, v[32:33]
	v_lshrrev_b32_e32 v54, 3, v30
	v_sub_u32_e32 v32, 29, v58
	v_and_b32_e32 v56, 7, v56
	v_cmp_gt_u32_e32 vcc, 8, v30
	v_cndmask_b32_e32 v30, v54, v32, vcc
	v_cndmask_b32_e32 v32, v51, v56, vcc
	v_lshlrev_b32_e32 v51, 24, v33
	v_bfrev_b32_e32 v54, 60
	v_lshlrev_b32_e32 v32, 20, v32
	v_and_b32_e32 v51, 0x80000000, v51
	v_lshl_add_u32 v30, v30, 23, v54
	v_or3_b32 v54, v51, v30, v32
.LBB603_87:
	s_or_b64 exec, exec, s[10:11]
.LBB603_88:
	s_or_b64 exec, exec, s[8:9]
.LBB603_89:
	s_or_b64 exec, exec, s[2:3]
	v_lshrrev_b16_e32 v30, 8, v33
	v_cmp_ne_u16_e32 vcc, 0, v30
	v_mov_b32_e32 v32, 0
	v_mov_b32_e32 v56, 0
	s_and_saveexec_b64 s[2:3], vcc
	s_cbranch_execz .LBB603_95
; %bb.90:
	s_movk_i32 s8, 0x80
	v_cmp_ne_u16_e32 vcc, s8, v30
	v_bfrev_b32_e32 v56, 1
	s_and_saveexec_b64 s[8:9], vcc
	s_cbranch_execz .LBB603_94
; %bb.91:
	s_movk_i32 s10, 0x7f
	v_and_b32_e32 v51, 0x7f, v30
	v_cmp_ne_u32_e32 vcc, s10, v51
	v_mov_b32_e32 v56, 0x7f800001
	s_and_saveexec_b64 s[10:11], vcc
	s_cbranch_execz .LBB603_93
; %bb.92:
	v_and_b32_e32 v58, 7, v30
	v_ffbh_u32_e32 v56, v58
	v_min_u32_e32 v60, 32, v56
	v_subrev_u32_e32 v56, 28, v60
	v_lshlrev_b64 v[56:57], v56, v[30:31]
	v_lshrrev_b32_e32 v59, 3, v51
	v_sub_u32_e32 v30, 29, v60
	v_and_b32_e32 v56, 7, v56
	v_cmp_gt_u32_e32 vcc, 8, v51
	v_cndmask_b32_e32 v30, v59, v30, vcc
	v_cndmask_b32_e32 v51, v58, v56, vcc
	v_lshlrev_b32_e32 v56, 16, v33
	v_bfrev_b32_e32 v57, 60
	v_lshlrev_b32_e32 v51, 20, v51
	v_and_b32_e32 v56, 0x80000000, v56
	v_lshl_add_u32 v30, v30, 23, v57
	v_or3_b32 v56, v56, v30, v51
.LBB603_93:
	s_or_b64 exec, exec, s[10:11]
.LBB603_94:
	s_or_b64 exec, exec, s[8:9]
.LBB603_95:
	s_or_b64 exec, exec, s[2:3]
	s_movk_i32 s2, 0xff
	v_and_b32_sdwa v51, v33, s2 dst_sel:DWORD dst_unused:UNUSED_PAD src0_sel:WORD_1 src1_sel:DWORD
	v_lshrrev_b32_e32 v30, 16, v33
	v_cmp_ne_u16_e32 vcc, 0, v51
	s_and_saveexec_b64 s[2:3], vcc
	s_cbranch_execz .LBB603_101
; %bb.96:
	s_movk_i32 s8, 0x80
	v_cmp_ne_u16_e32 vcc, s8, v51
	v_bfrev_b32_e32 v32, 1
	s_and_saveexec_b64 s[8:9], vcc
	s_cbranch_execz .LBB603_100
; %bb.97:
	v_bfe_u32 v51, v33, 16, 7
	s_movk_i32 s10, 0x7f
	v_cmp_ne_u32_e32 vcc, s10, v51
	v_mov_b32_e32 v32, 0x7f800001
	s_and_saveexec_b64 s[10:11], vcc
	s_cbranch_execz .LBB603_99
; %bb.98:
	v_and_b32_e32 v32, 7, v30
	v_ffbh_u32_e32 v58, v32
	v_min_u32_e32 v60, 32, v58
	v_subrev_u32_e32 v58, 28, v60
	v_lshlrev_b64 v[58:59], v58, v[30:31]
	v_lshrrev_b32_e32 v57, 3, v51
	v_sub_u32_e32 v30, 29, v60
	v_and_b32_e32 v58, 7, v58
	v_cmp_gt_u32_e32 vcc, 8, v51
	v_mov_b32_e32 v51, 24
	v_cndmask_b32_e32 v30, v57, v30, vcc
	v_cndmask_b32_e32 v32, v32, v58, vcc
	v_lshlrev_b32_sdwa v51, v51, v33 dst_sel:DWORD dst_unused:UNUSED_PAD src0_sel:DWORD src1_sel:WORD_1
	v_bfrev_b32_e32 v57, 60
	v_lshlrev_b32_e32 v32, 20, v32
	v_and_b32_e32 v51, 0x80000000, v51
	v_lshl_add_u32 v30, v30, 23, v57
	v_or3_b32 v32, v51, v30, v32
.LBB603_99:
	s_or_b64 exec, exec, s[10:11]
.LBB603_100:
	s_or_b64 exec, exec, s[8:9]
.LBB603_101:
	s_or_b64 exec, exec, s[2:3]
	s_mov_b32 s2, 0xffffff
	v_cmp_lt_u32_e32 vcc, s2, v33
	v_mov_b32_e32 v51, 0
	v_mov_b32_e32 v57, 0
	s_and_saveexec_b64 s[2:3], vcc
	s_cbranch_execz .LBB603_107
; %bb.102:
	v_lshrrev_b32_e32 v30, 24, v33
	s_movk_i32 s8, 0x80
	v_cmp_ne_u32_e32 vcc, s8, v30
	v_bfrev_b32_e32 v57, 1
	s_and_saveexec_b64 s[8:9], vcc
	s_cbranch_execz .LBB603_106
; %bb.103:
	v_bfe_u32 v33, v33, 24, 7
	s_movk_i32 s10, 0x7f
	v_cmp_ne_u32_e32 vcc, s10, v33
	v_mov_b32_e32 v57, 0x7f800001
	s_and_saveexec_b64 s[10:11], vcc
	s_cbranch_execz .LBB603_105
; %bb.104:
	v_and_b32_e32 v57, 7, v30
	v_ffbh_u32_e32 v58, v57
	v_min_u32_e32 v61, 32, v58
	v_subrev_u32_e32 v58, 28, v61
	v_lshlrev_b64 v[58:59], v58, v[30:31]
	v_lshrrev_b32_e32 v60, 3, v33
	v_sub_u32_e32 v59, 29, v61
	v_and_b32_e32 v58, 7, v58
	v_cmp_gt_u32_e32 vcc, 8, v33
	v_cndmask_b32_e32 v33, v60, v59, vcc
	v_cndmask_b32_e32 v57, v57, v58, vcc
	v_lshlrev_b32_e32 v30, 24, v30
	v_bfrev_b32_e32 v58, 60
	v_lshlrev_b32_e32 v57, 20, v57
	v_and_b32_e32 v30, 0x80000000, v30
	v_lshl_add_u32 v33, v33, 23, v58
	v_or3_b32 v57, v30, v33, v57
.LBB603_105:
	s_or_b64 exec, exec, s[10:11]
.LBB603_106:
	s_or_b64 exec, exec, s[8:9]
.LBB603_107:
	s_or_b64 exec, exec, s[2:3]
	v_cvt_pkrtz_f16_f32 v30, v52, v53
	v_cvt_pkrtz_f16_f32 v31, v31, v55
	s_waitcnt vmcnt(6)
	v_cmp_ne_u16_sdwa s[8:9], v38, v51 src0_sel:BYTE_0 src1_sel:DWORD
	v_mfma_f32_16x16x16f16 v[42:45], v[30:31], v[18:19], v[42:45]
	v_cvt_pkrtz_f16_f32 v30, v54, v56
	v_cvt_pkrtz_f16_f32 v31, v32, v57
	s_nop 1
	v_mfma_f32_16x16x16f16 v[30:33], v[30:31], v[20:21], v[42:45]
	s_and_saveexec_b64 s[2:3], s[8:9]
	s_cbranch_execz .LBB603_113
; %bb.108:
	s_movk_i32 s8, 0x80
	v_cmp_ne_u16_sdwa s[10:11], v38, s8 src0_sel:BYTE_0 src1_sel:DWORD
	v_bfrev_b32_e32 v51, 1
	s_and_saveexec_b64 s[8:9], s[10:11]
	s_cbranch_execz .LBB603_112
; %bb.109:
	s_movk_i32 s10, 0x7f
	v_and_b32_e32 v42, 0x7f, v38
	v_cmp_ne_u32_e32 vcc, s10, v42
	v_mov_b32_e32 v51, 0x7f800001
	s_and_saveexec_b64 s[10:11], vcc
	s_cbranch_execz .LBB603_111
; %bb.110:
	v_and_b32_e32 v43, 7, v38
	v_ffbh_u32_e32 v44, v43
	v_min_u32_e32 v52, 32, v44
	v_subrev_u32_e32 v44, 28, v52
	v_lshlrev_b64 v[44:45], v44, v[38:39]
	v_lshrrev_b32_e32 v51, 3, v42
	v_sub_u32_e32 v45, 29, v52
	v_and_b32_e32 v44, 7, v44
	v_cmp_gt_u32_e32 vcc, 8, v42
	v_cndmask_b32_e32 v42, v51, v45, vcc
	v_cndmask_b32_e32 v43, v43, v44, vcc
	v_lshlrev_b32_e32 v44, 24, v38
	v_bfrev_b32_e32 v45, 60
	v_lshlrev_b32_e32 v43, 20, v43
	v_and_b32_e32 v44, 0x80000000, v44
	v_lshl_add_u32 v42, v42, 23, v45
	v_or3_b32 v51, v44, v42, v43
.LBB603_111:
	s_or_b64 exec, exec, s[10:11]
.LBB603_112:
	s_or_b64 exec, exec, s[8:9]
.LBB603_113:
	s_or_b64 exec, exec, s[2:3]
	s_nop 3
	v_lshrrev_b16_e32 v42, 8, v38
	v_cmp_ne_u16_e32 vcc, 0, v42
	v_mov_b32_e32 v43, 0
	v_mov_b32_e32 v44, 0
	s_and_saveexec_b64 s[2:3], vcc
	s_cbranch_execz .LBB603_119
; %bb.114:
	s_movk_i32 s8, 0x80
	v_cmp_ne_u16_e32 vcc, s8, v42
	v_bfrev_b32_e32 v44, 1
	s_and_saveexec_b64 s[8:9], vcc
	s_cbranch_execz .LBB603_118
; %bb.115:
	s_movk_i32 s10, 0x7f
	v_and_b32_e32 v45, 0x7f, v42
	v_cmp_ne_u32_e32 vcc, s10, v45
	v_mov_b32_e32 v44, 0x7f800001
	s_and_saveexec_b64 s[10:11], vcc
	s_cbranch_execz .LBB603_117
; %bb.116:
	v_and_b32_e32 v44, 7, v42
	v_ffbh_u32_e32 v52, v44
	v_min_u32_e32 v55, 32, v52
	v_subrev_u32_e32 v52, 28, v55
	v_lshlrev_b64 v[52:53], v52, v[42:43]
	v_lshrrev_b32_e32 v54, 3, v45
	v_sub_u32_e32 v42, 29, v55
	v_and_b32_e32 v52, 7, v52
	v_cmp_gt_u32_e32 vcc, 8, v45
	v_cndmask_b32_e32 v42, v54, v42, vcc
	v_cndmask_b32_e32 v44, v44, v52, vcc
	v_lshlrev_b32_e32 v45, 16, v38
	v_bfrev_b32_e32 v52, 60
	v_lshlrev_b32_e32 v44, 20, v44
	v_and_b32_e32 v45, 0x80000000, v45
	v_lshl_add_u32 v42, v42, 23, v52
	v_or3_b32 v44, v45, v42, v44
.LBB603_117:
	s_or_b64 exec, exec, s[10:11]
.LBB603_118:
	s_or_b64 exec, exec, s[8:9]
.LBB603_119:
	s_or_b64 exec, exec, s[2:3]
	s_movk_i32 s2, 0xff
	v_and_b32_sdwa v45, v38, s2 dst_sel:DWORD dst_unused:UNUSED_PAD src0_sel:WORD_1 src1_sel:DWORD
	v_lshrrev_b32_e32 v42, 16, v38
	v_cmp_ne_u16_e32 vcc, 0, v45
	s_and_saveexec_b64 s[2:3], vcc
	s_cbranch_execz .LBB603_125
; %bb.120:
	s_movk_i32 s8, 0x80
	v_cmp_ne_u16_e32 vcc, s8, v45
	v_bfrev_b32_e32 v43, 1
	s_and_saveexec_b64 s[8:9], vcc
	s_cbranch_execz .LBB603_124
; %bb.121:
	v_bfe_u32 v45, v38, 16, 7
	s_movk_i32 s10, 0x7f
	v_cmp_ne_u32_e32 vcc, s10, v45
	v_mov_b32_e32 v43, 0x7f800001
	s_and_saveexec_b64 s[10:11], vcc
	s_cbranch_execz .LBB603_123
; %bb.122:
	v_and_b32_e32 v52, 7, v42
	v_ffbh_u32_e32 v43, v52
	v_min_u32_e32 v54, 32, v43
	v_subrev_u32_e32 v43, 28, v54
	v_lshlrev_b64 v[42:43], v43, v[42:43]
	v_lshrrev_b32_e32 v53, 3, v45
	v_sub_u32_e32 v43, 29, v54
	v_and_b32_e32 v42, 7, v42
	v_cmp_gt_u32_e32 vcc, 8, v45
	v_mov_b32_e32 v45, 24
	v_cndmask_b32_e32 v43, v53, v43, vcc
	v_cndmask_b32_e32 v42, v52, v42, vcc
	v_lshlrev_b32_sdwa v45, v45, v38 dst_sel:DWORD dst_unused:UNUSED_PAD src0_sel:DWORD src1_sel:WORD_1
	v_bfrev_b32_e32 v52, 60
	v_lshlrev_b32_e32 v42, 20, v42
	v_and_b32_e32 v45, 0x80000000, v45
	v_lshl_add_u32 v43, v43, 23, v52
	v_or3_b32 v43, v45, v43, v42
.LBB603_123:
	s_or_b64 exec, exec, s[10:11]
.LBB603_124:
	s_or_b64 exec, exec, s[8:9]
.LBB603_125:
	s_or_b64 exec, exec, s[2:3]
	s_mov_b32 s2, 0xffffff
	v_cmp_lt_u32_e32 vcc, s2, v38
	v_mov_b32_e32 v45, 0
	v_mov_b32_e32 v53, 0
	s_and_saveexec_b64 s[2:3], vcc
	s_cbranch_execz .LBB603_131
; %bb.126:
	v_lshrrev_b32_e32 v42, 24, v38
	s_movk_i32 s8, 0x80
	v_cmp_ne_u32_e32 vcc, s8, v42
	v_bfrev_b32_e32 v53, 1
	s_and_saveexec_b64 s[8:9], vcc
	s_cbranch_execz .LBB603_130
; %bb.127:
	v_bfe_u32 v38, v38, 24, 7
	s_movk_i32 s10, 0x7f
	v_cmp_ne_u32_e32 vcc, s10, v38
	v_mov_b32_e32 v53, 0x7f800001
	s_and_saveexec_b64 s[10:11], vcc
	s_cbranch_execz .LBB603_129
; %bb.128:
	v_and_b32_e32 v54, 7, v42
	v_ffbh_u32_e32 v52, v54
	v_min_u32_e32 v56, 32, v52
	v_subrev_u32_e32 v52, 28, v56
	v_lshlrev_b64 v[52:53], v52, v[42:43]
	v_lshrrev_b32_e32 v55, 3, v38
	v_sub_u32_e32 v53, 29, v56
	v_and_b32_e32 v52, 7, v52
	v_cmp_gt_u32_e32 vcc, 8, v38
	v_cndmask_b32_e32 v38, v55, v53, vcc
	v_cndmask_b32_e32 v52, v54, v52, vcc
	v_lshlrev_b32_e32 v42, 24, v42
	v_bfrev_b32_e32 v53, 60
	v_lshlrev_b32_e32 v52, 20, v52
	v_and_b32_e32 v42, 0x80000000, v42
	v_lshl_add_u32 v38, v38, 23, v53
	v_or3_b32 v53, v42, v38, v52
.LBB603_129:
	s_or_b64 exec, exec, s[10:11]
.LBB603_130:
	s_or_b64 exec, exec, s[8:9]
.LBB603_131:
	s_or_b64 exec, exec, s[2:3]
	v_cmp_ne_u16_sdwa s[8:9], v39, v45 src0_sel:BYTE_0 src1_sel:DWORD
	s_and_saveexec_b64 s[2:3], s[8:9]
	s_cbranch_execz .LBB603_137
; %bb.132:
	s_movk_i32 s8, 0x80
	v_cmp_ne_u16_sdwa s[10:11], v39, s8 src0_sel:BYTE_0 src1_sel:DWORD
	v_bfrev_b32_e32 v45, 1
	s_and_saveexec_b64 s[8:9], s[10:11]
	s_cbranch_execz .LBB603_136
; %bb.133:
	s_movk_i32 s10, 0x7f
	v_and_b32_e32 v38, 0x7f, v39
	v_cmp_ne_u32_e32 vcc, s10, v38
	v_mov_b32_e32 v45, 0x7f800001
	s_and_saveexec_b64 s[10:11], vcc
	s_cbranch_execz .LBB603_135
; %bb.134:
	v_and_b32_e32 v45, 7, v39
	v_ffbh_u32_e32 v54, v45
	v_min_u32_e32 v56, 32, v54
	v_mov_b32_e32 v42, v39
	v_subrev_u32_e32 v54, 28, v56
	v_lshlrev_b64 v[54:55], v54, v[42:43]
	v_lshrrev_b32_e32 v52, 3, v38
	v_sub_u32_e32 v42, 29, v56
	v_and_b32_e32 v54, 7, v54
	v_cmp_gt_u32_e32 vcc, 8, v38
	v_cndmask_b32_e32 v38, v52, v42, vcc
	v_cndmask_b32_e32 v42, v45, v54, vcc
	v_lshlrev_b32_e32 v45, 24, v39
	v_bfrev_b32_e32 v52, 60
	v_lshlrev_b32_e32 v42, 20, v42
	v_and_b32_e32 v45, 0x80000000, v45
	v_lshl_add_u32 v38, v38, 23, v52
	v_or3_b32 v45, v45, v38, v42
.LBB603_135:
	s_or_b64 exec, exec, s[10:11]
.LBB603_136:
	s_or_b64 exec, exec, s[8:9]
.LBB603_137:
	s_or_b64 exec, exec, s[2:3]
	v_lshrrev_b16_e32 v38, 8, v39
	v_cmp_ne_u16_e32 vcc, 0, v38
	v_mov_b32_e32 v42, 0
	v_mov_b32_e32 v54, 0
	s_and_saveexec_b64 s[2:3], vcc
	s_cbranch_execz .LBB603_143
; %bb.138:
	s_movk_i32 s8, 0x80
	v_cmp_ne_u16_e32 vcc, s8, v38
	v_bfrev_b32_e32 v54, 1
	s_and_saveexec_b64 s[8:9], vcc
	s_cbranch_execz .LBB603_142
; %bb.139:
	s_movk_i32 s10, 0x7f
	v_and_b32_e32 v52, 0x7f, v38
	v_cmp_ne_u32_e32 vcc, s10, v52
	v_mov_b32_e32 v54, 0x7f800001
	s_and_saveexec_b64 s[10:11], vcc
	s_cbranch_execz .LBB603_141
; %bb.140:
	v_and_b32_e32 v56, 7, v38
	v_ffbh_u32_e32 v54, v56
	v_min_u32_e32 v58, 32, v54
	v_subrev_u32_e32 v54, 28, v58
	v_lshlrev_b64 v[54:55], v54, v[38:39]
	v_lshrrev_b32_e32 v57, 3, v52
	v_sub_u32_e32 v38, 29, v58
	v_and_b32_e32 v54, 7, v54
	v_cmp_gt_u32_e32 vcc, 8, v52
	v_cndmask_b32_e32 v38, v57, v38, vcc
	v_cndmask_b32_e32 v52, v56, v54, vcc
	v_lshlrev_b32_e32 v54, 16, v39
	v_bfrev_b32_e32 v55, 60
	v_lshlrev_b32_e32 v52, 20, v52
	v_and_b32_e32 v54, 0x80000000, v54
	v_lshl_add_u32 v38, v38, 23, v55
	v_or3_b32 v54, v54, v38, v52
.LBB603_141:
	s_or_b64 exec, exec, s[10:11]
.LBB603_142:
	s_or_b64 exec, exec, s[8:9]
.LBB603_143:
	s_or_b64 exec, exec, s[2:3]
	s_movk_i32 s2, 0xff
	v_and_b32_sdwa v52, v39, s2 dst_sel:DWORD dst_unused:UNUSED_PAD src0_sel:WORD_1 src1_sel:DWORD
	v_lshrrev_b32_e32 v38, 16, v39
	v_cmp_ne_u16_e32 vcc, 0, v52
	s_and_saveexec_b64 s[2:3], vcc
	s_cbranch_execz .LBB603_149
; %bb.144:
	s_movk_i32 s8, 0x80
	v_cmp_ne_u16_e32 vcc, s8, v52
	v_bfrev_b32_e32 v42, 1
	s_and_saveexec_b64 s[8:9], vcc
	s_cbranch_execz .LBB603_148
; %bb.145:
	v_bfe_u32 v52, v39, 16, 7
	s_movk_i32 s10, 0x7f
	v_cmp_ne_u32_e32 vcc, s10, v52
	v_mov_b32_e32 v42, 0x7f800001
	s_and_saveexec_b64 s[10:11], vcc
	s_cbranch_execz .LBB603_147
; %bb.146:
	v_and_b32_e32 v42, 7, v38
	v_ffbh_u32_e32 v56, v42
	v_min_u32_e32 v58, 32, v56
	v_subrev_u32_e32 v56, 28, v58
	v_lshlrev_b64 v[56:57], v56, v[38:39]
	v_lshrrev_b32_e32 v55, 3, v52
	v_sub_u32_e32 v38, 29, v58
	v_and_b32_e32 v56, 7, v56
	v_cmp_gt_u32_e32 vcc, 8, v52
	v_mov_b32_e32 v52, 24
	v_cndmask_b32_e32 v38, v55, v38, vcc
	v_cndmask_b32_e32 v42, v42, v56, vcc
	v_lshlrev_b32_sdwa v52, v52, v39 dst_sel:DWORD dst_unused:UNUSED_PAD src0_sel:DWORD src1_sel:WORD_1
	v_bfrev_b32_e32 v55, 60
	v_lshlrev_b32_e32 v42, 20, v42
	v_and_b32_e32 v52, 0x80000000, v52
	v_lshl_add_u32 v38, v38, 23, v55
	v_or3_b32 v42, v52, v38, v42
.LBB603_147:
	s_or_b64 exec, exec, s[10:11]
.LBB603_148:
	s_or_b64 exec, exec, s[8:9]
.LBB603_149:
	s_or_b64 exec, exec, s[2:3]
	s_mov_b32 s2, 0xffffff
	v_cmp_lt_u32_e32 vcc, s2, v39
	v_mov_b32_e32 v52, 0
	v_mov_b32_e32 v55, 0
	s_and_saveexec_b64 s[2:3], vcc
	s_cbranch_execz .LBB603_155
; %bb.150:
	v_lshrrev_b32_e32 v38, 24, v39
	s_movk_i32 s8, 0x80
	v_cmp_ne_u32_e32 vcc, s8, v38
	v_bfrev_b32_e32 v55, 1
	s_and_saveexec_b64 s[8:9], vcc
	s_cbranch_execz .LBB603_154
; %bb.151:
	v_bfe_u32 v39, v39, 24, 7
	s_movk_i32 s10, 0x7f
	v_cmp_ne_u32_e32 vcc, s10, v39
	v_mov_b32_e32 v55, 0x7f800001
	s_and_saveexec_b64 s[10:11], vcc
	s_cbranch_execz .LBB603_153
; %bb.152:
	v_and_b32_e32 v55, 7, v38
	v_ffbh_u32_e32 v56, v55
	v_min_u32_e32 v59, 32, v56
	v_subrev_u32_e32 v56, 28, v59
	v_lshlrev_b64 v[56:57], v56, v[38:39]
	v_lshrrev_b32_e32 v58, 3, v39
	v_sub_u32_e32 v57, 29, v59
	v_and_b32_e32 v56, 7, v56
	v_cmp_gt_u32_e32 vcc, 8, v39
	v_cndmask_b32_e32 v39, v58, v57, vcc
	v_cndmask_b32_e32 v55, v55, v56, vcc
	v_lshlrev_b32_e32 v38, 24, v38
	v_bfrev_b32_e32 v56, 60
	v_lshlrev_b32_e32 v55, 20, v55
	v_and_b32_e32 v38, 0x80000000, v38
	v_lshl_add_u32 v39, v39, 23, v56
	v_or3_b32 v55, v38, v39, v55
.LBB603_153:
	s_or_b64 exec, exec, s[10:11]
.LBB603_154:
	s_or_b64 exec, exec, s[8:9]
.LBB603_155:
	s_or_b64 exec, exec, s[2:3]
	v_cvt_pkrtz_f16_f32 v38, v51, v44
	v_cvt_pkrtz_f16_f32 v39, v43, v53
	v_cmp_ne_u16_sdwa s[8:9], v40, v52 src0_sel:BYTE_0 src1_sel:DWORD
	s_nop 0
	v_mfma_f32_16x16x16f16 v[56:59], v[38:39], v[26:27], 0
	v_cvt_pkrtz_f16_f32 v38, v45, v54
	v_cvt_pkrtz_f16_f32 v39, v42, v55
	s_nop 1
	v_mfma_f32_16x16x16f16 v[42:45], v[38:39], v[28:29], v[56:59]
	s_and_saveexec_b64 s[2:3], s[8:9]
	s_cbranch_execz .LBB603_161
; %bb.156:
	s_movk_i32 s8, 0x80
	v_cmp_ne_u16_sdwa s[10:11], v40, s8 src0_sel:BYTE_0 src1_sel:DWORD
	v_bfrev_b32_e32 v52, 1
	s_and_saveexec_b64 s[8:9], s[10:11]
	s_cbranch_execz .LBB603_160
; %bb.157:
	s_movk_i32 s10, 0x7f
	v_and_b32_e32 v38, 0x7f, v40
	v_cmp_ne_u32_e32 vcc, s10, v38
	v_mov_b32_e32 v52, 0x7f800001
	s_and_saveexec_b64 s[10:11], vcc
	s_cbranch_execz .LBB603_159
; %bb.158:
	v_and_b32_e32 v39, 7, v40
	v_ffbh_u32_e32 v52, v39
	v_min_u32_e32 v54, 32, v52
	v_subrev_u32_e32 v52, 28, v54
	v_lshlrev_b64 v[52:53], v52, v[40:41]
	v_lshrrev_b32_e32 v51, 3, v38
	v_sub_u32_e32 v53, 29, v54
	v_and_b32_e32 v52, 7, v52
	v_cmp_gt_u32_e32 vcc, 8, v38
	v_cndmask_b32_e32 v38, v51, v53, vcc
	v_cndmask_b32_e32 v39, v39, v52, vcc
	v_lshlrev_b32_e32 v51, 24, v40
	v_bfrev_b32_e32 v52, 60
	v_lshlrev_b32_e32 v39, 20, v39
	v_and_b32_e32 v51, 0x80000000, v51
	v_lshl_add_u32 v38, v38, 23, v52
	v_or3_b32 v52, v51, v38, v39
.LBB603_159:
	s_or_b64 exec, exec, s[10:11]
.LBB603_160:
	s_or_b64 exec, exec, s[8:9]
.LBB603_161:
	s_or_b64 exec, exec, s[2:3]
	v_lshrrev_b16_e32 v38, 8, v40
	v_cmp_ne_u16_e32 vcc, 0, v38
	v_mov_b32_e32 v39, 0
	v_mov_b32_e32 v53, 0
	s_and_saveexec_b64 s[2:3], vcc
	s_cbranch_execz .LBB603_167
; %bb.162:
	s_movk_i32 s8, 0x80
	v_cmp_ne_u16_e32 vcc, s8, v38
	v_bfrev_b32_e32 v53, 1
	s_and_saveexec_b64 s[8:9], vcc
	s_cbranch_execz .LBB603_166
; %bb.163:
	s_movk_i32 s10, 0x7f
	v_and_b32_e32 v51, 0x7f, v38
	v_cmp_ne_u32_e32 vcc, s10, v51
	v_mov_b32_e32 v53, 0x7f800001
	s_and_saveexec_b64 s[10:11], vcc
	s_cbranch_execz .LBB603_165
; %bb.164:
	v_and_b32_e32 v53, 7, v38
	v_ffbh_u32_e32 v54, v53
	v_min_u32_e32 v57, 32, v54
	v_subrev_u32_e32 v54, 28, v57
	v_lshlrev_b64 v[54:55], v54, v[38:39]
	v_lshrrev_b32_e32 v56, 3, v51
	v_sub_u32_e32 v38, 29, v57
	v_and_b32_e32 v54, 7, v54
	v_cmp_gt_u32_e32 vcc, 8, v51
	v_cndmask_b32_e32 v38, v56, v38, vcc
	v_cndmask_b32_e32 v51, v53, v54, vcc
	v_lshlrev_b32_e32 v53, 16, v40
	v_bfrev_b32_e32 v54, 60
	v_lshlrev_b32_e32 v51, 20, v51
	v_and_b32_e32 v53, 0x80000000, v53
	v_lshl_add_u32 v38, v38, 23, v54
	v_or3_b32 v53, v53, v38, v51
.LBB603_165:
	s_or_b64 exec, exec, s[10:11]
.LBB603_166:
	s_or_b64 exec, exec, s[8:9]
.LBB603_167:
	s_or_b64 exec, exec, s[2:3]
	s_movk_i32 s2, 0xff
	v_and_b32_sdwa v51, v40, s2 dst_sel:DWORD dst_unused:UNUSED_PAD src0_sel:WORD_1 src1_sel:DWORD
	v_lshrrev_b32_e32 v38, 16, v40
	v_cmp_ne_u16_e32 vcc, 0, v51
	s_and_saveexec_b64 s[2:3], vcc
	s_cbranch_execz .LBB603_173
; %bb.168:
	s_movk_i32 s8, 0x80
	v_cmp_ne_u16_e32 vcc, s8, v51
	v_bfrev_b32_e32 v39, 1
	s_and_saveexec_b64 s[8:9], vcc
	s_cbranch_execz .LBB603_172
; %bb.169:
	v_bfe_u32 v51, v40, 16, 7
	s_movk_i32 s10, 0x7f
	v_cmp_ne_u32_e32 vcc, s10, v51
	v_mov_b32_e32 v39, 0x7f800001
	s_and_saveexec_b64 s[10:11], vcc
	s_cbranch_execz .LBB603_171
; %bb.170:
	v_and_b32_e32 v54, 7, v38
	v_ffbh_u32_e32 v39, v54
	v_min_u32_e32 v56, 32, v39
	v_subrev_u32_e32 v39, 28, v56
	v_lshlrev_b64 v[38:39], v39, v[38:39]
	v_lshrrev_b32_e32 v55, 3, v51
	v_sub_u32_e32 v39, 29, v56
	v_and_b32_e32 v38, 7, v38
	v_cmp_gt_u32_e32 vcc, 8, v51
	v_mov_b32_e32 v51, 24
	v_cndmask_b32_e32 v39, v55, v39, vcc
	v_cndmask_b32_e32 v38, v54, v38, vcc
	v_lshlrev_b32_sdwa v51, v51, v40 dst_sel:DWORD dst_unused:UNUSED_PAD src0_sel:DWORD src1_sel:WORD_1
	v_bfrev_b32_e32 v54, 60
	v_lshlrev_b32_e32 v38, 20, v38
	v_and_b32_e32 v51, 0x80000000, v51
	v_lshl_add_u32 v39, v39, 23, v54
	v_or3_b32 v39, v51, v39, v38
.LBB603_171:
	s_or_b64 exec, exec, s[10:11]
.LBB603_172:
	s_or_b64 exec, exec, s[8:9]
.LBB603_173:
	s_or_b64 exec, exec, s[2:3]
	s_mov_b32 s2, 0xffffff
	v_cmp_lt_u32_e32 vcc, s2, v40
	v_mov_b32_e32 v54, 0
	v_mov_b32_e32 v55, 0
	s_and_saveexec_b64 s[2:3], vcc
	s_cbranch_execz .LBB603_179
; %bb.174:
	v_lshrrev_b32_e32 v38, 24, v40
	s_movk_i32 s8, 0x80
	v_cmp_ne_u32_e32 vcc, s8, v38
	v_bfrev_b32_e32 v55, 1
	s_and_saveexec_b64 s[8:9], vcc
	s_cbranch_execz .LBB603_178
; %bb.175:
	v_bfe_u32 v40, v40, 24, 7
	s_movk_i32 s10, 0x7f
	v_cmp_ne_u32_e32 vcc, s10, v40
	v_mov_b32_e32 v55, 0x7f800001
	s_and_saveexec_b64 s[10:11], vcc
	s_cbranch_execz .LBB603_177
; %bb.176:
	v_and_b32_e32 v51, 7, v38
	v_ffbh_u32_e32 v56, v51
	v_min_u32_e32 v58, 32, v56
	v_subrev_u32_e32 v56, 28, v58
	v_lshlrev_b64 v[56:57], v56, v[38:39]
	v_lshrrev_b32_e32 v55, 3, v40
	v_sub_u32_e32 v57, 29, v58
	v_and_b32_e32 v56, 7, v56
	v_cmp_gt_u32_e32 vcc, 8, v40
	v_cndmask_b32_e32 v40, v55, v57, vcc
	v_cndmask_b32_e32 v51, v51, v56, vcc
	v_lshlrev_b32_e32 v38, 24, v38
	v_bfrev_b32_e32 v55, 60
	v_lshlrev_b32_e32 v51, 20, v51
	v_and_b32_e32 v38, 0x80000000, v38
	v_lshl_add_u32 v40, v40, 23, v55
	v_or3_b32 v55, v38, v40, v51
.LBB603_177:
	s_or_b64 exec, exec, s[10:11]
.LBB603_178:
	s_or_b64 exec, exec, s[8:9]
.LBB603_179:
	s_or_b64 exec, exec, s[2:3]
	v_cmp_ne_u16_sdwa s[8:9], v41, v54 src0_sel:BYTE_0 src1_sel:DWORD
	s_and_saveexec_b64 s[2:3], s[8:9]
	s_cbranch_execz .LBB603_185
; %bb.180:
	s_movk_i32 s8, 0x80
	v_cmp_ne_u16_sdwa s[10:11], v41, s8 src0_sel:BYTE_0 src1_sel:DWORD
	v_bfrev_b32_e32 v54, 1
	s_and_saveexec_b64 s[8:9], s[10:11]
	s_cbranch_execz .LBB603_184
; %bb.181:
	s_movk_i32 s10, 0x7f
	v_and_b32_e32 v38, 0x7f, v41
	v_cmp_ne_u32_e32 vcc, s10, v38
	v_mov_b32_e32 v54, 0x7f800001
	s_and_saveexec_b64 s[10:11], vcc
	s_cbranch_execz .LBB603_183
; %bb.182:
	v_and_b32_e32 v51, 7, v41
	v_ffbh_u32_e32 v56, v51
	v_min_u32_e32 v58, 32, v56
	v_mov_b32_e32 v40, v41
	v_subrev_u32_e32 v56, 28, v58
	v_lshlrev_b64 v[56:57], v56, v[40:41]
	v_lshrrev_b32_e32 v54, 3, v38
	v_sub_u32_e32 v40, 29, v58
	v_and_b32_e32 v56, 7, v56
	v_cmp_gt_u32_e32 vcc, 8, v38
	v_cndmask_b32_e32 v38, v54, v40, vcc
	v_cndmask_b32_e32 v40, v51, v56, vcc
	v_lshlrev_b32_e32 v51, 24, v41
	v_bfrev_b32_e32 v54, 60
	v_lshlrev_b32_e32 v40, 20, v40
	v_and_b32_e32 v51, 0x80000000, v51
	v_lshl_add_u32 v38, v38, 23, v54
	v_or3_b32 v54, v51, v38, v40
.LBB603_183:
	s_or_b64 exec, exec, s[10:11]
.LBB603_184:
	s_or_b64 exec, exec, s[8:9]
.LBB603_185:
	s_or_b64 exec, exec, s[2:3]
	v_lshrrev_b16_e32 v38, 8, v41
	v_cmp_ne_u16_e32 vcc, 0, v38
	v_mov_b32_e32 v40, 0
	v_mov_b32_e32 v56, 0
	s_and_saveexec_b64 s[2:3], vcc
	s_cbranch_execz .LBB603_191
; %bb.186:
	s_movk_i32 s8, 0x80
	v_cmp_ne_u16_e32 vcc, s8, v38
	v_bfrev_b32_e32 v56, 1
	s_and_saveexec_b64 s[8:9], vcc
	s_cbranch_execz .LBB603_190
; %bb.187:
	s_movk_i32 s10, 0x7f
	v_and_b32_e32 v51, 0x7f, v38
	v_cmp_ne_u32_e32 vcc, s10, v51
	v_mov_b32_e32 v56, 0x7f800001
	s_and_saveexec_b64 s[10:11], vcc
	s_cbranch_execz .LBB603_189
; %bb.188:
	v_and_b32_e32 v58, 7, v38
	v_ffbh_u32_e32 v56, v58
	v_min_u32_e32 v60, 32, v56
	v_subrev_u32_e32 v56, 28, v60
	v_lshlrev_b64 v[56:57], v56, v[38:39]
	v_lshrrev_b32_e32 v59, 3, v51
	v_sub_u32_e32 v38, 29, v60
	v_and_b32_e32 v56, 7, v56
	v_cmp_gt_u32_e32 vcc, 8, v51
	v_cndmask_b32_e32 v38, v59, v38, vcc
	v_cndmask_b32_e32 v51, v58, v56, vcc
	v_lshlrev_b32_e32 v56, 16, v41
	v_bfrev_b32_e32 v57, 60
	v_lshlrev_b32_e32 v51, 20, v51
	v_and_b32_e32 v56, 0x80000000, v56
	v_lshl_add_u32 v38, v38, 23, v57
	v_or3_b32 v56, v56, v38, v51
.LBB603_189:
	s_or_b64 exec, exec, s[10:11]
.LBB603_190:
	s_or_b64 exec, exec, s[8:9]
.LBB603_191:
	s_or_b64 exec, exec, s[2:3]
	s_movk_i32 s2, 0xff
	v_and_b32_sdwa v51, v41, s2 dst_sel:DWORD dst_unused:UNUSED_PAD src0_sel:WORD_1 src1_sel:DWORD
	v_lshrrev_b32_e32 v38, 16, v41
	v_cmp_ne_u16_e32 vcc, 0, v51
	s_and_saveexec_b64 s[2:3], vcc
	s_cbranch_execz .LBB603_197
; %bb.192:
	s_movk_i32 s8, 0x80
	v_cmp_ne_u16_e32 vcc, s8, v51
	v_bfrev_b32_e32 v40, 1
	s_and_saveexec_b64 s[8:9], vcc
	s_cbranch_execz .LBB603_196
; %bb.193:
	v_bfe_u32 v51, v41, 16, 7
	s_movk_i32 s10, 0x7f
	v_cmp_ne_u32_e32 vcc, s10, v51
	v_mov_b32_e32 v40, 0x7f800001
	s_and_saveexec_b64 s[10:11], vcc
	s_cbranch_execz .LBB603_195
; %bb.194:
	v_and_b32_e32 v40, 7, v38
	v_ffbh_u32_e32 v58, v40
	v_min_u32_e32 v60, 32, v58
	v_subrev_u32_e32 v58, 28, v60
	v_lshlrev_b64 v[58:59], v58, v[38:39]
	v_lshrrev_b32_e32 v57, 3, v51
	v_sub_u32_e32 v38, 29, v60
	v_and_b32_e32 v58, 7, v58
	v_cmp_gt_u32_e32 vcc, 8, v51
	v_mov_b32_e32 v51, 24
	v_cndmask_b32_e32 v38, v57, v38, vcc
	v_cndmask_b32_e32 v40, v40, v58, vcc
	v_lshlrev_b32_sdwa v51, v51, v41 dst_sel:DWORD dst_unused:UNUSED_PAD src0_sel:DWORD src1_sel:WORD_1
	v_bfrev_b32_e32 v57, 60
	v_lshlrev_b32_e32 v40, 20, v40
	v_and_b32_e32 v51, 0x80000000, v51
	v_lshl_add_u32 v38, v38, 23, v57
	v_or3_b32 v40, v51, v38, v40
.LBB603_195:
	s_or_b64 exec, exec, s[10:11]
.LBB603_196:
	s_or_b64 exec, exec, s[8:9]
.LBB603_197:
	s_or_b64 exec, exec, s[2:3]
	s_mov_b32 s2, 0xffffff
	v_cmp_lt_u32_e32 vcc, s2, v41
	v_mov_b32_e32 v51, 0
	v_mov_b32_e32 v57, 0
	s_and_saveexec_b64 s[2:3], vcc
	s_cbranch_execz .LBB603_203
; %bb.198:
	v_lshrrev_b32_e32 v38, 24, v41
	s_movk_i32 s8, 0x80
	v_cmp_ne_u32_e32 vcc, s8, v38
	v_bfrev_b32_e32 v57, 1
	s_and_saveexec_b64 s[8:9], vcc
	s_cbranch_execz .LBB603_202
; %bb.199:
	v_bfe_u32 v41, v41, 24, 7
	s_movk_i32 s10, 0x7f
	v_cmp_ne_u32_e32 vcc, s10, v41
	v_mov_b32_e32 v57, 0x7f800001
	s_and_saveexec_b64 s[10:11], vcc
	s_cbranch_execz .LBB603_201
; %bb.200:
	v_and_b32_e32 v57, 7, v38
	v_ffbh_u32_e32 v58, v57
	v_min_u32_e32 v61, 32, v58
	v_subrev_u32_e32 v58, 28, v61
	v_lshlrev_b64 v[58:59], v58, v[38:39]
	v_lshrrev_b32_e32 v60, 3, v41
	v_sub_u32_e32 v59, 29, v61
	v_and_b32_e32 v58, 7, v58
	v_cmp_gt_u32_e32 vcc, 8, v41
	v_cndmask_b32_e32 v41, v60, v59, vcc
	v_cndmask_b32_e32 v57, v57, v58, vcc
	v_lshlrev_b32_e32 v38, 24, v38
	v_bfrev_b32_e32 v58, 60
	v_lshlrev_b32_e32 v57, 20, v57
	v_and_b32_e32 v38, 0x80000000, v38
	v_lshl_add_u32 v41, v41, 23, v58
	v_or3_b32 v57, v38, v41, v57
.LBB603_201:
	s_or_b64 exec, exec, s[10:11]
.LBB603_202:
	s_or_b64 exec, exec, s[8:9]
.LBB603_203:
	s_or_b64 exec, exec, s[2:3]
	v_cvt_pkrtz_f16_f32 v38, v52, v53
	v_cvt_pkrtz_f16_f32 v39, v39, v55
	s_waitcnt vmcnt(5)
	v_cmp_ne_u16_sdwa s[8:9], v34, v51 src0_sel:BYTE_0 src1_sel:DWORD
	v_mfma_f32_16x16x16f16 v[42:45], v[38:39], v[18:19], v[42:45]
	v_cvt_pkrtz_f16_f32 v38, v54, v56
	v_cvt_pkrtz_f16_f32 v39, v40, v57
	s_nop 1
	v_mfma_f32_16x16x16f16 v[38:41], v[38:39], v[20:21], v[42:45]
	s_and_saveexec_b64 s[2:3], s[8:9]
	s_cbranch_execz .LBB603_209
; %bb.204:
	s_movk_i32 s8, 0x80
	v_cmp_ne_u16_sdwa s[10:11], v34, s8 src0_sel:BYTE_0 src1_sel:DWORD
	v_bfrev_b32_e32 v51, 1
	s_and_saveexec_b64 s[8:9], s[10:11]
	s_cbranch_execz .LBB603_208
; %bb.205:
	s_movk_i32 s10, 0x7f
	v_and_b32_e32 v42, 0x7f, v34
	v_cmp_ne_u32_e32 vcc, s10, v42
	v_mov_b32_e32 v51, 0x7f800001
	s_and_saveexec_b64 s[10:11], vcc
	s_cbranch_execz .LBB603_207
; %bb.206:
	v_and_b32_e32 v43, 7, v34
	v_ffbh_u32_e32 v44, v43
	v_min_u32_e32 v52, 32, v44
	v_subrev_u32_e32 v44, 28, v52
	v_lshlrev_b64 v[44:45], v44, v[34:35]
	v_lshrrev_b32_e32 v51, 3, v42
	v_sub_u32_e32 v45, 29, v52
	v_and_b32_e32 v44, 7, v44
	v_cmp_gt_u32_e32 vcc, 8, v42
	v_cndmask_b32_e32 v42, v51, v45, vcc
	v_cndmask_b32_e32 v43, v43, v44, vcc
	v_lshlrev_b32_e32 v44, 24, v34
	v_bfrev_b32_e32 v45, 60
	v_lshlrev_b32_e32 v43, 20, v43
	v_and_b32_e32 v44, 0x80000000, v44
	v_lshl_add_u32 v42, v42, 23, v45
	v_or3_b32 v51, v44, v42, v43
.LBB603_207:
	s_or_b64 exec, exec, s[10:11]
.LBB603_208:
	s_or_b64 exec, exec, s[8:9]
.LBB603_209:
	s_or_b64 exec, exec, s[2:3]
	s_nop 3
	v_lshrrev_b16_e32 v42, 8, v34
	v_cmp_ne_u16_e32 vcc, 0, v42
	v_mov_b32_e32 v43, 0
	v_mov_b32_e32 v44, 0
	s_and_saveexec_b64 s[2:3], vcc
	s_cbranch_execz .LBB603_215
; %bb.210:
	s_movk_i32 s8, 0x80
	v_cmp_ne_u16_e32 vcc, s8, v42
	v_bfrev_b32_e32 v44, 1
	s_and_saveexec_b64 s[8:9], vcc
	s_cbranch_execz .LBB603_214
; %bb.211:
	s_movk_i32 s10, 0x7f
	v_and_b32_e32 v45, 0x7f, v42
	v_cmp_ne_u32_e32 vcc, s10, v45
	v_mov_b32_e32 v44, 0x7f800001
	s_and_saveexec_b64 s[10:11], vcc
	s_cbranch_execz .LBB603_213
; %bb.212:
	v_and_b32_e32 v44, 7, v42
	v_ffbh_u32_e32 v52, v44
	v_min_u32_e32 v55, 32, v52
	v_subrev_u32_e32 v52, 28, v55
	v_lshlrev_b64 v[52:53], v52, v[42:43]
	v_lshrrev_b32_e32 v54, 3, v45
	v_sub_u32_e32 v42, 29, v55
	v_and_b32_e32 v52, 7, v52
	v_cmp_gt_u32_e32 vcc, 8, v45
	v_cndmask_b32_e32 v42, v54, v42, vcc
	v_cndmask_b32_e32 v44, v44, v52, vcc
	v_lshlrev_b32_e32 v45, 16, v34
	v_bfrev_b32_e32 v52, 60
	v_lshlrev_b32_e32 v44, 20, v44
	v_and_b32_e32 v45, 0x80000000, v45
	v_lshl_add_u32 v42, v42, 23, v52
	v_or3_b32 v44, v45, v42, v44
.LBB603_213:
	s_or_b64 exec, exec, s[10:11]
.LBB603_214:
	s_or_b64 exec, exec, s[8:9]
.LBB603_215:
	s_or_b64 exec, exec, s[2:3]
	s_movk_i32 s2, 0xff
	v_and_b32_sdwa v45, v34, s2 dst_sel:DWORD dst_unused:UNUSED_PAD src0_sel:WORD_1 src1_sel:DWORD
	v_lshrrev_b32_e32 v42, 16, v34
	v_cmp_ne_u16_e32 vcc, 0, v45
	s_and_saveexec_b64 s[2:3], vcc
	s_cbranch_execz .LBB603_221
; %bb.216:
	s_movk_i32 s8, 0x80
	v_cmp_ne_u16_e32 vcc, s8, v45
	v_bfrev_b32_e32 v43, 1
	s_and_saveexec_b64 s[8:9], vcc
	s_cbranch_execz .LBB603_220
; %bb.217:
	v_bfe_u32 v45, v34, 16, 7
	s_movk_i32 s10, 0x7f
	v_cmp_ne_u32_e32 vcc, s10, v45
	v_mov_b32_e32 v43, 0x7f800001
	s_and_saveexec_b64 s[10:11], vcc
	s_cbranch_execz .LBB603_219
; %bb.218:
	v_and_b32_e32 v52, 7, v42
	v_ffbh_u32_e32 v43, v52
	v_min_u32_e32 v54, 32, v43
	v_subrev_u32_e32 v43, 28, v54
	v_lshlrev_b64 v[42:43], v43, v[42:43]
	v_lshrrev_b32_e32 v53, 3, v45
	v_sub_u32_e32 v43, 29, v54
	v_and_b32_e32 v42, 7, v42
	v_cmp_gt_u32_e32 vcc, 8, v45
	v_mov_b32_e32 v45, 24
	v_cndmask_b32_e32 v43, v53, v43, vcc
	v_cndmask_b32_e32 v42, v52, v42, vcc
	v_lshlrev_b32_sdwa v45, v45, v34 dst_sel:DWORD dst_unused:UNUSED_PAD src0_sel:DWORD src1_sel:WORD_1
	v_bfrev_b32_e32 v52, 60
	v_lshlrev_b32_e32 v42, 20, v42
	v_and_b32_e32 v45, 0x80000000, v45
	v_lshl_add_u32 v43, v43, 23, v52
	v_or3_b32 v43, v45, v43, v42
.LBB603_219:
	s_or_b64 exec, exec, s[10:11]
.LBB603_220:
	s_or_b64 exec, exec, s[8:9]
.LBB603_221:
	s_or_b64 exec, exec, s[2:3]
	s_mov_b32 s2, 0xffffff
	v_cmp_lt_u32_e32 vcc, s2, v34
	v_mov_b32_e32 v45, 0
	v_mov_b32_e32 v53, 0
	s_and_saveexec_b64 s[2:3], vcc
	s_cbranch_execz .LBB603_227
; %bb.222:
	v_lshrrev_b32_e32 v42, 24, v34
	s_movk_i32 s8, 0x80
	v_cmp_ne_u32_e32 vcc, s8, v42
	v_bfrev_b32_e32 v53, 1
	s_and_saveexec_b64 s[8:9], vcc
	s_cbranch_execz .LBB603_226
; %bb.223:
	v_bfe_u32 v34, v34, 24, 7
	s_movk_i32 s10, 0x7f
	v_cmp_ne_u32_e32 vcc, s10, v34
	v_mov_b32_e32 v53, 0x7f800001
	s_and_saveexec_b64 s[10:11], vcc
	s_cbranch_execz .LBB603_225
; %bb.224:
	v_and_b32_e32 v54, 7, v42
	v_ffbh_u32_e32 v52, v54
	v_min_u32_e32 v56, 32, v52
	v_subrev_u32_e32 v52, 28, v56
	v_lshlrev_b64 v[52:53], v52, v[42:43]
	v_lshrrev_b32_e32 v55, 3, v34
	v_sub_u32_e32 v53, 29, v56
	v_and_b32_e32 v52, 7, v52
	v_cmp_gt_u32_e32 vcc, 8, v34
	v_cndmask_b32_e32 v34, v55, v53, vcc
	v_cndmask_b32_e32 v52, v54, v52, vcc
	v_lshlrev_b32_e32 v42, 24, v42
	v_bfrev_b32_e32 v53, 60
	v_lshlrev_b32_e32 v52, 20, v52
	v_and_b32_e32 v42, 0x80000000, v42
	v_lshl_add_u32 v34, v34, 23, v53
	v_or3_b32 v53, v42, v34, v52
.LBB603_225:
	s_or_b64 exec, exec, s[10:11]
.LBB603_226:
	s_or_b64 exec, exec, s[8:9]
.LBB603_227:
	s_or_b64 exec, exec, s[2:3]
	v_cmp_ne_u16_sdwa s[8:9], v35, v45 src0_sel:BYTE_0 src1_sel:DWORD
	s_and_saveexec_b64 s[2:3], s[8:9]
	s_cbranch_execz .LBB603_233
; %bb.228:
	s_movk_i32 s8, 0x80
	v_cmp_ne_u16_sdwa s[10:11], v35, s8 src0_sel:BYTE_0 src1_sel:DWORD
	v_bfrev_b32_e32 v45, 1
	s_and_saveexec_b64 s[8:9], s[10:11]
	s_cbranch_execz .LBB603_232
; %bb.229:
	s_movk_i32 s10, 0x7f
	v_and_b32_e32 v34, 0x7f, v35
	v_cmp_ne_u32_e32 vcc, s10, v34
	v_mov_b32_e32 v45, 0x7f800001
	s_and_saveexec_b64 s[10:11], vcc
	s_cbranch_execz .LBB603_231
; %bb.230:
	v_and_b32_e32 v45, 7, v35
	v_ffbh_u32_e32 v54, v45
	v_min_u32_e32 v56, 32, v54
	v_mov_b32_e32 v42, v35
	v_subrev_u32_e32 v54, 28, v56
	v_lshlrev_b64 v[54:55], v54, v[42:43]
	v_lshrrev_b32_e32 v52, 3, v34
	v_sub_u32_e32 v42, 29, v56
	v_and_b32_e32 v54, 7, v54
	v_cmp_gt_u32_e32 vcc, 8, v34
	v_cndmask_b32_e32 v34, v52, v42, vcc
	v_cndmask_b32_e32 v42, v45, v54, vcc
	v_lshlrev_b32_e32 v45, 24, v35
	v_bfrev_b32_e32 v52, 60
	v_lshlrev_b32_e32 v42, 20, v42
	v_and_b32_e32 v45, 0x80000000, v45
	v_lshl_add_u32 v34, v34, 23, v52
	v_or3_b32 v45, v45, v34, v42
.LBB603_231:
	s_or_b64 exec, exec, s[10:11]
.LBB603_232:
	s_or_b64 exec, exec, s[8:9]
.LBB603_233:
	s_or_b64 exec, exec, s[2:3]
	v_lshrrev_b16_e32 v34, 8, v35
	v_cmp_ne_u16_e32 vcc, 0, v34
	v_mov_b32_e32 v42, 0
	v_mov_b32_e32 v54, 0
	s_and_saveexec_b64 s[2:3], vcc
	s_cbranch_execz .LBB603_239
; %bb.234:
	s_movk_i32 s8, 0x80
	v_cmp_ne_u16_e32 vcc, s8, v34
	v_bfrev_b32_e32 v54, 1
	s_and_saveexec_b64 s[8:9], vcc
	s_cbranch_execz .LBB603_238
; %bb.235:
	s_movk_i32 s10, 0x7f
	v_and_b32_e32 v52, 0x7f, v34
	v_cmp_ne_u32_e32 vcc, s10, v52
	v_mov_b32_e32 v54, 0x7f800001
	s_and_saveexec_b64 s[10:11], vcc
	s_cbranch_execz .LBB603_237
; %bb.236:
	v_and_b32_e32 v56, 7, v34
	v_ffbh_u32_e32 v54, v56
	v_min_u32_e32 v58, 32, v54
	v_subrev_u32_e32 v54, 28, v58
	v_lshlrev_b64 v[54:55], v54, v[34:35]
	v_lshrrev_b32_e32 v57, 3, v52
	v_sub_u32_e32 v34, 29, v58
	v_and_b32_e32 v54, 7, v54
	v_cmp_gt_u32_e32 vcc, 8, v52
	v_cndmask_b32_e32 v34, v57, v34, vcc
	v_cndmask_b32_e32 v52, v56, v54, vcc
	v_lshlrev_b32_e32 v54, 16, v35
	v_bfrev_b32_e32 v55, 60
	v_lshlrev_b32_e32 v52, 20, v52
	v_and_b32_e32 v54, 0x80000000, v54
	v_lshl_add_u32 v34, v34, 23, v55
	v_or3_b32 v54, v54, v34, v52
.LBB603_237:
	s_or_b64 exec, exec, s[10:11]
.LBB603_238:
	s_or_b64 exec, exec, s[8:9]
.LBB603_239:
	s_or_b64 exec, exec, s[2:3]
	s_movk_i32 s2, 0xff
	v_and_b32_sdwa v52, v35, s2 dst_sel:DWORD dst_unused:UNUSED_PAD src0_sel:WORD_1 src1_sel:DWORD
	v_lshrrev_b32_e32 v34, 16, v35
	v_cmp_ne_u16_e32 vcc, 0, v52
	s_and_saveexec_b64 s[2:3], vcc
	s_cbranch_execz .LBB603_245
; %bb.240:
	s_movk_i32 s8, 0x80
	v_cmp_ne_u16_e32 vcc, s8, v52
	v_bfrev_b32_e32 v42, 1
	s_and_saveexec_b64 s[8:9], vcc
	s_cbranch_execz .LBB603_244
; %bb.241:
	v_bfe_u32 v52, v35, 16, 7
	s_movk_i32 s10, 0x7f
	v_cmp_ne_u32_e32 vcc, s10, v52
	v_mov_b32_e32 v42, 0x7f800001
	s_and_saveexec_b64 s[10:11], vcc
	s_cbranch_execz .LBB603_243
; %bb.242:
	v_and_b32_e32 v42, 7, v34
	v_ffbh_u32_e32 v56, v42
	v_min_u32_e32 v58, 32, v56
	v_subrev_u32_e32 v56, 28, v58
	v_lshlrev_b64 v[56:57], v56, v[34:35]
	v_lshrrev_b32_e32 v55, 3, v52
	v_sub_u32_e32 v34, 29, v58
	v_and_b32_e32 v56, 7, v56
	v_cmp_gt_u32_e32 vcc, 8, v52
	v_mov_b32_e32 v52, 24
	v_cndmask_b32_e32 v34, v55, v34, vcc
	v_cndmask_b32_e32 v42, v42, v56, vcc
	v_lshlrev_b32_sdwa v52, v52, v35 dst_sel:DWORD dst_unused:UNUSED_PAD src0_sel:DWORD src1_sel:WORD_1
	v_bfrev_b32_e32 v55, 60
	v_lshlrev_b32_e32 v42, 20, v42
	v_and_b32_e32 v52, 0x80000000, v52
	v_lshl_add_u32 v34, v34, 23, v55
	v_or3_b32 v42, v52, v34, v42
.LBB603_243:
	s_or_b64 exec, exec, s[10:11]
.LBB603_244:
	s_or_b64 exec, exec, s[8:9]
.LBB603_245:
	s_or_b64 exec, exec, s[2:3]
	s_mov_b32 s2, 0xffffff
	v_cmp_lt_u32_e32 vcc, s2, v35
	v_mov_b32_e32 v52, 0
	v_mov_b32_e32 v55, 0
	s_and_saveexec_b64 s[2:3], vcc
	s_cbranch_execz .LBB603_251
; %bb.246:
	v_lshrrev_b32_e32 v34, 24, v35
	s_movk_i32 s8, 0x80
	v_cmp_ne_u32_e32 vcc, s8, v34
	v_bfrev_b32_e32 v55, 1
	s_and_saveexec_b64 s[8:9], vcc
	s_cbranch_execz .LBB603_250
; %bb.247:
	v_bfe_u32 v35, v35, 24, 7
	s_movk_i32 s10, 0x7f
	v_cmp_ne_u32_e32 vcc, s10, v35
	v_mov_b32_e32 v55, 0x7f800001
	s_and_saveexec_b64 s[10:11], vcc
	s_cbranch_execz .LBB603_249
; %bb.248:
	v_and_b32_e32 v55, 7, v34
	v_ffbh_u32_e32 v56, v55
	v_min_u32_e32 v59, 32, v56
	v_subrev_u32_e32 v56, 28, v59
	v_lshlrev_b64 v[56:57], v56, v[34:35]
	v_lshrrev_b32_e32 v58, 3, v35
	v_sub_u32_e32 v57, 29, v59
	v_and_b32_e32 v56, 7, v56
	v_cmp_gt_u32_e32 vcc, 8, v35
	v_cndmask_b32_e32 v35, v58, v57, vcc
	v_cndmask_b32_e32 v55, v55, v56, vcc
	v_lshlrev_b32_e32 v34, 24, v34
	v_bfrev_b32_e32 v56, 60
	v_lshlrev_b32_e32 v55, 20, v55
	v_and_b32_e32 v34, 0x80000000, v34
	v_lshl_add_u32 v35, v35, 23, v56
	v_or3_b32 v55, v34, v35, v55
.LBB603_249:
	s_or_b64 exec, exec, s[10:11]
.LBB603_250:
	s_or_b64 exec, exec, s[8:9]
.LBB603_251:
	s_or_b64 exec, exec, s[2:3]
	v_cvt_pkrtz_f16_f32 v34, v51, v44
	v_cvt_pkrtz_f16_f32 v35, v43, v53
	v_cmp_ne_u16_sdwa s[8:9], v36, v52 src0_sel:BYTE_0 src1_sel:DWORD
	s_nop 0
	v_mfma_f32_16x16x16f16 v[56:59], v[34:35], v[26:27], 0
	v_cvt_pkrtz_f16_f32 v34, v45, v54
	v_cvt_pkrtz_f16_f32 v35, v42, v55
	s_nop 1
	v_mfma_f32_16x16x16f16 v[42:45], v[34:35], v[28:29], v[56:59]
	s_and_saveexec_b64 s[2:3], s[8:9]
	s_cbranch_execz .LBB603_257
; %bb.252:
	s_movk_i32 s8, 0x80
	v_cmp_ne_u16_sdwa s[10:11], v36, s8 src0_sel:BYTE_0 src1_sel:DWORD
	v_bfrev_b32_e32 v52, 1
	s_and_saveexec_b64 s[8:9], s[10:11]
	s_cbranch_execz .LBB603_256
; %bb.253:
	s_movk_i32 s10, 0x7f
	v_and_b32_e32 v34, 0x7f, v36
	v_cmp_ne_u32_e32 vcc, s10, v34
	v_mov_b32_e32 v52, 0x7f800001
	s_and_saveexec_b64 s[10:11], vcc
	s_cbranch_execz .LBB603_255
; %bb.254:
	v_and_b32_e32 v35, 7, v36
	v_ffbh_u32_e32 v52, v35
	v_min_u32_e32 v54, 32, v52
	v_subrev_u32_e32 v52, 28, v54
	v_lshlrev_b64 v[52:53], v52, v[36:37]
	v_lshrrev_b32_e32 v51, 3, v34
	v_sub_u32_e32 v53, 29, v54
	v_and_b32_e32 v52, 7, v52
	v_cmp_gt_u32_e32 vcc, 8, v34
	v_cndmask_b32_e32 v34, v51, v53, vcc
	v_cndmask_b32_e32 v35, v35, v52, vcc
	v_lshlrev_b32_e32 v51, 24, v36
	v_bfrev_b32_e32 v52, 60
	v_lshlrev_b32_e32 v35, 20, v35
	v_and_b32_e32 v51, 0x80000000, v51
	v_lshl_add_u32 v34, v34, 23, v52
	v_or3_b32 v52, v51, v34, v35
.LBB603_255:
	s_or_b64 exec, exec, s[10:11]
.LBB603_256:
	s_or_b64 exec, exec, s[8:9]
.LBB603_257:
	s_or_b64 exec, exec, s[2:3]
	v_lshrrev_b16_e32 v34, 8, v36
	v_cmp_ne_u16_e32 vcc, 0, v34
	v_mov_b32_e32 v35, 0
	v_mov_b32_e32 v53, 0
	s_and_saveexec_b64 s[2:3], vcc
	s_cbranch_execz .LBB603_263
; %bb.258:
	s_movk_i32 s8, 0x80
	v_cmp_ne_u16_e32 vcc, s8, v34
	v_bfrev_b32_e32 v53, 1
	s_and_saveexec_b64 s[8:9], vcc
	s_cbranch_execz .LBB603_262
; %bb.259:
	s_movk_i32 s10, 0x7f
	v_and_b32_e32 v51, 0x7f, v34
	v_cmp_ne_u32_e32 vcc, s10, v51
	v_mov_b32_e32 v53, 0x7f800001
	s_and_saveexec_b64 s[10:11], vcc
	s_cbranch_execz .LBB603_261
; %bb.260:
	v_and_b32_e32 v53, 7, v34
	v_ffbh_u32_e32 v54, v53
	v_min_u32_e32 v57, 32, v54
	v_subrev_u32_e32 v54, 28, v57
	v_lshlrev_b64 v[54:55], v54, v[34:35]
	v_lshrrev_b32_e32 v56, 3, v51
	v_sub_u32_e32 v34, 29, v57
	v_and_b32_e32 v54, 7, v54
	v_cmp_gt_u32_e32 vcc, 8, v51
	v_cndmask_b32_e32 v34, v56, v34, vcc
	v_cndmask_b32_e32 v51, v53, v54, vcc
	v_lshlrev_b32_e32 v53, 16, v36
	v_bfrev_b32_e32 v54, 60
	v_lshlrev_b32_e32 v51, 20, v51
	v_and_b32_e32 v53, 0x80000000, v53
	v_lshl_add_u32 v34, v34, 23, v54
	v_or3_b32 v53, v53, v34, v51
.LBB603_261:
	s_or_b64 exec, exec, s[10:11]
.LBB603_262:
	s_or_b64 exec, exec, s[8:9]
.LBB603_263:
	s_or_b64 exec, exec, s[2:3]
	s_movk_i32 s2, 0xff
	v_and_b32_sdwa v51, v36, s2 dst_sel:DWORD dst_unused:UNUSED_PAD src0_sel:WORD_1 src1_sel:DWORD
	v_lshrrev_b32_e32 v34, 16, v36
	v_cmp_ne_u16_e32 vcc, 0, v51
	s_and_saveexec_b64 s[2:3], vcc
	s_cbranch_execz .LBB603_269
; %bb.264:
	s_movk_i32 s8, 0x80
	v_cmp_ne_u16_e32 vcc, s8, v51
	v_bfrev_b32_e32 v35, 1
	s_and_saveexec_b64 s[8:9], vcc
	s_cbranch_execz .LBB603_268
; %bb.265:
	v_bfe_u32 v51, v36, 16, 7
	s_movk_i32 s10, 0x7f
	v_cmp_ne_u32_e32 vcc, s10, v51
	v_mov_b32_e32 v35, 0x7f800001
	s_and_saveexec_b64 s[10:11], vcc
	s_cbranch_execz .LBB603_267
; %bb.266:
	v_and_b32_e32 v54, 7, v34
	v_ffbh_u32_e32 v35, v54
	v_min_u32_e32 v56, 32, v35
	v_subrev_u32_e32 v35, 28, v56
	v_lshlrev_b64 v[34:35], v35, v[34:35]
	v_lshrrev_b32_e32 v55, 3, v51
	v_sub_u32_e32 v35, 29, v56
	v_and_b32_e32 v34, 7, v34
	v_cmp_gt_u32_e32 vcc, 8, v51
	v_mov_b32_e32 v51, 24
	v_cndmask_b32_e32 v35, v55, v35, vcc
	v_cndmask_b32_e32 v34, v54, v34, vcc
	v_lshlrev_b32_sdwa v51, v51, v36 dst_sel:DWORD dst_unused:UNUSED_PAD src0_sel:DWORD src1_sel:WORD_1
	v_bfrev_b32_e32 v54, 60
	v_lshlrev_b32_e32 v34, 20, v34
	v_and_b32_e32 v51, 0x80000000, v51
	v_lshl_add_u32 v35, v35, 23, v54
	v_or3_b32 v35, v51, v35, v34
.LBB603_267:
	s_or_b64 exec, exec, s[10:11]
.LBB603_268:
	s_or_b64 exec, exec, s[8:9]
.LBB603_269:
	s_or_b64 exec, exec, s[2:3]
	s_mov_b32 s2, 0xffffff
	v_cmp_lt_u32_e32 vcc, s2, v36
	v_mov_b32_e32 v54, 0
	v_mov_b32_e32 v55, 0
	s_and_saveexec_b64 s[2:3], vcc
	s_cbranch_execz .LBB603_275
; %bb.270:
	v_lshrrev_b32_e32 v34, 24, v36
	s_movk_i32 s8, 0x80
	v_cmp_ne_u32_e32 vcc, s8, v34
	v_bfrev_b32_e32 v55, 1
	s_and_saveexec_b64 s[8:9], vcc
	s_cbranch_execz .LBB603_274
; %bb.271:
	v_bfe_u32 v36, v36, 24, 7
	s_movk_i32 s10, 0x7f
	v_cmp_ne_u32_e32 vcc, s10, v36
	v_mov_b32_e32 v55, 0x7f800001
	s_and_saveexec_b64 s[10:11], vcc
	s_cbranch_execz .LBB603_273
; %bb.272:
	v_and_b32_e32 v51, 7, v34
	v_ffbh_u32_e32 v56, v51
	v_min_u32_e32 v58, 32, v56
	v_subrev_u32_e32 v56, 28, v58
	v_lshlrev_b64 v[56:57], v56, v[34:35]
	v_lshrrev_b32_e32 v55, 3, v36
	v_sub_u32_e32 v57, 29, v58
	v_and_b32_e32 v56, 7, v56
	v_cmp_gt_u32_e32 vcc, 8, v36
	v_cndmask_b32_e32 v36, v55, v57, vcc
	v_cndmask_b32_e32 v51, v51, v56, vcc
	v_lshlrev_b32_e32 v34, 24, v34
	v_bfrev_b32_e32 v55, 60
	v_lshlrev_b32_e32 v51, 20, v51
	v_and_b32_e32 v34, 0x80000000, v34
	v_lshl_add_u32 v36, v36, 23, v55
	v_or3_b32 v55, v34, v36, v51
.LBB603_273:
	s_or_b64 exec, exec, s[10:11]
.LBB603_274:
	s_or_b64 exec, exec, s[8:9]
.LBB603_275:
	s_or_b64 exec, exec, s[2:3]
	v_cmp_ne_u16_sdwa s[8:9], v37, v54 src0_sel:BYTE_0 src1_sel:DWORD
	s_and_saveexec_b64 s[2:3], s[8:9]
	s_cbranch_execz .LBB603_281
; %bb.276:
	s_movk_i32 s8, 0x80
	v_cmp_ne_u16_sdwa s[10:11], v37, s8 src0_sel:BYTE_0 src1_sel:DWORD
	v_bfrev_b32_e32 v54, 1
	s_and_saveexec_b64 s[8:9], s[10:11]
	s_cbranch_execz .LBB603_280
; %bb.277:
	s_movk_i32 s10, 0x7f
	v_and_b32_e32 v34, 0x7f, v37
	v_cmp_ne_u32_e32 vcc, s10, v34
	v_mov_b32_e32 v54, 0x7f800001
	s_and_saveexec_b64 s[10:11], vcc
	s_cbranch_execz .LBB603_279
; %bb.278:
	v_and_b32_e32 v51, 7, v37
	v_ffbh_u32_e32 v56, v51
	v_min_u32_e32 v58, 32, v56
	v_mov_b32_e32 v36, v37
	v_subrev_u32_e32 v56, 28, v58
	v_lshlrev_b64 v[56:57], v56, v[36:37]
	v_lshrrev_b32_e32 v54, 3, v34
	v_sub_u32_e32 v36, 29, v58
	v_and_b32_e32 v56, 7, v56
	v_cmp_gt_u32_e32 vcc, 8, v34
	v_cndmask_b32_e32 v34, v54, v36, vcc
	v_cndmask_b32_e32 v36, v51, v56, vcc
	v_lshlrev_b32_e32 v51, 24, v37
	v_bfrev_b32_e32 v54, 60
	v_lshlrev_b32_e32 v36, 20, v36
	v_and_b32_e32 v51, 0x80000000, v51
	v_lshl_add_u32 v34, v34, 23, v54
	v_or3_b32 v54, v51, v34, v36
.LBB603_279:
	s_or_b64 exec, exec, s[10:11]
.LBB603_280:
	s_or_b64 exec, exec, s[8:9]
.LBB603_281:
	s_or_b64 exec, exec, s[2:3]
	v_lshrrev_b16_e32 v34, 8, v37
	v_cmp_ne_u16_e32 vcc, 0, v34
	v_mov_b32_e32 v36, 0
	v_mov_b32_e32 v56, 0
	s_and_saveexec_b64 s[2:3], vcc
	s_cbranch_execz .LBB603_287
; %bb.282:
	s_movk_i32 s8, 0x80
	v_cmp_ne_u16_e32 vcc, s8, v34
	v_bfrev_b32_e32 v56, 1
	s_and_saveexec_b64 s[8:9], vcc
	s_cbranch_execz .LBB603_286
; %bb.283:
	s_movk_i32 s10, 0x7f
	v_and_b32_e32 v51, 0x7f, v34
	v_cmp_ne_u32_e32 vcc, s10, v51
	v_mov_b32_e32 v56, 0x7f800001
	s_and_saveexec_b64 s[10:11], vcc
	s_cbranch_execz .LBB603_285
; %bb.284:
	v_and_b32_e32 v58, 7, v34
	v_ffbh_u32_e32 v56, v58
	v_min_u32_e32 v60, 32, v56
	v_subrev_u32_e32 v56, 28, v60
	v_lshlrev_b64 v[56:57], v56, v[34:35]
	v_lshrrev_b32_e32 v59, 3, v51
	v_sub_u32_e32 v34, 29, v60
	v_and_b32_e32 v56, 7, v56
	v_cmp_gt_u32_e32 vcc, 8, v51
	v_cndmask_b32_e32 v34, v59, v34, vcc
	v_cndmask_b32_e32 v51, v58, v56, vcc
	v_lshlrev_b32_e32 v56, 16, v37
	v_bfrev_b32_e32 v57, 60
	v_lshlrev_b32_e32 v51, 20, v51
	v_and_b32_e32 v56, 0x80000000, v56
	v_lshl_add_u32 v34, v34, 23, v57
	v_or3_b32 v56, v56, v34, v51
.LBB603_285:
	s_or_b64 exec, exec, s[10:11]
.LBB603_286:
	s_or_b64 exec, exec, s[8:9]
.LBB603_287:
	s_or_b64 exec, exec, s[2:3]
	s_movk_i32 s2, 0xff
	v_and_b32_sdwa v51, v37, s2 dst_sel:DWORD dst_unused:UNUSED_PAD src0_sel:WORD_1 src1_sel:DWORD
	v_lshrrev_b32_e32 v34, 16, v37
	v_cmp_ne_u16_e32 vcc, 0, v51
	s_and_saveexec_b64 s[2:3], vcc
	s_cbranch_execz .LBB603_293
; %bb.288:
	s_movk_i32 s8, 0x80
	v_cmp_ne_u16_e32 vcc, s8, v51
	v_bfrev_b32_e32 v36, 1
	s_and_saveexec_b64 s[8:9], vcc
	s_cbranch_execz .LBB603_292
; %bb.289:
	v_bfe_u32 v51, v37, 16, 7
	s_movk_i32 s10, 0x7f
	v_cmp_ne_u32_e32 vcc, s10, v51
	v_mov_b32_e32 v36, 0x7f800001
	s_and_saveexec_b64 s[10:11], vcc
	s_cbranch_execz .LBB603_291
; %bb.290:
	v_and_b32_e32 v36, 7, v34
	v_ffbh_u32_e32 v58, v36
	v_min_u32_e32 v60, 32, v58
	v_subrev_u32_e32 v58, 28, v60
	v_lshlrev_b64 v[58:59], v58, v[34:35]
	v_lshrrev_b32_e32 v57, 3, v51
	v_sub_u32_e32 v34, 29, v60
	v_and_b32_e32 v58, 7, v58
	v_cmp_gt_u32_e32 vcc, 8, v51
	v_mov_b32_e32 v51, 24
	v_cndmask_b32_e32 v34, v57, v34, vcc
	v_cndmask_b32_e32 v36, v36, v58, vcc
	v_lshlrev_b32_sdwa v51, v51, v37 dst_sel:DWORD dst_unused:UNUSED_PAD src0_sel:DWORD src1_sel:WORD_1
	v_bfrev_b32_e32 v57, 60
	v_lshlrev_b32_e32 v36, 20, v36
	v_and_b32_e32 v51, 0x80000000, v51
	v_lshl_add_u32 v34, v34, 23, v57
	v_or3_b32 v36, v51, v34, v36
.LBB603_291:
	s_or_b64 exec, exec, s[10:11]
.LBB603_292:
	s_or_b64 exec, exec, s[8:9]
.LBB603_293:
	s_or_b64 exec, exec, s[2:3]
	s_mov_b32 s2, 0xffffff
	v_cmp_lt_u32_e32 vcc, s2, v37
	v_mov_b32_e32 v51, 0
	v_mov_b32_e32 v57, 0
	s_and_saveexec_b64 s[2:3], vcc
	s_cbranch_execz .LBB603_299
; %bb.294:
	v_lshrrev_b32_e32 v34, 24, v37
	s_movk_i32 s8, 0x80
	v_cmp_ne_u32_e32 vcc, s8, v34
	v_bfrev_b32_e32 v57, 1
	s_and_saveexec_b64 s[8:9], vcc
	s_cbranch_execz .LBB603_298
; %bb.295:
	v_bfe_u32 v37, v37, 24, 7
	s_movk_i32 s10, 0x7f
	v_cmp_ne_u32_e32 vcc, s10, v37
	v_mov_b32_e32 v57, 0x7f800001
	s_and_saveexec_b64 s[10:11], vcc
	s_cbranch_execz .LBB603_297
; %bb.296:
	v_and_b32_e32 v57, 7, v34
	v_ffbh_u32_e32 v58, v57
	v_min_u32_e32 v61, 32, v58
	v_subrev_u32_e32 v58, 28, v61
	v_lshlrev_b64 v[58:59], v58, v[34:35]
	v_lshrrev_b32_e32 v60, 3, v37
	v_sub_u32_e32 v59, 29, v61
	v_and_b32_e32 v58, 7, v58
	v_cmp_gt_u32_e32 vcc, 8, v37
	v_cndmask_b32_e32 v37, v60, v59, vcc
	v_cndmask_b32_e32 v57, v57, v58, vcc
	v_lshlrev_b32_e32 v34, 24, v34
	v_bfrev_b32_e32 v58, 60
	v_lshlrev_b32_e32 v57, 20, v57
	v_and_b32_e32 v34, 0x80000000, v34
	v_lshl_add_u32 v37, v37, 23, v58
	v_or3_b32 v57, v34, v37, v57
.LBB603_297:
	s_or_b64 exec, exec, s[10:11]
.LBB603_298:
	s_or_b64 exec, exec, s[8:9]
.LBB603_299:
	s_or_b64 exec, exec, s[2:3]
	v_cvt_pkrtz_f16_f32 v34, v52, v53
	v_cvt_pkrtz_f16_f32 v35, v35, v55
	s_waitcnt vmcnt(4)
	v_cmp_ne_u16_sdwa s[8:9], v22, v51 src0_sel:BYTE_0 src1_sel:DWORD
	v_mfma_f32_16x16x16f16 v[42:45], v[34:35], v[18:19], v[42:45]
	v_cvt_pkrtz_f16_f32 v34, v54, v56
	v_cvt_pkrtz_f16_f32 v35, v36, v57
	s_nop 1
	v_mfma_f32_16x16x16f16 v[34:37], v[34:35], v[20:21], v[42:45]
	s_and_saveexec_b64 s[2:3], s[8:9]
	s_cbranch_execz .LBB603_305
; %bb.300:
	s_movk_i32 s8, 0x80
	v_cmp_ne_u16_sdwa s[10:11], v22, s8 src0_sel:BYTE_0 src1_sel:DWORD
	v_bfrev_b32_e32 v51, 1
	s_and_saveexec_b64 s[8:9], s[10:11]
	s_cbranch_execz .LBB603_304
; %bb.301:
	s_movk_i32 s10, 0x7f
	v_and_b32_e32 v42, 0x7f, v22
	v_cmp_ne_u32_e32 vcc, s10, v42
	v_mov_b32_e32 v51, 0x7f800001
	s_and_saveexec_b64 s[10:11], vcc
	s_cbranch_execz .LBB603_303
; %bb.302:
	v_and_b32_e32 v43, 7, v22
	v_ffbh_u32_e32 v44, v43
	v_min_u32_e32 v52, 32, v44
	v_subrev_u32_e32 v44, 28, v52
	v_lshlrev_b64 v[44:45], v44, v[22:23]
	v_lshrrev_b32_e32 v51, 3, v42
	v_sub_u32_e32 v45, 29, v52
	v_and_b32_e32 v44, 7, v44
	v_cmp_gt_u32_e32 vcc, 8, v42
	v_cndmask_b32_e32 v42, v51, v45, vcc
	v_cndmask_b32_e32 v43, v43, v44, vcc
	v_lshlrev_b32_e32 v44, 24, v22
	v_bfrev_b32_e32 v45, 60
	v_lshlrev_b32_e32 v43, 20, v43
	v_and_b32_e32 v44, 0x80000000, v44
	v_lshl_add_u32 v42, v42, 23, v45
	v_or3_b32 v51, v44, v42, v43
.LBB603_303:
	s_or_b64 exec, exec, s[10:11]
.LBB603_304:
	s_or_b64 exec, exec, s[8:9]
.LBB603_305:
	s_or_b64 exec, exec, s[2:3]
	s_nop 3
	v_lshrrev_b16_e32 v42, 8, v22
	v_cmp_ne_u16_e32 vcc, 0, v42
	v_mov_b32_e32 v43, 0
	v_mov_b32_e32 v44, 0
	s_and_saveexec_b64 s[2:3], vcc
	s_cbranch_execz .LBB603_311
; %bb.306:
	s_movk_i32 s8, 0x80
	v_cmp_ne_u16_e32 vcc, s8, v42
	v_bfrev_b32_e32 v44, 1
	s_and_saveexec_b64 s[8:9], vcc
	s_cbranch_execz .LBB603_310
; %bb.307:
	s_movk_i32 s10, 0x7f
	v_and_b32_e32 v45, 0x7f, v42
	v_cmp_ne_u32_e32 vcc, s10, v45
	v_mov_b32_e32 v44, 0x7f800001
	s_and_saveexec_b64 s[10:11], vcc
	s_cbranch_execz .LBB603_309
; %bb.308:
	v_and_b32_e32 v44, 7, v42
	v_ffbh_u32_e32 v52, v44
	v_min_u32_e32 v55, 32, v52
	v_subrev_u32_e32 v52, 28, v55
	v_lshlrev_b64 v[52:53], v52, v[42:43]
	v_lshrrev_b32_e32 v54, 3, v45
	v_sub_u32_e32 v42, 29, v55
	v_and_b32_e32 v52, 7, v52
	v_cmp_gt_u32_e32 vcc, 8, v45
	v_cndmask_b32_e32 v42, v54, v42, vcc
	v_cndmask_b32_e32 v44, v44, v52, vcc
	v_lshlrev_b32_e32 v45, 16, v22
	v_bfrev_b32_e32 v52, 60
	v_lshlrev_b32_e32 v44, 20, v44
	v_and_b32_e32 v45, 0x80000000, v45
	v_lshl_add_u32 v42, v42, 23, v52
	v_or3_b32 v44, v45, v42, v44
.LBB603_309:
	s_or_b64 exec, exec, s[10:11]
.LBB603_310:
	s_or_b64 exec, exec, s[8:9]
.LBB603_311:
	s_or_b64 exec, exec, s[2:3]
	s_movk_i32 s2, 0xff
	v_and_b32_sdwa v45, v22, s2 dst_sel:DWORD dst_unused:UNUSED_PAD src0_sel:WORD_1 src1_sel:DWORD
	v_lshrrev_b32_e32 v42, 16, v22
	v_cmp_ne_u16_e32 vcc, 0, v45
	s_and_saveexec_b64 s[2:3], vcc
	s_cbranch_execz .LBB603_317
; %bb.312:
	s_movk_i32 s8, 0x80
	v_cmp_ne_u16_e32 vcc, s8, v45
	v_bfrev_b32_e32 v43, 1
	s_and_saveexec_b64 s[8:9], vcc
	s_cbranch_execz .LBB603_316
; %bb.313:
	v_bfe_u32 v45, v22, 16, 7
	s_movk_i32 s10, 0x7f
	v_cmp_ne_u32_e32 vcc, s10, v45
	v_mov_b32_e32 v43, 0x7f800001
	s_and_saveexec_b64 s[10:11], vcc
	s_cbranch_execz .LBB603_315
; %bb.314:
	v_and_b32_e32 v52, 7, v42
	v_ffbh_u32_e32 v43, v52
	v_min_u32_e32 v54, 32, v43
	v_subrev_u32_e32 v43, 28, v54
	v_lshlrev_b64 v[42:43], v43, v[42:43]
	v_lshrrev_b32_e32 v53, 3, v45
	v_sub_u32_e32 v43, 29, v54
	v_and_b32_e32 v42, 7, v42
	v_cmp_gt_u32_e32 vcc, 8, v45
	v_mov_b32_e32 v45, 24
	v_cndmask_b32_e32 v43, v53, v43, vcc
	v_cndmask_b32_e32 v42, v52, v42, vcc
	v_lshlrev_b32_sdwa v45, v45, v22 dst_sel:DWORD dst_unused:UNUSED_PAD src0_sel:DWORD src1_sel:WORD_1
	v_bfrev_b32_e32 v52, 60
	v_lshlrev_b32_e32 v42, 20, v42
	v_and_b32_e32 v45, 0x80000000, v45
	v_lshl_add_u32 v43, v43, 23, v52
	v_or3_b32 v43, v45, v43, v42
.LBB603_315:
	s_or_b64 exec, exec, s[10:11]
.LBB603_316:
	s_or_b64 exec, exec, s[8:9]
.LBB603_317:
	s_or_b64 exec, exec, s[2:3]
	s_mov_b32 s2, 0xffffff
	v_cmp_lt_u32_e32 vcc, s2, v22
	v_mov_b32_e32 v45, 0
	v_mov_b32_e32 v52, 0
	s_and_saveexec_b64 s[2:3], vcc
	s_cbranch_execz .LBB603_323
; %bb.318:
	v_lshrrev_b32_e32 v42, 24, v22
	s_movk_i32 s8, 0x80
	v_cmp_ne_u32_e32 vcc, s8, v42
	v_bfrev_b32_e32 v52, 1
	s_and_saveexec_b64 s[8:9], vcc
	s_cbranch_execz .LBB603_322
; %bb.319:
	v_bfe_u32 v22, v22, 24, 7
	s_movk_i32 s10, 0x7f
	v_cmp_ne_u32_e32 vcc, s10, v22
	v_mov_b32_e32 v52, 0x7f800001
	s_and_saveexec_b64 s[10:11], vcc
	s_cbranch_execz .LBB603_321
; %bb.320:
	v_and_b32_e32 v54, 7, v42
	v_ffbh_u32_e32 v52, v54
	v_min_u32_e32 v56, 32, v52
	v_subrev_u32_e32 v52, 28, v56
	v_lshlrev_b64 v[52:53], v52, v[42:43]
	v_lshrrev_b32_e32 v55, 3, v22
	v_sub_u32_e32 v53, 29, v56
	v_and_b32_e32 v52, 7, v52
	v_cmp_gt_u32_e32 vcc, 8, v22
	v_cndmask_b32_e32 v22, v55, v53, vcc
	v_cndmask_b32_e32 v52, v54, v52, vcc
	v_lshlrev_b32_e32 v42, 24, v42
	v_bfrev_b32_e32 v53, 60
	v_lshlrev_b32_e32 v52, 20, v52
	v_and_b32_e32 v42, 0x80000000, v42
	v_lshl_add_u32 v22, v22, 23, v53
	v_or3_b32 v52, v42, v22, v52
.LBB603_321:
	s_or_b64 exec, exec, s[10:11]
.LBB603_322:
	s_or_b64 exec, exec, s[8:9]
.LBB603_323:
	s_or_b64 exec, exec, s[2:3]
	v_cmp_ne_u16_sdwa s[8:9], v23, v45 src0_sel:BYTE_0 src1_sel:DWORD
	s_and_saveexec_b64 s[2:3], s[8:9]
	s_cbranch_execz .LBB603_329
; %bb.324:
	s_movk_i32 s8, 0x80
	v_cmp_ne_u16_sdwa s[10:11], v23, s8 src0_sel:BYTE_0 src1_sel:DWORD
	v_bfrev_b32_e32 v45, 1
	s_and_saveexec_b64 s[8:9], s[10:11]
	s_cbranch_execz .LBB603_328
; %bb.325:
	s_movk_i32 s10, 0x7f
	v_and_b32_e32 v22, 0x7f, v23
	v_cmp_ne_u32_e32 vcc, s10, v22
	v_mov_b32_e32 v45, 0x7f800001
	s_and_saveexec_b64 s[10:11], vcc
	s_cbranch_execz .LBB603_327
; %bb.326:
	v_and_b32_e32 v45, 7, v23
	v_ffbh_u32_e32 v54, v45
	v_min_u32_e32 v56, 32, v54
	v_mov_b32_e32 v42, v23
	v_subrev_u32_e32 v54, 28, v56
	v_lshlrev_b64 v[54:55], v54, v[42:43]
	v_lshrrev_b32_e32 v53, 3, v22
	v_sub_u32_e32 v42, 29, v56
	v_and_b32_e32 v54, 7, v54
	v_cmp_gt_u32_e32 vcc, 8, v22
	v_cndmask_b32_e32 v22, v53, v42, vcc
	v_cndmask_b32_e32 v42, v45, v54, vcc
	v_lshlrev_b32_e32 v45, 24, v23
	v_bfrev_b32_e32 v53, 60
	v_lshlrev_b32_e32 v42, 20, v42
	v_and_b32_e32 v45, 0x80000000, v45
	v_lshl_add_u32 v22, v22, 23, v53
	v_or3_b32 v45, v45, v22, v42
.LBB603_327:
	s_or_b64 exec, exec, s[10:11]
.LBB603_328:
	s_or_b64 exec, exec, s[8:9]
.LBB603_329:
	s_or_b64 exec, exec, s[2:3]
	v_lshrrev_b16_e32 v22, 8, v23
	v_cmp_ne_u16_e32 vcc, 0, v22
	v_mov_b32_e32 v53, 0
	v_mov_b32_e32 v54, 0
	s_and_saveexec_b64 s[2:3], vcc
	s_cbranch_execz .LBB603_335
; %bb.330:
	s_movk_i32 s8, 0x80
	v_cmp_ne_u16_e32 vcc, s8, v22
	v_bfrev_b32_e32 v54, 1
	s_and_saveexec_b64 s[8:9], vcc
	s_cbranch_execz .LBB603_334
; %bb.331:
	s_movk_i32 s10, 0x7f
	v_and_b32_e32 v42, 0x7f, v22
	v_cmp_ne_u32_e32 vcc, s10, v42
	v_mov_b32_e32 v54, 0x7f800001
	s_and_saveexec_b64 s[10:11], vcc
	s_cbranch_execz .LBB603_333
; %bb.332:
	v_and_b32_e32 v56, 7, v22
	v_ffbh_u32_e32 v54, v56
	v_min_u32_e32 v58, 32, v54
	v_subrev_u32_e32 v54, 28, v58
	v_lshlrev_b64 v[54:55], v54, v[22:23]
	v_lshrrev_b32_e32 v57, 3, v42
	v_sub_u32_e32 v22, 29, v58
	v_and_b32_e32 v54, 7, v54
	v_cmp_gt_u32_e32 vcc, 8, v42
	v_cndmask_b32_e32 v22, v57, v22, vcc
	v_cndmask_b32_e32 v42, v56, v54, vcc
	v_lshlrev_b32_e32 v54, 16, v23
	v_bfrev_b32_e32 v55, 60
	v_lshlrev_b32_e32 v42, 20, v42
	v_and_b32_e32 v54, 0x80000000, v54
	v_lshl_add_u32 v22, v22, 23, v55
	v_or3_b32 v54, v54, v22, v42
.LBB603_333:
	s_or_b64 exec, exec, s[10:11]
.LBB603_334:
	s_or_b64 exec, exec, s[8:9]
.LBB603_335:
	s_or_b64 exec, exec, s[2:3]
	s_movk_i32 s2, 0xff
	v_and_b32_sdwa v42, v23, s2 dst_sel:DWORD dst_unused:UNUSED_PAD src0_sel:WORD_1 src1_sel:DWORD
	v_lshrrev_b32_e32 v22, 16, v23
	v_cmp_ne_u16_e32 vcc, 0, v42
	s_and_saveexec_b64 s[2:3], vcc
	s_cbranch_execz .LBB603_341
; %bb.336:
	s_movk_i32 s8, 0x80
	v_cmp_ne_u16_e32 vcc, s8, v42
	v_bfrev_b32_e32 v53, 1
	s_and_saveexec_b64 s[8:9], vcc
	s_cbranch_execz .LBB603_340
; %bb.337:
	v_bfe_u32 v42, v23, 16, 7
	s_movk_i32 s10, 0x7f
	v_cmp_ne_u32_e32 vcc, s10, v42
	v_mov_b32_e32 v53, 0x7f800001
	s_and_saveexec_b64 s[10:11], vcc
	s_cbranch_execz .LBB603_339
; %bb.338:
	v_and_b32_e32 v53, 7, v22
	v_ffbh_u32_e32 v56, v53
	v_min_u32_e32 v58, 32, v56
	v_subrev_u32_e32 v56, 28, v58
	v_lshlrev_b64 v[56:57], v56, v[22:23]
	v_and_b32_e32 v56, 7, v56
	v_cmp_gt_u32_e32 vcc, 8, v42
	v_lshrrev_b32_e32 v55, 3, v42
	v_sub_u32_e32 v22, 29, v58
	v_cndmask_b32_e32 v42, v53, v56, vcc
	v_mov_b32_e32 v53, 24
	v_cndmask_b32_e32 v22, v55, v22, vcc
	v_lshlrev_b32_sdwa v53, v53, v23 dst_sel:DWORD dst_unused:UNUSED_PAD src0_sel:DWORD src1_sel:WORD_1
	v_bfrev_b32_e32 v55, 60
	v_lshlrev_b32_e32 v42, 20, v42
	v_and_b32_e32 v53, 0x80000000, v53
	v_lshl_add_u32 v22, v22, 23, v55
	v_or3_b32 v53, v53, v22, v42
.LBB603_339:
	s_or_b64 exec, exec, s[10:11]
.LBB603_340:
	s_or_b64 exec, exec, s[8:9]
.LBB603_341:
	s_or_b64 exec, exec, s[2:3]
	s_mov_b32 s2, 0xffffff
	v_cmp_lt_u32_e32 vcc, s2, v23
	v_mov_b32_e32 v42, 0
	v_mov_b32_e32 v55, 0
	s_and_saveexec_b64 s[2:3], vcc
	s_cbranch_execz .LBB603_347
; %bb.342:
	v_lshrrev_b32_e32 v22, 24, v23
	s_movk_i32 s8, 0x80
	v_cmp_ne_u32_e32 vcc, s8, v22
	v_bfrev_b32_e32 v55, 1
	s_and_saveexec_b64 s[8:9], vcc
	s_cbranch_execz .LBB603_346
; %bb.343:
	v_bfe_u32 v23, v23, 24, 7
	s_movk_i32 s10, 0x7f
	v_cmp_ne_u32_e32 vcc, s10, v23
	v_mov_b32_e32 v55, 0x7f800001
	s_and_saveexec_b64 s[10:11], vcc
	s_cbranch_execz .LBB603_345
; %bb.344:
	v_and_b32_e32 v55, 7, v22
	v_ffbh_u32_e32 v56, v55
	v_min_u32_e32 v59, 32, v56
	v_subrev_u32_e32 v56, 28, v59
	v_lshlrev_b64 v[56:57], v56, v[22:23]
	v_lshrrev_b32_e32 v58, 3, v23
	v_sub_u32_e32 v57, 29, v59
	v_and_b32_e32 v56, 7, v56
	v_cmp_gt_u32_e32 vcc, 8, v23
	v_cndmask_b32_e32 v23, v58, v57, vcc
	v_cndmask_b32_e32 v55, v55, v56, vcc
	v_lshlrev_b32_e32 v22, 24, v22
	v_bfrev_b32_e32 v56, 60
	v_lshlrev_b32_e32 v55, 20, v55
	v_and_b32_e32 v22, 0x80000000, v22
	v_lshl_add_u32 v23, v23, 23, v56
	v_or3_b32 v55, v22, v23, v55
.LBB603_345:
	s_or_b64 exec, exec, s[10:11]
.LBB603_346:
	s_or_b64 exec, exec, s[8:9]
.LBB603_347:
	s_or_b64 exec, exec, s[2:3]
	v_cvt_pkrtz_f16_f32 v22, v51, v44
	v_cvt_pkrtz_f16_f32 v23, v43, v52
	v_cmp_ne_u16_sdwa s[8:9], v24, v42 src0_sel:BYTE_0 src1_sel:DWORD
	s_nop 0
	v_mfma_f32_16x16x16f16 v[56:59], v[22:23], v[26:27], 0
	v_cvt_pkrtz_f16_f32 v22, v45, v54
	v_cvt_pkrtz_f16_f32 v23, v53, v55
	s_nop 1
	v_mfma_f32_16x16x16f16 v[26:29], v[22:23], v[28:29], v[56:59]
	s_and_saveexec_b64 s[2:3], s[8:9]
	s_cbranch_execz .LBB603_353
; %bb.348:
	s_movk_i32 s8, 0x80
	v_cmp_ne_u16_sdwa s[10:11], v24, s8 src0_sel:BYTE_0 src1_sel:DWORD
	v_bfrev_b32_e32 v42, 1
	s_and_saveexec_b64 s[8:9], s[10:11]
	s_cbranch_execz .LBB603_352
; %bb.349:
	s_movk_i32 s10, 0x7f
	v_and_b32_e32 v22, 0x7f, v24
	v_cmp_ne_u32_e32 vcc, s10, v22
	v_mov_b32_e32 v42, 0x7f800001
	s_and_saveexec_b64 s[10:11], vcc
	s_cbranch_execz .LBB603_351
; %bb.350:
	v_and_b32_e32 v23, 7, v24
	v_ffbh_u32_e32 v42, v23
	v_min_u32_e32 v45, 32, v42
	v_subrev_u32_e32 v42, 28, v45
	v_lshlrev_b64 v[42:43], v42, v[24:25]
	v_lshrrev_b32_e32 v44, 3, v22
	v_sub_u32_e32 v43, 29, v45
	v_and_b32_e32 v42, 7, v42
	v_cmp_gt_u32_e32 vcc, 8, v22
	v_cndmask_b32_e32 v22, v44, v43, vcc
	v_cndmask_b32_e32 v23, v23, v42, vcc
	v_lshlrev_b32_e32 v42, 24, v24
	v_bfrev_b32_e32 v43, 60
	v_lshlrev_b32_e32 v23, 20, v23
	v_and_b32_e32 v42, 0x80000000, v42
	v_lshl_add_u32 v22, v22, 23, v43
	v_or3_b32 v42, v42, v22, v23
.LBB603_351:
	s_or_b64 exec, exec, s[10:11]
.LBB603_352:
	s_or_b64 exec, exec, s[8:9]
.LBB603_353:
	s_or_b64 exec, exec, s[2:3]
	v_lshrrev_b16_e32 v22, 8, v24
	v_cmp_ne_u16_e32 vcc, 0, v22
	v_mov_b32_e32 v23, 0
	v_mov_b32_e32 v43, 0
	s_and_saveexec_b64 s[2:3], vcc
	s_cbranch_execz .LBB603_359
; %bb.354:
	s_movk_i32 s8, 0x80
	v_cmp_ne_u16_e32 vcc, s8, v22
	v_bfrev_b32_e32 v43, 1
	s_and_saveexec_b64 s[8:9], vcc
	s_cbranch_execz .LBB603_358
; %bb.355:
	s_movk_i32 s10, 0x7f
	v_and_b32_e32 v44, 0x7f, v22
	v_cmp_ne_u32_e32 vcc, s10, v44
	v_mov_b32_e32 v43, 0x7f800001
	s_and_saveexec_b64 s[10:11], vcc
	s_cbranch_execz .LBB603_357
; %bb.356:
	v_and_b32_e32 v43, 7, v22
	v_ffbh_u32_e32 v51, v43
	v_min_u32_e32 v51, 32, v51
	v_subrev_u32_e32 v52, 28, v51
	v_lshlrev_b64 v[52:53], v52, v[22:23]
	v_lshrrev_b32_e32 v45, 3, v44
	v_sub_u32_e32 v22, 29, v51
	v_and_b32_e32 v51, 7, v52
	v_cmp_gt_u32_e32 vcc, 8, v44
	v_cndmask_b32_e32 v22, v45, v22, vcc
	v_cndmask_b32_e32 v43, v43, v51, vcc
	v_lshlrev_b32_e32 v44, 16, v24
	v_bfrev_b32_e32 v45, 60
	v_lshlrev_b32_e32 v43, 20, v43
	v_and_b32_e32 v44, 0x80000000, v44
	v_lshl_add_u32 v22, v22, 23, v45
	v_or3_b32 v43, v44, v22, v43
.LBB603_357:
	s_or_b64 exec, exec, s[10:11]
.LBB603_358:
	s_or_b64 exec, exec, s[8:9]
.LBB603_359:
	s_or_b64 exec, exec, s[2:3]
	s_movk_i32 s2, 0xff
	v_and_b32_sdwa v44, v24, s2 dst_sel:DWORD dst_unused:UNUSED_PAD src0_sel:WORD_1 src1_sel:DWORD
	v_lshrrev_b32_e32 v22, 16, v24
	v_cmp_ne_u16_e32 vcc, 0, v44
	s_and_saveexec_b64 s[2:3], vcc
	s_cbranch_execz .LBB603_365
; %bb.360:
	s_movk_i32 s8, 0x80
	v_cmp_ne_u16_e32 vcc, s8, v44
	v_bfrev_b32_e32 v23, 1
	s_and_saveexec_b64 s[8:9], vcc
	s_cbranch_execz .LBB603_364
; %bb.361:
	v_bfe_u32 v44, v24, 16, 7
	s_movk_i32 s10, 0x7f
	v_cmp_ne_u32_e32 vcc, s10, v44
	v_mov_b32_e32 v23, 0x7f800001
	s_and_saveexec_b64 s[10:11], vcc
	s_cbranch_execz .LBB603_363
; %bb.362:
	v_and_b32_e32 v45, 7, v22
	v_ffbh_u32_e32 v23, v45
	v_min_u32_e32 v52, 32, v23
	v_subrev_u32_e32 v23, 28, v52
	v_lshlrev_b64 v[22:23], v23, v[22:23]
	v_lshrrev_b32_e32 v51, 3, v44
	v_sub_u32_e32 v23, 29, v52
	v_and_b32_e32 v22, 7, v22
	v_cmp_gt_u32_e32 vcc, 8, v44
	v_mov_b32_e32 v44, 24
	v_cndmask_b32_e32 v23, v51, v23, vcc
	v_cndmask_b32_e32 v22, v45, v22, vcc
	v_lshlrev_b32_sdwa v44, v44, v24 dst_sel:DWORD dst_unused:UNUSED_PAD src0_sel:DWORD src1_sel:WORD_1
	v_bfrev_b32_e32 v45, 60
	v_lshlrev_b32_e32 v22, 20, v22
	v_and_b32_e32 v44, 0x80000000, v44
	v_lshl_add_u32 v23, v23, 23, v45
	v_or3_b32 v23, v44, v23, v22
.LBB603_363:
	s_or_b64 exec, exec, s[10:11]
.LBB603_364:
	s_or_b64 exec, exec, s[8:9]
.LBB603_365:
	s_or_b64 exec, exec, s[2:3]
	s_mov_b32 s2, 0xffffff
	v_cmp_lt_u32_e32 vcc, s2, v24
	v_mov_b32_e32 v44, 0
	v_mov_b32_e32 v45, 0
	s_and_saveexec_b64 s[2:3], vcc
	s_cbranch_execz .LBB603_371
; %bb.366:
	v_lshrrev_b32_e32 v22, 24, v24
	s_movk_i32 s8, 0x80
	v_cmp_ne_u32_e32 vcc, s8, v22
	v_bfrev_b32_e32 v45, 1
	s_and_saveexec_b64 s[8:9], vcc
	s_cbranch_execz .LBB603_370
; %bb.367:
	v_bfe_u32 v24, v24, 24, 7
	s_movk_i32 s10, 0x7f
	v_cmp_ne_u32_e32 vcc, s10, v24
	v_mov_b32_e32 v45, 0x7f800001
	s_and_saveexec_b64 s[10:11], vcc
	s_cbranch_execz .LBB603_369
; %bb.368:
	v_and_b32_e32 v45, 7, v22
	v_ffbh_u32_e32 v52, v45
	v_min_u32_e32 v54, 32, v52
	v_subrev_u32_e32 v52, 28, v54
	v_lshlrev_b64 v[52:53], v52, v[22:23]
	v_lshrrev_b32_e32 v51, 3, v24
	v_sub_u32_e32 v53, 29, v54
	v_and_b32_e32 v52, 7, v52
	v_cmp_gt_u32_e32 vcc, 8, v24
	v_cndmask_b32_e32 v24, v51, v53, vcc
	v_cndmask_b32_e32 v45, v45, v52, vcc
	v_lshlrev_b32_e32 v22, 24, v22
	v_bfrev_b32_e32 v51, 60
	v_lshlrev_b32_e32 v45, 20, v45
	v_and_b32_e32 v22, 0x80000000, v22
	v_lshl_add_u32 v24, v24, 23, v51
	v_or3_b32 v45, v22, v24, v45
.LBB603_369:
	s_or_b64 exec, exec, s[10:11]
.LBB603_370:
	s_or_b64 exec, exec, s[8:9]
.LBB603_371:
	s_or_b64 exec, exec, s[2:3]
	v_cmp_ne_u16_sdwa s[8:9], v25, v44 src0_sel:BYTE_0 src1_sel:DWORD
	s_and_saveexec_b64 s[2:3], s[8:9]
	s_cbranch_execz .LBB603_377
; %bb.372:
	s_movk_i32 s8, 0x80
	v_cmp_ne_u16_sdwa s[10:11], v25, s8 src0_sel:BYTE_0 src1_sel:DWORD
	v_bfrev_b32_e32 v44, 1
	s_and_saveexec_b64 s[8:9], s[10:11]
	s_cbranch_execz .LBB603_376
; %bb.373:
	s_movk_i32 s10, 0x7f
	v_and_b32_e32 v22, 0x7f, v25
	v_cmp_ne_u32_e32 vcc, s10, v22
	v_mov_b32_e32 v44, 0x7f800001
	s_and_saveexec_b64 s[10:11], vcc
	s_cbranch_execz .LBB603_375
; %bb.374:
	v_and_b32_e32 v44, 7, v25
	v_ffbh_u32_e32 v52, v44
	v_min_u32_e32 v54, 32, v52
	v_mov_b32_e32 v24, v25
	v_subrev_u32_e32 v52, 28, v54
	v_lshlrev_b64 v[52:53], v52, v[24:25]
	v_lshrrev_b32_e32 v51, 3, v22
	v_sub_u32_e32 v24, 29, v54
	v_and_b32_e32 v52, 7, v52
	v_cmp_gt_u32_e32 vcc, 8, v22
	v_cndmask_b32_e32 v22, v51, v24, vcc
	v_cndmask_b32_e32 v24, v44, v52, vcc
	v_lshlrev_b32_e32 v44, 24, v25
	v_bfrev_b32_e32 v51, 60
	v_lshlrev_b32_e32 v24, 20, v24
	v_and_b32_e32 v44, 0x80000000, v44
	v_lshl_add_u32 v22, v22, 23, v51
	v_or3_b32 v44, v44, v22, v24
.LBB603_375:
	s_or_b64 exec, exec, s[10:11]
.LBB603_376:
	s_or_b64 exec, exec, s[8:9]
.LBB603_377:
	s_or_b64 exec, exec, s[2:3]
	v_lshrrev_b16_e32 v22, 8, v25
	v_cmp_ne_u16_e32 vcc, 0, v22
	v_mov_b32_e32 v24, 0
	v_mov_b32_e32 v52, 0
	s_and_saveexec_b64 s[2:3], vcc
	s_cbranch_execz .LBB603_383
; %bb.378:
	s_movk_i32 s8, 0x80
	v_cmp_ne_u16_e32 vcc, s8, v22
	v_bfrev_b32_e32 v52, 1
	s_and_saveexec_b64 s[8:9], vcc
	s_cbranch_execz .LBB603_382
; %bb.379:
	s_movk_i32 s10, 0x7f
	v_and_b32_e32 v51, 0x7f, v22
	v_cmp_ne_u32_e32 vcc, s10, v51
	v_mov_b32_e32 v52, 0x7f800001
	s_and_saveexec_b64 s[10:11], vcc
	s_cbranch_execz .LBB603_381
; %bb.380:
	v_and_b32_e32 v54, 7, v22
	v_ffbh_u32_e32 v52, v54
	v_min_u32_e32 v56, 32, v52
	v_subrev_u32_e32 v52, 28, v56
	v_lshlrev_b64 v[52:53], v52, v[22:23]
	v_lshrrev_b32_e32 v55, 3, v51
	v_sub_u32_e32 v22, 29, v56
	v_and_b32_e32 v52, 7, v52
	v_cmp_gt_u32_e32 vcc, 8, v51
	v_cndmask_b32_e32 v22, v55, v22, vcc
	v_cndmask_b32_e32 v51, v54, v52, vcc
	v_lshlrev_b32_e32 v52, 16, v25
	v_bfrev_b32_e32 v53, 60
	v_lshlrev_b32_e32 v51, 20, v51
	v_and_b32_e32 v52, 0x80000000, v52
	v_lshl_add_u32 v22, v22, 23, v53
	v_or3_b32 v52, v52, v22, v51
.LBB603_381:
	s_or_b64 exec, exec, s[10:11]
.LBB603_382:
	s_or_b64 exec, exec, s[8:9]
.LBB603_383:
	s_or_b64 exec, exec, s[2:3]
	s_movk_i32 s2, 0xff
	v_and_b32_sdwa v51, v25, s2 dst_sel:DWORD dst_unused:UNUSED_PAD src0_sel:WORD_1 src1_sel:DWORD
	v_lshrrev_b32_e32 v22, 16, v25
	v_cmp_ne_u16_e32 vcc, 0, v51
	s_and_saveexec_b64 s[2:3], vcc
	s_cbranch_execz .LBB603_389
; %bb.384:
	s_movk_i32 s8, 0x80
	v_cmp_ne_u16_e32 vcc, s8, v51
	v_bfrev_b32_e32 v24, 1
	s_and_saveexec_b64 s[8:9], vcc
	s_cbranch_execz .LBB603_388
; %bb.385:
	v_bfe_u32 v51, v25, 16, 7
	s_movk_i32 s10, 0x7f
	v_cmp_ne_u32_e32 vcc, s10, v51
	v_mov_b32_e32 v24, 0x7f800001
	s_and_saveexec_b64 s[10:11], vcc
	s_cbranch_execz .LBB603_387
; %bb.386:
	v_and_b32_e32 v24, 7, v22
	v_ffbh_u32_e32 v54, v24
	v_min_u32_e32 v56, 32, v54
	v_subrev_u32_e32 v54, 28, v56
	v_lshlrev_b64 v[54:55], v54, v[22:23]
	v_lshrrev_b32_e32 v53, 3, v51
	v_sub_u32_e32 v22, 29, v56
	v_and_b32_e32 v54, 7, v54
	v_cmp_gt_u32_e32 vcc, 8, v51
	v_mov_b32_e32 v51, 24
	v_cndmask_b32_e32 v22, v53, v22, vcc
	v_cndmask_b32_e32 v24, v24, v54, vcc
	v_lshlrev_b32_sdwa v51, v51, v25 dst_sel:DWORD dst_unused:UNUSED_PAD src0_sel:DWORD src1_sel:WORD_1
	v_bfrev_b32_e32 v53, 60
	v_lshlrev_b32_e32 v24, 20, v24
	v_and_b32_e32 v51, 0x80000000, v51
	v_lshl_add_u32 v22, v22, 23, v53
	v_or3_b32 v24, v51, v22, v24
.LBB603_387:
	s_or_b64 exec, exec, s[10:11]
.LBB603_388:
	s_or_b64 exec, exec, s[8:9]
.LBB603_389:
	s_or_b64 exec, exec, s[2:3]
	s_mov_b32 s2, 0xffffff
	v_and_b32_e32 v51, 63, v0
	v_cmp_lt_u32_e32 vcc, s2, v25
	v_mov_b32_e32 v53, 0
	s_and_saveexec_b64 s[2:3], vcc
	s_cbranch_execz .LBB603_395
; %bb.390:
	v_lshrrev_b32_e32 v22, 24, v25
	s_movk_i32 s8, 0x80
	v_cmp_ne_u32_e32 vcc, s8, v22
	v_bfrev_b32_e32 v53, 1
	s_and_saveexec_b64 s[8:9], vcc
	s_cbranch_execz .LBB603_394
; %bb.391:
	v_bfe_u32 v25, v25, 24, 7
	s_movk_i32 s10, 0x7f
	v_cmp_ne_u32_e32 vcc, s10, v25
	v_mov_b32_e32 v53, 0x7f800001
	s_and_saveexec_b64 s[10:11], vcc
	s_cbranch_execz .LBB603_393
; %bb.392:
	v_and_b32_e32 v53, 7, v22
	v_ffbh_u32_e32 v54, v53
	v_min_u32_e32 v57, 32, v54
	v_subrev_u32_e32 v54, 28, v57
	v_lshlrev_b64 v[54:55], v54, v[22:23]
	v_lshrrev_b32_e32 v56, 3, v25
	v_sub_u32_e32 v55, 29, v57
	v_and_b32_e32 v54, 7, v54
	v_cmp_gt_u32_e32 vcc, 8, v25
	v_cndmask_b32_e32 v25, v56, v55, vcc
	v_cndmask_b32_e32 v53, v53, v54, vcc
	v_lshlrev_b32_e32 v22, 24, v22
	v_bfrev_b32_e32 v54, 60
	v_lshlrev_b32_e32 v53, 20, v53
	v_and_b32_e32 v22, 0x80000000, v22
	v_lshl_add_u32 v25, v25, 23, v54
	v_or3_b32 v53, v22, v25, v53
.LBB603_393:
	s_or_b64 exec, exec, s[10:11]
.LBB603_394:
	s_or_b64 exec, exec, s[8:9]
.LBB603_395:
	s_or_b64 exec, exec, s[2:3]
	v_cvt_pkrtz_f16_f32 v42, v42, v43
	v_cvt_pkrtz_f16_f32 v43, v23, v45
	s_load_dword s2, s[4:5], 0x1c
	s_mov_b32 s46, 0xff7fffff
	s_waitcnt lgkmcnt(0)
	v_mfma_f32_16x16x16f16 v[26:29], v[42:43], v[18:19], v[26:29]
	v_cvt_pkrtz_f16_f32 v18, v44, v52
	v_cvt_pkrtz_f16_f32 v19, v24, v53
	v_and_b32_e32 v24, 0xc0, v0
	v_mov_b32_e32 v22, s2
	v_add_u32_e32 v24, s20, v24
	v_mul_f32_e32 v54, s12, v22
	v_lshl_or_b32 v42, v1, 2, v24
	v_mfma_f32_16x16x16f16 v[18:21], v[18:19], v[20:21], v[26:29]
	v_pk_mul_f32 v[22:23], v[54:55], v[36:37] op_sel_hi:[0,1]
	v_pk_mul_f32 v[36:37], v[54:55], v[40:41] op_sel_hi:[0,1]
	;; [unrolled: 1-line block ×4, first 2 shown]
	v_mov_b32_e32 v43, 0xff7fffff
	v_cmp_gt_i32_e64 s[26:27], s33, v42
	v_pk_mul_f32 v[38:39], v[54:55], v[38:39] op_sel_hi:[0,1]
	s_nop 3
	v_pk_mul_f32 v[32:33], v[54:55], v[18:19] op_sel_hi:[0,1]
	v_or_b32_e32 v19, 1, v42
	v_cmp_gt_i32_e64 s[28:29], s33, v19
	v_cndmask_b32_e64 v18, v43, v30, s[26:27]
	v_cndmask_b32_e64 v19, v43, v31, s[28:29]
	v_pk_mul_f32 v[24:25], v[54:55], v[20:21] op_sel_hi:[0,1]
	v_max3_f32 v18, v18, s46, v19
	v_or_b32_e32 v19, 2, v42
	v_or_b32_e32 v20, 3, v42
	v_cmp_gt_i32_e64 s[30:31], s33, v19
	v_cmp_gt_i32_e64 s[34:35], s33, v20
	v_cndmask_b32_e64 v19, v43, v40, s[30:31]
	v_cndmask_b32_e64 v20, v43, v41, s[34:35]
	v_max3_f32 v18, v18, v19, v20
	v_or_b32_e32 v19, 16, v42
	v_or_b32_e32 v20, 17, v42
	v_cmp_gt_i32_e64 s[36:37], s33, v19
	v_cmp_gt_i32_e64 s[38:39], s33, v20
	v_cndmask_b32_e64 v19, v43, v38, s[36:37]
	v_cndmask_b32_e64 v20, v43, v39, s[38:39]
	v_max3_f32 v18, v18, v19, v20
	v_or_b32_e32 v19, 18, v42
	v_or_b32_e32 v20, 19, v42
	v_cmp_gt_i32_e64 s[20:21], s33, v19
	v_cmp_gt_i32_e64 s[22:23], s33, v20
	v_cndmask_b32_e64 v19, v43, v36, s[20:21]
	v_cndmask_b32_e64 v20, v43, v37, s[22:23]
	v_max3_f32 v18, v18, v19, v20
	v_or_b32_e32 v19, 32, v42
	v_or_b32_e32 v20, 33, v42
	v_pk_mul_f32 v[34:35], v[54:55], v[34:35] op_sel_hi:[0,1]
	v_cmp_gt_i32_e64 s[16:17], s33, v19
	v_cmp_gt_i32_e64 s[18:19], s33, v20
	v_cndmask_b32_e64 v19, v43, v34, s[16:17]
	v_cndmask_b32_e64 v20, v43, v35, s[18:19]
	v_max3_f32 v18, v18, v19, v20
	v_or_b32_e32 v19, 34, v42
	v_or_b32_e32 v20, 35, v42
	v_cmp_gt_i32_e64 s[12:13], s33, v19
	v_cmp_gt_i32_e64 s[14:15], s33, v20
	v_cndmask_b32_e64 v19, v43, v22, s[12:13]
	v_cndmask_b32_e64 v20, v43, v23, s[14:15]
	v_max3_f32 v18, v18, v19, v20
	v_or_b32_e32 v19, 48, v42
	v_or_b32_e32 v20, 49, v42
	;; [unrolled: 7-line block ×3, first 2 shown]
	v_cmp_gt_i32_e32 vcc, s33, v19
	v_cmp_gt_i32_e64 s[2:3], s33, v20
	v_cndmask_b32_e32 v19, v43, v24, vcc
	v_cndmask_b32_e64 v20, v43, v25, s[2:3]
	v_max3_f32 v18, v18, v19, v20
	v_mbcnt_lo_u32_b32 v19, -1, 0
	v_mbcnt_hi_u32_b32 v19, -1, v19
	v_and_b32_e32 v20, 64, v19
	v_add_u32_e32 v20, 64, v20
	v_xor_b32_e32 v21, 32, v19
	v_cmp_lt_i32_e64 s[40:41], v21, v20
	v_cndmask_b32_e64 v21, v19, v21, s[40:41]
	v_lshlrev_b32_e32 v43, 2, v21
	ds_bpermute_b32 v21, v43, v18
	s_barrier
	s_waitcnt lgkmcnt(0)
	v_max_f32_e32 v21, v21, v21
	v_max_f32_e32 v18, v18, v21
	v_xor_b32_e32 v21, 16, v19
	v_cmp_lt_i32_e64 s[40:41], v21, v20
	v_cndmask_b32_e64 v19, v19, v21, s[40:41]
	v_lshlrev_b32_e32 v44, 2, v19
	ds_bpermute_b32 v19, v44, v18
	s_waitcnt lgkmcnt(0)
	v_max_f32_e32 v19, v19, v19
	v_max_f32_e32 v42, v18, v19
	v_sub_f32_e32 v21, v40, v42
	v_sub_f32_e32 v26, v41, v42
	v_mul_f32_e32 v21, 0x3fb8aa3b, v21
	v_mul_f32_e32 v26, 0x3fb8aa3b, v26
	v_sub_f32_e32 v18, v30, v42
	v_exp_f32_e32 v21, v21
	v_exp_f32_e32 v26, v26
	v_mul_f32_e32 v18, 0x3fb8aa3b, v18
	v_sub_f32_e32 v19, v31, v42
	v_exp_f32_e32 v18, v18
	v_mul_f32_e32 v19, 0x3fb8aa3b, v19
	v_exp_f32_e32 v19, v19
	v_cndmask_b32_e64 v28, 0, v21, s[30:31]
	v_cndmask_b32_e64 v29, 0, v26, s[34:35]
	v_sub_f32_e32 v21, v38, v42
	v_sub_f32_e32 v26, v39, v42
	v_mul_f32_e32 v21, 0x3fb8aa3b, v21
	v_mul_f32_e32 v26, 0x3fb8aa3b, v26
	v_cndmask_b32_e64 v18, 0, v18, s[26:27]
	v_exp_f32_e32 v21, v21
	v_exp_f32_e32 v26, v26
	v_add_f32_e32 v20, 0, v18
	v_cndmask_b32_e64 v19, 0, v19, s[28:29]
	v_add_f32_e32 v20, v20, v19
	v_add_f32_e32 v20, v20, v28
	;; [unrolled: 1-line block ×3, first 2 shown]
	v_cndmask_b32_e64 v20, 0, v21, s[36:37]
	v_cndmask_b32_e64 v21, 0, v26, s[38:39]
	v_sub_f32_e32 v26, v36, v42
	v_mul_f32_e32 v26, 0x3fb8aa3b, v26
	v_exp_f32_e32 v26, v26
	v_sub_f32_e32 v30, v37, v42
	v_add_f32_e32 v27, v27, v20
	v_mul_f32_e32 v30, 0x3fb8aa3b, v30
	v_exp_f32_e32 v31, v30
	v_add_f32_e32 v27, v27, v21
	v_cndmask_b32_e64 v30, 0, v26, s[20:21]
	v_add_f32_e32 v26, v27, v30
	v_sub_f32_e32 v27, v34, v42
	v_mul_f32_e32 v27, 0x3fb8aa3b, v27
	v_sub_f32_e32 v34, v35, v42
	v_exp_f32_e32 v27, v27
	v_mul_f32_e32 v34, 0x3fb8aa3b, v34
	v_sub_f32_e32 v22, v22, v42
	v_exp_f32_e32 v34, v34
	;; [unrolled: 3-line block ×3, first 2 shown]
	v_mul_f32_e32 v23, 0x3fb8aa3b, v23
	v_cndmask_b32_e64 v31, 0, v31, s[22:23]
	v_exp_f32_e32 v23, v23
	v_add_f32_e32 v35, v26, v31
	v_cndmask_b32_e64 v26, 0, v27, s[16:17]
	v_add_f32_e32 v35, v35, v26
	v_cndmask_b32_e64 v27, 0, v34, s[18:19]
	;; [unrolled: 2-line block ×4, first 2 shown]
	v_sub_f32_e32 v23, v32, v42
	v_mul_f32_e32 v23, 0x3fb8aa3b, v23
	v_sub_f32_e32 v32, v33, v42
	v_exp_f32_e32 v23, v23
	v_mul_f32_e32 v32, 0x3fb8aa3b, v32
	v_sub_f32_e32 v24, v24, v42
	v_exp_f32_e32 v32, v32
	;; [unrolled: 3-line block ×3, first 2 shown]
	v_mul_f32_e32 v25, 0x3fb8aa3b, v25
	v_exp_f32_e32 v25, v25
	v_add_f32_e32 v33, v22, v35
	v_cndmask_b32_e64 v22, 0, v23, s[8:9]
	v_add_f32_e32 v33, v33, v22
	v_cndmask_b32_e64 v23, 0, v32, s[10:11]
	v_add_f32_e32 v32, v33, v23
	v_cndmask_b32_e32 v24, 0, v24, vcc
	v_add_f32_e32 v32, v32, v24
	v_cndmask_b32_e64 v25, 0, v25, s[2:3]
	v_add_f32_e32 v32, v32, v25
	ds_bpermute_b32 v33, v43, v32
	v_cmp_gt_u32_e32 vcc, 16, v51
	s_waitcnt lgkmcnt(0)
	v_add_f32_e32 v33, v32, v33
	ds_bpermute_b32 v36, v44, v33
	v_lshlrev_b32_e32 v32, 2, v49
	s_and_saveexec_b64 s[2:3], vcc
	s_cbranch_execz .LBB603_397
; %bb.396:
	s_waitcnt lgkmcnt(0)
	v_add_f32_e32 v33, v33, v36
	v_lshl_or_b32 v36, v50, 6, v32
	ds_write2st64_b32 v36, v42, v33 offset1:1
.LBB603_397:
	s_or_b64 exec, exec, s[2:3]
	s_waitcnt lgkmcnt(0)
	s_barrier
	ds_read2_b32 v[36:37], v32 offset1:16
	ds_read2_b32 v[38:39], v32 offset0:32 offset1:48
	ds_read2_b32 v[40:41], v32 offset0:64 offset1:80
	ds_read2_b32 v[42:43], v32 offset0:96 offset1:112
	s_waitcnt lgkmcnt(0)
	v_max3_f32 v33, v36, s46, v37
	v_max3_f32 v33, v33, v38, v39
	v_sub_f32_e32 v36, v36, v33
	v_mul_f32_e32 v36, 0x3fb8aa3b, v36
	v_exp_f32_e32 v44, v36
	v_sub_f32_e32 v36, v37, v33
	v_mul_f32_e32 v36, 0x3fb8aa3b, v36
	v_exp_f32_e32 v37, v36
	v_sub_f32_e32 v36, v38, v33
	v_mul_f32_e32 v36, 0x3fb8aa3b, v36
	v_sub_f32_e32 v32, v39, v33
	v_exp_f32_e32 v38, v36
	v_mul_f32_e32 v32, 0x3fb8aa3b, v32
	v_exp_f32_e32 v39, v32
	v_fma_f32 v36, v44, v40, 0
	v_fmac_f32_e32 v36, v37, v41
	v_fmac_f32_e32 v36, v38, v42
	;; [unrolled: 1-line block ×3, first 2 shown]
	v_add_f32_e32 v40, 0x358637bd, v36
	v_div_scale_f32 v41, s[2:3], v40, v40, 1.0
	v_rcp_f32_e32 v42, v41
	s_barrier
	s_mul_i32 s12, s45, 14
	v_fma_f32 v43, -v41, v42, 1.0
	v_fmac_f32_e32 v42, v43, v42
	v_div_scale_f32 v43, vcc, 1.0, v40, 1.0
	v_mul_f32_e32 v45, v43, v42
	v_fma_f32 v51, -v41, v45, v43
	v_fmac_f32_e32 v45, v51, v42
	v_fma_f32 v41, -v41, v45, v43
	v_div_fmas_f32 v41, v41, v42, v45
	v_cmp_eq_u32_e32 vcc, 1, v50
	v_cndmask_b32_e32 v37, v44, v37, vcc
	v_cmp_eq_u32_e32 vcc, 2, v50
	v_cndmask_b32_e32 v37, v37, v38, vcc
	v_cmp_eq_u32_e32 vcc, 3, v50
	v_div_fixup_f32 v40, v41, v40, 1.0
	v_cndmask_b32_e32 v37, v37, v39, vcc
	v_mul_f32_e32 v38, v37, v40
	v_pk_mul_f32 v[28:29], v[38:39], v[28:29] op_sel_hi:[0,1]
	v_pk_mul_f32 v[18:19], v[38:39], v[18:19] op_sel_hi:[0,1]
	v_cvt_f16_f32_e32 v18, v18
	v_cvt_f16_f32_e32 v19, v19
	;; [unrolled: 1-line block ×4, first 2 shown]
	v_pk_mul_f32 v[20:21], v[38:39], v[20:21] op_sel_hi:[0,1]
	v_pack_b32_f16 v18, v18, v19
	v_cvt_f16_f32_e32 v20, v20
	v_pack_b32_f16 v19, v28, v29
	v_pk_mul_f32 v[28:29], v[38:39], v[30:31] op_sel_hi:[0,1]
	v_cvt_f16_f32_e32 v21, v21
	v_cvt_f16_f32_e32 v30, v28
	;; [unrolled: 1-line block ×3, first 2 shown]
	v_lshlrev_b32_e32 v37, 3, v1
	v_lshlrev_b32_e32 v28, 11, v50
	v_or3_b32 v28, v28, v48, v37
	v_pack_b32_f16 v20, v20, v21
	v_pack_b32_f16 v21, v30, v29
	ds_write2st64_b64 v28, v[18:19], v[20:21] offset1:1
	v_pk_mul_f32 v[18:19], v[38:39], v[34:35] op_sel_hi:[0,1]
	v_pk_mul_f32 v[20:21], v[38:39], v[26:27] op_sel_hi:[0,1]
	v_cvt_f16_f32_e32 v26, v20
	v_cvt_f16_f32_e32 v27, v21
	;; [unrolled: 1-line block ×4, first 2 shown]
	v_pk_mul_f32 v[18:19], v[38:39], v[24:25] op_sel_hi:[0,1]
	v_pk_mul_f32 v[20:21], v[38:39], v[22:23] op_sel_hi:[0,1]
	v_cvt_f16_f32_e32 v20, v20
	v_cvt_f16_f32_e32 v21, v21
	;; [unrolled: 1-line block ×4, first 2 shown]
	v_mov_b32_e32 v32, 0
	v_pack_b32_f16 v18, v26, v27
	v_pack_b32_f16 v19, v29, v30
	;; [unrolled: 1-line block ×4, first 2 shown]
	v_cmp_gt_u32_e32 vcc, 14, v0
	ds_write2st64_b64 v28, v[18:19], v[20:21] offset0:2 offset1:3
	s_and_saveexec_b64 s[2:3], vcc
	s_cbranch_execz .LBB603_399
; %bb.398:
	v_add_co_u32_e32 v20, vcc, s25, v49
	v_addc_co_u32_e64 v21, s[14:15], 0, 0, vcc
	v_mov_b32_e32 v18, s12
	v_mov_b32_e32 v19, 0
	v_mad_u64_u32 v[20:21], s[14:15], s6, v18, v[20:21]
	v_mov_b32_e32 v18, s24
	s_load_dwordx4 s[8:11], s[4:5], 0x58
	s_mul_i32 s7, s7, s12
	v_mad_u64_u32 v[18:19], s[14:15], v20, s44, v[18:19]
	v_add_u32_e32 v21, s7, v21
	v_mov_b32_e32 v20, v19
	v_mad_u64_u32 v[20:21], s[14:15], v21, s44, v[20:21]
	v_mov_b32_e32 v19, v20
	v_lshlrev_b64 v[18:19], 2, v[18:19]
	s_waitcnt lgkmcnt(0)
	v_mov_b32_e32 v21, s11
	v_add_co_u32_e32 v20, vcc, s10, v18
	v_addc_co_u32_e32 v21, vcc, v21, v19, vcc
	global_store_dword v[20:21], v33, off
	v_mov_b32_e32 v20, s9
	v_add_co_u32_e32 v18, vcc, s8, v18
	v_addc_co_u32_e32 v19, vcc, v20, v19, vcc
	global_store_dword v[18:19], v36, off
.LBB603_399:
	s_or_b64 exec, exec, s[2:3]
	v_mov_b32_e32 v19, 0
	s_waitcnt vmcnt(3)
	v_cmp_ne_u16_sdwa s[8:9], v14, v19 src0_sel:BYTE_0 src1_sel:DWORD
	s_waitcnt lgkmcnt(0)
	s_barrier
	s_and_saveexec_b64 s[2:3], s[8:9]
	s_cbranch_execz .LBB603_405
; %bb.400:
	s_movk_i32 s7, 0x80
	v_cmp_ne_u16_sdwa s[10:11], v14, s7 src0_sel:BYTE_0 src1_sel:DWORD
	v_bfrev_b32_e32 v32, 1
	s_and_saveexec_b64 s[8:9], s[10:11]
	s_cbranch_execz .LBB603_404
; %bb.401:
	s_movk_i32 s7, 0x7f
	v_and_b32_e32 v18, 0x7f, v14
	v_cmp_ne_u32_e32 vcc, s7, v18
	v_mov_b32_e32 v32, 0x7f800001
	s_and_saveexec_b64 s[10:11], vcc
	s_cbranch_execz .LBB603_403
; %bb.402:
	v_and_b32_e32 v22, 7, v14
	v_ffbh_u32_e32 v20, v22
	v_min_u32_e32 v24, 32, v20
	v_subrev_u32_e32 v20, 28, v24
	v_lshlrev_b64 v[20:21], v20, v[14:15]
	v_lshrrev_b32_e32 v23, 3, v18
	v_sub_u32_e32 v21, 29, v24
	v_and_b32_e32 v20, 7, v20
	v_cmp_gt_u32_e32 vcc, 8, v18
	v_cndmask_b32_e32 v18, v23, v21, vcc
	v_cndmask_b32_e32 v20, v22, v20, vcc
	v_lshlrev_b32_e32 v21, 24, v14
	v_bfrev_b32_e32 v22, 60
	v_lshlrev_b32_e32 v20, 20, v20
	v_and_b32_e32 v21, 0x80000000, v21
	v_lshl_add_u32 v18, v18, 23, v22
	v_or3_b32 v32, v21, v18, v20
.LBB603_403:
	s_or_b64 exec, exec, s[10:11]
.LBB603_404:
	s_or_b64 exec, exec, s[8:9]
.LBB603_405:
	s_or_b64 exec, exec, s[2:3]
	v_lshrrev_b16_e32 v18, 8, v14
	v_cmp_ne_u16_e32 vcc, 0, v18
	v_mov_b32_e32 v20, 0
	s_and_saveexec_b64 s[2:3], vcc
	s_cbranch_execz .LBB603_411
; %bb.406:
	s_movk_i32 s7, 0x80
	v_cmp_ne_u16_e32 vcc, s7, v18
	v_bfrev_b32_e32 v20, 1
	s_and_saveexec_b64 s[8:9], vcc
	s_cbranch_execz .LBB603_410
; %bb.407:
	s_movk_i32 s7, 0x7f
	v_and_b32_e32 v21, 0x7f, v18
	v_cmp_ne_u32_e32 vcc, s7, v21
	v_mov_b32_e32 v20, 0x7f800001
	s_and_saveexec_b64 s[10:11], vcc
	s_cbranch_execz .LBB603_409
; %bb.408:
	v_and_b32_e32 v20, 7, v18
	v_ffbh_u32_e32 v22, v20
	v_min_u32_e32 v25, 32, v22
	v_subrev_u32_e32 v22, 28, v25
	v_lshlrev_b64 v[22:23], v22, v[18:19]
	v_lshrrev_b32_e32 v24, 3, v21
	v_sub_u32_e32 v18, 29, v25
	v_and_b32_e32 v22, 7, v22
	v_cmp_gt_u32_e32 vcc, 8, v21
	v_cndmask_b32_e32 v18, v24, v18, vcc
	v_cndmask_b32_e32 v20, v20, v22, vcc
	v_lshlrev_b32_e32 v21, 16, v14
	v_bfrev_b32_e32 v22, 60
	v_lshlrev_b32_e32 v20, 20, v20
	v_and_b32_e32 v21, 0x80000000, v21
	v_lshl_add_u32 v18, v18, 23, v22
	v_or3_b32 v20, v21, v18, v20
.LBB603_409:
	s_or_b64 exec, exec, s[10:11]
.LBB603_410:
	s_or_b64 exec, exec, s[8:9]
.LBB603_411:
	s_or_b64 exec, exec, s[2:3]
	s_movk_i32 s2, 0xff
	v_and_b32_sdwa v21, v14, s2 dst_sel:DWORD dst_unused:UNUSED_PAD src0_sel:WORD_1 src1_sel:DWORD
	v_lshrrev_b32_e32 v18, 16, v14
	v_cmp_ne_u16_e32 vcc, 0, v21
	s_and_saveexec_b64 s[2:3], vcc
	s_cbranch_execz .LBB603_417
; %bb.412:
	s_movk_i32 s7, 0x80
	v_cmp_ne_u16_e32 vcc, s7, v21
	v_bfrev_b32_e32 v19, 1
	s_and_saveexec_b64 s[8:9], vcc
	s_cbranch_execz .LBB603_416
; %bb.413:
	v_bfe_u32 v21, v14, 16, 7
	s_movk_i32 s7, 0x7f
	v_cmp_ne_u32_e32 vcc, s7, v21
	v_mov_b32_e32 v19, 0x7f800001
	s_and_saveexec_b64 s[10:11], vcc
	s_cbranch_execz .LBB603_415
; %bb.414:
	v_and_b32_e32 v22, 7, v18
	v_ffbh_u32_e32 v19, v22
	v_min_u32_e32 v24, 32, v19
	v_subrev_u32_e32 v19, 28, v24
	v_lshlrev_b64 v[18:19], v19, v[18:19]
	v_lshrrev_b32_e32 v23, 3, v21
	v_sub_u32_e32 v19, 29, v24
	v_and_b32_e32 v18, 7, v18
	v_cmp_gt_u32_e32 vcc, 8, v21
	v_mov_b32_e32 v21, 24
	v_cndmask_b32_e32 v19, v23, v19, vcc
	v_cndmask_b32_e32 v18, v22, v18, vcc
	v_lshlrev_b32_sdwa v21, v21, v14 dst_sel:DWORD dst_unused:UNUSED_PAD src0_sel:DWORD src1_sel:WORD_1
	v_bfrev_b32_e32 v22, 60
	v_lshlrev_b32_e32 v18, 20, v18
	v_and_b32_e32 v21, 0x80000000, v21
	v_lshl_add_u32 v19, v19, 23, v22
	v_or3_b32 v19, v21, v19, v18
.LBB603_415:
	s_or_b64 exec, exec, s[10:11]
.LBB603_416:
	s_or_b64 exec, exec, s[8:9]
.LBB603_417:
	s_or_b64 exec, exec, s[2:3]
	s_mov_b32 s2, 0xffffff
	v_cmp_lt_u32_e32 vcc, s2, v14
	v_mov_b32_e32 v21, 0
	v_mov_b32_e32 v22, 0
	s_and_saveexec_b64 s[2:3], vcc
	s_cbranch_execz .LBB603_423
; %bb.418:
	v_lshrrev_b32_e32 v18, 24, v14
	s_movk_i32 s7, 0x80
	v_cmp_ne_u32_e32 vcc, s7, v18
	v_bfrev_b32_e32 v22, 1
	s_and_saveexec_b64 s[8:9], vcc
	s_cbranch_execz .LBB603_422
; %bb.419:
	v_bfe_u32 v14, v14, 24, 7
	s_movk_i32 s7, 0x7f
	v_cmp_ne_u32_e32 vcc, s7, v14
	v_mov_b32_e32 v22, 0x7f800001
	s_and_saveexec_b64 s[10:11], vcc
	s_cbranch_execz .LBB603_421
; %bb.420:
	v_and_b32_e32 v24, 7, v18
	v_ffbh_u32_e32 v22, v24
	v_min_u32_e32 v26, 32, v22
	v_subrev_u32_e32 v22, 28, v26
	v_lshlrev_b64 v[22:23], v22, v[18:19]
	v_lshrrev_b32_e32 v25, 3, v14
	v_sub_u32_e32 v23, 29, v26
	v_and_b32_e32 v22, 7, v22
	v_cmp_gt_u32_e32 vcc, 8, v14
	v_cndmask_b32_e32 v14, v25, v23, vcc
	v_cndmask_b32_e32 v22, v24, v22, vcc
	v_lshlrev_b32_e32 v18, 24, v18
	v_bfrev_b32_e32 v23, 60
	v_lshlrev_b32_e32 v22, 20, v22
	v_and_b32_e32 v18, 0x80000000, v18
	v_lshl_add_u32 v14, v14, 23, v23
	v_or3_b32 v22, v18, v14, v22
.LBB603_421:
	s_or_b64 exec, exec, s[10:11]
.LBB603_422:
	s_or_b64 exec, exec, s[8:9]
.LBB603_423:
	s_or_b64 exec, exec, s[2:3]
	v_cmp_ne_u16_sdwa s[8:9], v15, v21 src0_sel:BYTE_0 src1_sel:DWORD
	s_and_saveexec_b64 s[2:3], s[8:9]
	s_cbranch_execz .LBB603_429
; %bb.424:
	s_movk_i32 s7, 0x80
	v_cmp_ne_u16_sdwa s[10:11], v15, s7 src0_sel:BYTE_0 src1_sel:DWORD
	v_bfrev_b32_e32 v21, 1
	s_and_saveexec_b64 s[8:9], s[10:11]
	s_cbranch_execz .LBB603_428
; %bb.425:
	s_movk_i32 s7, 0x7f
	v_and_b32_e32 v14, 0x7f, v15
	v_cmp_ne_u32_e32 vcc, s7, v14
	v_mov_b32_e32 v21, 0x7f800001
	s_and_saveexec_b64 s[10:11], vcc
	s_cbranch_execz .LBB603_427
; %bb.426:
	v_and_b32_e32 v21, 7, v15
	v_ffbh_u32_e32 v24, v21
	v_min_u32_e32 v26, 32, v24
	v_mov_b32_e32 v18, v15
	v_subrev_u32_e32 v24, 28, v26
	v_lshlrev_b64 v[24:25], v24, v[18:19]
	v_lshrrev_b32_e32 v23, 3, v14
	v_sub_u32_e32 v18, 29, v26
	v_and_b32_e32 v24, 7, v24
	v_cmp_gt_u32_e32 vcc, 8, v14
	v_cndmask_b32_e32 v14, v23, v18, vcc
	v_cndmask_b32_e32 v18, v21, v24, vcc
	v_lshlrev_b32_e32 v21, 24, v15
	v_bfrev_b32_e32 v23, 60
	v_lshlrev_b32_e32 v18, 20, v18
	v_and_b32_e32 v21, 0x80000000, v21
	v_lshl_add_u32 v14, v14, 23, v23
	v_or3_b32 v21, v21, v14, v18
.LBB603_427:
	s_or_b64 exec, exec, s[10:11]
.LBB603_428:
	s_or_b64 exec, exec, s[8:9]
.LBB603_429:
	s_or_b64 exec, exec, s[2:3]
	v_lshrrev_b16_e32 v14, 8, v15
	v_cmp_ne_u16_e32 vcc, 0, v14
	v_mov_b32_e32 v18, 0
	v_mov_b32_e32 v24, 0
	s_and_saveexec_b64 s[2:3], vcc
	s_cbranch_execz .LBB603_435
; %bb.430:
	s_movk_i32 s7, 0x80
	v_cmp_ne_u16_e32 vcc, s7, v14
	v_bfrev_b32_e32 v24, 1
	s_and_saveexec_b64 s[8:9], vcc
	s_cbranch_execz .LBB603_434
; %bb.431:
	s_movk_i32 s7, 0x7f
	v_and_b32_e32 v23, 0x7f, v14
	v_cmp_ne_u32_e32 vcc, s7, v23
	v_mov_b32_e32 v24, 0x7f800001
	s_and_saveexec_b64 s[10:11], vcc
	s_cbranch_execz .LBB603_433
; %bb.432:
	v_and_b32_e32 v26, 7, v14
	v_ffbh_u32_e32 v24, v26
	v_min_u32_e32 v29, 32, v24
	v_subrev_u32_e32 v24, 28, v29
	v_lshlrev_b64 v[24:25], v24, v[14:15]
	v_lshrrev_b32_e32 v27, 3, v23
	v_sub_u32_e32 v14, 29, v29
	v_and_b32_e32 v24, 7, v24
	v_cmp_gt_u32_e32 vcc, 8, v23
	v_cndmask_b32_e32 v14, v27, v14, vcc
	v_cndmask_b32_e32 v23, v26, v24, vcc
	v_lshlrev_b32_e32 v24, 16, v15
	v_bfrev_b32_e32 v25, 60
	v_lshlrev_b32_e32 v23, 20, v23
	v_and_b32_e32 v24, 0x80000000, v24
	v_lshl_add_u32 v14, v14, 23, v25
	v_or3_b32 v24, v24, v14, v23
.LBB603_433:
	s_or_b64 exec, exec, s[10:11]
.LBB603_434:
	s_or_b64 exec, exec, s[8:9]
.LBB603_435:
	s_or_b64 exec, exec, s[2:3]
	s_movk_i32 s2, 0xff
	v_and_b32_sdwa v23, v15, s2 dst_sel:DWORD dst_unused:UNUSED_PAD src0_sel:WORD_1 src1_sel:DWORD
	v_lshrrev_b32_e32 v14, 16, v15
	v_cmp_ne_u16_e32 vcc, 0, v23
	s_and_saveexec_b64 s[2:3], vcc
	s_cbranch_execz .LBB603_441
; %bb.436:
	s_movk_i32 s7, 0x80
	v_cmp_ne_u16_e32 vcc, s7, v23
	v_bfrev_b32_e32 v18, 1
	s_and_saveexec_b64 s[8:9], vcc
	s_cbranch_execz .LBB603_440
; %bb.437:
	v_bfe_u32 v23, v15, 16, 7
	s_movk_i32 s7, 0x7f
	v_cmp_ne_u32_e32 vcc, s7, v23
	v_mov_b32_e32 v18, 0x7f800001
	s_and_saveexec_b64 s[10:11], vcc
	s_cbranch_execz .LBB603_439
; %bb.438:
	v_and_b32_e32 v18, 7, v14
	v_ffbh_u32_e32 v26, v18
	v_min_u32_e32 v29, 32, v26
	v_subrev_u32_e32 v26, 28, v29
	v_lshlrev_b64 v[26:27], v26, v[14:15]
	v_lshrrev_b32_e32 v25, 3, v23
	v_sub_u32_e32 v14, 29, v29
	v_and_b32_e32 v26, 7, v26
	v_cmp_gt_u32_e32 vcc, 8, v23
	v_mov_b32_e32 v23, 24
	v_cndmask_b32_e32 v14, v25, v14, vcc
	v_cndmask_b32_e32 v18, v18, v26, vcc
	v_lshlrev_b32_sdwa v23, v23, v15 dst_sel:DWORD dst_unused:UNUSED_PAD src0_sel:DWORD src1_sel:WORD_1
	v_bfrev_b32_e32 v25, 60
	v_lshlrev_b32_e32 v18, 20, v18
	v_and_b32_e32 v23, 0x80000000, v23
	v_lshl_add_u32 v14, v14, 23, v25
	v_or3_b32 v18, v23, v14, v18
.LBB603_439:
	s_or_b64 exec, exec, s[10:11]
.LBB603_440:
	s_or_b64 exec, exec, s[8:9]
.LBB603_441:
	s_or_b64 exec, exec, s[2:3]
	s_mov_b32 s2, 0xffffff
	v_cmp_lt_u32_e32 vcc, s2, v15
	v_mov_b32_e32 v23, 0
	v_mov_b32_e32 v25, 0
	s_and_saveexec_b64 s[2:3], vcc
	s_cbranch_execz .LBB603_447
; %bb.442:
	v_lshrrev_b32_e32 v14, 24, v15
	s_movk_i32 s7, 0x80
	v_cmp_ne_u32_e32 vcc, s7, v14
	v_bfrev_b32_e32 v25, 1
	s_and_saveexec_b64 s[8:9], vcc
	s_cbranch_execz .LBB603_446
; %bb.443:
	v_bfe_u32 v15, v15, 24, 7
	s_movk_i32 s7, 0x7f
	v_cmp_ne_u32_e32 vcc, s7, v15
	v_mov_b32_e32 v25, 0x7f800001
	s_and_saveexec_b64 s[10:11], vcc
	s_cbranch_execz .LBB603_445
; %bb.444:
	v_and_b32_e32 v25, 7, v14
	v_ffbh_u32_e32 v26, v25
	v_min_u32_e32 v30, 32, v26
	v_subrev_u32_e32 v26, 28, v30
	v_lshlrev_b64 v[26:27], v26, v[14:15]
	v_lshrrev_b32_e32 v29, 3, v15
	v_sub_u32_e32 v27, 29, v30
	v_and_b32_e32 v26, 7, v26
	v_cmp_gt_u32_e32 vcc, 8, v15
	v_cndmask_b32_e32 v15, v29, v27, vcc
	v_cndmask_b32_e32 v25, v25, v26, vcc
	v_lshlrev_b32_e32 v14, 24, v14
	v_bfrev_b32_e32 v26, 60
	v_lshlrev_b32_e32 v25, 20, v25
	v_and_b32_e32 v14, 0x80000000, v14
	v_lshl_add_u32 v15, v15, 23, v26
	v_or3_b32 v25, v14, v15, v25
.LBB603_445:
	s_or_b64 exec, exec, s[10:11]
.LBB603_446:
	s_or_b64 exec, exec, s[8:9]
.LBB603_447:
	s_or_b64 exec, exec, s[2:3]
	v_cvt_pkrtz_f16_f32 v15, v19, v22
	v_lshl_or_b32 v22, v1, 9, v48
	v_cvt_pkrtz_f16_f32 v14, v32, v20
	ds_read_b128 v[30:33], v22
	v_cmp_ne_u16_sdwa s[8:9], v16, v23 src0_sel:BYTE_0 src1_sel:DWORD
	s_waitcnt lgkmcnt(0)
	v_mfma_f32_16x16x16f16 v[34:37], v[14:15], v[30:31], 0
	v_cvt_pkrtz_f16_f32 v14, v21, v24
	v_cvt_pkrtz_f16_f32 v15, v18, v25
	s_nop 1
	v_mfma_f32_16x16x16f16 v[18:21], v[14:15], v[32:33], v[34:37]
	s_and_saveexec_b64 s[2:3], s[8:9]
	s_cbranch_execz .LBB603_453
; %bb.448:
	s_movk_i32 s7, 0x80
	v_cmp_ne_u16_sdwa s[10:11], v16, s7 src0_sel:BYTE_0 src1_sel:DWORD
	v_bfrev_b32_e32 v23, 1
	s_and_saveexec_b64 s[8:9], s[10:11]
	s_cbranch_execz .LBB603_452
; %bb.449:
	s_movk_i32 s7, 0x7f
	v_and_b32_e32 v14, 0x7f, v16
	v_cmp_ne_u32_e32 vcc, s7, v14
	v_mov_b32_e32 v23, 0x7f800001
	s_and_saveexec_b64 s[10:11], vcc
	s_cbranch_execz .LBB603_451
; %bb.450:
	v_and_b32_e32 v15, 7, v16
	v_ffbh_u32_e32 v24, v15
	v_min_u32_e32 v26, 32, v24
	v_subrev_u32_e32 v24, 28, v26
	v_lshlrev_b64 v[24:25], v24, v[16:17]
	v_lshrrev_b32_e32 v23, 3, v14
	v_sub_u32_e32 v25, 29, v26
	v_and_b32_e32 v24, 7, v24
	v_cmp_gt_u32_e32 vcc, 8, v14
	v_cndmask_b32_e32 v14, v23, v25, vcc
	v_cndmask_b32_e32 v15, v15, v24, vcc
	v_lshlrev_b32_e32 v23, 24, v16
	v_bfrev_b32_e32 v24, 60
	v_lshlrev_b32_e32 v15, 20, v15
	v_and_b32_e32 v23, 0x80000000, v23
	v_lshl_add_u32 v14, v14, 23, v24
	v_or3_b32 v23, v23, v14, v15
.LBB603_451:
	s_or_b64 exec, exec, s[10:11]
.LBB603_452:
	s_or_b64 exec, exec, s[8:9]
.LBB603_453:
	s_or_b64 exec, exec, s[2:3]
	v_lshrrev_b16_e32 v14, 8, v16
	v_cmp_ne_u16_e32 vcc, 0, v14
	v_mov_b32_e32 v15, 0
	v_mov_b32_e32 v25, 0
	s_and_saveexec_b64 s[2:3], vcc
	s_cbranch_execz .LBB603_459
; %bb.454:
	s_movk_i32 s7, 0x80
	v_cmp_ne_u16_e32 vcc, s7, v14
	v_bfrev_b32_e32 v25, 1
	s_and_saveexec_b64 s[8:9], vcc
	s_cbranch_execz .LBB603_458
; %bb.455:
	s_movk_i32 s7, 0x7f
	v_and_b32_e32 v24, 0x7f, v14
	v_cmp_ne_u32_e32 vcc, s7, v24
	v_mov_b32_e32 v25, 0x7f800001
	s_and_saveexec_b64 s[10:11], vcc
	s_cbranch_execz .LBB603_457
; %bb.456:
	v_and_b32_e32 v25, 7, v14
	v_ffbh_u32_e32 v26, v25
	v_min_u32_e32 v30, 32, v26
	v_subrev_u32_e32 v26, 28, v30
	v_lshlrev_b64 v[26:27], v26, v[14:15]
	v_lshrrev_b32_e32 v29, 3, v24
	v_sub_u32_e32 v14, 29, v30
	v_and_b32_e32 v26, 7, v26
	v_cmp_gt_u32_e32 vcc, 8, v24
	v_cndmask_b32_e32 v14, v29, v14, vcc
	v_cndmask_b32_e32 v24, v25, v26, vcc
	v_lshlrev_b32_e32 v25, 16, v16
	v_bfrev_b32_e32 v26, 60
	v_lshlrev_b32_e32 v24, 20, v24
	v_and_b32_e32 v25, 0x80000000, v25
	v_lshl_add_u32 v14, v14, 23, v26
	v_or3_b32 v25, v25, v14, v24
.LBB603_457:
	s_or_b64 exec, exec, s[10:11]
.LBB603_458:
	s_or_b64 exec, exec, s[8:9]
.LBB603_459:
	s_or_b64 exec, exec, s[2:3]
	s_movk_i32 s2, 0xff
	v_and_b32_sdwa v24, v16, s2 dst_sel:DWORD dst_unused:UNUSED_PAD src0_sel:WORD_1 src1_sel:DWORD
	v_lshrrev_b32_e32 v14, 16, v16
	v_cmp_ne_u16_e32 vcc, 0, v24
	s_and_saveexec_b64 s[2:3], vcc
	s_cbranch_execz .LBB603_465
; %bb.460:
	s_movk_i32 s7, 0x80
	v_cmp_ne_u16_e32 vcc, s7, v24
	v_bfrev_b32_e32 v15, 1
	s_and_saveexec_b64 s[8:9], vcc
	s_cbranch_execz .LBB603_464
; %bb.461:
	v_bfe_u32 v24, v16, 16, 7
	s_movk_i32 s7, 0x7f
	v_cmp_ne_u32_e32 vcc, s7, v24
	v_mov_b32_e32 v15, 0x7f800001
	s_and_saveexec_b64 s[10:11], vcc
	s_cbranch_execz .LBB603_463
; %bb.462:
	v_and_b32_e32 v26, 7, v14
	v_ffbh_u32_e32 v15, v26
	v_min_u32_e32 v29, 32, v15
	v_subrev_u32_e32 v15, 28, v29
	v_lshlrev_b64 v[14:15], v15, v[14:15]
	v_lshrrev_b32_e32 v27, 3, v24
	v_sub_u32_e32 v15, 29, v29
	v_and_b32_e32 v14, 7, v14
	v_cmp_gt_u32_e32 vcc, 8, v24
	v_mov_b32_e32 v24, 24
	v_cndmask_b32_e32 v15, v27, v15, vcc
	v_cndmask_b32_e32 v14, v26, v14, vcc
	v_lshlrev_b32_sdwa v24, v24, v16 dst_sel:DWORD dst_unused:UNUSED_PAD src0_sel:DWORD src1_sel:WORD_1
	v_bfrev_b32_e32 v26, 60
	v_lshlrev_b32_e32 v14, 20, v14
	v_and_b32_e32 v24, 0x80000000, v24
	v_lshl_add_u32 v15, v15, 23, v26
	v_or3_b32 v15, v24, v15, v14
.LBB603_463:
	s_or_b64 exec, exec, s[10:11]
.LBB603_464:
	s_or_b64 exec, exec, s[8:9]
.LBB603_465:
	s_or_b64 exec, exec, s[2:3]
	s_mov_b32 s2, 0xffffff
	v_cmp_lt_u32_e32 vcc, s2, v16
	v_mov_b32_e32 v26, 0
	v_mov_b32_e32 v27, 0
	s_and_saveexec_b64 s[2:3], vcc
	s_cbranch_execz .LBB603_471
; %bb.466:
	v_lshrrev_b32_e32 v14, 24, v16
	s_movk_i32 s7, 0x80
	v_cmp_ne_u32_e32 vcc, s7, v14
	v_bfrev_b32_e32 v27, 1
	s_and_saveexec_b64 s[8:9], vcc
	s_cbranch_execz .LBB603_470
; %bb.467:
	v_bfe_u32 v16, v16, 24, 7
	s_movk_i32 s7, 0x7f
	v_cmp_ne_u32_e32 vcc, s7, v16
	v_mov_b32_e32 v27, 0x7f800001
	s_and_saveexec_b64 s[10:11], vcc
	s_cbranch_execz .LBB603_469
; %bb.468:
	v_and_b32_e32 v24, 7, v14
	v_ffbh_u32_e32 v29, v24
	v_min_u32_e32 v29, 32, v29
	v_subrev_u32_e32 v30, 28, v29
	v_lshlrev_b64 v[30:31], v30, v[14:15]
	v_lshrrev_b32_e32 v27, 3, v16
	v_sub_u32_e32 v29, 29, v29
	v_and_b32_e32 v30, 7, v30
	v_cmp_gt_u32_e32 vcc, 8, v16
	v_cndmask_b32_e32 v16, v27, v29, vcc
	v_cndmask_b32_e32 v24, v24, v30, vcc
	v_lshlrev_b32_e32 v14, 24, v14
	v_bfrev_b32_e32 v27, 60
	v_lshlrev_b32_e32 v24, 20, v24
	v_and_b32_e32 v14, 0x80000000, v14
	v_lshl_add_u32 v16, v16, 23, v27
	v_or3_b32 v27, v14, v16, v24
.LBB603_469:
	s_or_b64 exec, exec, s[10:11]
.LBB603_470:
	s_or_b64 exec, exec, s[8:9]
.LBB603_471:
	s_or_b64 exec, exec, s[2:3]
	v_cmp_ne_u16_sdwa s[8:9], v17, v26 src0_sel:BYTE_0 src1_sel:DWORD
	s_and_saveexec_b64 s[2:3], s[8:9]
	s_cbranch_execz .LBB603_477
; %bb.472:
	s_movk_i32 s7, 0x80
	v_cmp_ne_u16_sdwa s[10:11], v17, s7 src0_sel:BYTE_0 src1_sel:DWORD
	v_bfrev_b32_e32 v26, 1
	s_and_saveexec_b64 s[8:9], s[10:11]
	s_cbranch_execz .LBB603_476
; %bb.473:
	s_movk_i32 s7, 0x7f
	v_and_b32_e32 v14, 0x7f, v17
	v_cmp_ne_u32_e32 vcc, s7, v14
	v_mov_b32_e32 v26, 0x7f800001
	s_and_saveexec_b64 s[10:11], vcc
	s_cbranch_execz .LBB603_475
; %bb.474:
	v_and_b32_e32 v24, 7, v17
	v_ffbh_u32_e32 v29, v24
	v_min_u32_e32 v29, 32, v29
	v_mov_b32_e32 v16, v17
	v_subrev_u32_e32 v30, 28, v29
	v_lshlrev_b64 v[30:31], v30, v[16:17]
	v_lshrrev_b32_e32 v26, 3, v14
	v_sub_u32_e32 v16, 29, v29
	v_and_b32_e32 v29, 7, v30
	v_cmp_gt_u32_e32 vcc, 8, v14
	v_cndmask_b32_e32 v14, v26, v16, vcc
	v_cndmask_b32_e32 v16, v24, v29, vcc
	v_lshlrev_b32_e32 v24, 24, v17
	v_bfrev_b32_e32 v26, 60
	v_lshlrev_b32_e32 v16, 20, v16
	v_and_b32_e32 v24, 0x80000000, v24
	v_lshl_add_u32 v14, v14, 23, v26
	v_or3_b32 v26, v24, v14, v16
.LBB603_475:
	s_or_b64 exec, exec, s[10:11]
.LBB603_476:
	s_or_b64 exec, exec, s[8:9]
.LBB603_477:
	s_or_b64 exec, exec, s[2:3]
	v_lshrrev_b16_e32 v14, 8, v17
	v_cmp_ne_u16_e32 vcc, 0, v14
	v_mov_b32_e32 v16, 0
	v_mov_b32_e32 v29, 0
	s_and_saveexec_b64 s[2:3], vcc
	s_cbranch_execz .LBB603_483
; %bb.478:
	s_movk_i32 s7, 0x80
	v_cmp_ne_u16_e32 vcc, s7, v14
	v_bfrev_b32_e32 v29, 1
	s_and_saveexec_b64 s[8:9], vcc
	s_cbranch_execz .LBB603_482
; %bb.479:
	s_movk_i32 s7, 0x7f
	v_and_b32_e32 v24, 0x7f, v14
	v_cmp_ne_u32_e32 vcc, s7, v24
	v_mov_b32_e32 v29, 0x7f800001
	s_and_saveexec_b64 s[10:11], vcc
	s_cbranch_execz .LBB603_481
; %bb.480:
	v_and_b32_e32 v29, 7, v14
	v_ffbh_u32_e32 v30, v29
	v_min_u32_e32 v33, 32, v30
	v_subrev_u32_e32 v30, 28, v33
	v_lshlrev_b64 v[30:31], v30, v[14:15]
	v_lshrrev_b32_e32 v32, 3, v24
	v_sub_u32_e32 v14, 29, v33
	v_and_b32_e32 v30, 7, v30
	v_cmp_gt_u32_e32 vcc, 8, v24
	v_cndmask_b32_e32 v14, v32, v14, vcc
	v_cndmask_b32_e32 v24, v29, v30, vcc
	v_lshlrev_b32_e32 v29, 16, v17
	v_bfrev_b32_e32 v30, 60
	v_lshlrev_b32_e32 v24, 20, v24
	v_and_b32_e32 v29, 0x80000000, v29
	v_lshl_add_u32 v14, v14, 23, v30
	v_or3_b32 v29, v29, v14, v24
.LBB603_481:
	s_or_b64 exec, exec, s[10:11]
.LBB603_482:
	s_or_b64 exec, exec, s[8:9]
.LBB603_483:
	s_or_b64 exec, exec, s[2:3]
	s_movk_i32 s2, 0xff
	v_and_b32_sdwa v24, v17, s2 dst_sel:DWORD dst_unused:UNUSED_PAD src0_sel:WORD_1 src1_sel:DWORD
	v_lshrrev_b32_e32 v14, 16, v17
	v_cmp_ne_u16_e32 vcc, 0, v24
	s_and_saveexec_b64 s[2:3], vcc
	s_cbranch_execz .LBB603_489
; %bb.484:
	s_movk_i32 s7, 0x80
	v_cmp_ne_u16_e32 vcc, s7, v24
	v_bfrev_b32_e32 v16, 1
	s_and_saveexec_b64 s[8:9], vcc
	s_cbranch_execz .LBB603_488
; %bb.485:
	v_bfe_u32 v24, v17, 16, 7
	s_movk_i32 s7, 0x7f
	v_cmp_ne_u32_e32 vcc, s7, v24
	v_mov_b32_e32 v16, 0x7f800001
	s_and_saveexec_b64 s[10:11], vcc
	s_cbranch_execz .LBB603_487
; %bb.486:
	v_and_b32_e32 v16, 7, v14
	v_ffbh_u32_e32 v30, v16
	v_min_u32_e32 v33, 32, v30
	v_subrev_u32_e32 v30, 28, v33
	v_lshlrev_b64 v[30:31], v30, v[14:15]
	v_lshrrev_b32_e32 v32, 3, v24
	v_sub_u32_e32 v14, 29, v33
	v_and_b32_e32 v30, 7, v30
	v_cmp_gt_u32_e32 vcc, 8, v24
	v_mov_b32_e32 v24, 24
	v_cndmask_b32_e32 v14, v32, v14, vcc
	v_cndmask_b32_e32 v16, v16, v30, vcc
	v_lshlrev_b32_sdwa v24, v24, v17 dst_sel:DWORD dst_unused:UNUSED_PAD src0_sel:DWORD src1_sel:WORD_1
	v_bfrev_b32_e32 v30, 60
	v_lshlrev_b32_e32 v16, 20, v16
	v_and_b32_e32 v24, 0x80000000, v24
	v_lshl_add_u32 v14, v14, 23, v30
	v_or3_b32 v16, v24, v14, v16
.LBB603_487:
	s_or_b64 exec, exec, s[10:11]
.LBB603_488:
	s_or_b64 exec, exec, s[8:9]
.LBB603_489:
	s_or_b64 exec, exec, s[2:3]
	s_mov_b32 s2, 0xffffff
	v_cmp_lt_u32_e32 vcc, s2, v17
	v_mov_b32_e32 v24, 0
	v_mov_b32_e32 v30, 0
	s_and_saveexec_b64 s[2:3], vcc
	s_cbranch_execz .LBB603_495
; %bb.490:
	v_lshrrev_b32_e32 v14, 24, v17
	s_movk_i32 s7, 0x80
	v_cmp_ne_u32_e32 vcc, s7, v14
	v_bfrev_b32_e32 v30, 1
	s_and_saveexec_b64 s[8:9], vcc
	s_cbranch_execz .LBB603_494
; %bb.491:
	v_bfe_u32 v17, v17, 24, 7
	s_movk_i32 s7, 0x7f
	v_cmp_ne_u32_e32 vcc, s7, v17
	v_mov_b32_e32 v30, 0x7f800001
	s_and_saveexec_b64 s[10:11], vcc
	s_cbranch_execz .LBB603_493
; %bb.492:
	v_and_b32_e32 v32, 7, v14
	v_ffbh_u32_e32 v30, v32
	v_min_u32_e32 v34, 32, v30
	v_subrev_u32_e32 v30, 28, v34
	v_lshlrev_b64 v[30:31], v30, v[14:15]
	v_lshrrev_b32_e32 v33, 3, v17
	v_sub_u32_e32 v31, 29, v34
	v_and_b32_e32 v30, 7, v30
	v_cmp_gt_u32_e32 vcc, 8, v17
	v_cndmask_b32_e32 v17, v33, v31, vcc
	v_cndmask_b32_e32 v30, v32, v30, vcc
	v_lshlrev_b32_e32 v14, 24, v14
	v_bfrev_b32_e32 v31, 60
	v_lshlrev_b32_e32 v30, 20, v30
	v_and_b32_e32 v14, 0x80000000, v14
	v_lshl_add_u32 v17, v17, 23, v31
	v_or3_b32 v30, v14, v17, v30
.LBB603_493:
	s_or_b64 exec, exec, s[10:11]
.LBB603_494:
	s_or_b64 exec, exec, s[8:9]
.LBB603_495:
	s_or_b64 exec, exec, s[2:3]
	v_cvt_pkrtz_f16_f32 v14, v23, v25
	v_cvt_pkrtz_f16_f32 v15, v15, v27
	ds_read_b128 v[32:35], v22 offset:16
	s_waitcnt vmcnt(2)
	v_cmp_ne_u16_sdwa s[8:9], v10, v24 src0_sel:BYTE_0 src1_sel:DWORD
	s_waitcnt lgkmcnt(0)
	v_mfma_f32_16x16x16f16 v[18:21], v[14:15], v[32:33], v[18:21]
	v_cvt_pkrtz_f16_f32 v14, v26, v29
	v_cvt_pkrtz_f16_f32 v15, v16, v30
	s_nop 1
	v_mfma_f32_16x16x16f16 v[14:17], v[14:15], v[34:35], v[18:21]
	s_and_saveexec_b64 s[2:3], s[8:9]
	s_cbranch_execz .LBB603_501
; %bb.496:
	s_movk_i32 s7, 0x80
	v_cmp_ne_u16_sdwa s[10:11], v10, s7 src0_sel:BYTE_0 src1_sel:DWORD
	v_bfrev_b32_e32 v24, 1
	s_and_saveexec_b64 s[8:9], s[10:11]
	s_cbranch_execz .LBB603_500
; %bb.497:
	s_movk_i32 s7, 0x7f
	v_and_b32_e32 v18, 0x7f, v10
	v_cmp_ne_u32_e32 vcc, s7, v18
	v_mov_b32_e32 v24, 0x7f800001
	s_and_saveexec_b64 s[10:11], vcc
	s_cbranch_execz .LBB603_499
; %bb.498:
	v_and_b32_e32 v19, 7, v10
	v_ffbh_u32_e32 v20, v19
	v_min_u32_e32 v24, 32, v20
	v_subrev_u32_e32 v20, 28, v24
	v_lshlrev_b64 v[20:21], v20, v[10:11]
	v_lshrrev_b32_e32 v23, 3, v18
	v_sub_u32_e32 v21, 29, v24
	v_and_b32_e32 v20, 7, v20
	v_cmp_gt_u32_e32 vcc, 8, v18
	v_cndmask_b32_e32 v18, v23, v21, vcc
	v_cndmask_b32_e32 v19, v19, v20, vcc
	v_lshlrev_b32_e32 v20, 24, v10
	v_bfrev_b32_e32 v21, 60
	v_lshlrev_b32_e32 v19, 20, v19
	v_and_b32_e32 v20, 0x80000000, v20
	v_lshl_add_u32 v18, v18, 23, v21
	v_or3_b32 v24, v20, v18, v19
.LBB603_499:
	s_or_b64 exec, exec, s[10:11]
.LBB603_500:
	s_or_b64 exec, exec, s[8:9]
.LBB603_501:
	s_or_b64 exec, exec, s[2:3]
	s_nop 3
	v_lshrrev_b16_e32 v18, 8, v10
	v_cmp_ne_u16_e32 vcc, 0, v18
	v_mov_b32_e32 v19, 0
	v_mov_b32_e32 v20, 0
	s_and_saveexec_b64 s[2:3], vcc
	s_cbranch_execz .LBB603_507
; %bb.502:
	s_movk_i32 s7, 0x80
	v_cmp_ne_u16_e32 vcc, s7, v18
	v_bfrev_b32_e32 v20, 1
	s_and_saveexec_b64 s[8:9], vcc
	s_cbranch_execz .LBB603_506
; %bb.503:
	s_movk_i32 s7, 0x7f
	v_and_b32_e32 v21, 0x7f, v18
	v_cmp_ne_u32_e32 vcc, s7, v21
	v_mov_b32_e32 v20, 0x7f800001
	s_and_saveexec_b64 s[10:11], vcc
	s_cbranch_execz .LBB603_505
; %bb.504:
	v_and_b32_e32 v20, 7, v18
	v_ffbh_u32_e32 v25, v20
	v_min_u32_e32 v25, 32, v25
	v_subrev_u32_e32 v26, 28, v25
	v_lshlrev_b64 v[26:27], v26, v[18:19]
	v_lshrrev_b32_e32 v23, 3, v21
	v_sub_u32_e32 v18, 29, v25
	v_and_b32_e32 v25, 7, v26
	v_cmp_gt_u32_e32 vcc, 8, v21
	v_cndmask_b32_e32 v18, v23, v18, vcc
	v_cndmask_b32_e32 v20, v20, v25, vcc
	v_lshlrev_b32_e32 v21, 16, v10
	v_bfrev_b32_e32 v23, 60
	v_lshlrev_b32_e32 v20, 20, v20
	v_and_b32_e32 v21, 0x80000000, v21
	v_lshl_add_u32 v18, v18, 23, v23
	v_or3_b32 v20, v21, v18, v20
.LBB603_505:
	s_or_b64 exec, exec, s[10:11]
.LBB603_506:
	s_or_b64 exec, exec, s[8:9]
.LBB603_507:
	s_or_b64 exec, exec, s[2:3]
	s_movk_i32 s2, 0xff
	v_and_b32_sdwa v21, v10, s2 dst_sel:DWORD dst_unused:UNUSED_PAD src0_sel:WORD_1 src1_sel:DWORD
	v_lshrrev_b32_e32 v18, 16, v10
	v_cmp_ne_u16_e32 vcc, 0, v21
	s_and_saveexec_b64 s[2:3], vcc
	s_cbranch_execz .LBB603_513
; %bb.508:
	s_movk_i32 s7, 0x80
	v_cmp_ne_u16_e32 vcc, s7, v21
	v_bfrev_b32_e32 v19, 1
	s_and_saveexec_b64 s[8:9], vcc
	s_cbranch_execz .LBB603_512
; %bb.509:
	v_bfe_u32 v21, v10, 16, 7
	s_movk_i32 s7, 0x7f
	v_cmp_ne_u32_e32 vcc, s7, v21
	v_mov_b32_e32 v19, 0x7f800001
	s_and_saveexec_b64 s[10:11], vcc
	s_cbranch_execz .LBB603_511
; %bb.510:
	v_and_b32_e32 v23, 7, v18
	v_ffbh_u32_e32 v19, v23
	v_min_u32_e32 v26, 32, v19
	v_subrev_u32_e32 v19, 28, v26
	v_lshlrev_b64 v[18:19], v19, v[18:19]
	v_lshrrev_b32_e32 v25, 3, v21
	v_sub_u32_e32 v19, 29, v26
	v_and_b32_e32 v18, 7, v18
	v_cmp_gt_u32_e32 vcc, 8, v21
	v_mov_b32_e32 v21, 24
	v_cndmask_b32_e32 v19, v25, v19, vcc
	v_cndmask_b32_e32 v18, v23, v18, vcc
	v_lshlrev_b32_sdwa v21, v21, v10 dst_sel:DWORD dst_unused:UNUSED_PAD src0_sel:DWORD src1_sel:WORD_1
	v_bfrev_b32_e32 v23, 60
	v_lshlrev_b32_e32 v18, 20, v18
	v_and_b32_e32 v21, 0x80000000, v21
	v_lshl_add_u32 v19, v19, 23, v23
	v_or3_b32 v19, v21, v19, v18
.LBB603_511:
	s_or_b64 exec, exec, s[10:11]
.LBB603_512:
	s_or_b64 exec, exec, s[8:9]
.LBB603_513:
	s_or_b64 exec, exec, s[2:3]
	s_mov_b32 s2, 0xffffff
	v_cmp_lt_u32_e32 vcc, s2, v10
	v_mov_b32_e32 v21, 0
	v_mov_b32_e32 v23, 0
	s_and_saveexec_b64 s[2:3], vcc
	s_cbranch_execz .LBB603_519
; %bb.514:
	v_lshrrev_b32_e32 v18, 24, v10
	s_movk_i32 s7, 0x80
	v_cmp_ne_u32_e32 vcc, s7, v18
	v_bfrev_b32_e32 v23, 1
	s_and_saveexec_b64 s[8:9], vcc
	s_cbranch_execz .LBB603_518
; %bb.515:
	v_bfe_u32 v10, v10, 24, 7
	s_movk_i32 s7, 0x7f
	v_cmp_ne_u32_e32 vcc, s7, v10
	v_mov_b32_e32 v23, 0x7f800001
	s_and_saveexec_b64 s[10:11], vcc
	s_cbranch_execz .LBB603_517
; %bb.516:
	v_and_b32_e32 v23, 7, v18
	v_ffbh_u32_e32 v26, v23
	v_min_u32_e32 v29, 32, v26
	v_subrev_u32_e32 v26, 28, v29
	v_lshlrev_b64 v[26:27], v26, v[18:19]
	v_lshrrev_b32_e32 v25, 3, v10
	v_sub_u32_e32 v27, 29, v29
	v_and_b32_e32 v26, 7, v26
	v_cmp_gt_u32_e32 vcc, 8, v10
	v_cndmask_b32_e32 v10, v25, v27, vcc
	v_cndmask_b32_e32 v23, v23, v26, vcc
	v_lshlrev_b32_e32 v18, 24, v18
	v_bfrev_b32_e32 v25, 60
	v_lshlrev_b32_e32 v23, 20, v23
	v_and_b32_e32 v18, 0x80000000, v18
	v_lshl_add_u32 v10, v10, 23, v25
	v_or3_b32 v23, v18, v10, v23
.LBB603_517:
	s_or_b64 exec, exec, s[10:11]
.LBB603_518:
	s_or_b64 exec, exec, s[8:9]
.LBB603_519:
	s_or_b64 exec, exec, s[2:3]
	v_cmp_ne_u16_sdwa s[8:9], v11, v21 src0_sel:BYTE_0 src1_sel:DWORD
	s_and_saveexec_b64 s[2:3], s[8:9]
	s_cbranch_execz .LBB603_525
; %bb.520:
	s_movk_i32 s7, 0x80
	v_cmp_ne_u16_sdwa s[10:11], v11, s7 src0_sel:BYTE_0 src1_sel:DWORD
	v_bfrev_b32_e32 v21, 1
	s_and_saveexec_b64 s[8:9], s[10:11]
	s_cbranch_execz .LBB603_524
; %bb.521:
	s_movk_i32 s7, 0x7f
	v_and_b32_e32 v10, 0x7f, v11
	v_cmp_ne_u32_e32 vcc, s7, v10
	v_mov_b32_e32 v21, 0x7f800001
	s_and_saveexec_b64 s[10:11], vcc
	s_cbranch_execz .LBB603_523
; %bb.522:
	v_and_b32_e32 v21, 7, v11
	v_ffbh_u32_e32 v26, v21
	v_min_u32_e32 v29, 32, v26
	v_mov_b32_e32 v18, v11
	v_subrev_u32_e32 v26, 28, v29
	v_lshlrev_b64 v[26:27], v26, v[18:19]
	v_lshrrev_b32_e32 v25, 3, v10
	v_sub_u32_e32 v18, 29, v29
	v_and_b32_e32 v26, 7, v26
	v_cmp_gt_u32_e32 vcc, 8, v10
	v_cndmask_b32_e32 v10, v25, v18, vcc
	v_cndmask_b32_e32 v18, v21, v26, vcc
	v_lshlrev_b32_e32 v21, 24, v11
	v_bfrev_b32_e32 v25, 60
	v_lshlrev_b32_e32 v18, 20, v18
	v_and_b32_e32 v21, 0x80000000, v21
	v_lshl_add_u32 v10, v10, 23, v25
	v_or3_b32 v21, v21, v10, v18
.LBB603_523:
	s_or_b64 exec, exec, s[10:11]
.LBB603_524:
	s_or_b64 exec, exec, s[8:9]
.LBB603_525:
	s_or_b64 exec, exec, s[2:3]
	v_lshrrev_b16_e32 v10, 8, v11
	v_cmp_ne_u16_e32 vcc, 0, v10
	v_mov_b32_e32 v25, 0
	v_mov_b32_e32 v26, 0
	s_and_saveexec_b64 s[2:3], vcc
	s_cbranch_execz .LBB603_531
; %bb.526:
	s_movk_i32 s7, 0x80
	v_cmp_ne_u16_e32 vcc, s7, v10
	v_bfrev_b32_e32 v26, 1
	s_and_saveexec_b64 s[8:9], vcc
	s_cbranch_execz .LBB603_530
; %bb.527:
	s_movk_i32 s7, 0x7f
	v_and_b32_e32 v18, 0x7f, v10
	v_cmp_ne_u32_e32 vcc, s7, v18
	v_mov_b32_e32 v26, 0x7f800001
	s_and_saveexec_b64 s[10:11], vcc
	s_cbranch_execz .LBB603_529
; %bb.528:
	v_and_b32_e32 v29, 7, v10
	v_ffbh_u32_e32 v26, v29
	v_min_u32_e32 v31, 32, v26
	v_subrev_u32_e32 v26, 28, v31
	v_lshlrev_b64 v[26:27], v26, v[10:11]
	v_lshrrev_b32_e32 v30, 3, v18
	v_sub_u32_e32 v10, 29, v31
	v_and_b32_e32 v26, 7, v26
	v_cmp_gt_u32_e32 vcc, 8, v18
	v_cndmask_b32_e32 v10, v30, v10, vcc
	v_cndmask_b32_e32 v18, v29, v26, vcc
	v_lshlrev_b32_e32 v26, 16, v11
	v_bfrev_b32_e32 v27, 60
	v_lshlrev_b32_e32 v18, 20, v18
	v_and_b32_e32 v26, 0x80000000, v26
	v_lshl_add_u32 v10, v10, 23, v27
	v_or3_b32 v26, v26, v10, v18
.LBB603_529:
	s_or_b64 exec, exec, s[10:11]
.LBB603_530:
	s_or_b64 exec, exec, s[8:9]
.LBB603_531:
	s_or_b64 exec, exec, s[2:3]
	s_movk_i32 s2, 0xff
	v_and_b32_sdwa v18, v11, s2 dst_sel:DWORD dst_unused:UNUSED_PAD src0_sel:WORD_1 src1_sel:DWORD
	v_lshrrev_b32_e32 v10, 16, v11
	v_cmp_ne_u16_e32 vcc, 0, v18
	s_and_saveexec_b64 s[2:3], vcc
	s_cbranch_execz .LBB603_537
; %bb.532:
	s_movk_i32 s7, 0x80
	v_cmp_ne_u16_e32 vcc, s7, v18
	v_bfrev_b32_e32 v25, 1
	s_and_saveexec_b64 s[8:9], vcc
	s_cbranch_execz .LBB603_536
; %bb.533:
	v_bfe_u32 v18, v11, 16, 7
	s_movk_i32 s7, 0x7f
	v_cmp_ne_u32_e32 vcc, s7, v18
	v_mov_b32_e32 v25, 0x7f800001
	s_and_saveexec_b64 s[10:11], vcc
	s_cbranch_execz .LBB603_535
; %bb.534:
	v_and_b32_e32 v25, 7, v10
	v_ffbh_u32_e32 v29, v25
	v_min_u32_e32 v29, 32, v29
	v_subrev_u32_e32 v30, 28, v29
	v_lshlrev_b64 v[30:31], v30, v[10:11]
	v_sub_u32_e32 v10, 29, v29
	v_and_b32_e32 v29, 7, v30
	v_cmp_gt_u32_e32 vcc, 8, v18
	v_lshrrev_b32_e32 v27, 3, v18
	v_cndmask_b32_e32 v18, v25, v29, vcc
	v_mov_b32_e32 v25, 24
	v_cndmask_b32_e32 v10, v27, v10, vcc
	v_lshlrev_b32_sdwa v25, v25, v11 dst_sel:DWORD dst_unused:UNUSED_PAD src0_sel:DWORD src1_sel:WORD_1
	v_bfrev_b32_e32 v27, 60
	v_lshlrev_b32_e32 v18, 20, v18
	v_and_b32_e32 v25, 0x80000000, v25
	v_lshl_add_u32 v10, v10, 23, v27
	v_or3_b32 v25, v25, v10, v18
.LBB603_535:
	s_or_b64 exec, exec, s[10:11]
.LBB603_536:
	s_or_b64 exec, exec, s[8:9]
.LBB603_537:
	s_or_b64 exec, exec, s[2:3]
	s_mov_b32 s2, 0xffffff
	v_cmp_lt_u32_e32 vcc, s2, v11
	v_mov_b32_e32 v18, 0
	v_mov_b32_e32 v27, 0
	s_and_saveexec_b64 s[2:3], vcc
	s_cbranch_execz .LBB603_543
; %bb.538:
	v_lshrrev_b32_e32 v10, 24, v11
	s_movk_i32 s7, 0x80
	v_cmp_ne_u32_e32 vcc, s7, v10
	v_bfrev_b32_e32 v27, 1
	s_and_saveexec_b64 s[8:9], vcc
	s_cbranch_execz .LBB603_542
; %bb.539:
	v_bfe_u32 v11, v11, 24, 7
	s_movk_i32 s7, 0x7f
	v_cmp_ne_u32_e32 vcc, s7, v11
	v_mov_b32_e32 v27, 0x7f800001
	s_and_saveexec_b64 s[10:11], vcc
	s_cbranch_execz .LBB603_541
; %bb.540:
	v_and_b32_e32 v27, 7, v10
	v_ffbh_u32_e32 v30, v27
	v_min_u32_e32 v32, 32, v30
	v_subrev_u32_e32 v30, 28, v32
	v_lshlrev_b64 v[30:31], v30, v[10:11]
	v_lshrrev_b32_e32 v29, 3, v11
	v_sub_u32_e32 v31, 29, v32
	v_and_b32_e32 v30, 7, v30
	v_cmp_gt_u32_e32 vcc, 8, v11
	v_cndmask_b32_e32 v11, v29, v31, vcc
	v_cndmask_b32_e32 v27, v27, v30, vcc
	v_lshlrev_b32_e32 v10, 24, v10
	v_bfrev_b32_e32 v29, 60
	v_lshlrev_b32_e32 v27, 20, v27
	v_and_b32_e32 v10, 0x80000000, v10
	v_lshl_add_u32 v11, v11, 23, v29
	v_or3_b32 v27, v10, v11, v27
.LBB603_541:
	s_or_b64 exec, exec, s[10:11]
.LBB603_542:
	s_or_b64 exec, exec, s[8:9]
.LBB603_543:
	s_or_b64 exec, exec, s[2:3]
	v_cvt_pkrtz_f16_f32 v10, v24, v20
	v_cvt_pkrtz_f16_f32 v11, v19, v23
	ds_read_b128 v[30:33], v22 offset:2048
	v_cmp_ne_u16_sdwa s[8:9], v12, v18 src0_sel:BYTE_0 src1_sel:DWORD
	s_waitcnt lgkmcnt(0)
	v_mfma_f32_16x16x16f16 v[14:17], v[10:11], v[30:31], v[14:17]
	v_cvt_pkrtz_f16_f32 v10, v21, v26
	v_cvt_pkrtz_f16_f32 v11, v25, v27
	s_nop 1
	v_mfma_f32_16x16x16f16 v[14:17], v[10:11], v[32:33], v[14:17]
	s_and_saveexec_b64 s[2:3], s[8:9]
	s_cbranch_execz .LBB603_549
; %bb.544:
	s_movk_i32 s7, 0x80
	v_cmp_ne_u16_sdwa s[10:11], v12, s7 src0_sel:BYTE_0 src1_sel:DWORD
	v_bfrev_b32_e32 v18, 1
	s_and_saveexec_b64 s[8:9], s[10:11]
	s_cbranch_execz .LBB603_548
; %bb.545:
	s_movk_i32 s7, 0x7f
	v_and_b32_e32 v10, 0x7f, v12
	v_cmp_ne_u32_e32 vcc, s7, v10
	v_mov_b32_e32 v18, 0x7f800001
	s_and_saveexec_b64 s[10:11], vcc
	s_cbranch_execz .LBB603_547
; %bb.546:
	v_and_b32_e32 v11, 7, v12
	v_ffbh_u32_e32 v18, v11
	v_min_u32_e32 v21, 32, v18
	v_subrev_u32_e32 v18, 28, v21
	v_lshlrev_b64 v[18:19], v18, v[12:13]
	v_lshrrev_b32_e32 v20, 3, v10
	v_sub_u32_e32 v19, 29, v21
	v_and_b32_e32 v18, 7, v18
	v_cmp_gt_u32_e32 vcc, 8, v10
	v_cndmask_b32_e32 v10, v20, v19, vcc
	v_cndmask_b32_e32 v11, v11, v18, vcc
	v_lshlrev_b32_e32 v18, 24, v12
	v_bfrev_b32_e32 v19, 60
	v_lshlrev_b32_e32 v11, 20, v11
	v_and_b32_e32 v18, 0x80000000, v18
	v_lshl_add_u32 v10, v10, 23, v19
	v_or3_b32 v18, v18, v10, v11
.LBB603_547:
	s_or_b64 exec, exec, s[10:11]
.LBB603_548:
	s_or_b64 exec, exec, s[8:9]
.LBB603_549:
	s_or_b64 exec, exec, s[2:3]
	v_lshrrev_b16_e32 v10, 8, v12
	v_cmp_ne_u16_e32 vcc, 0, v10
	v_mov_b32_e32 v11, 0
	v_mov_b32_e32 v20, 0
	s_and_saveexec_b64 s[2:3], vcc
	s_cbranch_execz .LBB603_555
; %bb.550:
	s_movk_i32 s7, 0x80
	v_cmp_ne_u16_e32 vcc, s7, v10
	v_bfrev_b32_e32 v20, 1
	s_and_saveexec_b64 s[8:9], vcc
	s_cbranch_execz .LBB603_554
; %bb.551:
	s_movk_i32 s7, 0x7f
	v_and_b32_e32 v19, 0x7f, v10
	v_cmp_ne_u32_e32 vcc, s7, v19
	v_mov_b32_e32 v20, 0x7f800001
	s_and_saveexec_b64 s[10:11], vcc
	s_cbranch_execz .LBB603_553
; %bb.552:
	v_and_b32_e32 v23, 7, v10
	v_ffbh_u32_e32 v20, v23
	v_min_u32_e32 v25, 32, v20
	v_subrev_u32_e32 v20, 28, v25
	v_lshlrev_b64 v[20:21], v20, v[10:11]
	v_lshrrev_b32_e32 v24, 3, v19
	v_sub_u32_e32 v10, 29, v25
	v_and_b32_e32 v20, 7, v20
	v_cmp_gt_u32_e32 vcc, 8, v19
	v_cndmask_b32_e32 v10, v24, v10, vcc
	v_cndmask_b32_e32 v19, v23, v20, vcc
	v_lshlrev_b32_e32 v20, 16, v12
	v_bfrev_b32_e32 v21, 60
	v_lshlrev_b32_e32 v19, 20, v19
	v_and_b32_e32 v20, 0x80000000, v20
	v_lshl_add_u32 v10, v10, 23, v21
	v_or3_b32 v20, v20, v10, v19
.LBB603_553:
	s_or_b64 exec, exec, s[10:11]
.LBB603_554:
	s_or_b64 exec, exec, s[8:9]
.LBB603_555:
	s_or_b64 exec, exec, s[2:3]
	s_movk_i32 s2, 0xff
	v_and_b32_sdwa v19, v12, s2 dst_sel:DWORD dst_unused:UNUSED_PAD src0_sel:WORD_1 src1_sel:DWORD
	v_lshrrev_b32_e32 v10, 16, v12
	v_cmp_ne_u16_e32 vcc, 0, v19
	s_and_saveexec_b64 s[2:3], vcc
	s_cbranch_execz .LBB603_561
; %bb.556:
	s_movk_i32 s7, 0x80
	v_cmp_ne_u16_e32 vcc, s7, v19
	v_bfrev_b32_e32 v11, 1
	s_and_saveexec_b64 s[8:9], vcc
	s_cbranch_execz .LBB603_560
; %bb.557:
	v_bfe_u32 v19, v12, 16, 7
	s_movk_i32 s7, 0x7f
	v_cmp_ne_u32_e32 vcc, s7, v19
	v_mov_b32_e32 v11, 0x7f800001
	s_and_saveexec_b64 s[10:11], vcc
	s_cbranch_execz .LBB603_559
; %bb.558:
	v_and_b32_e32 v21, 7, v10
	v_ffbh_u32_e32 v11, v21
	v_min_u32_e32 v24, 32, v11
	v_subrev_u32_e32 v11, 28, v24
	v_lshlrev_b64 v[10:11], v11, v[10:11]
	v_lshrrev_b32_e32 v23, 3, v19
	v_sub_u32_e32 v11, 29, v24
	v_and_b32_e32 v10, 7, v10
	v_cmp_gt_u32_e32 vcc, 8, v19
	v_mov_b32_e32 v19, 24
	v_cndmask_b32_e32 v11, v23, v11, vcc
	v_cndmask_b32_e32 v10, v21, v10, vcc
	v_lshlrev_b32_sdwa v19, v19, v12 dst_sel:DWORD dst_unused:UNUSED_PAD src0_sel:DWORD src1_sel:WORD_1
	v_bfrev_b32_e32 v21, 60
	v_lshlrev_b32_e32 v10, 20, v10
	v_and_b32_e32 v19, 0x80000000, v19
	v_lshl_add_u32 v11, v11, 23, v21
	v_or3_b32 v11, v19, v11, v10
.LBB603_559:
	s_or_b64 exec, exec, s[10:11]
.LBB603_560:
	s_or_b64 exec, exec, s[8:9]
.LBB603_561:
	s_or_b64 exec, exec, s[2:3]
	s_mov_b32 s2, 0xffffff
	v_cmp_lt_u32_e32 vcc, s2, v12
	v_mov_b32_e32 v21, 0
	v_mov_b32_e32 v23, 0
	s_and_saveexec_b64 s[2:3], vcc
	s_cbranch_execz .LBB603_567
; %bb.562:
	v_lshrrev_b32_e32 v10, 24, v12
	s_movk_i32 s7, 0x80
	v_cmp_ne_u32_e32 vcc, s7, v10
	v_bfrev_b32_e32 v23, 1
	s_and_saveexec_b64 s[8:9], vcc
	s_cbranch_execz .LBB603_566
; %bb.563:
	v_bfe_u32 v12, v12, 24, 7
	s_movk_i32 s7, 0x7f
	v_cmp_ne_u32_e32 vcc, s7, v12
	v_mov_b32_e32 v23, 0x7f800001
	s_and_saveexec_b64 s[10:11], vcc
	s_cbranch_execz .LBB603_565
; %bb.564:
	v_and_b32_e32 v19, 7, v10
	v_ffbh_u32_e32 v24, v19
	v_min_u32_e32 v26, 32, v24
	v_subrev_u32_e32 v24, 28, v26
	v_lshlrev_b64 v[24:25], v24, v[10:11]
	v_lshrrev_b32_e32 v23, 3, v12
	v_sub_u32_e32 v25, 29, v26
	v_and_b32_e32 v24, 7, v24
	v_cmp_gt_u32_e32 vcc, 8, v12
	v_cndmask_b32_e32 v12, v23, v25, vcc
	v_cndmask_b32_e32 v19, v19, v24, vcc
	v_lshlrev_b32_e32 v10, 24, v10
	v_bfrev_b32_e32 v23, 60
	v_lshlrev_b32_e32 v19, 20, v19
	v_and_b32_e32 v10, 0x80000000, v10
	v_lshl_add_u32 v12, v12, 23, v23
	v_or3_b32 v23, v10, v12, v19
.LBB603_565:
	s_or_b64 exec, exec, s[10:11]
.LBB603_566:
	s_or_b64 exec, exec, s[8:9]
.LBB603_567:
	s_or_b64 exec, exec, s[2:3]
	v_cmp_ne_u16_sdwa s[8:9], v13, v21 src0_sel:BYTE_0 src1_sel:DWORD
	s_and_saveexec_b64 s[2:3], s[8:9]
	s_cbranch_execz .LBB603_573
; %bb.568:
	s_movk_i32 s7, 0x80
	v_cmp_ne_u16_sdwa s[10:11], v13, s7 src0_sel:BYTE_0 src1_sel:DWORD
	v_bfrev_b32_e32 v21, 1
	s_and_saveexec_b64 s[8:9], s[10:11]
	s_cbranch_execz .LBB603_572
; %bb.569:
	s_movk_i32 s7, 0x7f
	v_and_b32_e32 v10, 0x7f, v13
	v_cmp_ne_u32_e32 vcc, s7, v10
	v_mov_b32_e32 v21, 0x7f800001
	s_and_saveexec_b64 s[10:11], vcc
	s_cbranch_execz .LBB603_571
; %bb.570:
	v_and_b32_e32 v19, 7, v13
	v_ffbh_u32_e32 v24, v19
	v_min_u32_e32 v26, 32, v24
	v_mov_b32_e32 v12, v13
	v_subrev_u32_e32 v24, 28, v26
	v_lshlrev_b64 v[24:25], v24, v[12:13]
	v_lshrrev_b32_e32 v21, 3, v10
	v_sub_u32_e32 v12, 29, v26
	v_and_b32_e32 v24, 7, v24
	v_cmp_gt_u32_e32 vcc, 8, v10
	v_cndmask_b32_e32 v10, v21, v12, vcc
	v_cndmask_b32_e32 v12, v19, v24, vcc
	v_lshlrev_b32_e32 v19, 24, v13
	v_bfrev_b32_e32 v21, 60
	v_lshlrev_b32_e32 v12, 20, v12
	v_and_b32_e32 v19, 0x80000000, v19
	v_lshl_add_u32 v10, v10, 23, v21
	v_or3_b32 v21, v19, v10, v12
.LBB603_571:
	s_or_b64 exec, exec, s[10:11]
.LBB603_572:
	s_or_b64 exec, exec, s[8:9]
.LBB603_573:
	s_or_b64 exec, exec, s[2:3]
	v_lshrrev_b16_e32 v10, 8, v13
	v_cmp_ne_u16_e32 vcc, 0, v10
	v_mov_b32_e32 v12, 0
	v_mov_b32_e32 v24, 0
	s_and_saveexec_b64 s[2:3], vcc
	s_cbranch_execz .LBB603_579
; %bb.574:
	s_movk_i32 s7, 0x80
	v_cmp_ne_u16_e32 vcc, s7, v10
	v_bfrev_b32_e32 v24, 1
	s_and_saveexec_b64 s[8:9], vcc
	s_cbranch_execz .LBB603_578
; %bb.575:
	s_movk_i32 s7, 0x7f
	v_and_b32_e32 v19, 0x7f, v10
	v_cmp_ne_u32_e32 vcc, s7, v19
	v_mov_b32_e32 v24, 0x7f800001
	s_and_saveexec_b64 s[10:11], vcc
	s_cbranch_execz .LBB603_577
; %bb.576:
	v_and_b32_e32 v26, 7, v10
	v_ffbh_u32_e32 v24, v26
	v_min_u32_e32 v29, 32, v24
	v_subrev_u32_e32 v24, 28, v29
	v_lshlrev_b64 v[24:25], v24, v[10:11]
	v_lshrrev_b32_e32 v27, 3, v19
	v_sub_u32_e32 v10, 29, v29
	v_and_b32_e32 v24, 7, v24
	v_cmp_gt_u32_e32 vcc, 8, v19
	v_cndmask_b32_e32 v10, v27, v10, vcc
	v_cndmask_b32_e32 v19, v26, v24, vcc
	v_lshlrev_b32_e32 v24, 16, v13
	v_bfrev_b32_e32 v25, 60
	v_lshlrev_b32_e32 v19, 20, v19
	v_and_b32_e32 v24, 0x80000000, v24
	v_lshl_add_u32 v10, v10, 23, v25
	v_or3_b32 v24, v24, v10, v19
.LBB603_577:
	s_or_b64 exec, exec, s[10:11]
.LBB603_578:
	s_or_b64 exec, exec, s[8:9]
.LBB603_579:
	s_or_b64 exec, exec, s[2:3]
	s_movk_i32 s2, 0xff
	v_and_b32_sdwa v19, v13, s2 dst_sel:DWORD dst_unused:UNUSED_PAD src0_sel:WORD_1 src1_sel:DWORD
	v_lshrrev_b32_e32 v10, 16, v13
	v_cmp_ne_u16_e32 vcc, 0, v19
	s_and_saveexec_b64 s[2:3], vcc
	s_cbranch_execz .LBB603_585
; %bb.580:
	s_movk_i32 s7, 0x80
	v_cmp_ne_u16_e32 vcc, s7, v19
	v_bfrev_b32_e32 v12, 1
	s_and_saveexec_b64 s[8:9], vcc
	s_cbranch_execz .LBB603_584
; %bb.581:
	v_bfe_u32 v19, v13, 16, 7
	s_movk_i32 s7, 0x7f
	v_cmp_ne_u32_e32 vcc, s7, v19
	v_mov_b32_e32 v12, 0x7f800001
	s_and_saveexec_b64 s[10:11], vcc
	s_cbranch_execz .LBB603_583
; %bb.582:
	v_and_b32_e32 v12, 7, v10
	v_ffbh_u32_e32 v26, v12
	v_min_u32_e32 v29, 32, v26
	v_subrev_u32_e32 v26, 28, v29
	v_lshlrev_b64 v[26:27], v26, v[10:11]
	v_lshrrev_b32_e32 v25, 3, v19
	v_sub_u32_e32 v10, 29, v29
	v_and_b32_e32 v26, 7, v26
	v_cmp_gt_u32_e32 vcc, 8, v19
	v_mov_b32_e32 v19, 24
	v_cndmask_b32_e32 v10, v25, v10, vcc
	v_cndmask_b32_e32 v12, v12, v26, vcc
	v_lshlrev_b32_sdwa v19, v19, v13 dst_sel:DWORD dst_unused:UNUSED_PAD src0_sel:DWORD src1_sel:WORD_1
	v_bfrev_b32_e32 v25, 60
	v_lshlrev_b32_e32 v12, 20, v12
	v_and_b32_e32 v19, 0x80000000, v19
	v_lshl_add_u32 v10, v10, 23, v25
	v_or3_b32 v12, v19, v10, v12
.LBB603_583:
	s_or_b64 exec, exec, s[10:11]
.LBB603_584:
	s_or_b64 exec, exec, s[8:9]
.LBB603_585:
	s_or_b64 exec, exec, s[2:3]
	s_mov_b32 s2, 0xffffff
	v_cmp_lt_u32_e32 vcc, s2, v13
	v_mov_b32_e32 v19, 0
	v_mov_b32_e32 v25, 0
	s_and_saveexec_b64 s[2:3], vcc
	s_cbranch_execz .LBB603_591
; %bb.586:
	v_lshrrev_b32_e32 v10, 24, v13
	s_movk_i32 s7, 0x80
	v_cmp_ne_u32_e32 vcc, s7, v10
	v_bfrev_b32_e32 v25, 1
	s_and_saveexec_b64 s[8:9], vcc
	s_cbranch_execz .LBB603_590
; %bb.587:
	v_bfe_u32 v13, v13, 24, 7
	s_movk_i32 s7, 0x7f
	v_cmp_ne_u32_e32 vcc, s7, v13
	v_mov_b32_e32 v25, 0x7f800001
	s_and_saveexec_b64 s[10:11], vcc
	s_cbranch_execz .LBB603_589
; %bb.588:
	v_and_b32_e32 v25, 7, v10
	v_ffbh_u32_e32 v26, v25
	v_min_u32_e32 v30, 32, v26
	v_subrev_u32_e32 v26, 28, v30
	v_lshlrev_b64 v[26:27], v26, v[10:11]
	v_lshrrev_b32_e32 v29, 3, v13
	v_sub_u32_e32 v27, 29, v30
	v_and_b32_e32 v26, 7, v26
	v_cmp_gt_u32_e32 vcc, 8, v13
	v_cndmask_b32_e32 v13, v29, v27, vcc
	v_cndmask_b32_e32 v25, v25, v26, vcc
	v_lshlrev_b32_e32 v10, 24, v10
	v_bfrev_b32_e32 v26, 60
	v_lshlrev_b32_e32 v25, 20, v25
	v_and_b32_e32 v10, 0x80000000, v10
	v_lshl_add_u32 v13, v13, 23, v26
	v_or3_b32 v25, v10, v13, v25
.LBB603_589:
	s_or_b64 exec, exec, s[10:11]
.LBB603_590:
	s_or_b64 exec, exec, s[8:9]
.LBB603_591:
	s_or_b64 exec, exec, s[2:3]
	v_cvt_pkrtz_f16_f32 v10, v18, v20
	v_cvt_pkrtz_f16_f32 v11, v11, v23
	ds_read_b128 v[30:33], v22 offset:2064
	s_waitcnt vmcnt(1)
	v_cmp_ne_u16_sdwa s[8:9], v6, v19 src0_sel:BYTE_0 src1_sel:DWORD
	s_waitcnt lgkmcnt(0)
	v_mfma_f32_16x16x16f16 v[14:17], v[10:11], v[30:31], v[14:17]
	v_cvt_pkrtz_f16_f32 v10, v21, v24
	v_cvt_pkrtz_f16_f32 v11, v12, v25
	s_nop 1
	v_mfma_f32_16x16x16f16 v[10:13], v[10:11], v[32:33], v[14:17]
	s_and_saveexec_b64 s[2:3], s[8:9]
	s_cbranch_execz .LBB603_597
; %bb.592:
	s_movk_i32 s7, 0x80
	v_cmp_ne_u16_sdwa s[10:11], v6, s7 src0_sel:BYTE_0 src1_sel:DWORD
	v_bfrev_b32_e32 v19, 1
	s_and_saveexec_b64 s[8:9], s[10:11]
	s_cbranch_execz .LBB603_596
; %bb.593:
	s_movk_i32 s7, 0x7f
	v_and_b32_e32 v14, 0x7f, v6
	v_cmp_ne_u32_e32 vcc, s7, v14
	v_mov_b32_e32 v19, 0x7f800001
	s_and_saveexec_b64 s[10:11], vcc
	s_cbranch_execz .LBB603_595
; %bb.594:
	v_and_b32_e32 v15, 7, v6
	v_ffbh_u32_e32 v16, v15
	v_min_u32_e32 v19, 32, v16
	v_subrev_u32_e32 v16, 28, v19
	v_lshlrev_b64 v[16:17], v16, v[6:7]
	v_lshrrev_b32_e32 v18, 3, v14
	v_sub_u32_e32 v17, 29, v19
	v_and_b32_e32 v16, 7, v16
	v_cmp_gt_u32_e32 vcc, 8, v14
	v_cndmask_b32_e32 v14, v18, v17, vcc
	v_cndmask_b32_e32 v15, v15, v16, vcc
	v_lshlrev_b32_e32 v16, 24, v6
	v_bfrev_b32_e32 v17, 60
	v_lshlrev_b32_e32 v15, 20, v15
	v_and_b32_e32 v16, 0x80000000, v16
	v_lshl_add_u32 v14, v14, 23, v17
	v_or3_b32 v19, v16, v14, v15
.LBB603_595:
	s_or_b64 exec, exec, s[10:11]
.LBB603_596:
	s_or_b64 exec, exec, s[8:9]
.LBB603_597:
	s_or_b64 exec, exec, s[2:3]
	s_nop 3
	v_lshrrev_b16_e32 v14, 8, v6
	v_cmp_ne_u16_e32 vcc, 0, v14
	v_mov_b32_e32 v15, 0
	v_mov_b32_e32 v16, 0
	s_and_saveexec_b64 s[2:3], vcc
	s_cbranch_execz .LBB603_603
; %bb.598:
	s_movk_i32 s7, 0x80
	v_cmp_ne_u16_e32 vcc, s7, v14
	v_bfrev_b32_e32 v16, 1
	s_and_saveexec_b64 s[8:9], vcc
	s_cbranch_execz .LBB603_602
; %bb.599:
	s_movk_i32 s7, 0x7f
	v_and_b32_e32 v17, 0x7f, v14
	v_cmp_ne_u32_e32 vcc, s7, v17
	v_mov_b32_e32 v16, 0x7f800001
	s_and_saveexec_b64 s[10:11], vcc
	s_cbranch_execz .LBB603_601
; %bb.600:
	v_and_b32_e32 v16, 7, v14
	v_ffbh_u32_e32 v20, v16
	v_min_u32_e32 v23, 32, v20
	v_subrev_u32_e32 v20, 28, v23
	v_lshlrev_b64 v[20:21], v20, v[14:15]
	v_lshrrev_b32_e32 v18, 3, v17
	v_sub_u32_e32 v14, 29, v23
	v_and_b32_e32 v20, 7, v20
	v_cmp_gt_u32_e32 vcc, 8, v17
	v_cndmask_b32_e32 v14, v18, v14, vcc
	v_cndmask_b32_e32 v16, v16, v20, vcc
	v_lshlrev_b32_e32 v17, 16, v6
	v_bfrev_b32_e32 v18, 60
	v_lshlrev_b32_e32 v16, 20, v16
	v_and_b32_e32 v17, 0x80000000, v17
	v_lshl_add_u32 v14, v14, 23, v18
	v_or3_b32 v16, v17, v14, v16
.LBB603_601:
	s_or_b64 exec, exec, s[10:11]
.LBB603_602:
	s_or_b64 exec, exec, s[8:9]
.LBB603_603:
	s_or_b64 exec, exec, s[2:3]
	s_movk_i32 s2, 0xff
	v_and_b32_sdwa v17, v6, s2 dst_sel:DWORD dst_unused:UNUSED_PAD src0_sel:WORD_1 src1_sel:DWORD
	v_lshrrev_b32_e32 v14, 16, v6
	v_cmp_ne_u16_e32 vcc, 0, v17
	s_and_saveexec_b64 s[2:3], vcc
	s_cbranch_execz .LBB603_609
; %bb.604:
	s_movk_i32 s7, 0x80
	v_cmp_ne_u16_e32 vcc, s7, v17
	v_bfrev_b32_e32 v15, 1
	s_and_saveexec_b64 s[8:9], vcc
	s_cbranch_execz .LBB603_608
; %bb.605:
	v_bfe_u32 v17, v6, 16, 7
	s_movk_i32 s7, 0x7f
	v_cmp_ne_u32_e32 vcc, s7, v17
	v_mov_b32_e32 v15, 0x7f800001
	s_and_saveexec_b64 s[10:11], vcc
	s_cbranch_execz .LBB603_607
; %bb.606:
	v_and_b32_e32 v18, 7, v14
	v_ffbh_u32_e32 v15, v18
	v_min_u32_e32 v21, 32, v15
	v_subrev_u32_e32 v15, 28, v21
	v_lshlrev_b64 v[14:15], v15, v[14:15]
	v_lshrrev_b32_e32 v20, 3, v17
	v_sub_u32_e32 v15, 29, v21
	v_and_b32_e32 v14, 7, v14
	v_cmp_gt_u32_e32 vcc, 8, v17
	v_mov_b32_e32 v17, 24
	v_cndmask_b32_e32 v15, v20, v15, vcc
	v_cndmask_b32_e32 v14, v18, v14, vcc
	v_lshlrev_b32_sdwa v17, v17, v6 dst_sel:DWORD dst_unused:UNUSED_PAD src0_sel:DWORD src1_sel:WORD_1
	v_bfrev_b32_e32 v18, 60
	v_lshlrev_b32_e32 v14, 20, v14
	v_and_b32_e32 v17, 0x80000000, v17
	v_lshl_add_u32 v15, v15, 23, v18
	v_or3_b32 v15, v17, v15, v14
.LBB603_607:
	s_or_b64 exec, exec, s[10:11]
.LBB603_608:
	s_or_b64 exec, exec, s[8:9]
.LBB603_609:
	s_or_b64 exec, exec, s[2:3]
	s_mov_b32 s2, 0xffffff
	v_cmp_lt_u32_e32 vcc, s2, v6
	v_mov_b32_e32 v17, 0
	v_mov_b32_e32 v18, 0
	s_and_saveexec_b64 s[2:3], vcc
	s_cbranch_execz .LBB603_615
; %bb.610:
	v_lshrrev_b32_e32 v14, 24, v6
	s_movk_i32 s7, 0x80
	v_cmp_ne_u32_e32 vcc, s7, v14
	v_bfrev_b32_e32 v18, 1
	s_and_saveexec_b64 s[8:9], vcc
	s_cbranch_execz .LBB603_614
; %bb.611:
	v_bfe_u32 v6, v6, 24, 7
	s_movk_i32 s7, 0x7f
	v_cmp_ne_u32_e32 vcc, s7, v6
	v_mov_b32_e32 v18, 0x7f800001
	s_and_saveexec_b64 s[10:11], vcc
	s_cbranch_execz .LBB603_613
; %bb.612:
	v_and_b32_e32 v18, 7, v14
	v_ffbh_u32_e32 v20, v18
	v_min_u32_e32 v24, 32, v20
	v_subrev_u32_e32 v20, 28, v24
	v_lshlrev_b64 v[20:21], v20, v[14:15]
	v_lshrrev_b32_e32 v23, 3, v6
	v_sub_u32_e32 v21, 29, v24
	v_and_b32_e32 v20, 7, v20
	v_cmp_gt_u32_e32 vcc, 8, v6
	v_cndmask_b32_e32 v6, v23, v21, vcc
	v_cndmask_b32_e32 v18, v18, v20, vcc
	v_lshlrev_b32_e32 v14, 24, v14
	v_bfrev_b32_e32 v20, 60
	v_lshlrev_b32_e32 v18, 20, v18
	v_and_b32_e32 v14, 0x80000000, v14
	v_lshl_add_u32 v6, v6, 23, v20
	v_or3_b32 v18, v14, v6, v18
.LBB603_613:
	s_or_b64 exec, exec, s[10:11]
.LBB603_614:
	s_or_b64 exec, exec, s[8:9]
.LBB603_615:
	s_or_b64 exec, exec, s[2:3]
	v_cmp_ne_u16_sdwa s[8:9], v7, v17 src0_sel:BYTE_0 src1_sel:DWORD
	s_and_saveexec_b64 s[2:3], s[8:9]
	s_cbranch_execz .LBB603_621
; %bb.616:
	s_movk_i32 s7, 0x80
	v_cmp_ne_u16_sdwa s[10:11], v7, s7 src0_sel:BYTE_0 src1_sel:DWORD
	v_bfrev_b32_e32 v17, 1
	s_and_saveexec_b64 s[8:9], s[10:11]
	s_cbranch_execz .LBB603_620
; %bb.617:
	s_movk_i32 s7, 0x7f
	v_and_b32_e32 v6, 0x7f, v7
	v_cmp_ne_u32_e32 vcc, s7, v6
	v_mov_b32_e32 v17, 0x7f800001
	s_and_saveexec_b64 s[10:11], vcc
	s_cbranch_execz .LBB603_619
; %bb.618:
	v_and_b32_e32 v17, 7, v7
	v_ffbh_u32_e32 v20, v17
	v_min_u32_e32 v24, 32, v20
	v_mov_b32_e32 v14, v7
	v_subrev_u32_e32 v20, 28, v24
	v_lshlrev_b64 v[20:21], v20, v[14:15]
	v_lshrrev_b32_e32 v23, 3, v6
	v_sub_u32_e32 v14, 29, v24
	v_and_b32_e32 v20, 7, v20
	v_cmp_gt_u32_e32 vcc, 8, v6
	v_cndmask_b32_e32 v6, v23, v14, vcc
	v_cndmask_b32_e32 v14, v17, v20, vcc
	v_lshlrev_b32_e32 v17, 24, v7
	v_bfrev_b32_e32 v20, 60
	v_lshlrev_b32_e32 v14, 20, v14
	v_and_b32_e32 v17, 0x80000000, v17
	v_lshl_add_u32 v6, v6, 23, v20
	v_or3_b32 v17, v17, v6, v14
.LBB603_619:
	s_or_b64 exec, exec, s[10:11]
.LBB603_620:
	s_or_b64 exec, exec, s[8:9]
.LBB603_621:
	s_or_b64 exec, exec, s[2:3]
	v_lshrrev_b16_e32 v6, 8, v7
	v_cmp_ne_u16_e32 vcc, 0, v6
	v_mov_b32_e32 v20, 0
	v_mov_b32_e32 v21, 0
	s_and_saveexec_b64 s[2:3], vcc
	s_cbranch_execz .LBB603_627
; %bb.622:
	s_movk_i32 s7, 0x80
	v_cmp_ne_u16_e32 vcc, s7, v6
	v_bfrev_b32_e32 v21, 1
	s_and_saveexec_b64 s[8:9], vcc
	s_cbranch_execz .LBB603_626
; %bb.623:
	s_movk_i32 s7, 0x7f
	v_and_b32_e32 v14, 0x7f, v6
	v_cmp_ne_u32_e32 vcc, s7, v14
	v_mov_b32_e32 v21, 0x7f800001
	s_and_saveexec_b64 s[10:11], vcc
	s_cbranch_execz .LBB603_625
; %bb.624:
	v_and_b32_e32 v21, 7, v6
	v_ffbh_u32_e32 v24, v21
	v_min_u32_e32 v26, 32, v24
	v_subrev_u32_e32 v24, 28, v26
	v_lshlrev_b64 v[24:25], v24, v[6:7]
	v_lshrrev_b32_e32 v23, 3, v14
	v_sub_u32_e32 v6, 29, v26
	v_and_b32_e32 v24, 7, v24
	v_cmp_gt_u32_e32 vcc, 8, v14
	v_cndmask_b32_e32 v6, v23, v6, vcc
	v_cndmask_b32_e32 v14, v21, v24, vcc
	v_lshlrev_b32_e32 v21, 16, v7
	v_bfrev_b32_e32 v23, 60
	v_lshlrev_b32_e32 v14, 20, v14
	v_and_b32_e32 v21, 0x80000000, v21
	v_lshl_add_u32 v6, v6, 23, v23
	v_or3_b32 v21, v21, v6, v14
.LBB603_625:
	s_or_b64 exec, exec, s[10:11]
.LBB603_626:
	s_or_b64 exec, exec, s[8:9]
.LBB603_627:
	s_or_b64 exec, exec, s[2:3]
	s_movk_i32 s2, 0xff
	v_and_b32_sdwa v14, v7, s2 dst_sel:DWORD dst_unused:UNUSED_PAD src0_sel:WORD_1 src1_sel:DWORD
	v_lshrrev_b32_e32 v6, 16, v7
	v_cmp_ne_u16_e32 vcc, 0, v14
	s_and_saveexec_b64 s[2:3], vcc
	s_cbranch_execz .LBB603_633
; %bb.628:
	s_movk_i32 s7, 0x80
	v_cmp_ne_u16_e32 vcc, s7, v14
	v_bfrev_b32_e32 v20, 1
	s_and_saveexec_b64 s[8:9], vcc
	s_cbranch_execz .LBB603_632
; %bb.629:
	v_bfe_u32 v14, v7, 16, 7
	s_movk_i32 s7, 0x7f
	v_cmp_ne_u32_e32 vcc, s7, v14
	v_mov_b32_e32 v20, 0x7f800001
	s_and_saveexec_b64 s[10:11], vcc
	s_cbranch_execz .LBB603_631
; %bb.630:
	v_and_b32_e32 v20, 7, v6
	v_ffbh_u32_e32 v24, v20
	v_min_u32_e32 v26, 32, v24
	v_subrev_u32_e32 v24, 28, v26
	v_lshlrev_b64 v[24:25], v24, v[6:7]
	v_and_b32_e32 v24, 7, v24
	v_cmp_gt_u32_e32 vcc, 8, v14
	v_lshrrev_b32_e32 v23, 3, v14
	v_sub_u32_e32 v6, 29, v26
	v_cndmask_b32_e32 v14, v20, v24, vcc
	v_mov_b32_e32 v20, 24
	v_cndmask_b32_e32 v6, v23, v6, vcc
	v_lshlrev_b32_sdwa v20, v20, v7 dst_sel:DWORD dst_unused:UNUSED_PAD src0_sel:DWORD src1_sel:WORD_1
	v_bfrev_b32_e32 v23, 60
	v_lshlrev_b32_e32 v14, 20, v14
	v_and_b32_e32 v20, 0x80000000, v20
	v_lshl_add_u32 v6, v6, 23, v23
	v_or3_b32 v20, v20, v6, v14
.LBB603_631:
	s_or_b64 exec, exec, s[10:11]
.LBB603_632:
	s_or_b64 exec, exec, s[8:9]
.LBB603_633:
	s_or_b64 exec, exec, s[2:3]
	s_mov_b32 s2, 0xffffff
	v_cmp_lt_u32_e32 vcc, s2, v7
	v_mov_b32_e32 v14, 0
	v_mov_b32_e32 v23, 0
	s_and_saveexec_b64 s[2:3], vcc
	s_cbranch_execz .LBB603_639
; %bb.634:
	v_lshrrev_b32_e32 v6, 24, v7
	s_movk_i32 s7, 0x80
	v_cmp_ne_u32_e32 vcc, s7, v6
	v_bfrev_b32_e32 v23, 1
	s_and_saveexec_b64 s[8:9], vcc
	s_cbranch_execz .LBB603_638
; %bb.635:
	v_bfe_u32 v7, v7, 24, 7
	s_movk_i32 s7, 0x7f
	v_cmp_ne_u32_e32 vcc, s7, v7
	v_mov_b32_e32 v23, 0x7f800001
	s_and_saveexec_b64 s[10:11], vcc
	s_cbranch_execz .LBB603_637
; %bb.636:
	v_and_b32_e32 v23, 7, v6
	v_ffbh_u32_e32 v24, v23
	v_min_u32_e32 v27, 32, v24
	v_subrev_u32_e32 v24, 28, v27
	v_lshlrev_b64 v[24:25], v24, v[6:7]
	v_lshrrev_b32_e32 v26, 3, v7
	v_sub_u32_e32 v25, 29, v27
	v_and_b32_e32 v24, 7, v24
	v_cmp_gt_u32_e32 vcc, 8, v7
	v_cndmask_b32_e32 v7, v26, v25, vcc
	v_cndmask_b32_e32 v23, v23, v24, vcc
	v_lshlrev_b32_e32 v6, 24, v6
	v_bfrev_b32_e32 v24, 60
	v_lshlrev_b32_e32 v23, 20, v23
	v_and_b32_e32 v6, 0x80000000, v6
	v_lshl_add_u32 v7, v7, 23, v24
	v_or3_b32 v23, v6, v7, v23
.LBB603_637:
	s_or_b64 exec, exec, s[10:11]
.LBB603_638:
	s_or_b64 exec, exec, s[8:9]
.LBB603_639:
	s_or_b64 exec, exec, s[2:3]
	v_cvt_pkrtz_f16_f32 v6, v19, v16
	v_cvt_pkrtz_f16_f32 v7, v15, v18
	ds_read_b128 v[24:27], v22 offset:4096
	v_cmp_ne_u16_sdwa s[8:9], v8, v14 src0_sel:BYTE_0 src1_sel:DWORD
	s_waitcnt lgkmcnt(0)
	v_mfma_f32_16x16x16f16 v[10:13], v[6:7], v[24:25], v[10:13]
	v_cvt_pkrtz_f16_f32 v6, v17, v21
	v_cvt_pkrtz_f16_f32 v7, v20, v23
	s_nop 1
	v_mfma_f32_16x16x16f16 v[10:13], v[6:7], v[26:27], v[10:13]
	s_and_saveexec_b64 s[2:3], s[8:9]
	s_cbranch_execz .LBB603_645
; %bb.640:
	s_movk_i32 s7, 0x80
	v_cmp_ne_u16_sdwa s[10:11], v8, s7 src0_sel:BYTE_0 src1_sel:DWORD
	v_bfrev_b32_e32 v14, 1
	s_and_saveexec_b64 s[8:9], s[10:11]
	s_cbranch_execz .LBB603_644
; %bb.641:
	s_movk_i32 s7, 0x7f
	v_and_b32_e32 v6, 0x7f, v8
	v_cmp_ne_u32_e32 vcc, s7, v6
	v_mov_b32_e32 v14, 0x7f800001
	s_and_saveexec_b64 s[10:11], vcc
	s_cbranch_execz .LBB603_643
; %bb.642:
	v_and_b32_e32 v7, 7, v8
	v_ffbh_u32_e32 v14, v7
	v_min_u32_e32 v17, 32, v14
	v_subrev_u32_e32 v14, 28, v17
	v_lshlrev_b64 v[14:15], v14, v[8:9]
	v_lshrrev_b32_e32 v16, 3, v6
	v_sub_u32_e32 v15, 29, v17
	v_and_b32_e32 v14, 7, v14
	v_cmp_gt_u32_e32 vcc, 8, v6
	v_cndmask_b32_e32 v6, v16, v15, vcc
	v_cndmask_b32_e32 v7, v7, v14, vcc
	v_lshlrev_b32_e32 v14, 24, v8
	v_bfrev_b32_e32 v15, 60
	v_lshlrev_b32_e32 v7, 20, v7
	v_and_b32_e32 v14, 0x80000000, v14
	v_lshl_add_u32 v6, v6, 23, v15
	v_or3_b32 v14, v14, v6, v7
.LBB603_643:
	s_or_b64 exec, exec, s[10:11]
.LBB603_644:
	s_or_b64 exec, exec, s[8:9]
.LBB603_645:
	s_or_b64 exec, exec, s[2:3]
	v_lshrrev_b16_e32 v6, 8, v8
	v_cmp_ne_u16_e32 vcc, 0, v6
	v_mov_b32_e32 v7, 0
	v_mov_b32_e32 v16, 0
	s_and_saveexec_b64 s[2:3], vcc
	s_cbranch_execz .LBB603_651
; %bb.646:
	s_movk_i32 s7, 0x80
	v_cmp_ne_u16_e32 vcc, s7, v6
	v_bfrev_b32_e32 v16, 1
	s_and_saveexec_b64 s[8:9], vcc
	s_cbranch_execz .LBB603_650
; %bb.647:
	s_movk_i32 s7, 0x7f
	v_and_b32_e32 v15, 0x7f, v6
	v_cmp_ne_u32_e32 vcc, s7, v15
	v_mov_b32_e32 v16, 0x7f800001
	s_and_saveexec_b64 s[10:11], vcc
	s_cbranch_execz .LBB603_649
; %bb.648:
	v_and_b32_e32 v18, 7, v6
	v_ffbh_u32_e32 v16, v18
	v_min_u32_e32 v20, 32, v16
	v_subrev_u32_e32 v16, 28, v20
	v_lshlrev_b64 v[16:17], v16, v[6:7]
	v_lshrrev_b32_e32 v19, 3, v15
	v_sub_u32_e32 v6, 29, v20
	v_and_b32_e32 v16, 7, v16
	v_cmp_gt_u32_e32 vcc, 8, v15
	v_cndmask_b32_e32 v6, v19, v6, vcc
	v_cndmask_b32_e32 v15, v18, v16, vcc
	v_lshlrev_b32_e32 v16, 16, v8
	v_bfrev_b32_e32 v17, 60
	v_lshlrev_b32_e32 v15, 20, v15
	v_and_b32_e32 v16, 0x80000000, v16
	v_lshl_add_u32 v6, v6, 23, v17
	v_or3_b32 v16, v16, v6, v15
.LBB603_649:
	s_or_b64 exec, exec, s[10:11]
.LBB603_650:
	s_or_b64 exec, exec, s[8:9]
.LBB603_651:
	s_or_b64 exec, exec, s[2:3]
	s_movk_i32 s2, 0xff
	v_and_b32_sdwa v15, v8, s2 dst_sel:DWORD dst_unused:UNUSED_PAD src0_sel:WORD_1 src1_sel:DWORD
	v_lshrrev_b32_e32 v6, 16, v8
	v_cmp_ne_u16_e32 vcc, 0, v15
	s_and_saveexec_b64 s[2:3], vcc
	s_cbranch_execz .LBB603_657
; %bb.652:
	s_movk_i32 s7, 0x80
	v_cmp_ne_u16_e32 vcc, s7, v15
	v_bfrev_b32_e32 v7, 1
	s_and_saveexec_b64 s[8:9], vcc
	s_cbranch_execz .LBB603_656
; %bb.653:
	v_bfe_u32 v15, v8, 16, 7
	s_movk_i32 s7, 0x7f
	v_cmp_ne_u32_e32 vcc, s7, v15
	v_mov_b32_e32 v7, 0x7f800001
	s_and_saveexec_b64 s[10:11], vcc
	s_cbranch_execz .LBB603_655
; %bb.654:
	v_and_b32_e32 v17, 7, v6
	v_ffbh_u32_e32 v7, v17
	v_min_u32_e32 v19, 32, v7
	v_subrev_u32_e32 v7, 28, v19
	v_lshlrev_b64 v[6:7], v7, v[6:7]
	v_lshrrev_b32_e32 v18, 3, v15
	v_sub_u32_e32 v7, 29, v19
	v_and_b32_e32 v6, 7, v6
	v_cmp_gt_u32_e32 vcc, 8, v15
	v_mov_b32_e32 v15, 24
	v_cndmask_b32_e32 v7, v18, v7, vcc
	v_cndmask_b32_e32 v6, v17, v6, vcc
	v_lshlrev_b32_sdwa v15, v15, v8 dst_sel:DWORD dst_unused:UNUSED_PAD src0_sel:DWORD src1_sel:WORD_1
	v_bfrev_b32_e32 v17, 60
	v_lshlrev_b32_e32 v6, 20, v6
	v_and_b32_e32 v15, 0x80000000, v15
	v_lshl_add_u32 v7, v7, 23, v17
	v_or3_b32 v7, v15, v7, v6
.LBB603_655:
	s_or_b64 exec, exec, s[10:11]
.LBB603_656:
	s_or_b64 exec, exec, s[8:9]
.LBB603_657:
	s_or_b64 exec, exec, s[2:3]
	s_mov_b32 s2, 0xffffff
	v_cmp_lt_u32_e32 vcc, s2, v8
	v_mov_b32_e32 v17, 0
	v_mov_b32_e32 v18, 0
	s_and_saveexec_b64 s[2:3], vcc
	s_cbranch_execz .LBB603_663
; %bb.658:
	v_lshrrev_b32_e32 v6, 24, v8
	s_movk_i32 s7, 0x80
	v_cmp_ne_u32_e32 vcc, s7, v6
	v_bfrev_b32_e32 v18, 1
	s_and_saveexec_b64 s[8:9], vcc
	s_cbranch_execz .LBB603_662
; %bb.659:
	v_bfe_u32 v8, v8, 24, 7
	s_movk_i32 s7, 0x7f
	v_cmp_ne_u32_e32 vcc, s7, v8
	v_mov_b32_e32 v18, 0x7f800001
	s_and_saveexec_b64 s[10:11], vcc
	s_cbranch_execz .LBB603_661
; %bb.660:
	v_and_b32_e32 v15, 7, v6
	v_ffbh_u32_e32 v18, v15
	v_min_u32_e32 v21, 32, v18
	v_subrev_u32_e32 v18, 28, v21
	v_lshlrev_b64 v[18:19], v18, v[6:7]
	v_lshrrev_b32_e32 v20, 3, v8
	v_sub_u32_e32 v19, 29, v21
	v_and_b32_e32 v18, 7, v18
	v_cmp_gt_u32_e32 vcc, 8, v8
	v_cndmask_b32_e32 v8, v20, v19, vcc
	v_cndmask_b32_e32 v15, v15, v18, vcc
	v_lshlrev_b32_e32 v6, 24, v6
	v_bfrev_b32_e32 v18, 60
	v_lshlrev_b32_e32 v15, 20, v15
	v_and_b32_e32 v6, 0x80000000, v6
	v_lshl_add_u32 v8, v8, 23, v18
	v_or3_b32 v18, v6, v8, v15
.LBB603_661:
	s_or_b64 exec, exec, s[10:11]
.LBB603_662:
	s_or_b64 exec, exec, s[8:9]
.LBB603_663:
	s_or_b64 exec, exec, s[2:3]
	v_cmp_ne_u16_sdwa s[8:9], v9, v17 src0_sel:BYTE_0 src1_sel:DWORD
	s_and_saveexec_b64 s[2:3], s[8:9]
	s_cbranch_execz .LBB603_669
; %bb.664:
	s_movk_i32 s7, 0x80
	v_cmp_ne_u16_sdwa s[10:11], v9, s7 src0_sel:BYTE_0 src1_sel:DWORD
	v_bfrev_b32_e32 v17, 1
	s_and_saveexec_b64 s[8:9], s[10:11]
	s_cbranch_execz .LBB603_668
; %bb.665:
	s_movk_i32 s7, 0x7f
	v_and_b32_e32 v6, 0x7f, v9
	v_cmp_ne_u32_e32 vcc, s7, v6
	v_mov_b32_e32 v17, 0x7f800001
	s_and_saveexec_b64 s[10:11], vcc
	s_cbranch_execz .LBB603_667
; %bb.666:
	v_and_b32_e32 v15, 7, v9
	v_ffbh_u32_e32 v19, v15
	v_min_u32_e32 v19, 32, v19
	v_mov_b32_e32 v8, v9
	v_subrev_u32_e32 v20, 28, v19
	v_lshlrev_b64 v[20:21], v20, v[8:9]
	v_lshrrev_b32_e32 v17, 3, v6
	v_sub_u32_e32 v8, 29, v19
	v_and_b32_e32 v19, 7, v20
	v_cmp_gt_u32_e32 vcc, 8, v6
	v_cndmask_b32_e32 v6, v17, v8, vcc
	v_cndmask_b32_e32 v8, v15, v19, vcc
	v_lshlrev_b32_e32 v15, 24, v9
	v_bfrev_b32_e32 v17, 60
	v_lshlrev_b32_e32 v8, 20, v8
	v_and_b32_e32 v15, 0x80000000, v15
	v_lshl_add_u32 v6, v6, 23, v17
	v_or3_b32 v17, v15, v6, v8
.LBB603_667:
	s_or_b64 exec, exec, s[10:11]
.LBB603_668:
	s_or_b64 exec, exec, s[8:9]
.LBB603_669:
	s_or_b64 exec, exec, s[2:3]
	v_lshrrev_b16_e32 v6, 8, v9
	v_cmp_ne_u16_e32 vcc, 0, v6
	v_mov_b32_e32 v8, 0
	v_mov_b32_e32 v19, 0
	s_and_saveexec_b64 s[2:3], vcc
	s_cbranch_execz .LBB603_675
; %bb.670:
	s_movk_i32 s7, 0x80
	v_cmp_ne_u16_e32 vcc, s7, v6
	v_bfrev_b32_e32 v19, 1
	s_and_saveexec_b64 s[8:9], vcc
	s_cbranch_execz .LBB603_674
; %bb.671:
	s_movk_i32 s7, 0x7f
	v_and_b32_e32 v15, 0x7f, v6
	v_cmp_ne_u32_e32 vcc, s7, v15
	v_mov_b32_e32 v19, 0x7f800001
	s_and_saveexec_b64 s[10:11], vcc
	s_cbranch_execz .LBB603_673
; %bb.672:
	v_and_b32_e32 v19, 7, v6
	v_ffbh_u32_e32 v20, v19
	v_min_u32_e32 v24, 32, v20
	v_subrev_u32_e32 v20, 28, v24
	v_lshlrev_b64 v[20:21], v20, v[6:7]
	v_lshrrev_b32_e32 v23, 3, v15
	v_sub_u32_e32 v6, 29, v24
	v_and_b32_e32 v20, 7, v20
	v_cmp_gt_u32_e32 vcc, 8, v15
	v_cndmask_b32_e32 v6, v23, v6, vcc
	v_cndmask_b32_e32 v15, v19, v20, vcc
	v_lshlrev_b32_e32 v19, 16, v9
	v_bfrev_b32_e32 v20, 60
	v_lshlrev_b32_e32 v15, 20, v15
	v_and_b32_e32 v19, 0x80000000, v19
	v_lshl_add_u32 v6, v6, 23, v20
	v_or3_b32 v19, v19, v6, v15
.LBB603_673:
	s_or_b64 exec, exec, s[10:11]
.LBB603_674:
	s_or_b64 exec, exec, s[8:9]
.LBB603_675:
	s_or_b64 exec, exec, s[2:3]
	s_movk_i32 s2, 0xff
	v_and_b32_sdwa v15, v9, s2 dst_sel:DWORD dst_unused:UNUSED_PAD src0_sel:WORD_1 src1_sel:DWORD
	v_lshrrev_b32_e32 v6, 16, v9
	v_cmp_ne_u16_e32 vcc, 0, v15
	s_and_saveexec_b64 s[2:3], vcc
	s_cbranch_execz .LBB603_681
; %bb.676:
	s_movk_i32 s7, 0x80
	v_cmp_ne_u16_e32 vcc, s7, v15
	v_bfrev_b32_e32 v8, 1
	s_and_saveexec_b64 s[8:9], vcc
	s_cbranch_execz .LBB603_680
; %bb.677:
	v_bfe_u32 v15, v9, 16, 7
	s_movk_i32 s7, 0x7f
	v_cmp_ne_u32_e32 vcc, s7, v15
	v_mov_b32_e32 v8, 0x7f800001
	s_and_saveexec_b64 s[10:11], vcc
	s_cbranch_execz .LBB603_679
; %bb.678:
	v_and_b32_e32 v8, 7, v6
	v_ffbh_u32_e32 v20, v8
	v_min_u32_e32 v24, 32, v20
	v_subrev_u32_e32 v20, 28, v24
	v_lshlrev_b64 v[20:21], v20, v[6:7]
	v_lshrrev_b32_e32 v23, 3, v15
	v_sub_u32_e32 v6, 29, v24
	v_and_b32_e32 v20, 7, v20
	v_cmp_gt_u32_e32 vcc, 8, v15
	v_mov_b32_e32 v15, 24
	v_cndmask_b32_e32 v6, v23, v6, vcc
	v_cndmask_b32_e32 v8, v8, v20, vcc
	v_lshlrev_b32_sdwa v15, v15, v9 dst_sel:DWORD dst_unused:UNUSED_PAD src0_sel:DWORD src1_sel:WORD_1
	v_bfrev_b32_e32 v20, 60
	v_lshlrev_b32_e32 v8, 20, v8
	v_and_b32_e32 v15, 0x80000000, v15
	v_lshl_add_u32 v6, v6, 23, v20
	v_or3_b32 v8, v15, v6, v8
.LBB603_679:
	s_or_b64 exec, exec, s[10:11]
.LBB603_680:
	s_or_b64 exec, exec, s[8:9]
.LBB603_681:
	s_or_b64 exec, exec, s[2:3]
	s_mov_b32 s2, 0xffffff
	v_cmp_lt_u32_e32 vcc, s2, v9
	v_mov_b32_e32 v15, 0
	v_mov_b32_e32 v20, 0
	s_and_saveexec_b64 s[2:3], vcc
	s_cbranch_execz .LBB603_687
; %bb.682:
	v_lshrrev_b32_e32 v6, 24, v9
	s_movk_i32 s7, 0x80
	v_cmp_ne_u32_e32 vcc, s7, v6
	v_bfrev_b32_e32 v20, 1
	s_and_saveexec_b64 s[8:9], vcc
	s_cbranch_execz .LBB603_686
; %bb.683:
	v_bfe_u32 v9, v9, 24, 7
	s_movk_i32 s7, 0x7f
	v_cmp_ne_u32_e32 vcc, s7, v9
	v_mov_b32_e32 v20, 0x7f800001
	s_and_saveexec_b64 s[10:11], vcc
	s_cbranch_execz .LBB603_685
; %bb.684:
	v_and_b32_e32 v23, 7, v6
	v_ffbh_u32_e32 v20, v23
	v_min_u32_e32 v25, 32, v20
	v_subrev_u32_e32 v20, 28, v25
	v_lshlrev_b64 v[20:21], v20, v[6:7]
	v_lshrrev_b32_e32 v24, 3, v9
	v_sub_u32_e32 v21, 29, v25
	v_and_b32_e32 v20, 7, v20
	v_cmp_gt_u32_e32 vcc, 8, v9
	v_cndmask_b32_e32 v9, v24, v21, vcc
	v_cndmask_b32_e32 v20, v23, v20, vcc
	v_lshlrev_b32_e32 v6, 24, v6
	v_bfrev_b32_e32 v21, 60
	v_lshlrev_b32_e32 v20, 20, v20
	v_and_b32_e32 v6, 0x80000000, v6
	v_lshl_add_u32 v9, v9, 23, v21
	v_or3_b32 v20, v6, v9, v20
.LBB603_685:
	s_or_b64 exec, exec, s[10:11]
.LBB603_686:
	s_or_b64 exec, exec, s[8:9]
.LBB603_687:
	s_or_b64 exec, exec, s[2:3]
	v_cvt_pkrtz_f16_f32 v6, v14, v16
	v_cvt_pkrtz_f16_f32 v7, v7, v18
	ds_read_b128 v[24:27], v22 offset:4112
	s_waitcnt vmcnt(0)
	v_cmp_ne_u16_sdwa s[8:9], v2, v15 src0_sel:BYTE_0 src1_sel:DWORD
	s_waitcnt lgkmcnt(0)
	v_mfma_f32_16x16x16f16 v[10:13], v[6:7], v[24:25], v[10:13]
	v_cvt_pkrtz_f16_f32 v6, v17, v19
	v_cvt_pkrtz_f16_f32 v7, v8, v20
	s_nop 1
	v_mfma_f32_16x16x16f16 v[6:9], v[6:7], v[26:27], v[10:13]
	s_and_saveexec_b64 s[2:3], s[8:9]
	s_cbranch_execz .LBB603_693
; %bb.688:
	s_movk_i32 s7, 0x80
	v_cmp_ne_u16_sdwa s[10:11], v2, s7 src0_sel:BYTE_0 src1_sel:DWORD
	v_bfrev_b32_e32 v15, 1
	s_and_saveexec_b64 s[8:9], s[10:11]
	s_cbranch_execz .LBB603_692
; %bb.689:
	s_movk_i32 s7, 0x7f
	v_and_b32_e32 v10, 0x7f, v2
	v_cmp_ne_u32_e32 vcc, s7, v10
	v_mov_b32_e32 v15, 0x7f800001
	s_and_saveexec_b64 s[10:11], vcc
	s_cbranch_execz .LBB603_691
; %bb.690:
	v_and_b32_e32 v11, 7, v2
	v_ffbh_u32_e32 v12, v11
	v_min_u32_e32 v15, 32, v12
	v_subrev_u32_e32 v12, 28, v15
	v_lshlrev_b64 v[12:13], v12, v[2:3]
	v_lshrrev_b32_e32 v14, 3, v10
	v_sub_u32_e32 v13, 29, v15
	v_and_b32_e32 v12, 7, v12
	v_cmp_gt_u32_e32 vcc, 8, v10
	v_cndmask_b32_e32 v10, v14, v13, vcc
	v_cndmask_b32_e32 v11, v11, v12, vcc
	v_lshlrev_b32_e32 v12, 24, v2
	v_bfrev_b32_e32 v13, 60
	v_lshlrev_b32_e32 v11, 20, v11
	v_and_b32_e32 v12, 0x80000000, v12
	v_lshl_add_u32 v10, v10, 23, v13
	v_or3_b32 v15, v12, v10, v11
.LBB603_691:
	s_or_b64 exec, exec, s[10:11]
.LBB603_692:
	s_or_b64 exec, exec, s[8:9]
.LBB603_693:
	s_or_b64 exec, exec, s[2:3]
	s_nop 3
	v_lshrrev_b16_e32 v10, 8, v2
	v_cmp_ne_u16_e32 vcc, 0, v10
	v_mov_b32_e32 v11, 0
	v_mov_b32_e32 v12, 0
	s_and_saveexec_b64 s[2:3], vcc
	s_cbranch_execz .LBB603_699
; %bb.694:
	s_movk_i32 s7, 0x80
	v_cmp_ne_u16_e32 vcc, s7, v10
	v_bfrev_b32_e32 v12, 1
	s_and_saveexec_b64 s[8:9], vcc
	s_cbranch_execz .LBB603_698
; %bb.695:
	s_movk_i32 s7, 0x7f
	v_and_b32_e32 v13, 0x7f, v10
	v_cmp_ne_u32_e32 vcc, s7, v13
	v_mov_b32_e32 v12, 0x7f800001
	s_and_saveexec_b64 s[10:11], vcc
	s_cbranch_execz .LBB603_697
; %bb.696:
	v_and_b32_e32 v12, 7, v10
	v_ffbh_u32_e32 v16, v12
	v_min_u32_e32 v18, 32, v16
	v_subrev_u32_e32 v16, 28, v18
	v_lshlrev_b64 v[16:17], v16, v[10:11]
	v_lshrrev_b32_e32 v14, 3, v13
	v_sub_u32_e32 v10, 29, v18
	v_and_b32_e32 v16, 7, v16
	v_cmp_gt_u32_e32 vcc, 8, v13
	v_cndmask_b32_e32 v10, v14, v10, vcc
	v_cndmask_b32_e32 v12, v12, v16, vcc
	v_lshlrev_b32_e32 v13, 16, v2
	v_bfrev_b32_e32 v14, 60
	v_lshlrev_b32_e32 v12, 20, v12
	v_and_b32_e32 v13, 0x80000000, v13
	v_lshl_add_u32 v10, v10, 23, v14
	v_or3_b32 v12, v13, v10, v12
.LBB603_697:
	s_or_b64 exec, exec, s[10:11]
.LBB603_698:
	s_or_b64 exec, exec, s[8:9]
.LBB603_699:
	s_or_b64 exec, exec, s[2:3]
	s_movk_i32 s2, 0xff
	v_and_b32_sdwa v13, v2, s2 dst_sel:DWORD dst_unused:UNUSED_PAD src0_sel:WORD_1 src1_sel:DWORD
	v_lshrrev_b32_e32 v10, 16, v2
	v_cmp_ne_u16_e32 vcc, 0, v13
	s_and_saveexec_b64 s[2:3], vcc
	s_cbranch_execz .LBB603_705
; %bb.700:
	s_movk_i32 s7, 0x80
	v_cmp_ne_u16_e32 vcc, s7, v13
	v_bfrev_b32_e32 v11, 1
	s_and_saveexec_b64 s[8:9], vcc
	s_cbranch_execz .LBB603_704
; %bb.701:
	v_bfe_u32 v13, v2, 16, 7
	s_movk_i32 s7, 0x7f
	v_cmp_ne_u32_e32 vcc, s7, v13
	v_mov_b32_e32 v11, 0x7f800001
	s_and_saveexec_b64 s[10:11], vcc
	s_cbranch_execz .LBB603_703
; %bb.702:
	v_and_b32_e32 v14, 7, v10
	v_ffbh_u32_e32 v11, v14
	v_min_u32_e32 v17, 32, v11
	v_subrev_u32_e32 v11, 28, v17
	v_lshlrev_b64 v[10:11], v11, v[10:11]
	v_lshrrev_b32_e32 v16, 3, v13
	v_sub_u32_e32 v11, 29, v17
	v_and_b32_e32 v10, 7, v10
	v_cmp_gt_u32_e32 vcc, 8, v13
	v_mov_b32_e32 v13, 24
	v_cndmask_b32_e32 v11, v16, v11, vcc
	v_cndmask_b32_e32 v10, v14, v10, vcc
	v_lshlrev_b32_sdwa v13, v13, v2 dst_sel:DWORD dst_unused:UNUSED_PAD src0_sel:DWORD src1_sel:WORD_1
	v_bfrev_b32_e32 v14, 60
	v_lshlrev_b32_e32 v10, 20, v10
	v_and_b32_e32 v13, 0x80000000, v13
	v_lshl_add_u32 v11, v11, 23, v14
	v_or3_b32 v11, v13, v11, v10
.LBB603_703:
	s_or_b64 exec, exec, s[10:11]
.LBB603_704:
	s_or_b64 exec, exec, s[8:9]
.LBB603_705:
	s_or_b64 exec, exec, s[2:3]
	s_mov_b32 s2, 0xffffff
	v_cmp_lt_u32_e32 vcc, s2, v2
	v_mov_b32_e32 v13, 0
	v_mov_b32_e32 v14, 0
	s_and_saveexec_b64 s[2:3], vcc
	s_cbranch_execz .LBB603_711
; %bb.706:
	v_lshrrev_b32_e32 v10, 24, v2
	s_movk_i32 s7, 0x80
	v_cmp_ne_u32_e32 vcc, s7, v10
	v_bfrev_b32_e32 v14, 1
	s_and_saveexec_b64 s[8:9], vcc
	s_cbranch_execz .LBB603_710
; %bb.707:
	v_bfe_u32 v2, v2, 24, 7
	s_movk_i32 s7, 0x7f
	v_cmp_ne_u32_e32 vcc, s7, v2
	v_mov_b32_e32 v14, 0x7f800001
	s_and_saveexec_b64 s[10:11], vcc
	s_cbranch_execz .LBB603_709
; %bb.708:
	v_and_b32_e32 v14, 7, v10
	v_ffbh_u32_e32 v16, v14
	v_min_u32_e32 v19, 32, v16
	v_subrev_u32_e32 v16, 28, v19
	v_lshlrev_b64 v[16:17], v16, v[10:11]
	v_lshrrev_b32_e32 v18, 3, v2
	v_sub_u32_e32 v17, 29, v19
	v_and_b32_e32 v16, 7, v16
	v_cmp_gt_u32_e32 vcc, 8, v2
	v_cndmask_b32_e32 v2, v18, v17, vcc
	v_cndmask_b32_e32 v14, v14, v16, vcc
	v_lshlrev_b32_e32 v10, 24, v10
	v_bfrev_b32_e32 v16, 60
	v_lshlrev_b32_e32 v14, 20, v14
	v_and_b32_e32 v10, 0x80000000, v10
	v_lshl_add_u32 v2, v2, 23, v16
	v_or3_b32 v14, v10, v2, v14
.LBB603_709:
	s_or_b64 exec, exec, s[10:11]
.LBB603_710:
	s_or_b64 exec, exec, s[8:9]
.LBB603_711:
	s_or_b64 exec, exec, s[2:3]
	v_cmp_ne_u16_sdwa s[8:9], v3, v13 src0_sel:BYTE_0 src1_sel:DWORD
	s_and_saveexec_b64 s[2:3], s[8:9]
	s_cbranch_execz .LBB603_717
; %bb.712:
	s_movk_i32 s7, 0x80
	v_cmp_ne_u16_sdwa s[10:11], v3, s7 src0_sel:BYTE_0 src1_sel:DWORD
	v_bfrev_b32_e32 v13, 1
	s_and_saveexec_b64 s[8:9], s[10:11]
	s_cbranch_execz .LBB603_716
; %bb.713:
	s_movk_i32 s7, 0x7f
	v_and_b32_e32 v2, 0x7f, v3
	v_cmp_ne_u32_e32 vcc, s7, v2
	v_mov_b32_e32 v13, 0x7f800001
	s_and_saveexec_b64 s[10:11], vcc
	s_cbranch_execz .LBB603_715
; %bb.714:
	v_and_b32_e32 v13, 7, v3
	v_ffbh_u32_e32 v16, v13
	v_min_u32_e32 v19, 32, v16
	v_mov_b32_e32 v10, v3
	v_subrev_u32_e32 v16, 28, v19
	v_lshlrev_b64 v[16:17], v16, v[10:11]
	v_lshrrev_b32_e32 v18, 3, v2
	v_sub_u32_e32 v10, 29, v19
	v_and_b32_e32 v16, 7, v16
	v_cmp_gt_u32_e32 vcc, 8, v2
	v_cndmask_b32_e32 v2, v18, v10, vcc
	v_cndmask_b32_e32 v10, v13, v16, vcc
	v_lshlrev_b32_e32 v13, 24, v3
	v_bfrev_b32_e32 v16, 60
	v_lshlrev_b32_e32 v10, 20, v10
	v_and_b32_e32 v13, 0x80000000, v13
	v_lshl_add_u32 v2, v2, 23, v16
	v_or3_b32 v13, v13, v2, v10
.LBB603_715:
	s_or_b64 exec, exec, s[10:11]
.LBB603_716:
	s_or_b64 exec, exec, s[8:9]
.LBB603_717:
	s_or_b64 exec, exec, s[2:3]
	v_lshrrev_b16_e32 v2, 8, v3
	v_cmp_ne_u16_e32 vcc, 0, v2
	v_mov_b32_e32 v16, 0
	v_mov_b32_e32 v17, 0
	s_and_saveexec_b64 s[2:3], vcc
	s_cbranch_execz .LBB603_723
; %bb.718:
	s_movk_i32 s7, 0x80
	v_cmp_ne_u16_e32 vcc, s7, v2
	v_bfrev_b32_e32 v17, 1
	s_and_saveexec_b64 s[8:9], vcc
	s_cbranch_execz .LBB603_722
; %bb.719:
	s_movk_i32 s7, 0x7f
	v_and_b32_e32 v10, 0x7f, v2
	v_cmp_ne_u32_e32 vcc, s7, v10
	v_mov_b32_e32 v17, 0x7f800001
	s_and_saveexec_b64 s[10:11], vcc
	s_cbranch_execz .LBB603_721
; %bb.720:
	v_and_b32_e32 v17, 7, v2
	v_ffbh_u32_e32 v18, v17
	v_min_u32_e32 v21, 32, v18
	v_subrev_u32_e32 v18, 28, v21
	v_lshlrev_b64 v[18:19], v18, v[2:3]
	v_lshrrev_b32_e32 v20, 3, v10
	v_sub_u32_e32 v2, 29, v21
	v_and_b32_e32 v18, 7, v18
	v_cmp_gt_u32_e32 vcc, 8, v10
	v_cndmask_b32_e32 v2, v20, v2, vcc
	v_cndmask_b32_e32 v10, v17, v18, vcc
	v_lshlrev_b32_e32 v17, 16, v3
	v_bfrev_b32_e32 v18, 60
	v_lshlrev_b32_e32 v10, 20, v10
	v_and_b32_e32 v17, 0x80000000, v17
	v_lshl_add_u32 v2, v2, 23, v18
	v_or3_b32 v17, v17, v2, v10
.LBB603_721:
	s_or_b64 exec, exec, s[10:11]
.LBB603_722:
	s_or_b64 exec, exec, s[8:9]
.LBB603_723:
	s_or_b64 exec, exec, s[2:3]
	s_movk_i32 s2, 0xff
	v_and_b32_sdwa v10, v3, s2 dst_sel:DWORD dst_unused:UNUSED_PAD src0_sel:WORD_1 src1_sel:DWORD
	v_lshrrev_b32_e32 v2, 16, v3
	v_cmp_ne_u16_e32 vcc, 0, v10
	s_and_saveexec_b64 s[2:3], vcc
	s_cbranch_execz .LBB603_729
; %bb.724:
	s_movk_i32 s7, 0x80
	v_cmp_ne_u16_e32 vcc, s7, v10
	v_bfrev_b32_e32 v16, 1
	s_and_saveexec_b64 s[8:9], vcc
	s_cbranch_execz .LBB603_728
; %bb.725:
	v_bfe_u32 v10, v3, 16, 7
	s_movk_i32 s7, 0x7f
	v_cmp_ne_u32_e32 vcc, s7, v10
	v_mov_b32_e32 v16, 0x7f800001
	s_and_saveexec_b64 s[10:11], vcc
	s_cbranch_execz .LBB603_727
; %bb.726:
	v_and_b32_e32 v16, 7, v2
	v_ffbh_u32_e32 v18, v16
	v_min_u32_e32 v21, 32, v18
	v_subrev_u32_e32 v18, 28, v21
	v_lshlrev_b64 v[18:19], v18, v[2:3]
	v_and_b32_e32 v18, 7, v18
	v_cmp_gt_u32_e32 vcc, 8, v10
	v_lshrrev_b32_e32 v20, 3, v10
	v_sub_u32_e32 v2, 29, v21
	v_cndmask_b32_e32 v10, v16, v18, vcc
	v_mov_b32_e32 v16, 24
	v_cndmask_b32_e32 v2, v20, v2, vcc
	v_lshlrev_b32_sdwa v16, v16, v3 dst_sel:DWORD dst_unused:UNUSED_PAD src0_sel:DWORD src1_sel:WORD_1
	v_bfrev_b32_e32 v18, 60
	v_lshlrev_b32_e32 v10, 20, v10
	v_and_b32_e32 v16, 0x80000000, v16
	v_lshl_add_u32 v2, v2, 23, v18
	v_or3_b32 v16, v16, v2, v10
.LBB603_727:
	s_or_b64 exec, exec, s[10:11]
.LBB603_728:
	s_or_b64 exec, exec, s[8:9]
.LBB603_729:
	s_or_b64 exec, exec, s[2:3]
	s_mov_b32 s2, 0xffffff
	v_cmp_lt_u32_e32 vcc, s2, v3
	v_mov_b32_e32 v10, 0
	v_mov_b32_e32 v18, 0
	s_and_saveexec_b64 s[2:3], vcc
	s_cbranch_execz .LBB603_735
; %bb.730:
	v_lshrrev_b32_e32 v2, 24, v3
	s_movk_i32 s7, 0x80
	v_cmp_ne_u32_e32 vcc, s7, v2
	v_bfrev_b32_e32 v18, 1
	s_and_saveexec_b64 s[8:9], vcc
	s_cbranch_execz .LBB603_734
; %bb.731:
	v_bfe_u32 v3, v3, 24, 7
	s_movk_i32 s7, 0x7f
	v_cmp_ne_u32_e32 vcc, s7, v3
	v_mov_b32_e32 v18, 0x7f800001
	s_and_saveexec_b64 s[10:11], vcc
	s_cbranch_execz .LBB603_733
; %bb.732:
	v_and_b32_e32 v20, 7, v2
	v_ffbh_u32_e32 v18, v20
	v_min_u32_e32 v23, 32, v18
	v_subrev_u32_e32 v18, 28, v23
	v_lshlrev_b64 v[18:19], v18, v[2:3]
	v_lshrrev_b32_e32 v21, 3, v3
	v_sub_u32_e32 v19, 29, v23
	v_and_b32_e32 v18, 7, v18
	v_cmp_gt_u32_e32 vcc, 8, v3
	v_cndmask_b32_e32 v3, v21, v19, vcc
	v_cndmask_b32_e32 v18, v20, v18, vcc
	v_lshlrev_b32_e32 v2, 24, v2
	v_bfrev_b32_e32 v19, 60
	v_lshlrev_b32_e32 v18, 20, v18
	v_and_b32_e32 v2, 0x80000000, v2
	v_lshl_add_u32 v3, v3, 23, v19
	v_or3_b32 v18, v2, v3, v18
.LBB603_733:
	s_or_b64 exec, exec, s[10:11]
.LBB603_734:
	s_or_b64 exec, exec, s[8:9]
.LBB603_735:
	s_or_b64 exec, exec, s[2:3]
	v_cvt_pkrtz_f16_f32 v2, v15, v12
	v_cvt_pkrtz_f16_f32 v3, v11, v14
	ds_read_b128 v[24:27], v22 offset:6144
	v_cmp_ne_u16_sdwa s[8:9], v4, v10 src0_sel:BYTE_0 src1_sel:DWORD
	s_waitcnt lgkmcnt(0)
	v_mfma_f32_16x16x16f16 v[6:9], v[2:3], v[24:25], v[6:9]
	v_cvt_pkrtz_f16_f32 v2, v13, v17
	v_cvt_pkrtz_f16_f32 v3, v16, v18
	s_nop 1
	v_mfma_f32_16x16x16f16 v[6:9], v[2:3], v[26:27], v[6:9]
	s_and_saveexec_b64 s[2:3], s[8:9]
	s_cbranch_execz .LBB603_741
; %bb.736:
	s_movk_i32 s7, 0x80
	v_cmp_ne_u16_sdwa s[10:11], v4, s7 src0_sel:BYTE_0 src1_sel:DWORD
	v_bfrev_b32_e32 v10, 1
	s_and_saveexec_b64 s[8:9], s[10:11]
	s_cbranch_execz .LBB603_740
; %bb.737:
	s_movk_i32 s7, 0x7f
	v_and_b32_e32 v2, 0x7f, v4
	v_cmp_ne_u32_e32 vcc, s7, v2
	v_mov_b32_e32 v10, 0x7f800001
	s_and_saveexec_b64 s[10:11], vcc
	s_cbranch_execz .LBB603_739
; %bb.738:
	v_and_b32_e32 v3, 7, v4
	v_ffbh_u32_e32 v10, v3
	v_min_u32_e32 v13, 32, v10
	v_subrev_u32_e32 v10, 28, v13
	v_lshlrev_b64 v[10:11], v10, v[4:5]
	v_lshrrev_b32_e32 v12, 3, v2
	v_sub_u32_e32 v11, 29, v13
	v_and_b32_e32 v10, 7, v10
	v_cmp_gt_u32_e32 vcc, 8, v2
	v_cndmask_b32_e32 v2, v12, v11, vcc
	v_cndmask_b32_e32 v3, v3, v10, vcc
	v_lshlrev_b32_e32 v10, 24, v4
	v_bfrev_b32_e32 v11, 60
	v_lshlrev_b32_e32 v3, 20, v3
	v_and_b32_e32 v10, 0x80000000, v10
	v_lshl_add_u32 v2, v2, 23, v11
	v_or3_b32 v10, v10, v2, v3
.LBB603_739:
	s_or_b64 exec, exec, s[10:11]
.LBB603_740:
	s_or_b64 exec, exec, s[8:9]
.LBB603_741:
	s_or_b64 exec, exec, s[2:3]
	v_lshrrev_b16_e32 v2, 8, v4
	v_cmp_ne_u16_e32 vcc, 0, v2
	v_mov_b32_e32 v3, 0
	v_mov_b32_e32 v11, 0
	s_and_saveexec_b64 s[2:3], vcc
	s_cbranch_execz .LBB603_747
; %bb.742:
	s_movk_i32 s7, 0x80
	v_cmp_ne_u16_e32 vcc, s7, v2
	v_bfrev_b32_e32 v11, 1
	s_and_saveexec_b64 s[8:9], vcc
	s_cbranch_execz .LBB603_746
; %bb.743:
	s_movk_i32 s7, 0x7f
	v_and_b32_e32 v12, 0x7f, v2
	v_cmp_ne_u32_e32 vcc, s7, v12
	v_mov_b32_e32 v11, 0x7f800001
	s_and_saveexec_b64 s[10:11], vcc
	s_cbranch_execz .LBB603_745
; %bb.744:
	v_and_b32_e32 v11, 7, v2
	v_ffbh_u32_e32 v14, v11
	v_min_u32_e32 v16, 32, v14
	v_subrev_u32_e32 v14, 28, v16
	v_lshlrev_b64 v[14:15], v14, v[2:3]
	v_lshrrev_b32_e32 v13, 3, v12
	v_sub_u32_e32 v2, 29, v16
	v_and_b32_e32 v14, 7, v14
	v_cmp_gt_u32_e32 vcc, 8, v12
	v_cndmask_b32_e32 v2, v13, v2, vcc
	v_cndmask_b32_e32 v11, v11, v14, vcc
	v_lshlrev_b32_e32 v12, 16, v4
	v_bfrev_b32_e32 v13, 60
	v_lshlrev_b32_e32 v11, 20, v11
	v_and_b32_e32 v12, 0x80000000, v12
	v_lshl_add_u32 v2, v2, 23, v13
	v_or3_b32 v11, v12, v2, v11
.LBB603_745:
	s_or_b64 exec, exec, s[10:11]
.LBB603_746:
	s_or_b64 exec, exec, s[8:9]
.LBB603_747:
	s_or_b64 exec, exec, s[2:3]
	s_movk_i32 s2, 0xff
	v_and_b32_sdwa v12, v4, s2 dst_sel:DWORD dst_unused:UNUSED_PAD src0_sel:WORD_1 src1_sel:DWORD
	v_lshrrev_b32_e32 v2, 16, v4
	v_cmp_ne_u16_e32 vcc, 0, v12
	s_and_saveexec_b64 s[2:3], vcc
	s_cbranch_execz .LBB603_753
; %bb.748:
	s_movk_i32 s7, 0x80
	v_cmp_ne_u16_e32 vcc, s7, v12
	v_bfrev_b32_e32 v3, 1
	s_and_saveexec_b64 s[8:9], vcc
	s_cbranch_execz .LBB603_752
; %bb.749:
	v_bfe_u32 v12, v4, 16, 7
	s_movk_i32 s7, 0x7f
	v_cmp_ne_u32_e32 vcc, s7, v12
	v_mov_b32_e32 v3, 0x7f800001
	s_and_saveexec_b64 s[10:11], vcc
	s_cbranch_execz .LBB603_751
; %bb.750:
	v_and_b32_e32 v13, 7, v2
	v_ffbh_u32_e32 v3, v13
	v_min_u32_e32 v15, 32, v3
	v_subrev_u32_e32 v3, 28, v15
	v_lshlrev_b64 v[2:3], v3, v[2:3]
	v_lshrrev_b32_e32 v14, 3, v12
	v_sub_u32_e32 v3, 29, v15
	v_and_b32_e32 v2, 7, v2
	v_cmp_gt_u32_e32 vcc, 8, v12
	v_mov_b32_e32 v12, 24
	v_cndmask_b32_e32 v3, v14, v3, vcc
	v_cndmask_b32_e32 v2, v13, v2, vcc
	v_lshlrev_b32_sdwa v12, v12, v4 dst_sel:DWORD dst_unused:UNUSED_PAD src0_sel:DWORD src1_sel:WORD_1
	v_bfrev_b32_e32 v13, 60
	v_lshlrev_b32_e32 v2, 20, v2
	v_and_b32_e32 v12, 0x80000000, v12
	v_lshl_add_u32 v3, v3, 23, v13
	v_or3_b32 v3, v12, v3, v2
.LBB603_751:
	s_or_b64 exec, exec, s[10:11]
.LBB603_752:
	s_or_b64 exec, exec, s[8:9]
.LBB603_753:
	s_or_b64 exec, exec, s[2:3]
	s_mov_b32 s2, 0xffffff
	v_cmp_lt_u32_e32 vcc, s2, v4
	v_mov_b32_e32 v12, 0
	v_mov_b32_e32 v13, 0
	s_and_saveexec_b64 s[2:3], vcc
	s_cbranch_execz .LBB603_759
; %bb.754:
	v_lshrrev_b32_e32 v2, 24, v4
	s_movk_i32 s7, 0x80
	v_cmp_ne_u32_e32 vcc, s7, v2
	v_bfrev_b32_e32 v13, 1
	s_and_saveexec_b64 s[8:9], vcc
	s_cbranch_execz .LBB603_758
; %bb.755:
	v_bfe_u32 v4, v4, 24, 7
	s_movk_i32 s7, 0x7f
	v_cmp_ne_u32_e32 vcc, s7, v4
	v_mov_b32_e32 v13, 0x7f800001
	s_and_saveexec_b64 s[10:11], vcc
	s_cbranch_execz .LBB603_757
; %bb.756:
	v_and_b32_e32 v13, 7, v2
	v_ffbh_u32_e32 v14, v13
	v_min_u32_e32 v17, 32, v14
	v_subrev_u32_e32 v14, 28, v17
	v_lshlrev_b64 v[14:15], v14, v[2:3]
	v_lshrrev_b32_e32 v16, 3, v4
	v_sub_u32_e32 v15, 29, v17
	v_and_b32_e32 v14, 7, v14
	v_cmp_gt_u32_e32 vcc, 8, v4
	v_cndmask_b32_e32 v4, v16, v15, vcc
	v_cndmask_b32_e32 v13, v13, v14, vcc
	v_lshlrev_b32_e32 v2, 24, v2
	v_bfrev_b32_e32 v14, 60
	v_lshlrev_b32_e32 v13, 20, v13
	v_and_b32_e32 v2, 0x80000000, v2
	v_lshl_add_u32 v4, v4, 23, v14
	v_or3_b32 v13, v2, v4, v13
.LBB603_757:
	s_or_b64 exec, exec, s[10:11]
.LBB603_758:
	s_or_b64 exec, exec, s[8:9]
.LBB603_759:
	s_or_b64 exec, exec, s[2:3]
	v_cmp_ne_u16_sdwa s[8:9], v5, v12 src0_sel:BYTE_0 src1_sel:DWORD
	s_and_saveexec_b64 s[2:3], s[8:9]
	s_cbranch_execz .LBB603_765
; %bb.760:
	s_movk_i32 s7, 0x80
	v_cmp_ne_u16_sdwa s[10:11], v5, s7 src0_sel:BYTE_0 src1_sel:DWORD
	v_bfrev_b32_e32 v12, 1
	s_and_saveexec_b64 s[8:9], s[10:11]
	s_cbranch_execz .LBB603_764
; %bb.761:
	s_movk_i32 s7, 0x7f
	v_and_b32_e32 v2, 0x7f, v5
	v_cmp_ne_u32_e32 vcc, s7, v2
	v_mov_b32_e32 v12, 0x7f800001
	s_and_saveexec_b64 s[10:11], vcc
	s_cbranch_execz .LBB603_763
; %bb.762:
	v_and_b32_e32 v12, 7, v5
	v_ffbh_u32_e32 v14, v12
	v_min_u32_e32 v17, 32, v14
	v_mov_b32_e32 v4, v5
	v_subrev_u32_e32 v14, 28, v17
	v_lshlrev_b64 v[14:15], v14, v[4:5]
	v_lshrrev_b32_e32 v16, 3, v2
	v_sub_u32_e32 v4, 29, v17
	v_and_b32_e32 v14, 7, v14
	v_cmp_gt_u32_e32 vcc, 8, v2
	v_cndmask_b32_e32 v2, v16, v4, vcc
	v_cndmask_b32_e32 v4, v12, v14, vcc
	v_lshlrev_b32_e32 v12, 24, v5
	v_bfrev_b32_e32 v14, 60
	v_lshlrev_b32_e32 v4, 20, v4
	v_and_b32_e32 v12, 0x80000000, v12
	v_lshl_add_u32 v2, v2, 23, v14
	v_or3_b32 v12, v12, v2, v4
.LBB603_763:
	s_or_b64 exec, exec, s[10:11]
.LBB603_764:
	s_or_b64 exec, exec, s[8:9]
.LBB603_765:
	s_or_b64 exec, exec, s[2:3]
	v_lshrrev_b16_e32 v2, 8, v5
	v_cmp_ne_u16_e32 vcc, 0, v2
	v_mov_b32_e32 v4, 0
	v_mov_b32_e32 v14, 0
	s_and_saveexec_b64 s[2:3], vcc
	s_cbranch_execz .LBB603_771
; %bb.766:
	s_movk_i32 s7, 0x80
	v_cmp_ne_u16_e32 vcc, s7, v2
	v_bfrev_b32_e32 v14, 1
	s_and_saveexec_b64 s[8:9], vcc
	s_cbranch_execz .LBB603_770
; %bb.767:
	s_movk_i32 s7, 0x7f
	v_and_b32_e32 v15, 0x7f, v2
	v_cmp_ne_u32_e32 vcc, s7, v15
	v_mov_b32_e32 v14, 0x7f800001
	s_and_saveexec_b64 s[10:11], vcc
	s_cbranch_execz .LBB603_769
; %bb.768:
	v_and_b32_e32 v14, 7, v2
	v_ffbh_u32_e32 v16, v14
	v_min_u32_e32 v19, 32, v16
	v_subrev_u32_e32 v16, 28, v19
	v_lshlrev_b64 v[16:17], v16, v[2:3]
	v_lshrrev_b32_e32 v18, 3, v15
	v_sub_u32_e32 v2, 29, v19
	v_and_b32_e32 v16, 7, v16
	v_cmp_gt_u32_e32 vcc, 8, v15
	v_cndmask_b32_e32 v2, v18, v2, vcc
	v_cndmask_b32_e32 v14, v14, v16, vcc
	v_lshlrev_b32_e32 v15, 16, v5
	v_bfrev_b32_e32 v16, 60
	v_lshlrev_b32_e32 v14, 20, v14
	v_and_b32_e32 v15, 0x80000000, v15
	v_lshl_add_u32 v2, v2, 23, v16
	v_or3_b32 v14, v15, v2, v14
.LBB603_769:
	s_or_b64 exec, exec, s[10:11]
.LBB603_770:
	s_or_b64 exec, exec, s[8:9]
.LBB603_771:
	s_or_b64 exec, exec, s[2:3]
	s_movk_i32 s2, 0xff
	v_and_b32_sdwa v15, v5, s2 dst_sel:DWORD dst_unused:UNUSED_PAD src0_sel:WORD_1 src1_sel:DWORD
	v_lshrrev_b32_e32 v2, 16, v5
	v_cmp_ne_u16_e32 vcc, 0, v15
	s_and_saveexec_b64 s[2:3], vcc
	s_cbranch_execz .LBB603_777
; %bb.772:
	s_movk_i32 s7, 0x80
	v_cmp_ne_u16_e32 vcc, s7, v15
	v_bfrev_b32_e32 v4, 1
	s_and_saveexec_b64 s[8:9], vcc
	s_cbranch_execz .LBB603_776
; %bb.773:
	v_bfe_u32 v15, v5, 16, 7
	s_movk_i32 s7, 0x7f
	v_cmp_ne_u32_e32 vcc, s7, v15
	v_mov_b32_e32 v4, 0x7f800001
	s_and_saveexec_b64 s[10:11], vcc
	s_cbranch_execz .LBB603_775
; %bb.774:
	v_and_b32_e32 v4, 7, v2
	v_ffbh_u32_e32 v16, v4
	v_min_u32_e32 v19, 32, v16
	v_subrev_u32_e32 v16, 28, v19
	v_lshlrev_b64 v[16:17], v16, v[2:3]
	v_lshrrev_b32_e32 v18, 3, v15
	v_sub_u32_e32 v2, 29, v19
	v_and_b32_e32 v16, 7, v16
	v_cmp_gt_u32_e32 vcc, 8, v15
	v_mov_b32_e32 v15, 24
	v_cndmask_b32_e32 v2, v18, v2, vcc
	v_cndmask_b32_e32 v4, v4, v16, vcc
	v_lshlrev_b32_sdwa v15, v15, v5 dst_sel:DWORD dst_unused:UNUSED_PAD src0_sel:DWORD src1_sel:WORD_1
	v_bfrev_b32_e32 v16, 60
	v_lshlrev_b32_e32 v4, 20, v4
	v_and_b32_e32 v15, 0x80000000, v15
	v_lshl_add_u32 v2, v2, 23, v16
	v_or3_b32 v4, v15, v2, v4
.LBB603_775:
	s_or_b64 exec, exec, s[10:11]
.LBB603_776:
	s_or_b64 exec, exec, s[8:9]
.LBB603_777:
	s_or_b64 exec, exec, s[2:3]
	s_mov_b32 s2, 0xffffff
	v_cmp_lt_u32_e32 vcc, s2, v5
	v_mov_b32_e32 v15, 0
	s_and_saveexec_b64 s[2:3], vcc
	s_cbranch_execz .LBB603_783
; %bb.778:
	v_lshrrev_b32_e32 v2, 24, v5
	s_movk_i32 s7, 0x80
	v_cmp_ne_u32_e32 vcc, s7, v2
	v_bfrev_b32_e32 v15, 1
	s_and_saveexec_b64 s[8:9], vcc
	s_cbranch_execz .LBB603_782
; %bb.779:
	v_bfe_u32 v5, v5, 24, 7
	s_movk_i32 s7, 0x7f
	v_cmp_ne_u32_e32 vcc, s7, v5
	v_mov_b32_e32 v15, 0x7f800001
	s_and_saveexec_b64 s[10:11], vcc
	s_cbranch_execz .LBB603_781
; %bb.780:
	v_and_b32_e32 v15, 7, v2
	v_ffbh_u32_e32 v16, v15
	v_min_u32_e32 v19, 32, v16
	v_subrev_u32_e32 v16, 28, v19
	v_lshlrev_b64 v[16:17], v16, v[2:3]
	v_lshrrev_b32_e32 v18, 3, v5
	v_sub_u32_e32 v17, 29, v19
	v_and_b32_e32 v16, 7, v16
	v_cmp_gt_u32_e32 vcc, 8, v5
	v_cndmask_b32_e32 v5, v18, v17, vcc
	v_cndmask_b32_e32 v15, v15, v16, vcc
	v_lshlrev_b32_e32 v2, 24, v2
	v_bfrev_b32_e32 v16, 60
	v_lshlrev_b32_e32 v15, 20, v15
	v_and_b32_e32 v2, 0x80000000, v2
	v_lshl_add_u32 v5, v5, 23, v16
	v_or3_b32 v15, v2, v5, v15
.LBB603_781:
	s_or_b64 exec, exec, s[10:11]
.LBB603_782:
	s_or_b64 exec, exec, s[8:9]
.LBB603_783:
	s_or_b64 exec, exec, s[2:3]
	v_cvt_pkrtz_f16_f32 v2, v10, v11
	v_cvt_pkrtz_f16_f32 v3, v3, v13
	ds_read_b128 v[16:19], v22 offset:6160
	s_load_dword s2, s[42:43], 0x0
	v_cmp_gt_u32_e32 vcc, 64, v0
	s_waitcnt lgkmcnt(0)
	v_mfma_f32_16x16x16f16 v[6:9], v[2:3], v[16:17], v[6:9]
	v_cvt_pkrtz_f16_f32 v2, v12, v14
	v_cvt_pkrtz_f16_f32 v3, v4, v15
	s_and_b64 s[0:1], vcc, s[0:1]
	s_barrier
	v_mfma_f32_16x16x16f16 v[2:5], v[2:3], v[18:19], v[6:9]
	s_nop 7
	s_nop 2
	v_pk_mul_f32 v[4:5], v[4:5], s[2:3] op_sel_hi:[1,0]
	v_pk_mul_f32 v[2:3], v[2:3], s[2:3] op_sel_hi:[1,0]
	v_cvt_f16_f32_e32 v2, v2
	v_cvt_f16_f32_e32 v3, v3
	;; [unrolled: 1-line block ×4, first 2 shown]
	v_pack_b32_f16 v2, v2, v3
	v_pack_b32_f16 v3, v4, v5
	ds_write_b64 v28, v[2:3]
	s_waitcnt lgkmcnt(0)
	s_barrier
	s_and_saveexec_b64 s[2:3], s[0:1]
	s_cbranch_execz .LBB603_786
; %bb.784:
	s_load_dwordx2 s[2:3], s[4:5], 0x68
	s_lshl_b32 s0, s44, 6
	s_mul_i32 s1, s12, s6
	s_mul_hi_u32 s7, s1, s0
	s_mul_i32 s6, s1, s0
	s_lshl_b64 s[6:7], s[6:7], 1
	s_waitcnt lgkmcnt(0)
	s_add_u32 s1, s2, s6
	v_lshlrev_b32_e32 v0, 10, v0
	s_mov_b32 s5, 0
	s_addc_u32 s6, s3, s7
	s_lshl_b32 s4, s24, 6
	v_and_b32_e32 v0, 0x1800, v0
	v_lshlrev_b32_e32 v2, 5, v1
	v_and_b32_e32 v3, 16, v47
	s_lshl_b64 s[2:3], s[4:5], 1
	v_or3_b32 v0, v0, v2, v3
	s_add_u32 s1, s1, s2
	ds_read_b128 v[6:9], v0 offset:256
	v_or_b32_e32 v2, 12, v1
	s_addc_u32 s2, s6, s3
	ds_read_b128 v[10:13], v0 offset:128
	ds_read_b128 v[14:17], v0
	v_add_u32_e32 v1, s25, v1
	v_mov_b32_e32 v4, s2
	v_add_co_u32_e32 v3, vcc, s1, v46
	v_mad_u64_u32 v[18:19], s[2:3], v1, s0, 0
	v_addc_co_u32_e32 v4, vcc, 0, v4, vcc
	v_lshlrev_b64 v[18:19], 1, v[18:19]
	v_add_co_u32_e32 v18, vcc, v3, v18
	v_addc_co_u32_e32 v19, vcc, v4, v19, vcc
	v_add_u32_e32 v5, 4, v1
	s_waitcnt lgkmcnt(0)
	global_store_dwordx4 v[18:19], v[14:17], off
	v_add_u32_e32 v1, 8, v1
	v_mad_u64_u32 v[14:15], s[2:3], v5, s0, 0
	v_lshlrev_b64 v[14:15], 1, v[14:15]
	v_add_co_u32_e32 v14, vcc, v3, v14
	v_addc_co_u32_e32 v15, vcc, v4, v15, vcc
	global_store_dwordx4 v[14:15], v[10:13], off
	s_nop 0
	v_mad_u64_u32 v[10:11], s[2:3], v1, s0, 0
	v_lshlrev_b64 v[10:11], 1, v[10:11]
	v_add_co_u32_e32 v10, vcc, v3, v10
	v_addc_co_u32_e32 v11, vcc, v4, v11, vcc
	v_cmp_gt_u32_e32 vcc, 14, v2
	global_store_dwordx4 v[10:11], v[6:9], off
	s_and_b64 exec, exec, vcc
	s_cbranch_execz .LBB603_786
; %bb.785:
	ds_read_b128 v[6:9], v0 offset:384
	v_add_u32_e32 v0, s25, v2
	v_mad_u64_u32 v[0:1], s[0:1], v0, s0, 0
	v_lshlrev_b64 v[0:1], 1, v[0:1]
	v_add_co_u32_e32 v0, vcc, v3, v0
	v_addc_co_u32_e32 v1, vcc, v4, v1, vcc
	s_waitcnt lgkmcnt(0)
	global_store_dwordx4 v[0:1], v[6:9], off
.LBB603_786:
	s_endpgm
	.section	.rodata,"a",@progbits
	.p2align	6, 0x0
	.amdhsa_kernel _Z39paged_attention_ll4mi_QKV_mfma16_kernelIDF16_hLN4vllm18Fp8KVCacheDataTypeE1EDF16_Li32ELi64ELi256ELb0ELi14EL8MFMAType0EEvPKT_PKT0_S8_ifPKiSA_SA_iPKfiiiPfSD_PS3_PT2_iSC_SC_
		.amdhsa_group_segment_fixed_size 8192
		.amdhsa_private_segment_fixed_size 0
		.amdhsa_kernarg_size 400
		.amdhsa_user_sgpr_count 6
		.amdhsa_user_sgpr_private_segment_buffer 1
		.amdhsa_user_sgpr_dispatch_ptr 0
		.amdhsa_user_sgpr_queue_ptr 0
		.amdhsa_user_sgpr_kernarg_segment_ptr 1
		.amdhsa_user_sgpr_dispatch_id 0
		.amdhsa_user_sgpr_flat_scratch_init 0
		.amdhsa_user_sgpr_kernarg_preload_length 0
		.amdhsa_user_sgpr_kernarg_preload_offset 0
		.amdhsa_user_sgpr_private_segment_size 0
		.amdhsa_uses_dynamic_stack 0
		.amdhsa_system_sgpr_private_segment_wavefront_offset 0
		.amdhsa_system_sgpr_workgroup_id_x 1
		.amdhsa_system_sgpr_workgroup_id_y 1
		.amdhsa_system_sgpr_workgroup_id_z 1
		.amdhsa_system_sgpr_workgroup_info 0
		.amdhsa_system_vgpr_workitem_id 0
		.amdhsa_next_free_vgpr 62
		.amdhsa_next_free_sgpr 47
		.amdhsa_accum_offset 64
		.amdhsa_reserve_vcc 1
		.amdhsa_reserve_flat_scratch 0
		.amdhsa_float_round_mode_32 0
		.amdhsa_float_round_mode_16_64 0
		.amdhsa_float_denorm_mode_32 3
		.amdhsa_float_denorm_mode_16_64 3
		.amdhsa_dx10_clamp 1
		.amdhsa_ieee_mode 1
		.amdhsa_fp16_overflow 0
		.amdhsa_tg_split 0
		.amdhsa_exception_fp_ieee_invalid_op 0
		.amdhsa_exception_fp_denorm_src 0
		.amdhsa_exception_fp_ieee_div_zero 0
		.amdhsa_exception_fp_ieee_overflow 0
		.amdhsa_exception_fp_ieee_underflow 0
		.amdhsa_exception_fp_ieee_inexact 0
		.amdhsa_exception_int_div_zero 0
	.end_amdhsa_kernel
	.section	.text._Z39paged_attention_ll4mi_QKV_mfma16_kernelIDF16_hLN4vllm18Fp8KVCacheDataTypeE1EDF16_Li32ELi64ELi256ELb0ELi14EL8MFMAType0EEvPKT_PKT0_S8_ifPKiSA_SA_iPKfiiiPfSD_PS3_PT2_iSC_SC_,"axG",@progbits,_Z39paged_attention_ll4mi_QKV_mfma16_kernelIDF16_hLN4vllm18Fp8KVCacheDataTypeE1EDF16_Li32ELi64ELi256ELb0ELi14EL8MFMAType0EEvPKT_PKT0_S8_ifPKiSA_SA_iPKfiiiPfSD_PS3_PT2_iSC_SC_,comdat
.Lfunc_end603:
	.size	_Z39paged_attention_ll4mi_QKV_mfma16_kernelIDF16_hLN4vllm18Fp8KVCacheDataTypeE1EDF16_Li32ELi64ELi256ELb0ELi14EL8MFMAType0EEvPKT_PKT0_S8_ifPKiSA_SA_iPKfiiiPfSD_PS3_PT2_iSC_SC_, .Lfunc_end603-_Z39paged_attention_ll4mi_QKV_mfma16_kernelIDF16_hLN4vllm18Fp8KVCacheDataTypeE1EDF16_Li32ELi64ELi256ELb0ELi14EL8MFMAType0EEvPKT_PKT0_S8_ifPKiSA_SA_iPKfiiiPfSD_PS3_PT2_iSC_SC_
                                        ; -- End function
	.section	.AMDGPU.csdata,"",@progbits
; Kernel info:
; codeLenInByte = 27092
; NumSgprs: 51
; NumVgprs: 62
; NumAgprs: 0
; TotalNumVgprs: 62
; ScratchSize: 0
; MemoryBound: 0
; FloatMode: 240
; IeeeMode: 1
; LDSByteSize: 8192 bytes/workgroup (compile time only)
; SGPRBlocks: 6
; VGPRBlocks: 7
; NumSGPRsForWavesPerEU: 51
; NumVGPRsForWavesPerEU: 62
; AccumOffset: 64
; Occupancy: 8
; WaveLimiterHint : 1
; COMPUTE_PGM_RSRC2:SCRATCH_EN: 0
; COMPUTE_PGM_RSRC2:USER_SGPR: 6
; COMPUTE_PGM_RSRC2:TRAP_HANDLER: 0
; COMPUTE_PGM_RSRC2:TGID_X_EN: 1
; COMPUTE_PGM_RSRC2:TGID_Y_EN: 1
; COMPUTE_PGM_RSRC2:TGID_Z_EN: 1
; COMPUTE_PGM_RSRC2:TIDIG_COMP_CNT: 0
; COMPUTE_PGM_RSRC3_GFX90A:ACCUM_OFFSET: 15
; COMPUTE_PGM_RSRC3_GFX90A:TG_SPLIT: 0
	.section	.text._Z39paged_attention_ll4mi_QKV_mfma16_kernelIDF16_hLN4vllm18Fp8KVCacheDataTypeE1EDF16_Li32ELi64ELi256ELb0ELi15EL8MFMAType0EEvPKT_PKT0_S8_ifPKiSA_SA_iPKfiiiPfSD_PS3_PT2_iSC_SC_,"axG",@progbits,_Z39paged_attention_ll4mi_QKV_mfma16_kernelIDF16_hLN4vllm18Fp8KVCacheDataTypeE1EDF16_Li32ELi64ELi256ELb0ELi15EL8MFMAType0EEvPKT_PKT0_S8_ifPKiSA_SA_iPKfiiiPfSD_PS3_PT2_iSC_SC_,comdat
	.protected	_Z39paged_attention_ll4mi_QKV_mfma16_kernelIDF16_hLN4vllm18Fp8KVCacheDataTypeE1EDF16_Li32ELi64ELi256ELb0ELi15EL8MFMAType0EEvPKT_PKT0_S8_ifPKiSA_SA_iPKfiiiPfSD_PS3_PT2_iSC_SC_ ; -- Begin function _Z39paged_attention_ll4mi_QKV_mfma16_kernelIDF16_hLN4vllm18Fp8KVCacheDataTypeE1EDF16_Li32ELi64ELi256ELb0ELi15EL8MFMAType0EEvPKT_PKT0_S8_ifPKiSA_SA_iPKfiiiPfSD_PS3_PT2_iSC_SC_
	.globl	_Z39paged_attention_ll4mi_QKV_mfma16_kernelIDF16_hLN4vllm18Fp8KVCacheDataTypeE1EDF16_Li32ELi64ELi256ELb0ELi15EL8MFMAType0EEvPKT_PKT0_S8_ifPKiSA_SA_iPKfiiiPfSD_PS3_PT2_iSC_SC_
	.p2align	8
	.type	_Z39paged_attention_ll4mi_QKV_mfma16_kernelIDF16_hLN4vllm18Fp8KVCacheDataTypeE1EDF16_Li32ELi64ELi256ELb0ELi15EL8MFMAType0EEvPKT_PKT0_S8_ifPKiSA_SA_iPKfiiiPfSD_PS3_PT2_iSC_SC_,@function
_Z39paged_attention_ll4mi_QKV_mfma16_kernelIDF16_hLN4vllm18Fp8KVCacheDataTypeE1EDF16_Li32ELi64ELi256ELb0ELi15EL8MFMAType0EEvPKT_PKT0_S8_ifPKiSA_SA_iPKfiiiPfSD_PS3_PT2_iSC_SC_: ; @_Z39paged_attention_ll4mi_QKV_mfma16_kernelIDF16_hLN4vllm18Fp8KVCacheDataTypeE1EDF16_Li32ELi64ELi256ELb0ELi15EL8MFMAType0EEvPKT_PKT0_S8_ifPKiSA_SA_iPKfiiiPfSD_PS3_PT2_iSC_SC_
; %bb.0:
	s_load_dwordx2 s[0:1], s[4:5], 0x30
	s_mov_b32 s24, s7
	s_mov_b64 s[10:11], 0
	s_waitcnt lgkmcnt(0)
	s_cmp_lg_u64 s[0:1], 0
	s_cselect_b64 s[2:3], -1, 0
	s_and_b64 vcc, exec, s[2:3]
	s_cbranch_vccz .LBB604_7
; %bb.1:
	s_add_i32 s12, s6, 1
	s_mov_b32 s13, 0
	s_lshl_b64 s[14:15], s[12:13], 2
	s_add_u32 s14, s0, s14
	s_mov_b32 s7, s13
	s_addc_u32 s15, s1, s15
	s_lshl_b64 s[12:13], s[6:7], 2
	s_add_u32 s12, s0, s12
	s_addc_u32 s13, s1, s13
	s_load_dword s9, s[14:15], 0x0
	s_load_dword s16, s[12:13], 0x0
	s_waitcnt lgkmcnt(0)
	s_sub_i32 s9, s9, s16
	s_cmp_eq_u32 s9, 1
	s_cselect_b64 s[12:13], -1, 0
	s_andn2_b64 vcc, exec, s[10:11]
	s_cbranch_vccnz .LBB604_3
.LBB604_2:
	s_mov_b32 s7, 0
	s_mov_b64 s[12:13], -1
.LBB604_3:
	s_andn2_b64 vcc, exec, s[12:13]
	s_cbranch_vccnz .LBB604_786
; %bb.4:
	s_load_dwordx2 s[12:13], s[4:5], 0x28
	s_lshl_b64 s[10:11], s[6:7], 2
	s_waitcnt lgkmcnt(0)
	s_add_u32 s12, s12, s10
	s_addc_u32 s13, s13, s11
	s_load_dword s33, s[12:13], 0x0
	s_lshl_b32 s20, s24, 8
	s_waitcnt lgkmcnt(0)
	s_cmp_ge_i32 s20, s33
	s_cbranch_scc1 .LBB604_786
; %bb.5:
	s_add_i32 s14, s33, 31
	s_load_dwordx2 s[12:13], s[4:5], 0x20
	s_load_dword s9, s[4:5], 0x38
	s_ashr_i32 s15, s14, 31
	v_and_b32_e32 v1, 0xcf, v0
	s_lshr_b32 s15, s15, 27
	v_add_u32_e32 v1, s20, v1
	s_add_i32 s14, s14, s15
	v_ashrrev_i32_e32 v2, 31, v1
	s_ashr_i32 s22, s14, 5
	v_lshrrev_b32_e32 v4, 27, v2
	s_add_i32 s22, s22, -1
	v_add_u32_e32 v2, v1, v4
	s_waitcnt lgkmcnt(0)
	s_mul_i32 s14, s6, s9
	s_mov_b32 s15, 0
	v_ashrrev_i32_e32 v2, 5, v2
	v_mov_b32_e32 v5, s22
	v_cmp_gt_i32_e32 vcc, s33, v1
	s_lshl_b64 s[14:15], s[14:15], 2
	v_cndmask_b32_e32 v2, v5, v2, vcc
	s_add_u32 s9, s12, s14
	v_ashrrev_i32_e32 v3, 31, v2
	s_addc_u32 s21, s13, s15
	v_lshlrev_b64 v[2:3], 2, v[2:3]
	v_mov_b32_e32 v7, s21
	v_add_co_u32_e32 v6, vcc, s9, v2
	v_or_b32_e32 v2, 16, v1
	v_addc_co_u32_e32 v7, vcc, v7, v3, vcc
	v_add_u32_e32 v3, v2, v4
	v_ashrrev_i32_e32 v3, 5, v3
	v_cmp_gt_i32_e32 vcc, s33, v2
	v_cndmask_b32_e32 v2, v5, v3, vcc
	v_ashrrev_i32_e32 v3, 31, v2
	v_lshlrev_b64 v[2:3], 2, v[2:3]
	v_mov_b32_e32 v9, s21
	v_add_co_u32_e32 v8, vcc, s9, v2
	v_or_b32_e32 v2, 32, v1
	v_addc_co_u32_e32 v9, vcc, v9, v3, vcc
	v_add_u32_e32 v3, v2, v4
	v_ashrrev_i32_e32 v3, 5, v3
	v_cmp_gt_i32_e32 vcc, s33, v2
	v_cndmask_b32_e32 v2, v5, v3, vcc
	v_ashrrev_i32_e32 v3, 31, v2
	;; [unrolled: 10-line block ×3, first 2 shown]
	v_lshlrev_b64 v[2:3], 2, v[2:3]
	v_mov_b32_e32 v1, s21
	v_add_co_u32_e32 v12, vcc, s9, v2
	v_addc_co_u32_e32 v13, vcc, v1, v3, vcc
	global_load_dword v5, v[6:7], off
	global_load_dword v4, v[8:9], off
	;; [unrolled: 1-line block ×4, first 2 shown]
	s_load_dwordx4 s[12:15], s[4:5], 0x8
	s_andn2_b64 vcc, exec, s[2:3]
	s_cbranch_vccnz .LBB604_8
; %bb.6:
	s_add_u32 s0, s0, s10
	s_addc_u32 s1, s1, s11
	s_load_dword s10, s[0:1], 0x0
	s_branch .LBB604_9
.LBB604_7:
	s_mov_b64 s[12:13], 0
	s_branch .LBB604_2
.LBB604_8:
	s_mov_b32 s10, s6
.LBB604_9:
	s_load_dwordx4 s[16:19], s[4:5], 0x48
	v_lshrrev_b32_e32 v50, 6, v0
	v_bfe_u32 v1, v0, 4, 2
	v_lshl_or_b32 v6, v50, 2, v1
	v_and_b32_e32 v49, 15, v0
	v_lshlrev_b32_e32 v7, 3, v49
	v_cmp_gt_u32_e32 vcc, 15, v6
	v_cmp_gt_u32_e64 s[0:1], 8, v49
	s_mul_i32 s25, s8, 15
	s_and_b64 s[26:27], s[0:1], vcc
	v_lshlrev_b32_e32 v46, 1, v7
	v_lshlrev_b32_e32 v47, 4, v0
	s_and_saveexec_b64 s[2:3], s[26:27]
	s_cbranch_execz .LBB604_11
; %bb.10:
	s_load_dwordx2 s[26:27], s[4:5], 0x0
	s_waitcnt lgkmcnt(0)
	s_ashr_i32 s11, s16, 31
	s_mul_hi_u32 s19, s10, s16
	s_mul_i32 s11, s10, s11
	s_add_i32 s11, s19, s11
	s_mul_i32 s10, s10, s16
	s_lshl_b64 s[10:11], s[10:11], 1
	v_add_lshl_u32 v8, v6, s25, 6
	s_add_u32 s10, s26, s10
	v_ashrrev_i32_e32 v9, 31, v8
	s_addc_u32 s11, s27, s11
	v_lshlrev_b64 v[8:9], 1, v[8:9]
	v_mov_b32_e32 v7, s11
	v_add_co_u32_e32 v8, vcc, s10, v8
	v_addc_co_u32_e32 v7, vcc, v7, v9, vcc
	v_add_co_u32_e32 v8, vcc, v8, v46
	v_addc_co_u32_e32 v9, vcc, 0, v7, vcc
	global_load_dwordx4 v[8:11], v[8:9], off
	v_lshlrev_b32_e32 v12, 8, v49
	v_lshlrev_b32_e32 v6, 5, v6
	v_and_b32_e32 v7, 16, v47
	v_and_b32_e32 v12, 0xe00, v12
	v_or3_b32 v6, v12, v6, v7
	s_waitcnt vmcnt(0)
	ds_write_b128 v6, v[8:11]
.LBB604_11:
	s_or_b64 exec, exec, s[2:3]
	s_waitcnt lgkmcnt(0)
	s_mul_i32 s8, s8, s18
	s_add_u32 s2, s12, s8
	s_addc_u32 s3, s13, 0
	v_and_b32_e32 v12, 48, v0
	s_ashr_i32 s10, s20, 31
	v_or_b32_e32 v13, s20, v12
	s_lshr_b32 s10, s10, 27
	v_add_u32_e32 v6, s10, v13
	v_ashrrev_i32_e32 v6, 5, v6
	v_mov_b32_e32 v14, s22
	v_cmp_gt_i32_e32 vcc, s33, v13
	v_cndmask_b32_e32 v6, v14, v6, vcc
	v_ashrrev_i32_e32 v7, 31, v6
	v_lshlrev_b64 v[6:7], 2, v[6:7]
	v_mov_b32_e32 v8, s21
	v_add_co_u32_e32 v6, vcc, s9, v6
	v_addc_co_u32_e32 v7, vcc, v8, v7, vcc
	v_or_b32_e32 v8, 64, v13
	v_add_u32_e32 v9, s10, v8
	v_ashrrev_i32_e32 v9, 5, v9
	v_cmp_gt_i32_e32 vcc, s33, v8
	v_cndmask_b32_e32 v8, v14, v9, vcc
	v_ashrrev_i32_e32 v9, 31, v8
	v_lshlrev_b64 v[8:9], 2, v[8:9]
	v_mov_b32_e32 v10, s21
	v_add_co_u32_e32 v8, vcc, s9, v8
	v_addc_co_u32_e32 v9, vcc, v10, v9, vcc
	v_or_b32_e32 v10, 0x80, v13
	v_add_u32_e32 v11, s10, v10
	v_ashrrev_i32_e32 v11, 5, v11
	v_cmp_gt_i32_e32 vcc, s33, v10
	v_cndmask_b32_e32 v10, v14, v11, vcc
	v_ashrrev_i32_e32 v11, 31, v10
	v_lshlrev_b64 v[10:11], 2, v[10:11]
	v_mov_b32_e32 v15, s21
	v_add_co_u32_e32 v10, vcc, s9, v10
	s_load_dwordx2 s[44:45], s[4:5], 0x94
	s_load_dwordx4 s[40:43], s[4:5], 0x80
	s_waitcnt lgkmcnt(0)
	s_barrier
	v_addc_co_u32_e32 v11, vcc, v15, v11, vcc
	global_load_dword v15, v[6:7], off
	global_load_dword v16, v[8:9], off
	;; [unrolled: 1-line block ×3, first 2 shown]
	v_or_b32_e32 v6, 0xc0, v13
	v_add_u32_e32 v7, s10, v6
	v_ashrrev_i32_e32 v7, 5, v7
	v_cmp_gt_i32_e32 vcc, s33, v6
	v_cndmask_b32_e32 v6, v14, v7, vcc
	v_ashrrev_i32_e32 v7, 31, v6
	v_lshlrev_b64 v[6:7], 2, v[6:7]
	v_mov_b32_e32 v8, s21
	v_add_co_u32_e32 v6, vcc, s9, v6
	v_addc_co_u32_e32 v7, vcc, v8, v7, vcc
	global_load_dword v20, v[6:7], off
	v_pk_mov_b32 v[6:7], s[2:3], s[2:3] op_sel:[0,1]
	s_waitcnt vmcnt(7)
	v_mad_i64_i32 v[8:9], s[2:3], v5, s17, v[6:7]
	v_lshlrev_b32_e32 v11, 4, v49
	v_add_co_u32_e32 v5, vcc, v8, v11
	v_lshlrev_b32_e32 v10, 5, v12
	v_addc_co_u32_e32 v9, vcc, 0, v9, vcc
	v_add_co_u32_e32 v8, vcc, v5, v10
	v_addc_co_u32_e32 v9, vcc, 0, v9, vcc
	s_waitcnt vmcnt(6)
	v_mad_i64_i32 v[4:5], s[2:3], v4, s17, v[6:7]
	v_or_b32_e32 v12, 0x100, v11
	v_add_co_u32_e32 v4, vcc, v4, v12
	v_addc_co_u32_e32 v5, vcc, 0, v5, vcc
	v_add_co_u32_e32 v4, vcc, v4, v10
	v_addc_co_u32_e32 v5, vcc, 0, v5, vcc
	global_load_dwordx4 v[30:33], v[8:9], off
	global_load_dwordx4 v[38:41], v[4:5], off
	s_waitcnt vmcnt(7)
	v_mad_i64_i32 v[4:5], s[2:3], v3, s17, v[6:7]
	v_add_co_u32_e32 v3, vcc, v4, v11
	v_addc_co_u32_e32 v5, vcc, 0, v5, vcc
	v_add_co_u32_e32 v4, vcc, v3, v10
	v_addc_co_u32_e32 v5, vcc, 0, v5, vcc
	s_waitcnt vmcnt(6)
	v_mad_i64_i32 v[2:3], s[2:3], v2, s17, v[6:7]
	v_add_co_u32_e32 v2, vcc, v2, v12
	v_addc_co_u32_e32 v3, vcc, 0, v3, vcc
	v_add_co_u32_e32 v2, vcc, v2, v10
	s_add_u32 s2, s14, s8
	v_addc_co_u32_e32 v3, vcc, 0, v3, vcc
	global_load_dwordx4 v[34:37], v[4:5], off
	global_load_dwordx4 v[22:25], v[2:3], off
	s_addc_u32 s3, s15, 0
	v_and_b32_e32 v2, 16, v0
	v_mov_b32_e32 v3, s3
	v_add_co_u32_e32 v2, vcc, s2, v2
	v_lshlrev_b32_e32 v48, 5, v49
	v_addc_co_u32_e32 v3, vcc, 0, v3, vcc
	v_lshl_or_b32 v4, v50, 9, v48
	v_add_co_u32_e32 v2, vcc, v2, v4
	v_addc_co_u32_e32 v3, vcc, 0, v3, vcc
	v_cmp_ne_u32_e32 vcc, 15, v49
	v_mov_b32_e32 v43, 0
	s_movk_i32 s8, 0x80
	v_mov_b32_e32 v44, 0
	s_waitcnt vmcnt(7)
	v_mad_i64_i32 v[4:5], s[2:3], v15, s17, v[2:3]
	s_waitcnt vmcnt(6)
	v_mad_i64_i32 v[6:7], s[2:3], v16, s17, v[2:3]
	;; [unrolled: 2-line block ×3, first 2 shown]
	global_load_dwordx4 v[14:17], v[4:5], off
	global_load_dwordx4 v[10:13], v[6:7], off
	s_waitcnt vmcnt(6)
	v_mad_i64_i32 v[20:21], s[2:3], v20, s17, v[2:3]
	global_load_dwordx4 v[6:9], v[18:19], off
	global_load_dwordx4 v[2:5], v[20:21], off
	v_cndmask_b32_e32 v18, 0, v49, vcc
	v_lshlrev_b32_e32 v18, 5, v18
	v_lshl_or_b32 v18, v1, 9, v18
	ds_read_b128 v[26:29], v18
	ds_read_b128 v[18:21], v18 offset:16
	s_load_dword s12, s[40:41], 0x0
	s_waitcnt vmcnt(7)
	v_cmp_ne_u16_sdwa s[10:11], v30, v43 src0_sel:BYTE_0 src1_sel:DWORD
	s_and_saveexec_b64 s[2:3], s[10:11]
	s_cbranch_execz .LBB604_17
; %bb.12:
	v_cmp_ne_u16_sdwa s[10:11], v30, s8 src0_sel:BYTE_0 src1_sel:DWORD
	v_bfrev_b32_e32 v44, 1
	s_and_saveexec_b64 s[8:9], s[10:11]
	s_cbranch_execz .LBB604_16
; %bb.13:
	s_movk_i32 s10, 0x7f
	v_and_b32_e32 v42, 0x7f, v30
	v_cmp_ne_u32_e32 vcc, s10, v42
	v_mov_b32_e32 v44, 0x7f800001
	s_and_saveexec_b64 s[10:11], vcc
	s_cbranch_execz .LBB604_15
; %bb.14:
	v_and_b32_e32 v51, 7, v30
	v_ffbh_u32_e32 v44, v51
	v_min_u32_e32 v53, 32, v44
	v_subrev_u32_e32 v44, 28, v53
	v_lshlrev_b64 v[44:45], v44, v[30:31]
	v_lshrrev_b32_e32 v52, 3, v42
	v_sub_u32_e32 v45, 29, v53
	v_and_b32_e32 v44, 7, v44
	v_cmp_gt_u32_e32 vcc, 8, v42
	v_cndmask_b32_e32 v42, v52, v45, vcc
	v_cndmask_b32_e32 v44, v51, v44, vcc
	v_lshlrev_b32_e32 v45, 24, v30
	v_bfrev_b32_e32 v51, 60
	v_lshlrev_b32_e32 v44, 20, v44
	v_and_b32_e32 v45, 0x80000000, v45
	v_lshl_add_u32 v42, v42, 23, v51
	v_or3_b32 v44, v45, v42, v44
.LBB604_15:
	s_or_b64 exec, exec, s[10:11]
.LBB604_16:
	s_or_b64 exec, exec, s[8:9]
.LBB604_17:
	s_or_b64 exec, exec, s[2:3]
	v_lshrrev_b16_e32 v42, 8, v30
	v_cmp_ne_u16_e32 vcc, 0, v42
	s_and_saveexec_b64 s[2:3], vcc
	s_cbranch_execz .LBB604_23
; %bb.18:
	s_movk_i32 s8, 0x80
	v_cmp_ne_u16_e32 vcc, s8, v42
	v_bfrev_b32_e32 v43, 1
	s_and_saveexec_b64 s[8:9], vcc
	s_cbranch_execz .LBB604_22
; %bb.19:
	s_movk_i32 s10, 0x7f
	v_and_b32_e32 v45, 0x7f, v42
	v_cmp_ne_u32_e32 vcc, s10, v45
	v_mov_b32_e32 v43, 0x7f800001
	s_and_saveexec_b64 s[10:11], vcc
	s_cbranch_execz .LBB604_21
; %bb.20:
	v_and_b32_e32 v51, 7, v42
	v_ffbh_u32_e32 v43, v51
	v_min_u32_e32 v53, 32, v43
	v_subrev_u32_e32 v43, 28, v53
	v_lshlrev_b64 v[42:43], v43, v[42:43]
	v_lshrrev_b32_e32 v52, 3, v45
	v_sub_u32_e32 v43, 29, v53
	v_and_b32_e32 v42, 7, v42
	v_cmp_gt_u32_e32 vcc, 8, v45
	v_cndmask_b32_e32 v43, v52, v43, vcc
	v_cndmask_b32_e32 v42, v51, v42, vcc
	v_lshlrev_b32_e32 v45, 16, v30
	v_bfrev_b32_e32 v51, 60
	v_lshlrev_b32_e32 v42, 20, v42
	v_and_b32_e32 v45, 0x80000000, v45
	v_lshl_add_u32 v43, v43, 23, v51
	v_or3_b32 v43, v45, v43, v42
.LBB604_21:
	s_or_b64 exec, exec, s[10:11]
.LBB604_22:
	s_or_b64 exec, exec, s[8:9]
.LBB604_23:
	s_or_b64 exec, exec, s[2:3]
	s_movk_i32 s2, 0xff
	v_and_b32_sdwa v52, v30, s2 dst_sel:DWORD dst_unused:UNUSED_PAD src0_sel:WORD_1 src1_sel:DWORD
	v_lshrrev_b32_e32 v42, 16, v30
	v_cmp_ne_u16_e32 vcc, 0, v52
	v_mov_b32_e32 v45, 0
	v_mov_b32_e32 v51, 0
	s_and_saveexec_b64 s[2:3], vcc
	s_cbranch_execz .LBB604_29
; %bb.24:
	s_movk_i32 s8, 0x80
	v_cmp_ne_u16_e32 vcc, s8, v52
	v_bfrev_b32_e32 v51, 1
	s_and_saveexec_b64 s[8:9], vcc
	s_cbranch_execz .LBB604_28
; %bb.25:
	v_bfe_u32 v52, v30, 16, 7
	s_movk_i32 s10, 0x7f
	v_cmp_ne_u32_e32 vcc, s10, v52
	v_mov_b32_e32 v51, 0x7f800001
	s_and_saveexec_b64 s[10:11], vcc
	s_cbranch_execz .LBB604_27
; %bb.26:
	v_and_b32_e32 v51, 7, v42
	v_ffbh_u32_e32 v54, v51
	v_min_u32_e32 v56, 32, v54
	v_subrev_u32_e32 v54, 28, v56
	v_lshlrev_b64 v[54:55], v54, v[42:43]
	v_lshrrev_b32_e32 v53, 3, v52
	v_sub_u32_e32 v42, 29, v56
	v_and_b32_e32 v54, 7, v54
	v_cmp_gt_u32_e32 vcc, 8, v52
	v_mov_b32_e32 v52, 24
	v_cndmask_b32_e32 v42, v53, v42, vcc
	v_cndmask_b32_e32 v51, v51, v54, vcc
	v_lshlrev_b32_sdwa v52, v52, v30 dst_sel:DWORD dst_unused:UNUSED_PAD src0_sel:DWORD src1_sel:WORD_1
	v_bfrev_b32_e32 v53, 60
	v_lshlrev_b32_e32 v51, 20, v51
	v_and_b32_e32 v52, 0x80000000, v52
	v_lshl_add_u32 v42, v42, 23, v53
	v_or3_b32 v51, v52, v42, v51
.LBB604_27:
	s_or_b64 exec, exec, s[10:11]
.LBB604_28:
	s_or_b64 exec, exec, s[8:9]
.LBB604_29:
	s_or_b64 exec, exec, s[2:3]
	s_mov_b32 s2, 0xffffff
	v_cmp_lt_u32_e32 vcc, s2, v30
	s_and_saveexec_b64 s[2:3], vcc
	s_cbranch_execz .LBB604_35
; %bb.30:
	v_lshrrev_b32_e32 v42, 24, v30
	s_movk_i32 s8, 0x80
	v_cmp_ne_u32_e32 vcc, s8, v42
	v_bfrev_b32_e32 v45, 1
	s_and_saveexec_b64 s[8:9], vcc
	s_cbranch_execz .LBB604_34
; %bb.31:
	v_bfe_u32 v30, v30, 24, 7
	s_movk_i32 s10, 0x7f
	v_cmp_ne_u32_e32 vcc, s10, v30
	v_mov_b32_e32 v45, 0x7f800001
	s_and_saveexec_b64 s[10:11], vcc
	s_cbranch_execz .LBB604_33
; %bb.32:
	v_and_b32_e32 v45, 7, v42
	v_ffbh_u32_e32 v52, v45
	v_min_u32_e32 v55, 32, v52
	v_subrev_u32_e32 v52, 28, v55
	v_lshlrev_b64 v[52:53], v52, v[42:43]
	v_lshrrev_b32_e32 v54, 3, v30
	v_sub_u32_e32 v53, 29, v55
	v_and_b32_e32 v52, 7, v52
	v_cmp_gt_u32_e32 vcc, 8, v30
	v_cndmask_b32_e32 v30, v54, v53, vcc
	v_cndmask_b32_e32 v45, v45, v52, vcc
	v_lshlrev_b32_e32 v42, 24, v42
	v_bfrev_b32_e32 v52, 60
	v_lshlrev_b32_e32 v45, 20, v45
	v_and_b32_e32 v42, 0x80000000, v42
	v_lshl_add_u32 v30, v30, 23, v52
	v_or3_b32 v45, v42, v30, v45
.LBB604_33:
	s_or_b64 exec, exec, s[10:11]
.LBB604_34:
	s_or_b64 exec, exec, s[8:9]
.LBB604_35:
	s_or_b64 exec, exec, s[2:3]
	v_mov_b32_e32 v42, 0
	v_cmp_ne_u16_sdwa s[8:9], v31, v42 src0_sel:BYTE_0 src1_sel:DWORD
	v_mov_b32_e32 v52, 0
	s_and_saveexec_b64 s[2:3], s[8:9]
	s_cbranch_execz .LBB604_41
; %bb.36:
	s_movk_i32 s8, 0x80
	v_cmp_ne_u16_sdwa s[10:11], v31, s8 src0_sel:BYTE_0 src1_sel:DWORD
	v_bfrev_b32_e32 v52, 1
	s_and_saveexec_b64 s[8:9], s[10:11]
	s_cbranch_execz .LBB604_40
; %bb.37:
	s_movk_i32 s10, 0x7f
	v_and_b32_e32 v30, 0x7f, v31
	v_cmp_ne_u32_e32 vcc, s10, v30
	v_mov_b32_e32 v52, 0x7f800001
	s_and_saveexec_b64 s[10:11], vcc
	s_cbranch_execz .LBB604_39
; %bb.38:
	v_and_b32_e32 v54, 7, v31
	v_ffbh_u32_e32 v53, v54
	v_min_u32_e32 v56, 32, v53
	v_mov_b32_e32 v52, v31
	v_subrev_u32_e32 v53, 28, v56
	v_lshlrev_b64 v[52:53], v53, v[52:53]
	v_lshrrev_b32_e32 v55, 3, v30
	v_sub_u32_e32 v53, 29, v56
	v_and_b32_e32 v52, 7, v52
	v_cmp_gt_u32_e32 vcc, 8, v30
	v_cndmask_b32_e32 v30, v55, v53, vcc
	v_cndmask_b32_e32 v52, v54, v52, vcc
	v_lshlrev_b32_e32 v53, 24, v31
	v_bfrev_b32_e32 v54, 60
	v_lshlrev_b32_e32 v52, 20, v52
	v_and_b32_e32 v53, 0x80000000, v53
	v_lshl_add_u32 v30, v30, 23, v54
	v_or3_b32 v52, v53, v30, v52
.LBB604_39:
	s_or_b64 exec, exec, s[10:11]
.LBB604_40:
	s_or_b64 exec, exec, s[8:9]
.LBB604_41:
	s_or_b64 exec, exec, s[2:3]
	v_lshrrev_b16_e32 v30, 8, v31
	v_cmp_ne_u16_e32 vcc, 0, v30
	s_and_saveexec_b64 s[2:3], vcc
	s_cbranch_execz .LBB604_47
; %bb.42:
	s_movk_i32 s8, 0x80
	v_cmp_ne_u16_e32 vcc, s8, v30
	v_bfrev_b32_e32 v42, 1
	s_and_saveexec_b64 s[8:9], vcc
	s_cbranch_execz .LBB604_46
; %bb.43:
	s_movk_i32 s10, 0x7f
	v_and_b32_e32 v53, 0x7f, v30
	v_cmp_ne_u32_e32 vcc, s10, v53
	v_mov_b32_e32 v42, 0x7f800001
	s_and_saveexec_b64 s[10:11], vcc
	s_cbranch_execz .LBB604_45
; %bb.44:
	v_and_b32_e32 v42, 7, v30
	v_ffbh_u32_e32 v54, v42
	v_min_u32_e32 v57, 32, v54
	v_subrev_u32_e32 v54, 28, v57
	v_lshlrev_b64 v[54:55], v54, v[30:31]
	v_lshrrev_b32_e32 v56, 3, v53
	v_sub_u32_e32 v30, 29, v57
	v_and_b32_e32 v54, 7, v54
	v_cmp_gt_u32_e32 vcc, 8, v53
	v_cndmask_b32_e32 v30, v56, v30, vcc
	v_cndmask_b32_e32 v42, v42, v54, vcc
	v_lshlrev_b32_e32 v53, 16, v31
	v_bfrev_b32_e32 v54, 60
	v_lshlrev_b32_e32 v42, 20, v42
	v_and_b32_e32 v53, 0x80000000, v53
	v_lshl_add_u32 v30, v30, 23, v54
	v_or3_b32 v42, v53, v30, v42
.LBB604_45:
	s_or_b64 exec, exec, s[10:11]
.LBB604_46:
	s_or_b64 exec, exec, s[8:9]
.LBB604_47:
	s_or_b64 exec, exec, s[2:3]
	s_movk_i32 s2, 0xff
	v_and_b32_sdwa v55, v31, s2 dst_sel:DWORD dst_unused:UNUSED_PAD src0_sel:WORD_1 src1_sel:DWORD
	v_lshrrev_b32_e32 v30, 16, v31
	v_cmp_ne_u16_e32 vcc, 0, v55
	v_mov_b32_e32 v53, 0
	v_mov_b32_e32 v54, 0
	s_and_saveexec_b64 s[2:3], vcc
	s_cbranch_execz .LBB604_53
; %bb.48:
	s_movk_i32 s8, 0x80
	v_cmp_ne_u16_e32 vcc, s8, v55
	v_bfrev_b32_e32 v54, 1
	s_and_saveexec_b64 s[8:9], vcc
	s_cbranch_execz .LBB604_52
; %bb.49:
	v_bfe_u32 v55, v31, 16, 7
	s_movk_i32 s10, 0x7f
	v_cmp_ne_u32_e32 vcc, s10, v55
	v_mov_b32_e32 v54, 0x7f800001
	s_and_saveexec_b64 s[10:11], vcc
	s_cbranch_execz .LBB604_51
; %bb.50:
	v_and_b32_e32 v54, 7, v30
	v_ffbh_u32_e32 v56, v54
	v_min_u32_e32 v59, 32, v56
	v_subrev_u32_e32 v56, 28, v59
	v_lshlrev_b64 v[56:57], v56, v[30:31]
	v_lshrrev_b32_e32 v58, 3, v55
	v_sub_u32_e32 v30, 29, v59
	v_and_b32_e32 v56, 7, v56
	v_cmp_gt_u32_e32 vcc, 8, v55
	v_mov_b32_e32 v55, 24
	v_cndmask_b32_e32 v30, v58, v30, vcc
	v_cndmask_b32_e32 v54, v54, v56, vcc
	v_lshlrev_b32_sdwa v55, v55, v31 dst_sel:DWORD dst_unused:UNUSED_PAD src0_sel:DWORD src1_sel:WORD_1
	v_bfrev_b32_e32 v56, 60
	v_lshlrev_b32_e32 v54, 20, v54
	v_and_b32_e32 v55, 0x80000000, v55
	v_lshl_add_u32 v30, v30, 23, v56
	v_or3_b32 v54, v55, v30, v54
.LBB604_51:
	s_or_b64 exec, exec, s[10:11]
.LBB604_52:
	s_or_b64 exec, exec, s[8:9]
.LBB604_53:
	s_or_b64 exec, exec, s[2:3]
	s_mov_b32 s2, 0xffffff
	v_cmp_lt_u32_e32 vcc, s2, v31
	s_and_saveexec_b64 s[2:3], vcc
	s_cbranch_execz .LBB604_59
; %bb.54:
	v_lshrrev_b32_e32 v30, 24, v31
	s_movk_i32 s8, 0x80
	v_cmp_ne_u32_e32 vcc, s8, v30
	v_bfrev_b32_e32 v53, 1
	s_and_saveexec_b64 s[8:9], vcc
	s_cbranch_execz .LBB604_58
; %bb.55:
	v_bfe_u32 v31, v31, 24, 7
	s_movk_i32 s10, 0x7f
	v_cmp_ne_u32_e32 vcc, s10, v31
	v_mov_b32_e32 v53, 0x7f800001
	s_and_saveexec_b64 s[10:11], vcc
	s_cbranch_execz .LBB604_57
; %bb.56:
	v_and_b32_e32 v53, 7, v30
	v_ffbh_u32_e32 v56, v53
	v_min_u32_e32 v58, 32, v56
	v_subrev_u32_e32 v56, 28, v58
	v_lshlrev_b64 v[56:57], v56, v[30:31]
	v_lshrrev_b32_e32 v55, 3, v31
	v_sub_u32_e32 v57, 29, v58
	v_and_b32_e32 v56, 7, v56
	v_cmp_gt_u32_e32 vcc, 8, v31
	v_cndmask_b32_e32 v31, v55, v57, vcc
	v_cndmask_b32_e32 v53, v53, v56, vcc
	v_lshlrev_b32_e32 v30, 24, v30
	v_bfrev_b32_e32 v55, 60
	v_lshlrev_b32_e32 v53, 20, v53
	v_and_b32_e32 v30, 0x80000000, v30
	v_lshl_add_u32 v31, v31, 23, v55
	v_or3_b32 v53, v30, v31, v53
.LBB604_57:
	s_or_b64 exec, exec, s[10:11]
.LBB604_58:
	s_or_b64 exec, exec, s[8:9]
.LBB604_59:
	s_or_b64 exec, exec, s[2:3]
	v_cvt_pkrtz_f16_f32 v30, v44, v43
	v_cvt_pkrtz_f16_f32 v31, v51, v45
	;; [unrolled: 1-line block ×4, first 2 shown]
	v_mov_b32_e32 v52, 0
	s_waitcnt lgkmcnt(0)
	v_mfma_f32_16x16x16f16 v[56:59], v[30:31], v[26:27], 0
	v_mov_b32_e32 v31, 0
	v_cmp_ne_u16_sdwa s[8:9], v32, v31 src0_sel:BYTE_0 src1_sel:DWORD
	v_mfma_f32_16x16x16f16 v[42:45], v[42:43], v[28:29], v[56:59]
	s_and_saveexec_b64 s[2:3], s[8:9]
	s_cbranch_execz .LBB604_65
; %bb.60:
	s_movk_i32 s8, 0x80
	v_cmp_ne_u16_sdwa s[10:11], v32, s8 src0_sel:BYTE_0 src1_sel:DWORD
	v_bfrev_b32_e32 v52, 1
	s_and_saveexec_b64 s[8:9], s[10:11]
	s_cbranch_execz .LBB604_64
; %bb.61:
	s_movk_i32 s10, 0x7f
	v_and_b32_e32 v30, 0x7f, v32
	v_cmp_ne_u32_e32 vcc, s10, v30
	v_mov_b32_e32 v52, 0x7f800001
	s_and_saveexec_b64 s[10:11], vcc
	s_cbranch_execz .LBB604_63
; %bb.62:
	v_and_b32_e32 v51, 7, v32
	v_ffbh_u32_e32 v52, v51
	v_min_u32_e32 v55, 32, v52
	v_subrev_u32_e32 v52, 28, v55
	v_lshlrev_b64 v[52:53], v52, v[32:33]
	v_lshrrev_b32_e32 v54, 3, v30
	v_sub_u32_e32 v53, 29, v55
	v_and_b32_e32 v52, 7, v52
	v_cmp_gt_u32_e32 vcc, 8, v30
	v_cndmask_b32_e32 v30, v54, v53, vcc
	v_cndmask_b32_e32 v51, v51, v52, vcc
	v_lshlrev_b32_e32 v52, 24, v32
	v_bfrev_b32_e32 v53, 60
	v_lshlrev_b32_e32 v51, 20, v51
	v_and_b32_e32 v52, 0x80000000, v52
	v_lshl_add_u32 v30, v30, 23, v53
	v_or3_b32 v52, v52, v30, v51
.LBB604_63:
	s_or_b64 exec, exec, s[10:11]
.LBB604_64:
	s_or_b64 exec, exec, s[8:9]
.LBB604_65:
	s_or_b64 exec, exec, s[2:3]
	v_lshrrev_b16_e32 v30, 8, v32
	v_cmp_ne_u16_e32 vcc, 0, v30
	v_mov_b32_e32 v53, 0
	s_and_saveexec_b64 s[2:3], vcc
	s_cbranch_execz .LBB604_71
; %bb.66:
	s_movk_i32 s8, 0x80
	v_cmp_ne_u16_e32 vcc, s8, v30
	v_bfrev_b32_e32 v53, 1
	s_and_saveexec_b64 s[8:9], vcc
	s_cbranch_execz .LBB604_70
; %bb.67:
	s_movk_i32 s10, 0x7f
	v_and_b32_e32 v51, 0x7f, v30
	v_cmp_ne_u32_e32 vcc, s10, v51
	v_mov_b32_e32 v53, 0x7f800001
	s_and_saveexec_b64 s[10:11], vcc
	s_cbranch_execz .LBB604_69
; %bb.68:
	v_and_b32_e32 v53, 7, v30
	v_ffbh_u32_e32 v54, v53
	v_min_u32_e32 v57, 32, v54
	v_subrev_u32_e32 v54, 28, v57
	v_lshlrev_b64 v[54:55], v54, v[30:31]
	v_lshrrev_b32_e32 v56, 3, v51
	v_sub_u32_e32 v30, 29, v57
	v_and_b32_e32 v54, 7, v54
	v_cmp_gt_u32_e32 vcc, 8, v51
	v_cndmask_b32_e32 v30, v56, v30, vcc
	v_cndmask_b32_e32 v51, v53, v54, vcc
	v_lshlrev_b32_e32 v53, 16, v32
	v_bfrev_b32_e32 v54, 60
	v_lshlrev_b32_e32 v51, 20, v51
	v_and_b32_e32 v53, 0x80000000, v53
	v_lshl_add_u32 v30, v30, 23, v54
	v_or3_b32 v53, v53, v30, v51
.LBB604_69:
	s_or_b64 exec, exec, s[10:11]
.LBB604_70:
	s_or_b64 exec, exec, s[8:9]
.LBB604_71:
	s_or_b64 exec, exec, s[2:3]
	s_movk_i32 s2, 0xff
	v_and_b32_sdwa v51, v32, s2 dst_sel:DWORD dst_unused:UNUSED_PAD src0_sel:WORD_1 src1_sel:DWORD
	v_lshrrev_b32_e32 v30, 16, v32
	v_cmp_ne_u16_e32 vcc, 0, v51
	s_and_saveexec_b64 s[2:3], vcc
	s_cbranch_execz .LBB604_77
; %bb.72:
	s_movk_i32 s8, 0x80
	v_cmp_ne_u16_e32 vcc, s8, v51
	v_bfrev_b32_e32 v31, 1
	s_and_saveexec_b64 s[8:9], vcc
	s_cbranch_execz .LBB604_76
; %bb.73:
	v_bfe_u32 v51, v32, 16, 7
	s_movk_i32 s10, 0x7f
	v_cmp_ne_u32_e32 vcc, s10, v51
	v_mov_b32_e32 v31, 0x7f800001
	s_and_saveexec_b64 s[10:11], vcc
	s_cbranch_execz .LBB604_75
; %bb.74:
	v_and_b32_e32 v54, 7, v30
	v_ffbh_u32_e32 v31, v54
	v_min_u32_e32 v56, 32, v31
	v_subrev_u32_e32 v31, 28, v56
	v_lshlrev_b64 v[30:31], v31, v[30:31]
	v_lshrrev_b32_e32 v55, 3, v51
	v_sub_u32_e32 v31, 29, v56
	v_and_b32_e32 v30, 7, v30
	v_cmp_gt_u32_e32 vcc, 8, v51
	v_mov_b32_e32 v51, 24
	v_cndmask_b32_e32 v31, v55, v31, vcc
	v_cndmask_b32_e32 v30, v54, v30, vcc
	v_lshlrev_b32_sdwa v51, v51, v32 dst_sel:DWORD dst_unused:UNUSED_PAD src0_sel:DWORD src1_sel:WORD_1
	v_bfrev_b32_e32 v54, 60
	v_lshlrev_b32_e32 v30, 20, v30
	v_and_b32_e32 v51, 0x80000000, v51
	v_lshl_add_u32 v31, v31, 23, v54
	v_or3_b32 v31, v51, v31, v30
.LBB604_75:
	s_or_b64 exec, exec, s[10:11]
.LBB604_76:
	s_or_b64 exec, exec, s[8:9]
.LBB604_77:
	s_or_b64 exec, exec, s[2:3]
	s_mov_b32 s2, 0xffffff
	v_cmp_lt_u32_e32 vcc, s2, v32
	v_mov_b32_e32 v54, 0
	v_mov_b32_e32 v55, 0
	s_and_saveexec_b64 s[2:3], vcc
	s_cbranch_execz .LBB604_83
; %bb.78:
	v_lshrrev_b32_e32 v30, 24, v32
	s_movk_i32 s8, 0x80
	v_cmp_ne_u32_e32 vcc, s8, v30
	v_bfrev_b32_e32 v55, 1
	s_and_saveexec_b64 s[8:9], vcc
	s_cbranch_execz .LBB604_82
; %bb.79:
	v_bfe_u32 v32, v32, 24, 7
	s_movk_i32 s10, 0x7f
	v_cmp_ne_u32_e32 vcc, s10, v32
	v_mov_b32_e32 v55, 0x7f800001
	s_and_saveexec_b64 s[10:11], vcc
	s_cbranch_execz .LBB604_81
; %bb.80:
	v_and_b32_e32 v51, 7, v30
	v_ffbh_u32_e32 v56, v51
	v_min_u32_e32 v58, 32, v56
	v_subrev_u32_e32 v56, 28, v58
	v_lshlrev_b64 v[56:57], v56, v[30:31]
	v_lshrrev_b32_e32 v55, 3, v32
	v_sub_u32_e32 v57, 29, v58
	v_and_b32_e32 v56, 7, v56
	v_cmp_gt_u32_e32 vcc, 8, v32
	v_cndmask_b32_e32 v32, v55, v57, vcc
	v_cndmask_b32_e32 v51, v51, v56, vcc
	v_lshlrev_b32_e32 v30, 24, v30
	v_bfrev_b32_e32 v55, 60
	v_lshlrev_b32_e32 v51, 20, v51
	v_and_b32_e32 v30, 0x80000000, v30
	v_lshl_add_u32 v32, v32, 23, v55
	v_or3_b32 v55, v30, v32, v51
.LBB604_81:
	s_or_b64 exec, exec, s[10:11]
.LBB604_82:
	s_or_b64 exec, exec, s[8:9]
.LBB604_83:
	s_or_b64 exec, exec, s[2:3]
	v_cmp_ne_u16_sdwa s[8:9], v33, v54 src0_sel:BYTE_0 src1_sel:DWORD
	s_and_saveexec_b64 s[2:3], s[8:9]
	s_cbranch_execz .LBB604_89
; %bb.84:
	s_movk_i32 s8, 0x80
	v_cmp_ne_u16_sdwa s[10:11], v33, s8 src0_sel:BYTE_0 src1_sel:DWORD
	v_bfrev_b32_e32 v54, 1
	s_and_saveexec_b64 s[8:9], s[10:11]
	s_cbranch_execz .LBB604_88
; %bb.85:
	s_movk_i32 s10, 0x7f
	v_and_b32_e32 v30, 0x7f, v33
	v_cmp_ne_u32_e32 vcc, s10, v30
	v_mov_b32_e32 v54, 0x7f800001
	s_and_saveexec_b64 s[10:11], vcc
	s_cbranch_execz .LBB604_87
; %bb.86:
	v_and_b32_e32 v51, 7, v33
	v_ffbh_u32_e32 v56, v51
	v_min_u32_e32 v58, 32, v56
	v_mov_b32_e32 v32, v33
	v_subrev_u32_e32 v56, 28, v58
	v_lshlrev_b64 v[56:57], v56, v[32:33]
	v_lshrrev_b32_e32 v54, 3, v30
	v_sub_u32_e32 v32, 29, v58
	v_and_b32_e32 v56, 7, v56
	v_cmp_gt_u32_e32 vcc, 8, v30
	v_cndmask_b32_e32 v30, v54, v32, vcc
	v_cndmask_b32_e32 v32, v51, v56, vcc
	v_lshlrev_b32_e32 v51, 24, v33
	v_bfrev_b32_e32 v54, 60
	v_lshlrev_b32_e32 v32, 20, v32
	v_and_b32_e32 v51, 0x80000000, v51
	v_lshl_add_u32 v30, v30, 23, v54
	v_or3_b32 v54, v51, v30, v32
.LBB604_87:
	s_or_b64 exec, exec, s[10:11]
.LBB604_88:
	s_or_b64 exec, exec, s[8:9]
.LBB604_89:
	s_or_b64 exec, exec, s[2:3]
	v_lshrrev_b16_e32 v30, 8, v33
	v_cmp_ne_u16_e32 vcc, 0, v30
	v_mov_b32_e32 v32, 0
	v_mov_b32_e32 v56, 0
	s_and_saveexec_b64 s[2:3], vcc
	s_cbranch_execz .LBB604_95
; %bb.90:
	s_movk_i32 s8, 0x80
	v_cmp_ne_u16_e32 vcc, s8, v30
	v_bfrev_b32_e32 v56, 1
	s_and_saveexec_b64 s[8:9], vcc
	s_cbranch_execz .LBB604_94
; %bb.91:
	s_movk_i32 s10, 0x7f
	v_and_b32_e32 v51, 0x7f, v30
	v_cmp_ne_u32_e32 vcc, s10, v51
	v_mov_b32_e32 v56, 0x7f800001
	s_and_saveexec_b64 s[10:11], vcc
	s_cbranch_execz .LBB604_93
; %bb.92:
	v_and_b32_e32 v58, 7, v30
	v_ffbh_u32_e32 v56, v58
	v_min_u32_e32 v60, 32, v56
	v_subrev_u32_e32 v56, 28, v60
	v_lshlrev_b64 v[56:57], v56, v[30:31]
	v_lshrrev_b32_e32 v59, 3, v51
	v_sub_u32_e32 v30, 29, v60
	v_and_b32_e32 v56, 7, v56
	v_cmp_gt_u32_e32 vcc, 8, v51
	v_cndmask_b32_e32 v30, v59, v30, vcc
	v_cndmask_b32_e32 v51, v58, v56, vcc
	v_lshlrev_b32_e32 v56, 16, v33
	v_bfrev_b32_e32 v57, 60
	v_lshlrev_b32_e32 v51, 20, v51
	v_and_b32_e32 v56, 0x80000000, v56
	v_lshl_add_u32 v30, v30, 23, v57
	v_or3_b32 v56, v56, v30, v51
.LBB604_93:
	s_or_b64 exec, exec, s[10:11]
.LBB604_94:
	s_or_b64 exec, exec, s[8:9]
.LBB604_95:
	s_or_b64 exec, exec, s[2:3]
	s_movk_i32 s2, 0xff
	v_and_b32_sdwa v51, v33, s2 dst_sel:DWORD dst_unused:UNUSED_PAD src0_sel:WORD_1 src1_sel:DWORD
	v_lshrrev_b32_e32 v30, 16, v33
	v_cmp_ne_u16_e32 vcc, 0, v51
	s_and_saveexec_b64 s[2:3], vcc
	s_cbranch_execz .LBB604_101
; %bb.96:
	s_movk_i32 s8, 0x80
	v_cmp_ne_u16_e32 vcc, s8, v51
	v_bfrev_b32_e32 v32, 1
	s_and_saveexec_b64 s[8:9], vcc
	s_cbranch_execz .LBB604_100
; %bb.97:
	v_bfe_u32 v51, v33, 16, 7
	s_movk_i32 s10, 0x7f
	v_cmp_ne_u32_e32 vcc, s10, v51
	v_mov_b32_e32 v32, 0x7f800001
	s_and_saveexec_b64 s[10:11], vcc
	s_cbranch_execz .LBB604_99
; %bb.98:
	v_and_b32_e32 v32, 7, v30
	v_ffbh_u32_e32 v58, v32
	v_min_u32_e32 v60, 32, v58
	v_subrev_u32_e32 v58, 28, v60
	v_lshlrev_b64 v[58:59], v58, v[30:31]
	v_lshrrev_b32_e32 v57, 3, v51
	v_sub_u32_e32 v30, 29, v60
	v_and_b32_e32 v58, 7, v58
	v_cmp_gt_u32_e32 vcc, 8, v51
	v_mov_b32_e32 v51, 24
	v_cndmask_b32_e32 v30, v57, v30, vcc
	v_cndmask_b32_e32 v32, v32, v58, vcc
	v_lshlrev_b32_sdwa v51, v51, v33 dst_sel:DWORD dst_unused:UNUSED_PAD src0_sel:DWORD src1_sel:WORD_1
	v_bfrev_b32_e32 v57, 60
	v_lshlrev_b32_e32 v32, 20, v32
	v_and_b32_e32 v51, 0x80000000, v51
	v_lshl_add_u32 v30, v30, 23, v57
	v_or3_b32 v32, v51, v30, v32
.LBB604_99:
	s_or_b64 exec, exec, s[10:11]
.LBB604_100:
	s_or_b64 exec, exec, s[8:9]
.LBB604_101:
	s_or_b64 exec, exec, s[2:3]
	s_mov_b32 s2, 0xffffff
	v_cmp_lt_u32_e32 vcc, s2, v33
	v_mov_b32_e32 v51, 0
	v_mov_b32_e32 v57, 0
	s_and_saveexec_b64 s[2:3], vcc
	s_cbranch_execz .LBB604_107
; %bb.102:
	v_lshrrev_b32_e32 v30, 24, v33
	s_movk_i32 s8, 0x80
	v_cmp_ne_u32_e32 vcc, s8, v30
	v_bfrev_b32_e32 v57, 1
	s_and_saveexec_b64 s[8:9], vcc
	s_cbranch_execz .LBB604_106
; %bb.103:
	v_bfe_u32 v33, v33, 24, 7
	s_movk_i32 s10, 0x7f
	v_cmp_ne_u32_e32 vcc, s10, v33
	v_mov_b32_e32 v57, 0x7f800001
	s_and_saveexec_b64 s[10:11], vcc
	s_cbranch_execz .LBB604_105
; %bb.104:
	v_and_b32_e32 v57, 7, v30
	v_ffbh_u32_e32 v58, v57
	v_min_u32_e32 v61, 32, v58
	v_subrev_u32_e32 v58, 28, v61
	v_lshlrev_b64 v[58:59], v58, v[30:31]
	v_lshrrev_b32_e32 v60, 3, v33
	v_sub_u32_e32 v59, 29, v61
	v_and_b32_e32 v58, 7, v58
	v_cmp_gt_u32_e32 vcc, 8, v33
	v_cndmask_b32_e32 v33, v60, v59, vcc
	v_cndmask_b32_e32 v57, v57, v58, vcc
	v_lshlrev_b32_e32 v30, 24, v30
	v_bfrev_b32_e32 v58, 60
	v_lshlrev_b32_e32 v57, 20, v57
	v_and_b32_e32 v30, 0x80000000, v30
	v_lshl_add_u32 v33, v33, 23, v58
	v_or3_b32 v57, v30, v33, v57
.LBB604_105:
	s_or_b64 exec, exec, s[10:11]
.LBB604_106:
	s_or_b64 exec, exec, s[8:9]
.LBB604_107:
	s_or_b64 exec, exec, s[2:3]
	v_cvt_pkrtz_f16_f32 v30, v52, v53
	v_cvt_pkrtz_f16_f32 v31, v31, v55
	s_waitcnt vmcnt(6)
	v_cmp_ne_u16_sdwa s[8:9], v38, v51 src0_sel:BYTE_0 src1_sel:DWORD
	v_mfma_f32_16x16x16f16 v[42:45], v[30:31], v[18:19], v[42:45]
	v_cvt_pkrtz_f16_f32 v30, v54, v56
	v_cvt_pkrtz_f16_f32 v31, v32, v57
	s_nop 1
	v_mfma_f32_16x16x16f16 v[30:33], v[30:31], v[20:21], v[42:45]
	s_and_saveexec_b64 s[2:3], s[8:9]
	s_cbranch_execz .LBB604_113
; %bb.108:
	s_movk_i32 s8, 0x80
	v_cmp_ne_u16_sdwa s[10:11], v38, s8 src0_sel:BYTE_0 src1_sel:DWORD
	v_bfrev_b32_e32 v51, 1
	s_and_saveexec_b64 s[8:9], s[10:11]
	s_cbranch_execz .LBB604_112
; %bb.109:
	s_movk_i32 s10, 0x7f
	v_and_b32_e32 v42, 0x7f, v38
	v_cmp_ne_u32_e32 vcc, s10, v42
	v_mov_b32_e32 v51, 0x7f800001
	s_and_saveexec_b64 s[10:11], vcc
	s_cbranch_execz .LBB604_111
; %bb.110:
	v_and_b32_e32 v43, 7, v38
	v_ffbh_u32_e32 v44, v43
	v_min_u32_e32 v52, 32, v44
	v_subrev_u32_e32 v44, 28, v52
	v_lshlrev_b64 v[44:45], v44, v[38:39]
	v_lshrrev_b32_e32 v51, 3, v42
	v_sub_u32_e32 v45, 29, v52
	v_and_b32_e32 v44, 7, v44
	v_cmp_gt_u32_e32 vcc, 8, v42
	v_cndmask_b32_e32 v42, v51, v45, vcc
	v_cndmask_b32_e32 v43, v43, v44, vcc
	v_lshlrev_b32_e32 v44, 24, v38
	v_bfrev_b32_e32 v45, 60
	v_lshlrev_b32_e32 v43, 20, v43
	v_and_b32_e32 v44, 0x80000000, v44
	v_lshl_add_u32 v42, v42, 23, v45
	v_or3_b32 v51, v44, v42, v43
.LBB604_111:
	s_or_b64 exec, exec, s[10:11]
.LBB604_112:
	s_or_b64 exec, exec, s[8:9]
.LBB604_113:
	s_or_b64 exec, exec, s[2:3]
	s_nop 3
	v_lshrrev_b16_e32 v42, 8, v38
	v_cmp_ne_u16_e32 vcc, 0, v42
	v_mov_b32_e32 v43, 0
	v_mov_b32_e32 v44, 0
	s_and_saveexec_b64 s[2:3], vcc
	s_cbranch_execz .LBB604_119
; %bb.114:
	s_movk_i32 s8, 0x80
	v_cmp_ne_u16_e32 vcc, s8, v42
	v_bfrev_b32_e32 v44, 1
	s_and_saveexec_b64 s[8:9], vcc
	s_cbranch_execz .LBB604_118
; %bb.115:
	s_movk_i32 s10, 0x7f
	v_and_b32_e32 v45, 0x7f, v42
	v_cmp_ne_u32_e32 vcc, s10, v45
	v_mov_b32_e32 v44, 0x7f800001
	s_and_saveexec_b64 s[10:11], vcc
	s_cbranch_execz .LBB604_117
; %bb.116:
	v_and_b32_e32 v44, 7, v42
	v_ffbh_u32_e32 v52, v44
	v_min_u32_e32 v55, 32, v52
	v_subrev_u32_e32 v52, 28, v55
	v_lshlrev_b64 v[52:53], v52, v[42:43]
	v_lshrrev_b32_e32 v54, 3, v45
	v_sub_u32_e32 v42, 29, v55
	v_and_b32_e32 v52, 7, v52
	v_cmp_gt_u32_e32 vcc, 8, v45
	v_cndmask_b32_e32 v42, v54, v42, vcc
	v_cndmask_b32_e32 v44, v44, v52, vcc
	v_lshlrev_b32_e32 v45, 16, v38
	v_bfrev_b32_e32 v52, 60
	v_lshlrev_b32_e32 v44, 20, v44
	v_and_b32_e32 v45, 0x80000000, v45
	v_lshl_add_u32 v42, v42, 23, v52
	v_or3_b32 v44, v45, v42, v44
.LBB604_117:
	s_or_b64 exec, exec, s[10:11]
.LBB604_118:
	s_or_b64 exec, exec, s[8:9]
.LBB604_119:
	s_or_b64 exec, exec, s[2:3]
	s_movk_i32 s2, 0xff
	v_and_b32_sdwa v45, v38, s2 dst_sel:DWORD dst_unused:UNUSED_PAD src0_sel:WORD_1 src1_sel:DWORD
	v_lshrrev_b32_e32 v42, 16, v38
	v_cmp_ne_u16_e32 vcc, 0, v45
	s_and_saveexec_b64 s[2:3], vcc
	s_cbranch_execz .LBB604_125
; %bb.120:
	s_movk_i32 s8, 0x80
	v_cmp_ne_u16_e32 vcc, s8, v45
	v_bfrev_b32_e32 v43, 1
	s_and_saveexec_b64 s[8:9], vcc
	s_cbranch_execz .LBB604_124
; %bb.121:
	v_bfe_u32 v45, v38, 16, 7
	s_movk_i32 s10, 0x7f
	v_cmp_ne_u32_e32 vcc, s10, v45
	v_mov_b32_e32 v43, 0x7f800001
	s_and_saveexec_b64 s[10:11], vcc
	s_cbranch_execz .LBB604_123
; %bb.122:
	v_and_b32_e32 v52, 7, v42
	v_ffbh_u32_e32 v43, v52
	v_min_u32_e32 v54, 32, v43
	v_subrev_u32_e32 v43, 28, v54
	v_lshlrev_b64 v[42:43], v43, v[42:43]
	v_lshrrev_b32_e32 v53, 3, v45
	v_sub_u32_e32 v43, 29, v54
	v_and_b32_e32 v42, 7, v42
	v_cmp_gt_u32_e32 vcc, 8, v45
	v_mov_b32_e32 v45, 24
	v_cndmask_b32_e32 v43, v53, v43, vcc
	v_cndmask_b32_e32 v42, v52, v42, vcc
	v_lshlrev_b32_sdwa v45, v45, v38 dst_sel:DWORD dst_unused:UNUSED_PAD src0_sel:DWORD src1_sel:WORD_1
	v_bfrev_b32_e32 v52, 60
	v_lshlrev_b32_e32 v42, 20, v42
	v_and_b32_e32 v45, 0x80000000, v45
	v_lshl_add_u32 v43, v43, 23, v52
	v_or3_b32 v43, v45, v43, v42
.LBB604_123:
	s_or_b64 exec, exec, s[10:11]
.LBB604_124:
	s_or_b64 exec, exec, s[8:9]
.LBB604_125:
	s_or_b64 exec, exec, s[2:3]
	s_mov_b32 s2, 0xffffff
	v_cmp_lt_u32_e32 vcc, s2, v38
	v_mov_b32_e32 v45, 0
	v_mov_b32_e32 v53, 0
	s_and_saveexec_b64 s[2:3], vcc
	s_cbranch_execz .LBB604_131
; %bb.126:
	v_lshrrev_b32_e32 v42, 24, v38
	s_movk_i32 s8, 0x80
	v_cmp_ne_u32_e32 vcc, s8, v42
	v_bfrev_b32_e32 v53, 1
	s_and_saveexec_b64 s[8:9], vcc
	s_cbranch_execz .LBB604_130
; %bb.127:
	v_bfe_u32 v38, v38, 24, 7
	s_movk_i32 s10, 0x7f
	v_cmp_ne_u32_e32 vcc, s10, v38
	v_mov_b32_e32 v53, 0x7f800001
	s_and_saveexec_b64 s[10:11], vcc
	s_cbranch_execz .LBB604_129
; %bb.128:
	v_and_b32_e32 v54, 7, v42
	v_ffbh_u32_e32 v52, v54
	v_min_u32_e32 v56, 32, v52
	v_subrev_u32_e32 v52, 28, v56
	v_lshlrev_b64 v[52:53], v52, v[42:43]
	v_lshrrev_b32_e32 v55, 3, v38
	v_sub_u32_e32 v53, 29, v56
	v_and_b32_e32 v52, 7, v52
	v_cmp_gt_u32_e32 vcc, 8, v38
	v_cndmask_b32_e32 v38, v55, v53, vcc
	v_cndmask_b32_e32 v52, v54, v52, vcc
	v_lshlrev_b32_e32 v42, 24, v42
	v_bfrev_b32_e32 v53, 60
	v_lshlrev_b32_e32 v52, 20, v52
	v_and_b32_e32 v42, 0x80000000, v42
	v_lshl_add_u32 v38, v38, 23, v53
	v_or3_b32 v53, v42, v38, v52
.LBB604_129:
	s_or_b64 exec, exec, s[10:11]
.LBB604_130:
	s_or_b64 exec, exec, s[8:9]
.LBB604_131:
	s_or_b64 exec, exec, s[2:3]
	v_cmp_ne_u16_sdwa s[8:9], v39, v45 src0_sel:BYTE_0 src1_sel:DWORD
	s_and_saveexec_b64 s[2:3], s[8:9]
	s_cbranch_execz .LBB604_137
; %bb.132:
	s_movk_i32 s8, 0x80
	v_cmp_ne_u16_sdwa s[10:11], v39, s8 src0_sel:BYTE_0 src1_sel:DWORD
	v_bfrev_b32_e32 v45, 1
	s_and_saveexec_b64 s[8:9], s[10:11]
	s_cbranch_execz .LBB604_136
; %bb.133:
	s_movk_i32 s10, 0x7f
	v_and_b32_e32 v38, 0x7f, v39
	v_cmp_ne_u32_e32 vcc, s10, v38
	v_mov_b32_e32 v45, 0x7f800001
	s_and_saveexec_b64 s[10:11], vcc
	s_cbranch_execz .LBB604_135
; %bb.134:
	v_and_b32_e32 v45, 7, v39
	v_ffbh_u32_e32 v54, v45
	v_min_u32_e32 v56, 32, v54
	v_mov_b32_e32 v42, v39
	v_subrev_u32_e32 v54, 28, v56
	v_lshlrev_b64 v[54:55], v54, v[42:43]
	v_lshrrev_b32_e32 v52, 3, v38
	v_sub_u32_e32 v42, 29, v56
	v_and_b32_e32 v54, 7, v54
	v_cmp_gt_u32_e32 vcc, 8, v38
	v_cndmask_b32_e32 v38, v52, v42, vcc
	v_cndmask_b32_e32 v42, v45, v54, vcc
	v_lshlrev_b32_e32 v45, 24, v39
	v_bfrev_b32_e32 v52, 60
	v_lshlrev_b32_e32 v42, 20, v42
	v_and_b32_e32 v45, 0x80000000, v45
	v_lshl_add_u32 v38, v38, 23, v52
	v_or3_b32 v45, v45, v38, v42
.LBB604_135:
	s_or_b64 exec, exec, s[10:11]
.LBB604_136:
	s_or_b64 exec, exec, s[8:9]
.LBB604_137:
	s_or_b64 exec, exec, s[2:3]
	v_lshrrev_b16_e32 v38, 8, v39
	v_cmp_ne_u16_e32 vcc, 0, v38
	v_mov_b32_e32 v42, 0
	v_mov_b32_e32 v54, 0
	s_and_saveexec_b64 s[2:3], vcc
	s_cbranch_execz .LBB604_143
; %bb.138:
	s_movk_i32 s8, 0x80
	v_cmp_ne_u16_e32 vcc, s8, v38
	v_bfrev_b32_e32 v54, 1
	s_and_saveexec_b64 s[8:9], vcc
	s_cbranch_execz .LBB604_142
; %bb.139:
	s_movk_i32 s10, 0x7f
	v_and_b32_e32 v52, 0x7f, v38
	v_cmp_ne_u32_e32 vcc, s10, v52
	v_mov_b32_e32 v54, 0x7f800001
	s_and_saveexec_b64 s[10:11], vcc
	s_cbranch_execz .LBB604_141
; %bb.140:
	v_and_b32_e32 v56, 7, v38
	v_ffbh_u32_e32 v54, v56
	v_min_u32_e32 v58, 32, v54
	v_subrev_u32_e32 v54, 28, v58
	v_lshlrev_b64 v[54:55], v54, v[38:39]
	v_lshrrev_b32_e32 v57, 3, v52
	v_sub_u32_e32 v38, 29, v58
	v_and_b32_e32 v54, 7, v54
	v_cmp_gt_u32_e32 vcc, 8, v52
	v_cndmask_b32_e32 v38, v57, v38, vcc
	v_cndmask_b32_e32 v52, v56, v54, vcc
	v_lshlrev_b32_e32 v54, 16, v39
	v_bfrev_b32_e32 v55, 60
	v_lshlrev_b32_e32 v52, 20, v52
	v_and_b32_e32 v54, 0x80000000, v54
	v_lshl_add_u32 v38, v38, 23, v55
	v_or3_b32 v54, v54, v38, v52
.LBB604_141:
	s_or_b64 exec, exec, s[10:11]
.LBB604_142:
	s_or_b64 exec, exec, s[8:9]
.LBB604_143:
	s_or_b64 exec, exec, s[2:3]
	s_movk_i32 s2, 0xff
	v_and_b32_sdwa v52, v39, s2 dst_sel:DWORD dst_unused:UNUSED_PAD src0_sel:WORD_1 src1_sel:DWORD
	v_lshrrev_b32_e32 v38, 16, v39
	v_cmp_ne_u16_e32 vcc, 0, v52
	s_and_saveexec_b64 s[2:3], vcc
	s_cbranch_execz .LBB604_149
; %bb.144:
	s_movk_i32 s8, 0x80
	v_cmp_ne_u16_e32 vcc, s8, v52
	v_bfrev_b32_e32 v42, 1
	s_and_saveexec_b64 s[8:9], vcc
	s_cbranch_execz .LBB604_148
; %bb.145:
	v_bfe_u32 v52, v39, 16, 7
	s_movk_i32 s10, 0x7f
	v_cmp_ne_u32_e32 vcc, s10, v52
	v_mov_b32_e32 v42, 0x7f800001
	s_and_saveexec_b64 s[10:11], vcc
	s_cbranch_execz .LBB604_147
; %bb.146:
	v_and_b32_e32 v42, 7, v38
	v_ffbh_u32_e32 v56, v42
	v_min_u32_e32 v58, 32, v56
	v_subrev_u32_e32 v56, 28, v58
	v_lshlrev_b64 v[56:57], v56, v[38:39]
	v_lshrrev_b32_e32 v55, 3, v52
	v_sub_u32_e32 v38, 29, v58
	v_and_b32_e32 v56, 7, v56
	v_cmp_gt_u32_e32 vcc, 8, v52
	v_mov_b32_e32 v52, 24
	v_cndmask_b32_e32 v38, v55, v38, vcc
	v_cndmask_b32_e32 v42, v42, v56, vcc
	v_lshlrev_b32_sdwa v52, v52, v39 dst_sel:DWORD dst_unused:UNUSED_PAD src0_sel:DWORD src1_sel:WORD_1
	v_bfrev_b32_e32 v55, 60
	v_lshlrev_b32_e32 v42, 20, v42
	v_and_b32_e32 v52, 0x80000000, v52
	v_lshl_add_u32 v38, v38, 23, v55
	v_or3_b32 v42, v52, v38, v42
.LBB604_147:
	s_or_b64 exec, exec, s[10:11]
.LBB604_148:
	s_or_b64 exec, exec, s[8:9]
.LBB604_149:
	s_or_b64 exec, exec, s[2:3]
	s_mov_b32 s2, 0xffffff
	v_cmp_lt_u32_e32 vcc, s2, v39
	v_mov_b32_e32 v52, 0
	v_mov_b32_e32 v55, 0
	s_and_saveexec_b64 s[2:3], vcc
	s_cbranch_execz .LBB604_155
; %bb.150:
	v_lshrrev_b32_e32 v38, 24, v39
	s_movk_i32 s8, 0x80
	v_cmp_ne_u32_e32 vcc, s8, v38
	v_bfrev_b32_e32 v55, 1
	s_and_saveexec_b64 s[8:9], vcc
	s_cbranch_execz .LBB604_154
; %bb.151:
	v_bfe_u32 v39, v39, 24, 7
	s_movk_i32 s10, 0x7f
	v_cmp_ne_u32_e32 vcc, s10, v39
	v_mov_b32_e32 v55, 0x7f800001
	s_and_saveexec_b64 s[10:11], vcc
	s_cbranch_execz .LBB604_153
; %bb.152:
	v_and_b32_e32 v55, 7, v38
	v_ffbh_u32_e32 v56, v55
	v_min_u32_e32 v59, 32, v56
	v_subrev_u32_e32 v56, 28, v59
	v_lshlrev_b64 v[56:57], v56, v[38:39]
	v_lshrrev_b32_e32 v58, 3, v39
	v_sub_u32_e32 v57, 29, v59
	v_and_b32_e32 v56, 7, v56
	v_cmp_gt_u32_e32 vcc, 8, v39
	v_cndmask_b32_e32 v39, v58, v57, vcc
	v_cndmask_b32_e32 v55, v55, v56, vcc
	v_lshlrev_b32_e32 v38, 24, v38
	v_bfrev_b32_e32 v56, 60
	v_lshlrev_b32_e32 v55, 20, v55
	v_and_b32_e32 v38, 0x80000000, v38
	v_lshl_add_u32 v39, v39, 23, v56
	v_or3_b32 v55, v38, v39, v55
.LBB604_153:
	s_or_b64 exec, exec, s[10:11]
.LBB604_154:
	s_or_b64 exec, exec, s[8:9]
.LBB604_155:
	s_or_b64 exec, exec, s[2:3]
	v_cvt_pkrtz_f16_f32 v38, v51, v44
	v_cvt_pkrtz_f16_f32 v39, v43, v53
	v_cmp_ne_u16_sdwa s[8:9], v40, v52 src0_sel:BYTE_0 src1_sel:DWORD
	s_nop 0
	v_mfma_f32_16x16x16f16 v[56:59], v[38:39], v[26:27], 0
	v_cvt_pkrtz_f16_f32 v38, v45, v54
	v_cvt_pkrtz_f16_f32 v39, v42, v55
	s_nop 1
	v_mfma_f32_16x16x16f16 v[42:45], v[38:39], v[28:29], v[56:59]
	s_and_saveexec_b64 s[2:3], s[8:9]
	s_cbranch_execz .LBB604_161
; %bb.156:
	s_movk_i32 s8, 0x80
	v_cmp_ne_u16_sdwa s[10:11], v40, s8 src0_sel:BYTE_0 src1_sel:DWORD
	v_bfrev_b32_e32 v52, 1
	s_and_saveexec_b64 s[8:9], s[10:11]
	s_cbranch_execz .LBB604_160
; %bb.157:
	s_movk_i32 s10, 0x7f
	v_and_b32_e32 v38, 0x7f, v40
	v_cmp_ne_u32_e32 vcc, s10, v38
	v_mov_b32_e32 v52, 0x7f800001
	s_and_saveexec_b64 s[10:11], vcc
	s_cbranch_execz .LBB604_159
; %bb.158:
	v_and_b32_e32 v39, 7, v40
	v_ffbh_u32_e32 v52, v39
	v_min_u32_e32 v54, 32, v52
	v_subrev_u32_e32 v52, 28, v54
	v_lshlrev_b64 v[52:53], v52, v[40:41]
	v_lshrrev_b32_e32 v51, 3, v38
	v_sub_u32_e32 v53, 29, v54
	v_and_b32_e32 v52, 7, v52
	v_cmp_gt_u32_e32 vcc, 8, v38
	v_cndmask_b32_e32 v38, v51, v53, vcc
	v_cndmask_b32_e32 v39, v39, v52, vcc
	v_lshlrev_b32_e32 v51, 24, v40
	v_bfrev_b32_e32 v52, 60
	v_lshlrev_b32_e32 v39, 20, v39
	v_and_b32_e32 v51, 0x80000000, v51
	v_lshl_add_u32 v38, v38, 23, v52
	v_or3_b32 v52, v51, v38, v39
.LBB604_159:
	s_or_b64 exec, exec, s[10:11]
.LBB604_160:
	s_or_b64 exec, exec, s[8:9]
.LBB604_161:
	s_or_b64 exec, exec, s[2:3]
	v_lshrrev_b16_e32 v38, 8, v40
	v_cmp_ne_u16_e32 vcc, 0, v38
	v_mov_b32_e32 v39, 0
	v_mov_b32_e32 v53, 0
	s_and_saveexec_b64 s[2:3], vcc
	s_cbranch_execz .LBB604_167
; %bb.162:
	s_movk_i32 s8, 0x80
	v_cmp_ne_u16_e32 vcc, s8, v38
	v_bfrev_b32_e32 v53, 1
	s_and_saveexec_b64 s[8:9], vcc
	s_cbranch_execz .LBB604_166
; %bb.163:
	s_movk_i32 s10, 0x7f
	v_and_b32_e32 v51, 0x7f, v38
	v_cmp_ne_u32_e32 vcc, s10, v51
	v_mov_b32_e32 v53, 0x7f800001
	s_and_saveexec_b64 s[10:11], vcc
	s_cbranch_execz .LBB604_165
; %bb.164:
	v_and_b32_e32 v53, 7, v38
	v_ffbh_u32_e32 v54, v53
	v_min_u32_e32 v57, 32, v54
	v_subrev_u32_e32 v54, 28, v57
	v_lshlrev_b64 v[54:55], v54, v[38:39]
	v_lshrrev_b32_e32 v56, 3, v51
	v_sub_u32_e32 v38, 29, v57
	v_and_b32_e32 v54, 7, v54
	v_cmp_gt_u32_e32 vcc, 8, v51
	v_cndmask_b32_e32 v38, v56, v38, vcc
	v_cndmask_b32_e32 v51, v53, v54, vcc
	v_lshlrev_b32_e32 v53, 16, v40
	v_bfrev_b32_e32 v54, 60
	v_lshlrev_b32_e32 v51, 20, v51
	v_and_b32_e32 v53, 0x80000000, v53
	v_lshl_add_u32 v38, v38, 23, v54
	v_or3_b32 v53, v53, v38, v51
.LBB604_165:
	s_or_b64 exec, exec, s[10:11]
.LBB604_166:
	s_or_b64 exec, exec, s[8:9]
.LBB604_167:
	s_or_b64 exec, exec, s[2:3]
	s_movk_i32 s2, 0xff
	v_and_b32_sdwa v51, v40, s2 dst_sel:DWORD dst_unused:UNUSED_PAD src0_sel:WORD_1 src1_sel:DWORD
	v_lshrrev_b32_e32 v38, 16, v40
	v_cmp_ne_u16_e32 vcc, 0, v51
	s_and_saveexec_b64 s[2:3], vcc
	s_cbranch_execz .LBB604_173
; %bb.168:
	s_movk_i32 s8, 0x80
	v_cmp_ne_u16_e32 vcc, s8, v51
	v_bfrev_b32_e32 v39, 1
	s_and_saveexec_b64 s[8:9], vcc
	s_cbranch_execz .LBB604_172
; %bb.169:
	v_bfe_u32 v51, v40, 16, 7
	s_movk_i32 s10, 0x7f
	v_cmp_ne_u32_e32 vcc, s10, v51
	v_mov_b32_e32 v39, 0x7f800001
	s_and_saveexec_b64 s[10:11], vcc
	s_cbranch_execz .LBB604_171
; %bb.170:
	v_and_b32_e32 v54, 7, v38
	v_ffbh_u32_e32 v39, v54
	v_min_u32_e32 v56, 32, v39
	v_subrev_u32_e32 v39, 28, v56
	v_lshlrev_b64 v[38:39], v39, v[38:39]
	v_lshrrev_b32_e32 v55, 3, v51
	v_sub_u32_e32 v39, 29, v56
	v_and_b32_e32 v38, 7, v38
	v_cmp_gt_u32_e32 vcc, 8, v51
	v_mov_b32_e32 v51, 24
	v_cndmask_b32_e32 v39, v55, v39, vcc
	v_cndmask_b32_e32 v38, v54, v38, vcc
	v_lshlrev_b32_sdwa v51, v51, v40 dst_sel:DWORD dst_unused:UNUSED_PAD src0_sel:DWORD src1_sel:WORD_1
	v_bfrev_b32_e32 v54, 60
	v_lshlrev_b32_e32 v38, 20, v38
	v_and_b32_e32 v51, 0x80000000, v51
	v_lshl_add_u32 v39, v39, 23, v54
	v_or3_b32 v39, v51, v39, v38
.LBB604_171:
	s_or_b64 exec, exec, s[10:11]
.LBB604_172:
	s_or_b64 exec, exec, s[8:9]
.LBB604_173:
	s_or_b64 exec, exec, s[2:3]
	s_mov_b32 s2, 0xffffff
	v_cmp_lt_u32_e32 vcc, s2, v40
	v_mov_b32_e32 v54, 0
	v_mov_b32_e32 v55, 0
	s_and_saveexec_b64 s[2:3], vcc
	s_cbranch_execz .LBB604_179
; %bb.174:
	v_lshrrev_b32_e32 v38, 24, v40
	s_movk_i32 s8, 0x80
	v_cmp_ne_u32_e32 vcc, s8, v38
	v_bfrev_b32_e32 v55, 1
	s_and_saveexec_b64 s[8:9], vcc
	s_cbranch_execz .LBB604_178
; %bb.175:
	v_bfe_u32 v40, v40, 24, 7
	s_movk_i32 s10, 0x7f
	v_cmp_ne_u32_e32 vcc, s10, v40
	v_mov_b32_e32 v55, 0x7f800001
	s_and_saveexec_b64 s[10:11], vcc
	s_cbranch_execz .LBB604_177
; %bb.176:
	v_and_b32_e32 v51, 7, v38
	v_ffbh_u32_e32 v56, v51
	v_min_u32_e32 v58, 32, v56
	v_subrev_u32_e32 v56, 28, v58
	v_lshlrev_b64 v[56:57], v56, v[38:39]
	v_lshrrev_b32_e32 v55, 3, v40
	v_sub_u32_e32 v57, 29, v58
	v_and_b32_e32 v56, 7, v56
	v_cmp_gt_u32_e32 vcc, 8, v40
	v_cndmask_b32_e32 v40, v55, v57, vcc
	v_cndmask_b32_e32 v51, v51, v56, vcc
	v_lshlrev_b32_e32 v38, 24, v38
	v_bfrev_b32_e32 v55, 60
	v_lshlrev_b32_e32 v51, 20, v51
	v_and_b32_e32 v38, 0x80000000, v38
	v_lshl_add_u32 v40, v40, 23, v55
	v_or3_b32 v55, v38, v40, v51
.LBB604_177:
	s_or_b64 exec, exec, s[10:11]
.LBB604_178:
	s_or_b64 exec, exec, s[8:9]
.LBB604_179:
	s_or_b64 exec, exec, s[2:3]
	v_cmp_ne_u16_sdwa s[8:9], v41, v54 src0_sel:BYTE_0 src1_sel:DWORD
	s_and_saveexec_b64 s[2:3], s[8:9]
	s_cbranch_execz .LBB604_185
; %bb.180:
	s_movk_i32 s8, 0x80
	v_cmp_ne_u16_sdwa s[10:11], v41, s8 src0_sel:BYTE_0 src1_sel:DWORD
	v_bfrev_b32_e32 v54, 1
	s_and_saveexec_b64 s[8:9], s[10:11]
	s_cbranch_execz .LBB604_184
; %bb.181:
	s_movk_i32 s10, 0x7f
	v_and_b32_e32 v38, 0x7f, v41
	v_cmp_ne_u32_e32 vcc, s10, v38
	v_mov_b32_e32 v54, 0x7f800001
	s_and_saveexec_b64 s[10:11], vcc
	s_cbranch_execz .LBB604_183
; %bb.182:
	v_and_b32_e32 v51, 7, v41
	v_ffbh_u32_e32 v56, v51
	v_min_u32_e32 v58, 32, v56
	v_mov_b32_e32 v40, v41
	v_subrev_u32_e32 v56, 28, v58
	v_lshlrev_b64 v[56:57], v56, v[40:41]
	v_lshrrev_b32_e32 v54, 3, v38
	v_sub_u32_e32 v40, 29, v58
	v_and_b32_e32 v56, 7, v56
	v_cmp_gt_u32_e32 vcc, 8, v38
	v_cndmask_b32_e32 v38, v54, v40, vcc
	v_cndmask_b32_e32 v40, v51, v56, vcc
	v_lshlrev_b32_e32 v51, 24, v41
	v_bfrev_b32_e32 v54, 60
	v_lshlrev_b32_e32 v40, 20, v40
	v_and_b32_e32 v51, 0x80000000, v51
	v_lshl_add_u32 v38, v38, 23, v54
	v_or3_b32 v54, v51, v38, v40
.LBB604_183:
	s_or_b64 exec, exec, s[10:11]
.LBB604_184:
	s_or_b64 exec, exec, s[8:9]
.LBB604_185:
	s_or_b64 exec, exec, s[2:3]
	v_lshrrev_b16_e32 v38, 8, v41
	v_cmp_ne_u16_e32 vcc, 0, v38
	v_mov_b32_e32 v40, 0
	v_mov_b32_e32 v56, 0
	s_and_saveexec_b64 s[2:3], vcc
	s_cbranch_execz .LBB604_191
; %bb.186:
	s_movk_i32 s8, 0x80
	v_cmp_ne_u16_e32 vcc, s8, v38
	v_bfrev_b32_e32 v56, 1
	s_and_saveexec_b64 s[8:9], vcc
	s_cbranch_execz .LBB604_190
; %bb.187:
	s_movk_i32 s10, 0x7f
	v_and_b32_e32 v51, 0x7f, v38
	v_cmp_ne_u32_e32 vcc, s10, v51
	v_mov_b32_e32 v56, 0x7f800001
	s_and_saveexec_b64 s[10:11], vcc
	s_cbranch_execz .LBB604_189
; %bb.188:
	v_and_b32_e32 v58, 7, v38
	v_ffbh_u32_e32 v56, v58
	v_min_u32_e32 v60, 32, v56
	v_subrev_u32_e32 v56, 28, v60
	v_lshlrev_b64 v[56:57], v56, v[38:39]
	v_lshrrev_b32_e32 v59, 3, v51
	v_sub_u32_e32 v38, 29, v60
	v_and_b32_e32 v56, 7, v56
	v_cmp_gt_u32_e32 vcc, 8, v51
	v_cndmask_b32_e32 v38, v59, v38, vcc
	v_cndmask_b32_e32 v51, v58, v56, vcc
	v_lshlrev_b32_e32 v56, 16, v41
	v_bfrev_b32_e32 v57, 60
	v_lshlrev_b32_e32 v51, 20, v51
	v_and_b32_e32 v56, 0x80000000, v56
	v_lshl_add_u32 v38, v38, 23, v57
	v_or3_b32 v56, v56, v38, v51
.LBB604_189:
	s_or_b64 exec, exec, s[10:11]
.LBB604_190:
	s_or_b64 exec, exec, s[8:9]
.LBB604_191:
	s_or_b64 exec, exec, s[2:3]
	s_movk_i32 s2, 0xff
	v_and_b32_sdwa v51, v41, s2 dst_sel:DWORD dst_unused:UNUSED_PAD src0_sel:WORD_1 src1_sel:DWORD
	v_lshrrev_b32_e32 v38, 16, v41
	v_cmp_ne_u16_e32 vcc, 0, v51
	s_and_saveexec_b64 s[2:3], vcc
	s_cbranch_execz .LBB604_197
; %bb.192:
	s_movk_i32 s8, 0x80
	v_cmp_ne_u16_e32 vcc, s8, v51
	v_bfrev_b32_e32 v40, 1
	s_and_saveexec_b64 s[8:9], vcc
	s_cbranch_execz .LBB604_196
; %bb.193:
	v_bfe_u32 v51, v41, 16, 7
	s_movk_i32 s10, 0x7f
	v_cmp_ne_u32_e32 vcc, s10, v51
	v_mov_b32_e32 v40, 0x7f800001
	s_and_saveexec_b64 s[10:11], vcc
	s_cbranch_execz .LBB604_195
; %bb.194:
	v_and_b32_e32 v40, 7, v38
	v_ffbh_u32_e32 v58, v40
	v_min_u32_e32 v60, 32, v58
	v_subrev_u32_e32 v58, 28, v60
	v_lshlrev_b64 v[58:59], v58, v[38:39]
	v_lshrrev_b32_e32 v57, 3, v51
	v_sub_u32_e32 v38, 29, v60
	v_and_b32_e32 v58, 7, v58
	v_cmp_gt_u32_e32 vcc, 8, v51
	v_mov_b32_e32 v51, 24
	v_cndmask_b32_e32 v38, v57, v38, vcc
	v_cndmask_b32_e32 v40, v40, v58, vcc
	v_lshlrev_b32_sdwa v51, v51, v41 dst_sel:DWORD dst_unused:UNUSED_PAD src0_sel:DWORD src1_sel:WORD_1
	v_bfrev_b32_e32 v57, 60
	v_lshlrev_b32_e32 v40, 20, v40
	v_and_b32_e32 v51, 0x80000000, v51
	v_lshl_add_u32 v38, v38, 23, v57
	v_or3_b32 v40, v51, v38, v40
.LBB604_195:
	s_or_b64 exec, exec, s[10:11]
.LBB604_196:
	s_or_b64 exec, exec, s[8:9]
.LBB604_197:
	s_or_b64 exec, exec, s[2:3]
	s_mov_b32 s2, 0xffffff
	v_cmp_lt_u32_e32 vcc, s2, v41
	v_mov_b32_e32 v51, 0
	v_mov_b32_e32 v57, 0
	s_and_saveexec_b64 s[2:3], vcc
	s_cbranch_execz .LBB604_203
; %bb.198:
	v_lshrrev_b32_e32 v38, 24, v41
	s_movk_i32 s8, 0x80
	v_cmp_ne_u32_e32 vcc, s8, v38
	v_bfrev_b32_e32 v57, 1
	s_and_saveexec_b64 s[8:9], vcc
	s_cbranch_execz .LBB604_202
; %bb.199:
	v_bfe_u32 v41, v41, 24, 7
	s_movk_i32 s10, 0x7f
	v_cmp_ne_u32_e32 vcc, s10, v41
	v_mov_b32_e32 v57, 0x7f800001
	s_and_saveexec_b64 s[10:11], vcc
	s_cbranch_execz .LBB604_201
; %bb.200:
	v_and_b32_e32 v57, 7, v38
	v_ffbh_u32_e32 v58, v57
	v_min_u32_e32 v61, 32, v58
	v_subrev_u32_e32 v58, 28, v61
	v_lshlrev_b64 v[58:59], v58, v[38:39]
	v_lshrrev_b32_e32 v60, 3, v41
	v_sub_u32_e32 v59, 29, v61
	v_and_b32_e32 v58, 7, v58
	v_cmp_gt_u32_e32 vcc, 8, v41
	v_cndmask_b32_e32 v41, v60, v59, vcc
	v_cndmask_b32_e32 v57, v57, v58, vcc
	v_lshlrev_b32_e32 v38, 24, v38
	v_bfrev_b32_e32 v58, 60
	v_lshlrev_b32_e32 v57, 20, v57
	v_and_b32_e32 v38, 0x80000000, v38
	v_lshl_add_u32 v41, v41, 23, v58
	v_or3_b32 v57, v38, v41, v57
.LBB604_201:
	s_or_b64 exec, exec, s[10:11]
.LBB604_202:
	s_or_b64 exec, exec, s[8:9]
.LBB604_203:
	s_or_b64 exec, exec, s[2:3]
	v_cvt_pkrtz_f16_f32 v38, v52, v53
	v_cvt_pkrtz_f16_f32 v39, v39, v55
	s_waitcnt vmcnt(5)
	v_cmp_ne_u16_sdwa s[8:9], v34, v51 src0_sel:BYTE_0 src1_sel:DWORD
	v_mfma_f32_16x16x16f16 v[42:45], v[38:39], v[18:19], v[42:45]
	v_cvt_pkrtz_f16_f32 v38, v54, v56
	v_cvt_pkrtz_f16_f32 v39, v40, v57
	s_nop 1
	v_mfma_f32_16x16x16f16 v[38:41], v[38:39], v[20:21], v[42:45]
	s_and_saveexec_b64 s[2:3], s[8:9]
	s_cbranch_execz .LBB604_209
; %bb.204:
	s_movk_i32 s8, 0x80
	v_cmp_ne_u16_sdwa s[10:11], v34, s8 src0_sel:BYTE_0 src1_sel:DWORD
	v_bfrev_b32_e32 v51, 1
	s_and_saveexec_b64 s[8:9], s[10:11]
	s_cbranch_execz .LBB604_208
; %bb.205:
	s_movk_i32 s10, 0x7f
	v_and_b32_e32 v42, 0x7f, v34
	v_cmp_ne_u32_e32 vcc, s10, v42
	v_mov_b32_e32 v51, 0x7f800001
	s_and_saveexec_b64 s[10:11], vcc
	s_cbranch_execz .LBB604_207
; %bb.206:
	v_and_b32_e32 v43, 7, v34
	v_ffbh_u32_e32 v44, v43
	v_min_u32_e32 v52, 32, v44
	v_subrev_u32_e32 v44, 28, v52
	v_lshlrev_b64 v[44:45], v44, v[34:35]
	v_lshrrev_b32_e32 v51, 3, v42
	v_sub_u32_e32 v45, 29, v52
	v_and_b32_e32 v44, 7, v44
	v_cmp_gt_u32_e32 vcc, 8, v42
	v_cndmask_b32_e32 v42, v51, v45, vcc
	v_cndmask_b32_e32 v43, v43, v44, vcc
	v_lshlrev_b32_e32 v44, 24, v34
	v_bfrev_b32_e32 v45, 60
	v_lshlrev_b32_e32 v43, 20, v43
	v_and_b32_e32 v44, 0x80000000, v44
	v_lshl_add_u32 v42, v42, 23, v45
	v_or3_b32 v51, v44, v42, v43
.LBB604_207:
	s_or_b64 exec, exec, s[10:11]
.LBB604_208:
	s_or_b64 exec, exec, s[8:9]
.LBB604_209:
	s_or_b64 exec, exec, s[2:3]
	s_nop 3
	v_lshrrev_b16_e32 v42, 8, v34
	v_cmp_ne_u16_e32 vcc, 0, v42
	v_mov_b32_e32 v43, 0
	v_mov_b32_e32 v44, 0
	s_and_saveexec_b64 s[2:3], vcc
	s_cbranch_execz .LBB604_215
; %bb.210:
	s_movk_i32 s8, 0x80
	v_cmp_ne_u16_e32 vcc, s8, v42
	v_bfrev_b32_e32 v44, 1
	s_and_saveexec_b64 s[8:9], vcc
	s_cbranch_execz .LBB604_214
; %bb.211:
	s_movk_i32 s10, 0x7f
	v_and_b32_e32 v45, 0x7f, v42
	v_cmp_ne_u32_e32 vcc, s10, v45
	v_mov_b32_e32 v44, 0x7f800001
	s_and_saveexec_b64 s[10:11], vcc
	s_cbranch_execz .LBB604_213
; %bb.212:
	v_and_b32_e32 v44, 7, v42
	v_ffbh_u32_e32 v52, v44
	v_min_u32_e32 v55, 32, v52
	v_subrev_u32_e32 v52, 28, v55
	v_lshlrev_b64 v[52:53], v52, v[42:43]
	v_lshrrev_b32_e32 v54, 3, v45
	v_sub_u32_e32 v42, 29, v55
	v_and_b32_e32 v52, 7, v52
	v_cmp_gt_u32_e32 vcc, 8, v45
	v_cndmask_b32_e32 v42, v54, v42, vcc
	v_cndmask_b32_e32 v44, v44, v52, vcc
	v_lshlrev_b32_e32 v45, 16, v34
	v_bfrev_b32_e32 v52, 60
	v_lshlrev_b32_e32 v44, 20, v44
	v_and_b32_e32 v45, 0x80000000, v45
	v_lshl_add_u32 v42, v42, 23, v52
	v_or3_b32 v44, v45, v42, v44
.LBB604_213:
	s_or_b64 exec, exec, s[10:11]
.LBB604_214:
	s_or_b64 exec, exec, s[8:9]
.LBB604_215:
	s_or_b64 exec, exec, s[2:3]
	s_movk_i32 s2, 0xff
	v_and_b32_sdwa v45, v34, s2 dst_sel:DWORD dst_unused:UNUSED_PAD src0_sel:WORD_1 src1_sel:DWORD
	v_lshrrev_b32_e32 v42, 16, v34
	v_cmp_ne_u16_e32 vcc, 0, v45
	s_and_saveexec_b64 s[2:3], vcc
	s_cbranch_execz .LBB604_221
; %bb.216:
	s_movk_i32 s8, 0x80
	v_cmp_ne_u16_e32 vcc, s8, v45
	v_bfrev_b32_e32 v43, 1
	s_and_saveexec_b64 s[8:9], vcc
	s_cbranch_execz .LBB604_220
; %bb.217:
	v_bfe_u32 v45, v34, 16, 7
	s_movk_i32 s10, 0x7f
	v_cmp_ne_u32_e32 vcc, s10, v45
	v_mov_b32_e32 v43, 0x7f800001
	s_and_saveexec_b64 s[10:11], vcc
	s_cbranch_execz .LBB604_219
; %bb.218:
	v_and_b32_e32 v52, 7, v42
	v_ffbh_u32_e32 v43, v52
	v_min_u32_e32 v54, 32, v43
	v_subrev_u32_e32 v43, 28, v54
	v_lshlrev_b64 v[42:43], v43, v[42:43]
	v_lshrrev_b32_e32 v53, 3, v45
	v_sub_u32_e32 v43, 29, v54
	v_and_b32_e32 v42, 7, v42
	v_cmp_gt_u32_e32 vcc, 8, v45
	v_mov_b32_e32 v45, 24
	v_cndmask_b32_e32 v43, v53, v43, vcc
	v_cndmask_b32_e32 v42, v52, v42, vcc
	v_lshlrev_b32_sdwa v45, v45, v34 dst_sel:DWORD dst_unused:UNUSED_PAD src0_sel:DWORD src1_sel:WORD_1
	v_bfrev_b32_e32 v52, 60
	v_lshlrev_b32_e32 v42, 20, v42
	v_and_b32_e32 v45, 0x80000000, v45
	v_lshl_add_u32 v43, v43, 23, v52
	v_or3_b32 v43, v45, v43, v42
.LBB604_219:
	s_or_b64 exec, exec, s[10:11]
.LBB604_220:
	s_or_b64 exec, exec, s[8:9]
.LBB604_221:
	s_or_b64 exec, exec, s[2:3]
	s_mov_b32 s2, 0xffffff
	v_cmp_lt_u32_e32 vcc, s2, v34
	v_mov_b32_e32 v45, 0
	v_mov_b32_e32 v53, 0
	s_and_saveexec_b64 s[2:3], vcc
	s_cbranch_execz .LBB604_227
; %bb.222:
	v_lshrrev_b32_e32 v42, 24, v34
	s_movk_i32 s8, 0x80
	v_cmp_ne_u32_e32 vcc, s8, v42
	v_bfrev_b32_e32 v53, 1
	s_and_saveexec_b64 s[8:9], vcc
	s_cbranch_execz .LBB604_226
; %bb.223:
	v_bfe_u32 v34, v34, 24, 7
	s_movk_i32 s10, 0x7f
	v_cmp_ne_u32_e32 vcc, s10, v34
	v_mov_b32_e32 v53, 0x7f800001
	s_and_saveexec_b64 s[10:11], vcc
	s_cbranch_execz .LBB604_225
; %bb.224:
	v_and_b32_e32 v54, 7, v42
	v_ffbh_u32_e32 v52, v54
	v_min_u32_e32 v56, 32, v52
	v_subrev_u32_e32 v52, 28, v56
	v_lshlrev_b64 v[52:53], v52, v[42:43]
	v_lshrrev_b32_e32 v55, 3, v34
	v_sub_u32_e32 v53, 29, v56
	v_and_b32_e32 v52, 7, v52
	v_cmp_gt_u32_e32 vcc, 8, v34
	v_cndmask_b32_e32 v34, v55, v53, vcc
	v_cndmask_b32_e32 v52, v54, v52, vcc
	v_lshlrev_b32_e32 v42, 24, v42
	v_bfrev_b32_e32 v53, 60
	v_lshlrev_b32_e32 v52, 20, v52
	v_and_b32_e32 v42, 0x80000000, v42
	v_lshl_add_u32 v34, v34, 23, v53
	v_or3_b32 v53, v42, v34, v52
.LBB604_225:
	s_or_b64 exec, exec, s[10:11]
.LBB604_226:
	s_or_b64 exec, exec, s[8:9]
.LBB604_227:
	s_or_b64 exec, exec, s[2:3]
	v_cmp_ne_u16_sdwa s[8:9], v35, v45 src0_sel:BYTE_0 src1_sel:DWORD
	s_and_saveexec_b64 s[2:3], s[8:9]
	s_cbranch_execz .LBB604_233
; %bb.228:
	s_movk_i32 s8, 0x80
	v_cmp_ne_u16_sdwa s[10:11], v35, s8 src0_sel:BYTE_0 src1_sel:DWORD
	v_bfrev_b32_e32 v45, 1
	s_and_saveexec_b64 s[8:9], s[10:11]
	s_cbranch_execz .LBB604_232
; %bb.229:
	s_movk_i32 s10, 0x7f
	v_and_b32_e32 v34, 0x7f, v35
	v_cmp_ne_u32_e32 vcc, s10, v34
	v_mov_b32_e32 v45, 0x7f800001
	s_and_saveexec_b64 s[10:11], vcc
	s_cbranch_execz .LBB604_231
; %bb.230:
	v_and_b32_e32 v45, 7, v35
	v_ffbh_u32_e32 v54, v45
	v_min_u32_e32 v56, 32, v54
	v_mov_b32_e32 v42, v35
	v_subrev_u32_e32 v54, 28, v56
	v_lshlrev_b64 v[54:55], v54, v[42:43]
	v_lshrrev_b32_e32 v52, 3, v34
	v_sub_u32_e32 v42, 29, v56
	v_and_b32_e32 v54, 7, v54
	v_cmp_gt_u32_e32 vcc, 8, v34
	v_cndmask_b32_e32 v34, v52, v42, vcc
	v_cndmask_b32_e32 v42, v45, v54, vcc
	v_lshlrev_b32_e32 v45, 24, v35
	v_bfrev_b32_e32 v52, 60
	v_lshlrev_b32_e32 v42, 20, v42
	v_and_b32_e32 v45, 0x80000000, v45
	v_lshl_add_u32 v34, v34, 23, v52
	v_or3_b32 v45, v45, v34, v42
.LBB604_231:
	s_or_b64 exec, exec, s[10:11]
.LBB604_232:
	s_or_b64 exec, exec, s[8:9]
.LBB604_233:
	s_or_b64 exec, exec, s[2:3]
	v_lshrrev_b16_e32 v34, 8, v35
	v_cmp_ne_u16_e32 vcc, 0, v34
	v_mov_b32_e32 v42, 0
	v_mov_b32_e32 v54, 0
	s_and_saveexec_b64 s[2:3], vcc
	s_cbranch_execz .LBB604_239
; %bb.234:
	s_movk_i32 s8, 0x80
	v_cmp_ne_u16_e32 vcc, s8, v34
	v_bfrev_b32_e32 v54, 1
	s_and_saveexec_b64 s[8:9], vcc
	s_cbranch_execz .LBB604_238
; %bb.235:
	s_movk_i32 s10, 0x7f
	v_and_b32_e32 v52, 0x7f, v34
	v_cmp_ne_u32_e32 vcc, s10, v52
	v_mov_b32_e32 v54, 0x7f800001
	s_and_saveexec_b64 s[10:11], vcc
	s_cbranch_execz .LBB604_237
; %bb.236:
	v_and_b32_e32 v56, 7, v34
	v_ffbh_u32_e32 v54, v56
	v_min_u32_e32 v58, 32, v54
	v_subrev_u32_e32 v54, 28, v58
	v_lshlrev_b64 v[54:55], v54, v[34:35]
	v_lshrrev_b32_e32 v57, 3, v52
	v_sub_u32_e32 v34, 29, v58
	v_and_b32_e32 v54, 7, v54
	v_cmp_gt_u32_e32 vcc, 8, v52
	v_cndmask_b32_e32 v34, v57, v34, vcc
	v_cndmask_b32_e32 v52, v56, v54, vcc
	v_lshlrev_b32_e32 v54, 16, v35
	v_bfrev_b32_e32 v55, 60
	v_lshlrev_b32_e32 v52, 20, v52
	v_and_b32_e32 v54, 0x80000000, v54
	v_lshl_add_u32 v34, v34, 23, v55
	v_or3_b32 v54, v54, v34, v52
.LBB604_237:
	s_or_b64 exec, exec, s[10:11]
.LBB604_238:
	s_or_b64 exec, exec, s[8:9]
.LBB604_239:
	s_or_b64 exec, exec, s[2:3]
	s_movk_i32 s2, 0xff
	v_and_b32_sdwa v52, v35, s2 dst_sel:DWORD dst_unused:UNUSED_PAD src0_sel:WORD_1 src1_sel:DWORD
	v_lshrrev_b32_e32 v34, 16, v35
	v_cmp_ne_u16_e32 vcc, 0, v52
	s_and_saveexec_b64 s[2:3], vcc
	s_cbranch_execz .LBB604_245
; %bb.240:
	s_movk_i32 s8, 0x80
	v_cmp_ne_u16_e32 vcc, s8, v52
	v_bfrev_b32_e32 v42, 1
	s_and_saveexec_b64 s[8:9], vcc
	s_cbranch_execz .LBB604_244
; %bb.241:
	v_bfe_u32 v52, v35, 16, 7
	s_movk_i32 s10, 0x7f
	v_cmp_ne_u32_e32 vcc, s10, v52
	v_mov_b32_e32 v42, 0x7f800001
	s_and_saveexec_b64 s[10:11], vcc
	s_cbranch_execz .LBB604_243
; %bb.242:
	v_and_b32_e32 v42, 7, v34
	v_ffbh_u32_e32 v56, v42
	v_min_u32_e32 v58, 32, v56
	v_subrev_u32_e32 v56, 28, v58
	v_lshlrev_b64 v[56:57], v56, v[34:35]
	v_lshrrev_b32_e32 v55, 3, v52
	v_sub_u32_e32 v34, 29, v58
	v_and_b32_e32 v56, 7, v56
	v_cmp_gt_u32_e32 vcc, 8, v52
	v_mov_b32_e32 v52, 24
	v_cndmask_b32_e32 v34, v55, v34, vcc
	v_cndmask_b32_e32 v42, v42, v56, vcc
	v_lshlrev_b32_sdwa v52, v52, v35 dst_sel:DWORD dst_unused:UNUSED_PAD src0_sel:DWORD src1_sel:WORD_1
	v_bfrev_b32_e32 v55, 60
	v_lshlrev_b32_e32 v42, 20, v42
	v_and_b32_e32 v52, 0x80000000, v52
	v_lshl_add_u32 v34, v34, 23, v55
	v_or3_b32 v42, v52, v34, v42
.LBB604_243:
	s_or_b64 exec, exec, s[10:11]
.LBB604_244:
	s_or_b64 exec, exec, s[8:9]
.LBB604_245:
	s_or_b64 exec, exec, s[2:3]
	s_mov_b32 s2, 0xffffff
	v_cmp_lt_u32_e32 vcc, s2, v35
	v_mov_b32_e32 v52, 0
	v_mov_b32_e32 v55, 0
	s_and_saveexec_b64 s[2:3], vcc
	s_cbranch_execz .LBB604_251
; %bb.246:
	v_lshrrev_b32_e32 v34, 24, v35
	s_movk_i32 s8, 0x80
	v_cmp_ne_u32_e32 vcc, s8, v34
	v_bfrev_b32_e32 v55, 1
	s_and_saveexec_b64 s[8:9], vcc
	s_cbranch_execz .LBB604_250
; %bb.247:
	v_bfe_u32 v35, v35, 24, 7
	s_movk_i32 s10, 0x7f
	v_cmp_ne_u32_e32 vcc, s10, v35
	v_mov_b32_e32 v55, 0x7f800001
	s_and_saveexec_b64 s[10:11], vcc
	s_cbranch_execz .LBB604_249
; %bb.248:
	v_and_b32_e32 v55, 7, v34
	v_ffbh_u32_e32 v56, v55
	v_min_u32_e32 v59, 32, v56
	v_subrev_u32_e32 v56, 28, v59
	v_lshlrev_b64 v[56:57], v56, v[34:35]
	v_lshrrev_b32_e32 v58, 3, v35
	v_sub_u32_e32 v57, 29, v59
	v_and_b32_e32 v56, 7, v56
	v_cmp_gt_u32_e32 vcc, 8, v35
	v_cndmask_b32_e32 v35, v58, v57, vcc
	v_cndmask_b32_e32 v55, v55, v56, vcc
	v_lshlrev_b32_e32 v34, 24, v34
	v_bfrev_b32_e32 v56, 60
	v_lshlrev_b32_e32 v55, 20, v55
	v_and_b32_e32 v34, 0x80000000, v34
	v_lshl_add_u32 v35, v35, 23, v56
	v_or3_b32 v55, v34, v35, v55
.LBB604_249:
	s_or_b64 exec, exec, s[10:11]
.LBB604_250:
	s_or_b64 exec, exec, s[8:9]
.LBB604_251:
	s_or_b64 exec, exec, s[2:3]
	v_cvt_pkrtz_f16_f32 v34, v51, v44
	v_cvt_pkrtz_f16_f32 v35, v43, v53
	v_cmp_ne_u16_sdwa s[8:9], v36, v52 src0_sel:BYTE_0 src1_sel:DWORD
	s_nop 0
	v_mfma_f32_16x16x16f16 v[56:59], v[34:35], v[26:27], 0
	v_cvt_pkrtz_f16_f32 v34, v45, v54
	v_cvt_pkrtz_f16_f32 v35, v42, v55
	s_nop 1
	v_mfma_f32_16x16x16f16 v[42:45], v[34:35], v[28:29], v[56:59]
	s_and_saveexec_b64 s[2:3], s[8:9]
	s_cbranch_execz .LBB604_257
; %bb.252:
	s_movk_i32 s8, 0x80
	v_cmp_ne_u16_sdwa s[10:11], v36, s8 src0_sel:BYTE_0 src1_sel:DWORD
	v_bfrev_b32_e32 v52, 1
	s_and_saveexec_b64 s[8:9], s[10:11]
	s_cbranch_execz .LBB604_256
; %bb.253:
	s_movk_i32 s10, 0x7f
	v_and_b32_e32 v34, 0x7f, v36
	v_cmp_ne_u32_e32 vcc, s10, v34
	v_mov_b32_e32 v52, 0x7f800001
	s_and_saveexec_b64 s[10:11], vcc
	s_cbranch_execz .LBB604_255
; %bb.254:
	v_and_b32_e32 v35, 7, v36
	v_ffbh_u32_e32 v52, v35
	v_min_u32_e32 v54, 32, v52
	v_subrev_u32_e32 v52, 28, v54
	v_lshlrev_b64 v[52:53], v52, v[36:37]
	v_lshrrev_b32_e32 v51, 3, v34
	v_sub_u32_e32 v53, 29, v54
	v_and_b32_e32 v52, 7, v52
	v_cmp_gt_u32_e32 vcc, 8, v34
	v_cndmask_b32_e32 v34, v51, v53, vcc
	v_cndmask_b32_e32 v35, v35, v52, vcc
	v_lshlrev_b32_e32 v51, 24, v36
	v_bfrev_b32_e32 v52, 60
	v_lshlrev_b32_e32 v35, 20, v35
	v_and_b32_e32 v51, 0x80000000, v51
	v_lshl_add_u32 v34, v34, 23, v52
	v_or3_b32 v52, v51, v34, v35
.LBB604_255:
	s_or_b64 exec, exec, s[10:11]
.LBB604_256:
	s_or_b64 exec, exec, s[8:9]
.LBB604_257:
	s_or_b64 exec, exec, s[2:3]
	v_lshrrev_b16_e32 v34, 8, v36
	v_cmp_ne_u16_e32 vcc, 0, v34
	v_mov_b32_e32 v35, 0
	v_mov_b32_e32 v53, 0
	s_and_saveexec_b64 s[2:3], vcc
	s_cbranch_execz .LBB604_263
; %bb.258:
	s_movk_i32 s8, 0x80
	v_cmp_ne_u16_e32 vcc, s8, v34
	v_bfrev_b32_e32 v53, 1
	s_and_saveexec_b64 s[8:9], vcc
	s_cbranch_execz .LBB604_262
; %bb.259:
	s_movk_i32 s10, 0x7f
	v_and_b32_e32 v51, 0x7f, v34
	v_cmp_ne_u32_e32 vcc, s10, v51
	v_mov_b32_e32 v53, 0x7f800001
	s_and_saveexec_b64 s[10:11], vcc
	s_cbranch_execz .LBB604_261
; %bb.260:
	v_and_b32_e32 v53, 7, v34
	v_ffbh_u32_e32 v54, v53
	v_min_u32_e32 v57, 32, v54
	v_subrev_u32_e32 v54, 28, v57
	v_lshlrev_b64 v[54:55], v54, v[34:35]
	v_lshrrev_b32_e32 v56, 3, v51
	v_sub_u32_e32 v34, 29, v57
	v_and_b32_e32 v54, 7, v54
	v_cmp_gt_u32_e32 vcc, 8, v51
	v_cndmask_b32_e32 v34, v56, v34, vcc
	v_cndmask_b32_e32 v51, v53, v54, vcc
	v_lshlrev_b32_e32 v53, 16, v36
	v_bfrev_b32_e32 v54, 60
	v_lshlrev_b32_e32 v51, 20, v51
	v_and_b32_e32 v53, 0x80000000, v53
	v_lshl_add_u32 v34, v34, 23, v54
	v_or3_b32 v53, v53, v34, v51
.LBB604_261:
	s_or_b64 exec, exec, s[10:11]
.LBB604_262:
	s_or_b64 exec, exec, s[8:9]
.LBB604_263:
	s_or_b64 exec, exec, s[2:3]
	s_movk_i32 s2, 0xff
	v_and_b32_sdwa v51, v36, s2 dst_sel:DWORD dst_unused:UNUSED_PAD src0_sel:WORD_1 src1_sel:DWORD
	v_lshrrev_b32_e32 v34, 16, v36
	v_cmp_ne_u16_e32 vcc, 0, v51
	s_and_saveexec_b64 s[2:3], vcc
	s_cbranch_execz .LBB604_269
; %bb.264:
	s_movk_i32 s8, 0x80
	v_cmp_ne_u16_e32 vcc, s8, v51
	v_bfrev_b32_e32 v35, 1
	s_and_saveexec_b64 s[8:9], vcc
	s_cbranch_execz .LBB604_268
; %bb.265:
	v_bfe_u32 v51, v36, 16, 7
	s_movk_i32 s10, 0x7f
	v_cmp_ne_u32_e32 vcc, s10, v51
	v_mov_b32_e32 v35, 0x7f800001
	s_and_saveexec_b64 s[10:11], vcc
	s_cbranch_execz .LBB604_267
; %bb.266:
	v_and_b32_e32 v54, 7, v34
	v_ffbh_u32_e32 v35, v54
	v_min_u32_e32 v56, 32, v35
	v_subrev_u32_e32 v35, 28, v56
	v_lshlrev_b64 v[34:35], v35, v[34:35]
	v_lshrrev_b32_e32 v55, 3, v51
	v_sub_u32_e32 v35, 29, v56
	v_and_b32_e32 v34, 7, v34
	v_cmp_gt_u32_e32 vcc, 8, v51
	v_mov_b32_e32 v51, 24
	v_cndmask_b32_e32 v35, v55, v35, vcc
	v_cndmask_b32_e32 v34, v54, v34, vcc
	v_lshlrev_b32_sdwa v51, v51, v36 dst_sel:DWORD dst_unused:UNUSED_PAD src0_sel:DWORD src1_sel:WORD_1
	v_bfrev_b32_e32 v54, 60
	v_lshlrev_b32_e32 v34, 20, v34
	v_and_b32_e32 v51, 0x80000000, v51
	v_lshl_add_u32 v35, v35, 23, v54
	v_or3_b32 v35, v51, v35, v34
.LBB604_267:
	s_or_b64 exec, exec, s[10:11]
.LBB604_268:
	s_or_b64 exec, exec, s[8:9]
.LBB604_269:
	s_or_b64 exec, exec, s[2:3]
	s_mov_b32 s2, 0xffffff
	v_cmp_lt_u32_e32 vcc, s2, v36
	v_mov_b32_e32 v54, 0
	v_mov_b32_e32 v55, 0
	s_and_saveexec_b64 s[2:3], vcc
	s_cbranch_execz .LBB604_275
; %bb.270:
	v_lshrrev_b32_e32 v34, 24, v36
	s_movk_i32 s8, 0x80
	v_cmp_ne_u32_e32 vcc, s8, v34
	v_bfrev_b32_e32 v55, 1
	s_and_saveexec_b64 s[8:9], vcc
	s_cbranch_execz .LBB604_274
; %bb.271:
	v_bfe_u32 v36, v36, 24, 7
	s_movk_i32 s10, 0x7f
	v_cmp_ne_u32_e32 vcc, s10, v36
	v_mov_b32_e32 v55, 0x7f800001
	s_and_saveexec_b64 s[10:11], vcc
	s_cbranch_execz .LBB604_273
; %bb.272:
	v_and_b32_e32 v51, 7, v34
	v_ffbh_u32_e32 v56, v51
	v_min_u32_e32 v58, 32, v56
	v_subrev_u32_e32 v56, 28, v58
	v_lshlrev_b64 v[56:57], v56, v[34:35]
	v_lshrrev_b32_e32 v55, 3, v36
	v_sub_u32_e32 v57, 29, v58
	v_and_b32_e32 v56, 7, v56
	v_cmp_gt_u32_e32 vcc, 8, v36
	v_cndmask_b32_e32 v36, v55, v57, vcc
	v_cndmask_b32_e32 v51, v51, v56, vcc
	v_lshlrev_b32_e32 v34, 24, v34
	v_bfrev_b32_e32 v55, 60
	v_lshlrev_b32_e32 v51, 20, v51
	v_and_b32_e32 v34, 0x80000000, v34
	v_lshl_add_u32 v36, v36, 23, v55
	v_or3_b32 v55, v34, v36, v51
.LBB604_273:
	s_or_b64 exec, exec, s[10:11]
.LBB604_274:
	s_or_b64 exec, exec, s[8:9]
.LBB604_275:
	s_or_b64 exec, exec, s[2:3]
	v_cmp_ne_u16_sdwa s[8:9], v37, v54 src0_sel:BYTE_0 src1_sel:DWORD
	s_and_saveexec_b64 s[2:3], s[8:9]
	s_cbranch_execz .LBB604_281
; %bb.276:
	s_movk_i32 s8, 0x80
	v_cmp_ne_u16_sdwa s[10:11], v37, s8 src0_sel:BYTE_0 src1_sel:DWORD
	v_bfrev_b32_e32 v54, 1
	s_and_saveexec_b64 s[8:9], s[10:11]
	s_cbranch_execz .LBB604_280
; %bb.277:
	s_movk_i32 s10, 0x7f
	v_and_b32_e32 v34, 0x7f, v37
	v_cmp_ne_u32_e32 vcc, s10, v34
	v_mov_b32_e32 v54, 0x7f800001
	s_and_saveexec_b64 s[10:11], vcc
	s_cbranch_execz .LBB604_279
; %bb.278:
	v_and_b32_e32 v51, 7, v37
	v_ffbh_u32_e32 v56, v51
	v_min_u32_e32 v58, 32, v56
	v_mov_b32_e32 v36, v37
	v_subrev_u32_e32 v56, 28, v58
	v_lshlrev_b64 v[56:57], v56, v[36:37]
	v_lshrrev_b32_e32 v54, 3, v34
	v_sub_u32_e32 v36, 29, v58
	v_and_b32_e32 v56, 7, v56
	v_cmp_gt_u32_e32 vcc, 8, v34
	v_cndmask_b32_e32 v34, v54, v36, vcc
	v_cndmask_b32_e32 v36, v51, v56, vcc
	v_lshlrev_b32_e32 v51, 24, v37
	v_bfrev_b32_e32 v54, 60
	v_lshlrev_b32_e32 v36, 20, v36
	v_and_b32_e32 v51, 0x80000000, v51
	v_lshl_add_u32 v34, v34, 23, v54
	v_or3_b32 v54, v51, v34, v36
.LBB604_279:
	s_or_b64 exec, exec, s[10:11]
.LBB604_280:
	s_or_b64 exec, exec, s[8:9]
.LBB604_281:
	s_or_b64 exec, exec, s[2:3]
	v_lshrrev_b16_e32 v34, 8, v37
	v_cmp_ne_u16_e32 vcc, 0, v34
	v_mov_b32_e32 v36, 0
	v_mov_b32_e32 v56, 0
	s_and_saveexec_b64 s[2:3], vcc
	s_cbranch_execz .LBB604_287
; %bb.282:
	s_movk_i32 s8, 0x80
	v_cmp_ne_u16_e32 vcc, s8, v34
	v_bfrev_b32_e32 v56, 1
	s_and_saveexec_b64 s[8:9], vcc
	s_cbranch_execz .LBB604_286
; %bb.283:
	s_movk_i32 s10, 0x7f
	v_and_b32_e32 v51, 0x7f, v34
	v_cmp_ne_u32_e32 vcc, s10, v51
	v_mov_b32_e32 v56, 0x7f800001
	s_and_saveexec_b64 s[10:11], vcc
	s_cbranch_execz .LBB604_285
; %bb.284:
	v_and_b32_e32 v58, 7, v34
	v_ffbh_u32_e32 v56, v58
	v_min_u32_e32 v60, 32, v56
	v_subrev_u32_e32 v56, 28, v60
	v_lshlrev_b64 v[56:57], v56, v[34:35]
	v_lshrrev_b32_e32 v59, 3, v51
	v_sub_u32_e32 v34, 29, v60
	v_and_b32_e32 v56, 7, v56
	v_cmp_gt_u32_e32 vcc, 8, v51
	v_cndmask_b32_e32 v34, v59, v34, vcc
	v_cndmask_b32_e32 v51, v58, v56, vcc
	v_lshlrev_b32_e32 v56, 16, v37
	v_bfrev_b32_e32 v57, 60
	v_lshlrev_b32_e32 v51, 20, v51
	v_and_b32_e32 v56, 0x80000000, v56
	v_lshl_add_u32 v34, v34, 23, v57
	v_or3_b32 v56, v56, v34, v51
.LBB604_285:
	s_or_b64 exec, exec, s[10:11]
.LBB604_286:
	s_or_b64 exec, exec, s[8:9]
.LBB604_287:
	s_or_b64 exec, exec, s[2:3]
	s_movk_i32 s2, 0xff
	v_and_b32_sdwa v51, v37, s2 dst_sel:DWORD dst_unused:UNUSED_PAD src0_sel:WORD_1 src1_sel:DWORD
	v_lshrrev_b32_e32 v34, 16, v37
	v_cmp_ne_u16_e32 vcc, 0, v51
	s_and_saveexec_b64 s[2:3], vcc
	s_cbranch_execz .LBB604_293
; %bb.288:
	s_movk_i32 s8, 0x80
	v_cmp_ne_u16_e32 vcc, s8, v51
	v_bfrev_b32_e32 v36, 1
	s_and_saveexec_b64 s[8:9], vcc
	s_cbranch_execz .LBB604_292
; %bb.289:
	v_bfe_u32 v51, v37, 16, 7
	s_movk_i32 s10, 0x7f
	v_cmp_ne_u32_e32 vcc, s10, v51
	v_mov_b32_e32 v36, 0x7f800001
	s_and_saveexec_b64 s[10:11], vcc
	s_cbranch_execz .LBB604_291
; %bb.290:
	v_and_b32_e32 v36, 7, v34
	v_ffbh_u32_e32 v58, v36
	v_min_u32_e32 v60, 32, v58
	v_subrev_u32_e32 v58, 28, v60
	v_lshlrev_b64 v[58:59], v58, v[34:35]
	v_lshrrev_b32_e32 v57, 3, v51
	v_sub_u32_e32 v34, 29, v60
	v_and_b32_e32 v58, 7, v58
	v_cmp_gt_u32_e32 vcc, 8, v51
	v_mov_b32_e32 v51, 24
	v_cndmask_b32_e32 v34, v57, v34, vcc
	v_cndmask_b32_e32 v36, v36, v58, vcc
	v_lshlrev_b32_sdwa v51, v51, v37 dst_sel:DWORD dst_unused:UNUSED_PAD src0_sel:DWORD src1_sel:WORD_1
	v_bfrev_b32_e32 v57, 60
	v_lshlrev_b32_e32 v36, 20, v36
	v_and_b32_e32 v51, 0x80000000, v51
	v_lshl_add_u32 v34, v34, 23, v57
	v_or3_b32 v36, v51, v34, v36
.LBB604_291:
	s_or_b64 exec, exec, s[10:11]
.LBB604_292:
	s_or_b64 exec, exec, s[8:9]
.LBB604_293:
	s_or_b64 exec, exec, s[2:3]
	s_mov_b32 s2, 0xffffff
	v_cmp_lt_u32_e32 vcc, s2, v37
	v_mov_b32_e32 v51, 0
	v_mov_b32_e32 v57, 0
	s_and_saveexec_b64 s[2:3], vcc
	s_cbranch_execz .LBB604_299
; %bb.294:
	v_lshrrev_b32_e32 v34, 24, v37
	s_movk_i32 s8, 0x80
	v_cmp_ne_u32_e32 vcc, s8, v34
	v_bfrev_b32_e32 v57, 1
	s_and_saveexec_b64 s[8:9], vcc
	s_cbranch_execz .LBB604_298
; %bb.295:
	v_bfe_u32 v37, v37, 24, 7
	s_movk_i32 s10, 0x7f
	v_cmp_ne_u32_e32 vcc, s10, v37
	v_mov_b32_e32 v57, 0x7f800001
	s_and_saveexec_b64 s[10:11], vcc
	s_cbranch_execz .LBB604_297
; %bb.296:
	v_and_b32_e32 v57, 7, v34
	v_ffbh_u32_e32 v58, v57
	v_min_u32_e32 v61, 32, v58
	v_subrev_u32_e32 v58, 28, v61
	v_lshlrev_b64 v[58:59], v58, v[34:35]
	v_lshrrev_b32_e32 v60, 3, v37
	v_sub_u32_e32 v59, 29, v61
	v_and_b32_e32 v58, 7, v58
	v_cmp_gt_u32_e32 vcc, 8, v37
	v_cndmask_b32_e32 v37, v60, v59, vcc
	v_cndmask_b32_e32 v57, v57, v58, vcc
	v_lshlrev_b32_e32 v34, 24, v34
	v_bfrev_b32_e32 v58, 60
	v_lshlrev_b32_e32 v57, 20, v57
	v_and_b32_e32 v34, 0x80000000, v34
	v_lshl_add_u32 v37, v37, 23, v58
	v_or3_b32 v57, v34, v37, v57
.LBB604_297:
	s_or_b64 exec, exec, s[10:11]
.LBB604_298:
	s_or_b64 exec, exec, s[8:9]
.LBB604_299:
	s_or_b64 exec, exec, s[2:3]
	v_cvt_pkrtz_f16_f32 v34, v52, v53
	v_cvt_pkrtz_f16_f32 v35, v35, v55
	s_waitcnt vmcnt(4)
	v_cmp_ne_u16_sdwa s[8:9], v22, v51 src0_sel:BYTE_0 src1_sel:DWORD
	v_mfma_f32_16x16x16f16 v[42:45], v[34:35], v[18:19], v[42:45]
	v_cvt_pkrtz_f16_f32 v34, v54, v56
	v_cvt_pkrtz_f16_f32 v35, v36, v57
	s_nop 1
	v_mfma_f32_16x16x16f16 v[34:37], v[34:35], v[20:21], v[42:45]
	s_and_saveexec_b64 s[2:3], s[8:9]
	s_cbranch_execz .LBB604_305
; %bb.300:
	s_movk_i32 s8, 0x80
	v_cmp_ne_u16_sdwa s[10:11], v22, s8 src0_sel:BYTE_0 src1_sel:DWORD
	v_bfrev_b32_e32 v51, 1
	s_and_saveexec_b64 s[8:9], s[10:11]
	s_cbranch_execz .LBB604_304
; %bb.301:
	s_movk_i32 s10, 0x7f
	v_and_b32_e32 v42, 0x7f, v22
	v_cmp_ne_u32_e32 vcc, s10, v42
	v_mov_b32_e32 v51, 0x7f800001
	s_and_saveexec_b64 s[10:11], vcc
	s_cbranch_execz .LBB604_303
; %bb.302:
	v_and_b32_e32 v43, 7, v22
	v_ffbh_u32_e32 v44, v43
	v_min_u32_e32 v52, 32, v44
	v_subrev_u32_e32 v44, 28, v52
	v_lshlrev_b64 v[44:45], v44, v[22:23]
	v_lshrrev_b32_e32 v51, 3, v42
	v_sub_u32_e32 v45, 29, v52
	v_and_b32_e32 v44, 7, v44
	v_cmp_gt_u32_e32 vcc, 8, v42
	v_cndmask_b32_e32 v42, v51, v45, vcc
	v_cndmask_b32_e32 v43, v43, v44, vcc
	v_lshlrev_b32_e32 v44, 24, v22
	v_bfrev_b32_e32 v45, 60
	v_lshlrev_b32_e32 v43, 20, v43
	v_and_b32_e32 v44, 0x80000000, v44
	v_lshl_add_u32 v42, v42, 23, v45
	v_or3_b32 v51, v44, v42, v43
.LBB604_303:
	s_or_b64 exec, exec, s[10:11]
.LBB604_304:
	s_or_b64 exec, exec, s[8:9]
.LBB604_305:
	s_or_b64 exec, exec, s[2:3]
	s_nop 3
	v_lshrrev_b16_e32 v42, 8, v22
	v_cmp_ne_u16_e32 vcc, 0, v42
	v_mov_b32_e32 v43, 0
	v_mov_b32_e32 v44, 0
	s_and_saveexec_b64 s[2:3], vcc
	s_cbranch_execz .LBB604_311
; %bb.306:
	s_movk_i32 s8, 0x80
	v_cmp_ne_u16_e32 vcc, s8, v42
	v_bfrev_b32_e32 v44, 1
	s_and_saveexec_b64 s[8:9], vcc
	s_cbranch_execz .LBB604_310
; %bb.307:
	s_movk_i32 s10, 0x7f
	v_and_b32_e32 v45, 0x7f, v42
	v_cmp_ne_u32_e32 vcc, s10, v45
	v_mov_b32_e32 v44, 0x7f800001
	s_and_saveexec_b64 s[10:11], vcc
	s_cbranch_execz .LBB604_309
; %bb.308:
	v_and_b32_e32 v44, 7, v42
	v_ffbh_u32_e32 v52, v44
	v_min_u32_e32 v55, 32, v52
	v_subrev_u32_e32 v52, 28, v55
	v_lshlrev_b64 v[52:53], v52, v[42:43]
	v_lshrrev_b32_e32 v54, 3, v45
	v_sub_u32_e32 v42, 29, v55
	v_and_b32_e32 v52, 7, v52
	v_cmp_gt_u32_e32 vcc, 8, v45
	v_cndmask_b32_e32 v42, v54, v42, vcc
	v_cndmask_b32_e32 v44, v44, v52, vcc
	v_lshlrev_b32_e32 v45, 16, v22
	v_bfrev_b32_e32 v52, 60
	v_lshlrev_b32_e32 v44, 20, v44
	v_and_b32_e32 v45, 0x80000000, v45
	v_lshl_add_u32 v42, v42, 23, v52
	v_or3_b32 v44, v45, v42, v44
.LBB604_309:
	s_or_b64 exec, exec, s[10:11]
.LBB604_310:
	s_or_b64 exec, exec, s[8:9]
.LBB604_311:
	s_or_b64 exec, exec, s[2:3]
	s_movk_i32 s2, 0xff
	v_and_b32_sdwa v45, v22, s2 dst_sel:DWORD dst_unused:UNUSED_PAD src0_sel:WORD_1 src1_sel:DWORD
	v_lshrrev_b32_e32 v42, 16, v22
	v_cmp_ne_u16_e32 vcc, 0, v45
	s_and_saveexec_b64 s[2:3], vcc
	s_cbranch_execz .LBB604_317
; %bb.312:
	s_movk_i32 s8, 0x80
	v_cmp_ne_u16_e32 vcc, s8, v45
	v_bfrev_b32_e32 v43, 1
	s_and_saveexec_b64 s[8:9], vcc
	s_cbranch_execz .LBB604_316
; %bb.313:
	v_bfe_u32 v45, v22, 16, 7
	s_movk_i32 s10, 0x7f
	v_cmp_ne_u32_e32 vcc, s10, v45
	v_mov_b32_e32 v43, 0x7f800001
	s_and_saveexec_b64 s[10:11], vcc
	s_cbranch_execz .LBB604_315
; %bb.314:
	v_and_b32_e32 v52, 7, v42
	v_ffbh_u32_e32 v43, v52
	v_min_u32_e32 v54, 32, v43
	v_subrev_u32_e32 v43, 28, v54
	v_lshlrev_b64 v[42:43], v43, v[42:43]
	v_lshrrev_b32_e32 v53, 3, v45
	v_sub_u32_e32 v43, 29, v54
	v_and_b32_e32 v42, 7, v42
	v_cmp_gt_u32_e32 vcc, 8, v45
	v_mov_b32_e32 v45, 24
	v_cndmask_b32_e32 v43, v53, v43, vcc
	v_cndmask_b32_e32 v42, v52, v42, vcc
	v_lshlrev_b32_sdwa v45, v45, v22 dst_sel:DWORD dst_unused:UNUSED_PAD src0_sel:DWORD src1_sel:WORD_1
	v_bfrev_b32_e32 v52, 60
	v_lshlrev_b32_e32 v42, 20, v42
	v_and_b32_e32 v45, 0x80000000, v45
	v_lshl_add_u32 v43, v43, 23, v52
	v_or3_b32 v43, v45, v43, v42
.LBB604_315:
	s_or_b64 exec, exec, s[10:11]
.LBB604_316:
	s_or_b64 exec, exec, s[8:9]
.LBB604_317:
	s_or_b64 exec, exec, s[2:3]
	s_mov_b32 s2, 0xffffff
	v_cmp_lt_u32_e32 vcc, s2, v22
	v_mov_b32_e32 v45, 0
	v_mov_b32_e32 v52, 0
	s_and_saveexec_b64 s[2:3], vcc
	s_cbranch_execz .LBB604_323
; %bb.318:
	v_lshrrev_b32_e32 v42, 24, v22
	s_movk_i32 s8, 0x80
	v_cmp_ne_u32_e32 vcc, s8, v42
	v_bfrev_b32_e32 v52, 1
	s_and_saveexec_b64 s[8:9], vcc
	s_cbranch_execz .LBB604_322
; %bb.319:
	v_bfe_u32 v22, v22, 24, 7
	s_movk_i32 s10, 0x7f
	v_cmp_ne_u32_e32 vcc, s10, v22
	v_mov_b32_e32 v52, 0x7f800001
	s_and_saveexec_b64 s[10:11], vcc
	s_cbranch_execz .LBB604_321
; %bb.320:
	v_and_b32_e32 v54, 7, v42
	v_ffbh_u32_e32 v52, v54
	v_min_u32_e32 v56, 32, v52
	v_subrev_u32_e32 v52, 28, v56
	v_lshlrev_b64 v[52:53], v52, v[42:43]
	v_lshrrev_b32_e32 v55, 3, v22
	v_sub_u32_e32 v53, 29, v56
	v_and_b32_e32 v52, 7, v52
	v_cmp_gt_u32_e32 vcc, 8, v22
	v_cndmask_b32_e32 v22, v55, v53, vcc
	v_cndmask_b32_e32 v52, v54, v52, vcc
	v_lshlrev_b32_e32 v42, 24, v42
	v_bfrev_b32_e32 v53, 60
	v_lshlrev_b32_e32 v52, 20, v52
	v_and_b32_e32 v42, 0x80000000, v42
	v_lshl_add_u32 v22, v22, 23, v53
	v_or3_b32 v52, v42, v22, v52
.LBB604_321:
	s_or_b64 exec, exec, s[10:11]
.LBB604_322:
	s_or_b64 exec, exec, s[8:9]
.LBB604_323:
	s_or_b64 exec, exec, s[2:3]
	v_cmp_ne_u16_sdwa s[8:9], v23, v45 src0_sel:BYTE_0 src1_sel:DWORD
	s_and_saveexec_b64 s[2:3], s[8:9]
	s_cbranch_execz .LBB604_329
; %bb.324:
	s_movk_i32 s8, 0x80
	v_cmp_ne_u16_sdwa s[10:11], v23, s8 src0_sel:BYTE_0 src1_sel:DWORD
	v_bfrev_b32_e32 v45, 1
	s_and_saveexec_b64 s[8:9], s[10:11]
	s_cbranch_execz .LBB604_328
; %bb.325:
	s_movk_i32 s10, 0x7f
	v_and_b32_e32 v22, 0x7f, v23
	v_cmp_ne_u32_e32 vcc, s10, v22
	v_mov_b32_e32 v45, 0x7f800001
	s_and_saveexec_b64 s[10:11], vcc
	s_cbranch_execz .LBB604_327
; %bb.326:
	v_and_b32_e32 v45, 7, v23
	v_ffbh_u32_e32 v54, v45
	v_min_u32_e32 v56, 32, v54
	v_mov_b32_e32 v42, v23
	v_subrev_u32_e32 v54, 28, v56
	v_lshlrev_b64 v[54:55], v54, v[42:43]
	v_lshrrev_b32_e32 v53, 3, v22
	v_sub_u32_e32 v42, 29, v56
	v_and_b32_e32 v54, 7, v54
	v_cmp_gt_u32_e32 vcc, 8, v22
	v_cndmask_b32_e32 v22, v53, v42, vcc
	v_cndmask_b32_e32 v42, v45, v54, vcc
	v_lshlrev_b32_e32 v45, 24, v23
	v_bfrev_b32_e32 v53, 60
	v_lshlrev_b32_e32 v42, 20, v42
	v_and_b32_e32 v45, 0x80000000, v45
	v_lshl_add_u32 v22, v22, 23, v53
	v_or3_b32 v45, v45, v22, v42
.LBB604_327:
	s_or_b64 exec, exec, s[10:11]
.LBB604_328:
	s_or_b64 exec, exec, s[8:9]
.LBB604_329:
	s_or_b64 exec, exec, s[2:3]
	v_lshrrev_b16_e32 v22, 8, v23
	v_cmp_ne_u16_e32 vcc, 0, v22
	v_mov_b32_e32 v53, 0
	v_mov_b32_e32 v54, 0
	s_and_saveexec_b64 s[2:3], vcc
	s_cbranch_execz .LBB604_335
; %bb.330:
	s_movk_i32 s8, 0x80
	v_cmp_ne_u16_e32 vcc, s8, v22
	v_bfrev_b32_e32 v54, 1
	s_and_saveexec_b64 s[8:9], vcc
	s_cbranch_execz .LBB604_334
; %bb.331:
	s_movk_i32 s10, 0x7f
	v_and_b32_e32 v42, 0x7f, v22
	v_cmp_ne_u32_e32 vcc, s10, v42
	v_mov_b32_e32 v54, 0x7f800001
	s_and_saveexec_b64 s[10:11], vcc
	s_cbranch_execz .LBB604_333
; %bb.332:
	v_and_b32_e32 v56, 7, v22
	v_ffbh_u32_e32 v54, v56
	v_min_u32_e32 v58, 32, v54
	v_subrev_u32_e32 v54, 28, v58
	v_lshlrev_b64 v[54:55], v54, v[22:23]
	v_lshrrev_b32_e32 v57, 3, v42
	v_sub_u32_e32 v22, 29, v58
	v_and_b32_e32 v54, 7, v54
	v_cmp_gt_u32_e32 vcc, 8, v42
	v_cndmask_b32_e32 v22, v57, v22, vcc
	v_cndmask_b32_e32 v42, v56, v54, vcc
	v_lshlrev_b32_e32 v54, 16, v23
	v_bfrev_b32_e32 v55, 60
	v_lshlrev_b32_e32 v42, 20, v42
	v_and_b32_e32 v54, 0x80000000, v54
	v_lshl_add_u32 v22, v22, 23, v55
	v_or3_b32 v54, v54, v22, v42
.LBB604_333:
	s_or_b64 exec, exec, s[10:11]
.LBB604_334:
	s_or_b64 exec, exec, s[8:9]
.LBB604_335:
	s_or_b64 exec, exec, s[2:3]
	s_movk_i32 s2, 0xff
	v_and_b32_sdwa v42, v23, s2 dst_sel:DWORD dst_unused:UNUSED_PAD src0_sel:WORD_1 src1_sel:DWORD
	v_lshrrev_b32_e32 v22, 16, v23
	v_cmp_ne_u16_e32 vcc, 0, v42
	s_and_saveexec_b64 s[2:3], vcc
	s_cbranch_execz .LBB604_341
; %bb.336:
	s_movk_i32 s8, 0x80
	v_cmp_ne_u16_e32 vcc, s8, v42
	v_bfrev_b32_e32 v53, 1
	s_and_saveexec_b64 s[8:9], vcc
	s_cbranch_execz .LBB604_340
; %bb.337:
	v_bfe_u32 v42, v23, 16, 7
	s_movk_i32 s10, 0x7f
	v_cmp_ne_u32_e32 vcc, s10, v42
	v_mov_b32_e32 v53, 0x7f800001
	s_and_saveexec_b64 s[10:11], vcc
	s_cbranch_execz .LBB604_339
; %bb.338:
	v_and_b32_e32 v53, 7, v22
	v_ffbh_u32_e32 v56, v53
	v_min_u32_e32 v58, 32, v56
	v_subrev_u32_e32 v56, 28, v58
	v_lshlrev_b64 v[56:57], v56, v[22:23]
	v_and_b32_e32 v56, 7, v56
	v_cmp_gt_u32_e32 vcc, 8, v42
	v_lshrrev_b32_e32 v55, 3, v42
	v_sub_u32_e32 v22, 29, v58
	v_cndmask_b32_e32 v42, v53, v56, vcc
	v_mov_b32_e32 v53, 24
	v_cndmask_b32_e32 v22, v55, v22, vcc
	v_lshlrev_b32_sdwa v53, v53, v23 dst_sel:DWORD dst_unused:UNUSED_PAD src0_sel:DWORD src1_sel:WORD_1
	v_bfrev_b32_e32 v55, 60
	v_lshlrev_b32_e32 v42, 20, v42
	v_and_b32_e32 v53, 0x80000000, v53
	v_lshl_add_u32 v22, v22, 23, v55
	v_or3_b32 v53, v53, v22, v42
.LBB604_339:
	s_or_b64 exec, exec, s[10:11]
.LBB604_340:
	s_or_b64 exec, exec, s[8:9]
.LBB604_341:
	s_or_b64 exec, exec, s[2:3]
	s_mov_b32 s2, 0xffffff
	v_cmp_lt_u32_e32 vcc, s2, v23
	v_mov_b32_e32 v42, 0
	v_mov_b32_e32 v55, 0
	s_and_saveexec_b64 s[2:3], vcc
	s_cbranch_execz .LBB604_347
; %bb.342:
	v_lshrrev_b32_e32 v22, 24, v23
	s_movk_i32 s8, 0x80
	v_cmp_ne_u32_e32 vcc, s8, v22
	v_bfrev_b32_e32 v55, 1
	s_and_saveexec_b64 s[8:9], vcc
	s_cbranch_execz .LBB604_346
; %bb.343:
	v_bfe_u32 v23, v23, 24, 7
	s_movk_i32 s10, 0x7f
	v_cmp_ne_u32_e32 vcc, s10, v23
	v_mov_b32_e32 v55, 0x7f800001
	s_and_saveexec_b64 s[10:11], vcc
	s_cbranch_execz .LBB604_345
; %bb.344:
	v_and_b32_e32 v55, 7, v22
	v_ffbh_u32_e32 v56, v55
	v_min_u32_e32 v59, 32, v56
	v_subrev_u32_e32 v56, 28, v59
	v_lshlrev_b64 v[56:57], v56, v[22:23]
	v_lshrrev_b32_e32 v58, 3, v23
	v_sub_u32_e32 v57, 29, v59
	v_and_b32_e32 v56, 7, v56
	v_cmp_gt_u32_e32 vcc, 8, v23
	v_cndmask_b32_e32 v23, v58, v57, vcc
	v_cndmask_b32_e32 v55, v55, v56, vcc
	v_lshlrev_b32_e32 v22, 24, v22
	v_bfrev_b32_e32 v56, 60
	v_lshlrev_b32_e32 v55, 20, v55
	v_and_b32_e32 v22, 0x80000000, v22
	v_lshl_add_u32 v23, v23, 23, v56
	v_or3_b32 v55, v22, v23, v55
.LBB604_345:
	s_or_b64 exec, exec, s[10:11]
.LBB604_346:
	s_or_b64 exec, exec, s[8:9]
.LBB604_347:
	s_or_b64 exec, exec, s[2:3]
	v_cvt_pkrtz_f16_f32 v22, v51, v44
	v_cvt_pkrtz_f16_f32 v23, v43, v52
	v_cmp_ne_u16_sdwa s[8:9], v24, v42 src0_sel:BYTE_0 src1_sel:DWORD
	s_nop 0
	v_mfma_f32_16x16x16f16 v[56:59], v[22:23], v[26:27], 0
	v_cvt_pkrtz_f16_f32 v22, v45, v54
	v_cvt_pkrtz_f16_f32 v23, v53, v55
	s_nop 1
	v_mfma_f32_16x16x16f16 v[26:29], v[22:23], v[28:29], v[56:59]
	s_and_saveexec_b64 s[2:3], s[8:9]
	s_cbranch_execz .LBB604_353
; %bb.348:
	s_movk_i32 s8, 0x80
	v_cmp_ne_u16_sdwa s[10:11], v24, s8 src0_sel:BYTE_0 src1_sel:DWORD
	v_bfrev_b32_e32 v42, 1
	s_and_saveexec_b64 s[8:9], s[10:11]
	s_cbranch_execz .LBB604_352
; %bb.349:
	s_movk_i32 s10, 0x7f
	v_and_b32_e32 v22, 0x7f, v24
	v_cmp_ne_u32_e32 vcc, s10, v22
	v_mov_b32_e32 v42, 0x7f800001
	s_and_saveexec_b64 s[10:11], vcc
	s_cbranch_execz .LBB604_351
; %bb.350:
	v_and_b32_e32 v23, 7, v24
	v_ffbh_u32_e32 v42, v23
	v_min_u32_e32 v45, 32, v42
	v_subrev_u32_e32 v42, 28, v45
	v_lshlrev_b64 v[42:43], v42, v[24:25]
	v_lshrrev_b32_e32 v44, 3, v22
	v_sub_u32_e32 v43, 29, v45
	v_and_b32_e32 v42, 7, v42
	v_cmp_gt_u32_e32 vcc, 8, v22
	v_cndmask_b32_e32 v22, v44, v43, vcc
	v_cndmask_b32_e32 v23, v23, v42, vcc
	v_lshlrev_b32_e32 v42, 24, v24
	v_bfrev_b32_e32 v43, 60
	v_lshlrev_b32_e32 v23, 20, v23
	v_and_b32_e32 v42, 0x80000000, v42
	v_lshl_add_u32 v22, v22, 23, v43
	v_or3_b32 v42, v42, v22, v23
.LBB604_351:
	s_or_b64 exec, exec, s[10:11]
.LBB604_352:
	s_or_b64 exec, exec, s[8:9]
.LBB604_353:
	s_or_b64 exec, exec, s[2:3]
	v_lshrrev_b16_e32 v22, 8, v24
	v_cmp_ne_u16_e32 vcc, 0, v22
	v_mov_b32_e32 v23, 0
	v_mov_b32_e32 v43, 0
	s_and_saveexec_b64 s[2:3], vcc
	s_cbranch_execz .LBB604_359
; %bb.354:
	s_movk_i32 s8, 0x80
	v_cmp_ne_u16_e32 vcc, s8, v22
	v_bfrev_b32_e32 v43, 1
	s_and_saveexec_b64 s[8:9], vcc
	s_cbranch_execz .LBB604_358
; %bb.355:
	s_movk_i32 s10, 0x7f
	v_and_b32_e32 v44, 0x7f, v22
	v_cmp_ne_u32_e32 vcc, s10, v44
	v_mov_b32_e32 v43, 0x7f800001
	s_and_saveexec_b64 s[10:11], vcc
	s_cbranch_execz .LBB604_357
; %bb.356:
	v_and_b32_e32 v43, 7, v22
	v_ffbh_u32_e32 v51, v43
	v_min_u32_e32 v51, 32, v51
	v_subrev_u32_e32 v52, 28, v51
	v_lshlrev_b64 v[52:53], v52, v[22:23]
	v_lshrrev_b32_e32 v45, 3, v44
	v_sub_u32_e32 v22, 29, v51
	v_and_b32_e32 v51, 7, v52
	v_cmp_gt_u32_e32 vcc, 8, v44
	v_cndmask_b32_e32 v22, v45, v22, vcc
	v_cndmask_b32_e32 v43, v43, v51, vcc
	v_lshlrev_b32_e32 v44, 16, v24
	v_bfrev_b32_e32 v45, 60
	v_lshlrev_b32_e32 v43, 20, v43
	v_and_b32_e32 v44, 0x80000000, v44
	v_lshl_add_u32 v22, v22, 23, v45
	v_or3_b32 v43, v44, v22, v43
.LBB604_357:
	s_or_b64 exec, exec, s[10:11]
.LBB604_358:
	s_or_b64 exec, exec, s[8:9]
.LBB604_359:
	s_or_b64 exec, exec, s[2:3]
	s_movk_i32 s2, 0xff
	v_and_b32_sdwa v44, v24, s2 dst_sel:DWORD dst_unused:UNUSED_PAD src0_sel:WORD_1 src1_sel:DWORD
	v_lshrrev_b32_e32 v22, 16, v24
	v_cmp_ne_u16_e32 vcc, 0, v44
	s_and_saveexec_b64 s[2:3], vcc
	s_cbranch_execz .LBB604_365
; %bb.360:
	s_movk_i32 s8, 0x80
	v_cmp_ne_u16_e32 vcc, s8, v44
	v_bfrev_b32_e32 v23, 1
	s_and_saveexec_b64 s[8:9], vcc
	s_cbranch_execz .LBB604_364
; %bb.361:
	v_bfe_u32 v44, v24, 16, 7
	s_movk_i32 s10, 0x7f
	v_cmp_ne_u32_e32 vcc, s10, v44
	v_mov_b32_e32 v23, 0x7f800001
	s_and_saveexec_b64 s[10:11], vcc
	s_cbranch_execz .LBB604_363
; %bb.362:
	v_and_b32_e32 v45, 7, v22
	v_ffbh_u32_e32 v23, v45
	v_min_u32_e32 v52, 32, v23
	v_subrev_u32_e32 v23, 28, v52
	v_lshlrev_b64 v[22:23], v23, v[22:23]
	v_lshrrev_b32_e32 v51, 3, v44
	v_sub_u32_e32 v23, 29, v52
	v_and_b32_e32 v22, 7, v22
	v_cmp_gt_u32_e32 vcc, 8, v44
	v_mov_b32_e32 v44, 24
	v_cndmask_b32_e32 v23, v51, v23, vcc
	v_cndmask_b32_e32 v22, v45, v22, vcc
	v_lshlrev_b32_sdwa v44, v44, v24 dst_sel:DWORD dst_unused:UNUSED_PAD src0_sel:DWORD src1_sel:WORD_1
	v_bfrev_b32_e32 v45, 60
	v_lshlrev_b32_e32 v22, 20, v22
	v_and_b32_e32 v44, 0x80000000, v44
	v_lshl_add_u32 v23, v23, 23, v45
	v_or3_b32 v23, v44, v23, v22
.LBB604_363:
	s_or_b64 exec, exec, s[10:11]
.LBB604_364:
	s_or_b64 exec, exec, s[8:9]
.LBB604_365:
	s_or_b64 exec, exec, s[2:3]
	s_mov_b32 s2, 0xffffff
	v_cmp_lt_u32_e32 vcc, s2, v24
	v_mov_b32_e32 v44, 0
	v_mov_b32_e32 v45, 0
	s_and_saveexec_b64 s[2:3], vcc
	s_cbranch_execz .LBB604_371
; %bb.366:
	v_lshrrev_b32_e32 v22, 24, v24
	s_movk_i32 s8, 0x80
	v_cmp_ne_u32_e32 vcc, s8, v22
	v_bfrev_b32_e32 v45, 1
	s_and_saveexec_b64 s[8:9], vcc
	s_cbranch_execz .LBB604_370
; %bb.367:
	v_bfe_u32 v24, v24, 24, 7
	s_movk_i32 s10, 0x7f
	v_cmp_ne_u32_e32 vcc, s10, v24
	v_mov_b32_e32 v45, 0x7f800001
	s_and_saveexec_b64 s[10:11], vcc
	s_cbranch_execz .LBB604_369
; %bb.368:
	v_and_b32_e32 v45, 7, v22
	v_ffbh_u32_e32 v52, v45
	v_min_u32_e32 v54, 32, v52
	v_subrev_u32_e32 v52, 28, v54
	v_lshlrev_b64 v[52:53], v52, v[22:23]
	v_lshrrev_b32_e32 v51, 3, v24
	v_sub_u32_e32 v53, 29, v54
	v_and_b32_e32 v52, 7, v52
	v_cmp_gt_u32_e32 vcc, 8, v24
	v_cndmask_b32_e32 v24, v51, v53, vcc
	v_cndmask_b32_e32 v45, v45, v52, vcc
	v_lshlrev_b32_e32 v22, 24, v22
	v_bfrev_b32_e32 v51, 60
	v_lshlrev_b32_e32 v45, 20, v45
	v_and_b32_e32 v22, 0x80000000, v22
	v_lshl_add_u32 v24, v24, 23, v51
	v_or3_b32 v45, v22, v24, v45
.LBB604_369:
	s_or_b64 exec, exec, s[10:11]
.LBB604_370:
	s_or_b64 exec, exec, s[8:9]
.LBB604_371:
	s_or_b64 exec, exec, s[2:3]
	v_cmp_ne_u16_sdwa s[8:9], v25, v44 src0_sel:BYTE_0 src1_sel:DWORD
	s_and_saveexec_b64 s[2:3], s[8:9]
	s_cbranch_execz .LBB604_377
; %bb.372:
	s_movk_i32 s8, 0x80
	v_cmp_ne_u16_sdwa s[10:11], v25, s8 src0_sel:BYTE_0 src1_sel:DWORD
	v_bfrev_b32_e32 v44, 1
	s_and_saveexec_b64 s[8:9], s[10:11]
	s_cbranch_execz .LBB604_376
; %bb.373:
	s_movk_i32 s10, 0x7f
	v_and_b32_e32 v22, 0x7f, v25
	v_cmp_ne_u32_e32 vcc, s10, v22
	v_mov_b32_e32 v44, 0x7f800001
	s_and_saveexec_b64 s[10:11], vcc
	s_cbranch_execz .LBB604_375
; %bb.374:
	v_and_b32_e32 v44, 7, v25
	v_ffbh_u32_e32 v52, v44
	v_min_u32_e32 v54, 32, v52
	v_mov_b32_e32 v24, v25
	v_subrev_u32_e32 v52, 28, v54
	v_lshlrev_b64 v[52:53], v52, v[24:25]
	v_lshrrev_b32_e32 v51, 3, v22
	v_sub_u32_e32 v24, 29, v54
	v_and_b32_e32 v52, 7, v52
	v_cmp_gt_u32_e32 vcc, 8, v22
	v_cndmask_b32_e32 v22, v51, v24, vcc
	v_cndmask_b32_e32 v24, v44, v52, vcc
	v_lshlrev_b32_e32 v44, 24, v25
	v_bfrev_b32_e32 v51, 60
	v_lshlrev_b32_e32 v24, 20, v24
	v_and_b32_e32 v44, 0x80000000, v44
	v_lshl_add_u32 v22, v22, 23, v51
	v_or3_b32 v44, v44, v22, v24
.LBB604_375:
	s_or_b64 exec, exec, s[10:11]
.LBB604_376:
	s_or_b64 exec, exec, s[8:9]
.LBB604_377:
	s_or_b64 exec, exec, s[2:3]
	v_lshrrev_b16_e32 v22, 8, v25
	v_cmp_ne_u16_e32 vcc, 0, v22
	v_mov_b32_e32 v24, 0
	v_mov_b32_e32 v52, 0
	s_and_saveexec_b64 s[2:3], vcc
	s_cbranch_execz .LBB604_383
; %bb.378:
	s_movk_i32 s8, 0x80
	v_cmp_ne_u16_e32 vcc, s8, v22
	v_bfrev_b32_e32 v52, 1
	s_and_saveexec_b64 s[8:9], vcc
	s_cbranch_execz .LBB604_382
; %bb.379:
	s_movk_i32 s10, 0x7f
	v_and_b32_e32 v51, 0x7f, v22
	v_cmp_ne_u32_e32 vcc, s10, v51
	v_mov_b32_e32 v52, 0x7f800001
	s_and_saveexec_b64 s[10:11], vcc
	s_cbranch_execz .LBB604_381
; %bb.380:
	v_and_b32_e32 v54, 7, v22
	v_ffbh_u32_e32 v52, v54
	v_min_u32_e32 v56, 32, v52
	v_subrev_u32_e32 v52, 28, v56
	v_lshlrev_b64 v[52:53], v52, v[22:23]
	v_lshrrev_b32_e32 v55, 3, v51
	v_sub_u32_e32 v22, 29, v56
	v_and_b32_e32 v52, 7, v52
	v_cmp_gt_u32_e32 vcc, 8, v51
	v_cndmask_b32_e32 v22, v55, v22, vcc
	v_cndmask_b32_e32 v51, v54, v52, vcc
	v_lshlrev_b32_e32 v52, 16, v25
	v_bfrev_b32_e32 v53, 60
	v_lshlrev_b32_e32 v51, 20, v51
	v_and_b32_e32 v52, 0x80000000, v52
	v_lshl_add_u32 v22, v22, 23, v53
	v_or3_b32 v52, v52, v22, v51
.LBB604_381:
	s_or_b64 exec, exec, s[10:11]
.LBB604_382:
	s_or_b64 exec, exec, s[8:9]
.LBB604_383:
	s_or_b64 exec, exec, s[2:3]
	s_movk_i32 s2, 0xff
	v_and_b32_sdwa v51, v25, s2 dst_sel:DWORD dst_unused:UNUSED_PAD src0_sel:WORD_1 src1_sel:DWORD
	v_lshrrev_b32_e32 v22, 16, v25
	v_cmp_ne_u16_e32 vcc, 0, v51
	s_and_saveexec_b64 s[2:3], vcc
	s_cbranch_execz .LBB604_389
; %bb.384:
	s_movk_i32 s8, 0x80
	v_cmp_ne_u16_e32 vcc, s8, v51
	v_bfrev_b32_e32 v24, 1
	s_and_saveexec_b64 s[8:9], vcc
	s_cbranch_execz .LBB604_388
; %bb.385:
	v_bfe_u32 v51, v25, 16, 7
	s_movk_i32 s10, 0x7f
	v_cmp_ne_u32_e32 vcc, s10, v51
	v_mov_b32_e32 v24, 0x7f800001
	s_and_saveexec_b64 s[10:11], vcc
	s_cbranch_execz .LBB604_387
; %bb.386:
	v_and_b32_e32 v24, 7, v22
	v_ffbh_u32_e32 v54, v24
	v_min_u32_e32 v56, 32, v54
	v_subrev_u32_e32 v54, 28, v56
	v_lshlrev_b64 v[54:55], v54, v[22:23]
	v_lshrrev_b32_e32 v53, 3, v51
	v_sub_u32_e32 v22, 29, v56
	v_and_b32_e32 v54, 7, v54
	v_cmp_gt_u32_e32 vcc, 8, v51
	v_mov_b32_e32 v51, 24
	v_cndmask_b32_e32 v22, v53, v22, vcc
	v_cndmask_b32_e32 v24, v24, v54, vcc
	v_lshlrev_b32_sdwa v51, v51, v25 dst_sel:DWORD dst_unused:UNUSED_PAD src0_sel:DWORD src1_sel:WORD_1
	v_bfrev_b32_e32 v53, 60
	v_lshlrev_b32_e32 v24, 20, v24
	v_and_b32_e32 v51, 0x80000000, v51
	v_lshl_add_u32 v22, v22, 23, v53
	v_or3_b32 v24, v51, v22, v24
.LBB604_387:
	s_or_b64 exec, exec, s[10:11]
.LBB604_388:
	s_or_b64 exec, exec, s[8:9]
.LBB604_389:
	s_or_b64 exec, exec, s[2:3]
	s_mov_b32 s2, 0xffffff
	v_and_b32_e32 v51, 63, v0
	v_cmp_lt_u32_e32 vcc, s2, v25
	v_mov_b32_e32 v53, 0
	s_and_saveexec_b64 s[2:3], vcc
	s_cbranch_execz .LBB604_395
; %bb.390:
	v_lshrrev_b32_e32 v22, 24, v25
	s_movk_i32 s8, 0x80
	v_cmp_ne_u32_e32 vcc, s8, v22
	v_bfrev_b32_e32 v53, 1
	s_and_saveexec_b64 s[8:9], vcc
	s_cbranch_execz .LBB604_394
; %bb.391:
	v_bfe_u32 v25, v25, 24, 7
	s_movk_i32 s10, 0x7f
	v_cmp_ne_u32_e32 vcc, s10, v25
	v_mov_b32_e32 v53, 0x7f800001
	s_and_saveexec_b64 s[10:11], vcc
	s_cbranch_execz .LBB604_393
; %bb.392:
	v_and_b32_e32 v53, 7, v22
	v_ffbh_u32_e32 v54, v53
	v_min_u32_e32 v57, 32, v54
	v_subrev_u32_e32 v54, 28, v57
	v_lshlrev_b64 v[54:55], v54, v[22:23]
	v_lshrrev_b32_e32 v56, 3, v25
	v_sub_u32_e32 v55, 29, v57
	v_and_b32_e32 v54, 7, v54
	v_cmp_gt_u32_e32 vcc, 8, v25
	v_cndmask_b32_e32 v25, v56, v55, vcc
	v_cndmask_b32_e32 v53, v53, v54, vcc
	v_lshlrev_b32_e32 v22, 24, v22
	v_bfrev_b32_e32 v54, 60
	v_lshlrev_b32_e32 v53, 20, v53
	v_and_b32_e32 v22, 0x80000000, v22
	v_lshl_add_u32 v25, v25, 23, v54
	v_or3_b32 v53, v22, v25, v53
.LBB604_393:
	s_or_b64 exec, exec, s[10:11]
.LBB604_394:
	s_or_b64 exec, exec, s[8:9]
.LBB604_395:
	s_or_b64 exec, exec, s[2:3]
	v_cvt_pkrtz_f16_f32 v42, v42, v43
	v_cvt_pkrtz_f16_f32 v43, v23, v45
	s_load_dword s2, s[4:5], 0x1c
	s_mov_b32 s46, 0xff7fffff
	s_waitcnt lgkmcnt(0)
	v_mfma_f32_16x16x16f16 v[26:29], v[42:43], v[18:19], v[26:29]
	v_cvt_pkrtz_f16_f32 v18, v44, v52
	v_cvt_pkrtz_f16_f32 v19, v24, v53
	v_and_b32_e32 v24, 0xc0, v0
	v_mov_b32_e32 v22, s2
	v_add_u32_e32 v24, s20, v24
	v_mul_f32_e32 v54, s12, v22
	v_lshl_or_b32 v42, v1, 2, v24
	v_mfma_f32_16x16x16f16 v[18:21], v[18:19], v[20:21], v[26:29]
	v_pk_mul_f32 v[22:23], v[54:55], v[36:37] op_sel_hi:[0,1]
	v_pk_mul_f32 v[36:37], v[54:55], v[40:41] op_sel_hi:[0,1]
	;; [unrolled: 1-line block ×4, first 2 shown]
	v_mov_b32_e32 v43, 0xff7fffff
	v_cmp_gt_i32_e64 s[26:27], s33, v42
	v_pk_mul_f32 v[38:39], v[54:55], v[38:39] op_sel_hi:[0,1]
	s_nop 3
	v_pk_mul_f32 v[32:33], v[54:55], v[18:19] op_sel_hi:[0,1]
	v_or_b32_e32 v19, 1, v42
	v_cmp_gt_i32_e64 s[28:29], s33, v19
	v_cndmask_b32_e64 v18, v43, v30, s[26:27]
	v_cndmask_b32_e64 v19, v43, v31, s[28:29]
	v_pk_mul_f32 v[24:25], v[54:55], v[20:21] op_sel_hi:[0,1]
	v_max3_f32 v18, v18, s46, v19
	v_or_b32_e32 v19, 2, v42
	v_or_b32_e32 v20, 3, v42
	v_cmp_gt_i32_e64 s[30:31], s33, v19
	v_cmp_gt_i32_e64 s[34:35], s33, v20
	v_cndmask_b32_e64 v19, v43, v40, s[30:31]
	v_cndmask_b32_e64 v20, v43, v41, s[34:35]
	v_max3_f32 v18, v18, v19, v20
	v_or_b32_e32 v19, 16, v42
	v_or_b32_e32 v20, 17, v42
	v_cmp_gt_i32_e64 s[36:37], s33, v19
	v_cmp_gt_i32_e64 s[38:39], s33, v20
	v_cndmask_b32_e64 v19, v43, v38, s[36:37]
	v_cndmask_b32_e64 v20, v43, v39, s[38:39]
	;; [unrolled: 7-line block ×3, first 2 shown]
	v_max3_f32 v18, v18, v19, v20
	v_or_b32_e32 v19, 32, v42
	v_or_b32_e32 v20, 33, v42
	v_pk_mul_f32 v[34:35], v[54:55], v[34:35] op_sel_hi:[0,1]
	v_cmp_gt_i32_e64 s[16:17], s33, v19
	v_cmp_gt_i32_e64 s[18:19], s33, v20
	v_cndmask_b32_e64 v19, v43, v34, s[16:17]
	v_cndmask_b32_e64 v20, v43, v35, s[18:19]
	v_max3_f32 v18, v18, v19, v20
	v_or_b32_e32 v19, 34, v42
	v_or_b32_e32 v20, 35, v42
	v_cmp_gt_i32_e64 s[12:13], s33, v19
	v_cmp_gt_i32_e64 s[14:15], s33, v20
	v_cndmask_b32_e64 v19, v43, v22, s[12:13]
	v_cndmask_b32_e64 v20, v43, v23, s[14:15]
	v_max3_f32 v18, v18, v19, v20
	v_or_b32_e32 v19, 48, v42
	v_or_b32_e32 v20, 49, v42
	;; [unrolled: 7-line block ×3, first 2 shown]
	v_cmp_gt_i32_e32 vcc, s33, v19
	v_cmp_gt_i32_e64 s[2:3], s33, v20
	v_cndmask_b32_e32 v19, v43, v24, vcc
	v_cndmask_b32_e64 v20, v43, v25, s[2:3]
	v_max3_f32 v18, v18, v19, v20
	v_mbcnt_lo_u32_b32 v19, -1, 0
	v_mbcnt_hi_u32_b32 v19, -1, v19
	v_and_b32_e32 v20, 64, v19
	v_add_u32_e32 v20, 64, v20
	v_xor_b32_e32 v21, 32, v19
	v_cmp_lt_i32_e64 s[40:41], v21, v20
	v_cndmask_b32_e64 v21, v19, v21, s[40:41]
	v_lshlrev_b32_e32 v43, 2, v21
	ds_bpermute_b32 v21, v43, v18
	s_barrier
	s_waitcnt lgkmcnt(0)
	v_max_f32_e32 v21, v21, v21
	v_max_f32_e32 v18, v18, v21
	v_xor_b32_e32 v21, 16, v19
	v_cmp_lt_i32_e64 s[40:41], v21, v20
	v_cndmask_b32_e64 v19, v19, v21, s[40:41]
	v_lshlrev_b32_e32 v44, 2, v19
	ds_bpermute_b32 v19, v44, v18
	s_waitcnt lgkmcnt(0)
	v_max_f32_e32 v19, v19, v19
	v_max_f32_e32 v42, v18, v19
	v_sub_f32_e32 v21, v40, v42
	v_sub_f32_e32 v26, v41, v42
	v_mul_f32_e32 v21, 0x3fb8aa3b, v21
	v_mul_f32_e32 v26, 0x3fb8aa3b, v26
	v_sub_f32_e32 v18, v30, v42
	v_exp_f32_e32 v21, v21
	v_exp_f32_e32 v26, v26
	v_mul_f32_e32 v18, 0x3fb8aa3b, v18
	v_sub_f32_e32 v19, v31, v42
	v_exp_f32_e32 v18, v18
	v_mul_f32_e32 v19, 0x3fb8aa3b, v19
	v_exp_f32_e32 v19, v19
	v_cndmask_b32_e64 v28, 0, v21, s[30:31]
	v_cndmask_b32_e64 v29, 0, v26, s[34:35]
	v_sub_f32_e32 v21, v38, v42
	v_sub_f32_e32 v26, v39, v42
	v_mul_f32_e32 v21, 0x3fb8aa3b, v21
	v_mul_f32_e32 v26, 0x3fb8aa3b, v26
	v_cndmask_b32_e64 v18, 0, v18, s[26:27]
	v_exp_f32_e32 v21, v21
	v_exp_f32_e32 v26, v26
	v_add_f32_e32 v20, 0, v18
	v_cndmask_b32_e64 v19, 0, v19, s[28:29]
	v_add_f32_e32 v20, v20, v19
	v_add_f32_e32 v20, v20, v28
	;; [unrolled: 1-line block ×3, first 2 shown]
	v_cndmask_b32_e64 v20, 0, v21, s[36:37]
	v_cndmask_b32_e64 v21, 0, v26, s[38:39]
	v_sub_f32_e32 v26, v36, v42
	v_mul_f32_e32 v26, 0x3fb8aa3b, v26
	v_exp_f32_e32 v26, v26
	v_sub_f32_e32 v30, v37, v42
	v_add_f32_e32 v27, v27, v20
	v_mul_f32_e32 v30, 0x3fb8aa3b, v30
	v_exp_f32_e32 v31, v30
	v_add_f32_e32 v27, v27, v21
	v_cndmask_b32_e64 v30, 0, v26, s[20:21]
	v_add_f32_e32 v26, v27, v30
	v_sub_f32_e32 v27, v34, v42
	v_mul_f32_e32 v27, 0x3fb8aa3b, v27
	v_sub_f32_e32 v34, v35, v42
	v_exp_f32_e32 v27, v27
	v_mul_f32_e32 v34, 0x3fb8aa3b, v34
	v_sub_f32_e32 v22, v22, v42
	v_exp_f32_e32 v34, v34
	;; [unrolled: 3-line block ×3, first 2 shown]
	v_mul_f32_e32 v23, 0x3fb8aa3b, v23
	v_cndmask_b32_e64 v31, 0, v31, s[22:23]
	v_exp_f32_e32 v23, v23
	v_add_f32_e32 v35, v26, v31
	v_cndmask_b32_e64 v26, 0, v27, s[16:17]
	v_add_f32_e32 v35, v35, v26
	v_cndmask_b32_e64 v27, 0, v34, s[18:19]
	;; [unrolled: 2-line block ×4, first 2 shown]
	v_sub_f32_e32 v23, v32, v42
	v_mul_f32_e32 v23, 0x3fb8aa3b, v23
	v_sub_f32_e32 v32, v33, v42
	v_exp_f32_e32 v23, v23
	v_mul_f32_e32 v32, 0x3fb8aa3b, v32
	v_sub_f32_e32 v24, v24, v42
	v_exp_f32_e32 v32, v32
	;; [unrolled: 3-line block ×3, first 2 shown]
	v_mul_f32_e32 v25, 0x3fb8aa3b, v25
	v_exp_f32_e32 v25, v25
	v_add_f32_e32 v33, v22, v35
	v_cndmask_b32_e64 v22, 0, v23, s[8:9]
	v_add_f32_e32 v33, v33, v22
	v_cndmask_b32_e64 v23, 0, v32, s[10:11]
	v_add_f32_e32 v32, v33, v23
	v_cndmask_b32_e32 v24, 0, v24, vcc
	v_add_f32_e32 v32, v32, v24
	v_cndmask_b32_e64 v25, 0, v25, s[2:3]
	v_add_f32_e32 v32, v32, v25
	ds_bpermute_b32 v33, v43, v32
	v_cmp_gt_u32_e32 vcc, 16, v51
	s_waitcnt lgkmcnt(0)
	v_add_f32_e32 v33, v32, v33
	ds_bpermute_b32 v36, v44, v33
	v_lshlrev_b32_e32 v32, 2, v49
	s_and_saveexec_b64 s[2:3], vcc
	s_cbranch_execz .LBB604_397
; %bb.396:
	s_waitcnt lgkmcnt(0)
	v_add_f32_e32 v33, v33, v36
	v_lshl_or_b32 v36, v50, 6, v32
	ds_write2st64_b32 v36, v42, v33 offset1:1
.LBB604_397:
	s_or_b64 exec, exec, s[2:3]
	s_waitcnt lgkmcnt(0)
	s_barrier
	ds_read2_b32 v[36:37], v32 offset1:16
	ds_read2_b32 v[38:39], v32 offset0:32 offset1:48
	ds_read2_b32 v[40:41], v32 offset0:64 offset1:80
	;; [unrolled: 1-line block ×3, first 2 shown]
	s_waitcnt lgkmcnt(0)
	v_max3_f32 v33, v36, s46, v37
	v_max3_f32 v33, v33, v38, v39
	v_sub_f32_e32 v36, v36, v33
	v_mul_f32_e32 v36, 0x3fb8aa3b, v36
	v_exp_f32_e32 v44, v36
	v_sub_f32_e32 v36, v37, v33
	v_mul_f32_e32 v36, 0x3fb8aa3b, v36
	v_exp_f32_e32 v37, v36
	v_sub_f32_e32 v36, v38, v33
	v_mul_f32_e32 v36, 0x3fb8aa3b, v36
	v_sub_f32_e32 v32, v39, v33
	v_exp_f32_e32 v38, v36
	v_mul_f32_e32 v32, 0x3fb8aa3b, v32
	v_exp_f32_e32 v39, v32
	v_fma_f32 v36, v44, v40, 0
	v_fmac_f32_e32 v36, v37, v41
	v_fmac_f32_e32 v36, v38, v42
	;; [unrolled: 1-line block ×3, first 2 shown]
	v_add_f32_e32 v40, 0x358637bd, v36
	v_div_scale_f32 v41, s[2:3], v40, v40, 1.0
	v_rcp_f32_e32 v42, v41
	s_barrier
	s_mul_i32 s12, s45, 15
	v_fma_f32 v43, -v41, v42, 1.0
	v_fmac_f32_e32 v42, v43, v42
	v_div_scale_f32 v43, vcc, 1.0, v40, 1.0
	v_mul_f32_e32 v45, v43, v42
	v_fma_f32 v51, -v41, v45, v43
	v_fmac_f32_e32 v45, v51, v42
	v_fma_f32 v41, -v41, v45, v43
	v_div_fmas_f32 v41, v41, v42, v45
	v_cmp_eq_u32_e32 vcc, 1, v50
	v_cndmask_b32_e32 v37, v44, v37, vcc
	v_cmp_eq_u32_e32 vcc, 2, v50
	v_cndmask_b32_e32 v37, v37, v38, vcc
	v_cmp_eq_u32_e32 vcc, 3, v50
	v_div_fixup_f32 v40, v41, v40, 1.0
	v_cndmask_b32_e32 v37, v37, v39, vcc
	v_mul_f32_e32 v38, v37, v40
	v_pk_mul_f32 v[28:29], v[38:39], v[28:29] op_sel_hi:[0,1]
	v_pk_mul_f32 v[18:19], v[38:39], v[18:19] op_sel_hi:[0,1]
	v_cvt_f16_f32_e32 v18, v18
	v_cvt_f16_f32_e32 v19, v19
	;; [unrolled: 1-line block ×4, first 2 shown]
	v_pk_mul_f32 v[20:21], v[38:39], v[20:21] op_sel_hi:[0,1]
	v_pack_b32_f16 v18, v18, v19
	v_cvt_f16_f32_e32 v20, v20
	v_pack_b32_f16 v19, v28, v29
	v_pk_mul_f32 v[28:29], v[38:39], v[30:31] op_sel_hi:[0,1]
	v_cvt_f16_f32_e32 v21, v21
	v_cvt_f16_f32_e32 v30, v28
	;; [unrolled: 1-line block ×3, first 2 shown]
	v_lshlrev_b32_e32 v37, 3, v1
	v_lshlrev_b32_e32 v28, 11, v50
	v_or3_b32 v28, v28, v48, v37
	v_pack_b32_f16 v20, v20, v21
	v_pack_b32_f16 v21, v30, v29
	ds_write2st64_b64 v28, v[18:19], v[20:21] offset1:1
	v_pk_mul_f32 v[18:19], v[38:39], v[34:35] op_sel_hi:[0,1]
	v_pk_mul_f32 v[20:21], v[38:39], v[26:27] op_sel_hi:[0,1]
	v_cvt_f16_f32_e32 v26, v20
	v_cvt_f16_f32_e32 v27, v21
	;; [unrolled: 1-line block ×4, first 2 shown]
	v_pk_mul_f32 v[18:19], v[38:39], v[24:25] op_sel_hi:[0,1]
	v_pk_mul_f32 v[20:21], v[38:39], v[22:23] op_sel_hi:[0,1]
	v_cvt_f16_f32_e32 v20, v20
	v_cvt_f16_f32_e32 v21, v21
	;; [unrolled: 1-line block ×4, first 2 shown]
	v_mov_b32_e32 v32, 0
	v_pack_b32_f16 v18, v26, v27
	v_pack_b32_f16 v19, v29, v30
	v_pack_b32_f16 v20, v20, v21
	v_pack_b32_f16 v21, v22, v23
	v_cmp_gt_u32_e32 vcc, 15, v0
	ds_write2st64_b64 v28, v[18:19], v[20:21] offset0:2 offset1:3
	s_and_saveexec_b64 s[2:3], vcc
	s_cbranch_execz .LBB604_399
; %bb.398:
	v_add_co_u32_e32 v20, vcc, s25, v49
	v_addc_co_u32_e64 v21, s[14:15], 0, 0, vcc
	v_mov_b32_e32 v18, s12
	v_mov_b32_e32 v19, 0
	v_mad_u64_u32 v[20:21], s[14:15], s6, v18, v[20:21]
	v_mov_b32_e32 v18, s24
	s_load_dwordx4 s[8:11], s[4:5], 0x58
	s_mul_i32 s7, s7, s12
	v_mad_u64_u32 v[18:19], s[14:15], v20, s44, v[18:19]
	v_add_u32_e32 v21, s7, v21
	v_mov_b32_e32 v20, v19
	v_mad_u64_u32 v[20:21], s[14:15], v21, s44, v[20:21]
	v_mov_b32_e32 v19, v20
	v_lshlrev_b64 v[18:19], 2, v[18:19]
	s_waitcnt lgkmcnt(0)
	v_mov_b32_e32 v21, s11
	v_add_co_u32_e32 v20, vcc, s10, v18
	v_addc_co_u32_e32 v21, vcc, v21, v19, vcc
	global_store_dword v[20:21], v33, off
	v_mov_b32_e32 v20, s9
	v_add_co_u32_e32 v18, vcc, s8, v18
	v_addc_co_u32_e32 v19, vcc, v20, v19, vcc
	global_store_dword v[18:19], v36, off
.LBB604_399:
	s_or_b64 exec, exec, s[2:3]
	v_mov_b32_e32 v19, 0
	s_waitcnt vmcnt(3)
	v_cmp_ne_u16_sdwa s[8:9], v14, v19 src0_sel:BYTE_0 src1_sel:DWORD
	s_waitcnt lgkmcnt(0)
	s_barrier
	s_and_saveexec_b64 s[2:3], s[8:9]
	s_cbranch_execz .LBB604_405
; %bb.400:
	s_movk_i32 s7, 0x80
	v_cmp_ne_u16_sdwa s[10:11], v14, s7 src0_sel:BYTE_0 src1_sel:DWORD
	v_bfrev_b32_e32 v32, 1
	s_and_saveexec_b64 s[8:9], s[10:11]
	s_cbranch_execz .LBB604_404
; %bb.401:
	s_movk_i32 s7, 0x7f
	v_and_b32_e32 v18, 0x7f, v14
	v_cmp_ne_u32_e32 vcc, s7, v18
	v_mov_b32_e32 v32, 0x7f800001
	s_and_saveexec_b64 s[10:11], vcc
	s_cbranch_execz .LBB604_403
; %bb.402:
	v_and_b32_e32 v22, 7, v14
	v_ffbh_u32_e32 v20, v22
	v_min_u32_e32 v24, 32, v20
	v_subrev_u32_e32 v20, 28, v24
	v_lshlrev_b64 v[20:21], v20, v[14:15]
	v_lshrrev_b32_e32 v23, 3, v18
	v_sub_u32_e32 v21, 29, v24
	v_and_b32_e32 v20, 7, v20
	v_cmp_gt_u32_e32 vcc, 8, v18
	v_cndmask_b32_e32 v18, v23, v21, vcc
	v_cndmask_b32_e32 v20, v22, v20, vcc
	v_lshlrev_b32_e32 v21, 24, v14
	v_bfrev_b32_e32 v22, 60
	v_lshlrev_b32_e32 v20, 20, v20
	v_and_b32_e32 v21, 0x80000000, v21
	v_lshl_add_u32 v18, v18, 23, v22
	v_or3_b32 v32, v21, v18, v20
.LBB604_403:
	s_or_b64 exec, exec, s[10:11]
.LBB604_404:
	s_or_b64 exec, exec, s[8:9]
.LBB604_405:
	s_or_b64 exec, exec, s[2:3]
	v_lshrrev_b16_e32 v18, 8, v14
	v_cmp_ne_u16_e32 vcc, 0, v18
	v_mov_b32_e32 v20, 0
	s_and_saveexec_b64 s[2:3], vcc
	s_cbranch_execz .LBB604_411
; %bb.406:
	s_movk_i32 s7, 0x80
	v_cmp_ne_u16_e32 vcc, s7, v18
	v_bfrev_b32_e32 v20, 1
	s_and_saveexec_b64 s[8:9], vcc
	s_cbranch_execz .LBB604_410
; %bb.407:
	s_movk_i32 s7, 0x7f
	v_and_b32_e32 v21, 0x7f, v18
	v_cmp_ne_u32_e32 vcc, s7, v21
	v_mov_b32_e32 v20, 0x7f800001
	s_and_saveexec_b64 s[10:11], vcc
	s_cbranch_execz .LBB604_409
; %bb.408:
	v_and_b32_e32 v20, 7, v18
	v_ffbh_u32_e32 v22, v20
	v_min_u32_e32 v25, 32, v22
	v_subrev_u32_e32 v22, 28, v25
	v_lshlrev_b64 v[22:23], v22, v[18:19]
	v_lshrrev_b32_e32 v24, 3, v21
	v_sub_u32_e32 v18, 29, v25
	v_and_b32_e32 v22, 7, v22
	v_cmp_gt_u32_e32 vcc, 8, v21
	v_cndmask_b32_e32 v18, v24, v18, vcc
	v_cndmask_b32_e32 v20, v20, v22, vcc
	v_lshlrev_b32_e32 v21, 16, v14
	v_bfrev_b32_e32 v22, 60
	v_lshlrev_b32_e32 v20, 20, v20
	v_and_b32_e32 v21, 0x80000000, v21
	v_lshl_add_u32 v18, v18, 23, v22
	v_or3_b32 v20, v21, v18, v20
.LBB604_409:
	s_or_b64 exec, exec, s[10:11]
.LBB604_410:
	s_or_b64 exec, exec, s[8:9]
.LBB604_411:
	s_or_b64 exec, exec, s[2:3]
	s_movk_i32 s2, 0xff
	v_and_b32_sdwa v21, v14, s2 dst_sel:DWORD dst_unused:UNUSED_PAD src0_sel:WORD_1 src1_sel:DWORD
	v_lshrrev_b32_e32 v18, 16, v14
	v_cmp_ne_u16_e32 vcc, 0, v21
	s_and_saveexec_b64 s[2:3], vcc
	s_cbranch_execz .LBB604_417
; %bb.412:
	s_movk_i32 s7, 0x80
	v_cmp_ne_u16_e32 vcc, s7, v21
	v_bfrev_b32_e32 v19, 1
	s_and_saveexec_b64 s[8:9], vcc
	s_cbranch_execz .LBB604_416
; %bb.413:
	v_bfe_u32 v21, v14, 16, 7
	s_movk_i32 s7, 0x7f
	v_cmp_ne_u32_e32 vcc, s7, v21
	v_mov_b32_e32 v19, 0x7f800001
	s_and_saveexec_b64 s[10:11], vcc
	s_cbranch_execz .LBB604_415
; %bb.414:
	v_and_b32_e32 v22, 7, v18
	v_ffbh_u32_e32 v19, v22
	v_min_u32_e32 v24, 32, v19
	v_subrev_u32_e32 v19, 28, v24
	v_lshlrev_b64 v[18:19], v19, v[18:19]
	v_lshrrev_b32_e32 v23, 3, v21
	v_sub_u32_e32 v19, 29, v24
	v_and_b32_e32 v18, 7, v18
	v_cmp_gt_u32_e32 vcc, 8, v21
	v_mov_b32_e32 v21, 24
	v_cndmask_b32_e32 v19, v23, v19, vcc
	v_cndmask_b32_e32 v18, v22, v18, vcc
	v_lshlrev_b32_sdwa v21, v21, v14 dst_sel:DWORD dst_unused:UNUSED_PAD src0_sel:DWORD src1_sel:WORD_1
	v_bfrev_b32_e32 v22, 60
	v_lshlrev_b32_e32 v18, 20, v18
	v_and_b32_e32 v21, 0x80000000, v21
	v_lshl_add_u32 v19, v19, 23, v22
	v_or3_b32 v19, v21, v19, v18
.LBB604_415:
	s_or_b64 exec, exec, s[10:11]
.LBB604_416:
	s_or_b64 exec, exec, s[8:9]
.LBB604_417:
	s_or_b64 exec, exec, s[2:3]
	s_mov_b32 s2, 0xffffff
	v_cmp_lt_u32_e32 vcc, s2, v14
	v_mov_b32_e32 v21, 0
	v_mov_b32_e32 v22, 0
	s_and_saveexec_b64 s[2:3], vcc
	s_cbranch_execz .LBB604_423
; %bb.418:
	v_lshrrev_b32_e32 v18, 24, v14
	s_movk_i32 s7, 0x80
	v_cmp_ne_u32_e32 vcc, s7, v18
	v_bfrev_b32_e32 v22, 1
	s_and_saveexec_b64 s[8:9], vcc
	s_cbranch_execz .LBB604_422
; %bb.419:
	v_bfe_u32 v14, v14, 24, 7
	s_movk_i32 s7, 0x7f
	v_cmp_ne_u32_e32 vcc, s7, v14
	v_mov_b32_e32 v22, 0x7f800001
	s_and_saveexec_b64 s[10:11], vcc
	s_cbranch_execz .LBB604_421
; %bb.420:
	v_and_b32_e32 v24, 7, v18
	v_ffbh_u32_e32 v22, v24
	v_min_u32_e32 v26, 32, v22
	v_subrev_u32_e32 v22, 28, v26
	v_lshlrev_b64 v[22:23], v22, v[18:19]
	v_lshrrev_b32_e32 v25, 3, v14
	v_sub_u32_e32 v23, 29, v26
	v_and_b32_e32 v22, 7, v22
	v_cmp_gt_u32_e32 vcc, 8, v14
	v_cndmask_b32_e32 v14, v25, v23, vcc
	v_cndmask_b32_e32 v22, v24, v22, vcc
	v_lshlrev_b32_e32 v18, 24, v18
	v_bfrev_b32_e32 v23, 60
	v_lshlrev_b32_e32 v22, 20, v22
	v_and_b32_e32 v18, 0x80000000, v18
	v_lshl_add_u32 v14, v14, 23, v23
	v_or3_b32 v22, v18, v14, v22
.LBB604_421:
	s_or_b64 exec, exec, s[10:11]
.LBB604_422:
	s_or_b64 exec, exec, s[8:9]
.LBB604_423:
	s_or_b64 exec, exec, s[2:3]
	v_cmp_ne_u16_sdwa s[8:9], v15, v21 src0_sel:BYTE_0 src1_sel:DWORD
	s_and_saveexec_b64 s[2:3], s[8:9]
	s_cbranch_execz .LBB604_429
; %bb.424:
	s_movk_i32 s7, 0x80
	v_cmp_ne_u16_sdwa s[10:11], v15, s7 src0_sel:BYTE_0 src1_sel:DWORD
	v_bfrev_b32_e32 v21, 1
	s_and_saveexec_b64 s[8:9], s[10:11]
	s_cbranch_execz .LBB604_428
; %bb.425:
	s_movk_i32 s7, 0x7f
	v_and_b32_e32 v14, 0x7f, v15
	v_cmp_ne_u32_e32 vcc, s7, v14
	v_mov_b32_e32 v21, 0x7f800001
	s_and_saveexec_b64 s[10:11], vcc
	s_cbranch_execz .LBB604_427
; %bb.426:
	v_and_b32_e32 v21, 7, v15
	v_ffbh_u32_e32 v24, v21
	v_min_u32_e32 v26, 32, v24
	v_mov_b32_e32 v18, v15
	v_subrev_u32_e32 v24, 28, v26
	v_lshlrev_b64 v[24:25], v24, v[18:19]
	v_lshrrev_b32_e32 v23, 3, v14
	v_sub_u32_e32 v18, 29, v26
	v_and_b32_e32 v24, 7, v24
	v_cmp_gt_u32_e32 vcc, 8, v14
	v_cndmask_b32_e32 v14, v23, v18, vcc
	v_cndmask_b32_e32 v18, v21, v24, vcc
	v_lshlrev_b32_e32 v21, 24, v15
	v_bfrev_b32_e32 v23, 60
	v_lshlrev_b32_e32 v18, 20, v18
	v_and_b32_e32 v21, 0x80000000, v21
	v_lshl_add_u32 v14, v14, 23, v23
	v_or3_b32 v21, v21, v14, v18
.LBB604_427:
	s_or_b64 exec, exec, s[10:11]
.LBB604_428:
	s_or_b64 exec, exec, s[8:9]
.LBB604_429:
	s_or_b64 exec, exec, s[2:3]
	v_lshrrev_b16_e32 v14, 8, v15
	v_cmp_ne_u16_e32 vcc, 0, v14
	v_mov_b32_e32 v18, 0
	v_mov_b32_e32 v24, 0
	s_and_saveexec_b64 s[2:3], vcc
	s_cbranch_execz .LBB604_435
; %bb.430:
	s_movk_i32 s7, 0x80
	v_cmp_ne_u16_e32 vcc, s7, v14
	v_bfrev_b32_e32 v24, 1
	s_and_saveexec_b64 s[8:9], vcc
	s_cbranch_execz .LBB604_434
; %bb.431:
	s_movk_i32 s7, 0x7f
	v_and_b32_e32 v23, 0x7f, v14
	v_cmp_ne_u32_e32 vcc, s7, v23
	v_mov_b32_e32 v24, 0x7f800001
	s_and_saveexec_b64 s[10:11], vcc
	s_cbranch_execz .LBB604_433
; %bb.432:
	v_and_b32_e32 v26, 7, v14
	v_ffbh_u32_e32 v24, v26
	v_min_u32_e32 v29, 32, v24
	v_subrev_u32_e32 v24, 28, v29
	v_lshlrev_b64 v[24:25], v24, v[14:15]
	v_lshrrev_b32_e32 v27, 3, v23
	v_sub_u32_e32 v14, 29, v29
	v_and_b32_e32 v24, 7, v24
	v_cmp_gt_u32_e32 vcc, 8, v23
	v_cndmask_b32_e32 v14, v27, v14, vcc
	v_cndmask_b32_e32 v23, v26, v24, vcc
	v_lshlrev_b32_e32 v24, 16, v15
	v_bfrev_b32_e32 v25, 60
	v_lshlrev_b32_e32 v23, 20, v23
	v_and_b32_e32 v24, 0x80000000, v24
	v_lshl_add_u32 v14, v14, 23, v25
	v_or3_b32 v24, v24, v14, v23
.LBB604_433:
	s_or_b64 exec, exec, s[10:11]
.LBB604_434:
	s_or_b64 exec, exec, s[8:9]
.LBB604_435:
	s_or_b64 exec, exec, s[2:3]
	s_movk_i32 s2, 0xff
	v_and_b32_sdwa v23, v15, s2 dst_sel:DWORD dst_unused:UNUSED_PAD src0_sel:WORD_1 src1_sel:DWORD
	v_lshrrev_b32_e32 v14, 16, v15
	v_cmp_ne_u16_e32 vcc, 0, v23
	s_and_saveexec_b64 s[2:3], vcc
	s_cbranch_execz .LBB604_441
; %bb.436:
	s_movk_i32 s7, 0x80
	v_cmp_ne_u16_e32 vcc, s7, v23
	v_bfrev_b32_e32 v18, 1
	s_and_saveexec_b64 s[8:9], vcc
	s_cbranch_execz .LBB604_440
; %bb.437:
	v_bfe_u32 v23, v15, 16, 7
	s_movk_i32 s7, 0x7f
	v_cmp_ne_u32_e32 vcc, s7, v23
	v_mov_b32_e32 v18, 0x7f800001
	s_and_saveexec_b64 s[10:11], vcc
	s_cbranch_execz .LBB604_439
; %bb.438:
	v_and_b32_e32 v18, 7, v14
	v_ffbh_u32_e32 v26, v18
	v_min_u32_e32 v29, 32, v26
	v_subrev_u32_e32 v26, 28, v29
	v_lshlrev_b64 v[26:27], v26, v[14:15]
	v_lshrrev_b32_e32 v25, 3, v23
	v_sub_u32_e32 v14, 29, v29
	v_and_b32_e32 v26, 7, v26
	v_cmp_gt_u32_e32 vcc, 8, v23
	v_mov_b32_e32 v23, 24
	v_cndmask_b32_e32 v14, v25, v14, vcc
	v_cndmask_b32_e32 v18, v18, v26, vcc
	v_lshlrev_b32_sdwa v23, v23, v15 dst_sel:DWORD dst_unused:UNUSED_PAD src0_sel:DWORD src1_sel:WORD_1
	v_bfrev_b32_e32 v25, 60
	v_lshlrev_b32_e32 v18, 20, v18
	v_and_b32_e32 v23, 0x80000000, v23
	v_lshl_add_u32 v14, v14, 23, v25
	v_or3_b32 v18, v23, v14, v18
.LBB604_439:
	s_or_b64 exec, exec, s[10:11]
.LBB604_440:
	s_or_b64 exec, exec, s[8:9]
.LBB604_441:
	s_or_b64 exec, exec, s[2:3]
	s_mov_b32 s2, 0xffffff
	v_cmp_lt_u32_e32 vcc, s2, v15
	v_mov_b32_e32 v23, 0
	v_mov_b32_e32 v25, 0
	s_and_saveexec_b64 s[2:3], vcc
	s_cbranch_execz .LBB604_447
; %bb.442:
	v_lshrrev_b32_e32 v14, 24, v15
	s_movk_i32 s7, 0x80
	v_cmp_ne_u32_e32 vcc, s7, v14
	v_bfrev_b32_e32 v25, 1
	s_and_saveexec_b64 s[8:9], vcc
	s_cbranch_execz .LBB604_446
; %bb.443:
	v_bfe_u32 v15, v15, 24, 7
	s_movk_i32 s7, 0x7f
	v_cmp_ne_u32_e32 vcc, s7, v15
	v_mov_b32_e32 v25, 0x7f800001
	s_and_saveexec_b64 s[10:11], vcc
	s_cbranch_execz .LBB604_445
; %bb.444:
	v_and_b32_e32 v25, 7, v14
	v_ffbh_u32_e32 v26, v25
	v_min_u32_e32 v30, 32, v26
	v_subrev_u32_e32 v26, 28, v30
	v_lshlrev_b64 v[26:27], v26, v[14:15]
	v_lshrrev_b32_e32 v29, 3, v15
	v_sub_u32_e32 v27, 29, v30
	v_and_b32_e32 v26, 7, v26
	v_cmp_gt_u32_e32 vcc, 8, v15
	v_cndmask_b32_e32 v15, v29, v27, vcc
	v_cndmask_b32_e32 v25, v25, v26, vcc
	v_lshlrev_b32_e32 v14, 24, v14
	v_bfrev_b32_e32 v26, 60
	v_lshlrev_b32_e32 v25, 20, v25
	v_and_b32_e32 v14, 0x80000000, v14
	v_lshl_add_u32 v15, v15, 23, v26
	v_or3_b32 v25, v14, v15, v25
.LBB604_445:
	s_or_b64 exec, exec, s[10:11]
.LBB604_446:
	s_or_b64 exec, exec, s[8:9]
.LBB604_447:
	s_or_b64 exec, exec, s[2:3]
	v_cvt_pkrtz_f16_f32 v15, v19, v22
	v_lshl_or_b32 v22, v1, 9, v48
	v_cvt_pkrtz_f16_f32 v14, v32, v20
	ds_read_b128 v[30:33], v22
	v_cmp_ne_u16_sdwa s[8:9], v16, v23 src0_sel:BYTE_0 src1_sel:DWORD
	s_waitcnt lgkmcnt(0)
	v_mfma_f32_16x16x16f16 v[34:37], v[14:15], v[30:31], 0
	v_cvt_pkrtz_f16_f32 v14, v21, v24
	v_cvt_pkrtz_f16_f32 v15, v18, v25
	s_nop 1
	v_mfma_f32_16x16x16f16 v[18:21], v[14:15], v[32:33], v[34:37]
	s_and_saveexec_b64 s[2:3], s[8:9]
	s_cbranch_execz .LBB604_453
; %bb.448:
	s_movk_i32 s7, 0x80
	v_cmp_ne_u16_sdwa s[10:11], v16, s7 src0_sel:BYTE_0 src1_sel:DWORD
	v_bfrev_b32_e32 v23, 1
	s_and_saveexec_b64 s[8:9], s[10:11]
	s_cbranch_execz .LBB604_452
; %bb.449:
	s_movk_i32 s7, 0x7f
	v_and_b32_e32 v14, 0x7f, v16
	v_cmp_ne_u32_e32 vcc, s7, v14
	v_mov_b32_e32 v23, 0x7f800001
	s_and_saveexec_b64 s[10:11], vcc
	s_cbranch_execz .LBB604_451
; %bb.450:
	v_and_b32_e32 v15, 7, v16
	v_ffbh_u32_e32 v24, v15
	v_min_u32_e32 v26, 32, v24
	v_subrev_u32_e32 v24, 28, v26
	v_lshlrev_b64 v[24:25], v24, v[16:17]
	v_lshrrev_b32_e32 v23, 3, v14
	v_sub_u32_e32 v25, 29, v26
	v_and_b32_e32 v24, 7, v24
	v_cmp_gt_u32_e32 vcc, 8, v14
	v_cndmask_b32_e32 v14, v23, v25, vcc
	v_cndmask_b32_e32 v15, v15, v24, vcc
	v_lshlrev_b32_e32 v23, 24, v16
	v_bfrev_b32_e32 v24, 60
	v_lshlrev_b32_e32 v15, 20, v15
	v_and_b32_e32 v23, 0x80000000, v23
	v_lshl_add_u32 v14, v14, 23, v24
	v_or3_b32 v23, v23, v14, v15
.LBB604_451:
	s_or_b64 exec, exec, s[10:11]
.LBB604_452:
	s_or_b64 exec, exec, s[8:9]
.LBB604_453:
	s_or_b64 exec, exec, s[2:3]
	v_lshrrev_b16_e32 v14, 8, v16
	v_cmp_ne_u16_e32 vcc, 0, v14
	v_mov_b32_e32 v15, 0
	v_mov_b32_e32 v25, 0
	s_and_saveexec_b64 s[2:3], vcc
	s_cbranch_execz .LBB604_459
; %bb.454:
	s_movk_i32 s7, 0x80
	v_cmp_ne_u16_e32 vcc, s7, v14
	v_bfrev_b32_e32 v25, 1
	s_and_saveexec_b64 s[8:9], vcc
	s_cbranch_execz .LBB604_458
; %bb.455:
	s_movk_i32 s7, 0x7f
	v_and_b32_e32 v24, 0x7f, v14
	v_cmp_ne_u32_e32 vcc, s7, v24
	v_mov_b32_e32 v25, 0x7f800001
	s_and_saveexec_b64 s[10:11], vcc
	s_cbranch_execz .LBB604_457
; %bb.456:
	v_and_b32_e32 v25, 7, v14
	v_ffbh_u32_e32 v26, v25
	v_min_u32_e32 v30, 32, v26
	v_subrev_u32_e32 v26, 28, v30
	v_lshlrev_b64 v[26:27], v26, v[14:15]
	v_lshrrev_b32_e32 v29, 3, v24
	v_sub_u32_e32 v14, 29, v30
	v_and_b32_e32 v26, 7, v26
	v_cmp_gt_u32_e32 vcc, 8, v24
	v_cndmask_b32_e32 v14, v29, v14, vcc
	v_cndmask_b32_e32 v24, v25, v26, vcc
	v_lshlrev_b32_e32 v25, 16, v16
	v_bfrev_b32_e32 v26, 60
	v_lshlrev_b32_e32 v24, 20, v24
	v_and_b32_e32 v25, 0x80000000, v25
	v_lshl_add_u32 v14, v14, 23, v26
	v_or3_b32 v25, v25, v14, v24
.LBB604_457:
	s_or_b64 exec, exec, s[10:11]
.LBB604_458:
	s_or_b64 exec, exec, s[8:9]
.LBB604_459:
	s_or_b64 exec, exec, s[2:3]
	s_movk_i32 s2, 0xff
	v_and_b32_sdwa v24, v16, s2 dst_sel:DWORD dst_unused:UNUSED_PAD src0_sel:WORD_1 src1_sel:DWORD
	v_lshrrev_b32_e32 v14, 16, v16
	v_cmp_ne_u16_e32 vcc, 0, v24
	s_and_saveexec_b64 s[2:3], vcc
	s_cbranch_execz .LBB604_465
; %bb.460:
	s_movk_i32 s7, 0x80
	v_cmp_ne_u16_e32 vcc, s7, v24
	v_bfrev_b32_e32 v15, 1
	s_and_saveexec_b64 s[8:9], vcc
	s_cbranch_execz .LBB604_464
; %bb.461:
	v_bfe_u32 v24, v16, 16, 7
	s_movk_i32 s7, 0x7f
	v_cmp_ne_u32_e32 vcc, s7, v24
	v_mov_b32_e32 v15, 0x7f800001
	s_and_saveexec_b64 s[10:11], vcc
	s_cbranch_execz .LBB604_463
; %bb.462:
	v_and_b32_e32 v26, 7, v14
	v_ffbh_u32_e32 v15, v26
	v_min_u32_e32 v29, 32, v15
	v_subrev_u32_e32 v15, 28, v29
	v_lshlrev_b64 v[14:15], v15, v[14:15]
	v_lshrrev_b32_e32 v27, 3, v24
	v_sub_u32_e32 v15, 29, v29
	v_and_b32_e32 v14, 7, v14
	v_cmp_gt_u32_e32 vcc, 8, v24
	v_mov_b32_e32 v24, 24
	v_cndmask_b32_e32 v15, v27, v15, vcc
	v_cndmask_b32_e32 v14, v26, v14, vcc
	v_lshlrev_b32_sdwa v24, v24, v16 dst_sel:DWORD dst_unused:UNUSED_PAD src0_sel:DWORD src1_sel:WORD_1
	v_bfrev_b32_e32 v26, 60
	v_lshlrev_b32_e32 v14, 20, v14
	v_and_b32_e32 v24, 0x80000000, v24
	v_lshl_add_u32 v15, v15, 23, v26
	v_or3_b32 v15, v24, v15, v14
.LBB604_463:
	s_or_b64 exec, exec, s[10:11]
.LBB604_464:
	s_or_b64 exec, exec, s[8:9]
.LBB604_465:
	s_or_b64 exec, exec, s[2:3]
	s_mov_b32 s2, 0xffffff
	v_cmp_lt_u32_e32 vcc, s2, v16
	v_mov_b32_e32 v26, 0
	v_mov_b32_e32 v27, 0
	s_and_saveexec_b64 s[2:3], vcc
	s_cbranch_execz .LBB604_471
; %bb.466:
	v_lshrrev_b32_e32 v14, 24, v16
	s_movk_i32 s7, 0x80
	v_cmp_ne_u32_e32 vcc, s7, v14
	v_bfrev_b32_e32 v27, 1
	s_and_saveexec_b64 s[8:9], vcc
	s_cbranch_execz .LBB604_470
; %bb.467:
	v_bfe_u32 v16, v16, 24, 7
	s_movk_i32 s7, 0x7f
	v_cmp_ne_u32_e32 vcc, s7, v16
	v_mov_b32_e32 v27, 0x7f800001
	s_and_saveexec_b64 s[10:11], vcc
	s_cbranch_execz .LBB604_469
; %bb.468:
	v_and_b32_e32 v24, 7, v14
	v_ffbh_u32_e32 v29, v24
	v_min_u32_e32 v29, 32, v29
	v_subrev_u32_e32 v30, 28, v29
	v_lshlrev_b64 v[30:31], v30, v[14:15]
	v_lshrrev_b32_e32 v27, 3, v16
	v_sub_u32_e32 v29, 29, v29
	v_and_b32_e32 v30, 7, v30
	v_cmp_gt_u32_e32 vcc, 8, v16
	v_cndmask_b32_e32 v16, v27, v29, vcc
	v_cndmask_b32_e32 v24, v24, v30, vcc
	v_lshlrev_b32_e32 v14, 24, v14
	v_bfrev_b32_e32 v27, 60
	v_lshlrev_b32_e32 v24, 20, v24
	v_and_b32_e32 v14, 0x80000000, v14
	v_lshl_add_u32 v16, v16, 23, v27
	v_or3_b32 v27, v14, v16, v24
.LBB604_469:
	s_or_b64 exec, exec, s[10:11]
.LBB604_470:
	s_or_b64 exec, exec, s[8:9]
.LBB604_471:
	s_or_b64 exec, exec, s[2:3]
	v_cmp_ne_u16_sdwa s[8:9], v17, v26 src0_sel:BYTE_0 src1_sel:DWORD
	s_and_saveexec_b64 s[2:3], s[8:9]
	s_cbranch_execz .LBB604_477
; %bb.472:
	s_movk_i32 s7, 0x80
	v_cmp_ne_u16_sdwa s[10:11], v17, s7 src0_sel:BYTE_0 src1_sel:DWORD
	v_bfrev_b32_e32 v26, 1
	s_and_saveexec_b64 s[8:9], s[10:11]
	s_cbranch_execz .LBB604_476
; %bb.473:
	s_movk_i32 s7, 0x7f
	v_and_b32_e32 v14, 0x7f, v17
	v_cmp_ne_u32_e32 vcc, s7, v14
	v_mov_b32_e32 v26, 0x7f800001
	s_and_saveexec_b64 s[10:11], vcc
	s_cbranch_execz .LBB604_475
; %bb.474:
	v_and_b32_e32 v24, 7, v17
	v_ffbh_u32_e32 v29, v24
	v_min_u32_e32 v29, 32, v29
	v_mov_b32_e32 v16, v17
	v_subrev_u32_e32 v30, 28, v29
	v_lshlrev_b64 v[30:31], v30, v[16:17]
	v_lshrrev_b32_e32 v26, 3, v14
	v_sub_u32_e32 v16, 29, v29
	v_and_b32_e32 v29, 7, v30
	v_cmp_gt_u32_e32 vcc, 8, v14
	v_cndmask_b32_e32 v14, v26, v16, vcc
	v_cndmask_b32_e32 v16, v24, v29, vcc
	v_lshlrev_b32_e32 v24, 24, v17
	v_bfrev_b32_e32 v26, 60
	v_lshlrev_b32_e32 v16, 20, v16
	v_and_b32_e32 v24, 0x80000000, v24
	v_lshl_add_u32 v14, v14, 23, v26
	v_or3_b32 v26, v24, v14, v16
.LBB604_475:
	s_or_b64 exec, exec, s[10:11]
.LBB604_476:
	s_or_b64 exec, exec, s[8:9]
.LBB604_477:
	s_or_b64 exec, exec, s[2:3]
	v_lshrrev_b16_e32 v14, 8, v17
	v_cmp_ne_u16_e32 vcc, 0, v14
	v_mov_b32_e32 v16, 0
	v_mov_b32_e32 v29, 0
	s_and_saveexec_b64 s[2:3], vcc
	s_cbranch_execz .LBB604_483
; %bb.478:
	s_movk_i32 s7, 0x80
	v_cmp_ne_u16_e32 vcc, s7, v14
	v_bfrev_b32_e32 v29, 1
	s_and_saveexec_b64 s[8:9], vcc
	s_cbranch_execz .LBB604_482
; %bb.479:
	s_movk_i32 s7, 0x7f
	v_and_b32_e32 v24, 0x7f, v14
	v_cmp_ne_u32_e32 vcc, s7, v24
	v_mov_b32_e32 v29, 0x7f800001
	s_and_saveexec_b64 s[10:11], vcc
	s_cbranch_execz .LBB604_481
; %bb.480:
	v_and_b32_e32 v29, 7, v14
	v_ffbh_u32_e32 v30, v29
	v_min_u32_e32 v33, 32, v30
	v_subrev_u32_e32 v30, 28, v33
	v_lshlrev_b64 v[30:31], v30, v[14:15]
	v_lshrrev_b32_e32 v32, 3, v24
	v_sub_u32_e32 v14, 29, v33
	v_and_b32_e32 v30, 7, v30
	v_cmp_gt_u32_e32 vcc, 8, v24
	v_cndmask_b32_e32 v14, v32, v14, vcc
	v_cndmask_b32_e32 v24, v29, v30, vcc
	v_lshlrev_b32_e32 v29, 16, v17
	v_bfrev_b32_e32 v30, 60
	v_lshlrev_b32_e32 v24, 20, v24
	v_and_b32_e32 v29, 0x80000000, v29
	v_lshl_add_u32 v14, v14, 23, v30
	v_or3_b32 v29, v29, v14, v24
.LBB604_481:
	s_or_b64 exec, exec, s[10:11]
.LBB604_482:
	s_or_b64 exec, exec, s[8:9]
.LBB604_483:
	s_or_b64 exec, exec, s[2:3]
	s_movk_i32 s2, 0xff
	v_and_b32_sdwa v24, v17, s2 dst_sel:DWORD dst_unused:UNUSED_PAD src0_sel:WORD_1 src1_sel:DWORD
	v_lshrrev_b32_e32 v14, 16, v17
	v_cmp_ne_u16_e32 vcc, 0, v24
	s_and_saveexec_b64 s[2:3], vcc
	s_cbranch_execz .LBB604_489
; %bb.484:
	s_movk_i32 s7, 0x80
	v_cmp_ne_u16_e32 vcc, s7, v24
	v_bfrev_b32_e32 v16, 1
	s_and_saveexec_b64 s[8:9], vcc
	s_cbranch_execz .LBB604_488
; %bb.485:
	v_bfe_u32 v24, v17, 16, 7
	s_movk_i32 s7, 0x7f
	v_cmp_ne_u32_e32 vcc, s7, v24
	v_mov_b32_e32 v16, 0x7f800001
	s_and_saveexec_b64 s[10:11], vcc
	s_cbranch_execz .LBB604_487
; %bb.486:
	v_and_b32_e32 v16, 7, v14
	v_ffbh_u32_e32 v30, v16
	v_min_u32_e32 v33, 32, v30
	v_subrev_u32_e32 v30, 28, v33
	v_lshlrev_b64 v[30:31], v30, v[14:15]
	v_lshrrev_b32_e32 v32, 3, v24
	v_sub_u32_e32 v14, 29, v33
	v_and_b32_e32 v30, 7, v30
	v_cmp_gt_u32_e32 vcc, 8, v24
	v_mov_b32_e32 v24, 24
	v_cndmask_b32_e32 v14, v32, v14, vcc
	v_cndmask_b32_e32 v16, v16, v30, vcc
	v_lshlrev_b32_sdwa v24, v24, v17 dst_sel:DWORD dst_unused:UNUSED_PAD src0_sel:DWORD src1_sel:WORD_1
	v_bfrev_b32_e32 v30, 60
	v_lshlrev_b32_e32 v16, 20, v16
	v_and_b32_e32 v24, 0x80000000, v24
	v_lshl_add_u32 v14, v14, 23, v30
	v_or3_b32 v16, v24, v14, v16
.LBB604_487:
	s_or_b64 exec, exec, s[10:11]
.LBB604_488:
	s_or_b64 exec, exec, s[8:9]
.LBB604_489:
	s_or_b64 exec, exec, s[2:3]
	s_mov_b32 s2, 0xffffff
	v_cmp_lt_u32_e32 vcc, s2, v17
	v_mov_b32_e32 v24, 0
	v_mov_b32_e32 v30, 0
	s_and_saveexec_b64 s[2:3], vcc
	s_cbranch_execz .LBB604_495
; %bb.490:
	v_lshrrev_b32_e32 v14, 24, v17
	s_movk_i32 s7, 0x80
	v_cmp_ne_u32_e32 vcc, s7, v14
	v_bfrev_b32_e32 v30, 1
	s_and_saveexec_b64 s[8:9], vcc
	s_cbranch_execz .LBB604_494
; %bb.491:
	v_bfe_u32 v17, v17, 24, 7
	s_movk_i32 s7, 0x7f
	v_cmp_ne_u32_e32 vcc, s7, v17
	v_mov_b32_e32 v30, 0x7f800001
	s_and_saveexec_b64 s[10:11], vcc
	s_cbranch_execz .LBB604_493
; %bb.492:
	v_and_b32_e32 v32, 7, v14
	v_ffbh_u32_e32 v30, v32
	v_min_u32_e32 v34, 32, v30
	v_subrev_u32_e32 v30, 28, v34
	v_lshlrev_b64 v[30:31], v30, v[14:15]
	v_lshrrev_b32_e32 v33, 3, v17
	v_sub_u32_e32 v31, 29, v34
	v_and_b32_e32 v30, 7, v30
	v_cmp_gt_u32_e32 vcc, 8, v17
	v_cndmask_b32_e32 v17, v33, v31, vcc
	v_cndmask_b32_e32 v30, v32, v30, vcc
	v_lshlrev_b32_e32 v14, 24, v14
	v_bfrev_b32_e32 v31, 60
	v_lshlrev_b32_e32 v30, 20, v30
	v_and_b32_e32 v14, 0x80000000, v14
	v_lshl_add_u32 v17, v17, 23, v31
	v_or3_b32 v30, v14, v17, v30
.LBB604_493:
	s_or_b64 exec, exec, s[10:11]
.LBB604_494:
	s_or_b64 exec, exec, s[8:9]
.LBB604_495:
	s_or_b64 exec, exec, s[2:3]
	v_cvt_pkrtz_f16_f32 v14, v23, v25
	v_cvt_pkrtz_f16_f32 v15, v15, v27
	ds_read_b128 v[32:35], v22 offset:16
	s_waitcnt vmcnt(2)
	v_cmp_ne_u16_sdwa s[8:9], v10, v24 src0_sel:BYTE_0 src1_sel:DWORD
	s_waitcnt lgkmcnt(0)
	v_mfma_f32_16x16x16f16 v[18:21], v[14:15], v[32:33], v[18:21]
	v_cvt_pkrtz_f16_f32 v14, v26, v29
	v_cvt_pkrtz_f16_f32 v15, v16, v30
	s_nop 1
	v_mfma_f32_16x16x16f16 v[14:17], v[14:15], v[34:35], v[18:21]
	s_and_saveexec_b64 s[2:3], s[8:9]
	s_cbranch_execz .LBB604_501
; %bb.496:
	s_movk_i32 s7, 0x80
	v_cmp_ne_u16_sdwa s[10:11], v10, s7 src0_sel:BYTE_0 src1_sel:DWORD
	v_bfrev_b32_e32 v24, 1
	s_and_saveexec_b64 s[8:9], s[10:11]
	s_cbranch_execz .LBB604_500
; %bb.497:
	s_movk_i32 s7, 0x7f
	v_and_b32_e32 v18, 0x7f, v10
	v_cmp_ne_u32_e32 vcc, s7, v18
	v_mov_b32_e32 v24, 0x7f800001
	s_and_saveexec_b64 s[10:11], vcc
	s_cbranch_execz .LBB604_499
; %bb.498:
	v_and_b32_e32 v19, 7, v10
	v_ffbh_u32_e32 v20, v19
	v_min_u32_e32 v24, 32, v20
	v_subrev_u32_e32 v20, 28, v24
	v_lshlrev_b64 v[20:21], v20, v[10:11]
	v_lshrrev_b32_e32 v23, 3, v18
	v_sub_u32_e32 v21, 29, v24
	v_and_b32_e32 v20, 7, v20
	v_cmp_gt_u32_e32 vcc, 8, v18
	v_cndmask_b32_e32 v18, v23, v21, vcc
	v_cndmask_b32_e32 v19, v19, v20, vcc
	v_lshlrev_b32_e32 v20, 24, v10
	v_bfrev_b32_e32 v21, 60
	v_lshlrev_b32_e32 v19, 20, v19
	v_and_b32_e32 v20, 0x80000000, v20
	v_lshl_add_u32 v18, v18, 23, v21
	v_or3_b32 v24, v20, v18, v19
.LBB604_499:
	s_or_b64 exec, exec, s[10:11]
.LBB604_500:
	s_or_b64 exec, exec, s[8:9]
.LBB604_501:
	s_or_b64 exec, exec, s[2:3]
	s_nop 3
	v_lshrrev_b16_e32 v18, 8, v10
	v_cmp_ne_u16_e32 vcc, 0, v18
	v_mov_b32_e32 v19, 0
	v_mov_b32_e32 v20, 0
	s_and_saveexec_b64 s[2:3], vcc
	s_cbranch_execz .LBB604_507
; %bb.502:
	s_movk_i32 s7, 0x80
	v_cmp_ne_u16_e32 vcc, s7, v18
	v_bfrev_b32_e32 v20, 1
	s_and_saveexec_b64 s[8:9], vcc
	s_cbranch_execz .LBB604_506
; %bb.503:
	s_movk_i32 s7, 0x7f
	v_and_b32_e32 v21, 0x7f, v18
	v_cmp_ne_u32_e32 vcc, s7, v21
	v_mov_b32_e32 v20, 0x7f800001
	s_and_saveexec_b64 s[10:11], vcc
	s_cbranch_execz .LBB604_505
; %bb.504:
	v_and_b32_e32 v20, 7, v18
	v_ffbh_u32_e32 v25, v20
	v_min_u32_e32 v25, 32, v25
	v_subrev_u32_e32 v26, 28, v25
	v_lshlrev_b64 v[26:27], v26, v[18:19]
	v_lshrrev_b32_e32 v23, 3, v21
	v_sub_u32_e32 v18, 29, v25
	v_and_b32_e32 v25, 7, v26
	v_cmp_gt_u32_e32 vcc, 8, v21
	v_cndmask_b32_e32 v18, v23, v18, vcc
	v_cndmask_b32_e32 v20, v20, v25, vcc
	v_lshlrev_b32_e32 v21, 16, v10
	v_bfrev_b32_e32 v23, 60
	v_lshlrev_b32_e32 v20, 20, v20
	v_and_b32_e32 v21, 0x80000000, v21
	v_lshl_add_u32 v18, v18, 23, v23
	v_or3_b32 v20, v21, v18, v20
.LBB604_505:
	s_or_b64 exec, exec, s[10:11]
.LBB604_506:
	s_or_b64 exec, exec, s[8:9]
.LBB604_507:
	s_or_b64 exec, exec, s[2:3]
	s_movk_i32 s2, 0xff
	v_and_b32_sdwa v21, v10, s2 dst_sel:DWORD dst_unused:UNUSED_PAD src0_sel:WORD_1 src1_sel:DWORD
	v_lshrrev_b32_e32 v18, 16, v10
	v_cmp_ne_u16_e32 vcc, 0, v21
	s_and_saveexec_b64 s[2:3], vcc
	s_cbranch_execz .LBB604_513
; %bb.508:
	s_movk_i32 s7, 0x80
	v_cmp_ne_u16_e32 vcc, s7, v21
	v_bfrev_b32_e32 v19, 1
	s_and_saveexec_b64 s[8:9], vcc
	s_cbranch_execz .LBB604_512
; %bb.509:
	v_bfe_u32 v21, v10, 16, 7
	s_movk_i32 s7, 0x7f
	v_cmp_ne_u32_e32 vcc, s7, v21
	v_mov_b32_e32 v19, 0x7f800001
	s_and_saveexec_b64 s[10:11], vcc
	s_cbranch_execz .LBB604_511
; %bb.510:
	v_and_b32_e32 v23, 7, v18
	v_ffbh_u32_e32 v19, v23
	v_min_u32_e32 v26, 32, v19
	v_subrev_u32_e32 v19, 28, v26
	v_lshlrev_b64 v[18:19], v19, v[18:19]
	v_lshrrev_b32_e32 v25, 3, v21
	v_sub_u32_e32 v19, 29, v26
	v_and_b32_e32 v18, 7, v18
	v_cmp_gt_u32_e32 vcc, 8, v21
	v_mov_b32_e32 v21, 24
	v_cndmask_b32_e32 v19, v25, v19, vcc
	v_cndmask_b32_e32 v18, v23, v18, vcc
	v_lshlrev_b32_sdwa v21, v21, v10 dst_sel:DWORD dst_unused:UNUSED_PAD src0_sel:DWORD src1_sel:WORD_1
	v_bfrev_b32_e32 v23, 60
	v_lshlrev_b32_e32 v18, 20, v18
	v_and_b32_e32 v21, 0x80000000, v21
	v_lshl_add_u32 v19, v19, 23, v23
	v_or3_b32 v19, v21, v19, v18
.LBB604_511:
	s_or_b64 exec, exec, s[10:11]
.LBB604_512:
	s_or_b64 exec, exec, s[8:9]
.LBB604_513:
	s_or_b64 exec, exec, s[2:3]
	s_mov_b32 s2, 0xffffff
	v_cmp_lt_u32_e32 vcc, s2, v10
	v_mov_b32_e32 v21, 0
	v_mov_b32_e32 v23, 0
	s_and_saveexec_b64 s[2:3], vcc
	s_cbranch_execz .LBB604_519
; %bb.514:
	v_lshrrev_b32_e32 v18, 24, v10
	s_movk_i32 s7, 0x80
	v_cmp_ne_u32_e32 vcc, s7, v18
	v_bfrev_b32_e32 v23, 1
	s_and_saveexec_b64 s[8:9], vcc
	s_cbranch_execz .LBB604_518
; %bb.515:
	v_bfe_u32 v10, v10, 24, 7
	s_movk_i32 s7, 0x7f
	v_cmp_ne_u32_e32 vcc, s7, v10
	v_mov_b32_e32 v23, 0x7f800001
	s_and_saveexec_b64 s[10:11], vcc
	s_cbranch_execz .LBB604_517
; %bb.516:
	v_and_b32_e32 v23, 7, v18
	v_ffbh_u32_e32 v26, v23
	v_min_u32_e32 v29, 32, v26
	v_subrev_u32_e32 v26, 28, v29
	v_lshlrev_b64 v[26:27], v26, v[18:19]
	v_lshrrev_b32_e32 v25, 3, v10
	v_sub_u32_e32 v27, 29, v29
	v_and_b32_e32 v26, 7, v26
	v_cmp_gt_u32_e32 vcc, 8, v10
	v_cndmask_b32_e32 v10, v25, v27, vcc
	v_cndmask_b32_e32 v23, v23, v26, vcc
	v_lshlrev_b32_e32 v18, 24, v18
	v_bfrev_b32_e32 v25, 60
	v_lshlrev_b32_e32 v23, 20, v23
	v_and_b32_e32 v18, 0x80000000, v18
	v_lshl_add_u32 v10, v10, 23, v25
	v_or3_b32 v23, v18, v10, v23
.LBB604_517:
	s_or_b64 exec, exec, s[10:11]
.LBB604_518:
	s_or_b64 exec, exec, s[8:9]
.LBB604_519:
	s_or_b64 exec, exec, s[2:3]
	v_cmp_ne_u16_sdwa s[8:9], v11, v21 src0_sel:BYTE_0 src1_sel:DWORD
	s_and_saveexec_b64 s[2:3], s[8:9]
	s_cbranch_execz .LBB604_525
; %bb.520:
	s_movk_i32 s7, 0x80
	v_cmp_ne_u16_sdwa s[10:11], v11, s7 src0_sel:BYTE_0 src1_sel:DWORD
	v_bfrev_b32_e32 v21, 1
	s_and_saveexec_b64 s[8:9], s[10:11]
	s_cbranch_execz .LBB604_524
; %bb.521:
	s_movk_i32 s7, 0x7f
	v_and_b32_e32 v10, 0x7f, v11
	v_cmp_ne_u32_e32 vcc, s7, v10
	v_mov_b32_e32 v21, 0x7f800001
	s_and_saveexec_b64 s[10:11], vcc
	s_cbranch_execz .LBB604_523
; %bb.522:
	v_and_b32_e32 v21, 7, v11
	v_ffbh_u32_e32 v26, v21
	v_min_u32_e32 v29, 32, v26
	v_mov_b32_e32 v18, v11
	v_subrev_u32_e32 v26, 28, v29
	v_lshlrev_b64 v[26:27], v26, v[18:19]
	v_lshrrev_b32_e32 v25, 3, v10
	v_sub_u32_e32 v18, 29, v29
	v_and_b32_e32 v26, 7, v26
	v_cmp_gt_u32_e32 vcc, 8, v10
	v_cndmask_b32_e32 v10, v25, v18, vcc
	v_cndmask_b32_e32 v18, v21, v26, vcc
	v_lshlrev_b32_e32 v21, 24, v11
	v_bfrev_b32_e32 v25, 60
	v_lshlrev_b32_e32 v18, 20, v18
	v_and_b32_e32 v21, 0x80000000, v21
	v_lshl_add_u32 v10, v10, 23, v25
	v_or3_b32 v21, v21, v10, v18
.LBB604_523:
	s_or_b64 exec, exec, s[10:11]
.LBB604_524:
	s_or_b64 exec, exec, s[8:9]
.LBB604_525:
	s_or_b64 exec, exec, s[2:3]
	v_lshrrev_b16_e32 v10, 8, v11
	v_cmp_ne_u16_e32 vcc, 0, v10
	v_mov_b32_e32 v25, 0
	v_mov_b32_e32 v26, 0
	s_and_saveexec_b64 s[2:3], vcc
	s_cbranch_execz .LBB604_531
; %bb.526:
	s_movk_i32 s7, 0x80
	v_cmp_ne_u16_e32 vcc, s7, v10
	v_bfrev_b32_e32 v26, 1
	s_and_saveexec_b64 s[8:9], vcc
	s_cbranch_execz .LBB604_530
; %bb.527:
	s_movk_i32 s7, 0x7f
	v_and_b32_e32 v18, 0x7f, v10
	v_cmp_ne_u32_e32 vcc, s7, v18
	v_mov_b32_e32 v26, 0x7f800001
	s_and_saveexec_b64 s[10:11], vcc
	s_cbranch_execz .LBB604_529
; %bb.528:
	v_and_b32_e32 v29, 7, v10
	v_ffbh_u32_e32 v26, v29
	v_min_u32_e32 v31, 32, v26
	v_subrev_u32_e32 v26, 28, v31
	v_lshlrev_b64 v[26:27], v26, v[10:11]
	v_lshrrev_b32_e32 v30, 3, v18
	v_sub_u32_e32 v10, 29, v31
	v_and_b32_e32 v26, 7, v26
	v_cmp_gt_u32_e32 vcc, 8, v18
	v_cndmask_b32_e32 v10, v30, v10, vcc
	v_cndmask_b32_e32 v18, v29, v26, vcc
	v_lshlrev_b32_e32 v26, 16, v11
	v_bfrev_b32_e32 v27, 60
	v_lshlrev_b32_e32 v18, 20, v18
	v_and_b32_e32 v26, 0x80000000, v26
	v_lshl_add_u32 v10, v10, 23, v27
	v_or3_b32 v26, v26, v10, v18
.LBB604_529:
	s_or_b64 exec, exec, s[10:11]
.LBB604_530:
	s_or_b64 exec, exec, s[8:9]
.LBB604_531:
	s_or_b64 exec, exec, s[2:3]
	s_movk_i32 s2, 0xff
	v_and_b32_sdwa v18, v11, s2 dst_sel:DWORD dst_unused:UNUSED_PAD src0_sel:WORD_1 src1_sel:DWORD
	v_lshrrev_b32_e32 v10, 16, v11
	v_cmp_ne_u16_e32 vcc, 0, v18
	s_and_saveexec_b64 s[2:3], vcc
	s_cbranch_execz .LBB604_537
; %bb.532:
	s_movk_i32 s7, 0x80
	v_cmp_ne_u16_e32 vcc, s7, v18
	v_bfrev_b32_e32 v25, 1
	s_and_saveexec_b64 s[8:9], vcc
	s_cbranch_execz .LBB604_536
; %bb.533:
	v_bfe_u32 v18, v11, 16, 7
	s_movk_i32 s7, 0x7f
	v_cmp_ne_u32_e32 vcc, s7, v18
	v_mov_b32_e32 v25, 0x7f800001
	s_and_saveexec_b64 s[10:11], vcc
	s_cbranch_execz .LBB604_535
; %bb.534:
	v_and_b32_e32 v25, 7, v10
	v_ffbh_u32_e32 v29, v25
	v_min_u32_e32 v29, 32, v29
	v_subrev_u32_e32 v30, 28, v29
	v_lshlrev_b64 v[30:31], v30, v[10:11]
	v_sub_u32_e32 v10, 29, v29
	v_and_b32_e32 v29, 7, v30
	v_cmp_gt_u32_e32 vcc, 8, v18
	v_lshrrev_b32_e32 v27, 3, v18
	v_cndmask_b32_e32 v18, v25, v29, vcc
	v_mov_b32_e32 v25, 24
	v_cndmask_b32_e32 v10, v27, v10, vcc
	v_lshlrev_b32_sdwa v25, v25, v11 dst_sel:DWORD dst_unused:UNUSED_PAD src0_sel:DWORD src1_sel:WORD_1
	v_bfrev_b32_e32 v27, 60
	v_lshlrev_b32_e32 v18, 20, v18
	v_and_b32_e32 v25, 0x80000000, v25
	v_lshl_add_u32 v10, v10, 23, v27
	v_or3_b32 v25, v25, v10, v18
.LBB604_535:
	s_or_b64 exec, exec, s[10:11]
.LBB604_536:
	s_or_b64 exec, exec, s[8:9]
.LBB604_537:
	s_or_b64 exec, exec, s[2:3]
	s_mov_b32 s2, 0xffffff
	v_cmp_lt_u32_e32 vcc, s2, v11
	v_mov_b32_e32 v18, 0
	v_mov_b32_e32 v27, 0
	s_and_saveexec_b64 s[2:3], vcc
	s_cbranch_execz .LBB604_543
; %bb.538:
	v_lshrrev_b32_e32 v10, 24, v11
	s_movk_i32 s7, 0x80
	v_cmp_ne_u32_e32 vcc, s7, v10
	v_bfrev_b32_e32 v27, 1
	s_and_saveexec_b64 s[8:9], vcc
	s_cbranch_execz .LBB604_542
; %bb.539:
	v_bfe_u32 v11, v11, 24, 7
	s_movk_i32 s7, 0x7f
	v_cmp_ne_u32_e32 vcc, s7, v11
	v_mov_b32_e32 v27, 0x7f800001
	s_and_saveexec_b64 s[10:11], vcc
	s_cbranch_execz .LBB604_541
; %bb.540:
	v_and_b32_e32 v27, 7, v10
	v_ffbh_u32_e32 v30, v27
	v_min_u32_e32 v32, 32, v30
	v_subrev_u32_e32 v30, 28, v32
	v_lshlrev_b64 v[30:31], v30, v[10:11]
	v_lshrrev_b32_e32 v29, 3, v11
	v_sub_u32_e32 v31, 29, v32
	v_and_b32_e32 v30, 7, v30
	v_cmp_gt_u32_e32 vcc, 8, v11
	v_cndmask_b32_e32 v11, v29, v31, vcc
	v_cndmask_b32_e32 v27, v27, v30, vcc
	v_lshlrev_b32_e32 v10, 24, v10
	v_bfrev_b32_e32 v29, 60
	v_lshlrev_b32_e32 v27, 20, v27
	v_and_b32_e32 v10, 0x80000000, v10
	v_lshl_add_u32 v11, v11, 23, v29
	v_or3_b32 v27, v10, v11, v27
.LBB604_541:
	s_or_b64 exec, exec, s[10:11]
.LBB604_542:
	s_or_b64 exec, exec, s[8:9]
.LBB604_543:
	s_or_b64 exec, exec, s[2:3]
	v_cvt_pkrtz_f16_f32 v10, v24, v20
	v_cvt_pkrtz_f16_f32 v11, v19, v23
	ds_read_b128 v[30:33], v22 offset:2048
	v_cmp_ne_u16_sdwa s[8:9], v12, v18 src0_sel:BYTE_0 src1_sel:DWORD
	s_waitcnt lgkmcnt(0)
	v_mfma_f32_16x16x16f16 v[14:17], v[10:11], v[30:31], v[14:17]
	v_cvt_pkrtz_f16_f32 v10, v21, v26
	v_cvt_pkrtz_f16_f32 v11, v25, v27
	s_nop 1
	v_mfma_f32_16x16x16f16 v[14:17], v[10:11], v[32:33], v[14:17]
	s_and_saveexec_b64 s[2:3], s[8:9]
	s_cbranch_execz .LBB604_549
; %bb.544:
	s_movk_i32 s7, 0x80
	v_cmp_ne_u16_sdwa s[10:11], v12, s7 src0_sel:BYTE_0 src1_sel:DWORD
	v_bfrev_b32_e32 v18, 1
	s_and_saveexec_b64 s[8:9], s[10:11]
	s_cbranch_execz .LBB604_548
; %bb.545:
	s_movk_i32 s7, 0x7f
	v_and_b32_e32 v10, 0x7f, v12
	v_cmp_ne_u32_e32 vcc, s7, v10
	v_mov_b32_e32 v18, 0x7f800001
	s_and_saveexec_b64 s[10:11], vcc
	s_cbranch_execz .LBB604_547
; %bb.546:
	v_and_b32_e32 v11, 7, v12
	v_ffbh_u32_e32 v18, v11
	v_min_u32_e32 v21, 32, v18
	v_subrev_u32_e32 v18, 28, v21
	v_lshlrev_b64 v[18:19], v18, v[12:13]
	v_lshrrev_b32_e32 v20, 3, v10
	v_sub_u32_e32 v19, 29, v21
	v_and_b32_e32 v18, 7, v18
	v_cmp_gt_u32_e32 vcc, 8, v10
	v_cndmask_b32_e32 v10, v20, v19, vcc
	v_cndmask_b32_e32 v11, v11, v18, vcc
	v_lshlrev_b32_e32 v18, 24, v12
	v_bfrev_b32_e32 v19, 60
	v_lshlrev_b32_e32 v11, 20, v11
	v_and_b32_e32 v18, 0x80000000, v18
	v_lshl_add_u32 v10, v10, 23, v19
	v_or3_b32 v18, v18, v10, v11
.LBB604_547:
	s_or_b64 exec, exec, s[10:11]
.LBB604_548:
	s_or_b64 exec, exec, s[8:9]
.LBB604_549:
	s_or_b64 exec, exec, s[2:3]
	v_lshrrev_b16_e32 v10, 8, v12
	v_cmp_ne_u16_e32 vcc, 0, v10
	v_mov_b32_e32 v11, 0
	v_mov_b32_e32 v20, 0
	s_and_saveexec_b64 s[2:3], vcc
	s_cbranch_execz .LBB604_555
; %bb.550:
	s_movk_i32 s7, 0x80
	v_cmp_ne_u16_e32 vcc, s7, v10
	v_bfrev_b32_e32 v20, 1
	s_and_saveexec_b64 s[8:9], vcc
	s_cbranch_execz .LBB604_554
; %bb.551:
	s_movk_i32 s7, 0x7f
	v_and_b32_e32 v19, 0x7f, v10
	v_cmp_ne_u32_e32 vcc, s7, v19
	v_mov_b32_e32 v20, 0x7f800001
	s_and_saveexec_b64 s[10:11], vcc
	s_cbranch_execz .LBB604_553
; %bb.552:
	v_and_b32_e32 v23, 7, v10
	v_ffbh_u32_e32 v20, v23
	v_min_u32_e32 v25, 32, v20
	v_subrev_u32_e32 v20, 28, v25
	v_lshlrev_b64 v[20:21], v20, v[10:11]
	v_lshrrev_b32_e32 v24, 3, v19
	v_sub_u32_e32 v10, 29, v25
	v_and_b32_e32 v20, 7, v20
	v_cmp_gt_u32_e32 vcc, 8, v19
	v_cndmask_b32_e32 v10, v24, v10, vcc
	v_cndmask_b32_e32 v19, v23, v20, vcc
	v_lshlrev_b32_e32 v20, 16, v12
	v_bfrev_b32_e32 v21, 60
	v_lshlrev_b32_e32 v19, 20, v19
	v_and_b32_e32 v20, 0x80000000, v20
	v_lshl_add_u32 v10, v10, 23, v21
	v_or3_b32 v20, v20, v10, v19
.LBB604_553:
	s_or_b64 exec, exec, s[10:11]
.LBB604_554:
	s_or_b64 exec, exec, s[8:9]
.LBB604_555:
	s_or_b64 exec, exec, s[2:3]
	s_movk_i32 s2, 0xff
	v_and_b32_sdwa v19, v12, s2 dst_sel:DWORD dst_unused:UNUSED_PAD src0_sel:WORD_1 src1_sel:DWORD
	v_lshrrev_b32_e32 v10, 16, v12
	v_cmp_ne_u16_e32 vcc, 0, v19
	s_and_saveexec_b64 s[2:3], vcc
	s_cbranch_execz .LBB604_561
; %bb.556:
	s_movk_i32 s7, 0x80
	v_cmp_ne_u16_e32 vcc, s7, v19
	v_bfrev_b32_e32 v11, 1
	s_and_saveexec_b64 s[8:9], vcc
	s_cbranch_execz .LBB604_560
; %bb.557:
	v_bfe_u32 v19, v12, 16, 7
	s_movk_i32 s7, 0x7f
	v_cmp_ne_u32_e32 vcc, s7, v19
	v_mov_b32_e32 v11, 0x7f800001
	s_and_saveexec_b64 s[10:11], vcc
	s_cbranch_execz .LBB604_559
; %bb.558:
	v_and_b32_e32 v21, 7, v10
	v_ffbh_u32_e32 v11, v21
	v_min_u32_e32 v24, 32, v11
	v_subrev_u32_e32 v11, 28, v24
	v_lshlrev_b64 v[10:11], v11, v[10:11]
	v_lshrrev_b32_e32 v23, 3, v19
	v_sub_u32_e32 v11, 29, v24
	v_and_b32_e32 v10, 7, v10
	v_cmp_gt_u32_e32 vcc, 8, v19
	v_mov_b32_e32 v19, 24
	v_cndmask_b32_e32 v11, v23, v11, vcc
	v_cndmask_b32_e32 v10, v21, v10, vcc
	v_lshlrev_b32_sdwa v19, v19, v12 dst_sel:DWORD dst_unused:UNUSED_PAD src0_sel:DWORD src1_sel:WORD_1
	v_bfrev_b32_e32 v21, 60
	v_lshlrev_b32_e32 v10, 20, v10
	v_and_b32_e32 v19, 0x80000000, v19
	v_lshl_add_u32 v11, v11, 23, v21
	v_or3_b32 v11, v19, v11, v10
.LBB604_559:
	s_or_b64 exec, exec, s[10:11]
.LBB604_560:
	s_or_b64 exec, exec, s[8:9]
.LBB604_561:
	s_or_b64 exec, exec, s[2:3]
	s_mov_b32 s2, 0xffffff
	v_cmp_lt_u32_e32 vcc, s2, v12
	v_mov_b32_e32 v21, 0
	v_mov_b32_e32 v23, 0
	s_and_saveexec_b64 s[2:3], vcc
	s_cbranch_execz .LBB604_567
; %bb.562:
	v_lshrrev_b32_e32 v10, 24, v12
	s_movk_i32 s7, 0x80
	v_cmp_ne_u32_e32 vcc, s7, v10
	v_bfrev_b32_e32 v23, 1
	s_and_saveexec_b64 s[8:9], vcc
	s_cbranch_execz .LBB604_566
; %bb.563:
	v_bfe_u32 v12, v12, 24, 7
	s_movk_i32 s7, 0x7f
	v_cmp_ne_u32_e32 vcc, s7, v12
	v_mov_b32_e32 v23, 0x7f800001
	s_and_saveexec_b64 s[10:11], vcc
	s_cbranch_execz .LBB604_565
; %bb.564:
	v_and_b32_e32 v19, 7, v10
	v_ffbh_u32_e32 v24, v19
	v_min_u32_e32 v26, 32, v24
	v_subrev_u32_e32 v24, 28, v26
	v_lshlrev_b64 v[24:25], v24, v[10:11]
	v_lshrrev_b32_e32 v23, 3, v12
	v_sub_u32_e32 v25, 29, v26
	v_and_b32_e32 v24, 7, v24
	v_cmp_gt_u32_e32 vcc, 8, v12
	v_cndmask_b32_e32 v12, v23, v25, vcc
	v_cndmask_b32_e32 v19, v19, v24, vcc
	v_lshlrev_b32_e32 v10, 24, v10
	v_bfrev_b32_e32 v23, 60
	v_lshlrev_b32_e32 v19, 20, v19
	v_and_b32_e32 v10, 0x80000000, v10
	v_lshl_add_u32 v12, v12, 23, v23
	v_or3_b32 v23, v10, v12, v19
.LBB604_565:
	s_or_b64 exec, exec, s[10:11]
.LBB604_566:
	s_or_b64 exec, exec, s[8:9]
.LBB604_567:
	s_or_b64 exec, exec, s[2:3]
	v_cmp_ne_u16_sdwa s[8:9], v13, v21 src0_sel:BYTE_0 src1_sel:DWORD
	s_and_saveexec_b64 s[2:3], s[8:9]
	s_cbranch_execz .LBB604_573
; %bb.568:
	s_movk_i32 s7, 0x80
	v_cmp_ne_u16_sdwa s[10:11], v13, s7 src0_sel:BYTE_0 src1_sel:DWORD
	v_bfrev_b32_e32 v21, 1
	s_and_saveexec_b64 s[8:9], s[10:11]
	s_cbranch_execz .LBB604_572
; %bb.569:
	s_movk_i32 s7, 0x7f
	v_and_b32_e32 v10, 0x7f, v13
	v_cmp_ne_u32_e32 vcc, s7, v10
	v_mov_b32_e32 v21, 0x7f800001
	s_and_saveexec_b64 s[10:11], vcc
	s_cbranch_execz .LBB604_571
; %bb.570:
	v_and_b32_e32 v19, 7, v13
	v_ffbh_u32_e32 v24, v19
	v_min_u32_e32 v26, 32, v24
	v_mov_b32_e32 v12, v13
	v_subrev_u32_e32 v24, 28, v26
	v_lshlrev_b64 v[24:25], v24, v[12:13]
	v_lshrrev_b32_e32 v21, 3, v10
	v_sub_u32_e32 v12, 29, v26
	v_and_b32_e32 v24, 7, v24
	v_cmp_gt_u32_e32 vcc, 8, v10
	v_cndmask_b32_e32 v10, v21, v12, vcc
	v_cndmask_b32_e32 v12, v19, v24, vcc
	v_lshlrev_b32_e32 v19, 24, v13
	v_bfrev_b32_e32 v21, 60
	v_lshlrev_b32_e32 v12, 20, v12
	v_and_b32_e32 v19, 0x80000000, v19
	v_lshl_add_u32 v10, v10, 23, v21
	v_or3_b32 v21, v19, v10, v12
.LBB604_571:
	s_or_b64 exec, exec, s[10:11]
.LBB604_572:
	s_or_b64 exec, exec, s[8:9]
.LBB604_573:
	s_or_b64 exec, exec, s[2:3]
	v_lshrrev_b16_e32 v10, 8, v13
	v_cmp_ne_u16_e32 vcc, 0, v10
	v_mov_b32_e32 v12, 0
	v_mov_b32_e32 v24, 0
	s_and_saveexec_b64 s[2:3], vcc
	s_cbranch_execz .LBB604_579
; %bb.574:
	s_movk_i32 s7, 0x80
	v_cmp_ne_u16_e32 vcc, s7, v10
	v_bfrev_b32_e32 v24, 1
	s_and_saveexec_b64 s[8:9], vcc
	s_cbranch_execz .LBB604_578
; %bb.575:
	s_movk_i32 s7, 0x7f
	v_and_b32_e32 v19, 0x7f, v10
	v_cmp_ne_u32_e32 vcc, s7, v19
	v_mov_b32_e32 v24, 0x7f800001
	s_and_saveexec_b64 s[10:11], vcc
	s_cbranch_execz .LBB604_577
; %bb.576:
	v_and_b32_e32 v26, 7, v10
	v_ffbh_u32_e32 v24, v26
	v_min_u32_e32 v29, 32, v24
	v_subrev_u32_e32 v24, 28, v29
	v_lshlrev_b64 v[24:25], v24, v[10:11]
	v_lshrrev_b32_e32 v27, 3, v19
	v_sub_u32_e32 v10, 29, v29
	v_and_b32_e32 v24, 7, v24
	v_cmp_gt_u32_e32 vcc, 8, v19
	v_cndmask_b32_e32 v10, v27, v10, vcc
	v_cndmask_b32_e32 v19, v26, v24, vcc
	v_lshlrev_b32_e32 v24, 16, v13
	v_bfrev_b32_e32 v25, 60
	v_lshlrev_b32_e32 v19, 20, v19
	v_and_b32_e32 v24, 0x80000000, v24
	v_lshl_add_u32 v10, v10, 23, v25
	v_or3_b32 v24, v24, v10, v19
.LBB604_577:
	s_or_b64 exec, exec, s[10:11]
.LBB604_578:
	s_or_b64 exec, exec, s[8:9]
.LBB604_579:
	s_or_b64 exec, exec, s[2:3]
	s_movk_i32 s2, 0xff
	v_and_b32_sdwa v19, v13, s2 dst_sel:DWORD dst_unused:UNUSED_PAD src0_sel:WORD_1 src1_sel:DWORD
	v_lshrrev_b32_e32 v10, 16, v13
	v_cmp_ne_u16_e32 vcc, 0, v19
	s_and_saveexec_b64 s[2:3], vcc
	s_cbranch_execz .LBB604_585
; %bb.580:
	s_movk_i32 s7, 0x80
	v_cmp_ne_u16_e32 vcc, s7, v19
	v_bfrev_b32_e32 v12, 1
	s_and_saveexec_b64 s[8:9], vcc
	s_cbranch_execz .LBB604_584
; %bb.581:
	v_bfe_u32 v19, v13, 16, 7
	s_movk_i32 s7, 0x7f
	v_cmp_ne_u32_e32 vcc, s7, v19
	v_mov_b32_e32 v12, 0x7f800001
	s_and_saveexec_b64 s[10:11], vcc
	s_cbranch_execz .LBB604_583
; %bb.582:
	v_and_b32_e32 v12, 7, v10
	v_ffbh_u32_e32 v26, v12
	v_min_u32_e32 v29, 32, v26
	v_subrev_u32_e32 v26, 28, v29
	v_lshlrev_b64 v[26:27], v26, v[10:11]
	v_lshrrev_b32_e32 v25, 3, v19
	v_sub_u32_e32 v10, 29, v29
	v_and_b32_e32 v26, 7, v26
	v_cmp_gt_u32_e32 vcc, 8, v19
	v_mov_b32_e32 v19, 24
	v_cndmask_b32_e32 v10, v25, v10, vcc
	v_cndmask_b32_e32 v12, v12, v26, vcc
	v_lshlrev_b32_sdwa v19, v19, v13 dst_sel:DWORD dst_unused:UNUSED_PAD src0_sel:DWORD src1_sel:WORD_1
	v_bfrev_b32_e32 v25, 60
	v_lshlrev_b32_e32 v12, 20, v12
	v_and_b32_e32 v19, 0x80000000, v19
	v_lshl_add_u32 v10, v10, 23, v25
	v_or3_b32 v12, v19, v10, v12
.LBB604_583:
	s_or_b64 exec, exec, s[10:11]
.LBB604_584:
	s_or_b64 exec, exec, s[8:9]
.LBB604_585:
	s_or_b64 exec, exec, s[2:3]
	s_mov_b32 s2, 0xffffff
	v_cmp_lt_u32_e32 vcc, s2, v13
	v_mov_b32_e32 v19, 0
	v_mov_b32_e32 v25, 0
	s_and_saveexec_b64 s[2:3], vcc
	s_cbranch_execz .LBB604_591
; %bb.586:
	v_lshrrev_b32_e32 v10, 24, v13
	s_movk_i32 s7, 0x80
	v_cmp_ne_u32_e32 vcc, s7, v10
	v_bfrev_b32_e32 v25, 1
	s_and_saveexec_b64 s[8:9], vcc
	s_cbranch_execz .LBB604_590
; %bb.587:
	v_bfe_u32 v13, v13, 24, 7
	s_movk_i32 s7, 0x7f
	v_cmp_ne_u32_e32 vcc, s7, v13
	v_mov_b32_e32 v25, 0x7f800001
	s_and_saveexec_b64 s[10:11], vcc
	s_cbranch_execz .LBB604_589
; %bb.588:
	v_and_b32_e32 v25, 7, v10
	v_ffbh_u32_e32 v26, v25
	v_min_u32_e32 v30, 32, v26
	v_subrev_u32_e32 v26, 28, v30
	v_lshlrev_b64 v[26:27], v26, v[10:11]
	v_lshrrev_b32_e32 v29, 3, v13
	v_sub_u32_e32 v27, 29, v30
	v_and_b32_e32 v26, 7, v26
	v_cmp_gt_u32_e32 vcc, 8, v13
	v_cndmask_b32_e32 v13, v29, v27, vcc
	v_cndmask_b32_e32 v25, v25, v26, vcc
	v_lshlrev_b32_e32 v10, 24, v10
	v_bfrev_b32_e32 v26, 60
	v_lshlrev_b32_e32 v25, 20, v25
	v_and_b32_e32 v10, 0x80000000, v10
	v_lshl_add_u32 v13, v13, 23, v26
	v_or3_b32 v25, v10, v13, v25
.LBB604_589:
	s_or_b64 exec, exec, s[10:11]
.LBB604_590:
	s_or_b64 exec, exec, s[8:9]
.LBB604_591:
	s_or_b64 exec, exec, s[2:3]
	v_cvt_pkrtz_f16_f32 v10, v18, v20
	v_cvt_pkrtz_f16_f32 v11, v11, v23
	ds_read_b128 v[30:33], v22 offset:2064
	s_waitcnt vmcnt(1)
	v_cmp_ne_u16_sdwa s[8:9], v6, v19 src0_sel:BYTE_0 src1_sel:DWORD
	s_waitcnt lgkmcnt(0)
	v_mfma_f32_16x16x16f16 v[14:17], v[10:11], v[30:31], v[14:17]
	v_cvt_pkrtz_f16_f32 v10, v21, v24
	v_cvt_pkrtz_f16_f32 v11, v12, v25
	s_nop 1
	v_mfma_f32_16x16x16f16 v[10:13], v[10:11], v[32:33], v[14:17]
	s_and_saveexec_b64 s[2:3], s[8:9]
	s_cbranch_execz .LBB604_597
; %bb.592:
	s_movk_i32 s7, 0x80
	v_cmp_ne_u16_sdwa s[10:11], v6, s7 src0_sel:BYTE_0 src1_sel:DWORD
	v_bfrev_b32_e32 v19, 1
	s_and_saveexec_b64 s[8:9], s[10:11]
	s_cbranch_execz .LBB604_596
; %bb.593:
	s_movk_i32 s7, 0x7f
	v_and_b32_e32 v14, 0x7f, v6
	v_cmp_ne_u32_e32 vcc, s7, v14
	v_mov_b32_e32 v19, 0x7f800001
	s_and_saveexec_b64 s[10:11], vcc
	s_cbranch_execz .LBB604_595
; %bb.594:
	v_and_b32_e32 v15, 7, v6
	v_ffbh_u32_e32 v16, v15
	v_min_u32_e32 v19, 32, v16
	v_subrev_u32_e32 v16, 28, v19
	v_lshlrev_b64 v[16:17], v16, v[6:7]
	v_lshrrev_b32_e32 v18, 3, v14
	v_sub_u32_e32 v17, 29, v19
	v_and_b32_e32 v16, 7, v16
	v_cmp_gt_u32_e32 vcc, 8, v14
	v_cndmask_b32_e32 v14, v18, v17, vcc
	v_cndmask_b32_e32 v15, v15, v16, vcc
	v_lshlrev_b32_e32 v16, 24, v6
	v_bfrev_b32_e32 v17, 60
	v_lshlrev_b32_e32 v15, 20, v15
	v_and_b32_e32 v16, 0x80000000, v16
	v_lshl_add_u32 v14, v14, 23, v17
	v_or3_b32 v19, v16, v14, v15
.LBB604_595:
	s_or_b64 exec, exec, s[10:11]
.LBB604_596:
	s_or_b64 exec, exec, s[8:9]
.LBB604_597:
	s_or_b64 exec, exec, s[2:3]
	s_nop 3
	v_lshrrev_b16_e32 v14, 8, v6
	v_cmp_ne_u16_e32 vcc, 0, v14
	v_mov_b32_e32 v15, 0
	v_mov_b32_e32 v16, 0
	s_and_saveexec_b64 s[2:3], vcc
	s_cbranch_execz .LBB604_603
; %bb.598:
	s_movk_i32 s7, 0x80
	v_cmp_ne_u16_e32 vcc, s7, v14
	v_bfrev_b32_e32 v16, 1
	s_and_saveexec_b64 s[8:9], vcc
	s_cbranch_execz .LBB604_602
; %bb.599:
	s_movk_i32 s7, 0x7f
	v_and_b32_e32 v17, 0x7f, v14
	v_cmp_ne_u32_e32 vcc, s7, v17
	v_mov_b32_e32 v16, 0x7f800001
	s_and_saveexec_b64 s[10:11], vcc
	s_cbranch_execz .LBB604_601
; %bb.600:
	v_and_b32_e32 v16, 7, v14
	v_ffbh_u32_e32 v20, v16
	v_min_u32_e32 v23, 32, v20
	v_subrev_u32_e32 v20, 28, v23
	v_lshlrev_b64 v[20:21], v20, v[14:15]
	v_lshrrev_b32_e32 v18, 3, v17
	v_sub_u32_e32 v14, 29, v23
	v_and_b32_e32 v20, 7, v20
	v_cmp_gt_u32_e32 vcc, 8, v17
	v_cndmask_b32_e32 v14, v18, v14, vcc
	v_cndmask_b32_e32 v16, v16, v20, vcc
	v_lshlrev_b32_e32 v17, 16, v6
	v_bfrev_b32_e32 v18, 60
	v_lshlrev_b32_e32 v16, 20, v16
	v_and_b32_e32 v17, 0x80000000, v17
	v_lshl_add_u32 v14, v14, 23, v18
	v_or3_b32 v16, v17, v14, v16
.LBB604_601:
	s_or_b64 exec, exec, s[10:11]
.LBB604_602:
	s_or_b64 exec, exec, s[8:9]
.LBB604_603:
	s_or_b64 exec, exec, s[2:3]
	s_movk_i32 s2, 0xff
	v_and_b32_sdwa v17, v6, s2 dst_sel:DWORD dst_unused:UNUSED_PAD src0_sel:WORD_1 src1_sel:DWORD
	v_lshrrev_b32_e32 v14, 16, v6
	v_cmp_ne_u16_e32 vcc, 0, v17
	s_and_saveexec_b64 s[2:3], vcc
	s_cbranch_execz .LBB604_609
; %bb.604:
	s_movk_i32 s7, 0x80
	v_cmp_ne_u16_e32 vcc, s7, v17
	v_bfrev_b32_e32 v15, 1
	s_and_saveexec_b64 s[8:9], vcc
	s_cbranch_execz .LBB604_608
; %bb.605:
	v_bfe_u32 v17, v6, 16, 7
	s_movk_i32 s7, 0x7f
	v_cmp_ne_u32_e32 vcc, s7, v17
	v_mov_b32_e32 v15, 0x7f800001
	s_and_saveexec_b64 s[10:11], vcc
	s_cbranch_execz .LBB604_607
; %bb.606:
	v_and_b32_e32 v18, 7, v14
	v_ffbh_u32_e32 v15, v18
	v_min_u32_e32 v21, 32, v15
	v_subrev_u32_e32 v15, 28, v21
	v_lshlrev_b64 v[14:15], v15, v[14:15]
	v_lshrrev_b32_e32 v20, 3, v17
	v_sub_u32_e32 v15, 29, v21
	v_and_b32_e32 v14, 7, v14
	v_cmp_gt_u32_e32 vcc, 8, v17
	v_mov_b32_e32 v17, 24
	v_cndmask_b32_e32 v15, v20, v15, vcc
	v_cndmask_b32_e32 v14, v18, v14, vcc
	v_lshlrev_b32_sdwa v17, v17, v6 dst_sel:DWORD dst_unused:UNUSED_PAD src0_sel:DWORD src1_sel:WORD_1
	v_bfrev_b32_e32 v18, 60
	v_lshlrev_b32_e32 v14, 20, v14
	v_and_b32_e32 v17, 0x80000000, v17
	v_lshl_add_u32 v15, v15, 23, v18
	v_or3_b32 v15, v17, v15, v14
.LBB604_607:
	s_or_b64 exec, exec, s[10:11]
.LBB604_608:
	s_or_b64 exec, exec, s[8:9]
.LBB604_609:
	s_or_b64 exec, exec, s[2:3]
	s_mov_b32 s2, 0xffffff
	v_cmp_lt_u32_e32 vcc, s2, v6
	v_mov_b32_e32 v17, 0
	v_mov_b32_e32 v18, 0
	s_and_saveexec_b64 s[2:3], vcc
	s_cbranch_execz .LBB604_615
; %bb.610:
	v_lshrrev_b32_e32 v14, 24, v6
	s_movk_i32 s7, 0x80
	v_cmp_ne_u32_e32 vcc, s7, v14
	v_bfrev_b32_e32 v18, 1
	s_and_saveexec_b64 s[8:9], vcc
	s_cbranch_execz .LBB604_614
; %bb.611:
	v_bfe_u32 v6, v6, 24, 7
	s_movk_i32 s7, 0x7f
	v_cmp_ne_u32_e32 vcc, s7, v6
	v_mov_b32_e32 v18, 0x7f800001
	s_and_saveexec_b64 s[10:11], vcc
	s_cbranch_execz .LBB604_613
; %bb.612:
	v_and_b32_e32 v18, 7, v14
	v_ffbh_u32_e32 v20, v18
	v_min_u32_e32 v24, 32, v20
	v_subrev_u32_e32 v20, 28, v24
	v_lshlrev_b64 v[20:21], v20, v[14:15]
	v_lshrrev_b32_e32 v23, 3, v6
	v_sub_u32_e32 v21, 29, v24
	v_and_b32_e32 v20, 7, v20
	v_cmp_gt_u32_e32 vcc, 8, v6
	v_cndmask_b32_e32 v6, v23, v21, vcc
	v_cndmask_b32_e32 v18, v18, v20, vcc
	v_lshlrev_b32_e32 v14, 24, v14
	v_bfrev_b32_e32 v20, 60
	v_lshlrev_b32_e32 v18, 20, v18
	v_and_b32_e32 v14, 0x80000000, v14
	v_lshl_add_u32 v6, v6, 23, v20
	v_or3_b32 v18, v14, v6, v18
.LBB604_613:
	s_or_b64 exec, exec, s[10:11]
.LBB604_614:
	s_or_b64 exec, exec, s[8:9]
.LBB604_615:
	s_or_b64 exec, exec, s[2:3]
	v_cmp_ne_u16_sdwa s[8:9], v7, v17 src0_sel:BYTE_0 src1_sel:DWORD
	s_and_saveexec_b64 s[2:3], s[8:9]
	s_cbranch_execz .LBB604_621
; %bb.616:
	s_movk_i32 s7, 0x80
	v_cmp_ne_u16_sdwa s[10:11], v7, s7 src0_sel:BYTE_0 src1_sel:DWORD
	v_bfrev_b32_e32 v17, 1
	s_and_saveexec_b64 s[8:9], s[10:11]
	s_cbranch_execz .LBB604_620
; %bb.617:
	s_movk_i32 s7, 0x7f
	v_and_b32_e32 v6, 0x7f, v7
	v_cmp_ne_u32_e32 vcc, s7, v6
	v_mov_b32_e32 v17, 0x7f800001
	s_and_saveexec_b64 s[10:11], vcc
	s_cbranch_execz .LBB604_619
; %bb.618:
	v_and_b32_e32 v17, 7, v7
	v_ffbh_u32_e32 v20, v17
	v_min_u32_e32 v24, 32, v20
	v_mov_b32_e32 v14, v7
	v_subrev_u32_e32 v20, 28, v24
	v_lshlrev_b64 v[20:21], v20, v[14:15]
	v_lshrrev_b32_e32 v23, 3, v6
	v_sub_u32_e32 v14, 29, v24
	v_and_b32_e32 v20, 7, v20
	v_cmp_gt_u32_e32 vcc, 8, v6
	v_cndmask_b32_e32 v6, v23, v14, vcc
	v_cndmask_b32_e32 v14, v17, v20, vcc
	v_lshlrev_b32_e32 v17, 24, v7
	v_bfrev_b32_e32 v20, 60
	v_lshlrev_b32_e32 v14, 20, v14
	v_and_b32_e32 v17, 0x80000000, v17
	v_lshl_add_u32 v6, v6, 23, v20
	v_or3_b32 v17, v17, v6, v14
.LBB604_619:
	s_or_b64 exec, exec, s[10:11]
.LBB604_620:
	s_or_b64 exec, exec, s[8:9]
.LBB604_621:
	s_or_b64 exec, exec, s[2:3]
	v_lshrrev_b16_e32 v6, 8, v7
	v_cmp_ne_u16_e32 vcc, 0, v6
	v_mov_b32_e32 v20, 0
	v_mov_b32_e32 v21, 0
	s_and_saveexec_b64 s[2:3], vcc
	s_cbranch_execz .LBB604_627
; %bb.622:
	s_movk_i32 s7, 0x80
	v_cmp_ne_u16_e32 vcc, s7, v6
	v_bfrev_b32_e32 v21, 1
	s_and_saveexec_b64 s[8:9], vcc
	s_cbranch_execz .LBB604_626
; %bb.623:
	s_movk_i32 s7, 0x7f
	v_and_b32_e32 v14, 0x7f, v6
	v_cmp_ne_u32_e32 vcc, s7, v14
	v_mov_b32_e32 v21, 0x7f800001
	s_and_saveexec_b64 s[10:11], vcc
	s_cbranch_execz .LBB604_625
; %bb.624:
	v_and_b32_e32 v21, 7, v6
	v_ffbh_u32_e32 v24, v21
	v_min_u32_e32 v26, 32, v24
	v_subrev_u32_e32 v24, 28, v26
	v_lshlrev_b64 v[24:25], v24, v[6:7]
	v_lshrrev_b32_e32 v23, 3, v14
	v_sub_u32_e32 v6, 29, v26
	v_and_b32_e32 v24, 7, v24
	v_cmp_gt_u32_e32 vcc, 8, v14
	v_cndmask_b32_e32 v6, v23, v6, vcc
	v_cndmask_b32_e32 v14, v21, v24, vcc
	v_lshlrev_b32_e32 v21, 16, v7
	v_bfrev_b32_e32 v23, 60
	v_lshlrev_b32_e32 v14, 20, v14
	v_and_b32_e32 v21, 0x80000000, v21
	v_lshl_add_u32 v6, v6, 23, v23
	v_or3_b32 v21, v21, v6, v14
.LBB604_625:
	s_or_b64 exec, exec, s[10:11]
.LBB604_626:
	s_or_b64 exec, exec, s[8:9]
.LBB604_627:
	s_or_b64 exec, exec, s[2:3]
	s_movk_i32 s2, 0xff
	v_and_b32_sdwa v14, v7, s2 dst_sel:DWORD dst_unused:UNUSED_PAD src0_sel:WORD_1 src1_sel:DWORD
	v_lshrrev_b32_e32 v6, 16, v7
	v_cmp_ne_u16_e32 vcc, 0, v14
	s_and_saveexec_b64 s[2:3], vcc
	s_cbranch_execz .LBB604_633
; %bb.628:
	s_movk_i32 s7, 0x80
	v_cmp_ne_u16_e32 vcc, s7, v14
	v_bfrev_b32_e32 v20, 1
	s_and_saveexec_b64 s[8:9], vcc
	s_cbranch_execz .LBB604_632
; %bb.629:
	v_bfe_u32 v14, v7, 16, 7
	s_movk_i32 s7, 0x7f
	v_cmp_ne_u32_e32 vcc, s7, v14
	v_mov_b32_e32 v20, 0x7f800001
	s_and_saveexec_b64 s[10:11], vcc
	s_cbranch_execz .LBB604_631
; %bb.630:
	v_and_b32_e32 v20, 7, v6
	v_ffbh_u32_e32 v24, v20
	v_min_u32_e32 v26, 32, v24
	v_subrev_u32_e32 v24, 28, v26
	v_lshlrev_b64 v[24:25], v24, v[6:7]
	v_and_b32_e32 v24, 7, v24
	v_cmp_gt_u32_e32 vcc, 8, v14
	v_lshrrev_b32_e32 v23, 3, v14
	v_sub_u32_e32 v6, 29, v26
	v_cndmask_b32_e32 v14, v20, v24, vcc
	v_mov_b32_e32 v20, 24
	v_cndmask_b32_e32 v6, v23, v6, vcc
	v_lshlrev_b32_sdwa v20, v20, v7 dst_sel:DWORD dst_unused:UNUSED_PAD src0_sel:DWORD src1_sel:WORD_1
	v_bfrev_b32_e32 v23, 60
	v_lshlrev_b32_e32 v14, 20, v14
	v_and_b32_e32 v20, 0x80000000, v20
	v_lshl_add_u32 v6, v6, 23, v23
	v_or3_b32 v20, v20, v6, v14
.LBB604_631:
	s_or_b64 exec, exec, s[10:11]
.LBB604_632:
	s_or_b64 exec, exec, s[8:9]
.LBB604_633:
	s_or_b64 exec, exec, s[2:3]
	s_mov_b32 s2, 0xffffff
	v_cmp_lt_u32_e32 vcc, s2, v7
	v_mov_b32_e32 v14, 0
	v_mov_b32_e32 v23, 0
	s_and_saveexec_b64 s[2:3], vcc
	s_cbranch_execz .LBB604_639
; %bb.634:
	v_lshrrev_b32_e32 v6, 24, v7
	s_movk_i32 s7, 0x80
	v_cmp_ne_u32_e32 vcc, s7, v6
	v_bfrev_b32_e32 v23, 1
	s_and_saveexec_b64 s[8:9], vcc
	s_cbranch_execz .LBB604_638
; %bb.635:
	v_bfe_u32 v7, v7, 24, 7
	s_movk_i32 s7, 0x7f
	v_cmp_ne_u32_e32 vcc, s7, v7
	v_mov_b32_e32 v23, 0x7f800001
	s_and_saveexec_b64 s[10:11], vcc
	s_cbranch_execz .LBB604_637
; %bb.636:
	v_and_b32_e32 v23, 7, v6
	v_ffbh_u32_e32 v24, v23
	v_min_u32_e32 v27, 32, v24
	v_subrev_u32_e32 v24, 28, v27
	v_lshlrev_b64 v[24:25], v24, v[6:7]
	v_lshrrev_b32_e32 v26, 3, v7
	v_sub_u32_e32 v25, 29, v27
	v_and_b32_e32 v24, 7, v24
	v_cmp_gt_u32_e32 vcc, 8, v7
	v_cndmask_b32_e32 v7, v26, v25, vcc
	v_cndmask_b32_e32 v23, v23, v24, vcc
	v_lshlrev_b32_e32 v6, 24, v6
	v_bfrev_b32_e32 v24, 60
	v_lshlrev_b32_e32 v23, 20, v23
	v_and_b32_e32 v6, 0x80000000, v6
	v_lshl_add_u32 v7, v7, 23, v24
	v_or3_b32 v23, v6, v7, v23
.LBB604_637:
	s_or_b64 exec, exec, s[10:11]
.LBB604_638:
	s_or_b64 exec, exec, s[8:9]
.LBB604_639:
	s_or_b64 exec, exec, s[2:3]
	v_cvt_pkrtz_f16_f32 v6, v19, v16
	v_cvt_pkrtz_f16_f32 v7, v15, v18
	ds_read_b128 v[24:27], v22 offset:4096
	v_cmp_ne_u16_sdwa s[8:9], v8, v14 src0_sel:BYTE_0 src1_sel:DWORD
	s_waitcnt lgkmcnt(0)
	v_mfma_f32_16x16x16f16 v[10:13], v[6:7], v[24:25], v[10:13]
	v_cvt_pkrtz_f16_f32 v6, v17, v21
	v_cvt_pkrtz_f16_f32 v7, v20, v23
	s_nop 1
	v_mfma_f32_16x16x16f16 v[10:13], v[6:7], v[26:27], v[10:13]
	s_and_saveexec_b64 s[2:3], s[8:9]
	s_cbranch_execz .LBB604_645
; %bb.640:
	s_movk_i32 s7, 0x80
	v_cmp_ne_u16_sdwa s[10:11], v8, s7 src0_sel:BYTE_0 src1_sel:DWORD
	v_bfrev_b32_e32 v14, 1
	s_and_saveexec_b64 s[8:9], s[10:11]
	s_cbranch_execz .LBB604_644
; %bb.641:
	s_movk_i32 s7, 0x7f
	v_and_b32_e32 v6, 0x7f, v8
	v_cmp_ne_u32_e32 vcc, s7, v6
	v_mov_b32_e32 v14, 0x7f800001
	s_and_saveexec_b64 s[10:11], vcc
	s_cbranch_execz .LBB604_643
; %bb.642:
	v_and_b32_e32 v7, 7, v8
	v_ffbh_u32_e32 v14, v7
	v_min_u32_e32 v17, 32, v14
	v_subrev_u32_e32 v14, 28, v17
	v_lshlrev_b64 v[14:15], v14, v[8:9]
	v_lshrrev_b32_e32 v16, 3, v6
	v_sub_u32_e32 v15, 29, v17
	v_and_b32_e32 v14, 7, v14
	v_cmp_gt_u32_e32 vcc, 8, v6
	v_cndmask_b32_e32 v6, v16, v15, vcc
	v_cndmask_b32_e32 v7, v7, v14, vcc
	v_lshlrev_b32_e32 v14, 24, v8
	v_bfrev_b32_e32 v15, 60
	v_lshlrev_b32_e32 v7, 20, v7
	v_and_b32_e32 v14, 0x80000000, v14
	v_lshl_add_u32 v6, v6, 23, v15
	v_or3_b32 v14, v14, v6, v7
.LBB604_643:
	s_or_b64 exec, exec, s[10:11]
.LBB604_644:
	s_or_b64 exec, exec, s[8:9]
.LBB604_645:
	s_or_b64 exec, exec, s[2:3]
	v_lshrrev_b16_e32 v6, 8, v8
	v_cmp_ne_u16_e32 vcc, 0, v6
	v_mov_b32_e32 v7, 0
	v_mov_b32_e32 v16, 0
	s_and_saveexec_b64 s[2:3], vcc
	s_cbranch_execz .LBB604_651
; %bb.646:
	s_movk_i32 s7, 0x80
	v_cmp_ne_u16_e32 vcc, s7, v6
	v_bfrev_b32_e32 v16, 1
	s_and_saveexec_b64 s[8:9], vcc
	s_cbranch_execz .LBB604_650
; %bb.647:
	s_movk_i32 s7, 0x7f
	v_and_b32_e32 v15, 0x7f, v6
	v_cmp_ne_u32_e32 vcc, s7, v15
	v_mov_b32_e32 v16, 0x7f800001
	s_and_saveexec_b64 s[10:11], vcc
	s_cbranch_execz .LBB604_649
; %bb.648:
	v_and_b32_e32 v18, 7, v6
	v_ffbh_u32_e32 v16, v18
	v_min_u32_e32 v20, 32, v16
	v_subrev_u32_e32 v16, 28, v20
	v_lshlrev_b64 v[16:17], v16, v[6:7]
	v_lshrrev_b32_e32 v19, 3, v15
	v_sub_u32_e32 v6, 29, v20
	v_and_b32_e32 v16, 7, v16
	v_cmp_gt_u32_e32 vcc, 8, v15
	v_cndmask_b32_e32 v6, v19, v6, vcc
	v_cndmask_b32_e32 v15, v18, v16, vcc
	v_lshlrev_b32_e32 v16, 16, v8
	v_bfrev_b32_e32 v17, 60
	v_lshlrev_b32_e32 v15, 20, v15
	v_and_b32_e32 v16, 0x80000000, v16
	v_lshl_add_u32 v6, v6, 23, v17
	v_or3_b32 v16, v16, v6, v15
.LBB604_649:
	s_or_b64 exec, exec, s[10:11]
.LBB604_650:
	s_or_b64 exec, exec, s[8:9]
.LBB604_651:
	s_or_b64 exec, exec, s[2:3]
	s_movk_i32 s2, 0xff
	v_and_b32_sdwa v15, v8, s2 dst_sel:DWORD dst_unused:UNUSED_PAD src0_sel:WORD_1 src1_sel:DWORD
	v_lshrrev_b32_e32 v6, 16, v8
	v_cmp_ne_u16_e32 vcc, 0, v15
	s_and_saveexec_b64 s[2:3], vcc
	s_cbranch_execz .LBB604_657
; %bb.652:
	s_movk_i32 s7, 0x80
	v_cmp_ne_u16_e32 vcc, s7, v15
	v_bfrev_b32_e32 v7, 1
	s_and_saveexec_b64 s[8:9], vcc
	s_cbranch_execz .LBB604_656
; %bb.653:
	v_bfe_u32 v15, v8, 16, 7
	s_movk_i32 s7, 0x7f
	v_cmp_ne_u32_e32 vcc, s7, v15
	v_mov_b32_e32 v7, 0x7f800001
	s_and_saveexec_b64 s[10:11], vcc
	s_cbranch_execz .LBB604_655
; %bb.654:
	v_and_b32_e32 v17, 7, v6
	v_ffbh_u32_e32 v7, v17
	v_min_u32_e32 v19, 32, v7
	v_subrev_u32_e32 v7, 28, v19
	v_lshlrev_b64 v[6:7], v7, v[6:7]
	v_lshrrev_b32_e32 v18, 3, v15
	v_sub_u32_e32 v7, 29, v19
	v_and_b32_e32 v6, 7, v6
	v_cmp_gt_u32_e32 vcc, 8, v15
	v_mov_b32_e32 v15, 24
	v_cndmask_b32_e32 v7, v18, v7, vcc
	v_cndmask_b32_e32 v6, v17, v6, vcc
	v_lshlrev_b32_sdwa v15, v15, v8 dst_sel:DWORD dst_unused:UNUSED_PAD src0_sel:DWORD src1_sel:WORD_1
	v_bfrev_b32_e32 v17, 60
	v_lshlrev_b32_e32 v6, 20, v6
	v_and_b32_e32 v15, 0x80000000, v15
	v_lshl_add_u32 v7, v7, 23, v17
	v_or3_b32 v7, v15, v7, v6
.LBB604_655:
	s_or_b64 exec, exec, s[10:11]
.LBB604_656:
	s_or_b64 exec, exec, s[8:9]
.LBB604_657:
	s_or_b64 exec, exec, s[2:3]
	s_mov_b32 s2, 0xffffff
	v_cmp_lt_u32_e32 vcc, s2, v8
	v_mov_b32_e32 v17, 0
	v_mov_b32_e32 v18, 0
	s_and_saveexec_b64 s[2:3], vcc
	s_cbranch_execz .LBB604_663
; %bb.658:
	v_lshrrev_b32_e32 v6, 24, v8
	s_movk_i32 s7, 0x80
	v_cmp_ne_u32_e32 vcc, s7, v6
	v_bfrev_b32_e32 v18, 1
	s_and_saveexec_b64 s[8:9], vcc
	s_cbranch_execz .LBB604_662
; %bb.659:
	v_bfe_u32 v8, v8, 24, 7
	s_movk_i32 s7, 0x7f
	v_cmp_ne_u32_e32 vcc, s7, v8
	v_mov_b32_e32 v18, 0x7f800001
	s_and_saveexec_b64 s[10:11], vcc
	s_cbranch_execz .LBB604_661
; %bb.660:
	v_and_b32_e32 v15, 7, v6
	v_ffbh_u32_e32 v18, v15
	v_min_u32_e32 v21, 32, v18
	v_subrev_u32_e32 v18, 28, v21
	v_lshlrev_b64 v[18:19], v18, v[6:7]
	v_lshrrev_b32_e32 v20, 3, v8
	v_sub_u32_e32 v19, 29, v21
	v_and_b32_e32 v18, 7, v18
	v_cmp_gt_u32_e32 vcc, 8, v8
	v_cndmask_b32_e32 v8, v20, v19, vcc
	v_cndmask_b32_e32 v15, v15, v18, vcc
	v_lshlrev_b32_e32 v6, 24, v6
	v_bfrev_b32_e32 v18, 60
	v_lshlrev_b32_e32 v15, 20, v15
	v_and_b32_e32 v6, 0x80000000, v6
	v_lshl_add_u32 v8, v8, 23, v18
	v_or3_b32 v18, v6, v8, v15
.LBB604_661:
	s_or_b64 exec, exec, s[10:11]
.LBB604_662:
	s_or_b64 exec, exec, s[8:9]
.LBB604_663:
	s_or_b64 exec, exec, s[2:3]
	v_cmp_ne_u16_sdwa s[8:9], v9, v17 src0_sel:BYTE_0 src1_sel:DWORD
	s_and_saveexec_b64 s[2:3], s[8:9]
	s_cbranch_execz .LBB604_669
; %bb.664:
	s_movk_i32 s7, 0x80
	v_cmp_ne_u16_sdwa s[10:11], v9, s7 src0_sel:BYTE_0 src1_sel:DWORD
	v_bfrev_b32_e32 v17, 1
	s_and_saveexec_b64 s[8:9], s[10:11]
	s_cbranch_execz .LBB604_668
; %bb.665:
	s_movk_i32 s7, 0x7f
	v_and_b32_e32 v6, 0x7f, v9
	v_cmp_ne_u32_e32 vcc, s7, v6
	v_mov_b32_e32 v17, 0x7f800001
	s_and_saveexec_b64 s[10:11], vcc
	s_cbranch_execz .LBB604_667
; %bb.666:
	v_and_b32_e32 v15, 7, v9
	v_ffbh_u32_e32 v19, v15
	v_min_u32_e32 v19, 32, v19
	v_mov_b32_e32 v8, v9
	v_subrev_u32_e32 v20, 28, v19
	v_lshlrev_b64 v[20:21], v20, v[8:9]
	v_lshrrev_b32_e32 v17, 3, v6
	v_sub_u32_e32 v8, 29, v19
	v_and_b32_e32 v19, 7, v20
	v_cmp_gt_u32_e32 vcc, 8, v6
	v_cndmask_b32_e32 v6, v17, v8, vcc
	v_cndmask_b32_e32 v8, v15, v19, vcc
	v_lshlrev_b32_e32 v15, 24, v9
	v_bfrev_b32_e32 v17, 60
	v_lshlrev_b32_e32 v8, 20, v8
	v_and_b32_e32 v15, 0x80000000, v15
	v_lshl_add_u32 v6, v6, 23, v17
	v_or3_b32 v17, v15, v6, v8
.LBB604_667:
	s_or_b64 exec, exec, s[10:11]
.LBB604_668:
	s_or_b64 exec, exec, s[8:9]
.LBB604_669:
	s_or_b64 exec, exec, s[2:3]
	v_lshrrev_b16_e32 v6, 8, v9
	v_cmp_ne_u16_e32 vcc, 0, v6
	v_mov_b32_e32 v8, 0
	v_mov_b32_e32 v19, 0
	s_and_saveexec_b64 s[2:3], vcc
	s_cbranch_execz .LBB604_675
; %bb.670:
	s_movk_i32 s7, 0x80
	v_cmp_ne_u16_e32 vcc, s7, v6
	v_bfrev_b32_e32 v19, 1
	s_and_saveexec_b64 s[8:9], vcc
	s_cbranch_execz .LBB604_674
; %bb.671:
	s_movk_i32 s7, 0x7f
	v_and_b32_e32 v15, 0x7f, v6
	v_cmp_ne_u32_e32 vcc, s7, v15
	v_mov_b32_e32 v19, 0x7f800001
	s_and_saveexec_b64 s[10:11], vcc
	s_cbranch_execz .LBB604_673
; %bb.672:
	v_and_b32_e32 v19, 7, v6
	v_ffbh_u32_e32 v20, v19
	v_min_u32_e32 v24, 32, v20
	v_subrev_u32_e32 v20, 28, v24
	v_lshlrev_b64 v[20:21], v20, v[6:7]
	v_lshrrev_b32_e32 v23, 3, v15
	v_sub_u32_e32 v6, 29, v24
	v_and_b32_e32 v20, 7, v20
	v_cmp_gt_u32_e32 vcc, 8, v15
	v_cndmask_b32_e32 v6, v23, v6, vcc
	v_cndmask_b32_e32 v15, v19, v20, vcc
	v_lshlrev_b32_e32 v19, 16, v9
	v_bfrev_b32_e32 v20, 60
	v_lshlrev_b32_e32 v15, 20, v15
	v_and_b32_e32 v19, 0x80000000, v19
	v_lshl_add_u32 v6, v6, 23, v20
	v_or3_b32 v19, v19, v6, v15
.LBB604_673:
	s_or_b64 exec, exec, s[10:11]
.LBB604_674:
	s_or_b64 exec, exec, s[8:9]
.LBB604_675:
	s_or_b64 exec, exec, s[2:3]
	s_movk_i32 s2, 0xff
	v_and_b32_sdwa v15, v9, s2 dst_sel:DWORD dst_unused:UNUSED_PAD src0_sel:WORD_1 src1_sel:DWORD
	v_lshrrev_b32_e32 v6, 16, v9
	v_cmp_ne_u16_e32 vcc, 0, v15
	s_and_saveexec_b64 s[2:3], vcc
	s_cbranch_execz .LBB604_681
; %bb.676:
	s_movk_i32 s7, 0x80
	v_cmp_ne_u16_e32 vcc, s7, v15
	v_bfrev_b32_e32 v8, 1
	s_and_saveexec_b64 s[8:9], vcc
	s_cbranch_execz .LBB604_680
; %bb.677:
	v_bfe_u32 v15, v9, 16, 7
	s_movk_i32 s7, 0x7f
	v_cmp_ne_u32_e32 vcc, s7, v15
	v_mov_b32_e32 v8, 0x7f800001
	s_and_saveexec_b64 s[10:11], vcc
	s_cbranch_execz .LBB604_679
; %bb.678:
	v_and_b32_e32 v8, 7, v6
	v_ffbh_u32_e32 v20, v8
	v_min_u32_e32 v24, 32, v20
	v_subrev_u32_e32 v20, 28, v24
	v_lshlrev_b64 v[20:21], v20, v[6:7]
	v_lshrrev_b32_e32 v23, 3, v15
	v_sub_u32_e32 v6, 29, v24
	v_and_b32_e32 v20, 7, v20
	v_cmp_gt_u32_e32 vcc, 8, v15
	v_mov_b32_e32 v15, 24
	v_cndmask_b32_e32 v6, v23, v6, vcc
	v_cndmask_b32_e32 v8, v8, v20, vcc
	v_lshlrev_b32_sdwa v15, v15, v9 dst_sel:DWORD dst_unused:UNUSED_PAD src0_sel:DWORD src1_sel:WORD_1
	v_bfrev_b32_e32 v20, 60
	v_lshlrev_b32_e32 v8, 20, v8
	v_and_b32_e32 v15, 0x80000000, v15
	v_lshl_add_u32 v6, v6, 23, v20
	v_or3_b32 v8, v15, v6, v8
.LBB604_679:
	s_or_b64 exec, exec, s[10:11]
.LBB604_680:
	s_or_b64 exec, exec, s[8:9]
.LBB604_681:
	s_or_b64 exec, exec, s[2:3]
	s_mov_b32 s2, 0xffffff
	v_cmp_lt_u32_e32 vcc, s2, v9
	v_mov_b32_e32 v15, 0
	v_mov_b32_e32 v20, 0
	s_and_saveexec_b64 s[2:3], vcc
	s_cbranch_execz .LBB604_687
; %bb.682:
	v_lshrrev_b32_e32 v6, 24, v9
	s_movk_i32 s7, 0x80
	v_cmp_ne_u32_e32 vcc, s7, v6
	v_bfrev_b32_e32 v20, 1
	s_and_saveexec_b64 s[8:9], vcc
	s_cbranch_execz .LBB604_686
; %bb.683:
	v_bfe_u32 v9, v9, 24, 7
	s_movk_i32 s7, 0x7f
	v_cmp_ne_u32_e32 vcc, s7, v9
	v_mov_b32_e32 v20, 0x7f800001
	s_and_saveexec_b64 s[10:11], vcc
	s_cbranch_execz .LBB604_685
; %bb.684:
	v_and_b32_e32 v23, 7, v6
	v_ffbh_u32_e32 v20, v23
	v_min_u32_e32 v25, 32, v20
	v_subrev_u32_e32 v20, 28, v25
	v_lshlrev_b64 v[20:21], v20, v[6:7]
	v_lshrrev_b32_e32 v24, 3, v9
	v_sub_u32_e32 v21, 29, v25
	v_and_b32_e32 v20, 7, v20
	v_cmp_gt_u32_e32 vcc, 8, v9
	v_cndmask_b32_e32 v9, v24, v21, vcc
	v_cndmask_b32_e32 v20, v23, v20, vcc
	v_lshlrev_b32_e32 v6, 24, v6
	v_bfrev_b32_e32 v21, 60
	v_lshlrev_b32_e32 v20, 20, v20
	v_and_b32_e32 v6, 0x80000000, v6
	v_lshl_add_u32 v9, v9, 23, v21
	v_or3_b32 v20, v6, v9, v20
.LBB604_685:
	s_or_b64 exec, exec, s[10:11]
.LBB604_686:
	s_or_b64 exec, exec, s[8:9]
.LBB604_687:
	s_or_b64 exec, exec, s[2:3]
	v_cvt_pkrtz_f16_f32 v6, v14, v16
	v_cvt_pkrtz_f16_f32 v7, v7, v18
	ds_read_b128 v[24:27], v22 offset:4112
	s_waitcnt vmcnt(0)
	v_cmp_ne_u16_sdwa s[8:9], v2, v15 src0_sel:BYTE_0 src1_sel:DWORD
	s_waitcnt lgkmcnt(0)
	v_mfma_f32_16x16x16f16 v[10:13], v[6:7], v[24:25], v[10:13]
	v_cvt_pkrtz_f16_f32 v6, v17, v19
	v_cvt_pkrtz_f16_f32 v7, v8, v20
	s_nop 1
	v_mfma_f32_16x16x16f16 v[6:9], v[6:7], v[26:27], v[10:13]
	s_and_saveexec_b64 s[2:3], s[8:9]
	s_cbranch_execz .LBB604_693
; %bb.688:
	s_movk_i32 s7, 0x80
	v_cmp_ne_u16_sdwa s[10:11], v2, s7 src0_sel:BYTE_0 src1_sel:DWORD
	v_bfrev_b32_e32 v15, 1
	s_and_saveexec_b64 s[8:9], s[10:11]
	s_cbranch_execz .LBB604_692
; %bb.689:
	s_movk_i32 s7, 0x7f
	v_and_b32_e32 v10, 0x7f, v2
	v_cmp_ne_u32_e32 vcc, s7, v10
	v_mov_b32_e32 v15, 0x7f800001
	s_and_saveexec_b64 s[10:11], vcc
	s_cbranch_execz .LBB604_691
; %bb.690:
	v_and_b32_e32 v11, 7, v2
	v_ffbh_u32_e32 v12, v11
	v_min_u32_e32 v15, 32, v12
	v_subrev_u32_e32 v12, 28, v15
	v_lshlrev_b64 v[12:13], v12, v[2:3]
	v_lshrrev_b32_e32 v14, 3, v10
	v_sub_u32_e32 v13, 29, v15
	v_and_b32_e32 v12, 7, v12
	v_cmp_gt_u32_e32 vcc, 8, v10
	v_cndmask_b32_e32 v10, v14, v13, vcc
	v_cndmask_b32_e32 v11, v11, v12, vcc
	v_lshlrev_b32_e32 v12, 24, v2
	v_bfrev_b32_e32 v13, 60
	v_lshlrev_b32_e32 v11, 20, v11
	v_and_b32_e32 v12, 0x80000000, v12
	v_lshl_add_u32 v10, v10, 23, v13
	v_or3_b32 v15, v12, v10, v11
.LBB604_691:
	s_or_b64 exec, exec, s[10:11]
.LBB604_692:
	s_or_b64 exec, exec, s[8:9]
.LBB604_693:
	s_or_b64 exec, exec, s[2:3]
	s_nop 3
	v_lshrrev_b16_e32 v10, 8, v2
	v_cmp_ne_u16_e32 vcc, 0, v10
	v_mov_b32_e32 v11, 0
	v_mov_b32_e32 v12, 0
	s_and_saveexec_b64 s[2:3], vcc
	s_cbranch_execz .LBB604_699
; %bb.694:
	s_movk_i32 s7, 0x80
	v_cmp_ne_u16_e32 vcc, s7, v10
	v_bfrev_b32_e32 v12, 1
	s_and_saveexec_b64 s[8:9], vcc
	s_cbranch_execz .LBB604_698
; %bb.695:
	s_movk_i32 s7, 0x7f
	v_and_b32_e32 v13, 0x7f, v10
	v_cmp_ne_u32_e32 vcc, s7, v13
	v_mov_b32_e32 v12, 0x7f800001
	s_and_saveexec_b64 s[10:11], vcc
	s_cbranch_execz .LBB604_697
; %bb.696:
	v_and_b32_e32 v12, 7, v10
	v_ffbh_u32_e32 v16, v12
	v_min_u32_e32 v18, 32, v16
	v_subrev_u32_e32 v16, 28, v18
	v_lshlrev_b64 v[16:17], v16, v[10:11]
	v_lshrrev_b32_e32 v14, 3, v13
	v_sub_u32_e32 v10, 29, v18
	v_and_b32_e32 v16, 7, v16
	v_cmp_gt_u32_e32 vcc, 8, v13
	v_cndmask_b32_e32 v10, v14, v10, vcc
	v_cndmask_b32_e32 v12, v12, v16, vcc
	v_lshlrev_b32_e32 v13, 16, v2
	v_bfrev_b32_e32 v14, 60
	v_lshlrev_b32_e32 v12, 20, v12
	v_and_b32_e32 v13, 0x80000000, v13
	v_lshl_add_u32 v10, v10, 23, v14
	v_or3_b32 v12, v13, v10, v12
.LBB604_697:
	s_or_b64 exec, exec, s[10:11]
.LBB604_698:
	s_or_b64 exec, exec, s[8:9]
.LBB604_699:
	s_or_b64 exec, exec, s[2:3]
	s_movk_i32 s2, 0xff
	v_and_b32_sdwa v13, v2, s2 dst_sel:DWORD dst_unused:UNUSED_PAD src0_sel:WORD_1 src1_sel:DWORD
	v_lshrrev_b32_e32 v10, 16, v2
	v_cmp_ne_u16_e32 vcc, 0, v13
	s_and_saveexec_b64 s[2:3], vcc
	s_cbranch_execz .LBB604_705
; %bb.700:
	s_movk_i32 s7, 0x80
	v_cmp_ne_u16_e32 vcc, s7, v13
	v_bfrev_b32_e32 v11, 1
	s_and_saveexec_b64 s[8:9], vcc
	s_cbranch_execz .LBB604_704
; %bb.701:
	v_bfe_u32 v13, v2, 16, 7
	s_movk_i32 s7, 0x7f
	v_cmp_ne_u32_e32 vcc, s7, v13
	v_mov_b32_e32 v11, 0x7f800001
	s_and_saveexec_b64 s[10:11], vcc
	s_cbranch_execz .LBB604_703
; %bb.702:
	v_and_b32_e32 v14, 7, v10
	v_ffbh_u32_e32 v11, v14
	v_min_u32_e32 v17, 32, v11
	v_subrev_u32_e32 v11, 28, v17
	v_lshlrev_b64 v[10:11], v11, v[10:11]
	v_lshrrev_b32_e32 v16, 3, v13
	v_sub_u32_e32 v11, 29, v17
	v_and_b32_e32 v10, 7, v10
	v_cmp_gt_u32_e32 vcc, 8, v13
	v_mov_b32_e32 v13, 24
	v_cndmask_b32_e32 v11, v16, v11, vcc
	v_cndmask_b32_e32 v10, v14, v10, vcc
	v_lshlrev_b32_sdwa v13, v13, v2 dst_sel:DWORD dst_unused:UNUSED_PAD src0_sel:DWORD src1_sel:WORD_1
	v_bfrev_b32_e32 v14, 60
	v_lshlrev_b32_e32 v10, 20, v10
	v_and_b32_e32 v13, 0x80000000, v13
	v_lshl_add_u32 v11, v11, 23, v14
	v_or3_b32 v11, v13, v11, v10
.LBB604_703:
	s_or_b64 exec, exec, s[10:11]
.LBB604_704:
	s_or_b64 exec, exec, s[8:9]
.LBB604_705:
	s_or_b64 exec, exec, s[2:3]
	s_mov_b32 s2, 0xffffff
	v_cmp_lt_u32_e32 vcc, s2, v2
	v_mov_b32_e32 v13, 0
	v_mov_b32_e32 v14, 0
	s_and_saveexec_b64 s[2:3], vcc
	s_cbranch_execz .LBB604_711
; %bb.706:
	v_lshrrev_b32_e32 v10, 24, v2
	s_movk_i32 s7, 0x80
	v_cmp_ne_u32_e32 vcc, s7, v10
	v_bfrev_b32_e32 v14, 1
	s_and_saveexec_b64 s[8:9], vcc
	s_cbranch_execz .LBB604_710
; %bb.707:
	v_bfe_u32 v2, v2, 24, 7
	s_movk_i32 s7, 0x7f
	v_cmp_ne_u32_e32 vcc, s7, v2
	v_mov_b32_e32 v14, 0x7f800001
	s_and_saveexec_b64 s[10:11], vcc
	s_cbranch_execz .LBB604_709
; %bb.708:
	v_and_b32_e32 v14, 7, v10
	v_ffbh_u32_e32 v16, v14
	v_min_u32_e32 v19, 32, v16
	v_subrev_u32_e32 v16, 28, v19
	v_lshlrev_b64 v[16:17], v16, v[10:11]
	v_lshrrev_b32_e32 v18, 3, v2
	v_sub_u32_e32 v17, 29, v19
	v_and_b32_e32 v16, 7, v16
	v_cmp_gt_u32_e32 vcc, 8, v2
	v_cndmask_b32_e32 v2, v18, v17, vcc
	v_cndmask_b32_e32 v14, v14, v16, vcc
	v_lshlrev_b32_e32 v10, 24, v10
	v_bfrev_b32_e32 v16, 60
	v_lshlrev_b32_e32 v14, 20, v14
	v_and_b32_e32 v10, 0x80000000, v10
	v_lshl_add_u32 v2, v2, 23, v16
	v_or3_b32 v14, v10, v2, v14
.LBB604_709:
	s_or_b64 exec, exec, s[10:11]
.LBB604_710:
	s_or_b64 exec, exec, s[8:9]
.LBB604_711:
	s_or_b64 exec, exec, s[2:3]
	v_cmp_ne_u16_sdwa s[8:9], v3, v13 src0_sel:BYTE_0 src1_sel:DWORD
	s_and_saveexec_b64 s[2:3], s[8:9]
	s_cbranch_execz .LBB604_717
; %bb.712:
	s_movk_i32 s7, 0x80
	v_cmp_ne_u16_sdwa s[10:11], v3, s7 src0_sel:BYTE_0 src1_sel:DWORD
	v_bfrev_b32_e32 v13, 1
	s_and_saveexec_b64 s[8:9], s[10:11]
	s_cbranch_execz .LBB604_716
; %bb.713:
	s_movk_i32 s7, 0x7f
	v_and_b32_e32 v2, 0x7f, v3
	v_cmp_ne_u32_e32 vcc, s7, v2
	v_mov_b32_e32 v13, 0x7f800001
	s_and_saveexec_b64 s[10:11], vcc
	s_cbranch_execz .LBB604_715
; %bb.714:
	v_and_b32_e32 v13, 7, v3
	v_ffbh_u32_e32 v16, v13
	v_min_u32_e32 v19, 32, v16
	v_mov_b32_e32 v10, v3
	v_subrev_u32_e32 v16, 28, v19
	v_lshlrev_b64 v[16:17], v16, v[10:11]
	v_lshrrev_b32_e32 v18, 3, v2
	v_sub_u32_e32 v10, 29, v19
	v_and_b32_e32 v16, 7, v16
	v_cmp_gt_u32_e32 vcc, 8, v2
	v_cndmask_b32_e32 v2, v18, v10, vcc
	v_cndmask_b32_e32 v10, v13, v16, vcc
	v_lshlrev_b32_e32 v13, 24, v3
	v_bfrev_b32_e32 v16, 60
	v_lshlrev_b32_e32 v10, 20, v10
	v_and_b32_e32 v13, 0x80000000, v13
	v_lshl_add_u32 v2, v2, 23, v16
	v_or3_b32 v13, v13, v2, v10
.LBB604_715:
	s_or_b64 exec, exec, s[10:11]
.LBB604_716:
	s_or_b64 exec, exec, s[8:9]
.LBB604_717:
	s_or_b64 exec, exec, s[2:3]
	v_lshrrev_b16_e32 v2, 8, v3
	v_cmp_ne_u16_e32 vcc, 0, v2
	v_mov_b32_e32 v16, 0
	v_mov_b32_e32 v17, 0
	s_and_saveexec_b64 s[2:3], vcc
	s_cbranch_execz .LBB604_723
; %bb.718:
	s_movk_i32 s7, 0x80
	v_cmp_ne_u16_e32 vcc, s7, v2
	v_bfrev_b32_e32 v17, 1
	s_and_saveexec_b64 s[8:9], vcc
	s_cbranch_execz .LBB604_722
; %bb.719:
	s_movk_i32 s7, 0x7f
	v_and_b32_e32 v10, 0x7f, v2
	v_cmp_ne_u32_e32 vcc, s7, v10
	v_mov_b32_e32 v17, 0x7f800001
	s_and_saveexec_b64 s[10:11], vcc
	s_cbranch_execz .LBB604_721
; %bb.720:
	v_and_b32_e32 v17, 7, v2
	v_ffbh_u32_e32 v18, v17
	v_min_u32_e32 v21, 32, v18
	v_subrev_u32_e32 v18, 28, v21
	v_lshlrev_b64 v[18:19], v18, v[2:3]
	v_lshrrev_b32_e32 v20, 3, v10
	v_sub_u32_e32 v2, 29, v21
	v_and_b32_e32 v18, 7, v18
	v_cmp_gt_u32_e32 vcc, 8, v10
	v_cndmask_b32_e32 v2, v20, v2, vcc
	v_cndmask_b32_e32 v10, v17, v18, vcc
	v_lshlrev_b32_e32 v17, 16, v3
	v_bfrev_b32_e32 v18, 60
	v_lshlrev_b32_e32 v10, 20, v10
	v_and_b32_e32 v17, 0x80000000, v17
	v_lshl_add_u32 v2, v2, 23, v18
	v_or3_b32 v17, v17, v2, v10
.LBB604_721:
	s_or_b64 exec, exec, s[10:11]
.LBB604_722:
	s_or_b64 exec, exec, s[8:9]
.LBB604_723:
	s_or_b64 exec, exec, s[2:3]
	s_movk_i32 s2, 0xff
	v_and_b32_sdwa v10, v3, s2 dst_sel:DWORD dst_unused:UNUSED_PAD src0_sel:WORD_1 src1_sel:DWORD
	v_lshrrev_b32_e32 v2, 16, v3
	v_cmp_ne_u16_e32 vcc, 0, v10
	s_and_saveexec_b64 s[2:3], vcc
	s_cbranch_execz .LBB604_729
; %bb.724:
	s_movk_i32 s7, 0x80
	v_cmp_ne_u16_e32 vcc, s7, v10
	v_bfrev_b32_e32 v16, 1
	s_and_saveexec_b64 s[8:9], vcc
	s_cbranch_execz .LBB604_728
; %bb.725:
	v_bfe_u32 v10, v3, 16, 7
	s_movk_i32 s7, 0x7f
	v_cmp_ne_u32_e32 vcc, s7, v10
	v_mov_b32_e32 v16, 0x7f800001
	s_and_saveexec_b64 s[10:11], vcc
	s_cbranch_execz .LBB604_727
; %bb.726:
	v_and_b32_e32 v16, 7, v2
	v_ffbh_u32_e32 v18, v16
	v_min_u32_e32 v21, 32, v18
	v_subrev_u32_e32 v18, 28, v21
	v_lshlrev_b64 v[18:19], v18, v[2:3]
	v_and_b32_e32 v18, 7, v18
	v_cmp_gt_u32_e32 vcc, 8, v10
	v_lshrrev_b32_e32 v20, 3, v10
	v_sub_u32_e32 v2, 29, v21
	v_cndmask_b32_e32 v10, v16, v18, vcc
	v_mov_b32_e32 v16, 24
	v_cndmask_b32_e32 v2, v20, v2, vcc
	v_lshlrev_b32_sdwa v16, v16, v3 dst_sel:DWORD dst_unused:UNUSED_PAD src0_sel:DWORD src1_sel:WORD_1
	v_bfrev_b32_e32 v18, 60
	v_lshlrev_b32_e32 v10, 20, v10
	v_and_b32_e32 v16, 0x80000000, v16
	v_lshl_add_u32 v2, v2, 23, v18
	v_or3_b32 v16, v16, v2, v10
.LBB604_727:
	s_or_b64 exec, exec, s[10:11]
.LBB604_728:
	s_or_b64 exec, exec, s[8:9]
.LBB604_729:
	s_or_b64 exec, exec, s[2:3]
	s_mov_b32 s2, 0xffffff
	v_cmp_lt_u32_e32 vcc, s2, v3
	v_mov_b32_e32 v10, 0
	v_mov_b32_e32 v18, 0
	s_and_saveexec_b64 s[2:3], vcc
	s_cbranch_execz .LBB604_735
; %bb.730:
	v_lshrrev_b32_e32 v2, 24, v3
	s_movk_i32 s7, 0x80
	v_cmp_ne_u32_e32 vcc, s7, v2
	v_bfrev_b32_e32 v18, 1
	s_and_saveexec_b64 s[8:9], vcc
	s_cbranch_execz .LBB604_734
; %bb.731:
	v_bfe_u32 v3, v3, 24, 7
	s_movk_i32 s7, 0x7f
	v_cmp_ne_u32_e32 vcc, s7, v3
	v_mov_b32_e32 v18, 0x7f800001
	s_and_saveexec_b64 s[10:11], vcc
	s_cbranch_execz .LBB604_733
; %bb.732:
	v_and_b32_e32 v20, 7, v2
	v_ffbh_u32_e32 v18, v20
	v_min_u32_e32 v23, 32, v18
	v_subrev_u32_e32 v18, 28, v23
	v_lshlrev_b64 v[18:19], v18, v[2:3]
	v_lshrrev_b32_e32 v21, 3, v3
	v_sub_u32_e32 v19, 29, v23
	v_and_b32_e32 v18, 7, v18
	v_cmp_gt_u32_e32 vcc, 8, v3
	v_cndmask_b32_e32 v3, v21, v19, vcc
	v_cndmask_b32_e32 v18, v20, v18, vcc
	v_lshlrev_b32_e32 v2, 24, v2
	v_bfrev_b32_e32 v19, 60
	v_lshlrev_b32_e32 v18, 20, v18
	v_and_b32_e32 v2, 0x80000000, v2
	v_lshl_add_u32 v3, v3, 23, v19
	v_or3_b32 v18, v2, v3, v18
.LBB604_733:
	s_or_b64 exec, exec, s[10:11]
.LBB604_734:
	s_or_b64 exec, exec, s[8:9]
.LBB604_735:
	s_or_b64 exec, exec, s[2:3]
	v_cvt_pkrtz_f16_f32 v2, v15, v12
	v_cvt_pkrtz_f16_f32 v3, v11, v14
	ds_read_b128 v[24:27], v22 offset:6144
	v_cmp_ne_u16_sdwa s[8:9], v4, v10 src0_sel:BYTE_0 src1_sel:DWORD
	s_waitcnt lgkmcnt(0)
	v_mfma_f32_16x16x16f16 v[6:9], v[2:3], v[24:25], v[6:9]
	v_cvt_pkrtz_f16_f32 v2, v13, v17
	v_cvt_pkrtz_f16_f32 v3, v16, v18
	s_nop 1
	v_mfma_f32_16x16x16f16 v[6:9], v[2:3], v[26:27], v[6:9]
	s_and_saveexec_b64 s[2:3], s[8:9]
	s_cbranch_execz .LBB604_741
; %bb.736:
	s_movk_i32 s7, 0x80
	v_cmp_ne_u16_sdwa s[10:11], v4, s7 src0_sel:BYTE_0 src1_sel:DWORD
	v_bfrev_b32_e32 v10, 1
	s_and_saveexec_b64 s[8:9], s[10:11]
	s_cbranch_execz .LBB604_740
; %bb.737:
	s_movk_i32 s7, 0x7f
	v_and_b32_e32 v2, 0x7f, v4
	v_cmp_ne_u32_e32 vcc, s7, v2
	v_mov_b32_e32 v10, 0x7f800001
	s_and_saveexec_b64 s[10:11], vcc
	s_cbranch_execz .LBB604_739
; %bb.738:
	v_and_b32_e32 v3, 7, v4
	v_ffbh_u32_e32 v10, v3
	v_min_u32_e32 v13, 32, v10
	v_subrev_u32_e32 v10, 28, v13
	v_lshlrev_b64 v[10:11], v10, v[4:5]
	v_lshrrev_b32_e32 v12, 3, v2
	v_sub_u32_e32 v11, 29, v13
	v_and_b32_e32 v10, 7, v10
	v_cmp_gt_u32_e32 vcc, 8, v2
	v_cndmask_b32_e32 v2, v12, v11, vcc
	v_cndmask_b32_e32 v3, v3, v10, vcc
	v_lshlrev_b32_e32 v10, 24, v4
	v_bfrev_b32_e32 v11, 60
	v_lshlrev_b32_e32 v3, 20, v3
	v_and_b32_e32 v10, 0x80000000, v10
	v_lshl_add_u32 v2, v2, 23, v11
	v_or3_b32 v10, v10, v2, v3
.LBB604_739:
	s_or_b64 exec, exec, s[10:11]
.LBB604_740:
	s_or_b64 exec, exec, s[8:9]
.LBB604_741:
	s_or_b64 exec, exec, s[2:3]
	v_lshrrev_b16_e32 v2, 8, v4
	v_cmp_ne_u16_e32 vcc, 0, v2
	v_mov_b32_e32 v3, 0
	v_mov_b32_e32 v11, 0
	s_and_saveexec_b64 s[2:3], vcc
	s_cbranch_execz .LBB604_747
; %bb.742:
	s_movk_i32 s7, 0x80
	v_cmp_ne_u16_e32 vcc, s7, v2
	v_bfrev_b32_e32 v11, 1
	s_and_saveexec_b64 s[8:9], vcc
	s_cbranch_execz .LBB604_746
; %bb.743:
	s_movk_i32 s7, 0x7f
	v_and_b32_e32 v12, 0x7f, v2
	v_cmp_ne_u32_e32 vcc, s7, v12
	v_mov_b32_e32 v11, 0x7f800001
	s_and_saveexec_b64 s[10:11], vcc
	s_cbranch_execz .LBB604_745
; %bb.744:
	v_and_b32_e32 v11, 7, v2
	v_ffbh_u32_e32 v14, v11
	v_min_u32_e32 v16, 32, v14
	v_subrev_u32_e32 v14, 28, v16
	v_lshlrev_b64 v[14:15], v14, v[2:3]
	v_lshrrev_b32_e32 v13, 3, v12
	v_sub_u32_e32 v2, 29, v16
	v_and_b32_e32 v14, 7, v14
	v_cmp_gt_u32_e32 vcc, 8, v12
	v_cndmask_b32_e32 v2, v13, v2, vcc
	v_cndmask_b32_e32 v11, v11, v14, vcc
	v_lshlrev_b32_e32 v12, 16, v4
	v_bfrev_b32_e32 v13, 60
	v_lshlrev_b32_e32 v11, 20, v11
	v_and_b32_e32 v12, 0x80000000, v12
	v_lshl_add_u32 v2, v2, 23, v13
	v_or3_b32 v11, v12, v2, v11
.LBB604_745:
	s_or_b64 exec, exec, s[10:11]
.LBB604_746:
	s_or_b64 exec, exec, s[8:9]
.LBB604_747:
	s_or_b64 exec, exec, s[2:3]
	s_movk_i32 s2, 0xff
	v_and_b32_sdwa v12, v4, s2 dst_sel:DWORD dst_unused:UNUSED_PAD src0_sel:WORD_1 src1_sel:DWORD
	v_lshrrev_b32_e32 v2, 16, v4
	v_cmp_ne_u16_e32 vcc, 0, v12
	s_and_saveexec_b64 s[2:3], vcc
	s_cbranch_execz .LBB604_753
; %bb.748:
	s_movk_i32 s7, 0x80
	v_cmp_ne_u16_e32 vcc, s7, v12
	v_bfrev_b32_e32 v3, 1
	s_and_saveexec_b64 s[8:9], vcc
	s_cbranch_execz .LBB604_752
; %bb.749:
	v_bfe_u32 v12, v4, 16, 7
	s_movk_i32 s7, 0x7f
	v_cmp_ne_u32_e32 vcc, s7, v12
	v_mov_b32_e32 v3, 0x7f800001
	s_and_saveexec_b64 s[10:11], vcc
	s_cbranch_execz .LBB604_751
; %bb.750:
	v_and_b32_e32 v13, 7, v2
	v_ffbh_u32_e32 v3, v13
	v_min_u32_e32 v15, 32, v3
	v_subrev_u32_e32 v3, 28, v15
	v_lshlrev_b64 v[2:3], v3, v[2:3]
	v_lshrrev_b32_e32 v14, 3, v12
	v_sub_u32_e32 v3, 29, v15
	v_and_b32_e32 v2, 7, v2
	v_cmp_gt_u32_e32 vcc, 8, v12
	v_mov_b32_e32 v12, 24
	v_cndmask_b32_e32 v3, v14, v3, vcc
	v_cndmask_b32_e32 v2, v13, v2, vcc
	v_lshlrev_b32_sdwa v12, v12, v4 dst_sel:DWORD dst_unused:UNUSED_PAD src0_sel:DWORD src1_sel:WORD_1
	v_bfrev_b32_e32 v13, 60
	v_lshlrev_b32_e32 v2, 20, v2
	v_and_b32_e32 v12, 0x80000000, v12
	v_lshl_add_u32 v3, v3, 23, v13
	v_or3_b32 v3, v12, v3, v2
.LBB604_751:
	s_or_b64 exec, exec, s[10:11]
.LBB604_752:
	s_or_b64 exec, exec, s[8:9]
.LBB604_753:
	s_or_b64 exec, exec, s[2:3]
	s_mov_b32 s2, 0xffffff
	v_cmp_lt_u32_e32 vcc, s2, v4
	v_mov_b32_e32 v12, 0
	v_mov_b32_e32 v13, 0
	s_and_saveexec_b64 s[2:3], vcc
	s_cbranch_execz .LBB604_759
; %bb.754:
	v_lshrrev_b32_e32 v2, 24, v4
	s_movk_i32 s7, 0x80
	v_cmp_ne_u32_e32 vcc, s7, v2
	v_bfrev_b32_e32 v13, 1
	s_and_saveexec_b64 s[8:9], vcc
	s_cbranch_execz .LBB604_758
; %bb.755:
	v_bfe_u32 v4, v4, 24, 7
	s_movk_i32 s7, 0x7f
	v_cmp_ne_u32_e32 vcc, s7, v4
	v_mov_b32_e32 v13, 0x7f800001
	s_and_saveexec_b64 s[10:11], vcc
	s_cbranch_execz .LBB604_757
; %bb.756:
	v_and_b32_e32 v13, 7, v2
	v_ffbh_u32_e32 v14, v13
	v_min_u32_e32 v17, 32, v14
	v_subrev_u32_e32 v14, 28, v17
	v_lshlrev_b64 v[14:15], v14, v[2:3]
	v_lshrrev_b32_e32 v16, 3, v4
	v_sub_u32_e32 v15, 29, v17
	v_and_b32_e32 v14, 7, v14
	v_cmp_gt_u32_e32 vcc, 8, v4
	v_cndmask_b32_e32 v4, v16, v15, vcc
	v_cndmask_b32_e32 v13, v13, v14, vcc
	v_lshlrev_b32_e32 v2, 24, v2
	v_bfrev_b32_e32 v14, 60
	v_lshlrev_b32_e32 v13, 20, v13
	v_and_b32_e32 v2, 0x80000000, v2
	v_lshl_add_u32 v4, v4, 23, v14
	v_or3_b32 v13, v2, v4, v13
.LBB604_757:
	s_or_b64 exec, exec, s[10:11]
.LBB604_758:
	s_or_b64 exec, exec, s[8:9]
.LBB604_759:
	s_or_b64 exec, exec, s[2:3]
	v_cmp_ne_u16_sdwa s[8:9], v5, v12 src0_sel:BYTE_0 src1_sel:DWORD
	s_and_saveexec_b64 s[2:3], s[8:9]
	s_cbranch_execz .LBB604_765
; %bb.760:
	s_movk_i32 s7, 0x80
	v_cmp_ne_u16_sdwa s[10:11], v5, s7 src0_sel:BYTE_0 src1_sel:DWORD
	v_bfrev_b32_e32 v12, 1
	s_and_saveexec_b64 s[8:9], s[10:11]
	s_cbranch_execz .LBB604_764
; %bb.761:
	s_movk_i32 s7, 0x7f
	v_and_b32_e32 v2, 0x7f, v5
	v_cmp_ne_u32_e32 vcc, s7, v2
	v_mov_b32_e32 v12, 0x7f800001
	s_and_saveexec_b64 s[10:11], vcc
	s_cbranch_execz .LBB604_763
; %bb.762:
	v_and_b32_e32 v12, 7, v5
	v_ffbh_u32_e32 v14, v12
	v_min_u32_e32 v17, 32, v14
	v_mov_b32_e32 v4, v5
	v_subrev_u32_e32 v14, 28, v17
	v_lshlrev_b64 v[14:15], v14, v[4:5]
	v_lshrrev_b32_e32 v16, 3, v2
	v_sub_u32_e32 v4, 29, v17
	v_and_b32_e32 v14, 7, v14
	v_cmp_gt_u32_e32 vcc, 8, v2
	v_cndmask_b32_e32 v2, v16, v4, vcc
	v_cndmask_b32_e32 v4, v12, v14, vcc
	v_lshlrev_b32_e32 v12, 24, v5
	v_bfrev_b32_e32 v14, 60
	v_lshlrev_b32_e32 v4, 20, v4
	v_and_b32_e32 v12, 0x80000000, v12
	v_lshl_add_u32 v2, v2, 23, v14
	v_or3_b32 v12, v12, v2, v4
.LBB604_763:
	s_or_b64 exec, exec, s[10:11]
.LBB604_764:
	s_or_b64 exec, exec, s[8:9]
.LBB604_765:
	s_or_b64 exec, exec, s[2:3]
	v_lshrrev_b16_e32 v2, 8, v5
	v_cmp_ne_u16_e32 vcc, 0, v2
	v_mov_b32_e32 v4, 0
	v_mov_b32_e32 v14, 0
	s_and_saveexec_b64 s[2:3], vcc
	s_cbranch_execz .LBB604_771
; %bb.766:
	s_movk_i32 s7, 0x80
	v_cmp_ne_u16_e32 vcc, s7, v2
	v_bfrev_b32_e32 v14, 1
	s_and_saveexec_b64 s[8:9], vcc
	s_cbranch_execz .LBB604_770
; %bb.767:
	s_movk_i32 s7, 0x7f
	v_and_b32_e32 v15, 0x7f, v2
	v_cmp_ne_u32_e32 vcc, s7, v15
	v_mov_b32_e32 v14, 0x7f800001
	s_and_saveexec_b64 s[10:11], vcc
	s_cbranch_execz .LBB604_769
; %bb.768:
	v_and_b32_e32 v14, 7, v2
	v_ffbh_u32_e32 v16, v14
	v_min_u32_e32 v19, 32, v16
	v_subrev_u32_e32 v16, 28, v19
	v_lshlrev_b64 v[16:17], v16, v[2:3]
	v_lshrrev_b32_e32 v18, 3, v15
	v_sub_u32_e32 v2, 29, v19
	v_and_b32_e32 v16, 7, v16
	v_cmp_gt_u32_e32 vcc, 8, v15
	v_cndmask_b32_e32 v2, v18, v2, vcc
	v_cndmask_b32_e32 v14, v14, v16, vcc
	v_lshlrev_b32_e32 v15, 16, v5
	v_bfrev_b32_e32 v16, 60
	v_lshlrev_b32_e32 v14, 20, v14
	v_and_b32_e32 v15, 0x80000000, v15
	v_lshl_add_u32 v2, v2, 23, v16
	v_or3_b32 v14, v15, v2, v14
.LBB604_769:
	s_or_b64 exec, exec, s[10:11]
.LBB604_770:
	s_or_b64 exec, exec, s[8:9]
.LBB604_771:
	s_or_b64 exec, exec, s[2:3]
	s_movk_i32 s2, 0xff
	v_and_b32_sdwa v15, v5, s2 dst_sel:DWORD dst_unused:UNUSED_PAD src0_sel:WORD_1 src1_sel:DWORD
	v_lshrrev_b32_e32 v2, 16, v5
	v_cmp_ne_u16_e32 vcc, 0, v15
	s_and_saveexec_b64 s[2:3], vcc
	s_cbranch_execz .LBB604_777
; %bb.772:
	s_movk_i32 s7, 0x80
	v_cmp_ne_u16_e32 vcc, s7, v15
	v_bfrev_b32_e32 v4, 1
	s_and_saveexec_b64 s[8:9], vcc
	s_cbranch_execz .LBB604_776
; %bb.773:
	v_bfe_u32 v15, v5, 16, 7
	s_movk_i32 s7, 0x7f
	v_cmp_ne_u32_e32 vcc, s7, v15
	v_mov_b32_e32 v4, 0x7f800001
	s_and_saveexec_b64 s[10:11], vcc
	s_cbranch_execz .LBB604_775
; %bb.774:
	v_and_b32_e32 v4, 7, v2
	v_ffbh_u32_e32 v16, v4
	v_min_u32_e32 v19, 32, v16
	v_subrev_u32_e32 v16, 28, v19
	v_lshlrev_b64 v[16:17], v16, v[2:3]
	v_lshrrev_b32_e32 v18, 3, v15
	v_sub_u32_e32 v2, 29, v19
	v_and_b32_e32 v16, 7, v16
	v_cmp_gt_u32_e32 vcc, 8, v15
	v_mov_b32_e32 v15, 24
	v_cndmask_b32_e32 v2, v18, v2, vcc
	v_cndmask_b32_e32 v4, v4, v16, vcc
	v_lshlrev_b32_sdwa v15, v15, v5 dst_sel:DWORD dst_unused:UNUSED_PAD src0_sel:DWORD src1_sel:WORD_1
	v_bfrev_b32_e32 v16, 60
	v_lshlrev_b32_e32 v4, 20, v4
	v_and_b32_e32 v15, 0x80000000, v15
	v_lshl_add_u32 v2, v2, 23, v16
	v_or3_b32 v4, v15, v2, v4
.LBB604_775:
	s_or_b64 exec, exec, s[10:11]
.LBB604_776:
	s_or_b64 exec, exec, s[8:9]
.LBB604_777:
	s_or_b64 exec, exec, s[2:3]
	s_mov_b32 s2, 0xffffff
	v_cmp_lt_u32_e32 vcc, s2, v5
	v_mov_b32_e32 v15, 0
	s_and_saveexec_b64 s[2:3], vcc
	s_cbranch_execz .LBB604_783
; %bb.778:
	v_lshrrev_b32_e32 v2, 24, v5
	s_movk_i32 s7, 0x80
	v_cmp_ne_u32_e32 vcc, s7, v2
	v_bfrev_b32_e32 v15, 1
	s_and_saveexec_b64 s[8:9], vcc
	s_cbranch_execz .LBB604_782
; %bb.779:
	v_bfe_u32 v5, v5, 24, 7
	s_movk_i32 s7, 0x7f
	v_cmp_ne_u32_e32 vcc, s7, v5
	v_mov_b32_e32 v15, 0x7f800001
	s_and_saveexec_b64 s[10:11], vcc
	s_cbranch_execz .LBB604_781
; %bb.780:
	v_and_b32_e32 v15, 7, v2
	v_ffbh_u32_e32 v16, v15
	v_min_u32_e32 v19, 32, v16
	v_subrev_u32_e32 v16, 28, v19
	v_lshlrev_b64 v[16:17], v16, v[2:3]
	v_lshrrev_b32_e32 v18, 3, v5
	v_sub_u32_e32 v17, 29, v19
	v_and_b32_e32 v16, 7, v16
	v_cmp_gt_u32_e32 vcc, 8, v5
	v_cndmask_b32_e32 v5, v18, v17, vcc
	v_cndmask_b32_e32 v15, v15, v16, vcc
	v_lshlrev_b32_e32 v2, 24, v2
	v_bfrev_b32_e32 v16, 60
	v_lshlrev_b32_e32 v15, 20, v15
	v_and_b32_e32 v2, 0x80000000, v2
	v_lshl_add_u32 v5, v5, 23, v16
	v_or3_b32 v15, v2, v5, v15
.LBB604_781:
	s_or_b64 exec, exec, s[10:11]
.LBB604_782:
	s_or_b64 exec, exec, s[8:9]
.LBB604_783:
	s_or_b64 exec, exec, s[2:3]
	v_cvt_pkrtz_f16_f32 v2, v10, v11
	v_cvt_pkrtz_f16_f32 v3, v3, v13
	ds_read_b128 v[16:19], v22 offset:6160
	s_load_dword s2, s[42:43], 0x0
	v_cmp_gt_u32_e32 vcc, 64, v0
	s_waitcnt lgkmcnt(0)
	v_mfma_f32_16x16x16f16 v[6:9], v[2:3], v[16:17], v[6:9]
	v_cvt_pkrtz_f16_f32 v2, v12, v14
	v_cvt_pkrtz_f16_f32 v3, v4, v15
	s_and_b64 s[0:1], vcc, s[0:1]
	s_barrier
	v_mfma_f32_16x16x16f16 v[2:5], v[2:3], v[18:19], v[6:9]
	s_nop 7
	s_nop 2
	v_pk_mul_f32 v[4:5], v[4:5], s[2:3] op_sel_hi:[1,0]
	v_pk_mul_f32 v[2:3], v[2:3], s[2:3] op_sel_hi:[1,0]
	v_cvt_f16_f32_e32 v2, v2
	v_cvt_f16_f32_e32 v3, v3
	v_cvt_f16_f32_e32 v4, v4
	v_cvt_f16_f32_e32 v5, v5
	v_pack_b32_f16 v2, v2, v3
	v_pack_b32_f16 v3, v4, v5
	ds_write_b64 v28, v[2:3]
	s_waitcnt lgkmcnt(0)
	s_barrier
	s_and_saveexec_b64 s[2:3], s[0:1]
	s_cbranch_execz .LBB604_786
; %bb.784:
	s_load_dwordx2 s[2:3], s[4:5], 0x68
	s_lshl_b32 s0, s44, 6
	s_mul_i32 s1, s12, s6
	s_mul_hi_u32 s7, s1, s0
	s_mul_i32 s6, s1, s0
	s_lshl_b64 s[6:7], s[6:7], 1
	s_waitcnt lgkmcnt(0)
	s_add_u32 s1, s2, s6
	v_lshlrev_b32_e32 v0, 10, v0
	s_mov_b32 s5, 0
	s_addc_u32 s6, s3, s7
	s_lshl_b32 s4, s24, 6
	v_and_b32_e32 v0, 0x1800, v0
	v_lshlrev_b32_e32 v2, 5, v1
	v_and_b32_e32 v3, 16, v47
	s_lshl_b64 s[2:3], s[4:5], 1
	v_or3_b32 v0, v0, v2, v3
	s_add_u32 s1, s1, s2
	ds_read_b128 v[4:7], v0 offset:256
	s_addc_u32 s2, s6, s3
	ds_read_b128 v[8:11], v0 offset:128
	ds_read_b128 v[12:15], v0
	v_add_u32_e32 v18, s25, v1
	v_mov_b32_e32 v3, s2
	v_add_co_u32_e32 v2, vcc, s1, v46
	v_mad_u64_u32 v[16:17], s[2:3], v18, s0, 0
	v_addc_co_u32_e32 v3, vcc, 0, v3, vcc
	v_lshlrev_b64 v[16:17], 1, v[16:17]
	v_add_co_u32_e32 v16, vcc, v2, v16
	v_addc_co_u32_e32 v17, vcc, v3, v17, vcc
	s_waitcnt lgkmcnt(0)
	global_store_dwordx4 v[16:17], v[12:15], off
	s_nop 0
	v_add_u32_e32 v12, 4, v18
	v_mad_u64_u32 v[12:13], s[2:3], v12, s0, 0
	v_lshlrev_b64 v[12:13], 1, v[12:13]
	v_add_co_u32_e32 v12, vcc, v2, v12
	v_addc_co_u32_e32 v13, vcc, v3, v13, vcc
	global_store_dwordx4 v[12:13], v[8:11], off
	s_nop 0
	v_add_u32_e32 v8, 8, v18
	v_mad_u64_u32 v[8:9], s[2:3], v8, s0, 0
	v_lshlrev_b64 v[8:9], 1, v[8:9]
	v_add_co_u32_e32 v8, vcc, v2, v8
	v_addc_co_u32_e32 v9, vcc, v3, v9, vcc
	v_cmp_ne_u32_e32 vcc, 3, v1
	global_store_dwordx4 v[8:9], v[4:7], off
	s_and_b64 exec, exec, vcc
	s_cbranch_execz .LBB604_786
; %bb.785:
	ds_read_b128 v[4:7], v0 offset:384
	v_add3_u32 v0, s25, v1, 12
	v_mad_u64_u32 v[0:1], s[0:1], v0, s0, 0
	v_lshlrev_b64 v[0:1], 1, v[0:1]
	v_add_co_u32_e32 v0, vcc, v2, v0
	v_addc_co_u32_e32 v1, vcc, v3, v1, vcc
	s_waitcnt lgkmcnt(0)
	global_store_dwordx4 v[0:1], v[4:7], off
.LBB604_786:
	s_endpgm
	.section	.rodata,"a",@progbits
	.p2align	6, 0x0
	.amdhsa_kernel _Z39paged_attention_ll4mi_QKV_mfma16_kernelIDF16_hLN4vllm18Fp8KVCacheDataTypeE1EDF16_Li32ELi64ELi256ELb0ELi15EL8MFMAType0EEvPKT_PKT0_S8_ifPKiSA_SA_iPKfiiiPfSD_PS3_PT2_iSC_SC_
		.amdhsa_group_segment_fixed_size 8192
		.amdhsa_private_segment_fixed_size 0
		.amdhsa_kernarg_size 400
		.amdhsa_user_sgpr_count 6
		.amdhsa_user_sgpr_private_segment_buffer 1
		.amdhsa_user_sgpr_dispatch_ptr 0
		.amdhsa_user_sgpr_queue_ptr 0
		.amdhsa_user_sgpr_kernarg_segment_ptr 1
		.amdhsa_user_sgpr_dispatch_id 0
		.amdhsa_user_sgpr_flat_scratch_init 0
		.amdhsa_user_sgpr_kernarg_preload_length 0
		.amdhsa_user_sgpr_kernarg_preload_offset 0
		.amdhsa_user_sgpr_private_segment_size 0
		.amdhsa_uses_dynamic_stack 0
		.amdhsa_system_sgpr_private_segment_wavefront_offset 0
		.amdhsa_system_sgpr_workgroup_id_x 1
		.amdhsa_system_sgpr_workgroup_id_y 1
		.amdhsa_system_sgpr_workgroup_id_z 1
		.amdhsa_system_sgpr_workgroup_info 0
		.amdhsa_system_vgpr_workitem_id 0
		.amdhsa_next_free_vgpr 62
		.amdhsa_next_free_sgpr 47
		.amdhsa_accum_offset 64
		.amdhsa_reserve_vcc 1
		.amdhsa_reserve_flat_scratch 0
		.amdhsa_float_round_mode_32 0
		.amdhsa_float_round_mode_16_64 0
		.amdhsa_float_denorm_mode_32 3
		.amdhsa_float_denorm_mode_16_64 3
		.amdhsa_dx10_clamp 1
		.amdhsa_ieee_mode 1
		.amdhsa_fp16_overflow 0
		.amdhsa_tg_split 0
		.amdhsa_exception_fp_ieee_invalid_op 0
		.amdhsa_exception_fp_denorm_src 0
		.amdhsa_exception_fp_ieee_div_zero 0
		.amdhsa_exception_fp_ieee_overflow 0
		.amdhsa_exception_fp_ieee_underflow 0
		.amdhsa_exception_fp_ieee_inexact 0
		.amdhsa_exception_int_div_zero 0
	.end_amdhsa_kernel
	.section	.text._Z39paged_attention_ll4mi_QKV_mfma16_kernelIDF16_hLN4vllm18Fp8KVCacheDataTypeE1EDF16_Li32ELi64ELi256ELb0ELi15EL8MFMAType0EEvPKT_PKT0_S8_ifPKiSA_SA_iPKfiiiPfSD_PS3_PT2_iSC_SC_,"axG",@progbits,_Z39paged_attention_ll4mi_QKV_mfma16_kernelIDF16_hLN4vllm18Fp8KVCacheDataTypeE1EDF16_Li32ELi64ELi256ELb0ELi15EL8MFMAType0EEvPKT_PKT0_S8_ifPKiSA_SA_iPKfiiiPfSD_PS3_PT2_iSC_SC_,comdat
.Lfunc_end604:
	.size	_Z39paged_attention_ll4mi_QKV_mfma16_kernelIDF16_hLN4vllm18Fp8KVCacheDataTypeE1EDF16_Li32ELi64ELi256ELb0ELi15EL8MFMAType0EEvPKT_PKT0_S8_ifPKiSA_SA_iPKfiiiPfSD_PS3_PT2_iSC_SC_, .Lfunc_end604-_Z39paged_attention_ll4mi_QKV_mfma16_kernelIDF16_hLN4vllm18Fp8KVCacheDataTypeE1EDF16_Li32ELi64ELi256ELb0ELi15EL8MFMAType0EEvPKT_PKT0_S8_ifPKiSA_SA_iPKfiiiPfSD_PS3_PT2_iSC_SC_
                                        ; -- End function
	.section	.AMDGPU.csdata,"",@progbits
; Kernel info:
; codeLenInByte = 27092
; NumSgprs: 51
; NumVgprs: 62
; NumAgprs: 0
; TotalNumVgprs: 62
; ScratchSize: 0
; MemoryBound: 0
; FloatMode: 240
; IeeeMode: 1
; LDSByteSize: 8192 bytes/workgroup (compile time only)
; SGPRBlocks: 6
; VGPRBlocks: 7
; NumSGPRsForWavesPerEU: 51
; NumVGPRsForWavesPerEU: 62
; AccumOffset: 64
; Occupancy: 8
; WaveLimiterHint : 1
; COMPUTE_PGM_RSRC2:SCRATCH_EN: 0
; COMPUTE_PGM_RSRC2:USER_SGPR: 6
; COMPUTE_PGM_RSRC2:TRAP_HANDLER: 0
; COMPUTE_PGM_RSRC2:TGID_X_EN: 1
; COMPUTE_PGM_RSRC2:TGID_Y_EN: 1
; COMPUTE_PGM_RSRC2:TGID_Z_EN: 1
; COMPUTE_PGM_RSRC2:TIDIG_COMP_CNT: 0
; COMPUTE_PGM_RSRC3_GFX90A:ACCUM_OFFSET: 15
; COMPUTE_PGM_RSRC3_GFX90A:TG_SPLIT: 0
	.section	.text._Z39paged_attention_ll4mi_QKV_mfma16_kernelIDF16_hLN4vllm18Fp8KVCacheDataTypeE1EDF16_Li32ELi64ELi256ELb0ELi16EL8MFMAType0EEvPKT_PKT0_S8_ifPKiSA_SA_iPKfiiiPfSD_PS3_PT2_iSC_SC_,"axG",@progbits,_Z39paged_attention_ll4mi_QKV_mfma16_kernelIDF16_hLN4vllm18Fp8KVCacheDataTypeE1EDF16_Li32ELi64ELi256ELb0ELi16EL8MFMAType0EEvPKT_PKT0_S8_ifPKiSA_SA_iPKfiiiPfSD_PS3_PT2_iSC_SC_,comdat
	.protected	_Z39paged_attention_ll4mi_QKV_mfma16_kernelIDF16_hLN4vllm18Fp8KVCacheDataTypeE1EDF16_Li32ELi64ELi256ELb0ELi16EL8MFMAType0EEvPKT_PKT0_S8_ifPKiSA_SA_iPKfiiiPfSD_PS3_PT2_iSC_SC_ ; -- Begin function _Z39paged_attention_ll4mi_QKV_mfma16_kernelIDF16_hLN4vllm18Fp8KVCacheDataTypeE1EDF16_Li32ELi64ELi256ELb0ELi16EL8MFMAType0EEvPKT_PKT0_S8_ifPKiSA_SA_iPKfiiiPfSD_PS3_PT2_iSC_SC_
	.globl	_Z39paged_attention_ll4mi_QKV_mfma16_kernelIDF16_hLN4vllm18Fp8KVCacheDataTypeE1EDF16_Li32ELi64ELi256ELb0ELi16EL8MFMAType0EEvPKT_PKT0_S8_ifPKiSA_SA_iPKfiiiPfSD_PS3_PT2_iSC_SC_
	.p2align	8
	.type	_Z39paged_attention_ll4mi_QKV_mfma16_kernelIDF16_hLN4vllm18Fp8KVCacheDataTypeE1EDF16_Li32ELi64ELi256ELb0ELi16EL8MFMAType0EEvPKT_PKT0_S8_ifPKiSA_SA_iPKfiiiPfSD_PS3_PT2_iSC_SC_,@function
_Z39paged_attention_ll4mi_QKV_mfma16_kernelIDF16_hLN4vllm18Fp8KVCacheDataTypeE1EDF16_Li32ELi64ELi256ELb0ELi16EL8MFMAType0EEvPKT_PKT0_S8_ifPKiSA_SA_iPKfiiiPfSD_PS3_PT2_iSC_SC_: ; @_Z39paged_attention_ll4mi_QKV_mfma16_kernelIDF16_hLN4vllm18Fp8KVCacheDataTypeE1EDF16_Li32ELi64ELi256ELb0ELi16EL8MFMAType0EEvPKT_PKT0_S8_ifPKiSA_SA_iPKfiiiPfSD_PS3_PT2_iSC_SC_
; %bb.0:
	s_load_dwordx2 s[0:1], s[4:5], 0x30
	s_mov_b32 s24, s7
	s_mov_b64 s[10:11], 0
	s_waitcnt lgkmcnt(0)
	s_cmp_lg_u64 s[0:1], 0
	s_cselect_b64 s[2:3], -1, 0
	s_and_b64 vcc, exec, s[2:3]
	s_cbranch_vccz .LBB605_7
; %bb.1:
	s_add_i32 s12, s6, 1
	s_mov_b32 s13, 0
	s_lshl_b64 s[14:15], s[12:13], 2
	s_add_u32 s14, s0, s14
	s_mov_b32 s7, s13
	s_addc_u32 s15, s1, s15
	s_lshl_b64 s[12:13], s[6:7], 2
	s_add_u32 s12, s0, s12
	s_addc_u32 s13, s1, s13
	s_load_dword s9, s[14:15], 0x0
	s_load_dword s16, s[12:13], 0x0
	s_waitcnt lgkmcnt(0)
	s_sub_i32 s9, s9, s16
	s_cmp_eq_u32 s9, 1
	s_cselect_b64 s[12:13], -1, 0
	s_andn2_b64 vcc, exec, s[10:11]
	s_cbranch_vccnz .LBB605_3
.LBB605_2:
	s_mov_b32 s7, 0
	s_mov_b64 s[12:13], -1
.LBB605_3:
	s_andn2_b64 vcc, exec, s[12:13]
	s_cbranch_vccnz .LBB605_785
; %bb.4:
	s_load_dwordx2 s[12:13], s[4:5], 0x28
	s_lshl_b64 s[10:11], s[6:7], 2
	s_waitcnt lgkmcnt(0)
	s_add_u32 s12, s12, s10
	s_addc_u32 s13, s13, s11
	s_load_dword s33, s[12:13], 0x0
	s_lshl_b32 s20, s24, 8
	s_waitcnt lgkmcnt(0)
	s_cmp_ge_i32 s20, s33
	s_cbranch_scc1 .LBB605_785
; %bb.5:
	s_add_i32 s14, s33, 31
	s_load_dwordx2 s[12:13], s[4:5], 0x20
	s_load_dword s9, s[4:5], 0x38
	s_ashr_i32 s15, s14, 31
	v_and_b32_e32 v1, 0xcf, v0
	s_lshr_b32 s15, s15, 27
	v_add_u32_e32 v1, s20, v1
	s_add_i32 s14, s14, s15
	v_ashrrev_i32_e32 v2, 31, v1
	s_ashr_i32 s22, s14, 5
	v_lshrrev_b32_e32 v4, 27, v2
	s_add_i32 s22, s22, -1
	v_add_u32_e32 v2, v1, v4
	s_waitcnt lgkmcnt(0)
	s_mul_i32 s14, s6, s9
	s_mov_b32 s15, 0
	v_ashrrev_i32_e32 v2, 5, v2
	v_mov_b32_e32 v5, s22
	v_cmp_gt_i32_e32 vcc, s33, v1
	s_lshl_b64 s[14:15], s[14:15], 2
	v_cndmask_b32_e32 v2, v5, v2, vcc
	s_add_u32 s9, s12, s14
	v_ashrrev_i32_e32 v3, 31, v2
	s_addc_u32 s21, s13, s15
	v_lshlrev_b64 v[2:3], 2, v[2:3]
	v_mov_b32_e32 v7, s21
	v_add_co_u32_e32 v6, vcc, s9, v2
	v_or_b32_e32 v2, 16, v1
	v_addc_co_u32_e32 v7, vcc, v7, v3, vcc
	v_add_u32_e32 v3, v2, v4
	v_ashrrev_i32_e32 v3, 5, v3
	v_cmp_gt_i32_e32 vcc, s33, v2
	v_cndmask_b32_e32 v2, v5, v3, vcc
	v_ashrrev_i32_e32 v3, 31, v2
	v_lshlrev_b64 v[2:3], 2, v[2:3]
	v_mov_b32_e32 v9, s21
	v_add_co_u32_e32 v8, vcc, s9, v2
	v_or_b32_e32 v2, 32, v1
	v_addc_co_u32_e32 v9, vcc, v9, v3, vcc
	v_add_u32_e32 v3, v2, v4
	v_ashrrev_i32_e32 v3, 5, v3
	v_cmp_gt_i32_e32 vcc, s33, v2
	v_cndmask_b32_e32 v2, v5, v3, vcc
	v_ashrrev_i32_e32 v3, 31, v2
	;; [unrolled: 10-line block ×3, first 2 shown]
	v_lshlrev_b64 v[2:3], 2, v[2:3]
	v_mov_b32_e32 v1, s21
	v_add_co_u32_e32 v12, vcc, s9, v2
	v_addc_co_u32_e32 v13, vcc, v1, v3, vcc
	global_load_dword v5, v[6:7], off
	global_load_dword v4, v[8:9], off
	;; [unrolled: 1-line block ×4, first 2 shown]
	s_load_dwordx4 s[12:15], s[4:5], 0x8
	s_andn2_b64 vcc, exec, s[2:3]
	s_cbranch_vccnz .LBB605_8
; %bb.6:
	s_add_u32 s0, s0, s10
	s_addc_u32 s1, s1, s11
	s_load_dword s10, s[0:1], 0x0
	s_branch .LBB605_9
.LBB605_7:
	s_mov_b64 s[12:13], 0
	s_branch .LBB605_2
.LBB605_8:
	s_mov_b32 s10, s6
.LBB605_9:
	s_load_dwordx4 s[16:19], s[4:5], 0x48
	v_and_b32_e32 v50, 15, v0
	s_movk_i32 s0, 0x100
	v_lshlrev_b32_e32 v6, 3, v50
	v_cmp_gt_u32_e32 vcc, s0, v0
	v_cmp_gt_u32_e64 s[0:1], 8, v50
	v_lshrrev_b32_e32 v49, 6, v0
	v_bfe_u32 v1, v0, 4, 2
	s_lshl_b32 s25, s8, 4
	s_and_b64 s[26:27], vcc, s[0:1]
	v_lshlrev_b32_e32 v46, 1, v6
	v_lshlrev_b32_e32 v47, 4, v0
	s_and_saveexec_b64 s[2:3], s[26:27]
	s_cbranch_execz .LBB605_11
; %bb.10:
	s_load_dwordx2 s[26:27], s[4:5], 0x0
	s_waitcnt lgkmcnt(0)
	s_ashr_i32 s11, s16, 31
	s_mul_hi_u32 s19, s10, s16
	s_mul_i32 s11, s10, s11
	v_lshl_or_b32 v10, v49, 2, v1
	s_add_i32 s11, s19, s11
	s_mul_i32 s10, s10, s16
	s_lshl_b64 s[10:11], s[10:11], 1
	v_add_lshl_u32 v6, v10, s25, 6
	s_add_u32 s10, s26, s10
	v_ashrrev_i32_e32 v7, 31, v6
	s_addc_u32 s11, s27, s11
	v_lshlrev_b64 v[6:7], 1, v[6:7]
	v_mov_b32_e32 v8, s11
	v_add_co_u32_e32 v6, vcc, s10, v6
	v_addc_co_u32_e32 v7, vcc, v8, v7, vcc
	v_add_co_u32_e32 v6, vcc, v6, v46
	v_addc_co_u32_e32 v7, vcc, 0, v7, vcc
	global_load_dwordx4 v[6:9], v[6:7], off
	v_lshlrev_b32_e32 v12, 8, v50
	v_lshlrev_b32_e32 v10, 5, v10
	v_and_b32_e32 v11, 16, v47
	v_and_b32_e32 v12, 0xe00, v12
	v_or3_b32 v10, v12, v10, v11
	s_waitcnt vmcnt(0)
	ds_write_b128 v10, v[6:9]
.LBB605_11:
	s_or_b64 exec, exec, s[2:3]
	s_waitcnt lgkmcnt(0)
	s_mul_i32 s8, s8, s18
	s_add_u32 s2, s12, s8
	s_addc_u32 s3, s13, 0
	v_and_b32_e32 v12, 48, v0
	s_ashr_i32 s10, s20, 31
	v_or_b32_e32 v13, s20, v12
	s_lshr_b32 s10, s10, 27
	v_add_u32_e32 v6, s10, v13
	v_ashrrev_i32_e32 v6, 5, v6
	v_mov_b32_e32 v14, s22
	v_cmp_gt_i32_e32 vcc, s33, v13
	v_cndmask_b32_e32 v6, v14, v6, vcc
	v_ashrrev_i32_e32 v7, 31, v6
	v_lshlrev_b64 v[6:7], 2, v[6:7]
	v_mov_b32_e32 v8, s21
	v_add_co_u32_e32 v6, vcc, s9, v6
	v_addc_co_u32_e32 v7, vcc, v8, v7, vcc
	v_or_b32_e32 v8, 64, v13
	v_add_u32_e32 v9, s10, v8
	v_ashrrev_i32_e32 v9, 5, v9
	v_cmp_gt_i32_e32 vcc, s33, v8
	v_cndmask_b32_e32 v8, v14, v9, vcc
	v_ashrrev_i32_e32 v9, 31, v8
	v_lshlrev_b64 v[8:9], 2, v[8:9]
	v_mov_b32_e32 v10, s21
	v_add_co_u32_e32 v8, vcc, s9, v8
	v_addc_co_u32_e32 v9, vcc, v10, v9, vcc
	v_or_b32_e32 v10, 0x80, v13
	v_add_u32_e32 v11, s10, v10
	v_ashrrev_i32_e32 v11, 5, v11
	v_cmp_gt_i32_e32 vcc, s33, v10
	v_cndmask_b32_e32 v10, v14, v11, vcc
	v_ashrrev_i32_e32 v11, 31, v10
	v_lshlrev_b64 v[10:11], 2, v[10:11]
	v_mov_b32_e32 v15, s21
	v_add_co_u32_e32 v10, vcc, s9, v10
	s_load_dwordx2 s[44:45], s[4:5], 0x94
	s_load_dwordx4 s[40:43], s[4:5], 0x80
	s_waitcnt lgkmcnt(0)
	s_barrier
	v_addc_co_u32_e32 v11, vcc, v15, v11, vcc
	global_load_dword v15, v[6:7], off
	global_load_dword v16, v[8:9], off
	;; [unrolled: 1-line block ×3, first 2 shown]
	v_or_b32_e32 v6, 0xc0, v13
	v_add_u32_e32 v7, s10, v6
	v_ashrrev_i32_e32 v7, 5, v7
	v_cmp_gt_i32_e32 vcc, s33, v6
	v_cndmask_b32_e32 v6, v14, v7, vcc
	v_ashrrev_i32_e32 v7, 31, v6
	v_lshlrev_b64 v[6:7], 2, v[6:7]
	v_mov_b32_e32 v8, s21
	v_add_co_u32_e32 v6, vcc, s9, v6
	v_addc_co_u32_e32 v7, vcc, v8, v7, vcc
	global_load_dword v20, v[6:7], off
	v_pk_mov_b32 v[6:7], s[2:3], s[2:3] op_sel:[0,1]
	s_waitcnt vmcnt(7)
	v_mad_i64_i32 v[8:9], s[2:3], v5, s17, v[6:7]
	v_lshlrev_b32_e32 v11, 4, v50
	v_add_co_u32_e32 v5, vcc, v8, v11
	v_lshlrev_b32_e32 v10, 5, v12
	v_addc_co_u32_e32 v9, vcc, 0, v9, vcc
	v_add_co_u32_e32 v8, vcc, v5, v10
	v_addc_co_u32_e32 v9, vcc, 0, v9, vcc
	s_waitcnt vmcnt(6)
	v_mad_i64_i32 v[4:5], s[2:3], v4, s17, v[6:7]
	v_or_b32_e32 v12, 0x100, v11
	v_add_co_u32_e32 v4, vcc, v4, v12
	v_addc_co_u32_e32 v5, vcc, 0, v5, vcc
	v_add_co_u32_e32 v4, vcc, v4, v10
	v_addc_co_u32_e32 v5, vcc, 0, v5, vcc
	global_load_dwordx4 v[30:33], v[8:9], off
	global_load_dwordx4 v[38:41], v[4:5], off
	s_waitcnt vmcnt(7)
	v_mad_i64_i32 v[4:5], s[2:3], v3, s17, v[6:7]
	v_add_co_u32_e32 v3, vcc, v4, v11
	v_addc_co_u32_e32 v5, vcc, 0, v5, vcc
	v_add_co_u32_e32 v4, vcc, v3, v10
	v_addc_co_u32_e32 v5, vcc, 0, v5, vcc
	s_waitcnt vmcnt(6)
	v_mad_i64_i32 v[2:3], s[2:3], v2, s17, v[6:7]
	v_add_co_u32_e32 v2, vcc, v2, v12
	v_addc_co_u32_e32 v3, vcc, 0, v3, vcc
	v_add_co_u32_e32 v2, vcc, v2, v10
	s_add_u32 s2, s14, s8
	v_addc_co_u32_e32 v3, vcc, 0, v3, vcc
	global_load_dwordx4 v[34:37], v[4:5], off
	global_load_dwordx4 v[22:25], v[2:3], off
	s_addc_u32 s3, s15, 0
	v_and_b32_e32 v2, 16, v0
	v_lshlrev_b32_e32 v51, 5, v50
	v_mov_b32_e32 v3, s3
	v_add_co_u32_e32 v2, vcc, s2, v2
	v_addc_co_u32_e32 v3, vcc, 0, v3, vcc
	v_lshl_or_b32 v4, v49, 9, v51
	v_add_co_u32_e32 v2, vcc, v2, v4
	v_addc_co_u32_e32 v3, vcc, 0, v3, vcc
	v_lshl_or_b32 v48, v1, 9, v51
	v_mov_b32_e32 v43, 0
	s_movk_i32 s8, 0x80
	v_mov_b32_e32 v44, 0
	s_waitcnt vmcnt(7)
	v_mad_i64_i32 v[4:5], s[2:3], v15, s17, v[2:3]
	s_waitcnt vmcnt(6)
	v_mad_i64_i32 v[6:7], s[2:3], v16, s17, v[2:3]
	;; [unrolled: 2-line block ×3, first 2 shown]
	global_load_dwordx4 v[14:17], v[4:5], off
	global_load_dwordx4 v[10:13], v[6:7], off
	s_waitcnt vmcnt(6)
	v_mad_i64_i32 v[20:21], s[2:3], v20, s17, v[2:3]
	global_load_dwordx4 v[6:9], v[18:19], off
	global_load_dwordx4 v[2:5], v[20:21], off
	ds_read_b128 v[26:29], v48
	ds_read_b128 v[18:21], v48 offset:16
	s_load_dword s12, s[40:41], 0x0
	s_waitcnt vmcnt(7)
	v_cmp_ne_u16_sdwa s[10:11], v30, v43 src0_sel:BYTE_0 src1_sel:DWORD
	s_and_saveexec_b64 s[2:3], s[10:11]
	s_cbranch_execz .LBB605_17
; %bb.12:
	v_cmp_ne_u16_sdwa s[10:11], v30, s8 src0_sel:BYTE_0 src1_sel:DWORD
	v_bfrev_b32_e32 v44, 1
	s_and_saveexec_b64 s[8:9], s[10:11]
	s_cbranch_execz .LBB605_16
; %bb.13:
	s_movk_i32 s10, 0x7f
	v_and_b32_e32 v42, 0x7f, v30
	v_cmp_ne_u32_e32 vcc, s10, v42
	v_mov_b32_e32 v44, 0x7f800001
	s_and_saveexec_b64 s[10:11], vcc
	s_cbranch_execz .LBB605_15
; %bb.14:
	v_and_b32_e32 v52, 7, v30
	v_ffbh_u32_e32 v44, v52
	v_min_u32_e32 v54, 32, v44
	v_subrev_u32_e32 v44, 28, v54
	v_lshlrev_b64 v[44:45], v44, v[30:31]
	v_lshrrev_b32_e32 v53, 3, v42
	v_sub_u32_e32 v45, 29, v54
	v_and_b32_e32 v44, 7, v44
	v_cmp_gt_u32_e32 vcc, 8, v42
	v_cndmask_b32_e32 v42, v53, v45, vcc
	v_cndmask_b32_e32 v44, v52, v44, vcc
	v_lshlrev_b32_e32 v45, 24, v30
	v_bfrev_b32_e32 v52, 60
	v_lshlrev_b32_e32 v44, 20, v44
	v_and_b32_e32 v45, 0x80000000, v45
	v_lshl_add_u32 v42, v42, 23, v52
	v_or3_b32 v44, v45, v42, v44
.LBB605_15:
	s_or_b64 exec, exec, s[10:11]
.LBB605_16:
	s_or_b64 exec, exec, s[8:9]
.LBB605_17:
	s_or_b64 exec, exec, s[2:3]
	v_lshrrev_b16_e32 v42, 8, v30
	v_cmp_ne_u16_e32 vcc, 0, v42
	s_and_saveexec_b64 s[2:3], vcc
	s_cbranch_execz .LBB605_23
; %bb.18:
	s_movk_i32 s8, 0x80
	v_cmp_ne_u16_e32 vcc, s8, v42
	v_bfrev_b32_e32 v43, 1
	s_and_saveexec_b64 s[8:9], vcc
	s_cbranch_execz .LBB605_22
; %bb.19:
	s_movk_i32 s10, 0x7f
	v_and_b32_e32 v45, 0x7f, v42
	v_cmp_ne_u32_e32 vcc, s10, v45
	v_mov_b32_e32 v43, 0x7f800001
	s_and_saveexec_b64 s[10:11], vcc
	s_cbranch_execz .LBB605_21
; %bb.20:
	v_and_b32_e32 v52, 7, v42
	v_ffbh_u32_e32 v43, v52
	v_min_u32_e32 v54, 32, v43
	v_subrev_u32_e32 v43, 28, v54
	v_lshlrev_b64 v[42:43], v43, v[42:43]
	v_lshrrev_b32_e32 v53, 3, v45
	v_sub_u32_e32 v43, 29, v54
	v_and_b32_e32 v42, 7, v42
	v_cmp_gt_u32_e32 vcc, 8, v45
	v_cndmask_b32_e32 v43, v53, v43, vcc
	v_cndmask_b32_e32 v42, v52, v42, vcc
	v_lshlrev_b32_e32 v45, 16, v30
	v_bfrev_b32_e32 v52, 60
	v_lshlrev_b32_e32 v42, 20, v42
	v_and_b32_e32 v45, 0x80000000, v45
	v_lshl_add_u32 v43, v43, 23, v52
	v_or3_b32 v43, v45, v43, v42
.LBB605_21:
	s_or_b64 exec, exec, s[10:11]
.LBB605_22:
	s_or_b64 exec, exec, s[8:9]
.LBB605_23:
	s_or_b64 exec, exec, s[2:3]
	s_movk_i32 s2, 0xff
	v_and_b32_sdwa v53, v30, s2 dst_sel:DWORD dst_unused:UNUSED_PAD src0_sel:WORD_1 src1_sel:DWORD
	v_lshrrev_b32_e32 v42, 16, v30
	v_cmp_ne_u16_e32 vcc, 0, v53
	v_mov_b32_e32 v45, 0
	v_mov_b32_e32 v52, 0
	s_and_saveexec_b64 s[2:3], vcc
	s_cbranch_execz .LBB605_29
; %bb.24:
	s_movk_i32 s8, 0x80
	v_cmp_ne_u16_e32 vcc, s8, v53
	v_bfrev_b32_e32 v52, 1
	s_and_saveexec_b64 s[8:9], vcc
	s_cbranch_execz .LBB605_28
; %bb.25:
	v_bfe_u32 v53, v30, 16, 7
	s_movk_i32 s10, 0x7f
	v_cmp_ne_u32_e32 vcc, s10, v53
	v_mov_b32_e32 v52, 0x7f800001
	s_and_saveexec_b64 s[10:11], vcc
	s_cbranch_execz .LBB605_27
; %bb.26:
	v_and_b32_e32 v52, 7, v42
	v_ffbh_u32_e32 v54, v52
	v_min_u32_e32 v57, 32, v54
	v_subrev_u32_e32 v54, 28, v57
	v_lshlrev_b64 v[54:55], v54, v[42:43]
	v_lshrrev_b32_e32 v56, 3, v53
	v_sub_u32_e32 v42, 29, v57
	v_and_b32_e32 v54, 7, v54
	v_cmp_gt_u32_e32 vcc, 8, v53
	v_mov_b32_e32 v53, 24
	v_cndmask_b32_e32 v42, v56, v42, vcc
	v_cndmask_b32_e32 v52, v52, v54, vcc
	v_lshlrev_b32_sdwa v53, v53, v30 dst_sel:DWORD dst_unused:UNUSED_PAD src0_sel:DWORD src1_sel:WORD_1
	v_bfrev_b32_e32 v54, 60
	v_lshlrev_b32_e32 v52, 20, v52
	v_and_b32_e32 v53, 0x80000000, v53
	v_lshl_add_u32 v42, v42, 23, v54
	v_or3_b32 v52, v53, v42, v52
.LBB605_27:
	s_or_b64 exec, exec, s[10:11]
.LBB605_28:
	s_or_b64 exec, exec, s[8:9]
.LBB605_29:
	s_or_b64 exec, exec, s[2:3]
	s_mov_b32 s2, 0xffffff
	v_cmp_lt_u32_e32 vcc, s2, v30
	s_and_saveexec_b64 s[2:3], vcc
	s_cbranch_execz .LBB605_35
; %bb.30:
	v_lshrrev_b32_e32 v42, 24, v30
	s_movk_i32 s8, 0x80
	v_cmp_ne_u32_e32 vcc, s8, v42
	v_bfrev_b32_e32 v45, 1
	s_and_saveexec_b64 s[8:9], vcc
	s_cbranch_execz .LBB605_34
; %bb.31:
	v_bfe_u32 v30, v30, 24, 7
	s_movk_i32 s10, 0x7f
	v_cmp_ne_u32_e32 vcc, s10, v30
	v_mov_b32_e32 v45, 0x7f800001
	s_and_saveexec_b64 s[10:11], vcc
	s_cbranch_execz .LBB605_33
; %bb.32:
	v_and_b32_e32 v45, 7, v42
	v_ffbh_u32_e32 v54, v45
	v_min_u32_e32 v56, 32, v54
	v_subrev_u32_e32 v54, 28, v56
	v_lshlrev_b64 v[54:55], v54, v[42:43]
	v_lshrrev_b32_e32 v53, 3, v30
	v_sub_u32_e32 v55, 29, v56
	v_and_b32_e32 v54, 7, v54
	v_cmp_gt_u32_e32 vcc, 8, v30
	v_cndmask_b32_e32 v30, v53, v55, vcc
	v_cndmask_b32_e32 v45, v45, v54, vcc
	v_lshlrev_b32_e32 v42, 24, v42
	v_bfrev_b32_e32 v53, 60
	v_lshlrev_b32_e32 v45, 20, v45
	v_and_b32_e32 v42, 0x80000000, v42
	v_lshl_add_u32 v30, v30, 23, v53
	v_or3_b32 v45, v42, v30, v45
.LBB605_33:
	s_or_b64 exec, exec, s[10:11]
.LBB605_34:
	s_or_b64 exec, exec, s[8:9]
.LBB605_35:
	s_or_b64 exec, exec, s[2:3]
	v_mov_b32_e32 v42, 0
	v_cmp_ne_u16_sdwa s[8:9], v31, v42 src0_sel:BYTE_0 src1_sel:DWORD
	v_mov_b32_e32 v53, 0
	s_and_saveexec_b64 s[2:3], s[8:9]
	s_cbranch_execz .LBB605_41
; %bb.36:
	s_movk_i32 s8, 0x80
	v_cmp_ne_u16_sdwa s[10:11], v31, s8 src0_sel:BYTE_0 src1_sel:DWORD
	v_bfrev_b32_e32 v53, 1
	s_and_saveexec_b64 s[8:9], s[10:11]
	s_cbranch_execz .LBB605_40
; %bb.37:
	s_movk_i32 s10, 0x7f
	v_and_b32_e32 v30, 0x7f, v31
	v_cmp_ne_u32_e32 vcc, s10, v30
	v_mov_b32_e32 v53, 0x7f800001
	s_and_saveexec_b64 s[10:11], vcc
	s_cbranch_execz .LBB605_39
; %bb.38:
	v_and_b32_e32 v53, 7, v31
	v_ffbh_u32_e32 v55, v53
	v_min_u32_e32 v57, 32, v55
	v_mov_b32_e32 v54, v31
	v_subrev_u32_e32 v55, 28, v57
	v_lshlrev_b64 v[54:55], v55, v[54:55]
	v_lshrrev_b32_e32 v56, 3, v30
	v_sub_u32_e32 v55, 29, v57
	v_and_b32_e32 v54, 7, v54
	v_cmp_gt_u32_e32 vcc, 8, v30
	v_cndmask_b32_e32 v30, v56, v55, vcc
	v_cndmask_b32_e32 v53, v53, v54, vcc
	v_lshlrev_b32_e32 v54, 24, v31
	v_bfrev_b32_e32 v55, 60
	v_lshlrev_b32_e32 v53, 20, v53
	v_and_b32_e32 v54, 0x80000000, v54
	v_lshl_add_u32 v30, v30, 23, v55
	v_or3_b32 v53, v54, v30, v53
.LBB605_39:
	s_or_b64 exec, exec, s[10:11]
.LBB605_40:
	s_or_b64 exec, exec, s[8:9]
.LBB605_41:
	s_or_b64 exec, exec, s[2:3]
	v_lshrrev_b16_e32 v30, 8, v31
	v_cmp_ne_u16_e32 vcc, 0, v30
	s_and_saveexec_b64 s[2:3], vcc
	s_cbranch_execz .LBB605_47
; %bb.42:
	s_movk_i32 s8, 0x80
	v_cmp_ne_u16_e32 vcc, s8, v30
	v_bfrev_b32_e32 v42, 1
	s_and_saveexec_b64 s[8:9], vcc
	s_cbranch_execz .LBB605_46
; %bb.43:
	s_movk_i32 s10, 0x7f
	v_and_b32_e32 v54, 0x7f, v30
	v_cmp_ne_u32_e32 vcc, s10, v54
	v_mov_b32_e32 v42, 0x7f800001
	s_and_saveexec_b64 s[10:11], vcc
	s_cbranch_execz .LBB605_45
; %bb.44:
	v_and_b32_e32 v42, 7, v30
	v_ffbh_u32_e32 v56, v42
	v_min_u32_e32 v58, 32, v56
	v_subrev_u32_e32 v56, 28, v58
	v_lshlrev_b64 v[56:57], v56, v[30:31]
	v_lshrrev_b32_e32 v55, 3, v54
	v_sub_u32_e32 v30, 29, v58
	v_and_b32_e32 v56, 7, v56
	v_cmp_gt_u32_e32 vcc, 8, v54
	v_cndmask_b32_e32 v30, v55, v30, vcc
	v_cndmask_b32_e32 v42, v42, v56, vcc
	v_lshlrev_b32_e32 v54, 16, v31
	v_bfrev_b32_e32 v55, 60
	v_lshlrev_b32_e32 v42, 20, v42
	v_and_b32_e32 v54, 0x80000000, v54
	v_lshl_add_u32 v30, v30, 23, v55
	v_or3_b32 v42, v54, v30, v42
.LBB605_45:
	s_or_b64 exec, exec, s[10:11]
.LBB605_46:
	s_or_b64 exec, exec, s[8:9]
.LBB605_47:
	s_or_b64 exec, exec, s[2:3]
	s_movk_i32 s2, 0xff
	v_and_b32_sdwa v56, v31, s2 dst_sel:DWORD dst_unused:UNUSED_PAD src0_sel:WORD_1 src1_sel:DWORD
	v_lshrrev_b32_e32 v30, 16, v31
	v_cmp_ne_u16_e32 vcc, 0, v56
	v_mov_b32_e32 v54, 0
	v_mov_b32_e32 v55, 0
	s_and_saveexec_b64 s[2:3], vcc
	s_cbranch_execz .LBB605_53
; %bb.48:
	s_movk_i32 s8, 0x80
	v_cmp_ne_u16_e32 vcc, s8, v56
	v_bfrev_b32_e32 v55, 1
	s_and_saveexec_b64 s[8:9], vcc
	s_cbranch_execz .LBB605_52
; %bb.49:
	v_bfe_u32 v56, v31, 16, 7
	s_movk_i32 s10, 0x7f
	v_cmp_ne_u32_e32 vcc, s10, v56
	v_mov_b32_e32 v55, 0x7f800001
	s_and_saveexec_b64 s[10:11], vcc
	s_cbranch_execz .LBB605_51
; %bb.50:
	v_and_b32_e32 v55, 7, v30
	v_ffbh_u32_e32 v58, v55
	v_min_u32_e32 v60, 32, v58
	v_subrev_u32_e32 v58, 28, v60
	v_lshlrev_b64 v[58:59], v58, v[30:31]
	v_lshrrev_b32_e32 v57, 3, v56
	v_sub_u32_e32 v30, 29, v60
	v_and_b32_e32 v58, 7, v58
	v_cmp_gt_u32_e32 vcc, 8, v56
	v_mov_b32_e32 v56, 24
	v_cndmask_b32_e32 v30, v57, v30, vcc
	v_cndmask_b32_e32 v55, v55, v58, vcc
	v_lshlrev_b32_sdwa v56, v56, v31 dst_sel:DWORD dst_unused:UNUSED_PAD src0_sel:DWORD src1_sel:WORD_1
	v_bfrev_b32_e32 v57, 60
	v_lshlrev_b32_e32 v55, 20, v55
	v_and_b32_e32 v56, 0x80000000, v56
	v_lshl_add_u32 v30, v30, 23, v57
	v_or3_b32 v55, v56, v30, v55
.LBB605_51:
	s_or_b64 exec, exec, s[10:11]
.LBB605_52:
	s_or_b64 exec, exec, s[8:9]
.LBB605_53:
	s_or_b64 exec, exec, s[2:3]
	s_mov_b32 s2, 0xffffff
	v_cmp_lt_u32_e32 vcc, s2, v31
	s_and_saveexec_b64 s[2:3], vcc
	s_cbranch_execz .LBB605_59
; %bb.54:
	v_lshrrev_b32_e32 v30, 24, v31
	s_movk_i32 s8, 0x80
	v_cmp_ne_u32_e32 vcc, s8, v30
	v_bfrev_b32_e32 v54, 1
	s_and_saveexec_b64 s[8:9], vcc
	s_cbranch_execz .LBB605_58
; %bb.55:
	v_bfe_u32 v31, v31, 24, 7
	s_movk_i32 s10, 0x7f
	v_cmp_ne_u32_e32 vcc, s10, v31
	v_mov_b32_e32 v54, 0x7f800001
	s_and_saveexec_b64 s[10:11], vcc
	s_cbranch_execz .LBB605_57
; %bb.56:
	v_and_b32_e32 v54, 7, v30
	v_ffbh_u32_e32 v56, v54
	v_min_u32_e32 v59, 32, v56
	v_subrev_u32_e32 v56, 28, v59
	v_lshlrev_b64 v[56:57], v56, v[30:31]
	v_lshrrev_b32_e32 v58, 3, v31
	v_sub_u32_e32 v57, 29, v59
	v_and_b32_e32 v56, 7, v56
	v_cmp_gt_u32_e32 vcc, 8, v31
	v_cndmask_b32_e32 v31, v58, v57, vcc
	v_cndmask_b32_e32 v54, v54, v56, vcc
	v_lshlrev_b32_e32 v30, 24, v30
	v_bfrev_b32_e32 v56, 60
	v_lshlrev_b32_e32 v54, 20, v54
	v_and_b32_e32 v30, 0x80000000, v30
	v_lshl_add_u32 v31, v31, 23, v56
	v_or3_b32 v54, v30, v31, v54
.LBB605_57:
	s_or_b64 exec, exec, s[10:11]
.LBB605_58:
	s_or_b64 exec, exec, s[8:9]
.LBB605_59:
	s_or_b64 exec, exec, s[2:3]
	v_cvt_pkrtz_f16_f32 v30, v44, v43
	v_cvt_pkrtz_f16_f32 v31, v52, v45
	;; [unrolled: 1-line block ×4, first 2 shown]
	v_mov_b32_e32 v53, 0
	s_waitcnt lgkmcnt(0)
	v_mfma_f32_16x16x16f16 v[56:59], v[30:31], v[26:27], 0
	v_mov_b32_e32 v31, 0
	v_cmp_ne_u16_sdwa s[8:9], v32, v31 src0_sel:BYTE_0 src1_sel:DWORD
	v_mfma_f32_16x16x16f16 v[42:45], v[42:43], v[28:29], v[56:59]
	s_and_saveexec_b64 s[2:3], s[8:9]
	s_cbranch_execz .LBB605_65
; %bb.60:
	s_movk_i32 s8, 0x80
	v_cmp_ne_u16_sdwa s[10:11], v32, s8 src0_sel:BYTE_0 src1_sel:DWORD
	v_bfrev_b32_e32 v53, 1
	s_and_saveexec_b64 s[8:9], s[10:11]
	s_cbranch_execz .LBB605_64
; %bb.61:
	s_movk_i32 s10, 0x7f
	v_and_b32_e32 v30, 0x7f, v32
	v_cmp_ne_u32_e32 vcc, s10, v30
	v_mov_b32_e32 v53, 0x7f800001
	s_and_saveexec_b64 s[10:11], vcc
	s_cbranch_execz .LBB605_63
; %bb.62:
	v_and_b32_e32 v54, 7, v32
	v_ffbh_u32_e32 v52, v54
	v_min_u32_e32 v56, 32, v52
	v_subrev_u32_e32 v52, 28, v56
	v_lshlrev_b64 v[52:53], v52, v[32:33]
	v_lshrrev_b32_e32 v55, 3, v30
	v_sub_u32_e32 v53, 29, v56
	v_and_b32_e32 v52, 7, v52
	v_cmp_gt_u32_e32 vcc, 8, v30
	v_cndmask_b32_e32 v30, v55, v53, vcc
	v_cndmask_b32_e32 v52, v54, v52, vcc
	v_lshlrev_b32_e32 v53, 24, v32
	v_bfrev_b32_e32 v54, 60
	v_lshlrev_b32_e32 v52, 20, v52
	v_and_b32_e32 v53, 0x80000000, v53
	v_lshl_add_u32 v30, v30, 23, v54
	v_or3_b32 v53, v53, v30, v52
.LBB605_63:
	s_or_b64 exec, exec, s[10:11]
.LBB605_64:
	s_or_b64 exec, exec, s[8:9]
.LBB605_65:
	s_or_b64 exec, exec, s[2:3]
	v_lshrrev_b16_e32 v30, 8, v32
	v_cmp_ne_u16_e32 vcc, 0, v30
	v_mov_b32_e32 v54, 0
	s_and_saveexec_b64 s[2:3], vcc
	s_cbranch_execz .LBB605_71
; %bb.66:
	s_movk_i32 s8, 0x80
	v_cmp_ne_u16_e32 vcc, s8, v30
	v_bfrev_b32_e32 v54, 1
	s_and_saveexec_b64 s[8:9], vcc
	s_cbranch_execz .LBB605_70
; %bb.67:
	s_movk_i32 s10, 0x7f
	v_and_b32_e32 v52, 0x7f, v30
	v_cmp_ne_u32_e32 vcc, s10, v52
	v_mov_b32_e32 v54, 0x7f800001
	s_and_saveexec_b64 s[10:11], vcc
	s_cbranch_execz .LBB605_69
; %bb.68:
	v_and_b32_e32 v56, 7, v30
	v_ffbh_u32_e32 v54, v56
	v_min_u32_e32 v58, 32, v54
	v_subrev_u32_e32 v54, 28, v58
	v_lshlrev_b64 v[54:55], v54, v[30:31]
	v_lshrrev_b32_e32 v57, 3, v52
	v_sub_u32_e32 v30, 29, v58
	v_and_b32_e32 v54, 7, v54
	v_cmp_gt_u32_e32 vcc, 8, v52
	v_cndmask_b32_e32 v30, v57, v30, vcc
	v_cndmask_b32_e32 v52, v56, v54, vcc
	v_lshlrev_b32_e32 v54, 16, v32
	v_bfrev_b32_e32 v55, 60
	v_lshlrev_b32_e32 v52, 20, v52
	v_and_b32_e32 v54, 0x80000000, v54
	v_lshl_add_u32 v30, v30, 23, v55
	v_or3_b32 v54, v54, v30, v52
.LBB605_69:
	s_or_b64 exec, exec, s[10:11]
.LBB605_70:
	s_or_b64 exec, exec, s[8:9]
.LBB605_71:
	s_or_b64 exec, exec, s[2:3]
	s_movk_i32 s2, 0xff
	v_and_b32_sdwa v52, v32, s2 dst_sel:DWORD dst_unused:UNUSED_PAD src0_sel:WORD_1 src1_sel:DWORD
	v_lshrrev_b32_e32 v30, 16, v32
	v_cmp_ne_u16_e32 vcc, 0, v52
	s_and_saveexec_b64 s[2:3], vcc
	s_cbranch_execz .LBB605_77
; %bb.72:
	s_movk_i32 s8, 0x80
	v_cmp_ne_u16_e32 vcc, s8, v52
	v_bfrev_b32_e32 v31, 1
	s_and_saveexec_b64 s[8:9], vcc
	s_cbranch_execz .LBB605_76
; %bb.73:
	v_bfe_u32 v52, v32, 16, 7
	s_movk_i32 s10, 0x7f
	v_cmp_ne_u32_e32 vcc, s10, v52
	v_mov_b32_e32 v31, 0x7f800001
	s_and_saveexec_b64 s[10:11], vcc
	s_cbranch_execz .LBB605_75
; %bb.74:
	v_and_b32_e32 v55, 7, v30
	v_ffbh_u32_e32 v31, v55
	v_min_u32_e32 v57, 32, v31
	v_subrev_u32_e32 v31, 28, v57
	v_lshlrev_b64 v[30:31], v31, v[30:31]
	v_lshrrev_b32_e32 v56, 3, v52
	v_sub_u32_e32 v31, 29, v57
	v_and_b32_e32 v30, 7, v30
	v_cmp_gt_u32_e32 vcc, 8, v52
	v_mov_b32_e32 v52, 24
	v_cndmask_b32_e32 v31, v56, v31, vcc
	v_cndmask_b32_e32 v30, v55, v30, vcc
	v_lshlrev_b32_sdwa v52, v52, v32 dst_sel:DWORD dst_unused:UNUSED_PAD src0_sel:DWORD src1_sel:WORD_1
	v_bfrev_b32_e32 v55, 60
	v_lshlrev_b32_e32 v30, 20, v30
	v_and_b32_e32 v52, 0x80000000, v52
	v_lshl_add_u32 v31, v31, 23, v55
	v_or3_b32 v31, v52, v31, v30
.LBB605_75:
	s_or_b64 exec, exec, s[10:11]
.LBB605_76:
	s_or_b64 exec, exec, s[8:9]
.LBB605_77:
	s_or_b64 exec, exec, s[2:3]
	s_mov_b32 s2, 0xffffff
	v_cmp_lt_u32_e32 vcc, s2, v32
	v_mov_b32_e32 v55, 0
	v_mov_b32_e32 v56, 0
	s_and_saveexec_b64 s[2:3], vcc
	s_cbranch_execz .LBB605_83
; %bb.78:
	v_lshrrev_b32_e32 v30, 24, v32
	s_movk_i32 s8, 0x80
	v_cmp_ne_u32_e32 vcc, s8, v30
	v_bfrev_b32_e32 v56, 1
	s_and_saveexec_b64 s[8:9], vcc
	s_cbranch_execz .LBB605_82
; %bb.79:
	v_bfe_u32 v32, v32, 24, 7
	s_movk_i32 s10, 0x7f
	v_cmp_ne_u32_e32 vcc, s10, v32
	v_mov_b32_e32 v56, 0x7f800001
	s_and_saveexec_b64 s[10:11], vcc
	s_cbranch_execz .LBB605_81
; %bb.80:
	v_and_b32_e32 v52, 7, v30
	v_ffbh_u32_e32 v56, v52
	v_min_u32_e32 v59, 32, v56
	v_subrev_u32_e32 v56, 28, v59
	v_lshlrev_b64 v[56:57], v56, v[30:31]
	v_lshrrev_b32_e32 v58, 3, v32
	v_sub_u32_e32 v57, 29, v59
	v_and_b32_e32 v56, 7, v56
	v_cmp_gt_u32_e32 vcc, 8, v32
	v_cndmask_b32_e32 v32, v58, v57, vcc
	v_cndmask_b32_e32 v52, v52, v56, vcc
	v_lshlrev_b32_e32 v30, 24, v30
	v_bfrev_b32_e32 v56, 60
	v_lshlrev_b32_e32 v52, 20, v52
	v_and_b32_e32 v30, 0x80000000, v30
	v_lshl_add_u32 v32, v32, 23, v56
	v_or3_b32 v56, v30, v32, v52
.LBB605_81:
	s_or_b64 exec, exec, s[10:11]
.LBB605_82:
	s_or_b64 exec, exec, s[8:9]
.LBB605_83:
	s_or_b64 exec, exec, s[2:3]
	v_cmp_ne_u16_sdwa s[8:9], v33, v55 src0_sel:BYTE_0 src1_sel:DWORD
	s_and_saveexec_b64 s[2:3], s[8:9]
	s_cbranch_execz .LBB605_89
; %bb.84:
	s_movk_i32 s8, 0x80
	v_cmp_ne_u16_sdwa s[10:11], v33, s8 src0_sel:BYTE_0 src1_sel:DWORD
	v_bfrev_b32_e32 v55, 1
	s_and_saveexec_b64 s[8:9], s[10:11]
	s_cbranch_execz .LBB605_88
; %bb.85:
	s_movk_i32 s10, 0x7f
	v_and_b32_e32 v30, 0x7f, v33
	v_cmp_ne_u32_e32 vcc, s10, v30
	v_mov_b32_e32 v55, 0x7f800001
	s_and_saveexec_b64 s[10:11], vcc
	s_cbranch_execz .LBB605_87
; %bb.86:
	v_and_b32_e32 v52, 7, v33
	v_ffbh_u32_e32 v57, v52
	v_min_u32_e32 v57, 32, v57
	v_mov_b32_e32 v32, v33
	v_subrev_u32_e32 v58, 28, v57
	v_lshlrev_b64 v[58:59], v58, v[32:33]
	v_lshrrev_b32_e32 v55, 3, v30
	v_sub_u32_e32 v32, 29, v57
	v_and_b32_e32 v57, 7, v58
	v_cmp_gt_u32_e32 vcc, 8, v30
	v_cndmask_b32_e32 v30, v55, v32, vcc
	v_cndmask_b32_e32 v32, v52, v57, vcc
	v_lshlrev_b32_e32 v52, 24, v33
	v_bfrev_b32_e32 v55, 60
	v_lshlrev_b32_e32 v32, 20, v32
	v_and_b32_e32 v52, 0x80000000, v52
	v_lshl_add_u32 v30, v30, 23, v55
	v_or3_b32 v55, v52, v30, v32
.LBB605_87:
	s_or_b64 exec, exec, s[10:11]
.LBB605_88:
	s_or_b64 exec, exec, s[8:9]
.LBB605_89:
	s_or_b64 exec, exec, s[2:3]
	v_lshrrev_b16_e32 v30, 8, v33
	v_cmp_ne_u16_e32 vcc, 0, v30
	v_mov_b32_e32 v32, 0
	v_mov_b32_e32 v57, 0
	s_and_saveexec_b64 s[2:3], vcc
	s_cbranch_execz .LBB605_95
; %bb.90:
	s_movk_i32 s8, 0x80
	v_cmp_ne_u16_e32 vcc, s8, v30
	v_bfrev_b32_e32 v57, 1
	s_and_saveexec_b64 s[8:9], vcc
	s_cbranch_execz .LBB605_94
; %bb.91:
	s_movk_i32 s10, 0x7f
	v_and_b32_e32 v52, 0x7f, v30
	v_cmp_ne_u32_e32 vcc, s10, v52
	v_mov_b32_e32 v57, 0x7f800001
	s_and_saveexec_b64 s[10:11], vcc
	s_cbranch_execz .LBB605_93
; %bb.92:
	v_and_b32_e32 v57, 7, v30
	v_ffbh_u32_e32 v58, v57
	v_min_u32_e32 v61, 32, v58
	v_subrev_u32_e32 v58, 28, v61
	v_lshlrev_b64 v[58:59], v58, v[30:31]
	v_lshrrev_b32_e32 v60, 3, v52
	v_sub_u32_e32 v30, 29, v61
	v_and_b32_e32 v58, 7, v58
	v_cmp_gt_u32_e32 vcc, 8, v52
	v_cndmask_b32_e32 v30, v60, v30, vcc
	v_cndmask_b32_e32 v52, v57, v58, vcc
	v_lshlrev_b32_e32 v57, 16, v33
	v_bfrev_b32_e32 v58, 60
	v_lshlrev_b32_e32 v52, 20, v52
	v_and_b32_e32 v57, 0x80000000, v57
	v_lshl_add_u32 v30, v30, 23, v58
	v_or3_b32 v57, v57, v30, v52
.LBB605_93:
	s_or_b64 exec, exec, s[10:11]
.LBB605_94:
	s_or_b64 exec, exec, s[8:9]
.LBB605_95:
	s_or_b64 exec, exec, s[2:3]
	s_movk_i32 s2, 0xff
	v_and_b32_sdwa v52, v33, s2 dst_sel:DWORD dst_unused:UNUSED_PAD src0_sel:WORD_1 src1_sel:DWORD
	v_lshrrev_b32_e32 v30, 16, v33
	v_cmp_ne_u16_e32 vcc, 0, v52
	s_and_saveexec_b64 s[2:3], vcc
	s_cbranch_execz .LBB605_101
; %bb.96:
	s_movk_i32 s8, 0x80
	v_cmp_ne_u16_e32 vcc, s8, v52
	v_bfrev_b32_e32 v32, 1
	s_and_saveexec_b64 s[8:9], vcc
	s_cbranch_execz .LBB605_100
; %bb.97:
	v_bfe_u32 v52, v33, 16, 7
	s_movk_i32 s10, 0x7f
	v_cmp_ne_u32_e32 vcc, s10, v52
	v_mov_b32_e32 v32, 0x7f800001
	s_and_saveexec_b64 s[10:11], vcc
	s_cbranch_execz .LBB605_99
; %bb.98:
	v_and_b32_e32 v32, 7, v30
	v_ffbh_u32_e32 v58, v32
	v_min_u32_e32 v61, 32, v58
	v_subrev_u32_e32 v58, 28, v61
	v_lshlrev_b64 v[58:59], v58, v[30:31]
	v_lshrrev_b32_e32 v60, 3, v52
	v_sub_u32_e32 v30, 29, v61
	v_and_b32_e32 v58, 7, v58
	v_cmp_gt_u32_e32 vcc, 8, v52
	v_mov_b32_e32 v52, 24
	v_cndmask_b32_e32 v30, v60, v30, vcc
	v_cndmask_b32_e32 v32, v32, v58, vcc
	v_lshlrev_b32_sdwa v52, v52, v33 dst_sel:DWORD dst_unused:UNUSED_PAD src0_sel:DWORD src1_sel:WORD_1
	v_bfrev_b32_e32 v58, 60
	v_lshlrev_b32_e32 v32, 20, v32
	v_and_b32_e32 v52, 0x80000000, v52
	v_lshl_add_u32 v30, v30, 23, v58
	v_or3_b32 v32, v52, v30, v32
.LBB605_99:
	s_or_b64 exec, exec, s[10:11]
.LBB605_100:
	s_or_b64 exec, exec, s[8:9]
.LBB605_101:
	s_or_b64 exec, exec, s[2:3]
	s_mov_b32 s2, 0xffffff
	v_cmp_lt_u32_e32 vcc, s2, v33
	v_mov_b32_e32 v52, 0
	v_mov_b32_e32 v58, 0
	s_and_saveexec_b64 s[2:3], vcc
	s_cbranch_execz .LBB605_107
; %bb.102:
	v_lshrrev_b32_e32 v30, 24, v33
	s_movk_i32 s8, 0x80
	v_cmp_ne_u32_e32 vcc, s8, v30
	v_bfrev_b32_e32 v58, 1
	s_and_saveexec_b64 s[8:9], vcc
	s_cbranch_execz .LBB605_106
; %bb.103:
	v_bfe_u32 v33, v33, 24, 7
	s_movk_i32 s10, 0x7f
	v_cmp_ne_u32_e32 vcc, s10, v33
	v_mov_b32_e32 v58, 0x7f800001
	s_and_saveexec_b64 s[10:11], vcc
	s_cbranch_execz .LBB605_105
; %bb.104:
	v_and_b32_e32 v60, 7, v30
	v_ffbh_u32_e32 v58, v60
	v_min_u32_e32 v62, 32, v58
	v_subrev_u32_e32 v58, 28, v62
	v_lshlrev_b64 v[58:59], v58, v[30:31]
	v_lshrrev_b32_e32 v61, 3, v33
	v_sub_u32_e32 v59, 29, v62
	v_and_b32_e32 v58, 7, v58
	v_cmp_gt_u32_e32 vcc, 8, v33
	v_cndmask_b32_e32 v33, v61, v59, vcc
	v_cndmask_b32_e32 v58, v60, v58, vcc
	v_lshlrev_b32_e32 v30, 24, v30
	v_bfrev_b32_e32 v59, 60
	v_lshlrev_b32_e32 v58, 20, v58
	v_and_b32_e32 v30, 0x80000000, v30
	v_lshl_add_u32 v33, v33, 23, v59
	v_or3_b32 v58, v30, v33, v58
.LBB605_105:
	s_or_b64 exec, exec, s[10:11]
.LBB605_106:
	s_or_b64 exec, exec, s[8:9]
.LBB605_107:
	s_or_b64 exec, exec, s[2:3]
	v_cvt_pkrtz_f16_f32 v30, v53, v54
	v_cvt_pkrtz_f16_f32 v31, v31, v56
	s_waitcnt vmcnt(6)
	v_cmp_ne_u16_sdwa s[8:9], v38, v52 src0_sel:BYTE_0 src1_sel:DWORD
	v_mfma_f32_16x16x16f16 v[42:45], v[30:31], v[18:19], v[42:45]
	v_cvt_pkrtz_f16_f32 v30, v55, v57
	v_cvt_pkrtz_f16_f32 v31, v32, v58
	s_nop 1
	v_mfma_f32_16x16x16f16 v[30:33], v[30:31], v[20:21], v[42:45]
	s_and_saveexec_b64 s[2:3], s[8:9]
	s_cbranch_execz .LBB605_113
; %bb.108:
	s_movk_i32 s8, 0x80
	v_cmp_ne_u16_sdwa s[10:11], v38, s8 src0_sel:BYTE_0 src1_sel:DWORD
	v_bfrev_b32_e32 v52, 1
	s_and_saveexec_b64 s[8:9], s[10:11]
	s_cbranch_execz .LBB605_112
; %bb.109:
	s_movk_i32 s10, 0x7f
	v_and_b32_e32 v42, 0x7f, v38
	v_cmp_ne_u32_e32 vcc, s10, v42
	v_mov_b32_e32 v52, 0x7f800001
	s_and_saveexec_b64 s[10:11], vcc
	s_cbranch_execz .LBB605_111
; %bb.110:
	v_and_b32_e32 v43, 7, v38
	v_ffbh_u32_e32 v44, v43
	v_min_u32_e32 v53, 32, v44
	v_subrev_u32_e32 v44, 28, v53
	v_lshlrev_b64 v[44:45], v44, v[38:39]
	v_lshrrev_b32_e32 v52, 3, v42
	v_sub_u32_e32 v45, 29, v53
	v_and_b32_e32 v44, 7, v44
	v_cmp_gt_u32_e32 vcc, 8, v42
	v_cndmask_b32_e32 v42, v52, v45, vcc
	v_cndmask_b32_e32 v43, v43, v44, vcc
	v_lshlrev_b32_e32 v44, 24, v38
	v_bfrev_b32_e32 v45, 60
	v_lshlrev_b32_e32 v43, 20, v43
	v_and_b32_e32 v44, 0x80000000, v44
	v_lshl_add_u32 v42, v42, 23, v45
	v_or3_b32 v52, v44, v42, v43
.LBB605_111:
	s_or_b64 exec, exec, s[10:11]
.LBB605_112:
	s_or_b64 exec, exec, s[8:9]
.LBB605_113:
	s_or_b64 exec, exec, s[2:3]
	s_nop 3
	v_lshrrev_b16_e32 v42, 8, v38
	v_cmp_ne_u16_e32 vcc, 0, v42
	v_mov_b32_e32 v43, 0
	v_mov_b32_e32 v44, 0
	s_and_saveexec_b64 s[2:3], vcc
	s_cbranch_execz .LBB605_119
; %bb.114:
	s_movk_i32 s8, 0x80
	v_cmp_ne_u16_e32 vcc, s8, v42
	v_bfrev_b32_e32 v44, 1
	s_and_saveexec_b64 s[8:9], vcc
	s_cbranch_execz .LBB605_118
; %bb.115:
	s_movk_i32 s10, 0x7f
	v_and_b32_e32 v45, 0x7f, v42
	v_cmp_ne_u32_e32 vcc, s10, v45
	v_mov_b32_e32 v44, 0x7f800001
	s_and_saveexec_b64 s[10:11], vcc
	s_cbranch_execz .LBB605_117
; %bb.116:
	v_and_b32_e32 v44, 7, v42
	v_ffbh_u32_e32 v54, v44
	v_min_u32_e32 v56, 32, v54
	v_subrev_u32_e32 v54, 28, v56
	v_lshlrev_b64 v[54:55], v54, v[42:43]
	v_lshrrev_b32_e32 v53, 3, v45
	v_sub_u32_e32 v42, 29, v56
	v_and_b32_e32 v54, 7, v54
	v_cmp_gt_u32_e32 vcc, 8, v45
	v_cndmask_b32_e32 v42, v53, v42, vcc
	v_cndmask_b32_e32 v44, v44, v54, vcc
	v_lshlrev_b32_e32 v45, 16, v38
	v_bfrev_b32_e32 v53, 60
	v_lshlrev_b32_e32 v44, 20, v44
	v_and_b32_e32 v45, 0x80000000, v45
	v_lshl_add_u32 v42, v42, 23, v53
	v_or3_b32 v44, v45, v42, v44
.LBB605_117:
	s_or_b64 exec, exec, s[10:11]
.LBB605_118:
	s_or_b64 exec, exec, s[8:9]
.LBB605_119:
	s_or_b64 exec, exec, s[2:3]
	s_movk_i32 s2, 0xff
	v_and_b32_sdwa v45, v38, s2 dst_sel:DWORD dst_unused:UNUSED_PAD src0_sel:WORD_1 src1_sel:DWORD
	v_lshrrev_b32_e32 v42, 16, v38
	v_cmp_ne_u16_e32 vcc, 0, v45
	s_and_saveexec_b64 s[2:3], vcc
	s_cbranch_execz .LBB605_125
; %bb.120:
	s_movk_i32 s8, 0x80
	v_cmp_ne_u16_e32 vcc, s8, v45
	v_bfrev_b32_e32 v43, 1
	s_and_saveexec_b64 s[8:9], vcc
	s_cbranch_execz .LBB605_124
; %bb.121:
	v_bfe_u32 v45, v38, 16, 7
	s_movk_i32 s10, 0x7f
	v_cmp_ne_u32_e32 vcc, s10, v45
	v_mov_b32_e32 v43, 0x7f800001
	s_and_saveexec_b64 s[10:11], vcc
	s_cbranch_execz .LBB605_123
; %bb.122:
	v_and_b32_e32 v53, 7, v42
	v_ffbh_u32_e32 v43, v53
	v_min_u32_e32 v55, 32, v43
	v_subrev_u32_e32 v43, 28, v55
	v_lshlrev_b64 v[42:43], v43, v[42:43]
	v_lshrrev_b32_e32 v54, 3, v45
	v_sub_u32_e32 v43, 29, v55
	v_and_b32_e32 v42, 7, v42
	v_cmp_gt_u32_e32 vcc, 8, v45
	v_mov_b32_e32 v45, 24
	v_cndmask_b32_e32 v43, v54, v43, vcc
	v_cndmask_b32_e32 v42, v53, v42, vcc
	v_lshlrev_b32_sdwa v45, v45, v38 dst_sel:DWORD dst_unused:UNUSED_PAD src0_sel:DWORD src1_sel:WORD_1
	v_bfrev_b32_e32 v53, 60
	v_lshlrev_b32_e32 v42, 20, v42
	v_and_b32_e32 v45, 0x80000000, v45
	v_lshl_add_u32 v43, v43, 23, v53
	v_or3_b32 v43, v45, v43, v42
.LBB605_123:
	s_or_b64 exec, exec, s[10:11]
.LBB605_124:
	s_or_b64 exec, exec, s[8:9]
.LBB605_125:
	s_or_b64 exec, exec, s[2:3]
	s_mov_b32 s2, 0xffffff
	v_cmp_lt_u32_e32 vcc, s2, v38
	v_mov_b32_e32 v45, 0
	v_mov_b32_e32 v54, 0
	s_and_saveexec_b64 s[2:3], vcc
	s_cbranch_execz .LBB605_131
; %bb.126:
	v_lshrrev_b32_e32 v42, 24, v38
	s_movk_i32 s8, 0x80
	v_cmp_ne_u32_e32 vcc, s8, v42
	v_bfrev_b32_e32 v54, 1
	s_and_saveexec_b64 s[8:9], vcc
	s_cbranch_execz .LBB605_130
; %bb.127:
	v_bfe_u32 v38, v38, 24, 7
	s_movk_i32 s10, 0x7f
	v_cmp_ne_u32_e32 vcc, s10, v38
	v_mov_b32_e32 v54, 0x7f800001
	s_and_saveexec_b64 s[10:11], vcc
	s_cbranch_execz .LBB605_129
; %bb.128:
	v_and_b32_e32 v53, 7, v42
	v_ffbh_u32_e32 v54, v53
	v_min_u32_e32 v57, 32, v54
	v_subrev_u32_e32 v54, 28, v57
	v_lshlrev_b64 v[54:55], v54, v[42:43]
	v_lshrrev_b32_e32 v56, 3, v38
	v_sub_u32_e32 v55, 29, v57
	v_and_b32_e32 v54, 7, v54
	v_cmp_gt_u32_e32 vcc, 8, v38
	v_cndmask_b32_e32 v38, v56, v55, vcc
	v_cndmask_b32_e32 v53, v53, v54, vcc
	v_lshlrev_b32_e32 v42, 24, v42
	v_bfrev_b32_e32 v54, 60
	v_lshlrev_b32_e32 v53, 20, v53
	v_and_b32_e32 v42, 0x80000000, v42
	v_lshl_add_u32 v38, v38, 23, v54
	v_or3_b32 v54, v42, v38, v53
.LBB605_129:
	s_or_b64 exec, exec, s[10:11]
.LBB605_130:
	s_or_b64 exec, exec, s[8:9]
.LBB605_131:
	s_or_b64 exec, exec, s[2:3]
	v_cmp_ne_u16_sdwa s[8:9], v39, v45 src0_sel:BYTE_0 src1_sel:DWORD
	s_and_saveexec_b64 s[2:3], s[8:9]
	s_cbranch_execz .LBB605_137
; %bb.132:
	s_movk_i32 s8, 0x80
	v_cmp_ne_u16_sdwa s[10:11], v39, s8 src0_sel:BYTE_0 src1_sel:DWORD
	v_bfrev_b32_e32 v45, 1
	s_and_saveexec_b64 s[8:9], s[10:11]
	s_cbranch_execz .LBB605_136
; %bb.133:
	s_movk_i32 s10, 0x7f
	v_and_b32_e32 v38, 0x7f, v39
	v_cmp_ne_u32_e32 vcc, s10, v38
	v_mov_b32_e32 v45, 0x7f800001
	s_and_saveexec_b64 s[10:11], vcc
	s_cbranch_execz .LBB605_135
; %bb.134:
	v_and_b32_e32 v45, 7, v39
	v_ffbh_u32_e32 v55, v45
	v_min_u32_e32 v55, 32, v55
	v_mov_b32_e32 v42, v39
	v_subrev_u32_e32 v56, 28, v55
	v_lshlrev_b64 v[56:57], v56, v[42:43]
	v_lshrrev_b32_e32 v53, 3, v38
	v_sub_u32_e32 v42, 29, v55
	v_and_b32_e32 v55, 7, v56
	v_cmp_gt_u32_e32 vcc, 8, v38
	v_cndmask_b32_e32 v38, v53, v42, vcc
	v_cndmask_b32_e32 v42, v45, v55, vcc
	v_lshlrev_b32_e32 v45, 24, v39
	v_bfrev_b32_e32 v53, 60
	v_lshlrev_b32_e32 v42, 20, v42
	v_and_b32_e32 v45, 0x80000000, v45
	v_lshl_add_u32 v38, v38, 23, v53
	v_or3_b32 v45, v45, v38, v42
.LBB605_135:
	s_or_b64 exec, exec, s[10:11]
.LBB605_136:
	s_or_b64 exec, exec, s[8:9]
.LBB605_137:
	s_or_b64 exec, exec, s[2:3]
	v_lshrrev_b16_e32 v38, 8, v39
	v_cmp_ne_u16_e32 vcc, 0, v38
	v_mov_b32_e32 v42, 0
	v_mov_b32_e32 v55, 0
	s_and_saveexec_b64 s[2:3], vcc
	s_cbranch_execz .LBB605_143
; %bb.138:
	s_movk_i32 s8, 0x80
	v_cmp_ne_u16_e32 vcc, s8, v38
	v_bfrev_b32_e32 v55, 1
	s_and_saveexec_b64 s[8:9], vcc
	s_cbranch_execz .LBB605_142
; %bb.139:
	s_movk_i32 s10, 0x7f
	v_and_b32_e32 v53, 0x7f, v38
	v_cmp_ne_u32_e32 vcc, s10, v53
	v_mov_b32_e32 v55, 0x7f800001
	s_and_saveexec_b64 s[10:11], vcc
	s_cbranch_execz .LBB605_141
; %bb.140:
	v_and_b32_e32 v55, 7, v38
	v_ffbh_u32_e32 v56, v55
	v_min_u32_e32 v59, 32, v56
	v_subrev_u32_e32 v56, 28, v59
	v_lshlrev_b64 v[56:57], v56, v[38:39]
	v_lshrrev_b32_e32 v58, 3, v53
	v_sub_u32_e32 v38, 29, v59
	v_and_b32_e32 v56, 7, v56
	v_cmp_gt_u32_e32 vcc, 8, v53
	v_cndmask_b32_e32 v38, v58, v38, vcc
	v_cndmask_b32_e32 v53, v55, v56, vcc
	v_lshlrev_b32_e32 v55, 16, v39
	v_bfrev_b32_e32 v56, 60
	v_lshlrev_b32_e32 v53, 20, v53
	v_and_b32_e32 v55, 0x80000000, v55
	v_lshl_add_u32 v38, v38, 23, v56
	v_or3_b32 v55, v55, v38, v53
.LBB605_141:
	s_or_b64 exec, exec, s[10:11]
.LBB605_142:
	s_or_b64 exec, exec, s[8:9]
.LBB605_143:
	s_or_b64 exec, exec, s[2:3]
	s_movk_i32 s2, 0xff
	v_and_b32_sdwa v53, v39, s2 dst_sel:DWORD dst_unused:UNUSED_PAD src0_sel:WORD_1 src1_sel:DWORD
	v_lshrrev_b32_e32 v38, 16, v39
	v_cmp_ne_u16_e32 vcc, 0, v53
	s_and_saveexec_b64 s[2:3], vcc
	s_cbranch_execz .LBB605_149
; %bb.144:
	s_movk_i32 s8, 0x80
	v_cmp_ne_u16_e32 vcc, s8, v53
	v_bfrev_b32_e32 v42, 1
	s_and_saveexec_b64 s[8:9], vcc
	s_cbranch_execz .LBB605_148
; %bb.145:
	v_bfe_u32 v53, v39, 16, 7
	s_movk_i32 s10, 0x7f
	v_cmp_ne_u32_e32 vcc, s10, v53
	v_mov_b32_e32 v42, 0x7f800001
	s_and_saveexec_b64 s[10:11], vcc
	s_cbranch_execz .LBB605_147
; %bb.146:
	v_and_b32_e32 v42, 7, v38
	v_ffbh_u32_e32 v56, v42
	v_min_u32_e32 v59, 32, v56
	v_subrev_u32_e32 v56, 28, v59
	v_lshlrev_b64 v[56:57], v56, v[38:39]
	v_lshrrev_b32_e32 v58, 3, v53
	v_sub_u32_e32 v38, 29, v59
	v_and_b32_e32 v56, 7, v56
	v_cmp_gt_u32_e32 vcc, 8, v53
	v_mov_b32_e32 v53, 24
	v_cndmask_b32_e32 v38, v58, v38, vcc
	v_cndmask_b32_e32 v42, v42, v56, vcc
	v_lshlrev_b32_sdwa v53, v53, v39 dst_sel:DWORD dst_unused:UNUSED_PAD src0_sel:DWORD src1_sel:WORD_1
	v_bfrev_b32_e32 v56, 60
	v_lshlrev_b32_e32 v42, 20, v42
	v_and_b32_e32 v53, 0x80000000, v53
	v_lshl_add_u32 v38, v38, 23, v56
	v_or3_b32 v42, v53, v38, v42
.LBB605_147:
	s_or_b64 exec, exec, s[10:11]
.LBB605_148:
	s_or_b64 exec, exec, s[8:9]
.LBB605_149:
	s_or_b64 exec, exec, s[2:3]
	s_mov_b32 s2, 0xffffff
	v_cmp_lt_u32_e32 vcc, s2, v39
	v_mov_b32_e32 v53, 0
	v_mov_b32_e32 v56, 0
	s_and_saveexec_b64 s[2:3], vcc
	s_cbranch_execz .LBB605_155
; %bb.150:
	v_lshrrev_b32_e32 v38, 24, v39
	s_movk_i32 s8, 0x80
	v_cmp_ne_u32_e32 vcc, s8, v38
	v_bfrev_b32_e32 v56, 1
	s_and_saveexec_b64 s[8:9], vcc
	s_cbranch_execz .LBB605_154
; %bb.151:
	v_bfe_u32 v39, v39, 24, 7
	s_movk_i32 s10, 0x7f
	v_cmp_ne_u32_e32 vcc, s10, v39
	v_mov_b32_e32 v56, 0x7f800001
	s_and_saveexec_b64 s[10:11], vcc
	s_cbranch_execz .LBB605_153
; %bb.152:
	v_and_b32_e32 v58, 7, v38
	v_ffbh_u32_e32 v56, v58
	v_min_u32_e32 v60, 32, v56
	v_subrev_u32_e32 v56, 28, v60
	v_lshlrev_b64 v[56:57], v56, v[38:39]
	v_lshrrev_b32_e32 v59, 3, v39
	v_sub_u32_e32 v57, 29, v60
	v_and_b32_e32 v56, 7, v56
	v_cmp_gt_u32_e32 vcc, 8, v39
	v_cndmask_b32_e32 v39, v59, v57, vcc
	v_cndmask_b32_e32 v56, v58, v56, vcc
	v_lshlrev_b32_e32 v38, 24, v38
	v_bfrev_b32_e32 v57, 60
	v_lshlrev_b32_e32 v56, 20, v56
	v_and_b32_e32 v38, 0x80000000, v38
	v_lshl_add_u32 v39, v39, 23, v57
	v_or3_b32 v56, v38, v39, v56
.LBB605_153:
	s_or_b64 exec, exec, s[10:11]
.LBB605_154:
	s_or_b64 exec, exec, s[8:9]
.LBB605_155:
	s_or_b64 exec, exec, s[2:3]
	v_cvt_pkrtz_f16_f32 v38, v52, v44
	v_cvt_pkrtz_f16_f32 v39, v43, v54
	v_cmp_ne_u16_sdwa s[8:9], v40, v53 src0_sel:BYTE_0 src1_sel:DWORD
	s_nop 0
	v_mfma_f32_16x16x16f16 v[58:61], v[38:39], v[26:27], 0
	v_cvt_pkrtz_f16_f32 v38, v45, v55
	v_cvt_pkrtz_f16_f32 v39, v42, v56
	s_nop 1
	v_mfma_f32_16x16x16f16 v[42:45], v[38:39], v[28:29], v[58:61]
	s_and_saveexec_b64 s[2:3], s[8:9]
	s_cbranch_execz .LBB605_161
; %bb.156:
	s_movk_i32 s8, 0x80
	v_cmp_ne_u16_sdwa s[10:11], v40, s8 src0_sel:BYTE_0 src1_sel:DWORD
	v_bfrev_b32_e32 v53, 1
	s_and_saveexec_b64 s[8:9], s[10:11]
	s_cbranch_execz .LBB605_160
; %bb.157:
	s_movk_i32 s10, 0x7f
	v_and_b32_e32 v38, 0x7f, v40
	v_cmp_ne_u32_e32 vcc, s10, v38
	v_mov_b32_e32 v53, 0x7f800001
	s_and_saveexec_b64 s[10:11], vcc
	s_cbranch_execz .LBB605_159
; %bb.158:
	v_and_b32_e32 v39, 7, v40
	v_ffbh_u32_e32 v52, v39
	v_min_u32_e32 v55, 32, v52
	v_subrev_u32_e32 v52, 28, v55
	v_lshlrev_b64 v[52:53], v52, v[40:41]
	v_lshrrev_b32_e32 v54, 3, v38
	v_sub_u32_e32 v53, 29, v55
	v_and_b32_e32 v52, 7, v52
	v_cmp_gt_u32_e32 vcc, 8, v38
	v_cndmask_b32_e32 v38, v54, v53, vcc
	v_cndmask_b32_e32 v39, v39, v52, vcc
	v_lshlrev_b32_e32 v52, 24, v40
	v_bfrev_b32_e32 v53, 60
	v_lshlrev_b32_e32 v39, 20, v39
	v_and_b32_e32 v52, 0x80000000, v52
	v_lshl_add_u32 v38, v38, 23, v53
	v_or3_b32 v53, v52, v38, v39
.LBB605_159:
	s_or_b64 exec, exec, s[10:11]
.LBB605_160:
	s_or_b64 exec, exec, s[8:9]
.LBB605_161:
	s_or_b64 exec, exec, s[2:3]
	v_lshrrev_b16_e32 v38, 8, v40
	v_cmp_ne_u16_e32 vcc, 0, v38
	v_mov_b32_e32 v39, 0
	v_mov_b32_e32 v54, 0
	s_and_saveexec_b64 s[2:3], vcc
	s_cbranch_execz .LBB605_167
; %bb.162:
	s_movk_i32 s8, 0x80
	v_cmp_ne_u16_e32 vcc, s8, v38
	v_bfrev_b32_e32 v54, 1
	s_and_saveexec_b64 s[8:9], vcc
	s_cbranch_execz .LBB605_166
; %bb.163:
	s_movk_i32 s10, 0x7f
	v_and_b32_e32 v52, 0x7f, v38
	v_cmp_ne_u32_e32 vcc, s10, v52
	v_mov_b32_e32 v54, 0x7f800001
	s_and_saveexec_b64 s[10:11], vcc
	s_cbranch_execz .LBB605_165
; %bb.164:
	v_and_b32_e32 v56, 7, v38
	v_ffbh_u32_e32 v54, v56
	v_min_u32_e32 v58, 32, v54
	v_subrev_u32_e32 v54, 28, v58
	v_lshlrev_b64 v[54:55], v54, v[38:39]
	v_lshrrev_b32_e32 v57, 3, v52
	v_sub_u32_e32 v38, 29, v58
	v_and_b32_e32 v54, 7, v54
	v_cmp_gt_u32_e32 vcc, 8, v52
	v_cndmask_b32_e32 v38, v57, v38, vcc
	v_cndmask_b32_e32 v52, v56, v54, vcc
	v_lshlrev_b32_e32 v54, 16, v40
	v_bfrev_b32_e32 v55, 60
	v_lshlrev_b32_e32 v52, 20, v52
	v_and_b32_e32 v54, 0x80000000, v54
	v_lshl_add_u32 v38, v38, 23, v55
	v_or3_b32 v54, v54, v38, v52
.LBB605_165:
	s_or_b64 exec, exec, s[10:11]
.LBB605_166:
	s_or_b64 exec, exec, s[8:9]
.LBB605_167:
	s_or_b64 exec, exec, s[2:3]
	s_movk_i32 s2, 0xff
	v_and_b32_sdwa v52, v40, s2 dst_sel:DWORD dst_unused:UNUSED_PAD src0_sel:WORD_1 src1_sel:DWORD
	v_lshrrev_b32_e32 v38, 16, v40
	v_cmp_ne_u16_e32 vcc, 0, v52
	s_and_saveexec_b64 s[2:3], vcc
	s_cbranch_execz .LBB605_173
; %bb.168:
	s_movk_i32 s8, 0x80
	v_cmp_ne_u16_e32 vcc, s8, v52
	v_bfrev_b32_e32 v39, 1
	s_and_saveexec_b64 s[8:9], vcc
	s_cbranch_execz .LBB605_172
; %bb.169:
	v_bfe_u32 v52, v40, 16, 7
	s_movk_i32 s10, 0x7f
	v_cmp_ne_u32_e32 vcc, s10, v52
	v_mov_b32_e32 v39, 0x7f800001
	s_and_saveexec_b64 s[10:11], vcc
	s_cbranch_execz .LBB605_171
; %bb.170:
	v_and_b32_e32 v55, 7, v38
	v_ffbh_u32_e32 v39, v55
	v_min_u32_e32 v57, 32, v39
	v_subrev_u32_e32 v39, 28, v57
	v_lshlrev_b64 v[38:39], v39, v[38:39]
	v_lshrrev_b32_e32 v56, 3, v52
	v_sub_u32_e32 v39, 29, v57
	v_and_b32_e32 v38, 7, v38
	v_cmp_gt_u32_e32 vcc, 8, v52
	v_mov_b32_e32 v52, 24
	v_cndmask_b32_e32 v39, v56, v39, vcc
	v_cndmask_b32_e32 v38, v55, v38, vcc
	v_lshlrev_b32_sdwa v52, v52, v40 dst_sel:DWORD dst_unused:UNUSED_PAD src0_sel:DWORD src1_sel:WORD_1
	v_bfrev_b32_e32 v55, 60
	v_lshlrev_b32_e32 v38, 20, v38
	v_and_b32_e32 v52, 0x80000000, v52
	v_lshl_add_u32 v39, v39, 23, v55
	v_or3_b32 v39, v52, v39, v38
.LBB605_171:
	s_or_b64 exec, exec, s[10:11]
.LBB605_172:
	s_or_b64 exec, exec, s[8:9]
.LBB605_173:
	s_or_b64 exec, exec, s[2:3]
	s_mov_b32 s2, 0xffffff
	v_cmp_lt_u32_e32 vcc, s2, v40
	v_mov_b32_e32 v55, 0
	v_mov_b32_e32 v56, 0
	s_and_saveexec_b64 s[2:3], vcc
	s_cbranch_execz .LBB605_179
; %bb.174:
	v_lshrrev_b32_e32 v38, 24, v40
	s_movk_i32 s8, 0x80
	v_cmp_ne_u32_e32 vcc, s8, v38
	v_bfrev_b32_e32 v56, 1
	s_and_saveexec_b64 s[8:9], vcc
	s_cbranch_execz .LBB605_178
; %bb.175:
	v_bfe_u32 v40, v40, 24, 7
	s_movk_i32 s10, 0x7f
	v_cmp_ne_u32_e32 vcc, s10, v40
	v_mov_b32_e32 v56, 0x7f800001
	s_and_saveexec_b64 s[10:11], vcc
	s_cbranch_execz .LBB605_177
; %bb.176:
	v_and_b32_e32 v52, 7, v38
	v_ffbh_u32_e32 v56, v52
	v_min_u32_e32 v59, 32, v56
	v_subrev_u32_e32 v56, 28, v59
	v_lshlrev_b64 v[56:57], v56, v[38:39]
	v_lshrrev_b32_e32 v58, 3, v40
	v_sub_u32_e32 v57, 29, v59
	v_and_b32_e32 v56, 7, v56
	v_cmp_gt_u32_e32 vcc, 8, v40
	v_cndmask_b32_e32 v40, v58, v57, vcc
	v_cndmask_b32_e32 v52, v52, v56, vcc
	v_lshlrev_b32_e32 v38, 24, v38
	v_bfrev_b32_e32 v56, 60
	v_lshlrev_b32_e32 v52, 20, v52
	v_and_b32_e32 v38, 0x80000000, v38
	v_lshl_add_u32 v40, v40, 23, v56
	v_or3_b32 v56, v38, v40, v52
.LBB605_177:
	s_or_b64 exec, exec, s[10:11]
.LBB605_178:
	s_or_b64 exec, exec, s[8:9]
.LBB605_179:
	s_or_b64 exec, exec, s[2:3]
	v_cmp_ne_u16_sdwa s[8:9], v41, v55 src0_sel:BYTE_0 src1_sel:DWORD
	s_and_saveexec_b64 s[2:3], s[8:9]
	s_cbranch_execz .LBB605_185
; %bb.180:
	s_movk_i32 s8, 0x80
	v_cmp_ne_u16_sdwa s[10:11], v41, s8 src0_sel:BYTE_0 src1_sel:DWORD
	v_bfrev_b32_e32 v55, 1
	s_and_saveexec_b64 s[8:9], s[10:11]
	s_cbranch_execz .LBB605_184
; %bb.181:
	s_movk_i32 s10, 0x7f
	v_and_b32_e32 v38, 0x7f, v41
	v_cmp_ne_u32_e32 vcc, s10, v38
	v_mov_b32_e32 v55, 0x7f800001
	s_and_saveexec_b64 s[10:11], vcc
	s_cbranch_execz .LBB605_183
; %bb.182:
	v_and_b32_e32 v52, 7, v41
	v_ffbh_u32_e32 v57, v52
	v_min_u32_e32 v57, 32, v57
	v_mov_b32_e32 v40, v41
	v_subrev_u32_e32 v58, 28, v57
	v_lshlrev_b64 v[58:59], v58, v[40:41]
	v_lshrrev_b32_e32 v55, 3, v38
	v_sub_u32_e32 v40, 29, v57
	v_and_b32_e32 v57, 7, v58
	v_cmp_gt_u32_e32 vcc, 8, v38
	v_cndmask_b32_e32 v38, v55, v40, vcc
	v_cndmask_b32_e32 v40, v52, v57, vcc
	v_lshlrev_b32_e32 v52, 24, v41
	v_bfrev_b32_e32 v55, 60
	v_lshlrev_b32_e32 v40, 20, v40
	v_and_b32_e32 v52, 0x80000000, v52
	v_lshl_add_u32 v38, v38, 23, v55
	v_or3_b32 v55, v52, v38, v40
.LBB605_183:
	s_or_b64 exec, exec, s[10:11]
.LBB605_184:
	s_or_b64 exec, exec, s[8:9]
.LBB605_185:
	s_or_b64 exec, exec, s[2:3]
	v_lshrrev_b16_e32 v38, 8, v41
	v_cmp_ne_u16_e32 vcc, 0, v38
	v_mov_b32_e32 v40, 0
	v_mov_b32_e32 v57, 0
	s_and_saveexec_b64 s[2:3], vcc
	s_cbranch_execz .LBB605_191
; %bb.186:
	s_movk_i32 s8, 0x80
	v_cmp_ne_u16_e32 vcc, s8, v38
	v_bfrev_b32_e32 v57, 1
	s_and_saveexec_b64 s[8:9], vcc
	s_cbranch_execz .LBB605_190
; %bb.187:
	s_movk_i32 s10, 0x7f
	v_and_b32_e32 v52, 0x7f, v38
	v_cmp_ne_u32_e32 vcc, s10, v52
	v_mov_b32_e32 v57, 0x7f800001
	s_and_saveexec_b64 s[10:11], vcc
	s_cbranch_execz .LBB605_189
; %bb.188:
	v_and_b32_e32 v57, 7, v38
	v_ffbh_u32_e32 v58, v57
	v_min_u32_e32 v61, 32, v58
	v_subrev_u32_e32 v58, 28, v61
	v_lshlrev_b64 v[58:59], v58, v[38:39]
	v_lshrrev_b32_e32 v60, 3, v52
	v_sub_u32_e32 v38, 29, v61
	v_and_b32_e32 v58, 7, v58
	v_cmp_gt_u32_e32 vcc, 8, v52
	v_cndmask_b32_e32 v38, v60, v38, vcc
	v_cndmask_b32_e32 v52, v57, v58, vcc
	v_lshlrev_b32_e32 v57, 16, v41
	v_bfrev_b32_e32 v58, 60
	v_lshlrev_b32_e32 v52, 20, v52
	v_and_b32_e32 v57, 0x80000000, v57
	v_lshl_add_u32 v38, v38, 23, v58
	v_or3_b32 v57, v57, v38, v52
.LBB605_189:
	s_or_b64 exec, exec, s[10:11]
.LBB605_190:
	s_or_b64 exec, exec, s[8:9]
.LBB605_191:
	s_or_b64 exec, exec, s[2:3]
	s_movk_i32 s2, 0xff
	v_and_b32_sdwa v52, v41, s2 dst_sel:DWORD dst_unused:UNUSED_PAD src0_sel:WORD_1 src1_sel:DWORD
	v_lshrrev_b32_e32 v38, 16, v41
	v_cmp_ne_u16_e32 vcc, 0, v52
	s_and_saveexec_b64 s[2:3], vcc
	s_cbranch_execz .LBB605_197
; %bb.192:
	s_movk_i32 s8, 0x80
	v_cmp_ne_u16_e32 vcc, s8, v52
	v_bfrev_b32_e32 v40, 1
	s_and_saveexec_b64 s[8:9], vcc
	s_cbranch_execz .LBB605_196
; %bb.193:
	v_bfe_u32 v52, v41, 16, 7
	s_movk_i32 s10, 0x7f
	v_cmp_ne_u32_e32 vcc, s10, v52
	v_mov_b32_e32 v40, 0x7f800001
	s_and_saveexec_b64 s[10:11], vcc
	s_cbranch_execz .LBB605_195
; %bb.194:
	v_and_b32_e32 v40, 7, v38
	v_ffbh_u32_e32 v58, v40
	v_min_u32_e32 v61, 32, v58
	v_subrev_u32_e32 v58, 28, v61
	v_lshlrev_b64 v[58:59], v58, v[38:39]
	v_lshrrev_b32_e32 v60, 3, v52
	v_sub_u32_e32 v38, 29, v61
	v_and_b32_e32 v58, 7, v58
	v_cmp_gt_u32_e32 vcc, 8, v52
	v_mov_b32_e32 v52, 24
	v_cndmask_b32_e32 v38, v60, v38, vcc
	v_cndmask_b32_e32 v40, v40, v58, vcc
	v_lshlrev_b32_sdwa v52, v52, v41 dst_sel:DWORD dst_unused:UNUSED_PAD src0_sel:DWORD src1_sel:WORD_1
	v_bfrev_b32_e32 v58, 60
	v_lshlrev_b32_e32 v40, 20, v40
	v_and_b32_e32 v52, 0x80000000, v52
	v_lshl_add_u32 v38, v38, 23, v58
	v_or3_b32 v40, v52, v38, v40
.LBB605_195:
	s_or_b64 exec, exec, s[10:11]
.LBB605_196:
	s_or_b64 exec, exec, s[8:9]
.LBB605_197:
	s_or_b64 exec, exec, s[2:3]
	s_mov_b32 s2, 0xffffff
	v_cmp_lt_u32_e32 vcc, s2, v41
	v_mov_b32_e32 v52, 0
	v_mov_b32_e32 v58, 0
	s_and_saveexec_b64 s[2:3], vcc
	s_cbranch_execz .LBB605_203
; %bb.198:
	v_lshrrev_b32_e32 v38, 24, v41
	s_movk_i32 s8, 0x80
	v_cmp_ne_u32_e32 vcc, s8, v38
	v_bfrev_b32_e32 v58, 1
	s_and_saveexec_b64 s[8:9], vcc
	s_cbranch_execz .LBB605_202
; %bb.199:
	v_bfe_u32 v41, v41, 24, 7
	s_movk_i32 s10, 0x7f
	v_cmp_ne_u32_e32 vcc, s10, v41
	v_mov_b32_e32 v58, 0x7f800001
	s_and_saveexec_b64 s[10:11], vcc
	s_cbranch_execz .LBB605_201
; %bb.200:
	v_and_b32_e32 v60, 7, v38
	v_ffbh_u32_e32 v58, v60
	v_min_u32_e32 v62, 32, v58
	v_subrev_u32_e32 v58, 28, v62
	v_lshlrev_b64 v[58:59], v58, v[38:39]
	v_lshrrev_b32_e32 v61, 3, v41
	v_sub_u32_e32 v59, 29, v62
	v_and_b32_e32 v58, 7, v58
	v_cmp_gt_u32_e32 vcc, 8, v41
	v_cndmask_b32_e32 v41, v61, v59, vcc
	v_cndmask_b32_e32 v58, v60, v58, vcc
	v_lshlrev_b32_e32 v38, 24, v38
	v_bfrev_b32_e32 v59, 60
	v_lshlrev_b32_e32 v58, 20, v58
	v_and_b32_e32 v38, 0x80000000, v38
	v_lshl_add_u32 v41, v41, 23, v59
	v_or3_b32 v58, v38, v41, v58
.LBB605_201:
	s_or_b64 exec, exec, s[10:11]
.LBB605_202:
	s_or_b64 exec, exec, s[8:9]
.LBB605_203:
	s_or_b64 exec, exec, s[2:3]
	v_cvt_pkrtz_f16_f32 v38, v53, v54
	v_cvt_pkrtz_f16_f32 v39, v39, v56
	s_waitcnt vmcnt(5)
	v_cmp_ne_u16_sdwa s[8:9], v34, v52 src0_sel:BYTE_0 src1_sel:DWORD
	v_mfma_f32_16x16x16f16 v[42:45], v[38:39], v[18:19], v[42:45]
	v_cvt_pkrtz_f16_f32 v38, v55, v57
	v_cvt_pkrtz_f16_f32 v39, v40, v58
	s_nop 1
	v_mfma_f32_16x16x16f16 v[38:41], v[38:39], v[20:21], v[42:45]
	s_and_saveexec_b64 s[2:3], s[8:9]
	s_cbranch_execz .LBB605_209
; %bb.204:
	s_movk_i32 s8, 0x80
	v_cmp_ne_u16_sdwa s[10:11], v34, s8 src0_sel:BYTE_0 src1_sel:DWORD
	v_bfrev_b32_e32 v52, 1
	s_and_saveexec_b64 s[8:9], s[10:11]
	s_cbranch_execz .LBB605_208
; %bb.205:
	s_movk_i32 s10, 0x7f
	v_and_b32_e32 v42, 0x7f, v34
	v_cmp_ne_u32_e32 vcc, s10, v42
	v_mov_b32_e32 v52, 0x7f800001
	s_and_saveexec_b64 s[10:11], vcc
	s_cbranch_execz .LBB605_207
; %bb.206:
	v_and_b32_e32 v43, 7, v34
	v_ffbh_u32_e32 v44, v43
	v_min_u32_e32 v53, 32, v44
	v_subrev_u32_e32 v44, 28, v53
	v_lshlrev_b64 v[44:45], v44, v[34:35]
	v_lshrrev_b32_e32 v52, 3, v42
	v_sub_u32_e32 v45, 29, v53
	v_and_b32_e32 v44, 7, v44
	v_cmp_gt_u32_e32 vcc, 8, v42
	v_cndmask_b32_e32 v42, v52, v45, vcc
	v_cndmask_b32_e32 v43, v43, v44, vcc
	v_lshlrev_b32_e32 v44, 24, v34
	v_bfrev_b32_e32 v45, 60
	v_lshlrev_b32_e32 v43, 20, v43
	v_and_b32_e32 v44, 0x80000000, v44
	v_lshl_add_u32 v42, v42, 23, v45
	v_or3_b32 v52, v44, v42, v43
.LBB605_207:
	s_or_b64 exec, exec, s[10:11]
.LBB605_208:
	s_or_b64 exec, exec, s[8:9]
.LBB605_209:
	s_or_b64 exec, exec, s[2:3]
	s_nop 3
	v_lshrrev_b16_e32 v42, 8, v34
	v_cmp_ne_u16_e32 vcc, 0, v42
	v_mov_b32_e32 v43, 0
	v_mov_b32_e32 v44, 0
	s_and_saveexec_b64 s[2:3], vcc
	s_cbranch_execz .LBB605_215
; %bb.210:
	s_movk_i32 s8, 0x80
	v_cmp_ne_u16_e32 vcc, s8, v42
	v_bfrev_b32_e32 v44, 1
	s_and_saveexec_b64 s[8:9], vcc
	s_cbranch_execz .LBB605_214
; %bb.211:
	s_movk_i32 s10, 0x7f
	v_and_b32_e32 v45, 0x7f, v42
	v_cmp_ne_u32_e32 vcc, s10, v45
	v_mov_b32_e32 v44, 0x7f800001
	s_and_saveexec_b64 s[10:11], vcc
	s_cbranch_execz .LBB605_213
; %bb.212:
	v_and_b32_e32 v44, 7, v42
	v_ffbh_u32_e32 v54, v44
	v_min_u32_e32 v56, 32, v54
	v_subrev_u32_e32 v54, 28, v56
	v_lshlrev_b64 v[54:55], v54, v[42:43]
	v_lshrrev_b32_e32 v53, 3, v45
	v_sub_u32_e32 v42, 29, v56
	v_and_b32_e32 v54, 7, v54
	v_cmp_gt_u32_e32 vcc, 8, v45
	v_cndmask_b32_e32 v42, v53, v42, vcc
	v_cndmask_b32_e32 v44, v44, v54, vcc
	v_lshlrev_b32_e32 v45, 16, v34
	v_bfrev_b32_e32 v53, 60
	v_lshlrev_b32_e32 v44, 20, v44
	v_and_b32_e32 v45, 0x80000000, v45
	v_lshl_add_u32 v42, v42, 23, v53
	v_or3_b32 v44, v45, v42, v44
.LBB605_213:
	s_or_b64 exec, exec, s[10:11]
.LBB605_214:
	s_or_b64 exec, exec, s[8:9]
.LBB605_215:
	s_or_b64 exec, exec, s[2:3]
	s_movk_i32 s2, 0xff
	v_and_b32_sdwa v45, v34, s2 dst_sel:DWORD dst_unused:UNUSED_PAD src0_sel:WORD_1 src1_sel:DWORD
	v_lshrrev_b32_e32 v42, 16, v34
	v_cmp_ne_u16_e32 vcc, 0, v45
	s_and_saveexec_b64 s[2:3], vcc
	s_cbranch_execz .LBB605_221
; %bb.216:
	s_movk_i32 s8, 0x80
	v_cmp_ne_u16_e32 vcc, s8, v45
	v_bfrev_b32_e32 v43, 1
	s_and_saveexec_b64 s[8:9], vcc
	s_cbranch_execz .LBB605_220
; %bb.217:
	v_bfe_u32 v45, v34, 16, 7
	s_movk_i32 s10, 0x7f
	v_cmp_ne_u32_e32 vcc, s10, v45
	v_mov_b32_e32 v43, 0x7f800001
	s_and_saveexec_b64 s[10:11], vcc
	s_cbranch_execz .LBB605_219
; %bb.218:
	v_and_b32_e32 v53, 7, v42
	v_ffbh_u32_e32 v43, v53
	v_min_u32_e32 v55, 32, v43
	v_subrev_u32_e32 v43, 28, v55
	v_lshlrev_b64 v[42:43], v43, v[42:43]
	v_lshrrev_b32_e32 v54, 3, v45
	v_sub_u32_e32 v43, 29, v55
	v_and_b32_e32 v42, 7, v42
	v_cmp_gt_u32_e32 vcc, 8, v45
	v_mov_b32_e32 v45, 24
	v_cndmask_b32_e32 v43, v54, v43, vcc
	v_cndmask_b32_e32 v42, v53, v42, vcc
	v_lshlrev_b32_sdwa v45, v45, v34 dst_sel:DWORD dst_unused:UNUSED_PAD src0_sel:DWORD src1_sel:WORD_1
	v_bfrev_b32_e32 v53, 60
	v_lshlrev_b32_e32 v42, 20, v42
	v_and_b32_e32 v45, 0x80000000, v45
	v_lshl_add_u32 v43, v43, 23, v53
	v_or3_b32 v43, v45, v43, v42
.LBB605_219:
	s_or_b64 exec, exec, s[10:11]
.LBB605_220:
	s_or_b64 exec, exec, s[8:9]
.LBB605_221:
	s_or_b64 exec, exec, s[2:3]
	s_mov_b32 s2, 0xffffff
	v_cmp_lt_u32_e32 vcc, s2, v34
	v_mov_b32_e32 v45, 0
	v_mov_b32_e32 v54, 0
	s_and_saveexec_b64 s[2:3], vcc
	s_cbranch_execz .LBB605_227
; %bb.222:
	v_lshrrev_b32_e32 v42, 24, v34
	s_movk_i32 s8, 0x80
	v_cmp_ne_u32_e32 vcc, s8, v42
	v_bfrev_b32_e32 v54, 1
	s_and_saveexec_b64 s[8:9], vcc
	s_cbranch_execz .LBB605_226
; %bb.223:
	v_bfe_u32 v34, v34, 24, 7
	s_movk_i32 s10, 0x7f
	v_cmp_ne_u32_e32 vcc, s10, v34
	v_mov_b32_e32 v54, 0x7f800001
	s_and_saveexec_b64 s[10:11], vcc
	s_cbranch_execz .LBB605_225
; %bb.224:
	v_and_b32_e32 v53, 7, v42
	v_ffbh_u32_e32 v54, v53
	v_min_u32_e32 v57, 32, v54
	v_subrev_u32_e32 v54, 28, v57
	v_lshlrev_b64 v[54:55], v54, v[42:43]
	v_lshrrev_b32_e32 v56, 3, v34
	v_sub_u32_e32 v55, 29, v57
	v_and_b32_e32 v54, 7, v54
	v_cmp_gt_u32_e32 vcc, 8, v34
	v_cndmask_b32_e32 v34, v56, v55, vcc
	v_cndmask_b32_e32 v53, v53, v54, vcc
	v_lshlrev_b32_e32 v42, 24, v42
	v_bfrev_b32_e32 v54, 60
	v_lshlrev_b32_e32 v53, 20, v53
	v_and_b32_e32 v42, 0x80000000, v42
	v_lshl_add_u32 v34, v34, 23, v54
	v_or3_b32 v54, v42, v34, v53
.LBB605_225:
	s_or_b64 exec, exec, s[10:11]
.LBB605_226:
	s_or_b64 exec, exec, s[8:9]
.LBB605_227:
	s_or_b64 exec, exec, s[2:3]
	v_cmp_ne_u16_sdwa s[8:9], v35, v45 src0_sel:BYTE_0 src1_sel:DWORD
	s_and_saveexec_b64 s[2:3], s[8:9]
	s_cbranch_execz .LBB605_233
; %bb.228:
	s_movk_i32 s8, 0x80
	v_cmp_ne_u16_sdwa s[10:11], v35, s8 src0_sel:BYTE_0 src1_sel:DWORD
	v_bfrev_b32_e32 v45, 1
	s_and_saveexec_b64 s[8:9], s[10:11]
	s_cbranch_execz .LBB605_232
; %bb.229:
	s_movk_i32 s10, 0x7f
	v_and_b32_e32 v34, 0x7f, v35
	v_cmp_ne_u32_e32 vcc, s10, v34
	v_mov_b32_e32 v45, 0x7f800001
	s_and_saveexec_b64 s[10:11], vcc
	s_cbranch_execz .LBB605_231
; %bb.230:
	v_and_b32_e32 v45, 7, v35
	v_ffbh_u32_e32 v55, v45
	v_min_u32_e32 v55, 32, v55
	v_mov_b32_e32 v42, v35
	v_subrev_u32_e32 v56, 28, v55
	v_lshlrev_b64 v[56:57], v56, v[42:43]
	v_lshrrev_b32_e32 v53, 3, v34
	v_sub_u32_e32 v42, 29, v55
	v_and_b32_e32 v55, 7, v56
	v_cmp_gt_u32_e32 vcc, 8, v34
	v_cndmask_b32_e32 v34, v53, v42, vcc
	v_cndmask_b32_e32 v42, v45, v55, vcc
	v_lshlrev_b32_e32 v45, 24, v35
	v_bfrev_b32_e32 v53, 60
	v_lshlrev_b32_e32 v42, 20, v42
	v_and_b32_e32 v45, 0x80000000, v45
	v_lshl_add_u32 v34, v34, 23, v53
	v_or3_b32 v45, v45, v34, v42
.LBB605_231:
	s_or_b64 exec, exec, s[10:11]
.LBB605_232:
	s_or_b64 exec, exec, s[8:9]
.LBB605_233:
	s_or_b64 exec, exec, s[2:3]
	v_lshrrev_b16_e32 v34, 8, v35
	v_cmp_ne_u16_e32 vcc, 0, v34
	v_mov_b32_e32 v42, 0
	v_mov_b32_e32 v55, 0
	s_and_saveexec_b64 s[2:3], vcc
	s_cbranch_execz .LBB605_239
; %bb.234:
	s_movk_i32 s8, 0x80
	v_cmp_ne_u16_e32 vcc, s8, v34
	v_bfrev_b32_e32 v55, 1
	s_and_saveexec_b64 s[8:9], vcc
	s_cbranch_execz .LBB605_238
; %bb.235:
	s_movk_i32 s10, 0x7f
	v_and_b32_e32 v53, 0x7f, v34
	v_cmp_ne_u32_e32 vcc, s10, v53
	v_mov_b32_e32 v55, 0x7f800001
	s_and_saveexec_b64 s[10:11], vcc
	s_cbranch_execz .LBB605_237
; %bb.236:
	v_and_b32_e32 v55, 7, v34
	v_ffbh_u32_e32 v56, v55
	v_min_u32_e32 v59, 32, v56
	v_subrev_u32_e32 v56, 28, v59
	v_lshlrev_b64 v[56:57], v56, v[34:35]
	v_lshrrev_b32_e32 v58, 3, v53
	v_sub_u32_e32 v34, 29, v59
	v_and_b32_e32 v56, 7, v56
	v_cmp_gt_u32_e32 vcc, 8, v53
	v_cndmask_b32_e32 v34, v58, v34, vcc
	v_cndmask_b32_e32 v53, v55, v56, vcc
	v_lshlrev_b32_e32 v55, 16, v35
	v_bfrev_b32_e32 v56, 60
	v_lshlrev_b32_e32 v53, 20, v53
	v_and_b32_e32 v55, 0x80000000, v55
	v_lshl_add_u32 v34, v34, 23, v56
	v_or3_b32 v55, v55, v34, v53
.LBB605_237:
	s_or_b64 exec, exec, s[10:11]
.LBB605_238:
	s_or_b64 exec, exec, s[8:9]
.LBB605_239:
	s_or_b64 exec, exec, s[2:3]
	s_movk_i32 s2, 0xff
	v_and_b32_sdwa v53, v35, s2 dst_sel:DWORD dst_unused:UNUSED_PAD src0_sel:WORD_1 src1_sel:DWORD
	v_lshrrev_b32_e32 v34, 16, v35
	v_cmp_ne_u16_e32 vcc, 0, v53
	s_and_saveexec_b64 s[2:3], vcc
	s_cbranch_execz .LBB605_245
; %bb.240:
	s_movk_i32 s8, 0x80
	v_cmp_ne_u16_e32 vcc, s8, v53
	v_bfrev_b32_e32 v42, 1
	s_and_saveexec_b64 s[8:9], vcc
	s_cbranch_execz .LBB605_244
; %bb.241:
	v_bfe_u32 v53, v35, 16, 7
	s_movk_i32 s10, 0x7f
	v_cmp_ne_u32_e32 vcc, s10, v53
	v_mov_b32_e32 v42, 0x7f800001
	s_and_saveexec_b64 s[10:11], vcc
	s_cbranch_execz .LBB605_243
; %bb.242:
	v_and_b32_e32 v42, 7, v34
	v_ffbh_u32_e32 v56, v42
	v_min_u32_e32 v59, 32, v56
	v_subrev_u32_e32 v56, 28, v59
	v_lshlrev_b64 v[56:57], v56, v[34:35]
	v_lshrrev_b32_e32 v58, 3, v53
	v_sub_u32_e32 v34, 29, v59
	v_and_b32_e32 v56, 7, v56
	v_cmp_gt_u32_e32 vcc, 8, v53
	v_mov_b32_e32 v53, 24
	v_cndmask_b32_e32 v34, v58, v34, vcc
	v_cndmask_b32_e32 v42, v42, v56, vcc
	v_lshlrev_b32_sdwa v53, v53, v35 dst_sel:DWORD dst_unused:UNUSED_PAD src0_sel:DWORD src1_sel:WORD_1
	v_bfrev_b32_e32 v56, 60
	v_lshlrev_b32_e32 v42, 20, v42
	v_and_b32_e32 v53, 0x80000000, v53
	v_lshl_add_u32 v34, v34, 23, v56
	v_or3_b32 v42, v53, v34, v42
.LBB605_243:
	s_or_b64 exec, exec, s[10:11]
.LBB605_244:
	s_or_b64 exec, exec, s[8:9]
.LBB605_245:
	s_or_b64 exec, exec, s[2:3]
	s_mov_b32 s2, 0xffffff
	v_cmp_lt_u32_e32 vcc, s2, v35
	v_mov_b32_e32 v53, 0
	v_mov_b32_e32 v56, 0
	s_and_saveexec_b64 s[2:3], vcc
	s_cbranch_execz .LBB605_251
; %bb.246:
	v_lshrrev_b32_e32 v34, 24, v35
	s_movk_i32 s8, 0x80
	v_cmp_ne_u32_e32 vcc, s8, v34
	v_bfrev_b32_e32 v56, 1
	s_and_saveexec_b64 s[8:9], vcc
	s_cbranch_execz .LBB605_250
; %bb.247:
	v_bfe_u32 v35, v35, 24, 7
	s_movk_i32 s10, 0x7f
	v_cmp_ne_u32_e32 vcc, s10, v35
	v_mov_b32_e32 v56, 0x7f800001
	s_and_saveexec_b64 s[10:11], vcc
	s_cbranch_execz .LBB605_249
; %bb.248:
	v_and_b32_e32 v58, 7, v34
	v_ffbh_u32_e32 v56, v58
	v_min_u32_e32 v60, 32, v56
	v_subrev_u32_e32 v56, 28, v60
	v_lshlrev_b64 v[56:57], v56, v[34:35]
	v_lshrrev_b32_e32 v59, 3, v35
	v_sub_u32_e32 v57, 29, v60
	v_and_b32_e32 v56, 7, v56
	v_cmp_gt_u32_e32 vcc, 8, v35
	v_cndmask_b32_e32 v35, v59, v57, vcc
	v_cndmask_b32_e32 v56, v58, v56, vcc
	v_lshlrev_b32_e32 v34, 24, v34
	v_bfrev_b32_e32 v57, 60
	v_lshlrev_b32_e32 v56, 20, v56
	v_and_b32_e32 v34, 0x80000000, v34
	v_lshl_add_u32 v35, v35, 23, v57
	v_or3_b32 v56, v34, v35, v56
.LBB605_249:
	s_or_b64 exec, exec, s[10:11]
.LBB605_250:
	s_or_b64 exec, exec, s[8:9]
.LBB605_251:
	s_or_b64 exec, exec, s[2:3]
	v_cvt_pkrtz_f16_f32 v34, v52, v44
	v_cvt_pkrtz_f16_f32 v35, v43, v54
	v_cmp_ne_u16_sdwa s[8:9], v36, v53 src0_sel:BYTE_0 src1_sel:DWORD
	s_nop 0
	v_mfma_f32_16x16x16f16 v[58:61], v[34:35], v[26:27], 0
	v_cvt_pkrtz_f16_f32 v34, v45, v55
	v_cvt_pkrtz_f16_f32 v35, v42, v56
	s_nop 1
	v_mfma_f32_16x16x16f16 v[42:45], v[34:35], v[28:29], v[58:61]
	s_and_saveexec_b64 s[2:3], s[8:9]
	s_cbranch_execz .LBB605_257
; %bb.252:
	s_movk_i32 s8, 0x80
	v_cmp_ne_u16_sdwa s[10:11], v36, s8 src0_sel:BYTE_0 src1_sel:DWORD
	v_bfrev_b32_e32 v53, 1
	s_and_saveexec_b64 s[8:9], s[10:11]
	s_cbranch_execz .LBB605_256
; %bb.253:
	s_movk_i32 s10, 0x7f
	v_and_b32_e32 v34, 0x7f, v36
	v_cmp_ne_u32_e32 vcc, s10, v34
	v_mov_b32_e32 v53, 0x7f800001
	s_and_saveexec_b64 s[10:11], vcc
	s_cbranch_execz .LBB605_255
; %bb.254:
	v_and_b32_e32 v35, 7, v36
	v_ffbh_u32_e32 v52, v35
	v_min_u32_e32 v55, 32, v52
	v_subrev_u32_e32 v52, 28, v55
	v_lshlrev_b64 v[52:53], v52, v[36:37]
	v_lshrrev_b32_e32 v54, 3, v34
	v_sub_u32_e32 v53, 29, v55
	v_and_b32_e32 v52, 7, v52
	v_cmp_gt_u32_e32 vcc, 8, v34
	v_cndmask_b32_e32 v34, v54, v53, vcc
	v_cndmask_b32_e32 v35, v35, v52, vcc
	v_lshlrev_b32_e32 v52, 24, v36
	v_bfrev_b32_e32 v53, 60
	v_lshlrev_b32_e32 v35, 20, v35
	v_and_b32_e32 v52, 0x80000000, v52
	v_lshl_add_u32 v34, v34, 23, v53
	v_or3_b32 v53, v52, v34, v35
.LBB605_255:
	s_or_b64 exec, exec, s[10:11]
.LBB605_256:
	s_or_b64 exec, exec, s[8:9]
.LBB605_257:
	s_or_b64 exec, exec, s[2:3]
	v_lshrrev_b16_e32 v34, 8, v36
	v_cmp_ne_u16_e32 vcc, 0, v34
	v_mov_b32_e32 v35, 0
	v_mov_b32_e32 v54, 0
	s_and_saveexec_b64 s[2:3], vcc
	s_cbranch_execz .LBB605_263
; %bb.258:
	s_movk_i32 s8, 0x80
	v_cmp_ne_u16_e32 vcc, s8, v34
	v_bfrev_b32_e32 v54, 1
	s_and_saveexec_b64 s[8:9], vcc
	s_cbranch_execz .LBB605_262
; %bb.259:
	s_movk_i32 s10, 0x7f
	v_and_b32_e32 v52, 0x7f, v34
	v_cmp_ne_u32_e32 vcc, s10, v52
	v_mov_b32_e32 v54, 0x7f800001
	s_and_saveexec_b64 s[10:11], vcc
	s_cbranch_execz .LBB605_261
; %bb.260:
	v_and_b32_e32 v56, 7, v34
	v_ffbh_u32_e32 v54, v56
	v_min_u32_e32 v58, 32, v54
	v_subrev_u32_e32 v54, 28, v58
	v_lshlrev_b64 v[54:55], v54, v[34:35]
	v_lshrrev_b32_e32 v57, 3, v52
	v_sub_u32_e32 v34, 29, v58
	v_and_b32_e32 v54, 7, v54
	v_cmp_gt_u32_e32 vcc, 8, v52
	v_cndmask_b32_e32 v34, v57, v34, vcc
	v_cndmask_b32_e32 v52, v56, v54, vcc
	v_lshlrev_b32_e32 v54, 16, v36
	v_bfrev_b32_e32 v55, 60
	v_lshlrev_b32_e32 v52, 20, v52
	v_and_b32_e32 v54, 0x80000000, v54
	v_lshl_add_u32 v34, v34, 23, v55
	v_or3_b32 v54, v54, v34, v52
.LBB605_261:
	s_or_b64 exec, exec, s[10:11]
.LBB605_262:
	s_or_b64 exec, exec, s[8:9]
.LBB605_263:
	s_or_b64 exec, exec, s[2:3]
	s_movk_i32 s2, 0xff
	v_and_b32_sdwa v52, v36, s2 dst_sel:DWORD dst_unused:UNUSED_PAD src0_sel:WORD_1 src1_sel:DWORD
	v_lshrrev_b32_e32 v34, 16, v36
	v_cmp_ne_u16_e32 vcc, 0, v52
	s_and_saveexec_b64 s[2:3], vcc
	s_cbranch_execz .LBB605_269
; %bb.264:
	s_movk_i32 s8, 0x80
	v_cmp_ne_u16_e32 vcc, s8, v52
	v_bfrev_b32_e32 v35, 1
	s_and_saveexec_b64 s[8:9], vcc
	s_cbranch_execz .LBB605_268
; %bb.265:
	v_bfe_u32 v52, v36, 16, 7
	s_movk_i32 s10, 0x7f
	v_cmp_ne_u32_e32 vcc, s10, v52
	v_mov_b32_e32 v35, 0x7f800001
	s_and_saveexec_b64 s[10:11], vcc
	s_cbranch_execz .LBB605_267
; %bb.266:
	v_and_b32_e32 v55, 7, v34
	v_ffbh_u32_e32 v35, v55
	v_min_u32_e32 v57, 32, v35
	v_subrev_u32_e32 v35, 28, v57
	v_lshlrev_b64 v[34:35], v35, v[34:35]
	v_lshrrev_b32_e32 v56, 3, v52
	v_sub_u32_e32 v35, 29, v57
	v_and_b32_e32 v34, 7, v34
	v_cmp_gt_u32_e32 vcc, 8, v52
	v_mov_b32_e32 v52, 24
	v_cndmask_b32_e32 v35, v56, v35, vcc
	v_cndmask_b32_e32 v34, v55, v34, vcc
	v_lshlrev_b32_sdwa v52, v52, v36 dst_sel:DWORD dst_unused:UNUSED_PAD src0_sel:DWORD src1_sel:WORD_1
	v_bfrev_b32_e32 v55, 60
	v_lshlrev_b32_e32 v34, 20, v34
	v_and_b32_e32 v52, 0x80000000, v52
	v_lshl_add_u32 v35, v35, 23, v55
	v_or3_b32 v35, v52, v35, v34
.LBB605_267:
	s_or_b64 exec, exec, s[10:11]
.LBB605_268:
	s_or_b64 exec, exec, s[8:9]
.LBB605_269:
	s_or_b64 exec, exec, s[2:3]
	s_mov_b32 s2, 0xffffff
	v_cmp_lt_u32_e32 vcc, s2, v36
	v_mov_b32_e32 v55, 0
	v_mov_b32_e32 v56, 0
	s_and_saveexec_b64 s[2:3], vcc
	s_cbranch_execz .LBB605_275
; %bb.270:
	v_lshrrev_b32_e32 v34, 24, v36
	s_movk_i32 s8, 0x80
	v_cmp_ne_u32_e32 vcc, s8, v34
	v_bfrev_b32_e32 v56, 1
	s_and_saveexec_b64 s[8:9], vcc
	s_cbranch_execz .LBB605_274
; %bb.271:
	v_bfe_u32 v36, v36, 24, 7
	s_movk_i32 s10, 0x7f
	v_cmp_ne_u32_e32 vcc, s10, v36
	v_mov_b32_e32 v56, 0x7f800001
	s_and_saveexec_b64 s[10:11], vcc
	s_cbranch_execz .LBB605_273
; %bb.272:
	v_and_b32_e32 v52, 7, v34
	v_ffbh_u32_e32 v56, v52
	v_min_u32_e32 v59, 32, v56
	v_subrev_u32_e32 v56, 28, v59
	v_lshlrev_b64 v[56:57], v56, v[34:35]
	v_lshrrev_b32_e32 v58, 3, v36
	v_sub_u32_e32 v57, 29, v59
	v_and_b32_e32 v56, 7, v56
	v_cmp_gt_u32_e32 vcc, 8, v36
	v_cndmask_b32_e32 v36, v58, v57, vcc
	v_cndmask_b32_e32 v52, v52, v56, vcc
	v_lshlrev_b32_e32 v34, 24, v34
	v_bfrev_b32_e32 v56, 60
	v_lshlrev_b32_e32 v52, 20, v52
	v_and_b32_e32 v34, 0x80000000, v34
	v_lshl_add_u32 v36, v36, 23, v56
	v_or3_b32 v56, v34, v36, v52
.LBB605_273:
	s_or_b64 exec, exec, s[10:11]
.LBB605_274:
	s_or_b64 exec, exec, s[8:9]
.LBB605_275:
	s_or_b64 exec, exec, s[2:3]
	v_cmp_ne_u16_sdwa s[8:9], v37, v55 src0_sel:BYTE_0 src1_sel:DWORD
	s_and_saveexec_b64 s[2:3], s[8:9]
	s_cbranch_execz .LBB605_281
; %bb.276:
	s_movk_i32 s8, 0x80
	v_cmp_ne_u16_sdwa s[10:11], v37, s8 src0_sel:BYTE_0 src1_sel:DWORD
	v_bfrev_b32_e32 v55, 1
	s_and_saveexec_b64 s[8:9], s[10:11]
	s_cbranch_execz .LBB605_280
; %bb.277:
	s_movk_i32 s10, 0x7f
	v_and_b32_e32 v34, 0x7f, v37
	v_cmp_ne_u32_e32 vcc, s10, v34
	v_mov_b32_e32 v55, 0x7f800001
	s_and_saveexec_b64 s[10:11], vcc
	s_cbranch_execz .LBB605_279
; %bb.278:
	v_and_b32_e32 v52, 7, v37
	v_ffbh_u32_e32 v57, v52
	v_min_u32_e32 v57, 32, v57
	v_mov_b32_e32 v36, v37
	v_subrev_u32_e32 v58, 28, v57
	v_lshlrev_b64 v[58:59], v58, v[36:37]
	v_lshrrev_b32_e32 v55, 3, v34
	v_sub_u32_e32 v36, 29, v57
	v_and_b32_e32 v57, 7, v58
	v_cmp_gt_u32_e32 vcc, 8, v34
	v_cndmask_b32_e32 v34, v55, v36, vcc
	v_cndmask_b32_e32 v36, v52, v57, vcc
	v_lshlrev_b32_e32 v52, 24, v37
	v_bfrev_b32_e32 v55, 60
	v_lshlrev_b32_e32 v36, 20, v36
	v_and_b32_e32 v52, 0x80000000, v52
	v_lshl_add_u32 v34, v34, 23, v55
	v_or3_b32 v55, v52, v34, v36
.LBB605_279:
	s_or_b64 exec, exec, s[10:11]
.LBB605_280:
	s_or_b64 exec, exec, s[8:9]
.LBB605_281:
	s_or_b64 exec, exec, s[2:3]
	v_lshrrev_b16_e32 v34, 8, v37
	v_cmp_ne_u16_e32 vcc, 0, v34
	v_mov_b32_e32 v36, 0
	v_mov_b32_e32 v57, 0
	s_and_saveexec_b64 s[2:3], vcc
	s_cbranch_execz .LBB605_287
; %bb.282:
	s_movk_i32 s8, 0x80
	v_cmp_ne_u16_e32 vcc, s8, v34
	v_bfrev_b32_e32 v57, 1
	s_and_saveexec_b64 s[8:9], vcc
	s_cbranch_execz .LBB605_286
; %bb.283:
	s_movk_i32 s10, 0x7f
	v_and_b32_e32 v52, 0x7f, v34
	v_cmp_ne_u32_e32 vcc, s10, v52
	v_mov_b32_e32 v57, 0x7f800001
	s_and_saveexec_b64 s[10:11], vcc
	s_cbranch_execz .LBB605_285
; %bb.284:
	v_and_b32_e32 v57, 7, v34
	v_ffbh_u32_e32 v58, v57
	v_min_u32_e32 v61, 32, v58
	v_subrev_u32_e32 v58, 28, v61
	v_lshlrev_b64 v[58:59], v58, v[34:35]
	v_lshrrev_b32_e32 v60, 3, v52
	v_sub_u32_e32 v34, 29, v61
	v_and_b32_e32 v58, 7, v58
	v_cmp_gt_u32_e32 vcc, 8, v52
	v_cndmask_b32_e32 v34, v60, v34, vcc
	v_cndmask_b32_e32 v52, v57, v58, vcc
	v_lshlrev_b32_e32 v57, 16, v37
	v_bfrev_b32_e32 v58, 60
	v_lshlrev_b32_e32 v52, 20, v52
	v_and_b32_e32 v57, 0x80000000, v57
	v_lshl_add_u32 v34, v34, 23, v58
	v_or3_b32 v57, v57, v34, v52
.LBB605_285:
	s_or_b64 exec, exec, s[10:11]
.LBB605_286:
	s_or_b64 exec, exec, s[8:9]
.LBB605_287:
	s_or_b64 exec, exec, s[2:3]
	s_movk_i32 s2, 0xff
	v_and_b32_sdwa v52, v37, s2 dst_sel:DWORD dst_unused:UNUSED_PAD src0_sel:WORD_1 src1_sel:DWORD
	v_lshrrev_b32_e32 v34, 16, v37
	v_cmp_ne_u16_e32 vcc, 0, v52
	s_and_saveexec_b64 s[2:3], vcc
	s_cbranch_execz .LBB605_293
; %bb.288:
	s_movk_i32 s8, 0x80
	v_cmp_ne_u16_e32 vcc, s8, v52
	v_bfrev_b32_e32 v36, 1
	s_and_saveexec_b64 s[8:9], vcc
	s_cbranch_execz .LBB605_292
; %bb.289:
	v_bfe_u32 v52, v37, 16, 7
	s_movk_i32 s10, 0x7f
	v_cmp_ne_u32_e32 vcc, s10, v52
	v_mov_b32_e32 v36, 0x7f800001
	s_and_saveexec_b64 s[10:11], vcc
	s_cbranch_execz .LBB605_291
; %bb.290:
	v_and_b32_e32 v36, 7, v34
	v_ffbh_u32_e32 v58, v36
	v_min_u32_e32 v61, 32, v58
	v_subrev_u32_e32 v58, 28, v61
	v_lshlrev_b64 v[58:59], v58, v[34:35]
	v_lshrrev_b32_e32 v60, 3, v52
	v_sub_u32_e32 v34, 29, v61
	v_and_b32_e32 v58, 7, v58
	v_cmp_gt_u32_e32 vcc, 8, v52
	v_mov_b32_e32 v52, 24
	v_cndmask_b32_e32 v34, v60, v34, vcc
	v_cndmask_b32_e32 v36, v36, v58, vcc
	v_lshlrev_b32_sdwa v52, v52, v37 dst_sel:DWORD dst_unused:UNUSED_PAD src0_sel:DWORD src1_sel:WORD_1
	v_bfrev_b32_e32 v58, 60
	v_lshlrev_b32_e32 v36, 20, v36
	v_and_b32_e32 v52, 0x80000000, v52
	v_lshl_add_u32 v34, v34, 23, v58
	v_or3_b32 v36, v52, v34, v36
.LBB605_291:
	s_or_b64 exec, exec, s[10:11]
.LBB605_292:
	s_or_b64 exec, exec, s[8:9]
.LBB605_293:
	s_or_b64 exec, exec, s[2:3]
	s_mov_b32 s2, 0xffffff
	v_cmp_lt_u32_e32 vcc, s2, v37
	v_mov_b32_e32 v52, 0
	v_mov_b32_e32 v58, 0
	s_and_saveexec_b64 s[2:3], vcc
	s_cbranch_execz .LBB605_299
; %bb.294:
	v_lshrrev_b32_e32 v34, 24, v37
	s_movk_i32 s8, 0x80
	v_cmp_ne_u32_e32 vcc, s8, v34
	v_bfrev_b32_e32 v58, 1
	s_and_saveexec_b64 s[8:9], vcc
	s_cbranch_execz .LBB605_298
; %bb.295:
	v_bfe_u32 v37, v37, 24, 7
	s_movk_i32 s10, 0x7f
	v_cmp_ne_u32_e32 vcc, s10, v37
	v_mov_b32_e32 v58, 0x7f800001
	s_and_saveexec_b64 s[10:11], vcc
	s_cbranch_execz .LBB605_297
; %bb.296:
	v_and_b32_e32 v60, 7, v34
	v_ffbh_u32_e32 v58, v60
	v_min_u32_e32 v62, 32, v58
	v_subrev_u32_e32 v58, 28, v62
	v_lshlrev_b64 v[58:59], v58, v[34:35]
	v_lshrrev_b32_e32 v61, 3, v37
	v_sub_u32_e32 v59, 29, v62
	v_and_b32_e32 v58, 7, v58
	v_cmp_gt_u32_e32 vcc, 8, v37
	v_cndmask_b32_e32 v37, v61, v59, vcc
	v_cndmask_b32_e32 v58, v60, v58, vcc
	v_lshlrev_b32_e32 v34, 24, v34
	v_bfrev_b32_e32 v59, 60
	v_lshlrev_b32_e32 v58, 20, v58
	v_and_b32_e32 v34, 0x80000000, v34
	v_lshl_add_u32 v37, v37, 23, v59
	v_or3_b32 v58, v34, v37, v58
.LBB605_297:
	s_or_b64 exec, exec, s[10:11]
.LBB605_298:
	s_or_b64 exec, exec, s[8:9]
.LBB605_299:
	s_or_b64 exec, exec, s[2:3]
	v_cvt_pkrtz_f16_f32 v34, v53, v54
	v_cvt_pkrtz_f16_f32 v35, v35, v56
	s_waitcnt vmcnt(4)
	v_cmp_ne_u16_sdwa s[8:9], v22, v52 src0_sel:BYTE_0 src1_sel:DWORD
	v_mfma_f32_16x16x16f16 v[42:45], v[34:35], v[18:19], v[42:45]
	v_cvt_pkrtz_f16_f32 v34, v55, v57
	v_cvt_pkrtz_f16_f32 v35, v36, v58
	s_nop 1
	v_mfma_f32_16x16x16f16 v[34:37], v[34:35], v[20:21], v[42:45]
	s_and_saveexec_b64 s[2:3], s[8:9]
	s_cbranch_execz .LBB605_305
; %bb.300:
	s_movk_i32 s8, 0x80
	v_cmp_ne_u16_sdwa s[10:11], v22, s8 src0_sel:BYTE_0 src1_sel:DWORD
	v_bfrev_b32_e32 v52, 1
	s_and_saveexec_b64 s[8:9], s[10:11]
	s_cbranch_execz .LBB605_304
; %bb.301:
	s_movk_i32 s10, 0x7f
	v_and_b32_e32 v42, 0x7f, v22
	v_cmp_ne_u32_e32 vcc, s10, v42
	v_mov_b32_e32 v52, 0x7f800001
	s_and_saveexec_b64 s[10:11], vcc
	s_cbranch_execz .LBB605_303
; %bb.302:
	v_and_b32_e32 v43, 7, v22
	v_ffbh_u32_e32 v44, v43
	v_min_u32_e32 v53, 32, v44
	v_subrev_u32_e32 v44, 28, v53
	v_lshlrev_b64 v[44:45], v44, v[22:23]
	v_lshrrev_b32_e32 v52, 3, v42
	v_sub_u32_e32 v45, 29, v53
	v_and_b32_e32 v44, 7, v44
	v_cmp_gt_u32_e32 vcc, 8, v42
	v_cndmask_b32_e32 v42, v52, v45, vcc
	v_cndmask_b32_e32 v43, v43, v44, vcc
	v_lshlrev_b32_e32 v44, 24, v22
	v_bfrev_b32_e32 v45, 60
	v_lshlrev_b32_e32 v43, 20, v43
	v_and_b32_e32 v44, 0x80000000, v44
	v_lshl_add_u32 v42, v42, 23, v45
	v_or3_b32 v52, v44, v42, v43
.LBB605_303:
	s_or_b64 exec, exec, s[10:11]
.LBB605_304:
	s_or_b64 exec, exec, s[8:9]
.LBB605_305:
	s_or_b64 exec, exec, s[2:3]
	s_nop 3
	v_lshrrev_b16_e32 v42, 8, v22
	v_cmp_ne_u16_e32 vcc, 0, v42
	v_mov_b32_e32 v43, 0
	v_mov_b32_e32 v44, 0
	s_and_saveexec_b64 s[2:3], vcc
	s_cbranch_execz .LBB605_311
; %bb.306:
	s_movk_i32 s8, 0x80
	v_cmp_ne_u16_e32 vcc, s8, v42
	v_bfrev_b32_e32 v44, 1
	s_and_saveexec_b64 s[8:9], vcc
	s_cbranch_execz .LBB605_310
; %bb.307:
	s_movk_i32 s10, 0x7f
	v_and_b32_e32 v45, 0x7f, v42
	v_cmp_ne_u32_e32 vcc, s10, v45
	v_mov_b32_e32 v44, 0x7f800001
	s_and_saveexec_b64 s[10:11], vcc
	s_cbranch_execz .LBB605_309
; %bb.308:
	v_and_b32_e32 v44, 7, v42
	v_ffbh_u32_e32 v54, v44
	v_min_u32_e32 v56, 32, v54
	v_subrev_u32_e32 v54, 28, v56
	v_lshlrev_b64 v[54:55], v54, v[42:43]
	v_lshrrev_b32_e32 v53, 3, v45
	v_sub_u32_e32 v42, 29, v56
	v_and_b32_e32 v54, 7, v54
	v_cmp_gt_u32_e32 vcc, 8, v45
	v_cndmask_b32_e32 v42, v53, v42, vcc
	v_cndmask_b32_e32 v44, v44, v54, vcc
	v_lshlrev_b32_e32 v45, 16, v22
	v_bfrev_b32_e32 v53, 60
	v_lshlrev_b32_e32 v44, 20, v44
	v_and_b32_e32 v45, 0x80000000, v45
	v_lshl_add_u32 v42, v42, 23, v53
	v_or3_b32 v44, v45, v42, v44
.LBB605_309:
	s_or_b64 exec, exec, s[10:11]
.LBB605_310:
	s_or_b64 exec, exec, s[8:9]
.LBB605_311:
	s_or_b64 exec, exec, s[2:3]
	s_movk_i32 s2, 0xff
	v_and_b32_sdwa v45, v22, s2 dst_sel:DWORD dst_unused:UNUSED_PAD src0_sel:WORD_1 src1_sel:DWORD
	v_lshrrev_b32_e32 v42, 16, v22
	v_cmp_ne_u16_e32 vcc, 0, v45
	s_and_saveexec_b64 s[2:3], vcc
	s_cbranch_execz .LBB605_317
; %bb.312:
	s_movk_i32 s8, 0x80
	v_cmp_ne_u16_e32 vcc, s8, v45
	v_bfrev_b32_e32 v43, 1
	s_and_saveexec_b64 s[8:9], vcc
	s_cbranch_execz .LBB605_316
; %bb.313:
	v_bfe_u32 v45, v22, 16, 7
	s_movk_i32 s10, 0x7f
	v_cmp_ne_u32_e32 vcc, s10, v45
	v_mov_b32_e32 v43, 0x7f800001
	s_and_saveexec_b64 s[10:11], vcc
	s_cbranch_execz .LBB605_315
; %bb.314:
	v_and_b32_e32 v53, 7, v42
	v_ffbh_u32_e32 v43, v53
	v_min_u32_e32 v55, 32, v43
	v_subrev_u32_e32 v43, 28, v55
	v_lshlrev_b64 v[42:43], v43, v[42:43]
	v_lshrrev_b32_e32 v54, 3, v45
	v_sub_u32_e32 v43, 29, v55
	v_and_b32_e32 v42, 7, v42
	v_cmp_gt_u32_e32 vcc, 8, v45
	v_mov_b32_e32 v45, 24
	v_cndmask_b32_e32 v43, v54, v43, vcc
	v_cndmask_b32_e32 v42, v53, v42, vcc
	v_lshlrev_b32_sdwa v45, v45, v22 dst_sel:DWORD dst_unused:UNUSED_PAD src0_sel:DWORD src1_sel:WORD_1
	v_bfrev_b32_e32 v53, 60
	v_lshlrev_b32_e32 v42, 20, v42
	v_and_b32_e32 v45, 0x80000000, v45
	v_lshl_add_u32 v43, v43, 23, v53
	v_or3_b32 v43, v45, v43, v42
.LBB605_315:
	s_or_b64 exec, exec, s[10:11]
.LBB605_316:
	s_or_b64 exec, exec, s[8:9]
.LBB605_317:
	s_or_b64 exec, exec, s[2:3]
	s_mov_b32 s2, 0xffffff
	v_cmp_lt_u32_e32 vcc, s2, v22
	v_mov_b32_e32 v45, 0
	v_mov_b32_e32 v53, 0
	s_and_saveexec_b64 s[2:3], vcc
	s_cbranch_execz .LBB605_323
; %bb.318:
	v_lshrrev_b32_e32 v42, 24, v22
	s_movk_i32 s8, 0x80
	v_cmp_ne_u32_e32 vcc, s8, v42
	v_bfrev_b32_e32 v53, 1
	s_and_saveexec_b64 s[8:9], vcc
	s_cbranch_execz .LBB605_322
; %bb.319:
	v_bfe_u32 v22, v22, 24, 7
	s_movk_i32 s10, 0x7f
	v_cmp_ne_u32_e32 vcc, s10, v22
	v_mov_b32_e32 v53, 0x7f800001
	s_and_saveexec_b64 s[10:11], vcc
	s_cbranch_execz .LBB605_321
; %bb.320:
	v_and_b32_e32 v53, 7, v42
	v_ffbh_u32_e32 v54, v53
	v_min_u32_e32 v57, 32, v54
	v_subrev_u32_e32 v54, 28, v57
	v_lshlrev_b64 v[54:55], v54, v[42:43]
	v_lshrrev_b32_e32 v56, 3, v22
	v_sub_u32_e32 v55, 29, v57
	v_and_b32_e32 v54, 7, v54
	v_cmp_gt_u32_e32 vcc, 8, v22
	v_cndmask_b32_e32 v22, v56, v55, vcc
	v_cndmask_b32_e32 v53, v53, v54, vcc
	v_lshlrev_b32_e32 v42, 24, v42
	v_bfrev_b32_e32 v54, 60
	v_lshlrev_b32_e32 v53, 20, v53
	v_and_b32_e32 v42, 0x80000000, v42
	v_lshl_add_u32 v22, v22, 23, v54
	v_or3_b32 v53, v42, v22, v53
.LBB605_321:
	s_or_b64 exec, exec, s[10:11]
.LBB605_322:
	s_or_b64 exec, exec, s[8:9]
.LBB605_323:
	s_or_b64 exec, exec, s[2:3]
	v_cmp_ne_u16_sdwa s[8:9], v23, v45 src0_sel:BYTE_0 src1_sel:DWORD
	s_and_saveexec_b64 s[2:3], s[8:9]
	s_cbranch_execz .LBB605_329
; %bb.324:
	s_movk_i32 s8, 0x80
	v_cmp_ne_u16_sdwa s[10:11], v23, s8 src0_sel:BYTE_0 src1_sel:DWORD
	v_bfrev_b32_e32 v45, 1
	s_and_saveexec_b64 s[8:9], s[10:11]
	s_cbranch_execz .LBB605_328
; %bb.325:
	s_movk_i32 s10, 0x7f
	v_and_b32_e32 v22, 0x7f, v23
	v_cmp_ne_u32_e32 vcc, s10, v22
	v_mov_b32_e32 v45, 0x7f800001
	s_and_saveexec_b64 s[10:11], vcc
	s_cbranch_execz .LBB605_327
; %bb.326:
	v_and_b32_e32 v45, 7, v23
	v_ffbh_u32_e32 v54, v45
	v_min_u32_e32 v57, 32, v54
	v_mov_b32_e32 v42, v23
	v_subrev_u32_e32 v54, 28, v57
	v_lshlrev_b64 v[54:55], v54, v[42:43]
	v_lshrrev_b32_e32 v56, 3, v22
	v_sub_u32_e32 v42, 29, v57
	v_and_b32_e32 v54, 7, v54
	v_cmp_gt_u32_e32 vcc, 8, v22
	v_cndmask_b32_e32 v22, v56, v42, vcc
	v_cndmask_b32_e32 v42, v45, v54, vcc
	v_lshlrev_b32_e32 v45, 24, v23
	v_bfrev_b32_e32 v54, 60
	v_lshlrev_b32_e32 v42, 20, v42
	v_and_b32_e32 v45, 0x80000000, v45
	v_lshl_add_u32 v22, v22, 23, v54
	v_or3_b32 v45, v45, v22, v42
.LBB605_327:
	s_or_b64 exec, exec, s[10:11]
.LBB605_328:
	s_or_b64 exec, exec, s[8:9]
.LBB605_329:
	s_or_b64 exec, exec, s[2:3]
	v_lshrrev_b16_e32 v22, 8, v23
	v_cmp_ne_u16_e32 vcc, 0, v22
	v_mov_b32_e32 v54, 0
	v_mov_b32_e32 v55, 0
	s_and_saveexec_b64 s[2:3], vcc
	s_cbranch_execz .LBB605_335
; %bb.330:
	s_movk_i32 s8, 0x80
	v_cmp_ne_u16_e32 vcc, s8, v22
	v_bfrev_b32_e32 v55, 1
	s_and_saveexec_b64 s[8:9], vcc
	s_cbranch_execz .LBB605_334
; %bb.331:
	s_movk_i32 s10, 0x7f
	v_and_b32_e32 v42, 0x7f, v22
	v_cmp_ne_u32_e32 vcc, s10, v42
	v_mov_b32_e32 v55, 0x7f800001
	s_and_saveexec_b64 s[10:11], vcc
	s_cbranch_execz .LBB605_333
; %bb.332:
	v_and_b32_e32 v55, 7, v22
	v_ffbh_u32_e32 v56, v55
	v_min_u32_e32 v59, 32, v56
	v_subrev_u32_e32 v56, 28, v59
	v_lshlrev_b64 v[56:57], v56, v[22:23]
	v_lshrrev_b32_e32 v58, 3, v42
	v_sub_u32_e32 v22, 29, v59
	v_and_b32_e32 v56, 7, v56
	v_cmp_gt_u32_e32 vcc, 8, v42
	v_cndmask_b32_e32 v22, v58, v22, vcc
	v_cndmask_b32_e32 v42, v55, v56, vcc
	v_lshlrev_b32_e32 v55, 16, v23
	v_bfrev_b32_e32 v56, 60
	v_lshlrev_b32_e32 v42, 20, v42
	v_and_b32_e32 v55, 0x80000000, v55
	v_lshl_add_u32 v22, v22, 23, v56
	v_or3_b32 v55, v55, v22, v42
.LBB605_333:
	s_or_b64 exec, exec, s[10:11]
.LBB605_334:
	s_or_b64 exec, exec, s[8:9]
.LBB605_335:
	s_or_b64 exec, exec, s[2:3]
	s_movk_i32 s2, 0xff
	v_and_b32_sdwa v42, v23, s2 dst_sel:DWORD dst_unused:UNUSED_PAD src0_sel:WORD_1 src1_sel:DWORD
	v_lshrrev_b32_e32 v22, 16, v23
	v_cmp_ne_u16_e32 vcc, 0, v42
	s_and_saveexec_b64 s[2:3], vcc
	s_cbranch_execz .LBB605_341
; %bb.336:
	s_movk_i32 s8, 0x80
	v_cmp_ne_u16_e32 vcc, s8, v42
	v_bfrev_b32_e32 v54, 1
	s_and_saveexec_b64 s[8:9], vcc
	s_cbranch_execz .LBB605_340
; %bb.337:
	v_bfe_u32 v42, v23, 16, 7
	s_movk_i32 s10, 0x7f
	v_cmp_ne_u32_e32 vcc, s10, v42
	v_mov_b32_e32 v54, 0x7f800001
	s_and_saveexec_b64 s[10:11], vcc
	s_cbranch_execz .LBB605_339
; %bb.338:
	v_and_b32_e32 v54, 7, v22
	v_ffbh_u32_e32 v56, v54
	v_min_u32_e32 v59, 32, v56
	v_subrev_u32_e32 v56, 28, v59
	v_lshlrev_b64 v[56:57], v56, v[22:23]
	v_and_b32_e32 v56, 7, v56
	v_cmp_gt_u32_e32 vcc, 8, v42
	v_lshrrev_b32_e32 v58, 3, v42
	v_sub_u32_e32 v22, 29, v59
	v_cndmask_b32_e32 v42, v54, v56, vcc
	v_mov_b32_e32 v54, 24
	v_cndmask_b32_e32 v22, v58, v22, vcc
	v_lshlrev_b32_sdwa v54, v54, v23 dst_sel:DWORD dst_unused:UNUSED_PAD src0_sel:DWORD src1_sel:WORD_1
	v_bfrev_b32_e32 v56, 60
	v_lshlrev_b32_e32 v42, 20, v42
	v_and_b32_e32 v54, 0x80000000, v54
	v_lshl_add_u32 v22, v22, 23, v56
	v_or3_b32 v54, v54, v22, v42
.LBB605_339:
	s_or_b64 exec, exec, s[10:11]
.LBB605_340:
	s_or_b64 exec, exec, s[8:9]
.LBB605_341:
	s_or_b64 exec, exec, s[2:3]
	s_mov_b32 s2, 0xffffff
	v_cmp_lt_u32_e32 vcc, s2, v23
	v_mov_b32_e32 v42, 0
	v_mov_b32_e32 v56, 0
	s_and_saveexec_b64 s[2:3], vcc
	s_cbranch_execz .LBB605_347
; %bb.342:
	v_lshrrev_b32_e32 v22, 24, v23
	s_movk_i32 s8, 0x80
	v_cmp_ne_u32_e32 vcc, s8, v22
	v_bfrev_b32_e32 v56, 1
	s_and_saveexec_b64 s[8:9], vcc
	s_cbranch_execz .LBB605_346
; %bb.343:
	v_bfe_u32 v23, v23, 24, 7
	s_movk_i32 s10, 0x7f
	v_cmp_ne_u32_e32 vcc, s10, v23
	v_mov_b32_e32 v56, 0x7f800001
	s_and_saveexec_b64 s[10:11], vcc
	s_cbranch_execz .LBB605_345
; %bb.344:
	v_and_b32_e32 v58, 7, v22
	v_ffbh_u32_e32 v56, v58
	v_min_u32_e32 v60, 32, v56
	v_subrev_u32_e32 v56, 28, v60
	v_lshlrev_b64 v[56:57], v56, v[22:23]
	v_lshrrev_b32_e32 v59, 3, v23
	v_sub_u32_e32 v57, 29, v60
	v_and_b32_e32 v56, 7, v56
	v_cmp_gt_u32_e32 vcc, 8, v23
	v_cndmask_b32_e32 v23, v59, v57, vcc
	v_cndmask_b32_e32 v56, v58, v56, vcc
	v_lshlrev_b32_e32 v22, 24, v22
	v_bfrev_b32_e32 v57, 60
	v_lshlrev_b32_e32 v56, 20, v56
	v_and_b32_e32 v22, 0x80000000, v22
	v_lshl_add_u32 v23, v23, 23, v57
	v_or3_b32 v56, v22, v23, v56
.LBB605_345:
	s_or_b64 exec, exec, s[10:11]
.LBB605_346:
	s_or_b64 exec, exec, s[8:9]
.LBB605_347:
	s_or_b64 exec, exec, s[2:3]
	v_cvt_pkrtz_f16_f32 v22, v52, v44
	v_cvt_pkrtz_f16_f32 v23, v43, v53
	v_cmp_ne_u16_sdwa s[8:9], v24, v42 src0_sel:BYTE_0 src1_sel:DWORD
	s_nop 0
	v_mfma_f32_16x16x16f16 v[58:61], v[22:23], v[26:27], 0
	v_cvt_pkrtz_f16_f32 v22, v45, v55
	v_cvt_pkrtz_f16_f32 v23, v54, v56
	s_nop 1
	v_mfma_f32_16x16x16f16 v[26:29], v[22:23], v[28:29], v[58:61]
	s_and_saveexec_b64 s[2:3], s[8:9]
	s_cbranch_execz .LBB605_353
; %bb.348:
	s_movk_i32 s8, 0x80
	v_cmp_ne_u16_sdwa s[10:11], v24, s8 src0_sel:BYTE_0 src1_sel:DWORD
	v_bfrev_b32_e32 v42, 1
	s_and_saveexec_b64 s[8:9], s[10:11]
	s_cbranch_execz .LBB605_352
; %bb.349:
	s_movk_i32 s10, 0x7f
	v_and_b32_e32 v22, 0x7f, v24
	v_cmp_ne_u32_e32 vcc, s10, v22
	v_mov_b32_e32 v42, 0x7f800001
	s_and_saveexec_b64 s[10:11], vcc
	s_cbranch_execz .LBB605_351
; %bb.350:
	v_and_b32_e32 v23, 7, v24
	v_ffbh_u32_e32 v42, v23
	v_min_u32_e32 v45, 32, v42
	v_subrev_u32_e32 v42, 28, v45
	v_lshlrev_b64 v[42:43], v42, v[24:25]
	v_lshrrev_b32_e32 v44, 3, v22
	v_sub_u32_e32 v43, 29, v45
	v_and_b32_e32 v42, 7, v42
	v_cmp_gt_u32_e32 vcc, 8, v22
	v_cndmask_b32_e32 v22, v44, v43, vcc
	v_cndmask_b32_e32 v23, v23, v42, vcc
	v_lshlrev_b32_e32 v42, 24, v24
	v_bfrev_b32_e32 v43, 60
	v_lshlrev_b32_e32 v23, 20, v23
	v_and_b32_e32 v42, 0x80000000, v42
	v_lshl_add_u32 v22, v22, 23, v43
	v_or3_b32 v42, v42, v22, v23
.LBB605_351:
	s_or_b64 exec, exec, s[10:11]
.LBB605_352:
	s_or_b64 exec, exec, s[8:9]
.LBB605_353:
	s_or_b64 exec, exec, s[2:3]
	v_lshrrev_b16_e32 v22, 8, v24
	v_cmp_ne_u16_e32 vcc, 0, v22
	v_mov_b32_e32 v23, 0
	v_mov_b32_e32 v43, 0
	s_and_saveexec_b64 s[2:3], vcc
	s_cbranch_execz .LBB605_359
; %bb.354:
	s_movk_i32 s8, 0x80
	v_cmp_ne_u16_e32 vcc, s8, v22
	v_bfrev_b32_e32 v43, 1
	s_and_saveexec_b64 s[8:9], vcc
	s_cbranch_execz .LBB605_358
; %bb.355:
	s_movk_i32 s10, 0x7f
	v_and_b32_e32 v44, 0x7f, v22
	v_cmp_ne_u32_e32 vcc, s10, v44
	v_mov_b32_e32 v43, 0x7f800001
	s_and_saveexec_b64 s[10:11], vcc
	s_cbranch_execz .LBB605_357
; %bb.356:
	v_and_b32_e32 v43, 7, v22
	v_ffbh_u32_e32 v52, v43
	v_min_u32_e32 v54, 32, v52
	v_subrev_u32_e32 v52, 28, v54
	v_lshlrev_b64 v[52:53], v52, v[22:23]
	v_lshrrev_b32_e32 v45, 3, v44
	v_sub_u32_e32 v22, 29, v54
	v_and_b32_e32 v52, 7, v52
	v_cmp_gt_u32_e32 vcc, 8, v44
	v_cndmask_b32_e32 v22, v45, v22, vcc
	v_cndmask_b32_e32 v43, v43, v52, vcc
	v_lshlrev_b32_e32 v44, 16, v24
	v_bfrev_b32_e32 v45, 60
	v_lshlrev_b32_e32 v43, 20, v43
	v_and_b32_e32 v44, 0x80000000, v44
	v_lshl_add_u32 v22, v22, 23, v45
	v_or3_b32 v43, v44, v22, v43
.LBB605_357:
	s_or_b64 exec, exec, s[10:11]
.LBB605_358:
	s_or_b64 exec, exec, s[8:9]
.LBB605_359:
	s_or_b64 exec, exec, s[2:3]
	s_movk_i32 s2, 0xff
	v_and_b32_sdwa v44, v24, s2 dst_sel:DWORD dst_unused:UNUSED_PAD src0_sel:WORD_1 src1_sel:DWORD
	v_lshrrev_b32_e32 v22, 16, v24
	v_cmp_ne_u16_e32 vcc, 0, v44
	s_and_saveexec_b64 s[2:3], vcc
	s_cbranch_execz .LBB605_365
; %bb.360:
	s_movk_i32 s8, 0x80
	v_cmp_ne_u16_e32 vcc, s8, v44
	v_bfrev_b32_e32 v23, 1
	s_and_saveexec_b64 s[8:9], vcc
	s_cbranch_execz .LBB605_364
; %bb.361:
	v_bfe_u32 v44, v24, 16, 7
	s_movk_i32 s10, 0x7f
	v_cmp_ne_u32_e32 vcc, s10, v44
	v_mov_b32_e32 v23, 0x7f800001
	s_and_saveexec_b64 s[10:11], vcc
	s_cbranch_execz .LBB605_363
; %bb.362:
	v_and_b32_e32 v45, 7, v22
	v_ffbh_u32_e32 v23, v45
	v_min_u32_e32 v53, 32, v23
	v_subrev_u32_e32 v23, 28, v53
	v_lshlrev_b64 v[22:23], v23, v[22:23]
	v_lshrrev_b32_e32 v52, 3, v44
	v_sub_u32_e32 v23, 29, v53
	v_and_b32_e32 v22, 7, v22
	v_cmp_gt_u32_e32 vcc, 8, v44
	v_mov_b32_e32 v44, 24
	v_cndmask_b32_e32 v23, v52, v23, vcc
	v_cndmask_b32_e32 v22, v45, v22, vcc
	v_lshlrev_b32_sdwa v44, v44, v24 dst_sel:DWORD dst_unused:UNUSED_PAD src0_sel:DWORD src1_sel:WORD_1
	v_bfrev_b32_e32 v45, 60
	v_lshlrev_b32_e32 v22, 20, v22
	v_and_b32_e32 v44, 0x80000000, v44
	v_lshl_add_u32 v23, v23, 23, v45
	v_or3_b32 v23, v44, v23, v22
.LBB605_363:
	s_or_b64 exec, exec, s[10:11]
.LBB605_364:
	s_or_b64 exec, exec, s[8:9]
.LBB605_365:
	s_or_b64 exec, exec, s[2:3]
	s_mov_b32 s2, 0xffffff
	v_cmp_lt_u32_e32 vcc, s2, v24
	v_mov_b32_e32 v44, 0
	v_mov_b32_e32 v45, 0
	s_and_saveexec_b64 s[2:3], vcc
	s_cbranch_execz .LBB605_371
; %bb.366:
	v_lshrrev_b32_e32 v22, 24, v24
	s_movk_i32 s8, 0x80
	v_cmp_ne_u32_e32 vcc, s8, v22
	v_bfrev_b32_e32 v45, 1
	s_and_saveexec_b64 s[8:9], vcc
	s_cbranch_execz .LBB605_370
; %bb.367:
	v_bfe_u32 v24, v24, 24, 7
	s_movk_i32 s10, 0x7f
	v_cmp_ne_u32_e32 vcc, s10, v24
	v_mov_b32_e32 v45, 0x7f800001
	s_and_saveexec_b64 s[10:11], vcc
	s_cbranch_execz .LBB605_369
; %bb.368:
	v_and_b32_e32 v45, 7, v22
	v_ffbh_u32_e32 v52, v45
	v_min_u32_e32 v55, 32, v52
	v_subrev_u32_e32 v52, 28, v55
	v_lshlrev_b64 v[52:53], v52, v[22:23]
	v_lshrrev_b32_e32 v54, 3, v24
	v_sub_u32_e32 v53, 29, v55
	v_and_b32_e32 v52, 7, v52
	v_cmp_gt_u32_e32 vcc, 8, v24
	v_cndmask_b32_e32 v24, v54, v53, vcc
	v_cndmask_b32_e32 v45, v45, v52, vcc
	v_lshlrev_b32_e32 v22, 24, v22
	v_bfrev_b32_e32 v52, 60
	v_lshlrev_b32_e32 v45, 20, v45
	v_and_b32_e32 v22, 0x80000000, v22
	v_lshl_add_u32 v24, v24, 23, v52
	v_or3_b32 v45, v22, v24, v45
.LBB605_369:
	s_or_b64 exec, exec, s[10:11]
.LBB605_370:
	s_or_b64 exec, exec, s[8:9]
.LBB605_371:
	s_or_b64 exec, exec, s[2:3]
	v_cmp_ne_u16_sdwa s[8:9], v25, v44 src0_sel:BYTE_0 src1_sel:DWORD
	s_and_saveexec_b64 s[2:3], s[8:9]
	s_cbranch_execz .LBB605_377
; %bb.372:
	s_movk_i32 s8, 0x80
	v_cmp_ne_u16_sdwa s[10:11], v25, s8 src0_sel:BYTE_0 src1_sel:DWORD
	v_bfrev_b32_e32 v44, 1
	s_and_saveexec_b64 s[8:9], s[10:11]
	s_cbranch_execz .LBB605_376
; %bb.373:
	s_movk_i32 s10, 0x7f
	v_and_b32_e32 v22, 0x7f, v25
	v_cmp_ne_u32_e32 vcc, s10, v22
	v_mov_b32_e32 v44, 0x7f800001
	s_and_saveexec_b64 s[10:11], vcc
	s_cbranch_execz .LBB605_375
; %bb.374:
	v_and_b32_e32 v44, 7, v25
	v_ffbh_u32_e32 v52, v44
	v_min_u32_e32 v55, 32, v52
	v_mov_b32_e32 v24, v25
	v_subrev_u32_e32 v52, 28, v55
	v_lshlrev_b64 v[52:53], v52, v[24:25]
	v_lshrrev_b32_e32 v54, 3, v22
	v_sub_u32_e32 v24, 29, v55
	v_and_b32_e32 v52, 7, v52
	v_cmp_gt_u32_e32 vcc, 8, v22
	v_cndmask_b32_e32 v22, v54, v24, vcc
	v_cndmask_b32_e32 v24, v44, v52, vcc
	v_lshlrev_b32_e32 v44, 24, v25
	v_bfrev_b32_e32 v52, 60
	v_lshlrev_b32_e32 v24, 20, v24
	v_and_b32_e32 v44, 0x80000000, v44
	v_lshl_add_u32 v22, v22, 23, v52
	v_or3_b32 v44, v44, v22, v24
.LBB605_375:
	s_or_b64 exec, exec, s[10:11]
.LBB605_376:
	s_or_b64 exec, exec, s[8:9]
.LBB605_377:
	s_or_b64 exec, exec, s[2:3]
	v_lshrrev_b16_e32 v22, 8, v25
	v_cmp_ne_u16_e32 vcc, 0, v22
	v_mov_b32_e32 v24, 0
	v_mov_b32_e32 v53, 0
	s_and_saveexec_b64 s[2:3], vcc
	s_cbranch_execz .LBB605_383
; %bb.378:
	s_movk_i32 s8, 0x80
	v_cmp_ne_u16_e32 vcc, s8, v22
	v_bfrev_b32_e32 v53, 1
	s_and_saveexec_b64 s[8:9], vcc
	s_cbranch_execz .LBB605_382
; %bb.379:
	s_movk_i32 s10, 0x7f
	v_and_b32_e32 v52, 0x7f, v22
	v_cmp_ne_u32_e32 vcc, s10, v52
	v_mov_b32_e32 v53, 0x7f800001
	s_and_saveexec_b64 s[10:11], vcc
	s_cbranch_execz .LBB605_381
; %bb.380:
	v_and_b32_e32 v53, 7, v22
	v_ffbh_u32_e32 v54, v53
	v_min_u32_e32 v57, 32, v54
	v_subrev_u32_e32 v54, 28, v57
	v_lshlrev_b64 v[54:55], v54, v[22:23]
	v_lshrrev_b32_e32 v56, 3, v52
	v_sub_u32_e32 v22, 29, v57
	v_and_b32_e32 v54, 7, v54
	v_cmp_gt_u32_e32 vcc, 8, v52
	v_cndmask_b32_e32 v22, v56, v22, vcc
	v_cndmask_b32_e32 v52, v53, v54, vcc
	v_lshlrev_b32_e32 v53, 16, v25
	v_bfrev_b32_e32 v54, 60
	v_lshlrev_b32_e32 v52, 20, v52
	v_and_b32_e32 v53, 0x80000000, v53
	v_lshl_add_u32 v22, v22, 23, v54
	v_or3_b32 v53, v53, v22, v52
.LBB605_381:
	s_or_b64 exec, exec, s[10:11]
.LBB605_382:
	s_or_b64 exec, exec, s[8:9]
.LBB605_383:
	s_or_b64 exec, exec, s[2:3]
	s_movk_i32 s2, 0xff
	v_and_b32_sdwa v52, v25, s2 dst_sel:DWORD dst_unused:UNUSED_PAD src0_sel:WORD_1 src1_sel:DWORD
	v_lshrrev_b32_e32 v22, 16, v25
	v_cmp_ne_u16_e32 vcc, 0, v52
	s_and_saveexec_b64 s[2:3], vcc
	s_cbranch_execz .LBB605_389
; %bb.384:
	s_movk_i32 s8, 0x80
	v_cmp_ne_u16_e32 vcc, s8, v52
	v_bfrev_b32_e32 v24, 1
	s_and_saveexec_b64 s[8:9], vcc
	s_cbranch_execz .LBB605_388
; %bb.385:
	v_bfe_u32 v52, v25, 16, 7
	s_movk_i32 s10, 0x7f
	v_cmp_ne_u32_e32 vcc, s10, v52
	v_mov_b32_e32 v24, 0x7f800001
	s_and_saveexec_b64 s[10:11], vcc
	s_cbranch_execz .LBB605_387
; %bb.386:
	v_and_b32_e32 v24, 7, v22
	v_ffbh_u32_e32 v54, v24
	v_min_u32_e32 v57, 32, v54
	v_subrev_u32_e32 v54, 28, v57
	v_lshlrev_b64 v[54:55], v54, v[22:23]
	v_lshrrev_b32_e32 v56, 3, v52
	v_sub_u32_e32 v22, 29, v57
	v_and_b32_e32 v54, 7, v54
	v_cmp_gt_u32_e32 vcc, 8, v52
	v_mov_b32_e32 v52, 24
	v_cndmask_b32_e32 v22, v56, v22, vcc
	v_cndmask_b32_e32 v24, v24, v54, vcc
	v_lshlrev_b32_sdwa v52, v52, v25 dst_sel:DWORD dst_unused:UNUSED_PAD src0_sel:DWORD src1_sel:WORD_1
	v_bfrev_b32_e32 v54, 60
	v_lshlrev_b32_e32 v24, 20, v24
	v_and_b32_e32 v52, 0x80000000, v52
	v_lshl_add_u32 v22, v22, 23, v54
	v_or3_b32 v24, v52, v22, v24
.LBB605_387:
	s_or_b64 exec, exec, s[10:11]
.LBB605_388:
	s_or_b64 exec, exec, s[8:9]
.LBB605_389:
	s_or_b64 exec, exec, s[2:3]
	s_mov_b32 s2, 0xffffff
	v_and_b32_e32 v52, 63, v0
	v_cmp_lt_u32_e32 vcc, s2, v25
	v_mov_b32_e32 v54, 0
	s_and_saveexec_b64 s[2:3], vcc
	s_cbranch_execz .LBB605_395
; %bb.390:
	v_lshrrev_b32_e32 v22, 24, v25
	s_movk_i32 s8, 0x80
	v_cmp_ne_u32_e32 vcc, s8, v22
	v_bfrev_b32_e32 v54, 1
	s_and_saveexec_b64 s[8:9], vcc
	s_cbranch_execz .LBB605_394
; %bb.391:
	v_bfe_u32 v25, v25, 24, 7
	s_movk_i32 s10, 0x7f
	v_cmp_ne_u32_e32 vcc, s10, v25
	v_mov_b32_e32 v54, 0x7f800001
	s_and_saveexec_b64 s[10:11], vcc
	s_cbranch_execz .LBB605_393
; %bb.392:
	v_and_b32_e32 v56, 7, v22
	v_ffbh_u32_e32 v54, v56
	v_min_u32_e32 v58, 32, v54
	v_subrev_u32_e32 v54, 28, v58
	v_lshlrev_b64 v[54:55], v54, v[22:23]
	v_lshrrev_b32_e32 v57, 3, v25
	v_sub_u32_e32 v55, 29, v58
	v_and_b32_e32 v54, 7, v54
	v_cmp_gt_u32_e32 vcc, 8, v25
	v_cndmask_b32_e32 v25, v57, v55, vcc
	v_cndmask_b32_e32 v54, v56, v54, vcc
	v_lshlrev_b32_e32 v22, 24, v22
	v_bfrev_b32_e32 v55, 60
	v_lshlrev_b32_e32 v54, 20, v54
	v_and_b32_e32 v22, 0x80000000, v22
	v_lshl_add_u32 v25, v25, 23, v55
	v_or3_b32 v54, v22, v25, v54
.LBB605_393:
	s_or_b64 exec, exec, s[10:11]
.LBB605_394:
	s_or_b64 exec, exec, s[8:9]
.LBB605_395:
	s_or_b64 exec, exec, s[2:3]
	v_cvt_pkrtz_f16_f32 v42, v42, v43
	v_cvt_pkrtz_f16_f32 v43, v23, v45
	s_load_dword s2, s[4:5], 0x1c
	s_mov_b32 s46, 0xff7fffff
	s_waitcnt lgkmcnt(0)
	v_mfma_f32_16x16x16f16 v[26:29], v[42:43], v[18:19], v[26:29]
	v_cvt_pkrtz_f16_f32 v18, v44, v53
	v_cvt_pkrtz_f16_f32 v19, v24, v54
	v_and_b32_e32 v24, 0xc0, v0
	v_mov_b32_e32 v22, s2
	v_add_u32_e32 v24, s20, v24
	v_mul_f32_e32 v56, s12, v22
	v_lshl_or_b32 v42, v1, 2, v24
	v_mfma_f32_16x16x16f16 v[18:21], v[18:19], v[20:21], v[26:29]
	v_pk_mul_f32 v[22:23], v[56:57], v[36:37] op_sel_hi:[0,1]
	v_pk_mul_f32 v[36:37], v[56:57], v[40:41] op_sel_hi:[0,1]
	;; [unrolled: 1-line block ×4, first 2 shown]
	v_mov_b32_e32 v43, 0xff7fffff
	v_cmp_gt_i32_e64 s[26:27], s33, v42
	v_pk_mul_f32 v[38:39], v[56:57], v[38:39] op_sel_hi:[0,1]
	s_nop 3
	v_pk_mul_f32 v[32:33], v[56:57], v[18:19] op_sel_hi:[0,1]
	v_or_b32_e32 v19, 1, v42
	v_cmp_gt_i32_e64 s[28:29], s33, v19
	v_cndmask_b32_e64 v18, v43, v30, s[26:27]
	v_cndmask_b32_e64 v19, v43, v31, s[28:29]
	v_pk_mul_f32 v[24:25], v[56:57], v[20:21] op_sel_hi:[0,1]
	v_max3_f32 v18, v18, s46, v19
	v_or_b32_e32 v19, 2, v42
	v_or_b32_e32 v20, 3, v42
	v_cmp_gt_i32_e64 s[30:31], s33, v19
	v_cmp_gt_i32_e64 s[34:35], s33, v20
	v_cndmask_b32_e64 v19, v43, v40, s[30:31]
	v_cndmask_b32_e64 v20, v43, v41, s[34:35]
	v_max3_f32 v18, v18, v19, v20
	v_or_b32_e32 v19, 16, v42
	v_or_b32_e32 v20, 17, v42
	v_cmp_gt_i32_e64 s[36:37], s33, v19
	v_cmp_gt_i32_e64 s[38:39], s33, v20
	v_cndmask_b32_e64 v19, v43, v38, s[36:37]
	v_cndmask_b32_e64 v20, v43, v39, s[38:39]
	;; [unrolled: 7-line block ×3, first 2 shown]
	v_max3_f32 v18, v18, v19, v20
	v_or_b32_e32 v19, 32, v42
	v_or_b32_e32 v20, 33, v42
	v_pk_mul_f32 v[34:35], v[56:57], v[34:35] op_sel_hi:[0,1]
	v_cmp_gt_i32_e64 s[16:17], s33, v19
	v_cmp_gt_i32_e64 s[18:19], s33, v20
	v_cndmask_b32_e64 v19, v43, v34, s[16:17]
	v_cndmask_b32_e64 v20, v43, v35, s[18:19]
	v_max3_f32 v18, v18, v19, v20
	v_or_b32_e32 v19, 34, v42
	v_or_b32_e32 v20, 35, v42
	v_cmp_gt_i32_e64 s[12:13], s33, v19
	v_cmp_gt_i32_e64 s[14:15], s33, v20
	v_cndmask_b32_e64 v19, v43, v22, s[12:13]
	v_cndmask_b32_e64 v20, v43, v23, s[14:15]
	v_max3_f32 v18, v18, v19, v20
	v_or_b32_e32 v19, 48, v42
	v_or_b32_e32 v20, 49, v42
	;; [unrolled: 7-line block ×3, first 2 shown]
	v_cmp_gt_i32_e32 vcc, s33, v19
	v_cmp_gt_i32_e64 s[2:3], s33, v20
	v_cndmask_b32_e32 v19, v43, v24, vcc
	v_cndmask_b32_e64 v20, v43, v25, s[2:3]
	v_max3_f32 v18, v18, v19, v20
	v_mbcnt_lo_u32_b32 v19, -1, 0
	v_mbcnt_hi_u32_b32 v19, -1, v19
	v_and_b32_e32 v20, 64, v19
	v_add_u32_e32 v20, 64, v20
	v_xor_b32_e32 v21, 32, v19
	v_cmp_lt_i32_e64 s[40:41], v21, v20
	v_cndmask_b32_e64 v21, v19, v21, s[40:41]
	v_lshlrev_b32_e32 v43, 2, v21
	ds_bpermute_b32 v21, v43, v18
	s_barrier
	s_waitcnt lgkmcnt(0)
	v_max_f32_e32 v21, v21, v21
	v_max_f32_e32 v18, v18, v21
	v_xor_b32_e32 v21, 16, v19
	v_cmp_lt_i32_e64 s[40:41], v21, v20
	v_cndmask_b32_e64 v19, v19, v21, s[40:41]
	v_lshlrev_b32_e32 v44, 2, v19
	ds_bpermute_b32 v19, v44, v18
	s_waitcnt lgkmcnt(0)
	v_max_f32_e32 v19, v19, v19
	v_max_f32_e32 v42, v18, v19
	v_sub_f32_e32 v21, v40, v42
	v_sub_f32_e32 v26, v41, v42
	v_mul_f32_e32 v21, 0x3fb8aa3b, v21
	v_mul_f32_e32 v26, 0x3fb8aa3b, v26
	v_sub_f32_e32 v18, v30, v42
	v_exp_f32_e32 v21, v21
	v_exp_f32_e32 v26, v26
	v_mul_f32_e32 v18, 0x3fb8aa3b, v18
	v_sub_f32_e32 v19, v31, v42
	v_exp_f32_e32 v18, v18
	v_mul_f32_e32 v19, 0x3fb8aa3b, v19
	v_exp_f32_e32 v19, v19
	v_cndmask_b32_e64 v28, 0, v21, s[30:31]
	v_cndmask_b32_e64 v29, 0, v26, s[34:35]
	v_sub_f32_e32 v21, v38, v42
	v_sub_f32_e32 v26, v39, v42
	v_mul_f32_e32 v21, 0x3fb8aa3b, v21
	v_mul_f32_e32 v26, 0x3fb8aa3b, v26
	v_cndmask_b32_e64 v18, 0, v18, s[26:27]
	v_exp_f32_e32 v21, v21
	v_exp_f32_e32 v26, v26
	v_add_f32_e32 v20, 0, v18
	v_cndmask_b32_e64 v19, 0, v19, s[28:29]
	v_add_f32_e32 v20, v20, v19
	v_add_f32_e32 v20, v20, v28
	;; [unrolled: 1-line block ×3, first 2 shown]
	v_cndmask_b32_e64 v20, 0, v21, s[36:37]
	v_cndmask_b32_e64 v21, 0, v26, s[38:39]
	v_sub_f32_e32 v26, v36, v42
	v_mul_f32_e32 v26, 0x3fb8aa3b, v26
	v_exp_f32_e32 v26, v26
	v_sub_f32_e32 v30, v37, v42
	v_add_f32_e32 v27, v27, v20
	v_mul_f32_e32 v30, 0x3fb8aa3b, v30
	v_exp_f32_e32 v31, v30
	v_add_f32_e32 v27, v27, v21
	v_cndmask_b32_e64 v30, 0, v26, s[20:21]
	v_add_f32_e32 v26, v27, v30
	v_sub_f32_e32 v27, v34, v42
	v_mul_f32_e32 v27, 0x3fb8aa3b, v27
	v_sub_f32_e32 v34, v35, v42
	v_exp_f32_e32 v27, v27
	v_mul_f32_e32 v34, 0x3fb8aa3b, v34
	v_sub_f32_e32 v22, v22, v42
	v_exp_f32_e32 v34, v34
	;; [unrolled: 3-line block ×3, first 2 shown]
	v_mul_f32_e32 v23, 0x3fb8aa3b, v23
	v_cndmask_b32_e64 v31, 0, v31, s[22:23]
	v_exp_f32_e32 v23, v23
	v_add_f32_e32 v35, v26, v31
	v_cndmask_b32_e64 v26, 0, v27, s[16:17]
	v_add_f32_e32 v35, v35, v26
	v_cndmask_b32_e64 v27, 0, v34, s[18:19]
	;; [unrolled: 2-line block ×4, first 2 shown]
	v_sub_f32_e32 v23, v32, v42
	v_mul_f32_e32 v23, 0x3fb8aa3b, v23
	v_sub_f32_e32 v32, v33, v42
	v_exp_f32_e32 v23, v23
	v_mul_f32_e32 v32, 0x3fb8aa3b, v32
	v_sub_f32_e32 v24, v24, v42
	v_exp_f32_e32 v32, v32
	;; [unrolled: 3-line block ×3, first 2 shown]
	v_mul_f32_e32 v25, 0x3fb8aa3b, v25
	v_exp_f32_e32 v25, v25
	v_add_f32_e32 v33, v22, v35
	v_cndmask_b32_e64 v22, 0, v23, s[8:9]
	v_add_f32_e32 v33, v33, v22
	v_cndmask_b32_e64 v23, 0, v32, s[10:11]
	v_add_f32_e32 v32, v33, v23
	v_cndmask_b32_e32 v24, 0, v24, vcc
	v_add_f32_e32 v32, v32, v24
	v_cndmask_b32_e64 v25, 0, v25, s[2:3]
	v_add_f32_e32 v32, v32, v25
	ds_bpermute_b32 v33, v43, v32
	v_cmp_gt_u32_e32 vcc, 16, v52
	s_waitcnt lgkmcnt(0)
	v_add_f32_e32 v33, v32, v33
	ds_bpermute_b32 v36, v44, v33
	v_lshlrev_b32_e32 v32, 2, v50
	s_and_saveexec_b64 s[2:3], vcc
	s_cbranch_execz .LBB605_397
; %bb.396:
	s_waitcnt lgkmcnt(0)
	v_add_f32_e32 v33, v33, v36
	v_lshl_or_b32 v36, v49, 6, v32
	ds_write2st64_b32 v36, v42, v33 offset1:1
.LBB605_397:
	s_or_b64 exec, exec, s[2:3]
	s_waitcnt lgkmcnt(0)
	s_barrier
	ds_read2_b32 v[36:37], v32 offset1:16
	ds_read2_b32 v[38:39], v32 offset0:32 offset1:48
	ds_read2_b32 v[40:41], v32 offset0:64 offset1:80
	;; [unrolled: 1-line block ×3, first 2 shown]
	s_waitcnt lgkmcnt(0)
	v_max3_f32 v33, v36, s46, v37
	v_max3_f32 v33, v33, v38, v39
	v_sub_f32_e32 v36, v36, v33
	v_mul_f32_e32 v36, 0x3fb8aa3b, v36
	v_exp_f32_e32 v44, v36
	v_sub_f32_e32 v36, v37, v33
	v_mul_f32_e32 v36, 0x3fb8aa3b, v36
	v_exp_f32_e32 v37, v36
	v_sub_f32_e32 v36, v38, v33
	v_mul_f32_e32 v36, 0x3fb8aa3b, v36
	v_sub_f32_e32 v32, v39, v33
	v_exp_f32_e32 v38, v36
	v_mul_f32_e32 v32, 0x3fb8aa3b, v32
	v_exp_f32_e32 v39, v32
	v_fma_f32 v36, v44, v40, 0
	v_fmac_f32_e32 v36, v37, v41
	v_fmac_f32_e32 v36, v38, v42
	;; [unrolled: 1-line block ×3, first 2 shown]
	v_add_f32_e32 v40, 0x358637bd, v36
	v_div_scale_f32 v41, s[2:3], v40, v40, 1.0
	v_rcp_f32_e32 v42, v41
	s_barrier
	s_lshl_b32 s12, s45, 4
	v_fma_f32 v43, -v41, v42, 1.0
	v_fmac_f32_e32 v42, v43, v42
	v_div_scale_f32 v43, vcc, 1.0, v40, 1.0
	v_mul_f32_e32 v45, v43, v42
	v_fma_f32 v50, -v41, v45, v43
	v_fmac_f32_e32 v45, v50, v42
	v_fma_f32 v41, -v41, v45, v43
	v_div_fmas_f32 v41, v41, v42, v45
	v_cmp_eq_u32_e32 vcc, 1, v49
	v_cndmask_b32_e32 v37, v44, v37, vcc
	v_cmp_eq_u32_e32 vcc, 2, v49
	v_cndmask_b32_e32 v37, v37, v38, vcc
	v_cmp_eq_u32_e32 vcc, 3, v49
	v_div_fixup_f32 v40, v41, v40, 1.0
	v_cndmask_b32_e32 v37, v37, v39, vcc
	v_mul_f32_e32 v38, v37, v40
	v_pk_mul_f32 v[28:29], v[38:39], v[28:29] op_sel_hi:[0,1]
	v_pk_mul_f32 v[18:19], v[38:39], v[18:19] op_sel_hi:[0,1]
	v_cvt_f16_f32_e32 v18, v18
	v_cvt_f16_f32_e32 v19, v19
	;; [unrolled: 1-line block ×4, first 2 shown]
	v_pk_mul_f32 v[20:21], v[38:39], v[20:21] op_sel_hi:[0,1]
	v_pack_b32_f16 v18, v18, v19
	v_cvt_f16_f32_e32 v20, v20
	v_pack_b32_f16 v19, v28, v29
	v_pk_mul_f32 v[28:29], v[38:39], v[30:31] op_sel_hi:[0,1]
	v_cvt_f16_f32_e32 v21, v21
	v_cvt_f16_f32_e32 v30, v28
	;; [unrolled: 1-line block ×3, first 2 shown]
	v_lshlrev_b32_e32 v37, 3, v1
	v_lshlrev_b32_e32 v28, 11, v49
	v_or3_b32 v28, v28, v51, v37
	v_pack_b32_f16 v20, v20, v21
	v_pack_b32_f16 v21, v30, v29
	ds_write2st64_b64 v28, v[18:19], v[20:21] offset1:1
	v_pk_mul_f32 v[18:19], v[38:39], v[34:35] op_sel_hi:[0,1]
	v_pk_mul_f32 v[20:21], v[38:39], v[26:27] op_sel_hi:[0,1]
	v_cvt_f16_f32_e32 v26, v20
	v_cvt_f16_f32_e32 v27, v21
	;; [unrolled: 1-line block ×4, first 2 shown]
	v_pk_mul_f32 v[18:19], v[38:39], v[24:25] op_sel_hi:[0,1]
	v_pk_mul_f32 v[20:21], v[38:39], v[22:23] op_sel_hi:[0,1]
	v_cvt_f16_f32_e32 v20, v20
	v_cvt_f16_f32_e32 v21, v21
	;; [unrolled: 1-line block ×4, first 2 shown]
	v_mov_b32_e32 v32, 0
	v_pack_b32_f16 v18, v26, v27
	v_pack_b32_f16 v19, v29, v30
	;; [unrolled: 1-line block ×4, first 2 shown]
	v_cmp_gt_u32_e32 vcc, 16, v0
	ds_write2st64_b64 v28, v[18:19], v[20:21] offset0:2 offset1:3
	s_and_saveexec_b64 s[2:3], vcc
	s_cbranch_execz .LBB605_399
; %bb.398:
	v_or_b32_e32 v18, s25, v0
	v_mov_b32_e32 v19, 0
	v_mov_b32_e32 v20, s12
	v_mad_u64_u32 v[20:21], s[14:15], s6, v20, v[18:19]
	v_mov_b32_e32 v18, s24
	s_load_dwordx4 s[8:11], s[4:5], 0x58
	s_mul_i32 s7, s7, s12
	v_mad_u64_u32 v[18:19], s[14:15], v20, s44, v[18:19]
	v_add_u32_e32 v21, s7, v21
	v_mov_b32_e32 v20, v19
	v_mad_u64_u32 v[20:21], s[14:15], v21, s44, v[20:21]
	v_mov_b32_e32 v19, v20
	v_lshlrev_b64 v[18:19], 2, v[18:19]
	s_waitcnt lgkmcnt(0)
	v_mov_b32_e32 v21, s11
	v_add_co_u32_e32 v20, vcc, s10, v18
	v_addc_co_u32_e32 v21, vcc, v21, v19, vcc
	global_store_dword v[20:21], v33, off
	v_mov_b32_e32 v20, s9
	v_add_co_u32_e32 v18, vcc, s8, v18
	v_addc_co_u32_e32 v19, vcc, v20, v19, vcc
	global_store_dword v[18:19], v36, off
.LBB605_399:
	s_or_b64 exec, exec, s[2:3]
	v_mov_b32_e32 v19, 0
	s_waitcnt vmcnt(3)
	v_cmp_ne_u16_sdwa s[8:9], v14, v19 src0_sel:BYTE_0 src1_sel:DWORD
	s_waitcnt lgkmcnt(0)
	s_barrier
	s_and_saveexec_b64 s[2:3], s[8:9]
	s_cbranch_execz .LBB605_405
; %bb.400:
	s_movk_i32 s7, 0x80
	v_cmp_ne_u16_sdwa s[10:11], v14, s7 src0_sel:BYTE_0 src1_sel:DWORD
	v_bfrev_b32_e32 v32, 1
	s_and_saveexec_b64 s[8:9], s[10:11]
	s_cbranch_execz .LBB605_404
; %bb.401:
	s_movk_i32 s7, 0x7f
	v_and_b32_e32 v18, 0x7f, v14
	v_cmp_ne_u32_e32 vcc, s7, v18
	v_mov_b32_e32 v32, 0x7f800001
	s_and_saveexec_b64 s[10:11], vcc
	s_cbranch_execz .LBB605_403
; %bb.402:
	v_and_b32_e32 v22, 7, v14
	v_ffbh_u32_e32 v20, v22
	v_min_u32_e32 v24, 32, v20
	v_subrev_u32_e32 v20, 28, v24
	v_lshlrev_b64 v[20:21], v20, v[14:15]
	v_lshrrev_b32_e32 v23, 3, v18
	v_sub_u32_e32 v21, 29, v24
	v_and_b32_e32 v20, 7, v20
	v_cmp_gt_u32_e32 vcc, 8, v18
	v_cndmask_b32_e32 v18, v23, v21, vcc
	v_cndmask_b32_e32 v20, v22, v20, vcc
	v_lshlrev_b32_e32 v21, 24, v14
	v_bfrev_b32_e32 v22, 60
	v_lshlrev_b32_e32 v20, 20, v20
	v_and_b32_e32 v21, 0x80000000, v21
	v_lshl_add_u32 v18, v18, 23, v22
	v_or3_b32 v32, v21, v18, v20
.LBB605_403:
	s_or_b64 exec, exec, s[10:11]
.LBB605_404:
	s_or_b64 exec, exec, s[8:9]
.LBB605_405:
	s_or_b64 exec, exec, s[2:3]
	v_lshrrev_b16_e32 v18, 8, v14
	v_cmp_ne_u16_e32 vcc, 0, v18
	v_mov_b32_e32 v20, 0
	s_and_saveexec_b64 s[2:3], vcc
	s_cbranch_execz .LBB605_411
; %bb.406:
	s_movk_i32 s7, 0x80
	v_cmp_ne_u16_e32 vcc, s7, v18
	v_bfrev_b32_e32 v20, 1
	s_and_saveexec_b64 s[8:9], vcc
	s_cbranch_execz .LBB605_410
; %bb.407:
	s_movk_i32 s7, 0x7f
	v_and_b32_e32 v21, 0x7f, v18
	v_cmp_ne_u32_e32 vcc, s7, v21
	v_mov_b32_e32 v20, 0x7f800001
	s_and_saveexec_b64 s[10:11], vcc
	s_cbranch_execz .LBB605_409
; %bb.408:
	v_and_b32_e32 v20, 7, v18
	v_ffbh_u32_e32 v22, v20
	v_min_u32_e32 v25, 32, v22
	v_subrev_u32_e32 v22, 28, v25
	v_lshlrev_b64 v[22:23], v22, v[18:19]
	v_lshrrev_b32_e32 v24, 3, v21
	v_sub_u32_e32 v18, 29, v25
	v_and_b32_e32 v22, 7, v22
	v_cmp_gt_u32_e32 vcc, 8, v21
	v_cndmask_b32_e32 v18, v24, v18, vcc
	v_cndmask_b32_e32 v20, v20, v22, vcc
	v_lshlrev_b32_e32 v21, 16, v14
	v_bfrev_b32_e32 v22, 60
	v_lshlrev_b32_e32 v20, 20, v20
	v_and_b32_e32 v21, 0x80000000, v21
	v_lshl_add_u32 v18, v18, 23, v22
	v_or3_b32 v20, v21, v18, v20
.LBB605_409:
	s_or_b64 exec, exec, s[10:11]
.LBB605_410:
	s_or_b64 exec, exec, s[8:9]
.LBB605_411:
	s_or_b64 exec, exec, s[2:3]
	s_movk_i32 s2, 0xff
	v_and_b32_sdwa v21, v14, s2 dst_sel:DWORD dst_unused:UNUSED_PAD src0_sel:WORD_1 src1_sel:DWORD
	v_lshrrev_b32_e32 v18, 16, v14
	v_cmp_ne_u16_e32 vcc, 0, v21
	s_and_saveexec_b64 s[2:3], vcc
	s_cbranch_execz .LBB605_417
; %bb.412:
	s_movk_i32 s7, 0x80
	v_cmp_ne_u16_e32 vcc, s7, v21
	v_bfrev_b32_e32 v19, 1
	s_and_saveexec_b64 s[8:9], vcc
	s_cbranch_execz .LBB605_416
; %bb.413:
	v_bfe_u32 v21, v14, 16, 7
	s_movk_i32 s7, 0x7f
	v_cmp_ne_u32_e32 vcc, s7, v21
	v_mov_b32_e32 v19, 0x7f800001
	s_and_saveexec_b64 s[10:11], vcc
	s_cbranch_execz .LBB605_415
; %bb.414:
	v_and_b32_e32 v22, 7, v18
	v_ffbh_u32_e32 v19, v22
	v_min_u32_e32 v24, 32, v19
	v_subrev_u32_e32 v19, 28, v24
	v_lshlrev_b64 v[18:19], v19, v[18:19]
	v_lshrrev_b32_e32 v23, 3, v21
	v_sub_u32_e32 v19, 29, v24
	v_and_b32_e32 v18, 7, v18
	v_cmp_gt_u32_e32 vcc, 8, v21
	v_mov_b32_e32 v21, 24
	v_cndmask_b32_e32 v19, v23, v19, vcc
	v_cndmask_b32_e32 v18, v22, v18, vcc
	v_lshlrev_b32_sdwa v21, v21, v14 dst_sel:DWORD dst_unused:UNUSED_PAD src0_sel:DWORD src1_sel:WORD_1
	v_bfrev_b32_e32 v22, 60
	v_lshlrev_b32_e32 v18, 20, v18
	v_and_b32_e32 v21, 0x80000000, v21
	v_lshl_add_u32 v19, v19, 23, v22
	v_or3_b32 v19, v21, v19, v18
.LBB605_415:
	s_or_b64 exec, exec, s[10:11]
.LBB605_416:
	s_or_b64 exec, exec, s[8:9]
.LBB605_417:
	s_or_b64 exec, exec, s[2:3]
	s_mov_b32 s2, 0xffffff
	v_cmp_lt_u32_e32 vcc, s2, v14
	v_mov_b32_e32 v21, 0
	v_mov_b32_e32 v23, 0
	s_and_saveexec_b64 s[2:3], vcc
	s_cbranch_execz .LBB605_423
; %bb.418:
	v_lshrrev_b32_e32 v18, 24, v14
	s_movk_i32 s7, 0x80
	v_cmp_ne_u32_e32 vcc, s7, v18
	v_bfrev_b32_e32 v23, 1
	s_and_saveexec_b64 s[8:9], vcc
	s_cbranch_execz .LBB605_422
; %bb.419:
	v_bfe_u32 v14, v14, 24, 7
	s_movk_i32 s7, 0x7f
	v_cmp_ne_u32_e32 vcc, s7, v14
	v_mov_b32_e32 v23, 0x7f800001
	s_and_saveexec_b64 s[10:11], vcc
	s_cbranch_execz .LBB605_421
; %bb.420:
	v_and_b32_e32 v24, 7, v18
	v_ffbh_u32_e32 v22, v24
	v_min_u32_e32 v26, 32, v22
	v_subrev_u32_e32 v22, 28, v26
	v_lshlrev_b64 v[22:23], v22, v[18:19]
	v_lshrrev_b32_e32 v25, 3, v14
	v_sub_u32_e32 v23, 29, v26
	v_and_b32_e32 v22, 7, v22
	v_cmp_gt_u32_e32 vcc, 8, v14
	v_cndmask_b32_e32 v14, v25, v23, vcc
	v_cndmask_b32_e32 v22, v24, v22, vcc
	v_lshlrev_b32_e32 v18, 24, v18
	v_bfrev_b32_e32 v23, 60
	v_lshlrev_b32_e32 v22, 20, v22
	v_and_b32_e32 v18, 0x80000000, v18
	v_lshl_add_u32 v14, v14, 23, v23
	v_or3_b32 v23, v18, v14, v22
.LBB605_421:
	s_or_b64 exec, exec, s[10:11]
.LBB605_422:
	s_or_b64 exec, exec, s[8:9]
.LBB605_423:
	s_or_b64 exec, exec, s[2:3]
	v_cmp_ne_u16_sdwa s[8:9], v15, v21 src0_sel:BYTE_0 src1_sel:DWORD
	s_and_saveexec_b64 s[2:3], s[8:9]
	s_cbranch_execz .LBB605_429
; %bb.424:
	s_movk_i32 s7, 0x80
	v_cmp_ne_u16_sdwa s[10:11], v15, s7 src0_sel:BYTE_0 src1_sel:DWORD
	v_bfrev_b32_e32 v21, 1
	s_and_saveexec_b64 s[8:9], s[10:11]
	s_cbranch_execz .LBB605_428
; %bb.425:
	s_movk_i32 s7, 0x7f
	v_and_b32_e32 v14, 0x7f, v15
	v_cmp_ne_u32_e32 vcc, s7, v14
	v_mov_b32_e32 v21, 0x7f800001
	s_and_saveexec_b64 s[10:11], vcc
	s_cbranch_execz .LBB605_427
; %bb.426:
	v_and_b32_e32 v21, 7, v15
	v_ffbh_u32_e32 v24, v21
	v_min_u32_e32 v26, 32, v24
	v_mov_b32_e32 v18, v15
	v_subrev_u32_e32 v24, 28, v26
	v_lshlrev_b64 v[24:25], v24, v[18:19]
	v_lshrrev_b32_e32 v22, 3, v14
	v_sub_u32_e32 v18, 29, v26
	v_and_b32_e32 v24, 7, v24
	v_cmp_gt_u32_e32 vcc, 8, v14
	v_cndmask_b32_e32 v14, v22, v18, vcc
	v_cndmask_b32_e32 v18, v21, v24, vcc
	v_lshlrev_b32_e32 v21, 24, v15
	v_bfrev_b32_e32 v22, 60
	v_lshlrev_b32_e32 v18, 20, v18
	v_and_b32_e32 v21, 0x80000000, v21
	v_lshl_add_u32 v14, v14, 23, v22
	v_or3_b32 v21, v21, v14, v18
.LBB605_427:
	s_or_b64 exec, exec, s[10:11]
.LBB605_428:
	s_or_b64 exec, exec, s[8:9]
.LBB605_429:
	s_or_b64 exec, exec, s[2:3]
	v_lshrrev_b16_e32 v14, 8, v15
	v_cmp_ne_u16_e32 vcc, 0, v14
	v_mov_b32_e32 v18, 0
	v_mov_b32_e32 v24, 0
	s_and_saveexec_b64 s[2:3], vcc
	s_cbranch_execz .LBB605_435
; %bb.430:
	s_movk_i32 s7, 0x80
	v_cmp_ne_u16_e32 vcc, s7, v14
	v_bfrev_b32_e32 v24, 1
	s_and_saveexec_b64 s[8:9], vcc
	s_cbranch_execz .LBB605_434
; %bb.431:
	s_movk_i32 s7, 0x7f
	v_and_b32_e32 v22, 0x7f, v14
	v_cmp_ne_u32_e32 vcc, s7, v22
	v_mov_b32_e32 v24, 0x7f800001
	s_and_saveexec_b64 s[10:11], vcc
	s_cbranch_execz .LBB605_433
; %bb.432:
	v_and_b32_e32 v26, 7, v14
	v_ffbh_u32_e32 v24, v26
	v_min_u32_e32 v29, 32, v24
	v_subrev_u32_e32 v24, 28, v29
	v_lshlrev_b64 v[24:25], v24, v[14:15]
	v_lshrrev_b32_e32 v27, 3, v22
	v_sub_u32_e32 v14, 29, v29
	v_and_b32_e32 v24, 7, v24
	v_cmp_gt_u32_e32 vcc, 8, v22
	v_cndmask_b32_e32 v14, v27, v14, vcc
	v_cndmask_b32_e32 v22, v26, v24, vcc
	v_lshlrev_b32_e32 v24, 16, v15
	v_bfrev_b32_e32 v25, 60
	v_lshlrev_b32_e32 v22, 20, v22
	v_and_b32_e32 v24, 0x80000000, v24
	v_lshl_add_u32 v14, v14, 23, v25
	v_or3_b32 v24, v24, v14, v22
.LBB605_433:
	s_or_b64 exec, exec, s[10:11]
.LBB605_434:
	s_or_b64 exec, exec, s[8:9]
.LBB605_435:
	s_or_b64 exec, exec, s[2:3]
	s_movk_i32 s2, 0xff
	v_and_b32_sdwa v22, v15, s2 dst_sel:DWORD dst_unused:UNUSED_PAD src0_sel:WORD_1 src1_sel:DWORD
	v_lshrrev_b32_e32 v14, 16, v15
	v_cmp_ne_u16_e32 vcc, 0, v22
	s_and_saveexec_b64 s[2:3], vcc
	s_cbranch_execz .LBB605_441
; %bb.436:
	s_movk_i32 s7, 0x80
	v_cmp_ne_u16_e32 vcc, s7, v22
	v_bfrev_b32_e32 v18, 1
	s_and_saveexec_b64 s[8:9], vcc
	s_cbranch_execz .LBB605_440
; %bb.437:
	v_bfe_u32 v22, v15, 16, 7
	s_movk_i32 s7, 0x7f
	v_cmp_ne_u32_e32 vcc, s7, v22
	v_mov_b32_e32 v18, 0x7f800001
	s_and_saveexec_b64 s[10:11], vcc
	s_cbranch_execz .LBB605_439
; %bb.438:
	v_and_b32_e32 v18, 7, v14
	v_ffbh_u32_e32 v26, v18
	v_min_u32_e32 v29, 32, v26
	v_subrev_u32_e32 v26, 28, v29
	v_lshlrev_b64 v[26:27], v26, v[14:15]
	v_lshrrev_b32_e32 v25, 3, v22
	v_sub_u32_e32 v14, 29, v29
	v_and_b32_e32 v26, 7, v26
	v_cmp_gt_u32_e32 vcc, 8, v22
	v_mov_b32_e32 v22, 24
	v_cndmask_b32_e32 v14, v25, v14, vcc
	v_cndmask_b32_e32 v18, v18, v26, vcc
	v_lshlrev_b32_sdwa v22, v22, v15 dst_sel:DWORD dst_unused:UNUSED_PAD src0_sel:DWORD src1_sel:WORD_1
	v_bfrev_b32_e32 v25, 60
	v_lshlrev_b32_e32 v18, 20, v18
	v_and_b32_e32 v22, 0x80000000, v22
	v_lshl_add_u32 v14, v14, 23, v25
	v_or3_b32 v18, v22, v14, v18
.LBB605_439:
	s_or_b64 exec, exec, s[10:11]
.LBB605_440:
	s_or_b64 exec, exec, s[8:9]
.LBB605_441:
	s_or_b64 exec, exec, s[2:3]
	s_mov_b32 s2, 0xffffff
	v_cmp_lt_u32_e32 vcc, s2, v15
	v_mov_b32_e32 v22, 0
	v_mov_b32_e32 v25, 0
	s_and_saveexec_b64 s[2:3], vcc
	s_cbranch_execz .LBB605_447
; %bb.442:
	v_lshrrev_b32_e32 v14, 24, v15
	s_movk_i32 s7, 0x80
	v_cmp_ne_u32_e32 vcc, s7, v14
	v_bfrev_b32_e32 v25, 1
	s_and_saveexec_b64 s[8:9], vcc
	s_cbranch_execz .LBB605_446
; %bb.443:
	v_bfe_u32 v15, v15, 24, 7
	s_movk_i32 s7, 0x7f
	v_cmp_ne_u32_e32 vcc, s7, v15
	v_mov_b32_e32 v25, 0x7f800001
	s_and_saveexec_b64 s[10:11], vcc
	s_cbranch_execz .LBB605_445
; %bb.444:
	v_and_b32_e32 v25, 7, v14
	v_ffbh_u32_e32 v26, v25
	v_min_u32_e32 v30, 32, v26
	v_subrev_u32_e32 v26, 28, v30
	v_lshlrev_b64 v[26:27], v26, v[14:15]
	v_lshrrev_b32_e32 v29, 3, v15
	v_sub_u32_e32 v27, 29, v30
	v_and_b32_e32 v26, 7, v26
	v_cmp_gt_u32_e32 vcc, 8, v15
	v_cndmask_b32_e32 v15, v29, v27, vcc
	v_cndmask_b32_e32 v25, v25, v26, vcc
	v_lshlrev_b32_e32 v14, 24, v14
	v_bfrev_b32_e32 v26, 60
	v_lshlrev_b32_e32 v25, 20, v25
	v_and_b32_e32 v14, 0x80000000, v14
	v_lshl_add_u32 v15, v15, 23, v26
	v_or3_b32 v25, v14, v15, v25
.LBB605_445:
	s_or_b64 exec, exec, s[10:11]
.LBB605_446:
	s_or_b64 exec, exec, s[8:9]
.LBB605_447:
	s_or_b64 exec, exec, s[2:3]
	v_cvt_pkrtz_f16_f32 v14, v32, v20
	v_cvt_pkrtz_f16_f32 v15, v19, v23
	ds_read_b128 v[30:33], v48
	v_cmp_ne_u16_sdwa s[8:9], v16, v22 src0_sel:BYTE_0 src1_sel:DWORD
	s_waitcnt lgkmcnt(0)
	v_mfma_f32_16x16x16f16 v[34:37], v[14:15], v[30:31], 0
	v_cvt_pkrtz_f16_f32 v14, v21, v24
	v_cvt_pkrtz_f16_f32 v15, v18, v25
	s_nop 1
	v_mfma_f32_16x16x16f16 v[18:21], v[14:15], v[32:33], v[34:37]
	s_and_saveexec_b64 s[2:3], s[8:9]
	s_cbranch_execz .LBB605_453
; %bb.448:
	s_movk_i32 s7, 0x80
	v_cmp_ne_u16_sdwa s[10:11], v16, s7 src0_sel:BYTE_0 src1_sel:DWORD
	v_bfrev_b32_e32 v22, 1
	s_and_saveexec_b64 s[8:9], s[10:11]
	s_cbranch_execz .LBB605_452
; %bb.449:
	s_movk_i32 s7, 0x7f
	v_and_b32_e32 v14, 0x7f, v16
	v_cmp_ne_u32_e32 vcc, s7, v14
	v_mov_b32_e32 v22, 0x7f800001
	s_and_saveexec_b64 s[10:11], vcc
	s_cbranch_execz .LBB605_451
; %bb.450:
	v_and_b32_e32 v15, 7, v16
	v_ffbh_u32_e32 v22, v15
	v_min_u32_e32 v25, 32, v22
	v_subrev_u32_e32 v22, 28, v25
	v_lshlrev_b64 v[22:23], v22, v[16:17]
	v_lshrrev_b32_e32 v24, 3, v14
	v_sub_u32_e32 v23, 29, v25
	v_and_b32_e32 v22, 7, v22
	v_cmp_gt_u32_e32 vcc, 8, v14
	v_cndmask_b32_e32 v14, v24, v23, vcc
	v_cndmask_b32_e32 v15, v15, v22, vcc
	v_lshlrev_b32_e32 v22, 24, v16
	v_bfrev_b32_e32 v23, 60
	v_lshlrev_b32_e32 v15, 20, v15
	v_and_b32_e32 v22, 0x80000000, v22
	v_lshl_add_u32 v14, v14, 23, v23
	v_or3_b32 v22, v22, v14, v15
.LBB605_451:
	s_or_b64 exec, exec, s[10:11]
.LBB605_452:
	s_or_b64 exec, exec, s[8:9]
.LBB605_453:
	s_or_b64 exec, exec, s[2:3]
	v_lshrrev_b16_e32 v14, 8, v16
	v_cmp_ne_u16_e32 vcc, 0, v14
	v_mov_b32_e32 v15, 0
	v_mov_b32_e32 v24, 0
	s_and_saveexec_b64 s[2:3], vcc
	s_cbranch_execz .LBB605_459
; %bb.454:
	s_movk_i32 s7, 0x80
	v_cmp_ne_u16_e32 vcc, s7, v14
	v_bfrev_b32_e32 v24, 1
	s_and_saveexec_b64 s[8:9], vcc
	s_cbranch_execz .LBB605_458
; %bb.455:
	s_movk_i32 s7, 0x7f
	v_and_b32_e32 v23, 0x7f, v14
	v_cmp_ne_u32_e32 vcc, s7, v23
	v_mov_b32_e32 v24, 0x7f800001
	s_and_saveexec_b64 s[10:11], vcc
	s_cbranch_execz .LBB605_457
; %bb.456:
	v_and_b32_e32 v26, 7, v14
	v_ffbh_u32_e32 v24, v26
	v_min_u32_e32 v29, 32, v24
	v_subrev_u32_e32 v24, 28, v29
	v_lshlrev_b64 v[24:25], v24, v[14:15]
	v_lshrrev_b32_e32 v27, 3, v23
	v_sub_u32_e32 v14, 29, v29
	v_and_b32_e32 v24, 7, v24
	v_cmp_gt_u32_e32 vcc, 8, v23
	v_cndmask_b32_e32 v14, v27, v14, vcc
	v_cndmask_b32_e32 v23, v26, v24, vcc
	v_lshlrev_b32_e32 v24, 16, v16
	v_bfrev_b32_e32 v25, 60
	v_lshlrev_b32_e32 v23, 20, v23
	v_and_b32_e32 v24, 0x80000000, v24
	v_lshl_add_u32 v14, v14, 23, v25
	v_or3_b32 v24, v24, v14, v23
.LBB605_457:
	s_or_b64 exec, exec, s[10:11]
.LBB605_458:
	s_or_b64 exec, exec, s[8:9]
.LBB605_459:
	s_or_b64 exec, exec, s[2:3]
	s_movk_i32 s2, 0xff
	v_and_b32_sdwa v23, v16, s2 dst_sel:DWORD dst_unused:UNUSED_PAD src0_sel:WORD_1 src1_sel:DWORD
	v_lshrrev_b32_e32 v14, 16, v16
	v_cmp_ne_u16_e32 vcc, 0, v23
	s_and_saveexec_b64 s[2:3], vcc
	s_cbranch_execz .LBB605_465
; %bb.460:
	s_movk_i32 s7, 0x80
	v_cmp_ne_u16_e32 vcc, s7, v23
	v_bfrev_b32_e32 v15, 1
	s_and_saveexec_b64 s[8:9], vcc
	s_cbranch_execz .LBB605_464
; %bb.461:
	v_bfe_u32 v23, v16, 16, 7
	s_movk_i32 s7, 0x7f
	v_cmp_ne_u32_e32 vcc, s7, v23
	v_mov_b32_e32 v15, 0x7f800001
	s_and_saveexec_b64 s[10:11], vcc
	s_cbranch_execz .LBB605_463
; %bb.462:
	v_and_b32_e32 v25, 7, v14
	v_ffbh_u32_e32 v15, v25
	v_min_u32_e32 v27, 32, v15
	v_subrev_u32_e32 v15, 28, v27
	v_lshlrev_b64 v[14:15], v15, v[14:15]
	v_lshrrev_b32_e32 v26, 3, v23
	v_sub_u32_e32 v15, 29, v27
	v_and_b32_e32 v14, 7, v14
	v_cmp_gt_u32_e32 vcc, 8, v23
	v_mov_b32_e32 v23, 24
	v_cndmask_b32_e32 v15, v26, v15, vcc
	v_cndmask_b32_e32 v14, v25, v14, vcc
	v_lshlrev_b32_sdwa v23, v23, v16 dst_sel:DWORD dst_unused:UNUSED_PAD src0_sel:DWORD src1_sel:WORD_1
	v_bfrev_b32_e32 v25, 60
	v_lshlrev_b32_e32 v14, 20, v14
	v_and_b32_e32 v23, 0x80000000, v23
	v_lshl_add_u32 v15, v15, 23, v25
	v_or3_b32 v15, v23, v15, v14
.LBB605_463:
	s_or_b64 exec, exec, s[10:11]
.LBB605_464:
	s_or_b64 exec, exec, s[8:9]
.LBB605_465:
	s_or_b64 exec, exec, s[2:3]
	s_mov_b32 s2, 0xffffff
	v_cmp_lt_u32_e32 vcc, s2, v16
	v_mov_b32_e32 v25, 0
	v_mov_b32_e32 v26, 0
	s_and_saveexec_b64 s[2:3], vcc
	s_cbranch_execz .LBB605_471
; %bb.466:
	v_lshrrev_b32_e32 v14, 24, v16
	s_movk_i32 s7, 0x80
	v_cmp_ne_u32_e32 vcc, s7, v14
	v_bfrev_b32_e32 v26, 1
	s_and_saveexec_b64 s[8:9], vcc
	s_cbranch_execz .LBB605_470
; %bb.467:
	v_bfe_u32 v16, v16, 24, 7
	s_movk_i32 s7, 0x7f
	v_cmp_ne_u32_e32 vcc, s7, v16
	v_mov_b32_e32 v26, 0x7f800001
	s_and_saveexec_b64 s[10:11], vcc
	s_cbranch_execz .LBB605_469
; %bb.468:
	v_and_b32_e32 v23, 7, v14
	v_ffbh_u32_e32 v26, v23
	v_min_u32_e32 v30, 32, v26
	v_subrev_u32_e32 v26, 28, v30
	v_lshlrev_b64 v[26:27], v26, v[14:15]
	v_lshrrev_b32_e32 v29, 3, v16
	v_sub_u32_e32 v27, 29, v30
	v_and_b32_e32 v26, 7, v26
	v_cmp_gt_u32_e32 vcc, 8, v16
	v_cndmask_b32_e32 v16, v29, v27, vcc
	v_cndmask_b32_e32 v23, v23, v26, vcc
	v_lshlrev_b32_e32 v14, 24, v14
	v_bfrev_b32_e32 v26, 60
	v_lshlrev_b32_e32 v23, 20, v23
	v_and_b32_e32 v14, 0x80000000, v14
	v_lshl_add_u32 v16, v16, 23, v26
	v_or3_b32 v26, v14, v16, v23
.LBB605_469:
	s_or_b64 exec, exec, s[10:11]
.LBB605_470:
	s_or_b64 exec, exec, s[8:9]
.LBB605_471:
	s_or_b64 exec, exec, s[2:3]
	v_cmp_ne_u16_sdwa s[8:9], v17, v25 src0_sel:BYTE_0 src1_sel:DWORD
	s_and_saveexec_b64 s[2:3], s[8:9]
	s_cbranch_execz .LBB605_477
; %bb.472:
	s_movk_i32 s7, 0x80
	v_cmp_ne_u16_sdwa s[10:11], v17, s7 src0_sel:BYTE_0 src1_sel:DWORD
	v_bfrev_b32_e32 v25, 1
	s_and_saveexec_b64 s[8:9], s[10:11]
	s_cbranch_execz .LBB605_476
; %bb.473:
	s_movk_i32 s7, 0x7f
	v_and_b32_e32 v14, 0x7f, v17
	v_cmp_ne_u32_e32 vcc, s7, v14
	v_mov_b32_e32 v25, 0x7f800001
	s_and_saveexec_b64 s[10:11], vcc
	s_cbranch_execz .LBB605_475
; %bb.474:
	v_and_b32_e32 v23, 7, v17
	v_ffbh_u32_e32 v27, v23
	v_min_u32_e32 v27, 32, v27
	v_mov_b32_e32 v16, v17
	v_subrev_u32_e32 v29, 28, v27
	v_lshlrev_b64 v[30:31], v29, v[16:17]
	v_lshrrev_b32_e32 v25, 3, v14
	v_sub_u32_e32 v16, 29, v27
	v_and_b32_e32 v27, 7, v30
	v_cmp_gt_u32_e32 vcc, 8, v14
	v_cndmask_b32_e32 v14, v25, v16, vcc
	v_cndmask_b32_e32 v16, v23, v27, vcc
	v_lshlrev_b32_e32 v23, 24, v17
	v_bfrev_b32_e32 v25, 60
	v_lshlrev_b32_e32 v16, 20, v16
	v_and_b32_e32 v23, 0x80000000, v23
	v_lshl_add_u32 v14, v14, 23, v25
	v_or3_b32 v25, v23, v14, v16
.LBB605_475:
	s_or_b64 exec, exec, s[10:11]
.LBB605_476:
	s_or_b64 exec, exec, s[8:9]
.LBB605_477:
	s_or_b64 exec, exec, s[2:3]
	v_lshrrev_b16_e32 v14, 8, v17
	v_cmp_ne_u16_e32 vcc, 0, v14
	v_mov_b32_e32 v16, 0
	v_mov_b32_e32 v27, 0
	s_and_saveexec_b64 s[2:3], vcc
	s_cbranch_execz .LBB605_483
; %bb.478:
	s_movk_i32 s7, 0x80
	v_cmp_ne_u16_e32 vcc, s7, v14
	v_bfrev_b32_e32 v27, 1
	s_and_saveexec_b64 s[8:9], vcc
	s_cbranch_execz .LBB605_482
; %bb.479:
	s_movk_i32 s7, 0x7f
	v_and_b32_e32 v23, 0x7f, v14
	v_cmp_ne_u32_e32 vcc, s7, v23
	v_mov_b32_e32 v27, 0x7f800001
	s_and_saveexec_b64 s[10:11], vcc
	s_cbranch_execz .LBB605_481
; %bb.480:
	v_and_b32_e32 v27, 7, v14
	v_ffbh_u32_e32 v30, v27
	v_min_u32_e32 v32, 32, v30
	v_subrev_u32_e32 v30, 28, v32
	v_lshlrev_b64 v[30:31], v30, v[14:15]
	v_lshrrev_b32_e32 v29, 3, v23
	v_sub_u32_e32 v14, 29, v32
	v_and_b32_e32 v30, 7, v30
	v_cmp_gt_u32_e32 vcc, 8, v23
	v_cndmask_b32_e32 v14, v29, v14, vcc
	v_cndmask_b32_e32 v23, v27, v30, vcc
	v_lshlrev_b32_e32 v27, 16, v17
	v_bfrev_b32_e32 v29, 60
	v_lshlrev_b32_e32 v23, 20, v23
	v_and_b32_e32 v27, 0x80000000, v27
	v_lshl_add_u32 v14, v14, 23, v29
	v_or3_b32 v27, v27, v14, v23
.LBB605_481:
	s_or_b64 exec, exec, s[10:11]
.LBB605_482:
	s_or_b64 exec, exec, s[8:9]
.LBB605_483:
	s_or_b64 exec, exec, s[2:3]
	s_movk_i32 s2, 0xff
	v_and_b32_sdwa v23, v17, s2 dst_sel:DWORD dst_unused:UNUSED_PAD src0_sel:WORD_1 src1_sel:DWORD
	v_lshrrev_b32_e32 v14, 16, v17
	v_cmp_ne_u16_e32 vcc, 0, v23
	s_and_saveexec_b64 s[2:3], vcc
	s_cbranch_execz .LBB605_489
; %bb.484:
	s_movk_i32 s7, 0x80
	v_cmp_ne_u16_e32 vcc, s7, v23
	v_bfrev_b32_e32 v16, 1
	s_and_saveexec_b64 s[8:9], vcc
	s_cbranch_execz .LBB605_488
; %bb.485:
	v_bfe_u32 v23, v17, 16, 7
	s_movk_i32 s7, 0x7f
	v_cmp_ne_u32_e32 vcc, s7, v23
	v_mov_b32_e32 v16, 0x7f800001
	s_and_saveexec_b64 s[10:11], vcc
	s_cbranch_execz .LBB605_487
; %bb.486:
	v_and_b32_e32 v16, 7, v14
	v_ffbh_u32_e32 v30, v16
	v_min_u32_e32 v32, 32, v30
	v_subrev_u32_e32 v30, 28, v32
	v_lshlrev_b64 v[30:31], v30, v[14:15]
	v_lshrrev_b32_e32 v29, 3, v23
	v_sub_u32_e32 v14, 29, v32
	v_and_b32_e32 v30, 7, v30
	v_cmp_gt_u32_e32 vcc, 8, v23
	v_mov_b32_e32 v23, 24
	v_cndmask_b32_e32 v14, v29, v14, vcc
	v_cndmask_b32_e32 v16, v16, v30, vcc
	v_lshlrev_b32_sdwa v23, v23, v17 dst_sel:DWORD dst_unused:UNUSED_PAD src0_sel:DWORD src1_sel:WORD_1
	v_bfrev_b32_e32 v29, 60
	v_lshlrev_b32_e32 v16, 20, v16
	v_and_b32_e32 v23, 0x80000000, v23
	v_lshl_add_u32 v14, v14, 23, v29
	v_or3_b32 v16, v23, v14, v16
.LBB605_487:
	s_or_b64 exec, exec, s[10:11]
.LBB605_488:
	s_or_b64 exec, exec, s[8:9]
.LBB605_489:
	s_or_b64 exec, exec, s[2:3]
	s_mov_b32 s2, 0xffffff
	v_cmp_lt_u32_e32 vcc, s2, v17
	v_mov_b32_e32 v23, 0
	v_mov_b32_e32 v29, 0
	s_and_saveexec_b64 s[2:3], vcc
	s_cbranch_execz .LBB605_495
; %bb.490:
	v_lshrrev_b32_e32 v14, 24, v17
	s_movk_i32 s7, 0x80
	v_cmp_ne_u32_e32 vcc, s7, v14
	v_bfrev_b32_e32 v29, 1
	s_and_saveexec_b64 s[8:9], vcc
	s_cbranch_execz .LBB605_494
; %bb.491:
	v_bfe_u32 v17, v17, 24, 7
	s_movk_i32 s7, 0x7f
	v_cmp_ne_u32_e32 vcc, s7, v17
	v_mov_b32_e32 v29, 0x7f800001
	s_and_saveexec_b64 s[10:11], vcc
	s_cbranch_execz .LBB605_493
; %bb.492:
	v_and_b32_e32 v29, 7, v14
	v_ffbh_u32_e32 v30, v29
	v_min_u32_e32 v33, 32, v30
	v_subrev_u32_e32 v30, 28, v33
	v_lshlrev_b64 v[30:31], v30, v[14:15]
	v_lshrrev_b32_e32 v32, 3, v17
	v_sub_u32_e32 v31, 29, v33
	v_and_b32_e32 v30, 7, v30
	v_cmp_gt_u32_e32 vcc, 8, v17
	v_cndmask_b32_e32 v17, v32, v31, vcc
	v_cndmask_b32_e32 v29, v29, v30, vcc
	v_lshlrev_b32_e32 v14, 24, v14
	v_bfrev_b32_e32 v30, 60
	v_lshlrev_b32_e32 v29, 20, v29
	v_and_b32_e32 v14, 0x80000000, v14
	v_lshl_add_u32 v17, v17, 23, v30
	v_or3_b32 v29, v14, v17, v29
.LBB605_493:
	s_or_b64 exec, exec, s[10:11]
.LBB605_494:
	s_or_b64 exec, exec, s[8:9]
.LBB605_495:
	s_or_b64 exec, exec, s[2:3]
	v_cvt_pkrtz_f16_f32 v14, v22, v24
	v_cvt_pkrtz_f16_f32 v15, v15, v26
	ds_read_b128 v[30:33], v48 offset:16
	s_waitcnt vmcnt(2)
	v_cmp_ne_u16_sdwa s[8:9], v10, v23 src0_sel:BYTE_0 src1_sel:DWORD
	s_waitcnt lgkmcnt(0)
	v_mfma_f32_16x16x16f16 v[18:21], v[14:15], v[30:31], v[18:21]
	v_cvt_pkrtz_f16_f32 v14, v25, v27
	v_cvt_pkrtz_f16_f32 v15, v16, v29
	s_nop 1
	v_mfma_f32_16x16x16f16 v[14:17], v[14:15], v[32:33], v[18:21]
	s_and_saveexec_b64 s[2:3], s[8:9]
	s_cbranch_execz .LBB605_501
; %bb.496:
	s_movk_i32 s7, 0x80
	v_cmp_ne_u16_sdwa s[10:11], v10, s7 src0_sel:BYTE_0 src1_sel:DWORD
	v_bfrev_b32_e32 v23, 1
	s_and_saveexec_b64 s[8:9], s[10:11]
	s_cbranch_execz .LBB605_500
; %bb.497:
	s_movk_i32 s7, 0x7f
	v_and_b32_e32 v18, 0x7f, v10
	v_cmp_ne_u32_e32 vcc, s7, v18
	v_mov_b32_e32 v23, 0x7f800001
	s_and_saveexec_b64 s[10:11], vcc
	s_cbranch_execz .LBB605_499
; %bb.498:
	v_and_b32_e32 v19, 7, v10
	v_ffbh_u32_e32 v20, v19
	v_min_u32_e32 v23, 32, v20
	v_subrev_u32_e32 v20, 28, v23
	v_lshlrev_b64 v[20:21], v20, v[10:11]
	v_lshrrev_b32_e32 v22, 3, v18
	v_sub_u32_e32 v21, 29, v23
	v_and_b32_e32 v20, 7, v20
	v_cmp_gt_u32_e32 vcc, 8, v18
	v_cndmask_b32_e32 v18, v22, v21, vcc
	v_cndmask_b32_e32 v19, v19, v20, vcc
	v_lshlrev_b32_e32 v20, 24, v10
	v_bfrev_b32_e32 v21, 60
	v_lshlrev_b32_e32 v19, 20, v19
	v_and_b32_e32 v20, 0x80000000, v20
	v_lshl_add_u32 v18, v18, 23, v21
	v_or3_b32 v23, v20, v18, v19
.LBB605_499:
	s_or_b64 exec, exec, s[10:11]
.LBB605_500:
	s_or_b64 exec, exec, s[8:9]
.LBB605_501:
	s_or_b64 exec, exec, s[2:3]
	s_nop 3
	v_lshrrev_b16_e32 v18, 8, v10
	v_cmp_ne_u16_e32 vcc, 0, v18
	v_mov_b32_e32 v19, 0
	v_mov_b32_e32 v20, 0
	s_and_saveexec_b64 s[2:3], vcc
	s_cbranch_execz .LBB605_507
; %bb.502:
	s_movk_i32 s7, 0x80
	v_cmp_ne_u16_e32 vcc, s7, v18
	v_bfrev_b32_e32 v20, 1
	s_and_saveexec_b64 s[8:9], vcc
	s_cbranch_execz .LBB605_506
; %bb.503:
	s_movk_i32 s7, 0x7f
	v_and_b32_e32 v21, 0x7f, v18
	v_cmp_ne_u32_e32 vcc, s7, v21
	v_mov_b32_e32 v20, 0x7f800001
	s_and_saveexec_b64 s[10:11], vcc
	s_cbranch_execz .LBB605_505
; %bb.504:
	v_and_b32_e32 v20, 7, v18
	v_ffbh_u32_e32 v24, v20
	v_min_u32_e32 v26, 32, v24
	v_subrev_u32_e32 v24, 28, v26
	v_lshlrev_b64 v[24:25], v24, v[18:19]
	v_lshrrev_b32_e32 v22, 3, v21
	v_sub_u32_e32 v18, 29, v26
	v_and_b32_e32 v24, 7, v24
	v_cmp_gt_u32_e32 vcc, 8, v21
	v_cndmask_b32_e32 v18, v22, v18, vcc
	v_cndmask_b32_e32 v20, v20, v24, vcc
	v_lshlrev_b32_e32 v21, 16, v10
	v_bfrev_b32_e32 v22, 60
	v_lshlrev_b32_e32 v20, 20, v20
	v_and_b32_e32 v21, 0x80000000, v21
	v_lshl_add_u32 v18, v18, 23, v22
	v_or3_b32 v20, v21, v18, v20
.LBB605_505:
	s_or_b64 exec, exec, s[10:11]
.LBB605_506:
	s_or_b64 exec, exec, s[8:9]
.LBB605_507:
	s_or_b64 exec, exec, s[2:3]
	s_movk_i32 s2, 0xff
	v_and_b32_sdwa v21, v10, s2 dst_sel:DWORD dst_unused:UNUSED_PAD src0_sel:WORD_1 src1_sel:DWORD
	v_lshrrev_b32_e32 v18, 16, v10
	v_cmp_ne_u16_e32 vcc, 0, v21
	s_and_saveexec_b64 s[2:3], vcc
	s_cbranch_execz .LBB605_513
; %bb.508:
	s_movk_i32 s7, 0x80
	v_cmp_ne_u16_e32 vcc, s7, v21
	v_bfrev_b32_e32 v19, 1
	s_and_saveexec_b64 s[8:9], vcc
	s_cbranch_execz .LBB605_512
; %bb.509:
	v_bfe_u32 v21, v10, 16, 7
	s_movk_i32 s7, 0x7f
	v_cmp_ne_u32_e32 vcc, s7, v21
	v_mov_b32_e32 v19, 0x7f800001
	s_and_saveexec_b64 s[10:11], vcc
	s_cbranch_execz .LBB605_511
; %bb.510:
	v_and_b32_e32 v22, 7, v18
	v_ffbh_u32_e32 v19, v22
	v_min_u32_e32 v25, 32, v19
	v_subrev_u32_e32 v19, 28, v25
	v_lshlrev_b64 v[18:19], v19, v[18:19]
	v_lshrrev_b32_e32 v24, 3, v21
	v_sub_u32_e32 v19, 29, v25
	v_and_b32_e32 v18, 7, v18
	v_cmp_gt_u32_e32 vcc, 8, v21
	v_mov_b32_e32 v21, 24
	v_cndmask_b32_e32 v19, v24, v19, vcc
	v_cndmask_b32_e32 v18, v22, v18, vcc
	v_lshlrev_b32_sdwa v21, v21, v10 dst_sel:DWORD dst_unused:UNUSED_PAD src0_sel:DWORD src1_sel:WORD_1
	v_bfrev_b32_e32 v22, 60
	v_lshlrev_b32_e32 v18, 20, v18
	v_and_b32_e32 v21, 0x80000000, v21
	v_lshl_add_u32 v19, v19, 23, v22
	v_or3_b32 v19, v21, v19, v18
.LBB605_511:
	s_or_b64 exec, exec, s[10:11]
.LBB605_512:
	s_or_b64 exec, exec, s[8:9]
.LBB605_513:
	s_or_b64 exec, exec, s[2:3]
	s_mov_b32 s2, 0xffffff
	v_cmp_lt_u32_e32 vcc, s2, v10
	v_mov_b32_e32 v21, 0
	v_mov_b32_e32 v22, 0
	s_and_saveexec_b64 s[2:3], vcc
	s_cbranch_execz .LBB605_519
; %bb.514:
	v_lshrrev_b32_e32 v18, 24, v10
	s_movk_i32 s7, 0x80
	v_cmp_ne_u32_e32 vcc, s7, v18
	v_bfrev_b32_e32 v22, 1
	s_and_saveexec_b64 s[8:9], vcc
	s_cbranch_execz .LBB605_518
; %bb.515:
	v_bfe_u32 v10, v10, 24, 7
	s_movk_i32 s7, 0x7f
	v_cmp_ne_u32_e32 vcc, s7, v10
	v_mov_b32_e32 v22, 0x7f800001
	s_and_saveexec_b64 s[10:11], vcc
	s_cbranch_execz .LBB605_517
; %bb.516:
	v_and_b32_e32 v22, 7, v18
	v_ffbh_u32_e32 v24, v22
	v_min_u32_e32 v27, 32, v24
	v_subrev_u32_e32 v24, 28, v27
	v_lshlrev_b64 v[24:25], v24, v[18:19]
	v_lshrrev_b32_e32 v26, 3, v10
	v_sub_u32_e32 v25, 29, v27
	v_and_b32_e32 v24, 7, v24
	v_cmp_gt_u32_e32 vcc, 8, v10
	v_cndmask_b32_e32 v10, v26, v25, vcc
	v_cndmask_b32_e32 v22, v22, v24, vcc
	v_lshlrev_b32_e32 v18, 24, v18
	v_bfrev_b32_e32 v24, 60
	v_lshlrev_b32_e32 v22, 20, v22
	v_and_b32_e32 v18, 0x80000000, v18
	v_lshl_add_u32 v10, v10, 23, v24
	v_or3_b32 v22, v18, v10, v22
.LBB605_517:
	s_or_b64 exec, exec, s[10:11]
.LBB605_518:
	s_or_b64 exec, exec, s[8:9]
.LBB605_519:
	s_or_b64 exec, exec, s[2:3]
	v_cmp_ne_u16_sdwa s[8:9], v11, v21 src0_sel:BYTE_0 src1_sel:DWORD
	s_and_saveexec_b64 s[2:3], s[8:9]
	s_cbranch_execz .LBB605_525
; %bb.520:
	s_movk_i32 s7, 0x80
	v_cmp_ne_u16_sdwa s[10:11], v11, s7 src0_sel:BYTE_0 src1_sel:DWORD
	v_bfrev_b32_e32 v21, 1
	s_and_saveexec_b64 s[8:9], s[10:11]
	s_cbranch_execz .LBB605_524
; %bb.521:
	s_movk_i32 s7, 0x7f
	v_and_b32_e32 v10, 0x7f, v11
	v_cmp_ne_u32_e32 vcc, s7, v10
	v_mov_b32_e32 v21, 0x7f800001
	s_and_saveexec_b64 s[10:11], vcc
	s_cbranch_execz .LBB605_523
; %bb.522:
	v_and_b32_e32 v21, 7, v11
	v_ffbh_u32_e32 v24, v21
	v_min_u32_e32 v27, 32, v24
	v_mov_b32_e32 v18, v11
	v_subrev_u32_e32 v24, 28, v27
	v_lshlrev_b64 v[24:25], v24, v[18:19]
	v_lshrrev_b32_e32 v26, 3, v10
	v_sub_u32_e32 v18, 29, v27
	v_and_b32_e32 v24, 7, v24
	v_cmp_gt_u32_e32 vcc, 8, v10
	v_cndmask_b32_e32 v10, v26, v18, vcc
	v_cndmask_b32_e32 v18, v21, v24, vcc
	v_lshlrev_b32_e32 v21, 24, v11
	v_bfrev_b32_e32 v24, 60
	v_lshlrev_b32_e32 v18, 20, v18
	v_and_b32_e32 v21, 0x80000000, v21
	v_lshl_add_u32 v10, v10, 23, v24
	v_or3_b32 v21, v21, v10, v18
.LBB605_523:
	s_or_b64 exec, exec, s[10:11]
.LBB605_524:
	s_or_b64 exec, exec, s[8:9]
.LBB605_525:
	s_or_b64 exec, exec, s[2:3]
	v_lshrrev_b16_e32 v10, 8, v11
	v_cmp_ne_u16_e32 vcc, 0, v10
	v_mov_b32_e32 v24, 0
	v_mov_b32_e32 v25, 0
	s_and_saveexec_b64 s[2:3], vcc
	s_cbranch_execz .LBB605_531
; %bb.526:
	s_movk_i32 s7, 0x80
	v_cmp_ne_u16_e32 vcc, s7, v10
	v_bfrev_b32_e32 v25, 1
	s_and_saveexec_b64 s[8:9], vcc
	s_cbranch_execz .LBB605_530
; %bb.527:
	s_movk_i32 s7, 0x7f
	v_and_b32_e32 v18, 0x7f, v10
	v_cmp_ne_u32_e32 vcc, s7, v18
	v_mov_b32_e32 v25, 0x7f800001
	s_and_saveexec_b64 s[10:11], vcc
	s_cbranch_execz .LBB605_529
; %bb.528:
	v_and_b32_e32 v25, 7, v10
	v_ffbh_u32_e32 v26, v25
	v_min_u32_e32 v30, 32, v26
	v_subrev_u32_e32 v26, 28, v30
	v_lshlrev_b64 v[26:27], v26, v[10:11]
	v_lshrrev_b32_e32 v29, 3, v18
	v_sub_u32_e32 v10, 29, v30
	v_and_b32_e32 v26, 7, v26
	v_cmp_gt_u32_e32 vcc, 8, v18
	v_cndmask_b32_e32 v10, v29, v10, vcc
	v_cndmask_b32_e32 v18, v25, v26, vcc
	v_lshlrev_b32_e32 v25, 16, v11
	v_bfrev_b32_e32 v26, 60
	v_lshlrev_b32_e32 v18, 20, v18
	v_and_b32_e32 v25, 0x80000000, v25
	v_lshl_add_u32 v10, v10, 23, v26
	v_or3_b32 v25, v25, v10, v18
.LBB605_529:
	s_or_b64 exec, exec, s[10:11]
.LBB605_530:
	s_or_b64 exec, exec, s[8:9]
.LBB605_531:
	s_or_b64 exec, exec, s[2:3]
	s_movk_i32 s2, 0xff
	v_and_b32_sdwa v18, v11, s2 dst_sel:DWORD dst_unused:UNUSED_PAD src0_sel:WORD_1 src1_sel:DWORD
	v_lshrrev_b32_e32 v10, 16, v11
	v_cmp_ne_u16_e32 vcc, 0, v18
	s_and_saveexec_b64 s[2:3], vcc
	s_cbranch_execz .LBB605_537
; %bb.532:
	s_movk_i32 s7, 0x80
	v_cmp_ne_u16_e32 vcc, s7, v18
	v_bfrev_b32_e32 v24, 1
	s_and_saveexec_b64 s[8:9], vcc
	s_cbranch_execz .LBB605_536
; %bb.533:
	v_bfe_u32 v18, v11, 16, 7
	s_movk_i32 s7, 0x7f
	v_cmp_ne_u32_e32 vcc, s7, v18
	v_mov_b32_e32 v24, 0x7f800001
	s_and_saveexec_b64 s[10:11], vcc
	s_cbranch_execz .LBB605_535
; %bb.534:
	v_and_b32_e32 v24, 7, v10
	v_ffbh_u32_e32 v26, v24
	v_min_u32_e32 v30, 32, v26
	v_subrev_u32_e32 v26, 28, v30
	v_lshlrev_b64 v[26:27], v26, v[10:11]
	v_and_b32_e32 v26, 7, v26
	v_cmp_gt_u32_e32 vcc, 8, v18
	v_lshrrev_b32_e32 v29, 3, v18
	v_sub_u32_e32 v10, 29, v30
	v_cndmask_b32_e32 v18, v24, v26, vcc
	v_mov_b32_e32 v24, 24
	v_cndmask_b32_e32 v10, v29, v10, vcc
	v_lshlrev_b32_sdwa v24, v24, v11 dst_sel:DWORD dst_unused:UNUSED_PAD src0_sel:DWORD src1_sel:WORD_1
	v_bfrev_b32_e32 v26, 60
	v_lshlrev_b32_e32 v18, 20, v18
	v_and_b32_e32 v24, 0x80000000, v24
	v_lshl_add_u32 v10, v10, 23, v26
	v_or3_b32 v24, v24, v10, v18
.LBB605_535:
	s_or_b64 exec, exec, s[10:11]
.LBB605_536:
	s_or_b64 exec, exec, s[8:9]
.LBB605_537:
	s_or_b64 exec, exec, s[2:3]
	s_mov_b32 s2, 0xffffff
	v_cmp_lt_u32_e32 vcc, s2, v11
	v_mov_b32_e32 v18, 0
	v_mov_b32_e32 v26, 0
	s_and_saveexec_b64 s[2:3], vcc
	s_cbranch_execz .LBB605_543
; %bb.538:
	v_lshrrev_b32_e32 v10, 24, v11
	s_movk_i32 s7, 0x80
	v_cmp_ne_u32_e32 vcc, s7, v10
	v_bfrev_b32_e32 v26, 1
	s_and_saveexec_b64 s[8:9], vcc
	s_cbranch_execz .LBB605_542
; %bb.539:
	v_bfe_u32 v11, v11, 24, 7
	s_movk_i32 s7, 0x7f
	v_cmp_ne_u32_e32 vcc, s7, v11
	v_mov_b32_e32 v26, 0x7f800001
	s_and_saveexec_b64 s[10:11], vcc
	s_cbranch_execz .LBB605_541
; %bb.540:
	v_and_b32_e32 v29, 7, v10
	v_ffbh_u32_e32 v26, v29
	v_min_u32_e32 v31, 32, v26
	v_subrev_u32_e32 v26, 28, v31
	v_lshlrev_b64 v[26:27], v26, v[10:11]
	v_lshrrev_b32_e32 v30, 3, v11
	v_sub_u32_e32 v27, 29, v31
	v_and_b32_e32 v26, 7, v26
	v_cmp_gt_u32_e32 vcc, 8, v11
	v_cndmask_b32_e32 v11, v30, v27, vcc
	v_cndmask_b32_e32 v26, v29, v26, vcc
	v_lshlrev_b32_e32 v10, 24, v10
	v_bfrev_b32_e32 v27, 60
	v_lshlrev_b32_e32 v26, 20, v26
	v_and_b32_e32 v10, 0x80000000, v10
	v_lshl_add_u32 v11, v11, 23, v27
	v_or3_b32 v26, v10, v11, v26
.LBB605_541:
	s_or_b64 exec, exec, s[10:11]
.LBB605_542:
	s_or_b64 exec, exec, s[8:9]
.LBB605_543:
	s_or_b64 exec, exec, s[2:3]
	v_cvt_pkrtz_f16_f32 v10, v23, v20
	v_cvt_pkrtz_f16_f32 v11, v19, v22
	ds_read_b128 v[30:33], v48 offset:2048
	v_cmp_ne_u16_sdwa s[8:9], v12, v18 src0_sel:BYTE_0 src1_sel:DWORD
	s_waitcnt lgkmcnt(0)
	v_mfma_f32_16x16x16f16 v[14:17], v[10:11], v[30:31], v[14:17]
	v_cvt_pkrtz_f16_f32 v10, v21, v25
	v_cvt_pkrtz_f16_f32 v11, v24, v26
	s_nop 1
	v_mfma_f32_16x16x16f16 v[14:17], v[10:11], v[32:33], v[14:17]
	s_and_saveexec_b64 s[2:3], s[8:9]
	s_cbranch_execz .LBB605_549
; %bb.544:
	s_movk_i32 s7, 0x80
	v_cmp_ne_u16_sdwa s[10:11], v12, s7 src0_sel:BYTE_0 src1_sel:DWORD
	v_bfrev_b32_e32 v18, 1
	s_and_saveexec_b64 s[8:9], s[10:11]
	s_cbranch_execz .LBB605_548
; %bb.545:
	s_movk_i32 s7, 0x7f
	v_and_b32_e32 v10, 0x7f, v12
	v_cmp_ne_u32_e32 vcc, s7, v10
	v_mov_b32_e32 v18, 0x7f800001
	s_and_saveexec_b64 s[10:11], vcc
	s_cbranch_execz .LBB605_547
; %bb.546:
	v_and_b32_e32 v11, 7, v12
	v_ffbh_u32_e32 v18, v11
	v_min_u32_e32 v21, 32, v18
	v_subrev_u32_e32 v18, 28, v21
	v_lshlrev_b64 v[18:19], v18, v[12:13]
	v_lshrrev_b32_e32 v20, 3, v10
	v_sub_u32_e32 v19, 29, v21
	v_and_b32_e32 v18, 7, v18
	v_cmp_gt_u32_e32 vcc, 8, v10
	v_cndmask_b32_e32 v10, v20, v19, vcc
	v_cndmask_b32_e32 v11, v11, v18, vcc
	v_lshlrev_b32_e32 v18, 24, v12
	v_bfrev_b32_e32 v19, 60
	v_lshlrev_b32_e32 v11, 20, v11
	v_and_b32_e32 v18, 0x80000000, v18
	v_lshl_add_u32 v10, v10, 23, v19
	v_or3_b32 v18, v18, v10, v11
.LBB605_547:
	s_or_b64 exec, exec, s[10:11]
.LBB605_548:
	s_or_b64 exec, exec, s[8:9]
.LBB605_549:
	s_or_b64 exec, exec, s[2:3]
	v_lshrrev_b16_e32 v10, 8, v12
	v_cmp_ne_u16_e32 vcc, 0, v10
	v_mov_b32_e32 v11, 0
	v_mov_b32_e32 v20, 0
	s_and_saveexec_b64 s[2:3], vcc
	s_cbranch_execz .LBB605_555
; %bb.550:
	s_movk_i32 s7, 0x80
	v_cmp_ne_u16_e32 vcc, s7, v10
	v_bfrev_b32_e32 v20, 1
	s_and_saveexec_b64 s[8:9], vcc
	s_cbranch_execz .LBB605_554
; %bb.551:
	s_movk_i32 s7, 0x7f
	v_and_b32_e32 v19, 0x7f, v10
	v_cmp_ne_u32_e32 vcc, s7, v19
	v_mov_b32_e32 v20, 0x7f800001
	s_and_saveexec_b64 s[10:11], vcc
	s_cbranch_execz .LBB605_553
; %bb.552:
	v_and_b32_e32 v22, 7, v10
	v_ffbh_u32_e32 v20, v22
	v_min_u32_e32 v24, 32, v20
	v_subrev_u32_e32 v20, 28, v24
	v_lshlrev_b64 v[20:21], v20, v[10:11]
	v_lshrrev_b32_e32 v23, 3, v19
	v_sub_u32_e32 v10, 29, v24
	v_and_b32_e32 v20, 7, v20
	v_cmp_gt_u32_e32 vcc, 8, v19
	v_cndmask_b32_e32 v10, v23, v10, vcc
	v_cndmask_b32_e32 v19, v22, v20, vcc
	v_lshlrev_b32_e32 v20, 16, v12
	v_bfrev_b32_e32 v21, 60
	v_lshlrev_b32_e32 v19, 20, v19
	v_and_b32_e32 v20, 0x80000000, v20
	v_lshl_add_u32 v10, v10, 23, v21
	v_or3_b32 v20, v20, v10, v19
.LBB605_553:
	s_or_b64 exec, exec, s[10:11]
.LBB605_554:
	s_or_b64 exec, exec, s[8:9]
.LBB605_555:
	s_or_b64 exec, exec, s[2:3]
	s_movk_i32 s2, 0xff
	v_and_b32_sdwa v19, v12, s2 dst_sel:DWORD dst_unused:UNUSED_PAD src0_sel:WORD_1 src1_sel:DWORD
	v_lshrrev_b32_e32 v10, 16, v12
	v_cmp_ne_u16_e32 vcc, 0, v19
	s_and_saveexec_b64 s[2:3], vcc
	s_cbranch_execz .LBB605_561
; %bb.556:
	s_movk_i32 s7, 0x80
	v_cmp_ne_u16_e32 vcc, s7, v19
	v_bfrev_b32_e32 v11, 1
	s_and_saveexec_b64 s[8:9], vcc
	s_cbranch_execz .LBB605_560
; %bb.557:
	v_bfe_u32 v19, v12, 16, 7
	s_movk_i32 s7, 0x7f
	v_cmp_ne_u32_e32 vcc, s7, v19
	v_mov_b32_e32 v11, 0x7f800001
	s_and_saveexec_b64 s[10:11], vcc
	s_cbranch_execz .LBB605_559
; %bb.558:
	v_and_b32_e32 v21, 7, v10
	v_ffbh_u32_e32 v11, v21
	v_min_u32_e32 v23, 32, v11
	v_subrev_u32_e32 v11, 28, v23
	v_lshlrev_b64 v[10:11], v11, v[10:11]
	v_lshrrev_b32_e32 v22, 3, v19
	v_sub_u32_e32 v11, 29, v23
	v_and_b32_e32 v10, 7, v10
	v_cmp_gt_u32_e32 vcc, 8, v19
	v_mov_b32_e32 v19, 24
	v_cndmask_b32_e32 v11, v22, v11, vcc
	v_cndmask_b32_e32 v10, v21, v10, vcc
	v_lshlrev_b32_sdwa v19, v19, v12 dst_sel:DWORD dst_unused:UNUSED_PAD src0_sel:DWORD src1_sel:WORD_1
	v_bfrev_b32_e32 v21, 60
	v_lshlrev_b32_e32 v10, 20, v10
	v_and_b32_e32 v19, 0x80000000, v19
	v_lshl_add_u32 v11, v11, 23, v21
	v_or3_b32 v11, v19, v11, v10
.LBB605_559:
	s_or_b64 exec, exec, s[10:11]
.LBB605_560:
	s_or_b64 exec, exec, s[8:9]
.LBB605_561:
	s_or_b64 exec, exec, s[2:3]
	s_mov_b32 s2, 0xffffff
	v_cmp_lt_u32_e32 vcc, s2, v12
	v_mov_b32_e32 v21, 0
	v_mov_b32_e32 v22, 0
	s_and_saveexec_b64 s[2:3], vcc
	s_cbranch_execz .LBB605_567
; %bb.562:
	v_lshrrev_b32_e32 v10, 24, v12
	s_movk_i32 s7, 0x80
	v_cmp_ne_u32_e32 vcc, s7, v10
	v_bfrev_b32_e32 v22, 1
	s_and_saveexec_b64 s[8:9], vcc
	s_cbranch_execz .LBB605_566
; %bb.563:
	v_bfe_u32 v12, v12, 24, 7
	s_movk_i32 s7, 0x7f
	v_cmp_ne_u32_e32 vcc, s7, v12
	v_mov_b32_e32 v22, 0x7f800001
	s_and_saveexec_b64 s[10:11], vcc
	s_cbranch_execz .LBB605_565
; %bb.564:
	v_and_b32_e32 v19, 7, v10
	v_ffbh_u32_e32 v22, v19
	v_min_u32_e32 v25, 32, v22
	v_subrev_u32_e32 v22, 28, v25
	v_lshlrev_b64 v[22:23], v22, v[10:11]
	v_lshrrev_b32_e32 v24, 3, v12
	v_sub_u32_e32 v23, 29, v25
	v_and_b32_e32 v22, 7, v22
	v_cmp_gt_u32_e32 vcc, 8, v12
	v_cndmask_b32_e32 v12, v24, v23, vcc
	v_cndmask_b32_e32 v19, v19, v22, vcc
	v_lshlrev_b32_e32 v10, 24, v10
	v_bfrev_b32_e32 v22, 60
	v_lshlrev_b32_e32 v19, 20, v19
	v_and_b32_e32 v10, 0x80000000, v10
	v_lshl_add_u32 v12, v12, 23, v22
	v_or3_b32 v22, v10, v12, v19
.LBB605_565:
	s_or_b64 exec, exec, s[10:11]
.LBB605_566:
	s_or_b64 exec, exec, s[8:9]
.LBB605_567:
	s_or_b64 exec, exec, s[2:3]
	v_cmp_ne_u16_sdwa s[8:9], v13, v21 src0_sel:BYTE_0 src1_sel:DWORD
	s_and_saveexec_b64 s[2:3], s[8:9]
	s_cbranch_execz .LBB605_573
; %bb.568:
	s_movk_i32 s7, 0x80
	v_cmp_ne_u16_sdwa s[10:11], v13, s7 src0_sel:BYTE_0 src1_sel:DWORD
	v_bfrev_b32_e32 v21, 1
	s_and_saveexec_b64 s[8:9], s[10:11]
	s_cbranch_execz .LBB605_572
; %bb.569:
	s_movk_i32 s7, 0x7f
	v_and_b32_e32 v10, 0x7f, v13
	v_cmp_ne_u32_e32 vcc, s7, v10
	v_mov_b32_e32 v21, 0x7f800001
	s_and_saveexec_b64 s[10:11], vcc
	s_cbranch_execz .LBB605_571
; %bb.570:
	v_and_b32_e32 v19, 7, v13
	v_ffbh_u32_e32 v23, v19
	v_min_u32_e32 v23, 32, v23
	v_mov_b32_e32 v12, v13
	v_subrev_u32_e32 v24, 28, v23
	v_lshlrev_b64 v[24:25], v24, v[12:13]
	v_lshrrev_b32_e32 v21, 3, v10
	v_sub_u32_e32 v12, 29, v23
	v_and_b32_e32 v23, 7, v24
	v_cmp_gt_u32_e32 vcc, 8, v10
	v_cndmask_b32_e32 v10, v21, v12, vcc
	v_cndmask_b32_e32 v12, v19, v23, vcc
	v_lshlrev_b32_e32 v19, 24, v13
	v_bfrev_b32_e32 v21, 60
	v_lshlrev_b32_e32 v12, 20, v12
	v_and_b32_e32 v19, 0x80000000, v19
	v_lshl_add_u32 v10, v10, 23, v21
	v_or3_b32 v21, v19, v10, v12
.LBB605_571:
	s_or_b64 exec, exec, s[10:11]
.LBB605_572:
	s_or_b64 exec, exec, s[8:9]
.LBB605_573:
	s_or_b64 exec, exec, s[2:3]
	v_lshrrev_b16_e32 v10, 8, v13
	v_cmp_ne_u16_e32 vcc, 0, v10
	v_mov_b32_e32 v12, 0
	v_mov_b32_e32 v23, 0
	s_and_saveexec_b64 s[2:3], vcc
	s_cbranch_execz .LBB605_579
; %bb.574:
	s_movk_i32 s7, 0x80
	v_cmp_ne_u16_e32 vcc, s7, v10
	v_bfrev_b32_e32 v23, 1
	s_and_saveexec_b64 s[8:9], vcc
	s_cbranch_execz .LBB605_578
; %bb.575:
	s_movk_i32 s7, 0x7f
	v_and_b32_e32 v19, 0x7f, v10
	v_cmp_ne_u32_e32 vcc, s7, v19
	v_mov_b32_e32 v23, 0x7f800001
	s_and_saveexec_b64 s[10:11], vcc
	s_cbranch_execz .LBB605_577
; %bb.576:
	v_and_b32_e32 v23, 7, v10
	v_ffbh_u32_e32 v24, v23
	v_min_u32_e32 v27, 32, v24
	v_subrev_u32_e32 v24, 28, v27
	v_lshlrev_b64 v[24:25], v24, v[10:11]
	v_lshrrev_b32_e32 v26, 3, v19
	v_sub_u32_e32 v10, 29, v27
	v_and_b32_e32 v24, 7, v24
	v_cmp_gt_u32_e32 vcc, 8, v19
	v_cndmask_b32_e32 v10, v26, v10, vcc
	v_cndmask_b32_e32 v19, v23, v24, vcc
	v_lshlrev_b32_e32 v23, 16, v13
	v_bfrev_b32_e32 v24, 60
	v_lshlrev_b32_e32 v19, 20, v19
	v_and_b32_e32 v23, 0x80000000, v23
	v_lshl_add_u32 v10, v10, 23, v24
	v_or3_b32 v23, v23, v10, v19
.LBB605_577:
	s_or_b64 exec, exec, s[10:11]
.LBB605_578:
	s_or_b64 exec, exec, s[8:9]
.LBB605_579:
	s_or_b64 exec, exec, s[2:3]
	s_movk_i32 s2, 0xff
	v_and_b32_sdwa v19, v13, s2 dst_sel:DWORD dst_unused:UNUSED_PAD src0_sel:WORD_1 src1_sel:DWORD
	v_lshrrev_b32_e32 v10, 16, v13
	v_cmp_ne_u16_e32 vcc, 0, v19
	s_and_saveexec_b64 s[2:3], vcc
	s_cbranch_execz .LBB605_585
; %bb.580:
	s_movk_i32 s7, 0x80
	v_cmp_ne_u16_e32 vcc, s7, v19
	v_bfrev_b32_e32 v12, 1
	s_and_saveexec_b64 s[8:9], vcc
	s_cbranch_execz .LBB605_584
; %bb.581:
	v_bfe_u32 v19, v13, 16, 7
	s_movk_i32 s7, 0x7f
	v_cmp_ne_u32_e32 vcc, s7, v19
	v_mov_b32_e32 v12, 0x7f800001
	s_and_saveexec_b64 s[10:11], vcc
	s_cbranch_execz .LBB605_583
; %bb.582:
	v_and_b32_e32 v12, 7, v10
	v_ffbh_u32_e32 v24, v12
	v_min_u32_e32 v27, 32, v24
	v_subrev_u32_e32 v24, 28, v27
	v_lshlrev_b64 v[24:25], v24, v[10:11]
	v_lshrrev_b32_e32 v26, 3, v19
	v_sub_u32_e32 v10, 29, v27
	v_and_b32_e32 v24, 7, v24
	v_cmp_gt_u32_e32 vcc, 8, v19
	v_mov_b32_e32 v19, 24
	v_cndmask_b32_e32 v10, v26, v10, vcc
	v_cndmask_b32_e32 v12, v12, v24, vcc
	v_lshlrev_b32_sdwa v19, v19, v13 dst_sel:DWORD dst_unused:UNUSED_PAD src0_sel:DWORD src1_sel:WORD_1
	v_bfrev_b32_e32 v24, 60
	v_lshlrev_b32_e32 v12, 20, v12
	v_and_b32_e32 v19, 0x80000000, v19
	v_lshl_add_u32 v10, v10, 23, v24
	v_or3_b32 v12, v19, v10, v12
.LBB605_583:
	s_or_b64 exec, exec, s[10:11]
.LBB605_584:
	s_or_b64 exec, exec, s[8:9]
.LBB605_585:
	s_or_b64 exec, exec, s[2:3]
	s_mov_b32 s2, 0xffffff
	v_cmp_lt_u32_e32 vcc, s2, v13
	v_mov_b32_e32 v19, 0
	v_mov_b32_e32 v24, 0
	s_and_saveexec_b64 s[2:3], vcc
	s_cbranch_execz .LBB605_591
; %bb.586:
	v_lshrrev_b32_e32 v10, 24, v13
	s_movk_i32 s7, 0x80
	v_cmp_ne_u32_e32 vcc, s7, v10
	v_bfrev_b32_e32 v24, 1
	s_and_saveexec_b64 s[8:9], vcc
	s_cbranch_execz .LBB605_590
; %bb.587:
	v_bfe_u32 v13, v13, 24, 7
	s_movk_i32 s7, 0x7f
	v_cmp_ne_u32_e32 vcc, s7, v13
	v_mov_b32_e32 v24, 0x7f800001
	s_and_saveexec_b64 s[10:11], vcc
	s_cbranch_execz .LBB605_589
; %bb.588:
	v_and_b32_e32 v26, 7, v10
	v_ffbh_u32_e32 v24, v26
	v_min_u32_e32 v29, 32, v24
	v_subrev_u32_e32 v24, 28, v29
	v_lshlrev_b64 v[24:25], v24, v[10:11]
	v_lshrrev_b32_e32 v27, 3, v13
	v_sub_u32_e32 v25, 29, v29
	v_and_b32_e32 v24, 7, v24
	v_cmp_gt_u32_e32 vcc, 8, v13
	v_cndmask_b32_e32 v13, v27, v25, vcc
	v_cndmask_b32_e32 v24, v26, v24, vcc
	v_lshlrev_b32_e32 v10, 24, v10
	v_bfrev_b32_e32 v25, 60
	v_lshlrev_b32_e32 v24, 20, v24
	v_and_b32_e32 v10, 0x80000000, v10
	v_lshl_add_u32 v13, v13, 23, v25
	v_or3_b32 v24, v10, v13, v24
.LBB605_589:
	s_or_b64 exec, exec, s[10:11]
.LBB605_590:
	s_or_b64 exec, exec, s[8:9]
.LBB605_591:
	s_or_b64 exec, exec, s[2:3]
	v_cvt_pkrtz_f16_f32 v10, v18, v20
	v_cvt_pkrtz_f16_f32 v11, v11, v22
	ds_read_b128 v[30:33], v48 offset:2064
	s_waitcnt vmcnt(1)
	v_cmp_ne_u16_sdwa s[8:9], v6, v19 src0_sel:BYTE_0 src1_sel:DWORD
	s_waitcnt lgkmcnt(0)
	v_mfma_f32_16x16x16f16 v[14:17], v[10:11], v[30:31], v[14:17]
	v_cvt_pkrtz_f16_f32 v10, v21, v23
	v_cvt_pkrtz_f16_f32 v11, v12, v24
	s_nop 1
	v_mfma_f32_16x16x16f16 v[10:13], v[10:11], v[32:33], v[14:17]
	s_and_saveexec_b64 s[2:3], s[8:9]
	s_cbranch_execz .LBB605_597
; %bb.592:
	s_movk_i32 s7, 0x80
	v_cmp_ne_u16_sdwa s[10:11], v6, s7 src0_sel:BYTE_0 src1_sel:DWORD
	v_bfrev_b32_e32 v19, 1
	s_and_saveexec_b64 s[8:9], s[10:11]
	s_cbranch_execz .LBB605_596
; %bb.593:
	s_movk_i32 s7, 0x7f
	v_and_b32_e32 v14, 0x7f, v6
	v_cmp_ne_u32_e32 vcc, s7, v14
	v_mov_b32_e32 v19, 0x7f800001
	s_and_saveexec_b64 s[10:11], vcc
	s_cbranch_execz .LBB605_595
; %bb.594:
	v_and_b32_e32 v15, 7, v6
	v_ffbh_u32_e32 v16, v15
	v_min_u32_e32 v19, 32, v16
	v_subrev_u32_e32 v16, 28, v19
	v_lshlrev_b64 v[16:17], v16, v[6:7]
	v_lshrrev_b32_e32 v18, 3, v14
	v_sub_u32_e32 v17, 29, v19
	v_and_b32_e32 v16, 7, v16
	v_cmp_gt_u32_e32 vcc, 8, v14
	v_cndmask_b32_e32 v14, v18, v17, vcc
	v_cndmask_b32_e32 v15, v15, v16, vcc
	v_lshlrev_b32_e32 v16, 24, v6
	v_bfrev_b32_e32 v17, 60
	v_lshlrev_b32_e32 v15, 20, v15
	v_and_b32_e32 v16, 0x80000000, v16
	v_lshl_add_u32 v14, v14, 23, v17
	v_or3_b32 v19, v16, v14, v15
.LBB605_595:
	s_or_b64 exec, exec, s[10:11]
.LBB605_596:
	s_or_b64 exec, exec, s[8:9]
.LBB605_597:
	s_or_b64 exec, exec, s[2:3]
	s_nop 3
	v_lshrrev_b16_e32 v14, 8, v6
	v_cmp_ne_u16_e32 vcc, 0, v14
	v_mov_b32_e32 v15, 0
	v_mov_b32_e32 v16, 0
	s_and_saveexec_b64 s[2:3], vcc
	s_cbranch_execz .LBB605_603
; %bb.598:
	s_movk_i32 s7, 0x80
	v_cmp_ne_u16_e32 vcc, s7, v14
	v_bfrev_b32_e32 v16, 1
	s_and_saveexec_b64 s[8:9], vcc
	s_cbranch_execz .LBB605_602
; %bb.599:
	s_movk_i32 s7, 0x7f
	v_and_b32_e32 v17, 0x7f, v14
	v_cmp_ne_u32_e32 vcc, s7, v17
	v_mov_b32_e32 v16, 0x7f800001
	s_and_saveexec_b64 s[10:11], vcc
	s_cbranch_execz .LBB605_601
; %bb.600:
	v_and_b32_e32 v16, 7, v14
	v_ffbh_u32_e32 v20, v16
	v_min_u32_e32 v22, 32, v20
	v_subrev_u32_e32 v20, 28, v22
	v_lshlrev_b64 v[20:21], v20, v[14:15]
	v_lshrrev_b32_e32 v18, 3, v17
	v_sub_u32_e32 v14, 29, v22
	v_and_b32_e32 v20, 7, v20
	v_cmp_gt_u32_e32 vcc, 8, v17
	v_cndmask_b32_e32 v14, v18, v14, vcc
	v_cndmask_b32_e32 v16, v16, v20, vcc
	v_lshlrev_b32_e32 v17, 16, v6
	v_bfrev_b32_e32 v18, 60
	v_lshlrev_b32_e32 v16, 20, v16
	v_and_b32_e32 v17, 0x80000000, v17
	v_lshl_add_u32 v14, v14, 23, v18
	v_or3_b32 v16, v17, v14, v16
.LBB605_601:
	s_or_b64 exec, exec, s[10:11]
.LBB605_602:
	s_or_b64 exec, exec, s[8:9]
.LBB605_603:
	s_or_b64 exec, exec, s[2:3]
	s_movk_i32 s2, 0xff
	v_and_b32_sdwa v17, v6, s2 dst_sel:DWORD dst_unused:UNUSED_PAD src0_sel:WORD_1 src1_sel:DWORD
	v_lshrrev_b32_e32 v14, 16, v6
	v_cmp_ne_u16_e32 vcc, 0, v17
	s_and_saveexec_b64 s[2:3], vcc
	s_cbranch_execz .LBB605_609
; %bb.604:
	s_movk_i32 s7, 0x80
	v_cmp_ne_u16_e32 vcc, s7, v17
	v_bfrev_b32_e32 v15, 1
	s_and_saveexec_b64 s[8:9], vcc
	s_cbranch_execz .LBB605_608
; %bb.605:
	v_bfe_u32 v17, v6, 16, 7
	s_movk_i32 s7, 0x7f
	v_cmp_ne_u32_e32 vcc, s7, v17
	v_mov_b32_e32 v15, 0x7f800001
	s_and_saveexec_b64 s[10:11], vcc
	s_cbranch_execz .LBB605_607
; %bb.606:
	v_and_b32_e32 v18, 7, v14
	v_ffbh_u32_e32 v15, v18
	v_min_u32_e32 v21, 32, v15
	v_subrev_u32_e32 v15, 28, v21
	v_lshlrev_b64 v[14:15], v15, v[14:15]
	v_lshrrev_b32_e32 v20, 3, v17
	v_sub_u32_e32 v15, 29, v21
	v_and_b32_e32 v14, 7, v14
	v_cmp_gt_u32_e32 vcc, 8, v17
	v_mov_b32_e32 v17, 24
	v_cndmask_b32_e32 v15, v20, v15, vcc
	v_cndmask_b32_e32 v14, v18, v14, vcc
	v_lshlrev_b32_sdwa v17, v17, v6 dst_sel:DWORD dst_unused:UNUSED_PAD src0_sel:DWORD src1_sel:WORD_1
	v_bfrev_b32_e32 v18, 60
	v_lshlrev_b32_e32 v14, 20, v14
	v_and_b32_e32 v17, 0x80000000, v17
	v_lshl_add_u32 v15, v15, 23, v18
	v_or3_b32 v15, v17, v15, v14
.LBB605_607:
	s_or_b64 exec, exec, s[10:11]
.LBB605_608:
	s_or_b64 exec, exec, s[8:9]
.LBB605_609:
	s_or_b64 exec, exec, s[2:3]
	s_mov_b32 s2, 0xffffff
	v_cmp_lt_u32_e32 vcc, s2, v6
	v_mov_b32_e32 v17, 0
	v_mov_b32_e32 v18, 0
	s_and_saveexec_b64 s[2:3], vcc
	s_cbranch_execz .LBB605_615
; %bb.610:
	v_lshrrev_b32_e32 v14, 24, v6
	s_movk_i32 s7, 0x80
	v_cmp_ne_u32_e32 vcc, s7, v14
	v_bfrev_b32_e32 v18, 1
	s_and_saveexec_b64 s[8:9], vcc
	s_cbranch_execz .LBB605_614
; %bb.611:
	v_bfe_u32 v6, v6, 24, 7
	s_movk_i32 s7, 0x7f
	v_cmp_ne_u32_e32 vcc, s7, v6
	v_mov_b32_e32 v18, 0x7f800001
	s_and_saveexec_b64 s[10:11], vcc
	s_cbranch_execz .LBB605_613
; %bb.612:
	v_and_b32_e32 v18, 7, v14
	v_ffbh_u32_e32 v20, v18
	v_min_u32_e32 v23, 32, v20
	v_subrev_u32_e32 v20, 28, v23
	v_lshlrev_b64 v[20:21], v20, v[14:15]
	v_lshrrev_b32_e32 v22, 3, v6
	v_sub_u32_e32 v21, 29, v23
	v_and_b32_e32 v20, 7, v20
	v_cmp_gt_u32_e32 vcc, 8, v6
	v_cndmask_b32_e32 v6, v22, v21, vcc
	v_cndmask_b32_e32 v18, v18, v20, vcc
	v_lshlrev_b32_e32 v14, 24, v14
	v_bfrev_b32_e32 v20, 60
	v_lshlrev_b32_e32 v18, 20, v18
	v_and_b32_e32 v14, 0x80000000, v14
	v_lshl_add_u32 v6, v6, 23, v20
	v_or3_b32 v18, v14, v6, v18
.LBB605_613:
	s_or_b64 exec, exec, s[10:11]
.LBB605_614:
	s_or_b64 exec, exec, s[8:9]
.LBB605_615:
	s_or_b64 exec, exec, s[2:3]
	v_cmp_ne_u16_sdwa s[8:9], v7, v17 src0_sel:BYTE_0 src1_sel:DWORD
	s_and_saveexec_b64 s[2:3], s[8:9]
	s_cbranch_execz .LBB605_621
; %bb.616:
	s_movk_i32 s7, 0x80
	v_cmp_ne_u16_sdwa s[10:11], v7, s7 src0_sel:BYTE_0 src1_sel:DWORD
	v_bfrev_b32_e32 v17, 1
	s_and_saveexec_b64 s[8:9], s[10:11]
	s_cbranch_execz .LBB605_620
; %bb.617:
	s_movk_i32 s7, 0x7f
	v_and_b32_e32 v6, 0x7f, v7
	v_cmp_ne_u32_e32 vcc, s7, v6
	v_mov_b32_e32 v17, 0x7f800001
	s_and_saveexec_b64 s[10:11], vcc
	s_cbranch_execz .LBB605_619
; %bb.618:
	v_and_b32_e32 v17, 7, v7
	v_ffbh_u32_e32 v20, v17
	v_min_u32_e32 v23, 32, v20
	v_mov_b32_e32 v14, v7
	v_subrev_u32_e32 v20, 28, v23
	v_lshlrev_b64 v[20:21], v20, v[14:15]
	v_lshrrev_b32_e32 v22, 3, v6
	v_sub_u32_e32 v14, 29, v23
	v_and_b32_e32 v20, 7, v20
	v_cmp_gt_u32_e32 vcc, 8, v6
	v_cndmask_b32_e32 v6, v22, v14, vcc
	v_cndmask_b32_e32 v14, v17, v20, vcc
	v_lshlrev_b32_e32 v17, 24, v7
	v_bfrev_b32_e32 v20, 60
	v_lshlrev_b32_e32 v14, 20, v14
	v_and_b32_e32 v17, 0x80000000, v17
	v_lshl_add_u32 v6, v6, 23, v20
	v_or3_b32 v17, v17, v6, v14
.LBB605_619:
	s_or_b64 exec, exec, s[10:11]
.LBB605_620:
	s_or_b64 exec, exec, s[8:9]
.LBB605_621:
	s_or_b64 exec, exec, s[2:3]
	v_lshrrev_b16_e32 v6, 8, v7
	v_cmp_ne_u16_e32 vcc, 0, v6
	v_mov_b32_e32 v20, 0
	v_mov_b32_e32 v21, 0
	s_and_saveexec_b64 s[2:3], vcc
	s_cbranch_execz .LBB605_627
; %bb.622:
	s_movk_i32 s7, 0x80
	v_cmp_ne_u16_e32 vcc, s7, v6
	v_bfrev_b32_e32 v21, 1
	s_and_saveexec_b64 s[8:9], vcc
	s_cbranch_execz .LBB605_626
; %bb.623:
	s_movk_i32 s7, 0x7f
	v_and_b32_e32 v14, 0x7f, v6
	v_cmp_ne_u32_e32 vcc, s7, v14
	v_mov_b32_e32 v21, 0x7f800001
	s_and_saveexec_b64 s[10:11], vcc
	s_cbranch_execz .LBB605_625
; %bb.624:
	v_and_b32_e32 v21, 7, v6
	v_ffbh_u32_e32 v22, v21
	v_min_u32_e32 v25, 32, v22
	v_subrev_u32_e32 v22, 28, v25
	v_lshlrev_b64 v[22:23], v22, v[6:7]
	v_lshrrev_b32_e32 v24, 3, v14
	v_sub_u32_e32 v6, 29, v25
	v_and_b32_e32 v22, 7, v22
	v_cmp_gt_u32_e32 vcc, 8, v14
	v_cndmask_b32_e32 v6, v24, v6, vcc
	v_cndmask_b32_e32 v14, v21, v22, vcc
	v_lshlrev_b32_e32 v21, 16, v7
	v_bfrev_b32_e32 v22, 60
	v_lshlrev_b32_e32 v14, 20, v14
	v_and_b32_e32 v21, 0x80000000, v21
	v_lshl_add_u32 v6, v6, 23, v22
	v_or3_b32 v21, v21, v6, v14
.LBB605_625:
	s_or_b64 exec, exec, s[10:11]
.LBB605_626:
	s_or_b64 exec, exec, s[8:9]
.LBB605_627:
	s_or_b64 exec, exec, s[2:3]
	s_movk_i32 s2, 0xff
	v_and_b32_sdwa v14, v7, s2 dst_sel:DWORD dst_unused:UNUSED_PAD src0_sel:WORD_1 src1_sel:DWORD
	v_lshrrev_b32_e32 v6, 16, v7
	v_cmp_ne_u16_e32 vcc, 0, v14
	s_and_saveexec_b64 s[2:3], vcc
	s_cbranch_execz .LBB605_633
; %bb.628:
	s_movk_i32 s7, 0x80
	v_cmp_ne_u16_e32 vcc, s7, v14
	v_bfrev_b32_e32 v20, 1
	s_and_saveexec_b64 s[8:9], vcc
	s_cbranch_execz .LBB605_632
; %bb.629:
	v_bfe_u32 v14, v7, 16, 7
	s_movk_i32 s7, 0x7f
	v_cmp_ne_u32_e32 vcc, s7, v14
	v_mov_b32_e32 v20, 0x7f800001
	s_and_saveexec_b64 s[10:11], vcc
	s_cbranch_execz .LBB605_631
; %bb.630:
	v_and_b32_e32 v20, 7, v6
	v_ffbh_u32_e32 v22, v20
	v_min_u32_e32 v25, 32, v22
	v_subrev_u32_e32 v22, 28, v25
	v_lshlrev_b64 v[22:23], v22, v[6:7]
	v_and_b32_e32 v22, 7, v22
	v_cmp_gt_u32_e32 vcc, 8, v14
	v_lshrrev_b32_e32 v24, 3, v14
	v_sub_u32_e32 v6, 29, v25
	v_cndmask_b32_e32 v14, v20, v22, vcc
	v_mov_b32_e32 v20, 24
	v_cndmask_b32_e32 v6, v24, v6, vcc
	v_lshlrev_b32_sdwa v20, v20, v7 dst_sel:DWORD dst_unused:UNUSED_PAD src0_sel:DWORD src1_sel:WORD_1
	v_bfrev_b32_e32 v22, 60
	v_lshlrev_b32_e32 v14, 20, v14
	v_and_b32_e32 v20, 0x80000000, v20
	v_lshl_add_u32 v6, v6, 23, v22
	v_or3_b32 v20, v20, v6, v14
.LBB605_631:
	s_or_b64 exec, exec, s[10:11]
.LBB605_632:
	s_or_b64 exec, exec, s[8:9]
.LBB605_633:
	s_or_b64 exec, exec, s[2:3]
	s_mov_b32 s2, 0xffffff
	v_cmp_lt_u32_e32 vcc, s2, v7
	v_mov_b32_e32 v14, 0
	v_mov_b32_e32 v22, 0
	s_and_saveexec_b64 s[2:3], vcc
	s_cbranch_execz .LBB605_639
; %bb.634:
	v_lshrrev_b32_e32 v6, 24, v7
	s_movk_i32 s7, 0x80
	v_cmp_ne_u32_e32 vcc, s7, v6
	v_bfrev_b32_e32 v22, 1
	s_and_saveexec_b64 s[8:9], vcc
	s_cbranch_execz .LBB605_638
; %bb.635:
	v_bfe_u32 v7, v7, 24, 7
	s_movk_i32 s7, 0x7f
	v_cmp_ne_u32_e32 vcc, s7, v7
	v_mov_b32_e32 v22, 0x7f800001
	s_and_saveexec_b64 s[10:11], vcc
	s_cbranch_execz .LBB605_637
; %bb.636:
	v_and_b32_e32 v24, 7, v6
	v_ffbh_u32_e32 v22, v24
	v_min_u32_e32 v26, 32, v22
	v_subrev_u32_e32 v22, 28, v26
	v_lshlrev_b64 v[22:23], v22, v[6:7]
	v_lshrrev_b32_e32 v25, 3, v7
	v_sub_u32_e32 v23, 29, v26
	v_and_b32_e32 v22, 7, v22
	v_cmp_gt_u32_e32 vcc, 8, v7
	v_cndmask_b32_e32 v7, v25, v23, vcc
	v_cndmask_b32_e32 v22, v24, v22, vcc
	v_lshlrev_b32_e32 v6, 24, v6
	v_bfrev_b32_e32 v23, 60
	v_lshlrev_b32_e32 v22, 20, v22
	v_and_b32_e32 v6, 0x80000000, v6
	v_lshl_add_u32 v7, v7, 23, v23
	v_or3_b32 v22, v6, v7, v22
.LBB605_637:
	s_or_b64 exec, exec, s[10:11]
.LBB605_638:
	s_or_b64 exec, exec, s[8:9]
.LBB605_639:
	s_or_b64 exec, exec, s[2:3]
	v_cvt_pkrtz_f16_f32 v6, v19, v16
	v_cvt_pkrtz_f16_f32 v7, v15, v18
	ds_read_b128 v[24:27], v48 offset:4096
	v_cmp_ne_u16_sdwa s[8:9], v8, v14 src0_sel:BYTE_0 src1_sel:DWORD
	s_waitcnt lgkmcnt(0)
	v_mfma_f32_16x16x16f16 v[10:13], v[6:7], v[24:25], v[10:13]
	v_cvt_pkrtz_f16_f32 v6, v17, v21
	v_cvt_pkrtz_f16_f32 v7, v20, v22
	s_nop 1
	v_mfma_f32_16x16x16f16 v[10:13], v[6:7], v[26:27], v[10:13]
	s_and_saveexec_b64 s[2:3], s[8:9]
	s_cbranch_execz .LBB605_645
; %bb.640:
	s_movk_i32 s7, 0x80
	v_cmp_ne_u16_sdwa s[10:11], v8, s7 src0_sel:BYTE_0 src1_sel:DWORD
	v_bfrev_b32_e32 v14, 1
	s_and_saveexec_b64 s[8:9], s[10:11]
	s_cbranch_execz .LBB605_644
; %bb.641:
	s_movk_i32 s7, 0x7f
	v_and_b32_e32 v6, 0x7f, v8
	v_cmp_ne_u32_e32 vcc, s7, v6
	v_mov_b32_e32 v14, 0x7f800001
	s_and_saveexec_b64 s[10:11], vcc
	s_cbranch_execz .LBB605_643
; %bb.642:
	v_and_b32_e32 v7, 7, v8
	v_ffbh_u32_e32 v14, v7
	v_min_u32_e32 v17, 32, v14
	v_subrev_u32_e32 v14, 28, v17
	v_lshlrev_b64 v[14:15], v14, v[8:9]
	v_lshrrev_b32_e32 v16, 3, v6
	v_sub_u32_e32 v15, 29, v17
	v_and_b32_e32 v14, 7, v14
	v_cmp_gt_u32_e32 vcc, 8, v6
	v_cndmask_b32_e32 v6, v16, v15, vcc
	v_cndmask_b32_e32 v7, v7, v14, vcc
	v_lshlrev_b32_e32 v14, 24, v8
	v_bfrev_b32_e32 v15, 60
	v_lshlrev_b32_e32 v7, 20, v7
	v_and_b32_e32 v14, 0x80000000, v14
	v_lshl_add_u32 v6, v6, 23, v15
	v_or3_b32 v14, v14, v6, v7
.LBB605_643:
	s_or_b64 exec, exec, s[10:11]
.LBB605_644:
	s_or_b64 exec, exec, s[8:9]
.LBB605_645:
	s_or_b64 exec, exec, s[2:3]
	v_lshrrev_b16_e32 v6, 8, v8
	v_cmp_ne_u16_e32 vcc, 0, v6
	v_mov_b32_e32 v7, 0
	v_mov_b32_e32 v16, 0
	s_and_saveexec_b64 s[2:3], vcc
	s_cbranch_execz .LBB605_651
; %bb.646:
	s_movk_i32 s7, 0x80
	v_cmp_ne_u16_e32 vcc, s7, v6
	v_bfrev_b32_e32 v16, 1
	s_and_saveexec_b64 s[8:9], vcc
	s_cbranch_execz .LBB605_650
; %bb.647:
	s_movk_i32 s7, 0x7f
	v_and_b32_e32 v15, 0x7f, v6
	v_cmp_ne_u32_e32 vcc, s7, v15
	v_mov_b32_e32 v16, 0x7f800001
	s_and_saveexec_b64 s[10:11], vcc
	s_cbranch_execz .LBB605_649
; %bb.648:
	v_and_b32_e32 v18, 7, v6
	v_ffbh_u32_e32 v16, v18
	v_min_u32_e32 v20, 32, v16
	v_subrev_u32_e32 v16, 28, v20
	v_lshlrev_b64 v[16:17], v16, v[6:7]
	v_lshrrev_b32_e32 v19, 3, v15
	v_sub_u32_e32 v6, 29, v20
	v_and_b32_e32 v16, 7, v16
	v_cmp_gt_u32_e32 vcc, 8, v15
	v_cndmask_b32_e32 v6, v19, v6, vcc
	v_cndmask_b32_e32 v15, v18, v16, vcc
	v_lshlrev_b32_e32 v16, 16, v8
	v_bfrev_b32_e32 v17, 60
	v_lshlrev_b32_e32 v15, 20, v15
	v_and_b32_e32 v16, 0x80000000, v16
	v_lshl_add_u32 v6, v6, 23, v17
	v_or3_b32 v16, v16, v6, v15
.LBB605_649:
	s_or_b64 exec, exec, s[10:11]
.LBB605_650:
	s_or_b64 exec, exec, s[8:9]
.LBB605_651:
	s_or_b64 exec, exec, s[2:3]
	s_movk_i32 s2, 0xff
	v_and_b32_sdwa v15, v8, s2 dst_sel:DWORD dst_unused:UNUSED_PAD src0_sel:WORD_1 src1_sel:DWORD
	v_lshrrev_b32_e32 v6, 16, v8
	v_cmp_ne_u16_e32 vcc, 0, v15
	s_and_saveexec_b64 s[2:3], vcc
	s_cbranch_execz .LBB605_657
; %bb.652:
	s_movk_i32 s7, 0x80
	v_cmp_ne_u16_e32 vcc, s7, v15
	v_bfrev_b32_e32 v7, 1
	s_and_saveexec_b64 s[8:9], vcc
	s_cbranch_execz .LBB605_656
; %bb.653:
	v_bfe_u32 v15, v8, 16, 7
	s_movk_i32 s7, 0x7f
	v_cmp_ne_u32_e32 vcc, s7, v15
	v_mov_b32_e32 v7, 0x7f800001
	s_and_saveexec_b64 s[10:11], vcc
	s_cbranch_execz .LBB605_655
; %bb.654:
	v_and_b32_e32 v17, 7, v6
	v_ffbh_u32_e32 v7, v17
	v_min_u32_e32 v19, 32, v7
	v_subrev_u32_e32 v7, 28, v19
	v_lshlrev_b64 v[6:7], v7, v[6:7]
	v_lshrrev_b32_e32 v18, 3, v15
	v_sub_u32_e32 v7, 29, v19
	v_and_b32_e32 v6, 7, v6
	v_cmp_gt_u32_e32 vcc, 8, v15
	v_mov_b32_e32 v15, 24
	v_cndmask_b32_e32 v7, v18, v7, vcc
	v_cndmask_b32_e32 v6, v17, v6, vcc
	v_lshlrev_b32_sdwa v15, v15, v8 dst_sel:DWORD dst_unused:UNUSED_PAD src0_sel:DWORD src1_sel:WORD_1
	v_bfrev_b32_e32 v17, 60
	v_lshlrev_b32_e32 v6, 20, v6
	v_and_b32_e32 v15, 0x80000000, v15
	v_lshl_add_u32 v7, v7, 23, v17
	v_or3_b32 v7, v15, v7, v6
.LBB605_655:
	s_or_b64 exec, exec, s[10:11]
.LBB605_656:
	s_or_b64 exec, exec, s[8:9]
.LBB605_657:
	s_or_b64 exec, exec, s[2:3]
	s_mov_b32 s2, 0xffffff
	v_cmp_lt_u32_e32 vcc, s2, v8
	v_mov_b32_e32 v17, 0
	v_mov_b32_e32 v18, 0
	s_and_saveexec_b64 s[2:3], vcc
	s_cbranch_execz .LBB605_663
; %bb.658:
	v_lshrrev_b32_e32 v6, 24, v8
	s_movk_i32 s7, 0x80
	v_cmp_ne_u32_e32 vcc, s7, v6
	v_bfrev_b32_e32 v18, 1
	s_and_saveexec_b64 s[8:9], vcc
	s_cbranch_execz .LBB605_662
; %bb.659:
	v_bfe_u32 v8, v8, 24, 7
	s_movk_i32 s7, 0x7f
	v_cmp_ne_u32_e32 vcc, s7, v8
	v_mov_b32_e32 v18, 0x7f800001
	s_and_saveexec_b64 s[10:11], vcc
	s_cbranch_execz .LBB605_661
; %bb.660:
	v_and_b32_e32 v15, 7, v6
	v_ffbh_u32_e32 v18, v15
	v_min_u32_e32 v21, 32, v18
	v_subrev_u32_e32 v18, 28, v21
	v_lshlrev_b64 v[18:19], v18, v[6:7]
	v_lshrrev_b32_e32 v20, 3, v8
	v_sub_u32_e32 v19, 29, v21
	v_and_b32_e32 v18, 7, v18
	v_cmp_gt_u32_e32 vcc, 8, v8
	v_cndmask_b32_e32 v8, v20, v19, vcc
	v_cndmask_b32_e32 v15, v15, v18, vcc
	v_lshlrev_b32_e32 v6, 24, v6
	v_bfrev_b32_e32 v18, 60
	v_lshlrev_b32_e32 v15, 20, v15
	v_and_b32_e32 v6, 0x80000000, v6
	v_lshl_add_u32 v8, v8, 23, v18
	v_or3_b32 v18, v6, v8, v15
.LBB605_661:
	s_or_b64 exec, exec, s[10:11]
.LBB605_662:
	s_or_b64 exec, exec, s[8:9]
.LBB605_663:
	s_or_b64 exec, exec, s[2:3]
	v_cmp_ne_u16_sdwa s[8:9], v9, v17 src0_sel:BYTE_0 src1_sel:DWORD
	s_and_saveexec_b64 s[2:3], s[8:9]
	s_cbranch_execz .LBB605_669
; %bb.664:
	s_movk_i32 s7, 0x80
	v_cmp_ne_u16_sdwa s[10:11], v9, s7 src0_sel:BYTE_0 src1_sel:DWORD
	v_bfrev_b32_e32 v17, 1
	s_and_saveexec_b64 s[8:9], s[10:11]
	s_cbranch_execz .LBB605_668
; %bb.665:
	s_movk_i32 s7, 0x7f
	v_and_b32_e32 v6, 0x7f, v9
	v_cmp_ne_u32_e32 vcc, s7, v6
	v_mov_b32_e32 v17, 0x7f800001
	s_and_saveexec_b64 s[10:11], vcc
	s_cbranch_execz .LBB605_667
; %bb.666:
	v_and_b32_e32 v15, 7, v9
	v_ffbh_u32_e32 v19, v15
	v_min_u32_e32 v19, 32, v19
	v_mov_b32_e32 v8, v9
	v_subrev_u32_e32 v20, 28, v19
	v_lshlrev_b64 v[20:21], v20, v[8:9]
	v_lshrrev_b32_e32 v17, 3, v6
	v_sub_u32_e32 v8, 29, v19
	v_and_b32_e32 v19, 7, v20
	v_cmp_gt_u32_e32 vcc, 8, v6
	v_cndmask_b32_e32 v6, v17, v8, vcc
	v_cndmask_b32_e32 v8, v15, v19, vcc
	v_lshlrev_b32_e32 v15, 24, v9
	v_bfrev_b32_e32 v17, 60
	v_lshlrev_b32_e32 v8, 20, v8
	v_and_b32_e32 v15, 0x80000000, v15
	v_lshl_add_u32 v6, v6, 23, v17
	v_or3_b32 v17, v15, v6, v8
.LBB605_667:
	s_or_b64 exec, exec, s[10:11]
.LBB605_668:
	s_or_b64 exec, exec, s[8:9]
.LBB605_669:
	s_or_b64 exec, exec, s[2:3]
	v_lshrrev_b16_e32 v6, 8, v9
	v_cmp_ne_u16_e32 vcc, 0, v6
	v_mov_b32_e32 v8, 0
	v_mov_b32_e32 v19, 0
	s_and_saveexec_b64 s[2:3], vcc
	s_cbranch_execz .LBB605_675
; %bb.670:
	s_movk_i32 s7, 0x80
	v_cmp_ne_u16_e32 vcc, s7, v6
	v_bfrev_b32_e32 v19, 1
	s_and_saveexec_b64 s[8:9], vcc
	s_cbranch_execz .LBB605_674
; %bb.671:
	s_movk_i32 s7, 0x7f
	v_and_b32_e32 v15, 0x7f, v6
	v_cmp_ne_u32_e32 vcc, s7, v15
	v_mov_b32_e32 v19, 0x7f800001
	s_and_saveexec_b64 s[10:11], vcc
	s_cbranch_execz .LBB605_673
; %bb.672:
	v_and_b32_e32 v19, 7, v6
	v_ffbh_u32_e32 v20, v19
	v_min_u32_e32 v23, 32, v20
	v_subrev_u32_e32 v20, 28, v23
	v_lshlrev_b64 v[20:21], v20, v[6:7]
	v_lshrrev_b32_e32 v22, 3, v15
	v_sub_u32_e32 v6, 29, v23
	v_and_b32_e32 v20, 7, v20
	v_cmp_gt_u32_e32 vcc, 8, v15
	v_cndmask_b32_e32 v6, v22, v6, vcc
	v_cndmask_b32_e32 v15, v19, v20, vcc
	v_lshlrev_b32_e32 v19, 16, v9
	v_bfrev_b32_e32 v20, 60
	v_lshlrev_b32_e32 v15, 20, v15
	v_and_b32_e32 v19, 0x80000000, v19
	v_lshl_add_u32 v6, v6, 23, v20
	v_or3_b32 v19, v19, v6, v15
.LBB605_673:
	s_or_b64 exec, exec, s[10:11]
.LBB605_674:
	s_or_b64 exec, exec, s[8:9]
.LBB605_675:
	s_or_b64 exec, exec, s[2:3]
	s_movk_i32 s2, 0xff
	v_and_b32_sdwa v15, v9, s2 dst_sel:DWORD dst_unused:UNUSED_PAD src0_sel:WORD_1 src1_sel:DWORD
	v_lshrrev_b32_e32 v6, 16, v9
	v_cmp_ne_u16_e32 vcc, 0, v15
	s_and_saveexec_b64 s[2:3], vcc
	s_cbranch_execz .LBB605_681
; %bb.676:
	s_movk_i32 s7, 0x80
	v_cmp_ne_u16_e32 vcc, s7, v15
	v_bfrev_b32_e32 v8, 1
	s_and_saveexec_b64 s[8:9], vcc
	s_cbranch_execz .LBB605_680
; %bb.677:
	v_bfe_u32 v15, v9, 16, 7
	s_movk_i32 s7, 0x7f
	v_cmp_ne_u32_e32 vcc, s7, v15
	v_mov_b32_e32 v8, 0x7f800001
	s_and_saveexec_b64 s[10:11], vcc
	s_cbranch_execz .LBB605_679
; %bb.678:
	v_and_b32_e32 v8, 7, v6
	v_ffbh_u32_e32 v20, v8
	v_min_u32_e32 v23, 32, v20
	v_subrev_u32_e32 v20, 28, v23
	v_lshlrev_b64 v[20:21], v20, v[6:7]
	v_lshrrev_b32_e32 v22, 3, v15
	v_sub_u32_e32 v6, 29, v23
	v_and_b32_e32 v20, 7, v20
	v_cmp_gt_u32_e32 vcc, 8, v15
	v_mov_b32_e32 v15, 24
	v_cndmask_b32_e32 v6, v22, v6, vcc
	v_cndmask_b32_e32 v8, v8, v20, vcc
	v_lshlrev_b32_sdwa v15, v15, v9 dst_sel:DWORD dst_unused:UNUSED_PAD src0_sel:DWORD src1_sel:WORD_1
	v_bfrev_b32_e32 v20, 60
	v_lshlrev_b32_e32 v8, 20, v8
	v_and_b32_e32 v15, 0x80000000, v15
	v_lshl_add_u32 v6, v6, 23, v20
	v_or3_b32 v8, v15, v6, v8
.LBB605_679:
	s_or_b64 exec, exec, s[10:11]
.LBB605_680:
	s_or_b64 exec, exec, s[8:9]
.LBB605_681:
	s_or_b64 exec, exec, s[2:3]
	s_mov_b32 s2, 0xffffff
	v_cmp_lt_u32_e32 vcc, s2, v9
	v_mov_b32_e32 v15, 0
	v_mov_b32_e32 v20, 0
	s_and_saveexec_b64 s[2:3], vcc
	s_cbranch_execz .LBB605_687
; %bb.682:
	v_lshrrev_b32_e32 v6, 24, v9
	s_movk_i32 s7, 0x80
	v_cmp_ne_u32_e32 vcc, s7, v6
	v_bfrev_b32_e32 v20, 1
	s_and_saveexec_b64 s[8:9], vcc
	s_cbranch_execz .LBB605_686
; %bb.683:
	v_bfe_u32 v9, v9, 24, 7
	s_movk_i32 s7, 0x7f
	v_cmp_ne_u32_e32 vcc, s7, v9
	v_mov_b32_e32 v20, 0x7f800001
	s_and_saveexec_b64 s[10:11], vcc
	s_cbranch_execz .LBB605_685
; %bb.684:
	v_and_b32_e32 v22, 7, v6
	v_ffbh_u32_e32 v20, v22
	v_min_u32_e32 v24, 32, v20
	v_subrev_u32_e32 v20, 28, v24
	v_lshlrev_b64 v[20:21], v20, v[6:7]
	v_lshrrev_b32_e32 v23, 3, v9
	v_sub_u32_e32 v21, 29, v24
	v_and_b32_e32 v20, 7, v20
	v_cmp_gt_u32_e32 vcc, 8, v9
	v_cndmask_b32_e32 v9, v23, v21, vcc
	v_cndmask_b32_e32 v20, v22, v20, vcc
	v_lshlrev_b32_e32 v6, 24, v6
	v_bfrev_b32_e32 v21, 60
	v_lshlrev_b32_e32 v20, 20, v20
	v_and_b32_e32 v6, 0x80000000, v6
	v_lshl_add_u32 v9, v9, 23, v21
	v_or3_b32 v20, v6, v9, v20
.LBB605_685:
	s_or_b64 exec, exec, s[10:11]
.LBB605_686:
	s_or_b64 exec, exec, s[8:9]
.LBB605_687:
	s_or_b64 exec, exec, s[2:3]
	v_cvt_pkrtz_f16_f32 v6, v14, v16
	v_cvt_pkrtz_f16_f32 v7, v7, v18
	ds_read_b128 v[22:25], v48 offset:4112
	s_waitcnt vmcnt(0)
	v_cmp_ne_u16_sdwa s[8:9], v2, v15 src0_sel:BYTE_0 src1_sel:DWORD
	s_waitcnt lgkmcnt(0)
	v_mfma_f32_16x16x16f16 v[10:13], v[6:7], v[22:23], v[10:13]
	v_cvt_pkrtz_f16_f32 v6, v17, v19
	v_cvt_pkrtz_f16_f32 v7, v8, v20
	s_nop 1
	v_mfma_f32_16x16x16f16 v[6:9], v[6:7], v[24:25], v[10:13]
	s_and_saveexec_b64 s[2:3], s[8:9]
	s_cbranch_execz .LBB605_693
; %bb.688:
	s_movk_i32 s7, 0x80
	v_cmp_ne_u16_sdwa s[10:11], v2, s7 src0_sel:BYTE_0 src1_sel:DWORD
	v_bfrev_b32_e32 v15, 1
	s_and_saveexec_b64 s[8:9], s[10:11]
	s_cbranch_execz .LBB605_692
; %bb.689:
	s_movk_i32 s7, 0x7f
	v_and_b32_e32 v10, 0x7f, v2
	v_cmp_ne_u32_e32 vcc, s7, v10
	v_mov_b32_e32 v15, 0x7f800001
	s_and_saveexec_b64 s[10:11], vcc
	s_cbranch_execz .LBB605_691
; %bb.690:
	v_and_b32_e32 v11, 7, v2
	v_ffbh_u32_e32 v12, v11
	v_min_u32_e32 v15, 32, v12
	v_subrev_u32_e32 v12, 28, v15
	v_lshlrev_b64 v[12:13], v12, v[2:3]
	v_lshrrev_b32_e32 v14, 3, v10
	v_sub_u32_e32 v13, 29, v15
	v_and_b32_e32 v12, 7, v12
	v_cmp_gt_u32_e32 vcc, 8, v10
	v_cndmask_b32_e32 v10, v14, v13, vcc
	v_cndmask_b32_e32 v11, v11, v12, vcc
	v_lshlrev_b32_e32 v12, 24, v2
	v_bfrev_b32_e32 v13, 60
	v_lshlrev_b32_e32 v11, 20, v11
	v_and_b32_e32 v12, 0x80000000, v12
	v_lshl_add_u32 v10, v10, 23, v13
	v_or3_b32 v15, v12, v10, v11
.LBB605_691:
	s_or_b64 exec, exec, s[10:11]
.LBB605_692:
	s_or_b64 exec, exec, s[8:9]
.LBB605_693:
	s_or_b64 exec, exec, s[2:3]
	s_nop 3
	v_lshrrev_b16_e32 v10, 8, v2
	v_cmp_ne_u16_e32 vcc, 0, v10
	v_mov_b32_e32 v11, 0
	v_mov_b32_e32 v12, 0
	s_and_saveexec_b64 s[2:3], vcc
	s_cbranch_execz .LBB605_699
; %bb.694:
	s_movk_i32 s7, 0x80
	v_cmp_ne_u16_e32 vcc, s7, v10
	v_bfrev_b32_e32 v12, 1
	s_and_saveexec_b64 s[8:9], vcc
	s_cbranch_execz .LBB605_698
; %bb.695:
	s_movk_i32 s7, 0x7f
	v_and_b32_e32 v13, 0x7f, v10
	v_cmp_ne_u32_e32 vcc, s7, v13
	v_mov_b32_e32 v12, 0x7f800001
	s_and_saveexec_b64 s[10:11], vcc
	s_cbranch_execz .LBB605_697
; %bb.696:
	v_and_b32_e32 v12, 7, v10
	v_ffbh_u32_e32 v16, v12
	v_min_u32_e32 v18, 32, v16
	v_subrev_u32_e32 v16, 28, v18
	v_lshlrev_b64 v[16:17], v16, v[10:11]
	v_lshrrev_b32_e32 v14, 3, v13
	v_sub_u32_e32 v10, 29, v18
	v_and_b32_e32 v16, 7, v16
	v_cmp_gt_u32_e32 vcc, 8, v13
	v_cndmask_b32_e32 v10, v14, v10, vcc
	v_cndmask_b32_e32 v12, v12, v16, vcc
	v_lshlrev_b32_e32 v13, 16, v2
	v_bfrev_b32_e32 v14, 60
	v_lshlrev_b32_e32 v12, 20, v12
	v_and_b32_e32 v13, 0x80000000, v13
	v_lshl_add_u32 v10, v10, 23, v14
	v_or3_b32 v12, v13, v10, v12
.LBB605_697:
	s_or_b64 exec, exec, s[10:11]
.LBB605_698:
	s_or_b64 exec, exec, s[8:9]
.LBB605_699:
	s_or_b64 exec, exec, s[2:3]
	s_movk_i32 s2, 0xff
	v_and_b32_sdwa v13, v2, s2 dst_sel:DWORD dst_unused:UNUSED_PAD src0_sel:WORD_1 src1_sel:DWORD
	v_lshrrev_b32_e32 v10, 16, v2
	v_cmp_ne_u16_e32 vcc, 0, v13
	s_and_saveexec_b64 s[2:3], vcc
	s_cbranch_execz .LBB605_705
; %bb.700:
	s_movk_i32 s7, 0x80
	v_cmp_ne_u16_e32 vcc, s7, v13
	v_bfrev_b32_e32 v11, 1
	s_and_saveexec_b64 s[8:9], vcc
	s_cbranch_execz .LBB605_704
; %bb.701:
	v_bfe_u32 v13, v2, 16, 7
	s_movk_i32 s7, 0x7f
	v_cmp_ne_u32_e32 vcc, s7, v13
	v_mov_b32_e32 v11, 0x7f800001
	s_and_saveexec_b64 s[10:11], vcc
	s_cbranch_execz .LBB605_703
; %bb.702:
	v_and_b32_e32 v14, 7, v10
	v_ffbh_u32_e32 v11, v14
	v_min_u32_e32 v17, 32, v11
	v_subrev_u32_e32 v11, 28, v17
	v_lshlrev_b64 v[10:11], v11, v[10:11]
	v_lshrrev_b32_e32 v16, 3, v13
	v_sub_u32_e32 v11, 29, v17
	v_and_b32_e32 v10, 7, v10
	v_cmp_gt_u32_e32 vcc, 8, v13
	v_mov_b32_e32 v13, 24
	v_cndmask_b32_e32 v11, v16, v11, vcc
	v_cndmask_b32_e32 v10, v14, v10, vcc
	v_lshlrev_b32_sdwa v13, v13, v2 dst_sel:DWORD dst_unused:UNUSED_PAD src0_sel:DWORD src1_sel:WORD_1
	v_bfrev_b32_e32 v14, 60
	v_lshlrev_b32_e32 v10, 20, v10
	v_and_b32_e32 v13, 0x80000000, v13
	v_lshl_add_u32 v11, v11, 23, v14
	v_or3_b32 v11, v13, v11, v10
.LBB605_703:
	s_or_b64 exec, exec, s[10:11]
.LBB605_704:
	s_or_b64 exec, exec, s[8:9]
.LBB605_705:
	s_or_b64 exec, exec, s[2:3]
	s_mov_b32 s2, 0xffffff
	v_cmp_lt_u32_e32 vcc, s2, v2
	v_mov_b32_e32 v13, 0
	v_mov_b32_e32 v14, 0
	s_and_saveexec_b64 s[2:3], vcc
	s_cbranch_execz .LBB605_711
; %bb.706:
	v_lshrrev_b32_e32 v10, 24, v2
	s_movk_i32 s7, 0x80
	v_cmp_ne_u32_e32 vcc, s7, v10
	v_bfrev_b32_e32 v14, 1
	s_and_saveexec_b64 s[8:9], vcc
	s_cbranch_execz .LBB605_710
; %bb.707:
	v_bfe_u32 v2, v2, 24, 7
	s_movk_i32 s7, 0x7f
	v_cmp_ne_u32_e32 vcc, s7, v2
	v_mov_b32_e32 v14, 0x7f800001
	s_and_saveexec_b64 s[10:11], vcc
	s_cbranch_execz .LBB605_709
; %bb.708:
	v_and_b32_e32 v14, 7, v10
	v_ffbh_u32_e32 v16, v14
	v_min_u32_e32 v19, 32, v16
	v_subrev_u32_e32 v16, 28, v19
	v_lshlrev_b64 v[16:17], v16, v[10:11]
	v_lshrrev_b32_e32 v18, 3, v2
	v_sub_u32_e32 v17, 29, v19
	v_and_b32_e32 v16, 7, v16
	v_cmp_gt_u32_e32 vcc, 8, v2
	v_cndmask_b32_e32 v2, v18, v17, vcc
	v_cndmask_b32_e32 v14, v14, v16, vcc
	v_lshlrev_b32_e32 v10, 24, v10
	v_bfrev_b32_e32 v16, 60
	v_lshlrev_b32_e32 v14, 20, v14
	v_and_b32_e32 v10, 0x80000000, v10
	v_lshl_add_u32 v2, v2, 23, v16
	v_or3_b32 v14, v10, v2, v14
.LBB605_709:
	s_or_b64 exec, exec, s[10:11]
.LBB605_710:
	s_or_b64 exec, exec, s[8:9]
.LBB605_711:
	s_or_b64 exec, exec, s[2:3]
	v_cmp_ne_u16_sdwa s[8:9], v3, v13 src0_sel:BYTE_0 src1_sel:DWORD
	s_and_saveexec_b64 s[2:3], s[8:9]
	s_cbranch_execz .LBB605_717
; %bb.712:
	s_movk_i32 s7, 0x80
	v_cmp_ne_u16_sdwa s[10:11], v3, s7 src0_sel:BYTE_0 src1_sel:DWORD
	v_bfrev_b32_e32 v13, 1
	s_and_saveexec_b64 s[8:9], s[10:11]
	s_cbranch_execz .LBB605_716
; %bb.713:
	s_movk_i32 s7, 0x7f
	v_and_b32_e32 v2, 0x7f, v3
	v_cmp_ne_u32_e32 vcc, s7, v2
	v_mov_b32_e32 v13, 0x7f800001
	s_and_saveexec_b64 s[10:11], vcc
	s_cbranch_execz .LBB605_715
; %bb.714:
	v_and_b32_e32 v13, 7, v3
	v_ffbh_u32_e32 v16, v13
	v_min_u32_e32 v19, 32, v16
	v_mov_b32_e32 v10, v3
	v_subrev_u32_e32 v16, 28, v19
	v_lshlrev_b64 v[16:17], v16, v[10:11]
	v_lshrrev_b32_e32 v18, 3, v2
	v_sub_u32_e32 v10, 29, v19
	v_and_b32_e32 v16, 7, v16
	v_cmp_gt_u32_e32 vcc, 8, v2
	v_cndmask_b32_e32 v2, v18, v10, vcc
	v_cndmask_b32_e32 v10, v13, v16, vcc
	v_lshlrev_b32_e32 v13, 24, v3
	v_bfrev_b32_e32 v16, 60
	v_lshlrev_b32_e32 v10, 20, v10
	v_and_b32_e32 v13, 0x80000000, v13
	v_lshl_add_u32 v2, v2, 23, v16
	v_or3_b32 v13, v13, v2, v10
.LBB605_715:
	s_or_b64 exec, exec, s[10:11]
.LBB605_716:
	s_or_b64 exec, exec, s[8:9]
.LBB605_717:
	s_or_b64 exec, exec, s[2:3]
	v_lshrrev_b16_e32 v2, 8, v3
	v_cmp_ne_u16_e32 vcc, 0, v2
	v_mov_b32_e32 v16, 0
	v_mov_b32_e32 v17, 0
	s_and_saveexec_b64 s[2:3], vcc
	s_cbranch_execz .LBB605_723
; %bb.718:
	s_movk_i32 s7, 0x80
	v_cmp_ne_u16_e32 vcc, s7, v2
	v_bfrev_b32_e32 v17, 1
	s_and_saveexec_b64 s[8:9], vcc
	s_cbranch_execz .LBB605_722
; %bb.719:
	s_movk_i32 s7, 0x7f
	v_and_b32_e32 v10, 0x7f, v2
	v_cmp_ne_u32_e32 vcc, s7, v10
	v_mov_b32_e32 v17, 0x7f800001
	s_and_saveexec_b64 s[10:11], vcc
	s_cbranch_execz .LBB605_721
; %bb.720:
	v_and_b32_e32 v17, 7, v2
	v_ffbh_u32_e32 v18, v17
	v_min_u32_e32 v21, 32, v18
	v_subrev_u32_e32 v18, 28, v21
	v_lshlrev_b64 v[18:19], v18, v[2:3]
	v_lshrrev_b32_e32 v20, 3, v10
	v_sub_u32_e32 v2, 29, v21
	v_and_b32_e32 v18, 7, v18
	v_cmp_gt_u32_e32 vcc, 8, v10
	v_cndmask_b32_e32 v2, v20, v2, vcc
	v_cndmask_b32_e32 v10, v17, v18, vcc
	v_lshlrev_b32_e32 v17, 16, v3
	v_bfrev_b32_e32 v18, 60
	v_lshlrev_b32_e32 v10, 20, v10
	v_and_b32_e32 v17, 0x80000000, v17
	v_lshl_add_u32 v2, v2, 23, v18
	v_or3_b32 v17, v17, v2, v10
.LBB605_721:
	s_or_b64 exec, exec, s[10:11]
.LBB605_722:
	s_or_b64 exec, exec, s[8:9]
.LBB605_723:
	s_or_b64 exec, exec, s[2:3]
	s_movk_i32 s2, 0xff
	v_and_b32_sdwa v10, v3, s2 dst_sel:DWORD dst_unused:UNUSED_PAD src0_sel:WORD_1 src1_sel:DWORD
	v_lshrrev_b32_e32 v2, 16, v3
	v_cmp_ne_u16_e32 vcc, 0, v10
	s_and_saveexec_b64 s[2:3], vcc
	s_cbranch_execz .LBB605_729
; %bb.724:
	s_movk_i32 s7, 0x80
	v_cmp_ne_u16_e32 vcc, s7, v10
	v_bfrev_b32_e32 v16, 1
	s_and_saveexec_b64 s[8:9], vcc
	s_cbranch_execz .LBB605_728
; %bb.725:
	v_bfe_u32 v10, v3, 16, 7
	s_movk_i32 s7, 0x7f
	v_cmp_ne_u32_e32 vcc, s7, v10
	v_mov_b32_e32 v16, 0x7f800001
	s_and_saveexec_b64 s[10:11], vcc
	s_cbranch_execz .LBB605_727
; %bb.726:
	v_and_b32_e32 v16, 7, v2
	v_ffbh_u32_e32 v18, v16
	v_min_u32_e32 v21, 32, v18
	v_subrev_u32_e32 v18, 28, v21
	v_lshlrev_b64 v[18:19], v18, v[2:3]
	v_and_b32_e32 v18, 7, v18
	v_cmp_gt_u32_e32 vcc, 8, v10
	v_lshrrev_b32_e32 v20, 3, v10
	v_sub_u32_e32 v2, 29, v21
	v_cndmask_b32_e32 v10, v16, v18, vcc
	v_mov_b32_e32 v16, 24
	v_cndmask_b32_e32 v2, v20, v2, vcc
	v_lshlrev_b32_sdwa v16, v16, v3 dst_sel:DWORD dst_unused:UNUSED_PAD src0_sel:DWORD src1_sel:WORD_1
	v_bfrev_b32_e32 v18, 60
	v_lshlrev_b32_e32 v10, 20, v10
	v_and_b32_e32 v16, 0x80000000, v16
	v_lshl_add_u32 v2, v2, 23, v18
	v_or3_b32 v16, v16, v2, v10
.LBB605_727:
	s_or_b64 exec, exec, s[10:11]
.LBB605_728:
	s_or_b64 exec, exec, s[8:9]
.LBB605_729:
	s_or_b64 exec, exec, s[2:3]
	s_mov_b32 s2, 0xffffff
	v_cmp_lt_u32_e32 vcc, s2, v3
	v_mov_b32_e32 v10, 0
	v_mov_b32_e32 v18, 0
	s_and_saveexec_b64 s[2:3], vcc
	s_cbranch_execz .LBB605_735
; %bb.730:
	v_lshrrev_b32_e32 v2, 24, v3
	s_movk_i32 s7, 0x80
	v_cmp_ne_u32_e32 vcc, s7, v2
	v_bfrev_b32_e32 v18, 1
	s_and_saveexec_b64 s[8:9], vcc
	s_cbranch_execz .LBB605_734
; %bb.731:
	v_bfe_u32 v3, v3, 24, 7
	s_movk_i32 s7, 0x7f
	v_cmp_ne_u32_e32 vcc, s7, v3
	v_mov_b32_e32 v18, 0x7f800001
	s_and_saveexec_b64 s[10:11], vcc
	s_cbranch_execz .LBB605_733
; %bb.732:
	v_and_b32_e32 v20, 7, v2
	v_ffbh_u32_e32 v18, v20
	v_min_u32_e32 v22, 32, v18
	v_subrev_u32_e32 v18, 28, v22
	v_lshlrev_b64 v[18:19], v18, v[2:3]
	v_lshrrev_b32_e32 v21, 3, v3
	v_sub_u32_e32 v19, 29, v22
	v_and_b32_e32 v18, 7, v18
	v_cmp_gt_u32_e32 vcc, 8, v3
	v_cndmask_b32_e32 v3, v21, v19, vcc
	v_cndmask_b32_e32 v18, v20, v18, vcc
	v_lshlrev_b32_e32 v2, 24, v2
	v_bfrev_b32_e32 v19, 60
	v_lshlrev_b32_e32 v18, 20, v18
	v_and_b32_e32 v2, 0x80000000, v2
	v_lshl_add_u32 v3, v3, 23, v19
	v_or3_b32 v18, v2, v3, v18
.LBB605_733:
	s_or_b64 exec, exec, s[10:11]
.LBB605_734:
	s_or_b64 exec, exec, s[8:9]
.LBB605_735:
	s_or_b64 exec, exec, s[2:3]
	v_cvt_pkrtz_f16_f32 v2, v15, v12
	v_cvt_pkrtz_f16_f32 v3, v11, v14
	ds_read_b128 v[20:23], v48 offset:6144
	v_cmp_ne_u16_sdwa s[8:9], v4, v10 src0_sel:BYTE_0 src1_sel:DWORD
	s_waitcnt lgkmcnt(0)
	v_mfma_f32_16x16x16f16 v[6:9], v[2:3], v[20:21], v[6:9]
	v_cvt_pkrtz_f16_f32 v2, v13, v17
	v_cvt_pkrtz_f16_f32 v3, v16, v18
	s_nop 1
	v_mfma_f32_16x16x16f16 v[6:9], v[2:3], v[22:23], v[6:9]
	s_and_saveexec_b64 s[2:3], s[8:9]
	s_cbranch_execz .LBB605_741
; %bb.736:
	s_movk_i32 s7, 0x80
	v_cmp_ne_u16_sdwa s[10:11], v4, s7 src0_sel:BYTE_0 src1_sel:DWORD
	v_bfrev_b32_e32 v10, 1
	s_and_saveexec_b64 s[8:9], s[10:11]
	s_cbranch_execz .LBB605_740
; %bb.737:
	s_movk_i32 s7, 0x7f
	v_and_b32_e32 v2, 0x7f, v4
	v_cmp_ne_u32_e32 vcc, s7, v2
	v_mov_b32_e32 v10, 0x7f800001
	s_and_saveexec_b64 s[10:11], vcc
	s_cbranch_execz .LBB605_739
; %bb.738:
	v_and_b32_e32 v3, 7, v4
	v_ffbh_u32_e32 v10, v3
	v_min_u32_e32 v13, 32, v10
	v_subrev_u32_e32 v10, 28, v13
	v_lshlrev_b64 v[10:11], v10, v[4:5]
	v_lshrrev_b32_e32 v12, 3, v2
	v_sub_u32_e32 v11, 29, v13
	v_and_b32_e32 v10, 7, v10
	v_cmp_gt_u32_e32 vcc, 8, v2
	v_cndmask_b32_e32 v2, v12, v11, vcc
	v_cndmask_b32_e32 v3, v3, v10, vcc
	v_lshlrev_b32_e32 v10, 24, v4
	v_bfrev_b32_e32 v11, 60
	v_lshlrev_b32_e32 v3, 20, v3
	v_and_b32_e32 v10, 0x80000000, v10
	v_lshl_add_u32 v2, v2, 23, v11
	v_or3_b32 v10, v10, v2, v3
.LBB605_739:
	s_or_b64 exec, exec, s[10:11]
.LBB605_740:
	s_or_b64 exec, exec, s[8:9]
.LBB605_741:
	s_or_b64 exec, exec, s[2:3]
	v_lshrrev_b16_e32 v2, 8, v4
	v_cmp_ne_u16_e32 vcc, 0, v2
	v_mov_b32_e32 v3, 0
	v_mov_b32_e32 v11, 0
	s_and_saveexec_b64 s[2:3], vcc
	s_cbranch_execz .LBB605_747
; %bb.742:
	s_movk_i32 s7, 0x80
	v_cmp_ne_u16_e32 vcc, s7, v2
	v_bfrev_b32_e32 v11, 1
	s_and_saveexec_b64 s[8:9], vcc
	s_cbranch_execz .LBB605_746
; %bb.743:
	s_movk_i32 s7, 0x7f
	v_and_b32_e32 v12, 0x7f, v2
	v_cmp_ne_u32_e32 vcc, s7, v12
	v_mov_b32_e32 v11, 0x7f800001
	s_and_saveexec_b64 s[10:11], vcc
	s_cbranch_execz .LBB605_745
; %bb.744:
	v_and_b32_e32 v11, 7, v2
	v_ffbh_u32_e32 v14, v11
	v_min_u32_e32 v16, 32, v14
	v_subrev_u32_e32 v14, 28, v16
	v_lshlrev_b64 v[14:15], v14, v[2:3]
	v_lshrrev_b32_e32 v13, 3, v12
	v_sub_u32_e32 v2, 29, v16
	v_and_b32_e32 v14, 7, v14
	v_cmp_gt_u32_e32 vcc, 8, v12
	v_cndmask_b32_e32 v2, v13, v2, vcc
	v_cndmask_b32_e32 v11, v11, v14, vcc
	v_lshlrev_b32_e32 v12, 16, v4
	v_bfrev_b32_e32 v13, 60
	v_lshlrev_b32_e32 v11, 20, v11
	v_and_b32_e32 v12, 0x80000000, v12
	v_lshl_add_u32 v2, v2, 23, v13
	v_or3_b32 v11, v12, v2, v11
.LBB605_745:
	s_or_b64 exec, exec, s[10:11]
.LBB605_746:
	s_or_b64 exec, exec, s[8:9]
.LBB605_747:
	s_or_b64 exec, exec, s[2:3]
	s_movk_i32 s2, 0xff
	v_and_b32_sdwa v12, v4, s2 dst_sel:DWORD dst_unused:UNUSED_PAD src0_sel:WORD_1 src1_sel:DWORD
	v_lshrrev_b32_e32 v2, 16, v4
	v_cmp_ne_u16_e32 vcc, 0, v12
	s_and_saveexec_b64 s[2:3], vcc
	s_cbranch_execz .LBB605_753
; %bb.748:
	s_movk_i32 s7, 0x80
	v_cmp_ne_u16_e32 vcc, s7, v12
	v_bfrev_b32_e32 v3, 1
	s_and_saveexec_b64 s[8:9], vcc
	s_cbranch_execz .LBB605_752
; %bb.749:
	v_bfe_u32 v12, v4, 16, 7
	s_movk_i32 s7, 0x7f
	v_cmp_ne_u32_e32 vcc, s7, v12
	v_mov_b32_e32 v3, 0x7f800001
	s_and_saveexec_b64 s[10:11], vcc
	s_cbranch_execz .LBB605_751
; %bb.750:
	v_and_b32_e32 v13, 7, v2
	v_ffbh_u32_e32 v3, v13
	v_min_u32_e32 v15, 32, v3
	v_subrev_u32_e32 v3, 28, v15
	v_lshlrev_b64 v[2:3], v3, v[2:3]
	v_lshrrev_b32_e32 v14, 3, v12
	v_sub_u32_e32 v3, 29, v15
	v_and_b32_e32 v2, 7, v2
	v_cmp_gt_u32_e32 vcc, 8, v12
	v_mov_b32_e32 v12, 24
	v_cndmask_b32_e32 v3, v14, v3, vcc
	v_cndmask_b32_e32 v2, v13, v2, vcc
	v_lshlrev_b32_sdwa v12, v12, v4 dst_sel:DWORD dst_unused:UNUSED_PAD src0_sel:DWORD src1_sel:WORD_1
	v_bfrev_b32_e32 v13, 60
	v_lshlrev_b32_e32 v2, 20, v2
	v_and_b32_e32 v12, 0x80000000, v12
	v_lshl_add_u32 v3, v3, 23, v13
	v_or3_b32 v3, v12, v3, v2
.LBB605_751:
	s_or_b64 exec, exec, s[10:11]
.LBB605_752:
	s_or_b64 exec, exec, s[8:9]
.LBB605_753:
	s_or_b64 exec, exec, s[2:3]
	s_mov_b32 s2, 0xffffff
	v_cmp_lt_u32_e32 vcc, s2, v4
	v_mov_b32_e32 v12, 0
	v_mov_b32_e32 v13, 0
	s_and_saveexec_b64 s[2:3], vcc
	s_cbranch_execz .LBB605_759
; %bb.754:
	v_lshrrev_b32_e32 v2, 24, v4
	s_movk_i32 s7, 0x80
	v_cmp_ne_u32_e32 vcc, s7, v2
	v_bfrev_b32_e32 v13, 1
	s_and_saveexec_b64 s[8:9], vcc
	s_cbranch_execz .LBB605_758
; %bb.755:
	v_bfe_u32 v4, v4, 24, 7
	s_movk_i32 s7, 0x7f
	v_cmp_ne_u32_e32 vcc, s7, v4
	v_mov_b32_e32 v13, 0x7f800001
	s_and_saveexec_b64 s[10:11], vcc
	s_cbranch_execz .LBB605_757
; %bb.756:
	v_and_b32_e32 v13, 7, v2
	v_ffbh_u32_e32 v14, v13
	v_min_u32_e32 v17, 32, v14
	v_subrev_u32_e32 v14, 28, v17
	v_lshlrev_b64 v[14:15], v14, v[2:3]
	v_lshrrev_b32_e32 v16, 3, v4
	v_sub_u32_e32 v15, 29, v17
	v_and_b32_e32 v14, 7, v14
	v_cmp_gt_u32_e32 vcc, 8, v4
	v_cndmask_b32_e32 v4, v16, v15, vcc
	v_cndmask_b32_e32 v13, v13, v14, vcc
	v_lshlrev_b32_e32 v2, 24, v2
	v_bfrev_b32_e32 v14, 60
	v_lshlrev_b32_e32 v13, 20, v13
	v_and_b32_e32 v2, 0x80000000, v2
	v_lshl_add_u32 v4, v4, 23, v14
	v_or3_b32 v13, v2, v4, v13
.LBB605_757:
	s_or_b64 exec, exec, s[10:11]
.LBB605_758:
	s_or_b64 exec, exec, s[8:9]
.LBB605_759:
	s_or_b64 exec, exec, s[2:3]
	v_cmp_ne_u16_sdwa s[8:9], v5, v12 src0_sel:BYTE_0 src1_sel:DWORD
	s_and_saveexec_b64 s[2:3], s[8:9]
	s_cbranch_execz .LBB605_765
; %bb.760:
	s_movk_i32 s7, 0x80
	v_cmp_ne_u16_sdwa s[10:11], v5, s7 src0_sel:BYTE_0 src1_sel:DWORD
	v_bfrev_b32_e32 v12, 1
	s_and_saveexec_b64 s[8:9], s[10:11]
	s_cbranch_execz .LBB605_764
; %bb.761:
	s_movk_i32 s7, 0x7f
	v_and_b32_e32 v2, 0x7f, v5
	v_cmp_ne_u32_e32 vcc, s7, v2
	v_mov_b32_e32 v12, 0x7f800001
	s_and_saveexec_b64 s[10:11], vcc
	s_cbranch_execz .LBB605_763
; %bb.762:
	v_and_b32_e32 v12, 7, v5
	v_ffbh_u32_e32 v14, v12
	v_min_u32_e32 v17, 32, v14
	v_mov_b32_e32 v4, v5
	v_subrev_u32_e32 v14, 28, v17
	v_lshlrev_b64 v[14:15], v14, v[4:5]
	v_lshrrev_b32_e32 v16, 3, v2
	v_sub_u32_e32 v4, 29, v17
	v_and_b32_e32 v14, 7, v14
	v_cmp_gt_u32_e32 vcc, 8, v2
	v_cndmask_b32_e32 v2, v16, v4, vcc
	v_cndmask_b32_e32 v4, v12, v14, vcc
	v_lshlrev_b32_e32 v12, 24, v5
	v_bfrev_b32_e32 v14, 60
	v_lshlrev_b32_e32 v4, 20, v4
	v_and_b32_e32 v12, 0x80000000, v12
	v_lshl_add_u32 v2, v2, 23, v14
	v_or3_b32 v12, v12, v2, v4
.LBB605_763:
	s_or_b64 exec, exec, s[10:11]
.LBB605_764:
	s_or_b64 exec, exec, s[8:9]
.LBB605_765:
	s_or_b64 exec, exec, s[2:3]
	v_lshrrev_b16_e32 v2, 8, v5
	v_cmp_ne_u16_e32 vcc, 0, v2
	v_mov_b32_e32 v4, 0
	v_mov_b32_e32 v14, 0
	s_and_saveexec_b64 s[2:3], vcc
	s_cbranch_execz .LBB605_771
; %bb.766:
	s_movk_i32 s7, 0x80
	v_cmp_ne_u16_e32 vcc, s7, v2
	v_bfrev_b32_e32 v14, 1
	s_and_saveexec_b64 s[8:9], vcc
	s_cbranch_execz .LBB605_770
; %bb.767:
	s_movk_i32 s7, 0x7f
	v_and_b32_e32 v15, 0x7f, v2
	v_cmp_ne_u32_e32 vcc, s7, v15
	v_mov_b32_e32 v14, 0x7f800001
	s_and_saveexec_b64 s[10:11], vcc
	s_cbranch_execz .LBB605_769
; %bb.768:
	v_and_b32_e32 v14, 7, v2
	v_ffbh_u32_e32 v16, v14
	v_min_u32_e32 v19, 32, v16
	v_subrev_u32_e32 v16, 28, v19
	v_lshlrev_b64 v[16:17], v16, v[2:3]
	v_lshrrev_b32_e32 v18, 3, v15
	v_sub_u32_e32 v2, 29, v19
	v_and_b32_e32 v16, 7, v16
	v_cmp_gt_u32_e32 vcc, 8, v15
	v_cndmask_b32_e32 v2, v18, v2, vcc
	v_cndmask_b32_e32 v14, v14, v16, vcc
	v_lshlrev_b32_e32 v15, 16, v5
	v_bfrev_b32_e32 v16, 60
	v_lshlrev_b32_e32 v14, 20, v14
	v_and_b32_e32 v15, 0x80000000, v15
	v_lshl_add_u32 v2, v2, 23, v16
	v_or3_b32 v14, v15, v2, v14
.LBB605_769:
	s_or_b64 exec, exec, s[10:11]
.LBB605_770:
	s_or_b64 exec, exec, s[8:9]
.LBB605_771:
	s_or_b64 exec, exec, s[2:3]
	s_movk_i32 s2, 0xff
	v_and_b32_sdwa v15, v5, s2 dst_sel:DWORD dst_unused:UNUSED_PAD src0_sel:WORD_1 src1_sel:DWORD
	v_lshrrev_b32_e32 v2, 16, v5
	v_cmp_ne_u16_e32 vcc, 0, v15
	s_and_saveexec_b64 s[2:3], vcc
	s_cbranch_execz .LBB605_777
; %bb.772:
	s_movk_i32 s7, 0x80
	v_cmp_ne_u16_e32 vcc, s7, v15
	v_bfrev_b32_e32 v4, 1
	s_and_saveexec_b64 s[8:9], vcc
	s_cbranch_execz .LBB605_776
; %bb.773:
	v_bfe_u32 v15, v5, 16, 7
	s_movk_i32 s7, 0x7f
	v_cmp_ne_u32_e32 vcc, s7, v15
	v_mov_b32_e32 v4, 0x7f800001
	s_and_saveexec_b64 s[10:11], vcc
	s_cbranch_execz .LBB605_775
; %bb.774:
	v_and_b32_e32 v4, 7, v2
	v_ffbh_u32_e32 v16, v4
	v_min_u32_e32 v19, 32, v16
	v_subrev_u32_e32 v16, 28, v19
	v_lshlrev_b64 v[16:17], v16, v[2:3]
	v_lshrrev_b32_e32 v18, 3, v15
	v_sub_u32_e32 v2, 29, v19
	v_and_b32_e32 v16, 7, v16
	v_cmp_gt_u32_e32 vcc, 8, v15
	v_mov_b32_e32 v15, 24
	v_cndmask_b32_e32 v2, v18, v2, vcc
	v_cndmask_b32_e32 v4, v4, v16, vcc
	v_lshlrev_b32_sdwa v15, v15, v5 dst_sel:DWORD dst_unused:UNUSED_PAD src0_sel:DWORD src1_sel:WORD_1
	v_bfrev_b32_e32 v16, 60
	v_lshlrev_b32_e32 v4, 20, v4
	v_and_b32_e32 v15, 0x80000000, v15
	v_lshl_add_u32 v2, v2, 23, v16
	v_or3_b32 v4, v15, v2, v4
.LBB605_775:
	s_or_b64 exec, exec, s[10:11]
.LBB605_776:
	s_or_b64 exec, exec, s[8:9]
.LBB605_777:
	s_or_b64 exec, exec, s[2:3]
	s_mov_b32 s2, 0xffffff
	v_cmp_lt_u32_e32 vcc, s2, v5
	v_mov_b32_e32 v15, 0
	s_and_saveexec_b64 s[2:3], vcc
	s_cbranch_execz .LBB605_783
; %bb.778:
	v_lshrrev_b32_e32 v2, 24, v5
	s_movk_i32 s7, 0x80
	v_cmp_ne_u32_e32 vcc, s7, v2
	v_bfrev_b32_e32 v15, 1
	s_and_saveexec_b64 s[8:9], vcc
	s_cbranch_execz .LBB605_782
; %bb.779:
	v_bfe_u32 v5, v5, 24, 7
	s_movk_i32 s7, 0x7f
	v_cmp_ne_u32_e32 vcc, s7, v5
	v_mov_b32_e32 v15, 0x7f800001
	s_and_saveexec_b64 s[10:11], vcc
	s_cbranch_execz .LBB605_781
; %bb.780:
	v_and_b32_e32 v15, 7, v2
	v_ffbh_u32_e32 v16, v15
	v_min_u32_e32 v19, 32, v16
	v_subrev_u32_e32 v16, 28, v19
	v_lshlrev_b64 v[16:17], v16, v[2:3]
	v_lshrrev_b32_e32 v18, 3, v5
	v_sub_u32_e32 v17, 29, v19
	v_and_b32_e32 v16, 7, v16
	v_cmp_gt_u32_e32 vcc, 8, v5
	v_cndmask_b32_e32 v5, v18, v17, vcc
	v_cndmask_b32_e32 v15, v15, v16, vcc
	v_lshlrev_b32_e32 v2, 24, v2
	v_bfrev_b32_e32 v16, 60
	v_lshlrev_b32_e32 v15, 20, v15
	v_and_b32_e32 v2, 0x80000000, v2
	v_lshl_add_u32 v5, v5, 23, v16
	v_or3_b32 v15, v2, v5, v15
.LBB605_781:
	s_or_b64 exec, exec, s[10:11]
.LBB605_782:
	s_or_b64 exec, exec, s[8:9]
.LBB605_783:
	s_or_b64 exec, exec, s[2:3]
	v_cvt_pkrtz_f16_f32 v2, v10, v11
	v_cvt_pkrtz_f16_f32 v3, v3, v13
	ds_read_b128 v[16:19], v48 offset:6160
	s_load_dword s2, s[42:43], 0x0
	v_cmp_gt_u32_e32 vcc, 64, v0
	s_waitcnt lgkmcnt(0)
	v_mfma_f32_16x16x16f16 v[6:9], v[2:3], v[16:17], v[6:9]
	v_cvt_pkrtz_f16_f32 v2, v12, v14
	v_cvt_pkrtz_f16_f32 v3, v4, v15
	s_and_b64 s[0:1], vcc, s[0:1]
	s_barrier
	v_mfma_f32_16x16x16f16 v[2:5], v[2:3], v[18:19], v[6:9]
	s_nop 7
	s_nop 2
	v_pk_mul_f32 v[4:5], v[4:5], s[2:3] op_sel_hi:[1,0]
	v_pk_mul_f32 v[2:3], v[2:3], s[2:3] op_sel_hi:[1,0]
	v_cvt_f16_f32_e32 v2, v2
	v_cvt_f16_f32_e32 v3, v3
	;; [unrolled: 1-line block ×4, first 2 shown]
	v_pack_b32_f16 v2, v2, v3
	v_pack_b32_f16 v3, v4, v5
	ds_write_b64 v28, v[2:3]
	s_waitcnt lgkmcnt(0)
	s_barrier
	s_and_saveexec_b64 s[2:3], s[0:1]
	s_cbranch_execz .LBB605_785
; %bb.784:
	s_load_dwordx2 s[0:1], s[4:5], 0x68
	s_lshl_b32 s4, s44, 6
	s_mul_i32 s2, s12, s6
	s_mul_hi_u32 s3, s2, s4
	s_mul_i32 s2, s2, s4
	s_lshl_b64 s[2:3], s[2:3], 1
	s_waitcnt lgkmcnt(0)
	s_add_u32 s2, s0, s2
	s_addc_u32 s3, s1, s3
	s_lshl_b32 s0, s24, 6
	s_mov_b32 s1, 0
	v_lshlrev_b32_e32 v0, 10, v0
	s_lshl_b64 s[0:1], s[0:1], 1
	v_and_b32_e32 v0, 0x1800, v0
	v_lshlrev_b32_e32 v2, 5, v1
	v_and_b32_e32 v3, 16, v47
	s_add_u32 s0, s2, s0
	v_or3_b32 v0, v0, v2, v3
	s_addc_u32 s1, s3, s1
	ds_read_b128 v[2:5], v0
	ds_read_b128 v[6:9], v0 offset:128
	ds_read_b128 v[10:13], v0 offset:256
	;; [unrolled: 1-line block ×3, first 2 shown]
	v_mov_b32_e32 v0, s1
	v_add_co_u32_e32 v18, vcc, s0, v46
	v_or_b32_e32 v20, s25, v1
	v_addc_co_u32_e32 v19, vcc, 0, v0, vcc
	v_mad_u64_u32 v[0:1], s[0:1], v20, s4, 0
	v_lshlrev_b64 v[0:1], 1, v[0:1]
	v_add_co_u32_e32 v0, vcc, v18, v0
	v_addc_co_u32_e32 v1, vcc, v19, v1, vcc
	s_waitcnt lgkmcnt(3)
	global_store_dwordx4 v[0:1], v[2:5], off
	v_or_b32_e32 v0, 4, v20
	v_mad_u64_u32 v[0:1], s[0:1], v0, s4, 0
	v_lshlrev_b64 v[0:1], 1, v[0:1]
	v_add_co_u32_e32 v0, vcc, v18, v0
	v_addc_co_u32_e32 v1, vcc, v19, v1, vcc
	s_waitcnt lgkmcnt(2)
	global_store_dwordx4 v[0:1], v[6:9], off
	v_or_b32_e32 v0, 8, v20
	;; [unrolled: 7-line block ×3, first 2 shown]
	v_mad_u64_u32 v[0:1], s[0:1], v0, s4, 0
	v_lshlrev_b64 v[0:1], 1, v[0:1]
	v_add_co_u32_e32 v0, vcc, v18, v0
	v_addc_co_u32_e32 v1, vcc, v19, v1, vcc
	s_waitcnt lgkmcnt(0)
	global_store_dwordx4 v[0:1], v[14:17], off
.LBB605_785:
	s_endpgm
	.section	.rodata,"a",@progbits
	.p2align	6, 0x0
	.amdhsa_kernel _Z39paged_attention_ll4mi_QKV_mfma16_kernelIDF16_hLN4vllm18Fp8KVCacheDataTypeE1EDF16_Li32ELi64ELi256ELb0ELi16EL8MFMAType0EEvPKT_PKT0_S8_ifPKiSA_SA_iPKfiiiPfSD_PS3_PT2_iSC_SC_
		.amdhsa_group_segment_fixed_size 8192
		.amdhsa_private_segment_fixed_size 0
		.amdhsa_kernarg_size 400
		.amdhsa_user_sgpr_count 6
		.amdhsa_user_sgpr_private_segment_buffer 1
		.amdhsa_user_sgpr_dispatch_ptr 0
		.amdhsa_user_sgpr_queue_ptr 0
		.amdhsa_user_sgpr_kernarg_segment_ptr 1
		.amdhsa_user_sgpr_dispatch_id 0
		.amdhsa_user_sgpr_flat_scratch_init 0
		.amdhsa_user_sgpr_kernarg_preload_length 0
		.amdhsa_user_sgpr_kernarg_preload_offset 0
		.amdhsa_user_sgpr_private_segment_size 0
		.amdhsa_uses_dynamic_stack 0
		.amdhsa_system_sgpr_private_segment_wavefront_offset 0
		.amdhsa_system_sgpr_workgroup_id_x 1
		.amdhsa_system_sgpr_workgroup_id_y 1
		.amdhsa_system_sgpr_workgroup_id_z 1
		.amdhsa_system_sgpr_workgroup_info 0
		.amdhsa_system_vgpr_workitem_id 0
		.amdhsa_next_free_vgpr 63
		.amdhsa_next_free_sgpr 47
		.amdhsa_accum_offset 64
		.amdhsa_reserve_vcc 1
		.amdhsa_reserve_flat_scratch 0
		.amdhsa_float_round_mode_32 0
		.amdhsa_float_round_mode_16_64 0
		.amdhsa_float_denorm_mode_32 3
		.amdhsa_float_denorm_mode_16_64 3
		.amdhsa_dx10_clamp 1
		.amdhsa_ieee_mode 1
		.amdhsa_fp16_overflow 0
		.amdhsa_tg_split 0
		.amdhsa_exception_fp_ieee_invalid_op 0
		.amdhsa_exception_fp_denorm_src 0
		.amdhsa_exception_fp_ieee_div_zero 0
		.amdhsa_exception_fp_ieee_overflow 0
		.amdhsa_exception_fp_ieee_underflow 0
		.amdhsa_exception_fp_ieee_inexact 0
		.amdhsa_exception_int_div_zero 0
	.end_amdhsa_kernel
	.section	.text._Z39paged_attention_ll4mi_QKV_mfma16_kernelIDF16_hLN4vllm18Fp8KVCacheDataTypeE1EDF16_Li32ELi64ELi256ELb0ELi16EL8MFMAType0EEvPKT_PKT0_S8_ifPKiSA_SA_iPKfiiiPfSD_PS3_PT2_iSC_SC_,"axG",@progbits,_Z39paged_attention_ll4mi_QKV_mfma16_kernelIDF16_hLN4vllm18Fp8KVCacheDataTypeE1EDF16_Li32ELi64ELi256ELb0ELi16EL8MFMAType0EEvPKT_PKT0_S8_ifPKiSA_SA_iPKfiiiPfSD_PS3_PT2_iSC_SC_,comdat
.Lfunc_end605:
	.size	_Z39paged_attention_ll4mi_QKV_mfma16_kernelIDF16_hLN4vllm18Fp8KVCacheDataTypeE1EDF16_Li32ELi64ELi256ELb0ELi16EL8MFMAType0EEvPKT_PKT0_S8_ifPKiSA_SA_iPKfiiiPfSD_PS3_PT2_iSC_SC_, .Lfunc_end605-_Z39paged_attention_ll4mi_QKV_mfma16_kernelIDF16_hLN4vllm18Fp8KVCacheDataTypeE1EDF16_Li32ELi64ELi256ELb0ELi16EL8MFMAType0EEvPKT_PKT0_S8_ifPKiSA_SA_iPKfiiiPfSD_PS3_PT2_iSC_SC_
                                        ; -- End function
	.section	.AMDGPU.csdata,"",@progbits
; Kernel info:
; codeLenInByte = 27052
; NumSgprs: 51
; NumVgprs: 63
; NumAgprs: 0
; TotalNumVgprs: 63
; ScratchSize: 0
; MemoryBound: 0
; FloatMode: 240
; IeeeMode: 1
; LDSByteSize: 8192 bytes/workgroup (compile time only)
; SGPRBlocks: 6
; VGPRBlocks: 7
; NumSGPRsForWavesPerEU: 51
; NumVGPRsForWavesPerEU: 63
; AccumOffset: 64
; Occupancy: 8
; WaveLimiterHint : 1
; COMPUTE_PGM_RSRC2:SCRATCH_EN: 0
; COMPUTE_PGM_RSRC2:USER_SGPR: 6
; COMPUTE_PGM_RSRC2:TRAP_HANDLER: 0
; COMPUTE_PGM_RSRC2:TGID_X_EN: 1
; COMPUTE_PGM_RSRC2:TGID_Y_EN: 1
; COMPUTE_PGM_RSRC2:TGID_Z_EN: 1
; COMPUTE_PGM_RSRC2:TIDIG_COMP_CNT: 0
; COMPUTE_PGM_RSRC3_GFX90A:ACCUM_OFFSET: 15
; COMPUTE_PGM_RSRC3_GFX90A:TG_SPLIT: 0
	.section	.text._Z39paged_attention_ll4mi_QKV_mfma16_kernelIDF16_hLN4vllm18Fp8KVCacheDataTypeE1EDF16_Li32ELi64ELi256ELb0ELi1EL8MFMAType0EEvPKT_PKT0_S8_ifPKiSA_SA_iPKfiiiPfSD_PS3_PT2_iSC_SC_,"axG",@progbits,_Z39paged_attention_ll4mi_QKV_mfma16_kernelIDF16_hLN4vllm18Fp8KVCacheDataTypeE1EDF16_Li32ELi64ELi256ELb0ELi1EL8MFMAType0EEvPKT_PKT0_S8_ifPKiSA_SA_iPKfiiiPfSD_PS3_PT2_iSC_SC_,comdat
	.protected	_Z39paged_attention_ll4mi_QKV_mfma16_kernelIDF16_hLN4vllm18Fp8KVCacheDataTypeE1EDF16_Li32ELi64ELi256ELb0ELi1EL8MFMAType0EEvPKT_PKT0_S8_ifPKiSA_SA_iPKfiiiPfSD_PS3_PT2_iSC_SC_ ; -- Begin function _Z39paged_attention_ll4mi_QKV_mfma16_kernelIDF16_hLN4vllm18Fp8KVCacheDataTypeE1EDF16_Li32ELi64ELi256ELb0ELi1EL8MFMAType0EEvPKT_PKT0_S8_ifPKiSA_SA_iPKfiiiPfSD_PS3_PT2_iSC_SC_
	.globl	_Z39paged_attention_ll4mi_QKV_mfma16_kernelIDF16_hLN4vllm18Fp8KVCacheDataTypeE1EDF16_Li32ELi64ELi256ELb0ELi1EL8MFMAType0EEvPKT_PKT0_S8_ifPKiSA_SA_iPKfiiiPfSD_PS3_PT2_iSC_SC_
	.p2align	8
	.type	_Z39paged_attention_ll4mi_QKV_mfma16_kernelIDF16_hLN4vllm18Fp8KVCacheDataTypeE1EDF16_Li32ELi64ELi256ELb0ELi1EL8MFMAType0EEvPKT_PKT0_S8_ifPKiSA_SA_iPKfiiiPfSD_PS3_PT2_iSC_SC_,@function
_Z39paged_attention_ll4mi_QKV_mfma16_kernelIDF16_hLN4vllm18Fp8KVCacheDataTypeE1EDF16_Li32ELi64ELi256ELb0ELi1EL8MFMAType0EEvPKT_PKT0_S8_ifPKiSA_SA_iPKfiiiPfSD_PS3_PT2_iSC_SC_: ; @_Z39paged_attention_ll4mi_QKV_mfma16_kernelIDF16_hLN4vllm18Fp8KVCacheDataTypeE1EDF16_Li32ELi64ELi256ELb0ELi1EL8MFMAType0EEvPKT_PKT0_S8_ifPKiSA_SA_iPKfiiiPfSD_PS3_PT2_iSC_SC_
; %bb.0:
	s_load_dwordx2 s[0:1], s[4:5], 0x30
	s_mov_b32 s9, s7
	s_mov_b64 s[10:11], 0
	s_waitcnt lgkmcnt(0)
	s_cmp_lg_u64 s[0:1], 0
	s_cselect_b64 s[2:3], -1, 0
	s_and_b64 vcc, exec, s[2:3]
	s_cbranch_vccz .LBB606_7
; %bb.1:
	s_add_i32 s12, s6, 1
	s_mov_b32 s13, 0
	s_lshl_b64 s[14:15], s[12:13], 2
	s_add_u32 s14, s0, s14
	s_mov_b32 s7, s13
	s_addc_u32 s15, s1, s15
	s_lshl_b64 s[12:13], s[6:7], 2
	s_add_u32 s12, s0, s12
	s_addc_u32 s13, s1, s13
	s_load_dword s16, s[14:15], 0x0
	s_load_dword s17, s[12:13], 0x0
	s_waitcnt lgkmcnt(0)
	s_sub_i32 s12, s16, s17
	s_cmp_eq_u32 s12, 1
	s_cselect_b64 s[12:13], -1, 0
	s_andn2_b64 vcc, exec, s[10:11]
	s_cbranch_vccnz .LBB606_3
.LBB606_2:
	s_mov_b32 s7, 0
	s_mov_b64 s[12:13], -1
.LBB606_3:
	s_andn2_b64 vcc, exec, s[12:13]
	s_cbranch_vccnz .LBB606_785
; %bb.4:
	s_load_dwordx2 s[12:13], s[4:5], 0x28
	s_lshl_b64 s[10:11], s[6:7], 2
	s_waitcnt lgkmcnt(0)
	s_add_u32 s12, s12, s10
	s_addc_u32 s13, s13, s11
	s_load_dword s33, s[12:13], 0x0
	s_lshl_b32 s20, s9, 8
	s_waitcnt lgkmcnt(0)
	s_cmp_ge_i32 s20, s33
	s_cbranch_scc1 .LBB606_785
; %bb.5:
	s_add_i32 s15, s33, 31
	s_load_dwordx2 s[12:13], s[4:5], 0x20
	s_load_dword s14, s[4:5], 0x38
	s_ashr_i32 s16, s15, 31
	v_and_b32_e32 v1, 0xcf, v0
	s_lshr_b32 s16, s16, 27
	v_add_u32_e32 v1, s20, v1
	s_add_i32 s15, s15, s16
	v_ashrrev_i32_e32 v2, 31, v1
	s_ashr_i32 s23, s15, 5
	v_lshrrev_b32_e32 v4, 27, v2
	s_add_i32 s23, s23, -1
	v_add_u32_e32 v2, v1, v4
	s_waitcnt lgkmcnt(0)
	s_mul_i32 s14, s6, s14
	s_mov_b32 s15, 0
	v_ashrrev_i32_e32 v2, 5, v2
	v_mov_b32_e32 v5, s23
	v_cmp_gt_i32_e32 vcc, s33, v1
	s_lshl_b64 s[14:15], s[14:15], 2
	v_cndmask_b32_e32 v2, v5, v2, vcc
	s_add_u32 s21, s12, s14
	v_ashrrev_i32_e32 v3, 31, v2
	s_addc_u32 s22, s13, s15
	v_lshlrev_b64 v[2:3], 2, v[2:3]
	v_mov_b32_e32 v7, s22
	v_add_co_u32_e32 v6, vcc, s21, v2
	v_or_b32_e32 v2, 16, v1
	v_addc_co_u32_e32 v7, vcc, v7, v3, vcc
	v_add_u32_e32 v3, v2, v4
	v_ashrrev_i32_e32 v3, 5, v3
	v_cmp_gt_i32_e32 vcc, s33, v2
	v_cndmask_b32_e32 v2, v5, v3, vcc
	v_ashrrev_i32_e32 v3, 31, v2
	v_lshlrev_b64 v[2:3], 2, v[2:3]
	v_mov_b32_e32 v9, s22
	v_add_co_u32_e32 v8, vcc, s21, v2
	v_or_b32_e32 v2, 32, v1
	v_addc_co_u32_e32 v9, vcc, v9, v3, vcc
	v_add_u32_e32 v3, v2, v4
	v_ashrrev_i32_e32 v3, 5, v3
	v_cmp_gt_i32_e32 vcc, s33, v2
	v_cndmask_b32_e32 v2, v5, v3, vcc
	v_ashrrev_i32_e32 v3, 31, v2
	;; [unrolled: 10-line block ×3, first 2 shown]
	v_lshlrev_b64 v[2:3], 2, v[2:3]
	v_mov_b32_e32 v1, s22
	v_add_co_u32_e32 v12, vcc, s21, v2
	v_addc_co_u32_e32 v13, vcc, v1, v3, vcc
	global_load_dword v5, v[6:7], off
	global_load_dword v4, v[8:9], off
	;; [unrolled: 1-line block ×4, first 2 shown]
	s_load_dwordx4 s[12:15], s[4:5], 0x8
	s_andn2_b64 vcc, exec, s[2:3]
	s_cbranch_vccnz .LBB606_8
; %bb.6:
	s_add_u32 s0, s0, s10
	s_addc_u32 s1, s1, s11
	s_load_dword s10, s[0:1], 0x0
	s_branch .LBB606_9
.LBB606_7:
	s_mov_b64 s[12:13], 0
	s_branch .LBB606_2
.LBB606_8:
	s_mov_b32 s10, s6
.LBB606_9:
	s_load_dwordx4 s[16:19], s[4:5], 0x48
	v_lshrrev_b32_e32 v49, 6, v0
	v_bfe_u32 v46, v0, 4, 2
	v_lshl_or_b32 v1, v49, 2, v46
	v_and_b32_e32 v50, 15, v0
	v_lshlrev_b32_e32 v6, 3, v50
	v_cmp_eq_u32_e32 vcc, 0, v1
	v_cmp_gt_u32_e64 s[0:1], 8, v50
	s_and_b64 s[24:25], s[0:1], vcc
	v_lshlrev_b32_e32 v1, 1, v6
	v_lshlrev_b32_e32 v47, 4, v0
	s_and_saveexec_b64 s[2:3], s[24:25]
	s_cbranch_execz .LBB606_11
; %bb.10:
	s_load_dwordx2 s[24:25], s[4:5], 0x0
	s_waitcnt lgkmcnt(0)
	s_ashr_i32 s11, s16, 31
	s_mul_hi_u32 s19, s10, s16
	s_mul_i32 s11, s10, s11
	s_add_i32 s11, s19, s11
	s_mul_i32 s10, s10, s16
	s_lshl_b64 s[10:11], s[10:11], 1
	s_add_u32 s16, s24, s10
	s_addc_u32 s19, s25, s11
	s_lshl_b32 s10, s8, 6
	s_ashr_i32 s11, s10, 31
	s_lshl_b64 s[10:11], s[10:11], 1
	s_add_u32 s10, s16, s10
	s_addc_u32 s11, s19, s11
	global_load_dwordx4 v[6:9], v1, s[10:11]
	v_lshlrev_b32_e32 v10, 8, v50
	v_and_b32_e32 v11, 16, v47
	s_movk_i32 s10, 0xe00
	v_and_or_b32 v10, v10, s10, v11
	s_waitcnt vmcnt(0)
	ds_write_b128 v10, v[6:9]
.LBB606_11:
	s_or_b64 exec, exec, s[2:3]
	s_waitcnt lgkmcnt(0)
	s_mul_i32 s10, s8, s18
	s_add_u32 s2, s12, s10
	s_addc_u32 s3, s13, 0
	v_and_b32_e32 v12, 48, v0
	s_ashr_i32 s11, s20, 31
	v_or_b32_e32 v13, s20, v12
	s_lshr_b32 s11, s11, 27
	v_add_u32_e32 v6, s11, v13
	v_ashrrev_i32_e32 v6, 5, v6
	v_mov_b32_e32 v14, s23
	v_cmp_gt_i32_e32 vcc, s33, v13
	v_cndmask_b32_e32 v6, v14, v6, vcc
	v_ashrrev_i32_e32 v7, 31, v6
	v_lshlrev_b64 v[6:7], 2, v[6:7]
	v_mov_b32_e32 v8, s22
	v_add_co_u32_e32 v6, vcc, s21, v6
	v_addc_co_u32_e32 v7, vcc, v8, v7, vcc
	v_or_b32_e32 v8, 64, v13
	v_add_u32_e32 v9, s11, v8
	v_ashrrev_i32_e32 v9, 5, v9
	v_cmp_gt_i32_e32 vcc, s33, v8
	v_cndmask_b32_e32 v8, v14, v9, vcc
	v_ashrrev_i32_e32 v9, 31, v8
	v_lshlrev_b64 v[8:9], 2, v[8:9]
	v_mov_b32_e32 v10, s22
	v_add_co_u32_e32 v8, vcc, s21, v8
	v_addc_co_u32_e32 v9, vcc, v10, v9, vcc
	v_or_b32_e32 v10, 0x80, v13
	v_add_u32_e32 v11, s11, v10
	v_ashrrev_i32_e32 v11, 5, v11
	v_cmp_gt_i32_e32 vcc, s33, v10
	v_cndmask_b32_e32 v10, v14, v11, vcc
	v_ashrrev_i32_e32 v11, 31, v10
	v_lshlrev_b64 v[10:11], 2, v[10:11]
	v_mov_b32_e32 v15, s22
	v_add_co_u32_e32 v10, vcc, s21, v10
	s_load_dwordx2 s[44:45], s[4:5], 0x94
	s_load_dwordx4 s[40:43], s[4:5], 0x80
	s_waitcnt lgkmcnt(0)
	s_barrier
	v_addc_co_u32_e32 v11, vcc, v15, v11, vcc
	global_load_dword v15, v[6:7], off
	global_load_dword v16, v[8:9], off
	;; [unrolled: 1-line block ×3, first 2 shown]
	v_or_b32_e32 v6, 0xc0, v13
	v_add_u32_e32 v7, s11, v6
	v_ashrrev_i32_e32 v7, 5, v7
	v_cmp_gt_i32_e32 vcc, s33, v6
	v_cndmask_b32_e32 v6, v14, v7, vcc
	v_ashrrev_i32_e32 v7, 31, v6
	v_lshlrev_b64 v[6:7], 2, v[6:7]
	v_mov_b32_e32 v8, s22
	v_add_co_u32_e32 v6, vcc, s21, v6
	v_addc_co_u32_e32 v7, vcc, v8, v7, vcc
	global_load_dword v20, v[6:7], off
	v_pk_mov_b32 v[6:7], s[2:3], s[2:3] op_sel:[0,1]
	s_waitcnt vmcnt(7)
	v_mad_i64_i32 v[8:9], s[2:3], v5, s17, v[6:7]
	v_lshlrev_b32_e32 v11, 4, v50
	v_add_co_u32_e32 v5, vcc, v8, v11
	v_lshlrev_b32_e32 v10, 5, v12
	v_addc_co_u32_e32 v9, vcc, 0, v9, vcc
	v_add_co_u32_e32 v8, vcc, v5, v10
	v_addc_co_u32_e32 v9, vcc, 0, v9, vcc
	s_waitcnt vmcnt(6)
	v_mad_i64_i32 v[4:5], s[2:3], v4, s17, v[6:7]
	v_or_b32_e32 v12, 0x100, v11
	v_add_co_u32_e32 v4, vcc, v4, v12
	v_addc_co_u32_e32 v5, vcc, 0, v5, vcc
	v_add_co_u32_e32 v4, vcc, v4, v10
	v_addc_co_u32_e32 v5, vcc, 0, v5, vcc
	global_load_dwordx4 v[30:33], v[8:9], off
	global_load_dwordx4 v[38:41], v[4:5], off
	s_waitcnt vmcnt(7)
	v_mad_i64_i32 v[4:5], s[2:3], v3, s17, v[6:7]
	v_add_co_u32_e32 v3, vcc, v4, v11
	v_addc_co_u32_e32 v5, vcc, 0, v5, vcc
	v_add_co_u32_e32 v4, vcc, v3, v10
	v_addc_co_u32_e32 v5, vcc, 0, v5, vcc
	s_waitcnt vmcnt(6)
	v_mad_i64_i32 v[2:3], s[2:3], v2, s17, v[6:7]
	v_add_co_u32_e32 v2, vcc, v2, v12
	v_addc_co_u32_e32 v3, vcc, 0, v3, vcc
	v_add_co_u32_e32 v2, vcc, v2, v10
	s_add_u32 s2, s14, s10
	v_addc_co_u32_e32 v3, vcc, 0, v3, vcc
	global_load_dwordx4 v[34:37], v[4:5], off
	global_load_dwordx4 v[22:25], v[2:3], off
	s_addc_u32 s3, s15, 0
	v_and_b32_e32 v2, 16, v0
	v_mov_b32_e32 v3, s3
	v_add_co_u32_e32 v2, vcc, s2, v2
	v_lshlrev_b32_e32 v48, 5, v50
	v_addc_co_u32_e32 v3, vcc, 0, v3, vcc
	v_lshl_or_b32 v4, v49, 9, v48
	v_add_co_u32_e32 v2, vcc, v2, v4
	v_addc_co_u32_e32 v3, vcc, 0, v3, vcc
	v_mov_b32_e32 v43, 0
	s_movk_i32 s10, 0x80
	v_mov_b32_e32 v44, 0
	s_waitcnt vmcnt(7)
	v_mad_i64_i32 v[4:5], s[2:3], v15, s17, v[2:3]
	s_waitcnt vmcnt(6)
	v_mad_i64_i32 v[6:7], s[2:3], v16, s17, v[2:3]
	;; [unrolled: 2-line block ×3, first 2 shown]
	global_load_dwordx4 v[14:17], v[4:5], off
	global_load_dwordx4 v[10:13], v[6:7], off
	s_waitcnt vmcnt(6)
	v_mad_i64_i32 v[20:21], s[2:3], v20, s17, v[2:3]
	global_load_dwordx4 v[6:9], v[18:19], off
	global_load_dwordx4 v[2:5], v[20:21], off
	v_lshlrev_b32_e32 v18, 9, v46
	ds_read_b128 v[26:29], v18
	ds_read_b128 v[18:21], v18 offset:16
	s_load_dword s14, s[40:41], 0x0
	s_waitcnt vmcnt(7)
	v_cmp_ne_u16_sdwa s[12:13], v30, v43 src0_sel:BYTE_0 src1_sel:DWORD
	s_and_saveexec_b64 s[2:3], s[12:13]
	s_cbranch_execz .LBB606_17
; %bb.12:
	v_cmp_ne_u16_sdwa s[12:13], v30, s10 src0_sel:BYTE_0 src1_sel:DWORD
	v_bfrev_b32_e32 v44, 1
	s_and_saveexec_b64 s[10:11], s[12:13]
	s_cbranch_execz .LBB606_16
; %bb.13:
	s_movk_i32 s12, 0x7f
	v_and_b32_e32 v42, 0x7f, v30
	v_cmp_ne_u32_e32 vcc, s12, v42
	v_mov_b32_e32 v44, 0x7f800001
	s_and_saveexec_b64 s[12:13], vcc
	s_cbranch_execz .LBB606_15
; %bb.14:
	v_and_b32_e32 v51, 7, v30
	v_ffbh_u32_e32 v44, v51
	v_min_u32_e32 v53, 32, v44
	v_subrev_u32_e32 v44, 28, v53
	v_lshlrev_b64 v[44:45], v44, v[30:31]
	v_lshrrev_b32_e32 v52, 3, v42
	v_sub_u32_e32 v45, 29, v53
	v_and_b32_e32 v44, 7, v44
	v_cmp_gt_u32_e32 vcc, 8, v42
	v_cndmask_b32_e32 v42, v52, v45, vcc
	v_cndmask_b32_e32 v44, v51, v44, vcc
	v_lshlrev_b32_e32 v45, 24, v30
	v_bfrev_b32_e32 v51, 60
	v_lshlrev_b32_e32 v44, 20, v44
	v_and_b32_e32 v45, 0x80000000, v45
	v_lshl_add_u32 v42, v42, 23, v51
	v_or3_b32 v44, v45, v42, v44
.LBB606_15:
	s_or_b64 exec, exec, s[12:13]
.LBB606_16:
	s_or_b64 exec, exec, s[10:11]
.LBB606_17:
	s_or_b64 exec, exec, s[2:3]
	v_lshrrev_b16_e32 v42, 8, v30
	v_cmp_ne_u16_e32 vcc, 0, v42
	s_and_saveexec_b64 s[2:3], vcc
	s_cbranch_execz .LBB606_23
; %bb.18:
	s_movk_i32 s10, 0x80
	v_cmp_ne_u16_e32 vcc, s10, v42
	v_bfrev_b32_e32 v43, 1
	s_and_saveexec_b64 s[10:11], vcc
	s_cbranch_execz .LBB606_22
; %bb.19:
	s_movk_i32 s12, 0x7f
	v_and_b32_e32 v45, 0x7f, v42
	v_cmp_ne_u32_e32 vcc, s12, v45
	v_mov_b32_e32 v43, 0x7f800001
	s_and_saveexec_b64 s[12:13], vcc
	s_cbranch_execz .LBB606_21
; %bb.20:
	v_and_b32_e32 v51, 7, v42
	v_ffbh_u32_e32 v43, v51
	v_min_u32_e32 v53, 32, v43
	v_subrev_u32_e32 v43, 28, v53
	v_lshlrev_b64 v[42:43], v43, v[42:43]
	v_lshrrev_b32_e32 v52, 3, v45
	v_sub_u32_e32 v43, 29, v53
	v_and_b32_e32 v42, 7, v42
	v_cmp_gt_u32_e32 vcc, 8, v45
	v_cndmask_b32_e32 v43, v52, v43, vcc
	v_cndmask_b32_e32 v42, v51, v42, vcc
	v_lshlrev_b32_e32 v45, 16, v30
	v_bfrev_b32_e32 v51, 60
	v_lshlrev_b32_e32 v42, 20, v42
	v_and_b32_e32 v45, 0x80000000, v45
	v_lshl_add_u32 v43, v43, 23, v51
	v_or3_b32 v43, v45, v43, v42
.LBB606_21:
	s_or_b64 exec, exec, s[12:13]
.LBB606_22:
	s_or_b64 exec, exec, s[10:11]
.LBB606_23:
	s_or_b64 exec, exec, s[2:3]
	s_movk_i32 s2, 0xff
	v_and_b32_sdwa v52, v30, s2 dst_sel:DWORD dst_unused:UNUSED_PAD src0_sel:WORD_1 src1_sel:DWORD
	v_lshrrev_b32_e32 v42, 16, v30
	v_cmp_ne_u16_e32 vcc, 0, v52
	v_mov_b32_e32 v45, 0
	v_mov_b32_e32 v51, 0
	s_and_saveexec_b64 s[2:3], vcc
	s_cbranch_execz .LBB606_29
; %bb.24:
	s_movk_i32 s10, 0x80
	v_cmp_ne_u16_e32 vcc, s10, v52
	v_bfrev_b32_e32 v51, 1
	s_and_saveexec_b64 s[10:11], vcc
	s_cbranch_execz .LBB606_28
; %bb.25:
	v_bfe_u32 v52, v30, 16, 7
	s_movk_i32 s12, 0x7f
	v_cmp_ne_u32_e32 vcc, s12, v52
	v_mov_b32_e32 v51, 0x7f800001
	s_and_saveexec_b64 s[12:13], vcc
	s_cbranch_execz .LBB606_27
; %bb.26:
	v_and_b32_e32 v51, 7, v42
	v_ffbh_u32_e32 v54, v51
	v_min_u32_e32 v56, 32, v54
	v_subrev_u32_e32 v54, 28, v56
	v_lshlrev_b64 v[54:55], v54, v[42:43]
	v_lshrrev_b32_e32 v53, 3, v52
	v_sub_u32_e32 v42, 29, v56
	v_and_b32_e32 v54, 7, v54
	v_cmp_gt_u32_e32 vcc, 8, v52
	v_mov_b32_e32 v52, 24
	v_cndmask_b32_e32 v42, v53, v42, vcc
	v_cndmask_b32_e32 v51, v51, v54, vcc
	v_lshlrev_b32_sdwa v52, v52, v30 dst_sel:DWORD dst_unused:UNUSED_PAD src0_sel:DWORD src1_sel:WORD_1
	v_bfrev_b32_e32 v53, 60
	v_lshlrev_b32_e32 v51, 20, v51
	v_and_b32_e32 v52, 0x80000000, v52
	v_lshl_add_u32 v42, v42, 23, v53
	v_or3_b32 v51, v52, v42, v51
.LBB606_27:
	s_or_b64 exec, exec, s[12:13]
.LBB606_28:
	s_or_b64 exec, exec, s[10:11]
.LBB606_29:
	s_or_b64 exec, exec, s[2:3]
	s_mov_b32 s2, 0xffffff
	v_cmp_lt_u32_e32 vcc, s2, v30
	s_and_saveexec_b64 s[2:3], vcc
	s_cbranch_execz .LBB606_35
; %bb.30:
	v_lshrrev_b32_e32 v42, 24, v30
	s_movk_i32 s10, 0x80
	v_cmp_ne_u32_e32 vcc, s10, v42
	v_bfrev_b32_e32 v45, 1
	s_and_saveexec_b64 s[10:11], vcc
	s_cbranch_execz .LBB606_34
; %bb.31:
	v_bfe_u32 v30, v30, 24, 7
	s_movk_i32 s12, 0x7f
	v_cmp_ne_u32_e32 vcc, s12, v30
	v_mov_b32_e32 v45, 0x7f800001
	s_and_saveexec_b64 s[12:13], vcc
	s_cbranch_execz .LBB606_33
; %bb.32:
	v_and_b32_e32 v45, 7, v42
	v_ffbh_u32_e32 v52, v45
	v_min_u32_e32 v55, 32, v52
	v_subrev_u32_e32 v52, 28, v55
	v_lshlrev_b64 v[52:53], v52, v[42:43]
	v_lshrrev_b32_e32 v54, 3, v30
	v_sub_u32_e32 v53, 29, v55
	v_and_b32_e32 v52, 7, v52
	v_cmp_gt_u32_e32 vcc, 8, v30
	v_cndmask_b32_e32 v30, v54, v53, vcc
	v_cndmask_b32_e32 v45, v45, v52, vcc
	v_lshlrev_b32_e32 v42, 24, v42
	v_bfrev_b32_e32 v52, 60
	v_lshlrev_b32_e32 v45, 20, v45
	v_and_b32_e32 v42, 0x80000000, v42
	v_lshl_add_u32 v30, v30, 23, v52
	v_or3_b32 v45, v42, v30, v45
.LBB606_33:
	s_or_b64 exec, exec, s[12:13]
.LBB606_34:
	s_or_b64 exec, exec, s[10:11]
.LBB606_35:
	s_or_b64 exec, exec, s[2:3]
	v_mov_b32_e32 v42, 0
	v_cmp_ne_u16_sdwa s[10:11], v31, v42 src0_sel:BYTE_0 src1_sel:DWORD
	v_mov_b32_e32 v52, 0
	s_and_saveexec_b64 s[2:3], s[10:11]
	s_cbranch_execz .LBB606_41
; %bb.36:
	s_movk_i32 s10, 0x80
	v_cmp_ne_u16_sdwa s[12:13], v31, s10 src0_sel:BYTE_0 src1_sel:DWORD
	v_bfrev_b32_e32 v52, 1
	s_and_saveexec_b64 s[10:11], s[12:13]
	s_cbranch_execz .LBB606_40
; %bb.37:
	s_movk_i32 s12, 0x7f
	v_and_b32_e32 v30, 0x7f, v31
	v_cmp_ne_u32_e32 vcc, s12, v30
	v_mov_b32_e32 v52, 0x7f800001
	s_and_saveexec_b64 s[12:13], vcc
	s_cbranch_execz .LBB606_39
; %bb.38:
	v_and_b32_e32 v54, 7, v31
	v_ffbh_u32_e32 v53, v54
	v_min_u32_e32 v56, 32, v53
	v_mov_b32_e32 v52, v31
	v_subrev_u32_e32 v53, 28, v56
	v_lshlrev_b64 v[52:53], v53, v[52:53]
	v_lshrrev_b32_e32 v55, 3, v30
	v_sub_u32_e32 v53, 29, v56
	v_and_b32_e32 v52, 7, v52
	v_cmp_gt_u32_e32 vcc, 8, v30
	v_cndmask_b32_e32 v30, v55, v53, vcc
	v_cndmask_b32_e32 v52, v54, v52, vcc
	v_lshlrev_b32_e32 v53, 24, v31
	v_bfrev_b32_e32 v54, 60
	v_lshlrev_b32_e32 v52, 20, v52
	v_and_b32_e32 v53, 0x80000000, v53
	v_lshl_add_u32 v30, v30, 23, v54
	v_or3_b32 v52, v53, v30, v52
.LBB606_39:
	s_or_b64 exec, exec, s[12:13]
.LBB606_40:
	s_or_b64 exec, exec, s[10:11]
.LBB606_41:
	s_or_b64 exec, exec, s[2:3]
	v_lshrrev_b16_e32 v30, 8, v31
	v_cmp_ne_u16_e32 vcc, 0, v30
	s_and_saveexec_b64 s[2:3], vcc
	s_cbranch_execz .LBB606_47
; %bb.42:
	s_movk_i32 s10, 0x80
	v_cmp_ne_u16_e32 vcc, s10, v30
	v_bfrev_b32_e32 v42, 1
	s_and_saveexec_b64 s[10:11], vcc
	s_cbranch_execz .LBB606_46
; %bb.43:
	s_movk_i32 s12, 0x7f
	v_and_b32_e32 v53, 0x7f, v30
	v_cmp_ne_u32_e32 vcc, s12, v53
	v_mov_b32_e32 v42, 0x7f800001
	s_and_saveexec_b64 s[12:13], vcc
	s_cbranch_execz .LBB606_45
; %bb.44:
	v_and_b32_e32 v42, 7, v30
	v_ffbh_u32_e32 v54, v42
	v_min_u32_e32 v57, 32, v54
	v_subrev_u32_e32 v54, 28, v57
	v_lshlrev_b64 v[54:55], v54, v[30:31]
	v_lshrrev_b32_e32 v56, 3, v53
	v_sub_u32_e32 v30, 29, v57
	v_and_b32_e32 v54, 7, v54
	v_cmp_gt_u32_e32 vcc, 8, v53
	v_cndmask_b32_e32 v30, v56, v30, vcc
	v_cndmask_b32_e32 v42, v42, v54, vcc
	v_lshlrev_b32_e32 v53, 16, v31
	v_bfrev_b32_e32 v54, 60
	v_lshlrev_b32_e32 v42, 20, v42
	v_and_b32_e32 v53, 0x80000000, v53
	v_lshl_add_u32 v30, v30, 23, v54
	v_or3_b32 v42, v53, v30, v42
.LBB606_45:
	s_or_b64 exec, exec, s[12:13]
.LBB606_46:
	s_or_b64 exec, exec, s[10:11]
.LBB606_47:
	s_or_b64 exec, exec, s[2:3]
	s_movk_i32 s2, 0xff
	v_and_b32_sdwa v55, v31, s2 dst_sel:DWORD dst_unused:UNUSED_PAD src0_sel:WORD_1 src1_sel:DWORD
	v_lshrrev_b32_e32 v30, 16, v31
	v_cmp_ne_u16_e32 vcc, 0, v55
	v_mov_b32_e32 v53, 0
	v_mov_b32_e32 v54, 0
	s_and_saveexec_b64 s[2:3], vcc
	s_cbranch_execz .LBB606_53
; %bb.48:
	s_movk_i32 s10, 0x80
	v_cmp_ne_u16_e32 vcc, s10, v55
	v_bfrev_b32_e32 v54, 1
	s_and_saveexec_b64 s[10:11], vcc
	s_cbranch_execz .LBB606_52
; %bb.49:
	v_bfe_u32 v55, v31, 16, 7
	s_movk_i32 s12, 0x7f
	v_cmp_ne_u32_e32 vcc, s12, v55
	v_mov_b32_e32 v54, 0x7f800001
	s_and_saveexec_b64 s[12:13], vcc
	s_cbranch_execz .LBB606_51
; %bb.50:
	v_and_b32_e32 v54, 7, v30
	v_ffbh_u32_e32 v56, v54
	v_min_u32_e32 v59, 32, v56
	v_subrev_u32_e32 v56, 28, v59
	v_lshlrev_b64 v[56:57], v56, v[30:31]
	v_lshrrev_b32_e32 v58, 3, v55
	v_sub_u32_e32 v30, 29, v59
	v_and_b32_e32 v56, 7, v56
	v_cmp_gt_u32_e32 vcc, 8, v55
	v_mov_b32_e32 v55, 24
	v_cndmask_b32_e32 v30, v58, v30, vcc
	v_cndmask_b32_e32 v54, v54, v56, vcc
	v_lshlrev_b32_sdwa v55, v55, v31 dst_sel:DWORD dst_unused:UNUSED_PAD src0_sel:DWORD src1_sel:WORD_1
	v_bfrev_b32_e32 v56, 60
	v_lshlrev_b32_e32 v54, 20, v54
	v_and_b32_e32 v55, 0x80000000, v55
	v_lshl_add_u32 v30, v30, 23, v56
	v_or3_b32 v54, v55, v30, v54
.LBB606_51:
	s_or_b64 exec, exec, s[12:13]
.LBB606_52:
	s_or_b64 exec, exec, s[10:11]
.LBB606_53:
	s_or_b64 exec, exec, s[2:3]
	s_mov_b32 s2, 0xffffff
	v_cmp_lt_u32_e32 vcc, s2, v31
	s_and_saveexec_b64 s[2:3], vcc
	s_cbranch_execz .LBB606_59
; %bb.54:
	v_lshrrev_b32_e32 v30, 24, v31
	s_movk_i32 s10, 0x80
	v_cmp_ne_u32_e32 vcc, s10, v30
	v_bfrev_b32_e32 v53, 1
	s_and_saveexec_b64 s[10:11], vcc
	s_cbranch_execz .LBB606_58
; %bb.55:
	v_bfe_u32 v31, v31, 24, 7
	s_movk_i32 s12, 0x7f
	v_cmp_ne_u32_e32 vcc, s12, v31
	v_mov_b32_e32 v53, 0x7f800001
	s_and_saveexec_b64 s[12:13], vcc
	s_cbranch_execz .LBB606_57
; %bb.56:
	v_and_b32_e32 v53, 7, v30
	v_ffbh_u32_e32 v56, v53
	v_min_u32_e32 v58, 32, v56
	v_subrev_u32_e32 v56, 28, v58
	v_lshlrev_b64 v[56:57], v56, v[30:31]
	v_lshrrev_b32_e32 v55, 3, v31
	v_sub_u32_e32 v57, 29, v58
	v_and_b32_e32 v56, 7, v56
	v_cmp_gt_u32_e32 vcc, 8, v31
	v_cndmask_b32_e32 v31, v55, v57, vcc
	v_cndmask_b32_e32 v53, v53, v56, vcc
	v_lshlrev_b32_e32 v30, 24, v30
	v_bfrev_b32_e32 v55, 60
	v_lshlrev_b32_e32 v53, 20, v53
	v_and_b32_e32 v30, 0x80000000, v30
	v_lshl_add_u32 v31, v31, 23, v55
	v_or3_b32 v53, v30, v31, v53
.LBB606_57:
	s_or_b64 exec, exec, s[12:13]
.LBB606_58:
	s_or_b64 exec, exec, s[10:11]
.LBB606_59:
	s_or_b64 exec, exec, s[2:3]
	v_cvt_pkrtz_f16_f32 v30, v44, v43
	v_cvt_pkrtz_f16_f32 v31, v51, v45
	;; [unrolled: 1-line block ×4, first 2 shown]
	v_mov_b32_e32 v52, 0
	s_waitcnt lgkmcnt(0)
	v_mfma_f32_16x16x16f16 v[56:59], v[30:31], v[26:27], 0
	v_mov_b32_e32 v31, 0
	v_cmp_ne_u16_sdwa s[10:11], v32, v31 src0_sel:BYTE_0 src1_sel:DWORD
	v_mfma_f32_16x16x16f16 v[42:45], v[42:43], v[28:29], v[56:59]
	s_and_saveexec_b64 s[2:3], s[10:11]
	s_cbranch_execz .LBB606_65
; %bb.60:
	s_movk_i32 s10, 0x80
	v_cmp_ne_u16_sdwa s[12:13], v32, s10 src0_sel:BYTE_0 src1_sel:DWORD
	v_bfrev_b32_e32 v52, 1
	s_and_saveexec_b64 s[10:11], s[12:13]
	s_cbranch_execz .LBB606_64
; %bb.61:
	s_movk_i32 s12, 0x7f
	v_and_b32_e32 v30, 0x7f, v32
	v_cmp_ne_u32_e32 vcc, s12, v30
	v_mov_b32_e32 v52, 0x7f800001
	s_and_saveexec_b64 s[12:13], vcc
	s_cbranch_execz .LBB606_63
; %bb.62:
	v_and_b32_e32 v51, 7, v32
	v_ffbh_u32_e32 v52, v51
	v_min_u32_e32 v55, 32, v52
	v_subrev_u32_e32 v52, 28, v55
	v_lshlrev_b64 v[52:53], v52, v[32:33]
	v_lshrrev_b32_e32 v54, 3, v30
	v_sub_u32_e32 v53, 29, v55
	v_and_b32_e32 v52, 7, v52
	v_cmp_gt_u32_e32 vcc, 8, v30
	v_cndmask_b32_e32 v30, v54, v53, vcc
	v_cndmask_b32_e32 v51, v51, v52, vcc
	v_lshlrev_b32_e32 v52, 24, v32
	v_bfrev_b32_e32 v53, 60
	v_lshlrev_b32_e32 v51, 20, v51
	v_and_b32_e32 v52, 0x80000000, v52
	v_lshl_add_u32 v30, v30, 23, v53
	v_or3_b32 v52, v52, v30, v51
.LBB606_63:
	s_or_b64 exec, exec, s[12:13]
.LBB606_64:
	s_or_b64 exec, exec, s[10:11]
.LBB606_65:
	s_or_b64 exec, exec, s[2:3]
	v_lshrrev_b16_e32 v30, 8, v32
	v_cmp_ne_u16_e32 vcc, 0, v30
	v_mov_b32_e32 v53, 0
	s_and_saveexec_b64 s[2:3], vcc
	s_cbranch_execz .LBB606_71
; %bb.66:
	s_movk_i32 s10, 0x80
	v_cmp_ne_u16_e32 vcc, s10, v30
	v_bfrev_b32_e32 v53, 1
	s_and_saveexec_b64 s[10:11], vcc
	s_cbranch_execz .LBB606_70
; %bb.67:
	s_movk_i32 s12, 0x7f
	v_and_b32_e32 v51, 0x7f, v30
	v_cmp_ne_u32_e32 vcc, s12, v51
	v_mov_b32_e32 v53, 0x7f800001
	s_and_saveexec_b64 s[12:13], vcc
	s_cbranch_execz .LBB606_69
; %bb.68:
	v_and_b32_e32 v53, 7, v30
	v_ffbh_u32_e32 v54, v53
	v_min_u32_e32 v57, 32, v54
	v_subrev_u32_e32 v54, 28, v57
	v_lshlrev_b64 v[54:55], v54, v[30:31]
	v_lshrrev_b32_e32 v56, 3, v51
	v_sub_u32_e32 v30, 29, v57
	v_and_b32_e32 v54, 7, v54
	v_cmp_gt_u32_e32 vcc, 8, v51
	v_cndmask_b32_e32 v30, v56, v30, vcc
	v_cndmask_b32_e32 v51, v53, v54, vcc
	v_lshlrev_b32_e32 v53, 16, v32
	v_bfrev_b32_e32 v54, 60
	v_lshlrev_b32_e32 v51, 20, v51
	v_and_b32_e32 v53, 0x80000000, v53
	v_lshl_add_u32 v30, v30, 23, v54
	v_or3_b32 v53, v53, v30, v51
.LBB606_69:
	s_or_b64 exec, exec, s[12:13]
.LBB606_70:
	s_or_b64 exec, exec, s[10:11]
.LBB606_71:
	s_or_b64 exec, exec, s[2:3]
	s_movk_i32 s2, 0xff
	v_and_b32_sdwa v51, v32, s2 dst_sel:DWORD dst_unused:UNUSED_PAD src0_sel:WORD_1 src1_sel:DWORD
	v_lshrrev_b32_e32 v30, 16, v32
	v_cmp_ne_u16_e32 vcc, 0, v51
	s_and_saveexec_b64 s[2:3], vcc
	s_cbranch_execz .LBB606_77
; %bb.72:
	s_movk_i32 s10, 0x80
	v_cmp_ne_u16_e32 vcc, s10, v51
	v_bfrev_b32_e32 v31, 1
	s_and_saveexec_b64 s[10:11], vcc
	s_cbranch_execz .LBB606_76
; %bb.73:
	v_bfe_u32 v51, v32, 16, 7
	s_movk_i32 s12, 0x7f
	v_cmp_ne_u32_e32 vcc, s12, v51
	v_mov_b32_e32 v31, 0x7f800001
	s_and_saveexec_b64 s[12:13], vcc
	s_cbranch_execz .LBB606_75
; %bb.74:
	v_and_b32_e32 v54, 7, v30
	v_ffbh_u32_e32 v31, v54
	v_min_u32_e32 v56, 32, v31
	v_subrev_u32_e32 v31, 28, v56
	v_lshlrev_b64 v[30:31], v31, v[30:31]
	v_lshrrev_b32_e32 v55, 3, v51
	v_sub_u32_e32 v31, 29, v56
	v_and_b32_e32 v30, 7, v30
	v_cmp_gt_u32_e32 vcc, 8, v51
	v_mov_b32_e32 v51, 24
	v_cndmask_b32_e32 v31, v55, v31, vcc
	v_cndmask_b32_e32 v30, v54, v30, vcc
	v_lshlrev_b32_sdwa v51, v51, v32 dst_sel:DWORD dst_unused:UNUSED_PAD src0_sel:DWORD src1_sel:WORD_1
	v_bfrev_b32_e32 v54, 60
	v_lshlrev_b32_e32 v30, 20, v30
	v_and_b32_e32 v51, 0x80000000, v51
	v_lshl_add_u32 v31, v31, 23, v54
	v_or3_b32 v31, v51, v31, v30
.LBB606_75:
	s_or_b64 exec, exec, s[12:13]
.LBB606_76:
	s_or_b64 exec, exec, s[10:11]
.LBB606_77:
	s_or_b64 exec, exec, s[2:3]
	s_mov_b32 s2, 0xffffff
	v_cmp_lt_u32_e32 vcc, s2, v32
	v_mov_b32_e32 v54, 0
	v_mov_b32_e32 v55, 0
	s_and_saveexec_b64 s[2:3], vcc
	s_cbranch_execz .LBB606_83
; %bb.78:
	v_lshrrev_b32_e32 v30, 24, v32
	s_movk_i32 s10, 0x80
	v_cmp_ne_u32_e32 vcc, s10, v30
	v_bfrev_b32_e32 v55, 1
	s_and_saveexec_b64 s[10:11], vcc
	s_cbranch_execz .LBB606_82
; %bb.79:
	v_bfe_u32 v32, v32, 24, 7
	s_movk_i32 s12, 0x7f
	v_cmp_ne_u32_e32 vcc, s12, v32
	v_mov_b32_e32 v55, 0x7f800001
	s_and_saveexec_b64 s[12:13], vcc
	s_cbranch_execz .LBB606_81
; %bb.80:
	v_and_b32_e32 v51, 7, v30
	v_ffbh_u32_e32 v56, v51
	v_min_u32_e32 v58, 32, v56
	v_subrev_u32_e32 v56, 28, v58
	v_lshlrev_b64 v[56:57], v56, v[30:31]
	v_lshrrev_b32_e32 v55, 3, v32
	v_sub_u32_e32 v57, 29, v58
	v_and_b32_e32 v56, 7, v56
	v_cmp_gt_u32_e32 vcc, 8, v32
	v_cndmask_b32_e32 v32, v55, v57, vcc
	v_cndmask_b32_e32 v51, v51, v56, vcc
	v_lshlrev_b32_e32 v30, 24, v30
	v_bfrev_b32_e32 v55, 60
	v_lshlrev_b32_e32 v51, 20, v51
	v_and_b32_e32 v30, 0x80000000, v30
	v_lshl_add_u32 v32, v32, 23, v55
	v_or3_b32 v55, v30, v32, v51
.LBB606_81:
	s_or_b64 exec, exec, s[12:13]
.LBB606_82:
	s_or_b64 exec, exec, s[10:11]
.LBB606_83:
	s_or_b64 exec, exec, s[2:3]
	v_cmp_ne_u16_sdwa s[10:11], v33, v54 src0_sel:BYTE_0 src1_sel:DWORD
	s_and_saveexec_b64 s[2:3], s[10:11]
	s_cbranch_execz .LBB606_89
; %bb.84:
	s_movk_i32 s10, 0x80
	v_cmp_ne_u16_sdwa s[12:13], v33, s10 src0_sel:BYTE_0 src1_sel:DWORD
	v_bfrev_b32_e32 v54, 1
	s_and_saveexec_b64 s[10:11], s[12:13]
	s_cbranch_execz .LBB606_88
; %bb.85:
	s_movk_i32 s12, 0x7f
	v_and_b32_e32 v30, 0x7f, v33
	v_cmp_ne_u32_e32 vcc, s12, v30
	v_mov_b32_e32 v54, 0x7f800001
	s_and_saveexec_b64 s[12:13], vcc
	s_cbranch_execz .LBB606_87
; %bb.86:
	v_and_b32_e32 v51, 7, v33
	v_ffbh_u32_e32 v56, v51
	v_min_u32_e32 v58, 32, v56
	v_mov_b32_e32 v32, v33
	v_subrev_u32_e32 v56, 28, v58
	v_lshlrev_b64 v[56:57], v56, v[32:33]
	v_lshrrev_b32_e32 v54, 3, v30
	v_sub_u32_e32 v32, 29, v58
	v_and_b32_e32 v56, 7, v56
	v_cmp_gt_u32_e32 vcc, 8, v30
	v_cndmask_b32_e32 v30, v54, v32, vcc
	v_cndmask_b32_e32 v32, v51, v56, vcc
	v_lshlrev_b32_e32 v51, 24, v33
	v_bfrev_b32_e32 v54, 60
	v_lshlrev_b32_e32 v32, 20, v32
	v_and_b32_e32 v51, 0x80000000, v51
	v_lshl_add_u32 v30, v30, 23, v54
	v_or3_b32 v54, v51, v30, v32
.LBB606_87:
	s_or_b64 exec, exec, s[12:13]
.LBB606_88:
	s_or_b64 exec, exec, s[10:11]
.LBB606_89:
	s_or_b64 exec, exec, s[2:3]
	v_lshrrev_b16_e32 v30, 8, v33
	v_cmp_ne_u16_e32 vcc, 0, v30
	v_mov_b32_e32 v32, 0
	v_mov_b32_e32 v56, 0
	s_and_saveexec_b64 s[2:3], vcc
	s_cbranch_execz .LBB606_95
; %bb.90:
	s_movk_i32 s10, 0x80
	v_cmp_ne_u16_e32 vcc, s10, v30
	v_bfrev_b32_e32 v56, 1
	s_and_saveexec_b64 s[10:11], vcc
	s_cbranch_execz .LBB606_94
; %bb.91:
	s_movk_i32 s12, 0x7f
	v_and_b32_e32 v51, 0x7f, v30
	v_cmp_ne_u32_e32 vcc, s12, v51
	v_mov_b32_e32 v56, 0x7f800001
	s_and_saveexec_b64 s[12:13], vcc
	s_cbranch_execz .LBB606_93
; %bb.92:
	v_and_b32_e32 v58, 7, v30
	v_ffbh_u32_e32 v56, v58
	v_min_u32_e32 v60, 32, v56
	v_subrev_u32_e32 v56, 28, v60
	v_lshlrev_b64 v[56:57], v56, v[30:31]
	v_lshrrev_b32_e32 v59, 3, v51
	v_sub_u32_e32 v30, 29, v60
	v_and_b32_e32 v56, 7, v56
	v_cmp_gt_u32_e32 vcc, 8, v51
	v_cndmask_b32_e32 v30, v59, v30, vcc
	v_cndmask_b32_e32 v51, v58, v56, vcc
	v_lshlrev_b32_e32 v56, 16, v33
	v_bfrev_b32_e32 v57, 60
	v_lshlrev_b32_e32 v51, 20, v51
	v_and_b32_e32 v56, 0x80000000, v56
	v_lshl_add_u32 v30, v30, 23, v57
	v_or3_b32 v56, v56, v30, v51
.LBB606_93:
	s_or_b64 exec, exec, s[12:13]
.LBB606_94:
	s_or_b64 exec, exec, s[10:11]
.LBB606_95:
	s_or_b64 exec, exec, s[2:3]
	s_movk_i32 s2, 0xff
	v_and_b32_sdwa v51, v33, s2 dst_sel:DWORD dst_unused:UNUSED_PAD src0_sel:WORD_1 src1_sel:DWORD
	v_lshrrev_b32_e32 v30, 16, v33
	v_cmp_ne_u16_e32 vcc, 0, v51
	s_and_saveexec_b64 s[2:3], vcc
	s_cbranch_execz .LBB606_101
; %bb.96:
	s_movk_i32 s10, 0x80
	v_cmp_ne_u16_e32 vcc, s10, v51
	v_bfrev_b32_e32 v32, 1
	s_and_saveexec_b64 s[10:11], vcc
	s_cbranch_execz .LBB606_100
; %bb.97:
	v_bfe_u32 v51, v33, 16, 7
	s_movk_i32 s12, 0x7f
	v_cmp_ne_u32_e32 vcc, s12, v51
	v_mov_b32_e32 v32, 0x7f800001
	s_and_saveexec_b64 s[12:13], vcc
	s_cbranch_execz .LBB606_99
; %bb.98:
	v_and_b32_e32 v32, 7, v30
	v_ffbh_u32_e32 v58, v32
	v_min_u32_e32 v60, 32, v58
	v_subrev_u32_e32 v58, 28, v60
	v_lshlrev_b64 v[58:59], v58, v[30:31]
	v_lshrrev_b32_e32 v57, 3, v51
	v_sub_u32_e32 v30, 29, v60
	v_and_b32_e32 v58, 7, v58
	v_cmp_gt_u32_e32 vcc, 8, v51
	v_mov_b32_e32 v51, 24
	v_cndmask_b32_e32 v30, v57, v30, vcc
	v_cndmask_b32_e32 v32, v32, v58, vcc
	v_lshlrev_b32_sdwa v51, v51, v33 dst_sel:DWORD dst_unused:UNUSED_PAD src0_sel:DWORD src1_sel:WORD_1
	v_bfrev_b32_e32 v57, 60
	v_lshlrev_b32_e32 v32, 20, v32
	v_and_b32_e32 v51, 0x80000000, v51
	v_lshl_add_u32 v30, v30, 23, v57
	v_or3_b32 v32, v51, v30, v32
.LBB606_99:
	s_or_b64 exec, exec, s[12:13]
.LBB606_100:
	s_or_b64 exec, exec, s[10:11]
.LBB606_101:
	s_or_b64 exec, exec, s[2:3]
	s_mov_b32 s2, 0xffffff
	v_cmp_lt_u32_e32 vcc, s2, v33
	v_mov_b32_e32 v51, 0
	v_mov_b32_e32 v57, 0
	s_and_saveexec_b64 s[2:3], vcc
	s_cbranch_execz .LBB606_107
; %bb.102:
	v_lshrrev_b32_e32 v30, 24, v33
	s_movk_i32 s10, 0x80
	v_cmp_ne_u32_e32 vcc, s10, v30
	v_bfrev_b32_e32 v57, 1
	s_and_saveexec_b64 s[10:11], vcc
	s_cbranch_execz .LBB606_106
; %bb.103:
	v_bfe_u32 v33, v33, 24, 7
	s_movk_i32 s12, 0x7f
	v_cmp_ne_u32_e32 vcc, s12, v33
	v_mov_b32_e32 v57, 0x7f800001
	s_and_saveexec_b64 s[12:13], vcc
	s_cbranch_execz .LBB606_105
; %bb.104:
	v_and_b32_e32 v57, 7, v30
	v_ffbh_u32_e32 v58, v57
	v_min_u32_e32 v61, 32, v58
	v_subrev_u32_e32 v58, 28, v61
	v_lshlrev_b64 v[58:59], v58, v[30:31]
	v_lshrrev_b32_e32 v60, 3, v33
	v_sub_u32_e32 v59, 29, v61
	v_and_b32_e32 v58, 7, v58
	v_cmp_gt_u32_e32 vcc, 8, v33
	v_cndmask_b32_e32 v33, v60, v59, vcc
	v_cndmask_b32_e32 v57, v57, v58, vcc
	v_lshlrev_b32_e32 v30, 24, v30
	v_bfrev_b32_e32 v58, 60
	v_lshlrev_b32_e32 v57, 20, v57
	v_and_b32_e32 v30, 0x80000000, v30
	v_lshl_add_u32 v33, v33, 23, v58
	v_or3_b32 v57, v30, v33, v57
.LBB606_105:
	s_or_b64 exec, exec, s[12:13]
.LBB606_106:
	s_or_b64 exec, exec, s[10:11]
.LBB606_107:
	s_or_b64 exec, exec, s[2:3]
	v_cvt_pkrtz_f16_f32 v30, v52, v53
	v_cvt_pkrtz_f16_f32 v31, v31, v55
	s_waitcnt vmcnt(6)
	v_cmp_ne_u16_sdwa s[10:11], v38, v51 src0_sel:BYTE_0 src1_sel:DWORD
	v_mfma_f32_16x16x16f16 v[42:45], v[30:31], v[18:19], v[42:45]
	v_cvt_pkrtz_f16_f32 v30, v54, v56
	v_cvt_pkrtz_f16_f32 v31, v32, v57
	s_nop 1
	v_mfma_f32_16x16x16f16 v[30:33], v[30:31], v[20:21], v[42:45]
	s_and_saveexec_b64 s[2:3], s[10:11]
	s_cbranch_execz .LBB606_113
; %bb.108:
	s_movk_i32 s10, 0x80
	v_cmp_ne_u16_sdwa s[12:13], v38, s10 src0_sel:BYTE_0 src1_sel:DWORD
	v_bfrev_b32_e32 v51, 1
	s_and_saveexec_b64 s[10:11], s[12:13]
	s_cbranch_execz .LBB606_112
; %bb.109:
	s_movk_i32 s12, 0x7f
	v_and_b32_e32 v42, 0x7f, v38
	v_cmp_ne_u32_e32 vcc, s12, v42
	v_mov_b32_e32 v51, 0x7f800001
	s_and_saveexec_b64 s[12:13], vcc
	s_cbranch_execz .LBB606_111
; %bb.110:
	v_and_b32_e32 v43, 7, v38
	v_ffbh_u32_e32 v44, v43
	v_min_u32_e32 v52, 32, v44
	v_subrev_u32_e32 v44, 28, v52
	v_lshlrev_b64 v[44:45], v44, v[38:39]
	v_lshrrev_b32_e32 v51, 3, v42
	v_sub_u32_e32 v45, 29, v52
	v_and_b32_e32 v44, 7, v44
	v_cmp_gt_u32_e32 vcc, 8, v42
	v_cndmask_b32_e32 v42, v51, v45, vcc
	v_cndmask_b32_e32 v43, v43, v44, vcc
	v_lshlrev_b32_e32 v44, 24, v38
	v_bfrev_b32_e32 v45, 60
	v_lshlrev_b32_e32 v43, 20, v43
	v_and_b32_e32 v44, 0x80000000, v44
	v_lshl_add_u32 v42, v42, 23, v45
	v_or3_b32 v51, v44, v42, v43
.LBB606_111:
	s_or_b64 exec, exec, s[12:13]
.LBB606_112:
	s_or_b64 exec, exec, s[10:11]
.LBB606_113:
	s_or_b64 exec, exec, s[2:3]
	s_nop 3
	v_lshrrev_b16_e32 v42, 8, v38
	v_cmp_ne_u16_e32 vcc, 0, v42
	v_mov_b32_e32 v43, 0
	v_mov_b32_e32 v44, 0
	s_and_saveexec_b64 s[2:3], vcc
	s_cbranch_execz .LBB606_119
; %bb.114:
	s_movk_i32 s10, 0x80
	v_cmp_ne_u16_e32 vcc, s10, v42
	v_bfrev_b32_e32 v44, 1
	s_and_saveexec_b64 s[10:11], vcc
	s_cbranch_execz .LBB606_118
; %bb.115:
	s_movk_i32 s12, 0x7f
	v_and_b32_e32 v45, 0x7f, v42
	v_cmp_ne_u32_e32 vcc, s12, v45
	v_mov_b32_e32 v44, 0x7f800001
	s_and_saveexec_b64 s[12:13], vcc
	s_cbranch_execz .LBB606_117
; %bb.116:
	v_and_b32_e32 v44, 7, v42
	v_ffbh_u32_e32 v52, v44
	v_min_u32_e32 v55, 32, v52
	v_subrev_u32_e32 v52, 28, v55
	v_lshlrev_b64 v[52:53], v52, v[42:43]
	v_lshrrev_b32_e32 v54, 3, v45
	v_sub_u32_e32 v42, 29, v55
	v_and_b32_e32 v52, 7, v52
	v_cmp_gt_u32_e32 vcc, 8, v45
	v_cndmask_b32_e32 v42, v54, v42, vcc
	v_cndmask_b32_e32 v44, v44, v52, vcc
	v_lshlrev_b32_e32 v45, 16, v38
	v_bfrev_b32_e32 v52, 60
	v_lshlrev_b32_e32 v44, 20, v44
	v_and_b32_e32 v45, 0x80000000, v45
	v_lshl_add_u32 v42, v42, 23, v52
	v_or3_b32 v44, v45, v42, v44
.LBB606_117:
	s_or_b64 exec, exec, s[12:13]
.LBB606_118:
	s_or_b64 exec, exec, s[10:11]
.LBB606_119:
	s_or_b64 exec, exec, s[2:3]
	s_movk_i32 s2, 0xff
	v_and_b32_sdwa v45, v38, s2 dst_sel:DWORD dst_unused:UNUSED_PAD src0_sel:WORD_1 src1_sel:DWORD
	v_lshrrev_b32_e32 v42, 16, v38
	v_cmp_ne_u16_e32 vcc, 0, v45
	s_and_saveexec_b64 s[2:3], vcc
	s_cbranch_execz .LBB606_125
; %bb.120:
	s_movk_i32 s10, 0x80
	v_cmp_ne_u16_e32 vcc, s10, v45
	v_bfrev_b32_e32 v43, 1
	s_and_saveexec_b64 s[10:11], vcc
	s_cbranch_execz .LBB606_124
; %bb.121:
	v_bfe_u32 v45, v38, 16, 7
	s_movk_i32 s12, 0x7f
	v_cmp_ne_u32_e32 vcc, s12, v45
	v_mov_b32_e32 v43, 0x7f800001
	s_and_saveexec_b64 s[12:13], vcc
	s_cbranch_execz .LBB606_123
; %bb.122:
	v_and_b32_e32 v52, 7, v42
	v_ffbh_u32_e32 v43, v52
	v_min_u32_e32 v54, 32, v43
	v_subrev_u32_e32 v43, 28, v54
	v_lshlrev_b64 v[42:43], v43, v[42:43]
	v_lshrrev_b32_e32 v53, 3, v45
	v_sub_u32_e32 v43, 29, v54
	v_and_b32_e32 v42, 7, v42
	v_cmp_gt_u32_e32 vcc, 8, v45
	v_mov_b32_e32 v45, 24
	v_cndmask_b32_e32 v43, v53, v43, vcc
	v_cndmask_b32_e32 v42, v52, v42, vcc
	v_lshlrev_b32_sdwa v45, v45, v38 dst_sel:DWORD dst_unused:UNUSED_PAD src0_sel:DWORD src1_sel:WORD_1
	v_bfrev_b32_e32 v52, 60
	v_lshlrev_b32_e32 v42, 20, v42
	v_and_b32_e32 v45, 0x80000000, v45
	v_lshl_add_u32 v43, v43, 23, v52
	v_or3_b32 v43, v45, v43, v42
.LBB606_123:
	s_or_b64 exec, exec, s[12:13]
.LBB606_124:
	s_or_b64 exec, exec, s[10:11]
.LBB606_125:
	s_or_b64 exec, exec, s[2:3]
	s_mov_b32 s2, 0xffffff
	v_cmp_lt_u32_e32 vcc, s2, v38
	v_mov_b32_e32 v45, 0
	v_mov_b32_e32 v53, 0
	s_and_saveexec_b64 s[2:3], vcc
	s_cbranch_execz .LBB606_131
; %bb.126:
	v_lshrrev_b32_e32 v42, 24, v38
	s_movk_i32 s10, 0x80
	v_cmp_ne_u32_e32 vcc, s10, v42
	v_bfrev_b32_e32 v53, 1
	s_and_saveexec_b64 s[10:11], vcc
	s_cbranch_execz .LBB606_130
; %bb.127:
	v_bfe_u32 v38, v38, 24, 7
	s_movk_i32 s12, 0x7f
	v_cmp_ne_u32_e32 vcc, s12, v38
	v_mov_b32_e32 v53, 0x7f800001
	s_and_saveexec_b64 s[12:13], vcc
	s_cbranch_execz .LBB606_129
; %bb.128:
	v_and_b32_e32 v54, 7, v42
	v_ffbh_u32_e32 v52, v54
	v_min_u32_e32 v56, 32, v52
	v_subrev_u32_e32 v52, 28, v56
	v_lshlrev_b64 v[52:53], v52, v[42:43]
	v_lshrrev_b32_e32 v55, 3, v38
	v_sub_u32_e32 v53, 29, v56
	v_and_b32_e32 v52, 7, v52
	v_cmp_gt_u32_e32 vcc, 8, v38
	v_cndmask_b32_e32 v38, v55, v53, vcc
	v_cndmask_b32_e32 v52, v54, v52, vcc
	v_lshlrev_b32_e32 v42, 24, v42
	v_bfrev_b32_e32 v53, 60
	v_lshlrev_b32_e32 v52, 20, v52
	v_and_b32_e32 v42, 0x80000000, v42
	v_lshl_add_u32 v38, v38, 23, v53
	v_or3_b32 v53, v42, v38, v52
.LBB606_129:
	s_or_b64 exec, exec, s[12:13]
.LBB606_130:
	s_or_b64 exec, exec, s[10:11]
.LBB606_131:
	s_or_b64 exec, exec, s[2:3]
	v_cmp_ne_u16_sdwa s[10:11], v39, v45 src0_sel:BYTE_0 src1_sel:DWORD
	s_and_saveexec_b64 s[2:3], s[10:11]
	s_cbranch_execz .LBB606_137
; %bb.132:
	s_movk_i32 s10, 0x80
	v_cmp_ne_u16_sdwa s[12:13], v39, s10 src0_sel:BYTE_0 src1_sel:DWORD
	v_bfrev_b32_e32 v45, 1
	s_and_saveexec_b64 s[10:11], s[12:13]
	s_cbranch_execz .LBB606_136
; %bb.133:
	s_movk_i32 s12, 0x7f
	v_and_b32_e32 v38, 0x7f, v39
	v_cmp_ne_u32_e32 vcc, s12, v38
	v_mov_b32_e32 v45, 0x7f800001
	s_and_saveexec_b64 s[12:13], vcc
	s_cbranch_execz .LBB606_135
; %bb.134:
	v_and_b32_e32 v45, 7, v39
	v_ffbh_u32_e32 v54, v45
	v_min_u32_e32 v56, 32, v54
	v_mov_b32_e32 v42, v39
	v_subrev_u32_e32 v54, 28, v56
	v_lshlrev_b64 v[54:55], v54, v[42:43]
	v_lshrrev_b32_e32 v52, 3, v38
	v_sub_u32_e32 v42, 29, v56
	v_and_b32_e32 v54, 7, v54
	v_cmp_gt_u32_e32 vcc, 8, v38
	v_cndmask_b32_e32 v38, v52, v42, vcc
	v_cndmask_b32_e32 v42, v45, v54, vcc
	v_lshlrev_b32_e32 v45, 24, v39
	v_bfrev_b32_e32 v52, 60
	v_lshlrev_b32_e32 v42, 20, v42
	v_and_b32_e32 v45, 0x80000000, v45
	v_lshl_add_u32 v38, v38, 23, v52
	v_or3_b32 v45, v45, v38, v42
.LBB606_135:
	s_or_b64 exec, exec, s[12:13]
.LBB606_136:
	s_or_b64 exec, exec, s[10:11]
.LBB606_137:
	s_or_b64 exec, exec, s[2:3]
	v_lshrrev_b16_e32 v38, 8, v39
	v_cmp_ne_u16_e32 vcc, 0, v38
	v_mov_b32_e32 v42, 0
	v_mov_b32_e32 v54, 0
	s_and_saveexec_b64 s[2:3], vcc
	s_cbranch_execz .LBB606_143
; %bb.138:
	s_movk_i32 s10, 0x80
	v_cmp_ne_u16_e32 vcc, s10, v38
	v_bfrev_b32_e32 v54, 1
	s_and_saveexec_b64 s[10:11], vcc
	s_cbranch_execz .LBB606_142
; %bb.139:
	s_movk_i32 s12, 0x7f
	v_and_b32_e32 v52, 0x7f, v38
	v_cmp_ne_u32_e32 vcc, s12, v52
	v_mov_b32_e32 v54, 0x7f800001
	s_and_saveexec_b64 s[12:13], vcc
	s_cbranch_execz .LBB606_141
; %bb.140:
	v_and_b32_e32 v56, 7, v38
	v_ffbh_u32_e32 v54, v56
	v_min_u32_e32 v58, 32, v54
	v_subrev_u32_e32 v54, 28, v58
	v_lshlrev_b64 v[54:55], v54, v[38:39]
	v_lshrrev_b32_e32 v57, 3, v52
	v_sub_u32_e32 v38, 29, v58
	v_and_b32_e32 v54, 7, v54
	v_cmp_gt_u32_e32 vcc, 8, v52
	v_cndmask_b32_e32 v38, v57, v38, vcc
	v_cndmask_b32_e32 v52, v56, v54, vcc
	v_lshlrev_b32_e32 v54, 16, v39
	v_bfrev_b32_e32 v55, 60
	v_lshlrev_b32_e32 v52, 20, v52
	v_and_b32_e32 v54, 0x80000000, v54
	v_lshl_add_u32 v38, v38, 23, v55
	v_or3_b32 v54, v54, v38, v52
.LBB606_141:
	s_or_b64 exec, exec, s[12:13]
.LBB606_142:
	s_or_b64 exec, exec, s[10:11]
.LBB606_143:
	s_or_b64 exec, exec, s[2:3]
	s_movk_i32 s2, 0xff
	v_and_b32_sdwa v52, v39, s2 dst_sel:DWORD dst_unused:UNUSED_PAD src0_sel:WORD_1 src1_sel:DWORD
	v_lshrrev_b32_e32 v38, 16, v39
	v_cmp_ne_u16_e32 vcc, 0, v52
	s_and_saveexec_b64 s[2:3], vcc
	s_cbranch_execz .LBB606_149
; %bb.144:
	s_movk_i32 s10, 0x80
	v_cmp_ne_u16_e32 vcc, s10, v52
	v_bfrev_b32_e32 v42, 1
	s_and_saveexec_b64 s[10:11], vcc
	s_cbranch_execz .LBB606_148
; %bb.145:
	v_bfe_u32 v52, v39, 16, 7
	s_movk_i32 s12, 0x7f
	v_cmp_ne_u32_e32 vcc, s12, v52
	v_mov_b32_e32 v42, 0x7f800001
	s_and_saveexec_b64 s[12:13], vcc
	s_cbranch_execz .LBB606_147
; %bb.146:
	v_and_b32_e32 v42, 7, v38
	v_ffbh_u32_e32 v56, v42
	v_min_u32_e32 v58, 32, v56
	v_subrev_u32_e32 v56, 28, v58
	v_lshlrev_b64 v[56:57], v56, v[38:39]
	v_lshrrev_b32_e32 v55, 3, v52
	v_sub_u32_e32 v38, 29, v58
	v_and_b32_e32 v56, 7, v56
	v_cmp_gt_u32_e32 vcc, 8, v52
	v_mov_b32_e32 v52, 24
	v_cndmask_b32_e32 v38, v55, v38, vcc
	v_cndmask_b32_e32 v42, v42, v56, vcc
	v_lshlrev_b32_sdwa v52, v52, v39 dst_sel:DWORD dst_unused:UNUSED_PAD src0_sel:DWORD src1_sel:WORD_1
	v_bfrev_b32_e32 v55, 60
	v_lshlrev_b32_e32 v42, 20, v42
	v_and_b32_e32 v52, 0x80000000, v52
	v_lshl_add_u32 v38, v38, 23, v55
	v_or3_b32 v42, v52, v38, v42
.LBB606_147:
	s_or_b64 exec, exec, s[12:13]
.LBB606_148:
	s_or_b64 exec, exec, s[10:11]
.LBB606_149:
	s_or_b64 exec, exec, s[2:3]
	s_mov_b32 s2, 0xffffff
	v_cmp_lt_u32_e32 vcc, s2, v39
	v_mov_b32_e32 v52, 0
	v_mov_b32_e32 v55, 0
	s_and_saveexec_b64 s[2:3], vcc
	s_cbranch_execz .LBB606_155
; %bb.150:
	v_lshrrev_b32_e32 v38, 24, v39
	s_movk_i32 s10, 0x80
	v_cmp_ne_u32_e32 vcc, s10, v38
	v_bfrev_b32_e32 v55, 1
	s_and_saveexec_b64 s[10:11], vcc
	s_cbranch_execz .LBB606_154
; %bb.151:
	v_bfe_u32 v39, v39, 24, 7
	s_movk_i32 s12, 0x7f
	v_cmp_ne_u32_e32 vcc, s12, v39
	v_mov_b32_e32 v55, 0x7f800001
	s_and_saveexec_b64 s[12:13], vcc
	s_cbranch_execz .LBB606_153
; %bb.152:
	v_and_b32_e32 v55, 7, v38
	v_ffbh_u32_e32 v56, v55
	v_min_u32_e32 v59, 32, v56
	v_subrev_u32_e32 v56, 28, v59
	v_lshlrev_b64 v[56:57], v56, v[38:39]
	v_lshrrev_b32_e32 v58, 3, v39
	v_sub_u32_e32 v57, 29, v59
	v_and_b32_e32 v56, 7, v56
	v_cmp_gt_u32_e32 vcc, 8, v39
	v_cndmask_b32_e32 v39, v58, v57, vcc
	v_cndmask_b32_e32 v55, v55, v56, vcc
	v_lshlrev_b32_e32 v38, 24, v38
	v_bfrev_b32_e32 v56, 60
	v_lshlrev_b32_e32 v55, 20, v55
	v_and_b32_e32 v38, 0x80000000, v38
	v_lshl_add_u32 v39, v39, 23, v56
	v_or3_b32 v55, v38, v39, v55
.LBB606_153:
	s_or_b64 exec, exec, s[12:13]
.LBB606_154:
	s_or_b64 exec, exec, s[10:11]
.LBB606_155:
	s_or_b64 exec, exec, s[2:3]
	v_cvt_pkrtz_f16_f32 v38, v51, v44
	v_cvt_pkrtz_f16_f32 v39, v43, v53
	v_cmp_ne_u16_sdwa s[10:11], v40, v52 src0_sel:BYTE_0 src1_sel:DWORD
	s_nop 0
	v_mfma_f32_16x16x16f16 v[56:59], v[38:39], v[26:27], 0
	v_cvt_pkrtz_f16_f32 v38, v45, v54
	v_cvt_pkrtz_f16_f32 v39, v42, v55
	s_nop 1
	v_mfma_f32_16x16x16f16 v[42:45], v[38:39], v[28:29], v[56:59]
	s_and_saveexec_b64 s[2:3], s[10:11]
	s_cbranch_execz .LBB606_161
; %bb.156:
	s_movk_i32 s10, 0x80
	v_cmp_ne_u16_sdwa s[12:13], v40, s10 src0_sel:BYTE_0 src1_sel:DWORD
	v_bfrev_b32_e32 v52, 1
	s_and_saveexec_b64 s[10:11], s[12:13]
	s_cbranch_execz .LBB606_160
; %bb.157:
	s_movk_i32 s12, 0x7f
	v_and_b32_e32 v38, 0x7f, v40
	v_cmp_ne_u32_e32 vcc, s12, v38
	v_mov_b32_e32 v52, 0x7f800001
	s_and_saveexec_b64 s[12:13], vcc
	s_cbranch_execz .LBB606_159
; %bb.158:
	v_and_b32_e32 v39, 7, v40
	v_ffbh_u32_e32 v52, v39
	v_min_u32_e32 v54, 32, v52
	v_subrev_u32_e32 v52, 28, v54
	v_lshlrev_b64 v[52:53], v52, v[40:41]
	v_lshrrev_b32_e32 v51, 3, v38
	v_sub_u32_e32 v53, 29, v54
	v_and_b32_e32 v52, 7, v52
	v_cmp_gt_u32_e32 vcc, 8, v38
	v_cndmask_b32_e32 v38, v51, v53, vcc
	v_cndmask_b32_e32 v39, v39, v52, vcc
	v_lshlrev_b32_e32 v51, 24, v40
	v_bfrev_b32_e32 v52, 60
	v_lshlrev_b32_e32 v39, 20, v39
	v_and_b32_e32 v51, 0x80000000, v51
	v_lshl_add_u32 v38, v38, 23, v52
	v_or3_b32 v52, v51, v38, v39
.LBB606_159:
	s_or_b64 exec, exec, s[12:13]
.LBB606_160:
	s_or_b64 exec, exec, s[10:11]
.LBB606_161:
	s_or_b64 exec, exec, s[2:3]
	v_lshrrev_b16_e32 v38, 8, v40
	v_cmp_ne_u16_e32 vcc, 0, v38
	v_mov_b32_e32 v39, 0
	v_mov_b32_e32 v53, 0
	s_and_saveexec_b64 s[2:3], vcc
	s_cbranch_execz .LBB606_167
; %bb.162:
	s_movk_i32 s10, 0x80
	v_cmp_ne_u16_e32 vcc, s10, v38
	v_bfrev_b32_e32 v53, 1
	s_and_saveexec_b64 s[10:11], vcc
	s_cbranch_execz .LBB606_166
; %bb.163:
	s_movk_i32 s12, 0x7f
	v_and_b32_e32 v51, 0x7f, v38
	v_cmp_ne_u32_e32 vcc, s12, v51
	v_mov_b32_e32 v53, 0x7f800001
	s_and_saveexec_b64 s[12:13], vcc
	s_cbranch_execz .LBB606_165
; %bb.164:
	v_and_b32_e32 v53, 7, v38
	v_ffbh_u32_e32 v54, v53
	v_min_u32_e32 v57, 32, v54
	v_subrev_u32_e32 v54, 28, v57
	v_lshlrev_b64 v[54:55], v54, v[38:39]
	v_lshrrev_b32_e32 v56, 3, v51
	v_sub_u32_e32 v38, 29, v57
	v_and_b32_e32 v54, 7, v54
	v_cmp_gt_u32_e32 vcc, 8, v51
	v_cndmask_b32_e32 v38, v56, v38, vcc
	v_cndmask_b32_e32 v51, v53, v54, vcc
	v_lshlrev_b32_e32 v53, 16, v40
	v_bfrev_b32_e32 v54, 60
	v_lshlrev_b32_e32 v51, 20, v51
	v_and_b32_e32 v53, 0x80000000, v53
	v_lshl_add_u32 v38, v38, 23, v54
	v_or3_b32 v53, v53, v38, v51
.LBB606_165:
	s_or_b64 exec, exec, s[12:13]
.LBB606_166:
	s_or_b64 exec, exec, s[10:11]
.LBB606_167:
	s_or_b64 exec, exec, s[2:3]
	s_movk_i32 s2, 0xff
	v_and_b32_sdwa v51, v40, s2 dst_sel:DWORD dst_unused:UNUSED_PAD src0_sel:WORD_1 src1_sel:DWORD
	v_lshrrev_b32_e32 v38, 16, v40
	v_cmp_ne_u16_e32 vcc, 0, v51
	s_and_saveexec_b64 s[2:3], vcc
	s_cbranch_execz .LBB606_173
; %bb.168:
	s_movk_i32 s10, 0x80
	v_cmp_ne_u16_e32 vcc, s10, v51
	v_bfrev_b32_e32 v39, 1
	s_and_saveexec_b64 s[10:11], vcc
	s_cbranch_execz .LBB606_172
; %bb.169:
	v_bfe_u32 v51, v40, 16, 7
	s_movk_i32 s12, 0x7f
	v_cmp_ne_u32_e32 vcc, s12, v51
	v_mov_b32_e32 v39, 0x7f800001
	s_and_saveexec_b64 s[12:13], vcc
	s_cbranch_execz .LBB606_171
; %bb.170:
	v_and_b32_e32 v54, 7, v38
	v_ffbh_u32_e32 v39, v54
	v_min_u32_e32 v56, 32, v39
	v_subrev_u32_e32 v39, 28, v56
	v_lshlrev_b64 v[38:39], v39, v[38:39]
	v_lshrrev_b32_e32 v55, 3, v51
	v_sub_u32_e32 v39, 29, v56
	v_and_b32_e32 v38, 7, v38
	v_cmp_gt_u32_e32 vcc, 8, v51
	v_mov_b32_e32 v51, 24
	v_cndmask_b32_e32 v39, v55, v39, vcc
	v_cndmask_b32_e32 v38, v54, v38, vcc
	v_lshlrev_b32_sdwa v51, v51, v40 dst_sel:DWORD dst_unused:UNUSED_PAD src0_sel:DWORD src1_sel:WORD_1
	v_bfrev_b32_e32 v54, 60
	v_lshlrev_b32_e32 v38, 20, v38
	v_and_b32_e32 v51, 0x80000000, v51
	v_lshl_add_u32 v39, v39, 23, v54
	v_or3_b32 v39, v51, v39, v38
.LBB606_171:
	s_or_b64 exec, exec, s[12:13]
.LBB606_172:
	s_or_b64 exec, exec, s[10:11]
.LBB606_173:
	s_or_b64 exec, exec, s[2:3]
	s_mov_b32 s2, 0xffffff
	v_cmp_lt_u32_e32 vcc, s2, v40
	v_mov_b32_e32 v54, 0
	v_mov_b32_e32 v55, 0
	s_and_saveexec_b64 s[2:3], vcc
	s_cbranch_execz .LBB606_179
; %bb.174:
	v_lshrrev_b32_e32 v38, 24, v40
	s_movk_i32 s10, 0x80
	v_cmp_ne_u32_e32 vcc, s10, v38
	v_bfrev_b32_e32 v55, 1
	s_and_saveexec_b64 s[10:11], vcc
	s_cbranch_execz .LBB606_178
; %bb.175:
	v_bfe_u32 v40, v40, 24, 7
	s_movk_i32 s12, 0x7f
	v_cmp_ne_u32_e32 vcc, s12, v40
	v_mov_b32_e32 v55, 0x7f800001
	s_and_saveexec_b64 s[12:13], vcc
	s_cbranch_execz .LBB606_177
; %bb.176:
	v_and_b32_e32 v51, 7, v38
	v_ffbh_u32_e32 v56, v51
	v_min_u32_e32 v58, 32, v56
	v_subrev_u32_e32 v56, 28, v58
	v_lshlrev_b64 v[56:57], v56, v[38:39]
	v_lshrrev_b32_e32 v55, 3, v40
	v_sub_u32_e32 v57, 29, v58
	v_and_b32_e32 v56, 7, v56
	v_cmp_gt_u32_e32 vcc, 8, v40
	v_cndmask_b32_e32 v40, v55, v57, vcc
	v_cndmask_b32_e32 v51, v51, v56, vcc
	v_lshlrev_b32_e32 v38, 24, v38
	v_bfrev_b32_e32 v55, 60
	v_lshlrev_b32_e32 v51, 20, v51
	v_and_b32_e32 v38, 0x80000000, v38
	v_lshl_add_u32 v40, v40, 23, v55
	v_or3_b32 v55, v38, v40, v51
.LBB606_177:
	s_or_b64 exec, exec, s[12:13]
.LBB606_178:
	s_or_b64 exec, exec, s[10:11]
.LBB606_179:
	s_or_b64 exec, exec, s[2:3]
	v_cmp_ne_u16_sdwa s[10:11], v41, v54 src0_sel:BYTE_0 src1_sel:DWORD
	s_and_saveexec_b64 s[2:3], s[10:11]
	s_cbranch_execz .LBB606_185
; %bb.180:
	s_movk_i32 s10, 0x80
	v_cmp_ne_u16_sdwa s[12:13], v41, s10 src0_sel:BYTE_0 src1_sel:DWORD
	v_bfrev_b32_e32 v54, 1
	s_and_saveexec_b64 s[10:11], s[12:13]
	s_cbranch_execz .LBB606_184
; %bb.181:
	s_movk_i32 s12, 0x7f
	v_and_b32_e32 v38, 0x7f, v41
	v_cmp_ne_u32_e32 vcc, s12, v38
	v_mov_b32_e32 v54, 0x7f800001
	s_and_saveexec_b64 s[12:13], vcc
	s_cbranch_execz .LBB606_183
; %bb.182:
	v_and_b32_e32 v51, 7, v41
	v_ffbh_u32_e32 v56, v51
	v_min_u32_e32 v58, 32, v56
	v_mov_b32_e32 v40, v41
	v_subrev_u32_e32 v56, 28, v58
	v_lshlrev_b64 v[56:57], v56, v[40:41]
	v_lshrrev_b32_e32 v54, 3, v38
	v_sub_u32_e32 v40, 29, v58
	v_and_b32_e32 v56, 7, v56
	v_cmp_gt_u32_e32 vcc, 8, v38
	v_cndmask_b32_e32 v38, v54, v40, vcc
	v_cndmask_b32_e32 v40, v51, v56, vcc
	v_lshlrev_b32_e32 v51, 24, v41
	v_bfrev_b32_e32 v54, 60
	v_lshlrev_b32_e32 v40, 20, v40
	v_and_b32_e32 v51, 0x80000000, v51
	v_lshl_add_u32 v38, v38, 23, v54
	v_or3_b32 v54, v51, v38, v40
.LBB606_183:
	s_or_b64 exec, exec, s[12:13]
.LBB606_184:
	s_or_b64 exec, exec, s[10:11]
.LBB606_185:
	s_or_b64 exec, exec, s[2:3]
	v_lshrrev_b16_e32 v38, 8, v41
	v_cmp_ne_u16_e32 vcc, 0, v38
	v_mov_b32_e32 v40, 0
	v_mov_b32_e32 v56, 0
	s_and_saveexec_b64 s[2:3], vcc
	s_cbranch_execz .LBB606_191
; %bb.186:
	s_movk_i32 s10, 0x80
	v_cmp_ne_u16_e32 vcc, s10, v38
	v_bfrev_b32_e32 v56, 1
	s_and_saveexec_b64 s[10:11], vcc
	s_cbranch_execz .LBB606_190
; %bb.187:
	s_movk_i32 s12, 0x7f
	v_and_b32_e32 v51, 0x7f, v38
	v_cmp_ne_u32_e32 vcc, s12, v51
	v_mov_b32_e32 v56, 0x7f800001
	s_and_saveexec_b64 s[12:13], vcc
	s_cbranch_execz .LBB606_189
; %bb.188:
	v_and_b32_e32 v58, 7, v38
	v_ffbh_u32_e32 v56, v58
	v_min_u32_e32 v60, 32, v56
	v_subrev_u32_e32 v56, 28, v60
	v_lshlrev_b64 v[56:57], v56, v[38:39]
	v_lshrrev_b32_e32 v59, 3, v51
	v_sub_u32_e32 v38, 29, v60
	v_and_b32_e32 v56, 7, v56
	v_cmp_gt_u32_e32 vcc, 8, v51
	v_cndmask_b32_e32 v38, v59, v38, vcc
	v_cndmask_b32_e32 v51, v58, v56, vcc
	v_lshlrev_b32_e32 v56, 16, v41
	v_bfrev_b32_e32 v57, 60
	v_lshlrev_b32_e32 v51, 20, v51
	v_and_b32_e32 v56, 0x80000000, v56
	v_lshl_add_u32 v38, v38, 23, v57
	v_or3_b32 v56, v56, v38, v51
.LBB606_189:
	s_or_b64 exec, exec, s[12:13]
.LBB606_190:
	s_or_b64 exec, exec, s[10:11]
.LBB606_191:
	s_or_b64 exec, exec, s[2:3]
	s_movk_i32 s2, 0xff
	v_and_b32_sdwa v51, v41, s2 dst_sel:DWORD dst_unused:UNUSED_PAD src0_sel:WORD_1 src1_sel:DWORD
	v_lshrrev_b32_e32 v38, 16, v41
	v_cmp_ne_u16_e32 vcc, 0, v51
	s_and_saveexec_b64 s[2:3], vcc
	s_cbranch_execz .LBB606_197
; %bb.192:
	s_movk_i32 s10, 0x80
	v_cmp_ne_u16_e32 vcc, s10, v51
	v_bfrev_b32_e32 v40, 1
	s_and_saveexec_b64 s[10:11], vcc
	s_cbranch_execz .LBB606_196
; %bb.193:
	v_bfe_u32 v51, v41, 16, 7
	s_movk_i32 s12, 0x7f
	v_cmp_ne_u32_e32 vcc, s12, v51
	v_mov_b32_e32 v40, 0x7f800001
	s_and_saveexec_b64 s[12:13], vcc
	s_cbranch_execz .LBB606_195
; %bb.194:
	v_and_b32_e32 v40, 7, v38
	v_ffbh_u32_e32 v58, v40
	v_min_u32_e32 v60, 32, v58
	v_subrev_u32_e32 v58, 28, v60
	v_lshlrev_b64 v[58:59], v58, v[38:39]
	v_lshrrev_b32_e32 v57, 3, v51
	v_sub_u32_e32 v38, 29, v60
	v_and_b32_e32 v58, 7, v58
	v_cmp_gt_u32_e32 vcc, 8, v51
	v_mov_b32_e32 v51, 24
	v_cndmask_b32_e32 v38, v57, v38, vcc
	v_cndmask_b32_e32 v40, v40, v58, vcc
	v_lshlrev_b32_sdwa v51, v51, v41 dst_sel:DWORD dst_unused:UNUSED_PAD src0_sel:DWORD src1_sel:WORD_1
	v_bfrev_b32_e32 v57, 60
	v_lshlrev_b32_e32 v40, 20, v40
	v_and_b32_e32 v51, 0x80000000, v51
	v_lshl_add_u32 v38, v38, 23, v57
	v_or3_b32 v40, v51, v38, v40
.LBB606_195:
	s_or_b64 exec, exec, s[12:13]
.LBB606_196:
	s_or_b64 exec, exec, s[10:11]
.LBB606_197:
	s_or_b64 exec, exec, s[2:3]
	s_mov_b32 s2, 0xffffff
	v_cmp_lt_u32_e32 vcc, s2, v41
	v_mov_b32_e32 v51, 0
	v_mov_b32_e32 v57, 0
	s_and_saveexec_b64 s[2:3], vcc
	s_cbranch_execz .LBB606_203
; %bb.198:
	v_lshrrev_b32_e32 v38, 24, v41
	s_movk_i32 s10, 0x80
	v_cmp_ne_u32_e32 vcc, s10, v38
	v_bfrev_b32_e32 v57, 1
	s_and_saveexec_b64 s[10:11], vcc
	s_cbranch_execz .LBB606_202
; %bb.199:
	v_bfe_u32 v41, v41, 24, 7
	s_movk_i32 s12, 0x7f
	v_cmp_ne_u32_e32 vcc, s12, v41
	v_mov_b32_e32 v57, 0x7f800001
	s_and_saveexec_b64 s[12:13], vcc
	s_cbranch_execz .LBB606_201
; %bb.200:
	v_and_b32_e32 v57, 7, v38
	v_ffbh_u32_e32 v58, v57
	v_min_u32_e32 v61, 32, v58
	v_subrev_u32_e32 v58, 28, v61
	v_lshlrev_b64 v[58:59], v58, v[38:39]
	v_lshrrev_b32_e32 v60, 3, v41
	v_sub_u32_e32 v59, 29, v61
	v_and_b32_e32 v58, 7, v58
	v_cmp_gt_u32_e32 vcc, 8, v41
	v_cndmask_b32_e32 v41, v60, v59, vcc
	v_cndmask_b32_e32 v57, v57, v58, vcc
	v_lshlrev_b32_e32 v38, 24, v38
	v_bfrev_b32_e32 v58, 60
	v_lshlrev_b32_e32 v57, 20, v57
	v_and_b32_e32 v38, 0x80000000, v38
	v_lshl_add_u32 v41, v41, 23, v58
	v_or3_b32 v57, v38, v41, v57
.LBB606_201:
	s_or_b64 exec, exec, s[12:13]
.LBB606_202:
	s_or_b64 exec, exec, s[10:11]
.LBB606_203:
	s_or_b64 exec, exec, s[2:3]
	v_cvt_pkrtz_f16_f32 v38, v52, v53
	v_cvt_pkrtz_f16_f32 v39, v39, v55
	s_waitcnt vmcnt(5)
	v_cmp_ne_u16_sdwa s[10:11], v34, v51 src0_sel:BYTE_0 src1_sel:DWORD
	v_mfma_f32_16x16x16f16 v[42:45], v[38:39], v[18:19], v[42:45]
	v_cvt_pkrtz_f16_f32 v38, v54, v56
	v_cvt_pkrtz_f16_f32 v39, v40, v57
	s_nop 1
	v_mfma_f32_16x16x16f16 v[38:41], v[38:39], v[20:21], v[42:45]
	s_and_saveexec_b64 s[2:3], s[10:11]
	s_cbranch_execz .LBB606_209
; %bb.204:
	s_movk_i32 s10, 0x80
	v_cmp_ne_u16_sdwa s[12:13], v34, s10 src0_sel:BYTE_0 src1_sel:DWORD
	v_bfrev_b32_e32 v51, 1
	s_and_saveexec_b64 s[10:11], s[12:13]
	s_cbranch_execz .LBB606_208
; %bb.205:
	s_movk_i32 s12, 0x7f
	v_and_b32_e32 v42, 0x7f, v34
	v_cmp_ne_u32_e32 vcc, s12, v42
	v_mov_b32_e32 v51, 0x7f800001
	s_and_saveexec_b64 s[12:13], vcc
	s_cbranch_execz .LBB606_207
; %bb.206:
	v_and_b32_e32 v43, 7, v34
	v_ffbh_u32_e32 v44, v43
	v_min_u32_e32 v52, 32, v44
	v_subrev_u32_e32 v44, 28, v52
	v_lshlrev_b64 v[44:45], v44, v[34:35]
	v_lshrrev_b32_e32 v51, 3, v42
	v_sub_u32_e32 v45, 29, v52
	v_and_b32_e32 v44, 7, v44
	v_cmp_gt_u32_e32 vcc, 8, v42
	v_cndmask_b32_e32 v42, v51, v45, vcc
	v_cndmask_b32_e32 v43, v43, v44, vcc
	v_lshlrev_b32_e32 v44, 24, v34
	v_bfrev_b32_e32 v45, 60
	v_lshlrev_b32_e32 v43, 20, v43
	v_and_b32_e32 v44, 0x80000000, v44
	v_lshl_add_u32 v42, v42, 23, v45
	v_or3_b32 v51, v44, v42, v43
.LBB606_207:
	s_or_b64 exec, exec, s[12:13]
.LBB606_208:
	s_or_b64 exec, exec, s[10:11]
.LBB606_209:
	s_or_b64 exec, exec, s[2:3]
	s_nop 3
	v_lshrrev_b16_e32 v42, 8, v34
	v_cmp_ne_u16_e32 vcc, 0, v42
	v_mov_b32_e32 v43, 0
	v_mov_b32_e32 v44, 0
	s_and_saveexec_b64 s[2:3], vcc
	s_cbranch_execz .LBB606_215
; %bb.210:
	s_movk_i32 s10, 0x80
	v_cmp_ne_u16_e32 vcc, s10, v42
	v_bfrev_b32_e32 v44, 1
	s_and_saveexec_b64 s[10:11], vcc
	s_cbranch_execz .LBB606_214
; %bb.211:
	s_movk_i32 s12, 0x7f
	v_and_b32_e32 v45, 0x7f, v42
	v_cmp_ne_u32_e32 vcc, s12, v45
	v_mov_b32_e32 v44, 0x7f800001
	s_and_saveexec_b64 s[12:13], vcc
	s_cbranch_execz .LBB606_213
; %bb.212:
	v_and_b32_e32 v44, 7, v42
	v_ffbh_u32_e32 v52, v44
	v_min_u32_e32 v55, 32, v52
	v_subrev_u32_e32 v52, 28, v55
	v_lshlrev_b64 v[52:53], v52, v[42:43]
	v_lshrrev_b32_e32 v54, 3, v45
	v_sub_u32_e32 v42, 29, v55
	v_and_b32_e32 v52, 7, v52
	v_cmp_gt_u32_e32 vcc, 8, v45
	v_cndmask_b32_e32 v42, v54, v42, vcc
	v_cndmask_b32_e32 v44, v44, v52, vcc
	v_lshlrev_b32_e32 v45, 16, v34
	v_bfrev_b32_e32 v52, 60
	v_lshlrev_b32_e32 v44, 20, v44
	v_and_b32_e32 v45, 0x80000000, v45
	v_lshl_add_u32 v42, v42, 23, v52
	v_or3_b32 v44, v45, v42, v44
.LBB606_213:
	s_or_b64 exec, exec, s[12:13]
.LBB606_214:
	s_or_b64 exec, exec, s[10:11]
.LBB606_215:
	s_or_b64 exec, exec, s[2:3]
	s_movk_i32 s2, 0xff
	v_and_b32_sdwa v45, v34, s2 dst_sel:DWORD dst_unused:UNUSED_PAD src0_sel:WORD_1 src1_sel:DWORD
	v_lshrrev_b32_e32 v42, 16, v34
	v_cmp_ne_u16_e32 vcc, 0, v45
	s_and_saveexec_b64 s[2:3], vcc
	s_cbranch_execz .LBB606_221
; %bb.216:
	s_movk_i32 s10, 0x80
	v_cmp_ne_u16_e32 vcc, s10, v45
	v_bfrev_b32_e32 v43, 1
	s_and_saveexec_b64 s[10:11], vcc
	s_cbranch_execz .LBB606_220
; %bb.217:
	v_bfe_u32 v45, v34, 16, 7
	s_movk_i32 s12, 0x7f
	v_cmp_ne_u32_e32 vcc, s12, v45
	v_mov_b32_e32 v43, 0x7f800001
	s_and_saveexec_b64 s[12:13], vcc
	s_cbranch_execz .LBB606_219
; %bb.218:
	v_and_b32_e32 v52, 7, v42
	v_ffbh_u32_e32 v43, v52
	v_min_u32_e32 v54, 32, v43
	v_subrev_u32_e32 v43, 28, v54
	v_lshlrev_b64 v[42:43], v43, v[42:43]
	v_lshrrev_b32_e32 v53, 3, v45
	v_sub_u32_e32 v43, 29, v54
	v_and_b32_e32 v42, 7, v42
	v_cmp_gt_u32_e32 vcc, 8, v45
	v_mov_b32_e32 v45, 24
	v_cndmask_b32_e32 v43, v53, v43, vcc
	v_cndmask_b32_e32 v42, v52, v42, vcc
	v_lshlrev_b32_sdwa v45, v45, v34 dst_sel:DWORD dst_unused:UNUSED_PAD src0_sel:DWORD src1_sel:WORD_1
	v_bfrev_b32_e32 v52, 60
	v_lshlrev_b32_e32 v42, 20, v42
	v_and_b32_e32 v45, 0x80000000, v45
	v_lshl_add_u32 v43, v43, 23, v52
	v_or3_b32 v43, v45, v43, v42
.LBB606_219:
	s_or_b64 exec, exec, s[12:13]
.LBB606_220:
	s_or_b64 exec, exec, s[10:11]
.LBB606_221:
	s_or_b64 exec, exec, s[2:3]
	s_mov_b32 s2, 0xffffff
	v_cmp_lt_u32_e32 vcc, s2, v34
	v_mov_b32_e32 v45, 0
	v_mov_b32_e32 v53, 0
	s_and_saveexec_b64 s[2:3], vcc
	s_cbranch_execz .LBB606_227
; %bb.222:
	v_lshrrev_b32_e32 v42, 24, v34
	s_movk_i32 s10, 0x80
	v_cmp_ne_u32_e32 vcc, s10, v42
	v_bfrev_b32_e32 v53, 1
	s_and_saveexec_b64 s[10:11], vcc
	s_cbranch_execz .LBB606_226
; %bb.223:
	v_bfe_u32 v34, v34, 24, 7
	s_movk_i32 s12, 0x7f
	v_cmp_ne_u32_e32 vcc, s12, v34
	v_mov_b32_e32 v53, 0x7f800001
	s_and_saveexec_b64 s[12:13], vcc
	s_cbranch_execz .LBB606_225
; %bb.224:
	v_and_b32_e32 v54, 7, v42
	v_ffbh_u32_e32 v52, v54
	v_min_u32_e32 v56, 32, v52
	v_subrev_u32_e32 v52, 28, v56
	v_lshlrev_b64 v[52:53], v52, v[42:43]
	v_lshrrev_b32_e32 v55, 3, v34
	v_sub_u32_e32 v53, 29, v56
	v_and_b32_e32 v52, 7, v52
	v_cmp_gt_u32_e32 vcc, 8, v34
	v_cndmask_b32_e32 v34, v55, v53, vcc
	v_cndmask_b32_e32 v52, v54, v52, vcc
	v_lshlrev_b32_e32 v42, 24, v42
	v_bfrev_b32_e32 v53, 60
	v_lshlrev_b32_e32 v52, 20, v52
	v_and_b32_e32 v42, 0x80000000, v42
	v_lshl_add_u32 v34, v34, 23, v53
	v_or3_b32 v53, v42, v34, v52
.LBB606_225:
	s_or_b64 exec, exec, s[12:13]
.LBB606_226:
	s_or_b64 exec, exec, s[10:11]
.LBB606_227:
	s_or_b64 exec, exec, s[2:3]
	v_cmp_ne_u16_sdwa s[10:11], v35, v45 src0_sel:BYTE_0 src1_sel:DWORD
	s_and_saveexec_b64 s[2:3], s[10:11]
	s_cbranch_execz .LBB606_233
; %bb.228:
	s_movk_i32 s10, 0x80
	v_cmp_ne_u16_sdwa s[12:13], v35, s10 src0_sel:BYTE_0 src1_sel:DWORD
	v_bfrev_b32_e32 v45, 1
	s_and_saveexec_b64 s[10:11], s[12:13]
	s_cbranch_execz .LBB606_232
; %bb.229:
	s_movk_i32 s12, 0x7f
	v_and_b32_e32 v34, 0x7f, v35
	v_cmp_ne_u32_e32 vcc, s12, v34
	v_mov_b32_e32 v45, 0x7f800001
	s_and_saveexec_b64 s[12:13], vcc
	s_cbranch_execz .LBB606_231
; %bb.230:
	v_and_b32_e32 v45, 7, v35
	v_ffbh_u32_e32 v54, v45
	v_min_u32_e32 v56, 32, v54
	v_mov_b32_e32 v42, v35
	v_subrev_u32_e32 v54, 28, v56
	v_lshlrev_b64 v[54:55], v54, v[42:43]
	v_lshrrev_b32_e32 v52, 3, v34
	v_sub_u32_e32 v42, 29, v56
	v_and_b32_e32 v54, 7, v54
	v_cmp_gt_u32_e32 vcc, 8, v34
	v_cndmask_b32_e32 v34, v52, v42, vcc
	v_cndmask_b32_e32 v42, v45, v54, vcc
	v_lshlrev_b32_e32 v45, 24, v35
	v_bfrev_b32_e32 v52, 60
	v_lshlrev_b32_e32 v42, 20, v42
	v_and_b32_e32 v45, 0x80000000, v45
	v_lshl_add_u32 v34, v34, 23, v52
	v_or3_b32 v45, v45, v34, v42
.LBB606_231:
	s_or_b64 exec, exec, s[12:13]
.LBB606_232:
	s_or_b64 exec, exec, s[10:11]
.LBB606_233:
	s_or_b64 exec, exec, s[2:3]
	v_lshrrev_b16_e32 v34, 8, v35
	v_cmp_ne_u16_e32 vcc, 0, v34
	v_mov_b32_e32 v42, 0
	v_mov_b32_e32 v54, 0
	s_and_saveexec_b64 s[2:3], vcc
	s_cbranch_execz .LBB606_239
; %bb.234:
	s_movk_i32 s10, 0x80
	v_cmp_ne_u16_e32 vcc, s10, v34
	v_bfrev_b32_e32 v54, 1
	s_and_saveexec_b64 s[10:11], vcc
	s_cbranch_execz .LBB606_238
; %bb.235:
	s_movk_i32 s12, 0x7f
	v_and_b32_e32 v52, 0x7f, v34
	v_cmp_ne_u32_e32 vcc, s12, v52
	v_mov_b32_e32 v54, 0x7f800001
	s_and_saveexec_b64 s[12:13], vcc
	s_cbranch_execz .LBB606_237
; %bb.236:
	v_and_b32_e32 v56, 7, v34
	v_ffbh_u32_e32 v54, v56
	v_min_u32_e32 v58, 32, v54
	v_subrev_u32_e32 v54, 28, v58
	v_lshlrev_b64 v[54:55], v54, v[34:35]
	v_lshrrev_b32_e32 v57, 3, v52
	v_sub_u32_e32 v34, 29, v58
	v_and_b32_e32 v54, 7, v54
	v_cmp_gt_u32_e32 vcc, 8, v52
	v_cndmask_b32_e32 v34, v57, v34, vcc
	v_cndmask_b32_e32 v52, v56, v54, vcc
	v_lshlrev_b32_e32 v54, 16, v35
	v_bfrev_b32_e32 v55, 60
	v_lshlrev_b32_e32 v52, 20, v52
	v_and_b32_e32 v54, 0x80000000, v54
	v_lshl_add_u32 v34, v34, 23, v55
	v_or3_b32 v54, v54, v34, v52
.LBB606_237:
	s_or_b64 exec, exec, s[12:13]
.LBB606_238:
	s_or_b64 exec, exec, s[10:11]
.LBB606_239:
	s_or_b64 exec, exec, s[2:3]
	s_movk_i32 s2, 0xff
	v_and_b32_sdwa v52, v35, s2 dst_sel:DWORD dst_unused:UNUSED_PAD src0_sel:WORD_1 src1_sel:DWORD
	v_lshrrev_b32_e32 v34, 16, v35
	v_cmp_ne_u16_e32 vcc, 0, v52
	s_and_saveexec_b64 s[2:3], vcc
	s_cbranch_execz .LBB606_245
; %bb.240:
	s_movk_i32 s10, 0x80
	v_cmp_ne_u16_e32 vcc, s10, v52
	v_bfrev_b32_e32 v42, 1
	s_and_saveexec_b64 s[10:11], vcc
	s_cbranch_execz .LBB606_244
; %bb.241:
	v_bfe_u32 v52, v35, 16, 7
	s_movk_i32 s12, 0x7f
	v_cmp_ne_u32_e32 vcc, s12, v52
	v_mov_b32_e32 v42, 0x7f800001
	s_and_saveexec_b64 s[12:13], vcc
	s_cbranch_execz .LBB606_243
; %bb.242:
	v_and_b32_e32 v42, 7, v34
	v_ffbh_u32_e32 v56, v42
	v_min_u32_e32 v58, 32, v56
	v_subrev_u32_e32 v56, 28, v58
	v_lshlrev_b64 v[56:57], v56, v[34:35]
	v_lshrrev_b32_e32 v55, 3, v52
	v_sub_u32_e32 v34, 29, v58
	v_and_b32_e32 v56, 7, v56
	v_cmp_gt_u32_e32 vcc, 8, v52
	v_mov_b32_e32 v52, 24
	v_cndmask_b32_e32 v34, v55, v34, vcc
	v_cndmask_b32_e32 v42, v42, v56, vcc
	v_lshlrev_b32_sdwa v52, v52, v35 dst_sel:DWORD dst_unused:UNUSED_PAD src0_sel:DWORD src1_sel:WORD_1
	v_bfrev_b32_e32 v55, 60
	v_lshlrev_b32_e32 v42, 20, v42
	v_and_b32_e32 v52, 0x80000000, v52
	v_lshl_add_u32 v34, v34, 23, v55
	v_or3_b32 v42, v52, v34, v42
.LBB606_243:
	s_or_b64 exec, exec, s[12:13]
.LBB606_244:
	s_or_b64 exec, exec, s[10:11]
.LBB606_245:
	s_or_b64 exec, exec, s[2:3]
	s_mov_b32 s2, 0xffffff
	v_cmp_lt_u32_e32 vcc, s2, v35
	v_mov_b32_e32 v52, 0
	v_mov_b32_e32 v55, 0
	s_and_saveexec_b64 s[2:3], vcc
	s_cbranch_execz .LBB606_251
; %bb.246:
	v_lshrrev_b32_e32 v34, 24, v35
	s_movk_i32 s10, 0x80
	v_cmp_ne_u32_e32 vcc, s10, v34
	v_bfrev_b32_e32 v55, 1
	s_and_saveexec_b64 s[10:11], vcc
	s_cbranch_execz .LBB606_250
; %bb.247:
	v_bfe_u32 v35, v35, 24, 7
	s_movk_i32 s12, 0x7f
	v_cmp_ne_u32_e32 vcc, s12, v35
	v_mov_b32_e32 v55, 0x7f800001
	s_and_saveexec_b64 s[12:13], vcc
	s_cbranch_execz .LBB606_249
; %bb.248:
	v_and_b32_e32 v55, 7, v34
	v_ffbh_u32_e32 v56, v55
	v_min_u32_e32 v59, 32, v56
	v_subrev_u32_e32 v56, 28, v59
	v_lshlrev_b64 v[56:57], v56, v[34:35]
	v_lshrrev_b32_e32 v58, 3, v35
	v_sub_u32_e32 v57, 29, v59
	v_and_b32_e32 v56, 7, v56
	v_cmp_gt_u32_e32 vcc, 8, v35
	v_cndmask_b32_e32 v35, v58, v57, vcc
	v_cndmask_b32_e32 v55, v55, v56, vcc
	v_lshlrev_b32_e32 v34, 24, v34
	v_bfrev_b32_e32 v56, 60
	v_lshlrev_b32_e32 v55, 20, v55
	v_and_b32_e32 v34, 0x80000000, v34
	v_lshl_add_u32 v35, v35, 23, v56
	v_or3_b32 v55, v34, v35, v55
.LBB606_249:
	s_or_b64 exec, exec, s[12:13]
.LBB606_250:
	s_or_b64 exec, exec, s[10:11]
.LBB606_251:
	s_or_b64 exec, exec, s[2:3]
	v_cvt_pkrtz_f16_f32 v34, v51, v44
	v_cvt_pkrtz_f16_f32 v35, v43, v53
	v_cmp_ne_u16_sdwa s[10:11], v36, v52 src0_sel:BYTE_0 src1_sel:DWORD
	s_nop 0
	v_mfma_f32_16x16x16f16 v[56:59], v[34:35], v[26:27], 0
	v_cvt_pkrtz_f16_f32 v34, v45, v54
	v_cvt_pkrtz_f16_f32 v35, v42, v55
	s_nop 1
	v_mfma_f32_16x16x16f16 v[42:45], v[34:35], v[28:29], v[56:59]
	s_and_saveexec_b64 s[2:3], s[10:11]
	s_cbranch_execz .LBB606_257
; %bb.252:
	s_movk_i32 s10, 0x80
	v_cmp_ne_u16_sdwa s[12:13], v36, s10 src0_sel:BYTE_0 src1_sel:DWORD
	v_bfrev_b32_e32 v52, 1
	s_and_saveexec_b64 s[10:11], s[12:13]
	s_cbranch_execz .LBB606_256
; %bb.253:
	s_movk_i32 s12, 0x7f
	v_and_b32_e32 v34, 0x7f, v36
	v_cmp_ne_u32_e32 vcc, s12, v34
	v_mov_b32_e32 v52, 0x7f800001
	s_and_saveexec_b64 s[12:13], vcc
	s_cbranch_execz .LBB606_255
; %bb.254:
	v_and_b32_e32 v35, 7, v36
	v_ffbh_u32_e32 v52, v35
	v_min_u32_e32 v54, 32, v52
	v_subrev_u32_e32 v52, 28, v54
	v_lshlrev_b64 v[52:53], v52, v[36:37]
	v_lshrrev_b32_e32 v51, 3, v34
	v_sub_u32_e32 v53, 29, v54
	v_and_b32_e32 v52, 7, v52
	v_cmp_gt_u32_e32 vcc, 8, v34
	v_cndmask_b32_e32 v34, v51, v53, vcc
	v_cndmask_b32_e32 v35, v35, v52, vcc
	v_lshlrev_b32_e32 v51, 24, v36
	v_bfrev_b32_e32 v52, 60
	v_lshlrev_b32_e32 v35, 20, v35
	v_and_b32_e32 v51, 0x80000000, v51
	v_lshl_add_u32 v34, v34, 23, v52
	v_or3_b32 v52, v51, v34, v35
.LBB606_255:
	s_or_b64 exec, exec, s[12:13]
.LBB606_256:
	s_or_b64 exec, exec, s[10:11]
.LBB606_257:
	s_or_b64 exec, exec, s[2:3]
	v_lshrrev_b16_e32 v34, 8, v36
	v_cmp_ne_u16_e32 vcc, 0, v34
	v_mov_b32_e32 v35, 0
	v_mov_b32_e32 v53, 0
	s_and_saveexec_b64 s[2:3], vcc
	s_cbranch_execz .LBB606_263
; %bb.258:
	s_movk_i32 s10, 0x80
	v_cmp_ne_u16_e32 vcc, s10, v34
	v_bfrev_b32_e32 v53, 1
	s_and_saveexec_b64 s[10:11], vcc
	s_cbranch_execz .LBB606_262
; %bb.259:
	s_movk_i32 s12, 0x7f
	v_and_b32_e32 v51, 0x7f, v34
	v_cmp_ne_u32_e32 vcc, s12, v51
	v_mov_b32_e32 v53, 0x7f800001
	s_and_saveexec_b64 s[12:13], vcc
	s_cbranch_execz .LBB606_261
; %bb.260:
	v_and_b32_e32 v53, 7, v34
	v_ffbh_u32_e32 v54, v53
	v_min_u32_e32 v57, 32, v54
	v_subrev_u32_e32 v54, 28, v57
	v_lshlrev_b64 v[54:55], v54, v[34:35]
	v_lshrrev_b32_e32 v56, 3, v51
	v_sub_u32_e32 v34, 29, v57
	v_and_b32_e32 v54, 7, v54
	v_cmp_gt_u32_e32 vcc, 8, v51
	v_cndmask_b32_e32 v34, v56, v34, vcc
	v_cndmask_b32_e32 v51, v53, v54, vcc
	v_lshlrev_b32_e32 v53, 16, v36
	v_bfrev_b32_e32 v54, 60
	v_lshlrev_b32_e32 v51, 20, v51
	v_and_b32_e32 v53, 0x80000000, v53
	v_lshl_add_u32 v34, v34, 23, v54
	v_or3_b32 v53, v53, v34, v51
.LBB606_261:
	s_or_b64 exec, exec, s[12:13]
.LBB606_262:
	s_or_b64 exec, exec, s[10:11]
.LBB606_263:
	s_or_b64 exec, exec, s[2:3]
	s_movk_i32 s2, 0xff
	v_and_b32_sdwa v51, v36, s2 dst_sel:DWORD dst_unused:UNUSED_PAD src0_sel:WORD_1 src1_sel:DWORD
	v_lshrrev_b32_e32 v34, 16, v36
	v_cmp_ne_u16_e32 vcc, 0, v51
	s_and_saveexec_b64 s[2:3], vcc
	s_cbranch_execz .LBB606_269
; %bb.264:
	s_movk_i32 s10, 0x80
	v_cmp_ne_u16_e32 vcc, s10, v51
	v_bfrev_b32_e32 v35, 1
	s_and_saveexec_b64 s[10:11], vcc
	s_cbranch_execz .LBB606_268
; %bb.265:
	v_bfe_u32 v51, v36, 16, 7
	s_movk_i32 s12, 0x7f
	v_cmp_ne_u32_e32 vcc, s12, v51
	v_mov_b32_e32 v35, 0x7f800001
	s_and_saveexec_b64 s[12:13], vcc
	s_cbranch_execz .LBB606_267
; %bb.266:
	v_and_b32_e32 v54, 7, v34
	v_ffbh_u32_e32 v35, v54
	v_min_u32_e32 v56, 32, v35
	v_subrev_u32_e32 v35, 28, v56
	v_lshlrev_b64 v[34:35], v35, v[34:35]
	v_lshrrev_b32_e32 v55, 3, v51
	v_sub_u32_e32 v35, 29, v56
	v_and_b32_e32 v34, 7, v34
	v_cmp_gt_u32_e32 vcc, 8, v51
	v_mov_b32_e32 v51, 24
	v_cndmask_b32_e32 v35, v55, v35, vcc
	v_cndmask_b32_e32 v34, v54, v34, vcc
	v_lshlrev_b32_sdwa v51, v51, v36 dst_sel:DWORD dst_unused:UNUSED_PAD src0_sel:DWORD src1_sel:WORD_1
	v_bfrev_b32_e32 v54, 60
	v_lshlrev_b32_e32 v34, 20, v34
	v_and_b32_e32 v51, 0x80000000, v51
	v_lshl_add_u32 v35, v35, 23, v54
	v_or3_b32 v35, v51, v35, v34
.LBB606_267:
	s_or_b64 exec, exec, s[12:13]
.LBB606_268:
	s_or_b64 exec, exec, s[10:11]
.LBB606_269:
	s_or_b64 exec, exec, s[2:3]
	s_mov_b32 s2, 0xffffff
	v_cmp_lt_u32_e32 vcc, s2, v36
	v_mov_b32_e32 v54, 0
	v_mov_b32_e32 v55, 0
	s_and_saveexec_b64 s[2:3], vcc
	s_cbranch_execz .LBB606_275
; %bb.270:
	v_lshrrev_b32_e32 v34, 24, v36
	s_movk_i32 s10, 0x80
	v_cmp_ne_u32_e32 vcc, s10, v34
	v_bfrev_b32_e32 v55, 1
	s_and_saveexec_b64 s[10:11], vcc
	s_cbranch_execz .LBB606_274
; %bb.271:
	v_bfe_u32 v36, v36, 24, 7
	s_movk_i32 s12, 0x7f
	v_cmp_ne_u32_e32 vcc, s12, v36
	v_mov_b32_e32 v55, 0x7f800001
	s_and_saveexec_b64 s[12:13], vcc
	s_cbranch_execz .LBB606_273
; %bb.272:
	v_and_b32_e32 v51, 7, v34
	v_ffbh_u32_e32 v56, v51
	v_min_u32_e32 v58, 32, v56
	v_subrev_u32_e32 v56, 28, v58
	v_lshlrev_b64 v[56:57], v56, v[34:35]
	v_lshrrev_b32_e32 v55, 3, v36
	v_sub_u32_e32 v57, 29, v58
	v_and_b32_e32 v56, 7, v56
	v_cmp_gt_u32_e32 vcc, 8, v36
	v_cndmask_b32_e32 v36, v55, v57, vcc
	v_cndmask_b32_e32 v51, v51, v56, vcc
	v_lshlrev_b32_e32 v34, 24, v34
	v_bfrev_b32_e32 v55, 60
	v_lshlrev_b32_e32 v51, 20, v51
	v_and_b32_e32 v34, 0x80000000, v34
	v_lshl_add_u32 v36, v36, 23, v55
	v_or3_b32 v55, v34, v36, v51
.LBB606_273:
	s_or_b64 exec, exec, s[12:13]
.LBB606_274:
	s_or_b64 exec, exec, s[10:11]
.LBB606_275:
	s_or_b64 exec, exec, s[2:3]
	v_cmp_ne_u16_sdwa s[10:11], v37, v54 src0_sel:BYTE_0 src1_sel:DWORD
	s_and_saveexec_b64 s[2:3], s[10:11]
	s_cbranch_execz .LBB606_281
; %bb.276:
	s_movk_i32 s10, 0x80
	v_cmp_ne_u16_sdwa s[12:13], v37, s10 src0_sel:BYTE_0 src1_sel:DWORD
	v_bfrev_b32_e32 v54, 1
	s_and_saveexec_b64 s[10:11], s[12:13]
	s_cbranch_execz .LBB606_280
; %bb.277:
	s_movk_i32 s12, 0x7f
	v_and_b32_e32 v34, 0x7f, v37
	v_cmp_ne_u32_e32 vcc, s12, v34
	v_mov_b32_e32 v54, 0x7f800001
	s_and_saveexec_b64 s[12:13], vcc
	s_cbranch_execz .LBB606_279
; %bb.278:
	v_and_b32_e32 v51, 7, v37
	v_ffbh_u32_e32 v56, v51
	v_min_u32_e32 v58, 32, v56
	v_mov_b32_e32 v36, v37
	v_subrev_u32_e32 v56, 28, v58
	v_lshlrev_b64 v[56:57], v56, v[36:37]
	v_lshrrev_b32_e32 v54, 3, v34
	v_sub_u32_e32 v36, 29, v58
	v_and_b32_e32 v56, 7, v56
	v_cmp_gt_u32_e32 vcc, 8, v34
	v_cndmask_b32_e32 v34, v54, v36, vcc
	v_cndmask_b32_e32 v36, v51, v56, vcc
	v_lshlrev_b32_e32 v51, 24, v37
	v_bfrev_b32_e32 v54, 60
	v_lshlrev_b32_e32 v36, 20, v36
	v_and_b32_e32 v51, 0x80000000, v51
	v_lshl_add_u32 v34, v34, 23, v54
	v_or3_b32 v54, v51, v34, v36
.LBB606_279:
	s_or_b64 exec, exec, s[12:13]
.LBB606_280:
	s_or_b64 exec, exec, s[10:11]
.LBB606_281:
	s_or_b64 exec, exec, s[2:3]
	v_lshrrev_b16_e32 v34, 8, v37
	v_cmp_ne_u16_e32 vcc, 0, v34
	v_mov_b32_e32 v36, 0
	v_mov_b32_e32 v56, 0
	s_and_saveexec_b64 s[2:3], vcc
	s_cbranch_execz .LBB606_287
; %bb.282:
	s_movk_i32 s10, 0x80
	v_cmp_ne_u16_e32 vcc, s10, v34
	v_bfrev_b32_e32 v56, 1
	s_and_saveexec_b64 s[10:11], vcc
	s_cbranch_execz .LBB606_286
; %bb.283:
	s_movk_i32 s12, 0x7f
	v_and_b32_e32 v51, 0x7f, v34
	v_cmp_ne_u32_e32 vcc, s12, v51
	v_mov_b32_e32 v56, 0x7f800001
	s_and_saveexec_b64 s[12:13], vcc
	s_cbranch_execz .LBB606_285
; %bb.284:
	v_and_b32_e32 v58, 7, v34
	v_ffbh_u32_e32 v56, v58
	v_min_u32_e32 v60, 32, v56
	v_subrev_u32_e32 v56, 28, v60
	v_lshlrev_b64 v[56:57], v56, v[34:35]
	v_lshrrev_b32_e32 v59, 3, v51
	v_sub_u32_e32 v34, 29, v60
	v_and_b32_e32 v56, 7, v56
	v_cmp_gt_u32_e32 vcc, 8, v51
	v_cndmask_b32_e32 v34, v59, v34, vcc
	v_cndmask_b32_e32 v51, v58, v56, vcc
	v_lshlrev_b32_e32 v56, 16, v37
	v_bfrev_b32_e32 v57, 60
	v_lshlrev_b32_e32 v51, 20, v51
	v_and_b32_e32 v56, 0x80000000, v56
	v_lshl_add_u32 v34, v34, 23, v57
	v_or3_b32 v56, v56, v34, v51
.LBB606_285:
	s_or_b64 exec, exec, s[12:13]
.LBB606_286:
	s_or_b64 exec, exec, s[10:11]
.LBB606_287:
	s_or_b64 exec, exec, s[2:3]
	s_movk_i32 s2, 0xff
	v_and_b32_sdwa v51, v37, s2 dst_sel:DWORD dst_unused:UNUSED_PAD src0_sel:WORD_1 src1_sel:DWORD
	v_lshrrev_b32_e32 v34, 16, v37
	v_cmp_ne_u16_e32 vcc, 0, v51
	s_and_saveexec_b64 s[2:3], vcc
	s_cbranch_execz .LBB606_293
; %bb.288:
	s_movk_i32 s10, 0x80
	v_cmp_ne_u16_e32 vcc, s10, v51
	v_bfrev_b32_e32 v36, 1
	s_and_saveexec_b64 s[10:11], vcc
	s_cbranch_execz .LBB606_292
; %bb.289:
	v_bfe_u32 v51, v37, 16, 7
	s_movk_i32 s12, 0x7f
	v_cmp_ne_u32_e32 vcc, s12, v51
	v_mov_b32_e32 v36, 0x7f800001
	s_and_saveexec_b64 s[12:13], vcc
	s_cbranch_execz .LBB606_291
; %bb.290:
	v_and_b32_e32 v36, 7, v34
	v_ffbh_u32_e32 v58, v36
	v_min_u32_e32 v60, 32, v58
	v_subrev_u32_e32 v58, 28, v60
	v_lshlrev_b64 v[58:59], v58, v[34:35]
	v_lshrrev_b32_e32 v57, 3, v51
	v_sub_u32_e32 v34, 29, v60
	v_and_b32_e32 v58, 7, v58
	v_cmp_gt_u32_e32 vcc, 8, v51
	v_mov_b32_e32 v51, 24
	v_cndmask_b32_e32 v34, v57, v34, vcc
	v_cndmask_b32_e32 v36, v36, v58, vcc
	v_lshlrev_b32_sdwa v51, v51, v37 dst_sel:DWORD dst_unused:UNUSED_PAD src0_sel:DWORD src1_sel:WORD_1
	v_bfrev_b32_e32 v57, 60
	v_lshlrev_b32_e32 v36, 20, v36
	v_and_b32_e32 v51, 0x80000000, v51
	v_lshl_add_u32 v34, v34, 23, v57
	v_or3_b32 v36, v51, v34, v36
.LBB606_291:
	s_or_b64 exec, exec, s[12:13]
.LBB606_292:
	s_or_b64 exec, exec, s[10:11]
.LBB606_293:
	s_or_b64 exec, exec, s[2:3]
	s_mov_b32 s2, 0xffffff
	v_cmp_lt_u32_e32 vcc, s2, v37
	v_mov_b32_e32 v51, 0
	v_mov_b32_e32 v57, 0
	s_and_saveexec_b64 s[2:3], vcc
	s_cbranch_execz .LBB606_299
; %bb.294:
	v_lshrrev_b32_e32 v34, 24, v37
	s_movk_i32 s10, 0x80
	v_cmp_ne_u32_e32 vcc, s10, v34
	v_bfrev_b32_e32 v57, 1
	s_and_saveexec_b64 s[10:11], vcc
	s_cbranch_execz .LBB606_298
; %bb.295:
	v_bfe_u32 v37, v37, 24, 7
	s_movk_i32 s12, 0x7f
	v_cmp_ne_u32_e32 vcc, s12, v37
	v_mov_b32_e32 v57, 0x7f800001
	s_and_saveexec_b64 s[12:13], vcc
	s_cbranch_execz .LBB606_297
; %bb.296:
	v_and_b32_e32 v57, 7, v34
	v_ffbh_u32_e32 v58, v57
	v_min_u32_e32 v61, 32, v58
	v_subrev_u32_e32 v58, 28, v61
	v_lshlrev_b64 v[58:59], v58, v[34:35]
	v_lshrrev_b32_e32 v60, 3, v37
	v_sub_u32_e32 v59, 29, v61
	v_and_b32_e32 v58, 7, v58
	v_cmp_gt_u32_e32 vcc, 8, v37
	v_cndmask_b32_e32 v37, v60, v59, vcc
	v_cndmask_b32_e32 v57, v57, v58, vcc
	v_lshlrev_b32_e32 v34, 24, v34
	v_bfrev_b32_e32 v58, 60
	v_lshlrev_b32_e32 v57, 20, v57
	v_and_b32_e32 v34, 0x80000000, v34
	v_lshl_add_u32 v37, v37, 23, v58
	v_or3_b32 v57, v34, v37, v57
.LBB606_297:
	s_or_b64 exec, exec, s[12:13]
.LBB606_298:
	s_or_b64 exec, exec, s[10:11]
.LBB606_299:
	s_or_b64 exec, exec, s[2:3]
	v_cvt_pkrtz_f16_f32 v34, v52, v53
	v_cvt_pkrtz_f16_f32 v35, v35, v55
	s_waitcnt vmcnt(4)
	v_cmp_ne_u16_sdwa s[10:11], v22, v51 src0_sel:BYTE_0 src1_sel:DWORD
	v_mfma_f32_16x16x16f16 v[42:45], v[34:35], v[18:19], v[42:45]
	v_cvt_pkrtz_f16_f32 v34, v54, v56
	v_cvt_pkrtz_f16_f32 v35, v36, v57
	s_nop 1
	v_mfma_f32_16x16x16f16 v[34:37], v[34:35], v[20:21], v[42:45]
	s_and_saveexec_b64 s[2:3], s[10:11]
	s_cbranch_execz .LBB606_305
; %bb.300:
	s_movk_i32 s10, 0x80
	v_cmp_ne_u16_sdwa s[12:13], v22, s10 src0_sel:BYTE_0 src1_sel:DWORD
	v_bfrev_b32_e32 v51, 1
	s_and_saveexec_b64 s[10:11], s[12:13]
	s_cbranch_execz .LBB606_304
; %bb.301:
	s_movk_i32 s12, 0x7f
	v_and_b32_e32 v42, 0x7f, v22
	v_cmp_ne_u32_e32 vcc, s12, v42
	v_mov_b32_e32 v51, 0x7f800001
	s_and_saveexec_b64 s[12:13], vcc
	s_cbranch_execz .LBB606_303
; %bb.302:
	v_and_b32_e32 v43, 7, v22
	v_ffbh_u32_e32 v44, v43
	v_min_u32_e32 v52, 32, v44
	v_subrev_u32_e32 v44, 28, v52
	v_lshlrev_b64 v[44:45], v44, v[22:23]
	v_lshrrev_b32_e32 v51, 3, v42
	v_sub_u32_e32 v45, 29, v52
	v_and_b32_e32 v44, 7, v44
	v_cmp_gt_u32_e32 vcc, 8, v42
	v_cndmask_b32_e32 v42, v51, v45, vcc
	v_cndmask_b32_e32 v43, v43, v44, vcc
	v_lshlrev_b32_e32 v44, 24, v22
	v_bfrev_b32_e32 v45, 60
	v_lshlrev_b32_e32 v43, 20, v43
	v_and_b32_e32 v44, 0x80000000, v44
	v_lshl_add_u32 v42, v42, 23, v45
	v_or3_b32 v51, v44, v42, v43
.LBB606_303:
	s_or_b64 exec, exec, s[12:13]
.LBB606_304:
	s_or_b64 exec, exec, s[10:11]
.LBB606_305:
	s_or_b64 exec, exec, s[2:3]
	s_nop 3
	v_lshrrev_b16_e32 v42, 8, v22
	v_cmp_ne_u16_e32 vcc, 0, v42
	v_mov_b32_e32 v43, 0
	v_mov_b32_e32 v44, 0
	s_and_saveexec_b64 s[2:3], vcc
	s_cbranch_execz .LBB606_311
; %bb.306:
	s_movk_i32 s10, 0x80
	v_cmp_ne_u16_e32 vcc, s10, v42
	v_bfrev_b32_e32 v44, 1
	s_and_saveexec_b64 s[10:11], vcc
	s_cbranch_execz .LBB606_310
; %bb.307:
	s_movk_i32 s12, 0x7f
	v_and_b32_e32 v45, 0x7f, v42
	v_cmp_ne_u32_e32 vcc, s12, v45
	v_mov_b32_e32 v44, 0x7f800001
	s_and_saveexec_b64 s[12:13], vcc
	s_cbranch_execz .LBB606_309
; %bb.308:
	v_and_b32_e32 v44, 7, v42
	v_ffbh_u32_e32 v52, v44
	v_min_u32_e32 v55, 32, v52
	v_subrev_u32_e32 v52, 28, v55
	v_lshlrev_b64 v[52:53], v52, v[42:43]
	v_lshrrev_b32_e32 v54, 3, v45
	v_sub_u32_e32 v42, 29, v55
	v_and_b32_e32 v52, 7, v52
	v_cmp_gt_u32_e32 vcc, 8, v45
	v_cndmask_b32_e32 v42, v54, v42, vcc
	v_cndmask_b32_e32 v44, v44, v52, vcc
	v_lshlrev_b32_e32 v45, 16, v22
	v_bfrev_b32_e32 v52, 60
	v_lshlrev_b32_e32 v44, 20, v44
	v_and_b32_e32 v45, 0x80000000, v45
	v_lshl_add_u32 v42, v42, 23, v52
	v_or3_b32 v44, v45, v42, v44
.LBB606_309:
	s_or_b64 exec, exec, s[12:13]
.LBB606_310:
	s_or_b64 exec, exec, s[10:11]
.LBB606_311:
	s_or_b64 exec, exec, s[2:3]
	s_movk_i32 s2, 0xff
	v_and_b32_sdwa v45, v22, s2 dst_sel:DWORD dst_unused:UNUSED_PAD src0_sel:WORD_1 src1_sel:DWORD
	v_lshrrev_b32_e32 v42, 16, v22
	v_cmp_ne_u16_e32 vcc, 0, v45
	s_and_saveexec_b64 s[2:3], vcc
	s_cbranch_execz .LBB606_317
; %bb.312:
	s_movk_i32 s10, 0x80
	v_cmp_ne_u16_e32 vcc, s10, v45
	v_bfrev_b32_e32 v43, 1
	s_and_saveexec_b64 s[10:11], vcc
	s_cbranch_execz .LBB606_316
; %bb.313:
	v_bfe_u32 v45, v22, 16, 7
	s_movk_i32 s12, 0x7f
	v_cmp_ne_u32_e32 vcc, s12, v45
	v_mov_b32_e32 v43, 0x7f800001
	s_and_saveexec_b64 s[12:13], vcc
	s_cbranch_execz .LBB606_315
; %bb.314:
	v_and_b32_e32 v52, 7, v42
	v_ffbh_u32_e32 v43, v52
	v_min_u32_e32 v54, 32, v43
	v_subrev_u32_e32 v43, 28, v54
	v_lshlrev_b64 v[42:43], v43, v[42:43]
	v_lshrrev_b32_e32 v53, 3, v45
	v_sub_u32_e32 v43, 29, v54
	v_and_b32_e32 v42, 7, v42
	v_cmp_gt_u32_e32 vcc, 8, v45
	v_mov_b32_e32 v45, 24
	v_cndmask_b32_e32 v43, v53, v43, vcc
	v_cndmask_b32_e32 v42, v52, v42, vcc
	v_lshlrev_b32_sdwa v45, v45, v22 dst_sel:DWORD dst_unused:UNUSED_PAD src0_sel:DWORD src1_sel:WORD_1
	v_bfrev_b32_e32 v52, 60
	v_lshlrev_b32_e32 v42, 20, v42
	v_and_b32_e32 v45, 0x80000000, v45
	v_lshl_add_u32 v43, v43, 23, v52
	v_or3_b32 v43, v45, v43, v42
.LBB606_315:
	s_or_b64 exec, exec, s[12:13]
.LBB606_316:
	s_or_b64 exec, exec, s[10:11]
.LBB606_317:
	s_or_b64 exec, exec, s[2:3]
	s_mov_b32 s2, 0xffffff
	v_cmp_lt_u32_e32 vcc, s2, v22
	v_mov_b32_e32 v45, 0
	v_mov_b32_e32 v52, 0
	s_and_saveexec_b64 s[2:3], vcc
	s_cbranch_execz .LBB606_323
; %bb.318:
	v_lshrrev_b32_e32 v42, 24, v22
	s_movk_i32 s10, 0x80
	v_cmp_ne_u32_e32 vcc, s10, v42
	v_bfrev_b32_e32 v52, 1
	s_and_saveexec_b64 s[10:11], vcc
	s_cbranch_execz .LBB606_322
; %bb.319:
	v_bfe_u32 v22, v22, 24, 7
	s_movk_i32 s12, 0x7f
	v_cmp_ne_u32_e32 vcc, s12, v22
	v_mov_b32_e32 v52, 0x7f800001
	s_and_saveexec_b64 s[12:13], vcc
	s_cbranch_execz .LBB606_321
; %bb.320:
	v_and_b32_e32 v54, 7, v42
	v_ffbh_u32_e32 v52, v54
	v_min_u32_e32 v56, 32, v52
	v_subrev_u32_e32 v52, 28, v56
	v_lshlrev_b64 v[52:53], v52, v[42:43]
	v_lshrrev_b32_e32 v55, 3, v22
	v_sub_u32_e32 v53, 29, v56
	v_and_b32_e32 v52, 7, v52
	v_cmp_gt_u32_e32 vcc, 8, v22
	v_cndmask_b32_e32 v22, v55, v53, vcc
	v_cndmask_b32_e32 v52, v54, v52, vcc
	v_lshlrev_b32_e32 v42, 24, v42
	v_bfrev_b32_e32 v53, 60
	v_lshlrev_b32_e32 v52, 20, v52
	v_and_b32_e32 v42, 0x80000000, v42
	v_lshl_add_u32 v22, v22, 23, v53
	v_or3_b32 v52, v42, v22, v52
.LBB606_321:
	s_or_b64 exec, exec, s[12:13]
.LBB606_322:
	s_or_b64 exec, exec, s[10:11]
.LBB606_323:
	s_or_b64 exec, exec, s[2:3]
	v_cmp_ne_u16_sdwa s[10:11], v23, v45 src0_sel:BYTE_0 src1_sel:DWORD
	s_and_saveexec_b64 s[2:3], s[10:11]
	s_cbranch_execz .LBB606_329
; %bb.324:
	s_movk_i32 s10, 0x80
	v_cmp_ne_u16_sdwa s[12:13], v23, s10 src0_sel:BYTE_0 src1_sel:DWORD
	v_bfrev_b32_e32 v45, 1
	s_and_saveexec_b64 s[10:11], s[12:13]
	s_cbranch_execz .LBB606_328
; %bb.325:
	s_movk_i32 s12, 0x7f
	v_and_b32_e32 v22, 0x7f, v23
	v_cmp_ne_u32_e32 vcc, s12, v22
	v_mov_b32_e32 v45, 0x7f800001
	s_and_saveexec_b64 s[12:13], vcc
	s_cbranch_execz .LBB606_327
; %bb.326:
	v_and_b32_e32 v45, 7, v23
	v_ffbh_u32_e32 v54, v45
	v_min_u32_e32 v56, 32, v54
	v_mov_b32_e32 v42, v23
	v_subrev_u32_e32 v54, 28, v56
	v_lshlrev_b64 v[54:55], v54, v[42:43]
	v_lshrrev_b32_e32 v53, 3, v22
	v_sub_u32_e32 v42, 29, v56
	v_and_b32_e32 v54, 7, v54
	v_cmp_gt_u32_e32 vcc, 8, v22
	v_cndmask_b32_e32 v22, v53, v42, vcc
	v_cndmask_b32_e32 v42, v45, v54, vcc
	v_lshlrev_b32_e32 v45, 24, v23
	v_bfrev_b32_e32 v53, 60
	v_lshlrev_b32_e32 v42, 20, v42
	v_and_b32_e32 v45, 0x80000000, v45
	v_lshl_add_u32 v22, v22, 23, v53
	v_or3_b32 v45, v45, v22, v42
.LBB606_327:
	s_or_b64 exec, exec, s[12:13]
.LBB606_328:
	s_or_b64 exec, exec, s[10:11]
.LBB606_329:
	s_or_b64 exec, exec, s[2:3]
	v_lshrrev_b16_e32 v22, 8, v23
	v_cmp_ne_u16_e32 vcc, 0, v22
	v_mov_b32_e32 v53, 0
	v_mov_b32_e32 v54, 0
	s_and_saveexec_b64 s[2:3], vcc
	s_cbranch_execz .LBB606_335
; %bb.330:
	s_movk_i32 s10, 0x80
	v_cmp_ne_u16_e32 vcc, s10, v22
	v_bfrev_b32_e32 v54, 1
	s_and_saveexec_b64 s[10:11], vcc
	s_cbranch_execz .LBB606_334
; %bb.331:
	s_movk_i32 s12, 0x7f
	v_and_b32_e32 v42, 0x7f, v22
	v_cmp_ne_u32_e32 vcc, s12, v42
	v_mov_b32_e32 v54, 0x7f800001
	s_and_saveexec_b64 s[12:13], vcc
	s_cbranch_execz .LBB606_333
; %bb.332:
	v_and_b32_e32 v56, 7, v22
	v_ffbh_u32_e32 v54, v56
	v_min_u32_e32 v58, 32, v54
	v_subrev_u32_e32 v54, 28, v58
	v_lshlrev_b64 v[54:55], v54, v[22:23]
	v_lshrrev_b32_e32 v57, 3, v42
	v_sub_u32_e32 v22, 29, v58
	v_and_b32_e32 v54, 7, v54
	v_cmp_gt_u32_e32 vcc, 8, v42
	v_cndmask_b32_e32 v22, v57, v22, vcc
	v_cndmask_b32_e32 v42, v56, v54, vcc
	v_lshlrev_b32_e32 v54, 16, v23
	v_bfrev_b32_e32 v55, 60
	v_lshlrev_b32_e32 v42, 20, v42
	v_and_b32_e32 v54, 0x80000000, v54
	v_lshl_add_u32 v22, v22, 23, v55
	v_or3_b32 v54, v54, v22, v42
.LBB606_333:
	s_or_b64 exec, exec, s[12:13]
.LBB606_334:
	s_or_b64 exec, exec, s[10:11]
.LBB606_335:
	s_or_b64 exec, exec, s[2:3]
	s_movk_i32 s2, 0xff
	v_and_b32_sdwa v42, v23, s2 dst_sel:DWORD dst_unused:UNUSED_PAD src0_sel:WORD_1 src1_sel:DWORD
	v_lshrrev_b32_e32 v22, 16, v23
	v_cmp_ne_u16_e32 vcc, 0, v42
	s_and_saveexec_b64 s[2:3], vcc
	s_cbranch_execz .LBB606_341
; %bb.336:
	s_movk_i32 s10, 0x80
	v_cmp_ne_u16_e32 vcc, s10, v42
	v_bfrev_b32_e32 v53, 1
	s_and_saveexec_b64 s[10:11], vcc
	s_cbranch_execz .LBB606_340
; %bb.337:
	v_bfe_u32 v42, v23, 16, 7
	s_movk_i32 s12, 0x7f
	v_cmp_ne_u32_e32 vcc, s12, v42
	v_mov_b32_e32 v53, 0x7f800001
	s_and_saveexec_b64 s[12:13], vcc
	s_cbranch_execz .LBB606_339
; %bb.338:
	v_and_b32_e32 v53, 7, v22
	v_ffbh_u32_e32 v56, v53
	v_min_u32_e32 v58, 32, v56
	v_subrev_u32_e32 v56, 28, v58
	v_lshlrev_b64 v[56:57], v56, v[22:23]
	v_and_b32_e32 v56, 7, v56
	v_cmp_gt_u32_e32 vcc, 8, v42
	v_lshrrev_b32_e32 v55, 3, v42
	v_sub_u32_e32 v22, 29, v58
	v_cndmask_b32_e32 v42, v53, v56, vcc
	v_mov_b32_e32 v53, 24
	v_cndmask_b32_e32 v22, v55, v22, vcc
	v_lshlrev_b32_sdwa v53, v53, v23 dst_sel:DWORD dst_unused:UNUSED_PAD src0_sel:DWORD src1_sel:WORD_1
	v_bfrev_b32_e32 v55, 60
	v_lshlrev_b32_e32 v42, 20, v42
	v_and_b32_e32 v53, 0x80000000, v53
	v_lshl_add_u32 v22, v22, 23, v55
	v_or3_b32 v53, v53, v22, v42
.LBB606_339:
	s_or_b64 exec, exec, s[12:13]
.LBB606_340:
	s_or_b64 exec, exec, s[10:11]
.LBB606_341:
	s_or_b64 exec, exec, s[2:3]
	s_mov_b32 s2, 0xffffff
	v_cmp_lt_u32_e32 vcc, s2, v23
	v_mov_b32_e32 v42, 0
	v_mov_b32_e32 v55, 0
	s_and_saveexec_b64 s[2:3], vcc
	s_cbranch_execz .LBB606_347
; %bb.342:
	v_lshrrev_b32_e32 v22, 24, v23
	s_movk_i32 s10, 0x80
	v_cmp_ne_u32_e32 vcc, s10, v22
	v_bfrev_b32_e32 v55, 1
	s_and_saveexec_b64 s[10:11], vcc
	s_cbranch_execz .LBB606_346
; %bb.343:
	v_bfe_u32 v23, v23, 24, 7
	s_movk_i32 s12, 0x7f
	v_cmp_ne_u32_e32 vcc, s12, v23
	v_mov_b32_e32 v55, 0x7f800001
	s_and_saveexec_b64 s[12:13], vcc
	s_cbranch_execz .LBB606_345
; %bb.344:
	v_and_b32_e32 v55, 7, v22
	v_ffbh_u32_e32 v56, v55
	v_min_u32_e32 v59, 32, v56
	v_subrev_u32_e32 v56, 28, v59
	v_lshlrev_b64 v[56:57], v56, v[22:23]
	v_lshrrev_b32_e32 v58, 3, v23
	v_sub_u32_e32 v57, 29, v59
	v_and_b32_e32 v56, 7, v56
	v_cmp_gt_u32_e32 vcc, 8, v23
	v_cndmask_b32_e32 v23, v58, v57, vcc
	v_cndmask_b32_e32 v55, v55, v56, vcc
	v_lshlrev_b32_e32 v22, 24, v22
	v_bfrev_b32_e32 v56, 60
	v_lshlrev_b32_e32 v55, 20, v55
	v_and_b32_e32 v22, 0x80000000, v22
	v_lshl_add_u32 v23, v23, 23, v56
	v_or3_b32 v55, v22, v23, v55
.LBB606_345:
	s_or_b64 exec, exec, s[12:13]
.LBB606_346:
	s_or_b64 exec, exec, s[10:11]
.LBB606_347:
	s_or_b64 exec, exec, s[2:3]
	v_cvt_pkrtz_f16_f32 v22, v51, v44
	v_cvt_pkrtz_f16_f32 v23, v43, v52
	v_cmp_ne_u16_sdwa s[10:11], v24, v42 src0_sel:BYTE_0 src1_sel:DWORD
	s_nop 0
	v_mfma_f32_16x16x16f16 v[56:59], v[22:23], v[26:27], 0
	v_cvt_pkrtz_f16_f32 v22, v45, v54
	v_cvt_pkrtz_f16_f32 v23, v53, v55
	s_nop 1
	v_mfma_f32_16x16x16f16 v[26:29], v[22:23], v[28:29], v[56:59]
	s_and_saveexec_b64 s[2:3], s[10:11]
	s_cbranch_execz .LBB606_353
; %bb.348:
	s_movk_i32 s10, 0x80
	v_cmp_ne_u16_sdwa s[12:13], v24, s10 src0_sel:BYTE_0 src1_sel:DWORD
	v_bfrev_b32_e32 v42, 1
	s_and_saveexec_b64 s[10:11], s[12:13]
	s_cbranch_execz .LBB606_352
; %bb.349:
	s_movk_i32 s12, 0x7f
	v_and_b32_e32 v22, 0x7f, v24
	v_cmp_ne_u32_e32 vcc, s12, v22
	v_mov_b32_e32 v42, 0x7f800001
	s_and_saveexec_b64 s[12:13], vcc
	s_cbranch_execz .LBB606_351
; %bb.350:
	v_and_b32_e32 v23, 7, v24
	v_ffbh_u32_e32 v42, v23
	v_min_u32_e32 v45, 32, v42
	v_subrev_u32_e32 v42, 28, v45
	v_lshlrev_b64 v[42:43], v42, v[24:25]
	v_lshrrev_b32_e32 v44, 3, v22
	v_sub_u32_e32 v43, 29, v45
	v_and_b32_e32 v42, 7, v42
	v_cmp_gt_u32_e32 vcc, 8, v22
	v_cndmask_b32_e32 v22, v44, v43, vcc
	v_cndmask_b32_e32 v23, v23, v42, vcc
	v_lshlrev_b32_e32 v42, 24, v24
	v_bfrev_b32_e32 v43, 60
	v_lshlrev_b32_e32 v23, 20, v23
	v_and_b32_e32 v42, 0x80000000, v42
	v_lshl_add_u32 v22, v22, 23, v43
	v_or3_b32 v42, v42, v22, v23
.LBB606_351:
	s_or_b64 exec, exec, s[12:13]
.LBB606_352:
	s_or_b64 exec, exec, s[10:11]
.LBB606_353:
	s_or_b64 exec, exec, s[2:3]
	v_lshrrev_b16_e32 v22, 8, v24
	v_cmp_ne_u16_e32 vcc, 0, v22
	v_mov_b32_e32 v23, 0
	v_mov_b32_e32 v43, 0
	s_and_saveexec_b64 s[2:3], vcc
	s_cbranch_execz .LBB606_359
; %bb.354:
	s_movk_i32 s10, 0x80
	v_cmp_ne_u16_e32 vcc, s10, v22
	v_bfrev_b32_e32 v43, 1
	s_and_saveexec_b64 s[10:11], vcc
	s_cbranch_execz .LBB606_358
; %bb.355:
	s_movk_i32 s12, 0x7f
	v_and_b32_e32 v44, 0x7f, v22
	v_cmp_ne_u32_e32 vcc, s12, v44
	v_mov_b32_e32 v43, 0x7f800001
	s_and_saveexec_b64 s[12:13], vcc
	s_cbranch_execz .LBB606_357
; %bb.356:
	v_and_b32_e32 v43, 7, v22
	v_ffbh_u32_e32 v51, v43
	v_min_u32_e32 v51, 32, v51
	v_subrev_u32_e32 v52, 28, v51
	v_lshlrev_b64 v[52:53], v52, v[22:23]
	v_lshrrev_b32_e32 v45, 3, v44
	v_sub_u32_e32 v22, 29, v51
	v_and_b32_e32 v51, 7, v52
	v_cmp_gt_u32_e32 vcc, 8, v44
	v_cndmask_b32_e32 v22, v45, v22, vcc
	v_cndmask_b32_e32 v43, v43, v51, vcc
	v_lshlrev_b32_e32 v44, 16, v24
	v_bfrev_b32_e32 v45, 60
	v_lshlrev_b32_e32 v43, 20, v43
	v_and_b32_e32 v44, 0x80000000, v44
	v_lshl_add_u32 v22, v22, 23, v45
	v_or3_b32 v43, v44, v22, v43
.LBB606_357:
	s_or_b64 exec, exec, s[12:13]
.LBB606_358:
	s_or_b64 exec, exec, s[10:11]
.LBB606_359:
	s_or_b64 exec, exec, s[2:3]
	s_movk_i32 s2, 0xff
	v_and_b32_sdwa v44, v24, s2 dst_sel:DWORD dst_unused:UNUSED_PAD src0_sel:WORD_1 src1_sel:DWORD
	v_lshrrev_b32_e32 v22, 16, v24
	v_cmp_ne_u16_e32 vcc, 0, v44
	s_and_saveexec_b64 s[2:3], vcc
	s_cbranch_execz .LBB606_365
; %bb.360:
	s_movk_i32 s10, 0x80
	v_cmp_ne_u16_e32 vcc, s10, v44
	v_bfrev_b32_e32 v23, 1
	s_and_saveexec_b64 s[10:11], vcc
	s_cbranch_execz .LBB606_364
; %bb.361:
	v_bfe_u32 v44, v24, 16, 7
	s_movk_i32 s12, 0x7f
	v_cmp_ne_u32_e32 vcc, s12, v44
	v_mov_b32_e32 v23, 0x7f800001
	s_and_saveexec_b64 s[12:13], vcc
	s_cbranch_execz .LBB606_363
; %bb.362:
	v_and_b32_e32 v45, 7, v22
	v_ffbh_u32_e32 v23, v45
	v_min_u32_e32 v52, 32, v23
	v_subrev_u32_e32 v23, 28, v52
	v_lshlrev_b64 v[22:23], v23, v[22:23]
	v_lshrrev_b32_e32 v51, 3, v44
	v_sub_u32_e32 v23, 29, v52
	v_and_b32_e32 v22, 7, v22
	v_cmp_gt_u32_e32 vcc, 8, v44
	v_mov_b32_e32 v44, 24
	v_cndmask_b32_e32 v23, v51, v23, vcc
	v_cndmask_b32_e32 v22, v45, v22, vcc
	v_lshlrev_b32_sdwa v44, v44, v24 dst_sel:DWORD dst_unused:UNUSED_PAD src0_sel:DWORD src1_sel:WORD_1
	v_bfrev_b32_e32 v45, 60
	v_lshlrev_b32_e32 v22, 20, v22
	v_and_b32_e32 v44, 0x80000000, v44
	v_lshl_add_u32 v23, v23, 23, v45
	v_or3_b32 v23, v44, v23, v22
.LBB606_363:
	s_or_b64 exec, exec, s[12:13]
.LBB606_364:
	s_or_b64 exec, exec, s[10:11]
.LBB606_365:
	s_or_b64 exec, exec, s[2:3]
	s_mov_b32 s2, 0xffffff
	v_cmp_lt_u32_e32 vcc, s2, v24
	v_mov_b32_e32 v44, 0
	v_mov_b32_e32 v45, 0
	s_and_saveexec_b64 s[2:3], vcc
	s_cbranch_execz .LBB606_371
; %bb.366:
	v_lshrrev_b32_e32 v22, 24, v24
	s_movk_i32 s10, 0x80
	v_cmp_ne_u32_e32 vcc, s10, v22
	v_bfrev_b32_e32 v45, 1
	s_and_saveexec_b64 s[10:11], vcc
	s_cbranch_execz .LBB606_370
; %bb.367:
	v_bfe_u32 v24, v24, 24, 7
	s_movk_i32 s12, 0x7f
	v_cmp_ne_u32_e32 vcc, s12, v24
	v_mov_b32_e32 v45, 0x7f800001
	s_and_saveexec_b64 s[12:13], vcc
	s_cbranch_execz .LBB606_369
; %bb.368:
	v_and_b32_e32 v45, 7, v22
	v_ffbh_u32_e32 v52, v45
	v_min_u32_e32 v54, 32, v52
	v_subrev_u32_e32 v52, 28, v54
	v_lshlrev_b64 v[52:53], v52, v[22:23]
	v_lshrrev_b32_e32 v51, 3, v24
	v_sub_u32_e32 v53, 29, v54
	v_and_b32_e32 v52, 7, v52
	v_cmp_gt_u32_e32 vcc, 8, v24
	v_cndmask_b32_e32 v24, v51, v53, vcc
	v_cndmask_b32_e32 v45, v45, v52, vcc
	v_lshlrev_b32_e32 v22, 24, v22
	v_bfrev_b32_e32 v51, 60
	v_lshlrev_b32_e32 v45, 20, v45
	v_and_b32_e32 v22, 0x80000000, v22
	v_lshl_add_u32 v24, v24, 23, v51
	v_or3_b32 v45, v22, v24, v45
.LBB606_369:
	s_or_b64 exec, exec, s[12:13]
.LBB606_370:
	s_or_b64 exec, exec, s[10:11]
.LBB606_371:
	s_or_b64 exec, exec, s[2:3]
	v_cmp_ne_u16_sdwa s[10:11], v25, v44 src0_sel:BYTE_0 src1_sel:DWORD
	s_and_saveexec_b64 s[2:3], s[10:11]
	s_cbranch_execz .LBB606_377
; %bb.372:
	s_movk_i32 s10, 0x80
	v_cmp_ne_u16_sdwa s[12:13], v25, s10 src0_sel:BYTE_0 src1_sel:DWORD
	v_bfrev_b32_e32 v44, 1
	s_and_saveexec_b64 s[10:11], s[12:13]
	s_cbranch_execz .LBB606_376
; %bb.373:
	s_movk_i32 s12, 0x7f
	v_and_b32_e32 v22, 0x7f, v25
	v_cmp_ne_u32_e32 vcc, s12, v22
	v_mov_b32_e32 v44, 0x7f800001
	s_and_saveexec_b64 s[12:13], vcc
	s_cbranch_execz .LBB606_375
; %bb.374:
	v_and_b32_e32 v44, 7, v25
	v_ffbh_u32_e32 v52, v44
	v_min_u32_e32 v54, 32, v52
	v_mov_b32_e32 v24, v25
	v_subrev_u32_e32 v52, 28, v54
	v_lshlrev_b64 v[52:53], v52, v[24:25]
	v_lshrrev_b32_e32 v51, 3, v22
	v_sub_u32_e32 v24, 29, v54
	v_and_b32_e32 v52, 7, v52
	v_cmp_gt_u32_e32 vcc, 8, v22
	v_cndmask_b32_e32 v22, v51, v24, vcc
	v_cndmask_b32_e32 v24, v44, v52, vcc
	v_lshlrev_b32_e32 v44, 24, v25
	v_bfrev_b32_e32 v51, 60
	v_lshlrev_b32_e32 v24, 20, v24
	v_and_b32_e32 v44, 0x80000000, v44
	v_lshl_add_u32 v22, v22, 23, v51
	v_or3_b32 v44, v44, v22, v24
.LBB606_375:
	s_or_b64 exec, exec, s[12:13]
.LBB606_376:
	s_or_b64 exec, exec, s[10:11]
.LBB606_377:
	s_or_b64 exec, exec, s[2:3]
	v_lshrrev_b16_e32 v22, 8, v25
	v_cmp_ne_u16_e32 vcc, 0, v22
	v_mov_b32_e32 v24, 0
	v_mov_b32_e32 v52, 0
	s_and_saveexec_b64 s[2:3], vcc
	s_cbranch_execz .LBB606_383
; %bb.378:
	s_movk_i32 s10, 0x80
	v_cmp_ne_u16_e32 vcc, s10, v22
	v_bfrev_b32_e32 v52, 1
	s_and_saveexec_b64 s[10:11], vcc
	s_cbranch_execz .LBB606_382
; %bb.379:
	s_movk_i32 s12, 0x7f
	v_and_b32_e32 v51, 0x7f, v22
	v_cmp_ne_u32_e32 vcc, s12, v51
	v_mov_b32_e32 v52, 0x7f800001
	s_and_saveexec_b64 s[12:13], vcc
	s_cbranch_execz .LBB606_381
; %bb.380:
	v_and_b32_e32 v54, 7, v22
	v_ffbh_u32_e32 v52, v54
	v_min_u32_e32 v56, 32, v52
	v_subrev_u32_e32 v52, 28, v56
	v_lshlrev_b64 v[52:53], v52, v[22:23]
	v_lshrrev_b32_e32 v55, 3, v51
	v_sub_u32_e32 v22, 29, v56
	v_and_b32_e32 v52, 7, v52
	v_cmp_gt_u32_e32 vcc, 8, v51
	v_cndmask_b32_e32 v22, v55, v22, vcc
	v_cndmask_b32_e32 v51, v54, v52, vcc
	v_lshlrev_b32_e32 v52, 16, v25
	v_bfrev_b32_e32 v53, 60
	v_lshlrev_b32_e32 v51, 20, v51
	v_and_b32_e32 v52, 0x80000000, v52
	v_lshl_add_u32 v22, v22, 23, v53
	v_or3_b32 v52, v52, v22, v51
.LBB606_381:
	s_or_b64 exec, exec, s[12:13]
.LBB606_382:
	s_or_b64 exec, exec, s[10:11]
.LBB606_383:
	s_or_b64 exec, exec, s[2:3]
	s_movk_i32 s2, 0xff
	v_and_b32_sdwa v51, v25, s2 dst_sel:DWORD dst_unused:UNUSED_PAD src0_sel:WORD_1 src1_sel:DWORD
	v_lshrrev_b32_e32 v22, 16, v25
	v_cmp_ne_u16_e32 vcc, 0, v51
	s_and_saveexec_b64 s[2:3], vcc
	s_cbranch_execz .LBB606_389
; %bb.384:
	s_movk_i32 s10, 0x80
	v_cmp_ne_u16_e32 vcc, s10, v51
	v_bfrev_b32_e32 v24, 1
	s_and_saveexec_b64 s[10:11], vcc
	s_cbranch_execz .LBB606_388
; %bb.385:
	v_bfe_u32 v51, v25, 16, 7
	s_movk_i32 s12, 0x7f
	v_cmp_ne_u32_e32 vcc, s12, v51
	v_mov_b32_e32 v24, 0x7f800001
	s_and_saveexec_b64 s[12:13], vcc
	s_cbranch_execz .LBB606_387
; %bb.386:
	v_and_b32_e32 v24, 7, v22
	v_ffbh_u32_e32 v54, v24
	v_min_u32_e32 v56, 32, v54
	v_subrev_u32_e32 v54, 28, v56
	v_lshlrev_b64 v[54:55], v54, v[22:23]
	v_lshrrev_b32_e32 v53, 3, v51
	v_sub_u32_e32 v22, 29, v56
	v_and_b32_e32 v54, 7, v54
	v_cmp_gt_u32_e32 vcc, 8, v51
	v_mov_b32_e32 v51, 24
	v_cndmask_b32_e32 v22, v53, v22, vcc
	v_cndmask_b32_e32 v24, v24, v54, vcc
	v_lshlrev_b32_sdwa v51, v51, v25 dst_sel:DWORD dst_unused:UNUSED_PAD src0_sel:DWORD src1_sel:WORD_1
	v_bfrev_b32_e32 v53, 60
	v_lshlrev_b32_e32 v24, 20, v24
	v_and_b32_e32 v51, 0x80000000, v51
	v_lshl_add_u32 v22, v22, 23, v53
	v_or3_b32 v24, v51, v22, v24
.LBB606_387:
	s_or_b64 exec, exec, s[12:13]
.LBB606_388:
	s_or_b64 exec, exec, s[10:11]
.LBB606_389:
	s_or_b64 exec, exec, s[2:3]
	s_mov_b32 s2, 0xffffff
	v_and_b32_e32 v51, 63, v0
	v_cmp_lt_u32_e32 vcc, s2, v25
	v_mov_b32_e32 v53, 0
	s_and_saveexec_b64 s[2:3], vcc
	s_cbranch_execz .LBB606_395
; %bb.390:
	v_lshrrev_b32_e32 v22, 24, v25
	s_movk_i32 s10, 0x80
	v_cmp_ne_u32_e32 vcc, s10, v22
	v_bfrev_b32_e32 v53, 1
	s_and_saveexec_b64 s[10:11], vcc
	s_cbranch_execz .LBB606_394
; %bb.391:
	v_bfe_u32 v25, v25, 24, 7
	s_movk_i32 s12, 0x7f
	v_cmp_ne_u32_e32 vcc, s12, v25
	v_mov_b32_e32 v53, 0x7f800001
	s_and_saveexec_b64 s[12:13], vcc
	s_cbranch_execz .LBB606_393
; %bb.392:
	v_and_b32_e32 v53, 7, v22
	v_ffbh_u32_e32 v54, v53
	v_min_u32_e32 v57, 32, v54
	v_subrev_u32_e32 v54, 28, v57
	v_lshlrev_b64 v[54:55], v54, v[22:23]
	v_lshrrev_b32_e32 v56, 3, v25
	v_sub_u32_e32 v55, 29, v57
	v_and_b32_e32 v54, 7, v54
	v_cmp_gt_u32_e32 vcc, 8, v25
	v_cndmask_b32_e32 v25, v56, v55, vcc
	v_cndmask_b32_e32 v53, v53, v54, vcc
	v_lshlrev_b32_e32 v22, 24, v22
	v_bfrev_b32_e32 v54, 60
	v_lshlrev_b32_e32 v53, 20, v53
	v_and_b32_e32 v22, 0x80000000, v22
	v_lshl_add_u32 v25, v25, 23, v54
	v_or3_b32 v53, v22, v25, v53
.LBB606_393:
	s_or_b64 exec, exec, s[12:13]
.LBB606_394:
	s_or_b64 exec, exec, s[10:11]
.LBB606_395:
	s_or_b64 exec, exec, s[2:3]
	v_cvt_pkrtz_f16_f32 v42, v42, v43
	v_cvt_pkrtz_f16_f32 v43, v23, v45
	s_load_dword s2, s[4:5], 0x1c
	s_mov_b32 s46, 0xff7fffff
	s_waitcnt lgkmcnt(0)
	v_mfma_f32_16x16x16f16 v[26:29], v[42:43], v[18:19], v[26:29]
	v_cvt_pkrtz_f16_f32 v18, v44, v52
	v_cvt_pkrtz_f16_f32 v19, v24, v53
	v_and_b32_e32 v24, 0xc0, v0
	v_mov_b32_e32 v22, s2
	v_add_u32_e32 v24, s20, v24
	v_mul_f32_e32 v54, s14, v22
	v_lshl_or_b32 v42, v46, 2, v24
	v_mfma_f32_16x16x16f16 v[18:21], v[18:19], v[20:21], v[26:29]
	v_pk_mul_f32 v[22:23], v[54:55], v[36:37] op_sel_hi:[0,1]
	v_pk_mul_f32 v[36:37], v[54:55], v[40:41] op_sel_hi:[0,1]
	;; [unrolled: 1-line block ×4, first 2 shown]
	v_mov_b32_e32 v43, 0xff7fffff
	v_cmp_gt_i32_e64 s[26:27], s33, v42
	v_pk_mul_f32 v[38:39], v[54:55], v[38:39] op_sel_hi:[0,1]
	s_nop 3
	v_pk_mul_f32 v[32:33], v[54:55], v[18:19] op_sel_hi:[0,1]
	v_or_b32_e32 v19, 1, v42
	v_cmp_gt_i32_e64 s[28:29], s33, v19
	v_cndmask_b32_e64 v18, v43, v30, s[26:27]
	v_cndmask_b32_e64 v19, v43, v31, s[28:29]
	v_pk_mul_f32 v[24:25], v[54:55], v[20:21] op_sel_hi:[0,1]
	v_max3_f32 v18, v18, s46, v19
	v_or_b32_e32 v19, 2, v42
	v_or_b32_e32 v20, 3, v42
	v_cmp_gt_i32_e64 s[30:31], s33, v19
	v_cmp_gt_i32_e64 s[34:35], s33, v20
	v_cndmask_b32_e64 v19, v43, v40, s[30:31]
	v_cndmask_b32_e64 v20, v43, v41, s[34:35]
	v_max3_f32 v18, v18, v19, v20
	v_or_b32_e32 v19, 16, v42
	v_or_b32_e32 v20, 17, v42
	v_cmp_gt_i32_e64 s[36:37], s33, v19
	v_cmp_gt_i32_e64 s[38:39], s33, v20
	v_cndmask_b32_e64 v19, v43, v38, s[36:37]
	v_cndmask_b32_e64 v20, v43, v39, s[38:39]
	;; [unrolled: 7-line block ×3, first 2 shown]
	v_max3_f32 v18, v18, v19, v20
	v_or_b32_e32 v19, 32, v42
	v_or_b32_e32 v20, 33, v42
	v_pk_mul_f32 v[34:35], v[54:55], v[34:35] op_sel_hi:[0,1]
	v_cmp_gt_i32_e64 s[16:17], s33, v19
	v_cmp_gt_i32_e64 s[18:19], s33, v20
	v_cndmask_b32_e64 v19, v43, v34, s[16:17]
	v_cndmask_b32_e64 v20, v43, v35, s[18:19]
	v_max3_f32 v18, v18, v19, v20
	v_or_b32_e32 v19, 34, v42
	v_or_b32_e32 v20, 35, v42
	v_cmp_gt_i32_e64 s[12:13], s33, v19
	v_cmp_gt_i32_e64 s[14:15], s33, v20
	v_cndmask_b32_e64 v19, v43, v22, s[12:13]
	v_cndmask_b32_e64 v20, v43, v23, s[14:15]
	v_max3_f32 v18, v18, v19, v20
	v_or_b32_e32 v19, 48, v42
	v_or_b32_e32 v20, 49, v42
	;; [unrolled: 7-line block ×3, first 2 shown]
	v_cmp_gt_i32_e32 vcc, s33, v19
	v_cmp_gt_i32_e64 s[2:3], s33, v20
	v_cndmask_b32_e32 v19, v43, v24, vcc
	v_cndmask_b32_e64 v20, v43, v25, s[2:3]
	v_max3_f32 v18, v18, v19, v20
	v_mbcnt_lo_u32_b32 v19, -1, 0
	v_mbcnt_hi_u32_b32 v19, -1, v19
	v_and_b32_e32 v20, 64, v19
	v_add_u32_e32 v20, 64, v20
	v_xor_b32_e32 v21, 32, v19
	v_cmp_lt_i32_e64 s[40:41], v21, v20
	v_cndmask_b32_e64 v21, v19, v21, s[40:41]
	v_lshlrev_b32_e32 v43, 2, v21
	ds_bpermute_b32 v21, v43, v18
	s_barrier
	s_waitcnt lgkmcnt(0)
	v_max_f32_e32 v21, v21, v21
	v_max_f32_e32 v18, v18, v21
	v_xor_b32_e32 v21, 16, v19
	v_cmp_lt_i32_e64 s[40:41], v21, v20
	v_cndmask_b32_e64 v19, v19, v21, s[40:41]
	v_lshlrev_b32_e32 v44, 2, v19
	ds_bpermute_b32 v19, v44, v18
	s_waitcnt lgkmcnt(0)
	v_max_f32_e32 v19, v19, v19
	v_max_f32_e32 v42, v18, v19
	v_sub_f32_e32 v21, v40, v42
	v_sub_f32_e32 v26, v41, v42
	v_mul_f32_e32 v21, 0x3fb8aa3b, v21
	v_mul_f32_e32 v26, 0x3fb8aa3b, v26
	v_sub_f32_e32 v18, v30, v42
	v_exp_f32_e32 v21, v21
	v_exp_f32_e32 v26, v26
	v_mul_f32_e32 v18, 0x3fb8aa3b, v18
	v_sub_f32_e32 v19, v31, v42
	v_exp_f32_e32 v18, v18
	v_mul_f32_e32 v19, 0x3fb8aa3b, v19
	v_exp_f32_e32 v19, v19
	v_cndmask_b32_e64 v28, 0, v21, s[30:31]
	v_cndmask_b32_e64 v29, 0, v26, s[34:35]
	v_sub_f32_e32 v21, v38, v42
	v_sub_f32_e32 v26, v39, v42
	v_mul_f32_e32 v21, 0x3fb8aa3b, v21
	v_mul_f32_e32 v26, 0x3fb8aa3b, v26
	v_cndmask_b32_e64 v18, 0, v18, s[26:27]
	v_exp_f32_e32 v21, v21
	v_exp_f32_e32 v26, v26
	v_add_f32_e32 v20, 0, v18
	v_cndmask_b32_e64 v19, 0, v19, s[28:29]
	v_add_f32_e32 v20, v20, v19
	v_add_f32_e32 v20, v20, v28
	;; [unrolled: 1-line block ×3, first 2 shown]
	v_cndmask_b32_e64 v20, 0, v21, s[36:37]
	v_cndmask_b32_e64 v21, 0, v26, s[38:39]
	v_sub_f32_e32 v26, v36, v42
	v_mul_f32_e32 v26, 0x3fb8aa3b, v26
	v_exp_f32_e32 v26, v26
	v_sub_f32_e32 v30, v37, v42
	v_add_f32_e32 v27, v27, v20
	v_mul_f32_e32 v30, 0x3fb8aa3b, v30
	v_exp_f32_e32 v31, v30
	v_add_f32_e32 v27, v27, v21
	v_cndmask_b32_e64 v30, 0, v26, s[20:21]
	v_add_f32_e32 v26, v27, v30
	v_sub_f32_e32 v27, v34, v42
	v_mul_f32_e32 v27, 0x3fb8aa3b, v27
	v_sub_f32_e32 v34, v35, v42
	v_exp_f32_e32 v27, v27
	v_mul_f32_e32 v34, 0x3fb8aa3b, v34
	v_sub_f32_e32 v22, v22, v42
	v_exp_f32_e32 v34, v34
	;; [unrolled: 3-line block ×3, first 2 shown]
	v_mul_f32_e32 v23, 0x3fb8aa3b, v23
	v_cndmask_b32_e64 v31, 0, v31, s[22:23]
	v_exp_f32_e32 v23, v23
	v_add_f32_e32 v35, v26, v31
	v_cndmask_b32_e64 v26, 0, v27, s[16:17]
	v_add_f32_e32 v35, v35, v26
	v_cndmask_b32_e64 v27, 0, v34, s[18:19]
	v_add_f32_e32 v35, v35, v27
	v_cndmask_b32_e64 v34, 0, v22, s[12:13]
	v_add_f32_e32 v22, v35, v34
	v_cndmask_b32_e64 v35, 0, v23, s[14:15]
	v_sub_f32_e32 v23, v32, v42
	v_mul_f32_e32 v23, 0x3fb8aa3b, v23
	v_sub_f32_e32 v32, v33, v42
	v_exp_f32_e32 v23, v23
	v_mul_f32_e32 v32, 0x3fb8aa3b, v32
	v_sub_f32_e32 v24, v24, v42
	v_exp_f32_e32 v32, v32
	;; [unrolled: 3-line block ×3, first 2 shown]
	v_mul_f32_e32 v25, 0x3fb8aa3b, v25
	v_exp_f32_e32 v25, v25
	v_add_f32_e32 v33, v22, v35
	v_cndmask_b32_e64 v22, 0, v23, s[24:25]
	v_add_f32_e32 v33, v33, v22
	v_cndmask_b32_e64 v23, 0, v32, s[10:11]
	v_add_f32_e32 v32, v33, v23
	v_cndmask_b32_e32 v24, 0, v24, vcc
	v_add_f32_e32 v32, v32, v24
	v_cndmask_b32_e64 v25, 0, v25, s[2:3]
	v_add_f32_e32 v32, v32, v25
	ds_bpermute_b32 v33, v43, v32
	v_cmp_gt_u32_e64 s[2:3], 16, v51
	s_waitcnt lgkmcnt(0)
	v_add_f32_e32 v33, v32, v33
	ds_bpermute_b32 v36, v44, v33
	v_lshlrev_b32_e32 v32, 2, v50
	s_and_saveexec_b64 s[10:11], s[2:3]
	s_cbranch_execz .LBB606_397
; %bb.396:
	s_waitcnt lgkmcnt(0)
	v_add_f32_e32 v33, v33, v36
	v_lshl_or_b32 v36, v49, 6, v32
	ds_write2st64_b32 v36, v42, v33 offset1:1
.LBB606_397:
	s_or_b64 exec, exec, s[10:11]
	s_waitcnt lgkmcnt(0)
	s_barrier
	ds_read2_b32 v[36:37], v32 offset1:16
	ds_read2_b32 v[38:39], v32 offset0:32 offset1:48
	ds_read2_b32 v[40:41], v32 offset0:64 offset1:80
	;; [unrolled: 1-line block ×3, first 2 shown]
	s_waitcnt lgkmcnt(0)
	v_max3_f32 v33, v36, s46, v37
	v_max3_f32 v33, v33, v38, v39
	v_sub_f32_e32 v36, v36, v33
	v_mul_f32_e32 v36, 0x3fb8aa3b, v36
	v_exp_f32_e32 v44, v36
	v_sub_f32_e32 v36, v37, v33
	v_mul_f32_e32 v36, 0x3fb8aa3b, v36
	v_exp_f32_e32 v37, v36
	v_sub_f32_e32 v36, v38, v33
	v_mul_f32_e32 v36, 0x3fb8aa3b, v36
	v_sub_f32_e32 v32, v39, v33
	v_exp_f32_e32 v38, v36
	v_mul_f32_e32 v32, 0x3fb8aa3b, v32
	v_exp_f32_e32 v39, v32
	v_fma_f32 v36, v44, v40, 0
	v_fmac_f32_e32 v36, v37, v41
	v_fmac_f32_e32 v36, v38, v42
	;; [unrolled: 1-line block ×3, first 2 shown]
	v_add_f32_e32 v40, 0x358637bd, v36
	v_div_scale_f32 v41, s[10:11], v40, v40, 1.0
	v_rcp_f32_e32 v42, v41
	s_barrier
	v_mov_b32_e32 v32, 0
	v_fma_f32 v43, -v41, v42, 1.0
	v_fmac_f32_e32 v42, v43, v42
	v_div_scale_f32 v43, vcc, 1.0, v40, 1.0
	v_mul_f32_e32 v45, v43, v42
	v_fma_f32 v50, -v41, v45, v43
	v_fmac_f32_e32 v45, v50, v42
	v_fma_f32 v41, -v41, v45, v43
	v_div_fmas_f32 v41, v41, v42, v45
	v_cmp_eq_u32_e32 vcc, 1, v49
	v_cndmask_b32_e32 v37, v44, v37, vcc
	v_cmp_eq_u32_e32 vcc, 2, v49
	v_cndmask_b32_e32 v37, v37, v38, vcc
	v_cmp_eq_u32_e32 vcc, 3, v49
	v_div_fixup_f32 v40, v41, v40, 1.0
	v_cndmask_b32_e32 v37, v37, v39, vcc
	v_mul_f32_e32 v38, v37, v40
	v_pk_mul_f32 v[28:29], v[38:39], v[28:29] op_sel_hi:[0,1]
	v_pk_mul_f32 v[18:19], v[38:39], v[18:19] op_sel_hi:[0,1]
	v_cvt_f16_f32_e32 v18, v18
	v_cvt_f16_f32_e32 v19, v19
	v_cvt_f16_f32_e32 v28, v28
	v_cvt_f16_f32_e32 v29, v29
	v_pk_mul_f32 v[20:21], v[38:39], v[20:21] op_sel_hi:[0,1]
	v_pack_b32_f16 v18, v18, v19
	v_cvt_f16_f32_e32 v20, v20
	v_pack_b32_f16 v19, v28, v29
	v_pk_mul_f32 v[28:29], v[38:39], v[30:31] op_sel_hi:[0,1]
	v_cvt_f16_f32_e32 v21, v21
	v_cvt_f16_f32_e32 v30, v28
	;; [unrolled: 1-line block ×3, first 2 shown]
	v_lshlrev_b32_e32 v37, 3, v46
	v_lshlrev_b32_e32 v28, 11, v49
	v_or3_b32 v28, v28, v48, v37
	v_pack_b32_f16 v20, v20, v21
	v_pack_b32_f16 v21, v30, v29
	ds_write2st64_b64 v28, v[18:19], v[20:21] offset1:1
	v_pk_mul_f32 v[18:19], v[38:39], v[34:35] op_sel_hi:[0,1]
	v_pk_mul_f32 v[20:21], v[38:39], v[26:27] op_sel_hi:[0,1]
	v_cvt_f16_f32_e32 v26, v20
	v_cvt_f16_f32_e32 v27, v21
	;; [unrolled: 1-line block ×4, first 2 shown]
	v_pk_mul_f32 v[18:19], v[38:39], v[24:25] op_sel_hi:[0,1]
	v_pk_mul_f32 v[20:21], v[38:39], v[22:23] op_sel_hi:[0,1]
	v_cvt_f16_f32_e32 v20, v20
	v_cvt_f16_f32_e32 v21, v21
	v_cvt_f16_f32_e32 v22, v18
	v_cvt_f16_f32_e32 v23, v19
	v_pack_b32_f16 v18, v26, v27
	v_pack_b32_f16 v19, v29, v30
	;; [unrolled: 1-line block ×4, first 2 shown]
	v_cmp_eq_u32_e32 vcc, 0, v0
	ds_write2st64_b64 v28, v[18:19], v[20:21] offset0:2 offset1:3
	s_and_saveexec_b64 s[10:11], vcc
	s_cbranch_execz .LBB606_399
; %bb.398:
	s_mul_i32 s7, s7, s45
	s_mul_hi_u32 s16, s6, s45
	s_add_i32 s16, s16, s7
	s_mul_i32 s7, s6, s45
	s_add_u32 s7, s7, s8
	s_addc_u32 s16, s16, 0
	s_load_dwordx4 s[12:15], s[4:5], 0x58
	s_mul_i32 s16, s16, s44
	s_mul_hi_u32 s17, s7, s44
	s_add_i32 s17, s17, s16
	s_mul_i32 s7, s7, s44
	s_add_u32 s16, s7, s9
	s_addc_u32 s17, s17, 0
	s_lshl_b64 s[16:17], s[16:17], 2
	s_waitcnt lgkmcnt(0)
	s_add_u32 s14, s14, s16
	s_addc_u32 s15, s15, s17
	s_add_u32 s12, s12, s16
	v_mov_b32_e32 v18, 0
	s_addc_u32 s13, s13, s17
	global_store_dword v18, v33, s[14:15]
	global_store_dword v18, v36, s[12:13]
.LBB606_399:
	s_or_b64 exec, exec, s[10:11]
	v_mov_b32_e32 v19, 0
	s_waitcnt vmcnt(3)
	v_cmp_ne_u16_sdwa s[12:13], v14, v19 src0_sel:BYTE_0 src1_sel:DWORD
	s_waitcnt lgkmcnt(0)
	s_barrier
	s_and_saveexec_b64 s[10:11], s[12:13]
	s_cbranch_execz .LBB606_405
; %bb.400:
	s_movk_i32 s7, 0x80
	v_cmp_ne_u16_sdwa s[14:15], v14, s7 src0_sel:BYTE_0 src1_sel:DWORD
	v_bfrev_b32_e32 v32, 1
	s_and_saveexec_b64 s[12:13], s[14:15]
	s_cbranch_execz .LBB606_404
; %bb.401:
	s_movk_i32 s7, 0x7f
	v_and_b32_e32 v18, 0x7f, v14
	v_cmp_ne_u32_e32 vcc, s7, v18
	v_mov_b32_e32 v32, 0x7f800001
	s_and_saveexec_b64 s[14:15], vcc
	s_cbranch_execz .LBB606_403
; %bb.402:
	v_and_b32_e32 v22, 7, v14
	v_ffbh_u32_e32 v20, v22
	v_min_u32_e32 v24, 32, v20
	v_subrev_u32_e32 v20, 28, v24
	v_lshlrev_b64 v[20:21], v20, v[14:15]
	v_lshrrev_b32_e32 v23, 3, v18
	v_sub_u32_e32 v21, 29, v24
	v_and_b32_e32 v20, 7, v20
	v_cmp_gt_u32_e32 vcc, 8, v18
	v_cndmask_b32_e32 v18, v23, v21, vcc
	v_cndmask_b32_e32 v20, v22, v20, vcc
	v_lshlrev_b32_e32 v21, 24, v14
	v_bfrev_b32_e32 v22, 60
	v_lshlrev_b32_e32 v20, 20, v20
	v_and_b32_e32 v21, 0x80000000, v21
	v_lshl_add_u32 v18, v18, 23, v22
	v_or3_b32 v32, v21, v18, v20
.LBB606_403:
	s_or_b64 exec, exec, s[14:15]
.LBB606_404:
	s_or_b64 exec, exec, s[12:13]
.LBB606_405:
	s_or_b64 exec, exec, s[10:11]
	v_lshrrev_b16_e32 v18, 8, v14
	v_cmp_ne_u16_e32 vcc, 0, v18
	v_mov_b32_e32 v20, 0
	s_and_saveexec_b64 s[10:11], vcc
	s_cbranch_execz .LBB606_411
; %bb.406:
	s_movk_i32 s7, 0x80
	v_cmp_ne_u16_e32 vcc, s7, v18
	v_bfrev_b32_e32 v20, 1
	s_and_saveexec_b64 s[12:13], vcc
	s_cbranch_execz .LBB606_410
; %bb.407:
	s_movk_i32 s7, 0x7f
	v_and_b32_e32 v21, 0x7f, v18
	v_cmp_ne_u32_e32 vcc, s7, v21
	v_mov_b32_e32 v20, 0x7f800001
	s_and_saveexec_b64 s[14:15], vcc
	s_cbranch_execz .LBB606_409
; %bb.408:
	v_and_b32_e32 v20, 7, v18
	v_ffbh_u32_e32 v22, v20
	v_min_u32_e32 v25, 32, v22
	v_subrev_u32_e32 v22, 28, v25
	v_lshlrev_b64 v[22:23], v22, v[18:19]
	v_lshrrev_b32_e32 v24, 3, v21
	v_sub_u32_e32 v18, 29, v25
	v_and_b32_e32 v22, 7, v22
	v_cmp_gt_u32_e32 vcc, 8, v21
	v_cndmask_b32_e32 v18, v24, v18, vcc
	v_cndmask_b32_e32 v20, v20, v22, vcc
	v_lshlrev_b32_e32 v21, 16, v14
	v_bfrev_b32_e32 v22, 60
	v_lshlrev_b32_e32 v20, 20, v20
	v_and_b32_e32 v21, 0x80000000, v21
	v_lshl_add_u32 v18, v18, 23, v22
	v_or3_b32 v20, v21, v18, v20
.LBB606_409:
	s_or_b64 exec, exec, s[14:15]
.LBB606_410:
	s_or_b64 exec, exec, s[12:13]
.LBB606_411:
	s_or_b64 exec, exec, s[10:11]
	s_movk_i32 s7, 0xff
	v_and_b32_sdwa v21, v14, s7 dst_sel:DWORD dst_unused:UNUSED_PAD src0_sel:WORD_1 src1_sel:DWORD
	v_lshrrev_b32_e32 v18, 16, v14
	v_cmp_ne_u16_e32 vcc, 0, v21
	s_and_saveexec_b64 s[10:11], vcc
	s_cbranch_execz .LBB606_417
; %bb.412:
	s_movk_i32 s7, 0x80
	v_cmp_ne_u16_e32 vcc, s7, v21
	v_bfrev_b32_e32 v19, 1
	s_and_saveexec_b64 s[12:13], vcc
	s_cbranch_execz .LBB606_416
; %bb.413:
	v_bfe_u32 v21, v14, 16, 7
	s_movk_i32 s7, 0x7f
	v_cmp_ne_u32_e32 vcc, s7, v21
	v_mov_b32_e32 v19, 0x7f800001
	s_and_saveexec_b64 s[14:15], vcc
	s_cbranch_execz .LBB606_415
; %bb.414:
	v_and_b32_e32 v22, 7, v18
	v_ffbh_u32_e32 v19, v22
	v_min_u32_e32 v24, 32, v19
	v_subrev_u32_e32 v19, 28, v24
	v_lshlrev_b64 v[18:19], v19, v[18:19]
	v_lshrrev_b32_e32 v23, 3, v21
	v_sub_u32_e32 v19, 29, v24
	v_and_b32_e32 v18, 7, v18
	v_cmp_gt_u32_e32 vcc, 8, v21
	v_mov_b32_e32 v21, 24
	v_cndmask_b32_e32 v19, v23, v19, vcc
	v_cndmask_b32_e32 v18, v22, v18, vcc
	v_lshlrev_b32_sdwa v21, v21, v14 dst_sel:DWORD dst_unused:UNUSED_PAD src0_sel:DWORD src1_sel:WORD_1
	v_bfrev_b32_e32 v22, 60
	v_lshlrev_b32_e32 v18, 20, v18
	v_and_b32_e32 v21, 0x80000000, v21
	v_lshl_add_u32 v19, v19, 23, v22
	v_or3_b32 v19, v21, v19, v18
.LBB606_415:
	s_or_b64 exec, exec, s[14:15]
.LBB606_416:
	s_or_b64 exec, exec, s[12:13]
.LBB606_417:
	s_or_b64 exec, exec, s[10:11]
	s_mov_b32 s7, 0xffffff
	v_cmp_lt_u32_e32 vcc, s7, v14
	v_mov_b32_e32 v21, 0
	v_mov_b32_e32 v22, 0
	s_and_saveexec_b64 s[10:11], vcc
	s_cbranch_execz .LBB606_423
; %bb.418:
	v_lshrrev_b32_e32 v18, 24, v14
	s_movk_i32 s7, 0x80
	v_cmp_ne_u32_e32 vcc, s7, v18
	v_bfrev_b32_e32 v22, 1
	s_and_saveexec_b64 s[12:13], vcc
	s_cbranch_execz .LBB606_422
; %bb.419:
	v_bfe_u32 v14, v14, 24, 7
	s_movk_i32 s7, 0x7f
	v_cmp_ne_u32_e32 vcc, s7, v14
	v_mov_b32_e32 v22, 0x7f800001
	s_and_saveexec_b64 s[14:15], vcc
	s_cbranch_execz .LBB606_421
; %bb.420:
	v_and_b32_e32 v24, 7, v18
	v_ffbh_u32_e32 v22, v24
	v_min_u32_e32 v26, 32, v22
	v_subrev_u32_e32 v22, 28, v26
	v_lshlrev_b64 v[22:23], v22, v[18:19]
	v_lshrrev_b32_e32 v25, 3, v14
	v_sub_u32_e32 v23, 29, v26
	v_and_b32_e32 v22, 7, v22
	v_cmp_gt_u32_e32 vcc, 8, v14
	v_cndmask_b32_e32 v14, v25, v23, vcc
	v_cndmask_b32_e32 v22, v24, v22, vcc
	v_lshlrev_b32_e32 v18, 24, v18
	v_bfrev_b32_e32 v23, 60
	v_lshlrev_b32_e32 v22, 20, v22
	v_and_b32_e32 v18, 0x80000000, v18
	v_lshl_add_u32 v14, v14, 23, v23
	v_or3_b32 v22, v18, v14, v22
.LBB606_421:
	s_or_b64 exec, exec, s[14:15]
.LBB606_422:
	s_or_b64 exec, exec, s[12:13]
.LBB606_423:
	s_or_b64 exec, exec, s[10:11]
	v_cmp_ne_u16_sdwa s[12:13], v15, v21 src0_sel:BYTE_0 src1_sel:DWORD
	s_and_saveexec_b64 s[10:11], s[12:13]
	s_cbranch_execz .LBB606_429
; %bb.424:
	s_movk_i32 s7, 0x80
	v_cmp_ne_u16_sdwa s[14:15], v15, s7 src0_sel:BYTE_0 src1_sel:DWORD
	v_bfrev_b32_e32 v21, 1
	s_and_saveexec_b64 s[12:13], s[14:15]
	s_cbranch_execz .LBB606_428
; %bb.425:
	s_movk_i32 s7, 0x7f
	v_and_b32_e32 v14, 0x7f, v15
	v_cmp_ne_u32_e32 vcc, s7, v14
	v_mov_b32_e32 v21, 0x7f800001
	s_and_saveexec_b64 s[14:15], vcc
	s_cbranch_execz .LBB606_427
; %bb.426:
	v_and_b32_e32 v21, 7, v15
	v_ffbh_u32_e32 v24, v21
	v_min_u32_e32 v26, 32, v24
	v_mov_b32_e32 v18, v15
	v_subrev_u32_e32 v24, 28, v26
	v_lshlrev_b64 v[24:25], v24, v[18:19]
	v_lshrrev_b32_e32 v23, 3, v14
	v_sub_u32_e32 v18, 29, v26
	v_and_b32_e32 v24, 7, v24
	v_cmp_gt_u32_e32 vcc, 8, v14
	v_cndmask_b32_e32 v14, v23, v18, vcc
	v_cndmask_b32_e32 v18, v21, v24, vcc
	v_lshlrev_b32_e32 v21, 24, v15
	v_bfrev_b32_e32 v23, 60
	v_lshlrev_b32_e32 v18, 20, v18
	v_and_b32_e32 v21, 0x80000000, v21
	v_lshl_add_u32 v14, v14, 23, v23
	v_or3_b32 v21, v21, v14, v18
.LBB606_427:
	s_or_b64 exec, exec, s[14:15]
.LBB606_428:
	s_or_b64 exec, exec, s[12:13]
.LBB606_429:
	s_or_b64 exec, exec, s[10:11]
	v_lshrrev_b16_e32 v14, 8, v15
	v_cmp_ne_u16_e32 vcc, 0, v14
	v_mov_b32_e32 v18, 0
	v_mov_b32_e32 v24, 0
	s_and_saveexec_b64 s[10:11], vcc
	s_cbranch_execz .LBB606_435
; %bb.430:
	s_movk_i32 s7, 0x80
	v_cmp_ne_u16_e32 vcc, s7, v14
	v_bfrev_b32_e32 v24, 1
	s_and_saveexec_b64 s[12:13], vcc
	s_cbranch_execz .LBB606_434
; %bb.431:
	s_movk_i32 s7, 0x7f
	v_and_b32_e32 v23, 0x7f, v14
	v_cmp_ne_u32_e32 vcc, s7, v23
	v_mov_b32_e32 v24, 0x7f800001
	s_and_saveexec_b64 s[14:15], vcc
	s_cbranch_execz .LBB606_433
; %bb.432:
	v_and_b32_e32 v26, 7, v14
	v_ffbh_u32_e32 v24, v26
	v_min_u32_e32 v29, 32, v24
	v_subrev_u32_e32 v24, 28, v29
	v_lshlrev_b64 v[24:25], v24, v[14:15]
	v_lshrrev_b32_e32 v27, 3, v23
	v_sub_u32_e32 v14, 29, v29
	v_and_b32_e32 v24, 7, v24
	v_cmp_gt_u32_e32 vcc, 8, v23
	v_cndmask_b32_e32 v14, v27, v14, vcc
	v_cndmask_b32_e32 v23, v26, v24, vcc
	v_lshlrev_b32_e32 v24, 16, v15
	v_bfrev_b32_e32 v25, 60
	v_lshlrev_b32_e32 v23, 20, v23
	v_and_b32_e32 v24, 0x80000000, v24
	v_lshl_add_u32 v14, v14, 23, v25
	v_or3_b32 v24, v24, v14, v23
.LBB606_433:
	s_or_b64 exec, exec, s[14:15]
.LBB606_434:
	s_or_b64 exec, exec, s[12:13]
.LBB606_435:
	s_or_b64 exec, exec, s[10:11]
	s_movk_i32 s7, 0xff
	v_and_b32_sdwa v23, v15, s7 dst_sel:DWORD dst_unused:UNUSED_PAD src0_sel:WORD_1 src1_sel:DWORD
	v_lshrrev_b32_e32 v14, 16, v15
	v_cmp_ne_u16_e32 vcc, 0, v23
	s_and_saveexec_b64 s[10:11], vcc
	s_cbranch_execz .LBB606_441
; %bb.436:
	s_movk_i32 s7, 0x80
	v_cmp_ne_u16_e32 vcc, s7, v23
	v_bfrev_b32_e32 v18, 1
	s_and_saveexec_b64 s[12:13], vcc
	s_cbranch_execz .LBB606_440
; %bb.437:
	v_bfe_u32 v23, v15, 16, 7
	s_movk_i32 s7, 0x7f
	v_cmp_ne_u32_e32 vcc, s7, v23
	v_mov_b32_e32 v18, 0x7f800001
	s_and_saveexec_b64 s[14:15], vcc
	s_cbranch_execz .LBB606_439
; %bb.438:
	v_and_b32_e32 v18, 7, v14
	v_ffbh_u32_e32 v26, v18
	v_min_u32_e32 v29, 32, v26
	v_subrev_u32_e32 v26, 28, v29
	v_lshlrev_b64 v[26:27], v26, v[14:15]
	v_lshrrev_b32_e32 v25, 3, v23
	v_sub_u32_e32 v14, 29, v29
	v_and_b32_e32 v26, 7, v26
	v_cmp_gt_u32_e32 vcc, 8, v23
	v_mov_b32_e32 v23, 24
	v_cndmask_b32_e32 v14, v25, v14, vcc
	v_cndmask_b32_e32 v18, v18, v26, vcc
	v_lshlrev_b32_sdwa v23, v23, v15 dst_sel:DWORD dst_unused:UNUSED_PAD src0_sel:DWORD src1_sel:WORD_1
	v_bfrev_b32_e32 v25, 60
	v_lshlrev_b32_e32 v18, 20, v18
	v_and_b32_e32 v23, 0x80000000, v23
	v_lshl_add_u32 v14, v14, 23, v25
	v_or3_b32 v18, v23, v14, v18
.LBB606_439:
	s_or_b64 exec, exec, s[14:15]
.LBB606_440:
	s_or_b64 exec, exec, s[12:13]
.LBB606_441:
	s_or_b64 exec, exec, s[10:11]
	s_mov_b32 s7, 0xffffff
	v_cmp_lt_u32_e32 vcc, s7, v15
	v_mov_b32_e32 v23, 0
	v_mov_b32_e32 v25, 0
	s_and_saveexec_b64 s[10:11], vcc
	s_cbranch_execz .LBB606_447
; %bb.442:
	v_lshrrev_b32_e32 v14, 24, v15
	s_movk_i32 s7, 0x80
	v_cmp_ne_u32_e32 vcc, s7, v14
	v_bfrev_b32_e32 v25, 1
	s_and_saveexec_b64 s[12:13], vcc
	s_cbranch_execz .LBB606_446
; %bb.443:
	v_bfe_u32 v15, v15, 24, 7
	s_movk_i32 s7, 0x7f
	v_cmp_ne_u32_e32 vcc, s7, v15
	v_mov_b32_e32 v25, 0x7f800001
	s_and_saveexec_b64 s[14:15], vcc
	s_cbranch_execz .LBB606_445
; %bb.444:
	v_and_b32_e32 v25, 7, v14
	v_ffbh_u32_e32 v26, v25
	v_min_u32_e32 v30, 32, v26
	v_subrev_u32_e32 v26, 28, v30
	v_lshlrev_b64 v[26:27], v26, v[14:15]
	v_lshrrev_b32_e32 v29, 3, v15
	v_sub_u32_e32 v27, 29, v30
	v_and_b32_e32 v26, 7, v26
	v_cmp_gt_u32_e32 vcc, 8, v15
	v_cndmask_b32_e32 v15, v29, v27, vcc
	v_cndmask_b32_e32 v25, v25, v26, vcc
	v_lshlrev_b32_e32 v14, 24, v14
	v_bfrev_b32_e32 v26, 60
	v_lshlrev_b32_e32 v25, 20, v25
	v_and_b32_e32 v14, 0x80000000, v14
	v_lshl_add_u32 v15, v15, 23, v26
	v_or3_b32 v25, v14, v15, v25
.LBB606_445:
	s_or_b64 exec, exec, s[14:15]
.LBB606_446:
	s_or_b64 exec, exec, s[12:13]
.LBB606_447:
	s_or_b64 exec, exec, s[10:11]
	v_cvt_pkrtz_f16_f32 v15, v19, v22
	v_lshl_or_b32 v22, v46, 9, v48
	v_cvt_pkrtz_f16_f32 v14, v32, v20
	ds_read_b128 v[30:33], v22
	v_cmp_ne_u16_sdwa s[12:13], v16, v23 src0_sel:BYTE_0 src1_sel:DWORD
	s_waitcnt lgkmcnt(0)
	v_mfma_f32_16x16x16f16 v[34:37], v[14:15], v[30:31], 0
	v_cvt_pkrtz_f16_f32 v14, v21, v24
	v_cvt_pkrtz_f16_f32 v15, v18, v25
	s_nop 1
	v_mfma_f32_16x16x16f16 v[18:21], v[14:15], v[32:33], v[34:37]
	s_and_saveexec_b64 s[10:11], s[12:13]
	s_cbranch_execz .LBB606_453
; %bb.448:
	s_movk_i32 s7, 0x80
	v_cmp_ne_u16_sdwa s[14:15], v16, s7 src0_sel:BYTE_0 src1_sel:DWORD
	v_bfrev_b32_e32 v23, 1
	s_and_saveexec_b64 s[12:13], s[14:15]
	s_cbranch_execz .LBB606_452
; %bb.449:
	s_movk_i32 s7, 0x7f
	v_and_b32_e32 v14, 0x7f, v16
	v_cmp_ne_u32_e32 vcc, s7, v14
	v_mov_b32_e32 v23, 0x7f800001
	s_and_saveexec_b64 s[14:15], vcc
	s_cbranch_execz .LBB606_451
; %bb.450:
	v_and_b32_e32 v15, 7, v16
	v_ffbh_u32_e32 v24, v15
	v_min_u32_e32 v26, 32, v24
	v_subrev_u32_e32 v24, 28, v26
	v_lshlrev_b64 v[24:25], v24, v[16:17]
	v_lshrrev_b32_e32 v23, 3, v14
	v_sub_u32_e32 v25, 29, v26
	v_and_b32_e32 v24, 7, v24
	v_cmp_gt_u32_e32 vcc, 8, v14
	v_cndmask_b32_e32 v14, v23, v25, vcc
	v_cndmask_b32_e32 v15, v15, v24, vcc
	v_lshlrev_b32_e32 v23, 24, v16
	v_bfrev_b32_e32 v24, 60
	v_lshlrev_b32_e32 v15, 20, v15
	v_and_b32_e32 v23, 0x80000000, v23
	v_lshl_add_u32 v14, v14, 23, v24
	v_or3_b32 v23, v23, v14, v15
.LBB606_451:
	s_or_b64 exec, exec, s[14:15]
.LBB606_452:
	s_or_b64 exec, exec, s[12:13]
.LBB606_453:
	s_or_b64 exec, exec, s[10:11]
	v_lshrrev_b16_e32 v14, 8, v16
	v_cmp_ne_u16_e32 vcc, 0, v14
	v_mov_b32_e32 v15, 0
	v_mov_b32_e32 v25, 0
	s_and_saveexec_b64 s[10:11], vcc
	s_cbranch_execz .LBB606_459
; %bb.454:
	s_movk_i32 s7, 0x80
	v_cmp_ne_u16_e32 vcc, s7, v14
	v_bfrev_b32_e32 v25, 1
	s_and_saveexec_b64 s[12:13], vcc
	s_cbranch_execz .LBB606_458
; %bb.455:
	s_movk_i32 s7, 0x7f
	v_and_b32_e32 v24, 0x7f, v14
	v_cmp_ne_u32_e32 vcc, s7, v24
	v_mov_b32_e32 v25, 0x7f800001
	s_and_saveexec_b64 s[14:15], vcc
	s_cbranch_execz .LBB606_457
; %bb.456:
	v_and_b32_e32 v25, 7, v14
	v_ffbh_u32_e32 v26, v25
	v_min_u32_e32 v30, 32, v26
	v_subrev_u32_e32 v26, 28, v30
	v_lshlrev_b64 v[26:27], v26, v[14:15]
	v_lshrrev_b32_e32 v29, 3, v24
	v_sub_u32_e32 v14, 29, v30
	v_and_b32_e32 v26, 7, v26
	v_cmp_gt_u32_e32 vcc, 8, v24
	v_cndmask_b32_e32 v14, v29, v14, vcc
	v_cndmask_b32_e32 v24, v25, v26, vcc
	v_lshlrev_b32_e32 v25, 16, v16
	v_bfrev_b32_e32 v26, 60
	v_lshlrev_b32_e32 v24, 20, v24
	v_and_b32_e32 v25, 0x80000000, v25
	v_lshl_add_u32 v14, v14, 23, v26
	v_or3_b32 v25, v25, v14, v24
.LBB606_457:
	s_or_b64 exec, exec, s[14:15]
.LBB606_458:
	s_or_b64 exec, exec, s[12:13]
.LBB606_459:
	s_or_b64 exec, exec, s[10:11]
	s_movk_i32 s7, 0xff
	v_and_b32_sdwa v24, v16, s7 dst_sel:DWORD dst_unused:UNUSED_PAD src0_sel:WORD_1 src1_sel:DWORD
	v_lshrrev_b32_e32 v14, 16, v16
	v_cmp_ne_u16_e32 vcc, 0, v24
	s_and_saveexec_b64 s[10:11], vcc
	s_cbranch_execz .LBB606_465
; %bb.460:
	s_movk_i32 s7, 0x80
	v_cmp_ne_u16_e32 vcc, s7, v24
	v_bfrev_b32_e32 v15, 1
	s_and_saveexec_b64 s[12:13], vcc
	s_cbranch_execz .LBB606_464
; %bb.461:
	v_bfe_u32 v24, v16, 16, 7
	s_movk_i32 s7, 0x7f
	v_cmp_ne_u32_e32 vcc, s7, v24
	v_mov_b32_e32 v15, 0x7f800001
	s_and_saveexec_b64 s[14:15], vcc
	s_cbranch_execz .LBB606_463
; %bb.462:
	v_and_b32_e32 v26, 7, v14
	v_ffbh_u32_e32 v15, v26
	v_min_u32_e32 v29, 32, v15
	v_subrev_u32_e32 v15, 28, v29
	v_lshlrev_b64 v[14:15], v15, v[14:15]
	v_lshrrev_b32_e32 v27, 3, v24
	v_sub_u32_e32 v15, 29, v29
	v_and_b32_e32 v14, 7, v14
	v_cmp_gt_u32_e32 vcc, 8, v24
	v_mov_b32_e32 v24, 24
	v_cndmask_b32_e32 v15, v27, v15, vcc
	v_cndmask_b32_e32 v14, v26, v14, vcc
	v_lshlrev_b32_sdwa v24, v24, v16 dst_sel:DWORD dst_unused:UNUSED_PAD src0_sel:DWORD src1_sel:WORD_1
	v_bfrev_b32_e32 v26, 60
	v_lshlrev_b32_e32 v14, 20, v14
	v_and_b32_e32 v24, 0x80000000, v24
	v_lshl_add_u32 v15, v15, 23, v26
	v_or3_b32 v15, v24, v15, v14
.LBB606_463:
	s_or_b64 exec, exec, s[14:15]
.LBB606_464:
	s_or_b64 exec, exec, s[12:13]
.LBB606_465:
	s_or_b64 exec, exec, s[10:11]
	s_mov_b32 s7, 0xffffff
	v_cmp_lt_u32_e32 vcc, s7, v16
	v_mov_b32_e32 v26, 0
	v_mov_b32_e32 v27, 0
	s_and_saveexec_b64 s[10:11], vcc
	s_cbranch_execz .LBB606_471
; %bb.466:
	v_lshrrev_b32_e32 v14, 24, v16
	s_movk_i32 s7, 0x80
	v_cmp_ne_u32_e32 vcc, s7, v14
	v_bfrev_b32_e32 v27, 1
	s_and_saveexec_b64 s[12:13], vcc
	s_cbranch_execz .LBB606_470
; %bb.467:
	v_bfe_u32 v16, v16, 24, 7
	s_movk_i32 s7, 0x7f
	v_cmp_ne_u32_e32 vcc, s7, v16
	v_mov_b32_e32 v27, 0x7f800001
	s_and_saveexec_b64 s[14:15], vcc
	s_cbranch_execz .LBB606_469
; %bb.468:
	v_and_b32_e32 v24, 7, v14
	v_ffbh_u32_e32 v29, v24
	v_min_u32_e32 v29, 32, v29
	v_subrev_u32_e32 v30, 28, v29
	v_lshlrev_b64 v[30:31], v30, v[14:15]
	v_lshrrev_b32_e32 v27, 3, v16
	v_sub_u32_e32 v29, 29, v29
	v_and_b32_e32 v30, 7, v30
	v_cmp_gt_u32_e32 vcc, 8, v16
	v_cndmask_b32_e32 v16, v27, v29, vcc
	v_cndmask_b32_e32 v24, v24, v30, vcc
	v_lshlrev_b32_e32 v14, 24, v14
	v_bfrev_b32_e32 v27, 60
	v_lshlrev_b32_e32 v24, 20, v24
	v_and_b32_e32 v14, 0x80000000, v14
	v_lshl_add_u32 v16, v16, 23, v27
	v_or3_b32 v27, v14, v16, v24
.LBB606_469:
	s_or_b64 exec, exec, s[14:15]
.LBB606_470:
	s_or_b64 exec, exec, s[12:13]
.LBB606_471:
	s_or_b64 exec, exec, s[10:11]
	v_cmp_ne_u16_sdwa s[12:13], v17, v26 src0_sel:BYTE_0 src1_sel:DWORD
	s_and_saveexec_b64 s[10:11], s[12:13]
	s_cbranch_execz .LBB606_477
; %bb.472:
	s_movk_i32 s7, 0x80
	v_cmp_ne_u16_sdwa s[14:15], v17, s7 src0_sel:BYTE_0 src1_sel:DWORD
	v_bfrev_b32_e32 v26, 1
	s_and_saveexec_b64 s[12:13], s[14:15]
	s_cbranch_execz .LBB606_476
; %bb.473:
	s_movk_i32 s7, 0x7f
	v_and_b32_e32 v14, 0x7f, v17
	v_cmp_ne_u32_e32 vcc, s7, v14
	v_mov_b32_e32 v26, 0x7f800001
	s_and_saveexec_b64 s[14:15], vcc
	s_cbranch_execz .LBB606_475
; %bb.474:
	v_and_b32_e32 v24, 7, v17
	v_ffbh_u32_e32 v29, v24
	v_min_u32_e32 v29, 32, v29
	v_mov_b32_e32 v16, v17
	v_subrev_u32_e32 v30, 28, v29
	v_lshlrev_b64 v[30:31], v30, v[16:17]
	v_lshrrev_b32_e32 v26, 3, v14
	v_sub_u32_e32 v16, 29, v29
	v_and_b32_e32 v29, 7, v30
	v_cmp_gt_u32_e32 vcc, 8, v14
	v_cndmask_b32_e32 v14, v26, v16, vcc
	v_cndmask_b32_e32 v16, v24, v29, vcc
	v_lshlrev_b32_e32 v24, 24, v17
	v_bfrev_b32_e32 v26, 60
	v_lshlrev_b32_e32 v16, 20, v16
	v_and_b32_e32 v24, 0x80000000, v24
	v_lshl_add_u32 v14, v14, 23, v26
	v_or3_b32 v26, v24, v14, v16
.LBB606_475:
	s_or_b64 exec, exec, s[14:15]
.LBB606_476:
	s_or_b64 exec, exec, s[12:13]
.LBB606_477:
	s_or_b64 exec, exec, s[10:11]
	v_lshrrev_b16_e32 v14, 8, v17
	v_cmp_ne_u16_e32 vcc, 0, v14
	v_mov_b32_e32 v16, 0
	v_mov_b32_e32 v29, 0
	s_and_saveexec_b64 s[10:11], vcc
	s_cbranch_execz .LBB606_483
; %bb.478:
	s_movk_i32 s7, 0x80
	v_cmp_ne_u16_e32 vcc, s7, v14
	v_bfrev_b32_e32 v29, 1
	s_and_saveexec_b64 s[12:13], vcc
	s_cbranch_execz .LBB606_482
; %bb.479:
	s_movk_i32 s7, 0x7f
	v_and_b32_e32 v24, 0x7f, v14
	v_cmp_ne_u32_e32 vcc, s7, v24
	v_mov_b32_e32 v29, 0x7f800001
	s_and_saveexec_b64 s[14:15], vcc
	s_cbranch_execz .LBB606_481
; %bb.480:
	v_and_b32_e32 v29, 7, v14
	v_ffbh_u32_e32 v30, v29
	v_min_u32_e32 v33, 32, v30
	v_subrev_u32_e32 v30, 28, v33
	v_lshlrev_b64 v[30:31], v30, v[14:15]
	v_lshrrev_b32_e32 v32, 3, v24
	v_sub_u32_e32 v14, 29, v33
	v_and_b32_e32 v30, 7, v30
	v_cmp_gt_u32_e32 vcc, 8, v24
	v_cndmask_b32_e32 v14, v32, v14, vcc
	v_cndmask_b32_e32 v24, v29, v30, vcc
	v_lshlrev_b32_e32 v29, 16, v17
	v_bfrev_b32_e32 v30, 60
	v_lshlrev_b32_e32 v24, 20, v24
	v_and_b32_e32 v29, 0x80000000, v29
	v_lshl_add_u32 v14, v14, 23, v30
	v_or3_b32 v29, v29, v14, v24
.LBB606_481:
	s_or_b64 exec, exec, s[14:15]
.LBB606_482:
	s_or_b64 exec, exec, s[12:13]
.LBB606_483:
	s_or_b64 exec, exec, s[10:11]
	s_movk_i32 s7, 0xff
	v_and_b32_sdwa v24, v17, s7 dst_sel:DWORD dst_unused:UNUSED_PAD src0_sel:WORD_1 src1_sel:DWORD
	v_lshrrev_b32_e32 v14, 16, v17
	v_cmp_ne_u16_e32 vcc, 0, v24
	s_and_saveexec_b64 s[10:11], vcc
	s_cbranch_execz .LBB606_489
; %bb.484:
	s_movk_i32 s7, 0x80
	v_cmp_ne_u16_e32 vcc, s7, v24
	v_bfrev_b32_e32 v16, 1
	s_and_saveexec_b64 s[12:13], vcc
	s_cbranch_execz .LBB606_488
; %bb.485:
	v_bfe_u32 v24, v17, 16, 7
	s_movk_i32 s7, 0x7f
	v_cmp_ne_u32_e32 vcc, s7, v24
	v_mov_b32_e32 v16, 0x7f800001
	s_and_saveexec_b64 s[14:15], vcc
	s_cbranch_execz .LBB606_487
; %bb.486:
	v_and_b32_e32 v16, 7, v14
	v_ffbh_u32_e32 v30, v16
	v_min_u32_e32 v33, 32, v30
	v_subrev_u32_e32 v30, 28, v33
	v_lshlrev_b64 v[30:31], v30, v[14:15]
	v_lshrrev_b32_e32 v32, 3, v24
	v_sub_u32_e32 v14, 29, v33
	v_and_b32_e32 v30, 7, v30
	v_cmp_gt_u32_e32 vcc, 8, v24
	v_mov_b32_e32 v24, 24
	v_cndmask_b32_e32 v14, v32, v14, vcc
	v_cndmask_b32_e32 v16, v16, v30, vcc
	v_lshlrev_b32_sdwa v24, v24, v17 dst_sel:DWORD dst_unused:UNUSED_PAD src0_sel:DWORD src1_sel:WORD_1
	v_bfrev_b32_e32 v30, 60
	v_lshlrev_b32_e32 v16, 20, v16
	v_and_b32_e32 v24, 0x80000000, v24
	v_lshl_add_u32 v14, v14, 23, v30
	v_or3_b32 v16, v24, v14, v16
.LBB606_487:
	s_or_b64 exec, exec, s[14:15]
.LBB606_488:
	s_or_b64 exec, exec, s[12:13]
.LBB606_489:
	s_or_b64 exec, exec, s[10:11]
	s_mov_b32 s7, 0xffffff
	v_cmp_lt_u32_e32 vcc, s7, v17
	v_mov_b32_e32 v24, 0
	v_mov_b32_e32 v30, 0
	s_and_saveexec_b64 s[10:11], vcc
	s_cbranch_execz .LBB606_495
; %bb.490:
	v_lshrrev_b32_e32 v14, 24, v17
	s_movk_i32 s7, 0x80
	v_cmp_ne_u32_e32 vcc, s7, v14
	v_bfrev_b32_e32 v30, 1
	s_and_saveexec_b64 s[12:13], vcc
	s_cbranch_execz .LBB606_494
; %bb.491:
	v_bfe_u32 v17, v17, 24, 7
	s_movk_i32 s7, 0x7f
	v_cmp_ne_u32_e32 vcc, s7, v17
	v_mov_b32_e32 v30, 0x7f800001
	s_and_saveexec_b64 s[14:15], vcc
	s_cbranch_execz .LBB606_493
; %bb.492:
	v_and_b32_e32 v32, 7, v14
	v_ffbh_u32_e32 v30, v32
	v_min_u32_e32 v34, 32, v30
	v_subrev_u32_e32 v30, 28, v34
	v_lshlrev_b64 v[30:31], v30, v[14:15]
	v_lshrrev_b32_e32 v33, 3, v17
	v_sub_u32_e32 v31, 29, v34
	v_and_b32_e32 v30, 7, v30
	v_cmp_gt_u32_e32 vcc, 8, v17
	v_cndmask_b32_e32 v17, v33, v31, vcc
	v_cndmask_b32_e32 v30, v32, v30, vcc
	v_lshlrev_b32_e32 v14, 24, v14
	v_bfrev_b32_e32 v31, 60
	v_lshlrev_b32_e32 v30, 20, v30
	v_and_b32_e32 v14, 0x80000000, v14
	v_lshl_add_u32 v17, v17, 23, v31
	v_or3_b32 v30, v14, v17, v30
.LBB606_493:
	s_or_b64 exec, exec, s[14:15]
.LBB606_494:
	s_or_b64 exec, exec, s[12:13]
.LBB606_495:
	s_or_b64 exec, exec, s[10:11]
	v_cvt_pkrtz_f16_f32 v14, v23, v25
	v_cvt_pkrtz_f16_f32 v15, v15, v27
	ds_read_b128 v[32:35], v22 offset:16
	s_waitcnt vmcnt(2)
	v_cmp_ne_u16_sdwa s[12:13], v10, v24 src0_sel:BYTE_0 src1_sel:DWORD
	s_waitcnt lgkmcnt(0)
	v_mfma_f32_16x16x16f16 v[18:21], v[14:15], v[32:33], v[18:21]
	v_cvt_pkrtz_f16_f32 v14, v26, v29
	v_cvt_pkrtz_f16_f32 v15, v16, v30
	s_nop 1
	v_mfma_f32_16x16x16f16 v[14:17], v[14:15], v[34:35], v[18:21]
	s_and_saveexec_b64 s[10:11], s[12:13]
	s_cbranch_execz .LBB606_501
; %bb.496:
	s_movk_i32 s7, 0x80
	v_cmp_ne_u16_sdwa s[14:15], v10, s7 src0_sel:BYTE_0 src1_sel:DWORD
	v_bfrev_b32_e32 v24, 1
	s_and_saveexec_b64 s[12:13], s[14:15]
	s_cbranch_execz .LBB606_500
; %bb.497:
	s_movk_i32 s7, 0x7f
	v_and_b32_e32 v18, 0x7f, v10
	v_cmp_ne_u32_e32 vcc, s7, v18
	v_mov_b32_e32 v24, 0x7f800001
	s_and_saveexec_b64 s[14:15], vcc
	s_cbranch_execz .LBB606_499
; %bb.498:
	v_and_b32_e32 v19, 7, v10
	v_ffbh_u32_e32 v20, v19
	v_min_u32_e32 v24, 32, v20
	v_subrev_u32_e32 v20, 28, v24
	v_lshlrev_b64 v[20:21], v20, v[10:11]
	v_lshrrev_b32_e32 v23, 3, v18
	v_sub_u32_e32 v21, 29, v24
	v_and_b32_e32 v20, 7, v20
	v_cmp_gt_u32_e32 vcc, 8, v18
	v_cndmask_b32_e32 v18, v23, v21, vcc
	v_cndmask_b32_e32 v19, v19, v20, vcc
	v_lshlrev_b32_e32 v20, 24, v10
	v_bfrev_b32_e32 v21, 60
	v_lshlrev_b32_e32 v19, 20, v19
	v_and_b32_e32 v20, 0x80000000, v20
	v_lshl_add_u32 v18, v18, 23, v21
	v_or3_b32 v24, v20, v18, v19
.LBB606_499:
	s_or_b64 exec, exec, s[14:15]
.LBB606_500:
	s_or_b64 exec, exec, s[12:13]
.LBB606_501:
	s_or_b64 exec, exec, s[10:11]
	s_nop 3
	v_lshrrev_b16_e32 v18, 8, v10
	v_cmp_ne_u16_e32 vcc, 0, v18
	v_mov_b32_e32 v19, 0
	v_mov_b32_e32 v20, 0
	s_and_saveexec_b64 s[10:11], vcc
	s_cbranch_execz .LBB606_507
; %bb.502:
	s_movk_i32 s7, 0x80
	v_cmp_ne_u16_e32 vcc, s7, v18
	v_bfrev_b32_e32 v20, 1
	s_and_saveexec_b64 s[12:13], vcc
	s_cbranch_execz .LBB606_506
; %bb.503:
	s_movk_i32 s7, 0x7f
	v_and_b32_e32 v21, 0x7f, v18
	v_cmp_ne_u32_e32 vcc, s7, v21
	v_mov_b32_e32 v20, 0x7f800001
	s_and_saveexec_b64 s[14:15], vcc
	s_cbranch_execz .LBB606_505
; %bb.504:
	v_and_b32_e32 v20, 7, v18
	v_ffbh_u32_e32 v25, v20
	v_min_u32_e32 v25, 32, v25
	v_subrev_u32_e32 v26, 28, v25
	v_lshlrev_b64 v[26:27], v26, v[18:19]
	v_lshrrev_b32_e32 v23, 3, v21
	v_sub_u32_e32 v18, 29, v25
	v_and_b32_e32 v25, 7, v26
	v_cmp_gt_u32_e32 vcc, 8, v21
	v_cndmask_b32_e32 v18, v23, v18, vcc
	v_cndmask_b32_e32 v20, v20, v25, vcc
	v_lshlrev_b32_e32 v21, 16, v10
	v_bfrev_b32_e32 v23, 60
	v_lshlrev_b32_e32 v20, 20, v20
	v_and_b32_e32 v21, 0x80000000, v21
	v_lshl_add_u32 v18, v18, 23, v23
	v_or3_b32 v20, v21, v18, v20
.LBB606_505:
	s_or_b64 exec, exec, s[14:15]
.LBB606_506:
	s_or_b64 exec, exec, s[12:13]
.LBB606_507:
	s_or_b64 exec, exec, s[10:11]
	s_movk_i32 s7, 0xff
	v_and_b32_sdwa v21, v10, s7 dst_sel:DWORD dst_unused:UNUSED_PAD src0_sel:WORD_1 src1_sel:DWORD
	v_lshrrev_b32_e32 v18, 16, v10
	v_cmp_ne_u16_e32 vcc, 0, v21
	s_and_saveexec_b64 s[10:11], vcc
	s_cbranch_execz .LBB606_513
; %bb.508:
	s_movk_i32 s7, 0x80
	v_cmp_ne_u16_e32 vcc, s7, v21
	v_bfrev_b32_e32 v19, 1
	s_and_saveexec_b64 s[12:13], vcc
	s_cbranch_execz .LBB606_512
; %bb.509:
	v_bfe_u32 v21, v10, 16, 7
	s_movk_i32 s7, 0x7f
	v_cmp_ne_u32_e32 vcc, s7, v21
	v_mov_b32_e32 v19, 0x7f800001
	s_and_saveexec_b64 s[14:15], vcc
	s_cbranch_execz .LBB606_511
; %bb.510:
	v_and_b32_e32 v23, 7, v18
	v_ffbh_u32_e32 v19, v23
	v_min_u32_e32 v26, 32, v19
	v_subrev_u32_e32 v19, 28, v26
	v_lshlrev_b64 v[18:19], v19, v[18:19]
	v_lshrrev_b32_e32 v25, 3, v21
	v_sub_u32_e32 v19, 29, v26
	v_and_b32_e32 v18, 7, v18
	v_cmp_gt_u32_e32 vcc, 8, v21
	v_mov_b32_e32 v21, 24
	v_cndmask_b32_e32 v19, v25, v19, vcc
	v_cndmask_b32_e32 v18, v23, v18, vcc
	v_lshlrev_b32_sdwa v21, v21, v10 dst_sel:DWORD dst_unused:UNUSED_PAD src0_sel:DWORD src1_sel:WORD_1
	v_bfrev_b32_e32 v23, 60
	v_lshlrev_b32_e32 v18, 20, v18
	v_and_b32_e32 v21, 0x80000000, v21
	v_lshl_add_u32 v19, v19, 23, v23
	v_or3_b32 v19, v21, v19, v18
.LBB606_511:
	s_or_b64 exec, exec, s[14:15]
.LBB606_512:
	s_or_b64 exec, exec, s[12:13]
.LBB606_513:
	s_or_b64 exec, exec, s[10:11]
	s_mov_b32 s7, 0xffffff
	v_cmp_lt_u32_e32 vcc, s7, v10
	v_mov_b32_e32 v21, 0
	v_mov_b32_e32 v23, 0
	s_and_saveexec_b64 s[10:11], vcc
	s_cbranch_execz .LBB606_519
; %bb.514:
	v_lshrrev_b32_e32 v18, 24, v10
	s_movk_i32 s7, 0x80
	v_cmp_ne_u32_e32 vcc, s7, v18
	v_bfrev_b32_e32 v23, 1
	s_and_saveexec_b64 s[12:13], vcc
	s_cbranch_execz .LBB606_518
; %bb.515:
	v_bfe_u32 v10, v10, 24, 7
	s_movk_i32 s7, 0x7f
	v_cmp_ne_u32_e32 vcc, s7, v10
	v_mov_b32_e32 v23, 0x7f800001
	s_and_saveexec_b64 s[14:15], vcc
	s_cbranch_execz .LBB606_517
; %bb.516:
	v_and_b32_e32 v23, 7, v18
	v_ffbh_u32_e32 v26, v23
	v_min_u32_e32 v29, 32, v26
	v_subrev_u32_e32 v26, 28, v29
	v_lshlrev_b64 v[26:27], v26, v[18:19]
	v_lshrrev_b32_e32 v25, 3, v10
	v_sub_u32_e32 v27, 29, v29
	v_and_b32_e32 v26, 7, v26
	v_cmp_gt_u32_e32 vcc, 8, v10
	v_cndmask_b32_e32 v10, v25, v27, vcc
	v_cndmask_b32_e32 v23, v23, v26, vcc
	v_lshlrev_b32_e32 v18, 24, v18
	v_bfrev_b32_e32 v25, 60
	v_lshlrev_b32_e32 v23, 20, v23
	v_and_b32_e32 v18, 0x80000000, v18
	v_lshl_add_u32 v10, v10, 23, v25
	v_or3_b32 v23, v18, v10, v23
.LBB606_517:
	s_or_b64 exec, exec, s[14:15]
.LBB606_518:
	s_or_b64 exec, exec, s[12:13]
.LBB606_519:
	s_or_b64 exec, exec, s[10:11]
	v_cmp_ne_u16_sdwa s[12:13], v11, v21 src0_sel:BYTE_0 src1_sel:DWORD
	s_and_saveexec_b64 s[10:11], s[12:13]
	s_cbranch_execz .LBB606_525
; %bb.520:
	s_movk_i32 s7, 0x80
	v_cmp_ne_u16_sdwa s[14:15], v11, s7 src0_sel:BYTE_0 src1_sel:DWORD
	v_bfrev_b32_e32 v21, 1
	s_and_saveexec_b64 s[12:13], s[14:15]
	s_cbranch_execz .LBB606_524
; %bb.521:
	s_movk_i32 s7, 0x7f
	v_and_b32_e32 v10, 0x7f, v11
	v_cmp_ne_u32_e32 vcc, s7, v10
	v_mov_b32_e32 v21, 0x7f800001
	s_and_saveexec_b64 s[14:15], vcc
	s_cbranch_execz .LBB606_523
; %bb.522:
	v_and_b32_e32 v21, 7, v11
	v_ffbh_u32_e32 v26, v21
	v_min_u32_e32 v29, 32, v26
	v_mov_b32_e32 v18, v11
	v_subrev_u32_e32 v26, 28, v29
	v_lshlrev_b64 v[26:27], v26, v[18:19]
	v_lshrrev_b32_e32 v25, 3, v10
	v_sub_u32_e32 v18, 29, v29
	v_and_b32_e32 v26, 7, v26
	v_cmp_gt_u32_e32 vcc, 8, v10
	v_cndmask_b32_e32 v10, v25, v18, vcc
	v_cndmask_b32_e32 v18, v21, v26, vcc
	v_lshlrev_b32_e32 v21, 24, v11
	v_bfrev_b32_e32 v25, 60
	v_lshlrev_b32_e32 v18, 20, v18
	v_and_b32_e32 v21, 0x80000000, v21
	v_lshl_add_u32 v10, v10, 23, v25
	v_or3_b32 v21, v21, v10, v18
.LBB606_523:
	s_or_b64 exec, exec, s[14:15]
.LBB606_524:
	s_or_b64 exec, exec, s[12:13]
.LBB606_525:
	s_or_b64 exec, exec, s[10:11]
	v_lshrrev_b16_e32 v10, 8, v11
	v_cmp_ne_u16_e32 vcc, 0, v10
	v_mov_b32_e32 v25, 0
	v_mov_b32_e32 v26, 0
	s_and_saveexec_b64 s[10:11], vcc
	s_cbranch_execz .LBB606_531
; %bb.526:
	s_movk_i32 s7, 0x80
	v_cmp_ne_u16_e32 vcc, s7, v10
	v_bfrev_b32_e32 v26, 1
	s_and_saveexec_b64 s[12:13], vcc
	s_cbranch_execz .LBB606_530
; %bb.527:
	s_movk_i32 s7, 0x7f
	v_and_b32_e32 v18, 0x7f, v10
	v_cmp_ne_u32_e32 vcc, s7, v18
	v_mov_b32_e32 v26, 0x7f800001
	s_and_saveexec_b64 s[14:15], vcc
	s_cbranch_execz .LBB606_529
; %bb.528:
	v_and_b32_e32 v29, 7, v10
	v_ffbh_u32_e32 v26, v29
	v_min_u32_e32 v31, 32, v26
	v_subrev_u32_e32 v26, 28, v31
	v_lshlrev_b64 v[26:27], v26, v[10:11]
	v_lshrrev_b32_e32 v30, 3, v18
	v_sub_u32_e32 v10, 29, v31
	v_and_b32_e32 v26, 7, v26
	v_cmp_gt_u32_e32 vcc, 8, v18
	v_cndmask_b32_e32 v10, v30, v10, vcc
	v_cndmask_b32_e32 v18, v29, v26, vcc
	v_lshlrev_b32_e32 v26, 16, v11
	v_bfrev_b32_e32 v27, 60
	v_lshlrev_b32_e32 v18, 20, v18
	v_and_b32_e32 v26, 0x80000000, v26
	v_lshl_add_u32 v10, v10, 23, v27
	v_or3_b32 v26, v26, v10, v18
.LBB606_529:
	s_or_b64 exec, exec, s[14:15]
.LBB606_530:
	s_or_b64 exec, exec, s[12:13]
.LBB606_531:
	s_or_b64 exec, exec, s[10:11]
	s_movk_i32 s7, 0xff
	v_and_b32_sdwa v18, v11, s7 dst_sel:DWORD dst_unused:UNUSED_PAD src0_sel:WORD_1 src1_sel:DWORD
	v_lshrrev_b32_e32 v10, 16, v11
	v_cmp_ne_u16_e32 vcc, 0, v18
	s_and_saveexec_b64 s[10:11], vcc
	s_cbranch_execz .LBB606_537
; %bb.532:
	s_movk_i32 s7, 0x80
	v_cmp_ne_u16_e32 vcc, s7, v18
	v_bfrev_b32_e32 v25, 1
	s_and_saveexec_b64 s[12:13], vcc
	s_cbranch_execz .LBB606_536
; %bb.533:
	v_bfe_u32 v18, v11, 16, 7
	s_movk_i32 s7, 0x7f
	v_cmp_ne_u32_e32 vcc, s7, v18
	v_mov_b32_e32 v25, 0x7f800001
	s_and_saveexec_b64 s[14:15], vcc
	s_cbranch_execz .LBB606_535
; %bb.534:
	v_and_b32_e32 v25, 7, v10
	v_ffbh_u32_e32 v29, v25
	v_min_u32_e32 v29, 32, v29
	v_subrev_u32_e32 v30, 28, v29
	v_lshlrev_b64 v[30:31], v30, v[10:11]
	v_sub_u32_e32 v10, 29, v29
	v_and_b32_e32 v29, 7, v30
	v_cmp_gt_u32_e32 vcc, 8, v18
	v_lshrrev_b32_e32 v27, 3, v18
	v_cndmask_b32_e32 v18, v25, v29, vcc
	v_mov_b32_e32 v25, 24
	v_cndmask_b32_e32 v10, v27, v10, vcc
	v_lshlrev_b32_sdwa v25, v25, v11 dst_sel:DWORD dst_unused:UNUSED_PAD src0_sel:DWORD src1_sel:WORD_1
	v_bfrev_b32_e32 v27, 60
	v_lshlrev_b32_e32 v18, 20, v18
	v_and_b32_e32 v25, 0x80000000, v25
	v_lshl_add_u32 v10, v10, 23, v27
	v_or3_b32 v25, v25, v10, v18
.LBB606_535:
	s_or_b64 exec, exec, s[14:15]
.LBB606_536:
	s_or_b64 exec, exec, s[12:13]
.LBB606_537:
	s_or_b64 exec, exec, s[10:11]
	s_mov_b32 s7, 0xffffff
	v_cmp_lt_u32_e32 vcc, s7, v11
	v_mov_b32_e32 v18, 0
	v_mov_b32_e32 v27, 0
	s_and_saveexec_b64 s[10:11], vcc
	s_cbranch_execz .LBB606_543
; %bb.538:
	v_lshrrev_b32_e32 v10, 24, v11
	s_movk_i32 s7, 0x80
	v_cmp_ne_u32_e32 vcc, s7, v10
	v_bfrev_b32_e32 v27, 1
	s_and_saveexec_b64 s[12:13], vcc
	s_cbranch_execz .LBB606_542
; %bb.539:
	v_bfe_u32 v11, v11, 24, 7
	s_movk_i32 s7, 0x7f
	v_cmp_ne_u32_e32 vcc, s7, v11
	v_mov_b32_e32 v27, 0x7f800001
	s_and_saveexec_b64 s[14:15], vcc
	s_cbranch_execz .LBB606_541
; %bb.540:
	v_and_b32_e32 v27, 7, v10
	v_ffbh_u32_e32 v30, v27
	v_min_u32_e32 v32, 32, v30
	v_subrev_u32_e32 v30, 28, v32
	v_lshlrev_b64 v[30:31], v30, v[10:11]
	v_lshrrev_b32_e32 v29, 3, v11
	v_sub_u32_e32 v31, 29, v32
	v_and_b32_e32 v30, 7, v30
	v_cmp_gt_u32_e32 vcc, 8, v11
	v_cndmask_b32_e32 v11, v29, v31, vcc
	v_cndmask_b32_e32 v27, v27, v30, vcc
	v_lshlrev_b32_e32 v10, 24, v10
	v_bfrev_b32_e32 v29, 60
	v_lshlrev_b32_e32 v27, 20, v27
	v_and_b32_e32 v10, 0x80000000, v10
	v_lshl_add_u32 v11, v11, 23, v29
	v_or3_b32 v27, v10, v11, v27
.LBB606_541:
	s_or_b64 exec, exec, s[14:15]
.LBB606_542:
	s_or_b64 exec, exec, s[12:13]
.LBB606_543:
	s_or_b64 exec, exec, s[10:11]
	v_cvt_pkrtz_f16_f32 v10, v24, v20
	v_cvt_pkrtz_f16_f32 v11, v19, v23
	ds_read_b128 v[30:33], v22 offset:2048
	v_cmp_ne_u16_sdwa s[12:13], v12, v18 src0_sel:BYTE_0 src1_sel:DWORD
	s_waitcnt lgkmcnt(0)
	v_mfma_f32_16x16x16f16 v[14:17], v[10:11], v[30:31], v[14:17]
	v_cvt_pkrtz_f16_f32 v10, v21, v26
	v_cvt_pkrtz_f16_f32 v11, v25, v27
	s_nop 1
	v_mfma_f32_16x16x16f16 v[14:17], v[10:11], v[32:33], v[14:17]
	s_and_saveexec_b64 s[10:11], s[12:13]
	s_cbranch_execz .LBB606_549
; %bb.544:
	s_movk_i32 s7, 0x80
	v_cmp_ne_u16_sdwa s[14:15], v12, s7 src0_sel:BYTE_0 src1_sel:DWORD
	v_bfrev_b32_e32 v18, 1
	s_and_saveexec_b64 s[12:13], s[14:15]
	s_cbranch_execz .LBB606_548
; %bb.545:
	s_movk_i32 s7, 0x7f
	v_and_b32_e32 v10, 0x7f, v12
	v_cmp_ne_u32_e32 vcc, s7, v10
	v_mov_b32_e32 v18, 0x7f800001
	s_and_saveexec_b64 s[14:15], vcc
	s_cbranch_execz .LBB606_547
; %bb.546:
	v_and_b32_e32 v11, 7, v12
	v_ffbh_u32_e32 v18, v11
	v_min_u32_e32 v21, 32, v18
	v_subrev_u32_e32 v18, 28, v21
	v_lshlrev_b64 v[18:19], v18, v[12:13]
	v_lshrrev_b32_e32 v20, 3, v10
	v_sub_u32_e32 v19, 29, v21
	v_and_b32_e32 v18, 7, v18
	v_cmp_gt_u32_e32 vcc, 8, v10
	v_cndmask_b32_e32 v10, v20, v19, vcc
	v_cndmask_b32_e32 v11, v11, v18, vcc
	v_lshlrev_b32_e32 v18, 24, v12
	v_bfrev_b32_e32 v19, 60
	v_lshlrev_b32_e32 v11, 20, v11
	v_and_b32_e32 v18, 0x80000000, v18
	v_lshl_add_u32 v10, v10, 23, v19
	v_or3_b32 v18, v18, v10, v11
.LBB606_547:
	s_or_b64 exec, exec, s[14:15]
.LBB606_548:
	s_or_b64 exec, exec, s[12:13]
.LBB606_549:
	s_or_b64 exec, exec, s[10:11]
	v_lshrrev_b16_e32 v10, 8, v12
	v_cmp_ne_u16_e32 vcc, 0, v10
	v_mov_b32_e32 v11, 0
	v_mov_b32_e32 v20, 0
	s_and_saveexec_b64 s[10:11], vcc
	s_cbranch_execz .LBB606_555
; %bb.550:
	s_movk_i32 s7, 0x80
	v_cmp_ne_u16_e32 vcc, s7, v10
	v_bfrev_b32_e32 v20, 1
	s_and_saveexec_b64 s[12:13], vcc
	s_cbranch_execz .LBB606_554
; %bb.551:
	s_movk_i32 s7, 0x7f
	v_and_b32_e32 v19, 0x7f, v10
	v_cmp_ne_u32_e32 vcc, s7, v19
	v_mov_b32_e32 v20, 0x7f800001
	s_and_saveexec_b64 s[14:15], vcc
	s_cbranch_execz .LBB606_553
; %bb.552:
	v_and_b32_e32 v23, 7, v10
	v_ffbh_u32_e32 v20, v23
	v_min_u32_e32 v25, 32, v20
	v_subrev_u32_e32 v20, 28, v25
	v_lshlrev_b64 v[20:21], v20, v[10:11]
	v_lshrrev_b32_e32 v24, 3, v19
	v_sub_u32_e32 v10, 29, v25
	v_and_b32_e32 v20, 7, v20
	v_cmp_gt_u32_e32 vcc, 8, v19
	v_cndmask_b32_e32 v10, v24, v10, vcc
	v_cndmask_b32_e32 v19, v23, v20, vcc
	v_lshlrev_b32_e32 v20, 16, v12
	v_bfrev_b32_e32 v21, 60
	v_lshlrev_b32_e32 v19, 20, v19
	v_and_b32_e32 v20, 0x80000000, v20
	v_lshl_add_u32 v10, v10, 23, v21
	v_or3_b32 v20, v20, v10, v19
.LBB606_553:
	s_or_b64 exec, exec, s[14:15]
.LBB606_554:
	s_or_b64 exec, exec, s[12:13]
.LBB606_555:
	s_or_b64 exec, exec, s[10:11]
	s_movk_i32 s7, 0xff
	v_and_b32_sdwa v19, v12, s7 dst_sel:DWORD dst_unused:UNUSED_PAD src0_sel:WORD_1 src1_sel:DWORD
	v_lshrrev_b32_e32 v10, 16, v12
	v_cmp_ne_u16_e32 vcc, 0, v19
	s_and_saveexec_b64 s[10:11], vcc
	s_cbranch_execz .LBB606_561
; %bb.556:
	s_movk_i32 s7, 0x80
	v_cmp_ne_u16_e32 vcc, s7, v19
	v_bfrev_b32_e32 v11, 1
	s_and_saveexec_b64 s[12:13], vcc
	s_cbranch_execz .LBB606_560
; %bb.557:
	v_bfe_u32 v19, v12, 16, 7
	s_movk_i32 s7, 0x7f
	v_cmp_ne_u32_e32 vcc, s7, v19
	v_mov_b32_e32 v11, 0x7f800001
	s_and_saveexec_b64 s[14:15], vcc
	s_cbranch_execz .LBB606_559
; %bb.558:
	v_and_b32_e32 v21, 7, v10
	v_ffbh_u32_e32 v11, v21
	v_min_u32_e32 v24, 32, v11
	v_subrev_u32_e32 v11, 28, v24
	v_lshlrev_b64 v[10:11], v11, v[10:11]
	v_lshrrev_b32_e32 v23, 3, v19
	v_sub_u32_e32 v11, 29, v24
	v_and_b32_e32 v10, 7, v10
	v_cmp_gt_u32_e32 vcc, 8, v19
	v_mov_b32_e32 v19, 24
	v_cndmask_b32_e32 v11, v23, v11, vcc
	v_cndmask_b32_e32 v10, v21, v10, vcc
	v_lshlrev_b32_sdwa v19, v19, v12 dst_sel:DWORD dst_unused:UNUSED_PAD src0_sel:DWORD src1_sel:WORD_1
	v_bfrev_b32_e32 v21, 60
	v_lshlrev_b32_e32 v10, 20, v10
	v_and_b32_e32 v19, 0x80000000, v19
	v_lshl_add_u32 v11, v11, 23, v21
	v_or3_b32 v11, v19, v11, v10
.LBB606_559:
	s_or_b64 exec, exec, s[14:15]
.LBB606_560:
	s_or_b64 exec, exec, s[12:13]
.LBB606_561:
	s_or_b64 exec, exec, s[10:11]
	s_mov_b32 s7, 0xffffff
	v_cmp_lt_u32_e32 vcc, s7, v12
	v_mov_b32_e32 v21, 0
	v_mov_b32_e32 v23, 0
	s_and_saveexec_b64 s[10:11], vcc
	s_cbranch_execz .LBB606_567
; %bb.562:
	v_lshrrev_b32_e32 v10, 24, v12
	s_movk_i32 s7, 0x80
	v_cmp_ne_u32_e32 vcc, s7, v10
	v_bfrev_b32_e32 v23, 1
	s_and_saveexec_b64 s[12:13], vcc
	s_cbranch_execz .LBB606_566
; %bb.563:
	v_bfe_u32 v12, v12, 24, 7
	s_movk_i32 s7, 0x7f
	v_cmp_ne_u32_e32 vcc, s7, v12
	v_mov_b32_e32 v23, 0x7f800001
	s_and_saveexec_b64 s[14:15], vcc
	s_cbranch_execz .LBB606_565
; %bb.564:
	v_and_b32_e32 v19, 7, v10
	v_ffbh_u32_e32 v24, v19
	v_min_u32_e32 v26, 32, v24
	v_subrev_u32_e32 v24, 28, v26
	v_lshlrev_b64 v[24:25], v24, v[10:11]
	v_lshrrev_b32_e32 v23, 3, v12
	v_sub_u32_e32 v25, 29, v26
	v_and_b32_e32 v24, 7, v24
	v_cmp_gt_u32_e32 vcc, 8, v12
	v_cndmask_b32_e32 v12, v23, v25, vcc
	v_cndmask_b32_e32 v19, v19, v24, vcc
	v_lshlrev_b32_e32 v10, 24, v10
	v_bfrev_b32_e32 v23, 60
	v_lshlrev_b32_e32 v19, 20, v19
	v_and_b32_e32 v10, 0x80000000, v10
	v_lshl_add_u32 v12, v12, 23, v23
	v_or3_b32 v23, v10, v12, v19
.LBB606_565:
	s_or_b64 exec, exec, s[14:15]
.LBB606_566:
	s_or_b64 exec, exec, s[12:13]
.LBB606_567:
	s_or_b64 exec, exec, s[10:11]
	v_cmp_ne_u16_sdwa s[12:13], v13, v21 src0_sel:BYTE_0 src1_sel:DWORD
	s_and_saveexec_b64 s[10:11], s[12:13]
	s_cbranch_execz .LBB606_573
; %bb.568:
	s_movk_i32 s7, 0x80
	v_cmp_ne_u16_sdwa s[14:15], v13, s7 src0_sel:BYTE_0 src1_sel:DWORD
	v_bfrev_b32_e32 v21, 1
	s_and_saveexec_b64 s[12:13], s[14:15]
	s_cbranch_execz .LBB606_572
; %bb.569:
	s_movk_i32 s7, 0x7f
	v_and_b32_e32 v10, 0x7f, v13
	v_cmp_ne_u32_e32 vcc, s7, v10
	v_mov_b32_e32 v21, 0x7f800001
	s_and_saveexec_b64 s[14:15], vcc
	s_cbranch_execz .LBB606_571
; %bb.570:
	v_and_b32_e32 v19, 7, v13
	v_ffbh_u32_e32 v24, v19
	v_min_u32_e32 v26, 32, v24
	v_mov_b32_e32 v12, v13
	v_subrev_u32_e32 v24, 28, v26
	v_lshlrev_b64 v[24:25], v24, v[12:13]
	v_lshrrev_b32_e32 v21, 3, v10
	v_sub_u32_e32 v12, 29, v26
	v_and_b32_e32 v24, 7, v24
	v_cmp_gt_u32_e32 vcc, 8, v10
	v_cndmask_b32_e32 v10, v21, v12, vcc
	v_cndmask_b32_e32 v12, v19, v24, vcc
	v_lshlrev_b32_e32 v19, 24, v13
	v_bfrev_b32_e32 v21, 60
	v_lshlrev_b32_e32 v12, 20, v12
	v_and_b32_e32 v19, 0x80000000, v19
	v_lshl_add_u32 v10, v10, 23, v21
	v_or3_b32 v21, v19, v10, v12
.LBB606_571:
	s_or_b64 exec, exec, s[14:15]
.LBB606_572:
	s_or_b64 exec, exec, s[12:13]
.LBB606_573:
	s_or_b64 exec, exec, s[10:11]
	v_lshrrev_b16_e32 v10, 8, v13
	v_cmp_ne_u16_e32 vcc, 0, v10
	v_mov_b32_e32 v12, 0
	v_mov_b32_e32 v24, 0
	s_and_saveexec_b64 s[10:11], vcc
	s_cbranch_execz .LBB606_579
; %bb.574:
	s_movk_i32 s7, 0x80
	v_cmp_ne_u16_e32 vcc, s7, v10
	v_bfrev_b32_e32 v24, 1
	s_and_saveexec_b64 s[12:13], vcc
	s_cbranch_execz .LBB606_578
; %bb.575:
	s_movk_i32 s7, 0x7f
	v_and_b32_e32 v19, 0x7f, v10
	v_cmp_ne_u32_e32 vcc, s7, v19
	v_mov_b32_e32 v24, 0x7f800001
	s_and_saveexec_b64 s[14:15], vcc
	s_cbranch_execz .LBB606_577
; %bb.576:
	v_and_b32_e32 v26, 7, v10
	v_ffbh_u32_e32 v24, v26
	v_min_u32_e32 v29, 32, v24
	v_subrev_u32_e32 v24, 28, v29
	v_lshlrev_b64 v[24:25], v24, v[10:11]
	v_lshrrev_b32_e32 v27, 3, v19
	v_sub_u32_e32 v10, 29, v29
	v_and_b32_e32 v24, 7, v24
	v_cmp_gt_u32_e32 vcc, 8, v19
	v_cndmask_b32_e32 v10, v27, v10, vcc
	v_cndmask_b32_e32 v19, v26, v24, vcc
	v_lshlrev_b32_e32 v24, 16, v13
	v_bfrev_b32_e32 v25, 60
	v_lshlrev_b32_e32 v19, 20, v19
	v_and_b32_e32 v24, 0x80000000, v24
	v_lshl_add_u32 v10, v10, 23, v25
	v_or3_b32 v24, v24, v10, v19
.LBB606_577:
	s_or_b64 exec, exec, s[14:15]
.LBB606_578:
	s_or_b64 exec, exec, s[12:13]
.LBB606_579:
	s_or_b64 exec, exec, s[10:11]
	s_movk_i32 s7, 0xff
	v_and_b32_sdwa v19, v13, s7 dst_sel:DWORD dst_unused:UNUSED_PAD src0_sel:WORD_1 src1_sel:DWORD
	v_lshrrev_b32_e32 v10, 16, v13
	v_cmp_ne_u16_e32 vcc, 0, v19
	s_and_saveexec_b64 s[10:11], vcc
	s_cbranch_execz .LBB606_585
; %bb.580:
	s_movk_i32 s7, 0x80
	v_cmp_ne_u16_e32 vcc, s7, v19
	v_bfrev_b32_e32 v12, 1
	s_and_saveexec_b64 s[12:13], vcc
	s_cbranch_execz .LBB606_584
; %bb.581:
	v_bfe_u32 v19, v13, 16, 7
	s_movk_i32 s7, 0x7f
	v_cmp_ne_u32_e32 vcc, s7, v19
	v_mov_b32_e32 v12, 0x7f800001
	s_and_saveexec_b64 s[14:15], vcc
	s_cbranch_execz .LBB606_583
; %bb.582:
	v_and_b32_e32 v12, 7, v10
	v_ffbh_u32_e32 v26, v12
	v_min_u32_e32 v29, 32, v26
	v_subrev_u32_e32 v26, 28, v29
	v_lshlrev_b64 v[26:27], v26, v[10:11]
	v_lshrrev_b32_e32 v25, 3, v19
	v_sub_u32_e32 v10, 29, v29
	v_and_b32_e32 v26, 7, v26
	v_cmp_gt_u32_e32 vcc, 8, v19
	v_mov_b32_e32 v19, 24
	v_cndmask_b32_e32 v10, v25, v10, vcc
	v_cndmask_b32_e32 v12, v12, v26, vcc
	v_lshlrev_b32_sdwa v19, v19, v13 dst_sel:DWORD dst_unused:UNUSED_PAD src0_sel:DWORD src1_sel:WORD_1
	v_bfrev_b32_e32 v25, 60
	v_lshlrev_b32_e32 v12, 20, v12
	v_and_b32_e32 v19, 0x80000000, v19
	v_lshl_add_u32 v10, v10, 23, v25
	v_or3_b32 v12, v19, v10, v12
.LBB606_583:
	s_or_b64 exec, exec, s[14:15]
.LBB606_584:
	s_or_b64 exec, exec, s[12:13]
.LBB606_585:
	s_or_b64 exec, exec, s[10:11]
	s_mov_b32 s7, 0xffffff
	v_cmp_lt_u32_e32 vcc, s7, v13
	v_mov_b32_e32 v19, 0
	v_mov_b32_e32 v25, 0
	s_and_saveexec_b64 s[10:11], vcc
	s_cbranch_execz .LBB606_591
; %bb.586:
	v_lshrrev_b32_e32 v10, 24, v13
	s_movk_i32 s7, 0x80
	v_cmp_ne_u32_e32 vcc, s7, v10
	v_bfrev_b32_e32 v25, 1
	s_and_saveexec_b64 s[12:13], vcc
	s_cbranch_execz .LBB606_590
; %bb.587:
	v_bfe_u32 v13, v13, 24, 7
	s_movk_i32 s7, 0x7f
	v_cmp_ne_u32_e32 vcc, s7, v13
	v_mov_b32_e32 v25, 0x7f800001
	s_and_saveexec_b64 s[14:15], vcc
	s_cbranch_execz .LBB606_589
; %bb.588:
	v_and_b32_e32 v25, 7, v10
	v_ffbh_u32_e32 v26, v25
	v_min_u32_e32 v30, 32, v26
	v_subrev_u32_e32 v26, 28, v30
	v_lshlrev_b64 v[26:27], v26, v[10:11]
	v_lshrrev_b32_e32 v29, 3, v13
	v_sub_u32_e32 v27, 29, v30
	v_and_b32_e32 v26, 7, v26
	v_cmp_gt_u32_e32 vcc, 8, v13
	v_cndmask_b32_e32 v13, v29, v27, vcc
	v_cndmask_b32_e32 v25, v25, v26, vcc
	v_lshlrev_b32_e32 v10, 24, v10
	v_bfrev_b32_e32 v26, 60
	v_lshlrev_b32_e32 v25, 20, v25
	v_and_b32_e32 v10, 0x80000000, v10
	v_lshl_add_u32 v13, v13, 23, v26
	v_or3_b32 v25, v10, v13, v25
.LBB606_589:
	s_or_b64 exec, exec, s[14:15]
.LBB606_590:
	s_or_b64 exec, exec, s[12:13]
.LBB606_591:
	s_or_b64 exec, exec, s[10:11]
	v_cvt_pkrtz_f16_f32 v10, v18, v20
	v_cvt_pkrtz_f16_f32 v11, v11, v23
	ds_read_b128 v[30:33], v22 offset:2064
	s_waitcnt vmcnt(1)
	v_cmp_ne_u16_sdwa s[12:13], v6, v19 src0_sel:BYTE_0 src1_sel:DWORD
	s_waitcnt lgkmcnt(0)
	v_mfma_f32_16x16x16f16 v[14:17], v[10:11], v[30:31], v[14:17]
	v_cvt_pkrtz_f16_f32 v10, v21, v24
	v_cvt_pkrtz_f16_f32 v11, v12, v25
	s_nop 1
	v_mfma_f32_16x16x16f16 v[10:13], v[10:11], v[32:33], v[14:17]
	s_and_saveexec_b64 s[10:11], s[12:13]
	s_cbranch_execz .LBB606_597
; %bb.592:
	s_movk_i32 s7, 0x80
	v_cmp_ne_u16_sdwa s[14:15], v6, s7 src0_sel:BYTE_0 src1_sel:DWORD
	v_bfrev_b32_e32 v19, 1
	s_and_saveexec_b64 s[12:13], s[14:15]
	s_cbranch_execz .LBB606_596
; %bb.593:
	s_movk_i32 s7, 0x7f
	v_and_b32_e32 v14, 0x7f, v6
	v_cmp_ne_u32_e32 vcc, s7, v14
	v_mov_b32_e32 v19, 0x7f800001
	s_and_saveexec_b64 s[14:15], vcc
	s_cbranch_execz .LBB606_595
; %bb.594:
	v_and_b32_e32 v15, 7, v6
	v_ffbh_u32_e32 v16, v15
	v_min_u32_e32 v19, 32, v16
	v_subrev_u32_e32 v16, 28, v19
	v_lshlrev_b64 v[16:17], v16, v[6:7]
	v_lshrrev_b32_e32 v18, 3, v14
	v_sub_u32_e32 v17, 29, v19
	v_and_b32_e32 v16, 7, v16
	v_cmp_gt_u32_e32 vcc, 8, v14
	v_cndmask_b32_e32 v14, v18, v17, vcc
	v_cndmask_b32_e32 v15, v15, v16, vcc
	v_lshlrev_b32_e32 v16, 24, v6
	v_bfrev_b32_e32 v17, 60
	v_lshlrev_b32_e32 v15, 20, v15
	v_and_b32_e32 v16, 0x80000000, v16
	v_lshl_add_u32 v14, v14, 23, v17
	v_or3_b32 v19, v16, v14, v15
.LBB606_595:
	s_or_b64 exec, exec, s[14:15]
.LBB606_596:
	s_or_b64 exec, exec, s[12:13]
.LBB606_597:
	s_or_b64 exec, exec, s[10:11]
	s_nop 3
	v_lshrrev_b16_e32 v14, 8, v6
	v_cmp_ne_u16_e32 vcc, 0, v14
	v_mov_b32_e32 v15, 0
	v_mov_b32_e32 v16, 0
	s_and_saveexec_b64 s[10:11], vcc
	s_cbranch_execz .LBB606_603
; %bb.598:
	s_movk_i32 s7, 0x80
	v_cmp_ne_u16_e32 vcc, s7, v14
	v_bfrev_b32_e32 v16, 1
	s_and_saveexec_b64 s[12:13], vcc
	s_cbranch_execz .LBB606_602
; %bb.599:
	s_movk_i32 s7, 0x7f
	v_and_b32_e32 v17, 0x7f, v14
	v_cmp_ne_u32_e32 vcc, s7, v17
	v_mov_b32_e32 v16, 0x7f800001
	s_and_saveexec_b64 s[14:15], vcc
	s_cbranch_execz .LBB606_601
; %bb.600:
	v_and_b32_e32 v16, 7, v14
	v_ffbh_u32_e32 v20, v16
	v_min_u32_e32 v23, 32, v20
	v_subrev_u32_e32 v20, 28, v23
	v_lshlrev_b64 v[20:21], v20, v[14:15]
	v_lshrrev_b32_e32 v18, 3, v17
	v_sub_u32_e32 v14, 29, v23
	v_and_b32_e32 v20, 7, v20
	v_cmp_gt_u32_e32 vcc, 8, v17
	v_cndmask_b32_e32 v14, v18, v14, vcc
	v_cndmask_b32_e32 v16, v16, v20, vcc
	v_lshlrev_b32_e32 v17, 16, v6
	v_bfrev_b32_e32 v18, 60
	v_lshlrev_b32_e32 v16, 20, v16
	v_and_b32_e32 v17, 0x80000000, v17
	v_lshl_add_u32 v14, v14, 23, v18
	v_or3_b32 v16, v17, v14, v16
.LBB606_601:
	s_or_b64 exec, exec, s[14:15]
.LBB606_602:
	s_or_b64 exec, exec, s[12:13]
.LBB606_603:
	s_or_b64 exec, exec, s[10:11]
	s_movk_i32 s7, 0xff
	v_and_b32_sdwa v17, v6, s7 dst_sel:DWORD dst_unused:UNUSED_PAD src0_sel:WORD_1 src1_sel:DWORD
	v_lshrrev_b32_e32 v14, 16, v6
	v_cmp_ne_u16_e32 vcc, 0, v17
	s_and_saveexec_b64 s[10:11], vcc
	s_cbranch_execz .LBB606_609
; %bb.604:
	s_movk_i32 s7, 0x80
	v_cmp_ne_u16_e32 vcc, s7, v17
	v_bfrev_b32_e32 v15, 1
	s_and_saveexec_b64 s[12:13], vcc
	s_cbranch_execz .LBB606_608
; %bb.605:
	v_bfe_u32 v17, v6, 16, 7
	s_movk_i32 s7, 0x7f
	v_cmp_ne_u32_e32 vcc, s7, v17
	v_mov_b32_e32 v15, 0x7f800001
	s_and_saveexec_b64 s[14:15], vcc
	s_cbranch_execz .LBB606_607
; %bb.606:
	v_and_b32_e32 v18, 7, v14
	v_ffbh_u32_e32 v15, v18
	v_min_u32_e32 v21, 32, v15
	v_subrev_u32_e32 v15, 28, v21
	v_lshlrev_b64 v[14:15], v15, v[14:15]
	v_lshrrev_b32_e32 v20, 3, v17
	v_sub_u32_e32 v15, 29, v21
	v_and_b32_e32 v14, 7, v14
	v_cmp_gt_u32_e32 vcc, 8, v17
	v_mov_b32_e32 v17, 24
	v_cndmask_b32_e32 v15, v20, v15, vcc
	v_cndmask_b32_e32 v14, v18, v14, vcc
	v_lshlrev_b32_sdwa v17, v17, v6 dst_sel:DWORD dst_unused:UNUSED_PAD src0_sel:DWORD src1_sel:WORD_1
	v_bfrev_b32_e32 v18, 60
	v_lshlrev_b32_e32 v14, 20, v14
	v_and_b32_e32 v17, 0x80000000, v17
	v_lshl_add_u32 v15, v15, 23, v18
	v_or3_b32 v15, v17, v15, v14
.LBB606_607:
	s_or_b64 exec, exec, s[14:15]
.LBB606_608:
	s_or_b64 exec, exec, s[12:13]
.LBB606_609:
	s_or_b64 exec, exec, s[10:11]
	s_mov_b32 s7, 0xffffff
	v_cmp_lt_u32_e32 vcc, s7, v6
	v_mov_b32_e32 v17, 0
	v_mov_b32_e32 v18, 0
	s_and_saveexec_b64 s[10:11], vcc
	s_cbranch_execz .LBB606_615
; %bb.610:
	v_lshrrev_b32_e32 v14, 24, v6
	s_movk_i32 s7, 0x80
	v_cmp_ne_u32_e32 vcc, s7, v14
	v_bfrev_b32_e32 v18, 1
	s_and_saveexec_b64 s[12:13], vcc
	s_cbranch_execz .LBB606_614
; %bb.611:
	v_bfe_u32 v6, v6, 24, 7
	s_movk_i32 s7, 0x7f
	v_cmp_ne_u32_e32 vcc, s7, v6
	v_mov_b32_e32 v18, 0x7f800001
	s_and_saveexec_b64 s[14:15], vcc
	s_cbranch_execz .LBB606_613
; %bb.612:
	v_and_b32_e32 v18, 7, v14
	v_ffbh_u32_e32 v20, v18
	v_min_u32_e32 v24, 32, v20
	v_subrev_u32_e32 v20, 28, v24
	v_lshlrev_b64 v[20:21], v20, v[14:15]
	v_lshrrev_b32_e32 v23, 3, v6
	v_sub_u32_e32 v21, 29, v24
	v_and_b32_e32 v20, 7, v20
	v_cmp_gt_u32_e32 vcc, 8, v6
	v_cndmask_b32_e32 v6, v23, v21, vcc
	v_cndmask_b32_e32 v18, v18, v20, vcc
	v_lshlrev_b32_e32 v14, 24, v14
	v_bfrev_b32_e32 v20, 60
	v_lshlrev_b32_e32 v18, 20, v18
	v_and_b32_e32 v14, 0x80000000, v14
	v_lshl_add_u32 v6, v6, 23, v20
	v_or3_b32 v18, v14, v6, v18
.LBB606_613:
	s_or_b64 exec, exec, s[14:15]
.LBB606_614:
	s_or_b64 exec, exec, s[12:13]
.LBB606_615:
	s_or_b64 exec, exec, s[10:11]
	v_cmp_ne_u16_sdwa s[12:13], v7, v17 src0_sel:BYTE_0 src1_sel:DWORD
	s_and_saveexec_b64 s[10:11], s[12:13]
	s_cbranch_execz .LBB606_621
; %bb.616:
	s_movk_i32 s7, 0x80
	v_cmp_ne_u16_sdwa s[14:15], v7, s7 src0_sel:BYTE_0 src1_sel:DWORD
	v_bfrev_b32_e32 v17, 1
	s_and_saveexec_b64 s[12:13], s[14:15]
	s_cbranch_execz .LBB606_620
; %bb.617:
	s_movk_i32 s7, 0x7f
	v_and_b32_e32 v6, 0x7f, v7
	v_cmp_ne_u32_e32 vcc, s7, v6
	v_mov_b32_e32 v17, 0x7f800001
	s_and_saveexec_b64 s[14:15], vcc
	s_cbranch_execz .LBB606_619
; %bb.618:
	v_and_b32_e32 v17, 7, v7
	v_ffbh_u32_e32 v20, v17
	v_min_u32_e32 v24, 32, v20
	v_mov_b32_e32 v14, v7
	v_subrev_u32_e32 v20, 28, v24
	v_lshlrev_b64 v[20:21], v20, v[14:15]
	v_lshrrev_b32_e32 v23, 3, v6
	v_sub_u32_e32 v14, 29, v24
	v_and_b32_e32 v20, 7, v20
	v_cmp_gt_u32_e32 vcc, 8, v6
	v_cndmask_b32_e32 v6, v23, v14, vcc
	v_cndmask_b32_e32 v14, v17, v20, vcc
	v_lshlrev_b32_e32 v17, 24, v7
	v_bfrev_b32_e32 v20, 60
	v_lshlrev_b32_e32 v14, 20, v14
	v_and_b32_e32 v17, 0x80000000, v17
	v_lshl_add_u32 v6, v6, 23, v20
	v_or3_b32 v17, v17, v6, v14
.LBB606_619:
	s_or_b64 exec, exec, s[14:15]
.LBB606_620:
	s_or_b64 exec, exec, s[12:13]
.LBB606_621:
	s_or_b64 exec, exec, s[10:11]
	v_lshrrev_b16_e32 v6, 8, v7
	v_cmp_ne_u16_e32 vcc, 0, v6
	v_mov_b32_e32 v20, 0
	v_mov_b32_e32 v21, 0
	s_and_saveexec_b64 s[10:11], vcc
	s_cbranch_execz .LBB606_627
; %bb.622:
	s_movk_i32 s7, 0x80
	v_cmp_ne_u16_e32 vcc, s7, v6
	v_bfrev_b32_e32 v21, 1
	s_and_saveexec_b64 s[12:13], vcc
	s_cbranch_execz .LBB606_626
; %bb.623:
	s_movk_i32 s7, 0x7f
	v_and_b32_e32 v14, 0x7f, v6
	v_cmp_ne_u32_e32 vcc, s7, v14
	v_mov_b32_e32 v21, 0x7f800001
	s_and_saveexec_b64 s[14:15], vcc
	s_cbranch_execz .LBB606_625
; %bb.624:
	v_and_b32_e32 v21, 7, v6
	v_ffbh_u32_e32 v24, v21
	v_min_u32_e32 v26, 32, v24
	v_subrev_u32_e32 v24, 28, v26
	v_lshlrev_b64 v[24:25], v24, v[6:7]
	v_lshrrev_b32_e32 v23, 3, v14
	v_sub_u32_e32 v6, 29, v26
	v_and_b32_e32 v24, 7, v24
	v_cmp_gt_u32_e32 vcc, 8, v14
	v_cndmask_b32_e32 v6, v23, v6, vcc
	v_cndmask_b32_e32 v14, v21, v24, vcc
	v_lshlrev_b32_e32 v21, 16, v7
	v_bfrev_b32_e32 v23, 60
	v_lshlrev_b32_e32 v14, 20, v14
	v_and_b32_e32 v21, 0x80000000, v21
	v_lshl_add_u32 v6, v6, 23, v23
	v_or3_b32 v21, v21, v6, v14
.LBB606_625:
	s_or_b64 exec, exec, s[14:15]
.LBB606_626:
	s_or_b64 exec, exec, s[12:13]
.LBB606_627:
	s_or_b64 exec, exec, s[10:11]
	s_movk_i32 s7, 0xff
	v_and_b32_sdwa v14, v7, s7 dst_sel:DWORD dst_unused:UNUSED_PAD src0_sel:WORD_1 src1_sel:DWORD
	v_lshrrev_b32_e32 v6, 16, v7
	v_cmp_ne_u16_e32 vcc, 0, v14
	s_and_saveexec_b64 s[10:11], vcc
	s_cbranch_execz .LBB606_633
; %bb.628:
	s_movk_i32 s7, 0x80
	v_cmp_ne_u16_e32 vcc, s7, v14
	v_bfrev_b32_e32 v20, 1
	s_and_saveexec_b64 s[12:13], vcc
	s_cbranch_execz .LBB606_632
; %bb.629:
	v_bfe_u32 v14, v7, 16, 7
	s_movk_i32 s7, 0x7f
	v_cmp_ne_u32_e32 vcc, s7, v14
	v_mov_b32_e32 v20, 0x7f800001
	s_and_saveexec_b64 s[14:15], vcc
	s_cbranch_execz .LBB606_631
; %bb.630:
	v_and_b32_e32 v20, 7, v6
	v_ffbh_u32_e32 v24, v20
	v_min_u32_e32 v26, 32, v24
	v_subrev_u32_e32 v24, 28, v26
	v_lshlrev_b64 v[24:25], v24, v[6:7]
	v_and_b32_e32 v24, 7, v24
	v_cmp_gt_u32_e32 vcc, 8, v14
	v_lshrrev_b32_e32 v23, 3, v14
	v_sub_u32_e32 v6, 29, v26
	v_cndmask_b32_e32 v14, v20, v24, vcc
	v_mov_b32_e32 v20, 24
	v_cndmask_b32_e32 v6, v23, v6, vcc
	v_lshlrev_b32_sdwa v20, v20, v7 dst_sel:DWORD dst_unused:UNUSED_PAD src0_sel:DWORD src1_sel:WORD_1
	v_bfrev_b32_e32 v23, 60
	v_lshlrev_b32_e32 v14, 20, v14
	v_and_b32_e32 v20, 0x80000000, v20
	v_lshl_add_u32 v6, v6, 23, v23
	v_or3_b32 v20, v20, v6, v14
.LBB606_631:
	s_or_b64 exec, exec, s[14:15]
.LBB606_632:
	s_or_b64 exec, exec, s[12:13]
.LBB606_633:
	s_or_b64 exec, exec, s[10:11]
	s_mov_b32 s7, 0xffffff
	v_cmp_lt_u32_e32 vcc, s7, v7
	v_mov_b32_e32 v14, 0
	v_mov_b32_e32 v23, 0
	s_and_saveexec_b64 s[10:11], vcc
	s_cbranch_execz .LBB606_639
; %bb.634:
	v_lshrrev_b32_e32 v6, 24, v7
	s_movk_i32 s7, 0x80
	v_cmp_ne_u32_e32 vcc, s7, v6
	v_bfrev_b32_e32 v23, 1
	s_and_saveexec_b64 s[12:13], vcc
	s_cbranch_execz .LBB606_638
; %bb.635:
	v_bfe_u32 v7, v7, 24, 7
	s_movk_i32 s7, 0x7f
	v_cmp_ne_u32_e32 vcc, s7, v7
	v_mov_b32_e32 v23, 0x7f800001
	s_and_saveexec_b64 s[14:15], vcc
	s_cbranch_execz .LBB606_637
; %bb.636:
	v_and_b32_e32 v23, 7, v6
	v_ffbh_u32_e32 v24, v23
	v_min_u32_e32 v27, 32, v24
	v_subrev_u32_e32 v24, 28, v27
	v_lshlrev_b64 v[24:25], v24, v[6:7]
	v_lshrrev_b32_e32 v26, 3, v7
	v_sub_u32_e32 v25, 29, v27
	v_and_b32_e32 v24, 7, v24
	v_cmp_gt_u32_e32 vcc, 8, v7
	v_cndmask_b32_e32 v7, v26, v25, vcc
	v_cndmask_b32_e32 v23, v23, v24, vcc
	v_lshlrev_b32_e32 v6, 24, v6
	v_bfrev_b32_e32 v24, 60
	v_lshlrev_b32_e32 v23, 20, v23
	v_and_b32_e32 v6, 0x80000000, v6
	v_lshl_add_u32 v7, v7, 23, v24
	v_or3_b32 v23, v6, v7, v23
.LBB606_637:
	s_or_b64 exec, exec, s[14:15]
.LBB606_638:
	s_or_b64 exec, exec, s[12:13]
.LBB606_639:
	s_or_b64 exec, exec, s[10:11]
	v_cvt_pkrtz_f16_f32 v6, v19, v16
	v_cvt_pkrtz_f16_f32 v7, v15, v18
	ds_read_b128 v[24:27], v22 offset:4096
	v_cmp_ne_u16_sdwa s[12:13], v8, v14 src0_sel:BYTE_0 src1_sel:DWORD
	s_waitcnt lgkmcnt(0)
	v_mfma_f32_16x16x16f16 v[10:13], v[6:7], v[24:25], v[10:13]
	v_cvt_pkrtz_f16_f32 v6, v17, v21
	v_cvt_pkrtz_f16_f32 v7, v20, v23
	s_nop 1
	v_mfma_f32_16x16x16f16 v[10:13], v[6:7], v[26:27], v[10:13]
	s_and_saveexec_b64 s[10:11], s[12:13]
	s_cbranch_execz .LBB606_645
; %bb.640:
	s_movk_i32 s7, 0x80
	v_cmp_ne_u16_sdwa s[14:15], v8, s7 src0_sel:BYTE_0 src1_sel:DWORD
	v_bfrev_b32_e32 v14, 1
	s_and_saveexec_b64 s[12:13], s[14:15]
	s_cbranch_execz .LBB606_644
; %bb.641:
	s_movk_i32 s7, 0x7f
	v_and_b32_e32 v6, 0x7f, v8
	v_cmp_ne_u32_e32 vcc, s7, v6
	v_mov_b32_e32 v14, 0x7f800001
	s_and_saveexec_b64 s[14:15], vcc
	s_cbranch_execz .LBB606_643
; %bb.642:
	v_and_b32_e32 v7, 7, v8
	v_ffbh_u32_e32 v14, v7
	v_min_u32_e32 v17, 32, v14
	v_subrev_u32_e32 v14, 28, v17
	v_lshlrev_b64 v[14:15], v14, v[8:9]
	v_lshrrev_b32_e32 v16, 3, v6
	v_sub_u32_e32 v15, 29, v17
	v_and_b32_e32 v14, 7, v14
	v_cmp_gt_u32_e32 vcc, 8, v6
	v_cndmask_b32_e32 v6, v16, v15, vcc
	v_cndmask_b32_e32 v7, v7, v14, vcc
	v_lshlrev_b32_e32 v14, 24, v8
	v_bfrev_b32_e32 v15, 60
	v_lshlrev_b32_e32 v7, 20, v7
	v_and_b32_e32 v14, 0x80000000, v14
	v_lshl_add_u32 v6, v6, 23, v15
	v_or3_b32 v14, v14, v6, v7
.LBB606_643:
	s_or_b64 exec, exec, s[14:15]
.LBB606_644:
	s_or_b64 exec, exec, s[12:13]
.LBB606_645:
	s_or_b64 exec, exec, s[10:11]
	v_lshrrev_b16_e32 v6, 8, v8
	v_cmp_ne_u16_e32 vcc, 0, v6
	v_mov_b32_e32 v7, 0
	v_mov_b32_e32 v16, 0
	s_and_saveexec_b64 s[10:11], vcc
	s_cbranch_execz .LBB606_651
; %bb.646:
	s_movk_i32 s7, 0x80
	v_cmp_ne_u16_e32 vcc, s7, v6
	v_bfrev_b32_e32 v16, 1
	s_and_saveexec_b64 s[12:13], vcc
	s_cbranch_execz .LBB606_650
; %bb.647:
	s_movk_i32 s7, 0x7f
	v_and_b32_e32 v15, 0x7f, v6
	v_cmp_ne_u32_e32 vcc, s7, v15
	v_mov_b32_e32 v16, 0x7f800001
	s_and_saveexec_b64 s[14:15], vcc
	s_cbranch_execz .LBB606_649
; %bb.648:
	v_and_b32_e32 v18, 7, v6
	v_ffbh_u32_e32 v16, v18
	v_min_u32_e32 v20, 32, v16
	v_subrev_u32_e32 v16, 28, v20
	v_lshlrev_b64 v[16:17], v16, v[6:7]
	v_lshrrev_b32_e32 v19, 3, v15
	v_sub_u32_e32 v6, 29, v20
	v_and_b32_e32 v16, 7, v16
	v_cmp_gt_u32_e32 vcc, 8, v15
	v_cndmask_b32_e32 v6, v19, v6, vcc
	v_cndmask_b32_e32 v15, v18, v16, vcc
	v_lshlrev_b32_e32 v16, 16, v8
	v_bfrev_b32_e32 v17, 60
	v_lshlrev_b32_e32 v15, 20, v15
	v_and_b32_e32 v16, 0x80000000, v16
	v_lshl_add_u32 v6, v6, 23, v17
	v_or3_b32 v16, v16, v6, v15
.LBB606_649:
	s_or_b64 exec, exec, s[14:15]
.LBB606_650:
	s_or_b64 exec, exec, s[12:13]
.LBB606_651:
	s_or_b64 exec, exec, s[10:11]
	s_movk_i32 s7, 0xff
	v_and_b32_sdwa v15, v8, s7 dst_sel:DWORD dst_unused:UNUSED_PAD src0_sel:WORD_1 src1_sel:DWORD
	v_lshrrev_b32_e32 v6, 16, v8
	v_cmp_ne_u16_e32 vcc, 0, v15
	s_and_saveexec_b64 s[10:11], vcc
	s_cbranch_execz .LBB606_657
; %bb.652:
	s_movk_i32 s7, 0x80
	v_cmp_ne_u16_e32 vcc, s7, v15
	v_bfrev_b32_e32 v7, 1
	s_and_saveexec_b64 s[12:13], vcc
	s_cbranch_execz .LBB606_656
; %bb.653:
	v_bfe_u32 v15, v8, 16, 7
	s_movk_i32 s7, 0x7f
	v_cmp_ne_u32_e32 vcc, s7, v15
	v_mov_b32_e32 v7, 0x7f800001
	s_and_saveexec_b64 s[14:15], vcc
	s_cbranch_execz .LBB606_655
; %bb.654:
	v_and_b32_e32 v17, 7, v6
	v_ffbh_u32_e32 v7, v17
	v_min_u32_e32 v19, 32, v7
	v_subrev_u32_e32 v7, 28, v19
	v_lshlrev_b64 v[6:7], v7, v[6:7]
	v_lshrrev_b32_e32 v18, 3, v15
	v_sub_u32_e32 v7, 29, v19
	v_and_b32_e32 v6, 7, v6
	v_cmp_gt_u32_e32 vcc, 8, v15
	v_mov_b32_e32 v15, 24
	v_cndmask_b32_e32 v7, v18, v7, vcc
	v_cndmask_b32_e32 v6, v17, v6, vcc
	v_lshlrev_b32_sdwa v15, v15, v8 dst_sel:DWORD dst_unused:UNUSED_PAD src0_sel:DWORD src1_sel:WORD_1
	v_bfrev_b32_e32 v17, 60
	v_lshlrev_b32_e32 v6, 20, v6
	v_and_b32_e32 v15, 0x80000000, v15
	v_lshl_add_u32 v7, v7, 23, v17
	v_or3_b32 v7, v15, v7, v6
.LBB606_655:
	s_or_b64 exec, exec, s[14:15]
.LBB606_656:
	s_or_b64 exec, exec, s[12:13]
.LBB606_657:
	s_or_b64 exec, exec, s[10:11]
	s_mov_b32 s7, 0xffffff
	v_cmp_lt_u32_e32 vcc, s7, v8
	v_mov_b32_e32 v17, 0
	v_mov_b32_e32 v18, 0
	s_and_saveexec_b64 s[10:11], vcc
	s_cbranch_execz .LBB606_663
; %bb.658:
	v_lshrrev_b32_e32 v6, 24, v8
	s_movk_i32 s7, 0x80
	v_cmp_ne_u32_e32 vcc, s7, v6
	v_bfrev_b32_e32 v18, 1
	s_and_saveexec_b64 s[12:13], vcc
	s_cbranch_execz .LBB606_662
; %bb.659:
	v_bfe_u32 v8, v8, 24, 7
	s_movk_i32 s7, 0x7f
	v_cmp_ne_u32_e32 vcc, s7, v8
	v_mov_b32_e32 v18, 0x7f800001
	s_and_saveexec_b64 s[14:15], vcc
	s_cbranch_execz .LBB606_661
; %bb.660:
	v_and_b32_e32 v15, 7, v6
	v_ffbh_u32_e32 v18, v15
	v_min_u32_e32 v21, 32, v18
	v_subrev_u32_e32 v18, 28, v21
	v_lshlrev_b64 v[18:19], v18, v[6:7]
	v_lshrrev_b32_e32 v20, 3, v8
	v_sub_u32_e32 v19, 29, v21
	v_and_b32_e32 v18, 7, v18
	v_cmp_gt_u32_e32 vcc, 8, v8
	v_cndmask_b32_e32 v8, v20, v19, vcc
	v_cndmask_b32_e32 v15, v15, v18, vcc
	v_lshlrev_b32_e32 v6, 24, v6
	v_bfrev_b32_e32 v18, 60
	v_lshlrev_b32_e32 v15, 20, v15
	v_and_b32_e32 v6, 0x80000000, v6
	v_lshl_add_u32 v8, v8, 23, v18
	v_or3_b32 v18, v6, v8, v15
.LBB606_661:
	s_or_b64 exec, exec, s[14:15]
.LBB606_662:
	s_or_b64 exec, exec, s[12:13]
.LBB606_663:
	s_or_b64 exec, exec, s[10:11]
	v_cmp_ne_u16_sdwa s[12:13], v9, v17 src0_sel:BYTE_0 src1_sel:DWORD
	s_and_saveexec_b64 s[10:11], s[12:13]
	s_cbranch_execz .LBB606_669
; %bb.664:
	s_movk_i32 s7, 0x80
	v_cmp_ne_u16_sdwa s[14:15], v9, s7 src0_sel:BYTE_0 src1_sel:DWORD
	v_bfrev_b32_e32 v17, 1
	s_and_saveexec_b64 s[12:13], s[14:15]
	s_cbranch_execz .LBB606_668
; %bb.665:
	s_movk_i32 s7, 0x7f
	v_and_b32_e32 v6, 0x7f, v9
	v_cmp_ne_u32_e32 vcc, s7, v6
	v_mov_b32_e32 v17, 0x7f800001
	s_and_saveexec_b64 s[14:15], vcc
	s_cbranch_execz .LBB606_667
; %bb.666:
	v_and_b32_e32 v15, 7, v9
	v_ffbh_u32_e32 v19, v15
	v_min_u32_e32 v19, 32, v19
	v_mov_b32_e32 v8, v9
	v_subrev_u32_e32 v20, 28, v19
	v_lshlrev_b64 v[20:21], v20, v[8:9]
	v_lshrrev_b32_e32 v17, 3, v6
	v_sub_u32_e32 v8, 29, v19
	v_and_b32_e32 v19, 7, v20
	v_cmp_gt_u32_e32 vcc, 8, v6
	v_cndmask_b32_e32 v6, v17, v8, vcc
	v_cndmask_b32_e32 v8, v15, v19, vcc
	v_lshlrev_b32_e32 v15, 24, v9
	v_bfrev_b32_e32 v17, 60
	v_lshlrev_b32_e32 v8, 20, v8
	v_and_b32_e32 v15, 0x80000000, v15
	v_lshl_add_u32 v6, v6, 23, v17
	v_or3_b32 v17, v15, v6, v8
.LBB606_667:
	s_or_b64 exec, exec, s[14:15]
.LBB606_668:
	s_or_b64 exec, exec, s[12:13]
.LBB606_669:
	s_or_b64 exec, exec, s[10:11]
	v_lshrrev_b16_e32 v6, 8, v9
	v_cmp_ne_u16_e32 vcc, 0, v6
	v_mov_b32_e32 v8, 0
	v_mov_b32_e32 v19, 0
	s_and_saveexec_b64 s[10:11], vcc
	s_cbranch_execz .LBB606_675
; %bb.670:
	s_movk_i32 s7, 0x80
	v_cmp_ne_u16_e32 vcc, s7, v6
	v_bfrev_b32_e32 v19, 1
	s_and_saveexec_b64 s[12:13], vcc
	s_cbranch_execz .LBB606_674
; %bb.671:
	s_movk_i32 s7, 0x7f
	v_and_b32_e32 v15, 0x7f, v6
	v_cmp_ne_u32_e32 vcc, s7, v15
	v_mov_b32_e32 v19, 0x7f800001
	s_and_saveexec_b64 s[14:15], vcc
	s_cbranch_execz .LBB606_673
; %bb.672:
	v_and_b32_e32 v19, 7, v6
	v_ffbh_u32_e32 v20, v19
	v_min_u32_e32 v24, 32, v20
	v_subrev_u32_e32 v20, 28, v24
	v_lshlrev_b64 v[20:21], v20, v[6:7]
	v_lshrrev_b32_e32 v23, 3, v15
	v_sub_u32_e32 v6, 29, v24
	v_and_b32_e32 v20, 7, v20
	v_cmp_gt_u32_e32 vcc, 8, v15
	v_cndmask_b32_e32 v6, v23, v6, vcc
	v_cndmask_b32_e32 v15, v19, v20, vcc
	v_lshlrev_b32_e32 v19, 16, v9
	v_bfrev_b32_e32 v20, 60
	v_lshlrev_b32_e32 v15, 20, v15
	v_and_b32_e32 v19, 0x80000000, v19
	v_lshl_add_u32 v6, v6, 23, v20
	v_or3_b32 v19, v19, v6, v15
.LBB606_673:
	s_or_b64 exec, exec, s[14:15]
.LBB606_674:
	s_or_b64 exec, exec, s[12:13]
.LBB606_675:
	s_or_b64 exec, exec, s[10:11]
	s_movk_i32 s7, 0xff
	v_and_b32_sdwa v15, v9, s7 dst_sel:DWORD dst_unused:UNUSED_PAD src0_sel:WORD_1 src1_sel:DWORD
	v_lshrrev_b32_e32 v6, 16, v9
	v_cmp_ne_u16_e32 vcc, 0, v15
	s_and_saveexec_b64 s[10:11], vcc
	s_cbranch_execz .LBB606_681
; %bb.676:
	s_movk_i32 s7, 0x80
	v_cmp_ne_u16_e32 vcc, s7, v15
	v_bfrev_b32_e32 v8, 1
	s_and_saveexec_b64 s[12:13], vcc
	s_cbranch_execz .LBB606_680
; %bb.677:
	v_bfe_u32 v15, v9, 16, 7
	s_movk_i32 s7, 0x7f
	v_cmp_ne_u32_e32 vcc, s7, v15
	v_mov_b32_e32 v8, 0x7f800001
	s_and_saveexec_b64 s[14:15], vcc
	s_cbranch_execz .LBB606_679
; %bb.678:
	v_and_b32_e32 v8, 7, v6
	v_ffbh_u32_e32 v20, v8
	v_min_u32_e32 v24, 32, v20
	v_subrev_u32_e32 v20, 28, v24
	v_lshlrev_b64 v[20:21], v20, v[6:7]
	v_lshrrev_b32_e32 v23, 3, v15
	v_sub_u32_e32 v6, 29, v24
	v_and_b32_e32 v20, 7, v20
	v_cmp_gt_u32_e32 vcc, 8, v15
	v_mov_b32_e32 v15, 24
	v_cndmask_b32_e32 v6, v23, v6, vcc
	v_cndmask_b32_e32 v8, v8, v20, vcc
	v_lshlrev_b32_sdwa v15, v15, v9 dst_sel:DWORD dst_unused:UNUSED_PAD src0_sel:DWORD src1_sel:WORD_1
	v_bfrev_b32_e32 v20, 60
	v_lshlrev_b32_e32 v8, 20, v8
	v_and_b32_e32 v15, 0x80000000, v15
	v_lshl_add_u32 v6, v6, 23, v20
	v_or3_b32 v8, v15, v6, v8
.LBB606_679:
	s_or_b64 exec, exec, s[14:15]
.LBB606_680:
	s_or_b64 exec, exec, s[12:13]
.LBB606_681:
	s_or_b64 exec, exec, s[10:11]
	s_mov_b32 s7, 0xffffff
	v_cmp_lt_u32_e32 vcc, s7, v9
	v_mov_b32_e32 v15, 0
	v_mov_b32_e32 v20, 0
	s_and_saveexec_b64 s[10:11], vcc
	s_cbranch_execz .LBB606_687
; %bb.682:
	v_lshrrev_b32_e32 v6, 24, v9
	s_movk_i32 s7, 0x80
	v_cmp_ne_u32_e32 vcc, s7, v6
	v_bfrev_b32_e32 v20, 1
	s_and_saveexec_b64 s[12:13], vcc
	s_cbranch_execz .LBB606_686
; %bb.683:
	v_bfe_u32 v9, v9, 24, 7
	s_movk_i32 s7, 0x7f
	v_cmp_ne_u32_e32 vcc, s7, v9
	v_mov_b32_e32 v20, 0x7f800001
	s_and_saveexec_b64 s[14:15], vcc
	s_cbranch_execz .LBB606_685
; %bb.684:
	v_and_b32_e32 v23, 7, v6
	v_ffbh_u32_e32 v20, v23
	v_min_u32_e32 v25, 32, v20
	v_subrev_u32_e32 v20, 28, v25
	v_lshlrev_b64 v[20:21], v20, v[6:7]
	v_lshrrev_b32_e32 v24, 3, v9
	v_sub_u32_e32 v21, 29, v25
	v_and_b32_e32 v20, 7, v20
	v_cmp_gt_u32_e32 vcc, 8, v9
	v_cndmask_b32_e32 v9, v24, v21, vcc
	v_cndmask_b32_e32 v20, v23, v20, vcc
	v_lshlrev_b32_e32 v6, 24, v6
	v_bfrev_b32_e32 v21, 60
	v_lshlrev_b32_e32 v20, 20, v20
	v_and_b32_e32 v6, 0x80000000, v6
	v_lshl_add_u32 v9, v9, 23, v21
	v_or3_b32 v20, v6, v9, v20
.LBB606_685:
	s_or_b64 exec, exec, s[14:15]
.LBB606_686:
	s_or_b64 exec, exec, s[12:13]
.LBB606_687:
	s_or_b64 exec, exec, s[10:11]
	v_cvt_pkrtz_f16_f32 v6, v14, v16
	v_cvt_pkrtz_f16_f32 v7, v7, v18
	ds_read_b128 v[24:27], v22 offset:4112
	s_waitcnt vmcnt(0)
	v_cmp_ne_u16_sdwa s[12:13], v2, v15 src0_sel:BYTE_0 src1_sel:DWORD
	s_waitcnt lgkmcnt(0)
	v_mfma_f32_16x16x16f16 v[10:13], v[6:7], v[24:25], v[10:13]
	v_cvt_pkrtz_f16_f32 v6, v17, v19
	v_cvt_pkrtz_f16_f32 v7, v8, v20
	s_nop 1
	v_mfma_f32_16x16x16f16 v[6:9], v[6:7], v[26:27], v[10:13]
	s_and_saveexec_b64 s[10:11], s[12:13]
	s_cbranch_execz .LBB606_693
; %bb.688:
	s_movk_i32 s7, 0x80
	v_cmp_ne_u16_sdwa s[14:15], v2, s7 src0_sel:BYTE_0 src1_sel:DWORD
	v_bfrev_b32_e32 v15, 1
	s_and_saveexec_b64 s[12:13], s[14:15]
	s_cbranch_execz .LBB606_692
; %bb.689:
	s_movk_i32 s7, 0x7f
	v_and_b32_e32 v10, 0x7f, v2
	v_cmp_ne_u32_e32 vcc, s7, v10
	v_mov_b32_e32 v15, 0x7f800001
	s_and_saveexec_b64 s[14:15], vcc
	s_cbranch_execz .LBB606_691
; %bb.690:
	v_and_b32_e32 v11, 7, v2
	v_ffbh_u32_e32 v12, v11
	v_min_u32_e32 v15, 32, v12
	v_subrev_u32_e32 v12, 28, v15
	v_lshlrev_b64 v[12:13], v12, v[2:3]
	v_lshrrev_b32_e32 v14, 3, v10
	v_sub_u32_e32 v13, 29, v15
	v_and_b32_e32 v12, 7, v12
	v_cmp_gt_u32_e32 vcc, 8, v10
	v_cndmask_b32_e32 v10, v14, v13, vcc
	v_cndmask_b32_e32 v11, v11, v12, vcc
	v_lshlrev_b32_e32 v12, 24, v2
	v_bfrev_b32_e32 v13, 60
	v_lshlrev_b32_e32 v11, 20, v11
	v_and_b32_e32 v12, 0x80000000, v12
	v_lshl_add_u32 v10, v10, 23, v13
	v_or3_b32 v15, v12, v10, v11
.LBB606_691:
	s_or_b64 exec, exec, s[14:15]
.LBB606_692:
	s_or_b64 exec, exec, s[12:13]
.LBB606_693:
	s_or_b64 exec, exec, s[10:11]
	s_nop 3
	v_lshrrev_b16_e32 v10, 8, v2
	v_cmp_ne_u16_e32 vcc, 0, v10
	v_mov_b32_e32 v11, 0
	v_mov_b32_e32 v12, 0
	s_and_saveexec_b64 s[10:11], vcc
	s_cbranch_execz .LBB606_699
; %bb.694:
	s_movk_i32 s7, 0x80
	v_cmp_ne_u16_e32 vcc, s7, v10
	v_bfrev_b32_e32 v12, 1
	s_and_saveexec_b64 s[12:13], vcc
	s_cbranch_execz .LBB606_698
; %bb.695:
	s_movk_i32 s7, 0x7f
	v_and_b32_e32 v13, 0x7f, v10
	v_cmp_ne_u32_e32 vcc, s7, v13
	v_mov_b32_e32 v12, 0x7f800001
	s_and_saveexec_b64 s[14:15], vcc
	s_cbranch_execz .LBB606_697
; %bb.696:
	v_and_b32_e32 v12, 7, v10
	v_ffbh_u32_e32 v16, v12
	v_min_u32_e32 v18, 32, v16
	v_subrev_u32_e32 v16, 28, v18
	v_lshlrev_b64 v[16:17], v16, v[10:11]
	v_lshrrev_b32_e32 v14, 3, v13
	v_sub_u32_e32 v10, 29, v18
	v_and_b32_e32 v16, 7, v16
	v_cmp_gt_u32_e32 vcc, 8, v13
	v_cndmask_b32_e32 v10, v14, v10, vcc
	v_cndmask_b32_e32 v12, v12, v16, vcc
	v_lshlrev_b32_e32 v13, 16, v2
	v_bfrev_b32_e32 v14, 60
	v_lshlrev_b32_e32 v12, 20, v12
	v_and_b32_e32 v13, 0x80000000, v13
	v_lshl_add_u32 v10, v10, 23, v14
	v_or3_b32 v12, v13, v10, v12
.LBB606_697:
	s_or_b64 exec, exec, s[14:15]
.LBB606_698:
	s_or_b64 exec, exec, s[12:13]
.LBB606_699:
	s_or_b64 exec, exec, s[10:11]
	s_movk_i32 s7, 0xff
	v_and_b32_sdwa v13, v2, s7 dst_sel:DWORD dst_unused:UNUSED_PAD src0_sel:WORD_1 src1_sel:DWORD
	v_lshrrev_b32_e32 v10, 16, v2
	v_cmp_ne_u16_e32 vcc, 0, v13
	s_and_saveexec_b64 s[10:11], vcc
	s_cbranch_execz .LBB606_705
; %bb.700:
	s_movk_i32 s7, 0x80
	v_cmp_ne_u16_e32 vcc, s7, v13
	v_bfrev_b32_e32 v11, 1
	s_and_saveexec_b64 s[12:13], vcc
	s_cbranch_execz .LBB606_704
; %bb.701:
	v_bfe_u32 v13, v2, 16, 7
	s_movk_i32 s7, 0x7f
	v_cmp_ne_u32_e32 vcc, s7, v13
	v_mov_b32_e32 v11, 0x7f800001
	s_and_saveexec_b64 s[14:15], vcc
	s_cbranch_execz .LBB606_703
; %bb.702:
	v_and_b32_e32 v14, 7, v10
	v_ffbh_u32_e32 v11, v14
	v_min_u32_e32 v17, 32, v11
	v_subrev_u32_e32 v11, 28, v17
	v_lshlrev_b64 v[10:11], v11, v[10:11]
	v_lshrrev_b32_e32 v16, 3, v13
	v_sub_u32_e32 v11, 29, v17
	v_and_b32_e32 v10, 7, v10
	v_cmp_gt_u32_e32 vcc, 8, v13
	v_mov_b32_e32 v13, 24
	v_cndmask_b32_e32 v11, v16, v11, vcc
	v_cndmask_b32_e32 v10, v14, v10, vcc
	v_lshlrev_b32_sdwa v13, v13, v2 dst_sel:DWORD dst_unused:UNUSED_PAD src0_sel:DWORD src1_sel:WORD_1
	v_bfrev_b32_e32 v14, 60
	v_lshlrev_b32_e32 v10, 20, v10
	v_and_b32_e32 v13, 0x80000000, v13
	v_lshl_add_u32 v11, v11, 23, v14
	v_or3_b32 v11, v13, v11, v10
.LBB606_703:
	s_or_b64 exec, exec, s[14:15]
.LBB606_704:
	s_or_b64 exec, exec, s[12:13]
.LBB606_705:
	s_or_b64 exec, exec, s[10:11]
	s_mov_b32 s7, 0xffffff
	v_cmp_lt_u32_e32 vcc, s7, v2
	v_mov_b32_e32 v13, 0
	v_mov_b32_e32 v14, 0
	s_and_saveexec_b64 s[10:11], vcc
	s_cbranch_execz .LBB606_711
; %bb.706:
	v_lshrrev_b32_e32 v10, 24, v2
	s_movk_i32 s7, 0x80
	v_cmp_ne_u32_e32 vcc, s7, v10
	v_bfrev_b32_e32 v14, 1
	s_and_saveexec_b64 s[12:13], vcc
	s_cbranch_execz .LBB606_710
; %bb.707:
	v_bfe_u32 v2, v2, 24, 7
	s_movk_i32 s7, 0x7f
	v_cmp_ne_u32_e32 vcc, s7, v2
	v_mov_b32_e32 v14, 0x7f800001
	s_and_saveexec_b64 s[14:15], vcc
	s_cbranch_execz .LBB606_709
; %bb.708:
	v_and_b32_e32 v14, 7, v10
	v_ffbh_u32_e32 v16, v14
	v_min_u32_e32 v19, 32, v16
	v_subrev_u32_e32 v16, 28, v19
	v_lshlrev_b64 v[16:17], v16, v[10:11]
	v_lshrrev_b32_e32 v18, 3, v2
	v_sub_u32_e32 v17, 29, v19
	v_and_b32_e32 v16, 7, v16
	v_cmp_gt_u32_e32 vcc, 8, v2
	v_cndmask_b32_e32 v2, v18, v17, vcc
	v_cndmask_b32_e32 v14, v14, v16, vcc
	v_lshlrev_b32_e32 v10, 24, v10
	v_bfrev_b32_e32 v16, 60
	v_lshlrev_b32_e32 v14, 20, v14
	v_and_b32_e32 v10, 0x80000000, v10
	v_lshl_add_u32 v2, v2, 23, v16
	v_or3_b32 v14, v10, v2, v14
.LBB606_709:
	s_or_b64 exec, exec, s[14:15]
.LBB606_710:
	s_or_b64 exec, exec, s[12:13]
.LBB606_711:
	s_or_b64 exec, exec, s[10:11]
	v_cmp_ne_u16_sdwa s[12:13], v3, v13 src0_sel:BYTE_0 src1_sel:DWORD
	s_and_saveexec_b64 s[10:11], s[12:13]
	s_cbranch_execz .LBB606_717
; %bb.712:
	s_movk_i32 s7, 0x80
	v_cmp_ne_u16_sdwa s[14:15], v3, s7 src0_sel:BYTE_0 src1_sel:DWORD
	v_bfrev_b32_e32 v13, 1
	s_and_saveexec_b64 s[12:13], s[14:15]
	s_cbranch_execz .LBB606_716
; %bb.713:
	s_movk_i32 s7, 0x7f
	v_and_b32_e32 v2, 0x7f, v3
	v_cmp_ne_u32_e32 vcc, s7, v2
	v_mov_b32_e32 v13, 0x7f800001
	s_and_saveexec_b64 s[14:15], vcc
	s_cbranch_execz .LBB606_715
; %bb.714:
	v_and_b32_e32 v13, 7, v3
	v_ffbh_u32_e32 v16, v13
	v_min_u32_e32 v19, 32, v16
	v_mov_b32_e32 v10, v3
	v_subrev_u32_e32 v16, 28, v19
	v_lshlrev_b64 v[16:17], v16, v[10:11]
	v_lshrrev_b32_e32 v18, 3, v2
	v_sub_u32_e32 v10, 29, v19
	v_and_b32_e32 v16, 7, v16
	v_cmp_gt_u32_e32 vcc, 8, v2
	v_cndmask_b32_e32 v2, v18, v10, vcc
	v_cndmask_b32_e32 v10, v13, v16, vcc
	v_lshlrev_b32_e32 v13, 24, v3
	v_bfrev_b32_e32 v16, 60
	v_lshlrev_b32_e32 v10, 20, v10
	v_and_b32_e32 v13, 0x80000000, v13
	v_lshl_add_u32 v2, v2, 23, v16
	v_or3_b32 v13, v13, v2, v10
.LBB606_715:
	s_or_b64 exec, exec, s[14:15]
.LBB606_716:
	s_or_b64 exec, exec, s[12:13]
.LBB606_717:
	s_or_b64 exec, exec, s[10:11]
	v_lshrrev_b16_e32 v2, 8, v3
	v_cmp_ne_u16_e32 vcc, 0, v2
	v_mov_b32_e32 v16, 0
	v_mov_b32_e32 v17, 0
	s_and_saveexec_b64 s[10:11], vcc
	s_cbranch_execz .LBB606_723
; %bb.718:
	s_movk_i32 s7, 0x80
	v_cmp_ne_u16_e32 vcc, s7, v2
	v_bfrev_b32_e32 v17, 1
	s_and_saveexec_b64 s[12:13], vcc
	s_cbranch_execz .LBB606_722
; %bb.719:
	s_movk_i32 s7, 0x7f
	v_and_b32_e32 v10, 0x7f, v2
	v_cmp_ne_u32_e32 vcc, s7, v10
	v_mov_b32_e32 v17, 0x7f800001
	s_and_saveexec_b64 s[14:15], vcc
	s_cbranch_execz .LBB606_721
; %bb.720:
	v_and_b32_e32 v17, 7, v2
	v_ffbh_u32_e32 v18, v17
	v_min_u32_e32 v21, 32, v18
	v_subrev_u32_e32 v18, 28, v21
	v_lshlrev_b64 v[18:19], v18, v[2:3]
	v_lshrrev_b32_e32 v20, 3, v10
	v_sub_u32_e32 v2, 29, v21
	v_and_b32_e32 v18, 7, v18
	v_cmp_gt_u32_e32 vcc, 8, v10
	v_cndmask_b32_e32 v2, v20, v2, vcc
	v_cndmask_b32_e32 v10, v17, v18, vcc
	v_lshlrev_b32_e32 v17, 16, v3
	v_bfrev_b32_e32 v18, 60
	v_lshlrev_b32_e32 v10, 20, v10
	v_and_b32_e32 v17, 0x80000000, v17
	v_lshl_add_u32 v2, v2, 23, v18
	v_or3_b32 v17, v17, v2, v10
.LBB606_721:
	s_or_b64 exec, exec, s[14:15]
.LBB606_722:
	s_or_b64 exec, exec, s[12:13]
.LBB606_723:
	s_or_b64 exec, exec, s[10:11]
	s_movk_i32 s7, 0xff
	v_and_b32_sdwa v10, v3, s7 dst_sel:DWORD dst_unused:UNUSED_PAD src0_sel:WORD_1 src1_sel:DWORD
	v_lshrrev_b32_e32 v2, 16, v3
	v_cmp_ne_u16_e32 vcc, 0, v10
	s_and_saveexec_b64 s[10:11], vcc
	s_cbranch_execz .LBB606_729
; %bb.724:
	s_movk_i32 s7, 0x80
	v_cmp_ne_u16_e32 vcc, s7, v10
	v_bfrev_b32_e32 v16, 1
	s_and_saveexec_b64 s[12:13], vcc
	s_cbranch_execz .LBB606_728
; %bb.725:
	v_bfe_u32 v10, v3, 16, 7
	s_movk_i32 s7, 0x7f
	v_cmp_ne_u32_e32 vcc, s7, v10
	v_mov_b32_e32 v16, 0x7f800001
	s_and_saveexec_b64 s[14:15], vcc
	s_cbranch_execz .LBB606_727
; %bb.726:
	v_and_b32_e32 v16, 7, v2
	v_ffbh_u32_e32 v18, v16
	v_min_u32_e32 v21, 32, v18
	v_subrev_u32_e32 v18, 28, v21
	v_lshlrev_b64 v[18:19], v18, v[2:3]
	v_and_b32_e32 v18, 7, v18
	v_cmp_gt_u32_e32 vcc, 8, v10
	v_lshrrev_b32_e32 v20, 3, v10
	v_sub_u32_e32 v2, 29, v21
	v_cndmask_b32_e32 v10, v16, v18, vcc
	v_mov_b32_e32 v16, 24
	v_cndmask_b32_e32 v2, v20, v2, vcc
	v_lshlrev_b32_sdwa v16, v16, v3 dst_sel:DWORD dst_unused:UNUSED_PAD src0_sel:DWORD src1_sel:WORD_1
	v_bfrev_b32_e32 v18, 60
	v_lshlrev_b32_e32 v10, 20, v10
	v_and_b32_e32 v16, 0x80000000, v16
	v_lshl_add_u32 v2, v2, 23, v18
	v_or3_b32 v16, v16, v2, v10
.LBB606_727:
	s_or_b64 exec, exec, s[14:15]
.LBB606_728:
	s_or_b64 exec, exec, s[12:13]
.LBB606_729:
	s_or_b64 exec, exec, s[10:11]
	s_mov_b32 s7, 0xffffff
	v_cmp_lt_u32_e32 vcc, s7, v3
	v_mov_b32_e32 v10, 0
	v_mov_b32_e32 v18, 0
	s_and_saveexec_b64 s[10:11], vcc
	s_cbranch_execz .LBB606_735
; %bb.730:
	v_lshrrev_b32_e32 v2, 24, v3
	s_movk_i32 s7, 0x80
	v_cmp_ne_u32_e32 vcc, s7, v2
	v_bfrev_b32_e32 v18, 1
	s_and_saveexec_b64 s[12:13], vcc
	s_cbranch_execz .LBB606_734
; %bb.731:
	v_bfe_u32 v3, v3, 24, 7
	s_movk_i32 s7, 0x7f
	v_cmp_ne_u32_e32 vcc, s7, v3
	v_mov_b32_e32 v18, 0x7f800001
	s_and_saveexec_b64 s[14:15], vcc
	s_cbranch_execz .LBB606_733
; %bb.732:
	v_and_b32_e32 v20, 7, v2
	v_ffbh_u32_e32 v18, v20
	v_min_u32_e32 v23, 32, v18
	v_subrev_u32_e32 v18, 28, v23
	v_lshlrev_b64 v[18:19], v18, v[2:3]
	v_lshrrev_b32_e32 v21, 3, v3
	v_sub_u32_e32 v19, 29, v23
	v_and_b32_e32 v18, 7, v18
	v_cmp_gt_u32_e32 vcc, 8, v3
	v_cndmask_b32_e32 v3, v21, v19, vcc
	v_cndmask_b32_e32 v18, v20, v18, vcc
	v_lshlrev_b32_e32 v2, 24, v2
	v_bfrev_b32_e32 v19, 60
	v_lshlrev_b32_e32 v18, 20, v18
	v_and_b32_e32 v2, 0x80000000, v2
	v_lshl_add_u32 v3, v3, 23, v19
	v_or3_b32 v18, v2, v3, v18
.LBB606_733:
	s_or_b64 exec, exec, s[14:15]
.LBB606_734:
	s_or_b64 exec, exec, s[12:13]
.LBB606_735:
	s_or_b64 exec, exec, s[10:11]
	v_cvt_pkrtz_f16_f32 v2, v15, v12
	v_cvt_pkrtz_f16_f32 v3, v11, v14
	ds_read_b128 v[24:27], v22 offset:6144
	v_cmp_ne_u16_sdwa s[12:13], v4, v10 src0_sel:BYTE_0 src1_sel:DWORD
	s_waitcnt lgkmcnt(0)
	v_mfma_f32_16x16x16f16 v[6:9], v[2:3], v[24:25], v[6:9]
	v_cvt_pkrtz_f16_f32 v2, v13, v17
	v_cvt_pkrtz_f16_f32 v3, v16, v18
	s_nop 1
	v_mfma_f32_16x16x16f16 v[6:9], v[2:3], v[26:27], v[6:9]
	s_and_saveexec_b64 s[10:11], s[12:13]
	s_cbranch_execz .LBB606_741
; %bb.736:
	s_movk_i32 s7, 0x80
	v_cmp_ne_u16_sdwa s[14:15], v4, s7 src0_sel:BYTE_0 src1_sel:DWORD
	v_bfrev_b32_e32 v10, 1
	s_and_saveexec_b64 s[12:13], s[14:15]
	s_cbranch_execz .LBB606_740
; %bb.737:
	s_movk_i32 s7, 0x7f
	v_and_b32_e32 v2, 0x7f, v4
	v_cmp_ne_u32_e32 vcc, s7, v2
	v_mov_b32_e32 v10, 0x7f800001
	s_and_saveexec_b64 s[14:15], vcc
	s_cbranch_execz .LBB606_739
; %bb.738:
	v_and_b32_e32 v3, 7, v4
	v_ffbh_u32_e32 v10, v3
	v_min_u32_e32 v13, 32, v10
	v_subrev_u32_e32 v10, 28, v13
	v_lshlrev_b64 v[10:11], v10, v[4:5]
	v_lshrrev_b32_e32 v12, 3, v2
	v_sub_u32_e32 v11, 29, v13
	v_and_b32_e32 v10, 7, v10
	v_cmp_gt_u32_e32 vcc, 8, v2
	v_cndmask_b32_e32 v2, v12, v11, vcc
	v_cndmask_b32_e32 v3, v3, v10, vcc
	v_lshlrev_b32_e32 v10, 24, v4
	v_bfrev_b32_e32 v11, 60
	v_lshlrev_b32_e32 v3, 20, v3
	v_and_b32_e32 v10, 0x80000000, v10
	v_lshl_add_u32 v2, v2, 23, v11
	v_or3_b32 v10, v10, v2, v3
.LBB606_739:
	s_or_b64 exec, exec, s[14:15]
.LBB606_740:
	s_or_b64 exec, exec, s[12:13]
.LBB606_741:
	s_or_b64 exec, exec, s[10:11]
	v_lshrrev_b16_e32 v2, 8, v4
	v_cmp_ne_u16_e32 vcc, 0, v2
	v_mov_b32_e32 v3, 0
	v_mov_b32_e32 v11, 0
	s_and_saveexec_b64 s[10:11], vcc
	s_cbranch_execz .LBB606_747
; %bb.742:
	s_movk_i32 s7, 0x80
	v_cmp_ne_u16_e32 vcc, s7, v2
	v_bfrev_b32_e32 v11, 1
	s_and_saveexec_b64 s[12:13], vcc
	s_cbranch_execz .LBB606_746
; %bb.743:
	s_movk_i32 s7, 0x7f
	v_and_b32_e32 v12, 0x7f, v2
	v_cmp_ne_u32_e32 vcc, s7, v12
	v_mov_b32_e32 v11, 0x7f800001
	s_and_saveexec_b64 s[14:15], vcc
	s_cbranch_execz .LBB606_745
; %bb.744:
	v_and_b32_e32 v11, 7, v2
	v_ffbh_u32_e32 v14, v11
	v_min_u32_e32 v16, 32, v14
	v_subrev_u32_e32 v14, 28, v16
	v_lshlrev_b64 v[14:15], v14, v[2:3]
	v_lshrrev_b32_e32 v13, 3, v12
	v_sub_u32_e32 v2, 29, v16
	v_and_b32_e32 v14, 7, v14
	v_cmp_gt_u32_e32 vcc, 8, v12
	v_cndmask_b32_e32 v2, v13, v2, vcc
	v_cndmask_b32_e32 v11, v11, v14, vcc
	v_lshlrev_b32_e32 v12, 16, v4
	v_bfrev_b32_e32 v13, 60
	v_lshlrev_b32_e32 v11, 20, v11
	v_and_b32_e32 v12, 0x80000000, v12
	v_lshl_add_u32 v2, v2, 23, v13
	v_or3_b32 v11, v12, v2, v11
.LBB606_745:
	s_or_b64 exec, exec, s[14:15]
.LBB606_746:
	s_or_b64 exec, exec, s[12:13]
.LBB606_747:
	s_or_b64 exec, exec, s[10:11]
	s_movk_i32 s7, 0xff
	v_and_b32_sdwa v12, v4, s7 dst_sel:DWORD dst_unused:UNUSED_PAD src0_sel:WORD_1 src1_sel:DWORD
	v_lshrrev_b32_e32 v2, 16, v4
	v_cmp_ne_u16_e32 vcc, 0, v12
	s_and_saveexec_b64 s[10:11], vcc
	s_cbranch_execz .LBB606_753
; %bb.748:
	s_movk_i32 s7, 0x80
	v_cmp_ne_u16_e32 vcc, s7, v12
	v_bfrev_b32_e32 v3, 1
	s_and_saveexec_b64 s[12:13], vcc
	s_cbranch_execz .LBB606_752
; %bb.749:
	v_bfe_u32 v12, v4, 16, 7
	s_movk_i32 s7, 0x7f
	v_cmp_ne_u32_e32 vcc, s7, v12
	v_mov_b32_e32 v3, 0x7f800001
	s_and_saveexec_b64 s[14:15], vcc
	s_cbranch_execz .LBB606_751
; %bb.750:
	v_and_b32_e32 v13, 7, v2
	v_ffbh_u32_e32 v3, v13
	v_min_u32_e32 v15, 32, v3
	v_subrev_u32_e32 v3, 28, v15
	v_lshlrev_b64 v[2:3], v3, v[2:3]
	v_lshrrev_b32_e32 v14, 3, v12
	v_sub_u32_e32 v3, 29, v15
	v_and_b32_e32 v2, 7, v2
	v_cmp_gt_u32_e32 vcc, 8, v12
	v_mov_b32_e32 v12, 24
	v_cndmask_b32_e32 v3, v14, v3, vcc
	v_cndmask_b32_e32 v2, v13, v2, vcc
	v_lshlrev_b32_sdwa v12, v12, v4 dst_sel:DWORD dst_unused:UNUSED_PAD src0_sel:DWORD src1_sel:WORD_1
	v_bfrev_b32_e32 v13, 60
	v_lshlrev_b32_e32 v2, 20, v2
	v_and_b32_e32 v12, 0x80000000, v12
	v_lshl_add_u32 v3, v3, 23, v13
	v_or3_b32 v3, v12, v3, v2
.LBB606_751:
	s_or_b64 exec, exec, s[14:15]
.LBB606_752:
	s_or_b64 exec, exec, s[12:13]
.LBB606_753:
	s_or_b64 exec, exec, s[10:11]
	s_mov_b32 s7, 0xffffff
	v_cmp_lt_u32_e32 vcc, s7, v4
	v_mov_b32_e32 v12, 0
	v_mov_b32_e32 v13, 0
	s_and_saveexec_b64 s[10:11], vcc
	s_cbranch_execz .LBB606_759
; %bb.754:
	v_lshrrev_b32_e32 v2, 24, v4
	s_movk_i32 s7, 0x80
	v_cmp_ne_u32_e32 vcc, s7, v2
	v_bfrev_b32_e32 v13, 1
	s_and_saveexec_b64 s[12:13], vcc
	s_cbranch_execz .LBB606_758
; %bb.755:
	v_bfe_u32 v4, v4, 24, 7
	s_movk_i32 s7, 0x7f
	v_cmp_ne_u32_e32 vcc, s7, v4
	v_mov_b32_e32 v13, 0x7f800001
	s_and_saveexec_b64 s[14:15], vcc
	s_cbranch_execz .LBB606_757
; %bb.756:
	v_and_b32_e32 v13, 7, v2
	v_ffbh_u32_e32 v14, v13
	v_min_u32_e32 v17, 32, v14
	v_subrev_u32_e32 v14, 28, v17
	v_lshlrev_b64 v[14:15], v14, v[2:3]
	v_lshrrev_b32_e32 v16, 3, v4
	v_sub_u32_e32 v15, 29, v17
	v_and_b32_e32 v14, 7, v14
	v_cmp_gt_u32_e32 vcc, 8, v4
	v_cndmask_b32_e32 v4, v16, v15, vcc
	v_cndmask_b32_e32 v13, v13, v14, vcc
	v_lshlrev_b32_e32 v2, 24, v2
	v_bfrev_b32_e32 v14, 60
	v_lshlrev_b32_e32 v13, 20, v13
	v_and_b32_e32 v2, 0x80000000, v2
	v_lshl_add_u32 v4, v4, 23, v14
	v_or3_b32 v13, v2, v4, v13
.LBB606_757:
	s_or_b64 exec, exec, s[14:15]
.LBB606_758:
	s_or_b64 exec, exec, s[12:13]
.LBB606_759:
	s_or_b64 exec, exec, s[10:11]
	v_cmp_ne_u16_sdwa s[12:13], v5, v12 src0_sel:BYTE_0 src1_sel:DWORD
	s_and_saveexec_b64 s[10:11], s[12:13]
	s_cbranch_execz .LBB606_765
; %bb.760:
	s_movk_i32 s7, 0x80
	v_cmp_ne_u16_sdwa s[14:15], v5, s7 src0_sel:BYTE_0 src1_sel:DWORD
	v_bfrev_b32_e32 v12, 1
	s_and_saveexec_b64 s[12:13], s[14:15]
	s_cbranch_execz .LBB606_764
; %bb.761:
	s_movk_i32 s7, 0x7f
	v_and_b32_e32 v2, 0x7f, v5
	v_cmp_ne_u32_e32 vcc, s7, v2
	v_mov_b32_e32 v12, 0x7f800001
	s_and_saveexec_b64 s[14:15], vcc
	s_cbranch_execz .LBB606_763
; %bb.762:
	v_and_b32_e32 v12, 7, v5
	v_ffbh_u32_e32 v14, v12
	v_min_u32_e32 v17, 32, v14
	v_mov_b32_e32 v4, v5
	v_subrev_u32_e32 v14, 28, v17
	v_lshlrev_b64 v[14:15], v14, v[4:5]
	v_lshrrev_b32_e32 v16, 3, v2
	v_sub_u32_e32 v4, 29, v17
	v_and_b32_e32 v14, 7, v14
	v_cmp_gt_u32_e32 vcc, 8, v2
	v_cndmask_b32_e32 v2, v16, v4, vcc
	v_cndmask_b32_e32 v4, v12, v14, vcc
	v_lshlrev_b32_e32 v12, 24, v5
	v_bfrev_b32_e32 v14, 60
	v_lshlrev_b32_e32 v4, 20, v4
	v_and_b32_e32 v12, 0x80000000, v12
	v_lshl_add_u32 v2, v2, 23, v14
	v_or3_b32 v12, v12, v2, v4
.LBB606_763:
	s_or_b64 exec, exec, s[14:15]
.LBB606_764:
	s_or_b64 exec, exec, s[12:13]
.LBB606_765:
	s_or_b64 exec, exec, s[10:11]
	v_lshrrev_b16_e32 v2, 8, v5
	v_cmp_ne_u16_e32 vcc, 0, v2
	v_mov_b32_e32 v4, 0
	v_mov_b32_e32 v14, 0
	s_and_saveexec_b64 s[10:11], vcc
	s_cbranch_execz .LBB606_771
; %bb.766:
	s_movk_i32 s7, 0x80
	v_cmp_ne_u16_e32 vcc, s7, v2
	v_bfrev_b32_e32 v14, 1
	s_and_saveexec_b64 s[12:13], vcc
	s_cbranch_execz .LBB606_770
; %bb.767:
	s_movk_i32 s7, 0x7f
	v_and_b32_e32 v15, 0x7f, v2
	v_cmp_ne_u32_e32 vcc, s7, v15
	v_mov_b32_e32 v14, 0x7f800001
	s_and_saveexec_b64 s[14:15], vcc
	s_cbranch_execz .LBB606_769
; %bb.768:
	v_and_b32_e32 v14, 7, v2
	v_ffbh_u32_e32 v16, v14
	v_min_u32_e32 v19, 32, v16
	v_subrev_u32_e32 v16, 28, v19
	v_lshlrev_b64 v[16:17], v16, v[2:3]
	v_lshrrev_b32_e32 v18, 3, v15
	v_sub_u32_e32 v2, 29, v19
	v_and_b32_e32 v16, 7, v16
	v_cmp_gt_u32_e32 vcc, 8, v15
	v_cndmask_b32_e32 v2, v18, v2, vcc
	v_cndmask_b32_e32 v14, v14, v16, vcc
	v_lshlrev_b32_e32 v15, 16, v5
	v_bfrev_b32_e32 v16, 60
	v_lshlrev_b32_e32 v14, 20, v14
	v_and_b32_e32 v15, 0x80000000, v15
	v_lshl_add_u32 v2, v2, 23, v16
	v_or3_b32 v14, v15, v2, v14
.LBB606_769:
	s_or_b64 exec, exec, s[14:15]
.LBB606_770:
	s_or_b64 exec, exec, s[12:13]
.LBB606_771:
	s_or_b64 exec, exec, s[10:11]
	s_movk_i32 s7, 0xff
	v_and_b32_sdwa v15, v5, s7 dst_sel:DWORD dst_unused:UNUSED_PAD src0_sel:WORD_1 src1_sel:DWORD
	v_lshrrev_b32_e32 v2, 16, v5
	v_cmp_ne_u16_e32 vcc, 0, v15
	s_and_saveexec_b64 s[10:11], vcc
	s_cbranch_execz .LBB606_777
; %bb.772:
	s_movk_i32 s7, 0x80
	v_cmp_ne_u16_e32 vcc, s7, v15
	v_bfrev_b32_e32 v4, 1
	s_and_saveexec_b64 s[12:13], vcc
	s_cbranch_execz .LBB606_776
; %bb.773:
	v_bfe_u32 v15, v5, 16, 7
	s_movk_i32 s7, 0x7f
	v_cmp_ne_u32_e32 vcc, s7, v15
	v_mov_b32_e32 v4, 0x7f800001
	s_and_saveexec_b64 s[14:15], vcc
	s_cbranch_execz .LBB606_775
; %bb.774:
	v_and_b32_e32 v4, 7, v2
	v_ffbh_u32_e32 v16, v4
	v_min_u32_e32 v19, 32, v16
	v_subrev_u32_e32 v16, 28, v19
	v_lshlrev_b64 v[16:17], v16, v[2:3]
	v_lshrrev_b32_e32 v18, 3, v15
	v_sub_u32_e32 v2, 29, v19
	v_and_b32_e32 v16, 7, v16
	v_cmp_gt_u32_e32 vcc, 8, v15
	v_mov_b32_e32 v15, 24
	v_cndmask_b32_e32 v2, v18, v2, vcc
	v_cndmask_b32_e32 v4, v4, v16, vcc
	v_lshlrev_b32_sdwa v15, v15, v5 dst_sel:DWORD dst_unused:UNUSED_PAD src0_sel:DWORD src1_sel:WORD_1
	v_bfrev_b32_e32 v16, 60
	v_lshlrev_b32_e32 v4, 20, v4
	v_and_b32_e32 v15, 0x80000000, v15
	v_lshl_add_u32 v2, v2, 23, v16
	v_or3_b32 v4, v15, v2, v4
.LBB606_775:
	s_or_b64 exec, exec, s[14:15]
.LBB606_776:
	s_or_b64 exec, exec, s[12:13]
.LBB606_777:
	s_or_b64 exec, exec, s[10:11]
	s_mov_b32 s7, 0xffffff
	v_cmp_lt_u32_e32 vcc, s7, v5
	v_mov_b32_e32 v15, 0
	s_and_saveexec_b64 s[10:11], vcc
	s_cbranch_execz .LBB606_783
; %bb.778:
	v_lshrrev_b32_e32 v2, 24, v5
	s_movk_i32 s7, 0x80
	v_cmp_ne_u32_e32 vcc, s7, v2
	v_bfrev_b32_e32 v15, 1
	s_and_saveexec_b64 s[12:13], vcc
	s_cbranch_execz .LBB606_782
; %bb.779:
	v_bfe_u32 v5, v5, 24, 7
	s_movk_i32 s7, 0x7f
	v_cmp_ne_u32_e32 vcc, s7, v5
	v_mov_b32_e32 v15, 0x7f800001
	s_and_saveexec_b64 s[14:15], vcc
	s_cbranch_execz .LBB606_781
; %bb.780:
	v_and_b32_e32 v15, 7, v2
	v_ffbh_u32_e32 v16, v15
	v_min_u32_e32 v19, 32, v16
	v_subrev_u32_e32 v16, 28, v19
	v_lshlrev_b64 v[16:17], v16, v[2:3]
	v_lshrrev_b32_e32 v18, 3, v5
	v_sub_u32_e32 v17, 29, v19
	v_and_b32_e32 v16, 7, v16
	v_cmp_gt_u32_e32 vcc, 8, v5
	v_cndmask_b32_e32 v5, v18, v17, vcc
	v_cndmask_b32_e32 v15, v15, v16, vcc
	v_lshlrev_b32_e32 v2, 24, v2
	v_bfrev_b32_e32 v16, 60
	v_lshlrev_b32_e32 v15, 20, v15
	v_and_b32_e32 v2, 0x80000000, v2
	v_lshl_add_u32 v5, v5, 23, v16
	v_or3_b32 v15, v2, v5, v15
.LBB606_781:
	s_or_b64 exec, exec, s[14:15]
.LBB606_782:
	s_or_b64 exec, exec, s[12:13]
.LBB606_783:
	s_or_b64 exec, exec, s[10:11]
	v_cvt_pkrtz_f16_f32 v2, v10, v11
	v_cvt_pkrtz_f16_f32 v3, v3, v13
	ds_read_b128 v[16:19], v22 offset:6160
	s_load_dword s10, s[42:43], 0x0
	v_cmp_gt_u32_e32 vcc, 64, v0
	s_waitcnt lgkmcnt(0)
	v_mfma_f32_16x16x16f16 v[6:9], v[2:3], v[16:17], v[6:9]
	v_cvt_pkrtz_f16_f32 v2, v12, v14
	v_cvt_pkrtz_f16_f32 v3, v4, v15
	s_and_b64 s[0:1], s[0:1], vcc
	s_and_b64 s[0:1], s[0:1], s[2:3]
	s_barrier
	v_mfma_f32_16x16x16f16 v[2:5], v[2:3], v[18:19], v[6:9]
	s_nop 7
	s_nop 2
	v_pk_mul_f32 v[4:5], v[4:5], s[10:11] op_sel_hi:[1,0]
	v_pk_mul_f32 v[2:3], v[2:3], s[10:11] op_sel_hi:[1,0]
	v_cvt_f16_f32_e32 v2, v2
	v_cvt_f16_f32_e32 v3, v3
	;; [unrolled: 1-line block ×4, first 2 shown]
	v_pack_b32_f16 v2, v2, v3
	v_pack_b32_f16 v3, v4, v5
	ds_write_b64 v28, v[2:3]
	s_waitcnt lgkmcnt(0)
	s_barrier
	s_and_saveexec_b64 s[2:3], s[0:1]
	s_cbranch_execz .LBB606_785
; %bb.784:
	s_load_dwordx2 s[0:1], s[4:5], 0x68
	s_mul_i32 s2, s45, s6
	s_lshl_b32 s4, s44, 6
	s_mul_hi_u32 s3, s2, s4
	s_mul_i32 s2, s2, s4
	s_lshl_b64 s[2:3], s[2:3], 1
	v_lshlrev_b32_e32 v0, 10, v0
	s_waitcnt lgkmcnt(0)
	s_add_u32 s2, s0, s2
	v_and_b32_e32 v0, 0x1800, v0
	v_lshlrev_b32_e32 v2, 5, v46
	v_and_b32_e32 v3, 16, v47
	s_addc_u32 s3, s1, s3
	s_lshl_b32 s0, s9, 6
	s_mov_b32 s1, 0
	v_or3_b32 v0, v0, v2, v3
	s_lshl_b64 s[0:1], s[0:1], 1
	ds_read_b128 v[2:5], v0
	s_add_u32 s2, s2, s0
	s_addc_u32 s3, s3, s1
	s_mul_hi_u32 s1, s4, s8
	s_mul_i32 s0, s4, s8
	s_lshl_b64 s[0:1], s[0:1], 1
	s_add_u32 s0, s2, s0
	s_addc_u32 s1, s3, s1
	s_waitcnt lgkmcnt(0)
	global_store_dwordx4 v1, v[2:5], s[0:1]
.LBB606_785:
	s_endpgm
	.section	.rodata,"a",@progbits
	.p2align	6, 0x0
	.amdhsa_kernel _Z39paged_attention_ll4mi_QKV_mfma16_kernelIDF16_hLN4vllm18Fp8KVCacheDataTypeE1EDF16_Li32ELi64ELi256ELb0ELi1EL8MFMAType0EEvPKT_PKT0_S8_ifPKiSA_SA_iPKfiiiPfSD_PS3_PT2_iSC_SC_
		.amdhsa_group_segment_fixed_size 8192
		.amdhsa_private_segment_fixed_size 0
		.amdhsa_kernarg_size 400
		.amdhsa_user_sgpr_count 6
		.amdhsa_user_sgpr_private_segment_buffer 1
		.amdhsa_user_sgpr_dispatch_ptr 0
		.amdhsa_user_sgpr_queue_ptr 0
		.amdhsa_user_sgpr_kernarg_segment_ptr 1
		.amdhsa_user_sgpr_dispatch_id 0
		.amdhsa_user_sgpr_flat_scratch_init 0
		.amdhsa_user_sgpr_kernarg_preload_length 0
		.amdhsa_user_sgpr_kernarg_preload_offset 0
		.amdhsa_user_sgpr_private_segment_size 0
		.amdhsa_uses_dynamic_stack 0
		.amdhsa_system_sgpr_private_segment_wavefront_offset 0
		.amdhsa_system_sgpr_workgroup_id_x 1
		.amdhsa_system_sgpr_workgroup_id_y 1
		.amdhsa_system_sgpr_workgroup_id_z 1
		.amdhsa_system_sgpr_workgroup_info 0
		.amdhsa_system_vgpr_workitem_id 0
		.amdhsa_next_free_vgpr 62
		.amdhsa_next_free_sgpr 47
		.amdhsa_accum_offset 64
		.amdhsa_reserve_vcc 1
		.amdhsa_reserve_flat_scratch 0
		.amdhsa_float_round_mode_32 0
		.amdhsa_float_round_mode_16_64 0
		.amdhsa_float_denorm_mode_32 3
		.amdhsa_float_denorm_mode_16_64 3
		.amdhsa_dx10_clamp 1
		.amdhsa_ieee_mode 1
		.amdhsa_fp16_overflow 0
		.amdhsa_tg_split 0
		.amdhsa_exception_fp_ieee_invalid_op 0
		.amdhsa_exception_fp_denorm_src 0
		.amdhsa_exception_fp_ieee_div_zero 0
		.amdhsa_exception_fp_ieee_overflow 0
		.amdhsa_exception_fp_ieee_underflow 0
		.amdhsa_exception_fp_ieee_inexact 0
		.amdhsa_exception_int_div_zero 0
	.end_amdhsa_kernel
	.section	.text._Z39paged_attention_ll4mi_QKV_mfma16_kernelIDF16_hLN4vllm18Fp8KVCacheDataTypeE1EDF16_Li32ELi64ELi256ELb0ELi1EL8MFMAType0EEvPKT_PKT0_S8_ifPKiSA_SA_iPKfiiiPfSD_PS3_PT2_iSC_SC_,"axG",@progbits,_Z39paged_attention_ll4mi_QKV_mfma16_kernelIDF16_hLN4vllm18Fp8KVCacheDataTypeE1EDF16_Li32ELi64ELi256ELb0ELi1EL8MFMAType0EEvPKT_PKT0_S8_ifPKiSA_SA_iPKfiiiPfSD_PS3_PT2_iSC_SC_,comdat
.Lfunc_end606:
	.size	_Z39paged_attention_ll4mi_QKV_mfma16_kernelIDF16_hLN4vllm18Fp8KVCacheDataTypeE1EDF16_Li32ELi64ELi256ELb0ELi1EL8MFMAType0EEvPKT_PKT0_S8_ifPKiSA_SA_iPKfiiiPfSD_PS3_PT2_iSC_SC_, .Lfunc_end606-_Z39paged_attention_ll4mi_QKV_mfma16_kernelIDF16_hLN4vllm18Fp8KVCacheDataTypeE1EDF16_Li32ELi64ELi256ELb0ELi1EL8MFMAType0EEvPKT_PKT0_S8_ifPKiSA_SA_iPKfiiiPfSD_PS3_PT2_iSC_SC_
                                        ; -- End function
	.section	.AMDGPU.csdata,"",@progbits
; Kernel info:
; codeLenInByte = 26844
; NumSgprs: 51
; NumVgprs: 62
; NumAgprs: 0
; TotalNumVgprs: 62
; ScratchSize: 0
; MemoryBound: 0
; FloatMode: 240
; IeeeMode: 1
; LDSByteSize: 8192 bytes/workgroup (compile time only)
; SGPRBlocks: 6
; VGPRBlocks: 7
; NumSGPRsForWavesPerEU: 51
; NumVGPRsForWavesPerEU: 62
; AccumOffset: 64
; Occupancy: 8
; WaveLimiterHint : 1
; COMPUTE_PGM_RSRC2:SCRATCH_EN: 0
; COMPUTE_PGM_RSRC2:USER_SGPR: 6
; COMPUTE_PGM_RSRC2:TRAP_HANDLER: 0
; COMPUTE_PGM_RSRC2:TGID_X_EN: 1
; COMPUTE_PGM_RSRC2:TGID_Y_EN: 1
; COMPUTE_PGM_RSRC2:TGID_Z_EN: 1
; COMPUTE_PGM_RSRC2:TIDIG_COMP_CNT: 0
; COMPUTE_PGM_RSRC3_GFX90A:ACCUM_OFFSET: 15
; COMPUTE_PGM_RSRC3_GFX90A:TG_SPLIT: 0
	.section	.text._Z39paged_attention_ll4mi_QKV_mfma16_kernelIDF16_hLN4vllm18Fp8KVCacheDataTypeE1EDF16_Li32ELi64ELi256ELb0ELi2EL8MFMAType0EEvPKT_PKT0_S8_ifPKiSA_SA_iPKfiiiPfSD_PS3_PT2_iSC_SC_,"axG",@progbits,_Z39paged_attention_ll4mi_QKV_mfma16_kernelIDF16_hLN4vllm18Fp8KVCacheDataTypeE1EDF16_Li32ELi64ELi256ELb0ELi2EL8MFMAType0EEvPKT_PKT0_S8_ifPKiSA_SA_iPKfiiiPfSD_PS3_PT2_iSC_SC_,comdat
	.protected	_Z39paged_attention_ll4mi_QKV_mfma16_kernelIDF16_hLN4vllm18Fp8KVCacheDataTypeE1EDF16_Li32ELi64ELi256ELb0ELi2EL8MFMAType0EEvPKT_PKT0_S8_ifPKiSA_SA_iPKfiiiPfSD_PS3_PT2_iSC_SC_ ; -- Begin function _Z39paged_attention_ll4mi_QKV_mfma16_kernelIDF16_hLN4vllm18Fp8KVCacheDataTypeE1EDF16_Li32ELi64ELi256ELb0ELi2EL8MFMAType0EEvPKT_PKT0_S8_ifPKiSA_SA_iPKfiiiPfSD_PS3_PT2_iSC_SC_
	.globl	_Z39paged_attention_ll4mi_QKV_mfma16_kernelIDF16_hLN4vllm18Fp8KVCacheDataTypeE1EDF16_Li32ELi64ELi256ELb0ELi2EL8MFMAType0EEvPKT_PKT0_S8_ifPKiSA_SA_iPKfiiiPfSD_PS3_PT2_iSC_SC_
	.p2align	8
	.type	_Z39paged_attention_ll4mi_QKV_mfma16_kernelIDF16_hLN4vllm18Fp8KVCacheDataTypeE1EDF16_Li32ELi64ELi256ELb0ELi2EL8MFMAType0EEvPKT_PKT0_S8_ifPKiSA_SA_iPKfiiiPfSD_PS3_PT2_iSC_SC_,@function
_Z39paged_attention_ll4mi_QKV_mfma16_kernelIDF16_hLN4vllm18Fp8KVCacheDataTypeE1EDF16_Li32ELi64ELi256ELb0ELi2EL8MFMAType0EEvPKT_PKT0_S8_ifPKiSA_SA_iPKfiiiPfSD_PS3_PT2_iSC_SC_: ; @_Z39paged_attention_ll4mi_QKV_mfma16_kernelIDF16_hLN4vllm18Fp8KVCacheDataTypeE1EDF16_Li32ELi64ELi256ELb0ELi2EL8MFMAType0EEvPKT_PKT0_S8_ifPKiSA_SA_iPKfiiiPfSD_PS3_PT2_iSC_SC_
; %bb.0:
	s_load_dwordx2 s[0:1], s[4:5], 0x30
	s_mov_b32 s24, s7
	s_mov_b64 s[10:11], 0
	s_waitcnt lgkmcnt(0)
	s_cmp_lg_u64 s[0:1], 0
	s_cselect_b64 s[2:3], -1, 0
	s_and_b64 vcc, exec, s[2:3]
	s_cbranch_vccz .LBB607_7
; %bb.1:
	s_add_i32 s12, s6, 1
	s_mov_b32 s13, 0
	s_lshl_b64 s[14:15], s[12:13], 2
	s_add_u32 s14, s0, s14
	s_mov_b32 s7, s13
	s_addc_u32 s15, s1, s15
	s_lshl_b64 s[12:13], s[6:7], 2
	s_add_u32 s12, s0, s12
	s_addc_u32 s13, s1, s13
	s_load_dword s9, s[14:15], 0x0
	s_load_dword s16, s[12:13], 0x0
	s_waitcnt lgkmcnt(0)
	s_sub_i32 s9, s9, s16
	s_cmp_eq_u32 s9, 1
	s_cselect_b64 s[12:13], -1, 0
	s_andn2_b64 vcc, exec, s[10:11]
	s_cbranch_vccnz .LBB607_3
.LBB607_2:
	s_mov_b32 s7, 0
	s_mov_b64 s[12:13], -1
.LBB607_3:
	s_andn2_b64 vcc, exec, s[12:13]
	s_cbranch_vccnz .LBB607_785
; %bb.4:
	s_load_dwordx2 s[12:13], s[4:5], 0x28
	s_lshl_b64 s[10:11], s[6:7], 2
	s_waitcnt lgkmcnt(0)
	s_add_u32 s12, s12, s10
	s_addc_u32 s13, s13, s11
	s_load_dword s33, s[12:13], 0x0
	s_lshl_b32 s20, s24, 8
	s_waitcnt lgkmcnt(0)
	s_cmp_ge_i32 s20, s33
	s_cbranch_scc1 .LBB607_785
; %bb.5:
	s_add_i32 s14, s33, 31
	s_load_dwordx2 s[12:13], s[4:5], 0x20
	s_load_dword s9, s[4:5], 0x38
	s_ashr_i32 s15, s14, 31
	v_and_b32_e32 v1, 0xcf, v0
	s_lshr_b32 s15, s15, 27
	v_add_u32_e32 v1, s20, v1
	s_add_i32 s14, s14, s15
	v_ashrrev_i32_e32 v2, 31, v1
	s_ashr_i32 s22, s14, 5
	v_lshrrev_b32_e32 v4, 27, v2
	s_add_i32 s22, s22, -1
	v_add_u32_e32 v2, v1, v4
	s_waitcnt lgkmcnt(0)
	s_mul_i32 s14, s6, s9
	s_mov_b32 s15, 0
	v_ashrrev_i32_e32 v2, 5, v2
	v_mov_b32_e32 v5, s22
	v_cmp_gt_i32_e32 vcc, s33, v1
	s_lshl_b64 s[14:15], s[14:15], 2
	v_cndmask_b32_e32 v2, v5, v2, vcc
	s_add_u32 s9, s12, s14
	v_ashrrev_i32_e32 v3, 31, v2
	s_addc_u32 s21, s13, s15
	v_lshlrev_b64 v[2:3], 2, v[2:3]
	v_mov_b32_e32 v7, s21
	v_add_co_u32_e32 v6, vcc, s9, v2
	v_or_b32_e32 v2, 16, v1
	v_addc_co_u32_e32 v7, vcc, v7, v3, vcc
	v_add_u32_e32 v3, v2, v4
	v_ashrrev_i32_e32 v3, 5, v3
	v_cmp_gt_i32_e32 vcc, s33, v2
	v_cndmask_b32_e32 v2, v5, v3, vcc
	v_ashrrev_i32_e32 v3, 31, v2
	v_lshlrev_b64 v[2:3], 2, v[2:3]
	v_mov_b32_e32 v9, s21
	v_add_co_u32_e32 v8, vcc, s9, v2
	v_or_b32_e32 v2, 32, v1
	v_addc_co_u32_e32 v9, vcc, v9, v3, vcc
	v_add_u32_e32 v3, v2, v4
	v_ashrrev_i32_e32 v3, 5, v3
	v_cmp_gt_i32_e32 vcc, s33, v2
	v_cndmask_b32_e32 v2, v5, v3, vcc
	v_ashrrev_i32_e32 v3, 31, v2
	;; [unrolled: 10-line block ×3, first 2 shown]
	v_lshlrev_b64 v[2:3], 2, v[2:3]
	v_mov_b32_e32 v1, s21
	v_add_co_u32_e32 v12, vcc, s9, v2
	v_addc_co_u32_e32 v13, vcc, v1, v3, vcc
	global_load_dword v5, v[6:7], off
	global_load_dword v4, v[8:9], off
	;; [unrolled: 1-line block ×4, first 2 shown]
	s_load_dwordx4 s[12:15], s[4:5], 0x8
	s_andn2_b64 vcc, exec, s[2:3]
	s_cbranch_vccnz .LBB607_8
; %bb.6:
	s_add_u32 s0, s0, s10
	s_addc_u32 s1, s1, s11
	s_load_dword s10, s[0:1], 0x0
	s_branch .LBB607_9
.LBB607_7:
	s_mov_b64 s[12:13], 0
	s_branch .LBB607_2
.LBB607_8:
	s_mov_b32 s10, s6
.LBB607_9:
	s_load_dwordx4 s[16:19], s[4:5], 0x48
	v_lshrrev_b32_e32 v49, 6, v0
	v_bfe_u32 v1, v0, 4, 2
	v_lshl_or_b32 v6, v49, 2, v1
	v_and_b32_e32 v50, 15, v0
	v_lshlrev_b32_e32 v7, 3, v50
	v_cmp_gt_u32_e32 vcc, 2, v6
	v_cmp_gt_u32_e64 s[0:1], 8, v50
	s_lshl_b32 s25, s8, 1
	s_and_b64 s[26:27], s[0:1], vcc
	v_lshlrev_b32_e32 v46, 1, v7
	v_lshlrev_b32_e32 v47, 4, v0
	s_and_saveexec_b64 s[2:3], s[26:27]
	s_cbranch_execz .LBB607_11
; %bb.10:
	s_load_dwordx2 s[26:27], s[4:5], 0x0
	s_waitcnt lgkmcnt(0)
	s_ashr_i32 s11, s16, 31
	s_mul_hi_u32 s19, s10, s16
	s_mul_i32 s11, s10, s11
	s_add_i32 s11, s19, s11
	s_mul_i32 s10, s10, s16
	s_lshl_b64 s[10:11], s[10:11], 1
	v_add_lshl_u32 v8, v1, s25, 6
	s_add_u32 s10, s26, s10
	v_ashrrev_i32_e32 v9, 31, v8
	s_addc_u32 s11, s27, s11
	v_lshlrev_b64 v[8:9], 1, v[8:9]
	v_mov_b32_e32 v7, s11
	v_add_co_u32_e32 v8, vcc, s10, v8
	v_addc_co_u32_e32 v7, vcc, v7, v9, vcc
	v_add_co_u32_e32 v8, vcc, v8, v46
	v_addc_co_u32_e32 v9, vcc, 0, v7, vcc
	global_load_dwordx4 v[8:11], v[8:9], off
	v_lshlrev_b32_e32 v12, 8, v50
	v_lshlrev_b32_e32 v6, 5, v6
	v_and_b32_e32 v7, 16, v47
	v_and_b32_e32 v12, 0xe00, v12
	v_or3_b32 v6, v12, v6, v7
	s_waitcnt vmcnt(0)
	ds_write_b128 v6, v[8:11]
.LBB607_11:
	s_or_b64 exec, exec, s[2:3]
	s_waitcnt lgkmcnt(0)
	s_mul_i32 s8, s8, s18
	s_add_u32 s2, s12, s8
	s_addc_u32 s3, s13, 0
	v_and_b32_e32 v12, 48, v0
	s_ashr_i32 s10, s20, 31
	v_or_b32_e32 v13, s20, v12
	s_lshr_b32 s10, s10, 27
	v_add_u32_e32 v6, s10, v13
	v_ashrrev_i32_e32 v6, 5, v6
	v_mov_b32_e32 v14, s22
	v_cmp_gt_i32_e32 vcc, s33, v13
	v_cndmask_b32_e32 v6, v14, v6, vcc
	v_ashrrev_i32_e32 v7, 31, v6
	v_lshlrev_b64 v[6:7], 2, v[6:7]
	v_mov_b32_e32 v8, s21
	v_add_co_u32_e32 v6, vcc, s9, v6
	v_addc_co_u32_e32 v7, vcc, v8, v7, vcc
	v_or_b32_e32 v8, 64, v13
	v_add_u32_e32 v9, s10, v8
	v_ashrrev_i32_e32 v9, 5, v9
	v_cmp_gt_i32_e32 vcc, s33, v8
	v_cndmask_b32_e32 v8, v14, v9, vcc
	v_ashrrev_i32_e32 v9, 31, v8
	v_lshlrev_b64 v[8:9], 2, v[8:9]
	v_mov_b32_e32 v10, s21
	v_add_co_u32_e32 v8, vcc, s9, v8
	v_addc_co_u32_e32 v9, vcc, v10, v9, vcc
	v_or_b32_e32 v10, 0x80, v13
	v_add_u32_e32 v11, s10, v10
	v_ashrrev_i32_e32 v11, 5, v11
	v_cmp_gt_i32_e32 vcc, s33, v10
	v_cndmask_b32_e32 v10, v14, v11, vcc
	v_ashrrev_i32_e32 v11, 31, v10
	v_lshlrev_b64 v[10:11], 2, v[10:11]
	v_mov_b32_e32 v15, s21
	v_add_co_u32_e32 v10, vcc, s9, v10
	s_load_dwordx2 s[44:45], s[4:5], 0x94
	s_load_dwordx4 s[40:43], s[4:5], 0x80
	s_waitcnt lgkmcnt(0)
	s_barrier
	v_addc_co_u32_e32 v11, vcc, v15, v11, vcc
	global_load_dword v15, v[6:7], off
	global_load_dword v16, v[8:9], off
	;; [unrolled: 1-line block ×3, first 2 shown]
	v_or_b32_e32 v6, 0xc0, v13
	v_add_u32_e32 v7, s10, v6
	v_ashrrev_i32_e32 v7, 5, v7
	v_cmp_gt_i32_e32 vcc, s33, v6
	v_cndmask_b32_e32 v6, v14, v7, vcc
	v_ashrrev_i32_e32 v7, 31, v6
	v_lshlrev_b64 v[6:7], 2, v[6:7]
	v_mov_b32_e32 v8, s21
	v_add_co_u32_e32 v6, vcc, s9, v6
	v_addc_co_u32_e32 v7, vcc, v8, v7, vcc
	global_load_dword v20, v[6:7], off
	v_pk_mov_b32 v[6:7], s[2:3], s[2:3] op_sel:[0,1]
	s_waitcnt vmcnt(7)
	v_mad_i64_i32 v[8:9], s[2:3], v5, s17, v[6:7]
	v_lshlrev_b32_e32 v11, 4, v50
	v_add_co_u32_e32 v5, vcc, v8, v11
	v_lshlrev_b32_e32 v10, 5, v12
	v_addc_co_u32_e32 v9, vcc, 0, v9, vcc
	v_add_co_u32_e32 v8, vcc, v5, v10
	v_addc_co_u32_e32 v9, vcc, 0, v9, vcc
	s_waitcnt vmcnt(6)
	v_mad_i64_i32 v[4:5], s[2:3], v4, s17, v[6:7]
	v_or_b32_e32 v12, 0x100, v11
	v_add_co_u32_e32 v4, vcc, v4, v12
	v_addc_co_u32_e32 v5, vcc, 0, v5, vcc
	v_add_co_u32_e32 v4, vcc, v4, v10
	v_addc_co_u32_e32 v5, vcc, 0, v5, vcc
	global_load_dwordx4 v[30:33], v[8:9], off
	global_load_dwordx4 v[38:41], v[4:5], off
	s_waitcnt vmcnt(7)
	v_mad_i64_i32 v[4:5], s[2:3], v3, s17, v[6:7]
	v_add_co_u32_e32 v3, vcc, v4, v11
	v_addc_co_u32_e32 v5, vcc, 0, v5, vcc
	v_add_co_u32_e32 v4, vcc, v3, v10
	v_addc_co_u32_e32 v5, vcc, 0, v5, vcc
	s_waitcnt vmcnt(6)
	v_mad_i64_i32 v[2:3], s[2:3], v2, s17, v[6:7]
	v_add_co_u32_e32 v2, vcc, v2, v12
	v_addc_co_u32_e32 v3, vcc, 0, v3, vcc
	v_add_co_u32_e32 v2, vcc, v2, v10
	s_add_u32 s2, s14, s8
	v_addc_co_u32_e32 v3, vcc, 0, v3, vcc
	global_load_dwordx4 v[34:37], v[4:5], off
	global_load_dwordx4 v[22:25], v[2:3], off
	s_addc_u32 s3, s15, 0
	v_and_b32_e32 v2, 16, v0
	v_mov_b32_e32 v3, s3
	v_add_co_u32_e32 v2, vcc, s2, v2
	v_lshlrev_b32_e32 v48, 5, v50
	v_addc_co_u32_e32 v3, vcc, 0, v3, vcc
	v_lshl_or_b32 v4, v49, 9, v48
	v_add_co_u32_e32 v2, vcc, v2, v4
	v_addc_co_u32_e32 v3, vcc, 0, v3, vcc
	v_mov_b32_e32 v43, 0
	s_movk_i32 s8, 0x80
	v_mov_b32_e32 v44, 0
	s_waitcnt vmcnt(7)
	v_mad_i64_i32 v[4:5], s[2:3], v15, s17, v[2:3]
	s_waitcnt vmcnt(6)
	v_mad_i64_i32 v[6:7], s[2:3], v16, s17, v[2:3]
	;; [unrolled: 2-line block ×3, first 2 shown]
	global_load_dwordx4 v[14:17], v[4:5], off
	global_load_dwordx4 v[10:13], v[6:7], off
	s_waitcnt vmcnt(6)
	v_mad_i64_i32 v[20:21], s[2:3], v20, s17, v[2:3]
	global_load_dwordx4 v[6:9], v[18:19], off
	global_load_dwordx4 v[2:5], v[20:21], off
	v_and_b32_e32 v18, 1, v0
	v_lshlrev_b32_e32 v18, 5, v18
	v_lshl_or_b32 v18, v1, 9, v18
	ds_read_b128 v[26:29], v18
	ds_read_b128 v[18:21], v18 offset:16
	s_load_dword s12, s[40:41], 0x0
	s_waitcnt vmcnt(7)
	v_cmp_ne_u16_sdwa s[10:11], v30, v43 src0_sel:BYTE_0 src1_sel:DWORD
	s_and_saveexec_b64 s[2:3], s[10:11]
	s_cbranch_execz .LBB607_17
; %bb.12:
	v_cmp_ne_u16_sdwa s[10:11], v30, s8 src0_sel:BYTE_0 src1_sel:DWORD
	v_bfrev_b32_e32 v44, 1
	s_and_saveexec_b64 s[8:9], s[10:11]
	s_cbranch_execz .LBB607_16
; %bb.13:
	s_movk_i32 s10, 0x7f
	v_and_b32_e32 v42, 0x7f, v30
	v_cmp_ne_u32_e32 vcc, s10, v42
	v_mov_b32_e32 v44, 0x7f800001
	s_and_saveexec_b64 s[10:11], vcc
	s_cbranch_execz .LBB607_15
; %bb.14:
	v_and_b32_e32 v51, 7, v30
	v_ffbh_u32_e32 v44, v51
	v_min_u32_e32 v53, 32, v44
	v_subrev_u32_e32 v44, 28, v53
	v_lshlrev_b64 v[44:45], v44, v[30:31]
	v_lshrrev_b32_e32 v52, 3, v42
	v_sub_u32_e32 v45, 29, v53
	v_and_b32_e32 v44, 7, v44
	v_cmp_gt_u32_e32 vcc, 8, v42
	v_cndmask_b32_e32 v42, v52, v45, vcc
	v_cndmask_b32_e32 v44, v51, v44, vcc
	v_lshlrev_b32_e32 v45, 24, v30
	v_bfrev_b32_e32 v51, 60
	v_lshlrev_b32_e32 v44, 20, v44
	v_and_b32_e32 v45, 0x80000000, v45
	v_lshl_add_u32 v42, v42, 23, v51
	v_or3_b32 v44, v45, v42, v44
.LBB607_15:
	s_or_b64 exec, exec, s[10:11]
.LBB607_16:
	s_or_b64 exec, exec, s[8:9]
.LBB607_17:
	s_or_b64 exec, exec, s[2:3]
	v_lshrrev_b16_e32 v42, 8, v30
	v_cmp_ne_u16_e32 vcc, 0, v42
	s_and_saveexec_b64 s[2:3], vcc
	s_cbranch_execz .LBB607_23
; %bb.18:
	s_movk_i32 s8, 0x80
	v_cmp_ne_u16_e32 vcc, s8, v42
	v_bfrev_b32_e32 v43, 1
	s_and_saveexec_b64 s[8:9], vcc
	s_cbranch_execz .LBB607_22
; %bb.19:
	s_movk_i32 s10, 0x7f
	v_and_b32_e32 v45, 0x7f, v42
	v_cmp_ne_u32_e32 vcc, s10, v45
	v_mov_b32_e32 v43, 0x7f800001
	s_and_saveexec_b64 s[10:11], vcc
	s_cbranch_execz .LBB607_21
; %bb.20:
	v_and_b32_e32 v51, 7, v42
	v_ffbh_u32_e32 v43, v51
	v_min_u32_e32 v53, 32, v43
	v_subrev_u32_e32 v43, 28, v53
	v_lshlrev_b64 v[42:43], v43, v[42:43]
	v_lshrrev_b32_e32 v52, 3, v45
	v_sub_u32_e32 v43, 29, v53
	v_and_b32_e32 v42, 7, v42
	v_cmp_gt_u32_e32 vcc, 8, v45
	v_cndmask_b32_e32 v43, v52, v43, vcc
	v_cndmask_b32_e32 v42, v51, v42, vcc
	v_lshlrev_b32_e32 v45, 16, v30
	v_bfrev_b32_e32 v51, 60
	v_lshlrev_b32_e32 v42, 20, v42
	v_and_b32_e32 v45, 0x80000000, v45
	v_lshl_add_u32 v43, v43, 23, v51
	v_or3_b32 v43, v45, v43, v42
.LBB607_21:
	s_or_b64 exec, exec, s[10:11]
.LBB607_22:
	s_or_b64 exec, exec, s[8:9]
.LBB607_23:
	s_or_b64 exec, exec, s[2:3]
	s_movk_i32 s2, 0xff
	v_and_b32_sdwa v52, v30, s2 dst_sel:DWORD dst_unused:UNUSED_PAD src0_sel:WORD_1 src1_sel:DWORD
	v_lshrrev_b32_e32 v42, 16, v30
	v_cmp_ne_u16_e32 vcc, 0, v52
	v_mov_b32_e32 v45, 0
	v_mov_b32_e32 v51, 0
	s_and_saveexec_b64 s[2:3], vcc
	s_cbranch_execz .LBB607_29
; %bb.24:
	s_movk_i32 s8, 0x80
	v_cmp_ne_u16_e32 vcc, s8, v52
	v_bfrev_b32_e32 v51, 1
	s_and_saveexec_b64 s[8:9], vcc
	s_cbranch_execz .LBB607_28
; %bb.25:
	v_bfe_u32 v52, v30, 16, 7
	s_movk_i32 s10, 0x7f
	v_cmp_ne_u32_e32 vcc, s10, v52
	v_mov_b32_e32 v51, 0x7f800001
	s_and_saveexec_b64 s[10:11], vcc
	s_cbranch_execz .LBB607_27
; %bb.26:
	v_and_b32_e32 v51, 7, v42
	v_ffbh_u32_e32 v54, v51
	v_min_u32_e32 v56, 32, v54
	v_subrev_u32_e32 v54, 28, v56
	v_lshlrev_b64 v[54:55], v54, v[42:43]
	v_lshrrev_b32_e32 v53, 3, v52
	v_sub_u32_e32 v42, 29, v56
	v_and_b32_e32 v54, 7, v54
	v_cmp_gt_u32_e32 vcc, 8, v52
	v_mov_b32_e32 v52, 24
	v_cndmask_b32_e32 v42, v53, v42, vcc
	v_cndmask_b32_e32 v51, v51, v54, vcc
	v_lshlrev_b32_sdwa v52, v52, v30 dst_sel:DWORD dst_unused:UNUSED_PAD src0_sel:DWORD src1_sel:WORD_1
	v_bfrev_b32_e32 v53, 60
	v_lshlrev_b32_e32 v51, 20, v51
	v_and_b32_e32 v52, 0x80000000, v52
	v_lshl_add_u32 v42, v42, 23, v53
	v_or3_b32 v51, v52, v42, v51
.LBB607_27:
	s_or_b64 exec, exec, s[10:11]
.LBB607_28:
	s_or_b64 exec, exec, s[8:9]
.LBB607_29:
	s_or_b64 exec, exec, s[2:3]
	s_mov_b32 s2, 0xffffff
	v_cmp_lt_u32_e32 vcc, s2, v30
	s_and_saveexec_b64 s[2:3], vcc
	s_cbranch_execz .LBB607_35
; %bb.30:
	v_lshrrev_b32_e32 v42, 24, v30
	s_movk_i32 s8, 0x80
	v_cmp_ne_u32_e32 vcc, s8, v42
	v_bfrev_b32_e32 v45, 1
	s_and_saveexec_b64 s[8:9], vcc
	s_cbranch_execz .LBB607_34
; %bb.31:
	v_bfe_u32 v30, v30, 24, 7
	s_movk_i32 s10, 0x7f
	v_cmp_ne_u32_e32 vcc, s10, v30
	v_mov_b32_e32 v45, 0x7f800001
	s_and_saveexec_b64 s[10:11], vcc
	s_cbranch_execz .LBB607_33
; %bb.32:
	v_and_b32_e32 v45, 7, v42
	v_ffbh_u32_e32 v52, v45
	v_min_u32_e32 v55, 32, v52
	v_subrev_u32_e32 v52, 28, v55
	v_lshlrev_b64 v[52:53], v52, v[42:43]
	v_lshrrev_b32_e32 v54, 3, v30
	v_sub_u32_e32 v53, 29, v55
	v_and_b32_e32 v52, 7, v52
	v_cmp_gt_u32_e32 vcc, 8, v30
	v_cndmask_b32_e32 v30, v54, v53, vcc
	v_cndmask_b32_e32 v45, v45, v52, vcc
	v_lshlrev_b32_e32 v42, 24, v42
	v_bfrev_b32_e32 v52, 60
	v_lshlrev_b32_e32 v45, 20, v45
	v_and_b32_e32 v42, 0x80000000, v42
	v_lshl_add_u32 v30, v30, 23, v52
	v_or3_b32 v45, v42, v30, v45
.LBB607_33:
	s_or_b64 exec, exec, s[10:11]
.LBB607_34:
	s_or_b64 exec, exec, s[8:9]
.LBB607_35:
	s_or_b64 exec, exec, s[2:3]
	v_mov_b32_e32 v42, 0
	v_cmp_ne_u16_sdwa s[8:9], v31, v42 src0_sel:BYTE_0 src1_sel:DWORD
	v_mov_b32_e32 v52, 0
	s_and_saveexec_b64 s[2:3], s[8:9]
	s_cbranch_execz .LBB607_41
; %bb.36:
	s_movk_i32 s8, 0x80
	v_cmp_ne_u16_sdwa s[10:11], v31, s8 src0_sel:BYTE_0 src1_sel:DWORD
	v_bfrev_b32_e32 v52, 1
	s_and_saveexec_b64 s[8:9], s[10:11]
	s_cbranch_execz .LBB607_40
; %bb.37:
	s_movk_i32 s10, 0x7f
	v_and_b32_e32 v30, 0x7f, v31
	v_cmp_ne_u32_e32 vcc, s10, v30
	v_mov_b32_e32 v52, 0x7f800001
	s_and_saveexec_b64 s[10:11], vcc
	s_cbranch_execz .LBB607_39
; %bb.38:
	v_and_b32_e32 v54, 7, v31
	v_ffbh_u32_e32 v53, v54
	v_min_u32_e32 v56, 32, v53
	v_mov_b32_e32 v52, v31
	v_subrev_u32_e32 v53, 28, v56
	v_lshlrev_b64 v[52:53], v53, v[52:53]
	v_lshrrev_b32_e32 v55, 3, v30
	v_sub_u32_e32 v53, 29, v56
	v_and_b32_e32 v52, 7, v52
	v_cmp_gt_u32_e32 vcc, 8, v30
	v_cndmask_b32_e32 v30, v55, v53, vcc
	v_cndmask_b32_e32 v52, v54, v52, vcc
	v_lshlrev_b32_e32 v53, 24, v31
	v_bfrev_b32_e32 v54, 60
	v_lshlrev_b32_e32 v52, 20, v52
	v_and_b32_e32 v53, 0x80000000, v53
	v_lshl_add_u32 v30, v30, 23, v54
	v_or3_b32 v52, v53, v30, v52
.LBB607_39:
	s_or_b64 exec, exec, s[10:11]
.LBB607_40:
	s_or_b64 exec, exec, s[8:9]
.LBB607_41:
	s_or_b64 exec, exec, s[2:3]
	v_lshrrev_b16_e32 v30, 8, v31
	v_cmp_ne_u16_e32 vcc, 0, v30
	s_and_saveexec_b64 s[2:3], vcc
	s_cbranch_execz .LBB607_47
; %bb.42:
	s_movk_i32 s8, 0x80
	v_cmp_ne_u16_e32 vcc, s8, v30
	v_bfrev_b32_e32 v42, 1
	s_and_saveexec_b64 s[8:9], vcc
	s_cbranch_execz .LBB607_46
; %bb.43:
	s_movk_i32 s10, 0x7f
	v_and_b32_e32 v53, 0x7f, v30
	v_cmp_ne_u32_e32 vcc, s10, v53
	v_mov_b32_e32 v42, 0x7f800001
	s_and_saveexec_b64 s[10:11], vcc
	s_cbranch_execz .LBB607_45
; %bb.44:
	v_and_b32_e32 v42, 7, v30
	v_ffbh_u32_e32 v54, v42
	v_min_u32_e32 v57, 32, v54
	v_subrev_u32_e32 v54, 28, v57
	v_lshlrev_b64 v[54:55], v54, v[30:31]
	v_lshrrev_b32_e32 v56, 3, v53
	v_sub_u32_e32 v30, 29, v57
	v_and_b32_e32 v54, 7, v54
	v_cmp_gt_u32_e32 vcc, 8, v53
	v_cndmask_b32_e32 v30, v56, v30, vcc
	v_cndmask_b32_e32 v42, v42, v54, vcc
	v_lshlrev_b32_e32 v53, 16, v31
	v_bfrev_b32_e32 v54, 60
	v_lshlrev_b32_e32 v42, 20, v42
	v_and_b32_e32 v53, 0x80000000, v53
	v_lshl_add_u32 v30, v30, 23, v54
	v_or3_b32 v42, v53, v30, v42
.LBB607_45:
	s_or_b64 exec, exec, s[10:11]
.LBB607_46:
	s_or_b64 exec, exec, s[8:9]
.LBB607_47:
	s_or_b64 exec, exec, s[2:3]
	s_movk_i32 s2, 0xff
	v_and_b32_sdwa v55, v31, s2 dst_sel:DWORD dst_unused:UNUSED_PAD src0_sel:WORD_1 src1_sel:DWORD
	v_lshrrev_b32_e32 v30, 16, v31
	v_cmp_ne_u16_e32 vcc, 0, v55
	v_mov_b32_e32 v53, 0
	v_mov_b32_e32 v54, 0
	s_and_saveexec_b64 s[2:3], vcc
	s_cbranch_execz .LBB607_53
; %bb.48:
	s_movk_i32 s8, 0x80
	v_cmp_ne_u16_e32 vcc, s8, v55
	v_bfrev_b32_e32 v54, 1
	s_and_saveexec_b64 s[8:9], vcc
	s_cbranch_execz .LBB607_52
; %bb.49:
	v_bfe_u32 v55, v31, 16, 7
	s_movk_i32 s10, 0x7f
	v_cmp_ne_u32_e32 vcc, s10, v55
	v_mov_b32_e32 v54, 0x7f800001
	s_and_saveexec_b64 s[10:11], vcc
	s_cbranch_execz .LBB607_51
; %bb.50:
	v_and_b32_e32 v54, 7, v30
	v_ffbh_u32_e32 v56, v54
	v_min_u32_e32 v59, 32, v56
	v_subrev_u32_e32 v56, 28, v59
	v_lshlrev_b64 v[56:57], v56, v[30:31]
	v_lshrrev_b32_e32 v58, 3, v55
	v_sub_u32_e32 v30, 29, v59
	v_and_b32_e32 v56, 7, v56
	v_cmp_gt_u32_e32 vcc, 8, v55
	v_mov_b32_e32 v55, 24
	v_cndmask_b32_e32 v30, v58, v30, vcc
	v_cndmask_b32_e32 v54, v54, v56, vcc
	v_lshlrev_b32_sdwa v55, v55, v31 dst_sel:DWORD dst_unused:UNUSED_PAD src0_sel:DWORD src1_sel:WORD_1
	v_bfrev_b32_e32 v56, 60
	v_lshlrev_b32_e32 v54, 20, v54
	v_and_b32_e32 v55, 0x80000000, v55
	v_lshl_add_u32 v30, v30, 23, v56
	v_or3_b32 v54, v55, v30, v54
.LBB607_51:
	s_or_b64 exec, exec, s[10:11]
.LBB607_52:
	s_or_b64 exec, exec, s[8:9]
.LBB607_53:
	s_or_b64 exec, exec, s[2:3]
	s_mov_b32 s2, 0xffffff
	v_cmp_lt_u32_e32 vcc, s2, v31
	s_and_saveexec_b64 s[2:3], vcc
	s_cbranch_execz .LBB607_59
; %bb.54:
	v_lshrrev_b32_e32 v30, 24, v31
	s_movk_i32 s8, 0x80
	v_cmp_ne_u32_e32 vcc, s8, v30
	v_bfrev_b32_e32 v53, 1
	s_and_saveexec_b64 s[8:9], vcc
	s_cbranch_execz .LBB607_58
; %bb.55:
	v_bfe_u32 v31, v31, 24, 7
	s_movk_i32 s10, 0x7f
	v_cmp_ne_u32_e32 vcc, s10, v31
	v_mov_b32_e32 v53, 0x7f800001
	s_and_saveexec_b64 s[10:11], vcc
	s_cbranch_execz .LBB607_57
; %bb.56:
	v_and_b32_e32 v53, 7, v30
	v_ffbh_u32_e32 v56, v53
	v_min_u32_e32 v58, 32, v56
	v_subrev_u32_e32 v56, 28, v58
	v_lshlrev_b64 v[56:57], v56, v[30:31]
	v_lshrrev_b32_e32 v55, 3, v31
	v_sub_u32_e32 v57, 29, v58
	v_and_b32_e32 v56, 7, v56
	v_cmp_gt_u32_e32 vcc, 8, v31
	v_cndmask_b32_e32 v31, v55, v57, vcc
	v_cndmask_b32_e32 v53, v53, v56, vcc
	v_lshlrev_b32_e32 v30, 24, v30
	v_bfrev_b32_e32 v55, 60
	v_lshlrev_b32_e32 v53, 20, v53
	v_and_b32_e32 v30, 0x80000000, v30
	v_lshl_add_u32 v31, v31, 23, v55
	v_or3_b32 v53, v30, v31, v53
.LBB607_57:
	s_or_b64 exec, exec, s[10:11]
.LBB607_58:
	s_or_b64 exec, exec, s[8:9]
.LBB607_59:
	s_or_b64 exec, exec, s[2:3]
	v_cvt_pkrtz_f16_f32 v30, v44, v43
	v_cvt_pkrtz_f16_f32 v31, v51, v45
	;; [unrolled: 1-line block ×4, first 2 shown]
	v_mov_b32_e32 v52, 0
	s_waitcnt lgkmcnt(0)
	v_mfma_f32_16x16x16f16 v[56:59], v[30:31], v[26:27], 0
	v_mov_b32_e32 v31, 0
	v_cmp_ne_u16_sdwa s[8:9], v32, v31 src0_sel:BYTE_0 src1_sel:DWORD
	v_mfma_f32_16x16x16f16 v[42:45], v[42:43], v[28:29], v[56:59]
	s_and_saveexec_b64 s[2:3], s[8:9]
	s_cbranch_execz .LBB607_65
; %bb.60:
	s_movk_i32 s8, 0x80
	v_cmp_ne_u16_sdwa s[10:11], v32, s8 src0_sel:BYTE_0 src1_sel:DWORD
	v_bfrev_b32_e32 v52, 1
	s_and_saveexec_b64 s[8:9], s[10:11]
	s_cbranch_execz .LBB607_64
; %bb.61:
	s_movk_i32 s10, 0x7f
	v_and_b32_e32 v30, 0x7f, v32
	v_cmp_ne_u32_e32 vcc, s10, v30
	v_mov_b32_e32 v52, 0x7f800001
	s_and_saveexec_b64 s[10:11], vcc
	s_cbranch_execz .LBB607_63
; %bb.62:
	v_and_b32_e32 v51, 7, v32
	v_ffbh_u32_e32 v52, v51
	v_min_u32_e32 v55, 32, v52
	v_subrev_u32_e32 v52, 28, v55
	v_lshlrev_b64 v[52:53], v52, v[32:33]
	v_lshrrev_b32_e32 v54, 3, v30
	v_sub_u32_e32 v53, 29, v55
	v_and_b32_e32 v52, 7, v52
	v_cmp_gt_u32_e32 vcc, 8, v30
	v_cndmask_b32_e32 v30, v54, v53, vcc
	v_cndmask_b32_e32 v51, v51, v52, vcc
	v_lshlrev_b32_e32 v52, 24, v32
	v_bfrev_b32_e32 v53, 60
	v_lshlrev_b32_e32 v51, 20, v51
	v_and_b32_e32 v52, 0x80000000, v52
	v_lshl_add_u32 v30, v30, 23, v53
	v_or3_b32 v52, v52, v30, v51
.LBB607_63:
	s_or_b64 exec, exec, s[10:11]
.LBB607_64:
	s_or_b64 exec, exec, s[8:9]
.LBB607_65:
	s_or_b64 exec, exec, s[2:3]
	v_lshrrev_b16_e32 v30, 8, v32
	v_cmp_ne_u16_e32 vcc, 0, v30
	v_mov_b32_e32 v53, 0
	s_and_saveexec_b64 s[2:3], vcc
	s_cbranch_execz .LBB607_71
; %bb.66:
	s_movk_i32 s8, 0x80
	v_cmp_ne_u16_e32 vcc, s8, v30
	v_bfrev_b32_e32 v53, 1
	s_and_saveexec_b64 s[8:9], vcc
	s_cbranch_execz .LBB607_70
; %bb.67:
	s_movk_i32 s10, 0x7f
	v_and_b32_e32 v51, 0x7f, v30
	v_cmp_ne_u32_e32 vcc, s10, v51
	v_mov_b32_e32 v53, 0x7f800001
	s_and_saveexec_b64 s[10:11], vcc
	s_cbranch_execz .LBB607_69
; %bb.68:
	v_and_b32_e32 v53, 7, v30
	v_ffbh_u32_e32 v54, v53
	v_min_u32_e32 v57, 32, v54
	v_subrev_u32_e32 v54, 28, v57
	v_lshlrev_b64 v[54:55], v54, v[30:31]
	v_lshrrev_b32_e32 v56, 3, v51
	v_sub_u32_e32 v30, 29, v57
	v_and_b32_e32 v54, 7, v54
	v_cmp_gt_u32_e32 vcc, 8, v51
	v_cndmask_b32_e32 v30, v56, v30, vcc
	v_cndmask_b32_e32 v51, v53, v54, vcc
	v_lshlrev_b32_e32 v53, 16, v32
	v_bfrev_b32_e32 v54, 60
	v_lshlrev_b32_e32 v51, 20, v51
	v_and_b32_e32 v53, 0x80000000, v53
	v_lshl_add_u32 v30, v30, 23, v54
	v_or3_b32 v53, v53, v30, v51
.LBB607_69:
	s_or_b64 exec, exec, s[10:11]
.LBB607_70:
	s_or_b64 exec, exec, s[8:9]
.LBB607_71:
	s_or_b64 exec, exec, s[2:3]
	s_movk_i32 s2, 0xff
	v_and_b32_sdwa v51, v32, s2 dst_sel:DWORD dst_unused:UNUSED_PAD src0_sel:WORD_1 src1_sel:DWORD
	v_lshrrev_b32_e32 v30, 16, v32
	v_cmp_ne_u16_e32 vcc, 0, v51
	s_and_saveexec_b64 s[2:3], vcc
	s_cbranch_execz .LBB607_77
; %bb.72:
	s_movk_i32 s8, 0x80
	v_cmp_ne_u16_e32 vcc, s8, v51
	v_bfrev_b32_e32 v31, 1
	s_and_saveexec_b64 s[8:9], vcc
	s_cbranch_execz .LBB607_76
; %bb.73:
	v_bfe_u32 v51, v32, 16, 7
	s_movk_i32 s10, 0x7f
	v_cmp_ne_u32_e32 vcc, s10, v51
	v_mov_b32_e32 v31, 0x7f800001
	s_and_saveexec_b64 s[10:11], vcc
	s_cbranch_execz .LBB607_75
; %bb.74:
	v_and_b32_e32 v54, 7, v30
	v_ffbh_u32_e32 v31, v54
	v_min_u32_e32 v56, 32, v31
	v_subrev_u32_e32 v31, 28, v56
	v_lshlrev_b64 v[30:31], v31, v[30:31]
	v_lshrrev_b32_e32 v55, 3, v51
	v_sub_u32_e32 v31, 29, v56
	v_and_b32_e32 v30, 7, v30
	v_cmp_gt_u32_e32 vcc, 8, v51
	v_mov_b32_e32 v51, 24
	v_cndmask_b32_e32 v31, v55, v31, vcc
	v_cndmask_b32_e32 v30, v54, v30, vcc
	v_lshlrev_b32_sdwa v51, v51, v32 dst_sel:DWORD dst_unused:UNUSED_PAD src0_sel:DWORD src1_sel:WORD_1
	v_bfrev_b32_e32 v54, 60
	v_lshlrev_b32_e32 v30, 20, v30
	v_and_b32_e32 v51, 0x80000000, v51
	v_lshl_add_u32 v31, v31, 23, v54
	v_or3_b32 v31, v51, v31, v30
.LBB607_75:
	s_or_b64 exec, exec, s[10:11]
.LBB607_76:
	s_or_b64 exec, exec, s[8:9]
.LBB607_77:
	s_or_b64 exec, exec, s[2:3]
	s_mov_b32 s2, 0xffffff
	v_cmp_lt_u32_e32 vcc, s2, v32
	v_mov_b32_e32 v54, 0
	v_mov_b32_e32 v55, 0
	s_and_saveexec_b64 s[2:3], vcc
	s_cbranch_execz .LBB607_83
; %bb.78:
	v_lshrrev_b32_e32 v30, 24, v32
	s_movk_i32 s8, 0x80
	v_cmp_ne_u32_e32 vcc, s8, v30
	v_bfrev_b32_e32 v55, 1
	s_and_saveexec_b64 s[8:9], vcc
	s_cbranch_execz .LBB607_82
; %bb.79:
	v_bfe_u32 v32, v32, 24, 7
	s_movk_i32 s10, 0x7f
	v_cmp_ne_u32_e32 vcc, s10, v32
	v_mov_b32_e32 v55, 0x7f800001
	s_and_saveexec_b64 s[10:11], vcc
	s_cbranch_execz .LBB607_81
; %bb.80:
	v_and_b32_e32 v51, 7, v30
	v_ffbh_u32_e32 v56, v51
	v_min_u32_e32 v58, 32, v56
	v_subrev_u32_e32 v56, 28, v58
	v_lshlrev_b64 v[56:57], v56, v[30:31]
	v_lshrrev_b32_e32 v55, 3, v32
	v_sub_u32_e32 v57, 29, v58
	v_and_b32_e32 v56, 7, v56
	v_cmp_gt_u32_e32 vcc, 8, v32
	v_cndmask_b32_e32 v32, v55, v57, vcc
	v_cndmask_b32_e32 v51, v51, v56, vcc
	v_lshlrev_b32_e32 v30, 24, v30
	v_bfrev_b32_e32 v55, 60
	v_lshlrev_b32_e32 v51, 20, v51
	v_and_b32_e32 v30, 0x80000000, v30
	v_lshl_add_u32 v32, v32, 23, v55
	v_or3_b32 v55, v30, v32, v51
.LBB607_81:
	s_or_b64 exec, exec, s[10:11]
.LBB607_82:
	s_or_b64 exec, exec, s[8:9]
.LBB607_83:
	s_or_b64 exec, exec, s[2:3]
	v_cmp_ne_u16_sdwa s[8:9], v33, v54 src0_sel:BYTE_0 src1_sel:DWORD
	s_and_saveexec_b64 s[2:3], s[8:9]
	s_cbranch_execz .LBB607_89
; %bb.84:
	s_movk_i32 s8, 0x80
	v_cmp_ne_u16_sdwa s[10:11], v33, s8 src0_sel:BYTE_0 src1_sel:DWORD
	v_bfrev_b32_e32 v54, 1
	s_and_saveexec_b64 s[8:9], s[10:11]
	s_cbranch_execz .LBB607_88
; %bb.85:
	s_movk_i32 s10, 0x7f
	v_and_b32_e32 v30, 0x7f, v33
	v_cmp_ne_u32_e32 vcc, s10, v30
	v_mov_b32_e32 v54, 0x7f800001
	s_and_saveexec_b64 s[10:11], vcc
	s_cbranch_execz .LBB607_87
; %bb.86:
	v_and_b32_e32 v51, 7, v33
	v_ffbh_u32_e32 v56, v51
	v_min_u32_e32 v58, 32, v56
	v_mov_b32_e32 v32, v33
	v_subrev_u32_e32 v56, 28, v58
	v_lshlrev_b64 v[56:57], v56, v[32:33]
	v_lshrrev_b32_e32 v54, 3, v30
	v_sub_u32_e32 v32, 29, v58
	v_and_b32_e32 v56, 7, v56
	v_cmp_gt_u32_e32 vcc, 8, v30
	v_cndmask_b32_e32 v30, v54, v32, vcc
	v_cndmask_b32_e32 v32, v51, v56, vcc
	v_lshlrev_b32_e32 v51, 24, v33
	v_bfrev_b32_e32 v54, 60
	v_lshlrev_b32_e32 v32, 20, v32
	v_and_b32_e32 v51, 0x80000000, v51
	v_lshl_add_u32 v30, v30, 23, v54
	v_or3_b32 v54, v51, v30, v32
.LBB607_87:
	s_or_b64 exec, exec, s[10:11]
.LBB607_88:
	s_or_b64 exec, exec, s[8:9]
.LBB607_89:
	s_or_b64 exec, exec, s[2:3]
	v_lshrrev_b16_e32 v30, 8, v33
	v_cmp_ne_u16_e32 vcc, 0, v30
	v_mov_b32_e32 v32, 0
	v_mov_b32_e32 v56, 0
	s_and_saveexec_b64 s[2:3], vcc
	s_cbranch_execz .LBB607_95
; %bb.90:
	s_movk_i32 s8, 0x80
	v_cmp_ne_u16_e32 vcc, s8, v30
	v_bfrev_b32_e32 v56, 1
	s_and_saveexec_b64 s[8:9], vcc
	s_cbranch_execz .LBB607_94
; %bb.91:
	s_movk_i32 s10, 0x7f
	v_and_b32_e32 v51, 0x7f, v30
	v_cmp_ne_u32_e32 vcc, s10, v51
	v_mov_b32_e32 v56, 0x7f800001
	s_and_saveexec_b64 s[10:11], vcc
	s_cbranch_execz .LBB607_93
; %bb.92:
	v_and_b32_e32 v58, 7, v30
	v_ffbh_u32_e32 v56, v58
	v_min_u32_e32 v60, 32, v56
	v_subrev_u32_e32 v56, 28, v60
	v_lshlrev_b64 v[56:57], v56, v[30:31]
	v_lshrrev_b32_e32 v59, 3, v51
	v_sub_u32_e32 v30, 29, v60
	v_and_b32_e32 v56, 7, v56
	v_cmp_gt_u32_e32 vcc, 8, v51
	v_cndmask_b32_e32 v30, v59, v30, vcc
	v_cndmask_b32_e32 v51, v58, v56, vcc
	v_lshlrev_b32_e32 v56, 16, v33
	v_bfrev_b32_e32 v57, 60
	v_lshlrev_b32_e32 v51, 20, v51
	v_and_b32_e32 v56, 0x80000000, v56
	v_lshl_add_u32 v30, v30, 23, v57
	v_or3_b32 v56, v56, v30, v51
.LBB607_93:
	s_or_b64 exec, exec, s[10:11]
.LBB607_94:
	s_or_b64 exec, exec, s[8:9]
.LBB607_95:
	s_or_b64 exec, exec, s[2:3]
	s_movk_i32 s2, 0xff
	v_and_b32_sdwa v51, v33, s2 dst_sel:DWORD dst_unused:UNUSED_PAD src0_sel:WORD_1 src1_sel:DWORD
	v_lshrrev_b32_e32 v30, 16, v33
	v_cmp_ne_u16_e32 vcc, 0, v51
	s_and_saveexec_b64 s[2:3], vcc
	s_cbranch_execz .LBB607_101
; %bb.96:
	s_movk_i32 s8, 0x80
	v_cmp_ne_u16_e32 vcc, s8, v51
	v_bfrev_b32_e32 v32, 1
	s_and_saveexec_b64 s[8:9], vcc
	s_cbranch_execz .LBB607_100
; %bb.97:
	v_bfe_u32 v51, v33, 16, 7
	s_movk_i32 s10, 0x7f
	v_cmp_ne_u32_e32 vcc, s10, v51
	v_mov_b32_e32 v32, 0x7f800001
	s_and_saveexec_b64 s[10:11], vcc
	s_cbranch_execz .LBB607_99
; %bb.98:
	v_and_b32_e32 v32, 7, v30
	v_ffbh_u32_e32 v58, v32
	v_min_u32_e32 v60, 32, v58
	v_subrev_u32_e32 v58, 28, v60
	v_lshlrev_b64 v[58:59], v58, v[30:31]
	v_lshrrev_b32_e32 v57, 3, v51
	v_sub_u32_e32 v30, 29, v60
	v_and_b32_e32 v58, 7, v58
	v_cmp_gt_u32_e32 vcc, 8, v51
	v_mov_b32_e32 v51, 24
	v_cndmask_b32_e32 v30, v57, v30, vcc
	v_cndmask_b32_e32 v32, v32, v58, vcc
	v_lshlrev_b32_sdwa v51, v51, v33 dst_sel:DWORD dst_unused:UNUSED_PAD src0_sel:DWORD src1_sel:WORD_1
	v_bfrev_b32_e32 v57, 60
	v_lshlrev_b32_e32 v32, 20, v32
	v_and_b32_e32 v51, 0x80000000, v51
	v_lshl_add_u32 v30, v30, 23, v57
	v_or3_b32 v32, v51, v30, v32
.LBB607_99:
	s_or_b64 exec, exec, s[10:11]
.LBB607_100:
	s_or_b64 exec, exec, s[8:9]
.LBB607_101:
	s_or_b64 exec, exec, s[2:3]
	s_mov_b32 s2, 0xffffff
	v_cmp_lt_u32_e32 vcc, s2, v33
	v_mov_b32_e32 v51, 0
	v_mov_b32_e32 v57, 0
	s_and_saveexec_b64 s[2:3], vcc
	s_cbranch_execz .LBB607_107
; %bb.102:
	v_lshrrev_b32_e32 v30, 24, v33
	s_movk_i32 s8, 0x80
	v_cmp_ne_u32_e32 vcc, s8, v30
	v_bfrev_b32_e32 v57, 1
	s_and_saveexec_b64 s[8:9], vcc
	s_cbranch_execz .LBB607_106
; %bb.103:
	v_bfe_u32 v33, v33, 24, 7
	s_movk_i32 s10, 0x7f
	v_cmp_ne_u32_e32 vcc, s10, v33
	v_mov_b32_e32 v57, 0x7f800001
	s_and_saveexec_b64 s[10:11], vcc
	s_cbranch_execz .LBB607_105
; %bb.104:
	v_and_b32_e32 v57, 7, v30
	v_ffbh_u32_e32 v58, v57
	v_min_u32_e32 v61, 32, v58
	v_subrev_u32_e32 v58, 28, v61
	v_lshlrev_b64 v[58:59], v58, v[30:31]
	v_lshrrev_b32_e32 v60, 3, v33
	v_sub_u32_e32 v59, 29, v61
	v_and_b32_e32 v58, 7, v58
	v_cmp_gt_u32_e32 vcc, 8, v33
	v_cndmask_b32_e32 v33, v60, v59, vcc
	v_cndmask_b32_e32 v57, v57, v58, vcc
	v_lshlrev_b32_e32 v30, 24, v30
	v_bfrev_b32_e32 v58, 60
	v_lshlrev_b32_e32 v57, 20, v57
	v_and_b32_e32 v30, 0x80000000, v30
	v_lshl_add_u32 v33, v33, 23, v58
	v_or3_b32 v57, v30, v33, v57
.LBB607_105:
	s_or_b64 exec, exec, s[10:11]
.LBB607_106:
	s_or_b64 exec, exec, s[8:9]
.LBB607_107:
	s_or_b64 exec, exec, s[2:3]
	v_cvt_pkrtz_f16_f32 v30, v52, v53
	v_cvt_pkrtz_f16_f32 v31, v31, v55
	s_waitcnt vmcnt(6)
	v_cmp_ne_u16_sdwa s[8:9], v38, v51 src0_sel:BYTE_0 src1_sel:DWORD
	v_mfma_f32_16x16x16f16 v[42:45], v[30:31], v[18:19], v[42:45]
	v_cvt_pkrtz_f16_f32 v30, v54, v56
	v_cvt_pkrtz_f16_f32 v31, v32, v57
	s_nop 1
	v_mfma_f32_16x16x16f16 v[30:33], v[30:31], v[20:21], v[42:45]
	s_and_saveexec_b64 s[2:3], s[8:9]
	s_cbranch_execz .LBB607_113
; %bb.108:
	s_movk_i32 s8, 0x80
	v_cmp_ne_u16_sdwa s[10:11], v38, s8 src0_sel:BYTE_0 src1_sel:DWORD
	v_bfrev_b32_e32 v51, 1
	s_and_saveexec_b64 s[8:9], s[10:11]
	s_cbranch_execz .LBB607_112
; %bb.109:
	s_movk_i32 s10, 0x7f
	v_and_b32_e32 v42, 0x7f, v38
	v_cmp_ne_u32_e32 vcc, s10, v42
	v_mov_b32_e32 v51, 0x7f800001
	s_and_saveexec_b64 s[10:11], vcc
	s_cbranch_execz .LBB607_111
; %bb.110:
	v_and_b32_e32 v43, 7, v38
	v_ffbh_u32_e32 v44, v43
	v_min_u32_e32 v52, 32, v44
	v_subrev_u32_e32 v44, 28, v52
	v_lshlrev_b64 v[44:45], v44, v[38:39]
	v_lshrrev_b32_e32 v51, 3, v42
	v_sub_u32_e32 v45, 29, v52
	v_and_b32_e32 v44, 7, v44
	v_cmp_gt_u32_e32 vcc, 8, v42
	v_cndmask_b32_e32 v42, v51, v45, vcc
	v_cndmask_b32_e32 v43, v43, v44, vcc
	v_lshlrev_b32_e32 v44, 24, v38
	v_bfrev_b32_e32 v45, 60
	v_lshlrev_b32_e32 v43, 20, v43
	v_and_b32_e32 v44, 0x80000000, v44
	v_lshl_add_u32 v42, v42, 23, v45
	v_or3_b32 v51, v44, v42, v43
.LBB607_111:
	s_or_b64 exec, exec, s[10:11]
.LBB607_112:
	s_or_b64 exec, exec, s[8:9]
.LBB607_113:
	s_or_b64 exec, exec, s[2:3]
	s_nop 3
	v_lshrrev_b16_e32 v42, 8, v38
	v_cmp_ne_u16_e32 vcc, 0, v42
	v_mov_b32_e32 v43, 0
	v_mov_b32_e32 v44, 0
	s_and_saveexec_b64 s[2:3], vcc
	s_cbranch_execz .LBB607_119
; %bb.114:
	s_movk_i32 s8, 0x80
	v_cmp_ne_u16_e32 vcc, s8, v42
	v_bfrev_b32_e32 v44, 1
	s_and_saveexec_b64 s[8:9], vcc
	s_cbranch_execz .LBB607_118
; %bb.115:
	s_movk_i32 s10, 0x7f
	v_and_b32_e32 v45, 0x7f, v42
	v_cmp_ne_u32_e32 vcc, s10, v45
	v_mov_b32_e32 v44, 0x7f800001
	s_and_saveexec_b64 s[10:11], vcc
	s_cbranch_execz .LBB607_117
; %bb.116:
	v_and_b32_e32 v44, 7, v42
	v_ffbh_u32_e32 v52, v44
	v_min_u32_e32 v55, 32, v52
	v_subrev_u32_e32 v52, 28, v55
	v_lshlrev_b64 v[52:53], v52, v[42:43]
	v_lshrrev_b32_e32 v54, 3, v45
	v_sub_u32_e32 v42, 29, v55
	v_and_b32_e32 v52, 7, v52
	v_cmp_gt_u32_e32 vcc, 8, v45
	v_cndmask_b32_e32 v42, v54, v42, vcc
	v_cndmask_b32_e32 v44, v44, v52, vcc
	v_lshlrev_b32_e32 v45, 16, v38
	v_bfrev_b32_e32 v52, 60
	v_lshlrev_b32_e32 v44, 20, v44
	v_and_b32_e32 v45, 0x80000000, v45
	v_lshl_add_u32 v42, v42, 23, v52
	v_or3_b32 v44, v45, v42, v44
.LBB607_117:
	s_or_b64 exec, exec, s[10:11]
.LBB607_118:
	s_or_b64 exec, exec, s[8:9]
.LBB607_119:
	s_or_b64 exec, exec, s[2:3]
	s_movk_i32 s2, 0xff
	v_and_b32_sdwa v45, v38, s2 dst_sel:DWORD dst_unused:UNUSED_PAD src0_sel:WORD_1 src1_sel:DWORD
	v_lshrrev_b32_e32 v42, 16, v38
	v_cmp_ne_u16_e32 vcc, 0, v45
	s_and_saveexec_b64 s[2:3], vcc
	s_cbranch_execz .LBB607_125
; %bb.120:
	s_movk_i32 s8, 0x80
	v_cmp_ne_u16_e32 vcc, s8, v45
	v_bfrev_b32_e32 v43, 1
	s_and_saveexec_b64 s[8:9], vcc
	s_cbranch_execz .LBB607_124
; %bb.121:
	v_bfe_u32 v45, v38, 16, 7
	s_movk_i32 s10, 0x7f
	v_cmp_ne_u32_e32 vcc, s10, v45
	v_mov_b32_e32 v43, 0x7f800001
	s_and_saveexec_b64 s[10:11], vcc
	s_cbranch_execz .LBB607_123
; %bb.122:
	v_and_b32_e32 v52, 7, v42
	v_ffbh_u32_e32 v43, v52
	v_min_u32_e32 v54, 32, v43
	v_subrev_u32_e32 v43, 28, v54
	v_lshlrev_b64 v[42:43], v43, v[42:43]
	v_lshrrev_b32_e32 v53, 3, v45
	v_sub_u32_e32 v43, 29, v54
	v_and_b32_e32 v42, 7, v42
	v_cmp_gt_u32_e32 vcc, 8, v45
	v_mov_b32_e32 v45, 24
	v_cndmask_b32_e32 v43, v53, v43, vcc
	v_cndmask_b32_e32 v42, v52, v42, vcc
	v_lshlrev_b32_sdwa v45, v45, v38 dst_sel:DWORD dst_unused:UNUSED_PAD src0_sel:DWORD src1_sel:WORD_1
	v_bfrev_b32_e32 v52, 60
	v_lshlrev_b32_e32 v42, 20, v42
	v_and_b32_e32 v45, 0x80000000, v45
	v_lshl_add_u32 v43, v43, 23, v52
	v_or3_b32 v43, v45, v43, v42
.LBB607_123:
	s_or_b64 exec, exec, s[10:11]
.LBB607_124:
	s_or_b64 exec, exec, s[8:9]
.LBB607_125:
	s_or_b64 exec, exec, s[2:3]
	s_mov_b32 s2, 0xffffff
	v_cmp_lt_u32_e32 vcc, s2, v38
	v_mov_b32_e32 v45, 0
	v_mov_b32_e32 v53, 0
	s_and_saveexec_b64 s[2:3], vcc
	s_cbranch_execz .LBB607_131
; %bb.126:
	v_lshrrev_b32_e32 v42, 24, v38
	s_movk_i32 s8, 0x80
	v_cmp_ne_u32_e32 vcc, s8, v42
	v_bfrev_b32_e32 v53, 1
	s_and_saveexec_b64 s[8:9], vcc
	s_cbranch_execz .LBB607_130
; %bb.127:
	v_bfe_u32 v38, v38, 24, 7
	s_movk_i32 s10, 0x7f
	v_cmp_ne_u32_e32 vcc, s10, v38
	v_mov_b32_e32 v53, 0x7f800001
	s_and_saveexec_b64 s[10:11], vcc
	s_cbranch_execz .LBB607_129
; %bb.128:
	v_and_b32_e32 v54, 7, v42
	v_ffbh_u32_e32 v52, v54
	v_min_u32_e32 v56, 32, v52
	v_subrev_u32_e32 v52, 28, v56
	v_lshlrev_b64 v[52:53], v52, v[42:43]
	v_lshrrev_b32_e32 v55, 3, v38
	v_sub_u32_e32 v53, 29, v56
	v_and_b32_e32 v52, 7, v52
	v_cmp_gt_u32_e32 vcc, 8, v38
	v_cndmask_b32_e32 v38, v55, v53, vcc
	v_cndmask_b32_e32 v52, v54, v52, vcc
	v_lshlrev_b32_e32 v42, 24, v42
	v_bfrev_b32_e32 v53, 60
	v_lshlrev_b32_e32 v52, 20, v52
	v_and_b32_e32 v42, 0x80000000, v42
	v_lshl_add_u32 v38, v38, 23, v53
	v_or3_b32 v53, v42, v38, v52
.LBB607_129:
	s_or_b64 exec, exec, s[10:11]
.LBB607_130:
	s_or_b64 exec, exec, s[8:9]
.LBB607_131:
	s_or_b64 exec, exec, s[2:3]
	v_cmp_ne_u16_sdwa s[8:9], v39, v45 src0_sel:BYTE_0 src1_sel:DWORD
	s_and_saveexec_b64 s[2:3], s[8:9]
	s_cbranch_execz .LBB607_137
; %bb.132:
	s_movk_i32 s8, 0x80
	v_cmp_ne_u16_sdwa s[10:11], v39, s8 src0_sel:BYTE_0 src1_sel:DWORD
	v_bfrev_b32_e32 v45, 1
	s_and_saveexec_b64 s[8:9], s[10:11]
	s_cbranch_execz .LBB607_136
; %bb.133:
	s_movk_i32 s10, 0x7f
	v_and_b32_e32 v38, 0x7f, v39
	v_cmp_ne_u32_e32 vcc, s10, v38
	v_mov_b32_e32 v45, 0x7f800001
	s_and_saveexec_b64 s[10:11], vcc
	s_cbranch_execz .LBB607_135
; %bb.134:
	v_and_b32_e32 v45, 7, v39
	v_ffbh_u32_e32 v54, v45
	v_min_u32_e32 v56, 32, v54
	v_mov_b32_e32 v42, v39
	v_subrev_u32_e32 v54, 28, v56
	v_lshlrev_b64 v[54:55], v54, v[42:43]
	v_lshrrev_b32_e32 v52, 3, v38
	v_sub_u32_e32 v42, 29, v56
	v_and_b32_e32 v54, 7, v54
	v_cmp_gt_u32_e32 vcc, 8, v38
	v_cndmask_b32_e32 v38, v52, v42, vcc
	v_cndmask_b32_e32 v42, v45, v54, vcc
	v_lshlrev_b32_e32 v45, 24, v39
	v_bfrev_b32_e32 v52, 60
	v_lshlrev_b32_e32 v42, 20, v42
	v_and_b32_e32 v45, 0x80000000, v45
	v_lshl_add_u32 v38, v38, 23, v52
	v_or3_b32 v45, v45, v38, v42
.LBB607_135:
	s_or_b64 exec, exec, s[10:11]
.LBB607_136:
	s_or_b64 exec, exec, s[8:9]
.LBB607_137:
	s_or_b64 exec, exec, s[2:3]
	v_lshrrev_b16_e32 v38, 8, v39
	v_cmp_ne_u16_e32 vcc, 0, v38
	v_mov_b32_e32 v42, 0
	v_mov_b32_e32 v54, 0
	s_and_saveexec_b64 s[2:3], vcc
	s_cbranch_execz .LBB607_143
; %bb.138:
	s_movk_i32 s8, 0x80
	v_cmp_ne_u16_e32 vcc, s8, v38
	v_bfrev_b32_e32 v54, 1
	s_and_saveexec_b64 s[8:9], vcc
	s_cbranch_execz .LBB607_142
; %bb.139:
	s_movk_i32 s10, 0x7f
	v_and_b32_e32 v52, 0x7f, v38
	v_cmp_ne_u32_e32 vcc, s10, v52
	v_mov_b32_e32 v54, 0x7f800001
	s_and_saveexec_b64 s[10:11], vcc
	s_cbranch_execz .LBB607_141
; %bb.140:
	v_and_b32_e32 v56, 7, v38
	v_ffbh_u32_e32 v54, v56
	v_min_u32_e32 v58, 32, v54
	v_subrev_u32_e32 v54, 28, v58
	v_lshlrev_b64 v[54:55], v54, v[38:39]
	v_lshrrev_b32_e32 v57, 3, v52
	v_sub_u32_e32 v38, 29, v58
	v_and_b32_e32 v54, 7, v54
	v_cmp_gt_u32_e32 vcc, 8, v52
	v_cndmask_b32_e32 v38, v57, v38, vcc
	v_cndmask_b32_e32 v52, v56, v54, vcc
	v_lshlrev_b32_e32 v54, 16, v39
	v_bfrev_b32_e32 v55, 60
	v_lshlrev_b32_e32 v52, 20, v52
	v_and_b32_e32 v54, 0x80000000, v54
	v_lshl_add_u32 v38, v38, 23, v55
	v_or3_b32 v54, v54, v38, v52
.LBB607_141:
	s_or_b64 exec, exec, s[10:11]
.LBB607_142:
	s_or_b64 exec, exec, s[8:9]
.LBB607_143:
	s_or_b64 exec, exec, s[2:3]
	s_movk_i32 s2, 0xff
	v_and_b32_sdwa v52, v39, s2 dst_sel:DWORD dst_unused:UNUSED_PAD src0_sel:WORD_1 src1_sel:DWORD
	v_lshrrev_b32_e32 v38, 16, v39
	v_cmp_ne_u16_e32 vcc, 0, v52
	s_and_saveexec_b64 s[2:3], vcc
	s_cbranch_execz .LBB607_149
; %bb.144:
	s_movk_i32 s8, 0x80
	v_cmp_ne_u16_e32 vcc, s8, v52
	v_bfrev_b32_e32 v42, 1
	s_and_saveexec_b64 s[8:9], vcc
	s_cbranch_execz .LBB607_148
; %bb.145:
	v_bfe_u32 v52, v39, 16, 7
	s_movk_i32 s10, 0x7f
	v_cmp_ne_u32_e32 vcc, s10, v52
	v_mov_b32_e32 v42, 0x7f800001
	s_and_saveexec_b64 s[10:11], vcc
	s_cbranch_execz .LBB607_147
; %bb.146:
	v_and_b32_e32 v42, 7, v38
	v_ffbh_u32_e32 v56, v42
	v_min_u32_e32 v58, 32, v56
	v_subrev_u32_e32 v56, 28, v58
	v_lshlrev_b64 v[56:57], v56, v[38:39]
	v_lshrrev_b32_e32 v55, 3, v52
	v_sub_u32_e32 v38, 29, v58
	v_and_b32_e32 v56, 7, v56
	v_cmp_gt_u32_e32 vcc, 8, v52
	v_mov_b32_e32 v52, 24
	v_cndmask_b32_e32 v38, v55, v38, vcc
	v_cndmask_b32_e32 v42, v42, v56, vcc
	v_lshlrev_b32_sdwa v52, v52, v39 dst_sel:DWORD dst_unused:UNUSED_PAD src0_sel:DWORD src1_sel:WORD_1
	v_bfrev_b32_e32 v55, 60
	v_lshlrev_b32_e32 v42, 20, v42
	v_and_b32_e32 v52, 0x80000000, v52
	v_lshl_add_u32 v38, v38, 23, v55
	v_or3_b32 v42, v52, v38, v42
.LBB607_147:
	s_or_b64 exec, exec, s[10:11]
.LBB607_148:
	s_or_b64 exec, exec, s[8:9]
.LBB607_149:
	s_or_b64 exec, exec, s[2:3]
	s_mov_b32 s2, 0xffffff
	v_cmp_lt_u32_e32 vcc, s2, v39
	v_mov_b32_e32 v52, 0
	v_mov_b32_e32 v55, 0
	s_and_saveexec_b64 s[2:3], vcc
	s_cbranch_execz .LBB607_155
; %bb.150:
	v_lshrrev_b32_e32 v38, 24, v39
	s_movk_i32 s8, 0x80
	v_cmp_ne_u32_e32 vcc, s8, v38
	v_bfrev_b32_e32 v55, 1
	s_and_saveexec_b64 s[8:9], vcc
	s_cbranch_execz .LBB607_154
; %bb.151:
	v_bfe_u32 v39, v39, 24, 7
	s_movk_i32 s10, 0x7f
	v_cmp_ne_u32_e32 vcc, s10, v39
	v_mov_b32_e32 v55, 0x7f800001
	s_and_saveexec_b64 s[10:11], vcc
	s_cbranch_execz .LBB607_153
; %bb.152:
	v_and_b32_e32 v55, 7, v38
	v_ffbh_u32_e32 v56, v55
	v_min_u32_e32 v59, 32, v56
	v_subrev_u32_e32 v56, 28, v59
	v_lshlrev_b64 v[56:57], v56, v[38:39]
	v_lshrrev_b32_e32 v58, 3, v39
	v_sub_u32_e32 v57, 29, v59
	v_and_b32_e32 v56, 7, v56
	v_cmp_gt_u32_e32 vcc, 8, v39
	v_cndmask_b32_e32 v39, v58, v57, vcc
	v_cndmask_b32_e32 v55, v55, v56, vcc
	v_lshlrev_b32_e32 v38, 24, v38
	v_bfrev_b32_e32 v56, 60
	v_lshlrev_b32_e32 v55, 20, v55
	v_and_b32_e32 v38, 0x80000000, v38
	v_lshl_add_u32 v39, v39, 23, v56
	v_or3_b32 v55, v38, v39, v55
.LBB607_153:
	s_or_b64 exec, exec, s[10:11]
.LBB607_154:
	s_or_b64 exec, exec, s[8:9]
.LBB607_155:
	s_or_b64 exec, exec, s[2:3]
	v_cvt_pkrtz_f16_f32 v38, v51, v44
	v_cvt_pkrtz_f16_f32 v39, v43, v53
	v_cmp_ne_u16_sdwa s[8:9], v40, v52 src0_sel:BYTE_0 src1_sel:DWORD
	s_nop 0
	v_mfma_f32_16x16x16f16 v[56:59], v[38:39], v[26:27], 0
	v_cvt_pkrtz_f16_f32 v38, v45, v54
	v_cvt_pkrtz_f16_f32 v39, v42, v55
	s_nop 1
	v_mfma_f32_16x16x16f16 v[42:45], v[38:39], v[28:29], v[56:59]
	s_and_saveexec_b64 s[2:3], s[8:9]
	s_cbranch_execz .LBB607_161
; %bb.156:
	s_movk_i32 s8, 0x80
	v_cmp_ne_u16_sdwa s[10:11], v40, s8 src0_sel:BYTE_0 src1_sel:DWORD
	v_bfrev_b32_e32 v52, 1
	s_and_saveexec_b64 s[8:9], s[10:11]
	s_cbranch_execz .LBB607_160
; %bb.157:
	s_movk_i32 s10, 0x7f
	v_and_b32_e32 v38, 0x7f, v40
	v_cmp_ne_u32_e32 vcc, s10, v38
	v_mov_b32_e32 v52, 0x7f800001
	s_and_saveexec_b64 s[10:11], vcc
	s_cbranch_execz .LBB607_159
; %bb.158:
	v_and_b32_e32 v39, 7, v40
	v_ffbh_u32_e32 v52, v39
	v_min_u32_e32 v54, 32, v52
	v_subrev_u32_e32 v52, 28, v54
	v_lshlrev_b64 v[52:53], v52, v[40:41]
	v_lshrrev_b32_e32 v51, 3, v38
	v_sub_u32_e32 v53, 29, v54
	v_and_b32_e32 v52, 7, v52
	v_cmp_gt_u32_e32 vcc, 8, v38
	v_cndmask_b32_e32 v38, v51, v53, vcc
	v_cndmask_b32_e32 v39, v39, v52, vcc
	v_lshlrev_b32_e32 v51, 24, v40
	v_bfrev_b32_e32 v52, 60
	v_lshlrev_b32_e32 v39, 20, v39
	v_and_b32_e32 v51, 0x80000000, v51
	v_lshl_add_u32 v38, v38, 23, v52
	v_or3_b32 v52, v51, v38, v39
.LBB607_159:
	s_or_b64 exec, exec, s[10:11]
.LBB607_160:
	s_or_b64 exec, exec, s[8:9]
.LBB607_161:
	s_or_b64 exec, exec, s[2:3]
	v_lshrrev_b16_e32 v38, 8, v40
	v_cmp_ne_u16_e32 vcc, 0, v38
	v_mov_b32_e32 v39, 0
	v_mov_b32_e32 v53, 0
	s_and_saveexec_b64 s[2:3], vcc
	s_cbranch_execz .LBB607_167
; %bb.162:
	s_movk_i32 s8, 0x80
	v_cmp_ne_u16_e32 vcc, s8, v38
	v_bfrev_b32_e32 v53, 1
	s_and_saveexec_b64 s[8:9], vcc
	s_cbranch_execz .LBB607_166
; %bb.163:
	s_movk_i32 s10, 0x7f
	v_and_b32_e32 v51, 0x7f, v38
	v_cmp_ne_u32_e32 vcc, s10, v51
	v_mov_b32_e32 v53, 0x7f800001
	s_and_saveexec_b64 s[10:11], vcc
	s_cbranch_execz .LBB607_165
; %bb.164:
	v_and_b32_e32 v53, 7, v38
	v_ffbh_u32_e32 v54, v53
	v_min_u32_e32 v57, 32, v54
	v_subrev_u32_e32 v54, 28, v57
	v_lshlrev_b64 v[54:55], v54, v[38:39]
	v_lshrrev_b32_e32 v56, 3, v51
	v_sub_u32_e32 v38, 29, v57
	v_and_b32_e32 v54, 7, v54
	v_cmp_gt_u32_e32 vcc, 8, v51
	v_cndmask_b32_e32 v38, v56, v38, vcc
	v_cndmask_b32_e32 v51, v53, v54, vcc
	v_lshlrev_b32_e32 v53, 16, v40
	v_bfrev_b32_e32 v54, 60
	v_lshlrev_b32_e32 v51, 20, v51
	v_and_b32_e32 v53, 0x80000000, v53
	v_lshl_add_u32 v38, v38, 23, v54
	v_or3_b32 v53, v53, v38, v51
.LBB607_165:
	s_or_b64 exec, exec, s[10:11]
.LBB607_166:
	s_or_b64 exec, exec, s[8:9]
.LBB607_167:
	s_or_b64 exec, exec, s[2:3]
	s_movk_i32 s2, 0xff
	v_and_b32_sdwa v51, v40, s2 dst_sel:DWORD dst_unused:UNUSED_PAD src0_sel:WORD_1 src1_sel:DWORD
	v_lshrrev_b32_e32 v38, 16, v40
	v_cmp_ne_u16_e32 vcc, 0, v51
	s_and_saveexec_b64 s[2:3], vcc
	s_cbranch_execz .LBB607_173
; %bb.168:
	s_movk_i32 s8, 0x80
	v_cmp_ne_u16_e32 vcc, s8, v51
	v_bfrev_b32_e32 v39, 1
	s_and_saveexec_b64 s[8:9], vcc
	s_cbranch_execz .LBB607_172
; %bb.169:
	v_bfe_u32 v51, v40, 16, 7
	s_movk_i32 s10, 0x7f
	v_cmp_ne_u32_e32 vcc, s10, v51
	v_mov_b32_e32 v39, 0x7f800001
	s_and_saveexec_b64 s[10:11], vcc
	s_cbranch_execz .LBB607_171
; %bb.170:
	v_and_b32_e32 v54, 7, v38
	v_ffbh_u32_e32 v39, v54
	v_min_u32_e32 v56, 32, v39
	v_subrev_u32_e32 v39, 28, v56
	v_lshlrev_b64 v[38:39], v39, v[38:39]
	v_lshrrev_b32_e32 v55, 3, v51
	v_sub_u32_e32 v39, 29, v56
	v_and_b32_e32 v38, 7, v38
	v_cmp_gt_u32_e32 vcc, 8, v51
	v_mov_b32_e32 v51, 24
	v_cndmask_b32_e32 v39, v55, v39, vcc
	v_cndmask_b32_e32 v38, v54, v38, vcc
	v_lshlrev_b32_sdwa v51, v51, v40 dst_sel:DWORD dst_unused:UNUSED_PAD src0_sel:DWORD src1_sel:WORD_1
	v_bfrev_b32_e32 v54, 60
	v_lshlrev_b32_e32 v38, 20, v38
	v_and_b32_e32 v51, 0x80000000, v51
	v_lshl_add_u32 v39, v39, 23, v54
	v_or3_b32 v39, v51, v39, v38
.LBB607_171:
	s_or_b64 exec, exec, s[10:11]
.LBB607_172:
	s_or_b64 exec, exec, s[8:9]
.LBB607_173:
	s_or_b64 exec, exec, s[2:3]
	s_mov_b32 s2, 0xffffff
	v_cmp_lt_u32_e32 vcc, s2, v40
	v_mov_b32_e32 v54, 0
	v_mov_b32_e32 v55, 0
	s_and_saveexec_b64 s[2:3], vcc
	s_cbranch_execz .LBB607_179
; %bb.174:
	v_lshrrev_b32_e32 v38, 24, v40
	s_movk_i32 s8, 0x80
	v_cmp_ne_u32_e32 vcc, s8, v38
	v_bfrev_b32_e32 v55, 1
	s_and_saveexec_b64 s[8:9], vcc
	s_cbranch_execz .LBB607_178
; %bb.175:
	v_bfe_u32 v40, v40, 24, 7
	s_movk_i32 s10, 0x7f
	v_cmp_ne_u32_e32 vcc, s10, v40
	v_mov_b32_e32 v55, 0x7f800001
	s_and_saveexec_b64 s[10:11], vcc
	s_cbranch_execz .LBB607_177
; %bb.176:
	v_and_b32_e32 v51, 7, v38
	v_ffbh_u32_e32 v56, v51
	v_min_u32_e32 v58, 32, v56
	v_subrev_u32_e32 v56, 28, v58
	v_lshlrev_b64 v[56:57], v56, v[38:39]
	v_lshrrev_b32_e32 v55, 3, v40
	v_sub_u32_e32 v57, 29, v58
	v_and_b32_e32 v56, 7, v56
	v_cmp_gt_u32_e32 vcc, 8, v40
	v_cndmask_b32_e32 v40, v55, v57, vcc
	v_cndmask_b32_e32 v51, v51, v56, vcc
	v_lshlrev_b32_e32 v38, 24, v38
	v_bfrev_b32_e32 v55, 60
	v_lshlrev_b32_e32 v51, 20, v51
	v_and_b32_e32 v38, 0x80000000, v38
	v_lshl_add_u32 v40, v40, 23, v55
	v_or3_b32 v55, v38, v40, v51
.LBB607_177:
	s_or_b64 exec, exec, s[10:11]
.LBB607_178:
	s_or_b64 exec, exec, s[8:9]
.LBB607_179:
	s_or_b64 exec, exec, s[2:3]
	v_cmp_ne_u16_sdwa s[8:9], v41, v54 src0_sel:BYTE_0 src1_sel:DWORD
	s_and_saveexec_b64 s[2:3], s[8:9]
	s_cbranch_execz .LBB607_185
; %bb.180:
	s_movk_i32 s8, 0x80
	v_cmp_ne_u16_sdwa s[10:11], v41, s8 src0_sel:BYTE_0 src1_sel:DWORD
	v_bfrev_b32_e32 v54, 1
	s_and_saveexec_b64 s[8:9], s[10:11]
	s_cbranch_execz .LBB607_184
; %bb.181:
	s_movk_i32 s10, 0x7f
	v_and_b32_e32 v38, 0x7f, v41
	v_cmp_ne_u32_e32 vcc, s10, v38
	v_mov_b32_e32 v54, 0x7f800001
	s_and_saveexec_b64 s[10:11], vcc
	s_cbranch_execz .LBB607_183
; %bb.182:
	v_and_b32_e32 v51, 7, v41
	v_ffbh_u32_e32 v56, v51
	v_min_u32_e32 v58, 32, v56
	v_mov_b32_e32 v40, v41
	v_subrev_u32_e32 v56, 28, v58
	v_lshlrev_b64 v[56:57], v56, v[40:41]
	v_lshrrev_b32_e32 v54, 3, v38
	v_sub_u32_e32 v40, 29, v58
	v_and_b32_e32 v56, 7, v56
	v_cmp_gt_u32_e32 vcc, 8, v38
	v_cndmask_b32_e32 v38, v54, v40, vcc
	v_cndmask_b32_e32 v40, v51, v56, vcc
	v_lshlrev_b32_e32 v51, 24, v41
	v_bfrev_b32_e32 v54, 60
	v_lshlrev_b32_e32 v40, 20, v40
	v_and_b32_e32 v51, 0x80000000, v51
	v_lshl_add_u32 v38, v38, 23, v54
	v_or3_b32 v54, v51, v38, v40
.LBB607_183:
	s_or_b64 exec, exec, s[10:11]
.LBB607_184:
	s_or_b64 exec, exec, s[8:9]
.LBB607_185:
	s_or_b64 exec, exec, s[2:3]
	v_lshrrev_b16_e32 v38, 8, v41
	v_cmp_ne_u16_e32 vcc, 0, v38
	v_mov_b32_e32 v40, 0
	v_mov_b32_e32 v56, 0
	s_and_saveexec_b64 s[2:3], vcc
	s_cbranch_execz .LBB607_191
; %bb.186:
	s_movk_i32 s8, 0x80
	v_cmp_ne_u16_e32 vcc, s8, v38
	v_bfrev_b32_e32 v56, 1
	s_and_saveexec_b64 s[8:9], vcc
	s_cbranch_execz .LBB607_190
; %bb.187:
	s_movk_i32 s10, 0x7f
	v_and_b32_e32 v51, 0x7f, v38
	v_cmp_ne_u32_e32 vcc, s10, v51
	v_mov_b32_e32 v56, 0x7f800001
	s_and_saveexec_b64 s[10:11], vcc
	s_cbranch_execz .LBB607_189
; %bb.188:
	v_and_b32_e32 v58, 7, v38
	v_ffbh_u32_e32 v56, v58
	v_min_u32_e32 v60, 32, v56
	v_subrev_u32_e32 v56, 28, v60
	v_lshlrev_b64 v[56:57], v56, v[38:39]
	v_lshrrev_b32_e32 v59, 3, v51
	v_sub_u32_e32 v38, 29, v60
	v_and_b32_e32 v56, 7, v56
	v_cmp_gt_u32_e32 vcc, 8, v51
	v_cndmask_b32_e32 v38, v59, v38, vcc
	v_cndmask_b32_e32 v51, v58, v56, vcc
	v_lshlrev_b32_e32 v56, 16, v41
	v_bfrev_b32_e32 v57, 60
	v_lshlrev_b32_e32 v51, 20, v51
	v_and_b32_e32 v56, 0x80000000, v56
	v_lshl_add_u32 v38, v38, 23, v57
	v_or3_b32 v56, v56, v38, v51
.LBB607_189:
	s_or_b64 exec, exec, s[10:11]
.LBB607_190:
	s_or_b64 exec, exec, s[8:9]
.LBB607_191:
	s_or_b64 exec, exec, s[2:3]
	s_movk_i32 s2, 0xff
	v_and_b32_sdwa v51, v41, s2 dst_sel:DWORD dst_unused:UNUSED_PAD src0_sel:WORD_1 src1_sel:DWORD
	v_lshrrev_b32_e32 v38, 16, v41
	v_cmp_ne_u16_e32 vcc, 0, v51
	s_and_saveexec_b64 s[2:3], vcc
	s_cbranch_execz .LBB607_197
; %bb.192:
	s_movk_i32 s8, 0x80
	v_cmp_ne_u16_e32 vcc, s8, v51
	v_bfrev_b32_e32 v40, 1
	s_and_saveexec_b64 s[8:9], vcc
	s_cbranch_execz .LBB607_196
; %bb.193:
	v_bfe_u32 v51, v41, 16, 7
	s_movk_i32 s10, 0x7f
	v_cmp_ne_u32_e32 vcc, s10, v51
	v_mov_b32_e32 v40, 0x7f800001
	s_and_saveexec_b64 s[10:11], vcc
	s_cbranch_execz .LBB607_195
; %bb.194:
	v_and_b32_e32 v40, 7, v38
	v_ffbh_u32_e32 v58, v40
	v_min_u32_e32 v60, 32, v58
	v_subrev_u32_e32 v58, 28, v60
	v_lshlrev_b64 v[58:59], v58, v[38:39]
	v_lshrrev_b32_e32 v57, 3, v51
	v_sub_u32_e32 v38, 29, v60
	v_and_b32_e32 v58, 7, v58
	v_cmp_gt_u32_e32 vcc, 8, v51
	v_mov_b32_e32 v51, 24
	v_cndmask_b32_e32 v38, v57, v38, vcc
	v_cndmask_b32_e32 v40, v40, v58, vcc
	v_lshlrev_b32_sdwa v51, v51, v41 dst_sel:DWORD dst_unused:UNUSED_PAD src0_sel:DWORD src1_sel:WORD_1
	v_bfrev_b32_e32 v57, 60
	v_lshlrev_b32_e32 v40, 20, v40
	v_and_b32_e32 v51, 0x80000000, v51
	v_lshl_add_u32 v38, v38, 23, v57
	v_or3_b32 v40, v51, v38, v40
.LBB607_195:
	s_or_b64 exec, exec, s[10:11]
.LBB607_196:
	s_or_b64 exec, exec, s[8:9]
.LBB607_197:
	s_or_b64 exec, exec, s[2:3]
	s_mov_b32 s2, 0xffffff
	v_cmp_lt_u32_e32 vcc, s2, v41
	v_mov_b32_e32 v51, 0
	v_mov_b32_e32 v57, 0
	s_and_saveexec_b64 s[2:3], vcc
	s_cbranch_execz .LBB607_203
; %bb.198:
	v_lshrrev_b32_e32 v38, 24, v41
	s_movk_i32 s8, 0x80
	v_cmp_ne_u32_e32 vcc, s8, v38
	v_bfrev_b32_e32 v57, 1
	s_and_saveexec_b64 s[8:9], vcc
	s_cbranch_execz .LBB607_202
; %bb.199:
	v_bfe_u32 v41, v41, 24, 7
	s_movk_i32 s10, 0x7f
	v_cmp_ne_u32_e32 vcc, s10, v41
	v_mov_b32_e32 v57, 0x7f800001
	s_and_saveexec_b64 s[10:11], vcc
	s_cbranch_execz .LBB607_201
; %bb.200:
	v_and_b32_e32 v57, 7, v38
	v_ffbh_u32_e32 v58, v57
	v_min_u32_e32 v61, 32, v58
	v_subrev_u32_e32 v58, 28, v61
	v_lshlrev_b64 v[58:59], v58, v[38:39]
	v_lshrrev_b32_e32 v60, 3, v41
	v_sub_u32_e32 v59, 29, v61
	v_and_b32_e32 v58, 7, v58
	v_cmp_gt_u32_e32 vcc, 8, v41
	v_cndmask_b32_e32 v41, v60, v59, vcc
	v_cndmask_b32_e32 v57, v57, v58, vcc
	v_lshlrev_b32_e32 v38, 24, v38
	v_bfrev_b32_e32 v58, 60
	v_lshlrev_b32_e32 v57, 20, v57
	v_and_b32_e32 v38, 0x80000000, v38
	v_lshl_add_u32 v41, v41, 23, v58
	v_or3_b32 v57, v38, v41, v57
.LBB607_201:
	s_or_b64 exec, exec, s[10:11]
.LBB607_202:
	s_or_b64 exec, exec, s[8:9]
.LBB607_203:
	s_or_b64 exec, exec, s[2:3]
	v_cvt_pkrtz_f16_f32 v38, v52, v53
	v_cvt_pkrtz_f16_f32 v39, v39, v55
	s_waitcnt vmcnt(5)
	v_cmp_ne_u16_sdwa s[8:9], v34, v51 src0_sel:BYTE_0 src1_sel:DWORD
	v_mfma_f32_16x16x16f16 v[42:45], v[38:39], v[18:19], v[42:45]
	v_cvt_pkrtz_f16_f32 v38, v54, v56
	v_cvt_pkrtz_f16_f32 v39, v40, v57
	s_nop 1
	v_mfma_f32_16x16x16f16 v[38:41], v[38:39], v[20:21], v[42:45]
	s_and_saveexec_b64 s[2:3], s[8:9]
	s_cbranch_execz .LBB607_209
; %bb.204:
	s_movk_i32 s8, 0x80
	v_cmp_ne_u16_sdwa s[10:11], v34, s8 src0_sel:BYTE_0 src1_sel:DWORD
	v_bfrev_b32_e32 v51, 1
	s_and_saveexec_b64 s[8:9], s[10:11]
	s_cbranch_execz .LBB607_208
; %bb.205:
	s_movk_i32 s10, 0x7f
	v_and_b32_e32 v42, 0x7f, v34
	v_cmp_ne_u32_e32 vcc, s10, v42
	v_mov_b32_e32 v51, 0x7f800001
	s_and_saveexec_b64 s[10:11], vcc
	s_cbranch_execz .LBB607_207
; %bb.206:
	v_and_b32_e32 v43, 7, v34
	v_ffbh_u32_e32 v44, v43
	v_min_u32_e32 v52, 32, v44
	v_subrev_u32_e32 v44, 28, v52
	v_lshlrev_b64 v[44:45], v44, v[34:35]
	v_lshrrev_b32_e32 v51, 3, v42
	v_sub_u32_e32 v45, 29, v52
	v_and_b32_e32 v44, 7, v44
	v_cmp_gt_u32_e32 vcc, 8, v42
	v_cndmask_b32_e32 v42, v51, v45, vcc
	v_cndmask_b32_e32 v43, v43, v44, vcc
	v_lshlrev_b32_e32 v44, 24, v34
	v_bfrev_b32_e32 v45, 60
	v_lshlrev_b32_e32 v43, 20, v43
	v_and_b32_e32 v44, 0x80000000, v44
	v_lshl_add_u32 v42, v42, 23, v45
	v_or3_b32 v51, v44, v42, v43
.LBB607_207:
	s_or_b64 exec, exec, s[10:11]
.LBB607_208:
	s_or_b64 exec, exec, s[8:9]
.LBB607_209:
	s_or_b64 exec, exec, s[2:3]
	s_nop 3
	v_lshrrev_b16_e32 v42, 8, v34
	v_cmp_ne_u16_e32 vcc, 0, v42
	v_mov_b32_e32 v43, 0
	v_mov_b32_e32 v44, 0
	s_and_saveexec_b64 s[2:3], vcc
	s_cbranch_execz .LBB607_215
; %bb.210:
	s_movk_i32 s8, 0x80
	v_cmp_ne_u16_e32 vcc, s8, v42
	v_bfrev_b32_e32 v44, 1
	s_and_saveexec_b64 s[8:9], vcc
	s_cbranch_execz .LBB607_214
; %bb.211:
	s_movk_i32 s10, 0x7f
	v_and_b32_e32 v45, 0x7f, v42
	v_cmp_ne_u32_e32 vcc, s10, v45
	v_mov_b32_e32 v44, 0x7f800001
	s_and_saveexec_b64 s[10:11], vcc
	s_cbranch_execz .LBB607_213
; %bb.212:
	v_and_b32_e32 v44, 7, v42
	v_ffbh_u32_e32 v52, v44
	v_min_u32_e32 v55, 32, v52
	v_subrev_u32_e32 v52, 28, v55
	v_lshlrev_b64 v[52:53], v52, v[42:43]
	v_lshrrev_b32_e32 v54, 3, v45
	v_sub_u32_e32 v42, 29, v55
	v_and_b32_e32 v52, 7, v52
	v_cmp_gt_u32_e32 vcc, 8, v45
	v_cndmask_b32_e32 v42, v54, v42, vcc
	v_cndmask_b32_e32 v44, v44, v52, vcc
	v_lshlrev_b32_e32 v45, 16, v34
	v_bfrev_b32_e32 v52, 60
	v_lshlrev_b32_e32 v44, 20, v44
	v_and_b32_e32 v45, 0x80000000, v45
	v_lshl_add_u32 v42, v42, 23, v52
	v_or3_b32 v44, v45, v42, v44
.LBB607_213:
	s_or_b64 exec, exec, s[10:11]
.LBB607_214:
	s_or_b64 exec, exec, s[8:9]
.LBB607_215:
	s_or_b64 exec, exec, s[2:3]
	s_movk_i32 s2, 0xff
	v_and_b32_sdwa v45, v34, s2 dst_sel:DWORD dst_unused:UNUSED_PAD src0_sel:WORD_1 src1_sel:DWORD
	v_lshrrev_b32_e32 v42, 16, v34
	v_cmp_ne_u16_e32 vcc, 0, v45
	s_and_saveexec_b64 s[2:3], vcc
	s_cbranch_execz .LBB607_221
; %bb.216:
	s_movk_i32 s8, 0x80
	v_cmp_ne_u16_e32 vcc, s8, v45
	v_bfrev_b32_e32 v43, 1
	s_and_saveexec_b64 s[8:9], vcc
	s_cbranch_execz .LBB607_220
; %bb.217:
	v_bfe_u32 v45, v34, 16, 7
	s_movk_i32 s10, 0x7f
	v_cmp_ne_u32_e32 vcc, s10, v45
	v_mov_b32_e32 v43, 0x7f800001
	s_and_saveexec_b64 s[10:11], vcc
	s_cbranch_execz .LBB607_219
; %bb.218:
	v_and_b32_e32 v52, 7, v42
	v_ffbh_u32_e32 v43, v52
	v_min_u32_e32 v54, 32, v43
	v_subrev_u32_e32 v43, 28, v54
	v_lshlrev_b64 v[42:43], v43, v[42:43]
	v_lshrrev_b32_e32 v53, 3, v45
	v_sub_u32_e32 v43, 29, v54
	v_and_b32_e32 v42, 7, v42
	v_cmp_gt_u32_e32 vcc, 8, v45
	v_mov_b32_e32 v45, 24
	v_cndmask_b32_e32 v43, v53, v43, vcc
	v_cndmask_b32_e32 v42, v52, v42, vcc
	v_lshlrev_b32_sdwa v45, v45, v34 dst_sel:DWORD dst_unused:UNUSED_PAD src0_sel:DWORD src1_sel:WORD_1
	v_bfrev_b32_e32 v52, 60
	v_lshlrev_b32_e32 v42, 20, v42
	v_and_b32_e32 v45, 0x80000000, v45
	v_lshl_add_u32 v43, v43, 23, v52
	v_or3_b32 v43, v45, v43, v42
.LBB607_219:
	s_or_b64 exec, exec, s[10:11]
.LBB607_220:
	s_or_b64 exec, exec, s[8:9]
.LBB607_221:
	s_or_b64 exec, exec, s[2:3]
	s_mov_b32 s2, 0xffffff
	v_cmp_lt_u32_e32 vcc, s2, v34
	v_mov_b32_e32 v45, 0
	v_mov_b32_e32 v53, 0
	s_and_saveexec_b64 s[2:3], vcc
	s_cbranch_execz .LBB607_227
; %bb.222:
	v_lshrrev_b32_e32 v42, 24, v34
	s_movk_i32 s8, 0x80
	v_cmp_ne_u32_e32 vcc, s8, v42
	v_bfrev_b32_e32 v53, 1
	s_and_saveexec_b64 s[8:9], vcc
	s_cbranch_execz .LBB607_226
; %bb.223:
	v_bfe_u32 v34, v34, 24, 7
	s_movk_i32 s10, 0x7f
	v_cmp_ne_u32_e32 vcc, s10, v34
	v_mov_b32_e32 v53, 0x7f800001
	s_and_saveexec_b64 s[10:11], vcc
	s_cbranch_execz .LBB607_225
; %bb.224:
	v_and_b32_e32 v54, 7, v42
	v_ffbh_u32_e32 v52, v54
	v_min_u32_e32 v56, 32, v52
	v_subrev_u32_e32 v52, 28, v56
	v_lshlrev_b64 v[52:53], v52, v[42:43]
	v_lshrrev_b32_e32 v55, 3, v34
	v_sub_u32_e32 v53, 29, v56
	v_and_b32_e32 v52, 7, v52
	v_cmp_gt_u32_e32 vcc, 8, v34
	v_cndmask_b32_e32 v34, v55, v53, vcc
	v_cndmask_b32_e32 v52, v54, v52, vcc
	v_lshlrev_b32_e32 v42, 24, v42
	v_bfrev_b32_e32 v53, 60
	v_lshlrev_b32_e32 v52, 20, v52
	v_and_b32_e32 v42, 0x80000000, v42
	v_lshl_add_u32 v34, v34, 23, v53
	v_or3_b32 v53, v42, v34, v52
.LBB607_225:
	s_or_b64 exec, exec, s[10:11]
.LBB607_226:
	s_or_b64 exec, exec, s[8:9]
.LBB607_227:
	s_or_b64 exec, exec, s[2:3]
	v_cmp_ne_u16_sdwa s[8:9], v35, v45 src0_sel:BYTE_0 src1_sel:DWORD
	s_and_saveexec_b64 s[2:3], s[8:9]
	s_cbranch_execz .LBB607_233
; %bb.228:
	s_movk_i32 s8, 0x80
	v_cmp_ne_u16_sdwa s[10:11], v35, s8 src0_sel:BYTE_0 src1_sel:DWORD
	v_bfrev_b32_e32 v45, 1
	s_and_saveexec_b64 s[8:9], s[10:11]
	s_cbranch_execz .LBB607_232
; %bb.229:
	s_movk_i32 s10, 0x7f
	v_and_b32_e32 v34, 0x7f, v35
	v_cmp_ne_u32_e32 vcc, s10, v34
	v_mov_b32_e32 v45, 0x7f800001
	s_and_saveexec_b64 s[10:11], vcc
	s_cbranch_execz .LBB607_231
; %bb.230:
	v_and_b32_e32 v45, 7, v35
	v_ffbh_u32_e32 v54, v45
	v_min_u32_e32 v56, 32, v54
	v_mov_b32_e32 v42, v35
	v_subrev_u32_e32 v54, 28, v56
	v_lshlrev_b64 v[54:55], v54, v[42:43]
	v_lshrrev_b32_e32 v52, 3, v34
	v_sub_u32_e32 v42, 29, v56
	v_and_b32_e32 v54, 7, v54
	v_cmp_gt_u32_e32 vcc, 8, v34
	v_cndmask_b32_e32 v34, v52, v42, vcc
	v_cndmask_b32_e32 v42, v45, v54, vcc
	v_lshlrev_b32_e32 v45, 24, v35
	v_bfrev_b32_e32 v52, 60
	v_lshlrev_b32_e32 v42, 20, v42
	v_and_b32_e32 v45, 0x80000000, v45
	v_lshl_add_u32 v34, v34, 23, v52
	v_or3_b32 v45, v45, v34, v42
.LBB607_231:
	s_or_b64 exec, exec, s[10:11]
.LBB607_232:
	s_or_b64 exec, exec, s[8:9]
.LBB607_233:
	s_or_b64 exec, exec, s[2:3]
	v_lshrrev_b16_e32 v34, 8, v35
	v_cmp_ne_u16_e32 vcc, 0, v34
	v_mov_b32_e32 v42, 0
	v_mov_b32_e32 v54, 0
	s_and_saveexec_b64 s[2:3], vcc
	s_cbranch_execz .LBB607_239
; %bb.234:
	s_movk_i32 s8, 0x80
	v_cmp_ne_u16_e32 vcc, s8, v34
	v_bfrev_b32_e32 v54, 1
	s_and_saveexec_b64 s[8:9], vcc
	s_cbranch_execz .LBB607_238
; %bb.235:
	s_movk_i32 s10, 0x7f
	v_and_b32_e32 v52, 0x7f, v34
	v_cmp_ne_u32_e32 vcc, s10, v52
	v_mov_b32_e32 v54, 0x7f800001
	s_and_saveexec_b64 s[10:11], vcc
	s_cbranch_execz .LBB607_237
; %bb.236:
	v_and_b32_e32 v56, 7, v34
	v_ffbh_u32_e32 v54, v56
	v_min_u32_e32 v58, 32, v54
	v_subrev_u32_e32 v54, 28, v58
	v_lshlrev_b64 v[54:55], v54, v[34:35]
	v_lshrrev_b32_e32 v57, 3, v52
	v_sub_u32_e32 v34, 29, v58
	v_and_b32_e32 v54, 7, v54
	v_cmp_gt_u32_e32 vcc, 8, v52
	v_cndmask_b32_e32 v34, v57, v34, vcc
	v_cndmask_b32_e32 v52, v56, v54, vcc
	v_lshlrev_b32_e32 v54, 16, v35
	v_bfrev_b32_e32 v55, 60
	v_lshlrev_b32_e32 v52, 20, v52
	v_and_b32_e32 v54, 0x80000000, v54
	v_lshl_add_u32 v34, v34, 23, v55
	v_or3_b32 v54, v54, v34, v52
.LBB607_237:
	s_or_b64 exec, exec, s[10:11]
.LBB607_238:
	s_or_b64 exec, exec, s[8:9]
.LBB607_239:
	s_or_b64 exec, exec, s[2:3]
	s_movk_i32 s2, 0xff
	v_and_b32_sdwa v52, v35, s2 dst_sel:DWORD dst_unused:UNUSED_PAD src0_sel:WORD_1 src1_sel:DWORD
	v_lshrrev_b32_e32 v34, 16, v35
	v_cmp_ne_u16_e32 vcc, 0, v52
	s_and_saveexec_b64 s[2:3], vcc
	s_cbranch_execz .LBB607_245
; %bb.240:
	s_movk_i32 s8, 0x80
	v_cmp_ne_u16_e32 vcc, s8, v52
	v_bfrev_b32_e32 v42, 1
	s_and_saveexec_b64 s[8:9], vcc
	s_cbranch_execz .LBB607_244
; %bb.241:
	v_bfe_u32 v52, v35, 16, 7
	s_movk_i32 s10, 0x7f
	v_cmp_ne_u32_e32 vcc, s10, v52
	v_mov_b32_e32 v42, 0x7f800001
	s_and_saveexec_b64 s[10:11], vcc
	s_cbranch_execz .LBB607_243
; %bb.242:
	v_and_b32_e32 v42, 7, v34
	v_ffbh_u32_e32 v56, v42
	v_min_u32_e32 v58, 32, v56
	v_subrev_u32_e32 v56, 28, v58
	v_lshlrev_b64 v[56:57], v56, v[34:35]
	v_lshrrev_b32_e32 v55, 3, v52
	v_sub_u32_e32 v34, 29, v58
	v_and_b32_e32 v56, 7, v56
	v_cmp_gt_u32_e32 vcc, 8, v52
	v_mov_b32_e32 v52, 24
	v_cndmask_b32_e32 v34, v55, v34, vcc
	v_cndmask_b32_e32 v42, v42, v56, vcc
	v_lshlrev_b32_sdwa v52, v52, v35 dst_sel:DWORD dst_unused:UNUSED_PAD src0_sel:DWORD src1_sel:WORD_1
	v_bfrev_b32_e32 v55, 60
	v_lshlrev_b32_e32 v42, 20, v42
	v_and_b32_e32 v52, 0x80000000, v52
	v_lshl_add_u32 v34, v34, 23, v55
	v_or3_b32 v42, v52, v34, v42
.LBB607_243:
	s_or_b64 exec, exec, s[10:11]
.LBB607_244:
	s_or_b64 exec, exec, s[8:9]
.LBB607_245:
	s_or_b64 exec, exec, s[2:3]
	s_mov_b32 s2, 0xffffff
	v_cmp_lt_u32_e32 vcc, s2, v35
	v_mov_b32_e32 v52, 0
	v_mov_b32_e32 v55, 0
	s_and_saveexec_b64 s[2:3], vcc
	s_cbranch_execz .LBB607_251
; %bb.246:
	v_lshrrev_b32_e32 v34, 24, v35
	s_movk_i32 s8, 0x80
	v_cmp_ne_u32_e32 vcc, s8, v34
	v_bfrev_b32_e32 v55, 1
	s_and_saveexec_b64 s[8:9], vcc
	s_cbranch_execz .LBB607_250
; %bb.247:
	v_bfe_u32 v35, v35, 24, 7
	s_movk_i32 s10, 0x7f
	v_cmp_ne_u32_e32 vcc, s10, v35
	v_mov_b32_e32 v55, 0x7f800001
	s_and_saveexec_b64 s[10:11], vcc
	s_cbranch_execz .LBB607_249
; %bb.248:
	v_and_b32_e32 v55, 7, v34
	v_ffbh_u32_e32 v56, v55
	v_min_u32_e32 v59, 32, v56
	v_subrev_u32_e32 v56, 28, v59
	v_lshlrev_b64 v[56:57], v56, v[34:35]
	v_lshrrev_b32_e32 v58, 3, v35
	v_sub_u32_e32 v57, 29, v59
	v_and_b32_e32 v56, 7, v56
	v_cmp_gt_u32_e32 vcc, 8, v35
	v_cndmask_b32_e32 v35, v58, v57, vcc
	v_cndmask_b32_e32 v55, v55, v56, vcc
	v_lshlrev_b32_e32 v34, 24, v34
	v_bfrev_b32_e32 v56, 60
	v_lshlrev_b32_e32 v55, 20, v55
	v_and_b32_e32 v34, 0x80000000, v34
	v_lshl_add_u32 v35, v35, 23, v56
	v_or3_b32 v55, v34, v35, v55
.LBB607_249:
	s_or_b64 exec, exec, s[10:11]
.LBB607_250:
	s_or_b64 exec, exec, s[8:9]
.LBB607_251:
	s_or_b64 exec, exec, s[2:3]
	v_cvt_pkrtz_f16_f32 v34, v51, v44
	v_cvt_pkrtz_f16_f32 v35, v43, v53
	v_cmp_ne_u16_sdwa s[8:9], v36, v52 src0_sel:BYTE_0 src1_sel:DWORD
	s_nop 0
	v_mfma_f32_16x16x16f16 v[56:59], v[34:35], v[26:27], 0
	v_cvt_pkrtz_f16_f32 v34, v45, v54
	v_cvt_pkrtz_f16_f32 v35, v42, v55
	s_nop 1
	v_mfma_f32_16x16x16f16 v[42:45], v[34:35], v[28:29], v[56:59]
	s_and_saveexec_b64 s[2:3], s[8:9]
	s_cbranch_execz .LBB607_257
; %bb.252:
	s_movk_i32 s8, 0x80
	v_cmp_ne_u16_sdwa s[10:11], v36, s8 src0_sel:BYTE_0 src1_sel:DWORD
	v_bfrev_b32_e32 v52, 1
	s_and_saveexec_b64 s[8:9], s[10:11]
	s_cbranch_execz .LBB607_256
; %bb.253:
	s_movk_i32 s10, 0x7f
	v_and_b32_e32 v34, 0x7f, v36
	v_cmp_ne_u32_e32 vcc, s10, v34
	v_mov_b32_e32 v52, 0x7f800001
	s_and_saveexec_b64 s[10:11], vcc
	s_cbranch_execz .LBB607_255
; %bb.254:
	v_and_b32_e32 v35, 7, v36
	v_ffbh_u32_e32 v52, v35
	v_min_u32_e32 v54, 32, v52
	v_subrev_u32_e32 v52, 28, v54
	v_lshlrev_b64 v[52:53], v52, v[36:37]
	v_lshrrev_b32_e32 v51, 3, v34
	v_sub_u32_e32 v53, 29, v54
	v_and_b32_e32 v52, 7, v52
	v_cmp_gt_u32_e32 vcc, 8, v34
	v_cndmask_b32_e32 v34, v51, v53, vcc
	v_cndmask_b32_e32 v35, v35, v52, vcc
	v_lshlrev_b32_e32 v51, 24, v36
	v_bfrev_b32_e32 v52, 60
	v_lshlrev_b32_e32 v35, 20, v35
	v_and_b32_e32 v51, 0x80000000, v51
	v_lshl_add_u32 v34, v34, 23, v52
	v_or3_b32 v52, v51, v34, v35
.LBB607_255:
	s_or_b64 exec, exec, s[10:11]
.LBB607_256:
	s_or_b64 exec, exec, s[8:9]
.LBB607_257:
	s_or_b64 exec, exec, s[2:3]
	v_lshrrev_b16_e32 v34, 8, v36
	v_cmp_ne_u16_e32 vcc, 0, v34
	v_mov_b32_e32 v35, 0
	v_mov_b32_e32 v53, 0
	s_and_saveexec_b64 s[2:3], vcc
	s_cbranch_execz .LBB607_263
; %bb.258:
	s_movk_i32 s8, 0x80
	v_cmp_ne_u16_e32 vcc, s8, v34
	v_bfrev_b32_e32 v53, 1
	s_and_saveexec_b64 s[8:9], vcc
	s_cbranch_execz .LBB607_262
; %bb.259:
	s_movk_i32 s10, 0x7f
	v_and_b32_e32 v51, 0x7f, v34
	v_cmp_ne_u32_e32 vcc, s10, v51
	v_mov_b32_e32 v53, 0x7f800001
	s_and_saveexec_b64 s[10:11], vcc
	s_cbranch_execz .LBB607_261
; %bb.260:
	v_and_b32_e32 v53, 7, v34
	v_ffbh_u32_e32 v54, v53
	v_min_u32_e32 v57, 32, v54
	v_subrev_u32_e32 v54, 28, v57
	v_lshlrev_b64 v[54:55], v54, v[34:35]
	v_lshrrev_b32_e32 v56, 3, v51
	v_sub_u32_e32 v34, 29, v57
	v_and_b32_e32 v54, 7, v54
	v_cmp_gt_u32_e32 vcc, 8, v51
	v_cndmask_b32_e32 v34, v56, v34, vcc
	v_cndmask_b32_e32 v51, v53, v54, vcc
	v_lshlrev_b32_e32 v53, 16, v36
	v_bfrev_b32_e32 v54, 60
	v_lshlrev_b32_e32 v51, 20, v51
	v_and_b32_e32 v53, 0x80000000, v53
	v_lshl_add_u32 v34, v34, 23, v54
	v_or3_b32 v53, v53, v34, v51
.LBB607_261:
	s_or_b64 exec, exec, s[10:11]
.LBB607_262:
	s_or_b64 exec, exec, s[8:9]
.LBB607_263:
	s_or_b64 exec, exec, s[2:3]
	s_movk_i32 s2, 0xff
	v_and_b32_sdwa v51, v36, s2 dst_sel:DWORD dst_unused:UNUSED_PAD src0_sel:WORD_1 src1_sel:DWORD
	v_lshrrev_b32_e32 v34, 16, v36
	v_cmp_ne_u16_e32 vcc, 0, v51
	s_and_saveexec_b64 s[2:3], vcc
	s_cbranch_execz .LBB607_269
; %bb.264:
	s_movk_i32 s8, 0x80
	v_cmp_ne_u16_e32 vcc, s8, v51
	v_bfrev_b32_e32 v35, 1
	s_and_saveexec_b64 s[8:9], vcc
	s_cbranch_execz .LBB607_268
; %bb.265:
	v_bfe_u32 v51, v36, 16, 7
	s_movk_i32 s10, 0x7f
	v_cmp_ne_u32_e32 vcc, s10, v51
	v_mov_b32_e32 v35, 0x7f800001
	s_and_saveexec_b64 s[10:11], vcc
	s_cbranch_execz .LBB607_267
; %bb.266:
	v_and_b32_e32 v54, 7, v34
	v_ffbh_u32_e32 v35, v54
	v_min_u32_e32 v56, 32, v35
	v_subrev_u32_e32 v35, 28, v56
	v_lshlrev_b64 v[34:35], v35, v[34:35]
	v_lshrrev_b32_e32 v55, 3, v51
	v_sub_u32_e32 v35, 29, v56
	v_and_b32_e32 v34, 7, v34
	v_cmp_gt_u32_e32 vcc, 8, v51
	v_mov_b32_e32 v51, 24
	v_cndmask_b32_e32 v35, v55, v35, vcc
	v_cndmask_b32_e32 v34, v54, v34, vcc
	v_lshlrev_b32_sdwa v51, v51, v36 dst_sel:DWORD dst_unused:UNUSED_PAD src0_sel:DWORD src1_sel:WORD_1
	v_bfrev_b32_e32 v54, 60
	v_lshlrev_b32_e32 v34, 20, v34
	v_and_b32_e32 v51, 0x80000000, v51
	v_lshl_add_u32 v35, v35, 23, v54
	v_or3_b32 v35, v51, v35, v34
.LBB607_267:
	s_or_b64 exec, exec, s[10:11]
.LBB607_268:
	s_or_b64 exec, exec, s[8:9]
.LBB607_269:
	s_or_b64 exec, exec, s[2:3]
	s_mov_b32 s2, 0xffffff
	v_cmp_lt_u32_e32 vcc, s2, v36
	v_mov_b32_e32 v54, 0
	v_mov_b32_e32 v55, 0
	s_and_saveexec_b64 s[2:3], vcc
	s_cbranch_execz .LBB607_275
; %bb.270:
	v_lshrrev_b32_e32 v34, 24, v36
	s_movk_i32 s8, 0x80
	v_cmp_ne_u32_e32 vcc, s8, v34
	v_bfrev_b32_e32 v55, 1
	s_and_saveexec_b64 s[8:9], vcc
	s_cbranch_execz .LBB607_274
; %bb.271:
	v_bfe_u32 v36, v36, 24, 7
	s_movk_i32 s10, 0x7f
	v_cmp_ne_u32_e32 vcc, s10, v36
	v_mov_b32_e32 v55, 0x7f800001
	s_and_saveexec_b64 s[10:11], vcc
	s_cbranch_execz .LBB607_273
; %bb.272:
	v_and_b32_e32 v51, 7, v34
	v_ffbh_u32_e32 v56, v51
	v_min_u32_e32 v58, 32, v56
	v_subrev_u32_e32 v56, 28, v58
	v_lshlrev_b64 v[56:57], v56, v[34:35]
	v_lshrrev_b32_e32 v55, 3, v36
	v_sub_u32_e32 v57, 29, v58
	v_and_b32_e32 v56, 7, v56
	v_cmp_gt_u32_e32 vcc, 8, v36
	v_cndmask_b32_e32 v36, v55, v57, vcc
	v_cndmask_b32_e32 v51, v51, v56, vcc
	v_lshlrev_b32_e32 v34, 24, v34
	v_bfrev_b32_e32 v55, 60
	v_lshlrev_b32_e32 v51, 20, v51
	v_and_b32_e32 v34, 0x80000000, v34
	v_lshl_add_u32 v36, v36, 23, v55
	v_or3_b32 v55, v34, v36, v51
.LBB607_273:
	s_or_b64 exec, exec, s[10:11]
.LBB607_274:
	s_or_b64 exec, exec, s[8:9]
.LBB607_275:
	s_or_b64 exec, exec, s[2:3]
	v_cmp_ne_u16_sdwa s[8:9], v37, v54 src0_sel:BYTE_0 src1_sel:DWORD
	s_and_saveexec_b64 s[2:3], s[8:9]
	s_cbranch_execz .LBB607_281
; %bb.276:
	s_movk_i32 s8, 0x80
	v_cmp_ne_u16_sdwa s[10:11], v37, s8 src0_sel:BYTE_0 src1_sel:DWORD
	v_bfrev_b32_e32 v54, 1
	s_and_saveexec_b64 s[8:9], s[10:11]
	s_cbranch_execz .LBB607_280
; %bb.277:
	s_movk_i32 s10, 0x7f
	v_and_b32_e32 v34, 0x7f, v37
	v_cmp_ne_u32_e32 vcc, s10, v34
	v_mov_b32_e32 v54, 0x7f800001
	s_and_saveexec_b64 s[10:11], vcc
	s_cbranch_execz .LBB607_279
; %bb.278:
	v_and_b32_e32 v51, 7, v37
	v_ffbh_u32_e32 v56, v51
	v_min_u32_e32 v58, 32, v56
	v_mov_b32_e32 v36, v37
	v_subrev_u32_e32 v56, 28, v58
	v_lshlrev_b64 v[56:57], v56, v[36:37]
	v_lshrrev_b32_e32 v54, 3, v34
	v_sub_u32_e32 v36, 29, v58
	v_and_b32_e32 v56, 7, v56
	v_cmp_gt_u32_e32 vcc, 8, v34
	v_cndmask_b32_e32 v34, v54, v36, vcc
	v_cndmask_b32_e32 v36, v51, v56, vcc
	v_lshlrev_b32_e32 v51, 24, v37
	v_bfrev_b32_e32 v54, 60
	v_lshlrev_b32_e32 v36, 20, v36
	v_and_b32_e32 v51, 0x80000000, v51
	v_lshl_add_u32 v34, v34, 23, v54
	v_or3_b32 v54, v51, v34, v36
.LBB607_279:
	s_or_b64 exec, exec, s[10:11]
.LBB607_280:
	s_or_b64 exec, exec, s[8:9]
.LBB607_281:
	s_or_b64 exec, exec, s[2:3]
	v_lshrrev_b16_e32 v34, 8, v37
	v_cmp_ne_u16_e32 vcc, 0, v34
	v_mov_b32_e32 v36, 0
	v_mov_b32_e32 v56, 0
	s_and_saveexec_b64 s[2:3], vcc
	s_cbranch_execz .LBB607_287
; %bb.282:
	s_movk_i32 s8, 0x80
	v_cmp_ne_u16_e32 vcc, s8, v34
	v_bfrev_b32_e32 v56, 1
	s_and_saveexec_b64 s[8:9], vcc
	s_cbranch_execz .LBB607_286
; %bb.283:
	s_movk_i32 s10, 0x7f
	v_and_b32_e32 v51, 0x7f, v34
	v_cmp_ne_u32_e32 vcc, s10, v51
	v_mov_b32_e32 v56, 0x7f800001
	s_and_saveexec_b64 s[10:11], vcc
	s_cbranch_execz .LBB607_285
; %bb.284:
	v_and_b32_e32 v58, 7, v34
	v_ffbh_u32_e32 v56, v58
	v_min_u32_e32 v60, 32, v56
	v_subrev_u32_e32 v56, 28, v60
	v_lshlrev_b64 v[56:57], v56, v[34:35]
	v_lshrrev_b32_e32 v59, 3, v51
	v_sub_u32_e32 v34, 29, v60
	v_and_b32_e32 v56, 7, v56
	v_cmp_gt_u32_e32 vcc, 8, v51
	v_cndmask_b32_e32 v34, v59, v34, vcc
	v_cndmask_b32_e32 v51, v58, v56, vcc
	v_lshlrev_b32_e32 v56, 16, v37
	v_bfrev_b32_e32 v57, 60
	v_lshlrev_b32_e32 v51, 20, v51
	v_and_b32_e32 v56, 0x80000000, v56
	v_lshl_add_u32 v34, v34, 23, v57
	v_or3_b32 v56, v56, v34, v51
.LBB607_285:
	s_or_b64 exec, exec, s[10:11]
.LBB607_286:
	s_or_b64 exec, exec, s[8:9]
.LBB607_287:
	s_or_b64 exec, exec, s[2:3]
	s_movk_i32 s2, 0xff
	v_and_b32_sdwa v51, v37, s2 dst_sel:DWORD dst_unused:UNUSED_PAD src0_sel:WORD_1 src1_sel:DWORD
	v_lshrrev_b32_e32 v34, 16, v37
	v_cmp_ne_u16_e32 vcc, 0, v51
	s_and_saveexec_b64 s[2:3], vcc
	s_cbranch_execz .LBB607_293
; %bb.288:
	s_movk_i32 s8, 0x80
	v_cmp_ne_u16_e32 vcc, s8, v51
	v_bfrev_b32_e32 v36, 1
	s_and_saveexec_b64 s[8:9], vcc
	s_cbranch_execz .LBB607_292
; %bb.289:
	v_bfe_u32 v51, v37, 16, 7
	s_movk_i32 s10, 0x7f
	v_cmp_ne_u32_e32 vcc, s10, v51
	v_mov_b32_e32 v36, 0x7f800001
	s_and_saveexec_b64 s[10:11], vcc
	s_cbranch_execz .LBB607_291
; %bb.290:
	v_and_b32_e32 v36, 7, v34
	v_ffbh_u32_e32 v58, v36
	v_min_u32_e32 v60, 32, v58
	v_subrev_u32_e32 v58, 28, v60
	v_lshlrev_b64 v[58:59], v58, v[34:35]
	v_lshrrev_b32_e32 v57, 3, v51
	v_sub_u32_e32 v34, 29, v60
	v_and_b32_e32 v58, 7, v58
	v_cmp_gt_u32_e32 vcc, 8, v51
	v_mov_b32_e32 v51, 24
	v_cndmask_b32_e32 v34, v57, v34, vcc
	v_cndmask_b32_e32 v36, v36, v58, vcc
	v_lshlrev_b32_sdwa v51, v51, v37 dst_sel:DWORD dst_unused:UNUSED_PAD src0_sel:DWORD src1_sel:WORD_1
	v_bfrev_b32_e32 v57, 60
	v_lshlrev_b32_e32 v36, 20, v36
	v_and_b32_e32 v51, 0x80000000, v51
	v_lshl_add_u32 v34, v34, 23, v57
	v_or3_b32 v36, v51, v34, v36
.LBB607_291:
	s_or_b64 exec, exec, s[10:11]
.LBB607_292:
	s_or_b64 exec, exec, s[8:9]
.LBB607_293:
	s_or_b64 exec, exec, s[2:3]
	s_mov_b32 s2, 0xffffff
	v_cmp_lt_u32_e32 vcc, s2, v37
	v_mov_b32_e32 v51, 0
	v_mov_b32_e32 v57, 0
	s_and_saveexec_b64 s[2:3], vcc
	s_cbranch_execz .LBB607_299
; %bb.294:
	v_lshrrev_b32_e32 v34, 24, v37
	s_movk_i32 s8, 0x80
	v_cmp_ne_u32_e32 vcc, s8, v34
	v_bfrev_b32_e32 v57, 1
	s_and_saveexec_b64 s[8:9], vcc
	s_cbranch_execz .LBB607_298
; %bb.295:
	v_bfe_u32 v37, v37, 24, 7
	s_movk_i32 s10, 0x7f
	v_cmp_ne_u32_e32 vcc, s10, v37
	v_mov_b32_e32 v57, 0x7f800001
	s_and_saveexec_b64 s[10:11], vcc
	s_cbranch_execz .LBB607_297
; %bb.296:
	v_and_b32_e32 v57, 7, v34
	v_ffbh_u32_e32 v58, v57
	v_min_u32_e32 v61, 32, v58
	v_subrev_u32_e32 v58, 28, v61
	v_lshlrev_b64 v[58:59], v58, v[34:35]
	v_lshrrev_b32_e32 v60, 3, v37
	v_sub_u32_e32 v59, 29, v61
	v_and_b32_e32 v58, 7, v58
	v_cmp_gt_u32_e32 vcc, 8, v37
	v_cndmask_b32_e32 v37, v60, v59, vcc
	v_cndmask_b32_e32 v57, v57, v58, vcc
	v_lshlrev_b32_e32 v34, 24, v34
	v_bfrev_b32_e32 v58, 60
	v_lshlrev_b32_e32 v57, 20, v57
	v_and_b32_e32 v34, 0x80000000, v34
	v_lshl_add_u32 v37, v37, 23, v58
	v_or3_b32 v57, v34, v37, v57
.LBB607_297:
	s_or_b64 exec, exec, s[10:11]
.LBB607_298:
	s_or_b64 exec, exec, s[8:9]
.LBB607_299:
	s_or_b64 exec, exec, s[2:3]
	v_cvt_pkrtz_f16_f32 v34, v52, v53
	v_cvt_pkrtz_f16_f32 v35, v35, v55
	s_waitcnt vmcnt(4)
	v_cmp_ne_u16_sdwa s[8:9], v22, v51 src0_sel:BYTE_0 src1_sel:DWORD
	v_mfma_f32_16x16x16f16 v[42:45], v[34:35], v[18:19], v[42:45]
	v_cvt_pkrtz_f16_f32 v34, v54, v56
	v_cvt_pkrtz_f16_f32 v35, v36, v57
	s_nop 1
	v_mfma_f32_16x16x16f16 v[34:37], v[34:35], v[20:21], v[42:45]
	s_and_saveexec_b64 s[2:3], s[8:9]
	s_cbranch_execz .LBB607_305
; %bb.300:
	s_movk_i32 s8, 0x80
	v_cmp_ne_u16_sdwa s[10:11], v22, s8 src0_sel:BYTE_0 src1_sel:DWORD
	v_bfrev_b32_e32 v51, 1
	s_and_saveexec_b64 s[8:9], s[10:11]
	s_cbranch_execz .LBB607_304
; %bb.301:
	s_movk_i32 s10, 0x7f
	v_and_b32_e32 v42, 0x7f, v22
	v_cmp_ne_u32_e32 vcc, s10, v42
	v_mov_b32_e32 v51, 0x7f800001
	s_and_saveexec_b64 s[10:11], vcc
	s_cbranch_execz .LBB607_303
; %bb.302:
	v_and_b32_e32 v43, 7, v22
	v_ffbh_u32_e32 v44, v43
	v_min_u32_e32 v52, 32, v44
	v_subrev_u32_e32 v44, 28, v52
	v_lshlrev_b64 v[44:45], v44, v[22:23]
	v_lshrrev_b32_e32 v51, 3, v42
	v_sub_u32_e32 v45, 29, v52
	v_and_b32_e32 v44, 7, v44
	v_cmp_gt_u32_e32 vcc, 8, v42
	v_cndmask_b32_e32 v42, v51, v45, vcc
	v_cndmask_b32_e32 v43, v43, v44, vcc
	v_lshlrev_b32_e32 v44, 24, v22
	v_bfrev_b32_e32 v45, 60
	v_lshlrev_b32_e32 v43, 20, v43
	v_and_b32_e32 v44, 0x80000000, v44
	v_lshl_add_u32 v42, v42, 23, v45
	v_or3_b32 v51, v44, v42, v43
.LBB607_303:
	s_or_b64 exec, exec, s[10:11]
.LBB607_304:
	s_or_b64 exec, exec, s[8:9]
.LBB607_305:
	s_or_b64 exec, exec, s[2:3]
	s_nop 3
	v_lshrrev_b16_e32 v42, 8, v22
	v_cmp_ne_u16_e32 vcc, 0, v42
	v_mov_b32_e32 v44, 0
	v_mov_b32_e32 v45, 0
	s_and_saveexec_b64 s[2:3], vcc
	s_cbranch_execz .LBB607_311
; %bb.306:
	s_movk_i32 s8, 0x80
	v_cmp_ne_u16_e32 vcc, s8, v42
	v_bfrev_b32_e32 v45, 1
	s_and_saveexec_b64 s[8:9], vcc
	s_cbranch_execz .LBB607_310
; %bb.307:
	s_movk_i32 s10, 0x7f
	v_and_b32_e32 v43, 0x7f, v42
	v_cmp_ne_u32_e32 vcc, s10, v43
	v_mov_b32_e32 v45, 0x7f800001
	s_and_saveexec_b64 s[10:11], vcc
	s_cbranch_execz .LBB607_309
; %bb.308:
	v_and_b32_e32 v45, 7, v42
	v_ffbh_u32_e32 v52, v45
	v_min_u32_e32 v55, 32, v52
	v_subrev_u32_e32 v52, 28, v55
	v_lshlrev_b64 v[52:53], v52, v[42:43]
	v_lshrrev_b32_e32 v54, 3, v43
	v_sub_u32_e32 v42, 29, v55
	v_and_b32_e32 v52, 7, v52
	v_cmp_gt_u32_e32 vcc, 8, v43
	v_cndmask_b32_e32 v42, v54, v42, vcc
	v_cndmask_b32_e32 v43, v45, v52, vcc
	v_lshlrev_b32_e32 v45, 16, v22
	v_bfrev_b32_e32 v52, 60
	v_lshlrev_b32_e32 v43, 20, v43
	v_and_b32_e32 v45, 0x80000000, v45
	v_lshl_add_u32 v42, v42, 23, v52
	v_or3_b32 v45, v45, v42, v43
.LBB607_309:
	s_or_b64 exec, exec, s[10:11]
.LBB607_310:
	s_or_b64 exec, exec, s[8:9]
.LBB607_311:
	s_or_b64 exec, exec, s[2:3]
	s_movk_i32 s2, 0xff
	v_and_b32_sdwa v43, v22, s2 dst_sel:DWORD dst_unused:UNUSED_PAD src0_sel:WORD_1 src1_sel:DWORD
	v_lshrrev_b32_e32 v42, 16, v22
	v_cmp_ne_u16_e32 vcc, 0, v43
	s_and_saveexec_b64 s[2:3], vcc
	s_cbranch_execz .LBB607_317
; %bb.312:
	s_movk_i32 s8, 0x80
	v_cmp_ne_u16_e32 vcc, s8, v43
	v_bfrev_b32_e32 v44, 1
	s_and_saveexec_b64 s[8:9], vcc
	s_cbranch_execz .LBB607_316
; %bb.313:
	v_bfe_u32 v43, v22, 16, 7
	s_movk_i32 s10, 0x7f
	v_cmp_ne_u32_e32 vcc, s10, v43
	v_mov_b32_e32 v44, 0x7f800001
	s_and_saveexec_b64 s[10:11], vcc
	s_cbranch_execz .LBB607_315
; %bb.314:
	v_and_b32_e32 v44, 7, v42
	v_ffbh_u32_e32 v52, v44
	v_min_u32_e32 v55, 32, v52
	v_subrev_u32_e32 v52, 28, v55
	v_lshlrev_b64 v[52:53], v52, v[42:43]
	v_and_b32_e32 v52, 7, v52
	v_cmp_gt_u32_e32 vcc, 8, v43
	v_lshrrev_b32_e32 v54, 3, v43
	v_sub_u32_e32 v42, 29, v55
	v_cndmask_b32_e32 v43, v44, v52, vcc
	v_mov_b32_e32 v44, 24
	v_cndmask_b32_e32 v42, v54, v42, vcc
	v_lshlrev_b32_sdwa v44, v44, v22 dst_sel:DWORD dst_unused:UNUSED_PAD src0_sel:DWORD src1_sel:WORD_1
	v_bfrev_b32_e32 v52, 60
	v_lshlrev_b32_e32 v43, 20, v43
	v_and_b32_e32 v44, 0x80000000, v44
	v_lshl_add_u32 v42, v42, 23, v52
	v_or3_b32 v44, v44, v42, v43
.LBB607_315:
	s_or_b64 exec, exec, s[10:11]
.LBB607_316:
	s_or_b64 exec, exec, s[8:9]
.LBB607_317:
	s_or_b64 exec, exec, s[2:3]
	s_mov_b32 s2, 0xffffff
	v_cmp_lt_u32_e32 vcc, s2, v22
	v_mov_b32_e32 v52, 0
	v_mov_b32_e32 v53, 0
	s_and_saveexec_b64 s[2:3], vcc
	s_cbranch_execz .LBB607_323
; %bb.318:
	v_lshrrev_b32_e32 v42, 24, v22
	s_movk_i32 s8, 0x80
	v_cmp_ne_u32_e32 vcc, s8, v42
	v_bfrev_b32_e32 v53, 1
	s_and_saveexec_b64 s[8:9], vcc
	s_cbranch_execz .LBB607_322
; %bb.319:
	v_bfe_u32 v22, v22, 24, 7
	s_movk_i32 s10, 0x7f
	v_cmp_ne_u32_e32 vcc, s10, v22
	v_mov_b32_e32 v53, 0x7f800001
	s_and_saveexec_b64 s[10:11], vcc
	s_cbranch_execz .LBB607_321
; %bb.320:
	v_and_b32_e32 v43, 7, v42
	v_ffbh_u32_e32 v54, v43
	v_min_u32_e32 v56, 32, v54
	v_subrev_u32_e32 v54, 28, v56
	v_lshlrev_b64 v[54:55], v54, v[42:43]
	v_lshrrev_b32_e32 v53, 3, v22
	v_sub_u32_e32 v55, 29, v56
	v_and_b32_e32 v54, 7, v54
	v_cmp_gt_u32_e32 vcc, 8, v22
	v_cndmask_b32_e32 v22, v53, v55, vcc
	v_cndmask_b32_e32 v43, v43, v54, vcc
	v_lshlrev_b32_e32 v42, 24, v42
	v_bfrev_b32_e32 v53, 60
	v_lshlrev_b32_e32 v43, 20, v43
	v_and_b32_e32 v42, 0x80000000, v42
	v_lshl_add_u32 v22, v22, 23, v53
	v_or3_b32 v53, v42, v22, v43
.LBB607_321:
	s_or_b64 exec, exec, s[10:11]
.LBB607_322:
	s_or_b64 exec, exec, s[8:9]
.LBB607_323:
	s_or_b64 exec, exec, s[2:3]
	v_cmp_ne_u16_sdwa s[8:9], v23, v52 src0_sel:BYTE_0 src1_sel:DWORD
	s_and_saveexec_b64 s[2:3], s[8:9]
	s_cbranch_execz .LBB607_329
; %bb.324:
	s_movk_i32 s8, 0x80
	v_cmp_ne_u16_sdwa s[10:11], v23, s8 src0_sel:BYTE_0 src1_sel:DWORD
	v_bfrev_b32_e32 v52, 1
	s_and_saveexec_b64 s[8:9], s[10:11]
	s_cbranch_execz .LBB607_328
; %bb.325:
	s_movk_i32 s10, 0x7f
	v_and_b32_e32 v22, 0x7f, v23
	v_cmp_ne_u32_e32 vcc, s10, v22
	v_mov_b32_e32 v52, 0x7f800001
	s_and_saveexec_b64 s[10:11], vcc
	s_cbranch_execz .LBB607_327
; %bb.326:
	v_and_b32_e32 v52, 7, v23
	v_ffbh_u32_e32 v43, v52
	v_min_u32_e32 v55, 32, v43
	v_mov_b32_e32 v42, v23
	v_subrev_u32_e32 v43, 28, v55
	v_lshlrev_b64 v[42:43], v43, v[42:43]
	v_lshrrev_b32_e32 v54, 3, v22
	v_sub_u32_e32 v43, 29, v55
	v_and_b32_e32 v42, 7, v42
	v_cmp_gt_u32_e32 vcc, 8, v22
	v_cndmask_b32_e32 v22, v54, v43, vcc
	v_cndmask_b32_e32 v42, v52, v42, vcc
	v_lshlrev_b32_e32 v43, 24, v23
	v_bfrev_b32_e32 v52, 60
	v_lshlrev_b32_e32 v42, 20, v42
	v_and_b32_e32 v43, 0x80000000, v43
	v_lshl_add_u32 v22, v22, 23, v52
	v_or3_b32 v52, v43, v22, v42
.LBB607_327:
	s_or_b64 exec, exec, s[10:11]
.LBB607_328:
	s_or_b64 exec, exec, s[8:9]
.LBB607_329:
	s_or_b64 exec, exec, s[2:3]
	v_lshrrev_b16_e32 v22, 8, v23
	v_cmp_ne_u16_e32 vcc, 0, v22
	v_mov_b32_e32 v42, 0
	v_mov_b32_e32 v54, 0
	s_and_saveexec_b64 s[2:3], vcc
	s_cbranch_execz .LBB607_335
; %bb.330:
	s_movk_i32 s8, 0x80
	v_cmp_ne_u16_e32 vcc, s8, v22
	v_bfrev_b32_e32 v54, 1
	s_and_saveexec_b64 s[8:9], vcc
	s_cbranch_execz .LBB607_334
; %bb.331:
	s_movk_i32 s10, 0x7f
	v_and_b32_e32 v43, 0x7f, v22
	v_cmp_ne_u32_e32 vcc, s10, v43
	v_mov_b32_e32 v54, 0x7f800001
	s_and_saveexec_b64 s[10:11], vcc
	s_cbranch_execz .LBB607_333
; %bb.332:
	v_and_b32_e32 v56, 7, v22
	v_ffbh_u32_e32 v54, v56
	v_min_u32_e32 v58, 32, v54
	v_subrev_u32_e32 v54, 28, v58
	v_lshlrev_b64 v[54:55], v54, v[22:23]
	v_lshrrev_b32_e32 v57, 3, v43
	v_sub_u32_e32 v22, 29, v58
	v_and_b32_e32 v54, 7, v54
	v_cmp_gt_u32_e32 vcc, 8, v43
	v_cndmask_b32_e32 v22, v57, v22, vcc
	v_cndmask_b32_e32 v43, v56, v54, vcc
	v_lshlrev_b32_e32 v54, 16, v23
	v_bfrev_b32_e32 v55, 60
	v_lshlrev_b32_e32 v43, 20, v43
	v_and_b32_e32 v54, 0x80000000, v54
	v_lshl_add_u32 v22, v22, 23, v55
	v_or3_b32 v54, v54, v22, v43
.LBB607_333:
	s_or_b64 exec, exec, s[10:11]
.LBB607_334:
	s_or_b64 exec, exec, s[8:9]
.LBB607_335:
	s_or_b64 exec, exec, s[2:3]
	s_movk_i32 s2, 0xff
	v_and_b32_sdwa v43, v23, s2 dst_sel:DWORD dst_unused:UNUSED_PAD src0_sel:WORD_1 src1_sel:DWORD
	v_lshrrev_b32_e32 v22, 16, v23
	v_cmp_ne_u16_e32 vcc, 0, v43
	s_and_saveexec_b64 s[2:3], vcc
	s_cbranch_execz .LBB607_341
; %bb.336:
	s_movk_i32 s8, 0x80
	v_cmp_ne_u16_e32 vcc, s8, v43
	v_bfrev_b32_e32 v42, 1
	s_and_saveexec_b64 s[8:9], vcc
	s_cbranch_execz .LBB607_340
; %bb.337:
	v_bfe_u32 v43, v23, 16, 7
	s_movk_i32 s10, 0x7f
	v_cmp_ne_u32_e32 vcc, s10, v43
	v_mov_b32_e32 v42, 0x7f800001
	s_and_saveexec_b64 s[10:11], vcc
	s_cbranch_execz .LBB607_339
; %bb.338:
	v_and_b32_e32 v42, 7, v22
	v_ffbh_u32_e32 v56, v42
	v_min_u32_e32 v58, 32, v56
	v_subrev_u32_e32 v56, 28, v58
	v_lshlrev_b64 v[56:57], v56, v[22:23]
	v_lshrrev_b32_e32 v55, 3, v43
	v_sub_u32_e32 v22, 29, v58
	v_and_b32_e32 v56, 7, v56
	v_cmp_gt_u32_e32 vcc, 8, v43
	v_mov_b32_e32 v43, 24
	v_cndmask_b32_e32 v22, v55, v22, vcc
	v_cndmask_b32_e32 v42, v42, v56, vcc
	v_lshlrev_b32_sdwa v43, v43, v23 dst_sel:DWORD dst_unused:UNUSED_PAD src0_sel:DWORD src1_sel:WORD_1
	v_bfrev_b32_e32 v55, 60
	v_lshlrev_b32_e32 v42, 20, v42
	v_and_b32_e32 v43, 0x80000000, v43
	v_lshl_add_u32 v22, v22, 23, v55
	v_or3_b32 v42, v43, v22, v42
.LBB607_339:
	s_or_b64 exec, exec, s[10:11]
.LBB607_340:
	s_or_b64 exec, exec, s[8:9]
.LBB607_341:
	s_or_b64 exec, exec, s[2:3]
	s_mov_b32 s2, 0xffffff
	v_cmp_lt_u32_e32 vcc, s2, v23
	v_mov_b32_e32 v43, 0
	v_mov_b32_e32 v55, 0
	s_and_saveexec_b64 s[2:3], vcc
	s_cbranch_execz .LBB607_347
; %bb.342:
	v_lshrrev_b32_e32 v22, 24, v23
	s_movk_i32 s8, 0x80
	v_cmp_ne_u32_e32 vcc, s8, v22
	v_bfrev_b32_e32 v55, 1
	s_and_saveexec_b64 s[8:9], vcc
	s_cbranch_execz .LBB607_346
; %bb.343:
	v_bfe_u32 v23, v23, 24, 7
	s_movk_i32 s10, 0x7f
	v_cmp_ne_u32_e32 vcc, s10, v23
	v_mov_b32_e32 v55, 0x7f800001
	s_and_saveexec_b64 s[10:11], vcc
	s_cbranch_execz .LBB607_345
; %bb.344:
	v_and_b32_e32 v55, 7, v22
	v_ffbh_u32_e32 v56, v55
	v_min_u32_e32 v59, 32, v56
	v_subrev_u32_e32 v56, 28, v59
	v_lshlrev_b64 v[56:57], v56, v[22:23]
	v_lshrrev_b32_e32 v58, 3, v23
	v_sub_u32_e32 v57, 29, v59
	v_and_b32_e32 v56, 7, v56
	v_cmp_gt_u32_e32 vcc, 8, v23
	v_cndmask_b32_e32 v23, v58, v57, vcc
	v_cndmask_b32_e32 v55, v55, v56, vcc
	v_lshlrev_b32_e32 v22, 24, v22
	v_bfrev_b32_e32 v56, 60
	v_lshlrev_b32_e32 v55, 20, v55
	v_and_b32_e32 v22, 0x80000000, v22
	v_lshl_add_u32 v23, v23, 23, v56
	v_or3_b32 v55, v22, v23, v55
.LBB607_345:
	s_or_b64 exec, exec, s[10:11]
.LBB607_346:
	s_or_b64 exec, exec, s[8:9]
.LBB607_347:
	s_or_b64 exec, exec, s[2:3]
	v_cvt_pkrtz_f16_f32 v22, v51, v45
	v_cvt_pkrtz_f16_f32 v23, v44, v53
	v_cmp_ne_u16_sdwa s[8:9], v24, v43 src0_sel:BYTE_0 src1_sel:DWORD
	s_nop 0
	v_mfma_f32_16x16x16f16 v[56:59], v[22:23], v[26:27], 0
	v_cvt_pkrtz_f16_f32 v22, v52, v54
	v_cvt_pkrtz_f16_f32 v23, v42, v55
	s_nop 1
	v_mfma_f32_16x16x16f16 v[26:29], v[22:23], v[28:29], v[56:59]
	s_and_saveexec_b64 s[2:3], s[8:9]
	s_cbranch_execz .LBB607_353
; %bb.348:
	s_movk_i32 s8, 0x80
	v_cmp_ne_u16_sdwa s[10:11], v24, s8 src0_sel:BYTE_0 src1_sel:DWORD
	v_bfrev_b32_e32 v43, 1
	s_and_saveexec_b64 s[8:9], s[10:11]
	s_cbranch_execz .LBB607_352
; %bb.349:
	s_movk_i32 s10, 0x7f
	v_and_b32_e32 v22, 0x7f, v24
	v_cmp_ne_u32_e32 vcc, s10, v22
	v_mov_b32_e32 v43, 0x7f800001
	s_and_saveexec_b64 s[10:11], vcc
	s_cbranch_execz .LBB607_351
; %bb.350:
	v_and_b32_e32 v23, 7, v24
	v_ffbh_u32_e32 v42, v23
	v_min_u32_e32 v45, 32, v42
	v_subrev_u32_e32 v42, 28, v45
	v_lshlrev_b64 v[42:43], v42, v[24:25]
	v_lshrrev_b32_e32 v44, 3, v22
	v_sub_u32_e32 v43, 29, v45
	v_and_b32_e32 v42, 7, v42
	v_cmp_gt_u32_e32 vcc, 8, v22
	v_cndmask_b32_e32 v22, v44, v43, vcc
	v_cndmask_b32_e32 v23, v23, v42, vcc
	v_lshlrev_b32_e32 v42, 24, v24
	v_bfrev_b32_e32 v43, 60
	v_lshlrev_b32_e32 v23, 20, v23
	v_and_b32_e32 v42, 0x80000000, v42
	v_lshl_add_u32 v22, v22, 23, v43
	v_or3_b32 v43, v42, v22, v23
.LBB607_351:
	s_or_b64 exec, exec, s[10:11]
.LBB607_352:
	s_or_b64 exec, exec, s[8:9]
.LBB607_353:
	s_or_b64 exec, exec, s[2:3]
	v_lshrrev_b16_e32 v22, 8, v24
	v_cmp_ne_u16_e32 vcc, 0, v22
	v_mov_b32_e32 v23, 0
	v_mov_b32_e32 v44, 0
	s_and_saveexec_b64 s[2:3], vcc
	s_cbranch_execz .LBB607_359
; %bb.354:
	s_movk_i32 s8, 0x80
	v_cmp_ne_u16_e32 vcc, s8, v22
	v_bfrev_b32_e32 v44, 1
	s_and_saveexec_b64 s[8:9], vcc
	s_cbranch_execz .LBB607_358
; %bb.355:
	s_movk_i32 s10, 0x7f
	v_and_b32_e32 v42, 0x7f, v22
	v_cmp_ne_u32_e32 vcc, s10, v42
	v_mov_b32_e32 v44, 0x7f800001
	s_and_saveexec_b64 s[10:11], vcc
	s_cbranch_execz .LBB607_357
; %bb.356:
	v_and_b32_e32 v51, 7, v22
	v_ffbh_u32_e32 v44, v51
	v_min_u32_e32 v53, 32, v44
	v_subrev_u32_e32 v44, 28, v53
	v_lshlrev_b64 v[44:45], v44, v[22:23]
	v_lshrrev_b32_e32 v52, 3, v42
	v_sub_u32_e32 v22, 29, v53
	v_and_b32_e32 v44, 7, v44
	v_cmp_gt_u32_e32 vcc, 8, v42
	v_cndmask_b32_e32 v22, v52, v22, vcc
	v_cndmask_b32_e32 v42, v51, v44, vcc
	v_lshlrev_b32_e32 v44, 16, v24
	v_bfrev_b32_e32 v45, 60
	v_lshlrev_b32_e32 v42, 20, v42
	v_and_b32_e32 v44, 0x80000000, v44
	v_lshl_add_u32 v22, v22, 23, v45
	v_or3_b32 v44, v44, v22, v42
.LBB607_357:
	s_or_b64 exec, exec, s[10:11]
.LBB607_358:
	s_or_b64 exec, exec, s[8:9]
.LBB607_359:
	s_or_b64 exec, exec, s[2:3]
	s_movk_i32 s2, 0xff
	v_and_b32_sdwa v42, v24, s2 dst_sel:DWORD dst_unused:UNUSED_PAD src0_sel:WORD_1 src1_sel:DWORD
	v_lshrrev_b32_e32 v22, 16, v24
	v_cmp_ne_u16_e32 vcc, 0, v42
	s_and_saveexec_b64 s[2:3], vcc
	s_cbranch_execz .LBB607_365
; %bb.360:
	s_movk_i32 s8, 0x80
	v_cmp_ne_u16_e32 vcc, s8, v42
	v_bfrev_b32_e32 v23, 1
	s_and_saveexec_b64 s[8:9], vcc
	s_cbranch_execz .LBB607_364
; %bb.361:
	v_bfe_u32 v42, v24, 16, 7
	s_movk_i32 s10, 0x7f
	v_cmp_ne_u32_e32 vcc, s10, v42
	v_mov_b32_e32 v23, 0x7f800001
	s_and_saveexec_b64 s[10:11], vcc
	s_cbranch_execz .LBB607_363
; %bb.362:
	v_and_b32_e32 v45, 7, v22
	v_ffbh_u32_e32 v23, v45
	v_min_u32_e32 v52, 32, v23
	v_subrev_u32_e32 v23, 28, v52
	v_lshlrev_b64 v[22:23], v23, v[22:23]
	v_lshrrev_b32_e32 v51, 3, v42
	v_sub_u32_e32 v23, 29, v52
	v_and_b32_e32 v22, 7, v22
	v_cmp_gt_u32_e32 vcc, 8, v42
	v_mov_b32_e32 v42, 24
	v_cndmask_b32_e32 v23, v51, v23, vcc
	v_cndmask_b32_e32 v22, v45, v22, vcc
	v_lshlrev_b32_sdwa v42, v42, v24 dst_sel:DWORD dst_unused:UNUSED_PAD src0_sel:DWORD src1_sel:WORD_1
	v_bfrev_b32_e32 v45, 60
	v_lshlrev_b32_e32 v22, 20, v22
	v_and_b32_e32 v42, 0x80000000, v42
	v_lshl_add_u32 v23, v23, 23, v45
	v_or3_b32 v23, v42, v23, v22
.LBB607_363:
	s_or_b64 exec, exec, s[10:11]
.LBB607_364:
	s_or_b64 exec, exec, s[8:9]
.LBB607_365:
	s_or_b64 exec, exec, s[2:3]
	s_mov_b32 s2, 0xffffff
	v_cmp_lt_u32_e32 vcc, s2, v24
	v_mov_b32_e32 v45, 0
	v_mov_b32_e32 v51, 0
	s_and_saveexec_b64 s[2:3], vcc
	s_cbranch_execz .LBB607_371
; %bb.366:
	v_lshrrev_b32_e32 v22, 24, v24
	s_movk_i32 s8, 0x80
	v_cmp_ne_u32_e32 vcc, s8, v22
	v_bfrev_b32_e32 v51, 1
	s_and_saveexec_b64 s[8:9], vcc
	s_cbranch_execz .LBB607_370
; %bb.367:
	v_bfe_u32 v24, v24, 24, 7
	s_movk_i32 s10, 0x7f
	v_cmp_ne_u32_e32 vcc, s10, v24
	v_mov_b32_e32 v51, 0x7f800001
	s_and_saveexec_b64 s[10:11], vcc
	s_cbranch_execz .LBB607_369
; %bb.368:
	v_and_b32_e32 v42, 7, v22
	v_ffbh_u32_e32 v52, v42
	v_min_u32_e32 v54, 32, v52
	v_subrev_u32_e32 v52, 28, v54
	v_lshlrev_b64 v[52:53], v52, v[22:23]
	v_lshrrev_b32_e32 v51, 3, v24
	v_sub_u32_e32 v53, 29, v54
	v_and_b32_e32 v52, 7, v52
	v_cmp_gt_u32_e32 vcc, 8, v24
	v_cndmask_b32_e32 v24, v51, v53, vcc
	v_cndmask_b32_e32 v42, v42, v52, vcc
	v_lshlrev_b32_e32 v22, 24, v22
	v_bfrev_b32_e32 v51, 60
	v_lshlrev_b32_e32 v42, 20, v42
	v_and_b32_e32 v22, 0x80000000, v22
	v_lshl_add_u32 v24, v24, 23, v51
	v_or3_b32 v51, v22, v24, v42
.LBB607_369:
	s_or_b64 exec, exec, s[10:11]
.LBB607_370:
	s_or_b64 exec, exec, s[8:9]
.LBB607_371:
	s_or_b64 exec, exec, s[2:3]
	v_cmp_ne_u16_sdwa s[8:9], v25, v45 src0_sel:BYTE_0 src1_sel:DWORD
	s_and_saveexec_b64 s[2:3], s[8:9]
	s_cbranch_execz .LBB607_377
; %bb.372:
	s_movk_i32 s8, 0x80
	v_cmp_ne_u16_sdwa s[10:11], v25, s8 src0_sel:BYTE_0 src1_sel:DWORD
	v_bfrev_b32_e32 v45, 1
	s_and_saveexec_b64 s[8:9], s[10:11]
	s_cbranch_execz .LBB607_376
; %bb.373:
	s_movk_i32 s10, 0x7f
	v_and_b32_e32 v22, 0x7f, v25
	v_cmp_ne_u32_e32 vcc, s10, v22
	v_mov_b32_e32 v45, 0x7f800001
	s_and_saveexec_b64 s[10:11], vcc
	s_cbranch_execz .LBB607_375
; %bb.374:
	v_and_b32_e32 v42, 7, v25
	v_ffbh_u32_e32 v52, v42
	v_min_u32_e32 v54, 32, v52
	v_mov_b32_e32 v24, v25
	v_subrev_u32_e32 v52, 28, v54
	v_lshlrev_b64 v[52:53], v52, v[24:25]
	v_lshrrev_b32_e32 v45, 3, v22
	v_sub_u32_e32 v24, 29, v54
	v_and_b32_e32 v52, 7, v52
	v_cmp_gt_u32_e32 vcc, 8, v22
	v_cndmask_b32_e32 v22, v45, v24, vcc
	v_cndmask_b32_e32 v24, v42, v52, vcc
	v_lshlrev_b32_e32 v42, 24, v25
	v_bfrev_b32_e32 v45, 60
	v_lshlrev_b32_e32 v24, 20, v24
	v_and_b32_e32 v42, 0x80000000, v42
	v_lshl_add_u32 v22, v22, 23, v45
	v_or3_b32 v45, v42, v22, v24
.LBB607_375:
	s_or_b64 exec, exec, s[10:11]
.LBB607_376:
	s_or_b64 exec, exec, s[8:9]
.LBB607_377:
	s_or_b64 exec, exec, s[2:3]
	v_lshrrev_b16_e32 v22, 8, v25
	v_cmp_ne_u16_e32 vcc, 0, v22
	v_mov_b32_e32 v24, 0
	v_mov_b32_e32 v52, 0
	s_and_saveexec_b64 s[2:3], vcc
	s_cbranch_execz .LBB607_383
; %bb.378:
	s_movk_i32 s8, 0x80
	v_cmp_ne_u16_e32 vcc, s8, v22
	v_bfrev_b32_e32 v52, 1
	s_and_saveexec_b64 s[8:9], vcc
	s_cbranch_execz .LBB607_382
; %bb.379:
	s_movk_i32 s10, 0x7f
	v_and_b32_e32 v42, 0x7f, v22
	v_cmp_ne_u32_e32 vcc, s10, v42
	v_mov_b32_e32 v52, 0x7f800001
	s_and_saveexec_b64 s[10:11], vcc
	s_cbranch_execz .LBB607_381
; %bb.380:
	v_and_b32_e32 v54, 7, v22
	v_ffbh_u32_e32 v52, v54
	v_min_u32_e32 v56, 32, v52
	v_subrev_u32_e32 v52, 28, v56
	v_lshlrev_b64 v[52:53], v52, v[22:23]
	v_lshrrev_b32_e32 v55, 3, v42
	v_sub_u32_e32 v22, 29, v56
	v_and_b32_e32 v52, 7, v52
	v_cmp_gt_u32_e32 vcc, 8, v42
	v_cndmask_b32_e32 v22, v55, v22, vcc
	v_cndmask_b32_e32 v42, v54, v52, vcc
	v_lshlrev_b32_e32 v52, 16, v25
	v_bfrev_b32_e32 v53, 60
	v_lshlrev_b32_e32 v42, 20, v42
	v_and_b32_e32 v52, 0x80000000, v52
	v_lshl_add_u32 v22, v22, 23, v53
	v_or3_b32 v52, v52, v22, v42
.LBB607_381:
	s_or_b64 exec, exec, s[10:11]
.LBB607_382:
	s_or_b64 exec, exec, s[8:9]
.LBB607_383:
	s_or_b64 exec, exec, s[2:3]
	s_movk_i32 s2, 0xff
	v_and_b32_sdwa v42, v25, s2 dst_sel:DWORD dst_unused:UNUSED_PAD src0_sel:WORD_1 src1_sel:DWORD
	v_lshrrev_b32_e32 v22, 16, v25
	v_cmp_ne_u16_e32 vcc, 0, v42
	s_and_saveexec_b64 s[2:3], vcc
	s_cbranch_execz .LBB607_389
; %bb.384:
	s_movk_i32 s8, 0x80
	v_cmp_ne_u16_e32 vcc, s8, v42
	v_bfrev_b32_e32 v24, 1
	s_and_saveexec_b64 s[8:9], vcc
	s_cbranch_execz .LBB607_388
; %bb.385:
	v_bfe_u32 v42, v25, 16, 7
	s_movk_i32 s10, 0x7f
	v_cmp_ne_u32_e32 vcc, s10, v42
	v_mov_b32_e32 v24, 0x7f800001
	s_and_saveexec_b64 s[10:11], vcc
	s_cbranch_execz .LBB607_387
; %bb.386:
	v_and_b32_e32 v24, 7, v22
	v_ffbh_u32_e32 v54, v24
	v_min_u32_e32 v56, 32, v54
	v_subrev_u32_e32 v54, 28, v56
	v_lshlrev_b64 v[54:55], v54, v[22:23]
	v_lshrrev_b32_e32 v53, 3, v42
	v_sub_u32_e32 v22, 29, v56
	v_and_b32_e32 v54, 7, v54
	v_cmp_gt_u32_e32 vcc, 8, v42
	v_mov_b32_e32 v42, 24
	v_cndmask_b32_e32 v22, v53, v22, vcc
	v_cndmask_b32_e32 v24, v24, v54, vcc
	v_lshlrev_b32_sdwa v42, v42, v25 dst_sel:DWORD dst_unused:UNUSED_PAD src0_sel:DWORD src1_sel:WORD_1
	v_bfrev_b32_e32 v53, 60
	v_lshlrev_b32_e32 v24, 20, v24
	v_and_b32_e32 v42, 0x80000000, v42
	v_lshl_add_u32 v22, v22, 23, v53
	v_or3_b32 v24, v42, v22, v24
.LBB607_387:
	s_or_b64 exec, exec, s[10:11]
.LBB607_388:
	s_or_b64 exec, exec, s[8:9]
.LBB607_389:
	s_or_b64 exec, exec, s[2:3]
	s_mov_b32 s2, 0xffffff
	v_and_b32_e32 v42, 63, v0
	v_cmp_lt_u32_e32 vcc, s2, v25
	v_mov_b32_e32 v53, 0
	s_and_saveexec_b64 s[2:3], vcc
	s_cbranch_execz .LBB607_395
; %bb.390:
	v_lshrrev_b32_e32 v22, 24, v25
	s_movk_i32 s8, 0x80
	v_cmp_ne_u32_e32 vcc, s8, v22
	v_bfrev_b32_e32 v53, 1
	s_and_saveexec_b64 s[8:9], vcc
	s_cbranch_execz .LBB607_394
; %bb.391:
	v_bfe_u32 v25, v25, 24, 7
	s_movk_i32 s10, 0x7f
	v_cmp_ne_u32_e32 vcc, s10, v25
	v_mov_b32_e32 v53, 0x7f800001
	s_and_saveexec_b64 s[10:11], vcc
	s_cbranch_execz .LBB607_393
; %bb.392:
	v_and_b32_e32 v53, 7, v22
	v_ffbh_u32_e32 v54, v53
	v_min_u32_e32 v57, 32, v54
	v_subrev_u32_e32 v54, 28, v57
	v_lshlrev_b64 v[54:55], v54, v[22:23]
	v_lshrrev_b32_e32 v56, 3, v25
	v_sub_u32_e32 v55, 29, v57
	v_and_b32_e32 v54, 7, v54
	v_cmp_gt_u32_e32 vcc, 8, v25
	v_cndmask_b32_e32 v25, v56, v55, vcc
	v_cndmask_b32_e32 v53, v53, v54, vcc
	v_lshlrev_b32_e32 v22, 24, v22
	v_bfrev_b32_e32 v54, 60
	v_lshlrev_b32_e32 v53, 20, v53
	v_and_b32_e32 v22, 0x80000000, v22
	v_lshl_add_u32 v25, v25, 23, v54
	v_or3_b32 v53, v22, v25, v53
.LBB607_393:
	s_or_b64 exec, exec, s[10:11]
.LBB607_394:
	s_or_b64 exec, exec, s[8:9]
.LBB607_395:
	s_or_b64 exec, exec, s[2:3]
	v_cvt_pkrtz_f16_f32 v54, v43, v44
	v_cvt_pkrtz_f16_f32 v55, v23, v51
	s_load_dword s2, s[4:5], 0x1c
	s_mov_b32 s46, 0xff7fffff
	s_waitcnt lgkmcnt(0)
	v_mfma_f32_16x16x16f16 v[26:29], v[54:55], v[18:19], v[26:29]
	v_cvt_pkrtz_f16_f32 v18, v45, v52
	v_cvt_pkrtz_f16_f32 v19, v24, v53
	v_mov_b32_e32 v22, s2
	v_and_b32_e32 v24, 0xc0, v0
	v_mul_f32_e32 v44, s12, v22
	v_add_u32_e32 v24, s20, v24
	v_pk_mul_f32 v[22:23], v[44:45], v[36:37] op_sel_hi:[0,1]
	v_mfma_f32_16x16x16f16 v[18:21], v[18:19], v[20:21], v[26:29]
	v_pk_mul_f32 v[34:35], v[44:45], v[34:35] op_sel_hi:[0,1]
	v_pk_mul_f32 v[36:37], v[44:45], v[40:41] op_sel_hi:[0,1]
	;; [unrolled: 1-line block ×5, first 2 shown]
	v_lshl_or_b32 v43, v1, 2, v24
	v_mov_b32_e32 v45, 0xff7fffff
	s_nop 3
	v_pk_mul_f32 v[32:33], v[44:45], v[18:19] op_sel_hi:[0,1]
	v_or_b32_e32 v19, 1, v43
	v_cmp_gt_i32_e64 s[26:27], s33, v43
	v_cmp_gt_i32_e64 s[28:29], s33, v19
	v_cndmask_b32_e64 v18, v45, v30, s[26:27]
	v_cndmask_b32_e64 v19, v45, v31, s[28:29]
	v_pk_mul_f32 v[24:25], v[44:45], v[20:21] op_sel_hi:[0,1]
	v_max3_f32 v18, v18, s46, v19
	v_or_b32_e32 v19, 2, v43
	v_or_b32_e32 v20, 3, v43
	v_cmp_gt_i32_e64 s[30:31], s33, v19
	v_cmp_gt_i32_e64 s[34:35], s33, v20
	v_cndmask_b32_e64 v19, v45, v40, s[30:31]
	v_cndmask_b32_e64 v20, v45, v41, s[34:35]
	v_max3_f32 v18, v18, v19, v20
	v_or_b32_e32 v19, 16, v43
	v_or_b32_e32 v20, 17, v43
	v_cmp_gt_i32_e64 s[36:37], s33, v19
	v_cmp_gt_i32_e64 s[38:39], s33, v20
	v_cndmask_b32_e64 v19, v45, v38, s[36:37]
	v_cndmask_b32_e64 v20, v45, v39, s[38:39]
	;; [unrolled: 7-line block ×6, first 2 shown]
	v_max3_f32 v18, v18, v19, v20
	v_or_b32_e32 v19, 50, v43
	v_or_b32_e32 v20, 51, v43
	v_cmp_gt_i32_e32 vcc, s33, v19
	v_cmp_gt_i32_e64 s[2:3], s33, v20
	v_cndmask_b32_e32 v19, v45, v24, vcc
	v_cndmask_b32_e64 v20, v45, v25, s[2:3]
	v_max3_f32 v18, v18, v19, v20
	v_mbcnt_lo_u32_b32 v19, -1, 0
	v_mbcnt_hi_u32_b32 v19, -1, v19
	v_and_b32_e32 v20, 64, v19
	v_add_u32_e32 v20, 64, v20
	v_xor_b32_e32 v21, 32, v19
	v_cmp_lt_i32_e64 s[40:41], v21, v20
	v_cndmask_b32_e64 v21, v19, v21, s[40:41]
	v_lshlrev_b32_e32 v44, 2, v21
	ds_bpermute_b32 v21, v44, v18
	s_barrier
	s_waitcnt lgkmcnt(0)
	v_max_f32_e32 v21, v21, v21
	v_max_f32_e32 v18, v18, v21
	v_xor_b32_e32 v21, 16, v19
	v_cmp_lt_i32_e64 s[40:41], v21, v20
	v_cndmask_b32_e64 v19, v19, v21, s[40:41]
	v_lshlrev_b32_e32 v45, 2, v19
	ds_bpermute_b32 v19, v45, v18
	s_waitcnt lgkmcnt(0)
	v_max_f32_e32 v19, v19, v19
	v_max_f32_e32 v43, v18, v19
	v_sub_f32_e32 v21, v40, v43
	v_sub_f32_e32 v26, v41, v43
	v_mul_f32_e32 v21, 0x3fb8aa3b, v21
	v_mul_f32_e32 v26, 0x3fb8aa3b, v26
	v_sub_f32_e32 v18, v30, v43
	v_exp_f32_e32 v21, v21
	v_exp_f32_e32 v26, v26
	v_mul_f32_e32 v18, 0x3fb8aa3b, v18
	v_sub_f32_e32 v19, v31, v43
	v_exp_f32_e32 v18, v18
	v_mul_f32_e32 v19, 0x3fb8aa3b, v19
	v_exp_f32_e32 v19, v19
	v_cndmask_b32_e64 v28, 0, v21, s[30:31]
	v_cndmask_b32_e64 v29, 0, v26, s[34:35]
	v_sub_f32_e32 v21, v38, v43
	v_sub_f32_e32 v26, v39, v43
	v_mul_f32_e32 v21, 0x3fb8aa3b, v21
	v_mul_f32_e32 v26, 0x3fb8aa3b, v26
	v_cndmask_b32_e64 v18, 0, v18, s[26:27]
	v_exp_f32_e32 v21, v21
	v_exp_f32_e32 v26, v26
	v_add_f32_e32 v20, 0, v18
	v_cndmask_b32_e64 v19, 0, v19, s[28:29]
	v_add_f32_e32 v20, v20, v19
	v_add_f32_e32 v20, v20, v28
	;; [unrolled: 1-line block ×3, first 2 shown]
	v_cndmask_b32_e64 v20, 0, v21, s[36:37]
	v_cndmask_b32_e64 v21, 0, v26, s[38:39]
	v_sub_f32_e32 v26, v36, v43
	v_mul_f32_e32 v26, 0x3fb8aa3b, v26
	v_exp_f32_e32 v26, v26
	v_sub_f32_e32 v30, v37, v43
	v_add_f32_e32 v27, v27, v20
	v_mul_f32_e32 v30, 0x3fb8aa3b, v30
	v_exp_f32_e32 v31, v30
	v_add_f32_e32 v27, v27, v21
	v_cndmask_b32_e64 v30, 0, v26, s[20:21]
	v_add_f32_e32 v26, v27, v30
	v_sub_f32_e32 v27, v34, v43
	v_mul_f32_e32 v27, 0x3fb8aa3b, v27
	v_sub_f32_e32 v34, v35, v43
	v_exp_f32_e32 v27, v27
	v_mul_f32_e32 v34, 0x3fb8aa3b, v34
	v_sub_f32_e32 v22, v22, v43
	v_exp_f32_e32 v34, v34
	;; [unrolled: 3-line block ×3, first 2 shown]
	v_mul_f32_e32 v23, 0x3fb8aa3b, v23
	v_cndmask_b32_e64 v31, 0, v31, s[22:23]
	v_exp_f32_e32 v23, v23
	v_add_f32_e32 v35, v26, v31
	v_cndmask_b32_e64 v26, 0, v27, s[16:17]
	v_add_f32_e32 v35, v35, v26
	v_cndmask_b32_e64 v27, 0, v34, s[18:19]
	v_add_f32_e32 v35, v35, v27
	v_cndmask_b32_e64 v34, 0, v22, s[12:13]
	v_add_f32_e32 v22, v35, v34
	v_cndmask_b32_e64 v35, 0, v23, s[14:15]
	v_sub_f32_e32 v23, v32, v43
	v_mul_f32_e32 v23, 0x3fb8aa3b, v23
	v_sub_f32_e32 v32, v33, v43
	v_exp_f32_e32 v23, v23
	v_mul_f32_e32 v32, 0x3fb8aa3b, v32
	v_sub_f32_e32 v24, v24, v43
	v_exp_f32_e32 v32, v32
	v_mul_f32_e32 v24, 0x3fb8aa3b, v24
	v_sub_f32_e32 v25, v25, v43
	v_exp_f32_e32 v24, v24
	v_mul_f32_e32 v25, 0x3fb8aa3b, v25
	v_exp_f32_e32 v25, v25
	v_add_f32_e32 v33, v22, v35
	v_cndmask_b32_e64 v22, 0, v23, s[8:9]
	v_add_f32_e32 v33, v33, v22
	v_cndmask_b32_e64 v23, 0, v32, s[10:11]
	v_add_f32_e32 v32, v33, v23
	v_cndmask_b32_e32 v24, 0, v24, vcc
	v_add_f32_e32 v32, v32, v24
	v_cndmask_b32_e64 v25, 0, v25, s[2:3]
	v_add_f32_e32 v32, v32, v25
	ds_bpermute_b32 v33, v44, v32
	v_cmp_gt_u32_e32 vcc, 16, v42
	s_waitcnt lgkmcnt(0)
	v_add_f32_e32 v33, v32, v33
	ds_bpermute_b32 v36, v45, v33
	v_lshlrev_b32_e32 v32, 2, v50
	s_and_saveexec_b64 s[2:3], vcc
	s_cbranch_execz .LBB607_397
; %bb.396:
	s_waitcnt lgkmcnt(0)
	v_add_f32_e32 v33, v33, v36
	v_lshl_or_b32 v36, v49, 6, v32
	ds_write2st64_b32 v36, v43, v33 offset1:1
.LBB607_397:
	s_or_b64 exec, exec, s[2:3]
	s_waitcnt lgkmcnt(0)
	s_barrier
	ds_read2_b32 v[36:37], v32 offset1:16
	ds_read2_b32 v[38:39], v32 offset0:32 offset1:48
	ds_read2_b32 v[40:41], v32 offset0:64 offset1:80
	;; [unrolled: 1-line block ×3, first 2 shown]
	s_waitcnt lgkmcnt(0)
	v_max3_f32 v33, v36, s46, v37
	v_max3_f32 v33, v33, v38, v39
	v_sub_f32_e32 v36, v36, v33
	v_mul_f32_e32 v36, 0x3fb8aa3b, v36
	v_exp_f32_e32 v43, v36
	v_sub_f32_e32 v36, v37, v33
	v_mul_f32_e32 v36, 0x3fb8aa3b, v36
	v_exp_f32_e32 v37, v36
	v_sub_f32_e32 v36, v38, v33
	v_mul_f32_e32 v36, 0x3fb8aa3b, v36
	v_sub_f32_e32 v32, v39, v33
	v_exp_f32_e32 v38, v36
	v_mul_f32_e32 v32, 0x3fb8aa3b, v32
	v_exp_f32_e32 v39, v32
	v_fma_f32 v36, v43, v40, 0
	v_fmac_f32_e32 v36, v37, v41
	v_fmac_f32_e32 v36, v38, v44
	;; [unrolled: 1-line block ×3, first 2 shown]
	v_add_f32_e32 v40, 0x358637bd, v36
	v_div_scale_f32 v41, s[2:3], v40, v40, 1.0
	v_rcp_f32_e32 v44, v41
	s_barrier
	s_lshl_b32 s12, s45, 1
	v_fma_f32 v45, -v41, v44, 1.0
	v_fmac_f32_e32 v44, v45, v44
	v_div_scale_f32 v45, vcc, 1.0, v40, 1.0
	v_mul_f32_e32 v50, v45, v44
	v_fma_f32 v51, -v41, v50, v45
	v_fmac_f32_e32 v50, v51, v44
	v_fma_f32 v41, -v41, v50, v45
	v_div_fmas_f32 v41, v41, v44, v50
	v_cmp_eq_u32_e32 vcc, 1, v49
	v_cndmask_b32_e32 v37, v43, v37, vcc
	v_cmp_eq_u32_e32 vcc, 2, v49
	v_cndmask_b32_e32 v37, v37, v38, vcc
	v_cmp_eq_u32_e32 vcc, 3, v49
	v_div_fixup_f32 v40, v41, v40, 1.0
	v_cndmask_b32_e32 v37, v37, v39, vcc
	v_mul_f32_e32 v38, v37, v40
	v_pk_mul_f32 v[28:29], v[38:39], v[28:29] op_sel_hi:[0,1]
	v_pk_mul_f32 v[18:19], v[38:39], v[18:19] op_sel_hi:[0,1]
	v_cvt_f16_f32_e32 v18, v18
	v_cvt_f16_f32_e32 v19, v19
	;; [unrolled: 1-line block ×4, first 2 shown]
	v_pk_mul_f32 v[20:21], v[38:39], v[20:21] op_sel_hi:[0,1]
	v_pack_b32_f16 v18, v18, v19
	v_cvt_f16_f32_e32 v20, v20
	v_pack_b32_f16 v19, v28, v29
	v_pk_mul_f32 v[28:29], v[38:39], v[30:31] op_sel_hi:[0,1]
	v_cvt_f16_f32_e32 v21, v21
	v_cvt_f16_f32_e32 v30, v28
	v_cvt_f16_f32_e32 v29, v29
	v_lshlrev_b32_e32 v37, 3, v1
	v_lshlrev_b32_e32 v28, 11, v49
	v_or3_b32 v28, v28, v48, v37
	v_pack_b32_f16 v20, v20, v21
	v_pack_b32_f16 v21, v30, v29
	ds_write2st64_b64 v28, v[18:19], v[20:21] offset1:1
	v_pk_mul_f32 v[18:19], v[38:39], v[34:35] op_sel_hi:[0,1]
	v_pk_mul_f32 v[20:21], v[38:39], v[26:27] op_sel_hi:[0,1]
	v_cvt_f16_f32_e32 v26, v20
	v_cvt_f16_f32_e32 v27, v21
	;; [unrolled: 1-line block ×4, first 2 shown]
	v_pk_mul_f32 v[18:19], v[38:39], v[24:25] op_sel_hi:[0,1]
	v_pk_mul_f32 v[20:21], v[38:39], v[22:23] op_sel_hi:[0,1]
	v_cvt_f16_f32_e32 v20, v20
	v_cvt_f16_f32_e32 v21, v21
	;; [unrolled: 1-line block ×4, first 2 shown]
	v_mov_b32_e32 v32, 0
	v_pack_b32_f16 v18, v26, v27
	v_pack_b32_f16 v19, v29, v30
	;; [unrolled: 1-line block ×4, first 2 shown]
	v_cmp_gt_u32_e32 vcc, 2, v0
	ds_write2st64_b64 v28, v[18:19], v[20:21] offset0:2 offset1:3
	s_and_saveexec_b64 s[2:3], vcc
	s_cbranch_execz .LBB607_399
; %bb.398:
	v_or_b32_e32 v18, s25, v0
	v_mov_b32_e32 v19, 0
	v_mov_b32_e32 v20, s12
	v_mad_u64_u32 v[20:21], s[14:15], s6, v20, v[18:19]
	v_mov_b32_e32 v18, s24
	s_load_dwordx4 s[8:11], s[4:5], 0x58
	s_mul_i32 s7, s7, s12
	v_mad_u64_u32 v[18:19], s[14:15], v20, s44, v[18:19]
	v_add_u32_e32 v21, s7, v21
	v_mov_b32_e32 v20, v19
	v_mad_u64_u32 v[20:21], s[14:15], v21, s44, v[20:21]
	v_mov_b32_e32 v19, v20
	v_lshlrev_b64 v[18:19], 2, v[18:19]
	s_waitcnt lgkmcnt(0)
	v_mov_b32_e32 v21, s11
	v_add_co_u32_e32 v20, vcc, s10, v18
	v_addc_co_u32_e32 v21, vcc, v21, v19, vcc
	global_store_dword v[20:21], v33, off
	v_mov_b32_e32 v20, s9
	v_add_co_u32_e32 v18, vcc, s8, v18
	v_addc_co_u32_e32 v19, vcc, v20, v19, vcc
	global_store_dword v[18:19], v36, off
.LBB607_399:
	s_or_b64 exec, exec, s[2:3]
	v_mov_b32_e32 v19, 0
	s_waitcnt vmcnt(3)
	v_cmp_ne_u16_sdwa s[8:9], v14, v19 src0_sel:BYTE_0 src1_sel:DWORD
	s_waitcnt lgkmcnt(0)
	s_barrier
	s_and_saveexec_b64 s[2:3], s[8:9]
	s_cbranch_execz .LBB607_405
; %bb.400:
	s_movk_i32 s7, 0x80
	v_cmp_ne_u16_sdwa s[10:11], v14, s7 src0_sel:BYTE_0 src1_sel:DWORD
	v_bfrev_b32_e32 v32, 1
	s_and_saveexec_b64 s[8:9], s[10:11]
	s_cbranch_execz .LBB607_404
; %bb.401:
	s_movk_i32 s7, 0x7f
	v_and_b32_e32 v18, 0x7f, v14
	v_cmp_ne_u32_e32 vcc, s7, v18
	v_mov_b32_e32 v32, 0x7f800001
	s_and_saveexec_b64 s[10:11], vcc
	s_cbranch_execz .LBB607_403
; %bb.402:
	v_and_b32_e32 v22, 7, v14
	v_ffbh_u32_e32 v20, v22
	v_min_u32_e32 v24, 32, v20
	v_subrev_u32_e32 v20, 28, v24
	v_lshlrev_b64 v[20:21], v20, v[14:15]
	v_lshrrev_b32_e32 v23, 3, v18
	v_sub_u32_e32 v21, 29, v24
	v_and_b32_e32 v20, 7, v20
	v_cmp_gt_u32_e32 vcc, 8, v18
	v_cndmask_b32_e32 v18, v23, v21, vcc
	v_cndmask_b32_e32 v20, v22, v20, vcc
	v_lshlrev_b32_e32 v21, 24, v14
	v_bfrev_b32_e32 v22, 60
	v_lshlrev_b32_e32 v20, 20, v20
	v_and_b32_e32 v21, 0x80000000, v21
	v_lshl_add_u32 v18, v18, 23, v22
	v_or3_b32 v32, v21, v18, v20
.LBB607_403:
	s_or_b64 exec, exec, s[10:11]
.LBB607_404:
	s_or_b64 exec, exec, s[8:9]
.LBB607_405:
	s_or_b64 exec, exec, s[2:3]
	v_lshrrev_b16_e32 v18, 8, v14
	v_cmp_ne_u16_e32 vcc, 0, v18
	v_mov_b32_e32 v20, 0
	s_and_saveexec_b64 s[2:3], vcc
	s_cbranch_execz .LBB607_411
; %bb.406:
	s_movk_i32 s7, 0x80
	v_cmp_ne_u16_e32 vcc, s7, v18
	v_bfrev_b32_e32 v20, 1
	s_and_saveexec_b64 s[8:9], vcc
	s_cbranch_execz .LBB607_410
; %bb.407:
	s_movk_i32 s7, 0x7f
	v_and_b32_e32 v21, 0x7f, v18
	v_cmp_ne_u32_e32 vcc, s7, v21
	v_mov_b32_e32 v20, 0x7f800001
	s_and_saveexec_b64 s[10:11], vcc
	s_cbranch_execz .LBB607_409
; %bb.408:
	v_and_b32_e32 v20, 7, v18
	v_ffbh_u32_e32 v22, v20
	v_min_u32_e32 v25, 32, v22
	v_subrev_u32_e32 v22, 28, v25
	v_lshlrev_b64 v[22:23], v22, v[18:19]
	v_lshrrev_b32_e32 v24, 3, v21
	v_sub_u32_e32 v18, 29, v25
	v_and_b32_e32 v22, 7, v22
	v_cmp_gt_u32_e32 vcc, 8, v21
	v_cndmask_b32_e32 v18, v24, v18, vcc
	v_cndmask_b32_e32 v20, v20, v22, vcc
	v_lshlrev_b32_e32 v21, 16, v14
	v_bfrev_b32_e32 v22, 60
	v_lshlrev_b32_e32 v20, 20, v20
	v_and_b32_e32 v21, 0x80000000, v21
	v_lshl_add_u32 v18, v18, 23, v22
	v_or3_b32 v20, v21, v18, v20
.LBB607_409:
	s_or_b64 exec, exec, s[10:11]
.LBB607_410:
	s_or_b64 exec, exec, s[8:9]
.LBB607_411:
	s_or_b64 exec, exec, s[2:3]
	s_movk_i32 s2, 0xff
	v_and_b32_sdwa v21, v14, s2 dst_sel:DWORD dst_unused:UNUSED_PAD src0_sel:WORD_1 src1_sel:DWORD
	v_lshrrev_b32_e32 v18, 16, v14
	v_cmp_ne_u16_e32 vcc, 0, v21
	s_and_saveexec_b64 s[2:3], vcc
	s_cbranch_execz .LBB607_417
; %bb.412:
	s_movk_i32 s7, 0x80
	v_cmp_ne_u16_e32 vcc, s7, v21
	v_bfrev_b32_e32 v19, 1
	s_and_saveexec_b64 s[8:9], vcc
	s_cbranch_execz .LBB607_416
; %bb.413:
	v_bfe_u32 v21, v14, 16, 7
	s_movk_i32 s7, 0x7f
	v_cmp_ne_u32_e32 vcc, s7, v21
	v_mov_b32_e32 v19, 0x7f800001
	s_and_saveexec_b64 s[10:11], vcc
	s_cbranch_execz .LBB607_415
; %bb.414:
	v_and_b32_e32 v22, 7, v18
	v_ffbh_u32_e32 v19, v22
	v_min_u32_e32 v24, 32, v19
	v_subrev_u32_e32 v19, 28, v24
	v_lshlrev_b64 v[18:19], v19, v[18:19]
	v_lshrrev_b32_e32 v23, 3, v21
	v_sub_u32_e32 v19, 29, v24
	v_and_b32_e32 v18, 7, v18
	v_cmp_gt_u32_e32 vcc, 8, v21
	v_mov_b32_e32 v21, 24
	v_cndmask_b32_e32 v19, v23, v19, vcc
	v_cndmask_b32_e32 v18, v22, v18, vcc
	v_lshlrev_b32_sdwa v21, v21, v14 dst_sel:DWORD dst_unused:UNUSED_PAD src0_sel:DWORD src1_sel:WORD_1
	v_bfrev_b32_e32 v22, 60
	v_lshlrev_b32_e32 v18, 20, v18
	v_and_b32_e32 v21, 0x80000000, v21
	v_lshl_add_u32 v19, v19, 23, v22
	v_or3_b32 v19, v21, v19, v18
.LBB607_415:
	s_or_b64 exec, exec, s[10:11]
.LBB607_416:
	s_or_b64 exec, exec, s[8:9]
.LBB607_417:
	s_or_b64 exec, exec, s[2:3]
	s_mov_b32 s2, 0xffffff
	v_cmp_lt_u32_e32 vcc, s2, v14
	v_mov_b32_e32 v21, 0
	v_mov_b32_e32 v22, 0
	s_and_saveexec_b64 s[2:3], vcc
	s_cbranch_execz .LBB607_423
; %bb.418:
	v_lshrrev_b32_e32 v18, 24, v14
	s_movk_i32 s7, 0x80
	v_cmp_ne_u32_e32 vcc, s7, v18
	v_bfrev_b32_e32 v22, 1
	s_and_saveexec_b64 s[8:9], vcc
	s_cbranch_execz .LBB607_422
; %bb.419:
	v_bfe_u32 v14, v14, 24, 7
	s_movk_i32 s7, 0x7f
	v_cmp_ne_u32_e32 vcc, s7, v14
	v_mov_b32_e32 v22, 0x7f800001
	s_and_saveexec_b64 s[10:11], vcc
	s_cbranch_execz .LBB607_421
; %bb.420:
	v_and_b32_e32 v24, 7, v18
	v_ffbh_u32_e32 v22, v24
	v_min_u32_e32 v26, 32, v22
	v_subrev_u32_e32 v22, 28, v26
	v_lshlrev_b64 v[22:23], v22, v[18:19]
	v_lshrrev_b32_e32 v25, 3, v14
	v_sub_u32_e32 v23, 29, v26
	v_and_b32_e32 v22, 7, v22
	v_cmp_gt_u32_e32 vcc, 8, v14
	v_cndmask_b32_e32 v14, v25, v23, vcc
	v_cndmask_b32_e32 v22, v24, v22, vcc
	v_lshlrev_b32_e32 v18, 24, v18
	v_bfrev_b32_e32 v23, 60
	v_lshlrev_b32_e32 v22, 20, v22
	v_and_b32_e32 v18, 0x80000000, v18
	v_lshl_add_u32 v14, v14, 23, v23
	v_or3_b32 v22, v18, v14, v22
.LBB607_421:
	s_or_b64 exec, exec, s[10:11]
.LBB607_422:
	s_or_b64 exec, exec, s[8:9]
.LBB607_423:
	s_or_b64 exec, exec, s[2:3]
	v_cmp_ne_u16_sdwa s[8:9], v15, v21 src0_sel:BYTE_0 src1_sel:DWORD
	s_and_saveexec_b64 s[2:3], s[8:9]
	s_cbranch_execz .LBB607_429
; %bb.424:
	s_movk_i32 s7, 0x80
	v_cmp_ne_u16_sdwa s[10:11], v15, s7 src0_sel:BYTE_0 src1_sel:DWORD
	v_bfrev_b32_e32 v21, 1
	s_and_saveexec_b64 s[8:9], s[10:11]
	s_cbranch_execz .LBB607_428
; %bb.425:
	s_movk_i32 s7, 0x7f
	v_and_b32_e32 v14, 0x7f, v15
	v_cmp_ne_u32_e32 vcc, s7, v14
	v_mov_b32_e32 v21, 0x7f800001
	s_and_saveexec_b64 s[10:11], vcc
	s_cbranch_execz .LBB607_427
; %bb.426:
	v_and_b32_e32 v21, 7, v15
	v_ffbh_u32_e32 v24, v21
	v_min_u32_e32 v26, 32, v24
	v_mov_b32_e32 v18, v15
	v_subrev_u32_e32 v24, 28, v26
	v_lshlrev_b64 v[24:25], v24, v[18:19]
	v_lshrrev_b32_e32 v23, 3, v14
	v_sub_u32_e32 v18, 29, v26
	v_and_b32_e32 v24, 7, v24
	v_cmp_gt_u32_e32 vcc, 8, v14
	v_cndmask_b32_e32 v14, v23, v18, vcc
	v_cndmask_b32_e32 v18, v21, v24, vcc
	v_lshlrev_b32_e32 v21, 24, v15
	v_bfrev_b32_e32 v23, 60
	v_lshlrev_b32_e32 v18, 20, v18
	v_and_b32_e32 v21, 0x80000000, v21
	v_lshl_add_u32 v14, v14, 23, v23
	v_or3_b32 v21, v21, v14, v18
.LBB607_427:
	s_or_b64 exec, exec, s[10:11]
.LBB607_428:
	s_or_b64 exec, exec, s[8:9]
.LBB607_429:
	s_or_b64 exec, exec, s[2:3]
	v_lshrrev_b16_e32 v14, 8, v15
	v_cmp_ne_u16_e32 vcc, 0, v14
	v_mov_b32_e32 v18, 0
	v_mov_b32_e32 v24, 0
	s_and_saveexec_b64 s[2:3], vcc
	s_cbranch_execz .LBB607_435
; %bb.430:
	s_movk_i32 s7, 0x80
	v_cmp_ne_u16_e32 vcc, s7, v14
	v_bfrev_b32_e32 v24, 1
	s_and_saveexec_b64 s[8:9], vcc
	s_cbranch_execz .LBB607_434
; %bb.431:
	s_movk_i32 s7, 0x7f
	v_and_b32_e32 v23, 0x7f, v14
	v_cmp_ne_u32_e32 vcc, s7, v23
	v_mov_b32_e32 v24, 0x7f800001
	s_and_saveexec_b64 s[10:11], vcc
	s_cbranch_execz .LBB607_433
; %bb.432:
	v_and_b32_e32 v26, 7, v14
	v_ffbh_u32_e32 v24, v26
	v_min_u32_e32 v29, 32, v24
	v_subrev_u32_e32 v24, 28, v29
	v_lshlrev_b64 v[24:25], v24, v[14:15]
	v_lshrrev_b32_e32 v27, 3, v23
	v_sub_u32_e32 v14, 29, v29
	v_and_b32_e32 v24, 7, v24
	v_cmp_gt_u32_e32 vcc, 8, v23
	v_cndmask_b32_e32 v14, v27, v14, vcc
	v_cndmask_b32_e32 v23, v26, v24, vcc
	v_lshlrev_b32_e32 v24, 16, v15
	v_bfrev_b32_e32 v25, 60
	v_lshlrev_b32_e32 v23, 20, v23
	v_and_b32_e32 v24, 0x80000000, v24
	v_lshl_add_u32 v14, v14, 23, v25
	v_or3_b32 v24, v24, v14, v23
.LBB607_433:
	s_or_b64 exec, exec, s[10:11]
.LBB607_434:
	s_or_b64 exec, exec, s[8:9]
.LBB607_435:
	s_or_b64 exec, exec, s[2:3]
	s_movk_i32 s2, 0xff
	v_and_b32_sdwa v23, v15, s2 dst_sel:DWORD dst_unused:UNUSED_PAD src0_sel:WORD_1 src1_sel:DWORD
	v_lshrrev_b32_e32 v14, 16, v15
	v_cmp_ne_u16_e32 vcc, 0, v23
	s_and_saveexec_b64 s[2:3], vcc
	s_cbranch_execz .LBB607_441
; %bb.436:
	s_movk_i32 s7, 0x80
	v_cmp_ne_u16_e32 vcc, s7, v23
	v_bfrev_b32_e32 v18, 1
	s_and_saveexec_b64 s[8:9], vcc
	s_cbranch_execz .LBB607_440
; %bb.437:
	v_bfe_u32 v23, v15, 16, 7
	s_movk_i32 s7, 0x7f
	v_cmp_ne_u32_e32 vcc, s7, v23
	v_mov_b32_e32 v18, 0x7f800001
	s_and_saveexec_b64 s[10:11], vcc
	s_cbranch_execz .LBB607_439
; %bb.438:
	v_and_b32_e32 v18, 7, v14
	v_ffbh_u32_e32 v26, v18
	v_min_u32_e32 v29, 32, v26
	v_subrev_u32_e32 v26, 28, v29
	v_lshlrev_b64 v[26:27], v26, v[14:15]
	v_lshrrev_b32_e32 v25, 3, v23
	v_sub_u32_e32 v14, 29, v29
	v_and_b32_e32 v26, 7, v26
	v_cmp_gt_u32_e32 vcc, 8, v23
	v_mov_b32_e32 v23, 24
	v_cndmask_b32_e32 v14, v25, v14, vcc
	v_cndmask_b32_e32 v18, v18, v26, vcc
	v_lshlrev_b32_sdwa v23, v23, v15 dst_sel:DWORD dst_unused:UNUSED_PAD src0_sel:DWORD src1_sel:WORD_1
	v_bfrev_b32_e32 v25, 60
	v_lshlrev_b32_e32 v18, 20, v18
	v_and_b32_e32 v23, 0x80000000, v23
	v_lshl_add_u32 v14, v14, 23, v25
	v_or3_b32 v18, v23, v14, v18
.LBB607_439:
	s_or_b64 exec, exec, s[10:11]
.LBB607_440:
	s_or_b64 exec, exec, s[8:9]
.LBB607_441:
	s_or_b64 exec, exec, s[2:3]
	s_mov_b32 s2, 0xffffff
	v_cmp_lt_u32_e32 vcc, s2, v15
	v_mov_b32_e32 v23, 0
	v_mov_b32_e32 v25, 0
	s_and_saveexec_b64 s[2:3], vcc
	s_cbranch_execz .LBB607_447
; %bb.442:
	v_lshrrev_b32_e32 v14, 24, v15
	s_movk_i32 s7, 0x80
	v_cmp_ne_u32_e32 vcc, s7, v14
	v_bfrev_b32_e32 v25, 1
	s_and_saveexec_b64 s[8:9], vcc
	s_cbranch_execz .LBB607_446
; %bb.443:
	v_bfe_u32 v15, v15, 24, 7
	s_movk_i32 s7, 0x7f
	v_cmp_ne_u32_e32 vcc, s7, v15
	v_mov_b32_e32 v25, 0x7f800001
	s_and_saveexec_b64 s[10:11], vcc
	s_cbranch_execz .LBB607_445
; %bb.444:
	v_and_b32_e32 v25, 7, v14
	v_ffbh_u32_e32 v26, v25
	v_min_u32_e32 v30, 32, v26
	v_subrev_u32_e32 v26, 28, v30
	v_lshlrev_b64 v[26:27], v26, v[14:15]
	v_lshrrev_b32_e32 v29, 3, v15
	v_sub_u32_e32 v27, 29, v30
	v_and_b32_e32 v26, 7, v26
	v_cmp_gt_u32_e32 vcc, 8, v15
	v_cndmask_b32_e32 v15, v29, v27, vcc
	v_cndmask_b32_e32 v25, v25, v26, vcc
	v_lshlrev_b32_e32 v14, 24, v14
	v_bfrev_b32_e32 v26, 60
	v_lshlrev_b32_e32 v25, 20, v25
	v_and_b32_e32 v14, 0x80000000, v14
	v_lshl_add_u32 v15, v15, 23, v26
	v_or3_b32 v25, v14, v15, v25
.LBB607_445:
	s_or_b64 exec, exec, s[10:11]
.LBB607_446:
	s_or_b64 exec, exec, s[8:9]
.LBB607_447:
	s_or_b64 exec, exec, s[2:3]
	v_cvt_pkrtz_f16_f32 v15, v19, v22
	v_lshl_or_b32 v22, v1, 9, v48
	v_cvt_pkrtz_f16_f32 v14, v32, v20
	ds_read_b128 v[30:33], v22
	v_cmp_ne_u16_sdwa s[8:9], v16, v23 src0_sel:BYTE_0 src1_sel:DWORD
	s_waitcnt lgkmcnt(0)
	v_mfma_f32_16x16x16f16 v[34:37], v[14:15], v[30:31], 0
	v_cvt_pkrtz_f16_f32 v14, v21, v24
	v_cvt_pkrtz_f16_f32 v15, v18, v25
	s_nop 1
	v_mfma_f32_16x16x16f16 v[18:21], v[14:15], v[32:33], v[34:37]
	s_and_saveexec_b64 s[2:3], s[8:9]
	s_cbranch_execz .LBB607_453
; %bb.448:
	s_movk_i32 s7, 0x80
	v_cmp_ne_u16_sdwa s[10:11], v16, s7 src0_sel:BYTE_0 src1_sel:DWORD
	v_bfrev_b32_e32 v23, 1
	s_and_saveexec_b64 s[8:9], s[10:11]
	s_cbranch_execz .LBB607_452
; %bb.449:
	s_movk_i32 s7, 0x7f
	v_and_b32_e32 v14, 0x7f, v16
	v_cmp_ne_u32_e32 vcc, s7, v14
	v_mov_b32_e32 v23, 0x7f800001
	s_and_saveexec_b64 s[10:11], vcc
	s_cbranch_execz .LBB607_451
; %bb.450:
	v_and_b32_e32 v15, 7, v16
	v_ffbh_u32_e32 v24, v15
	v_min_u32_e32 v26, 32, v24
	v_subrev_u32_e32 v24, 28, v26
	v_lshlrev_b64 v[24:25], v24, v[16:17]
	v_lshrrev_b32_e32 v23, 3, v14
	v_sub_u32_e32 v25, 29, v26
	v_and_b32_e32 v24, 7, v24
	v_cmp_gt_u32_e32 vcc, 8, v14
	v_cndmask_b32_e32 v14, v23, v25, vcc
	v_cndmask_b32_e32 v15, v15, v24, vcc
	v_lshlrev_b32_e32 v23, 24, v16
	v_bfrev_b32_e32 v24, 60
	v_lshlrev_b32_e32 v15, 20, v15
	v_and_b32_e32 v23, 0x80000000, v23
	v_lshl_add_u32 v14, v14, 23, v24
	v_or3_b32 v23, v23, v14, v15
.LBB607_451:
	s_or_b64 exec, exec, s[10:11]
.LBB607_452:
	s_or_b64 exec, exec, s[8:9]
.LBB607_453:
	s_or_b64 exec, exec, s[2:3]
	v_lshrrev_b16_e32 v14, 8, v16
	v_cmp_ne_u16_e32 vcc, 0, v14
	v_mov_b32_e32 v15, 0
	v_mov_b32_e32 v25, 0
	s_and_saveexec_b64 s[2:3], vcc
	s_cbranch_execz .LBB607_459
; %bb.454:
	s_movk_i32 s7, 0x80
	v_cmp_ne_u16_e32 vcc, s7, v14
	v_bfrev_b32_e32 v25, 1
	s_and_saveexec_b64 s[8:9], vcc
	s_cbranch_execz .LBB607_458
; %bb.455:
	s_movk_i32 s7, 0x7f
	v_and_b32_e32 v24, 0x7f, v14
	v_cmp_ne_u32_e32 vcc, s7, v24
	v_mov_b32_e32 v25, 0x7f800001
	s_and_saveexec_b64 s[10:11], vcc
	s_cbranch_execz .LBB607_457
; %bb.456:
	v_and_b32_e32 v25, 7, v14
	v_ffbh_u32_e32 v26, v25
	v_min_u32_e32 v30, 32, v26
	v_subrev_u32_e32 v26, 28, v30
	v_lshlrev_b64 v[26:27], v26, v[14:15]
	v_lshrrev_b32_e32 v29, 3, v24
	v_sub_u32_e32 v14, 29, v30
	v_and_b32_e32 v26, 7, v26
	v_cmp_gt_u32_e32 vcc, 8, v24
	v_cndmask_b32_e32 v14, v29, v14, vcc
	v_cndmask_b32_e32 v24, v25, v26, vcc
	v_lshlrev_b32_e32 v25, 16, v16
	v_bfrev_b32_e32 v26, 60
	v_lshlrev_b32_e32 v24, 20, v24
	v_and_b32_e32 v25, 0x80000000, v25
	v_lshl_add_u32 v14, v14, 23, v26
	v_or3_b32 v25, v25, v14, v24
.LBB607_457:
	s_or_b64 exec, exec, s[10:11]
.LBB607_458:
	s_or_b64 exec, exec, s[8:9]
.LBB607_459:
	s_or_b64 exec, exec, s[2:3]
	s_movk_i32 s2, 0xff
	v_and_b32_sdwa v24, v16, s2 dst_sel:DWORD dst_unused:UNUSED_PAD src0_sel:WORD_1 src1_sel:DWORD
	v_lshrrev_b32_e32 v14, 16, v16
	v_cmp_ne_u16_e32 vcc, 0, v24
	s_and_saveexec_b64 s[2:3], vcc
	s_cbranch_execz .LBB607_465
; %bb.460:
	s_movk_i32 s7, 0x80
	v_cmp_ne_u16_e32 vcc, s7, v24
	v_bfrev_b32_e32 v15, 1
	s_and_saveexec_b64 s[8:9], vcc
	s_cbranch_execz .LBB607_464
; %bb.461:
	v_bfe_u32 v24, v16, 16, 7
	s_movk_i32 s7, 0x7f
	v_cmp_ne_u32_e32 vcc, s7, v24
	v_mov_b32_e32 v15, 0x7f800001
	s_and_saveexec_b64 s[10:11], vcc
	s_cbranch_execz .LBB607_463
; %bb.462:
	v_and_b32_e32 v26, 7, v14
	v_ffbh_u32_e32 v15, v26
	v_min_u32_e32 v29, 32, v15
	v_subrev_u32_e32 v15, 28, v29
	v_lshlrev_b64 v[14:15], v15, v[14:15]
	v_lshrrev_b32_e32 v27, 3, v24
	v_sub_u32_e32 v15, 29, v29
	v_and_b32_e32 v14, 7, v14
	v_cmp_gt_u32_e32 vcc, 8, v24
	v_mov_b32_e32 v24, 24
	v_cndmask_b32_e32 v15, v27, v15, vcc
	v_cndmask_b32_e32 v14, v26, v14, vcc
	v_lshlrev_b32_sdwa v24, v24, v16 dst_sel:DWORD dst_unused:UNUSED_PAD src0_sel:DWORD src1_sel:WORD_1
	v_bfrev_b32_e32 v26, 60
	v_lshlrev_b32_e32 v14, 20, v14
	v_and_b32_e32 v24, 0x80000000, v24
	v_lshl_add_u32 v15, v15, 23, v26
	v_or3_b32 v15, v24, v15, v14
.LBB607_463:
	s_or_b64 exec, exec, s[10:11]
.LBB607_464:
	s_or_b64 exec, exec, s[8:9]
.LBB607_465:
	s_or_b64 exec, exec, s[2:3]
	s_mov_b32 s2, 0xffffff
	v_cmp_lt_u32_e32 vcc, s2, v16
	v_mov_b32_e32 v26, 0
	v_mov_b32_e32 v27, 0
	s_and_saveexec_b64 s[2:3], vcc
	s_cbranch_execz .LBB607_471
; %bb.466:
	v_lshrrev_b32_e32 v14, 24, v16
	s_movk_i32 s7, 0x80
	v_cmp_ne_u32_e32 vcc, s7, v14
	v_bfrev_b32_e32 v27, 1
	s_and_saveexec_b64 s[8:9], vcc
	s_cbranch_execz .LBB607_470
; %bb.467:
	v_bfe_u32 v16, v16, 24, 7
	s_movk_i32 s7, 0x7f
	v_cmp_ne_u32_e32 vcc, s7, v16
	v_mov_b32_e32 v27, 0x7f800001
	s_and_saveexec_b64 s[10:11], vcc
	s_cbranch_execz .LBB607_469
; %bb.468:
	v_and_b32_e32 v24, 7, v14
	v_ffbh_u32_e32 v29, v24
	v_min_u32_e32 v29, 32, v29
	v_subrev_u32_e32 v30, 28, v29
	v_lshlrev_b64 v[30:31], v30, v[14:15]
	v_lshrrev_b32_e32 v27, 3, v16
	v_sub_u32_e32 v29, 29, v29
	v_and_b32_e32 v30, 7, v30
	v_cmp_gt_u32_e32 vcc, 8, v16
	v_cndmask_b32_e32 v16, v27, v29, vcc
	v_cndmask_b32_e32 v24, v24, v30, vcc
	v_lshlrev_b32_e32 v14, 24, v14
	v_bfrev_b32_e32 v27, 60
	v_lshlrev_b32_e32 v24, 20, v24
	v_and_b32_e32 v14, 0x80000000, v14
	v_lshl_add_u32 v16, v16, 23, v27
	v_or3_b32 v27, v14, v16, v24
.LBB607_469:
	s_or_b64 exec, exec, s[10:11]
.LBB607_470:
	s_or_b64 exec, exec, s[8:9]
.LBB607_471:
	s_or_b64 exec, exec, s[2:3]
	v_cmp_ne_u16_sdwa s[8:9], v17, v26 src0_sel:BYTE_0 src1_sel:DWORD
	s_and_saveexec_b64 s[2:3], s[8:9]
	s_cbranch_execz .LBB607_477
; %bb.472:
	s_movk_i32 s7, 0x80
	v_cmp_ne_u16_sdwa s[10:11], v17, s7 src0_sel:BYTE_0 src1_sel:DWORD
	v_bfrev_b32_e32 v26, 1
	s_and_saveexec_b64 s[8:9], s[10:11]
	s_cbranch_execz .LBB607_476
; %bb.473:
	s_movk_i32 s7, 0x7f
	v_and_b32_e32 v14, 0x7f, v17
	v_cmp_ne_u32_e32 vcc, s7, v14
	v_mov_b32_e32 v26, 0x7f800001
	s_and_saveexec_b64 s[10:11], vcc
	s_cbranch_execz .LBB607_475
; %bb.474:
	v_and_b32_e32 v24, 7, v17
	v_ffbh_u32_e32 v29, v24
	v_min_u32_e32 v29, 32, v29
	v_mov_b32_e32 v16, v17
	v_subrev_u32_e32 v30, 28, v29
	v_lshlrev_b64 v[30:31], v30, v[16:17]
	v_lshrrev_b32_e32 v26, 3, v14
	v_sub_u32_e32 v16, 29, v29
	v_and_b32_e32 v29, 7, v30
	v_cmp_gt_u32_e32 vcc, 8, v14
	v_cndmask_b32_e32 v14, v26, v16, vcc
	v_cndmask_b32_e32 v16, v24, v29, vcc
	v_lshlrev_b32_e32 v24, 24, v17
	v_bfrev_b32_e32 v26, 60
	v_lshlrev_b32_e32 v16, 20, v16
	v_and_b32_e32 v24, 0x80000000, v24
	v_lshl_add_u32 v14, v14, 23, v26
	v_or3_b32 v26, v24, v14, v16
.LBB607_475:
	s_or_b64 exec, exec, s[10:11]
.LBB607_476:
	s_or_b64 exec, exec, s[8:9]
.LBB607_477:
	s_or_b64 exec, exec, s[2:3]
	v_lshrrev_b16_e32 v14, 8, v17
	v_cmp_ne_u16_e32 vcc, 0, v14
	v_mov_b32_e32 v16, 0
	v_mov_b32_e32 v29, 0
	s_and_saveexec_b64 s[2:3], vcc
	s_cbranch_execz .LBB607_483
; %bb.478:
	s_movk_i32 s7, 0x80
	v_cmp_ne_u16_e32 vcc, s7, v14
	v_bfrev_b32_e32 v29, 1
	s_and_saveexec_b64 s[8:9], vcc
	s_cbranch_execz .LBB607_482
; %bb.479:
	s_movk_i32 s7, 0x7f
	v_and_b32_e32 v24, 0x7f, v14
	v_cmp_ne_u32_e32 vcc, s7, v24
	v_mov_b32_e32 v29, 0x7f800001
	s_and_saveexec_b64 s[10:11], vcc
	s_cbranch_execz .LBB607_481
; %bb.480:
	v_and_b32_e32 v29, 7, v14
	v_ffbh_u32_e32 v30, v29
	v_min_u32_e32 v33, 32, v30
	v_subrev_u32_e32 v30, 28, v33
	v_lshlrev_b64 v[30:31], v30, v[14:15]
	v_lshrrev_b32_e32 v32, 3, v24
	v_sub_u32_e32 v14, 29, v33
	v_and_b32_e32 v30, 7, v30
	v_cmp_gt_u32_e32 vcc, 8, v24
	v_cndmask_b32_e32 v14, v32, v14, vcc
	v_cndmask_b32_e32 v24, v29, v30, vcc
	v_lshlrev_b32_e32 v29, 16, v17
	v_bfrev_b32_e32 v30, 60
	v_lshlrev_b32_e32 v24, 20, v24
	v_and_b32_e32 v29, 0x80000000, v29
	v_lshl_add_u32 v14, v14, 23, v30
	v_or3_b32 v29, v29, v14, v24
.LBB607_481:
	s_or_b64 exec, exec, s[10:11]
.LBB607_482:
	s_or_b64 exec, exec, s[8:9]
.LBB607_483:
	s_or_b64 exec, exec, s[2:3]
	s_movk_i32 s2, 0xff
	v_and_b32_sdwa v24, v17, s2 dst_sel:DWORD dst_unused:UNUSED_PAD src0_sel:WORD_1 src1_sel:DWORD
	v_lshrrev_b32_e32 v14, 16, v17
	v_cmp_ne_u16_e32 vcc, 0, v24
	s_and_saveexec_b64 s[2:3], vcc
	s_cbranch_execz .LBB607_489
; %bb.484:
	s_movk_i32 s7, 0x80
	v_cmp_ne_u16_e32 vcc, s7, v24
	v_bfrev_b32_e32 v16, 1
	s_and_saveexec_b64 s[8:9], vcc
	s_cbranch_execz .LBB607_488
; %bb.485:
	v_bfe_u32 v24, v17, 16, 7
	s_movk_i32 s7, 0x7f
	v_cmp_ne_u32_e32 vcc, s7, v24
	v_mov_b32_e32 v16, 0x7f800001
	s_and_saveexec_b64 s[10:11], vcc
	s_cbranch_execz .LBB607_487
; %bb.486:
	v_and_b32_e32 v16, 7, v14
	v_ffbh_u32_e32 v30, v16
	v_min_u32_e32 v33, 32, v30
	v_subrev_u32_e32 v30, 28, v33
	v_lshlrev_b64 v[30:31], v30, v[14:15]
	v_lshrrev_b32_e32 v32, 3, v24
	v_sub_u32_e32 v14, 29, v33
	v_and_b32_e32 v30, 7, v30
	v_cmp_gt_u32_e32 vcc, 8, v24
	v_mov_b32_e32 v24, 24
	v_cndmask_b32_e32 v14, v32, v14, vcc
	v_cndmask_b32_e32 v16, v16, v30, vcc
	v_lshlrev_b32_sdwa v24, v24, v17 dst_sel:DWORD dst_unused:UNUSED_PAD src0_sel:DWORD src1_sel:WORD_1
	v_bfrev_b32_e32 v30, 60
	v_lshlrev_b32_e32 v16, 20, v16
	v_and_b32_e32 v24, 0x80000000, v24
	v_lshl_add_u32 v14, v14, 23, v30
	v_or3_b32 v16, v24, v14, v16
.LBB607_487:
	s_or_b64 exec, exec, s[10:11]
.LBB607_488:
	s_or_b64 exec, exec, s[8:9]
.LBB607_489:
	s_or_b64 exec, exec, s[2:3]
	s_mov_b32 s2, 0xffffff
	v_cmp_lt_u32_e32 vcc, s2, v17
	v_mov_b32_e32 v24, 0
	v_mov_b32_e32 v30, 0
	s_and_saveexec_b64 s[2:3], vcc
	s_cbranch_execz .LBB607_495
; %bb.490:
	v_lshrrev_b32_e32 v14, 24, v17
	s_movk_i32 s7, 0x80
	v_cmp_ne_u32_e32 vcc, s7, v14
	v_bfrev_b32_e32 v30, 1
	s_and_saveexec_b64 s[8:9], vcc
	s_cbranch_execz .LBB607_494
; %bb.491:
	v_bfe_u32 v17, v17, 24, 7
	s_movk_i32 s7, 0x7f
	v_cmp_ne_u32_e32 vcc, s7, v17
	v_mov_b32_e32 v30, 0x7f800001
	s_and_saveexec_b64 s[10:11], vcc
	s_cbranch_execz .LBB607_493
; %bb.492:
	v_and_b32_e32 v32, 7, v14
	v_ffbh_u32_e32 v30, v32
	v_min_u32_e32 v34, 32, v30
	v_subrev_u32_e32 v30, 28, v34
	v_lshlrev_b64 v[30:31], v30, v[14:15]
	v_lshrrev_b32_e32 v33, 3, v17
	v_sub_u32_e32 v31, 29, v34
	v_and_b32_e32 v30, 7, v30
	v_cmp_gt_u32_e32 vcc, 8, v17
	v_cndmask_b32_e32 v17, v33, v31, vcc
	v_cndmask_b32_e32 v30, v32, v30, vcc
	v_lshlrev_b32_e32 v14, 24, v14
	v_bfrev_b32_e32 v31, 60
	v_lshlrev_b32_e32 v30, 20, v30
	v_and_b32_e32 v14, 0x80000000, v14
	v_lshl_add_u32 v17, v17, 23, v31
	v_or3_b32 v30, v14, v17, v30
.LBB607_493:
	s_or_b64 exec, exec, s[10:11]
.LBB607_494:
	s_or_b64 exec, exec, s[8:9]
.LBB607_495:
	s_or_b64 exec, exec, s[2:3]
	v_cvt_pkrtz_f16_f32 v14, v23, v25
	v_cvt_pkrtz_f16_f32 v15, v15, v27
	ds_read_b128 v[32:35], v22 offset:16
	s_waitcnt vmcnt(2)
	v_cmp_ne_u16_sdwa s[8:9], v10, v24 src0_sel:BYTE_0 src1_sel:DWORD
	s_waitcnt lgkmcnt(0)
	v_mfma_f32_16x16x16f16 v[18:21], v[14:15], v[32:33], v[18:21]
	v_cvt_pkrtz_f16_f32 v14, v26, v29
	v_cvt_pkrtz_f16_f32 v15, v16, v30
	s_nop 1
	v_mfma_f32_16x16x16f16 v[14:17], v[14:15], v[34:35], v[18:21]
	s_and_saveexec_b64 s[2:3], s[8:9]
	s_cbranch_execz .LBB607_501
; %bb.496:
	s_movk_i32 s7, 0x80
	v_cmp_ne_u16_sdwa s[10:11], v10, s7 src0_sel:BYTE_0 src1_sel:DWORD
	v_bfrev_b32_e32 v24, 1
	s_and_saveexec_b64 s[8:9], s[10:11]
	s_cbranch_execz .LBB607_500
; %bb.497:
	s_movk_i32 s7, 0x7f
	v_and_b32_e32 v18, 0x7f, v10
	v_cmp_ne_u32_e32 vcc, s7, v18
	v_mov_b32_e32 v24, 0x7f800001
	s_and_saveexec_b64 s[10:11], vcc
	s_cbranch_execz .LBB607_499
; %bb.498:
	v_and_b32_e32 v19, 7, v10
	v_ffbh_u32_e32 v20, v19
	v_min_u32_e32 v24, 32, v20
	v_subrev_u32_e32 v20, 28, v24
	v_lshlrev_b64 v[20:21], v20, v[10:11]
	v_lshrrev_b32_e32 v23, 3, v18
	v_sub_u32_e32 v21, 29, v24
	v_and_b32_e32 v20, 7, v20
	v_cmp_gt_u32_e32 vcc, 8, v18
	v_cndmask_b32_e32 v18, v23, v21, vcc
	v_cndmask_b32_e32 v19, v19, v20, vcc
	v_lshlrev_b32_e32 v20, 24, v10
	v_bfrev_b32_e32 v21, 60
	v_lshlrev_b32_e32 v19, 20, v19
	v_and_b32_e32 v20, 0x80000000, v20
	v_lshl_add_u32 v18, v18, 23, v21
	v_or3_b32 v24, v20, v18, v19
.LBB607_499:
	s_or_b64 exec, exec, s[10:11]
.LBB607_500:
	s_or_b64 exec, exec, s[8:9]
.LBB607_501:
	s_or_b64 exec, exec, s[2:3]
	s_nop 3
	v_lshrrev_b16_e32 v18, 8, v10
	v_cmp_ne_u16_e32 vcc, 0, v18
	v_mov_b32_e32 v19, 0
	v_mov_b32_e32 v20, 0
	s_and_saveexec_b64 s[2:3], vcc
	s_cbranch_execz .LBB607_507
; %bb.502:
	s_movk_i32 s7, 0x80
	v_cmp_ne_u16_e32 vcc, s7, v18
	v_bfrev_b32_e32 v20, 1
	s_and_saveexec_b64 s[8:9], vcc
	s_cbranch_execz .LBB607_506
; %bb.503:
	s_movk_i32 s7, 0x7f
	v_and_b32_e32 v21, 0x7f, v18
	v_cmp_ne_u32_e32 vcc, s7, v21
	v_mov_b32_e32 v20, 0x7f800001
	s_and_saveexec_b64 s[10:11], vcc
	s_cbranch_execz .LBB607_505
; %bb.504:
	v_and_b32_e32 v20, 7, v18
	v_ffbh_u32_e32 v25, v20
	v_min_u32_e32 v25, 32, v25
	v_subrev_u32_e32 v26, 28, v25
	v_lshlrev_b64 v[26:27], v26, v[18:19]
	v_lshrrev_b32_e32 v23, 3, v21
	v_sub_u32_e32 v18, 29, v25
	v_and_b32_e32 v25, 7, v26
	v_cmp_gt_u32_e32 vcc, 8, v21
	v_cndmask_b32_e32 v18, v23, v18, vcc
	v_cndmask_b32_e32 v20, v20, v25, vcc
	v_lshlrev_b32_e32 v21, 16, v10
	v_bfrev_b32_e32 v23, 60
	v_lshlrev_b32_e32 v20, 20, v20
	v_and_b32_e32 v21, 0x80000000, v21
	v_lshl_add_u32 v18, v18, 23, v23
	v_or3_b32 v20, v21, v18, v20
.LBB607_505:
	s_or_b64 exec, exec, s[10:11]
.LBB607_506:
	s_or_b64 exec, exec, s[8:9]
.LBB607_507:
	s_or_b64 exec, exec, s[2:3]
	s_movk_i32 s2, 0xff
	v_and_b32_sdwa v21, v10, s2 dst_sel:DWORD dst_unused:UNUSED_PAD src0_sel:WORD_1 src1_sel:DWORD
	v_lshrrev_b32_e32 v18, 16, v10
	v_cmp_ne_u16_e32 vcc, 0, v21
	s_and_saveexec_b64 s[2:3], vcc
	s_cbranch_execz .LBB607_513
; %bb.508:
	s_movk_i32 s7, 0x80
	v_cmp_ne_u16_e32 vcc, s7, v21
	v_bfrev_b32_e32 v19, 1
	s_and_saveexec_b64 s[8:9], vcc
	s_cbranch_execz .LBB607_512
; %bb.509:
	v_bfe_u32 v21, v10, 16, 7
	s_movk_i32 s7, 0x7f
	v_cmp_ne_u32_e32 vcc, s7, v21
	v_mov_b32_e32 v19, 0x7f800001
	s_and_saveexec_b64 s[10:11], vcc
	s_cbranch_execz .LBB607_511
; %bb.510:
	v_and_b32_e32 v23, 7, v18
	v_ffbh_u32_e32 v19, v23
	v_min_u32_e32 v26, 32, v19
	v_subrev_u32_e32 v19, 28, v26
	v_lshlrev_b64 v[18:19], v19, v[18:19]
	v_lshrrev_b32_e32 v25, 3, v21
	v_sub_u32_e32 v19, 29, v26
	v_and_b32_e32 v18, 7, v18
	v_cmp_gt_u32_e32 vcc, 8, v21
	v_mov_b32_e32 v21, 24
	v_cndmask_b32_e32 v19, v25, v19, vcc
	v_cndmask_b32_e32 v18, v23, v18, vcc
	v_lshlrev_b32_sdwa v21, v21, v10 dst_sel:DWORD dst_unused:UNUSED_PAD src0_sel:DWORD src1_sel:WORD_1
	v_bfrev_b32_e32 v23, 60
	v_lshlrev_b32_e32 v18, 20, v18
	v_and_b32_e32 v21, 0x80000000, v21
	v_lshl_add_u32 v19, v19, 23, v23
	v_or3_b32 v19, v21, v19, v18
.LBB607_511:
	s_or_b64 exec, exec, s[10:11]
.LBB607_512:
	s_or_b64 exec, exec, s[8:9]
.LBB607_513:
	s_or_b64 exec, exec, s[2:3]
	s_mov_b32 s2, 0xffffff
	v_cmp_lt_u32_e32 vcc, s2, v10
	v_mov_b32_e32 v21, 0
	v_mov_b32_e32 v23, 0
	s_and_saveexec_b64 s[2:3], vcc
	s_cbranch_execz .LBB607_519
; %bb.514:
	v_lshrrev_b32_e32 v18, 24, v10
	s_movk_i32 s7, 0x80
	v_cmp_ne_u32_e32 vcc, s7, v18
	v_bfrev_b32_e32 v23, 1
	s_and_saveexec_b64 s[8:9], vcc
	s_cbranch_execz .LBB607_518
; %bb.515:
	v_bfe_u32 v10, v10, 24, 7
	s_movk_i32 s7, 0x7f
	v_cmp_ne_u32_e32 vcc, s7, v10
	v_mov_b32_e32 v23, 0x7f800001
	s_and_saveexec_b64 s[10:11], vcc
	s_cbranch_execz .LBB607_517
; %bb.516:
	v_and_b32_e32 v23, 7, v18
	v_ffbh_u32_e32 v26, v23
	v_min_u32_e32 v29, 32, v26
	v_subrev_u32_e32 v26, 28, v29
	v_lshlrev_b64 v[26:27], v26, v[18:19]
	v_lshrrev_b32_e32 v25, 3, v10
	v_sub_u32_e32 v27, 29, v29
	v_and_b32_e32 v26, 7, v26
	v_cmp_gt_u32_e32 vcc, 8, v10
	v_cndmask_b32_e32 v10, v25, v27, vcc
	v_cndmask_b32_e32 v23, v23, v26, vcc
	v_lshlrev_b32_e32 v18, 24, v18
	v_bfrev_b32_e32 v25, 60
	v_lshlrev_b32_e32 v23, 20, v23
	v_and_b32_e32 v18, 0x80000000, v18
	v_lshl_add_u32 v10, v10, 23, v25
	v_or3_b32 v23, v18, v10, v23
.LBB607_517:
	s_or_b64 exec, exec, s[10:11]
.LBB607_518:
	s_or_b64 exec, exec, s[8:9]
.LBB607_519:
	s_or_b64 exec, exec, s[2:3]
	v_cmp_ne_u16_sdwa s[8:9], v11, v21 src0_sel:BYTE_0 src1_sel:DWORD
	s_and_saveexec_b64 s[2:3], s[8:9]
	s_cbranch_execz .LBB607_525
; %bb.520:
	s_movk_i32 s7, 0x80
	v_cmp_ne_u16_sdwa s[10:11], v11, s7 src0_sel:BYTE_0 src1_sel:DWORD
	v_bfrev_b32_e32 v21, 1
	s_and_saveexec_b64 s[8:9], s[10:11]
	s_cbranch_execz .LBB607_524
; %bb.521:
	s_movk_i32 s7, 0x7f
	v_and_b32_e32 v10, 0x7f, v11
	v_cmp_ne_u32_e32 vcc, s7, v10
	v_mov_b32_e32 v21, 0x7f800001
	s_and_saveexec_b64 s[10:11], vcc
	s_cbranch_execz .LBB607_523
; %bb.522:
	v_and_b32_e32 v21, 7, v11
	v_ffbh_u32_e32 v26, v21
	v_min_u32_e32 v29, 32, v26
	v_mov_b32_e32 v18, v11
	v_subrev_u32_e32 v26, 28, v29
	v_lshlrev_b64 v[26:27], v26, v[18:19]
	v_lshrrev_b32_e32 v25, 3, v10
	v_sub_u32_e32 v18, 29, v29
	v_and_b32_e32 v26, 7, v26
	v_cmp_gt_u32_e32 vcc, 8, v10
	v_cndmask_b32_e32 v10, v25, v18, vcc
	v_cndmask_b32_e32 v18, v21, v26, vcc
	v_lshlrev_b32_e32 v21, 24, v11
	v_bfrev_b32_e32 v25, 60
	v_lshlrev_b32_e32 v18, 20, v18
	v_and_b32_e32 v21, 0x80000000, v21
	v_lshl_add_u32 v10, v10, 23, v25
	v_or3_b32 v21, v21, v10, v18
.LBB607_523:
	s_or_b64 exec, exec, s[10:11]
.LBB607_524:
	s_or_b64 exec, exec, s[8:9]
.LBB607_525:
	s_or_b64 exec, exec, s[2:3]
	v_lshrrev_b16_e32 v10, 8, v11
	v_cmp_ne_u16_e32 vcc, 0, v10
	v_mov_b32_e32 v25, 0
	v_mov_b32_e32 v26, 0
	s_and_saveexec_b64 s[2:3], vcc
	s_cbranch_execz .LBB607_531
; %bb.526:
	s_movk_i32 s7, 0x80
	v_cmp_ne_u16_e32 vcc, s7, v10
	v_bfrev_b32_e32 v26, 1
	s_and_saveexec_b64 s[8:9], vcc
	s_cbranch_execz .LBB607_530
; %bb.527:
	s_movk_i32 s7, 0x7f
	v_and_b32_e32 v18, 0x7f, v10
	v_cmp_ne_u32_e32 vcc, s7, v18
	v_mov_b32_e32 v26, 0x7f800001
	s_and_saveexec_b64 s[10:11], vcc
	s_cbranch_execz .LBB607_529
; %bb.528:
	v_and_b32_e32 v29, 7, v10
	v_ffbh_u32_e32 v26, v29
	v_min_u32_e32 v31, 32, v26
	v_subrev_u32_e32 v26, 28, v31
	v_lshlrev_b64 v[26:27], v26, v[10:11]
	v_lshrrev_b32_e32 v30, 3, v18
	v_sub_u32_e32 v10, 29, v31
	v_and_b32_e32 v26, 7, v26
	v_cmp_gt_u32_e32 vcc, 8, v18
	v_cndmask_b32_e32 v10, v30, v10, vcc
	v_cndmask_b32_e32 v18, v29, v26, vcc
	v_lshlrev_b32_e32 v26, 16, v11
	v_bfrev_b32_e32 v27, 60
	v_lshlrev_b32_e32 v18, 20, v18
	v_and_b32_e32 v26, 0x80000000, v26
	v_lshl_add_u32 v10, v10, 23, v27
	v_or3_b32 v26, v26, v10, v18
.LBB607_529:
	s_or_b64 exec, exec, s[10:11]
.LBB607_530:
	s_or_b64 exec, exec, s[8:9]
.LBB607_531:
	s_or_b64 exec, exec, s[2:3]
	s_movk_i32 s2, 0xff
	v_and_b32_sdwa v18, v11, s2 dst_sel:DWORD dst_unused:UNUSED_PAD src0_sel:WORD_1 src1_sel:DWORD
	v_lshrrev_b32_e32 v10, 16, v11
	v_cmp_ne_u16_e32 vcc, 0, v18
	s_and_saveexec_b64 s[2:3], vcc
	s_cbranch_execz .LBB607_537
; %bb.532:
	s_movk_i32 s7, 0x80
	v_cmp_ne_u16_e32 vcc, s7, v18
	v_bfrev_b32_e32 v25, 1
	s_and_saveexec_b64 s[8:9], vcc
	s_cbranch_execz .LBB607_536
; %bb.533:
	v_bfe_u32 v18, v11, 16, 7
	s_movk_i32 s7, 0x7f
	v_cmp_ne_u32_e32 vcc, s7, v18
	v_mov_b32_e32 v25, 0x7f800001
	s_and_saveexec_b64 s[10:11], vcc
	s_cbranch_execz .LBB607_535
; %bb.534:
	v_and_b32_e32 v25, 7, v10
	v_ffbh_u32_e32 v29, v25
	v_min_u32_e32 v29, 32, v29
	v_subrev_u32_e32 v30, 28, v29
	v_lshlrev_b64 v[30:31], v30, v[10:11]
	v_sub_u32_e32 v10, 29, v29
	v_and_b32_e32 v29, 7, v30
	v_cmp_gt_u32_e32 vcc, 8, v18
	v_lshrrev_b32_e32 v27, 3, v18
	v_cndmask_b32_e32 v18, v25, v29, vcc
	v_mov_b32_e32 v25, 24
	v_cndmask_b32_e32 v10, v27, v10, vcc
	v_lshlrev_b32_sdwa v25, v25, v11 dst_sel:DWORD dst_unused:UNUSED_PAD src0_sel:DWORD src1_sel:WORD_1
	v_bfrev_b32_e32 v27, 60
	v_lshlrev_b32_e32 v18, 20, v18
	v_and_b32_e32 v25, 0x80000000, v25
	v_lshl_add_u32 v10, v10, 23, v27
	v_or3_b32 v25, v25, v10, v18
.LBB607_535:
	s_or_b64 exec, exec, s[10:11]
.LBB607_536:
	s_or_b64 exec, exec, s[8:9]
.LBB607_537:
	s_or_b64 exec, exec, s[2:3]
	s_mov_b32 s2, 0xffffff
	v_cmp_lt_u32_e32 vcc, s2, v11
	v_mov_b32_e32 v18, 0
	v_mov_b32_e32 v27, 0
	s_and_saveexec_b64 s[2:3], vcc
	s_cbranch_execz .LBB607_543
; %bb.538:
	v_lshrrev_b32_e32 v10, 24, v11
	s_movk_i32 s7, 0x80
	v_cmp_ne_u32_e32 vcc, s7, v10
	v_bfrev_b32_e32 v27, 1
	s_and_saveexec_b64 s[8:9], vcc
	s_cbranch_execz .LBB607_542
; %bb.539:
	v_bfe_u32 v11, v11, 24, 7
	s_movk_i32 s7, 0x7f
	v_cmp_ne_u32_e32 vcc, s7, v11
	v_mov_b32_e32 v27, 0x7f800001
	s_and_saveexec_b64 s[10:11], vcc
	s_cbranch_execz .LBB607_541
; %bb.540:
	v_and_b32_e32 v27, 7, v10
	v_ffbh_u32_e32 v30, v27
	v_min_u32_e32 v32, 32, v30
	v_subrev_u32_e32 v30, 28, v32
	v_lshlrev_b64 v[30:31], v30, v[10:11]
	v_lshrrev_b32_e32 v29, 3, v11
	v_sub_u32_e32 v31, 29, v32
	v_and_b32_e32 v30, 7, v30
	v_cmp_gt_u32_e32 vcc, 8, v11
	v_cndmask_b32_e32 v11, v29, v31, vcc
	v_cndmask_b32_e32 v27, v27, v30, vcc
	v_lshlrev_b32_e32 v10, 24, v10
	v_bfrev_b32_e32 v29, 60
	v_lshlrev_b32_e32 v27, 20, v27
	v_and_b32_e32 v10, 0x80000000, v10
	v_lshl_add_u32 v11, v11, 23, v29
	v_or3_b32 v27, v10, v11, v27
.LBB607_541:
	s_or_b64 exec, exec, s[10:11]
.LBB607_542:
	s_or_b64 exec, exec, s[8:9]
.LBB607_543:
	s_or_b64 exec, exec, s[2:3]
	v_cvt_pkrtz_f16_f32 v10, v24, v20
	v_cvt_pkrtz_f16_f32 v11, v19, v23
	ds_read_b128 v[30:33], v22 offset:2048
	v_cmp_ne_u16_sdwa s[8:9], v12, v18 src0_sel:BYTE_0 src1_sel:DWORD
	s_waitcnt lgkmcnt(0)
	v_mfma_f32_16x16x16f16 v[14:17], v[10:11], v[30:31], v[14:17]
	v_cvt_pkrtz_f16_f32 v10, v21, v26
	v_cvt_pkrtz_f16_f32 v11, v25, v27
	s_nop 1
	v_mfma_f32_16x16x16f16 v[14:17], v[10:11], v[32:33], v[14:17]
	s_and_saveexec_b64 s[2:3], s[8:9]
	s_cbranch_execz .LBB607_549
; %bb.544:
	s_movk_i32 s7, 0x80
	v_cmp_ne_u16_sdwa s[10:11], v12, s7 src0_sel:BYTE_0 src1_sel:DWORD
	v_bfrev_b32_e32 v18, 1
	s_and_saveexec_b64 s[8:9], s[10:11]
	s_cbranch_execz .LBB607_548
; %bb.545:
	s_movk_i32 s7, 0x7f
	v_and_b32_e32 v10, 0x7f, v12
	v_cmp_ne_u32_e32 vcc, s7, v10
	v_mov_b32_e32 v18, 0x7f800001
	s_and_saveexec_b64 s[10:11], vcc
	s_cbranch_execz .LBB607_547
; %bb.546:
	v_and_b32_e32 v11, 7, v12
	v_ffbh_u32_e32 v18, v11
	v_min_u32_e32 v21, 32, v18
	v_subrev_u32_e32 v18, 28, v21
	v_lshlrev_b64 v[18:19], v18, v[12:13]
	v_lshrrev_b32_e32 v20, 3, v10
	v_sub_u32_e32 v19, 29, v21
	v_and_b32_e32 v18, 7, v18
	v_cmp_gt_u32_e32 vcc, 8, v10
	v_cndmask_b32_e32 v10, v20, v19, vcc
	v_cndmask_b32_e32 v11, v11, v18, vcc
	v_lshlrev_b32_e32 v18, 24, v12
	v_bfrev_b32_e32 v19, 60
	v_lshlrev_b32_e32 v11, 20, v11
	v_and_b32_e32 v18, 0x80000000, v18
	v_lshl_add_u32 v10, v10, 23, v19
	v_or3_b32 v18, v18, v10, v11
.LBB607_547:
	s_or_b64 exec, exec, s[10:11]
.LBB607_548:
	s_or_b64 exec, exec, s[8:9]
.LBB607_549:
	s_or_b64 exec, exec, s[2:3]
	v_lshrrev_b16_e32 v10, 8, v12
	v_cmp_ne_u16_e32 vcc, 0, v10
	v_mov_b32_e32 v11, 0
	v_mov_b32_e32 v20, 0
	s_and_saveexec_b64 s[2:3], vcc
	s_cbranch_execz .LBB607_555
; %bb.550:
	s_movk_i32 s7, 0x80
	v_cmp_ne_u16_e32 vcc, s7, v10
	v_bfrev_b32_e32 v20, 1
	s_and_saveexec_b64 s[8:9], vcc
	s_cbranch_execz .LBB607_554
; %bb.551:
	s_movk_i32 s7, 0x7f
	v_and_b32_e32 v19, 0x7f, v10
	v_cmp_ne_u32_e32 vcc, s7, v19
	v_mov_b32_e32 v20, 0x7f800001
	s_and_saveexec_b64 s[10:11], vcc
	s_cbranch_execz .LBB607_553
; %bb.552:
	v_and_b32_e32 v23, 7, v10
	v_ffbh_u32_e32 v20, v23
	v_min_u32_e32 v25, 32, v20
	v_subrev_u32_e32 v20, 28, v25
	v_lshlrev_b64 v[20:21], v20, v[10:11]
	v_lshrrev_b32_e32 v24, 3, v19
	v_sub_u32_e32 v10, 29, v25
	v_and_b32_e32 v20, 7, v20
	v_cmp_gt_u32_e32 vcc, 8, v19
	v_cndmask_b32_e32 v10, v24, v10, vcc
	v_cndmask_b32_e32 v19, v23, v20, vcc
	v_lshlrev_b32_e32 v20, 16, v12
	v_bfrev_b32_e32 v21, 60
	v_lshlrev_b32_e32 v19, 20, v19
	v_and_b32_e32 v20, 0x80000000, v20
	v_lshl_add_u32 v10, v10, 23, v21
	v_or3_b32 v20, v20, v10, v19
.LBB607_553:
	s_or_b64 exec, exec, s[10:11]
.LBB607_554:
	s_or_b64 exec, exec, s[8:9]
.LBB607_555:
	s_or_b64 exec, exec, s[2:3]
	s_movk_i32 s2, 0xff
	v_and_b32_sdwa v19, v12, s2 dst_sel:DWORD dst_unused:UNUSED_PAD src0_sel:WORD_1 src1_sel:DWORD
	v_lshrrev_b32_e32 v10, 16, v12
	v_cmp_ne_u16_e32 vcc, 0, v19
	s_and_saveexec_b64 s[2:3], vcc
	s_cbranch_execz .LBB607_561
; %bb.556:
	s_movk_i32 s7, 0x80
	v_cmp_ne_u16_e32 vcc, s7, v19
	v_bfrev_b32_e32 v11, 1
	s_and_saveexec_b64 s[8:9], vcc
	s_cbranch_execz .LBB607_560
; %bb.557:
	v_bfe_u32 v19, v12, 16, 7
	s_movk_i32 s7, 0x7f
	v_cmp_ne_u32_e32 vcc, s7, v19
	v_mov_b32_e32 v11, 0x7f800001
	s_and_saveexec_b64 s[10:11], vcc
	s_cbranch_execz .LBB607_559
; %bb.558:
	v_and_b32_e32 v21, 7, v10
	v_ffbh_u32_e32 v11, v21
	v_min_u32_e32 v24, 32, v11
	v_subrev_u32_e32 v11, 28, v24
	v_lshlrev_b64 v[10:11], v11, v[10:11]
	v_lshrrev_b32_e32 v23, 3, v19
	v_sub_u32_e32 v11, 29, v24
	v_and_b32_e32 v10, 7, v10
	v_cmp_gt_u32_e32 vcc, 8, v19
	v_mov_b32_e32 v19, 24
	v_cndmask_b32_e32 v11, v23, v11, vcc
	v_cndmask_b32_e32 v10, v21, v10, vcc
	v_lshlrev_b32_sdwa v19, v19, v12 dst_sel:DWORD dst_unused:UNUSED_PAD src0_sel:DWORD src1_sel:WORD_1
	v_bfrev_b32_e32 v21, 60
	v_lshlrev_b32_e32 v10, 20, v10
	v_and_b32_e32 v19, 0x80000000, v19
	v_lshl_add_u32 v11, v11, 23, v21
	v_or3_b32 v11, v19, v11, v10
.LBB607_559:
	s_or_b64 exec, exec, s[10:11]
.LBB607_560:
	s_or_b64 exec, exec, s[8:9]
.LBB607_561:
	s_or_b64 exec, exec, s[2:3]
	s_mov_b32 s2, 0xffffff
	v_cmp_lt_u32_e32 vcc, s2, v12
	v_mov_b32_e32 v21, 0
	v_mov_b32_e32 v23, 0
	s_and_saveexec_b64 s[2:3], vcc
	s_cbranch_execz .LBB607_567
; %bb.562:
	v_lshrrev_b32_e32 v10, 24, v12
	s_movk_i32 s7, 0x80
	v_cmp_ne_u32_e32 vcc, s7, v10
	v_bfrev_b32_e32 v23, 1
	s_and_saveexec_b64 s[8:9], vcc
	s_cbranch_execz .LBB607_566
; %bb.563:
	v_bfe_u32 v12, v12, 24, 7
	s_movk_i32 s7, 0x7f
	v_cmp_ne_u32_e32 vcc, s7, v12
	v_mov_b32_e32 v23, 0x7f800001
	s_and_saveexec_b64 s[10:11], vcc
	s_cbranch_execz .LBB607_565
; %bb.564:
	v_and_b32_e32 v19, 7, v10
	v_ffbh_u32_e32 v24, v19
	v_min_u32_e32 v26, 32, v24
	v_subrev_u32_e32 v24, 28, v26
	v_lshlrev_b64 v[24:25], v24, v[10:11]
	v_lshrrev_b32_e32 v23, 3, v12
	v_sub_u32_e32 v25, 29, v26
	v_and_b32_e32 v24, 7, v24
	v_cmp_gt_u32_e32 vcc, 8, v12
	v_cndmask_b32_e32 v12, v23, v25, vcc
	v_cndmask_b32_e32 v19, v19, v24, vcc
	v_lshlrev_b32_e32 v10, 24, v10
	v_bfrev_b32_e32 v23, 60
	v_lshlrev_b32_e32 v19, 20, v19
	v_and_b32_e32 v10, 0x80000000, v10
	v_lshl_add_u32 v12, v12, 23, v23
	v_or3_b32 v23, v10, v12, v19
.LBB607_565:
	s_or_b64 exec, exec, s[10:11]
.LBB607_566:
	s_or_b64 exec, exec, s[8:9]
.LBB607_567:
	s_or_b64 exec, exec, s[2:3]
	v_cmp_ne_u16_sdwa s[8:9], v13, v21 src0_sel:BYTE_0 src1_sel:DWORD
	s_and_saveexec_b64 s[2:3], s[8:9]
	s_cbranch_execz .LBB607_573
; %bb.568:
	s_movk_i32 s7, 0x80
	v_cmp_ne_u16_sdwa s[10:11], v13, s7 src0_sel:BYTE_0 src1_sel:DWORD
	v_bfrev_b32_e32 v21, 1
	s_and_saveexec_b64 s[8:9], s[10:11]
	s_cbranch_execz .LBB607_572
; %bb.569:
	s_movk_i32 s7, 0x7f
	v_and_b32_e32 v10, 0x7f, v13
	v_cmp_ne_u32_e32 vcc, s7, v10
	v_mov_b32_e32 v21, 0x7f800001
	s_and_saveexec_b64 s[10:11], vcc
	s_cbranch_execz .LBB607_571
; %bb.570:
	v_and_b32_e32 v19, 7, v13
	v_ffbh_u32_e32 v24, v19
	v_min_u32_e32 v26, 32, v24
	v_mov_b32_e32 v12, v13
	v_subrev_u32_e32 v24, 28, v26
	v_lshlrev_b64 v[24:25], v24, v[12:13]
	v_lshrrev_b32_e32 v21, 3, v10
	v_sub_u32_e32 v12, 29, v26
	v_and_b32_e32 v24, 7, v24
	v_cmp_gt_u32_e32 vcc, 8, v10
	v_cndmask_b32_e32 v10, v21, v12, vcc
	v_cndmask_b32_e32 v12, v19, v24, vcc
	v_lshlrev_b32_e32 v19, 24, v13
	v_bfrev_b32_e32 v21, 60
	v_lshlrev_b32_e32 v12, 20, v12
	v_and_b32_e32 v19, 0x80000000, v19
	v_lshl_add_u32 v10, v10, 23, v21
	v_or3_b32 v21, v19, v10, v12
.LBB607_571:
	s_or_b64 exec, exec, s[10:11]
.LBB607_572:
	s_or_b64 exec, exec, s[8:9]
.LBB607_573:
	s_or_b64 exec, exec, s[2:3]
	v_lshrrev_b16_e32 v10, 8, v13
	v_cmp_ne_u16_e32 vcc, 0, v10
	v_mov_b32_e32 v12, 0
	v_mov_b32_e32 v24, 0
	s_and_saveexec_b64 s[2:3], vcc
	s_cbranch_execz .LBB607_579
; %bb.574:
	s_movk_i32 s7, 0x80
	v_cmp_ne_u16_e32 vcc, s7, v10
	v_bfrev_b32_e32 v24, 1
	s_and_saveexec_b64 s[8:9], vcc
	s_cbranch_execz .LBB607_578
; %bb.575:
	s_movk_i32 s7, 0x7f
	v_and_b32_e32 v19, 0x7f, v10
	v_cmp_ne_u32_e32 vcc, s7, v19
	v_mov_b32_e32 v24, 0x7f800001
	s_and_saveexec_b64 s[10:11], vcc
	s_cbranch_execz .LBB607_577
; %bb.576:
	v_and_b32_e32 v26, 7, v10
	v_ffbh_u32_e32 v24, v26
	v_min_u32_e32 v29, 32, v24
	v_subrev_u32_e32 v24, 28, v29
	v_lshlrev_b64 v[24:25], v24, v[10:11]
	v_lshrrev_b32_e32 v27, 3, v19
	v_sub_u32_e32 v10, 29, v29
	v_and_b32_e32 v24, 7, v24
	v_cmp_gt_u32_e32 vcc, 8, v19
	v_cndmask_b32_e32 v10, v27, v10, vcc
	v_cndmask_b32_e32 v19, v26, v24, vcc
	v_lshlrev_b32_e32 v24, 16, v13
	v_bfrev_b32_e32 v25, 60
	v_lshlrev_b32_e32 v19, 20, v19
	v_and_b32_e32 v24, 0x80000000, v24
	v_lshl_add_u32 v10, v10, 23, v25
	v_or3_b32 v24, v24, v10, v19
.LBB607_577:
	s_or_b64 exec, exec, s[10:11]
.LBB607_578:
	s_or_b64 exec, exec, s[8:9]
.LBB607_579:
	s_or_b64 exec, exec, s[2:3]
	s_movk_i32 s2, 0xff
	v_and_b32_sdwa v19, v13, s2 dst_sel:DWORD dst_unused:UNUSED_PAD src0_sel:WORD_1 src1_sel:DWORD
	v_lshrrev_b32_e32 v10, 16, v13
	v_cmp_ne_u16_e32 vcc, 0, v19
	s_and_saveexec_b64 s[2:3], vcc
	s_cbranch_execz .LBB607_585
; %bb.580:
	s_movk_i32 s7, 0x80
	v_cmp_ne_u16_e32 vcc, s7, v19
	v_bfrev_b32_e32 v12, 1
	s_and_saveexec_b64 s[8:9], vcc
	s_cbranch_execz .LBB607_584
; %bb.581:
	v_bfe_u32 v19, v13, 16, 7
	s_movk_i32 s7, 0x7f
	v_cmp_ne_u32_e32 vcc, s7, v19
	v_mov_b32_e32 v12, 0x7f800001
	s_and_saveexec_b64 s[10:11], vcc
	s_cbranch_execz .LBB607_583
; %bb.582:
	v_and_b32_e32 v12, 7, v10
	v_ffbh_u32_e32 v26, v12
	v_min_u32_e32 v29, 32, v26
	v_subrev_u32_e32 v26, 28, v29
	v_lshlrev_b64 v[26:27], v26, v[10:11]
	v_lshrrev_b32_e32 v25, 3, v19
	v_sub_u32_e32 v10, 29, v29
	v_and_b32_e32 v26, 7, v26
	v_cmp_gt_u32_e32 vcc, 8, v19
	v_mov_b32_e32 v19, 24
	v_cndmask_b32_e32 v10, v25, v10, vcc
	v_cndmask_b32_e32 v12, v12, v26, vcc
	v_lshlrev_b32_sdwa v19, v19, v13 dst_sel:DWORD dst_unused:UNUSED_PAD src0_sel:DWORD src1_sel:WORD_1
	v_bfrev_b32_e32 v25, 60
	v_lshlrev_b32_e32 v12, 20, v12
	v_and_b32_e32 v19, 0x80000000, v19
	v_lshl_add_u32 v10, v10, 23, v25
	v_or3_b32 v12, v19, v10, v12
.LBB607_583:
	s_or_b64 exec, exec, s[10:11]
.LBB607_584:
	s_or_b64 exec, exec, s[8:9]
.LBB607_585:
	s_or_b64 exec, exec, s[2:3]
	s_mov_b32 s2, 0xffffff
	v_cmp_lt_u32_e32 vcc, s2, v13
	v_mov_b32_e32 v19, 0
	v_mov_b32_e32 v25, 0
	s_and_saveexec_b64 s[2:3], vcc
	s_cbranch_execz .LBB607_591
; %bb.586:
	v_lshrrev_b32_e32 v10, 24, v13
	s_movk_i32 s7, 0x80
	v_cmp_ne_u32_e32 vcc, s7, v10
	v_bfrev_b32_e32 v25, 1
	s_and_saveexec_b64 s[8:9], vcc
	s_cbranch_execz .LBB607_590
; %bb.587:
	v_bfe_u32 v13, v13, 24, 7
	s_movk_i32 s7, 0x7f
	v_cmp_ne_u32_e32 vcc, s7, v13
	v_mov_b32_e32 v25, 0x7f800001
	s_and_saveexec_b64 s[10:11], vcc
	s_cbranch_execz .LBB607_589
; %bb.588:
	v_and_b32_e32 v25, 7, v10
	v_ffbh_u32_e32 v26, v25
	v_min_u32_e32 v30, 32, v26
	v_subrev_u32_e32 v26, 28, v30
	v_lshlrev_b64 v[26:27], v26, v[10:11]
	v_lshrrev_b32_e32 v29, 3, v13
	v_sub_u32_e32 v27, 29, v30
	v_and_b32_e32 v26, 7, v26
	v_cmp_gt_u32_e32 vcc, 8, v13
	v_cndmask_b32_e32 v13, v29, v27, vcc
	v_cndmask_b32_e32 v25, v25, v26, vcc
	v_lshlrev_b32_e32 v10, 24, v10
	v_bfrev_b32_e32 v26, 60
	v_lshlrev_b32_e32 v25, 20, v25
	v_and_b32_e32 v10, 0x80000000, v10
	v_lshl_add_u32 v13, v13, 23, v26
	v_or3_b32 v25, v10, v13, v25
.LBB607_589:
	s_or_b64 exec, exec, s[10:11]
.LBB607_590:
	s_or_b64 exec, exec, s[8:9]
.LBB607_591:
	s_or_b64 exec, exec, s[2:3]
	v_cvt_pkrtz_f16_f32 v10, v18, v20
	v_cvt_pkrtz_f16_f32 v11, v11, v23
	ds_read_b128 v[30:33], v22 offset:2064
	s_waitcnt vmcnt(1)
	v_cmp_ne_u16_sdwa s[8:9], v6, v19 src0_sel:BYTE_0 src1_sel:DWORD
	s_waitcnt lgkmcnt(0)
	v_mfma_f32_16x16x16f16 v[14:17], v[10:11], v[30:31], v[14:17]
	v_cvt_pkrtz_f16_f32 v10, v21, v24
	v_cvt_pkrtz_f16_f32 v11, v12, v25
	s_nop 1
	v_mfma_f32_16x16x16f16 v[10:13], v[10:11], v[32:33], v[14:17]
	s_and_saveexec_b64 s[2:3], s[8:9]
	s_cbranch_execz .LBB607_597
; %bb.592:
	s_movk_i32 s7, 0x80
	v_cmp_ne_u16_sdwa s[10:11], v6, s7 src0_sel:BYTE_0 src1_sel:DWORD
	v_bfrev_b32_e32 v19, 1
	s_and_saveexec_b64 s[8:9], s[10:11]
	s_cbranch_execz .LBB607_596
; %bb.593:
	s_movk_i32 s7, 0x7f
	v_and_b32_e32 v14, 0x7f, v6
	v_cmp_ne_u32_e32 vcc, s7, v14
	v_mov_b32_e32 v19, 0x7f800001
	s_and_saveexec_b64 s[10:11], vcc
	s_cbranch_execz .LBB607_595
; %bb.594:
	v_and_b32_e32 v15, 7, v6
	v_ffbh_u32_e32 v16, v15
	v_min_u32_e32 v19, 32, v16
	v_subrev_u32_e32 v16, 28, v19
	v_lshlrev_b64 v[16:17], v16, v[6:7]
	v_lshrrev_b32_e32 v18, 3, v14
	v_sub_u32_e32 v17, 29, v19
	v_and_b32_e32 v16, 7, v16
	v_cmp_gt_u32_e32 vcc, 8, v14
	v_cndmask_b32_e32 v14, v18, v17, vcc
	v_cndmask_b32_e32 v15, v15, v16, vcc
	v_lshlrev_b32_e32 v16, 24, v6
	v_bfrev_b32_e32 v17, 60
	v_lshlrev_b32_e32 v15, 20, v15
	v_and_b32_e32 v16, 0x80000000, v16
	v_lshl_add_u32 v14, v14, 23, v17
	v_or3_b32 v19, v16, v14, v15
.LBB607_595:
	s_or_b64 exec, exec, s[10:11]
.LBB607_596:
	s_or_b64 exec, exec, s[8:9]
.LBB607_597:
	s_or_b64 exec, exec, s[2:3]
	s_nop 3
	v_lshrrev_b16_e32 v14, 8, v6
	v_cmp_ne_u16_e32 vcc, 0, v14
	v_mov_b32_e32 v15, 0
	v_mov_b32_e32 v16, 0
	s_and_saveexec_b64 s[2:3], vcc
	s_cbranch_execz .LBB607_603
; %bb.598:
	s_movk_i32 s7, 0x80
	v_cmp_ne_u16_e32 vcc, s7, v14
	v_bfrev_b32_e32 v16, 1
	s_and_saveexec_b64 s[8:9], vcc
	s_cbranch_execz .LBB607_602
; %bb.599:
	s_movk_i32 s7, 0x7f
	v_and_b32_e32 v17, 0x7f, v14
	v_cmp_ne_u32_e32 vcc, s7, v17
	v_mov_b32_e32 v16, 0x7f800001
	s_and_saveexec_b64 s[10:11], vcc
	s_cbranch_execz .LBB607_601
; %bb.600:
	v_and_b32_e32 v16, 7, v14
	v_ffbh_u32_e32 v20, v16
	v_min_u32_e32 v23, 32, v20
	v_subrev_u32_e32 v20, 28, v23
	v_lshlrev_b64 v[20:21], v20, v[14:15]
	v_lshrrev_b32_e32 v18, 3, v17
	v_sub_u32_e32 v14, 29, v23
	v_and_b32_e32 v20, 7, v20
	v_cmp_gt_u32_e32 vcc, 8, v17
	v_cndmask_b32_e32 v14, v18, v14, vcc
	v_cndmask_b32_e32 v16, v16, v20, vcc
	v_lshlrev_b32_e32 v17, 16, v6
	v_bfrev_b32_e32 v18, 60
	v_lshlrev_b32_e32 v16, 20, v16
	v_and_b32_e32 v17, 0x80000000, v17
	v_lshl_add_u32 v14, v14, 23, v18
	v_or3_b32 v16, v17, v14, v16
.LBB607_601:
	s_or_b64 exec, exec, s[10:11]
.LBB607_602:
	s_or_b64 exec, exec, s[8:9]
.LBB607_603:
	s_or_b64 exec, exec, s[2:3]
	s_movk_i32 s2, 0xff
	v_and_b32_sdwa v17, v6, s2 dst_sel:DWORD dst_unused:UNUSED_PAD src0_sel:WORD_1 src1_sel:DWORD
	v_lshrrev_b32_e32 v14, 16, v6
	v_cmp_ne_u16_e32 vcc, 0, v17
	s_and_saveexec_b64 s[2:3], vcc
	s_cbranch_execz .LBB607_609
; %bb.604:
	s_movk_i32 s7, 0x80
	v_cmp_ne_u16_e32 vcc, s7, v17
	v_bfrev_b32_e32 v15, 1
	s_and_saveexec_b64 s[8:9], vcc
	s_cbranch_execz .LBB607_608
; %bb.605:
	v_bfe_u32 v17, v6, 16, 7
	s_movk_i32 s7, 0x7f
	v_cmp_ne_u32_e32 vcc, s7, v17
	v_mov_b32_e32 v15, 0x7f800001
	s_and_saveexec_b64 s[10:11], vcc
	s_cbranch_execz .LBB607_607
; %bb.606:
	v_and_b32_e32 v18, 7, v14
	v_ffbh_u32_e32 v15, v18
	v_min_u32_e32 v21, 32, v15
	v_subrev_u32_e32 v15, 28, v21
	v_lshlrev_b64 v[14:15], v15, v[14:15]
	v_lshrrev_b32_e32 v20, 3, v17
	v_sub_u32_e32 v15, 29, v21
	v_and_b32_e32 v14, 7, v14
	v_cmp_gt_u32_e32 vcc, 8, v17
	v_mov_b32_e32 v17, 24
	v_cndmask_b32_e32 v15, v20, v15, vcc
	v_cndmask_b32_e32 v14, v18, v14, vcc
	v_lshlrev_b32_sdwa v17, v17, v6 dst_sel:DWORD dst_unused:UNUSED_PAD src0_sel:DWORD src1_sel:WORD_1
	v_bfrev_b32_e32 v18, 60
	v_lshlrev_b32_e32 v14, 20, v14
	v_and_b32_e32 v17, 0x80000000, v17
	v_lshl_add_u32 v15, v15, 23, v18
	v_or3_b32 v15, v17, v15, v14
.LBB607_607:
	s_or_b64 exec, exec, s[10:11]
.LBB607_608:
	s_or_b64 exec, exec, s[8:9]
.LBB607_609:
	s_or_b64 exec, exec, s[2:3]
	s_mov_b32 s2, 0xffffff
	v_cmp_lt_u32_e32 vcc, s2, v6
	v_mov_b32_e32 v17, 0
	v_mov_b32_e32 v18, 0
	s_and_saveexec_b64 s[2:3], vcc
	s_cbranch_execz .LBB607_615
; %bb.610:
	v_lshrrev_b32_e32 v14, 24, v6
	s_movk_i32 s7, 0x80
	v_cmp_ne_u32_e32 vcc, s7, v14
	v_bfrev_b32_e32 v18, 1
	s_and_saveexec_b64 s[8:9], vcc
	s_cbranch_execz .LBB607_614
; %bb.611:
	v_bfe_u32 v6, v6, 24, 7
	s_movk_i32 s7, 0x7f
	v_cmp_ne_u32_e32 vcc, s7, v6
	v_mov_b32_e32 v18, 0x7f800001
	s_and_saveexec_b64 s[10:11], vcc
	s_cbranch_execz .LBB607_613
; %bb.612:
	v_and_b32_e32 v18, 7, v14
	v_ffbh_u32_e32 v20, v18
	v_min_u32_e32 v24, 32, v20
	v_subrev_u32_e32 v20, 28, v24
	v_lshlrev_b64 v[20:21], v20, v[14:15]
	v_lshrrev_b32_e32 v23, 3, v6
	v_sub_u32_e32 v21, 29, v24
	v_and_b32_e32 v20, 7, v20
	v_cmp_gt_u32_e32 vcc, 8, v6
	v_cndmask_b32_e32 v6, v23, v21, vcc
	v_cndmask_b32_e32 v18, v18, v20, vcc
	v_lshlrev_b32_e32 v14, 24, v14
	v_bfrev_b32_e32 v20, 60
	v_lshlrev_b32_e32 v18, 20, v18
	v_and_b32_e32 v14, 0x80000000, v14
	v_lshl_add_u32 v6, v6, 23, v20
	v_or3_b32 v18, v14, v6, v18
.LBB607_613:
	s_or_b64 exec, exec, s[10:11]
.LBB607_614:
	s_or_b64 exec, exec, s[8:9]
.LBB607_615:
	s_or_b64 exec, exec, s[2:3]
	v_cmp_ne_u16_sdwa s[8:9], v7, v17 src0_sel:BYTE_0 src1_sel:DWORD
	s_and_saveexec_b64 s[2:3], s[8:9]
	s_cbranch_execz .LBB607_621
; %bb.616:
	s_movk_i32 s7, 0x80
	v_cmp_ne_u16_sdwa s[10:11], v7, s7 src0_sel:BYTE_0 src1_sel:DWORD
	v_bfrev_b32_e32 v17, 1
	s_and_saveexec_b64 s[8:9], s[10:11]
	s_cbranch_execz .LBB607_620
; %bb.617:
	s_movk_i32 s7, 0x7f
	v_and_b32_e32 v6, 0x7f, v7
	v_cmp_ne_u32_e32 vcc, s7, v6
	v_mov_b32_e32 v17, 0x7f800001
	s_and_saveexec_b64 s[10:11], vcc
	s_cbranch_execz .LBB607_619
; %bb.618:
	v_and_b32_e32 v17, 7, v7
	v_ffbh_u32_e32 v20, v17
	v_min_u32_e32 v24, 32, v20
	v_mov_b32_e32 v14, v7
	v_subrev_u32_e32 v20, 28, v24
	v_lshlrev_b64 v[20:21], v20, v[14:15]
	v_lshrrev_b32_e32 v23, 3, v6
	v_sub_u32_e32 v14, 29, v24
	v_and_b32_e32 v20, 7, v20
	v_cmp_gt_u32_e32 vcc, 8, v6
	v_cndmask_b32_e32 v6, v23, v14, vcc
	v_cndmask_b32_e32 v14, v17, v20, vcc
	v_lshlrev_b32_e32 v17, 24, v7
	v_bfrev_b32_e32 v20, 60
	v_lshlrev_b32_e32 v14, 20, v14
	v_and_b32_e32 v17, 0x80000000, v17
	v_lshl_add_u32 v6, v6, 23, v20
	v_or3_b32 v17, v17, v6, v14
.LBB607_619:
	s_or_b64 exec, exec, s[10:11]
.LBB607_620:
	s_or_b64 exec, exec, s[8:9]
.LBB607_621:
	s_or_b64 exec, exec, s[2:3]
	v_lshrrev_b16_e32 v6, 8, v7
	v_cmp_ne_u16_e32 vcc, 0, v6
	v_mov_b32_e32 v20, 0
	v_mov_b32_e32 v21, 0
	s_and_saveexec_b64 s[2:3], vcc
	s_cbranch_execz .LBB607_627
; %bb.622:
	s_movk_i32 s7, 0x80
	v_cmp_ne_u16_e32 vcc, s7, v6
	v_bfrev_b32_e32 v21, 1
	s_and_saveexec_b64 s[8:9], vcc
	s_cbranch_execz .LBB607_626
; %bb.623:
	s_movk_i32 s7, 0x7f
	v_and_b32_e32 v14, 0x7f, v6
	v_cmp_ne_u32_e32 vcc, s7, v14
	v_mov_b32_e32 v21, 0x7f800001
	s_and_saveexec_b64 s[10:11], vcc
	s_cbranch_execz .LBB607_625
; %bb.624:
	v_and_b32_e32 v21, 7, v6
	v_ffbh_u32_e32 v24, v21
	v_min_u32_e32 v26, 32, v24
	v_subrev_u32_e32 v24, 28, v26
	v_lshlrev_b64 v[24:25], v24, v[6:7]
	v_lshrrev_b32_e32 v23, 3, v14
	v_sub_u32_e32 v6, 29, v26
	v_and_b32_e32 v24, 7, v24
	v_cmp_gt_u32_e32 vcc, 8, v14
	v_cndmask_b32_e32 v6, v23, v6, vcc
	v_cndmask_b32_e32 v14, v21, v24, vcc
	v_lshlrev_b32_e32 v21, 16, v7
	v_bfrev_b32_e32 v23, 60
	v_lshlrev_b32_e32 v14, 20, v14
	v_and_b32_e32 v21, 0x80000000, v21
	v_lshl_add_u32 v6, v6, 23, v23
	v_or3_b32 v21, v21, v6, v14
.LBB607_625:
	s_or_b64 exec, exec, s[10:11]
.LBB607_626:
	s_or_b64 exec, exec, s[8:9]
.LBB607_627:
	s_or_b64 exec, exec, s[2:3]
	s_movk_i32 s2, 0xff
	v_and_b32_sdwa v14, v7, s2 dst_sel:DWORD dst_unused:UNUSED_PAD src0_sel:WORD_1 src1_sel:DWORD
	v_lshrrev_b32_e32 v6, 16, v7
	v_cmp_ne_u16_e32 vcc, 0, v14
	s_and_saveexec_b64 s[2:3], vcc
	s_cbranch_execz .LBB607_633
; %bb.628:
	s_movk_i32 s7, 0x80
	v_cmp_ne_u16_e32 vcc, s7, v14
	v_bfrev_b32_e32 v20, 1
	s_and_saveexec_b64 s[8:9], vcc
	s_cbranch_execz .LBB607_632
; %bb.629:
	v_bfe_u32 v14, v7, 16, 7
	s_movk_i32 s7, 0x7f
	v_cmp_ne_u32_e32 vcc, s7, v14
	v_mov_b32_e32 v20, 0x7f800001
	s_and_saveexec_b64 s[10:11], vcc
	s_cbranch_execz .LBB607_631
; %bb.630:
	v_and_b32_e32 v20, 7, v6
	v_ffbh_u32_e32 v24, v20
	v_min_u32_e32 v26, 32, v24
	v_subrev_u32_e32 v24, 28, v26
	v_lshlrev_b64 v[24:25], v24, v[6:7]
	v_and_b32_e32 v24, 7, v24
	v_cmp_gt_u32_e32 vcc, 8, v14
	v_lshrrev_b32_e32 v23, 3, v14
	v_sub_u32_e32 v6, 29, v26
	v_cndmask_b32_e32 v14, v20, v24, vcc
	v_mov_b32_e32 v20, 24
	v_cndmask_b32_e32 v6, v23, v6, vcc
	v_lshlrev_b32_sdwa v20, v20, v7 dst_sel:DWORD dst_unused:UNUSED_PAD src0_sel:DWORD src1_sel:WORD_1
	v_bfrev_b32_e32 v23, 60
	v_lshlrev_b32_e32 v14, 20, v14
	v_and_b32_e32 v20, 0x80000000, v20
	v_lshl_add_u32 v6, v6, 23, v23
	v_or3_b32 v20, v20, v6, v14
.LBB607_631:
	s_or_b64 exec, exec, s[10:11]
.LBB607_632:
	s_or_b64 exec, exec, s[8:9]
.LBB607_633:
	s_or_b64 exec, exec, s[2:3]
	s_mov_b32 s2, 0xffffff
	v_cmp_lt_u32_e32 vcc, s2, v7
	v_mov_b32_e32 v14, 0
	v_mov_b32_e32 v23, 0
	s_and_saveexec_b64 s[2:3], vcc
	s_cbranch_execz .LBB607_639
; %bb.634:
	v_lshrrev_b32_e32 v6, 24, v7
	s_movk_i32 s7, 0x80
	v_cmp_ne_u32_e32 vcc, s7, v6
	v_bfrev_b32_e32 v23, 1
	s_and_saveexec_b64 s[8:9], vcc
	s_cbranch_execz .LBB607_638
; %bb.635:
	v_bfe_u32 v7, v7, 24, 7
	s_movk_i32 s7, 0x7f
	v_cmp_ne_u32_e32 vcc, s7, v7
	v_mov_b32_e32 v23, 0x7f800001
	s_and_saveexec_b64 s[10:11], vcc
	s_cbranch_execz .LBB607_637
; %bb.636:
	v_and_b32_e32 v23, 7, v6
	v_ffbh_u32_e32 v24, v23
	v_min_u32_e32 v27, 32, v24
	v_subrev_u32_e32 v24, 28, v27
	v_lshlrev_b64 v[24:25], v24, v[6:7]
	v_lshrrev_b32_e32 v26, 3, v7
	v_sub_u32_e32 v25, 29, v27
	v_and_b32_e32 v24, 7, v24
	v_cmp_gt_u32_e32 vcc, 8, v7
	v_cndmask_b32_e32 v7, v26, v25, vcc
	v_cndmask_b32_e32 v23, v23, v24, vcc
	v_lshlrev_b32_e32 v6, 24, v6
	v_bfrev_b32_e32 v24, 60
	v_lshlrev_b32_e32 v23, 20, v23
	v_and_b32_e32 v6, 0x80000000, v6
	v_lshl_add_u32 v7, v7, 23, v24
	v_or3_b32 v23, v6, v7, v23
.LBB607_637:
	s_or_b64 exec, exec, s[10:11]
.LBB607_638:
	s_or_b64 exec, exec, s[8:9]
.LBB607_639:
	s_or_b64 exec, exec, s[2:3]
	v_cvt_pkrtz_f16_f32 v6, v19, v16
	v_cvt_pkrtz_f16_f32 v7, v15, v18
	ds_read_b128 v[24:27], v22 offset:4096
	v_cmp_ne_u16_sdwa s[8:9], v8, v14 src0_sel:BYTE_0 src1_sel:DWORD
	s_waitcnt lgkmcnt(0)
	v_mfma_f32_16x16x16f16 v[10:13], v[6:7], v[24:25], v[10:13]
	v_cvt_pkrtz_f16_f32 v6, v17, v21
	v_cvt_pkrtz_f16_f32 v7, v20, v23
	s_nop 1
	v_mfma_f32_16x16x16f16 v[10:13], v[6:7], v[26:27], v[10:13]
	s_and_saveexec_b64 s[2:3], s[8:9]
	s_cbranch_execz .LBB607_645
; %bb.640:
	s_movk_i32 s7, 0x80
	v_cmp_ne_u16_sdwa s[10:11], v8, s7 src0_sel:BYTE_0 src1_sel:DWORD
	v_bfrev_b32_e32 v14, 1
	s_and_saveexec_b64 s[8:9], s[10:11]
	s_cbranch_execz .LBB607_644
; %bb.641:
	s_movk_i32 s7, 0x7f
	v_and_b32_e32 v6, 0x7f, v8
	v_cmp_ne_u32_e32 vcc, s7, v6
	v_mov_b32_e32 v14, 0x7f800001
	s_and_saveexec_b64 s[10:11], vcc
	s_cbranch_execz .LBB607_643
; %bb.642:
	v_and_b32_e32 v7, 7, v8
	v_ffbh_u32_e32 v14, v7
	v_min_u32_e32 v17, 32, v14
	v_subrev_u32_e32 v14, 28, v17
	v_lshlrev_b64 v[14:15], v14, v[8:9]
	v_lshrrev_b32_e32 v16, 3, v6
	v_sub_u32_e32 v15, 29, v17
	v_and_b32_e32 v14, 7, v14
	v_cmp_gt_u32_e32 vcc, 8, v6
	v_cndmask_b32_e32 v6, v16, v15, vcc
	v_cndmask_b32_e32 v7, v7, v14, vcc
	v_lshlrev_b32_e32 v14, 24, v8
	v_bfrev_b32_e32 v15, 60
	v_lshlrev_b32_e32 v7, 20, v7
	v_and_b32_e32 v14, 0x80000000, v14
	v_lshl_add_u32 v6, v6, 23, v15
	v_or3_b32 v14, v14, v6, v7
.LBB607_643:
	s_or_b64 exec, exec, s[10:11]
.LBB607_644:
	s_or_b64 exec, exec, s[8:9]
.LBB607_645:
	s_or_b64 exec, exec, s[2:3]
	v_lshrrev_b16_e32 v6, 8, v8
	v_cmp_ne_u16_e32 vcc, 0, v6
	v_mov_b32_e32 v7, 0
	v_mov_b32_e32 v16, 0
	s_and_saveexec_b64 s[2:3], vcc
	s_cbranch_execz .LBB607_651
; %bb.646:
	s_movk_i32 s7, 0x80
	v_cmp_ne_u16_e32 vcc, s7, v6
	v_bfrev_b32_e32 v16, 1
	s_and_saveexec_b64 s[8:9], vcc
	s_cbranch_execz .LBB607_650
; %bb.647:
	s_movk_i32 s7, 0x7f
	v_and_b32_e32 v15, 0x7f, v6
	v_cmp_ne_u32_e32 vcc, s7, v15
	v_mov_b32_e32 v16, 0x7f800001
	s_and_saveexec_b64 s[10:11], vcc
	s_cbranch_execz .LBB607_649
; %bb.648:
	v_and_b32_e32 v18, 7, v6
	v_ffbh_u32_e32 v16, v18
	v_min_u32_e32 v20, 32, v16
	v_subrev_u32_e32 v16, 28, v20
	v_lshlrev_b64 v[16:17], v16, v[6:7]
	v_lshrrev_b32_e32 v19, 3, v15
	v_sub_u32_e32 v6, 29, v20
	v_and_b32_e32 v16, 7, v16
	v_cmp_gt_u32_e32 vcc, 8, v15
	v_cndmask_b32_e32 v6, v19, v6, vcc
	v_cndmask_b32_e32 v15, v18, v16, vcc
	v_lshlrev_b32_e32 v16, 16, v8
	v_bfrev_b32_e32 v17, 60
	v_lshlrev_b32_e32 v15, 20, v15
	v_and_b32_e32 v16, 0x80000000, v16
	v_lshl_add_u32 v6, v6, 23, v17
	v_or3_b32 v16, v16, v6, v15
.LBB607_649:
	s_or_b64 exec, exec, s[10:11]
.LBB607_650:
	s_or_b64 exec, exec, s[8:9]
.LBB607_651:
	s_or_b64 exec, exec, s[2:3]
	s_movk_i32 s2, 0xff
	v_and_b32_sdwa v15, v8, s2 dst_sel:DWORD dst_unused:UNUSED_PAD src0_sel:WORD_1 src1_sel:DWORD
	v_lshrrev_b32_e32 v6, 16, v8
	v_cmp_ne_u16_e32 vcc, 0, v15
	s_and_saveexec_b64 s[2:3], vcc
	s_cbranch_execz .LBB607_657
; %bb.652:
	s_movk_i32 s7, 0x80
	v_cmp_ne_u16_e32 vcc, s7, v15
	v_bfrev_b32_e32 v7, 1
	s_and_saveexec_b64 s[8:9], vcc
	s_cbranch_execz .LBB607_656
; %bb.653:
	v_bfe_u32 v15, v8, 16, 7
	s_movk_i32 s7, 0x7f
	v_cmp_ne_u32_e32 vcc, s7, v15
	v_mov_b32_e32 v7, 0x7f800001
	s_and_saveexec_b64 s[10:11], vcc
	s_cbranch_execz .LBB607_655
; %bb.654:
	v_and_b32_e32 v17, 7, v6
	v_ffbh_u32_e32 v7, v17
	v_min_u32_e32 v19, 32, v7
	v_subrev_u32_e32 v7, 28, v19
	v_lshlrev_b64 v[6:7], v7, v[6:7]
	v_lshrrev_b32_e32 v18, 3, v15
	v_sub_u32_e32 v7, 29, v19
	v_and_b32_e32 v6, 7, v6
	v_cmp_gt_u32_e32 vcc, 8, v15
	v_mov_b32_e32 v15, 24
	v_cndmask_b32_e32 v7, v18, v7, vcc
	v_cndmask_b32_e32 v6, v17, v6, vcc
	v_lshlrev_b32_sdwa v15, v15, v8 dst_sel:DWORD dst_unused:UNUSED_PAD src0_sel:DWORD src1_sel:WORD_1
	v_bfrev_b32_e32 v17, 60
	v_lshlrev_b32_e32 v6, 20, v6
	v_and_b32_e32 v15, 0x80000000, v15
	v_lshl_add_u32 v7, v7, 23, v17
	v_or3_b32 v7, v15, v7, v6
.LBB607_655:
	s_or_b64 exec, exec, s[10:11]
.LBB607_656:
	s_or_b64 exec, exec, s[8:9]
.LBB607_657:
	s_or_b64 exec, exec, s[2:3]
	s_mov_b32 s2, 0xffffff
	v_cmp_lt_u32_e32 vcc, s2, v8
	v_mov_b32_e32 v17, 0
	v_mov_b32_e32 v18, 0
	s_and_saveexec_b64 s[2:3], vcc
	s_cbranch_execz .LBB607_663
; %bb.658:
	v_lshrrev_b32_e32 v6, 24, v8
	s_movk_i32 s7, 0x80
	v_cmp_ne_u32_e32 vcc, s7, v6
	v_bfrev_b32_e32 v18, 1
	s_and_saveexec_b64 s[8:9], vcc
	s_cbranch_execz .LBB607_662
; %bb.659:
	v_bfe_u32 v8, v8, 24, 7
	s_movk_i32 s7, 0x7f
	v_cmp_ne_u32_e32 vcc, s7, v8
	v_mov_b32_e32 v18, 0x7f800001
	s_and_saveexec_b64 s[10:11], vcc
	s_cbranch_execz .LBB607_661
; %bb.660:
	v_and_b32_e32 v15, 7, v6
	v_ffbh_u32_e32 v18, v15
	v_min_u32_e32 v21, 32, v18
	v_subrev_u32_e32 v18, 28, v21
	v_lshlrev_b64 v[18:19], v18, v[6:7]
	v_lshrrev_b32_e32 v20, 3, v8
	v_sub_u32_e32 v19, 29, v21
	v_and_b32_e32 v18, 7, v18
	v_cmp_gt_u32_e32 vcc, 8, v8
	v_cndmask_b32_e32 v8, v20, v19, vcc
	v_cndmask_b32_e32 v15, v15, v18, vcc
	v_lshlrev_b32_e32 v6, 24, v6
	v_bfrev_b32_e32 v18, 60
	v_lshlrev_b32_e32 v15, 20, v15
	v_and_b32_e32 v6, 0x80000000, v6
	v_lshl_add_u32 v8, v8, 23, v18
	v_or3_b32 v18, v6, v8, v15
.LBB607_661:
	s_or_b64 exec, exec, s[10:11]
.LBB607_662:
	s_or_b64 exec, exec, s[8:9]
.LBB607_663:
	s_or_b64 exec, exec, s[2:3]
	v_cmp_ne_u16_sdwa s[8:9], v9, v17 src0_sel:BYTE_0 src1_sel:DWORD
	s_and_saveexec_b64 s[2:3], s[8:9]
	s_cbranch_execz .LBB607_669
; %bb.664:
	s_movk_i32 s7, 0x80
	v_cmp_ne_u16_sdwa s[10:11], v9, s7 src0_sel:BYTE_0 src1_sel:DWORD
	v_bfrev_b32_e32 v17, 1
	s_and_saveexec_b64 s[8:9], s[10:11]
	s_cbranch_execz .LBB607_668
; %bb.665:
	s_movk_i32 s7, 0x7f
	v_and_b32_e32 v6, 0x7f, v9
	v_cmp_ne_u32_e32 vcc, s7, v6
	v_mov_b32_e32 v17, 0x7f800001
	s_and_saveexec_b64 s[10:11], vcc
	s_cbranch_execz .LBB607_667
; %bb.666:
	v_and_b32_e32 v15, 7, v9
	v_ffbh_u32_e32 v19, v15
	v_min_u32_e32 v19, 32, v19
	v_mov_b32_e32 v8, v9
	v_subrev_u32_e32 v20, 28, v19
	v_lshlrev_b64 v[20:21], v20, v[8:9]
	v_lshrrev_b32_e32 v17, 3, v6
	v_sub_u32_e32 v8, 29, v19
	v_and_b32_e32 v19, 7, v20
	v_cmp_gt_u32_e32 vcc, 8, v6
	v_cndmask_b32_e32 v6, v17, v8, vcc
	v_cndmask_b32_e32 v8, v15, v19, vcc
	v_lshlrev_b32_e32 v15, 24, v9
	v_bfrev_b32_e32 v17, 60
	v_lshlrev_b32_e32 v8, 20, v8
	v_and_b32_e32 v15, 0x80000000, v15
	v_lshl_add_u32 v6, v6, 23, v17
	v_or3_b32 v17, v15, v6, v8
.LBB607_667:
	s_or_b64 exec, exec, s[10:11]
.LBB607_668:
	s_or_b64 exec, exec, s[8:9]
.LBB607_669:
	s_or_b64 exec, exec, s[2:3]
	v_lshrrev_b16_e32 v6, 8, v9
	v_cmp_ne_u16_e32 vcc, 0, v6
	v_mov_b32_e32 v8, 0
	v_mov_b32_e32 v19, 0
	s_and_saveexec_b64 s[2:3], vcc
	s_cbranch_execz .LBB607_675
; %bb.670:
	s_movk_i32 s7, 0x80
	v_cmp_ne_u16_e32 vcc, s7, v6
	v_bfrev_b32_e32 v19, 1
	s_and_saveexec_b64 s[8:9], vcc
	s_cbranch_execz .LBB607_674
; %bb.671:
	s_movk_i32 s7, 0x7f
	v_and_b32_e32 v15, 0x7f, v6
	v_cmp_ne_u32_e32 vcc, s7, v15
	v_mov_b32_e32 v19, 0x7f800001
	s_and_saveexec_b64 s[10:11], vcc
	s_cbranch_execz .LBB607_673
; %bb.672:
	v_and_b32_e32 v19, 7, v6
	v_ffbh_u32_e32 v20, v19
	v_min_u32_e32 v24, 32, v20
	v_subrev_u32_e32 v20, 28, v24
	v_lshlrev_b64 v[20:21], v20, v[6:7]
	v_lshrrev_b32_e32 v23, 3, v15
	v_sub_u32_e32 v6, 29, v24
	v_and_b32_e32 v20, 7, v20
	v_cmp_gt_u32_e32 vcc, 8, v15
	v_cndmask_b32_e32 v6, v23, v6, vcc
	v_cndmask_b32_e32 v15, v19, v20, vcc
	v_lshlrev_b32_e32 v19, 16, v9
	v_bfrev_b32_e32 v20, 60
	v_lshlrev_b32_e32 v15, 20, v15
	v_and_b32_e32 v19, 0x80000000, v19
	v_lshl_add_u32 v6, v6, 23, v20
	v_or3_b32 v19, v19, v6, v15
.LBB607_673:
	s_or_b64 exec, exec, s[10:11]
.LBB607_674:
	s_or_b64 exec, exec, s[8:9]
.LBB607_675:
	s_or_b64 exec, exec, s[2:3]
	s_movk_i32 s2, 0xff
	v_and_b32_sdwa v15, v9, s2 dst_sel:DWORD dst_unused:UNUSED_PAD src0_sel:WORD_1 src1_sel:DWORD
	v_lshrrev_b32_e32 v6, 16, v9
	v_cmp_ne_u16_e32 vcc, 0, v15
	s_and_saveexec_b64 s[2:3], vcc
	s_cbranch_execz .LBB607_681
; %bb.676:
	s_movk_i32 s7, 0x80
	v_cmp_ne_u16_e32 vcc, s7, v15
	v_bfrev_b32_e32 v8, 1
	s_and_saveexec_b64 s[8:9], vcc
	s_cbranch_execz .LBB607_680
; %bb.677:
	v_bfe_u32 v15, v9, 16, 7
	s_movk_i32 s7, 0x7f
	v_cmp_ne_u32_e32 vcc, s7, v15
	v_mov_b32_e32 v8, 0x7f800001
	s_and_saveexec_b64 s[10:11], vcc
	s_cbranch_execz .LBB607_679
; %bb.678:
	v_and_b32_e32 v8, 7, v6
	v_ffbh_u32_e32 v20, v8
	v_min_u32_e32 v24, 32, v20
	v_subrev_u32_e32 v20, 28, v24
	v_lshlrev_b64 v[20:21], v20, v[6:7]
	v_lshrrev_b32_e32 v23, 3, v15
	v_sub_u32_e32 v6, 29, v24
	v_and_b32_e32 v20, 7, v20
	v_cmp_gt_u32_e32 vcc, 8, v15
	v_mov_b32_e32 v15, 24
	v_cndmask_b32_e32 v6, v23, v6, vcc
	v_cndmask_b32_e32 v8, v8, v20, vcc
	v_lshlrev_b32_sdwa v15, v15, v9 dst_sel:DWORD dst_unused:UNUSED_PAD src0_sel:DWORD src1_sel:WORD_1
	v_bfrev_b32_e32 v20, 60
	v_lshlrev_b32_e32 v8, 20, v8
	v_and_b32_e32 v15, 0x80000000, v15
	v_lshl_add_u32 v6, v6, 23, v20
	v_or3_b32 v8, v15, v6, v8
.LBB607_679:
	s_or_b64 exec, exec, s[10:11]
.LBB607_680:
	s_or_b64 exec, exec, s[8:9]
.LBB607_681:
	s_or_b64 exec, exec, s[2:3]
	s_mov_b32 s2, 0xffffff
	v_cmp_lt_u32_e32 vcc, s2, v9
	v_mov_b32_e32 v15, 0
	v_mov_b32_e32 v20, 0
	s_and_saveexec_b64 s[2:3], vcc
	s_cbranch_execz .LBB607_687
; %bb.682:
	v_lshrrev_b32_e32 v6, 24, v9
	s_movk_i32 s7, 0x80
	v_cmp_ne_u32_e32 vcc, s7, v6
	v_bfrev_b32_e32 v20, 1
	s_and_saveexec_b64 s[8:9], vcc
	s_cbranch_execz .LBB607_686
; %bb.683:
	v_bfe_u32 v9, v9, 24, 7
	s_movk_i32 s7, 0x7f
	v_cmp_ne_u32_e32 vcc, s7, v9
	v_mov_b32_e32 v20, 0x7f800001
	s_and_saveexec_b64 s[10:11], vcc
	s_cbranch_execz .LBB607_685
; %bb.684:
	v_and_b32_e32 v23, 7, v6
	v_ffbh_u32_e32 v20, v23
	v_min_u32_e32 v25, 32, v20
	v_subrev_u32_e32 v20, 28, v25
	v_lshlrev_b64 v[20:21], v20, v[6:7]
	v_lshrrev_b32_e32 v24, 3, v9
	v_sub_u32_e32 v21, 29, v25
	v_and_b32_e32 v20, 7, v20
	v_cmp_gt_u32_e32 vcc, 8, v9
	v_cndmask_b32_e32 v9, v24, v21, vcc
	v_cndmask_b32_e32 v20, v23, v20, vcc
	v_lshlrev_b32_e32 v6, 24, v6
	v_bfrev_b32_e32 v21, 60
	v_lshlrev_b32_e32 v20, 20, v20
	v_and_b32_e32 v6, 0x80000000, v6
	v_lshl_add_u32 v9, v9, 23, v21
	v_or3_b32 v20, v6, v9, v20
.LBB607_685:
	s_or_b64 exec, exec, s[10:11]
.LBB607_686:
	s_or_b64 exec, exec, s[8:9]
.LBB607_687:
	s_or_b64 exec, exec, s[2:3]
	v_cvt_pkrtz_f16_f32 v6, v14, v16
	v_cvt_pkrtz_f16_f32 v7, v7, v18
	ds_read_b128 v[24:27], v22 offset:4112
	s_waitcnt vmcnt(0)
	v_cmp_ne_u16_sdwa s[8:9], v2, v15 src0_sel:BYTE_0 src1_sel:DWORD
	s_waitcnt lgkmcnt(0)
	v_mfma_f32_16x16x16f16 v[10:13], v[6:7], v[24:25], v[10:13]
	v_cvt_pkrtz_f16_f32 v6, v17, v19
	v_cvt_pkrtz_f16_f32 v7, v8, v20
	s_nop 1
	v_mfma_f32_16x16x16f16 v[6:9], v[6:7], v[26:27], v[10:13]
	s_and_saveexec_b64 s[2:3], s[8:9]
	s_cbranch_execz .LBB607_693
; %bb.688:
	s_movk_i32 s7, 0x80
	v_cmp_ne_u16_sdwa s[10:11], v2, s7 src0_sel:BYTE_0 src1_sel:DWORD
	v_bfrev_b32_e32 v15, 1
	s_and_saveexec_b64 s[8:9], s[10:11]
	s_cbranch_execz .LBB607_692
; %bb.689:
	s_movk_i32 s7, 0x7f
	v_and_b32_e32 v10, 0x7f, v2
	v_cmp_ne_u32_e32 vcc, s7, v10
	v_mov_b32_e32 v15, 0x7f800001
	s_and_saveexec_b64 s[10:11], vcc
	s_cbranch_execz .LBB607_691
; %bb.690:
	v_and_b32_e32 v11, 7, v2
	v_ffbh_u32_e32 v12, v11
	v_min_u32_e32 v15, 32, v12
	v_subrev_u32_e32 v12, 28, v15
	v_lshlrev_b64 v[12:13], v12, v[2:3]
	v_lshrrev_b32_e32 v14, 3, v10
	v_sub_u32_e32 v13, 29, v15
	v_and_b32_e32 v12, 7, v12
	v_cmp_gt_u32_e32 vcc, 8, v10
	v_cndmask_b32_e32 v10, v14, v13, vcc
	v_cndmask_b32_e32 v11, v11, v12, vcc
	v_lshlrev_b32_e32 v12, 24, v2
	v_bfrev_b32_e32 v13, 60
	v_lshlrev_b32_e32 v11, 20, v11
	v_and_b32_e32 v12, 0x80000000, v12
	v_lshl_add_u32 v10, v10, 23, v13
	v_or3_b32 v15, v12, v10, v11
.LBB607_691:
	s_or_b64 exec, exec, s[10:11]
.LBB607_692:
	s_or_b64 exec, exec, s[8:9]
.LBB607_693:
	s_or_b64 exec, exec, s[2:3]
	s_nop 3
	v_lshrrev_b16_e32 v10, 8, v2
	v_cmp_ne_u16_e32 vcc, 0, v10
	v_mov_b32_e32 v11, 0
	v_mov_b32_e32 v12, 0
	s_and_saveexec_b64 s[2:3], vcc
	s_cbranch_execz .LBB607_699
; %bb.694:
	s_movk_i32 s7, 0x80
	v_cmp_ne_u16_e32 vcc, s7, v10
	v_bfrev_b32_e32 v12, 1
	s_and_saveexec_b64 s[8:9], vcc
	s_cbranch_execz .LBB607_698
; %bb.695:
	s_movk_i32 s7, 0x7f
	v_and_b32_e32 v13, 0x7f, v10
	v_cmp_ne_u32_e32 vcc, s7, v13
	v_mov_b32_e32 v12, 0x7f800001
	s_and_saveexec_b64 s[10:11], vcc
	s_cbranch_execz .LBB607_697
; %bb.696:
	v_and_b32_e32 v12, 7, v10
	v_ffbh_u32_e32 v16, v12
	v_min_u32_e32 v18, 32, v16
	v_subrev_u32_e32 v16, 28, v18
	v_lshlrev_b64 v[16:17], v16, v[10:11]
	v_lshrrev_b32_e32 v14, 3, v13
	v_sub_u32_e32 v10, 29, v18
	v_and_b32_e32 v16, 7, v16
	v_cmp_gt_u32_e32 vcc, 8, v13
	v_cndmask_b32_e32 v10, v14, v10, vcc
	v_cndmask_b32_e32 v12, v12, v16, vcc
	v_lshlrev_b32_e32 v13, 16, v2
	v_bfrev_b32_e32 v14, 60
	v_lshlrev_b32_e32 v12, 20, v12
	v_and_b32_e32 v13, 0x80000000, v13
	v_lshl_add_u32 v10, v10, 23, v14
	v_or3_b32 v12, v13, v10, v12
.LBB607_697:
	s_or_b64 exec, exec, s[10:11]
.LBB607_698:
	s_or_b64 exec, exec, s[8:9]
.LBB607_699:
	s_or_b64 exec, exec, s[2:3]
	s_movk_i32 s2, 0xff
	v_and_b32_sdwa v13, v2, s2 dst_sel:DWORD dst_unused:UNUSED_PAD src0_sel:WORD_1 src1_sel:DWORD
	v_lshrrev_b32_e32 v10, 16, v2
	v_cmp_ne_u16_e32 vcc, 0, v13
	s_and_saveexec_b64 s[2:3], vcc
	s_cbranch_execz .LBB607_705
; %bb.700:
	s_movk_i32 s7, 0x80
	v_cmp_ne_u16_e32 vcc, s7, v13
	v_bfrev_b32_e32 v11, 1
	s_and_saveexec_b64 s[8:9], vcc
	s_cbranch_execz .LBB607_704
; %bb.701:
	v_bfe_u32 v13, v2, 16, 7
	s_movk_i32 s7, 0x7f
	v_cmp_ne_u32_e32 vcc, s7, v13
	v_mov_b32_e32 v11, 0x7f800001
	s_and_saveexec_b64 s[10:11], vcc
	s_cbranch_execz .LBB607_703
; %bb.702:
	v_and_b32_e32 v14, 7, v10
	v_ffbh_u32_e32 v11, v14
	v_min_u32_e32 v17, 32, v11
	v_subrev_u32_e32 v11, 28, v17
	v_lshlrev_b64 v[10:11], v11, v[10:11]
	v_lshrrev_b32_e32 v16, 3, v13
	v_sub_u32_e32 v11, 29, v17
	v_and_b32_e32 v10, 7, v10
	v_cmp_gt_u32_e32 vcc, 8, v13
	v_mov_b32_e32 v13, 24
	v_cndmask_b32_e32 v11, v16, v11, vcc
	v_cndmask_b32_e32 v10, v14, v10, vcc
	v_lshlrev_b32_sdwa v13, v13, v2 dst_sel:DWORD dst_unused:UNUSED_PAD src0_sel:DWORD src1_sel:WORD_1
	v_bfrev_b32_e32 v14, 60
	v_lshlrev_b32_e32 v10, 20, v10
	v_and_b32_e32 v13, 0x80000000, v13
	v_lshl_add_u32 v11, v11, 23, v14
	v_or3_b32 v11, v13, v11, v10
.LBB607_703:
	s_or_b64 exec, exec, s[10:11]
.LBB607_704:
	s_or_b64 exec, exec, s[8:9]
.LBB607_705:
	s_or_b64 exec, exec, s[2:3]
	s_mov_b32 s2, 0xffffff
	v_cmp_lt_u32_e32 vcc, s2, v2
	v_mov_b32_e32 v13, 0
	v_mov_b32_e32 v14, 0
	s_and_saveexec_b64 s[2:3], vcc
	s_cbranch_execz .LBB607_711
; %bb.706:
	v_lshrrev_b32_e32 v10, 24, v2
	s_movk_i32 s7, 0x80
	v_cmp_ne_u32_e32 vcc, s7, v10
	v_bfrev_b32_e32 v14, 1
	s_and_saveexec_b64 s[8:9], vcc
	s_cbranch_execz .LBB607_710
; %bb.707:
	v_bfe_u32 v2, v2, 24, 7
	s_movk_i32 s7, 0x7f
	v_cmp_ne_u32_e32 vcc, s7, v2
	v_mov_b32_e32 v14, 0x7f800001
	s_and_saveexec_b64 s[10:11], vcc
	s_cbranch_execz .LBB607_709
; %bb.708:
	v_and_b32_e32 v14, 7, v10
	v_ffbh_u32_e32 v16, v14
	v_min_u32_e32 v19, 32, v16
	v_subrev_u32_e32 v16, 28, v19
	v_lshlrev_b64 v[16:17], v16, v[10:11]
	v_lshrrev_b32_e32 v18, 3, v2
	v_sub_u32_e32 v17, 29, v19
	v_and_b32_e32 v16, 7, v16
	v_cmp_gt_u32_e32 vcc, 8, v2
	v_cndmask_b32_e32 v2, v18, v17, vcc
	v_cndmask_b32_e32 v14, v14, v16, vcc
	v_lshlrev_b32_e32 v10, 24, v10
	v_bfrev_b32_e32 v16, 60
	v_lshlrev_b32_e32 v14, 20, v14
	v_and_b32_e32 v10, 0x80000000, v10
	v_lshl_add_u32 v2, v2, 23, v16
	v_or3_b32 v14, v10, v2, v14
.LBB607_709:
	s_or_b64 exec, exec, s[10:11]
.LBB607_710:
	s_or_b64 exec, exec, s[8:9]
.LBB607_711:
	s_or_b64 exec, exec, s[2:3]
	v_cmp_ne_u16_sdwa s[8:9], v3, v13 src0_sel:BYTE_0 src1_sel:DWORD
	s_and_saveexec_b64 s[2:3], s[8:9]
	s_cbranch_execz .LBB607_717
; %bb.712:
	s_movk_i32 s7, 0x80
	v_cmp_ne_u16_sdwa s[10:11], v3, s7 src0_sel:BYTE_0 src1_sel:DWORD
	v_bfrev_b32_e32 v13, 1
	s_and_saveexec_b64 s[8:9], s[10:11]
	s_cbranch_execz .LBB607_716
; %bb.713:
	s_movk_i32 s7, 0x7f
	v_and_b32_e32 v2, 0x7f, v3
	v_cmp_ne_u32_e32 vcc, s7, v2
	v_mov_b32_e32 v13, 0x7f800001
	s_and_saveexec_b64 s[10:11], vcc
	s_cbranch_execz .LBB607_715
; %bb.714:
	v_and_b32_e32 v13, 7, v3
	v_ffbh_u32_e32 v16, v13
	v_min_u32_e32 v19, 32, v16
	v_mov_b32_e32 v10, v3
	v_subrev_u32_e32 v16, 28, v19
	v_lshlrev_b64 v[16:17], v16, v[10:11]
	v_lshrrev_b32_e32 v18, 3, v2
	v_sub_u32_e32 v10, 29, v19
	v_and_b32_e32 v16, 7, v16
	v_cmp_gt_u32_e32 vcc, 8, v2
	v_cndmask_b32_e32 v2, v18, v10, vcc
	v_cndmask_b32_e32 v10, v13, v16, vcc
	v_lshlrev_b32_e32 v13, 24, v3
	v_bfrev_b32_e32 v16, 60
	v_lshlrev_b32_e32 v10, 20, v10
	v_and_b32_e32 v13, 0x80000000, v13
	v_lshl_add_u32 v2, v2, 23, v16
	v_or3_b32 v13, v13, v2, v10
.LBB607_715:
	s_or_b64 exec, exec, s[10:11]
.LBB607_716:
	s_or_b64 exec, exec, s[8:9]
.LBB607_717:
	s_or_b64 exec, exec, s[2:3]
	v_lshrrev_b16_e32 v2, 8, v3
	v_cmp_ne_u16_e32 vcc, 0, v2
	v_mov_b32_e32 v16, 0
	v_mov_b32_e32 v17, 0
	s_and_saveexec_b64 s[2:3], vcc
	s_cbranch_execz .LBB607_723
; %bb.718:
	s_movk_i32 s7, 0x80
	v_cmp_ne_u16_e32 vcc, s7, v2
	v_bfrev_b32_e32 v17, 1
	s_and_saveexec_b64 s[8:9], vcc
	s_cbranch_execz .LBB607_722
; %bb.719:
	s_movk_i32 s7, 0x7f
	v_and_b32_e32 v10, 0x7f, v2
	v_cmp_ne_u32_e32 vcc, s7, v10
	v_mov_b32_e32 v17, 0x7f800001
	s_and_saveexec_b64 s[10:11], vcc
	s_cbranch_execz .LBB607_721
; %bb.720:
	v_and_b32_e32 v17, 7, v2
	v_ffbh_u32_e32 v18, v17
	v_min_u32_e32 v21, 32, v18
	v_subrev_u32_e32 v18, 28, v21
	v_lshlrev_b64 v[18:19], v18, v[2:3]
	v_lshrrev_b32_e32 v20, 3, v10
	v_sub_u32_e32 v2, 29, v21
	v_and_b32_e32 v18, 7, v18
	v_cmp_gt_u32_e32 vcc, 8, v10
	v_cndmask_b32_e32 v2, v20, v2, vcc
	v_cndmask_b32_e32 v10, v17, v18, vcc
	v_lshlrev_b32_e32 v17, 16, v3
	v_bfrev_b32_e32 v18, 60
	v_lshlrev_b32_e32 v10, 20, v10
	v_and_b32_e32 v17, 0x80000000, v17
	v_lshl_add_u32 v2, v2, 23, v18
	v_or3_b32 v17, v17, v2, v10
.LBB607_721:
	s_or_b64 exec, exec, s[10:11]
.LBB607_722:
	s_or_b64 exec, exec, s[8:9]
.LBB607_723:
	s_or_b64 exec, exec, s[2:3]
	s_movk_i32 s2, 0xff
	v_and_b32_sdwa v10, v3, s2 dst_sel:DWORD dst_unused:UNUSED_PAD src0_sel:WORD_1 src1_sel:DWORD
	v_lshrrev_b32_e32 v2, 16, v3
	v_cmp_ne_u16_e32 vcc, 0, v10
	s_and_saveexec_b64 s[2:3], vcc
	s_cbranch_execz .LBB607_729
; %bb.724:
	s_movk_i32 s7, 0x80
	v_cmp_ne_u16_e32 vcc, s7, v10
	v_bfrev_b32_e32 v16, 1
	s_and_saveexec_b64 s[8:9], vcc
	s_cbranch_execz .LBB607_728
; %bb.725:
	v_bfe_u32 v10, v3, 16, 7
	s_movk_i32 s7, 0x7f
	v_cmp_ne_u32_e32 vcc, s7, v10
	v_mov_b32_e32 v16, 0x7f800001
	s_and_saveexec_b64 s[10:11], vcc
	s_cbranch_execz .LBB607_727
; %bb.726:
	v_and_b32_e32 v16, 7, v2
	v_ffbh_u32_e32 v18, v16
	v_min_u32_e32 v21, 32, v18
	v_subrev_u32_e32 v18, 28, v21
	v_lshlrev_b64 v[18:19], v18, v[2:3]
	v_and_b32_e32 v18, 7, v18
	v_cmp_gt_u32_e32 vcc, 8, v10
	v_lshrrev_b32_e32 v20, 3, v10
	v_sub_u32_e32 v2, 29, v21
	v_cndmask_b32_e32 v10, v16, v18, vcc
	v_mov_b32_e32 v16, 24
	v_cndmask_b32_e32 v2, v20, v2, vcc
	v_lshlrev_b32_sdwa v16, v16, v3 dst_sel:DWORD dst_unused:UNUSED_PAD src0_sel:DWORD src1_sel:WORD_1
	v_bfrev_b32_e32 v18, 60
	v_lshlrev_b32_e32 v10, 20, v10
	v_and_b32_e32 v16, 0x80000000, v16
	v_lshl_add_u32 v2, v2, 23, v18
	v_or3_b32 v16, v16, v2, v10
.LBB607_727:
	s_or_b64 exec, exec, s[10:11]
.LBB607_728:
	s_or_b64 exec, exec, s[8:9]
.LBB607_729:
	s_or_b64 exec, exec, s[2:3]
	s_mov_b32 s2, 0xffffff
	v_cmp_lt_u32_e32 vcc, s2, v3
	v_mov_b32_e32 v10, 0
	v_mov_b32_e32 v18, 0
	s_and_saveexec_b64 s[2:3], vcc
	s_cbranch_execz .LBB607_735
; %bb.730:
	v_lshrrev_b32_e32 v2, 24, v3
	s_movk_i32 s7, 0x80
	v_cmp_ne_u32_e32 vcc, s7, v2
	v_bfrev_b32_e32 v18, 1
	s_and_saveexec_b64 s[8:9], vcc
	s_cbranch_execz .LBB607_734
; %bb.731:
	v_bfe_u32 v3, v3, 24, 7
	s_movk_i32 s7, 0x7f
	v_cmp_ne_u32_e32 vcc, s7, v3
	v_mov_b32_e32 v18, 0x7f800001
	s_and_saveexec_b64 s[10:11], vcc
	s_cbranch_execz .LBB607_733
; %bb.732:
	v_and_b32_e32 v20, 7, v2
	v_ffbh_u32_e32 v18, v20
	v_min_u32_e32 v23, 32, v18
	v_subrev_u32_e32 v18, 28, v23
	v_lshlrev_b64 v[18:19], v18, v[2:3]
	v_lshrrev_b32_e32 v21, 3, v3
	v_sub_u32_e32 v19, 29, v23
	v_and_b32_e32 v18, 7, v18
	v_cmp_gt_u32_e32 vcc, 8, v3
	v_cndmask_b32_e32 v3, v21, v19, vcc
	v_cndmask_b32_e32 v18, v20, v18, vcc
	v_lshlrev_b32_e32 v2, 24, v2
	v_bfrev_b32_e32 v19, 60
	v_lshlrev_b32_e32 v18, 20, v18
	v_and_b32_e32 v2, 0x80000000, v2
	v_lshl_add_u32 v3, v3, 23, v19
	v_or3_b32 v18, v2, v3, v18
.LBB607_733:
	s_or_b64 exec, exec, s[10:11]
.LBB607_734:
	s_or_b64 exec, exec, s[8:9]
.LBB607_735:
	s_or_b64 exec, exec, s[2:3]
	v_cvt_pkrtz_f16_f32 v2, v15, v12
	v_cvt_pkrtz_f16_f32 v3, v11, v14
	ds_read_b128 v[24:27], v22 offset:6144
	v_cmp_ne_u16_sdwa s[8:9], v4, v10 src0_sel:BYTE_0 src1_sel:DWORD
	s_waitcnt lgkmcnt(0)
	v_mfma_f32_16x16x16f16 v[6:9], v[2:3], v[24:25], v[6:9]
	v_cvt_pkrtz_f16_f32 v2, v13, v17
	v_cvt_pkrtz_f16_f32 v3, v16, v18
	s_nop 1
	v_mfma_f32_16x16x16f16 v[6:9], v[2:3], v[26:27], v[6:9]
	s_and_saveexec_b64 s[2:3], s[8:9]
	s_cbranch_execz .LBB607_741
; %bb.736:
	s_movk_i32 s7, 0x80
	v_cmp_ne_u16_sdwa s[10:11], v4, s7 src0_sel:BYTE_0 src1_sel:DWORD
	v_bfrev_b32_e32 v10, 1
	s_and_saveexec_b64 s[8:9], s[10:11]
	s_cbranch_execz .LBB607_740
; %bb.737:
	s_movk_i32 s7, 0x7f
	v_and_b32_e32 v2, 0x7f, v4
	v_cmp_ne_u32_e32 vcc, s7, v2
	v_mov_b32_e32 v10, 0x7f800001
	s_and_saveexec_b64 s[10:11], vcc
	s_cbranch_execz .LBB607_739
; %bb.738:
	v_and_b32_e32 v3, 7, v4
	v_ffbh_u32_e32 v10, v3
	v_min_u32_e32 v13, 32, v10
	v_subrev_u32_e32 v10, 28, v13
	v_lshlrev_b64 v[10:11], v10, v[4:5]
	v_lshrrev_b32_e32 v12, 3, v2
	v_sub_u32_e32 v11, 29, v13
	v_and_b32_e32 v10, 7, v10
	v_cmp_gt_u32_e32 vcc, 8, v2
	v_cndmask_b32_e32 v2, v12, v11, vcc
	v_cndmask_b32_e32 v3, v3, v10, vcc
	v_lshlrev_b32_e32 v10, 24, v4
	v_bfrev_b32_e32 v11, 60
	v_lshlrev_b32_e32 v3, 20, v3
	v_and_b32_e32 v10, 0x80000000, v10
	v_lshl_add_u32 v2, v2, 23, v11
	v_or3_b32 v10, v10, v2, v3
.LBB607_739:
	s_or_b64 exec, exec, s[10:11]
.LBB607_740:
	s_or_b64 exec, exec, s[8:9]
.LBB607_741:
	s_or_b64 exec, exec, s[2:3]
	v_lshrrev_b16_e32 v2, 8, v4
	v_cmp_ne_u16_e32 vcc, 0, v2
	v_mov_b32_e32 v3, 0
	v_mov_b32_e32 v11, 0
	s_and_saveexec_b64 s[2:3], vcc
	s_cbranch_execz .LBB607_747
; %bb.742:
	s_movk_i32 s7, 0x80
	v_cmp_ne_u16_e32 vcc, s7, v2
	v_bfrev_b32_e32 v11, 1
	s_and_saveexec_b64 s[8:9], vcc
	s_cbranch_execz .LBB607_746
; %bb.743:
	s_movk_i32 s7, 0x7f
	v_and_b32_e32 v12, 0x7f, v2
	v_cmp_ne_u32_e32 vcc, s7, v12
	v_mov_b32_e32 v11, 0x7f800001
	s_and_saveexec_b64 s[10:11], vcc
	s_cbranch_execz .LBB607_745
; %bb.744:
	v_and_b32_e32 v11, 7, v2
	v_ffbh_u32_e32 v14, v11
	v_min_u32_e32 v16, 32, v14
	v_subrev_u32_e32 v14, 28, v16
	v_lshlrev_b64 v[14:15], v14, v[2:3]
	v_lshrrev_b32_e32 v13, 3, v12
	v_sub_u32_e32 v2, 29, v16
	v_and_b32_e32 v14, 7, v14
	v_cmp_gt_u32_e32 vcc, 8, v12
	v_cndmask_b32_e32 v2, v13, v2, vcc
	v_cndmask_b32_e32 v11, v11, v14, vcc
	v_lshlrev_b32_e32 v12, 16, v4
	v_bfrev_b32_e32 v13, 60
	v_lshlrev_b32_e32 v11, 20, v11
	v_and_b32_e32 v12, 0x80000000, v12
	v_lshl_add_u32 v2, v2, 23, v13
	v_or3_b32 v11, v12, v2, v11
.LBB607_745:
	s_or_b64 exec, exec, s[10:11]
.LBB607_746:
	s_or_b64 exec, exec, s[8:9]
.LBB607_747:
	s_or_b64 exec, exec, s[2:3]
	s_movk_i32 s2, 0xff
	v_and_b32_sdwa v12, v4, s2 dst_sel:DWORD dst_unused:UNUSED_PAD src0_sel:WORD_1 src1_sel:DWORD
	v_lshrrev_b32_e32 v2, 16, v4
	v_cmp_ne_u16_e32 vcc, 0, v12
	s_and_saveexec_b64 s[2:3], vcc
	s_cbranch_execz .LBB607_753
; %bb.748:
	s_movk_i32 s7, 0x80
	v_cmp_ne_u16_e32 vcc, s7, v12
	v_bfrev_b32_e32 v3, 1
	s_and_saveexec_b64 s[8:9], vcc
	s_cbranch_execz .LBB607_752
; %bb.749:
	v_bfe_u32 v12, v4, 16, 7
	s_movk_i32 s7, 0x7f
	v_cmp_ne_u32_e32 vcc, s7, v12
	v_mov_b32_e32 v3, 0x7f800001
	s_and_saveexec_b64 s[10:11], vcc
	s_cbranch_execz .LBB607_751
; %bb.750:
	v_and_b32_e32 v13, 7, v2
	v_ffbh_u32_e32 v3, v13
	v_min_u32_e32 v15, 32, v3
	v_subrev_u32_e32 v3, 28, v15
	v_lshlrev_b64 v[2:3], v3, v[2:3]
	v_lshrrev_b32_e32 v14, 3, v12
	v_sub_u32_e32 v3, 29, v15
	v_and_b32_e32 v2, 7, v2
	v_cmp_gt_u32_e32 vcc, 8, v12
	v_mov_b32_e32 v12, 24
	v_cndmask_b32_e32 v3, v14, v3, vcc
	v_cndmask_b32_e32 v2, v13, v2, vcc
	v_lshlrev_b32_sdwa v12, v12, v4 dst_sel:DWORD dst_unused:UNUSED_PAD src0_sel:DWORD src1_sel:WORD_1
	v_bfrev_b32_e32 v13, 60
	v_lshlrev_b32_e32 v2, 20, v2
	v_and_b32_e32 v12, 0x80000000, v12
	v_lshl_add_u32 v3, v3, 23, v13
	v_or3_b32 v3, v12, v3, v2
.LBB607_751:
	s_or_b64 exec, exec, s[10:11]
.LBB607_752:
	s_or_b64 exec, exec, s[8:9]
.LBB607_753:
	s_or_b64 exec, exec, s[2:3]
	s_mov_b32 s2, 0xffffff
	v_cmp_lt_u32_e32 vcc, s2, v4
	v_mov_b32_e32 v12, 0
	v_mov_b32_e32 v13, 0
	s_and_saveexec_b64 s[2:3], vcc
	s_cbranch_execz .LBB607_759
; %bb.754:
	v_lshrrev_b32_e32 v2, 24, v4
	s_movk_i32 s7, 0x80
	v_cmp_ne_u32_e32 vcc, s7, v2
	v_bfrev_b32_e32 v13, 1
	s_and_saveexec_b64 s[8:9], vcc
	s_cbranch_execz .LBB607_758
; %bb.755:
	v_bfe_u32 v4, v4, 24, 7
	s_movk_i32 s7, 0x7f
	v_cmp_ne_u32_e32 vcc, s7, v4
	v_mov_b32_e32 v13, 0x7f800001
	s_and_saveexec_b64 s[10:11], vcc
	s_cbranch_execz .LBB607_757
; %bb.756:
	v_and_b32_e32 v13, 7, v2
	v_ffbh_u32_e32 v14, v13
	v_min_u32_e32 v17, 32, v14
	v_subrev_u32_e32 v14, 28, v17
	v_lshlrev_b64 v[14:15], v14, v[2:3]
	v_lshrrev_b32_e32 v16, 3, v4
	v_sub_u32_e32 v15, 29, v17
	v_and_b32_e32 v14, 7, v14
	v_cmp_gt_u32_e32 vcc, 8, v4
	v_cndmask_b32_e32 v4, v16, v15, vcc
	v_cndmask_b32_e32 v13, v13, v14, vcc
	v_lshlrev_b32_e32 v2, 24, v2
	v_bfrev_b32_e32 v14, 60
	v_lshlrev_b32_e32 v13, 20, v13
	v_and_b32_e32 v2, 0x80000000, v2
	v_lshl_add_u32 v4, v4, 23, v14
	v_or3_b32 v13, v2, v4, v13
.LBB607_757:
	s_or_b64 exec, exec, s[10:11]
.LBB607_758:
	s_or_b64 exec, exec, s[8:9]
.LBB607_759:
	s_or_b64 exec, exec, s[2:3]
	v_cmp_ne_u16_sdwa s[8:9], v5, v12 src0_sel:BYTE_0 src1_sel:DWORD
	s_and_saveexec_b64 s[2:3], s[8:9]
	s_cbranch_execz .LBB607_765
; %bb.760:
	s_movk_i32 s7, 0x80
	v_cmp_ne_u16_sdwa s[10:11], v5, s7 src0_sel:BYTE_0 src1_sel:DWORD
	v_bfrev_b32_e32 v12, 1
	s_and_saveexec_b64 s[8:9], s[10:11]
	s_cbranch_execz .LBB607_764
; %bb.761:
	s_movk_i32 s7, 0x7f
	v_and_b32_e32 v2, 0x7f, v5
	v_cmp_ne_u32_e32 vcc, s7, v2
	v_mov_b32_e32 v12, 0x7f800001
	s_and_saveexec_b64 s[10:11], vcc
	s_cbranch_execz .LBB607_763
; %bb.762:
	v_and_b32_e32 v12, 7, v5
	v_ffbh_u32_e32 v14, v12
	v_min_u32_e32 v17, 32, v14
	v_mov_b32_e32 v4, v5
	v_subrev_u32_e32 v14, 28, v17
	v_lshlrev_b64 v[14:15], v14, v[4:5]
	v_lshrrev_b32_e32 v16, 3, v2
	v_sub_u32_e32 v4, 29, v17
	v_and_b32_e32 v14, 7, v14
	v_cmp_gt_u32_e32 vcc, 8, v2
	v_cndmask_b32_e32 v2, v16, v4, vcc
	v_cndmask_b32_e32 v4, v12, v14, vcc
	v_lshlrev_b32_e32 v12, 24, v5
	v_bfrev_b32_e32 v14, 60
	v_lshlrev_b32_e32 v4, 20, v4
	v_and_b32_e32 v12, 0x80000000, v12
	v_lshl_add_u32 v2, v2, 23, v14
	v_or3_b32 v12, v12, v2, v4
.LBB607_763:
	s_or_b64 exec, exec, s[10:11]
.LBB607_764:
	s_or_b64 exec, exec, s[8:9]
.LBB607_765:
	s_or_b64 exec, exec, s[2:3]
	v_lshrrev_b16_e32 v2, 8, v5
	v_cmp_ne_u16_e32 vcc, 0, v2
	v_mov_b32_e32 v4, 0
	v_mov_b32_e32 v14, 0
	s_and_saveexec_b64 s[2:3], vcc
	s_cbranch_execz .LBB607_771
; %bb.766:
	s_movk_i32 s7, 0x80
	v_cmp_ne_u16_e32 vcc, s7, v2
	v_bfrev_b32_e32 v14, 1
	s_and_saveexec_b64 s[8:9], vcc
	s_cbranch_execz .LBB607_770
; %bb.767:
	s_movk_i32 s7, 0x7f
	v_and_b32_e32 v15, 0x7f, v2
	v_cmp_ne_u32_e32 vcc, s7, v15
	v_mov_b32_e32 v14, 0x7f800001
	s_and_saveexec_b64 s[10:11], vcc
	s_cbranch_execz .LBB607_769
; %bb.768:
	v_and_b32_e32 v14, 7, v2
	v_ffbh_u32_e32 v16, v14
	v_min_u32_e32 v19, 32, v16
	v_subrev_u32_e32 v16, 28, v19
	v_lshlrev_b64 v[16:17], v16, v[2:3]
	v_lshrrev_b32_e32 v18, 3, v15
	v_sub_u32_e32 v2, 29, v19
	v_and_b32_e32 v16, 7, v16
	v_cmp_gt_u32_e32 vcc, 8, v15
	v_cndmask_b32_e32 v2, v18, v2, vcc
	v_cndmask_b32_e32 v14, v14, v16, vcc
	v_lshlrev_b32_e32 v15, 16, v5
	v_bfrev_b32_e32 v16, 60
	v_lshlrev_b32_e32 v14, 20, v14
	v_and_b32_e32 v15, 0x80000000, v15
	v_lshl_add_u32 v2, v2, 23, v16
	v_or3_b32 v14, v15, v2, v14
.LBB607_769:
	s_or_b64 exec, exec, s[10:11]
.LBB607_770:
	s_or_b64 exec, exec, s[8:9]
.LBB607_771:
	s_or_b64 exec, exec, s[2:3]
	s_movk_i32 s2, 0xff
	v_and_b32_sdwa v15, v5, s2 dst_sel:DWORD dst_unused:UNUSED_PAD src0_sel:WORD_1 src1_sel:DWORD
	v_lshrrev_b32_e32 v2, 16, v5
	v_cmp_ne_u16_e32 vcc, 0, v15
	s_and_saveexec_b64 s[2:3], vcc
	s_cbranch_execz .LBB607_777
; %bb.772:
	s_movk_i32 s7, 0x80
	v_cmp_ne_u16_e32 vcc, s7, v15
	v_bfrev_b32_e32 v4, 1
	s_and_saveexec_b64 s[8:9], vcc
	s_cbranch_execz .LBB607_776
; %bb.773:
	v_bfe_u32 v15, v5, 16, 7
	s_movk_i32 s7, 0x7f
	v_cmp_ne_u32_e32 vcc, s7, v15
	v_mov_b32_e32 v4, 0x7f800001
	s_and_saveexec_b64 s[10:11], vcc
	s_cbranch_execz .LBB607_775
; %bb.774:
	v_and_b32_e32 v4, 7, v2
	v_ffbh_u32_e32 v16, v4
	v_min_u32_e32 v19, 32, v16
	v_subrev_u32_e32 v16, 28, v19
	v_lshlrev_b64 v[16:17], v16, v[2:3]
	v_lshrrev_b32_e32 v18, 3, v15
	v_sub_u32_e32 v2, 29, v19
	v_and_b32_e32 v16, 7, v16
	v_cmp_gt_u32_e32 vcc, 8, v15
	v_mov_b32_e32 v15, 24
	v_cndmask_b32_e32 v2, v18, v2, vcc
	v_cndmask_b32_e32 v4, v4, v16, vcc
	v_lshlrev_b32_sdwa v15, v15, v5 dst_sel:DWORD dst_unused:UNUSED_PAD src0_sel:DWORD src1_sel:WORD_1
	v_bfrev_b32_e32 v16, 60
	v_lshlrev_b32_e32 v4, 20, v4
	v_and_b32_e32 v15, 0x80000000, v15
	v_lshl_add_u32 v2, v2, 23, v16
	v_or3_b32 v4, v15, v2, v4
.LBB607_775:
	s_or_b64 exec, exec, s[10:11]
.LBB607_776:
	s_or_b64 exec, exec, s[8:9]
.LBB607_777:
	s_or_b64 exec, exec, s[2:3]
	s_mov_b32 s2, 0xffffff
	v_cmp_lt_u32_e32 vcc, s2, v5
	v_mov_b32_e32 v15, 0
	s_and_saveexec_b64 s[2:3], vcc
	s_cbranch_execz .LBB607_783
; %bb.778:
	v_lshrrev_b32_e32 v2, 24, v5
	s_movk_i32 s7, 0x80
	v_cmp_ne_u32_e32 vcc, s7, v2
	v_bfrev_b32_e32 v15, 1
	s_and_saveexec_b64 s[8:9], vcc
	s_cbranch_execz .LBB607_782
; %bb.779:
	v_bfe_u32 v5, v5, 24, 7
	s_movk_i32 s7, 0x7f
	v_cmp_ne_u32_e32 vcc, s7, v5
	v_mov_b32_e32 v15, 0x7f800001
	s_and_saveexec_b64 s[10:11], vcc
	s_cbranch_execz .LBB607_781
; %bb.780:
	v_and_b32_e32 v15, 7, v2
	v_ffbh_u32_e32 v16, v15
	v_min_u32_e32 v19, 32, v16
	v_subrev_u32_e32 v16, 28, v19
	v_lshlrev_b64 v[16:17], v16, v[2:3]
	v_lshrrev_b32_e32 v18, 3, v5
	v_sub_u32_e32 v17, 29, v19
	v_and_b32_e32 v16, 7, v16
	v_cmp_gt_u32_e32 vcc, 8, v5
	v_cndmask_b32_e32 v5, v18, v17, vcc
	v_cndmask_b32_e32 v15, v15, v16, vcc
	v_lshlrev_b32_e32 v2, 24, v2
	v_bfrev_b32_e32 v16, 60
	v_lshlrev_b32_e32 v15, 20, v15
	v_and_b32_e32 v2, 0x80000000, v2
	v_lshl_add_u32 v5, v5, 23, v16
	v_or3_b32 v15, v2, v5, v15
.LBB607_781:
	s_or_b64 exec, exec, s[10:11]
.LBB607_782:
	s_or_b64 exec, exec, s[8:9]
.LBB607_783:
	s_or_b64 exec, exec, s[2:3]
	v_cvt_pkrtz_f16_f32 v2, v10, v11
	v_cvt_pkrtz_f16_f32 v3, v3, v13
	ds_read_b128 v[16:19], v22 offset:6160
	s_load_dword s2, s[42:43], 0x0
	v_cmp_gt_u32_e32 vcc, 64, v0
	s_waitcnt lgkmcnt(0)
	v_mfma_f32_16x16x16f16 v[6:9], v[2:3], v[16:17], v[6:9]
	v_cvt_pkrtz_f16_f32 v2, v12, v14
	v_cvt_pkrtz_f16_f32 v3, v4, v15
	s_barrier
	s_nop 0
	v_mfma_f32_16x16x16f16 v[2:5], v[2:3], v[18:19], v[6:9]
	s_nop 7
	s_nop 2
	v_pk_mul_f32 v[4:5], v[4:5], s[2:3] op_sel_hi:[1,0]
	v_pk_mul_f32 v[2:3], v[2:3], s[2:3] op_sel_hi:[1,0]
	v_cvt_f16_f32_e32 v2, v2
	v_cvt_f16_f32_e32 v3, v3
	;; [unrolled: 1-line block ×4, first 2 shown]
	v_cmp_gt_u32_e64 s[2:3], 32, v42
	s_and_b64 s[2:3], s[2:3], vcc
	v_pack_b32_f16 v2, v2, v3
	v_pack_b32_f16 v3, v4, v5
	s_and_b64 s[0:1], s[2:3], s[0:1]
	ds_write_b64 v28, v[2:3]
	s_waitcnt lgkmcnt(0)
	s_barrier
	s_and_saveexec_b64 s[2:3], s[0:1]
	s_cbranch_execz .LBB607_785
; %bb.784:
	s_load_dwordx2 s[0:1], s[4:5], 0x68
	s_mul_i32 s2, s12, s6
	s_lshl_b32 s4, s44, 6
	s_mul_hi_u32 s3, s2, s4
	s_mul_i32 s2, s2, s4
	s_lshl_b64 s[2:3], s[2:3], 1
	v_lshlrev_b32_e32 v0, 10, v0
	s_waitcnt lgkmcnt(0)
	s_add_u32 s2, s0, s2
	v_and_b32_e32 v0, 0x1800, v0
	v_lshlrev_b32_e32 v2, 5, v1
	v_and_b32_e32 v3, 16, v47
	s_addc_u32 s3, s1, s3
	s_lshl_b32 s0, s24, 6
	s_mov_b32 s1, 0
	v_or3_b32 v0, v0, v2, v3
	s_lshl_b64 s[0:1], s[0:1], 1
	ds_read_b128 v[2:5], v0
	s_add_u32 s2, s2, s0
	v_or_b32_e32 v0, s25, v1
	s_addc_u32 s3, s3, s1
	v_mad_u64_u32 v[0:1], s[0:1], s4, v0, 0
	v_lshlrev_b64 v[0:1], 1, v[0:1]
	v_mov_b32_e32 v6, s3
	v_add_co_u32_e32 v0, vcc, s2, v0
	v_addc_co_u32_e32 v1, vcc, v6, v1, vcc
	v_add_co_u32_e32 v0, vcc, v0, v46
	v_addc_co_u32_e32 v1, vcc, 0, v1, vcc
	s_waitcnt lgkmcnt(0)
	global_store_dwordx4 v[0:1], v[2:5], off
.LBB607_785:
	s_endpgm
	.section	.rodata,"a",@progbits
	.p2align	6, 0x0
	.amdhsa_kernel _Z39paged_attention_ll4mi_QKV_mfma16_kernelIDF16_hLN4vllm18Fp8KVCacheDataTypeE1EDF16_Li32ELi64ELi256ELb0ELi2EL8MFMAType0EEvPKT_PKT0_S8_ifPKiSA_SA_iPKfiiiPfSD_PS3_PT2_iSC_SC_
		.amdhsa_group_segment_fixed_size 8192
		.amdhsa_private_segment_fixed_size 0
		.amdhsa_kernarg_size 400
		.amdhsa_user_sgpr_count 6
		.amdhsa_user_sgpr_private_segment_buffer 1
		.amdhsa_user_sgpr_dispatch_ptr 0
		.amdhsa_user_sgpr_queue_ptr 0
		.amdhsa_user_sgpr_kernarg_segment_ptr 1
		.amdhsa_user_sgpr_dispatch_id 0
		.amdhsa_user_sgpr_flat_scratch_init 0
		.amdhsa_user_sgpr_kernarg_preload_length 0
		.amdhsa_user_sgpr_kernarg_preload_offset 0
		.amdhsa_user_sgpr_private_segment_size 0
		.amdhsa_uses_dynamic_stack 0
		.amdhsa_system_sgpr_private_segment_wavefront_offset 0
		.amdhsa_system_sgpr_workgroup_id_x 1
		.amdhsa_system_sgpr_workgroup_id_y 1
		.amdhsa_system_sgpr_workgroup_id_z 1
		.amdhsa_system_sgpr_workgroup_info 0
		.amdhsa_system_vgpr_workitem_id 0
		.amdhsa_next_free_vgpr 62
		.amdhsa_next_free_sgpr 47
		.amdhsa_accum_offset 64
		.amdhsa_reserve_vcc 1
		.amdhsa_reserve_flat_scratch 0
		.amdhsa_float_round_mode_32 0
		.amdhsa_float_round_mode_16_64 0
		.amdhsa_float_denorm_mode_32 3
		.amdhsa_float_denorm_mode_16_64 3
		.amdhsa_dx10_clamp 1
		.amdhsa_ieee_mode 1
		.amdhsa_fp16_overflow 0
		.amdhsa_tg_split 0
		.amdhsa_exception_fp_ieee_invalid_op 0
		.amdhsa_exception_fp_denorm_src 0
		.amdhsa_exception_fp_ieee_div_zero 0
		.amdhsa_exception_fp_ieee_overflow 0
		.amdhsa_exception_fp_ieee_underflow 0
		.amdhsa_exception_fp_ieee_inexact 0
		.amdhsa_exception_int_div_zero 0
	.end_amdhsa_kernel
	.section	.text._Z39paged_attention_ll4mi_QKV_mfma16_kernelIDF16_hLN4vllm18Fp8KVCacheDataTypeE1EDF16_Li32ELi64ELi256ELb0ELi2EL8MFMAType0EEvPKT_PKT0_S8_ifPKiSA_SA_iPKfiiiPfSD_PS3_PT2_iSC_SC_,"axG",@progbits,_Z39paged_attention_ll4mi_QKV_mfma16_kernelIDF16_hLN4vllm18Fp8KVCacheDataTypeE1EDF16_Li32ELi64ELi256ELb0ELi2EL8MFMAType0EEvPKT_PKT0_S8_ifPKiSA_SA_iPKfiiiPfSD_PS3_PT2_iSC_SC_,comdat
.Lfunc_end607:
	.size	_Z39paged_attention_ll4mi_QKV_mfma16_kernelIDF16_hLN4vllm18Fp8KVCacheDataTypeE1EDF16_Li32ELi64ELi256ELb0ELi2EL8MFMAType0EEvPKT_PKT0_S8_ifPKiSA_SA_iPKfiiiPfSD_PS3_PT2_iSC_SC_, .Lfunc_end607-_Z39paged_attention_ll4mi_QKV_mfma16_kernelIDF16_hLN4vllm18Fp8KVCacheDataTypeE1EDF16_Li32ELi64ELi256ELb0ELi2EL8MFMAType0EEvPKT_PKT0_S8_ifPKiSA_SA_iPKfiiiPfSD_PS3_PT2_iSC_SC_
                                        ; -- End function
	.section	.AMDGPU.csdata,"",@progbits
; Kernel info:
; codeLenInByte = 26936
; NumSgprs: 51
; NumVgprs: 62
; NumAgprs: 0
; TotalNumVgprs: 62
; ScratchSize: 0
; MemoryBound: 0
; FloatMode: 240
; IeeeMode: 1
; LDSByteSize: 8192 bytes/workgroup (compile time only)
; SGPRBlocks: 6
; VGPRBlocks: 7
; NumSGPRsForWavesPerEU: 51
; NumVGPRsForWavesPerEU: 62
; AccumOffset: 64
; Occupancy: 8
; WaveLimiterHint : 1
; COMPUTE_PGM_RSRC2:SCRATCH_EN: 0
; COMPUTE_PGM_RSRC2:USER_SGPR: 6
; COMPUTE_PGM_RSRC2:TRAP_HANDLER: 0
; COMPUTE_PGM_RSRC2:TGID_X_EN: 1
; COMPUTE_PGM_RSRC2:TGID_Y_EN: 1
; COMPUTE_PGM_RSRC2:TGID_Z_EN: 1
; COMPUTE_PGM_RSRC2:TIDIG_COMP_CNT: 0
; COMPUTE_PGM_RSRC3_GFX90A:ACCUM_OFFSET: 15
; COMPUTE_PGM_RSRC3_GFX90A:TG_SPLIT: 0
	.section	.text._Z39paged_attention_ll4mi_QKV_mfma16_kernelIDF16_hLN4vllm18Fp8KVCacheDataTypeE1EDF16_Li32ELi64ELi256ELb0ELi3EL8MFMAType0EEvPKT_PKT0_S8_ifPKiSA_SA_iPKfiiiPfSD_PS3_PT2_iSC_SC_,"axG",@progbits,_Z39paged_attention_ll4mi_QKV_mfma16_kernelIDF16_hLN4vllm18Fp8KVCacheDataTypeE1EDF16_Li32ELi64ELi256ELb0ELi3EL8MFMAType0EEvPKT_PKT0_S8_ifPKiSA_SA_iPKfiiiPfSD_PS3_PT2_iSC_SC_,comdat
	.protected	_Z39paged_attention_ll4mi_QKV_mfma16_kernelIDF16_hLN4vllm18Fp8KVCacheDataTypeE1EDF16_Li32ELi64ELi256ELb0ELi3EL8MFMAType0EEvPKT_PKT0_S8_ifPKiSA_SA_iPKfiiiPfSD_PS3_PT2_iSC_SC_ ; -- Begin function _Z39paged_attention_ll4mi_QKV_mfma16_kernelIDF16_hLN4vllm18Fp8KVCacheDataTypeE1EDF16_Li32ELi64ELi256ELb0ELi3EL8MFMAType0EEvPKT_PKT0_S8_ifPKiSA_SA_iPKfiiiPfSD_PS3_PT2_iSC_SC_
	.globl	_Z39paged_attention_ll4mi_QKV_mfma16_kernelIDF16_hLN4vllm18Fp8KVCacheDataTypeE1EDF16_Li32ELi64ELi256ELb0ELi3EL8MFMAType0EEvPKT_PKT0_S8_ifPKiSA_SA_iPKfiiiPfSD_PS3_PT2_iSC_SC_
	.p2align	8
	.type	_Z39paged_attention_ll4mi_QKV_mfma16_kernelIDF16_hLN4vllm18Fp8KVCacheDataTypeE1EDF16_Li32ELi64ELi256ELb0ELi3EL8MFMAType0EEvPKT_PKT0_S8_ifPKiSA_SA_iPKfiiiPfSD_PS3_PT2_iSC_SC_,@function
_Z39paged_attention_ll4mi_QKV_mfma16_kernelIDF16_hLN4vllm18Fp8KVCacheDataTypeE1EDF16_Li32ELi64ELi256ELb0ELi3EL8MFMAType0EEvPKT_PKT0_S8_ifPKiSA_SA_iPKfiiiPfSD_PS3_PT2_iSC_SC_: ; @_Z39paged_attention_ll4mi_QKV_mfma16_kernelIDF16_hLN4vllm18Fp8KVCacheDataTypeE1EDF16_Li32ELi64ELi256ELb0ELi3EL8MFMAType0EEvPKT_PKT0_S8_ifPKiSA_SA_iPKfiiiPfSD_PS3_PT2_iSC_SC_
; %bb.0:
	s_load_dwordx2 s[0:1], s[4:5], 0x30
	s_mov_b32 s24, s7
	s_mov_b64 s[10:11], 0
	s_waitcnt lgkmcnt(0)
	s_cmp_lg_u64 s[0:1], 0
	s_cselect_b64 s[2:3], -1, 0
	s_and_b64 vcc, exec, s[2:3]
	s_cbranch_vccz .LBB608_7
; %bb.1:
	s_add_i32 s12, s6, 1
	s_mov_b32 s13, 0
	s_lshl_b64 s[14:15], s[12:13], 2
	s_add_u32 s14, s0, s14
	s_mov_b32 s7, s13
	s_addc_u32 s15, s1, s15
	s_lshl_b64 s[12:13], s[6:7], 2
	s_add_u32 s12, s0, s12
	s_addc_u32 s13, s1, s13
	s_load_dword s9, s[14:15], 0x0
	s_load_dword s16, s[12:13], 0x0
	s_waitcnt lgkmcnt(0)
	s_sub_i32 s9, s9, s16
	s_cmp_eq_u32 s9, 1
	s_cselect_b64 s[12:13], -1, 0
	s_andn2_b64 vcc, exec, s[10:11]
	s_cbranch_vccnz .LBB608_3
.LBB608_2:
	s_mov_b32 s7, 0
	s_mov_b64 s[12:13], -1
.LBB608_3:
	s_andn2_b64 vcc, exec, s[12:13]
	s_cbranch_vccnz .LBB608_785
; %bb.4:
	s_load_dwordx2 s[12:13], s[4:5], 0x28
	s_lshl_b64 s[10:11], s[6:7], 2
	s_waitcnt lgkmcnt(0)
	s_add_u32 s12, s12, s10
	s_addc_u32 s13, s13, s11
	s_load_dword s33, s[12:13], 0x0
	s_lshl_b32 s20, s24, 8
	s_waitcnt lgkmcnt(0)
	s_cmp_ge_i32 s20, s33
	s_cbranch_scc1 .LBB608_785
; %bb.5:
	s_add_i32 s14, s33, 31
	s_load_dwordx2 s[12:13], s[4:5], 0x20
	s_load_dword s9, s[4:5], 0x38
	s_ashr_i32 s15, s14, 31
	v_and_b32_e32 v1, 0xcf, v0
	s_lshr_b32 s15, s15, 27
	v_add_u32_e32 v1, s20, v1
	s_add_i32 s14, s14, s15
	v_ashrrev_i32_e32 v2, 31, v1
	s_ashr_i32 s22, s14, 5
	v_lshrrev_b32_e32 v4, 27, v2
	s_add_i32 s22, s22, -1
	v_add_u32_e32 v2, v1, v4
	s_waitcnt lgkmcnt(0)
	s_mul_i32 s14, s6, s9
	s_mov_b32 s15, 0
	v_ashrrev_i32_e32 v2, 5, v2
	v_mov_b32_e32 v5, s22
	v_cmp_gt_i32_e32 vcc, s33, v1
	s_lshl_b64 s[14:15], s[14:15], 2
	v_cndmask_b32_e32 v2, v5, v2, vcc
	s_add_u32 s9, s12, s14
	v_ashrrev_i32_e32 v3, 31, v2
	s_addc_u32 s21, s13, s15
	v_lshlrev_b64 v[2:3], 2, v[2:3]
	v_mov_b32_e32 v7, s21
	v_add_co_u32_e32 v6, vcc, s9, v2
	v_or_b32_e32 v2, 16, v1
	v_addc_co_u32_e32 v7, vcc, v7, v3, vcc
	v_add_u32_e32 v3, v2, v4
	v_ashrrev_i32_e32 v3, 5, v3
	v_cmp_gt_i32_e32 vcc, s33, v2
	v_cndmask_b32_e32 v2, v5, v3, vcc
	v_ashrrev_i32_e32 v3, 31, v2
	v_lshlrev_b64 v[2:3], 2, v[2:3]
	v_mov_b32_e32 v9, s21
	v_add_co_u32_e32 v8, vcc, s9, v2
	v_or_b32_e32 v2, 32, v1
	v_addc_co_u32_e32 v9, vcc, v9, v3, vcc
	v_add_u32_e32 v3, v2, v4
	v_ashrrev_i32_e32 v3, 5, v3
	v_cmp_gt_i32_e32 vcc, s33, v2
	v_cndmask_b32_e32 v2, v5, v3, vcc
	v_ashrrev_i32_e32 v3, 31, v2
	;; [unrolled: 10-line block ×3, first 2 shown]
	v_lshlrev_b64 v[2:3], 2, v[2:3]
	v_mov_b32_e32 v1, s21
	v_add_co_u32_e32 v12, vcc, s9, v2
	v_addc_co_u32_e32 v13, vcc, v1, v3, vcc
	global_load_dword v5, v[6:7], off
	global_load_dword v4, v[8:9], off
	;; [unrolled: 1-line block ×4, first 2 shown]
	s_load_dwordx4 s[12:15], s[4:5], 0x8
	s_andn2_b64 vcc, exec, s[2:3]
	s_cbranch_vccnz .LBB608_8
; %bb.6:
	s_add_u32 s0, s0, s10
	s_addc_u32 s1, s1, s11
	s_load_dword s10, s[0:1], 0x0
	s_branch .LBB608_9
.LBB608_7:
	s_mov_b64 s[12:13], 0
	s_branch .LBB608_2
.LBB608_8:
	s_mov_b32 s10, s6
.LBB608_9:
	s_load_dwordx4 s[16:19], s[4:5], 0x48
	v_lshrrev_b32_e32 v51, 6, v0
	v_bfe_u32 v47, v0, 4, 2
	v_lshl_or_b32 v6, v51, 2, v47
	v_and_b32_e32 v50, 15, v0
	s_mul_i32 s25, s8, 3
	v_lshlrev_b32_e32 v1, 3, v50
	v_cmp_gt_u32_e32 vcc, 3, v6
	v_cmp_gt_u32_e64 s[0:1], 8, v50
	v_add_u32_e32 v46, s25, v47
	s_and_b64 s[26:27], s[0:1], vcc
	v_lshlrev_b32_e32 v1, 1, v1
	v_lshlrev_b32_e32 v48, 4, v0
	s_and_saveexec_b64 s[2:3], s[26:27]
	s_cbranch_execz .LBB608_11
; %bb.10:
	s_load_dwordx2 s[26:27], s[4:5], 0x0
	s_waitcnt lgkmcnt(0)
	s_ashr_i32 s11, s16, 31
	s_mul_hi_u32 s19, s10, s16
	s_mul_i32 s11, s10, s11
	s_add_i32 s11, s19, s11
	s_mul_i32 s10, s10, s16
	s_lshl_b64 s[10:11], s[10:11], 1
	v_lshlrev_b32_e32 v8, 6, v46
	s_add_u32 s10, s26, s10
	v_ashrrev_i32_e32 v9, 31, v8
	s_addc_u32 s11, s27, s11
	v_lshlrev_b64 v[8:9], 1, v[8:9]
	v_mov_b32_e32 v7, s11
	v_add_co_u32_e32 v8, vcc, s10, v8
	v_addc_co_u32_e32 v7, vcc, v7, v9, vcc
	v_add_co_u32_e32 v8, vcc, v8, v1
	v_addc_co_u32_e32 v9, vcc, 0, v7, vcc
	global_load_dwordx4 v[8:11], v[8:9], off
	v_lshlrev_b32_e32 v12, 8, v50
	v_lshlrev_b32_e32 v6, 5, v6
	v_and_b32_e32 v7, 16, v48
	v_and_b32_e32 v12, 0xe00, v12
	v_or3_b32 v6, v12, v6, v7
	s_waitcnt vmcnt(0)
	ds_write_b128 v6, v[8:11]
.LBB608_11:
	s_or_b64 exec, exec, s[2:3]
	s_waitcnt lgkmcnt(0)
	s_mul_i32 s8, s8, s18
	s_add_u32 s2, s12, s8
	s_addc_u32 s3, s13, 0
	v_and_b32_e32 v12, 48, v0
	s_ashr_i32 s10, s20, 31
	v_or_b32_e32 v13, s20, v12
	s_lshr_b32 s10, s10, 27
	v_add_u32_e32 v6, s10, v13
	v_ashrrev_i32_e32 v6, 5, v6
	v_mov_b32_e32 v14, s22
	v_cmp_gt_i32_e32 vcc, s33, v13
	v_cndmask_b32_e32 v6, v14, v6, vcc
	v_ashrrev_i32_e32 v7, 31, v6
	v_lshlrev_b64 v[6:7], 2, v[6:7]
	v_mov_b32_e32 v8, s21
	v_add_co_u32_e32 v6, vcc, s9, v6
	v_addc_co_u32_e32 v7, vcc, v8, v7, vcc
	v_or_b32_e32 v8, 64, v13
	v_add_u32_e32 v9, s10, v8
	v_ashrrev_i32_e32 v9, 5, v9
	v_cmp_gt_i32_e32 vcc, s33, v8
	v_cndmask_b32_e32 v8, v14, v9, vcc
	v_ashrrev_i32_e32 v9, 31, v8
	v_lshlrev_b64 v[8:9], 2, v[8:9]
	v_mov_b32_e32 v10, s21
	v_add_co_u32_e32 v8, vcc, s9, v8
	v_addc_co_u32_e32 v9, vcc, v10, v9, vcc
	v_or_b32_e32 v10, 0x80, v13
	v_add_u32_e32 v11, s10, v10
	v_ashrrev_i32_e32 v11, 5, v11
	v_cmp_gt_i32_e32 vcc, s33, v10
	v_cndmask_b32_e32 v10, v14, v11, vcc
	v_ashrrev_i32_e32 v11, 31, v10
	v_lshlrev_b64 v[10:11], 2, v[10:11]
	v_mov_b32_e32 v15, s21
	v_add_co_u32_e32 v10, vcc, s9, v10
	s_load_dwordx2 s[44:45], s[4:5], 0x94
	s_load_dwordx4 s[40:43], s[4:5], 0x80
	s_waitcnt lgkmcnt(0)
	s_barrier
	v_addc_co_u32_e32 v11, vcc, v15, v11, vcc
	global_load_dword v15, v[6:7], off
	global_load_dword v16, v[8:9], off
	;; [unrolled: 1-line block ×3, first 2 shown]
	v_or_b32_e32 v6, 0xc0, v13
	v_add_u32_e32 v7, s10, v6
	v_ashrrev_i32_e32 v7, 5, v7
	v_cmp_gt_i32_e32 vcc, s33, v6
	v_cndmask_b32_e32 v6, v14, v7, vcc
	v_ashrrev_i32_e32 v7, 31, v6
	v_lshlrev_b64 v[6:7], 2, v[6:7]
	v_mov_b32_e32 v8, s21
	v_add_co_u32_e32 v6, vcc, s9, v6
	v_addc_co_u32_e32 v7, vcc, v8, v7, vcc
	global_load_dword v20, v[6:7], off
	v_pk_mov_b32 v[6:7], s[2:3], s[2:3] op_sel:[0,1]
	s_waitcnt vmcnt(7)
	v_mad_i64_i32 v[8:9], s[2:3], v5, s17, v[6:7]
	v_lshlrev_b32_e32 v11, 4, v50
	v_add_co_u32_e32 v5, vcc, v8, v11
	v_lshlrev_b32_e32 v10, 5, v12
	v_addc_co_u32_e32 v9, vcc, 0, v9, vcc
	v_add_co_u32_e32 v8, vcc, v5, v10
	v_addc_co_u32_e32 v9, vcc, 0, v9, vcc
	s_waitcnt vmcnt(6)
	v_mad_i64_i32 v[4:5], s[2:3], v4, s17, v[6:7]
	v_or_b32_e32 v12, 0x100, v11
	v_add_co_u32_e32 v4, vcc, v4, v12
	v_addc_co_u32_e32 v5, vcc, 0, v5, vcc
	v_add_co_u32_e32 v4, vcc, v4, v10
	v_addc_co_u32_e32 v5, vcc, 0, v5, vcc
	global_load_dwordx4 v[30:33], v[8:9], off
	global_load_dwordx4 v[38:41], v[4:5], off
	s_waitcnt vmcnt(7)
	v_mad_i64_i32 v[4:5], s[2:3], v3, s17, v[6:7]
	v_add_co_u32_e32 v3, vcc, v4, v11
	v_addc_co_u32_e32 v5, vcc, 0, v5, vcc
	v_add_co_u32_e32 v4, vcc, v3, v10
	v_addc_co_u32_e32 v5, vcc, 0, v5, vcc
	s_waitcnt vmcnt(6)
	v_mad_i64_i32 v[2:3], s[2:3], v2, s17, v[6:7]
	v_add_co_u32_e32 v2, vcc, v2, v12
	v_addc_co_u32_e32 v3, vcc, 0, v3, vcc
	v_add_co_u32_e32 v2, vcc, v2, v10
	s_add_u32 s2, s14, s8
	v_addc_co_u32_e32 v3, vcc, 0, v3, vcc
	global_load_dwordx4 v[34:37], v[4:5], off
	global_load_dwordx4 v[22:25], v[2:3], off
	s_addc_u32 s3, s15, 0
	v_and_b32_e32 v2, 16, v0
	v_mov_b32_e32 v3, s3
	v_add_co_u32_e32 v2, vcc, s2, v2
	v_lshlrev_b32_e32 v49, 5, v50
	v_addc_co_u32_e32 v3, vcc, 0, v3, vcc
	v_lshl_or_b32 v4, v51, 9, v49
	v_add_co_u32_e32 v2, vcc, v2, v4
	v_addc_co_u32_e32 v3, vcc, 0, v3, vcc
	v_mov_b32_e32 v43, 0
	s_movk_i32 s8, 0x80
	v_mov_b32_e32 v44, 0
	s_waitcnt vmcnt(7)
	v_mad_i64_i32 v[4:5], s[2:3], v15, s17, v[2:3]
	s_waitcnt vmcnt(6)
	v_mad_i64_i32 v[6:7], s[2:3], v16, s17, v[2:3]
	;; [unrolled: 2-line block ×3, first 2 shown]
	global_load_dwordx4 v[14:17], v[4:5], off
	global_load_dwordx4 v[10:13], v[6:7], off
	s_waitcnt vmcnt(6)
	v_mad_i64_i32 v[20:21], s[2:3], v20, s17, v[2:3]
	global_load_dwordx4 v[6:9], v[18:19], off
	global_load_dwordx4 v[2:5], v[20:21], off
	v_mul_lo_u16_e32 v18, 0x56, v50
	v_mov_b32_e32 v19, 3
	v_mul_lo_u16_sdwa v18, v18, v19 dst_sel:DWORD dst_unused:UNUSED_PAD src0_sel:BYTE_1 src1_sel:DWORD
	v_sub_u16_e32 v18, v50, v18
	v_mov_b32_e32 v19, 5
	v_lshlrev_b32_sdwa v18, v19, v18 dst_sel:DWORD dst_unused:UNUSED_PAD src0_sel:DWORD src1_sel:BYTE_0
	v_lshl_add_u32 v18, v47, 9, v18
	ds_read_b128 v[26:29], v18
	ds_read_b128 v[18:21], v18 offset:16
	s_load_dword s12, s[40:41], 0x0
	s_waitcnt vmcnt(7)
	v_cmp_ne_u16_sdwa s[10:11], v30, v43 src0_sel:BYTE_0 src1_sel:DWORD
	s_and_saveexec_b64 s[2:3], s[10:11]
	s_cbranch_execz .LBB608_17
; %bb.12:
	v_cmp_ne_u16_sdwa s[10:11], v30, s8 src0_sel:BYTE_0 src1_sel:DWORD
	v_bfrev_b32_e32 v44, 1
	s_and_saveexec_b64 s[8:9], s[10:11]
	s_cbranch_execz .LBB608_16
; %bb.13:
	s_movk_i32 s10, 0x7f
	v_and_b32_e32 v42, 0x7f, v30
	v_cmp_ne_u32_e32 vcc, s10, v42
	v_mov_b32_e32 v44, 0x7f800001
	s_and_saveexec_b64 s[10:11], vcc
	s_cbranch_execz .LBB608_15
; %bb.14:
	v_and_b32_e32 v52, 7, v30
	v_ffbh_u32_e32 v44, v52
	v_min_u32_e32 v54, 32, v44
	v_subrev_u32_e32 v44, 28, v54
	v_lshlrev_b64 v[44:45], v44, v[30:31]
	v_lshrrev_b32_e32 v53, 3, v42
	v_sub_u32_e32 v45, 29, v54
	v_and_b32_e32 v44, 7, v44
	v_cmp_gt_u32_e32 vcc, 8, v42
	v_cndmask_b32_e32 v42, v53, v45, vcc
	v_cndmask_b32_e32 v44, v52, v44, vcc
	v_lshlrev_b32_e32 v45, 24, v30
	v_bfrev_b32_e32 v52, 60
	v_lshlrev_b32_e32 v44, 20, v44
	v_and_b32_e32 v45, 0x80000000, v45
	v_lshl_add_u32 v42, v42, 23, v52
	v_or3_b32 v44, v45, v42, v44
.LBB608_15:
	s_or_b64 exec, exec, s[10:11]
.LBB608_16:
	s_or_b64 exec, exec, s[8:9]
.LBB608_17:
	s_or_b64 exec, exec, s[2:3]
	v_lshrrev_b16_e32 v42, 8, v30
	v_cmp_ne_u16_e32 vcc, 0, v42
	s_and_saveexec_b64 s[2:3], vcc
	s_cbranch_execz .LBB608_23
; %bb.18:
	s_movk_i32 s8, 0x80
	v_cmp_ne_u16_e32 vcc, s8, v42
	v_bfrev_b32_e32 v43, 1
	s_and_saveexec_b64 s[8:9], vcc
	s_cbranch_execz .LBB608_22
; %bb.19:
	s_movk_i32 s10, 0x7f
	v_and_b32_e32 v45, 0x7f, v42
	v_cmp_ne_u32_e32 vcc, s10, v45
	v_mov_b32_e32 v43, 0x7f800001
	s_and_saveexec_b64 s[10:11], vcc
	s_cbranch_execz .LBB608_21
; %bb.20:
	v_and_b32_e32 v52, 7, v42
	v_ffbh_u32_e32 v43, v52
	v_min_u32_e32 v54, 32, v43
	v_subrev_u32_e32 v43, 28, v54
	v_lshlrev_b64 v[42:43], v43, v[42:43]
	v_lshrrev_b32_e32 v53, 3, v45
	v_sub_u32_e32 v43, 29, v54
	v_and_b32_e32 v42, 7, v42
	v_cmp_gt_u32_e32 vcc, 8, v45
	v_cndmask_b32_e32 v43, v53, v43, vcc
	v_cndmask_b32_e32 v42, v52, v42, vcc
	v_lshlrev_b32_e32 v45, 16, v30
	v_bfrev_b32_e32 v52, 60
	v_lshlrev_b32_e32 v42, 20, v42
	v_and_b32_e32 v45, 0x80000000, v45
	v_lshl_add_u32 v43, v43, 23, v52
	v_or3_b32 v43, v45, v43, v42
.LBB608_21:
	s_or_b64 exec, exec, s[10:11]
.LBB608_22:
	s_or_b64 exec, exec, s[8:9]
.LBB608_23:
	s_or_b64 exec, exec, s[2:3]
	s_movk_i32 s2, 0xff
	v_and_b32_sdwa v53, v30, s2 dst_sel:DWORD dst_unused:UNUSED_PAD src0_sel:WORD_1 src1_sel:DWORD
	v_lshrrev_b32_e32 v42, 16, v30
	v_cmp_ne_u16_e32 vcc, 0, v53
	v_mov_b32_e32 v45, 0
	v_mov_b32_e32 v52, 0
	s_and_saveexec_b64 s[2:3], vcc
	s_cbranch_execz .LBB608_29
; %bb.24:
	s_movk_i32 s8, 0x80
	v_cmp_ne_u16_e32 vcc, s8, v53
	v_bfrev_b32_e32 v52, 1
	s_and_saveexec_b64 s[8:9], vcc
	s_cbranch_execz .LBB608_28
; %bb.25:
	v_bfe_u32 v53, v30, 16, 7
	s_movk_i32 s10, 0x7f
	v_cmp_ne_u32_e32 vcc, s10, v53
	v_mov_b32_e32 v52, 0x7f800001
	s_and_saveexec_b64 s[10:11], vcc
	s_cbranch_execz .LBB608_27
; %bb.26:
	v_and_b32_e32 v52, 7, v42
	v_ffbh_u32_e32 v54, v52
	v_min_u32_e32 v57, 32, v54
	v_subrev_u32_e32 v54, 28, v57
	v_lshlrev_b64 v[54:55], v54, v[42:43]
	v_lshrrev_b32_e32 v56, 3, v53
	v_sub_u32_e32 v42, 29, v57
	v_and_b32_e32 v54, 7, v54
	v_cmp_gt_u32_e32 vcc, 8, v53
	v_mov_b32_e32 v53, 24
	v_cndmask_b32_e32 v42, v56, v42, vcc
	v_cndmask_b32_e32 v52, v52, v54, vcc
	v_lshlrev_b32_sdwa v53, v53, v30 dst_sel:DWORD dst_unused:UNUSED_PAD src0_sel:DWORD src1_sel:WORD_1
	v_bfrev_b32_e32 v54, 60
	v_lshlrev_b32_e32 v52, 20, v52
	v_and_b32_e32 v53, 0x80000000, v53
	v_lshl_add_u32 v42, v42, 23, v54
	v_or3_b32 v52, v53, v42, v52
.LBB608_27:
	s_or_b64 exec, exec, s[10:11]
.LBB608_28:
	s_or_b64 exec, exec, s[8:9]
.LBB608_29:
	s_or_b64 exec, exec, s[2:3]
	s_mov_b32 s2, 0xffffff
	v_cmp_lt_u32_e32 vcc, s2, v30
	s_and_saveexec_b64 s[2:3], vcc
	s_cbranch_execz .LBB608_35
; %bb.30:
	v_lshrrev_b32_e32 v42, 24, v30
	s_movk_i32 s8, 0x80
	v_cmp_ne_u32_e32 vcc, s8, v42
	v_bfrev_b32_e32 v45, 1
	s_and_saveexec_b64 s[8:9], vcc
	s_cbranch_execz .LBB608_34
; %bb.31:
	v_bfe_u32 v30, v30, 24, 7
	s_movk_i32 s10, 0x7f
	v_cmp_ne_u32_e32 vcc, s10, v30
	v_mov_b32_e32 v45, 0x7f800001
	s_and_saveexec_b64 s[10:11], vcc
	s_cbranch_execz .LBB608_33
; %bb.32:
	v_and_b32_e32 v45, 7, v42
	v_ffbh_u32_e32 v54, v45
	v_min_u32_e32 v56, 32, v54
	v_subrev_u32_e32 v54, 28, v56
	v_lshlrev_b64 v[54:55], v54, v[42:43]
	v_lshrrev_b32_e32 v53, 3, v30
	v_sub_u32_e32 v55, 29, v56
	v_and_b32_e32 v54, 7, v54
	v_cmp_gt_u32_e32 vcc, 8, v30
	v_cndmask_b32_e32 v30, v53, v55, vcc
	v_cndmask_b32_e32 v45, v45, v54, vcc
	v_lshlrev_b32_e32 v42, 24, v42
	v_bfrev_b32_e32 v53, 60
	v_lshlrev_b32_e32 v45, 20, v45
	v_and_b32_e32 v42, 0x80000000, v42
	v_lshl_add_u32 v30, v30, 23, v53
	v_or3_b32 v45, v42, v30, v45
.LBB608_33:
	s_or_b64 exec, exec, s[10:11]
.LBB608_34:
	s_or_b64 exec, exec, s[8:9]
.LBB608_35:
	s_or_b64 exec, exec, s[2:3]
	v_mov_b32_e32 v42, 0
	v_cmp_ne_u16_sdwa s[8:9], v31, v42 src0_sel:BYTE_0 src1_sel:DWORD
	v_mov_b32_e32 v53, 0
	s_and_saveexec_b64 s[2:3], s[8:9]
	s_cbranch_execz .LBB608_41
; %bb.36:
	s_movk_i32 s8, 0x80
	v_cmp_ne_u16_sdwa s[10:11], v31, s8 src0_sel:BYTE_0 src1_sel:DWORD
	v_bfrev_b32_e32 v53, 1
	s_and_saveexec_b64 s[8:9], s[10:11]
	s_cbranch_execz .LBB608_40
; %bb.37:
	s_movk_i32 s10, 0x7f
	v_and_b32_e32 v30, 0x7f, v31
	v_cmp_ne_u32_e32 vcc, s10, v30
	v_mov_b32_e32 v53, 0x7f800001
	s_and_saveexec_b64 s[10:11], vcc
	s_cbranch_execz .LBB608_39
; %bb.38:
	v_and_b32_e32 v53, 7, v31
	v_ffbh_u32_e32 v55, v53
	v_min_u32_e32 v57, 32, v55
	v_mov_b32_e32 v54, v31
	v_subrev_u32_e32 v55, 28, v57
	v_lshlrev_b64 v[54:55], v55, v[54:55]
	v_lshrrev_b32_e32 v56, 3, v30
	v_sub_u32_e32 v55, 29, v57
	v_and_b32_e32 v54, 7, v54
	v_cmp_gt_u32_e32 vcc, 8, v30
	v_cndmask_b32_e32 v30, v56, v55, vcc
	v_cndmask_b32_e32 v53, v53, v54, vcc
	v_lshlrev_b32_e32 v54, 24, v31
	v_bfrev_b32_e32 v55, 60
	v_lshlrev_b32_e32 v53, 20, v53
	v_and_b32_e32 v54, 0x80000000, v54
	v_lshl_add_u32 v30, v30, 23, v55
	v_or3_b32 v53, v54, v30, v53
.LBB608_39:
	s_or_b64 exec, exec, s[10:11]
.LBB608_40:
	s_or_b64 exec, exec, s[8:9]
.LBB608_41:
	s_or_b64 exec, exec, s[2:3]
	v_lshrrev_b16_e32 v30, 8, v31
	v_cmp_ne_u16_e32 vcc, 0, v30
	s_and_saveexec_b64 s[2:3], vcc
	s_cbranch_execz .LBB608_47
; %bb.42:
	s_movk_i32 s8, 0x80
	v_cmp_ne_u16_e32 vcc, s8, v30
	v_bfrev_b32_e32 v42, 1
	s_and_saveexec_b64 s[8:9], vcc
	s_cbranch_execz .LBB608_46
; %bb.43:
	s_movk_i32 s10, 0x7f
	v_and_b32_e32 v54, 0x7f, v30
	v_cmp_ne_u32_e32 vcc, s10, v54
	v_mov_b32_e32 v42, 0x7f800001
	s_and_saveexec_b64 s[10:11], vcc
	s_cbranch_execz .LBB608_45
; %bb.44:
	v_and_b32_e32 v42, 7, v30
	v_ffbh_u32_e32 v56, v42
	v_min_u32_e32 v58, 32, v56
	v_subrev_u32_e32 v56, 28, v58
	v_lshlrev_b64 v[56:57], v56, v[30:31]
	v_lshrrev_b32_e32 v55, 3, v54
	v_sub_u32_e32 v30, 29, v58
	v_and_b32_e32 v56, 7, v56
	v_cmp_gt_u32_e32 vcc, 8, v54
	v_cndmask_b32_e32 v30, v55, v30, vcc
	v_cndmask_b32_e32 v42, v42, v56, vcc
	v_lshlrev_b32_e32 v54, 16, v31
	v_bfrev_b32_e32 v55, 60
	v_lshlrev_b32_e32 v42, 20, v42
	v_and_b32_e32 v54, 0x80000000, v54
	v_lshl_add_u32 v30, v30, 23, v55
	v_or3_b32 v42, v54, v30, v42
.LBB608_45:
	s_or_b64 exec, exec, s[10:11]
.LBB608_46:
	s_or_b64 exec, exec, s[8:9]
.LBB608_47:
	s_or_b64 exec, exec, s[2:3]
	s_movk_i32 s2, 0xff
	v_and_b32_sdwa v56, v31, s2 dst_sel:DWORD dst_unused:UNUSED_PAD src0_sel:WORD_1 src1_sel:DWORD
	v_lshrrev_b32_e32 v30, 16, v31
	v_cmp_ne_u16_e32 vcc, 0, v56
	v_mov_b32_e32 v54, 0
	v_mov_b32_e32 v55, 0
	s_and_saveexec_b64 s[2:3], vcc
	s_cbranch_execz .LBB608_53
; %bb.48:
	s_movk_i32 s8, 0x80
	v_cmp_ne_u16_e32 vcc, s8, v56
	v_bfrev_b32_e32 v55, 1
	s_and_saveexec_b64 s[8:9], vcc
	s_cbranch_execz .LBB608_52
; %bb.49:
	v_bfe_u32 v56, v31, 16, 7
	s_movk_i32 s10, 0x7f
	v_cmp_ne_u32_e32 vcc, s10, v56
	v_mov_b32_e32 v55, 0x7f800001
	s_and_saveexec_b64 s[10:11], vcc
	s_cbranch_execz .LBB608_51
; %bb.50:
	v_and_b32_e32 v55, 7, v30
	v_ffbh_u32_e32 v58, v55
	v_min_u32_e32 v60, 32, v58
	v_subrev_u32_e32 v58, 28, v60
	v_lshlrev_b64 v[58:59], v58, v[30:31]
	v_lshrrev_b32_e32 v57, 3, v56
	v_sub_u32_e32 v30, 29, v60
	v_and_b32_e32 v58, 7, v58
	v_cmp_gt_u32_e32 vcc, 8, v56
	v_mov_b32_e32 v56, 24
	v_cndmask_b32_e32 v30, v57, v30, vcc
	v_cndmask_b32_e32 v55, v55, v58, vcc
	v_lshlrev_b32_sdwa v56, v56, v31 dst_sel:DWORD dst_unused:UNUSED_PAD src0_sel:DWORD src1_sel:WORD_1
	v_bfrev_b32_e32 v57, 60
	v_lshlrev_b32_e32 v55, 20, v55
	v_and_b32_e32 v56, 0x80000000, v56
	v_lshl_add_u32 v30, v30, 23, v57
	v_or3_b32 v55, v56, v30, v55
.LBB608_51:
	s_or_b64 exec, exec, s[10:11]
.LBB608_52:
	s_or_b64 exec, exec, s[8:9]
.LBB608_53:
	s_or_b64 exec, exec, s[2:3]
	s_mov_b32 s2, 0xffffff
	v_cmp_lt_u32_e32 vcc, s2, v31
	s_and_saveexec_b64 s[2:3], vcc
	s_cbranch_execz .LBB608_59
; %bb.54:
	v_lshrrev_b32_e32 v30, 24, v31
	s_movk_i32 s8, 0x80
	v_cmp_ne_u32_e32 vcc, s8, v30
	v_bfrev_b32_e32 v54, 1
	s_and_saveexec_b64 s[8:9], vcc
	s_cbranch_execz .LBB608_58
; %bb.55:
	v_bfe_u32 v31, v31, 24, 7
	s_movk_i32 s10, 0x7f
	v_cmp_ne_u32_e32 vcc, s10, v31
	v_mov_b32_e32 v54, 0x7f800001
	s_and_saveexec_b64 s[10:11], vcc
	s_cbranch_execz .LBB608_57
; %bb.56:
	v_and_b32_e32 v54, 7, v30
	v_ffbh_u32_e32 v56, v54
	v_min_u32_e32 v59, 32, v56
	v_subrev_u32_e32 v56, 28, v59
	v_lshlrev_b64 v[56:57], v56, v[30:31]
	v_lshrrev_b32_e32 v58, 3, v31
	v_sub_u32_e32 v57, 29, v59
	v_and_b32_e32 v56, 7, v56
	v_cmp_gt_u32_e32 vcc, 8, v31
	v_cndmask_b32_e32 v31, v58, v57, vcc
	v_cndmask_b32_e32 v54, v54, v56, vcc
	v_lshlrev_b32_e32 v30, 24, v30
	v_bfrev_b32_e32 v56, 60
	v_lshlrev_b32_e32 v54, 20, v54
	v_and_b32_e32 v30, 0x80000000, v30
	v_lshl_add_u32 v31, v31, 23, v56
	v_or3_b32 v54, v30, v31, v54
.LBB608_57:
	s_or_b64 exec, exec, s[10:11]
.LBB608_58:
	s_or_b64 exec, exec, s[8:9]
.LBB608_59:
	s_or_b64 exec, exec, s[2:3]
	v_cvt_pkrtz_f16_f32 v30, v44, v43
	v_cvt_pkrtz_f16_f32 v31, v52, v45
	;; [unrolled: 1-line block ×4, first 2 shown]
	v_mov_b32_e32 v53, 0
	s_waitcnt lgkmcnt(0)
	v_mfma_f32_16x16x16f16 v[56:59], v[30:31], v[26:27], 0
	v_mov_b32_e32 v31, 0
	v_cmp_ne_u16_sdwa s[8:9], v32, v31 src0_sel:BYTE_0 src1_sel:DWORD
	v_mfma_f32_16x16x16f16 v[42:45], v[42:43], v[28:29], v[56:59]
	s_and_saveexec_b64 s[2:3], s[8:9]
	s_cbranch_execz .LBB608_65
; %bb.60:
	s_movk_i32 s8, 0x80
	v_cmp_ne_u16_sdwa s[10:11], v32, s8 src0_sel:BYTE_0 src1_sel:DWORD
	v_bfrev_b32_e32 v53, 1
	s_and_saveexec_b64 s[8:9], s[10:11]
	s_cbranch_execz .LBB608_64
; %bb.61:
	s_movk_i32 s10, 0x7f
	v_and_b32_e32 v30, 0x7f, v32
	v_cmp_ne_u32_e32 vcc, s10, v30
	v_mov_b32_e32 v53, 0x7f800001
	s_and_saveexec_b64 s[10:11], vcc
	s_cbranch_execz .LBB608_63
; %bb.62:
	v_and_b32_e32 v54, 7, v32
	v_ffbh_u32_e32 v52, v54
	v_min_u32_e32 v56, 32, v52
	v_subrev_u32_e32 v52, 28, v56
	v_lshlrev_b64 v[52:53], v52, v[32:33]
	v_lshrrev_b32_e32 v55, 3, v30
	v_sub_u32_e32 v53, 29, v56
	v_and_b32_e32 v52, 7, v52
	v_cmp_gt_u32_e32 vcc, 8, v30
	v_cndmask_b32_e32 v30, v55, v53, vcc
	v_cndmask_b32_e32 v52, v54, v52, vcc
	v_lshlrev_b32_e32 v53, 24, v32
	v_bfrev_b32_e32 v54, 60
	v_lshlrev_b32_e32 v52, 20, v52
	v_and_b32_e32 v53, 0x80000000, v53
	v_lshl_add_u32 v30, v30, 23, v54
	v_or3_b32 v53, v53, v30, v52
.LBB608_63:
	s_or_b64 exec, exec, s[10:11]
.LBB608_64:
	s_or_b64 exec, exec, s[8:9]
.LBB608_65:
	s_or_b64 exec, exec, s[2:3]
	v_lshrrev_b16_e32 v30, 8, v32
	v_cmp_ne_u16_e32 vcc, 0, v30
	v_mov_b32_e32 v54, 0
	s_and_saveexec_b64 s[2:3], vcc
	s_cbranch_execz .LBB608_71
; %bb.66:
	s_movk_i32 s8, 0x80
	v_cmp_ne_u16_e32 vcc, s8, v30
	v_bfrev_b32_e32 v54, 1
	s_and_saveexec_b64 s[8:9], vcc
	s_cbranch_execz .LBB608_70
; %bb.67:
	s_movk_i32 s10, 0x7f
	v_and_b32_e32 v52, 0x7f, v30
	v_cmp_ne_u32_e32 vcc, s10, v52
	v_mov_b32_e32 v54, 0x7f800001
	s_and_saveexec_b64 s[10:11], vcc
	s_cbranch_execz .LBB608_69
; %bb.68:
	v_and_b32_e32 v56, 7, v30
	v_ffbh_u32_e32 v54, v56
	v_min_u32_e32 v58, 32, v54
	v_subrev_u32_e32 v54, 28, v58
	v_lshlrev_b64 v[54:55], v54, v[30:31]
	v_lshrrev_b32_e32 v57, 3, v52
	v_sub_u32_e32 v30, 29, v58
	v_and_b32_e32 v54, 7, v54
	v_cmp_gt_u32_e32 vcc, 8, v52
	v_cndmask_b32_e32 v30, v57, v30, vcc
	v_cndmask_b32_e32 v52, v56, v54, vcc
	v_lshlrev_b32_e32 v54, 16, v32
	v_bfrev_b32_e32 v55, 60
	v_lshlrev_b32_e32 v52, 20, v52
	v_and_b32_e32 v54, 0x80000000, v54
	v_lshl_add_u32 v30, v30, 23, v55
	v_or3_b32 v54, v54, v30, v52
.LBB608_69:
	s_or_b64 exec, exec, s[10:11]
.LBB608_70:
	s_or_b64 exec, exec, s[8:9]
.LBB608_71:
	s_or_b64 exec, exec, s[2:3]
	s_movk_i32 s2, 0xff
	v_and_b32_sdwa v52, v32, s2 dst_sel:DWORD dst_unused:UNUSED_PAD src0_sel:WORD_1 src1_sel:DWORD
	v_lshrrev_b32_e32 v30, 16, v32
	v_cmp_ne_u16_e32 vcc, 0, v52
	s_and_saveexec_b64 s[2:3], vcc
	s_cbranch_execz .LBB608_77
; %bb.72:
	s_movk_i32 s8, 0x80
	v_cmp_ne_u16_e32 vcc, s8, v52
	v_bfrev_b32_e32 v31, 1
	s_and_saveexec_b64 s[8:9], vcc
	s_cbranch_execz .LBB608_76
; %bb.73:
	v_bfe_u32 v52, v32, 16, 7
	s_movk_i32 s10, 0x7f
	v_cmp_ne_u32_e32 vcc, s10, v52
	v_mov_b32_e32 v31, 0x7f800001
	s_and_saveexec_b64 s[10:11], vcc
	s_cbranch_execz .LBB608_75
; %bb.74:
	v_and_b32_e32 v55, 7, v30
	v_ffbh_u32_e32 v31, v55
	v_min_u32_e32 v57, 32, v31
	v_subrev_u32_e32 v31, 28, v57
	v_lshlrev_b64 v[30:31], v31, v[30:31]
	v_lshrrev_b32_e32 v56, 3, v52
	v_sub_u32_e32 v31, 29, v57
	v_and_b32_e32 v30, 7, v30
	v_cmp_gt_u32_e32 vcc, 8, v52
	v_mov_b32_e32 v52, 24
	v_cndmask_b32_e32 v31, v56, v31, vcc
	v_cndmask_b32_e32 v30, v55, v30, vcc
	v_lshlrev_b32_sdwa v52, v52, v32 dst_sel:DWORD dst_unused:UNUSED_PAD src0_sel:DWORD src1_sel:WORD_1
	v_bfrev_b32_e32 v55, 60
	v_lshlrev_b32_e32 v30, 20, v30
	v_and_b32_e32 v52, 0x80000000, v52
	v_lshl_add_u32 v31, v31, 23, v55
	v_or3_b32 v31, v52, v31, v30
.LBB608_75:
	s_or_b64 exec, exec, s[10:11]
.LBB608_76:
	s_or_b64 exec, exec, s[8:9]
.LBB608_77:
	s_or_b64 exec, exec, s[2:3]
	s_mov_b32 s2, 0xffffff
	v_cmp_lt_u32_e32 vcc, s2, v32
	v_mov_b32_e32 v55, 0
	v_mov_b32_e32 v56, 0
	s_and_saveexec_b64 s[2:3], vcc
	s_cbranch_execz .LBB608_83
; %bb.78:
	v_lshrrev_b32_e32 v30, 24, v32
	s_movk_i32 s8, 0x80
	v_cmp_ne_u32_e32 vcc, s8, v30
	v_bfrev_b32_e32 v56, 1
	s_and_saveexec_b64 s[8:9], vcc
	s_cbranch_execz .LBB608_82
; %bb.79:
	v_bfe_u32 v32, v32, 24, 7
	s_movk_i32 s10, 0x7f
	v_cmp_ne_u32_e32 vcc, s10, v32
	v_mov_b32_e32 v56, 0x7f800001
	s_and_saveexec_b64 s[10:11], vcc
	s_cbranch_execz .LBB608_81
; %bb.80:
	v_and_b32_e32 v52, 7, v30
	v_ffbh_u32_e32 v56, v52
	v_min_u32_e32 v59, 32, v56
	v_subrev_u32_e32 v56, 28, v59
	v_lshlrev_b64 v[56:57], v56, v[30:31]
	v_lshrrev_b32_e32 v58, 3, v32
	v_sub_u32_e32 v57, 29, v59
	v_and_b32_e32 v56, 7, v56
	v_cmp_gt_u32_e32 vcc, 8, v32
	v_cndmask_b32_e32 v32, v58, v57, vcc
	v_cndmask_b32_e32 v52, v52, v56, vcc
	v_lshlrev_b32_e32 v30, 24, v30
	v_bfrev_b32_e32 v56, 60
	v_lshlrev_b32_e32 v52, 20, v52
	v_and_b32_e32 v30, 0x80000000, v30
	v_lshl_add_u32 v32, v32, 23, v56
	v_or3_b32 v56, v30, v32, v52
.LBB608_81:
	s_or_b64 exec, exec, s[10:11]
.LBB608_82:
	s_or_b64 exec, exec, s[8:9]
.LBB608_83:
	s_or_b64 exec, exec, s[2:3]
	v_cmp_ne_u16_sdwa s[8:9], v33, v55 src0_sel:BYTE_0 src1_sel:DWORD
	s_and_saveexec_b64 s[2:3], s[8:9]
	s_cbranch_execz .LBB608_89
; %bb.84:
	s_movk_i32 s8, 0x80
	v_cmp_ne_u16_sdwa s[10:11], v33, s8 src0_sel:BYTE_0 src1_sel:DWORD
	v_bfrev_b32_e32 v55, 1
	s_and_saveexec_b64 s[8:9], s[10:11]
	s_cbranch_execz .LBB608_88
; %bb.85:
	s_movk_i32 s10, 0x7f
	v_and_b32_e32 v30, 0x7f, v33
	v_cmp_ne_u32_e32 vcc, s10, v30
	v_mov_b32_e32 v55, 0x7f800001
	s_and_saveexec_b64 s[10:11], vcc
	s_cbranch_execz .LBB608_87
; %bb.86:
	v_and_b32_e32 v52, 7, v33
	v_ffbh_u32_e32 v57, v52
	v_min_u32_e32 v57, 32, v57
	v_mov_b32_e32 v32, v33
	v_subrev_u32_e32 v58, 28, v57
	v_lshlrev_b64 v[58:59], v58, v[32:33]
	v_lshrrev_b32_e32 v55, 3, v30
	v_sub_u32_e32 v32, 29, v57
	v_and_b32_e32 v57, 7, v58
	v_cmp_gt_u32_e32 vcc, 8, v30
	v_cndmask_b32_e32 v30, v55, v32, vcc
	v_cndmask_b32_e32 v32, v52, v57, vcc
	v_lshlrev_b32_e32 v52, 24, v33
	v_bfrev_b32_e32 v55, 60
	v_lshlrev_b32_e32 v32, 20, v32
	v_and_b32_e32 v52, 0x80000000, v52
	v_lshl_add_u32 v30, v30, 23, v55
	v_or3_b32 v55, v52, v30, v32
.LBB608_87:
	s_or_b64 exec, exec, s[10:11]
.LBB608_88:
	s_or_b64 exec, exec, s[8:9]
.LBB608_89:
	s_or_b64 exec, exec, s[2:3]
	v_lshrrev_b16_e32 v30, 8, v33
	v_cmp_ne_u16_e32 vcc, 0, v30
	v_mov_b32_e32 v32, 0
	v_mov_b32_e32 v57, 0
	s_and_saveexec_b64 s[2:3], vcc
	s_cbranch_execz .LBB608_95
; %bb.90:
	s_movk_i32 s8, 0x80
	v_cmp_ne_u16_e32 vcc, s8, v30
	v_bfrev_b32_e32 v57, 1
	s_and_saveexec_b64 s[8:9], vcc
	s_cbranch_execz .LBB608_94
; %bb.91:
	s_movk_i32 s10, 0x7f
	v_and_b32_e32 v52, 0x7f, v30
	v_cmp_ne_u32_e32 vcc, s10, v52
	v_mov_b32_e32 v57, 0x7f800001
	s_and_saveexec_b64 s[10:11], vcc
	s_cbranch_execz .LBB608_93
; %bb.92:
	v_and_b32_e32 v57, 7, v30
	v_ffbh_u32_e32 v58, v57
	v_min_u32_e32 v61, 32, v58
	v_subrev_u32_e32 v58, 28, v61
	v_lshlrev_b64 v[58:59], v58, v[30:31]
	v_lshrrev_b32_e32 v60, 3, v52
	v_sub_u32_e32 v30, 29, v61
	v_and_b32_e32 v58, 7, v58
	v_cmp_gt_u32_e32 vcc, 8, v52
	v_cndmask_b32_e32 v30, v60, v30, vcc
	v_cndmask_b32_e32 v52, v57, v58, vcc
	v_lshlrev_b32_e32 v57, 16, v33
	v_bfrev_b32_e32 v58, 60
	v_lshlrev_b32_e32 v52, 20, v52
	v_and_b32_e32 v57, 0x80000000, v57
	v_lshl_add_u32 v30, v30, 23, v58
	v_or3_b32 v57, v57, v30, v52
.LBB608_93:
	s_or_b64 exec, exec, s[10:11]
.LBB608_94:
	s_or_b64 exec, exec, s[8:9]
.LBB608_95:
	s_or_b64 exec, exec, s[2:3]
	s_movk_i32 s2, 0xff
	v_and_b32_sdwa v52, v33, s2 dst_sel:DWORD dst_unused:UNUSED_PAD src0_sel:WORD_1 src1_sel:DWORD
	v_lshrrev_b32_e32 v30, 16, v33
	v_cmp_ne_u16_e32 vcc, 0, v52
	s_and_saveexec_b64 s[2:3], vcc
	s_cbranch_execz .LBB608_101
; %bb.96:
	s_movk_i32 s8, 0x80
	v_cmp_ne_u16_e32 vcc, s8, v52
	v_bfrev_b32_e32 v32, 1
	s_and_saveexec_b64 s[8:9], vcc
	s_cbranch_execz .LBB608_100
; %bb.97:
	v_bfe_u32 v52, v33, 16, 7
	s_movk_i32 s10, 0x7f
	v_cmp_ne_u32_e32 vcc, s10, v52
	v_mov_b32_e32 v32, 0x7f800001
	s_and_saveexec_b64 s[10:11], vcc
	s_cbranch_execz .LBB608_99
; %bb.98:
	v_and_b32_e32 v32, 7, v30
	v_ffbh_u32_e32 v58, v32
	v_min_u32_e32 v61, 32, v58
	v_subrev_u32_e32 v58, 28, v61
	v_lshlrev_b64 v[58:59], v58, v[30:31]
	v_lshrrev_b32_e32 v60, 3, v52
	v_sub_u32_e32 v30, 29, v61
	v_and_b32_e32 v58, 7, v58
	v_cmp_gt_u32_e32 vcc, 8, v52
	v_mov_b32_e32 v52, 24
	v_cndmask_b32_e32 v30, v60, v30, vcc
	v_cndmask_b32_e32 v32, v32, v58, vcc
	v_lshlrev_b32_sdwa v52, v52, v33 dst_sel:DWORD dst_unused:UNUSED_PAD src0_sel:DWORD src1_sel:WORD_1
	v_bfrev_b32_e32 v58, 60
	v_lshlrev_b32_e32 v32, 20, v32
	v_and_b32_e32 v52, 0x80000000, v52
	v_lshl_add_u32 v30, v30, 23, v58
	v_or3_b32 v32, v52, v30, v32
.LBB608_99:
	s_or_b64 exec, exec, s[10:11]
.LBB608_100:
	s_or_b64 exec, exec, s[8:9]
.LBB608_101:
	s_or_b64 exec, exec, s[2:3]
	s_mov_b32 s2, 0xffffff
	v_cmp_lt_u32_e32 vcc, s2, v33
	v_mov_b32_e32 v52, 0
	v_mov_b32_e32 v58, 0
	s_and_saveexec_b64 s[2:3], vcc
	s_cbranch_execz .LBB608_107
; %bb.102:
	v_lshrrev_b32_e32 v30, 24, v33
	s_movk_i32 s8, 0x80
	v_cmp_ne_u32_e32 vcc, s8, v30
	v_bfrev_b32_e32 v58, 1
	s_and_saveexec_b64 s[8:9], vcc
	s_cbranch_execz .LBB608_106
; %bb.103:
	v_bfe_u32 v33, v33, 24, 7
	s_movk_i32 s10, 0x7f
	v_cmp_ne_u32_e32 vcc, s10, v33
	v_mov_b32_e32 v58, 0x7f800001
	s_and_saveexec_b64 s[10:11], vcc
	s_cbranch_execz .LBB608_105
; %bb.104:
	v_and_b32_e32 v60, 7, v30
	v_ffbh_u32_e32 v58, v60
	v_min_u32_e32 v62, 32, v58
	v_subrev_u32_e32 v58, 28, v62
	v_lshlrev_b64 v[58:59], v58, v[30:31]
	v_lshrrev_b32_e32 v61, 3, v33
	v_sub_u32_e32 v59, 29, v62
	v_and_b32_e32 v58, 7, v58
	v_cmp_gt_u32_e32 vcc, 8, v33
	v_cndmask_b32_e32 v33, v61, v59, vcc
	v_cndmask_b32_e32 v58, v60, v58, vcc
	v_lshlrev_b32_e32 v30, 24, v30
	v_bfrev_b32_e32 v59, 60
	v_lshlrev_b32_e32 v58, 20, v58
	v_and_b32_e32 v30, 0x80000000, v30
	v_lshl_add_u32 v33, v33, 23, v59
	v_or3_b32 v58, v30, v33, v58
.LBB608_105:
	s_or_b64 exec, exec, s[10:11]
.LBB608_106:
	s_or_b64 exec, exec, s[8:9]
.LBB608_107:
	s_or_b64 exec, exec, s[2:3]
	v_cvt_pkrtz_f16_f32 v30, v53, v54
	v_cvt_pkrtz_f16_f32 v31, v31, v56
	s_waitcnt vmcnt(6)
	v_cmp_ne_u16_sdwa s[8:9], v38, v52 src0_sel:BYTE_0 src1_sel:DWORD
	v_mfma_f32_16x16x16f16 v[42:45], v[30:31], v[18:19], v[42:45]
	v_cvt_pkrtz_f16_f32 v30, v55, v57
	v_cvt_pkrtz_f16_f32 v31, v32, v58
	s_nop 1
	v_mfma_f32_16x16x16f16 v[30:33], v[30:31], v[20:21], v[42:45]
	s_and_saveexec_b64 s[2:3], s[8:9]
	s_cbranch_execz .LBB608_113
; %bb.108:
	s_movk_i32 s8, 0x80
	v_cmp_ne_u16_sdwa s[10:11], v38, s8 src0_sel:BYTE_0 src1_sel:DWORD
	v_bfrev_b32_e32 v52, 1
	s_and_saveexec_b64 s[8:9], s[10:11]
	s_cbranch_execz .LBB608_112
; %bb.109:
	s_movk_i32 s10, 0x7f
	v_and_b32_e32 v42, 0x7f, v38
	v_cmp_ne_u32_e32 vcc, s10, v42
	v_mov_b32_e32 v52, 0x7f800001
	s_and_saveexec_b64 s[10:11], vcc
	s_cbranch_execz .LBB608_111
; %bb.110:
	v_and_b32_e32 v43, 7, v38
	v_ffbh_u32_e32 v44, v43
	v_min_u32_e32 v53, 32, v44
	v_subrev_u32_e32 v44, 28, v53
	v_lshlrev_b64 v[44:45], v44, v[38:39]
	v_lshrrev_b32_e32 v52, 3, v42
	v_sub_u32_e32 v45, 29, v53
	v_and_b32_e32 v44, 7, v44
	v_cmp_gt_u32_e32 vcc, 8, v42
	v_cndmask_b32_e32 v42, v52, v45, vcc
	v_cndmask_b32_e32 v43, v43, v44, vcc
	v_lshlrev_b32_e32 v44, 24, v38
	v_bfrev_b32_e32 v45, 60
	v_lshlrev_b32_e32 v43, 20, v43
	v_and_b32_e32 v44, 0x80000000, v44
	v_lshl_add_u32 v42, v42, 23, v45
	v_or3_b32 v52, v44, v42, v43
.LBB608_111:
	s_or_b64 exec, exec, s[10:11]
.LBB608_112:
	s_or_b64 exec, exec, s[8:9]
.LBB608_113:
	s_or_b64 exec, exec, s[2:3]
	s_nop 3
	v_lshrrev_b16_e32 v42, 8, v38
	v_cmp_ne_u16_e32 vcc, 0, v42
	v_mov_b32_e32 v43, 0
	v_mov_b32_e32 v44, 0
	s_and_saveexec_b64 s[2:3], vcc
	s_cbranch_execz .LBB608_119
; %bb.114:
	s_movk_i32 s8, 0x80
	v_cmp_ne_u16_e32 vcc, s8, v42
	v_bfrev_b32_e32 v44, 1
	s_and_saveexec_b64 s[8:9], vcc
	s_cbranch_execz .LBB608_118
; %bb.115:
	s_movk_i32 s10, 0x7f
	v_and_b32_e32 v45, 0x7f, v42
	v_cmp_ne_u32_e32 vcc, s10, v45
	v_mov_b32_e32 v44, 0x7f800001
	s_and_saveexec_b64 s[10:11], vcc
	s_cbranch_execz .LBB608_117
; %bb.116:
	v_and_b32_e32 v44, 7, v42
	v_ffbh_u32_e32 v54, v44
	v_min_u32_e32 v56, 32, v54
	v_subrev_u32_e32 v54, 28, v56
	v_lshlrev_b64 v[54:55], v54, v[42:43]
	v_lshrrev_b32_e32 v53, 3, v45
	v_sub_u32_e32 v42, 29, v56
	v_and_b32_e32 v54, 7, v54
	v_cmp_gt_u32_e32 vcc, 8, v45
	v_cndmask_b32_e32 v42, v53, v42, vcc
	v_cndmask_b32_e32 v44, v44, v54, vcc
	v_lshlrev_b32_e32 v45, 16, v38
	v_bfrev_b32_e32 v53, 60
	v_lshlrev_b32_e32 v44, 20, v44
	v_and_b32_e32 v45, 0x80000000, v45
	v_lshl_add_u32 v42, v42, 23, v53
	v_or3_b32 v44, v45, v42, v44
.LBB608_117:
	s_or_b64 exec, exec, s[10:11]
.LBB608_118:
	s_or_b64 exec, exec, s[8:9]
.LBB608_119:
	s_or_b64 exec, exec, s[2:3]
	s_movk_i32 s2, 0xff
	v_and_b32_sdwa v45, v38, s2 dst_sel:DWORD dst_unused:UNUSED_PAD src0_sel:WORD_1 src1_sel:DWORD
	v_lshrrev_b32_e32 v42, 16, v38
	v_cmp_ne_u16_e32 vcc, 0, v45
	s_and_saveexec_b64 s[2:3], vcc
	s_cbranch_execz .LBB608_125
; %bb.120:
	s_movk_i32 s8, 0x80
	v_cmp_ne_u16_e32 vcc, s8, v45
	v_bfrev_b32_e32 v43, 1
	s_and_saveexec_b64 s[8:9], vcc
	s_cbranch_execz .LBB608_124
; %bb.121:
	v_bfe_u32 v45, v38, 16, 7
	s_movk_i32 s10, 0x7f
	v_cmp_ne_u32_e32 vcc, s10, v45
	v_mov_b32_e32 v43, 0x7f800001
	s_and_saveexec_b64 s[10:11], vcc
	s_cbranch_execz .LBB608_123
; %bb.122:
	v_and_b32_e32 v53, 7, v42
	v_ffbh_u32_e32 v43, v53
	v_min_u32_e32 v55, 32, v43
	v_subrev_u32_e32 v43, 28, v55
	v_lshlrev_b64 v[42:43], v43, v[42:43]
	v_lshrrev_b32_e32 v54, 3, v45
	v_sub_u32_e32 v43, 29, v55
	v_and_b32_e32 v42, 7, v42
	v_cmp_gt_u32_e32 vcc, 8, v45
	v_mov_b32_e32 v45, 24
	v_cndmask_b32_e32 v43, v54, v43, vcc
	v_cndmask_b32_e32 v42, v53, v42, vcc
	v_lshlrev_b32_sdwa v45, v45, v38 dst_sel:DWORD dst_unused:UNUSED_PAD src0_sel:DWORD src1_sel:WORD_1
	v_bfrev_b32_e32 v53, 60
	v_lshlrev_b32_e32 v42, 20, v42
	v_and_b32_e32 v45, 0x80000000, v45
	v_lshl_add_u32 v43, v43, 23, v53
	v_or3_b32 v43, v45, v43, v42
.LBB608_123:
	s_or_b64 exec, exec, s[10:11]
.LBB608_124:
	s_or_b64 exec, exec, s[8:9]
.LBB608_125:
	s_or_b64 exec, exec, s[2:3]
	s_mov_b32 s2, 0xffffff
	v_cmp_lt_u32_e32 vcc, s2, v38
	v_mov_b32_e32 v45, 0
	v_mov_b32_e32 v54, 0
	s_and_saveexec_b64 s[2:3], vcc
	s_cbranch_execz .LBB608_131
; %bb.126:
	v_lshrrev_b32_e32 v42, 24, v38
	s_movk_i32 s8, 0x80
	v_cmp_ne_u32_e32 vcc, s8, v42
	v_bfrev_b32_e32 v54, 1
	s_and_saveexec_b64 s[8:9], vcc
	s_cbranch_execz .LBB608_130
; %bb.127:
	v_bfe_u32 v38, v38, 24, 7
	s_movk_i32 s10, 0x7f
	v_cmp_ne_u32_e32 vcc, s10, v38
	v_mov_b32_e32 v54, 0x7f800001
	s_and_saveexec_b64 s[10:11], vcc
	s_cbranch_execz .LBB608_129
; %bb.128:
	v_and_b32_e32 v53, 7, v42
	v_ffbh_u32_e32 v54, v53
	v_min_u32_e32 v57, 32, v54
	v_subrev_u32_e32 v54, 28, v57
	v_lshlrev_b64 v[54:55], v54, v[42:43]
	v_lshrrev_b32_e32 v56, 3, v38
	v_sub_u32_e32 v55, 29, v57
	v_and_b32_e32 v54, 7, v54
	v_cmp_gt_u32_e32 vcc, 8, v38
	v_cndmask_b32_e32 v38, v56, v55, vcc
	v_cndmask_b32_e32 v53, v53, v54, vcc
	v_lshlrev_b32_e32 v42, 24, v42
	v_bfrev_b32_e32 v54, 60
	v_lshlrev_b32_e32 v53, 20, v53
	v_and_b32_e32 v42, 0x80000000, v42
	v_lshl_add_u32 v38, v38, 23, v54
	v_or3_b32 v54, v42, v38, v53
.LBB608_129:
	s_or_b64 exec, exec, s[10:11]
.LBB608_130:
	s_or_b64 exec, exec, s[8:9]
.LBB608_131:
	s_or_b64 exec, exec, s[2:3]
	v_cmp_ne_u16_sdwa s[8:9], v39, v45 src0_sel:BYTE_0 src1_sel:DWORD
	s_and_saveexec_b64 s[2:3], s[8:9]
	s_cbranch_execz .LBB608_137
; %bb.132:
	s_movk_i32 s8, 0x80
	v_cmp_ne_u16_sdwa s[10:11], v39, s8 src0_sel:BYTE_0 src1_sel:DWORD
	v_bfrev_b32_e32 v45, 1
	s_and_saveexec_b64 s[8:9], s[10:11]
	s_cbranch_execz .LBB608_136
; %bb.133:
	s_movk_i32 s10, 0x7f
	v_and_b32_e32 v38, 0x7f, v39
	v_cmp_ne_u32_e32 vcc, s10, v38
	v_mov_b32_e32 v45, 0x7f800001
	s_and_saveexec_b64 s[10:11], vcc
	s_cbranch_execz .LBB608_135
; %bb.134:
	v_and_b32_e32 v45, 7, v39
	v_ffbh_u32_e32 v55, v45
	v_min_u32_e32 v55, 32, v55
	v_mov_b32_e32 v42, v39
	v_subrev_u32_e32 v56, 28, v55
	v_lshlrev_b64 v[56:57], v56, v[42:43]
	v_lshrrev_b32_e32 v53, 3, v38
	v_sub_u32_e32 v42, 29, v55
	v_and_b32_e32 v55, 7, v56
	v_cmp_gt_u32_e32 vcc, 8, v38
	v_cndmask_b32_e32 v38, v53, v42, vcc
	v_cndmask_b32_e32 v42, v45, v55, vcc
	v_lshlrev_b32_e32 v45, 24, v39
	v_bfrev_b32_e32 v53, 60
	v_lshlrev_b32_e32 v42, 20, v42
	v_and_b32_e32 v45, 0x80000000, v45
	v_lshl_add_u32 v38, v38, 23, v53
	v_or3_b32 v45, v45, v38, v42
.LBB608_135:
	s_or_b64 exec, exec, s[10:11]
.LBB608_136:
	s_or_b64 exec, exec, s[8:9]
.LBB608_137:
	s_or_b64 exec, exec, s[2:3]
	v_lshrrev_b16_e32 v38, 8, v39
	v_cmp_ne_u16_e32 vcc, 0, v38
	v_mov_b32_e32 v42, 0
	v_mov_b32_e32 v55, 0
	s_and_saveexec_b64 s[2:3], vcc
	s_cbranch_execz .LBB608_143
; %bb.138:
	s_movk_i32 s8, 0x80
	v_cmp_ne_u16_e32 vcc, s8, v38
	v_bfrev_b32_e32 v55, 1
	s_and_saveexec_b64 s[8:9], vcc
	s_cbranch_execz .LBB608_142
; %bb.139:
	s_movk_i32 s10, 0x7f
	v_and_b32_e32 v53, 0x7f, v38
	v_cmp_ne_u32_e32 vcc, s10, v53
	v_mov_b32_e32 v55, 0x7f800001
	s_and_saveexec_b64 s[10:11], vcc
	s_cbranch_execz .LBB608_141
; %bb.140:
	v_and_b32_e32 v55, 7, v38
	v_ffbh_u32_e32 v56, v55
	v_min_u32_e32 v59, 32, v56
	v_subrev_u32_e32 v56, 28, v59
	v_lshlrev_b64 v[56:57], v56, v[38:39]
	v_lshrrev_b32_e32 v58, 3, v53
	v_sub_u32_e32 v38, 29, v59
	v_and_b32_e32 v56, 7, v56
	v_cmp_gt_u32_e32 vcc, 8, v53
	v_cndmask_b32_e32 v38, v58, v38, vcc
	v_cndmask_b32_e32 v53, v55, v56, vcc
	v_lshlrev_b32_e32 v55, 16, v39
	v_bfrev_b32_e32 v56, 60
	v_lshlrev_b32_e32 v53, 20, v53
	v_and_b32_e32 v55, 0x80000000, v55
	v_lshl_add_u32 v38, v38, 23, v56
	v_or3_b32 v55, v55, v38, v53
.LBB608_141:
	s_or_b64 exec, exec, s[10:11]
.LBB608_142:
	s_or_b64 exec, exec, s[8:9]
.LBB608_143:
	s_or_b64 exec, exec, s[2:3]
	s_movk_i32 s2, 0xff
	v_and_b32_sdwa v53, v39, s2 dst_sel:DWORD dst_unused:UNUSED_PAD src0_sel:WORD_1 src1_sel:DWORD
	v_lshrrev_b32_e32 v38, 16, v39
	v_cmp_ne_u16_e32 vcc, 0, v53
	s_and_saveexec_b64 s[2:3], vcc
	s_cbranch_execz .LBB608_149
; %bb.144:
	s_movk_i32 s8, 0x80
	v_cmp_ne_u16_e32 vcc, s8, v53
	v_bfrev_b32_e32 v42, 1
	s_and_saveexec_b64 s[8:9], vcc
	s_cbranch_execz .LBB608_148
; %bb.145:
	v_bfe_u32 v53, v39, 16, 7
	s_movk_i32 s10, 0x7f
	v_cmp_ne_u32_e32 vcc, s10, v53
	v_mov_b32_e32 v42, 0x7f800001
	s_and_saveexec_b64 s[10:11], vcc
	s_cbranch_execz .LBB608_147
; %bb.146:
	v_and_b32_e32 v42, 7, v38
	v_ffbh_u32_e32 v56, v42
	v_min_u32_e32 v59, 32, v56
	v_subrev_u32_e32 v56, 28, v59
	v_lshlrev_b64 v[56:57], v56, v[38:39]
	v_lshrrev_b32_e32 v58, 3, v53
	v_sub_u32_e32 v38, 29, v59
	v_and_b32_e32 v56, 7, v56
	v_cmp_gt_u32_e32 vcc, 8, v53
	v_mov_b32_e32 v53, 24
	v_cndmask_b32_e32 v38, v58, v38, vcc
	v_cndmask_b32_e32 v42, v42, v56, vcc
	v_lshlrev_b32_sdwa v53, v53, v39 dst_sel:DWORD dst_unused:UNUSED_PAD src0_sel:DWORD src1_sel:WORD_1
	v_bfrev_b32_e32 v56, 60
	v_lshlrev_b32_e32 v42, 20, v42
	v_and_b32_e32 v53, 0x80000000, v53
	v_lshl_add_u32 v38, v38, 23, v56
	v_or3_b32 v42, v53, v38, v42
.LBB608_147:
	s_or_b64 exec, exec, s[10:11]
.LBB608_148:
	s_or_b64 exec, exec, s[8:9]
.LBB608_149:
	s_or_b64 exec, exec, s[2:3]
	s_mov_b32 s2, 0xffffff
	v_cmp_lt_u32_e32 vcc, s2, v39
	v_mov_b32_e32 v53, 0
	v_mov_b32_e32 v56, 0
	s_and_saveexec_b64 s[2:3], vcc
	s_cbranch_execz .LBB608_155
; %bb.150:
	v_lshrrev_b32_e32 v38, 24, v39
	s_movk_i32 s8, 0x80
	v_cmp_ne_u32_e32 vcc, s8, v38
	v_bfrev_b32_e32 v56, 1
	s_and_saveexec_b64 s[8:9], vcc
	s_cbranch_execz .LBB608_154
; %bb.151:
	v_bfe_u32 v39, v39, 24, 7
	s_movk_i32 s10, 0x7f
	v_cmp_ne_u32_e32 vcc, s10, v39
	v_mov_b32_e32 v56, 0x7f800001
	s_and_saveexec_b64 s[10:11], vcc
	s_cbranch_execz .LBB608_153
; %bb.152:
	v_and_b32_e32 v58, 7, v38
	v_ffbh_u32_e32 v56, v58
	v_min_u32_e32 v60, 32, v56
	v_subrev_u32_e32 v56, 28, v60
	v_lshlrev_b64 v[56:57], v56, v[38:39]
	v_lshrrev_b32_e32 v59, 3, v39
	v_sub_u32_e32 v57, 29, v60
	v_and_b32_e32 v56, 7, v56
	v_cmp_gt_u32_e32 vcc, 8, v39
	v_cndmask_b32_e32 v39, v59, v57, vcc
	v_cndmask_b32_e32 v56, v58, v56, vcc
	v_lshlrev_b32_e32 v38, 24, v38
	v_bfrev_b32_e32 v57, 60
	v_lshlrev_b32_e32 v56, 20, v56
	v_and_b32_e32 v38, 0x80000000, v38
	v_lshl_add_u32 v39, v39, 23, v57
	v_or3_b32 v56, v38, v39, v56
.LBB608_153:
	s_or_b64 exec, exec, s[10:11]
.LBB608_154:
	s_or_b64 exec, exec, s[8:9]
.LBB608_155:
	s_or_b64 exec, exec, s[2:3]
	v_cvt_pkrtz_f16_f32 v38, v52, v44
	v_cvt_pkrtz_f16_f32 v39, v43, v54
	v_cmp_ne_u16_sdwa s[8:9], v40, v53 src0_sel:BYTE_0 src1_sel:DWORD
	s_nop 0
	v_mfma_f32_16x16x16f16 v[58:61], v[38:39], v[26:27], 0
	v_cvt_pkrtz_f16_f32 v38, v45, v55
	v_cvt_pkrtz_f16_f32 v39, v42, v56
	s_nop 1
	v_mfma_f32_16x16x16f16 v[42:45], v[38:39], v[28:29], v[58:61]
	s_and_saveexec_b64 s[2:3], s[8:9]
	s_cbranch_execz .LBB608_161
; %bb.156:
	s_movk_i32 s8, 0x80
	v_cmp_ne_u16_sdwa s[10:11], v40, s8 src0_sel:BYTE_0 src1_sel:DWORD
	v_bfrev_b32_e32 v53, 1
	s_and_saveexec_b64 s[8:9], s[10:11]
	s_cbranch_execz .LBB608_160
; %bb.157:
	s_movk_i32 s10, 0x7f
	v_and_b32_e32 v38, 0x7f, v40
	v_cmp_ne_u32_e32 vcc, s10, v38
	v_mov_b32_e32 v53, 0x7f800001
	s_and_saveexec_b64 s[10:11], vcc
	s_cbranch_execz .LBB608_159
; %bb.158:
	v_and_b32_e32 v39, 7, v40
	v_ffbh_u32_e32 v52, v39
	v_min_u32_e32 v55, 32, v52
	v_subrev_u32_e32 v52, 28, v55
	v_lshlrev_b64 v[52:53], v52, v[40:41]
	v_lshrrev_b32_e32 v54, 3, v38
	v_sub_u32_e32 v53, 29, v55
	v_and_b32_e32 v52, 7, v52
	v_cmp_gt_u32_e32 vcc, 8, v38
	v_cndmask_b32_e32 v38, v54, v53, vcc
	v_cndmask_b32_e32 v39, v39, v52, vcc
	v_lshlrev_b32_e32 v52, 24, v40
	v_bfrev_b32_e32 v53, 60
	v_lshlrev_b32_e32 v39, 20, v39
	v_and_b32_e32 v52, 0x80000000, v52
	v_lshl_add_u32 v38, v38, 23, v53
	v_or3_b32 v53, v52, v38, v39
.LBB608_159:
	s_or_b64 exec, exec, s[10:11]
.LBB608_160:
	s_or_b64 exec, exec, s[8:9]
.LBB608_161:
	s_or_b64 exec, exec, s[2:3]
	v_lshrrev_b16_e32 v38, 8, v40
	v_cmp_ne_u16_e32 vcc, 0, v38
	v_mov_b32_e32 v39, 0
	v_mov_b32_e32 v54, 0
	s_and_saveexec_b64 s[2:3], vcc
	s_cbranch_execz .LBB608_167
; %bb.162:
	s_movk_i32 s8, 0x80
	v_cmp_ne_u16_e32 vcc, s8, v38
	v_bfrev_b32_e32 v54, 1
	s_and_saveexec_b64 s[8:9], vcc
	s_cbranch_execz .LBB608_166
; %bb.163:
	s_movk_i32 s10, 0x7f
	v_and_b32_e32 v52, 0x7f, v38
	v_cmp_ne_u32_e32 vcc, s10, v52
	v_mov_b32_e32 v54, 0x7f800001
	s_and_saveexec_b64 s[10:11], vcc
	s_cbranch_execz .LBB608_165
; %bb.164:
	v_and_b32_e32 v56, 7, v38
	v_ffbh_u32_e32 v54, v56
	v_min_u32_e32 v58, 32, v54
	v_subrev_u32_e32 v54, 28, v58
	v_lshlrev_b64 v[54:55], v54, v[38:39]
	v_lshrrev_b32_e32 v57, 3, v52
	v_sub_u32_e32 v38, 29, v58
	v_and_b32_e32 v54, 7, v54
	v_cmp_gt_u32_e32 vcc, 8, v52
	v_cndmask_b32_e32 v38, v57, v38, vcc
	v_cndmask_b32_e32 v52, v56, v54, vcc
	v_lshlrev_b32_e32 v54, 16, v40
	v_bfrev_b32_e32 v55, 60
	v_lshlrev_b32_e32 v52, 20, v52
	v_and_b32_e32 v54, 0x80000000, v54
	v_lshl_add_u32 v38, v38, 23, v55
	v_or3_b32 v54, v54, v38, v52
.LBB608_165:
	s_or_b64 exec, exec, s[10:11]
.LBB608_166:
	s_or_b64 exec, exec, s[8:9]
.LBB608_167:
	s_or_b64 exec, exec, s[2:3]
	s_movk_i32 s2, 0xff
	v_and_b32_sdwa v52, v40, s2 dst_sel:DWORD dst_unused:UNUSED_PAD src0_sel:WORD_1 src1_sel:DWORD
	v_lshrrev_b32_e32 v38, 16, v40
	v_cmp_ne_u16_e32 vcc, 0, v52
	s_and_saveexec_b64 s[2:3], vcc
	s_cbranch_execz .LBB608_173
; %bb.168:
	s_movk_i32 s8, 0x80
	v_cmp_ne_u16_e32 vcc, s8, v52
	v_bfrev_b32_e32 v39, 1
	s_and_saveexec_b64 s[8:9], vcc
	s_cbranch_execz .LBB608_172
; %bb.169:
	v_bfe_u32 v52, v40, 16, 7
	s_movk_i32 s10, 0x7f
	v_cmp_ne_u32_e32 vcc, s10, v52
	v_mov_b32_e32 v39, 0x7f800001
	s_and_saveexec_b64 s[10:11], vcc
	s_cbranch_execz .LBB608_171
; %bb.170:
	v_and_b32_e32 v55, 7, v38
	v_ffbh_u32_e32 v39, v55
	v_min_u32_e32 v57, 32, v39
	v_subrev_u32_e32 v39, 28, v57
	v_lshlrev_b64 v[38:39], v39, v[38:39]
	v_lshrrev_b32_e32 v56, 3, v52
	v_sub_u32_e32 v39, 29, v57
	v_and_b32_e32 v38, 7, v38
	v_cmp_gt_u32_e32 vcc, 8, v52
	v_mov_b32_e32 v52, 24
	v_cndmask_b32_e32 v39, v56, v39, vcc
	v_cndmask_b32_e32 v38, v55, v38, vcc
	v_lshlrev_b32_sdwa v52, v52, v40 dst_sel:DWORD dst_unused:UNUSED_PAD src0_sel:DWORD src1_sel:WORD_1
	v_bfrev_b32_e32 v55, 60
	v_lshlrev_b32_e32 v38, 20, v38
	v_and_b32_e32 v52, 0x80000000, v52
	v_lshl_add_u32 v39, v39, 23, v55
	v_or3_b32 v39, v52, v39, v38
.LBB608_171:
	s_or_b64 exec, exec, s[10:11]
.LBB608_172:
	s_or_b64 exec, exec, s[8:9]
.LBB608_173:
	s_or_b64 exec, exec, s[2:3]
	s_mov_b32 s2, 0xffffff
	v_cmp_lt_u32_e32 vcc, s2, v40
	v_mov_b32_e32 v55, 0
	v_mov_b32_e32 v56, 0
	s_and_saveexec_b64 s[2:3], vcc
	s_cbranch_execz .LBB608_179
; %bb.174:
	v_lshrrev_b32_e32 v38, 24, v40
	s_movk_i32 s8, 0x80
	v_cmp_ne_u32_e32 vcc, s8, v38
	v_bfrev_b32_e32 v56, 1
	s_and_saveexec_b64 s[8:9], vcc
	s_cbranch_execz .LBB608_178
; %bb.175:
	v_bfe_u32 v40, v40, 24, 7
	s_movk_i32 s10, 0x7f
	v_cmp_ne_u32_e32 vcc, s10, v40
	v_mov_b32_e32 v56, 0x7f800001
	s_and_saveexec_b64 s[10:11], vcc
	s_cbranch_execz .LBB608_177
; %bb.176:
	v_and_b32_e32 v52, 7, v38
	v_ffbh_u32_e32 v56, v52
	v_min_u32_e32 v59, 32, v56
	v_subrev_u32_e32 v56, 28, v59
	v_lshlrev_b64 v[56:57], v56, v[38:39]
	v_lshrrev_b32_e32 v58, 3, v40
	v_sub_u32_e32 v57, 29, v59
	v_and_b32_e32 v56, 7, v56
	v_cmp_gt_u32_e32 vcc, 8, v40
	v_cndmask_b32_e32 v40, v58, v57, vcc
	v_cndmask_b32_e32 v52, v52, v56, vcc
	v_lshlrev_b32_e32 v38, 24, v38
	v_bfrev_b32_e32 v56, 60
	v_lshlrev_b32_e32 v52, 20, v52
	v_and_b32_e32 v38, 0x80000000, v38
	v_lshl_add_u32 v40, v40, 23, v56
	v_or3_b32 v56, v38, v40, v52
.LBB608_177:
	s_or_b64 exec, exec, s[10:11]
.LBB608_178:
	s_or_b64 exec, exec, s[8:9]
.LBB608_179:
	s_or_b64 exec, exec, s[2:3]
	v_cmp_ne_u16_sdwa s[8:9], v41, v55 src0_sel:BYTE_0 src1_sel:DWORD
	s_and_saveexec_b64 s[2:3], s[8:9]
	s_cbranch_execz .LBB608_185
; %bb.180:
	s_movk_i32 s8, 0x80
	v_cmp_ne_u16_sdwa s[10:11], v41, s8 src0_sel:BYTE_0 src1_sel:DWORD
	v_bfrev_b32_e32 v55, 1
	s_and_saveexec_b64 s[8:9], s[10:11]
	s_cbranch_execz .LBB608_184
; %bb.181:
	s_movk_i32 s10, 0x7f
	v_and_b32_e32 v38, 0x7f, v41
	v_cmp_ne_u32_e32 vcc, s10, v38
	v_mov_b32_e32 v55, 0x7f800001
	s_and_saveexec_b64 s[10:11], vcc
	s_cbranch_execz .LBB608_183
; %bb.182:
	v_and_b32_e32 v52, 7, v41
	v_ffbh_u32_e32 v57, v52
	v_min_u32_e32 v57, 32, v57
	v_mov_b32_e32 v40, v41
	v_subrev_u32_e32 v58, 28, v57
	v_lshlrev_b64 v[58:59], v58, v[40:41]
	v_lshrrev_b32_e32 v55, 3, v38
	v_sub_u32_e32 v40, 29, v57
	v_and_b32_e32 v57, 7, v58
	v_cmp_gt_u32_e32 vcc, 8, v38
	v_cndmask_b32_e32 v38, v55, v40, vcc
	v_cndmask_b32_e32 v40, v52, v57, vcc
	v_lshlrev_b32_e32 v52, 24, v41
	v_bfrev_b32_e32 v55, 60
	v_lshlrev_b32_e32 v40, 20, v40
	v_and_b32_e32 v52, 0x80000000, v52
	v_lshl_add_u32 v38, v38, 23, v55
	v_or3_b32 v55, v52, v38, v40
.LBB608_183:
	s_or_b64 exec, exec, s[10:11]
.LBB608_184:
	s_or_b64 exec, exec, s[8:9]
.LBB608_185:
	s_or_b64 exec, exec, s[2:3]
	v_lshrrev_b16_e32 v38, 8, v41
	v_cmp_ne_u16_e32 vcc, 0, v38
	v_mov_b32_e32 v40, 0
	v_mov_b32_e32 v57, 0
	s_and_saveexec_b64 s[2:3], vcc
	s_cbranch_execz .LBB608_191
; %bb.186:
	s_movk_i32 s8, 0x80
	v_cmp_ne_u16_e32 vcc, s8, v38
	v_bfrev_b32_e32 v57, 1
	s_and_saveexec_b64 s[8:9], vcc
	s_cbranch_execz .LBB608_190
; %bb.187:
	s_movk_i32 s10, 0x7f
	v_and_b32_e32 v52, 0x7f, v38
	v_cmp_ne_u32_e32 vcc, s10, v52
	v_mov_b32_e32 v57, 0x7f800001
	s_and_saveexec_b64 s[10:11], vcc
	s_cbranch_execz .LBB608_189
; %bb.188:
	v_and_b32_e32 v57, 7, v38
	v_ffbh_u32_e32 v58, v57
	v_min_u32_e32 v61, 32, v58
	v_subrev_u32_e32 v58, 28, v61
	v_lshlrev_b64 v[58:59], v58, v[38:39]
	v_lshrrev_b32_e32 v60, 3, v52
	v_sub_u32_e32 v38, 29, v61
	v_and_b32_e32 v58, 7, v58
	v_cmp_gt_u32_e32 vcc, 8, v52
	v_cndmask_b32_e32 v38, v60, v38, vcc
	v_cndmask_b32_e32 v52, v57, v58, vcc
	v_lshlrev_b32_e32 v57, 16, v41
	v_bfrev_b32_e32 v58, 60
	v_lshlrev_b32_e32 v52, 20, v52
	v_and_b32_e32 v57, 0x80000000, v57
	v_lshl_add_u32 v38, v38, 23, v58
	v_or3_b32 v57, v57, v38, v52
.LBB608_189:
	s_or_b64 exec, exec, s[10:11]
.LBB608_190:
	s_or_b64 exec, exec, s[8:9]
.LBB608_191:
	s_or_b64 exec, exec, s[2:3]
	s_movk_i32 s2, 0xff
	v_and_b32_sdwa v52, v41, s2 dst_sel:DWORD dst_unused:UNUSED_PAD src0_sel:WORD_1 src1_sel:DWORD
	v_lshrrev_b32_e32 v38, 16, v41
	v_cmp_ne_u16_e32 vcc, 0, v52
	s_and_saveexec_b64 s[2:3], vcc
	s_cbranch_execz .LBB608_197
; %bb.192:
	s_movk_i32 s8, 0x80
	v_cmp_ne_u16_e32 vcc, s8, v52
	v_bfrev_b32_e32 v40, 1
	s_and_saveexec_b64 s[8:9], vcc
	s_cbranch_execz .LBB608_196
; %bb.193:
	v_bfe_u32 v52, v41, 16, 7
	s_movk_i32 s10, 0x7f
	v_cmp_ne_u32_e32 vcc, s10, v52
	v_mov_b32_e32 v40, 0x7f800001
	s_and_saveexec_b64 s[10:11], vcc
	s_cbranch_execz .LBB608_195
; %bb.194:
	v_and_b32_e32 v40, 7, v38
	v_ffbh_u32_e32 v58, v40
	v_min_u32_e32 v61, 32, v58
	v_subrev_u32_e32 v58, 28, v61
	v_lshlrev_b64 v[58:59], v58, v[38:39]
	v_lshrrev_b32_e32 v60, 3, v52
	v_sub_u32_e32 v38, 29, v61
	v_and_b32_e32 v58, 7, v58
	v_cmp_gt_u32_e32 vcc, 8, v52
	v_mov_b32_e32 v52, 24
	v_cndmask_b32_e32 v38, v60, v38, vcc
	v_cndmask_b32_e32 v40, v40, v58, vcc
	v_lshlrev_b32_sdwa v52, v52, v41 dst_sel:DWORD dst_unused:UNUSED_PAD src0_sel:DWORD src1_sel:WORD_1
	v_bfrev_b32_e32 v58, 60
	v_lshlrev_b32_e32 v40, 20, v40
	v_and_b32_e32 v52, 0x80000000, v52
	v_lshl_add_u32 v38, v38, 23, v58
	v_or3_b32 v40, v52, v38, v40
.LBB608_195:
	s_or_b64 exec, exec, s[10:11]
.LBB608_196:
	s_or_b64 exec, exec, s[8:9]
.LBB608_197:
	s_or_b64 exec, exec, s[2:3]
	s_mov_b32 s2, 0xffffff
	v_cmp_lt_u32_e32 vcc, s2, v41
	v_mov_b32_e32 v52, 0
	v_mov_b32_e32 v58, 0
	s_and_saveexec_b64 s[2:3], vcc
	s_cbranch_execz .LBB608_203
; %bb.198:
	v_lshrrev_b32_e32 v38, 24, v41
	s_movk_i32 s8, 0x80
	v_cmp_ne_u32_e32 vcc, s8, v38
	v_bfrev_b32_e32 v58, 1
	s_and_saveexec_b64 s[8:9], vcc
	s_cbranch_execz .LBB608_202
; %bb.199:
	v_bfe_u32 v41, v41, 24, 7
	s_movk_i32 s10, 0x7f
	v_cmp_ne_u32_e32 vcc, s10, v41
	v_mov_b32_e32 v58, 0x7f800001
	s_and_saveexec_b64 s[10:11], vcc
	s_cbranch_execz .LBB608_201
; %bb.200:
	v_and_b32_e32 v60, 7, v38
	v_ffbh_u32_e32 v58, v60
	v_min_u32_e32 v62, 32, v58
	v_subrev_u32_e32 v58, 28, v62
	v_lshlrev_b64 v[58:59], v58, v[38:39]
	v_lshrrev_b32_e32 v61, 3, v41
	v_sub_u32_e32 v59, 29, v62
	v_and_b32_e32 v58, 7, v58
	v_cmp_gt_u32_e32 vcc, 8, v41
	v_cndmask_b32_e32 v41, v61, v59, vcc
	v_cndmask_b32_e32 v58, v60, v58, vcc
	v_lshlrev_b32_e32 v38, 24, v38
	v_bfrev_b32_e32 v59, 60
	v_lshlrev_b32_e32 v58, 20, v58
	v_and_b32_e32 v38, 0x80000000, v38
	v_lshl_add_u32 v41, v41, 23, v59
	v_or3_b32 v58, v38, v41, v58
.LBB608_201:
	s_or_b64 exec, exec, s[10:11]
.LBB608_202:
	s_or_b64 exec, exec, s[8:9]
.LBB608_203:
	s_or_b64 exec, exec, s[2:3]
	v_cvt_pkrtz_f16_f32 v38, v53, v54
	v_cvt_pkrtz_f16_f32 v39, v39, v56
	s_waitcnt vmcnt(5)
	v_cmp_ne_u16_sdwa s[8:9], v34, v52 src0_sel:BYTE_0 src1_sel:DWORD
	v_mfma_f32_16x16x16f16 v[42:45], v[38:39], v[18:19], v[42:45]
	v_cvt_pkrtz_f16_f32 v38, v55, v57
	v_cvt_pkrtz_f16_f32 v39, v40, v58
	s_nop 1
	v_mfma_f32_16x16x16f16 v[38:41], v[38:39], v[20:21], v[42:45]
	s_and_saveexec_b64 s[2:3], s[8:9]
	s_cbranch_execz .LBB608_209
; %bb.204:
	s_movk_i32 s8, 0x80
	v_cmp_ne_u16_sdwa s[10:11], v34, s8 src0_sel:BYTE_0 src1_sel:DWORD
	v_bfrev_b32_e32 v52, 1
	s_and_saveexec_b64 s[8:9], s[10:11]
	s_cbranch_execz .LBB608_208
; %bb.205:
	s_movk_i32 s10, 0x7f
	v_and_b32_e32 v42, 0x7f, v34
	v_cmp_ne_u32_e32 vcc, s10, v42
	v_mov_b32_e32 v52, 0x7f800001
	s_and_saveexec_b64 s[10:11], vcc
	s_cbranch_execz .LBB608_207
; %bb.206:
	v_and_b32_e32 v43, 7, v34
	v_ffbh_u32_e32 v44, v43
	v_min_u32_e32 v53, 32, v44
	v_subrev_u32_e32 v44, 28, v53
	v_lshlrev_b64 v[44:45], v44, v[34:35]
	v_lshrrev_b32_e32 v52, 3, v42
	v_sub_u32_e32 v45, 29, v53
	v_and_b32_e32 v44, 7, v44
	v_cmp_gt_u32_e32 vcc, 8, v42
	v_cndmask_b32_e32 v42, v52, v45, vcc
	v_cndmask_b32_e32 v43, v43, v44, vcc
	v_lshlrev_b32_e32 v44, 24, v34
	v_bfrev_b32_e32 v45, 60
	v_lshlrev_b32_e32 v43, 20, v43
	v_and_b32_e32 v44, 0x80000000, v44
	v_lshl_add_u32 v42, v42, 23, v45
	v_or3_b32 v52, v44, v42, v43
.LBB608_207:
	s_or_b64 exec, exec, s[10:11]
.LBB608_208:
	s_or_b64 exec, exec, s[8:9]
.LBB608_209:
	s_or_b64 exec, exec, s[2:3]
	s_nop 3
	v_lshrrev_b16_e32 v42, 8, v34
	v_cmp_ne_u16_e32 vcc, 0, v42
	v_mov_b32_e32 v43, 0
	v_mov_b32_e32 v44, 0
	s_and_saveexec_b64 s[2:3], vcc
	s_cbranch_execz .LBB608_215
; %bb.210:
	s_movk_i32 s8, 0x80
	v_cmp_ne_u16_e32 vcc, s8, v42
	v_bfrev_b32_e32 v44, 1
	s_and_saveexec_b64 s[8:9], vcc
	s_cbranch_execz .LBB608_214
; %bb.211:
	s_movk_i32 s10, 0x7f
	v_and_b32_e32 v45, 0x7f, v42
	v_cmp_ne_u32_e32 vcc, s10, v45
	v_mov_b32_e32 v44, 0x7f800001
	s_and_saveexec_b64 s[10:11], vcc
	s_cbranch_execz .LBB608_213
; %bb.212:
	v_and_b32_e32 v44, 7, v42
	v_ffbh_u32_e32 v54, v44
	v_min_u32_e32 v56, 32, v54
	v_subrev_u32_e32 v54, 28, v56
	v_lshlrev_b64 v[54:55], v54, v[42:43]
	v_lshrrev_b32_e32 v53, 3, v45
	v_sub_u32_e32 v42, 29, v56
	v_and_b32_e32 v54, 7, v54
	v_cmp_gt_u32_e32 vcc, 8, v45
	v_cndmask_b32_e32 v42, v53, v42, vcc
	v_cndmask_b32_e32 v44, v44, v54, vcc
	v_lshlrev_b32_e32 v45, 16, v34
	v_bfrev_b32_e32 v53, 60
	v_lshlrev_b32_e32 v44, 20, v44
	v_and_b32_e32 v45, 0x80000000, v45
	v_lshl_add_u32 v42, v42, 23, v53
	v_or3_b32 v44, v45, v42, v44
.LBB608_213:
	s_or_b64 exec, exec, s[10:11]
.LBB608_214:
	s_or_b64 exec, exec, s[8:9]
.LBB608_215:
	s_or_b64 exec, exec, s[2:3]
	s_movk_i32 s2, 0xff
	v_and_b32_sdwa v45, v34, s2 dst_sel:DWORD dst_unused:UNUSED_PAD src0_sel:WORD_1 src1_sel:DWORD
	v_lshrrev_b32_e32 v42, 16, v34
	v_cmp_ne_u16_e32 vcc, 0, v45
	s_and_saveexec_b64 s[2:3], vcc
	s_cbranch_execz .LBB608_221
; %bb.216:
	s_movk_i32 s8, 0x80
	v_cmp_ne_u16_e32 vcc, s8, v45
	v_bfrev_b32_e32 v43, 1
	s_and_saveexec_b64 s[8:9], vcc
	s_cbranch_execz .LBB608_220
; %bb.217:
	v_bfe_u32 v45, v34, 16, 7
	s_movk_i32 s10, 0x7f
	v_cmp_ne_u32_e32 vcc, s10, v45
	v_mov_b32_e32 v43, 0x7f800001
	s_and_saveexec_b64 s[10:11], vcc
	s_cbranch_execz .LBB608_219
; %bb.218:
	v_and_b32_e32 v53, 7, v42
	v_ffbh_u32_e32 v43, v53
	v_min_u32_e32 v55, 32, v43
	v_subrev_u32_e32 v43, 28, v55
	v_lshlrev_b64 v[42:43], v43, v[42:43]
	v_lshrrev_b32_e32 v54, 3, v45
	v_sub_u32_e32 v43, 29, v55
	v_and_b32_e32 v42, 7, v42
	v_cmp_gt_u32_e32 vcc, 8, v45
	v_mov_b32_e32 v45, 24
	v_cndmask_b32_e32 v43, v54, v43, vcc
	v_cndmask_b32_e32 v42, v53, v42, vcc
	v_lshlrev_b32_sdwa v45, v45, v34 dst_sel:DWORD dst_unused:UNUSED_PAD src0_sel:DWORD src1_sel:WORD_1
	v_bfrev_b32_e32 v53, 60
	v_lshlrev_b32_e32 v42, 20, v42
	v_and_b32_e32 v45, 0x80000000, v45
	v_lshl_add_u32 v43, v43, 23, v53
	v_or3_b32 v43, v45, v43, v42
.LBB608_219:
	s_or_b64 exec, exec, s[10:11]
.LBB608_220:
	s_or_b64 exec, exec, s[8:9]
.LBB608_221:
	s_or_b64 exec, exec, s[2:3]
	s_mov_b32 s2, 0xffffff
	v_cmp_lt_u32_e32 vcc, s2, v34
	v_mov_b32_e32 v45, 0
	v_mov_b32_e32 v54, 0
	s_and_saveexec_b64 s[2:3], vcc
	s_cbranch_execz .LBB608_227
; %bb.222:
	v_lshrrev_b32_e32 v42, 24, v34
	s_movk_i32 s8, 0x80
	v_cmp_ne_u32_e32 vcc, s8, v42
	v_bfrev_b32_e32 v54, 1
	s_and_saveexec_b64 s[8:9], vcc
	s_cbranch_execz .LBB608_226
; %bb.223:
	v_bfe_u32 v34, v34, 24, 7
	s_movk_i32 s10, 0x7f
	v_cmp_ne_u32_e32 vcc, s10, v34
	v_mov_b32_e32 v54, 0x7f800001
	s_and_saveexec_b64 s[10:11], vcc
	s_cbranch_execz .LBB608_225
; %bb.224:
	v_and_b32_e32 v53, 7, v42
	v_ffbh_u32_e32 v54, v53
	v_min_u32_e32 v57, 32, v54
	v_subrev_u32_e32 v54, 28, v57
	v_lshlrev_b64 v[54:55], v54, v[42:43]
	v_lshrrev_b32_e32 v56, 3, v34
	v_sub_u32_e32 v55, 29, v57
	v_and_b32_e32 v54, 7, v54
	v_cmp_gt_u32_e32 vcc, 8, v34
	v_cndmask_b32_e32 v34, v56, v55, vcc
	v_cndmask_b32_e32 v53, v53, v54, vcc
	v_lshlrev_b32_e32 v42, 24, v42
	v_bfrev_b32_e32 v54, 60
	v_lshlrev_b32_e32 v53, 20, v53
	v_and_b32_e32 v42, 0x80000000, v42
	v_lshl_add_u32 v34, v34, 23, v54
	v_or3_b32 v54, v42, v34, v53
.LBB608_225:
	s_or_b64 exec, exec, s[10:11]
.LBB608_226:
	s_or_b64 exec, exec, s[8:9]
.LBB608_227:
	s_or_b64 exec, exec, s[2:3]
	v_cmp_ne_u16_sdwa s[8:9], v35, v45 src0_sel:BYTE_0 src1_sel:DWORD
	s_and_saveexec_b64 s[2:3], s[8:9]
	s_cbranch_execz .LBB608_233
; %bb.228:
	s_movk_i32 s8, 0x80
	v_cmp_ne_u16_sdwa s[10:11], v35, s8 src0_sel:BYTE_0 src1_sel:DWORD
	v_bfrev_b32_e32 v45, 1
	s_and_saveexec_b64 s[8:9], s[10:11]
	s_cbranch_execz .LBB608_232
; %bb.229:
	s_movk_i32 s10, 0x7f
	v_and_b32_e32 v34, 0x7f, v35
	v_cmp_ne_u32_e32 vcc, s10, v34
	v_mov_b32_e32 v45, 0x7f800001
	s_and_saveexec_b64 s[10:11], vcc
	s_cbranch_execz .LBB608_231
; %bb.230:
	v_and_b32_e32 v45, 7, v35
	v_ffbh_u32_e32 v55, v45
	v_min_u32_e32 v55, 32, v55
	v_mov_b32_e32 v42, v35
	v_subrev_u32_e32 v56, 28, v55
	v_lshlrev_b64 v[56:57], v56, v[42:43]
	v_lshrrev_b32_e32 v53, 3, v34
	v_sub_u32_e32 v42, 29, v55
	v_and_b32_e32 v55, 7, v56
	v_cmp_gt_u32_e32 vcc, 8, v34
	v_cndmask_b32_e32 v34, v53, v42, vcc
	v_cndmask_b32_e32 v42, v45, v55, vcc
	v_lshlrev_b32_e32 v45, 24, v35
	v_bfrev_b32_e32 v53, 60
	v_lshlrev_b32_e32 v42, 20, v42
	v_and_b32_e32 v45, 0x80000000, v45
	v_lshl_add_u32 v34, v34, 23, v53
	v_or3_b32 v45, v45, v34, v42
.LBB608_231:
	s_or_b64 exec, exec, s[10:11]
.LBB608_232:
	s_or_b64 exec, exec, s[8:9]
.LBB608_233:
	s_or_b64 exec, exec, s[2:3]
	v_lshrrev_b16_e32 v34, 8, v35
	v_cmp_ne_u16_e32 vcc, 0, v34
	v_mov_b32_e32 v42, 0
	v_mov_b32_e32 v55, 0
	s_and_saveexec_b64 s[2:3], vcc
	s_cbranch_execz .LBB608_239
; %bb.234:
	s_movk_i32 s8, 0x80
	v_cmp_ne_u16_e32 vcc, s8, v34
	v_bfrev_b32_e32 v55, 1
	s_and_saveexec_b64 s[8:9], vcc
	s_cbranch_execz .LBB608_238
; %bb.235:
	s_movk_i32 s10, 0x7f
	v_and_b32_e32 v53, 0x7f, v34
	v_cmp_ne_u32_e32 vcc, s10, v53
	v_mov_b32_e32 v55, 0x7f800001
	s_and_saveexec_b64 s[10:11], vcc
	s_cbranch_execz .LBB608_237
; %bb.236:
	v_and_b32_e32 v55, 7, v34
	v_ffbh_u32_e32 v56, v55
	v_min_u32_e32 v59, 32, v56
	v_subrev_u32_e32 v56, 28, v59
	v_lshlrev_b64 v[56:57], v56, v[34:35]
	v_lshrrev_b32_e32 v58, 3, v53
	v_sub_u32_e32 v34, 29, v59
	v_and_b32_e32 v56, 7, v56
	v_cmp_gt_u32_e32 vcc, 8, v53
	v_cndmask_b32_e32 v34, v58, v34, vcc
	v_cndmask_b32_e32 v53, v55, v56, vcc
	v_lshlrev_b32_e32 v55, 16, v35
	v_bfrev_b32_e32 v56, 60
	v_lshlrev_b32_e32 v53, 20, v53
	v_and_b32_e32 v55, 0x80000000, v55
	v_lshl_add_u32 v34, v34, 23, v56
	v_or3_b32 v55, v55, v34, v53
.LBB608_237:
	s_or_b64 exec, exec, s[10:11]
.LBB608_238:
	s_or_b64 exec, exec, s[8:9]
.LBB608_239:
	s_or_b64 exec, exec, s[2:3]
	s_movk_i32 s2, 0xff
	v_and_b32_sdwa v53, v35, s2 dst_sel:DWORD dst_unused:UNUSED_PAD src0_sel:WORD_1 src1_sel:DWORD
	v_lshrrev_b32_e32 v34, 16, v35
	v_cmp_ne_u16_e32 vcc, 0, v53
	s_and_saveexec_b64 s[2:3], vcc
	s_cbranch_execz .LBB608_245
; %bb.240:
	s_movk_i32 s8, 0x80
	v_cmp_ne_u16_e32 vcc, s8, v53
	v_bfrev_b32_e32 v42, 1
	s_and_saveexec_b64 s[8:9], vcc
	s_cbranch_execz .LBB608_244
; %bb.241:
	v_bfe_u32 v53, v35, 16, 7
	s_movk_i32 s10, 0x7f
	v_cmp_ne_u32_e32 vcc, s10, v53
	v_mov_b32_e32 v42, 0x7f800001
	s_and_saveexec_b64 s[10:11], vcc
	s_cbranch_execz .LBB608_243
; %bb.242:
	v_and_b32_e32 v42, 7, v34
	v_ffbh_u32_e32 v56, v42
	v_min_u32_e32 v59, 32, v56
	v_subrev_u32_e32 v56, 28, v59
	v_lshlrev_b64 v[56:57], v56, v[34:35]
	v_lshrrev_b32_e32 v58, 3, v53
	v_sub_u32_e32 v34, 29, v59
	v_and_b32_e32 v56, 7, v56
	v_cmp_gt_u32_e32 vcc, 8, v53
	v_mov_b32_e32 v53, 24
	v_cndmask_b32_e32 v34, v58, v34, vcc
	v_cndmask_b32_e32 v42, v42, v56, vcc
	v_lshlrev_b32_sdwa v53, v53, v35 dst_sel:DWORD dst_unused:UNUSED_PAD src0_sel:DWORD src1_sel:WORD_1
	v_bfrev_b32_e32 v56, 60
	v_lshlrev_b32_e32 v42, 20, v42
	v_and_b32_e32 v53, 0x80000000, v53
	v_lshl_add_u32 v34, v34, 23, v56
	v_or3_b32 v42, v53, v34, v42
.LBB608_243:
	s_or_b64 exec, exec, s[10:11]
.LBB608_244:
	s_or_b64 exec, exec, s[8:9]
.LBB608_245:
	s_or_b64 exec, exec, s[2:3]
	s_mov_b32 s2, 0xffffff
	v_cmp_lt_u32_e32 vcc, s2, v35
	v_mov_b32_e32 v53, 0
	v_mov_b32_e32 v56, 0
	s_and_saveexec_b64 s[2:3], vcc
	s_cbranch_execz .LBB608_251
; %bb.246:
	v_lshrrev_b32_e32 v34, 24, v35
	s_movk_i32 s8, 0x80
	v_cmp_ne_u32_e32 vcc, s8, v34
	v_bfrev_b32_e32 v56, 1
	s_and_saveexec_b64 s[8:9], vcc
	s_cbranch_execz .LBB608_250
; %bb.247:
	v_bfe_u32 v35, v35, 24, 7
	s_movk_i32 s10, 0x7f
	v_cmp_ne_u32_e32 vcc, s10, v35
	v_mov_b32_e32 v56, 0x7f800001
	s_and_saveexec_b64 s[10:11], vcc
	s_cbranch_execz .LBB608_249
; %bb.248:
	v_and_b32_e32 v58, 7, v34
	v_ffbh_u32_e32 v56, v58
	v_min_u32_e32 v60, 32, v56
	v_subrev_u32_e32 v56, 28, v60
	v_lshlrev_b64 v[56:57], v56, v[34:35]
	v_lshrrev_b32_e32 v59, 3, v35
	v_sub_u32_e32 v57, 29, v60
	v_and_b32_e32 v56, 7, v56
	v_cmp_gt_u32_e32 vcc, 8, v35
	v_cndmask_b32_e32 v35, v59, v57, vcc
	v_cndmask_b32_e32 v56, v58, v56, vcc
	v_lshlrev_b32_e32 v34, 24, v34
	v_bfrev_b32_e32 v57, 60
	v_lshlrev_b32_e32 v56, 20, v56
	v_and_b32_e32 v34, 0x80000000, v34
	v_lshl_add_u32 v35, v35, 23, v57
	v_or3_b32 v56, v34, v35, v56
.LBB608_249:
	s_or_b64 exec, exec, s[10:11]
.LBB608_250:
	s_or_b64 exec, exec, s[8:9]
.LBB608_251:
	s_or_b64 exec, exec, s[2:3]
	v_cvt_pkrtz_f16_f32 v34, v52, v44
	v_cvt_pkrtz_f16_f32 v35, v43, v54
	v_cmp_ne_u16_sdwa s[8:9], v36, v53 src0_sel:BYTE_0 src1_sel:DWORD
	s_nop 0
	v_mfma_f32_16x16x16f16 v[58:61], v[34:35], v[26:27], 0
	v_cvt_pkrtz_f16_f32 v34, v45, v55
	v_cvt_pkrtz_f16_f32 v35, v42, v56
	s_nop 1
	v_mfma_f32_16x16x16f16 v[42:45], v[34:35], v[28:29], v[58:61]
	s_and_saveexec_b64 s[2:3], s[8:9]
	s_cbranch_execz .LBB608_257
; %bb.252:
	s_movk_i32 s8, 0x80
	v_cmp_ne_u16_sdwa s[10:11], v36, s8 src0_sel:BYTE_0 src1_sel:DWORD
	v_bfrev_b32_e32 v53, 1
	s_and_saveexec_b64 s[8:9], s[10:11]
	s_cbranch_execz .LBB608_256
; %bb.253:
	s_movk_i32 s10, 0x7f
	v_and_b32_e32 v34, 0x7f, v36
	v_cmp_ne_u32_e32 vcc, s10, v34
	v_mov_b32_e32 v53, 0x7f800001
	s_and_saveexec_b64 s[10:11], vcc
	s_cbranch_execz .LBB608_255
; %bb.254:
	v_and_b32_e32 v35, 7, v36
	v_ffbh_u32_e32 v52, v35
	v_min_u32_e32 v55, 32, v52
	v_subrev_u32_e32 v52, 28, v55
	v_lshlrev_b64 v[52:53], v52, v[36:37]
	v_lshrrev_b32_e32 v54, 3, v34
	v_sub_u32_e32 v53, 29, v55
	v_and_b32_e32 v52, 7, v52
	v_cmp_gt_u32_e32 vcc, 8, v34
	v_cndmask_b32_e32 v34, v54, v53, vcc
	v_cndmask_b32_e32 v35, v35, v52, vcc
	v_lshlrev_b32_e32 v52, 24, v36
	v_bfrev_b32_e32 v53, 60
	v_lshlrev_b32_e32 v35, 20, v35
	v_and_b32_e32 v52, 0x80000000, v52
	v_lshl_add_u32 v34, v34, 23, v53
	v_or3_b32 v53, v52, v34, v35
.LBB608_255:
	s_or_b64 exec, exec, s[10:11]
.LBB608_256:
	s_or_b64 exec, exec, s[8:9]
.LBB608_257:
	s_or_b64 exec, exec, s[2:3]
	v_lshrrev_b16_e32 v34, 8, v36
	v_cmp_ne_u16_e32 vcc, 0, v34
	v_mov_b32_e32 v35, 0
	v_mov_b32_e32 v54, 0
	s_and_saveexec_b64 s[2:3], vcc
	s_cbranch_execz .LBB608_263
; %bb.258:
	s_movk_i32 s8, 0x80
	v_cmp_ne_u16_e32 vcc, s8, v34
	v_bfrev_b32_e32 v54, 1
	s_and_saveexec_b64 s[8:9], vcc
	s_cbranch_execz .LBB608_262
; %bb.259:
	s_movk_i32 s10, 0x7f
	v_and_b32_e32 v52, 0x7f, v34
	v_cmp_ne_u32_e32 vcc, s10, v52
	v_mov_b32_e32 v54, 0x7f800001
	s_and_saveexec_b64 s[10:11], vcc
	s_cbranch_execz .LBB608_261
; %bb.260:
	v_and_b32_e32 v56, 7, v34
	v_ffbh_u32_e32 v54, v56
	v_min_u32_e32 v58, 32, v54
	v_subrev_u32_e32 v54, 28, v58
	v_lshlrev_b64 v[54:55], v54, v[34:35]
	v_lshrrev_b32_e32 v57, 3, v52
	v_sub_u32_e32 v34, 29, v58
	v_and_b32_e32 v54, 7, v54
	v_cmp_gt_u32_e32 vcc, 8, v52
	v_cndmask_b32_e32 v34, v57, v34, vcc
	v_cndmask_b32_e32 v52, v56, v54, vcc
	v_lshlrev_b32_e32 v54, 16, v36
	v_bfrev_b32_e32 v55, 60
	v_lshlrev_b32_e32 v52, 20, v52
	v_and_b32_e32 v54, 0x80000000, v54
	v_lshl_add_u32 v34, v34, 23, v55
	v_or3_b32 v54, v54, v34, v52
.LBB608_261:
	s_or_b64 exec, exec, s[10:11]
.LBB608_262:
	s_or_b64 exec, exec, s[8:9]
.LBB608_263:
	s_or_b64 exec, exec, s[2:3]
	s_movk_i32 s2, 0xff
	v_and_b32_sdwa v52, v36, s2 dst_sel:DWORD dst_unused:UNUSED_PAD src0_sel:WORD_1 src1_sel:DWORD
	v_lshrrev_b32_e32 v34, 16, v36
	v_cmp_ne_u16_e32 vcc, 0, v52
	s_and_saveexec_b64 s[2:3], vcc
	s_cbranch_execz .LBB608_269
; %bb.264:
	s_movk_i32 s8, 0x80
	v_cmp_ne_u16_e32 vcc, s8, v52
	v_bfrev_b32_e32 v35, 1
	s_and_saveexec_b64 s[8:9], vcc
	s_cbranch_execz .LBB608_268
; %bb.265:
	v_bfe_u32 v52, v36, 16, 7
	s_movk_i32 s10, 0x7f
	v_cmp_ne_u32_e32 vcc, s10, v52
	v_mov_b32_e32 v35, 0x7f800001
	s_and_saveexec_b64 s[10:11], vcc
	s_cbranch_execz .LBB608_267
; %bb.266:
	v_and_b32_e32 v55, 7, v34
	v_ffbh_u32_e32 v35, v55
	v_min_u32_e32 v57, 32, v35
	v_subrev_u32_e32 v35, 28, v57
	v_lshlrev_b64 v[34:35], v35, v[34:35]
	v_lshrrev_b32_e32 v56, 3, v52
	v_sub_u32_e32 v35, 29, v57
	v_and_b32_e32 v34, 7, v34
	v_cmp_gt_u32_e32 vcc, 8, v52
	v_mov_b32_e32 v52, 24
	v_cndmask_b32_e32 v35, v56, v35, vcc
	v_cndmask_b32_e32 v34, v55, v34, vcc
	v_lshlrev_b32_sdwa v52, v52, v36 dst_sel:DWORD dst_unused:UNUSED_PAD src0_sel:DWORD src1_sel:WORD_1
	v_bfrev_b32_e32 v55, 60
	v_lshlrev_b32_e32 v34, 20, v34
	v_and_b32_e32 v52, 0x80000000, v52
	v_lshl_add_u32 v35, v35, 23, v55
	v_or3_b32 v35, v52, v35, v34
.LBB608_267:
	s_or_b64 exec, exec, s[10:11]
.LBB608_268:
	s_or_b64 exec, exec, s[8:9]
.LBB608_269:
	s_or_b64 exec, exec, s[2:3]
	s_mov_b32 s2, 0xffffff
	v_cmp_lt_u32_e32 vcc, s2, v36
	v_mov_b32_e32 v55, 0
	v_mov_b32_e32 v56, 0
	s_and_saveexec_b64 s[2:3], vcc
	s_cbranch_execz .LBB608_275
; %bb.270:
	v_lshrrev_b32_e32 v34, 24, v36
	s_movk_i32 s8, 0x80
	v_cmp_ne_u32_e32 vcc, s8, v34
	v_bfrev_b32_e32 v56, 1
	s_and_saveexec_b64 s[8:9], vcc
	s_cbranch_execz .LBB608_274
; %bb.271:
	v_bfe_u32 v36, v36, 24, 7
	s_movk_i32 s10, 0x7f
	v_cmp_ne_u32_e32 vcc, s10, v36
	v_mov_b32_e32 v56, 0x7f800001
	s_and_saveexec_b64 s[10:11], vcc
	s_cbranch_execz .LBB608_273
; %bb.272:
	v_and_b32_e32 v52, 7, v34
	v_ffbh_u32_e32 v56, v52
	v_min_u32_e32 v59, 32, v56
	v_subrev_u32_e32 v56, 28, v59
	v_lshlrev_b64 v[56:57], v56, v[34:35]
	v_lshrrev_b32_e32 v58, 3, v36
	v_sub_u32_e32 v57, 29, v59
	v_and_b32_e32 v56, 7, v56
	v_cmp_gt_u32_e32 vcc, 8, v36
	v_cndmask_b32_e32 v36, v58, v57, vcc
	v_cndmask_b32_e32 v52, v52, v56, vcc
	v_lshlrev_b32_e32 v34, 24, v34
	v_bfrev_b32_e32 v56, 60
	v_lshlrev_b32_e32 v52, 20, v52
	v_and_b32_e32 v34, 0x80000000, v34
	v_lshl_add_u32 v36, v36, 23, v56
	v_or3_b32 v56, v34, v36, v52
.LBB608_273:
	s_or_b64 exec, exec, s[10:11]
.LBB608_274:
	s_or_b64 exec, exec, s[8:9]
.LBB608_275:
	s_or_b64 exec, exec, s[2:3]
	v_cmp_ne_u16_sdwa s[8:9], v37, v55 src0_sel:BYTE_0 src1_sel:DWORD
	s_and_saveexec_b64 s[2:3], s[8:9]
	s_cbranch_execz .LBB608_281
; %bb.276:
	s_movk_i32 s8, 0x80
	v_cmp_ne_u16_sdwa s[10:11], v37, s8 src0_sel:BYTE_0 src1_sel:DWORD
	v_bfrev_b32_e32 v55, 1
	s_and_saveexec_b64 s[8:9], s[10:11]
	s_cbranch_execz .LBB608_280
; %bb.277:
	s_movk_i32 s10, 0x7f
	v_and_b32_e32 v34, 0x7f, v37
	v_cmp_ne_u32_e32 vcc, s10, v34
	v_mov_b32_e32 v55, 0x7f800001
	s_and_saveexec_b64 s[10:11], vcc
	s_cbranch_execz .LBB608_279
; %bb.278:
	v_and_b32_e32 v52, 7, v37
	v_ffbh_u32_e32 v57, v52
	v_min_u32_e32 v57, 32, v57
	v_mov_b32_e32 v36, v37
	v_subrev_u32_e32 v58, 28, v57
	v_lshlrev_b64 v[58:59], v58, v[36:37]
	v_lshrrev_b32_e32 v55, 3, v34
	v_sub_u32_e32 v36, 29, v57
	v_and_b32_e32 v57, 7, v58
	v_cmp_gt_u32_e32 vcc, 8, v34
	v_cndmask_b32_e32 v34, v55, v36, vcc
	v_cndmask_b32_e32 v36, v52, v57, vcc
	v_lshlrev_b32_e32 v52, 24, v37
	v_bfrev_b32_e32 v55, 60
	v_lshlrev_b32_e32 v36, 20, v36
	v_and_b32_e32 v52, 0x80000000, v52
	v_lshl_add_u32 v34, v34, 23, v55
	v_or3_b32 v55, v52, v34, v36
.LBB608_279:
	s_or_b64 exec, exec, s[10:11]
.LBB608_280:
	s_or_b64 exec, exec, s[8:9]
.LBB608_281:
	s_or_b64 exec, exec, s[2:3]
	v_lshrrev_b16_e32 v34, 8, v37
	v_cmp_ne_u16_e32 vcc, 0, v34
	v_mov_b32_e32 v36, 0
	v_mov_b32_e32 v57, 0
	s_and_saveexec_b64 s[2:3], vcc
	s_cbranch_execz .LBB608_287
; %bb.282:
	s_movk_i32 s8, 0x80
	v_cmp_ne_u16_e32 vcc, s8, v34
	v_bfrev_b32_e32 v57, 1
	s_and_saveexec_b64 s[8:9], vcc
	s_cbranch_execz .LBB608_286
; %bb.283:
	s_movk_i32 s10, 0x7f
	v_and_b32_e32 v52, 0x7f, v34
	v_cmp_ne_u32_e32 vcc, s10, v52
	v_mov_b32_e32 v57, 0x7f800001
	s_and_saveexec_b64 s[10:11], vcc
	s_cbranch_execz .LBB608_285
; %bb.284:
	v_and_b32_e32 v57, 7, v34
	v_ffbh_u32_e32 v58, v57
	v_min_u32_e32 v61, 32, v58
	v_subrev_u32_e32 v58, 28, v61
	v_lshlrev_b64 v[58:59], v58, v[34:35]
	v_lshrrev_b32_e32 v60, 3, v52
	v_sub_u32_e32 v34, 29, v61
	v_and_b32_e32 v58, 7, v58
	v_cmp_gt_u32_e32 vcc, 8, v52
	v_cndmask_b32_e32 v34, v60, v34, vcc
	v_cndmask_b32_e32 v52, v57, v58, vcc
	v_lshlrev_b32_e32 v57, 16, v37
	v_bfrev_b32_e32 v58, 60
	v_lshlrev_b32_e32 v52, 20, v52
	v_and_b32_e32 v57, 0x80000000, v57
	v_lshl_add_u32 v34, v34, 23, v58
	v_or3_b32 v57, v57, v34, v52
.LBB608_285:
	s_or_b64 exec, exec, s[10:11]
.LBB608_286:
	s_or_b64 exec, exec, s[8:9]
.LBB608_287:
	s_or_b64 exec, exec, s[2:3]
	s_movk_i32 s2, 0xff
	v_and_b32_sdwa v52, v37, s2 dst_sel:DWORD dst_unused:UNUSED_PAD src0_sel:WORD_1 src1_sel:DWORD
	v_lshrrev_b32_e32 v34, 16, v37
	v_cmp_ne_u16_e32 vcc, 0, v52
	s_and_saveexec_b64 s[2:3], vcc
	s_cbranch_execz .LBB608_293
; %bb.288:
	s_movk_i32 s8, 0x80
	v_cmp_ne_u16_e32 vcc, s8, v52
	v_bfrev_b32_e32 v36, 1
	s_and_saveexec_b64 s[8:9], vcc
	s_cbranch_execz .LBB608_292
; %bb.289:
	v_bfe_u32 v52, v37, 16, 7
	s_movk_i32 s10, 0x7f
	v_cmp_ne_u32_e32 vcc, s10, v52
	v_mov_b32_e32 v36, 0x7f800001
	s_and_saveexec_b64 s[10:11], vcc
	s_cbranch_execz .LBB608_291
; %bb.290:
	v_and_b32_e32 v36, 7, v34
	v_ffbh_u32_e32 v58, v36
	v_min_u32_e32 v61, 32, v58
	v_subrev_u32_e32 v58, 28, v61
	v_lshlrev_b64 v[58:59], v58, v[34:35]
	v_lshrrev_b32_e32 v60, 3, v52
	v_sub_u32_e32 v34, 29, v61
	v_and_b32_e32 v58, 7, v58
	v_cmp_gt_u32_e32 vcc, 8, v52
	v_mov_b32_e32 v52, 24
	v_cndmask_b32_e32 v34, v60, v34, vcc
	v_cndmask_b32_e32 v36, v36, v58, vcc
	v_lshlrev_b32_sdwa v52, v52, v37 dst_sel:DWORD dst_unused:UNUSED_PAD src0_sel:DWORD src1_sel:WORD_1
	v_bfrev_b32_e32 v58, 60
	v_lshlrev_b32_e32 v36, 20, v36
	v_and_b32_e32 v52, 0x80000000, v52
	v_lshl_add_u32 v34, v34, 23, v58
	v_or3_b32 v36, v52, v34, v36
.LBB608_291:
	s_or_b64 exec, exec, s[10:11]
.LBB608_292:
	s_or_b64 exec, exec, s[8:9]
.LBB608_293:
	s_or_b64 exec, exec, s[2:3]
	s_mov_b32 s2, 0xffffff
	v_cmp_lt_u32_e32 vcc, s2, v37
	v_mov_b32_e32 v52, 0
	v_mov_b32_e32 v58, 0
	s_and_saveexec_b64 s[2:3], vcc
	s_cbranch_execz .LBB608_299
; %bb.294:
	v_lshrrev_b32_e32 v34, 24, v37
	s_movk_i32 s8, 0x80
	v_cmp_ne_u32_e32 vcc, s8, v34
	v_bfrev_b32_e32 v58, 1
	s_and_saveexec_b64 s[8:9], vcc
	s_cbranch_execz .LBB608_298
; %bb.295:
	v_bfe_u32 v37, v37, 24, 7
	s_movk_i32 s10, 0x7f
	v_cmp_ne_u32_e32 vcc, s10, v37
	v_mov_b32_e32 v58, 0x7f800001
	s_and_saveexec_b64 s[10:11], vcc
	s_cbranch_execz .LBB608_297
; %bb.296:
	v_and_b32_e32 v60, 7, v34
	v_ffbh_u32_e32 v58, v60
	v_min_u32_e32 v62, 32, v58
	v_subrev_u32_e32 v58, 28, v62
	v_lshlrev_b64 v[58:59], v58, v[34:35]
	v_lshrrev_b32_e32 v61, 3, v37
	v_sub_u32_e32 v59, 29, v62
	v_and_b32_e32 v58, 7, v58
	v_cmp_gt_u32_e32 vcc, 8, v37
	v_cndmask_b32_e32 v37, v61, v59, vcc
	v_cndmask_b32_e32 v58, v60, v58, vcc
	v_lshlrev_b32_e32 v34, 24, v34
	v_bfrev_b32_e32 v59, 60
	v_lshlrev_b32_e32 v58, 20, v58
	v_and_b32_e32 v34, 0x80000000, v34
	v_lshl_add_u32 v37, v37, 23, v59
	v_or3_b32 v58, v34, v37, v58
.LBB608_297:
	s_or_b64 exec, exec, s[10:11]
.LBB608_298:
	s_or_b64 exec, exec, s[8:9]
.LBB608_299:
	s_or_b64 exec, exec, s[2:3]
	v_cvt_pkrtz_f16_f32 v34, v53, v54
	v_cvt_pkrtz_f16_f32 v35, v35, v56
	s_waitcnt vmcnt(4)
	v_cmp_ne_u16_sdwa s[8:9], v22, v52 src0_sel:BYTE_0 src1_sel:DWORD
	v_mfma_f32_16x16x16f16 v[42:45], v[34:35], v[18:19], v[42:45]
	v_cvt_pkrtz_f16_f32 v34, v55, v57
	v_cvt_pkrtz_f16_f32 v35, v36, v58
	s_nop 1
	v_mfma_f32_16x16x16f16 v[34:37], v[34:35], v[20:21], v[42:45]
	s_and_saveexec_b64 s[2:3], s[8:9]
	s_cbranch_execz .LBB608_305
; %bb.300:
	s_movk_i32 s8, 0x80
	v_cmp_ne_u16_sdwa s[10:11], v22, s8 src0_sel:BYTE_0 src1_sel:DWORD
	v_bfrev_b32_e32 v52, 1
	s_and_saveexec_b64 s[8:9], s[10:11]
	s_cbranch_execz .LBB608_304
; %bb.301:
	s_movk_i32 s10, 0x7f
	v_and_b32_e32 v42, 0x7f, v22
	v_cmp_ne_u32_e32 vcc, s10, v42
	v_mov_b32_e32 v52, 0x7f800001
	s_and_saveexec_b64 s[10:11], vcc
	s_cbranch_execz .LBB608_303
; %bb.302:
	v_and_b32_e32 v43, 7, v22
	v_ffbh_u32_e32 v44, v43
	v_min_u32_e32 v53, 32, v44
	v_subrev_u32_e32 v44, 28, v53
	v_lshlrev_b64 v[44:45], v44, v[22:23]
	v_lshrrev_b32_e32 v52, 3, v42
	v_sub_u32_e32 v45, 29, v53
	v_and_b32_e32 v44, 7, v44
	v_cmp_gt_u32_e32 vcc, 8, v42
	v_cndmask_b32_e32 v42, v52, v45, vcc
	v_cndmask_b32_e32 v43, v43, v44, vcc
	v_lshlrev_b32_e32 v44, 24, v22
	v_bfrev_b32_e32 v45, 60
	v_lshlrev_b32_e32 v43, 20, v43
	v_and_b32_e32 v44, 0x80000000, v44
	v_lshl_add_u32 v42, v42, 23, v45
	v_or3_b32 v52, v44, v42, v43
.LBB608_303:
	s_or_b64 exec, exec, s[10:11]
.LBB608_304:
	s_or_b64 exec, exec, s[8:9]
.LBB608_305:
	s_or_b64 exec, exec, s[2:3]
	s_nop 3
	v_lshrrev_b16_e32 v42, 8, v22
	v_cmp_ne_u16_e32 vcc, 0, v42
	v_mov_b32_e32 v43, 0
	v_mov_b32_e32 v44, 0
	s_and_saveexec_b64 s[2:3], vcc
	s_cbranch_execz .LBB608_311
; %bb.306:
	s_movk_i32 s8, 0x80
	v_cmp_ne_u16_e32 vcc, s8, v42
	v_bfrev_b32_e32 v44, 1
	s_and_saveexec_b64 s[8:9], vcc
	s_cbranch_execz .LBB608_310
; %bb.307:
	s_movk_i32 s10, 0x7f
	v_and_b32_e32 v45, 0x7f, v42
	v_cmp_ne_u32_e32 vcc, s10, v45
	v_mov_b32_e32 v44, 0x7f800001
	s_and_saveexec_b64 s[10:11], vcc
	s_cbranch_execz .LBB608_309
; %bb.308:
	v_and_b32_e32 v44, 7, v42
	v_ffbh_u32_e32 v54, v44
	v_min_u32_e32 v56, 32, v54
	v_subrev_u32_e32 v54, 28, v56
	v_lshlrev_b64 v[54:55], v54, v[42:43]
	v_lshrrev_b32_e32 v53, 3, v45
	v_sub_u32_e32 v42, 29, v56
	v_and_b32_e32 v54, 7, v54
	v_cmp_gt_u32_e32 vcc, 8, v45
	v_cndmask_b32_e32 v42, v53, v42, vcc
	v_cndmask_b32_e32 v44, v44, v54, vcc
	v_lshlrev_b32_e32 v45, 16, v22
	v_bfrev_b32_e32 v53, 60
	v_lshlrev_b32_e32 v44, 20, v44
	v_and_b32_e32 v45, 0x80000000, v45
	v_lshl_add_u32 v42, v42, 23, v53
	v_or3_b32 v44, v45, v42, v44
.LBB608_309:
	s_or_b64 exec, exec, s[10:11]
.LBB608_310:
	s_or_b64 exec, exec, s[8:9]
.LBB608_311:
	s_or_b64 exec, exec, s[2:3]
	s_movk_i32 s2, 0xff
	v_and_b32_sdwa v45, v22, s2 dst_sel:DWORD dst_unused:UNUSED_PAD src0_sel:WORD_1 src1_sel:DWORD
	v_lshrrev_b32_e32 v42, 16, v22
	v_cmp_ne_u16_e32 vcc, 0, v45
	s_and_saveexec_b64 s[2:3], vcc
	s_cbranch_execz .LBB608_317
; %bb.312:
	s_movk_i32 s8, 0x80
	v_cmp_ne_u16_e32 vcc, s8, v45
	v_bfrev_b32_e32 v43, 1
	s_and_saveexec_b64 s[8:9], vcc
	s_cbranch_execz .LBB608_316
; %bb.313:
	v_bfe_u32 v45, v22, 16, 7
	s_movk_i32 s10, 0x7f
	v_cmp_ne_u32_e32 vcc, s10, v45
	v_mov_b32_e32 v43, 0x7f800001
	s_and_saveexec_b64 s[10:11], vcc
	s_cbranch_execz .LBB608_315
; %bb.314:
	v_and_b32_e32 v53, 7, v42
	v_ffbh_u32_e32 v43, v53
	v_min_u32_e32 v55, 32, v43
	v_subrev_u32_e32 v43, 28, v55
	v_lshlrev_b64 v[42:43], v43, v[42:43]
	v_lshrrev_b32_e32 v54, 3, v45
	v_sub_u32_e32 v43, 29, v55
	v_and_b32_e32 v42, 7, v42
	v_cmp_gt_u32_e32 vcc, 8, v45
	v_mov_b32_e32 v45, 24
	v_cndmask_b32_e32 v43, v54, v43, vcc
	v_cndmask_b32_e32 v42, v53, v42, vcc
	v_lshlrev_b32_sdwa v45, v45, v22 dst_sel:DWORD dst_unused:UNUSED_PAD src0_sel:DWORD src1_sel:WORD_1
	v_bfrev_b32_e32 v53, 60
	v_lshlrev_b32_e32 v42, 20, v42
	v_and_b32_e32 v45, 0x80000000, v45
	v_lshl_add_u32 v43, v43, 23, v53
	v_or3_b32 v43, v45, v43, v42
.LBB608_315:
	s_or_b64 exec, exec, s[10:11]
.LBB608_316:
	s_or_b64 exec, exec, s[8:9]
.LBB608_317:
	s_or_b64 exec, exec, s[2:3]
	s_mov_b32 s2, 0xffffff
	v_cmp_lt_u32_e32 vcc, s2, v22
	v_mov_b32_e32 v45, 0
	v_mov_b32_e32 v53, 0
	s_and_saveexec_b64 s[2:3], vcc
	s_cbranch_execz .LBB608_323
; %bb.318:
	v_lshrrev_b32_e32 v42, 24, v22
	s_movk_i32 s8, 0x80
	v_cmp_ne_u32_e32 vcc, s8, v42
	v_bfrev_b32_e32 v53, 1
	s_and_saveexec_b64 s[8:9], vcc
	s_cbranch_execz .LBB608_322
; %bb.319:
	v_bfe_u32 v22, v22, 24, 7
	s_movk_i32 s10, 0x7f
	v_cmp_ne_u32_e32 vcc, s10, v22
	v_mov_b32_e32 v53, 0x7f800001
	s_and_saveexec_b64 s[10:11], vcc
	s_cbranch_execz .LBB608_321
; %bb.320:
	v_and_b32_e32 v53, 7, v42
	v_ffbh_u32_e32 v54, v53
	v_min_u32_e32 v57, 32, v54
	v_subrev_u32_e32 v54, 28, v57
	v_lshlrev_b64 v[54:55], v54, v[42:43]
	v_lshrrev_b32_e32 v56, 3, v22
	v_sub_u32_e32 v55, 29, v57
	v_and_b32_e32 v54, 7, v54
	v_cmp_gt_u32_e32 vcc, 8, v22
	v_cndmask_b32_e32 v22, v56, v55, vcc
	v_cndmask_b32_e32 v53, v53, v54, vcc
	v_lshlrev_b32_e32 v42, 24, v42
	v_bfrev_b32_e32 v54, 60
	v_lshlrev_b32_e32 v53, 20, v53
	v_and_b32_e32 v42, 0x80000000, v42
	v_lshl_add_u32 v22, v22, 23, v54
	v_or3_b32 v53, v42, v22, v53
.LBB608_321:
	s_or_b64 exec, exec, s[10:11]
.LBB608_322:
	s_or_b64 exec, exec, s[8:9]
.LBB608_323:
	s_or_b64 exec, exec, s[2:3]
	v_cmp_ne_u16_sdwa s[8:9], v23, v45 src0_sel:BYTE_0 src1_sel:DWORD
	s_and_saveexec_b64 s[2:3], s[8:9]
	s_cbranch_execz .LBB608_329
; %bb.324:
	s_movk_i32 s8, 0x80
	v_cmp_ne_u16_sdwa s[10:11], v23, s8 src0_sel:BYTE_0 src1_sel:DWORD
	v_bfrev_b32_e32 v45, 1
	s_and_saveexec_b64 s[8:9], s[10:11]
	s_cbranch_execz .LBB608_328
; %bb.325:
	s_movk_i32 s10, 0x7f
	v_and_b32_e32 v22, 0x7f, v23
	v_cmp_ne_u32_e32 vcc, s10, v22
	v_mov_b32_e32 v45, 0x7f800001
	s_and_saveexec_b64 s[10:11], vcc
	s_cbranch_execz .LBB608_327
; %bb.326:
	v_and_b32_e32 v45, 7, v23
	v_ffbh_u32_e32 v54, v45
	v_min_u32_e32 v57, 32, v54
	v_mov_b32_e32 v42, v23
	v_subrev_u32_e32 v54, 28, v57
	v_lshlrev_b64 v[54:55], v54, v[42:43]
	v_lshrrev_b32_e32 v56, 3, v22
	v_sub_u32_e32 v42, 29, v57
	v_and_b32_e32 v54, 7, v54
	v_cmp_gt_u32_e32 vcc, 8, v22
	v_cndmask_b32_e32 v22, v56, v42, vcc
	v_cndmask_b32_e32 v42, v45, v54, vcc
	v_lshlrev_b32_e32 v45, 24, v23
	v_bfrev_b32_e32 v54, 60
	v_lshlrev_b32_e32 v42, 20, v42
	v_and_b32_e32 v45, 0x80000000, v45
	v_lshl_add_u32 v22, v22, 23, v54
	v_or3_b32 v45, v45, v22, v42
.LBB608_327:
	s_or_b64 exec, exec, s[10:11]
.LBB608_328:
	s_or_b64 exec, exec, s[8:9]
.LBB608_329:
	s_or_b64 exec, exec, s[2:3]
	v_lshrrev_b16_e32 v22, 8, v23
	v_cmp_ne_u16_e32 vcc, 0, v22
	v_mov_b32_e32 v54, 0
	v_mov_b32_e32 v55, 0
	s_and_saveexec_b64 s[2:3], vcc
	s_cbranch_execz .LBB608_335
; %bb.330:
	s_movk_i32 s8, 0x80
	v_cmp_ne_u16_e32 vcc, s8, v22
	v_bfrev_b32_e32 v55, 1
	s_and_saveexec_b64 s[8:9], vcc
	s_cbranch_execz .LBB608_334
; %bb.331:
	s_movk_i32 s10, 0x7f
	v_and_b32_e32 v42, 0x7f, v22
	v_cmp_ne_u32_e32 vcc, s10, v42
	v_mov_b32_e32 v55, 0x7f800001
	s_and_saveexec_b64 s[10:11], vcc
	s_cbranch_execz .LBB608_333
; %bb.332:
	v_and_b32_e32 v55, 7, v22
	v_ffbh_u32_e32 v56, v55
	v_min_u32_e32 v59, 32, v56
	v_subrev_u32_e32 v56, 28, v59
	v_lshlrev_b64 v[56:57], v56, v[22:23]
	v_lshrrev_b32_e32 v58, 3, v42
	v_sub_u32_e32 v22, 29, v59
	v_and_b32_e32 v56, 7, v56
	v_cmp_gt_u32_e32 vcc, 8, v42
	v_cndmask_b32_e32 v22, v58, v22, vcc
	v_cndmask_b32_e32 v42, v55, v56, vcc
	v_lshlrev_b32_e32 v55, 16, v23
	v_bfrev_b32_e32 v56, 60
	v_lshlrev_b32_e32 v42, 20, v42
	v_and_b32_e32 v55, 0x80000000, v55
	v_lshl_add_u32 v22, v22, 23, v56
	v_or3_b32 v55, v55, v22, v42
.LBB608_333:
	s_or_b64 exec, exec, s[10:11]
.LBB608_334:
	s_or_b64 exec, exec, s[8:9]
.LBB608_335:
	s_or_b64 exec, exec, s[2:3]
	s_movk_i32 s2, 0xff
	v_and_b32_sdwa v42, v23, s2 dst_sel:DWORD dst_unused:UNUSED_PAD src0_sel:WORD_1 src1_sel:DWORD
	v_lshrrev_b32_e32 v22, 16, v23
	v_cmp_ne_u16_e32 vcc, 0, v42
	s_and_saveexec_b64 s[2:3], vcc
	s_cbranch_execz .LBB608_341
; %bb.336:
	s_movk_i32 s8, 0x80
	v_cmp_ne_u16_e32 vcc, s8, v42
	v_bfrev_b32_e32 v54, 1
	s_and_saveexec_b64 s[8:9], vcc
	s_cbranch_execz .LBB608_340
; %bb.337:
	v_bfe_u32 v42, v23, 16, 7
	s_movk_i32 s10, 0x7f
	v_cmp_ne_u32_e32 vcc, s10, v42
	v_mov_b32_e32 v54, 0x7f800001
	s_and_saveexec_b64 s[10:11], vcc
	s_cbranch_execz .LBB608_339
; %bb.338:
	v_and_b32_e32 v54, 7, v22
	v_ffbh_u32_e32 v56, v54
	v_min_u32_e32 v59, 32, v56
	v_subrev_u32_e32 v56, 28, v59
	v_lshlrev_b64 v[56:57], v56, v[22:23]
	v_and_b32_e32 v56, 7, v56
	v_cmp_gt_u32_e32 vcc, 8, v42
	v_lshrrev_b32_e32 v58, 3, v42
	v_sub_u32_e32 v22, 29, v59
	v_cndmask_b32_e32 v42, v54, v56, vcc
	v_mov_b32_e32 v54, 24
	v_cndmask_b32_e32 v22, v58, v22, vcc
	v_lshlrev_b32_sdwa v54, v54, v23 dst_sel:DWORD dst_unused:UNUSED_PAD src0_sel:DWORD src1_sel:WORD_1
	v_bfrev_b32_e32 v56, 60
	v_lshlrev_b32_e32 v42, 20, v42
	v_and_b32_e32 v54, 0x80000000, v54
	v_lshl_add_u32 v22, v22, 23, v56
	v_or3_b32 v54, v54, v22, v42
.LBB608_339:
	s_or_b64 exec, exec, s[10:11]
.LBB608_340:
	s_or_b64 exec, exec, s[8:9]
.LBB608_341:
	s_or_b64 exec, exec, s[2:3]
	s_mov_b32 s2, 0xffffff
	v_cmp_lt_u32_e32 vcc, s2, v23
	v_mov_b32_e32 v42, 0
	v_mov_b32_e32 v56, 0
	s_and_saveexec_b64 s[2:3], vcc
	s_cbranch_execz .LBB608_347
; %bb.342:
	v_lshrrev_b32_e32 v22, 24, v23
	s_movk_i32 s8, 0x80
	v_cmp_ne_u32_e32 vcc, s8, v22
	v_bfrev_b32_e32 v56, 1
	s_and_saveexec_b64 s[8:9], vcc
	s_cbranch_execz .LBB608_346
; %bb.343:
	v_bfe_u32 v23, v23, 24, 7
	s_movk_i32 s10, 0x7f
	v_cmp_ne_u32_e32 vcc, s10, v23
	v_mov_b32_e32 v56, 0x7f800001
	s_and_saveexec_b64 s[10:11], vcc
	s_cbranch_execz .LBB608_345
; %bb.344:
	v_and_b32_e32 v58, 7, v22
	v_ffbh_u32_e32 v56, v58
	v_min_u32_e32 v60, 32, v56
	v_subrev_u32_e32 v56, 28, v60
	v_lshlrev_b64 v[56:57], v56, v[22:23]
	v_lshrrev_b32_e32 v59, 3, v23
	v_sub_u32_e32 v57, 29, v60
	v_and_b32_e32 v56, 7, v56
	v_cmp_gt_u32_e32 vcc, 8, v23
	v_cndmask_b32_e32 v23, v59, v57, vcc
	v_cndmask_b32_e32 v56, v58, v56, vcc
	v_lshlrev_b32_e32 v22, 24, v22
	v_bfrev_b32_e32 v57, 60
	v_lshlrev_b32_e32 v56, 20, v56
	v_and_b32_e32 v22, 0x80000000, v22
	v_lshl_add_u32 v23, v23, 23, v57
	v_or3_b32 v56, v22, v23, v56
.LBB608_345:
	s_or_b64 exec, exec, s[10:11]
.LBB608_346:
	s_or_b64 exec, exec, s[8:9]
.LBB608_347:
	s_or_b64 exec, exec, s[2:3]
	v_cvt_pkrtz_f16_f32 v22, v52, v44
	v_cvt_pkrtz_f16_f32 v23, v43, v53
	v_cmp_ne_u16_sdwa s[8:9], v24, v42 src0_sel:BYTE_0 src1_sel:DWORD
	s_nop 0
	v_mfma_f32_16x16x16f16 v[58:61], v[22:23], v[26:27], 0
	v_cvt_pkrtz_f16_f32 v22, v45, v55
	v_cvt_pkrtz_f16_f32 v23, v54, v56
	s_nop 1
	v_mfma_f32_16x16x16f16 v[26:29], v[22:23], v[28:29], v[58:61]
	s_and_saveexec_b64 s[2:3], s[8:9]
	s_cbranch_execz .LBB608_353
; %bb.348:
	s_movk_i32 s8, 0x80
	v_cmp_ne_u16_sdwa s[10:11], v24, s8 src0_sel:BYTE_0 src1_sel:DWORD
	v_bfrev_b32_e32 v42, 1
	s_and_saveexec_b64 s[8:9], s[10:11]
	s_cbranch_execz .LBB608_352
; %bb.349:
	s_movk_i32 s10, 0x7f
	v_and_b32_e32 v22, 0x7f, v24
	v_cmp_ne_u32_e32 vcc, s10, v22
	v_mov_b32_e32 v42, 0x7f800001
	s_and_saveexec_b64 s[10:11], vcc
	s_cbranch_execz .LBB608_351
; %bb.350:
	v_and_b32_e32 v23, 7, v24
	v_ffbh_u32_e32 v42, v23
	v_min_u32_e32 v45, 32, v42
	v_subrev_u32_e32 v42, 28, v45
	v_lshlrev_b64 v[42:43], v42, v[24:25]
	v_lshrrev_b32_e32 v44, 3, v22
	v_sub_u32_e32 v43, 29, v45
	v_and_b32_e32 v42, 7, v42
	v_cmp_gt_u32_e32 vcc, 8, v22
	v_cndmask_b32_e32 v22, v44, v43, vcc
	v_cndmask_b32_e32 v23, v23, v42, vcc
	v_lshlrev_b32_e32 v42, 24, v24
	v_bfrev_b32_e32 v43, 60
	v_lshlrev_b32_e32 v23, 20, v23
	v_and_b32_e32 v42, 0x80000000, v42
	v_lshl_add_u32 v22, v22, 23, v43
	v_or3_b32 v42, v42, v22, v23
.LBB608_351:
	s_or_b64 exec, exec, s[10:11]
.LBB608_352:
	s_or_b64 exec, exec, s[8:9]
.LBB608_353:
	s_or_b64 exec, exec, s[2:3]
	v_lshrrev_b16_e32 v22, 8, v24
	v_cmp_ne_u16_e32 vcc, 0, v22
	v_mov_b32_e32 v23, 0
	v_mov_b32_e32 v43, 0
	s_and_saveexec_b64 s[2:3], vcc
	s_cbranch_execz .LBB608_359
; %bb.354:
	s_movk_i32 s8, 0x80
	v_cmp_ne_u16_e32 vcc, s8, v22
	v_bfrev_b32_e32 v43, 1
	s_and_saveexec_b64 s[8:9], vcc
	s_cbranch_execz .LBB608_358
; %bb.355:
	s_movk_i32 s10, 0x7f
	v_and_b32_e32 v44, 0x7f, v22
	v_cmp_ne_u32_e32 vcc, s10, v44
	v_mov_b32_e32 v43, 0x7f800001
	s_and_saveexec_b64 s[10:11], vcc
	s_cbranch_execz .LBB608_357
; %bb.356:
	v_and_b32_e32 v43, 7, v22
	v_ffbh_u32_e32 v52, v43
	v_min_u32_e32 v54, 32, v52
	v_subrev_u32_e32 v52, 28, v54
	v_lshlrev_b64 v[52:53], v52, v[22:23]
	v_lshrrev_b32_e32 v45, 3, v44
	v_sub_u32_e32 v22, 29, v54
	v_and_b32_e32 v52, 7, v52
	v_cmp_gt_u32_e32 vcc, 8, v44
	v_cndmask_b32_e32 v22, v45, v22, vcc
	v_cndmask_b32_e32 v43, v43, v52, vcc
	v_lshlrev_b32_e32 v44, 16, v24
	v_bfrev_b32_e32 v45, 60
	v_lshlrev_b32_e32 v43, 20, v43
	v_and_b32_e32 v44, 0x80000000, v44
	v_lshl_add_u32 v22, v22, 23, v45
	v_or3_b32 v43, v44, v22, v43
.LBB608_357:
	s_or_b64 exec, exec, s[10:11]
.LBB608_358:
	s_or_b64 exec, exec, s[8:9]
.LBB608_359:
	s_or_b64 exec, exec, s[2:3]
	s_movk_i32 s2, 0xff
	v_and_b32_sdwa v44, v24, s2 dst_sel:DWORD dst_unused:UNUSED_PAD src0_sel:WORD_1 src1_sel:DWORD
	v_lshrrev_b32_e32 v22, 16, v24
	v_cmp_ne_u16_e32 vcc, 0, v44
	s_and_saveexec_b64 s[2:3], vcc
	s_cbranch_execz .LBB608_365
; %bb.360:
	s_movk_i32 s8, 0x80
	v_cmp_ne_u16_e32 vcc, s8, v44
	v_bfrev_b32_e32 v23, 1
	s_and_saveexec_b64 s[8:9], vcc
	s_cbranch_execz .LBB608_364
; %bb.361:
	v_bfe_u32 v44, v24, 16, 7
	s_movk_i32 s10, 0x7f
	v_cmp_ne_u32_e32 vcc, s10, v44
	v_mov_b32_e32 v23, 0x7f800001
	s_and_saveexec_b64 s[10:11], vcc
	s_cbranch_execz .LBB608_363
; %bb.362:
	v_and_b32_e32 v45, 7, v22
	v_ffbh_u32_e32 v23, v45
	v_min_u32_e32 v53, 32, v23
	v_subrev_u32_e32 v23, 28, v53
	v_lshlrev_b64 v[22:23], v23, v[22:23]
	v_lshrrev_b32_e32 v52, 3, v44
	v_sub_u32_e32 v23, 29, v53
	v_and_b32_e32 v22, 7, v22
	v_cmp_gt_u32_e32 vcc, 8, v44
	v_mov_b32_e32 v44, 24
	v_cndmask_b32_e32 v23, v52, v23, vcc
	v_cndmask_b32_e32 v22, v45, v22, vcc
	v_lshlrev_b32_sdwa v44, v44, v24 dst_sel:DWORD dst_unused:UNUSED_PAD src0_sel:DWORD src1_sel:WORD_1
	v_bfrev_b32_e32 v45, 60
	v_lshlrev_b32_e32 v22, 20, v22
	v_and_b32_e32 v44, 0x80000000, v44
	v_lshl_add_u32 v23, v23, 23, v45
	v_or3_b32 v23, v44, v23, v22
.LBB608_363:
	s_or_b64 exec, exec, s[10:11]
.LBB608_364:
	s_or_b64 exec, exec, s[8:9]
.LBB608_365:
	s_or_b64 exec, exec, s[2:3]
	s_mov_b32 s2, 0xffffff
	v_cmp_lt_u32_e32 vcc, s2, v24
	v_mov_b32_e32 v44, 0
	v_mov_b32_e32 v45, 0
	s_and_saveexec_b64 s[2:3], vcc
	s_cbranch_execz .LBB608_371
; %bb.366:
	v_lshrrev_b32_e32 v22, 24, v24
	s_movk_i32 s8, 0x80
	v_cmp_ne_u32_e32 vcc, s8, v22
	v_bfrev_b32_e32 v45, 1
	s_and_saveexec_b64 s[8:9], vcc
	s_cbranch_execz .LBB608_370
; %bb.367:
	v_bfe_u32 v24, v24, 24, 7
	s_movk_i32 s10, 0x7f
	v_cmp_ne_u32_e32 vcc, s10, v24
	v_mov_b32_e32 v45, 0x7f800001
	s_and_saveexec_b64 s[10:11], vcc
	s_cbranch_execz .LBB608_369
; %bb.368:
	v_and_b32_e32 v45, 7, v22
	v_ffbh_u32_e32 v52, v45
	v_min_u32_e32 v55, 32, v52
	v_subrev_u32_e32 v52, 28, v55
	v_lshlrev_b64 v[52:53], v52, v[22:23]
	v_lshrrev_b32_e32 v54, 3, v24
	v_sub_u32_e32 v53, 29, v55
	v_and_b32_e32 v52, 7, v52
	v_cmp_gt_u32_e32 vcc, 8, v24
	v_cndmask_b32_e32 v24, v54, v53, vcc
	v_cndmask_b32_e32 v45, v45, v52, vcc
	v_lshlrev_b32_e32 v22, 24, v22
	v_bfrev_b32_e32 v52, 60
	v_lshlrev_b32_e32 v45, 20, v45
	v_and_b32_e32 v22, 0x80000000, v22
	v_lshl_add_u32 v24, v24, 23, v52
	v_or3_b32 v45, v22, v24, v45
.LBB608_369:
	s_or_b64 exec, exec, s[10:11]
.LBB608_370:
	s_or_b64 exec, exec, s[8:9]
.LBB608_371:
	s_or_b64 exec, exec, s[2:3]
	v_cmp_ne_u16_sdwa s[8:9], v25, v44 src0_sel:BYTE_0 src1_sel:DWORD
	s_and_saveexec_b64 s[2:3], s[8:9]
	s_cbranch_execz .LBB608_377
; %bb.372:
	s_movk_i32 s8, 0x80
	v_cmp_ne_u16_sdwa s[10:11], v25, s8 src0_sel:BYTE_0 src1_sel:DWORD
	v_bfrev_b32_e32 v44, 1
	s_and_saveexec_b64 s[8:9], s[10:11]
	s_cbranch_execz .LBB608_376
; %bb.373:
	s_movk_i32 s10, 0x7f
	v_and_b32_e32 v22, 0x7f, v25
	v_cmp_ne_u32_e32 vcc, s10, v22
	v_mov_b32_e32 v44, 0x7f800001
	s_and_saveexec_b64 s[10:11], vcc
	s_cbranch_execz .LBB608_375
; %bb.374:
	v_and_b32_e32 v44, 7, v25
	v_ffbh_u32_e32 v52, v44
	v_min_u32_e32 v55, 32, v52
	v_mov_b32_e32 v24, v25
	v_subrev_u32_e32 v52, 28, v55
	v_lshlrev_b64 v[52:53], v52, v[24:25]
	v_lshrrev_b32_e32 v54, 3, v22
	v_sub_u32_e32 v24, 29, v55
	v_and_b32_e32 v52, 7, v52
	v_cmp_gt_u32_e32 vcc, 8, v22
	v_cndmask_b32_e32 v22, v54, v24, vcc
	v_cndmask_b32_e32 v24, v44, v52, vcc
	v_lshlrev_b32_e32 v44, 24, v25
	v_bfrev_b32_e32 v52, 60
	v_lshlrev_b32_e32 v24, 20, v24
	v_and_b32_e32 v44, 0x80000000, v44
	v_lshl_add_u32 v22, v22, 23, v52
	v_or3_b32 v44, v44, v22, v24
.LBB608_375:
	s_or_b64 exec, exec, s[10:11]
.LBB608_376:
	s_or_b64 exec, exec, s[8:9]
.LBB608_377:
	s_or_b64 exec, exec, s[2:3]
	v_lshrrev_b16_e32 v22, 8, v25
	v_cmp_ne_u16_e32 vcc, 0, v22
	v_mov_b32_e32 v24, 0
	v_mov_b32_e32 v53, 0
	s_and_saveexec_b64 s[2:3], vcc
	s_cbranch_execz .LBB608_383
; %bb.378:
	s_movk_i32 s8, 0x80
	v_cmp_ne_u16_e32 vcc, s8, v22
	v_bfrev_b32_e32 v53, 1
	s_and_saveexec_b64 s[8:9], vcc
	s_cbranch_execz .LBB608_382
; %bb.379:
	s_movk_i32 s10, 0x7f
	v_and_b32_e32 v52, 0x7f, v22
	v_cmp_ne_u32_e32 vcc, s10, v52
	v_mov_b32_e32 v53, 0x7f800001
	s_and_saveexec_b64 s[10:11], vcc
	s_cbranch_execz .LBB608_381
; %bb.380:
	v_and_b32_e32 v53, 7, v22
	v_ffbh_u32_e32 v54, v53
	v_min_u32_e32 v57, 32, v54
	v_subrev_u32_e32 v54, 28, v57
	v_lshlrev_b64 v[54:55], v54, v[22:23]
	v_lshrrev_b32_e32 v56, 3, v52
	v_sub_u32_e32 v22, 29, v57
	v_and_b32_e32 v54, 7, v54
	v_cmp_gt_u32_e32 vcc, 8, v52
	v_cndmask_b32_e32 v22, v56, v22, vcc
	v_cndmask_b32_e32 v52, v53, v54, vcc
	v_lshlrev_b32_e32 v53, 16, v25
	v_bfrev_b32_e32 v54, 60
	v_lshlrev_b32_e32 v52, 20, v52
	v_and_b32_e32 v53, 0x80000000, v53
	v_lshl_add_u32 v22, v22, 23, v54
	v_or3_b32 v53, v53, v22, v52
.LBB608_381:
	s_or_b64 exec, exec, s[10:11]
.LBB608_382:
	s_or_b64 exec, exec, s[8:9]
.LBB608_383:
	s_or_b64 exec, exec, s[2:3]
	s_movk_i32 s2, 0xff
	v_and_b32_sdwa v52, v25, s2 dst_sel:DWORD dst_unused:UNUSED_PAD src0_sel:WORD_1 src1_sel:DWORD
	v_lshrrev_b32_e32 v22, 16, v25
	v_cmp_ne_u16_e32 vcc, 0, v52
	s_and_saveexec_b64 s[2:3], vcc
	s_cbranch_execz .LBB608_389
; %bb.384:
	s_movk_i32 s8, 0x80
	v_cmp_ne_u16_e32 vcc, s8, v52
	v_bfrev_b32_e32 v24, 1
	s_and_saveexec_b64 s[8:9], vcc
	s_cbranch_execz .LBB608_388
; %bb.385:
	v_bfe_u32 v52, v25, 16, 7
	s_movk_i32 s10, 0x7f
	v_cmp_ne_u32_e32 vcc, s10, v52
	v_mov_b32_e32 v24, 0x7f800001
	s_and_saveexec_b64 s[10:11], vcc
	s_cbranch_execz .LBB608_387
; %bb.386:
	v_and_b32_e32 v24, 7, v22
	v_ffbh_u32_e32 v54, v24
	v_min_u32_e32 v57, 32, v54
	v_subrev_u32_e32 v54, 28, v57
	v_lshlrev_b64 v[54:55], v54, v[22:23]
	v_lshrrev_b32_e32 v56, 3, v52
	v_sub_u32_e32 v22, 29, v57
	v_and_b32_e32 v54, 7, v54
	v_cmp_gt_u32_e32 vcc, 8, v52
	v_mov_b32_e32 v52, 24
	v_cndmask_b32_e32 v22, v56, v22, vcc
	v_cndmask_b32_e32 v24, v24, v54, vcc
	v_lshlrev_b32_sdwa v52, v52, v25 dst_sel:DWORD dst_unused:UNUSED_PAD src0_sel:DWORD src1_sel:WORD_1
	v_bfrev_b32_e32 v54, 60
	v_lshlrev_b32_e32 v24, 20, v24
	v_and_b32_e32 v52, 0x80000000, v52
	v_lshl_add_u32 v22, v22, 23, v54
	v_or3_b32 v24, v52, v22, v24
.LBB608_387:
	s_or_b64 exec, exec, s[10:11]
.LBB608_388:
	s_or_b64 exec, exec, s[8:9]
.LBB608_389:
	s_or_b64 exec, exec, s[2:3]
	s_mov_b32 s2, 0xffffff
	v_and_b32_e32 v52, 63, v0
	v_cmp_lt_u32_e32 vcc, s2, v25
	v_mov_b32_e32 v54, 0
	s_and_saveexec_b64 s[2:3], vcc
	s_cbranch_execz .LBB608_395
; %bb.390:
	v_lshrrev_b32_e32 v22, 24, v25
	s_movk_i32 s8, 0x80
	v_cmp_ne_u32_e32 vcc, s8, v22
	v_bfrev_b32_e32 v54, 1
	s_and_saveexec_b64 s[8:9], vcc
	s_cbranch_execz .LBB608_394
; %bb.391:
	v_bfe_u32 v25, v25, 24, 7
	s_movk_i32 s10, 0x7f
	v_cmp_ne_u32_e32 vcc, s10, v25
	v_mov_b32_e32 v54, 0x7f800001
	s_and_saveexec_b64 s[10:11], vcc
	s_cbranch_execz .LBB608_393
; %bb.392:
	v_and_b32_e32 v56, 7, v22
	v_ffbh_u32_e32 v54, v56
	v_min_u32_e32 v58, 32, v54
	v_subrev_u32_e32 v54, 28, v58
	v_lshlrev_b64 v[54:55], v54, v[22:23]
	v_lshrrev_b32_e32 v57, 3, v25
	v_sub_u32_e32 v55, 29, v58
	v_and_b32_e32 v54, 7, v54
	v_cmp_gt_u32_e32 vcc, 8, v25
	v_cndmask_b32_e32 v25, v57, v55, vcc
	v_cndmask_b32_e32 v54, v56, v54, vcc
	v_lshlrev_b32_e32 v22, 24, v22
	v_bfrev_b32_e32 v55, 60
	v_lshlrev_b32_e32 v54, 20, v54
	v_and_b32_e32 v22, 0x80000000, v22
	v_lshl_add_u32 v25, v25, 23, v55
	v_or3_b32 v54, v22, v25, v54
.LBB608_393:
	s_or_b64 exec, exec, s[10:11]
.LBB608_394:
	s_or_b64 exec, exec, s[8:9]
.LBB608_395:
	s_or_b64 exec, exec, s[2:3]
	v_cvt_pkrtz_f16_f32 v42, v42, v43
	v_cvt_pkrtz_f16_f32 v43, v23, v45
	s_load_dword s2, s[4:5], 0x1c
	s_mov_b32 s46, 0xff7fffff
	s_waitcnt lgkmcnt(0)
	v_mfma_f32_16x16x16f16 v[26:29], v[42:43], v[18:19], v[26:29]
	v_cvt_pkrtz_f16_f32 v18, v44, v53
	v_cvt_pkrtz_f16_f32 v19, v24, v54
	v_and_b32_e32 v24, 0xc0, v0
	v_mov_b32_e32 v22, s2
	v_add_u32_e32 v24, s20, v24
	v_mul_f32_e32 v56, s12, v22
	v_lshl_or_b32 v42, v47, 2, v24
	v_mfma_f32_16x16x16f16 v[18:21], v[18:19], v[20:21], v[26:29]
	v_pk_mul_f32 v[22:23], v[56:57], v[36:37] op_sel_hi:[0,1]
	v_pk_mul_f32 v[36:37], v[56:57], v[40:41] op_sel_hi:[0,1]
	;; [unrolled: 1-line block ×4, first 2 shown]
	v_mov_b32_e32 v43, 0xff7fffff
	v_cmp_gt_i32_e64 s[26:27], s33, v42
	v_pk_mul_f32 v[38:39], v[56:57], v[38:39] op_sel_hi:[0,1]
	s_nop 3
	v_pk_mul_f32 v[32:33], v[56:57], v[18:19] op_sel_hi:[0,1]
	v_or_b32_e32 v19, 1, v42
	v_cmp_gt_i32_e64 s[28:29], s33, v19
	v_cndmask_b32_e64 v18, v43, v30, s[26:27]
	v_cndmask_b32_e64 v19, v43, v31, s[28:29]
	v_pk_mul_f32 v[24:25], v[56:57], v[20:21] op_sel_hi:[0,1]
	v_max3_f32 v18, v18, s46, v19
	v_or_b32_e32 v19, 2, v42
	v_or_b32_e32 v20, 3, v42
	v_cmp_gt_i32_e64 s[30:31], s33, v19
	v_cmp_gt_i32_e64 s[34:35], s33, v20
	v_cndmask_b32_e64 v19, v43, v40, s[30:31]
	v_cndmask_b32_e64 v20, v43, v41, s[34:35]
	v_max3_f32 v18, v18, v19, v20
	v_or_b32_e32 v19, 16, v42
	v_or_b32_e32 v20, 17, v42
	v_cmp_gt_i32_e64 s[36:37], s33, v19
	v_cmp_gt_i32_e64 s[38:39], s33, v20
	v_cndmask_b32_e64 v19, v43, v38, s[36:37]
	v_cndmask_b32_e64 v20, v43, v39, s[38:39]
	;; [unrolled: 7-line block ×3, first 2 shown]
	v_max3_f32 v18, v18, v19, v20
	v_or_b32_e32 v19, 32, v42
	v_or_b32_e32 v20, 33, v42
	v_pk_mul_f32 v[34:35], v[56:57], v[34:35] op_sel_hi:[0,1]
	v_cmp_gt_i32_e64 s[16:17], s33, v19
	v_cmp_gt_i32_e64 s[18:19], s33, v20
	v_cndmask_b32_e64 v19, v43, v34, s[16:17]
	v_cndmask_b32_e64 v20, v43, v35, s[18:19]
	v_max3_f32 v18, v18, v19, v20
	v_or_b32_e32 v19, 34, v42
	v_or_b32_e32 v20, 35, v42
	v_cmp_gt_i32_e64 s[12:13], s33, v19
	v_cmp_gt_i32_e64 s[14:15], s33, v20
	v_cndmask_b32_e64 v19, v43, v22, s[12:13]
	v_cndmask_b32_e64 v20, v43, v23, s[14:15]
	v_max3_f32 v18, v18, v19, v20
	v_or_b32_e32 v19, 48, v42
	v_or_b32_e32 v20, 49, v42
	;; [unrolled: 7-line block ×3, first 2 shown]
	v_cmp_gt_i32_e32 vcc, s33, v19
	v_cmp_gt_i32_e64 s[2:3], s33, v20
	v_cndmask_b32_e32 v19, v43, v24, vcc
	v_cndmask_b32_e64 v20, v43, v25, s[2:3]
	v_max3_f32 v18, v18, v19, v20
	v_mbcnt_lo_u32_b32 v19, -1, 0
	v_mbcnt_hi_u32_b32 v19, -1, v19
	v_and_b32_e32 v20, 64, v19
	v_add_u32_e32 v20, 64, v20
	v_xor_b32_e32 v21, 32, v19
	v_cmp_lt_i32_e64 s[40:41], v21, v20
	v_cndmask_b32_e64 v21, v19, v21, s[40:41]
	v_lshlrev_b32_e32 v43, 2, v21
	ds_bpermute_b32 v21, v43, v18
	s_barrier
	s_waitcnt lgkmcnt(0)
	v_max_f32_e32 v21, v21, v21
	v_max_f32_e32 v18, v18, v21
	v_xor_b32_e32 v21, 16, v19
	v_cmp_lt_i32_e64 s[40:41], v21, v20
	v_cndmask_b32_e64 v19, v19, v21, s[40:41]
	v_lshlrev_b32_e32 v44, 2, v19
	ds_bpermute_b32 v19, v44, v18
	s_waitcnt lgkmcnt(0)
	v_max_f32_e32 v19, v19, v19
	v_max_f32_e32 v42, v18, v19
	v_sub_f32_e32 v21, v40, v42
	v_sub_f32_e32 v26, v41, v42
	v_mul_f32_e32 v21, 0x3fb8aa3b, v21
	v_mul_f32_e32 v26, 0x3fb8aa3b, v26
	v_sub_f32_e32 v18, v30, v42
	v_exp_f32_e32 v21, v21
	v_exp_f32_e32 v26, v26
	v_mul_f32_e32 v18, 0x3fb8aa3b, v18
	v_sub_f32_e32 v19, v31, v42
	v_exp_f32_e32 v18, v18
	v_mul_f32_e32 v19, 0x3fb8aa3b, v19
	v_exp_f32_e32 v19, v19
	v_cndmask_b32_e64 v28, 0, v21, s[30:31]
	v_cndmask_b32_e64 v29, 0, v26, s[34:35]
	v_sub_f32_e32 v21, v38, v42
	v_sub_f32_e32 v26, v39, v42
	v_mul_f32_e32 v21, 0x3fb8aa3b, v21
	v_mul_f32_e32 v26, 0x3fb8aa3b, v26
	v_cndmask_b32_e64 v18, 0, v18, s[26:27]
	v_exp_f32_e32 v21, v21
	v_exp_f32_e32 v26, v26
	v_add_f32_e32 v20, 0, v18
	v_cndmask_b32_e64 v19, 0, v19, s[28:29]
	v_add_f32_e32 v20, v20, v19
	v_add_f32_e32 v20, v20, v28
	;; [unrolled: 1-line block ×3, first 2 shown]
	v_cndmask_b32_e64 v20, 0, v21, s[36:37]
	v_cndmask_b32_e64 v21, 0, v26, s[38:39]
	v_sub_f32_e32 v26, v36, v42
	v_mul_f32_e32 v26, 0x3fb8aa3b, v26
	v_exp_f32_e32 v26, v26
	v_sub_f32_e32 v30, v37, v42
	v_add_f32_e32 v27, v27, v20
	v_mul_f32_e32 v30, 0x3fb8aa3b, v30
	v_exp_f32_e32 v31, v30
	v_add_f32_e32 v27, v27, v21
	v_cndmask_b32_e64 v30, 0, v26, s[20:21]
	v_add_f32_e32 v26, v27, v30
	v_sub_f32_e32 v27, v34, v42
	v_mul_f32_e32 v27, 0x3fb8aa3b, v27
	v_sub_f32_e32 v34, v35, v42
	v_exp_f32_e32 v27, v27
	v_mul_f32_e32 v34, 0x3fb8aa3b, v34
	v_sub_f32_e32 v22, v22, v42
	v_exp_f32_e32 v34, v34
	;; [unrolled: 3-line block ×3, first 2 shown]
	v_mul_f32_e32 v23, 0x3fb8aa3b, v23
	v_cndmask_b32_e64 v31, 0, v31, s[22:23]
	v_exp_f32_e32 v23, v23
	v_add_f32_e32 v35, v26, v31
	v_cndmask_b32_e64 v26, 0, v27, s[16:17]
	v_add_f32_e32 v35, v35, v26
	v_cndmask_b32_e64 v27, 0, v34, s[18:19]
	;; [unrolled: 2-line block ×4, first 2 shown]
	v_sub_f32_e32 v23, v32, v42
	v_mul_f32_e32 v23, 0x3fb8aa3b, v23
	v_sub_f32_e32 v32, v33, v42
	v_exp_f32_e32 v23, v23
	v_mul_f32_e32 v32, 0x3fb8aa3b, v32
	v_sub_f32_e32 v24, v24, v42
	v_exp_f32_e32 v32, v32
	;; [unrolled: 3-line block ×3, first 2 shown]
	v_mul_f32_e32 v25, 0x3fb8aa3b, v25
	v_exp_f32_e32 v25, v25
	v_add_f32_e32 v33, v22, v35
	v_cndmask_b32_e64 v22, 0, v23, s[8:9]
	v_add_f32_e32 v33, v33, v22
	v_cndmask_b32_e64 v23, 0, v32, s[10:11]
	v_add_f32_e32 v32, v33, v23
	v_cndmask_b32_e32 v24, 0, v24, vcc
	v_add_f32_e32 v32, v32, v24
	v_cndmask_b32_e64 v25, 0, v25, s[2:3]
	v_add_f32_e32 v32, v32, v25
	ds_bpermute_b32 v33, v43, v32
	v_cmp_gt_u32_e32 vcc, 16, v52
	s_waitcnt lgkmcnt(0)
	v_add_f32_e32 v33, v32, v33
	ds_bpermute_b32 v36, v44, v33
	v_lshlrev_b32_e32 v32, 2, v50
	s_and_saveexec_b64 s[2:3], vcc
	s_cbranch_execz .LBB608_397
; %bb.396:
	s_waitcnt lgkmcnt(0)
	v_add_f32_e32 v33, v33, v36
	v_lshl_or_b32 v36, v51, 6, v32
	ds_write2st64_b32 v36, v42, v33 offset1:1
.LBB608_397:
	s_or_b64 exec, exec, s[2:3]
	s_waitcnt lgkmcnt(0)
	s_barrier
	ds_read2_b32 v[36:37], v32 offset1:16
	ds_read2_b32 v[38:39], v32 offset0:32 offset1:48
	ds_read2_b32 v[40:41], v32 offset0:64 offset1:80
	;; [unrolled: 1-line block ×3, first 2 shown]
	s_waitcnt lgkmcnt(0)
	v_max3_f32 v33, v36, s46, v37
	v_max3_f32 v33, v33, v38, v39
	v_sub_f32_e32 v36, v36, v33
	v_mul_f32_e32 v36, 0x3fb8aa3b, v36
	v_exp_f32_e32 v44, v36
	v_sub_f32_e32 v36, v37, v33
	v_mul_f32_e32 v36, 0x3fb8aa3b, v36
	v_exp_f32_e32 v37, v36
	v_sub_f32_e32 v36, v38, v33
	v_mul_f32_e32 v36, 0x3fb8aa3b, v36
	v_sub_f32_e32 v32, v39, v33
	v_exp_f32_e32 v38, v36
	v_mul_f32_e32 v32, 0x3fb8aa3b, v32
	v_exp_f32_e32 v39, v32
	v_fma_f32 v36, v44, v40, 0
	v_fmac_f32_e32 v36, v37, v41
	v_fmac_f32_e32 v36, v38, v42
	;; [unrolled: 1-line block ×3, first 2 shown]
	v_add_f32_e32 v40, 0x358637bd, v36
	v_div_scale_f32 v41, s[2:3], v40, v40, 1.0
	v_rcp_f32_e32 v42, v41
	s_barrier
	s_mul_i32 s12, s45, 3
	v_fma_f32 v43, -v41, v42, 1.0
	v_fmac_f32_e32 v42, v43, v42
	v_div_scale_f32 v43, vcc, 1.0, v40, 1.0
	v_mul_f32_e32 v45, v43, v42
	v_fma_f32 v52, -v41, v45, v43
	v_fmac_f32_e32 v45, v52, v42
	v_fma_f32 v41, -v41, v45, v43
	v_div_fmas_f32 v41, v41, v42, v45
	v_cmp_eq_u32_e32 vcc, 1, v51
	v_cndmask_b32_e32 v37, v44, v37, vcc
	v_cmp_eq_u32_e32 vcc, 2, v51
	v_cndmask_b32_e32 v37, v37, v38, vcc
	v_cmp_eq_u32_e32 vcc, 3, v51
	v_div_fixup_f32 v40, v41, v40, 1.0
	v_cndmask_b32_e32 v37, v37, v39, vcc
	v_mul_f32_e32 v38, v37, v40
	v_pk_mul_f32 v[28:29], v[38:39], v[28:29] op_sel_hi:[0,1]
	v_pk_mul_f32 v[18:19], v[38:39], v[18:19] op_sel_hi:[0,1]
	v_cvt_f16_f32_e32 v18, v18
	v_cvt_f16_f32_e32 v19, v19
	;; [unrolled: 1-line block ×4, first 2 shown]
	v_pk_mul_f32 v[20:21], v[38:39], v[20:21] op_sel_hi:[0,1]
	v_pack_b32_f16 v18, v18, v19
	v_cvt_f16_f32_e32 v20, v20
	v_pack_b32_f16 v19, v28, v29
	v_pk_mul_f32 v[28:29], v[38:39], v[30:31] op_sel_hi:[0,1]
	v_cvt_f16_f32_e32 v21, v21
	v_cvt_f16_f32_e32 v30, v28
	;; [unrolled: 1-line block ×3, first 2 shown]
	v_lshlrev_b32_e32 v37, 3, v47
	v_lshlrev_b32_e32 v28, 11, v51
	v_or3_b32 v28, v28, v49, v37
	v_pack_b32_f16 v20, v20, v21
	v_pack_b32_f16 v21, v30, v29
	ds_write2st64_b64 v28, v[18:19], v[20:21] offset1:1
	v_pk_mul_f32 v[18:19], v[38:39], v[34:35] op_sel_hi:[0,1]
	v_pk_mul_f32 v[20:21], v[38:39], v[26:27] op_sel_hi:[0,1]
	v_cvt_f16_f32_e32 v26, v20
	v_cvt_f16_f32_e32 v27, v21
	;; [unrolled: 1-line block ×4, first 2 shown]
	v_pk_mul_f32 v[18:19], v[38:39], v[24:25] op_sel_hi:[0,1]
	v_pk_mul_f32 v[20:21], v[38:39], v[22:23] op_sel_hi:[0,1]
	v_cvt_f16_f32_e32 v20, v20
	v_cvt_f16_f32_e32 v21, v21
	;; [unrolled: 1-line block ×4, first 2 shown]
	v_mov_b32_e32 v32, 0
	v_pack_b32_f16 v18, v26, v27
	v_pack_b32_f16 v19, v29, v30
	;; [unrolled: 1-line block ×4, first 2 shown]
	v_cmp_gt_u32_e32 vcc, 3, v0
	ds_write2st64_b64 v28, v[18:19], v[20:21] offset0:2 offset1:3
	s_and_saveexec_b64 s[2:3], vcc
	s_cbranch_execz .LBB608_399
; %bb.398:
	v_add_co_u32_e32 v20, vcc, s25, v50
	v_addc_co_u32_e64 v21, s[14:15], 0, 0, vcc
	v_mov_b32_e32 v18, s12
	v_mov_b32_e32 v19, 0
	v_mad_u64_u32 v[20:21], s[14:15], s6, v18, v[20:21]
	v_mov_b32_e32 v18, s24
	s_load_dwordx4 s[8:11], s[4:5], 0x58
	s_mul_i32 s7, s7, s12
	v_mad_u64_u32 v[18:19], s[14:15], v20, s44, v[18:19]
	v_add_u32_e32 v21, s7, v21
	v_mov_b32_e32 v20, v19
	v_mad_u64_u32 v[20:21], s[14:15], v21, s44, v[20:21]
	v_mov_b32_e32 v19, v20
	v_lshlrev_b64 v[18:19], 2, v[18:19]
	s_waitcnt lgkmcnt(0)
	v_mov_b32_e32 v21, s11
	v_add_co_u32_e32 v20, vcc, s10, v18
	v_addc_co_u32_e32 v21, vcc, v21, v19, vcc
	global_store_dword v[20:21], v33, off
	v_mov_b32_e32 v20, s9
	v_add_co_u32_e32 v18, vcc, s8, v18
	v_addc_co_u32_e32 v19, vcc, v20, v19, vcc
	global_store_dword v[18:19], v36, off
.LBB608_399:
	s_or_b64 exec, exec, s[2:3]
	v_mov_b32_e32 v19, 0
	s_waitcnt vmcnt(3)
	v_cmp_ne_u16_sdwa s[8:9], v14, v19 src0_sel:BYTE_0 src1_sel:DWORD
	s_waitcnt lgkmcnt(0)
	s_barrier
	s_and_saveexec_b64 s[2:3], s[8:9]
	s_cbranch_execz .LBB608_405
; %bb.400:
	s_movk_i32 s7, 0x80
	v_cmp_ne_u16_sdwa s[10:11], v14, s7 src0_sel:BYTE_0 src1_sel:DWORD
	v_bfrev_b32_e32 v32, 1
	s_and_saveexec_b64 s[8:9], s[10:11]
	s_cbranch_execz .LBB608_404
; %bb.401:
	s_movk_i32 s7, 0x7f
	v_and_b32_e32 v18, 0x7f, v14
	v_cmp_ne_u32_e32 vcc, s7, v18
	v_mov_b32_e32 v32, 0x7f800001
	s_and_saveexec_b64 s[10:11], vcc
	s_cbranch_execz .LBB608_403
; %bb.402:
	v_and_b32_e32 v22, 7, v14
	v_ffbh_u32_e32 v20, v22
	v_min_u32_e32 v24, 32, v20
	v_subrev_u32_e32 v20, 28, v24
	v_lshlrev_b64 v[20:21], v20, v[14:15]
	v_lshrrev_b32_e32 v23, 3, v18
	v_sub_u32_e32 v21, 29, v24
	v_and_b32_e32 v20, 7, v20
	v_cmp_gt_u32_e32 vcc, 8, v18
	v_cndmask_b32_e32 v18, v23, v21, vcc
	v_cndmask_b32_e32 v20, v22, v20, vcc
	v_lshlrev_b32_e32 v21, 24, v14
	v_bfrev_b32_e32 v22, 60
	v_lshlrev_b32_e32 v20, 20, v20
	v_and_b32_e32 v21, 0x80000000, v21
	v_lshl_add_u32 v18, v18, 23, v22
	v_or3_b32 v32, v21, v18, v20
.LBB608_403:
	s_or_b64 exec, exec, s[10:11]
.LBB608_404:
	s_or_b64 exec, exec, s[8:9]
.LBB608_405:
	s_or_b64 exec, exec, s[2:3]
	v_lshrrev_b16_e32 v18, 8, v14
	v_cmp_ne_u16_e32 vcc, 0, v18
	v_mov_b32_e32 v20, 0
	s_and_saveexec_b64 s[2:3], vcc
	s_cbranch_execz .LBB608_411
; %bb.406:
	s_movk_i32 s7, 0x80
	v_cmp_ne_u16_e32 vcc, s7, v18
	v_bfrev_b32_e32 v20, 1
	s_and_saveexec_b64 s[8:9], vcc
	s_cbranch_execz .LBB608_410
; %bb.407:
	s_movk_i32 s7, 0x7f
	v_and_b32_e32 v21, 0x7f, v18
	v_cmp_ne_u32_e32 vcc, s7, v21
	v_mov_b32_e32 v20, 0x7f800001
	s_and_saveexec_b64 s[10:11], vcc
	s_cbranch_execz .LBB608_409
; %bb.408:
	v_and_b32_e32 v20, 7, v18
	v_ffbh_u32_e32 v22, v20
	v_min_u32_e32 v25, 32, v22
	v_subrev_u32_e32 v22, 28, v25
	v_lshlrev_b64 v[22:23], v22, v[18:19]
	v_lshrrev_b32_e32 v24, 3, v21
	v_sub_u32_e32 v18, 29, v25
	v_and_b32_e32 v22, 7, v22
	v_cmp_gt_u32_e32 vcc, 8, v21
	v_cndmask_b32_e32 v18, v24, v18, vcc
	v_cndmask_b32_e32 v20, v20, v22, vcc
	v_lshlrev_b32_e32 v21, 16, v14
	v_bfrev_b32_e32 v22, 60
	v_lshlrev_b32_e32 v20, 20, v20
	v_and_b32_e32 v21, 0x80000000, v21
	v_lshl_add_u32 v18, v18, 23, v22
	v_or3_b32 v20, v21, v18, v20
.LBB608_409:
	s_or_b64 exec, exec, s[10:11]
.LBB608_410:
	s_or_b64 exec, exec, s[8:9]
.LBB608_411:
	s_or_b64 exec, exec, s[2:3]
	s_movk_i32 s2, 0xff
	v_and_b32_sdwa v21, v14, s2 dst_sel:DWORD dst_unused:UNUSED_PAD src0_sel:WORD_1 src1_sel:DWORD
	v_lshrrev_b32_e32 v18, 16, v14
	v_cmp_ne_u16_e32 vcc, 0, v21
	s_and_saveexec_b64 s[2:3], vcc
	s_cbranch_execz .LBB608_417
; %bb.412:
	s_movk_i32 s7, 0x80
	v_cmp_ne_u16_e32 vcc, s7, v21
	v_bfrev_b32_e32 v19, 1
	s_and_saveexec_b64 s[8:9], vcc
	s_cbranch_execz .LBB608_416
; %bb.413:
	v_bfe_u32 v21, v14, 16, 7
	s_movk_i32 s7, 0x7f
	v_cmp_ne_u32_e32 vcc, s7, v21
	v_mov_b32_e32 v19, 0x7f800001
	s_and_saveexec_b64 s[10:11], vcc
	s_cbranch_execz .LBB608_415
; %bb.414:
	v_and_b32_e32 v22, 7, v18
	v_ffbh_u32_e32 v19, v22
	v_min_u32_e32 v24, 32, v19
	v_subrev_u32_e32 v19, 28, v24
	v_lshlrev_b64 v[18:19], v19, v[18:19]
	v_lshrrev_b32_e32 v23, 3, v21
	v_sub_u32_e32 v19, 29, v24
	v_and_b32_e32 v18, 7, v18
	v_cmp_gt_u32_e32 vcc, 8, v21
	v_mov_b32_e32 v21, 24
	v_cndmask_b32_e32 v19, v23, v19, vcc
	v_cndmask_b32_e32 v18, v22, v18, vcc
	v_lshlrev_b32_sdwa v21, v21, v14 dst_sel:DWORD dst_unused:UNUSED_PAD src0_sel:DWORD src1_sel:WORD_1
	v_bfrev_b32_e32 v22, 60
	v_lshlrev_b32_e32 v18, 20, v18
	v_and_b32_e32 v21, 0x80000000, v21
	v_lshl_add_u32 v19, v19, 23, v22
	v_or3_b32 v19, v21, v19, v18
.LBB608_415:
	s_or_b64 exec, exec, s[10:11]
.LBB608_416:
	s_or_b64 exec, exec, s[8:9]
.LBB608_417:
	s_or_b64 exec, exec, s[2:3]
	s_mov_b32 s2, 0xffffff
	v_cmp_lt_u32_e32 vcc, s2, v14
	v_mov_b32_e32 v21, 0
	v_mov_b32_e32 v22, 0
	s_and_saveexec_b64 s[2:3], vcc
	s_cbranch_execz .LBB608_423
; %bb.418:
	v_lshrrev_b32_e32 v18, 24, v14
	s_movk_i32 s7, 0x80
	v_cmp_ne_u32_e32 vcc, s7, v18
	v_bfrev_b32_e32 v22, 1
	s_and_saveexec_b64 s[8:9], vcc
	s_cbranch_execz .LBB608_422
; %bb.419:
	v_bfe_u32 v14, v14, 24, 7
	s_movk_i32 s7, 0x7f
	v_cmp_ne_u32_e32 vcc, s7, v14
	v_mov_b32_e32 v22, 0x7f800001
	s_and_saveexec_b64 s[10:11], vcc
	s_cbranch_execz .LBB608_421
; %bb.420:
	v_and_b32_e32 v24, 7, v18
	v_ffbh_u32_e32 v22, v24
	v_min_u32_e32 v26, 32, v22
	v_subrev_u32_e32 v22, 28, v26
	v_lshlrev_b64 v[22:23], v22, v[18:19]
	v_lshrrev_b32_e32 v25, 3, v14
	v_sub_u32_e32 v23, 29, v26
	v_and_b32_e32 v22, 7, v22
	v_cmp_gt_u32_e32 vcc, 8, v14
	v_cndmask_b32_e32 v14, v25, v23, vcc
	v_cndmask_b32_e32 v22, v24, v22, vcc
	v_lshlrev_b32_e32 v18, 24, v18
	v_bfrev_b32_e32 v23, 60
	v_lshlrev_b32_e32 v22, 20, v22
	v_and_b32_e32 v18, 0x80000000, v18
	v_lshl_add_u32 v14, v14, 23, v23
	v_or3_b32 v22, v18, v14, v22
.LBB608_421:
	s_or_b64 exec, exec, s[10:11]
.LBB608_422:
	s_or_b64 exec, exec, s[8:9]
.LBB608_423:
	s_or_b64 exec, exec, s[2:3]
	v_cmp_ne_u16_sdwa s[8:9], v15, v21 src0_sel:BYTE_0 src1_sel:DWORD
	s_and_saveexec_b64 s[2:3], s[8:9]
	s_cbranch_execz .LBB608_429
; %bb.424:
	s_movk_i32 s7, 0x80
	v_cmp_ne_u16_sdwa s[10:11], v15, s7 src0_sel:BYTE_0 src1_sel:DWORD
	v_bfrev_b32_e32 v21, 1
	s_and_saveexec_b64 s[8:9], s[10:11]
	s_cbranch_execz .LBB608_428
; %bb.425:
	s_movk_i32 s7, 0x7f
	v_and_b32_e32 v14, 0x7f, v15
	v_cmp_ne_u32_e32 vcc, s7, v14
	v_mov_b32_e32 v21, 0x7f800001
	s_and_saveexec_b64 s[10:11], vcc
	s_cbranch_execz .LBB608_427
; %bb.426:
	v_and_b32_e32 v21, 7, v15
	v_ffbh_u32_e32 v24, v21
	v_min_u32_e32 v26, 32, v24
	v_mov_b32_e32 v18, v15
	v_subrev_u32_e32 v24, 28, v26
	v_lshlrev_b64 v[24:25], v24, v[18:19]
	v_lshrrev_b32_e32 v23, 3, v14
	v_sub_u32_e32 v18, 29, v26
	v_and_b32_e32 v24, 7, v24
	v_cmp_gt_u32_e32 vcc, 8, v14
	v_cndmask_b32_e32 v14, v23, v18, vcc
	v_cndmask_b32_e32 v18, v21, v24, vcc
	v_lshlrev_b32_e32 v21, 24, v15
	v_bfrev_b32_e32 v23, 60
	v_lshlrev_b32_e32 v18, 20, v18
	v_and_b32_e32 v21, 0x80000000, v21
	v_lshl_add_u32 v14, v14, 23, v23
	v_or3_b32 v21, v21, v14, v18
.LBB608_427:
	s_or_b64 exec, exec, s[10:11]
.LBB608_428:
	s_or_b64 exec, exec, s[8:9]
.LBB608_429:
	s_or_b64 exec, exec, s[2:3]
	v_lshrrev_b16_e32 v14, 8, v15
	v_cmp_ne_u16_e32 vcc, 0, v14
	v_mov_b32_e32 v18, 0
	v_mov_b32_e32 v24, 0
	s_and_saveexec_b64 s[2:3], vcc
	s_cbranch_execz .LBB608_435
; %bb.430:
	s_movk_i32 s7, 0x80
	v_cmp_ne_u16_e32 vcc, s7, v14
	v_bfrev_b32_e32 v24, 1
	s_and_saveexec_b64 s[8:9], vcc
	s_cbranch_execz .LBB608_434
; %bb.431:
	s_movk_i32 s7, 0x7f
	v_and_b32_e32 v23, 0x7f, v14
	v_cmp_ne_u32_e32 vcc, s7, v23
	v_mov_b32_e32 v24, 0x7f800001
	s_and_saveexec_b64 s[10:11], vcc
	s_cbranch_execz .LBB608_433
; %bb.432:
	v_and_b32_e32 v26, 7, v14
	v_ffbh_u32_e32 v24, v26
	v_min_u32_e32 v29, 32, v24
	v_subrev_u32_e32 v24, 28, v29
	v_lshlrev_b64 v[24:25], v24, v[14:15]
	v_lshrrev_b32_e32 v27, 3, v23
	v_sub_u32_e32 v14, 29, v29
	v_and_b32_e32 v24, 7, v24
	v_cmp_gt_u32_e32 vcc, 8, v23
	v_cndmask_b32_e32 v14, v27, v14, vcc
	v_cndmask_b32_e32 v23, v26, v24, vcc
	v_lshlrev_b32_e32 v24, 16, v15
	v_bfrev_b32_e32 v25, 60
	v_lshlrev_b32_e32 v23, 20, v23
	v_and_b32_e32 v24, 0x80000000, v24
	v_lshl_add_u32 v14, v14, 23, v25
	v_or3_b32 v24, v24, v14, v23
.LBB608_433:
	s_or_b64 exec, exec, s[10:11]
.LBB608_434:
	s_or_b64 exec, exec, s[8:9]
.LBB608_435:
	s_or_b64 exec, exec, s[2:3]
	s_movk_i32 s2, 0xff
	v_and_b32_sdwa v23, v15, s2 dst_sel:DWORD dst_unused:UNUSED_PAD src0_sel:WORD_1 src1_sel:DWORD
	v_lshrrev_b32_e32 v14, 16, v15
	v_cmp_ne_u16_e32 vcc, 0, v23
	s_and_saveexec_b64 s[2:3], vcc
	s_cbranch_execz .LBB608_441
; %bb.436:
	s_movk_i32 s7, 0x80
	v_cmp_ne_u16_e32 vcc, s7, v23
	v_bfrev_b32_e32 v18, 1
	s_and_saveexec_b64 s[8:9], vcc
	s_cbranch_execz .LBB608_440
; %bb.437:
	v_bfe_u32 v23, v15, 16, 7
	s_movk_i32 s7, 0x7f
	v_cmp_ne_u32_e32 vcc, s7, v23
	v_mov_b32_e32 v18, 0x7f800001
	s_and_saveexec_b64 s[10:11], vcc
	s_cbranch_execz .LBB608_439
; %bb.438:
	v_and_b32_e32 v18, 7, v14
	v_ffbh_u32_e32 v26, v18
	v_min_u32_e32 v29, 32, v26
	v_subrev_u32_e32 v26, 28, v29
	v_lshlrev_b64 v[26:27], v26, v[14:15]
	v_lshrrev_b32_e32 v25, 3, v23
	v_sub_u32_e32 v14, 29, v29
	v_and_b32_e32 v26, 7, v26
	v_cmp_gt_u32_e32 vcc, 8, v23
	v_mov_b32_e32 v23, 24
	v_cndmask_b32_e32 v14, v25, v14, vcc
	v_cndmask_b32_e32 v18, v18, v26, vcc
	v_lshlrev_b32_sdwa v23, v23, v15 dst_sel:DWORD dst_unused:UNUSED_PAD src0_sel:DWORD src1_sel:WORD_1
	v_bfrev_b32_e32 v25, 60
	v_lshlrev_b32_e32 v18, 20, v18
	v_and_b32_e32 v23, 0x80000000, v23
	v_lshl_add_u32 v14, v14, 23, v25
	v_or3_b32 v18, v23, v14, v18
.LBB608_439:
	s_or_b64 exec, exec, s[10:11]
.LBB608_440:
	s_or_b64 exec, exec, s[8:9]
.LBB608_441:
	s_or_b64 exec, exec, s[2:3]
	s_mov_b32 s2, 0xffffff
	v_cmp_lt_u32_e32 vcc, s2, v15
	v_mov_b32_e32 v23, 0
	v_mov_b32_e32 v25, 0
	s_and_saveexec_b64 s[2:3], vcc
	s_cbranch_execz .LBB608_447
; %bb.442:
	v_lshrrev_b32_e32 v14, 24, v15
	s_movk_i32 s7, 0x80
	v_cmp_ne_u32_e32 vcc, s7, v14
	v_bfrev_b32_e32 v25, 1
	s_and_saveexec_b64 s[8:9], vcc
	s_cbranch_execz .LBB608_446
; %bb.443:
	v_bfe_u32 v15, v15, 24, 7
	s_movk_i32 s7, 0x7f
	v_cmp_ne_u32_e32 vcc, s7, v15
	v_mov_b32_e32 v25, 0x7f800001
	s_and_saveexec_b64 s[10:11], vcc
	s_cbranch_execz .LBB608_445
; %bb.444:
	v_and_b32_e32 v25, 7, v14
	v_ffbh_u32_e32 v26, v25
	v_min_u32_e32 v30, 32, v26
	v_subrev_u32_e32 v26, 28, v30
	v_lshlrev_b64 v[26:27], v26, v[14:15]
	v_lshrrev_b32_e32 v29, 3, v15
	v_sub_u32_e32 v27, 29, v30
	v_and_b32_e32 v26, 7, v26
	v_cmp_gt_u32_e32 vcc, 8, v15
	v_cndmask_b32_e32 v15, v29, v27, vcc
	v_cndmask_b32_e32 v25, v25, v26, vcc
	v_lshlrev_b32_e32 v14, 24, v14
	v_bfrev_b32_e32 v26, 60
	v_lshlrev_b32_e32 v25, 20, v25
	v_and_b32_e32 v14, 0x80000000, v14
	v_lshl_add_u32 v15, v15, 23, v26
	v_or3_b32 v25, v14, v15, v25
.LBB608_445:
	s_or_b64 exec, exec, s[10:11]
.LBB608_446:
	s_or_b64 exec, exec, s[8:9]
.LBB608_447:
	s_or_b64 exec, exec, s[2:3]
	v_cvt_pkrtz_f16_f32 v15, v19, v22
	v_lshl_or_b32 v22, v47, 9, v49
	v_cvt_pkrtz_f16_f32 v14, v32, v20
	ds_read_b128 v[30:33], v22
	v_cmp_ne_u16_sdwa s[8:9], v16, v23 src0_sel:BYTE_0 src1_sel:DWORD
	s_waitcnt lgkmcnt(0)
	v_mfma_f32_16x16x16f16 v[34:37], v[14:15], v[30:31], 0
	v_cvt_pkrtz_f16_f32 v14, v21, v24
	v_cvt_pkrtz_f16_f32 v15, v18, v25
	s_nop 1
	v_mfma_f32_16x16x16f16 v[18:21], v[14:15], v[32:33], v[34:37]
	s_and_saveexec_b64 s[2:3], s[8:9]
	s_cbranch_execz .LBB608_453
; %bb.448:
	s_movk_i32 s7, 0x80
	v_cmp_ne_u16_sdwa s[10:11], v16, s7 src0_sel:BYTE_0 src1_sel:DWORD
	v_bfrev_b32_e32 v23, 1
	s_and_saveexec_b64 s[8:9], s[10:11]
	s_cbranch_execz .LBB608_452
; %bb.449:
	s_movk_i32 s7, 0x7f
	v_and_b32_e32 v14, 0x7f, v16
	v_cmp_ne_u32_e32 vcc, s7, v14
	v_mov_b32_e32 v23, 0x7f800001
	s_and_saveexec_b64 s[10:11], vcc
	s_cbranch_execz .LBB608_451
; %bb.450:
	v_and_b32_e32 v15, 7, v16
	v_ffbh_u32_e32 v24, v15
	v_min_u32_e32 v26, 32, v24
	v_subrev_u32_e32 v24, 28, v26
	v_lshlrev_b64 v[24:25], v24, v[16:17]
	v_lshrrev_b32_e32 v23, 3, v14
	v_sub_u32_e32 v25, 29, v26
	v_and_b32_e32 v24, 7, v24
	v_cmp_gt_u32_e32 vcc, 8, v14
	v_cndmask_b32_e32 v14, v23, v25, vcc
	v_cndmask_b32_e32 v15, v15, v24, vcc
	v_lshlrev_b32_e32 v23, 24, v16
	v_bfrev_b32_e32 v24, 60
	v_lshlrev_b32_e32 v15, 20, v15
	v_and_b32_e32 v23, 0x80000000, v23
	v_lshl_add_u32 v14, v14, 23, v24
	v_or3_b32 v23, v23, v14, v15
.LBB608_451:
	s_or_b64 exec, exec, s[10:11]
.LBB608_452:
	s_or_b64 exec, exec, s[8:9]
.LBB608_453:
	s_or_b64 exec, exec, s[2:3]
	v_lshrrev_b16_e32 v14, 8, v16
	v_cmp_ne_u16_e32 vcc, 0, v14
	v_mov_b32_e32 v15, 0
	v_mov_b32_e32 v25, 0
	s_and_saveexec_b64 s[2:3], vcc
	s_cbranch_execz .LBB608_459
; %bb.454:
	s_movk_i32 s7, 0x80
	v_cmp_ne_u16_e32 vcc, s7, v14
	v_bfrev_b32_e32 v25, 1
	s_and_saveexec_b64 s[8:9], vcc
	s_cbranch_execz .LBB608_458
; %bb.455:
	s_movk_i32 s7, 0x7f
	v_and_b32_e32 v24, 0x7f, v14
	v_cmp_ne_u32_e32 vcc, s7, v24
	v_mov_b32_e32 v25, 0x7f800001
	s_and_saveexec_b64 s[10:11], vcc
	s_cbranch_execz .LBB608_457
; %bb.456:
	v_and_b32_e32 v25, 7, v14
	v_ffbh_u32_e32 v26, v25
	v_min_u32_e32 v30, 32, v26
	v_subrev_u32_e32 v26, 28, v30
	v_lshlrev_b64 v[26:27], v26, v[14:15]
	v_lshrrev_b32_e32 v29, 3, v24
	v_sub_u32_e32 v14, 29, v30
	v_and_b32_e32 v26, 7, v26
	v_cmp_gt_u32_e32 vcc, 8, v24
	v_cndmask_b32_e32 v14, v29, v14, vcc
	v_cndmask_b32_e32 v24, v25, v26, vcc
	v_lshlrev_b32_e32 v25, 16, v16
	v_bfrev_b32_e32 v26, 60
	v_lshlrev_b32_e32 v24, 20, v24
	v_and_b32_e32 v25, 0x80000000, v25
	v_lshl_add_u32 v14, v14, 23, v26
	v_or3_b32 v25, v25, v14, v24
.LBB608_457:
	s_or_b64 exec, exec, s[10:11]
.LBB608_458:
	s_or_b64 exec, exec, s[8:9]
.LBB608_459:
	s_or_b64 exec, exec, s[2:3]
	s_movk_i32 s2, 0xff
	v_and_b32_sdwa v24, v16, s2 dst_sel:DWORD dst_unused:UNUSED_PAD src0_sel:WORD_1 src1_sel:DWORD
	v_lshrrev_b32_e32 v14, 16, v16
	v_cmp_ne_u16_e32 vcc, 0, v24
	s_and_saveexec_b64 s[2:3], vcc
	s_cbranch_execz .LBB608_465
; %bb.460:
	s_movk_i32 s7, 0x80
	v_cmp_ne_u16_e32 vcc, s7, v24
	v_bfrev_b32_e32 v15, 1
	s_and_saveexec_b64 s[8:9], vcc
	s_cbranch_execz .LBB608_464
; %bb.461:
	v_bfe_u32 v24, v16, 16, 7
	s_movk_i32 s7, 0x7f
	v_cmp_ne_u32_e32 vcc, s7, v24
	v_mov_b32_e32 v15, 0x7f800001
	s_and_saveexec_b64 s[10:11], vcc
	s_cbranch_execz .LBB608_463
; %bb.462:
	v_and_b32_e32 v26, 7, v14
	v_ffbh_u32_e32 v15, v26
	v_min_u32_e32 v29, 32, v15
	v_subrev_u32_e32 v15, 28, v29
	v_lshlrev_b64 v[14:15], v15, v[14:15]
	v_lshrrev_b32_e32 v27, 3, v24
	v_sub_u32_e32 v15, 29, v29
	v_and_b32_e32 v14, 7, v14
	v_cmp_gt_u32_e32 vcc, 8, v24
	v_mov_b32_e32 v24, 24
	v_cndmask_b32_e32 v15, v27, v15, vcc
	v_cndmask_b32_e32 v14, v26, v14, vcc
	v_lshlrev_b32_sdwa v24, v24, v16 dst_sel:DWORD dst_unused:UNUSED_PAD src0_sel:DWORD src1_sel:WORD_1
	v_bfrev_b32_e32 v26, 60
	v_lshlrev_b32_e32 v14, 20, v14
	v_and_b32_e32 v24, 0x80000000, v24
	v_lshl_add_u32 v15, v15, 23, v26
	v_or3_b32 v15, v24, v15, v14
.LBB608_463:
	s_or_b64 exec, exec, s[10:11]
.LBB608_464:
	s_or_b64 exec, exec, s[8:9]
.LBB608_465:
	s_or_b64 exec, exec, s[2:3]
	s_mov_b32 s2, 0xffffff
	v_cmp_lt_u32_e32 vcc, s2, v16
	v_mov_b32_e32 v26, 0
	v_mov_b32_e32 v27, 0
	s_and_saveexec_b64 s[2:3], vcc
	s_cbranch_execz .LBB608_471
; %bb.466:
	v_lshrrev_b32_e32 v14, 24, v16
	s_movk_i32 s7, 0x80
	v_cmp_ne_u32_e32 vcc, s7, v14
	v_bfrev_b32_e32 v27, 1
	s_and_saveexec_b64 s[8:9], vcc
	s_cbranch_execz .LBB608_470
; %bb.467:
	v_bfe_u32 v16, v16, 24, 7
	s_movk_i32 s7, 0x7f
	v_cmp_ne_u32_e32 vcc, s7, v16
	v_mov_b32_e32 v27, 0x7f800001
	s_and_saveexec_b64 s[10:11], vcc
	s_cbranch_execz .LBB608_469
; %bb.468:
	v_and_b32_e32 v24, 7, v14
	v_ffbh_u32_e32 v29, v24
	v_min_u32_e32 v29, 32, v29
	v_subrev_u32_e32 v30, 28, v29
	v_lshlrev_b64 v[30:31], v30, v[14:15]
	v_lshrrev_b32_e32 v27, 3, v16
	v_sub_u32_e32 v29, 29, v29
	v_and_b32_e32 v30, 7, v30
	v_cmp_gt_u32_e32 vcc, 8, v16
	v_cndmask_b32_e32 v16, v27, v29, vcc
	v_cndmask_b32_e32 v24, v24, v30, vcc
	v_lshlrev_b32_e32 v14, 24, v14
	v_bfrev_b32_e32 v27, 60
	v_lshlrev_b32_e32 v24, 20, v24
	v_and_b32_e32 v14, 0x80000000, v14
	v_lshl_add_u32 v16, v16, 23, v27
	v_or3_b32 v27, v14, v16, v24
.LBB608_469:
	s_or_b64 exec, exec, s[10:11]
.LBB608_470:
	s_or_b64 exec, exec, s[8:9]
.LBB608_471:
	s_or_b64 exec, exec, s[2:3]
	v_cmp_ne_u16_sdwa s[8:9], v17, v26 src0_sel:BYTE_0 src1_sel:DWORD
	s_and_saveexec_b64 s[2:3], s[8:9]
	s_cbranch_execz .LBB608_477
; %bb.472:
	s_movk_i32 s7, 0x80
	v_cmp_ne_u16_sdwa s[10:11], v17, s7 src0_sel:BYTE_0 src1_sel:DWORD
	v_bfrev_b32_e32 v26, 1
	s_and_saveexec_b64 s[8:9], s[10:11]
	s_cbranch_execz .LBB608_476
; %bb.473:
	s_movk_i32 s7, 0x7f
	v_and_b32_e32 v14, 0x7f, v17
	v_cmp_ne_u32_e32 vcc, s7, v14
	v_mov_b32_e32 v26, 0x7f800001
	s_and_saveexec_b64 s[10:11], vcc
	s_cbranch_execz .LBB608_475
; %bb.474:
	v_and_b32_e32 v24, 7, v17
	v_ffbh_u32_e32 v29, v24
	v_min_u32_e32 v29, 32, v29
	v_mov_b32_e32 v16, v17
	v_subrev_u32_e32 v30, 28, v29
	v_lshlrev_b64 v[30:31], v30, v[16:17]
	v_lshrrev_b32_e32 v26, 3, v14
	v_sub_u32_e32 v16, 29, v29
	v_and_b32_e32 v29, 7, v30
	v_cmp_gt_u32_e32 vcc, 8, v14
	v_cndmask_b32_e32 v14, v26, v16, vcc
	v_cndmask_b32_e32 v16, v24, v29, vcc
	v_lshlrev_b32_e32 v24, 24, v17
	v_bfrev_b32_e32 v26, 60
	v_lshlrev_b32_e32 v16, 20, v16
	v_and_b32_e32 v24, 0x80000000, v24
	v_lshl_add_u32 v14, v14, 23, v26
	v_or3_b32 v26, v24, v14, v16
.LBB608_475:
	s_or_b64 exec, exec, s[10:11]
.LBB608_476:
	s_or_b64 exec, exec, s[8:9]
.LBB608_477:
	s_or_b64 exec, exec, s[2:3]
	v_lshrrev_b16_e32 v14, 8, v17
	v_cmp_ne_u16_e32 vcc, 0, v14
	v_mov_b32_e32 v16, 0
	v_mov_b32_e32 v29, 0
	s_and_saveexec_b64 s[2:3], vcc
	s_cbranch_execz .LBB608_483
; %bb.478:
	s_movk_i32 s7, 0x80
	v_cmp_ne_u16_e32 vcc, s7, v14
	v_bfrev_b32_e32 v29, 1
	s_and_saveexec_b64 s[8:9], vcc
	s_cbranch_execz .LBB608_482
; %bb.479:
	s_movk_i32 s7, 0x7f
	v_and_b32_e32 v24, 0x7f, v14
	v_cmp_ne_u32_e32 vcc, s7, v24
	v_mov_b32_e32 v29, 0x7f800001
	s_and_saveexec_b64 s[10:11], vcc
	s_cbranch_execz .LBB608_481
; %bb.480:
	v_and_b32_e32 v29, 7, v14
	v_ffbh_u32_e32 v30, v29
	v_min_u32_e32 v33, 32, v30
	v_subrev_u32_e32 v30, 28, v33
	v_lshlrev_b64 v[30:31], v30, v[14:15]
	v_lshrrev_b32_e32 v32, 3, v24
	v_sub_u32_e32 v14, 29, v33
	v_and_b32_e32 v30, 7, v30
	v_cmp_gt_u32_e32 vcc, 8, v24
	v_cndmask_b32_e32 v14, v32, v14, vcc
	v_cndmask_b32_e32 v24, v29, v30, vcc
	v_lshlrev_b32_e32 v29, 16, v17
	v_bfrev_b32_e32 v30, 60
	v_lshlrev_b32_e32 v24, 20, v24
	v_and_b32_e32 v29, 0x80000000, v29
	v_lshl_add_u32 v14, v14, 23, v30
	v_or3_b32 v29, v29, v14, v24
.LBB608_481:
	s_or_b64 exec, exec, s[10:11]
.LBB608_482:
	s_or_b64 exec, exec, s[8:9]
.LBB608_483:
	s_or_b64 exec, exec, s[2:3]
	s_movk_i32 s2, 0xff
	v_and_b32_sdwa v24, v17, s2 dst_sel:DWORD dst_unused:UNUSED_PAD src0_sel:WORD_1 src1_sel:DWORD
	v_lshrrev_b32_e32 v14, 16, v17
	v_cmp_ne_u16_e32 vcc, 0, v24
	s_and_saveexec_b64 s[2:3], vcc
	s_cbranch_execz .LBB608_489
; %bb.484:
	s_movk_i32 s7, 0x80
	v_cmp_ne_u16_e32 vcc, s7, v24
	v_bfrev_b32_e32 v16, 1
	s_and_saveexec_b64 s[8:9], vcc
	s_cbranch_execz .LBB608_488
; %bb.485:
	v_bfe_u32 v24, v17, 16, 7
	s_movk_i32 s7, 0x7f
	v_cmp_ne_u32_e32 vcc, s7, v24
	v_mov_b32_e32 v16, 0x7f800001
	s_and_saveexec_b64 s[10:11], vcc
	s_cbranch_execz .LBB608_487
; %bb.486:
	v_and_b32_e32 v16, 7, v14
	v_ffbh_u32_e32 v30, v16
	v_min_u32_e32 v33, 32, v30
	v_subrev_u32_e32 v30, 28, v33
	v_lshlrev_b64 v[30:31], v30, v[14:15]
	v_lshrrev_b32_e32 v32, 3, v24
	v_sub_u32_e32 v14, 29, v33
	v_and_b32_e32 v30, 7, v30
	v_cmp_gt_u32_e32 vcc, 8, v24
	v_mov_b32_e32 v24, 24
	v_cndmask_b32_e32 v14, v32, v14, vcc
	v_cndmask_b32_e32 v16, v16, v30, vcc
	v_lshlrev_b32_sdwa v24, v24, v17 dst_sel:DWORD dst_unused:UNUSED_PAD src0_sel:DWORD src1_sel:WORD_1
	v_bfrev_b32_e32 v30, 60
	v_lshlrev_b32_e32 v16, 20, v16
	v_and_b32_e32 v24, 0x80000000, v24
	v_lshl_add_u32 v14, v14, 23, v30
	v_or3_b32 v16, v24, v14, v16
.LBB608_487:
	s_or_b64 exec, exec, s[10:11]
.LBB608_488:
	s_or_b64 exec, exec, s[8:9]
.LBB608_489:
	s_or_b64 exec, exec, s[2:3]
	s_mov_b32 s2, 0xffffff
	v_cmp_lt_u32_e32 vcc, s2, v17
	v_mov_b32_e32 v24, 0
	v_mov_b32_e32 v30, 0
	s_and_saveexec_b64 s[2:3], vcc
	s_cbranch_execz .LBB608_495
; %bb.490:
	v_lshrrev_b32_e32 v14, 24, v17
	s_movk_i32 s7, 0x80
	v_cmp_ne_u32_e32 vcc, s7, v14
	v_bfrev_b32_e32 v30, 1
	s_and_saveexec_b64 s[8:9], vcc
	s_cbranch_execz .LBB608_494
; %bb.491:
	v_bfe_u32 v17, v17, 24, 7
	s_movk_i32 s7, 0x7f
	v_cmp_ne_u32_e32 vcc, s7, v17
	v_mov_b32_e32 v30, 0x7f800001
	s_and_saveexec_b64 s[10:11], vcc
	s_cbranch_execz .LBB608_493
; %bb.492:
	v_and_b32_e32 v32, 7, v14
	v_ffbh_u32_e32 v30, v32
	v_min_u32_e32 v34, 32, v30
	v_subrev_u32_e32 v30, 28, v34
	v_lshlrev_b64 v[30:31], v30, v[14:15]
	v_lshrrev_b32_e32 v33, 3, v17
	v_sub_u32_e32 v31, 29, v34
	v_and_b32_e32 v30, 7, v30
	v_cmp_gt_u32_e32 vcc, 8, v17
	v_cndmask_b32_e32 v17, v33, v31, vcc
	v_cndmask_b32_e32 v30, v32, v30, vcc
	v_lshlrev_b32_e32 v14, 24, v14
	v_bfrev_b32_e32 v31, 60
	v_lshlrev_b32_e32 v30, 20, v30
	v_and_b32_e32 v14, 0x80000000, v14
	v_lshl_add_u32 v17, v17, 23, v31
	v_or3_b32 v30, v14, v17, v30
.LBB608_493:
	s_or_b64 exec, exec, s[10:11]
.LBB608_494:
	s_or_b64 exec, exec, s[8:9]
.LBB608_495:
	s_or_b64 exec, exec, s[2:3]
	v_cvt_pkrtz_f16_f32 v14, v23, v25
	v_cvt_pkrtz_f16_f32 v15, v15, v27
	ds_read_b128 v[32:35], v22 offset:16
	s_waitcnt vmcnt(2)
	v_cmp_ne_u16_sdwa s[8:9], v10, v24 src0_sel:BYTE_0 src1_sel:DWORD
	s_waitcnt lgkmcnt(0)
	v_mfma_f32_16x16x16f16 v[18:21], v[14:15], v[32:33], v[18:21]
	v_cvt_pkrtz_f16_f32 v14, v26, v29
	v_cvt_pkrtz_f16_f32 v15, v16, v30
	s_nop 1
	v_mfma_f32_16x16x16f16 v[14:17], v[14:15], v[34:35], v[18:21]
	s_and_saveexec_b64 s[2:3], s[8:9]
	s_cbranch_execz .LBB608_501
; %bb.496:
	s_movk_i32 s7, 0x80
	v_cmp_ne_u16_sdwa s[10:11], v10, s7 src0_sel:BYTE_0 src1_sel:DWORD
	v_bfrev_b32_e32 v24, 1
	s_and_saveexec_b64 s[8:9], s[10:11]
	s_cbranch_execz .LBB608_500
; %bb.497:
	s_movk_i32 s7, 0x7f
	v_and_b32_e32 v18, 0x7f, v10
	v_cmp_ne_u32_e32 vcc, s7, v18
	v_mov_b32_e32 v24, 0x7f800001
	s_and_saveexec_b64 s[10:11], vcc
	s_cbranch_execz .LBB608_499
; %bb.498:
	v_and_b32_e32 v19, 7, v10
	v_ffbh_u32_e32 v20, v19
	v_min_u32_e32 v24, 32, v20
	v_subrev_u32_e32 v20, 28, v24
	v_lshlrev_b64 v[20:21], v20, v[10:11]
	v_lshrrev_b32_e32 v23, 3, v18
	v_sub_u32_e32 v21, 29, v24
	v_and_b32_e32 v20, 7, v20
	v_cmp_gt_u32_e32 vcc, 8, v18
	v_cndmask_b32_e32 v18, v23, v21, vcc
	v_cndmask_b32_e32 v19, v19, v20, vcc
	v_lshlrev_b32_e32 v20, 24, v10
	v_bfrev_b32_e32 v21, 60
	v_lshlrev_b32_e32 v19, 20, v19
	v_and_b32_e32 v20, 0x80000000, v20
	v_lshl_add_u32 v18, v18, 23, v21
	v_or3_b32 v24, v20, v18, v19
.LBB608_499:
	s_or_b64 exec, exec, s[10:11]
.LBB608_500:
	s_or_b64 exec, exec, s[8:9]
.LBB608_501:
	s_or_b64 exec, exec, s[2:3]
	s_nop 3
	v_lshrrev_b16_e32 v18, 8, v10
	v_cmp_ne_u16_e32 vcc, 0, v18
	v_mov_b32_e32 v19, 0
	v_mov_b32_e32 v20, 0
	s_and_saveexec_b64 s[2:3], vcc
	s_cbranch_execz .LBB608_507
; %bb.502:
	s_movk_i32 s7, 0x80
	v_cmp_ne_u16_e32 vcc, s7, v18
	v_bfrev_b32_e32 v20, 1
	s_and_saveexec_b64 s[8:9], vcc
	s_cbranch_execz .LBB608_506
; %bb.503:
	s_movk_i32 s7, 0x7f
	v_and_b32_e32 v21, 0x7f, v18
	v_cmp_ne_u32_e32 vcc, s7, v21
	v_mov_b32_e32 v20, 0x7f800001
	s_and_saveexec_b64 s[10:11], vcc
	s_cbranch_execz .LBB608_505
; %bb.504:
	v_and_b32_e32 v20, 7, v18
	v_ffbh_u32_e32 v25, v20
	v_min_u32_e32 v25, 32, v25
	v_subrev_u32_e32 v26, 28, v25
	v_lshlrev_b64 v[26:27], v26, v[18:19]
	v_lshrrev_b32_e32 v23, 3, v21
	v_sub_u32_e32 v18, 29, v25
	v_and_b32_e32 v25, 7, v26
	v_cmp_gt_u32_e32 vcc, 8, v21
	v_cndmask_b32_e32 v18, v23, v18, vcc
	v_cndmask_b32_e32 v20, v20, v25, vcc
	v_lshlrev_b32_e32 v21, 16, v10
	v_bfrev_b32_e32 v23, 60
	v_lshlrev_b32_e32 v20, 20, v20
	v_and_b32_e32 v21, 0x80000000, v21
	v_lshl_add_u32 v18, v18, 23, v23
	v_or3_b32 v20, v21, v18, v20
.LBB608_505:
	s_or_b64 exec, exec, s[10:11]
.LBB608_506:
	s_or_b64 exec, exec, s[8:9]
.LBB608_507:
	s_or_b64 exec, exec, s[2:3]
	s_movk_i32 s2, 0xff
	v_and_b32_sdwa v21, v10, s2 dst_sel:DWORD dst_unused:UNUSED_PAD src0_sel:WORD_1 src1_sel:DWORD
	v_lshrrev_b32_e32 v18, 16, v10
	v_cmp_ne_u16_e32 vcc, 0, v21
	s_and_saveexec_b64 s[2:3], vcc
	s_cbranch_execz .LBB608_513
; %bb.508:
	s_movk_i32 s7, 0x80
	v_cmp_ne_u16_e32 vcc, s7, v21
	v_bfrev_b32_e32 v19, 1
	s_and_saveexec_b64 s[8:9], vcc
	s_cbranch_execz .LBB608_512
; %bb.509:
	v_bfe_u32 v21, v10, 16, 7
	s_movk_i32 s7, 0x7f
	v_cmp_ne_u32_e32 vcc, s7, v21
	v_mov_b32_e32 v19, 0x7f800001
	s_and_saveexec_b64 s[10:11], vcc
	s_cbranch_execz .LBB608_511
; %bb.510:
	v_and_b32_e32 v23, 7, v18
	v_ffbh_u32_e32 v19, v23
	v_min_u32_e32 v26, 32, v19
	v_subrev_u32_e32 v19, 28, v26
	v_lshlrev_b64 v[18:19], v19, v[18:19]
	v_lshrrev_b32_e32 v25, 3, v21
	v_sub_u32_e32 v19, 29, v26
	v_and_b32_e32 v18, 7, v18
	v_cmp_gt_u32_e32 vcc, 8, v21
	v_mov_b32_e32 v21, 24
	v_cndmask_b32_e32 v19, v25, v19, vcc
	v_cndmask_b32_e32 v18, v23, v18, vcc
	v_lshlrev_b32_sdwa v21, v21, v10 dst_sel:DWORD dst_unused:UNUSED_PAD src0_sel:DWORD src1_sel:WORD_1
	v_bfrev_b32_e32 v23, 60
	v_lshlrev_b32_e32 v18, 20, v18
	v_and_b32_e32 v21, 0x80000000, v21
	v_lshl_add_u32 v19, v19, 23, v23
	v_or3_b32 v19, v21, v19, v18
.LBB608_511:
	s_or_b64 exec, exec, s[10:11]
.LBB608_512:
	s_or_b64 exec, exec, s[8:9]
.LBB608_513:
	s_or_b64 exec, exec, s[2:3]
	s_mov_b32 s2, 0xffffff
	v_cmp_lt_u32_e32 vcc, s2, v10
	v_mov_b32_e32 v21, 0
	v_mov_b32_e32 v23, 0
	s_and_saveexec_b64 s[2:3], vcc
	s_cbranch_execz .LBB608_519
; %bb.514:
	v_lshrrev_b32_e32 v18, 24, v10
	s_movk_i32 s7, 0x80
	v_cmp_ne_u32_e32 vcc, s7, v18
	v_bfrev_b32_e32 v23, 1
	s_and_saveexec_b64 s[8:9], vcc
	s_cbranch_execz .LBB608_518
; %bb.515:
	v_bfe_u32 v10, v10, 24, 7
	s_movk_i32 s7, 0x7f
	v_cmp_ne_u32_e32 vcc, s7, v10
	v_mov_b32_e32 v23, 0x7f800001
	s_and_saveexec_b64 s[10:11], vcc
	s_cbranch_execz .LBB608_517
; %bb.516:
	v_and_b32_e32 v23, 7, v18
	v_ffbh_u32_e32 v26, v23
	v_min_u32_e32 v29, 32, v26
	v_subrev_u32_e32 v26, 28, v29
	v_lshlrev_b64 v[26:27], v26, v[18:19]
	v_lshrrev_b32_e32 v25, 3, v10
	v_sub_u32_e32 v27, 29, v29
	v_and_b32_e32 v26, 7, v26
	v_cmp_gt_u32_e32 vcc, 8, v10
	v_cndmask_b32_e32 v10, v25, v27, vcc
	v_cndmask_b32_e32 v23, v23, v26, vcc
	v_lshlrev_b32_e32 v18, 24, v18
	v_bfrev_b32_e32 v25, 60
	v_lshlrev_b32_e32 v23, 20, v23
	v_and_b32_e32 v18, 0x80000000, v18
	v_lshl_add_u32 v10, v10, 23, v25
	v_or3_b32 v23, v18, v10, v23
.LBB608_517:
	s_or_b64 exec, exec, s[10:11]
.LBB608_518:
	s_or_b64 exec, exec, s[8:9]
.LBB608_519:
	s_or_b64 exec, exec, s[2:3]
	v_cmp_ne_u16_sdwa s[8:9], v11, v21 src0_sel:BYTE_0 src1_sel:DWORD
	s_and_saveexec_b64 s[2:3], s[8:9]
	s_cbranch_execz .LBB608_525
; %bb.520:
	s_movk_i32 s7, 0x80
	v_cmp_ne_u16_sdwa s[10:11], v11, s7 src0_sel:BYTE_0 src1_sel:DWORD
	v_bfrev_b32_e32 v21, 1
	s_and_saveexec_b64 s[8:9], s[10:11]
	s_cbranch_execz .LBB608_524
; %bb.521:
	s_movk_i32 s7, 0x7f
	v_and_b32_e32 v10, 0x7f, v11
	v_cmp_ne_u32_e32 vcc, s7, v10
	v_mov_b32_e32 v21, 0x7f800001
	s_and_saveexec_b64 s[10:11], vcc
	s_cbranch_execz .LBB608_523
; %bb.522:
	v_and_b32_e32 v21, 7, v11
	v_ffbh_u32_e32 v26, v21
	v_min_u32_e32 v29, 32, v26
	v_mov_b32_e32 v18, v11
	v_subrev_u32_e32 v26, 28, v29
	v_lshlrev_b64 v[26:27], v26, v[18:19]
	v_lshrrev_b32_e32 v25, 3, v10
	v_sub_u32_e32 v18, 29, v29
	v_and_b32_e32 v26, 7, v26
	v_cmp_gt_u32_e32 vcc, 8, v10
	v_cndmask_b32_e32 v10, v25, v18, vcc
	v_cndmask_b32_e32 v18, v21, v26, vcc
	v_lshlrev_b32_e32 v21, 24, v11
	v_bfrev_b32_e32 v25, 60
	v_lshlrev_b32_e32 v18, 20, v18
	v_and_b32_e32 v21, 0x80000000, v21
	v_lshl_add_u32 v10, v10, 23, v25
	v_or3_b32 v21, v21, v10, v18
.LBB608_523:
	s_or_b64 exec, exec, s[10:11]
.LBB608_524:
	s_or_b64 exec, exec, s[8:9]
.LBB608_525:
	s_or_b64 exec, exec, s[2:3]
	v_lshrrev_b16_e32 v10, 8, v11
	v_cmp_ne_u16_e32 vcc, 0, v10
	v_mov_b32_e32 v25, 0
	v_mov_b32_e32 v26, 0
	s_and_saveexec_b64 s[2:3], vcc
	s_cbranch_execz .LBB608_531
; %bb.526:
	s_movk_i32 s7, 0x80
	v_cmp_ne_u16_e32 vcc, s7, v10
	v_bfrev_b32_e32 v26, 1
	s_and_saveexec_b64 s[8:9], vcc
	s_cbranch_execz .LBB608_530
; %bb.527:
	s_movk_i32 s7, 0x7f
	v_and_b32_e32 v18, 0x7f, v10
	v_cmp_ne_u32_e32 vcc, s7, v18
	v_mov_b32_e32 v26, 0x7f800001
	s_and_saveexec_b64 s[10:11], vcc
	s_cbranch_execz .LBB608_529
; %bb.528:
	v_and_b32_e32 v29, 7, v10
	v_ffbh_u32_e32 v26, v29
	v_min_u32_e32 v31, 32, v26
	v_subrev_u32_e32 v26, 28, v31
	v_lshlrev_b64 v[26:27], v26, v[10:11]
	v_lshrrev_b32_e32 v30, 3, v18
	v_sub_u32_e32 v10, 29, v31
	v_and_b32_e32 v26, 7, v26
	v_cmp_gt_u32_e32 vcc, 8, v18
	v_cndmask_b32_e32 v10, v30, v10, vcc
	v_cndmask_b32_e32 v18, v29, v26, vcc
	v_lshlrev_b32_e32 v26, 16, v11
	v_bfrev_b32_e32 v27, 60
	v_lshlrev_b32_e32 v18, 20, v18
	v_and_b32_e32 v26, 0x80000000, v26
	v_lshl_add_u32 v10, v10, 23, v27
	v_or3_b32 v26, v26, v10, v18
.LBB608_529:
	s_or_b64 exec, exec, s[10:11]
.LBB608_530:
	s_or_b64 exec, exec, s[8:9]
.LBB608_531:
	s_or_b64 exec, exec, s[2:3]
	s_movk_i32 s2, 0xff
	v_and_b32_sdwa v18, v11, s2 dst_sel:DWORD dst_unused:UNUSED_PAD src0_sel:WORD_1 src1_sel:DWORD
	v_lshrrev_b32_e32 v10, 16, v11
	v_cmp_ne_u16_e32 vcc, 0, v18
	s_and_saveexec_b64 s[2:3], vcc
	s_cbranch_execz .LBB608_537
; %bb.532:
	s_movk_i32 s7, 0x80
	v_cmp_ne_u16_e32 vcc, s7, v18
	v_bfrev_b32_e32 v25, 1
	s_and_saveexec_b64 s[8:9], vcc
	s_cbranch_execz .LBB608_536
; %bb.533:
	v_bfe_u32 v18, v11, 16, 7
	s_movk_i32 s7, 0x7f
	v_cmp_ne_u32_e32 vcc, s7, v18
	v_mov_b32_e32 v25, 0x7f800001
	s_and_saveexec_b64 s[10:11], vcc
	s_cbranch_execz .LBB608_535
; %bb.534:
	v_and_b32_e32 v25, 7, v10
	v_ffbh_u32_e32 v29, v25
	v_min_u32_e32 v29, 32, v29
	v_subrev_u32_e32 v30, 28, v29
	v_lshlrev_b64 v[30:31], v30, v[10:11]
	v_sub_u32_e32 v10, 29, v29
	v_and_b32_e32 v29, 7, v30
	v_cmp_gt_u32_e32 vcc, 8, v18
	v_lshrrev_b32_e32 v27, 3, v18
	v_cndmask_b32_e32 v18, v25, v29, vcc
	v_mov_b32_e32 v25, 24
	v_cndmask_b32_e32 v10, v27, v10, vcc
	v_lshlrev_b32_sdwa v25, v25, v11 dst_sel:DWORD dst_unused:UNUSED_PAD src0_sel:DWORD src1_sel:WORD_1
	v_bfrev_b32_e32 v27, 60
	v_lshlrev_b32_e32 v18, 20, v18
	v_and_b32_e32 v25, 0x80000000, v25
	v_lshl_add_u32 v10, v10, 23, v27
	v_or3_b32 v25, v25, v10, v18
.LBB608_535:
	s_or_b64 exec, exec, s[10:11]
.LBB608_536:
	s_or_b64 exec, exec, s[8:9]
.LBB608_537:
	s_or_b64 exec, exec, s[2:3]
	s_mov_b32 s2, 0xffffff
	v_cmp_lt_u32_e32 vcc, s2, v11
	v_mov_b32_e32 v18, 0
	v_mov_b32_e32 v27, 0
	s_and_saveexec_b64 s[2:3], vcc
	s_cbranch_execz .LBB608_543
; %bb.538:
	v_lshrrev_b32_e32 v10, 24, v11
	s_movk_i32 s7, 0x80
	v_cmp_ne_u32_e32 vcc, s7, v10
	v_bfrev_b32_e32 v27, 1
	s_and_saveexec_b64 s[8:9], vcc
	s_cbranch_execz .LBB608_542
; %bb.539:
	v_bfe_u32 v11, v11, 24, 7
	s_movk_i32 s7, 0x7f
	v_cmp_ne_u32_e32 vcc, s7, v11
	v_mov_b32_e32 v27, 0x7f800001
	s_and_saveexec_b64 s[10:11], vcc
	s_cbranch_execz .LBB608_541
; %bb.540:
	v_and_b32_e32 v27, 7, v10
	v_ffbh_u32_e32 v30, v27
	v_min_u32_e32 v32, 32, v30
	v_subrev_u32_e32 v30, 28, v32
	v_lshlrev_b64 v[30:31], v30, v[10:11]
	v_lshrrev_b32_e32 v29, 3, v11
	v_sub_u32_e32 v31, 29, v32
	v_and_b32_e32 v30, 7, v30
	v_cmp_gt_u32_e32 vcc, 8, v11
	v_cndmask_b32_e32 v11, v29, v31, vcc
	v_cndmask_b32_e32 v27, v27, v30, vcc
	v_lshlrev_b32_e32 v10, 24, v10
	v_bfrev_b32_e32 v29, 60
	v_lshlrev_b32_e32 v27, 20, v27
	v_and_b32_e32 v10, 0x80000000, v10
	v_lshl_add_u32 v11, v11, 23, v29
	v_or3_b32 v27, v10, v11, v27
.LBB608_541:
	s_or_b64 exec, exec, s[10:11]
.LBB608_542:
	s_or_b64 exec, exec, s[8:9]
.LBB608_543:
	s_or_b64 exec, exec, s[2:3]
	v_cvt_pkrtz_f16_f32 v10, v24, v20
	v_cvt_pkrtz_f16_f32 v11, v19, v23
	ds_read_b128 v[30:33], v22 offset:2048
	v_cmp_ne_u16_sdwa s[8:9], v12, v18 src0_sel:BYTE_0 src1_sel:DWORD
	s_waitcnt lgkmcnt(0)
	v_mfma_f32_16x16x16f16 v[14:17], v[10:11], v[30:31], v[14:17]
	v_cvt_pkrtz_f16_f32 v10, v21, v26
	v_cvt_pkrtz_f16_f32 v11, v25, v27
	s_nop 1
	v_mfma_f32_16x16x16f16 v[14:17], v[10:11], v[32:33], v[14:17]
	s_and_saveexec_b64 s[2:3], s[8:9]
	s_cbranch_execz .LBB608_549
; %bb.544:
	s_movk_i32 s7, 0x80
	v_cmp_ne_u16_sdwa s[10:11], v12, s7 src0_sel:BYTE_0 src1_sel:DWORD
	v_bfrev_b32_e32 v18, 1
	s_and_saveexec_b64 s[8:9], s[10:11]
	s_cbranch_execz .LBB608_548
; %bb.545:
	s_movk_i32 s7, 0x7f
	v_and_b32_e32 v10, 0x7f, v12
	v_cmp_ne_u32_e32 vcc, s7, v10
	v_mov_b32_e32 v18, 0x7f800001
	s_and_saveexec_b64 s[10:11], vcc
	s_cbranch_execz .LBB608_547
; %bb.546:
	v_and_b32_e32 v11, 7, v12
	v_ffbh_u32_e32 v18, v11
	v_min_u32_e32 v21, 32, v18
	v_subrev_u32_e32 v18, 28, v21
	v_lshlrev_b64 v[18:19], v18, v[12:13]
	v_lshrrev_b32_e32 v20, 3, v10
	v_sub_u32_e32 v19, 29, v21
	v_and_b32_e32 v18, 7, v18
	v_cmp_gt_u32_e32 vcc, 8, v10
	v_cndmask_b32_e32 v10, v20, v19, vcc
	v_cndmask_b32_e32 v11, v11, v18, vcc
	v_lshlrev_b32_e32 v18, 24, v12
	v_bfrev_b32_e32 v19, 60
	v_lshlrev_b32_e32 v11, 20, v11
	v_and_b32_e32 v18, 0x80000000, v18
	v_lshl_add_u32 v10, v10, 23, v19
	v_or3_b32 v18, v18, v10, v11
.LBB608_547:
	s_or_b64 exec, exec, s[10:11]
.LBB608_548:
	s_or_b64 exec, exec, s[8:9]
.LBB608_549:
	s_or_b64 exec, exec, s[2:3]
	v_lshrrev_b16_e32 v10, 8, v12
	v_cmp_ne_u16_e32 vcc, 0, v10
	v_mov_b32_e32 v11, 0
	v_mov_b32_e32 v20, 0
	s_and_saveexec_b64 s[2:3], vcc
	s_cbranch_execz .LBB608_555
; %bb.550:
	s_movk_i32 s7, 0x80
	v_cmp_ne_u16_e32 vcc, s7, v10
	v_bfrev_b32_e32 v20, 1
	s_and_saveexec_b64 s[8:9], vcc
	s_cbranch_execz .LBB608_554
; %bb.551:
	s_movk_i32 s7, 0x7f
	v_and_b32_e32 v19, 0x7f, v10
	v_cmp_ne_u32_e32 vcc, s7, v19
	v_mov_b32_e32 v20, 0x7f800001
	s_and_saveexec_b64 s[10:11], vcc
	s_cbranch_execz .LBB608_553
; %bb.552:
	v_and_b32_e32 v23, 7, v10
	v_ffbh_u32_e32 v20, v23
	v_min_u32_e32 v25, 32, v20
	v_subrev_u32_e32 v20, 28, v25
	v_lshlrev_b64 v[20:21], v20, v[10:11]
	v_lshrrev_b32_e32 v24, 3, v19
	v_sub_u32_e32 v10, 29, v25
	v_and_b32_e32 v20, 7, v20
	v_cmp_gt_u32_e32 vcc, 8, v19
	v_cndmask_b32_e32 v10, v24, v10, vcc
	v_cndmask_b32_e32 v19, v23, v20, vcc
	v_lshlrev_b32_e32 v20, 16, v12
	v_bfrev_b32_e32 v21, 60
	v_lshlrev_b32_e32 v19, 20, v19
	v_and_b32_e32 v20, 0x80000000, v20
	v_lshl_add_u32 v10, v10, 23, v21
	v_or3_b32 v20, v20, v10, v19
.LBB608_553:
	s_or_b64 exec, exec, s[10:11]
.LBB608_554:
	s_or_b64 exec, exec, s[8:9]
.LBB608_555:
	s_or_b64 exec, exec, s[2:3]
	s_movk_i32 s2, 0xff
	v_and_b32_sdwa v19, v12, s2 dst_sel:DWORD dst_unused:UNUSED_PAD src0_sel:WORD_1 src1_sel:DWORD
	v_lshrrev_b32_e32 v10, 16, v12
	v_cmp_ne_u16_e32 vcc, 0, v19
	s_and_saveexec_b64 s[2:3], vcc
	s_cbranch_execz .LBB608_561
; %bb.556:
	s_movk_i32 s7, 0x80
	v_cmp_ne_u16_e32 vcc, s7, v19
	v_bfrev_b32_e32 v11, 1
	s_and_saveexec_b64 s[8:9], vcc
	s_cbranch_execz .LBB608_560
; %bb.557:
	v_bfe_u32 v19, v12, 16, 7
	s_movk_i32 s7, 0x7f
	v_cmp_ne_u32_e32 vcc, s7, v19
	v_mov_b32_e32 v11, 0x7f800001
	s_and_saveexec_b64 s[10:11], vcc
	s_cbranch_execz .LBB608_559
; %bb.558:
	v_and_b32_e32 v21, 7, v10
	v_ffbh_u32_e32 v11, v21
	v_min_u32_e32 v24, 32, v11
	v_subrev_u32_e32 v11, 28, v24
	v_lshlrev_b64 v[10:11], v11, v[10:11]
	v_lshrrev_b32_e32 v23, 3, v19
	v_sub_u32_e32 v11, 29, v24
	v_and_b32_e32 v10, 7, v10
	v_cmp_gt_u32_e32 vcc, 8, v19
	v_mov_b32_e32 v19, 24
	v_cndmask_b32_e32 v11, v23, v11, vcc
	v_cndmask_b32_e32 v10, v21, v10, vcc
	v_lshlrev_b32_sdwa v19, v19, v12 dst_sel:DWORD dst_unused:UNUSED_PAD src0_sel:DWORD src1_sel:WORD_1
	v_bfrev_b32_e32 v21, 60
	v_lshlrev_b32_e32 v10, 20, v10
	v_and_b32_e32 v19, 0x80000000, v19
	v_lshl_add_u32 v11, v11, 23, v21
	v_or3_b32 v11, v19, v11, v10
.LBB608_559:
	s_or_b64 exec, exec, s[10:11]
.LBB608_560:
	s_or_b64 exec, exec, s[8:9]
.LBB608_561:
	s_or_b64 exec, exec, s[2:3]
	s_mov_b32 s2, 0xffffff
	v_cmp_lt_u32_e32 vcc, s2, v12
	v_mov_b32_e32 v21, 0
	v_mov_b32_e32 v23, 0
	s_and_saveexec_b64 s[2:3], vcc
	s_cbranch_execz .LBB608_567
; %bb.562:
	v_lshrrev_b32_e32 v10, 24, v12
	s_movk_i32 s7, 0x80
	v_cmp_ne_u32_e32 vcc, s7, v10
	v_bfrev_b32_e32 v23, 1
	s_and_saveexec_b64 s[8:9], vcc
	s_cbranch_execz .LBB608_566
; %bb.563:
	v_bfe_u32 v12, v12, 24, 7
	s_movk_i32 s7, 0x7f
	v_cmp_ne_u32_e32 vcc, s7, v12
	v_mov_b32_e32 v23, 0x7f800001
	s_and_saveexec_b64 s[10:11], vcc
	s_cbranch_execz .LBB608_565
; %bb.564:
	v_and_b32_e32 v19, 7, v10
	v_ffbh_u32_e32 v24, v19
	v_min_u32_e32 v26, 32, v24
	v_subrev_u32_e32 v24, 28, v26
	v_lshlrev_b64 v[24:25], v24, v[10:11]
	v_lshrrev_b32_e32 v23, 3, v12
	v_sub_u32_e32 v25, 29, v26
	v_and_b32_e32 v24, 7, v24
	v_cmp_gt_u32_e32 vcc, 8, v12
	v_cndmask_b32_e32 v12, v23, v25, vcc
	v_cndmask_b32_e32 v19, v19, v24, vcc
	v_lshlrev_b32_e32 v10, 24, v10
	v_bfrev_b32_e32 v23, 60
	v_lshlrev_b32_e32 v19, 20, v19
	v_and_b32_e32 v10, 0x80000000, v10
	v_lshl_add_u32 v12, v12, 23, v23
	v_or3_b32 v23, v10, v12, v19
.LBB608_565:
	s_or_b64 exec, exec, s[10:11]
.LBB608_566:
	s_or_b64 exec, exec, s[8:9]
.LBB608_567:
	s_or_b64 exec, exec, s[2:3]
	v_cmp_ne_u16_sdwa s[8:9], v13, v21 src0_sel:BYTE_0 src1_sel:DWORD
	s_and_saveexec_b64 s[2:3], s[8:9]
	s_cbranch_execz .LBB608_573
; %bb.568:
	s_movk_i32 s7, 0x80
	v_cmp_ne_u16_sdwa s[10:11], v13, s7 src0_sel:BYTE_0 src1_sel:DWORD
	v_bfrev_b32_e32 v21, 1
	s_and_saveexec_b64 s[8:9], s[10:11]
	s_cbranch_execz .LBB608_572
; %bb.569:
	s_movk_i32 s7, 0x7f
	v_and_b32_e32 v10, 0x7f, v13
	v_cmp_ne_u32_e32 vcc, s7, v10
	v_mov_b32_e32 v21, 0x7f800001
	s_and_saveexec_b64 s[10:11], vcc
	s_cbranch_execz .LBB608_571
; %bb.570:
	v_and_b32_e32 v19, 7, v13
	v_ffbh_u32_e32 v24, v19
	v_min_u32_e32 v26, 32, v24
	v_mov_b32_e32 v12, v13
	v_subrev_u32_e32 v24, 28, v26
	v_lshlrev_b64 v[24:25], v24, v[12:13]
	v_lshrrev_b32_e32 v21, 3, v10
	v_sub_u32_e32 v12, 29, v26
	v_and_b32_e32 v24, 7, v24
	v_cmp_gt_u32_e32 vcc, 8, v10
	v_cndmask_b32_e32 v10, v21, v12, vcc
	v_cndmask_b32_e32 v12, v19, v24, vcc
	v_lshlrev_b32_e32 v19, 24, v13
	v_bfrev_b32_e32 v21, 60
	v_lshlrev_b32_e32 v12, 20, v12
	v_and_b32_e32 v19, 0x80000000, v19
	v_lshl_add_u32 v10, v10, 23, v21
	v_or3_b32 v21, v19, v10, v12
.LBB608_571:
	s_or_b64 exec, exec, s[10:11]
.LBB608_572:
	s_or_b64 exec, exec, s[8:9]
.LBB608_573:
	s_or_b64 exec, exec, s[2:3]
	v_lshrrev_b16_e32 v10, 8, v13
	v_cmp_ne_u16_e32 vcc, 0, v10
	v_mov_b32_e32 v12, 0
	v_mov_b32_e32 v24, 0
	s_and_saveexec_b64 s[2:3], vcc
	s_cbranch_execz .LBB608_579
; %bb.574:
	s_movk_i32 s7, 0x80
	v_cmp_ne_u16_e32 vcc, s7, v10
	v_bfrev_b32_e32 v24, 1
	s_and_saveexec_b64 s[8:9], vcc
	s_cbranch_execz .LBB608_578
; %bb.575:
	s_movk_i32 s7, 0x7f
	v_and_b32_e32 v19, 0x7f, v10
	v_cmp_ne_u32_e32 vcc, s7, v19
	v_mov_b32_e32 v24, 0x7f800001
	s_and_saveexec_b64 s[10:11], vcc
	s_cbranch_execz .LBB608_577
; %bb.576:
	v_and_b32_e32 v26, 7, v10
	v_ffbh_u32_e32 v24, v26
	v_min_u32_e32 v29, 32, v24
	v_subrev_u32_e32 v24, 28, v29
	v_lshlrev_b64 v[24:25], v24, v[10:11]
	v_lshrrev_b32_e32 v27, 3, v19
	v_sub_u32_e32 v10, 29, v29
	v_and_b32_e32 v24, 7, v24
	v_cmp_gt_u32_e32 vcc, 8, v19
	v_cndmask_b32_e32 v10, v27, v10, vcc
	v_cndmask_b32_e32 v19, v26, v24, vcc
	v_lshlrev_b32_e32 v24, 16, v13
	v_bfrev_b32_e32 v25, 60
	v_lshlrev_b32_e32 v19, 20, v19
	v_and_b32_e32 v24, 0x80000000, v24
	v_lshl_add_u32 v10, v10, 23, v25
	v_or3_b32 v24, v24, v10, v19
.LBB608_577:
	s_or_b64 exec, exec, s[10:11]
.LBB608_578:
	s_or_b64 exec, exec, s[8:9]
.LBB608_579:
	s_or_b64 exec, exec, s[2:3]
	s_movk_i32 s2, 0xff
	v_and_b32_sdwa v19, v13, s2 dst_sel:DWORD dst_unused:UNUSED_PAD src0_sel:WORD_1 src1_sel:DWORD
	v_lshrrev_b32_e32 v10, 16, v13
	v_cmp_ne_u16_e32 vcc, 0, v19
	s_and_saveexec_b64 s[2:3], vcc
	s_cbranch_execz .LBB608_585
; %bb.580:
	s_movk_i32 s7, 0x80
	v_cmp_ne_u16_e32 vcc, s7, v19
	v_bfrev_b32_e32 v12, 1
	s_and_saveexec_b64 s[8:9], vcc
	s_cbranch_execz .LBB608_584
; %bb.581:
	v_bfe_u32 v19, v13, 16, 7
	s_movk_i32 s7, 0x7f
	v_cmp_ne_u32_e32 vcc, s7, v19
	v_mov_b32_e32 v12, 0x7f800001
	s_and_saveexec_b64 s[10:11], vcc
	s_cbranch_execz .LBB608_583
; %bb.582:
	v_and_b32_e32 v12, 7, v10
	v_ffbh_u32_e32 v26, v12
	v_min_u32_e32 v29, 32, v26
	v_subrev_u32_e32 v26, 28, v29
	v_lshlrev_b64 v[26:27], v26, v[10:11]
	v_lshrrev_b32_e32 v25, 3, v19
	v_sub_u32_e32 v10, 29, v29
	v_and_b32_e32 v26, 7, v26
	v_cmp_gt_u32_e32 vcc, 8, v19
	v_mov_b32_e32 v19, 24
	v_cndmask_b32_e32 v10, v25, v10, vcc
	v_cndmask_b32_e32 v12, v12, v26, vcc
	v_lshlrev_b32_sdwa v19, v19, v13 dst_sel:DWORD dst_unused:UNUSED_PAD src0_sel:DWORD src1_sel:WORD_1
	v_bfrev_b32_e32 v25, 60
	v_lshlrev_b32_e32 v12, 20, v12
	v_and_b32_e32 v19, 0x80000000, v19
	v_lshl_add_u32 v10, v10, 23, v25
	v_or3_b32 v12, v19, v10, v12
.LBB608_583:
	s_or_b64 exec, exec, s[10:11]
.LBB608_584:
	s_or_b64 exec, exec, s[8:9]
.LBB608_585:
	s_or_b64 exec, exec, s[2:3]
	s_mov_b32 s2, 0xffffff
	v_cmp_lt_u32_e32 vcc, s2, v13
	v_mov_b32_e32 v19, 0
	v_mov_b32_e32 v25, 0
	s_and_saveexec_b64 s[2:3], vcc
	s_cbranch_execz .LBB608_591
; %bb.586:
	v_lshrrev_b32_e32 v10, 24, v13
	s_movk_i32 s7, 0x80
	v_cmp_ne_u32_e32 vcc, s7, v10
	v_bfrev_b32_e32 v25, 1
	s_and_saveexec_b64 s[8:9], vcc
	s_cbranch_execz .LBB608_590
; %bb.587:
	v_bfe_u32 v13, v13, 24, 7
	s_movk_i32 s7, 0x7f
	v_cmp_ne_u32_e32 vcc, s7, v13
	v_mov_b32_e32 v25, 0x7f800001
	s_and_saveexec_b64 s[10:11], vcc
	s_cbranch_execz .LBB608_589
; %bb.588:
	v_and_b32_e32 v25, 7, v10
	v_ffbh_u32_e32 v26, v25
	v_min_u32_e32 v30, 32, v26
	v_subrev_u32_e32 v26, 28, v30
	v_lshlrev_b64 v[26:27], v26, v[10:11]
	v_lshrrev_b32_e32 v29, 3, v13
	v_sub_u32_e32 v27, 29, v30
	v_and_b32_e32 v26, 7, v26
	v_cmp_gt_u32_e32 vcc, 8, v13
	v_cndmask_b32_e32 v13, v29, v27, vcc
	v_cndmask_b32_e32 v25, v25, v26, vcc
	v_lshlrev_b32_e32 v10, 24, v10
	v_bfrev_b32_e32 v26, 60
	v_lshlrev_b32_e32 v25, 20, v25
	v_and_b32_e32 v10, 0x80000000, v10
	v_lshl_add_u32 v13, v13, 23, v26
	v_or3_b32 v25, v10, v13, v25
.LBB608_589:
	s_or_b64 exec, exec, s[10:11]
.LBB608_590:
	s_or_b64 exec, exec, s[8:9]
.LBB608_591:
	s_or_b64 exec, exec, s[2:3]
	v_cvt_pkrtz_f16_f32 v10, v18, v20
	v_cvt_pkrtz_f16_f32 v11, v11, v23
	ds_read_b128 v[30:33], v22 offset:2064
	s_waitcnt vmcnt(1)
	v_cmp_ne_u16_sdwa s[8:9], v6, v19 src0_sel:BYTE_0 src1_sel:DWORD
	s_waitcnt lgkmcnt(0)
	v_mfma_f32_16x16x16f16 v[14:17], v[10:11], v[30:31], v[14:17]
	v_cvt_pkrtz_f16_f32 v10, v21, v24
	v_cvt_pkrtz_f16_f32 v11, v12, v25
	s_nop 1
	v_mfma_f32_16x16x16f16 v[10:13], v[10:11], v[32:33], v[14:17]
	s_and_saveexec_b64 s[2:3], s[8:9]
	s_cbranch_execz .LBB608_597
; %bb.592:
	s_movk_i32 s7, 0x80
	v_cmp_ne_u16_sdwa s[10:11], v6, s7 src0_sel:BYTE_0 src1_sel:DWORD
	v_bfrev_b32_e32 v19, 1
	s_and_saveexec_b64 s[8:9], s[10:11]
	s_cbranch_execz .LBB608_596
; %bb.593:
	s_movk_i32 s7, 0x7f
	v_and_b32_e32 v14, 0x7f, v6
	v_cmp_ne_u32_e32 vcc, s7, v14
	v_mov_b32_e32 v19, 0x7f800001
	s_and_saveexec_b64 s[10:11], vcc
	s_cbranch_execz .LBB608_595
; %bb.594:
	v_and_b32_e32 v15, 7, v6
	v_ffbh_u32_e32 v16, v15
	v_min_u32_e32 v19, 32, v16
	v_subrev_u32_e32 v16, 28, v19
	v_lshlrev_b64 v[16:17], v16, v[6:7]
	v_lshrrev_b32_e32 v18, 3, v14
	v_sub_u32_e32 v17, 29, v19
	v_and_b32_e32 v16, 7, v16
	v_cmp_gt_u32_e32 vcc, 8, v14
	v_cndmask_b32_e32 v14, v18, v17, vcc
	v_cndmask_b32_e32 v15, v15, v16, vcc
	v_lshlrev_b32_e32 v16, 24, v6
	v_bfrev_b32_e32 v17, 60
	v_lshlrev_b32_e32 v15, 20, v15
	v_and_b32_e32 v16, 0x80000000, v16
	v_lshl_add_u32 v14, v14, 23, v17
	v_or3_b32 v19, v16, v14, v15
.LBB608_595:
	s_or_b64 exec, exec, s[10:11]
.LBB608_596:
	s_or_b64 exec, exec, s[8:9]
.LBB608_597:
	s_or_b64 exec, exec, s[2:3]
	s_nop 3
	v_lshrrev_b16_e32 v14, 8, v6
	v_cmp_ne_u16_e32 vcc, 0, v14
	v_mov_b32_e32 v15, 0
	v_mov_b32_e32 v16, 0
	s_and_saveexec_b64 s[2:3], vcc
	s_cbranch_execz .LBB608_603
; %bb.598:
	s_movk_i32 s7, 0x80
	v_cmp_ne_u16_e32 vcc, s7, v14
	v_bfrev_b32_e32 v16, 1
	s_and_saveexec_b64 s[8:9], vcc
	s_cbranch_execz .LBB608_602
; %bb.599:
	s_movk_i32 s7, 0x7f
	v_and_b32_e32 v17, 0x7f, v14
	v_cmp_ne_u32_e32 vcc, s7, v17
	v_mov_b32_e32 v16, 0x7f800001
	s_and_saveexec_b64 s[10:11], vcc
	s_cbranch_execz .LBB608_601
; %bb.600:
	v_and_b32_e32 v16, 7, v14
	v_ffbh_u32_e32 v20, v16
	v_min_u32_e32 v23, 32, v20
	v_subrev_u32_e32 v20, 28, v23
	v_lshlrev_b64 v[20:21], v20, v[14:15]
	v_lshrrev_b32_e32 v18, 3, v17
	v_sub_u32_e32 v14, 29, v23
	v_and_b32_e32 v20, 7, v20
	v_cmp_gt_u32_e32 vcc, 8, v17
	v_cndmask_b32_e32 v14, v18, v14, vcc
	v_cndmask_b32_e32 v16, v16, v20, vcc
	v_lshlrev_b32_e32 v17, 16, v6
	v_bfrev_b32_e32 v18, 60
	v_lshlrev_b32_e32 v16, 20, v16
	v_and_b32_e32 v17, 0x80000000, v17
	v_lshl_add_u32 v14, v14, 23, v18
	v_or3_b32 v16, v17, v14, v16
.LBB608_601:
	s_or_b64 exec, exec, s[10:11]
.LBB608_602:
	s_or_b64 exec, exec, s[8:9]
.LBB608_603:
	s_or_b64 exec, exec, s[2:3]
	s_movk_i32 s2, 0xff
	v_and_b32_sdwa v17, v6, s2 dst_sel:DWORD dst_unused:UNUSED_PAD src0_sel:WORD_1 src1_sel:DWORD
	v_lshrrev_b32_e32 v14, 16, v6
	v_cmp_ne_u16_e32 vcc, 0, v17
	s_and_saveexec_b64 s[2:3], vcc
	s_cbranch_execz .LBB608_609
; %bb.604:
	s_movk_i32 s7, 0x80
	v_cmp_ne_u16_e32 vcc, s7, v17
	v_bfrev_b32_e32 v15, 1
	s_and_saveexec_b64 s[8:9], vcc
	s_cbranch_execz .LBB608_608
; %bb.605:
	v_bfe_u32 v17, v6, 16, 7
	s_movk_i32 s7, 0x7f
	v_cmp_ne_u32_e32 vcc, s7, v17
	v_mov_b32_e32 v15, 0x7f800001
	s_and_saveexec_b64 s[10:11], vcc
	s_cbranch_execz .LBB608_607
; %bb.606:
	v_and_b32_e32 v18, 7, v14
	v_ffbh_u32_e32 v15, v18
	v_min_u32_e32 v21, 32, v15
	v_subrev_u32_e32 v15, 28, v21
	v_lshlrev_b64 v[14:15], v15, v[14:15]
	v_lshrrev_b32_e32 v20, 3, v17
	v_sub_u32_e32 v15, 29, v21
	v_and_b32_e32 v14, 7, v14
	v_cmp_gt_u32_e32 vcc, 8, v17
	v_mov_b32_e32 v17, 24
	v_cndmask_b32_e32 v15, v20, v15, vcc
	v_cndmask_b32_e32 v14, v18, v14, vcc
	v_lshlrev_b32_sdwa v17, v17, v6 dst_sel:DWORD dst_unused:UNUSED_PAD src0_sel:DWORD src1_sel:WORD_1
	v_bfrev_b32_e32 v18, 60
	v_lshlrev_b32_e32 v14, 20, v14
	v_and_b32_e32 v17, 0x80000000, v17
	v_lshl_add_u32 v15, v15, 23, v18
	v_or3_b32 v15, v17, v15, v14
.LBB608_607:
	s_or_b64 exec, exec, s[10:11]
.LBB608_608:
	s_or_b64 exec, exec, s[8:9]
.LBB608_609:
	s_or_b64 exec, exec, s[2:3]
	s_mov_b32 s2, 0xffffff
	v_cmp_lt_u32_e32 vcc, s2, v6
	v_mov_b32_e32 v17, 0
	v_mov_b32_e32 v18, 0
	s_and_saveexec_b64 s[2:3], vcc
	s_cbranch_execz .LBB608_615
; %bb.610:
	v_lshrrev_b32_e32 v14, 24, v6
	s_movk_i32 s7, 0x80
	v_cmp_ne_u32_e32 vcc, s7, v14
	v_bfrev_b32_e32 v18, 1
	s_and_saveexec_b64 s[8:9], vcc
	s_cbranch_execz .LBB608_614
; %bb.611:
	v_bfe_u32 v6, v6, 24, 7
	s_movk_i32 s7, 0x7f
	v_cmp_ne_u32_e32 vcc, s7, v6
	v_mov_b32_e32 v18, 0x7f800001
	s_and_saveexec_b64 s[10:11], vcc
	s_cbranch_execz .LBB608_613
; %bb.612:
	v_and_b32_e32 v18, 7, v14
	v_ffbh_u32_e32 v20, v18
	v_min_u32_e32 v24, 32, v20
	v_subrev_u32_e32 v20, 28, v24
	v_lshlrev_b64 v[20:21], v20, v[14:15]
	v_lshrrev_b32_e32 v23, 3, v6
	v_sub_u32_e32 v21, 29, v24
	v_and_b32_e32 v20, 7, v20
	v_cmp_gt_u32_e32 vcc, 8, v6
	v_cndmask_b32_e32 v6, v23, v21, vcc
	v_cndmask_b32_e32 v18, v18, v20, vcc
	v_lshlrev_b32_e32 v14, 24, v14
	v_bfrev_b32_e32 v20, 60
	v_lshlrev_b32_e32 v18, 20, v18
	v_and_b32_e32 v14, 0x80000000, v14
	v_lshl_add_u32 v6, v6, 23, v20
	v_or3_b32 v18, v14, v6, v18
.LBB608_613:
	s_or_b64 exec, exec, s[10:11]
.LBB608_614:
	s_or_b64 exec, exec, s[8:9]
.LBB608_615:
	s_or_b64 exec, exec, s[2:3]
	v_cmp_ne_u16_sdwa s[8:9], v7, v17 src0_sel:BYTE_0 src1_sel:DWORD
	s_and_saveexec_b64 s[2:3], s[8:9]
	s_cbranch_execz .LBB608_621
; %bb.616:
	s_movk_i32 s7, 0x80
	v_cmp_ne_u16_sdwa s[10:11], v7, s7 src0_sel:BYTE_0 src1_sel:DWORD
	v_bfrev_b32_e32 v17, 1
	s_and_saveexec_b64 s[8:9], s[10:11]
	s_cbranch_execz .LBB608_620
; %bb.617:
	s_movk_i32 s7, 0x7f
	v_and_b32_e32 v6, 0x7f, v7
	v_cmp_ne_u32_e32 vcc, s7, v6
	v_mov_b32_e32 v17, 0x7f800001
	s_and_saveexec_b64 s[10:11], vcc
	s_cbranch_execz .LBB608_619
; %bb.618:
	v_and_b32_e32 v17, 7, v7
	v_ffbh_u32_e32 v20, v17
	v_min_u32_e32 v24, 32, v20
	v_mov_b32_e32 v14, v7
	v_subrev_u32_e32 v20, 28, v24
	v_lshlrev_b64 v[20:21], v20, v[14:15]
	v_lshrrev_b32_e32 v23, 3, v6
	v_sub_u32_e32 v14, 29, v24
	v_and_b32_e32 v20, 7, v20
	v_cmp_gt_u32_e32 vcc, 8, v6
	v_cndmask_b32_e32 v6, v23, v14, vcc
	v_cndmask_b32_e32 v14, v17, v20, vcc
	v_lshlrev_b32_e32 v17, 24, v7
	v_bfrev_b32_e32 v20, 60
	v_lshlrev_b32_e32 v14, 20, v14
	v_and_b32_e32 v17, 0x80000000, v17
	v_lshl_add_u32 v6, v6, 23, v20
	v_or3_b32 v17, v17, v6, v14
.LBB608_619:
	s_or_b64 exec, exec, s[10:11]
.LBB608_620:
	s_or_b64 exec, exec, s[8:9]
.LBB608_621:
	s_or_b64 exec, exec, s[2:3]
	v_lshrrev_b16_e32 v6, 8, v7
	v_cmp_ne_u16_e32 vcc, 0, v6
	v_mov_b32_e32 v20, 0
	v_mov_b32_e32 v21, 0
	s_and_saveexec_b64 s[2:3], vcc
	s_cbranch_execz .LBB608_627
; %bb.622:
	s_movk_i32 s7, 0x80
	v_cmp_ne_u16_e32 vcc, s7, v6
	v_bfrev_b32_e32 v21, 1
	s_and_saveexec_b64 s[8:9], vcc
	s_cbranch_execz .LBB608_626
; %bb.623:
	s_movk_i32 s7, 0x7f
	v_and_b32_e32 v14, 0x7f, v6
	v_cmp_ne_u32_e32 vcc, s7, v14
	v_mov_b32_e32 v21, 0x7f800001
	s_and_saveexec_b64 s[10:11], vcc
	s_cbranch_execz .LBB608_625
; %bb.624:
	v_and_b32_e32 v21, 7, v6
	v_ffbh_u32_e32 v24, v21
	v_min_u32_e32 v26, 32, v24
	v_subrev_u32_e32 v24, 28, v26
	v_lshlrev_b64 v[24:25], v24, v[6:7]
	v_lshrrev_b32_e32 v23, 3, v14
	v_sub_u32_e32 v6, 29, v26
	v_and_b32_e32 v24, 7, v24
	v_cmp_gt_u32_e32 vcc, 8, v14
	v_cndmask_b32_e32 v6, v23, v6, vcc
	v_cndmask_b32_e32 v14, v21, v24, vcc
	v_lshlrev_b32_e32 v21, 16, v7
	v_bfrev_b32_e32 v23, 60
	v_lshlrev_b32_e32 v14, 20, v14
	v_and_b32_e32 v21, 0x80000000, v21
	v_lshl_add_u32 v6, v6, 23, v23
	v_or3_b32 v21, v21, v6, v14
.LBB608_625:
	s_or_b64 exec, exec, s[10:11]
.LBB608_626:
	s_or_b64 exec, exec, s[8:9]
.LBB608_627:
	s_or_b64 exec, exec, s[2:3]
	s_movk_i32 s2, 0xff
	v_and_b32_sdwa v14, v7, s2 dst_sel:DWORD dst_unused:UNUSED_PAD src0_sel:WORD_1 src1_sel:DWORD
	v_lshrrev_b32_e32 v6, 16, v7
	v_cmp_ne_u16_e32 vcc, 0, v14
	s_and_saveexec_b64 s[2:3], vcc
	s_cbranch_execz .LBB608_633
; %bb.628:
	s_movk_i32 s7, 0x80
	v_cmp_ne_u16_e32 vcc, s7, v14
	v_bfrev_b32_e32 v20, 1
	s_and_saveexec_b64 s[8:9], vcc
	s_cbranch_execz .LBB608_632
; %bb.629:
	v_bfe_u32 v14, v7, 16, 7
	s_movk_i32 s7, 0x7f
	v_cmp_ne_u32_e32 vcc, s7, v14
	v_mov_b32_e32 v20, 0x7f800001
	s_and_saveexec_b64 s[10:11], vcc
	s_cbranch_execz .LBB608_631
; %bb.630:
	v_and_b32_e32 v20, 7, v6
	v_ffbh_u32_e32 v24, v20
	v_min_u32_e32 v26, 32, v24
	v_subrev_u32_e32 v24, 28, v26
	v_lshlrev_b64 v[24:25], v24, v[6:7]
	v_and_b32_e32 v24, 7, v24
	v_cmp_gt_u32_e32 vcc, 8, v14
	v_lshrrev_b32_e32 v23, 3, v14
	v_sub_u32_e32 v6, 29, v26
	v_cndmask_b32_e32 v14, v20, v24, vcc
	v_mov_b32_e32 v20, 24
	v_cndmask_b32_e32 v6, v23, v6, vcc
	v_lshlrev_b32_sdwa v20, v20, v7 dst_sel:DWORD dst_unused:UNUSED_PAD src0_sel:DWORD src1_sel:WORD_1
	v_bfrev_b32_e32 v23, 60
	v_lshlrev_b32_e32 v14, 20, v14
	v_and_b32_e32 v20, 0x80000000, v20
	v_lshl_add_u32 v6, v6, 23, v23
	v_or3_b32 v20, v20, v6, v14
.LBB608_631:
	s_or_b64 exec, exec, s[10:11]
.LBB608_632:
	s_or_b64 exec, exec, s[8:9]
.LBB608_633:
	s_or_b64 exec, exec, s[2:3]
	s_mov_b32 s2, 0xffffff
	v_cmp_lt_u32_e32 vcc, s2, v7
	v_mov_b32_e32 v14, 0
	v_mov_b32_e32 v23, 0
	s_and_saveexec_b64 s[2:3], vcc
	s_cbranch_execz .LBB608_639
; %bb.634:
	v_lshrrev_b32_e32 v6, 24, v7
	s_movk_i32 s7, 0x80
	v_cmp_ne_u32_e32 vcc, s7, v6
	v_bfrev_b32_e32 v23, 1
	s_and_saveexec_b64 s[8:9], vcc
	s_cbranch_execz .LBB608_638
; %bb.635:
	v_bfe_u32 v7, v7, 24, 7
	s_movk_i32 s7, 0x7f
	v_cmp_ne_u32_e32 vcc, s7, v7
	v_mov_b32_e32 v23, 0x7f800001
	s_and_saveexec_b64 s[10:11], vcc
	s_cbranch_execz .LBB608_637
; %bb.636:
	v_and_b32_e32 v23, 7, v6
	v_ffbh_u32_e32 v24, v23
	v_min_u32_e32 v27, 32, v24
	v_subrev_u32_e32 v24, 28, v27
	v_lshlrev_b64 v[24:25], v24, v[6:7]
	v_lshrrev_b32_e32 v26, 3, v7
	v_sub_u32_e32 v25, 29, v27
	v_and_b32_e32 v24, 7, v24
	v_cmp_gt_u32_e32 vcc, 8, v7
	v_cndmask_b32_e32 v7, v26, v25, vcc
	v_cndmask_b32_e32 v23, v23, v24, vcc
	v_lshlrev_b32_e32 v6, 24, v6
	v_bfrev_b32_e32 v24, 60
	v_lshlrev_b32_e32 v23, 20, v23
	v_and_b32_e32 v6, 0x80000000, v6
	v_lshl_add_u32 v7, v7, 23, v24
	v_or3_b32 v23, v6, v7, v23
.LBB608_637:
	s_or_b64 exec, exec, s[10:11]
.LBB608_638:
	s_or_b64 exec, exec, s[8:9]
.LBB608_639:
	s_or_b64 exec, exec, s[2:3]
	v_cvt_pkrtz_f16_f32 v6, v19, v16
	v_cvt_pkrtz_f16_f32 v7, v15, v18
	ds_read_b128 v[24:27], v22 offset:4096
	v_cmp_ne_u16_sdwa s[8:9], v8, v14 src0_sel:BYTE_0 src1_sel:DWORD
	s_waitcnt lgkmcnt(0)
	v_mfma_f32_16x16x16f16 v[10:13], v[6:7], v[24:25], v[10:13]
	v_cvt_pkrtz_f16_f32 v6, v17, v21
	v_cvt_pkrtz_f16_f32 v7, v20, v23
	s_nop 1
	v_mfma_f32_16x16x16f16 v[10:13], v[6:7], v[26:27], v[10:13]
	s_and_saveexec_b64 s[2:3], s[8:9]
	s_cbranch_execz .LBB608_645
; %bb.640:
	s_movk_i32 s7, 0x80
	v_cmp_ne_u16_sdwa s[10:11], v8, s7 src0_sel:BYTE_0 src1_sel:DWORD
	v_bfrev_b32_e32 v14, 1
	s_and_saveexec_b64 s[8:9], s[10:11]
	s_cbranch_execz .LBB608_644
; %bb.641:
	s_movk_i32 s7, 0x7f
	v_and_b32_e32 v6, 0x7f, v8
	v_cmp_ne_u32_e32 vcc, s7, v6
	v_mov_b32_e32 v14, 0x7f800001
	s_and_saveexec_b64 s[10:11], vcc
	s_cbranch_execz .LBB608_643
; %bb.642:
	v_and_b32_e32 v7, 7, v8
	v_ffbh_u32_e32 v14, v7
	v_min_u32_e32 v17, 32, v14
	v_subrev_u32_e32 v14, 28, v17
	v_lshlrev_b64 v[14:15], v14, v[8:9]
	v_lshrrev_b32_e32 v16, 3, v6
	v_sub_u32_e32 v15, 29, v17
	v_and_b32_e32 v14, 7, v14
	v_cmp_gt_u32_e32 vcc, 8, v6
	v_cndmask_b32_e32 v6, v16, v15, vcc
	v_cndmask_b32_e32 v7, v7, v14, vcc
	v_lshlrev_b32_e32 v14, 24, v8
	v_bfrev_b32_e32 v15, 60
	v_lshlrev_b32_e32 v7, 20, v7
	v_and_b32_e32 v14, 0x80000000, v14
	v_lshl_add_u32 v6, v6, 23, v15
	v_or3_b32 v14, v14, v6, v7
.LBB608_643:
	s_or_b64 exec, exec, s[10:11]
.LBB608_644:
	s_or_b64 exec, exec, s[8:9]
.LBB608_645:
	s_or_b64 exec, exec, s[2:3]
	v_lshrrev_b16_e32 v6, 8, v8
	v_cmp_ne_u16_e32 vcc, 0, v6
	v_mov_b32_e32 v7, 0
	v_mov_b32_e32 v16, 0
	s_and_saveexec_b64 s[2:3], vcc
	s_cbranch_execz .LBB608_651
; %bb.646:
	s_movk_i32 s7, 0x80
	v_cmp_ne_u16_e32 vcc, s7, v6
	v_bfrev_b32_e32 v16, 1
	s_and_saveexec_b64 s[8:9], vcc
	s_cbranch_execz .LBB608_650
; %bb.647:
	s_movk_i32 s7, 0x7f
	v_and_b32_e32 v15, 0x7f, v6
	v_cmp_ne_u32_e32 vcc, s7, v15
	v_mov_b32_e32 v16, 0x7f800001
	s_and_saveexec_b64 s[10:11], vcc
	s_cbranch_execz .LBB608_649
; %bb.648:
	v_and_b32_e32 v18, 7, v6
	v_ffbh_u32_e32 v16, v18
	v_min_u32_e32 v20, 32, v16
	v_subrev_u32_e32 v16, 28, v20
	v_lshlrev_b64 v[16:17], v16, v[6:7]
	v_lshrrev_b32_e32 v19, 3, v15
	v_sub_u32_e32 v6, 29, v20
	v_and_b32_e32 v16, 7, v16
	v_cmp_gt_u32_e32 vcc, 8, v15
	v_cndmask_b32_e32 v6, v19, v6, vcc
	v_cndmask_b32_e32 v15, v18, v16, vcc
	v_lshlrev_b32_e32 v16, 16, v8
	v_bfrev_b32_e32 v17, 60
	v_lshlrev_b32_e32 v15, 20, v15
	v_and_b32_e32 v16, 0x80000000, v16
	v_lshl_add_u32 v6, v6, 23, v17
	v_or3_b32 v16, v16, v6, v15
.LBB608_649:
	s_or_b64 exec, exec, s[10:11]
.LBB608_650:
	s_or_b64 exec, exec, s[8:9]
.LBB608_651:
	s_or_b64 exec, exec, s[2:3]
	s_movk_i32 s2, 0xff
	v_and_b32_sdwa v15, v8, s2 dst_sel:DWORD dst_unused:UNUSED_PAD src0_sel:WORD_1 src1_sel:DWORD
	v_lshrrev_b32_e32 v6, 16, v8
	v_cmp_ne_u16_e32 vcc, 0, v15
	s_and_saveexec_b64 s[2:3], vcc
	s_cbranch_execz .LBB608_657
; %bb.652:
	s_movk_i32 s7, 0x80
	v_cmp_ne_u16_e32 vcc, s7, v15
	v_bfrev_b32_e32 v7, 1
	s_and_saveexec_b64 s[8:9], vcc
	s_cbranch_execz .LBB608_656
; %bb.653:
	v_bfe_u32 v15, v8, 16, 7
	s_movk_i32 s7, 0x7f
	v_cmp_ne_u32_e32 vcc, s7, v15
	v_mov_b32_e32 v7, 0x7f800001
	s_and_saveexec_b64 s[10:11], vcc
	s_cbranch_execz .LBB608_655
; %bb.654:
	v_and_b32_e32 v17, 7, v6
	v_ffbh_u32_e32 v7, v17
	v_min_u32_e32 v19, 32, v7
	v_subrev_u32_e32 v7, 28, v19
	v_lshlrev_b64 v[6:7], v7, v[6:7]
	v_lshrrev_b32_e32 v18, 3, v15
	v_sub_u32_e32 v7, 29, v19
	v_and_b32_e32 v6, 7, v6
	v_cmp_gt_u32_e32 vcc, 8, v15
	v_mov_b32_e32 v15, 24
	v_cndmask_b32_e32 v7, v18, v7, vcc
	v_cndmask_b32_e32 v6, v17, v6, vcc
	v_lshlrev_b32_sdwa v15, v15, v8 dst_sel:DWORD dst_unused:UNUSED_PAD src0_sel:DWORD src1_sel:WORD_1
	v_bfrev_b32_e32 v17, 60
	v_lshlrev_b32_e32 v6, 20, v6
	v_and_b32_e32 v15, 0x80000000, v15
	v_lshl_add_u32 v7, v7, 23, v17
	v_or3_b32 v7, v15, v7, v6
.LBB608_655:
	s_or_b64 exec, exec, s[10:11]
.LBB608_656:
	s_or_b64 exec, exec, s[8:9]
.LBB608_657:
	s_or_b64 exec, exec, s[2:3]
	s_mov_b32 s2, 0xffffff
	v_cmp_lt_u32_e32 vcc, s2, v8
	v_mov_b32_e32 v17, 0
	v_mov_b32_e32 v18, 0
	s_and_saveexec_b64 s[2:3], vcc
	s_cbranch_execz .LBB608_663
; %bb.658:
	v_lshrrev_b32_e32 v6, 24, v8
	s_movk_i32 s7, 0x80
	v_cmp_ne_u32_e32 vcc, s7, v6
	v_bfrev_b32_e32 v18, 1
	s_and_saveexec_b64 s[8:9], vcc
	s_cbranch_execz .LBB608_662
; %bb.659:
	v_bfe_u32 v8, v8, 24, 7
	s_movk_i32 s7, 0x7f
	v_cmp_ne_u32_e32 vcc, s7, v8
	v_mov_b32_e32 v18, 0x7f800001
	s_and_saveexec_b64 s[10:11], vcc
	s_cbranch_execz .LBB608_661
; %bb.660:
	v_and_b32_e32 v15, 7, v6
	v_ffbh_u32_e32 v18, v15
	v_min_u32_e32 v21, 32, v18
	v_subrev_u32_e32 v18, 28, v21
	v_lshlrev_b64 v[18:19], v18, v[6:7]
	v_lshrrev_b32_e32 v20, 3, v8
	v_sub_u32_e32 v19, 29, v21
	v_and_b32_e32 v18, 7, v18
	v_cmp_gt_u32_e32 vcc, 8, v8
	v_cndmask_b32_e32 v8, v20, v19, vcc
	v_cndmask_b32_e32 v15, v15, v18, vcc
	v_lshlrev_b32_e32 v6, 24, v6
	v_bfrev_b32_e32 v18, 60
	v_lshlrev_b32_e32 v15, 20, v15
	v_and_b32_e32 v6, 0x80000000, v6
	v_lshl_add_u32 v8, v8, 23, v18
	v_or3_b32 v18, v6, v8, v15
.LBB608_661:
	s_or_b64 exec, exec, s[10:11]
.LBB608_662:
	s_or_b64 exec, exec, s[8:9]
.LBB608_663:
	s_or_b64 exec, exec, s[2:3]
	v_cmp_ne_u16_sdwa s[8:9], v9, v17 src0_sel:BYTE_0 src1_sel:DWORD
	s_and_saveexec_b64 s[2:3], s[8:9]
	s_cbranch_execz .LBB608_669
; %bb.664:
	s_movk_i32 s7, 0x80
	v_cmp_ne_u16_sdwa s[10:11], v9, s7 src0_sel:BYTE_0 src1_sel:DWORD
	v_bfrev_b32_e32 v17, 1
	s_and_saveexec_b64 s[8:9], s[10:11]
	s_cbranch_execz .LBB608_668
; %bb.665:
	s_movk_i32 s7, 0x7f
	v_and_b32_e32 v6, 0x7f, v9
	v_cmp_ne_u32_e32 vcc, s7, v6
	v_mov_b32_e32 v17, 0x7f800001
	s_and_saveexec_b64 s[10:11], vcc
	s_cbranch_execz .LBB608_667
; %bb.666:
	v_and_b32_e32 v15, 7, v9
	v_ffbh_u32_e32 v19, v15
	v_min_u32_e32 v19, 32, v19
	v_mov_b32_e32 v8, v9
	v_subrev_u32_e32 v20, 28, v19
	v_lshlrev_b64 v[20:21], v20, v[8:9]
	v_lshrrev_b32_e32 v17, 3, v6
	v_sub_u32_e32 v8, 29, v19
	v_and_b32_e32 v19, 7, v20
	v_cmp_gt_u32_e32 vcc, 8, v6
	v_cndmask_b32_e32 v6, v17, v8, vcc
	v_cndmask_b32_e32 v8, v15, v19, vcc
	v_lshlrev_b32_e32 v15, 24, v9
	v_bfrev_b32_e32 v17, 60
	v_lshlrev_b32_e32 v8, 20, v8
	v_and_b32_e32 v15, 0x80000000, v15
	v_lshl_add_u32 v6, v6, 23, v17
	v_or3_b32 v17, v15, v6, v8
.LBB608_667:
	s_or_b64 exec, exec, s[10:11]
.LBB608_668:
	s_or_b64 exec, exec, s[8:9]
.LBB608_669:
	s_or_b64 exec, exec, s[2:3]
	v_lshrrev_b16_e32 v6, 8, v9
	v_cmp_ne_u16_e32 vcc, 0, v6
	v_mov_b32_e32 v8, 0
	v_mov_b32_e32 v19, 0
	s_and_saveexec_b64 s[2:3], vcc
	s_cbranch_execz .LBB608_675
; %bb.670:
	s_movk_i32 s7, 0x80
	v_cmp_ne_u16_e32 vcc, s7, v6
	v_bfrev_b32_e32 v19, 1
	s_and_saveexec_b64 s[8:9], vcc
	s_cbranch_execz .LBB608_674
; %bb.671:
	s_movk_i32 s7, 0x7f
	v_and_b32_e32 v15, 0x7f, v6
	v_cmp_ne_u32_e32 vcc, s7, v15
	v_mov_b32_e32 v19, 0x7f800001
	s_and_saveexec_b64 s[10:11], vcc
	s_cbranch_execz .LBB608_673
; %bb.672:
	v_and_b32_e32 v19, 7, v6
	v_ffbh_u32_e32 v20, v19
	v_min_u32_e32 v24, 32, v20
	v_subrev_u32_e32 v20, 28, v24
	v_lshlrev_b64 v[20:21], v20, v[6:7]
	v_lshrrev_b32_e32 v23, 3, v15
	v_sub_u32_e32 v6, 29, v24
	v_and_b32_e32 v20, 7, v20
	v_cmp_gt_u32_e32 vcc, 8, v15
	v_cndmask_b32_e32 v6, v23, v6, vcc
	v_cndmask_b32_e32 v15, v19, v20, vcc
	v_lshlrev_b32_e32 v19, 16, v9
	v_bfrev_b32_e32 v20, 60
	v_lshlrev_b32_e32 v15, 20, v15
	v_and_b32_e32 v19, 0x80000000, v19
	v_lshl_add_u32 v6, v6, 23, v20
	v_or3_b32 v19, v19, v6, v15
.LBB608_673:
	s_or_b64 exec, exec, s[10:11]
.LBB608_674:
	s_or_b64 exec, exec, s[8:9]
.LBB608_675:
	s_or_b64 exec, exec, s[2:3]
	s_movk_i32 s2, 0xff
	v_and_b32_sdwa v15, v9, s2 dst_sel:DWORD dst_unused:UNUSED_PAD src0_sel:WORD_1 src1_sel:DWORD
	v_lshrrev_b32_e32 v6, 16, v9
	v_cmp_ne_u16_e32 vcc, 0, v15
	s_and_saveexec_b64 s[2:3], vcc
	s_cbranch_execz .LBB608_681
; %bb.676:
	s_movk_i32 s7, 0x80
	v_cmp_ne_u16_e32 vcc, s7, v15
	v_bfrev_b32_e32 v8, 1
	s_and_saveexec_b64 s[8:9], vcc
	s_cbranch_execz .LBB608_680
; %bb.677:
	v_bfe_u32 v15, v9, 16, 7
	s_movk_i32 s7, 0x7f
	v_cmp_ne_u32_e32 vcc, s7, v15
	v_mov_b32_e32 v8, 0x7f800001
	s_and_saveexec_b64 s[10:11], vcc
	s_cbranch_execz .LBB608_679
; %bb.678:
	v_and_b32_e32 v8, 7, v6
	v_ffbh_u32_e32 v20, v8
	v_min_u32_e32 v24, 32, v20
	v_subrev_u32_e32 v20, 28, v24
	v_lshlrev_b64 v[20:21], v20, v[6:7]
	v_lshrrev_b32_e32 v23, 3, v15
	v_sub_u32_e32 v6, 29, v24
	v_and_b32_e32 v20, 7, v20
	v_cmp_gt_u32_e32 vcc, 8, v15
	v_mov_b32_e32 v15, 24
	v_cndmask_b32_e32 v6, v23, v6, vcc
	v_cndmask_b32_e32 v8, v8, v20, vcc
	v_lshlrev_b32_sdwa v15, v15, v9 dst_sel:DWORD dst_unused:UNUSED_PAD src0_sel:DWORD src1_sel:WORD_1
	v_bfrev_b32_e32 v20, 60
	v_lshlrev_b32_e32 v8, 20, v8
	v_and_b32_e32 v15, 0x80000000, v15
	v_lshl_add_u32 v6, v6, 23, v20
	v_or3_b32 v8, v15, v6, v8
.LBB608_679:
	s_or_b64 exec, exec, s[10:11]
.LBB608_680:
	s_or_b64 exec, exec, s[8:9]
.LBB608_681:
	s_or_b64 exec, exec, s[2:3]
	s_mov_b32 s2, 0xffffff
	v_cmp_lt_u32_e32 vcc, s2, v9
	v_mov_b32_e32 v15, 0
	v_mov_b32_e32 v20, 0
	s_and_saveexec_b64 s[2:3], vcc
	s_cbranch_execz .LBB608_687
; %bb.682:
	v_lshrrev_b32_e32 v6, 24, v9
	s_movk_i32 s7, 0x80
	v_cmp_ne_u32_e32 vcc, s7, v6
	v_bfrev_b32_e32 v20, 1
	s_and_saveexec_b64 s[8:9], vcc
	s_cbranch_execz .LBB608_686
; %bb.683:
	v_bfe_u32 v9, v9, 24, 7
	s_movk_i32 s7, 0x7f
	v_cmp_ne_u32_e32 vcc, s7, v9
	v_mov_b32_e32 v20, 0x7f800001
	s_and_saveexec_b64 s[10:11], vcc
	s_cbranch_execz .LBB608_685
; %bb.684:
	v_and_b32_e32 v23, 7, v6
	v_ffbh_u32_e32 v20, v23
	v_min_u32_e32 v25, 32, v20
	v_subrev_u32_e32 v20, 28, v25
	v_lshlrev_b64 v[20:21], v20, v[6:7]
	v_lshrrev_b32_e32 v24, 3, v9
	v_sub_u32_e32 v21, 29, v25
	v_and_b32_e32 v20, 7, v20
	v_cmp_gt_u32_e32 vcc, 8, v9
	v_cndmask_b32_e32 v9, v24, v21, vcc
	v_cndmask_b32_e32 v20, v23, v20, vcc
	v_lshlrev_b32_e32 v6, 24, v6
	v_bfrev_b32_e32 v21, 60
	v_lshlrev_b32_e32 v20, 20, v20
	v_and_b32_e32 v6, 0x80000000, v6
	v_lshl_add_u32 v9, v9, 23, v21
	v_or3_b32 v20, v6, v9, v20
.LBB608_685:
	s_or_b64 exec, exec, s[10:11]
.LBB608_686:
	s_or_b64 exec, exec, s[8:9]
.LBB608_687:
	s_or_b64 exec, exec, s[2:3]
	v_cvt_pkrtz_f16_f32 v6, v14, v16
	v_cvt_pkrtz_f16_f32 v7, v7, v18
	ds_read_b128 v[24:27], v22 offset:4112
	s_waitcnt vmcnt(0)
	v_cmp_ne_u16_sdwa s[8:9], v2, v15 src0_sel:BYTE_0 src1_sel:DWORD
	s_waitcnt lgkmcnt(0)
	v_mfma_f32_16x16x16f16 v[10:13], v[6:7], v[24:25], v[10:13]
	v_cvt_pkrtz_f16_f32 v6, v17, v19
	v_cvt_pkrtz_f16_f32 v7, v8, v20
	s_nop 1
	v_mfma_f32_16x16x16f16 v[6:9], v[6:7], v[26:27], v[10:13]
	s_and_saveexec_b64 s[2:3], s[8:9]
	s_cbranch_execz .LBB608_693
; %bb.688:
	s_movk_i32 s7, 0x80
	v_cmp_ne_u16_sdwa s[10:11], v2, s7 src0_sel:BYTE_0 src1_sel:DWORD
	v_bfrev_b32_e32 v15, 1
	s_and_saveexec_b64 s[8:9], s[10:11]
	s_cbranch_execz .LBB608_692
; %bb.689:
	s_movk_i32 s7, 0x7f
	v_and_b32_e32 v10, 0x7f, v2
	v_cmp_ne_u32_e32 vcc, s7, v10
	v_mov_b32_e32 v15, 0x7f800001
	s_and_saveexec_b64 s[10:11], vcc
	s_cbranch_execz .LBB608_691
; %bb.690:
	v_and_b32_e32 v11, 7, v2
	v_ffbh_u32_e32 v12, v11
	v_min_u32_e32 v15, 32, v12
	v_subrev_u32_e32 v12, 28, v15
	v_lshlrev_b64 v[12:13], v12, v[2:3]
	v_lshrrev_b32_e32 v14, 3, v10
	v_sub_u32_e32 v13, 29, v15
	v_and_b32_e32 v12, 7, v12
	v_cmp_gt_u32_e32 vcc, 8, v10
	v_cndmask_b32_e32 v10, v14, v13, vcc
	v_cndmask_b32_e32 v11, v11, v12, vcc
	v_lshlrev_b32_e32 v12, 24, v2
	v_bfrev_b32_e32 v13, 60
	v_lshlrev_b32_e32 v11, 20, v11
	v_and_b32_e32 v12, 0x80000000, v12
	v_lshl_add_u32 v10, v10, 23, v13
	v_or3_b32 v15, v12, v10, v11
.LBB608_691:
	s_or_b64 exec, exec, s[10:11]
.LBB608_692:
	s_or_b64 exec, exec, s[8:9]
.LBB608_693:
	s_or_b64 exec, exec, s[2:3]
	s_nop 3
	v_lshrrev_b16_e32 v10, 8, v2
	v_cmp_ne_u16_e32 vcc, 0, v10
	v_mov_b32_e32 v11, 0
	v_mov_b32_e32 v12, 0
	s_and_saveexec_b64 s[2:3], vcc
	s_cbranch_execz .LBB608_699
; %bb.694:
	s_movk_i32 s7, 0x80
	v_cmp_ne_u16_e32 vcc, s7, v10
	v_bfrev_b32_e32 v12, 1
	s_and_saveexec_b64 s[8:9], vcc
	s_cbranch_execz .LBB608_698
; %bb.695:
	s_movk_i32 s7, 0x7f
	v_and_b32_e32 v13, 0x7f, v10
	v_cmp_ne_u32_e32 vcc, s7, v13
	v_mov_b32_e32 v12, 0x7f800001
	s_and_saveexec_b64 s[10:11], vcc
	s_cbranch_execz .LBB608_697
; %bb.696:
	v_and_b32_e32 v12, 7, v10
	v_ffbh_u32_e32 v16, v12
	v_min_u32_e32 v18, 32, v16
	v_subrev_u32_e32 v16, 28, v18
	v_lshlrev_b64 v[16:17], v16, v[10:11]
	v_lshrrev_b32_e32 v14, 3, v13
	v_sub_u32_e32 v10, 29, v18
	v_and_b32_e32 v16, 7, v16
	v_cmp_gt_u32_e32 vcc, 8, v13
	v_cndmask_b32_e32 v10, v14, v10, vcc
	v_cndmask_b32_e32 v12, v12, v16, vcc
	v_lshlrev_b32_e32 v13, 16, v2
	v_bfrev_b32_e32 v14, 60
	v_lshlrev_b32_e32 v12, 20, v12
	v_and_b32_e32 v13, 0x80000000, v13
	v_lshl_add_u32 v10, v10, 23, v14
	v_or3_b32 v12, v13, v10, v12
.LBB608_697:
	s_or_b64 exec, exec, s[10:11]
.LBB608_698:
	s_or_b64 exec, exec, s[8:9]
.LBB608_699:
	s_or_b64 exec, exec, s[2:3]
	s_movk_i32 s2, 0xff
	v_and_b32_sdwa v13, v2, s2 dst_sel:DWORD dst_unused:UNUSED_PAD src0_sel:WORD_1 src1_sel:DWORD
	v_lshrrev_b32_e32 v10, 16, v2
	v_cmp_ne_u16_e32 vcc, 0, v13
	s_and_saveexec_b64 s[2:3], vcc
	s_cbranch_execz .LBB608_705
; %bb.700:
	s_movk_i32 s7, 0x80
	v_cmp_ne_u16_e32 vcc, s7, v13
	v_bfrev_b32_e32 v11, 1
	s_and_saveexec_b64 s[8:9], vcc
	s_cbranch_execz .LBB608_704
; %bb.701:
	v_bfe_u32 v13, v2, 16, 7
	s_movk_i32 s7, 0x7f
	v_cmp_ne_u32_e32 vcc, s7, v13
	v_mov_b32_e32 v11, 0x7f800001
	s_and_saveexec_b64 s[10:11], vcc
	s_cbranch_execz .LBB608_703
; %bb.702:
	v_and_b32_e32 v14, 7, v10
	v_ffbh_u32_e32 v11, v14
	v_min_u32_e32 v17, 32, v11
	v_subrev_u32_e32 v11, 28, v17
	v_lshlrev_b64 v[10:11], v11, v[10:11]
	v_lshrrev_b32_e32 v16, 3, v13
	v_sub_u32_e32 v11, 29, v17
	v_and_b32_e32 v10, 7, v10
	v_cmp_gt_u32_e32 vcc, 8, v13
	v_mov_b32_e32 v13, 24
	v_cndmask_b32_e32 v11, v16, v11, vcc
	v_cndmask_b32_e32 v10, v14, v10, vcc
	v_lshlrev_b32_sdwa v13, v13, v2 dst_sel:DWORD dst_unused:UNUSED_PAD src0_sel:DWORD src1_sel:WORD_1
	v_bfrev_b32_e32 v14, 60
	v_lshlrev_b32_e32 v10, 20, v10
	v_and_b32_e32 v13, 0x80000000, v13
	v_lshl_add_u32 v11, v11, 23, v14
	v_or3_b32 v11, v13, v11, v10
.LBB608_703:
	s_or_b64 exec, exec, s[10:11]
.LBB608_704:
	s_or_b64 exec, exec, s[8:9]
.LBB608_705:
	s_or_b64 exec, exec, s[2:3]
	s_mov_b32 s2, 0xffffff
	v_cmp_lt_u32_e32 vcc, s2, v2
	v_mov_b32_e32 v13, 0
	v_mov_b32_e32 v14, 0
	s_and_saveexec_b64 s[2:3], vcc
	s_cbranch_execz .LBB608_711
; %bb.706:
	v_lshrrev_b32_e32 v10, 24, v2
	s_movk_i32 s7, 0x80
	v_cmp_ne_u32_e32 vcc, s7, v10
	v_bfrev_b32_e32 v14, 1
	s_and_saveexec_b64 s[8:9], vcc
	s_cbranch_execz .LBB608_710
; %bb.707:
	v_bfe_u32 v2, v2, 24, 7
	s_movk_i32 s7, 0x7f
	v_cmp_ne_u32_e32 vcc, s7, v2
	v_mov_b32_e32 v14, 0x7f800001
	s_and_saveexec_b64 s[10:11], vcc
	s_cbranch_execz .LBB608_709
; %bb.708:
	v_and_b32_e32 v14, 7, v10
	v_ffbh_u32_e32 v16, v14
	v_min_u32_e32 v19, 32, v16
	v_subrev_u32_e32 v16, 28, v19
	v_lshlrev_b64 v[16:17], v16, v[10:11]
	v_lshrrev_b32_e32 v18, 3, v2
	v_sub_u32_e32 v17, 29, v19
	v_and_b32_e32 v16, 7, v16
	v_cmp_gt_u32_e32 vcc, 8, v2
	v_cndmask_b32_e32 v2, v18, v17, vcc
	v_cndmask_b32_e32 v14, v14, v16, vcc
	v_lshlrev_b32_e32 v10, 24, v10
	v_bfrev_b32_e32 v16, 60
	v_lshlrev_b32_e32 v14, 20, v14
	v_and_b32_e32 v10, 0x80000000, v10
	v_lshl_add_u32 v2, v2, 23, v16
	v_or3_b32 v14, v10, v2, v14
.LBB608_709:
	s_or_b64 exec, exec, s[10:11]
.LBB608_710:
	s_or_b64 exec, exec, s[8:9]
.LBB608_711:
	s_or_b64 exec, exec, s[2:3]
	v_cmp_ne_u16_sdwa s[8:9], v3, v13 src0_sel:BYTE_0 src1_sel:DWORD
	s_and_saveexec_b64 s[2:3], s[8:9]
	s_cbranch_execz .LBB608_717
; %bb.712:
	s_movk_i32 s7, 0x80
	v_cmp_ne_u16_sdwa s[10:11], v3, s7 src0_sel:BYTE_0 src1_sel:DWORD
	v_bfrev_b32_e32 v13, 1
	s_and_saveexec_b64 s[8:9], s[10:11]
	s_cbranch_execz .LBB608_716
; %bb.713:
	s_movk_i32 s7, 0x7f
	v_and_b32_e32 v2, 0x7f, v3
	v_cmp_ne_u32_e32 vcc, s7, v2
	v_mov_b32_e32 v13, 0x7f800001
	s_and_saveexec_b64 s[10:11], vcc
	s_cbranch_execz .LBB608_715
; %bb.714:
	v_and_b32_e32 v13, 7, v3
	v_ffbh_u32_e32 v16, v13
	v_min_u32_e32 v19, 32, v16
	v_mov_b32_e32 v10, v3
	v_subrev_u32_e32 v16, 28, v19
	v_lshlrev_b64 v[16:17], v16, v[10:11]
	v_lshrrev_b32_e32 v18, 3, v2
	v_sub_u32_e32 v10, 29, v19
	v_and_b32_e32 v16, 7, v16
	v_cmp_gt_u32_e32 vcc, 8, v2
	v_cndmask_b32_e32 v2, v18, v10, vcc
	v_cndmask_b32_e32 v10, v13, v16, vcc
	v_lshlrev_b32_e32 v13, 24, v3
	v_bfrev_b32_e32 v16, 60
	v_lshlrev_b32_e32 v10, 20, v10
	v_and_b32_e32 v13, 0x80000000, v13
	v_lshl_add_u32 v2, v2, 23, v16
	v_or3_b32 v13, v13, v2, v10
.LBB608_715:
	s_or_b64 exec, exec, s[10:11]
.LBB608_716:
	s_or_b64 exec, exec, s[8:9]
.LBB608_717:
	s_or_b64 exec, exec, s[2:3]
	v_lshrrev_b16_e32 v2, 8, v3
	v_cmp_ne_u16_e32 vcc, 0, v2
	v_mov_b32_e32 v16, 0
	v_mov_b32_e32 v17, 0
	s_and_saveexec_b64 s[2:3], vcc
	s_cbranch_execz .LBB608_723
; %bb.718:
	s_movk_i32 s7, 0x80
	v_cmp_ne_u16_e32 vcc, s7, v2
	v_bfrev_b32_e32 v17, 1
	s_and_saveexec_b64 s[8:9], vcc
	s_cbranch_execz .LBB608_722
; %bb.719:
	s_movk_i32 s7, 0x7f
	v_and_b32_e32 v10, 0x7f, v2
	v_cmp_ne_u32_e32 vcc, s7, v10
	v_mov_b32_e32 v17, 0x7f800001
	s_and_saveexec_b64 s[10:11], vcc
	s_cbranch_execz .LBB608_721
; %bb.720:
	v_and_b32_e32 v17, 7, v2
	v_ffbh_u32_e32 v18, v17
	v_min_u32_e32 v21, 32, v18
	v_subrev_u32_e32 v18, 28, v21
	v_lshlrev_b64 v[18:19], v18, v[2:3]
	v_lshrrev_b32_e32 v20, 3, v10
	v_sub_u32_e32 v2, 29, v21
	v_and_b32_e32 v18, 7, v18
	v_cmp_gt_u32_e32 vcc, 8, v10
	v_cndmask_b32_e32 v2, v20, v2, vcc
	v_cndmask_b32_e32 v10, v17, v18, vcc
	v_lshlrev_b32_e32 v17, 16, v3
	v_bfrev_b32_e32 v18, 60
	v_lshlrev_b32_e32 v10, 20, v10
	v_and_b32_e32 v17, 0x80000000, v17
	v_lshl_add_u32 v2, v2, 23, v18
	v_or3_b32 v17, v17, v2, v10
.LBB608_721:
	s_or_b64 exec, exec, s[10:11]
.LBB608_722:
	s_or_b64 exec, exec, s[8:9]
.LBB608_723:
	s_or_b64 exec, exec, s[2:3]
	s_movk_i32 s2, 0xff
	v_and_b32_sdwa v10, v3, s2 dst_sel:DWORD dst_unused:UNUSED_PAD src0_sel:WORD_1 src1_sel:DWORD
	v_lshrrev_b32_e32 v2, 16, v3
	v_cmp_ne_u16_e32 vcc, 0, v10
	s_and_saveexec_b64 s[2:3], vcc
	s_cbranch_execz .LBB608_729
; %bb.724:
	s_movk_i32 s7, 0x80
	v_cmp_ne_u16_e32 vcc, s7, v10
	v_bfrev_b32_e32 v16, 1
	s_and_saveexec_b64 s[8:9], vcc
	s_cbranch_execz .LBB608_728
; %bb.725:
	v_bfe_u32 v10, v3, 16, 7
	s_movk_i32 s7, 0x7f
	v_cmp_ne_u32_e32 vcc, s7, v10
	v_mov_b32_e32 v16, 0x7f800001
	s_and_saveexec_b64 s[10:11], vcc
	s_cbranch_execz .LBB608_727
; %bb.726:
	v_and_b32_e32 v16, 7, v2
	v_ffbh_u32_e32 v18, v16
	v_min_u32_e32 v21, 32, v18
	v_subrev_u32_e32 v18, 28, v21
	v_lshlrev_b64 v[18:19], v18, v[2:3]
	v_and_b32_e32 v18, 7, v18
	v_cmp_gt_u32_e32 vcc, 8, v10
	v_lshrrev_b32_e32 v20, 3, v10
	v_sub_u32_e32 v2, 29, v21
	v_cndmask_b32_e32 v10, v16, v18, vcc
	v_mov_b32_e32 v16, 24
	v_cndmask_b32_e32 v2, v20, v2, vcc
	v_lshlrev_b32_sdwa v16, v16, v3 dst_sel:DWORD dst_unused:UNUSED_PAD src0_sel:DWORD src1_sel:WORD_1
	v_bfrev_b32_e32 v18, 60
	v_lshlrev_b32_e32 v10, 20, v10
	v_and_b32_e32 v16, 0x80000000, v16
	v_lshl_add_u32 v2, v2, 23, v18
	v_or3_b32 v16, v16, v2, v10
.LBB608_727:
	s_or_b64 exec, exec, s[10:11]
.LBB608_728:
	s_or_b64 exec, exec, s[8:9]
.LBB608_729:
	s_or_b64 exec, exec, s[2:3]
	s_mov_b32 s2, 0xffffff
	v_cmp_lt_u32_e32 vcc, s2, v3
	v_mov_b32_e32 v10, 0
	v_mov_b32_e32 v18, 0
	s_and_saveexec_b64 s[2:3], vcc
	s_cbranch_execz .LBB608_735
; %bb.730:
	v_lshrrev_b32_e32 v2, 24, v3
	s_movk_i32 s7, 0x80
	v_cmp_ne_u32_e32 vcc, s7, v2
	v_bfrev_b32_e32 v18, 1
	s_and_saveexec_b64 s[8:9], vcc
	s_cbranch_execz .LBB608_734
; %bb.731:
	v_bfe_u32 v3, v3, 24, 7
	s_movk_i32 s7, 0x7f
	v_cmp_ne_u32_e32 vcc, s7, v3
	v_mov_b32_e32 v18, 0x7f800001
	s_and_saveexec_b64 s[10:11], vcc
	s_cbranch_execz .LBB608_733
; %bb.732:
	v_and_b32_e32 v20, 7, v2
	v_ffbh_u32_e32 v18, v20
	v_min_u32_e32 v23, 32, v18
	v_subrev_u32_e32 v18, 28, v23
	v_lshlrev_b64 v[18:19], v18, v[2:3]
	v_lshrrev_b32_e32 v21, 3, v3
	v_sub_u32_e32 v19, 29, v23
	v_and_b32_e32 v18, 7, v18
	v_cmp_gt_u32_e32 vcc, 8, v3
	v_cndmask_b32_e32 v3, v21, v19, vcc
	v_cndmask_b32_e32 v18, v20, v18, vcc
	v_lshlrev_b32_e32 v2, 24, v2
	v_bfrev_b32_e32 v19, 60
	v_lshlrev_b32_e32 v18, 20, v18
	v_and_b32_e32 v2, 0x80000000, v2
	v_lshl_add_u32 v3, v3, 23, v19
	v_or3_b32 v18, v2, v3, v18
.LBB608_733:
	s_or_b64 exec, exec, s[10:11]
.LBB608_734:
	s_or_b64 exec, exec, s[8:9]
.LBB608_735:
	s_or_b64 exec, exec, s[2:3]
	v_cvt_pkrtz_f16_f32 v2, v15, v12
	v_cvt_pkrtz_f16_f32 v3, v11, v14
	ds_read_b128 v[24:27], v22 offset:6144
	v_cmp_ne_u16_sdwa s[8:9], v4, v10 src0_sel:BYTE_0 src1_sel:DWORD
	s_waitcnt lgkmcnt(0)
	v_mfma_f32_16x16x16f16 v[6:9], v[2:3], v[24:25], v[6:9]
	v_cvt_pkrtz_f16_f32 v2, v13, v17
	v_cvt_pkrtz_f16_f32 v3, v16, v18
	s_nop 1
	v_mfma_f32_16x16x16f16 v[6:9], v[2:3], v[26:27], v[6:9]
	s_and_saveexec_b64 s[2:3], s[8:9]
	s_cbranch_execz .LBB608_741
; %bb.736:
	s_movk_i32 s7, 0x80
	v_cmp_ne_u16_sdwa s[10:11], v4, s7 src0_sel:BYTE_0 src1_sel:DWORD
	v_bfrev_b32_e32 v10, 1
	s_and_saveexec_b64 s[8:9], s[10:11]
	s_cbranch_execz .LBB608_740
; %bb.737:
	s_movk_i32 s7, 0x7f
	v_and_b32_e32 v2, 0x7f, v4
	v_cmp_ne_u32_e32 vcc, s7, v2
	v_mov_b32_e32 v10, 0x7f800001
	s_and_saveexec_b64 s[10:11], vcc
	s_cbranch_execz .LBB608_739
; %bb.738:
	v_and_b32_e32 v3, 7, v4
	v_ffbh_u32_e32 v10, v3
	v_min_u32_e32 v13, 32, v10
	v_subrev_u32_e32 v10, 28, v13
	v_lshlrev_b64 v[10:11], v10, v[4:5]
	v_lshrrev_b32_e32 v12, 3, v2
	v_sub_u32_e32 v11, 29, v13
	v_and_b32_e32 v10, 7, v10
	v_cmp_gt_u32_e32 vcc, 8, v2
	v_cndmask_b32_e32 v2, v12, v11, vcc
	v_cndmask_b32_e32 v3, v3, v10, vcc
	v_lshlrev_b32_e32 v10, 24, v4
	v_bfrev_b32_e32 v11, 60
	v_lshlrev_b32_e32 v3, 20, v3
	v_and_b32_e32 v10, 0x80000000, v10
	v_lshl_add_u32 v2, v2, 23, v11
	v_or3_b32 v10, v10, v2, v3
.LBB608_739:
	s_or_b64 exec, exec, s[10:11]
.LBB608_740:
	s_or_b64 exec, exec, s[8:9]
.LBB608_741:
	s_or_b64 exec, exec, s[2:3]
	v_lshrrev_b16_e32 v2, 8, v4
	v_cmp_ne_u16_e32 vcc, 0, v2
	v_mov_b32_e32 v3, 0
	v_mov_b32_e32 v11, 0
	s_and_saveexec_b64 s[2:3], vcc
	s_cbranch_execz .LBB608_747
; %bb.742:
	s_movk_i32 s7, 0x80
	v_cmp_ne_u16_e32 vcc, s7, v2
	v_bfrev_b32_e32 v11, 1
	s_and_saveexec_b64 s[8:9], vcc
	s_cbranch_execz .LBB608_746
; %bb.743:
	s_movk_i32 s7, 0x7f
	v_and_b32_e32 v12, 0x7f, v2
	v_cmp_ne_u32_e32 vcc, s7, v12
	v_mov_b32_e32 v11, 0x7f800001
	s_and_saveexec_b64 s[10:11], vcc
	s_cbranch_execz .LBB608_745
; %bb.744:
	v_and_b32_e32 v11, 7, v2
	v_ffbh_u32_e32 v14, v11
	v_min_u32_e32 v16, 32, v14
	v_subrev_u32_e32 v14, 28, v16
	v_lshlrev_b64 v[14:15], v14, v[2:3]
	v_lshrrev_b32_e32 v13, 3, v12
	v_sub_u32_e32 v2, 29, v16
	v_and_b32_e32 v14, 7, v14
	v_cmp_gt_u32_e32 vcc, 8, v12
	v_cndmask_b32_e32 v2, v13, v2, vcc
	v_cndmask_b32_e32 v11, v11, v14, vcc
	v_lshlrev_b32_e32 v12, 16, v4
	v_bfrev_b32_e32 v13, 60
	v_lshlrev_b32_e32 v11, 20, v11
	v_and_b32_e32 v12, 0x80000000, v12
	v_lshl_add_u32 v2, v2, 23, v13
	v_or3_b32 v11, v12, v2, v11
.LBB608_745:
	s_or_b64 exec, exec, s[10:11]
.LBB608_746:
	s_or_b64 exec, exec, s[8:9]
.LBB608_747:
	s_or_b64 exec, exec, s[2:3]
	s_movk_i32 s2, 0xff
	v_and_b32_sdwa v12, v4, s2 dst_sel:DWORD dst_unused:UNUSED_PAD src0_sel:WORD_1 src1_sel:DWORD
	v_lshrrev_b32_e32 v2, 16, v4
	v_cmp_ne_u16_e32 vcc, 0, v12
	s_and_saveexec_b64 s[2:3], vcc
	s_cbranch_execz .LBB608_753
; %bb.748:
	s_movk_i32 s7, 0x80
	v_cmp_ne_u16_e32 vcc, s7, v12
	v_bfrev_b32_e32 v3, 1
	s_and_saveexec_b64 s[8:9], vcc
	s_cbranch_execz .LBB608_752
; %bb.749:
	v_bfe_u32 v12, v4, 16, 7
	s_movk_i32 s7, 0x7f
	v_cmp_ne_u32_e32 vcc, s7, v12
	v_mov_b32_e32 v3, 0x7f800001
	s_and_saveexec_b64 s[10:11], vcc
	s_cbranch_execz .LBB608_751
; %bb.750:
	v_and_b32_e32 v13, 7, v2
	v_ffbh_u32_e32 v3, v13
	v_min_u32_e32 v15, 32, v3
	v_subrev_u32_e32 v3, 28, v15
	v_lshlrev_b64 v[2:3], v3, v[2:3]
	v_lshrrev_b32_e32 v14, 3, v12
	v_sub_u32_e32 v3, 29, v15
	v_and_b32_e32 v2, 7, v2
	v_cmp_gt_u32_e32 vcc, 8, v12
	v_mov_b32_e32 v12, 24
	v_cndmask_b32_e32 v3, v14, v3, vcc
	v_cndmask_b32_e32 v2, v13, v2, vcc
	v_lshlrev_b32_sdwa v12, v12, v4 dst_sel:DWORD dst_unused:UNUSED_PAD src0_sel:DWORD src1_sel:WORD_1
	v_bfrev_b32_e32 v13, 60
	v_lshlrev_b32_e32 v2, 20, v2
	v_and_b32_e32 v12, 0x80000000, v12
	v_lshl_add_u32 v3, v3, 23, v13
	v_or3_b32 v3, v12, v3, v2
.LBB608_751:
	s_or_b64 exec, exec, s[10:11]
.LBB608_752:
	s_or_b64 exec, exec, s[8:9]
.LBB608_753:
	s_or_b64 exec, exec, s[2:3]
	s_mov_b32 s2, 0xffffff
	v_cmp_lt_u32_e32 vcc, s2, v4
	v_mov_b32_e32 v12, 0
	v_mov_b32_e32 v13, 0
	s_and_saveexec_b64 s[2:3], vcc
	s_cbranch_execz .LBB608_759
; %bb.754:
	v_lshrrev_b32_e32 v2, 24, v4
	s_movk_i32 s7, 0x80
	v_cmp_ne_u32_e32 vcc, s7, v2
	v_bfrev_b32_e32 v13, 1
	s_and_saveexec_b64 s[8:9], vcc
	s_cbranch_execz .LBB608_758
; %bb.755:
	v_bfe_u32 v4, v4, 24, 7
	s_movk_i32 s7, 0x7f
	v_cmp_ne_u32_e32 vcc, s7, v4
	v_mov_b32_e32 v13, 0x7f800001
	s_and_saveexec_b64 s[10:11], vcc
	s_cbranch_execz .LBB608_757
; %bb.756:
	v_and_b32_e32 v13, 7, v2
	v_ffbh_u32_e32 v14, v13
	v_min_u32_e32 v17, 32, v14
	v_subrev_u32_e32 v14, 28, v17
	v_lshlrev_b64 v[14:15], v14, v[2:3]
	v_lshrrev_b32_e32 v16, 3, v4
	v_sub_u32_e32 v15, 29, v17
	v_and_b32_e32 v14, 7, v14
	v_cmp_gt_u32_e32 vcc, 8, v4
	v_cndmask_b32_e32 v4, v16, v15, vcc
	v_cndmask_b32_e32 v13, v13, v14, vcc
	v_lshlrev_b32_e32 v2, 24, v2
	v_bfrev_b32_e32 v14, 60
	v_lshlrev_b32_e32 v13, 20, v13
	v_and_b32_e32 v2, 0x80000000, v2
	v_lshl_add_u32 v4, v4, 23, v14
	v_or3_b32 v13, v2, v4, v13
.LBB608_757:
	s_or_b64 exec, exec, s[10:11]
.LBB608_758:
	s_or_b64 exec, exec, s[8:9]
.LBB608_759:
	s_or_b64 exec, exec, s[2:3]
	v_cmp_ne_u16_sdwa s[8:9], v5, v12 src0_sel:BYTE_0 src1_sel:DWORD
	s_and_saveexec_b64 s[2:3], s[8:9]
	s_cbranch_execz .LBB608_765
; %bb.760:
	s_movk_i32 s7, 0x80
	v_cmp_ne_u16_sdwa s[10:11], v5, s7 src0_sel:BYTE_0 src1_sel:DWORD
	v_bfrev_b32_e32 v12, 1
	s_and_saveexec_b64 s[8:9], s[10:11]
	s_cbranch_execz .LBB608_764
; %bb.761:
	s_movk_i32 s7, 0x7f
	v_and_b32_e32 v2, 0x7f, v5
	v_cmp_ne_u32_e32 vcc, s7, v2
	v_mov_b32_e32 v12, 0x7f800001
	s_and_saveexec_b64 s[10:11], vcc
	s_cbranch_execz .LBB608_763
; %bb.762:
	v_and_b32_e32 v12, 7, v5
	v_ffbh_u32_e32 v14, v12
	v_min_u32_e32 v17, 32, v14
	v_mov_b32_e32 v4, v5
	v_subrev_u32_e32 v14, 28, v17
	v_lshlrev_b64 v[14:15], v14, v[4:5]
	v_lshrrev_b32_e32 v16, 3, v2
	v_sub_u32_e32 v4, 29, v17
	v_and_b32_e32 v14, 7, v14
	v_cmp_gt_u32_e32 vcc, 8, v2
	v_cndmask_b32_e32 v2, v16, v4, vcc
	v_cndmask_b32_e32 v4, v12, v14, vcc
	v_lshlrev_b32_e32 v12, 24, v5
	v_bfrev_b32_e32 v14, 60
	v_lshlrev_b32_e32 v4, 20, v4
	v_and_b32_e32 v12, 0x80000000, v12
	v_lshl_add_u32 v2, v2, 23, v14
	v_or3_b32 v12, v12, v2, v4
.LBB608_763:
	s_or_b64 exec, exec, s[10:11]
.LBB608_764:
	s_or_b64 exec, exec, s[8:9]
.LBB608_765:
	s_or_b64 exec, exec, s[2:3]
	v_lshrrev_b16_e32 v2, 8, v5
	v_cmp_ne_u16_e32 vcc, 0, v2
	v_mov_b32_e32 v4, 0
	v_mov_b32_e32 v14, 0
	s_and_saveexec_b64 s[2:3], vcc
	s_cbranch_execz .LBB608_771
; %bb.766:
	s_movk_i32 s7, 0x80
	v_cmp_ne_u16_e32 vcc, s7, v2
	v_bfrev_b32_e32 v14, 1
	s_and_saveexec_b64 s[8:9], vcc
	s_cbranch_execz .LBB608_770
; %bb.767:
	s_movk_i32 s7, 0x7f
	v_and_b32_e32 v15, 0x7f, v2
	v_cmp_ne_u32_e32 vcc, s7, v15
	v_mov_b32_e32 v14, 0x7f800001
	s_and_saveexec_b64 s[10:11], vcc
	s_cbranch_execz .LBB608_769
; %bb.768:
	v_and_b32_e32 v14, 7, v2
	v_ffbh_u32_e32 v16, v14
	v_min_u32_e32 v19, 32, v16
	v_subrev_u32_e32 v16, 28, v19
	v_lshlrev_b64 v[16:17], v16, v[2:3]
	v_lshrrev_b32_e32 v18, 3, v15
	v_sub_u32_e32 v2, 29, v19
	v_and_b32_e32 v16, 7, v16
	v_cmp_gt_u32_e32 vcc, 8, v15
	v_cndmask_b32_e32 v2, v18, v2, vcc
	v_cndmask_b32_e32 v14, v14, v16, vcc
	v_lshlrev_b32_e32 v15, 16, v5
	v_bfrev_b32_e32 v16, 60
	v_lshlrev_b32_e32 v14, 20, v14
	v_and_b32_e32 v15, 0x80000000, v15
	v_lshl_add_u32 v2, v2, 23, v16
	v_or3_b32 v14, v15, v2, v14
.LBB608_769:
	s_or_b64 exec, exec, s[10:11]
.LBB608_770:
	s_or_b64 exec, exec, s[8:9]
.LBB608_771:
	s_or_b64 exec, exec, s[2:3]
	s_movk_i32 s2, 0xff
	v_and_b32_sdwa v15, v5, s2 dst_sel:DWORD dst_unused:UNUSED_PAD src0_sel:WORD_1 src1_sel:DWORD
	v_lshrrev_b32_e32 v2, 16, v5
	v_cmp_ne_u16_e32 vcc, 0, v15
	s_and_saveexec_b64 s[2:3], vcc
	s_cbranch_execz .LBB608_777
; %bb.772:
	s_movk_i32 s7, 0x80
	v_cmp_ne_u16_e32 vcc, s7, v15
	v_bfrev_b32_e32 v4, 1
	s_and_saveexec_b64 s[8:9], vcc
	s_cbranch_execz .LBB608_776
; %bb.773:
	v_bfe_u32 v15, v5, 16, 7
	s_movk_i32 s7, 0x7f
	v_cmp_ne_u32_e32 vcc, s7, v15
	v_mov_b32_e32 v4, 0x7f800001
	s_and_saveexec_b64 s[10:11], vcc
	s_cbranch_execz .LBB608_775
; %bb.774:
	v_and_b32_e32 v4, 7, v2
	v_ffbh_u32_e32 v16, v4
	v_min_u32_e32 v19, 32, v16
	v_subrev_u32_e32 v16, 28, v19
	v_lshlrev_b64 v[16:17], v16, v[2:3]
	v_lshrrev_b32_e32 v18, 3, v15
	v_sub_u32_e32 v2, 29, v19
	v_and_b32_e32 v16, 7, v16
	v_cmp_gt_u32_e32 vcc, 8, v15
	v_mov_b32_e32 v15, 24
	v_cndmask_b32_e32 v2, v18, v2, vcc
	v_cndmask_b32_e32 v4, v4, v16, vcc
	v_lshlrev_b32_sdwa v15, v15, v5 dst_sel:DWORD dst_unused:UNUSED_PAD src0_sel:DWORD src1_sel:WORD_1
	v_bfrev_b32_e32 v16, 60
	v_lshlrev_b32_e32 v4, 20, v4
	v_and_b32_e32 v15, 0x80000000, v15
	v_lshl_add_u32 v2, v2, 23, v16
	v_or3_b32 v4, v15, v2, v4
.LBB608_775:
	s_or_b64 exec, exec, s[10:11]
.LBB608_776:
	s_or_b64 exec, exec, s[8:9]
.LBB608_777:
	s_or_b64 exec, exec, s[2:3]
	s_mov_b32 s2, 0xffffff
	v_cmp_lt_u32_e32 vcc, s2, v5
	v_mov_b32_e32 v15, 0
	s_and_saveexec_b64 s[2:3], vcc
	s_cbranch_execz .LBB608_783
; %bb.778:
	v_lshrrev_b32_e32 v2, 24, v5
	s_movk_i32 s7, 0x80
	v_cmp_ne_u32_e32 vcc, s7, v2
	v_bfrev_b32_e32 v15, 1
	s_and_saveexec_b64 s[8:9], vcc
	s_cbranch_execz .LBB608_782
; %bb.779:
	v_bfe_u32 v5, v5, 24, 7
	s_movk_i32 s7, 0x7f
	v_cmp_ne_u32_e32 vcc, s7, v5
	v_mov_b32_e32 v15, 0x7f800001
	s_and_saveexec_b64 s[10:11], vcc
	s_cbranch_execz .LBB608_781
; %bb.780:
	v_and_b32_e32 v15, 7, v2
	v_ffbh_u32_e32 v16, v15
	v_min_u32_e32 v19, 32, v16
	v_subrev_u32_e32 v16, 28, v19
	v_lshlrev_b64 v[16:17], v16, v[2:3]
	v_lshrrev_b32_e32 v18, 3, v5
	v_sub_u32_e32 v17, 29, v19
	v_and_b32_e32 v16, 7, v16
	v_cmp_gt_u32_e32 vcc, 8, v5
	v_cndmask_b32_e32 v5, v18, v17, vcc
	v_cndmask_b32_e32 v15, v15, v16, vcc
	v_lshlrev_b32_e32 v2, 24, v2
	v_bfrev_b32_e32 v16, 60
	v_lshlrev_b32_e32 v15, 20, v15
	v_and_b32_e32 v2, 0x80000000, v2
	v_lshl_add_u32 v5, v5, 23, v16
	v_or3_b32 v15, v2, v5, v15
.LBB608_781:
	s_or_b64 exec, exec, s[10:11]
.LBB608_782:
	s_or_b64 exec, exec, s[8:9]
.LBB608_783:
	s_or_b64 exec, exec, s[2:3]
	v_cvt_pkrtz_f16_f32 v2, v10, v11
	v_cvt_pkrtz_f16_f32 v3, v3, v13
	ds_read_b128 v[16:19], v22 offset:6160
	s_load_dword s2, s[42:43], 0x0
	v_cmp_gt_u32_e32 vcc, 64, v0
	s_waitcnt lgkmcnt(0)
	v_mfma_f32_16x16x16f16 v[6:9], v[2:3], v[16:17], v[6:9]
	v_cvt_pkrtz_f16_f32 v2, v12, v14
	v_cvt_pkrtz_f16_f32 v3, v4, v15
	s_barrier
	s_nop 0
	v_mfma_f32_16x16x16f16 v[2:5], v[2:3], v[18:19], v[6:9]
	s_nop 7
	s_nop 2
	v_pk_mul_f32 v[4:5], v[4:5], s[2:3] op_sel_hi:[1,0]
	v_pk_mul_f32 v[2:3], v[2:3], s[2:3] op_sel_hi:[1,0]
	v_cvt_f16_f32_e32 v2, v2
	v_cvt_f16_f32_e32 v3, v3
	;; [unrolled: 1-line block ×4, first 2 shown]
	v_cmp_ne_u32_e64 s[2:3], 3, v47
	s_and_b64 s[2:3], s[2:3], vcc
	v_pack_b32_f16 v2, v2, v3
	v_pack_b32_f16 v3, v4, v5
	s_and_b64 s[0:1], s[2:3], s[0:1]
	ds_write_b64 v28, v[2:3]
	s_waitcnt lgkmcnt(0)
	s_barrier
	s_and_saveexec_b64 s[2:3], s[0:1]
	s_cbranch_execz .LBB608_785
; %bb.784:
	s_load_dwordx2 s[0:1], s[4:5], 0x68
	s_mul_i32 s2, s12, s6
	s_lshl_b32 s4, s44, 6
	s_mul_hi_u32 s3, s2, s4
	s_mul_i32 s2, s2, s4
	s_lshl_b64 s[2:3], s[2:3], 1
	s_waitcnt lgkmcnt(0)
	s_add_u32 s2, s0, s2
	s_addc_u32 s3, s1, s3
	s_lshl_b32 s0, s24, 6
	s_mov_b32 s1, 0
	v_lshlrev_b32_e32 v0, 10, v0
	s_lshl_b64 s[0:1], s[0:1], 1
	v_and_b32_e32 v0, 0x1800, v0
	v_lshlrev_b32_e32 v2, 5, v47
	v_and_b32_e32 v3, 16, v48
	s_add_u32 s2, s2, s0
	v_or3_b32 v0, v0, v2, v3
	s_addc_u32 s3, s3, s1
	v_mad_u64_u32 v[6:7], s[0:1], s4, v46, 0
	ds_read_b128 v[2:5], v0
	v_lshlrev_b64 v[6:7], 1, v[6:7]
	v_mov_b32_e32 v0, s3
	v_add_co_u32_e32 v6, vcc, s2, v6
	v_addc_co_u32_e32 v7, vcc, v0, v7, vcc
	v_add_co_u32_e32 v0, vcc, v6, v1
	v_addc_co_u32_e32 v1, vcc, 0, v7, vcc
	s_waitcnt lgkmcnt(0)
	global_store_dwordx4 v[0:1], v[2:5], off
.LBB608_785:
	s_endpgm
	.section	.rodata,"a",@progbits
	.p2align	6, 0x0
	.amdhsa_kernel _Z39paged_attention_ll4mi_QKV_mfma16_kernelIDF16_hLN4vllm18Fp8KVCacheDataTypeE1EDF16_Li32ELi64ELi256ELb0ELi3EL8MFMAType0EEvPKT_PKT0_S8_ifPKiSA_SA_iPKfiiiPfSD_PS3_PT2_iSC_SC_
		.amdhsa_group_segment_fixed_size 8192
		.amdhsa_private_segment_fixed_size 0
		.amdhsa_kernarg_size 400
		.amdhsa_user_sgpr_count 6
		.amdhsa_user_sgpr_private_segment_buffer 1
		.amdhsa_user_sgpr_dispatch_ptr 0
		.amdhsa_user_sgpr_queue_ptr 0
		.amdhsa_user_sgpr_kernarg_segment_ptr 1
		.amdhsa_user_sgpr_dispatch_id 0
		.amdhsa_user_sgpr_flat_scratch_init 0
		.amdhsa_user_sgpr_kernarg_preload_length 0
		.amdhsa_user_sgpr_kernarg_preload_offset 0
		.amdhsa_user_sgpr_private_segment_size 0
		.amdhsa_uses_dynamic_stack 0
		.amdhsa_system_sgpr_private_segment_wavefront_offset 0
		.amdhsa_system_sgpr_workgroup_id_x 1
		.amdhsa_system_sgpr_workgroup_id_y 1
		.amdhsa_system_sgpr_workgroup_id_z 1
		.amdhsa_system_sgpr_workgroup_info 0
		.amdhsa_system_vgpr_workitem_id 0
		.amdhsa_next_free_vgpr 63
		.amdhsa_next_free_sgpr 47
		.amdhsa_accum_offset 64
		.amdhsa_reserve_vcc 1
		.amdhsa_reserve_flat_scratch 0
		.amdhsa_float_round_mode_32 0
		.amdhsa_float_round_mode_16_64 0
		.amdhsa_float_denorm_mode_32 3
		.amdhsa_float_denorm_mode_16_64 3
		.amdhsa_dx10_clamp 1
		.amdhsa_ieee_mode 1
		.amdhsa_fp16_overflow 0
		.amdhsa_tg_split 0
		.amdhsa_exception_fp_ieee_invalid_op 0
		.amdhsa_exception_fp_denorm_src 0
		.amdhsa_exception_fp_ieee_div_zero 0
		.amdhsa_exception_fp_ieee_overflow 0
		.amdhsa_exception_fp_ieee_underflow 0
		.amdhsa_exception_fp_ieee_inexact 0
		.amdhsa_exception_int_div_zero 0
	.end_amdhsa_kernel
	.section	.text._Z39paged_attention_ll4mi_QKV_mfma16_kernelIDF16_hLN4vllm18Fp8KVCacheDataTypeE1EDF16_Li32ELi64ELi256ELb0ELi3EL8MFMAType0EEvPKT_PKT0_S8_ifPKiSA_SA_iPKfiiiPfSD_PS3_PT2_iSC_SC_,"axG",@progbits,_Z39paged_attention_ll4mi_QKV_mfma16_kernelIDF16_hLN4vllm18Fp8KVCacheDataTypeE1EDF16_Li32ELi64ELi256ELb0ELi3EL8MFMAType0EEvPKT_PKT0_S8_ifPKiSA_SA_iPKfiiiPfSD_PS3_PT2_iSC_SC_,comdat
.Lfunc_end608:
	.size	_Z39paged_attention_ll4mi_QKV_mfma16_kernelIDF16_hLN4vllm18Fp8KVCacheDataTypeE1EDF16_Li32ELi64ELi256ELb0ELi3EL8MFMAType0EEvPKT_PKT0_S8_ifPKiSA_SA_iPKfiiiPfSD_PS3_PT2_iSC_SC_, .Lfunc_end608-_Z39paged_attention_ll4mi_QKV_mfma16_kernelIDF16_hLN4vllm18Fp8KVCacheDataTypeE1EDF16_Li32ELi64ELi256ELb0ELi3EL8MFMAType0EEvPKT_PKT0_S8_ifPKiSA_SA_iPKfiiiPfSD_PS3_PT2_iSC_SC_
                                        ; -- End function
	.section	.AMDGPU.csdata,"",@progbits
; Kernel info:
; codeLenInByte = 26968
; NumSgprs: 51
; NumVgprs: 63
; NumAgprs: 0
; TotalNumVgprs: 63
; ScratchSize: 0
; MemoryBound: 0
; FloatMode: 240
; IeeeMode: 1
; LDSByteSize: 8192 bytes/workgroup (compile time only)
; SGPRBlocks: 6
; VGPRBlocks: 7
; NumSGPRsForWavesPerEU: 51
; NumVGPRsForWavesPerEU: 63
; AccumOffset: 64
; Occupancy: 8
; WaveLimiterHint : 1
; COMPUTE_PGM_RSRC2:SCRATCH_EN: 0
; COMPUTE_PGM_RSRC2:USER_SGPR: 6
; COMPUTE_PGM_RSRC2:TRAP_HANDLER: 0
; COMPUTE_PGM_RSRC2:TGID_X_EN: 1
; COMPUTE_PGM_RSRC2:TGID_Y_EN: 1
; COMPUTE_PGM_RSRC2:TGID_Z_EN: 1
; COMPUTE_PGM_RSRC2:TIDIG_COMP_CNT: 0
; COMPUTE_PGM_RSRC3_GFX90A:ACCUM_OFFSET: 15
; COMPUTE_PGM_RSRC3_GFX90A:TG_SPLIT: 0
	.section	.text._Z39paged_attention_ll4mi_QKV_mfma16_kernelIDF16_hLN4vllm18Fp8KVCacheDataTypeE1EDF16_Li32ELi64ELi256ELb0ELi4EL8MFMAType0EEvPKT_PKT0_S8_ifPKiSA_SA_iPKfiiiPfSD_PS3_PT2_iSC_SC_,"axG",@progbits,_Z39paged_attention_ll4mi_QKV_mfma16_kernelIDF16_hLN4vllm18Fp8KVCacheDataTypeE1EDF16_Li32ELi64ELi256ELb0ELi4EL8MFMAType0EEvPKT_PKT0_S8_ifPKiSA_SA_iPKfiiiPfSD_PS3_PT2_iSC_SC_,comdat
	.protected	_Z39paged_attention_ll4mi_QKV_mfma16_kernelIDF16_hLN4vllm18Fp8KVCacheDataTypeE1EDF16_Li32ELi64ELi256ELb0ELi4EL8MFMAType0EEvPKT_PKT0_S8_ifPKiSA_SA_iPKfiiiPfSD_PS3_PT2_iSC_SC_ ; -- Begin function _Z39paged_attention_ll4mi_QKV_mfma16_kernelIDF16_hLN4vllm18Fp8KVCacheDataTypeE1EDF16_Li32ELi64ELi256ELb0ELi4EL8MFMAType0EEvPKT_PKT0_S8_ifPKiSA_SA_iPKfiiiPfSD_PS3_PT2_iSC_SC_
	.globl	_Z39paged_attention_ll4mi_QKV_mfma16_kernelIDF16_hLN4vllm18Fp8KVCacheDataTypeE1EDF16_Li32ELi64ELi256ELb0ELi4EL8MFMAType0EEvPKT_PKT0_S8_ifPKiSA_SA_iPKfiiiPfSD_PS3_PT2_iSC_SC_
	.p2align	8
	.type	_Z39paged_attention_ll4mi_QKV_mfma16_kernelIDF16_hLN4vllm18Fp8KVCacheDataTypeE1EDF16_Li32ELi64ELi256ELb0ELi4EL8MFMAType0EEvPKT_PKT0_S8_ifPKiSA_SA_iPKfiiiPfSD_PS3_PT2_iSC_SC_,@function
_Z39paged_attention_ll4mi_QKV_mfma16_kernelIDF16_hLN4vllm18Fp8KVCacheDataTypeE1EDF16_Li32ELi64ELi256ELb0ELi4EL8MFMAType0EEvPKT_PKT0_S8_ifPKiSA_SA_iPKfiiiPfSD_PS3_PT2_iSC_SC_: ; @_Z39paged_attention_ll4mi_QKV_mfma16_kernelIDF16_hLN4vllm18Fp8KVCacheDataTypeE1EDF16_Li32ELi64ELi256ELb0ELi4EL8MFMAType0EEvPKT_PKT0_S8_ifPKiSA_SA_iPKfiiiPfSD_PS3_PT2_iSC_SC_
; %bb.0:
	s_load_dwordx2 s[0:1], s[4:5], 0x30
	s_mov_b32 s22, s7
	s_mov_b64 s[10:11], 0
	s_waitcnt lgkmcnt(0)
	s_cmp_lg_u64 s[0:1], 0
	s_cselect_b64 s[2:3], -1, 0
	s_and_b64 vcc, exec, s[2:3]
	s_cbranch_vccz .LBB609_7
; %bb.1:
	s_add_i32 s12, s6, 1
	s_mov_b32 s13, 0
	s_lshl_b64 s[14:15], s[12:13], 2
	s_add_u32 s14, s0, s14
	s_mov_b32 s7, s13
	s_addc_u32 s15, s1, s15
	s_lshl_b64 s[12:13], s[6:7], 2
	s_add_u32 s12, s0, s12
	s_addc_u32 s13, s1, s13
	s_load_dword s9, s[14:15], 0x0
	s_load_dword s16, s[12:13], 0x0
	s_waitcnt lgkmcnt(0)
	s_sub_i32 s9, s9, s16
	s_cmp_eq_u32 s9, 1
	s_cselect_b64 s[12:13], -1, 0
	s_andn2_b64 vcc, exec, s[10:11]
	s_cbranch_vccnz .LBB609_3
.LBB609_2:
	s_mov_b32 s7, 0
	s_mov_b64 s[12:13], -1
.LBB609_3:
	s_andn2_b64 vcc, exec, s[12:13]
	s_cbranch_vccnz .LBB609_785
; %bb.4:
	s_load_dwordx2 s[12:13], s[4:5], 0x28
	s_lshl_b64 s[10:11], s[6:7], 2
	s_waitcnt lgkmcnt(0)
	s_add_u32 s12, s12, s10
	s_addc_u32 s13, s13, s11
	s_load_dword s33, s[12:13], 0x0
	s_lshl_b32 s20, s22, 8
	s_waitcnt lgkmcnt(0)
	s_cmp_ge_i32 s20, s33
	s_cbranch_scc1 .LBB609_785
; %bb.5:
	s_add_i32 s14, s33, 31
	s_load_dwordx2 s[12:13], s[4:5], 0x20
	s_load_dword s9, s[4:5], 0x38
	s_ashr_i32 s15, s14, 31
	v_and_b32_e32 v1, 0xcf, v0
	s_lshr_b32 s15, s15, 27
	v_add_u32_e32 v1, s20, v1
	s_add_i32 s14, s14, s15
	v_ashrrev_i32_e32 v2, 31, v1
	s_ashr_i32 s24, s14, 5
	v_lshrrev_b32_e32 v4, 27, v2
	s_add_i32 s24, s24, -1
	v_add_u32_e32 v2, v1, v4
	s_waitcnt lgkmcnt(0)
	s_mul_i32 s14, s6, s9
	s_mov_b32 s15, 0
	v_ashrrev_i32_e32 v2, 5, v2
	v_mov_b32_e32 v5, s24
	v_cmp_gt_i32_e32 vcc, s33, v1
	s_lshl_b64 s[14:15], s[14:15], 2
	v_cndmask_b32_e32 v2, v5, v2, vcc
	s_add_u32 s9, s12, s14
	v_ashrrev_i32_e32 v3, 31, v2
	s_addc_u32 s21, s13, s15
	v_lshlrev_b64 v[2:3], 2, v[2:3]
	v_mov_b32_e32 v7, s21
	v_add_co_u32_e32 v6, vcc, s9, v2
	v_or_b32_e32 v2, 16, v1
	v_addc_co_u32_e32 v7, vcc, v7, v3, vcc
	v_add_u32_e32 v3, v2, v4
	v_ashrrev_i32_e32 v3, 5, v3
	v_cmp_gt_i32_e32 vcc, s33, v2
	v_cndmask_b32_e32 v2, v5, v3, vcc
	v_ashrrev_i32_e32 v3, 31, v2
	v_lshlrev_b64 v[2:3], 2, v[2:3]
	v_mov_b32_e32 v9, s21
	v_add_co_u32_e32 v8, vcc, s9, v2
	v_or_b32_e32 v2, 32, v1
	v_addc_co_u32_e32 v9, vcc, v9, v3, vcc
	v_add_u32_e32 v3, v2, v4
	v_ashrrev_i32_e32 v3, 5, v3
	v_cmp_gt_i32_e32 vcc, s33, v2
	v_cndmask_b32_e32 v2, v5, v3, vcc
	v_ashrrev_i32_e32 v3, 31, v2
	;; [unrolled: 10-line block ×3, first 2 shown]
	v_lshlrev_b64 v[2:3], 2, v[2:3]
	v_mov_b32_e32 v1, s21
	v_add_co_u32_e32 v12, vcc, s9, v2
	v_addc_co_u32_e32 v13, vcc, v1, v3, vcc
	global_load_dword v5, v[6:7], off
	global_load_dword v4, v[8:9], off
	;; [unrolled: 1-line block ×4, first 2 shown]
	s_load_dwordx4 s[12:15], s[4:5], 0x8
	s_andn2_b64 vcc, exec, s[2:3]
	s_cbranch_vccnz .LBB609_8
; %bb.6:
	s_add_u32 s0, s0, s10
	s_addc_u32 s1, s1, s11
	s_load_dword s2, s[0:1], 0x0
	s_branch .LBB609_9
.LBB609_7:
	s_mov_b64 s[12:13], 0
	s_branch .LBB609_2
.LBB609_8:
	s_mov_b32 s2, s6
.LBB609_9:
	s_load_dwordx4 s[16:19], s[4:5], 0x48
	v_and_b32_e32 v52, 15, v0
	v_bfe_u32 v49, v0, 4, 2
	s_lshl_b32 s23, s8, 2
	v_lshlrev_b32_e32 v1, 3, v52
	v_cmp_gt_u32_e32 vcc, 64, v0
	v_cmp_gt_u32_e64 s[0:1], 8, v52
	v_lshrrev_b32_e32 v51, 6, v0
	v_or_b32_e32 v46, s23, v49
	s_and_b64 s[44:45], vcc, s[0:1]
	v_lshlrev_b32_e32 v1, 1, v1
	v_lshlrev_b32_e32 v47, 5, v49
	;; [unrolled: 1-line block ×3, first 2 shown]
	s_and_saveexec_b64 s[0:1], s[44:45]
	s_cbranch_execz .LBB609_11
; %bb.10:
	s_load_dwordx2 s[10:11], s[4:5], 0x0
	s_waitcnt lgkmcnt(0)
	s_ashr_i32 s3, s16, 31
	s_mul_hi_u32 s19, s2, s16
	s_mul_i32 s3, s2, s3
	s_add_i32 s3, s19, s3
	s_mul_i32 s2, s2, s16
	s_lshl_b64 s[2:3], s[2:3], 1
	v_lshlrev_b32_e32 v6, 6, v46
	s_add_u32 s2, s10, s2
	v_ashrrev_i32_e32 v7, 31, v6
	s_addc_u32 s3, s11, s3
	v_lshlrev_b64 v[6:7], 1, v[6:7]
	v_mov_b32_e32 v8, s3
	v_add_co_u32_e32 v6, vcc, s2, v6
	v_addc_co_u32_e32 v7, vcc, v8, v7, vcc
	v_add_co_u32_e32 v6, vcc, v6, v1
	v_addc_co_u32_e32 v7, vcc, 0, v7, vcc
	global_load_dwordx4 v[6:9], v[6:7], off
	v_lshlrev_b32_e32 v12, 8, v52
	v_lshl_or_b32 v10, v51, 7, v47
	v_and_b32_e32 v11, 16, v48
	v_and_b32_e32 v12, 0xe00, v12
	v_or3_b32 v10, v12, v10, v11
	s_waitcnt vmcnt(0)
	ds_write_b128 v10, v[6:9]
.LBB609_11:
	s_or_b64 exec, exec, s[0:1]
	s_waitcnt lgkmcnt(0)
	s_mul_i32 s8, s8, s18
	s_add_u32 s0, s12, s8
	s_addc_u32 s1, s13, 0
	v_and_b32_e32 v12, 48, v0
	s_ashr_i32 s2, s20, 31
	v_or_b32_e32 v13, s20, v12
	s_lshr_b32 s2, s2, 27
	v_add_u32_e32 v6, s2, v13
	v_ashrrev_i32_e32 v6, 5, v6
	v_mov_b32_e32 v14, s24
	v_cmp_gt_i32_e32 vcc, s33, v13
	v_cndmask_b32_e32 v6, v14, v6, vcc
	v_ashrrev_i32_e32 v7, 31, v6
	v_lshlrev_b64 v[6:7], 2, v[6:7]
	v_mov_b32_e32 v8, s21
	v_add_co_u32_e32 v6, vcc, s9, v6
	v_addc_co_u32_e32 v7, vcc, v8, v7, vcc
	v_or_b32_e32 v8, 64, v13
	v_add_u32_e32 v9, s2, v8
	v_ashrrev_i32_e32 v9, 5, v9
	v_cmp_gt_i32_e32 vcc, s33, v8
	v_cndmask_b32_e32 v8, v14, v9, vcc
	v_ashrrev_i32_e32 v9, 31, v8
	v_lshlrev_b64 v[8:9], 2, v[8:9]
	v_mov_b32_e32 v10, s21
	v_add_co_u32_e32 v8, vcc, s9, v8
	v_addc_co_u32_e32 v9, vcc, v10, v9, vcc
	v_or_b32_e32 v10, 0x80, v13
	v_add_u32_e32 v11, s2, v10
	v_ashrrev_i32_e32 v11, 5, v11
	v_cmp_gt_i32_e32 vcc, s33, v10
	v_cndmask_b32_e32 v10, v14, v11, vcc
	v_ashrrev_i32_e32 v11, 31, v10
	v_lshlrev_b64 v[10:11], 2, v[10:11]
	v_mov_b32_e32 v15, s21
	v_add_co_u32_e32 v10, vcc, s9, v10
	s_load_dwordx2 s[46:47], s[4:5], 0x94
	s_load_dwordx4 s[40:43], s[4:5], 0x80
	s_waitcnt lgkmcnt(0)
	s_barrier
	v_addc_co_u32_e32 v11, vcc, v15, v11, vcc
	global_load_dword v15, v[6:7], off
	global_load_dword v16, v[8:9], off
	;; [unrolled: 1-line block ×3, first 2 shown]
	v_or_b32_e32 v6, 0xc0, v13
	v_add_u32_e32 v7, s2, v6
	v_ashrrev_i32_e32 v7, 5, v7
	v_cmp_gt_i32_e32 vcc, s33, v6
	v_cndmask_b32_e32 v6, v14, v7, vcc
	v_ashrrev_i32_e32 v7, 31, v6
	v_lshlrev_b64 v[6:7], 2, v[6:7]
	v_mov_b32_e32 v8, s21
	v_add_co_u32_e32 v6, vcc, s9, v6
	v_addc_co_u32_e32 v7, vcc, v8, v7, vcc
	global_load_dword v20, v[6:7], off
	v_pk_mov_b32 v[6:7], s[0:1], s[0:1] op_sel:[0,1]
	s_waitcnt vmcnt(7)
	v_mad_i64_i32 v[8:9], s[0:1], v5, s17, v[6:7]
	v_lshlrev_b32_e32 v11, 4, v52
	v_add_co_u32_e32 v5, vcc, v8, v11
	v_lshlrev_b32_e32 v10, 5, v12
	v_addc_co_u32_e32 v9, vcc, 0, v9, vcc
	v_add_co_u32_e32 v8, vcc, v5, v10
	v_addc_co_u32_e32 v9, vcc, 0, v9, vcc
	s_waitcnt vmcnt(6)
	v_mad_i64_i32 v[4:5], s[0:1], v4, s17, v[6:7]
	v_or_b32_e32 v12, 0x100, v11
	v_add_co_u32_e32 v4, vcc, v4, v12
	v_addc_co_u32_e32 v5, vcc, 0, v5, vcc
	v_add_co_u32_e32 v4, vcc, v4, v10
	v_addc_co_u32_e32 v5, vcc, 0, v5, vcc
	global_load_dwordx4 v[30:33], v[8:9], off
	global_load_dwordx4 v[38:41], v[4:5], off
	s_waitcnt vmcnt(7)
	v_mad_i64_i32 v[4:5], s[0:1], v3, s17, v[6:7]
	v_add_co_u32_e32 v3, vcc, v4, v11
	v_addc_co_u32_e32 v5, vcc, 0, v5, vcc
	v_add_co_u32_e32 v4, vcc, v3, v10
	v_addc_co_u32_e32 v5, vcc, 0, v5, vcc
	s_waitcnt vmcnt(6)
	v_mad_i64_i32 v[2:3], s[0:1], v2, s17, v[6:7]
	v_add_co_u32_e32 v2, vcc, v2, v12
	v_addc_co_u32_e32 v3, vcc, 0, v3, vcc
	v_add_co_u32_e32 v2, vcc, v2, v10
	s_add_u32 s0, s14, s8
	v_addc_co_u32_e32 v3, vcc, 0, v3, vcc
	global_load_dwordx4 v[34:37], v[4:5], off
	global_load_dwordx4 v[22:25], v[2:3], off
	s_addc_u32 s1, s15, 0
	v_and_b32_e32 v2, 16, v0
	v_mov_b32_e32 v3, s1
	v_add_co_u32_e32 v2, vcc, s0, v2
	v_lshlrev_b32_e32 v50, 5, v52
	v_addc_co_u32_e32 v3, vcc, 0, v3, vcc
	v_lshl_or_b32 v4, v51, 9, v50
	v_add_co_u32_e32 v2, vcc, v2, v4
	v_addc_co_u32_e32 v3, vcc, 0, v3, vcc
	v_mov_b32_e32 v43, 0
	s_movk_i32 s2, 0x80
	v_mov_b32_e32 v44, 0
	s_waitcnt vmcnt(7)
	v_mad_i64_i32 v[4:5], s[0:1], v15, s17, v[2:3]
	s_waitcnt vmcnt(6)
	v_mad_i64_i32 v[6:7], s[0:1], v16, s17, v[2:3]
	;; [unrolled: 2-line block ×3, first 2 shown]
	global_load_dwordx4 v[14:17], v[4:5], off
	global_load_dwordx4 v[10:13], v[6:7], off
	s_waitcnt vmcnt(6)
	v_mad_i64_i32 v[20:21], s[0:1], v20, s17, v[2:3]
	global_load_dwordx4 v[6:9], v[18:19], off
	global_load_dwordx4 v[2:5], v[20:21], off
	v_and_b32_e32 v18, 3, v0
	v_lshlrev_b32_e32 v18, 5, v18
	v_lshl_or_b32 v18, v49, 9, v18
	ds_read_b128 v[26:29], v18
	ds_read_b128 v[18:21], v18 offset:16
	s_load_dword s10, s[40:41], 0x0
	s_waitcnt vmcnt(7)
	v_cmp_ne_u16_sdwa s[8:9], v30, v43 src0_sel:BYTE_0 src1_sel:DWORD
	s_and_saveexec_b64 s[0:1], s[8:9]
	s_cbranch_execz .LBB609_17
; %bb.12:
	v_cmp_ne_u16_sdwa s[8:9], v30, s2 src0_sel:BYTE_0 src1_sel:DWORD
	v_bfrev_b32_e32 v44, 1
	s_and_saveexec_b64 s[2:3], s[8:9]
	s_cbranch_execz .LBB609_16
; %bb.13:
	s_movk_i32 s8, 0x7f
	v_and_b32_e32 v42, 0x7f, v30
	v_cmp_ne_u32_e32 vcc, s8, v42
	v_mov_b32_e32 v44, 0x7f800001
	s_and_saveexec_b64 s[8:9], vcc
	s_cbranch_execz .LBB609_15
; %bb.14:
	v_and_b32_e32 v53, 7, v30
	v_ffbh_u32_e32 v44, v53
	v_min_u32_e32 v55, 32, v44
	v_subrev_u32_e32 v44, 28, v55
	v_lshlrev_b64 v[44:45], v44, v[30:31]
	v_lshrrev_b32_e32 v54, 3, v42
	v_sub_u32_e32 v45, 29, v55
	v_and_b32_e32 v44, 7, v44
	v_cmp_gt_u32_e32 vcc, 8, v42
	v_cndmask_b32_e32 v42, v54, v45, vcc
	v_cndmask_b32_e32 v44, v53, v44, vcc
	v_lshlrev_b32_e32 v45, 24, v30
	v_bfrev_b32_e32 v53, 60
	v_lshlrev_b32_e32 v44, 20, v44
	v_and_b32_e32 v45, 0x80000000, v45
	v_lshl_add_u32 v42, v42, 23, v53
	v_or3_b32 v44, v45, v42, v44
.LBB609_15:
	s_or_b64 exec, exec, s[8:9]
.LBB609_16:
	s_or_b64 exec, exec, s[2:3]
.LBB609_17:
	s_or_b64 exec, exec, s[0:1]
	v_lshrrev_b16_e32 v42, 8, v30
	v_cmp_ne_u16_e32 vcc, 0, v42
	s_and_saveexec_b64 s[0:1], vcc
	s_cbranch_execz .LBB609_23
; %bb.18:
	s_movk_i32 s2, 0x80
	v_cmp_ne_u16_e32 vcc, s2, v42
	v_bfrev_b32_e32 v43, 1
	s_and_saveexec_b64 s[2:3], vcc
	s_cbranch_execz .LBB609_22
; %bb.19:
	s_movk_i32 s8, 0x7f
	v_and_b32_e32 v45, 0x7f, v42
	v_cmp_ne_u32_e32 vcc, s8, v45
	v_mov_b32_e32 v43, 0x7f800001
	s_and_saveexec_b64 s[8:9], vcc
	s_cbranch_execz .LBB609_21
; %bb.20:
	v_and_b32_e32 v53, 7, v42
	v_ffbh_u32_e32 v43, v53
	v_min_u32_e32 v55, 32, v43
	v_subrev_u32_e32 v43, 28, v55
	v_lshlrev_b64 v[42:43], v43, v[42:43]
	v_lshrrev_b32_e32 v54, 3, v45
	v_sub_u32_e32 v43, 29, v55
	v_and_b32_e32 v42, 7, v42
	v_cmp_gt_u32_e32 vcc, 8, v45
	v_cndmask_b32_e32 v43, v54, v43, vcc
	v_cndmask_b32_e32 v42, v53, v42, vcc
	v_lshlrev_b32_e32 v45, 16, v30
	v_bfrev_b32_e32 v53, 60
	v_lshlrev_b32_e32 v42, 20, v42
	v_and_b32_e32 v45, 0x80000000, v45
	v_lshl_add_u32 v43, v43, 23, v53
	v_or3_b32 v43, v45, v43, v42
.LBB609_21:
	s_or_b64 exec, exec, s[8:9]
.LBB609_22:
	s_or_b64 exec, exec, s[2:3]
.LBB609_23:
	s_or_b64 exec, exec, s[0:1]
	s_movk_i32 s0, 0xff
	v_and_b32_sdwa v54, v30, s0 dst_sel:DWORD dst_unused:UNUSED_PAD src0_sel:WORD_1 src1_sel:DWORD
	v_lshrrev_b32_e32 v42, 16, v30
	v_cmp_ne_u16_e32 vcc, 0, v54
	v_mov_b32_e32 v45, 0
	v_mov_b32_e32 v53, 0
	s_and_saveexec_b64 s[0:1], vcc
	s_cbranch_execz .LBB609_29
; %bb.24:
	s_movk_i32 s2, 0x80
	v_cmp_ne_u16_e32 vcc, s2, v54
	v_bfrev_b32_e32 v53, 1
	s_and_saveexec_b64 s[2:3], vcc
	s_cbranch_execz .LBB609_28
; %bb.25:
	v_bfe_u32 v54, v30, 16, 7
	s_movk_i32 s8, 0x7f
	v_cmp_ne_u32_e32 vcc, s8, v54
	v_mov_b32_e32 v53, 0x7f800001
	s_and_saveexec_b64 s[8:9], vcc
	s_cbranch_execz .LBB609_27
; %bb.26:
	v_and_b32_e32 v53, 7, v42
	v_ffbh_u32_e32 v56, v53
	v_min_u32_e32 v58, 32, v56
	v_subrev_u32_e32 v56, 28, v58
	v_lshlrev_b64 v[56:57], v56, v[42:43]
	v_lshrrev_b32_e32 v55, 3, v54
	v_sub_u32_e32 v42, 29, v58
	v_and_b32_e32 v56, 7, v56
	v_cmp_gt_u32_e32 vcc, 8, v54
	v_mov_b32_e32 v54, 24
	v_cndmask_b32_e32 v42, v55, v42, vcc
	v_cndmask_b32_e32 v53, v53, v56, vcc
	v_lshlrev_b32_sdwa v54, v54, v30 dst_sel:DWORD dst_unused:UNUSED_PAD src0_sel:DWORD src1_sel:WORD_1
	v_bfrev_b32_e32 v55, 60
	v_lshlrev_b32_e32 v53, 20, v53
	v_and_b32_e32 v54, 0x80000000, v54
	v_lshl_add_u32 v42, v42, 23, v55
	v_or3_b32 v53, v54, v42, v53
.LBB609_27:
	s_or_b64 exec, exec, s[8:9]
.LBB609_28:
	s_or_b64 exec, exec, s[2:3]
.LBB609_29:
	s_or_b64 exec, exec, s[0:1]
	s_mov_b32 s0, 0xffffff
	v_cmp_lt_u32_e32 vcc, s0, v30
	s_and_saveexec_b64 s[0:1], vcc
	s_cbranch_execz .LBB609_35
; %bb.30:
	v_lshrrev_b32_e32 v42, 24, v30
	s_movk_i32 s2, 0x80
	v_cmp_ne_u32_e32 vcc, s2, v42
	v_bfrev_b32_e32 v45, 1
	s_and_saveexec_b64 s[2:3], vcc
	s_cbranch_execz .LBB609_34
; %bb.31:
	v_bfe_u32 v30, v30, 24, 7
	s_movk_i32 s8, 0x7f
	v_cmp_ne_u32_e32 vcc, s8, v30
	v_mov_b32_e32 v45, 0x7f800001
	s_and_saveexec_b64 s[8:9], vcc
	s_cbranch_execz .LBB609_33
; %bb.32:
	v_and_b32_e32 v45, 7, v42
	v_ffbh_u32_e32 v54, v45
	v_min_u32_e32 v57, 32, v54
	v_subrev_u32_e32 v54, 28, v57
	v_lshlrev_b64 v[54:55], v54, v[42:43]
	v_lshrrev_b32_e32 v56, 3, v30
	v_sub_u32_e32 v55, 29, v57
	v_and_b32_e32 v54, 7, v54
	v_cmp_gt_u32_e32 vcc, 8, v30
	v_cndmask_b32_e32 v30, v56, v55, vcc
	v_cndmask_b32_e32 v45, v45, v54, vcc
	v_lshlrev_b32_e32 v42, 24, v42
	v_bfrev_b32_e32 v54, 60
	v_lshlrev_b32_e32 v45, 20, v45
	v_and_b32_e32 v42, 0x80000000, v42
	v_lshl_add_u32 v30, v30, 23, v54
	v_or3_b32 v45, v42, v30, v45
.LBB609_33:
	s_or_b64 exec, exec, s[8:9]
.LBB609_34:
	s_or_b64 exec, exec, s[2:3]
.LBB609_35:
	s_or_b64 exec, exec, s[0:1]
	v_mov_b32_e32 v42, 0
	v_cmp_ne_u16_sdwa s[2:3], v31, v42 src0_sel:BYTE_0 src1_sel:DWORD
	v_mov_b32_e32 v54, 0
	s_and_saveexec_b64 s[0:1], s[2:3]
	s_cbranch_execz .LBB609_41
; %bb.36:
	s_movk_i32 s2, 0x80
	v_cmp_ne_u16_sdwa s[8:9], v31, s2 src0_sel:BYTE_0 src1_sel:DWORD
	v_bfrev_b32_e32 v54, 1
	s_and_saveexec_b64 s[2:3], s[8:9]
	s_cbranch_execz .LBB609_40
; %bb.37:
	s_movk_i32 s8, 0x7f
	v_and_b32_e32 v30, 0x7f, v31
	v_cmp_ne_u32_e32 vcc, s8, v30
	v_mov_b32_e32 v54, 0x7f800001
	s_and_saveexec_b64 s[8:9], vcc
	s_cbranch_execz .LBB609_39
; %bb.38:
	v_and_b32_e32 v56, 7, v31
	v_ffbh_u32_e32 v55, v56
	v_min_u32_e32 v58, 32, v55
	v_mov_b32_e32 v54, v31
	v_subrev_u32_e32 v55, 28, v58
	v_lshlrev_b64 v[54:55], v55, v[54:55]
	v_lshrrev_b32_e32 v57, 3, v30
	v_sub_u32_e32 v55, 29, v58
	v_and_b32_e32 v54, 7, v54
	v_cmp_gt_u32_e32 vcc, 8, v30
	v_cndmask_b32_e32 v30, v57, v55, vcc
	v_cndmask_b32_e32 v54, v56, v54, vcc
	v_lshlrev_b32_e32 v55, 24, v31
	v_bfrev_b32_e32 v56, 60
	v_lshlrev_b32_e32 v54, 20, v54
	v_and_b32_e32 v55, 0x80000000, v55
	v_lshl_add_u32 v30, v30, 23, v56
	v_or3_b32 v54, v55, v30, v54
.LBB609_39:
	s_or_b64 exec, exec, s[8:9]
.LBB609_40:
	s_or_b64 exec, exec, s[2:3]
.LBB609_41:
	s_or_b64 exec, exec, s[0:1]
	v_lshrrev_b16_e32 v30, 8, v31
	v_cmp_ne_u16_e32 vcc, 0, v30
	s_and_saveexec_b64 s[0:1], vcc
	s_cbranch_execz .LBB609_47
; %bb.42:
	s_movk_i32 s2, 0x80
	v_cmp_ne_u16_e32 vcc, s2, v30
	v_bfrev_b32_e32 v42, 1
	s_and_saveexec_b64 s[2:3], vcc
	s_cbranch_execz .LBB609_46
; %bb.43:
	s_movk_i32 s8, 0x7f
	v_and_b32_e32 v55, 0x7f, v30
	v_cmp_ne_u32_e32 vcc, s8, v55
	v_mov_b32_e32 v42, 0x7f800001
	s_and_saveexec_b64 s[8:9], vcc
	s_cbranch_execz .LBB609_45
; %bb.44:
	v_and_b32_e32 v42, 7, v30
	v_ffbh_u32_e32 v56, v42
	v_min_u32_e32 v59, 32, v56
	v_subrev_u32_e32 v56, 28, v59
	v_lshlrev_b64 v[56:57], v56, v[30:31]
	v_lshrrev_b32_e32 v58, 3, v55
	v_sub_u32_e32 v30, 29, v59
	v_and_b32_e32 v56, 7, v56
	v_cmp_gt_u32_e32 vcc, 8, v55
	v_cndmask_b32_e32 v30, v58, v30, vcc
	v_cndmask_b32_e32 v42, v42, v56, vcc
	v_lshlrev_b32_e32 v55, 16, v31
	v_bfrev_b32_e32 v56, 60
	v_lshlrev_b32_e32 v42, 20, v42
	v_and_b32_e32 v55, 0x80000000, v55
	v_lshl_add_u32 v30, v30, 23, v56
	v_or3_b32 v42, v55, v30, v42
.LBB609_45:
	s_or_b64 exec, exec, s[8:9]
.LBB609_46:
	s_or_b64 exec, exec, s[2:3]
.LBB609_47:
	s_or_b64 exec, exec, s[0:1]
	s_movk_i32 s0, 0xff
	v_and_b32_sdwa v57, v31, s0 dst_sel:DWORD dst_unused:UNUSED_PAD src0_sel:WORD_1 src1_sel:DWORD
	v_lshrrev_b32_e32 v30, 16, v31
	v_cmp_ne_u16_e32 vcc, 0, v57
	v_mov_b32_e32 v55, 0
	v_mov_b32_e32 v56, 0
	s_and_saveexec_b64 s[0:1], vcc
	s_cbranch_execz .LBB609_53
; %bb.48:
	s_movk_i32 s2, 0x80
	v_cmp_ne_u16_e32 vcc, s2, v57
	v_bfrev_b32_e32 v56, 1
	s_and_saveexec_b64 s[2:3], vcc
	s_cbranch_execz .LBB609_52
; %bb.49:
	v_bfe_u32 v57, v31, 16, 7
	s_movk_i32 s8, 0x7f
	v_cmp_ne_u32_e32 vcc, s8, v57
	v_mov_b32_e32 v56, 0x7f800001
	s_and_saveexec_b64 s[8:9], vcc
	s_cbranch_execz .LBB609_51
; %bb.50:
	v_and_b32_e32 v56, 7, v30
	v_ffbh_u32_e32 v58, v56
	v_min_u32_e32 v61, 32, v58
	v_subrev_u32_e32 v58, 28, v61
	v_lshlrev_b64 v[58:59], v58, v[30:31]
	v_lshrrev_b32_e32 v60, 3, v57
	v_sub_u32_e32 v30, 29, v61
	v_and_b32_e32 v58, 7, v58
	v_cmp_gt_u32_e32 vcc, 8, v57
	v_mov_b32_e32 v57, 24
	v_cndmask_b32_e32 v30, v60, v30, vcc
	v_cndmask_b32_e32 v56, v56, v58, vcc
	v_lshlrev_b32_sdwa v57, v57, v31 dst_sel:DWORD dst_unused:UNUSED_PAD src0_sel:DWORD src1_sel:WORD_1
	v_bfrev_b32_e32 v58, 60
	v_lshlrev_b32_e32 v56, 20, v56
	v_and_b32_e32 v57, 0x80000000, v57
	v_lshl_add_u32 v30, v30, 23, v58
	v_or3_b32 v56, v57, v30, v56
.LBB609_51:
	s_or_b64 exec, exec, s[8:9]
.LBB609_52:
	s_or_b64 exec, exec, s[2:3]
.LBB609_53:
	s_or_b64 exec, exec, s[0:1]
	s_mov_b32 s0, 0xffffff
	v_cmp_lt_u32_e32 vcc, s0, v31
	s_and_saveexec_b64 s[0:1], vcc
	s_cbranch_execz .LBB609_59
; %bb.54:
	v_lshrrev_b32_e32 v30, 24, v31
	s_movk_i32 s2, 0x80
	v_cmp_ne_u32_e32 vcc, s2, v30
	v_bfrev_b32_e32 v55, 1
	s_and_saveexec_b64 s[2:3], vcc
	s_cbranch_execz .LBB609_58
; %bb.55:
	v_bfe_u32 v31, v31, 24, 7
	s_movk_i32 s8, 0x7f
	v_cmp_ne_u32_e32 vcc, s8, v31
	v_mov_b32_e32 v55, 0x7f800001
	s_and_saveexec_b64 s[8:9], vcc
	s_cbranch_execz .LBB609_57
; %bb.56:
	v_and_b32_e32 v55, 7, v30
	v_ffbh_u32_e32 v58, v55
	v_min_u32_e32 v60, 32, v58
	v_subrev_u32_e32 v58, 28, v60
	v_lshlrev_b64 v[58:59], v58, v[30:31]
	v_lshrrev_b32_e32 v57, 3, v31
	v_sub_u32_e32 v59, 29, v60
	v_and_b32_e32 v58, 7, v58
	v_cmp_gt_u32_e32 vcc, 8, v31
	v_cndmask_b32_e32 v31, v57, v59, vcc
	v_cndmask_b32_e32 v55, v55, v58, vcc
	v_lshlrev_b32_e32 v30, 24, v30
	v_bfrev_b32_e32 v57, 60
	v_lshlrev_b32_e32 v55, 20, v55
	v_and_b32_e32 v30, 0x80000000, v30
	v_lshl_add_u32 v31, v31, 23, v57
	v_or3_b32 v55, v30, v31, v55
.LBB609_57:
	s_or_b64 exec, exec, s[8:9]
.LBB609_58:
	s_or_b64 exec, exec, s[2:3]
.LBB609_59:
	s_or_b64 exec, exec, s[0:1]
	v_cvt_pkrtz_f16_f32 v30, v44, v43
	v_cvt_pkrtz_f16_f32 v31, v53, v45
	;; [unrolled: 1-line block ×4, first 2 shown]
	v_mov_b32_e32 v54, 0
	s_waitcnt lgkmcnt(0)
	v_mfma_f32_16x16x16f16 v[58:61], v[30:31], v[26:27], 0
	v_mov_b32_e32 v31, 0
	v_cmp_ne_u16_sdwa s[2:3], v32, v31 src0_sel:BYTE_0 src1_sel:DWORD
	v_mfma_f32_16x16x16f16 v[42:45], v[42:43], v[28:29], v[58:61]
	s_and_saveexec_b64 s[0:1], s[2:3]
	s_cbranch_execz .LBB609_65
; %bb.60:
	s_movk_i32 s2, 0x80
	v_cmp_ne_u16_sdwa s[8:9], v32, s2 src0_sel:BYTE_0 src1_sel:DWORD
	v_bfrev_b32_e32 v54, 1
	s_and_saveexec_b64 s[2:3], s[8:9]
	s_cbranch_execz .LBB609_64
; %bb.61:
	s_movk_i32 s8, 0x7f
	v_and_b32_e32 v30, 0x7f, v32
	v_cmp_ne_u32_e32 vcc, s8, v30
	v_mov_b32_e32 v54, 0x7f800001
	s_and_saveexec_b64 s[8:9], vcc
	s_cbranch_execz .LBB609_63
; %bb.62:
	v_and_b32_e32 v53, 7, v32
	v_ffbh_u32_e32 v54, v53
	v_min_u32_e32 v57, 32, v54
	v_subrev_u32_e32 v54, 28, v57
	v_lshlrev_b64 v[54:55], v54, v[32:33]
	v_lshrrev_b32_e32 v56, 3, v30
	v_sub_u32_e32 v55, 29, v57
	v_and_b32_e32 v54, 7, v54
	v_cmp_gt_u32_e32 vcc, 8, v30
	v_cndmask_b32_e32 v30, v56, v55, vcc
	v_cndmask_b32_e32 v53, v53, v54, vcc
	v_lshlrev_b32_e32 v54, 24, v32
	v_bfrev_b32_e32 v55, 60
	v_lshlrev_b32_e32 v53, 20, v53
	v_and_b32_e32 v54, 0x80000000, v54
	v_lshl_add_u32 v30, v30, 23, v55
	v_or3_b32 v54, v54, v30, v53
.LBB609_63:
	s_or_b64 exec, exec, s[8:9]
.LBB609_64:
	s_or_b64 exec, exec, s[2:3]
.LBB609_65:
	s_or_b64 exec, exec, s[0:1]
	v_lshrrev_b16_e32 v30, 8, v32
	v_cmp_ne_u16_e32 vcc, 0, v30
	v_mov_b32_e32 v55, 0
	s_and_saveexec_b64 s[0:1], vcc
	s_cbranch_execz .LBB609_71
; %bb.66:
	s_movk_i32 s2, 0x80
	v_cmp_ne_u16_e32 vcc, s2, v30
	v_bfrev_b32_e32 v55, 1
	s_and_saveexec_b64 s[2:3], vcc
	s_cbranch_execz .LBB609_70
; %bb.67:
	s_movk_i32 s8, 0x7f
	v_and_b32_e32 v53, 0x7f, v30
	v_cmp_ne_u32_e32 vcc, s8, v53
	v_mov_b32_e32 v55, 0x7f800001
	s_and_saveexec_b64 s[8:9], vcc
	s_cbranch_execz .LBB609_69
; %bb.68:
	v_and_b32_e32 v55, 7, v30
	v_ffbh_u32_e32 v56, v55
	v_min_u32_e32 v59, 32, v56
	v_subrev_u32_e32 v56, 28, v59
	v_lshlrev_b64 v[56:57], v56, v[30:31]
	v_lshrrev_b32_e32 v58, 3, v53
	v_sub_u32_e32 v30, 29, v59
	v_and_b32_e32 v56, 7, v56
	v_cmp_gt_u32_e32 vcc, 8, v53
	v_cndmask_b32_e32 v30, v58, v30, vcc
	v_cndmask_b32_e32 v53, v55, v56, vcc
	v_lshlrev_b32_e32 v55, 16, v32
	v_bfrev_b32_e32 v56, 60
	v_lshlrev_b32_e32 v53, 20, v53
	v_and_b32_e32 v55, 0x80000000, v55
	v_lshl_add_u32 v30, v30, 23, v56
	v_or3_b32 v55, v55, v30, v53
.LBB609_69:
	s_or_b64 exec, exec, s[8:9]
.LBB609_70:
	s_or_b64 exec, exec, s[2:3]
.LBB609_71:
	s_or_b64 exec, exec, s[0:1]
	s_movk_i32 s0, 0xff
	v_and_b32_sdwa v53, v32, s0 dst_sel:DWORD dst_unused:UNUSED_PAD src0_sel:WORD_1 src1_sel:DWORD
	v_lshrrev_b32_e32 v30, 16, v32
	v_cmp_ne_u16_e32 vcc, 0, v53
	s_and_saveexec_b64 s[0:1], vcc
	s_cbranch_execz .LBB609_77
; %bb.72:
	s_movk_i32 s2, 0x80
	v_cmp_ne_u16_e32 vcc, s2, v53
	v_bfrev_b32_e32 v31, 1
	s_and_saveexec_b64 s[2:3], vcc
	s_cbranch_execz .LBB609_76
; %bb.73:
	v_bfe_u32 v53, v32, 16, 7
	s_movk_i32 s8, 0x7f
	v_cmp_ne_u32_e32 vcc, s8, v53
	v_mov_b32_e32 v31, 0x7f800001
	s_and_saveexec_b64 s[8:9], vcc
	s_cbranch_execz .LBB609_75
; %bb.74:
	v_and_b32_e32 v56, 7, v30
	v_ffbh_u32_e32 v31, v56
	v_min_u32_e32 v58, 32, v31
	v_subrev_u32_e32 v31, 28, v58
	v_lshlrev_b64 v[30:31], v31, v[30:31]
	v_lshrrev_b32_e32 v57, 3, v53
	v_sub_u32_e32 v31, 29, v58
	v_and_b32_e32 v30, 7, v30
	v_cmp_gt_u32_e32 vcc, 8, v53
	v_mov_b32_e32 v53, 24
	v_cndmask_b32_e32 v31, v57, v31, vcc
	v_cndmask_b32_e32 v30, v56, v30, vcc
	v_lshlrev_b32_sdwa v53, v53, v32 dst_sel:DWORD dst_unused:UNUSED_PAD src0_sel:DWORD src1_sel:WORD_1
	v_bfrev_b32_e32 v56, 60
	v_lshlrev_b32_e32 v30, 20, v30
	v_and_b32_e32 v53, 0x80000000, v53
	v_lshl_add_u32 v31, v31, 23, v56
	v_or3_b32 v31, v53, v31, v30
.LBB609_75:
	s_or_b64 exec, exec, s[8:9]
.LBB609_76:
	s_or_b64 exec, exec, s[2:3]
.LBB609_77:
	s_or_b64 exec, exec, s[0:1]
	s_mov_b32 s0, 0xffffff
	v_cmp_lt_u32_e32 vcc, s0, v32
	v_mov_b32_e32 v56, 0
	v_mov_b32_e32 v57, 0
	s_and_saveexec_b64 s[0:1], vcc
	s_cbranch_execz .LBB609_83
; %bb.78:
	v_lshrrev_b32_e32 v30, 24, v32
	s_movk_i32 s2, 0x80
	v_cmp_ne_u32_e32 vcc, s2, v30
	v_bfrev_b32_e32 v57, 1
	s_and_saveexec_b64 s[2:3], vcc
	s_cbranch_execz .LBB609_82
; %bb.79:
	v_bfe_u32 v32, v32, 24, 7
	s_movk_i32 s8, 0x7f
	v_cmp_ne_u32_e32 vcc, s8, v32
	v_mov_b32_e32 v57, 0x7f800001
	s_and_saveexec_b64 s[8:9], vcc
	s_cbranch_execz .LBB609_81
; %bb.80:
	v_and_b32_e32 v53, 7, v30
	v_ffbh_u32_e32 v58, v53
	v_min_u32_e32 v60, 32, v58
	v_subrev_u32_e32 v58, 28, v60
	v_lshlrev_b64 v[58:59], v58, v[30:31]
	v_lshrrev_b32_e32 v57, 3, v32
	v_sub_u32_e32 v59, 29, v60
	v_and_b32_e32 v58, 7, v58
	v_cmp_gt_u32_e32 vcc, 8, v32
	v_cndmask_b32_e32 v32, v57, v59, vcc
	v_cndmask_b32_e32 v53, v53, v58, vcc
	v_lshlrev_b32_e32 v30, 24, v30
	v_bfrev_b32_e32 v57, 60
	v_lshlrev_b32_e32 v53, 20, v53
	v_and_b32_e32 v30, 0x80000000, v30
	v_lshl_add_u32 v32, v32, 23, v57
	v_or3_b32 v57, v30, v32, v53
.LBB609_81:
	s_or_b64 exec, exec, s[8:9]
.LBB609_82:
	s_or_b64 exec, exec, s[2:3]
.LBB609_83:
	s_or_b64 exec, exec, s[0:1]
	v_cmp_ne_u16_sdwa s[2:3], v33, v56 src0_sel:BYTE_0 src1_sel:DWORD
	s_and_saveexec_b64 s[0:1], s[2:3]
	s_cbranch_execz .LBB609_89
; %bb.84:
	s_movk_i32 s2, 0x80
	v_cmp_ne_u16_sdwa s[8:9], v33, s2 src0_sel:BYTE_0 src1_sel:DWORD
	v_bfrev_b32_e32 v56, 1
	s_and_saveexec_b64 s[2:3], s[8:9]
	s_cbranch_execz .LBB609_88
; %bb.85:
	s_movk_i32 s8, 0x7f
	v_and_b32_e32 v30, 0x7f, v33
	v_cmp_ne_u32_e32 vcc, s8, v30
	v_mov_b32_e32 v56, 0x7f800001
	s_and_saveexec_b64 s[8:9], vcc
	s_cbranch_execz .LBB609_87
; %bb.86:
	v_and_b32_e32 v53, 7, v33
	v_ffbh_u32_e32 v58, v53
	v_min_u32_e32 v60, 32, v58
	v_mov_b32_e32 v32, v33
	v_subrev_u32_e32 v58, 28, v60
	v_lshlrev_b64 v[58:59], v58, v[32:33]
	v_lshrrev_b32_e32 v56, 3, v30
	v_sub_u32_e32 v32, 29, v60
	v_and_b32_e32 v58, 7, v58
	v_cmp_gt_u32_e32 vcc, 8, v30
	v_cndmask_b32_e32 v30, v56, v32, vcc
	v_cndmask_b32_e32 v32, v53, v58, vcc
	v_lshlrev_b32_e32 v53, 24, v33
	v_bfrev_b32_e32 v56, 60
	v_lshlrev_b32_e32 v32, 20, v32
	v_and_b32_e32 v53, 0x80000000, v53
	v_lshl_add_u32 v30, v30, 23, v56
	v_or3_b32 v56, v53, v30, v32
.LBB609_87:
	s_or_b64 exec, exec, s[8:9]
.LBB609_88:
	s_or_b64 exec, exec, s[2:3]
.LBB609_89:
	s_or_b64 exec, exec, s[0:1]
	v_lshrrev_b16_e32 v30, 8, v33
	v_cmp_ne_u16_e32 vcc, 0, v30
	v_mov_b32_e32 v32, 0
	v_mov_b32_e32 v58, 0
	s_and_saveexec_b64 s[0:1], vcc
	s_cbranch_execz .LBB609_95
; %bb.90:
	s_movk_i32 s2, 0x80
	v_cmp_ne_u16_e32 vcc, s2, v30
	v_bfrev_b32_e32 v58, 1
	s_and_saveexec_b64 s[2:3], vcc
	s_cbranch_execz .LBB609_94
; %bb.91:
	s_movk_i32 s8, 0x7f
	v_and_b32_e32 v53, 0x7f, v30
	v_cmp_ne_u32_e32 vcc, s8, v53
	v_mov_b32_e32 v58, 0x7f800001
	s_and_saveexec_b64 s[8:9], vcc
	s_cbranch_execz .LBB609_93
; %bb.92:
	v_and_b32_e32 v60, 7, v30
	v_ffbh_u32_e32 v58, v60
	v_min_u32_e32 v62, 32, v58
	v_subrev_u32_e32 v58, 28, v62
	v_lshlrev_b64 v[58:59], v58, v[30:31]
	v_lshrrev_b32_e32 v61, 3, v53
	v_sub_u32_e32 v30, 29, v62
	v_and_b32_e32 v58, 7, v58
	v_cmp_gt_u32_e32 vcc, 8, v53
	v_cndmask_b32_e32 v30, v61, v30, vcc
	v_cndmask_b32_e32 v53, v60, v58, vcc
	v_lshlrev_b32_e32 v58, 16, v33
	v_bfrev_b32_e32 v59, 60
	v_lshlrev_b32_e32 v53, 20, v53
	v_and_b32_e32 v58, 0x80000000, v58
	v_lshl_add_u32 v30, v30, 23, v59
	v_or3_b32 v58, v58, v30, v53
.LBB609_93:
	s_or_b64 exec, exec, s[8:9]
.LBB609_94:
	s_or_b64 exec, exec, s[2:3]
.LBB609_95:
	s_or_b64 exec, exec, s[0:1]
	s_movk_i32 s0, 0xff
	v_and_b32_sdwa v53, v33, s0 dst_sel:DWORD dst_unused:UNUSED_PAD src0_sel:WORD_1 src1_sel:DWORD
	v_lshrrev_b32_e32 v30, 16, v33
	v_cmp_ne_u16_e32 vcc, 0, v53
	s_and_saveexec_b64 s[0:1], vcc
	s_cbranch_execz .LBB609_101
; %bb.96:
	s_movk_i32 s2, 0x80
	v_cmp_ne_u16_e32 vcc, s2, v53
	v_bfrev_b32_e32 v32, 1
	s_and_saveexec_b64 s[2:3], vcc
	s_cbranch_execz .LBB609_100
; %bb.97:
	v_bfe_u32 v53, v33, 16, 7
	s_movk_i32 s8, 0x7f
	v_cmp_ne_u32_e32 vcc, s8, v53
	v_mov_b32_e32 v32, 0x7f800001
	s_and_saveexec_b64 s[8:9], vcc
	s_cbranch_execz .LBB609_99
; %bb.98:
	v_and_b32_e32 v32, 7, v30
	v_ffbh_u32_e32 v60, v32
	v_min_u32_e32 v62, 32, v60
	v_subrev_u32_e32 v60, 28, v62
	v_lshlrev_b64 v[60:61], v60, v[30:31]
	v_lshrrev_b32_e32 v59, 3, v53
	v_sub_u32_e32 v30, 29, v62
	v_and_b32_e32 v60, 7, v60
	v_cmp_gt_u32_e32 vcc, 8, v53
	v_mov_b32_e32 v53, 24
	v_cndmask_b32_e32 v30, v59, v30, vcc
	v_cndmask_b32_e32 v32, v32, v60, vcc
	v_lshlrev_b32_sdwa v53, v53, v33 dst_sel:DWORD dst_unused:UNUSED_PAD src0_sel:DWORD src1_sel:WORD_1
	v_bfrev_b32_e32 v59, 60
	v_lshlrev_b32_e32 v32, 20, v32
	v_and_b32_e32 v53, 0x80000000, v53
	v_lshl_add_u32 v30, v30, 23, v59
	v_or3_b32 v32, v53, v30, v32
.LBB609_99:
	s_or_b64 exec, exec, s[8:9]
.LBB609_100:
	s_or_b64 exec, exec, s[2:3]
.LBB609_101:
	s_or_b64 exec, exec, s[0:1]
	s_mov_b32 s0, 0xffffff
	v_cmp_lt_u32_e32 vcc, s0, v33
	v_mov_b32_e32 v53, 0
	v_mov_b32_e32 v59, 0
	s_and_saveexec_b64 s[0:1], vcc
	s_cbranch_execz .LBB609_107
; %bb.102:
	v_lshrrev_b32_e32 v30, 24, v33
	s_movk_i32 s2, 0x80
	v_cmp_ne_u32_e32 vcc, s2, v30
	v_bfrev_b32_e32 v59, 1
	s_and_saveexec_b64 s[2:3], vcc
	s_cbranch_execz .LBB609_106
; %bb.103:
	v_bfe_u32 v33, v33, 24, 7
	s_movk_i32 s8, 0x7f
	v_cmp_ne_u32_e32 vcc, s8, v33
	v_mov_b32_e32 v59, 0x7f800001
	s_and_saveexec_b64 s[8:9], vcc
	s_cbranch_execz .LBB609_105
; %bb.104:
	v_and_b32_e32 v59, 7, v30
	v_ffbh_u32_e32 v60, v59
	v_min_u32_e32 v63, 32, v60
	v_subrev_u32_e32 v60, 28, v63
	v_lshlrev_b64 v[60:61], v60, v[30:31]
	v_lshrrev_b32_e32 v62, 3, v33
	v_sub_u32_e32 v61, 29, v63
	v_and_b32_e32 v60, 7, v60
	v_cmp_gt_u32_e32 vcc, 8, v33
	v_cndmask_b32_e32 v33, v62, v61, vcc
	v_cndmask_b32_e32 v59, v59, v60, vcc
	v_lshlrev_b32_e32 v30, 24, v30
	v_bfrev_b32_e32 v60, 60
	v_lshlrev_b32_e32 v59, 20, v59
	v_and_b32_e32 v30, 0x80000000, v30
	v_lshl_add_u32 v33, v33, 23, v60
	v_or3_b32 v59, v30, v33, v59
.LBB609_105:
	s_or_b64 exec, exec, s[8:9]
.LBB609_106:
	s_or_b64 exec, exec, s[2:3]
.LBB609_107:
	s_or_b64 exec, exec, s[0:1]
	v_cvt_pkrtz_f16_f32 v30, v54, v55
	v_cvt_pkrtz_f16_f32 v31, v31, v57
	s_waitcnt vmcnt(6)
	v_cmp_ne_u16_sdwa s[2:3], v38, v53 src0_sel:BYTE_0 src1_sel:DWORD
	v_mfma_f32_16x16x16f16 v[42:45], v[30:31], v[18:19], v[42:45]
	v_cvt_pkrtz_f16_f32 v30, v56, v58
	v_cvt_pkrtz_f16_f32 v31, v32, v59
	s_nop 1
	v_mfma_f32_16x16x16f16 v[30:33], v[30:31], v[20:21], v[42:45]
	s_and_saveexec_b64 s[0:1], s[2:3]
	s_cbranch_execz .LBB609_113
; %bb.108:
	s_movk_i32 s2, 0x80
	v_cmp_ne_u16_sdwa s[8:9], v38, s2 src0_sel:BYTE_0 src1_sel:DWORD
	v_bfrev_b32_e32 v53, 1
	s_and_saveexec_b64 s[2:3], s[8:9]
	s_cbranch_execz .LBB609_112
; %bb.109:
	s_movk_i32 s8, 0x7f
	v_and_b32_e32 v42, 0x7f, v38
	v_cmp_ne_u32_e32 vcc, s8, v42
	v_mov_b32_e32 v53, 0x7f800001
	s_and_saveexec_b64 s[8:9], vcc
	s_cbranch_execz .LBB609_111
; %bb.110:
	v_and_b32_e32 v43, 7, v38
	v_ffbh_u32_e32 v44, v43
	v_min_u32_e32 v54, 32, v44
	v_subrev_u32_e32 v44, 28, v54
	v_lshlrev_b64 v[44:45], v44, v[38:39]
	v_lshrrev_b32_e32 v53, 3, v42
	v_sub_u32_e32 v45, 29, v54
	v_and_b32_e32 v44, 7, v44
	v_cmp_gt_u32_e32 vcc, 8, v42
	v_cndmask_b32_e32 v42, v53, v45, vcc
	v_cndmask_b32_e32 v43, v43, v44, vcc
	v_lshlrev_b32_e32 v44, 24, v38
	v_bfrev_b32_e32 v45, 60
	v_lshlrev_b32_e32 v43, 20, v43
	v_and_b32_e32 v44, 0x80000000, v44
	v_lshl_add_u32 v42, v42, 23, v45
	v_or3_b32 v53, v44, v42, v43
.LBB609_111:
	s_or_b64 exec, exec, s[8:9]
.LBB609_112:
	s_or_b64 exec, exec, s[2:3]
.LBB609_113:
	s_or_b64 exec, exec, s[0:1]
	s_nop 3
	v_lshrrev_b16_e32 v42, 8, v38
	v_cmp_ne_u16_e32 vcc, 0, v42
	v_mov_b32_e32 v43, 0
	v_mov_b32_e32 v44, 0
	s_and_saveexec_b64 s[0:1], vcc
	s_cbranch_execz .LBB609_119
; %bb.114:
	s_movk_i32 s2, 0x80
	v_cmp_ne_u16_e32 vcc, s2, v42
	v_bfrev_b32_e32 v44, 1
	s_and_saveexec_b64 s[2:3], vcc
	s_cbranch_execz .LBB609_118
; %bb.115:
	s_movk_i32 s8, 0x7f
	v_and_b32_e32 v45, 0x7f, v42
	v_cmp_ne_u32_e32 vcc, s8, v45
	v_mov_b32_e32 v44, 0x7f800001
	s_and_saveexec_b64 s[8:9], vcc
	s_cbranch_execz .LBB609_117
; %bb.116:
	v_and_b32_e32 v44, 7, v42
	v_ffbh_u32_e32 v54, v44
	v_min_u32_e32 v57, 32, v54
	v_subrev_u32_e32 v54, 28, v57
	v_lshlrev_b64 v[54:55], v54, v[42:43]
	v_lshrrev_b32_e32 v56, 3, v45
	v_sub_u32_e32 v42, 29, v57
	v_and_b32_e32 v54, 7, v54
	v_cmp_gt_u32_e32 vcc, 8, v45
	v_cndmask_b32_e32 v42, v56, v42, vcc
	v_cndmask_b32_e32 v44, v44, v54, vcc
	v_lshlrev_b32_e32 v45, 16, v38
	v_bfrev_b32_e32 v54, 60
	v_lshlrev_b32_e32 v44, 20, v44
	v_and_b32_e32 v45, 0x80000000, v45
	v_lshl_add_u32 v42, v42, 23, v54
	v_or3_b32 v44, v45, v42, v44
.LBB609_117:
	s_or_b64 exec, exec, s[8:9]
.LBB609_118:
	s_or_b64 exec, exec, s[2:3]
.LBB609_119:
	s_or_b64 exec, exec, s[0:1]
	s_movk_i32 s0, 0xff
	v_and_b32_sdwa v45, v38, s0 dst_sel:DWORD dst_unused:UNUSED_PAD src0_sel:WORD_1 src1_sel:DWORD
	v_lshrrev_b32_e32 v42, 16, v38
	v_cmp_ne_u16_e32 vcc, 0, v45
	s_and_saveexec_b64 s[0:1], vcc
	s_cbranch_execz .LBB609_125
; %bb.120:
	s_movk_i32 s2, 0x80
	v_cmp_ne_u16_e32 vcc, s2, v45
	v_bfrev_b32_e32 v43, 1
	s_and_saveexec_b64 s[2:3], vcc
	s_cbranch_execz .LBB609_124
; %bb.121:
	v_bfe_u32 v45, v38, 16, 7
	s_movk_i32 s8, 0x7f
	v_cmp_ne_u32_e32 vcc, s8, v45
	v_mov_b32_e32 v43, 0x7f800001
	s_and_saveexec_b64 s[8:9], vcc
	s_cbranch_execz .LBB609_123
; %bb.122:
	v_and_b32_e32 v54, 7, v42
	v_ffbh_u32_e32 v43, v54
	v_min_u32_e32 v56, 32, v43
	v_subrev_u32_e32 v43, 28, v56
	v_lshlrev_b64 v[42:43], v43, v[42:43]
	v_lshrrev_b32_e32 v55, 3, v45
	v_sub_u32_e32 v43, 29, v56
	v_and_b32_e32 v42, 7, v42
	v_cmp_gt_u32_e32 vcc, 8, v45
	v_mov_b32_e32 v45, 24
	v_cndmask_b32_e32 v43, v55, v43, vcc
	v_cndmask_b32_e32 v42, v54, v42, vcc
	v_lshlrev_b32_sdwa v45, v45, v38 dst_sel:DWORD dst_unused:UNUSED_PAD src0_sel:DWORD src1_sel:WORD_1
	v_bfrev_b32_e32 v54, 60
	v_lshlrev_b32_e32 v42, 20, v42
	v_and_b32_e32 v45, 0x80000000, v45
	v_lshl_add_u32 v43, v43, 23, v54
	v_or3_b32 v43, v45, v43, v42
.LBB609_123:
	s_or_b64 exec, exec, s[8:9]
.LBB609_124:
	s_or_b64 exec, exec, s[2:3]
.LBB609_125:
	s_or_b64 exec, exec, s[0:1]
	s_mov_b32 s0, 0xffffff
	v_cmp_lt_u32_e32 vcc, s0, v38
	v_mov_b32_e32 v45, 0
	v_mov_b32_e32 v55, 0
	s_and_saveexec_b64 s[0:1], vcc
	s_cbranch_execz .LBB609_131
; %bb.126:
	v_lshrrev_b32_e32 v42, 24, v38
	s_movk_i32 s2, 0x80
	v_cmp_ne_u32_e32 vcc, s2, v42
	v_bfrev_b32_e32 v55, 1
	s_and_saveexec_b64 s[2:3], vcc
	s_cbranch_execz .LBB609_130
; %bb.127:
	v_bfe_u32 v38, v38, 24, 7
	s_movk_i32 s8, 0x7f
	v_cmp_ne_u32_e32 vcc, s8, v38
	v_mov_b32_e32 v55, 0x7f800001
	s_and_saveexec_b64 s[8:9], vcc
	s_cbranch_execz .LBB609_129
; %bb.128:
	v_and_b32_e32 v56, 7, v42
	v_ffbh_u32_e32 v54, v56
	v_min_u32_e32 v58, 32, v54
	v_subrev_u32_e32 v54, 28, v58
	v_lshlrev_b64 v[54:55], v54, v[42:43]
	v_lshrrev_b32_e32 v57, 3, v38
	v_sub_u32_e32 v55, 29, v58
	v_and_b32_e32 v54, 7, v54
	v_cmp_gt_u32_e32 vcc, 8, v38
	v_cndmask_b32_e32 v38, v57, v55, vcc
	v_cndmask_b32_e32 v54, v56, v54, vcc
	v_lshlrev_b32_e32 v42, 24, v42
	v_bfrev_b32_e32 v55, 60
	v_lshlrev_b32_e32 v54, 20, v54
	v_and_b32_e32 v42, 0x80000000, v42
	v_lshl_add_u32 v38, v38, 23, v55
	v_or3_b32 v55, v42, v38, v54
.LBB609_129:
	s_or_b64 exec, exec, s[8:9]
.LBB609_130:
	s_or_b64 exec, exec, s[2:3]
.LBB609_131:
	s_or_b64 exec, exec, s[0:1]
	v_cmp_ne_u16_sdwa s[2:3], v39, v45 src0_sel:BYTE_0 src1_sel:DWORD
	s_and_saveexec_b64 s[0:1], s[2:3]
	s_cbranch_execz .LBB609_137
; %bb.132:
	s_movk_i32 s2, 0x80
	v_cmp_ne_u16_sdwa s[8:9], v39, s2 src0_sel:BYTE_0 src1_sel:DWORD
	v_bfrev_b32_e32 v45, 1
	s_and_saveexec_b64 s[2:3], s[8:9]
	s_cbranch_execz .LBB609_136
; %bb.133:
	s_movk_i32 s8, 0x7f
	v_and_b32_e32 v38, 0x7f, v39
	v_cmp_ne_u32_e32 vcc, s8, v38
	v_mov_b32_e32 v45, 0x7f800001
	s_and_saveexec_b64 s[8:9], vcc
	s_cbranch_execz .LBB609_135
; %bb.134:
	v_and_b32_e32 v45, 7, v39
	v_ffbh_u32_e32 v56, v45
	v_min_u32_e32 v58, 32, v56
	v_mov_b32_e32 v42, v39
	v_subrev_u32_e32 v56, 28, v58
	v_lshlrev_b64 v[56:57], v56, v[42:43]
	v_lshrrev_b32_e32 v54, 3, v38
	v_sub_u32_e32 v42, 29, v58
	v_and_b32_e32 v56, 7, v56
	v_cmp_gt_u32_e32 vcc, 8, v38
	v_cndmask_b32_e32 v38, v54, v42, vcc
	v_cndmask_b32_e32 v42, v45, v56, vcc
	v_lshlrev_b32_e32 v45, 24, v39
	v_bfrev_b32_e32 v54, 60
	v_lshlrev_b32_e32 v42, 20, v42
	v_and_b32_e32 v45, 0x80000000, v45
	v_lshl_add_u32 v38, v38, 23, v54
	v_or3_b32 v45, v45, v38, v42
.LBB609_135:
	s_or_b64 exec, exec, s[8:9]
.LBB609_136:
	s_or_b64 exec, exec, s[2:3]
.LBB609_137:
	s_or_b64 exec, exec, s[0:1]
	v_lshrrev_b16_e32 v38, 8, v39
	v_cmp_ne_u16_e32 vcc, 0, v38
	v_mov_b32_e32 v42, 0
	v_mov_b32_e32 v56, 0
	s_and_saveexec_b64 s[0:1], vcc
	s_cbranch_execz .LBB609_143
; %bb.138:
	s_movk_i32 s2, 0x80
	v_cmp_ne_u16_e32 vcc, s2, v38
	v_bfrev_b32_e32 v56, 1
	s_and_saveexec_b64 s[2:3], vcc
	s_cbranch_execz .LBB609_142
; %bb.139:
	s_movk_i32 s8, 0x7f
	v_and_b32_e32 v54, 0x7f, v38
	v_cmp_ne_u32_e32 vcc, s8, v54
	v_mov_b32_e32 v56, 0x7f800001
	s_and_saveexec_b64 s[8:9], vcc
	s_cbranch_execz .LBB609_141
; %bb.140:
	v_and_b32_e32 v58, 7, v38
	v_ffbh_u32_e32 v56, v58
	v_min_u32_e32 v60, 32, v56
	v_subrev_u32_e32 v56, 28, v60
	v_lshlrev_b64 v[56:57], v56, v[38:39]
	v_lshrrev_b32_e32 v59, 3, v54
	v_sub_u32_e32 v38, 29, v60
	v_and_b32_e32 v56, 7, v56
	v_cmp_gt_u32_e32 vcc, 8, v54
	v_cndmask_b32_e32 v38, v59, v38, vcc
	v_cndmask_b32_e32 v54, v58, v56, vcc
	v_lshlrev_b32_e32 v56, 16, v39
	v_bfrev_b32_e32 v57, 60
	v_lshlrev_b32_e32 v54, 20, v54
	v_and_b32_e32 v56, 0x80000000, v56
	v_lshl_add_u32 v38, v38, 23, v57
	v_or3_b32 v56, v56, v38, v54
.LBB609_141:
	s_or_b64 exec, exec, s[8:9]
.LBB609_142:
	s_or_b64 exec, exec, s[2:3]
.LBB609_143:
	s_or_b64 exec, exec, s[0:1]
	s_movk_i32 s0, 0xff
	v_and_b32_sdwa v54, v39, s0 dst_sel:DWORD dst_unused:UNUSED_PAD src0_sel:WORD_1 src1_sel:DWORD
	v_lshrrev_b32_e32 v38, 16, v39
	v_cmp_ne_u16_e32 vcc, 0, v54
	s_and_saveexec_b64 s[0:1], vcc
	s_cbranch_execz .LBB609_149
; %bb.144:
	s_movk_i32 s2, 0x80
	v_cmp_ne_u16_e32 vcc, s2, v54
	v_bfrev_b32_e32 v42, 1
	s_and_saveexec_b64 s[2:3], vcc
	s_cbranch_execz .LBB609_148
; %bb.145:
	v_bfe_u32 v54, v39, 16, 7
	s_movk_i32 s8, 0x7f
	v_cmp_ne_u32_e32 vcc, s8, v54
	v_mov_b32_e32 v42, 0x7f800001
	s_and_saveexec_b64 s[8:9], vcc
	s_cbranch_execz .LBB609_147
; %bb.146:
	v_and_b32_e32 v42, 7, v38
	v_ffbh_u32_e32 v58, v42
	v_min_u32_e32 v60, 32, v58
	v_subrev_u32_e32 v58, 28, v60
	v_lshlrev_b64 v[58:59], v58, v[38:39]
	v_lshrrev_b32_e32 v57, 3, v54
	v_sub_u32_e32 v38, 29, v60
	v_and_b32_e32 v58, 7, v58
	v_cmp_gt_u32_e32 vcc, 8, v54
	v_mov_b32_e32 v54, 24
	v_cndmask_b32_e32 v38, v57, v38, vcc
	v_cndmask_b32_e32 v42, v42, v58, vcc
	v_lshlrev_b32_sdwa v54, v54, v39 dst_sel:DWORD dst_unused:UNUSED_PAD src0_sel:DWORD src1_sel:WORD_1
	v_bfrev_b32_e32 v57, 60
	v_lshlrev_b32_e32 v42, 20, v42
	v_and_b32_e32 v54, 0x80000000, v54
	v_lshl_add_u32 v38, v38, 23, v57
	v_or3_b32 v42, v54, v38, v42
.LBB609_147:
	s_or_b64 exec, exec, s[8:9]
.LBB609_148:
	s_or_b64 exec, exec, s[2:3]
.LBB609_149:
	s_or_b64 exec, exec, s[0:1]
	s_mov_b32 s0, 0xffffff
	v_cmp_lt_u32_e32 vcc, s0, v39
	v_mov_b32_e32 v54, 0
	v_mov_b32_e32 v57, 0
	s_and_saveexec_b64 s[0:1], vcc
	s_cbranch_execz .LBB609_155
; %bb.150:
	v_lshrrev_b32_e32 v38, 24, v39
	s_movk_i32 s2, 0x80
	v_cmp_ne_u32_e32 vcc, s2, v38
	v_bfrev_b32_e32 v57, 1
	s_and_saveexec_b64 s[2:3], vcc
	s_cbranch_execz .LBB609_154
; %bb.151:
	v_bfe_u32 v39, v39, 24, 7
	s_movk_i32 s8, 0x7f
	v_cmp_ne_u32_e32 vcc, s8, v39
	v_mov_b32_e32 v57, 0x7f800001
	s_and_saveexec_b64 s[8:9], vcc
	s_cbranch_execz .LBB609_153
; %bb.152:
	v_and_b32_e32 v57, 7, v38
	v_ffbh_u32_e32 v58, v57
	v_min_u32_e32 v61, 32, v58
	v_subrev_u32_e32 v58, 28, v61
	v_lshlrev_b64 v[58:59], v58, v[38:39]
	v_lshrrev_b32_e32 v60, 3, v39
	v_sub_u32_e32 v59, 29, v61
	v_and_b32_e32 v58, 7, v58
	v_cmp_gt_u32_e32 vcc, 8, v39
	v_cndmask_b32_e32 v39, v60, v59, vcc
	v_cndmask_b32_e32 v57, v57, v58, vcc
	v_lshlrev_b32_e32 v38, 24, v38
	v_bfrev_b32_e32 v58, 60
	v_lshlrev_b32_e32 v57, 20, v57
	v_and_b32_e32 v38, 0x80000000, v38
	v_lshl_add_u32 v39, v39, 23, v58
	v_or3_b32 v57, v38, v39, v57
.LBB609_153:
	s_or_b64 exec, exec, s[8:9]
.LBB609_154:
	s_or_b64 exec, exec, s[2:3]
.LBB609_155:
	s_or_b64 exec, exec, s[0:1]
	v_cvt_pkrtz_f16_f32 v38, v53, v44
	v_cvt_pkrtz_f16_f32 v39, v43, v55
	v_cmp_ne_u16_sdwa s[2:3], v40, v54 src0_sel:BYTE_0 src1_sel:DWORD
	s_nop 0
	v_mfma_f32_16x16x16f16 v[58:61], v[38:39], v[26:27], 0
	v_cvt_pkrtz_f16_f32 v38, v45, v56
	v_cvt_pkrtz_f16_f32 v39, v42, v57
	s_nop 1
	v_mfma_f32_16x16x16f16 v[42:45], v[38:39], v[28:29], v[58:61]
	s_and_saveexec_b64 s[0:1], s[2:3]
	s_cbranch_execz .LBB609_161
; %bb.156:
	s_movk_i32 s2, 0x80
	v_cmp_ne_u16_sdwa s[8:9], v40, s2 src0_sel:BYTE_0 src1_sel:DWORD
	v_bfrev_b32_e32 v54, 1
	s_and_saveexec_b64 s[2:3], s[8:9]
	s_cbranch_execz .LBB609_160
; %bb.157:
	s_movk_i32 s8, 0x7f
	v_and_b32_e32 v38, 0x7f, v40
	v_cmp_ne_u32_e32 vcc, s8, v38
	v_mov_b32_e32 v54, 0x7f800001
	s_and_saveexec_b64 s[8:9], vcc
	s_cbranch_execz .LBB609_159
; %bb.158:
	v_and_b32_e32 v39, 7, v40
	v_ffbh_u32_e32 v54, v39
	v_min_u32_e32 v56, 32, v54
	v_subrev_u32_e32 v54, 28, v56
	v_lshlrev_b64 v[54:55], v54, v[40:41]
	v_lshrrev_b32_e32 v53, 3, v38
	v_sub_u32_e32 v55, 29, v56
	v_and_b32_e32 v54, 7, v54
	v_cmp_gt_u32_e32 vcc, 8, v38
	v_cndmask_b32_e32 v38, v53, v55, vcc
	v_cndmask_b32_e32 v39, v39, v54, vcc
	v_lshlrev_b32_e32 v53, 24, v40
	v_bfrev_b32_e32 v54, 60
	v_lshlrev_b32_e32 v39, 20, v39
	v_and_b32_e32 v53, 0x80000000, v53
	v_lshl_add_u32 v38, v38, 23, v54
	v_or3_b32 v54, v53, v38, v39
.LBB609_159:
	s_or_b64 exec, exec, s[8:9]
.LBB609_160:
	s_or_b64 exec, exec, s[2:3]
.LBB609_161:
	s_or_b64 exec, exec, s[0:1]
	v_lshrrev_b16_e32 v38, 8, v40
	v_cmp_ne_u16_e32 vcc, 0, v38
	v_mov_b32_e32 v39, 0
	v_mov_b32_e32 v55, 0
	s_and_saveexec_b64 s[0:1], vcc
	s_cbranch_execz .LBB609_167
; %bb.162:
	s_movk_i32 s2, 0x80
	v_cmp_ne_u16_e32 vcc, s2, v38
	v_bfrev_b32_e32 v55, 1
	s_and_saveexec_b64 s[2:3], vcc
	s_cbranch_execz .LBB609_166
; %bb.163:
	s_movk_i32 s8, 0x7f
	v_and_b32_e32 v53, 0x7f, v38
	v_cmp_ne_u32_e32 vcc, s8, v53
	v_mov_b32_e32 v55, 0x7f800001
	s_and_saveexec_b64 s[8:9], vcc
	s_cbranch_execz .LBB609_165
; %bb.164:
	v_and_b32_e32 v55, 7, v38
	v_ffbh_u32_e32 v56, v55
	v_min_u32_e32 v59, 32, v56
	v_subrev_u32_e32 v56, 28, v59
	v_lshlrev_b64 v[56:57], v56, v[38:39]
	v_lshrrev_b32_e32 v58, 3, v53
	v_sub_u32_e32 v38, 29, v59
	v_and_b32_e32 v56, 7, v56
	v_cmp_gt_u32_e32 vcc, 8, v53
	v_cndmask_b32_e32 v38, v58, v38, vcc
	v_cndmask_b32_e32 v53, v55, v56, vcc
	v_lshlrev_b32_e32 v55, 16, v40
	v_bfrev_b32_e32 v56, 60
	v_lshlrev_b32_e32 v53, 20, v53
	v_and_b32_e32 v55, 0x80000000, v55
	v_lshl_add_u32 v38, v38, 23, v56
	v_or3_b32 v55, v55, v38, v53
.LBB609_165:
	s_or_b64 exec, exec, s[8:9]
.LBB609_166:
	s_or_b64 exec, exec, s[2:3]
.LBB609_167:
	s_or_b64 exec, exec, s[0:1]
	s_movk_i32 s0, 0xff
	v_and_b32_sdwa v53, v40, s0 dst_sel:DWORD dst_unused:UNUSED_PAD src0_sel:WORD_1 src1_sel:DWORD
	v_lshrrev_b32_e32 v38, 16, v40
	v_cmp_ne_u16_e32 vcc, 0, v53
	s_and_saveexec_b64 s[0:1], vcc
	s_cbranch_execz .LBB609_173
; %bb.168:
	s_movk_i32 s2, 0x80
	v_cmp_ne_u16_e32 vcc, s2, v53
	v_bfrev_b32_e32 v39, 1
	s_and_saveexec_b64 s[2:3], vcc
	s_cbranch_execz .LBB609_172
; %bb.169:
	v_bfe_u32 v53, v40, 16, 7
	s_movk_i32 s8, 0x7f
	v_cmp_ne_u32_e32 vcc, s8, v53
	v_mov_b32_e32 v39, 0x7f800001
	s_and_saveexec_b64 s[8:9], vcc
	s_cbranch_execz .LBB609_171
; %bb.170:
	v_and_b32_e32 v56, 7, v38
	v_ffbh_u32_e32 v39, v56
	v_min_u32_e32 v58, 32, v39
	v_subrev_u32_e32 v39, 28, v58
	v_lshlrev_b64 v[38:39], v39, v[38:39]
	v_lshrrev_b32_e32 v57, 3, v53
	v_sub_u32_e32 v39, 29, v58
	v_and_b32_e32 v38, 7, v38
	v_cmp_gt_u32_e32 vcc, 8, v53
	v_mov_b32_e32 v53, 24
	v_cndmask_b32_e32 v39, v57, v39, vcc
	v_cndmask_b32_e32 v38, v56, v38, vcc
	v_lshlrev_b32_sdwa v53, v53, v40 dst_sel:DWORD dst_unused:UNUSED_PAD src0_sel:DWORD src1_sel:WORD_1
	v_bfrev_b32_e32 v56, 60
	v_lshlrev_b32_e32 v38, 20, v38
	v_and_b32_e32 v53, 0x80000000, v53
	v_lshl_add_u32 v39, v39, 23, v56
	v_or3_b32 v39, v53, v39, v38
.LBB609_171:
	s_or_b64 exec, exec, s[8:9]
.LBB609_172:
	s_or_b64 exec, exec, s[2:3]
.LBB609_173:
	s_or_b64 exec, exec, s[0:1]
	s_mov_b32 s0, 0xffffff
	v_cmp_lt_u32_e32 vcc, s0, v40
	v_mov_b32_e32 v56, 0
	v_mov_b32_e32 v57, 0
	s_and_saveexec_b64 s[0:1], vcc
	s_cbranch_execz .LBB609_179
; %bb.174:
	v_lshrrev_b32_e32 v38, 24, v40
	s_movk_i32 s2, 0x80
	v_cmp_ne_u32_e32 vcc, s2, v38
	v_bfrev_b32_e32 v57, 1
	s_and_saveexec_b64 s[2:3], vcc
	s_cbranch_execz .LBB609_178
; %bb.175:
	v_bfe_u32 v40, v40, 24, 7
	s_movk_i32 s8, 0x7f
	v_cmp_ne_u32_e32 vcc, s8, v40
	v_mov_b32_e32 v57, 0x7f800001
	s_and_saveexec_b64 s[8:9], vcc
	s_cbranch_execz .LBB609_177
; %bb.176:
	v_and_b32_e32 v53, 7, v38
	v_ffbh_u32_e32 v58, v53
	v_min_u32_e32 v60, 32, v58
	v_subrev_u32_e32 v58, 28, v60
	v_lshlrev_b64 v[58:59], v58, v[38:39]
	v_lshrrev_b32_e32 v57, 3, v40
	v_sub_u32_e32 v59, 29, v60
	v_and_b32_e32 v58, 7, v58
	v_cmp_gt_u32_e32 vcc, 8, v40
	v_cndmask_b32_e32 v40, v57, v59, vcc
	v_cndmask_b32_e32 v53, v53, v58, vcc
	v_lshlrev_b32_e32 v38, 24, v38
	v_bfrev_b32_e32 v57, 60
	v_lshlrev_b32_e32 v53, 20, v53
	v_and_b32_e32 v38, 0x80000000, v38
	v_lshl_add_u32 v40, v40, 23, v57
	v_or3_b32 v57, v38, v40, v53
.LBB609_177:
	s_or_b64 exec, exec, s[8:9]
.LBB609_178:
	s_or_b64 exec, exec, s[2:3]
.LBB609_179:
	s_or_b64 exec, exec, s[0:1]
	v_cmp_ne_u16_sdwa s[2:3], v41, v56 src0_sel:BYTE_0 src1_sel:DWORD
	s_and_saveexec_b64 s[0:1], s[2:3]
	s_cbranch_execz .LBB609_185
; %bb.180:
	s_movk_i32 s2, 0x80
	v_cmp_ne_u16_sdwa s[8:9], v41, s2 src0_sel:BYTE_0 src1_sel:DWORD
	v_bfrev_b32_e32 v56, 1
	s_and_saveexec_b64 s[2:3], s[8:9]
	s_cbranch_execz .LBB609_184
; %bb.181:
	s_movk_i32 s8, 0x7f
	v_and_b32_e32 v38, 0x7f, v41
	v_cmp_ne_u32_e32 vcc, s8, v38
	v_mov_b32_e32 v56, 0x7f800001
	s_and_saveexec_b64 s[8:9], vcc
	s_cbranch_execz .LBB609_183
; %bb.182:
	v_and_b32_e32 v53, 7, v41
	v_ffbh_u32_e32 v58, v53
	v_min_u32_e32 v60, 32, v58
	v_mov_b32_e32 v40, v41
	v_subrev_u32_e32 v58, 28, v60
	v_lshlrev_b64 v[58:59], v58, v[40:41]
	v_lshrrev_b32_e32 v56, 3, v38
	v_sub_u32_e32 v40, 29, v60
	v_and_b32_e32 v58, 7, v58
	v_cmp_gt_u32_e32 vcc, 8, v38
	v_cndmask_b32_e32 v38, v56, v40, vcc
	v_cndmask_b32_e32 v40, v53, v58, vcc
	v_lshlrev_b32_e32 v53, 24, v41
	v_bfrev_b32_e32 v56, 60
	v_lshlrev_b32_e32 v40, 20, v40
	v_and_b32_e32 v53, 0x80000000, v53
	v_lshl_add_u32 v38, v38, 23, v56
	v_or3_b32 v56, v53, v38, v40
.LBB609_183:
	s_or_b64 exec, exec, s[8:9]
.LBB609_184:
	s_or_b64 exec, exec, s[2:3]
.LBB609_185:
	s_or_b64 exec, exec, s[0:1]
	v_lshrrev_b16_e32 v38, 8, v41
	v_cmp_ne_u16_e32 vcc, 0, v38
	v_mov_b32_e32 v40, 0
	v_mov_b32_e32 v58, 0
	s_and_saveexec_b64 s[0:1], vcc
	s_cbranch_execz .LBB609_191
; %bb.186:
	s_movk_i32 s2, 0x80
	v_cmp_ne_u16_e32 vcc, s2, v38
	v_bfrev_b32_e32 v58, 1
	s_and_saveexec_b64 s[2:3], vcc
	s_cbranch_execz .LBB609_190
; %bb.187:
	s_movk_i32 s8, 0x7f
	v_and_b32_e32 v53, 0x7f, v38
	v_cmp_ne_u32_e32 vcc, s8, v53
	v_mov_b32_e32 v58, 0x7f800001
	s_and_saveexec_b64 s[8:9], vcc
	s_cbranch_execz .LBB609_189
; %bb.188:
	v_and_b32_e32 v60, 7, v38
	v_ffbh_u32_e32 v58, v60
	v_min_u32_e32 v62, 32, v58
	v_subrev_u32_e32 v58, 28, v62
	v_lshlrev_b64 v[58:59], v58, v[38:39]
	v_lshrrev_b32_e32 v61, 3, v53
	v_sub_u32_e32 v38, 29, v62
	v_and_b32_e32 v58, 7, v58
	v_cmp_gt_u32_e32 vcc, 8, v53
	v_cndmask_b32_e32 v38, v61, v38, vcc
	v_cndmask_b32_e32 v53, v60, v58, vcc
	v_lshlrev_b32_e32 v58, 16, v41
	v_bfrev_b32_e32 v59, 60
	v_lshlrev_b32_e32 v53, 20, v53
	v_and_b32_e32 v58, 0x80000000, v58
	v_lshl_add_u32 v38, v38, 23, v59
	v_or3_b32 v58, v58, v38, v53
.LBB609_189:
	s_or_b64 exec, exec, s[8:9]
.LBB609_190:
	s_or_b64 exec, exec, s[2:3]
.LBB609_191:
	s_or_b64 exec, exec, s[0:1]
	s_movk_i32 s0, 0xff
	v_and_b32_sdwa v53, v41, s0 dst_sel:DWORD dst_unused:UNUSED_PAD src0_sel:WORD_1 src1_sel:DWORD
	v_lshrrev_b32_e32 v38, 16, v41
	v_cmp_ne_u16_e32 vcc, 0, v53
	s_and_saveexec_b64 s[0:1], vcc
	s_cbranch_execz .LBB609_197
; %bb.192:
	s_movk_i32 s2, 0x80
	v_cmp_ne_u16_e32 vcc, s2, v53
	v_bfrev_b32_e32 v40, 1
	s_and_saveexec_b64 s[2:3], vcc
	s_cbranch_execz .LBB609_196
; %bb.193:
	v_bfe_u32 v53, v41, 16, 7
	s_movk_i32 s8, 0x7f
	v_cmp_ne_u32_e32 vcc, s8, v53
	v_mov_b32_e32 v40, 0x7f800001
	s_and_saveexec_b64 s[8:9], vcc
	s_cbranch_execz .LBB609_195
; %bb.194:
	v_and_b32_e32 v40, 7, v38
	v_ffbh_u32_e32 v60, v40
	v_min_u32_e32 v62, 32, v60
	v_subrev_u32_e32 v60, 28, v62
	v_lshlrev_b64 v[60:61], v60, v[38:39]
	v_lshrrev_b32_e32 v59, 3, v53
	v_sub_u32_e32 v38, 29, v62
	v_and_b32_e32 v60, 7, v60
	v_cmp_gt_u32_e32 vcc, 8, v53
	v_mov_b32_e32 v53, 24
	v_cndmask_b32_e32 v38, v59, v38, vcc
	v_cndmask_b32_e32 v40, v40, v60, vcc
	v_lshlrev_b32_sdwa v53, v53, v41 dst_sel:DWORD dst_unused:UNUSED_PAD src0_sel:DWORD src1_sel:WORD_1
	v_bfrev_b32_e32 v59, 60
	v_lshlrev_b32_e32 v40, 20, v40
	v_and_b32_e32 v53, 0x80000000, v53
	v_lshl_add_u32 v38, v38, 23, v59
	v_or3_b32 v40, v53, v38, v40
.LBB609_195:
	s_or_b64 exec, exec, s[8:9]
.LBB609_196:
	s_or_b64 exec, exec, s[2:3]
.LBB609_197:
	s_or_b64 exec, exec, s[0:1]
	s_mov_b32 s0, 0xffffff
	v_cmp_lt_u32_e32 vcc, s0, v41
	v_mov_b32_e32 v53, 0
	v_mov_b32_e32 v59, 0
	s_and_saveexec_b64 s[0:1], vcc
	s_cbranch_execz .LBB609_203
; %bb.198:
	v_lshrrev_b32_e32 v38, 24, v41
	s_movk_i32 s2, 0x80
	v_cmp_ne_u32_e32 vcc, s2, v38
	v_bfrev_b32_e32 v59, 1
	s_and_saveexec_b64 s[2:3], vcc
	s_cbranch_execz .LBB609_202
; %bb.199:
	v_bfe_u32 v41, v41, 24, 7
	s_movk_i32 s8, 0x7f
	v_cmp_ne_u32_e32 vcc, s8, v41
	v_mov_b32_e32 v59, 0x7f800001
	s_and_saveexec_b64 s[8:9], vcc
	s_cbranch_execz .LBB609_201
; %bb.200:
	v_and_b32_e32 v59, 7, v38
	v_ffbh_u32_e32 v60, v59
	v_min_u32_e32 v63, 32, v60
	v_subrev_u32_e32 v60, 28, v63
	v_lshlrev_b64 v[60:61], v60, v[38:39]
	v_lshrrev_b32_e32 v62, 3, v41
	v_sub_u32_e32 v61, 29, v63
	v_and_b32_e32 v60, 7, v60
	v_cmp_gt_u32_e32 vcc, 8, v41
	v_cndmask_b32_e32 v41, v62, v61, vcc
	v_cndmask_b32_e32 v59, v59, v60, vcc
	v_lshlrev_b32_e32 v38, 24, v38
	v_bfrev_b32_e32 v60, 60
	v_lshlrev_b32_e32 v59, 20, v59
	v_and_b32_e32 v38, 0x80000000, v38
	v_lshl_add_u32 v41, v41, 23, v60
	v_or3_b32 v59, v38, v41, v59
.LBB609_201:
	s_or_b64 exec, exec, s[8:9]
.LBB609_202:
	s_or_b64 exec, exec, s[2:3]
.LBB609_203:
	s_or_b64 exec, exec, s[0:1]
	v_cvt_pkrtz_f16_f32 v38, v54, v55
	v_cvt_pkrtz_f16_f32 v39, v39, v57
	s_waitcnt vmcnt(5)
	v_cmp_ne_u16_sdwa s[2:3], v34, v53 src0_sel:BYTE_0 src1_sel:DWORD
	v_mfma_f32_16x16x16f16 v[42:45], v[38:39], v[18:19], v[42:45]
	v_cvt_pkrtz_f16_f32 v38, v56, v58
	v_cvt_pkrtz_f16_f32 v39, v40, v59
	s_nop 1
	v_mfma_f32_16x16x16f16 v[38:41], v[38:39], v[20:21], v[42:45]
	s_and_saveexec_b64 s[0:1], s[2:3]
	s_cbranch_execz .LBB609_209
; %bb.204:
	s_movk_i32 s2, 0x80
	v_cmp_ne_u16_sdwa s[8:9], v34, s2 src0_sel:BYTE_0 src1_sel:DWORD
	v_bfrev_b32_e32 v53, 1
	s_and_saveexec_b64 s[2:3], s[8:9]
	s_cbranch_execz .LBB609_208
; %bb.205:
	s_movk_i32 s8, 0x7f
	v_and_b32_e32 v42, 0x7f, v34
	v_cmp_ne_u32_e32 vcc, s8, v42
	v_mov_b32_e32 v53, 0x7f800001
	s_and_saveexec_b64 s[8:9], vcc
	s_cbranch_execz .LBB609_207
; %bb.206:
	v_and_b32_e32 v43, 7, v34
	v_ffbh_u32_e32 v44, v43
	v_min_u32_e32 v54, 32, v44
	v_subrev_u32_e32 v44, 28, v54
	v_lshlrev_b64 v[44:45], v44, v[34:35]
	v_lshrrev_b32_e32 v53, 3, v42
	v_sub_u32_e32 v45, 29, v54
	v_and_b32_e32 v44, 7, v44
	v_cmp_gt_u32_e32 vcc, 8, v42
	v_cndmask_b32_e32 v42, v53, v45, vcc
	v_cndmask_b32_e32 v43, v43, v44, vcc
	v_lshlrev_b32_e32 v44, 24, v34
	v_bfrev_b32_e32 v45, 60
	v_lshlrev_b32_e32 v43, 20, v43
	v_and_b32_e32 v44, 0x80000000, v44
	v_lshl_add_u32 v42, v42, 23, v45
	v_or3_b32 v53, v44, v42, v43
.LBB609_207:
	s_or_b64 exec, exec, s[8:9]
.LBB609_208:
	s_or_b64 exec, exec, s[2:3]
.LBB609_209:
	s_or_b64 exec, exec, s[0:1]
	s_nop 3
	v_lshrrev_b16_e32 v42, 8, v34
	v_cmp_ne_u16_e32 vcc, 0, v42
	v_mov_b32_e32 v43, 0
	v_mov_b32_e32 v44, 0
	s_and_saveexec_b64 s[0:1], vcc
	s_cbranch_execz .LBB609_215
; %bb.210:
	s_movk_i32 s2, 0x80
	v_cmp_ne_u16_e32 vcc, s2, v42
	v_bfrev_b32_e32 v44, 1
	s_and_saveexec_b64 s[2:3], vcc
	s_cbranch_execz .LBB609_214
; %bb.211:
	s_movk_i32 s8, 0x7f
	v_and_b32_e32 v45, 0x7f, v42
	v_cmp_ne_u32_e32 vcc, s8, v45
	v_mov_b32_e32 v44, 0x7f800001
	s_and_saveexec_b64 s[8:9], vcc
	s_cbranch_execz .LBB609_213
; %bb.212:
	v_and_b32_e32 v44, 7, v42
	v_ffbh_u32_e32 v54, v44
	v_min_u32_e32 v57, 32, v54
	v_subrev_u32_e32 v54, 28, v57
	v_lshlrev_b64 v[54:55], v54, v[42:43]
	v_lshrrev_b32_e32 v56, 3, v45
	v_sub_u32_e32 v42, 29, v57
	v_and_b32_e32 v54, 7, v54
	v_cmp_gt_u32_e32 vcc, 8, v45
	v_cndmask_b32_e32 v42, v56, v42, vcc
	v_cndmask_b32_e32 v44, v44, v54, vcc
	v_lshlrev_b32_e32 v45, 16, v34
	v_bfrev_b32_e32 v54, 60
	v_lshlrev_b32_e32 v44, 20, v44
	v_and_b32_e32 v45, 0x80000000, v45
	v_lshl_add_u32 v42, v42, 23, v54
	v_or3_b32 v44, v45, v42, v44
.LBB609_213:
	s_or_b64 exec, exec, s[8:9]
.LBB609_214:
	s_or_b64 exec, exec, s[2:3]
.LBB609_215:
	s_or_b64 exec, exec, s[0:1]
	s_movk_i32 s0, 0xff
	v_and_b32_sdwa v45, v34, s0 dst_sel:DWORD dst_unused:UNUSED_PAD src0_sel:WORD_1 src1_sel:DWORD
	v_lshrrev_b32_e32 v42, 16, v34
	v_cmp_ne_u16_e32 vcc, 0, v45
	s_and_saveexec_b64 s[0:1], vcc
	s_cbranch_execz .LBB609_221
; %bb.216:
	s_movk_i32 s2, 0x80
	v_cmp_ne_u16_e32 vcc, s2, v45
	v_bfrev_b32_e32 v43, 1
	s_and_saveexec_b64 s[2:3], vcc
	s_cbranch_execz .LBB609_220
; %bb.217:
	v_bfe_u32 v45, v34, 16, 7
	s_movk_i32 s8, 0x7f
	v_cmp_ne_u32_e32 vcc, s8, v45
	v_mov_b32_e32 v43, 0x7f800001
	s_and_saveexec_b64 s[8:9], vcc
	s_cbranch_execz .LBB609_219
; %bb.218:
	v_and_b32_e32 v54, 7, v42
	v_ffbh_u32_e32 v43, v54
	v_min_u32_e32 v56, 32, v43
	v_subrev_u32_e32 v43, 28, v56
	v_lshlrev_b64 v[42:43], v43, v[42:43]
	v_lshrrev_b32_e32 v55, 3, v45
	v_sub_u32_e32 v43, 29, v56
	v_and_b32_e32 v42, 7, v42
	v_cmp_gt_u32_e32 vcc, 8, v45
	v_mov_b32_e32 v45, 24
	v_cndmask_b32_e32 v43, v55, v43, vcc
	v_cndmask_b32_e32 v42, v54, v42, vcc
	v_lshlrev_b32_sdwa v45, v45, v34 dst_sel:DWORD dst_unused:UNUSED_PAD src0_sel:DWORD src1_sel:WORD_1
	v_bfrev_b32_e32 v54, 60
	v_lshlrev_b32_e32 v42, 20, v42
	v_and_b32_e32 v45, 0x80000000, v45
	v_lshl_add_u32 v43, v43, 23, v54
	v_or3_b32 v43, v45, v43, v42
.LBB609_219:
	s_or_b64 exec, exec, s[8:9]
.LBB609_220:
	s_or_b64 exec, exec, s[2:3]
.LBB609_221:
	s_or_b64 exec, exec, s[0:1]
	s_mov_b32 s0, 0xffffff
	v_cmp_lt_u32_e32 vcc, s0, v34
	v_mov_b32_e32 v45, 0
	v_mov_b32_e32 v55, 0
	s_and_saveexec_b64 s[0:1], vcc
	s_cbranch_execz .LBB609_227
; %bb.222:
	v_lshrrev_b32_e32 v42, 24, v34
	s_movk_i32 s2, 0x80
	v_cmp_ne_u32_e32 vcc, s2, v42
	v_bfrev_b32_e32 v55, 1
	s_and_saveexec_b64 s[2:3], vcc
	s_cbranch_execz .LBB609_226
; %bb.223:
	v_bfe_u32 v34, v34, 24, 7
	s_movk_i32 s8, 0x7f
	v_cmp_ne_u32_e32 vcc, s8, v34
	v_mov_b32_e32 v55, 0x7f800001
	s_and_saveexec_b64 s[8:9], vcc
	s_cbranch_execz .LBB609_225
; %bb.224:
	v_and_b32_e32 v56, 7, v42
	v_ffbh_u32_e32 v54, v56
	v_min_u32_e32 v58, 32, v54
	v_subrev_u32_e32 v54, 28, v58
	v_lshlrev_b64 v[54:55], v54, v[42:43]
	v_lshrrev_b32_e32 v57, 3, v34
	v_sub_u32_e32 v55, 29, v58
	v_and_b32_e32 v54, 7, v54
	v_cmp_gt_u32_e32 vcc, 8, v34
	v_cndmask_b32_e32 v34, v57, v55, vcc
	v_cndmask_b32_e32 v54, v56, v54, vcc
	v_lshlrev_b32_e32 v42, 24, v42
	v_bfrev_b32_e32 v55, 60
	v_lshlrev_b32_e32 v54, 20, v54
	v_and_b32_e32 v42, 0x80000000, v42
	v_lshl_add_u32 v34, v34, 23, v55
	v_or3_b32 v55, v42, v34, v54
.LBB609_225:
	s_or_b64 exec, exec, s[8:9]
.LBB609_226:
	s_or_b64 exec, exec, s[2:3]
.LBB609_227:
	s_or_b64 exec, exec, s[0:1]
	v_cmp_ne_u16_sdwa s[2:3], v35, v45 src0_sel:BYTE_0 src1_sel:DWORD
	s_and_saveexec_b64 s[0:1], s[2:3]
	s_cbranch_execz .LBB609_233
; %bb.228:
	s_movk_i32 s2, 0x80
	v_cmp_ne_u16_sdwa s[8:9], v35, s2 src0_sel:BYTE_0 src1_sel:DWORD
	v_bfrev_b32_e32 v45, 1
	s_and_saveexec_b64 s[2:3], s[8:9]
	s_cbranch_execz .LBB609_232
; %bb.229:
	s_movk_i32 s8, 0x7f
	v_and_b32_e32 v34, 0x7f, v35
	v_cmp_ne_u32_e32 vcc, s8, v34
	v_mov_b32_e32 v45, 0x7f800001
	s_and_saveexec_b64 s[8:9], vcc
	s_cbranch_execz .LBB609_231
; %bb.230:
	v_and_b32_e32 v45, 7, v35
	v_ffbh_u32_e32 v56, v45
	v_min_u32_e32 v58, 32, v56
	v_mov_b32_e32 v42, v35
	v_subrev_u32_e32 v56, 28, v58
	v_lshlrev_b64 v[56:57], v56, v[42:43]
	v_lshrrev_b32_e32 v54, 3, v34
	v_sub_u32_e32 v42, 29, v58
	v_and_b32_e32 v56, 7, v56
	v_cmp_gt_u32_e32 vcc, 8, v34
	v_cndmask_b32_e32 v34, v54, v42, vcc
	v_cndmask_b32_e32 v42, v45, v56, vcc
	v_lshlrev_b32_e32 v45, 24, v35
	v_bfrev_b32_e32 v54, 60
	v_lshlrev_b32_e32 v42, 20, v42
	v_and_b32_e32 v45, 0x80000000, v45
	v_lshl_add_u32 v34, v34, 23, v54
	v_or3_b32 v45, v45, v34, v42
.LBB609_231:
	s_or_b64 exec, exec, s[8:9]
.LBB609_232:
	s_or_b64 exec, exec, s[2:3]
.LBB609_233:
	s_or_b64 exec, exec, s[0:1]
	v_lshrrev_b16_e32 v34, 8, v35
	v_cmp_ne_u16_e32 vcc, 0, v34
	v_mov_b32_e32 v42, 0
	v_mov_b32_e32 v56, 0
	s_and_saveexec_b64 s[0:1], vcc
	s_cbranch_execz .LBB609_239
; %bb.234:
	s_movk_i32 s2, 0x80
	v_cmp_ne_u16_e32 vcc, s2, v34
	v_bfrev_b32_e32 v56, 1
	s_and_saveexec_b64 s[2:3], vcc
	s_cbranch_execz .LBB609_238
; %bb.235:
	s_movk_i32 s8, 0x7f
	v_and_b32_e32 v54, 0x7f, v34
	v_cmp_ne_u32_e32 vcc, s8, v54
	v_mov_b32_e32 v56, 0x7f800001
	s_and_saveexec_b64 s[8:9], vcc
	s_cbranch_execz .LBB609_237
; %bb.236:
	v_and_b32_e32 v58, 7, v34
	v_ffbh_u32_e32 v56, v58
	v_min_u32_e32 v60, 32, v56
	v_subrev_u32_e32 v56, 28, v60
	v_lshlrev_b64 v[56:57], v56, v[34:35]
	v_lshrrev_b32_e32 v59, 3, v54
	v_sub_u32_e32 v34, 29, v60
	v_and_b32_e32 v56, 7, v56
	v_cmp_gt_u32_e32 vcc, 8, v54
	v_cndmask_b32_e32 v34, v59, v34, vcc
	v_cndmask_b32_e32 v54, v58, v56, vcc
	v_lshlrev_b32_e32 v56, 16, v35
	v_bfrev_b32_e32 v57, 60
	v_lshlrev_b32_e32 v54, 20, v54
	v_and_b32_e32 v56, 0x80000000, v56
	v_lshl_add_u32 v34, v34, 23, v57
	v_or3_b32 v56, v56, v34, v54
.LBB609_237:
	s_or_b64 exec, exec, s[8:9]
.LBB609_238:
	s_or_b64 exec, exec, s[2:3]
.LBB609_239:
	s_or_b64 exec, exec, s[0:1]
	s_movk_i32 s0, 0xff
	v_and_b32_sdwa v54, v35, s0 dst_sel:DWORD dst_unused:UNUSED_PAD src0_sel:WORD_1 src1_sel:DWORD
	v_lshrrev_b32_e32 v34, 16, v35
	v_cmp_ne_u16_e32 vcc, 0, v54
	s_and_saveexec_b64 s[0:1], vcc
	s_cbranch_execz .LBB609_245
; %bb.240:
	s_movk_i32 s2, 0x80
	v_cmp_ne_u16_e32 vcc, s2, v54
	v_bfrev_b32_e32 v42, 1
	s_and_saveexec_b64 s[2:3], vcc
	s_cbranch_execz .LBB609_244
; %bb.241:
	v_bfe_u32 v54, v35, 16, 7
	s_movk_i32 s8, 0x7f
	v_cmp_ne_u32_e32 vcc, s8, v54
	v_mov_b32_e32 v42, 0x7f800001
	s_and_saveexec_b64 s[8:9], vcc
	s_cbranch_execz .LBB609_243
; %bb.242:
	v_and_b32_e32 v42, 7, v34
	v_ffbh_u32_e32 v58, v42
	v_min_u32_e32 v60, 32, v58
	v_subrev_u32_e32 v58, 28, v60
	v_lshlrev_b64 v[58:59], v58, v[34:35]
	v_lshrrev_b32_e32 v57, 3, v54
	v_sub_u32_e32 v34, 29, v60
	v_and_b32_e32 v58, 7, v58
	v_cmp_gt_u32_e32 vcc, 8, v54
	v_mov_b32_e32 v54, 24
	v_cndmask_b32_e32 v34, v57, v34, vcc
	v_cndmask_b32_e32 v42, v42, v58, vcc
	v_lshlrev_b32_sdwa v54, v54, v35 dst_sel:DWORD dst_unused:UNUSED_PAD src0_sel:DWORD src1_sel:WORD_1
	v_bfrev_b32_e32 v57, 60
	v_lshlrev_b32_e32 v42, 20, v42
	v_and_b32_e32 v54, 0x80000000, v54
	v_lshl_add_u32 v34, v34, 23, v57
	v_or3_b32 v42, v54, v34, v42
.LBB609_243:
	s_or_b64 exec, exec, s[8:9]
.LBB609_244:
	s_or_b64 exec, exec, s[2:3]
.LBB609_245:
	s_or_b64 exec, exec, s[0:1]
	s_mov_b32 s0, 0xffffff
	v_cmp_lt_u32_e32 vcc, s0, v35
	v_mov_b32_e32 v54, 0
	v_mov_b32_e32 v57, 0
	s_and_saveexec_b64 s[0:1], vcc
	s_cbranch_execz .LBB609_251
; %bb.246:
	v_lshrrev_b32_e32 v34, 24, v35
	s_movk_i32 s2, 0x80
	v_cmp_ne_u32_e32 vcc, s2, v34
	v_bfrev_b32_e32 v57, 1
	s_and_saveexec_b64 s[2:3], vcc
	s_cbranch_execz .LBB609_250
; %bb.247:
	v_bfe_u32 v35, v35, 24, 7
	s_movk_i32 s8, 0x7f
	v_cmp_ne_u32_e32 vcc, s8, v35
	v_mov_b32_e32 v57, 0x7f800001
	s_and_saveexec_b64 s[8:9], vcc
	s_cbranch_execz .LBB609_249
; %bb.248:
	v_and_b32_e32 v57, 7, v34
	v_ffbh_u32_e32 v58, v57
	v_min_u32_e32 v61, 32, v58
	v_subrev_u32_e32 v58, 28, v61
	v_lshlrev_b64 v[58:59], v58, v[34:35]
	v_lshrrev_b32_e32 v60, 3, v35
	v_sub_u32_e32 v59, 29, v61
	v_and_b32_e32 v58, 7, v58
	v_cmp_gt_u32_e32 vcc, 8, v35
	v_cndmask_b32_e32 v35, v60, v59, vcc
	v_cndmask_b32_e32 v57, v57, v58, vcc
	v_lshlrev_b32_e32 v34, 24, v34
	v_bfrev_b32_e32 v58, 60
	v_lshlrev_b32_e32 v57, 20, v57
	v_and_b32_e32 v34, 0x80000000, v34
	v_lshl_add_u32 v35, v35, 23, v58
	v_or3_b32 v57, v34, v35, v57
.LBB609_249:
	s_or_b64 exec, exec, s[8:9]
.LBB609_250:
	s_or_b64 exec, exec, s[2:3]
.LBB609_251:
	s_or_b64 exec, exec, s[0:1]
	v_cvt_pkrtz_f16_f32 v34, v53, v44
	v_cvt_pkrtz_f16_f32 v35, v43, v55
	v_cmp_ne_u16_sdwa s[2:3], v36, v54 src0_sel:BYTE_0 src1_sel:DWORD
	s_nop 0
	v_mfma_f32_16x16x16f16 v[58:61], v[34:35], v[26:27], 0
	v_cvt_pkrtz_f16_f32 v34, v45, v56
	v_cvt_pkrtz_f16_f32 v35, v42, v57
	s_nop 1
	v_mfma_f32_16x16x16f16 v[42:45], v[34:35], v[28:29], v[58:61]
	s_and_saveexec_b64 s[0:1], s[2:3]
	s_cbranch_execz .LBB609_257
; %bb.252:
	s_movk_i32 s2, 0x80
	v_cmp_ne_u16_sdwa s[8:9], v36, s2 src0_sel:BYTE_0 src1_sel:DWORD
	v_bfrev_b32_e32 v54, 1
	s_and_saveexec_b64 s[2:3], s[8:9]
	s_cbranch_execz .LBB609_256
; %bb.253:
	s_movk_i32 s8, 0x7f
	v_and_b32_e32 v34, 0x7f, v36
	v_cmp_ne_u32_e32 vcc, s8, v34
	v_mov_b32_e32 v54, 0x7f800001
	s_and_saveexec_b64 s[8:9], vcc
	s_cbranch_execz .LBB609_255
; %bb.254:
	v_and_b32_e32 v35, 7, v36
	v_ffbh_u32_e32 v54, v35
	v_min_u32_e32 v56, 32, v54
	v_subrev_u32_e32 v54, 28, v56
	v_lshlrev_b64 v[54:55], v54, v[36:37]
	v_lshrrev_b32_e32 v53, 3, v34
	v_sub_u32_e32 v55, 29, v56
	v_and_b32_e32 v54, 7, v54
	v_cmp_gt_u32_e32 vcc, 8, v34
	v_cndmask_b32_e32 v34, v53, v55, vcc
	v_cndmask_b32_e32 v35, v35, v54, vcc
	v_lshlrev_b32_e32 v53, 24, v36
	v_bfrev_b32_e32 v54, 60
	v_lshlrev_b32_e32 v35, 20, v35
	v_and_b32_e32 v53, 0x80000000, v53
	v_lshl_add_u32 v34, v34, 23, v54
	v_or3_b32 v54, v53, v34, v35
.LBB609_255:
	s_or_b64 exec, exec, s[8:9]
.LBB609_256:
	s_or_b64 exec, exec, s[2:3]
.LBB609_257:
	s_or_b64 exec, exec, s[0:1]
	v_lshrrev_b16_e32 v34, 8, v36
	v_cmp_ne_u16_e32 vcc, 0, v34
	v_mov_b32_e32 v35, 0
	v_mov_b32_e32 v55, 0
	s_and_saveexec_b64 s[0:1], vcc
	s_cbranch_execz .LBB609_263
; %bb.258:
	s_movk_i32 s2, 0x80
	v_cmp_ne_u16_e32 vcc, s2, v34
	v_bfrev_b32_e32 v55, 1
	s_and_saveexec_b64 s[2:3], vcc
	s_cbranch_execz .LBB609_262
; %bb.259:
	s_movk_i32 s8, 0x7f
	v_and_b32_e32 v53, 0x7f, v34
	v_cmp_ne_u32_e32 vcc, s8, v53
	v_mov_b32_e32 v55, 0x7f800001
	s_and_saveexec_b64 s[8:9], vcc
	s_cbranch_execz .LBB609_261
; %bb.260:
	v_and_b32_e32 v55, 7, v34
	v_ffbh_u32_e32 v56, v55
	v_min_u32_e32 v59, 32, v56
	v_subrev_u32_e32 v56, 28, v59
	v_lshlrev_b64 v[56:57], v56, v[34:35]
	v_lshrrev_b32_e32 v58, 3, v53
	v_sub_u32_e32 v34, 29, v59
	v_and_b32_e32 v56, 7, v56
	v_cmp_gt_u32_e32 vcc, 8, v53
	v_cndmask_b32_e32 v34, v58, v34, vcc
	v_cndmask_b32_e32 v53, v55, v56, vcc
	v_lshlrev_b32_e32 v55, 16, v36
	v_bfrev_b32_e32 v56, 60
	v_lshlrev_b32_e32 v53, 20, v53
	v_and_b32_e32 v55, 0x80000000, v55
	v_lshl_add_u32 v34, v34, 23, v56
	v_or3_b32 v55, v55, v34, v53
.LBB609_261:
	s_or_b64 exec, exec, s[8:9]
.LBB609_262:
	s_or_b64 exec, exec, s[2:3]
.LBB609_263:
	s_or_b64 exec, exec, s[0:1]
	s_movk_i32 s0, 0xff
	v_and_b32_sdwa v53, v36, s0 dst_sel:DWORD dst_unused:UNUSED_PAD src0_sel:WORD_1 src1_sel:DWORD
	v_lshrrev_b32_e32 v34, 16, v36
	v_cmp_ne_u16_e32 vcc, 0, v53
	s_and_saveexec_b64 s[0:1], vcc
	s_cbranch_execz .LBB609_269
; %bb.264:
	s_movk_i32 s2, 0x80
	v_cmp_ne_u16_e32 vcc, s2, v53
	v_bfrev_b32_e32 v35, 1
	s_and_saveexec_b64 s[2:3], vcc
	s_cbranch_execz .LBB609_268
; %bb.265:
	v_bfe_u32 v53, v36, 16, 7
	s_movk_i32 s8, 0x7f
	v_cmp_ne_u32_e32 vcc, s8, v53
	v_mov_b32_e32 v35, 0x7f800001
	s_and_saveexec_b64 s[8:9], vcc
	s_cbranch_execz .LBB609_267
; %bb.266:
	v_and_b32_e32 v56, 7, v34
	v_ffbh_u32_e32 v35, v56
	v_min_u32_e32 v58, 32, v35
	v_subrev_u32_e32 v35, 28, v58
	v_lshlrev_b64 v[34:35], v35, v[34:35]
	v_lshrrev_b32_e32 v57, 3, v53
	v_sub_u32_e32 v35, 29, v58
	v_and_b32_e32 v34, 7, v34
	v_cmp_gt_u32_e32 vcc, 8, v53
	v_mov_b32_e32 v53, 24
	v_cndmask_b32_e32 v35, v57, v35, vcc
	v_cndmask_b32_e32 v34, v56, v34, vcc
	v_lshlrev_b32_sdwa v53, v53, v36 dst_sel:DWORD dst_unused:UNUSED_PAD src0_sel:DWORD src1_sel:WORD_1
	v_bfrev_b32_e32 v56, 60
	v_lshlrev_b32_e32 v34, 20, v34
	v_and_b32_e32 v53, 0x80000000, v53
	v_lshl_add_u32 v35, v35, 23, v56
	v_or3_b32 v35, v53, v35, v34
.LBB609_267:
	s_or_b64 exec, exec, s[8:9]
.LBB609_268:
	s_or_b64 exec, exec, s[2:3]
.LBB609_269:
	s_or_b64 exec, exec, s[0:1]
	s_mov_b32 s0, 0xffffff
	v_cmp_lt_u32_e32 vcc, s0, v36
	v_mov_b32_e32 v56, 0
	v_mov_b32_e32 v57, 0
	s_and_saveexec_b64 s[0:1], vcc
	s_cbranch_execz .LBB609_275
; %bb.270:
	v_lshrrev_b32_e32 v34, 24, v36
	s_movk_i32 s2, 0x80
	v_cmp_ne_u32_e32 vcc, s2, v34
	v_bfrev_b32_e32 v57, 1
	s_and_saveexec_b64 s[2:3], vcc
	s_cbranch_execz .LBB609_274
; %bb.271:
	v_bfe_u32 v36, v36, 24, 7
	s_movk_i32 s8, 0x7f
	v_cmp_ne_u32_e32 vcc, s8, v36
	v_mov_b32_e32 v57, 0x7f800001
	s_and_saveexec_b64 s[8:9], vcc
	s_cbranch_execz .LBB609_273
; %bb.272:
	v_and_b32_e32 v53, 7, v34
	v_ffbh_u32_e32 v58, v53
	v_min_u32_e32 v60, 32, v58
	v_subrev_u32_e32 v58, 28, v60
	v_lshlrev_b64 v[58:59], v58, v[34:35]
	v_lshrrev_b32_e32 v57, 3, v36
	v_sub_u32_e32 v59, 29, v60
	v_and_b32_e32 v58, 7, v58
	v_cmp_gt_u32_e32 vcc, 8, v36
	v_cndmask_b32_e32 v36, v57, v59, vcc
	v_cndmask_b32_e32 v53, v53, v58, vcc
	v_lshlrev_b32_e32 v34, 24, v34
	v_bfrev_b32_e32 v57, 60
	v_lshlrev_b32_e32 v53, 20, v53
	v_and_b32_e32 v34, 0x80000000, v34
	v_lshl_add_u32 v36, v36, 23, v57
	v_or3_b32 v57, v34, v36, v53
.LBB609_273:
	s_or_b64 exec, exec, s[8:9]
.LBB609_274:
	s_or_b64 exec, exec, s[2:3]
.LBB609_275:
	s_or_b64 exec, exec, s[0:1]
	v_cmp_ne_u16_sdwa s[2:3], v37, v56 src0_sel:BYTE_0 src1_sel:DWORD
	s_and_saveexec_b64 s[0:1], s[2:3]
	s_cbranch_execz .LBB609_281
; %bb.276:
	s_movk_i32 s2, 0x80
	v_cmp_ne_u16_sdwa s[8:9], v37, s2 src0_sel:BYTE_0 src1_sel:DWORD
	v_bfrev_b32_e32 v56, 1
	s_and_saveexec_b64 s[2:3], s[8:9]
	s_cbranch_execz .LBB609_280
; %bb.277:
	s_movk_i32 s8, 0x7f
	v_and_b32_e32 v34, 0x7f, v37
	v_cmp_ne_u32_e32 vcc, s8, v34
	v_mov_b32_e32 v56, 0x7f800001
	s_and_saveexec_b64 s[8:9], vcc
	s_cbranch_execz .LBB609_279
; %bb.278:
	v_and_b32_e32 v53, 7, v37
	v_ffbh_u32_e32 v58, v53
	v_min_u32_e32 v60, 32, v58
	v_mov_b32_e32 v36, v37
	v_subrev_u32_e32 v58, 28, v60
	v_lshlrev_b64 v[58:59], v58, v[36:37]
	v_lshrrev_b32_e32 v56, 3, v34
	v_sub_u32_e32 v36, 29, v60
	v_and_b32_e32 v58, 7, v58
	v_cmp_gt_u32_e32 vcc, 8, v34
	v_cndmask_b32_e32 v34, v56, v36, vcc
	v_cndmask_b32_e32 v36, v53, v58, vcc
	v_lshlrev_b32_e32 v53, 24, v37
	v_bfrev_b32_e32 v56, 60
	v_lshlrev_b32_e32 v36, 20, v36
	v_and_b32_e32 v53, 0x80000000, v53
	v_lshl_add_u32 v34, v34, 23, v56
	v_or3_b32 v56, v53, v34, v36
.LBB609_279:
	s_or_b64 exec, exec, s[8:9]
.LBB609_280:
	s_or_b64 exec, exec, s[2:3]
.LBB609_281:
	s_or_b64 exec, exec, s[0:1]
	v_lshrrev_b16_e32 v34, 8, v37
	v_cmp_ne_u16_e32 vcc, 0, v34
	v_mov_b32_e32 v36, 0
	v_mov_b32_e32 v58, 0
	s_and_saveexec_b64 s[0:1], vcc
	s_cbranch_execz .LBB609_287
; %bb.282:
	s_movk_i32 s2, 0x80
	v_cmp_ne_u16_e32 vcc, s2, v34
	v_bfrev_b32_e32 v58, 1
	s_and_saveexec_b64 s[2:3], vcc
	s_cbranch_execz .LBB609_286
; %bb.283:
	s_movk_i32 s8, 0x7f
	v_and_b32_e32 v53, 0x7f, v34
	v_cmp_ne_u32_e32 vcc, s8, v53
	v_mov_b32_e32 v58, 0x7f800001
	s_and_saveexec_b64 s[8:9], vcc
	s_cbranch_execz .LBB609_285
; %bb.284:
	v_and_b32_e32 v60, 7, v34
	v_ffbh_u32_e32 v58, v60
	v_min_u32_e32 v62, 32, v58
	v_subrev_u32_e32 v58, 28, v62
	v_lshlrev_b64 v[58:59], v58, v[34:35]
	v_lshrrev_b32_e32 v61, 3, v53
	v_sub_u32_e32 v34, 29, v62
	v_and_b32_e32 v58, 7, v58
	v_cmp_gt_u32_e32 vcc, 8, v53
	v_cndmask_b32_e32 v34, v61, v34, vcc
	v_cndmask_b32_e32 v53, v60, v58, vcc
	v_lshlrev_b32_e32 v58, 16, v37
	v_bfrev_b32_e32 v59, 60
	v_lshlrev_b32_e32 v53, 20, v53
	v_and_b32_e32 v58, 0x80000000, v58
	v_lshl_add_u32 v34, v34, 23, v59
	v_or3_b32 v58, v58, v34, v53
.LBB609_285:
	s_or_b64 exec, exec, s[8:9]
.LBB609_286:
	s_or_b64 exec, exec, s[2:3]
.LBB609_287:
	s_or_b64 exec, exec, s[0:1]
	s_movk_i32 s0, 0xff
	v_and_b32_sdwa v53, v37, s0 dst_sel:DWORD dst_unused:UNUSED_PAD src0_sel:WORD_1 src1_sel:DWORD
	v_lshrrev_b32_e32 v34, 16, v37
	v_cmp_ne_u16_e32 vcc, 0, v53
	s_and_saveexec_b64 s[0:1], vcc
	s_cbranch_execz .LBB609_293
; %bb.288:
	s_movk_i32 s2, 0x80
	v_cmp_ne_u16_e32 vcc, s2, v53
	v_bfrev_b32_e32 v36, 1
	s_and_saveexec_b64 s[2:3], vcc
	s_cbranch_execz .LBB609_292
; %bb.289:
	v_bfe_u32 v53, v37, 16, 7
	s_movk_i32 s8, 0x7f
	v_cmp_ne_u32_e32 vcc, s8, v53
	v_mov_b32_e32 v36, 0x7f800001
	s_and_saveexec_b64 s[8:9], vcc
	s_cbranch_execz .LBB609_291
; %bb.290:
	v_and_b32_e32 v36, 7, v34
	v_ffbh_u32_e32 v60, v36
	v_min_u32_e32 v62, 32, v60
	v_subrev_u32_e32 v60, 28, v62
	v_lshlrev_b64 v[60:61], v60, v[34:35]
	v_lshrrev_b32_e32 v59, 3, v53
	v_sub_u32_e32 v34, 29, v62
	v_and_b32_e32 v60, 7, v60
	v_cmp_gt_u32_e32 vcc, 8, v53
	v_mov_b32_e32 v53, 24
	v_cndmask_b32_e32 v34, v59, v34, vcc
	v_cndmask_b32_e32 v36, v36, v60, vcc
	v_lshlrev_b32_sdwa v53, v53, v37 dst_sel:DWORD dst_unused:UNUSED_PAD src0_sel:DWORD src1_sel:WORD_1
	v_bfrev_b32_e32 v59, 60
	v_lshlrev_b32_e32 v36, 20, v36
	v_and_b32_e32 v53, 0x80000000, v53
	v_lshl_add_u32 v34, v34, 23, v59
	v_or3_b32 v36, v53, v34, v36
.LBB609_291:
	s_or_b64 exec, exec, s[8:9]
.LBB609_292:
	s_or_b64 exec, exec, s[2:3]
.LBB609_293:
	s_or_b64 exec, exec, s[0:1]
	s_mov_b32 s0, 0xffffff
	v_cmp_lt_u32_e32 vcc, s0, v37
	v_mov_b32_e32 v53, 0
	v_mov_b32_e32 v59, 0
	s_and_saveexec_b64 s[0:1], vcc
	s_cbranch_execz .LBB609_299
; %bb.294:
	v_lshrrev_b32_e32 v34, 24, v37
	s_movk_i32 s2, 0x80
	v_cmp_ne_u32_e32 vcc, s2, v34
	v_bfrev_b32_e32 v59, 1
	s_and_saveexec_b64 s[2:3], vcc
	s_cbranch_execz .LBB609_298
; %bb.295:
	v_bfe_u32 v37, v37, 24, 7
	s_movk_i32 s8, 0x7f
	v_cmp_ne_u32_e32 vcc, s8, v37
	v_mov_b32_e32 v59, 0x7f800001
	s_and_saveexec_b64 s[8:9], vcc
	s_cbranch_execz .LBB609_297
; %bb.296:
	v_and_b32_e32 v59, 7, v34
	v_ffbh_u32_e32 v60, v59
	v_min_u32_e32 v63, 32, v60
	v_subrev_u32_e32 v60, 28, v63
	v_lshlrev_b64 v[60:61], v60, v[34:35]
	v_lshrrev_b32_e32 v62, 3, v37
	v_sub_u32_e32 v61, 29, v63
	v_and_b32_e32 v60, 7, v60
	v_cmp_gt_u32_e32 vcc, 8, v37
	v_cndmask_b32_e32 v37, v62, v61, vcc
	v_cndmask_b32_e32 v59, v59, v60, vcc
	v_lshlrev_b32_e32 v34, 24, v34
	v_bfrev_b32_e32 v60, 60
	v_lshlrev_b32_e32 v59, 20, v59
	v_and_b32_e32 v34, 0x80000000, v34
	v_lshl_add_u32 v37, v37, 23, v60
	v_or3_b32 v59, v34, v37, v59
.LBB609_297:
	s_or_b64 exec, exec, s[8:9]
.LBB609_298:
	s_or_b64 exec, exec, s[2:3]
.LBB609_299:
	s_or_b64 exec, exec, s[0:1]
	v_cvt_pkrtz_f16_f32 v34, v54, v55
	v_cvt_pkrtz_f16_f32 v35, v35, v57
	s_waitcnt vmcnt(4)
	v_cmp_ne_u16_sdwa s[2:3], v22, v53 src0_sel:BYTE_0 src1_sel:DWORD
	v_mfma_f32_16x16x16f16 v[42:45], v[34:35], v[18:19], v[42:45]
	v_cvt_pkrtz_f16_f32 v34, v56, v58
	v_cvt_pkrtz_f16_f32 v35, v36, v59
	s_nop 1
	v_mfma_f32_16x16x16f16 v[34:37], v[34:35], v[20:21], v[42:45]
	s_and_saveexec_b64 s[0:1], s[2:3]
	s_cbranch_execz .LBB609_305
; %bb.300:
	s_movk_i32 s2, 0x80
	v_cmp_ne_u16_sdwa s[8:9], v22, s2 src0_sel:BYTE_0 src1_sel:DWORD
	v_bfrev_b32_e32 v53, 1
	s_and_saveexec_b64 s[2:3], s[8:9]
	s_cbranch_execz .LBB609_304
; %bb.301:
	s_movk_i32 s8, 0x7f
	v_and_b32_e32 v42, 0x7f, v22
	v_cmp_ne_u32_e32 vcc, s8, v42
	v_mov_b32_e32 v53, 0x7f800001
	s_and_saveexec_b64 s[8:9], vcc
	s_cbranch_execz .LBB609_303
; %bb.302:
	v_and_b32_e32 v43, 7, v22
	v_ffbh_u32_e32 v44, v43
	v_min_u32_e32 v54, 32, v44
	v_subrev_u32_e32 v44, 28, v54
	v_lshlrev_b64 v[44:45], v44, v[22:23]
	v_lshrrev_b32_e32 v53, 3, v42
	v_sub_u32_e32 v45, 29, v54
	v_and_b32_e32 v44, 7, v44
	v_cmp_gt_u32_e32 vcc, 8, v42
	v_cndmask_b32_e32 v42, v53, v45, vcc
	v_cndmask_b32_e32 v43, v43, v44, vcc
	v_lshlrev_b32_e32 v44, 24, v22
	v_bfrev_b32_e32 v45, 60
	v_lshlrev_b32_e32 v43, 20, v43
	v_and_b32_e32 v44, 0x80000000, v44
	v_lshl_add_u32 v42, v42, 23, v45
	v_or3_b32 v53, v44, v42, v43
.LBB609_303:
	s_or_b64 exec, exec, s[8:9]
.LBB609_304:
	s_or_b64 exec, exec, s[2:3]
.LBB609_305:
	s_or_b64 exec, exec, s[0:1]
	s_nop 3
	v_lshrrev_b16_e32 v42, 8, v22
	v_cmp_ne_u16_e32 vcc, 0, v42
	v_mov_b32_e32 v43, 0
	v_mov_b32_e32 v44, 0
	s_and_saveexec_b64 s[0:1], vcc
	s_cbranch_execz .LBB609_311
; %bb.306:
	s_movk_i32 s2, 0x80
	v_cmp_ne_u16_e32 vcc, s2, v42
	v_bfrev_b32_e32 v44, 1
	s_and_saveexec_b64 s[2:3], vcc
	s_cbranch_execz .LBB609_310
; %bb.307:
	s_movk_i32 s8, 0x7f
	v_and_b32_e32 v45, 0x7f, v42
	v_cmp_ne_u32_e32 vcc, s8, v45
	v_mov_b32_e32 v44, 0x7f800001
	s_and_saveexec_b64 s[8:9], vcc
	s_cbranch_execz .LBB609_309
; %bb.308:
	v_and_b32_e32 v44, 7, v42
	v_ffbh_u32_e32 v54, v44
	v_min_u32_e32 v57, 32, v54
	v_subrev_u32_e32 v54, 28, v57
	v_lshlrev_b64 v[54:55], v54, v[42:43]
	v_lshrrev_b32_e32 v56, 3, v45
	v_sub_u32_e32 v42, 29, v57
	v_and_b32_e32 v54, 7, v54
	v_cmp_gt_u32_e32 vcc, 8, v45
	v_cndmask_b32_e32 v42, v56, v42, vcc
	v_cndmask_b32_e32 v44, v44, v54, vcc
	v_lshlrev_b32_e32 v45, 16, v22
	v_bfrev_b32_e32 v54, 60
	v_lshlrev_b32_e32 v44, 20, v44
	v_and_b32_e32 v45, 0x80000000, v45
	v_lshl_add_u32 v42, v42, 23, v54
	v_or3_b32 v44, v45, v42, v44
.LBB609_309:
	s_or_b64 exec, exec, s[8:9]
.LBB609_310:
	s_or_b64 exec, exec, s[2:3]
.LBB609_311:
	s_or_b64 exec, exec, s[0:1]
	s_movk_i32 s0, 0xff
	v_and_b32_sdwa v45, v22, s0 dst_sel:DWORD dst_unused:UNUSED_PAD src0_sel:WORD_1 src1_sel:DWORD
	v_lshrrev_b32_e32 v42, 16, v22
	v_cmp_ne_u16_e32 vcc, 0, v45
	s_and_saveexec_b64 s[0:1], vcc
	s_cbranch_execz .LBB609_317
; %bb.312:
	s_movk_i32 s2, 0x80
	v_cmp_ne_u16_e32 vcc, s2, v45
	v_bfrev_b32_e32 v43, 1
	s_and_saveexec_b64 s[2:3], vcc
	s_cbranch_execz .LBB609_316
; %bb.313:
	v_bfe_u32 v45, v22, 16, 7
	s_movk_i32 s8, 0x7f
	v_cmp_ne_u32_e32 vcc, s8, v45
	v_mov_b32_e32 v43, 0x7f800001
	s_and_saveexec_b64 s[8:9], vcc
	s_cbranch_execz .LBB609_315
; %bb.314:
	v_and_b32_e32 v54, 7, v42
	v_ffbh_u32_e32 v43, v54
	v_min_u32_e32 v56, 32, v43
	v_subrev_u32_e32 v43, 28, v56
	v_lshlrev_b64 v[42:43], v43, v[42:43]
	v_lshrrev_b32_e32 v55, 3, v45
	v_sub_u32_e32 v43, 29, v56
	v_and_b32_e32 v42, 7, v42
	v_cmp_gt_u32_e32 vcc, 8, v45
	v_mov_b32_e32 v45, 24
	v_cndmask_b32_e32 v43, v55, v43, vcc
	v_cndmask_b32_e32 v42, v54, v42, vcc
	v_lshlrev_b32_sdwa v45, v45, v22 dst_sel:DWORD dst_unused:UNUSED_PAD src0_sel:DWORD src1_sel:WORD_1
	v_bfrev_b32_e32 v54, 60
	v_lshlrev_b32_e32 v42, 20, v42
	v_and_b32_e32 v45, 0x80000000, v45
	v_lshl_add_u32 v43, v43, 23, v54
	v_or3_b32 v43, v45, v43, v42
.LBB609_315:
	s_or_b64 exec, exec, s[8:9]
.LBB609_316:
	s_or_b64 exec, exec, s[2:3]
.LBB609_317:
	s_or_b64 exec, exec, s[0:1]
	s_mov_b32 s0, 0xffffff
	v_cmp_lt_u32_e32 vcc, s0, v22
	v_mov_b32_e32 v45, 0
	v_mov_b32_e32 v54, 0
	s_and_saveexec_b64 s[0:1], vcc
	s_cbranch_execz .LBB609_323
; %bb.318:
	v_lshrrev_b32_e32 v42, 24, v22
	s_movk_i32 s2, 0x80
	v_cmp_ne_u32_e32 vcc, s2, v42
	v_bfrev_b32_e32 v54, 1
	s_and_saveexec_b64 s[2:3], vcc
	s_cbranch_execz .LBB609_322
; %bb.319:
	v_bfe_u32 v22, v22, 24, 7
	s_movk_i32 s8, 0x7f
	v_cmp_ne_u32_e32 vcc, s8, v22
	v_mov_b32_e32 v54, 0x7f800001
	s_and_saveexec_b64 s[8:9], vcc
	s_cbranch_execz .LBB609_321
; %bb.320:
	v_and_b32_e32 v56, 7, v42
	v_ffbh_u32_e32 v54, v56
	v_min_u32_e32 v58, 32, v54
	v_subrev_u32_e32 v54, 28, v58
	v_lshlrev_b64 v[54:55], v54, v[42:43]
	v_lshrrev_b32_e32 v57, 3, v22
	v_sub_u32_e32 v55, 29, v58
	v_and_b32_e32 v54, 7, v54
	v_cmp_gt_u32_e32 vcc, 8, v22
	v_cndmask_b32_e32 v22, v57, v55, vcc
	v_cndmask_b32_e32 v54, v56, v54, vcc
	v_lshlrev_b32_e32 v42, 24, v42
	v_bfrev_b32_e32 v55, 60
	v_lshlrev_b32_e32 v54, 20, v54
	v_and_b32_e32 v42, 0x80000000, v42
	v_lshl_add_u32 v22, v22, 23, v55
	v_or3_b32 v54, v42, v22, v54
.LBB609_321:
	s_or_b64 exec, exec, s[8:9]
.LBB609_322:
	s_or_b64 exec, exec, s[2:3]
.LBB609_323:
	s_or_b64 exec, exec, s[0:1]
	v_cmp_ne_u16_sdwa s[2:3], v23, v45 src0_sel:BYTE_0 src1_sel:DWORD
	s_and_saveexec_b64 s[0:1], s[2:3]
	s_cbranch_execz .LBB609_329
; %bb.324:
	s_movk_i32 s2, 0x80
	v_cmp_ne_u16_sdwa s[8:9], v23, s2 src0_sel:BYTE_0 src1_sel:DWORD
	v_bfrev_b32_e32 v45, 1
	s_and_saveexec_b64 s[2:3], s[8:9]
	s_cbranch_execz .LBB609_328
; %bb.325:
	s_movk_i32 s8, 0x7f
	v_and_b32_e32 v22, 0x7f, v23
	v_cmp_ne_u32_e32 vcc, s8, v22
	v_mov_b32_e32 v45, 0x7f800001
	s_and_saveexec_b64 s[8:9], vcc
	s_cbranch_execz .LBB609_327
; %bb.326:
	v_and_b32_e32 v45, 7, v23
	v_ffbh_u32_e32 v56, v45
	v_min_u32_e32 v58, 32, v56
	v_mov_b32_e32 v42, v23
	v_subrev_u32_e32 v56, 28, v58
	v_lshlrev_b64 v[56:57], v56, v[42:43]
	v_lshrrev_b32_e32 v55, 3, v22
	v_sub_u32_e32 v42, 29, v58
	v_and_b32_e32 v56, 7, v56
	v_cmp_gt_u32_e32 vcc, 8, v22
	v_cndmask_b32_e32 v22, v55, v42, vcc
	v_cndmask_b32_e32 v42, v45, v56, vcc
	v_lshlrev_b32_e32 v45, 24, v23
	v_bfrev_b32_e32 v55, 60
	v_lshlrev_b32_e32 v42, 20, v42
	v_and_b32_e32 v45, 0x80000000, v45
	v_lshl_add_u32 v22, v22, 23, v55
	v_or3_b32 v45, v45, v22, v42
.LBB609_327:
	s_or_b64 exec, exec, s[8:9]
.LBB609_328:
	s_or_b64 exec, exec, s[2:3]
.LBB609_329:
	s_or_b64 exec, exec, s[0:1]
	v_lshrrev_b16_e32 v22, 8, v23
	v_cmp_ne_u16_e32 vcc, 0, v22
	v_mov_b32_e32 v55, 0
	v_mov_b32_e32 v56, 0
	s_and_saveexec_b64 s[0:1], vcc
	s_cbranch_execz .LBB609_335
; %bb.330:
	s_movk_i32 s2, 0x80
	v_cmp_ne_u16_e32 vcc, s2, v22
	v_bfrev_b32_e32 v56, 1
	s_and_saveexec_b64 s[2:3], vcc
	s_cbranch_execz .LBB609_334
; %bb.331:
	s_movk_i32 s8, 0x7f
	v_and_b32_e32 v42, 0x7f, v22
	v_cmp_ne_u32_e32 vcc, s8, v42
	v_mov_b32_e32 v56, 0x7f800001
	s_and_saveexec_b64 s[8:9], vcc
	s_cbranch_execz .LBB609_333
; %bb.332:
	v_and_b32_e32 v58, 7, v22
	v_ffbh_u32_e32 v56, v58
	v_min_u32_e32 v60, 32, v56
	v_subrev_u32_e32 v56, 28, v60
	v_lshlrev_b64 v[56:57], v56, v[22:23]
	v_lshrrev_b32_e32 v59, 3, v42
	v_sub_u32_e32 v22, 29, v60
	v_and_b32_e32 v56, 7, v56
	v_cmp_gt_u32_e32 vcc, 8, v42
	v_cndmask_b32_e32 v22, v59, v22, vcc
	v_cndmask_b32_e32 v42, v58, v56, vcc
	v_lshlrev_b32_e32 v56, 16, v23
	v_bfrev_b32_e32 v57, 60
	v_lshlrev_b32_e32 v42, 20, v42
	v_and_b32_e32 v56, 0x80000000, v56
	v_lshl_add_u32 v22, v22, 23, v57
	v_or3_b32 v56, v56, v22, v42
.LBB609_333:
	s_or_b64 exec, exec, s[8:9]
.LBB609_334:
	s_or_b64 exec, exec, s[2:3]
.LBB609_335:
	s_or_b64 exec, exec, s[0:1]
	s_movk_i32 s0, 0xff
	v_and_b32_sdwa v42, v23, s0 dst_sel:DWORD dst_unused:UNUSED_PAD src0_sel:WORD_1 src1_sel:DWORD
	v_lshrrev_b32_e32 v22, 16, v23
	v_cmp_ne_u16_e32 vcc, 0, v42
	s_and_saveexec_b64 s[0:1], vcc
	s_cbranch_execz .LBB609_341
; %bb.336:
	s_movk_i32 s2, 0x80
	v_cmp_ne_u16_e32 vcc, s2, v42
	v_bfrev_b32_e32 v55, 1
	s_and_saveexec_b64 s[2:3], vcc
	s_cbranch_execz .LBB609_340
; %bb.337:
	v_bfe_u32 v42, v23, 16, 7
	s_movk_i32 s8, 0x7f
	v_cmp_ne_u32_e32 vcc, s8, v42
	v_mov_b32_e32 v55, 0x7f800001
	s_and_saveexec_b64 s[8:9], vcc
	s_cbranch_execz .LBB609_339
; %bb.338:
	v_and_b32_e32 v55, 7, v22
	v_ffbh_u32_e32 v58, v55
	v_min_u32_e32 v60, 32, v58
	v_subrev_u32_e32 v58, 28, v60
	v_lshlrev_b64 v[58:59], v58, v[22:23]
	v_and_b32_e32 v58, 7, v58
	v_cmp_gt_u32_e32 vcc, 8, v42
	v_lshrrev_b32_e32 v57, 3, v42
	v_sub_u32_e32 v22, 29, v60
	v_cndmask_b32_e32 v42, v55, v58, vcc
	v_mov_b32_e32 v55, 24
	v_cndmask_b32_e32 v22, v57, v22, vcc
	v_lshlrev_b32_sdwa v55, v55, v23 dst_sel:DWORD dst_unused:UNUSED_PAD src0_sel:DWORD src1_sel:WORD_1
	v_bfrev_b32_e32 v57, 60
	v_lshlrev_b32_e32 v42, 20, v42
	v_and_b32_e32 v55, 0x80000000, v55
	v_lshl_add_u32 v22, v22, 23, v57
	v_or3_b32 v55, v55, v22, v42
.LBB609_339:
	s_or_b64 exec, exec, s[8:9]
.LBB609_340:
	s_or_b64 exec, exec, s[2:3]
.LBB609_341:
	s_or_b64 exec, exec, s[0:1]
	s_mov_b32 s0, 0xffffff
	v_cmp_lt_u32_e32 vcc, s0, v23
	v_mov_b32_e32 v42, 0
	v_mov_b32_e32 v57, 0
	s_and_saveexec_b64 s[0:1], vcc
	s_cbranch_execz .LBB609_347
; %bb.342:
	v_lshrrev_b32_e32 v22, 24, v23
	s_movk_i32 s2, 0x80
	v_cmp_ne_u32_e32 vcc, s2, v22
	v_bfrev_b32_e32 v57, 1
	s_and_saveexec_b64 s[2:3], vcc
	s_cbranch_execz .LBB609_346
; %bb.343:
	v_bfe_u32 v23, v23, 24, 7
	s_movk_i32 s8, 0x7f
	v_cmp_ne_u32_e32 vcc, s8, v23
	v_mov_b32_e32 v57, 0x7f800001
	s_and_saveexec_b64 s[8:9], vcc
	s_cbranch_execz .LBB609_345
; %bb.344:
	v_and_b32_e32 v57, 7, v22
	v_ffbh_u32_e32 v58, v57
	v_min_u32_e32 v61, 32, v58
	v_subrev_u32_e32 v58, 28, v61
	v_lshlrev_b64 v[58:59], v58, v[22:23]
	v_lshrrev_b32_e32 v60, 3, v23
	v_sub_u32_e32 v59, 29, v61
	v_and_b32_e32 v58, 7, v58
	v_cmp_gt_u32_e32 vcc, 8, v23
	v_cndmask_b32_e32 v23, v60, v59, vcc
	v_cndmask_b32_e32 v57, v57, v58, vcc
	v_lshlrev_b32_e32 v22, 24, v22
	v_bfrev_b32_e32 v58, 60
	v_lshlrev_b32_e32 v57, 20, v57
	v_and_b32_e32 v22, 0x80000000, v22
	v_lshl_add_u32 v23, v23, 23, v58
	v_or3_b32 v57, v22, v23, v57
.LBB609_345:
	s_or_b64 exec, exec, s[8:9]
.LBB609_346:
	s_or_b64 exec, exec, s[2:3]
.LBB609_347:
	s_or_b64 exec, exec, s[0:1]
	v_cvt_pkrtz_f16_f32 v22, v53, v44
	v_cvt_pkrtz_f16_f32 v23, v43, v54
	v_cmp_ne_u16_sdwa s[2:3], v24, v42 src0_sel:BYTE_0 src1_sel:DWORD
	s_nop 0
	v_mfma_f32_16x16x16f16 v[58:61], v[22:23], v[26:27], 0
	v_cvt_pkrtz_f16_f32 v22, v45, v56
	v_cvt_pkrtz_f16_f32 v23, v55, v57
	s_nop 1
	v_mfma_f32_16x16x16f16 v[26:29], v[22:23], v[28:29], v[58:61]
	s_and_saveexec_b64 s[0:1], s[2:3]
	s_cbranch_execz .LBB609_353
; %bb.348:
	s_movk_i32 s2, 0x80
	v_cmp_ne_u16_sdwa s[8:9], v24, s2 src0_sel:BYTE_0 src1_sel:DWORD
	v_bfrev_b32_e32 v42, 1
	s_and_saveexec_b64 s[2:3], s[8:9]
	s_cbranch_execz .LBB609_352
; %bb.349:
	s_movk_i32 s8, 0x7f
	v_and_b32_e32 v22, 0x7f, v24
	v_cmp_ne_u32_e32 vcc, s8, v22
	v_mov_b32_e32 v42, 0x7f800001
	s_and_saveexec_b64 s[8:9], vcc
	s_cbranch_execz .LBB609_351
; %bb.350:
	v_and_b32_e32 v23, 7, v24
	v_ffbh_u32_e32 v42, v23
	v_min_u32_e32 v45, 32, v42
	v_subrev_u32_e32 v42, 28, v45
	v_lshlrev_b64 v[42:43], v42, v[24:25]
	v_lshrrev_b32_e32 v44, 3, v22
	v_sub_u32_e32 v43, 29, v45
	v_and_b32_e32 v42, 7, v42
	v_cmp_gt_u32_e32 vcc, 8, v22
	v_cndmask_b32_e32 v22, v44, v43, vcc
	v_cndmask_b32_e32 v23, v23, v42, vcc
	v_lshlrev_b32_e32 v42, 24, v24
	v_bfrev_b32_e32 v43, 60
	v_lshlrev_b32_e32 v23, 20, v23
	v_and_b32_e32 v42, 0x80000000, v42
	v_lshl_add_u32 v22, v22, 23, v43
	v_or3_b32 v42, v42, v22, v23
.LBB609_351:
	s_or_b64 exec, exec, s[8:9]
.LBB609_352:
	s_or_b64 exec, exec, s[2:3]
.LBB609_353:
	s_or_b64 exec, exec, s[0:1]
	v_lshrrev_b16_e32 v22, 8, v24
	v_cmp_ne_u16_e32 vcc, 0, v22
	v_mov_b32_e32 v23, 0
	v_mov_b32_e32 v43, 0
	s_and_saveexec_b64 s[0:1], vcc
	s_cbranch_execz .LBB609_359
; %bb.354:
	s_movk_i32 s2, 0x80
	v_cmp_ne_u16_e32 vcc, s2, v22
	v_bfrev_b32_e32 v43, 1
	s_and_saveexec_b64 s[2:3], vcc
	s_cbranch_execz .LBB609_358
; %bb.355:
	s_movk_i32 s8, 0x7f
	v_and_b32_e32 v44, 0x7f, v22
	v_cmp_ne_u32_e32 vcc, s8, v44
	v_mov_b32_e32 v43, 0x7f800001
	s_and_saveexec_b64 s[8:9], vcc
	s_cbranch_execz .LBB609_357
; %bb.356:
	v_and_b32_e32 v43, 7, v22
	v_ffbh_u32_e32 v53, v43
	v_min_u32_e32 v53, 32, v53
	v_subrev_u32_e32 v54, 28, v53
	v_lshlrev_b64 v[54:55], v54, v[22:23]
	v_lshrrev_b32_e32 v45, 3, v44
	v_sub_u32_e32 v22, 29, v53
	v_and_b32_e32 v53, 7, v54
	v_cmp_gt_u32_e32 vcc, 8, v44
	v_cndmask_b32_e32 v22, v45, v22, vcc
	v_cndmask_b32_e32 v43, v43, v53, vcc
	v_lshlrev_b32_e32 v44, 16, v24
	v_bfrev_b32_e32 v45, 60
	v_lshlrev_b32_e32 v43, 20, v43
	v_and_b32_e32 v44, 0x80000000, v44
	v_lshl_add_u32 v22, v22, 23, v45
	v_or3_b32 v43, v44, v22, v43
.LBB609_357:
	s_or_b64 exec, exec, s[8:9]
.LBB609_358:
	s_or_b64 exec, exec, s[2:3]
.LBB609_359:
	s_or_b64 exec, exec, s[0:1]
	s_movk_i32 s0, 0xff
	v_and_b32_sdwa v44, v24, s0 dst_sel:DWORD dst_unused:UNUSED_PAD src0_sel:WORD_1 src1_sel:DWORD
	v_lshrrev_b32_e32 v22, 16, v24
	v_cmp_ne_u16_e32 vcc, 0, v44
	s_and_saveexec_b64 s[0:1], vcc
	s_cbranch_execz .LBB609_365
; %bb.360:
	s_movk_i32 s2, 0x80
	v_cmp_ne_u16_e32 vcc, s2, v44
	v_bfrev_b32_e32 v23, 1
	s_and_saveexec_b64 s[2:3], vcc
	s_cbranch_execz .LBB609_364
; %bb.361:
	v_bfe_u32 v44, v24, 16, 7
	s_movk_i32 s8, 0x7f
	v_cmp_ne_u32_e32 vcc, s8, v44
	v_mov_b32_e32 v23, 0x7f800001
	s_and_saveexec_b64 s[8:9], vcc
	s_cbranch_execz .LBB609_363
; %bb.362:
	v_and_b32_e32 v45, 7, v22
	v_ffbh_u32_e32 v23, v45
	v_min_u32_e32 v54, 32, v23
	v_subrev_u32_e32 v23, 28, v54
	v_lshlrev_b64 v[22:23], v23, v[22:23]
	v_lshrrev_b32_e32 v53, 3, v44
	v_sub_u32_e32 v23, 29, v54
	v_and_b32_e32 v22, 7, v22
	v_cmp_gt_u32_e32 vcc, 8, v44
	v_mov_b32_e32 v44, 24
	v_cndmask_b32_e32 v23, v53, v23, vcc
	v_cndmask_b32_e32 v22, v45, v22, vcc
	v_lshlrev_b32_sdwa v44, v44, v24 dst_sel:DWORD dst_unused:UNUSED_PAD src0_sel:DWORD src1_sel:WORD_1
	v_bfrev_b32_e32 v45, 60
	v_lshlrev_b32_e32 v22, 20, v22
	v_and_b32_e32 v44, 0x80000000, v44
	v_lshl_add_u32 v23, v23, 23, v45
	v_or3_b32 v23, v44, v23, v22
.LBB609_363:
	s_or_b64 exec, exec, s[8:9]
.LBB609_364:
	s_or_b64 exec, exec, s[2:3]
.LBB609_365:
	s_or_b64 exec, exec, s[0:1]
	s_mov_b32 s0, 0xffffff
	v_cmp_lt_u32_e32 vcc, s0, v24
	v_mov_b32_e32 v44, 0
	v_mov_b32_e32 v45, 0
	s_and_saveexec_b64 s[0:1], vcc
	s_cbranch_execz .LBB609_371
; %bb.366:
	v_lshrrev_b32_e32 v22, 24, v24
	s_movk_i32 s2, 0x80
	v_cmp_ne_u32_e32 vcc, s2, v22
	v_bfrev_b32_e32 v45, 1
	s_and_saveexec_b64 s[2:3], vcc
	s_cbranch_execz .LBB609_370
; %bb.367:
	v_bfe_u32 v24, v24, 24, 7
	s_movk_i32 s8, 0x7f
	v_cmp_ne_u32_e32 vcc, s8, v24
	v_mov_b32_e32 v45, 0x7f800001
	s_and_saveexec_b64 s[8:9], vcc
	s_cbranch_execz .LBB609_369
; %bb.368:
	v_and_b32_e32 v45, 7, v22
	v_ffbh_u32_e32 v54, v45
	v_min_u32_e32 v56, 32, v54
	v_subrev_u32_e32 v54, 28, v56
	v_lshlrev_b64 v[54:55], v54, v[22:23]
	v_lshrrev_b32_e32 v53, 3, v24
	v_sub_u32_e32 v55, 29, v56
	v_and_b32_e32 v54, 7, v54
	v_cmp_gt_u32_e32 vcc, 8, v24
	v_cndmask_b32_e32 v24, v53, v55, vcc
	v_cndmask_b32_e32 v45, v45, v54, vcc
	v_lshlrev_b32_e32 v22, 24, v22
	v_bfrev_b32_e32 v53, 60
	v_lshlrev_b32_e32 v45, 20, v45
	v_and_b32_e32 v22, 0x80000000, v22
	v_lshl_add_u32 v24, v24, 23, v53
	v_or3_b32 v45, v22, v24, v45
.LBB609_369:
	s_or_b64 exec, exec, s[8:9]
.LBB609_370:
	s_or_b64 exec, exec, s[2:3]
.LBB609_371:
	s_or_b64 exec, exec, s[0:1]
	v_cmp_ne_u16_sdwa s[2:3], v25, v44 src0_sel:BYTE_0 src1_sel:DWORD
	s_and_saveexec_b64 s[0:1], s[2:3]
	s_cbranch_execz .LBB609_377
; %bb.372:
	s_movk_i32 s2, 0x80
	v_cmp_ne_u16_sdwa s[8:9], v25, s2 src0_sel:BYTE_0 src1_sel:DWORD
	v_bfrev_b32_e32 v44, 1
	s_and_saveexec_b64 s[2:3], s[8:9]
	s_cbranch_execz .LBB609_376
; %bb.373:
	s_movk_i32 s8, 0x7f
	v_and_b32_e32 v22, 0x7f, v25
	v_cmp_ne_u32_e32 vcc, s8, v22
	v_mov_b32_e32 v44, 0x7f800001
	s_and_saveexec_b64 s[8:9], vcc
	s_cbranch_execz .LBB609_375
; %bb.374:
	v_and_b32_e32 v44, 7, v25
	v_ffbh_u32_e32 v54, v44
	v_min_u32_e32 v56, 32, v54
	v_mov_b32_e32 v24, v25
	v_subrev_u32_e32 v54, 28, v56
	v_lshlrev_b64 v[54:55], v54, v[24:25]
	v_lshrrev_b32_e32 v53, 3, v22
	v_sub_u32_e32 v24, 29, v56
	v_and_b32_e32 v54, 7, v54
	v_cmp_gt_u32_e32 vcc, 8, v22
	v_cndmask_b32_e32 v22, v53, v24, vcc
	v_cndmask_b32_e32 v24, v44, v54, vcc
	v_lshlrev_b32_e32 v44, 24, v25
	v_bfrev_b32_e32 v53, 60
	v_lshlrev_b32_e32 v24, 20, v24
	v_and_b32_e32 v44, 0x80000000, v44
	v_lshl_add_u32 v22, v22, 23, v53
	v_or3_b32 v44, v44, v22, v24
.LBB609_375:
	s_or_b64 exec, exec, s[8:9]
.LBB609_376:
	s_or_b64 exec, exec, s[2:3]
.LBB609_377:
	s_or_b64 exec, exec, s[0:1]
	v_lshrrev_b16_e32 v22, 8, v25
	v_cmp_ne_u16_e32 vcc, 0, v22
	v_mov_b32_e32 v24, 0
	v_mov_b32_e32 v54, 0
	s_and_saveexec_b64 s[0:1], vcc
	s_cbranch_execz .LBB609_383
; %bb.378:
	s_movk_i32 s2, 0x80
	v_cmp_ne_u16_e32 vcc, s2, v22
	v_bfrev_b32_e32 v54, 1
	s_and_saveexec_b64 s[2:3], vcc
	s_cbranch_execz .LBB609_382
; %bb.379:
	s_movk_i32 s8, 0x7f
	v_and_b32_e32 v53, 0x7f, v22
	v_cmp_ne_u32_e32 vcc, s8, v53
	v_mov_b32_e32 v54, 0x7f800001
	s_and_saveexec_b64 s[8:9], vcc
	s_cbranch_execz .LBB609_381
; %bb.380:
	v_and_b32_e32 v56, 7, v22
	v_ffbh_u32_e32 v54, v56
	v_min_u32_e32 v58, 32, v54
	v_subrev_u32_e32 v54, 28, v58
	v_lshlrev_b64 v[54:55], v54, v[22:23]
	v_lshrrev_b32_e32 v57, 3, v53
	v_sub_u32_e32 v22, 29, v58
	v_and_b32_e32 v54, 7, v54
	v_cmp_gt_u32_e32 vcc, 8, v53
	v_cndmask_b32_e32 v22, v57, v22, vcc
	v_cndmask_b32_e32 v53, v56, v54, vcc
	v_lshlrev_b32_e32 v54, 16, v25
	v_bfrev_b32_e32 v55, 60
	v_lshlrev_b32_e32 v53, 20, v53
	v_and_b32_e32 v54, 0x80000000, v54
	v_lshl_add_u32 v22, v22, 23, v55
	v_or3_b32 v54, v54, v22, v53
.LBB609_381:
	s_or_b64 exec, exec, s[8:9]
.LBB609_382:
	s_or_b64 exec, exec, s[2:3]
.LBB609_383:
	s_or_b64 exec, exec, s[0:1]
	s_movk_i32 s0, 0xff
	v_and_b32_sdwa v53, v25, s0 dst_sel:DWORD dst_unused:UNUSED_PAD src0_sel:WORD_1 src1_sel:DWORD
	v_lshrrev_b32_e32 v22, 16, v25
	v_cmp_ne_u16_e32 vcc, 0, v53
	s_and_saveexec_b64 s[0:1], vcc
	s_cbranch_execz .LBB609_389
; %bb.384:
	s_movk_i32 s2, 0x80
	v_cmp_ne_u16_e32 vcc, s2, v53
	v_bfrev_b32_e32 v24, 1
	s_and_saveexec_b64 s[2:3], vcc
	s_cbranch_execz .LBB609_388
; %bb.385:
	v_bfe_u32 v53, v25, 16, 7
	s_movk_i32 s8, 0x7f
	v_cmp_ne_u32_e32 vcc, s8, v53
	v_mov_b32_e32 v24, 0x7f800001
	s_and_saveexec_b64 s[8:9], vcc
	s_cbranch_execz .LBB609_387
; %bb.386:
	v_and_b32_e32 v24, 7, v22
	v_ffbh_u32_e32 v56, v24
	v_min_u32_e32 v58, 32, v56
	v_subrev_u32_e32 v56, 28, v58
	v_lshlrev_b64 v[56:57], v56, v[22:23]
	v_lshrrev_b32_e32 v55, 3, v53
	v_sub_u32_e32 v22, 29, v58
	v_and_b32_e32 v56, 7, v56
	v_cmp_gt_u32_e32 vcc, 8, v53
	v_mov_b32_e32 v53, 24
	v_cndmask_b32_e32 v22, v55, v22, vcc
	v_cndmask_b32_e32 v24, v24, v56, vcc
	v_lshlrev_b32_sdwa v53, v53, v25 dst_sel:DWORD dst_unused:UNUSED_PAD src0_sel:DWORD src1_sel:WORD_1
	v_bfrev_b32_e32 v55, 60
	v_lshlrev_b32_e32 v24, 20, v24
	v_and_b32_e32 v53, 0x80000000, v53
	v_lshl_add_u32 v22, v22, 23, v55
	v_or3_b32 v24, v53, v22, v24
.LBB609_387:
	s_or_b64 exec, exec, s[8:9]
.LBB609_388:
	s_or_b64 exec, exec, s[2:3]
.LBB609_389:
	s_or_b64 exec, exec, s[0:1]
	s_mov_b32 s0, 0xffffff
	v_and_b32_e32 v53, 63, v0
	v_cmp_lt_u32_e32 vcc, s0, v25
	v_mov_b32_e32 v55, 0
	s_and_saveexec_b64 s[0:1], vcc
	s_cbranch_execz .LBB609_395
; %bb.390:
	v_lshrrev_b32_e32 v22, 24, v25
	s_movk_i32 s2, 0x80
	v_cmp_ne_u32_e32 vcc, s2, v22
	v_bfrev_b32_e32 v55, 1
	s_and_saveexec_b64 s[2:3], vcc
	s_cbranch_execz .LBB609_394
; %bb.391:
	v_bfe_u32 v25, v25, 24, 7
	s_movk_i32 s8, 0x7f
	v_cmp_ne_u32_e32 vcc, s8, v25
	v_mov_b32_e32 v55, 0x7f800001
	s_and_saveexec_b64 s[8:9], vcc
	s_cbranch_execz .LBB609_393
; %bb.392:
	v_and_b32_e32 v55, 7, v22
	v_ffbh_u32_e32 v56, v55
	v_min_u32_e32 v59, 32, v56
	v_subrev_u32_e32 v56, 28, v59
	v_lshlrev_b64 v[56:57], v56, v[22:23]
	v_lshrrev_b32_e32 v58, 3, v25
	v_sub_u32_e32 v57, 29, v59
	v_and_b32_e32 v56, 7, v56
	v_cmp_gt_u32_e32 vcc, 8, v25
	v_cndmask_b32_e32 v25, v58, v57, vcc
	v_cndmask_b32_e32 v55, v55, v56, vcc
	v_lshlrev_b32_e32 v22, 24, v22
	v_bfrev_b32_e32 v56, 60
	v_lshlrev_b32_e32 v55, 20, v55
	v_and_b32_e32 v22, 0x80000000, v22
	v_lshl_add_u32 v25, v25, 23, v56
	v_or3_b32 v55, v22, v25, v55
.LBB609_393:
	s_or_b64 exec, exec, s[8:9]
.LBB609_394:
	s_or_b64 exec, exec, s[2:3]
.LBB609_395:
	s_or_b64 exec, exec, s[0:1]
	v_cvt_pkrtz_f16_f32 v42, v42, v43
	v_cvt_pkrtz_f16_f32 v43, v23, v45
	s_load_dword s0, s[4:5], 0x1c
	s_mov_b32 s40, 0xff7fffff
	s_waitcnt lgkmcnt(0)
	v_mfma_f32_16x16x16f16 v[26:29], v[42:43], v[18:19], v[26:29]
	v_cvt_pkrtz_f16_f32 v18, v44, v54
	v_cvt_pkrtz_f16_f32 v19, v24, v55
	v_and_b32_e32 v24, 0xc0, v0
	v_mov_b32_e32 v22, s0
	v_add_u32_e32 v24, s20, v24
	v_mul_f32_e32 v56, s10, v22
	v_lshl_or_b32 v42, v49, 2, v24
	v_mfma_f32_16x16x16f16 v[18:21], v[18:19], v[20:21], v[26:29]
	v_pk_mul_f32 v[22:23], v[56:57], v[36:37] op_sel_hi:[0,1]
	v_pk_mul_f32 v[36:37], v[56:57], v[40:41] op_sel_hi:[0,1]
	;; [unrolled: 1-line block ×4, first 2 shown]
	v_mov_b32_e32 v43, 0xff7fffff
	v_cmp_gt_i32_e64 s[24:25], s33, v42
	v_pk_mul_f32 v[38:39], v[56:57], v[38:39] op_sel_hi:[0,1]
	s_nop 3
	v_pk_mul_f32 v[32:33], v[56:57], v[18:19] op_sel_hi:[0,1]
	v_or_b32_e32 v19, 1, v42
	v_cmp_gt_i32_e64 s[26:27], s33, v19
	v_cndmask_b32_e64 v18, v43, v30, s[24:25]
	v_cndmask_b32_e64 v19, v43, v31, s[26:27]
	v_pk_mul_f32 v[24:25], v[56:57], v[20:21] op_sel_hi:[0,1]
	v_max3_f32 v18, v18, s40, v19
	v_or_b32_e32 v19, 2, v42
	v_or_b32_e32 v20, 3, v42
	v_cmp_gt_i32_e64 s[28:29], s33, v19
	v_cmp_gt_i32_e64 s[30:31], s33, v20
	v_cndmask_b32_e64 v19, v43, v40, s[28:29]
	v_cndmask_b32_e64 v20, v43, v41, s[30:31]
	v_max3_f32 v18, v18, v19, v20
	v_or_b32_e32 v19, 16, v42
	v_or_b32_e32 v20, 17, v42
	v_cmp_gt_i32_e64 s[34:35], s33, v19
	v_cmp_gt_i32_e64 s[36:37], s33, v20
	v_cndmask_b32_e64 v19, v43, v38, s[34:35]
	v_cndmask_b32_e64 v20, v43, v39, s[36:37]
	v_max3_f32 v18, v18, v19, v20
	v_or_b32_e32 v19, 18, v42
	v_or_b32_e32 v20, 19, v42
	v_cmp_gt_i32_e64 s[18:19], s33, v19
	v_cmp_gt_i32_e64 s[20:21], s33, v20
	v_cndmask_b32_e64 v19, v43, v36, s[18:19]
	v_cndmask_b32_e64 v20, v43, v37, s[20:21]
	v_max3_f32 v18, v18, v19, v20
	v_or_b32_e32 v19, 32, v42
	v_or_b32_e32 v20, 33, v42
	v_pk_mul_f32 v[34:35], v[56:57], v[34:35] op_sel_hi:[0,1]
	v_cmp_gt_i32_e64 s[14:15], s33, v19
	v_cmp_gt_i32_e64 s[16:17], s33, v20
	v_cndmask_b32_e64 v19, v43, v34, s[14:15]
	v_cndmask_b32_e64 v20, v43, v35, s[16:17]
	v_max3_f32 v18, v18, v19, v20
	v_or_b32_e32 v19, 34, v42
	v_or_b32_e32 v20, 35, v42
	v_cmp_gt_i32_e64 s[10:11], s33, v19
	v_cmp_gt_i32_e64 s[12:13], s33, v20
	v_cndmask_b32_e64 v19, v43, v22, s[10:11]
	v_cndmask_b32_e64 v20, v43, v23, s[12:13]
	v_max3_f32 v18, v18, v19, v20
	v_or_b32_e32 v19, 48, v42
	v_or_b32_e32 v20, 49, v42
	;; [unrolled: 7-line block ×3, first 2 shown]
	v_cmp_gt_i32_e32 vcc, s33, v19
	v_cmp_gt_i32_e64 s[0:1], s33, v20
	v_cndmask_b32_e32 v19, v43, v24, vcc
	v_cndmask_b32_e64 v20, v43, v25, s[0:1]
	v_max3_f32 v18, v18, v19, v20
	v_mbcnt_lo_u32_b32 v19, -1, 0
	v_mbcnt_hi_u32_b32 v19, -1, v19
	v_and_b32_e32 v20, 64, v19
	v_add_u32_e32 v20, 64, v20
	v_xor_b32_e32 v21, 32, v19
	v_cmp_lt_i32_e64 s[38:39], v21, v20
	v_cndmask_b32_e64 v21, v19, v21, s[38:39]
	v_lshlrev_b32_e32 v43, 2, v21
	ds_bpermute_b32 v21, v43, v18
	s_barrier
	s_waitcnt lgkmcnt(0)
	v_max_f32_e32 v21, v21, v21
	v_max_f32_e32 v18, v18, v21
	v_xor_b32_e32 v21, 16, v19
	v_cmp_lt_i32_e64 s[38:39], v21, v20
	v_cndmask_b32_e64 v19, v19, v21, s[38:39]
	v_lshlrev_b32_e32 v44, 2, v19
	ds_bpermute_b32 v19, v44, v18
	s_waitcnt lgkmcnt(0)
	v_max_f32_e32 v19, v19, v19
	v_max_f32_e32 v42, v18, v19
	v_sub_f32_e32 v21, v40, v42
	v_sub_f32_e32 v26, v41, v42
	v_mul_f32_e32 v21, 0x3fb8aa3b, v21
	v_mul_f32_e32 v26, 0x3fb8aa3b, v26
	v_sub_f32_e32 v18, v30, v42
	v_exp_f32_e32 v21, v21
	v_exp_f32_e32 v26, v26
	v_mul_f32_e32 v18, 0x3fb8aa3b, v18
	v_sub_f32_e32 v19, v31, v42
	v_exp_f32_e32 v18, v18
	v_mul_f32_e32 v19, 0x3fb8aa3b, v19
	v_exp_f32_e32 v19, v19
	v_cndmask_b32_e64 v28, 0, v21, s[28:29]
	v_cndmask_b32_e64 v29, 0, v26, s[30:31]
	v_sub_f32_e32 v21, v38, v42
	v_sub_f32_e32 v26, v39, v42
	v_mul_f32_e32 v21, 0x3fb8aa3b, v21
	v_mul_f32_e32 v26, 0x3fb8aa3b, v26
	v_cndmask_b32_e64 v18, 0, v18, s[24:25]
	v_exp_f32_e32 v21, v21
	v_exp_f32_e32 v26, v26
	v_add_f32_e32 v20, 0, v18
	v_cndmask_b32_e64 v19, 0, v19, s[26:27]
	v_add_f32_e32 v20, v20, v19
	v_add_f32_e32 v20, v20, v28
	;; [unrolled: 1-line block ×3, first 2 shown]
	v_cndmask_b32_e64 v20, 0, v21, s[34:35]
	v_cndmask_b32_e64 v21, 0, v26, s[36:37]
	v_sub_f32_e32 v26, v36, v42
	v_mul_f32_e32 v26, 0x3fb8aa3b, v26
	v_exp_f32_e32 v26, v26
	v_sub_f32_e32 v30, v37, v42
	v_add_f32_e32 v27, v27, v20
	v_mul_f32_e32 v30, 0x3fb8aa3b, v30
	v_exp_f32_e32 v31, v30
	v_add_f32_e32 v27, v27, v21
	v_cndmask_b32_e64 v30, 0, v26, s[18:19]
	v_add_f32_e32 v26, v27, v30
	v_sub_f32_e32 v27, v34, v42
	v_mul_f32_e32 v27, 0x3fb8aa3b, v27
	v_sub_f32_e32 v34, v35, v42
	v_exp_f32_e32 v27, v27
	v_mul_f32_e32 v34, 0x3fb8aa3b, v34
	v_sub_f32_e32 v22, v22, v42
	v_exp_f32_e32 v34, v34
	v_mul_f32_e32 v22, 0x3fb8aa3b, v22
	v_sub_f32_e32 v23, v23, v42
	v_exp_f32_e32 v22, v22
	v_mul_f32_e32 v23, 0x3fb8aa3b, v23
	v_cndmask_b32_e64 v31, 0, v31, s[20:21]
	v_exp_f32_e32 v23, v23
	v_add_f32_e32 v35, v26, v31
	v_cndmask_b32_e64 v26, 0, v27, s[14:15]
	v_add_f32_e32 v35, v35, v26
	v_cndmask_b32_e64 v27, 0, v34, s[16:17]
	v_add_f32_e32 v35, v35, v27
	v_cndmask_b32_e64 v34, 0, v22, s[10:11]
	v_add_f32_e32 v22, v35, v34
	v_cndmask_b32_e64 v35, 0, v23, s[12:13]
	v_sub_f32_e32 v23, v32, v42
	v_mul_f32_e32 v23, 0x3fb8aa3b, v23
	v_sub_f32_e32 v32, v33, v42
	v_exp_f32_e32 v23, v23
	v_mul_f32_e32 v32, 0x3fb8aa3b, v32
	v_sub_f32_e32 v24, v24, v42
	v_exp_f32_e32 v32, v32
	;; [unrolled: 3-line block ×3, first 2 shown]
	v_mul_f32_e32 v25, 0x3fb8aa3b, v25
	v_exp_f32_e32 v25, v25
	v_add_f32_e32 v33, v22, v35
	v_cndmask_b32_e64 v22, 0, v23, s[2:3]
	v_add_f32_e32 v33, v33, v22
	v_cndmask_b32_e64 v23, 0, v32, s[8:9]
	v_add_f32_e32 v32, v33, v23
	v_cndmask_b32_e32 v24, 0, v24, vcc
	v_add_f32_e32 v32, v32, v24
	v_cndmask_b32_e64 v25, 0, v25, s[0:1]
	v_add_f32_e32 v32, v32, v25
	ds_bpermute_b32 v33, v43, v32
	v_cmp_gt_u32_e32 vcc, 16, v53
	s_waitcnt lgkmcnt(0)
	v_add_f32_e32 v33, v32, v33
	ds_bpermute_b32 v36, v44, v33
	v_lshlrev_b32_e32 v32, 2, v52
	s_and_saveexec_b64 s[0:1], vcc
	s_cbranch_execz .LBB609_397
; %bb.396:
	s_waitcnt lgkmcnt(0)
	v_add_f32_e32 v33, v33, v36
	v_lshl_or_b32 v36, v51, 6, v32
	ds_write2st64_b32 v36, v42, v33 offset1:1
.LBB609_397:
	s_or_b64 exec, exec, s[0:1]
	s_waitcnt lgkmcnt(0)
	s_barrier
	ds_read2_b32 v[36:37], v32 offset1:16
	ds_read2_b32 v[38:39], v32 offset0:32 offset1:48
	ds_read2_b32 v[40:41], v32 offset0:64 offset1:80
	;; [unrolled: 1-line block ×3, first 2 shown]
	s_waitcnt lgkmcnt(0)
	v_max3_f32 v33, v36, s40, v37
	v_max3_f32 v33, v33, v38, v39
	v_sub_f32_e32 v36, v36, v33
	v_mul_f32_e32 v36, 0x3fb8aa3b, v36
	v_exp_f32_e32 v44, v36
	v_sub_f32_e32 v36, v37, v33
	v_mul_f32_e32 v36, 0x3fb8aa3b, v36
	v_exp_f32_e32 v37, v36
	v_sub_f32_e32 v36, v38, v33
	v_mul_f32_e32 v36, 0x3fb8aa3b, v36
	v_sub_f32_e32 v32, v39, v33
	v_exp_f32_e32 v38, v36
	v_mul_f32_e32 v32, 0x3fb8aa3b, v32
	v_exp_f32_e32 v39, v32
	v_fma_f32 v36, v44, v40, 0
	v_fmac_f32_e32 v36, v37, v41
	v_fmac_f32_e32 v36, v38, v42
	;; [unrolled: 1-line block ×3, first 2 shown]
	v_add_f32_e32 v40, 0x358637bd, v36
	v_div_scale_f32 v41, s[0:1], v40, v40, 1.0
	v_rcp_f32_e32 v42, v41
	s_barrier
	s_lshl_b32 s10, s47, 2
	v_fma_f32 v43, -v41, v42, 1.0
	v_fmac_f32_e32 v42, v43, v42
	v_div_scale_f32 v43, vcc, 1.0, v40, 1.0
	v_mul_f32_e32 v45, v43, v42
	v_fma_f32 v52, -v41, v45, v43
	v_fmac_f32_e32 v45, v52, v42
	v_fma_f32 v41, -v41, v45, v43
	v_div_fmas_f32 v41, v41, v42, v45
	v_cmp_eq_u32_e32 vcc, 1, v51
	v_cndmask_b32_e32 v37, v44, v37, vcc
	v_cmp_eq_u32_e32 vcc, 2, v51
	v_cndmask_b32_e32 v37, v37, v38, vcc
	v_cmp_eq_u32_e32 vcc, 3, v51
	v_div_fixup_f32 v40, v41, v40, 1.0
	v_cndmask_b32_e32 v37, v37, v39, vcc
	v_mul_f32_e32 v38, v37, v40
	v_pk_mul_f32 v[28:29], v[38:39], v[28:29] op_sel_hi:[0,1]
	v_pk_mul_f32 v[18:19], v[38:39], v[18:19] op_sel_hi:[0,1]
	v_cvt_f16_f32_e32 v18, v18
	v_cvt_f16_f32_e32 v19, v19
	;; [unrolled: 1-line block ×4, first 2 shown]
	v_pk_mul_f32 v[20:21], v[38:39], v[20:21] op_sel_hi:[0,1]
	v_pack_b32_f16 v18, v18, v19
	v_cvt_f16_f32_e32 v20, v20
	v_pack_b32_f16 v19, v28, v29
	v_pk_mul_f32 v[28:29], v[38:39], v[30:31] op_sel_hi:[0,1]
	v_cvt_f16_f32_e32 v21, v21
	v_cvt_f16_f32_e32 v30, v28
	;; [unrolled: 1-line block ×3, first 2 shown]
	v_lshlrev_b32_e32 v37, 3, v49
	v_lshlrev_b32_e32 v28, 11, v51
	v_or3_b32 v28, v28, v50, v37
	v_pack_b32_f16 v20, v20, v21
	v_pack_b32_f16 v21, v30, v29
	ds_write2st64_b64 v28, v[18:19], v[20:21] offset1:1
	v_pk_mul_f32 v[18:19], v[38:39], v[34:35] op_sel_hi:[0,1]
	v_pk_mul_f32 v[20:21], v[38:39], v[26:27] op_sel_hi:[0,1]
	v_cvt_f16_f32_e32 v26, v20
	v_cvt_f16_f32_e32 v27, v21
	;; [unrolled: 1-line block ×4, first 2 shown]
	v_pk_mul_f32 v[18:19], v[38:39], v[24:25] op_sel_hi:[0,1]
	v_pk_mul_f32 v[20:21], v[38:39], v[22:23] op_sel_hi:[0,1]
	v_cvt_f16_f32_e32 v20, v20
	v_cvt_f16_f32_e32 v21, v21
	;; [unrolled: 1-line block ×4, first 2 shown]
	v_mov_b32_e32 v32, 0
	v_pack_b32_f16 v18, v26, v27
	v_pack_b32_f16 v19, v29, v30
	;; [unrolled: 1-line block ×4, first 2 shown]
	v_cmp_gt_u32_e32 vcc, 4, v0
	ds_write2st64_b64 v28, v[18:19], v[20:21] offset0:2 offset1:3
	s_and_saveexec_b64 s[0:1], vcc
	s_cbranch_execz .LBB609_399
; %bb.398:
	v_or_b32_e32 v18, s23, v0
	v_mov_b32_e32 v19, 0
	v_mov_b32_e32 v20, s10
	v_mad_u64_u32 v[20:21], s[2:3], s6, v20, v[18:19]
	v_mov_b32_e32 v18, s22
	s_load_dwordx4 s[12:15], s[4:5], 0x58
	s_mul_i32 s7, s7, s10
	v_mad_u64_u32 v[18:19], s[2:3], v20, s46, v[18:19]
	v_add_u32_e32 v21, s7, v21
	v_mov_b32_e32 v20, v19
	v_mad_u64_u32 v[20:21], s[2:3], v21, s46, v[20:21]
	v_mov_b32_e32 v19, v20
	v_lshlrev_b64 v[18:19], 2, v[18:19]
	s_waitcnt lgkmcnt(0)
	v_mov_b32_e32 v21, s15
	v_add_co_u32_e32 v20, vcc, s14, v18
	v_addc_co_u32_e32 v21, vcc, v21, v19, vcc
	global_store_dword v[20:21], v33, off
	v_mov_b32_e32 v20, s13
	v_add_co_u32_e32 v18, vcc, s12, v18
	v_addc_co_u32_e32 v19, vcc, v20, v19, vcc
	global_store_dword v[18:19], v36, off
.LBB609_399:
	s_or_b64 exec, exec, s[0:1]
	v_mov_b32_e32 v19, 0
	s_waitcnt vmcnt(3)
	v_cmp_ne_u16_sdwa s[2:3], v14, v19 src0_sel:BYTE_0 src1_sel:DWORD
	s_waitcnt lgkmcnt(0)
	s_barrier
	s_and_saveexec_b64 s[0:1], s[2:3]
	s_cbranch_execz .LBB609_405
; %bb.400:
	s_movk_i32 s2, 0x80
	v_cmp_ne_u16_sdwa s[8:9], v14, s2 src0_sel:BYTE_0 src1_sel:DWORD
	v_bfrev_b32_e32 v32, 1
	s_and_saveexec_b64 s[2:3], s[8:9]
	s_cbranch_execz .LBB609_404
; %bb.401:
	s_movk_i32 s7, 0x7f
	v_and_b32_e32 v18, 0x7f, v14
	v_cmp_ne_u32_e32 vcc, s7, v18
	v_mov_b32_e32 v32, 0x7f800001
	s_and_saveexec_b64 s[8:9], vcc
	s_cbranch_execz .LBB609_403
; %bb.402:
	v_and_b32_e32 v22, 7, v14
	v_ffbh_u32_e32 v20, v22
	v_min_u32_e32 v24, 32, v20
	v_subrev_u32_e32 v20, 28, v24
	v_lshlrev_b64 v[20:21], v20, v[14:15]
	v_lshrrev_b32_e32 v23, 3, v18
	v_sub_u32_e32 v21, 29, v24
	v_and_b32_e32 v20, 7, v20
	v_cmp_gt_u32_e32 vcc, 8, v18
	v_cndmask_b32_e32 v18, v23, v21, vcc
	v_cndmask_b32_e32 v20, v22, v20, vcc
	v_lshlrev_b32_e32 v21, 24, v14
	v_bfrev_b32_e32 v22, 60
	v_lshlrev_b32_e32 v20, 20, v20
	v_and_b32_e32 v21, 0x80000000, v21
	v_lshl_add_u32 v18, v18, 23, v22
	v_or3_b32 v32, v21, v18, v20
.LBB609_403:
	s_or_b64 exec, exec, s[8:9]
.LBB609_404:
	s_or_b64 exec, exec, s[2:3]
.LBB609_405:
	s_or_b64 exec, exec, s[0:1]
	v_lshrrev_b16_e32 v18, 8, v14
	v_cmp_ne_u16_e32 vcc, 0, v18
	v_mov_b32_e32 v20, 0
	s_and_saveexec_b64 s[0:1], vcc
	s_cbranch_execz .LBB609_411
; %bb.406:
	s_movk_i32 s2, 0x80
	v_cmp_ne_u16_e32 vcc, s2, v18
	v_bfrev_b32_e32 v20, 1
	s_and_saveexec_b64 s[2:3], vcc
	s_cbranch_execz .LBB609_410
; %bb.407:
	s_movk_i32 s7, 0x7f
	v_and_b32_e32 v21, 0x7f, v18
	v_cmp_ne_u32_e32 vcc, s7, v21
	v_mov_b32_e32 v20, 0x7f800001
	s_and_saveexec_b64 s[8:9], vcc
	s_cbranch_execz .LBB609_409
; %bb.408:
	v_and_b32_e32 v20, 7, v18
	v_ffbh_u32_e32 v22, v20
	v_min_u32_e32 v25, 32, v22
	v_subrev_u32_e32 v22, 28, v25
	v_lshlrev_b64 v[22:23], v22, v[18:19]
	v_lshrrev_b32_e32 v24, 3, v21
	v_sub_u32_e32 v18, 29, v25
	v_and_b32_e32 v22, 7, v22
	v_cmp_gt_u32_e32 vcc, 8, v21
	v_cndmask_b32_e32 v18, v24, v18, vcc
	v_cndmask_b32_e32 v20, v20, v22, vcc
	v_lshlrev_b32_e32 v21, 16, v14
	v_bfrev_b32_e32 v22, 60
	v_lshlrev_b32_e32 v20, 20, v20
	v_and_b32_e32 v21, 0x80000000, v21
	v_lshl_add_u32 v18, v18, 23, v22
	v_or3_b32 v20, v21, v18, v20
.LBB609_409:
	s_or_b64 exec, exec, s[8:9]
.LBB609_410:
	s_or_b64 exec, exec, s[2:3]
.LBB609_411:
	s_or_b64 exec, exec, s[0:1]
	s_movk_i32 s0, 0xff
	v_and_b32_sdwa v21, v14, s0 dst_sel:DWORD dst_unused:UNUSED_PAD src0_sel:WORD_1 src1_sel:DWORD
	v_lshrrev_b32_e32 v18, 16, v14
	v_cmp_ne_u16_e32 vcc, 0, v21
	s_and_saveexec_b64 s[0:1], vcc
	s_cbranch_execz .LBB609_417
; %bb.412:
	s_movk_i32 s2, 0x80
	v_cmp_ne_u16_e32 vcc, s2, v21
	v_bfrev_b32_e32 v19, 1
	s_and_saveexec_b64 s[2:3], vcc
	s_cbranch_execz .LBB609_416
; %bb.413:
	v_bfe_u32 v21, v14, 16, 7
	s_movk_i32 s7, 0x7f
	v_cmp_ne_u32_e32 vcc, s7, v21
	v_mov_b32_e32 v19, 0x7f800001
	s_and_saveexec_b64 s[8:9], vcc
	s_cbranch_execz .LBB609_415
; %bb.414:
	v_and_b32_e32 v22, 7, v18
	v_ffbh_u32_e32 v19, v22
	v_min_u32_e32 v24, 32, v19
	v_subrev_u32_e32 v19, 28, v24
	v_lshlrev_b64 v[18:19], v19, v[18:19]
	v_lshrrev_b32_e32 v23, 3, v21
	v_sub_u32_e32 v19, 29, v24
	v_and_b32_e32 v18, 7, v18
	v_cmp_gt_u32_e32 vcc, 8, v21
	v_mov_b32_e32 v21, 24
	v_cndmask_b32_e32 v19, v23, v19, vcc
	v_cndmask_b32_e32 v18, v22, v18, vcc
	v_lshlrev_b32_sdwa v21, v21, v14 dst_sel:DWORD dst_unused:UNUSED_PAD src0_sel:DWORD src1_sel:WORD_1
	v_bfrev_b32_e32 v22, 60
	v_lshlrev_b32_e32 v18, 20, v18
	v_and_b32_e32 v21, 0x80000000, v21
	v_lshl_add_u32 v19, v19, 23, v22
	v_or3_b32 v19, v21, v19, v18
.LBB609_415:
	s_or_b64 exec, exec, s[8:9]
.LBB609_416:
	s_or_b64 exec, exec, s[2:3]
.LBB609_417:
	s_or_b64 exec, exec, s[0:1]
	s_mov_b32 s0, 0xffffff
	v_cmp_lt_u32_e32 vcc, s0, v14
	v_mov_b32_e32 v21, 0
	v_mov_b32_e32 v22, 0
	s_and_saveexec_b64 s[0:1], vcc
	s_cbranch_execz .LBB609_423
; %bb.418:
	v_lshrrev_b32_e32 v18, 24, v14
	s_movk_i32 s2, 0x80
	v_cmp_ne_u32_e32 vcc, s2, v18
	v_bfrev_b32_e32 v22, 1
	s_and_saveexec_b64 s[2:3], vcc
	s_cbranch_execz .LBB609_422
; %bb.419:
	v_bfe_u32 v14, v14, 24, 7
	s_movk_i32 s7, 0x7f
	v_cmp_ne_u32_e32 vcc, s7, v14
	v_mov_b32_e32 v22, 0x7f800001
	s_and_saveexec_b64 s[8:9], vcc
	s_cbranch_execz .LBB609_421
; %bb.420:
	v_and_b32_e32 v24, 7, v18
	v_ffbh_u32_e32 v22, v24
	v_min_u32_e32 v26, 32, v22
	v_subrev_u32_e32 v22, 28, v26
	v_lshlrev_b64 v[22:23], v22, v[18:19]
	v_lshrrev_b32_e32 v25, 3, v14
	v_sub_u32_e32 v23, 29, v26
	v_and_b32_e32 v22, 7, v22
	v_cmp_gt_u32_e32 vcc, 8, v14
	v_cndmask_b32_e32 v14, v25, v23, vcc
	v_cndmask_b32_e32 v22, v24, v22, vcc
	v_lshlrev_b32_e32 v18, 24, v18
	v_bfrev_b32_e32 v23, 60
	v_lshlrev_b32_e32 v22, 20, v22
	v_and_b32_e32 v18, 0x80000000, v18
	v_lshl_add_u32 v14, v14, 23, v23
	v_or3_b32 v22, v18, v14, v22
.LBB609_421:
	s_or_b64 exec, exec, s[8:9]
.LBB609_422:
	s_or_b64 exec, exec, s[2:3]
.LBB609_423:
	s_or_b64 exec, exec, s[0:1]
	v_cmp_ne_u16_sdwa s[2:3], v15, v21 src0_sel:BYTE_0 src1_sel:DWORD
	s_and_saveexec_b64 s[0:1], s[2:3]
	s_cbranch_execz .LBB609_429
; %bb.424:
	s_movk_i32 s2, 0x80
	v_cmp_ne_u16_sdwa s[8:9], v15, s2 src0_sel:BYTE_0 src1_sel:DWORD
	v_bfrev_b32_e32 v21, 1
	s_and_saveexec_b64 s[2:3], s[8:9]
	s_cbranch_execz .LBB609_428
; %bb.425:
	s_movk_i32 s7, 0x7f
	v_and_b32_e32 v14, 0x7f, v15
	v_cmp_ne_u32_e32 vcc, s7, v14
	v_mov_b32_e32 v21, 0x7f800001
	s_and_saveexec_b64 s[8:9], vcc
	s_cbranch_execz .LBB609_427
; %bb.426:
	v_and_b32_e32 v21, 7, v15
	v_ffbh_u32_e32 v24, v21
	v_min_u32_e32 v26, 32, v24
	v_mov_b32_e32 v18, v15
	v_subrev_u32_e32 v24, 28, v26
	v_lshlrev_b64 v[24:25], v24, v[18:19]
	v_lshrrev_b32_e32 v23, 3, v14
	v_sub_u32_e32 v18, 29, v26
	v_and_b32_e32 v24, 7, v24
	v_cmp_gt_u32_e32 vcc, 8, v14
	v_cndmask_b32_e32 v14, v23, v18, vcc
	v_cndmask_b32_e32 v18, v21, v24, vcc
	v_lshlrev_b32_e32 v21, 24, v15
	v_bfrev_b32_e32 v23, 60
	v_lshlrev_b32_e32 v18, 20, v18
	v_and_b32_e32 v21, 0x80000000, v21
	v_lshl_add_u32 v14, v14, 23, v23
	v_or3_b32 v21, v21, v14, v18
.LBB609_427:
	s_or_b64 exec, exec, s[8:9]
.LBB609_428:
	s_or_b64 exec, exec, s[2:3]
.LBB609_429:
	s_or_b64 exec, exec, s[0:1]
	v_lshrrev_b16_e32 v14, 8, v15
	v_cmp_ne_u16_e32 vcc, 0, v14
	v_mov_b32_e32 v18, 0
	v_mov_b32_e32 v24, 0
	s_and_saveexec_b64 s[0:1], vcc
	s_cbranch_execz .LBB609_435
; %bb.430:
	s_movk_i32 s2, 0x80
	v_cmp_ne_u16_e32 vcc, s2, v14
	v_bfrev_b32_e32 v24, 1
	s_and_saveexec_b64 s[2:3], vcc
	s_cbranch_execz .LBB609_434
; %bb.431:
	s_movk_i32 s7, 0x7f
	v_and_b32_e32 v23, 0x7f, v14
	v_cmp_ne_u32_e32 vcc, s7, v23
	v_mov_b32_e32 v24, 0x7f800001
	s_and_saveexec_b64 s[8:9], vcc
	s_cbranch_execz .LBB609_433
; %bb.432:
	v_and_b32_e32 v26, 7, v14
	v_ffbh_u32_e32 v24, v26
	v_min_u32_e32 v29, 32, v24
	v_subrev_u32_e32 v24, 28, v29
	v_lshlrev_b64 v[24:25], v24, v[14:15]
	v_lshrrev_b32_e32 v27, 3, v23
	v_sub_u32_e32 v14, 29, v29
	v_and_b32_e32 v24, 7, v24
	v_cmp_gt_u32_e32 vcc, 8, v23
	v_cndmask_b32_e32 v14, v27, v14, vcc
	v_cndmask_b32_e32 v23, v26, v24, vcc
	v_lshlrev_b32_e32 v24, 16, v15
	v_bfrev_b32_e32 v25, 60
	v_lshlrev_b32_e32 v23, 20, v23
	v_and_b32_e32 v24, 0x80000000, v24
	v_lshl_add_u32 v14, v14, 23, v25
	v_or3_b32 v24, v24, v14, v23
.LBB609_433:
	s_or_b64 exec, exec, s[8:9]
.LBB609_434:
	s_or_b64 exec, exec, s[2:3]
.LBB609_435:
	s_or_b64 exec, exec, s[0:1]
	s_movk_i32 s0, 0xff
	v_and_b32_sdwa v23, v15, s0 dst_sel:DWORD dst_unused:UNUSED_PAD src0_sel:WORD_1 src1_sel:DWORD
	v_lshrrev_b32_e32 v14, 16, v15
	v_cmp_ne_u16_e32 vcc, 0, v23
	s_and_saveexec_b64 s[0:1], vcc
	s_cbranch_execz .LBB609_441
; %bb.436:
	s_movk_i32 s2, 0x80
	v_cmp_ne_u16_e32 vcc, s2, v23
	v_bfrev_b32_e32 v18, 1
	s_and_saveexec_b64 s[2:3], vcc
	s_cbranch_execz .LBB609_440
; %bb.437:
	v_bfe_u32 v23, v15, 16, 7
	s_movk_i32 s7, 0x7f
	v_cmp_ne_u32_e32 vcc, s7, v23
	v_mov_b32_e32 v18, 0x7f800001
	s_and_saveexec_b64 s[8:9], vcc
	s_cbranch_execz .LBB609_439
; %bb.438:
	v_and_b32_e32 v18, 7, v14
	v_ffbh_u32_e32 v26, v18
	v_min_u32_e32 v29, 32, v26
	v_subrev_u32_e32 v26, 28, v29
	v_lshlrev_b64 v[26:27], v26, v[14:15]
	v_lshrrev_b32_e32 v25, 3, v23
	v_sub_u32_e32 v14, 29, v29
	v_and_b32_e32 v26, 7, v26
	v_cmp_gt_u32_e32 vcc, 8, v23
	v_mov_b32_e32 v23, 24
	v_cndmask_b32_e32 v14, v25, v14, vcc
	v_cndmask_b32_e32 v18, v18, v26, vcc
	v_lshlrev_b32_sdwa v23, v23, v15 dst_sel:DWORD dst_unused:UNUSED_PAD src0_sel:DWORD src1_sel:WORD_1
	v_bfrev_b32_e32 v25, 60
	v_lshlrev_b32_e32 v18, 20, v18
	v_and_b32_e32 v23, 0x80000000, v23
	v_lshl_add_u32 v14, v14, 23, v25
	v_or3_b32 v18, v23, v14, v18
.LBB609_439:
	s_or_b64 exec, exec, s[8:9]
.LBB609_440:
	s_or_b64 exec, exec, s[2:3]
.LBB609_441:
	s_or_b64 exec, exec, s[0:1]
	s_mov_b32 s0, 0xffffff
	v_cmp_lt_u32_e32 vcc, s0, v15
	v_mov_b32_e32 v23, 0
	v_mov_b32_e32 v25, 0
	s_and_saveexec_b64 s[0:1], vcc
	s_cbranch_execz .LBB609_447
; %bb.442:
	v_lshrrev_b32_e32 v14, 24, v15
	s_movk_i32 s2, 0x80
	v_cmp_ne_u32_e32 vcc, s2, v14
	v_bfrev_b32_e32 v25, 1
	s_and_saveexec_b64 s[2:3], vcc
	s_cbranch_execz .LBB609_446
; %bb.443:
	v_bfe_u32 v15, v15, 24, 7
	s_movk_i32 s7, 0x7f
	v_cmp_ne_u32_e32 vcc, s7, v15
	v_mov_b32_e32 v25, 0x7f800001
	s_and_saveexec_b64 s[8:9], vcc
	s_cbranch_execz .LBB609_445
; %bb.444:
	v_and_b32_e32 v25, 7, v14
	v_ffbh_u32_e32 v26, v25
	v_min_u32_e32 v30, 32, v26
	v_subrev_u32_e32 v26, 28, v30
	v_lshlrev_b64 v[26:27], v26, v[14:15]
	v_lshrrev_b32_e32 v29, 3, v15
	v_sub_u32_e32 v27, 29, v30
	v_and_b32_e32 v26, 7, v26
	v_cmp_gt_u32_e32 vcc, 8, v15
	v_cndmask_b32_e32 v15, v29, v27, vcc
	v_cndmask_b32_e32 v25, v25, v26, vcc
	v_lshlrev_b32_e32 v14, 24, v14
	v_bfrev_b32_e32 v26, 60
	v_lshlrev_b32_e32 v25, 20, v25
	v_and_b32_e32 v14, 0x80000000, v14
	v_lshl_add_u32 v15, v15, 23, v26
	v_or3_b32 v25, v14, v15, v25
.LBB609_445:
	s_or_b64 exec, exec, s[8:9]
.LBB609_446:
	s_or_b64 exec, exec, s[2:3]
.LBB609_447:
	s_or_b64 exec, exec, s[0:1]
	v_cvt_pkrtz_f16_f32 v15, v19, v22
	v_lshl_or_b32 v22, v49, 9, v50
	v_cvt_pkrtz_f16_f32 v14, v32, v20
	ds_read_b128 v[30:33], v22
	v_cmp_ne_u16_sdwa s[2:3], v16, v23 src0_sel:BYTE_0 src1_sel:DWORD
	s_waitcnt lgkmcnt(0)
	v_mfma_f32_16x16x16f16 v[34:37], v[14:15], v[30:31], 0
	v_cvt_pkrtz_f16_f32 v14, v21, v24
	v_cvt_pkrtz_f16_f32 v15, v18, v25
	s_nop 1
	v_mfma_f32_16x16x16f16 v[18:21], v[14:15], v[32:33], v[34:37]
	s_and_saveexec_b64 s[0:1], s[2:3]
	s_cbranch_execz .LBB609_453
; %bb.448:
	s_movk_i32 s2, 0x80
	v_cmp_ne_u16_sdwa s[8:9], v16, s2 src0_sel:BYTE_0 src1_sel:DWORD
	v_bfrev_b32_e32 v23, 1
	s_and_saveexec_b64 s[2:3], s[8:9]
	s_cbranch_execz .LBB609_452
; %bb.449:
	s_movk_i32 s7, 0x7f
	v_and_b32_e32 v14, 0x7f, v16
	v_cmp_ne_u32_e32 vcc, s7, v14
	v_mov_b32_e32 v23, 0x7f800001
	s_and_saveexec_b64 s[8:9], vcc
	s_cbranch_execz .LBB609_451
; %bb.450:
	v_and_b32_e32 v15, 7, v16
	v_ffbh_u32_e32 v24, v15
	v_min_u32_e32 v26, 32, v24
	v_subrev_u32_e32 v24, 28, v26
	v_lshlrev_b64 v[24:25], v24, v[16:17]
	v_lshrrev_b32_e32 v23, 3, v14
	v_sub_u32_e32 v25, 29, v26
	v_and_b32_e32 v24, 7, v24
	v_cmp_gt_u32_e32 vcc, 8, v14
	v_cndmask_b32_e32 v14, v23, v25, vcc
	v_cndmask_b32_e32 v15, v15, v24, vcc
	v_lshlrev_b32_e32 v23, 24, v16
	v_bfrev_b32_e32 v24, 60
	v_lshlrev_b32_e32 v15, 20, v15
	v_and_b32_e32 v23, 0x80000000, v23
	v_lshl_add_u32 v14, v14, 23, v24
	v_or3_b32 v23, v23, v14, v15
.LBB609_451:
	s_or_b64 exec, exec, s[8:9]
.LBB609_452:
	s_or_b64 exec, exec, s[2:3]
.LBB609_453:
	s_or_b64 exec, exec, s[0:1]
	v_lshrrev_b16_e32 v14, 8, v16
	v_cmp_ne_u16_e32 vcc, 0, v14
	v_mov_b32_e32 v15, 0
	v_mov_b32_e32 v25, 0
	s_and_saveexec_b64 s[0:1], vcc
	s_cbranch_execz .LBB609_459
; %bb.454:
	s_movk_i32 s2, 0x80
	v_cmp_ne_u16_e32 vcc, s2, v14
	v_bfrev_b32_e32 v25, 1
	s_and_saveexec_b64 s[2:3], vcc
	s_cbranch_execz .LBB609_458
; %bb.455:
	s_movk_i32 s7, 0x7f
	v_and_b32_e32 v24, 0x7f, v14
	v_cmp_ne_u32_e32 vcc, s7, v24
	v_mov_b32_e32 v25, 0x7f800001
	s_and_saveexec_b64 s[8:9], vcc
	s_cbranch_execz .LBB609_457
; %bb.456:
	v_and_b32_e32 v25, 7, v14
	v_ffbh_u32_e32 v26, v25
	v_min_u32_e32 v30, 32, v26
	v_subrev_u32_e32 v26, 28, v30
	v_lshlrev_b64 v[26:27], v26, v[14:15]
	v_lshrrev_b32_e32 v29, 3, v24
	v_sub_u32_e32 v14, 29, v30
	v_and_b32_e32 v26, 7, v26
	v_cmp_gt_u32_e32 vcc, 8, v24
	v_cndmask_b32_e32 v14, v29, v14, vcc
	v_cndmask_b32_e32 v24, v25, v26, vcc
	v_lshlrev_b32_e32 v25, 16, v16
	v_bfrev_b32_e32 v26, 60
	v_lshlrev_b32_e32 v24, 20, v24
	v_and_b32_e32 v25, 0x80000000, v25
	v_lshl_add_u32 v14, v14, 23, v26
	v_or3_b32 v25, v25, v14, v24
.LBB609_457:
	s_or_b64 exec, exec, s[8:9]
.LBB609_458:
	s_or_b64 exec, exec, s[2:3]
.LBB609_459:
	s_or_b64 exec, exec, s[0:1]
	s_movk_i32 s0, 0xff
	v_and_b32_sdwa v24, v16, s0 dst_sel:DWORD dst_unused:UNUSED_PAD src0_sel:WORD_1 src1_sel:DWORD
	v_lshrrev_b32_e32 v14, 16, v16
	v_cmp_ne_u16_e32 vcc, 0, v24
	s_and_saveexec_b64 s[0:1], vcc
	s_cbranch_execz .LBB609_465
; %bb.460:
	s_movk_i32 s2, 0x80
	v_cmp_ne_u16_e32 vcc, s2, v24
	v_bfrev_b32_e32 v15, 1
	s_and_saveexec_b64 s[2:3], vcc
	s_cbranch_execz .LBB609_464
; %bb.461:
	v_bfe_u32 v24, v16, 16, 7
	s_movk_i32 s7, 0x7f
	v_cmp_ne_u32_e32 vcc, s7, v24
	v_mov_b32_e32 v15, 0x7f800001
	s_and_saveexec_b64 s[8:9], vcc
	s_cbranch_execz .LBB609_463
; %bb.462:
	v_and_b32_e32 v26, 7, v14
	v_ffbh_u32_e32 v15, v26
	v_min_u32_e32 v29, 32, v15
	v_subrev_u32_e32 v15, 28, v29
	v_lshlrev_b64 v[14:15], v15, v[14:15]
	v_lshrrev_b32_e32 v27, 3, v24
	v_sub_u32_e32 v15, 29, v29
	v_and_b32_e32 v14, 7, v14
	v_cmp_gt_u32_e32 vcc, 8, v24
	v_mov_b32_e32 v24, 24
	v_cndmask_b32_e32 v15, v27, v15, vcc
	v_cndmask_b32_e32 v14, v26, v14, vcc
	v_lshlrev_b32_sdwa v24, v24, v16 dst_sel:DWORD dst_unused:UNUSED_PAD src0_sel:DWORD src1_sel:WORD_1
	v_bfrev_b32_e32 v26, 60
	v_lshlrev_b32_e32 v14, 20, v14
	v_and_b32_e32 v24, 0x80000000, v24
	v_lshl_add_u32 v15, v15, 23, v26
	v_or3_b32 v15, v24, v15, v14
.LBB609_463:
	s_or_b64 exec, exec, s[8:9]
.LBB609_464:
	s_or_b64 exec, exec, s[2:3]
.LBB609_465:
	s_or_b64 exec, exec, s[0:1]
	s_mov_b32 s0, 0xffffff
	v_cmp_lt_u32_e32 vcc, s0, v16
	v_mov_b32_e32 v26, 0
	v_mov_b32_e32 v27, 0
	s_and_saveexec_b64 s[0:1], vcc
	s_cbranch_execz .LBB609_471
; %bb.466:
	v_lshrrev_b32_e32 v14, 24, v16
	s_movk_i32 s2, 0x80
	v_cmp_ne_u32_e32 vcc, s2, v14
	v_bfrev_b32_e32 v27, 1
	s_and_saveexec_b64 s[2:3], vcc
	s_cbranch_execz .LBB609_470
; %bb.467:
	v_bfe_u32 v16, v16, 24, 7
	s_movk_i32 s7, 0x7f
	v_cmp_ne_u32_e32 vcc, s7, v16
	v_mov_b32_e32 v27, 0x7f800001
	s_and_saveexec_b64 s[8:9], vcc
	s_cbranch_execz .LBB609_469
; %bb.468:
	v_and_b32_e32 v24, 7, v14
	v_ffbh_u32_e32 v29, v24
	v_min_u32_e32 v29, 32, v29
	v_subrev_u32_e32 v30, 28, v29
	v_lshlrev_b64 v[30:31], v30, v[14:15]
	v_lshrrev_b32_e32 v27, 3, v16
	v_sub_u32_e32 v29, 29, v29
	v_and_b32_e32 v30, 7, v30
	v_cmp_gt_u32_e32 vcc, 8, v16
	v_cndmask_b32_e32 v16, v27, v29, vcc
	v_cndmask_b32_e32 v24, v24, v30, vcc
	v_lshlrev_b32_e32 v14, 24, v14
	v_bfrev_b32_e32 v27, 60
	v_lshlrev_b32_e32 v24, 20, v24
	v_and_b32_e32 v14, 0x80000000, v14
	v_lshl_add_u32 v16, v16, 23, v27
	v_or3_b32 v27, v14, v16, v24
.LBB609_469:
	s_or_b64 exec, exec, s[8:9]
.LBB609_470:
	s_or_b64 exec, exec, s[2:3]
.LBB609_471:
	s_or_b64 exec, exec, s[0:1]
	v_cmp_ne_u16_sdwa s[2:3], v17, v26 src0_sel:BYTE_0 src1_sel:DWORD
	s_and_saveexec_b64 s[0:1], s[2:3]
	s_cbranch_execz .LBB609_477
; %bb.472:
	s_movk_i32 s2, 0x80
	v_cmp_ne_u16_sdwa s[8:9], v17, s2 src0_sel:BYTE_0 src1_sel:DWORD
	v_bfrev_b32_e32 v26, 1
	s_and_saveexec_b64 s[2:3], s[8:9]
	s_cbranch_execz .LBB609_476
; %bb.473:
	s_movk_i32 s7, 0x7f
	v_and_b32_e32 v14, 0x7f, v17
	v_cmp_ne_u32_e32 vcc, s7, v14
	v_mov_b32_e32 v26, 0x7f800001
	s_and_saveexec_b64 s[8:9], vcc
	s_cbranch_execz .LBB609_475
; %bb.474:
	v_and_b32_e32 v24, 7, v17
	v_ffbh_u32_e32 v29, v24
	v_min_u32_e32 v29, 32, v29
	v_mov_b32_e32 v16, v17
	v_subrev_u32_e32 v30, 28, v29
	v_lshlrev_b64 v[30:31], v30, v[16:17]
	v_lshrrev_b32_e32 v26, 3, v14
	v_sub_u32_e32 v16, 29, v29
	v_and_b32_e32 v29, 7, v30
	v_cmp_gt_u32_e32 vcc, 8, v14
	v_cndmask_b32_e32 v14, v26, v16, vcc
	v_cndmask_b32_e32 v16, v24, v29, vcc
	v_lshlrev_b32_e32 v24, 24, v17
	v_bfrev_b32_e32 v26, 60
	v_lshlrev_b32_e32 v16, 20, v16
	v_and_b32_e32 v24, 0x80000000, v24
	v_lshl_add_u32 v14, v14, 23, v26
	v_or3_b32 v26, v24, v14, v16
.LBB609_475:
	s_or_b64 exec, exec, s[8:9]
.LBB609_476:
	s_or_b64 exec, exec, s[2:3]
.LBB609_477:
	s_or_b64 exec, exec, s[0:1]
	v_lshrrev_b16_e32 v14, 8, v17
	v_cmp_ne_u16_e32 vcc, 0, v14
	v_mov_b32_e32 v16, 0
	v_mov_b32_e32 v29, 0
	s_and_saveexec_b64 s[0:1], vcc
	s_cbranch_execz .LBB609_483
; %bb.478:
	s_movk_i32 s2, 0x80
	v_cmp_ne_u16_e32 vcc, s2, v14
	v_bfrev_b32_e32 v29, 1
	s_and_saveexec_b64 s[2:3], vcc
	s_cbranch_execz .LBB609_482
; %bb.479:
	s_movk_i32 s7, 0x7f
	v_and_b32_e32 v24, 0x7f, v14
	v_cmp_ne_u32_e32 vcc, s7, v24
	v_mov_b32_e32 v29, 0x7f800001
	s_and_saveexec_b64 s[8:9], vcc
	s_cbranch_execz .LBB609_481
; %bb.480:
	v_and_b32_e32 v29, 7, v14
	v_ffbh_u32_e32 v30, v29
	v_min_u32_e32 v33, 32, v30
	v_subrev_u32_e32 v30, 28, v33
	v_lshlrev_b64 v[30:31], v30, v[14:15]
	v_lshrrev_b32_e32 v32, 3, v24
	v_sub_u32_e32 v14, 29, v33
	v_and_b32_e32 v30, 7, v30
	v_cmp_gt_u32_e32 vcc, 8, v24
	v_cndmask_b32_e32 v14, v32, v14, vcc
	v_cndmask_b32_e32 v24, v29, v30, vcc
	v_lshlrev_b32_e32 v29, 16, v17
	v_bfrev_b32_e32 v30, 60
	v_lshlrev_b32_e32 v24, 20, v24
	v_and_b32_e32 v29, 0x80000000, v29
	v_lshl_add_u32 v14, v14, 23, v30
	v_or3_b32 v29, v29, v14, v24
.LBB609_481:
	s_or_b64 exec, exec, s[8:9]
.LBB609_482:
	s_or_b64 exec, exec, s[2:3]
.LBB609_483:
	s_or_b64 exec, exec, s[0:1]
	s_movk_i32 s0, 0xff
	v_and_b32_sdwa v24, v17, s0 dst_sel:DWORD dst_unused:UNUSED_PAD src0_sel:WORD_1 src1_sel:DWORD
	v_lshrrev_b32_e32 v14, 16, v17
	v_cmp_ne_u16_e32 vcc, 0, v24
	s_and_saveexec_b64 s[0:1], vcc
	s_cbranch_execz .LBB609_489
; %bb.484:
	s_movk_i32 s2, 0x80
	v_cmp_ne_u16_e32 vcc, s2, v24
	v_bfrev_b32_e32 v16, 1
	s_and_saveexec_b64 s[2:3], vcc
	s_cbranch_execz .LBB609_488
; %bb.485:
	v_bfe_u32 v24, v17, 16, 7
	s_movk_i32 s7, 0x7f
	v_cmp_ne_u32_e32 vcc, s7, v24
	v_mov_b32_e32 v16, 0x7f800001
	s_and_saveexec_b64 s[8:9], vcc
	s_cbranch_execz .LBB609_487
; %bb.486:
	v_and_b32_e32 v16, 7, v14
	v_ffbh_u32_e32 v30, v16
	v_min_u32_e32 v33, 32, v30
	v_subrev_u32_e32 v30, 28, v33
	v_lshlrev_b64 v[30:31], v30, v[14:15]
	v_lshrrev_b32_e32 v32, 3, v24
	v_sub_u32_e32 v14, 29, v33
	v_and_b32_e32 v30, 7, v30
	v_cmp_gt_u32_e32 vcc, 8, v24
	v_mov_b32_e32 v24, 24
	v_cndmask_b32_e32 v14, v32, v14, vcc
	v_cndmask_b32_e32 v16, v16, v30, vcc
	v_lshlrev_b32_sdwa v24, v24, v17 dst_sel:DWORD dst_unused:UNUSED_PAD src0_sel:DWORD src1_sel:WORD_1
	v_bfrev_b32_e32 v30, 60
	v_lshlrev_b32_e32 v16, 20, v16
	v_and_b32_e32 v24, 0x80000000, v24
	v_lshl_add_u32 v14, v14, 23, v30
	v_or3_b32 v16, v24, v14, v16
.LBB609_487:
	s_or_b64 exec, exec, s[8:9]
.LBB609_488:
	s_or_b64 exec, exec, s[2:3]
.LBB609_489:
	s_or_b64 exec, exec, s[0:1]
	s_mov_b32 s0, 0xffffff
	v_cmp_lt_u32_e32 vcc, s0, v17
	v_mov_b32_e32 v24, 0
	v_mov_b32_e32 v30, 0
	s_and_saveexec_b64 s[0:1], vcc
	s_cbranch_execz .LBB609_495
; %bb.490:
	v_lshrrev_b32_e32 v14, 24, v17
	s_movk_i32 s2, 0x80
	v_cmp_ne_u32_e32 vcc, s2, v14
	v_bfrev_b32_e32 v30, 1
	s_and_saveexec_b64 s[2:3], vcc
	s_cbranch_execz .LBB609_494
; %bb.491:
	v_bfe_u32 v17, v17, 24, 7
	s_movk_i32 s7, 0x7f
	v_cmp_ne_u32_e32 vcc, s7, v17
	v_mov_b32_e32 v30, 0x7f800001
	s_and_saveexec_b64 s[8:9], vcc
	s_cbranch_execz .LBB609_493
; %bb.492:
	v_and_b32_e32 v32, 7, v14
	v_ffbh_u32_e32 v30, v32
	v_min_u32_e32 v34, 32, v30
	v_subrev_u32_e32 v30, 28, v34
	v_lshlrev_b64 v[30:31], v30, v[14:15]
	v_lshrrev_b32_e32 v33, 3, v17
	v_sub_u32_e32 v31, 29, v34
	v_and_b32_e32 v30, 7, v30
	v_cmp_gt_u32_e32 vcc, 8, v17
	v_cndmask_b32_e32 v17, v33, v31, vcc
	v_cndmask_b32_e32 v30, v32, v30, vcc
	v_lshlrev_b32_e32 v14, 24, v14
	v_bfrev_b32_e32 v31, 60
	v_lshlrev_b32_e32 v30, 20, v30
	v_and_b32_e32 v14, 0x80000000, v14
	v_lshl_add_u32 v17, v17, 23, v31
	v_or3_b32 v30, v14, v17, v30
.LBB609_493:
	s_or_b64 exec, exec, s[8:9]
.LBB609_494:
	s_or_b64 exec, exec, s[2:3]
.LBB609_495:
	s_or_b64 exec, exec, s[0:1]
	v_cvt_pkrtz_f16_f32 v14, v23, v25
	v_cvt_pkrtz_f16_f32 v15, v15, v27
	ds_read_b128 v[32:35], v22 offset:16
	s_waitcnt vmcnt(2)
	v_cmp_ne_u16_sdwa s[2:3], v10, v24 src0_sel:BYTE_0 src1_sel:DWORD
	s_waitcnt lgkmcnt(0)
	v_mfma_f32_16x16x16f16 v[18:21], v[14:15], v[32:33], v[18:21]
	v_cvt_pkrtz_f16_f32 v14, v26, v29
	v_cvt_pkrtz_f16_f32 v15, v16, v30
	s_nop 1
	v_mfma_f32_16x16x16f16 v[14:17], v[14:15], v[34:35], v[18:21]
	s_and_saveexec_b64 s[0:1], s[2:3]
	s_cbranch_execz .LBB609_501
; %bb.496:
	s_movk_i32 s2, 0x80
	v_cmp_ne_u16_sdwa s[8:9], v10, s2 src0_sel:BYTE_0 src1_sel:DWORD
	v_bfrev_b32_e32 v24, 1
	s_and_saveexec_b64 s[2:3], s[8:9]
	s_cbranch_execz .LBB609_500
; %bb.497:
	s_movk_i32 s7, 0x7f
	v_and_b32_e32 v18, 0x7f, v10
	v_cmp_ne_u32_e32 vcc, s7, v18
	v_mov_b32_e32 v24, 0x7f800001
	s_and_saveexec_b64 s[8:9], vcc
	s_cbranch_execz .LBB609_499
; %bb.498:
	v_and_b32_e32 v19, 7, v10
	v_ffbh_u32_e32 v20, v19
	v_min_u32_e32 v24, 32, v20
	v_subrev_u32_e32 v20, 28, v24
	v_lshlrev_b64 v[20:21], v20, v[10:11]
	v_lshrrev_b32_e32 v23, 3, v18
	v_sub_u32_e32 v21, 29, v24
	v_and_b32_e32 v20, 7, v20
	v_cmp_gt_u32_e32 vcc, 8, v18
	v_cndmask_b32_e32 v18, v23, v21, vcc
	v_cndmask_b32_e32 v19, v19, v20, vcc
	v_lshlrev_b32_e32 v20, 24, v10
	v_bfrev_b32_e32 v21, 60
	v_lshlrev_b32_e32 v19, 20, v19
	v_and_b32_e32 v20, 0x80000000, v20
	v_lshl_add_u32 v18, v18, 23, v21
	v_or3_b32 v24, v20, v18, v19
.LBB609_499:
	s_or_b64 exec, exec, s[8:9]
.LBB609_500:
	s_or_b64 exec, exec, s[2:3]
.LBB609_501:
	s_or_b64 exec, exec, s[0:1]
	s_nop 3
	v_lshrrev_b16_e32 v18, 8, v10
	v_cmp_ne_u16_e32 vcc, 0, v18
	v_mov_b32_e32 v19, 0
	v_mov_b32_e32 v20, 0
	s_and_saveexec_b64 s[0:1], vcc
	s_cbranch_execz .LBB609_507
; %bb.502:
	s_movk_i32 s2, 0x80
	v_cmp_ne_u16_e32 vcc, s2, v18
	v_bfrev_b32_e32 v20, 1
	s_and_saveexec_b64 s[2:3], vcc
	s_cbranch_execz .LBB609_506
; %bb.503:
	s_movk_i32 s7, 0x7f
	v_and_b32_e32 v21, 0x7f, v18
	v_cmp_ne_u32_e32 vcc, s7, v21
	v_mov_b32_e32 v20, 0x7f800001
	s_and_saveexec_b64 s[8:9], vcc
	s_cbranch_execz .LBB609_505
; %bb.504:
	v_and_b32_e32 v20, 7, v18
	v_ffbh_u32_e32 v25, v20
	v_min_u32_e32 v25, 32, v25
	v_subrev_u32_e32 v26, 28, v25
	v_lshlrev_b64 v[26:27], v26, v[18:19]
	v_lshrrev_b32_e32 v23, 3, v21
	v_sub_u32_e32 v18, 29, v25
	v_and_b32_e32 v25, 7, v26
	v_cmp_gt_u32_e32 vcc, 8, v21
	v_cndmask_b32_e32 v18, v23, v18, vcc
	v_cndmask_b32_e32 v20, v20, v25, vcc
	v_lshlrev_b32_e32 v21, 16, v10
	v_bfrev_b32_e32 v23, 60
	v_lshlrev_b32_e32 v20, 20, v20
	v_and_b32_e32 v21, 0x80000000, v21
	v_lshl_add_u32 v18, v18, 23, v23
	v_or3_b32 v20, v21, v18, v20
.LBB609_505:
	s_or_b64 exec, exec, s[8:9]
.LBB609_506:
	s_or_b64 exec, exec, s[2:3]
.LBB609_507:
	s_or_b64 exec, exec, s[0:1]
	s_movk_i32 s0, 0xff
	v_and_b32_sdwa v21, v10, s0 dst_sel:DWORD dst_unused:UNUSED_PAD src0_sel:WORD_1 src1_sel:DWORD
	v_lshrrev_b32_e32 v18, 16, v10
	v_cmp_ne_u16_e32 vcc, 0, v21
	s_and_saveexec_b64 s[0:1], vcc
	s_cbranch_execz .LBB609_513
; %bb.508:
	s_movk_i32 s2, 0x80
	v_cmp_ne_u16_e32 vcc, s2, v21
	v_bfrev_b32_e32 v19, 1
	s_and_saveexec_b64 s[2:3], vcc
	s_cbranch_execz .LBB609_512
; %bb.509:
	v_bfe_u32 v21, v10, 16, 7
	s_movk_i32 s7, 0x7f
	v_cmp_ne_u32_e32 vcc, s7, v21
	v_mov_b32_e32 v19, 0x7f800001
	s_and_saveexec_b64 s[8:9], vcc
	s_cbranch_execz .LBB609_511
; %bb.510:
	v_and_b32_e32 v23, 7, v18
	v_ffbh_u32_e32 v19, v23
	v_min_u32_e32 v26, 32, v19
	v_subrev_u32_e32 v19, 28, v26
	v_lshlrev_b64 v[18:19], v19, v[18:19]
	v_lshrrev_b32_e32 v25, 3, v21
	v_sub_u32_e32 v19, 29, v26
	v_and_b32_e32 v18, 7, v18
	v_cmp_gt_u32_e32 vcc, 8, v21
	v_mov_b32_e32 v21, 24
	v_cndmask_b32_e32 v19, v25, v19, vcc
	v_cndmask_b32_e32 v18, v23, v18, vcc
	v_lshlrev_b32_sdwa v21, v21, v10 dst_sel:DWORD dst_unused:UNUSED_PAD src0_sel:DWORD src1_sel:WORD_1
	v_bfrev_b32_e32 v23, 60
	v_lshlrev_b32_e32 v18, 20, v18
	v_and_b32_e32 v21, 0x80000000, v21
	v_lshl_add_u32 v19, v19, 23, v23
	v_or3_b32 v19, v21, v19, v18
.LBB609_511:
	s_or_b64 exec, exec, s[8:9]
.LBB609_512:
	s_or_b64 exec, exec, s[2:3]
.LBB609_513:
	s_or_b64 exec, exec, s[0:1]
	s_mov_b32 s0, 0xffffff
	v_cmp_lt_u32_e32 vcc, s0, v10
	v_mov_b32_e32 v21, 0
	v_mov_b32_e32 v23, 0
	s_and_saveexec_b64 s[0:1], vcc
	s_cbranch_execz .LBB609_519
; %bb.514:
	v_lshrrev_b32_e32 v18, 24, v10
	s_movk_i32 s2, 0x80
	v_cmp_ne_u32_e32 vcc, s2, v18
	v_bfrev_b32_e32 v23, 1
	s_and_saveexec_b64 s[2:3], vcc
	s_cbranch_execz .LBB609_518
; %bb.515:
	v_bfe_u32 v10, v10, 24, 7
	s_movk_i32 s7, 0x7f
	v_cmp_ne_u32_e32 vcc, s7, v10
	v_mov_b32_e32 v23, 0x7f800001
	s_and_saveexec_b64 s[8:9], vcc
	s_cbranch_execz .LBB609_517
; %bb.516:
	v_and_b32_e32 v23, 7, v18
	v_ffbh_u32_e32 v26, v23
	v_min_u32_e32 v29, 32, v26
	v_subrev_u32_e32 v26, 28, v29
	v_lshlrev_b64 v[26:27], v26, v[18:19]
	v_lshrrev_b32_e32 v25, 3, v10
	v_sub_u32_e32 v27, 29, v29
	v_and_b32_e32 v26, 7, v26
	v_cmp_gt_u32_e32 vcc, 8, v10
	v_cndmask_b32_e32 v10, v25, v27, vcc
	v_cndmask_b32_e32 v23, v23, v26, vcc
	v_lshlrev_b32_e32 v18, 24, v18
	v_bfrev_b32_e32 v25, 60
	v_lshlrev_b32_e32 v23, 20, v23
	v_and_b32_e32 v18, 0x80000000, v18
	v_lshl_add_u32 v10, v10, 23, v25
	v_or3_b32 v23, v18, v10, v23
.LBB609_517:
	s_or_b64 exec, exec, s[8:9]
.LBB609_518:
	s_or_b64 exec, exec, s[2:3]
.LBB609_519:
	s_or_b64 exec, exec, s[0:1]
	v_cmp_ne_u16_sdwa s[2:3], v11, v21 src0_sel:BYTE_0 src1_sel:DWORD
	s_and_saveexec_b64 s[0:1], s[2:3]
	s_cbranch_execz .LBB609_525
; %bb.520:
	s_movk_i32 s2, 0x80
	v_cmp_ne_u16_sdwa s[8:9], v11, s2 src0_sel:BYTE_0 src1_sel:DWORD
	v_bfrev_b32_e32 v21, 1
	s_and_saveexec_b64 s[2:3], s[8:9]
	s_cbranch_execz .LBB609_524
; %bb.521:
	s_movk_i32 s7, 0x7f
	v_and_b32_e32 v10, 0x7f, v11
	v_cmp_ne_u32_e32 vcc, s7, v10
	v_mov_b32_e32 v21, 0x7f800001
	s_and_saveexec_b64 s[8:9], vcc
	s_cbranch_execz .LBB609_523
; %bb.522:
	v_and_b32_e32 v21, 7, v11
	v_ffbh_u32_e32 v26, v21
	v_min_u32_e32 v29, 32, v26
	v_mov_b32_e32 v18, v11
	v_subrev_u32_e32 v26, 28, v29
	v_lshlrev_b64 v[26:27], v26, v[18:19]
	v_lshrrev_b32_e32 v25, 3, v10
	v_sub_u32_e32 v18, 29, v29
	v_and_b32_e32 v26, 7, v26
	v_cmp_gt_u32_e32 vcc, 8, v10
	v_cndmask_b32_e32 v10, v25, v18, vcc
	v_cndmask_b32_e32 v18, v21, v26, vcc
	v_lshlrev_b32_e32 v21, 24, v11
	v_bfrev_b32_e32 v25, 60
	v_lshlrev_b32_e32 v18, 20, v18
	v_and_b32_e32 v21, 0x80000000, v21
	v_lshl_add_u32 v10, v10, 23, v25
	v_or3_b32 v21, v21, v10, v18
.LBB609_523:
	s_or_b64 exec, exec, s[8:9]
.LBB609_524:
	s_or_b64 exec, exec, s[2:3]
.LBB609_525:
	s_or_b64 exec, exec, s[0:1]
	v_lshrrev_b16_e32 v10, 8, v11
	v_cmp_ne_u16_e32 vcc, 0, v10
	v_mov_b32_e32 v25, 0
	v_mov_b32_e32 v26, 0
	s_and_saveexec_b64 s[0:1], vcc
	s_cbranch_execz .LBB609_531
; %bb.526:
	s_movk_i32 s2, 0x80
	v_cmp_ne_u16_e32 vcc, s2, v10
	v_bfrev_b32_e32 v26, 1
	s_and_saveexec_b64 s[2:3], vcc
	s_cbranch_execz .LBB609_530
; %bb.527:
	s_movk_i32 s7, 0x7f
	v_and_b32_e32 v18, 0x7f, v10
	v_cmp_ne_u32_e32 vcc, s7, v18
	v_mov_b32_e32 v26, 0x7f800001
	s_and_saveexec_b64 s[8:9], vcc
	s_cbranch_execz .LBB609_529
; %bb.528:
	v_and_b32_e32 v29, 7, v10
	v_ffbh_u32_e32 v26, v29
	v_min_u32_e32 v31, 32, v26
	v_subrev_u32_e32 v26, 28, v31
	v_lshlrev_b64 v[26:27], v26, v[10:11]
	v_lshrrev_b32_e32 v30, 3, v18
	v_sub_u32_e32 v10, 29, v31
	v_and_b32_e32 v26, 7, v26
	v_cmp_gt_u32_e32 vcc, 8, v18
	v_cndmask_b32_e32 v10, v30, v10, vcc
	v_cndmask_b32_e32 v18, v29, v26, vcc
	v_lshlrev_b32_e32 v26, 16, v11
	v_bfrev_b32_e32 v27, 60
	v_lshlrev_b32_e32 v18, 20, v18
	v_and_b32_e32 v26, 0x80000000, v26
	v_lshl_add_u32 v10, v10, 23, v27
	v_or3_b32 v26, v26, v10, v18
.LBB609_529:
	s_or_b64 exec, exec, s[8:9]
.LBB609_530:
	s_or_b64 exec, exec, s[2:3]
.LBB609_531:
	s_or_b64 exec, exec, s[0:1]
	s_movk_i32 s0, 0xff
	v_and_b32_sdwa v18, v11, s0 dst_sel:DWORD dst_unused:UNUSED_PAD src0_sel:WORD_1 src1_sel:DWORD
	v_lshrrev_b32_e32 v10, 16, v11
	v_cmp_ne_u16_e32 vcc, 0, v18
	s_and_saveexec_b64 s[0:1], vcc
	s_cbranch_execz .LBB609_537
; %bb.532:
	s_movk_i32 s2, 0x80
	v_cmp_ne_u16_e32 vcc, s2, v18
	v_bfrev_b32_e32 v25, 1
	s_and_saveexec_b64 s[2:3], vcc
	s_cbranch_execz .LBB609_536
; %bb.533:
	v_bfe_u32 v18, v11, 16, 7
	s_movk_i32 s7, 0x7f
	v_cmp_ne_u32_e32 vcc, s7, v18
	v_mov_b32_e32 v25, 0x7f800001
	s_and_saveexec_b64 s[8:9], vcc
	s_cbranch_execz .LBB609_535
; %bb.534:
	v_and_b32_e32 v25, 7, v10
	v_ffbh_u32_e32 v29, v25
	v_min_u32_e32 v29, 32, v29
	v_subrev_u32_e32 v30, 28, v29
	v_lshlrev_b64 v[30:31], v30, v[10:11]
	v_sub_u32_e32 v10, 29, v29
	v_and_b32_e32 v29, 7, v30
	v_cmp_gt_u32_e32 vcc, 8, v18
	v_lshrrev_b32_e32 v27, 3, v18
	v_cndmask_b32_e32 v18, v25, v29, vcc
	v_mov_b32_e32 v25, 24
	v_cndmask_b32_e32 v10, v27, v10, vcc
	v_lshlrev_b32_sdwa v25, v25, v11 dst_sel:DWORD dst_unused:UNUSED_PAD src0_sel:DWORD src1_sel:WORD_1
	v_bfrev_b32_e32 v27, 60
	v_lshlrev_b32_e32 v18, 20, v18
	v_and_b32_e32 v25, 0x80000000, v25
	v_lshl_add_u32 v10, v10, 23, v27
	v_or3_b32 v25, v25, v10, v18
.LBB609_535:
	s_or_b64 exec, exec, s[8:9]
.LBB609_536:
	s_or_b64 exec, exec, s[2:3]
.LBB609_537:
	s_or_b64 exec, exec, s[0:1]
	s_mov_b32 s0, 0xffffff
	v_cmp_lt_u32_e32 vcc, s0, v11
	v_mov_b32_e32 v18, 0
	v_mov_b32_e32 v27, 0
	s_and_saveexec_b64 s[0:1], vcc
	s_cbranch_execz .LBB609_543
; %bb.538:
	v_lshrrev_b32_e32 v10, 24, v11
	s_movk_i32 s2, 0x80
	v_cmp_ne_u32_e32 vcc, s2, v10
	v_bfrev_b32_e32 v27, 1
	s_and_saveexec_b64 s[2:3], vcc
	s_cbranch_execz .LBB609_542
; %bb.539:
	v_bfe_u32 v11, v11, 24, 7
	s_movk_i32 s7, 0x7f
	v_cmp_ne_u32_e32 vcc, s7, v11
	v_mov_b32_e32 v27, 0x7f800001
	s_and_saveexec_b64 s[8:9], vcc
	s_cbranch_execz .LBB609_541
; %bb.540:
	v_and_b32_e32 v27, 7, v10
	v_ffbh_u32_e32 v30, v27
	v_min_u32_e32 v32, 32, v30
	v_subrev_u32_e32 v30, 28, v32
	v_lshlrev_b64 v[30:31], v30, v[10:11]
	v_lshrrev_b32_e32 v29, 3, v11
	v_sub_u32_e32 v31, 29, v32
	v_and_b32_e32 v30, 7, v30
	v_cmp_gt_u32_e32 vcc, 8, v11
	v_cndmask_b32_e32 v11, v29, v31, vcc
	v_cndmask_b32_e32 v27, v27, v30, vcc
	v_lshlrev_b32_e32 v10, 24, v10
	v_bfrev_b32_e32 v29, 60
	v_lshlrev_b32_e32 v27, 20, v27
	v_and_b32_e32 v10, 0x80000000, v10
	v_lshl_add_u32 v11, v11, 23, v29
	v_or3_b32 v27, v10, v11, v27
.LBB609_541:
	s_or_b64 exec, exec, s[8:9]
.LBB609_542:
	s_or_b64 exec, exec, s[2:3]
.LBB609_543:
	s_or_b64 exec, exec, s[0:1]
	v_cvt_pkrtz_f16_f32 v10, v24, v20
	v_cvt_pkrtz_f16_f32 v11, v19, v23
	ds_read_b128 v[30:33], v22 offset:2048
	v_cmp_ne_u16_sdwa s[2:3], v12, v18 src0_sel:BYTE_0 src1_sel:DWORD
	s_waitcnt lgkmcnt(0)
	v_mfma_f32_16x16x16f16 v[14:17], v[10:11], v[30:31], v[14:17]
	v_cvt_pkrtz_f16_f32 v10, v21, v26
	v_cvt_pkrtz_f16_f32 v11, v25, v27
	s_nop 1
	v_mfma_f32_16x16x16f16 v[14:17], v[10:11], v[32:33], v[14:17]
	s_and_saveexec_b64 s[0:1], s[2:3]
	s_cbranch_execz .LBB609_549
; %bb.544:
	s_movk_i32 s2, 0x80
	v_cmp_ne_u16_sdwa s[8:9], v12, s2 src0_sel:BYTE_0 src1_sel:DWORD
	v_bfrev_b32_e32 v18, 1
	s_and_saveexec_b64 s[2:3], s[8:9]
	s_cbranch_execz .LBB609_548
; %bb.545:
	s_movk_i32 s7, 0x7f
	v_and_b32_e32 v10, 0x7f, v12
	v_cmp_ne_u32_e32 vcc, s7, v10
	v_mov_b32_e32 v18, 0x7f800001
	s_and_saveexec_b64 s[8:9], vcc
	s_cbranch_execz .LBB609_547
; %bb.546:
	v_and_b32_e32 v11, 7, v12
	v_ffbh_u32_e32 v18, v11
	v_min_u32_e32 v21, 32, v18
	v_subrev_u32_e32 v18, 28, v21
	v_lshlrev_b64 v[18:19], v18, v[12:13]
	v_lshrrev_b32_e32 v20, 3, v10
	v_sub_u32_e32 v19, 29, v21
	v_and_b32_e32 v18, 7, v18
	v_cmp_gt_u32_e32 vcc, 8, v10
	v_cndmask_b32_e32 v10, v20, v19, vcc
	v_cndmask_b32_e32 v11, v11, v18, vcc
	v_lshlrev_b32_e32 v18, 24, v12
	v_bfrev_b32_e32 v19, 60
	v_lshlrev_b32_e32 v11, 20, v11
	v_and_b32_e32 v18, 0x80000000, v18
	v_lshl_add_u32 v10, v10, 23, v19
	v_or3_b32 v18, v18, v10, v11
.LBB609_547:
	s_or_b64 exec, exec, s[8:9]
.LBB609_548:
	s_or_b64 exec, exec, s[2:3]
.LBB609_549:
	s_or_b64 exec, exec, s[0:1]
	v_lshrrev_b16_e32 v10, 8, v12
	v_cmp_ne_u16_e32 vcc, 0, v10
	v_mov_b32_e32 v11, 0
	v_mov_b32_e32 v20, 0
	s_and_saveexec_b64 s[0:1], vcc
	s_cbranch_execz .LBB609_555
; %bb.550:
	s_movk_i32 s2, 0x80
	v_cmp_ne_u16_e32 vcc, s2, v10
	v_bfrev_b32_e32 v20, 1
	s_and_saveexec_b64 s[2:3], vcc
	s_cbranch_execz .LBB609_554
; %bb.551:
	s_movk_i32 s7, 0x7f
	v_and_b32_e32 v19, 0x7f, v10
	v_cmp_ne_u32_e32 vcc, s7, v19
	v_mov_b32_e32 v20, 0x7f800001
	s_and_saveexec_b64 s[8:9], vcc
	s_cbranch_execz .LBB609_553
; %bb.552:
	v_and_b32_e32 v23, 7, v10
	v_ffbh_u32_e32 v20, v23
	v_min_u32_e32 v25, 32, v20
	v_subrev_u32_e32 v20, 28, v25
	v_lshlrev_b64 v[20:21], v20, v[10:11]
	v_lshrrev_b32_e32 v24, 3, v19
	v_sub_u32_e32 v10, 29, v25
	v_and_b32_e32 v20, 7, v20
	v_cmp_gt_u32_e32 vcc, 8, v19
	v_cndmask_b32_e32 v10, v24, v10, vcc
	v_cndmask_b32_e32 v19, v23, v20, vcc
	v_lshlrev_b32_e32 v20, 16, v12
	v_bfrev_b32_e32 v21, 60
	v_lshlrev_b32_e32 v19, 20, v19
	v_and_b32_e32 v20, 0x80000000, v20
	v_lshl_add_u32 v10, v10, 23, v21
	v_or3_b32 v20, v20, v10, v19
.LBB609_553:
	s_or_b64 exec, exec, s[8:9]
.LBB609_554:
	s_or_b64 exec, exec, s[2:3]
.LBB609_555:
	s_or_b64 exec, exec, s[0:1]
	s_movk_i32 s0, 0xff
	v_and_b32_sdwa v19, v12, s0 dst_sel:DWORD dst_unused:UNUSED_PAD src0_sel:WORD_1 src1_sel:DWORD
	v_lshrrev_b32_e32 v10, 16, v12
	v_cmp_ne_u16_e32 vcc, 0, v19
	s_and_saveexec_b64 s[0:1], vcc
	s_cbranch_execz .LBB609_561
; %bb.556:
	s_movk_i32 s2, 0x80
	v_cmp_ne_u16_e32 vcc, s2, v19
	v_bfrev_b32_e32 v11, 1
	s_and_saveexec_b64 s[2:3], vcc
	s_cbranch_execz .LBB609_560
; %bb.557:
	v_bfe_u32 v19, v12, 16, 7
	s_movk_i32 s7, 0x7f
	v_cmp_ne_u32_e32 vcc, s7, v19
	v_mov_b32_e32 v11, 0x7f800001
	s_and_saveexec_b64 s[8:9], vcc
	s_cbranch_execz .LBB609_559
; %bb.558:
	v_and_b32_e32 v21, 7, v10
	v_ffbh_u32_e32 v11, v21
	v_min_u32_e32 v24, 32, v11
	v_subrev_u32_e32 v11, 28, v24
	v_lshlrev_b64 v[10:11], v11, v[10:11]
	v_lshrrev_b32_e32 v23, 3, v19
	v_sub_u32_e32 v11, 29, v24
	v_and_b32_e32 v10, 7, v10
	v_cmp_gt_u32_e32 vcc, 8, v19
	v_mov_b32_e32 v19, 24
	v_cndmask_b32_e32 v11, v23, v11, vcc
	v_cndmask_b32_e32 v10, v21, v10, vcc
	v_lshlrev_b32_sdwa v19, v19, v12 dst_sel:DWORD dst_unused:UNUSED_PAD src0_sel:DWORD src1_sel:WORD_1
	v_bfrev_b32_e32 v21, 60
	v_lshlrev_b32_e32 v10, 20, v10
	v_and_b32_e32 v19, 0x80000000, v19
	v_lshl_add_u32 v11, v11, 23, v21
	v_or3_b32 v11, v19, v11, v10
.LBB609_559:
	s_or_b64 exec, exec, s[8:9]
.LBB609_560:
	s_or_b64 exec, exec, s[2:3]
.LBB609_561:
	s_or_b64 exec, exec, s[0:1]
	s_mov_b32 s0, 0xffffff
	v_cmp_lt_u32_e32 vcc, s0, v12
	v_mov_b32_e32 v21, 0
	v_mov_b32_e32 v23, 0
	s_and_saveexec_b64 s[0:1], vcc
	s_cbranch_execz .LBB609_567
; %bb.562:
	v_lshrrev_b32_e32 v10, 24, v12
	s_movk_i32 s2, 0x80
	v_cmp_ne_u32_e32 vcc, s2, v10
	v_bfrev_b32_e32 v23, 1
	s_and_saveexec_b64 s[2:3], vcc
	s_cbranch_execz .LBB609_566
; %bb.563:
	v_bfe_u32 v12, v12, 24, 7
	s_movk_i32 s7, 0x7f
	v_cmp_ne_u32_e32 vcc, s7, v12
	v_mov_b32_e32 v23, 0x7f800001
	s_and_saveexec_b64 s[8:9], vcc
	s_cbranch_execz .LBB609_565
; %bb.564:
	v_and_b32_e32 v19, 7, v10
	v_ffbh_u32_e32 v24, v19
	v_min_u32_e32 v26, 32, v24
	v_subrev_u32_e32 v24, 28, v26
	v_lshlrev_b64 v[24:25], v24, v[10:11]
	v_lshrrev_b32_e32 v23, 3, v12
	v_sub_u32_e32 v25, 29, v26
	v_and_b32_e32 v24, 7, v24
	v_cmp_gt_u32_e32 vcc, 8, v12
	v_cndmask_b32_e32 v12, v23, v25, vcc
	v_cndmask_b32_e32 v19, v19, v24, vcc
	v_lshlrev_b32_e32 v10, 24, v10
	v_bfrev_b32_e32 v23, 60
	v_lshlrev_b32_e32 v19, 20, v19
	v_and_b32_e32 v10, 0x80000000, v10
	v_lshl_add_u32 v12, v12, 23, v23
	v_or3_b32 v23, v10, v12, v19
.LBB609_565:
	s_or_b64 exec, exec, s[8:9]
.LBB609_566:
	s_or_b64 exec, exec, s[2:3]
.LBB609_567:
	s_or_b64 exec, exec, s[0:1]
	v_cmp_ne_u16_sdwa s[2:3], v13, v21 src0_sel:BYTE_0 src1_sel:DWORD
	s_and_saveexec_b64 s[0:1], s[2:3]
	s_cbranch_execz .LBB609_573
; %bb.568:
	s_movk_i32 s2, 0x80
	v_cmp_ne_u16_sdwa s[8:9], v13, s2 src0_sel:BYTE_0 src1_sel:DWORD
	v_bfrev_b32_e32 v21, 1
	s_and_saveexec_b64 s[2:3], s[8:9]
	s_cbranch_execz .LBB609_572
; %bb.569:
	s_movk_i32 s7, 0x7f
	v_and_b32_e32 v10, 0x7f, v13
	v_cmp_ne_u32_e32 vcc, s7, v10
	v_mov_b32_e32 v21, 0x7f800001
	s_and_saveexec_b64 s[8:9], vcc
	s_cbranch_execz .LBB609_571
; %bb.570:
	v_and_b32_e32 v19, 7, v13
	v_ffbh_u32_e32 v24, v19
	v_min_u32_e32 v26, 32, v24
	v_mov_b32_e32 v12, v13
	v_subrev_u32_e32 v24, 28, v26
	v_lshlrev_b64 v[24:25], v24, v[12:13]
	v_lshrrev_b32_e32 v21, 3, v10
	v_sub_u32_e32 v12, 29, v26
	v_and_b32_e32 v24, 7, v24
	v_cmp_gt_u32_e32 vcc, 8, v10
	v_cndmask_b32_e32 v10, v21, v12, vcc
	v_cndmask_b32_e32 v12, v19, v24, vcc
	v_lshlrev_b32_e32 v19, 24, v13
	v_bfrev_b32_e32 v21, 60
	v_lshlrev_b32_e32 v12, 20, v12
	v_and_b32_e32 v19, 0x80000000, v19
	v_lshl_add_u32 v10, v10, 23, v21
	v_or3_b32 v21, v19, v10, v12
.LBB609_571:
	s_or_b64 exec, exec, s[8:9]
.LBB609_572:
	s_or_b64 exec, exec, s[2:3]
.LBB609_573:
	s_or_b64 exec, exec, s[0:1]
	v_lshrrev_b16_e32 v10, 8, v13
	v_cmp_ne_u16_e32 vcc, 0, v10
	v_mov_b32_e32 v12, 0
	v_mov_b32_e32 v24, 0
	s_and_saveexec_b64 s[0:1], vcc
	s_cbranch_execz .LBB609_579
; %bb.574:
	s_movk_i32 s2, 0x80
	v_cmp_ne_u16_e32 vcc, s2, v10
	v_bfrev_b32_e32 v24, 1
	s_and_saveexec_b64 s[2:3], vcc
	s_cbranch_execz .LBB609_578
; %bb.575:
	s_movk_i32 s7, 0x7f
	v_and_b32_e32 v19, 0x7f, v10
	v_cmp_ne_u32_e32 vcc, s7, v19
	v_mov_b32_e32 v24, 0x7f800001
	s_and_saveexec_b64 s[8:9], vcc
	s_cbranch_execz .LBB609_577
; %bb.576:
	v_and_b32_e32 v26, 7, v10
	v_ffbh_u32_e32 v24, v26
	v_min_u32_e32 v29, 32, v24
	v_subrev_u32_e32 v24, 28, v29
	v_lshlrev_b64 v[24:25], v24, v[10:11]
	v_lshrrev_b32_e32 v27, 3, v19
	v_sub_u32_e32 v10, 29, v29
	v_and_b32_e32 v24, 7, v24
	v_cmp_gt_u32_e32 vcc, 8, v19
	v_cndmask_b32_e32 v10, v27, v10, vcc
	v_cndmask_b32_e32 v19, v26, v24, vcc
	v_lshlrev_b32_e32 v24, 16, v13
	v_bfrev_b32_e32 v25, 60
	v_lshlrev_b32_e32 v19, 20, v19
	v_and_b32_e32 v24, 0x80000000, v24
	v_lshl_add_u32 v10, v10, 23, v25
	v_or3_b32 v24, v24, v10, v19
.LBB609_577:
	s_or_b64 exec, exec, s[8:9]
.LBB609_578:
	s_or_b64 exec, exec, s[2:3]
.LBB609_579:
	s_or_b64 exec, exec, s[0:1]
	s_movk_i32 s0, 0xff
	v_and_b32_sdwa v19, v13, s0 dst_sel:DWORD dst_unused:UNUSED_PAD src0_sel:WORD_1 src1_sel:DWORD
	v_lshrrev_b32_e32 v10, 16, v13
	v_cmp_ne_u16_e32 vcc, 0, v19
	s_and_saveexec_b64 s[0:1], vcc
	s_cbranch_execz .LBB609_585
; %bb.580:
	s_movk_i32 s2, 0x80
	v_cmp_ne_u16_e32 vcc, s2, v19
	v_bfrev_b32_e32 v12, 1
	s_and_saveexec_b64 s[2:3], vcc
	s_cbranch_execz .LBB609_584
; %bb.581:
	v_bfe_u32 v19, v13, 16, 7
	s_movk_i32 s7, 0x7f
	v_cmp_ne_u32_e32 vcc, s7, v19
	v_mov_b32_e32 v12, 0x7f800001
	s_and_saveexec_b64 s[8:9], vcc
	s_cbranch_execz .LBB609_583
; %bb.582:
	v_and_b32_e32 v12, 7, v10
	v_ffbh_u32_e32 v26, v12
	v_min_u32_e32 v29, 32, v26
	v_subrev_u32_e32 v26, 28, v29
	v_lshlrev_b64 v[26:27], v26, v[10:11]
	v_lshrrev_b32_e32 v25, 3, v19
	v_sub_u32_e32 v10, 29, v29
	v_and_b32_e32 v26, 7, v26
	v_cmp_gt_u32_e32 vcc, 8, v19
	v_mov_b32_e32 v19, 24
	v_cndmask_b32_e32 v10, v25, v10, vcc
	v_cndmask_b32_e32 v12, v12, v26, vcc
	v_lshlrev_b32_sdwa v19, v19, v13 dst_sel:DWORD dst_unused:UNUSED_PAD src0_sel:DWORD src1_sel:WORD_1
	v_bfrev_b32_e32 v25, 60
	v_lshlrev_b32_e32 v12, 20, v12
	v_and_b32_e32 v19, 0x80000000, v19
	v_lshl_add_u32 v10, v10, 23, v25
	v_or3_b32 v12, v19, v10, v12
.LBB609_583:
	s_or_b64 exec, exec, s[8:9]
.LBB609_584:
	s_or_b64 exec, exec, s[2:3]
.LBB609_585:
	s_or_b64 exec, exec, s[0:1]
	s_mov_b32 s0, 0xffffff
	v_cmp_lt_u32_e32 vcc, s0, v13
	v_mov_b32_e32 v19, 0
	v_mov_b32_e32 v25, 0
	s_and_saveexec_b64 s[0:1], vcc
	s_cbranch_execz .LBB609_591
; %bb.586:
	v_lshrrev_b32_e32 v10, 24, v13
	s_movk_i32 s2, 0x80
	v_cmp_ne_u32_e32 vcc, s2, v10
	v_bfrev_b32_e32 v25, 1
	s_and_saveexec_b64 s[2:3], vcc
	s_cbranch_execz .LBB609_590
; %bb.587:
	v_bfe_u32 v13, v13, 24, 7
	s_movk_i32 s7, 0x7f
	v_cmp_ne_u32_e32 vcc, s7, v13
	v_mov_b32_e32 v25, 0x7f800001
	s_and_saveexec_b64 s[8:9], vcc
	s_cbranch_execz .LBB609_589
; %bb.588:
	v_and_b32_e32 v25, 7, v10
	v_ffbh_u32_e32 v26, v25
	v_min_u32_e32 v30, 32, v26
	v_subrev_u32_e32 v26, 28, v30
	v_lshlrev_b64 v[26:27], v26, v[10:11]
	v_lshrrev_b32_e32 v29, 3, v13
	v_sub_u32_e32 v27, 29, v30
	v_and_b32_e32 v26, 7, v26
	v_cmp_gt_u32_e32 vcc, 8, v13
	v_cndmask_b32_e32 v13, v29, v27, vcc
	v_cndmask_b32_e32 v25, v25, v26, vcc
	v_lshlrev_b32_e32 v10, 24, v10
	v_bfrev_b32_e32 v26, 60
	v_lshlrev_b32_e32 v25, 20, v25
	v_and_b32_e32 v10, 0x80000000, v10
	v_lshl_add_u32 v13, v13, 23, v26
	v_or3_b32 v25, v10, v13, v25
.LBB609_589:
	s_or_b64 exec, exec, s[8:9]
.LBB609_590:
	s_or_b64 exec, exec, s[2:3]
.LBB609_591:
	s_or_b64 exec, exec, s[0:1]
	v_cvt_pkrtz_f16_f32 v10, v18, v20
	v_cvt_pkrtz_f16_f32 v11, v11, v23
	ds_read_b128 v[30:33], v22 offset:2064
	s_waitcnt vmcnt(1)
	v_cmp_ne_u16_sdwa s[2:3], v6, v19 src0_sel:BYTE_0 src1_sel:DWORD
	s_waitcnt lgkmcnt(0)
	v_mfma_f32_16x16x16f16 v[14:17], v[10:11], v[30:31], v[14:17]
	v_cvt_pkrtz_f16_f32 v10, v21, v24
	v_cvt_pkrtz_f16_f32 v11, v12, v25
	s_nop 1
	v_mfma_f32_16x16x16f16 v[10:13], v[10:11], v[32:33], v[14:17]
	s_and_saveexec_b64 s[0:1], s[2:3]
	s_cbranch_execz .LBB609_597
; %bb.592:
	s_movk_i32 s2, 0x80
	v_cmp_ne_u16_sdwa s[8:9], v6, s2 src0_sel:BYTE_0 src1_sel:DWORD
	v_bfrev_b32_e32 v19, 1
	s_and_saveexec_b64 s[2:3], s[8:9]
	s_cbranch_execz .LBB609_596
; %bb.593:
	s_movk_i32 s7, 0x7f
	v_and_b32_e32 v14, 0x7f, v6
	v_cmp_ne_u32_e32 vcc, s7, v14
	v_mov_b32_e32 v19, 0x7f800001
	s_and_saveexec_b64 s[8:9], vcc
	s_cbranch_execz .LBB609_595
; %bb.594:
	v_and_b32_e32 v15, 7, v6
	v_ffbh_u32_e32 v16, v15
	v_min_u32_e32 v19, 32, v16
	v_subrev_u32_e32 v16, 28, v19
	v_lshlrev_b64 v[16:17], v16, v[6:7]
	v_lshrrev_b32_e32 v18, 3, v14
	v_sub_u32_e32 v17, 29, v19
	v_and_b32_e32 v16, 7, v16
	v_cmp_gt_u32_e32 vcc, 8, v14
	v_cndmask_b32_e32 v14, v18, v17, vcc
	v_cndmask_b32_e32 v15, v15, v16, vcc
	v_lshlrev_b32_e32 v16, 24, v6
	v_bfrev_b32_e32 v17, 60
	v_lshlrev_b32_e32 v15, 20, v15
	v_and_b32_e32 v16, 0x80000000, v16
	v_lshl_add_u32 v14, v14, 23, v17
	v_or3_b32 v19, v16, v14, v15
.LBB609_595:
	s_or_b64 exec, exec, s[8:9]
.LBB609_596:
	s_or_b64 exec, exec, s[2:3]
.LBB609_597:
	s_or_b64 exec, exec, s[0:1]
	s_nop 3
	v_lshrrev_b16_e32 v14, 8, v6
	v_cmp_ne_u16_e32 vcc, 0, v14
	v_mov_b32_e32 v15, 0
	v_mov_b32_e32 v16, 0
	s_and_saveexec_b64 s[0:1], vcc
	s_cbranch_execz .LBB609_603
; %bb.598:
	s_movk_i32 s2, 0x80
	v_cmp_ne_u16_e32 vcc, s2, v14
	v_bfrev_b32_e32 v16, 1
	s_and_saveexec_b64 s[2:3], vcc
	s_cbranch_execz .LBB609_602
; %bb.599:
	s_movk_i32 s7, 0x7f
	v_and_b32_e32 v17, 0x7f, v14
	v_cmp_ne_u32_e32 vcc, s7, v17
	v_mov_b32_e32 v16, 0x7f800001
	s_and_saveexec_b64 s[8:9], vcc
	s_cbranch_execz .LBB609_601
; %bb.600:
	v_and_b32_e32 v16, 7, v14
	v_ffbh_u32_e32 v20, v16
	v_min_u32_e32 v23, 32, v20
	v_subrev_u32_e32 v20, 28, v23
	v_lshlrev_b64 v[20:21], v20, v[14:15]
	v_lshrrev_b32_e32 v18, 3, v17
	v_sub_u32_e32 v14, 29, v23
	v_and_b32_e32 v20, 7, v20
	v_cmp_gt_u32_e32 vcc, 8, v17
	v_cndmask_b32_e32 v14, v18, v14, vcc
	v_cndmask_b32_e32 v16, v16, v20, vcc
	v_lshlrev_b32_e32 v17, 16, v6
	v_bfrev_b32_e32 v18, 60
	v_lshlrev_b32_e32 v16, 20, v16
	v_and_b32_e32 v17, 0x80000000, v17
	v_lshl_add_u32 v14, v14, 23, v18
	v_or3_b32 v16, v17, v14, v16
.LBB609_601:
	s_or_b64 exec, exec, s[8:9]
.LBB609_602:
	s_or_b64 exec, exec, s[2:3]
.LBB609_603:
	s_or_b64 exec, exec, s[0:1]
	s_movk_i32 s0, 0xff
	v_and_b32_sdwa v17, v6, s0 dst_sel:DWORD dst_unused:UNUSED_PAD src0_sel:WORD_1 src1_sel:DWORD
	v_lshrrev_b32_e32 v14, 16, v6
	v_cmp_ne_u16_e32 vcc, 0, v17
	s_and_saveexec_b64 s[0:1], vcc
	s_cbranch_execz .LBB609_609
; %bb.604:
	s_movk_i32 s2, 0x80
	v_cmp_ne_u16_e32 vcc, s2, v17
	v_bfrev_b32_e32 v15, 1
	s_and_saveexec_b64 s[2:3], vcc
	s_cbranch_execz .LBB609_608
; %bb.605:
	v_bfe_u32 v17, v6, 16, 7
	s_movk_i32 s7, 0x7f
	v_cmp_ne_u32_e32 vcc, s7, v17
	v_mov_b32_e32 v15, 0x7f800001
	s_and_saveexec_b64 s[8:9], vcc
	s_cbranch_execz .LBB609_607
; %bb.606:
	v_and_b32_e32 v18, 7, v14
	v_ffbh_u32_e32 v15, v18
	v_min_u32_e32 v21, 32, v15
	v_subrev_u32_e32 v15, 28, v21
	v_lshlrev_b64 v[14:15], v15, v[14:15]
	v_lshrrev_b32_e32 v20, 3, v17
	v_sub_u32_e32 v15, 29, v21
	v_and_b32_e32 v14, 7, v14
	v_cmp_gt_u32_e32 vcc, 8, v17
	v_mov_b32_e32 v17, 24
	v_cndmask_b32_e32 v15, v20, v15, vcc
	v_cndmask_b32_e32 v14, v18, v14, vcc
	v_lshlrev_b32_sdwa v17, v17, v6 dst_sel:DWORD dst_unused:UNUSED_PAD src0_sel:DWORD src1_sel:WORD_1
	v_bfrev_b32_e32 v18, 60
	v_lshlrev_b32_e32 v14, 20, v14
	v_and_b32_e32 v17, 0x80000000, v17
	v_lshl_add_u32 v15, v15, 23, v18
	v_or3_b32 v15, v17, v15, v14
.LBB609_607:
	s_or_b64 exec, exec, s[8:9]
.LBB609_608:
	s_or_b64 exec, exec, s[2:3]
.LBB609_609:
	s_or_b64 exec, exec, s[0:1]
	s_mov_b32 s0, 0xffffff
	v_cmp_lt_u32_e32 vcc, s0, v6
	v_mov_b32_e32 v17, 0
	v_mov_b32_e32 v18, 0
	s_and_saveexec_b64 s[0:1], vcc
	s_cbranch_execz .LBB609_615
; %bb.610:
	v_lshrrev_b32_e32 v14, 24, v6
	s_movk_i32 s2, 0x80
	v_cmp_ne_u32_e32 vcc, s2, v14
	v_bfrev_b32_e32 v18, 1
	s_and_saveexec_b64 s[2:3], vcc
	s_cbranch_execz .LBB609_614
; %bb.611:
	v_bfe_u32 v6, v6, 24, 7
	s_movk_i32 s7, 0x7f
	v_cmp_ne_u32_e32 vcc, s7, v6
	v_mov_b32_e32 v18, 0x7f800001
	s_and_saveexec_b64 s[8:9], vcc
	s_cbranch_execz .LBB609_613
; %bb.612:
	v_and_b32_e32 v18, 7, v14
	v_ffbh_u32_e32 v20, v18
	v_min_u32_e32 v24, 32, v20
	v_subrev_u32_e32 v20, 28, v24
	v_lshlrev_b64 v[20:21], v20, v[14:15]
	v_lshrrev_b32_e32 v23, 3, v6
	v_sub_u32_e32 v21, 29, v24
	v_and_b32_e32 v20, 7, v20
	v_cmp_gt_u32_e32 vcc, 8, v6
	v_cndmask_b32_e32 v6, v23, v21, vcc
	v_cndmask_b32_e32 v18, v18, v20, vcc
	v_lshlrev_b32_e32 v14, 24, v14
	v_bfrev_b32_e32 v20, 60
	v_lshlrev_b32_e32 v18, 20, v18
	v_and_b32_e32 v14, 0x80000000, v14
	v_lshl_add_u32 v6, v6, 23, v20
	v_or3_b32 v18, v14, v6, v18
.LBB609_613:
	s_or_b64 exec, exec, s[8:9]
.LBB609_614:
	s_or_b64 exec, exec, s[2:3]
.LBB609_615:
	s_or_b64 exec, exec, s[0:1]
	v_cmp_ne_u16_sdwa s[2:3], v7, v17 src0_sel:BYTE_0 src1_sel:DWORD
	s_and_saveexec_b64 s[0:1], s[2:3]
	s_cbranch_execz .LBB609_621
; %bb.616:
	s_movk_i32 s2, 0x80
	v_cmp_ne_u16_sdwa s[8:9], v7, s2 src0_sel:BYTE_0 src1_sel:DWORD
	v_bfrev_b32_e32 v17, 1
	s_and_saveexec_b64 s[2:3], s[8:9]
	s_cbranch_execz .LBB609_620
; %bb.617:
	s_movk_i32 s7, 0x7f
	v_and_b32_e32 v6, 0x7f, v7
	v_cmp_ne_u32_e32 vcc, s7, v6
	v_mov_b32_e32 v17, 0x7f800001
	s_and_saveexec_b64 s[8:9], vcc
	s_cbranch_execz .LBB609_619
; %bb.618:
	v_and_b32_e32 v17, 7, v7
	v_ffbh_u32_e32 v20, v17
	v_min_u32_e32 v24, 32, v20
	v_mov_b32_e32 v14, v7
	v_subrev_u32_e32 v20, 28, v24
	v_lshlrev_b64 v[20:21], v20, v[14:15]
	v_lshrrev_b32_e32 v23, 3, v6
	v_sub_u32_e32 v14, 29, v24
	v_and_b32_e32 v20, 7, v20
	v_cmp_gt_u32_e32 vcc, 8, v6
	v_cndmask_b32_e32 v6, v23, v14, vcc
	v_cndmask_b32_e32 v14, v17, v20, vcc
	v_lshlrev_b32_e32 v17, 24, v7
	v_bfrev_b32_e32 v20, 60
	v_lshlrev_b32_e32 v14, 20, v14
	v_and_b32_e32 v17, 0x80000000, v17
	v_lshl_add_u32 v6, v6, 23, v20
	v_or3_b32 v17, v17, v6, v14
.LBB609_619:
	s_or_b64 exec, exec, s[8:9]
.LBB609_620:
	s_or_b64 exec, exec, s[2:3]
.LBB609_621:
	s_or_b64 exec, exec, s[0:1]
	v_lshrrev_b16_e32 v6, 8, v7
	v_cmp_ne_u16_e32 vcc, 0, v6
	v_mov_b32_e32 v20, 0
	v_mov_b32_e32 v21, 0
	s_and_saveexec_b64 s[0:1], vcc
	s_cbranch_execz .LBB609_627
; %bb.622:
	s_movk_i32 s2, 0x80
	v_cmp_ne_u16_e32 vcc, s2, v6
	v_bfrev_b32_e32 v21, 1
	s_and_saveexec_b64 s[2:3], vcc
	s_cbranch_execz .LBB609_626
; %bb.623:
	s_movk_i32 s7, 0x7f
	v_and_b32_e32 v14, 0x7f, v6
	v_cmp_ne_u32_e32 vcc, s7, v14
	v_mov_b32_e32 v21, 0x7f800001
	s_and_saveexec_b64 s[8:9], vcc
	s_cbranch_execz .LBB609_625
; %bb.624:
	v_and_b32_e32 v21, 7, v6
	v_ffbh_u32_e32 v24, v21
	v_min_u32_e32 v26, 32, v24
	v_subrev_u32_e32 v24, 28, v26
	v_lshlrev_b64 v[24:25], v24, v[6:7]
	v_lshrrev_b32_e32 v23, 3, v14
	v_sub_u32_e32 v6, 29, v26
	v_and_b32_e32 v24, 7, v24
	v_cmp_gt_u32_e32 vcc, 8, v14
	v_cndmask_b32_e32 v6, v23, v6, vcc
	v_cndmask_b32_e32 v14, v21, v24, vcc
	v_lshlrev_b32_e32 v21, 16, v7
	v_bfrev_b32_e32 v23, 60
	v_lshlrev_b32_e32 v14, 20, v14
	v_and_b32_e32 v21, 0x80000000, v21
	v_lshl_add_u32 v6, v6, 23, v23
	v_or3_b32 v21, v21, v6, v14
.LBB609_625:
	s_or_b64 exec, exec, s[8:9]
.LBB609_626:
	s_or_b64 exec, exec, s[2:3]
.LBB609_627:
	s_or_b64 exec, exec, s[0:1]
	s_movk_i32 s0, 0xff
	v_and_b32_sdwa v14, v7, s0 dst_sel:DWORD dst_unused:UNUSED_PAD src0_sel:WORD_1 src1_sel:DWORD
	v_lshrrev_b32_e32 v6, 16, v7
	v_cmp_ne_u16_e32 vcc, 0, v14
	s_and_saveexec_b64 s[0:1], vcc
	s_cbranch_execz .LBB609_633
; %bb.628:
	s_movk_i32 s2, 0x80
	v_cmp_ne_u16_e32 vcc, s2, v14
	v_bfrev_b32_e32 v20, 1
	s_and_saveexec_b64 s[2:3], vcc
	s_cbranch_execz .LBB609_632
; %bb.629:
	v_bfe_u32 v14, v7, 16, 7
	s_movk_i32 s7, 0x7f
	v_cmp_ne_u32_e32 vcc, s7, v14
	v_mov_b32_e32 v20, 0x7f800001
	s_and_saveexec_b64 s[8:9], vcc
	s_cbranch_execz .LBB609_631
; %bb.630:
	v_and_b32_e32 v20, 7, v6
	v_ffbh_u32_e32 v24, v20
	v_min_u32_e32 v26, 32, v24
	v_subrev_u32_e32 v24, 28, v26
	v_lshlrev_b64 v[24:25], v24, v[6:7]
	v_and_b32_e32 v24, 7, v24
	v_cmp_gt_u32_e32 vcc, 8, v14
	v_lshrrev_b32_e32 v23, 3, v14
	v_sub_u32_e32 v6, 29, v26
	v_cndmask_b32_e32 v14, v20, v24, vcc
	v_mov_b32_e32 v20, 24
	v_cndmask_b32_e32 v6, v23, v6, vcc
	v_lshlrev_b32_sdwa v20, v20, v7 dst_sel:DWORD dst_unused:UNUSED_PAD src0_sel:DWORD src1_sel:WORD_1
	v_bfrev_b32_e32 v23, 60
	v_lshlrev_b32_e32 v14, 20, v14
	v_and_b32_e32 v20, 0x80000000, v20
	v_lshl_add_u32 v6, v6, 23, v23
	v_or3_b32 v20, v20, v6, v14
.LBB609_631:
	s_or_b64 exec, exec, s[8:9]
.LBB609_632:
	s_or_b64 exec, exec, s[2:3]
.LBB609_633:
	s_or_b64 exec, exec, s[0:1]
	s_mov_b32 s0, 0xffffff
	v_cmp_lt_u32_e32 vcc, s0, v7
	v_mov_b32_e32 v14, 0
	v_mov_b32_e32 v23, 0
	s_and_saveexec_b64 s[0:1], vcc
	s_cbranch_execz .LBB609_639
; %bb.634:
	v_lshrrev_b32_e32 v6, 24, v7
	s_movk_i32 s2, 0x80
	v_cmp_ne_u32_e32 vcc, s2, v6
	v_bfrev_b32_e32 v23, 1
	s_and_saveexec_b64 s[2:3], vcc
	s_cbranch_execz .LBB609_638
; %bb.635:
	v_bfe_u32 v7, v7, 24, 7
	s_movk_i32 s7, 0x7f
	v_cmp_ne_u32_e32 vcc, s7, v7
	v_mov_b32_e32 v23, 0x7f800001
	s_and_saveexec_b64 s[8:9], vcc
	s_cbranch_execz .LBB609_637
; %bb.636:
	v_and_b32_e32 v23, 7, v6
	v_ffbh_u32_e32 v24, v23
	v_min_u32_e32 v27, 32, v24
	v_subrev_u32_e32 v24, 28, v27
	v_lshlrev_b64 v[24:25], v24, v[6:7]
	v_lshrrev_b32_e32 v26, 3, v7
	v_sub_u32_e32 v25, 29, v27
	v_and_b32_e32 v24, 7, v24
	v_cmp_gt_u32_e32 vcc, 8, v7
	v_cndmask_b32_e32 v7, v26, v25, vcc
	v_cndmask_b32_e32 v23, v23, v24, vcc
	v_lshlrev_b32_e32 v6, 24, v6
	v_bfrev_b32_e32 v24, 60
	v_lshlrev_b32_e32 v23, 20, v23
	v_and_b32_e32 v6, 0x80000000, v6
	v_lshl_add_u32 v7, v7, 23, v24
	v_or3_b32 v23, v6, v7, v23
.LBB609_637:
	s_or_b64 exec, exec, s[8:9]
.LBB609_638:
	s_or_b64 exec, exec, s[2:3]
.LBB609_639:
	s_or_b64 exec, exec, s[0:1]
	v_cvt_pkrtz_f16_f32 v6, v19, v16
	v_cvt_pkrtz_f16_f32 v7, v15, v18
	ds_read_b128 v[24:27], v22 offset:4096
	v_cmp_ne_u16_sdwa s[2:3], v8, v14 src0_sel:BYTE_0 src1_sel:DWORD
	s_waitcnt lgkmcnt(0)
	v_mfma_f32_16x16x16f16 v[10:13], v[6:7], v[24:25], v[10:13]
	v_cvt_pkrtz_f16_f32 v6, v17, v21
	v_cvt_pkrtz_f16_f32 v7, v20, v23
	s_nop 1
	v_mfma_f32_16x16x16f16 v[10:13], v[6:7], v[26:27], v[10:13]
	s_and_saveexec_b64 s[0:1], s[2:3]
	s_cbranch_execz .LBB609_645
; %bb.640:
	s_movk_i32 s2, 0x80
	v_cmp_ne_u16_sdwa s[8:9], v8, s2 src0_sel:BYTE_0 src1_sel:DWORD
	v_bfrev_b32_e32 v14, 1
	s_and_saveexec_b64 s[2:3], s[8:9]
	s_cbranch_execz .LBB609_644
; %bb.641:
	s_movk_i32 s7, 0x7f
	v_and_b32_e32 v6, 0x7f, v8
	v_cmp_ne_u32_e32 vcc, s7, v6
	v_mov_b32_e32 v14, 0x7f800001
	s_and_saveexec_b64 s[8:9], vcc
	s_cbranch_execz .LBB609_643
; %bb.642:
	v_and_b32_e32 v7, 7, v8
	v_ffbh_u32_e32 v14, v7
	v_min_u32_e32 v17, 32, v14
	v_subrev_u32_e32 v14, 28, v17
	v_lshlrev_b64 v[14:15], v14, v[8:9]
	v_lshrrev_b32_e32 v16, 3, v6
	v_sub_u32_e32 v15, 29, v17
	v_and_b32_e32 v14, 7, v14
	v_cmp_gt_u32_e32 vcc, 8, v6
	v_cndmask_b32_e32 v6, v16, v15, vcc
	v_cndmask_b32_e32 v7, v7, v14, vcc
	v_lshlrev_b32_e32 v14, 24, v8
	v_bfrev_b32_e32 v15, 60
	v_lshlrev_b32_e32 v7, 20, v7
	v_and_b32_e32 v14, 0x80000000, v14
	v_lshl_add_u32 v6, v6, 23, v15
	v_or3_b32 v14, v14, v6, v7
.LBB609_643:
	s_or_b64 exec, exec, s[8:9]
.LBB609_644:
	s_or_b64 exec, exec, s[2:3]
.LBB609_645:
	s_or_b64 exec, exec, s[0:1]
	v_lshrrev_b16_e32 v6, 8, v8
	v_cmp_ne_u16_e32 vcc, 0, v6
	v_mov_b32_e32 v7, 0
	v_mov_b32_e32 v16, 0
	s_and_saveexec_b64 s[0:1], vcc
	s_cbranch_execz .LBB609_651
; %bb.646:
	s_movk_i32 s2, 0x80
	v_cmp_ne_u16_e32 vcc, s2, v6
	v_bfrev_b32_e32 v16, 1
	s_and_saveexec_b64 s[2:3], vcc
	s_cbranch_execz .LBB609_650
; %bb.647:
	s_movk_i32 s7, 0x7f
	v_and_b32_e32 v15, 0x7f, v6
	v_cmp_ne_u32_e32 vcc, s7, v15
	v_mov_b32_e32 v16, 0x7f800001
	s_and_saveexec_b64 s[8:9], vcc
	s_cbranch_execz .LBB609_649
; %bb.648:
	v_and_b32_e32 v18, 7, v6
	v_ffbh_u32_e32 v16, v18
	v_min_u32_e32 v20, 32, v16
	v_subrev_u32_e32 v16, 28, v20
	v_lshlrev_b64 v[16:17], v16, v[6:7]
	v_lshrrev_b32_e32 v19, 3, v15
	v_sub_u32_e32 v6, 29, v20
	v_and_b32_e32 v16, 7, v16
	v_cmp_gt_u32_e32 vcc, 8, v15
	v_cndmask_b32_e32 v6, v19, v6, vcc
	v_cndmask_b32_e32 v15, v18, v16, vcc
	v_lshlrev_b32_e32 v16, 16, v8
	v_bfrev_b32_e32 v17, 60
	v_lshlrev_b32_e32 v15, 20, v15
	v_and_b32_e32 v16, 0x80000000, v16
	v_lshl_add_u32 v6, v6, 23, v17
	v_or3_b32 v16, v16, v6, v15
.LBB609_649:
	s_or_b64 exec, exec, s[8:9]
.LBB609_650:
	s_or_b64 exec, exec, s[2:3]
.LBB609_651:
	s_or_b64 exec, exec, s[0:1]
	s_movk_i32 s0, 0xff
	v_and_b32_sdwa v15, v8, s0 dst_sel:DWORD dst_unused:UNUSED_PAD src0_sel:WORD_1 src1_sel:DWORD
	v_lshrrev_b32_e32 v6, 16, v8
	v_cmp_ne_u16_e32 vcc, 0, v15
	s_and_saveexec_b64 s[0:1], vcc
	s_cbranch_execz .LBB609_657
; %bb.652:
	s_movk_i32 s2, 0x80
	v_cmp_ne_u16_e32 vcc, s2, v15
	v_bfrev_b32_e32 v7, 1
	s_and_saveexec_b64 s[2:3], vcc
	s_cbranch_execz .LBB609_656
; %bb.653:
	v_bfe_u32 v15, v8, 16, 7
	s_movk_i32 s7, 0x7f
	v_cmp_ne_u32_e32 vcc, s7, v15
	v_mov_b32_e32 v7, 0x7f800001
	s_and_saveexec_b64 s[8:9], vcc
	s_cbranch_execz .LBB609_655
; %bb.654:
	v_and_b32_e32 v17, 7, v6
	v_ffbh_u32_e32 v7, v17
	v_min_u32_e32 v19, 32, v7
	v_subrev_u32_e32 v7, 28, v19
	v_lshlrev_b64 v[6:7], v7, v[6:7]
	v_lshrrev_b32_e32 v18, 3, v15
	v_sub_u32_e32 v7, 29, v19
	v_and_b32_e32 v6, 7, v6
	v_cmp_gt_u32_e32 vcc, 8, v15
	v_mov_b32_e32 v15, 24
	v_cndmask_b32_e32 v7, v18, v7, vcc
	v_cndmask_b32_e32 v6, v17, v6, vcc
	v_lshlrev_b32_sdwa v15, v15, v8 dst_sel:DWORD dst_unused:UNUSED_PAD src0_sel:DWORD src1_sel:WORD_1
	v_bfrev_b32_e32 v17, 60
	v_lshlrev_b32_e32 v6, 20, v6
	v_and_b32_e32 v15, 0x80000000, v15
	v_lshl_add_u32 v7, v7, 23, v17
	v_or3_b32 v7, v15, v7, v6
.LBB609_655:
	s_or_b64 exec, exec, s[8:9]
.LBB609_656:
	s_or_b64 exec, exec, s[2:3]
.LBB609_657:
	s_or_b64 exec, exec, s[0:1]
	s_mov_b32 s0, 0xffffff
	v_cmp_lt_u32_e32 vcc, s0, v8
	v_mov_b32_e32 v17, 0
	v_mov_b32_e32 v18, 0
	s_and_saveexec_b64 s[0:1], vcc
	s_cbranch_execz .LBB609_663
; %bb.658:
	v_lshrrev_b32_e32 v6, 24, v8
	s_movk_i32 s2, 0x80
	v_cmp_ne_u32_e32 vcc, s2, v6
	v_bfrev_b32_e32 v18, 1
	s_and_saveexec_b64 s[2:3], vcc
	s_cbranch_execz .LBB609_662
; %bb.659:
	v_bfe_u32 v8, v8, 24, 7
	s_movk_i32 s7, 0x7f
	v_cmp_ne_u32_e32 vcc, s7, v8
	v_mov_b32_e32 v18, 0x7f800001
	s_and_saveexec_b64 s[8:9], vcc
	s_cbranch_execz .LBB609_661
; %bb.660:
	v_and_b32_e32 v15, 7, v6
	v_ffbh_u32_e32 v18, v15
	v_min_u32_e32 v21, 32, v18
	v_subrev_u32_e32 v18, 28, v21
	v_lshlrev_b64 v[18:19], v18, v[6:7]
	v_lshrrev_b32_e32 v20, 3, v8
	v_sub_u32_e32 v19, 29, v21
	v_and_b32_e32 v18, 7, v18
	v_cmp_gt_u32_e32 vcc, 8, v8
	v_cndmask_b32_e32 v8, v20, v19, vcc
	v_cndmask_b32_e32 v15, v15, v18, vcc
	v_lshlrev_b32_e32 v6, 24, v6
	v_bfrev_b32_e32 v18, 60
	v_lshlrev_b32_e32 v15, 20, v15
	v_and_b32_e32 v6, 0x80000000, v6
	v_lshl_add_u32 v8, v8, 23, v18
	v_or3_b32 v18, v6, v8, v15
.LBB609_661:
	s_or_b64 exec, exec, s[8:9]
.LBB609_662:
	s_or_b64 exec, exec, s[2:3]
.LBB609_663:
	s_or_b64 exec, exec, s[0:1]
	v_cmp_ne_u16_sdwa s[2:3], v9, v17 src0_sel:BYTE_0 src1_sel:DWORD
	s_and_saveexec_b64 s[0:1], s[2:3]
	s_cbranch_execz .LBB609_669
; %bb.664:
	s_movk_i32 s2, 0x80
	v_cmp_ne_u16_sdwa s[8:9], v9, s2 src0_sel:BYTE_0 src1_sel:DWORD
	v_bfrev_b32_e32 v17, 1
	s_and_saveexec_b64 s[2:3], s[8:9]
	s_cbranch_execz .LBB609_668
; %bb.665:
	s_movk_i32 s7, 0x7f
	v_and_b32_e32 v6, 0x7f, v9
	v_cmp_ne_u32_e32 vcc, s7, v6
	v_mov_b32_e32 v17, 0x7f800001
	s_and_saveexec_b64 s[8:9], vcc
	s_cbranch_execz .LBB609_667
; %bb.666:
	v_and_b32_e32 v15, 7, v9
	v_ffbh_u32_e32 v19, v15
	v_min_u32_e32 v19, 32, v19
	v_mov_b32_e32 v8, v9
	v_subrev_u32_e32 v20, 28, v19
	v_lshlrev_b64 v[20:21], v20, v[8:9]
	v_lshrrev_b32_e32 v17, 3, v6
	v_sub_u32_e32 v8, 29, v19
	v_and_b32_e32 v19, 7, v20
	v_cmp_gt_u32_e32 vcc, 8, v6
	v_cndmask_b32_e32 v6, v17, v8, vcc
	v_cndmask_b32_e32 v8, v15, v19, vcc
	v_lshlrev_b32_e32 v15, 24, v9
	v_bfrev_b32_e32 v17, 60
	v_lshlrev_b32_e32 v8, 20, v8
	v_and_b32_e32 v15, 0x80000000, v15
	v_lshl_add_u32 v6, v6, 23, v17
	v_or3_b32 v17, v15, v6, v8
.LBB609_667:
	s_or_b64 exec, exec, s[8:9]
.LBB609_668:
	s_or_b64 exec, exec, s[2:3]
.LBB609_669:
	s_or_b64 exec, exec, s[0:1]
	v_lshrrev_b16_e32 v6, 8, v9
	v_cmp_ne_u16_e32 vcc, 0, v6
	v_mov_b32_e32 v8, 0
	v_mov_b32_e32 v19, 0
	s_and_saveexec_b64 s[0:1], vcc
	s_cbranch_execz .LBB609_675
; %bb.670:
	s_movk_i32 s2, 0x80
	v_cmp_ne_u16_e32 vcc, s2, v6
	v_bfrev_b32_e32 v19, 1
	s_and_saveexec_b64 s[2:3], vcc
	s_cbranch_execz .LBB609_674
; %bb.671:
	s_movk_i32 s7, 0x7f
	v_and_b32_e32 v15, 0x7f, v6
	v_cmp_ne_u32_e32 vcc, s7, v15
	v_mov_b32_e32 v19, 0x7f800001
	s_and_saveexec_b64 s[8:9], vcc
	s_cbranch_execz .LBB609_673
; %bb.672:
	v_and_b32_e32 v19, 7, v6
	v_ffbh_u32_e32 v20, v19
	v_min_u32_e32 v24, 32, v20
	v_subrev_u32_e32 v20, 28, v24
	v_lshlrev_b64 v[20:21], v20, v[6:7]
	v_lshrrev_b32_e32 v23, 3, v15
	v_sub_u32_e32 v6, 29, v24
	v_and_b32_e32 v20, 7, v20
	v_cmp_gt_u32_e32 vcc, 8, v15
	v_cndmask_b32_e32 v6, v23, v6, vcc
	v_cndmask_b32_e32 v15, v19, v20, vcc
	v_lshlrev_b32_e32 v19, 16, v9
	v_bfrev_b32_e32 v20, 60
	v_lshlrev_b32_e32 v15, 20, v15
	v_and_b32_e32 v19, 0x80000000, v19
	v_lshl_add_u32 v6, v6, 23, v20
	v_or3_b32 v19, v19, v6, v15
.LBB609_673:
	s_or_b64 exec, exec, s[8:9]
.LBB609_674:
	s_or_b64 exec, exec, s[2:3]
.LBB609_675:
	s_or_b64 exec, exec, s[0:1]
	s_movk_i32 s0, 0xff
	v_and_b32_sdwa v15, v9, s0 dst_sel:DWORD dst_unused:UNUSED_PAD src0_sel:WORD_1 src1_sel:DWORD
	v_lshrrev_b32_e32 v6, 16, v9
	v_cmp_ne_u16_e32 vcc, 0, v15
	s_and_saveexec_b64 s[0:1], vcc
	s_cbranch_execz .LBB609_681
; %bb.676:
	s_movk_i32 s2, 0x80
	v_cmp_ne_u16_e32 vcc, s2, v15
	v_bfrev_b32_e32 v8, 1
	s_and_saveexec_b64 s[2:3], vcc
	s_cbranch_execz .LBB609_680
; %bb.677:
	v_bfe_u32 v15, v9, 16, 7
	s_movk_i32 s7, 0x7f
	v_cmp_ne_u32_e32 vcc, s7, v15
	v_mov_b32_e32 v8, 0x7f800001
	s_and_saveexec_b64 s[8:9], vcc
	s_cbranch_execz .LBB609_679
; %bb.678:
	v_and_b32_e32 v8, 7, v6
	v_ffbh_u32_e32 v20, v8
	v_min_u32_e32 v24, 32, v20
	v_subrev_u32_e32 v20, 28, v24
	v_lshlrev_b64 v[20:21], v20, v[6:7]
	v_lshrrev_b32_e32 v23, 3, v15
	v_sub_u32_e32 v6, 29, v24
	v_and_b32_e32 v20, 7, v20
	v_cmp_gt_u32_e32 vcc, 8, v15
	v_mov_b32_e32 v15, 24
	v_cndmask_b32_e32 v6, v23, v6, vcc
	v_cndmask_b32_e32 v8, v8, v20, vcc
	v_lshlrev_b32_sdwa v15, v15, v9 dst_sel:DWORD dst_unused:UNUSED_PAD src0_sel:DWORD src1_sel:WORD_1
	v_bfrev_b32_e32 v20, 60
	v_lshlrev_b32_e32 v8, 20, v8
	v_and_b32_e32 v15, 0x80000000, v15
	v_lshl_add_u32 v6, v6, 23, v20
	v_or3_b32 v8, v15, v6, v8
.LBB609_679:
	s_or_b64 exec, exec, s[8:9]
.LBB609_680:
	s_or_b64 exec, exec, s[2:3]
.LBB609_681:
	s_or_b64 exec, exec, s[0:1]
	s_mov_b32 s0, 0xffffff
	v_cmp_lt_u32_e32 vcc, s0, v9
	v_mov_b32_e32 v15, 0
	v_mov_b32_e32 v20, 0
	s_and_saveexec_b64 s[0:1], vcc
	s_cbranch_execz .LBB609_687
; %bb.682:
	v_lshrrev_b32_e32 v6, 24, v9
	s_movk_i32 s2, 0x80
	v_cmp_ne_u32_e32 vcc, s2, v6
	v_bfrev_b32_e32 v20, 1
	s_and_saveexec_b64 s[2:3], vcc
	s_cbranch_execz .LBB609_686
; %bb.683:
	v_bfe_u32 v9, v9, 24, 7
	s_movk_i32 s7, 0x7f
	v_cmp_ne_u32_e32 vcc, s7, v9
	v_mov_b32_e32 v20, 0x7f800001
	s_and_saveexec_b64 s[8:9], vcc
	s_cbranch_execz .LBB609_685
; %bb.684:
	v_and_b32_e32 v23, 7, v6
	v_ffbh_u32_e32 v20, v23
	v_min_u32_e32 v25, 32, v20
	v_subrev_u32_e32 v20, 28, v25
	v_lshlrev_b64 v[20:21], v20, v[6:7]
	v_lshrrev_b32_e32 v24, 3, v9
	v_sub_u32_e32 v21, 29, v25
	v_and_b32_e32 v20, 7, v20
	v_cmp_gt_u32_e32 vcc, 8, v9
	v_cndmask_b32_e32 v9, v24, v21, vcc
	v_cndmask_b32_e32 v20, v23, v20, vcc
	v_lshlrev_b32_e32 v6, 24, v6
	v_bfrev_b32_e32 v21, 60
	v_lshlrev_b32_e32 v20, 20, v20
	v_and_b32_e32 v6, 0x80000000, v6
	v_lshl_add_u32 v9, v9, 23, v21
	v_or3_b32 v20, v6, v9, v20
.LBB609_685:
	s_or_b64 exec, exec, s[8:9]
.LBB609_686:
	s_or_b64 exec, exec, s[2:3]
.LBB609_687:
	s_or_b64 exec, exec, s[0:1]
	v_cvt_pkrtz_f16_f32 v6, v14, v16
	v_cvt_pkrtz_f16_f32 v7, v7, v18
	ds_read_b128 v[24:27], v22 offset:4112
	s_waitcnt vmcnt(0)
	v_cmp_ne_u16_sdwa s[2:3], v2, v15 src0_sel:BYTE_0 src1_sel:DWORD
	s_waitcnt lgkmcnt(0)
	v_mfma_f32_16x16x16f16 v[10:13], v[6:7], v[24:25], v[10:13]
	v_cvt_pkrtz_f16_f32 v6, v17, v19
	v_cvt_pkrtz_f16_f32 v7, v8, v20
	s_nop 1
	v_mfma_f32_16x16x16f16 v[6:9], v[6:7], v[26:27], v[10:13]
	s_and_saveexec_b64 s[0:1], s[2:3]
	s_cbranch_execz .LBB609_693
; %bb.688:
	s_movk_i32 s2, 0x80
	v_cmp_ne_u16_sdwa s[8:9], v2, s2 src0_sel:BYTE_0 src1_sel:DWORD
	v_bfrev_b32_e32 v15, 1
	s_and_saveexec_b64 s[2:3], s[8:9]
	s_cbranch_execz .LBB609_692
; %bb.689:
	s_movk_i32 s7, 0x7f
	v_and_b32_e32 v10, 0x7f, v2
	v_cmp_ne_u32_e32 vcc, s7, v10
	v_mov_b32_e32 v15, 0x7f800001
	s_and_saveexec_b64 s[8:9], vcc
	s_cbranch_execz .LBB609_691
; %bb.690:
	v_and_b32_e32 v11, 7, v2
	v_ffbh_u32_e32 v12, v11
	v_min_u32_e32 v15, 32, v12
	v_subrev_u32_e32 v12, 28, v15
	v_lshlrev_b64 v[12:13], v12, v[2:3]
	v_lshrrev_b32_e32 v14, 3, v10
	v_sub_u32_e32 v13, 29, v15
	v_and_b32_e32 v12, 7, v12
	v_cmp_gt_u32_e32 vcc, 8, v10
	v_cndmask_b32_e32 v10, v14, v13, vcc
	v_cndmask_b32_e32 v11, v11, v12, vcc
	v_lshlrev_b32_e32 v12, 24, v2
	v_bfrev_b32_e32 v13, 60
	v_lshlrev_b32_e32 v11, 20, v11
	v_and_b32_e32 v12, 0x80000000, v12
	v_lshl_add_u32 v10, v10, 23, v13
	v_or3_b32 v15, v12, v10, v11
.LBB609_691:
	s_or_b64 exec, exec, s[8:9]
.LBB609_692:
	s_or_b64 exec, exec, s[2:3]
.LBB609_693:
	s_or_b64 exec, exec, s[0:1]
	s_nop 3
	v_lshrrev_b16_e32 v10, 8, v2
	v_cmp_ne_u16_e32 vcc, 0, v10
	v_mov_b32_e32 v11, 0
	v_mov_b32_e32 v12, 0
	s_and_saveexec_b64 s[0:1], vcc
	s_cbranch_execz .LBB609_699
; %bb.694:
	s_movk_i32 s2, 0x80
	v_cmp_ne_u16_e32 vcc, s2, v10
	v_bfrev_b32_e32 v12, 1
	s_and_saveexec_b64 s[2:3], vcc
	s_cbranch_execz .LBB609_698
; %bb.695:
	s_movk_i32 s7, 0x7f
	v_and_b32_e32 v13, 0x7f, v10
	v_cmp_ne_u32_e32 vcc, s7, v13
	v_mov_b32_e32 v12, 0x7f800001
	s_and_saveexec_b64 s[8:9], vcc
	s_cbranch_execz .LBB609_697
; %bb.696:
	v_and_b32_e32 v12, 7, v10
	v_ffbh_u32_e32 v16, v12
	v_min_u32_e32 v18, 32, v16
	v_subrev_u32_e32 v16, 28, v18
	v_lshlrev_b64 v[16:17], v16, v[10:11]
	v_lshrrev_b32_e32 v14, 3, v13
	v_sub_u32_e32 v10, 29, v18
	v_and_b32_e32 v16, 7, v16
	v_cmp_gt_u32_e32 vcc, 8, v13
	v_cndmask_b32_e32 v10, v14, v10, vcc
	v_cndmask_b32_e32 v12, v12, v16, vcc
	v_lshlrev_b32_e32 v13, 16, v2
	v_bfrev_b32_e32 v14, 60
	v_lshlrev_b32_e32 v12, 20, v12
	v_and_b32_e32 v13, 0x80000000, v13
	v_lshl_add_u32 v10, v10, 23, v14
	v_or3_b32 v12, v13, v10, v12
.LBB609_697:
	s_or_b64 exec, exec, s[8:9]
.LBB609_698:
	s_or_b64 exec, exec, s[2:3]
.LBB609_699:
	s_or_b64 exec, exec, s[0:1]
	s_movk_i32 s0, 0xff
	v_and_b32_sdwa v13, v2, s0 dst_sel:DWORD dst_unused:UNUSED_PAD src0_sel:WORD_1 src1_sel:DWORD
	v_lshrrev_b32_e32 v10, 16, v2
	v_cmp_ne_u16_e32 vcc, 0, v13
	s_and_saveexec_b64 s[0:1], vcc
	s_cbranch_execz .LBB609_705
; %bb.700:
	s_movk_i32 s2, 0x80
	v_cmp_ne_u16_e32 vcc, s2, v13
	v_bfrev_b32_e32 v11, 1
	s_and_saveexec_b64 s[2:3], vcc
	s_cbranch_execz .LBB609_704
; %bb.701:
	v_bfe_u32 v13, v2, 16, 7
	s_movk_i32 s7, 0x7f
	v_cmp_ne_u32_e32 vcc, s7, v13
	v_mov_b32_e32 v11, 0x7f800001
	s_and_saveexec_b64 s[8:9], vcc
	s_cbranch_execz .LBB609_703
; %bb.702:
	v_and_b32_e32 v14, 7, v10
	v_ffbh_u32_e32 v11, v14
	v_min_u32_e32 v17, 32, v11
	v_subrev_u32_e32 v11, 28, v17
	v_lshlrev_b64 v[10:11], v11, v[10:11]
	v_lshrrev_b32_e32 v16, 3, v13
	v_sub_u32_e32 v11, 29, v17
	v_and_b32_e32 v10, 7, v10
	v_cmp_gt_u32_e32 vcc, 8, v13
	v_mov_b32_e32 v13, 24
	v_cndmask_b32_e32 v11, v16, v11, vcc
	v_cndmask_b32_e32 v10, v14, v10, vcc
	v_lshlrev_b32_sdwa v13, v13, v2 dst_sel:DWORD dst_unused:UNUSED_PAD src0_sel:DWORD src1_sel:WORD_1
	v_bfrev_b32_e32 v14, 60
	v_lshlrev_b32_e32 v10, 20, v10
	v_and_b32_e32 v13, 0x80000000, v13
	v_lshl_add_u32 v11, v11, 23, v14
	v_or3_b32 v11, v13, v11, v10
.LBB609_703:
	s_or_b64 exec, exec, s[8:9]
.LBB609_704:
	s_or_b64 exec, exec, s[2:3]
.LBB609_705:
	s_or_b64 exec, exec, s[0:1]
	s_mov_b32 s0, 0xffffff
	v_cmp_lt_u32_e32 vcc, s0, v2
	v_mov_b32_e32 v13, 0
	v_mov_b32_e32 v14, 0
	s_and_saveexec_b64 s[0:1], vcc
	s_cbranch_execz .LBB609_711
; %bb.706:
	v_lshrrev_b32_e32 v10, 24, v2
	s_movk_i32 s2, 0x80
	v_cmp_ne_u32_e32 vcc, s2, v10
	v_bfrev_b32_e32 v14, 1
	s_and_saveexec_b64 s[2:3], vcc
	s_cbranch_execz .LBB609_710
; %bb.707:
	v_bfe_u32 v2, v2, 24, 7
	s_movk_i32 s7, 0x7f
	v_cmp_ne_u32_e32 vcc, s7, v2
	v_mov_b32_e32 v14, 0x7f800001
	s_and_saveexec_b64 s[8:9], vcc
	s_cbranch_execz .LBB609_709
; %bb.708:
	v_and_b32_e32 v14, 7, v10
	v_ffbh_u32_e32 v16, v14
	v_min_u32_e32 v19, 32, v16
	v_subrev_u32_e32 v16, 28, v19
	v_lshlrev_b64 v[16:17], v16, v[10:11]
	v_lshrrev_b32_e32 v18, 3, v2
	v_sub_u32_e32 v17, 29, v19
	v_and_b32_e32 v16, 7, v16
	v_cmp_gt_u32_e32 vcc, 8, v2
	v_cndmask_b32_e32 v2, v18, v17, vcc
	v_cndmask_b32_e32 v14, v14, v16, vcc
	v_lshlrev_b32_e32 v10, 24, v10
	v_bfrev_b32_e32 v16, 60
	v_lshlrev_b32_e32 v14, 20, v14
	v_and_b32_e32 v10, 0x80000000, v10
	v_lshl_add_u32 v2, v2, 23, v16
	v_or3_b32 v14, v10, v2, v14
.LBB609_709:
	s_or_b64 exec, exec, s[8:9]
.LBB609_710:
	s_or_b64 exec, exec, s[2:3]
.LBB609_711:
	s_or_b64 exec, exec, s[0:1]
	v_cmp_ne_u16_sdwa s[2:3], v3, v13 src0_sel:BYTE_0 src1_sel:DWORD
	s_and_saveexec_b64 s[0:1], s[2:3]
	s_cbranch_execz .LBB609_717
; %bb.712:
	s_movk_i32 s2, 0x80
	v_cmp_ne_u16_sdwa s[8:9], v3, s2 src0_sel:BYTE_0 src1_sel:DWORD
	v_bfrev_b32_e32 v13, 1
	s_and_saveexec_b64 s[2:3], s[8:9]
	s_cbranch_execz .LBB609_716
; %bb.713:
	s_movk_i32 s7, 0x7f
	v_and_b32_e32 v2, 0x7f, v3
	v_cmp_ne_u32_e32 vcc, s7, v2
	v_mov_b32_e32 v13, 0x7f800001
	s_and_saveexec_b64 s[8:9], vcc
	s_cbranch_execz .LBB609_715
; %bb.714:
	v_and_b32_e32 v13, 7, v3
	v_ffbh_u32_e32 v16, v13
	v_min_u32_e32 v19, 32, v16
	v_mov_b32_e32 v10, v3
	v_subrev_u32_e32 v16, 28, v19
	v_lshlrev_b64 v[16:17], v16, v[10:11]
	v_lshrrev_b32_e32 v18, 3, v2
	v_sub_u32_e32 v10, 29, v19
	v_and_b32_e32 v16, 7, v16
	v_cmp_gt_u32_e32 vcc, 8, v2
	v_cndmask_b32_e32 v2, v18, v10, vcc
	v_cndmask_b32_e32 v10, v13, v16, vcc
	v_lshlrev_b32_e32 v13, 24, v3
	v_bfrev_b32_e32 v16, 60
	v_lshlrev_b32_e32 v10, 20, v10
	v_and_b32_e32 v13, 0x80000000, v13
	v_lshl_add_u32 v2, v2, 23, v16
	v_or3_b32 v13, v13, v2, v10
.LBB609_715:
	s_or_b64 exec, exec, s[8:9]
.LBB609_716:
	s_or_b64 exec, exec, s[2:3]
.LBB609_717:
	s_or_b64 exec, exec, s[0:1]
	v_lshrrev_b16_e32 v2, 8, v3
	v_cmp_ne_u16_e32 vcc, 0, v2
	v_mov_b32_e32 v16, 0
	v_mov_b32_e32 v17, 0
	s_and_saveexec_b64 s[0:1], vcc
	s_cbranch_execz .LBB609_723
; %bb.718:
	s_movk_i32 s2, 0x80
	v_cmp_ne_u16_e32 vcc, s2, v2
	v_bfrev_b32_e32 v17, 1
	s_and_saveexec_b64 s[2:3], vcc
	s_cbranch_execz .LBB609_722
; %bb.719:
	s_movk_i32 s7, 0x7f
	v_and_b32_e32 v10, 0x7f, v2
	v_cmp_ne_u32_e32 vcc, s7, v10
	v_mov_b32_e32 v17, 0x7f800001
	s_and_saveexec_b64 s[8:9], vcc
	s_cbranch_execz .LBB609_721
; %bb.720:
	v_and_b32_e32 v17, 7, v2
	v_ffbh_u32_e32 v18, v17
	v_min_u32_e32 v21, 32, v18
	v_subrev_u32_e32 v18, 28, v21
	v_lshlrev_b64 v[18:19], v18, v[2:3]
	v_lshrrev_b32_e32 v20, 3, v10
	v_sub_u32_e32 v2, 29, v21
	v_and_b32_e32 v18, 7, v18
	v_cmp_gt_u32_e32 vcc, 8, v10
	v_cndmask_b32_e32 v2, v20, v2, vcc
	v_cndmask_b32_e32 v10, v17, v18, vcc
	v_lshlrev_b32_e32 v17, 16, v3
	v_bfrev_b32_e32 v18, 60
	v_lshlrev_b32_e32 v10, 20, v10
	v_and_b32_e32 v17, 0x80000000, v17
	v_lshl_add_u32 v2, v2, 23, v18
	v_or3_b32 v17, v17, v2, v10
.LBB609_721:
	s_or_b64 exec, exec, s[8:9]
.LBB609_722:
	s_or_b64 exec, exec, s[2:3]
.LBB609_723:
	s_or_b64 exec, exec, s[0:1]
	s_movk_i32 s0, 0xff
	v_and_b32_sdwa v10, v3, s0 dst_sel:DWORD dst_unused:UNUSED_PAD src0_sel:WORD_1 src1_sel:DWORD
	v_lshrrev_b32_e32 v2, 16, v3
	v_cmp_ne_u16_e32 vcc, 0, v10
	s_and_saveexec_b64 s[0:1], vcc
	s_cbranch_execz .LBB609_729
; %bb.724:
	s_movk_i32 s2, 0x80
	v_cmp_ne_u16_e32 vcc, s2, v10
	v_bfrev_b32_e32 v16, 1
	s_and_saveexec_b64 s[2:3], vcc
	s_cbranch_execz .LBB609_728
; %bb.725:
	v_bfe_u32 v10, v3, 16, 7
	s_movk_i32 s7, 0x7f
	v_cmp_ne_u32_e32 vcc, s7, v10
	v_mov_b32_e32 v16, 0x7f800001
	s_and_saveexec_b64 s[8:9], vcc
	s_cbranch_execz .LBB609_727
; %bb.726:
	v_and_b32_e32 v16, 7, v2
	v_ffbh_u32_e32 v18, v16
	v_min_u32_e32 v21, 32, v18
	v_subrev_u32_e32 v18, 28, v21
	v_lshlrev_b64 v[18:19], v18, v[2:3]
	v_and_b32_e32 v18, 7, v18
	v_cmp_gt_u32_e32 vcc, 8, v10
	v_lshrrev_b32_e32 v20, 3, v10
	v_sub_u32_e32 v2, 29, v21
	v_cndmask_b32_e32 v10, v16, v18, vcc
	v_mov_b32_e32 v16, 24
	v_cndmask_b32_e32 v2, v20, v2, vcc
	v_lshlrev_b32_sdwa v16, v16, v3 dst_sel:DWORD dst_unused:UNUSED_PAD src0_sel:DWORD src1_sel:WORD_1
	v_bfrev_b32_e32 v18, 60
	v_lshlrev_b32_e32 v10, 20, v10
	v_and_b32_e32 v16, 0x80000000, v16
	v_lshl_add_u32 v2, v2, 23, v18
	v_or3_b32 v16, v16, v2, v10
.LBB609_727:
	s_or_b64 exec, exec, s[8:9]
.LBB609_728:
	s_or_b64 exec, exec, s[2:3]
.LBB609_729:
	s_or_b64 exec, exec, s[0:1]
	s_mov_b32 s0, 0xffffff
	v_cmp_lt_u32_e32 vcc, s0, v3
	v_mov_b32_e32 v10, 0
	v_mov_b32_e32 v18, 0
	s_and_saveexec_b64 s[0:1], vcc
	s_cbranch_execz .LBB609_735
; %bb.730:
	v_lshrrev_b32_e32 v2, 24, v3
	s_movk_i32 s2, 0x80
	v_cmp_ne_u32_e32 vcc, s2, v2
	v_bfrev_b32_e32 v18, 1
	s_and_saveexec_b64 s[2:3], vcc
	s_cbranch_execz .LBB609_734
; %bb.731:
	v_bfe_u32 v3, v3, 24, 7
	s_movk_i32 s7, 0x7f
	v_cmp_ne_u32_e32 vcc, s7, v3
	v_mov_b32_e32 v18, 0x7f800001
	s_and_saveexec_b64 s[8:9], vcc
	s_cbranch_execz .LBB609_733
; %bb.732:
	v_and_b32_e32 v20, 7, v2
	v_ffbh_u32_e32 v18, v20
	v_min_u32_e32 v23, 32, v18
	v_subrev_u32_e32 v18, 28, v23
	v_lshlrev_b64 v[18:19], v18, v[2:3]
	v_lshrrev_b32_e32 v21, 3, v3
	v_sub_u32_e32 v19, 29, v23
	v_and_b32_e32 v18, 7, v18
	v_cmp_gt_u32_e32 vcc, 8, v3
	v_cndmask_b32_e32 v3, v21, v19, vcc
	v_cndmask_b32_e32 v18, v20, v18, vcc
	v_lshlrev_b32_e32 v2, 24, v2
	v_bfrev_b32_e32 v19, 60
	v_lshlrev_b32_e32 v18, 20, v18
	v_and_b32_e32 v2, 0x80000000, v2
	v_lshl_add_u32 v3, v3, 23, v19
	v_or3_b32 v18, v2, v3, v18
.LBB609_733:
	s_or_b64 exec, exec, s[8:9]
.LBB609_734:
	s_or_b64 exec, exec, s[2:3]
.LBB609_735:
	s_or_b64 exec, exec, s[0:1]
	v_cvt_pkrtz_f16_f32 v2, v15, v12
	v_cvt_pkrtz_f16_f32 v3, v11, v14
	ds_read_b128 v[24:27], v22 offset:6144
	v_cmp_ne_u16_sdwa s[2:3], v4, v10 src0_sel:BYTE_0 src1_sel:DWORD
	s_waitcnt lgkmcnt(0)
	v_mfma_f32_16x16x16f16 v[6:9], v[2:3], v[24:25], v[6:9]
	v_cvt_pkrtz_f16_f32 v2, v13, v17
	v_cvt_pkrtz_f16_f32 v3, v16, v18
	s_nop 1
	v_mfma_f32_16x16x16f16 v[6:9], v[2:3], v[26:27], v[6:9]
	s_and_saveexec_b64 s[0:1], s[2:3]
	s_cbranch_execz .LBB609_741
; %bb.736:
	s_movk_i32 s2, 0x80
	v_cmp_ne_u16_sdwa s[8:9], v4, s2 src0_sel:BYTE_0 src1_sel:DWORD
	v_bfrev_b32_e32 v10, 1
	s_and_saveexec_b64 s[2:3], s[8:9]
	s_cbranch_execz .LBB609_740
; %bb.737:
	s_movk_i32 s7, 0x7f
	v_and_b32_e32 v2, 0x7f, v4
	v_cmp_ne_u32_e32 vcc, s7, v2
	v_mov_b32_e32 v10, 0x7f800001
	s_and_saveexec_b64 s[8:9], vcc
	s_cbranch_execz .LBB609_739
; %bb.738:
	v_and_b32_e32 v3, 7, v4
	v_ffbh_u32_e32 v10, v3
	v_min_u32_e32 v13, 32, v10
	v_subrev_u32_e32 v10, 28, v13
	v_lshlrev_b64 v[10:11], v10, v[4:5]
	v_lshrrev_b32_e32 v12, 3, v2
	v_sub_u32_e32 v11, 29, v13
	v_and_b32_e32 v10, 7, v10
	v_cmp_gt_u32_e32 vcc, 8, v2
	v_cndmask_b32_e32 v2, v12, v11, vcc
	v_cndmask_b32_e32 v3, v3, v10, vcc
	v_lshlrev_b32_e32 v10, 24, v4
	v_bfrev_b32_e32 v11, 60
	v_lshlrev_b32_e32 v3, 20, v3
	v_and_b32_e32 v10, 0x80000000, v10
	v_lshl_add_u32 v2, v2, 23, v11
	v_or3_b32 v10, v10, v2, v3
.LBB609_739:
	s_or_b64 exec, exec, s[8:9]
.LBB609_740:
	s_or_b64 exec, exec, s[2:3]
.LBB609_741:
	s_or_b64 exec, exec, s[0:1]
	v_lshrrev_b16_e32 v2, 8, v4
	v_cmp_ne_u16_e32 vcc, 0, v2
	v_mov_b32_e32 v3, 0
	v_mov_b32_e32 v11, 0
	s_and_saveexec_b64 s[0:1], vcc
	s_cbranch_execz .LBB609_747
; %bb.742:
	s_movk_i32 s2, 0x80
	v_cmp_ne_u16_e32 vcc, s2, v2
	v_bfrev_b32_e32 v11, 1
	s_and_saveexec_b64 s[2:3], vcc
	s_cbranch_execz .LBB609_746
; %bb.743:
	s_movk_i32 s7, 0x7f
	v_and_b32_e32 v12, 0x7f, v2
	v_cmp_ne_u32_e32 vcc, s7, v12
	v_mov_b32_e32 v11, 0x7f800001
	s_and_saveexec_b64 s[8:9], vcc
	s_cbranch_execz .LBB609_745
; %bb.744:
	v_and_b32_e32 v11, 7, v2
	v_ffbh_u32_e32 v14, v11
	v_min_u32_e32 v16, 32, v14
	v_subrev_u32_e32 v14, 28, v16
	v_lshlrev_b64 v[14:15], v14, v[2:3]
	v_lshrrev_b32_e32 v13, 3, v12
	v_sub_u32_e32 v2, 29, v16
	v_and_b32_e32 v14, 7, v14
	v_cmp_gt_u32_e32 vcc, 8, v12
	v_cndmask_b32_e32 v2, v13, v2, vcc
	v_cndmask_b32_e32 v11, v11, v14, vcc
	v_lshlrev_b32_e32 v12, 16, v4
	v_bfrev_b32_e32 v13, 60
	v_lshlrev_b32_e32 v11, 20, v11
	v_and_b32_e32 v12, 0x80000000, v12
	v_lshl_add_u32 v2, v2, 23, v13
	v_or3_b32 v11, v12, v2, v11
.LBB609_745:
	s_or_b64 exec, exec, s[8:9]
.LBB609_746:
	s_or_b64 exec, exec, s[2:3]
.LBB609_747:
	s_or_b64 exec, exec, s[0:1]
	s_movk_i32 s0, 0xff
	v_and_b32_sdwa v12, v4, s0 dst_sel:DWORD dst_unused:UNUSED_PAD src0_sel:WORD_1 src1_sel:DWORD
	v_lshrrev_b32_e32 v2, 16, v4
	v_cmp_ne_u16_e32 vcc, 0, v12
	s_and_saveexec_b64 s[0:1], vcc
	s_cbranch_execz .LBB609_753
; %bb.748:
	s_movk_i32 s2, 0x80
	v_cmp_ne_u16_e32 vcc, s2, v12
	v_bfrev_b32_e32 v3, 1
	s_and_saveexec_b64 s[2:3], vcc
	s_cbranch_execz .LBB609_752
; %bb.749:
	v_bfe_u32 v12, v4, 16, 7
	s_movk_i32 s7, 0x7f
	v_cmp_ne_u32_e32 vcc, s7, v12
	v_mov_b32_e32 v3, 0x7f800001
	s_and_saveexec_b64 s[8:9], vcc
	s_cbranch_execz .LBB609_751
; %bb.750:
	v_and_b32_e32 v13, 7, v2
	v_ffbh_u32_e32 v3, v13
	v_min_u32_e32 v15, 32, v3
	v_subrev_u32_e32 v3, 28, v15
	v_lshlrev_b64 v[2:3], v3, v[2:3]
	v_lshrrev_b32_e32 v14, 3, v12
	v_sub_u32_e32 v3, 29, v15
	v_and_b32_e32 v2, 7, v2
	v_cmp_gt_u32_e32 vcc, 8, v12
	v_mov_b32_e32 v12, 24
	v_cndmask_b32_e32 v3, v14, v3, vcc
	v_cndmask_b32_e32 v2, v13, v2, vcc
	v_lshlrev_b32_sdwa v12, v12, v4 dst_sel:DWORD dst_unused:UNUSED_PAD src0_sel:DWORD src1_sel:WORD_1
	v_bfrev_b32_e32 v13, 60
	v_lshlrev_b32_e32 v2, 20, v2
	v_and_b32_e32 v12, 0x80000000, v12
	v_lshl_add_u32 v3, v3, 23, v13
	v_or3_b32 v3, v12, v3, v2
.LBB609_751:
	s_or_b64 exec, exec, s[8:9]
.LBB609_752:
	s_or_b64 exec, exec, s[2:3]
.LBB609_753:
	s_or_b64 exec, exec, s[0:1]
	s_mov_b32 s0, 0xffffff
	v_cmp_lt_u32_e32 vcc, s0, v4
	v_mov_b32_e32 v12, 0
	v_mov_b32_e32 v13, 0
	s_and_saveexec_b64 s[0:1], vcc
	s_cbranch_execz .LBB609_759
; %bb.754:
	v_lshrrev_b32_e32 v2, 24, v4
	s_movk_i32 s2, 0x80
	v_cmp_ne_u32_e32 vcc, s2, v2
	v_bfrev_b32_e32 v13, 1
	s_and_saveexec_b64 s[2:3], vcc
	s_cbranch_execz .LBB609_758
; %bb.755:
	v_bfe_u32 v4, v4, 24, 7
	s_movk_i32 s7, 0x7f
	v_cmp_ne_u32_e32 vcc, s7, v4
	v_mov_b32_e32 v13, 0x7f800001
	s_and_saveexec_b64 s[8:9], vcc
	s_cbranch_execz .LBB609_757
; %bb.756:
	v_and_b32_e32 v13, 7, v2
	v_ffbh_u32_e32 v14, v13
	v_min_u32_e32 v17, 32, v14
	v_subrev_u32_e32 v14, 28, v17
	v_lshlrev_b64 v[14:15], v14, v[2:3]
	v_lshrrev_b32_e32 v16, 3, v4
	v_sub_u32_e32 v15, 29, v17
	v_and_b32_e32 v14, 7, v14
	v_cmp_gt_u32_e32 vcc, 8, v4
	v_cndmask_b32_e32 v4, v16, v15, vcc
	v_cndmask_b32_e32 v13, v13, v14, vcc
	v_lshlrev_b32_e32 v2, 24, v2
	v_bfrev_b32_e32 v14, 60
	v_lshlrev_b32_e32 v13, 20, v13
	v_and_b32_e32 v2, 0x80000000, v2
	v_lshl_add_u32 v4, v4, 23, v14
	v_or3_b32 v13, v2, v4, v13
.LBB609_757:
	s_or_b64 exec, exec, s[8:9]
.LBB609_758:
	s_or_b64 exec, exec, s[2:3]
.LBB609_759:
	s_or_b64 exec, exec, s[0:1]
	v_cmp_ne_u16_sdwa s[2:3], v5, v12 src0_sel:BYTE_0 src1_sel:DWORD
	s_and_saveexec_b64 s[0:1], s[2:3]
	s_cbranch_execz .LBB609_765
; %bb.760:
	s_movk_i32 s2, 0x80
	v_cmp_ne_u16_sdwa s[8:9], v5, s2 src0_sel:BYTE_0 src1_sel:DWORD
	v_bfrev_b32_e32 v12, 1
	s_and_saveexec_b64 s[2:3], s[8:9]
	s_cbranch_execz .LBB609_764
; %bb.761:
	s_movk_i32 s7, 0x7f
	v_and_b32_e32 v2, 0x7f, v5
	v_cmp_ne_u32_e32 vcc, s7, v2
	v_mov_b32_e32 v12, 0x7f800001
	s_and_saveexec_b64 s[8:9], vcc
	s_cbranch_execz .LBB609_763
; %bb.762:
	v_and_b32_e32 v12, 7, v5
	v_ffbh_u32_e32 v14, v12
	v_min_u32_e32 v17, 32, v14
	v_mov_b32_e32 v4, v5
	v_subrev_u32_e32 v14, 28, v17
	v_lshlrev_b64 v[14:15], v14, v[4:5]
	v_lshrrev_b32_e32 v16, 3, v2
	v_sub_u32_e32 v4, 29, v17
	v_and_b32_e32 v14, 7, v14
	v_cmp_gt_u32_e32 vcc, 8, v2
	v_cndmask_b32_e32 v2, v16, v4, vcc
	v_cndmask_b32_e32 v4, v12, v14, vcc
	v_lshlrev_b32_e32 v12, 24, v5
	v_bfrev_b32_e32 v14, 60
	v_lshlrev_b32_e32 v4, 20, v4
	v_and_b32_e32 v12, 0x80000000, v12
	v_lshl_add_u32 v2, v2, 23, v14
	v_or3_b32 v12, v12, v2, v4
.LBB609_763:
	s_or_b64 exec, exec, s[8:9]
.LBB609_764:
	s_or_b64 exec, exec, s[2:3]
.LBB609_765:
	s_or_b64 exec, exec, s[0:1]
	v_lshrrev_b16_e32 v2, 8, v5
	v_cmp_ne_u16_e32 vcc, 0, v2
	v_mov_b32_e32 v4, 0
	v_mov_b32_e32 v14, 0
	s_and_saveexec_b64 s[0:1], vcc
	s_cbranch_execz .LBB609_771
; %bb.766:
	s_movk_i32 s2, 0x80
	v_cmp_ne_u16_e32 vcc, s2, v2
	v_bfrev_b32_e32 v14, 1
	s_and_saveexec_b64 s[2:3], vcc
	s_cbranch_execz .LBB609_770
; %bb.767:
	s_movk_i32 s7, 0x7f
	v_and_b32_e32 v15, 0x7f, v2
	v_cmp_ne_u32_e32 vcc, s7, v15
	v_mov_b32_e32 v14, 0x7f800001
	s_and_saveexec_b64 s[8:9], vcc
	s_cbranch_execz .LBB609_769
; %bb.768:
	v_and_b32_e32 v14, 7, v2
	v_ffbh_u32_e32 v16, v14
	v_min_u32_e32 v19, 32, v16
	v_subrev_u32_e32 v16, 28, v19
	v_lshlrev_b64 v[16:17], v16, v[2:3]
	v_lshrrev_b32_e32 v18, 3, v15
	v_sub_u32_e32 v2, 29, v19
	v_and_b32_e32 v16, 7, v16
	v_cmp_gt_u32_e32 vcc, 8, v15
	v_cndmask_b32_e32 v2, v18, v2, vcc
	v_cndmask_b32_e32 v14, v14, v16, vcc
	v_lshlrev_b32_e32 v15, 16, v5
	v_bfrev_b32_e32 v16, 60
	v_lshlrev_b32_e32 v14, 20, v14
	v_and_b32_e32 v15, 0x80000000, v15
	v_lshl_add_u32 v2, v2, 23, v16
	v_or3_b32 v14, v15, v2, v14
.LBB609_769:
	s_or_b64 exec, exec, s[8:9]
.LBB609_770:
	s_or_b64 exec, exec, s[2:3]
.LBB609_771:
	s_or_b64 exec, exec, s[0:1]
	s_movk_i32 s0, 0xff
	v_and_b32_sdwa v15, v5, s0 dst_sel:DWORD dst_unused:UNUSED_PAD src0_sel:WORD_1 src1_sel:DWORD
	v_lshrrev_b32_e32 v2, 16, v5
	v_cmp_ne_u16_e32 vcc, 0, v15
	s_and_saveexec_b64 s[0:1], vcc
	s_cbranch_execz .LBB609_777
; %bb.772:
	s_movk_i32 s2, 0x80
	v_cmp_ne_u16_e32 vcc, s2, v15
	v_bfrev_b32_e32 v4, 1
	s_and_saveexec_b64 s[2:3], vcc
	s_cbranch_execz .LBB609_776
; %bb.773:
	v_bfe_u32 v15, v5, 16, 7
	s_movk_i32 s7, 0x7f
	v_cmp_ne_u32_e32 vcc, s7, v15
	v_mov_b32_e32 v4, 0x7f800001
	s_and_saveexec_b64 s[8:9], vcc
	s_cbranch_execz .LBB609_775
; %bb.774:
	v_and_b32_e32 v4, 7, v2
	v_ffbh_u32_e32 v16, v4
	v_min_u32_e32 v19, 32, v16
	v_subrev_u32_e32 v16, 28, v19
	v_lshlrev_b64 v[16:17], v16, v[2:3]
	v_lshrrev_b32_e32 v18, 3, v15
	v_sub_u32_e32 v2, 29, v19
	v_and_b32_e32 v16, 7, v16
	v_cmp_gt_u32_e32 vcc, 8, v15
	v_mov_b32_e32 v15, 24
	v_cndmask_b32_e32 v2, v18, v2, vcc
	v_cndmask_b32_e32 v4, v4, v16, vcc
	v_lshlrev_b32_sdwa v15, v15, v5 dst_sel:DWORD dst_unused:UNUSED_PAD src0_sel:DWORD src1_sel:WORD_1
	v_bfrev_b32_e32 v16, 60
	v_lshlrev_b32_e32 v4, 20, v4
	v_and_b32_e32 v15, 0x80000000, v15
	v_lshl_add_u32 v2, v2, 23, v16
	v_or3_b32 v4, v15, v2, v4
.LBB609_775:
	s_or_b64 exec, exec, s[8:9]
.LBB609_776:
	s_or_b64 exec, exec, s[2:3]
.LBB609_777:
	s_or_b64 exec, exec, s[0:1]
	s_mov_b32 s0, 0xffffff
	v_cmp_lt_u32_e32 vcc, s0, v5
	v_mov_b32_e32 v15, 0
	s_and_saveexec_b64 s[0:1], vcc
	s_cbranch_execz .LBB609_783
; %bb.778:
	v_lshrrev_b32_e32 v2, 24, v5
	s_movk_i32 s2, 0x80
	v_cmp_ne_u32_e32 vcc, s2, v2
	v_bfrev_b32_e32 v15, 1
	s_and_saveexec_b64 s[2:3], vcc
	s_cbranch_execz .LBB609_782
; %bb.779:
	v_bfe_u32 v5, v5, 24, 7
	s_movk_i32 s7, 0x7f
	v_cmp_ne_u32_e32 vcc, s7, v5
	v_mov_b32_e32 v15, 0x7f800001
	s_and_saveexec_b64 s[8:9], vcc
	s_cbranch_execz .LBB609_781
; %bb.780:
	v_and_b32_e32 v15, 7, v2
	v_ffbh_u32_e32 v16, v15
	v_min_u32_e32 v19, 32, v16
	v_subrev_u32_e32 v16, 28, v19
	v_lshlrev_b64 v[16:17], v16, v[2:3]
	v_lshrrev_b32_e32 v18, 3, v5
	v_sub_u32_e32 v17, 29, v19
	v_and_b32_e32 v16, 7, v16
	v_cmp_gt_u32_e32 vcc, 8, v5
	v_cndmask_b32_e32 v5, v18, v17, vcc
	v_cndmask_b32_e32 v15, v15, v16, vcc
	v_lshlrev_b32_e32 v2, 24, v2
	v_bfrev_b32_e32 v16, 60
	v_lshlrev_b32_e32 v15, 20, v15
	v_and_b32_e32 v2, 0x80000000, v2
	v_lshl_add_u32 v5, v5, 23, v16
	v_or3_b32 v15, v2, v5, v15
.LBB609_781:
	s_or_b64 exec, exec, s[8:9]
.LBB609_782:
	s_or_b64 exec, exec, s[2:3]
.LBB609_783:
	s_or_b64 exec, exec, s[0:1]
	v_cvt_pkrtz_f16_f32 v2, v10, v11
	v_cvt_pkrtz_f16_f32 v3, v3, v13
	ds_read_b128 v[16:19], v22 offset:6160
	s_load_dword s0, s[42:43], 0x0
	s_waitcnt lgkmcnt(0)
	v_mfma_f32_16x16x16f16 v[6:9], v[2:3], v[16:17], v[6:9]
	v_cvt_pkrtz_f16_f32 v2, v12, v14
	v_cvt_pkrtz_f16_f32 v3, v4, v15
	s_barrier
	s_nop 0
	v_mfma_f32_16x16x16f16 v[2:5], v[2:3], v[18:19], v[6:9]
	s_nop 7
	s_nop 2
	v_pk_mul_f32 v[4:5], v[4:5], s[0:1] op_sel_hi:[1,0]
	v_pk_mul_f32 v[2:3], v[2:3], s[0:1] op_sel_hi:[1,0]
	v_cvt_f16_f32_e32 v2, v2
	v_cvt_f16_f32_e32 v3, v3
	;; [unrolled: 1-line block ×4, first 2 shown]
	v_pack_b32_f16 v2, v2, v3
	v_pack_b32_f16 v3, v4, v5
	ds_write_b64 v28, v[2:3]
	s_waitcnt lgkmcnt(0)
	s_barrier
	s_and_saveexec_b64 s[0:1], s[44:45]
	s_cbranch_execz .LBB609_785
; %bb.784:
	s_load_dwordx2 s[0:1], s[4:5], 0x68
	s_lshl_b32 s4, s46, 6
	s_mul_i32 s2, s10, s6
	s_mul_hi_u32 s3, s2, s4
	s_mul_i32 s2, s2, s4
	s_lshl_b64 s[2:3], s[2:3], 1
	s_waitcnt lgkmcnt(0)
	s_add_u32 s2, s0, s2
	s_addc_u32 s3, s1, s3
	s_lshl_b32 s0, s22, 6
	s_mov_b32 s1, 0
	v_lshlrev_b32_e32 v0, 10, v0
	s_lshl_b64 s[0:1], s[0:1], 1
	v_and_b32_e32 v0, 0x1800, v0
	v_and_b32_e32 v2, 16, v48
	s_add_u32 s2, s2, s0
	v_or3_b32 v0, v0, v47, v2
	s_addc_u32 s3, s3, s1
	v_mad_u64_u32 v[6:7], s[0:1], s4, v46, 0
	ds_read_b128 v[2:5], v0
	v_lshlrev_b64 v[6:7], 1, v[6:7]
	v_mov_b32_e32 v0, s3
	v_add_co_u32_e32 v6, vcc, s2, v6
	v_addc_co_u32_e32 v7, vcc, v0, v7, vcc
	v_add_co_u32_e32 v0, vcc, v6, v1
	v_addc_co_u32_e32 v1, vcc, 0, v7, vcc
	s_waitcnt lgkmcnt(0)
	global_store_dwordx4 v[0:1], v[2:5], off
.LBB609_785:
	s_endpgm
	.section	.rodata,"a",@progbits
	.p2align	6, 0x0
	.amdhsa_kernel _Z39paged_attention_ll4mi_QKV_mfma16_kernelIDF16_hLN4vllm18Fp8KVCacheDataTypeE1EDF16_Li32ELi64ELi256ELb0ELi4EL8MFMAType0EEvPKT_PKT0_S8_ifPKiSA_SA_iPKfiiiPfSD_PS3_PT2_iSC_SC_
		.amdhsa_group_segment_fixed_size 8192
		.amdhsa_private_segment_fixed_size 0
		.amdhsa_kernarg_size 400
		.amdhsa_user_sgpr_count 6
		.amdhsa_user_sgpr_private_segment_buffer 1
		.amdhsa_user_sgpr_dispatch_ptr 0
		.amdhsa_user_sgpr_queue_ptr 0
		.amdhsa_user_sgpr_kernarg_segment_ptr 1
		.amdhsa_user_sgpr_dispatch_id 0
		.amdhsa_user_sgpr_flat_scratch_init 0
		.amdhsa_user_sgpr_kernarg_preload_length 0
		.amdhsa_user_sgpr_kernarg_preload_offset 0
		.amdhsa_user_sgpr_private_segment_size 0
		.amdhsa_uses_dynamic_stack 0
		.amdhsa_system_sgpr_private_segment_wavefront_offset 0
		.amdhsa_system_sgpr_workgroup_id_x 1
		.amdhsa_system_sgpr_workgroup_id_y 1
		.amdhsa_system_sgpr_workgroup_id_z 1
		.amdhsa_system_sgpr_workgroup_info 0
		.amdhsa_system_vgpr_workitem_id 0
		.amdhsa_next_free_vgpr 64
		.amdhsa_next_free_sgpr 48
		.amdhsa_accum_offset 64
		.amdhsa_reserve_vcc 1
		.amdhsa_reserve_flat_scratch 0
		.amdhsa_float_round_mode_32 0
		.amdhsa_float_round_mode_16_64 0
		.amdhsa_float_denorm_mode_32 3
		.amdhsa_float_denorm_mode_16_64 3
		.amdhsa_dx10_clamp 1
		.amdhsa_ieee_mode 1
		.amdhsa_fp16_overflow 0
		.amdhsa_tg_split 0
		.amdhsa_exception_fp_ieee_invalid_op 0
		.amdhsa_exception_fp_denorm_src 0
		.amdhsa_exception_fp_ieee_div_zero 0
		.amdhsa_exception_fp_ieee_overflow 0
		.amdhsa_exception_fp_ieee_underflow 0
		.amdhsa_exception_fp_ieee_inexact 0
		.amdhsa_exception_int_div_zero 0
	.end_amdhsa_kernel
	.section	.text._Z39paged_attention_ll4mi_QKV_mfma16_kernelIDF16_hLN4vllm18Fp8KVCacheDataTypeE1EDF16_Li32ELi64ELi256ELb0ELi4EL8MFMAType0EEvPKT_PKT0_S8_ifPKiSA_SA_iPKfiiiPfSD_PS3_PT2_iSC_SC_,"axG",@progbits,_Z39paged_attention_ll4mi_QKV_mfma16_kernelIDF16_hLN4vllm18Fp8KVCacheDataTypeE1EDF16_Li32ELi64ELi256ELb0ELi4EL8MFMAType0EEvPKT_PKT0_S8_ifPKiSA_SA_iPKfiiiPfSD_PS3_PT2_iSC_SC_,comdat
.Lfunc_end609:
	.size	_Z39paged_attention_ll4mi_QKV_mfma16_kernelIDF16_hLN4vllm18Fp8KVCacheDataTypeE1EDF16_Li32ELi64ELi256ELb0ELi4EL8MFMAType0EEvPKT_PKT0_S8_ifPKiSA_SA_iPKfiiiPfSD_PS3_PT2_iSC_SC_, .Lfunc_end609-_Z39paged_attention_ll4mi_QKV_mfma16_kernelIDF16_hLN4vllm18Fp8KVCacheDataTypeE1EDF16_Li32ELi64ELi256ELb0ELi4EL8MFMAType0EEvPKT_PKT0_S8_ifPKiSA_SA_iPKfiiiPfSD_PS3_PT2_iSC_SC_
                                        ; -- End function
	.section	.AMDGPU.csdata,"",@progbits
; Kernel info:
; codeLenInByte = 26908
; NumSgprs: 52
; NumVgprs: 64
; NumAgprs: 0
; TotalNumVgprs: 64
; ScratchSize: 0
; MemoryBound: 0
; FloatMode: 240
; IeeeMode: 1
; LDSByteSize: 8192 bytes/workgroup (compile time only)
; SGPRBlocks: 6
; VGPRBlocks: 7
; NumSGPRsForWavesPerEU: 52
; NumVGPRsForWavesPerEU: 64
; AccumOffset: 64
; Occupancy: 8
; WaveLimiterHint : 1
; COMPUTE_PGM_RSRC2:SCRATCH_EN: 0
; COMPUTE_PGM_RSRC2:USER_SGPR: 6
; COMPUTE_PGM_RSRC2:TRAP_HANDLER: 0
; COMPUTE_PGM_RSRC2:TGID_X_EN: 1
; COMPUTE_PGM_RSRC2:TGID_Y_EN: 1
; COMPUTE_PGM_RSRC2:TGID_Z_EN: 1
; COMPUTE_PGM_RSRC2:TIDIG_COMP_CNT: 0
; COMPUTE_PGM_RSRC3_GFX90A:ACCUM_OFFSET: 15
; COMPUTE_PGM_RSRC3_GFX90A:TG_SPLIT: 0
	.section	.text._Z39paged_attention_ll4mi_QKV_mfma16_kernelIDF16_hLN4vllm18Fp8KVCacheDataTypeE1EDF16_Li16ELi128ELi256ELb1ELi5EL8MFMAType0EEvPKT_PKT0_S8_ifPKiSA_SA_iPKfiiiPfSD_PS3_PT2_iSC_SC_,"axG",@progbits,_Z39paged_attention_ll4mi_QKV_mfma16_kernelIDF16_hLN4vllm18Fp8KVCacheDataTypeE1EDF16_Li16ELi128ELi256ELb1ELi5EL8MFMAType0EEvPKT_PKT0_S8_ifPKiSA_SA_iPKfiiiPfSD_PS3_PT2_iSC_SC_,comdat
	.protected	_Z39paged_attention_ll4mi_QKV_mfma16_kernelIDF16_hLN4vllm18Fp8KVCacheDataTypeE1EDF16_Li16ELi128ELi256ELb1ELi5EL8MFMAType0EEvPKT_PKT0_S8_ifPKiSA_SA_iPKfiiiPfSD_PS3_PT2_iSC_SC_ ; -- Begin function _Z39paged_attention_ll4mi_QKV_mfma16_kernelIDF16_hLN4vllm18Fp8KVCacheDataTypeE1EDF16_Li16ELi128ELi256ELb1ELi5EL8MFMAType0EEvPKT_PKT0_S8_ifPKiSA_SA_iPKfiiiPfSD_PS3_PT2_iSC_SC_
	.globl	_Z39paged_attention_ll4mi_QKV_mfma16_kernelIDF16_hLN4vllm18Fp8KVCacheDataTypeE1EDF16_Li16ELi128ELi256ELb1ELi5EL8MFMAType0EEvPKT_PKT0_S8_ifPKiSA_SA_iPKfiiiPfSD_PS3_PT2_iSC_SC_
	.p2align	8
	.type	_Z39paged_attention_ll4mi_QKV_mfma16_kernelIDF16_hLN4vllm18Fp8KVCacheDataTypeE1EDF16_Li16ELi128ELi256ELb1ELi5EL8MFMAType0EEvPKT_PKT0_S8_ifPKiSA_SA_iPKfiiiPfSD_PS3_PT2_iSC_SC_,@function
_Z39paged_attention_ll4mi_QKV_mfma16_kernelIDF16_hLN4vllm18Fp8KVCacheDataTypeE1EDF16_Li16ELi128ELi256ELb1ELi5EL8MFMAType0EEvPKT_PKT0_S8_ifPKiSA_SA_iPKfiiiPfSD_PS3_PT2_iSC_SC_: ; @_Z39paged_attention_ll4mi_QKV_mfma16_kernelIDF16_hLN4vllm18Fp8KVCacheDataTypeE1EDF16_Li16ELi128ELi256ELb1ELi5EL8MFMAType0EEvPKT_PKT0_S8_ifPKiSA_SA_iPKfiiiPfSD_PS3_PT2_iSC_SC_
; %bb.0:
	s_load_dwordx2 s[6:7], s[4:5], 0x30
	s_add_u32 s0, s0, s11
	s_addc_u32 s1, s1, 0
	s_mov_b32 s26, s9
	s_mov_b64 s[14:15], 0
	s_waitcnt lgkmcnt(0)
	s_cmp_lg_u64 s[6:7], 0
	s_cselect_b64 s[12:13], -1, 0
	s_and_b64 vcc, exec, s[12:13]
	s_cbranch_vccz .LBB610_7
; %bb.1:
	s_add_i32 s16, s8, 1
	s_mov_b32 s17, 0
	s_lshl_b64 s[18:19], s[16:17], 2
	s_add_u32 s18, s6, s18
	s_mov_b32 s9, s17
	s_addc_u32 s19, s7, s19
	s_lshl_b64 s[16:17], s[8:9], 2
	s_add_u32 s16, s6, s16
	s_addc_u32 s17, s7, s17
	s_load_dword s11, s[18:19], 0x0
	s_load_dword s20, s[16:17], 0x0
	s_waitcnt lgkmcnt(0)
	s_sub_i32 s11, s11, s20
	s_cmp_eq_u32 s11, 1
	s_cselect_b64 s[16:17], -1, 0
	s_andn2_b64 vcc, exec, s[14:15]
	s_cbranch_vccnz .LBB610_3
.LBB610_2:
	s_mov_b32 s9, 0
	s_mov_b64 s[16:17], -1
.LBB610_3:
	s_andn2_b64 vcc, exec, s[16:17]
	s_cbranch_vccnz .LBB610_600
; %bb.4:
	s_load_dwordx2 s[16:17], s[4:5], 0x28
	s_lshl_b64 s[14:15], s[8:9], 2
	s_waitcnt lgkmcnt(0)
	s_add_u32 s16, s16, s14
	s_addc_u32 s17, s17, s15
	s_load_dword s33, s[16:17], 0x0
	s_lshl_b32 s20, s26, 8
	s_waitcnt lgkmcnt(0)
	s_cmp_ge_i32 s20, s33
	s_cbranch_scc1 .LBB610_600
; %bb.5:
	s_add_i32 s18, s33, 15
	s_load_dwordx2 s[16:17], s[4:5], 0x20
	s_load_dword s11, s[4:5], 0x38
	s_ashr_i32 s19, s18, 31
	v_and_b32_e32 v1, 0xcf, v0
	s_lshr_b32 s19, s19, 28
	v_add_u32_e32 v1, s20, v1
	s_add_i32 s18, s18, s19
	v_ashrrev_i32_e32 v2, 31, v1
	s_ashr_i32 s23, s18, 4
	v_lshrrev_b32_e32 v4, 28, v2
	s_add_i32 s23, s23, -1
	v_add_u32_e32 v2, v1, v4
	s_waitcnt lgkmcnt(0)
	s_mul_i32 s18, s8, s11
	s_mov_b32 s19, 0
	v_ashrrev_i32_e32 v2, 4, v2
	v_mov_b32_e32 v5, s23
	v_cmp_gt_i32_e32 vcc, s33, v1
	s_lshl_b64 s[18:19], s[18:19], 2
	v_cndmask_b32_e32 v2, v5, v2, vcc
	s_add_u32 s21, s16, s18
	v_ashrrev_i32_e32 v3, 31, v2
	s_addc_u32 s22, s17, s19
	v_lshlrev_b64 v[2:3], 2, v[2:3]
	v_mov_b32_e32 v7, s22
	v_add_co_u32_e32 v6, vcc, s21, v2
	v_or_b32_e32 v2, 16, v1
	v_addc_co_u32_e32 v7, vcc, v7, v3, vcc
	v_add_u32_e32 v3, v2, v4
	v_ashrrev_i32_e32 v3, 4, v3
	v_cmp_gt_i32_e32 vcc, s33, v2
	v_cndmask_b32_e32 v2, v5, v3, vcc
	v_ashrrev_i32_e32 v3, 31, v2
	v_lshlrev_b64 v[2:3], 2, v[2:3]
	v_mov_b32_e32 v9, s22
	v_add_co_u32_e32 v8, vcc, s21, v2
	v_or_b32_e32 v2, 32, v1
	v_addc_co_u32_e32 v9, vcc, v9, v3, vcc
	v_add_u32_e32 v3, v2, v4
	v_ashrrev_i32_e32 v3, 4, v3
	v_cmp_gt_i32_e32 vcc, s33, v2
	v_cndmask_b32_e32 v2, v5, v3, vcc
	v_ashrrev_i32_e32 v3, 31, v2
	;; [unrolled: 10-line block ×3, first 2 shown]
	v_lshlrev_b64 v[2:3], 2, v[2:3]
	v_mov_b32_e32 v1, s22
	v_add_co_u32_e32 v12, vcc, s21, v2
	v_addc_co_u32_e32 v13, vcc, v1, v3, vcc
	global_load_dword v5, v[6:7], off
	global_load_dword v4, v[8:9], off
	;; [unrolled: 1-line block ×4, first 2 shown]
	s_load_dwordx2 s[16:17], s[4:5], 0x8
	s_andn2_b64 vcc, exec, s[12:13]
	s_cbranch_vccnz .LBB610_8
; %bb.6:
	s_add_u32 s6, s6, s14
	s_addc_u32 s7, s7, s15
	s_load_dword s11, s[6:7], 0x0
	s_branch .LBB610_9
.LBB610_7:
	s_mov_b64 s[16:17], 0
	s_branch .LBB610_2
.LBB610_8:
	s_mov_b32 s11, s8
.LBB610_9:
	s_load_dwordx2 s[6:7], s[4:5], 0x10
	s_load_dwordx4 s[12:15], s[4:5], 0x48
	v_lshrrev_b32_e32 v27, 6, v0
	v_bfe_u32 v1, v0, 4, 2
	v_and_b32_e32 v41, 15, v0
	v_lshl_or_b32 v6, v27, 2, v1
	v_lshlrev_b32_e32 v7, 3, v41
	s_mul_i32 s27, s10, 5
	v_cmp_gt_u32_e32 vcc, 5, v6
	v_lshlrev_b32_e32 v39, 1, v7
	v_lshlrev_b32_e32 v43, 4, v0
	s_and_saveexec_b64 s[18:19], vcc
	s_cbranch_execz .LBB610_11
; %bb.10:
	s_load_dwordx2 s[24:25], s[4:5], 0x0
	s_waitcnt lgkmcnt(0)
	s_ashr_i32 s15, s12, 31
	s_mul_hi_u32 s28, s11, s12
	s_mul_i32 s15, s11, s15
	s_add_i32 s29, s28, s15
	s_mul_i32 s28, s11, s12
	s_lshl_b64 s[28:29], s[28:29], 1
	v_add_lshl_u32 v8, v6, s27, 7
	s_add_u32 s11, s24, s28
	v_ashrrev_i32_e32 v9, 31, v8
	s_addc_u32 s12, s25, s29
	v_lshlrev_b64 v[8:9], 1, v[8:9]
	v_mov_b32_e32 v7, s12
	v_add_co_u32_e32 v8, vcc, s11, v8
	v_addc_co_u32_e32 v7, vcc, v7, v9, vcc
	v_add_co_u32_e32 v8, vcc, v8, v39
	v_addc_co_u32_e32 v9, vcc, 0, v7, vcc
	global_load_dwordx4 v[8:11], v[8:9], off
	v_lshlrev_b32_e32 v12, 8, v0
	v_lshlrev_b32_e32 v7, 8, v41
	v_and_b32_e32 v12, 0x600, v12
	s_movk_i32 s11, 0x800
	v_and_or_b32 v7, v7, s11, v12
	v_lshlrev_b32_e32 v6, 5, v6
	v_and_b32_e32 v12, 16, v43
	v_or3_b32 v6, v7, v6, v12
	s_waitcnt vmcnt(0)
	ds_write_b128 v6, v[8:11]
.LBB610_11:
	s_or_b64 exec, exec, s[18:19]
	s_waitcnt lgkmcnt(0)
	s_mul_i32 s14, s10, s14
	s_add_u32 s10, s16, s14
	s_addc_u32 s11, s17, 0
	v_and_b32_e32 v6, 0xf0, v43
	v_mov_b32_e32 v7, s11
	v_add_co_u32_e32 v6, vcc, s10, v6
	v_and_b32_e32 v18, 48, v0
	v_addc_co_u32_e32 v7, vcc, 0, v7, vcc
	v_lshlrev_b32_e32 v10, 4, v18
	s_waitcnt vmcnt(3)
	v_mad_i64_i32 v[8:9], s[10:11], v5, s13, v[6:7]
	v_add_co_u32_e32 v8, vcc, v8, v10
	v_addc_co_u32_e32 v9, vcc, 0, v9, vcc
	s_waitcnt vmcnt(2)
	v_mad_i64_i32 v[4:5], s[10:11], v4, s13, v[6:7]
	v_add_co_u32_e32 v4, vcc, v4, v10
	v_addc_co_u32_e32 v5, vcc, 0, v5, vcc
	s_load_dwordx2 s[48:49], s[4:5], 0x94
	s_waitcnt lgkmcnt(0)
	s_barrier
	global_load_dwordx4 v[20:23], v[8:9], off
	global_load_dwordx4 v[28:31], v[8:9], off offset:1024
	global_load_dwordx4 v[32:35], v[4:5], off
	global_load_dwordx4 v[44:47], v[4:5], off offset:1024
	s_waitcnt vmcnt(5)
	v_mad_i64_i32 v[4:5], s[10:11], v3, s13, v[6:7]
	v_add_co_u32_e32 v4, vcc, v4, v10
	v_addc_co_u32_e32 v5, vcc, 0, v5, vcc
	s_waitcnt vmcnt(4)
	v_mad_i64_i32 v[2:3], s[10:11], v2, s13, v[6:7]
	v_add_co_u32_e32 v2, vcc, v2, v10
	v_addc_co_u32_e32 v3, vcc, 0, v3, vcc
	global_load_dwordx4 v[48:51], v[4:5], off
	global_load_dwordx4 v[52:55], v[4:5], off offset:1024
	global_load_dwordx4 v[56:59], v[2:3], off
	global_load_dwordx4 v[60:63], v[2:3], off offset:1024
	v_mul_lo_u16_e32 v2, 52, v41
	v_mov_b32_e32 v3, 5
	v_mul_lo_u16_sdwa v2, v2, v3 dst_sel:DWORD dst_unused:UNUSED_PAD src0_sel:BYTE_1 src1_sel:DWORD
	v_sub_u16_e32 v2, v41, v2
	v_lshlrev_b32_sdwa v2, v3, v2 dst_sel:DWORD dst_unused:UNUSED_PAD src0_sel:DWORD src1_sel:BYTE_0
	v_lshl_add_u32 v14, v1, 9, v2
	s_load_dwordx2 s[50:51], s[4:5], 0x68
	s_load_dwordx4 s[44:47], s[4:5], 0x58
	ds_read_b128 v[2:5], v14
	ds_read_b128 v[6:9], v14 offset:16
	ds_read_b128 v[10:13], v14 offset:2048
	;; [unrolled: 1-line block ×3, first 2 shown]
	s_mov_b32 s12, 0
	v_cmp_gt_u32_e32 vcc, 5, v41
	s_waitcnt vmcnt(7)
	buffer_store_dword v23, off, s[0:3], 0 offset:12
	buffer_store_dword v22, off, s[0:3], 0 offset:8
	;; [unrolled: 1-line block ×3, first 2 shown]
	buffer_store_dword v20, off, s[0:3], 0
	s_waitcnt vmcnt(10)
	buffer_store_dword v31, off, s[0:3], 0 offset:28
	buffer_store_dword v30, off, s[0:3], 0 offset:24
	buffer_store_dword v29, off, s[0:3], 0 offset:20
	buffer_store_dword v28, off, s[0:3], 0 offset:16
	s_waitcnt vmcnt(13)
	buffer_store_dword v35, off, s[0:3], 0 offset:44
	buffer_store_dword v34, off, s[0:3], 0 offset:40
	buffer_store_dword v33, off, s[0:3], 0 offset:36
	buffer_store_dword v32, off, s[0:3], 0 offset:32
	;; [unrolled: 5-line block ×7, first 2 shown]
	v_mov_b32_e32 v35, 0
	v_mov_b32_e32 v31, 0
	s_and_saveexec_b64 s[10:11], vcc
	s_cbranch_execz .LBB610_13
; %bb.12:
	s_load_dwordx2 s[16:17], s[4:5], 0x40
	v_add_u32_e32 v20, s27, v41
	v_ashrrev_i32_e32 v21, 31, v20
	v_lshlrev_b64 v[20:21], 2, v[20:21]
	s_waitcnt lgkmcnt(0)
	v_mov_b32_e32 v19, s17
	v_add_co_u32_e32 v20, vcc, s16, v20
	v_addc_co_u32_e32 v21, vcc, v19, v21, vcc
	global_load_dword v31, v[20:21], off
.LBB610_13:
	s_or_b64 exec, exec, s[10:11]
	v_or_b32_e32 v22, s20, v18
	v_ashrrev_i32_e32 v18, 4, v22
	v_mov_b32_e32 v23, s23
	v_cmp_gt_i32_e32 vcc, s33, v22
	v_cndmask_b32_e32 v18, v23, v18, vcc
	v_ashrrev_i32_e32 v19, 31, v18
	v_lshlrev_b64 v[18:19], 2, v[18:19]
	v_mov_b32_e32 v20, s22
	v_add_co_u32_e32 v18, vcc, s21, v18
	v_addc_co_u32_e32 v19, vcc, v20, v19, vcc
	global_load_dword v26, v[18:19], off
	v_or_b32_e32 v18, 64, v22
	v_ashrrev_i32_e32 v19, 4, v18
	v_cmp_gt_i32_e32 vcc, s33, v18
	v_cndmask_b32_e32 v18, v23, v19, vcc
	v_ashrrev_i32_e32 v19, 31, v18
	v_lshlrev_b64 v[18:19], 2, v[18:19]
	v_add_co_u32_e32 v18, vcc, s21, v18
	v_addc_co_u32_e32 v19, vcc, v20, v19, vcc
	v_or_b32_e32 v20, 0x80, v22
	v_ashrrev_i32_e32 v21, 4, v20
	v_cmp_gt_i32_e32 vcc, s33, v20
	v_cndmask_b32_e32 v20, v23, v21, vcc
	v_ashrrev_i32_e32 v21, 31, v20
	v_lshlrev_b64 v[20:21], 2, v[20:21]
	v_mov_b32_e32 v24, s22
	v_add_co_u32_e32 v20, vcc, s21, v20
	v_addc_co_u32_e32 v21, vcc, v24, v21, vcc
	global_load_dword v28, v[18:19], off
	global_load_dword v30, v[20:21], off
	v_or_b32_e32 v18, 0xc0, v22
	v_ashrrev_i32_e32 v19, 4, v18
	v_cmp_gt_i32_e32 vcc, s33, v18
	v_cndmask_b32_e32 v18, v23, v19, vcc
	v_ashrrev_i32_e32 v19, 31, v18
	v_lshlrev_b64 v[18:19], 2, v[18:19]
	v_mov_b32_e32 v20, s22
	v_add_co_u32_e32 v18, vcc, s21, v18
	v_addc_co_u32_e32 v19, vcc, v20, v19, vcc
	global_load_dword v34, v[18:19], off
	s_add_u32 s10, s6, s14
	v_lshl_or_b32 v29, v27, 4, v41
	s_addc_u32 s6, s7, 0
	v_lshlrev_b32_e32 v18, 4, v29
	v_mov_b32_e32 v19, s6
	v_add_co_u32_e32 v22, vcc, s10, v18
	v_addc_co_u32_e32 v23, vcc, 0, v19, vcc
	v_or_b32_e32 v24, 0x400, v18
	v_mov_b32_e32 v25, s6
	v_add_co_u32_e32 v24, vcc, s10, v24
	v_addc_co_u32_e32 v25, vcc, 0, v25, vcc
	v_mov_b32_e32 v36, 0
	s_movk_i32 s14, 0x7f
	s_mov_b32 s15, 0xffffff
	v_mov_b32_e32 v37, 0x100
	v_bfrev_b32_e32 v38, 60
	s_waitcnt vmcnt(3)
	v_mad_i64_i32 v[18:19], s[6:7], v26, s13, v[22:23]
	global_load_dwordx4 v[18:21], v[18:19], off
	v_mad_i64_i32 v[32:33], s[6:7], v26, s13, v[24:25]
	global_load_dwordx4 v[52:55], v[32:33], off
	s_waitcnt vmcnt(4)
	v_mad_i64_i32 v[32:33], s[6:7], v28, s13, v[22:23]
	global_load_dwordx4 v[56:59], v[32:33], off
	s_waitcnt vmcnt(4)
	v_mad_i64_i32 v[32:33], s[6:7], v30, s13, v[22:23]
	global_load_dwordx4 v[60:63], v[32:33], off
	s_waitcnt vmcnt(4)
	v_mad_i64_i32 v[22:23], s[6:7], v34, s13, v[22:23]
	global_load_dwordx4 v[64:67], v[22:23], off
	v_mad_i64_i32 v[22:23], s[6:7], v28, s13, v[24:25]
	global_load_dwordx4 v[68:71], v[22:23], off
	;; [unrolled: 2-line block ×4, first 2 shown]
	s_load_dword s6, s[4:5], 0x1c
	s_load_dwordx4 s[40:43], s[4:5], 0x80
	v_mov_b32_e32 v22, 0x80
	v_add_u32_e32 v45, 16, v22
	v_add_u32_e32 v46, 32, v22
	v_add_u32_e32 v47, 48, v22
	s_waitcnt lgkmcnt(0)
	s_load_dword s4, s[40:41], 0x0
	v_add_u32_e32 v51, 64, v22
	v_add_u32_e32 v48, 0x50, v22
	;; [unrolled: 1-line block ×4, first 2 shown]
	v_mov_b32_e32 v22, s6
	s_waitcnt lgkmcnt(0)
	v_mul_f32_e32 v22, s4, v22
	v_and_b32_e32 v33, 63, v0
	s_movk_i32 s13, 0x80
	v_mov_b32_e32 v24, v22
	v_mov_b32_e32 v25, v22
	s_waitcnt vmcnt(7)
	buffer_store_dword v21, off, s[0:3], 0 offset:140
	buffer_store_dword v20, off, s[0:3], 0 offset:136
	buffer_store_dword v19, off, s[0:3], 0 offset:132
	buffer_store_dword v18, off, s[0:3], 0 offset:128
	s_waitcnt vmcnt(10)
	buffer_store_dword v55, off, s[0:3], 0 offset:156
	buffer_store_dword v54, off, s[0:3], 0 offset:152
	buffer_store_dword v53, off, s[0:3], 0 offset:148
	buffer_store_dword v52, off, s[0:3], 0 offset:144
	;; [unrolled: 5-line block ×8, first 2 shown]
	s_branch .LBB610_17
.LBB610_14:                             ;   in Loop: Header=BB610_17 Depth=1
	s_or_b64 exec, exec, s[10:11]
.LBB610_15:                             ;   in Loop: Header=BB610_17 Depth=1
	s_or_b64 exec, exec, s[6:7]
.LBB610_16:                             ;   in Loop: Header=BB610_17 Depth=1
	s_or_b64 exec, exec, s[4:5]
	v_cvt_pkrtz_f16_f32 v54, v34, v32
	v_cvt_pkrtz_f16_f32 v55, v23, v42
	v_add_u32_e32 v26, s12, v37
	s_add_i32 s12, s12, 16
	v_mov_b32_e32 v23, v22
	v_mfma_f32_16x16x16f16 v[18:21], v[54:55], v[14:15], v[18:21]
	v_cvt_pkrtz_f16_f32 v54, v40, v44
	v_cvt_pkrtz_f16_f32 v55, v30, v52
	s_cmp_eq_u32 s12, 64
	v_add_u32_e32 v36, 32, v36
	v_mfma_f32_16x16x16f16 v[18:21], v[54:55], v[16:17], v[18:21]
	s_nop 7
	s_nop 2
	v_pk_mul_f32 v[18:19], v[24:25], v[18:19]
	v_pk_mul_f32 v[20:21], v[22:23], v[20:21]
	buffer_store_dword v19, v26, s[0:3], 0 offen offset:4
	buffer_store_dword v18, v26, s[0:3], 0 offen
	buffer_store_dword v21, v26, s[0:3], 0 offen offset:12
	buffer_store_dword v20, v26, s[0:3], 0 offen offset:8
	s_cbranch_scc1 .LBB610_207
.LBB610_17:                             ; =>This Inner Loop Header: Depth=1
	buffer_load_dword v20, v36, s[0:3], 0 offen
	buffer_load_dword v18, v36, s[0:3], 0 offen offset:4
	buffer_load_dword v28, v36, s[0:3], 0 offen offset:8
	;; [unrolled: 1-line block ×3, first 2 shown]
	v_mov_b32_e32 v19, 0
	v_mov_b32_e32 v21, 0
	s_waitcnt vmcnt(3)
	v_cmp_ne_u16_sdwa s[6:7], v20, v35 src0_sel:BYTE_0 src1_sel:DWORD
	s_and_saveexec_b64 s[4:5], s[6:7]
	s_cbranch_execz .LBB610_23
; %bb.18:                               ;   in Loop: Header=BB610_17 Depth=1
	v_cmp_ne_u16_sdwa s[10:11], v20, s13 src0_sel:BYTE_0 src1_sel:DWORD
	v_bfrev_b32_e32 v21, 1
	s_and_saveexec_b64 s[6:7], s[10:11]
	s_cbranch_execz .LBB610_22
; %bb.19:                               ;   in Loop: Header=BB610_17 Depth=1
	v_and_b32_e32 v23, 0x7f, v20
	v_cmp_ne_u32_e32 vcc, s14, v23
	v_mov_b32_e32 v21, 0x7f800001
	s_and_saveexec_b64 s[10:11], vcc
	s_cbranch_execz .LBB610_21
; %bb.20:                               ;   in Loop: Header=BB610_17 Depth=1
	v_and_b32_e32 v21, 7, v20
	v_ffbh_u32_e32 v32, v21
	v_min_u32_e32 v32, 32, v32
	v_subrev_u32_e32 v34, 28, v32
	v_lshlrev_b64 v[52:53], v34, v[20:21]
	v_lshrrev_b32_e32 v30, 3, v23
	v_sub_u32_e32 v32, 29, v32
	v_and_b32_e32 v34, 7, v52
	v_cmp_gt_u32_e32 vcc, 8, v23
	v_cndmask_b32_e32 v23, v30, v32, vcc
	v_cndmask_b32_e32 v21, v21, v34, vcc
	v_lshlrev_b32_e32 v30, 24, v20
	v_lshlrev_b32_e32 v21, 20, v21
	v_and_b32_e32 v30, 0x80000000, v30
	v_lshl_add_u32 v23, v23, 23, v38
	v_or3_b32 v21, v30, v23, v21
.LBB610_21:                             ;   in Loop: Header=BB610_17 Depth=1
	s_or_b64 exec, exec, s[10:11]
.LBB610_22:                             ;   in Loop: Header=BB610_17 Depth=1
	s_or_b64 exec, exec, s[6:7]
.LBB610_23:                             ;   in Loop: Header=BB610_17 Depth=1
	s_or_b64 exec, exec, s[4:5]
	v_lshrrev_b16_e32 v30, 8, v20
	v_cmp_ne_u16_e32 vcc, 0, v30
	s_and_saveexec_b64 s[4:5], vcc
	s_cbranch_execz .LBB610_29
; %bb.24:                               ;   in Loop: Header=BB610_17 Depth=1
	v_cmp_ne_u16_e32 vcc, s13, v30
	v_bfrev_b32_e32 v19, 1
	s_and_saveexec_b64 s[6:7], vcc
	s_cbranch_execz .LBB610_28
; %bb.25:                               ;   in Loop: Header=BB610_17 Depth=1
	v_and_b32_e32 v23, 0x7f, v30
	v_cmp_ne_u32_e32 vcc, s14, v23
	v_mov_b32_e32 v19, 0x7f800001
	s_and_saveexec_b64 s[10:11], vcc
	s_cbranch_execz .LBB610_27
; %bb.26:                               ;   in Loop: Header=BB610_17 Depth=1
	v_and_b32_e32 v19, 7, v30
	v_ffbh_u32_e32 v34, v19
	v_min_u32_e32 v34, 32, v34
	v_subrev_u32_e32 v40, 28, v34
	v_lshlrev_b64 v[52:53], v40, v[30:31]
	v_lshrrev_b32_e32 v32, 3, v23
	v_sub_u32_e32 v30, 29, v34
	v_and_b32_e32 v34, 7, v52
	v_cmp_gt_u32_e32 vcc, 8, v23
	v_cndmask_b32_e32 v23, v32, v30, vcc
	v_cndmask_b32_e32 v19, v19, v34, vcc
	v_lshlrev_b32_e32 v30, 16, v20
	v_lshlrev_b32_e32 v19, 20, v19
	v_and_b32_e32 v30, 0x80000000, v30
	v_lshl_add_u32 v23, v23, 23, v38
	v_or3_b32 v19, v30, v23, v19
.LBB610_27:                             ;   in Loop: Header=BB610_17 Depth=1
	s_or_b64 exec, exec, s[10:11]
.LBB610_28:                             ;   in Loop: Header=BB610_17 Depth=1
	s_or_b64 exec, exec, s[6:7]
.LBB610_29:                             ;   in Loop: Header=BB610_17 Depth=1
	s_or_b64 exec, exec, s[4:5]
	v_lshrrev_b32_e32 v30, 16, v20
	v_cmp_ne_u16_sdwa s[6:7], v30, v35 src0_sel:BYTE_0 src1_sel:DWORD
	v_mov_b32_e32 v32, 0
	v_mov_b32_e32 v23, 0
	s_and_saveexec_b64 s[4:5], s[6:7]
	s_cbranch_execz .LBB610_35
; %bb.30:                               ;   in Loop: Header=BB610_17 Depth=1
	v_cmp_ne_u16_sdwa s[10:11], v30, s13 src0_sel:BYTE_0 src1_sel:DWORD
	v_bfrev_b32_e32 v23, 1
	s_and_saveexec_b64 s[6:7], s[10:11]
	s_cbranch_execz .LBB610_34
; %bb.31:                               ;   in Loop: Header=BB610_17 Depth=1
	v_bfe_u32 v34, v20, 16, 7
	v_cmp_ne_u32_e32 vcc, s14, v34
	v_mov_b32_e32 v23, 0x7f800001
	s_and_saveexec_b64 s[10:11], vcc
	s_cbranch_execz .LBB610_33
; %bb.32:                               ;   in Loop: Header=BB610_17 Depth=1
	v_and_b32_e32 v23, 7, v30
	v_ffbh_u32_e32 v42, v23
	v_min_u32_e32 v42, 32, v42
	v_subrev_u32_e32 v44, 28, v42
	v_lshlrev_b64 v[52:53], v44, v[30:31]
	v_lshrrev_b32_e32 v40, 3, v34
	v_sub_u32_e32 v42, 29, v42
	v_and_b32_e32 v44, 7, v52
	v_cmp_gt_u32_e32 vcc, 8, v34
	v_cndmask_b32_e32 v34, v40, v42, vcc
	v_cndmask_b32_e32 v23, v23, v44, vcc
	v_lshlrev_b32_e32 v30, 24, v30
	v_lshlrev_b32_e32 v23, 20, v23
	v_and_b32_e32 v30, 0x80000000, v30
	v_lshl_add_u32 v34, v34, 23, v38
	v_or3_b32 v23, v30, v34, v23
.LBB610_33:                             ;   in Loop: Header=BB610_17 Depth=1
	s_or_b64 exec, exec, s[10:11]
.LBB610_34:                             ;   in Loop: Header=BB610_17 Depth=1
	s_or_b64 exec, exec, s[6:7]
.LBB610_35:                             ;   in Loop: Header=BB610_17 Depth=1
	s_or_b64 exec, exec, s[4:5]
	v_cmp_lt_u32_e32 vcc, s15, v20
	s_and_saveexec_b64 s[4:5], vcc
	s_cbranch_execz .LBB610_41
; %bb.36:                               ;   in Loop: Header=BB610_17 Depth=1
	v_lshrrev_b32_e32 v30, 24, v20
	v_cmp_ne_u32_e32 vcc, s13, v30
	v_bfrev_b32_e32 v32, 1
	s_and_saveexec_b64 s[6:7], vcc
	s_cbranch_execz .LBB610_40
; %bb.37:                               ;   in Loop: Header=BB610_17 Depth=1
	v_bfe_u32 v20, v20, 24, 7
	v_cmp_ne_u32_e32 vcc, s14, v20
	v_mov_b32_e32 v32, 0x7f800001
	s_and_saveexec_b64 s[10:11], vcc
	s_cbranch_execz .LBB610_39
; %bb.38:                               ;   in Loop: Header=BB610_17 Depth=1
	v_and_b32_e32 v32, 7, v30
	v_ffbh_u32_e32 v40, v32
	v_min_u32_e32 v40, 32, v40
	v_subrev_u32_e32 v42, 28, v40
	v_lshlrev_b64 v[52:53], v42, v[30:31]
	v_lshrrev_b32_e32 v34, 3, v20
	v_sub_u32_e32 v40, 29, v40
	v_and_b32_e32 v42, 7, v52
	v_cmp_gt_u32_e32 vcc, 8, v20
	v_cndmask_b32_e32 v20, v34, v40, vcc
	v_cndmask_b32_e32 v32, v32, v42, vcc
	v_lshlrev_b32_e32 v30, 24, v30
	v_lshlrev_b32_e32 v32, 20, v32
	v_and_b32_e32 v30, 0x80000000, v30
	v_lshl_add_u32 v20, v20, 23, v38
	v_or3_b32 v32, v30, v20, v32
.LBB610_39:                             ;   in Loop: Header=BB610_17 Depth=1
	s_or_b64 exec, exec, s[10:11]
.LBB610_40:                             ;   in Loop: Header=BB610_17 Depth=1
	s_or_b64 exec, exec, s[6:7]
.LBB610_41:                             ;   in Loop: Header=BB610_17 Depth=1
	s_or_b64 exec, exec, s[4:5]
	s_waitcnt vmcnt(2)
	v_cmp_ne_u16_sdwa s[6:7], v18, v35 src0_sel:BYTE_0 src1_sel:DWORD
	v_mov_b32_e32 v30, 0
	v_mov_b32_e32 v34, 0
	s_and_saveexec_b64 s[4:5], s[6:7]
	s_cbranch_execz .LBB610_47
; %bb.42:                               ;   in Loop: Header=BB610_17 Depth=1
	v_cmp_ne_u16_sdwa s[10:11], v18, s13 src0_sel:BYTE_0 src1_sel:DWORD
	v_bfrev_b32_e32 v34, 1
	s_and_saveexec_b64 s[6:7], s[10:11]
	s_cbranch_execz .LBB610_46
; %bb.43:                               ;   in Loop: Header=BB610_17 Depth=1
	v_and_b32_e32 v20, 0x7f, v18
	v_cmp_ne_u32_e32 vcc, s14, v20
	v_mov_b32_e32 v34, 0x7f800001
	s_and_saveexec_b64 s[10:11], vcc
	s_cbranch_execz .LBB610_45
; %bb.44:                               ;   in Loop: Header=BB610_17 Depth=1
	v_and_b32_e32 v34, 7, v18
	v_ffbh_u32_e32 v42, v34
	v_min_u32_e32 v42, 32, v42
	v_subrev_u32_e32 v44, 28, v42
	v_lshlrev_b64 v[52:53], v44, v[18:19]
	v_lshrrev_b32_e32 v40, 3, v20
	v_sub_u32_e32 v42, 29, v42
	v_and_b32_e32 v44, 7, v52
	v_cmp_gt_u32_e32 vcc, 8, v20
	v_cndmask_b32_e32 v20, v40, v42, vcc
	v_cndmask_b32_e32 v34, v34, v44, vcc
	v_lshlrev_b32_e32 v40, 24, v18
	v_lshlrev_b32_e32 v34, 20, v34
	v_and_b32_e32 v40, 0x80000000, v40
	v_lshl_add_u32 v20, v20, 23, v38
	v_or3_b32 v34, v40, v20, v34
.LBB610_45:                             ;   in Loop: Header=BB610_17 Depth=1
	s_or_b64 exec, exec, s[10:11]
.LBB610_46:                             ;   in Loop: Header=BB610_17 Depth=1
	s_or_b64 exec, exec, s[6:7]
.LBB610_47:                             ;   in Loop: Header=BB610_17 Depth=1
	s_or_b64 exec, exec, s[4:5]
	v_lshrrev_b16_e32 v20, 8, v18
	v_cmp_ne_u16_e32 vcc, 0, v20
	s_and_saveexec_b64 s[4:5], vcc
	s_cbranch_execz .LBB610_53
; %bb.48:                               ;   in Loop: Header=BB610_17 Depth=1
	v_cmp_ne_u16_e32 vcc, s13, v20
	v_bfrev_b32_e32 v30, 1
	s_and_saveexec_b64 s[6:7], vcc
	s_cbranch_execz .LBB610_52
; %bb.49:                               ;   in Loop: Header=BB610_17 Depth=1
	v_and_b32_e32 v40, 0x7f, v20
	v_cmp_ne_u32_e32 vcc, s14, v40
	v_mov_b32_e32 v30, 0x7f800001
	s_and_saveexec_b64 s[10:11], vcc
	s_cbranch_execz .LBB610_51
; %bb.50:                               ;   in Loop: Header=BB610_17 Depth=1
	v_and_b32_e32 v30, 7, v20
	v_ffbh_u32_e32 v44, v30
	v_min_u32_e32 v44, 32, v44
	v_subrev_u32_e32 v52, 28, v44
	v_lshlrev_b64 v[52:53], v52, v[20:21]
	v_lshrrev_b32_e32 v42, 3, v40
	v_sub_u32_e32 v20, 29, v44
	v_and_b32_e32 v44, 7, v52
	v_cmp_gt_u32_e32 vcc, 8, v40
	v_cndmask_b32_e32 v20, v42, v20, vcc
	v_cndmask_b32_e32 v30, v30, v44, vcc
	v_lshlrev_b32_e32 v40, 16, v18
	v_lshlrev_b32_e32 v30, 20, v30
	v_and_b32_e32 v40, 0x80000000, v40
	v_lshl_add_u32 v20, v20, 23, v38
	v_or3_b32 v30, v40, v20, v30
.LBB610_51:                             ;   in Loop: Header=BB610_17 Depth=1
	s_or_b64 exec, exec, s[10:11]
.LBB610_52:                             ;   in Loop: Header=BB610_17 Depth=1
	s_or_b64 exec, exec, s[6:7]
.LBB610_53:                             ;   in Loop: Header=BB610_17 Depth=1
	s_or_b64 exec, exec, s[4:5]
	v_lshrrev_b32_e32 v20, 16, v18
	v_cmp_ne_u16_sdwa s[6:7], v20, v35 src0_sel:BYTE_0 src1_sel:DWORD
	v_mov_b32_e32 v42, 0
	v_mov_b32_e32 v40, 0
	s_and_saveexec_b64 s[4:5], s[6:7]
	s_cbranch_execz .LBB610_59
; %bb.54:                               ;   in Loop: Header=BB610_17 Depth=1
	v_cmp_ne_u16_sdwa s[10:11], v20, s13 src0_sel:BYTE_0 src1_sel:DWORD
	v_bfrev_b32_e32 v40, 1
	s_and_saveexec_b64 s[6:7], s[10:11]
	s_cbranch_execz .LBB610_58
; %bb.55:                               ;   in Loop: Header=BB610_17 Depth=1
	v_bfe_u32 v44, v18, 16, 7
	v_cmp_ne_u32_e32 vcc, s14, v44
	v_mov_b32_e32 v40, 0x7f800001
	s_and_saveexec_b64 s[10:11], vcc
	s_cbranch_execz .LBB610_57
; %bb.56:                               ;   in Loop: Header=BB610_17 Depth=1
	v_and_b32_e32 v40, 7, v20
	v_ffbh_u32_e32 v52, v40
	v_min_u32_e32 v55, 32, v52
	v_subrev_u32_e32 v52, 28, v55
	v_lshlrev_b64 v[52:53], v52, v[20:21]
	v_lshrrev_b32_e32 v54, 3, v44
	v_sub_u32_e32 v53, 29, v55
	v_and_b32_e32 v52, 7, v52
	v_cmp_gt_u32_e32 vcc, 8, v44
	v_cndmask_b32_e32 v44, v54, v53, vcc
	v_cndmask_b32_e32 v40, v40, v52, vcc
	v_lshlrev_b32_e32 v20, 24, v20
	v_lshlrev_b32_e32 v40, 20, v40
	v_and_b32_e32 v20, 0x80000000, v20
	v_lshl_add_u32 v44, v44, 23, v38
	v_or3_b32 v40, v20, v44, v40
.LBB610_57:                             ;   in Loop: Header=BB610_17 Depth=1
	s_or_b64 exec, exec, s[10:11]
.LBB610_58:                             ;   in Loop: Header=BB610_17 Depth=1
	s_or_b64 exec, exec, s[6:7]
.LBB610_59:                             ;   in Loop: Header=BB610_17 Depth=1
	s_or_b64 exec, exec, s[4:5]
	v_cmp_lt_u32_e32 vcc, s15, v18
	s_and_saveexec_b64 s[4:5], vcc
	s_cbranch_execz .LBB610_65
; %bb.60:                               ;   in Loop: Header=BB610_17 Depth=1
	v_lshrrev_b32_e32 v20, 24, v18
	v_cmp_ne_u32_e32 vcc, s13, v20
	v_bfrev_b32_e32 v42, 1
	s_and_saveexec_b64 s[6:7], vcc
	s_cbranch_execz .LBB610_64
; %bb.61:                               ;   in Loop: Header=BB610_17 Depth=1
	v_bfe_u32 v18, v18, 24, 7
	v_cmp_ne_u32_e32 vcc, s14, v18
	v_mov_b32_e32 v42, 0x7f800001
	s_and_saveexec_b64 s[10:11], vcc
	s_cbranch_execz .LBB610_63
; %bb.62:                               ;   in Loop: Header=BB610_17 Depth=1
	v_and_b32_e32 v42, 7, v20
	v_ffbh_u32_e32 v52, v42
	v_min_u32_e32 v54, 32, v52
	v_subrev_u32_e32 v52, 28, v54
	v_lshlrev_b64 v[52:53], v52, v[20:21]
	v_lshrrev_b32_e32 v44, 3, v18
	v_sub_u32_e32 v53, 29, v54
	v_and_b32_e32 v52, 7, v52
	v_cmp_gt_u32_e32 vcc, 8, v18
	v_cndmask_b32_e32 v18, v44, v53, vcc
	v_cndmask_b32_e32 v42, v42, v52, vcc
	v_lshlrev_b32_e32 v20, 24, v20
	v_lshlrev_b32_e32 v42, 20, v42
	v_and_b32_e32 v20, 0x80000000, v20
	v_lshl_add_u32 v18, v18, 23, v38
	v_or3_b32 v42, v20, v18, v42
.LBB610_63:                             ;   in Loop: Header=BB610_17 Depth=1
	s_or_b64 exec, exec, s[10:11]
.LBB610_64:                             ;   in Loop: Header=BB610_17 Depth=1
	s_or_b64 exec, exec, s[6:7]
.LBB610_65:                             ;   in Loop: Header=BB610_17 Depth=1
	s_or_b64 exec, exec, s[4:5]
	v_cvt_pkrtz_f16_f32 v18, v21, v19
	v_cvt_pkrtz_f16_f32 v19, v23, v32
	;; [unrolled: 1-line block ×4, first 2 shown]
	v_mov_b32_e32 v32, 0
	v_mfma_f32_16x16x16f16 v[18:21], v[18:19], v[2:3], 0
	s_waitcnt vmcnt(1)
	v_cmp_ne_u16_sdwa s[6:7], v28, v35 src0_sel:BYTE_0 src1_sel:DWORD
	v_mov_b32_e32 v34, 0
	v_mfma_f32_16x16x16f16 v[18:21], v[52:53], v[4:5], v[18:21]
	s_and_saveexec_b64 s[4:5], s[6:7]
	s_cbranch_execz .LBB610_71
; %bb.66:                               ;   in Loop: Header=BB610_17 Depth=1
	v_cmp_ne_u16_sdwa s[10:11], v28, s13 src0_sel:BYTE_0 src1_sel:DWORD
	v_bfrev_b32_e32 v34, 1
	s_and_saveexec_b64 s[6:7], s[10:11]
	s_cbranch_execz .LBB610_70
; %bb.67:                               ;   in Loop: Header=BB610_17 Depth=1
	v_and_b32_e32 v23, 0x7f, v28
	v_cmp_ne_u32_e32 vcc, s14, v23
	v_mov_b32_e32 v34, 0x7f800001
	s_and_saveexec_b64 s[10:11], vcc
	s_cbranch_execz .LBB610_69
; %bb.68:                               ;   in Loop: Header=BB610_17 Depth=1
	v_and_b32_e32 v30, 7, v28
	v_ffbh_u32_e32 v40, v30
	v_min_u32_e32 v40, 32, v40
	v_subrev_u32_e32 v42, 28, v40
	v_lshlrev_b64 v[52:53], v42, v[28:29]
	v_lshrrev_b32_e32 v34, 3, v23
	v_sub_u32_e32 v40, 29, v40
	v_and_b32_e32 v42, 7, v52
	v_cmp_gt_u32_e32 vcc, 8, v23
	v_cndmask_b32_e32 v23, v34, v40, vcc
	v_cndmask_b32_e32 v30, v30, v42, vcc
	v_lshlrev_b32_e32 v34, 24, v28
	v_lshlrev_b32_e32 v30, 20, v30
	v_and_b32_e32 v34, 0x80000000, v34
	v_lshl_add_u32 v23, v23, 23, v38
	v_or3_b32 v34, v34, v23, v30
.LBB610_69:                             ;   in Loop: Header=BB610_17 Depth=1
	s_or_b64 exec, exec, s[10:11]
.LBB610_70:                             ;   in Loop: Header=BB610_17 Depth=1
	s_or_b64 exec, exec, s[6:7]
.LBB610_71:                             ;   in Loop: Header=BB610_17 Depth=1
	s_or_b64 exec, exec, s[4:5]
	v_lshrrev_b16_e32 v30, 8, v28
	v_cmp_ne_u16_e32 vcc, 0, v30
	v_mov_b32_e32 v40, 0
	s_and_saveexec_b64 s[4:5], vcc
	s_cbranch_execz .LBB610_77
; %bb.72:                               ;   in Loop: Header=BB610_17 Depth=1
	v_cmp_ne_u16_e32 vcc, s13, v30
	v_bfrev_b32_e32 v40, 1
	s_and_saveexec_b64 s[6:7], vcc
	s_cbranch_execz .LBB610_76
; %bb.73:                               ;   in Loop: Header=BB610_17 Depth=1
	v_and_b32_e32 v23, 0x7f, v30
	v_cmp_ne_u32_e32 vcc, s14, v23
	v_mov_b32_e32 v40, 0x7f800001
	s_and_saveexec_b64 s[10:11], vcc
	s_cbranch_execz .LBB610_75
; %bb.74:                               ;   in Loop: Header=BB610_17 Depth=1
	v_and_b32_e32 v40, 7, v30
	v_ffbh_u32_e32 v44, v40
	v_min_u32_e32 v44, 32, v44
	v_subrev_u32_e32 v52, 28, v44
	v_lshlrev_b64 v[52:53], v52, v[30:31]
	v_lshrrev_b32_e32 v42, 3, v23
	v_sub_u32_e32 v30, 29, v44
	v_and_b32_e32 v44, 7, v52
	v_cmp_gt_u32_e32 vcc, 8, v23
	v_cndmask_b32_e32 v23, v42, v30, vcc
	v_cndmask_b32_e32 v30, v40, v44, vcc
	v_lshlrev_b32_e32 v40, 16, v28
	v_lshlrev_b32_e32 v30, 20, v30
	v_and_b32_e32 v40, 0x80000000, v40
	v_lshl_add_u32 v23, v23, 23, v38
	v_or3_b32 v40, v40, v23, v30
.LBB610_75:                             ;   in Loop: Header=BB610_17 Depth=1
	s_or_b64 exec, exec, s[10:11]
.LBB610_76:                             ;   in Loop: Header=BB610_17 Depth=1
	s_or_b64 exec, exec, s[6:7]
.LBB610_77:                             ;   in Loop: Header=BB610_17 Depth=1
	s_or_b64 exec, exec, s[4:5]
	v_lshrrev_b32_e32 v30, 16, v28
	v_cmp_ne_u16_sdwa s[6:7], v30, v35 src0_sel:BYTE_0 src1_sel:DWORD
	s_and_saveexec_b64 s[4:5], s[6:7]
	s_cbranch_execz .LBB610_83
; %bb.78:                               ;   in Loop: Header=BB610_17 Depth=1
	v_cmp_ne_u16_sdwa s[10:11], v30, s13 src0_sel:BYTE_0 src1_sel:DWORD
	v_bfrev_b32_e32 v32, 1
	s_and_saveexec_b64 s[6:7], s[10:11]
	s_cbranch_execz .LBB610_82
; %bb.79:                               ;   in Loop: Header=BB610_17 Depth=1
	v_bfe_u32 v23, v28, 16, 7
	v_cmp_ne_u32_e32 vcc, s14, v23
	v_mov_b32_e32 v32, 0x7f800001
	s_and_saveexec_b64 s[10:11], vcc
	s_cbranch_execz .LBB610_81
; %bb.80:                               ;   in Loop: Header=BB610_17 Depth=1
	v_and_b32_e32 v32, 7, v30
	v_ffbh_u32_e32 v44, v32
	v_min_u32_e32 v44, 32, v44
	v_subrev_u32_e32 v52, 28, v44
	v_lshlrev_b64 v[52:53], v52, v[30:31]
	v_lshrrev_b32_e32 v42, 3, v23
	v_sub_u32_e32 v44, 29, v44
	v_and_b32_e32 v52, 7, v52
	v_cmp_gt_u32_e32 vcc, 8, v23
	v_cndmask_b32_e32 v23, v42, v44, vcc
	v_cndmask_b32_e32 v32, v32, v52, vcc
	v_lshlrev_b32_e32 v30, 24, v30
	v_lshlrev_b32_e32 v32, 20, v32
	v_and_b32_e32 v30, 0x80000000, v30
	v_lshl_add_u32 v23, v23, 23, v38
	v_or3_b32 v32, v30, v23, v32
.LBB610_81:                             ;   in Loop: Header=BB610_17 Depth=1
	s_or_b64 exec, exec, s[10:11]
.LBB610_82:                             ;   in Loop: Header=BB610_17 Depth=1
	s_or_b64 exec, exec, s[6:7]
.LBB610_83:                             ;   in Loop: Header=BB610_17 Depth=1
	s_or_b64 exec, exec, s[4:5]
	v_cmp_lt_u32_e32 vcc, s15, v28
	v_mov_b32_e32 v42, 0
	v_mov_b32_e32 v44, 0
	s_and_saveexec_b64 s[4:5], vcc
	s_cbranch_execz .LBB610_89
; %bb.84:                               ;   in Loop: Header=BB610_17 Depth=1
	v_lshrrev_b32_e32 v30, 24, v28
	v_cmp_ne_u32_e32 vcc, s13, v30
	v_bfrev_b32_e32 v44, 1
	s_and_saveexec_b64 s[6:7], vcc
	s_cbranch_execz .LBB610_88
; %bb.85:                               ;   in Loop: Header=BB610_17 Depth=1
	v_bfe_u32 v23, v28, 24, 7
	v_cmp_ne_u32_e32 vcc, s14, v23
	v_mov_b32_e32 v44, 0x7f800001
	s_and_saveexec_b64 s[10:11], vcc
	s_cbranch_execz .LBB610_87
; %bb.86:                               ;   in Loop: Header=BB610_17 Depth=1
	v_and_b32_e32 v28, 7, v30
	v_ffbh_u32_e32 v52, v28
	v_min_u32_e32 v54, 32, v52
	v_subrev_u32_e32 v52, 28, v54
	v_lshlrev_b64 v[52:53], v52, v[30:31]
	v_lshrrev_b32_e32 v44, 3, v23
	v_sub_u32_e32 v53, 29, v54
	v_and_b32_e32 v52, 7, v52
	v_cmp_gt_u32_e32 vcc, 8, v23
	v_cndmask_b32_e32 v23, v44, v53, vcc
	v_cndmask_b32_e32 v28, v28, v52, vcc
	v_lshlrev_b32_e32 v30, 24, v30
	v_lshlrev_b32_e32 v28, 20, v28
	v_and_b32_e32 v30, 0x80000000, v30
	v_lshl_add_u32 v23, v23, 23, v38
	v_or3_b32 v44, v30, v23, v28
.LBB610_87:                             ;   in Loop: Header=BB610_17 Depth=1
	s_or_b64 exec, exec, s[10:11]
.LBB610_88:                             ;   in Loop: Header=BB610_17 Depth=1
	s_or_b64 exec, exec, s[6:7]
.LBB610_89:                             ;   in Loop: Header=BB610_17 Depth=1
	s_or_b64 exec, exec, s[4:5]
	s_waitcnt vmcnt(0)
	v_cmp_ne_u16_sdwa s[6:7], v26, v35 src0_sel:BYTE_0 src1_sel:DWORD
	s_and_saveexec_b64 s[4:5], s[6:7]
	s_cbranch_execz .LBB610_95
; %bb.90:                               ;   in Loop: Header=BB610_17 Depth=1
	v_cmp_ne_u16_sdwa s[10:11], v26, s13 src0_sel:BYTE_0 src1_sel:DWORD
	v_bfrev_b32_e32 v42, 1
	s_and_saveexec_b64 s[6:7], s[10:11]
	s_cbranch_execz .LBB610_94
; %bb.91:                               ;   in Loop: Header=BB610_17 Depth=1
	v_and_b32_e32 v23, 0x7f, v26
	v_cmp_ne_u32_e32 vcc, s14, v23
	v_mov_b32_e32 v42, 0x7f800001
	s_and_saveexec_b64 s[10:11], vcc
	s_cbranch_execz .LBB610_93
; %bb.92:                               ;   in Loop: Header=BB610_17 Depth=1
	v_and_b32_e32 v28, 7, v26
	v_ffbh_u32_e32 v42, v28
	v_min_u32_e32 v42, 32, v42
	v_subrev_u32_e32 v52, 28, v42
	v_lshlrev_b64 v[52:53], v52, v[26:27]
	v_lshrrev_b32_e32 v30, 3, v23
	v_sub_u32_e32 v42, 29, v42
	v_and_b32_e32 v52, 7, v52
	v_cmp_gt_u32_e32 vcc, 8, v23
	v_cndmask_b32_e32 v23, v30, v42, vcc
	v_cndmask_b32_e32 v28, v28, v52, vcc
	v_lshlrev_b32_e32 v30, 24, v26
	v_lshlrev_b32_e32 v28, 20, v28
	v_and_b32_e32 v30, 0x80000000, v30
	v_lshl_add_u32 v23, v23, 23, v38
	v_or3_b32 v42, v30, v23, v28
.LBB610_93:                             ;   in Loop: Header=BB610_17 Depth=1
	s_or_b64 exec, exec, s[10:11]
.LBB610_94:                             ;   in Loop: Header=BB610_17 Depth=1
	s_or_b64 exec, exec, s[6:7]
.LBB610_95:                             ;   in Loop: Header=BB610_17 Depth=1
	s_or_b64 exec, exec, s[4:5]
	v_lshrrev_b16_e32 v28, 8, v26
	v_cmp_ne_u16_e32 vcc, 0, v28
	v_mov_b32_e32 v52, 0
	v_mov_b32_e32 v53, 0
	s_and_saveexec_b64 s[4:5], vcc
	s_cbranch_execz .LBB610_101
; %bb.96:                               ;   in Loop: Header=BB610_17 Depth=1
	v_cmp_ne_u16_e32 vcc, s13, v28
	v_bfrev_b32_e32 v53, 1
	s_and_saveexec_b64 s[6:7], vcc
	s_cbranch_execz .LBB610_100
; %bb.97:                               ;   in Loop: Header=BB610_17 Depth=1
	v_and_b32_e32 v23, 0x7f, v28
	v_cmp_ne_u32_e32 vcc, s14, v23
	v_mov_b32_e32 v53, 0x7f800001
	s_and_saveexec_b64 s[10:11], vcc
	s_cbranch_execz .LBB610_99
; %bb.98:                               ;   in Loop: Header=BB610_17 Depth=1
	v_and_b32_e32 v30, 7, v28
	v_ffbh_u32_e32 v54, v30
	v_min_u32_e32 v56, 32, v54
	v_subrev_u32_e32 v54, 28, v56
	v_lshlrev_b64 v[54:55], v54, v[28:29]
	v_lshrrev_b32_e32 v53, 3, v23
	v_sub_u32_e32 v28, 29, v56
	v_and_b32_e32 v54, 7, v54
	v_cmp_gt_u32_e32 vcc, 8, v23
	v_cndmask_b32_e32 v23, v53, v28, vcc
	v_cndmask_b32_e32 v28, v30, v54, vcc
	v_lshlrev_b32_e32 v30, 16, v26
	v_lshlrev_b32_e32 v28, 20, v28
	v_and_b32_e32 v30, 0x80000000, v30
	v_lshl_add_u32 v23, v23, 23, v38
	v_or3_b32 v53, v30, v23, v28
.LBB610_99:                             ;   in Loop: Header=BB610_17 Depth=1
	s_or_b64 exec, exec, s[10:11]
.LBB610_100:                            ;   in Loop: Header=BB610_17 Depth=1
	s_or_b64 exec, exec, s[6:7]
.LBB610_101:                            ;   in Loop: Header=BB610_17 Depth=1
	s_or_b64 exec, exec, s[4:5]
	v_lshrrev_b32_e32 v28, 16, v26
	v_cmp_ne_u16_sdwa s[6:7], v28, v35 src0_sel:BYTE_0 src1_sel:DWORD
	s_and_saveexec_b64 s[4:5], s[6:7]
	s_cbranch_execz .LBB610_107
; %bb.102:                              ;   in Loop: Header=BB610_17 Depth=1
	v_cmp_ne_u16_sdwa s[10:11], v28, s13 src0_sel:BYTE_0 src1_sel:DWORD
	v_bfrev_b32_e32 v52, 1
	s_and_saveexec_b64 s[6:7], s[10:11]
	s_cbranch_execz .LBB610_106
; %bb.103:                              ;   in Loop: Header=BB610_17 Depth=1
	v_bfe_u32 v23, v26, 16, 7
	v_cmp_ne_u32_e32 vcc, s14, v23
	v_mov_b32_e32 v52, 0x7f800001
	s_and_saveexec_b64 s[10:11], vcc
	s_cbranch_execz .LBB610_105
; %bb.104:                              ;   in Loop: Header=BB610_17 Depth=1
	v_and_b32_e32 v30, 7, v28
	v_ffbh_u32_e32 v54, v30
	v_min_u32_e32 v56, 32, v54
	v_subrev_u32_e32 v54, 28, v56
	v_lshlrev_b64 v[54:55], v54, v[28:29]
	v_lshrrev_b32_e32 v52, 3, v23
	v_sub_u32_e32 v55, 29, v56
	v_and_b32_e32 v54, 7, v54
	v_cmp_gt_u32_e32 vcc, 8, v23
	v_cndmask_b32_e32 v23, v52, v55, vcc
	v_cndmask_b32_e32 v30, v30, v54, vcc
	v_lshlrev_b32_e32 v28, 24, v28
	v_lshlrev_b32_e32 v30, 20, v30
	v_and_b32_e32 v28, 0x80000000, v28
	v_lshl_add_u32 v23, v23, 23, v38
	v_or3_b32 v52, v28, v23, v30
.LBB610_105:                            ;   in Loop: Header=BB610_17 Depth=1
	s_or_b64 exec, exec, s[10:11]
.LBB610_106:                            ;   in Loop: Header=BB610_17 Depth=1
	s_or_b64 exec, exec, s[6:7]
.LBB610_107:                            ;   in Loop: Header=BB610_17 Depth=1
	s_or_b64 exec, exec, s[4:5]
	v_cmp_lt_u32_e32 vcc, s15, v26
	v_mov_b32_e32 v23, 0
	v_mov_b32_e32 v54, 0
	s_and_saveexec_b64 s[4:5], vcc
	s_cbranch_execz .LBB610_113
; %bb.108:                              ;   in Loop: Header=BB610_17 Depth=1
	v_lshrrev_b32_e32 v28, 24, v26
	v_cmp_ne_u32_e32 vcc, s13, v28
	v_bfrev_b32_e32 v54, 1
	s_and_saveexec_b64 s[6:7], vcc
	s_cbranch_execz .LBB610_112
; %bb.109:                              ;   in Loop: Header=BB610_17 Depth=1
	v_bfe_u32 v26, v26, 24, 7
	v_cmp_ne_u32_e32 vcc, s14, v26
	v_mov_b32_e32 v54, 0x7f800001
	s_and_saveexec_b64 s[10:11], vcc
	s_cbranch_execz .LBB610_111
; %bb.110:                              ;   in Loop: Header=BB610_17 Depth=1
	v_and_b32_e32 v30, 7, v28
	v_ffbh_u32_e32 v54, v30
	v_min_u32_e32 v57, 32, v54
	v_subrev_u32_e32 v54, 28, v57
	v_lshlrev_b64 v[54:55], v54, v[28:29]
	v_lshrrev_b32_e32 v56, 3, v26
	v_sub_u32_e32 v55, 29, v57
	v_and_b32_e32 v54, 7, v54
	v_cmp_gt_u32_e32 vcc, 8, v26
	v_cndmask_b32_e32 v26, v56, v55, vcc
	v_cndmask_b32_e32 v30, v30, v54, vcc
	v_lshlrev_b32_e32 v28, 24, v28
	v_lshlrev_b32_e32 v30, 20, v30
	v_and_b32_e32 v28, 0x80000000, v28
	v_lshl_add_u32 v26, v26, 23, v38
	v_or3_b32 v54, v28, v26, v30
.LBB610_111:                            ;   in Loop: Header=BB610_17 Depth=1
	s_or_b64 exec, exec, s[10:11]
.LBB610_112:                            ;   in Loop: Header=BB610_17 Depth=1
	s_or_b64 exec, exec, s[6:7]
.LBB610_113:                            ;   in Loop: Header=BB610_17 Depth=1
	s_or_b64 exec, exec, s[4:5]
	v_cvt_pkrtz_f16_f32 v57, v32, v44
	buffer_load_dword v32, v36, s[0:3], 0 offen offset:16
	buffer_load_dword v30, v36, s[0:3], 0 offen offset:20
	;; [unrolled: 1-line block ×4, first 2 shown]
	v_cvt_pkrtz_f16_f32 v56, v34, v40
	s_waitcnt vmcnt(3)
	v_cmp_ne_u16_sdwa s[6:7], v32, v35 src0_sel:BYTE_0 src1_sel:DWORD
	v_mfma_f32_16x16x16f16 v[18:21], v[56:57], v[6:7], v[18:21]
	v_cvt_pkrtz_f16_f32 v56, v42, v53
	v_cvt_pkrtz_f16_f32 v57, v52, v54
	s_nop 1
	v_mfma_f32_16x16x16f16 v[18:21], v[56:57], v[8:9], v[18:21]
	s_and_saveexec_b64 s[4:5], s[6:7]
	s_cbranch_execz .LBB610_119
; %bb.114:                              ;   in Loop: Header=BB610_17 Depth=1
	v_cmp_ne_u16_sdwa s[10:11], v32, s13 src0_sel:BYTE_0 src1_sel:DWORD
	v_bfrev_b32_e32 v23, 1
	s_and_saveexec_b64 s[6:7], s[10:11]
	s_cbranch_execz .LBB610_118
; %bb.115:                              ;   in Loop: Header=BB610_17 Depth=1
	v_and_b32_e32 v34, 0x7f, v32
	v_cmp_ne_u32_e32 vcc, s14, v34
	v_mov_b32_e32 v23, 0x7f800001
	s_and_saveexec_b64 s[10:11], vcc
	s_cbranch_execz .LBB610_117
; %bb.116:                              ;   in Loop: Header=BB610_17 Depth=1
	v_and_b32_e32 v23, 7, v32
	v_ffbh_u32_e32 v42, v23
	v_min_u32_e32 v42, 32, v42
	v_subrev_u32_e32 v44, 28, v42
	v_lshlrev_b64 v[52:53], v44, v[32:33]
	v_lshrrev_b32_e32 v40, 3, v34
	v_sub_u32_e32 v42, 29, v42
	v_and_b32_e32 v44, 7, v52
	v_cmp_gt_u32_e32 vcc, 8, v34
	v_cndmask_b32_e32 v34, v40, v42, vcc
	v_cndmask_b32_e32 v23, v23, v44, vcc
	v_lshlrev_b32_e32 v40, 24, v32
	v_lshlrev_b32_e32 v23, 20, v23
	v_and_b32_e32 v40, 0x80000000, v40
	v_lshl_add_u32 v34, v34, 23, v38
	v_or3_b32 v23, v40, v34, v23
.LBB610_117:                            ;   in Loop: Header=BB610_17 Depth=1
	s_or_b64 exec, exec, s[10:11]
.LBB610_118:                            ;   in Loop: Header=BB610_17 Depth=1
	s_or_b64 exec, exec, s[6:7]
.LBB610_119:                            ;   in Loop: Header=BB610_17 Depth=1
	s_or_b64 exec, exec, s[4:5]
	v_lshrrev_b16_e32 v34, 8, v32
	v_cmp_ne_u16_e32 vcc, 0, v34
	v_mov_b32_e32 v40, 0
	v_mov_b32_e32 v42, 0
	s_and_saveexec_b64 s[4:5], vcc
	s_cbranch_execz .LBB610_125
; %bb.120:                              ;   in Loop: Header=BB610_17 Depth=1
	v_cmp_ne_u16_e32 vcc, s13, v34
	v_bfrev_b32_e32 v42, 1
	s_and_saveexec_b64 s[6:7], vcc
	s_cbranch_execz .LBB610_124
; %bb.121:                              ;   in Loop: Header=BB610_17 Depth=1
	v_and_b32_e32 v44, 0x7f, v34
	v_cmp_ne_u32_e32 vcc, s14, v44
	v_mov_b32_e32 v42, 0x7f800001
	s_and_saveexec_b64 s[10:11], vcc
	s_cbranch_execz .LBB610_123
; %bb.122:                              ;   in Loop: Header=BB610_17 Depth=1
	v_and_b32_e32 v42, 7, v34
	v_ffbh_u32_e32 v52, v42
	v_min_u32_e32 v55, 32, v52
	v_subrev_u32_e32 v52, 28, v55
	v_lshlrev_b64 v[52:53], v52, v[34:35]
	v_lshrrev_b32_e32 v54, 3, v44
	v_sub_u32_e32 v34, 29, v55
	v_and_b32_e32 v52, 7, v52
	v_cmp_gt_u32_e32 vcc, 8, v44
	v_cndmask_b32_e32 v34, v54, v34, vcc
	v_cndmask_b32_e32 v42, v42, v52, vcc
	v_lshlrev_b32_e32 v44, 16, v32
	v_lshlrev_b32_e32 v42, 20, v42
	v_and_b32_e32 v44, 0x80000000, v44
	v_lshl_add_u32 v34, v34, 23, v38
	v_or3_b32 v42, v44, v34, v42
.LBB610_123:                            ;   in Loop: Header=BB610_17 Depth=1
	s_or_b64 exec, exec, s[10:11]
.LBB610_124:                            ;   in Loop: Header=BB610_17 Depth=1
	s_or_b64 exec, exec, s[6:7]
.LBB610_125:                            ;   in Loop: Header=BB610_17 Depth=1
	s_or_b64 exec, exec, s[4:5]
	v_lshrrev_b32_e32 v34, 16, v32
	v_cmp_ne_u16_sdwa s[6:7], v34, v35 src0_sel:BYTE_0 src1_sel:DWORD
	s_and_saveexec_b64 s[4:5], s[6:7]
	s_cbranch_execz .LBB610_131
; %bb.126:                              ;   in Loop: Header=BB610_17 Depth=1
	v_cmp_ne_u16_sdwa s[10:11], v34, s13 src0_sel:BYTE_0 src1_sel:DWORD
	v_bfrev_b32_e32 v40, 1
	s_and_saveexec_b64 s[6:7], s[10:11]
	s_cbranch_execz .LBB610_130
; %bb.127:                              ;   in Loop: Header=BB610_17 Depth=1
	v_bfe_u32 v44, v32, 16, 7
	v_cmp_ne_u32_e32 vcc, s14, v44
	v_mov_b32_e32 v40, 0x7f800001
	s_and_saveexec_b64 s[10:11], vcc
	s_cbranch_execz .LBB610_129
; %bb.128:                              ;   in Loop: Header=BB610_17 Depth=1
	v_and_b32_e32 v40, 7, v34
	v_ffbh_u32_e32 v52, v40
	v_min_u32_e32 v55, 32, v52
	v_subrev_u32_e32 v52, 28, v55
	v_lshlrev_b64 v[52:53], v52, v[34:35]
	v_lshrrev_b32_e32 v54, 3, v44
	v_sub_u32_e32 v53, 29, v55
	v_and_b32_e32 v52, 7, v52
	v_cmp_gt_u32_e32 vcc, 8, v44
	v_cndmask_b32_e32 v44, v54, v53, vcc
	v_cndmask_b32_e32 v40, v40, v52, vcc
	v_lshlrev_b32_e32 v34, 24, v34
	v_lshlrev_b32_e32 v40, 20, v40
	v_and_b32_e32 v34, 0x80000000, v34
	v_lshl_add_u32 v44, v44, 23, v38
	v_or3_b32 v40, v34, v44, v40
.LBB610_129:                            ;   in Loop: Header=BB610_17 Depth=1
	s_or_b64 exec, exec, s[10:11]
.LBB610_130:                            ;   in Loop: Header=BB610_17 Depth=1
	s_or_b64 exec, exec, s[6:7]
.LBB610_131:                            ;   in Loop: Header=BB610_17 Depth=1
	s_or_b64 exec, exec, s[4:5]
	v_cmp_lt_u32_e32 vcc, s15, v32
	v_mov_b32_e32 v44, 0
	v_mov_b32_e32 v52, 0
	s_and_saveexec_b64 s[4:5], vcc
	s_cbranch_execz .LBB610_137
; %bb.132:                              ;   in Loop: Header=BB610_17 Depth=1
	v_lshrrev_b32_e32 v34, 24, v32
	v_cmp_ne_u32_e32 vcc, s13, v34
	v_bfrev_b32_e32 v52, 1
	s_and_saveexec_b64 s[6:7], vcc
	s_cbranch_execz .LBB610_136
; %bb.133:                              ;   in Loop: Header=BB610_17 Depth=1
	v_bfe_u32 v32, v32, 24, 7
	v_cmp_ne_u32_e32 vcc, s14, v32
	v_mov_b32_e32 v52, 0x7f800001
	s_and_saveexec_b64 s[10:11], vcc
	s_cbranch_execz .LBB610_135
; %bb.134:                              ;   in Loop: Header=BB610_17 Depth=1
	v_and_b32_e32 v54, 7, v34
	v_ffbh_u32_e32 v52, v54
	v_min_u32_e32 v56, 32, v52
	v_subrev_u32_e32 v52, 28, v56
	v_lshlrev_b64 v[52:53], v52, v[34:35]
	v_lshrrev_b32_e32 v55, 3, v32
	v_sub_u32_e32 v53, 29, v56
	v_and_b32_e32 v52, 7, v52
	v_cmp_gt_u32_e32 vcc, 8, v32
	v_cndmask_b32_e32 v32, v55, v53, vcc
	v_cndmask_b32_e32 v52, v54, v52, vcc
	v_lshlrev_b32_e32 v34, 24, v34
	v_lshlrev_b32_e32 v52, 20, v52
	v_and_b32_e32 v34, 0x80000000, v34
	v_lshl_add_u32 v32, v32, 23, v38
	v_or3_b32 v52, v34, v32, v52
.LBB610_135:                            ;   in Loop: Header=BB610_17 Depth=1
	s_or_b64 exec, exec, s[10:11]
.LBB610_136:                            ;   in Loop: Header=BB610_17 Depth=1
	s_or_b64 exec, exec, s[6:7]
.LBB610_137:                            ;   in Loop: Header=BB610_17 Depth=1
	s_or_b64 exec, exec, s[4:5]
	s_waitcnt vmcnt(2)
	v_cmp_ne_u16_sdwa s[6:7], v30, v35 src0_sel:BYTE_0 src1_sel:DWORD
	s_and_saveexec_b64 s[4:5], s[6:7]
	s_cbranch_execz .LBB610_143
; %bb.138:                              ;   in Loop: Header=BB610_17 Depth=1
	v_cmp_ne_u16_sdwa s[10:11], v30, s13 src0_sel:BYTE_0 src1_sel:DWORD
	v_bfrev_b32_e32 v44, 1
	s_and_saveexec_b64 s[6:7], s[10:11]
	s_cbranch_execz .LBB610_142
; %bb.139:                              ;   in Loop: Header=BB610_17 Depth=1
	v_and_b32_e32 v32, 0x7f, v30
	v_cmp_ne_u32_e32 vcc, s14, v32
	v_mov_b32_e32 v44, 0x7f800001
	s_and_saveexec_b64 s[10:11], vcc
	s_cbranch_execz .LBB610_141
; %bb.140:                              ;   in Loop: Header=BB610_17 Depth=1
	v_and_b32_e32 v34, 7, v30
	v_ffbh_u32_e32 v53, v34
	v_min_u32_e32 v53, 32, v53
	v_subrev_u32_e32 v54, 28, v53
	v_lshlrev_b64 v[54:55], v54, v[30:31]
	v_lshrrev_b32_e32 v44, 3, v32
	v_sub_u32_e32 v53, 29, v53
	v_and_b32_e32 v54, 7, v54
	v_cmp_gt_u32_e32 vcc, 8, v32
	v_cndmask_b32_e32 v32, v44, v53, vcc
	v_cndmask_b32_e32 v34, v34, v54, vcc
	v_lshlrev_b32_e32 v44, 24, v30
	v_lshlrev_b32_e32 v34, 20, v34
	v_and_b32_e32 v44, 0x80000000, v44
	v_lshl_add_u32 v32, v32, 23, v38
	v_or3_b32 v44, v44, v32, v34
.LBB610_141:                            ;   in Loop: Header=BB610_17 Depth=1
	s_or_b64 exec, exec, s[10:11]
.LBB610_142:                            ;   in Loop: Header=BB610_17 Depth=1
	s_or_b64 exec, exec, s[6:7]
.LBB610_143:                            ;   in Loop: Header=BB610_17 Depth=1
	s_or_b64 exec, exec, s[4:5]
	v_lshrrev_b16_e32 v32, 8, v30
	v_cmp_ne_u16_e32 vcc, 0, v32
	v_mov_b32_e32 v53, 0
	v_mov_b32_e32 v54, 0
	s_and_saveexec_b64 s[4:5], vcc
	s_cbranch_execz .LBB610_149
; %bb.144:                              ;   in Loop: Header=BB610_17 Depth=1
	v_cmp_ne_u16_e32 vcc, s13, v32
	v_bfrev_b32_e32 v54, 1
	s_and_saveexec_b64 s[6:7], vcc
	s_cbranch_execz .LBB610_148
; %bb.145:                              ;   in Loop: Header=BB610_17 Depth=1
	v_and_b32_e32 v34, 0x7f, v32
	v_cmp_ne_u32_e32 vcc, s14, v34
	v_mov_b32_e32 v54, 0x7f800001
	s_and_saveexec_b64 s[10:11], vcc
	s_cbranch_execz .LBB610_147
; %bb.146:                              ;   in Loop: Header=BB610_17 Depth=1
	v_and_b32_e32 v56, 7, v32
	v_ffbh_u32_e32 v54, v56
	v_min_u32_e32 v58, 32, v54
	v_subrev_u32_e32 v54, 28, v58
	v_lshlrev_b64 v[54:55], v54, v[32:33]
	v_lshrrev_b32_e32 v57, 3, v34
	v_sub_u32_e32 v32, 29, v58
	v_and_b32_e32 v54, 7, v54
	v_cmp_gt_u32_e32 vcc, 8, v34
	v_cndmask_b32_e32 v32, v57, v32, vcc
	v_cndmask_b32_e32 v34, v56, v54, vcc
	v_lshlrev_b32_e32 v54, 16, v30
	v_lshlrev_b32_e32 v34, 20, v34
	v_and_b32_e32 v54, 0x80000000, v54
	v_lshl_add_u32 v32, v32, 23, v38
	v_or3_b32 v54, v54, v32, v34
.LBB610_147:                            ;   in Loop: Header=BB610_17 Depth=1
	s_or_b64 exec, exec, s[10:11]
.LBB610_148:                            ;   in Loop: Header=BB610_17 Depth=1
	s_or_b64 exec, exec, s[6:7]
.LBB610_149:                            ;   in Loop: Header=BB610_17 Depth=1
	s_or_b64 exec, exec, s[4:5]
	v_lshrrev_b32_e32 v32, 16, v30
	v_cmp_ne_u16_sdwa s[6:7], v32, v35 src0_sel:BYTE_0 src1_sel:DWORD
	s_and_saveexec_b64 s[4:5], s[6:7]
	s_cbranch_execz .LBB610_155
; %bb.150:                              ;   in Loop: Header=BB610_17 Depth=1
	v_cmp_ne_u16_sdwa s[10:11], v32, s13 src0_sel:BYTE_0 src1_sel:DWORD
	v_bfrev_b32_e32 v53, 1
	s_and_saveexec_b64 s[6:7], s[10:11]
	s_cbranch_execz .LBB610_154
; %bb.151:                              ;   in Loop: Header=BB610_17 Depth=1
	v_bfe_u32 v34, v30, 16, 7
	v_cmp_ne_u32_e32 vcc, s14, v34
	v_mov_b32_e32 v53, 0x7f800001
	s_and_saveexec_b64 s[10:11], vcc
	s_cbranch_execz .LBB610_153
; %bb.152:                              ;   in Loop: Header=BB610_17 Depth=1
	v_and_b32_e32 v53, 7, v32
	v_ffbh_u32_e32 v56, v53
	v_min_u32_e32 v58, 32, v56
	v_subrev_u32_e32 v56, 28, v58
	v_lshlrev_b64 v[56:57], v56, v[32:33]
	v_lshrrev_b32_e32 v55, 3, v34
	v_sub_u32_e32 v57, 29, v58
	v_and_b32_e32 v56, 7, v56
	v_cmp_gt_u32_e32 vcc, 8, v34
	v_cndmask_b32_e32 v34, v55, v57, vcc
	v_cndmask_b32_e32 v53, v53, v56, vcc
	v_lshlrev_b32_e32 v32, 24, v32
	v_lshlrev_b32_e32 v53, 20, v53
	v_and_b32_e32 v32, 0x80000000, v32
	v_lshl_add_u32 v34, v34, 23, v38
	v_or3_b32 v53, v32, v34, v53
.LBB610_153:                            ;   in Loop: Header=BB610_17 Depth=1
	s_or_b64 exec, exec, s[10:11]
.LBB610_154:                            ;   in Loop: Header=BB610_17 Depth=1
	s_or_b64 exec, exec, s[6:7]
.LBB610_155:                            ;   in Loop: Header=BB610_17 Depth=1
	s_or_b64 exec, exec, s[4:5]
	v_cmp_lt_u32_e32 vcc, s15, v30
	v_mov_b32_e32 v34, 0
	v_mov_b32_e32 v55, 0
	s_and_saveexec_b64 s[4:5], vcc
	s_cbranch_execz .LBB610_161
; %bb.156:                              ;   in Loop: Header=BB610_17 Depth=1
	v_lshrrev_b32_e32 v32, 24, v30
	v_cmp_ne_u32_e32 vcc, s13, v32
	v_bfrev_b32_e32 v55, 1
	s_and_saveexec_b64 s[6:7], vcc
	s_cbranch_execz .LBB610_160
; %bb.157:                              ;   in Loop: Header=BB610_17 Depth=1
	v_bfe_u32 v30, v30, 24, 7
	v_cmp_ne_u32_e32 vcc, s14, v30
	v_mov_b32_e32 v55, 0x7f800001
	s_and_saveexec_b64 s[10:11], vcc
	s_cbranch_execz .LBB610_159
; %bb.158:                              ;   in Loop: Header=BB610_17 Depth=1
	v_and_b32_e32 v55, 7, v32
	v_ffbh_u32_e32 v56, v55
	v_min_u32_e32 v59, 32, v56
	v_subrev_u32_e32 v56, 28, v59
	v_lshlrev_b64 v[56:57], v56, v[32:33]
	v_lshrrev_b32_e32 v58, 3, v30
	v_sub_u32_e32 v57, 29, v59
	v_and_b32_e32 v56, 7, v56
	v_cmp_gt_u32_e32 vcc, 8, v30
	v_cndmask_b32_e32 v30, v58, v57, vcc
	v_cndmask_b32_e32 v55, v55, v56, vcc
	v_lshlrev_b32_e32 v32, 24, v32
	v_lshlrev_b32_e32 v55, 20, v55
	v_and_b32_e32 v32, 0x80000000, v32
	v_lshl_add_u32 v30, v30, 23, v38
	v_or3_b32 v55, v32, v30, v55
.LBB610_159:                            ;   in Loop: Header=BB610_17 Depth=1
	s_or_b64 exec, exec, s[10:11]
.LBB610_160:                            ;   in Loop: Header=BB610_17 Depth=1
	s_or_b64 exec, exec, s[6:7]
.LBB610_161:                            ;   in Loop: Header=BB610_17 Depth=1
	s_or_b64 exec, exec, s[4:5]
	v_cvt_pkrtz_f16_f32 v56, v23, v42
	v_cvt_pkrtz_f16_f32 v57, v40, v52
	v_cvt_pkrtz_f16_f32 v52, v44, v54
	v_cvt_pkrtz_f16_f32 v53, v53, v55
	s_waitcnt vmcnt(1)
	v_cmp_ne_u16_sdwa s[6:7], v28, v35 src0_sel:BYTE_0 src1_sel:DWORD
	v_mfma_f32_16x16x16f16 v[18:21], v[56:57], v[10:11], v[18:21]
	v_mfma_f32_16x16x16f16 v[18:21], v[52:53], v[12:13], v[18:21]
	s_and_saveexec_b64 s[4:5], s[6:7]
	s_cbranch_execz .LBB610_167
; %bb.162:                              ;   in Loop: Header=BB610_17 Depth=1
	v_cmp_ne_u16_sdwa s[10:11], v28, s13 src0_sel:BYTE_0 src1_sel:DWORD
	v_bfrev_b32_e32 v34, 1
	s_and_saveexec_b64 s[6:7], s[10:11]
	s_cbranch_execz .LBB610_166
; %bb.163:                              ;   in Loop: Header=BB610_17 Depth=1
	v_and_b32_e32 v23, 0x7f, v28
	v_cmp_ne_u32_e32 vcc, s14, v23
	v_mov_b32_e32 v34, 0x7f800001
	s_and_saveexec_b64 s[10:11], vcc
	s_cbranch_execz .LBB610_165
; %bb.164:                              ;   in Loop: Header=BB610_17 Depth=1
	v_and_b32_e32 v30, 7, v28
	v_ffbh_u32_e32 v34, v30
	v_min_u32_e32 v34, 32, v34
	v_subrev_u32_e32 v40, 28, v34
	v_lshlrev_b64 v[52:53], v40, v[28:29]
	v_lshrrev_b32_e32 v32, 3, v23
	v_sub_u32_e32 v34, 29, v34
	v_and_b32_e32 v40, 7, v52
	v_cmp_gt_u32_e32 vcc, 8, v23
	v_cndmask_b32_e32 v23, v32, v34, vcc
	v_cndmask_b32_e32 v30, v30, v40, vcc
	v_lshlrev_b32_e32 v32, 24, v28
	v_lshlrev_b32_e32 v30, 20, v30
	v_and_b32_e32 v32, 0x80000000, v32
	v_lshl_add_u32 v23, v23, 23, v38
	v_or3_b32 v34, v32, v23, v30
.LBB610_165:                            ;   in Loop: Header=BB610_17 Depth=1
	s_or_b64 exec, exec, s[10:11]
.LBB610_166:                            ;   in Loop: Header=BB610_17 Depth=1
	s_or_b64 exec, exec, s[6:7]
.LBB610_167:                            ;   in Loop: Header=BB610_17 Depth=1
	s_or_b64 exec, exec, s[4:5]
	v_lshrrev_b16_e32 v30, 8, v28
	v_cmp_ne_u16_e32 vcc, 0, v30
	v_mov_b32_e32 v23, 0
	v_mov_b32_e32 v32, 0
	s_and_saveexec_b64 s[4:5], vcc
	s_cbranch_execz .LBB610_173
; %bb.168:                              ;   in Loop: Header=BB610_17 Depth=1
	v_cmp_ne_u16_e32 vcc, s13, v30
	v_bfrev_b32_e32 v32, 1
	s_and_saveexec_b64 s[6:7], vcc
	s_cbranch_execz .LBB610_172
; %bb.169:                              ;   in Loop: Header=BB610_17 Depth=1
	v_and_b32_e32 v40, 0x7f, v30
	v_cmp_ne_u32_e32 vcc, s14, v40
	v_mov_b32_e32 v32, 0x7f800001
	s_and_saveexec_b64 s[10:11], vcc
	s_cbranch_execz .LBB610_171
; %bb.170:                              ;   in Loop: Header=BB610_17 Depth=1
	v_and_b32_e32 v32, 7, v30
	v_ffbh_u32_e32 v44, v32
	v_min_u32_e32 v44, 32, v44
	v_subrev_u32_e32 v52, 28, v44
	v_lshlrev_b64 v[52:53], v52, v[30:31]
	v_lshrrev_b32_e32 v42, 3, v40
	v_sub_u32_e32 v30, 29, v44
	v_and_b32_e32 v44, 7, v52
	v_cmp_gt_u32_e32 vcc, 8, v40
	v_cndmask_b32_e32 v30, v42, v30, vcc
	v_cndmask_b32_e32 v32, v32, v44, vcc
	v_lshlrev_b32_e32 v40, 16, v28
	v_lshlrev_b32_e32 v32, 20, v32
	v_and_b32_e32 v40, 0x80000000, v40
	v_lshl_add_u32 v30, v30, 23, v38
	v_or3_b32 v32, v40, v30, v32
.LBB610_171:                            ;   in Loop: Header=BB610_17 Depth=1
	s_or_b64 exec, exec, s[10:11]
.LBB610_172:                            ;   in Loop: Header=BB610_17 Depth=1
	s_or_b64 exec, exec, s[6:7]
.LBB610_173:                            ;   in Loop: Header=BB610_17 Depth=1
	s_or_b64 exec, exec, s[4:5]
	v_lshrrev_b32_e32 v30, 16, v28
	v_cmp_ne_u16_sdwa s[6:7], v30, v35 src0_sel:BYTE_0 src1_sel:DWORD
	s_and_saveexec_b64 s[4:5], s[6:7]
	s_cbranch_execz .LBB610_179
; %bb.174:                              ;   in Loop: Header=BB610_17 Depth=1
	v_cmp_ne_u16_sdwa s[10:11], v30, s13 src0_sel:BYTE_0 src1_sel:DWORD
	v_bfrev_b32_e32 v23, 1
	s_and_saveexec_b64 s[6:7], s[10:11]
	s_cbranch_execz .LBB610_178
; %bb.175:                              ;   in Loop: Header=BB610_17 Depth=1
	v_bfe_u32 v40, v28, 16, 7
	v_cmp_ne_u32_e32 vcc, s14, v40
	v_mov_b32_e32 v23, 0x7f800001
	s_and_saveexec_b64 s[10:11], vcc
	s_cbranch_execz .LBB610_177
; %bb.176:                              ;   in Loop: Header=BB610_17 Depth=1
	v_and_b32_e32 v23, 7, v30
	v_ffbh_u32_e32 v44, v23
	v_min_u32_e32 v44, 32, v44
	v_subrev_u32_e32 v52, 28, v44
	v_lshlrev_b64 v[52:53], v52, v[30:31]
	v_lshrrev_b32_e32 v42, 3, v40
	v_sub_u32_e32 v44, 29, v44
	v_and_b32_e32 v52, 7, v52
	v_cmp_gt_u32_e32 vcc, 8, v40
	v_cndmask_b32_e32 v40, v42, v44, vcc
	v_cndmask_b32_e32 v23, v23, v52, vcc
	v_lshlrev_b32_e32 v30, 24, v30
	v_lshlrev_b32_e32 v23, 20, v23
	v_and_b32_e32 v30, 0x80000000, v30
	v_lshl_add_u32 v40, v40, 23, v38
	v_or3_b32 v23, v30, v40, v23
.LBB610_177:                            ;   in Loop: Header=BB610_17 Depth=1
	s_or_b64 exec, exec, s[10:11]
.LBB610_178:                            ;   in Loop: Header=BB610_17 Depth=1
	s_or_b64 exec, exec, s[6:7]
.LBB610_179:                            ;   in Loop: Header=BB610_17 Depth=1
	s_or_b64 exec, exec, s[4:5]
	v_cmp_lt_u32_e32 vcc, s15, v28
	v_mov_b32_e32 v40, 0
	v_mov_b32_e32 v42, 0
	s_and_saveexec_b64 s[4:5], vcc
	s_cbranch_execz .LBB610_185
; %bb.180:                              ;   in Loop: Header=BB610_17 Depth=1
	v_lshrrev_b32_e32 v30, 24, v28
	v_cmp_ne_u32_e32 vcc, s13, v30
	v_bfrev_b32_e32 v42, 1
	s_and_saveexec_b64 s[6:7], vcc
	s_cbranch_execz .LBB610_184
; %bb.181:                              ;   in Loop: Header=BB610_17 Depth=1
	v_bfe_u32 v28, v28, 24, 7
	v_cmp_ne_u32_e32 vcc, s14, v28
	v_mov_b32_e32 v42, 0x7f800001
	s_and_saveexec_b64 s[10:11], vcc
	s_cbranch_execz .LBB610_183
; %bb.182:                              ;   in Loop: Header=BB610_17 Depth=1
	v_and_b32_e32 v42, 7, v30
	v_ffbh_u32_e32 v52, v42
	v_min_u32_e32 v54, 32, v52
	v_subrev_u32_e32 v52, 28, v54
	v_lshlrev_b64 v[52:53], v52, v[30:31]
	v_lshrrev_b32_e32 v44, 3, v28
	v_sub_u32_e32 v53, 29, v54
	v_and_b32_e32 v52, 7, v52
	v_cmp_gt_u32_e32 vcc, 8, v28
	v_cndmask_b32_e32 v28, v44, v53, vcc
	v_cndmask_b32_e32 v42, v42, v52, vcc
	v_lshlrev_b32_e32 v30, 24, v30
	v_lshlrev_b32_e32 v42, 20, v42
	v_and_b32_e32 v30, 0x80000000, v30
	v_lshl_add_u32 v28, v28, 23, v38
	v_or3_b32 v42, v30, v28, v42
.LBB610_183:                            ;   in Loop: Header=BB610_17 Depth=1
	s_or_b64 exec, exec, s[10:11]
.LBB610_184:                            ;   in Loop: Header=BB610_17 Depth=1
	s_or_b64 exec, exec, s[6:7]
.LBB610_185:                            ;   in Loop: Header=BB610_17 Depth=1
	s_or_b64 exec, exec, s[4:5]
	s_waitcnt vmcnt(0)
	v_cmp_ne_u16_sdwa s[6:7], v26, v35 src0_sel:BYTE_0 src1_sel:DWORD
	s_and_saveexec_b64 s[4:5], s[6:7]
	s_cbranch_execz .LBB610_191
; %bb.186:                              ;   in Loop: Header=BB610_17 Depth=1
	v_cmp_ne_u16_sdwa s[10:11], v26, s13 src0_sel:BYTE_0 src1_sel:DWORD
	v_bfrev_b32_e32 v40, 1
	s_and_saveexec_b64 s[6:7], s[10:11]
	s_cbranch_execz .LBB610_190
; %bb.187:                              ;   in Loop: Header=BB610_17 Depth=1
	v_and_b32_e32 v28, 0x7f, v26
	v_cmp_ne_u32_e32 vcc, s14, v28
	v_mov_b32_e32 v40, 0x7f800001
	s_and_saveexec_b64 s[10:11], vcc
	s_cbranch_execz .LBB610_189
; %bb.188:                              ;   in Loop: Header=BB610_17 Depth=1
	v_and_b32_e32 v30, 7, v26
	v_ffbh_u32_e32 v44, v30
	v_min_u32_e32 v44, 32, v44
	v_subrev_u32_e32 v52, 28, v44
	v_lshlrev_b64 v[52:53], v52, v[26:27]
	v_lshrrev_b32_e32 v40, 3, v28
	v_sub_u32_e32 v44, 29, v44
	v_and_b32_e32 v52, 7, v52
	v_cmp_gt_u32_e32 vcc, 8, v28
	v_cndmask_b32_e32 v28, v40, v44, vcc
	v_cndmask_b32_e32 v30, v30, v52, vcc
	v_lshlrev_b32_e32 v40, 24, v26
	v_lshlrev_b32_e32 v30, 20, v30
	v_and_b32_e32 v40, 0x80000000, v40
	v_lshl_add_u32 v28, v28, 23, v38
	v_or3_b32 v40, v40, v28, v30
.LBB610_189:                            ;   in Loop: Header=BB610_17 Depth=1
	s_or_b64 exec, exec, s[10:11]
.LBB610_190:                            ;   in Loop: Header=BB610_17 Depth=1
	s_or_b64 exec, exec, s[6:7]
.LBB610_191:                            ;   in Loop: Header=BB610_17 Depth=1
	s_or_b64 exec, exec, s[4:5]
	v_lshrrev_b16_e32 v28, 8, v26
	v_cmp_ne_u16_e32 vcc, 0, v28
	v_mov_b32_e32 v30, 0
	v_mov_b32_e32 v44, 0
	s_and_saveexec_b64 s[4:5], vcc
	s_cbranch_execz .LBB610_197
; %bb.192:                              ;   in Loop: Header=BB610_17 Depth=1
	v_cmp_ne_u16_e32 vcc, s13, v28
	v_bfrev_b32_e32 v44, 1
	s_and_saveexec_b64 s[6:7], vcc
	s_cbranch_execz .LBB610_196
; %bb.193:                              ;   in Loop: Header=BB610_17 Depth=1
	v_and_b32_e32 v52, 0x7f, v28
	v_cmp_ne_u32_e32 vcc, s14, v52
	v_mov_b32_e32 v44, 0x7f800001
	s_and_saveexec_b64 s[10:11], vcc
	s_cbranch_execz .LBB610_195
; %bb.194:                              ;   in Loop: Header=BB610_17 Depth=1
	v_and_b32_e32 v44, 7, v28
	v_ffbh_u32_e32 v54, v44
	v_min_u32_e32 v56, 32, v54
	v_subrev_u32_e32 v54, 28, v56
	v_lshlrev_b64 v[54:55], v54, v[28:29]
	v_lshrrev_b32_e32 v53, 3, v52
	v_sub_u32_e32 v28, 29, v56
	v_and_b32_e32 v54, 7, v54
	v_cmp_gt_u32_e32 vcc, 8, v52
	v_cndmask_b32_e32 v28, v53, v28, vcc
	v_cndmask_b32_e32 v44, v44, v54, vcc
	v_lshlrev_b32_e32 v52, 16, v26
	v_lshlrev_b32_e32 v44, 20, v44
	v_and_b32_e32 v52, 0x80000000, v52
	v_lshl_add_u32 v28, v28, 23, v38
	v_or3_b32 v44, v52, v28, v44
.LBB610_195:                            ;   in Loop: Header=BB610_17 Depth=1
	s_or_b64 exec, exec, s[10:11]
.LBB610_196:                            ;   in Loop: Header=BB610_17 Depth=1
	s_or_b64 exec, exec, s[6:7]
.LBB610_197:                            ;   in Loop: Header=BB610_17 Depth=1
	s_or_b64 exec, exec, s[4:5]
	v_lshrrev_b32_e32 v28, 16, v26
	v_cmp_ne_u16_sdwa s[6:7], v28, v35 src0_sel:BYTE_0 src1_sel:DWORD
	s_and_saveexec_b64 s[4:5], s[6:7]
	s_cbranch_execz .LBB610_203
; %bb.198:                              ;   in Loop: Header=BB610_17 Depth=1
	v_cmp_ne_u16_sdwa s[10:11], v28, s13 src0_sel:BYTE_0 src1_sel:DWORD
	v_bfrev_b32_e32 v30, 1
	s_and_saveexec_b64 s[6:7], s[10:11]
	s_cbranch_execz .LBB610_202
; %bb.199:                              ;   in Loop: Header=BB610_17 Depth=1
	v_bfe_u32 v52, v26, 16, 7
	v_cmp_ne_u32_e32 vcc, s14, v52
	v_mov_b32_e32 v30, 0x7f800001
	s_and_saveexec_b64 s[10:11], vcc
	s_cbranch_execz .LBB610_201
; %bb.200:                              ;   in Loop: Header=BB610_17 Depth=1
	v_and_b32_e32 v30, 7, v28
	v_ffbh_u32_e32 v54, v30
	v_min_u32_e32 v56, 32, v54
	v_subrev_u32_e32 v54, 28, v56
	v_lshlrev_b64 v[54:55], v54, v[28:29]
	v_lshrrev_b32_e32 v53, 3, v52
	v_sub_u32_e32 v55, 29, v56
	v_and_b32_e32 v54, 7, v54
	v_cmp_gt_u32_e32 vcc, 8, v52
	v_cndmask_b32_e32 v52, v53, v55, vcc
	v_cndmask_b32_e32 v30, v30, v54, vcc
	v_lshlrev_b32_e32 v28, 24, v28
	v_lshlrev_b32_e32 v30, 20, v30
	v_and_b32_e32 v28, 0x80000000, v28
	v_lshl_add_u32 v52, v52, 23, v38
	v_or3_b32 v30, v28, v52, v30
.LBB610_201:                            ;   in Loop: Header=BB610_17 Depth=1
	s_or_b64 exec, exec, s[10:11]
.LBB610_202:                            ;   in Loop: Header=BB610_17 Depth=1
	s_or_b64 exec, exec, s[6:7]
.LBB610_203:                            ;   in Loop: Header=BB610_17 Depth=1
	s_or_b64 exec, exec, s[4:5]
	v_cmp_lt_u32_e32 vcc, s15, v26
	v_mov_b32_e32 v52, 0
	s_and_saveexec_b64 s[4:5], vcc
	s_cbranch_execz .LBB610_16
; %bb.204:                              ;   in Loop: Header=BB610_17 Depth=1
	v_lshrrev_b32_e32 v28, 24, v26
	v_cmp_ne_u32_e32 vcc, s13, v28
	v_bfrev_b32_e32 v52, 1
	s_and_saveexec_b64 s[6:7], vcc
	s_cbranch_execz .LBB610_15
; %bb.205:                              ;   in Loop: Header=BB610_17 Depth=1
	v_bfe_u32 v26, v26, 24, 7
	v_cmp_ne_u32_e32 vcc, s14, v26
	v_mov_b32_e32 v52, 0x7f800001
	s_and_saveexec_b64 s[10:11], vcc
	s_cbranch_execz .LBB610_14
; %bb.206:                              ;   in Loop: Header=BB610_17 Depth=1
	v_and_b32_e32 v54, 7, v28
	v_ffbh_u32_e32 v52, v54
	v_min_u32_e32 v56, 32, v52
	v_subrev_u32_e32 v52, 28, v56
	v_lshlrev_b64 v[52:53], v52, v[28:29]
	v_lshrrev_b32_e32 v55, 3, v26
	v_sub_u32_e32 v53, 29, v56
	v_and_b32_e32 v52, 7, v52
	v_cmp_gt_u32_e32 vcc, 8, v26
	v_cndmask_b32_e32 v26, v55, v53, vcc
	v_cndmask_b32_e32 v52, v54, v52, vcc
	v_lshlrev_b32_e32 v28, 24, v28
	v_lshlrev_b32_e32 v52, 20, v52
	v_and_b32_e32 v28, 0x80000000, v28
	v_lshl_add_u32 v26, v26, 23, v38
	v_or3_b32 v52, v28, v26, v52
	s_branch .LBB610_14
.LBB610_207:
	buffer_load_dword v17, off, s[0:3], 0 offset:256
	buffer_load_dword v16, off, s[0:3], 0 offset:260
	;; [unrolled: 1-line block ×16, first 2 shown]
	v_and_b32_e32 v18, 0xc0, v0
	v_add_u32_e32 v18, s20, v18
	v_lshl_or_b32 v18, v1, 2, v18
	v_or_b32_e32 v20, 1, v18
	v_subrev_u32_e32 v24, s33, v20
	v_add_u32_e32 v26, 1, v24
	v_cvt_f32_i32_e32 v25, v24
	v_add_u32_e32 v28, 2, v24
	v_add_u32_e32 v30, 3, v24
	;; [unrolled: 1-line block ×14, first 2 shown]
	v_cvt_f32_i32_e32 v26, v26
	v_cvt_f32_i32_e32 v28, v28
	;; [unrolled: 1-line block ×4, first 2 shown]
	v_mov_b32_e32 v19, 0xff7fffff
	v_or_b32_e32 v21, 2, v18
	v_or_b32_e32 v22, 3, v18
	v_cvt_f32_i32_e32 v32, v32
	v_cvt_f32_i32_e32 v34, v34
	v_cmp_gt_i32_e64 s[28:29], s33, v18
	v_cmp_gt_i32_e64 s[30:31], s33, v20
	s_mov_b32 s52, 0xff7fffff
	v_cmp_gt_i32_e64 s[34:35], s33, v21
	v_cmp_gt_i32_e64 s[36:37], s33, v22
	v_or_b32_e32 v23, 16, v18
	v_cvt_f32_i32_e32 v35, v35
	v_cvt_f32_i32_e32 v36, v36
	v_cmp_gt_i32_e64 s[24:25], s33, v23
	v_cvt_f32_i32_e32 v37, v37
	v_cvt_f32_i32_e32 v38, v38
	;; [unrolled: 1-line block ×7, first 2 shown]
	s_waitcnt vmcnt(15)
	v_fmac_f32_e32 v17, v31, v25
	s_waitcnt vmcnt(14)
	v_fmac_f32_e32 v16, v31, v26
	;; [unrolled: 2-line block ×4, first 2 shown]
	v_cndmask_b32_e64 v20, v19, v16, s[30:31]
	v_cndmask_b32_e64 v21, v19, v15, s[34:35]
	;; [unrolled: 1-line block ×3, first 2 shown]
	s_waitcnt vmcnt(11)
	v_fmac_f32_e32 v13, v31, v32
	s_waitcnt vmcnt(10)
	v_fmac_f32_e32 v12, v31, v34
	;; [unrolled: 2-line block ×9, first 2 shown]
	v_cndmask_b32_e64 v24, v19, v17, s[28:29]
	v_max3_f32 v20, v24, s52, v20
	v_max3_f32 v20, v20, v21, v22
	v_or_b32_e32 v22, 17, v18
	v_cmp_gt_i32_e64 s[38:39], s33, v22
	v_cndmask_b32_e64 v21, v19, v13, s[24:25]
	v_cndmask_b32_e64 v22, v19, v12, s[38:39]
	v_max3_f32 v20, v20, v21, v22
	v_or_b32_e32 v21, 18, v18
	v_or_b32_e32 v22, 19, v18
	v_cmp_gt_i32_e64 s[20:21], s33, v21
	v_cmp_gt_i32_e64 s[22:23], s33, v22
	v_cndmask_b32_e64 v21, v19, v11, s[20:21]
	v_cndmask_b32_e64 v22, v19, v10, s[22:23]
	v_max3_f32 v20, v20, v21, v22
	v_or_b32_e32 v21, 32, v18
	v_or_b32_e32 v22, 33, v18
	v_cmp_gt_i32_e64 s[16:17], s33, v21
	;; [unrolled: 7-line block ×3, first 2 shown]
	v_cmp_gt_i32_e64 s[14:15], s33, v22
	v_cndmask_b32_e64 v21, v19, v7, s[12:13]
	v_cndmask_b32_e64 v22, v19, v6, s[14:15]
	v_max3_f32 v20, v20, v21, v22
	v_or_b32_e32 v21, 48, v18
	v_or_b32_e32 v22, 49, v18
	v_fmac_f32_e32 v5, v31, v44
	v_fmac_f32_e32 v4, v31, v52
	v_cmp_gt_i32_e64 s[6:7], s33, v21
	v_cmp_gt_i32_e64 s[10:11], s33, v22
	v_cndmask_b32_e64 v21, v19, v5, s[6:7]
	v_cndmask_b32_e64 v22, v19, v4, s[10:11]
	v_max3_f32 v20, v20, v21, v22
	v_or_b32_e32 v21, 50, v18
	v_or_b32_e32 v18, 51, v18
	v_fmac_f32_e32 v3, v31, v53
	v_cmp_gt_i32_e32 vcc, s33, v21
	v_cmp_gt_i32_e64 s[4:5], s33, v18
	v_cndmask_b32_e32 v21, v19, v3, vcc
	v_cndmask_b32_e64 v18, v19, v2, s[4:5]
	v_mbcnt_lo_u32_b32 v19, -1, 0
	v_mbcnt_hi_u32_b32 v19, -1, v19
	v_max3_f32 v18, v20, v21, v18
	v_and_b32_e32 v20, 64, v19
	v_add_u32_e32 v20, 64, v20
	v_xor_b32_e32 v21, 32, v19
	v_cmp_lt_i32_e64 s[40:41], v21, v20
	v_cndmask_b32_e64 v21, v19, v21, s[40:41]
	v_lshlrev_b32_e32 v21, 2, v21
	ds_bpermute_b32 v22, v21, v18
	s_waitcnt lgkmcnt(0)
	v_max_f32_e32 v22, v22, v22
	v_max_f32_e32 v18, v18, v22
	v_xor_b32_e32 v22, 16, v19
	v_cmp_lt_i32_e64 s[40:41], v22, v20
	v_cndmask_b32_e64 v19, v19, v22, s[40:41]
	v_lshlrev_b32_e32 v19, 2, v19
	ds_bpermute_b32 v20, v19, v18
	s_waitcnt lgkmcnt(0)
	v_max_f32_e32 v20, v20, v20
	v_max_f32_e32 v18, v18, v20
	v_sub_f32_e32 v17, v17, v18
	v_mul_f32_e32 v17, 0x3fb8aa3b, v17
	v_sub_f32_e32 v16, v16, v18
	v_exp_f32_e32 v17, v17
	v_mul_f32_e32 v16, 0x3fb8aa3b, v16
	v_sub_f32_e32 v15, v15, v18
	v_exp_f32_e32 v16, v16
	;; [unrolled: 3-line block ×4, first 2 shown]
	v_mul_f32_e32 v13, 0x3fb8aa3b, v13
	v_sub_f32_e32 v12, v12, v18
	v_cndmask_b32_e64 v17, 0, v17, s[28:29]
	v_exp_f32_e32 v13, v13
	v_mul_f32_e32 v12, 0x3fb8aa3b, v12
	v_sub_f32_e32 v11, v11, v18
	v_add_f32_e32 v20, 0, v17
	v_cndmask_b32_e64 v16, 0, v16, s[30:31]
	v_exp_f32_e32 v12, v12
	v_mul_f32_e32 v11, 0x3fb8aa3b, v11
	v_sub_f32_e32 v10, v10, v18
	v_add_f32_e32 v20, v20, v16
	;; [unrolled: 5-line block ×4, first 2 shown]
	v_cndmask_b32_e64 v13, 0, v13, s[24:25]
	v_exp_f32_e32 v9, v9
	v_mul_f32_e32 v8, 0x3fb8aa3b, v8
	v_sub_f32_e32 v7, v7, v18
	buffer_store_dword v17, off, s[0:3], 0 offset:256
	buffer_store_dword v16, off, s[0:3], 0 offset:260
	;; [unrolled: 1-line block ×4, first 2 shown]
	v_add_f32_e32 v14, v20, v13
	v_cndmask_b32_e64 v12, 0, v12, s[38:39]
	v_exp_f32_e32 v8, v8
	v_mul_f32_e32 v7, 0x3fb8aa3b, v7
	v_sub_f32_e32 v6, v6, v18
	v_add_f32_e32 v14, v14, v12
	v_cndmask_b32_e64 v11, 0, v11, s[20:21]
	v_exp_f32_e32 v7, v7
	v_mul_f32_e32 v6, 0x3fb8aa3b, v6
	v_sub_f32_e32 v5, v5, v18
	;; [unrolled: 5-line block ×4, first 2 shown]
	buffer_store_dword v13, off, s[0:3], 0 offset:272
	buffer_store_dword v12, off, s[0:3], 0 offset:276
	;; [unrolled: 1-line block ×4, first 2 shown]
	v_add_f32_e32 v10, v14, v9
	v_cndmask_b32_e64 v8, 0, v8, s[18:19]
	v_exp_f32_e32 v4, v4
	v_mul_f32_e32 v3, 0x3fb8aa3b, v3
	v_sub_f32_e32 v2, v2, v18
	v_add_f32_e32 v10, v10, v8
	v_cndmask_b32_e64 v7, 0, v7, s[12:13]
	v_exp_f32_e32 v3, v3
	v_mul_f32_e32 v2, 0x3fb8aa3b, v2
	v_add_f32_e32 v10, v10, v7
	v_cndmask_b32_e64 v6, 0, v6, s[14:15]
	v_exp_f32_e32 v2, v2
	v_add_f32_e32 v10, v10, v6
	v_cndmask_b32_e64 v5, 0, v5, s[6:7]
	buffer_store_dword v9, off, s[0:3], 0 offset:288
	buffer_store_dword v8, off, s[0:3], 0 offset:292
	;; [unrolled: 1-line block ×4, first 2 shown]
	v_add_f32_e32 v6, v10, v5
	v_cndmask_b32_e64 v4, 0, v4, s[10:11]
	v_add_f32_e32 v6, v6, v4
	v_cndmask_b32_e32 v3, 0, v3, vcc
	v_add_f32_e32 v6, v6, v3
	v_cndmask_b32_e64 v2, 0, v2, s[4:5]
	v_add_f32_e32 v6, v6, v2
	ds_bpermute_b32 v7, v21, v6
	buffer_store_dword v5, off, s[0:3], 0 offset:304
	buffer_store_dword v4, off, s[0:3], 0 offset:308
	;; [unrolled: 1-line block ×4, first 2 shown]
	v_cmp_gt_u32_e64 s[4:5], 16, v33
	s_waitcnt lgkmcnt(0)
	s_barrier
	v_add_f32_e32 v2, v6, v7
	ds_bpermute_b32 v3, v19, v2
	s_waitcnt lgkmcnt(0)
	s_and_saveexec_b64 s[6:7], s[4:5]
	s_cbranch_execz .LBB610_209
; %bb.208:
	v_add_f32_e32 v2, v2, v3
	v_lshlrev_b32_e32 v3, 2, v29
	ds_write2st64_b32 v3, v18, v2 offset1:1
.LBB610_209:
	s_or_b64 exec, exec, s[6:7]
	v_lshlrev_b32_e32 v2, 2, v41
	s_waitcnt lgkmcnt(0)
	s_barrier
	ds_read2_b32 v[12:13], v2 offset1:16
	ds_read2_b32 v[14:15], v2 offset0:32 offset1:48
	ds_read2_b32 v[6:7], v2 offset0:64 offset1:80
	;; [unrolled: 1-line block ×3, first 2 shown]
	s_waitcnt lgkmcnt(0)
	s_barrier
	buffer_load_dword v20, off, s[0:3], 0 offset:256
	buffer_load_dword v21, off, s[0:3], 0 offset:260
	;; [unrolled: 1-line block ×16, first 2 shown]
	v_lshlrev_b32_e32 v19, 3, v1
	v_lshlrev_b32_e32 v18, 5, v41
	;; [unrolled: 1-line block ×3, first 2 shown]
	v_or3_b32 v52, v26, v18, v19
	v_max3_f32 v19, v12, s52, v13
	v_max3_f32 v19, v19, v14, v15
	v_sub_f32_e32 v12, v12, v19
	v_sub_f32_e32 v13, v13, v19
	v_mul_f32_e32 v12, 0x3fb8aa3b, v12
	v_sub_f32_e32 v14, v14, v19
	v_mul_f32_e32 v13, 0x3fb8aa3b, v13
	v_exp_f32_e32 v12, v12
	v_sub_f32_e32 v15, v15, v19
	v_mul_f32_e32 v14, 0x3fb8aa3b, v14
	v_exp_f32_e32 v13, v13
	v_mul_f32_e32 v15, 0x3fb8aa3b, v15
	v_exp_f32_e32 v14, v14
	v_exp_f32_e32 v15, v15
	v_fma_f32 v6, v12, v6, 0
	v_fmac_f32_e32 v6, v13, v7
	v_fmac_f32_e32 v6, v14, v10
	;; [unrolled: 1-line block ×3, first 2 shown]
	v_cmp_eq_u32_e32 vcc, 1, v27
	v_add_f32_e32 v10, 0x358637bd, v6
	v_cndmask_b32_e32 v12, v12, v13, vcc
	v_cmp_eq_u32_e32 vcc, 2, v27
	v_div_scale_f32 v11, s[6:7], v10, v10, 1.0
	v_cndmask_b32_e32 v7, v12, v14, vcc
	v_rcp_f32_e32 v12, v11
	v_cmp_eq_u32_e32 vcc, 3, v27
	v_cndmask_b32_e32 v7, v7, v15, vcc
	v_div_scale_f32 v13, vcc, 1.0, v10, 1.0
	v_fma_f32 v14, -v11, v12, 1.0
	v_fmac_f32_e32 v12, v14, v12
	v_mul_f32_e32 v14, v13, v12
	v_fma_f32 v15, -v11, v14, v13
	v_fmac_f32_e32 v14, v15, v12
	v_fma_f32 v11, -v11, v14, v13
	v_div_fmas_f32 v11, v11, v12, v14
	v_div_fixup_f32 v10, v11, v10, 1.0
	v_mul_f32_e32 v10, v7, v10
	s_mul_i32 s20, s49, 5
	v_cmp_gt_u32_e32 vcc, 5, v0
	s_waitcnt vmcnt(14)
	v_pk_mul_f32 v[14:15], v[10:11], v[20:21] op_sel_hi:[0,1]
	v_cvt_f16_f32_e32 v7, v14
	s_waitcnt vmcnt(12)
	v_pk_mul_f32 v[12:13], v[10:11], v[22:23] op_sel_hi:[0,1]
	buffer_store_dword v14, off, s[0:3], 0 offset:256
	buffer_store_dword v15, off, s[0:3], 0 offset:260
	;; [unrolled: 1-line block ×3, first 2 shown]
	s_waitcnt vmcnt(13)
	v_pk_mul_f32 v[20:21], v[10:11], v[24:25] op_sel_hi:[0,1]
	v_cvt_f16_f32_e32 v14, v12
	s_waitcnt vmcnt(11)
	v_pk_mul_f32 v[22:23], v[10:11], v[28:29] op_sel_hi:[0,1]
	v_cvt_f16_f32_e32 v11, v15
	v_cvt_f16_f32_e32 v15, v13
	buffer_store_dword v13, off, s[0:3], 0 offset:268
	buffer_store_dword v22, off, s[0:3], 0 offset:272
	;; [unrolled: 1-line block ×3, first 2 shown]
	v_pack_b32_f16 v12, v7, v11
	v_cvt_f16_f32_e32 v11, v23
	v_pack_b32_f16 v13, v14, v15
	v_cvt_f16_f32_e32 v7, v22
	v_cvt_f16_f32_e32 v15, v20
	v_cvt_f16_f32_e32 v22, v21
	s_waitcnt vmcnt(12)
	v_pk_mul_f32 v[4:5], v[10:11], v[4:5] op_sel_hi:[0,1]
	v_pack_b32_f16 v14, v7, v11
	s_waitcnt vmcnt(10)
	v_pk_mul_f32 v[2:3], v[10:11], v[2:3] op_sel_hi:[0,1]
	v_pack_b32_f16 v15, v15, v22
	v_cvt_f16_f32_e32 v11, v5
	buffer_store_dword v20, off, s[0:3], 0 offset:280
	buffer_store_dword v21, off, s[0:3], 0 offset:284
	ds_write2st64_b64 v52, v[12:13], v[14:15] offset1:1
	buffer_store_dword v2, off, s[0:3], 0 offset:288
	buffer_store_dword v3, off, s[0:3], 0 offset:292
	v_cvt_f16_f32_e32 v2, v2
	v_cvt_f16_f32_e32 v3, v3
	;; [unrolled: 1-line block ×3, first 2 shown]
	buffer_store_dword v4, off, s[0:3], 0 offset:296
	buffer_store_dword v5, off, s[0:3], 0 offset:300
	s_waitcnt vmcnt(12)
	v_pk_mul_f32 v[4:5], v[10:11], v[16:17] op_sel_hi:[0,1]
	v_pk_mul_f32 v[8:9], v[10:11], v[8:9] op_sel_hi:[0,1]
	v_pack_b32_f16 v2, v2, v3
	v_pack_b32_f16 v3, v7, v11
	buffer_store_dword v8, off, s[0:3], 0 offset:304
	buffer_store_dword v9, off, s[0:3], 0 offset:308
	v_cvt_f16_f32_e32 v7, v8
	v_cvt_f16_f32_e32 v8, v9
	;; [unrolled: 1-line block ×4, first 2 shown]
	buffer_store_dword v4, off, s[0:3], 0 offset:312
	buffer_store_dword v5, off, s[0:3], 0 offset:316
	v_pack_b32_f16 v4, v7, v8
	v_pack_b32_f16 v5, v9, v10
	ds_write2st64_b64 v52, v[2:3], v[4:5] offset0:2 offset1:3
	s_and_saveexec_b64 s[6:7], vcc
	s_cbranch_execz .LBB610_211
; %bb.210:
	v_add_co_u32_e32 v4, vcc, s27, v41
	v_addc_co_u32_e64 v5, s[10:11], 0, 0, vcc
	v_mov_b32_e32 v2, s20
	v_mov_b32_e32 v3, 0
	v_mad_u64_u32 v[4:5], s[10:11], s8, v2, v[4:5]
	v_mov_b32_e32 v2, s26
	s_mul_i32 s9, s9, s20
	v_mad_u64_u32 v[2:3], s[10:11], v4, s48, v[2:3]
	v_add_u32_e32 v5, s9, v5
	v_mov_b32_e32 v4, v3
	v_mad_u64_u32 v[4:5], s[10:11], v5, s48, v[4:5]
	v_mov_b32_e32 v3, v4
	v_lshlrev_b64 v[2:3], 2, v[2:3]
	v_mov_b32_e32 v5, s47
	v_add_co_u32_e32 v4, vcc, s46, v2
	v_addc_co_u32_e32 v5, vcc, v5, v3, vcc
	global_store_dword v[4:5], v19, off
	v_mov_b32_e32 v4, s45
	v_add_co_u32_e32 v2, vcc, s44, v2
	v_addc_co_u32_e32 v3, vcc, v4, v3, vcc
	global_store_dword v[2:3], v6, off
.LBB610_211:
	s_or_b64 exec, exec, s[6:7]
	v_lshl_or_b32 v30, v1, 9, v18
	s_waitcnt lgkmcnt(0)
	s_barrier
	s_load_dword s6, s[42:43], 0x0
	ds_read_b128 v[2:5], v30
	ds_read_b128 v[6:9], v30 offset:16
	ds_read_b128 v[10:13], v30 offset:2048
	;; [unrolled: 1-line block ×7, first 2 shown]
	v_mov_b32_e32 v35, 0x80
	v_mov_b32_e32 v53, 0x140
	s_mov_b64 s[12:13], -1
	s_waitcnt lgkmcnt(0)
	s_mov_b32 s7, s6
	s_mov_b32 s10, s6
	;; [unrolled: 1-line block ×3, first 2 shown]
	s_movk_i32 s9, 0x80
	s_movk_i32 s21, 0x7f
	s_mov_b32 s22, 0xffffff
	v_mov_b32_e32 v54, 0
	v_bfrev_b32_e32 v55, 60
	s_branch .LBB610_215
.LBB610_212:                            ;   in Loop: Header=BB610_215 Depth=1
	s_or_b64 exec, exec, s[18:19]
.LBB610_213:                            ;   in Loop: Header=BB610_215 Depth=1
	s_or_b64 exec, exec, s[16:17]
.LBB610_214:                            ;   in Loop: Header=BB610_215 Depth=1
	s_or_b64 exec, exec, s[14:15]
	v_cvt_pkrtz_f16_f32 v60, v46, v50
	v_cvt_pkrtz_f16_f32 v61, v44, v56
	s_xor_b64 s[14:15], s[12:13], -1
	s_mov_b64 s[12:13], 0
	v_mov_b32_e32 v46, v47
	v_mfma_f32_16x16x16f16 v[60:63], v[60:61], v[30:31], v[34:37]
	v_mov_b32_e32 v50, v49
	s_and_b64 vcc, exec, s[14:15]
	s_nop 4
	v_cvt_pkrtz_f16_f32 v36, v51, v57
	v_cvt_pkrtz_f16_f32 v37, v42, v58
	v_mov_b32_e32 v35, v45
	v_mov_b32_e32 v51, v48
	v_mfma_f32_16x16x16f16 v[56:59], v[36:37], v[32:33], v[60:63]
	s_nop 7
	s_nop 2
	v_pk_mul_f32 v[56:57], v[56:57], s[6:7]
	v_pk_mul_f32 v[36:37], v[58:59], s[10:11]
	v_cvt_f16_f32_e32 v34, v56
	v_cvt_f16_f32_e32 v38, v57
	;; [unrolled: 1-line block ×4, first 2 shown]
	v_pack_b32_f16 v34, v34, v38
	v_pack_b32_f16 v36, v36, v37
	buffer_store_dword v34, v53, s[0:3], 0 offen
	buffer_store_dword v36, v53, s[0:3], 0 offen offset:4
	v_mov_b32_e32 v53, 0x148
	s_cbranch_vccnz .LBB610_597
.LBB610_215:                            ; =>This Inner Loop Header: Depth=1
	buffer_load_dword v36, v35, s[0:3], 0 offen
	buffer_load_dword v34, v35, s[0:3], 0 offen offset:4
	buffer_load_dword v40, v35, s[0:3], 0 offen offset:8
	;; [unrolled: 1-line block ×3, first 2 shown]
	v_mov_b32_e32 v35, 0
	s_waitcnt vmcnt(3)
	v_cmp_ne_u16_sdwa s[16:17], v36, v54 src0_sel:BYTE_0 src1_sel:DWORD
	s_and_saveexec_b64 s[14:15], s[16:17]
	s_cbranch_execz .LBB610_221
; %bb.216:                              ;   in Loop: Header=BB610_215 Depth=1
	v_cmp_ne_u16_sdwa s[18:19], v36, s9 src0_sel:BYTE_0 src1_sel:DWORD
	v_bfrev_b32_e32 v35, 1
	s_and_saveexec_b64 s[16:17], s[18:19]
	s_cbranch_execz .LBB610_220
; %bb.217:                              ;   in Loop: Header=BB610_215 Depth=1
	v_and_b32_e32 v37, 0x7f, v36
	v_cmp_ne_u32_e32 vcc, s21, v37
	v_mov_b32_e32 v35, 0x7f800001
	s_and_saveexec_b64 s[18:19], vcc
	s_cbranch_execz .LBB610_219
; %bb.218:                              ;   in Loop: Header=BB610_215 Depth=1
	v_and_b32_e32 v35, 7, v36
	v_ffbh_u32_e32 v44, v35
	v_min_u32_e32 v44, 32, v44
	v_subrev_u32_e32 v56, 28, v44
	v_lshlrev_b64 v[56:57], v56, v[36:37]
	v_lshrrev_b32_e32 v42, 3, v37
	v_sub_u32_e32 v44, 29, v44
	v_and_b32_e32 v56, 7, v56
	v_cmp_gt_u32_e32 vcc, 8, v37
	v_cndmask_b32_e32 v37, v42, v44, vcc
	v_cndmask_b32_e32 v35, v35, v56, vcc
	v_lshlrev_b32_e32 v42, 24, v36
	v_lshlrev_b32_e32 v35, 20, v35
	v_and_b32_e32 v42, 0x80000000, v42
	v_lshl_add_u32 v37, v37, 23, v55
	v_or3_b32 v35, v42, v37, v35
.LBB610_219:                            ;   in Loop: Header=BB610_215 Depth=1
	s_or_b64 exec, exec, s[18:19]
.LBB610_220:                            ;   in Loop: Header=BB610_215 Depth=1
	s_or_b64 exec, exec, s[16:17]
.LBB610_221:                            ;   in Loop: Header=BB610_215 Depth=1
	s_or_b64 exec, exec, s[14:15]
	v_lshrrev_b16_e32 v42, 8, v36
	v_cmp_ne_u16_e32 vcc, 0, v42
	v_mov_b32_e32 v37, 0
	s_and_saveexec_b64 s[14:15], vcc
	s_cbranch_execz .LBB610_227
; %bb.222:                              ;   in Loop: Header=BB610_215 Depth=1
	v_cmp_ne_u16_e32 vcc, s9, v42
	v_bfrev_b32_e32 v37, 1
	s_and_saveexec_b64 s[16:17], vcc
	s_cbranch_execz .LBB610_226
; %bb.223:                              ;   in Loop: Header=BB610_215 Depth=1
	v_and_b32_e32 v44, 0x7f, v42
	v_cmp_ne_u32_e32 vcc, s21, v44
	v_mov_b32_e32 v37, 0x7f800001
	s_and_saveexec_b64 s[18:19], vcc
	s_cbranch_execz .LBB610_225
; %bb.224:                              ;   in Loop: Header=BB610_215 Depth=1
	v_and_b32_e32 v37, 7, v42
	v_ffbh_u32_e32 v56, v37
	v_min_u32_e32 v59, 32, v56
	v_subrev_u32_e32 v56, 28, v59
	v_lshlrev_b64 v[56:57], v56, v[42:43]
	v_lshrrev_b32_e32 v58, 3, v44
	v_sub_u32_e32 v42, 29, v59
	v_and_b32_e32 v56, 7, v56
	v_cmp_gt_u32_e32 vcc, 8, v44
	v_cndmask_b32_e32 v42, v58, v42, vcc
	v_cndmask_b32_e32 v37, v37, v56, vcc
	v_lshlrev_b32_e32 v44, 16, v36
	v_lshlrev_b32_e32 v37, 20, v37
	v_and_b32_e32 v44, 0x80000000, v44
	v_lshl_add_u32 v42, v42, 23, v55
	v_or3_b32 v37, v44, v42, v37
.LBB610_225:                            ;   in Loop: Header=BB610_215 Depth=1
	s_or_b64 exec, exec, s[18:19]
.LBB610_226:                            ;   in Loop: Header=BB610_215 Depth=1
	s_or_b64 exec, exec, s[16:17]
.LBB610_227:                            ;   in Loop: Header=BB610_215 Depth=1
	s_or_b64 exec, exec, s[14:15]
	v_lshrrev_b32_e32 v42, 16, v36
	v_cmp_ne_u16_sdwa s[16:17], v42, v54 src0_sel:BYTE_0 src1_sel:DWORD
	v_mov_b32_e32 v56, 0
	v_mov_b32_e32 v44, 0
	s_and_saveexec_b64 s[14:15], s[16:17]
	s_cbranch_execz .LBB610_233
; %bb.228:                              ;   in Loop: Header=BB610_215 Depth=1
	v_cmp_ne_u16_sdwa s[18:19], v42, s9 src0_sel:BYTE_0 src1_sel:DWORD
	v_bfrev_b32_e32 v44, 1
	s_and_saveexec_b64 s[16:17], s[18:19]
	s_cbranch_execz .LBB610_232
; %bb.229:                              ;   in Loop: Header=BB610_215 Depth=1
	v_bfe_u32 v57, v36, 16, 7
	v_cmp_ne_u32_e32 vcc, s21, v57
	v_mov_b32_e32 v44, 0x7f800001
	s_and_saveexec_b64 s[18:19], vcc
	s_cbranch_execz .LBB610_231
; %bb.230:                              ;   in Loop: Header=BB610_215 Depth=1
	v_and_b32_e32 v44, 7, v42
	v_ffbh_u32_e32 v58, v44
	v_min_u32_e32 v61, 32, v58
	v_subrev_u32_e32 v58, 28, v61
	v_lshlrev_b64 v[58:59], v58, v[42:43]
	v_lshrrev_b32_e32 v60, 3, v57
	v_sub_u32_e32 v59, 29, v61
	v_and_b32_e32 v58, 7, v58
	v_cmp_gt_u32_e32 vcc, 8, v57
	v_cndmask_b32_e32 v57, v60, v59, vcc
	v_cndmask_b32_e32 v44, v44, v58, vcc
	v_lshlrev_b32_e32 v42, 24, v42
	v_lshlrev_b32_e32 v44, 20, v44
	v_and_b32_e32 v42, 0x80000000, v42
	v_lshl_add_u32 v57, v57, 23, v55
	v_or3_b32 v44, v42, v57, v44
.LBB610_231:                            ;   in Loop: Header=BB610_215 Depth=1
	s_or_b64 exec, exec, s[18:19]
.LBB610_232:                            ;   in Loop: Header=BB610_215 Depth=1
	s_or_b64 exec, exec, s[16:17]
.LBB610_233:                            ;   in Loop: Header=BB610_215 Depth=1
	s_or_b64 exec, exec, s[14:15]
	v_cmp_lt_u32_e32 vcc, s22, v36
	s_and_saveexec_b64 s[14:15], vcc
	s_cbranch_execz .LBB610_239
; %bb.234:                              ;   in Loop: Header=BB610_215 Depth=1
	v_lshrrev_b32_e32 v42, 24, v36
	v_cmp_ne_u32_e32 vcc, s9, v42
	v_bfrev_b32_e32 v56, 1
	s_and_saveexec_b64 s[16:17], vcc
	s_cbranch_execz .LBB610_238
; %bb.235:                              ;   in Loop: Header=BB610_215 Depth=1
	v_bfe_u32 v36, v36, 24, 7
	v_cmp_ne_u32_e32 vcc, s21, v36
	v_mov_b32_e32 v56, 0x7f800001
	s_and_saveexec_b64 s[18:19], vcc
	s_cbranch_execz .LBB610_237
; %bb.236:                              ;   in Loop: Header=BB610_215 Depth=1
	v_and_b32_e32 v58, 7, v42
	v_ffbh_u32_e32 v56, v58
	v_min_u32_e32 v60, 32, v56
	v_subrev_u32_e32 v56, 28, v60
	v_lshlrev_b64 v[56:57], v56, v[42:43]
	v_lshrrev_b32_e32 v59, 3, v36
	v_sub_u32_e32 v57, 29, v60
	v_and_b32_e32 v56, 7, v56
	v_cmp_gt_u32_e32 vcc, 8, v36
	v_cndmask_b32_e32 v36, v59, v57, vcc
	v_cndmask_b32_e32 v56, v58, v56, vcc
	v_lshlrev_b32_e32 v42, 24, v42
	v_lshlrev_b32_e32 v56, 20, v56
	v_and_b32_e32 v42, 0x80000000, v42
	v_lshl_add_u32 v36, v36, 23, v55
	v_or3_b32 v56, v42, v36, v56
.LBB610_237:                            ;   in Loop: Header=BB610_215 Depth=1
	s_or_b64 exec, exec, s[18:19]
.LBB610_238:                            ;   in Loop: Header=BB610_215 Depth=1
	s_or_b64 exec, exec, s[16:17]
.LBB610_239:                            ;   in Loop: Header=BB610_215 Depth=1
	s_or_b64 exec, exec, s[14:15]
	s_waitcnt vmcnt(2)
	v_cmp_ne_u16_sdwa s[16:17], v34, v54 src0_sel:BYTE_0 src1_sel:DWORD
	v_mov_b32_e32 v42, 0
	v_mov_b32_e32 v57, 0
	s_and_saveexec_b64 s[14:15], s[16:17]
	s_cbranch_execz .LBB610_245
; %bb.240:                              ;   in Loop: Header=BB610_215 Depth=1
	v_cmp_ne_u16_sdwa s[18:19], v34, s9 src0_sel:BYTE_0 src1_sel:DWORD
	v_bfrev_b32_e32 v57, 1
	s_and_saveexec_b64 s[16:17], s[18:19]
	s_cbranch_execz .LBB610_244
; %bb.241:                              ;   in Loop: Header=BB610_215 Depth=1
	v_and_b32_e32 v36, 0x7f, v34
	v_cmp_ne_u32_e32 vcc, s21, v36
	v_mov_b32_e32 v57, 0x7f800001
	s_and_saveexec_b64 s[18:19], vcc
	s_cbranch_execz .LBB610_243
; %bb.242:                              ;   in Loop: Header=BB610_215 Depth=1
	v_and_b32_e32 v57, 7, v34
	v_ffbh_u32_e32 v58, v57
	v_min_u32_e32 v61, 32, v58
	v_subrev_u32_e32 v58, 28, v61
	v_lshlrev_b64 v[58:59], v58, v[34:35]
	v_lshrrev_b32_e32 v60, 3, v36
	v_sub_u32_e32 v59, 29, v61
	v_and_b32_e32 v58, 7, v58
	v_cmp_gt_u32_e32 vcc, 8, v36
	v_cndmask_b32_e32 v36, v60, v59, vcc
	v_cndmask_b32_e32 v57, v57, v58, vcc
	v_lshlrev_b32_e32 v58, 24, v34
	v_lshlrev_b32_e32 v57, 20, v57
	v_and_b32_e32 v58, 0x80000000, v58
	v_lshl_add_u32 v36, v36, 23, v55
	v_or3_b32 v57, v58, v36, v57
.LBB610_243:                            ;   in Loop: Header=BB610_215 Depth=1
	s_or_b64 exec, exec, s[18:19]
.LBB610_244:                            ;   in Loop: Header=BB610_215 Depth=1
	s_or_b64 exec, exec, s[16:17]
.LBB610_245:                            ;   in Loop: Header=BB610_215 Depth=1
	s_or_b64 exec, exec, s[14:15]
	v_lshrrev_b16_e32 v36, 8, v34
	v_cmp_ne_u16_e32 vcc, 0, v36
	s_and_saveexec_b64 s[14:15], vcc
	s_cbranch_execz .LBB610_251
; %bb.246:                              ;   in Loop: Header=BB610_215 Depth=1
	v_cmp_ne_u16_e32 vcc, s9, v36
	v_bfrev_b32_e32 v42, 1
	s_and_saveexec_b64 s[16:17], vcc
	s_cbranch_execz .LBB610_250
; %bb.247:                              ;   in Loop: Header=BB610_215 Depth=1
	v_and_b32_e32 v58, 0x7f, v36
	v_cmp_ne_u32_e32 vcc, s21, v58
	v_mov_b32_e32 v42, 0x7f800001
	s_and_saveexec_b64 s[18:19], vcc
	s_cbranch_execz .LBB610_249
; %bb.248:                              ;   in Loop: Header=BB610_215 Depth=1
	v_and_b32_e32 v42, 7, v36
	v_ffbh_u32_e32 v60, v42
	v_min_u32_e32 v62, 32, v60
	v_subrev_u32_e32 v60, 28, v62
	v_lshlrev_b64 v[60:61], v60, v[36:37]
	v_lshrrev_b32_e32 v59, 3, v58
	v_sub_u32_e32 v36, 29, v62
	v_and_b32_e32 v60, 7, v60
	v_cmp_gt_u32_e32 vcc, 8, v58
	v_cndmask_b32_e32 v36, v59, v36, vcc
	v_cndmask_b32_e32 v42, v42, v60, vcc
	v_lshlrev_b32_e32 v58, 16, v34
	v_lshlrev_b32_e32 v42, 20, v42
	v_and_b32_e32 v58, 0x80000000, v58
	v_lshl_add_u32 v36, v36, 23, v55
	v_or3_b32 v42, v58, v36, v42
.LBB610_249:                            ;   in Loop: Header=BB610_215 Depth=1
	s_or_b64 exec, exec, s[18:19]
.LBB610_250:                            ;   in Loop: Header=BB610_215 Depth=1
	s_or_b64 exec, exec, s[16:17]
.LBB610_251:                            ;   in Loop: Header=BB610_215 Depth=1
	s_or_b64 exec, exec, s[14:15]
	v_lshrrev_b32_e32 v36, 16, v34
	v_cmp_ne_u16_sdwa s[16:17], v36, v54 src0_sel:BYTE_0 src1_sel:DWORD
	v_mov_b32_e32 v59, 0
	v_mov_b32_e32 v58, 0
	s_and_saveexec_b64 s[14:15], s[16:17]
	s_cbranch_execz .LBB610_257
; %bb.252:                              ;   in Loop: Header=BB610_215 Depth=1
	v_cmp_ne_u16_sdwa s[18:19], v36, s9 src0_sel:BYTE_0 src1_sel:DWORD
	v_bfrev_b32_e32 v58, 1
	s_and_saveexec_b64 s[16:17], s[18:19]
	s_cbranch_execz .LBB610_256
; %bb.253:                              ;   in Loop: Header=BB610_215 Depth=1
	v_bfe_u32 v60, v34, 16, 7
	v_cmp_ne_u32_e32 vcc, s21, v60
	v_mov_b32_e32 v58, 0x7f800001
	s_and_saveexec_b64 s[18:19], vcc
	s_cbranch_execz .LBB610_255
; %bb.254:                              ;   in Loop: Header=BB610_215 Depth=1
	v_and_b32_e32 v58, 7, v36
	v_ffbh_u32_e32 v62, v58
	v_min_u32_e32 v64, 32, v62
	v_subrev_u32_e32 v62, 28, v64
	v_lshlrev_b64 v[62:63], v62, v[36:37]
	v_lshrrev_b32_e32 v61, 3, v60
	v_sub_u32_e32 v63, 29, v64
	v_and_b32_e32 v62, 7, v62
	v_cmp_gt_u32_e32 vcc, 8, v60
	v_cndmask_b32_e32 v60, v61, v63, vcc
	v_cndmask_b32_e32 v58, v58, v62, vcc
	v_lshlrev_b32_e32 v36, 24, v36
	v_lshlrev_b32_e32 v58, 20, v58
	v_and_b32_e32 v36, 0x80000000, v36
	v_lshl_add_u32 v60, v60, 23, v55
	v_or3_b32 v58, v36, v60, v58
.LBB610_255:                            ;   in Loop: Header=BB610_215 Depth=1
	s_or_b64 exec, exec, s[18:19]
.LBB610_256:                            ;   in Loop: Header=BB610_215 Depth=1
	s_or_b64 exec, exec, s[16:17]
.LBB610_257:                            ;   in Loop: Header=BB610_215 Depth=1
	s_or_b64 exec, exec, s[14:15]
	v_cmp_lt_u32_e32 vcc, s22, v34
	s_and_saveexec_b64 s[14:15], vcc
	s_cbranch_execz .LBB610_263
; %bb.258:                              ;   in Loop: Header=BB610_215 Depth=1
	v_lshrrev_b32_e32 v36, 24, v34
	v_cmp_ne_u32_e32 vcc, s9, v36
	v_bfrev_b32_e32 v59, 1
	s_and_saveexec_b64 s[16:17], vcc
	s_cbranch_execz .LBB610_262
; %bb.259:                              ;   in Loop: Header=BB610_215 Depth=1
	v_bfe_u32 v34, v34, 24, 7
	v_cmp_ne_u32_e32 vcc, s21, v34
	v_mov_b32_e32 v59, 0x7f800001
	s_and_saveexec_b64 s[18:19], vcc
	s_cbranch_execz .LBB610_261
; %bb.260:                              ;   in Loop: Header=BB610_215 Depth=1
	v_and_b32_e32 v59, 7, v36
	v_ffbh_u32_e32 v60, v59
	v_min_u32_e32 v63, 32, v60
	v_subrev_u32_e32 v60, 28, v63
	v_lshlrev_b64 v[60:61], v60, v[36:37]
	v_lshrrev_b32_e32 v62, 3, v34
	v_sub_u32_e32 v61, 29, v63
	v_and_b32_e32 v60, 7, v60
	v_cmp_gt_u32_e32 vcc, 8, v34
	v_cndmask_b32_e32 v34, v62, v61, vcc
	v_cndmask_b32_e32 v59, v59, v60, vcc
	v_lshlrev_b32_e32 v36, 24, v36
	v_lshlrev_b32_e32 v59, 20, v59
	v_and_b32_e32 v36, 0x80000000, v36
	v_lshl_add_u32 v34, v34, 23, v55
	v_or3_b32 v59, v36, v34, v59
.LBB610_261:                            ;   in Loop: Header=BB610_215 Depth=1
	s_or_b64 exec, exec, s[18:19]
.LBB610_262:                            ;   in Loop: Header=BB610_215 Depth=1
	s_or_b64 exec, exec, s[16:17]
.LBB610_263:                            ;   in Loop: Header=BB610_215 Depth=1
	s_or_b64 exec, exec, s[14:15]
	v_cvt_pkrtz_f16_f32 v34, v35, v37
	v_cvt_pkrtz_f16_f32 v35, v44, v56
	v_cvt_pkrtz_f16_f32 v60, v57, v42
	v_cvt_pkrtz_f16_f32 v61, v58, v59
	v_mov_b32_e32 v44, 0
	v_mfma_f32_16x16x16f16 v[34:37], v[34:35], v[2:3], 0
	s_waitcnt vmcnt(1)
	v_cmp_ne_u16_sdwa s[16:17], v40, v54 src0_sel:BYTE_0 src1_sel:DWORD
	v_mov_b32_e32 v57, 0
	v_mfma_f32_16x16x16f16 v[34:37], v[60:61], v[4:5], v[34:37]
	s_and_saveexec_b64 s[14:15], s[16:17]
	s_cbranch_execz .LBB610_269
; %bb.264:                              ;   in Loop: Header=BB610_215 Depth=1
	v_cmp_ne_u16_sdwa s[18:19], v40, s9 src0_sel:BYTE_0 src1_sel:DWORD
	v_bfrev_b32_e32 v57, 1
	s_and_saveexec_b64 s[16:17], s[18:19]
	s_cbranch_execz .LBB610_268
; %bb.265:                              ;   in Loop: Header=BB610_215 Depth=1
	v_and_b32_e32 v42, 0x7f, v40
	v_cmp_ne_u32_e32 vcc, s21, v42
	v_mov_b32_e32 v57, 0x7f800001
	s_and_saveexec_b64 s[18:19], vcc
	s_cbranch_execz .LBB610_267
; %bb.266:                              ;   in Loop: Header=BB610_215 Depth=1
	v_and_b32_e32 v58, 7, v40
	v_ffbh_u32_e32 v56, v58
	v_min_u32_e32 v60, 32, v56
	v_subrev_u32_e32 v56, 28, v60
	v_lshlrev_b64 v[56:57], v56, v[40:41]
	v_lshrrev_b32_e32 v59, 3, v42
	v_sub_u32_e32 v57, 29, v60
	v_and_b32_e32 v56, 7, v56
	v_cmp_gt_u32_e32 vcc, 8, v42
	v_cndmask_b32_e32 v42, v59, v57, vcc
	v_cndmask_b32_e32 v56, v58, v56, vcc
	v_lshlrev_b32_e32 v57, 24, v40
	v_lshlrev_b32_e32 v56, 20, v56
	v_and_b32_e32 v57, 0x80000000, v57
	v_lshl_add_u32 v42, v42, 23, v55
	v_or3_b32 v57, v57, v42, v56
.LBB610_267:                            ;   in Loop: Header=BB610_215 Depth=1
	s_or_b64 exec, exec, s[18:19]
.LBB610_268:                            ;   in Loop: Header=BB610_215 Depth=1
	s_or_b64 exec, exec, s[16:17]
.LBB610_269:                            ;   in Loop: Header=BB610_215 Depth=1
	s_or_b64 exec, exec, s[14:15]
	v_lshrrev_b16_e32 v42, 8, v40
	v_cmp_ne_u16_e32 vcc, 0, v42
	v_mov_b32_e32 v58, 0
	s_and_saveexec_b64 s[14:15], vcc
	s_cbranch_execz .LBB610_275
; %bb.270:                              ;   in Loop: Header=BB610_215 Depth=1
	v_cmp_ne_u16_e32 vcc, s9, v42
	v_bfrev_b32_e32 v58, 1
	s_and_saveexec_b64 s[16:17], vcc
	s_cbranch_execz .LBB610_274
; %bb.271:                              ;   in Loop: Header=BB610_215 Depth=1
	v_and_b32_e32 v56, 0x7f, v42
	v_cmp_ne_u32_e32 vcc, s21, v56
	v_mov_b32_e32 v58, 0x7f800001
	s_and_saveexec_b64 s[18:19], vcc
	s_cbranch_execz .LBB610_273
; %bb.272:                              ;   in Loop: Header=BB610_215 Depth=1
	v_and_b32_e32 v60, 7, v42
	v_ffbh_u32_e32 v58, v60
	v_min_u32_e32 v62, 32, v58
	v_subrev_u32_e32 v58, 28, v62
	v_lshlrev_b64 v[58:59], v58, v[42:43]
	v_lshrrev_b32_e32 v61, 3, v56
	v_sub_u32_e32 v42, 29, v62
	v_and_b32_e32 v58, 7, v58
	v_cmp_gt_u32_e32 vcc, 8, v56
	v_cndmask_b32_e32 v42, v61, v42, vcc
	v_cndmask_b32_e32 v56, v60, v58, vcc
	v_lshlrev_b32_e32 v58, 16, v40
	v_lshlrev_b32_e32 v56, 20, v56
	v_and_b32_e32 v58, 0x80000000, v58
	v_lshl_add_u32 v42, v42, 23, v55
	v_or3_b32 v58, v58, v42, v56
.LBB610_273:                            ;   in Loop: Header=BB610_215 Depth=1
	s_or_b64 exec, exec, s[18:19]
.LBB610_274:                            ;   in Loop: Header=BB610_215 Depth=1
	s_or_b64 exec, exec, s[16:17]
.LBB610_275:                            ;   in Loop: Header=BB610_215 Depth=1
	s_or_b64 exec, exec, s[14:15]
	v_lshrrev_b32_e32 v42, 16, v40
	v_cmp_ne_u16_sdwa s[16:17], v42, v54 src0_sel:BYTE_0 src1_sel:DWORD
	s_and_saveexec_b64 s[14:15], s[16:17]
	s_cbranch_execz .LBB610_281
; %bb.276:                              ;   in Loop: Header=BB610_215 Depth=1
	v_cmp_ne_u16_sdwa s[18:19], v42, s9 src0_sel:BYTE_0 src1_sel:DWORD
	v_bfrev_b32_e32 v44, 1
	s_and_saveexec_b64 s[16:17], s[18:19]
	s_cbranch_execz .LBB610_280
; %bb.277:                              ;   in Loop: Header=BB610_215 Depth=1
	v_bfe_u32 v56, v40, 16, 7
	v_cmp_ne_u32_e32 vcc, s21, v56
	v_mov_b32_e32 v44, 0x7f800001
	s_and_saveexec_b64 s[18:19], vcc
	s_cbranch_execz .LBB610_279
; %bb.278:                              ;   in Loop: Header=BB610_215 Depth=1
	v_and_b32_e32 v44, 7, v42
	v_ffbh_u32_e32 v60, v44
	v_min_u32_e32 v62, 32, v60
	v_subrev_u32_e32 v60, 28, v62
	v_lshlrev_b64 v[60:61], v60, v[42:43]
	v_lshrrev_b32_e32 v59, 3, v56
	v_sub_u32_e32 v61, 29, v62
	v_and_b32_e32 v60, 7, v60
	v_cmp_gt_u32_e32 vcc, 8, v56
	v_cndmask_b32_e32 v56, v59, v61, vcc
	v_cndmask_b32_e32 v44, v44, v60, vcc
	v_lshlrev_b32_e32 v42, 24, v42
	v_lshlrev_b32_e32 v44, 20, v44
	v_and_b32_e32 v42, 0x80000000, v42
	v_lshl_add_u32 v56, v56, 23, v55
	v_or3_b32 v44, v42, v56, v44
.LBB610_279:                            ;   in Loop: Header=BB610_215 Depth=1
	s_or_b64 exec, exec, s[18:19]
.LBB610_280:                            ;   in Loop: Header=BB610_215 Depth=1
	s_or_b64 exec, exec, s[16:17]
.LBB610_281:                            ;   in Loop: Header=BB610_215 Depth=1
	s_or_b64 exec, exec, s[14:15]
	v_cmp_lt_u32_e32 vcc, s22, v40
	v_mov_b32_e32 v59, 0
	v_mov_b32_e32 v60, 0
	s_and_saveexec_b64 s[14:15], vcc
	s_cbranch_execz .LBB610_287
; %bb.282:                              ;   in Loop: Header=BB610_215 Depth=1
	v_lshrrev_b32_e32 v42, 24, v40
	v_cmp_ne_u32_e32 vcc, s9, v42
	v_bfrev_b32_e32 v60, 1
	s_and_saveexec_b64 s[16:17], vcc
	s_cbranch_execz .LBB610_286
; %bb.283:                              ;   in Loop: Header=BB610_215 Depth=1
	v_bfe_u32 v40, v40, 24, 7
	v_cmp_ne_u32_e32 vcc, s21, v40
	v_mov_b32_e32 v60, 0x7f800001
	s_and_saveexec_b64 s[18:19], vcc
	s_cbranch_execz .LBB610_285
; %bb.284:                              ;   in Loop: Header=BB610_215 Depth=1
	v_and_b32_e32 v56, 7, v42
	v_ffbh_u32_e32 v60, v56
	v_min_u32_e32 v63, 32, v60
	v_subrev_u32_e32 v60, 28, v63
	v_lshlrev_b64 v[60:61], v60, v[42:43]
	v_lshrrev_b32_e32 v62, 3, v40
	v_sub_u32_e32 v61, 29, v63
	v_and_b32_e32 v60, 7, v60
	v_cmp_gt_u32_e32 vcc, 8, v40
	v_cndmask_b32_e32 v40, v62, v61, vcc
	v_cndmask_b32_e32 v56, v56, v60, vcc
	v_lshlrev_b32_e32 v42, 24, v42
	v_lshlrev_b32_e32 v56, 20, v56
	v_and_b32_e32 v42, 0x80000000, v42
	v_lshl_add_u32 v40, v40, 23, v55
	v_or3_b32 v60, v42, v40, v56
.LBB610_285:                            ;   in Loop: Header=BB610_215 Depth=1
	s_or_b64 exec, exec, s[18:19]
.LBB610_286:                            ;   in Loop: Header=BB610_215 Depth=1
	s_or_b64 exec, exec, s[16:17]
.LBB610_287:                            ;   in Loop: Header=BB610_215 Depth=1
	s_or_b64 exec, exec, s[14:15]
	s_waitcnt vmcnt(0)
	v_cmp_ne_u16_sdwa s[16:17], v38, v54 src0_sel:BYTE_0 src1_sel:DWORD
	s_and_saveexec_b64 s[14:15], s[16:17]
	s_cbranch_execz .LBB610_293
; %bb.288:                              ;   in Loop: Header=BB610_215 Depth=1
	v_cmp_ne_u16_sdwa s[18:19], v38, s9 src0_sel:BYTE_0 src1_sel:DWORD
	v_bfrev_b32_e32 v59, 1
	s_and_saveexec_b64 s[16:17], s[18:19]
	s_cbranch_execz .LBB610_292
; %bb.289:                              ;   in Loop: Header=BB610_215 Depth=1
	v_and_b32_e32 v40, 0x7f, v38
	v_cmp_ne_u32_e32 vcc, s21, v40
	v_mov_b32_e32 v59, 0x7f800001
	s_and_saveexec_b64 s[18:19], vcc
	s_cbranch_execz .LBB610_291
; %bb.290:                              ;   in Loop: Header=BB610_215 Depth=1
	v_and_b32_e32 v42, 7, v38
	v_ffbh_u32_e32 v59, v42
	v_min_u32_e32 v59, 32, v59
	v_subrev_u32_e32 v61, 28, v59
	v_lshlrev_b64 v[62:63], v61, v[38:39]
	v_lshrrev_b32_e32 v56, 3, v40
	v_sub_u32_e32 v59, 29, v59
	v_and_b32_e32 v61, 7, v62
	v_cmp_gt_u32_e32 vcc, 8, v40
	v_cndmask_b32_e32 v40, v56, v59, vcc
	v_cndmask_b32_e32 v42, v42, v61, vcc
	v_lshlrev_b32_e32 v56, 24, v38
	v_lshlrev_b32_e32 v42, 20, v42
	v_and_b32_e32 v56, 0x80000000, v56
	v_lshl_add_u32 v40, v40, 23, v55
	v_or3_b32 v59, v56, v40, v42
.LBB610_291:                            ;   in Loop: Header=BB610_215 Depth=1
	s_or_b64 exec, exec, s[18:19]
.LBB610_292:                            ;   in Loop: Header=BB610_215 Depth=1
	s_or_b64 exec, exec, s[16:17]
.LBB610_293:                            ;   in Loop: Header=BB610_215 Depth=1
	s_or_b64 exec, exec, s[14:15]
	v_lshrrev_b16_e32 v40, 8, v38
	v_cmp_ne_u16_e32 vcc, 0, v40
	v_mov_b32_e32 v61, 0
	v_mov_b32_e32 v62, 0
	s_and_saveexec_b64 s[14:15], vcc
	s_cbranch_execz .LBB610_299
; %bb.294:                              ;   in Loop: Header=BB610_215 Depth=1
	v_cmp_ne_u16_e32 vcc, s9, v40
	v_bfrev_b32_e32 v62, 1
	s_and_saveexec_b64 s[16:17], vcc
	s_cbranch_execz .LBB610_298
; %bb.295:                              ;   in Loop: Header=BB610_215 Depth=1
	v_and_b32_e32 v42, 0x7f, v40
	v_cmp_ne_u32_e32 vcc, s21, v42
	v_mov_b32_e32 v62, 0x7f800001
	s_and_saveexec_b64 s[18:19], vcc
	s_cbranch_execz .LBB610_297
; %bb.296:                              ;   in Loop: Header=BB610_215 Depth=1
	v_and_b32_e32 v56, 7, v40
	v_ffbh_u32_e32 v62, v56
	v_min_u32_e32 v65, 32, v62
	v_subrev_u32_e32 v62, 28, v65
	v_lshlrev_b64 v[62:63], v62, v[40:41]
	v_lshrrev_b32_e32 v64, 3, v42
	v_sub_u32_e32 v40, 29, v65
	v_and_b32_e32 v62, 7, v62
	v_cmp_gt_u32_e32 vcc, 8, v42
	v_cndmask_b32_e32 v40, v64, v40, vcc
	v_cndmask_b32_e32 v42, v56, v62, vcc
	v_lshlrev_b32_e32 v56, 16, v38
	v_lshlrev_b32_e32 v42, 20, v42
	v_and_b32_e32 v56, 0x80000000, v56
	v_lshl_add_u32 v40, v40, 23, v55
	v_or3_b32 v62, v56, v40, v42
.LBB610_297:                            ;   in Loop: Header=BB610_215 Depth=1
	s_or_b64 exec, exec, s[18:19]
.LBB610_298:                            ;   in Loop: Header=BB610_215 Depth=1
	s_or_b64 exec, exec, s[16:17]
.LBB610_299:                            ;   in Loop: Header=BB610_215 Depth=1
	s_or_b64 exec, exec, s[14:15]
	v_lshrrev_b32_e32 v40, 16, v38
	v_cmp_ne_u16_sdwa s[16:17], v40, v54 src0_sel:BYTE_0 src1_sel:DWORD
	s_and_saveexec_b64 s[14:15], s[16:17]
	s_cbranch_execz .LBB610_305
; %bb.300:                              ;   in Loop: Header=BB610_215 Depth=1
	v_cmp_ne_u16_sdwa s[18:19], v40, s9 src0_sel:BYTE_0 src1_sel:DWORD
	v_bfrev_b32_e32 v61, 1
	s_and_saveexec_b64 s[16:17], s[18:19]
	s_cbranch_execz .LBB610_304
; %bb.301:                              ;   in Loop: Header=BB610_215 Depth=1
	v_bfe_u32 v42, v38, 16, 7
	v_cmp_ne_u32_e32 vcc, s21, v42
	v_mov_b32_e32 v61, 0x7f800001
	s_and_saveexec_b64 s[18:19], vcc
	s_cbranch_execz .LBB610_303
; %bb.302:                              ;   in Loop: Header=BB610_215 Depth=1
	v_and_b32_e32 v56, 7, v40
	v_ffbh_u32_e32 v63, v56
	v_min_u32_e32 v63, 32, v63
	v_subrev_u32_e32 v64, 28, v63
	v_lshlrev_b64 v[64:65], v64, v[40:41]
	v_lshrrev_b32_e32 v61, 3, v42
	v_sub_u32_e32 v63, 29, v63
	v_and_b32_e32 v64, 7, v64
	v_cmp_gt_u32_e32 vcc, 8, v42
	v_cndmask_b32_e32 v42, v61, v63, vcc
	v_cndmask_b32_e32 v56, v56, v64, vcc
	v_lshlrev_b32_e32 v40, 24, v40
	v_lshlrev_b32_e32 v56, 20, v56
	v_and_b32_e32 v40, 0x80000000, v40
	v_lshl_add_u32 v42, v42, 23, v55
	v_or3_b32 v61, v40, v42, v56
.LBB610_303:                            ;   in Loop: Header=BB610_215 Depth=1
	s_or_b64 exec, exec, s[18:19]
.LBB610_304:                            ;   in Loop: Header=BB610_215 Depth=1
	s_or_b64 exec, exec, s[16:17]
.LBB610_305:                            ;   in Loop: Header=BB610_215 Depth=1
	s_or_b64 exec, exec, s[14:15]
	v_cmp_lt_u32_e32 vcc, s22, v38
	v_mov_b32_e32 v56, 0
	v_mov_b32_e32 v63, 0
	s_and_saveexec_b64 s[14:15], vcc
	s_cbranch_execz .LBB610_311
; %bb.306:                              ;   in Loop: Header=BB610_215 Depth=1
	v_lshrrev_b32_e32 v40, 24, v38
	v_cmp_ne_u32_e32 vcc, s9, v40
	v_bfrev_b32_e32 v63, 1
	s_and_saveexec_b64 s[16:17], vcc
	s_cbranch_execz .LBB610_310
; %bb.307:                              ;   in Loop: Header=BB610_215 Depth=1
	v_bfe_u32 v38, v38, 24, 7
	v_cmp_ne_u32_e32 vcc, s21, v38
	v_mov_b32_e32 v63, 0x7f800001
	s_and_saveexec_b64 s[18:19], vcc
	s_cbranch_execz .LBB610_309
; %bb.308:                              ;   in Loop: Header=BB610_215 Depth=1
	v_and_b32_e32 v42, 7, v40
	v_ffbh_u32_e32 v64, v42
	v_min_u32_e32 v66, 32, v64
	v_subrev_u32_e32 v64, 28, v66
	v_lshlrev_b64 v[64:65], v64, v[40:41]
	v_lshrrev_b32_e32 v63, 3, v38
	v_sub_u32_e32 v65, 29, v66
	v_and_b32_e32 v64, 7, v64
	v_cmp_gt_u32_e32 vcc, 8, v38
	v_cndmask_b32_e32 v38, v63, v65, vcc
	v_cndmask_b32_e32 v42, v42, v64, vcc
	v_lshlrev_b32_e32 v40, 24, v40
	v_lshlrev_b32_e32 v42, 20, v42
	v_and_b32_e32 v40, 0x80000000, v40
	v_lshl_add_u32 v38, v38, 23, v55
	v_or3_b32 v63, v40, v38, v42
.LBB610_309:                            ;   in Loop: Header=BB610_215 Depth=1
	s_or_b64 exec, exec, s[18:19]
.LBB610_310:                            ;   in Loop: Header=BB610_215 Depth=1
	s_or_b64 exec, exec, s[16:17]
.LBB610_311:                            ;   in Loop: Header=BB610_215 Depth=1
	s_or_b64 exec, exec, s[14:15]
	v_cvt_pkrtz_f16_f32 v65, v44, v60
	buffer_load_dword v44, v46, s[0:3], 0 offen
	buffer_load_dword v42, v46, s[0:3], 0 offen offset:4
	buffer_load_dword v40, v46, s[0:3], 0 offen offset:8
	;; [unrolled: 1-line block ×3, first 2 shown]
	v_cvt_pkrtz_f16_f32 v64, v57, v58
	v_cvt_pkrtz_f16_f32 v58, v59, v62
	;; [unrolled: 1-line block ×3, first 2 shown]
	v_mfma_f32_16x16x16f16 v[34:37], v[64:65], v[6:7], v[34:37]
	s_waitcnt vmcnt(3)
	v_cmp_ne_u16_sdwa s[16:17], v44, v54 src0_sel:BYTE_0 src1_sel:DWORD
	v_mfma_f32_16x16x16f16 v[34:37], v[58:59], v[8:9], v[34:37]
	s_and_saveexec_b64 s[14:15], s[16:17]
	s_cbranch_execz .LBB610_317
; %bb.312:                              ;   in Loop: Header=BB610_215 Depth=1
	v_cmp_ne_u16_sdwa s[18:19], v44, s9 src0_sel:BYTE_0 src1_sel:DWORD
	v_bfrev_b32_e32 v56, 1
	s_and_saveexec_b64 s[16:17], s[18:19]
	s_cbranch_execz .LBB610_316
; %bb.313:                              ;   in Loop: Header=BB610_215 Depth=1
	v_and_b32_e32 v46, 0x7f, v44
	v_cmp_ne_u32_e32 vcc, s21, v46
	v_mov_b32_e32 v56, 0x7f800001
	s_and_saveexec_b64 s[18:19], vcc
	s_cbranch_execz .LBB610_315
; %bb.314:                              ;   in Loop: Header=BB610_215 Depth=1
	v_and_b32_e32 v58, 7, v44
	v_ffbh_u32_e32 v56, v58
	v_min_u32_e32 v60, 32, v56
	v_subrev_u32_e32 v56, 28, v60
	v_lshlrev_b64 v[56:57], v56, v[44:45]
	v_lshrrev_b32_e32 v59, 3, v46
	v_sub_u32_e32 v57, 29, v60
	v_and_b32_e32 v56, 7, v56
	v_cmp_gt_u32_e32 vcc, 8, v46
	v_cndmask_b32_e32 v46, v59, v57, vcc
	v_cndmask_b32_e32 v56, v58, v56, vcc
	v_lshlrev_b32_e32 v57, 24, v44
	v_lshlrev_b32_e32 v56, 20, v56
	v_and_b32_e32 v57, 0x80000000, v57
	v_lshl_add_u32 v46, v46, 23, v55
	v_or3_b32 v56, v57, v46, v56
.LBB610_315:                            ;   in Loop: Header=BB610_215 Depth=1
	s_or_b64 exec, exec, s[18:19]
.LBB610_316:                            ;   in Loop: Header=BB610_215 Depth=1
	s_or_b64 exec, exec, s[16:17]
.LBB610_317:                            ;   in Loop: Header=BB610_215 Depth=1
	s_or_b64 exec, exec, s[14:15]
	v_lshrrev_b16_e32 v46, 8, v44
	v_cmp_ne_u16_e32 vcc, 0, v46
	v_mov_b32_e32 v57, 0
	v_mov_b32_e32 v58, 0
	s_and_saveexec_b64 s[14:15], vcc
	s_cbranch_execz .LBB610_323
; %bb.318:                              ;   in Loop: Header=BB610_215 Depth=1
	v_cmp_ne_u16_e32 vcc, s9, v46
	v_bfrev_b32_e32 v58, 1
	s_and_saveexec_b64 s[16:17], vcc
	s_cbranch_execz .LBB610_322
; %bb.319:                              ;   in Loop: Header=BB610_215 Depth=1
	v_and_b32_e32 v59, 0x7f, v46
	v_cmp_ne_u32_e32 vcc, s21, v59
	v_mov_b32_e32 v58, 0x7f800001
	s_and_saveexec_b64 s[18:19], vcc
	s_cbranch_execz .LBB610_321
; %bb.320:                              ;   in Loop: Header=BB610_215 Depth=1
	v_and_b32_e32 v58, 7, v46
	v_ffbh_u32_e32 v60, v58
	v_min_u32_e32 v63, 32, v60
	v_subrev_u32_e32 v60, 28, v63
	v_lshlrev_b64 v[60:61], v60, v[46:47]
	v_lshrrev_b32_e32 v62, 3, v59
	v_sub_u32_e32 v46, 29, v63
	v_and_b32_e32 v60, 7, v60
	v_cmp_gt_u32_e32 vcc, 8, v59
	v_cndmask_b32_e32 v46, v62, v46, vcc
	v_cndmask_b32_e32 v58, v58, v60, vcc
	v_lshlrev_b32_e32 v59, 16, v44
	v_lshlrev_b32_e32 v58, 20, v58
	v_and_b32_e32 v59, 0x80000000, v59
	v_lshl_add_u32 v46, v46, 23, v55
	v_or3_b32 v58, v59, v46, v58
.LBB610_321:                            ;   in Loop: Header=BB610_215 Depth=1
	s_or_b64 exec, exec, s[18:19]
.LBB610_322:                            ;   in Loop: Header=BB610_215 Depth=1
	s_or_b64 exec, exec, s[16:17]
.LBB610_323:                            ;   in Loop: Header=BB610_215 Depth=1
	s_or_b64 exec, exec, s[14:15]
	v_lshrrev_b32_e32 v46, 16, v44
	v_cmp_ne_u16_sdwa s[16:17], v46, v54 src0_sel:BYTE_0 src1_sel:DWORD
	s_and_saveexec_b64 s[14:15], s[16:17]
	s_cbranch_execz .LBB610_329
; %bb.324:                              ;   in Loop: Header=BB610_215 Depth=1
	v_cmp_ne_u16_sdwa s[18:19], v46, s9 src0_sel:BYTE_0 src1_sel:DWORD
	v_bfrev_b32_e32 v57, 1
	s_and_saveexec_b64 s[16:17], s[18:19]
	s_cbranch_execz .LBB610_328
; %bb.325:                              ;   in Loop: Header=BB610_215 Depth=1
	v_bfe_u32 v59, v44, 16, 7
	v_cmp_ne_u32_e32 vcc, s21, v59
	v_mov_b32_e32 v57, 0x7f800001
	s_and_saveexec_b64 s[18:19], vcc
	s_cbranch_execz .LBB610_327
; %bb.326:                              ;   in Loop: Header=BB610_215 Depth=1
	v_and_b32_e32 v57, 7, v46
	v_ffbh_u32_e32 v60, v57
	v_min_u32_e32 v63, 32, v60
	v_subrev_u32_e32 v60, 28, v63
	v_lshlrev_b64 v[60:61], v60, v[46:47]
	v_lshrrev_b32_e32 v62, 3, v59
	v_sub_u32_e32 v61, 29, v63
	v_and_b32_e32 v60, 7, v60
	v_cmp_gt_u32_e32 vcc, 8, v59
	v_cndmask_b32_e32 v59, v62, v61, vcc
	v_cndmask_b32_e32 v57, v57, v60, vcc
	v_lshlrev_b32_e32 v46, 24, v46
	v_lshlrev_b32_e32 v57, 20, v57
	v_and_b32_e32 v46, 0x80000000, v46
	v_lshl_add_u32 v59, v59, 23, v55
	v_or3_b32 v57, v46, v59, v57
.LBB610_327:                            ;   in Loop: Header=BB610_215 Depth=1
	s_or_b64 exec, exec, s[18:19]
.LBB610_328:                            ;   in Loop: Header=BB610_215 Depth=1
	s_or_b64 exec, exec, s[16:17]
.LBB610_329:                            ;   in Loop: Header=BB610_215 Depth=1
	s_or_b64 exec, exec, s[14:15]
	v_cmp_lt_u32_e32 vcc, s22, v44
	v_mov_b32_e32 v59, 0
	v_mov_b32_e32 v60, 0
	s_and_saveexec_b64 s[14:15], vcc
	s_cbranch_execz .LBB610_335
; %bb.330:                              ;   in Loop: Header=BB610_215 Depth=1
	v_lshrrev_b32_e32 v46, 24, v44
	v_cmp_ne_u32_e32 vcc, s9, v46
	v_bfrev_b32_e32 v60, 1
	s_and_saveexec_b64 s[16:17], vcc
	s_cbranch_execz .LBB610_334
; %bb.331:                              ;   in Loop: Header=BB610_215 Depth=1
	v_bfe_u32 v44, v44, 24, 7
	v_cmp_ne_u32_e32 vcc, s21, v44
	v_mov_b32_e32 v60, 0x7f800001
	s_and_saveexec_b64 s[18:19], vcc
	s_cbranch_execz .LBB610_333
; %bb.332:                              ;   in Loop: Header=BB610_215 Depth=1
	v_and_b32_e32 v62, 7, v46
	v_ffbh_u32_e32 v60, v62
	v_min_u32_e32 v64, 32, v60
	v_subrev_u32_e32 v60, 28, v64
	v_lshlrev_b64 v[60:61], v60, v[46:47]
	v_lshrrev_b32_e32 v63, 3, v44
	v_sub_u32_e32 v61, 29, v64
	v_and_b32_e32 v60, 7, v60
	v_cmp_gt_u32_e32 vcc, 8, v44
	v_cndmask_b32_e32 v44, v63, v61, vcc
	v_cndmask_b32_e32 v60, v62, v60, vcc
	v_lshlrev_b32_e32 v46, 24, v46
	v_lshlrev_b32_e32 v60, 20, v60
	v_and_b32_e32 v46, 0x80000000, v46
	v_lshl_add_u32 v44, v44, 23, v55
	v_or3_b32 v60, v46, v44, v60
.LBB610_333:                            ;   in Loop: Header=BB610_215 Depth=1
	s_or_b64 exec, exec, s[18:19]
.LBB610_334:                            ;   in Loop: Header=BB610_215 Depth=1
	s_or_b64 exec, exec, s[16:17]
.LBB610_335:                            ;   in Loop: Header=BB610_215 Depth=1
	s_or_b64 exec, exec, s[14:15]
	s_waitcnt vmcnt(2)
	v_cmp_ne_u16_sdwa s[16:17], v42, v54 src0_sel:BYTE_0 src1_sel:DWORD
	s_and_saveexec_b64 s[14:15], s[16:17]
	s_cbranch_execz .LBB610_341
; %bb.336:                              ;   in Loop: Header=BB610_215 Depth=1
	v_cmp_ne_u16_sdwa s[18:19], v42, s9 src0_sel:BYTE_0 src1_sel:DWORD
	v_bfrev_b32_e32 v59, 1
	s_and_saveexec_b64 s[16:17], s[18:19]
	s_cbranch_execz .LBB610_340
; %bb.337:                              ;   in Loop: Header=BB610_215 Depth=1
	v_and_b32_e32 v44, 0x7f, v42
	v_cmp_ne_u32_e32 vcc, s21, v44
	v_mov_b32_e32 v59, 0x7f800001
	s_and_saveexec_b64 s[18:19], vcc
	s_cbranch_execz .LBB610_339
; %bb.338:                              ;   in Loop: Header=BB610_215 Depth=1
	v_and_b32_e32 v46, 7, v42
	v_ffbh_u32_e32 v61, v46
	v_min_u32_e32 v61, 32, v61
	v_subrev_u32_e32 v62, 28, v61
	v_lshlrev_b64 v[62:63], v62, v[42:43]
	v_lshrrev_b32_e32 v59, 3, v44
	v_sub_u32_e32 v61, 29, v61
	v_and_b32_e32 v62, 7, v62
	v_cmp_gt_u32_e32 vcc, 8, v44
	v_cndmask_b32_e32 v44, v59, v61, vcc
	v_cndmask_b32_e32 v46, v46, v62, vcc
	v_lshlrev_b32_e32 v59, 24, v42
	v_lshlrev_b32_e32 v46, 20, v46
	v_and_b32_e32 v59, 0x80000000, v59
	v_lshl_add_u32 v44, v44, 23, v55
	v_or3_b32 v59, v59, v44, v46
.LBB610_339:                            ;   in Loop: Header=BB610_215 Depth=1
	s_or_b64 exec, exec, s[18:19]
.LBB610_340:                            ;   in Loop: Header=BB610_215 Depth=1
	s_or_b64 exec, exec, s[16:17]
.LBB610_341:                            ;   in Loop: Header=BB610_215 Depth=1
	s_or_b64 exec, exec, s[14:15]
	v_lshrrev_b16_e32 v44, 8, v42
	v_cmp_ne_u16_e32 vcc, 0, v44
	v_mov_b32_e32 v61, 0
	v_mov_b32_e32 v62, 0
	s_and_saveexec_b64 s[14:15], vcc
	s_cbranch_execz .LBB610_347
; %bb.342:                              ;   in Loop: Header=BB610_215 Depth=1
	v_cmp_ne_u16_e32 vcc, s9, v44
	v_bfrev_b32_e32 v62, 1
	s_and_saveexec_b64 s[16:17], vcc
	s_cbranch_execz .LBB610_346
; %bb.343:                              ;   in Loop: Header=BB610_215 Depth=1
	v_and_b32_e32 v46, 0x7f, v44
	v_cmp_ne_u32_e32 vcc, s21, v46
	v_mov_b32_e32 v62, 0x7f800001
	s_and_saveexec_b64 s[18:19], vcc
	s_cbranch_execz .LBB610_345
; %bb.344:                              ;   in Loop: Header=BB610_215 Depth=1
	v_and_b32_e32 v64, 7, v44
	v_ffbh_u32_e32 v62, v64
	v_min_u32_e32 v66, 32, v62
	v_subrev_u32_e32 v62, 28, v66
	v_lshlrev_b64 v[62:63], v62, v[44:45]
	v_lshrrev_b32_e32 v65, 3, v46
	v_sub_u32_e32 v44, 29, v66
	v_and_b32_e32 v62, 7, v62
	v_cmp_gt_u32_e32 vcc, 8, v46
	v_cndmask_b32_e32 v44, v65, v44, vcc
	v_cndmask_b32_e32 v46, v64, v62, vcc
	v_lshlrev_b32_e32 v62, 16, v42
	v_lshlrev_b32_e32 v46, 20, v46
	v_and_b32_e32 v62, 0x80000000, v62
	v_lshl_add_u32 v44, v44, 23, v55
	v_or3_b32 v62, v62, v44, v46
.LBB610_345:                            ;   in Loop: Header=BB610_215 Depth=1
	s_or_b64 exec, exec, s[18:19]
.LBB610_346:                            ;   in Loop: Header=BB610_215 Depth=1
	s_or_b64 exec, exec, s[16:17]
.LBB610_347:                            ;   in Loop: Header=BB610_215 Depth=1
	s_or_b64 exec, exec, s[14:15]
	v_lshrrev_b32_e32 v44, 16, v42
	v_cmp_ne_u16_sdwa s[16:17], v44, v54 src0_sel:BYTE_0 src1_sel:DWORD
	s_and_saveexec_b64 s[14:15], s[16:17]
	s_cbranch_execz .LBB610_353
; %bb.348:                              ;   in Loop: Header=BB610_215 Depth=1
	v_cmp_ne_u16_sdwa s[18:19], v44, s9 src0_sel:BYTE_0 src1_sel:DWORD
	v_bfrev_b32_e32 v61, 1
	s_and_saveexec_b64 s[16:17], s[18:19]
	s_cbranch_execz .LBB610_352
; %bb.349:                              ;   in Loop: Header=BB610_215 Depth=1
	v_bfe_u32 v46, v42, 16, 7
	v_cmp_ne_u32_e32 vcc, s21, v46
	v_mov_b32_e32 v61, 0x7f800001
	s_and_saveexec_b64 s[18:19], vcc
	s_cbranch_execz .LBB610_351
; %bb.350:                              ;   in Loop: Header=BB610_215 Depth=1
	v_and_b32_e32 v61, 7, v44
	v_ffbh_u32_e32 v64, v61
	v_min_u32_e32 v66, 32, v64
	v_subrev_u32_e32 v64, 28, v66
	v_lshlrev_b64 v[64:65], v64, v[44:45]
	v_lshrrev_b32_e32 v63, 3, v46
	v_sub_u32_e32 v65, 29, v66
	v_and_b32_e32 v64, 7, v64
	v_cmp_gt_u32_e32 vcc, 8, v46
	v_cndmask_b32_e32 v46, v63, v65, vcc
	v_cndmask_b32_e32 v61, v61, v64, vcc
	v_lshlrev_b32_e32 v44, 24, v44
	v_lshlrev_b32_e32 v61, 20, v61
	v_and_b32_e32 v44, 0x80000000, v44
	v_lshl_add_u32 v46, v46, 23, v55
	v_or3_b32 v61, v44, v46, v61
.LBB610_351:                            ;   in Loop: Header=BB610_215 Depth=1
	s_or_b64 exec, exec, s[18:19]
.LBB610_352:                            ;   in Loop: Header=BB610_215 Depth=1
	s_or_b64 exec, exec, s[16:17]
.LBB610_353:                            ;   in Loop: Header=BB610_215 Depth=1
	s_or_b64 exec, exec, s[14:15]
	v_cmp_lt_u32_e32 vcc, s22, v42
	v_mov_b32_e32 v46, 0
	v_mov_b32_e32 v63, 0
	s_and_saveexec_b64 s[14:15], vcc
	s_cbranch_execz .LBB610_359
; %bb.354:                              ;   in Loop: Header=BB610_215 Depth=1
	v_lshrrev_b32_e32 v44, 24, v42
	v_cmp_ne_u32_e32 vcc, s9, v44
	v_bfrev_b32_e32 v63, 1
	s_and_saveexec_b64 s[16:17], vcc
	s_cbranch_execz .LBB610_358
; %bb.355:                              ;   in Loop: Header=BB610_215 Depth=1
	v_bfe_u32 v42, v42, 24, 7
	v_cmp_ne_u32_e32 vcc, s21, v42
	v_mov_b32_e32 v63, 0x7f800001
	s_and_saveexec_b64 s[18:19], vcc
	s_cbranch_execz .LBB610_357
; %bb.356:                              ;   in Loop: Header=BB610_215 Depth=1
	v_and_b32_e32 v63, 7, v44
	v_ffbh_u32_e32 v64, v63
	v_min_u32_e32 v67, 32, v64
	v_subrev_u32_e32 v64, 28, v67
	v_lshlrev_b64 v[64:65], v64, v[44:45]
	v_lshrrev_b32_e32 v66, 3, v42
	v_sub_u32_e32 v65, 29, v67
	v_and_b32_e32 v64, 7, v64
	v_cmp_gt_u32_e32 vcc, 8, v42
	v_cndmask_b32_e32 v42, v66, v65, vcc
	v_cndmask_b32_e32 v63, v63, v64, vcc
	v_lshlrev_b32_e32 v44, 24, v44
	v_lshlrev_b32_e32 v63, 20, v63
	v_and_b32_e32 v44, 0x80000000, v44
	v_lshl_add_u32 v42, v42, 23, v55
	v_or3_b32 v63, v44, v42, v63
.LBB610_357:                            ;   in Loop: Header=BB610_215 Depth=1
	s_or_b64 exec, exec, s[18:19]
.LBB610_358:                            ;   in Loop: Header=BB610_215 Depth=1
	s_or_b64 exec, exec, s[16:17]
.LBB610_359:                            ;   in Loop: Header=BB610_215 Depth=1
	s_or_b64 exec, exec, s[14:15]
	v_cvt_pkrtz_f16_f32 v56, v56, v58
	v_cvt_pkrtz_f16_f32 v57, v57, v60
	s_waitcnt vmcnt(1)
	v_cmp_ne_u16_sdwa s[16:17], v40, v54 src0_sel:BYTE_0 src1_sel:DWORD
	v_mfma_f32_16x16x16f16 v[34:37], v[56:57], v[10:11], v[34:37]
	v_cvt_pkrtz_f16_f32 v56, v59, v62
	v_cvt_pkrtz_f16_f32 v57, v61, v63
	s_nop 1
	v_mfma_f32_16x16x16f16 v[34:37], v[56:57], v[12:13], v[34:37]
	s_and_saveexec_b64 s[14:15], s[16:17]
	s_cbranch_execz .LBB610_365
; %bb.360:                              ;   in Loop: Header=BB610_215 Depth=1
	v_cmp_ne_u16_sdwa s[18:19], v40, s9 src0_sel:BYTE_0 src1_sel:DWORD
	v_bfrev_b32_e32 v46, 1
	s_and_saveexec_b64 s[16:17], s[18:19]
	s_cbranch_execz .LBB610_364
; %bb.361:                              ;   in Loop: Header=BB610_215 Depth=1
	v_and_b32_e32 v42, 0x7f, v40
	v_cmp_ne_u32_e32 vcc, s21, v42
	v_mov_b32_e32 v46, 0x7f800001
	s_and_saveexec_b64 s[18:19], vcc
	s_cbranch_execz .LBB610_363
; %bb.362:                              ;   in Loop: Header=BB610_215 Depth=1
	v_and_b32_e32 v44, 7, v40
	v_ffbh_u32_e32 v56, v44
	v_min_u32_e32 v58, 32, v56
	v_subrev_u32_e32 v56, 28, v58
	v_lshlrev_b64 v[56:57], v56, v[40:41]
	v_lshrrev_b32_e32 v46, 3, v42
	v_sub_u32_e32 v57, 29, v58
	v_and_b32_e32 v56, 7, v56
	v_cmp_gt_u32_e32 vcc, 8, v42
	v_cndmask_b32_e32 v42, v46, v57, vcc
	v_cndmask_b32_e32 v44, v44, v56, vcc
	v_lshlrev_b32_e32 v46, 24, v40
	v_lshlrev_b32_e32 v44, 20, v44
	v_and_b32_e32 v46, 0x80000000, v46
	v_lshl_add_u32 v42, v42, 23, v55
	v_or3_b32 v46, v46, v42, v44
.LBB610_363:                            ;   in Loop: Header=BB610_215 Depth=1
	s_or_b64 exec, exec, s[18:19]
.LBB610_364:                            ;   in Loop: Header=BB610_215 Depth=1
	s_or_b64 exec, exec, s[16:17]
.LBB610_365:                            ;   in Loop: Header=BB610_215 Depth=1
	s_or_b64 exec, exec, s[14:15]
	v_lshrrev_b16_e32 v42, 8, v40
	v_cmp_ne_u16_e32 vcc, 0, v42
	v_mov_b32_e32 v44, 0
	v_mov_b32_e32 v57, 0
	s_and_saveexec_b64 s[14:15], vcc
	s_cbranch_execz .LBB610_371
; %bb.366:                              ;   in Loop: Header=BB610_215 Depth=1
	v_cmp_ne_u16_e32 vcc, s9, v42
	v_bfrev_b32_e32 v57, 1
	s_and_saveexec_b64 s[16:17], vcc
	s_cbranch_execz .LBB610_370
; %bb.367:                              ;   in Loop: Header=BB610_215 Depth=1
	v_and_b32_e32 v56, 0x7f, v42
	v_cmp_ne_u32_e32 vcc, s21, v56
	v_mov_b32_e32 v57, 0x7f800001
	s_and_saveexec_b64 s[18:19], vcc
	s_cbranch_execz .LBB610_369
; %bb.368:                              ;   in Loop: Header=BB610_215 Depth=1
	v_and_b32_e32 v57, 7, v42
	v_ffbh_u32_e32 v58, v57
	v_min_u32_e32 v61, 32, v58
	v_subrev_u32_e32 v58, 28, v61
	v_lshlrev_b64 v[58:59], v58, v[42:43]
	v_lshrrev_b32_e32 v60, 3, v56
	v_sub_u32_e32 v42, 29, v61
	v_and_b32_e32 v58, 7, v58
	v_cmp_gt_u32_e32 vcc, 8, v56
	v_cndmask_b32_e32 v42, v60, v42, vcc
	v_cndmask_b32_e32 v56, v57, v58, vcc
	v_lshlrev_b32_e32 v57, 16, v40
	v_lshlrev_b32_e32 v56, 20, v56
	v_and_b32_e32 v57, 0x80000000, v57
	v_lshl_add_u32 v42, v42, 23, v55
	v_or3_b32 v57, v57, v42, v56
.LBB610_369:                            ;   in Loop: Header=BB610_215 Depth=1
	s_or_b64 exec, exec, s[18:19]
.LBB610_370:                            ;   in Loop: Header=BB610_215 Depth=1
	s_or_b64 exec, exec, s[16:17]
.LBB610_371:                            ;   in Loop: Header=BB610_215 Depth=1
	s_or_b64 exec, exec, s[14:15]
	v_lshrrev_b32_e32 v42, 16, v40
	v_cmp_ne_u16_sdwa s[16:17], v42, v54 src0_sel:BYTE_0 src1_sel:DWORD
	s_and_saveexec_b64 s[14:15], s[16:17]
	s_cbranch_execz .LBB610_377
; %bb.372:                              ;   in Loop: Header=BB610_215 Depth=1
	v_cmp_ne_u16_sdwa s[18:19], v42, s9 src0_sel:BYTE_0 src1_sel:DWORD
	v_bfrev_b32_e32 v44, 1
	s_and_saveexec_b64 s[16:17], s[18:19]
	s_cbranch_execz .LBB610_376
; %bb.373:                              ;   in Loop: Header=BB610_215 Depth=1
	v_bfe_u32 v56, v40, 16, 7
	v_cmp_ne_u32_e32 vcc, s21, v56
	v_mov_b32_e32 v44, 0x7f800001
	s_and_saveexec_b64 s[18:19], vcc
	s_cbranch_execz .LBB610_375
; %bb.374:                              ;   in Loop: Header=BB610_215 Depth=1
	v_and_b32_e32 v44, 7, v42
	v_ffbh_u32_e32 v58, v44
	v_min_u32_e32 v61, 32, v58
	v_subrev_u32_e32 v58, 28, v61
	v_lshlrev_b64 v[58:59], v58, v[42:43]
	v_lshrrev_b32_e32 v60, 3, v56
	v_sub_u32_e32 v59, 29, v61
	v_and_b32_e32 v58, 7, v58
	v_cmp_gt_u32_e32 vcc, 8, v56
	v_cndmask_b32_e32 v56, v60, v59, vcc
	v_cndmask_b32_e32 v44, v44, v58, vcc
	v_lshlrev_b32_e32 v42, 24, v42
	v_lshlrev_b32_e32 v44, 20, v44
	v_and_b32_e32 v42, 0x80000000, v42
	v_lshl_add_u32 v56, v56, 23, v55
	v_or3_b32 v44, v42, v56, v44
.LBB610_375:                            ;   in Loop: Header=BB610_215 Depth=1
	s_or_b64 exec, exec, s[18:19]
.LBB610_376:                            ;   in Loop: Header=BB610_215 Depth=1
	s_or_b64 exec, exec, s[16:17]
.LBB610_377:                            ;   in Loop: Header=BB610_215 Depth=1
	s_or_b64 exec, exec, s[14:15]
	v_cmp_lt_u32_e32 vcc, s22, v40
	v_mov_b32_e32 v58, 0
	v_mov_b32_e32 v59, 0
	s_and_saveexec_b64 s[14:15], vcc
	s_cbranch_execz .LBB610_383
; %bb.378:                              ;   in Loop: Header=BB610_215 Depth=1
	v_lshrrev_b32_e32 v42, 24, v40
	v_cmp_ne_u32_e32 vcc, s9, v42
	v_bfrev_b32_e32 v59, 1
	s_and_saveexec_b64 s[16:17], vcc
	s_cbranch_execz .LBB610_382
; %bb.379:                              ;   in Loop: Header=BB610_215 Depth=1
	v_bfe_u32 v40, v40, 24, 7
	v_cmp_ne_u32_e32 vcc, s21, v40
	v_mov_b32_e32 v59, 0x7f800001
	s_and_saveexec_b64 s[18:19], vcc
	s_cbranch_execz .LBB610_381
; %bb.380:                              ;   in Loop: Header=BB610_215 Depth=1
	v_and_b32_e32 v56, 7, v42
	v_ffbh_u32_e32 v60, v56
	v_min_u32_e32 v62, 32, v60
	v_subrev_u32_e32 v60, 28, v62
	v_lshlrev_b64 v[60:61], v60, v[42:43]
	v_lshrrev_b32_e32 v59, 3, v40
	v_sub_u32_e32 v61, 29, v62
	v_and_b32_e32 v60, 7, v60
	v_cmp_gt_u32_e32 vcc, 8, v40
	v_cndmask_b32_e32 v40, v59, v61, vcc
	v_cndmask_b32_e32 v56, v56, v60, vcc
	v_lshlrev_b32_e32 v42, 24, v42
	v_lshlrev_b32_e32 v56, 20, v56
	v_and_b32_e32 v42, 0x80000000, v42
	v_lshl_add_u32 v40, v40, 23, v55
	v_or3_b32 v59, v42, v40, v56
.LBB610_381:                            ;   in Loop: Header=BB610_215 Depth=1
	s_or_b64 exec, exec, s[18:19]
.LBB610_382:                            ;   in Loop: Header=BB610_215 Depth=1
	s_or_b64 exec, exec, s[16:17]
.LBB610_383:                            ;   in Loop: Header=BB610_215 Depth=1
	s_or_b64 exec, exec, s[14:15]
	s_waitcnt vmcnt(0)
	v_cmp_ne_u16_sdwa s[16:17], v38, v54 src0_sel:BYTE_0 src1_sel:DWORD
	s_and_saveexec_b64 s[14:15], s[16:17]
	s_cbranch_execz .LBB610_389
; %bb.384:                              ;   in Loop: Header=BB610_215 Depth=1
	v_cmp_ne_u16_sdwa s[18:19], v38, s9 src0_sel:BYTE_0 src1_sel:DWORD
	v_bfrev_b32_e32 v58, 1
	s_and_saveexec_b64 s[16:17], s[18:19]
	s_cbranch_execz .LBB610_388
; %bb.385:                              ;   in Loop: Header=BB610_215 Depth=1
	v_and_b32_e32 v40, 0x7f, v38
	v_cmp_ne_u32_e32 vcc, s21, v40
	v_mov_b32_e32 v58, 0x7f800001
	s_and_saveexec_b64 s[18:19], vcc
	s_cbranch_execz .LBB610_387
; %bb.386:                              ;   in Loop: Header=BB610_215 Depth=1
	v_and_b32_e32 v42, 7, v38
	v_ffbh_u32_e32 v58, v42
	v_min_u32_e32 v58, 32, v58
	v_subrev_u32_e32 v60, 28, v58
	v_lshlrev_b64 v[60:61], v60, v[38:39]
	v_lshrrev_b32_e32 v56, 3, v40
	v_sub_u32_e32 v58, 29, v58
	v_and_b32_e32 v60, 7, v60
	v_cmp_gt_u32_e32 vcc, 8, v40
	v_cndmask_b32_e32 v40, v56, v58, vcc
	v_cndmask_b32_e32 v42, v42, v60, vcc
	v_lshlrev_b32_e32 v56, 24, v38
	v_lshlrev_b32_e32 v42, 20, v42
	v_and_b32_e32 v56, 0x80000000, v56
	v_lshl_add_u32 v40, v40, 23, v55
	v_or3_b32 v58, v56, v40, v42
.LBB610_387:                            ;   in Loop: Header=BB610_215 Depth=1
	s_or_b64 exec, exec, s[18:19]
.LBB610_388:                            ;   in Loop: Header=BB610_215 Depth=1
	s_or_b64 exec, exec, s[16:17]
.LBB610_389:                            ;   in Loop: Header=BB610_215 Depth=1
	s_or_b64 exec, exec, s[14:15]
	v_lshrrev_b16_e32 v40, 8, v38
	v_cmp_ne_u16_e32 vcc, 0, v40
	v_mov_b32_e32 v60, 0
	v_mov_b32_e32 v61, 0
	s_and_saveexec_b64 s[14:15], vcc
	s_cbranch_execz .LBB610_395
; %bb.390:                              ;   in Loop: Header=BB610_215 Depth=1
	v_cmp_ne_u16_e32 vcc, s9, v40
	v_bfrev_b32_e32 v61, 1
	s_and_saveexec_b64 s[16:17], vcc
	s_cbranch_execz .LBB610_394
; %bb.391:                              ;   in Loop: Header=BB610_215 Depth=1
	v_and_b32_e32 v42, 0x7f, v40
	v_cmp_ne_u32_e32 vcc, s21, v42
	v_mov_b32_e32 v61, 0x7f800001
	s_and_saveexec_b64 s[18:19], vcc
	s_cbranch_execz .LBB610_393
; %bb.392:                              ;   in Loop: Header=BB610_215 Depth=1
	v_and_b32_e32 v56, 7, v40
	v_ffbh_u32_e32 v62, v56
	v_min_u32_e32 v64, 32, v62
	v_subrev_u32_e32 v62, 28, v64
	v_lshlrev_b64 v[62:63], v62, v[40:41]
	v_lshrrev_b32_e32 v61, 3, v42
	v_sub_u32_e32 v40, 29, v64
	v_and_b32_e32 v62, 7, v62
	v_cmp_gt_u32_e32 vcc, 8, v42
	v_cndmask_b32_e32 v40, v61, v40, vcc
	v_cndmask_b32_e32 v42, v56, v62, vcc
	v_lshlrev_b32_e32 v56, 16, v38
	v_lshlrev_b32_e32 v42, 20, v42
	v_and_b32_e32 v56, 0x80000000, v56
	v_lshl_add_u32 v40, v40, 23, v55
	v_or3_b32 v61, v56, v40, v42
.LBB610_393:                            ;   in Loop: Header=BB610_215 Depth=1
	s_or_b64 exec, exec, s[18:19]
.LBB610_394:                            ;   in Loop: Header=BB610_215 Depth=1
	s_or_b64 exec, exec, s[16:17]
.LBB610_395:                            ;   in Loop: Header=BB610_215 Depth=1
	s_or_b64 exec, exec, s[14:15]
	v_lshrrev_b32_e32 v40, 16, v38
	v_cmp_ne_u16_sdwa s[16:17], v40, v54 src0_sel:BYTE_0 src1_sel:DWORD
	s_and_saveexec_b64 s[14:15], s[16:17]
	s_cbranch_execz .LBB610_401
; %bb.396:                              ;   in Loop: Header=BB610_215 Depth=1
	v_cmp_ne_u16_sdwa s[18:19], v40, s9 src0_sel:BYTE_0 src1_sel:DWORD
	v_bfrev_b32_e32 v60, 1
	s_and_saveexec_b64 s[16:17], s[18:19]
	s_cbranch_execz .LBB610_400
; %bb.397:                              ;   in Loop: Header=BB610_215 Depth=1
	v_bfe_u32 v42, v38, 16, 7
	v_cmp_ne_u32_e32 vcc, s21, v42
	v_mov_b32_e32 v60, 0x7f800001
	s_and_saveexec_b64 s[18:19], vcc
	s_cbranch_execz .LBB610_399
; %bb.398:                              ;   in Loop: Header=BB610_215 Depth=1
	v_and_b32_e32 v56, 7, v40
	v_ffbh_u32_e32 v62, v56
	v_min_u32_e32 v64, 32, v62
	v_subrev_u32_e32 v62, 28, v64
	v_lshlrev_b64 v[62:63], v62, v[40:41]
	v_lshrrev_b32_e32 v60, 3, v42
	v_sub_u32_e32 v63, 29, v64
	v_and_b32_e32 v62, 7, v62
	v_cmp_gt_u32_e32 vcc, 8, v42
	v_cndmask_b32_e32 v42, v60, v63, vcc
	v_cndmask_b32_e32 v56, v56, v62, vcc
	v_lshlrev_b32_e32 v40, 24, v40
	v_lshlrev_b32_e32 v56, 20, v56
	v_and_b32_e32 v40, 0x80000000, v40
	v_lshl_add_u32 v42, v42, 23, v55
	v_or3_b32 v60, v40, v42, v56
.LBB610_399:                            ;   in Loop: Header=BB610_215 Depth=1
	s_or_b64 exec, exec, s[18:19]
.LBB610_400:                            ;   in Loop: Header=BB610_215 Depth=1
	s_or_b64 exec, exec, s[16:17]
.LBB610_401:                            ;   in Loop: Header=BB610_215 Depth=1
	s_or_b64 exec, exec, s[14:15]
	v_cmp_lt_u32_e32 vcc, s22, v38
	v_mov_b32_e32 v56, 0
	v_mov_b32_e32 v62, 0
	s_and_saveexec_b64 s[14:15], vcc
	s_cbranch_execz .LBB610_407
; %bb.402:                              ;   in Loop: Header=BB610_215 Depth=1
	v_lshrrev_b32_e32 v40, 24, v38
	v_cmp_ne_u32_e32 vcc, s9, v40
	v_bfrev_b32_e32 v62, 1
	s_and_saveexec_b64 s[16:17], vcc
	s_cbranch_execz .LBB610_406
; %bb.403:                              ;   in Loop: Header=BB610_215 Depth=1
	v_bfe_u32 v38, v38, 24, 7
	v_cmp_ne_u32_e32 vcc, s21, v38
	v_mov_b32_e32 v62, 0x7f800001
	s_and_saveexec_b64 s[18:19], vcc
	s_cbranch_execz .LBB610_405
; %bb.404:                              ;   in Loop: Header=BB610_215 Depth=1
	v_and_b32_e32 v42, 7, v40
	v_ffbh_u32_e32 v62, v42
	v_min_u32_e32 v65, 32, v62
	v_subrev_u32_e32 v62, 28, v65
	v_lshlrev_b64 v[62:63], v62, v[40:41]
	v_lshrrev_b32_e32 v64, 3, v38
	v_sub_u32_e32 v63, 29, v65
	v_and_b32_e32 v62, 7, v62
	v_cmp_gt_u32_e32 vcc, 8, v38
	v_cndmask_b32_e32 v38, v64, v63, vcc
	v_cndmask_b32_e32 v42, v42, v62, vcc
	v_lshlrev_b32_e32 v40, 24, v40
	v_lshlrev_b32_e32 v42, 20, v42
	v_and_b32_e32 v40, 0x80000000, v40
	v_lshl_add_u32 v38, v38, 23, v55
	v_or3_b32 v62, v40, v38, v42
.LBB610_405:                            ;   in Loop: Header=BB610_215 Depth=1
	s_or_b64 exec, exec, s[18:19]
.LBB610_406:                            ;   in Loop: Header=BB610_215 Depth=1
	s_or_b64 exec, exec, s[16:17]
.LBB610_407:                            ;   in Loop: Header=BB610_215 Depth=1
	s_or_b64 exec, exec, s[14:15]
	v_cvt_pkrtz_f16_f32 v65, v44, v59
	buffer_load_dword v44, v51, s[0:3], 0 offen
	buffer_load_dword v42, v51, s[0:3], 0 offen offset:4
	buffer_load_dword v40, v51, s[0:3], 0 offen offset:8
	;; [unrolled: 1-line block ×3, first 2 shown]
	v_cvt_pkrtz_f16_f32 v64, v46, v57
	v_cvt_pkrtz_f16_f32 v58, v58, v61
	;; [unrolled: 1-line block ×3, first 2 shown]
	v_mfma_f32_16x16x16f16 v[34:37], v[64:65], v[14:15], v[34:37]
	s_waitcnt vmcnt(3)
	v_cmp_ne_u16_sdwa s[16:17], v44, v54 src0_sel:BYTE_0 src1_sel:DWORD
	v_mfma_f32_16x16x16f16 v[34:37], v[58:59], v[16:17], v[34:37]
	s_and_saveexec_b64 s[14:15], s[16:17]
	s_cbranch_execz .LBB610_413
; %bb.408:                              ;   in Loop: Header=BB610_215 Depth=1
	v_cmp_ne_u16_sdwa s[18:19], v44, s9 src0_sel:BYTE_0 src1_sel:DWORD
	v_bfrev_b32_e32 v56, 1
	s_and_saveexec_b64 s[16:17], s[18:19]
	s_cbranch_execz .LBB610_412
; %bb.409:                              ;   in Loop: Header=BB610_215 Depth=1
	v_and_b32_e32 v46, 0x7f, v44
	v_cmp_ne_u32_e32 vcc, s21, v46
	v_mov_b32_e32 v56, 0x7f800001
	s_and_saveexec_b64 s[18:19], vcc
	s_cbranch_execz .LBB610_411
; %bb.410:                              ;   in Loop: Header=BB610_215 Depth=1
	v_and_b32_e32 v51, 7, v44
	v_ffbh_u32_e32 v56, v51
	v_min_u32_e32 v59, 32, v56
	v_subrev_u32_e32 v56, 28, v59
	v_lshlrev_b64 v[56:57], v56, v[44:45]
	v_lshrrev_b32_e32 v58, 3, v46
	v_sub_u32_e32 v57, 29, v59
	v_and_b32_e32 v56, 7, v56
	v_cmp_gt_u32_e32 vcc, 8, v46
	v_cndmask_b32_e32 v46, v58, v57, vcc
	v_cndmask_b32_e32 v51, v51, v56, vcc
	v_lshlrev_b32_e32 v56, 24, v44
	v_lshlrev_b32_e32 v51, 20, v51
	v_and_b32_e32 v56, 0x80000000, v56
	v_lshl_add_u32 v46, v46, 23, v55
	v_or3_b32 v56, v56, v46, v51
.LBB610_411:                            ;   in Loop: Header=BB610_215 Depth=1
	s_or_b64 exec, exec, s[18:19]
.LBB610_412:                            ;   in Loop: Header=BB610_215 Depth=1
	s_or_b64 exec, exec, s[16:17]
.LBB610_413:                            ;   in Loop: Header=BB610_215 Depth=1
	s_or_b64 exec, exec, s[14:15]
	v_lshrrev_b16_e32 v46, 8, v44
	v_cmp_ne_u16_e32 vcc, 0, v46
	v_mov_b32_e32 v51, 0
	v_mov_b32_e32 v57, 0
	s_and_saveexec_b64 s[14:15], vcc
	s_cbranch_execz .LBB610_419
; %bb.414:                              ;   in Loop: Header=BB610_215 Depth=1
	v_cmp_ne_u16_e32 vcc, s9, v46
	v_bfrev_b32_e32 v57, 1
	s_and_saveexec_b64 s[16:17], vcc
	s_cbranch_execz .LBB610_418
; %bb.415:                              ;   in Loop: Header=BB610_215 Depth=1
	v_and_b32_e32 v58, 0x7f, v46
	v_cmp_ne_u32_e32 vcc, s21, v58
	v_mov_b32_e32 v57, 0x7f800001
	s_and_saveexec_b64 s[18:19], vcc
	s_cbranch_execz .LBB610_417
; %bb.416:                              ;   in Loop: Header=BB610_215 Depth=1
	v_and_b32_e32 v57, 7, v46
	v_ffbh_u32_e32 v60, v57
	v_min_u32_e32 v62, 32, v60
	v_subrev_u32_e32 v60, 28, v62
	v_lshlrev_b64 v[60:61], v60, v[46:47]
	v_lshrrev_b32_e32 v59, 3, v58
	v_sub_u32_e32 v46, 29, v62
	v_and_b32_e32 v60, 7, v60
	v_cmp_gt_u32_e32 vcc, 8, v58
	v_cndmask_b32_e32 v46, v59, v46, vcc
	v_cndmask_b32_e32 v57, v57, v60, vcc
	v_lshlrev_b32_e32 v58, 16, v44
	v_lshlrev_b32_e32 v57, 20, v57
	v_and_b32_e32 v58, 0x80000000, v58
	v_lshl_add_u32 v46, v46, 23, v55
	v_or3_b32 v57, v58, v46, v57
.LBB610_417:                            ;   in Loop: Header=BB610_215 Depth=1
	s_or_b64 exec, exec, s[18:19]
.LBB610_418:                            ;   in Loop: Header=BB610_215 Depth=1
	s_or_b64 exec, exec, s[16:17]
.LBB610_419:                            ;   in Loop: Header=BB610_215 Depth=1
	s_or_b64 exec, exec, s[14:15]
	v_lshrrev_b32_e32 v46, 16, v44
	v_cmp_ne_u16_sdwa s[16:17], v46, v54 src0_sel:BYTE_0 src1_sel:DWORD
	s_and_saveexec_b64 s[14:15], s[16:17]
	s_cbranch_execz .LBB610_425
; %bb.420:                              ;   in Loop: Header=BB610_215 Depth=1
	v_cmp_ne_u16_sdwa s[18:19], v46, s9 src0_sel:BYTE_0 src1_sel:DWORD
	v_bfrev_b32_e32 v51, 1
	s_and_saveexec_b64 s[16:17], s[18:19]
	s_cbranch_execz .LBB610_424
; %bb.421:                              ;   in Loop: Header=BB610_215 Depth=1
	v_bfe_u32 v58, v44, 16, 7
	v_cmp_ne_u32_e32 vcc, s21, v58
	v_mov_b32_e32 v51, 0x7f800001
	s_and_saveexec_b64 s[18:19], vcc
	s_cbranch_execz .LBB610_423
; %bb.422:                              ;   in Loop: Header=BB610_215 Depth=1
	v_and_b32_e32 v51, 7, v46
	v_ffbh_u32_e32 v60, v51
	v_min_u32_e32 v62, 32, v60
	v_subrev_u32_e32 v60, 28, v62
	v_lshlrev_b64 v[60:61], v60, v[46:47]
	v_lshrrev_b32_e32 v59, 3, v58
	v_sub_u32_e32 v61, 29, v62
	v_and_b32_e32 v60, 7, v60
	v_cmp_gt_u32_e32 vcc, 8, v58
	v_cndmask_b32_e32 v58, v59, v61, vcc
	v_cndmask_b32_e32 v51, v51, v60, vcc
	v_lshlrev_b32_e32 v46, 24, v46
	v_lshlrev_b32_e32 v51, 20, v51
	v_and_b32_e32 v46, 0x80000000, v46
	v_lshl_add_u32 v58, v58, 23, v55
	v_or3_b32 v51, v46, v58, v51
.LBB610_423:                            ;   in Loop: Header=BB610_215 Depth=1
	s_or_b64 exec, exec, s[18:19]
.LBB610_424:                            ;   in Loop: Header=BB610_215 Depth=1
	s_or_b64 exec, exec, s[16:17]
.LBB610_425:                            ;   in Loop: Header=BB610_215 Depth=1
	s_or_b64 exec, exec, s[14:15]
	v_cmp_lt_u32_e32 vcc, s22, v44
	v_mov_b32_e32 v58, 0
	v_mov_b32_e32 v59, 0
	s_and_saveexec_b64 s[14:15], vcc
	s_cbranch_execz .LBB610_431
; %bb.426:                              ;   in Loop: Header=BB610_215 Depth=1
	v_lshrrev_b32_e32 v46, 24, v44
	v_cmp_ne_u32_e32 vcc, s9, v46
	v_bfrev_b32_e32 v59, 1
	s_and_saveexec_b64 s[16:17], vcc
	s_cbranch_execz .LBB610_430
; %bb.427:                              ;   in Loop: Header=BB610_215 Depth=1
	v_bfe_u32 v44, v44, 24, 7
	v_cmp_ne_u32_e32 vcc, s21, v44
	v_mov_b32_e32 v59, 0x7f800001
	s_and_saveexec_b64 s[18:19], vcc
	s_cbranch_execz .LBB610_429
; %bb.428:                              ;   in Loop: Header=BB610_215 Depth=1
	v_and_b32_e32 v59, 7, v46
	v_ffbh_u32_e32 v60, v59
	v_min_u32_e32 v63, 32, v60
	v_subrev_u32_e32 v60, 28, v63
	v_lshlrev_b64 v[60:61], v60, v[46:47]
	v_lshrrev_b32_e32 v62, 3, v44
	v_sub_u32_e32 v61, 29, v63
	v_and_b32_e32 v60, 7, v60
	v_cmp_gt_u32_e32 vcc, 8, v44
	v_cndmask_b32_e32 v44, v62, v61, vcc
	v_cndmask_b32_e32 v59, v59, v60, vcc
	v_lshlrev_b32_e32 v46, 24, v46
	v_lshlrev_b32_e32 v59, 20, v59
	v_and_b32_e32 v46, 0x80000000, v46
	v_lshl_add_u32 v44, v44, 23, v55
	v_or3_b32 v59, v46, v44, v59
.LBB610_429:                            ;   in Loop: Header=BB610_215 Depth=1
	s_or_b64 exec, exec, s[18:19]
.LBB610_430:                            ;   in Loop: Header=BB610_215 Depth=1
	s_or_b64 exec, exec, s[16:17]
.LBB610_431:                            ;   in Loop: Header=BB610_215 Depth=1
	s_or_b64 exec, exec, s[14:15]
	s_waitcnt vmcnt(2)
	v_cmp_ne_u16_sdwa s[16:17], v42, v54 src0_sel:BYTE_0 src1_sel:DWORD
	s_and_saveexec_b64 s[14:15], s[16:17]
	s_cbranch_execz .LBB610_437
; %bb.432:                              ;   in Loop: Header=BB610_215 Depth=1
	v_cmp_ne_u16_sdwa s[18:19], v42, s9 src0_sel:BYTE_0 src1_sel:DWORD
	v_bfrev_b32_e32 v58, 1
	s_and_saveexec_b64 s[16:17], s[18:19]
	s_cbranch_execz .LBB610_436
; %bb.433:                              ;   in Loop: Header=BB610_215 Depth=1
	v_and_b32_e32 v44, 0x7f, v42
	v_cmp_ne_u32_e32 vcc, s21, v44
	v_mov_b32_e32 v58, 0x7f800001
	s_and_saveexec_b64 s[18:19], vcc
	s_cbranch_execz .LBB610_435
; %bb.434:                              ;   in Loop: Header=BB610_215 Depth=1
	v_and_b32_e32 v46, 7, v42
	v_ffbh_u32_e32 v60, v46
	v_min_u32_e32 v62, 32, v60
	v_subrev_u32_e32 v60, 28, v62
	v_lshlrev_b64 v[60:61], v60, v[42:43]
	v_lshrrev_b32_e32 v58, 3, v44
	v_sub_u32_e32 v61, 29, v62
	v_and_b32_e32 v60, 7, v60
	v_cmp_gt_u32_e32 vcc, 8, v44
	v_cndmask_b32_e32 v44, v58, v61, vcc
	v_cndmask_b32_e32 v46, v46, v60, vcc
	v_lshlrev_b32_e32 v58, 24, v42
	v_lshlrev_b32_e32 v46, 20, v46
	v_and_b32_e32 v58, 0x80000000, v58
	v_lshl_add_u32 v44, v44, 23, v55
	v_or3_b32 v58, v58, v44, v46
.LBB610_435:                            ;   in Loop: Header=BB610_215 Depth=1
	s_or_b64 exec, exec, s[18:19]
.LBB610_436:                            ;   in Loop: Header=BB610_215 Depth=1
	s_or_b64 exec, exec, s[16:17]
.LBB610_437:                            ;   in Loop: Header=BB610_215 Depth=1
	s_or_b64 exec, exec, s[14:15]
	v_lshrrev_b16_e32 v44, 8, v42
	v_cmp_ne_u16_e32 vcc, 0, v44
	v_mov_b32_e32 v60, 0
	v_mov_b32_e32 v61, 0
	s_and_saveexec_b64 s[14:15], vcc
	s_cbranch_execz .LBB610_443
; %bb.438:                              ;   in Loop: Header=BB610_215 Depth=1
	v_cmp_ne_u16_e32 vcc, s9, v44
	v_bfrev_b32_e32 v61, 1
	s_and_saveexec_b64 s[16:17], vcc
	s_cbranch_execz .LBB610_442
; %bb.439:                              ;   in Loop: Header=BB610_215 Depth=1
	v_and_b32_e32 v46, 0x7f, v44
	v_cmp_ne_u32_e32 vcc, s21, v46
	v_mov_b32_e32 v61, 0x7f800001
	s_and_saveexec_b64 s[18:19], vcc
	s_cbranch_execz .LBB610_441
; %bb.440:                              ;   in Loop: Header=BB610_215 Depth=1
	v_and_b32_e32 v61, 7, v44
	v_ffbh_u32_e32 v62, v61
	v_min_u32_e32 v65, 32, v62
	v_subrev_u32_e32 v62, 28, v65
	v_lshlrev_b64 v[62:63], v62, v[44:45]
	v_lshrrev_b32_e32 v64, 3, v46
	v_sub_u32_e32 v44, 29, v65
	v_and_b32_e32 v62, 7, v62
	v_cmp_gt_u32_e32 vcc, 8, v46
	v_cndmask_b32_e32 v44, v64, v44, vcc
	v_cndmask_b32_e32 v46, v61, v62, vcc
	v_lshlrev_b32_e32 v61, 16, v42
	v_lshlrev_b32_e32 v46, 20, v46
	v_and_b32_e32 v61, 0x80000000, v61
	v_lshl_add_u32 v44, v44, 23, v55
	v_or3_b32 v61, v61, v44, v46
.LBB610_441:                            ;   in Loop: Header=BB610_215 Depth=1
	s_or_b64 exec, exec, s[18:19]
.LBB610_442:                            ;   in Loop: Header=BB610_215 Depth=1
	s_or_b64 exec, exec, s[16:17]
.LBB610_443:                            ;   in Loop: Header=BB610_215 Depth=1
	s_or_b64 exec, exec, s[14:15]
	v_lshrrev_b32_e32 v44, 16, v42
	v_cmp_ne_u16_sdwa s[16:17], v44, v54 src0_sel:BYTE_0 src1_sel:DWORD
	s_and_saveexec_b64 s[14:15], s[16:17]
	s_cbranch_execz .LBB610_449
; %bb.444:                              ;   in Loop: Header=BB610_215 Depth=1
	v_cmp_ne_u16_sdwa s[18:19], v44, s9 src0_sel:BYTE_0 src1_sel:DWORD
	v_bfrev_b32_e32 v60, 1
	s_and_saveexec_b64 s[16:17], s[18:19]
	s_cbranch_execz .LBB610_448
; %bb.445:                              ;   in Loop: Header=BB610_215 Depth=1
	v_bfe_u32 v46, v42, 16, 7
	v_cmp_ne_u32_e32 vcc, s21, v46
	v_mov_b32_e32 v60, 0x7f800001
	s_and_saveexec_b64 s[18:19], vcc
	s_cbranch_execz .LBB610_447
; %bb.446:                              ;   in Loop: Header=BB610_215 Depth=1
	v_and_b32_e32 v60, 7, v44
	v_ffbh_u32_e32 v62, v60
	v_min_u32_e32 v65, 32, v62
	v_subrev_u32_e32 v62, 28, v65
	v_lshlrev_b64 v[62:63], v62, v[44:45]
	v_lshrrev_b32_e32 v64, 3, v46
	v_sub_u32_e32 v63, 29, v65
	v_and_b32_e32 v62, 7, v62
	v_cmp_gt_u32_e32 vcc, 8, v46
	v_cndmask_b32_e32 v46, v64, v63, vcc
	v_cndmask_b32_e32 v60, v60, v62, vcc
	v_lshlrev_b32_e32 v44, 24, v44
	v_lshlrev_b32_e32 v60, 20, v60
	v_and_b32_e32 v44, 0x80000000, v44
	v_lshl_add_u32 v46, v46, 23, v55
	v_or3_b32 v60, v44, v46, v60
.LBB610_447:                            ;   in Loop: Header=BB610_215 Depth=1
	s_or_b64 exec, exec, s[18:19]
.LBB610_448:                            ;   in Loop: Header=BB610_215 Depth=1
	s_or_b64 exec, exec, s[16:17]
.LBB610_449:                            ;   in Loop: Header=BB610_215 Depth=1
	s_or_b64 exec, exec, s[14:15]
	v_cmp_lt_u32_e32 vcc, s22, v42
	v_mov_b32_e32 v46, 0
	v_mov_b32_e32 v62, 0
	s_and_saveexec_b64 s[14:15], vcc
	s_cbranch_execz .LBB610_455
; %bb.450:                              ;   in Loop: Header=BB610_215 Depth=1
	v_lshrrev_b32_e32 v44, 24, v42
	v_cmp_ne_u32_e32 vcc, s9, v44
	v_bfrev_b32_e32 v62, 1
	s_and_saveexec_b64 s[16:17], vcc
	s_cbranch_execz .LBB610_454
; %bb.451:                              ;   in Loop: Header=BB610_215 Depth=1
	v_bfe_u32 v42, v42, 24, 7
	v_cmp_ne_u32_e32 vcc, s21, v42
	v_mov_b32_e32 v62, 0x7f800001
	s_and_saveexec_b64 s[18:19], vcc
	s_cbranch_execz .LBB610_453
; %bb.452:                              ;   in Loop: Header=BB610_215 Depth=1
	v_and_b32_e32 v64, 7, v44
	v_ffbh_u32_e32 v62, v64
	v_min_u32_e32 v66, 32, v62
	v_subrev_u32_e32 v62, 28, v66
	v_lshlrev_b64 v[62:63], v62, v[44:45]
	v_lshrrev_b32_e32 v65, 3, v42
	v_sub_u32_e32 v63, 29, v66
	v_and_b32_e32 v62, 7, v62
	v_cmp_gt_u32_e32 vcc, 8, v42
	v_cndmask_b32_e32 v42, v65, v63, vcc
	v_cndmask_b32_e32 v62, v64, v62, vcc
	v_lshlrev_b32_e32 v44, 24, v44
	v_lshlrev_b32_e32 v62, 20, v62
	v_and_b32_e32 v44, 0x80000000, v44
	v_lshl_add_u32 v42, v42, 23, v55
	v_or3_b32 v62, v44, v42, v62
.LBB610_453:                            ;   in Loop: Header=BB610_215 Depth=1
	s_or_b64 exec, exec, s[18:19]
.LBB610_454:                            ;   in Loop: Header=BB610_215 Depth=1
	s_or_b64 exec, exec, s[16:17]
.LBB610_455:                            ;   in Loop: Header=BB610_215 Depth=1
	s_or_b64 exec, exec, s[14:15]
	v_cvt_pkrtz_f16_f32 v56, v56, v57
	v_cvt_pkrtz_f16_f32 v57, v51, v59
	s_waitcnt vmcnt(1)
	v_cmp_ne_u16_sdwa s[16:17], v40, v54 src0_sel:BYTE_0 src1_sel:DWORD
	v_mfma_f32_16x16x16f16 v[34:37], v[56:57], v[18:19], v[34:37]
	v_cvt_pkrtz_f16_f32 v56, v58, v61
	v_cvt_pkrtz_f16_f32 v57, v60, v62
	s_nop 1
	v_mfma_f32_16x16x16f16 v[34:37], v[56:57], v[20:21], v[34:37]
	s_and_saveexec_b64 s[14:15], s[16:17]
	s_cbranch_execz .LBB610_461
; %bb.456:                              ;   in Loop: Header=BB610_215 Depth=1
	v_cmp_ne_u16_sdwa s[18:19], v40, s9 src0_sel:BYTE_0 src1_sel:DWORD
	v_bfrev_b32_e32 v46, 1
	s_and_saveexec_b64 s[16:17], s[18:19]
	s_cbranch_execz .LBB610_460
; %bb.457:                              ;   in Loop: Header=BB610_215 Depth=1
	v_and_b32_e32 v42, 0x7f, v40
	v_cmp_ne_u32_e32 vcc, s21, v42
	v_mov_b32_e32 v46, 0x7f800001
	s_and_saveexec_b64 s[18:19], vcc
	s_cbranch_execz .LBB610_459
; %bb.458:                              ;   in Loop: Header=BB610_215 Depth=1
	v_and_b32_e32 v44, 7, v40
	v_ffbh_u32_e32 v51, v44
	v_min_u32_e32 v51, 32, v51
	v_subrev_u32_e32 v56, 28, v51
	v_lshlrev_b64 v[56:57], v56, v[40:41]
	v_lshrrev_b32_e32 v46, 3, v42
	v_sub_u32_e32 v51, 29, v51
	v_and_b32_e32 v56, 7, v56
	v_cmp_gt_u32_e32 vcc, 8, v42
	v_cndmask_b32_e32 v42, v46, v51, vcc
	v_cndmask_b32_e32 v44, v44, v56, vcc
	v_lshlrev_b32_e32 v46, 24, v40
	v_lshlrev_b32_e32 v44, 20, v44
	v_and_b32_e32 v46, 0x80000000, v46
	v_lshl_add_u32 v42, v42, 23, v55
	v_or3_b32 v46, v46, v42, v44
.LBB610_459:                            ;   in Loop: Header=BB610_215 Depth=1
	s_or_b64 exec, exec, s[18:19]
.LBB610_460:                            ;   in Loop: Header=BB610_215 Depth=1
	s_or_b64 exec, exec, s[16:17]
.LBB610_461:                            ;   in Loop: Header=BB610_215 Depth=1
	s_or_b64 exec, exec, s[14:15]
	v_lshrrev_b16_e32 v42, 8, v40
	v_cmp_ne_u16_e32 vcc, 0, v42
	v_mov_b32_e32 v44, 0
	v_mov_b32_e32 v56, 0
	s_and_saveexec_b64 s[14:15], vcc
	s_cbranch_execz .LBB610_467
; %bb.462:                              ;   in Loop: Header=BB610_215 Depth=1
	v_cmp_ne_u16_e32 vcc, s9, v42
	v_bfrev_b32_e32 v56, 1
	s_and_saveexec_b64 s[16:17], vcc
	s_cbranch_execz .LBB610_466
; %bb.463:                              ;   in Loop: Header=BB610_215 Depth=1
	v_and_b32_e32 v51, 0x7f, v42
	v_cmp_ne_u32_e32 vcc, s21, v51
	v_mov_b32_e32 v56, 0x7f800001
	s_and_saveexec_b64 s[18:19], vcc
	s_cbranch_execz .LBB610_465
; %bb.464:                              ;   in Loop: Header=BB610_215 Depth=1
	v_and_b32_e32 v58, 7, v42
	v_ffbh_u32_e32 v56, v58
	v_min_u32_e32 v60, 32, v56
	v_subrev_u32_e32 v56, 28, v60
	v_lshlrev_b64 v[56:57], v56, v[42:43]
	v_lshrrev_b32_e32 v59, 3, v51
	v_sub_u32_e32 v42, 29, v60
	v_and_b32_e32 v56, 7, v56
	v_cmp_gt_u32_e32 vcc, 8, v51
	v_cndmask_b32_e32 v42, v59, v42, vcc
	v_cndmask_b32_e32 v51, v58, v56, vcc
	v_lshlrev_b32_e32 v56, 16, v40
	v_lshlrev_b32_e32 v51, 20, v51
	v_and_b32_e32 v56, 0x80000000, v56
	v_lshl_add_u32 v42, v42, 23, v55
	v_or3_b32 v56, v56, v42, v51
.LBB610_465:                            ;   in Loop: Header=BB610_215 Depth=1
	s_or_b64 exec, exec, s[18:19]
.LBB610_466:                            ;   in Loop: Header=BB610_215 Depth=1
	s_or_b64 exec, exec, s[16:17]
.LBB610_467:                            ;   in Loop: Header=BB610_215 Depth=1
	s_or_b64 exec, exec, s[14:15]
	v_lshrrev_b32_e32 v42, 16, v40
	v_cmp_ne_u16_sdwa s[16:17], v42, v54 src0_sel:BYTE_0 src1_sel:DWORD
	s_and_saveexec_b64 s[14:15], s[16:17]
	s_cbranch_execz .LBB610_473
; %bb.468:                              ;   in Loop: Header=BB610_215 Depth=1
	v_cmp_ne_u16_sdwa s[18:19], v42, s9 src0_sel:BYTE_0 src1_sel:DWORD
	v_bfrev_b32_e32 v44, 1
	s_and_saveexec_b64 s[16:17], s[18:19]
	s_cbranch_execz .LBB610_472
; %bb.469:                              ;   in Loop: Header=BB610_215 Depth=1
	v_bfe_u32 v51, v40, 16, 7
	v_cmp_ne_u32_e32 vcc, s21, v51
	v_mov_b32_e32 v44, 0x7f800001
	s_and_saveexec_b64 s[18:19], vcc
	s_cbranch_execz .LBB610_471
; %bb.470:                              ;   in Loop: Header=BB610_215 Depth=1
	v_and_b32_e32 v44, 7, v42
	v_ffbh_u32_e32 v58, v44
	v_min_u32_e32 v60, 32, v58
	v_subrev_u32_e32 v58, 28, v60
	v_lshlrev_b64 v[58:59], v58, v[42:43]
	v_lshrrev_b32_e32 v57, 3, v51
	v_sub_u32_e32 v59, 29, v60
	v_and_b32_e32 v58, 7, v58
	v_cmp_gt_u32_e32 vcc, 8, v51
	v_cndmask_b32_e32 v51, v57, v59, vcc
	v_cndmask_b32_e32 v44, v44, v58, vcc
	v_lshlrev_b32_e32 v42, 24, v42
	v_lshlrev_b32_e32 v44, 20, v44
	v_and_b32_e32 v42, 0x80000000, v42
	v_lshl_add_u32 v51, v51, 23, v55
	v_or3_b32 v44, v42, v51, v44
.LBB610_471:                            ;   in Loop: Header=BB610_215 Depth=1
	s_or_b64 exec, exec, s[18:19]
.LBB610_472:                            ;   in Loop: Header=BB610_215 Depth=1
	s_or_b64 exec, exec, s[16:17]
.LBB610_473:                            ;   in Loop: Header=BB610_215 Depth=1
	s_or_b64 exec, exec, s[14:15]
	v_cmp_lt_u32_e32 vcc, s22, v40
	v_mov_b32_e32 v57, 0
	v_mov_b32_e32 v58, 0
	s_and_saveexec_b64 s[14:15], vcc
	s_cbranch_execz .LBB610_479
; %bb.474:                              ;   in Loop: Header=BB610_215 Depth=1
	v_lshrrev_b32_e32 v42, 24, v40
	v_cmp_ne_u32_e32 vcc, s9, v42
	v_bfrev_b32_e32 v58, 1
	s_and_saveexec_b64 s[16:17], vcc
	s_cbranch_execz .LBB610_478
; %bb.475:                              ;   in Loop: Header=BB610_215 Depth=1
	v_bfe_u32 v40, v40, 24, 7
	v_cmp_ne_u32_e32 vcc, s21, v40
	v_mov_b32_e32 v58, 0x7f800001
	s_and_saveexec_b64 s[18:19], vcc
	s_cbranch_execz .LBB610_477
; %bb.476:                              ;   in Loop: Header=BB610_215 Depth=1
	v_and_b32_e32 v51, 7, v42
	v_ffbh_u32_e32 v58, v51
	v_min_u32_e32 v61, 32, v58
	v_subrev_u32_e32 v58, 28, v61
	v_lshlrev_b64 v[58:59], v58, v[42:43]
	v_lshrrev_b32_e32 v60, 3, v40
	v_sub_u32_e32 v59, 29, v61
	v_and_b32_e32 v58, 7, v58
	v_cmp_gt_u32_e32 vcc, 8, v40
	v_cndmask_b32_e32 v40, v60, v59, vcc
	v_cndmask_b32_e32 v51, v51, v58, vcc
	v_lshlrev_b32_e32 v42, 24, v42
	v_lshlrev_b32_e32 v51, 20, v51
	v_and_b32_e32 v42, 0x80000000, v42
	v_lshl_add_u32 v40, v40, 23, v55
	v_or3_b32 v58, v42, v40, v51
.LBB610_477:                            ;   in Loop: Header=BB610_215 Depth=1
	s_or_b64 exec, exec, s[18:19]
.LBB610_478:                            ;   in Loop: Header=BB610_215 Depth=1
	s_or_b64 exec, exec, s[16:17]
.LBB610_479:                            ;   in Loop: Header=BB610_215 Depth=1
	s_or_b64 exec, exec, s[14:15]
	s_waitcnt vmcnt(0)
	v_cmp_ne_u16_sdwa s[16:17], v38, v54 src0_sel:BYTE_0 src1_sel:DWORD
	s_and_saveexec_b64 s[14:15], s[16:17]
	s_cbranch_execz .LBB610_485
; %bb.480:                              ;   in Loop: Header=BB610_215 Depth=1
	v_cmp_ne_u16_sdwa s[18:19], v38, s9 src0_sel:BYTE_0 src1_sel:DWORD
	v_bfrev_b32_e32 v57, 1
	s_and_saveexec_b64 s[16:17], s[18:19]
	s_cbranch_execz .LBB610_484
; %bb.481:                              ;   in Loop: Header=BB610_215 Depth=1
	v_and_b32_e32 v40, 0x7f, v38
	v_cmp_ne_u32_e32 vcc, s21, v40
	v_mov_b32_e32 v57, 0x7f800001
	s_and_saveexec_b64 s[18:19], vcc
	s_cbranch_execz .LBB610_483
; %bb.482:                              ;   in Loop: Header=BB610_215 Depth=1
	v_and_b32_e32 v42, 7, v38
	v_ffbh_u32_e32 v57, v42
	v_min_u32_e32 v57, 32, v57
	v_subrev_u32_e32 v59, 28, v57
	v_lshlrev_b64 v[60:61], v59, v[38:39]
	v_lshrrev_b32_e32 v51, 3, v40
	v_sub_u32_e32 v57, 29, v57
	v_and_b32_e32 v59, 7, v60
	v_cmp_gt_u32_e32 vcc, 8, v40
	v_cndmask_b32_e32 v40, v51, v57, vcc
	v_cndmask_b32_e32 v42, v42, v59, vcc
	v_lshlrev_b32_e32 v51, 24, v38
	v_lshlrev_b32_e32 v42, 20, v42
	v_and_b32_e32 v51, 0x80000000, v51
	v_lshl_add_u32 v40, v40, 23, v55
	v_or3_b32 v57, v51, v40, v42
.LBB610_483:                            ;   in Loop: Header=BB610_215 Depth=1
	s_or_b64 exec, exec, s[18:19]
.LBB610_484:                            ;   in Loop: Header=BB610_215 Depth=1
	s_or_b64 exec, exec, s[16:17]
.LBB610_485:                            ;   in Loop: Header=BB610_215 Depth=1
	s_or_b64 exec, exec, s[14:15]
	v_lshrrev_b16_e32 v40, 8, v38
	v_cmp_ne_u16_e32 vcc, 0, v40
	v_mov_b32_e32 v59, 0
	v_mov_b32_e32 v60, 0
	s_and_saveexec_b64 s[14:15], vcc
	s_cbranch_execz .LBB610_491
; %bb.486:                              ;   in Loop: Header=BB610_215 Depth=1
	v_cmp_ne_u16_e32 vcc, s9, v40
	v_bfrev_b32_e32 v60, 1
	s_and_saveexec_b64 s[16:17], vcc
	s_cbranch_execz .LBB610_490
; %bb.487:                              ;   in Loop: Header=BB610_215 Depth=1
	v_and_b32_e32 v42, 0x7f, v40
	v_cmp_ne_u32_e32 vcc, s21, v42
	v_mov_b32_e32 v60, 0x7f800001
	s_and_saveexec_b64 s[18:19], vcc
	s_cbranch_execz .LBB610_489
; %bb.488:                              ;   in Loop: Header=BB610_215 Depth=1
	v_and_b32_e32 v51, 7, v40
	v_ffbh_u32_e32 v60, v51
	v_min_u32_e32 v63, 32, v60
	v_subrev_u32_e32 v60, 28, v63
	v_lshlrev_b64 v[60:61], v60, v[40:41]
	v_lshrrev_b32_e32 v62, 3, v42
	v_sub_u32_e32 v40, 29, v63
	v_and_b32_e32 v60, 7, v60
	v_cmp_gt_u32_e32 vcc, 8, v42
	v_cndmask_b32_e32 v40, v62, v40, vcc
	v_cndmask_b32_e32 v42, v51, v60, vcc
	v_lshlrev_b32_e32 v51, 16, v38
	v_lshlrev_b32_e32 v42, 20, v42
	v_and_b32_e32 v51, 0x80000000, v51
	v_lshl_add_u32 v40, v40, 23, v55
	v_or3_b32 v60, v51, v40, v42
.LBB610_489:                            ;   in Loop: Header=BB610_215 Depth=1
	s_or_b64 exec, exec, s[18:19]
.LBB610_490:                            ;   in Loop: Header=BB610_215 Depth=1
	s_or_b64 exec, exec, s[16:17]
.LBB610_491:                            ;   in Loop: Header=BB610_215 Depth=1
	s_or_b64 exec, exec, s[14:15]
	v_lshrrev_b32_e32 v40, 16, v38
	v_cmp_ne_u16_sdwa s[16:17], v40, v54 src0_sel:BYTE_0 src1_sel:DWORD
	s_and_saveexec_b64 s[14:15], s[16:17]
	s_cbranch_execz .LBB610_497
; %bb.492:                              ;   in Loop: Header=BB610_215 Depth=1
	v_cmp_ne_u16_sdwa s[18:19], v40, s9 src0_sel:BYTE_0 src1_sel:DWORD
	v_bfrev_b32_e32 v59, 1
	s_and_saveexec_b64 s[16:17], s[18:19]
	s_cbranch_execz .LBB610_496
; %bb.493:                              ;   in Loop: Header=BB610_215 Depth=1
	v_bfe_u32 v42, v38, 16, 7
	v_cmp_ne_u32_e32 vcc, s21, v42
	v_mov_b32_e32 v59, 0x7f800001
	s_and_saveexec_b64 s[18:19], vcc
	s_cbranch_execz .LBB610_495
; %bb.494:                              ;   in Loop: Header=BB610_215 Depth=1
	v_and_b32_e32 v51, 7, v40
	v_ffbh_u32_e32 v61, v51
	v_min_u32_e32 v61, 32, v61
	v_subrev_u32_e32 v62, 28, v61
	v_lshlrev_b64 v[62:63], v62, v[40:41]
	v_lshrrev_b32_e32 v59, 3, v42
	v_sub_u32_e32 v61, 29, v61
	v_and_b32_e32 v62, 7, v62
	v_cmp_gt_u32_e32 vcc, 8, v42
	v_cndmask_b32_e32 v42, v59, v61, vcc
	v_cndmask_b32_e32 v51, v51, v62, vcc
	v_lshlrev_b32_e32 v40, 24, v40
	v_lshlrev_b32_e32 v51, 20, v51
	v_and_b32_e32 v40, 0x80000000, v40
	v_lshl_add_u32 v42, v42, 23, v55
	v_or3_b32 v59, v40, v42, v51
.LBB610_495:                            ;   in Loop: Header=BB610_215 Depth=1
	s_or_b64 exec, exec, s[18:19]
.LBB610_496:                            ;   in Loop: Header=BB610_215 Depth=1
	s_or_b64 exec, exec, s[16:17]
.LBB610_497:                            ;   in Loop: Header=BB610_215 Depth=1
	s_or_b64 exec, exec, s[14:15]
	v_cmp_lt_u32_e32 vcc, s22, v38
	v_mov_b32_e32 v51, 0
	v_mov_b32_e32 v61, 0
	s_and_saveexec_b64 s[14:15], vcc
	s_cbranch_execz .LBB610_503
; %bb.498:                              ;   in Loop: Header=BB610_215 Depth=1
	v_lshrrev_b32_e32 v40, 24, v38
	v_cmp_ne_u32_e32 vcc, s9, v40
	v_bfrev_b32_e32 v61, 1
	s_and_saveexec_b64 s[16:17], vcc
	s_cbranch_execz .LBB610_502
; %bb.499:                              ;   in Loop: Header=BB610_215 Depth=1
	v_bfe_u32 v38, v38, 24, 7
	v_cmp_ne_u32_e32 vcc, s21, v38
	v_mov_b32_e32 v61, 0x7f800001
	s_and_saveexec_b64 s[18:19], vcc
	s_cbranch_execz .LBB610_501
; %bb.500:                              ;   in Loop: Header=BB610_215 Depth=1
	v_and_b32_e32 v42, 7, v40
	v_ffbh_u32_e32 v62, v42
	v_min_u32_e32 v64, 32, v62
	v_subrev_u32_e32 v62, 28, v64
	v_lshlrev_b64 v[62:63], v62, v[40:41]
	v_lshrrev_b32_e32 v61, 3, v38
	v_sub_u32_e32 v63, 29, v64
	v_and_b32_e32 v62, 7, v62
	v_cmp_gt_u32_e32 vcc, 8, v38
	v_cndmask_b32_e32 v38, v61, v63, vcc
	v_cndmask_b32_e32 v42, v42, v62, vcc
	v_lshlrev_b32_e32 v40, 24, v40
	v_lshlrev_b32_e32 v42, 20, v42
	v_and_b32_e32 v40, 0x80000000, v40
	v_lshl_add_u32 v38, v38, 23, v55
	v_or3_b32 v61, v40, v38, v42
.LBB610_501:                            ;   in Loop: Header=BB610_215 Depth=1
	s_or_b64 exec, exec, s[18:19]
.LBB610_502:                            ;   in Loop: Header=BB610_215 Depth=1
	s_or_b64 exec, exec, s[16:17]
.LBB610_503:                            ;   in Loop: Header=BB610_215 Depth=1
	s_or_b64 exec, exec, s[14:15]
	v_cvt_pkrtz_f16_f32 v63, v44, v58
	buffer_load_dword v44, v50, s[0:3], 0 offen
	buffer_load_dword v42, v50, s[0:3], 0 offen offset:4
	buffer_load_dword v40, v50, s[0:3], 0 offen offset:8
	;; [unrolled: 1-line block ×3, first 2 shown]
	v_cvt_pkrtz_f16_f32 v62, v46, v56
	v_cvt_pkrtz_f16_f32 v56, v57, v60
	;; [unrolled: 1-line block ×3, first 2 shown]
	v_mfma_f32_16x16x16f16 v[34:37], v[62:63], v[22:23], v[34:37]
	s_waitcnt vmcnt(3)
	v_cmp_ne_u16_sdwa s[16:17], v44, v54 src0_sel:BYTE_0 src1_sel:DWORD
	v_mfma_f32_16x16x16f16 v[34:37], v[56:57], v[24:25], v[34:37]
	s_and_saveexec_b64 s[14:15], s[16:17]
	s_cbranch_execz .LBB610_509
; %bb.504:                              ;   in Loop: Header=BB610_215 Depth=1
	v_cmp_ne_u16_sdwa s[18:19], v44, s9 src0_sel:BYTE_0 src1_sel:DWORD
	v_bfrev_b32_e32 v51, 1
	s_and_saveexec_b64 s[16:17], s[18:19]
	s_cbranch_execz .LBB610_508
; %bb.505:                              ;   in Loop: Header=BB610_215 Depth=1
	v_and_b32_e32 v46, 0x7f, v44
	v_cmp_ne_u32_e32 vcc, s21, v46
	v_mov_b32_e32 v51, 0x7f800001
	s_and_saveexec_b64 s[18:19], vcc
	s_cbranch_execz .LBB610_507
; %bb.506:                              ;   in Loop: Header=BB610_215 Depth=1
	v_and_b32_e32 v56, 7, v44
	v_ffbh_u32_e32 v50, v56
	v_min_u32_e32 v58, 32, v50
	v_subrev_u32_e32 v50, 28, v58
	v_lshlrev_b64 v[50:51], v50, v[44:45]
	v_lshrrev_b32_e32 v57, 3, v46
	v_sub_u32_e32 v51, 29, v58
	v_and_b32_e32 v50, 7, v50
	v_cmp_gt_u32_e32 vcc, 8, v46
	v_cndmask_b32_e32 v46, v57, v51, vcc
	v_cndmask_b32_e32 v50, v56, v50, vcc
	v_lshlrev_b32_e32 v51, 24, v44
	v_lshlrev_b32_e32 v50, 20, v50
	v_and_b32_e32 v51, 0x80000000, v51
	v_lshl_add_u32 v46, v46, 23, v55
	v_or3_b32 v51, v51, v46, v50
.LBB610_507:                            ;   in Loop: Header=BB610_215 Depth=1
	s_or_b64 exec, exec, s[18:19]
.LBB610_508:                            ;   in Loop: Header=BB610_215 Depth=1
	s_or_b64 exec, exec, s[16:17]
.LBB610_509:                            ;   in Loop: Header=BB610_215 Depth=1
	s_or_b64 exec, exec, s[14:15]
	v_lshrrev_b16_e32 v46, 8, v44
	v_cmp_ne_u16_e32 vcc, 0, v46
	v_mov_b32_e32 v50, 0
	v_mov_b32_e32 v56, 0
	s_and_saveexec_b64 s[14:15], vcc
	s_cbranch_execz .LBB610_515
; %bb.510:                              ;   in Loop: Header=BB610_215 Depth=1
	v_cmp_ne_u16_e32 vcc, s9, v46
	v_bfrev_b32_e32 v56, 1
	s_and_saveexec_b64 s[16:17], vcc
	s_cbranch_execz .LBB610_514
; %bb.511:                              ;   in Loop: Header=BB610_215 Depth=1
	v_and_b32_e32 v57, 0x7f, v46
	v_cmp_ne_u32_e32 vcc, s21, v57
	v_mov_b32_e32 v56, 0x7f800001
	s_and_saveexec_b64 s[18:19], vcc
	s_cbranch_execz .LBB610_513
; %bb.512:                              ;   in Loop: Header=BB610_215 Depth=1
	v_and_b32_e32 v56, 7, v46
	v_ffbh_u32_e32 v58, v56
	v_min_u32_e32 v61, 32, v58
	v_subrev_u32_e32 v58, 28, v61
	v_lshlrev_b64 v[58:59], v58, v[46:47]
	v_lshrrev_b32_e32 v60, 3, v57
	v_sub_u32_e32 v46, 29, v61
	v_and_b32_e32 v58, 7, v58
	v_cmp_gt_u32_e32 vcc, 8, v57
	v_cndmask_b32_e32 v46, v60, v46, vcc
	v_cndmask_b32_e32 v56, v56, v58, vcc
	v_lshlrev_b32_e32 v57, 16, v44
	v_lshlrev_b32_e32 v56, 20, v56
	v_and_b32_e32 v57, 0x80000000, v57
	v_lshl_add_u32 v46, v46, 23, v55
	v_or3_b32 v56, v57, v46, v56
.LBB610_513:                            ;   in Loop: Header=BB610_215 Depth=1
	s_or_b64 exec, exec, s[18:19]
.LBB610_514:                            ;   in Loop: Header=BB610_215 Depth=1
	s_or_b64 exec, exec, s[16:17]
.LBB610_515:                            ;   in Loop: Header=BB610_215 Depth=1
	s_or_b64 exec, exec, s[14:15]
	v_lshrrev_b32_e32 v46, 16, v44
	v_cmp_ne_u16_sdwa s[16:17], v46, v54 src0_sel:BYTE_0 src1_sel:DWORD
	s_and_saveexec_b64 s[14:15], s[16:17]
	s_cbranch_execz .LBB610_521
; %bb.516:                              ;   in Loop: Header=BB610_215 Depth=1
	v_cmp_ne_u16_sdwa s[18:19], v46, s9 src0_sel:BYTE_0 src1_sel:DWORD
	v_bfrev_b32_e32 v50, 1
	s_and_saveexec_b64 s[16:17], s[18:19]
	s_cbranch_execz .LBB610_520
; %bb.517:                              ;   in Loop: Header=BB610_215 Depth=1
	v_bfe_u32 v57, v44, 16, 7
	v_cmp_ne_u32_e32 vcc, s21, v57
	v_mov_b32_e32 v50, 0x7f800001
	s_and_saveexec_b64 s[18:19], vcc
	s_cbranch_execz .LBB610_519
; %bb.518:                              ;   in Loop: Header=BB610_215 Depth=1
	v_and_b32_e32 v50, 7, v46
	v_ffbh_u32_e32 v58, v50
	v_min_u32_e32 v61, 32, v58
	v_subrev_u32_e32 v58, 28, v61
	v_lshlrev_b64 v[58:59], v58, v[46:47]
	v_lshrrev_b32_e32 v60, 3, v57
	v_sub_u32_e32 v59, 29, v61
	v_and_b32_e32 v58, 7, v58
	v_cmp_gt_u32_e32 vcc, 8, v57
	v_cndmask_b32_e32 v57, v60, v59, vcc
	v_cndmask_b32_e32 v50, v50, v58, vcc
	v_lshlrev_b32_e32 v46, 24, v46
	v_lshlrev_b32_e32 v50, 20, v50
	v_and_b32_e32 v46, 0x80000000, v46
	v_lshl_add_u32 v57, v57, 23, v55
	v_or3_b32 v50, v46, v57, v50
.LBB610_519:                            ;   in Loop: Header=BB610_215 Depth=1
	s_or_b64 exec, exec, s[18:19]
.LBB610_520:                            ;   in Loop: Header=BB610_215 Depth=1
	s_or_b64 exec, exec, s[16:17]
.LBB610_521:                            ;   in Loop: Header=BB610_215 Depth=1
	s_or_b64 exec, exec, s[14:15]
	v_cmp_lt_u32_e32 vcc, s22, v44
	v_mov_b32_e32 v57, 0
	v_mov_b32_e32 v58, 0
	s_and_saveexec_b64 s[14:15], vcc
	s_cbranch_execz .LBB610_527
; %bb.522:                              ;   in Loop: Header=BB610_215 Depth=1
	v_lshrrev_b32_e32 v46, 24, v44
	v_cmp_ne_u32_e32 vcc, s9, v46
	v_bfrev_b32_e32 v58, 1
	s_and_saveexec_b64 s[16:17], vcc
	s_cbranch_execz .LBB610_526
; %bb.523:                              ;   in Loop: Header=BB610_215 Depth=1
	v_bfe_u32 v44, v44, 24, 7
	v_cmp_ne_u32_e32 vcc, s21, v44
	v_mov_b32_e32 v58, 0x7f800001
	s_and_saveexec_b64 s[18:19], vcc
	s_cbranch_execz .LBB610_525
; %bb.524:                              ;   in Loop: Header=BB610_215 Depth=1
	v_and_b32_e32 v60, 7, v46
	v_ffbh_u32_e32 v58, v60
	v_min_u32_e32 v62, 32, v58
	v_subrev_u32_e32 v58, 28, v62
	v_lshlrev_b64 v[58:59], v58, v[46:47]
	v_lshrrev_b32_e32 v61, 3, v44
	v_sub_u32_e32 v59, 29, v62
	v_and_b32_e32 v58, 7, v58
	v_cmp_gt_u32_e32 vcc, 8, v44
	v_cndmask_b32_e32 v44, v61, v59, vcc
	v_cndmask_b32_e32 v58, v60, v58, vcc
	v_lshlrev_b32_e32 v46, 24, v46
	v_lshlrev_b32_e32 v58, 20, v58
	v_and_b32_e32 v46, 0x80000000, v46
	v_lshl_add_u32 v44, v44, 23, v55
	v_or3_b32 v58, v46, v44, v58
.LBB610_525:                            ;   in Loop: Header=BB610_215 Depth=1
	s_or_b64 exec, exec, s[18:19]
.LBB610_526:                            ;   in Loop: Header=BB610_215 Depth=1
	s_or_b64 exec, exec, s[16:17]
.LBB610_527:                            ;   in Loop: Header=BB610_215 Depth=1
	s_or_b64 exec, exec, s[14:15]
	s_waitcnt vmcnt(2)
	v_cmp_ne_u16_sdwa s[16:17], v42, v54 src0_sel:BYTE_0 src1_sel:DWORD
	s_and_saveexec_b64 s[14:15], s[16:17]
	s_cbranch_execz .LBB610_533
; %bb.528:                              ;   in Loop: Header=BB610_215 Depth=1
	v_cmp_ne_u16_sdwa s[18:19], v42, s9 src0_sel:BYTE_0 src1_sel:DWORD
	v_bfrev_b32_e32 v57, 1
	s_and_saveexec_b64 s[16:17], s[18:19]
	s_cbranch_execz .LBB610_532
; %bb.529:                              ;   in Loop: Header=BB610_215 Depth=1
	v_and_b32_e32 v44, 0x7f, v42
	v_cmp_ne_u32_e32 vcc, s21, v44
	v_mov_b32_e32 v57, 0x7f800001
	s_and_saveexec_b64 s[18:19], vcc
	s_cbranch_execz .LBB610_531
; %bb.530:                              ;   in Loop: Header=BB610_215 Depth=1
	v_and_b32_e32 v46, 7, v42
	v_ffbh_u32_e32 v59, v46
	v_min_u32_e32 v59, 32, v59
	v_subrev_u32_e32 v60, 28, v59
	v_lshlrev_b64 v[60:61], v60, v[42:43]
	v_lshrrev_b32_e32 v57, 3, v44
	v_sub_u32_e32 v59, 29, v59
	v_and_b32_e32 v60, 7, v60
	v_cmp_gt_u32_e32 vcc, 8, v44
	v_cndmask_b32_e32 v44, v57, v59, vcc
	v_cndmask_b32_e32 v46, v46, v60, vcc
	v_lshlrev_b32_e32 v57, 24, v42
	v_lshlrev_b32_e32 v46, 20, v46
	v_and_b32_e32 v57, 0x80000000, v57
	v_lshl_add_u32 v44, v44, 23, v55
	v_or3_b32 v57, v57, v44, v46
.LBB610_531:                            ;   in Loop: Header=BB610_215 Depth=1
	s_or_b64 exec, exec, s[18:19]
.LBB610_532:                            ;   in Loop: Header=BB610_215 Depth=1
	s_or_b64 exec, exec, s[16:17]
.LBB610_533:                            ;   in Loop: Header=BB610_215 Depth=1
	s_or_b64 exec, exec, s[14:15]
	v_lshrrev_b16_e32 v44, 8, v42
	v_cmp_ne_u16_e32 vcc, 0, v44
	v_mov_b32_e32 v59, 0
	v_mov_b32_e32 v60, 0
	s_and_saveexec_b64 s[14:15], vcc
	s_cbranch_execz .LBB610_539
; %bb.534:                              ;   in Loop: Header=BB610_215 Depth=1
	v_cmp_ne_u16_e32 vcc, s9, v44
	v_bfrev_b32_e32 v60, 1
	s_and_saveexec_b64 s[16:17], vcc
	s_cbranch_execz .LBB610_538
; %bb.535:                              ;   in Loop: Header=BB610_215 Depth=1
	v_and_b32_e32 v46, 0x7f, v44
	v_cmp_ne_u32_e32 vcc, s21, v46
	v_mov_b32_e32 v60, 0x7f800001
	s_and_saveexec_b64 s[18:19], vcc
	s_cbranch_execz .LBB610_537
; %bb.536:                              ;   in Loop: Header=BB610_215 Depth=1
	v_and_b32_e32 v62, 7, v44
	v_ffbh_u32_e32 v60, v62
	v_min_u32_e32 v64, 32, v60
	v_subrev_u32_e32 v60, 28, v64
	v_lshlrev_b64 v[60:61], v60, v[44:45]
	v_lshrrev_b32_e32 v63, 3, v46
	v_sub_u32_e32 v44, 29, v64
	v_and_b32_e32 v60, 7, v60
	v_cmp_gt_u32_e32 vcc, 8, v46
	v_cndmask_b32_e32 v44, v63, v44, vcc
	v_cndmask_b32_e32 v46, v62, v60, vcc
	v_lshlrev_b32_e32 v60, 16, v42
	v_lshlrev_b32_e32 v46, 20, v46
	v_and_b32_e32 v60, 0x80000000, v60
	v_lshl_add_u32 v44, v44, 23, v55
	v_or3_b32 v60, v60, v44, v46
.LBB610_537:                            ;   in Loop: Header=BB610_215 Depth=1
	s_or_b64 exec, exec, s[18:19]
.LBB610_538:                            ;   in Loop: Header=BB610_215 Depth=1
	s_or_b64 exec, exec, s[16:17]
.LBB610_539:                            ;   in Loop: Header=BB610_215 Depth=1
	s_or_b64 exec, exec, s[14:15]
	v_lshrrev_b32_e32 v44, 16, v42
	v_cmp_ne_u16_sdwa s[16:17], v44, v54 src0_sel:BYTE_0 src1_sel:DWORD
	s_and_saveexec_b64 s[14:15], s[16:17]
	s_cbranch_execz .LBB610_545
; %bb.540:                              ;   in Loop: Header=BB610_215 Depth=1
	v_cmp_ne_u16_sdwa s[18:19], v44, s9 src0_sel:BYTE_0 src1_sel:DWORD
	v_bfrev_b32_e32 v59, 1
	s_and_saveexec_b64 s[16:17], s[18:19]
	s_cbranch_execz .LBB610_544
; %bb.541:                              ;   in Loop: Header=BB610_215 Depth=1
	v_bfe_u32 v46, v42, 16, 7
	v_cmp_ne_u32_e32 vcc, s21, v46
	v_mov_b32_e32 v59, 0x7f800001
	s_and_saveexec_b64 s[18:19], vcc
	s_cbranch_execz .LBB610_543
; %bb.542:                              ;   in Loop: Header=BB610_215 Depth=1
	v_and_b32_e32 v59, 7, v44
	v_ffbh_u32_e32 v62, v59
	v_min_u32_e32 v64, 32, v62
	v_subrev_u32_e32 v62, 28, v64
	v_lshlrev_b64 v[62:63], v62, v[44:45]
	v_lshrrev_b32_e32 v61, 3, v46
	v_sub_u32_e32 v63, 29, v64
	v_and_b32_e32 v62, 7, v62
	v_cmp_gt_u32_e32 vcc, 8, v46
	v_cndmask_b32_e32 v46, v61, v63, vcc
	v_cndmask_b32_e32 v59, v59, v62, vcc
	v_lshlrev_b32_e32 v44, 24, v44
	v_lshlrev_b32_e32 v59, 20, v59
	v_and_b32_e32 v44, 0x80000000, v44
	v_lshl_add_u32 v46, v46, 23, v55
	v_or3_b32 v59, v44, v46, v59
.LBB610_543:                            ;   in Loop: Header=BB610_215 Depth=1
	s_or_b64 exec, exec, s[18:19]
.LBB610_544:                            ;   in Loop: Header=BB610_215 Depth=1
	s_or_b64 exec, exec, s[16:17]
.LBB610_545:                            ;   in Loop: Header=BB610_215 Depth=1
	s_or_b64 exec, exec, s[14:15]
	v_cmp_lt_u32_e32 vcc, s22, v42
	v_mov_b32_e32 v46, 0
	v_mov_b32_e32 v61, 0
	s_and_saveexec_b64 s[14:15], vcc
	s_cbranch_execz .LBB610_551
; %bb.546:                              ;   in Loop: Header=BB610_215 Depth=1
	v_lshrrev_b32_e32 v44, 24, v42
	v_cmp_ne_u32_e32 vcc, s9, v44
	v_bfrev_b32_e32 v61, 1
	s_and_saveexec_b64 s[16:17], vcc
	s_cbranch_execz .LBB610_550
; %bb.547:                              ;   in Loop: Header=BB610_215 Depth=1
	v_bfe_u32 v42, v42, 24, 7
	v_cmp_ne_u32_e32 vcc, s21, v42
	v_mov_b32_e32 v61, 0x7f800001
	s_and_saveexec_b64 s[18:19], vcc
	s_cbranch_execz .LBB610_549
; %bb.548:                              ;   in Loop: Header=BB610_215 Depth=1
	v_and_b32_e32 v61, 7, v44
	v_ffbh_u32_e32 v62, v61
	v_min_u32_e32 v65, 32, v62
	v_subrev_u32_e32 v62, 28, v65
	v_lshlrev_b64 v[62:63], v62, v[44:45]
	v_lshrrev_b32_e32 v64, 3, v42
	v_sub_u32_e32 v63, 29, v65
	v_and_b32_e32 v62, 7, v62
	v_cmp_gt_u32_e32 vcc, 8, v42
	v_cndmask_b32_e32 v42, v64, v63, vcc
	v_cndmask_b32_e32 v61, v61, v62, vcc
	v_lshlrev_b32_e32 v44, 24, v44
	v_lshlrev_b32_e32 v61, 20, v61
	v_and_b32_e32 v44, 0x80000000, v44
	v_lshl_add_u32 v42, v42, 23, v55
	v_or3_b32 v61, v44, v42, v61
.LBB610_549:                            ;   in Loop: Header=BB610_215 Depth=1
	s_or_b64 exec, exec, s[18:19]
.LBB610_550:                            ;   in Loop: Header=BB610_215 Depth=1
	s_or_b64 exec, exec, s[16:17]
.LBB610_551:                            ;   in Loop: Header=BB610_215 Depth=1
	s_or_b64 exec, exec, s[14:15]
	v_cvt_pkrtz_f16_f32 v62, v51, v56
	v_cvt_pkrtz_f16_f32 v63, v50, v58
	;; [unrolled: 1-line block ×4, first 2 shown]
	s_waitcnt vmcnt(1)
	v_cmp_ne_u16_sdwa s[16:17], v40, v54 src0_sel:BYTE_0 src1_sel:DWORD
	v_mfma_f32_16x16x16f16 v[34:37], v[62:63], v[26:27], v[34:37]
	v_mfma_f32_16x16x16f16 v[34:37], v[50:51], v[28:29], v[34:37]
	s_and_saveexec_b64 s[14:15], s[16:17]
	s_cbranch_execz .LBB610_557
; %bb.552:                              ;   in Loop: Header=BB610_215 Depth=1
	v_cmp_ne_u16_sdwa s[18:19], v40, s9 src0_sel:BYTE_0 src1_sel:DWORD
	v_bfrev_b32_e32 v46, 1
	s_and_saveexec_b64 s[16:17], s[18:19]
	s_cbranch_execz .LBB610_556
; %bb.553:                              ;   in Loop: Header=BB610_215 Depth=1
	v_and_b32_e32 v42, 0x7f, v40
	v_cmp_ne_u32_e32 vcc, s21, v42
	v_mov_b32_e32 v46, 0x7f800001
	s_and_saveexec_b64 s[18:19], vcc
	s_cbranch_execz .LBB610_555
; %bb.554:                              ;   in Loop: Header=BB610_215 Depth=1
	v_and_b32_e32 v44, 7, v40
	v_ffbh_u32_e32 v50, v44
	v_min_u32_e32 v56, 32, v50
	v_subrev_u32_e32 v50, 28, v56
	v_lshlrev_b64 v[50:51], v50, v[40:41]
	v_lshrrev_b32_e32 v46, 3, v42
	v_sub_u32_e32 v51, 29, v56
	v_and_b32_e32 v50, 7, v50
	v_cmp_gt_u32_e32 vcc, 8, v42
	v_cndmask_b32_e32 v42, v46, v51, vcc
	v_cndmask_b32_e32 v44, v44, v50, vcc
	v_lshlrev_b32_e32 v46, 24, v40
	v_lshlrev_b32_e32 v44, 20, v44
	v_and_b32_e32 v46, 0x80000000, v46
	v_lshl_add_u32 v42, v42, 23, v55
	v_or3_b32 v46, v46, v42, v44
.LBB610_555:                            ;   in Loop: Header=BB610_215 Depth=1
	s_or_b64 exec, exec, s[18:19]
.LBB610_556:                            ;   in Loop: Header=BB610_215 Depth=1
	s_or_b64 exec, exec, s[16:17]
.LBB610_557:                            ;   in Loop: Header=BB610_215 Depth=1
	s_or_b64 exec, exec, s[14:15]
	v_lshrrev_b16_e32 v42, 8, v40
	v_cmp_ne_u16_e32 vcc, 0, v42
	v_mov_b32_e32 v44, 0
	v_mov_b32_e32 v50, 0
	s_and_saveexec_b64 s[14:15], vcc
	s_cbranch_execz .LBB610_563
; %bb.558:                              ;   in Loop: Header=BB610_215 Depth=1
	v_cmp_ne_u16_e32 vcc, s9, v42
	v_bfrev_b32_e32 v50, 1
	s_and_saveexec_b64 s[16:17], vcc
	s_cbranch_execz .LBB610_562
; %bb.559:                              ;   in Loop: Header=BB610_215 Depth=1
	v_and_b32_e32 v51, 0x7f, v42
	v_cmp_ne_u32_e32 vcc, s21, v51
	v_mov_b32_e32 v50, 0x7f800001
	s_and_saveexec_b64 s[18:19], vcc
	s_cbranch_execz .LBB610_561
; %bb.560:                              ;   in Loop: Header=BB610_215 Depth=1
	v_and_b32_e32 v50, 7, v42
	v_ffbh_u32_e32 v56, v50
	v_min_u32_e32 v59, 32, v56
	v_subrev_u32_e32 v56, 28, v59
	v_lshlrev_b64 v[56:57], v56, v[42:43]
	v_lshrrev_b32_e32 v58, 3, v51
	v_sub_u32_e32 v42, 29, v59
	v_and_b32_e32 v56, 7, v56
	v_cmp_gt_u32_e32 vcc, 8, v51
	v_cndmask_b32_e32 v42, v58, v42, vcc
	v_cndmask_b32_e32 v50, v50, v56, vcc
	v_lshlrev_b32_e32 v51, 16, v40
	v_lshlrev_b32_e32 v50, 20, v50
	v_and_b32_e32 v51, 0x80000000, v51
	v_lshl_add_u32 v42, v42, 23, v55
	v_or3_b32 v50, v51, v42, v50
.LBB610_561:                            ;   in Loop: Header=BB610_215 Depth=1
	s_or_b64 exec, exec, s[18:19]
.LBB610_562:                            ;   in Loop: Header=BB610_215 Depth=1
	s_or_b64 exec, exec, s[16:17]
.LBB610_563:                            ;   in Loop: Header=BB610_215 Depth=1
	s_or_b64 exec, exec, s[14:15]
	v_lshrrev_b32_e32 v42, 16, v40
	v_cmp_ne_u16_sdwa s[16:17], v42, v54 src0_sel:BYTE_0 src1_sel:DWORD
	s_and_saveexec_b64 s[14:15], s[16:17]
	s_cbranch_execz .LBB610_569
; %bb.564:                              ;   in Loop: Header=BB610_215 Depth=1
	v_cmp_ne_u16_sdwa s[18:19], v42, s9 src0_sel:BYTE_0 src1_sel:DWORD
	v_bfrev_b32_e32 v44, 1
	s_and_saveexec_b64 s[16:17], s[18:19]
	s_cbranch_execz .LBB610_568
; %bb.565:                              ;   in Loop: Header=BB610_215 Depth=1
	v_bfe_u32 v51, v40, 16, 7
	v_cmp_ne_u32_e32 vcc, s21, v51
	v_mov_b32_e32 v44, 0x7f800001
	s_and_saveexec_b64 s[18:19], vcc
	s_cbranch_execz .LBB610_567
; %bb.566:                              ;   in Loop: Header=BB610_215 Depth=1
	v_and_b32_e32 v44, 7, v42
	v_ffbh_u32_e32 v56, v44
	v_min_u32_e32 v59, 32, v56
	v_subrev_u32_e32 v56, 28, v59
	v_lshlrev_b64 v[56:57], v56, v[42:43]
	v_lshrrev_b32_e32 v58, 3, v51
	v_sub_u32_e32 v57, 29, v59
	v_and_b32_e32 v56, 7, v56
	v_cmp_gt_u32_e32 vcc, 8, v51
	v_cndmask_b32_e32 v51, v58, v57, vcc
	v_cndmask_b32_e32 v44, v44, v56, vcc
	v_lshlrev_b32_e32 v42, 24, v42
	v_lshlrev_b32_e32 v44, 20, v44
	v_and_b32_e32 v42, 0x80000000, v42
	v_lshl_add_u32 v51, v51, 23, v55
	v_or3_b32 v44, v42, v51, v44
.LBB610_567:                            ;   in Loop: Header=BB610_215 Depth=1
	s_or_b64 exec, exec, s[18:19]
.LBB610_568:                            ;   in Loop: Header=BB610_215 Depth=1
	s_or_b64 exec, exec, s[16:17]
.LBB610_569:                            ;   in Loop: Header=BB610_215 Depth=1
	s_or_b64 exec, exec, s[14:15]
	v_cmp_lt_u32_e32 vcc, s22, v40
	v_mov_b32_e32 v51, 0
	v_mov_b32_e32 v56, 0
	s_and_saveexec_b64 s[14:15], vcc
	s_cbranch_execz .LBB610_575
; %bb.570:                              ;   in Loop: Header=BB610_215 Depth=1
	v_lshrrev_b32_e32 v42, 24, v40
	v_cmp_ne_u32_e32 vcc, s9, v42
	v_bfrev_b32_e32 v56, 1
	s_and_saveexec_b64 s[16:17], vcc
	s_cbranch_execz .LBB610_574
; %bb.571:                              ;   in Loop: Header=BB610_215 Depth=1
	v_bfe_u32 v40, v40, 24, 7
	v_cmp_ne_u32_e32 vcc, s21, v40
	v_mov_b32_e32 v56, 0x7f800001
	s_and_saveexec_b64 s[18:19], vcc
	s_cbranch_execz .LBB610_573
; %bb.572:                              ;   in Loop: Header=BB610_215 Depth=1
	v_and_b32_e32 v58, 7, v42
	v_ffbh_u32_e32 v56, v58
	v_min_u32_e32 v60, 32, v56
	v_subrev_u32_e32 v56, 28, v60
	v_lshlrev_b64 v[56:57], v56, v[42:43]
	v_lshrrev_b32_e32 v59, 3, v40
	v_sub_u32_e32 v57, 29, v60
	v_and_b32_e32 v56, 7, v56
	v_cmp_gt_u32_e32 vcc, 8, v40
	v_cndmask_b32_e32 v40, v59, v57, vcc
	v_cndmask_b32_e32 v56, v58, v56, vcc
	v_lshlrev_b32_e32 v42, 24, v42
	v_lshlrev_b32_e32 v56, 20, v56
	v_and_b32_e32 v42, 0x80000000, v42
	v_lshl_add_u32 v40, v40, 23, v55
	v_or3_b32 v56, v42, v40, v56
.LBB610_573:                            ;   in Loop: Header=BB610_215 Depth=1
	s_or_b64 exec, exec, s[18:19]
.LBB610_574:                            ;   in Loop: Header=BB610_215 Depth=1
	s_or_b64 exec, exec, s[16:17]
.LBB610_575:                            ;   in Loop: Header=BB610_215 Depth=1
	s_or_b64 exec, exec, s[14:15]
	s_waitcnt vmcnt(0)
	v_cmp_ne_u16_sdwa s[16:17], v38, v54 src0_sel:BYTE_0 src1_sel:DWORD
	s_and_saveexec_b64 s[14:15], s[16:17]
	s_cbranch_execz .LBB610_581
; %bb.576:                              ;   in Loop: Header=BB610_215 Depth=1
	v_cmp_ne_u16_sdwa s[18:19], v38, s9 src0_sel:BYTE_0 src1_sel:DWORD
	v_bfrev_b32_e32 v51, 1
	s_and_saveexec_b64 s[16:17], s[18:19]
	s_cbranch_execz .LBB610_580
; %bb.577:                              ;   in Loop: Header=BB610_215 Depth=1
	v_and_b32_e32 v40, 0x7f, v38
	v_cmp_ne_u32_e32 vcc, s21, v40
	v_mov_b32_e32 v51, 0x7f800001
	s_and_saveexec_b64 s[18:19], vcc
	s_cbranch_execz .LBB610_579
; %bb.578:                              ;   in Loop: Header=BB610_215 Depth=1
	v_and_b32_e32 v42, 7, v38
	v_ffbh_u32_e32 v57, v42
	v_min_u32_e32 v57, 32, v57
	v_subrev_u32_e32 v58, 28, v57
	v_lshlrev_b64 v[58:59], v58, v[38:39]
	v_lshrrev_b32_e32 v51, 3, v40
	v_sub_u32_e32 v57, 29, v57
	v_and_b32_e32 v58, 7, v58
	v_cmp_gt_u32_e32 vcc, 8, v40
	v_cndmask_b32_e32 v40, v51, v57, vcc
	v_cndmask_b32_e32 v42, v42, v58, vcc
	v_lshlrev_b32_e32 v51, 24, v38
	v_lshlrev_b32_e32 v42, 20, v42
	v_and_b32_e32 v51, 0x80000000, v51
	v_lshl_add_u32 v40, v40, 23, v55
	v_or3_b32 v51, v51, v40, v42
.LBB610_579:                            ;   in Loop: Header=BB610_215 Depth=1
	s_or_b64 exec, exec, s[18:19]
.LBB610_580:                            ;   in Loop: Header=BB610_215 Depth=1
	s_or_b64 exec, exec, s[16:17]
.LBB610_581:                            ;   in Loop: Header=BB610_215 Depth=1
	s_or_b64 exec, exec, s[14:15]
	v_lshrrev_b16_e32 v40, 8, v38
	v_cmp_ne_u16_e32 vcc, 0, v40
	v_mov_b32_e32 v42, 0
	v_mov_b32_e32 v57, 0
	s_and_saveexec_b64 s[14:15], vcc
	s_cbranch_execz .LBB610_587
; %bb.582:                              ;   in Loop: Header=BB610_215 Depth=1
	v_cmp_ne_u16_e32 vcc, s9, v40
	v_bfrev_b32_e32 v57, 1
	s_and_saveexec_b64 s[16:17], vcc
	s_cbranch_execz .LBB610_586
; %bb.583:                              ;   in Loop: Header=BB610_215 Depth=1
	v_and_b32_e32 v58, 0x7f, v40
	v_cmp_ne_u32_e32 vcc, s21, v58
	v_mov_b32_e32 v57, 0x7f800001
	s_and_saveexec_b64 s[18:19], vcc
	s_cbranch_execz .LBB610_585
; %bb.584:                              ;   in Loop: Header=BB610_215 Depth=1
	v_and_b32_e32 v57, 7, v40
	v_ffbh_u32_e32 v60, v57
	v_min_u32_e32 v62, 32, v60
	v_subrev_u32_e32 v60, 28, v62
	v_lshlrev_b64 v[60:61], v60, v[40:41]
	v_lshrrev_b32_e32 v59, 3, v58
	v_sub_u32_e32 v40, 29, v62
	v_and_b32_e32 v60, 7, v60
	v_cmp_gt_u32_e32 vcc, 8, v58
	v_cndmask_b32_e32 v40, v59, v40, vcc
	v_cndmask_b32_e32 v57, v57, v60, vcc
	v_lshlrev_b32_e32 v58, 16, v38
	v_lshlrev_b32_e32 v57, 20, v57
	v_and_b32_e32 v58, 0x80000000, v58
	v_lshl_add_u32 v40, v40, 23, v55
	v_or3_b32 v57, v58, v40, v57
.LBB610_585:                            ;   in Loop: Header=BB610_215 Depth=1
	s_or_b64 exec, exec, s[18:19]
.LBB610_586:                            ;   in Loop: Header=BB610_215 Depth=1
	s_or_b64 exec, exec, s[16:17]
.LBB610_587:                            ;   in Loop: Header=BB610_215 Depth=1
	s_or_b64 exec, exec, s[14:15]
	v_lshrrev_b32_e32 v40, 16, v38
	v_cmp_ne_u16_sdwa s[16:17], v40, v54 src0_sel:BYTE_0 src1_sel:DWORD
	s_and_saveexec_b64 s[14:15], s[16:17]
	s_cbranch_execz .LBB610_593
; %bb.588:                              ;   in Loop: Header=BB610_215 Depth=1
	v_cmp_ne_u16_sdwa s[18:19], v40, s9 src0_sel:BYTE_0 src1_sel:DWORD
	v_bfrev_b32_e32 v42, 1
	s_and_saveexec_b64 s[16:17], s[18:19]
	s_cbranch_execz .LBB610_592
; %bb.589:                              ;   in Loop: Header=BB610_215 Depth=1
	v_bfe_u32 v58, v38, 16, 7
	v_cmp_ne_u32_e32 vcc, s21, v58
	v_mov_b32_e32 v42, 0x7f800001
	s_and_saveexec_b64 s[18:19], vcc
	s_cbranch_execz .LBB610_591
; %bb.590:                              ;   in Loop: Header=BB610_215 Depth=1
	v_and_b32_e32 v42, 7, v40
	v_ffbh_u32_e32 v60, v42
	v_min_u32_e32 v62, 32, v60
	v_subrev_u32_e32 v60, 28, v62
	v_lshlrev_b64 v[60:61], v60, v[40:41]
	v_lshrrev_b32_e32 v59, 3, v58
	v_sub_u32_e32 v61, 29, v62
	v_and_b32_e32 v60, 7, v60
	v_cmp_gt_u32_e32 vcc, 8, v58
	v_cndmask_b32_e32 v58, v59, v61, vcc
	v_cndmask_b32_e32 v42, v42, v60, vcc
	v_lshlrev_b32_e32 v40, 24, v40
	v_lshlrev_b32_e32 v42, 20, v42
	v_and_b32_e32 v40, 0x80000000, v40
	v_lshl_add_u32 v58, v58, 23, v55
	v_or3_b32 v42, v40, v58, v42
.LBB610_591:                            ;   in Loop: Header=BB610_215 Depth=1
	s_or_b64 exec, exec, s[18:19]
.LBB610_592:                            ;   in Loop: Header=BB610_215 Depth=1
	s_or_b64 exec, exec, s[16:17]
.LBB610_593:                            ;   in Loop: Header=BB610_215 Depth=1
	s_or_b64 exec, exec, s[14:15]
	v_cmp_lt_u32_e32 vcc, s22, v38
	v_mov_b32_e32 v58, 0
	s_and_saveexec_b64 s[14:15], vcc
	s_cbranch_execz .LBB610_214
; %bb.594:                              ;   in Loop: Header=BB610_215 Depth=1
	v_lshrrev_b32_e32 v40, 24, v38
	v_cmp_ne_u32_e32 vcc, s9, v40
	v_bfrev_b32_e32 v58, 1
	s_and_saveexec_b64 s[16:17], vcc
	s_cbranch_execz .LBB610_213
; %bb.595:                              ;   in Loop: Header=BB610_215 Depth=1
	v_bfe_u32 v38, v38, 24, 7
	v_cmp_ne_u32_e32 vcc, s21, v38
	v_mov_b32_e32 v58, 0x7f800001
	s_and_saveexec_b64 s[18:19], vcc
	s_cbranch_execz .LBB610_212
; %bb.596:                              ;   in Loop: Header=BB610_215 Depth=1
	v_and_b32_e32 v60, 7, v40
	v_ffbh_u32_e32 v58, v60
	v_min_u32_e32 v62, 32, v58
	v_subrev_u32_e32 v58, 28, v62
	v_lshlrev_b64 v[58:59], v58, v[40:41]
	v_lshrrev_b32_e32 v61, 3, v38
	v_sub_u32_e32 v59, 29, v62
	v_and_b32_e32 v58, 7, v58
	v_cmp_gt_u32_e32 vcc, 8, v38
	v_cndmask_b32_e32 v38, v61, v59, vcc
	v_cndmask_b32_e32 v58, v60, v58, vcc
	v_lshlrev_b32_e32 v40, 24, v40
	v_lshlrev_b32_e32 v58, 20, v58
	v_and_b32_e32 v40, 0x80000000, v40
	v_lshl_add_u32 v38, v38, 23, v55
	v_or3_b32 v58, v40, v38, v58
	s_branch .LBB610_212
.LBB610_597:
	s_barrier
	buffer_load_dword v2, off, s[0:3], 0 offset:320
	buffer_load_dword v5, off, s[0:3], 0 offset:332
	;; [unrolled: 1-line block ×4, first 2 shown]
	v_cmp_gt_u32_e32 vcc, 64, v0
	s_waitcnt vmcnt(0)
	ds_write2st64_b64 v52, v[2:3], v[4:5] offset1:1
	s_waitcnt lgkmcnt(0)
	s_barrier
	s_and_saveexec_b64 s[6:7], vcc
	s_cbranch_execz .LBB610_600
; %bb.598:
	s_lshl_b32 s6, s48, 7
	s_mul_i32 s7, s20, s8
	s_mul_hi_u32 s11, s7, s6
	s_mul_i32 s10, s7, s6
	s_lshl_b64 s[10:11], s[10:11], 1
	v_lshlrev_b32_e32 v4, 6, v41
	s_add_u32 s7, s50, s10
	v_lshl_or_b32 v0, v0, 10, v4
	s_mov_b32 s9, 0
	s_addc_u32 s10, s51, s11
	s_lshl_b32 s8, s26, 7
	v_lshlrev_b32_e32 v2, 5, v1
	v_and_b32_e32 v3, 16, v43
	v_and_b32_e32 v0, 0x1a00, v0
	s_lshl_b64 s[8:9], s[8:9], 1
	v_or3_b32 v0, v0, v2, v3
	s_add_u32 s7, s7, s8
	s_addc_u32 s8, s10, s9
	ds_read_b128 v[4:7], v0
	v_add_u32_e32 v8, s27, v1
	v_mov_b32_e32 v3, s8
	v_add_co_u32_e32 v2, vcc, s7, v39
	v_mad_u64_u32 v[8:9], s[8:9], v8, s6, 0
	v_addc_co_u32_e32 v3, vcc, 0, v3, vcc
	v_lshlrev_b64 v[8:9], 1, v[8:9]
	v_add_co_u32_e32 v8, vcc, v2, v8
	v_addc_co_u32_e32 v9, vcc, v3, v9, vcc
	s_waitcnt lgkmcnt(0)
	global_store_dwordx4 v[8:9], v[4:7], off
	s_and_b64 exec, exec, s[4:5]
	s_cbranch_execz .LBB610_600
; %bb.599:
	ds_read_b128 v[4:7], v0 offset:128
	v_add3_u32 v0, s27, v1, 4
	v_mad_u64_u32 v[0:1], s[4:5], v0, s6, 0
	v_lshlrev_b64 v[0:1], 1, v[0:1]
	v_add_co_u32_e32 v0, vcc, v2, v0
	v_addc_co_u32_e32 v1, vcc, v3, v1, vcc
	s_waitcnt lgkmcnt(0)
	global_store_dwordx4 v[0:1], v[4:7], off
.LBB610_600:
	s_endpgm
	.section	.rodata,"a",@progbits
	.p2align	6, 0x0
	.amdhsa_kernel _Z39paged_attention_ll4mi_QKV_mfma16_kernelIDF16_hLN4vllm18Fp8KVCacheDataTypeE1EDF16_Li16ELi128ELi256ELb1ELi5EL8MFMAType0EEvPKT_PKT0_S8_ifPKiSA_SA_iPKfiiiPfSD_PS3_PT2_iSC_SC_
		.amdhsa_group_segment_fixed_size 8192
		.amdhsa_private_segment_fixed_size 352
		.amdhsa_kernarg_size 400
		.amdhsa_user_sgpr_count 8
		.amdhsa_user_sgpr_private_segment_buffer 1
		.amdhsa_user_sgpr_dispatch_ptr 0
		.amdhsa_user_sgpr_queue_ptr 0
		.amdhsa_user_sgpr_kernarg_segment_ptr 1
		.amdhsa_user_sgpr_dispatch_id 0
		.amdhsa_user_sgpr_flat_scratch_init 1
		.amdhsa_user_sgpr_kernarg_preload_length 0
		.amdhsa_user_sgpr_kernarg_preload_offset 0
		.amdhsa_user_sgpr_private_segment_size 0
		.amdhsa_uses_dynamic_stack 0
		.amdhsa_system_sgpr_private_segment_wavefront_offset 1
		.amdhsa_system_sgpr_workgroup_id_x 1
		.amdhsa_system_sgpr_workgroup_id_y 1
		.amdhsa_system_sgpr_workgroup_id_z 1
		.amdhsa_system_sgpr_workgroup_info 0
		.amdhsa_system_vgpr_workitem_id 0
		.amdhsa_next_free_vgpr 80
		.amdhsa_next_free_sgpr 53
		.amdhsa_accum_offset 80
		.amdhsa_reserve_vcc 1
		.amdhsa_reserve_flat_scratch 0
		.amdhsa_float_round_mode_32 0
		.amdhsa_float_round_mode_16_64 0
		.amdhsa_float_denorm_mode_32 3
		.amdhsa_float_denorm_mode_16_64 3
		.amdhsa_dx10_clamp 1
		.amdhsa_ieee_mode 1
		.amdhsa_fp16_overflow 0
		.amdhsa_tg_split 0
		.amdhsa_exception_fp_ieee_invalid_op 0
		.amdhsa_exception_fp_denorm_src 0
		.amdhsa_exception_fp_ieee_div_zero 0
		.amdhsa_exception_fp_ieee_overflow 0
		.amdhsa_exception_fp_ieee_underflow 0
		.amdhsa_exception_fp_ieee_inexact 0
		.amdhsa_exception_int_div_zero 0
	.end_amdhsa_kernel
	.section	.text._Z39paged_attention_ll4mi_QKV_mfma16_kernelIDF16_hLN4vllm18Fp8KVCacheDataTypeE1EDF16_Li16ELi128ELi256ELb1ELi5EL8MFMAType0EEvPKT_PKT0_S8_ifPKiSA_SA_iPKfiiiPfSD_PS3_PT2_iSC_SC_,"axG",@progbits,_Z39paged_attention_ll4mi_QKV_mfma16_kernelIDF16_hLN4vllm18Fp8KVCacheDataTypeE1EDF16_Li16ELi128ELi256ELb1ELi5EL8MFMAType0EEvPKT_PKT0_S8_ifPKiSA_SA_iPKfiiiPfSD_PS3_PT2_iSC_SC_,comdat
.Lfunc_end610:
	.size	_Z39paged_attention_ll4mi_QKV_mfma16_kernelIDF16_hLN4vllm18Fp8KVCacheDataTypeE1EDF16_Li16ELi128ELi256ELb1ELi5EL8MFMAType0EEvPKT_PKT0_S8_ifPKiSA_SA_iPKfiiiPfSD_PS3_PT2_iSC_SC_, .Lfunc_end610-_Z39paged_attention_ll4mi_QKV_mfma16_kernelIDF16_hLN4vllm18Fp8KVCacheDataTypeE1EDF16_Li16ELi128ELi256ELb1ELi5EL8MFMAType0EEvPKT_PKT0_S8_ifPKiSA_SA_iPKfiiiPfSD_PS3_PT2_iSC_SC_
                                        ; -- End function
	.section	.AMDGPU.csdata,"",@progbits
; Kernel info:
; codeLenInByte = 21424
; NumSgprs: 57
; NumVgprs: 80
; NumAgprs: 0
; TotalNumVgprs: 80
; ScratchSize: 352
; MemoryBound: 0
; FloatMode: 240
; IeeeMode: 1
; LDSByteSize: 8192 bytes/workgroup (compile time only)
; SGPRBlocks: 7
; VGPRBlocks: 9
; NumSGPRsForWavesPerEU: 57
; NumVGPRsForWavesPerEU: 80
; AccumOffset: 80
; Occupancy: 6
; WaveLimiterHint : 1
; COMPUTE_PGM_RSRC2:SCRATCH_EN: 1
; COMPUTE_PGM_RSRC2:USER_SGPR: 8
; COMPUTE_PGM_RSRC2:TRAP_HANDLER: 0
; COMPUTE_PGM_RSRC2:TGID_X_EN: 1
; COMPUTE_PGM_RSRC2:TGID_Y_EN: 1
; COMPUTE_PGM_RSRC2:TGID_Z_EN: 1
; COMPUTE_PGM_RSRC2:TIDIG_COMP_CNT: 0
; COMPUTE_PGM_RSRC3_GFX90A:ACCUM_OFFSET: 19
; COMPUTE_PGM_RSRC3_GFX90A:TG_SPLIT: 0
	.section	.text._Z39paged_attention_ll4mi_QKV_mfma16_kernelIDF16_hLN4vllm18Fp8KVCacheDataTypeE1EDF16_Li16ELi128ELi256ELb1ELi6EL8MFMAType0EEvPKT_PKT0_S8_ifPKiSA_SA_iPKfiiiPfSD_PS3_PT2_iSC_SC_,"axG",@progbits,_Z39paged_attention_ll4mi_QKV_mfma16_kernelIDF16_hLN4vllm18Fp8KVCacheDataTypeE1EDF16_Li16ELi128ELi256ELb1ELi6EL8MFMAType0EEvPKT_PKT0_S8_ifPKiSA_SA_iPKfiiiPfSD_PS3_PT2_iSC_SC_,comdat
	.protected	_Z39paged_attention_ll4mi_QKV_mfma16_kernelIDF16_hLN4vllm18Fp8KVCacheDataTypeE1EDF16_Li16ELi128ELi256ELb1ELi6EL8MFMAType0EEvPKT_PKT0_S8_ifPKiSA_SA_iPKfiiiPfSD_PS3_PT2_iSC_SC_ ; -- Begin function _Z39paged_attention_ll4mi_QKV_mfma16_kernelIDF16_hLN4vllm18Fp8KVCacheDataTypeE1EDF16_Li16ELi128ELi256ELb1ELi6EL8MFMAType0EEvPKT_PKT0_S8_ifPKiSA_SA_iPKfiiiPfSD_PS3_PT2_iSC_SC_
	.globl	_Z39paged_attention_ll4mi_QKV_mfma16_kernelIDF16_hLN4vllm18Fp8KVCacheDataTypeE1EDF16_Li16ELi128ELi256ELb1ELi6EL8MFMAType0EEvPKT_PKT0_S8_ifPKiSA_SA_iPKfiiiPfSD_PS3_PT2_iSC_SC_
	.p2align	8
	.type	_Z39paged_attention_ll4mi_QKV_mfma16_kernelIDF16_hLN4vllm18Fp8KVCacheDataTypeE1EDF16_Li16ELi128ELi256ELb1ELi6EL8MFMAType0EEvPKT_PKT0_S8_ifPKiSA_SA_iPKfiiiPfSD_PS3_PT2_iSC_SC_,@function
_Z39paged_attention_ll4mi_QKV_mfma16_kernelIDF16_hLN4vllm18Fp8KVCacheDataTypeE1EDF16_Li16ELi128ELi256ELb1ELi6EL8MFMAType0EEvPKT_PKT0_S8_ifPKiSA_SA_iPKfiiiPfSD_PS3_PT2_iSC_SC_: ; @_Z39paged_attention_ll4mi_QKV_mfma16_kernelIDF16_hLN4vllm18Fp8KVCacheDataTypeE1EDF16_Li16ELi128ELi256ELb1ELi6EL8MFMAType0EEvPKT_PKT0_S8_ifPKiSA_SA_iPKfiiiPfSD_PS3_PT2_iSC_SC_
; %bb.0:
	s_load_dwordx2 s[6:7], s[4:5], 0x30
	s_add_u32 s0, s0, s11
	s_addc_u32 s1, s1, 0
	s_mov_b32 s26, s9
	s_mov_b64 s[14:15], 0
	s_waitcnt lgkmcnt(0)
	s_cmp_lg_u64 s[6:7], 0
	s_cselect_b64 s[12:13], -1, 0
	s_and_b64 vcc, exec, s[12:13]
	s_cbranch_vccz .LBB611_7
; %bb.1:
	s_add_i32 s16, s8, 1
	s_mov_b32 s17, 0
	s_lshl_b64 s[18:19], s[16:17], 2
	s_add_u32 s18, s6, s18
	s_mov_b32 s9, s17
	s_addc_u32 s19, s7, s19
	s_lshl_b64 s[16:17], s[8:9], 2
	s_add_u32 s16, s6, s16
	s_addc_u32 s17, s7, s17
	s_load_dword s11, s[18:19], 0x0
	s_load_dword s20, s[16:17], 0x0
	s_waitcnt lgkmcnt(0)
	s_sub_i32 s11, s11, s20
	s_cmp_eq_u32 s11, 1
	s_cselect_b64 s[16:17], -1, 0
	s_andn2_b64 vcc, exec, s[14:15]
	s_cbranch_vccnz .LBB611_3
.LBB611_2:
	s_mov_b32 s9, 0
	s_mov_b64 s[16:17], -1
.LBB611_3:
	s_andn2_b64 vcc, exec, s[16:17]
	s_cbranch_vccnz .LBB611_600
; %bb.4:
	s_load_dwordx2 s[16:17], s[4:5], 0x28
	s_lshl_b64 s[14:15], s[8:9], 2
	s_waitcnt lgkmcnt(0)
	s_add_u32 s16, s16, s14
	s_addc_u32 s17, s17, s15
	s_load_dword s33, s[16:17], 0x0
	s_lshl_b32 s20, s26, 8
	s_waitcnt lgkmcnt(0)
	s_cmp_ge_i32 s20, s33
	s_cbranch_scc1 .LBB611_600
; %bb.5:
	s_add_i32 s18, s33, 15
	s_load_dwordx2 s[16:17], s[4:5], 0x20
	s_load_dword s11, s[4:5], 0x38
	s_ashr_i32 s19, s18, 31
	v_and_b32_e32 v1, 0xcf, v0
	s_lshr_b32 s19, s19, 28
	v_add_u32_e32 v1, s20, v1
	s_add_i32 s18, s18, s19
	v_ashrrev_i32_e32 v2, 31, v1
	s_ashr_i32 s23, s18, 4
	v_lshrrev_b32_e32 v4, 28, v2
	s_add_i32 s23, s23, -1
	v_add_u32_e32 v2, v1, v4
	s_waitcnt lgkmcnt(0)
	s_mul_i32 s18, s8, s11
	s_mov_b32 s19, 0
	v_ashrrev_i32_e32 v2, 4, v2
	v_mov_b32_e32 v5, s23
	v_cmp_gt_i32_e32 vcc, s33, v1
	s_lshl_b64 s[18:19], s[18:19], 2
	v_cndmask_b32_e32 v2, v5, v2, vcc
	s_add_u32 s21, s16, s18
	v_ashrrev_i32_e32 v3, 31, v2
	s_addc_u32 s22, s17, s19
	v_lshlrev_b64 v[2:3], 2, v[2:3]
	v_mov_b32_e32 v7, s22
	v_add_co_u32_e32 v6, vcc, s21, v2
	v_or_b32_e32 v2, 16, v1
	v_addc_co_u32_e32 v7, vcc, v7, v3, vcc
	v_add_u32_e32 v3, v2, v4
	v_ashrrev_i32_e32 v3, 4, v3
	v_cmp_gt_i32_e32 vcc, s33, v2
	v_cndmask_b32_e32 v2, v5, v3, vcc
	v_ashrrev_i32_e32 v3, 31, v2
	v_lshlrev_b64 v[2:3], 2, v[2:3]
	v_mov_b32_e32 v9, s22
	v_add_co_u32_e32 v8, vcc, s21, v2
	v_or_b32_e32 v2, 32, v1
	v_addc_co_u32_e32 v9, vcc, v9, v3, vcc
	v_add_u32_e32 v3, v2, v4
	v_ashrrev_i32_e32 v3, 4, v3
	v_cmp_gt_i32_e32 vcc, s33, v2
	v_cndmask_b32_e32 v2, v5, v3, vcc
	v_ashrrev_i32_e32 v3, 31, v2
	;; [unrolled: 10-line block ×3, first 2 shown]
	v_lshlrev_b64 v[2:3], 2, v[2:3]
	v_mov_b32_e32 v1, s22
	v_add_co_u32_e32 v12, vcc, s21, v2
	v_addc_co_u32_e32 v13, vcc, v1, v3, vcc
	global_load_dword v5, v[6:7], off
	global_load_dword v4, v[8:9], off
	;; [unrolled: 1-line block ×4, first 2 shown]
	s_load_dwordx2 s[16:17], s[4:5], 0x8
	s_andn2_b64 vcc, exec, s[12:13]
	s_cbranch_vccnz .LBB611_8
; %bb.6:
	s_add_u32 s6, s6, s14
	s_addc_u32 s7, s7, s15
	s_load_dword s11, s[6:7], 0x0
	s_branch .LBB611_9
.LBB611_7:
	s_mov_b64 s[16:17], 0
	s_branch .LBB611_2
.LBB611_8:
	s_mov_b32 s11, s8
.LBB611_9:
	s_load_dwordx2 s[6:7], s[4:5], 0x10
	s_load_dwordx4 s[12:15], s[4:5], 0x48
	v_lshrrev_b32_e32 v27, 6, v0
	v_bfe_u32 v1, v0, 4, 2
	v_and_b32_e32 v41, 15, v0
	v_lshl_or_b32 v6, v27, 2, v1
	v_lshlrev_b32_e32 v7, 3, v41
	s_mul_i32 s27, s10, 6
	v_cmp_gt_u32_e32 vcc, 6, v6
	v_lshlrev_b32_e32 v39, 1, v7
	v_lshlrev_b32_e32 v43, 4, v0
	s_and_saveexec_b64 s[18:19], vcc
	s_cbranch_execz .LBB611_11
; %bb.10:
	s_load_dwordx2 s[24:25], s[4:5], 0x0
	s_waitcnt lgkmcnt(0)
	s_ashr_i32 s15, s12, 31
	s_mul_hi_u32 s28, s11, s12
	s_mul_i32 s15, s11, s15
	s_add_i32 s29, s28, s15
	s_mul_i32 s28, s11, s12
	s_lshl_b64 s[28:29], s[28:29], 1
	v_add_lshl_u32 v8, v6, s27, 7
	s_add_u32 s11, s24, s28
	v_ashrrev_i32_e32 v9, 31, v8
	s_addc_u32 s12, s25, s29
	v_lshlrev_b64 v[8:9], 1, v[8:9]
	v_mov_b32_e32 v7, s12
	v_add_co_u32_e32 v8, vcc, s11, v8
	v_addc_co_u32_e32 v7, vcc, v7, v9, vcc
	v_add_co_u32_e32 v8, vcc, v8, v39
	v_addc_co_u32_e32 v9, vcc, 0, v7, vcc
	global_load_dwordx4 v[8:11], v[8:9], off
	v_lshlrev_b32_e32 v12, 8, v0
	v_lshlrev_b32_e32 v7, 8, v41
	v_and_b32_e32 v12, 0x600, v12
	s_movk_i32 s11, 0x800
	v_and_or_b32 v7, v7, s11, v12
	v_lshlrev_b32_e32 v6, 5, v6
	v_and_b32_e32 v12, 16, v43
	v_or3_b32 v6, v7, v6, v12
	s_waitcnt vmcnt(0)
	ds_write_b128 v6, v[8:11]
.LBB611_11:
	s_or_b64 exec, exec, s[18:19]
	s_waitcnt lgkmcnt(0)
	s_mul_i32 s14, s10, s14
	s_add_u32 s10, s16, s14
	s_addc_u32 s11, s17, 0
	v_and_b32_e32 v6, 0xf0, v43
	v_mov_b32_e32 v7, s11
	v_add_co_u32_e32 v6, vcc, s10, v6
	v_and_b32_e32 v18, 48, v0
	v_addc_co_u32_e32 v7, vcc, 0, v7, vcc
	v_lshlrev_b32_e32 v10, 4, v18
	s_waitcnt vmcnt(3)
	v_mad_i64_i32 v[8:9], s[10:11], v5, s13, v[6:7]
	v_add_co_u32_e32 v8, vcc, v8, v10
	v_addc_co_u32_e32 v9, vcc, 0, v9, vcc
	s_waitcnt vmcnt(2)
	v_mad_i64_i32 v[4:5], s[10:11], v4, s13, v[6:7]
	v_add_co_u32_e32 v4, vcc, v4, v10
	v_addc_co_u32_e32 v5, vcc, 0, v5, vcc
	s_load_dwordx2 s[48:49], s[4:5], 0x94
	s_waitcnt lgkmcnt(0)
	s_barrier
	global_load_dwordx4 v[20:23], v[8:9], off
	global_load_dwordx4 v[28:31], v[8:9], off offset:1024
	global_load_dwordx4 v[32:35], v[4:5], off
	global_load_dwordx4 v[44:47], v[4:5], off offset:1024
	s_waitcnt vmcnt(5)
	v_mad_i64_i32 v[4:5], s[10:11], v3, s13, v[6:7]
	v_add_co_u32_e32 v4, vcc, v4, v10
	v_addc_co_u32_e32 v5, vcc, 0, v5, vcc
	s_waitcnt vmcnt(4)
	v_mad_i64_i32 v[2:3], s[10:11], v2, s13, v[6:7]
	v_add_co_u32_e32 v2, vcc, v2, v10
	v_addc_co_u32_e32 v3, vcc, 0, v3, vcc
	global_load_dwordx4 v[48:51], v[4:5], off
	global_load_dwordx4 v[52:55], v[4:5], off offset:1024
	global_load_dwordx4 v[56:59], v[2:3], off
	global_load_dwordx4 v[60:63], v[2:3], off offset:1024
	v_mul_lo_u16_e32 v2, 43, v41
	v_mov_b32_e32 v3, 6
	v_mul_lo_u16_sdwa v2, v2, v3 dst_sel:DWORD dst_unused:UNUSED_PAD src0_sel:BYTE_1 src1_sel:DWORD
	v_mov_b32_e32 v4, 5
	v_sub_u16_e32 v2, v41, v2
	v_lshlrev_b32_sdwa v2, v4, v2 dst_sel:DWORD dst_unused:UNUSED_PAD src0_sel:DWORD src1_sel:BYTE_0
	v_lshl_add_u32 v14, v1, 9, v2
	s_load_dwordx2 s[50:51], s[4:5], 0x68
	s_load_dwordx4 s[44:47], s[4:5], 0x58
	ds_read_b128 v[2:5], v14
	ds_read_b128 v[6:9], v14 offset:16
	ds_read_b128 v[10:13], v14 offset:2048
	;; [unrolled: 1-line block ×3, first 2 shown]
	s_mov_b32 s12, 0
	v_cmp_gt_u32_e32 vcc, 6, v41
	s_waitcnt vmcnt(7)
	buffer_store_dword v23, off, s[0:3], 0 offset:12
	buffer_store_dword v22, off, s[0:3], 0 offset:8
	buffer_store_dword v21, off, s[0:3], 0 offset:4
	buffer_store_dword v20, off, s[0:3], 0
	s_waitcnt vmcnt(10)
	buffer_store_dword v31, off, s[0:3], 0 offset:28
	buffer_store_dword v30, off, s[0:3], 0 offset:24
	buffer_store_dword v29, off, s[0:3], 0 offset:20
	buffer_store_dword v28, off, s[0:3], 0 offset:16
	s_waitcnt vmcnt(13)
	buffer_store_dword v35, off, s[0:3], 0 offset:44
	buffer_store_dword v34, off, s[0:3], 0 offset:40
	buffer_store_dword v33, off, s[0:3], 0 offset:36
	buffer_store_dword v32, off, s[0:3], 0 offset:32
	;; [unrolled: 5-line block ×7, first 2 shown]
	v_mov_b32_e32 v35, 0
	v_mov_b32_e32 v31, 0
	s_and_saveexec_b64 s[10:11], vcc
	s_cbranch_execz .LBB611_13
; %bb.12:
	s_load_dwordx2 s[16:17], s[4:5], 0x40
	v_add_u32_e32 v20, s27, v41
	v_ashrrev_i32_e32 v21, 31, v20
	v_lshlrev_b64 v[20:21], 2, v[20:21]
	s_waitcnt lgkmcnt(0)
	v_mov_b32_e32 v19, s17
	v_add_co_u32_e32 v20, vcc, s16, v20
	v_addc_co_u32_e32 v21, vcc, v19, v21, vcc
	global_load_dword v31, v[20:21], off
.LBB611_13:
	s_or_b64 exec, exec, s[10:11]
	v_or_b32_e32 v22, s20, v18
	v_ashrrev_i32_e32 v18, 4, v22
	v_mov_b32_e32 v23, s23
	v_cmp_gt_i32_e32 vcc, s33, v22
	v_cndmask_b32_e32 v18, v23, v18, vcc
	v_ashrrev_i32_e32 v19, 31, v18
	v_lshlrev_b64 v[18:19], 2, v[18:19]
	v_mov_b32_e32 v20, s22
	v_add_co_u32_e32 v18, vcc, s21, v18
	v_addc_co_u32_e32 v19, vcc, v20, v19, vcc
	global_load_dword v26, v[18:19], off
	v_or_b32_e32 v18, 64, v22
	v_ashrrev_i32_e32 v19, 4, v18
	v_cmp_gt_i32_e32 vcc, s33, v18
	v_cndmask_b32_e32 v18, v23, v19, vcc
	v_ashrrev_i32_e32 v19, 31, v18
	v_lshlrev_b64 v[18:19], 2, v[18:19]
	v_add_co_u32_e32 v18, vcc, s21, v18
	v_addc_co_u32_e32 v19, vcc, v20, v19, vcc
	v_or_b32_e32 v20, 0x80, v22
	v_ashrrev_i32_e32 v21, 4, v20
	v_cmp_gt_i32_e32 vcc, s33, v20
	v_cndmask_b32_e32 v20, v23, v21, vcc
	v_ashrrev_i32_e32 v21, 31, v20
	v_lshlrev_b64 v[20:21], 2, v[20:21]
	v_mov_b32_e32 v24, s22
	v_add_co_u32_e32 v20, vcc, s21, v20
	v_addc_co_u32_e32 v21, vcc, v24, v21, vcc
	global_load_dword v28, v[18:19], off
	global_load_dword v30, v[20:21], off
	v_or_b32_e32 v18, 0xc0, v22
	v_ashrrev_i32_e32 v19, 4, v18
	v_cmp_gt_i32_e32 vcc, s33, v18
	v_cndmask_b32_e32 v18, v23, v19, vcc
	v_ashrrev_i32_e32 v19, 31, v18
	v_lshlrev_b64 v[18:19], 2, v[18:19]
	v_mov_b32_e32 v20, s22
	v_add_co_u32_e32 v18, vcc, s21, v18
	v_addc_co_u32_e32 v19, vcc, v20, v19, vcc
	global_load_dword v34, v[18:19], off
	s_add_u32 s10, s6, s14
	v_lshl_or_b32 v29, v27, 4, v41
	s_addc_u32 s6, s7, 0
	v_lshlrev_b32_e32 v18, 4, v29
	v_mov_b32_e32 v19, s6
	v_add_co_u32_e32 v22, vcc, s10, v18
	v_addc_co_u32_e32 v23, vcc, 0, v19, vcc
	v_or_b32_e32 v24, 0x400, v18
	v_mov_b32_e32 v25, s6
	v_add_co_u32_e32 v24, vcc, s10, v24
	v_addc_co_u32_e32 v25, vcc, 0, v25, vcc
	v_mov_b32_e32 v36, 0
	s_movk_i32 s14, 0x7f
	s_mov_b32 s15, 0xffffff
	v_mov_b32_e32 v37, 0x100
	v_bfrev_b32_e32 v38, 60
	s_waitcnt vmcnt(3)
	v_mad_i64_i32 v[18:19], s[6:7], v26, s13, v[22:23]
	global_load_dwordx4 v[18:21], v[18:19], off
	v_mad_i64_i32 v[32:33], s[6:7], v26, s13, v[24:25]
	global_load_dwordx4 v[52:55], v[32:33], off
	s_waitcnt vmcnt(4)
	v_mad_i64_i32 v[32:33], s[6:7], v28, s13, v[22:23]
	global_load_dwordx4 v[56:59], v[32:33], off
	s_waitcnt vmcnt(4)
	;; [unrolled: 3-line block ×3, first 2 shown]
	v_mad_i64_i32 v[22:23], s[6:7], v34, s13, v[22:23]
	global_load_dwordx4 v[64:67], v[22:23], off
	v_mad_i64_i32 v[22:23], s[6:7], v28, s13, v[24:25]
	global_load_dwordx4 v[68:71], v[22:23], off
	;; [unrolled: 2-line block ×4, first 2 shown]
	s_load_dword s6, s[4:5], 0x1c
	s_load_dwordx4 s[40:43], s[4:5], 0x80
	v_mov_b32_e32 v22, 0x80
	v_add_u32_e32 v45, 16, v22
	v_add_u32_e32 v46, 32, v22
	;; [unrolled: 1-line block ×3, first 2 shown]
	s_waitcnt lgkmcnt(0)
	s_load_dword s4, s[40:41], 0x0
	v_add_u32_e32 v51, 64, v22
	v_add_u32_e32 v48, 0x50, v22
	;; [unrolled: 1-line block ×4, first 2 shown]
	v_mov_b32_e32 v22, s6
	s_waitcnt lgkmcnt(0)
	v_mul_f32_e32 v22, s4, v22
	v_and_b32_e32 v33, 63, v0
	s_movk_i32 s13, 0x80
	v_mov_b32_e32 v24, v22
	v_mov_b32_e32 v25, v22
	s_waitcnt vmcnt(7)
	buffer_store_dword v21, off, s[0:3], 0 offset:140
	buffer_store_dword v20, off, s[0:3], 0 offset:136
	buffer_store_dword v19, off, s[0:3], 0 offset:132
	buffer_store_dword v18, off, s[0:3], 0 offset:128
	s_waitcnt vmcnt(10)
	buffer_store_dword v55, off, s[0:3], 0 offset:156
	buffer_store_dword v54, off, s[0:3], 0 offset:152
	buffer_store_dword v53, off, s[0:3], 0 offset:148
	buffer_store_dword v52, off, s[0:3], 0 offset:144
	;; [unrolled: 5-line block ×8, first 2 shown]
	s_branch .LBB611_17
.LBB611_14:                             ;   in Loop: Header=BB611_17 Depth=1
	s_or_b64 exec, exec, s[10:11]
.LBB611_15:                             ;   in Loop: Header=BB611_17 Depth=1
	s_or_b64 exec, exec, s[6:7]
.LBB611_16:                             ;   in Loop: Header=BB611_17 Depth=1
	s_or_b64 exec, exec, s[4:5]
	v_cvt_pkrtz_f16_f32 v54, v34, v32
	v_cvt_pkrtz_f16_f32 v55, v23, v42
	v_add_u32_e32 v26, s12, v37
	s_add_i32 s12, s12, 16
	v_mov_b32_e32 v23, v22
	v_mfma_f32_16x16x16f16 v[18:21], v[54:55], v[14:15], v[18:21]
	v_cvt_pkrtz_f16_f32 v54, v40, v44
	v_cvt_pkrtz_f16_f32 v55, v30, v52
	s_cmp_eq_u32 s12, 64
	v_add_u32_e32 v36, 32, v36
	v_mfma_f32_16x16x16f16 v[18:21], v[54:55], v[16:17], v[18:21]
	s_nop 7
	s_nop 2
	v_pk_mul_f32 v[18:19], v[24:25], v[18:19]
	v_pk_mul_f32 v[20:21], v[22:23], v[20:21]
	buffer_store_dword v19, v26, s[0:3], 0 offen offset:4
	buffer_store_dword v18, v26, s[0:3], 0 offen
	buffer_store_dword v21, v26, s[0:3], 0 offen offset:12
	buffer_store_dword v20, v26, s[0:3], 0 offen offset:8
	s_cbranch_scc1 .LBB611_207
.LBB611_17:                             ; =>This Inner Loop Header: Depth=1
	buffer_load_dword v20, v36, s[0:3], 0 offen
	buffer_load_dword v18, v36, s[0:3], 0 offen offset:4
	buffer_load_dword v28, v36, s[0:3], 0 offen offset:8
	buffer_load_dword v26, v36, s[0:3], 0 offen offset:12
	v_mov_b32_e32 v19, 0
	v_mov_b32_e32 v21, 0
	s_waitcnt vmcnt(3)
	v_cmp_ne_u16_sdwa s[6:7], v20, v35 src0_sel:BYTE_0 src1_sel:DWORD
	s_and_saveexec_b64 s[4:5], s[6:7]
	s_cbranch_execz .LBB611_23
; %bb.18:                               ;   in Loop: Header=BB611_17 Depth=1
	v_cmp_ne_u16_sdwa s[10:11], v20, s13 src0_sel:BYTE_0 src1_sel:DWORD
	v_bfrev_b32_e32 v21, 1
	s_and_saveexec_b64 s[6:7], s[10:11]
	s_cbranch_execz .LBB611_22
; %bb.19:                               ;   in Loop: Header=BB611_17 Depth=1
	v_and_b32_e32 v23, 0x7f, v20
	v_cmp_ne_u32_e32 vcc, s14, v23
	v_mov_b32_e32 v21, 0x7f800001
	s_and_saveexec_b64 s[10:11], vcc
	s_cbranch_execz .LBB611_21
; %bb.20:                               ;   in Loop: Header=BB611_17 Depth=1
	v_and_b32_e32 v21, 7, v20
	v_ffbh_u32_e32 v32, v21
	v_min_u32_e32 v32, 32, v32
	v_subrev_u32_e32 v34, 28, v32
	v_lshlrev_b64 v[52:53], v34, v[20:21]
	v_lshrrev_b32_e32 v30, 3, v23
	v_sub_u32_e32 v32, 29, v32
	v_and_b32_e32 v34, 7, v52
	v_cmp_gt_u32_e32 vcc, 8, v23
	v_cndmask_b32_e32 v23, v30, v32, vcc
	v_cndmask_b32_e32 v21, v21, v34, vcc
	v_lshlrev_b32_e32 v30, 24, v20
	v_lshlrev_b32_e32 v21, 20, v21
	v_and_b32_e32 v30, 0x80000000, v30
	v_lshl_add_u32 v23, v23, 23, v38
	v_or3_b32 v21, v30, v23, v21
.LBB611_21:                             ;   in Loop: Header=BB611_17 Depth=1
	s_or_b64 exec, exec, s[10:11]
.LBB611_22:                             ;   in Loop: Header=BB611_17 Depth=1
	s_or_b64 exec, exec, s[6:7]
.LBB611_23:                             ;   in Loop: Header=BB611_17 Depth=1
	s_or_b64 exec, exec, s[4:5]
	v_lshrrev_b16_e32 v30, 8, v20
	v_cmp_ne_u16_e32 vcc, 0, v30
	s_and_saveexec_b64 s[4:5], vcc
	s_cbranch_execz .LBB611_29
; %bb.24:                               ;   in Loop: Header=BB611_17 Depth=1
	v_cmp_ne_u16_e32 vcc, s13, v30
	v_bfrev_b32_e32 v19, 1
	s_and_saveexec_b64 s[6:7], vcc
	s_cbranch_execz .LBB611_28
; %bb.25:                               ;   in Loop: Header=BB611_17 Depth=1
	v_and_b32_e32 v23, 0x7f, v30
	v_cmp_ne_u32_e32 vcc, s14, v23
	v_mov_b32_e32 v19, 0x7f800001
	s_and_saveexec_b64 s[10:11], vcc
	s_cbranch_execz .LBB611_27
; %bb.26:                               ;   in Loop: Header=BB611_17 Depth=1
	v_and_b32_e32 v19, 7, v30
	v_ffbh_u32_e32 v34, v19
	v_min_u32_e32 v34, 32, v34
	v_subrev_u32_e32 v40, 28, v34
	v_lshlrev_b64 v[52:53], v40, v[30:31]
	v_lshrrev_b32_e32 v32, 3, v23
	v_sub_u32_e32 v30, 29, v34
	v_and_b32_e32 v34, 7, v52
	v_cmp_gt_u32_e32 vcc, 8, v23
	v_cndmask_b32_e32 v23, v32, v30, vcc
	v_cndmask_b32_e32 v19, v19, v34, vcc
	v_lshlrev_b32_e32 v30, 16, v20
	v_lshlrev_b32_e32 v19, 20, v19
	v_and_b32_e32 v30, 0x80000000, v30
	v_lshl_add_u32 v23, v23, 23, v38
	v_or3_b32 v19, v30, v23, v19
.LBB611_27:                             ;   in Loop: Header=BB611_17 Depth=1
	s_or_b64 exec, exec, s[10:11]
.LBB611_28:                             ;   in Loop: Header=BB611_17 Depth=1
	s_or_b64 exec, exec, s[6:7]
.LBB611_29:                             ;   in Loop: Header=BB611_17 Depth=1
	s_or_b64 exec, exec, s[4:5]
	v_lshrrev_b32_e32 v30, 16, v20
	v_cmp_ne_u16_sdwa s[6:7], v30, v35 src0_sel:BYTE_0 src1_sel:DWORD
	v_mov_b32_e32 v32, 0
	v_mov_b32_e32 v23, 0
	s_and_saveexec_b64 s[4:5], s[6:7]
	s_cbranch_execz .LBB611_35
; %bb.30:                               ;   in Loop: Header=BB611_17 Depth=1
	v_cmp_ne_u16_sdwa s[10:11], v30, s13 src0_sel:BYTE_0 src1_sel:DWORD
	v_bfrev_b32_e32 v23, 1
	s_and_saveexec_b64 s[6:7], s[10:11]
	s_cbranch_execz .LBB611_34
; %bb.31:                               ;   in Loop: Header=BB611_17 Depth=1
	v_bfe_u32 v34, v20, 16, 7
	v_cmp_ne_u32_e32 vcc, s14, v34
	v_mov_b32_e32 v23, 0x7f800001
	s_and_saveexec_b64 s[10:11], vcc
	s_cbranch_execz .LBB611_33
; %bb.32:                               ;   in Loop: Header=BB611_17 Depth=1
	v_and_b32_e32 v23, 7, v30
	v_ffbh_u32_e32 v42, v23
	v_min_u32_e32 v42, 32, v42
	v_subrev_u32_e32 v44, 28, v42
	v_lshlrev_b64 v[52:53], v44, v[30:31]
	v_lshrrev_b32_e32 v40, 3, v34
	v_sub_u32_e32 v42, 29, v42
	v_and_b32_e32 v44, 7, v52
	v_cmp_gt_u32_e32 vcc, 8, v34
	v_cndmask_b32_e32 v34, v40, v42, vcc
	v_cndmask_b32_e32 v23, v23, v44, vcc
	v_lshlrev_b32_e32 v30, 24, v30
	v_lshlrev_b32_e32 v23, 20, v23
	v_and_b32_e32 v30, 0x80000000, v30
	v_lshl_add_u32 v34, v34, 23, v38
	v_or3_b32 v23, v30, v34, v23
.LBB611_33:                             ;   in Loop: Header=BB611_17 Depth=1
	s_or_b64 exec, exec, s[10:11]
.LBB611_34:                             ;   in Loop: Header=BB611_17 Depth=1
	s_or_b64 exec, exec, s[6:7]
.LBB611_35:                             ;   in Loop: Header=BB611_17 Depth=1
	s_or_b64 exec, exec, s[4:5]
	v_cmp_lt_u32_e32 vcc, s15, v20
	s_and_saveexec_b64 s[4:5], vcc
	s_cbranch_execz .LBB611_41
; %bb.36:                               ;   in Loop: Header=BB611_17 Depth=1
	v_lshrrev_b32_e32 v30, 24, v20
	v_cmp_ne_u32_e32 vcc, s13, v30
	v_bfrev_b32_e32 v32, 1
	s_and_saveexec_b64 s[6:7], vcc
	s_cbranch_execz .LBB611_40
; %bb.37:                               ;   in Loop: Header=BB611_17 Depth=1
	v_bfe_u32 v20, v20, 24, 7
	v_cmp_ne_u32_e32 vcc, s14, v20
	v_mov_b32_e32 v32, 0x7f800001
	s_and_saveexec_b64 s[10:11], vcc
	s_cbranch_execz .LBB611_39
; %bb.38:                               ;   in Loop: Header=BB611_17 Depth=1
	v_and_b32_e32 v32, 7, v30
	v_ffbh_u32_e32 v40, v32
	v_min_u32_e32 v40, 32, v40
	v_subrev_u32_e32 v42, 28, v40
	v_lshlrev_b64 v[52:53], v42, v[30:31]
	v_lshrrev_b32_e32 v34, 3, v20
	v_sub_u32_e32 v40, 29, v40
	v_and_b32_e32 v42, 7, v52
	v_cmp_gt_u32_e32 vcc, 8, v20
	v_cndmask_b32_e32 v20, v34, v40, vcc
	v_cndmask_b32_e32 v32, v32, v42, vcc
	v_lshlrev_b32_e32 v30, 24, v30
	v_lshlrev_b32_e32 v32, 20, v32
	v_and_b32_e32 v30, 0x80000000, v30
	v_lshl_add_u32 v20, v20, 23, v38
	v_or3_b32 v32, v30, v20, v32
.LBB611_39:                             ;   in Loop: Header=BB611_17 Depth=1
	s_or_b64 exec, exec, s[10:11]
.LBB611_40:                             ;   in Loop: Header=BB611_17 Depth=1
	s_or_b64 exec, exec, s[6:7]
.LBB611_41:                             ;   in Loop: Header=BB611_17 Depth=1
	s_or_b64 exec, exec, s[4:5]
	s_waitcnt vmcnt(2)
	v_cmp_ne_u16_sdwa s[6:7], v18, v35 src0_sel:BYTE_0 src1_sel:DWORD
	v_mov_b32_e32 v30, 0
	v_mov_b32_e32 v34, 0
	s_and_saveexec_b64 s[4:5], s[6:7]
	s_cbranch_execz .LBB611_47
; %bb.42:                               ;   in Loop: Header=BB611_17 Depth=1
	v_cmp_ne_u16_sdwa s[10:11], v18, s13 src0_sel:BYTE_0 src1_sel:DWORD
	v_bfrev_b32_e32 v34, 1
	s_and_saveexec_b64 s[6:7], s[10:11]
	s_cbranch_execz .LBB611_46
; %bb.43:                               ;   in Loop: Header=BB611_17 Depth=1
	v_and_b32_e32 v20, 0x7f, v18
	v_cmp_ne_u32_e32 vcc, s14, v20
	v_mov_b32_e32 v34, 0x7f800001
	s_and_saveexec_b64 s[10:11], vcc
	s_cbranch_execz .LBB611_45
; %bb.44:                               ;   in Loop: Header=BB611_17 Depth=1
	v_and_b32_e32 v34, 7, v18
	v_ffbh_u32_e32 v42, v34
	v_min_u32_e32 v42, 32, v42
	v_subrev_u32_e32 v44, 28, v42
	v_lshlrev_b64 v[52:53], v44, v[18:19]
	v_lshrrev_b32_e32 v40, 3, v20
	v_sub_u32_e32 v42, 29, v42
	v_and_b32_e32 v44, 7, v52
	v_cmp_gt_u32_e32 vcc, 8, v20
	v_cndmask_b32_e32 v20, v40, v42, vcc
	v_cndmask_b32_e32 v34, v34, v44, vcc
	v_lshlrev_b32_e32 v40, 24, v18
	v_lshlrev_b32_e32 v34, 20, v34
	v_and_b32_e32 v40, 0x80000000, v40
	v_lshl_add_u32 v20, v20, 23, v38
	v_or3_b32 v34, v40, v20, v34
.LBB611_45:                             ;   in Loop: Header=BB611_17 Depth=1
	s_or_b64 exec, exec, s[10:11]
.LBB611_46:                             ;   in Loop: Header=BB611_17 Depth=1
	s_or_b64 exec, exec, s[6:7]
.LBB611_47:                             ;   in Loop: Header=BB611_17 Depth=1
	s_or_b64 exec, exec, s[4:5]
	v_lshrrev_b16_e32 v20, 8, v18
	v_cmp_ne_u16_e32 vcc, 0, v20
	s_and_saveexec_b64 s[4:5], vcc
	s_cbranch_execz .LBB611_53
; %bb.48:                               ;   in Loop: Header=BB611_17 Depth=1
	v_cmp_ne_u16_e32 vcc, s13, v20
	v_bfrev_b32_e32 v30, 1
	s_and_saveexec_b64 s[6:7], vcc
	s_cbranch_execz .LBB611_52
; %bb.49:                               ;   in Loop: Header=BB611_17 Depth=1
	v_and_b32_e32 v40, 0x7f, v20
	v_cmp_ne_u32_e32 vcc, s14, v40
	v_mov_b32_e32 v30, 0x7f800001
	s_and_saveexec_b64 s[10:11], vcc
	s_cbranch_execz .LBB611_51
; %bb.50:                               ;   in Loop: Header=BB611_17 Depth=1
	v_and_b32_e32 v30, 7, v20
	v_ffbh_u32_e32 v44, v30
	v_min_u32_e32 v44, 32, v44
	v_subrev_u32_e32 v52, 28, v44
	v_lshlrev_b64 v[52:53], v52, v[20:21]
	v_lshrrev_b32_e32 v42, 3, v40
	v_sub_u32_e32 v20, 29, v44
	v_and_b32_e32 v44, 7, v52
	v_cmp_gt_u32_e32 vcc, 8, v40
	v_cndmask_b32_e32 v20, v42, v20, vcc
	v_cndmask_b32_e32 v30, v30, v44, vcc
	v_lshlrev_b32_e32 v40, 16, v18
	v_lshlrev_b32_e32 v30, 20, v30
	v_and_b32_e32 v40, 0x80000000, v40
	v_lshl_add_u32 v20, v20, 23, v38
	v_or3_b32 v30, v40, v20, v30
.LBB611_51:                             ;   in Loop: Header=BB611_17 Depth=1
	s_or_b64 exec, exec, s[10:11]
.LBB611_52:                             ;   in Loop: Header=BB611_17 Depth=1
	s_or_b64 exec, exec, s[6:7]
.LBB611_53:                             ;   in Loop: Header=BB611_17 Depth=1
	s_or_b64 exec, exec, s[4:5]
	v_lshrrev_b32_e32 v20, 16, v18
	v_cmp_ne_u16_sdwa s[6:7], v20, v35 src0_sel:BYTE_0 src1_sel:DWORD
	v_mov_b32_e32 v42, 0
	v_mov_b32_e32 v40, 0
	s_and_saveexec_b64 s[4:5], s[6:7]
	s_cbranch_execz .LBB611_59
; %bb.54:                               ;   in Loop: Header=BB611_17 Depth=1
	v_cmp_ne_u16_sdwa s[10:11], v20, s13 src0_sel:BYTE_0 src1_sel:DWORD
	v_bfrev_b32_e32 v40, 1
	s_and_saveexec_b64 s[6:7], s[10:11]
	s_cbranch_execz .LBB611_58
; %bb.55:                               ;   in Loop: Header=BB611_17 Depth=1
	v_bfe_u32 v44, v18, 16, 7
	v_cmp_ne_u32_e32 vcc, s14, v44
	v_mov_b32_e32 v40, 0x7f800001
	s_and_saveexec_b64 s[10:11], vcc
	s_cbranch_execz .LBB611_57
; %bb.56:                               ;   in Loop: Header=BB611_17 Depth=1
	v_and_b32_e32 v40, 7, v20
	v_ffbh_u32_e32 v52, v40
	v_min_u32_e32 v55, 32, v52
	v_subrev_u32_e32 v52, 28, v55
	v_lshlrev_b64 v[52:53], v52, v[20:21]
	v_lshrrev_b32_e32 v54, 3, v44
	v_sub_u32_e32 v53, 29, v55
	v_and_b32_e32 v52, 7, v52
	v_cmp_gt_u32_e32 vcc, 8, v44
	v_cndmask_b32_e32 v44, v54, v53, vcc
	v_cndmask_b32_e32 v40, v40, v52, vcc
	v_lshlrev_b32_e32 v20, 24, v20
	v_lshlrev_b32_e32 v40, 20, v40
	v_and_b32_e32 v20, 0x80000000, v20
	v_lshl_add_u32 v44, v44, 23, v38
	v_or3_b32 v40, v20, v44, v40
.LBB611_57:                             ;   in Loop: Header=BB611_17 Depth=1
	s_or_b64 exec, exec, s[10:11]
.LBB611_58:                             ;   in Loop: Header=BB611_17 Depth=1
	s_or_b64 exec, exec, s[6:7]
.LBB611_59:                             ;   in Loop: Header=BB611_17 Depth=1
	s_or_b64 exec, exec, s[4:5]
	v_cmp_lt_u32_e32 vcc, s15, v18
	s_and_saveexec_b64 s[4:5], vcc
	s_cbranch_execz .LBB611_65
; %bb.60:                               ;   in Loop: Header=BB611_17 Depth=1
	v_lshrrev_b32_e32 v20, 24, v18
	v_cmp_ne_u32_e32 vcc, s13, v20
	v_bfrev_b32_e32 v42, 1
	s_and_saveexec_b64 s[6:7], vcc
	s_cbranch_execz .LBB611_64
; %bb.61:                               ;   in Loop: Header=BB611_17 Depth=1
	v_bfe_u32 v18, v18, 24, 7
	v_cmp_ne_u32_e32 vcc, s14, v18
	v_mov_b32_e32 v42, 0x7f800001
	s_and_saveexec_b64 s[10:11], vcc
	s_cbranch_execz .LBB611_63
; %bb.62:                               ;   in Loop: Header=BB611_17 Depth=1
	v_and_b32_e32 v42, 7, v20
	v_ffbh_u32_e32 v52, v42
	v_min_u32_e32 v54, 32, v52
	v_subrev_u32_e32 v52, 28, v54
	v_lshlrev_b64 v[52:53], v52, v[20:21]
	v_lshrrev_b32_e32 v44, 3, v18
	v_sub_u32_e32 v53, 29, v54
	v_and_b32_e32 v52, 7, v52
	v_cmp_gt_u32_e32 vcc, 8, v18
	v_cndmask_b32_e32 v18, v44, v53, vcc
	v_cndmask_b32_e32 v42, v42, v52, vcc
	v_lshlrev_b32_e32 v20, 24, v20
	v_lshlrev_b32_e32 v42, 20, v42
	v_and_b32_e32 v20, 0x80000000, v20
	v_lshl_add_u32 v18, v18, 23, v38
	v_or3_b32 v42, v20, v18, v42
.LBB611_63:                             ;   in Loop: Header=BB611_17 Depth=1
	s_or_b64 exec, exec, s[10:11]
.LBB611_64:                             ;   in Loop: Header=BB611_17 Depth=1
	s_or_b64 exec, exec, s[6:7]
.LBB611_65:                             ;   in Loop: Header=BB611_17 Depth=1
	s_or_b64 exec, exec, s[4:5]
	v_cvt_pkrtz_f16_f32 v18, v21, v19
	v_cvt_pkrtz_f16_f32 v19, v23, v32
	;; [unrolled: 1-line block ×4, first 2 shown]
	v_mov_b32_e32 v32, 0
	v_mfma_f32_16x16x16f16 v[18:21], v[18:19], v[2:3], 0
	s_waitcnt vmcnt(1)
	v_cmp_ne_u16_sdwa s[6:7], v28, v35 src0_sel:BYTE_0 src1_sel:DWORD
	v_mov_b32_e32 v34, 0
	v_mfma_f32_16x16x16f16 v[18:21], v[52:53], v[4:5], v[18:21]
	s_and_saveexec_b64 s[4:5], s[6:7]
	s_cbranch_execz .LBB611_71
; %bb.66:                               ;   in Loop: Header=BB611_17 Depth=1
	v_cmp_ne_u16_sdwa s[10:11], v28, s13 src0_sel:BYTE_0 src1_sel:DWORD
	v_bfrev_b32_e32 v34, 1
	s_and_saveexec_b64 s[6:7], s[10:11]
	s_cbranch_execz .LBB611_70
; %bb.67:                               ;   in Loop: Header=BB611_17 Depth=1
	v_and_b32_e32 v23, 0x7f, v28
	v_cmp_ne_u32_e32 vcc, s14, v23
	v_mov_b32_e32 v34, 0x7f800001
	s_and_saveexec_b64 s[10:11], vcc
	s_cbranch_execz .LBB611_69
; %bb.68:                               ;   in Loop: Header=BB611_17 Depth=1
	v_and_b32_e32 v30, 7, v28
	v_ffbh_u32_e32 v40, v30
	v_min_u32_e32 v40, 32, v40
	v_subrev_u32_e32 v42, 28, v40
	v_lshlrev_b64 v[52:53], v42, v[28:29]
	v_lshrrev_b32_e32 v34, 3, v23
	v_sub_u32_e32 v40, 29, v40
	v_and_b32_e32 v42, 7, v52
	v_cmp_gt_u32_e32 vcc, 8, v23
	v_cndmask_b32_e32 v23, v34, v40, vcc
	v_cndmask_b32_e32 v30, v30, v42, vcc
	v_lshlrev_b32_e32 v34, 24, v28
	v_lshlrev_b32_e32 v30, 20, v30
	v_and_b32_e32 v34, 0x80000000, v34
	v_lshl_add_u32 v23, v23, 23, v38
	v_or3_b32 v34, v34, v23, v30
.LBB611_69:                             ;   in Loop: Header=BB611_17 Depth=1
	s_or_b64 exec, exec, s[10:11]
.LBB611_70:                             ;   in Loop: Header=BB611_17 Depth=1
	s_or_b64 exec, exec, s[6:7]
.LBB611_71:                             ;   in Loop: Header=BB611_17 Depth=1
	s_or_b64 exec, exec, s[4:5]
	v_lshrrev_b16_e32 v30, 8, v28
	v_cmp_ne_u16_e32 vcc, 0, v30
	v_mov_b32_e32 v40, 0
	s_and_saveexec_b64 s[4:5], vcc
	s_cbranch_execz .LBB611_77
; %bb.72:                               ;   in Loop: Header=BB611_17 Depth=1
	v_cmp_ne_u16_e32 vcc, s13, v30
	v_bfrev_b32_e32 v40, 1
	s_and_saveexec_b64 s[6:7], vcc
	s_cbranch_execz .LBB611_76
; %bb.73:                               ;   in Loop: Header=BB611_17 Depth=1
	v_and_b32_e32 v23, 0x7f, v30
	v_cmp_ne_u32_e32 vcc, s14, v23
	v_mov_b32_e32 v40, 0x7f800001
	s_and_saveexec_b64 s[10:11], vcc
	s_cbranch_execz .LBB611_75
; %bb.74:                               ;   in Loop: Header=BB611_17 Depth=1
	v_and_b32_e32 v40, 7, v30
	v_ffbh_u32_e32 v44, v40
	v_min_u32_e32 v44, 32, v44
	v_subrev_u32_e32 v52, 28, v44
	v_lshlrev_b64 v[52:53], v52, v[30:31]
	v_lshrrev_b32_e32 v42, 3, v23
	v_sub_u32_e32 v30, 29, v44
	v_and_b32_e32 v44, 7, v52
	v_cmp_gt_u32_e32 vcc, 8, v23
	v_cndmask_b32_e32 v23, v42, v30, vcc
	v_cndmask_b32_e32 v30, v40, v44, vcc
	v_lshlrev_b32_e32 v40, 16, v28
	v_lshlrev_b32_e32 v30, 20, v30
	v_and_b32_e32 v40, 0x80000000, v40
	v_lshl_add_u32 v23, v23, 23, v38
	v_or3_b32 v40, v40, v23, v30
.LBB611_75:                             ;   in Loop: Header=BB611_17 Depth=1
	s_or_b64 exec, exec, s[10:11]
.LBB611_76:                             ;   in Loop: Header=BB611_17 Depth=1
	s_or_b64 exec, exec, s[6:7]
.LBB611_77:                             ;   in Loop: Header=BB611_17 Depth=1
	s_or_b64 exec, exec, s[4:5]
	v_lshrrev_b32_e32 v30, 16, v28
	v_cmp_ne_u16_sdwa s[6:7], v30, v35 src0_sel:BYTE_0 src1_sel:DWORD
	s_and_saveexec_b64 s[4:5], s[6:7]
	s_cbranch_execz .LBB611_83
; %bb.78:                               ;   in Loop: Header=BB611_17 Depth=1
	v_cmp_ne_u16_sdwa s[10:11], v30, s13 src0_sel:BYTE_0 src1_sel:DWORD
	v_bfrev_b32_e32 v32, 1
	s_and_saveexec_b64 s[6:7], s[10:11]
	s_cbranch_execz .LBB611_82
; %bb.79:                               ;   in Loop: Header=BB611_17 Depth=1
	v_bfe_u32 v23, v28, 16, 7
	v_cmp_ne_u32_e32 vcc, s14, v23
	v_mov_b32_e32 v32, 0x7f800001
	s_and_saveexec_b64 s[10:11], vcc
	s_cbranch_execz .LBB611_81
; %bb.80:                               ;   in Loop: Header=BB611_17 Depth=1
	v_and_b32_e32 v32, 7, v30
	v_ffbh_u32_e32 v44, v32
	v_min_u32_e32 v44, 32, v44
	v_subrev_u32_e32 v52, 28, v44
	v_lshlrev_b64 v[52:53], v52, v[30:31]
	v_lshrrev_b32_e32 v42, 3, v23
	v_sub_u32_e32 v44, 29, v44
	v_and_b32_e32 v52, 7, v52
	v_cmp_gt_u32_e32 vcc, 8, v23
	v_cndmask_b32_e32 v23, v42, v44, vcc
	v_cndmask_b32_e32 v32, v32, v52, vcc
	v_lshlrev_b32_e32 v30, 24, v30
	v_lshlrev_b32_e32 v32, 20, v32
	v_and_b32_e32 v30, 0x80000000, v30
	v_lshl_add_u32 v23, v23, 23, v38
	v_or3_b32 v32, v30, v23, v32
.LBB611_81:                             ;   in Loop: Header=BB611_17 Depth=1
	s_or_b64 exec, exec, s[10:11]
.LBB611_82:                             ;   in Loop: Header=BB611_17 Depth=1
	s_or_b64 exec, exec, s[6:7]
.LBB611_83:                             ;   in Loop: Header=BB611_17 Depth=1
	s_or_b64 exec, exec, s[4:5]
	v_cmp_lt_u32_e32 vcc, s15, v28
	v_mov_b32_e32 v42, 0
	v_mov_b32_e32 v44, 0
	s_and_saveexec_b64 s[4:5], vcc
	s_cbranch_execz .LBB611_89
; %bb.84:                               ;   in Loop: Header=BB611_17 Depth=1
	v_lshrrev_b32_e32 v30, 24, v28
	v_cmp_ne_u32_e32 vcc, s13, v30
	v_bfrev_b32_e32 v44, 1
	s_and_saveexec_b64 s[6:7], vcc
	s_cbranch_execz .LBB611_88
; %bb.85:                               ;   in Loop: Header=BB611_17 Depth=1
	v_bfe_u32 v23, v28, 24, 7
	v_cmp_ne_u32_e32 vcc, s14, v23
	v_mov_b32_e32 v44, 0x7f800001
	s_and_saveexec_b64 s[10:11], vcc
	s_cbranch_execz .LBB611_87
; %bb.86:                               ;   in Loop: Header=BB611_17 Depth=1
	v_and_b32_e32 v28, 7, v30
	v_ffbh_u32_e32 v52, v28
	v_min_u32_e32 v54, 32, v52
	v_subrev_u32_e32 v52, 28, v54
	v_lshlrev_b64 v[52:53], v52, v[30:31]
	v_lshrrev_b32_e32 v44, 3, v23
	v_sub_u32_e32 v53, 29, v54
	v_and_b32_e32 v52, 7, v52
	v_cmp_gt_u32_e32 vcc, 8, v23
	v_cndmask_b32_e32 v23, v44, v53, vcc
	v_cndmask_b32_e32 v28, v28, v52, vcc
	v_lshlrev_b32_e32 v30, 24, v30
	v_lshlrev_b32_e32 v28, 20, v28
	v_and_b32_e32 v30, 0x80000000, v30
	v_lshl_add_u32 v23, v23, 23, v38
	v_or3_b32 v44, v30, v23, v28
.LBB611_87:                             ;   in Loop: Header=BB611_17 Depth=1
	s_or_b64 exec, exec, s[10:11]
.LBB611_88:                             ;   in Loop: Header=BB611_17 Depth=1
	s_or_b64 exec, exec, s[6:7]
.LBB611_89:                             ;   in Loop: Header=BB611_17 Depth=1
	s_or_b64 exec, exec, s[4:5]
	s_waitcnt vmcnt(0)
	v_cmp_ne_u16_sdwa s[6:7], v26, v35 src0_sel:BYTE_0 src1_sel:DWORD
	s_and_saveexec_b64 s[4:5], s[6:7]
	s_cbranch_execz .LBB611_95
; %bb.90:                               ;   in Loop: Header=BB611_17 Depth=1
	v_cmp_ne_u16_sdwa s[10:11], v26, s13 src0_sel:BYTE_0 src1_sel:DWORD
	v_bfrev_b32_e32 v42, 1
	s_and_saveexec_b64 s[6:7], s[10:11]
	s_cbranch_execz .LBB611_94
; %bb.91:                               ;   in Loop: Header=BB611_17 Depth=1
	v_and_b32_e32 v23, 0x7f, v26
	v_cmp_ne_u32_e32 vcc, s14, v23
	v_mov_b32_e32 v42, 0x7f800001
	s_and_saveexec_b64 s[10:11], vcc
	s_cbranch_execz .LBB611_93
; %bb.92:                               ;   in Loop: Header=BB611_17 Depth=1
	v_and_b32_e32 v28, 7, v26
	v_ffbh_u32_e32 v42, v28
	v_min_u32_e32 v42, 32, v42
	v_subrev_u32_e32 v52, 28, v42
	v_lshlrev_b64 v[52:53], v52, v[26:27]
	v_lshrrev_b32_e32 v30, 3, v23
	v_sub_u32_e32 v42, 29, v42
	v_and_b32_e32 v52, 7, v52
	v_cmp_gt_u32_e32 vcc, 8, v23
	v_cndmask_b32_e32 v23, v30, v42, vcc
	v_cndmask_b32_e32 v28, v28, v52, vcc
	v_lshlrev_b32_e32 v30, 24, v26
	v_lshlrev_b32_e32 v28, 20, v28
	v_and_b32_e32 v30, 0x80000000, v30
	v_lshl_add_u32 v23, v23, 23, v38
	v_or3_b32 v42, v30, v23, v28
.LBB611_93:                             ;   in Loop: Header=BB611_17 Depth=1
	s_or_b64 exec, exec, s[10:11]
.LBB611_94:                             ;   in Loop: Header=BB611_17 Depth=1
	s_or_b64 exec, exec, s[6:7]
.LBB611_95:                             ;   in Loop: Header=BB611_17 Depth=1
	s_or_b64 exec, exec, s[4:5]
	v_lshrrev_b16_e32 v28, 8, v26
	v_cmp_ne_u16_e32 vcc, 0, v28
	v_mov_b32_e32 v52, 0
	v_mov_b32_e32 v53, 0
	s_and_saveexec_b64 s[4:5], vcc
	s_cbranch_execz .LBB611_101
; %bb.96:                               ;   in Loop: Header=BB611_17 Depth=1
	v_cmp_ne_u16_e32 vcc, s13, v28
	v_bfrev_b32_e32 v53, 1
	s_and_saveexec_b64 s[6:7], vcc
	s_cbranch_execz .LBB611_100
; %bb.97:                               ;   in Loop: Header=BB611_17 Depth=1
	v_and_b32_e32 v23, 0x7f, v28
	v_cmp_ne_u32_e32 vcc, s14, v23
	v_mov_b32_e32 v53, 0x7f800001
	s_and_saveexec_b64 s[10:11], vcc
	s_cbranch_execz .LBB611_99
; %bb.98:                               ;   in Loop: Header=BB611_17 Depth=1
	v_and_b32_e32 v30, 7, v28
	v_ffbh_u32_e32 v54, v30
	v_min_u32_e32 v56, 32, v54
	v_subrev_u32_e32 v54, 28, v56
	v_lshlrev_b64 v[54:55], v54, v[28:29]
	v_lshrrev_b32_e32 v53, 3, v23
	v_sub_u32_e32 v28, 29, v56
	v_and_b32_e32 v54, 7, v54
	v_cmp_gt_u32_e32 vcc, 8, v23
	v_cndmask_b32_e32 v23, v53, v28, vcc
	v_cndmask_b32_e32 v28, v30, v54, vcc
	v_lshlrev_b32_e32 v30, 16, v26
	v_lshlrev_b32_e32 v28, 20, v28
	v_and_b32_e32 v30, 0x80000000, v30
	v_lshl_add_u32 v23, v23, 23, v38
	v_or3_b32 v53, v30, v23, v28
.LBB611_99:                             ;   in Loop: Header=BB611_17 Depth=1
	s_or_b64 exec, exec, s[10:11]
.LBB611_100:                            ;   in Loop: Header=BB611_17 Depth=1
	s_or_b64 exec, exec, s[6:7]
.LBB611_101:                            ;   in Loop: Header=BB611_17 Depth=1
	s_or_b64 exec, exec, s[4:5]
	v_lshrrev_b32_e32 v28, 16, v26
	v_cmp_ne_u16_sdwa s[6:7], v28, v35 src0_sel:BYTE_0 src1_sel:DWORD
	s_and_saveexec_b64 s[4:5], s[6:7]
	s_cbranch_execz .LBB611_107
; %bb.102:                              ;   in Loop: Header=BB611_17 Depth=1
	v_cmp_ne_u16_sdwa s[10:11], v28, s13 src0_sel:BYTE_0 src1_sel:DWORD
	v_bfrev_b32_e32 v52, 1
	s_and_saveexec_b64 s[6:7], s[10:11]
	s_cbranch_execz .LBB611_106
; %bb.103:                              ;   in Loop: Header=BB611_17 Depth=1
	v_bfe_u32 v23, v26, 16, 7
	v_cmp_ne_u32_e32 vcc, s14, v23
	v_mov_b32_e32 v52, 0x7f800001
	s_and_saveexec_b64 s[10:11], vcc
	s_cbranch_execz .LBB611_105
; %bb.104:                              ;   in Loop: Header=BB611_17 Depth=1
	v_and_b32_e32 v30, 7, v28
	v_ffbh_u32_e32 v54, v30
	v_min_u32_e32 v56, 32, v54
	v_subrev_u32_e32 v54, 28, v56
	v_lshlrev_b64 v[54:55], v54, v[28:29]
	v_lshrrev_b32_e32 v52, 3, v23
	v_sub_u32_e32 v55, 29, v56
	v_and_b32_e32 v54, 7, v54
	v_cmp_gt_u32_e32 vcc, 8, v23
	v_cndmask_b32_e32 v23, v52, v55, vcc
	v_cndmask_b32_e32 v30, v30, v54, vcc
	v_lshlrev_b32_e32 v28, 24, v28
	v_lshlrev_b32_e32 v30, 20, v30
	v_and_b32_e32 v28, 0x80000000, v28
	v_lshl_add_u32 v23, v23, 23, v38
	v_or3_b32 v52, v28, v23, v30
.LBB611_105:                            ;   in Loop: Header=BB611_17 Depth=1
	s_or_b64 exec, exec, s[10:11]
.LBB611_106:                            ;   in Loop: Header=BB611_17 Depth=1
	s_or_b64 exec, exec, s[6:7]
.LBB611_107:                            ;   in Loop: Header=BB611_17 Depth=1
	s_or_b64 exec, exec, s[4:5]
	v_cmp_lt_u32_e32 vcc, s15, v26
	v_mov_b32_e32 v23, 0
	v_mov_b32_e32 v54, 0
	s_and_saveexec_b64 s[4:5], vcc
	s_cbranch_execz .LBB611_113
; %bb.108:                              ;   in Loop: Header=BB611_17 Depth=1
	v_lshrrev_b32_e32 v28, 24, v26
	v_cmp_ne_u32_e32 vcc, s13, v28
	v_bfrev_b32_e32 v54, 1
	s_and_saveexec_b64 s[6:7], vcc
	s_cbranch_execz .LBB611_112
; %bb.109:                              ;   in Loop: Header=BB611_17 Depth=1
	v_bfe_u32 v26, v26, 24, 7
	v_cmp_ne_u32_e32 vcc, s14, v26
	v_mov_b32_e32 v54, 0x7f800001
	s_and_saveexec_b64 s[10:11], vcc
	s_cbranch_execz .LBB611_111
; %bb.110:                              ;   in Loop: Header=BB611_17 Depth=1
	v_and_b32_e32 v30, 7, v28
	v_ffbh_u32_e32 v54, v30
	v_min_u32_e32 v57, 32, v54
	v_subrev_u32_e32 v54, 28, v57
	v_lshlrev_b64 v[54:55], v54, v[28:29]
	v_lshrrev_b32_e32 v56, 3, v26
	v_sub_u32_e32 v55, 29, v57
	v_and_b32_e32 v54, 7, v54
	v_cmp_gt_u32_e32 vcc, 8, v26
	v_cndmask_b32_e32 v26, v56, v55, vcc
	v_cndmask_b32_e32 v30, v30, v54, vcc
	v_lshlrev_b32_e32 v28, 24, v28
	v_lshlrev_b32_e32 v30, 20, v30
	v_and_b32_e32 v28, 0x80000000, v28
	v_lshl_add_u32 v26, v26, 23, v38
	v_or3_b32 v54, v28, v26, v30
.LBB611_111:                            ;   in Loop: Header=BB611_17 Depth=1
	s_or_b64 exec, exec, s[10:11]
.LBB611_112:                            ;   in Loop: Header=BB611_17 Depth=1
	s_or_b64 exec, exec, s[6:7]
.LBB611_113:                            ;   in Loop: Header=BB611_17 Depth=1
	s_or_b64 exec, exec, s[4:5]
	v_cvt_pkrtz_f16_f32 v57, v32, v44
	buffer_load_dword v32, v36, s[0:3], 0 offen offset:16
	buffer_load_dword v30, v36, s[0:3], 0 offen offset:20
	buffer_load_dword v28, v36, s[0:3], 0 offen offset:24
	buffer_load_dword v26, v36, s[0:3], 0 offen offset:28
	v_cvt_pkrtz_f16_f32 v56, v34, v40
	s_waitcnt vmcnt(3)
	v_cmp_ne_u16_sdwa s[6:7], v32, v35 src0_sel:BYTE_0 src1_sel:DWORD
	v_mfma_f32_16x16x16f16 v[18:21], v[56:57], v[6:7], v[18:21]
	v_cvt_pkrtz_f16_f32 v56, v42, v53
	v_cvt_pkrtz_f16_f32 v57, v52, v54
	s_nop 1
	v_mfma_f32_16x16x16f16 v[18:21], v[56:57], v[8:9], v[18:21]
	s_and_saveexec_b64 s[4:5], s[6:7]
	s_cbranch_execz .LBB611_119
; %bb.114:                              ;   in Loop: Header=BB611_17 Depth=1
	v_cmp_ne_u16_sdwa s[10:11], v32, s13 src0_sel:BYTE_0 src1_sel:DWORD
	v_bfrev_b32_e32 v23, 1
	s_and_saveexec_b64 s[6:7], s[10:11]
	s_cbranch_execz .LBB611_118
; %bb.115:                              ;   in Loop: Header=BB611_17 Depth=1
	v_and_b32_e32 v34, 0x7f, v32
	v_cmp_ne_u32_e32 vcc, s14, v34
	v_mov_b32_e32 v23, 0x7f800001
	s_and_saveexec_b64 s[10:11], vcc
	s_cbranch_execz .LBB611_117
; %bb.116:                              ;   in Loop: Header=BB611_17 Depth=1
	v_and_b32_e32 v23, 7, v32
	v_ffbh_u32_e32 v42, v23
	v_min_u32_e32 v42, 32, v42
	v_subrev_u32_e32 v44, 28, v42
	v_lshlrev_b64 v[52:53], v44, v[32:33]
	v_lshrrev_b32_e32 v40, 3, v34
	v_sub_u32_e32 v42, 29, v42
	v_and_b32_e32 v44, 7, v52
	v_cmp_gt_u32_e32 vcc, 8, v34
	v_cndmask_b32_e32 v34, v40, v42, vcc
	v_cndmask_b32_e32 v23, v23, v44, vcc
	v_lshlrev_b32_e32 v40, 24, v32
	v_lshlrev_b32_e32 v23, 20, v23
	v_and_b32_e32 v40, 0x80000000, v40
	v_lshl_add_u32 v34, v34, 23, v38
	v_or3_b32 v23, v40, v34, v23
.LBB611_117:                            ;   in Loop: Header=BB611_17 Depth=1
	s_or_b64 exec, exec, s[10:11]
.LBB611_118:                            ;   in Loop: Header=BB611_17 Depth=1
	s_or_b64 exec, exec, s[6:7]
.LBB611_119:                            ;   in Loop: Header=BB611_17 Depth=1
	s_or_b64 exec, exec, s[4:5]
	v_lshrrev_b16_e32 v34, 8, v32
	v_cmp_ne_u16_e32 vcc, 0, v34
	v_mov_b32_e32 v40, 0
	v_mov_b32_e32 v42, 0
	s_and_saveexec_b64 s[4:5], vcc
	s_cbranch_execz .LBB611_125
; %bb.120:                              ;   in Loop: Header=BB611_17 Depth=1
	v_cmp_ne_u16_e32 vcc, s13, v34
	v_bfrev_b32_e32 v42, 1
	s_and_saveexec_b64 s[6:7], vcc
	s_cbranch_execz .LBB611_124
; %bb.121:                              ;   in Loop: Header=BB611_17 Depth=1
	v_and_b32_e32 v44, 0x7f, v34
	v_cmp_ne_u32_e32 vcc, s14, v44
	v_mov_b32_e32 v42, 0x7f800001
	s_and_saveexec_b64 s[10:11], vcc
	s_cbranch_execz .LBB611_123
; %bb.122:                              ;   in Loop: Header=BB611_17 Depth=1
	v_and_b32_e32 v42, 7, v34
	v_ffbh_u32_e32 v52, v42
	v_min_u32_e32 v55, 32, v52
	v_subrev_u32_e32 v52, 28, v55
	v_lshlrev_b64 v[52:53], v52, v[34:35]
	v_lshrrev_b32_e32 v54, 3, v44
	v_sub_u32_e32 v34, 29, v55
	v_and_b32_e32 v52, 7, v52
	v_cmp_gt_u32_e32 vcc, 8, v44
	v_cndmask_b32_e32 v34, v54, v34, vcc
	v_cndmask_b32_e32 v42, v42, v52, vcc
	v_lshlrev_b32_e32 v44, 16, v32
	v_lshlrev_b32_e32 v42, 20, v42
	v_and_b32_e32 v44, 0x80000000, v44
	v_lshl_add_u32 v34, v34, 23, v38
	v_or3_b32 v42, v44, v34, v42
.LBB611_123:                            ;   in Loop: Header=BB611_17 Depth=1
	s_or_b64 exec, exec, s[10:11]
.LBB611_124:                            ;   in Loop: Header=BB611_17 Depth=1
	s_or_b64 exec, exec, s[6:7]
.LBB611_125:                            ;   in Loop: Header=BB611_17 Depth=1
	s_or_b64 exec, exec, s[4:5]
	v_lshrrev_b32_e32 v34, 16, v32
	v_cmp_ne_u16_sdwa s[6:7], v34, v35 src0_sel:BYTE_0 src1_sel:DWORD
	s_and_saveexec_b64 s[4:5], s[6:7]
	s_cbranch_execz .LBB611_131
; %bb.126:                              ;   in Loop: Header=BB611_17 Depth=1
	v_cmp_ne_u16_sdwa s[10:11], v34, s13 src0_sel:BYTE_0 src1_sel:DWORD
	v_bfrev_b32_e32 v40, 1
	s_and_saveexec_b64 s[6:7], s[10:11]
	s_cbranch_execz .LBB611_130
; %bb.127:                              ;   in Loop: Header=BB611_17 Depth=1
	v_bfe_u32 v44, v32, 16, 7
	v_cmp_ne_u32_e32 vcc, s14, v44
	v_mov_b32_e32 v40, 0x7f800001
	s_and_saveexec_b64 s[10:11], vcc
	s_cbranch_execz .LBB611_129
; %bb.128:                              ;   in Loop: Header=BB611_17 Depth=1
	v_and_b32_e32 v40, 7, v34
	v_ffbh_u32_e32 v52, v40
	v_min_u32_e32 v55, 32, v52
	v_subrev_u32_e32 v52, 28, v55
	v_lshlrev_b64 v[52:53], v52, v[34:35]
	v_lshrrev_b32_e32 v54, 3, v44
	v_sub_u32_e32 v53, 29, v55
	v_and_b32_e32 v52, 7, v52
	v_cmp_gt_u32_e32 vcc, 8, v44
	v_cndmask_b32_e32 v44, v54, v53, vcc
	v_cndmask_b32_e32 v40, v40, v52, vcc
	v_lshlrev_b32_e32 v34, 24, v34
	v_lshlrev_b32_e32 v40, 20, v40
	v_and_b32_e32 v34, 0x80000000, v34
	v_lshl_add_u32 v44, v44, 23, v38
	v_or3_b32 v40, v34, v44, v40
.LBB611_129:                            ;   in Loop: Header=BB611_17 Depth=1
	s_or_b64 exec, exec, s[10:11]
.LBB611_130:                            ;   in Loop: Header=BB611_17 Depth=1
	s_or_b64 exec, exec, s[6:7]
.LBB611_131:                            ;   in Loop: Header=BB611_17 Depth=1
	s_or_b64 exec, exec, s[4:5]
	v_cmp_lt_u32_e32 vcc, s15, v32
	v_mov_b32_e32 v44, 0
	v_mov_b32_e32 v52, 0
	s_and_saveexec_b64 s[4:5], vcc
	s_cbranch_execz .LBB611_137
; %bb.132:                              ;   in Loop: Header=BB611_17 Depth=1
	v_lshrrev_b32_e32 v34, 24, v32
	v_cmp_ne_u32_e32 vcc, s13, v34
	v_bfrev_b32_e32 v52, 1
	s_and_saveexec_b64 s[6:7], vcc
	s_cbranch_execz .LBB611_136
; %bb.133:                              ;   in Loop: Header=BB611_17 Depth=1
	v_bfe_u32 v32, v32, 24, 7
	v_cmp_ne_u32_e32 vcc, s14, v32
	v_mov_b32_e32 v52, 0x7f800001
	s_and_saveexec_b64 s[10:11], vcc
	s_cbranch_execz .LBB611_135
; %bb.134:                              ;   in Loop: Header=BB611_17 Depth=1
	v_and_b32_e32 v54, 7, v34
	v_ffbh_u32_e32 v52, v54
	v_min_u32_e32 v56, 32, v52
	v_subrev_u32_e32 v52, 28, v56
	v_lshlrev_b64 v[52:53], v52, v[34:35]
	v_lshrrev_b32_e32 v55, 3, v32
	v_sub_u32_e32 v53, 29, v56
	v_and_b32_e32 v52, 7, v52
	v_cmp_gt_u32_e32 vcc, 8, v32
	v_cndmask_b32_e32 v32, v55, v53, vcc
	v_cndmask_b32_e32 v52, v54, v52, vcc
	v_lshlrev_b32_e32 v34, 24, v34
	v_lshlrev_b32_e32 v52, 20, v52
	v_and_b32_e32 v34, 0x80000000, v34
	v_lshl_add_u32 v32, v32, 23, v38
	v_or3_b32 v52, v34, v32, v52
.LBB611_135:                            ;   in Loop: Header=BB611_17 Depth=1
	s_or_b64 exec, exec, s[10:11]
.LBB611_136:                            ;   in Loop: Header=BB611_17 Depth=1
	s_or_b64 exec, exec, s[6:7]
.LBB611_137:                            ;   in Loop: Header=BB611_17 Depth=1
	s_or_b64 exec, exec, s[4:5]
	s_waitcnt vmcnt(2)
	v_cmp_ne_u16_sdwa s[6:7], v30, v35 src0_sel:BYTE_0 src1_sel:DWORD
	s_and_saveexec_b64 s[4:5], s[6:7]
	s_cbranch_execz .LBB611_143
; %bb.138:                              ;   in Loop: Header=BB611_17 Depth=1
	v_cmp_ne_u16_sdwa s[10:11], v30, s13 src0_sel:BYTE_0 src1_sel:DWORD
	v_bfrev_b32_e32 v44, 1
	s_and_saveexec_b64 s[6:7], s[10:11]
	s_cbranch_execz .LBB611_142
; %bb.139:                              ;   in Loop: Header=BB611_17 Depth=1
	v_and_b32_e32 v32, 0x7f, v30
	v_cmp_ne_u32_e32 vcc, s14, v32
	v_mov_b32_e32 v44, 0x7f800001
	s_and_saveexec_b64 s[10:11], vcc
	s_cbranch_execz .LBB611_141
; %bb.140:                              ;   in Loop: Header=BB611_17 Depth=1
	v_and_b32_e32 v34, 7, v30
	v_ffbh_u32_e32 v53, v34
	v_min_u32_e32 v53, 32, v53
	v_subrev_u32_e32 v54, 28, v53
	v_lshlrev_b64 v[54:55], v54, v[30:31]
	v_lshrrev_b32_e32 v44, 3, v32
	v_sub_u32_e32 v53, 29, v53
	v_and_b32_e32 v54, 7, v54
	v_cmp_gt_u32_e32 vcc, 8, v32
	v_cndmask_b32_e32 v32, v44, v53, vcc
	v_cndmask_b32_e32 v34, v34, v54, vcc
	v_lshlrev_b32_e32 v44, 24, v30
	v_lshlrev_b32_e32 v34, 20, v34
	v_and_b32_e32 v44, 0x80000000, v44
	v_lshl_add_u32 v32, v32, 23, v38
	v_or3_b32 v44, v44, v32, v34
.LBB611_141:                            ;   in Loop: Header=BB611_17 Depth=1
	s_or_b64 exec, exec, s[10:11]
.LBB611_142:                            ;   in Loop: Header=BB611_17 Depth=1
	s_or_b64 exec, exec, s[6:7]
.LBB611_143:                            ;   in Loop: Header=BB611_17 Depth=1
	s_or_b64 exec, exec, s[4:5]
	v_lshrrev_b16_e32 v32, 8, v30
	v_cmp_ne_u16_e32 vcc, 0, v32
	v_mov_b32_e32 v53, 0
	v_mov_b32_e32 v54, 0
	s_and_saveexec_b64 s[4:5], vcc
	s_cbranch_execz .LBB611_149
; %bb.144:                              ;   in Loop: Header=BB611_17 Depth=1
	v_cmp_ne_u16_e32 vcc, s13, v32
	v_bfrev_b32_e32 v54, 1
	s_and_saveexec_b64 s[6:7], vcc
	s_cbranch_execz .LBB611_148
; %bb.145:                              ;   in Loop: Header=BB611_17 Depth=1
	v_and_b32_e32 v34, 0x7f, v32
	v_cmp_ne_u32_e32 vcc, s14, v34
	v_mov_b32_e32 v54, 0x7f800001
	s_and_saveexec_b64 s[10:11], vcc
	s_cbranch_execz .LBB611_147
; %bb.146:                              ;   in Loop: Header=BB611_17 Depth=1
	v_and_b32_e32 v56, 7, v32
	v_ffbh_u32_e32 v54, v56
	v_min_u32_e32 v58, 32, v54
	v_subrev_u32_e32 v54, 28, v58
	v_lshlrev_b64 v[54:55], v54, v[32:33]
	v_lshrrev_b32_e32 v57, 3, v34
	v_sub_u32_e32 v32, 29, v58
	v_and_b32_e32 v54, 7, v54
	v_cmp_gt_u32_e32 vcc, 8, v34
	v_cndmask_b32_e32 v32, v57, v32, vcc
	v_cndmask_b32_e32 v34, v56, v54, vcc
	v_lshlrev_b32_e32 v54, 16, v30
	v_lshlrev_b32_e32 v34, 20, v34
	v_and_b32_e32 v54, 0x80000000, v54
	v_lshl_add_u32 v32, v32, 23, v38
	v_or3_b32 v54, v54, v32, v34
.LBB611_147:                            ;   in Loop: Header=BB611_17 Depth=1
	s_or_b64 exec, exec, s[10:11]
.LBB611_148:                            ;   in Loop: Header=BB611_17 Depth=1
	s_or_b64 exec, exec, s[6:7]
.LBB611_149:                            ;   in Loop: Header=BB611_17 Depth=1
	s_or_b64 exec, exec, s[4:5]
	v_lshrrev_b32_e32 v32, 16, v30
	v_cmp_ne_u16_sdwa s[6:7], v32, v35 src0_sel:BYTE_0 src1_sel:DWORD
	s_and_saveexec_b64 s[4:5], s[6:7]
	s_cbranch_execz .LBB611_155
; %bb.150:                              ;   in Loop: Header=BB611_17 Depth=1
	v_cmp_ne_u16_sdwa s[10:11], v32, s13 src0_sel:BYTE_0 src1_sel:DWORD
	v_bfrev_b32_e32 v53, 1
	s_and_saveexec_b64 s[6:7], s[10:11]
	s_cbranch_execz .LBB611_154
; %bb.151:                              ;   in Loop: Header=BB611_17 Depth=1
	v_bfe_u32 v34, v30, 16, 7
	v_cmp_ne_u32_e32 vcc, s14, v34
	v_mov_b32_e32 v53, 0x7f800001
	s_and_saveexec_b64 s[10:11], vcc
	s_cbranch_execz .LBB611_153
; %bb.152:                              ;   in Loop: Header=BB611_17 Depth=1
	v_and_b32_e32 v53, 7, v32
	v_ffbh_u32_e32 v56, v53
	v_min_u32_e32 v58, 32, v56
	v_subrev_u32_e32 v56, 28, v58
	v_lshlrev_b64 v[56:57], v56, v[32:33]
	v_lshrrev_b32_e32 v55, 3, v34
	v_sub_u32_e32 v57, 29, v58
	v_and_b32_e32 v56, 7, v56
	v_cmp_gt_u32_e32 vcc, 8, v34
	v_cndmask_b32_e32 v34, v55, v57, vcc
	v_cndmask_b32_e32 v53, v53, v56, vcc
	v_lshlrev_b32_e32 v32, 24, v32
	v_lshlrev_b32_e32 v53, 20, v53
	v_and_b32_e32 v32, 0x80000000, v32
	v_lshl_add_u32 v34, v34, 23, v38
	v_or3_b32 v53, v32, v34, v53
.LBB611_153:                            ;   in Loop: Header=BB611_17 Depth=1
	s_or_b64 exec, exec, s[10:11]
.LBB611_154:                            ;   in Loop: Header=BB611_17 Depth=1
	s_or_b64 exec, exec, s[6:7]
.LBB611_155:                            ;   in Loop: Header=BB611_17 Depth=1
	s_or_b64 exec, exec, s[4:5]
	v_cmp_lt_u32_e32 vcc, s15, v30
	v_mov_b32_e32 v34, 0
	v_mov_b32_e32 v55, 0
	s_and_saveexec_b64 s[4:5], vcc
	s_cbranch_execz .LBB611_161
; %bb.156:                              ;   in Loop: Header=BB611_17 Depth=1
	v_lshrrev_b32_e32 v32, 24, v30
	v_cmp_ne_u32_e32 vcc, s13, v32
	v_bfrev_b32_e32 v55, 1
	s_and_saveexec_b64 s[6:7], vcc
	s_cbranch_execz .LBB611_160
; %bb.157:                              ;   in Loop: Header=BB611_17 Depth=1
	v_bfe_u32 v30, v30, 24, 7
	v_cmp_ne_u32_e32 vcc, s14, v30
	v_mov_b32_e32 v55, 0x7f800001
	s_and_saveexec_b64 s[10:11], vcc
	s_cbranch_execz .LBB611_159
; %bb.158:                              ;   in Loop: Header=BB611_17 Depth=1
	v_and_b32_e32 v55, 7, v32
	v_ffbh_u32_e32 v56, v55
	v_min_u32_e32 v59, 32, v56
	v_subrev_u32_e32 v56, 28, v59
	v_lshlrev_b64 v[56:57], v56, v[32:33]
	v_lshrrev_b32_e32 v58, 3, v30
	v_sub_u32_e32 v57, 29, v59
	v_and_b32_e32 v56, 7, v56
	v_cmp_gt_u32_e32 vcc, 8, v30
	v_cndmask_b32_e32 v30, v58, v57, vcc
	v_cndmask_b32_e32 v55, v55, v56, vcc
	v_lshlrev_b32_e32 v32, 24, v32
	v_lshlrev_b32_e32 v55, 20, v55
	v_and_b32_e32 v32, 0x80000000, v32
	v_lshl_add_u32 v30, v30, 23, v38
	v_or3_b32 v55, v32, v30, v55
.LBB611_159:                            ;   in Loop: Header=BB611_17 Depth=1
	s_or_b64 exec, exec, s[10:11]
.LBB611_160:                            ;   in Loop: Header=BB611_17 Depth=1
	s_or_b64 exec, exec, s[6:7]
.LBB611_161:                            ;   in Loop: Header=BB611_17 Depth=1
	s_or_b64 exec, exec, s[4:5]
	v_cvt_pkrtz_f16_f32 v56, v23, v42
	v_cvt_pkrtz_f16_f32 v57, v40, v52
	;; [unrolled: 1-line block ×4, first 2 shown]
	s_waitcnt vmcnt(1)
	v_cmp_ne_u16_sdwa s[6:7], v28, v35 src0_sel:BYTE_0 src1_sel:DWORD
	v_mfma_f32_16x16x16f16 v[18:21], v[56:57], v[10:11], v[18:21]
	v_mfma_f32_16x16x16f16 v[18:21], v[52:53], v[12:13], v[18:21]
	s_and_saveexec_b64 s[4:5], s[6:7]
	s_cbranch_execz .LBB611_167
; %bb.162:                              ;   in Loop: Header=BB611_17 Depth=1
	v_cmp_ne_u16_sdwa s[10:11], v28, s13 src0_sel:BYTE_0 src1_sel:DWORD
	v_bfrev_b32_e32 v34, 1
	s_and_saveexec_b64 s[6:7], s[10:11]
	s_cbranch_execz .LBB611_166
; %bb.163:                              ;   in Loop: Header=BB611_17 Depth=1
	v_and_b32_e32 v23, 0x7f, v28
	v_cmp_ne_u32_e32 vcc, s14, v23
	v_mov_b32_e32 v34, 0x7f800001
	s_and_saveexec_b64 s[10:11], vcc
	s_cbranch_execz .LBB611_165
; %bb.164:                              ;   in Loop: Header=BB611_17 Depth=1
	v_and_b32_e32 v30, 7, v28
	v_ffbh_u32_e32 v34, v30
	v_min_u32_e32 v34, 32, v34
	v_subrev_u32_e32 v40, 28, v34
	v_lshlrev_b64 v[52:53], v40, v[28:29]
	v_lshrrev_b32_e32 v32, 3, v23
	v_sub_u32_e32 v34, 29, v34
	v_and_b32_e32 v40, 7, v52
	v_cmp_gt_u32_e32 vcc, 8, v23
	v_cndmask_b32_e32 v23, v32, v34, vcc
	v_cndmask_b32_e32 v30, v30, v40, vcc
	v_lshlrev_b32_e32 v32, 24, v28
	v_lshlrev_b32_e32 v30, 20, v30
	v_and_b32_e32 v32, 0x80000000, v32
	v_lshl_add_u32 v23, v23, 23, v38
	v_or3_b32 v34, v32, v23, v30
.LBB611_165:                            ;   in Loop: Header=BB611_17 Depth=1
	s_or_b64 exec, exec, s[10:11]
.LBB611_166:                            ;   in Loop: Header=BB611_17 Depth=1
	s_or_b64 exec, exec, s[6:7]
.LBB611_167:                            ;   in Loop: Header=BB611_17 Depth=1
	s_or_b64 exec, exec, s[4:5]
	v_lshrrev_b16_e32 v30, 8, v28
	v_cmp_ne_u16_e32 vcc, 0, v30
	v_mov_b32_e32 v23, 0
	v_mov_b32_e32 v32, 0
	s_and_saveexec_b64 s[4:5], vcc
	s_cbranch_execz .LBB611_173
; %bb.168:                              ;   in Loop: Header=BB611_17 Depth=1
	v_cmp_ne_u16_e32 vcc, s13, v30
	v_bfrev_b32_e32 v32, 1
	s_and_saveexec_b64 s[6:7], vcc
	s_cbranch_execz .LBB611_172
; %bb.169:                              ;   in Loop: Header=BB611_17 Depth=1
	v_and_b32_e32 v40, 0x7f, v30
	v_cmp_ne_u32_e32 vcc, s14, v40
	v_mov_b32_e32 v32, 0x7f800001
	s_and_saveexec_b64 s[10:11], vcc
	s_cbranch_execz .LBB611_171
; %bb.170:                              ;   in Loop: Header=BB611_17 Depth=1
	v_and_b32_e32 v32, 7, v30
	v_ffbh_u32_e32 v44, v32
	v_min_u32_e32 v44, 32, v44
	v_subrev_u32_e32 v52, 28, v44
	v_lshlrev_b64 v[52:53], v52, v[30:31]
	v_lshrrev_b32_e32 v42, 3, v40
	v_sub_u32_e32 v30, 29, v44
	v_and_b32_e32 v44, 7, v52
	v_cmp_gt_u32_e32 vcc, 8, v40
	v_cndmask_b32_e32 v30, v42, v30, vcc
	v_cndmask_b32_e32 v32, v32, v44, vcc
	v_lshlrev_b32_e32 v40, 16, v28
	v_lshlrev_b32_e32 v32, 20, v32
	v_and_b32_e32 v40, 0x80000000, v40
	v_lshl_add_u32 v30, v30, 23, v38
	v_or3_b32 v32, v40, v30, v32
.LBB611_171:                            ;   in Loop: Header=BB611_17 Depth=1
	s_or_b64 exec, exec, s[10:11]
.LBB611_172:                            ;   in Loop: Header=BB611_17 Depth=1
	s_or_b64 exec, exec, s[6:7]
.LBB611_173:                            ;   in Loop: Header=BB611_17 Depth=1
	s_or_b64 exec, exec, s[4:5]
	v_lshrrev_b32_e32 v30, 16, v28
	v_cmp_ne_u16_sdwa s[6:7], v30, v35 src0_sel:BYTE_0 src1_sel:DWORD
	s_and_saveexec_b64 s[4:5], s[6:7]
	s_cbranch_execz .LBB611_179
; %bb.174:                              ;   in Loop: Header=BB611_17 Depth=1
	v_cmp_ne_u16_sdwa s[10:11], v30, s13 src0_sel:BYTE_0 src1_sel:DWORD
	v_bfrev_b32_e32 v23, 1
	s_and_saveexec_b64 s[6:7], s[10:11]
	s_cbranch_execz .LBB611_178
; %bb.175:                              ;   in Loop: Header=BB611_17 Depth=1
	v_bfe_u32 v40, v28, 16, 7
	v_cmp_ne_u32_e32 vcc, s14, v40
	v_mov_b32_e32 v23, 0x7f800001
	s_and_saveexec_b64 s[10:11], vcc
	s_cbranch_execz .LBB611_177
; %bb.176:                              ;   in Loop: Header=BB611_17 Depth=1
	v_and_b32_e32 v23, 7, v30
	v_ffbh_u32_e32 v44, v23
	v_min_u32_e32 v44, 32, v44
	v_subrev_u32_e32 v52, 28, v44
	v_lshlrev_b64 v[52:53], v52, v[30:31]
	v_lshrrev_b32_e32 v42, 3, v40
	v_sub_u32_e32 v44, 29, v44
	v_and_b32_e32 v52, 7, v52
	v_cmp_gt_u32_e32 vcc, 8, v40
	v_cndmask_b32_e32 v40, v42, v44, vcc
	v_cndmask_b32_e32 v23, v23, v52, vcc
	v_lshlrev_b32_e32 v30, 24, v30
	v_lshlrev_b32_e32 v23, 20, v23
	v_and_b32_e32 v30, 0x80000000, v30
	v_lshl_add_u32 v40, v40, 23, v38
	v_or3_b32 v23, v30, v40, v23
.LBB611_177:                            ;   in Loop: Header=BB611_17 Depth=1
	s_or_b64 exec, exec, s[10:11]
.LBB611_178:                            ;   in Loop: Header=BB611_17 Depth=1
	s_or_b64 exec, exec, s[6:7]
.LBB611_179:                            ;   in Loop: Header=BB611_17 Depth=1
	s_or_b64 exec, exec, s[4:5]
	v_cmp_lt_u32_e32 vcc, s15, v28
	v_mov_b32_e32 v40, 0
	v_mov_b32_e32 v42, 0
	s_and_saveexec_b64 s[4:5], vcc
	s_cbranch_execz .LBB611_185
; %bb.180:                              ;   in Loop: Header=BB611_17 Depth=1
	v_lshrrev_b32_e32 v30, 24, v28
	v_cmp_ne_u32_e32 vcc, s13, v30
	v_bfrev_b32_e32 v42, 1
	s_and_saveexec_b64 s[6:7], vcc
	s_cbranch_execz .LBB611_184
; %bb.181:                              ;   in Loop: Header=BB611_17 Depth=1
	v_bfe_u32 v28, v28, 24, 7
	v_cmp_ne_u32_e32 vcc, s14, v28
	v_mov_b32_e32 v42, 0x7f800001
	s_and_saveexec_b64 s[10:11], vcc
	s_cbranch_execz .LBB611_183
; %bb.182:                              ;   in Loop: Header=BB611_17 Depth=1
	v_and_b32_e32 v42, 7, v30
	v_ffbh_u32_e32 v52, v42
	v_min_u32_e32 v54, 32, v52
	v_subrev_u32_e32 v52, 28, v54
	v_lshlrev_b64 v[52:53], v52, v[30:31]
	v_lshrrev_b32_e32 v44, 3, v28
	v_sub_u32_e32 v53, 29, v54
	v_and_b32_e32 v52, 7, v52
	v_cmp_gt_u32_e32 vcc, 8, v28
	v_cndmask_b32_e32 v28, v44, v53, vcc
	v_cndmask_b32_e32 v42, v42, v52, vcc
	v_lshlrev_b32_e32 v30, 24, v30
	v_lshlrev_b32_e32 v42, 20, v42
	v_and_b32_e32 v30, 0x80000000, v30
	v_lshl_add_u32 v28, v28, 23, v38
	v_or3_b32 v42, v30, v28, v42
.LBB611_183:                            ;   in Loop: Header=BB611_17 Depth=1
	s_or_b64 exec, exec, s[10:11]
.LBB611_184:                            ;   in Loop: Header=BB611_17 Depth=1
	s_or_b64 exec, exec, s[6:7]
.LBB611_185:                            ;   in Loop: Header=BB611_17 Depth=1
	s_or_b64 exec, exec, s[4:5]
	s_waitcnt vmcnt(0)
	v_cmp_ne_u16_sdwa s[6:7], v26, v35 src0_sel:BYTE_0 src1_sel:DWORD
	s_and_saveexec_b64 s[4:5], s[6:7]
	s_cbranch_execz .LBB611_191
; %bb.186:                              ;   in Loop: Header=BB611_17 Depth=1
	v_cmp_ne_u16_sdwa s[10:11], v26, s13 src0_sel:BYTE_0 src1_sel:DWORD
	v_bfrev_b32_e32 v40, 1
	s_and_saveexec_b64 s[6:7], s[10:11]
	s_cbranch_execz .LBB611_190
; %bb.187:                              ;   in Loop: Header=BB611_17 Depth=1
	v_and_b32_e32 v28, 0x7f, v26
	v_cmp_ne_u32_e32 vcc, s14, v28
	v_mov_b32_e32 v40, 0x7f800001
	s_and_saveexec_b64 s[10:11], vcc
	s_cbranch_execz .LBB611_189
; %bb.188:                              ;   in Loop: Header=BB611_17 Depth=1
	v_and_b32_e32 v30, 7, v26
	v_ffbh_u32_e32 v44, v30
	v_min_u32_e32 v44, 32, v44
	v_subrev_u32_e32 v52, 28, v44
	v_lshlrev_b64 v[52:53], v52, v[26:27]
	v_lshrrev_b32_e32 v40, 3, v28
	v_sub_u32_e32 v44, 29, v44
	v_and_b32_e32 v52, 7, v52
	v_cmp_gt_u32_e32 vcc, 8, v28
	v_cndmask_b32_e32 v28, v40, v44, vcc
	v_cndmask_b32_e32 v30, v30, v52, vcc
	v_lshlrev_b32_e32 v40, 24, v26
	v_lshlrev_b32_e32 v30, 20, v30
	v_and_b32_e32 v40, 0x80000000, v40
	v_lshl_add_u32 v28, v28, 23, v38
	v_or3_b32 v40, v40, v28, v30
.LBB611_189:                            ;   in Loop: Header=BB611_17 Depth=1
	s_or_b64 exec, exec, s[10:11]
.LBB611_190:                            ;   in Loop: Header=BB611_17 Depth=1
	s_or_b64 exec, exec, s[6:7]
.LBB611_191:                            ;   in Loop: Header=BB611_17 Depth=1
	s_or_b64 exec, exec, s[4:5]
	v_lshrrev_b16_e32 v28, 8, v26
	v_cmp_ne_u16_e32 vcc, 0, v28
	v_mov_b32_e32 v30, 0
	v_mov_b32_e32 v44, 0
	s_and_saveexec_b64 s[4:5], vcc
	s_cbranch_execz .LBB611_197
; %bb.192:                              ;   in Loop: Header=BB611_17 Depth=1
	v_cmp_ne_u16_e32 vcc, s13, v28
	v_bfrev_b32_e32 v44, 1
	s_and_saveexec_b64 s[6:7], vcc
	s_cbranch_execz .LBB611_196
; %bb.193:                              ;   in Loop: Header=BB611_17 Depth=1
	v_and_b32_e32 v52, 0x7f, v28
	v_cmp_ne_u32_e32 vcc, s14, v52
	v_mov_b32_e32 v44, 0x7f800001
	s_and_saveexec_b64 s[10:11], vcc
	s_cbranch_execz .LBB611_195
; %bb.194:                              ;   in Loop: Header=BB611_17 Depth=1
	v_and_b32_e32 v44, 7, v28
	v_ffbh_u32_e32 v54, v44
	v_min_u32_e32 v56, 32, v54
	v_subrev_u32_e32 v54, 28, v56
	v_lshlrev_b64 v[54:55], v54, v[28:29]
	v_lshrrev_b32_e32 v53, 3, v52
	v_sub_u32_e32 v28, 29, v56
	v_and_b32_e32 v54, 7, v54
	v_cmp_gt_u32_e32 vcc, 8, v52
	v_cndmask_b32_e32 v28, v53, v28, vcc
	v_cndmask_b32_e32 v44, v44, v54, vcc
	v_lshlrev_b32_e32 v52, 16, v26
	v_lshlrev_b32_e32 v44, 20, v44
	v_and_b32_e32 v52, 0x80000000, v52
	v_lshl_add_u32 v28, v28, 23, v38
	v_or3_b32 v44, v52, v28, v44
.LBB611_195:                            ;   in Loop: Header=BB611_17 Depth=1
	s_or_b64 exec, exec, s[10:11]
.LBB611_196:                            ;   in Loop: Header=BB611_17 Depth=1
	s_or_b64 exec, exec, s[6:7]
.LBB611_197:                            ;   in Loop: Header=BB611_17 Depth=1
	s_or_b64 exec, exec, s[4:5]
	v_lshrrev_b32_e32 v28, 16, v26
	v_cmp_ne_u16_sdwa s[6:7], v28, v35 src0_sel:BYTE_0 src1_sel:DWORD
	s_and_saveexec_b64 s[4:5], s[6:7]
	s_cbranch_execz .LBB611_203
; %bb.198:                              ;   in Loop: Header=BB611_17 Depth=1
	v_cmp_ne_u16_sdwa s[10:11], v28, s13 src0_sel:BYTE_0 src1_sel:DWORD
	v_bfrev_b32_e32 v30, 1
	s_and_saveexec_b64 s[6:7], s[10:11]
	s_cbranch_execz .LBB611_202
; %bb.199:                              ;   in Loop: Header=BB611_17 Depth=1
	v_bfe_u32 v52, v26, 16, 7
	v_cmp_ne_u32_e32 vcc, s14, v52
	v_mov_b32_e32 v30, 0x7f800001
	s_and_saveexec_b64 s[10:11], vcc
	s_cbranch_execz .LBB611_201
; %bb.200:                              ;   in Loop: Header=BB611_17 Depth=1
	v_and_b32_e32 v30, 7, v28
	v_ffbh_u32_e32 v54, v30
	v_min_u32_e32 v56, 32, v54
	v_subrev_u32_e32 v54, 28, v56
	v_lshlrev_b64 v[54:55], v54, v[28:29]
	v_lshrrev_b32_e32 v53, 3, v52
	v_sub_u32_e32 v55, 29, v56
	v_and_b32_e32 v54, 7, v54
	v_cmp_gt_u32_e32 vcc, 8, v52
	v_cndmask_b32_e32 v52, v53, v55, vcc
	v_cndmask_b32_e32 v30, v30, v54, vcc
	v_lshlrev_b32_e32 v28, 24, v28
	v_lshlrev_b32_e32 v30, 20, v30
	v_and_b32_e32 v28, 0x80000000, v28
	v_lshl_add_u32 v52, v52, 23, v38
	v_or3_b32 v30, v28, v52, v30
.LBB611_201:                            ;   in Loop: Header=BB611_17 Depth=1
	s_or_b64 exec, exec, s[10:11]
.LBB611_202:                            ;   in Loop: Header=BB611_17 Depth=1
	s_or_b64 exec, exec, s[6:7]
.LBB611_203:                            ;   in Loop: Header=BB611_17 Depth=1
	s_or_b64 exec, exec, s[4:5]
	v_cmp_lt_u32_e32 vcc, s15, v26
	v_mov_b32_e32 v52, 0
	s_and_saveexec_b64 s[4:5], vcc
	s_cbranch_execz .LBB611_16
; %bb.204:                              ;   in Loop: Header=BB611_17 Depth=1
	v_lshrrev_b32_e32 v28, 24, v26
	v_cmp_ne_u32_e32 vcc, s13, v28
	v_bfrev_b32_e32 v52, 1
	s_and_saveexec_b64 s[6:7], vcc
	s_cbranch_execz .LBB611_15
; %bb.205:                              ;   in Loop: Header=BB611_17 Depth=1
	v_bfe_u32 v26, v26, 24, 7
	v_cmp_ne_u32_e32 vcc, s14, v26
	v_mov_b32_e32 v52, 0x7f800001
	s_and_saveexec_b64 s[10:11], vcc
	s_cbranch_execz .LBB611_14
; %bb.206:                              ;   in Loop: Header=BB611_17 Depth=1
	v_and_b32_e32 v54, 7, v28
	v_ffbh_u32_e32 v52, v54
	v_min_u32_e32 v56, 32, v52
	v_subrev_u32_e32 v52, 28, v56
	v_lshlrev_b64 v[52:53], v52, v[28:29]
	v_lshrrev_b32_e32 v55, 3, v26
	v_sub_u32_e32 v53, 29, v56
	v_and_b32_e32 v52, 7, v52
	v_cmp_gt_u32_e32 vcc, 8, v26
	v_cndmask_b32_e32 v26, v55, v53, vcc
	v_cndmask_b32_e32 v52, v54, v52, vcc
	v_lshlrev_b32_e32 v28, 24, v28
	v_lshlrev_b32_e32 v52, 20, v52
	v_and_b32_e32 v28, 0x80000000, v28
	v_lshl_add_u32 v26, v26, 23, v38
	v_or3_b32 v52, v28, v26, v52
	s_branch .LBB611_14
.LBB611_207:
	buffer_load_dword v17, off, s[0:3], 0 offset:256
	buffer_load_dword v16, off, s[0:3], 0 offset:260
	;; [unrolled: 1-line block ×16, first 2 shown]
	v_and_b32_e32 v18, 0xc0, v0
	v_add_u32_e32 v18, s20, v18
	v_lshl_or_b32 v18, v1, 2, v18
	v_or_b32_e32 v20, 1, v18
	v_subrev_u32_e32 v24, s33, v20
	v_add_u32_e32 v26, 1, v24
	v_cvt_f32_i32_e32 v25, v24
	v_add_u32_e32 v28, 2, v24
	v_add_u32_e32 v30, 3, v24
	;; [unrolled: 1-line block ×14, first 2 shown]
	v_cvt_f32_i32_e32 v26, v26
	v_cvt_f32_i32_e32 v28, v28
	;; [unrolled: 1-line block ×4, first 2 shown]
	v_mov_b32_e32 v19, 0xff7fffff
	v_or_b32_e32 v21, 2, v18
	v_or_b32_e32 v22, 3, v18
	v_cvt_f32_i32_e32 v32, v32
	v_cvt_f32_i32_e32 v34, v34
	v_cmp_gt_i32_e64 s[28:29], s33, v18
	v_cmp_gt_i32_e64 s[30:31], s33, v20
	s_mov_b32 s52, 0xff7fffff
	v_cmp_gt_i32_e64 s[34:35], s33, v21
	v_cmp_gt_i32_e64 s[36:37], s33, v22
	v_or_b32_e32 v23, 16, v18
	v_cvt_f32_i32_e32 v35, v35
	v_cvt_f32_i32_e32 v36, v36
	v_cmp_gt_i32_e64 s[24:25], s33, v23
	v_cvt_f32_i32_e32 v37, v37
	v_cvt_f32_i32_e32 v38, v38
	;; [unrolled: 1-line block ×7, first 2 shown]
	s_waitcnt vmcnt(15)
	v_fmac_f32_e32 v17, v31, v25
	s_waitcnt vmcnt(14)
	v_fmac_f32_e32 v16, v31, v26
	;; [unrolled: 2-line block ×4, first 2 shown]
	v_cndmask_b32_e64 v20, v19, v16, s[30:31]
	v_cndmask_b32_e64 v21, v19, v15, s[34:35]
	;; [unrolled: 1-line block ×3, first 2 shown]
	s_waitcnt vmcnt(11)
	v_fmac_f32_e32 v13, v31, v32
	s_waitcnt vmcnt(10)
	v_fmac_f32_e32 v12, v31, v34
	;; [unrolled: 2-line block ×9, first 2 shown]
	v_cndmask_b32_e64 v24, v19, v17, s[28:29]
	v_max3_f32 v20, v24, s52, v20
	v_max3_f32 v20, v20, v21, v22
	v_or_b32_e32 v22, 17, v18
	v_cmp_gt_i32_e64 s[38:39], s33, v22
	v_cndmask_b32_e64 v21, v19, v13, s[24:25]
	v_cndmask_b32_e64 v22, v19, v12, s[38:39]
	v_max3_f32 v20, v20, v21, v22
	v_or_b32_e32 v21, 18, v18
	v_or_b32_e32 v22, 19, v18
	v_cmp_gt_i32_e64 s[20:21], s33, v21
	v_cmp_gt_i32_e64 s[22:23], s33, v22
	v_cndmask_b32_e64 v21, v19, v11, s[20:21]
	v_cndmask_b32_e64 v22, v19, v10, s[22:23]
	v_max3_f32 v20, v20, v21, v22
	v_or_b32_e32 v21, 32, v18
	v_or_b32_e32 v22, 33, v18
	v_cmp_gt_i32_e64 s[16:17], s33, v21
	;; [unrolled: 7-line block ×3, first 2 shown]
	v_cmp_gt_i32_e64 s[14:15], s33, v22
	v_cndmask_b32_e64 v21, v19, v7, s[12:13]
	v_cndmask_b32_e64 v22, v19, v6, s[14:15]
	v_max3_f32 v20, v20, v21, v22
	v_or_b32_e32 v21, 48, v18
	v_or_b32_e32 v22, 49, v18
	v_fmac_f32_e32 v5, v31, v44
	v_fmac_f32_e32 v4, v31, v52
	v_cmp_gt_i32_e64 s[6:7], s33, v21
	v_cmp_gt_i32_e64 s[10:11], s33, v22
	v_cndmask_b32_e64 v21, v19, v5, s[6:7]
	v_cndmask_b32_e64 v22, v19, v4, s[10:11]
	v_max3_f32 v20, v20, v21, v22
	v_or_b32_e32 v21, 50, v18
	v_or_b32_e32 v18, 51, v18
	v_fmac_f32_e32 v3, v31, v53
	v_cmp_gt_i32_e32 vcc, s33, v21
	v_cmp_gt_i32_e64 s[4:5], s33, v18
	v_cndmask_b32_e32 v21, v19, v3, vcc
	v_cndmask_b32_e64 v18, v19, v2, s[4:5]
	v_mbcnt_lo_u32_b32 v19, -1, 0
	v_mbcnt_hi_u32_b32 v19, -1, v19
	v_max3_f32 v18, v20, v21, v18
	v_and_b32_e32 v20, 64, v19
	v_add_u32_e32 v20, 64, v20
	v_xor_b32_e32 v21, 32, v19
	v_cmp_lt_i32_e64 s[40:41], v21, v20
	v_cndmask_b32_e64 v21, v19, v21, s[40:41]
	v_lshlrev_b32_e32 v21, 2, v21
	ds_bpermute_b32 v22, v21, v18
	s_waitcnt lgkmcnt(0)
	v_max_f32_e32 v22, v22, v22
	v_max_f32_e32 v18, v18, v22
	v_xor_b32_e32 v22, 16, v19
	v_cmp_lt_i32_e64 s[40:41], v22, v20
	v_cndmask_b32_e64 v19, v19, v22, s[40:41]
	v_lshlrev_b32_e32 v19, 2, v19
	ds_bpermute_b32 v20, v19, v18
	s_waitcnt lgkmcnt(0)
	v_max_f32_e32 v20, v20, v20
	v_max_f32_e32 v18, v18, v20
	v_sub_f32_e32 v17, v17, v18
	v_mul_f32_e32 v17, 0x3fb8aa3b, v17
	v_sub_f32_e32 v16, v16, v18
	v_exp_f32_e32 v17, v17
	v_mul_f32_e32 v16, 0x3fb8aa3b, v16
	v_sub_f32_e32 v15, v15, v18
	v_exp_f32_e32 v16, v16
	;; [unrolled: 3-line block ×4, first 2 shown]
	v_mul_f32_e32 v13, 0x3fb8aa3b, v13
	v_sub_f32_e32 v12, v12, v18
	v_cndmask_b32_e64 v17, 0, v17, s[28:29]
	v_exp_f32_e32 v13, v13
	v_mul_f32_e32 v12, 0x3fb8aa3b, v12
	v_sub_f32_e32 v11, v11, v18
	v_add_f32_e32 v20, 0, v17
	v_cndmask_b32_e64 v16, 0, v16, s[30:31]
	v_exp_f32_e32 v12, v12
	v_mul_f32_e32 v11, 0x3fb8aa3b, v11
	v_sub_f32_e32 v10, v10, v18
	v_add_f32_e32 v20, v20, v16
	;; [unrolled: 5-line block ×4, first 2 shown]
	v_cndmask_b32_e64 v13, 0, v13, s[24:25]
	v_exp_f32_e32 v9, v9
	v_mul_f32_e32 v8, 0x3fb8aa3b, v8
	v_sub_f32_e32 v7, v7, v18
	buffer_store_dword v17, off, s[0:3], 0 offset:256
	buffer_store_dword v16, off, s[0:3], 0 offset:260
	;; [unrolled: 1-line block ×4, first 2 shown]
	v_add_f32_e32 v14, v20, v13
	v_cndmask_b32_e64 v12, 0, v12, s[38:39]
	v_exp_f32_e32 v8, v8
	v_mul_f32_e32 v7, 0x3fb8aa3b, v7
	v_sub_f32_e32 v6, v6, v18
	v_add_f32_e32 v14, v14, v12
	v_cndmask_b32_e64 v11, 0, v11, s[20:21]
	v_exp_f32_e32 v7, v7
	v_mul_f32_e32 v6, 0x3fb8aa3b, v6
	v_sub_f32_e32 v5, v5, v18
	;; [unrolled: 5-line block ×4, first 2 shown]
	buffer_store_dword v13, off, s[0:3], 0 offset:272
	buffer_store_dword v12, off, s[0:3], 0 offset:276
	;; [unrolled: 1-line block ×4, first 2 shown]
	v_add_f32_e32 v10, v14, v9
	v_cndmask_b32_e64 v8, 0, v8, s[18:19]
	v_exp_f32_e32 v4, v4
	v_mul_f32_e32 v3, 0x3fb8aa3b, v3
	v_sub_f32_e32 v2, v2, v18
	v_add_f32_e32 v10, v10, v8
	v_cndmask_b32_e64 v7, 0, v7, s[12:13]
	v_exp_f32_e32 v3, v3
	v_mul_f32_e32 v2, 0x3fb8aa3b, v2
	v_add_f32_e32 v10, v10, v7
	v_cndmask_b32_e64 v6, 0, v6, s[14:15]
	v_exp_f32_e32 v2, v2
	v_add_f32_e32 v10, v10, v6
	v_cndmask_b32_e64 v5, 0, v5, s[6:7]
	buffer_store_dword v9, off, s[0:3], 0 offset:288
	buffer_store_dword v8, off, s[0:3], 0 offset:292
	;; [unrolled: 1-line block ×4, first 2 shown]
	v_add_f32_e32 v6, v10, v5
	v_cndmask_b32_e64 v4, 0, v4, s[10:11]
	v_add_f32_e32 v6, v6, v4
	v_cndmask_b32_e32 v3, 0, v3, vcc
	v_add_f32_e32 v6, v6, v3
	v_cndmask_b32_e64 v2, 0, v2, s[4:5]
	v_add_f32_e32 v6, v6, v2
	ds_bpermute_b32 v7, v21, v6
	buffer_store_dword v5, off, s[0:3], 0 offset:304
	buffer_store_dword v4, off, s[0:3], 0 offset:308
	;; [unrolled: 1-line block ×4, first 2 shown]
	v_cmp_gt_u32_e32 vcc, 16, v33
	s_waitcnt lgkmcnt(0)
	s_barrier
	v_add_f32_e32 v2, v6, v7
	ds_bpermute_b32 v3, v19, v2
	s_waitcnt lgkmcnt(0)
	s_and_saveexec_b64 s[4:5], vcc
	s_cbranch_execz .LBB611_209
; %bb.208:
	v_add_f32_e32 v2, v2, v3
	v_lshlrev_b32_e32 v3, 2, v29
	ds_write2st64_b32 v3, v18, v2 offset1:1
.LBB611_209:
	s_or_b64 exec, exec, s[4:5]
	v_lshlrev_b32_e32 v2, 2, v41
	s_waitcnt lgkmcnt(0)
	s_barrier
	ds_read2_b32 v[12:13], v2 offset1:16
	ds_read2_b32 v[14:15], v2 offset0:32 offset1:48
	ds_read2_b32 v[6:7], v2 offset0:64 offset1:80
	ds_read2_b32 v[10:11], v2 offset0:96 offset1:112
	s_waitcnt lgkmcnt(0)
	s_barrier
	buffer_load_dword v20, off, s[0:3], 0 offset:256
	buffer_load_dword v21, off, s[0:3], 0 offset:260
	;; [unrolled: 1-line block ×16, first 2 shown]
	v_lshlrev_b32_e32 v19, 3, v1
	v_lshlrev_b32_e32 v18, 5, v41
	;; [unrolled: 1-line block ×3, first 2 shown]
	v_or3_b32 v52, v26, v18, v19
	v_max3_f32 v19, v12, s52, v13
	v_max3_f32 v19, v19, v14, v15
	v_sub_f32_e32 v12, v12, v19
	v_sub_f32_e32 v13, v13, v19
	v_mul_f32_e32 v12, 0x3fb8aa3b, v12
	v_sub_f32_e32 v14, v14, v19
	v_mul_f32_e32 v13, 0x3fb8aa3b, v13
	v_exp_f32_e32 v12, v12
	v_sub_f32_e32 v15, v15, v19
	v_mul_f32_e32 v14, 0x3fb8aa3b, v14
	v_exp_f32_e32 v13, v13
	v_mul_f32_e32 v15, 0x3fb8aa3b, v15
	v_exp_f32_e32 v14, v14
	v_exp_f32_e32 v15, v15
	v_fma_f32 v6, v12, v6, 0
	v_fmac_f32_e32 v6, v13, v7
	v_fmac_f32_e32 v6, v14, v10
	;; [unrolled: 1-line block ×3, first 2 shown]
	v_cmp_eq_u32_e32 vcc, 1, v27
	v_add_f32_e32 v10, 0x358637bd, v6
	v_cndmask_b32_e32 v12, v12, v13, vcc
	v_cmp_eq_u32_e32 vcc, 2, v27
	v_div_scale_f32 v11, s[4:5], v10, v10, 1.0
	v_cndmask_b32_e32 v7, v12, v14, vcc
	v_rcp_f32_e32 v12, v11
	v_cmp_eq_u32_e32 vcc, 3, v27
	v_cndmask_b32_e32 v7, v7, v15, vcc
	v_div_scale_f32 v13, vcc, 1.0, v10, 1.0
	v_fma_f32 v14, -v11, v12, 1.0
	v_fmac_f32_e32 v12, v14, v12
	v_mul_f32_e32 v14, v13, v12
	v_fma_f32 v15, -v11, v14, v13
	v_fmac_f32_e32 v14, v15, v12
	v_fma_f32 v11, -v11, v14, v13
	v_div_fmas_f32 v11, v11, v12, v14
	v_div_fixup_f32 v10, v11, v10, 1.0
	v_mul_f32_e32 v10, v7, v10
	s_mul_i32 s18, s49, 6
	v_cmp_gt_u32_e32 vcc, 6, v0
	s_waitcnt vmcnt(14)
	v_pk_mul_f32 v[14:15], v[10:11], v[20:21] op_sel_hi:[0,1]
	v_cvt_f16_f32_e32 v7, v14
	s_waitcnt vmcnt(12)
	v_pk_mul_f32 v[12:13], v[10:11], v[22:23] op_sel_hi:[0,1]
	buffer_store_dword v14, off, s[0:3], 0 offset:256
	buffer_store_dword v15, off, s[0:3], 0 offset:260
	;; [unrolled: 1-line block ×3, first 2 shown]
	s_waitcnt vmcnt(13)
	v_pk_mul_f32 v[20:21], v[10:11], v[24:25] op_sel_hi:[0,1]
	v_cvt_f16_f32_e32 v14, v12
	s_waitcnt vmcnt(11)
	v_pk_mul_f32 v[22:23], v[10:11], v[28:29] op_sel_hi:[0,1]
	v_cvt_f16_f32_e32 v11, v15
	v_cvt_f16_f32_e32 v15, v13
	buffer_store_dword v13, off, s[0:3], 0 offset:268
	buffer_store_dword v22, off, s[0:3], 0 offset:272
	;; [unrolled: 1-line block ×3, first 2 shown]
	v_pack_b32_f16 v12, v7, v11
	v_cvt_f16_f32_e32 v11, v23
	v_pack_b32_f16 v13, v14, v15
	v_cvt_f16_f32_e32 v7, v22
	v_cvt_f16_f32_e32 v15, v20
	;; [unrolled: 1-line block ×3, first 2 shown]
	s_waitcnt vmcnt(12)
	v_pk_mul_f32 v[4:5], v[10:11], v[4:5] op_sel_hi:[0,1]
	v_pack_b32_f16 v14, v7, v11
	s_waitcnt vmcnt(10)
	v_pk_mul_f32 v[2:3], v[10:11], v[2:3] op_sel_hi:[0,1]
	v_pack_b32_f16 v15, v15, v22
	v_cvt_f16_f32_e32 v11, v5
	buffer_store_dword v20, off, s[0:3], 0 offset:280
	buffer_store_dword v21, off, s[0:3], 0 offset:284
	ds_write2st64_b64 v52, v[12:13], v[14:15] offset1:1
	buffer_store_dword v2, off, s[0:3], 0 offset:288
	buffer_store_dword v3, off, s[0:3], 0 offset:292
	v_cvt_f16_f32_e32 v2, v2
	v_cvt_f16_f32_e32 v3, v3
	;; [unrolled: 1-line block ×3, first 2 shown]
	buffer_store_dword v4, off, s[0:3], 0 offset:296
	buffer_store_dword v5, off, s[0:3], 0 offset:300
	s_waitcnt vmcnt(12)
	v_pk_mul_f32 v[4:5], v[10:11], v[16:17] op_sel_hi:[0,1]
	v_pk_mul_f32 v[8:9], v[10:11], v[8:9] op_sel_hi:[0,1]
	v_pack_b32_f16 v2, v2, v3
	v_pack_b32_f16 v3, v7, v11
	buffer_store_dword v8, off, s[0:3], 0 offset:304
	buffer_store_dword v9, off, s[0:3], 0 offset:308
	v_cvt_f16_f32_e32 v7, v8
	v_cvt_f16_f32_e32 v8, v9
	;; [unrolled: 1-line block ×4, first 2 shown]
	buffer_store_dword v4, off, s[0:3], 0 offset:312
	buffer_store_dword v5, off, s[0:3], 0 offset:316
	v_pack_b32_f16 v4, v7, v8
	v_pack_b32_f16 v5, v9, v10
	ds_write2st64_b64 v52, v[2:3], v[4:5] offset0:2 offset1:3
	s_and_saveexec_b64 s[4:5], vcc
	s_cbranch_execz .LBB611_211
; %bb.210:
	v_add_co_u32_e32 v4, vcc, s27, v41
	v_addc_co_u32_e64 v5, s[6:7], 0, 0, vcc
	v_mov_b32_e32 v2, s18
	v_mad_u64_u32 v[4:5], s[6:7], s8, v2, v[4:5]
	v_mov_b32_e32 v3, 0
	s_mul_i32 s6, s9, s18
	v_mov_b32_e32 v2, s26
	v_add_u32_e32 v5, s6, v5
	v_mad_u64_u32 v[2:3], s[6:7], v4, s48, v[2:3]
	v_mov_b32_e32 v4, v3
	v_mad_u64_u32 v[4:5], s[6:7], v5, s48, v[4:5]
	v_mov_b32_e32 v3, v4
	v_lshlrev_b64 v[2:3], 2, v[2:3]
	v_mov_b32_e32 v5, s47
	v_add_co_u32_e32 v4, vcc, s46, v2
	v_addc_co_u32_e32 v5, vcc, v5, v3, vcc
	global_store_dword v[4:5], v19, off
	v_mov_b32_e32 v4, s45
	v_add_co_u32_e32 v2, vcc, s44, v2
	v_addc_co_u32_e32 v3, vcc, v4, v3, vcc
	global_store_dword v[2:3], v6, off
.LBB611_211:
	s_or_b64 exec, exec, s[4:5]
	v_lshl_or_b32 v30, v1, 9, v18
	s_waitcnt lgkmcnt(0)
	s_barrier
	s_load_dword s4, s[42:43], 0x0
	ds_read_b128 v[2:5], v30
	ds_read_b128 v[6:9], v30 offset:16
	ds_read_b128 v[10:13], v30 offset:2048
	;; [unrolled: 1-line block ×7, first 2 shown]
	v_mov_b32_e32 v35, 0x80
	v_mov_b32_e32 v53, 0x140
	s_mov_b64 s[10:11], -1
	s_waitcnt lgkmcnt(0)
	s_mov_b32 s5, s4
	s_mov_b32 s6, s4
	s_mov_b32 s7, s4
	s_movk_i32 s9, 0x80
	s_movk_i32 s19, 0x7f
	s_mov_b32 s20, 0xffffff
	v_mov_b32_e32 v54, 0
	v_bfrev_b32_e32 v55, 60
	s_branch .LBB611_215
.LBB611_212:                            ;   in Loop: Header=BB611_215 Depth=1
	s_or_b64 exec, exec, s[16:17]
.LBB611_213:                            ;   in Loop: Header=BB611_215 Depth=1
	s_or_b64 exec, exec, s[14:15]
.LBB611_214:                            ;   in Loop: Header=BB611_215 Depth=1
	s_or_b64 exec, exec, s[12:13]
	v_cvt_pkrtz_f16_f32 v60, v46, v50
	v_cvt_pkrtz_f16_f32 v61, v44, v56
	s_xor_b64 s[12:13], s[10:11], -1
	s_mov_b64 s[10:11], 0
	v_mov_b32_e32 v46, v47
	v_mfma_f32_16x16x16f16 v[60:63], v[60:61], v[30:31], v[34:37]
	v_mov_b32_e32 v50, v49
	s_and_b64 vcc, exec, s[12:13]
	s_nop 4
	v_cvt_pkrtz_f16_f32 v36, v51, v57
	v_cvt_pkrtz_f16_f32 v37, v42, v58
	v_mov_b32_e32 v35, v45
	v_mov_b32_e32 v51, v48
	v_mfma_f32_16x16x16f16 v[56:59], v[36:37], v[32:33], v[60:63]
	s_nop 7
	s_nop 2
	v_pk_mul_f32 v[56:57], v[56:57], s[4:5]
	v_pk_mul_f32 v[36:37], v[58:59], s[6:7]
	v_cvt_f16_f32_e32 v34, v56
	v_cvt_f16_f32_e32 v38, v57
	;; [unrolled: 1-line block ×4, first 2 shown]
	v_pack_b32_f16 v34, v34, v38
	v_pack_b32_f16 v36, v36, v37
	buffer_store_dword v34, v53, s[0:3], 0 offen
	buffer_store_dword v36, v53, s[0:3], 0 offen offset:4
	v_mov_b32_e32 v53, 0x148
	s_cbranch_vccnz .LBB611_597
.LBB611_215:                            ; =>This Inner Loop Header: Depth=1
	buffer_load_dword v36, v35, s[0:3], 0 offen
	buffer_load_dword v34, v35, s[0:3], 0 offen offset:4
	buffer_load_dword v40, v35, s[0:3], 0 offen offset:8
	;; [unrolled: 1-line block ×3, first 2 shown]
	v_mov_b32_e32 v35, 0
	s_waitcnt vmcnt(3)
	v_cmp_ne_u16_sdwa s[14:15], v36, v54 src0_sel:BYTE_0 src1_sel:DWORD
	s_and_saveexec_b64 s[12:13], s[14:15]
	s_cbranch_execz .LBB611_221
; %bb.216:                              ;   in Loop: Header=BB611_215 Depth=1
	v_cmp_ne_u16_sdwa s[16:17], v36, s9 src0_sel:BYTE_0 src1_sel:DWORD
	v_bfrev_b32_e32 v35, 1
	s_and_saveexec_b64 s[14:15], s[16:17]
	s_cbranch_execz .LBB611_220
; %bb.217:                              ;   in Loop: Header=BB611_215 Depth=1
	v_and_b32_e32 v37, 0x7f, v36
	v_cmp_ne_u32_e32 vcc, s19, v37
	v_mov_b32_e32 v35, 0x7f800001
	s_and_saveexec_b64 s[16:17], vcc
	s_cbranch_execz .LBB611_219
; %bb.218:                              ;   in Loop: Header=BB611_215 Depth=1
	v_and_b32_e32 v35, 7, v36
	v_ffbh_u32_e32 v44, v35
	v_min_u32_e32 v44, 32, v44
	v_subrev_u32_e32 v56, 28, v44
	v_lshlrev_b64 v[56:57], v56, v[36:37]
	v_lshrrev_b32_e32 v42, 3, v37
	v_sub_u32_e32 v44, 29, v44
	v_and_b32_e32 v56, 7, v56
	v_cmp_gt_u32_e32 vcc, 8, v37
	v_cndmask_b32_e32 v37, v42, v44, vcc
	v_cndmask_b32_e32 v35, v35, v56, vcc
	v_lshlrev_b32_e32 v42, 24, v36
	v_lshlrev_b32_e32 v35, 20, v35
	v_and_b32_e32 v42, 0x80000000, v42
	v_lshl_add_u32 v37, v37, 23, v55
	v_or3_b32 v35, v42, v37, v35
.LBB611_219:                            ;   in Loop: Header=BB611_215 Depth=1
	s_or_b64 exec, exec, s[16:17]
.LBB611_220:                            ;   in Loop: Header=BB611_215 Depth=1
	s_or_b64 exec, exec, s[14:15]
.LBB611_221:                            ;   in Loop: Header=BB611_215 Depth=1
	s_or_b64 exec, exec, s[12:13]
	v_lshrrev_b16_e32 v42, 8, v36
	v_cmp_ne_u16_e32 vcc, 0, v42
	v_mov_b32_e32 v37, 0
	s_and_saveexec_b64 s[12:13], vcc
	s_cbranch_execz .LBB611_227
; %bb.222:                              ;   in Loop: Header=BB611_215 Depth=1
	v_cmp_ne_u16_e32 vcc, s9, v42
	v_bfrev_b32_e32 v37, 1
	s_and_saveexec_b64 s[14:15], vcc
	s_cbranch_execz .LBB611_226
; %bb.223:                              ;   in Loop: Header=BB611_215 Depth=1
	v_and_b32_e32 v44, 0x7f, v42
	v_cmp_ne_u32_e32 vcc, s19, v44
	v_mov_b32_e32 v37, 0x7f800001
	s_and_saveexec_b64 s[16:17], vcc
	s_cbranch_execz .LBB611_225
; %bb.224:                              ;   in Loop: Header=BB611_215 Depth=1
	v_and_b32_e32 v37, 7, v42
	v_ffbh_u32_e32 v56, v37
	v_min_u32_e32 v59, 32, v56
	v_subrev_u32_e32 v56, 28, v59
	v_lshlrev_b64 v[56:57], v56, v[42:43]
	v_lshrrev_b32_e32 v58, 3, v44
	v_sub_u32_e32 v42, 29, v59
	v_and_b32_e32 v56, 7, v56
	v_cmp_gt_u32_e32 vcc, 8, v44
	v_cndmask_b32_e32 v42, v58, v42, vcc
	v_cndmask_b32_e32 v37, v37, v56, vcc
	v_lshlrev_b32_e32 v44, 16, v36
	v_lshlrev_b32_e32 v37, 20, v37
	v_and_b32_e32 v44, 0x80000000, v44
	v_lshl_add_u32 v42, v42, 23, v55
	v_or3_b32 v37, v44, v42, v37
.LBB611_225:                            ;   in Loop: Header=BB611_215 Depth=1
	s_or_b64 exec, exec, s[16:17]
.LBB611_226:                            ;   in Loop: Header=BB611_215 Depth=1
	s_or_b64 exec, exec, s[14:15]
.LBB611_227:                            ;   in Loop: Header=BB611_215 Depth=1
	s_or_b64 exec, exec, s[12:13]
	v_lshrrev_b32_e32 v42, 16, v36
	v_cmp_ne_u16_sdwa s[14:15], v42, v54 src0_sel:BYTE_0 src1_sel:DWORD
	v_mov_b32_e32 v56, 0
	v_mov_b32_e32 v44, 0
	s_and_saveexec_b64 s[12:13], s[14:15]
	s_cbranch_execz .LBB611_233
; %bb.228:                              ;   in Loop: Header=BB611_215 Depth=1
	v_cmp_ne_u16_sdwa s[16:17], v42, s9 src0_sel:BYTE_0 src1_sel:DWORD
	v_bfrev_b32_e32 v44, 1
	s_and_saveexec_b64 s[14:15], s[16:17]
	s_cbranch_execz .LBB611_232
; %bb.229:                              ;   in Loop: Header=BB611_215 Depth=1
	v_bfe_u32 v57, v36, 16, 7
	v_cmp_ne_u32_e32 vcc, s19, v57
	v_mov_b32_e32 v44, 0x7f800001
	s_and_saveexec_b64 s[16:17], vcc
	s_cbranch_execz .LBB611_231
; %bb.230:                              ;   in Loop: Header=BB611_215 Depth=1
	v_and_b32_e32 v44, 7, v42
	v_ffbh_u32_e32 v58, v44
	v_min_u32_e32 v61, 32, v58
	v_subrev_u32_e32 v58, 28, v61
	v_lshlrev_b64 v[58:59], v58, v[42:43]
	v_lshrrev_b32_e32 v60, 3, v57
	v_sub_u32_e32 v59, 29, v61
	v_and_b32_e32 v58, 7, v58
	v_cmp_gt_u32_e32 vcc, 8, v57
	v_cndmask_b32_e32 v57, v60, v59, vcc
	v_cndmask_b32_e32 v44, v44, v58, vcc
	v_lshlrev_b32_e32 v42, 24, v42
	v_lshlrev_b32_e32 v44, 20, v44
	v_and_b32_e32 v42, 0x80000000, v42
	v_lshl_add_u32 v57, v57, 23, v55
	v_or3_b32 v44, v42, v57, v44
.LBB611_231:                            ;   in Loop: Header=BB611_215 Depth=1
	s_or_b64 exec, exec, s[16:17]
.LBB611_232:                            ;   in Loop: Header=BB611_215 Depth=1
	s_or_b64 exec, exec, s[14:15]
.LBB611_233:                            ;   in Loop: Header=BB611_215 Depth=1
	s_or_b64 exec, exec, s[12:13]
	v_cmp_lt_u32_e32 vcc, s20, v36
	s_and_saveexec_b64 s[12:13], vcc
	s_cbranch_execz .LBB611_239
; %bb.234:                              ;   in Loop: Header=BB611_215 Depth=1
	v_lshrrev_b32_e32 v42, 24, v36
	v_cmp_ne_u32_e32 vcc, s9, v42
	v_bfrev_b32_e32 v56, 1
	s_and_saveexec_b64 s[14:15], vcc
	s_cbranch_execz .LBB611_238
; %bb.235:                              ;   in Loop: Header=BB611_215 Depth=1
	v_bfe_u32 v36, v36, 24, 7
	v_cmp_ne_u32_e32 vcc, s19, v36
	v_mov_b32_e32 v56, 0x7f800001
	s_and_saveexec_b64 s[16:17], vcc
	s_cbranch_execz .LBB611_237
; %bb.236:                              ;   in Loop: Header=BB611_215 Depth=1
	v_and_b32_e32 v58, 7, v42
	v_ffbh_u32_e32 v56, v58
	v_min_u32_e32 v60, 32, v56
	v_subrev_u32_e32 v56, 28, v60
	v_lshlrev_b64 v[56:57], v56, v[42:43]
	v_lshrrev_b32_e32 v59, 3, v36
	v_sub_u32_e32 v57, 29, v60
	v_and_b32_e32 v56, 7, v56
	v_cmp_gt_u32_e32 vcc, 8, v36
	v_cndmask_b32_e32 v36, v59, v57, vcc
	v_cndmask_b32_e32 v56, v58, v56, vcc
	v_lshlrev_b32_e32 v42, 24, v42
	v_lshlrev_b32_e32 v56, 20, v56
	v_and_b32_e32 v42, 0x80000000, v42
	v_lshl_add_u32 v36, v36, 23, v55
	v_or3_b32 v56, v42, v36, v56
.LBB611_237:                            ;   in Loop: Header=BB611_215 Depth=1
	s_or_b64 exec, exec, s[16:17]
.LBB611_238:                            ;   in Loop: Header=BB611_215 Depth=1
	s_or_b64 exec, exec, s[14:15]
.LBB611_239:                            ;   in Loop: Header=BB611_215 Depth=1
	s_or_b64 exec, exec, s[12:13]
	s_waitcnt vmcnt(2)
	v_cmp_ne_u16_sdwa s[14:15], v34, v54 src0_sel:BYTE_0 src1_sel:DWORD
	v_mov_b32_e32 v42, 0
	v_mov_b32_e32 v57, 0
	s_and_saveexec_b64 s[12:13], s[14:15]
	s_cbranch_execz .LBB611_245
; %bb.240:                              ;   in Loop: Header=BB611_215 Depth=1
	v_cmp_ne_u16_sdwa s[16:17], v34, s9 src0_sel:BYTE_0 src1_sel:DWORD
	v_bfrev_b32_e32 v57, 1
	s_and_saveexec_b64 s[14:15], s[16:17]
	s_cbranch_execz .LBB611_244
; %bb.241:                              ;   in Loop: Header=BB611_215 Depth=1
	v_and_b32_e32 v36, 0x7f, v34
	v_cmp_ne_u32_e32 vcc, s19, v36
	v_mov_b32_e32 v57, 0x7f800001
	s_and_saveexec_b64 s[16:17], vcc
	s_cbranch_execz .LBB611_243
; %bb.242:                              ;   in Loop: Header=BB611_215 Depth=1
	v_and_b32_e32 v57, 7, v34
	v_ffbh_u32_e32 v58, v57
	v_min_u32_e32 v61, 32, v58
	v_subrev_u32_e32 v58, 28, v61
	v_lshlrev_b64 v[58:59], v58, v[34:35]
	v_lshrrev_b32_e32 v60, 3, v36
	v_sub_u32_e32 v59, 29, v61
	v_and_b32_e32 v58, 7, v58
	v_cmp_gt_u32_e32 vcc, 8, v36
	v_cndmask_b32_e32 v36, v60, v59, vcc
	v_cndmask_b32_e32 v57, v57, v58, vcc
	v_lshlrev_b32_e32 v58, 24, v34
	v_lshlrev_b32_e32 v57, 20, v57
	v_and_b32_e32 v58, 0x80000000, v58
	v_lshl_add_u32 v36, v36, 23, v55
	v_or3_b32 v57, v58, v36, v57
.LBB611_243:                            ;   in Loop: Header=BB611_215 Depth=1
	s_or_b64 exec, exec, s[16:17]
.LBB611_244:                            ;   in Loop: Header=BB611_215 Depth=1
	s_or_b64 exec, exec, s[14:15]
.LBB611_245:                            ;   in Loop: Header=BB611_215 Depth=1
	s_or_b64 exec, exec, s[12:13]
	v_lshrrev_b16_e32 v36, 8, v34
	v_cmp_ne_u16_e32 vcc, 0, v36
	s_and_saveexec_b64 s[12:13], vcc
	s_cbranch_execz .LBB611_251
; %bb.246:                              ;   in Loop: Header=BB611_215 Depth=1
	v_cmp_ne_u16_e32 vcc, s9, v36
	v_bfrev_b32_e32 v42, 1
	s_and_saveexec_b64 s[14:15], vcc
	s_cbranch_execz .LBB611_250
; %bb.247:                              ;   in Loop: Header=BB611_215 Depth=1
	v_and_b32_e32 v58, 0x7f, v36
	v_cmp_ne_u32_e32 vcc, s19, v58
	v_mov_b32_e32 v42, 0x7f800001
	s_and_saveexec_b64 s[16:17], vcc
	s_cbranch_execz .LBB611_249
; %bb.248:                              ;   in Loop: Header=BB611_215 Depth=1
	v_and_b32_e32 v42, 7, v36
	v_ffbh_u32_e32 v60, v42
	v_min_u32_e32 v62, 32, v60
	v_subrev_u32_e32 v60, 28, v62
	v_lshlrev_b64 v[60:61], v60, v[36:37]
	v_lshrrev_b32_e32 v59, 3, v58
	v_sub_u32_e32 v36, 29, v62
	v_and_b32_e32 v60, 7, v60
	v_cmp_gt_u32_e32 vcc, 8, v58
	v_cndmask_b32_e32 v36, v59, v36, vcc
	v_cndmask_b32_e32 v42, v42, v60, vcc
	v_lshlrev_b32_e32 v58, 16, v34
	v_lshlrev_b32_e32 v42, 20, v42
	v_and_b32_e32 v58, 0x80000000, v58
	v_lshl_add_u32 v36, v36, 23, v55
	v_or3_b32 v42, v58, v36, v42
.LBB611_249:                            ;   in Loop: Header=BB611_215 Depth=1
	s_or_b64 exec, exec, s[16:17]
.LBB611_250:                            ;   in Loop: Header=BB611_215 Depth=1
	s_or_b64 exec, exec, s[14:15]
.LBB611_251:                            ;   in Loop: Header=BB611_215 Depth=1
	s_or_b64 exec, exec, s[12:13]
	v_lshrrev_b32_e32 v36, 16, v34
	v_cmp_ne_u16_sdwa s[14:15], v36, v54 src0_sel:BYTE_0 src1_sel:DWORD
	v_mov_b32_e32 v59, 0
	v_mov_b32_e32 v58, 0
	s_and_saveexec_b64 s[12:13], s[14:15]
	s_cbranch_execz .LBB611_257
; %bb.252:                              ;   in Loop: Header=BB611_215 Depth=1
	v_cmp_ne_u16_sdwa s[16:17], v36, s9 src0_sel:BYTE_0 src1_sel:DWORD
	v_bfrev_b32_e32 v58, 1
	s_and_saveexec_b64 s[14:15], s[16:17]
	s_cbranch_execz .LBB611_256
; %bb.253:                              ;   in Loop: Header=BB611_215 Depth=1
	v_bfe_u32 v60, v34, 16, 7
	v_cmp_ne_u32_e32 vcc, s19, v60
	v_mov_b32_e32 v58, 0x7f800001
	s_and_saveexec_b64 s[16:17], vcc
	s_cbranch_execz .LBB611_255
; %bb.254:                              ;   in Loop: Header=BB611_215 Depth=1
	v_and_b32_e32 v58, 7, v36
	v_ffbh_u32_e32 v62, v58
	v_min_u32_e32 v64, 32, v62
	v_subrev_u32_e32 v62, 28, v64
	v_lshlrev_b64 v[62:63], v62, v[36:37]
	v_lshrrev_b32_e32 v61, 3, v60
	v_sub_u32_e32 v63, 29, v64
	v_and_b32_e32 v62, 7, v62
	v_cmp_gt_u32_e32 vcc, 8, v60
	v_cndmask_b32_e32 v60, v61, v63, vcc
	v_cndmask_b32_e32 v58, v58, v62, vcc
	v_lshlrev_b32_e32 v36, 24, v36
	v_lshlrev_b32_e32 v58, 20, v58
	v_and_b32_e32 v36, 0x80000000, v36
	v_lshl_add_u32 v60, v60, 23, v55
	v_or3_b32 v58, v36, v60, v58
.LBB611_255:                            ;   in Loop: Header=BB611_215 Depth=1
	s_or_b64 exec, exec, s[16:17]
.LBB611_256:                            ;   in Loop: Header=BB611_215 Depth=1
	s_or_b64 exec, exec, s[14:15]
.LBB611_257:                            ;   in Loop: Header=BB611_215 Depth=1
	s_or_b64 exec, exec, s[12:13]
	v_cmp_lt_u32_e32 vcc, s20, v34
	s_and_saveexec_b64 s[12:13], vcc
	s_cbranch_execz .LBB611_263
; %bb.258:                              ;   in Loop: Header=BB611_215 Depth=1
	v_lshrrev_b32_e32 v36, 24, v34
	v_cmp_ne_u32_e32 vcc, s9, v36
	v_bfrev_b32_e32 v59, 1
	s_and_saveexec_b64 s[14:15], vcc
	s_cbranch_execz .LBB611_262
; %bb.259:                              ;   in Loop: Header=BB611_215 Depth=1
	v_bfe_u32 v34, v34, 24, 7
	v_cmp_ne_u32_e32 vcc, s19, v34
	v_mov_b32_e32 v59, 0x7f800001
	s_and_saveexec_b64 s[16:17], vcc
	s_cbranch_execz .LBB611_261
; %bb.260:                              ;   in Loop: Header=BB611_215 Depth=1
	v_and_b32_e32 v59, 7, v36
	v_ffbh_u32_e32 v60, v59
	v_min_u32_e32 v63, 32, v60
	v_subrev_u32_e32 v60, 28, v63
	v_lshlrev_b64 v[60:61], v60, v[36:37]
	v_lshrrev_b32_e32 v62, 3, v34
	v_sub_u32_e32 v61, 29, v63
	v_and_b32_e32 v60, 7, v60
	v_cmp_gt_u32_e32 vcc, 8, v34
	v_cndmask_b32_e32 v34, v62, v61, vcc
	v_cndmask_b32_e32 v59, v59, v60, vcc
	v_lshlrev_b32_e32 v36, 24, v36
	v_lshlrev_b32_e32 v59, 20, v59
	v_and_b32_e32 v36, 0x80000000, v36
	v_lshl_add_u32 v34, v34, 23, v55
	v_or3_b32 v59, v36, v34, v59
.LBB611_261:                            ;   in Loop: Header=BB611_215 Depth=1
	s_or_b64 exec, exec, s[16:17]
.LBB611_262:                            ;   in Loop: Header=BB611_215 Depth=1
	s_or_b64 exec, exec, s[14:15]
.LBB611_263:                            ;   in Loop: Header=BB611_215 Depth=1
	s_or_b64 exec, exec, s[12:13]
	v_cvt_pkrtz_f16_f32 v34, v35, v37
	v_cvt_pkrtz_f16_f32 v35, v44, v56
	v_cvt_pkrtz_f16_f32 v60, v57, v42
	v_cvt_pkrtz_f16_f32 v61, v58, v59
	v_mov_b32_e32 v44, 0
	v_mfma_f32_16x16x16f16 v[34:37], v[34:35], v[2:3], 0
	s_waitcnt vmcnt(1)
	v_cmp_ne_u16_sdwa s[14:15], v40, v54 src0_sel:BYTE_0 src1_sel:DWORD
	v_mov_b32_e32 v57, 0
	v_mfma_f32_16x16x16f16 v[34:37], v[60:61], v[4:5], v[34:37]
	s_and_saveexec_b64 s[12:13], s[14:15]
	s_cbranch_execz .LBB611_269
; %bb.264:                              ;   in Loop: Header=BB611_215 Depth=1
	v_cmp_ne_u16_sdwa s[16:17], v40, s9 src0_sel:BYTE_0 src1_sel:DWORD
	v_bfrev_b32_e32 v57, 1
	s_and_saveexec_b64 s[14:15], s[16:17]
	s_cbranch_execz .LBB611_268
; %bb.265:                              ;   in Loop: Header=BB611_215 Depth=1
	v_and_b32_e32 v42, 0x7f, v40
	v_cmp_ne_u32_e32 vcc, s19, v42
	v_mov_b32_e32 v57, 0x7f800001
	s_and_saveexec_b64 s[16:17], vcc
	s_cbranch_execz .LBB611_267
; %bb.266:                              ;   in Loop: Header=BB611_215 Depth=1
	v_and_b32_e32 v58, 7, v40
	v_ffbh_u32_e32 v56, v58
	v_min_u32_e32 v60, 32, v56
	v_subrev_u32_e32 v56, 28, v60
	v_lshlrev_b64 v[56:57], v56, v[40:41]
	v_lshrrev_b32_e32 v59, 3, v42
	v_sub_u32_e32 v57, 29, v60
	v_and_b32_e32 v56, 7, v56
	v_cmp_gt_u32_e32 vcc, 8, v42
	v_cndmask_b32_e32 v42, v59, v57, vcc
	v_cndmask_b32_e32 v56, v58, v56, vcc
	v_lshlrev_b32_e32 v57, 24, v40
	v_lshlrev_b32_e32 v56, 20, v56
	v_and_b32_e32 v57, 0x80000000, v57
	v_lshl_add_u32 v42, v42, 23, v55
	v_or3_b32 v57, v57, v42, v56
.LBB611_267:                            ;   in Loop: Header=BB611_215 Depth=1
	s_or_b64 exec, exec, s[16:17]
.LBB611_268:                            ;   in Loop: Header=BB611_215 Depth=1
	s_or_b64 exec, exec, s[14:15]
.LBB611_269:                            ;   in Loop: Header=BB611_215 Depth=1
	s_or_b64 exec, exec, s[12:13]
	v_lshrrev_b16_e32 v42, 8, v40
	v_cmp_ne_u16_e32 vcc, 0, v42
	v_mov_b32_e32 v58, 0
	s_and_saveexec_b64 s[12:13], vcc
	s_cbranch_execz .LBB611_275
; %bb.270:                              ;   in Loop: Header=BB611_215 Depth=1
	v_cmp_ne_u16_e32 vcc, s9, v42
	v_bfrev_b32_e32 v58, 1
	s_and_saveexec_b64 s[14:15], vcc
	s_cbranch_execz .LBB611_274
; %bb.271:                              ;   in Loop: Header=BB611_215 Depth=1
	v_and_b32_e32 v56, 0x7f, v42
	v_cmp_ne_u32_e32 vcc, s19, v56
	v_mov_b32_e32 v58, 0x7f800001
	s_and_saveexec_b64 s[16:17], vcc
	s_cbranch_execz .LBB611_273
; %bb.272:                              ;   in Loop: Header=BB611_215 Depth=1
	v_and_b32_e32 v60, 7, v42
	v_ffbh_u32_e32 v58, v60
	v_min_u32_e32 v62, 32, v58
	v_subrev_u32_e32 v58, 28, v62
	v_lshlrev_b64 v[58:59], v58, v[42:43]
	v_lshrrev_b32_e32 v61, 3, v56
	v_sub_u32_e32 v42, 29, v62
	v_and_b32_e32 v58, 7, v58
	v_cmp_gt_u32_e32 vcc, 8, v56
	v_cndmask_b32_e32 v42, v61, v42, vcc
	v_cndmask_b32_e32 v56, v60, v58, vcc
	v_lshlrev_b32_e32 v58, 16, v40
	v_lshlrev_b32_e32 v56, 20, v56
	v_and_b32_e32 v58, 0x80000000, v58
	v_lshl_add_u32 v42, v42, 23, v55
	v_or3_b32 v58, v58, v42, v56
.LBB611_273:                            ;   in Loop: Header=BB611_215 Depth=1
	s_or_b64 exec, exec, s[16:17]
.LBB611_274:                            ;   in Loop: Header=BB611_215 Depth=1
	s_or_b64 exec, exec, s[14:15]
.LBB611_275:                            ;   in Loop: Header=BB611_215 Depth=1
	s_or_b64 exec, exec, s[12:13]
	v_lshrrev_b32_e32 v42, 16, v40
	v_cmp_ne_u16_sdwa s[14:15], v42, v54 src0_sel:BYTE_0 src1_sel:DWORD
	s_and_saveexec_b64 s[12:13], s[14:15]
	s_cbranch_execz .LBB611_281
; %bb.276:                              ;   in Loop: Header=BB611_215 Depth=1
	v_cmp_ne_u16_sdwa s[16:17], v42, s9 src0_sel:BYTE_0 src1_sel:DWORD
	v_bfrev_b32_e32 v44, 1
	s_and_saveexec_b64 s[14:15], s[16:17]
	s_cbranch_execz .LBB611_280
; %bb.277:                              ;   in Loop: Header=BB611_215 Depth=1
	v_bfe_u32 v56, v40, 16, 7
	v_cmp_ne_u32_e32 vcc, s19, v56
	v_mov_b32_e32 v44, 0x7f800001
	s_and_saveexec_b64 s[16:17], vcc
	s_cbranch_execz .LBB611_279
; %bb.278:                              ;   in Loop: Header=BB611_215 Depth=1
	v_and_b32_e32 v44, 7, v42
	v_ffbh_u32_e32 v60, v44
	v_min_u32_e32 v62, 32, v60
	v_subrev_u32_e32 v60, 28, v62
	v_lshlrev_b64 v[60:61], v60, v[42:43]
	v_lshrrev_b32_e32 v59, 3, v56
	v_sub_u32_e32 v61, 29, v62
	v_and_b32_e32 v60, 7, v60
	v_cmp_gt_u32_e32 vcc, 8, v56
	v_cndmask_b32_e32 v56, v59, v61, vcc
	v_cndmask_b32_e32 v44, v44, v60, vcc
	v_lshlrev_b32_e32 v42, 24, v42
	v_lshlrev_b32_e32 v44, 20, v44
	v_and_b32_e32 v42, 0x80000000, v42
	v_lshl_add_u32 v56, v56, 23, v55
	v_or3_b32 v44, v42, v56, v44
.LBB611_279:                            ;   in Loop: Header=BB611_215 Depth=1
	s_or_b64 exec, exec, s[16:17]
.LBB611_280:                            ;   in Loop: Header=BB611_215 Depth=1
	s_or_b64 exec, exec, s[14:15]
.LBB611_281:                            ;   in Loop: Header=BB611_215 Depth=1
	s_or_b64 exec, exec, s[12:13]
	v_cmp_lt_u32_e32 vcc, s20, v40
	v_mov_b32_e32 v59, 0
	v_mov_b32_e32 v60, 0
	s_and_saveexec_b64 s[12:13], vcc
	s_cbranch_execz .LBB611_287
; %bb.282:                              ;   in Loop: Header=BB611_215 Depth=1
	v_lshrrev_b32_e32 v42, 24, v40
	v_cmp_ne_u32_e32 vcc, s9, v42
	v_bfrev_b32_e32 v60, 1
	s_and_saveexec_b64 s[14:15], vcc
	s_cbranch_execz .LBB611_286
; %bb.283:                              ;   in Loop: Header=BB611_215 Depth=1
	v_bfe_u32 v40, v40, 24, 7
	v_cmp_ne_u32_e32 vcc, s19, v40
	v_mov_b32_e32 v60, 0x7f800001
	s_and_saveexec_b64 s[16:17], vcc
	s_cbranch_execz .LBB611_285
; %bb.284:                              ;   in Loop: Header=BB611_215 Depth=1
	v_and_b32_e32 v56, 7, v42
	v_ffbh_u32_e32 v60, v56
	v_min_u32_e32 v63, 32, v60
	v_subrev_u32_e32 v60, 28, v63
	v_lshlrev_b64 v[60:61], v60, v[42:43]
	v_lshrrev_b32_e32 v62, 3, v40
	v_sub_u32_e32 v61, 29, v63
	v_and_b32_e32 v60, 7, v60
	v_cmp_gt_u32_e32 vcc, 8, v40
	v_cndmask_b32_e32 v40, v62, v61, vcc
	v_cndmask_b32_e32 v56, v56, v60, vcc
	v_lshlrev_b32_e32 v42, 24, v42
	v_lshlrev_b32_e32 v56, 20, v56
	v_and_b32_e32 v42, 0x80000000, v42
	v_lshl_add_u32 v40, v40, 23, v55
	v_or3_b32 v60, v42, v40, v56
.LBB611_285:                            ;   in Loop: Header=BB611_215 Depth=1
	s_or_b64 exec, exec, s[16:17]
.LBB611_286:                            ;   in Loop: Header=BB611_215 Depth=1
	s_or_b64 exec, exec, s[14:15]
.LBB611_287:                            ;   in Loop: Header=BB611_215 Depth=1
	s_or_b64 exec, exec, s[12:13]
	s_waitcnt vmcnt(0)
	v_cmp_ne_u16_sdwa s[14:15], v38, v54 src0_sel:BYTE_0 src1_sel:DWORD
	s_and_saveexec_b64 s[12:13], s[14:15]
	s_cbranch_execz .LBB611_293
; %bb.288:                              ;   in Loop: Header=BB611_215 Depth=1
	v_cmp_ne_u16_sdwa s[16:17], v38, s9 src0_sel:BYTE_0 src1_sel:DWORD
	v_bfrev_b32_e32 v59, 1
	s_and_saveexec_b64 s[14:15], s[16:17]
	s_cbranch_execz .LBB611_292
; %bb.289:                              ;   in Loop: Header=BB611_215 Depth=1
	v_and_b32_e32 v40, 0x7f, v38
	v_cmp_ne_u32_e32 vcc, s19, v40
	v_mov_b32_e32 v59, 0x7f800001
	s_and_saveexec_b64 s[16:17], vcc
	s_cbranch_execz .LBB611_291
; %bb.290:                              ;   in Loop: Header=BB611_215 Depth=1
	v_and_b32_e32 v42, 7, v38
	v_ffbh_u32_e32 v59, v42
	v_min_u32_e32 v59, 32, v59
	v_subrev_u32_e32 v61, 28, v59
	v_lshlrev_b64 v[62:63], v61, v[38:39]
	v_lshrrev_b32_e32 v56, 3, v40
	v_sub_u32_e32 v59, 29, v59
	v_and_b32_e32 v61, 7, v62
	v_cmp_gt_u32_e32 vcc, 8, v40
	v_cndmask_b32_e32 v40, v56, v59, vcc
	v_cndmask_b32_e32 v42, v42, v61, vcc
	v_lshlrev_b32_e32 v56, 24, v38
	v_lshlrev_b32_e32 v42, 20, v42
	v_and_b32_e32 v56, 0x80000000, v56
	v_lshl_add_u32 v40, v40, 23, v55
	v_or3_b32 v59, v56, v40, v42
.LBB611_291:                            ;   in Loop: Header=BB611_215 Depth=1
	s_or_b64 exec, exec, s[16:17]
.LBB611_292:                            ;   in Loop: Header=BB611_215 Depth=1
	s_or_b64 exec, exec, s[14:15]
.LBB611_293:                            ;   in Loop: Header=BB611_215 Depth=1
	s_or_b64 exec, exec, s[12:13]
	v_lshrrev_b16_e32 v40, 8, v38
	v_cmp_ne_u16_e32 vcc, 0, v40
	v_mov_b32_e32 v61, 0
	v_mov_b32_e32 v62, 0
	s_and_saveexec_b64 s[12:13], vcc
	s_cbranch_execz .LBB611_299
; %bb.294:                              ;   in Loop: Header=BB611_215 Depth=1
	v_cmp_ne_u16_e32 vcc, s9, v40
	v_bfrev_b32_e32 v62, 1
	s_and_saveexec_b64 s[14:15], vcc
	s_cbranch_execz .LBB611_298
; %bb.295:                              ;   in Loop: Header=BB611_215 Depth=1
	v_and_b32_e32 v42, 0x7f, v40
	v_cmp_ne_u32_e32 vcc, s19, v42
	v_mov_b32_e32 v62, 0x7f800001
	s_and_saveexec_b64 s[16:17], vcc
	s_cbranch_execz .LBB611_297
; %bb.296:                              ;   in Loop: Header=BB611_215 Depth=1
	v_and_b32_e32 v56, 7, v40
	v_ffbh_u32_e32 v62, v56
	v_min_u32_e32 v65, 32, v62
	v_subrev_u32_e32 v62, 28, v65
	v_lshlrev_b64 v[62:63], v62, v[40:41]
	v_lshrrev_b32_e32 v64, 3, v42
	v_sub_u32_e32 v40, 29, v65
	v_and_b32_e32 v62, 7, v62
	v_cmp_gt_u32_e32 vcc, 8, v42
	v_cndmask_b32_e32 v40, v64, v40, vcc
	v_cndmask_b32_e32 v42, v56, v62, vcc
	v_lshlrev_b32_e32 v56, 16, v38
	v_lshlrev_b32_e32 v42, 20, v42
	v_and_b32_e32 v56, 0x80000000, v56
	v_lshl_add_u32 v40, v40, 23, v55
	v_or3_b32 v62, v56, v40, v42
.LBB611_297:                            ;   in Loop: Header=BB611_215 Depth=1
	s_or_b64 exec, exec, s[16:17]
.LBB611_298:                            ;   in Loop: Header=BB611_215 Depth=1
	s_or_b64 exec, exec, s[14:15]
.LBB611_299:                            ;   in Loop: Header=BB611_215 Depth=1
	s_or_b64 exec, exec, s[12:13]
	v_lshrrev_b32_e32 v40, 16, v38
	v_cmp_ne_u16_sdwa s[14:15], v40, v54 src0_sel:BYTE_0 src1_sel:DWORD
	s_and_saveexec_b64 s[12:13], s[14:15]
	s_cbranch_execz .LBB611_305
; %bb.300:                              ;   in Loop: Header=BB611_215 Depth=1
	v_cmp_ne_u16_sdwa s[16:17], v40, s9 src0_sel:BYTE_0 src1_sel:DWORD
	v_bfrev_b32_e32 v61, 1
	s_and_saveexec_b64 s[14:15], s[16:17]
	s_cbranch_execz .LBB611_304
; %bb.301:                              ;   in Loop: Header=BB611_215 Depth=1
	v_bfe_u32 v42, v38, 16, 7
	v_cmp_ne_u32_e32 vcc, s19, v42
	v_mov_b32_e32 v61, 0x7f800001
	s_and_saveexec_b64 s[16:17], vcc
	s_cbranch_execz .LBB611_303
; %bb.302:                              ;   in Loop: Header=BB611_215 Depth=1
	v_and_b32_e32 v56, 7, v40
	v_ffbh_u32_e32 v63, v56
	v_min_u32_e32 v63, 32, v63
	v_subrev_u32_e32 v64, 28, v63
	v_lshlrev_b64 v[64:65], v64, v[40:41]
	v_lshrrev_b32_e32 v61, 3, v42
	v_sub_u32_e32 v63, 29, v63
	v_and_b32_e32 v64, 7, v64
	v_cmp_gt_u32_e32 vcc, 8, v42
	v_cndmask_b32_e32 v42, v61, v63, vcc
	v_cndmask_b32_e32 v56, v56, v64, vcc
	v_lshlrev_b32_e32 v40, 24, v40
	v_lshlrev_b32_e32 v56, 20, v56
	v_and_b32_e32 v40, 0x80000000, v40
	v_lshl_add_u32 v42, v42, 23, v55
	v_or3_b32 v61, v40, v42, v56
.LBB611_303:                            ;   in Loop: Header=BB611_215 Depth=1
	s_or_b64 exec, exec, s[16:17]
.LBB611_304:                            ;   in Loop: Header=BB611_215 Depth=1
	s_or_b64 exec, exec, s[14:15]
.LBB611_305:                            ;   in Loop: Header=BB611_215 Depth=1
	s_or_b64 exec, exec, s[12:13]
	v_cmp_lt_u32_e32 vcc, s20, v38
	v_mov_b32_e32 v56, 0
	v_mov_b32_e32 v63, 0
	s_and_saveexec_b64 s[12:13], vcc
	s_cbranch_execz .LBB611_311
; %bb.306:                              ;   in Loop: Header=BB611_215 Depth=1
	v_lshrrev_b32_e32 v40, 24, v38
	v_cmp_ne_u32_e32 vcc, s9, v40
	v_bfrev_b32_e32 v63, 1
	s_and_saveexec_b64 s[14:15], vcc
	s_cbranch_execz .LBB611_310
; %bb.307:                              ;   in Loop: Header=BB611_215 Depth=1
	v_bfe_u32 v38, v38, 24, 7
	v_cmp_ne_u32_e32 vcc, s19, v38
	v_mov_b32_e32 v63, 0x7f800001
	s_and_saveexec_b64 s[16:17], vcc
	s_cbranch_execz .LBB611_309
; %bb.308:                              ;   in Loop: Header=BB611_215 Depth=1
	v_and_b32_e32 v42, 7, v40
	v_ffbh_u32_e32 v64, v42
	v_min_u32_e32 v66, 32, v64
	v_subrev_u32_e32 v64, 28, v66
	v_lshlrev_b64 v[64:65], v64, v[40:41]
	v_lshrrev_b32_e32 v63, 3, v38
	v_sub_u32_e32 v65, 29, v66
	v_and_b32_e32 v64, 7, v64
	v_cmp_gt_u32_e32 vcc, 8, v38
	v_cndmask_b32_e32 v38, v63, v65, vcc
	v_cndmask_b32_e32 v42, v42, v64, vcc
	v_lshlrev_b32_e32 v40, 24, v40
	v_lshlrev_b32_e32 v42, 20, v42
	v_and_b32_e32 v40, 0x80000000, v40
	v_lshl_add_u32 v38, v38, 23, v55
	v_or3_b32 v63, v40, v38, v42
.LBB611_309:                            ;   in Loop: Header=BB611_215 Depth=1
	s_or_b64 exec, exec, s[16:17]
.LBB611_310:                            ;   in Loop: Header=BB611_215 Depth=1
	s_or_b64 exec, exec, s[14:15]
.LBB611_311:                            ;   in Loop: Header=BB611_215 Depth=1
	s_or_b64 exec, exec, s[12:13]
	v_cvt_pkrtz_f16_f32 v65, v44, v60
	buffer_load_dword v44, v46, s[0:3], 0 offen
	buffer_load_dword v42, v46, s[0:3], 0 offen offset:4
	buffer_load_dword v40, v46, s[0:3], 0 offen offset:8
	buffer_load_dword v38, v46, s[0:3], 0 offen offset:12
	v_cvt_pkrtz_f16_f32 v64, v57, v58
	v_cvt_pkrtz_f16_f32 v58, v59, v62
	;; [unrolled: 1-line block ×3, first 2 shown]
	v_mfma_f32_16x16x16f16 v[34:37], v[64:65], v[6:7], v[34:37]
	s_waitcnt vmcnt(3)
	v_cmp_ne_u16_sdwa s[14:15], v44, v54 src0_sel:BYTE_0 src1_sel:DWORD
	v_mfma_f32_16x16x16f16 v[34:37], v[58:59], v[8:9], v[34:37]
	s_and_saveexec_b64 s[12:13], s[14:15]
	s_cbranch_execz .LBB611_317
; %bb.312:                              ;   in Loop: Header=BB611_215 Depth=1
	v_cmp_ne_u16_sdwa s[16:17], v44, s9 src0_sel:BYTE_0 src1_sel:DWORD
	v_bfrev_b32_e32 v56, 1
	s_and_saveexec_b64 s[14:15], s[16:17]
	s_cbranch_execz .LBB611_316
; %bb.313:                              ;   in Loop: Header=BB611_215 Depth=1
	v_and_b32_e32 v46, 0x7f, v44
	v_cmp_ne_u32_e32 vcc, s19, v46
	v_mov_b32_e32 v56, 0x7f800001
	s_and_saveexec_b64 s[16:17], vcc
	s_cbranch_execz .LBB611_315
; %bb.314:                              ;   in Loop: Header=BB611_215 Depth=1
	v_and_b32_e32 v58, 7, v44
	v_ffbh_u32_e32 v56, v58
	v_min_u32_e32 v60, 32, v56
	v_subrev_u32_e32 v56, 28, v60
	v_lshlrev_b64 v[56:57], v56, v[44:45]
	v_lshrrev_b32_e32 v59, 3, v46
	v_sub_u32_e32 v57, 29, v60
	v_and_b32_e32 v56, 7, v56
	v_cmp_gt_u32_e32 vcc, 8, v46
	v_cndmask_b32_e32 v46, v59, v57, vcc
	v_cndmask_b32_e32 v56, v58, v56, vcc
	v_lshlrev_b32_e32 v57, 24, v44
	v_lshlrev_b32_e32 v56, 20, v56
	v_and_b32_e32 v57, 0x80000000, v57
	v_lshl_add_u32 v46, v46, 23, v55
	v_or3_b32 v56, v57, v46, v56
.LBB611_315:                            ;   in Loop: Header=BB611_215 Depth=1
	s_or_b64 exec, exec, s[16:17]
.LBB611_316:                            ;   in Loop: Header=BB611_215 Depth=1
	s_or_b64 exec, exec, s[14:15]
.LBB611_317:                            ;   in Loop: Header=BB611_215 Depth=1
	s_or_b64 exec, exec, s[12:13]
	v_lshrrev_b16_e32 v46, 8, v44
	v_cmp_ne_u16_e32 vcc, 0, v46
	v_mov_b32_e32 v57, 0
	v_mov_b32_e32 v58, 0
	s_and_saveexec_b64 s[12:13], vcc
	s_cbranch_execz .LBB611_323
; %bb.318:                              ;   in Loop: Header=BB611_215 Depth=1
	v_cmp_ne_u16_e32 vcc, s9, v46
	v_bfrev_b32_e32 v58, 1
	s_and_saveexec_b64 s[14:15], vcc
	s_cbranch_execz .LBB611_322
; %bb.319:                              ;   in Loop: Header=BB611_215 Depth=1
	v_and_b32_e32 v59, 0x7f, v46
	v_cmp_ne_u32_e32 vcc, s19, v59
	v_mov_b32_e32 v58, 0x7f800001
	s_and_saveexec_b64 s[16:17], vcc
	s_cbranch_execz .LBB611_321
; %bb.320:                              ;   in Loop: Header=BB611_215 Depth=1
	v_and_b32_e32 v58, 7, v46
	v_ffbh_u32_e32 v60, v58
	v_min_u32_e32 v63, 32, v60
	v_subrev_u32_e32 v60, 28, v63
	v_lshlrev_b64 v[60:61], v60, v[46:47]
	v_lshrrev_b32_e32 v62, 3, v59
	v_sub_u32_e32 v46, 29, v63
	v_and_b32_e32 v60, 7, v60
	v_cmp_gt_u32_e32 vcc, 8, v59
	v_cndmask_b32_e32 v46, v62, v46, vcc
	v_cndmask_b32_e32 v58, v58, v60, vcc
	v_lshlrev_b32_e32 v59, 16, v44
	v_lshlrev_b32_e32 v58, 20, v58
	v_and_b32_e32 v59, 0x80000000, v59
	v_lshl_add_u32 v46, v46, 23, v55
	v_or3_b32 v58, v59, v46, v58
.LBB611_321:                            ;   in Loop: Header=BB611_215 Depth=1
	s_or_b64 exec, exec, s[16:17]
.LBB611_322:                            ;   in Loop: Header=BB611_215 Depth=1
	s_or_b64 exec, exec, s[14:15]
.LBB611_323:                            ;   in Loop: Header=BB611_215 Depth=1
	s_or_b64 exec, exec, s[12:13]
	v_lshrrev_b32_e32 v46, 16, v44
	v_cmp_ne_u16_sdwa s[14:15], v46, v54 src0_sel:BYTE_0 src1_sel:DWORD
	s_and_saveexec_b64 s[12:13], s[14:15]
	s_cbranch_execz .LBB611_329
; %bb.324:                              ;   in Loop: Header=BB611_215 Depth=1
	v_cmp_ne_u16_sdwa s[16:17], v46, s9 src0_sel:BYTE_0 src1_sel:DWORD
	v_bfrev_b32_e32 v57, 1
	s_and_saveexec_b64 s[14:15], s[16:17]
	s_cbranch_execz .LBB611_328
; %bb.325:                              ;   in Loop: Header=BB611_215 Depth=1
	v_bfe_u32 v59, v44, 16, 7
	v_cmp_ne_u32_e32 vcc, s19, v59
	v_mov_b32_e32 v57, 0x7f800001
	s_and_saveexec_b64 s[16:17], vcc
	s_cbranch_execz .LBB611_327
; %bb.326:                              ;   in Loop: Header=BB611_215 Depth=1
	v_and_b32_e32 v57, 7, v46
	v_ffbh_u32_e32 v60, v57
	v_min_u32_e32 v63, 32, v60
	v_subrev_u32_e32 v60, 28, v63
	v_lshlrev_b64 v[60:61], v60, v[46:47]
	v_lshrrev_b32_e32 v62, 3, v59
	v_sub_u32_e32 v61, 29, v63
	v_and_b32_e32 v60, 7, v60
	v_cmp_gt_u32_e32 vcc, 8, v59
	v_cndmask_b32_e32 v59, v62, v61, vcc
	v_cndmask_b32_e32 v57, v57, v60, vcc
	v_lshlrev_b32_e32 v46, 24, v46
	v_lshlrev_b32_e32 v57, 20, v57
	v_and_b32_e32 v46, 0x80000000, v46
	v_lshl_add_u32 v59, v59, 23, v55
	v_or3_b32 v57, v46, v59, v57
.LBB611_327:                            ;   in Loop: Header=BB611_215 Depth=1
	s_or_b64 exec, exec, s[16:17]
.LBB611_328:                            ;   in Loop: Header=BB611_215 Depth=1
	s_or_b64 exec, exec, s[14:15]
.LBB611_329:                            ;   in Loop: Header=BB611_215 Depth=1
	s_or_b64 exec, exec, s[12:13]
	v_cmp_lt_u32_e32 vcc, s20, v44
	v_mov_b32_e32 v59, 0
	v_mov_b32_e32 v60, 0
	s_and_saveexec_b64 s[12:13], vcc
	s_cbranch_execz .LBB611_335
; %bb.330:                              ;   in Loop: Header=BB611_215 Depth=1
	v_lshrrev_b32_e32 v46, 24, v44
	v_cmp_ne_u32_e32 vcc, s9, v46
	v_bfrev_b32_e32 v60, 1
	s_and_saveexec_b64 s[14:15], vcc
	s_cbranch_execz .LBB611_334
; %bb.331:                              ;   in Loop: Header=BB611_215 Depth=1
	v_bfe_u32 v44, v44, 24, 7
	v_cmp_ne_u32_e32 vcc, s19, v44
	v_mov_b32_e32 v60, 0x7f800001
	s_and_saveexec_b64 s[16:17], vcc
	s_cbranch_execz .LBB611_333
; %bb.332:                              ;   in Loop: Header=BB611_215 Depth=1
	v_and_b32_e32 v62, 7, v46
	v_ffbh_u32_e32 v60, v62
	v_min_u32_e32 v64, 32, v60
	v_subrev_u32_e32 v60, 28, v64
	v_lshlrev_b64 v[60:61], v60, v[46:47]
	v_lshrrev_b32_e32 v63, 3, v44
	v_sub_u32_e32 v61, 29, v64
	v_and_b32_e32 v60, 7, v60
	v_cmp_gt_u32_e32 vcc, 8, v44
	v_cndmask_b32_e32 v44, v63, v61, vcc
	v_cndmask_b32_e32 v60, v62, v60, vcc
	v_lshlrev_b32_e32 v46, 24, v46
	v_lshlrev_b32_e32 v60, 20, v60
	v_and_b32_e32 v46, 0x80000000, v46
	v_lshl_add_u32 v44, v44, 23, v55
	v_or3_b32 v60, v46, v44, v60
.LBB611_333:                            ;   in Loop: Header=BB611_215 Depth=1
	s_or_b64 exec, exec, s[16:17]
.LBB611_334:                            ;   in Loop: Header=BB611_215 Depth=1
	s_or_b64 exec, exec, s[14:15]
.LBB611_335:                            ;   in Loop: Header=BB611_215 Depth=1
	s_or_b64 exec, exec, s[12:13]
	s_waitcnt vmcnt(2)
	v_cmp_ne_u16_sdwa s[14:15], v42, v54 src0_sel:BYTE_0 src1_sel:DWORD
	s_and_saveexec_b64 s[12:13], s[14:15]
	s_cbranch_execz .LBB611_341
; %bb.336:                              ;   in Loop: Header=BB611_215 Depth=1
	v_cmp_ne_u16_sdwa s[16:17], v42, s9 src0_sel:BYTE_0 src1_sel:DWORD
	v_bfrev_b32_e32 v59, 1
	s_and_saveexec_b64 s[14:15], s[16:17]
	s_cbranch_execz .LBB611_340
; %bb.337:                              ;   in Loop: Header=BB611_215 Depth=1
	v_and_b32_e32 v44, 0x7f, v42
	v_cmp_ne_u32_e32 vcc, s19, v44
	v_mov_b32_e32 v59, 0x7f800001
	s_and_saveexec_b64 s[16:17], vcc
	s_cbranch_execz .LBB611_339
; %bb.338:                              ;   in Loop: Header=BB611_215 Depth=1
	v_and_b32_e32 v46, 7, v42
	v_ffbh_u32_e32 v61, v46
	v_min_u32_e32 v61, 32, v61
	v_subrev_u32_e32 v62, 28, v61
	v_lshlrev_b64 v[62:63], v62, v[42:43]
	v_lshrrev_b32_e32 v59, 3, v44
	v_sub_u32_e32 v61, 29, v61
	v_and_b32_e32 v62, 7, v62
	v_cmp_gt_u32_e32 vcc, 8, v44
	v_cndmask_b32_e32 v44, v59, v61, vcc
	v_cndmask_b32_e32 v46, v46, v62, vcc
	v_lshlrev_b32_e32 v59, 24, v42
	v_lshlrev_b32_e32 v46, 20, v46
	v_and_b32_e32 v59, 0x80000000, v59
	v_lshl_add_u32 v44, v44, 23, v55
	v_or3_b32 v59, v59, v44, v46
.LBB611_339:                            ;   in Loop: Header=BB611_215 Depth=1
	s_or_b64 exec, exec, s[16:17]
.LBB611_340:                            ;   in Loop: Header=BB611_215 Depth=1
	s_or_b64 exec, exec, s[14:15]
.LBB611_341:                            ;   in Loop: Header=BB611_215 Depth=1
	s_or_b64 exec, exec, s[12:13]
	v_lshrrev_b16_e32 v44, 8, v42
	v_cmp_ne_u16_e32 vcc, 0, v44
	v_mov_b32_e32 v61, 0
	v_mov_b32_e32 v62, 0
	s_and_saveexec_b64 s[12:13], vcc
	s_cbranch_execz .LBB611_347
; %bb.342:                              ;   in Loop: Header=BB611_215 Depth=1
	v_cmp_ne_u16_e32 vcc, s9, v44
	v_bfrev_b32_e32 v62, 1
	s_and_saveexec_b64 s[14:15], vcc
	s_cbranch_execz .LBB611_346
; %bb.343:                              ;   in Loop: Header=BB611_215 Depth=1
	v_and_b32_e32 v46, 0x7f, v44
	v_cmp_ne_u32_e32 vcc, s19, v46
	v_mov_b32_e32 v62, 0x7f800001
	s_and_saveexec_b64 s[16:17], vcc
	s_cbranch_execz .LBB611_345
; %bb.344:                              ;   in Loop: Header=BB611_215 Depth=1
	v_and_b32_e32 v64, 7, v44
	v_ffbh_u32_e32 v62, v64
	v_min_u32_e32 v66, 32, v62
	v_subrev_u32_e32 v62, 28, v66
	v_lshlrev_b64 v[62:63], v62, v[44:45]
	v_lshrrev_b32_e32 v65, 3, v46
	v_sub_u32_e32 v44, 29, v66
	v_and_b32_e32 v62, 7, v62
	v_cmp_gt_u32_e32 vcc, 8, v46
	v_cndmask_b32_e32 v44, v65, v44, vcc
	v_cndmask_b32_e32 v46, v64, v62, vcc
	v_lshlrev_b32_e32 v62, 16, v42
	v_lshlrev_b32_e32 v46, 20, v46
	v_and_b32_e32 v62, 0x80000000, v62
	v_lshl_add_u32 v44, v44, 23, v55
	v_or3_b32 v62, v62, v44, v46
.LBB611_345:                            ;   in Loop: Header=BB611_215 Depth=1
	s_or_b64 exec, exec, s[16:17]
.LBB611_346:                            ;   in Loop: Header=BB611_215 Depth=1
	s_or_b64 exec, exec, s[14:15]
.LBB611_347:                            ;   in Loop: Header=BB611_215 Depth=1
	s_or_b64 exec, exec, s[12:13]
	v_lshrrev_b32_e32 v44, 16, v42
	v_cmp_ne_u16_sdwa s[14:15], v44, v54 src0_sel:BYTE_0 src1_sel:DWORD
	s_and_saveexec_b64 s[12:13], s[14:15]
	s_cbranch_execz .LBB611_353
; %bb.348:                              ;   in Loop: Header=BB611_215 Depth=1
	v_cmp_ne_u16_sdwa s[16:17], v44, s9 src0_sel:BYTE_0 src1_sel:DWORD
	v_bfrev_b32_e32 v61, 1
	s_and_saveexec_b64 s[14:15], s[16:17]
	s_cbranch_execz .LBB611_352
; %bb.349:                              ;   in Loop: Header=BB611_215 Depth=1
	v_bfe_u32 v46, v42, 16, 7
	v_cmp_ne_u32_e32 vcc, s19, v46
	v_mov_b32_e32 v61, 0x7f800001
	s_and_saveexec_b64 s[16:17], vcc
	s_cbranch_execz .LBB611_351
; %bb.350:                              ;   in Loop: Header=BB611_215 Depth=1
	v_and_b32_e32 v61, 7, v44
	v_ffbh_u32_e32 v64, v61
	v_min_u32_e32 v66, 32, v64
	v_subrev_u32_e32 v64, 28, v66
	v_lshlrev_b64 v[64:65], v64, v[44:45]
	v_lshrrev_b32_e32 v63, 3, v46
	v_sub_u32_e32 v65, 29, v66
	v_and_b32_e32 v64, 7, v64
	v_cmp_gt_u32_e32 vcc, 8, v46
	v_cndmask_b32_e32 v46, v63, v65, vcc
	v_cndmask_b32_e32 v61, v61, v64, vcc
	v_lshlrev_b32_e32 v44, 24, v44
	v_lshlrev_b32_e32 v61, 20, v61
	v_and_b32_e32 v44, 0x80000000, v44
	v_lshl_add_u32 v46, v46, 23, v55
	v_or3_b32 v61, v44, v46, v61
.LBB611_351:                            ;   in Loop: Header=BB611_215 Depth=1
	s_or_b64 exec, exec, s[16:17]
.LBB611_352:                            ;   in Loop: Header=BB611_215 Depth=1
	s_or_b64 exec, exec, s[14:15]
.LBB611_353:                            ;   in Loop: Header=BB611_215 Depth=1
	s_or_b64 exec, exec, s[12:13]
	v_cmp_lt_u32_e32 vcc, s20, v42
	v_mov_b32_e32 v46, 0
	v_mov_b32_e32 v63, 0
	s_and_saveexec_b64 s[12:13], vcc
	s_cbranch_execz .LBB611_359
; %bb.354:                              ;   in Loop: Header=BB611_215 Depth=1
	v_lshrrev_b32_e32 v44, 24, v42
	v_cmp_ne_u32_e32 vcc, s9, v44
	v_bfrev_b32_e32 v63, 1
	s_and_saveexec_b64 s[14:15], vcc
	s_cbranch_execz .LBB611_358
; %bb.355:                              ;   in Loop: Header=BB611_215 Depth=1
	v_bfe_u32 v42, v42, 24, 7
	v_cmp_ne_u32_e32 vcc, s19, v42
	v_mov_b32_e32 v63, 0x7f800001
	s_and_saveexec_b64 s[16:17], vcc
	s_cbranch_execz .LBB611_357
; %bb.356:                              ;   in Loop: Header=BB611_215 Depth=1
	v_and_b32_e32 v63, 7, v44
	v_ffbh_u32_e32 v64, v63
	v_min_u32_e32 v67, 32, v64
	v_subrev_u32_e32 v64, 28, v67
	v_lshlrev_b64 v[64:65], v64, v[44:45]
	v_lshrrev_b32_e32 v66, 3, v42
	v_sub_u32_e32 v65, 29, v67
	v_and_b32_e32 v64, 7, v64
	v_cmp_gt_u32_e32 vcc, 8, v42
	v_cndmask_b32_e32 v42, v66, v65, vcc
	v_cndmask_b32_e32 v63, v63, v64, vcc
	v_lshlrev_b32_e32 v44, 24, v44
	v_lshlrev_b32_e32 v63, 20, v63
	v_and_b32_e32 v44, 0x80000000, v44
	v_lshl_add_u32 v42, v42, 23, v55
	v_or3_b32 v63, v44, v42, v63
.LBB611_357:                            ;   in Loop: Header=BB611_215 Depth=1
	s_or_b64 exec, exec, s[16:17]
.LBB611_358:                            ;   in Loop: Header=BB611_215 Depth=1
	s_or_b64 exec, exec, s[14:15]
.LBB611_359:                            ;   in Loop: Header=BB611_215 Depth=1
	s_or_b64 exec, exec, s[12:13]
	v_cvt_pkrtz_f16_f32 v56, v56, v58
	v_cvt_pkrtz_f16_f32 v57, v57, v60
	s_waitcnt vmcnt(1)
	v_cmp_ne_u16_sdwa s[14:15], v40, v54 src0_sel:BYTE_0 src1_sel:DWORD
	v_mfma_f32_16x16x16f16 v[34:37], v[56:57], v[10:11], v[34:37]
	v_cvt_pkrtz_f16_f32 v56, v59, v62
	v_cvt_pkrtz_f16_f32 v57, v61, v63
	s_nop 1
	v_mfma_f32_16x16x16f16 v[34:37], v[56:57], v[12:13], v[34:37]
	s_and_saveexec_b64 s[12:13], s[14:15]
	s_cbranch_execz .LBB611_365
; %bb.360:                              ;   in Loop: Header=BB611_215 Depth=1
	v_cmp_ne_u16_sdwa s[16:17], v40, s9 src0_sel:BYTE_0 src1_sel:DWORD
	v_bfrev_b32_e32 v46, 1
	s_and_saveexec_b64 s[14:15], s[16:17]
	s_cbranch_execz .LBB611_364
; %bb.361:                              ;   in Loop: Header=BB611_215 Depth=1
	v_and_b32_e32 v42, 0x7f, v40
	v_cmp_ne_u32_e32 vcc, s19, v42
	v_mov_b32_e32 v46, 0x7f800001
	s_and_saveexec_b64 s[16:17], vcc
	s_cbranch_execz .LBB611_363
; %bb.362:                              ;   in Loop: Header=BB611_215 Depth=1
	v_and_b32_e32 v44, 7, v40
	v_ffbh_u32_e32 v56, v44
	v_min_u32_e32 v58, 32, v56
	v_subrev_u32_e32 v56, 28, v58
	v_lshlrev_b64 v[56:57], v56, v[40:41]
	v_lshrrev_b32_e32 v46, 3, v42
	v_sub_u32_e32 v57, 29, v58
	v_and_b32_e32 v56, 7, v56
	v_cmp_gt_u32_e32 vcc, 8, v42
	v_cndmask_b32_e32 v42, v46, v57, vcc
	v_cndmask_b32_e32 v44, v44, v56, vcc
	v_lshlrev_b32_e32 v46, 24, v40
	v_lshlrev_b32_e32 v44, 20, v44
	v_and_b32_e32 v46, 0x80000000, v46
	v_lshl_add_u32 v42, v42, 23, v55
	v_or3_b32 v46, v46, v42, v44
.LBB611_363:                            ;   in Loop: Header=BB611_215 Depth=1
	s_or_b64 exec, exec, s[16:17]
.LBB611_364:                            ;   in Loop: Header=BB611_215 Depth=1
	s_or_b64 exec, exec, s[14:15]
.LBB611_365:                            ;   in Loop: Header=BB611_215 Depth=1
	s_or_b64 exec, exec, s[12:13]
	v_lshrrev_b16_e32 v42, 8, v40
	v_cmp_ne_u16_e32 vcc, 0, v42
	v_mov_b32_e32 v44, 0
	v_mov_b32_e32 v57, 0
	s_and_saveexec_b64 s[12:13], vcc
	s_cbranch_execz .LBB611_371
; %bb.366:                              ;   in Loop: Header=BB611_215 Depth=1
	v_cmp_ne_u16_e32 vcc, s9, v42
	v_bfrev_b32_e32 v57, 1
	s_and_saveexec_b64 s[14:15], vcc
	s_cbranch_execz .LBB611_370
; %bb.367:                              ;   in Loop: Header=BB611_215 Depth=1
	v_and_b32_e32 v56, 0x7f, v42
	v_cmp_ne_u32_e32 vcc, s19, v56
	v_mov_b32_e32 v57, 0x7f800001
	s_and_saveexec_b64 s[16:17], vcc
	s_cbranch_execz .LBB611_369
; %bb.368:                              ;   in Loop: Header=BB611_215 Depth=1
	v_and_b32_e32 v57, 7, v42
	v_ffbh_u32_e32 v58, v57
	v_min_u32_e32 v61, 32, v58
	v_subrev_u32_e32 v58, 28, v61
	v_lshlrev_b64 v[58:59], v58, v[42:43]
	v_lshrrev_b32_e32 v60, 3, v56
	v_sub_u32_e32 v42, 29, v61
	v_and_b32_e32 v58, 7, v58
	v_cmp_gt_u32_e32 vcc, 8, v56
	v_cndmask_b32_e32 v42, v60, v42, vcc
	v_cndmask_b32_e32 v56, v57, v58, vcc
	v_lshlrev_b32_e32 v57, 16, v40
	v_lshlrev_b32_e32 v56, 20, v56
	v_and_b32_e32 v57, 0x80000000, v57
	v_lshl_add_u32 v42, v42, 23, v55
	v_or3_b32 v57, v57, v42, v56
.LBB611_369:                            ;   in Loop: Header=BB611_215 Depth=1
	s_or_b64 exec, exec, s[16:17]
.LBB611_370:                            ;   in Loop: Header=BB611_215 Depth=1
	s_or_b64 exec, exec, s[14:15]
.LBB611_371:                            ;   in Loop: Header=BB611_215 Depth=1
	s_or_b64 exec, exec, s[12:13]
	v_lshrrev_b32_e32 v42, 16, v40
	v_cmp_ne_u16_sdwa s[14:15], v42, v54 src0_sel:BYTE_0 src1_sel:DWORD
	s_and_saveexec_b64 s[12:13], s[14:15]
	s_cbranch_execz .LBB611_377
; %bb.372:                              ;   in Loop: Header=BB611_215 Depth=1
	v_cmp_ne_u16_sdwa s[16:17], v42, s9 src0_sel:BYTE_0 src1_sel:DWORD
	v_bfrev_b32_e32 v44, 1
	s_and_saveexec_b64 s[14:15], s[16:17]
	s_cbranch_execz .LBB611_376
; %bb.373:                              ;   in Loop: Header=BB611_215 Depth=1
	v_bfe_u32 v56, v40, 16, 7
	v_cmp_ne_u32_e32 vcc, s19, v56
	v_mov_b32_e32 v44, 0x7f800001
	s_and_saveexec_b64 s[16:17], vcc
	s_cbranch_execz .LBB611_375
; %bb.374:                              ;   in Loop: Header=BB611_215 Depth=1
	v_and_b32_e32 v44, 7, v42
	v_ffbh_u32_e32 v58, v44
	v_min_u32_e32 v61, 32, v58
	v_subrev_u32_e32 v58, 28, v61
	v_lshlrev_b64 v[58:59], v58, v[42:43]
	v_lshrrev_b32_e32 v60, 3, v56
	v_sub_u32_e32 v59, 29, v61
	v_and_b32_e32 v58, 7, v58
	v_cmp_gt_u32_e32 vcc, 8, v56
	v_cndmask_b32_e32 v56, v60, v59, vcc
	v_cndmask_b32_e32 v44, v44, v58, vcc
	v_lshlrev_b32_e32 v42, 24, v42
	v_lshlrev_b32_e32 v44, 20, v44
	v_and_b32_e32 v42, 0x80000000, v42
	v_lshl_add_u32 v56, v56, 23, v55
	v_or3_b32 v44, v42, v56, v44
.LBB611_375:                            ;   in Loop: Header=BB611_215 Depth=1
	s_or_b64 exec, exec, s[16:17]
.LBB611_376:                            ;   in Loop: Header=BB611_215 Depth=1
	s_or_b64 exec, exec, s[14:15]
.LBB611_377:                            ;   in Loop: Header=BB611_215 Depth=1
	s_or_b64 exec, exec, s[12:13]
	v_cmp_lt_u32_e32 vcc, s20, v40
	v_mov_b32_e32 v58, 0
	v_mov_b32_e32 v59, 0
	s_and_saveexec_b64 s[12:13], vcc
	s_cbranch_execz .LBB611_383
; %bb.378:                              ;   in Loop: Header=BB611_215 Depth=1
	v_lshrrev_b32_e32 v42, 24, v40
	v_cmp_ne_u32_e32 vcc, s9, v42
	v_bfrev_b32_e32 v59, 1
	s_and_saveexec_b64 s[14:15], vcc
	s_cbranch_execz .LBB611_382
; %bb.379:                              ;   in Loop: Header=BB611_215 Depth=1
	v_bfe_u32 v40, v40, 24, 7
	v_cmp_ne_u32_e32 vcc, s19, v40
	v_mov_b32_e32 v59, 0x7f800001
	s_and_saveexec_b64 s[16:17], vcc
	s_cbranch_execz .LBB611_381
; %bb.380:                              ;   in Loop: Header=BB611_215 Depth=1
	v_and_b32_e32 v56, 7, v42
	v_ffbh_u32_e32 v60, v56
	v_min_u32_e32 v62, 32, v60
	v_subrev_u32_e32 v60, 28, v62
	v_lshlrev_b64 v[60:61], v60, v[42:43]
	v_lshrrev_b32_e32 v59, 3, v40
	v_sub_u32_e32 v61, 29, v62
	v_and_b32_e32 v60, 7, v60
	v_cmp_gt_u32_e32 vcc, 8, v40
	v_cndmask_b32_e32 v40, v59, v61, vcc
	v_cndmask_b32_e32 v56, v56, v60, vcc
	v_lshlrev_b32_e32 v42, 24, v42
	v_lshlrev_b32_e32 v56, 20, v56
	v_and_b32_e32 v42, 0x80000000, v42
	v_lshl_add_u32 v40, v40, 23, v55
	v_or3_b32 v59, v42, v40, v56
.LBB611_381:                            ;   in Loop: Header=BB611_215 Depth=1
	s_or_b64 exec, exec, s[16:17]
.LBB611_382:                            ;   in Loop: Header=BB611_215 Depth=1
	s_or_b64 exec, exec, s[14:15]
.LBB611_383:                            ;   in Loop: Header=BB611_215 Depth=1
	s_or_b64 exec, exec, s[12:13]
	s_waitcnt vmcnt(0)
	v_cmp_ne_u16_sdwa s[14:15], v38, v54 src0_sel:BYTE_0 src1_sel:DWORD
	s_and_saveexec_b64 s[12:13], s[14:15]
	s_cbranch_execz .LBB611_389
; %bb.384:                              ;   in Loop: Header=BB611_215 Depth=1
	v_cmp_ne_u16_sdwa s[16:17], v38, s9 src0_sel:BYTE_0 src1_sel:DWORD
	v_bfrev_b32_e32 v58, 1
	s_and_saveexec_b64 s[14:15], s[16:17]
	s_cbranch_execz .LBB611_388
; %bb.385:                              ;   in Loop: Header=BB611_215 Depth=1
	v_and_b32_e32 v40, 0x7f, v38
	v_cmp_ne_u32_e32 vcc, s19, v40
	v_mov_b32_e32 v58, 0x7f800001
	s_and_saveexec_b64 s[16:17], vcc
	s_cbranch_execz .LBB611_387
; %bb.386:                              ;   in Loop: Header=BB611_215 Depth=1
	v_and_b32_e32 v42, 7, v38
	v_ffbh_u32_e32 v58, v42
	v_min_u32_e32 v58, 32, v58
	v_subrev_u32_e32 v60, 28, v58
	v_lshlrev_b64 v[60:61], v60, v[38:39]
	v_lshrrev_b32_e32 v56, 3, v40
	v_sub_u32_e32 v58, 29, v58
	v_and_b32_e32 v60, 7, v60
	v_cmp_gt_u32_e32 vcc, 8, v40
	v_cndmask_b32_e32 v40, v56, v58, vcc
	v_cndmask_b32_e32 v42, v42, v60, vcc
	v_lshlrev_b32_e32 v56, 24, v38
	v_lshlrev_b32_e32 v42, 20, v42
	v_and_b32_e32 v56, 0x80000000, v56
	v_lshl_add_u32 v40, v40, 23, v55
	v_or3_b32 v58, v56, v40, v42
.LBB611_387:                            ;   in Loop: Header=BB611_215 Depth=1
	s_or_b64 exec, exec, s[16:17]
.LBB611_388:                            ;   in Loop: Header=BB611_215 Depth=1
	s_or_b64 exec, exec, s[14:15]
.LBB611_389:                            ;   in Loop: Header=BB611_215 Depth=1
	s_or_b64 exec, exec, s[12:13]
	v_lshrrev_b16_e32 v40, 8, v38
	v_cmp_ne_u16_e32 vcc, 0, v40
	v_mov_b32_e32 v60, 0
	v_mov_b32_e32 v61, 0
	s_and_saveexec_b64 s[12:13], vcc
	s_cbranch_execz .LBB611_395
; %bb.390:                              ;   in Loop: Header=BB611_215 Depth=1
	v_cmp_ne_u16_e32 vcc, s9, v40
	v_bfrev_b32_e32 v61, 1
	s_and_saveexec_b64 s[14:15], vcc
	s_cbranch_execz .LBB611_394
; %bb.391:                              ;   in Loop: Header=BB611_215 Depth=1
	v_and_b32_e32 v42, 0x7f, v40
	v_cmp_ne_u32_e32 vcc, s19, v42
	v_mov_b32_e32 v61, 0x7f800001
	s_and_saveexec_b64 s[16:17], vcc
	s_cbranch_execz .LBB611_393
; %bb.392:                              ;   in Loop: Header=BB611_215 Depth=1
	v_and_b32_e32 v56, 7, v40
	v_ffbh_u32_e32 v62, v56
	v_min_u32_e32 v64, 32, v62
	v_subrev_u32_e32 v62, 28, v64
	v_lshlrev_b64 v[62:63], v62, v[40:41]
	v_lshrrev_b32_e32 v61, 3, v42
	v_sub_u32_e32 v40, 29, v64
	v_and_b32_e32 v62, 7, v62
	v_cmp_gt_u32_e32 vcc, 8, v42
	v_cndmask_b32_e32 v40, v61, v40, vcc
	v_cndmask_b32_e32 v42, v56, v62, vcc
	v_lshlrev_b32_e32 v56, 16, v38
	v_lshlrev_b32_e32 v42, 20, v42
	v_and_b32_e32 v56, 0x80000000, v56
	v_lshl_add_u32 v40, v40, 23, v55
	v_or3_b32 v61, v56, v40, v42
.LBB611_393:                            ;   in Loop: Header=BB611_215 Depth=1
	s_or_b64 exec, exec, s[16:17]
.LBB611_394:                            ;   in Loop: Header=BB611_215 Depth=1
	s_or_b64 exec, exec, s[14:15]
.LBB611_395:                            ;   in Loop: Header=BB611_215 Depth=1
	s_or_b64 exec, exec, s[12:13]
	v_lshrrev_b32_e32 v40, 16, v38
	v_cmp_ne_u16_sdwa s[14:15], v40, v54 src0_sel:BYTE_0 src1_sel:DWORD
	s_and_saveexec_b64 s[12:13], s[14:15]
	s_cbranch_execz .LBB611_401
; %bb.396:                              ;   in Loop: Header=BB611_215 Depth=1
	v_cmp_ne_u16_sdwa s[16:17], v40, s9 src0_sel:BYTE_0 src1_sel:DWORD
	v_bfrev_b32_e32 v60, 1
	s_and_saveexec_b64 s[14:15], s[16:17]
	s_cbranch_execz .LBB611_400
; %bb.397:                              ;   in Loop: Header=BB611_215 Depth=1
	v_bfe_u32 v42, v38, 16, 7
	v_cmp_ne_u32_e32 vcc, s19, v42
	v_mov_b32_e32 v60, 0x7f800001
	s_and_saveexec_b64 s[16:17], vcc
	s_cbranch_execz .LBB611_399
; %bb.398:                              ;   in Loop: Header=BB611_215 Depth=1
	v_and_b32_e32 v56, 7, v40
	v_ffbh_u32_e32 v62, v56
	v_min_u32_e32 v64, 32, v62
	v_subrev_u32_e32 v62, 28, v64
	v_lshlrev_b64 v[62:63], v62, v[40:41]
	v_lshrrev_b32_e32 v60, 3, v42
	v_sub_u32_e32 v63, 29, v64
	v_and_b32_e32 v62, 7, v62
	v_cmp_gt_u32_e32 vcc, 8, v42
	v_cndmask_b32_e32 v42, v60, v63, vcc
	v_cndmask_b32_e32 v56, v56, v62, vcc
	v_lshlrev_b32_e32 v40, 24, v40
	v_lshlrev_b32_e32 v56, 20, v56
	v_and_b32_e32 v40, 0x80000000, v40
	v_lshl_add_u32 v42, v42, 23, v55
	v_or3_b32 v60, v40, v42, v56
.LBB611_399:                            ;   in Loop: Header=BB611_215 Depth=1
	s_or_b64 exec, exec, s[16:17]
.LBB611_400:                            ;   in Loop: Header=BB611_215 Depth=1
	s_or_b64 exec, exec, s[14:15]
.LBB611_401:                            ;   in Loop: Header=BB611_215 Depth=1
	s_or_b64 exec, exec, s[12:13]
	v_cmp_lt_u32_e32 vcc, s20, v38
	v_mov_b32_e32 v56, 0
	v_mov_b32_e32 v62, 0
	s_and_saveexec_b64 s[12:13], vcc
	s_cbranch_execz .LBB611_407
; %bb.402:                              ;   in Loop: Header=BB611_215 Depth=1
	v_lshrrev_b32_e32 v40, 24, v38
	v_cmp_ne_u32_e32 vcc, s9, v40
	v_bfrev_b32_e32 v62, 1
	s_and_saveexec_b64 s[14:15], vcc
	s_cbranch_execz .LBB611_406
; %bb.403:                              ;   in Loop: Header=BB611_215 Depth=1
	v_bfe_u32 v38, v38, 24, 7
	v_cmp_ne_u32_e32 vcc, s19, v38
	v_mov_b32_e32 v62, 0x7f800001
	s_and_saveexec_b64 s[16:17], vcc
	s_cbranch_execz .LBB611_405
; %bb.404:                              ;   in Loop: Header=BB611_215 Depth=1
	v_and_b32_e32 v42, 7, v40
	v_ffbh_u32_e32 v62, v42
	v_min_u32_e32 v65, 32, v62
	v_subrev_u32_e32 v62, 28, v65
	v_lshlrev_b64 v[62:63], v62, v[40:41]
	v_lshrrev_b32_e32 v64, 3, v38
	v_sub_u32_e32 v63, 29, v65
	v_and_b32_e32 v62, 7, v62
	v_cmp_gt_u32_e32 vcc, 8, v38
	v_cndmask_b32_e32 v38, v64, v63, vcc
	v_cndmask_b32_e32 v42, v42, v62, vcc
	v_lshlrev_b32_e32 v40, 24, v40
	v_lshlrev_b32_e32 v42, 20, v42
	v_and_b32_e32 v40, 0x80000000, v40
	v_lshl_add_u32 v38, v38, 23, v55
	v_or3_b32 v62, v40, v38, v42
.LBB611_405:                            ;   in Loop: Header=BB611_215 Depth=1
	s_or_b64 exec, exec, s[16:17]
.LBB611_406:                            ;   in Loop: Header=BB611_215 Depth=1
	s_or_b64 exec, exec, s[14:15]
.LBB611_407:                            ;   in Loop: Header=BB611_215 Depth=1
	s_or_b64 exec, exec, s[12:13]
	v_cvt_pkrtz_f16_f32 v65, v44, v59
	buffer_load_dword v44, v51, s[0:3], 0 offen
	buffer_load_dword v42, v51, s[0:3], 0 offen offset:4
	buffer_load_dword v40, v51, s[0:3], 0 offen offset:8
	;; [unrolled: 1-line block ×3, first 2 shown]
	v_cvt_pkrtz_f16_f32 v64, v46, v57
	v_cvt_pkrtz_f16_f32 v58, v58, v61
	;; [unrolled: 1-line block ×3, first 2 shown]
	v_mfma_f32_16x16x16f16 v[34:37], v[64:65], v[14:15], v[34:37]
	s_waitcnt vmcnt(3)
	v_cmp_ne_u16_sdwa s[14:15], v44, v54 src0_sel:BYTE_0 src1_sel:DWORD
	v_mfma_f32_16x16x16f16 v[34:37], v[58:59], v[16:17], v[34:37]
	s_and_saveexec_b64 s[12:13], s[14:15]
	s_cbranch_execz .LBB611_413
; %bb.408:                              ;   in Loop: Header=BB611_215 Depth=1
	v_cmp_ne_u16_sdwa s[16:17], v44, s9 src0_sel:BYTE_0 src1_sel:DWORD
	v_bfrev_b32_e32 v56, 1
	s_and_saveexec_b64 s[14:15], s[16:17]
	s_cbranch_execz .LBB611_412
; %bb.409:                              ;   in Loop: Header=BB611_215 Depth=1
	v_and_b32_e32 v46, 0x7f, v44
	v_cmp_ne_u32_e32 vcc, s19, v46
	v_mov_b32_e32 v56, 0x7f800001
	s_and_saveexec_b64 s[16:17], vcc
	s_cbranch_execz .LBB611_411
; %bb.410:                              ;   in Loop: Header=BB611_215 Depth=1
	v_and_b32_e32 v51, 7, v44
	v_ffbh_u32_e32 v56, v51
	v_min_u32_e32 v59, 32, v56
	v_subrev_u32_e32 v56, 28, v59
	v_lshlrev_b64 v[56:57], v56, v[44:45]
	v_lshrrev_b32_e32 v58, 3, v46
	v_sub_u32_e32 v57, 29, v59
	v_and_b32_e32 v56, 7, v56
	v_cmp_gt_u32_e32 vcc, 8, v46
	v_cndmask_b32_e32 v46, v58, v57, vcc
	v_cndmask_b32_e32 v51, v51, v56, vcc
	v_lshlrev_b32_e32 v56, 24, v44
	v_lshlrev_b32_e32 v51, 20, v51
	v_and_b32_e32 v56, 0x80000000, v56
	v_lshl_add_u32 v46, v46, 23, v55
	v_or3_b32 v56, v56, v46, v51
.LBB611_411:                            ;   in Loop: Header=BB611_215 Depth=1
	s_or_b64 exec, exec, s[16:17]
.LBB611_412:                            ;   in Loop: Header=BB611_215 Depth=1
	s_or_b64 exec, exec, s[14:15]
.LBB611_413:                            ;   in Loop: Header=BB611_215 Depth=1
	s_or_b64 exec, exec, s[12:13]
	v_lshrrev_b16_e32 v46, 8, v44
	v_cmp_ne_u16_e32 vcc, 0, v46
	v_mov_b32_e32 v51, 0
	v_mov_b32_e32 v57, 0
	s_and_saveexec_b64 s[12:13], vcc
	s_cbranch_execz .LBB611_419
; %bb.414:                              ;   in Loop: Header=BB611_215 Depth=1
	v_cmp_ne_u16_e32 vcc, s9, v46
	v_bfrev_b32_e32 v57, 1
	s_and_saveexec_b64 s[14:15], vcc
	s_cbranch_execz .LBB611_418
; %bb.415:                              ;   in Loop: Header=BB611_215 Depth=1
	v_and_b32_e32 v58, 0x7f, v46
	v_cmp_ne_u32_e32 vcc, s19, v58
	v_mov_b32_e32 v57, 0x7f800001
	s_and_saveexec_b64 s[16:17], vcc
	s_cbranch_execz .LBB611_417
; %bb.416:                              ;   in Loop: Header=BB611_215 Depth=1
	v_and_b32_e32 v57, 7, v46
	v_ffbh_u32_e32 v60, v57
	v_min_u32_e32 v62, 32, v60
	v_subrev_u32_e32 v60, 28, v62
	v_lshlrev_b64 v[60:61], v60, v[46:47]
	v_lshrrev_b32_e32 v59, 3, v58
	v_sub_u32_e32 v46, 29, v62
	v_and_b32_e32 v60, 7, v60
	v_cmp_gt_u32_e32 vcc, 8, v58
	v_cndmask_b32_e32 v46, v59, v46, vcc
	v_cndmask_b32_e32 v57, v57, v60, vcc
	v_lshlrev_b32_e32 v58, 16, v44
	v_lshlrev_b32_e32 v57, 20, v57
	v_and_b32_e32 v58, 0x80000000, v58
	v_lshl_add_u32 v46, v46, 23, v55
	v_or3_b32 v57, v58, v46, v57
.LBB611_417:                            ;   in Loop: Header=BB611_215 Depth=1
	s_or_b64 exec, exec, s[16:17]
.LBB611_418:                            ;   in Loop: Header=BB611_215 Depth=1
	s_or_b64 exec, exec, s[14:15]
.LBB611_419:                            ;   in Loop: Header=BB611_215 Depth=1
	s_or_b64 exec, exec, s[12:13]
	v_lshrrev_b32_e32 v46, 16, v44
	v_cmp_ne_u16_sdwa s[14:15], v46, v54 src0_sel:BYTE_0 src1_sel:DWORD
	s_and_saveexec_b64 s[12:13], s[14:15]
	s_cbranch_execz .LBB611_425
; %bb.420:                              ;   in Loop: Header=BB611_215 Depth=1
	v_cmp_ne_u16_sdwa s[16:17], v46, s9 src0_sel:BYTE_0 src1_sel:DWORD
	v_bfrev_b32_e32 v51, 1
	s_and_saveexec_b64 s[14:15], s[16:17]
	s_cbranch_execz .LBB611_424
; %bb.421:                              ;   in Loop: Header=BB611_215 Depth=1
	v_bfe_u32 v58, v44, 16, 7
	v_cmp_ne_u32_e32 vcc, s19, v58
	v_mov_b32_e32 v51, 0x7f800001
	s_and_saveexec_b64 s[16:17], vcc
	s_cbranch_execz .LBB611_423
; %bb.422:                              ;   in Loop: Header=BB611_215 Depth=1
	v_and_b32_e32 v51, 7, v46
	v_ffbh_u32_e32 v60, v51
	v_min_u32_e32 v62, 32, v60
	v_subrev_u32_e32 v60, 28, v62
	v_lshlrev_b64 v[60:61], v60, v[46:47]
	v_lshrrev_b32_e32 v59, 3, v58
	v_sub_u32_e32 v61, 29, v62
	v_and_b32_e32 v60, 7, v60
	v_cmp_gt_u32_e32 vcc, 8, v58
	v_cndmask_b32_e32 v58, v59, v61, vcc
	v_cndmask_b32_e32 v51, v51, v60, vcc
	v_lshlrev_b32_e32 v46, 24, v46
	v_lshlrev_b32_e32 v51, 20, v51
	v_and_b32_e32 v46, 0x80000000, v46
	v_lshl_add_u32 v58, v58, 23, v55
	v_or3_b32 v51, v46, v58, v51
.LBB611_423:                            ;   in Loop: Header=BB611_215 Depth=1
	s_or_b64 exec, exec, s[16:17]
.LBB611_424:                            ;   in Loop: Header=BB611_215 Depth=1
	s_or_b64 exec, exec, s[14:15]
.LBB611_425:                            ;   in Loop: Header=BB611_215 Depth=1
	s_or_b64 exec, exec, s[12:13]
	v_cmp_lt_u32_e32 vcc, s20, v44
	v_mov_b32_e32 v58, 0
	v_mov_b32_e32 v59, 0
	s_and_saveexec_b64 s[12:13], vcc
	s_cbranch_execz .LBB611_431
; %bb.426:                              ;   in Loop: Header=BB611_215 Depth=1
	v_lshrrev_b32_e32 v46, 24, v44
	v_cmp_ne_u32_e32 vcc, s9, v46
	v_bfrev_b32_e32 v59, 1
	s_and_saveexec_b64 s[14:15], vcc
	s_cbranch_execz .LBB611_430
; %bb.427:                              ;   in Loop: Header=BB611_215 Depth=1
	v_bfe_u32 v44, v44, 24, 7
	v_cmp_ne_u32_e32 vcc, s19, v44
	v_mov_b32_e32 v59, 0x7f800001
	s_and_saveexec_b64 s[16:17], vcc
	s_cbranch_execz .LBB611_429
; %bb.428:                              ;   in Loop: Header=BB611_215 Depth=1
	v_and_b32_e32 v59, 7, v46
	v_ffbh_u32_e32 v60, v59
	v_min_u32_e32 v63, 32, v60
	v_subrev_u32_e32 v60, 28, v63
	v_lshlrev_b64 v[60:61], v60, v[46:47]
	v_lshrrev_b32_e32 v62, 3, v44
	v_sub_u32_e32 v61, 29, v63
	v_and_b32_e32 v60, 7, v60
	v_cmp_gt_u32_e32 vcc, 8, v44
	v_cndmask_b32_e32 v44, v62, v61, vcc
	v_cndmask_b32_e32 v59, v59, v60, vcc
	v_lshlrev_b32_e32 v46, 24, v46
	v_lshlrev_b32_e32 v59, 20, v59
	v_and_b32_e32 v46, 0x80000000, v46
	v_lshl_add_u32 v44, v44, 23, v55
	v_or3_b32 v59, v46, v44, v59
.LBB611_429:                            ;   in Loop: Header=BB611_215 Depth=1
	s_or_b64 exec, exec, s[16:17]
.LBB611_430:                            ;   in Loop: Header=BB611_215 Depth=1
	s_or_b64 exec, exec, s[14:15]
.LBB611_431:                            ;   in Loop: Header=BB611_215 Depth=1
	s_or_b64 exec, exec, s[12:13]
	s_waitcnt vmcnt(2)
	v_cmp_ne_u16_sdwa s[14:15], v42, v54 src0_sel:BYTE_0 src1_sel:DWORD
	s_and_saveexec_b64 s[12:13], s[14:15]
	s_cbranch_execz .LBB611_437
; %bb.432:                              ;   in Loop: Header=BB611_215 Depth=1
	v_cmp_ne_u16_sdwa s[16:17], v42, s9 src0_sel:BYTE_0 src1_sel:DWORD
	v_bfrev_b32_e32 v58, 1
	s_and_saveexec_b64 s[14:15], s[16:17]
	s_cbranch_execz .LBB611_436
; %bb.433:                              ;   in Loop: Header=BB611_215 Depth=1
	v_and_b32_e32 v44, 0x7f, v42
	v_cmp_ne_u32_e32 vcc, s19, v44
	v_mov_b32_e32 v58, 0x7f800001
	s_and_saveexec_b64 s[16:17], vcc
	s_cbranch_execz .LBB611_435
; %bb.434:                              ;   in Loop: Header=BB611_215 Depth=1
	v_and_b32_e32 v46, 7, v42
	v_ffbh_u32_e32 v60, v46
	v_min_u32_e32 v62, 32, v60
	v_subrev_u32_e32 v60, 28, v62
	v_lshlrev_b64 v[60:61], v60, v[42:43]
	v_lshrrev_b32_e32 v58, 3, v44
	v_sub_u32_e32 v61, 29, v62
	v_and_b32_e32 v60, 7, v60
	v_cmp_gt_u32_e32 vcc, 8, v44
	v_cndmask_b32_e32 v44, v58, v61, vcc
	v_cndmask_b32_e32 v46, v46, v60, vcc
	v_lshlrev_b32_e32 v58, 24, v42
	v_lshlrev_b32_e32 v46, 20, v46
	v_and_b32_e32 v58, 0x80000000, v58
	v_lshl_add_u32 v44, v44, 23, v55
	v_or3_b32 v58, v58, v44, v46
.LBB611_435:                            ;   in Loop: Header=BB611_215 Depth=1
	s_or_b64 exec, exec, s[16:17]
.LBB611_436:                            ;   in Loop: Header=BB611_215 Depth=1
	s_or_b64 exec, exec, s[14:15]
.LBB611_437:                            ;   in Loop: Header=BB611_215 Depth=1
	s_or_b64 exec, exec, s[12:13]
	v_lshrrev_b16_e32 v44, 8, v42
	v_cmp_ne_u16_e32 vcc, 0, v44
	v_mov_b32_e32 v60, 0
	v_mov_b32_e32 v61, 0
	s_and_saveexec_b64 s[12:13], vcc
	s_cbranch_execz .LBB611_443
; %bb.438:                              ;   in Loop: Header=BB611_215 Depth=1
	v_cmp_ne_u16_e32 vcc, s9, v44
	v_bfrev_b32_e32 v61, 1
	s_and_saveexec_b64 s[14:15], vcc
	s_cbranch_execz .LBB611_442
; %bb.439:                              ;   in Loop: Header=BB611_215 Depth=1
	v_and_b32_e32 v46, 0x7f, v44
	v_cmp_ne_u32_e32 vcc, s19, v46
	v_mov_b32_e32 v61, 0x7f800001
	s_and_saveexec_b64 s[16:17], vcc
	s_cbranch_execz .LBB611_441
; %bb.440:                              ;   in Loop: Header=BB611_215 Depth=1
	v_and_b32_e32 v61, 7, v44
	v_ffbh_u32_e32 v62, v61
	v_min_u32_e32 v65, 32, v62
	v_subrev_u32_e32 v62, 28, v65
	v_lshlrev_b64 v[62:63], v62, v[44:45]
	v_lshrrev_b32_e32 v64, 3, v46
	v_sub_u32_e32 v44, 29, v65
	v_and_b32_e32 v62, 7, v62
	v_cmp_gt_u32_e32 vcc, 8, v46
	v_cndmask_b32_e32 v44, v64, v44, vcc
	v_cndmask_b32_e32 v46, v61, v62, vcc
	v_lshlrev_b32_e32 v61, 16, v42
	v_lshlrev_b32_e32 v46, 20, v46
	v_and_b32_e32 v61, 0x80000000, v61
	v_lshl_add_u32 v44, v44, 23, v55
	v_or3_b32 v61, v61, v44, v46
.LBB611_441:                            ;   in Loop: Header=BB611_215 Depth=1
	s_or_b64 exec, exec, s[16:17]
.LBB611_442:                            ;   in Loop: Header=BB611_215 Depth=1
	s_or_b64 exec, exec, s[14:15]
.LBB611_443:                            ;   in Loop: Header=BB611_215 Depth=1
	s_or_b64 exec, exec, s[12:13]
	v_lshrrev_b32_e32 v44, 16, v42
	v_cmp_ne_u16_sdwa s[14:15], v44, v54 src0_sel:BYTE_0 src1_sel:DWORD
	s_and_saveexec_b64 s[12:13], s[14:15]
	s_cbranch_execz .LBB611_449
; %bb.444:                              ;   in Loop: Header=BB611_215 Depth=1
	v_cmp_ne_u16_sdwa s[16:17], v44, s9 src0_sel:BYTE_0 src1_sel:DWORD
	v_bfrev_b32_e32 v60, 1
	s_and_saveexec_b64 s[14:15], s[16:17]
	s_cbranch_execz .LBB611_448
; %bb.445:                              ;   in Loop: Header=BB611_215 Depth=1
	v_bfe_u32 v46, v42, 16, 7
	v_cmp_ne_u32_e32 vcc, s19, v46
	v_mov_b32_e32 v60, 0x7f800001
	s_and_saveexec_b64 s[16:17], vcc
	s_cbranch_execz .LBB611_447
; %bb.446:                              ;   in Loop: Header=BB611_215 Depth=1
	v_and_b32_e32 v60, 7, v44
	v_ffbh_u32_e32 v62, v60
	v_min_u32_e32 v65, 32, v62
	v_subrev_u32_e32 v62, 28, v65
	v_lshlrev_b64 v[62:63], v62, v[44:45]
	v_lshrrev_b32_e32 v64, 3, v46
	v_sub_u32_e32 v63, 29, v65
	v_and_b32_e32 v62, 7, v62
	v_cmp_gt_u32_e32 vcc, 8, v46
	v_cndmask_b32_e32 v46, v64, v63, vcc
	v_cndmask_b32_e32 v60, v60, v62, vcc
	v_lshlrev_b32_e32 v44, 24, v44
	v_lshlrev_b32_e32 v60, 20, v60
	v_and_b32_e32 v44, 0x80000000, v44
	v_lshl_add_u32 v46, v46, 23, v55
	v_or3_b32 v60, v44, v46, v60
.LBB611_447:                            ;   in Loop: Header=BB611_215 Depth=1
	s_or_b64 exec, exec, s[16:17]
.LBB611_448:                            ;   in Loop: Header=BB611_215 Depth=1
	s_or_b64 exec, exec, s[14:15]
.LBB611_449:                            ;   in Loop: Header=BB611_215 Depth=1
	s_or_b64 exec, exec, s[12:13]
	v_cmp_lt_u32_e32 vcc, s20, v42
	v_mov_b32_e32 v46, 0
	v_mov_b32_e32 v62, 0
	s_and_saveexec_b64 s[12:13], vcc
	s_cbranch_execz .LBB611_455
; %bb.450:                              ;   in Loop: Header=BB611_215 Depth=1
	v_lshrrev_b32_e32 v44, 24, v42
	v_cmp_ne_u32_e32 vcc, s9, v44
	v_bfrev_b32_e32 v62, 1
	s_and_saveexec_b64 s[14:15], vcc
	s_cbranch_execz .LBB611_454
; %bb.451:                              ;   in Loop: Header=BB611_215 Depth=1
	v_bfe_u32 v42, v42, 24, 7
	v_cmp_ne_u32_e32 vcc, s19, v42
	v_mov_b32_e32 v62, 0x7f800001
	s_and_saveexec_b64 s[16:17], vcc
	s_cbranch_execz .LBB611_453
; %bb.452:                              ;   in Loop: Header=BB611_215 Depth=1
	v_and_b32_e32 v64, 7, v44
	v_ffbh_u32_e32 v62, v64
	v_min_u32_e32 v66, 32, v62
	v_subrev_u32_e32 v62, 28, v66
	v_lshlrev_b64 v[62:63], v62, v[44:45]
	v_lshrrev_b32_e32 v65, 3, v42
	v_sub_u32_e32 v63, 29, v66
	v_and_b32_e32 v62, 7, v62
	v_cmp_gt_u32_e32 vcc, 8, v42
	v_cndmask_b32_e32 v42, v65, v63, vcc
	v_cndmask_b32_e32 v62, v64, v62, vcc
	v_lshlrev_b32_e32 v44, 24, v44
	v_lshlrev_b32_e32 v62, 20, v62
	v_and_b32_e32 v44, 0x80000000, v44
	v_lshl_add_u32 v42, v42, 23, v55
	v_or3_b32 v62, v44, v42, v62
.LBB611_453:                            ;   in Loop: Header=BB611_215 Depth=1
	s_or_b64 exec, exec, s[16:17]
.LBB611_454:                            ;   in Loop: Header=BB611_215 Depth=1
	s_or_b64 exec, exec, s[14:15]
.LBB611_455:                            ;   in Loop: Header=BB611_215 Depth=1
	s_or_b64 exec, exec, s[12:13]
	v_cvt_pkrtz_f16_f32 v56, v56, v57
	v_cvt_pkrtz_f16_f32 v57, v51, v59
	s_waitcnt vmcnt(1)
	v_cmp_ne_u16_sdwa s[14:15], v40, v54 src0_sel:BYTE_0 src1_sel:DWORD
	v_mfma_f32_16x16x16f16 v[34:37], v[56:57], v[18:19], v[34:37]
	v_cvt_pkrtz_f16_f32 v56, v58, v61
	v_cvt_pkrtz_f16_f32 v57, v60, v62
	s_nop 1
	v_mfma_f32_16x16x16f16 v[34:37], v[56:57], v[20:21], v[34:37]
	s_and_saveexec_b64 s[12:13], s[14:15]
	s_cbranch_execz .LBB611_461
; %bb.456:                              ;   in Loop: Header=BB611_215 Depth=1
	v_cmp_ne_u16_sdwa s[16:17], v40, s9 src0_sel:BYTE_0 src1_sel:DWORD
	v_bfrev_b32_e32 v46, 1
	s_and_saveexec_b64 s[14:15], s[16:17]
	s_cbranch_execz .LBB611_460
; %bb.457:                              ;   in Loop: Header=BB611_215 Depth=1
	v_and_b32_e32 v42, 0x7f, v40
	v_cmp_ne_u32_e32 vcc, s19, v42
	v_mov_b32_e32 v46, 0x7f800001
	s_and_saveexec_b64 s[16:17], vcc
	s_cbranch_execz .LBB611_459
; %bb.458:                              ;   in Loop: Header=BB611_215 Depth=1
	v_and_b32_e32 v44, 7, v40
	v_ffbh_u32_e32 v51, v44
	v_min_u32_e32 v51, 32, v51
	v_subrev_u32_e32 v56, 28, v51
	v_lshlrev_b64 v[56:57], v56, v[40:41]
	v_lshrrev_b32_e32 v46, 3, v42
	v_sub_u32_e32 v51, 29, v51
	v_and_b32_e32 v56, 7, v56
	v_cmp_gt_u32_e32 vcc, 8, v42
	v_cndmask_b32_e32 v42, v46, v51, vcc
	v_cndmask_b32_e32 v44, v44, v56, vcc
	v_lshlrev_b32_e32 v46, 24, v40
	v_lshlrev_b32_e32 v44, 20, v44
	v_and_b32_e32 v46, 0x80000000, v46
	v_lshl_add_u32 v42, v42, 23, v55
	v_or3_b32 v46, v46, v42, v44
.LBB611_459:                            ;   in Loop: Header=BB611_215 Depth=1
	s_or_b64 exec, exec, s[16:17]
.LBB611_460:                            ;   in Loop: Header=BB611_215 Depth=1
	s_or_b64 exec, exec, s[14:15]
.LBB611_461:                            ;   in Loop: Header=BB611_215 Depth=1
	s_or_b64 exec, exec, s[12:13]
	v_lshrrev_b16_e32 v42, 8, v40
	v_cmp_ne_u16_e32 vcc, 0, v42
	v_mov_b32_e32 v44, 0
	v_mov_b32_e32 v56, 0
	s_and_saveexec_b64 s[12:13], vcc
	s_cbranch_execz .LBB611_467
; %bb.462:                              ;   in Loop: Header=BB611_215 Depth=1
	v_cmp_ne_u16_e32 vcc, s9, v42
	v_bfrev_b32_e32 v56, 1
	s_and_saveexec_b64 s[14:15], vcc
	s_cbranch_execz .LBB611_466
; %bb.463:                              ;   in Loop: Header=BB611_215 Depth=1
	v_and_b32_e32 v51, 0x7f, v42
	v_cmp_ne_u32_e32 vcc, s19, v51
	v_mov_b32_e32 v56, 0x7f800001
	s_and_saveexec_b64 s[16:17], vcc
	s_cbranch_execz .LBB611_465
; %bb.464:                              ;   in Loop: Header=BB611_215 Depth=1
	v_and_b32_e32 v58, 7, v42
	v_ffbh_u32_e32 v56, v58
	v_min_u32_e32 v60, 32, v56
	v_subrev_u32_e32 v56, 28, v60
	v_lshlrev_b64 v[56:57], v56, v[42:43]
	v_lshrrev_b32_e32 v59, 3, v51
	v_sub_u32_e32 v42, 29, v60
	v_and_b32_e32 v56, 7, v56
	v_cmp_gt_u32_e32 vcc, 8, v51
	v_cndmask_b32_e32 v42, v59, v42, vcc
	v_cndmask_b32_e32 v51, v58, v56, vcc
	v_lshlrev_b32_e32 v56, 16, v40
	v_lshlrev_b32_e32 v51, 20, v51
	v_and_b32_e32 v56, 0x80000000, v56
	v_lshl_add_u32 v42, v42, 23, v55
	v_or3_b32 v56, v56, v42, v51
.LBB611_465:                            ;   in Loop: Header=BB611_215 Depth=1
	s_or_b64 exec, exec, s[16:17]
.LBB611_466:                            ;   in Loop: Header=BB611_215 Depth=1
	s_or_b64 exec, exec, s[14:15]
.LBB611_467:                            ;   in Loop: Header=BB611_215 Depth=1
	s_or_b64 exec, exec, s[12:13]
	v_lshrrev_b32_e32 v42, 16, v40
	v_cmp_ne_u16_sdwa s[14:15], v42, v54 src0_sel:BYTE_0 src1_sel:DWORD
	s_and_saveexec_b64 s[12:13], s[14:15]
	s_cbranch_execz .LBB611_473
; %bb.468:                              ;   in Loop: Header=BB611_215 Depth=1
	v_cmp_ne_u16_sdwa s[16:17], v42, s9 src0_sel:BYTE_0 src1_sel:DWORD
	v_bfrev_b32_e32 v44, 1
	s_and_saveexec_b64 s[14:15], s[16:17]
	s_cbranch_execz .LBB611_472
; %bb.469:                              ;   in Loop: Header=BB611_215 Depth=1
	v_bfe_u32 v51, v40, 16, 7
	v_cmp_ne_u32_e32 vcc, s19, v51
	v_mov_b32_e32 v44, 0x7f800001
	s_and_saveexec_b64 s[16:17], vcc
	s_cbranch_execz .LBB611_471
; %bb.470:                              ;   in Loop: Header=BB611_215 Depth=1
	v_and_b32_e32 v44, 7, v42
	v_ffbh_u32_e32 v58, v44
	v_min_u32_e32 v60, 32, v58
	v_subrev_u32_e32 v58, 28, v60
	v_lshlrev_b64 v[58:59], v58, v[42:43]
	v_lshrrev_b32_e32 v57, 3, v51
	v_sub_u32_e32 v59, 29, v60
	v_and_b32_e32 v58, 7, v58
	v_cmp_gt_u32_e32 vcc, 8, v51
	v_cndmask_b32_e32 v51, v57, v59, vcc
	v_cndmask_b32_e32 v44, v44, v58, vcc
	v_lshlrev_b32_e32 v42, 24, v42
	v_lshlrev_b32_e32 v44, 20, v44
	v_and_b32_e32 v42, 0x80000000, v42
	v_lshl_add_u32 v51, v51, 23, v55
	v_or3_b32 v44, v42, v51, v44
.LBB611_471:                            ;   in Loop: Header=BB611_215 Depth=1
	s_or_b64 exec, exec, s[16:17]
.LBB611_472:                            ;   in Loop: Header=BB611_215 Depth=1
	s_or_b64 exec, exec, s[14:15]
.LBB611_473:                            ;   in Loop: Header=BB611_215 Depth=1
	s_or_b64 exec, exec, s[12:13]
	v_cmp_lt_u32_e32 vcc, s20, v40
	v_mov_b32_e32 v57, 0
	v_mov_b32_e32 v58, 0
	s_and_saveexec_b64 s[12:13], vcc
	s_cbranch_execz .LBB611_479
; %bb.474:                              ;   in Loop: Header=BB611_215 Depth=1
	v_lshrrev_b32_e32 v42, 24, v40
	v_cmp_ne_u32_e32 vcc, s9, v42
	v_bfrev_b32_e32 v58, 1
	s_and_saveexec_b64 s[14:15], vcc
	s_cbranch_execz .LBB611_478
; %bb.475:                              ;   in Loop: Header=BB611_215 Depth=1
	v_bfe_u32 v40, v40, 24, 7
	v_cmp_ne_u32_e32 vcc, s19, v40
	v_mov_b32_e32 v58, 0x7f800001
	s_and_saveexec_b64 s[16:17], vcc
	s_cbranch_execz .LBB611_477
; %bb.476:                              ;   in Loop: Header=BB611_215 Depth=1
	v_and_b32_e32 v51, 7, v42
	v_ffbh_u32_e32 v58, v51
	v_min_u32_e32 v61, 32, v58
	v_subrev_u32_e32 v58, 28, v61
	v_lshlrev_b64 v[58:59], v58, v[42:43]
	v_lshrrev_b32_e32 v60, 3, v40
	v_sub_u32_e32 v59, 29, v61
	v_and_b32_e32 v58, 7, v58
	v_cmp_gt_u32_e32 vcc, 8, v40
	v_cndmask_b32_e32 v40, v60, v59, vcc
	v_cndmask_b32_e32 v51, v51, v58, vcc
	v_lshlrev_b32_e32 v42, 24, v42
	v_lshlrev_b32_e32 v51, 20, v51
	v_and_b32_e32 v42, 0x80000000, v42
	v_lshl_add_u32 v40, v40, 23, v55
	v_or3_b32 v58, v42, v40, v51
.LBB611_477:                            ;   in Loop: Header=BB611_215 Depth=1
	s_or_b64 exec, exec, s[16:17]
.LBB611_478:                            ;   in Loop: Header=BB611_215 Depth=1
	s_or_b64 exec, exec, s[14:15]
.LBB611_479:                            ;   in Loop: Header=BB611_215 Depth=1
	s_or_b64 exec, exec, s[12:13]
	s_waitcnt vmcnt(0)
	v_cmp_ne_u16_sdwa s[14:15], v38, v54 src0_sel:BYTE_0 src1_sel:DWORD
	s_and_saveexec_b64 s[12:13], s[14:15]
	s_cbranch_execz .LBB611_485
; %bb.480:                              ;   in Loop: Header=BB611_215 Depth=1
	v_cmp_ne_u16_sdwa s[16:17], v38, s9 src0_sel:BYTE_0 src1_sel:DWORD
	v_bfrev_b32_e32 v57, 1
	s_and_saveexec_b64 s[14:15], s[16:17]
	s_cbranch_execz .LBB611_484
; %bb.481:                              ;   in Loop: Header=BB611_215 Depth=1
	v_and_b32_e32 v40, 0x7f, v38
	v_cmp_ne_u32_e32 vcc, s19, v40
	v_mov_b32_e32 v57, 0x7f800001
	s_and_saveexec_b64 s[16:17], vcc
	s_cbranch_execz .LBB611_483
; %bb.482:                              ;   in Loop: Header=BB611_215 Depth=1
	v_and_b32_e32 v42, 7, v38
	v_ffbh_u32_e32 v57, v42
	v_min_u32_e32 v57, 32, v57
	v_subrev_u32_e32 v59, 28, v57
	v_lshlrev_b64 v[60:61], v59, v[38:39]
	v_lshrrev_b32_e32 v51, 3, v40
	v_sub_u32_e32 v57, 29, v57
	v_and_b32_e32 v59, 7, v60
	v_cmp_gt_u32_e32 vcc, 8, v40
	v_cndmask_b32_e32 v40, v51, v57, vcc
	v_cndmask_b32_e32 v42, v42, v59, vcc
	v_lshlrev_b32_e32 v51, 24, v38
	v_lshlrev_b32_e32 v42, 20, v42
	v_and_b32_e32 v51, 0x80000000, v51
	v_lshl_add_u32 v40, v40, 23, v55
	v_or3_b32 v57, v51, v40, v42
.LBB611_483:                            ;   in Loop: Header=BB611_215 Depth=1
	s_or_b64 exec, exec, s[16:17]
.LBB611_484:                            ;   in Loop: Header=BB611_215 Depth=1
	s_or_b64 exec, exec, s[14:15]
.LBB611_485:                            ;   in Loop: Header=BB611_215 Depth=1
	s_or_b64 exec, exec, s[12:13]
	v_lshrrev_b16_e32 v40, 8, v38
	v_cmp_ne_u16_e32 vcc, 0, v40
	v_mov_b32_e32 v59, 0
	v_mov_b32_e32 v60, 0
	s_and_saveexec_b64 s[12:13], vcc
	s_cbranch_execz .LBB611_491
; %bb.486:                              ;   in Loop: Header=BB611_215 Depth=1
	v_cmp_ne_u16_e32 vcc, s9, v40
	v_bfrev_b32_e32 v60, 1
	s_and_saveexec_b64 s[14:15], vcc
	s_cbranch_execz .LBB611_490
; %bb.487:                              ;   in Loop: Header=BB611_215 Depth=1
	v_and_b32_e32 v42, 0x7f, v40
	v_cmp_ne_u32_e32 vcc, s19, v42
	v_mov_b32_e32 v60, 0x7f800001
	s_and_saveexec_b64 s[16:17], vcc
	s_cbranch_execz .LBB611_489
; %bb.488:                              ;   in Loop: Header=BB611_215 Depth=1
	v_and_b32_e32 v51, 7, v40
	v_ffbh_u32_e32 v60, v51
	v_min_u32_e32 v63, 32, v60
	v_subrev_u32_e32 v60, 28, v63
	v_lshlrev_b64 v[60:61], v60, v[40:41]
	v_lshrrev_b32_e32 v62, 3, v42
	v_sub_u32_e32 v40, 29, v63
	v_and_b32_e32 v60, 7, v60
	v_cmp_gt_u32_e32 vcc, 8, v42
	v_cndmask_b32_e32 v40, v62, v40, vcc
	v_cndmask_b32_e32 v42, v51, v60, vcc
	v_lshlrev_b32_e32 v51, 16, v38
	v_lshlrev_b32_e32 v42, 20, v42
	v_and_b32_e32 v51, 0x80000000, v51
	v_lshl_add_u32 v40, v40, 23, v55
	v_or3_b32 v60, v51, v40, v42
.LBB611_489:                            ;   in Loop: Header=BB611_215 Depth=1
	s_or_b64 exec, exec, s[16:17]
.LBB611_490:                            ;   in Loop: Header=BB611_215 Depth=1
	s_or_b64 exec, exec, s[14:15]
.LBB611_491:                            ;   in Loop: Header=BB611_215 Depth=1
	s_or_b64 exec, exec, s[12:13]
	v_lshrrev_b32_e32 v40, 16, v38
	v_cmp_ne_u16_sdwa s[14:15], v40, v54 src0_sel:BYTE_0 src1_sel:DWORD
	s_and_saveexec_b64 s[12:13], s[14:15]
	s_cbranch_execz .LBB611_497
; %bb.492:                              ;   in Loop: Header=BB611_215 Depth=1
	v_cmp_ne_u16_sdwa s[16:17], v40, s9 src0_sel:BYTE_0 src1_sel:DWORD
	v_bfrev_b32_e32 v59, 1
	s_and_saveexec_b64 s[14:15], s[16:17]
	s_cbranch_execz .LBB611_496
; %bb.493:                              ;   in Loop: Header=BB611_215 Depth=1
	v_bfe_u32 v42, v38, 16, 7
	v_cmp_ne_u32_e32 vcc, s19, v42
	v_mov_b32_e32 v59, 0x7f800001
	s_and_saveexec_b64 s[16:17], vcc
	s_cbranch_execz .LBB611_495
; %bb.494:                              ;   in Loop: Header=BB611_215 Depth=1
	v_and_b32_e32 v51, 7, v40
	v_ffbh_u32_e32 v61, v51
	v_min_u32_e32 v61, 32, v61
	v_subrev_u32_e32 v62, 28, v61
	v_lshlrev_b64 v[62:63], v62, v[40:41]
	v_lshrrev_b32_e32 v59, 3, v42
	v_sub_u32_e32 v61, 29, v61
	v_and_b32_e32 v62, 7, v62
	v_cmp_gt_u32_e32 vcc, 8, v42
	v_cndmask_b32_e32 v42, v59, v61, vcc
	v_cndmask_b32_e32 v51, v51, v62, vcc
	v_lshlrev_b32_e32 v40, 24, v40
	v_lshlrev_b32_e32 v51, 20, v51
	v_and_b32_e32 v40, 0x80000000, v40
	v_lshl_add_u32 v42, v42, 23, v55
	v_or3_b32 v59, v40, v42, v51
.LBB611_495:                            ;   in Loop: Header=BB611_215 Depth=1
	s_or_b64 exec, exec, s[16:17]
.LBB611_496:                            ;   in Loop: Header=BB611_215 Depth=1
	s_or_b64 exec, exec, s[14:15]
.LBB611_497:                            ;   in Loop: Header=BB611_215 Depth=1
	s_or_b64 exec, exec, s[12:13]
	v_cmp_lt_u32_e32 vcc, s20, v38
	v_mov_b32_e32 v51, 0
	v_mov_b32_e32 v61, 0
	s_and_saveexec_b64 s[12:13], vcc
	s_cbranch_execz .LBB611_503
; %bb.498:                              ;   in Loop: Header=BB611_215 Depth=1
	v_lshrrev_b32_e32 v40, 24, v38
	v_cmp_ne_u32_e32 vcc, s9, v40
	v_bfrev_b32_e32 v61, 1
	s_and_saveexec_b64 s[14:15], vcc
	s_cbranch_execz .LBB611_502
; %bb.499:                              ;   in Loop: Header=BB611_215 Depth=1
	v_bfe_u32 v38, v38, 24, 7
	v_cmp_ne_u32_e32 vcc, s19, v38
	v_mov_b32_e32 v61, 0x7f800001
	s_and_saveexec_b64 s[16:17], vcc
	s_cbranch_execz .LBB611_501
; %bb.500:                              ;   in Loop: Header=BB611_215 Depth=1
	v_and_b32_e32 v42, 7, v40
	v_ffbh_u32_e32 v62, v42
	v_min_u32_e32 v64, 32, v62
	v_subrev_u32_e32 v62, 28, v64
	v_lshlrev_b64 v[62:63], v62, v[40:41]
	v_lshrrev_b32_e32 v61, 3, v38
	v_sub_u32_e32 v63, 29, v64
	v_and_b32_e32 v62, 7, v62
	v_cmp_gt_u32_e32 vcc, 8, v38
	v_cndmask_b32_e32 v38, v61, v63, vcc
	v_cndmask_b32_e32 v42, v42, v62, vcc
	v_lshlrev_b32_e32 v40, 24, v40
	v_lshlrev_b32_e32 v42, 20, v42
	v_and_b32_e32 v40, 0x80000000, v40
	v_lshl_add_u32 v38, v38, 23, v55
	v_or3_b32 v61, v40, v38, v42
.LBB611_501:                            ;   in Loop: Header=BB611_215 Depth=1
	s_or_b64 exec, exec, s[16:17]
.LBB611_502:                            ;   in Loop: Header=BB611_215 Depth=1
	s_or_b64 exec, exec, s[14:15]
.LBB611_503:                            ;   in Loop: Header=BB611_215 Depth=1
	s_or_b64 exec, exec, s[12:13]
	v_cvt_pkrtz_f16_f32 v63, v44, v58
	buffer_load_dword v44, v50, s[0:3], 0 offen
	buffer_load_dword v42, v50, s[0:3], 0 offen offset:4
	buffer_load_dword v40, v50, s[0:3], 0 offen offset:8
	;; [unrolled: 1-line block ×3, first 2 shown]
	v_cvt_pkrtz_f16_f32 v62, v46, v56
	v_cvt_pkrtz_f16_f32 v56, v57, v60
	v_cvt_pkrtz_f16_f32 v57, v59, v61
	v_mfma_f32_16x16x16f16 v[34:37], v[62:63], v[22:23], v[34:37]
	s_waitcnt vmcnt(3)
	v_cmp_ne_u16_sdwa s[14:15], v44, v54 src0_sel:BYTE_0 src1_sel:DWORD
	v_mfma_f32_16x16x16f16 v[34:37], v[56:57], v[24:25], v[34:37]
	s_and_saveexec_b64 s[12:13], s[14:15]
	s_cbranch_execz .LBB611_509
; %bb.504:                              ;   in Loop: Header=BB611_215 Depth=1
	v_cmp_ne_u16_sdwa s[16:17], v44, s9 src0_sel:BYTE_0 src1_sel:DWORD
	v_bfrev_b32_e32 v51, 1
	s_and_saveexec_b64 s[14:15], s[16:17]
	s_cbranch_execz .LBB611_508
; %bb.505:                              ;   in Loop: Header=BB611_215 Depth=1
	v_and_b32_e32 v46, 0x7f, v44
	v_cmp_ne_u32_e32 vcc, s19, v46
	v_mov_b32_e32 v51, 0x7f800001
	s_and_saveexec_b64 s[16:17], vcc
	s_cbranch_execz .LBB611_507
; %bb.506:                              ;   in Loop: Header=BB611_215 Depth=1
	v_and_b32_e32 v56, 7, v44
	v_ffbh_u32_e32 v50, v56
	v_min_u32_e32 v58, 32, v50
	v_subrev_u32_e32 v50, 28, v58
	v_lshlrev_b64 v[50:51], v50, v[44:45]
	v_lshrrev_b32_e32 v57, 3, v46
	v_sub_u32_e32 v51, 29, v58
	v_and_b32_e32 v50, 7, v50
	v_cmp_gt_u32_e32 vcc, 8, v46
	v_cndmask_b32_e32 v46, v57, v51, vcc
	v_cndmask_b32_e32 v50, v56, v50, vcc
	v_lshlrev_b32_e32 v51, 24, v44
	v_lshlrev_b32_e32 v50, 20, v50
	v_and_b32_e32 v51, 0x80000000, v51
	v_lshl_add_u32 v46, v46, 23, v55
	v_or3_b32 v51, v51, v46, v50
.LBB611_507:                            ;   in Loop: Header=BB611_215 Depth=1
	s_or_b64 exec, exec, s[16:17]
.LBB611_508:                            ;   in Loop: Header=BB611_215 Depth=1
	s_or_b64 exec, exec, s[14:15]
.LBB611_509:                            ;   in Loop: Header=BB611_215 Depth=1
	s_or_b64 exec, exec, s[12:13]
	v_lshrrev_b16_e32 v46, 8, v44
	v_cmp_ne_u16_e32 vcc, 0, v46
	v_mov_b32_e32 v50, 0
	v_mov_b32_e32 v56, 0
	s_and_saveexec_b64 s[12:13], vcc
	s_cbranch_execz .LBB611_515
; %bb.510:                              ;   in Loop: Header=BB611_215 Depth=1
	v_cmp_ne_u16_e32 vcc, s9, v46
	v_bfrev_b32_e32 v56, 1
	s_and_saveexec_b64 s[14:15], vcc
	s_cbranch_execz .LBB611_514
; %bb.511:                              ;   in Loop: Header=BB611_215 Depth=1
	v_and_b32_e32 v57, 0x7f, v46
	v_cmp_ne_u32_e32 vcc, s19, v57
	v_mov_b32_e32 v56, 0x7f800001
	s_and_saveexec_b64 s[16:17], vcc
	s_cbranch_execz .LBB611_513
; %bb.512:                              ;   in Loop: Header=BB611_215 Depth=1
	v_and_b32_e32 v56, 7, v46
	v_ffbh_u32_e32 v58, v56
	v_min_u32_e32 v61, 32, v58
	v_subrev_u32_e32 v58, 28, v61
	v_lshlrev_b64 v[58:59], v58, v[46:47]
	v_lshrrev_b32_e32 v60, 3, v57
	v_sub_u32_e32 v46, 29, v61
	v_and_b32_e32 v58, 7, v58
	v_cmp_gt_u32_e32 vcc, 8, v57
	v_cndmask_b32_e32 v46, v60, v46, vcc
	v_cndmask_b32_e32 v56, v56, v58, vcc
	v_lshlrev_b32_e32 v57, 16, v44
	v_lshlrev_b32_e32 v56, 20, v56
	v_and_b32_e32 v57, 0x80000000, v57
	v_lshl_add_u32 v46, v46, 23, v55
	v_or3_b32 v56, v57, v46, v56
.LBB611_513:                            ;   in Loop: Header=BB611_215 Depth=1
	s_or_b64 exec, exec, s[16:17]
.LBB611_514:                            ;   in Loop: Header=BB611_215 Depth=1
	s_or_b64 exec, exec, s[14:15]
.LBB611_515:                            ;   in Loop: Header=BB611_215 Depth=1
	s_or_b64 exec, exec, s[12:13]
	v_lshrrev_b32_e32 v46, 16, v44
	v_cmp_ne_u16_sdwa s[14:15], v46, v54 src0_sel:BYTE_0 src1_sel:DWORD
	s_and_saveexec_b64 s[12:13], s[14:15]
	s_cbranch_execz .LBB611_521
; %bb.516:                              ;   in Loop: Header=BB611_215 Depth=1
	v_cmp_ne_u16_sdwa s[16:17], v46, s9 src0_sel:BYTE_0 src1_sel:DWORD
	v_bfrev_b32_e32 v50, 1
	s_and_saveexec_b64 s[14:15], s[16:17]
	s_cbranch_execz .LBB611_520
; %bb.517:                              ;   in Loop: Header=BB611_215 Depth=1
	v_bfe_u32 v57, v44, 16, 7
	v_cmp_ne_u32_e32 vcc, s19, v57
	v_mov_b32_e32 v50, 0x7f800001
	s_and_saveexec_b64 s[16:17], vcc
	s_cbranch_execz .LBB611_519
; %bb.518:                              ;   in Loop: Header=BB611_215 Depth=1
	v_and_b32_e32 v50, 7, v46
	v_ffbh_u32_e32 v58, v50
	v_min_u32_e32 v61, 32, v58
	v_subrev_u32_e32 v58, 28, v61
	v_lshlrev_b64 v[58:59], v58, v[46:47]
	v_lshrrev_b32_e32 v60, 3, v57
	v_sub_u32_e32 v59, 29, v61
	v_and_b32_e32 v58, 7, v58
	v_cmp_gt_u32_e32 vcc, 8, v57
	v_cndmask_b32_e32 v57, v60, v59, vcc
	v_cndmask_b32_e32 v50, v50, v58, vcc
	v_lshlrev_b32_e32 v46, 24, v46
	v_lshlrev_b32_e32 v50, 20, v50
	v_and_b32_e32 v46, 0x80000000, v46
	v_lshl_add_u32 v57, v57, 23, v55
	v_or3_b32 v50, v46, v57, v50
.LBB611_519:                            ;   in Loop: Header=BB611_215 Depth=1
	s_or_b64 exec, exec, s[16:17]
.LBB611_520:                            ;   in Loop: Header=BB611_215 Depth=1
	s_or_b64 exec, exec, s[14:15]
.LBB611_521:                            ;   in Loop: Header=BB611_215 Depth=1
	s_or_b64 exec, exec, s[12:13]
	v_cmp_lt_u32_e32 vcc, s20, v44
	v_mov_b32_e32 v57, 0
	v_mov_b32_e32 v58, 0
	s_and_saveexec_b64 s[12:13], vcc
	s_cbranch_execz .LBB611_527
; %bb.522:                              ;   in Loop: Header=BB611_215 Depth=1
	v_lshrrev_b32_e32 v46, 24, v44
	v_cmp_ne_u32_e32 vcc, s9, v46
	v_bfrev_b32_e32 v58, 1
	s_and_saveexec_b64 s[14:15], vcc
	s_cbranch_execz .LBB611_526
; %bb.523:                              ;   in Loop: Header=BB611_215 Depth=1
	v_bfe_u32 v44, v44, 24, 7
	v_cmp_ne_u32_e32 vcc, s19, v44
	v_mov_b32_e32 v58, 0x7f800001
	s_and_saveexec_b64 s[16:17], vcc
	s_cbranch_execz .LBB611_525
; %bb.524:                              ;   in Loop: Header=BB611_215 Depth=1
	v_and_b32_e32 v60, 7, v46
	v_ffbh_u32_e32 v58, v60
	v_min_u32_e32 v62, 32, v58
	v_subrev_u32_e32 v58, 28, v62
	v_lshlrev_b64 v[58:59], v58, v[46:47]
	v_lshrrev_b32_e32 v61, 3, v44
	v_sub_u32_e32 v59, 29, v62
	v_and_b32_e32 v58, 7, v58
	v_cmp_gt_u32_e32 vcc, 8, v44
	v_cndmask_b32_e32 v44, v61, v59, vcc
	v_cndmask_b32_e32 v58, v60, v58, vcc
	v_lshlrev_b32_e32 v46, 24, v46
	v_lshlrev_b32_e32 v58, 20, v58
	v_and_b32_e32 v46, 0x80000000, v46
	v_lshl_add_u32 v44, v44, 23, v55
	v_or3_b32 v58, v46, v44, v58
.LBB611_525:                            ;   in Loop: Header=BB611_215 Depth=1
	s_or_b64 exec, exec, s[16:17]
.LBB611_526:                            ;   in Loop: Header=BB611_215 Depth=1
	s_or_b64 exec, exec, s[14:15]
.LBB611_527:                            ;   in Loop: Header=BB611_215 Depth=1
	s_or_b64 exec, exec, s[12:13]
	s_waitcnt vmcnt(2)
	v_cmp_ne_u16_sdwa s[14:15], v42, v54 src0_sel:BYTE_0 src1_sel:DWORD
	s_and_saveexec_b64 s[12:13], s[14:15]
	s_cbranch_execz .LBB611_533
; %bb.528:                              ;   in Loop: Header=BB611_215 Depth=1
	v_cmp_ne_u16_sdwa s[16:17], v42, s9 src0_sel:BYTE_0 src1_sel:DWORD
	v_bfrev_b32_e32 v57, 1
	s_and_saveexec_b64 s[14:15], s[16:17]
	s_cbranch_execz .LBB611_532
; %bb.529:                              ;   in Loop: Header=BB611_215 Depth=1
	v_and_b32_e32 v44, 0x7f, v42
	v_cmp_ne_u32_e32 vcc, s19, v44
	v_mov_b32_e32 v57, 0x7f800001
	s_and_saveexec_b64 s[16:17], vcc
	s_cbranch_execz .LBB611_531
; %bb.530:                              ;   in Loop: Header=BB611_215 Depth=1
	v_and_b32_e32 v46, 7, v42
	v_ffbh_u32_e32 v59, v46
	v_min_u32_e32 v59, 32, v59
	v_subrev_u32_e32 v60, 28, v59
	v_lshlrev_b64 v[60:61], v60, v[42:43]
	v_lshrrev_b32_e32 v57, 3, v44
	v_sub_u32_e32 v59, 29, v59
	v_and_b32_e32 v60, 7, v60
	v_cmp_gt_u32_e32 vcc, 8, v44
	v_cndmask_b32_e32 v44, v57, v59, vcc
	v_cndmask_b32_e32 v46, v46, v60, vcc
	v_lshlrev_b32_e32 v57, 24, v42
	v_lshlrev_b32_e32 v46, 20, v46
	v_and_b32_e32 v57, 0x80000000, v57
	v_lshl_add_u32 v44, v44, 23, v55
	v_or3_b32 v57, v57, v44, v46
.LBB611_531:                            ;   in Loop: Header=BB611_215 Depth=1
	s_or_b64 exec, exec, s[16:17]
.LBB611_532:                            ;   in Loop: Header=BB611_215 Depth=1
	s_or_b64 exec, exec, s[14:15]
.LBB611_533:                            ;   in Loop: Header=BB611_215 Depth=1
	s_or_b64 exec, exec, s[12:13]
	v_lshrrev_b16_e32 v44, 8, v42
	v_cmp_ne_u16_e32 vcc, 0, v44
	v_mov_b32_e32 v59, 0
	v_mov_b32_e32 v60, 0
	s_and_saveexec_b64 s[12:13], vcc
	s_cbranch_execz .LBB611_539
; %bb.534:                              ;   in Loop: Header=BB611_215 Depth=1
	v_cmp_ne_u16_e32 vcc, s9, v44
	v_bfrev_b32_e32 v60, 1
	s_and_saveexec_b64 s[14:15], vcc
	s_cbranch_execz .LBB611_538
; %bb.535:                              ;   in Loop: Header=BB611_215 Depth=1
	v_and_b32_e32 v46, 0x7f, v44
	v_cmp_ne_u32_e32 vcc, s19, v46
	v_mov_b32_e32 v60, 0x7f800001
	s_and_saveexec_b64 s[16:17], vcc
	s_cbranch_execz .LBB611_537
; %bb.536:                              ;   in Loop: Header=BB611_215 Depth=1
	v_and_b32_e32 v62, 7, v44
	v_ffbh_u32_e32 v60, v62
	v_min_u32_e32 v64, 32, v60
	v_subrev_u32_e32 v60, 28, v64
	v_lshlrev_b64 v[60:61], v60, v[44:45]
	v_lshrrev_b32_e32 v63, 3, v46
	v_sub_u32_e32 v44, 29, v64
	v_and_b32_e32 v60, 7, v60
	v_cmp_gt_u32_e32 vcc, 8, v46
	v_cndmask_b32_e32 v44, v63, v44, vcc
	v_cndmask_b32_e32 v46, v62, v60, vcc
	v_lshlrev_b32_e32 v60, 16, v42
	v_lshlrev_b32_e32 v46, 20, v46
	v_and_b32_e32 v60, 0x80000000, v60
	v_lshl_add_u32 v44, v44, 23, v55
	v_or3_b32 v60, v60, v44, v46
.LBB611_537:                            ;   in Loop: Header=BB611_215 Depth=1
	s_or_b64 exec, exec, s[16:17]
.LBB611_538:                            ;   in Loop: Header=BB611_215 Depth=1
	s_or_b64 exec, exec, s[14:15]
.LBB611_539:                            ;   in Loop: Header=BB611_215 Depth=1
	s_or_b64 exec, exec, s[12:13]
	v_lshrrev_b32_e32 v44, 16, v42
	v_cmp_ne_u16_sdwa s[14:15], v44, v54 src0_sel:BYTE_0 src1_sel:DWORD
	s_and_saveexec_b64 s[12:13], s[14:15]
	s_cbranch_execz .LBB611_545
; %bb.540:                              ;   in Loop: Header=BB611_215 Depth=1
	v_cmp_ne_u16_sdwa s[16:17], v44, s9 src0_sel:BYTE_0 src1_sel:DWORD
	v_bfrev_b32_e32 v59, 1
	s_and_saveexec_b64 s[14:15], s[16:17]
	s_cbranch_execz .LBB611_544
; %bb.541:                              ;   in Loop: Header=BB611_215 Depth=1
	v_bfe_u32 v46, v42, 16, 7
	v_cmp_ne_u32_e32 vcc, s19, v46
	v_mov_b32_e32 v59, 0x7f800001
	s_and_saveexec_b64 s[16:17], vcc
	s_cbranch_execz .LBB611_543
; %bb.542:                              ;   in Loop: Header=BB611_215 Depth=1
	v_and_b32_e32 v59, 7, v44
	v_ffbh_u32_e32 v62, v59
	v_min_u32_e32 v64, 32, v62
	v_subrev_u32_e32 v62, 28, v64
	v_lshlrev_b64 v[62:63], v62, v[44:45]
	v_lshrrev_b32_e32 v61, 3, v46
	v_sub_u32_e32 v63, 29, v64
	v_and_b32_e32 v62, 7, v62
	v_cmp_gt_u32_e32 vcc, 8, v46
	v_cndmask_b32_e32 v46, v61, v63, vcc
	v_cndmask_b32_e32 v59, v59, v62, vcc
	v_lshlrev_b32_e32 v44, 24, v44
	v_lshlrev_b32_e32 v59, 20, v59
	v_and_b32_e32 v44, 0x80000000, v44
	v_lshl_add_u32 v46, v46, 23, v55
	v_or3_b32 v59, v44, v46, v59
.LBB611_543:                            ;   in Loop: Header=BB611_215 Depth=1
	s_or_b64 exec, exec, s[16:17]
.LBB611_544:                            ;   in Loop: Header=BB611_215 Depth=1
	s_or_b64 exec, exec, s[14:15]
.LBB611_545:                            ;   in Loop: Header=BB611_215 Depth=1
	s_or_b64 exec, exec, s[12:13]
	v_cmp_lt_u32_e32 vcc, s20, v42
	v_mov_b32_e32 v46, 0
	v_mov_b32_e32 v61, 0
	s_and_saveexec_b64 s[12:13], vcc
	s_cbranch_execz .LBB611_551
; %bb.546:                              ;   in Loop: Header=BB611_215 Depth=1
	v_lshrrev_b32_e32 v44, 24, v42
	v_cmp_ne_u32_e32 vcc, s9, v44
	v_bfrev_b32_e32 v61, 1
	s_and_saveexec_b64 s[14:15], vcc
	s_cbranch_execz .LBB611_550
; %bb.547:                              ;   in Loop: Header=BB611_215 Depth=1
	v_bfe_u32 v42, v42, 24, 7
	v_cmp_ne_u32_e32 vcc, s19, v42
	v_mov_b32_e32 v61, 0x7f800001
	s_and_saveexec_b64 s[16:17], vcc
	s_cbranch_execz .LBB611_549
; %bb.548:                              ;   in Loop: Header=BB611_215 Depth=1
	v_and_b32_e32 v61, 7, v44
	v_ffbh_u32_e32 v62, v61
	v_min_u32_e32 v65, 32, v62
	v_subrev_u32_e32 v62, 28, v65
	v_lshlrev_b64 v[62:63], v62, v[44:45]
	v_lshrrev_b32_e32 v64, 3, v42
	v_sub_u32_e32 v63, 29, v65
	v_and_b32_e32 v62, 7, v62
	v_cmp_gt_u32_e32 vcc, 8, v42
	v_cndmask_b32_e32 v42, v64, v63, vcc
	v_cndmask_b32_e32 v61, v61, v62, vcc
	v_lshlrev_b32_e32 v44, 24, v44
	v_lshlrev_b32_e32 v61, 20, v61
	v_and_b32_e32 v44, 0x80000000, v44
	v_lshl_add_u32 v42, v42, 23, v55
	v_or3_b32 v61, v44, v42, v61
.LBB611_549:                            ;   in Loop: Header=BB611_215 Depth=1
	s_or_b64 exec, exec, s[16:17]
.LBB611_550:                            ;   in Loop: Header=BB611_215 Depth=1
	s_or_b64 exec, exec, s[14:15]
.LBB611_551:                            ;   in Loop: Header=BB611_215 Depth=1
	s_or_b64 exec, exec, s[12:13]
	v_cvt_pkrtz_f16_f32 v62, v51, v56
	v_cvt_pkrtz_f16_f32 v63, v50, v58
	;; [unrolled: 1-line block ×4, first 2 shown]
	s_waitcnt vmcnt(1)
	v_cmp_ne_u16_sdwa s[14:15], v40, v54 src0_sel:BYTE_0 src1_sel:DWORD
	v_mfma_f32_16x16x16f16 v[34:37], v[62:63], v[26:27], v[34:37]
	v_mfma_f32_16x16x16f16 v[34:37], v[50:51], v[28:29], v[34:37]
	s_and_saveexec_b64 s[12:13], s[14:15]
	s_cbranch_execz .LBB611_557
; %bb.552:                              ;   in Loop: Header=BB611_215 Depth=1
	v_cmp_ne_u16_sdwa s[16:17], v40, s9 src0_sel:BYTE_0 src1_sel:DWORD
	v_bfrev_b32_e32 v46, 1
	s_and_saveexec_b64 s[14:15], s[16:17]
	s_cbranch_execz .LBB611_556
; %bb.553:                              ;   in Loop: Header=BB611_215 Depth=1
	v_and_b32_e32 v42, 0x7f, v40
	v_cmp_ne_u32_e32 vcc, s19, v42
	v_mov_b32_e32 v46, 0x7f800001
	s_and_saveexec_b64 s[16:17], vcc
	s_cbranch_execz .LBB611_555
; %bb.554:                              ;   in Loop: Header=BB611_215 Depth=1
	v_and_b32_e32 v44, 7, v40
	v_ffbh_u32_e32 v50, v44
	v_min_u32_e32 v56, 32, v50
	v_subrev_u32_e32 v50, 28, v56
	v_lshlrev_b64 v[50:51], v50, v[40:41]
	v_lshrrev_b32_e32 v46, 3, v42
	v_sub_u32_e32 v51, 29, v56
	v_and_b32_e32 v50, 7, v50
	v_cmp_gt_u32_e32 vcc, 8, v42
	v_cndmask_b32_e32 v42, v46, v51, vcc
	v_cndmask_b32_e32 v44, v44, v50, vcc
	v_lshlrev_b32_e32 v46, 24, v40
	v_lshlrev_b32_e32 v44, 20, v44
	v_and_b32_e32 v46, 0x80000000, v46
	v_lshl_add_u32 v42, v42, 23, v55
	v_or3_b32 v46, v46, v42, v44
.LBB611_555:                            ;   in Loop: Header=BB611_215 Depth=1
	s_or_b64 exec, exec, s[16:17]
.LBB611_556:                            ;   in Loop: Header=BB611_215 Depth=1
	s_or_b64 exec, exec, s[14:15]
.LBB611_557:                            ;   in Loop: Header=BB611_215 Depth=1
	s_or_b64 exec, exec, s[12:13]
	v_lshrrev_b16_e32 v42, 8, v40
	v_cmp_ne_u16_e32 vcc, 0, v42
	v_mov_b32_e32 v44, 0
	v_mov_b32_e32 v50, 0
	s_and_saveexec_b64 s[12:13], vcc
	s_cbranch_execz .LBB611_563
; %bb.558:                              ;   in Loop: Header=BB611_215 Depth=1
	v_cmp_ne_u16_e32 vcc, s9, v42
	v_bfrev_b32_e32 v50, 1
	s_and_saveexec_b64 s[14:15], vcc
	s_cbranch_execz .LBB611_562
; %bb.559:                              ;   in Loop: Header=BB611_215 Depth=1
	v_and_b32_e32 v51, 0x7f, v42
	v_cmp_ne_u32_e32 vcc, s19, v51
	v_mov_b32_e32 v50, 0x7f800001
	s_and_saveexec_b64 s[16:17], vcc
	s_cbranch_execz .LBB611_561
; %bb.560:                              ;   in Loop: Header=BB611_215 Depth=1
	v_and_b32_e32 v50, 7, v42
	v_ffbh_u32_e32 v56, v50
	v_min_u32_e32 v59, 32, v56
	v_subrev_u32_e32 v56, 28, v59
	v_lshlrev_b64 v[56:57], v56, v[42:43]
	v_lshrrev_b32_e32 v58, 3, v51
	v_sub_u32_e32 v42, 29, v59
	v_and_b32_e32 v56, 7, v56
	v_cmp_gt_u32_e32 vcc, 8, v51
	v_cndmask_b32_e32 v42, v58, v42, vcc
	v_cndmask_b32_e32 v50, v50, v56, vcc
	v_lshlrev_b32_e32 v51, 16, v40
	v_lshlrev_b32_e32 v50, 20, v50
	v_and_b32_e32 v51, 0x80000000, v51
	v_lshl_add_u32 v42, v42, 23, v55
	v_or3_b32 v50, v51, v42, v50
.LBB611_561:                            ;   in Loop: Header=BB611_215 Depth=1
	s_or_b64 exec, exec, s[16:17]
.LBB611_562:                            ;   in Loop: Header=BB611_215 Depth=1
	s_or_b64 exec, exec, s[14:15]
.LBB611_563:                            ;   in Loop: Header=BB611_215 Depth=1
	s_or_b64 exec, exec, s[12:13]
	v_lshrrev_b32_e32 v42, 16, v40
	v_cmp_ne_u16_sdwa s[14:15], v42, v54 src0_sel:BYTE_0 src1_sel:DWORD
	s_and_saveexec_b64 s[12:13], s[14:15]
	s_cbranch_execz .LBB611_569
; %bb.564:                              ;   in Loop: Header=BB611_215 Depth=1
	v_cmp_ne_u16_sdwa s[16:17], v42, s9 src0_sel:BYTE_0 src1_sel:DWORD
	v_bfrev_b32_e32 v44, 1
	s_and_saveexec_b64 s[14:15], s[16:17]
	s_cbranch_execz .LBB611_568
; %bb.565:                              ;   in Loop: Header=BB611_215 Depth=1
	v_bfe_u32 v51, v40, 16, 7
	v_cmp_ne_u32_e32 vcc, s19, v51
	v_mov_b32_e32 v44, 0x7f800001
	s_and_saveexec_b64 s[16:17], vcc
	s_cbranch_execz .LBB611_567
; %bb.566:                              ;   in Loop: Header=BB611_215 Depth=1
	v_and_b32_e32 v44, 7, v42
	v_ffbh_u32_e32 v56, v44
	v_min_u32_e32 v59, 32, v56
	v_subrev_u32_e32 v56, 28, v59
	v_lshlrev_b64 v[56:57], v56, v[42:43]
	v_lshrrev_b32_e32 v58, 3, v51
	v_sub_u32_e32 v57, 29, v59
	v_and_b32_e32 v56, 7, v56
	v_cmp_gt_u32_e32 vcc, 8, v51
	v_cndmask_b32_e32 v51, v58, v57, vcc
	v_cndmask_b32_e32 v44, v44, v56, vcc
	v_lshlrev_b32_e32 v42, 24, v42
	v_lshlrev_b32_e32 v44, 20, v44
	v_and_b32_e32 v42, 0x80000000, v42
	v_lshl_add_u32 v51, v51, 23, v55
	v_or3_b32 v44, v42, v51, v44
.LBB611_567:                            ;   in Loop: Header=BB611_215 Depth=1
	s_or_b64 exec, exec, s[16:17]
.LBB611_568:                            ;   in Loop: Header=BB611_215 Depth=1
	s_or_b64 exec, exec, s[14:15]
.LBB611_569:                            ;   in Loop: Header=BB611_215 Depth=1
	s_or_b64 exec, exec, s[12:13]
	v_cmp_lt_u32_e32 vcc, s20, v40
	v_mov_b32_e32 v51, 0
	v_mov_b32_e32 v56, 0
	s_and_saveexec_b64 s[12:13], vcc
	s_cbranch_execz .LBB611_575
; %bb.570:                              ;   in Loop: Header=BB611_215 Depth=1
	v_lshrrev_b32_e32 v42, 24, v40
	v_cmp_ne_u32_e32 vcc, s9, v42
	v_bfrev_b32_e32 v56, 1
	s_and_saveexec_b64 s[14:15], vcc
	s_cbranch_execz .LBB611_574
; %bb.571:                              ;   in Loop: Header=BB611_215 Depth=1
	v_bfe_u32 v40, v40, 24, 7
	v_cmp_ne_u32_e32 vcc, s19, v40
	v_mov_b32_e32 v56, 0x7f800001
	s_and_saveexec_b64 s[16:17], vcc
	s_cbranch_execz .LBB611_573
; %bb.572:                              ;   in Loop: Header=BB611_215 Depth=1
	v_and_b32_e32 v58, 7, v42
	v_ffbh_u32_e32 v56, v58
	v_min_u32_e32 v60, 32, v56
	v_subrev_u32_e32 v56, 28, v60
	v_lshlrev_b64 v[56:57], v56, v[42:43]
	v_lshrrev_b32_e32 v59, 3, v40
	v_sub_u32_e32 v57, 29, v60
	v_and_b32_e32 v56, 7, v56
	v_cmp_gt_u32_e32 vcc, 8, v40
	v_cndmask_b32_e32 v40, v59, v57, vcc
	v_cndmask_b32_e32 v56, v58, v56, vcc
	v_lshlrev_b32_e32 v42, 24, v42
	v_lshlrev_b32_e32 v56, 20, v56
	v_and_b32_e32 v42, 0x80000000, v42
	v_lshl_add_u32 v40, v40, 23, v55
	v_or3_b32 v56, v42, v40, v56
.LBB611_573:                            ;   in Loop: Header=BB611_215 Depth=1
	s_or_b64 exec, exec, s[16:17]
.LBB611_574:                            ;   in Loop: Header=BB611_215 Depth=1
	s_or_b64 exec, exec, s[14:15]
.LBB611_575:                            ;   in Loop: Header=BB611_215 Depth=1
	s_or_b64 exec, exec, s[12:13]
	s_waitcnt vmcnt(0)
	v_cmp_ne_u16_sdwa s[14:15], v38, v54 src0_sel:BYTE_0 src1_sel:DWORD
	s_and_saveexec_b64 s[12:13], s[14:15]
	s_cbranch_execz .LBB611_581
; %bb.576:                              ;   in Loop: Header=BB611_215 Depth=1
	v_cmp_ne_u16_sdwa s[16:17], v38, s9 src0_sel:BYTE_0 src1_sel:DWORD
	v_bfrev_b32_e32 v51, 1
	s_and_saveexec_b64 s[14:15], s[16:17]
	s_cbranch_execz .LBB611_580
; %bb.577:                              ;   in Loop: Header=BB611_215 Depth=1
	v_and_b32_e32 v40, 0x7f, v38
	v_cmp_ne_u32_e32 vcc, s19, v40
	v_mov_b32_e32 v51, 0x7f800001
	s_and_saveexec_b64 s[16:17], vcc
	s_cbranch_execz .LBB611_579
; %bb.578:                              ;   in Loop: Header=BB611_215 Depth=1
	v_and_b32_e32 v42, 7, v38
	v_ffbh_u32_e32 v57, v42
	v_min_u32_e32 v57, 32, v57
	v_subrev_u32_e32 v58, 28, v57
	v_lshlrev_b64 v[58:59], v58, v[38:39]
	v_lshrrev_b32_e32 v51, 3, v40
	v_sub_u32_e32 v57, 29, v57
	v_and_b32_e32 v58, 7, v58
	v_cmp_gt_u32_e32 vcc, 8, v40
	v_cndmask_b32_e32 v40, v51, v57, vcc
	v_cndmask_b32_e32 v42, v42, v58, vcc
	v_lshlrev_b32_e32 v51, 24, v38
	v_lshlrev_b32_e32 v42, 20, v42
	v_and_b32_e32 v51, 0x80000000, v51
	v_lshl_add_u32 v40, v40, 23, v55
	v_or3_b32 v51, v51, v40, v42
.LBB611_579:                            ;   in Loop: Header=BB611_215 Depth=1
	s_or_b64 exec, exec, s[16:17]
.LBB611_580:                            ;   in Loop: Header=BB611_215 Depth=1
	s_or_b64 exec, exec, s[14:15]
.LBB611_581:                            ;   in Loop: Header=BB611_215 Depth=1
	s_or_b64 exec, exec, s[12:13]
	v_lshrrev_b16_e32 v40, 8, v38
	v_cmp_ne_u16_e32 vcc, 0, v40
	v_mov_b32_e32 v42, 0
	v_mov_b32_e32 v57, 0
	s_and_saveexec_b64 s[12:13], vcc
	s_cbranch_execz .LBB611_587
; %bb.582:                              ;   in Loop: Header=BB611_215 Depth=1
	v_cmp_ne_u16_e32 vcc, s9, v40
	v_bfrev_b32_e32 v57, 1
	s_and_saveexec_b64 s[14:15], vcc
	s_cbranch_execz .LBB611_586
; %bb.583:                              ;   in Loop: Header=BB611_215 Depth=1
	v_and_b32_e32 v58, 0x7f, v40
	v_cmp_ne_u32_e32 vcc, s19, v58
	v_mov_b32_e32 v57, 0x7f800001
	s_and_saveexec_b64 s[16:17], vcc
	s_cbranch_execz .LBB611_585
; %bb.584:                              ;   in Loop: Header=BB611_215 Depth=1
	v_and_b32_e32 v57, 7, v40
	v_ffbh_u32_e32 v60, v57
	v_min_u32_e32 v62, 32, v60
	v_subrev_u32_e32 v60, 28, v62
	v_lshlrev_b64 v[60:61], v60, v[40:41]
	v_lshrrev_b32_e32 v59, 3, v58
	v_sub_u32_e32 v40, 29, v62
	v_and_b32_e32 v60, 7, v60
	v_cmp_gt_u32_e32 vcc, 8, v58
	v_cndmask_b32_e32 v40, v59, v40, vcc
	v_cndmask_b32_e32 v57, v57, v60, vcc
	v_lshlrev_b32_e32 v58, 16, v38
	v_lshlrev_b32_e32 v57, 20, v57
	v_and_b32_e32 v58, 0x80000000, v58
	v_lshl_add_u32 v40, v40, 23, v55
	v_or3_b32 v57, v58, v40, v57
.LBB611_585:                            ;   in Loop: Header=BB611_215 Depth=1
	s_or_b64 exec, exec, s[16:17]
.LBB611_586:                            ;   in Loop: Header=BB611_215 Depth=1
	s_or_b64 exec, exec, s[14:15]
.LBB611_587:                            ;   in Loop: Header=BB611_215 Depth=1
	s_or_b64 exec, exec, s[12:13]
	v_lshrrev_b32_e32 v40, 16, v38
	v_cmp_ne_u16_sdwa s[14:15], v40, v54 src0_sel:BYTE_0 src1_sel:DWORD
	s_and_saveexec_b64 s[12:13], s[14:15]
	s_cbranch_execz .LBB611_593
; %bb.588:                              ;   in Loop: Header=BB611_215 Depth=1
	v_cmp_ne_u16_sdwa s[16:17], v40, s9 src0_sel:BYTE_0 src1_sel:DWORD
	v_bfrev_b32_e32 v42, 1
	s_and_saveexec_b64 s[14:15], s[16:17]
	s_cbranch_execz .LBB611_592
; %bb.589:                              ;   in Loop: Header=BB611_215 Depth=1
	v_bfe_u32 v58, v38, 16, 7
	v_cmp_ne_u32_e32 vcc, s19, v58
	v_mov_b32_e32 v42, 0x7f800001
	s_and_saveexec_b64 s[16:17], vcc
	s_cbranch_execz .LBB611_591
; %bb.590:                              ;   in Loop: Header=BB611_215 Depth=1
	v_and_b32_e32 v42, 7, v40
	v_ffbh_u32_e32 v60, v42
	v_min_u32_e32 v62, 32, v60
	v_subrev_u32_e32 v60, 28, v62
	v_lshlrev_b64 v[60:61], v60, v[40:41]
	v_lshrrev_b32_e32 v59, 3, v58
	v_sub_u32_e32 v61, 29, v62
	v_and_b32_e32 v60, 7, v60
	v_cmp_gt_u32_e32 vcc, 8, v58
	v_cndmask_b32_e32 v58, v59, v61, vcc
	v_cndmask_b32_e32 v42, v42, v60, vcc
	v_lshlrev_b32_e32 v40, 24, v40
	v_lshlrev_b32_e32 v42, 20, v42
	v_and_b32_e32 v40, 0x80000000, v40
	v_lshl_add_u32 v58, v58, 23, v55
	v_or3_b32 v42, v40, v58, v42
.LBB611_591:                            ;   in Loop: Header=BB611_215 Depth=1
	s_or_b64 exec, exec, s[16:17]
.LBB611_592:                            ;   in Loop: Header=BB611_215 Depth=1
	s_or_b64 exec, exec, s[14:15]
.LBB611_593:                            ;   in Loop: Header=BB611_215 Depth=1
	s_or_b64 exec, exec, s[12:13]
	v_cmp_lt_u32_e32 vcc, s20, v38
	v_mov_b32_e32 v58, 0
	s_and_saveexec_b64 s[12:13], vcc
	s_cbranch_execz .LBB611_214
; %bb.594:                              ;   in Loop: Header=BB611_215 Depth=1
	v_lshrrev_b32_e32 v40, 24, v38
	v_cmp_ne_u32_e32 vcc, s9, v40
	v_bfrev_b32_e32 v58, 1
	s_and_saveexec_b64 s[14:15], vcc
	s_cbranch_execz .LBB611_213
; %bb.595:                              ;   in Loop: Header=BB611_215 Depth=1
	v_bfe_u32 v38, v38, 24, 7
	v_cmp_ne_u32_e32 vcc, s19, v38
	v_mov_b32_e32 v58, 0x7f800001
	s_and_saveexec_b64 s[16:17], vcc
	s_cbranch_execz .LBB611_212
; %bb.596:                              ;   in Loop: Header=BB611_215 Depth=1
	v_and_b32_e32 v60, 7, v40
	v_ffbh_u32_e32 v58, v60
	v_min_u32_e32 v62, 32, v58
	v_subrev_u32_e32 v58, 28, v62
	v_lshlrev_b64 v[58:59], v58, v[40:41]
	v_lshrrev_b32_e32 v61, 3, v38
	v_sub_u32_e32 v59, 29, v62
	v_and_b32_e32 v58, 7, v58
	v_cmp_gt_u32_e32 vcc, 8, v38
	v_cndmask_b32_e32 v38, v61, v59, vcc
	v_cndmask_b32_e32 v58, v60, v58, vcc
	v_lshlrev_b32_e32 v40, 24, v40
	v_lshlrev_b32_e32 v58, 20, v58
	v_and_b32_e32 v40, 0x80000000, v40
	v_lshl_add_u32 v38, v38, 23, v55
	v_or3_b32 v58, v40, v38, v58
	s_branch .LBB611_212
.LBB611_597:
	s_barrier
	buffer_load_dword v2, off, s[0:3], 0 offset:320
	buffer_load_dword v5, off, s[0:3], 0 offset:332
	;; [unrolled: 1-line block ×4, first 2 shown]
	v_cmp_gt_u32_e32 vcc, 64, v0
	s_waitcnt vmcnt(0)
	ds_write2st64_b64 v52, v[2:3], v[4:5] offset1:1
	s_waitcnt lgkmcnt(0)
	s_barrier
	s_and_saveexec_b64 s[4:5], vcc
	s_cbranch_execz .LBB611_600
; %bb.598:
	s_lshl_b32 s4, s48, 7
	s_mul_i32 s5, s18, s8
	s_mul_hi_u32 s9, s5, s4
	s_mul_i32 s8, s5, s4
	s_lshl_b64 s[8:9], s[8:9], 1
	s_add_u32 s5, s50, s8
	v_lshlrev_b32_e32 v5, 6, v41
	s_mov_b32 s7, 0
	s_addc_u32 s8, s51, s9
	s_lshl_b32 s6, s26, 7
	v_lshl_or_b32 v0, v0, 10, v5
	s_lshl_b64 s[6:7], s[6:7], 1
	v_lshlrev_b32_e32 v3, 5, v1
	v_and_b32_e32 v4, 16, v43
	v_and_b32_e32 v0, 0x1a00, v0
	s_add_u32 s5, s5, s6
	v_or_b32_e32 v2, 4, v1
	v_or3_b32 v0, v0, v3, v4
	s_addc_u32 s6, s8, s7
	v_add_u32_e32 v1, s27, v1
	v_mov_b32_e32 v4, s6
	v_add_co_u32_e32 v3, vcc, s5, v39
	ds_read_b128 v[6:9], v0
	v_mad_u64_u32 v[10:11], s[6:7], v1, s4, 0
	v_addc_co_u32_e32 v4, vcc, 0, v4, vcc
	v_lshlrev_b64 v[10:11], 1, v[10:11]
	v_add_co_u32_e32 v10, vcc, v3, v10
	v_addc_co_u32_e32 v11, vcc, v4, v11, vcc
	v_cmp_gt_u32_e32 vcc, 6, v2
	s_waitcnt lgkmcnt(0)
	global_store_dwordx4 v[10:11], v[6:9], off
	s_and_b64 exec, exec, vcc
	s_cbranch_execz .LBB611_600
; %bb.599:
	ds_read_b128 v[6:9], v0 offset:128
	v_add_u32_e32 v0, s27, v2
	v_mad_u64_u32 v[0:1], s[4:5], v0, s4, 0
	v_lshlrev_b64 v[0:1], 1, v[0:1]
	v_add_co_u32_e32 v0, vcc, v3, v0
	v_addc_co_u32_e32 v1, vcc, v4, v1, vcc
	s_waitcnt lgkmcnt(0)
	global_store_dwordx4 v[0:1], v[6:9], off
.LBB611_600:
	s_endpgm
	.section	.rodata,"a",@progbits
	.p2align	6, 0x0
	.amdhsa_kernel _Z39paged_attention_ll4mi_QKV_mfma16_kernelIDF16_hLN4vllm18Fp8KVCacheDataTypeE1EDF16_Li16ELi128ELi256ELb1ELi6EL8MFMAType0EEvPKT_PKT0_S8_ifPKiSA_SA_iPKfiiiPfSD_PS3_PT2_iSC_SC_
		.amdhsa_group_segment_fixed_size 8192
		.amdhsa_private_segment_fixed_size 352
		.amdhsa_kernarg_size 400
		.amdhsa_user_sgpr_count 8
		.amdhsa_user_sgpr_private_segment_buffer 1
		.amdhsa_user_sgpr_dispatch_ptr 0
		.amdhsa_user_sgpr_queue_ptr 0
		.amdhsa_user_sgpr_kernarg_segment_ptr 1
		.amdhsa_user_sgpr_dispatch_id 0
		.amdhsa_user_sgpr_flat_scratch_init 1
		.amdhsa_user_sgpr_kernarg_preload_length 0
		.amdhsa_user_sgpr_kernarg_preload_offset 0
		.amdhsa_user_sgpr_private_segment_size 0
		.amdhsa_uses_dynamic_stack 0
		.amdhsa_system_sgpr_private_segment_wavefront_offset 1
		.amdhsa_system_sgpr_workgroup_id_x 1
		.amdhsa_system_sgpr_workgroup_id_y 1
		.amdhsa_system_sgpr_workgroup_id_z 1
		.amdhsa_system_sgpr_workgroup_info 0
		.amdhsa_system_vgpr_workitem_id 0
		.amdhsa_next_free_vgpr 80
		.amdhsa_next_free_sgpr 53
		.amdhsa_accum_offset 80
		.amdhsa_reserve_vcc 1
		.amdhsa_reserve_flat_scratch 0
		.amdhsa_float_round_mode_32 0
		.amdhsa_float_round_mode_16_64 0
		.amdhsa_float_denorm_mode_32 3
		.amdhsa_float_denorm_mode_16_64 3
		.amdhsa_dx10_clamp 1
		.amdhsa_ieee_mode 1
		.amdhsa_fp16_overflow 0
		.amdhsa_tg_split 0
		.amdhsa_exception_fp_ieee_invalid_op 0
		.amdhsa_exception_fp_denorm_src 0
		.amdhsa_exception_fp_ieee_div_zero 0
		.amdhsa_exception_fp_ieee_overflow 0
		.amdhsa_exception_fp_ieee_underflow 0
		.amdhsa_exception_fp_ieee_inexact 0
		.amdhsa_exception_int_div_zero 0
	.end_amdhsa_kernel
	.section	.text._Z39paged_attention_ll4mi_QKV_mfma16_kernelIDF16_hLN4vllm18Fp8KVCacheDataTypeE1EDF16_Li16ELi128ELi256ELb1ELi6EL8MFMAType0EEvPKT_PKT0_S8_ifPKiSA_SA_iPKfiiiPfSD_PS3_PT2_iSC_SC_,"axG",@progbits,_Z39paged_attention_ll4mi_QKV_mfma16_kernelIDF16_hLN4vllm18Fp8KVCacheDataTypeE1EDF16_Li16ELi128ELi256ELb1ELi6EL8MFMAType0EEvPKT_PKT0_S8_ifPKiSA_SA_iPKfiiiPfSD_PS3_PT2_iSC_SC_,comdat
.Lfunc_end611:
	.size	_Z39paged_attention_ll4mi_QKV_mfma16_kernelIDF16_hLN4vllm18Fp8KVCacheDataTypeE1EDF16_Li16ELi128ELi256ELb1ELi6EL8MFMAType0EEvPKT_PKT0_S8_ifPKiSA_SA_iPKfiiiPfSD_PS3_PT2_iSC_SC_, .Lfunc_end611-_Z39paged_attention_ll4mi_QKV_mfma16_kernelIDF16_hLN4vllm18Fp8KVCacheDataTypeE1EDF16_Li16ELi128ELi256ELb1ELi6EL8MFMAType0EEvPKT_PKT0_S8_ifPKiSA_SA_iPKfiiiPfSD_PS3_PT2_iSC_SC_
                                        ; -- End function
	.section	.AMDGPU.csdata,"",@progbits
; Kernel info:
; codeLenInByte = 21428
; NumSgprs: 57
; NumVgprs: 80
; NumAgprs: 0
; TotalNumVgprs: 80
; ScratchSize: 352
; MemoryBound: 0
; FloatMode: 240
; IeeeMode: 1
; LDSByteSize: 8192 bytes/workgroup (compile time only)
; SGPRBlocks: 7
; VGPRBlocks: 9
; NumSGPRsForWavesPerEU: 57
; NumVGPRsForWavesPerEU: 80
; AccumOffset: 80
; Occupancy: 6
; WaveLimiterHint : 1
; COMPUTE_PGM_RSRC2:SCRATCH_EN: 1
; COMPUTE_PGM_RSRC2:USER_SGPR: 8
; COMPUTE_PGM_RSRC2:TRAP_HANDLER: 0
; COMPUTE_PGM_RSRC2:TGID_X_EN: 1
; COMPUTE_PGM_RSRC2:TGID_Y_EN: 1
; COMPUTE_PGM_RSRC2:TGID_Z_EN: 1
; COMPUTE_PGM_RSRC2:TIDIG_COMP_CNT: 0
; COMPUTE_PGM_RSRC3_GFX90A:ACCUM_OFFSET: 19
; COMPUTE_PGM_RSRC3_GFX90A:TG_SPLIT: 0
	.section	.text._Z39paged_attention_ll4mi_QKV_mfma16_kernelIDF16_hLN4vllm18Fp8KVCacheDataTypeE1EDF16_Li16ELi128ELi256ELb1ELi7EL8MFMAType0EEvPKT_PKT0_S8_ifPKiSA_SA_iPKfiiiPfSD_PS3_PT2_iSC_SC_,"axG",@progbits,_Z39paged_attention_ll4mi_QKV_mfma16_kernelIDF16_hLN4vllm18Fp8KVCacheDataTypeE1EDF16_Li16ELi128ELi256ELb1ELi7EL8MFMAType0EEvPKT_PKT0_S8_ifPKiSA_SA_iPKfiiiPfSD_PS3_PT2_iSC_SC_,comdat
	.protected	_Z39paged_attention_ll4mi_QKV_mfma16_kernelIDF16_hLN4vllm18Fp8KVCacheDataTypeE1EDF16_Li16ELi128ELi256ELb1ELi7EL8MFMAType0EEvPKT_PKT0_S8_ifPKiSA_SA_iPKfiiiPfSD_PS3_PT2_iSC_SC_ ; -- Begin function _Z39paged_attention_ll4mi_QKV_mfma16_kernelIDF16_hLN4vllm18Fp8KVCacheDataTypeE1EDF16_Li16ELi128ELi256ELb1ELi7EL8MFMAType0EEvPKT_PKT0_S8_ifPKiSA_SA_iPKfiiiPfSD_PS3_PT2_iSC_SC_
	.globl	_Z39paged_attention_ll4mi_QKV_mfma16_kernelIDF16_hLN4vllm18Fp8KVCacheDataTypeE1EDF16_Li16ELi128ELi256ELb1ELi7EL8MFMAType0EEvPKT_PKT0_S8_ifPKiSA_SA_iPKfiiiPfSD_PS3_PT2_iSC_SC_
	.p2align	8
	.type	_Z39paged_attention_ll4mi_QKV_mfma16_kernelIDF16_hLN4vllm18Fp8KVCacheDataTypeE1EDF16_Li16ELi128ELi256ELb1ELi7EL8MFMAType0EEvPKT_PKT0_S8_ifPKiSA_SA_iPKfiiiPfSD_PS3_PT2_iSC_SC_,@function
_Z39paged_attention_ll4mi_QKV_mfma16_kernelIDF16_hLN4vllm18Fp8KVCacheDataTypeE1EDF16_Li16ELi128ELi256ELb1ELi7EL8MFMAType0EEvPKT_PKT0_S8_ifPKiSA_SA_iPKfiiiPfSD_PS3_PT2_iSC_SC_: ; @_Z39paged_attention_ll4mi_QKV_mfma16_kernelIDF16_hLN4vllm18Fp8KVCacheDataTypeE1EDF16_Li16ELi128ELi256ELb1ELi7EL8MFMAType0EEvPKT_PKT0_S8_ifPKiSA_SA_iPKfiiiPfSD_PS3_PT2_iSC_SC_
; %bb.0:
	s_load_dwordx2 s[6:7], s[4:5], 0x30
	s_add_u32 s0, s0, s11
	s_addc_u32 s1, s1, 0
	s_mov_b32 s26, s9
	s_mov_b64 s[14:15], 0
	s_waitcnt lgkmcnt(0)
	s_cmp_lg_u64 s[6:7], 0
	s_cselect_b64 s[12:13], -1, 0
	s_and_b64 vcc, exec, s[12:13]
	s_cbranch_vccz .LBB612_7
; %bb.1:
	s_add_i32 s16, s8, 1
	s_mov_b32 s17, 0
	s_lshl_b64 s[18:19], s[16:17], 2
	s_add_u32 s18, s6, s18
	s_mov_b32 s9, s17
	s_addc_u32 s19, s7, s19
	s_lshl_b64 s[16:17], s[8:9], 2
	s_add_u32 s16, s6, s16
	s_addc_u32 s17, s7, s17
	s_load_dword s11, s[18:19], 0x0
	s_load_dword s20, s[16:17], 0x0
	s_waitcnt lgkmcnt(0)
	s_sub_i32 s11, s11, s20
	s_cmp_eq_u32 s11, 1
	s_cselect_b64 s[16:17], -1, 0
	s_andn2_b64 vcc, exec, s[14:15]
	s_cbranch_vccnz .LBB612_3
.LBB612_2:
	s_mov_b32 s9, 0
	s_mov_b64 s[16:17], -1
.LBB612_3:
	s_andn2_b64 vcc, exec, s[16:17]
	s_cbranch_vccnz .LBB612_600
; %bb.4:
	s_load_dwordx2 s[16:17], s[4:5], 0x28
	s_lshl_b64 s[14:15], s[8:9], 2
	s_waitcnt lgkmcnt(0)
	s_add_u32 s16, s16, s14
	s_addc_u32 s17, s17, s15
	s_load_dword s33, s[16:17], 0x0
	s_lshl_b32 s20, s26, 8
	s_waitcnt lgkmcnt(0)
	s_cmp_ge_i32 s20, s33
	s_cbranch_scc1 .LBB612_600
; %bb.5:
	s_add_i32 s18, s33, 15
	s_load_dwordx2 s[16:17], s[4:5], 0x20
	s_load_dword s11, s[4:5], 0x38
	s_ashr_i32 s19, s18, 31
	v_and_b32_e32 v1, 0xcf, v0
	s_lshr_b32 s19, s19, 28
	v_add_u32_e32 v1, s20, v1
	s_add_i32 s18, s18, s19
	v_ashrrev_i32_e32 v2, 31, v1
	s_ashr_i32 s23, s18, 4
	v_lshrrev_b32_e32 v4, 28, v2
	s_add_i32 s23, s23, -1
	v_add_u32_e32 v2, v1, v4
	s_waitcnt lgkmcnt(0)
	s_mul_i32 s18, s8, s11
	s_mov_b32 s19, 0
	v_ashrrev_i32_e32 v2, 4, v2
	v_mov_b32_e32 v5, s23
	v_cmp_gt_i32_e32 vcc, s33, v1
	s_lshl_b64 s[18:19], s[18:19], 2
	v_cndmask_b32_e32 v2, v5, v2, vcc
	s_add_u32 s21, s16, s18
	v_ashrrev_i32_e32 v3, 31, v2
	s_addc_u32 s22, s17, s19
	v_lshlrev_b64 v[2:3], 2, v[2:3]
	v_mov_b32_e32 v7, s22
	v_add_co_u32_e32 v6, vcc, s21, v2
	v_or_b32_e32 v2, 16, v1
	v_addc_co_u32_e32 v7, vcc, v7, v3, vcc
	v_add_u32_e32 v3, v2, v4
	v_ashrrev_i32_e32 v3, 4, v3
	v_cmp_gt_i32_e32 vcc, s33, v2
	v_cndmask_b32_e32 v2, v5, v3, vcc
	v_ashrrev_i32_e32 v3, 31, v2
	v_lshlrev_b64 v[2:3], 2, v[2:3]
	v_mov_b32_e32 v9, s22
	v_add_co_u32_e32 v8, vcc, s21, v2
	v_or_b32_e32 v2, 32, v1
	v_addc_co_u32_e32 v9, vcc, v9, v3, vcc
	v_add_u32_e32 v3, v2, v4
	v_ashrrev_i32_e32 v3, 4, v3
	v_cmp_gt_i32_e32 vcc, s33, v2
	v_cndmask_b32_e32 v2, v5, v3, vcc
	v_ashrrev_i32_e32 v3, 31, v2
	;; [unrolled: 10-line block ×3, first 2 shown]
	v_lshlrev_b64 v[2:3], 2, v[2:3]
	v_mov_b32_e32 v1, s22
	v_add_co_u32_e32 v12, vcc, s21, v2
	v_addc_co_u32_e32 v13, vcc, v1, v3, vcc
	global_load_dword v5, v[6:7], off
	global_load_dword v4, v[8:9], off
	;; [unrolled: 1-line block ×4, first 2 shown]
	s_load_dwordx2 s[16:17], s[4:5], 0x8
	s_andn2_b64 vcc, exec, s[12:13]
	s_cbranch_vccnz .LBB612_8
; %bb.6:
	s_add_u32 s6, s6, s14
	s_addc_u32 s7, s7, s15
	s_load_dword s11, s[6:7], 0x0
	s_branch .LBB612_9
.LBB612_7:
	s_mov_b64 s[16:17], 0
	s_branch .LBB612_2
.LBB612_8:
	s_mov_b32 s11, s8
.LBB612_9:
	s_load_dwordx2 s[6:7], s[4:5], 0x10
	s_load_dwordx4 s[12:15], s[4:5], 0x48
	v_lshrrev_b32_e32 v27, 6, v0
	v_bfe_u32 v1, v0, 4, 2
	v_and_b32_e32 v41, 15, v0
	v_lshl_or_b32 v6, v27, 2, v1
	v_lshlrev_b32_e32 v7, 3, v41
	s_mul_i32 s27, s10, 7
	v_cmp_gt_u32_e32 vcc, 7, v6
	v_lshlrev_b32_e32 v39, 1, v7
	v_lshlrev_b32_e32 v43, 4, v0
	s_and_saveexec_b64 s[18:19], vcc
	s_cbranch_execz .LBB612_11
; %bb.10:
	s_load_dwordx2 s[24:25], s[4:5], 0x0
	s_waitcnt lgkmcnt(0)
	s_ashr_i32 s15, s12, 31
	s_mul_hi_u32 s28, s11, s12
	s_mul_i32 s15, s11, s15
	s_add_i32 s29, s28, s15
	s_mul_i32 s28, s11, s12
	s_lshl_b64 s[28:29], s[28:29], 1
	v_add_lshl_u32 v8, v6, s27, 7
	s_add_u32 s11, s24, s28
	v_ashrrev_i32_e32 v9, 31, v8
	s_addc_u32 s12, s25, s29
	v_lshlrev_b64 v[8:9], 1, v[8:9]
	v_mov_b32_e32 v7, s12
	v_add_co_u32_e32 v8, vcc, s11, v8
	v_addc_co_u32_e32 v7, vcc, v7, v9, vcc
	v_add_co_u32_e32 v8, vcc, v8, v39
	v_addc_co_u32_e32 v9, vcc, 0, v7, vcc
	global_load_dwordx4 v[8:11], v[8:9], off
	v_lshlrev_b32_e32 v12, 8, v0
	v_lshlrev_b32_e32 v7, 8, v41
	v_and_b32_e32 v12, 0x600, v12
	s_movk_i32 s11, 0x800
	v_and_or_b32 v7, v7, s11, v12
	v_lshlrev_b32_e32 v6, 5, v6
	v_and_b32_e32 v12, 16, v43
	v_or3_b32 v6, v7, v6, v12
	s_waitcnt vmcnt(0)
	ds_write_b128 v6, v[8:11]
.LBB612_11:
	s_or_b64 exec, exec, s[18:19]
	s_waitcnt lgkmcnt(0)
	s_mul_i32 s14, s10, s14
	s_add_u32 s10, s16, s14
	s_addc_u32 s11, s17, 0
	v_and_b32_e32 v6, 0xf0, v43
	v_mov_b32_e32 v7, s11
	v_add_co_u32_e32 v6, vcc, s10, v6
	v_and_b32_e32 v18, 48, v0
	v_addc_co_u32_e32 v7, vcc, 0, v7, vcc
	v_lshlrev_b32_e32 v10, 4, v18
	s_waitcnt vmcnt(3)
	v_mad_i64_i32 v[8:9], s[10:11], v5, s13, v[6:7]
	v_add_co_u32_e32 v8, vcc, v8, v10
	v_addc_co_u32_e32 v9, vcc, 0, v9, vcc
	s_waitcnt vmcnt(2)
	v_mad_i64_i32 v[4:5], s[10:11], v4, s13, v[6:7]
	v_add_co_u32_e32 v4, vcc, v4, v10
	v_addc_co_u32_e32 v5, vcc, 0, v5, vcc
	s_load_dwordx2 s[48:49], s[4:5], 0x94
	s_waitcnt lgkmcnt(0)
	s_barrier
	global_load_dwordx4 v[20:23], v[8:9], off
	global_load_dwordx4 v[28:31], v[8:9], off offset:1024
	global_load_dwordx4 v[32:35], v[4:5], off
	global_load_dwordx4 v[44:47], v[4:5], off offset:1024
	s_waitcnt vmcnt(5)
	v_mad_i64_i32 v[4:5], s[10:11], v3, s13, v[6:7]
	v_add_co_u32_e32 v4, vcc, v4, v10
	v_addc_co_u32_e32 v5, vcc, 0, v5, vcc
	s_waitcnt vmcnt(4)
	v_mad_i64_i32 v[2:3], s[10:11], v2, s13, v[6:7]
	v_add_co_u32_e32 v2, vcc, v2, v10
	v_addc_co_u32_e32 v3, vcc, 0, v3, vcc
	global_load_dwordx4 v[48:51], v[4:5], off
	global_load_dwordx4 v[52:55], v[4:5], off offset:1024
	global_load_dwordx4 v[56:59], v[2:3], off
	global_load_dwordx4 v[60:63], v[2:3], off offset:1024
	v_mul_lo_u16_e32 v2, 37, v41
	v_mov_b32_e32 v3, 7
	v_mul_lo_u16_sdwa v2, v2, v3 dst_sel:DWORD dst_unused:UNUSED_PAD src0_sel:BYTE_1 src1_sel:DWORD
	v_mov_b32_e32 v4, 5
	v_sub_u16_e32 v2, v41, v2
	v_lshlrev_b32_sdwa v2, v4, v2 dst_sel:DWORD dst_unused:UNUSED_PAD src0_sel:DWORD src1_sel:BYTE_0
	v_lshl_add_u32 v14, v1, 9, v2
	s_load_dwordx2 s[50:51], s[4:5], 0x68
	s_load_dwordx4 s[44:47], s[4:5], 0x58
	ds_read_b128 v[2:5], v14
	ds_read_b128 v[6:9], v14 offset:16
	ds_read_b128 v[10:13], v14 offset:2048
	;; [unrolled: 1-line block ×3, first 2 shown]
	s_mov_b32 s12, 0
	v_cmp_gt_u32_e32 vcc, 7, v41
	s_waitcnt vmcnt(7)
	buffer_store_dword v23, off, s[0:3], 0 offset:12
	buffer_store_dword v22, off, s[0:3], 0 offset:8
	buffer_store_dword v21, off, s[0:3], 0 offset:4
	buffer_store_dword v20, off, s[0:3], 0
	s_waitcnt vmcnt(10)
	buffer_store_dword v31, off, s[0:3], 0 offset:28
	buffer_store_dword v30, off, s[0:3], 0 offset:24
	buffer_store_dword v29, off, s[0:3], 0 offset:20
	buffer_store_dword v28, off, s[0:3], 0 offset:16
	s_waitcnt vmcnt(13)
	buffer_store_dword v35, off, s[0:3], 0 offset:44
	buffer_store_dword v34, off, s[0:3], 0 offset:40
	buffer_store_dword v33, off, s[0:3], 0 offset:36
	buffer_store_dword v32, off, s[0:3], 0 offset:32
	;; [unrolled: 5-line block ×7, first 2 shown]
	v_mov_b32_e32 v35, 0
	v_mov_b32_e32 v31, 0
	s_and_saveexec_b64 s[10:11], vcc
	s_cbranch_execz .LBB612_13
; %bb.12:
	s_load_dwordx2 s[16:17], s[4:5], 0x40
	v_add_u32_e32 v20, s27, v41
	v_ashrrev_i32_e32 v21, 31, v20
	v_lshlrev_b64 v[20:21], 2, v[20:21]
	s_waitcnt lgkmcnt(0)
	v_mov_b32_e32 v19, s17
	v_add_co_u32_e32 v20, vcc, s16, v20
	v_addc_co_u32_e32 v21, vcc, v19, v21, vcc
	global_load_dword v31, v[20:21], off
.LBB612_13:
	s_or_b64 exec, exec, s[10:11]
	v_or_b32_e32 v22, s20, v18
	v_ashrrev_i32_e32 v18, 4, v22
	v_mov_b32_e32 v23, s23
	v_cmp_gt_i32_e32 vcc, s33, v22
	v_cndmask_b32_e32 v18, v23, v18, vcc
	v_ashrrev_i32_e32 v19, 31, v18
	v_lshlrev_b64 v[18:19], 2, v[18:19]
	v_mov_b32_e32 v20, s22
	v_add_co_u32_e32 v18, vcc, s21, v18
	v_addc_co_u32_e32 v19, vcc, v20, v19, vcc
	global_load_dword v26, v[18:19], off
	v_or_b32_e32 v18, 64, v22
	v_ashrrev_i32_e32 v19, 4, v18
	v_cmp_gt_i32_e32 vcc, s33, v18
	v_cndmask_b32_e32 v18, v23, v19, vcc
	v_ashrrev_i32_e32 v19, 31, v18
	v_lshlrev_b64 v[18:19], 2, v[18:19]
	v_add_co_u32_e32 v18, vcc, s21, v18
	v_addc_co_u32_e32 v19, vcc, v20, v19, vcc
	v_or_b32_e32 v20, 0x80, v22
	v_ashrrev_i32_e32 v21, 4, v20
	v_cmp_gt_i32_e32 vcc, s33, v20
	v_cndmask_b32_e32 v20, v23, v21, vcc
	v_ashrrev_i32_e32 v21, 31, v20
	v_lshlrev_b64 v[20:21], 2, v[20:21]
	v_mov_b32_e32 v24, s22
	v_add_co_u32_e32 v20, vcc, s21, v20
	v_addc_co_u32_e32 v21, vcc, v24, v21, vcc
	global_load_dword v28, v[18:19], off
	global_load_dword v30, v[20:21], off
	v_or_b32_e32 v18, 0xc0, v22
	v_ashrrev_i32_e32 v19, 4, v18
	v_cmp_gt_i32_e32 vcc, s33, v18
	v_cndmask_b32_e32 v18, v23, v19, vcc
	v_ashrrev_i32_e32 v19, 31, v18
	v_lshlrev_b64 v[18:19], 2, v[18:19]
	v_mov_b32_e32 v20, s22
	v_add_co_u32_e32 v18, vcc, s21, v18
	v_addc_co_u32_e32 v19, vcc, v20, v19, vcc
	global_load_dword v34, v[18:19], off
	s_add_u32 s10, s6, s14
	v_lshl_or_b32 v29, v27, 4, v41
	s_addc_u32 s6, s7, 0
	v_lshlrev_b32_e32 v18, 4, v29
	v_mov_b32_e32 v19, s6
	v_add_co_u32_e32 v22, vcc, s10, v18
	v_addc_co_u32_e32 v23, vcc, 0, v19, vcc
	v_or_b32_e32 v24, 0x400, v18
	v_mov_b32_e32 v25, s6
	v_add_co_u32_e32 v24, vcc, s10, v24
	v_addc_co_u32_e32 v25, vcc, 0, v25, vcc
	v_mov_b32_e32 v36, 0
	s_movk_i32 s14, 0x7f
	s_mov_b32 s15, 0xffffff
	v_mov_b32_e32 v37, 0x100
	v_bfrev_b32_e32 v38, 60
	s_waitcnt vmcnt(3)
	v_mad_i64_i32 v[18:19], s[6:7], v26, s13, v[22:23]
	global_load_dwordx4 v[18:21], v[18:19], off
	v_mad_i64_i32 v[32:33], s[6:7], v26, s13, v[24:25]
	global_load_dwordx4 v[52:55], v[32:33], off
	s_waitcnt vmcnt(4)
	v_mad_i64_i32 v[32:33], s[6:7], v28, s13, v[22:23]
	global_load_dwordx4 v[56:59], v[32:33], off
	s_waitcnt vmcnt(4)
	;; [unrolled: 3-line block ×3, first 2 shown]
	v_mad_i64_i32 v[22:23], s[6:7], v34, s13, v[22:23]
	global_load_dwordx4 v[64:67], v[22:23], off
	v_mad_i64_i32 v[22:23], s[6:7], v28, s13, v[24:25]
	global_load_dwordx4 v[68:71], v[22:23], off
	;; [unrolled: 2-line block ×4, first 2 shown]
	s_load_dword s6, s[4:5], 0x1c
	s_load_dwordx4 s[40:43], s[4:5], 0x80
	v_mov_b32_e32 v22, 0x80
	v_add_u32_e32 v45, 16, v22
	v_add_u32_e32 v46, 32, v22
	;; [unrolled: 1-line block ×3, first 2 shown]
	s_waitcnt lgkmcnt(0)
	s_load_dword s4, s[40:41], 0x0
	v_add_u32_e32 v51, 64, v22
	v_add_u32_e32 v48, 0x50, v22
	;; [unrolled: 1-line block ×4, first 2 shown]
	v_mov_b32_e32 v22, s6
	s_waitcnt lgkmcnt(0)
	v_mul_f32_e32 v22, s4, v22
	v_and_b32_e32 v33, 63, v0
	s_movk_i32 s13, 0x80
	v_mov_b32_e32 v24, v22
	v_mov_b32_e32 v25, v22
	s_waitcnt vmcnt(7)
	buffer_store_dword v21, off, s[0:3], 0 offset:140
	buffer_store_dword v20, off, s[0:3], 0 offset:136
	buffer_store_dword v19, off, s[0:3], 0 offset:132
	buffer_store_dword v18, off, s[0:3], 0 offset:128
	s_waitcnt vmcnt(10)
	buffer_store_dword v55, off, s[0:3], 0 offset:156
	buffer_store_dword v54, off, s[0:3], 0 offset:152
	buffer_store_dword v53, off, s[0:3], 0 offset:148
	buffer_store_dword v52, off, s[0:3], 0 offset:144
	;; [unrolled: 5-line block ×8, first 2 shown]
	s_branch .LBB612_17
.LBB612_14:                             ;   in Loop: Header=BB612_17 Depth=1
	s_or_b64 exec, exec, s[10:11]
.LBB612_15:                             ;   in Loop: Header=BB612_17 Depth=1
	s_or_b64 exec, exec, s[6:7]
.LBB612_16:                             ;   in Loop: Header=BB612_17 Depth=1
	s_or_b64 exec, exec, s[4:5]
	v_cvt_pkrtz_f16_f32 v54, v34, v32
	v_cvt_pkrtz_f16_f32 v55, v23, v42
	v_add_u32_e32 v26, s12, v37
	s_add_i32 s12, s12, 16
	v_mov_b32_e32 v23, v22
	v_mfma_f32_16x16x16f16 v[18:21], v[54:55], v[14:15], v[18:21]
	v_cvt_pkrtz_f16_f32 v54, v40, v44
	v_cvt_pkrtz_f16_f32 v55, v30, v52
	s_cmp_eq_u32 s12, 64
	v_add_u32_e32 v36, 32, v36
	v_mfma_f32_16x16x16f16 v[18:21], v[54:55], v[16:17], v[18:21]
	s_nop 7
	s_nop 2
	v_pk_mul_f32 v[18:19], v[24:25], v[18:19]
	v_pk_mul_f32 v[20:21], v[22:23], v[20:21]
	buffer_store_dword v19, v26, s[0:3], 0 offen offset:4
	buffer_store_dword v18, v26, s[0:3], 0 offen
	buffer_store_dword v21, v26, s[0:3], 0 offen offset:12
	buffer_store_dword v20, v26, s[0:3], 0 offen offset:8
	s_cbranch_scc1 .LBB612_207
.LBB612_17:                             ; =>This Inner Loop Header: Depth=1
	buffer_load_dword v20, v36, s[0:3], 0 offen
	buffer_load_dword v18, v36, s[0:3], 0 offen offset:4
	buffer_load_dword v28, v36, s[0:3], 0 offen offset:8
	;; [unrolled: 1-line block ×3, first 2 shown]
	v_mov_b32_e32 v19, 0
	v_mov_b32_e32 v21, 0
	s_waitcnt vmcnt(3)
	v_cmp_ne_u16_sdwa s[6:7], v20, v35 src0_sel:BYTE_0 src1_sel:DWORD
	s_and_saveexec_b64 s[4:5], s[6:7]
	s_cbranch_execz .LBB612_23
; %bb.18:                               ;   in Loop: Header=BB612_17 Depth=1
	v_cmp_ne_u16_sdwa s[10:11], v20, s13 src0_sel:BYTE_0 src1_sel:DWORD
	v_bfrev_b32_e32 v21, 1
	s_and_saveexec_b64 s[6:7], s[10:11]
	s_cbranch_execz .LBB612_22
; %bb.19:                               ;   in Loop: Header=BB612_17 Depth=1
	v_and_b32_e32 v23, 0x7f, v20
	v_cmp_ne_u32_e32 vcc, s14, v23
	v_mov_b32_e32 v21, 0x7f800001
	s_and_saveexec_b64 s[10:11], vcc
	s_cbranch_execz .LBB612_21
; %bb.20:                               ;   in Loop: Header=BB612_17 Depth=1
	v_and_b32_e32 v21, 7, v20
	v_ffbh_u32_e32 v32, v21
	v_min_u32_e32 v32, 32, v32
	v_subrev_u32_e32 v34, 28, v32
	v_lshlrev_b64 v[52:53], v34, v[20:21]
	v_lshrrev_b32_e32 v30, 3, v23
	v_sub_u32_e32 v32, 29, v32
	v_and_b32_e32 v34, 7, v52
	v_cmp_gt_u32_e32 vcc, 8, v23
	v_cndmask_b32_e32 v23, v30, v32, vcc
	v_cndmask_b32_e32 v21, v21, v34, vcc
	v_lshlrev_b32_e32 v30, 24, v20
	v_lshlrev_b32_e32 v21, 20, v21
	v_and_b32_e32 v30, 0x80000000, v30
	v_lshl_add_u32 v23, v23, 23, v38
	v_or3_b32 v21, v30, v23, v21
.LBB612_21:                             ;   in Loop: Header=BB612_17 Depth=1
	s_or_b64 exec, exec, s[10:11]
.LBB612_22:                             ;   in Loop: Header=BB612_17 Depth=1
	s_or_b64 exec, exec, s[6:7]
.LBB612_23:                             ;   in Loop: Header=BB612_17 Depth=1
	s_or_b64 exec, exec, s[4:5]
	v_lshrrev_b16_e32 v30, 8, v20
	v_cmp_ne_u16_e32 vcc, 0, v30
	s_and_saveexec_b64 s[4:5], vcc
	s_cbranch_execz .LBB612_29
; %bb.24:                               ;   in Loop: Header=BB612_17 Depth=1
	v_cmp_ne_u16_e32 vcc, s13, v30
	v_bfrev_b32_e32 v19, 1
	s_and_saveexec_b64 s[6:7], vcc
	s_cbranch_execz .LBB612_28
; %bb.25:                               ;   in Loop: Header=BB612_17 Depth=1
	v_and_b32_e32 v23, 0x7f, v30
	v_cmp_ne_u32_e32 vcc, s14, v23
	v_mov_b32_e32 v19, 0x7f800001
	s_and_saveexec_b64 s[10:11], vcc
	s_cbranch_execz .LBB612_27
; %bb.26:                               ;   in Loop: Header=BB612_17 Depth=1
	v_and_b32_e32 v19, 7, v30
	v_ffbh_u32_e32 v34, v19
	v_min_u32_e32 v34, 32, v34
	v_subrev_u32_e32 v40, 28, v34
	v_lshlrev_b64 v[52:53], v40, v[30:31]
	v_lshrrev_b32_e32 v32, 3, v23
	v_sub_u32_e32 v30, 29, v34
	v_and_b32_e32 v34, 7, v52
	v_cmp_gt_u32_e32 vcc, 8, v23
	v_cndmask_b32_e32 v23, v32, v30, vcc
	v_cndmask_b32_e32 v19, v19, v34, vcc
	v_lshlrev_b32_e32 v30, 16, v20
	v_lshlrev_b32_e32 v19, 20, v19
	v_and_b32_e32 v30, 0x80000000, v30
	v_lshl_add_u32 v23, v23, 23, v38
	v_or3_b32 v19, v30, v23, v19
.LBB612_27:                             ;   in Loop: Header=BB612_17 Depth=1
	s_or_b64 exec, exec, s[10:11]
.LBB612_28:                             ;   in Loop: Header=BB612_17 Depth=1
	s_or_b64 exec, exec, s[6:7]
.LBB612_29:                             ;   in Loop: Header=BB612_17 Depth=1
	s_or_b64 exec, exec, s[4:5]
	v_lshrrev_b32_e32 v30, 16, v20
	v_cmp_ne_u16_sdwa s[6:7], v30, v35 src0_sel:BYTE_0 src1_sel:DWORD
	v_mov_b32_e32 v32, 0
	v_mov_b32_e32 v23, 0
	s_and_saveexec_b64 s[4:5], s[6:7]
	s_cbranch_execz .LBB612_35
; %bb.30:                               ;   in Loop: Header=BB612_17 Depth=1
	v_cmp_ne_u16_sdwa s[10:11], v30, s13 src0_sel:BYTE_0 src1_sel:DWORD
	v_bfrev_b32_e32 v23, 1
	s_and_saveexec_b64 s[6:7], s[10:11]
	s_cbranch_execz .LBB612_34
; %bb.31:                               ;   in Loop: Header=BB612_17 Depth=1
	v_bfe_u32 v34, v20, 16, 7
	v_cmp_ne_u32_e32 vcc, s14, v34
	v_mov_b32_e32 v23, 0x7f800001
	s_and_saveexec_b64 s[10:11], vcc
	s_cbranch_execz .LBB612_33
; %bb.32:                               ;   in Loop: Header=BB612_17 Depth=1
	v_and_b32_e32 v23, 7, v30
	v_ffbh_u32_e32 v42, v23
	v_min_u32_e32 v42, 32, v42
	v_subrev_u32_e32 v44, 28, v42
	v_lshlrev_b64 v[52:53], v44, v[30:31]
	v_lshrrev_b32_e32 v40, 3, v34
	v_sub_u32_e32 v42, 29, v42
	v_and_b32_e32 v44, 7, v52
	v_cmp_gt_u32_e32 vcc, 8, v34
	v_cndmask_b32_e32 v34, v40, v42, vcc
	v_cndmask_b32_e32 v23, v23, v44, vcc
	v_lshlrev_b32_e32 v30, 24, v30
	v_lshlrev_b32_e32 v23, 20, v23
	v_and_b32_e32 v30, 0x80000000, v30
	v_lshl_add_u32 v34, v34, 23, v38
	v_or3_b32 v23, v30, v34, v23
.LBB612_33:                             ;   in Loop: Header=BB612_17 Depth=1
	s_or_b64 exec, exec, s[10:11]
.LBB612_34:                             ;   in Loop: Header=BB612_17 Depth=1
	s_or_b64 exec, exec, s[6:7]
.LBB612_35:                             ;   in Loop: Header=BB612_17 Depth=1
	s_or_b64 exec, exec, s[4:5]
	v_cmp_lt_u32_e32 vcc, s15, v20
	s_and_saveexec_b64 s[4:5], vcc
	s_cbranch_execz .LBB612_41
; %bb.36:                               ;   in Loop: Header=BB612_17 Depth=1
	v_lshrrev_b32_e32 v30, 24, v20
	v_cmp_ne_u32_e32 vcc, s13, v30
	v_bfrev_b32_e32 v32, 1
	s_and_saveexec_b64 s[6:7], vcc
	s_cbranch_execz .LBB612_40
; %bb.37:                               ;   in Loop: Header=BB612_17 Depth=1
	v_bfe_u32 v20, v20, 24, 7
	v_cmp_ne_u32_e32 vcc, s14, v20
	v_mov_b32_e32 v32, 0x7f800001
	s_and_saveexec_b64 s[10:11], vcc
	s_cbranch_execz .LBB612_39
; %bb.38:                               ;   in Loop: Header=BB612_17 Depth=1
	v_and_b32_e32 v32, 7, v30
	v_ffbh_u32_e32 v40, v32
	v_min_u32_e32 v40, 32, v40
	v_subrev_u32_e32 v42, 28, v40
	v_lshlrev_b64 v[52:53], v42, v[30:31]
	v_lshrrev_b32_e32 v34, 3, v20
	v_sub_u32_e32 v40, 29, v40
	v_and_b32_e32 v42, 7, v52
	v_cmp_gt_u32_e32 vcc, 8, v20
	v_cndmask_b32_e32 v20, v34, v40, vcc
	v_cndmask_b32_e32 v32, v32, v42, vcc
	v_lshlrev_b32_e32 v30, 24, v30
	v_lshlrev_b32_e32 v32, 20, v32
	v_and_b32_e32 v30, 0x80000000, v30
	v_lshl_add_u32 v20, v20, 23, v38
	v_or3_b32 v32, v30, v20, v32
.LBB612_39:                             ;   in Loop: Header=BB612_17 Depth=1
	s_or_b64 exec, exec, s[10:11]
.LBB612_40:                             ;   in Loop: Header=BB612_17 Depth=1
	s_or_b64 exec, exec, s[6:7]
.LBB612_41:                             ;   in Loop: Header=BB612_17 Depth=1
	s_or_b64 exec, exec, s[4:5]
	s_waitcnt vmcnt(2)
	v_cmp_ne_u16_sdwa s[6:7], v18, v35 src0_sel:BYTE_0 src1_sel:DWORD
	v_mov_b32_e32 v30, 0
	v_mov_b32_e32 v34, 0
	s_and_saveexec_b64 s[4:5], s[6:7]
	s_cbranch_execz .LBB612_47
; %bb.42:                               ;   in Loop: Header=BB612_17 Depth=1
	v_cmp_ne_u16_sdwa s[10:11], v18, s13 src0_sel:BYTE_0 src1_sel:DWORD
	v_bfrev_b32_e32 v34, 1
	s_and_saveexec_b64 s[6:7], s[10:11]
	s_cbranch_execz .LBB612_46
; %bb.43:                               ;   in Loop: Header=BB612_17 Depth=1
	v_and_b32_e32 v20, 0x7f, v18
	v_cmp_ne_u32_e32 vcc, s14, v20
	v_mov_b32_e32 v34, 0x7f800001
	s_and_saveexec_b64 s[10:11], vcc
	s_cbranch_execz .LBB612_45
; %bb.44:                               ;   in Loop: Header=BB612_17 Depth=1
	v_and_b32_e32 v34, 7, v18
	v_ffbh_u32_e32 v42, v34
	v_min_u32_e32 v42, 32, v42
	v_subrev_u32_e32 v44, 28, v42
	v_lshlrev_b64 v[52:53], v44, v[18:19]
	v_lshrrev_b32_e32 v40, 3, v20
	v_sub_u32_e32 v42, 29, v42
	v_and_b32_e32 v44, 7, v52
	v_cmp_gt_u32_e32 vcc, 8, v20
	v_cndmask_b32_e32 v20, v40, v42, vcc
	v_cndmask_b32_e32 v34, v34, v44, vcc
	v_lshlrev_b32_e32 v40, 24, v18
	v_lshlrev_b32_e32 v34, 20, v34
	v_and_b32_e32 v40, 0x80000000, v40
	v_lshl_add_u32 v20, v20, 23, v38
	v_or3_b32 v34, v40, v20, v34
.LBB612_45:                             ;   in Loop: Header=BB612_17 Depth=1
	s_or_b64 exec, exec, s[10:11]
.LBB612_46:                             ;   in Loop: Header=BB612_17 Depth=1
	s_or_b64 exec, exec, s[6:7]
.LBB612_47:                             ;   in Loop: Header=BB612_17 Depth=1
	s_or_b64 exec, exec, s[4:5]
	v_lshrrev_b16_e32 v20, 8, v18
	v_cmp_ne_u16_e32 vcc, 0, v20
	s_and_saveexec_b64 s[4:5], vcc
	s_cbranch_execz .LBB612_53
; %bb.48:                               ;   in Loop: Header=BB612_17 Depth=1
	v_cmp_ne_u16_e32 vcc, s13, v20
	v_bfrev_b32_e32 v30, 1
	s_and_saveexec_b64 s[6:7], vcc
	s_cbranch_execz .LBB612_52
; %bb.49:                               ;   in Loop: Header=BB612_17 Depth=1
	v_and_b32_e32 v40, 0x7f, v20
	v_cmp_ne_u32_e32 vcc, s14, v40
	v_mov_b32_e32 v30, 0x7f800001
	s_and_saveexec_b64 s[10:11], vcc
	s_cbranch_execz .LBB612_51
; %bb.50:                               ;   in Loop: Header=BB612_17 Depth=1
	v_and_b32_e32 v30, 7, v20
	v_ffbh_u32_e32 v44, v30
	v_min_u32_e32 v44, 32, v44
	v_subrev_u32_e32 v52, 28, v44
	v_lshlrev_b64 v[52:53], v52, v[20:21]
	v_lshrrev_b32_e32 v42, 3, v40
	v_sub_u32_e32 v20, 29, v44
	v_and_b32_e32 v44, 7, v52
	v_cmp_gt_u32_e32 vcc, 8, v40
	v_cndmask_b32_e32 v20, v42, v20, vcc
	v_cndmask_b32_e32 v30, v30, v44, vcc
	v_lshlrev_b32_e32 v40, 16, v18
	v_lshlrev_b32_e32 v30, 20, v30
	v_and_b32_e32 v40, 0x80000000, v40
	v_lshl_add_u32 v20, v20, 23, v38
	v_or3_b32 v30, v40, v20, v30
.LBB612_51:                             ;   in Loop: Header=BB612_17 Depth=1
	s_or_b64 exec, exec, s[10:11]
.LBB612_52:                             ;   in Loop: Header=BB612_17 Depth=1
	s_or_b64 exec, exec, s[6:7]
.LBB612_53:                             ;   in Loop: Header=BB612_17 Depth=1
	s_or_b64 exec, exec, s[4:5]
	v_lshrrev_b32_e32 v20, 16, v18
	v_cmp_ne_u16_sdwa s[6:7], v20, v35 src0_sel:BYTE_0 src1_sel:DWORD
	v_mov_b32_e32 v42, 0
	v_mov_b32_e32 v40, 0
	s_and_saveexec_b64 s[4:5], s[6:7]
	s_cbranch_execz .LBB612_59
; %bb.54:                               ;   in Loop: Header=BB612_17 Depth=1
	v_cmp_ne_u16_sdwa s[10:11], v20, s13 src0_sel:BYTE_0 src1_sel:DWORD
	v_bfrev_b32_e32 v40, 1
	s_and_saveexec_b64 s[6:7], s[10:11]
	s_cbranch_execz .LBB612_58
; %bb.55:                               ;   in Loop: Header=BB612_17 Depth=1
	v_bfe_u32 v44, v18, 16, 7
	v_cmp_ne_u32_e32 vcc, s14, v44
	v_mov_b32_e32 v40, 0x7f800001
	s_and_saveexec_b64 s[10:11], vcc
	s_cbranch_execz .LBB612_57
; %bb.56:                               ;   in Loop: Header=BB612_17 Depth=1
	v_and_b32_e32 v40, 7, v20
	v_ffbh_u32_e32 v52, v40
	v_min_u32_e32 v55, 32, v52
	v_subrev_u32_e32 v52, 28, v55
	v_lshlrev_b64 v[52:53], v52, v[20:21]
	v_lshrrev_b32_e32 v54, 3, v44
	v_sub_u32_e32 v53, 29, v55
	v_and_b32_e32 v52, 7, v52
	v_cmp_gt_u32_e32 vcc, 8, v44
	v_cndmask_b32_e32 v44, v54, v53, vcc
	v_cndmask_b32_e32 v40, v40, v52, vcc
	v_lshlrev_b32_e32 v20, 24, v20
	v_lshlrev_b32_e32 v40, 20, v40
	v_and_b32_e32 v20, 0x80000000, v20
	v_lshl_add_u32 v44, v44, 23, v38
	v_or3_b32 v40, v20, v44, v40
.LBB612_57:                             ;   in Loop: Header=BB612_17 Depth=1
	s_or_b64 exec, exec, s[10:11]
.LBB612_58:                             ;   in Loop: Header=BB612_17 Depth=1
	s_or_b64 exec, exec, s[6:7]
.LBB612_59:                             ;   in Loop: Header=BB612_17 Depth=1
	s_or_b64 exec, exec, s[4:5]
	v_cmp_lt_u32_e32 vcc, s15, v18
	s_and_saveexec_b64 s[4:5], vcc
	s_cbranch_execz .LBB612_65
; %bb.60:                               ;   in Loop: Header=BB612_17 Depth=1
	v_lshrrev_b32_e32 v20, 24, v18
	v_cmp_ne_u32_e32 vcc, s13, v20
	v_bfrev_b32_e32 v42, 1
	s_and_saveexec_b64 s[6:7], vcc
	s_cbranch_execz .LBB612_64
; %bb.61:                               ;   in Loop: Header=BB612_17 Depth=1
	v_bfe_u32 v18, v18, 24, 7
	v_cmp_ne_u32_e32 vcc, s14, v18
	v_mov_b32_e32 v42, 0x7f800001
	s_and_saveexec_b64 s[10:11], vcc
	s_cbranch_execz .LBB612_63
; %bb.62:                               ;   in Loop: Header=BB612_17 Depth=1
	v_and_b32_e32 v42, 7, v20
	v_ffbh_u32_e32 v52, v42
	v_min_u32_e32 v54, 32, v52
	v_subrev_u32_e32 v52, 28, v54
	v_lshlrev_b64 v[52:53], v52, v[20:21]
	v_lshrrev_b32_e32 v44, 3, v18
	v_sub_u32_e32 v53, 29, v54
	v_and_b32_e32 v52, 7, v52
	v_cmp_gt_u32_e32 vcc, 8, v18
	v_cndmask_b32_e32 v18, v44, v53, vcc
	v_cndmask_b32_e32 v42, v42, v52, vcc
	v_lshlrev_b32_e32 v20, 24, v20
	v_lshlrev_b32_e32 v42, 20, v42
	v_and_b32_e32 v20, 0x80000000, v20
	v_lshl_add_u32 v18, v18, 23, v38
	v_or3_b32 v42, v20, v18, v42
.LBB612_63:                             ;   in Loop: Header=BB612_17 Depth=1
	s_or_b64 exec, exec, s[10:11]
.LBB612_64:                             ;   in Loop: Header=BB612_17 Depth=1
	s_or_b64 exec, exec, s[6:7]
.LBB612_65:                             ;   in Loop: Header=BB612_17 Depth=1
	s_or_b64 exec, exec, s[4:5]
	v_cvt_pkrtz_f16_f32 v18, v21, v19
	v_cvt_pkrtz_f16_f32 v19, v23, v32
	;; [unrolled: 1-line block ×4, first 2 shown]
	v_mov_b32_e32 v32, 0
	v_mfma_f32_16x16x16f16 v[18:21], v[18:19], v[2:3], 0
	s_waitcnt vmcnt(1)
	v_cmp_ne_u16_sdwa s[6:7], v28, v35 src0_sel:BYTE_0 src1_sel:DWORD
	v_mov_b32_e32 v34, 0
	v_mfma_f32_16x16x16f16 v[18:21], v[52:53], v[4:5], v[18:21]
	s_and_saveexec_b64 s[4:5], s[6:7]
	s_cbranch_execz .LBB612_71
; %bb.66:                               ;   in Loop: Header=BB612_17 Depth=1
	v_cmp_ne_u16_sdwa s[10:11], v28, s13 src0_sel:BYTE_0 src1_sel:DWORD
	v_bfrev_b32_e32 v34, 1
	s_and_saveexec_b64 s[6:7], s[10:11]
	s_cbranch_execz .LBB612_70
; %bb.67:                               ;   in Loop: Header=BB612_17 Depth=1
	v_and_b32_e32 v23, 0x7f, v28
	v_cmp_ne_u32_e32 vcc, s14, v23
	v_mov_b32_e32 v34, 0x7f800001
	s_and_saveexec_b64 s[10:11], vcc
	s_cbranch_execz .LBB612_69
; %bb.68:                               ;   in Loop: Header=BB612_17 Depth=1
	v_and_b32_e32 v30, 7, v28
	v_ffbh_u32_e32 v40, v30
	v_min_u32_e32 v40, 32, v40
	v_subrev_u32_e32 v42, 28, v40
	v_lshlrev_b64 v[52:53], v42, v[28:29]
	v_lshrrev_b32_e32 v34, 3, v23
	v_sub_u32_e32 v40, 29, v40
	v_and_b32_e32 v42, 7, v52
	v_cmp_gt_u32_e32 vcc, 8, v23
	v_cndmask_b32_e32 v23, v34, v40, vcc
	v_cndmask_b32_e32 v30, v30, v42, vcc
	v_lshlrev_b32_e32 v34, 24, v28
	v_lshlrev_b32_e32 v30, 20, v30
	v_and_b32_e32 v34, 0x80000000, v34
	v_lshl_add_u32 v23, v23, 23, v38
	v_or3_b32 v34, v34, v23, v30
.LBB612_69:                             ;   in Loop: Header=BB612_17 Depth=1
	s_or_b64 exec, exec, s[10:11]
.LBB612_70:                             ;   in Loop: Header=BB612_17 Depth=1
	s_or_b64 exec, exec, s[6:7]
.LBB612_71:                             ;   in Loop: Header=BB612_17 Depth=1
	s_or_b64 exec, exec, s[4:5]
	v_lshrrev_b16_e32 v30, 8, v28
	v_cmp_ne_u16_e32 vcc, 0, v30
	v_mov_b32_e32 v40, 0
	s_and_saveexec_b64 s[4:5], vcc
	s_cbranch_execz .LBB612_77
; %bb.72:                               ;   in Loop: Header=BB612_17 Depth=1
	v_cmp_ne_u16_e32 vcc, s13, v30
	v_bfrev_b32_e32 v40, 1
	s_and_saveexec_b64 s[6:7], vcc
	s_cbranch_execz .LBB612_76
; %bb.73:                               ;   in Loop: Header=BB612_17 Depth=1
	v_and_b32_e32 v23, 0x7f, v30
	v_cmp_ne_u32_e32 vcc, s14, v23
	v_mov_b32_e32 v40, 0x7f800001
	s_and_saveexec_b64 s[10:11], vcc
	s_cbranch_execz .LBB612_75
; %bb.74:                               ;   in Loop: Header=BB612_17 Depth=1
	v_and_b32_e32 v40, 7, v30
	v_ffbh_u32_e32 v44, v40
	v_min_u32_e32 v44, 32, v44
	v_subrev_u32_e32 v52, 28, v44
	v_lshlrev_b64 v[52:53], v52, v[30:31]
	v_lshrrev_b32_e32 v42, 3, v23
	v_sub_u32_e32 v30, 29, v44
	v_and_b32_e32 v44, 7, v52
	v_cmp_gt_u32_e32 vcc, 8, v23
	v_cndmask_b32_e32 v23, v42, v30, vcc
	v_cndmask_b32_e32 v30, v40, v44, vcc
	v_lshlrev_b32_e32 v40, 16, v28
	v_lshlrev_b32_e32 v30, 20, v30
	v_and_b32_e32 v40, 0x80000000, v40
	v_lshl_add_u32 v23, v23, 23, v38
	v_or3_b32 v40, v40, v23, v30
.LBB612_75:                             ;   in Loop: Header=BB612_17 Depth=1
	s_or_b64 exec, exec, s[10:11]
.LBB612_76:                             ;   in Loop: Header=BB612_17 Depth=1
	s_or_b64 exec, exec, s[6:7]
.LBB612_77:                             ;   in Loop: Header=BB612_17 Depth=1
	s_or_b64 exec, exec, s[4:5]
	v_lshrrev_b32_e32 v30, 16, v28
	v_cmp_ne_u16_sdwa s[6:7], v30, v35 src0_sel:BYTE_0 src1_sel:DWORD
	s_and_saveexec_b64 s[4:5], s[6:7]
	s_cbranch_execz .LBB612_83
; %bb.78:                               ;   in Loop: Header=BB612_17 Depth=1
	v_cmp_ne_u16_sdwa s[10:11], v30, s13 src0_sel:BYTE_0 src1_sel:DWORD
	v_bfrev_b32_e32 v32, 1
	s_and_saveexec_b64 s[6:7], s[10:11]
	s_cbranch_execz .LBB612_82
; %bb.79:                               ;   in Loop: Header=BB612_17 Depth=1
	v_bfe_u32 v23, v28, 16, 7
	v_cmp_ne_u32_e32 vcc, s14, v23
	v_mov_b32_e32 v32, 0x7f800001
	s_and_saveexec_b64 s[10:11], vcc
	s_cbranch_execz .LBB612_81
; %bb.80:                               ;   in Loop: Header=BB612_17 Depth=1
	v_and_b32_e32 v32, 7, v30
	v_ffbh_u32_e32 v44, v32
	v_min_u32_e32 v44, 32, v44
	v_subrev_u32_e32 v52, 28, v44
	v_lshlrev_b64 v[52:53], v52, v[30:31]
	v_lshrrev_b32_e32 v42, 3, v23
	v_sub_u32_e32 v44, 29, v44
	v_and_b32_e32 v52, 7, v52
	v_cmp_gt_u32_e32 vcc, 8, v23
	v_cndmask_b32_e32 v23, v42, v44, vcc
	v_cndmask_b32_e32 v32, v32, v52, vcc
	v_lshlrev_b32_e32 v30, 24, v30
	v_lshlrev_b32_e32 v32, 20, v32
	v_and_b32_e32 v30, 0x80000000, v30
	v_lshl_add_u32 v23, v23, 23, v38
	v_or3_b32 v32, v30, v23, v32
.LBB612_81:                             ;   in Loop: Header=BB612_17 Depth=1
	s_or_b64 exec, exec, s[10:11]
.LBB612_82:                             ;   in Loop: Header=BB612_17 Depth=1
	s_or_b64 exec, exec, s[6:7]
.LBB612_83:                             ;   in Loop: Header=BB612_17 Depth=1
	s_or_b64 exec, exec, s[4:5]
	v_cmp_lt_u32_e32 vcc, s15, v28
	v_mov_b32_e32 v42, 0
	v_mov_b32_e32 v44, 0
	s_and_saveexec_b64 s[4:5], vcc
	s_cbranch_execz .LBB612_89
; %bb.84:                               ;   in Loop: Header=BB612_17 Depth=1
	v_lshrrev_b32_e32 v30, 24, v28
	v_cmp_ne_u32_e32 vcc, s13, v30
	v_bfrev_b32_e32 v44, 1
	s_and_saveexec_b64 s[6:7], vcc
	s_cbranch_execz .LBB612_88
; %bb.85:                               ;   in Loop: Header=BB612_17 Depth=1
	v_bfe_u32 v23, v28, 24, 7
	v_cmp_ne_u32_e32 vcc, s14, v23
	v_mov_b32_e32 v44, 0x7f800001
	s_and_saveexec_b64 s[10:11], vcc
	s_cbranch_execz .LBB612_87
; %bb.86:                               ;   in Loop: Header=BB612_17 Depth=1
	v_and_b32_e32 v28, 7, v30
	v_ffbh_u32_e32 v52, v28
	v_min_u32_e32 v54, 32, v52
	v_subrev_u32_e32 v52, 28, v54
	v_lshlrev_b64 v[52:53], v52, v[30:31]
	v_lshrrev_b32_e32 v44, 3, v23
	v_sub_u32_e32 v53, 29, v54
	v_and_b32_e32 v52, 7, v52
	v_cmp_gt_u32_e32 vcc, 8, v23
	v_cndmask_b32_e32 v23, v44, v53, vcc
	v_cndmask_b32_e32 v28, v28, v52, vcc
	v_lshlrev_b32_e32 v30, 24, v30
	v_lshlrev_b32_e32 v28, 20, v28
	v_and_b32_e32 v30, 0x80000000, v30
	v_lshl_add_u32 v23, v23, 23, v38
	v_or3_b32 v44, v30, v23, v28
.LBB612_87:                             ;   in Loop: Header=BB612_17 Depth=1
	s_or_b64 exec, exec, s[10:11]
.LBB612_88:                             ;   in Loop: Header=BB612_17 Depth=1
	s_or_b64 exec, exec, s[6:7]
.LBB612_89:                             ;   in Loop: Header=BB612_17 Depth=1
	s_or_b64 exec, exec, s[4:5]
	s_waitcnt vmcnt(0)
	v_cmp_ne_u16_sdwa s[6:7], v26, v35 src0_sel:BYTE_0 src1_sel:DWORD
	s_and_saveexec_b64 s[4:5], s[6:7]
	s_cbranch_execz .LBB612_95
; %bb.90:                               ;   in Loop: Header=BB612_17 Depth=1
	v_cmp_ne_u16_sdwa s[10:11], v26, s13 src0_sel:BYTE_0 src1_sel:DWORD
	v_bfrev_b32_e32 v42, 1
	s_and_saveexec_b64 s[6:7], s[10:11]
	s_cbranch_execz .LBB612_94
; %bb.91:                               ;   in Loop: Header=BB612_17 Depth=1
	v_and_b32_e32 v23, 0x7f, v26
	v_cmp_ne_u32_e32 vcc, s14, v23
	v_mov_b32_e32 v42, 0x7f800001
	s_and_saveexec_b64 s[10:11], vcc
	s_cbranch_execz .LBB612_93
; %bb.92:                               ;   in Loop: Header=BB612_17 Depth=1
	v_and_b32_e32 v28, 7, v26
	v_ffbh_u32_e32 v42, v28
	v_min_u32_e32 v42, 32, v42
	v_subrev_u32_e32 v52, 28, v42
	v_lshlrev_b64 v[52:53], v52, v[26:27]
	v_lshrrev_b32_e32 v30, 3, v23
	v_sub_u32_e32 v42, 29, v42
	v_and_b32_e32 v52, 7, v52
	v_cmp_gt_u32_e32 vcc, 8, v23
	v_cndmask_b32_e32 v23, v30, v42, vcc
	v_cndmask_b32_e32 v28, v28, v52, vcc
	v_lshlrev_b32_e32 v30, 24, v26
	v_lshlrev_b32_e32 v28, 20, v28
	v_and_b32_e32 v30, 0x80000000, v30
	v_lshl_add_u32 v23, v23, 23, v38
	v_or3_b32 v42, v30, v23, v28
.LBB612_93:                             ;   in Loop: Header=BB612_17 Depth=1
	s_or_b64 exec, exec, s[10:11]
.LBB612_94:                             ;   in Loop: Header=BB612_17 Depth=1
	s_or_b64 exec, exec, s[6:7]
.LBB612_95:                             ;   in Loop: Header=BB612_17 Depth=1
	s_or_b64 exec, exec, s[4:5]
	v_lshrrev_b16_e32 v28, 8, v26
	v_cmp_ne_u16_e32 vcc, 0, v28
	v_mov_b32_e32 v52, 0
	v_mov_b32_e32 v53, 0
	s_and_saveexec_b64 s[4:5], vcc
	s_cbranch_execz .LBB612_101
; %bb.96:                               ;   in Loop: Header=BB612_17 Depth=1
	v_cmp_ne_u16_e32 vcc, s13, v28
	v_bfrev_b32_e32 v53, 1
	s_and_saveexec_b64 s[6:7], vcc
	s_cbranch_execz .LBB612_100
; %bb.97:                               ;   in Loop: Header=BB612_17 Depth=1
	v_and_b32_e32 v23, 0x7f, v28
	v_cmp_ne_u32_e32 vcc, s14, v23
	v_mov_b32_e32 v53, 0x7f800001
	s_and_saveexec_b64 s[10:11], vcc
	s_cbranch_execz .LBB612_99
; %bb.98:                               ;   in Loop: Header=BB612_17 Depth=1
	v_and_b32_e32 v30, 7, v28
	v_ffbh_u32_e32 v54, v30
	v_min_u32_e32 v56, 32, v54
	v_subrev_u32_e32 v54, 28, v56
	v_lshlrev_b64 v[54:55], v54, v[28:29]
	v_lshrrev_b32_e32 v53, 3, v23
	v_sub_u32_e32 v28, 29, v56
	v_and_b32_e32 v54, 7, v54
	v_cmp_gt_u32_e32 vcc, 8, v23
	v_cndmask_b32_e32 v23, v53, v28, vcc
	v_cndmask_b32_e32 v28, v30, v54, vcc
	v_lshlrev_b32_e32 v30, 16, v26
	v_lshlrev_b32_e32 v28, 20, v28
	v_and_b32_e32 v30, 0x80000000, v30
	v_lshl_add_u32 v23, v23, 23, v38
	v_or3_b32 v53, v30, v23, v28
.LBB612_99:                             ;   in Loop: Header=BB612_17 Depth=1
	s_or_b64 exec, exec, s[10:11]
.LBB612_100:                            ;   in Loop: Header=BB612_17 Depth=1
	s_or_b64 exec, exec, s[6:7]
.LBB612_101:                            ;   in Loop: Header=BB612_17 Depth=1
	s_or_b64 exec, exec, s[4:5]
	v_lshrrev_b32_e32 v28, 16, v26
	v_cmp_ne_u16_sdwa s[6:7], v28, v35 src0_sel:BYTE_0 src1_sel:DWORD
	s_and_saveexec_b64 s[4:5], s[6:7]
	s_cbranch_execz .LBB612_107
; %bb.102:                              ;   in Loop: Header=BB612_17 Depth=1
	v_cmp_ne_u16_sdwa s[10:11], v28, s13 src0_sel:BYTE_0 src1_sel:DWORD
	v_bfrev_b32_e32 v52, 1
	s_and_saveexec_b64 s[6:7], s[10:11]
	s_cbranch_execz .LBB612_106
; %bb.103:                              ;   in Loop: Header=BB612_17 Depth=1
	v_bfe_u32 v23, v26, 16, 7
	v_cmp_ne_u32_e32 vcc, s14, v23
	v_mov_b32_e32 v52, 0x7f800001
	s_and_saveexec_b64 s[10:11], vcc
	s_cbranch_execz .LBB612_105
; %bb.104:                              ;   in Loop: Header=BB612_17 Depth=1
	v_and_b32_e32 v30, 7, v28
	v_ffbh_u32_e32 v54, v30
	v_min_u32_e32 v56, 32, v54
	v_subrev_u32_e32 v54, 28, v56
	v_lshlrev_b64 v[54:55], v54, v[28:29]
	v_lshrrev_b32_e32 v52, 3, v23
	v_sub_u32_e32 v55, 29, v56
	v_and_b32_e32 v54, 7, v54
	v_cmp_gt_u32_e32 vcc, 8, v23
	v_cndmask_b32_e32 v23, v52, v55, vcc
	v_cndmask_b32_e32 v30, v30, v54, vcc
	v_lshlrev_b32_e32 v28, 24, v28
	v_lshlrev_b32_e32 v30, 20, v30
	v_and_b32_e32 v28, 0x80000000, v28
	v_lshl_add_u32 v23, v23, 23, v38
	v_or3_b32 v52, v28, v23, v30
.LBB612_105:                            ;   in Loop: Header=BB612_17 Depth=1
	s_or_b64 exec, exec, s[10:11]
.LBB612_106:                            ;   in Loop: Header=BB612_17 Depth=1
	s_or_b64 exec, exec, s[6:7]
.LBB612_107:                            ;   in Loop: Header=BB612_17 Depth=1
	s_or_b64 exec, exec, s[4:5]
	v_cmp_lt_u32_e32 vcc, s15, v26
	v_mov_b32_e32 v23, 0
	v_mov_b32_e32 v54, 0
	s_and_saveexec_b64 s[4:5], vcc
	s_cbranch_execz .LBB612_113
; %bb.108:                              ;   in Loop: Header=BB612_17 Depth=1
	v_lshrrev_b32_e32 v28, 24, v26
	v_cmp_ne_u32_e32 vcc, s13, v28
	v_bfrev_b32_e32 v54, 1
	s_and_saveexec_b64 s[6:7], vcc
	s_cbranch_execz .LBB612_112
; %bb.109:                              ;   in Loop: Header=BB612_17 Depth=1
	v_bfe_u32 v26, v26, 24, 7
	v_cmp_ne_u32_e32 vcc, s14, v26
	v_mov_b32_e32 v54, 0x7f800001
	s_and_saveexec_b64 s[10:11], vcc
	s_cbranch_execz .LBB612_111
; %bb.110:                              ;   in Loop: Header=BB612_17 Depth=1
	v_and_b32_e32 v30, 7, v28
	v_ffbh_u32_e32 v54, v30
	v_min_u32_e32 v57, 32, v54
	v_subrev_u32_e32 v54, 28, v57
	v_lshlrev_b64 v[54:55], v54, v[28:29]
	v_lshrrev_b32_e32 v56, 3, v26
	v_sub_u32_e32 v55, 29, v57
	v_and_b32_e32 v54, 7, v54
	v_cmp_gt_u32_e32 vcc, 8, v26
	v_cndmask_b32_e32 v26, v56, v55, vcc
	v_cndmask_b32_e32 v30, v30, v54, vcc
	v_lshlrev_b32_e32 v28, 24, v28
	v_lshlrev_b32_e32 v30, 20, v30
	v_and_b32_e32 v28, 0x80000000, v28
	v_lshl_add_u32 v26, v26, 23, v38
	v_or3_b32 v54, v28, v26, v30
.LBB612_111:                            ;   in Loop: Header=BB612_17 Depth=1
	s_or_b64 exec, exec, s[10:11]
.LBB612_112:                            ;   in Loop: Header=BB612_17 Depth=1
	s_or_b64 exec, exec, s[6:7]
.LBB612_113:                            ;   in Loop: Header=BB612_17 Depth=1
	s_or_b64 exec, exec, s[4:5]
	v_cvt_pkrtz_f16_f32 v57, v32, v44
	buffer_load_dword v32, v36, s[0:3], 0 offen offset:16
	buffer_load_dword v30, v36, s[0:3], 0 offen offset:20
	;; [unrolled: 1-line block ×4, first 2 shown]
	v_cvt_pkrtz_f16_f32 v56, v34, v40
	s_waitcnt vmcnt(3)
	v_cmp_ne_u16_sdwa s[6:7], v32, v35 src0_sel:BYTE_0 src1_sel:DWORD
	v_mfma_f32_16x16x16f16 v[18:21], v[56:57], v[6:7], v[18:21]
	v_cvt_pkrtz_f16_f32 v56, v42, v53
	v_cvt_pkrtz_f16_f32 v57, v52, v54
	s_nop 1
	v_mfma_f32_16x16x16f16 v[18:21], v[56:57], v[8:9], v[18:21]
	s_and_saveexec_b64 s[4:5], s[6:7]
	s_cbranch_execz .LBB612_119
; %bb.114:                              ;   in Loop: Header=BB612_17 Depth=1
	v_cmp_ne_u16_sdwa s[10:11], v32, s13 src0_sel:BYTE_0 src1_sel:DWORD
	v_bfrev_b32_e32 v23, 1
	s_and_saveexec_b64 s[6:7], s[10:11]
	s_cbranch_execz .LBB612_118
; %bb.115:                              ;   in Loop: Header=BB612_17 Depth=1
	v_and_b32_e32 v34, 0x7f, v32
	v_cmp_ne_u32_e32 vcc, s14, v34
	v_mov_b32_e32 v23, 0x7f800001
	s_and_saveexec_b64 s[10:11], vcc
	s_cbranch_execz .LBB612_117
; %bb.116:                              ;   in Loop: Header=BB612_17 Depth=1
	v_and_b32_e32 v23, 7, v32
	v_ffbh_u32_e32 v42, v23
	v_min_u32_e32 v42, 32, v42
	v_subrev_u32_e32 v44, 28, v42
	v_lshlrev_b64 v[52:53], v44, v[32:33]
	v_lshrrev_b32_e32 v40, 3, v34
	v_sub_u32_e32 v42, 29, v42
	v_and_b32_e32 v44, 7, v52
	v_cmp_gt_u32_e32 vcc, 8, v34
	v_cndmask_b32_e32 v34, v40, v42, vcc
	v_cndmask_b32_e32 v23, v23, v44, vcc
	v_lshlrev_b32_e32 v40, 24, v32
	v_lshlrev_b32_e32 v23, 20, v23
	v_and_b32_e32 v40, 0x80000000, v40
	v_lshl_add_u32 v34, v34, 23, v38
	v_or3_b32 v23, v40, v34, v23
.LBB612_117:                            ;   in Loop: Header=BB612_17 Depth=1
	s_or_b64 exec, exec, s[10:11]
.LBB612_118:                            ;   in Loop: Header=BB612_17 Depth=1
	s_or_b64 exec, exec, s[6:7]
.LBB612_119:                            ;   in Loop: Header=BB612_17 Depth=1
	s_or_b64 exec, exec, s[4:5]
	v_lshrrev_b16_e32 v34, 8, v32
	v_cmp_ne_u16_e32 vcc, 0, v34
	v_mov_b32_e32 v40, 0
	v_mov_b32_e32 v42, 0
	s_and_saveexec_b64 s[4:5], vcc
	s_cbranch_execz .LBB612_125
; %bb.120:                              ;   in Loop: Header=BB612_17 Depth=1
	v_cmp_ne_u16_e32 vcc, s13, v34
	v_bfrev_b32_e32 v42, 1
	s_and_saveexec_b64 s[6:7], vcc
	s_cbranch_execz .LBB612_124
; %bb.121:                              ;   in Loop: Header=BB612_17 Depth=1
	v_and_b32_e32 v44, 0x7f, v34
	v_cmp_ne_u32_e32 vcc, s14, v44
	v_mov_b32_e32 v42, 0x7f800001
	s_and_saveexec_b64 s[10:11], vcc
	s_cbranch_execz .LBB612_123
; %bb.122:                              ;   in Loop: Header=BB612_17 Depth=1
	v_and_b32_e32 v42, 7, v34
	v_ffbh_u32_e32 v52, v42
	v_min_u32_e32 v55, 32, v52
	v_subrev_u32_e32 v52, 28, v55
	v_lshlrev_b64 v[52:53], v52, v[34:35]
	v_lshrrev_b32_e32 v54, 3, v44
	v_sub_u32_e32 v34, 29, v55
	v_and_b32_e32 v52, 7, v52
	v_cmp_gt_u32_e32 vcc, 8, v44
	v_cndmask_b32_e32 v34, v54, v34, vcc
	v_cndmask_b32_e32 v42, v42, v52, vcc
	v_lshlrev_b32_e32 v44, 16, v32
	v_lshlrev_b32_e32 v42, 20, v42
	v_and_b32_e32 v44, 0x80000000, v44
	v_lshl_add_u32 v34, v34, 23, v38
	v_or3_b32 v42, v44, v34, v42
.LBB612_123:                            ;   in Loop: Header=BB612_17 Depth=1
	s_or_b64 exec, exec, s[10:11]
.LBB612_124:                            ;   in Loop: Header=BB612_17 Depth=1
	s_or_b64 exec, exec, s[6:7]
.LBB612_125:                            ;   in Loop: Header=BB612_17 Depth=1
	s_or_b64 exec, exec, s[4:5]
	v_lshrrev_b32_e32 v34, 16, v32
	v_cmp_ne_u16_sdwa s[6:7], v34, v35 src0_sel:BYTE_0 src1_sel:DWORD
	s_and_saveexec_b64 s[4:5], s[6:7]
	s_cbranch_execz .LBB612_131
; %bb.126:                              ;   in Loop: Header=BB612_17 Depth=1
	v_cmp_ne_u16_sdwa s[10:11], v34, s13 src0_sel:BYTE_0 src1_sel:DWORD
	v_bfrev_b32_e32 v40, 1
	s_and_saveexec_b64 s[6:7], s[10:11]
	s_cbranch_execz .LBB612_130
; %bb.127:                              ;   in Loop: Header=BB612_17 Depth=1
	v_bfe_u32 v44, v32, 16, 7
	v_cmp_ne_u32_e32 vcc, s14, v44
	v_mov_b32_e32 v40, 0x7f800001
	s_and_saveexec_b64 s[10:11], vcc
	s_cbranch_execz .LBB612_129
; %bb.128:                              ;   in Loop: Header=BB612_17 Depth=1
	v_and_b32_e32 v40, 7, v34
	v_ffbh_u32_e32 v52, v40
	v_min_u32_e32 v55, 32, v52
	v_subrev_u32_e32 v52, 28, v55
	v_lshlrev_b64 v[52:53], v52, v[34:35]
	v_lshrrev_b32_e32 v54, 3, v44
	v_sub_u32_e32 v53, 29, v55
	v_and_b32_e32 v52, 7, v52
	v_cmp_gt_u32_e32 vcc, 8, v44
	v_cndmask_b32_e32 v44, v54, v53, vcc
	v_cndmask_b32_e32 v40, v40, v52, vcc
	v_lshlrev_b32_e32 v34, 24, v34
	v_lshlrev_b32_e32 v40, 20, v40
	v_and_b32_e32 v34, 0x80000000, v34
	v_lshl_add_u32 v44, v44, 23, v38
	v_or3_b32 v40, v34, v44, v40
.LBB612_129:                            ;   in Loop: Header=BB612_17 Depth=1
	s_or_b64 exec, exec, s[10:11]
.LBB612_130:                            ;   in Loop: Header=BB612_17 Depth=1
	s_or_b64 exec, exec, s[6:7]
.LBB612_131:                            ;   in Loop: Header=BB612_17 Depth=1
	s_or_b64 exec, exec, s[4:5]
	v_cmp_lt_u32_e32 vcc, s15, v32
	v_mov_b32_e32 v44, 0
	v_mov_b32_e32 v52, 0
	s_and_saveexec_b64 s[4:5], vcc
	s_cbranch_execz .LBB612_137
; %bb.132:                              ;   in Loop: Header=BB612_17 Depth=1
	v_lshrrev_b32_e32 v34, 24, v32
	v_cmp_ne_u32_e32 vcc, s13, v34
	v_bfrev_b32_e32 v52, 1
	s_and_saveexec_b64 s[6:7], vcc
	s_cbranch_execz .LBB612_136
; %bb.133:                              ;   in Loop: Header=BB612_17 Depth=1
	v_bfe_u32 v32, v32, 24, 7
	v_cmp_ne_u32_e32 vcc, s14, v32
	v_mov_b32_e32 v52, 0x7f800001
	s_and_saveexec_b64 s[10:11], vcc
	s_cbranch_execz .LBB612_135
; %bb.134:                              ;   in Loop: Header=BB612_17 Depth=1
	v_and_b32_e32 v54, 7, v34
	v_ffbh_u32_e32 v52, v54
	v_min_u32_e32 v56, 32, v52
	v_subrev_u32_e32 v52, 28, v56
	v_lshlrev_b64 v[52:53], v52, v[34:35]
	v_lshrrev_b32_e32 v55, 3, v32
	v_sub_u32_e32 v53, 29, v56
	v_and_b32_e32 v52, 7, v52
	v_cmp_gt_u32_e32 vcc, 8, v32
	v_cndmask_b32_e32 v32, v55, v53, vcc
	v_cndmask_b32_e32 v52, v54, v52, vcc
	v_lshlrev_b32_e32 v34, 24, v34
	v_lshlrev_b32_e32 v52, 20, v52
	v_and_b32_e32 v34, 0x80000000, v34
	v_lshl_add_u32 v32, v32, 23, v38
	v_or3_b32 v52, v34, v32, v52
.LBB612_135:                            ;   in Loop: Header=BB612_17 Depth=1
	s_or_b64 exec, exec, s[10:11]
.LBB612_136:                            ;   in Loop: Header=BB612_17 Depth=1
	s_or_b64 exec, exec, s[6:7]
.LBB612_137:                            ;   in Loop: Header=BB612_17 Depth=1
	s_or_b64 exec, exec, s[4:5]
	s_waitcnt vmcnt(2)
	v_cmp_ne_u16_sdwa s[6:7], v30, v35 src0_sel:BYTE_0 src1_sel:DWORD
	s_and_saveexec_b64 s[4:5], s[6:7]
	s_cbranch_execz .LBB612_143
; %bb.138:                              ;   in Loop: Header=BB612_17 Depth=1
	v_cmp_ne_u16_sdwa s[10:11], v30, s13 src0_sel:BYTE_0 src1_sel:DWORD
	v_bfrev_b32_e32 v44, 1
	s_and_saveexec_b64 s[6:7], s[10:11]
	s_cbranch_execz .LBB612_142
; %bb.139:                              ;   in Loop: Header=BB612_17 Depth=1
	v_and_b32_e32 v32, 0x7f, v30
	v_cmp_ne_u32_e32 vcc, s14, v32
	v_mov_b32_e32 v44, 0x7f800001
	s_and_saveexec_b64 s[10:11], vcc
	s_cbranch_execz .LBB612_141
; %bb.140:                              ;   in Loop: Header=BB612_17 Depth=1
	v_and_b32_e32 v34, 7, v30
	v_ffbh_u32_e32 v53, v34
	v_min_u32_e32 v53, 32, v53
	v_subrev_u32_e32 v54, 28, v53
	v_lshlrev_b64 v[54:55], v54, v[30:31]
	v_lshrrev_b32_e32 v44, 3, v32
	v_sub_u32_e32 v53, 29, v53
	v_and_b32_e32 v54, 7, v54
	v_cmp_gt_u32_e32 vcc, 8, v32
	v_cndmask_b32_e32 v32, v44, v53, vcc
	v_cndmask_b32_e32 v34, v34, v54, vcc
	v_lshlrev_b32_e32 v44, 24, v30
	v_lshlrev_b32_e32 v34, 20, v34
	v_and_b32_e32 v44, 0x80000000, v44
	v_lshl_add_u32 v32, v32, 23, v38
	v_or3_b32 v44, v44, v32, v34
.LBB612_141:                            ;   in Loop: Header=BB612_17 Depth=1
	s_or_b64 exec, exec, s[10:11]
.LBB612_142:                            ;   in Loop: Header=BB612_17 Depth=1
	s_or_b64 exec, exec, s[6:7]
.LBB612_143:                            ;   in Loop: Header=BB612_17 Depth=1
	s_or_b64 exec, exec, s[4:5]
	v_lshrrev_b16_e32 v32, 8, v30
	v_cmp_ne_u16_e32 vcc, 0, v32
	v_mov_b32_e32 v53, 0
	v_mov_b32_e32 v54, 0
	s_and_saveexec_b64 s[4:5], vcc
	s_cbranch_execz .LBB612_149
; %bb.144:                              ;   in Loop: Header=BB612_17 Depth=1
	v_cmp_ne_u16_e32 vcc, s13, v32
	v_bfrev_b32_e32 v54, 1
	s_and_saveexec_b64 s[6:7], vcc
	s_cbranch_execz .LBB612_148
; %bb.145:                              ;   in Loop: Header=BB612_17 Depth=1
	v_and_b32_e32 v34, 0x7f, v32
	v_cmp_ne_u32_e32 vcc, s14, v34
	v_mov_b32_e32 v54, 0x7f800001
	s_and_saveexec_b64 s[10:11], vcc
	s_cbranch_execz .LBB612_147
; %bb.146:                              ;   in Loop: Header=BB612_17 Depth=1
	v_and_b32_e32 v56, 7, v32
	v_ffbh_u32_e32 v54, v56
	v_min_u32_e32 v58, 32, v54
	v_subrev_u32_e32 v54, 28, v58
	v_lshlrev_b64 v[54:55], v54, v[32:33]
	v_lshrrev_b32_e32 v57, 3, v34
	v_sub_u32_e32 v32, 29, v58
	v_and_b32_e32 v54, 7, v54
	v_cmp_gt_u32_e32 vcc, 8, v34
	v_cndmask_b32_e32 v32, v57, v32, vcc
	v_cndmask_b32_e32 v34, v56, v54, vcc
	v_lshlrev_b32_e32 v54, 16, v30
	v_lshlrev_b32_e32 v34, 20, v34
	v_and_b32_e32 v54, 0x80000000, v54
	v_lshl_add_u32 v32, v32, 23, v38
	v_or3_b32 v54, v54, v32, v34
.LBB612_147:                            ;   in Loop: Header=BB612_17 Depth=1
	s_or_b64 exec, exec, s[10:11]
.LBB612_148:                            ;   in Loop: Header=BB612_17 Depth=1
	s_or_b64 exec, exec, s[6:7]
.LBB612_149:                            ;   in Loop: Header=BB612_17 Depth=1
	s_or_b64 exec, exec, s[4:5]
	v_lshrrev_b32_e32 v32, 16, v30
	v_cmp_ne_u16_sdwa s[6:7], v32, v35 src0_sel:BYTE_0 src1_sel:DWORD
	s_and_saveexec_b64 s[4:5], s[6:7]
	s_cbranch_execz .LBB612_155
; %bb.150:                              ;   in Loop: Header=BB612_17 Depth=1
	v_cmp_ne_u16_sdwa s[10:11], v32, s13 src0_sel:BYTE_0 src1_sel:DWORD
	v_bfrev_b32_e32 v53, 1
	s_and_saveexec_b64 s[6:7], s[10:11]
	s_cbranch_execz .LBB612_154
; %bb.151:                              ;   in Loop: Header=BB612_17 Depth=1
	v_bfe_u32 v34, v30, 16, 7
	v_cmp_ne_u32_e32 vcc, s14, v34
	v_mov_b32_e32 v53, 0x7f800001
	s_and_saveexec_b64 s[10:11], vcc
	s_cbranch_execz .LBB612_153
; %bb.152:                              ;   in Loop: Header=BB612_17 Depth=1
	v_and_b32_e32 v53, 7, v32
	v_ffbh_u32_e32 v56, v53
	v_min_u32_e32 v58, 32, v56
	v_subrev_u32_e32 v56, 28, v58
	v_lshlrev_b64 v[56:57], v56, v[32:33]
	v_lshrrev_b32_e32 v55, 3, v34
	v_sub_u32_e32 v57, 29, v58
	v_and_b32_e32 v56, 7, v56
	v_cmp_gt_u32_e32 vcc, 8, v34
	v_cndmask_b32_e32 v34, v55, v57, vcc
	v_cndmask_b32_e32 v53, v53, v56, vcc
	v_lshlrev_b32_e32 v32, 24, v32
	v_lshlrev_b32_e32 v53, 20, v53
	v_and_b32_e32 v32, 0x80000000, v32
	v_lshl_add_u32 v34, v34, 23, v38
	v_or3_b32 v53, v32, v34, v53
.LBB612_153:                            ;   in Loop: Header=BB612_17 Depth=1
	s_or_b64 exec, exec, s[10:11]
.LBB612_154:                            ;   in Loop: Header=BB612_17 Depth=1
	s_or_b64 exec, exec, s[6:7]
.LBB612_155:                            ;   in Loop: Header=BB612_17 Depth=1
	s_or_b64 exec, exec, s[4:5]
	v_cmp_lt_u32_e32 vcc, s15, v30
	v_mov_b32_e32 v34, 0
	v_mov_b32_e32 v55, 0
	s_and_saveexec_b64 s[4:5], vcc
	s_cbranch_execz .LBB612_161
; %bb.156:                              ;   in Loop: Header=BB612_17 Depth=1
	v_lshrrev_b32_e32 v32, 24, v30
	v_cmp_ne_u32_e32 vcc, s13, v32
	v_bfrev_b32_e32 v55, 1
	s_and_saveexec_b64 s[6:7], vcc
	s_cbranch_execz .LBB612_160
; %bb.157:                              ;   in Loop: Header=BB612_17 Depth=1
	v_bfe_u32 v30, v30, 24, 7
	v_cmp_ne_u32_e32 vcc, s14, v30
	v_mov_b32_e32 v55, 0x7f800001
	s_and_saveexec_b64 s[10:11], vcc
	s_cbranch_execz .LBB612_159
; %bb.158:                              ;   in Loop: Header=BB612_17 Depth=1
	v_and_b32_e32 v55, 7, v32
	v_ffbh_u32_e32 v56, v55
	v_min_u32_e32 v59, 32, v56
	v_subrev_u32_e32 v56, 28, v59
	v_lshlrev_b64 v[56:57], v56, v[32:33]
	v_lshrrev_b32_e32 v58, 3, v30
	v_sub_u32_e32 v57, 29, v59
	v_and_b32_e32 v56, 7, v56
	v_cmp_gt_u32_e32 vcc, 8, v30
	v_cndmask_b32_e32 v30, v58, v57, vcc
	v_cndmask_b32_e32 v55, v55, v56, vcc
	v_lshlrev_b32_e32 v32, 24, v32
	v_lshlrev_b32_e32 v55, 20, v55
	v_and_b32_e32 v32, 0x80000000, v32
	v_lshl_add_u32 v30, v30, 23, v38
	v_or3_b32 v55, v32, v30, v55
.LBB612_159:                            ;   in Loop: Header=BB612_17 Depth=1
	s_or_b64 exec, exec, s[10:11]
.LBB612_160:                            ;   in Loop: Header=BB612_17 Depth=1
	s_or_b64 exec, exec, s[6:7]
.LBB612_161:                            ;   in Loop: Header=BB612_17 Depth=1
	s_or_b64 exec, exec, s[4:5]
	v_cvt_pkrtz_f16_f32 v56, v23, v42
	v_cvt_pkrtz_f16_f32 v57, v40, v52
	;; [unrolled: 1-line block ×4, first 2 shown]
	s_waitcnt vmcnt(1)
	v_cmp_ne_u16_sdwa s[6:7], v28, v35 src0_sel:BYTE_0 src1_sel:DWORD
	v_mfma_f32_16x16x16f16 v[18:21], v[56:57], v[10:11], v[18:21]
	v_mfma_f32_16x16x16f16 v[18:21], v[52:53], v[12:13], v[18:21]
	s_and_saveexec_b64 s[4:5], s[6:7]
	s_cbranch_execz .LBB612_167
; %bb.162:                              ;   in Loop: Header=BB612_17 Depth=1
	v_cmp_ne_u16_sdwa s[10:11], v28, s13 src0_sel:BYTE_0 src1_sel:DWORD
	v_bfrev_b32_e32 v34, 1
	s_and_saveexec_b64 s[6:7], s[10:11]
	s_cbranch_execz .LBB612_166
; %bb.163:                              ;   in Loop: Header=BB612_17 Depth=1
	v_and_b32_e32 v23, 0x7f, v28
	v_cmp_ne_u32_e32 vcc, s14, v23
	v_mov_b32_e32 v34, 0x7f800001
	s_and_saveexec_b64 s[10:11], vcc
	s_cbranch_execz .LBB612_165
; %bb.164:                              ;   in Loop: Header=BB612_17 Depth=1
	v_and_b32_e32 v30, 7, v28
	v_ffbh_u32_e32 v34, v30
	v_min_u32_e32 v34, 32, v34
	v_subrev_u32_e32 v40, 28, v34
	v_lshlrev_b64 v[52:53], v40, v[28:29]
	v_lshrrev_b32_e32 v32, 3, v23
	v_sub_u32_e32 v34, 29, v34
	v_and_b32_e32 v40, 7, v52
	v_cmp_gt_u32_e32 vcc, 8, v23
	v_cndmask_b32_e32 v23, v32, v34, vcc
	v_cndmask_b32_e32 v30, v30, v40, vcc
	v_lshlrev_b32_e32 v32, 24, v28
	v_lshlrev_b32_e32 v30, 20, v30
	v_and_b32_e32 v32, 0x80000000, v32
	v_lshl_add_u32 v23, v23, 23, v38
	v_or3_b32 v34, v32, v23, v30
.LBB612_165:                            ;   in Loop: Header=BB612_17 Depth=1
	s_or_b64 exec, exec, s[10:11]
.LBB612_166:                            ;   in Loop: Header=BB612_17 Depth=1
	s_or_b64 exec, exec, s[6:7]
.LBB612_167:                            ;   in Loop: Header=BB612_17 Depth=1
	s_or_b64 exec, exec, s[4:5]
	v_lshrrev_b16_e32 v30, 8, v28
	v_cmp_ne_u16_e32 vcc, 0, v30
	v_mov_b32_e32 v23, 0
	v_mov_b32_e32 v32, 0
	s_and_saveexec_b64 s[4:5], vcc
	s_cbranch_execz .LBB612_173
; %bb.168:                              ;   in Loop: Header=BB612_17 Depth=1
	v_cmp_ne_u16_e32 vcc, s13, v30
	v_bfrev_b32_e32 v32, 1
	s_and_saveexec_b64 s[6:7], vcc
	s_cbranch_execz .LBB612_172
; %bb.169:                              ;   in Loop: Header=BB612_17 Depth=1
	v_and_b32_e32 v40, 0x7f, v30
	v_cmp_ne_u32_e32 vcc, s14, v40
	v_mov_b32_e32 v32, 0x7f800001
	s_and_saveexec_b64 s[10:11], vcc
	s_cbranch_execz .LBB612_171
; %bb.170:                              ;   in Loop: Header=BB612_17 Depth=1
	v_and_b32_e32 v32, 7, v30
	v_ffbh_u32_e32 v44, v32
	v_min_u32_e32 v44, 32, v44
	v_subrev_u32_e32 v52, 28, v44
	v_lshlrev_b64 v[52:53], v52, v[30:31]
	v_lshrrev_b32_e32 v42, 3, v40
	v_sub_u32_e32 v30, 29, v44
	v_and_b32_e32 v44, 7, v52
	v_cmp_gt_u32_e32 vcc, 8, v40
	v_cndmask_b32_e32 v30, v42, v30, vcc
	v_cndmask_b32_e32 v32, v32, v44, vcc
	v_lshlrev_b32_e32 v40, 16, v28
	v_lshlrev_b32_e32 v32, 20, v32
	v_and_b32_e32 v40, 0x80000000, v40
	v_lshl_add_u32 v30, v30, 23, v38
	v_or3_b32 v32, v40, v30, v32
.LBB612_171:                            ;   in Loop: Header=BB612_17 Depth=1
	s_or_b64 exec, exec, s[10:11]
.LBB612_172:                            ;   in Loop: Header=BB612_17 Depth=1
	s_or_b64 exec, exec, s[6:7]
.LBB612_173:                            ;   in Loop: Header=BB612_17 Depth=1
	s_or_b64 exec, exec, s[4:5]
	v_lshrrev_b32_e32 v30, 16, v28
	v_cmp_ne_u16_sdwa s[6:7], v30, v35 src0_sel:BYTE_0 src1_sel:DWORD
	s_and_saveexec_b64 s[4:5], s[6:7]
	s_cbranch_execz .LBB612_179
; %bb.174:                              ;   in Loop: Header=BB612_17 Depth=1
	v_cmp_ne_u16_sdwa s[10:11], v30, s13 src0_sel:BYTE_0 src1_sel:DWORD
	v_bfrev_b32_e32 v23, 1
	s_and_saveexec_b64 s[6:7], s[10:11]
	s_cbranch_execz .LBB612_178
; %bb.175:                              ;   in Loop: Header=BB612_17 Depth=1
	v_bfe_u32 v40, v28, 16, 7
	v_cmp_ne_u32_e32 vcc, s14, v40
	v_mov_b32_e32 v23, 0x7f800001
	s_and_saveexec_b64 s[10:11], vcc
	s_cbranch_execz .LBB612_177
; %bb.176:                              ;   in Loop: Header=BB612_17 Depth=1
	v_and_b32_e32 v23, 7, v30
	v_ffbh_u32_e32 v44, v23
	v_min_u32_e32 v44, 32, v44
	v_subrev_u32_e32 v52, 28, v44
	v_lshlrev_b64 v[52:53], v52, v[30:31]
	v_lshrrev_b32_e32 v42, 3, v40
	v_sub_u32_e32 v44, 29, v44
	v_and_b32_e32 v52, 7, v52
	v_cmp_gt_u32_e32 vcc, 8, v40
	v_cndmask_b32_e32 v40, v42, v44, vcc
	v_cndmask_b32_e32 v23, v23, v52, vcc
	v_lshlrev_b32_e32 v30, 24, v30
	v_lshlrev_b32_e32 v23, 20, v23
	v_and_b32_e32 v30, 0x80000000, v30
	v_lshl_add_u32 v40, v40, 23, v38
	v_or3_b32 v23, v30, v40, v23
.LBB612_177:                            ;   in Loop: Header=BB612_17 Depth=1
	s_or_b64 exec, exec, s[10:11]
.LBB612_178:                            ;   in Loop: Header=BB612_17 Depth=1
	s_or_b64 exec, exec, s[6:7]
.LBB612_179:                            ;   in Loop: Header=BB612_17 Depth=1
	s_or_b64 exec, exec, s[4:5]
	v_cmp_lt_u32_e32 vcc, s15, v28
	v_mov_b32_e32 v40, 0
	v_mov_b32_e32 v42, 0
	s_and_saveexec_b64 s[4:5], vcc
	s_cbranch_execz .LBB612_185
; %bb.180:                              ;   in Loop: Header=BB612_17 Depth=1
	v_lshrrev_b32_e32 v30, 24, v28
	v_cmp_ne_u32_e32 vcc, s13, v30
	v_bfrev_b32_e32 v42, 1
	s_and_saveexec_b64 s[6:7], vcc
	s_cbranch_execz .LBB612_184
; %bb.181:                              ;   in Loop: Header=BB612_17 Depth=1
	v_bfe_u32 v28, v28, 24, 7
	v_cmp_ne_u32_e32 vcc, s14, v28
	v_mov_b32_e32 v42, 0x7f800001
	s_and_saveexec_b64 s[10:11], vcc
	s_cbranch_execz .LBB612_183
; %bb.182:                              ;   in Loop: Header=BB612_17 Depth=1
	v_and_b32_e32 v42, 7, v30
	v_ffbh_u32_e32 v52, v42
	v_min_u32_e32 v54, 32, v52
	v_subrev_u32_e32 v52, 28, v54
	v_lshlrev_b64 v[52:53], v52, v[30:31]
	v_lshrrev_b32_e32 v44, 3, v28
	v_sub_u32_e32 v53, 29, v54
	v_and_b32_e32 v52, 7, v52
	v_cmp_gt_u32_e32 vcc, 8, v28
	v_cndmask_b32_e32 v28, v44, v53, vcc
	v_cndmask_b32_e32 v42, v42, v52, vcc
	v_lshlrev_b32_e32 v30, 24, v30
	v_lshlrev_b32_e32 v42, 20, v42
	v_and_b32_e32 v30, 0x80000000, v30
	v_lshl_add_u32 v28, v28, 23, v38
	v_or3_b32 v42, v30, v28, v42
.LBB612_183:                            ;   in Loop: Header=BB612_17 Depth=1
	s_or_b64 exec, exec, s[10:11]
.LBB612_184:                            ;   in Loop: Header=BB612_17 Depth=1
	s_or_b64 exec, exec, s[6:7]
.LBB612_185:                            ;   in Loop: Header=BB612_17 Depth=1
	s_or_b64 exec, exec, s[4:5]
	s_waitcnt vmcnt(0)
	v_cmp_ne_u16_sdwa s[6:7], v26, v35 src0_sel:BYTE_0 src1_sel:DWORD
	s_and_saveexec_b64 s[4:5], s[6:7]
	s_cbranch_execz .LBB612_191
; %bb.186:                              ;   in Loop: Header=BB612_17 Depth=1
	v_cmp_ne_u16_sdwa s[10:11], v26, s13 src0_sel:BYTE_0 src1_sel:DWORD
	v_bfrev_b32_e32 v40, 1
	s_and_saveexec_b64 s[6:7], s[10:11]
	s_cbranch_execz .LBB612_190
; %bb.187:                              ;   in Loop: Header=BB612_17 Depth=1
	v_and_b32_e32 v28, 0x7f, v26
	v_cmp_ne_u32_e32 vcc, s14, v28
	v_mov_b32_e32 v40, 0x7f800001
	s_and_saveexec_b64 s[10:11], vcc
	s_cbranch_execz .LBB612_189
; %bb.188:                              ;   in Loop: Header=BB612_17 Depth=1
	v_and_b32_e32 v30, 7, v26
	v_ffbh_u32_e32 v44, v30
	v_min_u32_e32 v44, 32, v44
	v_subrev_u32_e32 v52, 28, v44
	v_lshlrev_b64 v[52:53], v52, v[26:27]
	v_lshrrev_b32_e32 v40, 3, v28
	v_sub_u32_e32 v44, 29, v44
	v_and_b32_e32 v52, 7, v52
	v_cmp_gt_u32_e32 vcc, 8, v28
	v_cndmask_b32_e32 v28, v40, v44, vcc
	v_cndmask_b32_e32 v30, v30, v52, vcc
	v_lshlrev_b32_e32 v40, 24, v26
	v_lshlrev_b32_e32 v30, 20, v30
	v_and_b32_e32 v40, 0x80000000, v40
	v_lshl_add_u32 v28, v28, 23, v38
	v_or3_b32 v40, v40, v28, v30
.LBB612_189:                            ;   in Loop: Header=BB612_17 Depth=1
	s_or_b64 exec, exec, s[10:11]
.LBB612_190:                            ;   in Loop: Header=BB612_17 Depth=1
	s_or_b64 exec, exec, s[6:7]
.LBB612_191:                            ;   in Loop: Header=BB612_17 Depth=1
	s_or_b64 exec, exec, s[4:5]
	v_lshrrev_b16_e32 v28, 8, v26
	v_cmp_ne_u16_e32 vcc, 0, v28
	v_mov_b32_e32 v30, 0
	v_mov_b32_e32 v44, 0
	s_and_saveexec_b64 s[4:5], vcc
	s_cbranch_execz .LBB612_197
; %bb.192:                              ;   in Loop: Header=BB612_17 Depth=1
	v_cmp_ne_u16_e32 vcc, s13, v28
	v_bfrev_b32_e32 v44, 1
	s_and_saveexec_b64 s[6:7], vcc
	s_cbranch_execz .LBB612_196
; %bb.193:                              ;   in Loop: Header=BB612_17 Depth=1
	v_and_b32_e32 v52, 0x7f, v28
	v_cmp_ne_u32_e32 vcc, s14, v52
	v_mov_b32_e32 v44, 0x7f800001
	s_and_saveexec_b64 s[10:11], vcc
	s_cbranch_execz .LBB612_195
; %bb.194:                              ;   in Loop: Header=BB612_17 Depth=1
	v_and_b32_e32 v44, 7, v28
	v_ffbh_u32_e32 v54, v44
	v_min_u32_e32 v56, 32, v54
	v_subrev_u32_e32 v54, 28, v56
	v_lshlrev_b64 v[54:55], v54, v[28:29]
	v_lshrrev_b32_e32 v53, 3, v52
	v_sub_u32_e32 v28, 29, v56
	v_and_b32_e32 v54, 7, v54
	v_cmp_gt_u32_e32 vcc, 8, v52
	v_cndmask_b32_e32 v28, v53, v28, vcc
	v_cndmask_b32_e32 v44, v44, v54, vcc
	v_lshlrev_b32_e32 v52, 16, v26
	v_lshlrev_b32_e32 v44, 20, v44
	v_and_b32_e32 v52, 0x80000000, v52
	v_lshl_add_u32 v28, v28, 23, v38
	v_or3_b32 v44, v52, v28, v44
.LBB612_195:                            ;   in Loop: Header=BB612_17 Depth=1
	s_or_b64 exec, exec, s[10:11]
.LBB612_196:                            ;   in Loop: Header=BB612_17 Depth=1
	s_or_b64 exec, exec, s[6:7]
.LBB612_197:                            ;   in Loop: Header=BB612_17 Depth=1
	s_or_b64 exec, exec, s[4:5]
	v_lshrrev_b32_e32 v28, 16, v26
	v_cmp_ne_u16_sdwa s[6:7], v28, v35 src0_sel:BYTE_0 src1_sel:DWORD
	s_and_saveexec_b64 s[4:5], s[6:7]
	s_cbranch_execz .LBB612_203
; %bb.198:                              ;   in Loop: Header=BB612_17 Depth=1
	v_cmp_ne_u16_sdwa s[10:11], v28, s13 src0_sel:BYTE_0 src1_sel:DWORD
	v_bfrev_b32_e32 v30, 1
	s_and_saveexec_b64 s[6:7], s[10:11]
	s_cbranch_execz .LBB612_202
; %bb.199:                              ;   in Loop: Header=BB612_17 Depth=1
	v_bfe_u32 v52, v26, 16, 7
	v_cmp_ne_u32_e32 vcc, s14, v52
	v_mov_b32_e32 v30, 0x7f800001
	s_and_saveexec_b64 s[10:11], vcc
	s_cbranch_execz .LBB612_201
; %bb.200:                              ;   in Loop: Header=BB612_17 Depth=1
	v_and_b32_e32 v30, 7, v28
	v_ffbh_u32_e32 v54, v30
	v_min_u32_e32 v56, 32, v54
	v_subrev_u32_e32 v54, 28, v56
	v_lshlrev_b64 v[54:55], v54, v[28:29]
	v_lshrrev_b32_e32 v53, 3, v52
	v_sub_u32_e32 v55, 29, v56
	v_and_b32_e32 v54, 7, v54
	v_cmp_gt_u32_e32 vcc, 8, v52
	v_cndmask_b32_e32 v52, v53, v55, vcc
	v_cndmask_b32_e32 v30, v30, v54, vcc
	v_lshlrev_b32_e32 v28, 24, v28
	v_lshlrev_b32_e32 v30, 20, v30
	v_and_b32_e32 v28, 0x80000000, v28
	v_lshl_add_u32 v52, v52, 23, v38
	v_or3_b32 v30, v28, v52, v30
.LBB612_201:                            ;   in Loop: Header=BB612_17 Depth=1
	s_or_b64 exec, exec, s[10:11]
.LBB612_202:                            ;   in Loop: Header=BB612_17 Depth=1
	s_or_b64 exec, exec, s[6:7]
.LBB612_203:                            ;   in Loop: Header=BB612_17 Depth=1
	s_or_b64 exec, exec, s[4:5]
	v_cmp_lt_u32_e32 vcc, s15, v26
	v_mov_b32_e32 v52, 0
	s_and_saveexec_b64 s[4:5], vcc
	s_cbranch_execz .LBB612_16
; %bb.204:                              ;   in Loop: Header=BB612_17 Depth=1
	v_lshrrev_b32_e32 v28, 24, v26
	v_cmp_ne_u32_e32 vcc, s13, v28
	v_bfrev_b32_e32 v52, 1
	s_and_saveexec_b64 s[6:7], vcc
	s_cbranch_execz .LBB612_15
; %bb.205:                              ;   in Loop: Header=BB612_17 Depth=1
	v_bfe_u32 v26, v26, 24, 7
	v_cmp_ne_u32_e32 vcc, s14, v26
	v_mov_b32_e32 v52, 0x7f800001
	s_and_saveexec_b64 s[10:11], vcc
	s_cbranch_execz .LBB612_14
; %bb.206:                              ;   in Loop: Header=BB612_17 Depth=1
	v_and_b32_e32 v54, 7, v28
	v_ffbh_u32_e32 v52, v54
	v_min_u32_e32 v56, 32, v52
	v_subrev_u32_e32 v52, 28, v56
	v_lshlrev_b64 v[52:53], v52, v[28:29]
	v_lshrrev_b32_e32 v55, 3, v26
	v_sub_u32_e32 v53, 29, v56
	v_and_b32_e32 v52, 7, v52
	v_cmp_gt_u32_e32 vcc, 8, v26
	v_cndmask_b32_e32 v26, v55, v53, vcc
	v_cndmask_b32_e32 v52, v54, v52, vcc
	v_lshlrev_b32_e32 v28, 24, v28
	v_lshlrev_b32_e32 v52, 20, v52
	v_and_b32_e32 v28, 0x80000000, v28
	v_lshl_add_u32 v26, v26, 23, v38
	v_or3_b32 v52, v28, v26, v52
	s_branch .LBB612_14
.LBB612_207:
	buffer_load_dword v17, off, s[0:3], 0 offset:256
	buffer_load_dword v16, off, s[0:3], 0 offset:260
	;; [unrolled: 1-line block ×16, first 2 shown]
	v_and_b32_e32 v18, 0xc0, v0
	v_add_u32_e32 v18, s20, v18
	v_lshl_or_b32 v18, v1, 2, v18
	v_or_b32_e32 v20, 1, v18
	v_subrev_u32_e32 v24, s33, v20
	v_add_u32_e32 v26, 1, v24
	v_cvt_f32_i32_e32 v25, v24
	v_add_u32_e32 v28, 2, v24
	v_add_u32_e32 v30, 3, v24
	;; [unrolled: 1-line block ×14, first 2 shown]
	v_cvt_f32_i32_e32 v26, v26
	v_cvt_f32_i32_e32 v28, v28
	;; [unrolled: 1-line block ×4, first 2 shown]
	v_mov_b32_e32 v19, 0xff7fffff
	v_or_b32_e32 v21, 2, v18
	v_or_b32_e32 v22, 3, v18
	v_cvt_f32_i32_e32 v32, v32
	v_cvt_f32_i32_e32 v34, v34
	v_cmp_gt_i32_e64 s[28:29], s33, v18
	v_cmp_gt_i32_e64 s[30:31], s33, v20
	s_mov_b32 s52, 0xff7fffff
	v_cmp_gt_i32_e64 s[34:35], s33, v21
	v_cmp_gt_i32_e64 s[36:37], s33, v22
	v_or_b32_e32 v23, 16, v18
	v_cvt_f32_i32_e32 v35, v35
	v_cvt_f32_i32_e32 v36, v36
	v_cmp_gt_i32_e64 s[24:25], s33, v23
	v_cvt_f32_i32_e32 v37, v37
	v_cvt_f32_i32_e32 v38, v38
	v_cvt_f32_i32_e32 v40, v40
	v_cvt_f32_i32_e32 v42, v42
	v_cvt_f32_i32_e32 v44, v44
	v_cvt_f32_i32_e32 v52, v52
	v_cvt_f32_i32_e32 v53, v53
	s_waitcnt vmcnt(15)
	v_fmac_f32_e32 v17, v31, v25
	s_waitcnt vmcnt(14)
	v_fmac_f32_e32 v16, v31, v26
	s_waitcnt vmcnt(13)
	v_fmac_f32_e32 v15, v31, v28
	s_waitcnt vmcnt(12)
	v_fmac_f32_e32 v14, v31, v30
	v_cndmask_b32_e64 v20, v19, v16, s[30:31]
	v_cndmask_b32_e64 v21, v19, v15, s[34:35]
	;; [unrolled: 1-line block ×3, first 2 shown]
	s_waitcnt vmcnt(11)
	v_fmac_f32_e32 v13, v31, v32
	s_waitcnt vmcnt(10)
	v_fmac_f32_e32 v12, v31, v34
	;; [unrolled: 2-line block ×9, first 2 shown]
	v_cndmask_b32_e64 v24, v19, v17, s[28:29]
	v_max3_f32 v20, v24, s52, v20
	v_max3_f32 v20, v20, v21, v22
	v_or_b32_e32 v22, 17, v18
	v_cmp_gt_i32_e64 s[38:39], s33, v22
	v_cndmask_b32_e64 v21, v19, v13, s[24:25]
	v_cndmask_b32_e64 v22, v19, v12, s[38:39]
	v_max3_f32 v20, v20, v21, v22
	v_or_b32_e32 v21, 18, v18
	v_or_b32_e32 v22, 19, v18
	v_cmp_gt_i32_e64 s[20:21], s33, v21
	v_cmp_gt_i32_e64 s[22:23], s33, v22
	v_cndmask_b32_e64 v21, v19, v11, s[20:21]
	v_cndmask_b32_e64 v22, v19, v10, s[22:23]
	v_max3_f32 v20, v20, v21, v22
	v_or_b32_e32 v21, 32, v18
	v_or_b32_e32 v22, 33, v18
	v_cmp_gt_i32_e64 s[16:17], s33, v21
	;; [unrolled: 7-line block ×3, first 2 shown]
	v_cmp_gt_i32_e64 s[14:15], s33, v22
	v_cndmask_b32_e64 v21, v19, v7, s[12:13]
	v_cndmask_b32_e64 v22, v19, v6, s[14:15]
	v_max3_f32 v20, v20, v21, v22
	v_or_b32_e32 v21, 48, v18
	v_or_b32_e32 v22, 49, v18
	v_fmac_f32_e32 v5, v31, v44
	v_fmac_f32_e32 v4, v31, v52
	v_cmp_gt_i32_e64 s[6:7], s33, v21
	v_cmp_gt_i32_e64 s[10:11], s33, v22
	v_cndmask_b32_e64 v21, v19, v5, s[6:7]
	v_cndmask_b32_e64 v22, v19, v4, s[10:11]
	v_max3_f32 v20, v20, v21, v22
	v_or_b32_e32 v21, 50, v18
	v_or_b32_e32 v18, 51, v18
	v_fmac_f32_e32 v3, v31, v53
	v_cmp_gt_i32_e32 vcc, s33, v21
	v_cmp_gt_i32_e64 s[4:5], s33, v18
	v_cndmask_b32_e32 v21, v19, v3, vcc
	v_cndmask_b32_e64 v18, v19, v2, s[4:5]
	v_mbcnt_lo_u32_b32 v19, -1, 0
	v_mbcnt_hi_u32_b32 v19, -1, v19
	v_max3_f32 v18, v20, v21, v18
	v_and_b32_e32 v20, 64, v19
	v_add_u32_e32 v20, 64, v20
	v_xor_b32_e32 v21, 32, v19
	v_cmp_lt_i32_e64 s[40:41], v21, v20
	v_cndmask_b32_e64 v21, v19, v21, s[40:41]
	v_lshlrev_b32_e32 v21, 2, v21
	ds_bpermute_b32 v22, v21, v18
	s_waitcnt lgkmcnt(0)
	v_max_f32_e32 v22, v22, v22
	v_max_f32_e32 v18, v18, v22
	v_xor_b32_e32 v22, 16, v19
	v_cmp_lt_i32_e64 s[40:41], v22, v20
	v_cndmask_b32_e64 v19, v19, v22, s[40:41]
	v_lshlrev_b32_e32 v19, 2, v19
	ds_bpermute_b32 v20, v19, v18
	s_waitcnt lgkmcnt(0)
	v_max_f32_e32 v20, v20, v20
	v_max_f32_e32 v18, v18, v20
	v_sub_f32_e32 v17, v17, v18
	v_mul_f32_e32 v17, 0x3fb8aa3b, v17
	v_sub_f32_e32 v16, v16, v18
	v_exp_f32_e32 v17, v17
	v_mul_f32_e32 v16, 0x3fb8aa3b, v16
	v_sub_f32_e32 v15, v15, v18
	v_exp_f32_e32 v16, v16
	;; [unrolled: 3-line block ×4, first 2 shown]
	v_mul_f32_e32 v13, 0x3fb8aa3b, v13
	v_sub_f32_e32 v12, v12, v18
	v_cndmask_b32_e64 v17, 0, v17, s[28:29]
	v_exp_f32_e32 v13, v13
	v_mul_f32_e32 v12, 0x3fb8aa3b, v12
	v_sub_f32_e32 v11, v11, v18
	v_add_f32_e32 v20, 0, v17
	v_cndmask_b32_e64 v16, 0, v16, s[30:31]
	v_exp_f32_e32 v12, v12
	v_mul_f32_e32 v11, 0x3fb8aa3b, v11
	v_sub_f32_e32 v10, v10, v18
	v_add_f32_e32 v20, v20, v16
	;; [unrolled: 5-line block ×4, first 2 shown]
	v_cndmask_b32_e64 v13, 0, v13, s[24:25]
	v_exp_f32_e32 v9, v9
	v_mul_f32_e32 v8, 0x3fb8aa3b, v8
	v_sub_f32_e32 v7, v7, v18
	buffer_store_dword v17, off, s[0:3], 0 offset:256
	buffer_store_dword v16, off, s[0:3], 0 offset:260
	;; [unrolled: 1-line block ×4, first 2 shown]
	v_add_f32_e32 v14, v20, v13
	v_cndmask_b32_e64 v12, 0, v12, s[38:39]
	v_exp_f32_e32 v8, v8
	v_mul_f32_e32 v7, 0x3fb8aa3b, v7
	v_sub_f32_e32 v6, v6, v18
	v_add_f32_e32 v14, v14, v12
	v_cndmask_b32_e64 v11, 0, v11, s[20:21]
	v_exp_f32_e32 v7, v7
	v_mul_f32_e32 v6, 0x3fb8aa3b, v6
	v_sub_f32_e32 v5, v5, v18
	;; [unrolled: 5-line block ×4, first 2 shown]
	buffer_store_dword v13, off, s[0:3], 0 offset:272
	buffer_store_dword v12, off, s[0:3], 0 offset:276
	;; [unrolled: 1-line block ×4, first 2 shown]
	v_add_f32_e32 v10, v14, v9
	v_cndmask_b32_e64 v8, 0, v8, s[18:19]
	v_exp_f32_e32 v4, v4
	v_mul_f32_e32 v3, 0x3fb8aa3b, v3
	v_sub_f32_e32 v2, v2, v18
	v_add_f32_e32 v10, v10, v8
	v_cndmask_b32_e64 v7, 0, v7, s[12:13]
	v_exp_f32_e32 v3, v3
	v_mul_f32_e32 v2, 0x3fb8aa3b, v2
	v_add_f32_e32 v10, v10, v7
	v_cndmask_b32_e64 v6, 0, v6, s[14:15]
	v_exp_f32_e32 v2, v2
	v_add_f32_e32 v10, v10, v6
	v_cndmask_b32_e64 v5, 0, v5, s[6:7]
	buffer_store_dword v9, off, s[0:3], 0 offset:288
	buffer_store_dword v8, off, s[0:3], 0 offset:292
	;; [unrolled: 1-line block ×4, first 2 shown]
	v_add_f32_e32 v6, v10, v5
	v_cndmask_b32_e64 v4, 0, v4, s[10:11]
	v_add_f32_e32 v6, v6, v4
	v_cndmask_b32_e32 v3, 0, v3, vcc
	v_add_f32_e32 v6, v6, v3
	v_cndmask_b32_e64 v2, 0, v2, s[4:5]
	v_add_f32_e32 v6, v6, v2
	ds_bpermute_b32 v7, v21, v6
	buffer_store_dword v5, off, s[0:3], 0 offset:304
	buffer_store_dword v4, off, s[0:3], 0 offset:308
	;; [unrolled: 1-line block ×4, first 2 shown]
	v_cmp_gt_u32_e32 vcc, 16, v33
	s_waitcnt lgkmcnt(0)
	s_barrier
	v_add_f32_e32 v2, v6, v7
	ds_bpermute_b32 v3, v19, v2
	s_waitcnt lgkmcnt(0)
	s_and_saveexec_b64 s[4:5], vcc
	s_cbranch_execz .LBB612_209
; %bb.208:
	v_add_f32_e32 v2, v2, v3
	v_lshlrev_b32_e32 v3, 2, v29
	ds_write2st64_b32 v3, v18, v2 offset1:1
.LBB612_209:
	s_or_b64 exec, exec, s[4:5]
	v_lshlrev_b32_e32 v2, 2, v41
	s_waitcnt lgkmcnt(0)
	s_barrier
	ds_read2_b32 v[12:13], v2 offset1:16
	ds_read2_b32 v[14:15], v2 offset0:32 offset1:48
	ds_read2_b32 v[6:7], v2 offset0:64 offset1:80
	;; [unrolled: 1-line block ×3, first 2 shown]
	s_waitcnt lgkmcnt(0)
	s_barrier
	buffer_load_dword v20, off, s[0:3], 0 offset:256
	buffer_load_dword v21, off, s[0:3], 0 offset:260
	;; [unrolled: 1-line block ×16, first 2 shown]
	v_lshlrev_b32_e32 v19, 3, v1
	v_lshlrev_b32_e32 v18, 5, v41
	;; [unrolled: 1-line block ×3, first 2 shown]
	v_or3_b32 v52, v26, v18, v19
	v_max3_f32 v19, v12, s52, v13
	v_max3_f32 v19, v19, v14, v15
	v_sub_f32_e32 v12, v12, v19
	v_sub_f32_e32 v13, v13, v19
	v_mul_f32_e32 v12, 0x3fb8aa3b, v12
	v_sub_f32_e32 v14, v14, v19
	v_mul_f32_e32 v13, 0x3fb8aa3b, v13
	v_exp_f32_e32 v12, v12
	v_sub_f32_e32 v15, v15, v19
	v_mul_f32_e32 v14, 0x3fb8aa3b, v14
	v_exp_f32_e32 v13, v13
	v_mul_f32_e32 v15, 0x3fb8aa3b, v15
	v_exp_f32_e32 v14, v14
	v_exp_f32_e32 v15, v15
	v_fma_f32 v6, v12, v6, 0
	v_fmac_f32_e32 v6, v13, v7
	v_fmac_f32_e32 v6, v14, v10
	v_fmac_f32_e32 v6, v15, v11
	v_cmp_eq_u32_e32 vcc, 1, v27
	v_add_f32_e32 v10, 0x358637bd, v6
	v_cndmask_b32_e32 v12, v12, v13, vcc
	v_cmp_eq_u32_e32 vcc, 2, v27
	v_div_scale_f32 v11, s[4:5], v10, v10, 1.0
	v_cndmask_b32_e32 v7, v12, v14, vcc
	v_rcp_f32_e32 v12, v11
	v_cmp_eq_u32_e32 vcc, 3, v27
	v_cndmask_b32_e32 v7, v7, v15, vcc
	v_div_scale_f32 v13, vcc, 1.0, v10, 1.0
	v_fma_f32 v14, -v11, v12, 1.0
	v_fmac_f32_e32 v12, v14, v12
	v_mul_f32_e32 v14, v13, v12
	v_fma_f32 v15, -v11, v14, v13
	v_fmac_f32_e32 v14, v15, v12
	v_fma_f32 v11, -v11, v14, v13
	v_div_fmas_f32 v11, v11, v12, v14
	v_div_fixup_f32 v10, v11, v10, 1.0
	v_mul_f32_e32 v10, v7, v10
	s_mul_i32 s18, s49, 7
	v_cmp_gt_u32_e32 vcc, 7, v0
	s_waitcnt vmcnt(14)
	v_pk_mul_f32 v[14:15], v[10:11], v[20:21] op_sel_hi:[0,1]
	v_cvt_f16_f32_e32 v7, v14
	s_waitcnt vmcnt(12)
	v_pk_mul_f32 v[12:13], v[10:11], v[22:23] op_sel_hi:[0,1]
	buffer_store_dword v14, off, s[0:3], 0 offset:256
	buffer_store_dword v15, off, s[0:3], 0 offset:260
	;; [unrolled: 1-line block ×3, first 2 shown]
	s_waitcnt vmcnt(13)
	v_pk_mul_f32 v[20:21], v[10:11], v[24:25] op_sel_hi:[0,1]
	v_cvt_f16_f32_e32 v14, v12
	s_waitcnt vmcnt(11)
	v_pk_mul_f32 v[22:23], v[10:11], v[28:29] op_sel_hi:[0,1]
	v_cvt_f16_f32_e32 v11, v15
	v_cvt_f16_f32_e32 v15, v13
	buffer_store_dword v13, off, s[0:3], 0 offset:268
	buffer_store_dword v22, off, s[0:3], 0 offset:272
	;; [unrolled: 1-line block ×3, first 2 shown]
	v_pack_b32_f16 v12, v7, v11
	v_cvt_f16_f32_e32 v11, v23
	v_pack_b32_f16 v13, v14, v15
	v_cvt_f16_f32_e32 v7, v22
	v_cvt_f16_f32_e32 v15, v20
	;; [unrolled: 1-line block ×3, first 2 shown]
	s_waitcnt vmcnt(12)
	v_pk_mul_f32 v[4:5], v[10:11], v[4:5] op_sel_hi:[0,1]
	v_pack_b32_f16 v14, v7, v11
	s_waitcnt vmcnt(10)
	v_pk_mul_f32 v[2:3], v[10:11], v[2:3] op_sel_hi:[0,1]
	v_pack_b32_f16 v15, v15, v22
	v_cvt_f16_f32_e32 v11, v5
	buffer_store_dword v20, off, s[0:3], 0 offset:280
	buffer_store_dword v21, off, s[0:3], 0 offset:284
	ds_write2st64_b64 v52, v[12:13], v[14:15] offset1:1
	buffer_store_dword v2, off, s[0:3], 0 offset:288
	buffer_store_dword v3, off, s[0:3], 0 offset:292
	v_cvt_f16_f32_e32 v2, v2
	v_cvt_f16_f32_e32 v3, v3
	;; [unrolled: 1-line block ×3, first 2 shown]
	buffer_store_dword v4, off, s[0:3], 0 offset:296
	buffer_store_dword v5, off, s[0:3], 0 offset:300
	s_waitcnt vmcnt(12)
	v_pk_mul_f32 v[4:5], v[10:11], v[16:17] op_sel_hi:[0,1]
	v_pk_mul_f32 v[8:9], v[10:11], v[8:9] op_sel_hi:[0,1]
	v_pack_b32_f16 v2, v2, v3
	v_pack_b32_f16 v3, v7, v11
	buffer_store_dword v8, off, s[0:3], 0 offset:304
	buffer_store_dword v9, off, s[0:3], 0 offset:308
	v_cvt_f16_f32_e32 v7, v8
	v_cvt_f16_f32_e32 v8, v9
	;; [unrolled: 1-line block ×4, first 2 shown]
	buffer_store_dword v4, off, s[0:3], 0 offset:312
	buffer_store_dword v5, off, s[0:3], 0 offset:316
	v_pack_b32_f16 v4, v7, v8
	v_pack_b32_f16 v5, v9, v10
	ds_write2st64_b64 v52, v[2:3], v[4:5] offset0:2 offset1:3
	s_and_saveexec_b64 s[4:5], vcc
	s_cbranch_execz .LBB612_211
; %bb.210:
	v_add_co_u32_e32 v4, vcc, s27, v41
	v_addc_co_u32_e64 v5, s[6:7], 0, 0, vcc
	v_mov_b32_e32 v2, s18
	v_mad_u64_u32 v[4:5], s[6:7], s8, v2, v[4:5]
	v_mov_b32_e32 v3, 0
	s_mul_i32 s6, s9, s18
	v_mov_b32_e32 v2, s26
	v_add_u32_e32 v5, s6, v5
	v_mad_u64_u32 v[2:3], s[6:7], v4, s48, v[2:3]
	v_mov_b32_e32 v4, v3
	v_mad_u64_u32 v[4:5], s[6:7], v5, s48, v[4:5]
	v_mov_b32_e32 v3, v4
	v_lshlrev_b64 v[2:3], 2, v[2:3]
	v_mov_b32_e32 v5, s47
	v_add_co_u32_e32 v4, vcc, s46, v2
	v_addc_co_u32_e32 v5, vcc, v5, v3, vcc
	global_store_dword v[4:5], v19, off
	v_mov_b32_e32 v4, s45
	v_add_co_u32_e32 v2, vcc, s44, v2
	v_addc_co_u32_e32 v3, vcc, v4, v3, vcc
	global_store_dword v[2:3], v6, off
.LBB612_211:
	s_or_b64 exec, exec, s[4:5]
	v_lshl_or_b32 v30, v1, 9, v18
	s_waitcnt lgkmcnt(0)
	s_barrier
	s_load_dword s4, s[42:43], 0x0
	ds_read_b128 v[2:5], v30
	ds_read_b128 v[6:9], v30 offset:16
	ds_read_b128 v[10:13], v30 offset:2048
	ds_read_b128 v[14:17], v30 offset:2064
	ds_read_b128 v[18:21], v30 offset:4096
	ds_read_b128 v[22:25], v30 offset:4112
	ds_read_b128 v[26:29], v30 offset:6144
	ds_read_b128 v[30:33], v30 offset:6160
	v_mov_b32_e32 v35, 0x80
	v_mov_b32_e32 v53, 0x140
	s_mov_b64 s[10:11], -1
	s_waitcnt lgkmcnt(0)
	s_mov_b32 s5, s4
	s_mov_b32 s6, s4
	;; [unrolled: 1-line block ×3, first 2 shown]
	s_movk_i32 s9, 0x80
	s_movk_i32 s19, 0x7f
	s_mov_b32 s20, 0xffffff
	v_mov_b32_e32 v54, 0
	v_bfrev_b32_e32 v55, 60
	s_branch .LBB612_215
.LBB612_212:                            ;   in Loop: Header=BB612_215 Depth=1
	s_or_b64 exec, exec, s[16:17]
.LBB612_213:                            ;   in Loop: Header=BB612_215 Depth=1
	s_or_b64 exec, exec, s[14:15]
.LBB612_214:                            ;   in Loop: Header=BB612_215 Depth=1
	s_or_b64 exec, exec, s[12:13]
	v_cvt_pkrtz_f16_f32 v60, v46, v50
	v_cvt_pkrtz_f16_f32 v61, v44, v56
	s_xor_b64 s[12:13], s[10:11], -1
	s_mov_b64 s[10:11], 0
	v_mov_b32_e32 v46, v47
	v_mfma_f32_16x16x16f16 v[60:63], v[60:61], v[30:31], v[34:37]
	v_mov_b32_e32 v50, v49
	s_and_b64 vcc, exec, s[12:13]
	s_nop 4
	v_cvt_pkrtz_f16_f32 v36, v51, v57
	v_cvt_pkrtz_f16_f32 v37, v42, v58
	v_mov_b32_e32 v35, v45
	v_mov_b32_e32 v51, v48
	v_mfma_f32_16x16x16f16 v[56:59], v[36:37], v[32:33], v[60:63]
	s_nop 7
	s_nop 2
	v_pk_mul_f32 v[56:57], v[56:57], s[4:5]
	v_pk_mul_f32 v[36:37], v[58:59], s[6:7]
	v_cvt_f16_f32_e32 v34, v56
	v_cvt_f16_f32_e32 v38, v57
	v_cvt_f16_f32_e32 v36, v36
	v_cvt_f16_f32_e32 v37, v37
	v_pack_b32_f16 v34, v34, v38
	v_pack_b32_f16 v36, v36, v37
	buffer_store_dword v34, v53, s[0:3], 0 offen
	buffer_store_dword v36, v53, s[0:3], 0 offen offset:4
	v_mov_b32_e32 v53, 0x148
	s_cbranch_vccnz .LBB612_597
.LBB612_215:                            ; =>This Inner Loop Header: Depth=1
	buffer_load_dword v36, v35, s[0:3], 0 offen
	buffer_load_dword v34, v35, s[0:3], 0 offen offset:4
	buffer_load_dword v40, v35, s[0:3], 0 offen offset:8
	;; [unrolled: 1-line block ×3, first 2 shown]
	v_mov_b32_e32 v35, 0
	s_waitcnt vmcnt(3)
	v_cmp_ne_u16_sdwa s[14:15], v36, v54 src0_sel:BYTE_0 src1_sel:DWORD
	s_and_saveexec_b64 s[12:13], s[14:15]
	s_cbranch_execz .LBB612_221
; %bb.216:                              ;   in Loop: Header=BB612_215 Depth=1
	v_cmp_ne_u16_sdwa s[16:17], v36, s9 src0_sel:BYTE_0 src1_sel:DWORD
	v_bfrev_b32_e32 v35, 1
	s_and_saveexec_b64 s[14:15], s[16:17]
	s_cbranch_execz .LBB612_220
; %bb.217:                              ;   in Loop: Header=BB612_215 Depth=1
	v_and_b32_e32 v37, 0x7f, v36
	v_cmp_ne_u32_e32 vcc, s19, v37
	v_mov_b32_e32 v35, 0x7f800001
	s_and_saveexec_b64 s[16:17], vcc
	s_cbranch_execz .LBB612_219
; %bb.218:                              ;   in Loop: Header=BB612_215 Depth=1
	v_and_b32_e32 v35, 7, v36
	v_ffbh_u32_e32 v44, v35
	v_min_u32_e32 v44, 32, v44
	v_subrev_u32_e32 v56, 28, v44
	v_lshlrev_b64 v[56:57], v56, v[36:37]
	v_lshrrev_b32_e32 v42, 3, v37
	v_sub_u32_e32 v44, 29, v44
	v_and_b32_e32 v56, 7, v56
	v_cmp_gt_u32_e32 vcc, 8, v37
	v_cndmask_b32_e32 v37, v42, v44, vcc
	v_cndmask_b32_e32 v35, v35, v56, vcc
	v_lshlrev_b32_e32 v42, 24, v36
	v_lshlrev_b32_e32 v35, 20, v35
	v_and_b32_e32 v42, 0x80000000, v42
	v_lshl_add_u32 v37, v37, 23, v55
	v_or3_b32 v35, v42, v37, v35
.LBB612_219:                            ;   in Loop: Header=BB612_215 Depth=1
	s_or_b64 exec, exec, s[16:17]
.LBB612_220:                            ;   in Loop: Header=BB612_215 Depth=1
	s_or_b64 exec, exec, s[14:15]
.LBB612_221:                            ;   in Loop: Header=BB612_215 Depth=1
	s_or_b64 exec, exec, s[12:13]
	v_lshrrev_b16_e32 v42, 8, v36
	v_cmp_ne_u16_e32 vcc, 0, v42
	v_mov_b32_e32 v37, 0
	s_and_saveexec_b64 s[12:13], vcc
	s_cbranch_execz .LBB612_227
; %bb.222:                              ;   in Loop: Header=BB612_215 Depth=1
	v_cmp_ne_u16_e32 vcc, s9, v42
	v_bfrev_b32_e32 v37, 1
	s_and_saveexec_b64 s[14:15], vcc
	s_cbranch_execz .LBB612_226
; %bb.223:                              ;   in Loop: Header=BB612_215 Depth=1
	v_and_b32_e32 v44, 0x7f, v42
	v_cmp_ne_u32_e32 vcc, s19, v44
	v_mov_b32_e32 v37, 0x7f800001
	s_and_saveexec_b64 s[16:17], vcc
	s_cbranch_execz .LBB612_225
; %bb.224:                              ;   in Loop: Header=BB612_215 Depth=1
	v_and_b32_e32 v37, 7, v42
	v_ffbh_u32_e32 v56, v37
	v_min_u32_e32 v59, 32, v56
	v_subrev_u32_e32 v56, 28, v59
	v_lshlrev_b64 v[56:57], v56, v[42:43]
	v_lshrrev_b32_e32 v58, 3, v44
	v_sub_u32_e32 v42, 29, v59
	v_and_b32_e32 v56, 7, v56
	v_cmp_gt_u32_e32 vcc, 8, v44
	v_cndmask_b32_e32 v42, v58, v42, vcc
	v_cndmask_b32_e32 v37, v37, v56, vcc
	v_lshlrev_b32_e32 v44, 16, v36
	v_lshlrev_b32_e32 v37, 20, v37
	v_and_b32_e32 v44, 0x80000000, v44
	v_lshl_add_u32 v42, v42, 23, v55
	v_or3_b32 v37, v44, v42, v37
.LBB612_225:                            ;   in Loop: Header=BB612_215 Depth=1
	s_or_b64 exec, exec, s[16:17]
.LBB612_226:                            ;   in Loop: Header=BB612_215 Depth=1
	s_or_b64 exec, exec, s[14:15]
.LBB612_227:                            ;   in Loop: Header=BB612_215 Depth=1
	s_or_b64 exec, exec, s[12:13]
	v_lshrrev_b32_e32 v42, 16, v36
	v_cmp_ne_u16_sdwa s[14:15], v42, v54 src0_sel:BYTE_0 src1_sel:DWORD
	v_mov_b32_e32 v56, 0
	v_mov_b32_e32 v44, 0
	s_and_saveexec_b64 s[12:13], s[14:15]
	s_cbranch_execz .LBB612_233
; %bb.228:                              ;   in Loop: Header=BB612_215 Depth=1
	v_cmp_ne_u16_sdwa s[16:17], v42, s9 src0_sel:BYTE_0 src1_sel:DWORD
	v_bfrev_b32_e32 v44, 1
	s_and_saveexec_b64 s[14:15], s[16:17]
	s_cbranch_execz .LBB612_232
; %bb.229:                              ;   in Loop: Header=BB612_215 Depth=1
	v_bfe_u32 v57, v36, 16, 7
	v_cmp_ne_u32_e32 vcc, s19, v57
	v_mov_b32_e32 v44, 0x7f800001
	s_and_saveexec_b64 s[16:17], vcc
	s_cbranch_execz .LBB612_231
; %bb.230:                              ;   in Loop: Header=BB612_215 Depth=1
	v_and_b32_e32 v44, 7, v42
	v_ffbh_u32_e32 v58, v44
	v_min_u32_e32 v61, 32, v58
	v_subrev_u32_e32 v58, 28, v61
	v_lshlrev_b64 v[58:59], v58, v[42:43]
	v_lshrrev_b32_e32 v60, 3, v57
	v_sub_u32_e32 v59, 29, v61
	v_and_b32_e32 v58, 7, v58
	v_cmp_gt_u32_e32 vcc, 8, v57
	v_cndmask_b32_e32 v57, v60, v59, vcc
	v_cndmask_b32_e32 v44, v44, v58, vcc
	v_lshlrev_b32_e32 v42, 24, v42
	v_lshlrev_b32_e32 v44, 20, v44
	v_and_b32_e32 v42, 0x80000000, v42
	v_lshl_add_u32 v57, v57, 23, v55
	v_or3_b32 v44, v42, v57, v44
.LBB612_231:                            ;   in Loop: Header=BB612_215 Depth=1
	s_or_b64 exec, exec, s[16:17]
.LBB612_232:                            ;   in Loop: Header=BB612_215 Depth=1
	s_or_b64 exec, exec, s[14:15]
.LBB612_233:                            ;   in Loop: Header=BB612_215 Depth=1
	s_or_b64 exec, exec, s[12:13]
	v_cmp_lt_u32_e32 vcc, s20, v36
	s_and_saveexec_b64 s[12:13], vcc
	s_cbranch_execz .LBB612_239
; %bb.234:                              ;   in Loop: Header=BB612_215 Depth=1
	v_lshrrev_b32_e32 v42, 24, v36
	v_cmp_ne_u32_e32 vcc, s9, v42
	v_bfrev_b32_e32 v56, 1
	s_and_saveexec_b64 s[14:15], vcc
	s_cbranch_execz .LBB612_238
; %bb.235:                              ;   in Loop: Header=BB612_215 Depth=1
	v_bfe_u32 v36, v36, 24, 7
	v_cmp_ne_u32_e32 vcc, s19, v36
	v_mov_b32_e32 v56, 0x7f800001
	s_and_saveexec_b64 s[16:17], vcc
	s_cbranch_execz .LBB612_237
; %bb.236:                              ;   in Loop: Header=BB612_215 Depth=1
	v_and_b32_e32 v58, 7, v42
	v_ffbh_u32_e32 v56, v58
	v_min_u32_e32 v60, 32, v56
	v_subrev_u32_e32 v56, 28, v60
	v_lshlrev_b64 v[56:57], v56, v[42:43]
	v_lshrrev_b32_e32 v59, 3, v36
	v_sub_u32_e32 v57, 29, v60
	v_and_b32_e32 v56, 7, v56
	v_cmp_gt_u32_e32 vcc, 8, v36
	v_cndmask_b32_e32 v36, v59, v57, vcc
	v_cndmask_b32_e32 v56, v58, v56, vcc
	v_lshlrev_b32_e32 v42, 24, v42
	v_lshlrev_b32_e32 v56, 20, v56
	v_and_b32_e32 v42, 0x80000000, v42
	v_lshl_add_u32 v36, v36, 23, v55
	v_or3_b32 v56, v42, v36, v56
.LBB612_237:                            ;   in Loop: Header=BB612_215 Depth=1
	s_or_b64 exec, exec, s[16:17]
.LBB612_238:                            ;   in Loop: Header=BB612_215 Depth=1
	s_or_b64 exec, exec, s[14:15]
.LBB612_239:                            ;   in Loop: Header=BB612_215 Depth=1
	s_or_b64 exec, exec, s[12:13]
	s_waitcnt vmcnt(2)
	v_cmp_ne_u16_sdwa s[14:15], v34, v54 src0_sel:BYTE_0 src1_sel:DWORD
	v_mov_b32_e32 v42, 0
	v_mov_b32_e32 v57, 0
	s_and_saveexec_b64 s[12:13], s[14:15]
	s_cbranch_execz .LBB612_245
; %bb.240:                              ;   in Loop: Header=BB612_215 Depth=1
	v_cmp_ne_u16_sdwa s[16:17], v34, s9 src0_sel:BYTE_0 src1_sel:DWORD
	v_bfrev_b32_e32 v57, 1
	s_and_saveexec_b64 s[14:15], s[16:17]
	s_cbranch_execz .LBB612_244
; %bb.241:                              ;   in Loop: Header=BB612_215 Depth=1
	v_and_b32_e32 v36, 0x7f, v34
	v_cmp_ne_u32_e32 vcc, s19, v36
	v_mov_b32_e32 v57, 0x7f800001
	s_and_saveexec_b64 s[16:17], vcc
	s_cbranch_execz .LBB612_243
; %bb.242:                              ;   in Loop: Header=BB612_215 Depth=1
	v_and_b32_e32 v57, 7, v34
	v_ffbh_u32_e32 v58, v57
	v_min_u32_e32 v61, 32, v58
	v_subrev_u32_e32 v58, 28, v61
	v_lshlrev_b64 v[58:59], v58, v[34:35]
	v_lshrrev_b32_e32 v60, 3, v36
	v_sub_u32_e32 v59, 29, v61
	v_and_b32_e32 v58, 7, v58
	v_cmp_gt_u32_e32 vcc, 8, v36
	v_cndmask_b32_e32 v36, v60, v59, vcc
	v_cndmask_b32_e32 v57, v57, v58, vcc
	v_lshlrev_b32_e32 v58, 24, v34
	v_lshlrev_b32_e32 v57, 20, v57
	v_and_b32_e32 v58, 0x80000000, v58
	v_lshl_add_u32 v36, v36, 23, v55
	v_or3_b32 v57, v58, v36, v57
.LBB612_243:                            ;   in Loop: Header=BB612_215 Depth=1
	s_or_b64 exec, exec, s[16:17]
.LBB612_244:                            ;   in Loop: Header=BB612_215 Depth=1
	s_or_b64 exec, exec, s[14:15]
.LBB612_245:                            ;   in Loop: Header=BB612_215 Depth=1
	s_or_b64 exec, exec, s[12:13]
	v_lshrrev_b16_e32 v36, 8, v34
	v_cmp_ne_u16_e32 vcc, 0, v36
	s_and_saveexec_b64 s[12:13], vcc
	s_cbranch_execz .LBB612_251
; %bb.246:                              ;   in Loop: Header=BB612_215 Depth=1
	v_cmp_ne_u16_e32 vcc, s9, v36
	v_bfrev_b32_e32 v42, 1
	s_and_saveexec_b64 s[14:15], vcc
	s_cbranch_execz .LBB612_250
; %bb.247:                              ;   in Loop: Header=BB612_215 Depth=1
	v_and_b32_e32 v58, 0x7f, v36
	v_cmp_ne_u32_e32 vcc, s19, v58
	v_mov_b32_e32 v42, 0x7f800001
	s_and_saveexec_b64 s[16:17], vcc
	s_cbranch_execz .LBB612_249
; %bb.248:                              ;   in Loop: Header=BB612_215 Depth=1
	v_and_b32_e32 v42, 7, v36
	v_ffbh_u32_e32 v60, v42
	v_min_u32_e32 v62, 32, v60
	v_subrev_u32_e32 v60, 28, v62
	v_lshlrev_b64 v[60:61], v60, v[36:37]
	v_lshrrev_b32_e32 v59, 3, v58
	v_sub_u32_e32 v36, 29, v62
	v_and_b32_e32 v60, 7, v60
	v_cmp_gt_u32_e32 vcc, 8, v58
	v_cndmask_b32_e32 v36, v59, v36, vcc
	v_cndmask_b32_e32 v42, v42, v60, vcc
	v_lshlrev_b32_e32 v58, 16, v34
	v_lshlrev_b32_e32 v42, 20, v42
	v_and_b32_e32 v58, 0x80000000, v58
	v_lshl_add_u32 v36, v36, 23, v55
	v_or3_b32 v42, v58, v36, v42
.LBB612_249:                            ;   in Loop: Header=BB612_215 Depth=1
	s_or_b64 exec, exec, s[16:17]
.LBB612_250:                            ;   in Loop: Header=BB612_215 Depth=1
	s_or_b64 exec, exec, s[14:15]
.LBB612_251:                            ;   in Loop: Header=BB612_215 Depth=1
	s_or_b64 exec, exec, s[12:13]
	v_lshrrev_b32_e32 v36, 16, v34
	v_cmp_ne_u16_sdwa s[14:15], v36, v54 src0_sel:BYTE_0 src1_sel:DWORD
	v_mov_b32_e32 v59, 0
	v_mov_b32_e32 v58, 0
	s_and_saveexec_b64 s[12:13], s[14:15]
	s_cbranch_execz .LBB612_257
; %bb.252:                              ;   in Loop: Header=BB612_215 Depth=1
	v_cmp_ne_u16_sdwa s[16:17], v36, s9 src0_sel:BYTE_0 src1_sel:DWORD
	v_bfrev_b32_e32 v58, 1
	s_and_saveexec_b64 s[14:15], s[16:17]
	s_cbranch_execz .LBB612_256
; %bb.253:                              ;   in Loop: Header=BB612_215 Depth=1
	v_bfe_u32 v60, v34, 16, 7
	v_cmp_ne_u32_e32 vcc, s19, v60
	v_mov_b32_e32 v58, 0x7f800001
	s_and_saveexec_b64 s[16:17], vcc
	s_cbranch_execz .LBB612_255
; %bb.254:                              ;   in Loop: Header=BB612_215 Depth=1
	v_and_b32_e32 v58, 7, v36
	v_ffbh_u32_e32 v62, v58
	v_min_u32_e32 v64, 32, v62
	v_subrev_u32_e32 v62, 28, v64
	v_lshlrev_b64 v[62:63], v62, v[36:37]
	v_lshrrev_b32_e32 v61, 3, v60
	v_sub_u32_e32 v63, 29, v64
	v_and_b32_e32 v62, 7, v62
	v_cmp_gt_u32_e32 vcc, 8, v60
	v_cndmask_b32_e32 v60, v61, v63, vcc
	v_cndmask_b32_e32 v58, v58, v62, vcc
	v_lshlrev_b32_e32 v36, 24, v36
	v_lshlrev_b32_e32 v58, 20, v58
	v_and_b32_e32 v36, 0x80000000, v36
	v_lshl_add_u32 v60, v60, 23, v55
	v_or3_b32 v58, v36, v60, v58
.LBB612_255:                            ;   in Loop: Header=BB612_215 Depth=1
	s_or_b64 exec, exec, s[16:17]
.LBB612_256:                            ;   in Loop: Header=BB612_215 Depth=1
	s_or_b64 exec, exec, s[14:15]
.LBB612_257:                            ;   in Loop: Header=BB612_215 Depth=1
	s_or_b64 exec, exec, s[12:13]
	v_cmp_lt_u32_e32 vcc, s20, v34
	s_and_saveexec_b64 s[12:13], vcc
	s_cbranch_execz .LBB612_263
; %bb.258:                              ;   in Loop: Header=BB612_215 Depth=1
	v_lshrrev_b32_e32 v36, 24, v34
	v_cmp_ne_u32_e32 vcc, s9, v36
	v_bfrev_b32_e32 v59, 1
	s_and_saveexec_b64 s[14:15], vcc
	s_cbranch_execz .LBB612_262
; %bb.259:                              ;   in Loop: Header=BB612_215 Depth=1
	v_bfe_u32 v34, v34, 24, 7
	v_cmp_ne_u32_e32 vcc, s19, v34
	v_mov_b32_e32 v59, 0x7f800001
	s_and_saveexec_b64 s[16:17], vcc
	s_cbranch_execz .LBB612_261
; %bb.260:                              ;   in Loop: Header=BB612_215 Depth=1
	v_and_b32_e32 v59, 7, v36
	v_ffbh_u32_e32 v60, v59
	v_min_u32_e32 v63, 32, v60
	v_subrev_u32_e32 v60, 28, v63
	v_lshlrev_b64 v[60:61], v60, v[36:37]
	v_lshrrev_b32_e32 v62, 3, v34
	v_sub_u32_e32 v61, 29, v63
	v_and_b32_e32 v60, 7, v60
	v_cmp_gt_u32_e32 vcc, 8, v34
	v_cndmask_b32_e32 v34, v62, v61, vcc
	v_cndmask_b32_e32 v59, v59, v60, vcc
	v_lshlrev_b32_e32 v36, 24, v36
	v_lshlrev_b32_e32 v59, 20, v59
	v_and_b32_e32 v36, 0x80000000, v36
	v_lshl_add_u32 v34, v34, 23, v55
	v_or3_b32 v59, v36, v34, v59
.LBB612_261:                            ;   in Loop: Header=BB612_215 Depth=1
	s_or_b64 exec, exec, s[16:17]
.LBB612_262:                            ;   in Loop: Header=BB612_215 Depth=1
	s_or_b64 exec, exec, s[14:15]
.LBB612_263:                            ;   in Loop: Header=BB612_215 Depth=1
	s_or_b64 exec, exec, s[12:13]
	v_cvt_pkrtz_f16_f32 v34, v35, v37
	v_cvt_pkrtz_f16_f32 v35, v44, v56
	;; [unrolled: 1-line block ×4, first 2 shown]
	v_mov_b32_e32 v44, 0
	v_mfma_f32_16x16x16f16 v[34:37], v[34:35], v[2:3], 0
	s_waitcnt vmcnt(1)
	v_cmp_ne_u16_sdwa s[14:15], v40, v54 src0_sel:BYTE_0 src1_sel:DWORD
	v_mov_b32_e32 v57, 0
	v_mfma_f32_16x16x16f16 v[34:37], v[60:61], v[4:5], v[34:37]
	s_and_saveexec_b64 s[12:13], s[14:15]
	s_cbranch_execz .LBB612_269
; %bb.264:                              ;   in Loop: Header=BB612_215 Depth=1
	v_cmp_ne_u16_sdwa s[16:17], v40, s9 src0_sel:BYTE_0 src1_sel:DWORD
	v_bfrev_b32_e32 v57, 1
	s_and_saveexec_b64 s[14:15], s[16:17]
	s_cbranch_execz .LBB612_268
; %bb.265:                              ;   in Loop: Header=BB612_215 Depth=1
	v_and_b32_e32 v42, 0x7f, v40
	v_cmp_ne_u32_e32 vcc, s19, v42
	v_mov_b32_e32 v57, 0x7f800001
	s_and_saveexec_b64 s[16:17], vcc
	s_cbranch_execz .LBB612_267
; %bb.266:                              ;   in Loop: Header=BB612_215 Depth=1
	v_and_b32_e32 v58, 7, v40
	v_ffbh_u32_e32 v56, v58
	v_min_u32_e32 v60, 32, v56
	v_subrev_u32_e32 v56, 28, v60
	v_lshlrev_b64 v[56:57], v56, v[40:41]
	v_lshrrev_b32_e32 v59, 3, v42
	v_sub_u32_e32 v57, 29, v60
	v_and_b32_e32 v56, 7, v56
	v_cmp_gt_u32_e32 vcc, 8, v42
	v_cndmask_b32_e32 v42, v59, v57, vcc
	v_cndmask_b32_e32 v56, v58, v56, vcc
	v_lshlrev_b32_e32 v57, 24, v40
	v_lshlrev_b32_e32 v56, 20, v56
	v_and_b32_e32 v57, 0x80000000, v57
	v_lshl_add_u32 v42, v42, 23, v55
	v_or3_b32 v57, v57, v42, v56
.LBB612_267:                            ;   in Loop: Header=BB612_215 Depth=1
	s_or_b64 exec, exec, s[16:17]
.LBB612_268:                            ;   in Loop: Header=BB612_215 Depth=1
	s_or_b64 exec, exec, s[14:15]
.LBB612_269:                            ;   in Loop: Header=BB612_215 Depth=1
	s_or_b64 exec, exec, s[12:13]
	v_lshrrev_b16_e32 v42, 8, v40
	v_cmp_ne_u16_e32 vcc, 0, v42
	v_mov_b32_e32 v58, 0
	s_and_saveexec_b64 s[12:13], vcc
	s_cbranch_execz .LBB612_275
; %bb.270:                              ;   in Loop: Header=BB612_215 Depth=1
	v_cmp_ne_u16_e32 vcc, s9, v42
	v_bfrev_b32_e32 v58, 1
	s_and_saveexec_b64 s[14:15], vcc
	s_cbranch_execz .LBB612_274
; %bb.271:                              ;   in Loop: Header=BB612_215 Depth=1
	v_and_b32_e32 v56, 0x7f, v42
	v_cmp_ne_u32_e32 vcc, s19, v56
	v_mov_b32_e32 v58, 0x7f800001
	s_and_saveexec_b64 s[16:17], vcc
	s_cbranch_execz .LBB612_273
; %bb.272:                              ;   in Loop: Header=BB612_215 Depth=1
	v_and_b32_e32 v60, 7, v42
	v_ffbh_u32_e32 v58, v60
	v_min_u32_e32 v62, 32, v58
	v_subrev_u32_e32 v58, 28, v62
	v_lshlrev_b64 v[58:59], v58, v[42:43]
	v_lshrrev_b32_e32 v61, 3, v56
	v_sub_u32_e32 v42, 29, v62
	v_and_b32_e32 v58, 7, v58
	v_cmp_gt_u32_e32 vcc, 8, v56
	v_cndmask_b32_e32 v42, v61, v42, vcc
	v_cndmask_b32_e32 v56, v60, v58, vcc
	v_lshlrev_b32_e32 v58, 16, v40
	v_lshlrev_b32_e32 v56, 20, v56
	v_and_b32_e32 v58, 0x80000000, v58
	v_lshl_add_u32 v42, v42, 23, v55
	v_or3_b32 v58, v58, v42, v56
.LBB612_273:                            ;   in Loop: Header=BB612_215 Depth=1
	s_or_b64 exec, exec, s[16:17]
.LBB612_274:                            ;   in Loop: Header=BB612_215 Depth=1
	s_or_b64 exec, exec, s[14:15]
.LBB612_275:                            ;   in Loop: Header=BB612_215 Depth=1
	s_or_b64 exec, exec, s[12:13]
	v_lshrrev_b32_e32 v42, 16, v40
	v_cmp_ne_u16_sdwa s[14:15], v42, v54 src0_sel:BYTE_0 src1_sel:DWORD
	s_and_saveexec_b64 s[12:13], s[14:15]
	s_cbranch_execz .LBB612_281
; %bb.276:                              ;   in Loop: Header=BB612_215 Depth=1
	v_cmp_ne_u16_sdwa s[16:17], v42, s9 src0_sel:BYTE_0 src1_sel:DWORD
	v_bfrev_b32_e32 v44, 1
	s_and_saveexec_b64 s[14:15], s[16:17]
	s_cbranch_execz .LBB612_280
; %bb.277:                              ;   in Loop: Header=BB612_215 Depth=1
	v_bfe_u32 v56, v40, 16, 7
	v_cmp_ne_u32_e32 vcc, s19, v56
	v_mov_b32_e32 v44, 0x7f800001
	s_and_saveexec_b64 s[16:17], vcc
	s_cbranch_execz .LBB612_279
; %bb.278:                              ;   in Loop: Header=BB612_215 Depth=1
	v_and_b32_e32 v44, 7, v42
	v_ffbh_u32_e32 v60, v44
	v_min_u32_e32 v62, 32, v60
	v_subrev_u32_e32 v60, 28, v62
	v_lshlrev_b64 v[60:61], v60, v[42:43]
	v_lshrrev_b32_e32 v59, 3, v56
	v_sub_u32_e32 v61, 29, v62
	v_and_b32_e32 v60, 7, v60
	v_cmp_gt_u32_e32 vcc, 8, v56
	v_cndmask_b32_e32 v56, v59, v61, vcc
	v_cndmask_b32_e32 v44, v44, v60, vcc
	v_lshlrev_b32_e32 v42, 24, v42
	v_lshlrev_b32_e32 v44, 20, v44
	v_and_b32_e32 v42, 0x80000000, v42
	v_lshl_add_u32 v56, v56, 23, v55
	v_or3_b32 v44, v42, v56, v44
.LBB612_279:                            ;   in Loop: Header=BB612_215 Depth=1
	s_or_b64 exec, exec, s[16:17]
.LBB612_280:                            ;   in Loop: Header=BB612_215 Depth=1
	s_or_b64 exec, exec, s[14:15]
.LBB612_281:                            ;   in Loop: Header=BB612_215 Depth=1
	s_or_b64 exec, exec, s[12:13]
	v_cmp_lt_u32_e32 vcc, s20, v40
	v_mov_b32_e32 v59, 0
	v_mov_b32_e32 v60, 0
	s_and_saveexec_b64 s[12:13], vcc
	s_cbranch_execz .LBB612_287
; %bb.282:                              ;   in Loop: Header=BB612_215 Depth=1
	v_lshrrev_b32_e32 v42, 24, v40
	v_cmp_ne_u32_e32 vcc, s9, v42
	v_bfrev_b32_e32 v60, 1
	s_and_saveexec_b64 s[14:15], vcc
	s_cbranch_execz .LBB612_286
; %bb.283:                              ;   in Loop: Header=BB612_215 Depth=1
	v_bfe_u32 v40, v40, 24, 7
	v_cmp_ne_u32_e32 vcc, s19, v40
	v_mov_b32_e32 v60, 0x7f800001
	s_and_saveexec_b64 s[16:17], vcc
	s_cbranch_execz .LBB612_285
; %bb.284:                              ;   in Loop: Header=BB612_215 Depth=1
	v_and_b32_e32 v56, 7, v42
	v_ffbh_u32_e32 v60, v56
	v_min_u32_e32 v63, 32, v60
	v_subrev_u32_e32 v60, 28, v63
	v_lshlrev_b64 v[60:61], v60, v[42:43]
	v_lshrrev_b32_e32 v62, 3, v40
	v_sub_u32_e32 v61, 29, v63
	v_and_b32_e32 v60, 7, v60
	v_cmp_gt_u32_e32 vcc, 8, v40
	v_cndmask_b32_e32 v40, v62, v61, vcc
	v_cndmask_b32_e32 v56, v56, v60, vcc
	v_lshlrev_b32_e32 v42, 24, v42
	v_lshlrev_b32_e32 v56, 20, v56
	v_and_b32_e32 v42, 0x80000000, v42
	v_lshl_add_u32 v40, v40, 23, v55
	v_or3_b32 v60, v42, v40, v56
.LBB612_285:                            ;   in Loop: Header=BB612_215 Depth=1
	s_or_b64 exec, exec, s[16:17]
.LBB612_286:                            ;   in Loop: Header=BB612_215 Depth=1
	s_or_b64 exec, exec, s[14:15]
.LBB612_287:                            ;   in Loop: Header=BB612_215 Depth=1
	s_or_b64 exec, exec, s[12:13]
	s_waitcnt vmcnt(0)
	v_cmp_ne_u16_sdwa s[14:15], v38, v54 src0_sel:BYTE_0 src1_sel:DWORD
	s_and_saveexec_b64 s[12:13], s[14:15]
	s_cbranch_execz .LBB612_293
; %bb.288:                              ;   in Loop: Header=BB612_215 Depth=1
	v_cmp_ne_u16_sdwa s[16:17], v38, s9 src0_sel:BYTE_0 src1_sel:DWORD
	v_bfrev_b32_e32 v59, 1
	s_and_saveexec_b64 s[14:15], s[16:17]
	s_cbranch_execz .LBB612_292
; %bb.289:                              ;   in Loop: Header=BB612_215 Depth=1
	v_and_b32_e32 v40, 0x7f, v38
	v_cmp_ne_u32_e32 vcc, s19, v40
	v_mov_b32_e32 v59, 0x7f800001
	s_and_saveexec_b64 s[16:17], vcc
	s_cbranch_execz .LBB612_291
; %bb.290:                              ;   in Loop: Header=BB612_215 Depth=1
	v_and_b32_e32 v42, 7, v38
	v_ffbh_u32_e32 v59, v42
	v_min_u32_e32 v59, 32, v59
	v_subrev_u32_e32 v61, 28, v59
	v_lshlrev_b64 v[62:63], v61, v[38:39]
	v_lshrrev_b32_e32 v56, 3, v40
	v_sub_u32_e32 v59, 29, v59
	v_and_b32_e32 v61, 7, v62
	v_cmp_gt_u32_e32 vcc, 8, v40
	v_cndmask_b32_e32 v40, v56, v59, vcc
	v_cndmask_b32_e32 v42, v42, v61, vcc
	v_lshlrev_b32_e32 v56, 24, v38
	v_lshlrev_b32_e32 v42, 20, v42
	v_and_b32_e32 v56, 0x80000000, v56
	v_lshl_add_u32 v40, v40, 23, v55
	v_or3_b32 v59, v56, v40, v42
.LBB612_291:                            ;   in Loop: Header=BB612_215 Depth=1
	s_or_b64 exec, exec, s[16:17]
.LBB612_292:                            ;   in Loop: Header=BB612_215 Depth=1
	s_or_b64 exec, exec, s[14:15]
.LBB612_293:                            ;   in Loop: Header=BB612_215 Depth=1
	s_or_b64 exec, exec, s[12:13]
	v_lshrrev_b16_e32 v40, 8, v38
	v_cmp_ne_u16_e32 vcc, 0, v40
	v_mov_b32_e32 v61, 0
	v_mov_b32_e32 v62, 0
	s_and_saveexec_b64 s[12:13], vcc
	s_cbranch_execz .LBB612_299
; %bb.294:                              ;   in Loop: Header=BB612_215 Depth=1
	v_cmp_ne_u16_e32 vcc, s9, v40
	v_bfrev_b32_e32 v62, 1
	s_and_saveexec_b64 s[14:15], vcc
	s_cbranch_execz .LBB612_298
; %bb.295:                              ;   in Loop: Header=BB612_215 Depth=1
	v_and_b32_e32 v42, 0x7f, v40
	v_cmp_ne_u32_e32 vcc, s19, v42
	v_mov_b32_e32 v62, 0x7f800001
	s_and_saveexec_b64 s[16:17], vcc
	s_cbranch_execz .LBB612_297
; %bb.296:                              ;   in Loop: Header=BB612_215 Depth=1
	v_and_b32_e32 v56, 7, v40
	v_ffbh_u32_e32 v62, v56
	v_min_u32_e32 v65, 32, v62
	v_subrev_u32_e32 v62, 28, v65
	v_lshlrev_b64 v[62:63], v62, v[40:41]
	v_lshrrev_b32_e32 v64, 3, v42
	v_sub_u32_e32 v40, 29, v65
	v_and_b32_e32 v62, 7, v62
	v_cmp_gt_u32_e32 vcc, 8, v42
	v_cndmask_b32_e32 v40, v64, v40, vcc
	v_cndmask_b32_e32 v42, v56, v62, vcc
	v_lshlrev_b32_e32 v56, 16, v38
	v_lshlrev_b32_e32 v42, 20, v42
	v_and_b32_e32 v56, 0x80000000, v56
	v_lshl_add_u32 v40, v40, 23, v55
	v_or3_b32 v62, v56, v40, v42
.LBB612_297:                            ;   in Loop: Header=BB612_215 Depth=1
	s_or_b64 exec, exec, s[16:17]
.LBB612_298:                            ;   in Loop: Header=BB612_215 Depth=1
	s_or_b64 exec, exec, s[14:15]
.LBB612_299:                            ;   in Loop: Header=BB612_215 Depth=1
	s_or_b64 exec, exec, s[12:13]
	v_lshrrev_b32_e32 v40, 16, v38
	v_cmp_ne_u16_sdwa s[14:15], v40, v54 src0_sel:BYTE_0 src1_sel:DWORD
	s_and_saveexec_b64 s[12:13], s[14:15]
	s_cbranch_execz .LBB612_305
; %bb.300:                              ;   in Loop: Header=BB612_215 Depth=1
	v_cmp_ne_u16_sdwa s[16:17], v40, s9 src0_sel:BYTE_0 src1_sel:DWORD
	v_bfrev_b32_e32 v61, 1
	s_and_saveexec_b64 s[14:15], s[16:17]
	s_cbranch_execz .LBB612_304
; %bb.301:                              ;   in Loop: Header=BB612_215 Depth=1
	v_bfe_u32 v42, v38, 16, 7
	v_cmp_ne_u32_e32 vcc, s19, v42
	v_mov_b32_e32 v61, 0x7f800001
	s_and_saveexec_b64 s[16:17], vcc
	s_cbranch_execz .LBB612_303
; %bb.302:                              ;   in Loop: Header=BB612_215 Depth=1
	v_and_b32_e32 v56, 7, v40
	v_ffbh_u32_e32 v63, v56
	v_min_u32_e32 v63, 32, v63
	v_subrev_u32_e32 v64, 28, v63
	v_lshlrev_b64 v[64:65], v64, v[40:41]
	v_lshrrev_b32_e32 v61, 3, v42
	v_sub_u32_e32 v63, 29, v63
	v_and_b32_e32 v64, 7, v64
	v_cmp_gt_u32_e32 vcc, 8, v42
	v_cndmask_b32_e32 v42, v61, v63, vcc
	v_cndmask_b32_e32 v56, v56, v64, vcc
	v_lshlrev_b32_e32 v40, 24, v40
	v_lshlrev_b32_e32 v56, 20, v56
	v_and_b32_e32 v40, 0x80000000, v40
	v_lshl_add_u32 v42, v42, 23, v55
	v_or3_b32 v61, v40, v42, v56
.LBB612_303:                            ;   in Loop: Header=BB612_215 Depth=1
	s_or_b64 exec, exec, s[16:17]
.LBB612_304:                            ;   in Loop: Header=BB612_215 Depth=1
	s_or_b64 exec, exec, s[14:15]
.LBB612_305:                            ;   in Loop: Header=BB612_215 Depth=1
	s_or_b64 exec, exec, s[12:13]
	v_cmp_lt_u32_e32 vcc, s20, v38
	v_mov_b32_e32 v56, 0
	v_mov_b32_e32 v63, 0
	s_and_saveexec_b64 s[12:13], vcc
	s_cbranch_execz .LBB612_311
; %bb.306:                              ;   in Loop: Header=BB612_215 Depth=1
	v_lshrrev_b32_e32 v40, 24, v38
	v_cmp_ne_u32_e32 vcc, s9, v40
	v_bfrev_b32_e32 v63, 1
	s_and_saveexec_b64 s[14:15], vcc
	s_cbranch_execz .LBB612_310
; %bb.307:                              ;   in Loop: Header=BB612_215 Depth=1
	v_bfe_u32 v38, v38, 24, 7
	v_cmp_ne_u32_e32 vcc, s19, v38
	v_mov_b32_e32 v63, 0x7f800001
	s_and_saveexec_b64 s[16:17], vcc
	s_cbranch_execz .LBB612_309
; %bb.308:                              ;   in Loop: Header=BB612_215 Depth=1
	v_and_b32_e32 v42, 7, v40
	v_ffbh_u32_e32 v64, v42
	v_min_u32_e32 v66, 32, v64
	v_subrev_u32_e32 v64, 28, v66
	v_lshlrev_b64 v[64:65], v64, v[40:41]
	v_lshrrev_b32_e32 v63, 3, v38
	v_sub_u32_e32 v65, 29, v66
	v_and_b32_e32 v64, 7, v64
	v_cmp_gt_u32_e32 vcc, 8, v38
	v_cndmask_b32_e32 v38, v63, v65, vcc
	v_cndmask_b32_e32 v42, v42, v64, vcc
	v_lshlrev_b32_e32 v40, 24, v40
	v_lshlrev_b32_e32 v42, 20, v42
	v_and_b32_e32 v40, 0x80000000, v40
	v_lshl_add_u32 v38, v38, 23, v55
	v_or3_b32 v63, v40, v38, v42
.LBB612_309:                            ;   in Loop: Header=BB612_215 Depth=1
	s_or_b64 exec, exec, s[16:17]
.LBB612_310:                            ;   in Loop: Header=BB612_215 Depth=1
	s_or_b64 exec, exec, s[14:15]
.LBB612_311:                            ;   in Loop: Header=BB612_215 Depth=1
	s_or_b64 exec, exec, s[12:13]
	v_cvt_pkrtz_f16_f32 v65, v44, v60
	buffer_load_dword v44, v46, s[0:3], 0 offen
	buffer_load_dword v42, v46, s[0:3], 0 offen offset:4
	buffer_load_dword v40, v46, s[0:3], 0 offen offset:8
	;; [unrolled: 1-line block ×3, first 2 shown]
	v_cvt_pkrtz_f16_f32 v64, v57, v58
	v_cvt_pkrtz_f16_f32 v58, v59, v62
	;; [unrolled: 1-line block ×3, first 2 shown]
	v_mfma_f32_16x16x16f16 v[34:37], v[64:65], v[6:7], v[34:37]
	s_waitcnt vmcnt(3)
	v_cmp_ne_u16_sdwa s[14:15], v44, v54 src0_sel:BYTE_0 src1_sel:DWORD
	v_mfma_f32_16x16x16f16 v[34:37], v[58:59], v[8:9], v[34:37]
	s_and_saveexec_b64 s[12:13], s[14:15]
	s_cbranch_execz .LBB612_317
; %bb.312:                              ;   in Loop: Header=BB612_215 Depth=1
	v_cmp_ne_u16_sdwa s[16:17], v44, s9 src0_sel:BYTE_0 src1_sel:DWORD
	v_bfrev_b32_e32 v56, 1
	s_and_saveexec_b64 s[14:15], s[16:17]
	s_cbranch_execz .LBB612_316
; %bb.313:                              ;   in Loop: Header=BB612_215 Depth=1
	v_and_b32_e32 v46, 0x7f, v44
	v_cmp_ne_u32_e32 vcc, s19, v46
	v_mov_b32_e32 v56, 0x7f800001
	s_and_saveexec_b64 s[16:17], vcc
	s_cbranch_execz .LBB612_315
; %bb.314:                              ;   in Loop: Header=BB612_215 Depth=1
	v_and_b32_e32 v58, 7, v44
	v_ffbh_u32_e32 v56, v58
	v_min_u32_e32 v60, 32, v56
	v_subrev_u32_e32 v56, 28, v60
	v_lshlrev_b64 v[56:57], v56, v[44:45]
	v_lshrrev_b32_e32 v59, 3, v46
	v_sub_u32_e32 v57, 29, v60
	v_and_b32_e32 v56, 7, v56
	v_cmp_gt_u32_e32 vcc, 8, v46
	v_cndmask_b32_e32 v46, v59, v57, vcc
	v_cndmask_b32_e32 v56, v58, v56, vcc
	v_lshlrev_b32_e32 v57, 24, v44
	v_lshlrev_b32_e32 v56, 20, v56
	v_and_b32_e32 v57, 0x80000000, v57
	v_lshl_add_u32 v46, v46, 23, v55
	v_or3_b32 v56, v57, v46, v56
.LBB612_315:                            ;   in Loop: Header=BB612_215 Depth=1
	s_or_b64 exec, exec, s[16:17]
.LBB612_316:                            ;   in Loop: Header=BB612_215 Depth=1
	s_or_b64 exec, exec, s[14:15]
.LBB612_317:                            ;   in Loop: Header=BB612_215 Depth=1
	s_or_b64 exec, exec, s[12:13]
	v_lshrrev_b16_e32 v46, 8, v44
	v_cmp_ne_u16_e32 vcc, 0, v46
	v_mov_b32_e32 v57, 0
	v_mov_b32_e32 v58, 0
	s_and_saveexec_b64 s[12:13], vcc
	s_cbranch_execz .LBB612_323
; %bb.318:                              ;   in Loop: Header=BB612_215 Depth=1
	v_cmp_ne_u16_e32 vcc, s9, v46
	v_bfrev_b32_e32 v58, 1
	s_and_saveexec_b64 s[14:15], vcc
	s_cbranch_execz .LBB612_322
; %bb.319:                              ;   in Loop: Header=BB612_215 Depth=1
	v_and_b32_e32 v59, 0x7f, v46
	v_cmp_ne_u32_e32 vcc, s19, v59
	v_mov_b32_e32 v58, 0x7f800001
	s_and_saveexec_b64 s[16:17], vcc
	s_cbranch_execz .LBB612_321
; %bb.320:                              ;   in Loop: Header=BB612_215 Depth=1
	v_and_b32_e32 v58, 7, v46
	v_ffbh_u32_e32 v60, v58
	v_min_u32_e32 v63, 32, v60
	v_subrev_u32_e32 v60, 28, v63
	v_lshlrev_b64 v[60:61], v60, v[46:47]
	v_lshrrev_b32_e32 v62, 3, v59
	v_sub_u32_e32 v46, 29, v63
	v_and_b32_e32 v60, 7, v60
	v_cmp_gt_u32_e32 vcc, 8, v59
	v_cndmask_b32_e32 v46, v62, v46, vcc
	v_cndmask_b32_e32 v58, v58, v60, vcc
	v_lshlrev_b32_e32 v59, 16, v44
	v_lshlrev_b32_e32 v58, 20, v58
	v_and_b32_e32 v59, 0x80000000, v59
	v_lshl_add_u32 v46, v46, 23, v55
	v_or3_b32 v58, v59, v46, v58
.LBB612_321:                            ;   in Loop: Header=BB612_215 Depth=1
	s_or_b64 exec, exec, s[16:17]
.LBB612_322:                            ;   in Loop: Header=BB612_215 Depth=1
	s_or_b64 exec, exec, s[14:15]
.LBB612_323:                            ;   in Loop: Header=BB612_215 Depth=1
	s_or_b64 exec, exec, s[12:13]
	v_lshrrev_b32_e32 v46, 16, v44
	v_cmp_ne_u16_sdwa s[14:15], v46, v54 src0_sel:BYTE_0 src1_sel:DWORD
	s_and_saveexec_b64 s[12:13], s[14:15]
	s_cbranch_execz .LBB612_329
; %bb.324:                              ;   in Loop: Header=BB612_215 Depth=1
	v_cmp_ne_u16_sdwa s[16:17], v46, s9 src0_sel:BYTE_0 src1_sel:DWORD
	v_bfrev_b32_e32 v57, 1
	s_and_saveexec_b64 s[14:15], s[16:17]
	s_cbranch_execz .LBB612_328
; %bb.325:                              ;   in Loop: Header=BB612_215 Depth=1
	v_bfe_u32 v59, v44, 16, 7
	v_cmp_ne_u32_e32 vcc, s19, v59
	v_mov_b32_e32 v57, 0x7f800001
	s_and_saveexec_b64 s[16:17], vcc
	s_cbranch_execz .LBB612_327
; %bb.326:                              ;   in Loop: Header=BB612_215 Depth=1
	v_and_b32_e32 v57, 7, v46
	v_ffbh_u32_e32 v60, v57
	v_min_u32_e32 v63, 32, v60
	v_subrev_u32_e32 v60, 28, v63
	v_lshlrev_b64 v[60:61], v60, v[46:47]
	v_lshrrev_b32_e32 v62, 3, v59
	v_sub_u32_e32 v61, 29, v63
	v_and_b32_e32 v60, 7, v60
	v_cmp_gt_u32_e32 vcc, 8, v59
	v_cndmask_b32_e32 v59, v62, v61, vcc
	v_cndmask_b32_e32 v57, v57, v60, vcc
	v_lshlrev_b32_e32 v46, 24, v46
	v_lshlrev_b32_e32 v57, 20, v57
	v_and_b32_e32 v46, 0x80000000, v46
	v_lshl_add_u32 v59, v59, 23, v55
	v_or3_b32 v57, v46, v59, v57
.LBB612_327:                            ;   in Loop: Header=BB612_215 Depth=1
	s_or_b64 exec, exec, s[16:17]
.LBB612_328:                            ;   in Loop: Header=BB612_215 Depth=1
	s_or_b64 exec, exec, s[14:15]
.LBB612_329:                            ;   in Loop: Header=BB612_215 Depth=1
	s_or_b64 exec, exec, s[12:13]
	v_cmp_lt_u32_e32 vcc, s20, v44
	v_mov_b32_e32 v59, 0
	v_mov_b32_e32 v60, 0
	s_and_saveexec_b64 s[12:13], vcc
	s_cbranch_execz .LBB612_335
; %bb.330:                              ;   in Loop: Header=BB612_215 Depth=1
	v_lshrrev_b32_e32 v46, 24, v44
	v_cmp_ne_u32_e32 vcc, s9, v46
	v_bfrev_b32_e32 v60, 1
	s_and_saveexec_b64 s[14:15], vcc
	s_cbranch_execz .LBB612_334
; %bb.331:                              ;   in Loop: Header=BB612_215 Depth=1
	v_bfe_u32 v44, v44, 24, 7
	v_cmp_ne_u32_e32 vcc, s19, v44
	v_mov_b32_e32 v60, 0x7f800001
	s_and_saveexec_b64 s[16:17], vcc
	s_cbranch_execz .LBB612_333
; %bb.332:                              ;   in Loop: Header=BB612_215 Depth=1
	v_and_b32_e32 v62, 7, v46
	v_ffbh_u32_e32 v60, v62
	v_min_u32_e32 v64, 32, v60
	v_subrev_u32_e32 v60, 28, v64
	v_lshlrev_b64 v[60:61], v60, v[46:47]
	v_lshrrev_b32_e32 v63, 3, v44
	v_sub_u32_e32 v61, 29, v64
	v_and_b32_e32 v60, 7, v60
	v_cmp_gt_u32_e32 vcc, 8, v44
	v_cndmask_b32_e32 v44, v63, v61, vcc
	v_cndmask_b32_e32 v60, v62, v60, vcc
	v_lshlrev_b32_e32 v46, 24, v46
	v_lshlrev_b32_e32 v60, 20, v60
	v_and_b32_e32 v46, 0x80000000, v46
	v_lshl_add_u32 v44, v44, 23, v55
	v_or3_b32 v60, v46, v44, v60
.LBB612_333:                            ;   in Loop: Header=BB612_215 Depth=1
	s_or_b64 exec, exec, s[16:17]
.LBB612_334:                            ;   in Loop: Header=BB612_215 Depth=1
	s_or_b64 exec, exec, s[14:15]
.LBB612_335:                            ;   in Loop: Header=BB612_215 Depth=1
	s_or_b64 exec, exec, s[12:13]
	s_waitcnt vmcnt(2)
	v_cmp_ne_u16_sdwa s[14:15], v42, v54 src0_sel:BYTE_0 src1_sel:DWORD
	s_and_saveexec_b64 s[12:13], s[14:15]
	s_cbranch_execz .LBB612_341
; %bb.336:                              ;   in Loop: Header=BB612_215 Depth=1
	v_cmp_ne_u16_sdwa s[16:17], v42, s9 src0_sel:BYTE_0 src1_sel:DWORD
	v_bfrev_b32_e32 v59, 1
	s_and_saveexec_b64 s[14:15], s[16:17]
	s_cbranch_execz .LBB612_340
; %bb.337:                              ;   in Loop: Header=BB612_215 Depth=1
	v_and_b32_e32 v44, 0x7f, v42
	v_cmp_ne_u32_e32 vcc, s19, v44
	v_mov_b32_e32 v59, 0x7f800001
	s_and_saveexec_b64 s[16:17], vcc
	s_cbranch_execz .LBB612_339
; %bb.338:                              ;   in Loop: Header=BB612_215 Depth=1
	v_and_b32_e32 v46, 7, v42
	v_ffbh_u32_e32 v61, v46
	v_min_u32_e32 v61, 32, v61
	v_subrev_u32_e32 v62, 28, v61
	v_lshlrev_b64 v[62:63], v62, v[42:43]
	v_lshrrev_b32_e32 v59, 3, v44
	v_sub_u32_e32 v61, 29, v61
	v_and_b32_e32 v62, 7, v62
	v_cmp_gt_u32_e32 vcc, 8, v44
	v_cndmask_b32_e32 v44, v59, v61, vcc
	v_cndmask_b32_e32 v46, v46, v62, vcc
	v_lshlrev_b32_e32 v59, 24, v42
	v_lshlrev_b32_e32 v46, 20, v46
	v_and_b32_e32 v59, 0x80000000, v59
	v_lshl_add_u32 v44, v44, 23, v55
	v_or3_b32 v59, v59, v44, v46
.LBB612_339:                            ;   in Loop: Header=BB612_215 Depth=1
	s_or_b64 exec, exec, s[16:17]
.LBB612_340:                            ;   in Loop: Header=BB612_215 Depth=1
	s_or_b64 exec, exec, s[14:15]
.LBB612_341:                            ;   in Loop: Header=BB612_215 Depth=1
	s_or_b64 exec, exec, s[12:13]
	v_lshrrev_b16_e32 v44, 8, v42
	v_cmp_ne_u16_e32 vcc, 0, v44
	v_mov_b32_e32 v61, 0
	v_mov_b32_e32 v62, 0
	s_and_saveexec_b64 s[12:13], vcc
	s_cbranch_execz .LBB612_347
; %bb.342:                              ;   in Loop: Header=BB612_215 Depth=1
	v_cmp_ne_u16_e32 vcc, s9, v44
	v_bfrev_b32_e32 v62, 1
	s_and_saveexec_b64 s[14:15], vcc
	s_cbranch_execz .LBB612_346
; %bb.343:                              ;   in Loop: Header=BB612_215 Depth=1
	v_and_b32_e32 v46, 0x7f, v44
	v_cmp_ne_u32_e32 vcc, s19, v46
	v_mov_b32_e32 v62, 0x7f800001
	s_and_saveexec_b64 s[16:17], vcc
	s_cbranch_execz .LBB612_345
; %bb.344:                              ;   in Loop: Header=BB612_215 Depth=1
	v_and_b32_e32 v64, 7, v44
	v_ffbh_u32_e32 v62, v64
	v_min_u32_e32 v66, 32, v62
	v_subrev_u32_e32 v62, 28, v66
	v_lshlrev_b64 v[62:63], v62, v[44:45]
	v_lshrrev_b32_e32 v65, 3, v46
	v_sub_u32_e32 v44, 29, v66
	v_and_b32_e32 v62, 7, v62
	v_cmp_gt_u32_e32 vcc, 8, v46
	v_cndmask_b32_e32 v44, v65, v44, vcc
	v_cndmask_b32_e32 v46, v64, v62, vcc
	v_lshlrev_b32_e32 v62, 16, v42
	v_lshlrev_b32_e32 v46, 20, v46
	v_and_b32_e32 v62, 0x80000000, v62
	v_lshl_add_u32 v44, v44, 23, v55
	v_or3_b32 v62, v62, v44, v46
.LBB612_345:                            ;   in Loop: Header=BB612_215 Depth=1
	s_or_b64 exec, exec, s[16:17]
.LBB612_346:                            ;   in Loop: Header=BB612_215 Depth=1
	s_or_b64 exec, exec, s[14:15]
.LBB612_347:                            ;   in Loop: Header=BB612_215 Depth=1
	s_or_b64 exec, exec, s[12:13]
	v_lshrrev_b32_e32 v44, 16, v42
	v_cmp_ne_u16_sdwa s[14:15], v44, v54 src0_sel:BYTE_0 src1_sel:DWORD
	s_and_saveexec_b64 s[12:13], s[14:15]
	s_cbranch_execz .LBB612_353
; %bb.348:                              ;   in Loop: Header=BB612_215 Depth=1
	v_cmp_ne_u16_sdwa s[16:17], v44, s9 src0_sel:BYTE_0 src1_sel:DWORD
	v_bfrev_b32_e32 v61, 1
	s_and_saveexec_b64 s[14:15], s[16:17]
	s_cbranch_execz .LBB612_352
; %bb.349:                              ;   in Loop: Header=BB612_215 Depth=1
	v_bfe_u32 v46, v42, 16, 7
	v_cmp_ne_u32_e32 vcc, s19, v46
	v_mov_b32_e32 v61, 0x7f800001
	s_and_saveexec_b64 s[16:17], vcc
	s_cbranch_execz .LBB612_351
; %bb.350:                              ;   in Loop: Header=BB612_215 Depth=1
	v_and_b32_e32 v61, 7, v44
	v_ffbh_u32_e32 v64, v61
	v_min_u32_e32 v66, 32, v64
	v_subrev_u32_e32 v64, 28, v66
	v_lshlrev_b64 v[64:65], v64, v[44:45]
	v_lshrrev_b32_e32 v63, 3, v46
	v_sub_u32_e32 v65, 29, v66
	v_and_b32_e32 v64, 7, v64
	v_cmp_gt_u32_e32 vcc, 8, v46
	v_cndmask_b32_e32 v46, v63, v65, vcc
	v_cndmask_b32_e32 v61, v61, v64, vcc
	v_lshlrev_b32_e32 v44, 24, v44
	v_lshlrev_b32_e32 v61, 20, v61
	v_and_b32_e32 v44, 0x80000000, v44
	v_lshl_add_u32 v46, v46, 23, v55
	v_or3_b32 v61, v44, v46, v61
.LBB612_351:                            ;   in Loop: Header=BB612_215 Depth=1
	s_or_b64 exec, exec, s[16:17]
.LBB612_352:                            ;   in Loop: Header=BB612_215 Depth=1
	s_or_b64 exec, exec, s[14:15]
.LBB612_353:                            ;   in Loop: Header=BB612_215 Depth=1
	s_or_b64 exec, exec, s[12:13]
	v_cmp_lt_u32_e32 vcc, s20, v42
	v_mov_b32_e32 v46, 0
	v_mov_b32_e32 v63, 0
	s_and_saveexec_b64 s[12:13], vcc
	s_cbranch_execz .LBB612_359
; %bb.354:                              ;   in Loop: Header=BB612_215 Depth=1
	v_lshrrev_b32_e32 v44, 24, v42
	v_cmp_ne_u32_e32 vcc, s9, v44
	v_bfrev_b32_e32 v63, 1
	s_and_saveexec_b64 s[14:15], vcc
	s_cbranch_execz .LBB612_358
; %bb.355:                              ;   in Loop: Header=BB612_215 Depth=1
	v_bfe_u32 v42, v42, 24, 7
	v_cmp_ne_u32_e32 vcc, s19, v42
	v_mov_b32_e32 v63, 0x7f800001
	s_and_saveexec_b64 s[16:17], vcc
	s_cbranch_execz .LBB612_357
; %bb.356:                              ;   in Loop: Header=BB612_215 Depth=1
	v_and_b32_e32 v63, 7, v44
	v_ffbh_u32_e32 v64, v63
	v_min_u32_e32 v67, 32, v64
	v_subrev_u32_e32 v64, 28, v67
	v_lshlrev_b64 v[64:65], v64, v[44:45]
	v_lshrrev_b32_e32 v66, 3, v42
	v_sub_u32_e32 v65, 29, v67
	v_and_b32_e32 v64, 7, v64
	v_cmp_gt_u32_e32 vcc, 8, v42
	v_cndmask_b32_e32 v42, v66, v65, vcc
	v_cndmask_b32_e32 v63, v63, v64, vcc
	v_lshlrev_b32_e32 v44, 24, v44
	v_lshlrev_b32_e32 v63, 20, v63
	v_and_b32_e32 v44, 0x80000000, v44
	v_lshl_add_u32 v42, v42, 23, v55
	v_or3_b32 v63, v44, v42, v63
.LBB612_357:                            ;   in Loop: Header=BB612_215 Depth=1
	s_or_b64 exec, exec, s[16:17]
.LBB612_358:                            ;   in Loop: Header=BB612_215 Depth=1
	s_or_b64 exec, exec, s[14:15]
.LBB612_359:                            ;   in Loop: Header=BB612_215 Depth=1
	s_or_b64 exec, exec, s[12:13]
	v_cvt_pkrtz_f16_f32 v56, v56, v58
	v_cvt_pkrtz_f16_f32 v57, v57, v60
	s_waitcnt vmcnt(1)
	v_cmp_ne_u16_sdwa s[14:15], v40, v54 src0_sel:BYTE_0 src1_sel:DWORD
	v_mfma_f32_16x16x16f16 v[34:37], v[56:57], v[10:11], v[34:37]
	v_cvt_pkrtz_f16_f32 v56, v59, v62
	v_cvt_pkrtz_f16_f32 v57, v61, v63
	s_nop 1
	v_mfma_f32_16x16x16f16 v[34:37], v[56:57], v[12:13], v[34:37]
	s_and_saveexec_b64 s[12:13], s[14:15]
	s_cbranch_execz .LBB612_365
; %bb.360:                              ;   in Loop: Header=BB612_215 Depth=1
	v_cmp_ne_u16_sdwa s[16:17], v40, s9 src0_sel:BYTE_0 src1_sel:DWORD
	v_bfrev_b32_e32 v46, 1
	s_and_saveexec_b64 s[14:15], s[16:17]
	s_cbranch_execz .LBB612_364
; %bb.361:                              ;   in Loop: Header=BB612_215 Depth=1
	v_and_b32_e32 v42, 0x7f, v40
	v_cmp_ne_u32_e32 vcc, s19, v42
	v_mov_b32_e32 v46, 0x7f800001
	s_and_saveexec_b64 s[16:17], vcc
	s_cbranch_execz .LBB612_363
; %bb.362:                              ;   in Loop: Header=BB612_215 Depth=1
	v_and_b32_e32 v44, 7, v40
	v_ffbh_u32_e32 v56, v44
	v_min_u32_e32 v58, 32, v56
	v_subrev_u32_e32 v56, 28, v58
	v_lshlrev_b64 v[56:57], v56, v[40:41]
	v_lshrrev_b32_e32 v46, 3, v42
	v_sub_u32_e32 v57, 29, v58
	v_and_b32_e32 v56, 7, v56
	v_cmp_gt_u32_e32 vcc, 8, v42
	v_cndmask_b32_e32 v42, v46, v57, vcc
	v_cndmask_b32_e32 v44, v44, v56, vcc
	v_lshlrev_b32_e32 v46, 24, v40
	v_lshlrev_b32_e32 v44, 20, v44
	v_and_b32_e32 v46, 0x80000000, v46
	v_lshl_add_u32 v42, v42, 23, v55
	v_or3_b32 v46, v46, v42, v44
.LBB612_363:                            ;   in Loop: Header=BB612_215 Depth=1
	s_or_b64 exec, exec, s[16:17]
.LBB612_364:                            ;   in Loop: Header=BB612_215 Depth=1
	s_or_b64 exec, exec, s[14:15]
.LBB612_365:                            ;   in Loop: Header=BB612_215 Depth=1
	s_or_b64 exec, exec, s[12:13]
	v_lshrrev_b16_e32 v42, 8, v40
	v_cmp_ne_u16_e32 vcc, 0, v42
	v_mov_b32_e32 v44, 0
	v_mov_b32_e32 v57, 0
	s_and_saveexec_b64 s[12:13], vcc
	s_cbranch_execz .LBB612_371
; %bb.366:                              ;   in Loop: Header=BB612_215 Depth=1
	v_cmp_ne_u16_e32 vcc, s9, v42
	v_bfrev_b32_e32 v57, 1
	s_and_saveexec_b64 s[14:15], vcc
	s_cbranch_execz .LBB612_370
; %bb.367:                              ;   in Loop: Header=BB612_215 Depth=1
	v_and_b32_e32 v56, 0x7f, v42
	v_cmp_ne_u32_e32 vcc, s19, v56
	v_mov_b32_e32 v57, 0x7f800001
	s_and_saveexec_b64 s[16:17], vcc
	s_cbranch_execz .LBB612_369
; %bb.368:                              ;   in Loop: Header=BB612_215 Depth=1
	v_and_b32_e32 v57, 7, v42
	v_ffbh_u32_e32 v58, v57
	v_min_u32_e32 v61, 32, v58
	v_subrev_u32_e32 v58, 28, v61
	v_lshlrev_b64 v[58:59], v58, v[42:43]
	v_lshrrev_b32_e32 v60, 3, v56
	v_sub_u32_e32 v42, 29, v61
	v_and_b32_e32 v58, 7, v58
	v_cmp_gt_u32_e32 vcc, 8, v56
	v_cndmask_b32_e32 v42, v60, v42, vcc
	v_cndmask_b32_e32 v56, v57, v58, vcc
	v_lshlrev_b32_e32 v57, 16, v40
	v_lshlrev_b32_e32 v56, 20, v56
	v_and_b32_e32 v57, 0x80000000, v57
	v_lshl_add_u32 v42, v42, 23, v55
	v_or3_b32 v57, v57, v42, v56
.LBB612_369:                            ;   in Loop: Header=BB612_215 Depth=1
	s_or_b64 exec, exec, s[16:17]
.LBB612_370:                            ;   in Loop: Header=BB612_215 Depth=1
	s_or_b64 exec, exec, s[14:15]
.LBB612_371:                            ;   in Loop: Header=BB612_215 Depth=1
	s_or_b64 exec, exec, s[12:13]
	v_lshrrev_b32_e32 v42, 16, v40
	v_cmp_ne_u16_sdwa s[14:15], v42, v54 src0_sel:BYTE_0 src1_sel:DWORD
	s_and_saveexec_b64 s[12:13], s[14:15]
	s_cbranch_execz .LBB612_377
; %bb.372:                              ;   in Loop: Header=BB612_215 Depth=1
	v_cmp_ne_u16_sdwa s[16:17], v42, s9 src0_sel:BYTE_0 src1_sel:DWORD
	v_bfrev_b32_e32 v44, 1
	s_and_saveexec_b64 s[14:15], s[16:17]
	s_cbranch_execz .LBB612_376
; %bb.373:                              ;   in Loop: Header=BB612_215 Depth=1
	v_bfe_u32 v56, v40, 16, 7
	v_cmp_ne_u32_e32 vcc, s19, v56
	v_mov_b32_e32 v44, 0x7f800001
	s_and_saveexec_b64 s[16:17], vcc
	s_cbranch_execz .LBB612_375
; %bb.374:                              ;   in Loop: Header=BB612_215 Depth=1
	v_and_b32_e32 v44, 7, v42
	v_ffbh_u32_e32 v58, v44
	v_min_u32_e32 v61, 32, v58
	v_subrev_u32_e32 v58, 28, v61
	v_lshlrev_b64 v[58:59], v58, v[42:43]
	v_lshrrev_b32_e32 v60, 3, v56
	v_sub_u32_e32 v59, 29, v61
	v_and_b32_e32 v58, 7, v58
	v_cmp_gt_u32_e32 vcc, 8, v56
	v_cndmask_b32_e32 v56, v60, v59, vcc
	v_cndmask_b32_e32 v44, v44, v58, vcc
	v_lshlrev_b32_e32 v42, 24, v42
	v_lshlrev_b32_e32 v44, 20, v44
	v_and_b32_e32 v42, 0x80000000, v42
	v_lshl_add_u32 v56, v56, 23, v55
	v_or3_b32 v44, v42, v56, v44
.LBB612_375:                            ;   in Loop: Header=BB612_215 Depth=1
	s_or_b64 exec, exec, s[16:17]
.LBB612_376:                            ;   in Loop: Header=BB612_215 Depth=1
	s_or_b64 exec, exec, s[14:15]
.LBB612_377:                            ;   in Loop: Header=BB612_215 Depth=1
	s_or_b64 exec, exec, s[12:13]
	v_cmp_lt_u32_e32 vcc, s20, v40
	v_mov_b32_e32 v58, 0
	v_mov_b32_e32 v59, 0
	s_and_saveexec_b64 s[12:13], vcc
	s_cbranch_execz .LBB612_383
; %bb.378:                              ;   in Loop: Header=BB612_215 Depth=1
	v_lshrrev_b32_e32 v42, 24, v40
	v_cmp_ne_u32_e32 vcc, s9, v42
	v_bfrev_b32_e32 v59, 1
	s_and_saveexec_b64 s[14:15], vcc
	s_cbranch_execz .LBB612_382
; %bb.379:                              ;   in Loop: Header=BB612_215 Depth=1
	v_bfe_u32 v40, v40, 24, 7
	v_cmp_ne_u32_e32 vcc, s19, v40
	v_mov_b32_e32 v59, 0x7f800001
	s_and_saveexec_b64 s[16:17], vcc
	s_cbranch_execz .LBB612_381
; %bb.380:                              ;   in Loop: Header=BB612_215 Depth=1
	v_and_b32_e32 v56, 7, v42
	v_ffbh_u32_e32 v60, v56
	v_min_u32_e32 v62, 32, v60
	v_subrev_u32_e32 v60, 28, v62
	v_lshlrev_b64 v[60:61], v60, v[42:43]
	v_lshrrev_b32_e32 v59, 3, v40
	v_sub_u32_e32 v61, 29, v62
	v_and_b32_e32 v60, 7, v60
	v_cmp_gt_u32_e32 vcc, 8, v40
	v_cndmask_b32_e32 v40, v59, v61, vcc
	v_cndmask_b32_e32 v56, v56, v60, vcc
	v_lshlrev_b32_e32 v42, 24, v42
	v_lshlrev_b32_e32 v56, 20, v56
	v_and_b32_e32 v42, 0x80000000, v42
	v_lshl_add_u32 v40, v40, 23, v55
	v_or3_b32 v59, v42, v40, v56
.LBB612_381:                            ;   in Loop: Header=BB612_215 Depth=1
	s_or_b64 exec, exec, s[16:17]
.LBB612_382:                            ;   in Loop: Header=BB612_215 Depth=1
	s_or_b64 exec, exec, s[14:15]
.LBB612_383:                            ;   in Loop: Header=BB612_215 Depth=1
	s_or_b64 exec, exec, s[12:13]
	s_waitcnt vmcnt(0)
	v_cmp_ne_u16_sdwa s[14:15], v38, v54 src0_sel:BYTE_0 src1_sel:DWORD
	s_and_saveexec_b64 s[12:13], s[14:15]
	s_cbranch_execz .LBB612_389
; %bb.384:                              ;   in Loop: Header=BB612_215 Depth=1
	v_cmp_ne_u16_sdwa s[16:17], v38, s9 src0_sel:BYTE_0 src1_sel:DWORD
	v_bfrev_b32_e32 v58, 1
	s_and_saveexec_b64 s[14:15], s[16:17]
	s_cbranch_execz .LBB612_388
; %bb.385:                              ;   in Loop: Header=BB612_215 Depth=1
	v_and_b32_e32 v40, 0x7f, v38
	v_cmp_ne_u32_e32 vcc, s19, v40
	v_mov_b32_e32 v58, 0x7f800001
	s_and_saveexec_b64 s[16:17], vcc
	s_cbranch_execz .LBB612_387
; %bb.386:                              ;   in Loop: Header=BB612_215 Depth=1
	v_and_b32_e32 v42, 7, v38
	v_ffbh_u32_e32 v58, v42
	v_min_u32_e32 v58, 32, v58
	v_subrev_u32_e32 v60, 28, v58
	v_lshlrev_b64 v[60:61], v60, v[38:39]
	v_lshrrev_b32_e32 v56, 3, v40
	v_sub_u32_e32 v58, 29, v58
	v_and_b32_e32 v60, 7, v60
	v_cmp_gt_u32_e32 vcc, 8, v40
	v_cndmask_b32_e32 v40, v56, v58, vcc
	v_cndmask_b32_e32 v42, v42, v60, vcc
	v_lshlrev_b32_e32 v56, 24, v38
	v_lshlrev_b32_e32 v42, 20, v42
	v_and_b32_e32 v56, 0x80000000, v56
	v_lshl_add_u32 v40, v40, 23, v55
	v_or3_b32 v58, v56, v40, v42
.LBB612_387:                            ;   in Loop: Header=BB612_215 Depth=1
	s_or_b64 exec, exec, s[16:17]
.LBB612_388:                            ;   in Loop: Header=BB612_215 Depth=1
	s_or_b64 exec, exec, s[14:15]
.LBB612_389:                            ;   in Loop: Header=BB612_215 Depth=1
	s_or_b64 exec, exec, s[12:13]
	v_lshrrev_b16_e32 v40, 8, v38
	v_cmp_ne_u16_e32 vcc, 0, v40
	v_mov_b32_e32 v60, 0
	v_mov_b32_e32 v61, 0
	s_and_saveexec_b64 s[12:13], vcc
	s_cbranch_execz .LBB612_395
; %bb.390:                              ;   in Loop: Header=BB612_215 Depth=1
	v_cmp_ne_u16_e32 vcc, s9, v40
	v_bfrev_b32_e32 v61, 1
	s_and_saveexec_b64 s[14:15], vcc
	s_cbranch_execz .LBB612_394
; %bb.391:                              ;   in Loop: Header=BB612_215 Depth=1
	v_and_b32_e32 v42, 0x7f, v40
	v_cmp_ne_u32_e32 vcc, s19, v42
	v_mov_b32_e32 v61, 0x7f800001
	s_and_saveexec_b64 s[16:17], vcc
	s_cbranch_execz .LBB612_393
; %bb.392:                              ;   in Loop: Header=BB612_215 Depth=1
	v_and_b32_e32 v56, 7, v40
	v_ffbh_u32_e32 v62, v56
	v_min_u32_e32 v64, 32, v62
	v_subrev_u32_e32 v62, 28, v64
	v_lshlrev_b64 v[62:63], v62, v[40:41]
	v_lshrrev_b32_e32 v61, 3, v42
	v_sub_u32_e32 v40, 29, v64
	v_and_b32_e32 v62, 7, v62
	v_cmp_gt_u32_e32 vcc, 8, v42
	v_cndmask_b32_e32 v40, v61, v40, vcc
	v_cndmask_b32_e32 v42, v56, v62, vcc
	v_lshlrev_b32_e32 v56, 16, v38
	v_lshlrev_b32_e32 v42, 20, v42
	v_and_b32_e32 v56, 0x80000000, v56
	v_lshl_add_u32 v40, v40, 23, v55
	v_or3_b32 v61, v56, v40, v42
.LBB612_393:                            ;   in Loop: Header=BB612_215 Depth=1
	s_or_b64 exec, exec, s[16:17]
.LBB612_394:                            ;   in Loop: Header=BB612_215 Depth=1
	s_or_b64 exec, exec, s[14:15]
.LBB612_395:                            ;   in Loop: Header=BB612_215 Depth=1
	s_or_b64 exec, exec, s[12:13]
	v_lshrrev_b32_e32 v40, 16, v38
	v_cmp_ne_u16_sdwa s[14:15], v40, v54 src0_sel:BYTE_0 src1_sel:DWORD
	s_and_saveexec_b64 s[12:13], s[14:15]
	s_cbranch_execz .LBB612_401
; %bb.396:                              ;   in Loop: Header=BB612_215 Depth=1
	v_cmp_ne_u16_sdwa s[16:17], v40, s9 src0_sel:BYTE_0 src1_sel:DWORD
	v_bfrev_b32_e32 v60, 1
	s_and_saveexec_b64 s[14:15], s[16:17]
	s_cbranch_execz .LBB612_400
; %bb.397:                              ;   in Loop: Header=BB612_215 Depth=1
	v_bfe_u32 v42, v38, 16, 7
	v_cmp_ne_u32_e32 vcc, s19, v42
	v_mov_b32_e32 v60, 0x7f800001
	s_and_saveexec_b64 s[16:17], vcc
	s_cbranch_execz .LBB612_399
; %bb.398:                              ;   in Loop: Header=BB612_215 Depth=1
	v_and_b32_e32 v56, 7, v40
	v_ffbh_u32_e32 v62, v56
	v_min_u32_e32 v64, 32, v62
	v_subrev_u32_e32 v62, 28, v64
	v_lshlrev_b64 v[62:63], v62, v[40:41]
	v_lshrrev_b32_e32 v60, 3, v42
	v_sub_u32_e32 v63, 29, v64
	v_and_b32_e32 v62, 7, v62
	v_cmp_gt_u32_e32 vcc, 8, v42
	v_cndmask_b32_e32 v42, v60, v63, vcc
	v_cndmask_b32_e32 v56, v56, v62, vcc
	v_lshlrev_b32_e32 v40, 24, v40
	v_lshlrev_b32_e32 v56, 20, v56
	v_and_b32_e32 v40, 0x80000000, v40
	v_lshl_add_u32 v42, v42, 23, v55
	v_or3_b32 v60, v40, v42, v56
.LBB612_399:                            ;   in Loop: Header=BB612_215 Depth=1
	s_or_b64 exec, exec, s[16:17]
.LBB612_400:                            ;   in Loop: Header=BB612_215 Depth=1
	s_or_b64 exec, exec, s[14:15]
.LBB612_401:                            ;   in Loop: Header=BB612_215 Depth=1
	s_or_b64 exec, exec, s[12:13]
	v_cmp_lt_u32_e32 vcc, s20, v38
	v_mov_b32_e32 v56, 0
	v_mov_b32_e32 v62, 0
	s_and_saveexec_b64 s[12:13], vcc
	s_cbranch_execz .LBB612_407
; %bb.402:                              ;   in Loop: Header=BB612_215 Depth=1
	v_lshrrev_b32_e32 v40, 24, v38
	v_cmp_ne_u32_e32 vcc, s9, v40
	v_bfrev_b32_e32 v62, 1
	s_and_saveexec_b64 s[14:15], vcc
	s_cbranch_execz .LBB612_406
; %bb.403:                              ;   in Loop: Header=BB612_215 Depth=1
	v_bfe_u32 v38, v38, 24, 7
	v_cmp_ne_u32_e32 vcc, s19, v38
	v_mov_b32_e32 v62, 0x7f800001
	s_and_saveexec_b64 s[16:17], vcc
	s_cbranch_execz .LBB612_405
; %bb.404:                              ;   in Loop: Header=BB612_215 Depth=1
	v_and_b32_e32 v42, 7, v40
	v_ffbh_u32_e32 v62, v42
	v_min_u32_e32 v65, 32, v62
	v_subrev_u32_e32 v62, 28, v65
	v_lshlrev_b64 v[62:63], v62, v[40:41]
	v_lshrrev_b32_e32 v64, 3, v38
	v_sub_u32_e32 v63, 29, v65
	v_and_b32_e32 v62, 7, v62
	v_cmp_gt_u32_e32 vcc, 8, v38
	v_cndmask_b32_e32 v38, v64, v63, vcc
	v_cndmask_b32_e32 v42, v42, v62, vcc
	v_lshlrev_b32_e32 v40, 24, v40
	v_lshlrev_b32_e32 v42, 20, v42
	v_and_b32_e32 v40, 0x80000000, v40
	v_lshl_add_u32 v38, v38, 23, v55
	v_or3_b32 v62, v40, v38, v42
.LBB612_405:                            ;   in Loop: Header=BB612_215 Depth=1
	s_or_b64 exec, exec, s[16:17]
.LBB612_406:                            ;   in Loop: Header=BB612_215 Depth=1
	s_or_b64 exec, exec, s[14:15]
.LBB612_407:                            ;   in Loop: Header=BB612_215 Depth=1
	s_or_b64 exec, exec, s[12:13]
	v_cvt_pkrtz_f16_f32 v65, v44, v59
	buffer_load_dword v44, v51, s[0:3], 0 offen
	buffer_load_dword v42, v51, s[0:3], 0 offen offset:4
	buffer_load_dword v40, v51, s[0:3], 0 offen offset:8
	;; [unrolled: 1-line block ×3, first 2 shown]
	v_cvt_pkrtz_f16_f32 v64, v46, v57
	v_cvt_pkrtz_f16_f32 v58, v58, v61
	;; [unrolled: 1-line block ×3, first 2 shown]
	v_mfma_f32_16x16x16f16 v[34:37], v[64:65], v[14:15], v[34:37]
	s_waitcnt vmcnt(3)
	v_cmp_ne_u16_sdwa s[14:15], v44, v54 src0_sel:BYTE_0 src1_sel:DWORD
	v_mfma_f32_16x16x16f16 v[34:37], v[58:59], v[16:17], v[34:37]
	s_and_saveexec_b64 s[12:13], s[14:15]
	s_cbranch_execz .LBB612_413
; %bb.408:                              ;   in Loop: Header=BB612_215 Depth=1
	v_cmp_ne_u16_sdwa s[16:17], v44, s9 src0_sel:BYTE_0 src1_sel:DWORD
	v_bfrev_b32_e32 v56, 1
	s_and_saveexec_b64 s[14:15], s[16:17]
	s_cbranch_execz .LBB612_412
; %bb.409:                              ;   in Loop: Header=BB612_215 Depth=1
	v_and_b32_e32 v46, 0x7f, v44
	v_cmp_ne_u32_e32 vcc, s19, v46
	v_mov_b32_e32 v56, 0x7f800001
	s_and_saveexec_b64 s[16:17], vcc
	s_cbranch_execz .LBB612_411
; %bb.410:                              ;   in Loop: Header=BB612_215 Depth=1
	v_and_b32_e32 v51, 7, v44
	v_ffbh_u32_e32 v56, v51
	v_min_u32_e32 v59, 32, v56
	v_subrev_u32_e32 v56, 28, v59
	v_lshlrev_b64 v[56:57], v56, v[44:45]
	v_lshrrev_b32_e32 v58, 3, v46
	v_sub_u32_e32 v57, 29, v59
	v_and_b32_e32 v56, 7, v56
	v_cmp_gt_u32_e32 vcc, 8, v46
	v_cndmask_b32_e32 v46, v58, v57, vcc
	v_cndmask_b32_e32 v51, v51, v56, vcc
	v_lshlrev_b32_e32 v56, 24, v44
	v_lshlrev_b32_e32 v51, 20, v51
	v_and_b32_e32 v56, 0x80000000, v56
	v_lshl_add_u32 v46, v46, 23, v55
	v_or3_b32 v56, v56, v46, v51
.LBB612_411:                            ;   in Loop: Header=BB612_215 Depth=1
	s_or_b64 exec, exec, s[16:17]
.LBB612_412:                            ;   in Loop: Header=BB612_215 Depth=1
	s_or_b64 exec, exec, s[14:15]
.LBB612_413:                            ;   in Loop: Header=BB612_215 Depth=1
	s_or_b64 exec, exec, s[12:13]
	v_lshrrev_b16_e32 v46, 8, v44
	v_cmp_ne_u16_e32 vcc, 0, v46
	v_mov_b32_e32 v51, 0
	v_mov_b32_e32 v57, 0
	s_and_saveexec_b64 s[12:13], vcc
	s_cbranch_execz .LBB612_419
; %bb.414:                              ;   in Loop: Header=BB612_215 Depth=1
	v_cmp_ne_u16_e32 vcc, s9, v46
	v_bfrev_b32_e32 v57, 1
	s_and_saveexec_b64 s[14:15], vcc
	s_cbranch_execz .LBB612_418
; %bb.415:                              ;   in Loop: Header=BB612_215 Depth=1
	v_and_b32_e32 v58, 0x7f, v46
	v_cmp_ne_u32_e32 vcc, s19, v58
	v_mov_b32_e32 v57, 0x7f800001
	s_and_saveexec_b64 s[16:17], vcc
	s_cbranch_execz .LBB612_417
; %bb.416:                              ;   in Loop: Header=BB612_215 Depth=1
	v_and_b32_e32 v57, 7, v46
	v_ffbh_u32_e32 v60, v57
	v_min_u32_e32 v62, 32, v60
	v_subrev_u32_e32 v60, 28, v62
	v_lshlrev_b64 v[60:61], v60, v[46:47]
	v_lshrrev_b32_e32 v59, 3, v58
	v_sub_u32_e32 v46, 29, v62
	v_and_b32_e32 v60, 7, v60
	v_cmp_gt_u32_e32 vcc, 8, v58
	v_cndmask_b32_e32 v46, v59, v46, vcc
	v_cndmask_b32_e32 v57, v57, v60, vcc
	v_lshlrev_b32_e32 v58, 16, v44
	v_lshlrev_b32_e32 v57, 20, v57
	v_and_b32_e32 v58, 0x80000000, v58
	v_lshl_add_u32 v46, v46, 23, v55
	v_or3_b32 v57, v58, v46, v57
.LBB612_417:                            ;   in Loop: Header=BB612_215 Depth=1
	s_or_b64 exec, exec, s[16:17]
.LBB612_418:                            ;   in Loop: Header=BB612_215 Depth=1
	s_or_b64 exec, exec, s[14:15]
.LBB612_419:                            ;   in Loop: Header=BB612_215 Depth=1
	s_or_b64 exec, exec, s[12:13]
	v_lshrrev_b32_e32 v46, 16, v44
	v_cmp_ne_u16_sdwa s[14:15], v46, v54 src0_sel:BYTE_0 src1_sel:DWORD
	s_and_saveexec_b64 s[12:13], s[14:15]
	s_cbranch_execz .LBB612_425
; %bb.420:                              ;   in Loop: Header=BB612_215 Depth=1
	v_cmp_ne_u16_sdwa s[16:17], v46, s9 src0_sel:BYTE_0 src1_sel:DWORD
	v_bfrev_b32_e32 v51, 1
	s_and_saveexec_b64 s[14:15], s[16:17]
	s_cbranch_execz .LBB612_424
; %bb.421:                              ;   in Loop: Header=BB612_215 Depth=1
	v_bfe_u32 v58, v44, 16, 7
	v_cmp_ne_u32_e32 vcc, s19, v58
	v_mov_b32_e32 v51, 0x7f800001
	s_and_saveexec_b64 s[16:17], vcc
	s_cbranch_execz .LBB612_423
; %bb.422:                              ;   in Loop: Header=BB612_215 Depth=1
	v_and_b32_e32 v51, 7, v46
	v_ffbh_u32_e32 v60, v51
	v_min_u32_e32 v62, 32, v60
	v_subrev_u32_e32 v60, 28, v62
	v_lshlrev_b64 v[60:61], v60, v[46:47]
	v_lshrrev_b32_e32 v59, 3, v58
	v_sub_u32_e32 v61, 29, v62
	v_and_b32_e32 v60, 7, v60
	v_cmp_gt_u32_e32 vcc, 8, v58
	v_cndmask_b32_e32 v58, v59, v61, vcc
	v_cndmask_b32_e32 v51, v51, v60, vcc
	v_lshlrev_b32_e32 v46, 24, v46
	v_lshlrev_b32_e32 v51, 20, v51
	v_and_b32_e32 v46, 0x80000000, v46
	v_lshl_add_u32 v58, v58, 23, v55
	v_or3_b32 v51, v46, v58, v51
.LBB612_423:                            ;   in Loop: Header=BB612_215 Depth=1
	s_or_b64 exec, exec, s[16:17]
.LBB612_424:                            ;   in Loop: Header=BB612_215 Depth=1
	s_or_b64 exec, exec, s[14:15]
.LBB612_425:                            ;   in Loop: Header=BB612_215 Depth=1
	s_or_b64 exec, exec, s[12:13]
	v_cmp_lt_u32_e32 vcc, s20, v44
	v_mov_b32_e32 v58, 0
	v_mov_b32_e32 v59, 0
	s_and_saveexec_b64 s[12:13], vcc
	s_cbranch_execz .LBB612_431
; %bb.426:                              ;   in Loop: Header=BB612_215 Depth=1
	v_lshrrev_b32_e32 v46, 24, v44
	v_cmp_ne_u32_e32 vcc, s9, v46
	v_bfrev_b32_e32 v59, 1
	s_and_saveexec_b64 s[14:15], vcc
	s_cbranch_execz .LBB612_430
; %bb.427:                              ;   in Loop: Header=BB612_215 Depth=1
	v_bfe_u32 v44, v44, 24, 7
	v_cmp_ne_u32_e32 vcc, s19, v44
	v_mov_b32_e32 v59, 0x7f800001
	s_and_saveexec_b64 s[16:17], vcc
	s_cbranch_execz .LBB612_429
; %bb.428:                              ;   in Loop: Header=BB612_215 Depth=1
	v_and_b32_e32 v59, 7, v46
	v_ffbh_u32_e32 v60, v59
	v_min_u32_e32 v63, 32, v60
	v_subrev_u32_e32 v60, 28, v63
	v_lshlrev_b64 v[60:61], v60, v[46:47]
	v_lshrrev_b32_e32 v62, 3, v44
	v_sub_u32_e32 v61, 29, v63
	v_and_b32_e32 v60, 7, v60
	v_cmp_gt_u32_e32 vcc, 8, v44
	v_cndmask_b32_e32 v44, v62, v61, vcc
	v_cndmask_b32_e32 v59, v59, v60, vcc
	v_lshlrev_b32_e32 v46, 24, v46
	v_lshlrev_b32_e32 v59, 20, v59
	v_and_b32_e32 v46, 0x80000000, v46
	v_lshl_add_u32 v44, v44, 23, v55
	v_or3_b32 v59, v46, v44, v59
.LBB612_429:                            ;   in Loop: Header=BB612_215 Depth=1
	s_or_b64 exec, exec, s[16:17]
.LBB612_430:                            ;   in Loop: Header=BB612_215 Depth=1
	s_or_b64 exec, exec, s[14:15]
.LBB612_431:                            ;   in Loop: Header=BB612_215 Depth=1
	s_or_b64 exec, exec, s[12:13]
	s_waitcnt vmcnt(2)
	v_cmp_ne_u16_sdwa s[14:15], v42, v54 src0_sel:BYTE_0 src1_sel:DWORD
	s_and_saveexec_b64 s[12:13], s[14:15]
	s_cbranch_execz .LBB612_437
; %bb.432:                              ;   in Loop: Header=BB612_215 Depth=1
	v_cmp_ne_u16_sdwa s[16:17], v42, s9 src0_sel:BYTE_0 src1_sel:DWORD
	v_bfrev_b32_e32 v58, 1
	s_and_saveexec_b64 s[14:15], s[16:17]
	s_cbranch_execz .LBB612_436
; %bb.433:                              ;   in Loop: Header=BB612_215 Depth=1
	v_and_b32_e32 v44, 0x7f, v42
	v_cmp_ne_u32_e32 vcc, s19, v44
	v_mov_b32_e32 v58, 0x7f800001
	s_and_saveexec_b64 s[16:17], vcc
	s_cbranch_execz .LBB612_435
; %bb.434:                              ;   in Loop: Header=BB612_215 Depth=1
	v_and_b32_e32 v46, 7, v42
	v_ffbh_u32_e32 v60, v46
	v_min_u32_e32 v62, 32, v60
	v_subrev_u32_e32 v60, 28, v62
	v_lshlrev_b64 v[60:61], v60, v[42:43]
	v_lshrrev_b32_e32 v58, 3, v44
	v_sub_u32_e32 v61, 29, v62
	v_and_b32_e32 v60, 7, v60
	v_cmp_gt_u32_e32 vcc, 8, v44
	v_cndmask_b32_e32 v44, v58, v61, vcc
	v_cndmask_b32_e32 v46, v46, v60, vcc
	v_lshlrev_b32_e32 v58, 24, v42
	v_lshlrev_b32_e32 v46, 20, v46
	v_and_b32_e32 v58, 0x80000000, v58
	v_lshl_add_u32 v44, v44, 23, v55
	v_or3_b32 v58, v58, v44, v46
.LBB612_435:                            ;   in Loop: Header=BB612_215 Depth=1
	s_or_b64 exec, exec, s[16:17]
.LBB612_436:                            ;   in Loop: Header=BB612_215 Depth=1
	s_or_b64 exec, exec, s[14:15]
.LBB612_437:                            ;   in Loop: Header=BB612_215 Depth=1
	s_or_b64 exec, exec, s[12:13]
	v_lshrrev_b16_e32 v44, 8, v42
	v_cmp_ne_u16_e32 vcc, 0, v44
	v_mov_b32_e32 v60, 0
	v_mov_b32_e32 v61, 0
	s_and_saveexec_b64 s[12:13], vcc
	s_cbranch_execz .LBB612_443
; %bb.438:                              ;   in Loop: Header=BB612_215 Depth=1
	v_cmp_ne_u16_e32 vcc, s9, v44
	v_bfrev_b32_e32 v61, 1
	s_and_saveexec_b64 s[14:15], vcc
	s_cbranch_execz .LBB612_442
; %bb.439:                              ;   in Loop: Header=BB612_215 Depth=1
	v_and_b32_e32 v46, 0x7f, v44
	v_cmp_ne_u32_e32 vcc, s19, v46
	v_mov_b32_e32 v61, 0x7f800001
	s_and_saveexec_b64 s[16:17], vcc
	s_cbranch_execz .LBB612_441
; %bb.440:                              ;   in Loop: Header=BB612_215 Depth=1
	v_and_b32_e32 v61, 7, v44
	v_ffbh_u32_e32 v62, v61
	v_min_u32_e32 v65, 32, v62
	v_subrev_u32_e32 v62, 28, v65
	v_lshlrev_b64 v[62:63], v62, v[44:45]
	v_lshrrev_b32_e32 v64, 3, v46
	v_sub_u32_e32 v44, 29, v65
	v_and_b32_e32 v62, 7, v62
	v_cmp_gt_u32_e32 vcc, 8, v46
	v_cndmask_b32_e32 v44, v64, v44, vcc
	v_cndmask_b32_e32 v46, v61, v62, vcc
	v_lshlrev_b32_e32 v61, 16, v42
	v_lshlrev_b32_e32 v46, 20, v46
	v_and_b32_e32 v61, 0x80000000, v61
	v_lshl_add_u32 v44, v44, 23, v55
	v_or3_b32 v61, v61, v44, v46
.LBB612_441:                            ;   in Loop: Header=BB612_215 Depth=1
	s_or_b64 exec, exec, s[16:17]
.LBB612_442:                            ;   in Loop: Header=BB612_215 Depth=1
	s_or_b64 exec, exec, s[14:15]
.LBB612_443:                            ;   in Loop: Header=BB612_215 Depth=1
	s_or_b64 exec, exec, s[12:13]
	v_lshrrev_b32_e32 v44, 16, v42
	v_cmp_ne_u16_sdwa s[14:15], v44, v54 src0_sel:BYTE_0 src1_sel:DWORD
	s_and_saveexec_b64 s[12:13], s[14:15]
	s_cbranch_execz .LBB612_449
; %bb.444:                              ;   in Loop: Header=BB612_215 Depth=1
	v_cmp_ne_u16_sdwa s[16:17], v44, s9 src0_sel:BYTE_0 src1_sel:DWORD
	v_bfrev_b32_e32 v60, 1
	s_and_saveexec_b64 s[14:15], s[16:17]
	s_cbranch_execz .LBB612_448
; %bb.445:                              ;   in Loop: Header=BB612_215 Depth=1
	v_bfe_u32 v46, v42, 16, 7
	v_cmp_ne_u32_e32 vcc, s19, v46
	v_mov_b32_e32 v60, 0x7f800001
	s_and_saveexec_b64 s[16:17], vcc
	s_cbranch_execz .LBB612_447
; %bb.446:                              ;   in Loop: Header=BB612_215 Depth=1
	v_and_b32_e32 v60, 7, v44
	v_ffbh_u32_e32 v62, v60
	v_min_u32_e32 v65, 32, v62
	v_subrev_u32_e32 v62, 28, v65
	v_lshlrev_b64 v[62:63], v62, v[44:45]
	v_lshrrev_b32_e32 v64, 3, v46
	v_sub_u32_e32 v63, 29, v65
	v_and_b32_e32 v62, 7, v62
	v_cmp_gt_u32_e32 vcc, 8, v46
	v_cndmask_b32_e32 v46, v64, v63, vcc
	v_cndmask_b32_e32 v60, v60, v62, vcc
	v_lshlrev_b32_e32 v44, 24, v44
	v_lshlrev_b32_e32 v60, 20, v60
	v_and_b32_e32 v44, 0x80000000, v44
	v_lshl_add_u32 v46, v46, 23, v55
	v_or3_b32 v60, v44, v46, v60
.LBB612_447:                            ;   in Loop: Header=BB612_215 Depth=1
	s_or_b64 exec, exec, s[16:17]
.LBB612_448:                            ;   in Loop: Header=BB612_215 Depth=1
	s_or_b64 exec, exec, s[14:15]
.LBB612_449:                            ;   in Loop: Header=BB612_215 Depth=1
	s_or_b64 exec, exec, s[12:13]
	v_cmp_lt_u32_e32 vcc, s20, v42
	v_mov_b32_e32 v46, 0
	v_mov_b32_e32 v62, 0
	s_and_saveexec_b64 s[12:13], vcc
	s_cbranch_execz .LBB612_455
; %bb.450:                              ;   in Loop: Header=BB612_215 Depth=1
	v_lshrrev_b32_e32 v44, 24, v42
	v_cmp_ne_u32_e32 vcc, s9, v44
	v_bfrev_b32_e32 v62, 1
	s_and_saveexec_b64 s[14:15], vcc
	s_cbranch_execz .LBB612_454
; %bb.451:                              ;   in Loop: Header=BB612_215 Depth=1
	v_bfe_u32 v42, v42, 24, 7
	v_cmp_ne_u32_e32 vcc, s19, v42
	v_mov_b32_e32 v62, 0x7f800001
	s_and_saveexec_b64 s[16:17], vcc
	s_cbranch_execz .LBB612_453
; %bb.452:                              ;   in Loop: Header=BB612_215 Depth=1
	v_and_b32_e32 v64, 7, v44
	v_ffbh_u32_e32 v62, v64
	v_min_u32_e32 v66, 32, v62
	v_subrev_u32_e32 v62, 28, v66
	v_lshlrev_b64 v[62:63], v62, v[44:45]
	v_lshrrev_b32_e32 v65, 3, v42
	v_sub_u32_e32 v63, 29, v66
	v_and_b32_e32 v62, 7, v62
	v_cmp_gt_u32_e32 vcc, 8, v42
	v_cndmask_b32_e32 v42, v65, v63, vcc
	v_cndmask_b32_e32 v62, v64, v62, vcc
	v_lshlrev_b32_e32 v44, 24, v44
	v_lshlrev_b32_e32 v62, 20, v62
	v_and_b32_e32 v44, 0x80000000, v44
	v_lshl_add_u32 v42, v42, 23, v55
	v_or3_b32 v62, v44, v42, v62
.LBB612_453:                            ;   in Loop: Header=BB612_215 Depth=1
	s_or_b64 exec, exec, s[16:17]
.LBB612_454:                            ;   in Loop: Header=BB612_215 Depth=1
	s_or_b64 exec, exec, s[14:15]
.LBB612_455:                            ;   in Loop: Header=BB612_215 Depth=1
	s_or_b64 exec, exec, s[12:13]
	v_cvt_pkrtz_f16_f32 v56, v56, v57
	v_cvt_pkrtz_f16_f32 v57, v51, v59
	s_waitcnt vmcnt(1)
	v_cmp_ne_u16_sdwa s[14:15], v40, v54 src0_sel:BYTE_0 src1_sel:DWORD
	v_mfma_f32_16x16x16f16 v[34:37], v[56:57], v[18:19], v[34:37]
	v_cvt_pkrtz_f16_f32 v56, v58, v61
	v_cvt_pkrtz_f16_f32 v57, v60, v62
	s_nop 1
	v_mfma_f32_16x16x16f16 v[34:37], v[56:57], v[20:21], v[34:37]
	s_and_saveexec_b64 s[12:13], s[14:15]
	s_cbranch_execz .LBB612_461
; %bb.456:                              ;   in Loop: Header=BB612_215 Depth=1
	v_cmp_ne_u16_sdwa s[16:17], v40, s9 src0_sel:BYTE_0 src1_sel:DWORD
	v_bfrev_b32_e32 v46, 1
	s_and_saveexec_b64 s[14:15], s[16:17]
	s_cbranch_execz .LBB612_460
; %bb.457:                              ;   in Loop: Header=BB612_215 Depth=1
	v_and_b32_e32 v42, 0x7f, v40
	v_cmp_ne_u32_e32 vcc, s19, v42
	v_mov_b32_e32 v46, 0x7f800001
	s_and_saveexec_b64 s[16:17], vcc
	s_cbranch_execz .LBB612_459
; %bb.458:                              ;   in Loop: Header=BB612_215 Depth=1
	v_and_b32_e32 v44, 7, v40
	v_ffbh_u32_e32 v51, v44
	v_min_u32_e32 v51, 32, v51
	v_subrev_u32_e32 v56, 28, v51
	v_lshlrev_b64 v[56:57], v56, v[40:41]
	v_lshrrev_b32_e32 v46, 3, v42
	v_sub_u32_e32 v51, 29, v51
	v_and_b32_e32 v56, 7, v56
	v_cmp_gt_u32_e32 vcc, 8, v42
	v_cndmask_b32_e32 v42, v46, v51, vcc
	v_cndmask_b32_e32 v44, v44, v56, vcc
	v_lshlrev_b32_e32 v46, 24, v40
	v_lshlrev_b32_e32 v44, 20, v44
	v_and_b32_e32 v46, 0x80000000, v46
	v_lshl_add_u32 v42, v42, 23, v55
	v_or3_b32 v46, v46, v42, v44
.LBB612_459:                            ;   in Loop: Header=BB612_215 Depth=1
	s_or_b64 exec, exec, s[16:17]
.LBB612_460:                            ;   in Loop: Header=BB612_215 Depth=1
	s_or_b64 exec, exec, s[14:15]
.LBB612_461:                            ;   in Loop: Header=BB612_215 Depth=1
	s_or_b64 exec, exec, s[12:13]
	v_lshrrev_b16_e32 v42, 8, v40
	v_cmp_ne_u16_e32 vcc, 0, v42
	v_mov_b32_e32 v44, 0
	v_mov_b32_e32 v56, 0
	s_and_saveexec_b64 s[12:13], vcc
	s_cbranch_execz .LBB612_467
; %bb.462:                              ;   in Loop: Header=BB612_215 Depth=1
	v_cmp_ne_u16_e32 vcc, s9, v42
	v_bfrev_b32_e32 v56, 1
	s_and_saveexec_b64 s[14:15], vcc
	s_cbranch_execz .LBB612_466
; %bb.463:                              ;   in Loop: Header=BB612_215 Depth=1
	v_and_b32_e32 v51, 0x7f, v42
	v_cmp_ne_u32_e32 vcc, s19, v51
	v_mov_b32_e32 v56, 0x7f800001
	s_and_saveexec_b64 s[16:17], vcc
	s_cbranch_execz .LBB612_465
; %bb.464:                              ;   in Loop: Header=BB612_215 Depth=1
	v_and_b32_e32 v58, 7, v42
	v_ffbh_u32_e32 v56, v58
	v_min_u32_e32 v60, 32, v56
	v_subrev_u32_e32 v56, 28, v60
	v_lshlrev_b64 v[56:57], v56, v[42:43]
	v_lshrrev_b32_e32 v59, 3, v51
	v_sub_u32_e32 v42, 29, v60
	v_and_b32_e32 v56, 7, v56
	v_cmp_gt_u32_e32 vcc, 8, v51
	v_cndmask_b32_e32 v42, v59, v42, vcc
	v_cndmask_b32_e32 v51, v58, v56, vcc
	v_lshlrev_b32_e32 v56, 16, v40
	v_lshlrev_b32_e32 v51, 20, v51
	v_and_b32_e32 v56, 0x80000000, v56
	v_lshl_add_u32 v42, v42, 23, v55
	v_or3_b32 v56, v56, v42, v51
.LBB612_465:                            ;   in Loop: Header=BB612_215 Depth=1
	s_or_b64 exec, exec, s[16:17]
.LBB612_466:                            ;   in Loop: Header=BB612_215 Depth=1
	s_or_b64 exec, exec, s[14:15]
.LBB612_467:                            ;   in Loop: Header=BB612_215 Depth=1
	s_or_b64 exec, exec, s[12:13]
	v_lshrrev_b32_e32 v42, 16, v40
	v_cmp_ne_u16_sdwa s[14:15], v42, v54 src0_sel:BYTE_0 src1_sel:DWORD
	s_and_saveexec_b64 s[12:13], s[14:15]
	s_cbranch_execz .LBB612_473
; %bb.468:                              ;   in Loop: Header=BB612_215 Depth=1
	v_cmp_ne_u16_sdwa s[16:17], v42, s9 src0_sel:BYTE_0 src1_sel:DWORD
	v_bfrev_b32_e32 v44, 1
	s_and_saveexec_b64 s[14:15], s[16:17]
	s_cbranch_execz .LBB612_472
; %bb.469:                              ;   in Loop: Header=BB612_215 Depth=1
	v_bfe_u32 v51, v40, 16, 7
	v_cmp_ne_u32_e32 vcc, s19, v51
	v_mov_b32_e32 v44, 0x7f800001
	s_and_saveexec_b64 s[16:17], vcc
	s_cbranch_execz .LBB612_471
; %bb.470:                              ;   in Loop: Header=BB612_215 Depth=1
	v_and_b32_e32 v44, 7, v42
	v_ffbh_u32_e32 v58, v44
	v_min_u32_e32 v60, 32, v58
	v_subrev_u32_e32 v58, 28, v60
	v_lshlrev_b64 v[58:59], v58, v[42:43]
	v_lshrrev_b32_e32 v57, 3, v51
	v_sub_u32_e32 v59, 29, v60
	v_and_b32_e32 v58, 7, v58
	v_cmp_gt_u32_e32 vcc, 8, v51
	v_cndmask_b32_e32 v51, v57, v59, vcc
	v_cndmask_b32_e32 v44, v44, v58, vcc
	v_lshlrev_b32_e32 v42, 24, v42
	v_lshlrev_b32_e32 v44, 20, v44
	v_and_b32_e32 v42, 0x80000000, v42
	v_lshl_add_u32 v51, v51, 23, v55
	v_or3_b32 v44, v42, v51, v44
.LBB612_471:                            ;   in Loop: Header=BB612_215 Depth=1
	s_or_b64 exec, exec, s[16:17]
.LBB612_472:                            ;   in Loop: Header=BB612_215 Depth=1
	s_or_b64 exec, exec, s[14:15]
.LBB612_473:                            ;   in Loop: Header=BB612_215 Depth=1
	s_or_b64 exec, exec, s[12:13]
	v_cmp_lt_u32_e32 vcc, s20, v40
	v_mov_b32_e32 v57, 0
	v_mov_b32_e32 v58, 0
	s_and_saveexec_b64 s[12:13], vcc
	s_cbranch_execz .LBB612_479
; %bb.474:                              ;   in Loop: Header=BB612_215 Depth=1
	v_lshrrev_b32_e32 v42, 24, v40
	v_cmp_ne_u32_e32 vcc, s9, v42
	v_bfrev_b32_e32 v58, 1
	s_and_saveexec_b64 s[14:15], vcc
	s_cbranch_execz .LBB612_478
; %bb.475:                              ;   in Loop: Header=BB612_215 Depth=1
	v_bfe_u32 v40, v40, 24, 7
	v_cmp_ne_u32_e32 vcc, s19, v40
	v_mov_b32_e32 v58, 0x7f800001
	s_and_saveexec_b64 s[16:17], vcc
	s_cbranch_execz .LBB612_477
; %bb.476:                              ;   in Loop: Header=BB612_215 Depth=1
	v_and_b32_e32 v51, 7, v42
	v_ffbh_u32_e32 v58, v51
	v_min_u32_e32 v61, 32, v58
	v_subrev_u32_e32 v58, 28, v61
	v_lshlrev_b64 v[58:59], v58, v[42:43]
	v_lshrrev_b32_e32 v60, 3, v40
	v_sub_u32_e32 v59, 29, v61
	v_and_b32_e32 v58, 7, v58
	v_cmp_gt_u32_e32 vcc, 8, v40
	v_cndmask_b32_e32 v40, v60, v59, vcc
	v_cndmask_b32_e32 v51, v51, v58, vcc
	v_lshlrev_b32_e32 v42, 24, v42
	v_lshlrev_b32_e32 v51, 20, v51
	v_and_b32_e32 v42, 0x80000000, v42
	v_lshl_add_u32 v40, v40, 23, v55
	v_or3_b32 v58, v42, v40, v51
.LBB612_477:                            ;   in Loop: Header=BB612_215 Depth=1
	s_or_b64 exec, exec, s[16:17]
.LBB612_478:                            ;   in Loop: Header=BB612_215 Depth=1
	s_or_b64 exec, exec, s[14:15]
.LBB612_479:                            ;   in Loop: Header=BB612_215 Depth=1
	s_or_b64 exec, exec, s[12:13]
	s_waitcnt vmcnt(0)
	v_cmp_ne_u16_sdwa s[14:15], v38, v54 src0_sel:BYTE_0 src1_sel:DWORD
	s_and_saveexec_b64 s[12:13], s[14:15]
	s_cbranch_execz .LBB612_485
; %bb.480:                              ;   in Loop: Header=BB612_215 Depth=1
	v_cmp_ne_u16_sdwa s[16:17], v38, s9 src0_sel:BYTE_0 src1_sel:DWORD
	v_bfrev_b32_e32 v57, 1
	s_and_saveexec_b64 s[14:15], s[16:17]
	s_cbranch_execz .LBB612_484
; %bb.481:                              ;   in Loop: Header=BB612_215 Depth=1
	v_and_b32_e32 v40, 0x7f, v38
	v_cmp_ne_u32_e32 vcc, s19, v40
	v_mov_b32_e32 v57, 0x7f800001
	s_and_saveexec_b64 s[16:17], vcc
	s_cbranch_execz .LBB612_483
; %bb.482:                              ;   in Loop: Header=BB612_215 Depth=1
	v_and_b32_e32 v42, 7, v38
	v_ffbh_u32_e32 v57, v42
	v_min_u32_e32 v57, 32, v57
	v_subrev_u32_e32 v59, 28, v57
	v_lshlrev_b64 v[60:61], v59, v[38:39]
	v_lshrrev_b32_e32 v51, 3, v40
	v_sub_u32_e32 v57, 29, v57
	v_and_b32_e32 v59, 7, v60
	v_cmp_gt_u32_e32 vcc, 8, v40
	v_cndmask_b32_e32 v40, v51, v57, vcc
	v_cndmask_b32_e32 v42, v42, v59, vcc
	v_lshlrev_b32_e32 v51, 24, v38
	v_lshlrev_b32_e32 v42, 20, v42
	v_and_b32_e32 v51, 0x80000000, v51
	v_lshl_add_u32 v40, v40, 23, v55
	v_or3_b32 v57, v51, v40, v42
.LBB612_483:                            ;   in Loop: Header=BB612_215 Depth=1
	s_or_b64 exec, exec, s[16:17]
.LBB612_484:                            ;   in Loop: Header=BB612_215 Depth=1
	s_or_b64 exec, exec, s[14:15]
.LBB612_485:                            ;   in Loop: Header=BB612_215 Depth=1
	s_or_b64 exec, exec, s[12:13]
	v_lshrrev_b16_e32 v40, 8, v38
	v_cmp_ne_u16_e32 vcc, 0, v40
	v_mov_b32_e32 v59, 0
	v_mov_b32_e32 v60, 0
	s_and_saveexec_b64 s[12:13], vcc
	s_cbranch_execz .LBB612_491
; %bb.486:                              ;   in Loop: Header=BB612_215 Depth=1
	v_cmp_ne_u16_e32 vcc, s9, v40
	v_bfrev_b32_e32 v60, 1
	s_and_saveexec_b64 s[14:15], vcc
	s_cbranch_execz .LBB612_490
; %bb.487:                              ;   in Loop: Header=BB612_215 Depth=1
	v_and_b32_e32 v42, 0x7f, v40
	v_cmp_ne_u32_e32 vcc, s19, v42
	v_mov_b32_e32 v60, 0x7f800001
	s_and_saveexec_b64 s[16:17], vcc
	s_cbranch_execz .LBB612_489
; %bb.488:                              ;   in Loop: Header=BB612_215 Depth=1
	v_and_b32_e32 v51, 7, v40
	v_ffbh_u32_e32 v60, v51
	v_min_u32_e32 v63, 32, v60
	v_subrev_u32_e32 v60, 28, v63
	v_lshlrev_b64 v[60:61], v60, v[40:41]
	v_lshrrev_b32_e32 v62, 3, v42
	v_sub_u32_e32 v40, 29, v63
	v_and_b32_e32 v60, 7, v60
	v_cmp_gt_u32_e32 vcc, 8, v42
	v_cndmask_b32_e32 v40, v62, v40, vcc
	v_cndmask_b32_e32 v42, v51, v60, vcc
	v_lshlrev_b32_e32 v51, 16, v38
	v_lshlrev_b32_e32 v42, 20, v42
	v_and_b32_e32 v51, 0x80000000, v51
	v_lshl_add_u32 v40, v40, 23, v55
	v_or3_b32 v60, v51, v40, v42
.LBB612_489:                            ;   in Loop: Header=BB612_215 Depth=1
	s_or_b64 exec, exec, s[16:17]
.LBB612_490:                            ;   in Loop: Header=BB612_215 Depth=1
	s_or_b64 exec, exec, s[14:15]
.LBB612_491:                            ;   in Loop: Header=BB612_215 Depth=1
	s_or_b64 exec, exec, s[12:13]
	v_lshrrev_b32_e32 v40, 16, v38
	v_cmp_ne_u16_sdwa s[14:15], v40, v54 src0_sel:BYTE_0 src1_sel:DWORD
	s_and_saveexec_b64 s[12:13], s[14:15]
	s_cbranch_execz .LBB612_497
; %bb.492:                              ;   in Loop: Header=BB612_215 Depth=1
	v_cmp_ne_u16_sdwa s[16:17], v40, s9 src0_sel:BYTE_0 src1_sel:DWORD
	v_bfrev_b32_e32 v59, 1
	s_and_saveexec_b64 s[14:15], s[16:17]
	s_cbranch_execz .LBB612_496
; %bb.493:                              ;   in Loop: Header=BB612_215 Depth=1
	v_bfe_u32 v42, v38, 16, 7
	v_cmp_ne_u32_e32 vcc, s19, v42
	v_mov_b32_e32 v59, 0x7f800001
	s_and_saveexec_b64 s[16:17], vcc
	s_cbranch_execz .LBB612_495
; %bb.494:                              ;   in Loop: Header=BB612_215 Depth=1
	v_and_b32_e32 v51, 7, v40
	v_ffbh_u32_e32 v61, v51
	v_min_u32_e32 v61, 32, v61
	v_subrev_u32_e32 v62, 28, v61
	v_lshlrev_b64 v[62:63], v62, v[40:41]
	v_lshrrev_b32_e32 v59, 3, v42
	v_sub_u32_e32 v61, 29, v61
	v_and_b32_e32 v62, 7, v62
	v_cmp_gt_u32_e32 vcc, 8, v42
	v_cndmask_b32_e32 v42, v59, v61, vcc
	v_cndmask_b32_e32 v51, v51, v62, vcc
	v_lshlrev_b32_e32 v40, 24, v40
	v_lshlrev_b32_e32 v51, 20, v51
	v_and_b32_e32 v40, 0x80000000, v40
	v_lshl_add_u32 v42, v42, 23, v55
	v_or3_b32 v59, v40, v42, v51
.LBB612_495:                            ;   in Loop: Header=BB612_215 Depth=1
	s_or_b64 exec, exec, s[16:17]
.LBB612_496:                            ;   in Loop: Header=BB612_215 Depth=1
	s_or_b64 exec, exec, s[14:15]
.LBB612_497:                            ;   in Loop: Header=BB612_215 Depth=1
	s_or_b64 exec, exec, s[12:13]
	v_cmp_lt_u32_e32 vcc, s20, v38
	v_mov_b32_e32 v51, 0
	v_mov_b32_e32 v61, 0
	s_and_saveexec_b64 s[12:13], vcc
	s_cbranch_execz .LBB612_503
; %bb.498:                              ;   in Loop: Header=BB612_215 Depth=1
	v_lshrrev_b32_e32 v40, 24, v38
	v_cmp_ne_u32_e32 vcc, s9, v40
	v_bfrev_b32_e32 v61, 1
	s_and_saveexec_b64 s[14:15], vcc
	s_cbranch_execz .LBB612_502
; %bb.499:                              ;   in Loop: Header=BB612_215 Depth=1
	v_bfe_u32 v38, v38, 24, 7
	v_cmp_ne_u32_e32 vcc, s19, v38
	v_mov_b32_e32 v61, 0x7f800001
	s_and_saveexec_b64 s[16:17], vcc
	s_cbranch_execz .LBB612_501
; %bb.500:                              ;   in Loop: Header=BB612_215 Depth=1
	v_and_b32_e32 v42, 7, v40
	v_ffbh_u32_e32 v62, v42
	v_min_u32_e32 v64, 32, v62
	v_subrev_u32_e32 v62, 28, v64
	v_lshlrev_b64 v[62:63], v62, v[40:41]
	v_lshrrev_b32_e32 v61, 3, v38
	v_sub_u32_e32 v63, 29, v64
	v_and_b32_e32 v62, 7, v62
	v_cmp_gt_u32_e32 vcc, 8, v38
	v_cndmask_b32_e32 v38, v61, v63, vcc
	v_cndmask_b32_e32 v42, v42, v62, vcc
	v_lshlrev_b32_e32 v40, 24, v40
	v_lshlrev_b32_e32 v42, 20, v42
	v_and_b32_e32 v40, 0x80000000, v40
	v_lshl_add_u32 v38, v38, 23, v55
	v_or3_b32 v61, v40, v38, v42
.LBB612_501:                            ;   in Loop: Header=BB612_215 Depth=1
	s_or_b64 exec, exec, s[16:17]
.LBB612_502:                            ;   in Loop: Header=BB612_215 Depth=1
	s_or_b64 exec, exec, s[14:15]
.LBB612_503:                            ;   in Loop: Header=BB612_215 Depth=1
	s_or_b64 exec, exec, s[12:13]
	v_cvt_pkrtz_f16_f32 v63, v44, v58
	buffer_load_dword v44, v50, s[0:3], 0 offen
	buffer_load_dword v42, v50, s[0:3], 0 offen offset:4
	buffer_load_dword v40, v50, s[0:3], 0 offen offset:8
	;; [unrolled: 1-line block ×3, first 2 shown]
	v_cvt_pkrtz_f16_f32 v62, v46, v56
	v_cvt_pkrtz_f16_f32 v56, v57, v60
	;; [unrolled: 1-line block ×3, first 2 shown]
	v_mfma_f32_16x16x16f16 v[34:37], v[62:63], v[22:23], v[34:37]
	s_waitcnt vmcnt(3)
	v_cmp_ne_u16_sdwa s[14:15], v44, v54 src0_sel:BYTE_0 src1_sel:DWORD
	v_mfma_f32_16x16x16f16 v[34:37], v[56:57], v[24:25], v[34:37]
	s_and_saveexec_b64 s[12:13], s[14:15]
	s_cbranch_execz .LBB612_509
; %bb.504:                              ;   in Loop: Header=BB612_215 Depth=1
	v_cmp_ne_u16_sdwa s[16:17], v44, s9 src0_sel:BYTE_0 src1_sel:DWORD
	v_bfrev_b32_e32 v51, 1
	s_and_saveexec_b64 s[14:15], s[16:17]
	s_cbranch_execz .LBB612_508
; %bb.505:                              ;   in Loop: Header=BB612_215 Depth=1
	v_and_b32_e32 v46, 0x7f, v44
	v_cmp_ne_u32_e32 vcc, s19, v46
	v_mov_b32_e32 v51, 0x7f800001
	s_and_saveexec_b64 s[16:17], vcc
	s_cbranch_execz .LBB612_507
; %bb.506:                              ;   in Loop: Header=BB612_215 Depth=1
	v_and_b32_e32 v56, 7, v44
	v_ffbh_u32_e32 v50, v56
	v_min_u32_e32 v58, 32, v50
	v_subrev_u32_e32 v50, 28, v58
	v_lshlrev_b64 v[50:51], v50, v[44:45]
	v_lshrrev_b32_e32 v57, 3, v46
	v_sub_u32_e32 v51, 29, v58
	v_and_b32_e32 v50, 7, v50
	v_cmp_gt_u32_e32 vcc, 8, v46
	v_cndmask_b32_e32 v46, v57, v51, vcc
	v_cndmask_b32_e32 v50, v56, v50, vcc
	v_lshlrev_b32_e32 v51, 24, v44
	v_lshlrev_b32_e32 v50, 20, v50
	v_and_b32_e32 v51, 0x80000000, v51
	v_lshl_add_u32 v46, v46, 23, v55
	v_or3_b32 v51, v51, v46, v50
.LBB612_507:                            ;   in Loop: Header=BB612_215 Depth=1
	s_or_b64 exec, exec, s[16:17]
.LBB612_508:                            ;   in Loop: Header=BB612_215 Depth=1
	s_or_b64 exec, exec, s[14:15]
.LBB612_509:                            ;   in Loop: Header=BB612_215 Depth=1
	s_or_b64 exec, exec, s[12:13]
	v_lshrrev_b16_e32 v46, 8, v44
	v_cmp_ne_u16_e32 vcc, 0, v46
	v_mov_b32_e32 v50, 0
	v_mov_b32_e32 v56, 0
	s_and_saveexec_b64 s[12:13], vcc
	s_cbranch_execz .LBB612_515
; %bb.510:                              ;   in Loop: Header=BB612_215 Depth=1
	v_cmp_ne_u16_e32 vcc, s9, v46
	v_bfrev_b32_e32 v56, 1
	s_and_saveexec_b64 s[14:15], vcc
	s_cbranch_execz .LBB612_514
; %bb.511:                              ;   in Loop: Header=BB612_215 Depth=1
	v_and_b32_e32 v57, 0x7f, v46
	v_cmp_ne_u32_e32 vcc, s19, v57
	v_mov_b32_e32 v56, 0x7f800001
	s_and_saveexec_b64 s[16:17], vcc
	s_cbranch_execz .LBB612_513
; %bb.512:                              ;   in Loop: Header=BB612_215 Depth=1
	v_and_b32_e32 v56, 7, v46
	v_ffbh_u32_e32 v58, v56
	v_min_u32_e32 v61, 32, v58
	v_subrev_u32_e32 v58, 28, v61
	v_lshlrev_b64 v[58:59], v58, v[46:47]
	v_lshrrev_b32_e32 v60, 3, v57
	v_sub_u32_e32 v46, 29, v61
	v_and_b32_e32 v58, 7, v58
	v_cmp_gt_u32_e32 vcc, 8, v57
	v_cndmask_b32_e32 v46, v60, v46, vcc
	v_cndmask_b32_e32 v56, v56, v58, vcc
	v_lshlrev_b32_e32 v57, 16, v44
	v_lshlrev_b32_e32 v56, 20, v56
	v_and_b32_e32 v57, 0x80000000, v57
	v_lshl_add_u32 v46, v46, 23, v55
	v_or3_b32 v56, v57, v46, v56
.LBB612_513:                            ;   in Loop: Header=BB612_215 Depth=1
	s_or_b64 exec, exec, s[16:17]
.LBB612_514:                            ;   in Loop: Header=BB612_215 Depth=1
	s_or_b64 exec, exec, s[14:15]
.LBB612_515:                            ;   in Loop: Header=BB612_215 Depth=1
	s_or_b64 exec, exec, s[12:13]
	v_lshrrev_b32_e32 v46, 16, v44
	v_cmp_ne_u16_sdwa s[14:15], v46, v54 src0_sel:BYTE_0 src1_sel:DWORD
	s_and_saveexec_b64 s[12:13], s[14:15]
	s_cbranch_execz .LBB612_521
; %bb.516:                              ;   in Loop: Header=BB612_215 Depth=1
	v_cmp_ne_u16_sdwa s[16:17], v46, s9 src0_sel:BYTE_0 src1_sel:DWORD
	v_bfrev_b32_e32 v50, 1
	s_and_saveexec_b64 s[14:15], s[16:17]
	s_cbranch_execz .LBB612_520
; %bb.517:                              ;   in Loop: Header=BB612_215 Depth=1
	v_bfe_u32 v57, v44, 16, 7
	v_cmp_ne_u32_e32 vcc, s19, v57
	v_mov_b32_e32 v50, 0x7f800001
	s_and_saveexec_b64 s[16:17], vcc
	s_cbranch_execz .LBB612_519
; %bb.518:                              ;   in Loop: Header=BB612_215 Depth=1
	v_and_b32_e32 v50, 7, v46
	v_ffbh_u32_e32 v58, v50
	v_min_u32_e32 v61, 32, v58
	v_subrev_u32_e32 v58, 28, v61
	v_lshlrev_b64 v[58:59], v58, v[46:47]
	v_lshrrev_b32_e32 v60, 3, v57
	v_sub_u32_e32 v59, 29, v61
	v_and_b32_e32 v58, 7, v58
	v_cmp_gt_u32_e32 vcc, 8, v57
	v_cndmask_b32_e32 v57, v60, v59, vcc
	v_cndmask_b32_e32 v50, v50, v58, vcc
	v_lshlrev_b32_e32 v46, 24, v46
	v_lshlrev_b32_e32 v50, 20, v50
	v_and_b32_e32 v46, 0x80000000, v46
	v_lshl_add_u32 v57, v57, 23, v55
	v_or3_b32 v50, v46, v57, v50
.LBB612_519:                            ;   in Loop: Header=BB612_215 Depth=1
	s_or_b64 exec, exec, s[16:17]
.LBB612_520:                            ;   in Loop: Header=BB612_215 Depth=1
	s_or_b64 exec, exec, s[14:15]
.LBB612_521:                            ;   in Loop: Header=BB612_215 Depth=1
	s_or_b64 exec, exec, s[12:13]
	v_cmp_lt_u32_e32 vcc, s20, v44
	v_mov_b32_e32 v57, 0
	v_mov_b32_e32 v58, 0
	s_and_saveexec_b64 s[12:13], vcc
	s_cbranch_execz .LBB612_527
; %bb.522:                              ;   in Loop: Header=BB612_215 Depth=1
	v_lshrrev_b32_e32 v46, 24, v44
	v_cmp_ne_u32_e32 vcc, s9, v46
	v_bfrev_b32_e32 v58, 1
	s_and_saveexec_b64 s[14:15], vcc
	s_cbranch_execz .LBB612_526
; %bb.523:                              ;   in Loop: Header=BB612_215 Depth=1
	v_bfe_u32 v44, v44, 24, 7
	v_cmp_ne_u32_e32 vcc, s19, v44
	v_mov_b32_e32 v58, 0x7f800001
	s_and_saveexec_b64 s[16:17], vcc
	s_cbranch_execz .LBB612_525
; %bb.524:                              ;   in Loop: Header=BB612_215 Depth=1
	v_and_b32_e32 v60, 7, v46
	v_ffbh_u32_e32 v58, v60
	v_min_u32_e32 v62, 32, v58
	v_subrev_u32_e32 v58, 28, v62
	v_lshlrev_b64 v[58:59], v58, v[46:47]
	v_lshrrev_b32_e32 v61, 3, v44
	v_sub_u32_e32 v59, 29, v62
	v_and_b32_e32 v58, 7, v58
	v_cmp_gt_u32_e32 vcc, 8, v44
	v_cndmask_b32_e32 v44, v61, v59, vcc
	v_cndmask_b32_e32 v58, v60, v58, vcc
	v_lshlrev_b32_e32 v46, 24, v46
	v_lshlrev_b32_e32 v58, 20, v58
	v_and_b32_e32 v46, 0x80000000, v46
	v_lshl_add_u32 v44, v44, 23, v55
	v_or3_b32 v58, v46, v44, v58
.LBB612_525:                            ;   in Loop: Header=BB612_215 Depth=1
	s_or_b64 exec, exec, s[16:17]
.LBB612_526:                            ;   in Loop: Header=BB612_215 Depth=1
	s_or_b64 exec, exec, s[14:15]
.LBB612_527:                            ;   in Loop: Header=BB612_215 Depth=1
	s_or_b64 exec, exec, s[12:13]
	s_waitcnt vmcnt(2)
	v_cmp_ne_u16_sdwa s[14:15], v42, v54 src0_sel:BYTE_0 src1_sel:DWORD
	s_and_saveexec_b64 s[12:13], s[14:15]
	s_cbranch_execz .LBB612_533
; %bb.528:                              ;   in Loop: Header=BB612_215 Depth=1
	v_cmp_ne_u16_sdwa s[16:17], v42, s9 src0_sel:BYTE_0 src1_sel:DWORD
	v_bfrev_b32_e32 v57, 1
	s_and_saveexec_b64 s[14:15], s[16:17]
	s_cbranch_execz .LBB612_532
; %bb.529:                              ;   in Loop: Header=BB612_215 Depth=1
	v_and_b32_e32 v44, 0x7f, v42
	v_cmp_ne_u32_e32 vcc, s19, v44
	v_mov_b32_e32 v57, 0x7f800001
	s_and_saveexec_b64 s[16:17], vcc
	s_cbranch_execz .LBB612_531
; %bb.530:                              ;   in Loop: Header=BB612_215 Depth=1
	v_and_b32_e32 v46, 7, v42
	v_ffbh_u32_e32 v59, v46
	v_min_u32_e32 v59, 32, v59
	v_subrev_u32_e32 v60, 28, v59
	v_lshlrev_b64 v[60:61], v60, v[42:43]
	v_lshrrev_b32_e32 v57, 3, v44
	v_sub_u32_e32 v59, 29, v59
	v_and_b32_e32 v60, 7, v60
	v_cmp_gt_u32_e32 vcc, 8, v44
	v_cndmask_b32_e32 v44, v57, v59, vcc
	v_cndmask_b32_e32 v46, v46, v60, vcc
	v_lshlrev_b32_e32 v57, 24, v42
	v_lshlrev_b32_e32 v46, 20, v46
	v_and_b32_e32 v57, 0x80000000, v57
	v_lshl_add_u32 v44, v44, 23, v55
	v_or3_b32 v57, v57, v44, v46
.LBB612_531:                            ;   in Loop: Header=BB612_215 Depth=1
	s_or_b64 exec, exec, s[16:17]
.LBB612_532:                            ;   in Loop: Header=BB612_215 Depth=1
	s_or_b64 exec, exec, s[14:15]
.LBB612_533:                            ;   in Loop: Header=BB612_215 Depth=1
	s_or_b64 exec, exec, s[12:13]
	v_lshrrev_b16_e32 v44, 8, v42
	v_cmp_ne_u16_e32 vcc, 0, v44
	v_mov_b32_e32 v59, 0
	v_mov_b32_e32 v60, 0
	s_and_saveexec_b64 s[12:13], vcc
	s_cbranch_execz .LBB612_539
; %bb.534:                              ;   in Loop: Header=BB612_215 Depth=1
	v_cmp_ne_u16_e32 vcc, s9, v44
	v_bfrev_b32_e32 v60, 1
	s_and_saveexec_b64 s[14:15], vcc
	s_cbranch_execz .LBB612_538
; %bb.535:                              ;   in Loop: Header=BB612_215 Depth=1
	v_and_b32_e32 v46, 0x7f, v44
	v_cmp_ne_u32_e32 vcc, s19, v46
	v_mov_b32_e32 v60, 0x7f800001
	s_and_saveexec_b64 s[16:17], vcc
	s_cbranch_execz .LBB612_537
; %bb.536:                              ;   in Loop: Header=BB612_215 Depth=1
	v_and_b32_e32 v62, 7, v44
	v_ffbh_u32_e32 v60, v62
	v_min_u32_e32 v64, 32, v60
	v_subrev_u32_e32 v60, 28, v64
	v_lshlrev_b64 v[60:61], v60, v[44:45]
	v_lshrrev_b32_e32 v63, 3, v46
	v_sub_u32_e32 v44, 29, v64
	v_and_b32_e32 v60, 7, v60
	v_cmp_gt_u32_e32 vcc, 8, v46
	v_cndmask_b32_e32 v44, v63, v44, vcc
	v_cndmask_b32_e32 v46, v62, v60, vcc
	v_lshlrev_b32_e32 v60, 16, v42
	v_lshlrev_b32_e32 v46, 20, v46
	v_and_b32_e32 v60, 0x80000000, v60
	v_lshl_add_u32 v44, v44, 23, v55
	v_or3_b32 v60, v60, v44, v46
.LBB612_537:                            ;   in Loop: Header=BB612_215 Depth=1
	s_or_b64 exec, exec, s[16:17]
.LBB612_538:                            ;   in Loop: Header=BB612_215 Depth=1
	s_or_b64 exec, exec, s[14:15]
.LBB612_539:                            ;   in Loop: Header=BB612_215 Depth=1
	s_or_b64 exec, exec, s[12:13]
	v_lshrrev_b32_e32 v44, 16, v42
	v_cmp_ne_u16_sdwa s[14:15], v44, v54 src0_sel:BYTE_0 src1_sel:DWORD
	s_and_saveexec_b64 s[12:13], s[14:15]
	s_cbranch_execz .LBB612_545
; %bb.540:                              ;   in Loop: Header=BB612_215 Depth=1
	v_cmp_ne_u16_sdwa s[16:17], v44, s9 src0_sel:BYTE_0 src1_sel:DWORD
	v_bfrev_b32_e32 v59, 1
	s_and_saveexec_b64 s[14:15], s[16:17]
	s_cbranch_execz .LBB612_544
; %bb.541:                              ;   in Loop: Header=BB612_215 Depth=1
	v_bfe_u32 v46, v42, 16, 7
	v_cmp_ne_u32_e32 vcc, s19, v46
	v_mov_b32_e32 v59, 0x7f800001
	s_and_saveexec_b64 s[16:17], vcc
	s_cbranch_execz .LBB612_543
; %bb.542:                              ;   in Loop: Header=BB612_215 Depth=1
	v_and_b32_e32 v59, 7, v44
	v_ffbh_u32_e32 v62, v59
	v_min_u32_e32 v64, 32, v62
	v_subrev_u32_e32 v62, 28, v64
	v_lshlrev_b64 v[62:63], v62, v[44:45]
	v_lshrrev_b32_e32 v61, 3, v46
	v_sub_u32_e32 v63, 29, v64
	v_and_b32_e32 v62, 7, v62
	v_cmp_gt_u32_e32 vcc, 8, v46
	v_cndmask_b32_e32 v46, v61, v63, vcc
	v_cndmask_b32_e32 v59, v59, v62, vcc
	v_lshlrev_b32_e32 v44, 24, v44
	v_lshlrev_b32_e32 v59, 20, v59
	v_and_b32_e32 v44, 0x80000000, v44
	v_lshl_add_u32 v46, v46, 23, v55
	v_or3_b32 v59, v44, v46, v59
.LBB612_543:                            ;   in Loop: Header=BB612_215 Depth=1
	s_or_b64 exec, exec, s[16:17]
.LBB612_544:                            ;   in Loop: Header=BB612_215 Depth=1
	s_or_b64 exec, exec, s[14:15]
.LBB612_545:                            ;   in Loop: Header=BB612_215 Depth=1
	s_or_b64 exec, exec, s[12:13]
	v_cmp_lt_u32_e32 vcc, s20, v42
	v_mov_b32_e32 v46, 0
	v_mov_b32_e32 v61, 0
	s_and_saveexec_b64 s[12:13], vcc
	s_cbranch_execz .LBB612_551
; %bb.546:                              ;   in Loop: Header=BB612_215 Depth=1
	v_lshrrev_b32_e32 v44, 24, v42
	v_cmp_ne_u32_e32 vcc, s9, v44
	v_bfrev_b32_e32 v61, 1
	s_and_saveexec_b64 s[14:15], vcc
	s_cbranch_execz .LBB612_550
; %bb.547:                              ;   in Loop: Header=BB612_215 Depth=1
	v_bfe_u32 v42, v42, 24, 7
	v_cmp_ne_u32_e32 vcc, s19, v42
	v_mov_b32_e32 v61, 0x7f800001
	s_and_saveexec_b64 s[16:17], vcc
	s_cbranch_execz .LBB612_549
; %bb.548:                              ;   in Loop: Header=BB612_215 Depth=1
	v_and_b32_e32 v61, 7, v44
	v_ffbh_u32_e32 v62, v61
	v_min_u32_e32 v65, 32, v62
	v_subrev_u32_e32 v62, 28, v65
	v_lshlrev_b64 v[62:63], v62, v[44:45]
	v_lshrrev_b32_e32 v64, 3, v42
	v_sub_u32_e32 v63, 29, v65
	v_and_b32_e32 v62, 7, v62
	v_cmp_gt_u32_e32 vcc, 8, v42
	v_cndmask_b32_e32 v42, v64, v63, vcc
	v_cndmask_b32_e32 v61, v61, v62, vcc
	v_lshlrev_b32_e32 v44, 24, v44
	v_lshlrev_b32_e32 v61, 20, v61
	v_and_b32_e32 v44, 0x80000000, v44
	v_lshl_add_u32 v42, v42, 23, v55
	v_or3_b32 v61, v44, v42, v61
.LBB612_549:                            ;   in Loop: Header=BB612_215 Depth=1
	s_or_b64 exec, exec, s[16:17]
.LBB612_550:                            ;   in Loop: Header=BB612_215 Depth=1
	s_or_b64 exec, exec, s[14:15]
.LBB612_551:                            ;   in Loop: Header=BB612_215 Depth=1
	s_or_b64 exec, exec, s[12:13]
	v_cvt_pkrtz_f16_f32 v62, v51, v56
	v_cvt_pkrtz_f16_f32 v63, v50, v58
	;; [unrolled: 1-line block ×4, first 2 shown]
	s_waitcnt vmcnt(1)
	v_cmp_ne_u16_sdwa s[14:15], v40, v54 src0_sel:BYTE_0 src1_sel:DWORD
	v_mfma_f32_16x16x16f16 v[34:37], v[62:63], v[26:27], v[34:37]
	v_mfma_f32_16x16x16f16 v[34:37], v[50:51], v[28:29], v[34:37]
	s_and_saveexec_b64 s[12:13], s[14:15]
	s_cbranch_execz .LBB612_557
; %bb.552:                              ;   in Loop: Header=BB612_215 Depth=1
	v_cmp_ne_u16_sdwa s[16:17], v40, s9 src0_sel:BYTE_0 src1_sel:DWORD
	v_bfrev_b32_e32 v46, 1
	s_and_saveexec_b64 s[14:15], s[16:17]
	s_cbranch_execz .LBB612_556
; %bb.553:                              ;   in Loop: Header=BB612_215 Depth=1
	v_and_b32_e32 v42, 0x7f, v40
	v_cmp_ne_u32_e32 vcc, s19, v42
	v_mov_b32_e32 v46, 0x7f800001
	s_and_saveexec_b64 s[16:17], vcc
	s_cbranch_execz .LBB612_555
; %bb.554:                              ;   in Loop: Header=BB612_215 Depth=1
	v_and_b32_e32 v44, 7, v40
	v_ffbh_u32_e32 v50, v44
	v_min_u32_e32 v56, 32, v50
	v_subrev_u32_e32 v50, 28, v56
	v_lshlrev_b64 v[50:51], v50, v[40:41]
	v_lshrrev_b32_e32 v46, 3, v42
	v_sub_u32_e32 v51, 29, v56
	v_and_b32_e32 v50, 7, v50
	v_cmp_gt_u32_e32 vcc, 8, v42
	v_cndmask_b32_e32 v42, v46, v51, vcc
	v_cndmask_b32_e32 v44, v44, v50, vcc
	v_lshlrev_b32_e32 v46, 24, v40
	v_lshlrev_b32_e32 v44, 20, v44
	v_and_b32_e32 v46, 0x80000000, v46
	v_lshl_add_u32 v42, v42, 23, v55
	v_or3_b32 v46, v46, v42, v44
.LBB612_555:                            ;   in Loop: Header=BB612_215 Depth=1
	s_or_b64 exec, exec, s[16:17]
.LBB612_556:                            ;   in Loop: Header=BB612_215 Depth=1
	s_or_b64 exec, exec, s[14:15]
.LBB612_557:                            ;   in Loop: Header=BB612_215 Depth=1
	s_or_b64 exec, exec, s[12:13]
	v_lshrrev_b16_e32 v42, 8, v40
	v_cmp_ne_u16_e32 vcc, 0, v42
	v_mov_b32_e32 v44, 0
	v_mov_b32_e32 v50, 0
	s_and_saveexec_b64 s[12:13], vcc
	s_cbranch_execz .LBB612_563
; %bb.558:                              ;   in Loop: Header=BB612_215 Depth=1
	v_cmp_ne_u16_e32 vcc, s9, v42
	v_bfrev_b32_e32 v50, 1
	s_and_saveexec_b64 s[14:15], vcc
	s_cbranch_execz .LBB612_562
; %bb.559:                              ;   in Loop: Header=BB612_215 Depth=1
	v_and_b32_e32 v51, 0x7f, v42
	v_cmp_ne_u32_e32 vcc, s19, v51
	v_mov_b32_e32 v50, 0x7f800001
	s_and_saveexec_b64 s[16:17], vcc
	s_cbranch_execz .LBB612_561
; %bb.560:                              ;   in Loop: Header=BB612_215 Depth=1
	v_and_b32_e32 v50, 7, v42
	v_ffbh_u32_e32 v56, v50
	v_min_u32_e32 v59, 32, v56
	v_subrev_u32_e32 v56, 28, v59
	v_lshlrev_b64 v[56:57], v56, v[42:43]
	v_lshrrev_b32_e32 v58, 3, v51
	v_sub_u32_e32 v42, 29, v59
	v_and_b32_e32 v56, 7, v56
	v_cmp_gt_u32_e32 vcc, 8, v51
	v_cndmask_b32_e32 v42, v58, v42, vcc
	v_cndmask_b32_e32 v50, v50, v56, vcc
	v_lshlrev_b32_e32 v51, 16, v40
	v_lshlrev_b32_e32 v50, 20, v50
	v_and_b32_e32 v51, 0x80000000, v51
	v_lshl_add_u32 v42, v42, 23, v55
	v_or3_b32 v50, v51, v42, v50
.LBB612_561:                            ;   in Loop: Header=BB612_215 Depth=1
	s_or_b64 exec, exec, s[16:17]
.LBB612_562:                            ;   in Loop: Header=BB612_215 Depth=1
	s_or_b64 exec, exec, s[14:15]
.LBB612_563:                            ;   in Loop: Header=BB612_215 Depth=1
	s_or_b64 exec, exec, s[12:13]
	v_lshrrev_b32_e32 v42, 16, v40
	v_cmp_ne_u16_sdwa s[14:15], v42, v54 src0_sel:BYTE_0 src1_sel:DWORD
	s_and_saveexec_b64 s[12:13], s[14:15]
	s_cbranch_execz .LBB612_569
; %bb.564:                              ;   in Loop: Header=BB612_215 Depth=1
	v_cmp_ne_u16_sdwa s[16:17], v42, s9 src0_sel:BYTE_0 src1_sel:DWORD
	v_bfrev_b32_e32 v44, 1
	s_and_saveexec_b64 s[14:15], s[16:17]
	s_cbranch_execz .LBB612_568
; %bb.565:                              ;   in Loop: Header=BB612_215 Depth=1
	v_bfe_u32 v51, v40, 16, 7
	v_cmp_ne_u32_e32 vcc, s19, v51
	v_mov_b32_e32 v44, 0x7f800001
	s_and_saveexec_b64 s[16:17], vcc
	s_cbranch_execz .LBB612_567
; %bb.566:                              ;   in Loop: Header=BB612_215 Depth=1
	v_and_b32_e32 v44, 7, v42
	v_ffbh_u32_e32 v56, v44
	v_min_u32_e32 v59, 32, v56
	v_subrev_u32_e32 v56, 28, v59
	v_lshlrev_b64 v[56:57], v56, v[42:43]
	v_lshrrev_b32_e32 v58, 3, v51
	v_sub_u32_e32 v57, 29, v59
	v_and_b32_e32 v56, 7, v56
	v_cmp_gt_u32_e32 vcc, 8, v51
	v_cndmask_b32_e32 v51, v58, v57, vcc
	v_cndmask_b32_e32 v44, v44, v56, vcc
	v_lshlrev_b32_e32 v42, 24, v42
	v_lshlrev_b32_e32 v44, 20, v44
	v_and_b32_e32 v42, 0x80000000, v42
	v_lshl_add_u32 v51, v51, 23, v55
	v_or3_b32 v44, v42, v51, v44
.LBB612_567:                            ;   in Loop: Header=BB612_215 Depth=1
	s_or_b64 exec, exec, s[16:17]
.LBB612_568:                            ;   in Loop: Header=BB612_215 Depth=1
	s_or_b64 exec, exec, s[14:15]
.LBB612_569:                            ;   in Loop: Header=BB612_215 Depth=1
	s_or_b64 exec, exec, s[12:13]
	v_cmp_lt_u32_e32 vcc, s20, v40
	v_mov_b32_e32 v51, 0
	v_mov_b32_e32 v56, 0
	s_and_saveexec_b64 s[12:13], vcc
	s_cbranch_execz .LBB612_575
; %bb.570:                              ;   in Loop: Header=BB612_215 Depth=1
	v_lshrrev_b32_e32 v42, 24, v40
	v_cmp_ne_u32_e32 vcc, s9, v42
	v_bfrev_b32_e32 v56, 1
	s_and_saveexec_b64 s[14:15], vcc
	s_cbranch_execz .LBB612_574
; %bb.571:                              ;   in Loop: Header=BB612_215 Depth=1
	v_bfe_u32 v40, v40, 24, 7
	v_cmp_ne_u32_e32 vcc, s19, v40
	v_mov_b32_e32 v56, 0x7f800001
	s_and_saveexec_b64 s[16:17], vcc
	s_cbranch_execz .LBB612_573
; %bb.572:                              ;   in Loop: Header=BB612_215 Depth=1
	v_and_b32_e32 v58, 7, v42
	v_ffbh_u32_e32 v56, v58
	v_min_u32_e32 v60, 32, v56
	v_subrev_u32_e32 v56, 28, v60
	v_lshlrev_b64 v[56:57], v56, v[42:43]
	v_lshrrev_b32_e32 v59, 3, v40
	v_sub_u32_e32 v57, 29, v60
	v_and_b32_e32 v56, 7, v56
	v_cmp_gt_u32_e32 vcc, 8, v40
	v_cndmask_b32_e32 v40, v59, v57, vcc
	v_cndmask_b32_e32 v56, v58, v56, vcc
	v_lshlrev_b32_e32 v42, 24, v42
	v_lshlrev_b32_e32 v56, 20, v56
	v_and_b32_e32 v42, 0x80000000, v42
	v_lshl_add_u32 v40, v40, 23, v55
	v_or3_b32 v56, v42, v40, v56
.LBB612_573:                            ;   in Loop: Header=BB612_215 Depth=1
	s_or_b64 exec, exec, s[16:17]
.LBB612_574:                            ;   in Loop: Header=BB612_215 Depth=1
	s_or_b64 exec, exec, s[14:15]
.LBB612_575:                            ;   in Loop: Header=BB612_215 Depth=1
	s_or_b64 exec, exec, s[12:13]
	s_waitcnt vmcnt(0)
	v_cmp_ne_u16_sdwa s[14:15], v38, v54 src0_sel:BYTE_0 src1_sel:DWORD
	s_and_saveexec_b64 s[12:13], s[14:15]
	s_cbranch_execz .LBB612_581
; %bb.576:                              ;   in Loop: Header=BB612_215 Depth=1
	v_cmp_ne_u16_sdwa s[16:17], v38, s9 src0_sel:BYTE_0 src1_sel:DWORD
	v_bfrev_b32_e32 v51, 1
	s_and_saveexec_b64 s[14:15], s[16:17]
	s_cbranch_execz .LBB612_580
; %bb.577:                              ;   in Loop: Header=BB612_215 Depth=1
	v_and_b32_e32 v40, 0x7f, v38
	v_cmp_ne_u32_e32 vcc, s19, v40
	v_mov_b32_e32 v51, 0x7f800001
	s_and_saveexec_b64 s[16:17], vcc
	s_cbranch_execz .LBB612_579
; %bb.578:                              ;   in Loop: Header=BB612_215 Depth=1
	v_and_b32_e32 v42, 7, v38
	v_ffbh_u32_e32 v57, v42
	v_min_u32_e32 v57, 32, v57
	v_subrev_u32_e32 v58, 28, v57
	v_lshlrev_b64 v[58:59], v58, v[38:39]
	v_lshrrev_b32_e32 v51, 3, v40
	v_sub_u32_e32 v57, 29, v57
	v_and_b32_e32 v58, 7, v58
	v_cmp_gt_u32_e32 vcc, 8, v40
	v_cndmask_b32_e32 v40, v51, v57, vcc
	v_cndmask_b32_e32 v42, v42, v58, vcc
	v_lshlrev_b32_e32 v51, 24, v38
	v_lshlrev_b32_e32 v42, 20, v42
	v_and_b32_e32 v51, 0x80000000, v51
	v_lshl_add_u32 v40, v40, 23, v55
	v_or3_b32 v51, v51, v40, v42
.LBB612_579:                            ;   in Loop: Header=BB612_215 Depth=1
	s_or_b64 exec, exec, s[16:17]
.LBB612_580:                            ;   in Loop: Header=BB612_215 Depth=1
	s_or_b64 exec, exec, s[14:15]
.LBB612_581:                            ;   in Loop: Header=BB612_215 Depth=1
	s_or_b64 exec, exec, s[12:13]
	v_lshrrev_b16_e32 v40, 8, v38
	v_cmp_ne_u16_e32 vcc, 0, v40
	v_mov_b32_e32 v42, 0
	v_mov_b32_e32 v57, 0
	s_and_saveexec_b64 s[12:13], vcc
	s_cbranch_execz .LBB612_587
; %bb.582:                              ;   in Loop: Header=BB612_215 Depth=1
	v_cmp_ne_u16_e32 vcc, s9, v40
	v_bfrev_b32_e32 v57, 1
	s_and_saveexec_b64 s[14:15], vcc
	s_cbranch_execz .LBB612_586
; %bb.583:                              ;   in Loop: Header=BB612_215 Depth=1
	v_and_b32_e32 v58, 0x7f, v40
	v_cmp_ne_u32_e32 vcc, s19, v58
	v_mov_b32_e32 v57, 0x7f800001
	s_and_saveexec_b64 s[16:17], vcc
	s_cbranch_execz .LBB612_585
; %bb.584:                              ;   in Loop: Header=BB612_215 Depth=1
	v_and_b32_e32 v57, 7, v40
	v_ffbh_u32_e32 v60, v57
	v_min_u32_e32 v62, 32, v60
	v_subrev_u32_e32 v60, 28, v62
	v_lshlrev_b64 v[60:61], v60, v[40:41]
	v_lshrrev_b32_e32 v59, 3, v58
	v_sub_u32_e32 v40, 29, v62
	v_and_b32_e32 v60, 7, v60
	v_cmp_gt_u32_e32 vcc, 8, v58
	v_cndmask_b32_e32 v40, v59, v40, vcc
	v_cndmask_b32_e32 v57, v57, v60, vcc
	v_lshlrev_b32_e32 v58, 16, v38
	v_lshlrev_b32_e32 v57, 20, v57
	v_and_b32_e32 v58, 0x80000000, v58
	v_lshl_add_u32 v40, v40, 23, v55
	v_or3_b32 v57, v58, v40, v57
.LBB612_585:                            ;   in Loop: Header=BB612_215 Depth=1
	s_or_b64 exec, exec, s[16:17]
.LBB612_586:                            ;   in Loop: Header=BB612_215 Depth=1
	s_or_b64 exec, exec, s[14:15]
.LBB612_587:                            ;   in Loop: Header=BB612_215 Depth=1
	s_or_b64 exec, exec, s[12:13]
	v_lshrrev_b32_e32 v40, 16, v38
	v_cmp_ne_u16_sdwa s[14:15], v40, v54 src0_sel:BYTE_0 src1_sel:DWORD
	s_and_saveexec_b64 s[12:13], s[14:15]
	s_cbranch_execz .LBB612_593
; %bb.588:                              ;   in Loop: Header=BB612_215 Depth=1
	v_cmp_ne_u16_sdwa s[16:17], v40, s9 src0_sel:BYTE_0 src1_sel:DWORD
	v_bfrev_b32_e32 v42, 1
	s_and_saveexec_b64 s[14:15], s[16:17]
	s_cbranch_execz .LBB612_592
; %bb.589:                              ;   in Loop: Header=BB612_215 Depth=1
	v_bfe_u32 v58, v38, 16, 7
	v_cmp_ne_u32_e32 vcc, s19, v58
	v_mov_b32_e32 v42, 0x7f800001
	s_and_saveexec_b64 s[16:17], vcc
	s_cbranch_execz .LBB612_591
; %bb.590:                              ;   in Loop: Header=BB612_215 Depth=1
	v_and_b32_e32 v42, 7, v40
	v_ffbh_u32_e32 v60, v42
	v_min_u32_e32 v62, 32, v60
	v_subrev_u32_e32 v60, 28, v62
	v_lshlrev_b64 v[60:61], v60, v[40:41]
	v_lshrrev_b32_e32 v59, 3, v58
	v_sub_u32_e32 v61, 29, v62
	v_and_b32_e32 v60, 7, v60
	v_cmp_gt_u32_e32 vcc, 8, v58
	v_cndmask_b32_e32 v58, v59, v61, vcc
	v_cndmask_b32_e32 v42, v42, v60, vcc
	v_lshlrev_b32_e32 v40, 24, v40
	v_lshlrev_b32_e32 v42, 20, v42
	v_and_b32_e32 v40, 0x80000000, v40
	v_lshl_add_u32 v58, v58, 23, v55
	v_or3_b32 v42, v40, v58, v42
.LBB612_591:                            ;   in Loop: Header=BB612_215 Depth=1
	s_or_b64 exec, exec, s[16:17]
.LBB612_592:                            ;   in Loop: Header=BB612_215 Depth=1
	s_or_b64 exec, exec, s[14:15]
.LBB612_593:                            ;   in Loop: Header=BB612_215 Depth=1
	s_or_b64 exec, exec, s[12:13]
	v_cmp_lt_u32_e32 vcc, s20, v38
	v_mov_b32_e32 v58, 0
	s_and_saveexec_b64 s[12:13], vcc
	s_cbranch_execz .LBB612_214
; %bb.594:                              ;   in Loop: Header=BB612_215 Depth=1
	v_lshrrev_b32_e32 v40, 24, v38
	v_cmp_ne_u32_e32 vcc, s9, v40
	v_bfrev_b32_e32 v58, 1
	s_and_saveexec_b64 s[14:15], vcc
	s_cbranch_execz .LBB612_213
; %bb.595:                              ;   in Loop: Header=BB612_215 Depth=1
	v_bfe_u32 v38, v38, 24, 7
	v_cmp_ne_u32_e32 vcc, s19, v38
	v_mov_b32_e32 v58, 0x7f800001
	s_and_saveexec_b64 s[16:17], vcc
	s_cbranch_execz .LBB612_212
; %bb.596:                              ;   in Loop: Header=BB612_215 Depth=1
	v_and_b32_e32 v60, 7, v40
	v_ffbh_u32_e32 v58, v60
	v_min_u32_e32 v62, 32, v58
	v_subrev_u32_e32 v58, 28, v62
	v_lshlrev_b64 v[58:59], v58, v[40:41]
	v_lshrrev_b32_e32 v61, 3, v38
	v_sub_u32_e32 v59, 29, v62
	v_and_b32_e32 v58, 7, v58
	v_cmp_gt_u32_e32 vcc, 8, v38
	v_cndmask_b32_e32 v38, v61, v59, vcc
	v_cndmask_b32_e32 v58, v60, v58, vcc
	v_lshlrev_b32_e32 v40, 24, v40
	v_lshlrev_b32_e32 v58, 20, v58
	v_and_b32_e32 v40, 0x80000000, v40
	v_lshl_add_u32 v38, v38, 23, v55
	v_or3_b32 v58, v40, v38, v58
	s_branch .LBB612_212
.LBB612_597:
	s_barrier
	buffer_load_dword v2, off, s[0:3], 0 offset:320
	buffer_load_dword v5, off, s[0:3], 0 offset:332
	;; [unrolled: 1-line block ×4, first 2 shown]
	v_cmp_gt_u32_e32 vcc, 64, v0
	s_waitcnt vmcnt(0)
	ds_write2st64_b64 v52, v[2:3], v[4:5] offset1:1
	s_waitcnt lgkmcnt(0)
	s_barrier
	s_and_saveexec_b64 s[4:5], vcc
	s_cbranch_execz .LBB612_600
; %bb.598:
	s_lshl_b32 s4, s48, 7
	s_mul_i32 s5, s18, s8
	s_mul_hi_u32 s9, s5, s4
	s_mul_i32 s8, s5, s4
	s_lshl_b64 s[8:9], s[8:9], 1
	s_add_u32 s5, s50, s8
	v_lshlrev_b32_e32 v4, 6, v41
	s_mov_b32 s7, 0
	s_addc_u32 s8, s51, s9
	s_lshl_b32 s6, s26, 7
	v_lshl_or_b32 v0, v0, 10, v4
	s_lshl_b64 s[6:7], s[6:7], 1
	v_lshlrev_b32_e32 v2, 5, v1
	v_and_b32_e32 v3, 16, v43
	v_and_b32_e32 v0, 0x1a00, v0
	s_add_u32 s5, s5, s6
	v_or3_b32 v0, v0, v2, v3
	s_addc_u32 s6, s8, s7
	v_add_u32_e32 v8, s27, v1
	v_mov_b32_e32 v3, s6
	v_add_co_u32_e32 v2, vcc, s5, v39
	ds_read_b128 v[4:7], v0
	v_mad_u64_u32 v[8:9], s[6:7], v8, s4, 0
	v_addc_co_u32_e32 v3, vcc, 0, v3, vcc
	v_lshlrev_b64 v[8:9], 1, v[8:9]
	v_add_co_u32_e32 v8, vcc, v2, v8
	v_addc_co_u32_e32 v9, vcc, v3, v9, vcc
	v_cmp_ne_u32_e32 vcc, 3, v1
	s_waitcnt lgkmcnt(0)
	global_store_dwordx4 v[8:9], v[4:7], off
	s_and_b64 exec, exec, vcc
	s_cbranch_execz .LBB612_600
; %bb.599:
	ds_read_b128 v[4:7], v0 offset:128
	v_add3_u32 v0, s27, v1, 4
	v_mad_u64_u32 v[0:1], s[4:5], v0, s4, 0
	v_lshlrev_b64 v[0:1], 1, v[0:1]
	v_add_co_u32_e32 v0, vcc, v2, v0
	v_addc_co_u32_e32 v1, vcc, v3, v1, vcc
	s_waitcnt lgkmcnt(0)
	global_store_dwordx4 v[0:1], v[4:7], off
.LBB612_600:
	s_endpgm
	.section	.rodata,"a",@progbits
	.p2align	6, 0x0
	.amdhsa_kernel _Z39paged_attention_ll4mi_QKV_mfma16_kernelIDF16_hLN4vllm18Fp8KVCacheDataTypeE1EDF16_Li16ELi128ELi256ELb1ELi7EL8MFMAType0EEvPKT_PKT0_S8_ifPKiSA_SA_iPKfiiiPfSD_PS3_PT2_iSC_SC_
		.amdhsa_group_segment_fixed_size 8192
		.amdhsa_private_segment_fixed_size 352
		.amdhsa_kernarg_size 400
		.amdhsa_user_sgpr_count 8
		.amdhsa_user_sgpr_private_segment_buffer 1
		.amdhsa_user_sgpr_dispatch_ptr 0
		.amdhsa_user_sgpr_queue_ptr 0
		.amdhsa_user_sgpr_kernarg_segment_ptr 1
		.amdhsa_user_sgpr_dispatch_id 0
		.amdhsa_user_sgpr_flat_scratch_init 1
		.amdhsa_user_sgpr_kernarg_preload_length 0
		.amdhsa_user_sgpr_kernarg_preload_offset 0
		.amdhsa_user_sgpr_private_segment_size 0
		.amdhsa_uses_dynamic_stack 0
		.amdhsa_system_sgpr_private_segment_wavefront_offset 1
		.amdhsa_system_sgpr_workgroup_id_x 1
		.amdhsa_system_sgpr_workgroup_id_y 1
		.amdhsa_system_sgpr_workgroup_id_z 1
		.amdhsa_system_sgpr_workgroup_info 0
		.amdhsa_system_vgpr_workitem_id 0
		.amdhsa_next_free_vgpr 80
		.amdhsa_next_free_sgpr 53
		.amdhsa_accum_offset 80
		.amdhsa_reserve_vcc 1
		.amdhsa_reserve_flat_scratch 0
		.amdhsa_float_round_mode_32 0
		.amdhsa_float_round_mode_16_64 0
		.amdhsa_float_denorm_mode_32 3
		.amdhsa_float_denorm_mode_16_64 3
		.amdhsa_dx10_clamp 1
		.amdhsa_ieee_mode 1
		.amdhsa_fp16_overflow 0
		.amdhsa_tg_split 0
		.amdhsa_exception_fp_ieee_invalid_op 0
		.amdhsa_exception_fp_denorm_src 0
		.amdhsa_exception_fp_ieee_div_zero 0
		.amdhsa_exception_fp_ieee_overflow 0
		.amdhsa_exception_fp_ieee_underflow 0
		.amdhsa_exception_fp_ieee_inexact 0
		.amdhsa_exception_int_div_zero 0
	.end_amdhsa_kernel
	.section	.text._Z39paged_attention_ll4mi_QKV_mfma16_kernelIDF16_hLN4vllm18Fp8KVCacheDataTypeE1EDF16_Li16ELi128ELi256ELb1ELi7EL8MFMAType0EEvPKT_PKT0_S8_ifPKiSA_SA_iPKfiiiPfSD_PS3_PT2_iSC_SC_,"axG",@progbits,_Z39paged_attention_ll4mi_QKV_mfma16_kernelIDF16_hLN4vllm18Fp8KVCacheDataTypeE1EDF16_Li16ELi128ELi256ELb1ELi7EL8MFMAType0EEvPKT_PKT0_S8_ifPKiSA_SA_iPKfiiiPfSD_PS3_PT2_iSC_SC_,comdat
.Lfunc_end612:
	.size	_Z39paged_attention_ll4mi_QKV_mfma16_kernelIDF16_hLN4vllm18Fp8KVCacheDataTypeE1EDF16_Li16ELi128ELi256ELb1ELi7EL8MFMAType0EEvPKT_PKT0_S8_ifPKiSA_SA_iPKfiiiPfSD_PS3_PT2_iSC_SC_, .Lfunc_end612-_Z39paged_attention_ll4mi_QKV_mfma16_kernelIDF16_hLN4vllm18Fp8KVCacheDataTypeE1EDF16_Li16ELi128ELi256ELb1ELi7EL8MFMAType0EEvPKT_PKT0_S8_ifPKiSA_SA_iPKfiiiPfSD_PS3_PT2_iSC_SC_
                                        ; -- End function
	.section	.AMDGPU.csdata,"",@progbits
; Kernel info:
; codeLenInByte = 21428
; NumSgprs: 57
; NumVgprs: 80
; NumAgprs: 0
; TotalNumVgprs: 80
; ScratchSize: 352
; MemoryBound: 0
; FloatMode: 240
; IeeeMode: 1
; LDSByteSize: 8192 bytes/workgroup (compile time only)
; SGPRBlocks: 7
; VGPRBlocks: 9
; NumSGPRsForWavesPerEU: 57
; NumVGPRsForWavesPerEU: 80
; AccumOffset: 80
; Occupancy: 6
; WaveLimiterHint : 1
; COMPUTE_PGM_RSRC2:SCRATCH_EN: 1
; COMPUTE_PGM_RSRC2:USER_SGPR: 8
; COMPUTE_PGM_RSRC2:TRAP_HANDLER: 0
; COMPUTE_PGM_RSRC2:TGID_X_EN: 1
; COMPUTE_PGM_RSRC2:TGID_Y_EN: 1
; COMPUTE_PGM_RSRC2:TGID_Z_EN: 1
; COMPUTE_PGM_RSRC2:TIDIG_COMP_CNT: 0
; COMPUTE_PGM_RSRC3_GFX90A:ACCUM_OFFSET: 19
; COMPUTE_PGM_RSRC3_GFX90A:TG_SPLIT: 0
	.section	.text._Z39paged_attention_ll4mi_QKV_mfma16_kernelIDF16_hLN4vllm18Fp8KVCacheDataTypeE1EDF16_Li16ELi128ELi256ELb1ELi8EL8MFMAType0EEvPKT_PKT0_S8_ifPKiSA_SA_iPKfiiiPfSD_PS3_PT2_iSC_SC_,"axG",@progbits,_Z39paged_attention_ll4mi_QKV_mfma16_kernelIDF16_hLN4vllm18Fp8KVCacheDataTypeE1EDF16_Li16ELi128ELi256ELb1ELi8EL8MFMAType0EEvPKT_PKT0_S8_ifPKiSA_SA_iPKfiiiPfSD_PS3_PT2_iSC_SC_,comdat
	.protected	_Z39paged_attention_ll4mi_QKV_mfma16_kernelIDF16_hLN4vllm18Fp8KVCacheDataTypeE1EDF16_Li16ELi128ELi256ELb1ELi8EL8MFMAType0EEvPKT_PKT0_S8_ifPKiSA_SA_iPKfiiiPfSD_PS3_PT2_iSC_SC_ ; -- Begin function _Z39paged_attention_ll4mi_QKV_mfma16_kernelIDF16_hLN4vllm18Fp8KVCacheDataTypeE1EDF16_Li16ELi128ELi256ELb1ELi8EL8MFMAType0EEvPKT_PKT0_S8_ifPKiSA_SA_iPKfiiiPfSD_PS3_PT2_iSC_SC_
	.globl	_Z39paged_attention_ll4mi_QKV_mfma16_kernelIDF16_hLN4vllm18Fp8KVCacheDataTypeE1EDF16_Li16ELi128ELi256ELb1ELi8EL8MFMAType0EEvPKT_PKT0_S8_ifPKiSA_SA_iPKfiiiPfSD_PS3_PT2_iSC_SC_
	.p2align	8
	.type	_Z39paged_attention_ll4mi_QKV_mfma16_kernelIDF16_hLN4vllm18Fp8KVCacheDataTypeE1EDF16_Li16ELi128ELi256ELb1ELi8EL8MFMAType0EEvPKT_PKT0_S8_ifPKiSA_SA_iPKfiiiPfSD_PS3_PT2_iSC_SC_,@function
_Z39paged_attention_ll4mi_QKV_mfma16_kernelIDF16_hLN4vllm18Fp8KVCacheDataTypeE1EDF16_Li16ELi128ELi256ELb1ELi8EL8MFMAType0EEvPKT_PKT0_S8_ifPKiSA_SA_iPKfiiiPfSD_PS3_PT2_iSC_SC_: ; @_Z39paged_attention_ll4mi_QKV_mfma16_kernelIDF16_hLN4vllm18Fp8KVCacheDataTypeE1EDF16_Li16ELi128ELi256ELb1ELi8EL8MFMAType0EEvPKT_PKT0_S8_ifPKiSA_SA_iPKfiiiPfSD_PS3_PT2_iSC_SC_
; %bb.0:
	s_load_dwordx2 s[6:7], s[4:5], 0x30
	s_add_u32 s0, s0, s11
	s_addc_u32 s1, s1, 0
	s_mov_b32 s26, s9
	s_mov_b64 s[14:15], 0
	s_waitcnt lgkmcnt(0)
	s_cmp_lg_u64 s[6:7], 0
	s_cselect_b64 s[12:13], -1, 0
	s_and_b64 vcc, exec, s[12:13]
	s_cbranch_vccz .LBB613_7
; %bb.1:
	s_add_i32 s16, s8, 1
	s_mov_b32 s17, 0
	s_lshl_b64 s[18:19], s[16:17], 2
	s_add_u32 s18, s6, s18
	s_mov_b32 s9, s17
	s_addc_u32 s19, s7, s19
	s_lshl_b64 s[16:17], s[8:9], 2
	s_add_u32 s16, s6, s16
	s_addc_u32 s17, s7, s17
	s_load_dword s11, s[18:19], 0x0
	s_load_dword s20, s[16:17], 0x0
	s_waitcnt lgkmcnt(0)
	s_sub_i32 s11, s11, s20
	s_cmp_eq_u32 s11, 1
	s_cselect_b64 s[16:17], -1, 0
	s_andn2_b64 vcc, exec, s[14:15]
	s_cbranch_vccnz .LBB613_3
.LBB613_2:
	s_mov_b32 s9, 0
	s_mov_b64 s[16:17], -1
.LBB613_3:
	s_andn2_b64 vcc, exec, s[16:17]
	s_cbranch_vccnz .LBB613_599
; %bb.4:
	s_load_dwordx2 s[16:17], s[4:5], 0x28
	s_lshl_b64 s[14:15], s[8:9], 2
	s_waitcnt lgkmcnt(0)
	s_add_u32 s16, s16, s14
	s_addc_u32 s17, s17, s15
	s_load_dword s33, s[16:17], 0x0
	s_lshl_b32 s20, s26, 8
	s_waitcnt lgkmcnt(0)
	s_cmp_ge_i32 s20, s33
	s_cbranch_scc1 .LBB613_599
; %bb.5:
	s_add_i32 s18, s33, 15
	s_load_dwordx2 s[16:17], s[4:5], 0x20
	s_load_dword s11, s[4:5], 0x38
	s_ashr_i32 s19, s18, 31
	v_and_b32_e32 v1, 0xcf, v0
	s_lshr_b32 s19, s19, 28
	v_add_u32_e32 v1, s20, v1
	s_add_i32 s18, s18, s19
	v_ashrrev_i32_e32 v2, 31, v1
	s_ashr_i32 s23, s18, 4
	v_lshrrev_b32_e32 v4, 28, v2
	s_add_i32 s23, s23, -1
	v_add_u32_e32 v2, v1, v4
	s_waitcnt lgkmcnt(0)
	s_mul_i32 s18, s8, s11
	s_mov_b32 s19, 0
	v_ashrrev_i32_e32 v2, 4, v2
	v_mov_b32_e32 v5, s23
	v_cmp_gt_i32_e32 vcc, s33, v1
	s_lshl_b64 s[18:19], s[18:19], 2
	v_cndmask_b32_e32 v2, v5, v2, vcc
	s_add_u32 s21, s16, s18
	v_ashrrev_i32_e32 v3, 31, v2
	s_addc_u32 s22, s17, s19
	v_lshlrev_b64 v[2:3], 2, v[2:3]
	v_mov_b32_e32 v7, s22
	v_add_co_u32_e32 v6, vcc, s21, v2
	v_or_b32_e32 v2, 16, v1
	v_addc_co_u32_e32 v7, vcc, v7, v3, vcc
	v_add_u32_e32 v3, v2, v4
	v_ashrrev_i32_e32 v3, 4, v3
	v_cmp_gt_i32_e32 vcc, s33, v2
	v_cndmask_b32_e32 v2, v5, v3, vcc
	v_ashrrev_i32_e32 v3, 31, v2
	v_lshlrev_b64 v[2:3], 2, v[2:3]
	v_mov_b32_e32 v9, s22
	v_add_co_u32_e32 v8, vcc, s21, v2
	v_or_b32_e32 v2, 32, v1
	v_addc_co_u32_e32 v9, vcc, v9, v3, vcc
	v_add_u32_e32 v3, v2, v4
	v_ashrrev_i32_e32 v3, 4, v3
	v_cmp_gt_i32_e32 vcc, s33, v2
	v_cndmask_b32_e32 v2, v5, v3, vcc
	v_ashrrev_i32_e32 v3, 31, v2
	;; [unrolled: 10-line block ×3, first 2 shown]
	v_lshlrev_b64 v[2:3], 2, v[2:3]
	v_mov_b32_e32 v1, s22
	v_add_co_u32_e32 v12, vcc, s21, v2
	v_addc_co_u32_e32 v13, vcc, v1, v3, vcc
	global_load_dword v5, v[6:7], off
	global_load_dword v4, v[8:9], off
	;; [unrolled: 1-line block ×4, first 2 shown]
	s_load_dwordx2 s[16:17], s[4:5], 0x8
	s_andn2_b64 vcc, exec, s[12:13]
	s_cbranch_vccnz .LBB613_8
; %bb.6:
	s_add_u32 s6, s6, s14
	s_addc_u32 s7, s7, s15
	s_load_dword s11, s[6:7], 0x0
	s_branch .LBB613_9
.LBB613_7:
	s_mov_b64 s[16:17], 0
	s_branch .LBB613_2
.LBB613_8:
	s_mov_b32 s11, s8
.LBB613_9:
	s_load_dwordx2 s[6:7], s[4:5], 0x10
	s_load_dwordx4 s[12:15], s[4:5], 0x48
	v_and_b32_e32 v41, 15, v0
	v_lshlrev_b32_e32 v6, 3, v41
	s_waitcnt lgkmcnt(0)
	s_movk_i32 s15, 0x80
	v_lshrrev_b32_e32 v27, 6, v0
	v_bfe_u32 v1, v0, 4, 2
	s_lshl_b32 s27, s10, 3
	v_cmp_gt_u32_e32 vcc, s15, v0
	v_lshlrev_b32_e32 v39, 1, v6
	v_lshlrev_b32_e32 v43, 4, v0
	s_and_saveexec_b64 s[18:19], vcc
	s_cbranch_execz .LBB613_11
; %bb.10:
	s_load_dwordx2 s[24:25], s[4:5], 0x0
	s_ashr_i32 s15, s12, 31
	s_mul_hi_u32 s28, s11, s12
	s_mul_i32 s15, s11, s15
	v_lshl_or_b32 v10, v27, 2, v1
	s_add_i32 s29, s28, s15
	s_mul_i32 s28, s11, s12
	s_lshl_b64 s[28:29], s[28:29], 1
	v_add_lshl_u32 v6, v10, s27, 7
	s_waitcnt lgkmcnt(0)
	s_add_u32 s11, s24, s28
	v_ashrrev_i32_e32 v7, 31, v6
	s_addc_u32 s12, s25, s29
	v_lshlrev_b64 v[6:7], 1, v[6:7]
	v_mov_b32_e32 v8, s12
	v_add_co_u32_e32 v6, vcc, s11, v6
	v_addc_co_u32_e32 v7, vcc, v8, v7, vcc
	v_add_co_u32_e32 v6, vcc, v6, v39
	v_addc_co_u32_e32 v7, vcc, 0, v7, vcc
	global_load_dwordx4 v[6:9], v[6:7], off
	v_lshlrev_b32_e32 v12, 8, v0
	v_lshlrev_b32_e32 v11, 8, v41
	v_and_b32_e32 v12, 0x600, v12
	s_movk_i32 s11, 0x800
	v_and_or_b32 v11, v11, s11, v12
	v_lshlrev_b32_e32 v10, 5, v10
	v_and_b32_e32 v12, 16, v43
	v_or3_b32 v10, v11, v10, v12
	s_waitcnt vmcnt(0)
	ds_write_b128 v10, v[6:9]
.LBB613_11:
	s_or_b64 exec, exec, s[18:19]
	s_mul_i32 s14, s10, s14
	s_add_u32 s10, s16, s14
	s_addc_u32 s11, s17, 0
	v_and_b32_e32 v6, 0xf0, v43
	v_mov_b32_e32 v7, s11
	v_add_co_u32_e32 v6, vcc, s10, v6
	v_and_b32_e32 v18, 48, v0
	v_addc_co_u32_e32 v7, vcc, 0, v7, vcc
	v_lshlrev_b32_e32 v10, 4, v18
	s_waitcnt vmcnt(3)
	v_mad_i64_i32 v[8:9], s[10:11], v5, s13, v[6:7]
	v_add_co_u32_e32 v8, vcc, v8, v10
	v_addc_co_u32_e32 v9, vcc, 0, v9, vcc
	s_waitcnt vmcnt(2)
	v_mad_i64_i32 v[4:5], s[10:11], v4, s13, v[6:7]
	v_add_co_u32_e32 v4, vcc, v4, v10
	v_addc_co_u32_e32 v5, vcc, 0, v5, vcc
	s_load_dwordx2 s[48:49], s[4:5], 0x94
	s_waitcnt lgkmcnt(0)
	s_barrier
	global_load_dwordx4 v[20:23], v[8:9], off
	global_load_dwordx4 v[28:31], v[8:9], off offset:1024
	global_load_dwordx4 v[32:35], v[4:5], off
	global_load_dwordx4 v[44:47], v[4:5], off offset:1024
	s_waitcnt vmcnt(5)
	v_mad_i64_i32 v[4:5], s[10:11], v3, s13, v[6:7]
	v_add_co_u32_e32 v4, vcc, v4, v10
	v_addc_co_u32_e32 v5, vcc, 0, v5, vcc
	s_waitcnt vmcnt(4)
	v_mad_i64_i32 v[2:3], s[10:11], v2, s13, v[6:7]
	v_add_co_u32_e32 v2, vcc, v2, v10
	v_addc_co_u32_e32 v3, vcc, 0, v3, vcc
	global_load_dwordx4 v[48:51], v[4:5], off
	global_load_dwordx4 v[52:55], v[4:5], off offset:1024
	global_load_dwordx4 v[56:59], v[2:3], off
	global_load_dwordx4 v[60:63], v[2:3], off offset:1024
	v_and_b32_e32 v2, 7, v0
	v_lshlrev_b32_e32 v2, 5, v2
	v_lshl_or_b32 v14, v1, 9, v2
	s_load_dwordx2 s[50:51], s[4:5], 0x68
	s_load_dwordx4 s[44:47], s[4:5], 0x58
	ds_read_b128 v[2:5], v14
	ds_read_b128 v[6:9], v14 offset:16
	ds_read_b128 v[10:13], v14 offset:2048
	;; [unrolled: 1-line block ×3, first 2 shown]
	s_mov_b32 s12, 0
	v_cmp_gt_u32_e32 vcc, 8, v41
	s_waitcnt vmcnt(7)
	buffer_store_dword v23, off, s[0:3], 0 offset:12
	buffer_store_dword v22, off, s[0:3], 0 offset:8
	;; [unrolled: 1-line block ×3, first 2 shown]
	buffer_store_dword v20, off, s[0:3], 0
	s_waitcnt vmcnt(10)
	buffer_store_dword v31, off, s[0:3], 0 offset:28
	buffer_store_dword v30, off, s[0:3], 0 offset:24
	buffer_store_dword v29, off, s[0:3], 0 offset:20
	buffer_store_dword v28, off, s[0:3], 0 offset:16
	s_waitcnt vmcnt(13)
	buffer_store_dword v35, off, s[0:3], 0 offset:44
	buffer_store_dword v34, off, s[0:3], 0 offset:40
	buffer_store_dword v33, off, s[0:3], 0 offset:36
	buffer_store_dword v32, off, s[0:3], 0 offset:32
	s_waitcnt vmcnt(16)
	buffer_store_dword v47, off, s[0:3], 0 offset:60
	buffer_store_dword v46, off, s[0:3], 0 offset:56
	buffer_store_dword v45, off, s[0:3], 0 offset:52
	buffer_store_dword v44, off, s[0:3], 0 offset:48
	s_waitcnt vmcnt(19)
	buffer_store_dword v51, off, s[0:3], 0 offset:76
	buffer_store_dword v50, off, s[0:3], 0 offset:72
	buffer_store_dword v49, off, s[0:3], 0 offset:68
	buffer_store_dword v48, off, s[0:3], 0 offset:64
	s_waitcnt vmcnt(22)
	buffer_store_dword v55, off, s[0:3], 0 offset:92
	buffer_store_dword v54, off, s[0:3], 0 offset:88
	buffer_store_dword v53, off, s[0:3], 0 offset:84
	buffer_store_dword v52, off, s[0:3], 0 offset:80
	s_waitcnt vmcnt(25)
	buffer_store_dword v59, off, s[0:3], 0 offset:108
	buffer_store_dword v58, off, s[0:3], 0 offset:104
	buffer_store_dword v57, off, s[0:3], 0 offset:100
	buffer_store_dword v56, off, s[0:3], 0 offset:96
	s_waitcnt vmcnt(28)
	buffer_store_dword v60, off, s[0:3], 0 offset:112
	buffer_store_dword v61, off, s[0:3], 0 offset:116
	buffer_store_dword v62, off, s[0:3], 0 offset:120
	buffer_store_dword v63, off, s[0:3], 0 offset:124
	v_mov_b32_e32 v35, 0
	v_mov_b32_e32 v31, 0
	s_and_saveexec_b64 s[10:11], vcc
	s_cbranch_execz .LBB613_13
; %bb.12:
	s_load_dwordx2 s[16:17], s[4:5], 0x40
	v_or_b32_e32 v20, s27, v41
	v_ashrrev_i32_e32 v21, 31, v20
	v_lshlrev_b64 v[20:21], 2, v[20:21]
	s_waitcnt lgkmcnt(0)
	v_mov_b32_e32 v19, s17
	v_add_co_u32_e32 v20, vcc, s16, v20
	v_addc_co_u32_e32 v21, vcc, v19, v21, vcc
	global_load_dword v31, v[20:21], off
.LBB613_13:
	s_or_b64 exec, exec, s[10:11]
	v_or_b32_e32 v22, s20, v18
	v_ashrrev_i32_e32 v18, 4, v22
	v_mov_b32_e32 v23, s23
	v_cmp_gt_i32_e32 vcc, s33, v22
	v_cndmask_b32_e32 v18, v23, v18, vcc
	v_ashrrev_i32_e32 v19, 31, v18
	v_lshlrev_b64 v[18:19], 2, v[18:19]
	v_mov_b32_e32 v20, s22
	v_add_co_u32_e32 v18, vcc, s21, v18
	v_addc_co_u32_e32 v19, vcc, v20, v19, vcc
	global_load_dword v26, v[18:19], off
	v_or_b32_e32 v18, 64, v22
	v_ashrrev_i32_e32 v19, 4, v18
	v_cmp_gt_i32_e32 vcc, s33, v18
	v_cndmask_b32_e32 v18, v23, v19, vcc
	v_ashrrev_i32_e32 v19, 31, v18
	v_lshlrev_b64 v[18:19], 2, v[18:19]
	v_add_co_u32_e32 v18, vcc, s21, v18
	v_addc_co_u32_e32 v19, vcc, v20, v19, vcc
	v_or_b32_e32 v20, 0x80, v22
	v_ashrrev_i32_e32 v21, 4, v20
	v_cmp_gt_i32_e32 vcc, s33, v20
	v_cndmask_b32_e32 v20, v23, v21, vcc
	v_ashrrev_i32_e32 v21, 31, v20
	v_lshlrev_b64 v[20:21], 2, v[20:21]
	v_mov_b32_e32 v24, s22
	v_add_co_u32_e32 v20, vcc, s21, v20
	v_addc_co_u32_e32 v21, vcc, v24, v21, vcc
	global_load_dword v28, v[18:19], off
	global_load_dword v30, v[20:21], off
	v_or_b32_e32 v18, 0xc0, v22
	v_ashrrev_i32_e32 v19, 4, v18
	v_cmp_gt_i32_e32 vcc, s33, v18
	v_cndmask_b32_e32 v18, v23, v19, vcc
	v_ashrrev_i32_e32 v19, 31, v18
	v_lshlrev_b64 v[18:19], 2, v[18:19]
	v_mov_b32_e32 v20, s22
	v_add_co_u32_e32 v18, vcc, s21, v18
	v_addc_co_u32_e32 v19, vcc, v20, v19, vcc
	global_load_dword v34, v[18:19], off
	s_add_u32 s10, s6, s14
	v_lshl_or_b32 v29, v27, 4, v41
	s_addc_u32 s6, s7, 0
	v_lshlrev_b32_e32 v18, 4, v29
	v_mov_b32_e32 v19, s6
	v_add_co_u32_e32 v22, vcc, s10, v18
	v_addc_co_u32_e32 v23, vcc, 0, v19, vcc
	v_or_b32_e32 v24, 0x400, v18
	v_mov_b32_e32 v25, s6
	v_add_co_u32_e32 v24, vcc, s10, v24
	v_addc_co_u32_e32 v25, vcc, 0, v25, vcc
	v_mov_b32_e32 v36, 0
	s_movk_i32 s14, 0x7f
	s_mov_b32 s15, 0xffffff
	v_mov_b32_e32 v37, 0x100
	v_bfrev_b32_e32 v38, 60
	s_waitcnt vmcnt(3)
	v_mad_i64_i32 v[18:19], s[6:7], v26, s13, v[22:23]
	global_load_dwordx4 v[18:21], v[18:19], off
	v_mad_i64_i32 v[32:33], s[6:7], v26, s13, v[24:25]
	global_load_dwordx4 v[52:55], v[32:33], off
	s_waitcnt vmcnt(4)
	v_mad_i64_i32 v[32:33], s[6:7], v28, s13, v[22:23]
	global_load_dwordx4 v[56:59], v[32:33], off
	s_waitcnt vmcnt(4)
	;; [unrolled: 3-line block ×3, first 2 shown]
	v_mad_i64_i32 v[22:23], s[6:7], v34, s13, v[22:23]
	global_load_dwordx4 v[64:67], v[22:23], off
	v_mad_i64_i32 v[22:23], s[6:7], v28, s13, v[24:25]
	global_load_dwordx4 v[68:71], v[22:23], off
	;; [unrolled: 2-line block ×4, first 2 shown]
	s_load_dword s6, s[4:5], 0x1c
	s_load_dwordx4 s[40:43], s[4:5], 0x80
	v_mov_b32_e32 v22, 0x80
	v_add_u32_e32 v45, 16, v22
	v_add_u32_e32 v46, 32, v22
	;; [unrolled: 1-line block ×3, first 2 shown]
	s_waitcnt lgkmcnt(0)
	s_load_dword s4, s[40:41], 0x0
	v_add_u32_e32 v51, 64, v22
	v_add_u32_e32 v48, 0x50, v22
	;; [unrolled: 1-line block ×4, first 2 shown]
	v_mov_b32_e32 v22, s6
	s_waitcnt lgkmcnt(0)
	v_mul_f32_e32 v22, s4, v22
	v_and_b32_e32 v33, 63, v0
	s_movk_i32 s13, 0x80
	v_mov_b32_e32 v24, v22
	v_mov_b32_e32 v25, v22
	s_waitcnt vmcnt(7)
	buffer_store_dword v21, off, s[0:3], 0 offset:140
	buffer_store_dword v20, off, s[0:3], 0 offset:136
	buffer_store_dword v19, off, s[0:3], 0 offset:132
	buffer_store_dword v18, off, s[0:3], 0 offset:128
	s_waitcnt vmcnt(10)
	buffer_store_dword v55, off, s[0:3], 0 offset:156
	buffer_store_dword v54, off, s[0:3], 0 offset:152
	buffer_store_dword v53, off, s[0:3], 0 offset:148
	buffer_store_dword v52, off, s[0:3], 0 offset:144
	s_waitcnt vmcnt(13)
	buffer_store_dword v59, off, s[0:3], 0 offset:172
	buffer_store_dword v58, off, s[0:3], 0 offset:168
	buffer_store_dword v57, off, s[0:3], 0 offset:164
	buffer_store_dword v56, off, s[0:3], 0 offset:160
	s_waitcnt vmcnt(16)
	buffer_store_dword v63, off, s[0:3], 0 offset:204
	buffer_store_dword v62, off, s[0:3], 0 offset:200
	buffer_store_dword v61, off, s[0:3], 0 offset:196
	buffer_store_dword v60, off, s[0:3], 0 offset:192
	s_waitcnt vmcnt(19)
	buffer_store_dword v67, off, s[0:3], 0 offset:236
	buffer_store_dword v66, off, s[0:3], 0 offset:232
	buffer_store_dword v65, off, s[0:3], 0 offset:228
	buffer_store_dword v64, off, s[0:3], 0 offset:224
	s_waitcnt vmcnt(22)
	buffer_store_dword v71, off, s[0:3], 0 offset:188
	buffer_store_dword v70, off, s[0:3], 0 offset:184
	buffer_store_dword v69, off, s[0:3], 0 offset:180
	buffer_store_dword v68, off, s[0:3], 0 offset:176
	s_waitcnt vmcnt(25)
	buffer_store_dword v75, off, s[0:3], 0 offset:220
	buffer_store_dword v74, off, s[0:3], 0 offset:216
	buffer_store_dword v73, off, s[0:3], 0 offset:212
	buffer_store_dword v72, off, s[0:3], 0 offset:208
	s_waitcnt vmcnt(28)
	buffer_store_dword v79, off, s[0:3], 0 offset:252
	buffer_store_dword v78, off, s[0:3], 0 offset:248
	buffer_store_dword v77, off, s[0:3], 0 offset:244
	buffer_store_dword v76, off, s[0:3], 0 offset:240
	s_branch .LBB613_17
.LBB613_14:                             ;   in Loop: Header=BB613_17 Depth=1
	s_or_b64 exec, exec, s[10:11]
.LBB613_15:                             ;   in Loop: Header=BB613_17 Depth=1
	s_or_b64 exec, exec, s[6:7]
.LBB613_16:                             ;   in Loop: Header=BB613_17 Depth=1
	s_or_b64 exec, exec, s[4:5]
	v_cvt_pkrtz_f16_f32 v54, v34, v32
	v_cvt_pkrtz_f16_f32 v55, v23, v42
	v_add_u32_e32 v26, s12, v37
	s_add_i32 s12, s12, 16
	v_mov_b32_e32 v23, v22
	v_mfma_f32_16x16x16f16 v[18:21], v[54:55], v[14:15], v[18:21]
	v_cvt_pkrtz_f16_f32 v54, v40, v44
	v_cvt_pkrtz_f16_f32 v55, v30, v52
	s_cmp_eq_u32 s12, 64
	v_add_u32_e32 v36, 32, v36
	v_mfma_f32_16x16x16f16 v[18:21], v[54:55], v[16:17], v[18:21]
	s_nop 7
	s_nop 2
	v_pk_mul_f32 v[18:19], v[24:25], v[18:19]
	v_pk_mul_f32 v[20:21], v[22:23], v[20:21]
	buffer_store_dword v19, v26, s[0:3], 0 offen offset:4
	buffer_store_dword v18, v26, s[0:3], 0 offen
	buffer_store_dword v21, v26, s[0:3], 0 offen offset:12
	buffer_store_dword v20, v26, s[0:3], 0 offen offset:8
	s_cbranch_scc1 .LBB613_207
.LBB613_17:                             ; =>This Inner Loop Header: Depth=1
	buffer_load_dword v20, v36, s[0:3], 0 offen
	buffer_load_dword v18, v36, s[0:3], 0 offen offset:4
	buffer_load_dword v28, v36, s[0:3], 0 offen offset:8
	;; [unrolled: 1-line block ×3, first 2 shown]
	v_mov_b32_e32 v19, 0
	v_mov_b32_e32 v21, 0
	s_waitcnt vmcnt(3)
	v_cmp_ne_u16_sdwa s[6:7], v20, v35 src0_sel:BYTE_0 src1_sel:DWORD
	s_and_saveexec_b64 s[4:5], s[6:7]
	s_cbranch_execz .LBB613_23
; %bb.18:                               ;   in Loop: Header=BB613_17 Depth=1
	v_cmp_ne_u16_sdwa s[10:11], v20, s13 src0_sel:BYTE_0 src1_sel:DWORD
	v_bfrev_b32_e32 v21, 1
	s_and_saveexec_b64 s[6:7], s[10:11]
	s_cbranch_execz .LBB613_22
; %bb.19:                               ;   in Loop: Header=BB613_17 Depth=1
	v_and_b32_e32 v23, 0x7f, v20
	v_cmp_ne_u32_e32 vcc, s14, v23
	v_mov_b32_e32 v21, 0x7f800001
	s_and_saveexec_b64 s[10:11], vcc
	s_cbranch_execz .LBB613_21
; %bb.20:                               ;   in Loop: Header=BB613_17 Depth=1
	v_and_b32_e32 v21, 7, v20
	v_ffbh_u32_e32 v32, v21
	v_min_u32_e32 v32, 32, v32
	v_subrev_u32_e32 v34, 28, v32
	v_lshlrev_b64 v[52:53], v34, v[20:21]
	v_lshrrev_b32_e32 v30, 3, v23
	v_sub_u32_e32 v32, 29, v32
	v_and_b32_e32 v34, 7, v52
	v_cmp_gt_u32_e32 vcc, 8, v23
	v_cndmask_b32_e32 v23, v30, v32, vcc
	v_cndmask_b32_e32 v21, v21, v34, vcc
	v_lshlrev_b32_e32 v30, 24, v20
	v_lshlrev_b32_e32 v21, 20, v21
	v_and_b32_e32 v30, 0x80000000, v30
	v_lshl_add_u32 v23, v23, 23, v38
	v_or3_b32 v21, v30, v23, v21
.LBB613_21:                             ;   in Loop: Header=BB613_17 Depth=1
	s_or_b64 exec, exec, s[10:11]
.LBB613_22:                             ;   in Loop: Header=BB613_17 Depth=1
	s_or_b64 exec, exec, s[6:7]
.LBB613_23:                             ;   in Loop: Header=BB613_17 Depth=1
	s_or_b64 exec, exec, s[4:5]
	v_lshrrev_b16_e32 v30, 8, v20
	v_cmp_ne_u16_e32 vcc, 0, v30
	s_and_saveexec_b64 s[4:5], vcc
	s_cbranch_execz .LBB613_29
; %bb.24:                               ;   in Loop: Header=BB613_17 Depth=1
	v_cmp_ne_u16_e32 vcc, s13, v30
	v_bfrev_b32_e32 v19, 1
	s_and_saveexec_b64 s[6:7], vcc
	s_cbranch_execz .LBB613_28
; %bb.25:                               ;   in Loop: Header=BB613_17 Depth=1
	v_and_b32_e32 v23, 0x7f, v30
	v_cmp_ne_u32_e32 vcc, s14, v23
	v_mov_b32_e32 v19, 0x7f800001
	s_and_saveexec_b64 s[10:11], vcc
	s_cbranch_execz .LBB613_27
; %bb.26:                               ;   in Loop: Header=BB613_17 Depth=1
	v_and_b32_e32 v19, 7, v30
	v_ffbh_u32_e32 v34, v19
	v_min_u32_e32 v34, 32, v34
	v_subrev_u32_e32 v40, 28, v34
	v_lshlrev_b64 v[52:53], v40, v[30:31]
	v_lshrrev_b32_e32 v32, 3, v23
	v_sub_u32_e32 v30, 29, v34
	v_and_b32_e32 v34, 7, v52
	v_cmp_gt_u32_e32 vcc, 8, v23
	v_cndmask_b32_e32 v23, v32, v30, vcc
	v_cndmask_b32_e32 v19, v19, v34, vcc
	v_lshlrev_b32_e32 v30, 16, v20
	v_lshlrev_b32_e32 v19, 20, v19
	v_and_b32_e32 v30, 0x80000000, v30
	v_lshl_add_u32 v23, v23, 23, v38
	v_or3_b32 v19, v30, v23, v19
.LBB613_27:                             ;   in Loop: Header=BB613_17 Depth=1
	s_or_b64 exec, exec, s[10:11]
.LBB613_28:                             ;   in Loop: Header=BB613_17 Depth=1
	s_or_b64 exec, exec, s[6:7]
.LBB613_29:                             ;   in Loop: Header=BB613_17 Depth=1
	s_or_b64 exec, exec, s[4:5]
	v_lshrrev_b32_e32 v30, 16, v20
	v_cmp_ne_u16_sdwa s[6:7], v30, v35 src0_sel:BYTE_0 src1_sel:DWORD
	v_mov_b32_e32 v32, 0
	v_mov_b32_e32 v23, 0
	s_and_saveexec_b64 s[4:5], s[6:7]
	s_cbranch_execz .LBB613_35
; %bb.30:                               ;   in Loop: Header=BB613_17 Depth=1
	v_cmp_ne_u16_sdwa s[10:11], v30, s13 src0_sel:BYTE_0 src1_sel:DWORD
	v_bfrev_b32_e32 v23, 1
	s_and_saveexec_b64 s[6:7], s[10:11]
	s_cbranch_execz .LBB613_34
; %bb.31:                               ;   in Loop: Header=BB613_17 Depth=1
	v_bfe_u32 v34, v20, 16, 7
	v_cmp_ne_u32_e32 vcc, s14, v34
	v_mov_b32_e32 v23, 0x7f800001
	s_and_saveexec_b64 s[10:11], vcc
	s_cbranch_execz .LBB613_33
; %bb.32:                               ;   in Loop: Header=BB613_17 Depth=1
	v_and_b32_e32 v23, 7, v30
	v_ffbh_u32_e32 v42, v23
	v_min_u32_e32 v42, 32, v42
	v_subrev_u32_e32 v44, 28, v42
	v_lshlrev_b64 v[52:53], v44, v[30:31]
	v_lshrrev_b32_e32 v40, 3, v34
	v_sub_u32_e32 v42, 29, v42
	v_and_b32_e32 v44, 7, v52
	v_cmp_gt_u32_e32 vcc, 8, v34
	v_cndmask_b32_e32 v34, v40, v42, vcc
	v_cndmask_b32_e32 v23, v23, v44, vcc
	v_lshlrev_b32_e32 v30, 24, v30
	v_lshlrev_b32_e32 v23, 20, v23
	v_and_b32_e32 v30, 0x80000000, v30
	v_lshl_add_u32 v34, v34, 23, v38
	v_or3_b32 v23, v30, v34, v23
.LBB613_33:                             ;   in Loop: Header=BB613_17 Depth=1
	s_or_b64 exec, exec, s[10:11]
.LBB613_34:                             ;   in Loop: Header=BB613_17 Depth=1
	s_or_b64 exec, exec, s[6:7]
.LBB613_35:                             ;   in Loop: Header=BB613_17 Depth=1
	s_or_b64 exec, exec, s[4:5]
	v_cmp_lt_u32_e32 vcc, s15, v20
	s_and_saveexec_b64 s[4:5], vcc
	s_cbranch_execz .LBB613_41
; %bb.36:                               ;   in Loop: Header=BB613_17 Depth=1
	v_lshrrev_b32_e32 v30, 24, v20
	v_cmp_ne_u32_e32 vcc, s13, v30
	v_bfrev_b32_e32 v32, 1
	s_and_saveexec_b64 s[6:7], vcc
	s_cbranch_execz .LBB613_40
; %bb.37:                               ;   in Loop: Header=BB613_17 Depth=1
	v_bfe_u32 v20, v20, 24, 7
	v_cmp_ne_u32_e32 vcc, s14, v20
	v_mov_b32_e32 v32, 0x7f800001
	s_and_saveexec_b64 s[10:11], vcc
	s_cbranch_execz .LBB613_39
; %bb.38:                               ;   in Loop: Header=BB613_17 Depth=1
	v_and_b32_e32 v32, 7, v30
	v_ffbh_u32_e32 v40, v32
	v_min_u32_e32 v40, 32, v40
	v_subrev_u32_e32 v42, 28, v40
	v_lshlrev_b64 v[52:53], v42, v[30:31]
	v_lshrrev_b32_e32 v34, 3, v20
	v_sub_u32_e32 v40, 29, v40
	v_and_b32_e32 v42, 7, v52
	v_cmp_gt_u32_e32 vcc, 8, v20
	v_cndmask_b32_e32 v20, v34, v40, vcc
	v_cndmask_b32_e32 v32, v32, v42, vcc
	v_lshlrev_b32_e32 v30, 24, v30
	v_lshlrev_b32_e32 v32, 20, v32
	v_and_b32_e32 v30, 0x80000000, v30
	v_lshl_add_u32 v20, v20, 23, v38
	v_or3_b32 v32, v30, v20, v32
.LBB613_39:                             ;   in Loop: Header=BB613_17 Depth=1
	s_or_b64 exec, exec, s[10:11]
.LBB613_40:                             ;   in Loop: Header=BB613_17 Depth=1
	s_or_b64 exec, exec, s[6:7]
.LBB613_41:                             ;   in Loop: Header=BB613_17 Depth=1
	s_or_b64 exec, exec, s[4:5]
	s_waitcnt vmcnt(2)
	v_cmp_ne_u16_sdwa s[6:7], v18, v35 src0_sel:BYTE_0 src1_sel:DWORD
	v_mov_b32_e32 v30, 0
	v_mov_b32_e32 v34, 0
	s_and_saveexec_b64 s[4:5], s[6:7]
	s_cbranch_execz .LBB613_47
; %bb.42:                               ;   in Loop: Header=BB613_17 Depth=1
	v_cmp_ne_u16_sdwa s[10:11], v18, s13 src0_sel:BYTE_0 src1_sel:DWORD
	v_bfrev_b32_e32 v34, 1
	s_and_saveexec_b64 s[6:7], s[10:11]
	s_cbranch_execz .LBB613_46
; %bb.43:                               ;   in Loop: Header=BB613_17 Depth=1
	v_and_b32_e32 v20, 0x7f, v18
	v_cmp_ne_u32_e32 vcc, s14, v20
	v_mov_b32_e32 v34, 0x7f800001
	s_and_saveexec_b64 s[10:11], vcc
	s_cbranch_execz .LBB613_45
; %bb.44:                               ;   in Loop: Header=BB613_17 Depth=1
	v_and_b32_e32 v34, 7, v18
	v_ffbh_u32_e32 v42, v34
	v_min_u32_e32 v42, 32, v42
	v_subrev_u32_e32 v44, 28, v42
	v_lshlrev_b64 v[52:53], v44, v[18:19]
	v_lshrrev_b32_e32 v40, 3, v20
	v_sub_u32_e32 v42, 29, v42
	v_and_b32_e32 v44, 7, v52
	v_cmp_gt_u32_e32 vcc, 8, v20
	v_cndmask_b32_e32 v20, v40, v42, vcc
	v_cndmask_b32_e32 v34, v34, v44, vcc
	v_lshlrev_b32_e32 v40, 24, v18
	v_lshlrev_b32_e32 v34, 20, v34
	v_and_b32_e32 v40, 0x80000000, v40
	v_lshl_add_u32 v20, v20, 23, v38
	v_or3_b32 v34, v40, v20, v34
.LBB613_45:                             ;   in Loop: Header=BB613_17 Depth=1
	s_or_b64 exec, exec, s[10:11]
.LBB613_46:                             ;   in Loop: Header=BB613_17 Depth=1
	s_or_b64 exec, exec, s[6:7]
.LBB613_47:                             ;   in Loop: Header=BB613_17 Depth=1
	s_or_b64 exec, exec, s[4:5]
	v_lshrrev_b16_e32 v20, 8, v18
	v_cmp_ne_u16_e32 vcc, 0, v20
	s_and_saveexec_b64 s[4:5], vcc
	s_cbranch_execz .LBB613_53
; %bb.48:                               ;   in Loop: Header=BB613_17 Depth=1
	v_cmp_ne_u16_e32 vcc, s13, v20
	v_bfrev_b32_e32 v30, 1
	s_and_saveexec_b64 s[6:7], vcc
	s_cbranch_execz .LBB613_52
; %bb.49:                               ;   in Loop: Header=BB613_17 Depth=1
	v_and_b32_e32 v40, 0x7f, v20
	v_cmp_ne_u32_e32 vcc, s14, v40
	v_mov_b32_e32 v30, 0x7f800001
	s_and_saveexec_b64 s[10:11], vcc
	s_cbranch_execz .LBB613_51
; %bb.50:                               ;   in Loop: Header=BB613_17 Depth=1
	v_and_b32_e32 v30, 7, v20
	v_ffbh_u32_e32 v44, v30
	v_min_u32_e32 v44, 32, v44
	v_subrev_u32_e32 v52, 28, v44
	v_lshlrev_b64 v[52:53], v52, v[20:21]
	v_lshrrev_b32_e32 v42, 3, v40
	v_sub_u32_e32 v20, 29, v44
	v_and_b32_e32 v44, 7, v52
	v_cmp_gt_u32_e32 vcc, 8, v40
	v_cndmask_b32_e32 v20, v42, v20, vcc
	v_cndmask_b32_e32 v30, v30, v44, vcc
	v_lshlrev_b32_e32 v40, 16, v18
	v_lshlrev_b32_e32 v30, 20, v30
	v_and_b32_e32 v40, 0x80000000, v40
	v_lshl_add_u32 v20, v20, 23, v38
	v_or3_b32 v30, v40, v20, v30
.LBB613_51:                             ;   in Loop: Header=BB613_17 Depth=1
	s_or_b64 exec, exec, s[10:11]
.LBB613_52:                             ;   in Loop: Header=BB613_17 Depth=1
	s_or_b64 exec, exec, s[6:7]
.LBB613_53:                             ;   in Loop: Header=BB613_17 Depth=1
	s_or_b64 exec, exec, s[4:5]
	v_lshrrev_b32_e32 v20, 16, v18
	v_cmp_ne_u16_sdwa s[6:7], v20, v35 src0_sel:BYTE_0 src1_sel:DWORD
	v_mov_b32_e32 v42, 0
	v_mov_b32_e32 v40, 0
	s_and_saveexec_b64 s[4:5], s[6:7]
	s_cbranch_execz .LBB613_59
; %bb.54:                               ;   in Loop: Header=BB613_17 Depth=1
	v_cmp_ne_u16_sdwa s[10:11], v20, s13 src0_sel:BYTE_0 src1_sel:DWORD
	v_bfrev_b32_e32 v40, 1
	s_and_saveexec_b64 s[6:7], s[10:11]
	s_cbranch_execz .LBB613_58
; %bb.55:                               ;   in Loop: Header=BB613_17 Depth=1
	v_bfe_u32 v44, v18, 16, 7
	v_cmp_ne_u32_e32 vcc, s14, v44
	v_mov_b32_e32 v40, 0x7f800001
	s_and_saveexec_b64 s[10:11], vcc
	s_cbranch_execz .LBB613_57
; %bb.56:                               ;   in Loop: Header=BB613_17 Depth=1
	v_and_b32_e32 v40, 7, v20
	v_ffbh_u32_e32 v52, v40
	v_min_u32_e32 v55, 32, v52
	v_subrev_u32_e32 v52, 28, v55
	v_lshlrev_b64 v[52:53], v52, v[20:21]
	v_lshrrev_b32_e32 v54, 3, v44
	v_sub_u32_e32 v53, 29, v55
	v_and_b32_e32 v52, 7, v52
	v_cmp_gt_u32_e32 vcc, 8, v44
	v_cndmask_b32_e32 v44, v54, v53, vcc
	v_cndmask_b32_e32 v40, v40, v52, vcc
	v_lshlrev_b32_e32 v20, 24, v20
	v_lshlrev_b32_e32 v40, 20, v40
	v_and_b32_e32 v20, 0x80000000, v20
	v_lshl_add_u32 v44, v44, 23, v38
	v_or3_b32 v40, v20, v44, v40
.LBB613_57:                             ;   in Loop: Header=BB613_17 Depth=1
	s_or_b64 exec, exec, s[10:11]
.LBB613_58:                             ;   in Loop: Header=BB613_17 Depth=1
	s_or_b64 exec, exec, s[6:7]
.LBB613_59:                             ;   in Loop: Header=BB613_17 Depth=1
	s_or_b64 exec, exec, s[4:5]
	v_cmp_lt_u32_e32 vcc, s15, v18
	s_and_saveexec_b64 s[4:5], vcc
	s_cbranch_execz .LBB613_65
; %bb.60:                               ;   in Loop: Header=BB613_17 Depth=1
	v_lshrrev_b32_e32 v20, 24, v18
	v_cmp_ne_u32_e32 vcc, s13, v20
	v_bfrev_b32_e32 v42, 1
	s_and_saveexec_b64 s[6:7], vcc
	s_cbranch_execz .LBB613_64
; %bb.61:                               ;   in Loop: Header=BB613_17 Depth=1
	v_bfe_u32 v18, v18, 24, 7
	v_cmp_ne_u32_e32 vcc, s14, v18
	v_mov_b32_e32 v42, 0x7f800001
	s_and_saveexec_b64 s[10:11], vcc
	s_cbranch_execz .LBB613_63
; %bb.62:                               ;   in Loop: Header=BB613_17 Depth=1
	v_and_b32_e32 v42, 7, v20
	v_ffbh_u32_e32 v52, v42
	v_min_u32_e32 v54, 32, v52
	v_subrev_u32_e32 v52, 28, v54
	v_lshlrev_b64 v[52:53], v52, v[20:21]
	v_lshrrev_b32_e32 v44, 3, v18
	v_sub_u32_e32 v53, 29, v54
	v_and_b32_e32 v52, 7, v52
	v_cmp_gt_u32_e32 vcc, 8, v18
	v_cndmask_b32_e32 v18, v44, v53, vcc
	v_cndmask_b32_e32 v42, v42, v52, vcc
	v_lshlrev_b32_e32 v20, 24, v20
	v_lshlrev_b32_e32 v42, 20, v42
	v_and_b32_e32 v20, 0x80000000, v20
	v_lshl_add_u32 v18, v18, 23, v38
	v_or3_b32 v42, v20, v18, v42
.LBB613_63:                             ;   in Loop: Header=BB613_17 Depth=1
	s_or_b64 exec, exec, s[10:11]
.LBB613_64:                             ;   in Loop: Header=BB613_17 Depth=1
	s_or_b64 exec, exec, s[6:7]
.LBB613_65:                             ;   in Loop: Header=BB613_17 Depth=1
	s_or_b64 exec, exec, s[4:5]
	v_cvt_pkrtz_f16_f32 v18, v21, v19
	v_cvt_pkrtz_f16_f32 v19, v23, v32
	;; [unrolled: 1-line block ×4, first 2 shown]
	v_mov_b32_e32 v32, 0
	v_mfma_f32_16x16x16f16 v[18:21], v[18:19], v[2:3], 0
	s_waitcnt vmcnt(1)
	v_cmp_ne_u16_sdwa s[6:7], v28, v35 src0_sel:BYTE_0 src1_sel:DWORD
	v_mov_b32_e32 v34, 0
	v_mfma_f32_16x16x16f16 v[18:21], v[52:53], v[4:5], v[18:21]
	s_and_saveexec_b64 s[4:5], s[6:7]
	s_cbranch_execz .LBB613_71
; %bb.66:                               ;   in Loop: Header=BB613_17 Depth=1
	v_cmp_ne_u16_sdwa s[10:11], v28, s13 src0_sel:BYTE_0 src1_sel:DWORD
	v_bfrev_b32_e32 v34, 1
	s_and_saveexec_b64 s[6:7], s[10:11]
	s_cbranch_execz .LBB613_70
; %bb.67:                               ;   in Loop: Header=BB613_17 Depth=1
	v_and_b32_e32 v23, 0x7f, v28
	v_cmp_ne_u32_e32 vcc, s14, v23
	v_mov_b32_e32 v34, 0x7f800001
	s_and_saveexec_b64 s[10:11], vcc
	s_cbranch_execz .LBB613_69
; %bb.68:                               ;   in Loop: Header=BB613_17 Depth=1
	v_and_b32_e32 v30, 7, v28
	v_ffbh_u32_e32 v40, v30
	v_min_u32_e32 v40, 32, v40
	v_subrev_u32_e32 v42, 28, v40
	v_lshlrev_b64 v[52:53], v42, v[28:29]
	v_lshrrev_b32_e32 v34, 3, v23
	v_sub_u32_e32 v40, 29, v40
	v_and_b32_e32 v42, 7, v52
	v_cmp_gt_u32_e32 vcc, 8, v23
	v_cndmask_b32_e32 v23, v34, v40, vcc
	v_cndmask_b32_e32 v30, v30, v42, vcc
	v_lshlrev_b32_e32 v34, 24, v28
	v_lshlrev_b32_e32 v30, 20, v30
	v_and_b32_e32 v34, 0x80000000, v34
	v_lshl_add_u32 v23, v23, 23, v38
	v_or3_b32 v34, v34, v23, v30
.LBB613_69:                             ;   in Loop: Header=BB613_17 Depth=1
	s_or_b64 exec, exec, s[10:11]
.LBB613_70:                             ;   in Loop: Header=BB613_17 Depth=1
	s_or_b64 exec, exec, s[6:7]
.LBB613_71:                             ;   in Loop: Header=BB613_17 Depth=1
	s_or_b64 exec, exec, s[4:5]
	v_lshrrev_b16_e32 v30, 8, v28
	v_cmp_ne_u16_e32 vcc, 0, v30
	v_mov_b32_e32 v40, 0
	s_and_saveexec_b64 s[4:5], vcc
	s_cbranch_execz .LBB613_77
; %bb.72:                               ;   in Loop: Header=BB613_17 Depth=1
	v_cmp_ne_u16_e32 vcc, s13, v30
	v_bfrev_b32_e32 v40, 1
	s_and_saveexec_b64 s[6:7], vcc
	s_cbranch_execz .LBB613_76
; %bb.73:                               ;   in Loop: Header=BB613_17 Depth=1
	v_and_b32_e32 v23, 0x7f, v30
	v_cmp_ne_u32_e32 vcc, s14, v23
	v_mov_b32_e32 v40, 0x7f800001
	s_and_saveexec_b64 s[10:11], vcc
	s_cbranch_execz .LBB613_75
; %bb.74:                               ;   in Loop: Header=BB613_17 Depth=1
	v_and_b32_e32 v40, 7, v30
	v_ffbh_u32_e32 v44, v40
	v_min_u32_e32 v44, 32, v44
	v_subrev_u32_e32 v52, 28, v44
	v_lshlrev_b64 v[52:53], v52, v[30:31]
	v_lshrrev_b32_e32 v42, 3, v23
	v_sub_u32_e32 v30, 29, v44
	v_and_b32_e32 v44, 7, v52
	v_cmp_gt_u32_e32 vcc, 8, v23
	v_cndmask_b32_e32 v23, v42, v30, vcc
	v_cndmask_b32_e32 v30, v40, v44, vcc
	v_lshlrev_b32_e32 v40, 16, v28
	v_lshlrev_b32_e32 v30, 20, v30
	v_and_b32_e32 v40, 0x80000000, v40
	v_lshl_add_u32 v23, v23, 23, v38
	v_or3_b32 v40, v40, v23, v30
.LBB613_75:                             ;   in Loop: Header=BB613_17 Depth=1
	s_or_b64 exec, exec, s[10:11]
.LBB613_76:                             ;   in Loop: Header=BB613_17 Depth=1
	s_or_b64 exec, exec, s[6:7]
.LBB613_77:                             ;   in Loop: Header=BB613_17 Depth=1
	s_or_b64 exec, exec, s[4:5]
	v_lshrrev_b32_e32 v30, 16, v28
	v_cmp_ne_u16_sdwa s[6:7], v30, v35 src0_sel:BYTE_0 src1_sel:DWORD
	s_and_saveexec_b64 s[4:5], s[6:7]
	s_cbranch_execz .LBB613_83
; %bb.78:                               ;   in Loop: Header=BB613_17 Depth=1
	v_cmp_ne_u16_sdwa s[10:11], v30, s13 src0_sel:BYTE_0 src1_sel:DWORD
	v_bfrev_b32_e32 v32, 1
	s_and_saveexec_b64 s[6:7], s[10:11]
	s_cbranch_execz .LBB613_82
; %bb.79:                               ;   in Loop: Header=BB613_17 Depth=1
	v_bfe_u32 v23, v28, 16, 7
	v_cmp_ne_u32_e32 vcc, s14, v23
	v_mov_b32_e32 v32, 0x7f800001
	s_and_saveexec_b64 s[10:11], vcc
	s_cbranch_execz .LBB613_81
; %bb.80:                               ;   in Loop: Header=BB613_17 Depth=1
	v_and_b32_e32 v32, 7, v30
	v_ffbh_u32_e32 v44, v32
	v_min_u32_e32 v44, 32, v44
	v_subrev_u32_e32 v52, 28, v44
	v_lshlrev_b64 v[52:53], v52, v[30:31]
	v_lshrrev_b32_e32 v42, 3, v23
	v_sub_u32_e32 v44, 29, v44
	v_and_b32_e32 v52, 7, v52
	v_cmp_gt_u32_e32 vcc, 8, v23
	v_cndmask_b32_e32 v23, v42, v44, vcc
	v_cndmask_b32_e32 v32, v32, v52, vcc
	v_lshlrev_b32_e32 v30, 24, v30
	v_lshlrev_b32_e32 v32, 20, v32
	v_and_b32_e32 v30, 0x80000000, v30
	v_lshl_add_u32 v23, v23, 23, v38
	v_or3_b32 v32, v30, v23, v32
.LBB613_81:                             ;   in Loop: Header=BB613_17 Depth=1
	s_or_b64 exec, exec, s[10:11]
.LBB613_82:                             ;   in Loop: Header=BB613_17 Depth=1
	s_or_b64 exec, exec, s[6:7]
.LBB613_83:                             ;   in Loop: Header=BB613_17 Depth=1
	s_or_b64 exec, exec, s[4:5]
	v_cmp_lt_u32_e32 vcc, s15, v28
	v_mov_b32_e32 v42, 0
	v_mov_b32_e32 v44, 0
	s_and_saveexec_b64 s[4:5], vcc
	s_cbranch_execz .LBB613_89
; %bb.84:                               ;   in Loop: Header=BB613_17 Depth=1
	v_lshrrev_b32_e32 v30, 24, v28
	v_cmp_ne_u32_e32 vcc, s13, v30
	v_bfrev_b32_e32 v44, 1
	s_and_saveexec_b64 s[6:7], vcc
	s_cbranch_execz .LBB613_88
; %bb.85:                               ;   in Loop: Header=BB613_17 Depth=1
	v_bfe_u32 v23, v28, 24, 7
	v_cmp_ne_u32_e32 vcc, s14, v23
	v_mov_b32_e32 v44, 0x7f800001
	s_and_saveexec_b64 s[10:11], vcc
	s_cbranch_execz .LBB613_87
; %bb.86:                               ;   in Loop: Header=BB613_17 Depth=1
	v_and_b32_e32 v28, 7, v30
	v_ffbh_u32_e32 v52, v28
	v_min_u32_e32 v54, 32, v52
	v_subrev_u32_e32 v52, 28, v54
	v_lshlrev_b64 v[52:53], v52, v[30:31]
	v_lshrrev_b32_e32 v44, 3, v23
	v_sub_u32_e32 v53, 29, v54
	v_and_b32_e32 v52, 7, v52
	v_cmp_gt_u32_e32 vcc, 8, v23
	v_cndmask_b32_e32 v23, v44, v53, vcc
	v_cndmask_b32_e32 v28, v28, v52, vcc
	v_lshlrev_b32_e32 v30, 24, v30
	v_lshlrev_b32_e32 v28, 20, v28
	v_and_b32_e32 v30, 0x80000000, v30
	v_lshl_add_u32 v23, v23, 23, v38
	v_or3_b32 v44, v30, v23, v28
.LBB613_87:                             ;   in Loop: Header=BB613_17 Depth=1
	s_or_b64 exec, exec, s[10:11]
.LBB613_88:                             ;   in Loop: Header=BB613_17 Depth=1
	s_or_b64 exec, exec, s[6:7]
.LBB613_89:                             ;   in Loop: Header=BB613_17 Depth=1
	s_or_b64 exec, exec, s[4:5]
	s_waitcnt vmcnt(0)
	v_cmp_ne_u16_sdwa s[6:7], v26, v35 src0_sel:BYTE_0 src1_sel:DWORD
	s_and_saveexec_b64 s[4:5], s[6:7]
	s_cbranch_execz .LBB613_95
; %bb.90:                               ;   in Loop: Header=BB613_17 Depth=1
	v_cmp_ne_u16_sdwa s[10:11], v26, s13 src0_sel:BYTE_0 src1_sel:DWORD
	v_bfrev_b32_e32 v42, 1
	s_and_saveexec_b64 s[6:7], s[10:11]
	s_cbranch_execz .LBB613_94
; %bb.91:                               ;   in Loop: Header=BB613_17 Depth=1
	v_and_b32_e32 v23, 0x7f, v26
	v_cmp_ne_u32_e32 vcc, s14, v23
	v_mov_b32_e32 v42, 0x7f800001
	s_and_saveexec_b64 s[10:11], vcc
	s_cbranch_execz .LBB613_93
; %bb.92:                               ;   in Loop: Header=BB613_17 Depth=1
	v_and_b32_e32 v28, 7, v26
	v_ffbh_u32_e32 v42, v28
	v_min_u32_e32 v42, 32, v42
	v_subrev_u32_e32 v52, 28, v42
	v_lshlrev_b64 v[52:53], v52, v[26:27]
	v_lshrrev_b32_e32 v30, 3, v23
	v_sub_u32_e32 v42, 29, v42
	v_and_b32_e32 v52, 7, v52
	v_cmp_gt_u32_e32 vcc, 8, v23
	v_cndmask_b32_e32 v23, v30, v42, vcc
	v_cndmask_b32_e32 v28, v28, v52, vcc
	v_lshlrev_b32_e32 v30, 24, v26
	v_lshlrev_b32_e32 v28, 20, v28
	v_and_b32_e32 v30, 0x80000000, v30
	v_lshl_add_u32 v23, v23, 23, v38
	v_or3_b32 v42, v30, v23, v28
.LBB613_93:                             ;   in Loop: Header=BB613_17 Depth=1
	s_or_b64 exec, exec, s[10:11]
.LBB613_94:                             ;   in Loop: Header=BB613_17 Depth=1
	s_or_b64 exec, exec, s[6:7]
.LBB613_95:                             ;   in Loop: Header=BB613_17 Depth=1
	s_or_b64 exec, exec, s[4:5]
	v_lshrrev_b16_e32 v28, 8, v26
	v_cmp_ne_u16_e32 vcc, 0, v28
	v_mov_b32_e32 v52, 0
	v_mov_b32_e32 v53, 0
	s_and_saveexec_b64 s[4:5], vcc
	s_cbranch_execz .LBB613_101
; %bb.96:                               ;   in Loop: Header=BB613_17 Depth=1
	v_cmp_ne_u16_e32 vcc, s13, v28
	v_bfrev_b32_e32 v53, 1
	s_and_saveexec_b64 s[6:7], vcc
	s_cbranch_execz .LBB613_100
; %bb.97:                               ;   in Loop: Header=BB613_17 Depth=1
	v_and_b32_e32 v23, 0x7f, v28
	v_cmp_ne_u32_e32 vcc, s14, v23
	v_mov_b32_e32 v53, 0x7f800001
	s_and_saveexec_b64 s[10:11], vcc
	s_cbranch_execz .LBB613_99
; %bb.98:                               ;   in Loop: Header=BB613_17 Depth=1
	v_and_b32_e32 v30, 7, v28
	v_ffbh_u32_e32 v54, v30
	v_min_u32_e32 v56, 32, v54
	v_subrev_u32_e32 v54, 28, v56
	v_lshlrev_b64 v[54:55], v54, v[28:29]
	v_lshrrev_b32_e32 v53, 3, v23
	v_sub_u32_e32 v28, 29, v56
	v_and_b32_e32 v54, 7, v54
	v_cmp_gt_u32_e32 vcc, 8, v23
	v_cndmask_b32_e32 v23, v53, v28, vcc
	v_cndmask_b32_e32 v28, v30, v54, vcc
	v_lshlrev_b32_e32 v30, 16, v26
	v_lshlrev_b32_e32 v28, 20, v28
	v_and_b32_e32 v30, 0x80000000, v30
	v_lshl_add_u32 v23, v23, 23, v38
	v_or3_b32 v53, v30, v23, v28
.LBB613_99:                             ;   in Loop: Header=BB613_17 Depth=1
	s_or_b64 exec, exec, s[10:11]
.LBB613_100:                            ;   in Loop: Header=BB613_17 Depth=1
	s_or_b64 exec, exec, s[6:7]
.LBB613_101:                            ;   in Loop: Header=BB613_17 Depth=1
	s_or_b64 exec, exec, s[4:5]
	v_lshrrev_b32_e32 v28, 16, v26
	v_cmp_ne_u16_sdwa s[6:7], v28, v35 src0_sel:BYTE_0 src1_sel:DWORD
	s_and_saveexec_b64 s[4:5], s[6:7]
	s_cbranch_execz .LBB613_107
; %bb.102:                              ;   in Loop: Header=BB613_17 Depth=1
	v_cmp_ne_u16_sdwa s[10:11], v28, s13 src0_sel:BYTE_0 src1_sel:DWORD
	v_bfrev_b32_e32 v52, 1
	s_and_saveexec_b64 s[6:7], s[10:11]
	s_cbranch_execz .LBB613_106
; %bb.103:                              ;   in Loop: Header=BB613_17 Depth=1
	v_bfe_u32 v23, v26, 16, 7
	v_cmp_ne_u32_e32 vcc, s14, v23
	v_mov_b32_e32 v52, 0x7f800001
	s_and_saveexec_b64 s[10:11], vcc
	s_cbranch_execz .LBB613_105
; %bb.104:                              ;   in Loop: Header=BB613_17 Depth=1
	v_and_b32_e32 v30, 7, v28
	v_ffbh_u32_e32 v54, v30
	v_min_u32_e32 v56, 32, v54
	v_subrev_u32_e32 v54, 28, v56
	v_lshlrev_b64 v[54:55], v54, v[28:29]
	v_lshrrev_b32_e32 v52, 3, v23
	v_sub_u32_e32 v55, 29, v56
	v_and_b32_e32 v54, 7, v54
	v_cmp_gt_u32_e32 vcc, 8, v23
	v_cndmask_b32_e32 v23, v52, v55, vcc
	v_cndmask_b32_e32 v30, v30, v54, vcc
	v_lshlrev_b32_e32 v28, 24, v28
	v_lshlrev_b32_e32 v30, 20, v30
	v_and_b32_e32 v28, 0x80000000, v28
	v_lshl_add_u32 v23, v23, 23, v38
	v_or3_b32 v52, v28, v23, v30
.LBB613_105:                            ;   in Loop: Header=BB613_17 Depth=1
	s_or_b64 exec, exec, s[10:11]
.LBB613_106:                            ;   in Loop: Header=BB613_17 Depth=1
	s_or_b64 exec, exec, s[6:7]
.LBB613_107:                            ;   in Loop: Header=BB613_17 Depth=1
	s_or_b64 exec, exec, s[4:5]
	v_cmp_lt_u32_e32 vcc, s15, v26
	v_mov_b32_e32 v23, 0
	v_mov_b32_e32 v54, 0
	s_and_saveexec_b64 s[4:5], vcc
	s_cbranch_execz .LBB613_113
; %bb.108:                              ;   in Loop: Header=BB613_17 Depth=1
	v_lshrrev_b32_e32 v28, 24, v26
	v_cmp_ne_u32_e32 vcc, s13, v28
	v_bfrev_b32_e32 v54, 1
	s_and_saveexec_b64 s[6:7], vcc
	s_cbranch_execz .LBB613_112
; %bb.109:                              ;   in Loop: Header=BB613_17 Depth=1
	v_bfe_u32 v26, v26, 24, 7
	v_cmp_ne_u32_e32 vcc, s14, v26
	v_mov_b32_e32 v54, 0x7f800001
	s_and_saveexec_b64 s[10:11], vcc
	s_cbranch_execz .LBB613_111
; %bb.110:                              ;   in Loop: Header=BB613_17 Depth=1
	v_and_b32_e32 v30, 7, v28
	v_ffbh_u32_e32 v54, v30
	v_min_u32_e32 v57, 32, v54
	v_subrev_u32_e32 v54, 28, v57
	v_lshlrev_b64 v[54:55], v54, v[28:29]
	v_lshrrev_b32_e32 v56, 3, v26
	v_sub_u32_e32 v55, 29, v57
	v_and_b32_e32 v54, 7, v54
	v_cmp_gt_u32_e32 vcc, 8, v26
	v_cndmask_b32_e32 v26, v56, v55, vcc
	v_cndmask_b32_e32 v30, v30, v54, vcc
	v_lshlrev_b32_e32 v28, 24, v28
	v_lshlrev_b32_e32 v30, 20, v30
	v_and_b32_e32 v28, 0x80000000, v28
	v_lshl_add_u32 v26, v26, 23, v38
	v_or3_b32 v54, v28, v26, v30
.LBB613_111:                            ;   in Loop: Header=BB613_17 Depth=1
	s_or_b64 exec, exec, s[10:11]
.LBB613_112:                            ;   in Loop: Header=BB613_17 Depth=1
	s_or_b64 exec, exec, s[6:7]
.LBB613_113:                            ;   in Loop: Header=BB613_17 Depth=1
	s_or_b64 exec, exec, s[4:5]
	v_cvt_pkrtz_f16_f32 v57, v32, v44
	buffer_load_dword v32, v36, s[0:3], 0 offen offset:16
	buffer_load_dword v30, v36, s[0:3], 0 offen offset:20
	;; [unrolled: 1-line block ×4, first 2 shown]
	v_cvt_pkrtz_f16_f32 v56, v34, v40
	s_waitcnt vmcnt(3)
	v_cmp_ne_u16_sdwa s[6:7], v32, v35 src0_sel:BYTE_0 src1_sel:DWORD
	v_mfma_f32_16x16x16f16 v[18:21], v[56:57], v[6:7], v[18:21]
	v_cvt_pkrtz_f16_f32 v56, v42, v53
	v_cvt_pkrtz_f16_f32 v57, v52, v54
	s_nop 1
	v_mfma_f32_16x16x16f16 v[18:21], v[56:57], v[8:9], v[18:21]
	s_and_saveexec_b64 s[4:5], s[6:7]
	s_cbranch_execz .LBB613_119
; %bb.114:                              ;   in Loop: Header=BB613_17 Depth=1
	v_cmp_ne_u16_sdwa s[10:11], v32, s13 src0_sel:BYTE_0 src1_sel:DWORD
	v_bfrev_b32_e32 v23, 1
	s_and_saveexec_b64 s[6:7], s[10:11]
	s_cbranch_execz .LBB613_118
; %bb.115:                              ;   in Loop: Header=BB613_17 Depth=1
	v_and_b32_e32 v34, 0x7f, v32
	v_cmp_ne_u32_e32 vcc, s14, v34
	v_mov_b32_e32 v23, 0x7f800001
	s_and_saveexec_b64 s[10:11], vcc
	s_cbranch_execz .LBB613_117
; %bb.116:                              ;   in Loop: Header=BB613_17 Depth=1
	v_and_b32_e32 v23, 7, v32
	v_ffbh_u32_e32 v42, v23
	v_min_u32_e32 v42, 32, v42
	v_subrev_u32_e32 v44, 28, v42
	v_lshlrev_b64 v[52:53], v44, v[32:33]
	v_lshrrev_b32_e32 v40, 3, v34
	v_sub_u32_e32 v42, 29, v42
	v_and_b32_e32 v44, 7, v52
	v_cmp_gt_u32_e32 vcc, 8, v34
	v_cndmask_b32_e32 v34, v40, v42, vcc
	v_cndmask_b32_e32 v23, v23, v44, vcc
	v_lshlrev_b32_e32 v40, 24, v32
	v_lshlrev_b32_e32 v23, 20, v23
	v_and_b32_e32 v40, 0x80000000, v40
	v_lshl_add_u32 v34, v34, 23, v38
	v_or3_b32 v23, v40, v34, v23
.LBB613_117:                            ;   in Loop: Header=BB613_17 Depth=1
	s_or_b64 exec, exec, s[10:11]
.LBB613_118:                            ;   in Loop: Header=BB613_17 Depth=1
	s_or_b64 exec, exec, s[6:7]
.LBB613_119:                            ;   in Loop: Header=BB613_17 Depth=1
	s_or_b64 exec, exec, s[4:5]
	v_lshrrev_b16_e32 v34, 8, v32
	v_cmp_ne_u16_e32 vcc, 0, v34
	v_mov_b32_e32 v40, 0
	v_mov_b32_e32 v42, 0
	s_and_saveexec_b64 s[4:5], vcc
	s_cbranch_execz .LBB613_125
; %bb.120:                              ;   in Loop: Header=BB613_17 Depth=1
	v_cmp_ne_u16_e32 vcc, s13, v34
	v_bfrev_b32_e32 v42, 1
	s_and_saveexec_b64 s[6:7], vcc
	s_cbranch_execz .LBB613_124
; %bb.121:                              ;   in Loop: Header=BB613_17 Depth=1
	v_and_b32_e32 v44, 0x7f, v34
	v_cmp_ne_u32_e32 vcc, s14, v44
	v_mov_b32_e32 v42, 0x7f800001
	s_and_saveexec_b64 s[10:11], vcc
	s_cbranch_execz .LBB613_123
; %bb.122:                              ;   in Loop: Header=BB613_17 Depth=1
	v_and_b32_e32 v42, 7, v34
	v_ffbh_u32_e32 v52, v42
	v_min_u32_e32 v55, 32, v52
	v_subrev_u32_e32 v52, 28, v55
	v_lshlrev_b64 v[52:53], v52, v[34:35]
	v_lshrrev_b32_e32 v54, 3, v44
	v_sub_u32_e32 v34, 29, v55
	v_and_b32_e32 v52, 7, v52
	v_cmp_gt_u32_e32 vcc, 8, v44
	v_cndmask_b32_e32 v34, v54, v34, vcc
	v_cndmask_b32_e32 v42, v42, v52, vcc
	v_lshlrev_b32_e32 v44, 16, v32
	v_lshlrev_b32_e32 v42, 20, v42
	v_and_b32_e32 v44, 0x80000000, v44
	v_lshl_add_u32 v34, v34, 23, v38
	v_or3_b32 v42, v44, v34, v42
.LBB613_123:                            ;   in Loop: Header=BB613_17 Depth=1
	s_or_b64 exec, exec, s[10:11]
.LBB613_124:                            ;   in Loop: Header=BB613_17 Depth=1
	s_or_b64 exec, exec, s[6:7]
.LBB613_125:                            ;   in Loop: Header=BB613_17 Depth=1
	s_or_b64 exec, exec, s[4:5]
	v_lshrrev_b32_e32 v34, 16, v32
	v_cmp_ne_u16_sdwa s[6:7], v34, v35 src0_sel:BYTE_0 src1_sel:DWORD
	s_and_saveexec_b64 s[4:5], s[6:7]
	s_cbranch_execz .LBB613_131
; %bb.126:                              ;   in Loop: Header=BB613_17 Depth=1
	v_cmp_ne_u16_sdwa s[10:11], v34, s13 src0_sel:BYTE_0 src1_sel:DWORD
	v_bfrev_b32_e32 v40, 1
	s_and_saveexec_b64 s[6:7], s[10:11]
	s_cbranch_execz .LBB613_130
; %bb.127:                              ;   in Loop: Header=BB613_17 Depth=1
	v_bfe_u32 v44, v32, 16, 7
	v_cmp_ne_u32_e32 vcc, s14, v44
	v_mov_b32_e32 v40, 0x7f800001
	s_and_saveexec_b64 s[10:11], vcc
	s_cbranch_execz .LBB613_129
; %bb.128:                              ;   in Loop: Header=BB613_17 Depth=1
	v_and_b32_e32 v40, 7, v34
	v_ffbh_u32_e32 v52, v40
	v_min_u32_e32 v55, 32, v52
	v_subrev_u32_e32 v52, 28, v55
	v_lshlrev_b64 v[52:53], v52, v[34:35]
	v_lshrrev_b32_e32 v54, 3, v44
	v_sub_u32_e32 v53, 29, v55
	v_and_b32_e32 v52, 7, v52
	v_cmp_gt_u32_e32 vcc, 8, v44
	v_cndmask_b32_e32 v44, v54, v53, vcc
	v_cndmask_b32_e32 v40, v40, v52, vcc
	v_lshlrev_b32_e32 v34, 24, v34
	v_lshlrev_b32_e32 v40, 20, v40
	v_and_b32_e32 v34, 0x80000000, v34
	v_lshl_add_u32 v44, v44, 23, v38
	v_or3_b32 v40, v34, v44, v40
.LBB613_129:                            ;   in Loop: Header=BB613_17 Depth=1
	s_or_b64 exec, exec, s[10:11]
.LBB613_130:                            ;   in Loop: Header=BB613_17 Depth=1
	s_or_b64 exec, exec, s[6:7]
.LBB613_131:                            ;   in Loop: Header=BB613_17 Depth=1
	s_or_b64 exec, exec, s[4:5]
	v_cmp_lt_u32_e32 vcc, s15, v32
	v_mov_b32_e32 v44, 0
	v_mov_b32_e32 v52, 0
	s_and_saveexec_b64 s[4:5], vcc
	s_cbranch_execz .LBB613_137
; %bb.132:                              ;   in Loop: Header=BB613_17 Depth=1
	v_lshrrev_b32_e32 v34, 24, v32
	v_cmp_ne_u32_e32 vcc, s13, v34
	v_bfrev_b32_e32 v52, 1
	s_and_saveexec_b64 s[6:7], vcc
	s_cbranch_execz .LBB613_136
; %bb.133:                              ;   in Loop: Header=BB613_17 Depth=1
	v_bfe_u32 v32, v32, 24, 7
	v_cmp_ne_u32_e32 vcc, s14, v32
	v_mov_b32_e32 v52, 0x7f800001
	s_and_saveexec_b64 s[10:11], vcc
	s_cbranch_execz .LBB613_135
; %bb.134:                              ;   in Loop: Header=BB613_17 Depth=1
	v_and_b32_e32 v54, 7, v34
	v_ffbh_u32_e32 v52, v54
	v_min_u32_e32 v56, 32, v52
	v_subrev_u32_e32 v52, 28, v56
	v_lshlrev_b64 v[52:53], v52, v[34:35]
	v_lshrrev_b32_e32 v55, 3, v32
	v_sub_u32_e32 v53, 29, v56
	v_and_b32_e32 v52, 7, v52
	v_cmp_gt_u32_e32 vcc, 8, v32
	v_cndmask_b32_e32 v32, v55, v53, vcc
	v_cndmask_b32_e32 v52, v54, v52, vcc
	v_lshlrev_b32_e32 v34, 24, v34
	v_lshlrev_b32_e32 v52, 20, v52
	v_and_b32_e32 v34, 0x80000000, v34
	v_lshl_add_u32 v32, v32, 23, v38
	v_or3_b32 v52, v34, v32, v52
.LBB613_135:                            ;   in Loop: Header=BB613_17 Depth=1
	s_or_b64 exec, exec, s[10:11]
.LBB613_136:                            ;   in Loop: Header=BB613_17 Depth=1
	s_or_b64 exec, exec, s[6:7]
.LBB613_137:                            ;   in Loop: Header=BB613_17 Depth=1
	s_or_b64 exec, exec, s[4:5]
	s_waitcnt vmcnt(2)
	v_cmp_ne_u16_sdwa s[6:7], v30, v35 src0_sel:BYTE_0 src1_sel:DWORD
	s_and_saveexec_b64 s[4:5], s[6:7]
	s_cbranch_execz .LBB613_143
; %bb.138:                              ;   in Loop: Header=BB613_17 Depth=1
	v_cmp_ne_u16_sdwa s[10:11], v30, s13 src0_sel:BYTE_0 src1_sel:DWORD
	v_bfrev_b32_e32 v44, 1
	s_and_saveexec_b64 s[6:7], s[10:11]
	s_cbranch_execz .LBB613_142
; %bb.139:                              ;   in Loop: Header=BB613_17 Depth=1
	v_and_b32_e32 v32, 0x7f, v30
	v_cmp_ne_u32_e32 vcc, s14, v32
	v_mov_b32_e32 v44, 0x7f800001
	s_and_saveexec_b64 s[10:11], vcc
	s_cbranch_execz .LBB613_141
; %bb.140:                              ;   in Loop: Header=BB613_17 Depth=1
	v_and_b32_e32 v34, 7, v30
	v_ffbh_u32_e32 v53, v34
	v_min_u32_e32 v53, 32, v53
	v_subrev_u32_e32 v54, 28, v53
	v_lshlrev_b64 v[54:55], v54, v[30:31]
	v_lshrrev_b32_e32 v44, 3, v32
	v_sub_u32_e32 v53, 29, v53
	v_and_b32_e32 v54, 7, v54
	v_cmp_gt_u32_e32 vcc, 8, v32
	v_cndmask_b32_e32 v32, v44, v53, vcc
	v_cndmask_b32_e32 v34, v34, v54, vcc
	v_lshlrev_b32_e32 v44, 24, v30
	v_lshlrev_b32_e32 v34, 20, v34
	v_and_b32_e32 v44, 0x80000000, v44
	v_lshl_add_u32 v32, v32, 23, v38
	v_or3_b32 v44, v44, v32, v34
.LBB613_141:                            ;   in Loop: Header=BB613_17 Depth=1
	s_or_b64 exec, exec, s[10:11]
.LBB613_142:                            ;   in Loop: Header=BB613_17 Depth=1
	s_or_b64 exec, exec, s[6:7]
.LBB613_143:                            ;   in Loop: Header=BB613_17 Depth=1
	s_or_b64 exec, exec, s[4:5]
	v_lshrrev_b16_e32 v32, 8, v30
	v_cmp_ne_u16_e32 vcc, 0, v32
	v_mov_b32_e32 v53, 0
	v_mov_b32_e32 v54, 0
	s_and_saveexec_b64 s[4:5], vcc
	s_cbranch_execz .LBB613_149
; %bb.144:                              ;   in Loop: Header=BB613_17 Depth=1
	v_cmp_ne_u16_e32 vcc, s13, v32
	v_bfrev_b32_e32 v54, 1
	s_and_saveexec_b64 s[6:7], vcc
	s_cbranch_execz .LBB613_148
; %bb.145:                              ;   in Loop: Header=BB613_17 Depth=1
	v_and_b32_e32 v34, 0x7f, v32
	v_cmp_ne_u32_e32 vcc, s14, v34
	v_mov_b32_e32 v54, 0x7f800001
	s_and_saveexec_b64 s[10:11], vcc
	s_cbranch_execz .LBB613_147
; %bb.146:                              ;   in Loop: Header=BB613_17 Depth=1
	v_and_b32_e32 v56, 7, v32
	v_ffbh_u32_e32 v54, v56
	v_min_u32_e32 v58, 32, v54
	v_subrev_u32_e32 v54, 28, v58
	v_lshlrev_b64 v[54:55], v54, v[32:33]
	v_lshrrev_b32_e32 v57, 3, v34
	v_sub_u32_e32 v32, 29, v58
	v_and_b32_e32 v54, 7, v54
	v_cmp_gt_u32_e32 vcc, 8, v34
	v_cndmask_b32_e32 v32, v57, v32, vcc
	v_cndmask_b32_e32 v34, v56, v54, vcc
	v_lshlrev_b32_e32 v54, 16, v30
	v_lshlrev_b32_e32 v34, 20, v34
	v_and_b32_e32 v54, 0x80000000, v54
	v_lshl_add_u32 v32, v32, 23, v38
	v_or3_b32 v54, v54, v32, v34
.LBB613_147:                            ;   in Loop: Header=BB613_17 Depth=1
	s_or_b64 exec, exec, s[10:11]
.LBB613_148:                            ;   in Loop: Header=BB613_17 Depth=1
	s_or_b64 exec, exec, s[6:7]
.LBB613_149:                            ;   in Loop: Header=BB613_17 Depth=1
	s_or_b64 exec, exec, s[4:5]
	v_lshrrev_b32_e32 v32, 16, v30
	v_cmp_ne_u16_sdwa s[6:7], v32, v35 src0_sel:BYTE_0 src1_sel:DWORD
	s_and_saveexec_b64 s[4:5], s[6:7]
	s_cbranch_execz .LBB613_155
; %bb.150:                              ;   in Loop: Header=BB613_17 Depth=1
	v_cmp_ne_u16_sdwa s[10:11], v32, s13 src0_sel:BYTE_0 src1_sel:DWORD
	v_bfrev_b32_e32 v53, 1
	s_and_saveexec_b64 s[6:7], s[10:11]
	s_cbranch_execz .LBB613_154
; %bb.151:                              ;   in Loop: Header=BB613_17 Depth=1
	v_bfe_u32 v34, v30, 16, 7
	v_cmp_ne_u32_e32 vcc, s14, v34
	v_mov_b32_e32 v53, 0x7f800001
	s_and_saveexec_b64 s[10:11], vcc
	s_cbranch_execz .LBB613_153
; %bb.152:                              ;   in Loop: Header=BB613_17 Depth=1
	v_and_b32_e32 v53, 7, v32
	v_ffbh_u32_e32 v56, v53
	v_min_u32_e32 v58, 32, v56
	v_subrev_u32_e32 v56, 28, v58
	v_lshlrev_b64 v[56:57], v56, v[32:33]
	v_lshrrev_b32_e32 v55, 3, v34
	v_sub_u32_e32 v57, 29, v58
	v_and_b32_e32 v56, 7, v56
	v_cmp_gt_u32_e32 vcc, 8, v34
	v_cndmask_b32_e32 v34, v55, v57, vcc
	v_cndmask_b32_e32 v53, v53, v56, vcc
	v_lshlrev_b32_e32 v32, 24, v32
	v_lshlrev_b32_e32 v53, 20, v53
	v_and_b32_e32 v32, 0x80000000, v32
	v_lshl_add_u32 v34, v34, 23, v38
	v_or3_b32 v53, v32, v34, v53
.LBB613_153:                            ;   in Loop: Header=BB613_17 Depth=1
	s_or_b64 exec, exec, s[10:11]
.LBB613_154:                            ;   in Loop: Header=BB613_17 Depth=1
	s_or_b64 exec, exec, s[6:7]
.LBB613_155:                            ;   in Loop: Header=BB613_17 Depth=1
	s_or_b64 exec, exec, s[4:5]
	v_cmp_lt_u32_e32 vcc, s15, v30
	v_mov_b32_e32 v34, 0
	v_mov_b32_e32 v55, 0
	s_and_saveexec_b64 s[4:5], vcc
	s_cbranch_execz .LBB613_161
; %bb.156:                              ;   in Loop: Header=BB613_17 Depth=1
	v_lshrrev_b32_e32 v32, 24, v30
	v_cmp_ne_u32_e32 vcc, s13, v32
	v_bfrev_b32_e32 v55, 1
	s_and_saveexec_b64 s[6:7], vcc
	s_cbranch_execz .LBB613_160
; %bb.157:                              ;   in Loop: Header=BB613_17 Depth=1
	v_bfe_u32 v30, v30, 24, 7
	v_cmp_ne_u32_e32 vcc, s14, v30
	v_mov_b32_e32 v55, 0x7f800001
	s_and_saveexec_b64 s[10:11], vcc
	s_cbranch_execz .LBB613_159
; %bb.158:                              ;   in Loop: Header=BB613_17 Depth=1
	v_and_b32_e32 v55, 7, v32
	v_ffbh_u32_e32 v56, v55
	v_min_u32_e32 v59, 32, v56
	v_subrev_u32_e32 v56, 28, v59
	v_lshlrev_b64 v[56:57], v56, v[32:33]
	v_lshrrev_b32_e32 v58, 3, v30
	v_sub_u32_e32 v57, 29, v59
	v_and_b32_e32 v56, 7, v56
	v_cmp_gt_u32_e32 vcc, 8, v30
	v_cndmask_b32_e32 v30, v58, v57, vcc
	v_cndmask_b32_e32 v55, v55, v56, vcc
	v_lshlrev_b32_e32 v32, 24, v32
	v_lshlrev_b32_e32 v55, 20, v55
	v_and_b32_e32 v32, 0x80000000, v32
	v_lshl_add_u32 v30, v30, 23, v38
	v_or3_b32 v55, v32, v30, v55
.LBB613_159:                            ;   in Loop: Header=BB613_17 Depth=1
	s_or_b64 exec, exec, s[10:11]
.LBB613_160:                            ;   in Loop: Header=BB613_17 Depth=1
	s_or_b64 exec, exec, s[6:7]
.LBB613_161:                            ;   in Loop: Header=BB613_17 Depth=1
	s_or_b64 exec, exec, s[4:5]
	v_cvt_pkrtz_f16_f32 v56, v23, v42
	v_cvt_pkrtz_f16_f32 v57, v40, v52
	;; [unrolled: 1-line block ×4, first 2 shown]
	s_waitcnt vmcnt(1)
	v_cmp_ne_u16_sdwa s[6:7], v28, v35 src0_sel:BYTE_0 src1_sel:DWORD
	v_mfma_f32_16x16x16f16 v[18:21], v[56:57], v[10:11], v[18:21]
	v_mfma_f32_16x16x16f16 v[18:21], v[52:53], v[12:13], v[18:21]
	s_and_saveexec_b64 s[4:5], s[6:7]
	s_cbranch_execz .LBB613_167
; %bb.162:                              ;   in Loop: Header=BB613_17 Depth=1
	v_cmp_ne_u16_sdwa s[10:11], v28, s13 src0_sel:BYTE_0 src1_sel:DWORD
	v_bfrev_b32_e32 v34, 1
	s_and_saveexec_b64 s[6:7], s[10:11]
	s_cbranch_execz .LBB613_166
; %bb.163:                              ;   in Loop: Header=BB613_17 Depth=1
	v_and_b32_e32 v23, 0x7f, v28
	v_cmp_ne_u32_e32 vcc, s14, v23
	v_mov_b32_e32 v34, 0x7f800001
	s_and_saveexec_b64 s[10:11], vcc
	s_cbranch_execz .LBB613_165
; %bb.164:                              ;   in Loop: Header=BB613_17 Depth=1
	v_and_b32_e32 v30, 7, v28
	v_ffbh_u32_e32 v34, v30
	v_min_u32_e32 v34, 32, v34
	v_subrev_u32_e32 v40, 28, v34
	v_lshlrev_b64 v[52:53], v40, v[28:29]
	v_lshrrev_b32_e32 v32, 3, v23
	v_sub_u32_e32 v34, 29, v34
	v_and_b32_e32 v40, 7, v52
	v_cmp_gt_u32_e32 vcc, 8, v23
	v_cndmask_b32_e32 v23, v32, v34, vcc
	v_cndmask_b32_e32 v30, v30, v40, vcc
	v_lshlrev_b32_e32 v32, 24, v28
	v_lshlrev_b32_e32 v30, 20, v30
	v_and_b32_e32 v32, 0x80000000, v32
	v_lshl_add_u32 v23, v23, 23, v38
	v_or3_b32 v34, v32, v23, v30
.LBB613_165:                            ;   in Loop: Header=BB613_17 Depth=1
	s_or_b64 exec, exec, s[10:11]
.LBB613_166:                            ;   in Loop: Header=BB613_17 Depth=1
	s_or_b64 exec, exec, s[6:7]
.LBB613_167:                            ;   in Loop: Header=BB613_17 Depth=1
	s_or_b64 exec, exec, s[4:5]
	v_lshrrev_b16_e32 v30, 8, v28
	v_cmp_ne_u16_e32 vcc, 0, v30
	v_mov_b32_e32 v23, 0
	v_mov_b32_e32 v32, 0
	s_and_saveexec_b64 s[4:5], vcc
	s_cbranch_execz .LBB613_173
; %bb.168:                              ;   in Loop: Header=BB613_17 Depth=1
	v_cmp_ne_u16_e32 vcc, s13, v30
	v_bfrev_b32_e32 v32, 1
	s_and_saveexec_b64 s[6:7], vcc
	s_cbranch_execz .LBB613_172
; %bb.169:                              ;   in Loop: Header=BB613_17 Depth=1
	v_and_b32_e32 v40, 0x7f, v30
	v_cmp_ne_u32_e32 vcc, s14, v40
	v_mov_b32_e32 v32, 0x7f800001
	s_and_saveexec_b64 s[10:11], vcc
	s_cbranch_execz .LBB613_171
; %bb.170:                              ;   in Loop: Header=BB613_17 Depth=1
	v_and_b32_e32 v32, 7, v30
	v_ffbh_u32_e32 v44, v32
	v_min_u32_e32 v44, 32, v44
	v_subrev_u32_e32 v52, 28, v44
	v_lshlrev_b64 v[52:53], v52, v[30:31]
	v_lshrrev_b32_e32 v42, 3, v40
	v_sub_u32_e32 v30, 29, v44
	v_and_b32_e32 v44, 7, v52
	v_cmp_gt_u32_e32 vcc, 8, v40
	v_cndmask_b32_e32 v30, v42, v30, vcc
	v_cndmask_b32_e32 v32, v32, v44, vcc
	v_lshlrev_b32_e32 v40, 16, v28
	v_lshlrev_b32_e32 v32, 20, v32
	v_and_b32_e32 v40, 0x80000000, v40
	v_lshl_add_u32 v30, v30, 23, v38
	v_or3_b32 v32, v40, v30, v32
.LBB613_171:                            ;   in Loop: Header=BB613_17 Depth=1
	s_or_b64 exec, exec, s[10:11]
.LBB613_172:                            ;   in Loop: Header=BB613_17 Depth=1
	s_or_b64 exec, exec, s[6:7]
.LBB613_173:                            ;   in Loop: Header=BB613_17 Depth=1
	s_or_b64 exec, exec, s[4:5]
	v_lshrrev_b32_e32 v30, 16, v28
	v_cmp_ne_u16_sdwa s[6:7], v30, v35 src0_sel:BYTE_0 src1_sel:DWORD
	s_and_saveexec_b64 s[4:5], s[6:7]
	s_cbranch_execz .LBB613_179
; %bb.174:                              ;   in Loop: Header=BB613_17 Depth=1
	v_cmp_ne_u16_sdwa s[10:11], v30, s13 src0_sel:BYTE_0 src1_sel:DWORD
	v_bfrev_b32_e32 v23, 1
	s_and_saveexec_b64 s[6:7], s[10:11]
	s_cbranch_execz .LBB613_178
; %bb.175:                              ;   in Loop: Header=BB613_17 Depth=1
	v_bfe_u32 v40, v28, 16, 7
	v_cmp_ne_u32_e32 vcc, s14, v40
	v_mov_b32_e32 v23, 0x7f800001
	s_and_saveexec_b64 s[10:11], vcc
	s_cbranch_execz .LBB613_177
; %bb.176:                              ;   in Loop: Header=BB613_17 Depth=1
	v_and_b32_e32 v23, 7, v30
	v_ffbh_u32_e32 v44, v23
	v_min_u32_e32 v44, 32, v44
	v_subrev_u32_e32 v52, 28, v44
	v_lshlrev_b64 v[52:53], v52, v[30:31]
	v_lshrrev_b32_e32 v42, 3, v40
	v_sub_u32_e32 v44, 29, v44
	v_and_b32_e32 v52, 7, v52
	v_cmp_gt_u32_e32 vcc, 8, v40
	v_cndmask_b32_e32 v40, v42, v44, vcc
	v_cndmask_b32_e32 v23, v23, v52, vcc
	v_lshlrev_b32_e32 v30, 24, v30
	v_lshlrev_b32_e32 v23, 20, v23
	v_and_b32_e32 v30, 0x80000000, v30
	v_lshl_add_u32 v40, v40, 23, v38
	v_or3_b32 v23, v30, v40, v23
.LBB613_177:                            ;   in Loop: Header=BB613_17 Depth=1
	s_or_b64 exec, exec, s[10:11]
.LBB613_178:                            ;   in Loop: Header=BB613_17 Depth=1
	s_or_b64 exec, exec, s[6:7]
.LBB613_179:                            ;   in Loop: Header=BB613_17 Depth=1
	s_or_b64 exec, exec, s[4:5]
	v_cmp_lt_u32_e32 vcc, s15, v28
	v_mov_b32_e32 v40, 0
	v_mov_b32_e32 v42, 0
	s_and_saveexec_b64 s[4:5], vcc
	s_cbranch_execz .LBB613_185
; %bb.180:                              ;   in Loop: Header=BB613_17 Depth=1
	v_lshrrev_b32_e32 v30, 24, v28
	v_cmp_ne_u32_e32 vcc, s13, v30
	v_bfrev_b32_e32 v42, 1
	s_and_saveexec_b64 s[6:7], vcc
	s_cbranch_execz .LBB613_184
; %bb.181:                              ;   in Loop: Header=BB613_17 Depth=1
	v_bfe_u32 v28, v28, 24, 7
	v_cmp_ne_u32_e32 vcc, s14, v28
	v_mov_b32_e32 v42, 0x7f800001
	s_and_saveexec_b64 s[10:11], vcc
	s_cbranch_execz .LBB613_183
; %bb.182:                              ;   in Loop: Header=BB613_17 Depth=1
	v_and_b32_e32 v42, 7, v30
	v_ffbh_u32_e32 v52, v42
	v_min_u32_e32 v54, 32, v52
	v_subrev_u32_e32 v52, 28, v54
	v_lshlrev_b64 v[52:53], v52, v[30:31]
	v_lshrrev_b32_e32 v44, 3, v28
	v_sub_u32_e32 v53, 29, v54
	v_and_b32_e32 v52, 7, v52
	v_cmp_gt_u32_e32 vcc, 8, v28
	v_cndmask_b32_e32 v28, v44, v53, vcc
	v_cndmask_b32_e32 v42, v42, v52, vcc
	v_lshlrev_b32_e32 v30, 24, v30
	v_lshlrev_b32_e32 v42, 20, v42
	v_and_b32_e32 v30, 0x80000000, v30
	v_lshl_add_u32 v28, v28, 23, v38
	v_or3_b32 v42, v30, v28, v42
.LBB613_183:                            ;   in Loop: Header=BB613_17 Depth=1
	s_or_b64 exec, exec, s[10:11]
.LBB613_184:                            ;   in Loop: Header=BB613_17 Depth=1
	s_or_b64 exec, exec, s[6:7]
.LBB613_185:                            ;   in Loop: Header=BB613_17 Depth=1
	s_or_b64 exec, exec, s[4:5]
	s_waitcnt vmcnt(0)
	v_cmp_ne_u16_sdwa s[6:7], v26, v35 src0_sel:BYTE_0 src1_sel:DWORD
	s_and_saveexec_b64 s[4:5], s[6:7]
	s_cbranch_execz .LBB613_191
; %bb.186:                              ;   in Loop: Header=BB613_17 Depth=1
	v_cmp_ne_u16_sdwa s[10:11], v26, s13 src0_sel:BYTE_0 src1_sel:DWORD
	v_bfrev_b32_e32 v40, 1
	s_and_saveexec_b64 s[6:7], s[10:11]
	s_cbranch_execz .LBB613_190
; %bb.187:                              ;   in Loop: Header=BB613_17 Depth=1
	v_and_b32_e32 v28, 0x7f, v26
	v_cmp_ne_u32_e32 vcc, s14, v28
	v_mov_b32_e32 v40, 0x7f800001
	s_and_saveexec_b64 s[10:11], vcc
	s_cbranch_execz .LBB613_189
; %bb.188:                              ;   in Loop: Header=BB613_17 Depth=1
	v_and_b32_e32 v30, 7, v26
	v_ffbh_u32_e32 v44, v30
	v_min_u32_e32 v44, 32, v44
	v_subrev_u32_e32 v52, 28, v44
	v_lshlrev_b64 v[52:53], v52, v[26:27]
	v_lshrrev_b32_e32 v40, 3, v28
	v_sub_u32_e32 v44, 29, v44
	v_and_b32_e32 v52, 7, v52
	v_cmp_gt_u32_e32 vcc, 8, v28
	v_cndmask_b32_e32 v28, v40, v44, vcc
	v_cndmask_b32_e32 v30, v30, v52, vcc
	v_lshlrev_b32_e32 v40, 24, v26
	v_lshlrev_b32_e32 v30, 20, v30
	v_and_b32_e32 v40, 0x80000000, v40
	v_lshl_add_u32 v28, v28, 23, v38
	v_or3_b32 v40, v40, v28, v30
.LBB613_189:                            ;   in Loop: Header=BB613_17 Depth=1
	s_or_b64 exec, exec, s[10:11]
.LBB613_190:                            ;   in Loop: Header=BB613_17 Depth=1
	s_or_b64 exec, exec, s[6:7]
.LBB613_191:                            ;   in Loop: Header=BB613_17 Depth=1
	s_or_b64 exec, exec, s[4:5]
	v_lshrrev_b16_e32 v28, 8, v26
	v_cmp_ne_u16_e32 vcc, 0, v28
	v_mov_b32_e32 v30, 0
	v_mov_b32_e32 v44, 0
	s_and_saveexec_b64 s[4:5], vcc
	s_cbranch_execz .LBB613_197
; %bb.192:                              ;   in Loop: Header=BB613_17 Depth=1
	v_cmp_ne_u16_e32 vcc, s13, v28
	v_bfrev_b32_e32 v44, 1
	s_and_saveexec_b64 s[6:7], vcc
	s_cbranch_execz .LBB613_196
; %bb.193:                              ;   in Loop: Header=BB613_17 Depth=1
	v_and_b32_e32 v52, 0x7f, v28
	v_cmp_ne_u32_e32 vcc, s14, v52
	v_mov_b32_e32 v44, 0x7f800001
	s_and_saveexec_b64 s[10:11], vcc
	s_cbranch_execz .LBB613_195
; %bb.194:                              ;   in Loop: Header=BB613_17 Depth=1
	v_and_b32_e32 v44, 7, v28
	v_ffbh_u32_e32 v54, v44
	v_min_u32_e32 v56, 32, v54
	v_subrev_u32_e32 v54, 28, v56
	v_lshlrev_b64 v[54:55], v54, v[28:29]
	v_lshrrev_b32_e32 v53, 3, v52
	v_sub_u32_e32 v28, 29, v56
	v_and_b32_e32 v54, 7, v54
	v_cmp_gt_u32_e32 vcc, 8, v52
	v_cndmask_b32_e32 v28, v53, v28, vcc
	v_cndmask_b32_e32 v44, v44, v54, vcc
	v_lshlrev_b32_e32 v52, 16, v26
	v_lshlrev_b32_e32 v44, 20, v44
	v_and_b32_e32 v52, 0x80000000, v52
	v_lshl_add_u32 v28, v28, 23, v38
	v_or3_b32 v44, v52, v28, v44
.LBB613_195:                            ;   in Loop: Header=BB613_17 Depth=1
	s_or_b64 exec, exec, s[10:11]
.LBB613_196:                            ;   in Loop: Header=BB613_17 Depth=1
	s_or_b64 exec, exec, s[6:7]
.LBB613_197:                            ;   in Loop: Header=BB613_17 Depth=1
	s_or_b64 exec, exec, s[4:5]
	v_lshrrev_b32_e32 v28, 16, v26
	v_cmp_ne_u16_sdwa s[6:7], v28, v35 src0_sel:BYTE_0 src1_sel:DWORD
	s_and_saveexec_b64 s[4:5], s[6:7]
	s_cbranch_execz .LBB613_203
; %bb.198:                              ;   in Loop: Header=BB613_17 Depth=1
	v_cmp_ne_u16_sdwa s[10:11], v28, s13 src0_sel:BYTE_0 src1_sel:DWORD
	v_bfrev_b32_e32 v30, 1
	s_and_saveexec_b64 s[6:7], s[10:11]
	s_cbranch_execz .LBB613_202
; %bb.199:                              ;   in Loop: Header=BB613_17 Depth=1
	v_bfe_u32 v52, v26, 16, 7
	v_cmp_ne_u32_e32 vcc, s14, v52
	v_mov_b32_e32 v30, 0x7f800001
	s_and_saveexec_b64 s[10:11], vcc
	s_cbranch_execz .LBB613_201
; %bb.200:                              ;   in Loop: Header=BB613_17 Depth=1
	v_and_b32_e32 v30, 7, v28
	v_ffbh_u32_e32 v54, v30
	v_min_u32_e32 v56, 32, v54
	v_subrev_u32_e32 v54, 28, v56
	v_lshlrev_b64 v[54:55], v54, v[28:29]
	v_lshrrev_b32_e32 v53, 3, v52
	v_sub_u32_e32 v55, 29, v56
	v_and_b32_e32 v54, 7, v54
	v_cmp_gt_u32_e32 vcc, 8, v52
	v_cndmask_b32_e32 v52, v53, v55, vcc
	v_cndmask_b32_e32 v30, v30, v54, vcc
	v_lshlrev_b32_e32 v28, 24, v28
	v_lshlrev_b32_e32 v30, 20, v30
	v_and_b32_e32 v28, 0x80000000, v28
	v_lshl_add_u32 v52, v52, 23, v38
	v_or3_b32 v30, v28, v52, v30
.LBB613_201:                            ;   in Loop: Header=BB613_17 Depth=1
	s_or_b64 exec, exec, s[10:11]
.LBB613_202:                            ;   in Loop: Header=BB613_17 Depth=1
	s_or_b64 exec, exec, s[6:7]
.LBB613_203:                            ;   in Loop: Header=BB613_17 Depth=1
	s_or_b64 exec, exec, s[4:5]
	v_cmp_lt_u32_e32 vcc, s15, v26
	v_mov_b32_e32 v52, 0
	s_and_saveexec_b64 s[4:5], vcc
	s_cbranch_execz .LBB613_16
; %bb.204:                              ;   in Loop: Header=BB613_17 Depth=1
	v_lshrrev_b32_e32 v28, 24, v26
	v_cmp_ne_u32_e32 vcc, s13, v28
	v_bfrev_b32_e32 v52, 1
	s_and_saveexec_b64 s[6:7], vcc
	s_cbranch_execz .LBB613_15
; %bb.205:                              ;   in Loop: Header=BB613_17 Depth=1
	v_bfe_u32 v26, v26, 24, 7
	v_cmp_ne_u32_e32 vcc, s14, v26
	v_mov_b32_e32 v52, 0x7f800001
	s_and_saveexec_b64 s[10:11], vcc
	s_cbranch_execz .LBB613_14
; %bb.206:                              ;   in Loop: Header=BB613_17 Depth=1
	v_and_b32_e32 v54, 7, v28
	v_ffbh_u32_e32 v52, v54
	v_min_u32_e32 v56, 32, v52
	v_subrev_u32_e32 v52, 28, v56
	v_lshlrev_b64 v[52:53], v52, v[28:29]
	v_lshrrev_b32_e32 v55, 3, v26
	v_sub_u32_e32 v53, 29, v56
	v_and_b32_e32 v52, 7, v52
	v_cmp_gt_u32_e32 vcc, 8, v26
	v_cndmask_b32_e32 v26, v55, v53, vcc
	v_cndmask_b32_e32 v52, v54, v52, vcc
	v_lshlrev_b32_e32 v28, 24, v28
	v_lshlrev_b32_e32 v52, 20, v52
	v_and_b32_e32 v28, 0x80000000, v28
	v_lshl_add_u32 v26, v26, 23, v38
	v_or3_b32 v52, v28, v26, v52
	s_branch .LBB613_14
.LBB613_207:
	buffer_load_dword v17, off, s[0:3], 0 offset:256
	buffer_load_dword v16, off, s[0:3], 0 offset:260
	;; [unrolled: 1-line block ×16, first 2 shown]
	v_and_b32_e32 v18, 0xc0, v0
	v_add_u32_e32 v18, s20, v18
	v_lshl_or_b32 v18, v1, 2, v18
	v_or_b32_e32 v20, 1, v18
	v_subrev_u32_e32 v24, s33, v20
	v_add_u32_e32 v26, 1, v24
	v_cvt_f32_i32_e32 v25, v24
	v_add_u32_e32 v28, 2, v24
	v_add_u32_e32 v30, 3, v24
	;; [unrolled: 1-line block ×14, first 2 shown]
	v_cvt_f32_i32_e32 v26, v26
	v_cvt_f32_i32_e32 v28, v28
	;; [unrolled: 1-line block ×4, first 2 shown]
	v_mov_b32_e32 v19, 0xff7fffff
	v_or_b32_e32 v21, 2, v18
	v_or_b32_e32 v22, 3, v18
	v_cvt_f32_i32_e32 v32, v32
	v_cvt_f32_i32_e32 v34, v34
	v_cmp_gt_i32_e64 s[28:29], s33, v18
	v_cmp_gt_i32_e64 s[30:31], s33, v20
	s_mov_b32 s52, 0xff7fffff
	v_cmp_gt_i32_e64 s[34:35], s33, v21
	v_cmp_gt_i32_e64 s[36:37], s33, v22
	v_or_b32_e32 v23, 16, v18
	v_cvt_f32_i32_e32 v35, v35
	v_cvt_f32_i32_e32 v36, v36
	v_cmp_gt_i32_e64 s[24:25], s33, v23
	v_cvt_f32_i32_e32 v37, v37
	v_cvt_f32_i32_e32 v38, v38
	;; [unrolled: 1-line block ×7, first 2 shown]
	s_waitcnt vmcnt(15)
	v_fmac_f32_e32 v17, v31, v25
	s_waitcnt vmcnt(14)
	v_fmac_f32_e32 v16, v31, v26
	;; [unrolled: 2-line block ×4, first 2 shown]
	v_cndmask_b32_e64 v20, v19, v16, s[30:31]
	v_cndmask_b32_e64 v21, v19, v15, s[34:35]
	;; [unrolled: 1-line block ×3, first 2 shown]
	s_waitcnt vmcnt(11)
	v_fmac_f32_e32 v13, v31, v32
	s_waitcnt vmcnt(10)
	v_fmac_f32_e32 v12, v31, v34
	;; [unrolled: 2-line block ×9, first 2 shown]
	v_cndmask_b32_e64 v24, v19, v17, s[28:29]
	v_max3_f32 v20, v24, s52, v20
	v_max3_f32 v20, v20, v21, v22
	v_or_b32_e32 v22, 17, v18
	v_cmp_gt_i32_e64 s[38:39], s33, v22
	v_cndmask_b32_e64 v21, v19, v13, s[24:25]
	v_cndmask_b32_e64 v22, v19, v12, s[38:39]
	v_max3_f32 v20, v20, v21, v22
	v_or_b32_e32 v21, 18, v18
	v_or_b32_e32 v22, 19, v18
	v_cmp_gt_i32_e64 s[20:21], s33, v21
	v_cmp_gt_i32_e64 s[22:23], s33, v22
	v_cndmask_b32_e64 v21, v19, v11, s[20:21]
	v_cndmask_b32_e64 v22, v19, v10, s[22:23]
	v_max3_f32 v20, v20, v21, v22
	v_or_b32_e32 v21, 32, v18
	v_or_b32_e32 v22, 33, v18
	v_cmp_gt_i32_e64 s[16:17], s33, v21
	;; [unrolled: 7-line block ×3, first 2 shown]
	v_cmp_gt_i32_e64 s[14:15], s33, v22
	v_cndmask_b32_e64 v21, v19, v7, s[12:13]
	v_cndmask_b32_e64 v22, v19, v6, s[14:15]
	v_max3_f32 v20, v20, v21, v22
	v_or_b32_e32 v21, 48, v18
	v_or_b32_e32 v22, 49, v18
	v_fmac_f32_e32 v5, v31, v44
	v_fmac_f32_e32 v4, v31, v52
	v_cmp_gt_i32_e64 s[6:7], s33, v21
	v_cmp_gt_i32_e64 s[10:11], s33, v22
	v_cndmask_b32_e64 v21, v19, v5, s[6:7]
	v_cndmask_b32_e64 v22, v19, v4, s[10:11]
	v_max3_f32 v20, v20, v21, v22
	v_or_b32_e32 v21, 50, v18
	v_or_b32_e32 v18, 51, v18
	v_fmac_f32_e32 v3, v31, v53
	v_cmp_gt_i32_e32 vcc, s33, v21
	v_cmp_gt_i32_e64 s[4:5], s33, v18
	v_cndmask_b32_e32 v21, v19, v3, vcc
	v_cndmask_b32_e64 v18, v19, v2, s[4:5]
	v_mbcnt_lo_u32_b32 v19, -1, 0
	v_mbcnt_hi_u32_b32 v19, -1, v19
	v_max3_f32 v18, v20, v21, v18
	v_and_b32_e32 v20, 64, v19
	v_add_u32_e32 v20, 64, v20
	v_xor_b32_e32 v21, 32, v19
	v_cmp_lt_i32_e64 s[40:41], v21, v20
	v_cndmask_b32_e64 v21, v19, v21, s[40:41]
	v_lshlrev_b32_e32 v21, 2, v21
	ds_bpermute_b32 v22, v21, v18
	s_waitcnt lgkmcnt(0)
	v_max_f32_e32 v22, v22, v22
	v_max_f32_e32 v18, v18, v22
	v_xor_b32_e32 v22, 16, v19
	v_cmp_lt_i32_e64 s[40:41], v22, v20
	v_cndmask_b32_e64 v19, v19, v22, s[40:41]
	v_lshlrev_b32_e32 v19, 2, v19
	ds_bpermute_b32 v20, v19, v18
	s_waitcnt lgkmcnt(0)
	v_max_f32_e32 v20, v20, v20
	v_max_f32_e32 v18, v18, v20
	v_sub_f32_e32 v17, v17, v18
	v_mul_f32_e32 v17, 0x3fb8aa3b, v17
	v_sub_f32_e32 v16, v16, v18
	v_exp_f32_e32 v17, v17
	v_mul_f32_e32 v16, 0x3fb8aa3b, v16
	v_sub_f32_e32 v15, v15, v18
	v_exp_f32_e32 v16, v16
	;; [unrolled: 3-line block ×4, first 2 shown]
	v_mul_f32_e32 v13, 0x3fb8aa3b, v13
	v_sub_f32_e32 v12, v12, v18
	v_cndmask_b32_e64 v17, 0, v17, s[28:29]
	v_exp_f32_e32 v13, v13
	v_mul_f32_e32 v12, 0x3fb8aa3b, v12
	v_sub_f32_e32 v11, v11, v18
	v_add_f32_e32 v20, 0, v17
	v_cndmask_b32_e64 v16, 0, v16, s[30:31]
	v_exp_f32_e32 v12, v12
	v_mul_f32_e32 v11, 0x3fb8aa3b, v11
	v_sub_f32_e32 v10, v10, v18
	v_add_f32_e32 v20, v20, v16
	;; [unrolled: 5-line block ×4, first 2 shown]
	v_cndmask_b32_e64 v13, 0, v13, s[24:25]
	v_exp_f32_e32 v9, v9
	v_mul_f32_e32 v8, 0x3fb8aa3b, v8
	v_sub_f32_e32 v7, v7, v18
	buffer_store_dword v17, off, s[0:3], 0 offset:256
	buffer_store_dword v16, off, s[0:3], 0 offset:260
	;; [unrolled: 1-line block ×4, first 2 shown]
	v_add_f32_e32 v14, v20, v13
	v_cndmask_b32_e64 v12, 0, v12, s[38:39]
	v_exp_f32_e32 v8, v8
	v_mul_f32_e32 v7, 0x3fb8aa3b, v7
	v_sub_f32_e32 v6, v6, v18
	v_add_f32_e32 v14, v14, v12
	v_cndmask_b32_e64 v11, 0, v11, s[20:21]
	v_exp_f32_e32 v7, v7
	v_mul_f32_e32 v6, 0x3fb8aa3b, v6
	v_sub_f32_e32 v5, v5, v18
	;; [unrolled: 5-line block ×4, first 2 shown]
	buffer_store_dword v13, off, s[0:3], 0 offset:272
	buffer_store_dword v12, off, s[0:3], 0 offset:276
	;; [unrolled: 1-line block ×4, first 2 shown]
	v_add_f32_e32 v10, v14, v9
	v_cndmask_b32_e64 v8, 0, v8, s[18:19]
	v_exp_f32_e32 v4, v4
	v_mul_f32_e32 v3, 0x3fb8aa3b, v3
	v_sub_f32_e32 v2, v2, v18
	v_add_f32_e32 v10, v10, v8
	v_cndmask_b32_e64 v7, 0, v7, s[12:13]
	v_exp_f32_e32 v3, v3
	v_mul_f32_e32 v2, 0x3fb8aa3b, v2
	v_add_f32_e32 v10, v10, v7
	v_cndmask_b32_e64 v6, 0, v6, s[14:15]
	v_exp_f32_e32 v2, v2
	v_add_f32_e32 v10, v10, v6
	v_cndmask_b32_e64 v5, 0, v5, s[6:7]
	buffer_store_dword v9, off, s[0:3], 0 offset:288
	buffer_store_dword v8, off, s[0:3], 0 offset:292
	;; [unrolled: 1-line block ×4, first 2 shown]
	v_add_f32_e32 v6, v10, v5
	v_cndmask_b32_e64 v4, 0, v4, s[10:11]
	v_add_f32_e32 v6, v6, v4
	v_cndmask_b32_e32 v3, 0, v3, vcc
	v_add_f32_e32 v6, v6, v3
	v_cndmask_b32_e64 v2, 0, v2, s[4:5]
	v_add_f32_e32 v6, v6, v2
	ds_bpermute_b32 v7, v21, v6
	buffer_store_dword v5, off, s[0:3], 0 offset:304
	buffer_store_dword v4, off, s[0:3], 0 offset:308
	;; [unrolled: 1-line block ×4, first 2 shown]
	v_cmp_gt_u32_e32 vcc, 16, v33
	s_waitcnt lgkmcnt(0)
	s_barrier
	v_add_f32_e32 v2, v6, v7
	ds_bpermute_b32 v3, v19, v2
	s_waitcnt lgkmcnt(0)
	s_and_saveexec_b64 s[4:5], vcc
	s_cbranch_execz .LBB613_209
; %bb.208:
	v_add_f32_e32 v2, v2, v3
	v_lshlrev_b32_e32 v3, 2, v29
	ds_write2st64_b32 v3, v18, v2 offset1:1
.LBB613_209:
	s_or_b64 exec, exec, s[4:5]
	v_lshlrev_b32_e32 v2, 2, v41
	s_waitcnt lgkmcnt(0)
	s_barrier
	ds_read2_b32 v[12:13], v2 offset1:16
	ds_read2_b32 v[14:15], v2 offset0:32 offset1:48
	ds_read2_b32 v[6:7], v2 offset0:64 offset1:80
	ds_read2_b32 v[10:11], v2 offset0:96 offset1:112
	s_waitcnt lgkmcnt(0)
	s_barrier
	buffer_load_dword v20, off, s[0:3], 0 offset:256
	buffer_load_dword v21, off, s[0:3], 0 offset:260
	;; [unrolled: 1-line block ×16, first 2 shown]
	v_lshlrev_b32_e32 v19, 3, v1
	v_lshlrev_b32_e32 v18, 5, v41
	;; [unrolled: 1-line block ×3, first 2 shown]
	v_or3_b32 v52, v26, v18, v19
	v_max3_f32 v19, v12, s52, v13
	v_max3_f32 v19, v19, v14, v15
	v_sub_f32_e32 v12, v12, v19
	v_sub_f32_e32 v13, v13, v19
	v_mul_f32_e32 v12, 0x3fb8aa3b, v12
	v_sub_f32_e32 v14, v14, v19
	v_mul_f32_e32 v13, 0x3fb8aa3b, v13
	v_exp_f32_e32 v12, v12
	v_sub_f32_e32 v15, v15, v19
	v_mul_f32_e32 v14, 0x3fb8aa3b, v14
	v_exp_f32_e32 v13, v13
	v_mul_f32_e32 v15, 0x3fb8aa3b, v15
	v_exp_f32_e32 v14, v14
	v_exp_f32_e32 v15, v15
	v_fma_f32 v6, v12, v6, 0
	v_fmac_f32_e32 v6, v13, v7
	v_fmac_f32_e32 v6, v14, v10
	;; [unrolled: 1-line block ×3, first 2 shown]
	v_cmp_eq_u32_e32 vcc, 1, v27
	v_add_f32_e32 v10, 0x358637bd, v6
	v_cndmask_b32_e32 v12, v12, v13, vcc
	v_cmp_eq_u32_e32 vcc, 2, v27
	v_div_scale_f32 v11, s[4:5], v10, v10, 1.0
	v_cndmask_b32_e32 v7, v12, v14, vcc
	v_rcp_f32_e32 v12, v11
	v_cmp_eq_u32_e32 vcc, 3, v27
	v_cndmask_b32_e32 v7, v7, v15, vcc
	v_div_scale_f32 v13, vcc, 1.0, v10, 1.0
	v_fma_f32 v14, -v11, v12, 1.0
	v_fmac_f32_e32 v12, v14, v12
	v_mul_f32_e32 v14, v13, v12
	v_fma_f32 v15, -v11, v14, v13
	v_fmac_f32_e32 v14, v15, v12
	v_fma_f32 v11, -v11, v14, v13
	v_div_fmas_f32 v11, v11, v12, v14
	v_div_fixup_f32 v10, v11, v10, 1.0
	v_mul_f32_e32 v10, v7, v10
	s_lshl_b32 s18, s49, 3
	v_cmp_gt_u32_e32 vcc, 8, v0
	s_waitcnt vmcnt(14)
	v_pk_mul_f32 v[14:15], v[10:11], v[20:21] op_sel_hi:[0,1]
	v_cvt_f16_f32_e32 v7, v14
	s_waitcnt vmcnt(12)
	v_pk_mul_f32 v[12:13], v[10:11], v[22:23] op_sel_hi:[0,1]
	buffer_store_dword v14, off, s[0:3], 0 offset:256
	buffer_store_dword v15, off, s[0:3], 0 offset:260
	;; [unrolled: 1-line block ×3, first 2 shown]
	s_waitcnt vmcnt(13)
	v_pk_mul_f32 v[20:21], v[10:11], v[24:25] op_sel_hi:[0,1]
	v_cvt_f16_f32_e32 v14, v12
	s_waitcnt vmcnt(11)
	v_pk_mul_f32 v[22:23], v[10:11], v[28:29] op_sel_hi:[0,1]
	v_cvt_f16_f32_e32 v11, v15
	v_cvt_f16_f32_e32 v15, v13
	buffer_store_dword v13, off, s[0:3], 0 offset:268
	buffer_store_dword v22, off, s[0:3], 0 offset:272
	;; [unrolled: 1-line block ×3, first 2 shown]
	v_pack_b32_f16 v12, v7, v11
	v_cvt_f16_f32_e32 v11, v23
	v_pack_b32_f16 v13, v14, v15
	v_cvt_f16_f32_e32 v7, v22
	v_cvt_f16_f32_e32 v15, v20
	;; [unrolled: 1-line block ×3, first 2 shown]
	s_waitcnt vmcnt(12)
	v_pk_mul_f32 v[4:5], v[10:11], v[4:5] op_sel_hi:[0,1]
	v_pack_b32_f16 v14, v7, v11
	s_waitcnt vmcnt(10)
	v_pk_mul_f32 v[2:3], v[10:11], v[2:3] op_sel_hi:[0,1]
	v_pack_b32_f16 v15, v15, v22
	v_cvt_f16_f32_e32 v11, v5
	buffer_store_dword v20, off, s[0:3], 0 offset:280
	buffer_store_dword v21, off, s[0:3], 0 offset:284
	ds_write2st64_b64 v52, v[12:13], v[14:15] offset1:1
	buffer_store_dword v2, off, s[0:3], 0 offset:288
	buffer_store_dword v3, off, s[0:3], 0 offset:292
	v_cvt_f16_f32_e32 v2, v2
	v_cvt_f16_f32_e32 v3, v3
	;; [unrolled: 1-line block ×3, first 2 shown]
	buffer_store_dword v4, off, s[0:3], 0 offset:296
	buffer_store_dword v5, off, s[0:3], 0 offset:300
	s_waitcnt vmcnt(12)
	v_pk_mul_f32 v[4:5], v[10:11], v[16:17] op_sel_hi:[0,1]
	v_pk_mul_f32 v[8:9], v[10:11], v[8:9] op_sel_hi:[0,1]
	v_pack_b32_f16 v2, v2, v3
	v_pack_b32_f16 v3, v7, v11
	buffer_store_dword v8, off, s[0:3], 0 offset:304
	buffer_store_dword v9, off, s[0:3], 0 offset:308
	v_cvt_f16_f32_e32 v7, v8
	v_cvt_f16_f32_e32 v8, v9
	v_cvt_f16_f32_e32 v9, v4
	v_cvt_f16_f32_e32 v10, v5
	buffer_store_dword v4, off, s[0:3], 0 offset:312
	buffer_store_dword v5, off, s[0:3], 0 offset:316
	v_pack_b32_f16 v4, v7, v8
	v_pack_b32_f16 v5, v9, v10
	ds_write2st64_b64 v52, v[2:3], v[4:5] offset0:2 offset1:3
	s_and_saveexec_b64 s[4:5], vcc
	s_cbranch_execz .LBB613_211
; %bb.210:
	v_or_b32_e32 v2, s27, v0
	v_mov_b32_e32 v3, 0
	v_mov_b32_e32 v4, s18
	v_mad_u64_u32 v[4:5], s[6:7], s8, v4, v[2:3]
	v_mov_b32_e32 v2, s26
	s_mul_i32 s9, s9, s18
	v_mad_u64_u32 v[2:3], s[6:7], v4, s48, v[2:3]
	v_add_u32_e32 v5, s9, v5
	v_mov_b32_e32 v4, v3
	v_mad_u64_u32 v[4:5], s[6:7], v5, s48, v[4:5]
	v_mov_b32_e32 v3, v4
	v_lshlrev_b64 v[2:3], 2, v[2:3]
	v_mov_b32_e32 v5, s47
	v_add_co_u32_e32 v4, vcc, s46, v2
	v_addc_co_u32_e32 v5, vcc, v5, v3, vcc
	global_store_dword v[4:5], v19, off
	v_mov_b32_e32 v4, s45
	v_add_co_u32_e32 v2, vcc, s44, v2
	v_addc_co_u32_e32 v3, vcc, v4, v3, vcc
	global_store_dword v[2:3], v6, off
.LBB613_211:
	s_or_b64 exec, exec, s[4:5]
	v_lshl_or_b32 v30, v1, 9, v18
	s_waitcnt lgkmcnt(0)
	s_barrier
	s_load_dword s4, s[42:43], 0x0
	ds_read_b128 v[2:5], v30
	ds_read_b128 v[6:9], v30 offset:16
	ds_read_b128 v[10:13], v30 offset:2048
	;; [unrolled: 1-line block ×7, first 2 shown]
	v_mov_b32_e32 v35, 0x80
	v_mov_b32_e32 v53, 0x140
	s_mov_b64 s[10:11], -1
	s_waitcnt lgkmcnt(0)
	s_mov_b32 s5, s4
	s_mov_b32 s6, s4
	s_mov_b32 s7, s4
	s_movk_i32 s9, 0x80
	s_movk_i32 s19, 0x7f
	s_mov_b32 s20, 0xffffff
	v_mov_b32_e32 v54, 0
	v_bfrev_b32_e32 v55, 60
	s_branch .LBB613_215
.LBB613_212:                            ;   in Loop: Header=BB613_215 Depth=1
	s_or_b64 exec, exec, s[16:17]
.LBB613_213:                            ;   in Loop: Header=BB613_215 Depth=1
	s_or_b64 exec, exec, s[14:15]
.LBB613_214:                            ;   in Loop: Header=BB613_215 Depth=1
	s_or_b64 exec, exec, s[12:13]
	v_cvt_pkrtz_f16_f32 v60, v46, v50
	v_cvt_pkrtz_f16_f32 v61, v44, v56
	s_xor_b64 s[12:13], s[10:11], -1
	s_mov_b64 s[10:11], 0
	v_mov_b32_e32 v46, v47
	v_mfma_f32_16x16x16f16 v[60:63], v[60:61], v[30:31], v[34:37]
	v_mov_b32_e32 v50, v49
	s_and_b64 vcc, exec, s[12:13]
	s_nop 4
	v_cvt_pkrtz_f16_f32 v36, v51, v57
	v_cvt_pkrtz_f16_f32 v37, v42, v58
	v_mov_b32_e32 v35, v45
	v_mov_b32_e32 v51, v48
	v_mfma_f32_16x16x16f16 v[56:59], v[36:37], v[32:33], v[60:63]
	s_nop 7
	s_nop 2
	v_pk_mul_f32 v[56:57], v[56:57], s[4:5]
	v_pk_mul_f32 v[36:37], v[58:59], s[6:7]
	v_cvt_f16_f32_e32 v34, v56
	v_cvt_f16_f32_e32 v38, v57
	;; [unrolled: 1-line block ×4, first 2 shown]
	v_pack_b32_f16 v34, v34, v38
	v_pack_b32_f16 v36, v36, v37
	buffer_store_dword v34, v53, s[0:3], 0 offen
	buffer_store_dword v36, v53, s[0:3], 0 offen offset:4
	v_mov_b32_e32 v53, 0x148
	s_cbranch_vccnz .LBB613_597
.LBB613_215:                            ; =>This Inner Loop Header: Depth=1
	buffer_load_dword v36, v35, s[0:3], 0 offen
	buffer_load_dword v34, v35, s[0:3], 0 offen offset:4
	buffer_load_dword v40, v35, s[0:3], 0 offen offset:8
	;; [unrolled: 1-line block ×3, first 2 shown]
	v_mov_b32_e32 v35, 0
	s_waitcnt vmcnt(3)
	v_cmp_ne_u16_sdwa s[14:15], v36, v54 src0_sel:BYTE_0 src1_sel:DWORD
	s_and_saveexec_b64 s[12:13], s[14:15]
	s_cbranch_execz .LBB613_221
; %bb.216:                              ;   in Loop: Header=BB613_215 Depth=1
	v_cmp_ne_u16_sdwa s[16:17], v36, s9 src0_sel:BYTE_0 src1_sel:DWORD
	v_bfrev_b32_e32 v35, 1
	s_and_saveexec_b64 s[14:15], s[16:17]
	s_cbranch_execz .LBB613_220
; %bb.217:                              ;   in Loop: Header=BB613_215 Depth=1
	v_and_b32_e32 v37, 0x7f, v36
	v_cmp_ne_u32_e32 vcc, s19, v37
	v_mov_b32_e32 v35, 0x7f800001
	s_and_saveexec_b64 s[16:17], vcc
	s_cbranch_execz .LBB613_219
; %bb.218:                              ;   in Loop: Header=BB613_215 Depth=1
	v_and_b32_e32 v35, 7, v36
	v_ffbh_u32_e32 v44, v35
	v_min_u32_e32 v44, 32, v44
	v_subrev_u32_e32 v56, 28, v44
	v_lshlrev_b64 v[56:57], v56, v[36:37]
	v_lshrrev_b32_e32 v42, 3, v37
	v_sub_u32_e32 v44, 29, v44
	v_and_b32_e32 v56, 7, v56
	v_cmp_gt_u32_e32 vcc, 8, v37
	v_cndmask_b32_e32 v37, v42, v44, vcc
	v_cndmask_b32_e32 v35, v35, v56, vcc
	v_lshlrev_b32_e32 v42, 24, v36
	v_lshlrev_b32_e32 v35, 20, v35
	v_and_b32_e32 v42, 0x80000000, v42
	v_lshl_add_u32 v37, v37, 23, v55
	v_or3_b32 v35, v42, v37, v35
.LBB613_219:                            ;   in Loop: Header=BB613_215 Depth=1
	s_or_b64 exec, exec, s[16:17]
.LBB613_220:                            ;   in Loop: Header=BB613_215 Depth=1
	s_or_b64 exec, exec, s[14:15]
.LBB613_221:                            ;   in Loop: Header=BB613_215 Depth=1
	s_or_b64 exec, exec, s[12:13]
	v_lshrrev_b16_e32 v42, 8, v36
	v_cmp_ne_u16_e32 vcc, 0, v42
	v_mov_b32_e32 v37, 0
	s_and_saveexec_b64 s[12:13], vcc
	s_cbranch_execz .LBB613_227
; %bb.222:                              ;   in Loop: Header=BB613_215 Depth=1
	v_cmp_ne_u16_e32 vcc, s9, v42
	v_bfrev_b32_e32 v37, 1
	s_and_saveexec_b64 s[14:15], vcc
	s_cbranch_execz .LBB613_226
; %bb.223:                              ;   in Loop: Header=BB613_215 Depth=1
	v_and_b32_e32 v44, 0x7f, v42
	v_cmp_ne_u32_e32 vcc, s19, v44
	v_mov_b32_e32 v37, 0x7f800001
	s_and_saveexec_b64 s[16:17], vcc
	s_cbranch_execz .LBB613_225
; %bb.224:                              ;   in Loop: Header=BB613_215 Depth=1
	v_and_b32_e32 v37, 7, v42
	v_ffbh_u32_e32 v56, v37
	v_min_u32_e32 v59, 32, v56
	v_subrev_u32_e32 v56, 28, v59
	v_lshlrev_b64 v[56:57], v56, v[42:43]
	v_lshrrev_b32_e32 v58, 3, v44
	v_sub_u32_e32 v42, 29, v59
	v_and_b32_e32 v56, 7, v56
	v_cmp_gt_u32_e32 vcc, 8, v44
	v_cndmask_b32_e32 v42, v58, v42, vcc
	v_cndmask_b32_e32 v37, v37, v56, vcc
	v_lshlrev_b32_e32 v44, 16, v36
	v_lshlrev_b32_e32 v37, 20, v37
	v_and_b32_e32 v44, 0x80000000, v44
	v_lshl_add_u32 v42, v42, 23, v55
	v_or3_b32 v37, v44, v42, v37
.LBB613_225:                            ;   in Loop: Header=BB613_215 Depth=1
	s_or_b64 exec, exec, s[16:17]
.LBB613_226:                            ;   in Loop: Header=BB613_215 Depth=1
	s_or_b64 exec, exec, s[14:15]
.LBB613_227:                            ;   in Loop: Header=BB613_215 Depth=1
	s_or_b64 exec, exec, s[12:13]
	v_lshrrev_b32_e32 v42, 16, v36
	v_cmp_ne_u16_sdwa s[14:15], v42, v54 src0_sel:BYTE_0 src1_sel:DWORD
	v_mov_b32_e32 v56, 0
	v_mov_b32_e32 v44, 0
	s_and_saveexec_b64 s[12:13], s[14:15]
	s_cbranch_execz .LBB613_233
; %bb.228:                              ;   in Loop: Header=BB613_215 Depth=1
	v_cmp_ne_u16_sdwa s[16:17], v42, s9 src0_sel:BYTE_0 src1_sel:DWORD
	v_bfrev_b32_e32 v44, 1
	s_and_saveexec_b64 s[14:15], s[16:17]
	s_cbranch_execz .LBB613_232
; %bb.229:                              ;   in Loop: Header=BB613_215 Depth=1
	v_bfe_u32 v57, v36, 16, 7
	v_cmp_ne_u32_e32 vcc, s19, v57
	v_mov_b32_e32 v44, 0x7f800001
	s_and_saveexec_b64 s[16:17], vcc
	s_cbranch_execz .LBB613_231
; %bb.230:                              ;   in Loop: Header=BB613_215 Depth=1
	v_and_b32_e32 v44, 7, v42
	v_ffbh_u32_e32 v58, v44
	v_min_u32_e32 v61, 32, v58
	v_subrev_u32_e32 v58, 28, v61
	v_lshlrev_b64 v[58:59], v58, v[42:43]
	v_lshrrev_b32_e32 v60, 3, v57
	v_sub_u32_e32 v59, 29, v61
	v_and_b32_e32 v58, 7, v58
	v_cmp_gt_u32_e32 vcc, 8, v57
	v_cndmask_b32_e32 v57, v60, v59, vcc
	v_cndmask_b32_e32 v44, v44, v58, vcc
	v_lshlrev_b32_e32 v42, 24, v42
	v_lshlrev_b32_e32 v44, 20, v44
	v_and_b32_e32 v42, 0x80000000, v42
	v_lshl_add_u32 v57, v57, 23, v55
	v_or3_b32 v44, v42, v57, v44
.LBB613_231:                            ;   in Loop: Header=BB613_215 Depth=1
	s_or_b64 exec, exec, s[16:17]
.LBB613_232:                            ;   in Loop: Header=BB613_215 Depth=1
	s_or_b64 exec, exec, s[14:15]
.LBB613_233:                            ;   in Loop: Header=BB613_215 Depth=1
	s_or_b64 exec, exec, s[12:13]
	v_cmp_lt_u32_e32 vcc, s20, v36
	s_and_saveexec_b64 s[12:13], vcc
	s_cbranch_execz .LBB613_239
; %bb.234:                              ;   in Loop: Header=BB613_215 Depth=1
	v_lshrrev_b32_e32 v42, 24, v36
	v_cmp_ne_u32_e32 vcc, s9, v42
	v_bfrev_b32_e32 v56, 1
	s_and_saveexec_b64 s[14:15], vcc
	s_cbranch_execz .LBB613_238
; %bb.235:                              ;   in Loop: Header=BB613_215 Depth=1
	v_bfe_u32 v36, v36, 24, 7
	v_cmp_ne_u32_e32 vcc, s19, v36
	v_mov_b32_e32 v56, 0x7f800001
	s_and_saveexec_b64 s[16:17], vcc
	s_cbranch_execz .LBB613_237
; %bb.236:                              ;   in Loop: Header=BB613_215 Depth=1
	v_and_b32_e32 v58, 7, v42
	v_ffbh_u32_e32 v56, v58
	v_min_u32_e32 v60, 32, v56
	v_subrev_u32_e32 v56, 28, v60
	v_lshlrev_b64 v[56:57], v56, v[42:43]
	v_lshrrev_b32_e32 v59, 3, v36
	v_sub_u32_e32 v57, 29, v60
	v_and_b32_e32 v56, 7, v56
	v_cmp_gt_u32_e32 vcc, 8, v36
	v_cndmask_b32_e32 v36, v59, v57, vcc
	v_cndmask_b32_e32 v56, v58, v56, vcc
	v_lshlrev_b32_e32 v42, 24, v42
	v_lshlrev_b32_e32 v56, 20, v56
	v_and_b32_e32 v42, 0x80000000, v42
	v_lshl_add_u32 v36, v36, 23, v55
	v_or3_b32 v56, v42, v36, v56
.LBB613_237:                            ;   in Loop: Header=BB613_215 Depth=1
	s_or_b64 exec, exec, s[16:17]
.LBB613_238:                            ;   in Loop: Header=BB613_215 Depth=1
	s_or_b64 exec, exec, s[14:15]
.LBB613_239:                            ;   in Loop: Header=BB613_215 Depth=1
	s_or_b64 exec, exec, s[12:13]
	s_waitcnt vmcnt(2)
	v_cmp_ne_u16_sdwa s[14:15], v34, v54 src0_sel:BYTE_0 src1_sel:DWORD
	v_mov_b32_e32 v42, 0
	v_mov_b32_e32 v57, 0
	s_and_saveexec_b64 s[12:13], s[14:15]
	s_cbranch_execz .LBB613_245
; %bb.240:                              ;   in Loop: Header=BB613_215 Depth=1
	v_cmp_ne_u16_sdwa s[16:17], v34, s9 src0_sel:BYTE_0 src1_sel:DWORD
	v_bfrev_b32_e32 v57, 1
	s_and_saveexec_b64 s[14:15], s[16:17]
	s_cbranch_execz .LBB613_244
; %bb.241:                              ;   in Loop: Header=BB613_215 Depth=1
	v_and_b32_e32 v36, 0x7f, v34
	v_cmp_ne_u32_e32 vcc, s19, v36
	v_mov_b32_e32 v57, 0x7f800001
	s_and_saveexec_b64 s[16:17], vcc
	s_cbranch_execz .LBB613_243
; %bb.242:                              ;   in Loop: Header=BB613_215 Depth=1
	v_and_b32_e32 v57, 7, v34
	v_ffbh_u32_e32 v58, v57
	v_min_u32_e32 v61, 32, v58
	v_subrev_u32_e32 v58, 28, v61
	v_lshlrev_b64 v[58:59], v58, v[34:35]
	v_lshrrev_b32_e32 v60, 3, v36
	v_sub_u32_e32 v59, 29, v61
	v_and_b32_e32 v58, 7, v58
	v_cmp_gt_u32_e32 vcc, 8, v36
	v_cndmask_b32_e32 v36, v60, v59, vcc
	v_cndmask_b32_e32 v57, v57, v58, vcc
	v_lshlrev_b32_e32 v58, 24, v34
	v_lshlrev_b32_e32 v57, 20, v57
	v_and_b32_e32 v58, 0x80000000, v58
	v_lshl_add_u32 v36, v36, 23, v55
	v_or3_b32 v57, v58, v36, v57
.LBB613_243:                            ;   in Loop: Header=BB613_215 Depth=1
	s_or_b64 exec, exec, s[16:17]
.LBB613_244:                            ;   in Loop: Header=BB613_215 Depth=1
	s_or_b64 exec, exec, s[14:15]
.LBB613_245:                            ;   in Loop: Header=BB613_215 Depth=1
	s_or_b64 exec, exec, s[12:13]
	v_lshrrev_b16_e32 v36, 8, v34
	v_cmp_ne_u16_e32 vcc, 0, v36
	s_and_saveexec_b64 s[12:13], vcc
	s_cbranch_execz .LBB613_251
; %bb.246:                              ;   in Loop: Header=BB613_215 Depth=1
	v_cmp_ne_u16_e32 vcc, s9, v36
	v_bfrev_b32_e32 v42, 1
	s_and_saveexec_b64 s[14:15], vcc
	s_cbranch_execz .LBB613_250
; %bb.247:                              ;   in Loop: Header=BB613_215 Depth=1
	v_and_b32_e32 v58, 0x7f, v36
	v_cmp_ne_u32_e32 vcc, s19, v58
	v_mov_b32_e32 v42, 0x7f800001
	s_and_saveexec_b64 s[16:17], vcc
	s_cbranch_execz .LBB613_249
; %bb.248:                              ;   in Loop: Header=BB613_215 Depth=1
	v_and_b32_e32 v42, 7, v36
	v_ffbh_u32_e32 v60, v42
	v_min_u32_e32 v62, 32, v60
	v_subrev_u32_e32 v60, 28, v62
	v_lshlrev_b64 v[60:61], v60, v[36:37]
	v_lshrrev_b32_e32 v59, 3, v58
	v_sub_u32_e32 v36, 29, v62
	v_and_b32_e32 v60, 7, v60
	v_cmp_gt_u32_e32 vcc, 8, v58
	v_cndmask_b32_e32 v36, v59, v36, vcc
	v_cndmask_b32_e32 v42, v42, v60, vcc
	v_lshlrev_b32_e32 v58, 16, v34
	v_lshlrev_b32_e32 v42, 20, v42
	v_and_b32_e32 v58, 0x80000000, v58
	v_lshl_add_u32 v36, v36, 23, v55
	v_or3_b32 v42, v58, v36, v42
.LBB613_249:                            ;   in Loop: Header=BB613_215 Depth=1
	s_or_b64 exec, exec, s[16:17]
.LBB613_250:                            ;   in Loop: Header=BB613_215 Depth=1
	s_or_b64 exec, exec, s[14:15]
.LBB613_251:                            ;   in Loop: Header=BB613_215 Depth=1
	s_or_b64 exec, exec, s[12:13]
	v_lshrrev_b32_e32 v36, 16, v34
	v_cmp_ne_u16_sdwa s[14:15], v36, v54 src0_sel:BYTE_0 src1_sel:DWORD
	v_mov_b32_e32 v59, 0
	v_mov_b32_e32 v58, 0
	s_and_saveexec_b64 s[12:13], s[14:15]
	s_cbranch_execz .LBB613_257
; %bb.252:                              ;   in Loop: Header=BB613_215 Depth=1
	v_cmp_ne_u16_sdwa s[16:17], v36, s9 src0_sel:BYTE_0 src1_sel:DWORD
	v_bfrev_b32_e32 v58, 1
	s_and_saveexec_b64 s[14:15], s[16:17]
	s_cbranch_execz .LBB613_256
; %bb.253:                              ;   in Loop: Header=BB613_215 Depth=1
	v_bfe_u32 v60, v34, 16, 7
	v_cmp_ne_u32_e32 vcc, s19, v60
	v_mov_b32_e32 v58, 0x7f800001
	s_and_saveexec_b64 s[16:17], vcc
	s_cbranch_execz .LBB613_255
; %bb.254:                              ;   in Loop: Header=BB613_215 Depth=1
	v_and_b32_e32 v58, 7, v36
	v_ffbh_u32_e32 v62, v58
	v_min_u32_e32 v64, 32, v62
	v_subrev_u32_e32 v62, 28, v64
	v_lshlrev_b64 v[62:63], v62, v[36:37]
	v_lshrrev_b32_e32 v61, 3, v60
	v_sub_u32_e32 v63, 29, v64
	v_and_b32_e32 v62, 7, v62
	v_cmp_gt_u32_e32 vcc, 8, v60
	v_cndmask_b32_e32 v60, v61, v63, vcc
	v_cndmask_b32_e32 v58, v58, v62, vcc
	v_lshlrev_b32_e32 v36, 24, v36
	v_lshlrev_b32_e32 v58, 20, v58
	v_and_b32_e32 v36, 0x80000000, v36
	v_lshl_add_u32 v60, v60, 23, v55
	v_or3_b32 v58, v36, v60, v58
.LBB613_255:                            ;   in Loop: Header=BB613_215 Depth=1
	s_or_b64 exec, exec, s[16:17]
.LBB613_256:                            ;   in Loop: Header=BB613_215 Depth=1
	s_or_b64 exec, exec, s[14:15]
.LBB613_257:                            ;   in Loop: Header=BB613_215 Depth=1
	s_or_b64 exec, exec, s[12:13]
	v_cmp_lt_u32_e32 vcc, s20, v34
	s_and_saveexec_b64 s[12:13], vcc
	s_cbranch_execz .LBB613_263
; %bb.258:                              ;   in Loop: Header=BB613_215 Depth=1
	v_lshrrev_b32_e32 v36, 24, v34
	v_cmp_ne_u32_e32 vcc, s9, v36
	v_bfrev_b32_e32 v59, 1
	s_and_saveexec_b64 s[14:15], vcc
	s_cbranch_execz .LBB613_262
; %bb.259:                              ;   in Loop: Header=BB613_215 Depth=1
	v_bfe_u32 v34, v34, 24, 7
	v_cmp_ne_u32_e32 vcc, s19, v34
	v_mov_b32_e32 v59, 0x7f800001
	s_and_saveexec_b64 s[16:17], vcc
	s_cbranch_execz .LBB613_261
; %bb.260:                              ;   in Loop: Header=BB613_215 Depth=1
	v_and_b32_e32 v59, 7, v36
	v_ffbh_u32_e32 v60, v59
	v_min_u32_e32 v63, 32, v60
	v_subrev_u32_e32 v60, 28, v63
	v_lshlrev_b64 v[60:61], v60, v[36:37]
	v_lshrrev_b32_e32 v62, 3, v34
	v_sub_u32_e32 v61, 29, v63
	v_and_b32_e32 v60, 7, v60
	v_cmp_gt_u32_e32 vcc, 8, v34
	v_cndmask_b32_e32 v34, v62, v61, vcc
	v_cndmask_b32_e32 v59, v59, v60, vcc
	v_lshlrev_b32_e32 v36, 24, v36
	v_lshlrev_b32_e32 v59, 20, v59
	v_and_b32_e32 v36, 0x80000000, v36
	v_lshl_add_u32 v34, v34, 23, v55
	v_or3_b32 v59, v36, v34, v59
.LBB613_261:                            ;   in Loop: Header=BB613_215 Depth=1
	s_or_b64 exec, exec, s[16:17]
.LBB613_262:                            ;   in Loop: Header=BB613_215 Depth=1
	s_or_b64 exec, exec, s[14:15]
.LBB613_263:                            ;   in Loop: Header=BB613_215 Depth=1
	s_or_b64 exec, exec, s[12:13]
	v_cvt_pkrtz_f16_f32 v34, v35, v37
	v_cvt_pkrtz_f16_f32 v35, v44, v56
	;; [unrolled: 1-line block ×4, first 2 shown]
	v_mov_b32_e32 v44, 0
	v_mfma_f32_16x16x16f16 v[34:37], v[34:35], v[2:3], 0
	s_waitcnt vmcnt(1)
	v_cmp_ne_u16_sdwa s[14:15], v40, v54 src0_sel:BYTE_0 src1_sel:DWORD
	v_mov_b32_e32 v57, 0
	v_mfma_f32_16x16x16f16 v[34:37], v[60:61], v[4:5], v[34:37]
	s_and_saveexec_b64 s[12:13], s[14:15]
	s_cbranch_execz .LBB613_269
; %bb.264:                              ;   in Loop: Header=BB613_215 Depth=1
	v_cmp_ne_u16_sdwa s[16:17], v40, s9 src0_sel:BYTE_0 src1_sel:DWORD
	v_bfrev_b32_e32 v57, 1
	s_and_saveexec_b64 s[14:15], s[16:17]
	s_cbranch_execz .LBB613_268
; %bb.265:                              ;   in Loop: Header=BB613_215 Depth=1
	v_and_b32_e32 v42, 0x7f, v40
	v_cmp_ne_u32_e32 vcc, s19, v42
	v_mov_b32_e32 v57, 0x7f800001
	s_and_saveexec_b64 s[16:17], vcc
	s_cbranch_execz .LBB613_267
; %bb.266:                              ;   in Loop: Header=BB613_215 Depth=1
	v_and_b32_e32 v58, 7, v40
	v_ffbh_u32_e32 v56, v58
	v_min_u32_e32 v60, 32, v56
	v_subrev_u32_e32 v56, 28, v60
	v_lshlrev_b64 v[56:57], v56, v[40:41]
	v_lshrrev_b32_e32 v59, 3, v42
	v_sub_u32_e32 v57, 29, v60
	v_and_b32_e32 v56, 7, v56
	v_cmp_gt_u32_e32 vcc, 8, v42
	v_cndmask_b32_e32 v42, v59, v57, vcc
	v_cndmask_b32_e32 v56, v58, v56, vcc
	v_lshlrev_b32_e32 v57, 24, v40
	v_lshlrev_b32_e32 v56, 20, v56
	v_and_b32_e32 v57, 0x80000000, v57
	v_lshl_add_u32 v42, v42, 23, v55
	v_or3_b32 v57, v57, v42, v56
.LBB613_267:                            ;   in Loop: Header=BB613_215 Depth=1
	s_or_b64 exec, exec, s[16:17]
.LBB613_268:                            ;   in Loop: Header=BB613_215 Depth=1
	s_or_b64 exec, exec, s[14:15]
.LBB613_269:                            ;   in Loop: Header=BB613_215 Depth=1
	s_or_b64 exec, exec, s[12:13]
	v_lshrrev_b16_e32 v42, 8, v40
	v_cmp_ne_u16_e32 vcc, 0, v42
	v_mov_b32_e32 v58, 0
	s_and_saveexec_b64 s[12:13], vcc
	s_cbranch_execz .LBB613_275
; %bb.270:                              ;   in Loop: Header=BB613_215 Depth=1
	v_cmp_ne_u16_e32 vcc, s9, v42
	v_bfrev_b32_e32 v58, 1
	s_and_saveexec_b64 s[14:15], vcc
	s_cbranch_execz .LBB613_274
; %bb.271:                              ;   in Loop: Header=BB613_215 Depth=1
	v_and_b32_e32 v56, 0x7f, v42
	v_cmp_ne_u32_e32 vcc, s19, v56
	v_mov_b32_e32 v58, 0x7f800001
	s_and_saveexec_b64 s[16:17], vcc
	s_cbranch_execz .LBB613_273
; %bb.272:                              ;   in Loop: Header=BB613_215 Depth=1
	v_and_b32_e32 v60, 7, v42
	v_ffbh_u32_e32 v58, v60
	v_min_u32_e32 v62, 32, v58
	v_subrev_u32_e32 v58, 28, v62
	v_lshlrev_b64 v[58:59], v58, v[42:43]
	v_lshrrev_b32_e32 v61, 3, v56
	v_sub_u32_e32 v42, 29, v62
	v_and_b32_e32 v58, 7, v58
	v_cmp_gt_u32_e32 vcc, 8, v56
	v_cndmask_b32_e32 v42, v61, v42, vcc
	v_cndmask_b32_e32 v56, v60, v58, vcc
	v_lshlrev_b32_e32 v58, 16, v40
	v_lshlrev_b32_e32 v56, 20, v56
	v_and_b32_e32 v58, 0x80000000, v58
	v_lshl_add_u32 v42, v42, 23, v55
	v_or3_b32 v58, v58, v42, v56
.LBB613_273:                            ;   in Loop: Header=BB613_215 Depth=1
	s_or_b64 exec, exec, s[16:17]
.LBB613_274:                            ;   in Loop: Header=BB613_215 Depth=1
	s_or_b64 exec, exec, s[14:15]
.LBB613_275:                            ;   in Loop: Header=BB613_215 Depth=1
	s_or_b64 exec, exec, s[12:13]
	v_lshrrev_b32_e32 v42, 16, v40
	v_cmp_ne_u16_sdwa s[14:15], v42, v54 src0_sel:BYTE_0 src1_sel:DWORD
	s_and_saveexec_b64 s[12:13], s[14:15]
	s_cbranch_execz .LBB613_281
; %bb.276:                              ;   in Loop: Header=BB613_215 Depth=1
	v_cmp_ne_u16_sdwa s[16:17], v42, s9 src0_sel:BYTE_0 src1_sel:DWORD
	v_bfrev_b32_e32 v44, 1
	s_and_saveexec_b64 s[14:15], s[16:17]
	s_cbranch_execz .LBB613_280
; %bb.277:                              ;   in Loop: Header=BB613_215 Depth=1
	v_bfe_u32 v56, v40, 16, 7
	v_cmp_ne_u32_e32 vcc, s19, v56
	v_mov_b32_e32 v44, 0x7f800001
	s_and_saveexec_b64 s[16:17], vcc
	s_cbranch_execz .LBB613_279
; %bb.278:                              ;   in Loop: Header=BB613_215 Depth=1
	v_and_b32_e32 v44, 7, v42
	v_ffbh_u32_e32 v60, v44
	v_min_u32_e32 v62, 32, v60
	v_subrev_u32_e32 v60, 28, v62
	v_lshlrev_b64 v[60:61], v60, v[42:43]
	v_lshrrev_b32_e32 v59, 3, v56
	v_sub_u32_e32 v61, 29, v62
	v_and_b32_e32 v60, 7, v60
	v_cmp_gt_u32_e32 vcc, 8, v56
	v_cndmask_b32_e32 v56, v59, v61, vcc
	v_cndmask_b32_e32 v44, v44, v60, vcc
	v_lshlrev_b32_e32 v42, 24, v42
	v_lshlrev_b32_e32 v44, 20, v44
	v_and_b32_e32 v42, 0x80000000, v42
	v_lshl_add_u32 v56, v56, 23, v55
	v_or3_b32 v44, v42, v56, v44
.LBB613_279:                            ;   in Loop: Header=BB613_215 Depth=1
	s_or_b64 exec, exec, s[16:17]
.LBB613_280:                            ;   in Loop: Header=BB613_215 Depth=1
	s_or_b64 exec, exec, s[14:15]
.LBB613_281:                            ;   in Loop: Header=BB613_215 Depth=1
	s_or_b64 exec, exec, s[12:13]
	v_cmp_lt_u32_e32 vcc, s20, v40
	v_mov_b32_e32 v59, 0
	v_mov_b32_e32 v60, 0
	s_and_saveexec_b64 s[12:13], vcc
	s_cbranch_execz .LBB613_287
; %bb.282:                              ;   in Loop: Header=BB613_215 Depth=1
	v_lshrrev_b32_e32 v42, 24, v40
	v_cmp_ne_u32_e32 vcc, s9, v42
	v_bfrev_b32_e32 v60, 1
	s_and_saveexec_b64 s[14:15], vcc
	s_cbranch_execz .LBB613_286
; %bb.283:                              ;   in Loop: Header=BB613_215 Depth=1
	v_bfe_u32 v40, v40, 24, 7
	v_cmp_ne_u32_e32 vcc, s19, v40
	v_mov_b32_e32 v60, 0x7f800001
	s_and_saveexec_b64 s[16:17], vcc
	s_cbranch_execz .LBB613_285
; %bb.284:                              ;   in Loop: Header=BB613_215 Depth=1
	v_and_b32_e32 v56, 7, v42
	v_ffbh_u32_e32 v60, v56
	v_min_u32_e32 v63, 32, v60
	v_subrev_u32_e32 v60, 28, v63
	v_lshlrev_b64 v[60:61], v60, v[42:43]
	v_lshrrev_b32_e32 v62, 3, v40
	v_sub_u32_e32 v61, 29, v63
	v_and_b32_e32 v60, 7, v60
	v_cmp_gt_u32_e32 vcc, 8, v40
	v_cndmask_b32_e32 v40, v62, v61, vcc
	v_cndmask_b32_e32 v56, v56, v60, vcc
	v_lshlrev_b32_e32 v42, 24, v42
	v_lshlrev_b32_e32 v56, 20, v56
	v_and_b32_e32 v42, 0x80000000, v42
	v_lshl_add_u32 v40, v40, 23, v55
	v_or3_b32 v60, v42, v40, v56
.LBB613_285:                            ;   in Loop: Header=BB613_215 Depth=1
	s_or_b64 exec, exec, s[16:17]
.LBB613_286:                            ;   in Loop: Header=BB613_215 Depth=1
	s_or_b64 exec, exec, s[14:15]
.LBB613_287:                            ;   in Loop: Header=BB613_215 Depth=1
	s_or_b64 exec, exec, s[12:13]
	s_waitcnt vmcnt(0)
	v_cmp_ne_u16_sdwa s[14:15], v38, v54 src0_sel:BYTE_0 src1_sel:DWORD
	s_and_saveexec_b64 s[12:13], s[14:15]
	s_cbranch_execz .LBB613_293
; %bb.288:                              ;   in Loop: Header=BB613_215 Depth=1
	v_cmp_ne_u16_sdwa s[16:17], v38, s9 src0_sel:BYTE_0 src1_sel:DWORD
	v_bfrev_b32_e32 v59, 1
	s_and_saveexec_b64 s[14:15], s[16:17]
	s_cbranch_execz .LBB613_292
; %bb.289:                              ;   in Loop: Header=BB613_215 Depth=1
	v_and_b32_e32 v40, 0x7f, v38
	v_cmp_ne_u32_e32 vcc, s19, v40
	v_mov_b32_e32 v59, 0x7f800001
	s_and_saveexec_b64 s[16:17], vcc
	s_cbranch_execz .LBB613_291
; %bb.290:                              ;   in Loop: Header=BB613_215 Depth=1
	v_and_b32_e32 v42, 7, v38
	v_ffbh_u32_e32 v59, v42
	v_min_u32_e32 v59, 32, v59
	v_subrev_u32_e32 v61, 28, v59
	v_lshlrev_b64 v[62:63], v61, v[38:39]
	v_lshrrev_b32_e32 v56, 3, v40
	v_sub_u32_e32 v59, 29, v59
	v_and_b32_e32 v61, 7, v62
	v_cmp_gt_u32_e32 vcc, 8, v40
	v_cndmask_b32_e32 v40, v56, v59, vcc
	v_cndmask_b32_e32 v42, v42, v61, vcc
	v_lshlrev_b32_e32 v56, 24, v38
	v_lshlrev_b32_e32 v42, 20, v42
	v_and_b32_e32 v56, 0x80000000, v56
	v_lshl_add_u32 v40, v40, 23, v55
	v_or3_b32 v59, v56, v40, v42
.LBB613_291:                            ;   in Loop: Header=BB613_215 Depth=1
	s_or_b64 exec, exec, s[16:17]
.LBB613_292:                            ;   in Loop: Header=BB613_215 Depth=1
	s_or_b64 exec, exec, s[14:15]
.LBB613_293:                            ;   in Loop: Header=BB613_215 Depth=1
	s_or_b64 exec, exec, s[12:13]
	v_lshrrev_b16_e32 v40, 8, v38
	v_cmp_ne_u16_e32 vcc, 0, v40
	v_mov_b32_e32 v61, 0
	v_mov_b32_e32 v62, 0
	s_and_saveexec_b64 s[12:13], vcc
	s_cbranch_execz .LBB613_299
; %bb.294:                              ;   in Loop: Header=BB613_215 Depth=1
	v_cmp_ne_u16_e32 vcc, s9, v40
	v_bfrev_b32_e32 v62, 1
	s_and_saveexec_b64 s[14:15], vcc
	s_cbranch_execz .LBB613_298
; %bb.295:                              ;   in Loop: Header=BB613_215 Depth=1
	v_and_b32_e32 v42, 0x7f, v40
	v_cmp_ne_u32_e32 vcc, s19, v42
	v_mov_b32_e32 v62, 0x7f800001
	s_and_saveexec_b64 s[16:17], vcc
	s_cbranch_execz .LBB613_297
; %bb.296:                              ;   in Loop: Header=BB613_215 Depth=1
	v_and_b32_e32 v56, 7, v40
	v_ffbh_u32_e32 v62, v56
	v_min_u32_e32 v65, 32, v62
	v_subrev_u32_e32 v62, 28, v65
	v_lshlrev_b64 v[62:63], v62, v[40:41]
	v_lshrrev_b32_e32 v64, 3, v42
	v_sub_u32_e32 v40, 29, v65
	v_and_b32_e32 v62, 7, v62
	v_cmp_gt_u32_e32 vcc, 8, v42
	v_cndmask_b32_e32 v40, v64, v40, vcc
	v_cndmask_b32_e32 v42, v56, v62, vcc
	v_lshlrev_b32_e32 v56, 16, v38
	v_lshlrev_b32_e32 v42, 20, v42
	v_and_b32_e32 v56, 0x80000000, v56
	v_lshl_add_u32 v40, v40, 23, v55
	v_or3_b32 v62, v56, v40, v42
.LBB613_297:                            ;   in Loop: Header=BB613_215 Depth=1
	s_or_b64 exec, exec, s[16:17]
.LBB613_298:                            ;   in Loop: Header=BB613_215 Depth=1
	s_or_b64 exec, exec, s[14:15]
.LBB613_299:                            ;   in Loop: Header=BB613_215 Depth=1
	s_or_b64 exec, exec, s[12:13]
	v_lshrrev_b32_e32 v40, 16, v38
	v_cmp_ne_u16_sdwa s[14:15], v40, v54 src0_sel:BYTE_0 src1_sel:DWORD
	s_and_saveexec_b64 s[12:13], s[14:15]
	s_cbranch_execz .LBB613_305
; %bb.300:                              ;   in Loop: Header=BB613_215 Depth=1
	v_cmp_ne_u16_sdwa s[16:17], v40, s9 src0_sel:BYTE_0 src1_sel:DWORD
	v_bfrev_b32_e32 v61, 1
	s_and_saveexec_b64 s[14:15], s[16:17]
	s_cbranch_execz .LBB613_304
; %bb.301:                              ;   in Loop: Header=BB613_215 Depth=1
	v_bfe_u32 v42, v38, 16, 7
	v_cmp_ne_u32_e32 vcc, s19, v42
	v_mov_b32_e32 v61, 0x7f800001
	s_and_saveexec_b64 s[16:17], vcc
	s_cbranch_execz .LBB613_303
; %bb.302:                              ;   in Loop: Header=BB613_215 Depth=1
	v_and_b32_e32 v56, 7, v40
	v_ffbh_u32_e32 v63, v56
	v_min_u32_e32 v63, 32, v63
	v_subrev_u32_e32 v64, 28, v63
	v_lshlrev_b64 v[64:65], v64, v[40:41]
	v_lshrrev_b32_e32 v61, 3, v42
	v_sub_u32_e32 v63, 29, v63
	v_and_b32_e32 v64, 7, v64
	v_cmp_gt_u32_e32 vcc, 8, v42
	v_cndmask_b32_e32 v42, v61, v63, vcc
	v_cndmask_b32_e32 v56, v56, v64, vcc
	v_lshlrev_b32_e32 v40, 24, v40
	v_lshlrev_b32_e32 v56, 20, v56
	v_and_b32_e32 v40, 0x80000000, v40
	v_lshl_add_u32 v42, v42, 23, v55
	v_or3_b32 v61, v40, v42, v56
.LBB613_303:                            ;   in Loop: Header=BB613_215 Depth=1
	s_or_b64 exec, exec, s[16:17]
.LBB613_304:                            ;   in Loop: Header=BB613_215 Depth=1
	s_or_b64 exec, exec, s[14:15]
.LBB613_305:                            ;   in Loop: Header=BB613_215 Depth=1
	s_or_b64 exec, exec, s[12:13]
	v_cmp_lt_u32_e32 vcc, s20, v38
	v_mov_b32_e32 v56, 0
	v_mov_b32_e32 v63, 0
	s_and_saveexec_b64 s[12:13], vcc
	s_cbranch_execz .LBB613_311
; %bb.306:                              ;   in Loop: Header=BB613_215 Depth=1
	v_lshrrev_b32_e32 v40, 24, v38
	v_cmp_ne_u32_e32 vcc, s9, v40
	v_bfrev_b32_e32 v63, 1
	s_and_saveexec_b64 s[14:15], vcc
	s_cbranch_execz .LBB613_310
; %bb.307:                              ;   in Loop: Header=BB613_215 Depth=1
	v_bfe_u32 v38, v38, 24, 7
	v_cmp_ne_u32_e32 vcc, s19, v38
	v_mov_b32_e32 v63, 0x7f800001
	s_and_saveexec_b64 s[16:17], vcc
	s_cbranch_execz .LBB613_309
; %bb.308:                              ;   in Loop: Header=BB613_215 Depth=1
	v_and_b32_e32 v42, 7, v40
	v_ffbh_u32_e32 v64, v42
	v_min_u32_e32 v66, 32, v64
	v_subrev_u32_e32 v64, 28, v66
	v_lshlrev_b64 v[64:65], v64, v[40:41]
	v_lshrrev_b32_e32 v63, 3, v38
	v_sub_u32_e32 v65, 29, v66
	v_and_b32_e32 v64, 7, v64
	v_cmp_gt_u32_e32 vcc, 8, v38
	v_cndmask_b32_e32 v38, v63, v65, vcc
	v_cndmask_b32_e32 v42, v42, v64, vcc
	v_lshlrev_b32_e32 v40, 24, v40
	v_lshlrev_b32_e32 v42, 20, v42
	v_and_b32_e32 v40, 0x80000000, v40
	v_lshl_add_u32 v38, v38, 23, v55
	v_or3_b32 v63, v40, v38, v42
.LBB613_309:                            ;   in Loop: Header=BB613_215 Depth=1
	s_or_b64 exec, exec, s[16:17]
.LBB613_310:                            ;   in Loop: Header=BB613_215 Depth=1
	s_or_b64 exec, exec, s[14:15]
.LBB613_311:                            ;   in Loop: Header=BB613_215 Depth=1
	s_or_b64 exec, exec, s[12:13]
	v_cvt_pkrtz_f16_f32 v65, v44, v60
	buffer_load_dword v44, v46, s[0:3], 0 offen
	buffer_load_dword v42, v46, s[0:3], 0 offen offset:4
	buffer_load_dword v40, v46, s[0:3], 0 offen offset:8
	;; [unrolled: 1-line block ×3, first 2 shown]
	v_cvt_pkrtz_f16_f32 v64, v57, v58
	v_cvt_pkrtz_f16_f32 v58, v59, v62
	;; [unrolled: 1-line block ×3, first 2 shown]
	v_mfma_f32_16x16x16f16 v[34:37], v[64:65], v[6:7], v[34:37]
	s_waitcnt vmcnt(3)
	v_cmp_ne_u16_sdwa s[14:15], v44, v54 src0_sel:BYTE_0 src1_sel:DWORD
	v_mfma_f32_16x16x16f16 v[34:37], v[58:59], v[8:9], v[34:37]
	s_and_saveexec_b64 s[12:13], s[14:15]
	s_cbranch_execz .LBB613_317
; %bb.312:                              ;   in Loop: Header=BB613_215 Depth=1
	v_cmp_ne_u16_sdwa s[16:17], v44, s9 src0_sel:BYTE_0 src1_sel:DWORD
	v_bfrev_b32_e32 v56, 1
	s_and_saveexec_b64 s[14:15], s[16:17]
	s_cbranch_execz .LBB613_316
; %bb.313:                              ;   in Loop: Header=BB613_215 Depth=1
	v_and_b32_e32 v46, 0x7f, v44
	v_cmp_ne_u32_e32 vcc, s19, v46
	v_mov_b32_e32 v56, 0x7f800001
	s_and_saveexec_b64 s[16:17], vcc
	s_cbranch_execz .LBB613_315
; %bb.314:                              ;   in Loop: Header=BB613_215 Depth=1
	v_and_b32_e32 v58, 7, v44
	v_ffbh_u32_e32 v56, v58
	v_min_u32_e32 v60, 32, v56
	v_subrev_u32_e32 v56, 28, v60
	v_lshlrev_b64 v[56:57], v56, v[44:45]
	v_lshrrev_b32_e32 v59, 3, v46
	v_sub_u32_e32 v57, 29, v60
	v_and_b32_e32 v56, 7, v56
	v_cmp_gt_u32_e32 vcc, 8, v46
	v_cndmask_b32_e32 v46, v59, v57, vcc
	v_cndmask_b32_e32 v56, v58, v56, vcc
	v_lshlrev_b32_e32 v57, 24, v44
	v_lshlrev_b32_e32 v56, 20, v56
	v_and_b32_e32 v57, 0x80000000, v57
	v_lshl_add_u32 v46, v46, 23, v55
	v_or3_b32 v56, v57, v46, v56
.LBB613_315:                            ;   in Loop: Header=BB613_215 Depth=1
	s_or_b64 exec, exec, s[16:17]
.LBB613_316:                            ;   in Loop: Header=BB613_215 Depth=1
	s_or_b64 exec, exec, s[14:15]
.LBB613_317:                            ;   in Loop: Header=BB613_215 Depth=1
	s_or_b64 exec, exec, s[12:13]
	v_lshrrev_b16_e32 v46, 8, v44
	v_cmp_ne_u16_e32 vcc, 0, v46
	v_mov_b32_e32 v57, 0
	v_mov_b32_e32 v58, 0
	s_and_saveexec_b64 s[12:13], vcc
	s_cbranch_execz .LBB613_323
; %bb.318:                              ;   in Loop: Header=BB613_215 Depth=1
	v_cmp_ne_u16_e32 vcc, s9, v46
	v_bfrev_b32_e32 v58, 1
	s_and_saveexec_b64 s[14:15], vcc
	s_cbranch_execz .LBB613_322
; %bb.319:                              ;   in Loop: Header=BB613_215 Depth=1
	v_and_b32_e32 v59, 0x7f, v46
	v_cmp_ne_u32_e32 vcc, s19, v59
	v_mov_b32_e32 v58, 0x7f800001
	s_and_saveexec_b64 s[16:17], vcc
	s_cbranch_execz .LBB613_321
; %bb.320:                              ;   in Loop: Header=BB613_215 Depth=1
	v_and_b32_e32 v58, 7, v46
	v_ffbh_u32_e32 v60, v58
	v_min_u32_e32 v63, 32, v60
	v_subrev_u32_e32 v60, 28, v63
	v_lshlrev_b64 v[60:61], v60, v[46:47]
	v_lshrrev_b32_e32 v62, 3, v59
	v_sub_u32_e32 v46, 29, v63
	v_and_b32_e32 v60, 7, v60
	v_cmp_gt_u32_e32 vcc, 8, v59
	v_cndmask_b32_e32 v46, v62, v46, vcc
	v_cndmask_b32_e32 v58, v58, v60, vcc
	v_lshlrev_b32_e32 v59, 16, v44
	v_lshlrev_b32_e32 v58, 20, v58
	v_and_b32_e32 v59, 0x80000000, v59
	v_lshl_add_u32 v46, v46, 23, v55
	v_or3_b32 v58, v59, v46, v58
.LBB613_321:                            ;   in Loop: Header=BB613_215 Depth=1
	s_or_b64 exec, exec, s[16:17]
.LBB613_322:                            ;   in Loop: Header=BB613_215 Depth=1
	s_or_b64 exec, exec, s[14:15]
.LBB613_323:                            ;   in Loop: Header=BB613_215 Depth=1
	s_or_b64 exec, exec, s[12:13]
	v_lshrrev_b32_e32 v46, 16, v44
	v_cmp_ne_u16_sdwa s[14:15], v46, v54 src0_sel:BYTE_0 src1_sel:DWORD
	s_and_saveexec_b64 s[12:13], s[14:15]
	s_cbranch_execz .LBB613_329
; %bb.324:                              ;   in Loop: Header=BB613_215 Depth=1
	v_cmp_ne_u16_sdwa s[16:17], v46, s9 src0_sel:BYTE_0 src1_sel:DWORD
	v_bfrev_b32_e32 v57, 1
	s_and_saveexec_b64 s[14:15], s[16:17]
	s_cbranch_execz .LBB613_328
; %bb.325:                              ;   in Loop: Header=BB613_215 Depth=1
	v_bfe_u32 v59, v44, 16, 7
	v_cmp_ne_u32_e32 vcc, s19, v59
	v_mov_b32_e32 v57, 0x7f800001
	s_and_saveexec_b64 s[16:17], vcc
	s_cbranch_execz .LBB613_327
; %bb.326:                              ;   in Loop: Header=BB613_215 Depth=1
	v_and_b32_e32 v57, 7, v46
	v_ffbh_u32_e32 v60, v57
	v_min_u32_e32 v63, 32, v60
	v_subrev_u32_e32 v60, 28, v63
	v_lshlrev_b64 v[60:61], v60, v[46:47]
	v_lshrrev_b32_e32 v62, 3, v59
	v_sub_u32_e32 v61, 29, v63
	v_and_b32_e32 v60, 7, v60
	v_cmp_gt_u32_e32 vcc, 8, v59
	v_cndmask_b32_e32 v59, v62, v61, vcc
	v_cndmask_b32_e32 v57, v57, v60, vcc
	v_lshlrev_b32_e32 v46, 24, v46
	v_lshlrev_b32_e32 v57, 20, v57
	v_and_b32_e32 v46, 0x80000000, v46
	v_lshl_add_u32 v59, v59, 23, v55
	v_or3_b32 v57, v46, v59, v57
.LBB613_327:                            ;   in Loop: Header=BB613_215 Depth=1
	s_or_b64 exec, exec, s[16:17]
.LBB613_328:                            ;   in Loop: Header=BB613_215 Depth=1
	s_or_b64 exec, exec, s[14:15]
.LBB613_329:                            ;   in Loop: Header=BB613_215 Depth=1
	s_or_b64 exec, exec, s[12:13]
	v_cmp_lt_u32_e32 vcc, s20, v44
	v_mov_b32_e32 v59, 0
	v_mov_b32_e32 v60, 0
	s_and_saveexec_b64 s[12:13], vcc
	s_cbranch_execz .LBB613_335
; %bb.330:                              ;   in Loop: Header=BB613_215 Depth=1
	v_lshrrev_b32_e32 v46, 24, v44
	v_cmp_ne_u32_e32 vcc, s9, v46
	v_bfrev_b32_e32 v60, 1
	s_and_saveexec_b64 s[14:15], vcc
	s_cbranch_execz .LBB613_334
; %bb.331:                              ;   in Loop: Header=BB613_215 Depth=1
	v_bfe_u32 v44, v44, 24, 7
	v_cmp_ne_u32_e32 vcc, s19, v44
	v_mov_b32_e32 v60, 0x7f800001
	s_and_saveexec_b64 s[16:17], vcc
	s_cbranch_execz .LBB613_333
; %bb.332:                              ;   in Loop: Header=BB613_215 Depth=1
	v_and_b32_e32 v62, 7, v46
	v_ffbh_u32_e32 v60, v62
	v_min_u32_e32 v64, 32, v60
	v_subrev_u32_e32 v60, 28, v64
	v_lshlrev_b64 v[60:61], v60, v[46:47]
	v_lshrrev_b32_e32 v63, 3, v44
	v_sub_u32_e32 v61, 29, v64
	v_and_b32_e32 v60, 7, v60
	v_cmp_gt_u32_e32 vcc, 8, v44
	v_cndmask_b32_e32 v44, v63, v61, vcc
	v_cndmask_b32_e32 v60, v62, v60, vcc
	v_lshlrev_b32_e32 v46, 24, v46
	v_lshlrev_b32_e32 v60, 20, v60
	v_and_b32_e32 v46, 0x80000000, v46
	v_lshl_add_u32 v44, v44, 23, v55
	v_or3_b32 v60, v46, v44, v60
.LBB613_333:                            ;   in Loop: Header=BB613_215 Depth=1
	s_or_b64 exec, exec, s[16:17]
.LBB613_334:                            ;   in Loop: Header=BB613_215 Depth=1
	s_or_b64 exec, exec, s[14:15]
.LBB613_335:                            ;   in Loop: Header=BB613_215 Depth=1
	s_or_b64 exec, exec, s[12:13]
	s_waitcnt vmcnt(2)
	v_cmp_ne_u16_sdwa s[14:15], v42, v54 src0_sel:BYTE_0 src1_sel:DWORD
	s_and_saveexec_b64 s[12:13], s[14:15]
	s_cbranch_execz .LBB613_341
; %bb.336:                              ;   in Loop: Header=BB613_215 Depth=1
	v_cmp_ne_u16_sdwa s[16:17], v42, s9 src0_sel:BYTE_0 src1_sel:DWORD
	v_bfrev_b32_e32 v59, 1
	s_and_saveexec_b64 s[14:15], s[16:17]
	s_cbranch_execz .LBB613_340
; %bb.337:                              ;   in Loop: Header=BB613_215 Depth=1
	v_and_b32_e32 v44, 0x7f, v42
	v_cmp_ne_u32_e32 vcc, s19, v44
	v_mov_b32_e32 v59, 0x7f800001
	s_and_saveexec_b64 s[16:17], vcc
	s_cbranch_execz .LBB613_339
; %bb.338:                              ;   in Loop: Header=BB613_215 Depth=1
	v_and_b32_e32 v46, 7, v42
	v_ffbh_u32_e32 v61, v46
	v_min_u32_e32 v61, 32, v61
	v_subrev_u32_e32 v62, 28, v61
	v_lshlrev_b64 v[62:63], v62, v[42:43]
	v_lshrrev_b32_e32 v59, 3, v44
	v_sub_u32_e32 v61, 29, v61
	v_and_b32_e32 v62, 7, v62
	v_cmp_gt_u32_e32 vcc, 8, v44
	v_cndmask_b32_e32 v44, v59, v61, vcc
	v_cndmask_b32_e32 v46, v46, v62, vcc
	v_lshlrev_b32_e32 v59, 24, v42
	v_lshlrev_b32_e32 v46, 20, v46
	v_and_b32_e32 v59, 0x80000000, v59
	v_lshl_add_u32 v44, v44, 23, v55
	v_or3_b32 v59, v59, v44, v46
.LBB613_339:                            ;   in Loop: Header=BB613_215 Depth=1
	s_or_b64 exec, exec, s[16:17]
.LBB613_340:                            ;   in Loop: Header=BB613_215 Depth=1
	s_or_b64 exec, exec, s[14:15]
.LBB613_341:                            ;   in Loop: Header=BB613_215 Depth=1
	s_or_b64 exec, exec, s[12:13]
	v_lshrrev_b16_e32 v44, 8, v42
	v_cmp_ne_u16_e32 vcc, 0, v44
	v_mov_b32_e32 v61, 0
	v_mov_b32_e32 v62, 0
	s_and_saveexec_b64 s[12:13], vcc
	s_cbranch_execz .LBB613_347
; %bb.342:                              ;   in Loop: Header=BB613_215 Depth=1
	v_cmp_ne_u16_e32 vcc, s9, v44
	v_bfrev_b32_e32 v62, 1
	s_and_saveexec_b64 s[14:15], vcc
	s_cbranch_execz .LBB613_346
; %bb.343:                              ;   in Loop: Header=BB613_215 Depth=1
	v_and_b32_e32 v46, 0x7f, v44
	v_cmp_ne_u32_e32 vcc, s19, v46
	v_mov_b32_e32 v62, 0x7f800001
	s_and_saveexec_b64 s[16:17], vcc
	s_cbranch_execz .LBB613_345
; %bb.344:                              ;   in Loop: Header=BB613_215 Depth=1
	v_and_b32_e32 v64, 7, v44
	v_ffbh_u32_e32 v62, v64
	v_min_u32_e32 v66, 32, v62
	v_subrev_u32_e32 v62, 28, v66
	v_lshlrev_b64 v[62:63], v62, v[44:45]
	v_lshrrev_b32_e32 v65, 3, v46
	v_sub_u32_e32 v44, 29, v66
	v_and_b32_e32 v62, 7, v62
	v_cmp_gt_u32_e32 vcc, 8, v46
	v_cndmask_b32_e32 v44, v65, v44, vcc
	v_cndmask_b32_e32 v46, v64, v62, vcc
	v_lshlrev_b32_e32 v62, 16, v42
	v_lshlrev_b32_e32 v46, 20, v46
	v_and_b32_e32 v62, 0x80000000, v62
	v_lshl_add_u32 v44, v44, 23, v55
	v_or3_b32 v62, v62, v44, v46
.LBB613_345:                            ;   in Loop: Header=BB613_215 Depth=1
	s_or_b64 exec, exec, s[16:17]
.LBB613_346:                            ;   in Loop: Header=BB613_215 Depth=1
	s_or_b64 exec, exec, s[14:15]
.LBB613_347:                            ;   in Loop: Header=BB613_215 Depth=1
	s_or_b64 exec, exec, s[12:13]
	v_lshrrev_b32_e32 v44, 16, v42
	v_cmp_ne_u16_sdwa s[14:15], v44, v54 src0_sel:BYTE_0 src1_sel:DWORD
	s_and_saveexec_b64 s[12:13], s[14:15]
	s_cbranch_execz .LBB613_353
; %bb.348:                              ;   in Loop: Header=BB613_215 Depth=1
	v_cmp_ne_u16_sdwa s[16:17], v44, s9 src0_sel:BYTE_0 src1_sel:DWORD
	v_bfrev_b32_e32 v61, 1
	s_and_saveexec_b64 s[14:15], s[16:17]
	s_cbranch_execz .LBB613_352
; %bb.349:                              ;   in Loop: Header=BB613_215 Depth=1
	v_bfe_u32 v46, v42, 16, 7
	v_cmp_ne_u32_e32 vcc, s19, v46
	v_mov_b32_e32 v61, 0x7f800001
	s_and_saveexec_b64 s[16:17], vcc
	s_cbranch_execz .LBB613_351
; %bb.350:                              ;   in Loop: Header=BB613_215 Depth=1
	v_and_b32_e32 v61, 7, v44
	v_ffbh_u32_e32 v64, v61
	v_min_u32_e32 v66, 32, v64
	v_subrev_u32_e32 v64, 28, v66
	v_lshlrev_b64 v[64:65], v64, v[44:45]
	v_lshrrev_b32_e32 v63, 3, v46
	v_sub_u32_e32 v65, 29, v66
	v_and_b32_e32 v64, 7, v64
	v_cmp_gt_u32_e32 vcc, 8, v46
	v_cndmask_b32_e32 v46, v63, v65, vcc
	v_cndmask_b32_e32 v61, v61, v64, vcc
	v_lshlrev_b32_e32 v44, 24, v44
	v_lshlrev_b32_e32 v61, 20, v61
	v_and_b32_e32 v44, 0x80000000, v44
	v_lshl_add_u32 v46, v46, 23, v55
	v_or3_b32 v61, v44, v46, v61
.LBB613_351:                            ;   in Loop: Header=BB613_215 Depth=1
	s_or_b64 exec, exec, s[16:17]
.LBB613_352:                            ;   in Loop: Header=BB613_215 Depth=1
	s_or_b64 exec, exec, s[14:15]
.LBB613_353:                            ;   in Loop: Header=BB613_215 Depth=1
	s_or_b64 exec, exec, s[12:13]
	v_cmp_lt_u32_e32 vcc, s20, v42
	v_mov_b32_e32 v46, 0
	v_mov_b32_e32 v63, 0
	s_and_saveexec_b64 s[12:13], vcc
	s_cbranch_execz .LBB613_359
; %bb.354:                              ;   in Loop: Header=BB613_215 Depth=1
	v_lshrrev_b32_e32 v44, 24, v42
	v_cmp_ne_u32_e32 vcc, s9, v44
	v_bfrev_b32_e32 v63, 1
	s_and_saveexec_b64 s[14:15], vcc
	s_cbranch_execz .LBB613_358
; %bb.355:                              ;   in Loop: Header=BB613_215 Depth=1
	v_bfe_u32 v42, v42, 24, 7
	v_cmp_ne_u32_e32 vcc, s19, v42
	v_mov_b32_e32 v63, 0x7f800001
	s_and_saveexec_b64 s[16:17], vcc
	s_cbranch_execz .LBB613_357
; %bb.356:                              ;   in Loop: Header=BB613_215 Depth=1
	v_and_b32_e32 v63, 7, v44
	v_ffbh_u32_e32 v64, v63
	v_min_u32_e32 v67, 32, v64
	v_subrev_u32_e32 v64, 28, v67
	v_lshlrev_b64 v[64:65], v64, v[44:45]
	v_lshrrev_b32_e32 v66, 3, v42
	v_sub_u32_e32 v65, 29, v67
	v_and_b32_e32 v64, 7, v64
	v_cmp_gt_u32_e32 vcc, 8, v42
	v_cndmask_b32_e32 v42, v66, v65, vcc
	v_cndmask_b32_e32 v63, v63, v64, vcc
	v_lshlrev_b32_e32 v44, 24, v44
	v_lshlrev_b32_e32 v63, 20, v63
	v_and_b32_e32 v44, 0x80000000, v44
	v_lshl_add_u32 v42, v42, 23, v55
	v_or3_b32 v63, v44, v42, v63
.LBB613_357:                            ;   in Loop: Header=BB613_215 Depth=1
	s_or_b64 exec, exec, s[16:17]
.LBB613_358:                            ;   in Loop: Header=BB613_215 Depth=1
	s_or_b64 exec, exec, s[14:15]
.LBB613_359:                            ;   in Loop: Header=BB613_215 Depth=1
	s_or_b64 exec, exec, s[12:13]
	v_cvt_pkrtz_f16_f32 v56, v56, v58
	v_cvt_pkrtz_f16_f32 v57, v57, v60
	s_waitcnt vmcnt(1)
	v_cmp_ne_u16_sdwa s[14:15], v40, v54 src0_sel:BYTE_0 src1_sel:DWORD
	v_mfma_f32_16x16x16f16 v[34:37], v[56:57], v[10:11], v[34:37]
	v_cvt_pkrtz_f16_f32 v56, v59, v62
	v_cvt_pkrtz_f16_f32 v57, v61, v63
	s_nop 1
	v_mfma_f32_16x16x16f16 v[34:37], v[56:57], v[12:13], v[34:37]
	s_and_saveexec_b64 s[12:13], s[14:15]
	s_cbranch_execz .LBB613_365
; %bb.360:                              ;   in Loop: Header=BB613_215 Depth=1
	v_cmp_ne_u16_sdwa s[16:17], v40, s9 src0_sel:BYTE_0 src1_sel:DWORD
	v_bfrev_b32_e32 v46, 1
	s_and_saveexec_b64 s[14:15], s[16:17]
	s_cbranch_execz .LBB613_364
; %bb.361:                              ;   in Loop: Header=BB613_215 Depth=1
	v_and_b32_e32 v42, 0x7f, v40
	v_cmp_ne_u32_e32 vcc, s19, v42
	v_mov_b32_e32 v46, 0x7f800001
	s_and_saveexec_b64 s[16:17], vcc
	s_cbranch_execz .LBB613_363
; %bb.362:                              ;   in Loop: Header=BB613_215 Depth=1
	v_and_b32_e32 v44, 7, v40
	v_ffbh_u32_e32 v56, v44
	v_min_u32_e32 v58, 32, v56
	v_subrev_u32_e32 v56, 28, v58
	v_lshlrev_b64 v[56:57], v56, v[40:41]
	v_lshrrev_b32_e32 v46, 3, v42
	v_sub_u32_e32 v57, 29, v58
	v_and_b32_e32 v56, 7, v56
	v_cmp_gt_u32_e32 vcc, 8, v42
	v_cndmask_b32_e32 v42, v46, v57, vcc
	v_cndmask_b32_e32 v44, v44, v56, vcc
	v_lshlrev_b32_e32 v46, 24, v40
	v_lshlrev_b32_e32 v44, 20, v44
	v_and_b32_e32 v46, 0x80000000, v46
	v_lshl_add_u32 v42, v42, 23, v55
	v_or3_b32 v46, v46, v42, v44
.LBB613_363:                            ;   in Loop: Header=BB613_215 Depth=1
	s_or_b64 exec, exec, s[16:17]
.LBB613_364:                            ;   in Loop: Header=BB613_215 Depth=1
	s_or_b64 exec, exec, s[14:15]
.LBB613_365:                            ;   in Loop: Header=BB613_215 Depth=1
	s_or_b64 exec, exec, s[12:13]
	v_lshrrev_b16_e32 v42, 8, v40
	v_cmp_ne_u16_e32 vcc, 0, v42
	v_mov_b32_e32 v44, 0
	v_mov_b32_e32 v57, 0
	s_and_saveexec_b64 s[12:13], vcc
	s_cbranch_execz .LBB613_371
; %bb.366:                              ;   in Loop: Header=BB613_215 Depth=1
	v_cmp_ne_u16_e32 vcc, s9, v42
	v_bfrev_b32_e32 v57, 1
	s_and_saveexec_b64 s[14:15], vcc
	s_cbranch_execz .LBB613_370
; %bb.367:                              ;   in Loop: Header=BB613_215 Depth=1
	v_and_b32_e32 v56, 0x7f, v42
	v_cmp_ne_u32_e32 vcc, s19, v56
	v_mov_b32_e32 v57, 0x7f800001
	s_and_saveexec_b64 s[16:17], vcc
	s_cbranch_execz .LBB613_369
; %bb.368:                              ;   in Loop: Header=BB613_215 Depth=1
	v_and_b32_e32 v57, 7, v42
	v_ffbh_u32_e32 v58, v57
	v_min_u32_e32 v61, 32, v58
	v_subrev_u32_e32 v58, 28, v61
	v_lshlrev_b64 v[58:59], v58, v[42:43]
	v_lshrrev_b32_e32 v60, 3, v56
	v_sub_u32_e32 v42, 29, v61
	v_and_b32_e32 v58, 7, v58
	v_cmp_gt_u32_e32 vcc, 8, v56
	v_cndmask_b32_e32 v42, v60, v42, vcc
	v_cndmask_b32_e32 v56, v57, v58, vcc
	v_lshlrev_b32_e32 v57, 16, v40
	v_lshlrev_b32_e32 v56, 20, v56
	v_and_b32_e32 v57, 0x80000000, v57
	v_lshl_add_u32 v42, v42, 23, v55
	v_or3_b32 v57, v57, v42, v56
.LBB613_369:                            ;   in Loop: Header=BB613_215 Depth=1
	s_or_b64 exec, exec, s[16:17]
.LBB613_370:                            ;   in Loop: Header=BB613_215 Depth=1
	s_or_b64 exec, exec, s[14:15]
.LBB613_371:                            ;   in Loop: Header=BB613_215 Depth=1
	s_or_b64 exec, exec, s[12:13]
	v_lshrrev_b32_e32 v42, 16, v40
	v_cmp_ne_u16_sdwa s[14:15], v42, v54 src0_sel:BYTE_0 src1_sel:DWORD
	s_and_saveexec_b64 s[12:13], s[14:15]
	s_cbranch_execz .LBB613_377
; %bb.372:                              ;   in Loop: Header=BB613_215 Depth=1
	v_cmp_ne_u16_sdwa s[16:17], v42, s9 src0_sel:BYTE_0 src1_sel:DWORD
	v_bfrev_b32_e32 v44, 1
	s_and_saveexec_b64 s[14:15], s[16:17]
	s_cbranch_execz .LBB613_376
; %bb.373:                              ;   in Loop: Header=BB613_215 Depth=1
	v_bfe_u32 v56, v40, 16, 7
	v_cmp_ne_u32_e32 vcc, s19, v56
	v_mov_b32_e32 v44, 0x7f800001
	s_and_saveexec_b64 s[16:17], vcc
	s_cbranch_execz .LBB613_375
; %bb.374:                              ;   in Loop: Header=BB613_215 Depth=1
	v_and_b32_e32 v44, 7, v42
	v_ffbh_u32_e32 v58, v44
	v_min_u32_e32 v61, 32, v58
	v_subrev_u32_e32 v58, 28, v61
	v_lshlrev_b64 v[58:59], v58, v[42:43]
	v_lshrrev_b32_e32 v60, 3, v56
	v_sub_u32_e32 v59, 29, v61
	v_and_b32_e32 v58, 7, v58
	v_cmp_gt_u32_e32 vcc, 8, v56
	v_cndmask_b32_e32 v56, v60, v59, vcc
	v_cndmask_b32_e32 v44, v44, v58, vcc
	v_lshlrev_b32_e32 v42, 24, v42
	v_lshlrev_b32_e32 v44, 20, v44
	v_and_b32_e32 v42, 0x80000000, v42
	v_lshl_add_u32 v56, v56, 23, v55
	v_or3_b32 v44, v42, v56, v44
.LBB613_375:                            ;   in Loop: Header=BB613_215 Depth=1
	s_or_b64 exec, exec, s[16:17]
.LBB613_376:                            ;   in Loop: Header=BB613_215 Depth=1
	s_or_b64 exec, exec, s[14:15]
.LBB613_377:                            ;   in Loop: Header=BB613_215 Depth=1
	s_or_b64 exec, exec, s[12:13]
	v_cmp_lt_u32_e32 vcc, s20, v40
	v_mov_b32_e32 v58, 0
	v_mov_b32_e32 v59, 0
	s_and_saveexec_b64 s[12:13], vcc
	s_cbranch_execz .LBB613_383
; %bb.378:                              ;   in Loop: Header=BB613_215 Depth=1
	v_lshrrev_b32_e32 v42, 24, v40
	v_cmp_ne_u32_e32 vcc, s9, v42
	v_bfrev_b32_e32 v59, 1
	s_and_saveexec_b64 s[14:15], vcc
	s_cbranch_execz .LBB613_382
; %bb.379:                              ;   in Loop: Header=BB613_215 Depth=1
	v_bfe_u32 v40, v40, 24, 7
	v_cmp_ne_u32_e32 vcc, s19, v40
	v_mov_b32_e32 v59, 0x7f800001
	s_and_saveexec_b64 s[16:17], vcc
	s_cbranch_execz .LBB613_381
; %bb.380:                              ;   in Loop: Header=BB613_215 Depth=1
	v_and_b32_e32 v56, 7, v42
	v_ffbh_u32_e32 v60, v56
	v_min_u32_e32 v62, 32, v60
	v_subrev_u32_e32 v60, 28, v62
	v_lshlrev_b64 v[60:61], v60, v[42:43]
	v_lshrrev_b32_e32 v59, 3, v40
	v_sub_u32_e32 v61, 29, v62
	v_and_b32_e32 v60, 7, v60
	v_cmp_gt_u32_e32 vcc, 8, v40
	v_cndmask_b32_e32 v40, v59, v61, vcc
	v_cndmask_b32_e32 v56, v56, v60, vcc
	v_lshlrev_b32_e32 v42, 24, v42
	v_lshlrev_b32_e32 v56, 20, v56
	v_and_b32_e32 v42, 0x80000000, v42
	v_lshl_add_u32 v40, v40, 23, v55
	v_or3_b32 v59, v42, v40, v56
.LBB613_381:                            ;   in Loop: Header=BB613_215 Depth=1
	s_or_b64 exec, exec, s[16:17]
.LBB613_382:                            ;   in Loop: Header=BB613_215 Depth=1
	s_or_b64 exec, exec, s[14:15]
.LBB613_383:                            ;   in Loop: Header=BB613_215 Depth=1
	s_or_b64 exec, exec, s[12:13]
	s_waitcnt vmcnt(0)
	v_cmp_ne_u16_sdwa s[14:15], v38, v54 src0_sel:BYTE_0 src1_sel:DWORD
	s_and_saveexec_b64 s[12:13], s[14:15]
	s_cbranch_execz .LBB613_389
; %bb.384:                              ;   in Loop: Header=BB613_215 Depth=1
	v_cmp_ne_u16_sdwa s[16:17], v38, s9 src0_sel:BYTE_0 src1_sel:DWORD
	v_bfrev_b32_e32 v58, 1
	s_and_saveexec_b64 s[14:15], s[16:17]
	s_cbranch_execz .LBB613_388
; %bb.385:                              ;   in Loop: Header=BB613_215 Depth=1
	v_and_b32_e32 v40, 0x7f, v38
	v_cmp_ne_u32_e32 vcc, s19, v40
	v_mov_b32_e32 v58, 0x7f800001
	s_and_saveexec_b64 s[16:17], vcc
	s_cbranch_execz .LBB613_387
; %bb.386:                              ;   in Loop: Header=BB613_215 Depth=1
	v_and_b32_e32 v42, 7, v38
	v_ffbh_u32_e32 v58, v42
	v_min_u32_e32 v58, 32, v58
	v_subrev_u32_e32 v60, 28, v58
	v_lshlrev_b64 v[60:61], v60, v[38:39]
	v_lshrrev_b32_e32 v56, 3, v40
	v_sub_u32_e32 v58, 29, v58
	v_and_b32_e32 v60, 7, v60
	v_cmp_gt_u32_e32 vcc, 8, v40
	v_cndmask_b32_e32 v40, v56, v58, vcc
	v_cndmask_b32_e32 v42, v42, v60, vcc
	v_lshlrev_b32_e32 v56, 24, v38
	v_lshlrev_b32_e32 v42, 20, v42
	v_and_b32_e32 v56, 0x80000000, v56
	v_lshl_add_u32 v40, v40, 23, v55
	v_or3_b32 v58, v56, v40, v42
.LBB613_387:                            ;   in Loop: Header=BB613_215 Depth=1
	s_or_b64 exec, exec, s[16:17]
.LBB613_388:                            ;   in Loop: Header=BB613_215 Depth=1
	s_or_b64 exec, exec, s[14:15]
.LBB613_389:                            ;   in Loop: Header=BB613_215 Depth=1
	s_or_b64 exec, exec, s[12:13]
	v_lshrrev_b16_e32 v40, 8, v38
	v_cmp_ne_u16_e32 vcc, 0, v40
	v_mov_b32_e32 v60, 0
	v_mov_b32_e32 v61, 0
	s_and_saveexec_b64 s[12:13], vcc
	s_cbranch_execz .LBB613_395
; %bb.390:                              ;   in Loop: Header=BB613_215 Depth=1
	v_cmp_ne_u16_e32 vcc, s9, v40
	v_bfrev_b32_e32 v61, 1
	s_and_saveexec_b64 s[14:15], vcc
	s_cbranch_execz .LBB613_394
; %bb.391:                              ;   in Loop: Header=BB613_215 Depth=1
	v_and_b32_e32 v42, 0x7f, v40
	v_cmp_ne_u32_e32 vcc, s19, v42
	v_mov_b32_e32 v61, 0x7f800001
	s_and_saveexec_b64 s[16:17], vcc
	s_cbranch_execz .LBB613_393
; %bb.392:                              ;   in Loop: Header=BB613_215 Depth=1
	v_and_b32_e32 v56, 7, v40
	v_ffbh_u32_e32 v62, v56
	v_min_u32_e32 v64, 32, v62
	v_subrev_u32_e32 v62, 28, v64
	v_lshlrev_b64 v[62:63], v62, v[40:41]
	v_lshrrev_b32_e32 v61, 3, v42
	v_sub_u32_e32 v40, 29, v64
	v_and_b32_e32 v62, 7, v62
	v_cmp_gt_u32_e32 vcc, 8, v42
	v_cndmask_b32_e32 v40, v61, v40, vcc
	v_cndmask_b32_e32 v42, v56, v62, vcc
	v_lshlrev_b32_e32 v56, 16, v38
	v_lshlrev_b32_e32 v42, 20, v42
	v_and_b32_e32 v56, 0x80000000, v56
	v_lshl_add_u32 v40, v40, 23, v55
	v_or3_b32 v61, v56, v40, v42
.LBB613_393:                            ;   in Loop: Header=BB613_215 Depth=1
	s_or_b64 exec, exec, s[16:17]
.LBB613_394:                            ;   in Loop: Header=BB613_215 Depth=1
	s_or_b64 exec, exec, s[14:15]
.LBB613_395:                            ;   in Loop: Header=BB613_215 Depth=1
	s_or_b64 exec, exec, s[12:13]
	v_lshrrev_b32_e32 v40, 16, v38
	v_cmp_ne_u16_sdwa s[14:15], v40, v54 src0_sel:BYTE_0 src1_sel:DWORD
	s_and_saveexec_b64 s[12:13], s[14:15]
	s_cbranch_execz .LBB613_401
; %bb.396:                              ;   in Loop: Header=BB613_215 Depth=1
	v_cmp_ne_u16_sdwa s[16:17], v40, s9 src0_sel:BYTE_0 src1_sel:DWORD
	v_bfrev_b32_e32 v60, 1
	s_and_saveexec_b64 s[14:15], s[16:17]
	s_cbranch_execz .LBB613_400
; %bb.397:                              ;   in Loop: Header=BB613_215 Depth=1
	v_bfe_u32 v42, v38, 16, 7
	v_cmp_ne_u32_e32 vcc, s19, v42
	v_mov_b32_e32 v60, 0x7f800001
	s_and_saveexec_b64 s[16:17], vcc
	s_cbranch_execz .LBB613_399
; %bb.398:                              ;   in Loop: Header=BB613_215 Depth=1
	v_and_b32_e32 v56, 7, v40
	v_ffbh_u32_e32 v62, v56
	v_min_u32_e32 v64, 32, v62
	v_subrev_u32_e32 v62, 28, v64
	v_lshlrev_b64 v[62:63], v62, v[40:41]
	v_lshrrev_b32_e32 v60, 3, v42
	v_sub_u32_e32 v63, 29, v64
	v_and_b32_e32 v62, 7, v62
	v_cmp_gt_u32_e32 vcc, 8, v42
	v_cndmask_b32_e32 v42, v60, v63, vcc
	v_cndmask_b32_e32 v56, v56, v62, vcc
	v_lshlrev_b32_e32 v40, 24, v40
	v_lshlrev_b32_e32 v56, 20, v56
	v_and_b32_e32 v40, 0x80000000, v40
	v_lshl_add_u32 v42, v42, 23, v55
	v_or3_b32 v60, v40, v42, v56
.LBB613_399:                            ;   in Loop: Header=BB613_215 Depth=1
	s_or_b64 exec, exec, s[16:17]
.LBB613_400:                            ;   in Loop: Header=BB613_215 Depth=1
	s_or_b64 exec, exec, s[14:15]
.LBB613_401:                            ;   in Loop: Header=BB613_215 Depth=1
	s_or_b64 exec, exec, s[12:13]
	v_cmp_lt_u32_e32 vcc, s20, v38
	v_mov_b32_e32 v56, 0
	v_mov_b32_e32 v62, 0
	s_and_saveexec_b64 s[12:13], vcc
	s_cbranch_execz .LBB613_407
; %bb.402:                              ;   in Loop: Header=BB613_215 Depth=1
	v_lshrrev_b32_e32 v40, 24, v38
	v_cmp_ne_u32_e32 vcc, s9, v40
	v_bfrev_b32_e32 v62, 1
	s_and_saveexec_b64 s[14:15], vcc
	s_cbranch_execz .LBB613_406
; %bb.403:                              ;   in Loop: Header=BB613_215 Depth=1
	v_bfe_u32 v38, v38, 24, 7
	v_cmp_ne_u32_e32 vcc, s19, v38
	v_mov_b32_e32 v62, 0x7f800001
	s_and_saveexec_b64 s[16:17], vcc
	s_cbranch_execz .LBB613_405
; %bb.404:                              ;   in Loop: Header=BB613_215 Depth=1
	v_and_b32_e32 v42, 7, v40
	v_ffbh_u32_e32 v62, v42
	v_min_u32_e32 v65, 32, v62
	v_subrev_u32_e32 v62, 28, v65
	v_lshlrev_b64 v[62:63], v62, v[40:41]
	v_lshrrev_b32_e32 v64, 3, v38
	v_sub_u32_e32 v63, 29, v65
	v_and_b32_e32 v62, 7, v62
	v_cmp_gt_u32_e32 vcc, 8, v38
	v_cndmask_b32_e32 v38, v64, v63, vcc
	v_cndmask_b32_e32 v42, v42, v62, vcc
	v_lshlrev_b32_e32 v40, 24, v40
	v_lshlrev_b32_e32 v42, 20, v42
	v_and_b32_e32 v40, 0x80000000, v40
	v_lshl_add_u32 v38, v38, 23, v55
	v_or3_b32 v62, v40, v38, v42
.LBB613_405:                            ;   in Loop: Header=BB613_215 Depth=1
	s_or_b64 exec, exec, s[16:17]
.LBB613_406:                            ;   in Loop: Header=BB613_215 Depth=1
	s_or_b64 exec, exec, s[14:15]
.LBB613_407:                            ;   in Loop: Header=BB613_215 Depth=1
	s_or_b64 exec, exec, s[12:13]
	v_cvt_pkrtz_f16_f32 v65, v44, v59
	buffer_load_dword v44, v51, s[0:3], 0 offen
	buffer_load_dword v42, v51, s[0:3], 0 offen offset:4
	buffer_load_dword v40, v51, s[0:3], 0 offen offset:8
	;; [unrolled: 1-line block ×3, first 2 shown]
	v_cvt_pkrtz_f16_f32 v64, v46, v57
	v_cvt_pkrtz_f16_f32 v58, v58, v61
	;; [unrolled: 1-line block ×3, first 2 shown]
	v_mfma_f32_16x16x16f16 v[34:37], v[64:65], v[14:15], v[34:37]
	s_waitcnt vmcnt(3)
	v_cmp_ne_u16_sdwa s[14:15], v44, v54 src0_sel:BYTE_0 src1_sel:DWORD
	v_mfma_f32_16x16x16f16 v[34:37], v[58:59], v[16:17], v[34:37]
	s_and_saveexec_b64 s[12:13], s[14:15]
	s_cbranch_execz .LBB613_413
; %bb.408:                              ;   in Loop: Header=BB613_215 Depth=1
	v_cmp_ne_u16_sdwa s[16:17], v44, s9 src0_sel:BYTE_0 src1_sel:DWORD
	v_bfrev_b32_e32 v56, 1
	s_and_saveexec_b64 s[14:15], s[16:17]
	s_cbranch_execz .LBB613_412
; %bb.409:                              ;   in Loop: Header=BB613_215 Depth=1
	v_and_b32_e32 v46, 0x7f, v44
	v_cmp_ne_u32_e32 vcc, s19, v46
	v_mov_b32_e32 v56, 0x7f800001
	s_and_saveexec_b64 s[16:17], vcc
	s_cbranch_execz .LBB613_411
; %bb.410:                              ;   in Loop: Header=BB613_215 Depth=1
	v_and_b32_e32 v51, 7, v44
	v_ffbh_u32_e32 v56, v51
	v_min_u32_e32 v59, 32, v56
	v_subrev_u32_e32 v56, 28, v59
	v_lshlrev_b64 v[56:57], v56, v[44:45]
	v_lshrrev_b32_e32 v58, 3, v46
	v_sub_u32_e32 v57, 29, v59
	v_and_b32_e32 v56, 7, v56
	v_cmp_gt_u32_e32 vcc, 8, v46
	v_cndmask_b32_e32 v46, v58, v57, vcc
	v_cndmask_b32_e32 v51, v51, v56, vcc
	v_lshlrev_b32_e32 v56, 24, v44
	v_lshlrev_b32_e32 v51, 20, v51
	v_and_b32_e32 v56, 0x80000000, v56
	v_lshl_add_u32 v46, v46, 23, v55
	v_or3_b32 v56, v56, v46, v51
.LBB613_411:                            ;   in Loop: Header=BB613_215 Depth=1
	s_or_b64 exec, exec, s[16:17]
.LBB613_412:                            ;   in Loop: Header=BB613_215 Depth=1
	s_or_b64 exec, exec, s[14:15]
.LBB613_413:                            ;   in Loop: Header=BB613_215 Depth=1
	s_or_b64 exec, exec, s[12:13]
	v_lshrrev_b16_e32 v46, 8, v44
	v_cmp_ne_u16_e32 vcc, 0, v46
	v_mov_b32_e32 v51, 0
	v_mov_b32_e32 v57, 0
	s_and_saveexec_b64 s[12:13], vcc
	s_cbranch_execz .LBB613_419
; %bb.414:                              ;   in Loop: Header=BB613_215 Depth=1
	v_cmp_ne_u16_e32 vcc, s9, v46
	v_bfrev_b32_e32 v57, 1
	s_and_saveexec_b64 s[14:15], vcc
	s_cbranch_execz .LBB613_418
; %bb.415:                              ;   in Loop: Header=BB613_215 Depth=1
	v_and_b32_e32 v58, 0x7f, v46
	v_cmp_ne_u32_e32 vcc, s19, v58
	v_mov_b32_e32 v57, 0x7f800001
	s_and_saveexec_b64 s[16:17], vcc
	s_cbranch_execz .LBB613_417
; %bb.416:                              ;   in Loop: Header=BB613_215 Depth=1
	v_and_b32_e32 v57, 7, v46
	v_ffbh_u32_e32 v60, v57
	v_min_u32_e32 v62, 32, v60
	v_subrev_u32_e32 v60, 28, v62
	v_lshlrev_b64 v[60:61], v60, v[46:47]
	v_lshrrev_b32_e32 v59, 3, v58
	v_sub_u32_e32 v46, 29, v62
	v_and_b32_e32 v60, 7, v60
	v_cmp_gt_u32_e32 vcc, 8, v58
	v_cndmask_b32_e32 v46, v59, v46, vcc
	v_cndmask_b32_e32 v57, v57, v60, vcc
	v_lshlrev_b32_e32 v58, 16, v44
	v_lshlrev_b32_e32 v57, 20, v57
	v_and_b32_e32 v58, 0x80000000, v58
	v_lshl_add_u32 v46, v46, 23, v55
	v_or3_b32 v57, v58, v46, v57
.LBB613_417:                            ;   in Loop: Header=BB613_215 Depth=1
	s_or_b64 exec, exec, s[16:17]
.LBB613_418:                            ;   in Loop: Header=BB613_215 Depth=1
	s_or_b64 exec, exec, s[14:15]
.LBB613_419:                            ;   in Loop: Header=BB613_215 Depth=1
	s_or_b64 exec, exec, s[12:13]
	v_lshrrev_b32_e32 v46, 16, v44
	v_cmp_ne_u16_sdwa s[14:15], v46, v54 src0_sel:BYTE_0 src1_sel:DWORD
	s_and_saveexec_b64 s[12:13], s[14:15]
	s_cbranch_execz .LBB613_425
; %bb.420:                              ;   in Loop: Header=BB613_215 Depth=1
	v_cmp_ne_u16_sdwa s[16:17], v46, s9 src0_sel:BYTE_0 src1_sel:DWORD
	v_bfrev_b32_e32 v51, 1
	s_and_saveexec_b64 s[14:15], s[16:17]
	s_cbranch_execz .LBB613_424
; %bb.421:                              ;   in Loop: Header=BB613_215 Depth=1
	v_bfe_u32 v58, v44, 16, 7
	v_cmp_ne_u32_e32 vcc, s19, v58
	v_mov_b32_e32 v51, 0x7f800001
	s_and_saveexec_b64 s[16:17], vcc
	s_cbranch_execz .LBB613_423
; %bb.422:                              ;   in Loop: Header=BB613_215 Depth=1
	v_and_b32_e32 v51, 7, v46
	v_ffbh_u32_e32 v60, v51
	v_min_u32_e32 v62, 32, v60
	v_subrev_u32_e32 v60, 28, v62
	v_lshlrev_b64 v[60:61], v60, v[46:47]
	v_lshrrev_b32_e32 v59, 3, v58
	v_sub_u32_e32 v61, 29, v62
	v_and_b32_e32 v60, 7, v60
	v_cmp_gt_u32_e32 vcc, 8, v58
	v_cndmask_b32_e32 v58, v59, v61, vcc
	v_cndmask_b32_e32 v51, v51, v60, vcc
	v_lshlrev_b32_e32 v46, 24, v46
	v_lshlrev_b32_e32 v51, 20, v51
	v_and_b32_e32 v46, 0x80000000, v46
	v_lshl_add_u32 v58, v58, 23, v55
	v_or3_b32 v51, v46, v58, v51
.LBB613_423:                            ;   in Loop: Header=BB613_215 Depth=1
	s_or_b64 exec, exec, s[16:17]
.LBB613_424:                            ;   in Loop: Header=BB613_215 Depth=1
	s_or_b64 exec, exec, s[14:15]
.LBB613_425:                            ;   in Loop: Header=BB613_215 Depth=1
	s_or_b64 exec, exec, s[12:13]
	v_cmp_lt_u32_e32 vcc, s20, v44
	v_mov_b32_e32 v58, 0
	v_mov_b32_e32 v59, 0
	s_and_saveexec_b64 s[12:13], vcc
	s_cbranch_execz .LBB613_431
; %bb.426:                              ;   in Loop: Header=BB613_215 Depth=1
	v_lshrrev_b32_e32 v46, 24, v44
	v_cmp_ne_u32_e32 vcc, s9, v46
	v_bfrev_b32_e32 v59, 1
	s_and_saveexec_b64 s[14:15], vcc
	s_cbranch_execz .LBB613_430
; %bb.427:                              ;   in Loop: Header=BB613_215 Depth=1
	v_bfe_u32 v44, v44, 24, 7
	v_cmp_ne_u32_e32 vcc, s19, v44
	v_mov_b32_e32 v59, 0x7f800001
	s_and_saveexec_b64 s[16:17], vcc
	s_cbranch_execz .LBB613_429
; %bb.428:                              ;   in Loop: Header=BB613_215 Depth=1
	v_and_b32_e32 v59, 7, v46
	v_ffbh_u32_e32 v60, v59
	v_min_u32_e32 v63, 32, v60
	v_subrev_u32_e32 v60, 28, v63
	v_lshlrev_b64 v[60:61], v60, v[46:47]
	v_lshrrev_b32_e32 v62, 3, v44
	v_sub_u32_e32 v61, 29, v63
	v_and_b32_e32 v60, 7, v60
	v_cmp_gt_u32_e32 vcc, 8, v44
	v_cndmask_b32_e32 v44, v62, v61, vcc
	v_cndmask_b32_e32 v59, v59, v60, vcc
	v_lshlrev_b32_e32 v46, 24, v46
	v_lshlrev_b32_e32 v59, 20, v59
	v_and_b32_e32 v46, 0x80000000, v46
	v_lshl_add_u32 v44, v44, 23, v55
	v_or3_b32 v59, v46, v44, v59
.LBB613_429:                            ;   in Loop: Header=BB613_215 Depth=1
	s_or_b64 exec, exec, s[16:17]
.LBB613_430:                            ;   in Loop: Header=BB613_215 Depth=1
	s_or_b64 exec, exec, s[14:15]
.LBB613_431:                            ;   in Loop: Header=BB613_215 Depth=1
	s_or_b64 exec, exec, s[12:13]
	s_waitcnt vmcnt(2)
	v_cmp_ne_u16_sdwa s[14:15], v42, v54 src0_sel:BYTE_0 src1_sel:DWORD
	s_and_saveexec_b64 s[12:13], s[14:15]
	s_cbranch_execz .LBB613_437
; %bb.432:                              ;   in Loop: Header=BB613_215 Depth=1
	v_cmp_ne_u16_sdwa s[16:17], v42, s9 src0_sel:BYTE_0 src1_sel:DWORD
	v_bfrev_b32_e32 v58, 1
	s_and_saveexec_b64 s[14:15], s[16:17]
	s_cbranch_execz .LBB613_436
; %bb.433:                              ;   in Loop: Header=BB613_215 Depth=1
	v_and_b32_e32 v44, 0x7f, v42
	v_cmp_ne_u32_e32 vcc, s19, v44
	v_mov_b32_e32 v58, 0x7f800001
	s_and_saveexec_b64 s[16:17], vcc
	s_cbranch_execz .LBB613_435
; %bb.434:                              ;   in Loop: Header=BB613_215 Depth=1
	v_and_b32_e32 v46, 7, v42
	v_ffbh_u32_e32 v60, v46
	v_min_u32_e32 v62, 32, v60
	v_subrev_u32_e32 v60, 28, v62
	v_lshlrev_b64 v[60:61], v60, v[42:43]
	v_lshrrev_b32_e32 v58, 3, v44
	v_sub_u32_e32 v61, 29, v62
	v_and_b32_e32 v60, 7, v60
	v_cmp_gt_u32_e32 vcc, 8, v44
	v_cndmask_b32_e32 v44, v58, v61, vcc
	v_cndmask_b32_e32 v46, v46, v60, vcc
	v_lshlrev_b32_e32 v58, 24, v42
	v_lshlrev_b32_e32 v46, 20, v46
	v_and_b32_e32 v58, 0x80000000, v58
	v_lshl_add_u32 v44, v44, 23, v55
	v_or3_b32 v58, v58, v44, v46
.LBB613_435:                            ;   in Loop: Header=BB613_215 Depth=1
	s_or_b64 exec, exec, s[16:17]
.LBB613_436:                            ;   in Loop: Header=BB613_215 Depth=1
	s_or_b64 exec, exec, s[14:15]
.LBB613_437:                            ;   in Loop: Header=BB613_215 Depth=1
	s_or_b64 exec, exec, s[12:13]
	v_lshrrev_b16_e32 v44, 8, v42
	v_cmp_ne_u16_e32 vcc, 0, v44
	v_mov_b32_e32 v60, 0
	v_mov_b32_e32 v61, 0
	s_and_saveexec_b64 s[12:13], vcc
	s_cbranch_execz .LBB613_443
; %bb.438:                              ;   in Loop: Header=BB613_215 Depth=1
	v_cmp_ne_u16_e32 vcc, s9, v44
	v_bfrev_b32_e32 v61, 1
	s_and_saveexec_b64 s[14:15], vcc
	s_cbranch_execz .LBB613_442
; %bb.439:                              ;   in Loop: Header=BB613_215 Depth=1
	v_and_b32_e32 v46, 0x7f, v44
	v_cmp_ne_u32_e32 vcc, s19, v46
	v_mov_b32_e32 v61, 0x7f800001
	s_and_saveexec_b64 s[16:17], vcc
	s_cbranch_execz .LBB613_441
; %bb.440:                              ;   in Loop: Header=BB613_215 Depth=1
	v_and_b32_e32 v61, 7, v44
	v_ffbh_u32_e32 v62, v61
	v_min_u32_e32 v65, 32, v62
	v_subrev_u32_e32 v62, 28, v65
	v_lshlrev_b64 v[62:63], v62, v[44:45]
	v_lshrrev_b32_e32 v64, 3, v46
	v_sub_u32_e32 v44, 29, v65
	v_and_b32_e32 v62, 7, v62
	v_cmp_gt_u32_e32 vcc, 8, v46
	v_cndmask_b32_e32 v44, v64, v44, vcc
	v_cndmask_b32_e32 v46, v61, v62, vcc
	v_lshlrev_b32_e32 v61, 16, v42
	v_lshlrev_b32_e32 v46, 20, v46
	v_and_b32_e32 v61, 0x80000000, v61
	v_lshl_add_u32 v44, v44, 23, v55
	v_or3_b32 v61, v61, v44, v46
.LBB613_441:                            ;   in Loop: Header=BB613_215 Depth=1
	s_or_b64 exec, exec, s[16:17]
.LBB613_442:                            ;   in Loop: Header=BB613_215 Depth=1
	s_or_b64 exec, exec, s[14:15]
.LBB613_443:                            ;   in Loop: Header=BB613_215 Depth=1
	s_or_b64 exec, exec, s[12:13]
	v_lshrrev_b32_e32 v44, 16, v42
	v_cmp_ne_u16_sdwa s[14:15], v44, v54 src0_sel:BYTE_0 src1_sel:DWORD
	s_and_saveexec_b64 s[12:13], s[14:15]
	s_cbranch_execz .LBB613_449
; %bb.444:                              ;   in Loop: Header=BB613_215 Depth=1
	v_cmp_ne_u16_sdwa s[16:17], v44, s9 src0_sel:BYTE_0 src1_sel:DWORD
	v_bfrev_b32_e32 v60, 1
	s_and_saveexec_b64 s[14:15], s[16:17]
	s_cbranch_execz .LBB613_448
; %bb.445:                              ;   in Loop: Header=BB613_215 Depth=1
	v_bfe_u32 v46, v42, 16, 7
	v_cmp_ne_u32_e32 vcc, s19, v46
	v_mov_b32_e32 v60, 0x7f800001
	s_and_saveexec_b64 s[16:17], vcc
	s_cbranch_execz .LBB613_447
; %bb.446:                              ;   in Loop: Header=BB613_215 Depth=1
	v_and_b32_e32 v60, 7, v44
	v_ffbh_u32_e32 v62, v60
	v_min_u32_e32 v65, 32, v62
	v_subrev_u32_e32 v62, 28, v65
	v_lshlrev_b64 v[62:63], v62, v[44:45]
	v_lshrrev_b32_e32 v64, 3, v46
	v_sub_u32_e32 v63, 29, v65
	v_and_b32_e32 v62, 7, v62
	v_cmp_gt_u32_e32 vcc, 8, v46
	v_cndmask_b32_e32 v46, v64, v63, vcc
	v_cndmask_b32_e32 v60, v60, v62, vcc
	v_lshlrev_b32_e32 v44, 24, v44
	v_lshlrev_b32_e32 v60, 20, v60
	v_and_b32_e32 v44, 0x80000000, v44
	v_lshl_add_u32 v46, v46, 23, v55
	v_or3_b32 v60, v44, v46, v60
.LBB613_447:                            ;   in Loop: Header=BB613_215 Depth=1
	s_or_b64 exec, exec, s[16:17]
.LBB613_448:                            ;   in Loop: Header=BB613_215 Depth=1
	s_or_b64 exec, exec, s[14:15]
.LBB613_449:                            ;   in Loop: Header=BB613_215 Depth=1
	s_or_b64 exec, exec, s[12:13]
	v_cmp_lt_u32_e32 vcc, s20, v42
	v_mov_b32_e32 v46, 0
	v_mov_b32_e32 v62, 0
	s_and_saveexec_b64 s[12:13], vcc
	s_cbranch_execz .LBB613_455
; %bb.450:                              ;   in Loop: Header=BB613_215 Depth=1
	v_lshrrev_b32_e32 v44, 24, v42
	v_cmp_ne_u32_e32 vcc, s9, v44
	v_bfrev_b32_e32 v62, 1
	s_and_saveexec_b64 s[14:15], vcc
	s_cbranch_execz .LBB613_454
; %bb.451:                              ;   in Loop: Header=BB613_215 Depth=1
	v_bfe_u32 v42, v42, 24, 7
	v_cmp_ne_u32_e32 vcc, s19, v42
	v_mov_b32_e32 v62, 0x7f800001
	s_and_saveexec_b64 s[16:17], vcc
	s_cbranch_execz .LBB613_453
; %bb.452:                              ;   in Loop: Header=BB613_215 Depth=1
	v_and_b32_e32 v64, 7, v44
	v_ffbh_u32_e32 v62, v64
	v_min_u32_e32 v66, 32, v62
	v_subrev_u32_e32 v62, 28, v66
	v_lshlrev_b64 v[62:63], v62, v[44:45]
	v_lshrrev_b32_e32 v65, 3, v42
	v_sub_u32_e32 v63, 29, v66
	v_and_b32_e32 v62, 7, v62
	v_cmp_gt_u32_e32 vcc, 8, v42
	v_cndmask_b32_e32 v42, v65, v63, vcc
	v_cndmask_b32_e32 v62, v64, v62, vcc
	v_lshlrev_b32_e32 v44, 24, v44
	v_lshlrev_b32_e32 v62, 20, v62
	v_and_b32_e32 v44, 0x80000000, v44
	v_lshl_add_u32 v42, v42, 23, v55
	v_or3_b32 v62, v44, v42, v62
.LBB613_453:                            ;   in Loop: Header=BB613_215 Depth=1
	s_or_b64 exec, exec, s[16:17]
.LBB613_454:                            ;   in Loop: Header=BB613_215 Depth=1
	s_or_b64 exec, exec, s[14:15]
.LBB613_455:                            ;   in Loop: Header=BB613_215 Depth=1
	s_or_b64 exec, exec, s[12:13]
	v_cvt_pkrtz_f16_f32 v56, v56, v57
	v_cvt_pkrtz_f16_f32 v57, v51, v59
	s_waitcnt vmcnt(1)
	v_cmp_ne_u16_sdwa s[14:15], v40, v54 src0_sel:BYTE_0 src1_sel:DWORD
	v_mfma_f32_16x16x16f16 v[34:37], v[56:57], v[18:19], v[34:37]
	v_cvt_pkrtz_f16_f32 v56, v58, v61
	v_cvt_pkrtz_f16_f32 v57, v60, v62
	s_nop 1
	v_mfma_f32_16x16x16f16 v[34:37], v[56:57], v[20:21], v[34:37]
	s_and_saveexec_b64 s[12:13], s[14:15]
	s_cbranch_execz .LBB613_461
; %bb.456:                              ;   in Loop: Header=BB613_215 Depth=1
	v_cmp_ne_u16_sdwa s[16:17], v40, s9 src0_sel:BYTE_0 src1_sel:DWORD
	v_bfrev_b32_e32 v46, 1
	s_and_saveexec_b64 s[14:15], s[16:17]
	s_cbranch_execz .LBB613_460
; %bb.457:                              ;   in Loop: Header=BB613_215 Depth=1
	v_and_b32_e32 v42, 0x7f, v40
	v_cmp_ne_u32_e32 vcc, s19, v42
	v_mov_b32_e32 v46, 0x7f800001
	s_and_saveexec_b64 s[16:17], vcc
	s_cbranch_execz .LBB613_459
; %bb.458:                              ;   in Loop: Header=BB613_215 Depth=1
	v_and_b32_e32 v44, 7, v40
	v_ffbh_u32_e32 v51, v44
	v_min_u32_e32 v51, 32, v51
	v_subrev_u32_e32 v56, 28, v51
	v_lshlrev_b64 v[56:57], v56, v[40:41]
	v_lshrrev_b32_e32 v46, 3, v42
	v_sub_u32_e32 v51, 29, v51
	v_and_b32_e32 v56, 7, v56
	v_cmp_gt_u32_e32 vcc, 8, v42
	v_cndmask_b32_e32 v42, v46, v51, vcc
	v_cndmask_b32_e32 v44, v44, v56, vcc
	v_lshlrev_b32_e32 v46, 24, v40
	v_lshlrev_b32_e32 v44, 20, v44
	v_and_b32_e32 v46, 0x80000000, v46
	v_lshl_add_u32 v42, v42, 23, v55
	v_or3_b32 v46, v46, v42, v44
.LBB613_459:                            ;   in Loop: Header=BB613_215 Depth=1
	s_or_b64 exec, exec, s[16:17]
.LBB613_460:                            ;   in Loop: Header=BB613_215 Depth=1
	s_or_b64 exec, exec, s[14:15]
.LBB613_461:                            ;   in Loop: Header=BB613_215 Depth=1
	s_or_b64 exec, exec, s[12:13]
	v_lshrrev_b16_e32 v42, 8, v40
	v_cmp_ne_u16_e32 vcc, 0, v42
	v_mov_b32_e32 v44, 0
	v_mov_b32_e32 v56, 0
	s_and_saveexec_b64 s[12:13], vcc
	s_cbranch_execz .LBB613_467
; %bb.462:                              ;   in Loop: Header=BB613_215 Depth=1
	v_cmp_ne_u16_e32 vcc, s9, v42
	v_bfrev_b32_e32 v56, 1
	s_and_saveexec_b64 s[14:15], vcc
	s_cbranch_execz .LBB613_466
; %bb.463:                              ;   in Loop: Header=BB613_215 Depth=1
	v_and_b32_e32 v51, 0x7f, v42
	v_cmp_ne_u32_e32 vcc, s19, v51
	v_mov_b32_e32 v56, 0x7f800001
	s_and_saveexec_b64 s[16:17], vcc
	s_cbranch_execz .LBB613_465
; %bb.464:                              ;   in Loop: Header=BB613_215 Depth=1
	v_and_b32_e32 v58, 7, v42
	v_ffbh_u32_e32 v56, v58
	v_min_u32_e32 v60, 32, v56
	v_subrev_u32_e32 v56, 28, v60
	v_lshlrev_b64 v[56:57], v56, v[42:43]
	v_lshrrev_b32_e32 v59, 3, v51
	v_sub_u32_e32 v42, 29, v60
	v_and_b32_e32 v56, 7, v56
	v_cmp_gt_u32_e32 vcc, 8, v51
	v_cndmask_b32_e32 v42, v59, v42, vcc
	v_cndmask_b32_e32 v51, v58, v56, vcc
	v_lshlrev_b32_e32 v56, 16, v40
	v_lshlrev_b32_e32 v51, 20, v51
	v_and_b32_e32 v56, 0x80000000, v56
	v_lshl_add_u32 v42, v42, 23, v55
	v_or3_b32 v56, v56, v42, v51
.LBB613_465:                            ;   in Loop: Header=BB613_215 Depth=1
	s_or_b64 exec, exec, s[16:17]
.LBB613_466:                            ;   in Loop: Header=BB613_215 Depth=1
	s_or_b64 exec, exec, s[14:15]
.LBB613_467:                            ;   in Loop: Header=BB613_215 Depth=1
	s_or_b64 exec, exec, s[12:13]
	v_lshrrev_b32_e32 v42, 16, v40
	v_cmp_ne_u16_sdwa s[14:15], v42, v54 src0_sel:BYTE_0 src1_sel:DWORD
	s_and_saveexec_b64 s[12:13], s[14:15]
	s_cbranch_execz .LBB613_473
; %bb.468:                              ;   in Loop: Header=BB613_215 Depth=1
	v_cmp_ne_u16_sdwa s[16:17], v42, s9 src0_sel:BYTE_0 src1_sel:DWORD
	v_bfrev_b32_e32 v44, 1
	s_and_saveexec_b64 s[14:15], s[16:17]
	s_cbranch_execz .LBB613_472
; %bb.469:                              ;   in Loop: Header=BB613_215 Depth=1
	v_bfe_u32 v51, v40, 16, 7
	v_cmp_ne_u32_e32 vcc, s19, v51
	v_mov_b32_e32 v44, 0x7f800001
	s_and_saveexec_b64 s[16:17], vcc
	s_cbranch_execz .LBB613_471
; %bb.470:                              ;   in Loop: Header=BB613_215 Depth=1
	v_and_b32_e32 v44, 7, v42
	v_ffbh_u32_e32 v58, v44
	v_min_u32_e32 v60, 32, v58
	v_subrev_u32_e32 v58, 28, v60
	v_lshlrev_b64 v[58:59], v58, v[42:43]
	v_lshrrev_b32_e32 v57, 3, v51
	v_sub_u32_e32 v59, 29, v60
	v_and_b32_e32 v58, 7, v58
	v_cmp_gt_u32_e32 vcc, 8, v51
	v_cndmask_b32_e32 v51, v57, v59, vcc
	v_cndmask_b32_e32 v44, v44, v58, vcc
	v_lshlrev_b32_e32 v42, 24, v42
	v_lshlrev_b32_e32 v44, 20, v44
	v_and_b32_e32 v42, 0x80000000, v42
	v_lshl_add_u32 v51, v51, 23, v55
	v_or3_b32 v44, v42, v51, v44
.LBB613_471:                            ;   in Loop: Header=BB613_215 Depth=1
	s_or_b64 exec, exec, s[16:17]
.LBB613_472:                            ;   in Loop: Header=BB613_215 Depth=1
	s_or_b64 exec, exec, s[14:15]
.LBB613_473:                            ;   in Loop: Header=BB613_215 Depth=1
	s_or_b64 exec, exec, s[12:13]
	v_cmp_lt_u32_e32 vcc, s20, v40
	v_mov_b32_e32 v57, 0
	v_mov_b32_e32 v58, 0
	s_and_saveexec_b64 s[12:13], vcc
	s_cbranch_execz .LBB613_479
; %bb.474:                              ;   in Loop: Header=BB613_215 Depth=1
	v_lshrrev_b32_e32 v42, 24, v40
	v_cmp_ne_u32_e32 vcc, s9, v42
	v_bfrev_b32_e32 v58, 1
	s_and_saveexec_b64 s[14:15], vcc
	s_cbranch_execz .LBB613_478
; %bb.475:                              ;   in Loop: Header=BB613_215 Depth=1
	v_bfe_u32 v40, v40, 24, 7
	v_cmp_ne_u32_e32 vcc, s19, v40
	v_mov_b32_e32 v58, 0x7f800001
	s_and_saveexec_b64 s[16:17], vcc
	s_cbranch_execz .LBB613_477
; %bb.476:                              ;   in Loop: Header=BB613_215 Depth=1
	v_and_b32_e32 v51, 7, v42
	v_ffbh_u32_e32 v58, v51
	v_min_u32_e32 v61, 32, v58
	v_subrev_u32_e32 v58, 28, v61
	v_lshlrev_b64 v[58:59], v58, v[42:43]
	v_lshrrev_b32_e32 v60, 3, v40
	v_sub_u32_e32 v59, 29, v61
	v_and_b32_e32 v58, 7, v58
	v_cmp_gt_u32_e32 vcc, 8, v40
	v_cndmask_b32_e32 v40, v60, v59, vcc
	v_cndmask_b32_e32 v51, v51, v58, vcc
	v_lshlrev_b32_e32 v42, 24, v42
	v_lshlrev_b32_e32 v51, 20, v51
	v_and_b32_e32 v42, 0x80000000, v42
	v_lshl_add_u32 v40, v40, 23, v55
	v_or3_b32 v58, v42, v40, v51
.LBB613_477:                            ;   in Loop: Header=BB613_215 Depth=1
	s_or_b64 exec, exec, s[16:17]
.LBB613_478:                            ;   in Loop: Header=BB613_215 Depth=1
	s_or_b64 exec, exec, s[14:15]
.LBB613_479:                            ;   in Loop: Header=BB613_215 Depth=1
	s_or_b64 exec, exec, s[12:13]
	s_waitcnt vmcnt(0)
	v_cmp_ne_u16_sdwa s[14:15], v38, v54 src0_sel:BYTE_0 src1_sel:DWORD
	s_and_saveexec_b64 s[12:13], s[14:15]
	s_cbranch_execz .LBB613_485
; %bb.480:                              ;   in Loop: Header=BB613_215 Depth=1
	v_cmp_ne_u16_sdwa s[16:17], v38, s9 src0_sel:BYTE_0 src1_sel:DWORD
	v_bfrev_b32_e32 v57, 1
	s_and_saveexec_b64 s[14:15], s[16:17]
	s_cbranch_execz .LBB613_484
; %bb.481:                              ;   in Loop: Header=BB613_215 Depth=1
	v_and_b32_e32 v40, 0x7f, v38
	v_cmp_ne_u32_e32 vcc, s19, v40
	v_mov_b32_e32 v57, 0x7f800001
	s_and_saveexec_b64 s[16:17], vcc
	s_cbranch_execz .LBB613_483
; %bb.482:                              ;   in Loop: Header=BB613_215 Depth=1
	v_and_b32_e32 v42, 7, v38
	v_ffbh_u32_e32 v57, v42
	v_min_u32_e32 v57, 32, v57
	v_subrev_u32_e32 v59, 28, v57
	v_lshlrev_b64 v[60:61], v59, v[38:39]
	v_lshrrev_b32_e32 v51, 3, v40
	v_sub_u32_e32 v57, 29, v57
	v_and_b32_e32 v59, 7, v60
	v_cmp_gt_u32_e32 vcc, 8, v40
	v_cndmask_b32_e32 v40, v51, v57, vcc
	v_cndmask_b32_e32 v42, v42, v59, vcc
	v_lshlrev_b32_e32 v51, 24, v38
	v_lshlrev_b32_e32 v42, 20, v42
	v_and_b32_e32 v51, 0x80000000, v51
	v_lshl_add_u32 v40, v40, 23, v55
	v_or3_b32 v57, v51, v40, v42
.LBB613_483:                            ;   in Loop: Header=BB613_215 Depth=1
	s_or_b64 exec, exec, s[16:17]
.LBB613_484:                            ;   in Loop: Header=BB613_215 Depth=1
	s_or_b64 exec, exec, s[14:15]
.LBB613_485:                            ;   in Loop: Header=BB613_215 Depth=1
	s_or_b64 exec, exec, s[12:13]
	v_lshrrev_b16_e32 v40, 8, v38
	v_cmp_ne_u16_e32 vcc, 0, v40
	v_mov_b32_e32 v59, 0
	v_mov_b32_e32 v60, 0
	s_and_saveexec_b64 s[12:13], vcc
	s_cbranch_execz .LBB613_491
; %bb.486:                              ;   in Loop: Header=BB613_215 Depth=1
	v_cmp_ne_u16_e32 vcc, s9, v40
	v_bfrev_b32_e32 v60, 1
	s_and_saveexec_b64 s[14:15], vcc
	s_cbranch_execz .LBB613_490
; %bb.487:                              ;   in Loop: Header=BB613_215 Depth=1
	v_and_b32_e32 v42, 0x7f, v40
	v_cmp_ne_u32_e32 vcc, s19, v42
	v_mov_b32_e32 v60, 0x7f800001
	s_and_saveexec_b64 s[16:17], vcc
	s_cbranch_execz .LBB613_489
; %bb.488:                              ;   in Loop: Header=BB613_215 Depth=1
	v_and_b32_e32 v51, 7, v40
	v_ffbh_u32_e32 v60, v51
	v_min_u32_e32 v63, 32, v60
	v_subrev_u32_e32 v60, 28, v63
	v_lshlrev_b64 v[60:61], v60, v[40:41]
	v_lshrrev_b32_e32 v62, 3, v42
	v_sub_u32_e32 v40, 29, v63
	v_and_b32_e32 v60, 7, v60
	v_cmp_gt_u32_e32 vcc, 8, v42
	v_cndmask_b32_e32 v40, v62, v40, vcc
	v_cndmask_b32_e32 v42, v51, v60, vcc
	v_lshlrev_b32_e32 v51, 16, v38
	v_lshlrev_b32_e32 v42, 20, v42
	v_and_b32_e32 v51, 0x80000000, v51
	v_lshl_add_u32 v40, v40, 23, v55
	v_or3_b32 v60, v51, v40, v42
.LBB613_489:                            ;   in Loop: Header=BB613_215 Depth=1
	s_or_b64 exec, exec, s[16:17]
.LBB613_490:                            ;   in Loop: Header=BB613_215 Depth=1
	s_or_b64 exec, exec, s[14:15]
.LBB613_491:                            ;   in Loop: Header=BB613_215 Depth=1
	s_or_b64 exec, exec, s[12:13]
	v_lshrrev_b32_e32 v40, 16, v38
	v_cmp_ne_u16_sdwa s[14:15], v40, v54 src0_sel:BYTE_0 src1_sel:DWORD
	s_and_saveexec_b64 s[12:13], s[14:15]
	s_cbranch_execz .LBB613_497
; %bb.492:                              ;   in Loop: Header=BB613_215 Depth=1
	v_cmp_ne_u16_sdwa s[16:17], v40, s9 src0_sel:BYTE_0 src1_sel:DWORD
	v_bfrev_b32_e32 v59, 1
	s_and_saveexec_b64 s[14:15], s[16:17]
	s_cbranch_execz .LBB613_496
; %bb.493:                              ;   in Loop: Header=BB613_215 Depth=1
	v_bfe_u32 v42, v38, 16, 7
	v_cmp_ne_u32_e32 vcc, s19, v42
	v_mov_b32_e32 v59, 0x7f800001
	s_and_saveexec_b64 s[16:17], vcc
	s_cbranch_execz .LBB613_495
; %bb.494:                              ;   in Loop: Header=BB613_215 Depth=1
	v_and_b32_e32 v51, 7, v40
	v_ffbh_u32_e32 v61, v51
	v_min_u32_e32 v61, 32, v61
	v_subrev_u32_e32 v62, 28, v61
	v_lshlrev_b64 v[62:63], v62, v[40:41]
	v_lshrrev_b32_e32 v59, 3, v42
	v_sub_u32_e32 v61, 29, v61
	v_and_b32_e32 v62, 7, v62
	v_cmp_gt_u32_e32 vcc, 8, v42
	v_cndmask_b32_e32 v42, v59, v61, vcc
	v_cndmask_b32_e32 v51, v51, v62, vcc
	v_lshlrev_b32_e32 v40, 24, v40
	v_lshlrev_b32_e32 v51, 20, v51
	v_and_b32_e32 v40, 0x80000000, v40
	v_lshl_add_u32 v42, v42, 23, v55
	v_or3_b32 v59, v40, v42, v51
.LBB613_495:                            ;   in Loop: Header=BB613_215 Depth=1
	s_or_b64 exec, exec, s[16:17]
.LBB613_496:                            ;   in Loop: Header=BB613_215 Depth=1
	s_or_b64 exec, exec, s[14:15]
.LBB613_497:                            ;   in Loop: Header=BB613_215 Depth=1
	s_or_b64 exec, exec, s[12:13]
	v_cmp_lt_u32_e32 vcc, s20, v38
	v_mov_b32_e32 v51, 0
	v_mov_b32_e32 v61, 0
	s_and_saveexec_b64 s[12:13], vcc
	s_cbranch_execz .LBB613_503
; %bb.498:                              ;   in Loop: Header=BB613_215 Depth=1
	v_lshrrev_b32_e32 v40, 24, v38
	v_cmp_ne_u32_e32 vcc, s9, v40
	v_bfrev_b32_e32 v61, 1
	s_and_saveexec_b64 s[14:15], vcc
	s_cbranch_execz .LBB613_502
; %bb.499:                              ;   in Loop: Header=BB613_215 Depth=1
	v_bfe_u32 v38, v38, 24, 7
	v_cmp_ne_u32_e32 vcc, s19, v38
	v_mov_b32_e32 v61, 0x7f800001
	s_and_saveexec_b64 s[16:17], vcc
	s_cbranch_execz .LBB613_501
; %bb.500:                              ;   in Loop: Header=BB613_215 Depth=1
	v_and_b32_e32 v42, 7, v40
	v_ffbh_u32_e32 v62, v42
	v_min_u32_e32 v64, 32, v62
	v_subrev_u32_e32 v62, 28, v64
	v_lshlrev_b64 v[62:63], v62, v[40:41]
	v_lshrrev_b32_e32 v61, 3, v38
	v_sub_u32_e32 v63, 29, v64
	v_and_b32_e32 v62, 7, v62
	v_cmp_gt_u32_e32 vcc, 8, v38
	v_cndmask_b32_e32 v38, v61, v63, vcc
	v_cndmask_b32_e32 v42, v42, v62, vcc
	v_lshlrev_b32_e32 v40, 24, v40
	v_lshlrev_b32_e32 v42, 20, v42
	v_and_b32_e32 v40, 0x80000000, v40
	v_lshl_add_u32 v38, v38, 23, v55
	v_or3_b32 v61, v40, v38, v42
.LBB613_501:                            ;   in Loop: Header=BB613_215 Depth=1
	s_or_b64 exec, exec, s[16:17]
.LBB613_502:                            ;   in Loop: Header=BB613_215 Depth=1
	s_or_b64 exec, exec, s[14:15]
.LBB613_503:                            ;   in Loop: Header=BB613_215 Depth=1
	s_or_b64 exec, exec, s[12:13]
	v_cvt_pkrtz_f16_f32 v63, v44, v58
	buffer_load_dword v44, v50, s[0:3], 0 offen
	buffer_load_dword v42, v50, s[0:3], 0 offen offset:4
	buffer_load_dword v40, v50, s[0:3], 0 offen offset:8
	;; [unrolled: 1-line block ×3, first 2 shown]
	v_cvt_pkrtz_f16_f32 v62, v46, v56
	v_cvt_pkrtz_f16_f32 v56, v57, v60
	;; [unrolled: 1-line block ×3, first 2 shown]
	v_mfma_f32_16x16x16f16 v[34:37], v[62:63], v[22:23], v[34:37]
	s_waitcnt vmcnt(3)
	v_cmp_ne_u16_sdwa s[14:15], v44, v54 src0_sel:BYTE_0 src1_sel:DWORD
	v_mfma_f32_16x16x16f16 v[34:37], v[56:57], v[24:25], v[34:37]
	s_and_saveexec_b64 s[12:13], s[14:15]
	s_cbranch_execz .LBB613_509
; %bb.504:                              ;   in Loop: Header=BB613_215 Depth=1
	v_cmp_ne_u16_sdwa s[16:17], v44, s9 src0_sel:BYTE_0 src1_sel:DWORD
	v_bfrev_b32_e32 v51, 1
	s_and_saveexec_b64 s[14:15], s[16:17]
	s_cbranch_execz .LBB613_508
; %bb.505:                              ;   in Loop: Header=BB613_215 Depth=1
	v_and_b32_e32 v46, 0x7f, v44
	v_cmp_ne_u32_e32 vcc, s19, v46
	v_mov_b32_e32 v51, 0x7f800001
	s_and_saveexec_b64 s[16:17], vcc
	s_cbranch_execz .LBB613_507
; %bb.506:                              ;   in Loop: Header=BB613_215 Depth=1
	v_and_b32_e32 v56, 7, v44
	v_ffbh_u32_e32 v50, v56
	v_min_u32_e32 v58, 32, v50
	v_subrev_u32_e32 v50, 28, v58
	v_lshlrev_b64 v[50:51], v50, v[44:45]
	v_lshrrev_b32_e32 v57, 3, v46
	v_sub_u32_e32 v51, 29, v58
	v_and_b32_e32 v50, 7, v50
	v_cmp_gt_u32_e32 vcc, 8, v46
	v_cndmask_b32_e32 v46, v57, v51, vcc
	v_cndmask_b32_e32 v50, v56, v50, vcc
	v_lshlrev_b32_e32 v51, 24, v44
	v_lshlrev_b32_e32 v50, 20, v50
	v_and_b32_e32 v51, 0x80000000, v51
	v_lshl_add_u32 v46, v46, 23, v55
	v_or3_b32 v51, v51, v46, v50
.LBB613_507:                            ;   in Loop: Header=BB613_215 Depth=1
	s_or_b64 exec, exec, s[16:17]
.LBB613_508:                            ;   in Loop: Header=BB613_215 Depth=1
	s_or_b64 exec, exec, s[14:15]
.LBB613_509:                            ;   in Loop: Header=BB613_215 Depth=1
	s_or_b64 exec, exec, s[12:13]
	v_lshrrev_b16_e32 v46, 8, v44
	v_cmp_ne_u16_e32 vcc, 0, v46
	v_mov_b32_e32 v50, 0
	v_mov_b32_e32 v56, 0
	s_and_saveexec_b64 s[12:13], vcc
	s_cbranch_execz .LBB613_515
; %bb.510:                              ;   in Loop: Header=BB613_215 Depth=1
	v_cmp_ne_u16_e32 vcc, s9, v46
	v_bfrev_b32_e32 v56, 1
	s_and_saveexec_b64 s[14:15], vcc
	s_cbranch_execz .LBB613_514
; %bb.511:                              ;   in Loop: Header=BB613_215 Depth=1
	v_and_b32_e32 v57, 0x7f, v46
	v_cmp_ne_u32_e32 vcc, s19, v57
	v_mov_b32_e32 v56, 0x7f800001
	s_and_saveexec_b64 s[16:17], vcc
	s_cbranch_execz .LBB613_513
; %bb.512:                              ;   in Loop: Header=BB613_215 Depth=1
	v_and_b32_e32 v56, 7, v46
	v_ffbh_u32_e32 v58, v56
	v_min_u32_e32 v61, 32, v58
	v_subrev_u32_e32 v58, 28, v61
	v_lshlrev_b64 v[58:59], v58, v[46:47]
	v_lshrrev_b32_e32 v60, 3, v57
	v_sub_u32_e32 v46, 29, v61
	v_and_b32_e32 v58, 7, v58
	v_cmp_gt_u32_e32 vcc, 8, v57
	v_cndmask_b32_e32 v46, v60, v46, vcc
	v_cndmask_b32_e32 v56, v56, v58, vcc
	v_lshlrev_b32_e32 v57, 16, v44
	v_lshlrev_b32_e32 v56, 20, v56
	v_and_b32_e32 v57, 0x80000000, v57
	v_lshl_add_u32 v46, v46, 23, v55
	v_or3_b32 v56, v57, v46, v56
.LBB613_513:                            ;   in Loop: Header=BB613_215 Depth=1
	s_or_b64 exec, exec, s[16:17]
.LBB613_514:                            ;   in Loop: Header=BB613_215 Depth=1
	s_or_b64 exec, exec, s[14:15]
.LBB613_515:                            ;   in Loop: Header=BB613_215 Depth=1
	s_or_b64 exec, exec, s[12:13]
	v_lshrrev_b32_e32 v46, 16, v44
	v_cmp_ne_u16_sdwa s[14:15], v46, v54 src0_sel:BYTE_0 src1_sel:DWORD
	s_and_saveexec_b64 s[12:13], s[14:15]
	s_cbranch_execz .LBB613_521
; %bb.516:                              ;   in Loop: Header=BB613_215 Depth=1
	v_cmp_ne_u16_sdwa s[16:17], v46, s9 src0_sel:BYTE_0 src1_sel:DWORD
	v_bfrev_b32_e32 v50, 1
	s_and_saveexec_b64 s[14:15], s[16:17]
	s_cbranch_execz .LBB613_520
; %bb.517:                              ;   in Loop: Header=BB613_215 Depth=1
	v_bfe_u32 v57, v44, 16, 7
	v_cmp_ne_u32_e32 vcc, s19, v57
	v_mov_b32_e32 v50, 0x7f800001
	s_and_saveexec_b64 s[16:17], vcc
	s_cbranch_execz .LBB613_519
; %bb.518:                              ;   in Loop: Header=BB613_215 Depth=1
	v_and_b32_e32 v50, 7, v46
	v_ffbh_u32_e32 v58, v50
	v_min_u32_e32 v61, 32, v58
	v_subrev_u32_e32 v58, 28, v61
	v_lshlrev_b64 v[58:59], v58, v[46:47]
	v_lshrrev_b32_e32 v60, 3, v57
	v_sub_u32_e32 v59, 29, v61
	v_and_b32_e32 v58, 7, v58
	v_cmp_gt_u32_e32 vcc, 8, v57
	v_cndmask_b32_e32 v57, v60, v59, vcc
	v_cndmask_b32_e32 v50, v50, v58, vcc
	v_lshlrev_b32_e32 v46, 24, v46
	v_lshlrev_b32_e32 v50, 20, v50
	v_and_b32_e32 v46, 0x80000000, v46
	v_lshl_add_u32 v57, v57, 23, v55
	v_or3_b32 v50, v46, v57, v50
.LBB613_519:                            ;   in Loop: Header=BB613_215 Depth=1
	s_or_b64 exec, exec, s[16:17]
.LBB613_520:                            ;   in Loop: Header=BB613_215 Depth=1
	s_or_b64 exec, exec, s[14:15]
.LBB613_521:                            ;   in Loop: Header=BB613_215 Depth=1
	s_or_b64 exec, exec, s[12:13]
	v_cmp_lt_u32_e32 vcc, s20, v44
	v_mov_b32_e32 v57, 0
	v_mov_b32_e32 v58, 0
	s_and_saveexec_b64 s[12:13], vcc
	s_cbranch_execz .LBB613_527
; %bb.522:                              ;   in Loop: Header=BB613_215 Depth=1
	v_lshrrev_b32_e32 v46, 24, v44
	v_cmp_ne_u32_e32 vcc, s9, v46
	v_bfrev_b32_e32 v58, 1
	s_and_saveexec_b64 s[14:15], vcc
	s_cbranch_execz .LBB613_526
; %bb.523:                              ;   in Loop: Header=BB613_215 Depth=1
	v_bfe_u32 v44, v44, 24, 7
	v_cmp_ne_u32_e32 vcc, s19, v44
	v_mov_b32_e32 v58, 0x7f800001
	s_and_saveexec_b64 s[16:17], vcc
	s_cbranch_execz .LBB613_525
; %bb.524:                              ;   in Loop: Header=BB613_215 Depth=1
	v_and_b32_e32 v60, 7, v46
	v_ffbh_u32_e32 v58, v60
	v_min_u32_e32 v62, 32, v58
	v_subrev_u32_e32 v58, 28, v62
	v_lshlrev_b64 v[58:59], v58, v[46:47]
	v_lshrrev_b32_e32 v61, 3, v44
	v_sub_u32_e32 v59, 29, v62
	v_and_b32_e32 v58, 7, v58
	v_cmp_gt_u32_e32 vcc, 8, v44
	v_cndmask_b32_e32 v44, v61, v59, vcc
	v_cndmask_b32_e32 v58, v60, v58, vcc
	v_lshlrev_b32_e32 v46, 24, v46
	v_lshlrev_b32_e32 v58, 20, v58
	v_and_b32_e32 v46, 0x80000000, v46
	v_lshl_add_u32 v44, v44, 23, v55
	v_or3_b32 v58, v46, v44, v58
.LBB613_525:                            ;   in Loop: Header=BB613_215 Depth=1
	s_or_b64 exec, exec, s[16:17]
.LBB613_526:                            ;   in Loop: Header=BB613_215 Depth=1
	s_or_b64 exec, exec, s[14:15]
.LBB613_527:                            ;   in Loop: Header=BB613_215 Depth=1
	s_or_b64 exec, exec, s[12:13]
	s_waitcnt vmcnt(2)
	v_cmp_ne_u16_sdwa s[14:15], v42, v54 src0_sel:BYTE_0 src1_sel:DWORD
	s_and_saveexec_b64 s[12:13], s[14:15]
	s_cbranch_execz .LBB613_533
; %bb.528:                              ;   in Loop: Header=BB613_215 Depth=1
	v_cmp_ne_u16_sdwa s[16:17], v42, s9 src0_sel:BYTE_0 src1_sel:DWORD
	v_bfrev_b32_e32 v57, 1
	s_and_saveexec_b64 s[14:15], s[16:17]
	s_cbranch_execz .LBB613_532
; %bb.529:                              ;   in Loop: Header=BB613_215 Depth=1
	v_and_b32_e32 v44, 0x7f, v42
	v_cmp_ne_u32_e32 vcc, s19, v44
	v_mov_b32_e32 v57, 0x7f800001
	s_and_saveexec_b64 s[16:17], vcc
	s_cbranch_execz .LBB613_531
; %bb.530:                              ;   in Loop: Header=BB613_215 Depth=1
	v_and_b32_e32 v46, 7, v42
	v_ffbh_u32_e32 v59, v46
	v_min_u32_e32 v59, 32, v59
	v_subrev_u32_e32 v60, 28, v59
	v_lshlrev_b64 v[60:61], v60, v[42:43]
	v_lshrrev_b32_e32 v57, 3, v44
	v_sub_u32_e32 v59, 29, v59
	v_and_b32_e32 v60, 7, v60
	v_cmp_gt_u32_e32 vcc, 8, v44
	v_cndmask_b32_e32 v44, v57, v59, vcc
	v_cndmask_b32_e32 v46, v46, v60, vcc
	v_lshlrev_b32_e32 v57, 24, v42
	v_lshlrev_b32_e32 v46, 20, v46
	v_and_b32_e32 v57, 0x80000000, v57
	v_lshl_add_u32 v44, v44, 23, v55
	v_or3_b32 v57, v57, v44, v46
.LBB613_531:                            ;   in Loop: Header=BB613_215 Depth=1
	s_or_b64 exec, exec, s[16:17]
.LBB613_532:                            ;   in Loop: Header=BB613_215 Depth=1
	s_or_b64 exec, exec, s[14:15]
.LBB613_533:                            ;   in Loop: Header=BB613_215 Depth=1
	s_or_b64 exec, exec, s[12:13]
	v_lshrrev_b16_e32 v44, 8, v42
	v_cmp_ne_u16_e32 vcc, 0, v44
	v_mov_b32_e32 v59, 0
	v_mov_b32_e32 v60, 0
	s_and_saveexec_b64 s[12:13], vcc
	s_cbranch_execz .LBB613_539
; %bb.534:                              ;   in Loop: Header=BB613_215 Depth=1
	v_cmp_ne_u16_e32 vcc, s9, v44
	v_bfrev_b32_e32 v60, 1
	s_and_saveexec_b64 s[14:15], vcc
	s_cbranch_execz .LBB613_538
; %bb.535:                              ;   in Loop: Header=BB613_215 Depth=1
	v_and_b32_e32 v46, 0x7f, v44
	v_cmp_ne_u32_e32 vcc, s19, v46
	v_mov_b32_e32 v60, 0x7f800001
	s_and_saveexec_b64 s[16:17], vcc
	s_cbranch_execz .LBB613_537
; %bb.536:                              ;   in Loop: Header=BB613_215 Depth=1
	v_and_b32_e32 v62, 7, v44
	v_ffbh_u32_e32 v60, v62
	v_min_u32_e32 v64, 32, v60
	v_subrev_u32_e32 v60, 28, v64
	v_lshlrev_b64 v[60:61], v60, v[44:45]
	v_lshrrev_b32_e32 v63, 3, v46
	v_sub_u32_e32 v44, 29, v64
	v_and_b32_e32 v60, 7, v60
	v_cmp_gt_u32_e32 vcc, 8, v46
	v_cndmask_b32_e32 v44, v63, v44, vcc
	v_cndmask_b32_e32 v46, v62, v60, vcc
	v_lshlrev_b32_e32 v60, 16, v42
	v_lshlrev_b32_e32 v46, 20, v46
	v_and_b32_e32 v60, 0x80000000, v60
	v_lshl_add_u32 v44, v44, 23, v55
	v_or3_b32 v60, v60, v44, v46
.LBB613_537:                            ;   in Loop: Header=BB613_215 Depth=1
	s_or_b64 exec, exec, s[16:17]
.LBB613_538:                            ;   in Loop: Header=BB613_215 Depth=1
	s_or_b64 exec, exec, s[14:15]
.LBB613_539:                            ;   in Loop: Header=BB613_215 Depth=1
	s_or_b64 exec, exec, s[12:13]
	v_lshrrev_b32_e32 v44, 16, v42
	v_cmp_ne_u16_sdwa s[14:15], v44, v54 src0_sel:BYTE_0 src1_sel:DWORD
	s_and_saveexec_b64 s[12:13], s[14:15]
	s_cbranch_execz .LBB613_545
; %bb.540:                              ;   in Loop: Header=BB613_215 Depth=1
	v_cmp_ne_u16_sdwa s[16:17], v44, s9 src0_sel:BYTE_0 src1_sel:DWORD
	v_bfrev_b32_e32 v59, 1
	s_and_saveexec_b64 s[14:15], s[16:17]
	s_cbranch_execz .LBB613_544
; %bb.541:                              ;   in Loop: Header=BB613_215 Depth=1
	v_bfe_u32 v46, v42, 16, 7
	v_cmp_ne_u32_e32 vcc, s19, v46
	v_mov_b32_e32 v59, 0x7f800001
	s_and_saveexec_b64 s[16:17], vcc
	s_cbranch_execz .LBB613_543
; %bb.542:                              ;   in Loop: Header=BB613_215 Depth=1
	v_and_b32_e32 v59, 7, v44
	v_ffbh_u32_e32 v62, v59
	v_min_u32_e32 v64, 32, v62
	v_subrev_u32_e32 v62, 28, v64
	v_lshlrev_b64 v[62:63], v62, v[44:45]
	v_lshrrev_b32_e32 v61, 3, v46
	v_sub_u32_e32 v63, 29, v64
	v_and_b32_e32 v62, 7, v62
	v_cmp_gt_u32_e32 vcc, 8, v46
	v_cndmask_b32_e32 v46, v61, v63, vcc
	v_cndmask_b32_e32 v59, v59, v62, vcc
	v_lshlrev_b32_e32 v44, 24, v44
	v_lshlrev_b32_e32 v59, 20, v59
	v_and_b32_e32 v44, 0x80000000, v44
	v_lshl_add_u32 v46, v46, 23, v55
	v_or3_b32 v59, v44, v46, v59
.LBB613_543:                            ;   in Loop: Header=BB613_215 Depth=1
	s_or_b64 exec, exec, s[16:17]
.LBB613_544:                            ;   in Loop: Header=BB613_215 Depth=1
	s_or_b64 exec, exec, s[14:15]
.LBB613_545:                            ;   in Loop: Header=BB613_215 Depth=1
	s_or_b64 exec, exec, s[12:13]
	v_cmp_lt_u32_e32 vcc, s20, v42
	v_mov_b32_e32 v46, 0
	v_mov_b32_e32 v61, 0
	s_and_saveexec_b64 s[12:13], vcc
	s_cbranch_execz .LBB613_551
; %bb.546:                              ;   in Loop: Header=BB613_215 Depth=1
	v_lshrrev_b32_e32 v44, 24, v42
	v_cmp_ne_u32_e32 vcc, s9, v44
	v_bfrev_b32_e32 v61, 1
	s_and_saveexec_b64 s[14:15], vcc
	s_cbranch_execz .LBB613_550
; %bb.547:                              ;   in Loop: Header=BB613_215 Depth=1
	v_bfe_u32 v42, v42, 24, 7
	v_cmp_ne_u32_e32 vcc, s19, v42
	v_mov_b32_e32 v61, 0x7f800001
	s_and_saveexec_b64 s[16:17], vcc
	s_cbranch_execz .LBB613_549
; %bb.548:                              ;   in Loop: Header=BB613_215 Depth=1
	v_and_b32_e32 v61, 7, v44
	v_ffbh_u32_e32 v62, v61
	v_min_u32_e32 v65, 32, v62
	v_subrev_u32_e32 v62, 28, v65
	v_lshlrev_b64 v[62:63], v62, v[44:45]
	v_lshrrev_b32_e32 v64, 3, v42
	v_sub_u32_e32 v63, 29, v65
	v_and_b32_e32 v62, 7, v62
	v_cmp_gt_u32_e32 vcc, 8, v42
	v_cndmask_b32_e32 v42, v64, v63, vcc
	v_cndmask_b32_e32 v61, v61, v62, vcc
	v_lshlrev_b32_e32 v44, 24, v44
	v_lshlrev_b32_e32 v61, 20, v61
	v_and_b32_e32 v44, 0x80000000, v44
	v_lshl_add_u32 v42, v42, 23, v55
	v_or3_b32 v61, v44, v42, v61
.LBB613_549:                            ;   in Loop: Header=BB613_215 Depth=1
	s_or_b64 exec, exec, s[16:17]
.LBB613_550:                            ;   in Loop: Header=BB613_215 Depth=1
	s_or_b64 exec, exec, s[14:15]
.LBB613_551:                            ;   in Loop: Header=BB613_215 Depth=1
	s_or_b64 exec, exec, s[12:13]
	v_cvt_pkrtz_f16_f32 v62, v51, v56
	v_cvt_pkrtz_f16_f32 v63, v50, v58
	;; [unrolled: 1-line block ×4, first 2 shown]
	s_waitcnt vmcnt(1)
	v_cmp_ne_u16_sdwa s[14:15], v40, v54 src0_sel:BYTE_0 src1_sel:DWORD
	v_mfma_f32_16x16x16f16 v[34:37], v[62:63], v[26:27], v[34:37]
	v_mfma_f32_16x16x16f16 v[34:37], v[50:51], v[28:29], v[34:37]
	s_and_saveexec_b64 s[12:13], s[14:15]
	s_cbranch_execz .LBB613_557
; %bb.552:                              ;   in Loop: Header=BB613_215 Depth=1
	v_cmp_ne_u16_sdwa s[16:17], v40, s9 src0_sel:BYTE_0 src1_sel:DWORD
	v_bfrev_b32_e32 v46, 1
	s_and_saveexec_b64 s[14:15], s[16:17]
	s_cbranch_execz .LBB613_556
; %bb.553:                              ;   in Loop: Header=BB613_215 Depth=1
	v_and_b32_e32 v42, 0x7f, v40
	v_cmp_ne_u32_e32 vcc, s19, v42
	v_mov_b32_e32 v46, 0x7f800001
	s_and_saveexec_b64 s[16:17], vcc
	s_cbranch_execz .LBB613_555
; %bb.554:                              ;   in Loop: Header=BB613_215 Depth=1
	v_and_b32_e32 v44, 7, v40
	v_ffbh_u32_e32 v50, v44
	v_min_u32_e32 v56, 32, v50
	v_subrev_u32_e32 v50, 28, v56
	v_lshlrev_b64 v[50:51], v50, v[40:41]
	v_lshrrev_b32_e32 v46, 3, v42
	v_sub_u32_e32 v51, 29, v56
	v_and_b32_e32 v50, 7, v50
	v_cmp_gt_u32_e32 vcc, 8, v42
	v_cndmask_b32_e32 v42, v46, v51, vcc
	v_cndmask_b32_e32 v44, v44, v50, vcc
	v_lshlrev_b32_e32 v46, 24, v40
	v_lshlrev_b32_e32 v44, 20, v44
	v_and_b32_e32 v46, 0x80000000, v46
	v_lshl_add_u32 v42, v42, 23, v55
	v_or3_b32 v46, v46, v42, v44
.LBB613_555:                            ;   in Loop: Header=BB613_215 Depth=1
	s_or_b64 exec, exec, s[16:17]
.LBB613_556:                            ;   in Loop: Header=BB613_215 Depth=1
	s_or_b64 exec, exec, s[14:15]
.LBB613_557:                            ;   in Loop: Header=BB613_215 Depth=1
	s_or_b64 exec, exec, s[12:13]
	v_lshrrev_b16_e32 v42, 8, v40
	v_cmp_ne_u16_e32 vcc, 0, v42
	v_mov_b32_e32 v44, 0
	v_mov_b32_e32 v50, 0
	s_and_saveexec_b64 s[12:13], vcc
	s_cbranch_execz .LBB613_563
; %bb.558:                              ;   in Loop: Header=BB613_215 Depth=1
	v_cmp_ne_u16_e32 vcc, s9, v42
	v_bfrev_b32_e32 v50, 1
	s_and_saveexec_b64 s[14:15], vcc
	s_cbranch_execz .LBB613_562
; %bb.559:                              ;   in Loop: Header=BB613_215 Depth=1
	v_and_b32_e32 v51, 0x7f, v42
	v_cmp_ne_u32_e32 vcc, s19, v51
	v_mov_b32_e32 v50, 0x7f800001
	s_and_saveexec_b64 s[16:17], vcc
	s_cbranch_execz .LBB613_561
; %bb.560:                              ;   in Loop: Header=BB613_215 Depth=1
	v_and_b32_e32 v50, 7, v42
	v_ffbh_u32_e32 v56, v50
	v_min_u32_e32 v59, 32, v56
	v_subrev_u32_e32 v56, 28, v59
	v_lshlrev_b64 v[56:57], v56, v[42:43]
	v_lshrrev_b32_e32 v58, 3, v51
	v_sub_u32_e32 v42, 29, v59
	v_and_b32_e32 v56, 7, v56
	v_cmp_gt_u32_e32 vcc, 8, v51
	v_cndmask_b32_e32 v42, v58, v42, vcc
	v_cndmask_b32_e32 v50, v50, v56, vcc
	v_lshlrev_b32_e32 v51, 16, v40
	v_lshlrev_b32_e32 v50, 20, v50
	v_and_b32_e32 v51, 0x80000000, v51
	v_lshl_add_u32 v42, v42, 23, v55
	v_or3_b32 v50, v51, v42, v50
.LBB613_561:                            ;   in Loop: Header=BB613_215 Depth=1
	s_or_b64 exec, exec, s[16:17]
.LBB613_562:                            ;   in Loop: Header=BB613_215 Depth=1
	s_or_b64 exec, exec, s[14:15]
.LBB613_563:                            ;   in Loop: Header=BB613_215 Depth=1
	s_or_b64 exec, exec, s[12:13]
	v_lshrrev_b32_e32 v42, 16, v40
	v_cmp_ne_u16_sdwa s[14:15], v42, v54 src0_sel:BYTE_0 src1_sel:DWORD
	s_and_saveexec_b64 s[12:13], s[14:15]
	s_cbranch_execz .LBB613_569
; %bb.564:                              ;   in Loop: Header=BB613_215 Depth=1
	v_cmp_ne_u16_sdwa s[16:17], v42, s9 src0_sel:BYTE_0 src1_sel:DWORD
	v_bfrev_b32_e32 v44, 1
	s_and_saveexec_b64 s[14:15], s[16:17]
	s_cbranch_execz .LBB613_568
; %bb.565:                              ;   in Loop: Header=BB613_215 Depth=1
	v_bfe_u32 v51, v40, 16, 7
	v_cmp_ne_u32_e32 vcc, s19, v51
	v_mov_b32_e32 v44, 0x7f800001
	s_and_saveexec_b64 s[16:17], vcc
	s_cbranch_execz .LBB613_567
; %bb.566:                              ;   in Loop: Header=BB613_215 Depth=1
	v_and_b32_e32 v44, 7, v42
	v_ffbh_u32_e32 v56, v44
	v_min_u32_e32 v59, 32, v56
	v_subrev_u32_e32 v56, 28, v59
	v_lshlrev_b64 v[56:57], v56, v[42:43]
	v_lshrrev_b32_e32 v58, 3, v51
	v_sub_u32_e32 v57, 29, v59
	v_and_b32_e32 v56, 7, v56
	v_cmp_gt_u32_e32 vcc, 8, v51
	v_cndmask_b32_e32 v51, v58, v57, vcc
	v_cndmask_b32_e32 v44, v44, v56, vcc
	v_lshlrev_b32_e32 v42, 24, v42
	v_lshlrev_b32_e32 v44, 20, v44
	v_and_b32_e32 v42, 0x80000000, v42
	v_lshl_add_u32 v51, v51, 23, v55
	v_or3_b32 v44, v42, v51, v44
.LBB613_567:                            ;   in Loop: Header=BB613_215 Depth=1
	s_or_b64 exec, exec, s[16:17]
.LBB613_568:                            ;   in Loop: Header=BB613_215 Depth=1
	s_or_b64 exec, exec, s[14:15]
.LBB613_569:                            ;   in Loop: Header=BB613_215 Depth=1
	s_or_b64 exec, exec, s[12:13]
	v_cmp_lt_u32_e32 vcc, s20, v40
	v_mov_b32_e32 v51, 0
	v_mov_b32_e32 v56, 0
	s_and_saveexec_b64 s[12:13], vcc
	s_cbranch_execz .LBB613_575
; %bb.570:                              ;   in Loop: Header=BB613_215 Depth=1
	v_lshrrev_b32_e32 v42, 24, v40
	v_cmp_ne_u32_e32 vcc, s9, v42
	v_bfrev_b32_e32 v56, 1
	s_and_saveexec_b64 s[14:15], vcc
	s_cbranch_execz .LBB613_574
; %bb.571:                              ;   in Loop: Header=BB613_215 Depth=1
	v_bfe_u32 v40, v40, 24, 7
	v_cmp_ne_u32_e32 vcc, s19, v40
	v_mov_b32_e32 v56, 0x7f800001
	s_and_saveexec_b64 s[16:17], vcc
	s_cbranch_execz .LBB613_573
; %bb.572:                              ;   in Loop: Header=BB613_215 Depth=1
	v_and_b32_e32 v58, 7, v42
	v_ffbh_u32_e32 v56, v58
	v_min_u32_e32 v60, 32, v56
	v_subrev_u32_e32 v56, 28, v60
	v_lshlrev_b64 v[56:57], v56, v[42:43]
	v_lshrrev_b32_e32 v59, 3, v40
	v_sub_u32_e32 v57, 29, v60
	v_and_b32_e32 v56, 7, v56
	v_cmp_gt_u32_e32 vcc, 8, v40
	v_cndmask_b32_e32 v40, v59, v57, vcc
	v_cndmask_b32_e32 v56, v58, v56, vcc
	v_lshlrev_b32_e32 v42, 24, v42
	v_lshlrev_b32_e32 v56, 20, v56
	v_and_b32_e32 v42, 0x80000000, v42
	v_lshl_add_u32 v40, v40, 23, v55
	v_or3_b32 v56, v42, v40, v56
.LBB613_573:                            ;   in Loop: Header=BB613_215 Depth=1
	s_or_b64 exec, exec, s[16:17]
.LBB613_574:                            ;   in Loop: Header=BB613_215 Depth=1
	s_or_b64 exec, exec, s[14:15]
.LBB613_575:                            ;   in Loop: Header=BB613_215 Depth=1
	s_or_b64 exec, exec, s[12:13]
	s_waitcnt vmcnt(0)
	v_cmp_ne_u16_sdwa s[14:15], v38, v54 src0_sel:BYTE_0 src1_sel:DWORD
	s_and_saveexec_b64 s[12:13], s[14:15]
	s_cbranch_execz .LBB613_581
; %bb.576:                              ;   in Loop: Header=BB613_215 Depth=1
	v_cmp_ne_u16_sdwa s[16:17], v38, s9 src0_sel:BYTE_0 src1_sel:DWORD
	v_bfrev_b32_e32 v51, 1
	s_and_saveexec_b64 s[14:15], s[16:17]
	s_cbranch_execz .LBB613_580
; %bb.577:                              ;   in Loop: Header=BB613_215 Depth=1
	v_and_b32_e32 v40, 0x7f, v38
	v_cmp_ne_u32_e32 vcc, s19, v40
	v_mov_b32_e32 v51, 0x7f800001
	s_and_saveexec_b64 s[16:17], vcc
	s_cbranch_execz .LBB613_579
; %bb.578:                              ;   in Loop: Header=BB613_215 Depth=1
	v_and_b32_e32 v42, 7, v38
	v_ffbh_u32_e32 v57, v42
	v_min_u32_e32 v57, 32, v57
	v_subrev_u32_e32 v58, 28, v57
	v_lshlrev_b64 v[58:59], v58, v[38:39]
	v_lshrrev_b32_e32 v51, 3, v40
	v_sub_u32_e32 v57, 29, v57
	v_and_b32_e32 v58, 7, v58
	v_cmp_gt_u32_e32 vcc, 8, v40
	v_cndmask_b32_e32 v40, v51, v57, vcc
	v_cndmask_b32_e32 v42, v42, v58, vcc
	v_lshlrev_b32_e32 v51, 24, v38
	v_lshlrev_b32_e32 v42, 20, v42
	v_and_b32_e32 v51, 0x80000000, v51
	v_lshl_add_u32 v40, v40, 23, v55
	v_or3_b32 v51, v51, v40, v42
.LBB613_579:                            ;   in Loop: Header=BB613_215 Depth=1
	s_or_b64 exec, exec, s[16:17]
.LBB613_580:                            ;   in Loop: Header=BB613_215 Depth=1
	s_or_b64 exec, exec, s[14:15]
.LBB613_581:                            ;   in Loop: Header=BB613_215 Depth=1
	s_or_b64 exec, exec, s[12:13]
	v_lshrrev_b16_e32 v40, 8, v38
	v_cmp_ne_u16_e32 vcc, 0, v40
	v_mov_b32_e32 v42, 0
	v_mov_b32_e32 v57, 0
	s_and_saveexec_b64 s[12:13], vcc
	s_cbranch_execz .LBB613_587
; %bb.582:                              ;   in Loop: Header=BB613_215 Depth=1
	v_cmp_ne_u16_e32 vcc, s9, v40
	v_bfrev_b32_e32 v57, 1
	s_and_saveexec_b64 s[14:15], vcc
	s_cbranch_execz .LBB613_586
; %bb.583:                              ;   in Loop: Header=BB613_215 Depth=1
	v_and_b32_e32 v58, 0x7f, v40
	v_cmp_ne_u32_e32 vcc, s19, v58
	v_mov_b32_e32 v57, 0x7f800001
	s_and_saveexec_b64 s[16:17], vcc
	s_cbranch_execz .LBB613_585
; %bb.584:                              ;   in Loop: Header=BB613_215 Depth=1
	v_and_b32_e32 v57, 7, v40
	v_ffbh_u32_e32 v60, v57
	v_min_u32_e32 v62, 32, v60
	v_subrev_u32_e32 v60, 28, v62
	v_lshlrev_b64 v[60:61], v60, v[40:41]
	v_lshrrev_b32_e32 v59, 3, v58
	v_sub_u32_e32 v40, 29, v62
	v_and_b32_e32 v60, 7, v60
	v_cmp_gt_u32_e32 vcc, 8, v58
	v_cndmask_b32_e32 v40, v59, v40, vcc
	v_cndmask_b32_e32 v57, v57, v60, vcc
	v_lshlrev_b32_e32 v58, 16, v38
	v_lshlrev_b32_e32 v57, 20, v57
	v_and_b32_e32 v58, 0x80000000, v58
	v_lshl_add_u32 v40, v40, 23, v55
	v_or3_b32 v57, v58, v40, v57
.LBB613_585:                            ;   in Loop: Header=BB613_215 Depth=1
	s_or_b64 exec, exec, s[16:17]
.LBB613_586:                            ;   in Loop: Header=BB613_215 Depth=1
	s_or_b64 exec, exec, s[14:15]
.LBB613_587:                            ;   in Loop: Header=BB613_215 Depth=1
	s_or_b64 exec, exec, s[12:13]
	v_lshrrev_b32_e32 v40, 16, v38
	v_cmp_ne_u16_sdwa s[14:15], v40, v54 src0_sel:BYTE_0 src1_sel:DWORD
	s_and_saveexec_b64 s[12:13], s[14:15]
	s_cbranch_execz .LBB613_593
; %bb.588:                              ;   in Loop: Header=BB613_215 Depth=1
	v_cmp_ne_u16_sdwa s[16:17], v40, s9 src0_sel:BYTE_0 src1_sel:DWORD
	v_bfrev_b32_e32 v42, 1
	s_and_saveexec_b64 s[14:15], s[16:17]
	s_cbranch_execz .LBB613_592
; %bb.589:                              ;   in Loop: Header=BB613_215 Depth=1
	v_bfe_u32 v58, v38, 16, 7
	v_cmp_ne_u32_e32 vcc, s19, v58
	v_mov_b32_e32 v42, 0x7f800001
	s_and_saveexec_b64 s[16:17], vcc
	s_cbranch_execz .LBB613_591
; %bb.590:                              ;   in Loop: Header=BB613_215 Depth=1
	v_and_b32_e32 v42, 7, v40
	v_ffbh_u32_e32 v60, v42
	v_min_u32_e32 v62, 32, v60
	v_subrev_u32_e32 v60, 28, v62
	v_lshlrev_b64 v[60:61], v60, v[40:41]
	v_lshrrev_b32_e32 v59, 3, v58
	v_sub_u32_e32 v61, 29, v62
	v_and_b32_e32 v60, 7, v60
	v_cmp_gt_u32_e32 vcc, 8, v58
	v_cndmask_b32_e32 v58, v59, v61, vcc
	v_cndmask_b32_e32 v42, v42, v60, vcc
	v_lshlrev_b32_e32 v40, 24, v40
	v_lshlrev_b32_e32 v42, 20, v42
	v_and_b32_e32 v40, 0x80000000, v40
	v_lshl_add_u32 v58, v58, 23, v55
	v_or3_b32 v42, v40, v58, v42
.LBB613_591:                            ;   in Loop: Header=BB613_215 Depth=1
	s_or_b64 exec, exec, s[16:17]
.LBB613_592:                            ;   in Loop: Header=BB613_215 Depth=1
	s_or_b64 exec, exec, s[14:15]
.LBB613_593:                            ;   in Loop: Header=BB613_215 Depth=1
	s_or_b64 exec, exec, s[12:13]
	v_cmp_lt_u32_e32 vcc, s20, v38
	v_mov_b32_e32 v58, 0
	s_and_saveexec_b64 s[12:13], vcc
	s_cbranch_execz .LBB613_214
; %bb.594:                              ;   in Loop: Header=BB613_215 Depth=1
	v_lshrrev_b32_e32 v40, 24, v38
	v_cmp_ne_u32_e32 vcc, s9, v40
	v_bfrev_b32_e32 v58, 1
	s_and_saveexec_b64 s[14:15], vcc
	s_cbranch_execz .LBB613_213
; %bb.595:                              ;   in Loop: Header=BB613_215 Depth=1
	v_bfe_u32 v38, v38, 24, 7
	v_cmp_ne_u32_e32 vcc, s19, v38
	v_mov_b32_e32 v58, 0x7f800001
	s_and_saveexec_b64 s[16:17], vcc
	s_cbranch_execz .LBB613_212
; %bb.596:                              ;   in Loop: Header=BB613_215 Depth=1
	v_and_b32_e32 v60, 7, v40
	v_ffbh_u32_e32 v58, v60
	v_min_u32_e32 v62, 32, v58
	v_subrev_u32_e32 v58, 28, v62
	v_lshlrev_b64 v[58:59], v58, v[40:41]
	v_lshrrev_b32_e32 v61, 3, v38
	v_sub_u32_e32 v59, 29, v62
	v_and_b32_e32 v58, 7, v58
	v_cmp_gt_u32_e32 vcc, 8, v38
	v_cndmask_b32_e32 v38, v61, v59, vcc
	v_cndmask_b32_e32 v58, v60, v58, vcc
	v_lshlrev_b32_e32 v40, 24, v40
	v_lshlrev_b32_e32 v58, 20, v58
	v_and_b32_e32 v40, 0x80000000, v40
	v_lshl_add_u32 v38, v38, 23, v55
	v_or3_b32 v58, v40, v38, v58
	s_branch .LBB613_212
.LBB613_597:
	s_barrier
	buffer_load_dword v2, off, s[0:3], 0 offset:320
	buffer_load_dword v5, off, s[0:3], 0 offset:332
	;; [unrolled: 1-line block ×4, first 2 shown]
	v_cmp_gt_u32_e32 vcc, 64, v0
	s_waitcnt vmcnt(0)
	ds_write2st64_b64 v52, v[2:3], v[4:5] offset1:1
	s_waitcnt lgkmcnt(0)
	s_barrier
	s_and_saveexec_b64 s[4:5], vcc
	s_cbranch_execz .LBB613_599
; %bb.598:
	s_lshl_b32 s6, s48, 7
	s_mul_i32 s4, s18, s8
	s_mul_hi_u32 s5, s4, s6
	s_mul_i32 s4, s4, s6
	s_lshl_b64 s[4:5], s[4:5], 1
	s_add_u32 s7, s50, s4
	v_lshlrev_b32_e32 v4, 6, v41
	s_addc_u32 s8, s51, s5
	s_lshl_b32 s4, s26, 7
	s_mov_b32 s5, 0
	v_lshl_or_b32 v0, v0, 10, v4
	s_lshl_b64 s[4:5], s[4:5], 1
	v_lshlrev_b32_e32 v2, 5, v1
	v_and_b32_e32 v3, 16, v43
	v_and_b32_e32 v0, 0x1a00, v0
	s_add_u32 s4, s7, s4
	v_or3_b32 v0, v0, v2, v3
	s_addc_u32 s5, s8, s5
	ds_read_b128 v[2:5], v0
	ds_read_b128 v[6:9], v0 offset:128
	v_mov_b32_e32 v0, s5
	v_add_co_u32_e32 v10, vcc, s4, v39
	v_or_b32_e32 v12, s27, v1
	v_addc_co_u32_e32 v11, vcc, 0, v0, vcc
	v_mad_u64_u32 v[0:1], s[4:5], v12, s6, 0
	v_lshlrev_b64 v[0:1], 1, v[0:1]
	v_add_co_u32_e32 v0, vcc, v10, v0
	v_addc_co_u32_e32 v1, vcc, v11, v1, vcc
	s_waitcnt lgkmcnt(1)
	global_store_dwordx4 v[0:1], v[2:5], off
	v_or_b32_e32 v0, 4, v12
	v_mad_u64_u32 v[0:1], s[4:5], v0, s6, 0
	v_lshlrev_b64 v[0:1], 1, v[0:1]
	v_add_co_u32_e32 v0, vcc, v10, v0
	v_addc_co_u32_e32 v1, vcc, v11, v1, vcc
	s_waitcnt lgkmcnt(0)
	global_store_dwordx4 v[0:1], v[6:9], off
.LBB613_599:
	s_endpgm
	.section	.rodata,"a",@progbits
	.p2align	6, 0x0
	.amdhsa_kernel _Z39paged_attention_ll4mi_QKV_mfma16_kernelIDF16_hLN4vllm18Fp8KVCacheDataTypeE1EDF16_Li16ELi128ELi256ELb1ELi8EL8MFMAType0EEvPKT_PKT0_S8_ifPKiSA_SA_iPKfiiiPfSD_PS3_PT2_iSC_SC_
		.amdhsa_group_segment_fixed_size 8192
		.amdhsa_private_segment_fixed_size 352
		.amdhsa_kernarg_size 400
		.amdhsa_user_sgpr_count 8
		.amdhsa_user_sgpr_private_segment_buffer 1
		.amdhsa_user_sgpr_dispatch_ptr 0
		.amdhsa_user_sgpr_queue_ptr 0
		.amdhsa_user_sgpr_kernarg_segment_ptr 1
		.amdhsa_user_sgpr_dispatch_id 0
		.amdhsa_user_sgpr_flat_scratch_init 1
		.amdhsa_user_sgpr_kernarg_preload_length 0
		.amdhsa_user_sgpr_kernarg_preload_offset 0
		.amdhsa_user_sgpr_private_segment_size 0
		.amdhsa_uses_dynamic_stack 0
		.amdhsa_system_sgpr_private_segment_wavefront_offset 1
		.amdhsa_system_sgpr_workgroup_id_x 1
		.amdhsa_system_sgpr_workgroup_id_y 1
		.amdhsa_system_sgpr_workgroup_id_z 1
		.amdhsa_system_sgpr_workgroup_info 0
		.amdhsa_system_vgpr_workitem_id 0
		.amdhsa_next_free_vgpr 80
		.amdhsa_next_free_sgpr 53
		.amdhsa_accum_offset 80
		.amdhsa_reserve_vcc 1
		.amdhsa_reserve_flat_scratch 0
		.amdhsa_float_round_mode_32 0
		.amdhsa_float_round_mode_16_64 0
		.amdhsa_float_denorm_mode_32 3
		.amdhsa_float_denorm_mode_16_64 3
		.amdhsa_dx10_clamp 1
		.amdhsa_ieee_mode 1
		.amdhsa_fp16_overflow 0
		.amdhsa_tg_split 0
		.amdhsa_exception_fp_ieee_invalid_op 0
		.amdhsa_exception_fp_denorm_src 0
		.amdhsa_exception_fp_ieee_div_zero 0
		.amdhsa_exception_fp_ieee_overflow 0
		.amdhsa_exception_fp_ieee_underflow 0
		.amdhsa_exception_fp_ieee_inexact 0
		.amdhsa_exception_int_div_zero 0
	.end_amdhsa_kernel
	.section	.text._Z39paged_attention_ll4mi_QKV_mfma16_kernelIDF16_hLN4vllm18Fp8KVCacheDataTypeE1EDF16_Li16ELi128ELi256ELb1ELi8EL8MFMAType0EEvPKT_PKT0_S8_ifPKiSA_SA_iPKfiiiPfSD_PS3_PT2_iSC_SC_,"axG",@progbits,_Z39paged_attention_ll4mi_QKV_mfma16_kernelIDF16_hLN4vllm18Fp8KVCacheDataTypeE1EDF16_Li16ELi128ELi256ELb1ELi8EL8MFMAType0EEvPKT_PKT0_S8_ifPKiSA_SA_iPKfiiiPfSD_PS3_PT2_iSC_SC_,comdat
.Lfunc_end613:
	.size	_Z39paged_attention_ll4mi_QKV_mfma16_kernelIDF16_hLN4vllm18Fp8KVCacheDataTypeE1EDF16_Li16ELi128ELi256ELb1ELi8EL8MFMAType0EEvPKT_PKT0_S8_ifPKiSA_SA_iPKfiiiPfSD_PS3_PT2_iSC_SC_, .Lfunc_end613-_Z39paged_attention_ll4mi_QKV_mfma16_kernelIDF16_hLN4vllm18Fp8KVCacheDataTypeE1EDF16_Li16ELi128ELi256ELb1ELi8EL8MFMAType0EEvPKT_PKT0_S8_ifPKiSA_SA_iPKfiiiPfSD_PS3_PT2_iSC_SC_
                                        ; -- End function
	.section	.AMDGPU.csdata,"",@progbits
; Kernel info:
; codeLenInByte = 21384
; NumSgprs: 57
; NumVgprs: 80
; NumAgprs: 0
; TotalNumVgprs: 80
; ScratchSize: 352
; MemoryBound: 0
; FloatMode: 240
; IeeeMode: 1
; LDSByteSize: 8192 bytes/workgroup (compile time only)
; SGPRBlocks: 7
; VGPRBlocks: 9
; NumSGPRsForWavesPerEU: 57
; NumVGPRsForWavesPerEU: 80
; AccumOffset: 80
; Occupancy: 6
; WaveLimiterHint : 1
; COMPUTE_PGM_RSRC2:SCRATCH_EN: 1
; COMPUTE_PGM_RSRC2:USER_SGPR: 8
; COMPUTE_PGM_RSRC2:TRAP_HANDLER: 0
; COMPUTE_PGM_RSRC2:TGID_X_EN: 1
; COMPUTE_PGM_RSRC2:TGID_Y_EN: 1
; COMPUTE_PGM_RSRC2:TGID_Z_EN: 1
; COMPUTE_PGM_RSRC2:TIDIG_COMP_CNT: 0
; COMPUTE_PGM_RSRC3_GFX90A:ACCUM_OFFSET: 19
; COMPUTE_PGM_RSRC3_GFX90A:TG_SPLIT: 0
	.section	.text._Z39paged_attention_ll4mi_QKV_mfma16_kernelIDF16_hLN4vllm18Fp8KVCacheDataTypeE1EDF16_Li16ELi128ELi256ELb1ELi9EL8MFMAType0EEvPKT_PKT0_S8_ifPKiSA_SA_iPKfiiiPfSD_PS3_PT2_iSC_SC_,"axG",@progbits,_Z39paged_attention_ll4mi_QKV_mfma16_kernelIDF16_hLN4vllm18Fp8KVCacheDataTypeE1EDF16_Li16ELi128ELi256ELb1ELi9EL8MFMAType0EEvPKT_PKT0_S8_ifPKiSA_SA_iPKfiiiPfSD_PS3_PT2_iSC_SC_,comdat
	.protected	_Z39paged_attention_ll4mi_QKV_mfma16_kernelIDF16_hLN4vllm18Fp8KVCacheDataTypeE1EDF16_Li16ELi128ELi256ELb1ELi9EL8MFMAType0EEvPKT_PKT0_S8_ifPKiSA_SA_iPKfiiiPfSD_PS3_PT2_iSC_SC_ ; -- Begin function _Z39paged_attention_ll4mi_QKV_mfma16_kernelIDF16_hLN4vllm18Fp8KVCacheDataTypeE1EDF16_Li16ELi128ELi256ELb1ELi9EL8MFMAType0EEvPKT_PKT0_S8_ifPKiSA_SA_iPKfiiiPfSD_PS3_PT2_iSC_SC_
	.globl	_Z39paged_attention_ll4mi_QKV_mfma16_kernelIDF16_hLN4vllm18Fp8KVCacheDataTypeE1EDF16_Li16ELi128ELi256ELb1ELi9EL8MFMAType0EEvPKT_PKT0_S8_ifPKiSA_SA_iPKfiiiPfSD_PS3_PT2_iSC_SC_
	.p2align	8
	.type	_Z39paged_attention_ll4mi_QKV_mfma16_kernelIDF16_hLN4vllm18Fp8KVCacheDataTypeE1EDF16_Li16ELi128ELi256ELb1ELi9EL8MFMAType0EEvPKT_PKT0_S8_ifPKiSA_SA_iPKfiiiPfSD_PS3_PT2_iSC_SC_,@function
_Z39paged_attention_ll4mi_QKV_mfma16_kernelIDF16_hLN4vllm18Fp8KVCacheDataTypeE1EDF16_Li16ELi128ELi256ELb1ELi9EL8MFMAType0EEvPKT_PKT0_S8_ifPKiSA_SA_iPKfiiiPfSD_PS3_PT2_iSC_SC_: ; @_Z39paged_attention_ll4mi_QKV_mfma16_kernelIDF16_hLN4vllm18Fp8KVCacheDataTypeE1EDF16_Li16ELi128ELi256ELb1ELi9EL8MFMAType0EEvPKT_PKT0_S8_ifPKiSA_SA_iPKfiiiPfSD_PS3_PT2_iSC_SC_
; %bb.0:
	s_load_dwordx2 s[6:7], s[4:5], 0x30
	s_add_u32 s0, s0, s11
	s_addc_u32 s1, s1, 0
	s_mov_b32 s26, s9
	s_mov_b64 s[14:15], 0
	s_waitcnt lgkmcnt(0)
	s_cmp_lg_u64 s[6:7], 0
	s_cselect_b64 s[12:13], -1, 0
	s_and_b64 vcc, exec, s[12:13]
	s_cbranch_vccz .LBB614_7
; %bb.1:
	s_add_i32 s16, s8, 1
	s_mov_b32 s17, 0
	s_lshl_b64 s[18:19], s[16:17], 2
	s_add_u32 s18, s6, s18
	s_mov_b32 s9, s17
	s_addc_u32 s19, s7, s19
	s_lshl_b64 s[16:17], s[8:9], 2
	s_add_u32 s16, s6, s16
	s_addc_u32 s17, s7, s17
	s_load_dword s11, s[18:19], 0x0
	s_load_dword s20, s[16:17], 0x0
	s_waitcnt lgkmcnt(0)
	s_sub_i32 s11, s11, s20
	s_cmp_eq_u32 s11, 1
	s_cselect_b64 s[16:17], -1, 0
	s_andn2_b64 vcc, exec, s[14:15]
	s_cbranch_vccnz .LBB614_3
.LBB614_2:
	s_mov_b32 s9, 0
	s_mov_b64 s[16:17], -1
.LBB614_3:
	s_andn2_b64 vcc, exec, s[16:17]
	s_cbranch_vccnz .LBB614_600
; %bb.4:
	s_load_dwordx2 s[16:17], s[4:5], 0x28
	s_lshl_b64 s[14:15], s[8:9], 2
	s_waitcnt lgkmcnt(0)
	s_add_u32 s16, s16, s14
	s_addc_u32 s17, s17, s15
	s_load_dword s33, s[16:17], 0x0
	s_lshl_b32 s20, s26, 8
	s_waitcnt lgkmcnt(0)
	s_cmp_ge_i32 s20, s33
	s_cbranch_scc1 .LBB614_600
; %bb.5:
	s_add_i32 s18, s33, 15
	s_load_dwordx2 s[16:17], s[4:5], 0x20
	s_load_dword s11, s[4:5], 0x38
	s_ashr_i32 s19, s18, 31
	v_and_b32_e32 v1, 0xcf, v0
	s_lshr_b32 s19, s19, 28
	v_add_u32_e32 v1, s20, v1
	s_add_i32 s18, s18, s19
	v_ashrrev_i32_e32 v2, 31, v1
	s_ashr_i32 s23, s18, 4
	v_lshrrev_b32_e32 v4, 28, v2
	s_add_i32 s23, s23, -1
	v_add_u32_e32 v2, v1, v4
	s_waitcnt lgkmcnt(0)
	s_mul_i32 s18, s8, s11
	s_mov_b32 s19, 0
	v_ashrrev_i32_e32 v2, 4, v2
	v_mov_b32_e32 v5, s23
	v_cmp_gt_i32_e32 vcc, s33, v1
	s_lshl_b64 s[18:19], s[18:19], 2
	v_cndmask_b32_e32 v2, v5, v2, vcc
	s_add_u32 s21, s16, s18
	v_ashrrev_i32_e32 v3, 31, v2
	s_addc_u32 s22, s17, s19
	v_lshlrev_b64 v[2:3], 2, v[2:3]
	v_mov_b32_e32 v7, s22
	v_add_co_u32_e32 v6, vcc, s21, v2
	v_or_b32_e32 v2, 16, v1
	v_addc_co_u32_e32 v7, vcc, v7, v3, vcc
	v_add_u32_e32 v3, v2, v4
	v_ashrrev_i32_e32 v3, 4, v3
	v_cmp_gt_i32_e32 vcc, s33, v2
	v_cndmask_b32_e32 v2, v5, v3, vcc
	v_ashrrev_i32_e32 v3, 31, v2
	v_lshlrev_b64 v[2:3], 2, v[2:3]
	v_mov_b32_e32 v9, s22
	v_add_co_u32_e32 v8, vcc, s21, v2
	v_or_b32_e32 v2, 32, v1
	v_addc_co_u32_e32 v9, vcc, v9, v3, vcc
	v_add_u32_e32 v3, v2, v4
	v_ashrrev_i32_e32 v3, 4, v3
	v_cmp_gt_i32_e32 vcc, s33, v2
	v_cndmask_b32_e32 v2, v5, v3, vcc
	v_ashrrev_i32_e32 v3, 31, v2
	;; [unrolled: 10-line block ×3, first 2 shown]
	v_lshlrev_b64 v[2:3], 2, v[2:3]
	v_mov_b32_e32 v1, s22
	v_add_co_u32_e32 v12, vcc, s21, v2
	v_addc_co_u32_e32 v13, vcc, v1, v3, vcc
	global_load_dword v5, v[6:7], off
	global_load_dword v4, v[8:9], off
	;; [unrolled: 1-line block ×4, first 2 shown]
	s_load_dwordx2 s[16:17], s[4:5], 0x8
	s_andn2_b64 vcc, exec, s[12:13]
	s_cbranch_vccnz .LBB614_8
; %bb.6:
	s_add_u32 s6, s6, s14
	s_addc_u32 s7, s7, s15
	s_load_dword s11, s[6:7], 0x0
	s_branch .LBB614_9
.LBB614_7:
	s_mov_b64 s[16:17], 0
	s_branch .LBB614_2
.LBB614_8:
	s_mov_b32 s11, s8
.LBB614_9:
	s_load_dwordx2 s[6:7], s[4:5], 0x10
	s_load_dwordx4 s[12:15], s[4:5], 0x48
	v_lshrrev_b32_e32 v27, 6, v0
	v_bfe_u32 v1, v0, 4, 2
	v_and_b32_e32 v41, 15, v0
	v_lshl_or_b32 v6, v27, 2, v1
	v_lshlrev_b32_e32 v7, 3, v41
	s_mul_i32 s27, s10, 9
	v_cmp_gt_u32_e32 vcc, 9, v6
	v_lshlrev_b32_e32 v39, 1, v7
	v_lshlrev_b32_e32 v43, 4, v0
	s_and_saveexec_b64 s[18:19], vcc
	s_cbranch_execz .LBB614_11
; %bb.10:
	s_load_dwordx2 s[24:25], s[4:5], 0x0
	s_waitcnt lgkmcnt(0)
	s_ashr_i32 s15, s12, 31
	s_mul_hi_u32 s28, s11, s12
	s_mul_i32 s15, s11, s15
	s_add_i32 s29, s28, s15
	s_mul_i32 s28, s11, s12
	s_lshl_b64 s[28:29], s[28:29], 1
	v_add_lshl_u32 v8, v6, s27, 7
	s_add_u32 s11, s24, s28
	v_ashrrev_i32_e32 v9, 31, v8
	s_addc_u32 s12, s25, s29
	v_lshlrev_b64 v[8:9], 1, v[8:9]
	v_mov_b32_e32 v7, s12
	v_add_co_u32_e32 v8, vcc, s11, v8
	v_addc_co_u32_e32 v7, vcc, v7, v9, vcc
	v_add_co_u32_e32 v8, vcc, v8, v39
	v_addc_co_u32_e32 v9, vcc, 0, v7, vcc
	global_load_dwordx4 v[8:11], v[8:9], off
	v_lshlrev_b32_e32 v12, 8, v0
	v_lshlrev_b32_e32 v7, 8, v41
	v_and_b32_e32 v12, 0x600, v12
	s_movk_i32 s11, 0x800
	v_and_or_b32 v7, v7, s11, v12
	v_lshlrev_b32_e32 v6, 5, v6
	v_and_b32_e32 v12, 16, v43
	v_or3_b32 v6, v7, v6, v12
	s_waitcnt vmcnt(0)
	ds_write_b128 v6, v[8:11]
.LBB614_11:
	s_or_b64 exec, exec, s[18:19]
	s_waitcnt lgkmcnt(0)
	s_mul_i32 s14, s10, s14
	s_add_u32 s10, s16, s14
	s_addc_u32 s11, s17, 0
	v_and_b32_e32 v6, 0xf0, v43
	v_mov_b32_e32 v7, s11
	v_add_co_u32_e32 v6, vcc, s10, v6
	v_and_b32_e32 v18, 48, v0
	v_addc_co_u32_e32 v7, vcc, 0, v7, vcc
	v_lshlrev_b32_e32 v10, 4, v18
	s_waitcnt vmcnt(3)
	v_mad_i64_i32 v[8:9], s[10:11], v5, s13, v[6:7]
	v_add_co_u32_e32 v8, vcc, v8, v10
	v_addc_co_u32_e32 v9, vcc, 0, v9, vcc
	s_waitcnt vmcnt(2)
	v_mad_i64_i32 v[4:5], s[10:11], v4, s13, v[6:7]
	v_add_co_u32_e32 v4, vcc, v4, v10
	v_addc_co_u32_e32 v5, vcc, 0, v5, vcc
	s_load_dwordx2 s[48:49], s[4:5], 0x94
	s_waitcnt lgkmcnt(0)
	s_barrier
	global_load_dwordx4 v[20:23], v[8:9], off
	global_load_dwordx4 v[28:31], v[8:9], off offset:1024
	global_load_dwordx4 v[32:35], v[4:5], off
	global_load_dwordx4 v[44:47], v[4:5], off offset:1024
	s_waitcnt vmcnt(5)
	v_mad_i64_i32 v[4:5], s[10:11], v3, s13, v[6:7]
	v_add_co_u32_e32 v4, vcc, v4, v10
	v_addc_co_u32_e32 v5, vcc, 0, v5, vcc
	s_waitcnt vmcnt(4)
	v_mad_i64_i32 v[2:3], s[10:11], v2, s13, v[6:7]
	v_add_co_u32_e32 v2, vcc, v2, v10
	v_addc_co_u32_e32 v3, vcc, 0, v3, vcc
	global_load_dwordx4 v[48:51], v[4:5], off
	global_load_dwordx4 v[52:55], v[4:5], off offset:1024
	global_load_dwordx4 v[56:59], v[2:3], off
	global_load_dwordx4 v[60:63], v[2:3], off offset:1024
	v_add_u32_e32 v2, -9, v41
	v_cmp_gt_u32_e32 vcc, 9, v41
	v_cndmask_b32_e32 v2, v2, v41, vcc
	v_lshlrev_b32_e32 v2, 5, v2
	v_lshl_add_u32 v14, v1, 9, v2
	s_load_dwordx2 s[50:51], s[4:5], 0x68
	s_load_dwordx4 s[44:47], s[4:5], 0x58
	ds_read_b128 v[2:5], v14
	ds_read_b128 v[6:9], v14 offset:16
	ds_read_b128 v[10:13], v14 offset:2048
	;; [unrolled: 1-line block ×3, first 2 shown]
	s_mov_b32 s12, 0
	s_waitcnt vmcnt(7)
	buffer_store_dword v23, off, s[0:3], 0 offset:12
	buffer_store_dword v22, off, s[0:3], 0 offset:8
	;; [unrolled: 1-line block ×3, first 2 shown]
	buffer_store_dword v20, off, s[0:3], 0
	s_waitcnt vmcnt(10)
	buffer_store_dword v31, off, s[0:3], 0 offset:28
	buffer_store_dword v30, off, s[0:3], 0 offset:24
	buffer_store_dword v29, off, s[0:3], 0 offset:20
	buffer_store_dword v28, off, s[0:3], 0 offset:16
	s_waitcnt vmcnt(13)
	buffer_store_dword v35, off, s[0:3], 0 offset:44
	buffer_store_dword v34, off, s[0:3], 0 offset:40
	buffer_store_dword v33, off, s[0:3], 0 offset:36
	buffer_store_dword v32, off, s[0:3], 0 offset:32
	;; [unrolled: 5-line block ×7, first 2 shown]
	v_mov_b32_e32 v35, 0
	v_mov_b32_e32 v31, 0
	s_and_saveexec_b64 s[10:11], vcc
	s_cbranch_execz .LBB614_13
; %bb.12:
	s_load_dwordx2 s[16:17], s[4:5], 0x40
	v_add_u32_e32 v20, s27, v41
	v_ashrrev_i32_e32 v21, 31, v20
	v_lshlrev_b64 v[20:21], 2, v[20:21]
	s_waitcnt lgkmcnt(0)
	v_mov_b32_e32 v19, s17
	v_add_co_u32_e32 v20, vcc, s16, v20
	v_addc_co_u32_e32 v21, vcc, v19, v21, vcc
	global_load_dword v31, v[20:21], off
.LBB614_13:
	s_or_b64 exec, exec, s[10:11]
	v_or_b32_e32 v22, s20, v18
	v_ashrrev_i32_e32 v18, 4, v22
	v_mov_b32_e32 v23, s23
	v_cmp_gt_i32_e32 vcc, s33, v22
	v_cndmask_b32_e32 v18, v23, v18, vcc
	v_ashrrev_i32_e32 v19, 31, v18
	v_lshlrev_b64 v[18:19], 2, v[18:19]
	v_mov_b32_e32 v20, s22
	v_add_co_u32_e32 v18, vcc, s21, v18
	v_addc_co_u32_e32 v19, vcc, v20, v19, vcc
	global_load_dword v26, v[18:19], off
	v_or_b32_e32 v18, 64, v22
	v_ashrrev_i32_e32 v19, 4, v18
	v_cmp_gt_i32_e32 vcc, s33, v18
	v_cndmask_b32_e32 v18, v23, v19, vcc
	v_ashrrev_i32_e32 v19, 31, v18
	v_lshlrev_b64 v[18:19], 2, v[18:19]
	v_add_co_u32_e32 v18, vcc, s21, v18
	v_addc_co_u32_e32 v19, vcc, v20, v19, vcc
	v_or_b32_e32 v20, 0x80, v22
	v_ashrrev_i32_e32 v21, 4, v20
	v_cmp_gt_i32_e32 vcc, s33, v20
	v_cndmask_b32_e32 v20, v23, v21, vcc
	v_ashrrev_i32_e32 v21, 31, v20
	v_lshlrev_b64 v[20:21], 2, v[20:21]
	v_mov_b32_e32 v24, s22
	v_add_co_u32_e32 v20, vcc, s21, v20
	v_addc_co_u32_e32 v21, vcc, v24, v21, vcc
	global_load_dword v28, v[18:19], off
	global_load_dword v30, v[20:21], off
	v_or_b32_e32 v18, 0xc0, v22
	v_ashrrev_i32_e32 v19, 4, v18
	v_cmp_gt_i32_e32 vcc, s33, v18
	v_cndmask_b32_e32 v18, v23, v19, vcc
	v_ashrrev_i32_e32 v19, 31, v18
	v_lshlrev_b64 v[18:19], 2, v[18:19]
	v_mov_b32_e32 v20, s22
	v_add_co_u32_e32 v18, vcc, s21, v18
	v_addc_co_u32_e32 v19, vcc, v20, v19, vcc
	global_load_dword v34, v[18:19], off
	s_add_u32 s10, s6, s14
	v_lshl_or_b32 v29, v27, 4, v41
	s_addc_u32 s6, s7, 0
	v_lshlrev_b32_e32 v18, 4, v29
	v_mov_b32_e32 v19, s6
	v_add_co_u32_e32 v22, vcc, s10, v18
	v_addc_co_u32_e32 v23, vcc, 0, v19, vcc
	v_or_b32_e32 v24, 0x400, v18
	v_mov_b32_e32 v25, s6
	v_add_co_u32_e32 v24, vcc, s10, v24
	v_addc_co_u32_e32 v25, vcc, 0, v25, vcc
	v_mov_b32_e32 v36, 0
	s_movk_i32 s14, 0x7f
	s_mov_b32 s15, 0xffffff
	v_mov_b32_e32 v37, 0x100
	v_bfrev_b32_e32 v38, 60
	s_waitcnt vmcnt(3)
	v_mad_i64_i32 v[18:19], s[6:7], v26, s13, v[22:23]
	global_load_dwordx4 v[18:21], v[18:19], off
	v_mad_i64_i32 v[32:33], s[6:7], v26, s13, v[24:25]
	global_load_dwordx4 v[52:55], v[32:33], off
	s_waitcnt vmcnt(4)
	v_mad_i64_i32 v[32:33], s[6:7], v28, s13, v[22:23]
	global_load_dwordx4 v[56:59], v[32:33], off
	s_waitcnt vmcnt(4)
	;; [unrolled: 3-line block ×3, first 2 shown]
	v_mad_i64_i32 v[22:23], s[6:7], v34, s13, v[22:23]
	global_load_dwordx4 v[64:67], v[22:23], off
	v_mad_i64_i32 v[22:23], s[6:7], v28, s13, v[24:25]
	global_load_dwordx4 v[68:71], v[22:23], off
	v_mad_i64_i32 v[22:23], s[6:7], v30, s13, v[24:25]
	global_load_dwordx4 v[72:75], v[22:23], off
	v_mad_i64_i32 v[22:23], s[6:7], v34, s13, v[24:25]
	global_load_dwordx4 v[76:79], v[22:23], off
	s_load_dword s6, s[4:5], 0x1c
	s_load_dwordx4 s[40:43], s[4:5], 0x80
	v_mov_b32_e32 v22, 0x80
	v_add_u32_e32 v45, 16, v22
	v_add_u32_e32 v46, 32, v22
	;; [unrolled: 1-line block ×3, first 2 shown]
	s_waitcnt lgkmcnt(0)
	s_load_dword s4, s[40:41], 0x0
	v_add_u32_e32 v51, 64, v22
	v_add_u32_e32 v48, 0x50, v22
	;; [unrolled: 1-line block ×4, first 2 shown]
	v_mov_b32_e32 v22, s6
	s_waitcnt lgkmcnt(0)
	v_mul_f32_e32 v22, s4, v22
	v_and_b32_e32 v33, 63, v0
	s_movk_i32 s13, 0x80
	v_mov_b32_e32 v24, v22
	v_mov_b32_e32 v25, v22
	s_waitcnt vmcnt(7)
	buffer_store_dword v21, off, s[0:3], 0 offset:140
	buffer_store_dword v20, off, s[0:3], 0 offset:136
	buffer_store_dword v19, off, s[0:3], 0 offset:132
	buffer_store_dword v18, off, s[0:3], 0 offset:128
	s_waitcnt vmcnt(10)
	buffer_store_dword v55, off, s[0:3], 0 offset:156
	buffer_store_dword v54, off, s[0:3], 0 offset:152
	buffer_store_dword v53, off, s[0:3], 0 offset:148
	buffer_store_dword v52, off, s[0:3], 0 offset:144
	;; [unrolled: 5-line block ×8, first 2 shown]
	s_branch .LBB614_17
.LBB614_14:                             ;   in Loop: Header=BB614_17 Depth=1
	s_or_b64 exec, exec, s[10:11]
.LBB614_15:                             ;   in Loop: Header=BB614_17 Depth=1
	s_or_b64 exec, exec, s[6:7]
.LBB614_16:                             ;   in Loop: Header=BB614_17 Depth=1
	s_or_b64 exec, exec, s[4:5]
	v_cvt_pkrtz_f16_f32 v54, v34, v32
	v_cvt_pkrtz_f16_f32 v55, v23, v42
	v_add_u32_e32 v26, s12, v37
	s_add_i32 s12, s12, 16
	v_mov_b32_e32 v23, v22
	v_mfma_f32_16x16x16f16 v[18:21], v[54:55], v[14:15], v[18:21]
	v_cvt_pkrtz_f16_f32 v54, v40, v44
	v_cvt_pkrtz_f16_f32 v55, v30, v52
	s_cmp_eq_u32 s12, 64
	v_add_u32_e32 v36, 32, v36
	v_mfma_f32_16x16x16f16 v[18:21], v[54:55], v[16:17], v[18:21]
	s_nop 7
	s_nop 2
	v_pk_mul_f32 v[18:19], v[24:25], v[18:19]
	v_pk_mul_f32 v[20:21], v[22:23], v[20:21]
	buffer_store_dword v19, v26, s[0:3], 0 offen offset:4
	buffer_store_dword v18, v26, s[0:3], 0 offen
	buffer_store_dword v21, v26, s[0:3], 0 offen offset:12
	buffer_store_dword v20, v26, s[0:3], 0 offen offset:8
	s_cbranch_scc1 .LBB614_207
.LBB614_17:                             ; =>This Inner Loop Header: Depth=1
	buffer_load_dword v20, v36, s[0:3], 0 offen
	buffer_load_dword v18, v36, s[0:3], 0 offen offset:4
	buffer_load_dword v28, v36, s[0:3], 0 offen offset:8
	;; [unrolled: 1-line block ×3, first 2 shown]
	v_mov_b32_e32 v19, 0
	v_mov_b32_e32 v21, 0
	s_waitcnt vmcnt(3)
	v_cmp_ne_u16_sdwa s[6:7], v20, v35 src0_sel:BYTE_0 src1_sel:DWORD
	s_and_saveexec_b64 s[4:5], s[6:7]
	s_cbranch_execz .LBB614_23
; %bb.18:                               ;   in Loop: Header=BB614_17 Depth=1
	v_cmp_ne_u16_sdwa s[10:11], v20, s13 src0_sel:BYTE_0 src1_sel:DWORD
	v_bfrev_b32_e32 v21, 1
	s_and_saveexec_b64 s[6:7], s[10:11]
	s_cbranch_execz .LBB614_22
; %bb.19:                               ;   in Loop: Header=BB614_17 Depth=1
	v_and_b32_e32 v23, 0x7f, v20
	v_cmp_ne_u32_e32 vcc, s14, v23
	v_mov_b32_e32 v21, 0x7f800001
	s_and_saveexec_b64 s[10:11], vcc
	s_cbranch_execz .LBB614_21
; %bb.20:                               ;   in Loop: Header=BB614_17 Depth=1
	v_and_b32_e32 v21, 7, v20
	v_ffbh_u32_e32 v32, v21
	v_min_u32_e32 v32, 32, v32
	v_subrev_u32_e32 v34, 28, v32
	v_lshlrev_b64 v[52:53], v34, v[20:21]
	v_lshrrev_b32_e32 v30, 3, v23
	v_sub_u32_e32 v32, 29, v32
	v_and_b32_e32 v34, 7, v52
	v_cmp_gt_u32_e32 vcc, 8, v23
	v_cndmask_b32_e32 v23, v30, v32, vcc
	v_cndmask_b32_e32 v21, v21, v34, vcc
	v_lshlrev_b32_e32 v30, 24, v20
	v_lshlrev_b32_e32 v21, 20, v21
	v_and_b32_e32 v30, 0x80000000, v30
	v_lshl_add_u32 v23, v23, 23, v38
	v_or3_b32 v21, v30, v23, v21
.LBB614_21:                             ;   in Loop: Header=BB614_17 Depth=1
	s_or_b64 exec, exec, s[10:11]
.LBB614_22:                             ;   in Loop: Header=BB614_17 Depth=1
	s_or_b64 exec, exec, s[6:7]
.LBB614_23:                             ;   in Loop: Header=BB614_17 Depth=1
	s_or_b64 exec, exec, s[4:5]
	v_lshrrev_b16_e32 v30, 8, v20
	v_cmp_ne_u16_e32 vcc, 0, v30
	s_and_saveexec_b64 s[4:5], vcc
	s_cbranch_execz .LBB614_29
; %bb.24:                               ;   in Loop: Header=BB614_17 Depth=1
	v_cmp_ne_u16_e32 vcc, s13, v30
	v_bfrev_b32_e32 v19, 1
	s_and_saveexec_b64 s[6:7], vcc
	s_cbranch_execz .LBB614_28
; %bb.25:                               ;   in Loop: Header=BB614_17 Depth=1
	v_and_b32_e32 v23, 0x7f, v30
	v_cmp_ne_u32_e32 vcc, s14, v23
	v_mov_b32_e32 v19, 0x7f800001
	s_and_saveexec_b64 s[10:11], vcc
	s_cbranch_execz .LBB614_27
; %bb.26:                               ;   in Loop: Header=BB614_17 Depth=1
	v_and_b32_e32 v19, 7, v30
	v_ffbh_u32_e32 v34, v19
	v_min_u32_e32 v34, 32, v34
	v_subrev_u32_e32 v40, 28, v34
	v_lshlrev_b64 v[52:53], v40, v[30:31]
	v_lshrrev_b32_e32 v32, 3, v23
	v_sub_u32_e32 v30, 29, v34
	v_and_b32_e32 v34, 7, v52
	v_cmp_gt_u32_e32 vcc, 8, v23
	v_cndmask_b32_e32 v23, v32, v30, vcc
	v_cndmask_b32_e32 v19, v19, v34, vcc
	v_lshlrev_b32_e32 v30, 16, v20
	v_lshlrev_b32_e32 v19, 20, v19
	v_and_b32_e32 v30, 0x80000000, v30
	v_lshl_add_u32 v23, v23, 23, v38
	v_or3_b32 v19, v30, v23, v19
.LBB614_27:                             ;   in Loop: Header=BB614_17 Depth=1
	s_or_b64 exec, exec, s[10:11]
.LBB614_28:                             ;   in Loop: Header=BB614_17 Depth=1
	s_or_b64 exec, exec, s[6:7]
.LBB614_29:                             ;   in Loop: Header=BB614_17 Depth=1
	s_or_b64 exec, exec, s[4:5]
	v_lshrrev_b32_e32 v30, 16, v20
	v_cmp_ne_u16_sdwa s[6:7], v30, v35 src0_sel:BYTE_0 src1_sel:DWORD
	v_mov_b32_e32 v32, 0
	v_mov_b32_e32 v23, 0
	s_and_saveexec_b64 s[4:5], s[6:7]
	s_cbranch_execz .LBB614_35
; %bb.30:                               ;   in Loop: Header=BB614_17 Depth=1
	v_cmp_ne_u16_sdwa s[10:11], v30, s13 src0_sel:BYTE_0 src1_sel:DWORD
	v_bfrev_b32_e32 v23, 1
	s_and_saveexec_b64 s[6:7], s[10:11]
	s_cbranch_execz .LBB614_34
; %bb.31:                               ;   in Loop: Header=BB614_17 Depth=1
	v_bfe_u32 v34, v20, 16, 7
	v_cmp_ne_u32_e32 vcc, s14, v34
	v_mov_b32_e32 v23, 0x7f800001
	s_and_saveexec_b64 s[10:11], vcc
	s_cbranch_execz .LBB614_33
; %bb.32:                               ;   in Loop: Header=BB614_17 Depth=1
	v_and_b32_e32 v23, 7, v30
	v_ffbh_u32_e32 v42, v23
	v_min_u32_e32 v42, 32, v42
	v_subrev_u32_e32 v44, 28, v42
	v_lshlrev_b64 v[52:53], v44, v[30:31]
	v_lshrrev_b32_e32 v40, 3, v34
	v_sub_u32_e32 v42, 29, v42
	v_and_b32_e32 v44, 7, v52
	v_cmp_gt_u32_e32 vcc, 8, v34
	v_cndmask_b32_e32 v34, v40, v42, vcc
	v_cndmask_b32_e32 v23, v23, v44, vcc
	v_lshlrev_b32_e32 v30, 24, v30
	v_lshlrev_b32_e32 v23, 20, v23
	v_and_b32_e32 v30, 0x80000000, v30
	v_lshl_add_u32 v34, v34, 23, v38
	v_or3_b32 v23, v30, v34, v23
.LBB614_33:                             ;   in Loop: Header=BB614_17 Depth=1
	s_or_b64 exec, exec, s[10:11]
.LBB614_34:                             ;   in Loop: Header=BB614_17 Depth=1
	s_or_b64 exec, exec, s[6:7]
.LBB614_35:                             ;   in Loop: Header=BB614_17 Depth=1
	s_or_b64 exec, exec, s[4:5]
	v_cmp_lt_u32_e32 vcc, s15, v20
	s_and_saveexec_b64 s[4:5], vcc
	s_cbranch_execz .LBB614_41
; %bb.36:                               ;   in Loop: Header=BB614_17 Depth=1
	v_lshrrev_b32_e32 v30, 24, v20
	v_cmp_ne_u32_e32 vcc, s13, v30
	v_bfrev_b32_e32 v32, 1
	s_and_saveexec_b64 s[6:7], vcc
	s_cbranch_execz .LBB614_40
; %bb.37:                               ;   in Loop: Header=BB614_17 Depth=1
	v_bfe_u32 v20, v20, 24, 7
	v_cmp_ne_u32_e32 vcc, s14, v20
	v_mov_b32_e32 v32, 0x7f800001
	s_and_saveexec_b64 s[10:11], vcc
	s_cbranch_execz .LBB614_39
; %bb.38:                               ;   in Loop: Header=BB614_17 Depth=1
	v_and_b32_e32 v32, 7, v30
	v_ffbh_u32_e32 v40, v32
	v_min_u32_e32 v40, 32, v40
	v_subrev_u32_e32 v42, 28, v40
	v_lshlrev_b64 v[52:53], v42, v[30:31]
	v_lshrrev_b32_e32 v34, 3, v20
	v_sub_u32_e32 v40, 29, v40
	v_and_b32_e32 v42, 7, v52
	v_cmp_gt_u32_e32 vcc, 8, v20
	v_cndmask_b32_e32 v20, v34, v40, vcc
	v_cndmask_b32_e32 v32, v32, v42, vcc
	v_lshlrev_b32_e32 v30, 24, v30
	v_lshlrev_b32_e32 v32, 20, v32
	v_and_b32_e32 v30, 0x80000000, v30
	v_lshl_add_u32 v20, v20, 23, v38
	v_or3_b32 v32, v30, v20, v32
.LBB614_39:                             ;   in Loop: Header=BB614_17 Depth=1
	s_or_b64 exec, exec, s[10:11]
.LBB614_40:                             ;   in Loop: Header=BB614_17 Depth=1
	s_or_b64 exec, exec, s[6:7]
.LBB614_41:                             ;   in Loop: Header=BB614_17 Depth=1
	s_or_b64 exec, exec, s[4:5]
	s_waitcnt vmcnt(2)
	v_cmp_ne_u16_sdwa s[6:7], v18, v35 src0_sel:BYTE_0 src1_sel:DWORD
	v_mov_b32_e32 v30, 0
	v_mov_b32_e32 v34, 0
	s_and_saveexec_b64 s[4:5], s[6:7]
	s_cbranch_execz .LBB614_47
; %bb.42:                               ;   in Loop: Header=BB614_17 Depth=1
	v_cmp_ne_u16_sdwa s[10:11], v18, s13 src0_sel:BYTE_0 src1_sel:DWORD
	v_bfrev_b32_e32 v34, 1
	s_and_saveexec_b64 s[6:7], s[10:11]
	s_cbranch_execz .LBB614_46
; %bb.43:                               ;   in Loop: Header=BB614_17 Depth=1
	v_and_b32_e32 v20, 0x7f, v18
	v_cmp_ne_u32_e32 vcc, s14, v20
	v_mov_b32_e32 v34, 0x7f800001
	s_and_saveexec_b64 s[10:11], vcc
	s_cbranch_execz .LBB614_45
; %bb.44:                               ;   in Loop: Header=BB614_17 Depth=1
	v_and_b32_e32 v34, 7, v18
	v_ffbh_u32_e32 v42, v34
	v_min_u32_e32 v42, 32, v42
	v_subrev_u32_e32 v44, 28, v42
	v_lshlrev_b64 v[52:53], v44, v[18:19]
	v_lshrrev_b32_e32 v40, 3, v20
	v_sub_u32_e32 v42, 29, v42
	v_and_b32_e32 v44, 7, v52
	v_cmp_gt_u32_e32 vcc, 8, v20
	v_cndmask_b32_e32 v20, v40, v42, vcc
	v_cndmask_b32_e32 v34, v34, v44, vcc
	v_lshlrev_b32_e32 v40, 24, v18
	v_lshlrev_b32_e32 v34, 20, v34
	v_and_b32_e32 v40, 0x80000000, v40
	v_lshl_add_u32 v20, v20, 23, v38
	v_or3_b32 v34, v40, v20, v34
.LBB614_45:                             ;   in Loop: Header=BB614_17 Depth=1
	s_or_b64 exec, exec, s[10:11]
.LBB614_46:                             ;   in Loop: Header=BB614_17 Depth=1
	s_or_b64 exec, exec, s[6:7]
.LBB614_47:                             ;   in Loop: Header=BB614_17 Depth=1
	s_or_b64 exec, exec, s[4:5]
	v_lshrrev_b16_e32 v20, 8, v18
	v_cmp_ne_u16_e32 vcc, 0, v20
	s_and_saveexec_b64 s[4:5], vcc
	s_cbranch_execz .LBB614_53
; %bb.48:                               ;   in Loop: Header=BB614_17 Depth=1
	v_cmp_ne_u16_e32 vcc, s13, v20
	v_bfrev_b32_e32 v30, 1
	s_and_saveexec_b64 s[6:7], vcc
	s_cbranch_execz .LBB614_52
; %bb.49:                               ;   in Loop: Header=BB614_17 Depth=1
	v_and_b32_e32 v40, 0x7f, v20
	v_cmp_ne_u32_e32 vcc, s14, v40
	v_mov_b32_e32 v30, 0x7f800001
	s_and_saveexec_b64 s[10:11], vcc
	s_cbranch_execz .LBB614_51
; %bb.50:                               ;   in Loop: Header=BB614_17 Depth=1
	v_and_b32_e32 v30, 7, v20
	v_ffbh_u32_e32 v44, v30
	v_min_u32_e32 v44, 32, v44
	v_subrev_u32_e32 v52, 28, v44
	v_lshlrev_b64 v[52:53], v52, v[20:21]
	v_lshrrev_b32_e32 v42, 3, v40
	v_sub_u32_e32 v20, 29, v44
	v_and_b32_e32 v44, 7, v52
	v_cmp_gt_u32_e32 vcc, 8, v40
	v_cndmask_b32_e32 v20, v42, v20, vcc
	v_cndmask_b32_e32 v30, v30, v44, vcc
	v_lshlrev_b32_e32 v40, 16, v18
	v_lshlrev_b32_e32 v30, 20, v30
	v_and_b32_e32 v40, 0x80000000, v40
	v_lshl_add_u32 v20, v20, 23, v38
	v_or3_b32 v30, v40, v20, v30
.LBB614_51:                             ;   in Loop: Header=BB614_17 Depth=1
	s_or_b64 exec, exec, s[10:11]
.LBB614_52:                             ;   in Loop: Header=BB614_17 Depth=1
	s_or_b64 exec, exec, s[6:7]
.LBB614_53:                             ;   in Loop: Header=BB614_17 Depth=1
	s_or_b64 exec, exec, s[4:5]
	v_lshrrev_b32_e32 v20, 16, v18
	v_cmp_ne_u16_sdwa s[6:7], v20, v35 src0_sel:BYTE_0 src1_sel:DWORD
	v_mov_b32_e32 v42, 0
	v_mov_b32_e32 v40, 0
	s_and_saveexec_b64 s[4:5], s[6:7]
	s_cbranch_execz .LBB614_59
; %bb.54:                               ;   in Loop: Header=BB614_17 Depth=1
	v_cmp_ne_u16_sdwa s[10:11], v20, s13 src0_sel:BYTE_0 src1_sel:DWORD
	v_bfrev_b32_e32 v40, 1
	s_and_saveexec_b64 s[6:7], s[10:11]
	s_cbranch_execz .LBB614_58
; %bb.55:                               ;   in Loop: Header=BB614_17 Depth=1
	v_bfe_u32 v44, v18, 16, 7
	v_cmp_ne_u32_e32 vcc, s14, v44
	v_mov_b32_e32 v40, 0x7f800001
	s_and_saveexec_b64 s[10:11], vcc
	s_cbranch_execz .LBB614_57
; %bb.56:                               ;   in Loop: Header=BB614_17 Depth=1
	v_and_b32_e32 v40, 7, v20
	v_ffbh_u32_e32 v52, v40
	v_min_u32_e32 v55, 32, v52
	v_subrev_u32_e32 v52, 28, v55
	v_lshlrev_b64 v[52:53], v52, v[20:21]
	v_lshrrev_b32_e32 v54, 3, v44
	v_sub_u32_e32 v53, 29, v55
	v_and_b32_e32 v52, 7, v52
	v_cmp_gt_u32_e32 vcc, 8, v44
	v_cndmask_b32_e32 v44, v54, v53, vcc
	v_cndmask_b32_e32 v40, v40, v52, vcc
	v_lshlrev_b32_e32 v20, 24, v20
	v_lshlrev_b32_e32 v40, 20, v40
	v_and_b32_e32 v20, 0x80000000, v20
	v_lshl_add_u32 v44, v44, 23, v38
	v_or3_b32 v40, v20, v44, v40
.LBB614_57:                             ;   in Loop: Header=BB614_17 Depth=1
	s_or_b64 exec, exec, s[10:11]
.LBB614_58:                             ;   in Loop: Header=BB614_17 Depth=1
	s_or_b64 exec, exec, s[6:7]
.LBB614_59:                             ;   in Loop: Header=BB614_17 Depth=1
	s_or_b64 exec, exec, s[4:5]
	v_cmp_lt_u32_e32 vcc, s15, v18
	s_and_saveexec_b64 s[4:5], vcc
	s_cbranch_execz .LBB614_65
; %bb.60:                               ;   in Loop: Header=BB614_17 Depth=1
	v_lshrrev_b32_e32 v20, 24, v18
	v_cmp_ne_u32_e32 vcc, s13, v20
	v_bfrev_b32_e32 v42, 1
	s_and_saveexec_b64 s[6:7], vcc
	s_cbranch_execz .LBB614_64
; %bb.61:                               ;   in Loop: Header=BB614_17 Depth=1
	v_bfe_u32 v18, v18, 24, 7
	v_cmp_ne_u32_e32 vcc, s14, v18
	v_mov_b32_e32 v42, 0x7f800001
	s_and_saveexec_b64 s[10:11], vcc
	s_cbranch_execz .LBB614_63
; %bb.62:                               ;   in Loop: Header=BB614_17 Depth=1
	v_and_b32_e32 v42, 7, v20
	v_ffbh_u32_e32 v52, v42
	v_min_u32_e32 v54, 32, v52
	v_subrev_u32_e32 v52, 28, v54
	v_lshlrev_b64 v[52:53], v52, v[20:21]
	v_lshrrev_b32_e32 v44, 3, v18
	v_sub_u32_e32 v53, 29, v54
	v_and_b32_e32 v52, 7, v52
	v_cmp_gt_u32_e32 vcc, 8, v18
	v_cndmask_b32_e32 v18, v44, v53, vcc
	v_cndmask_b32_e32 v42, v42, v52, vcc
	v_lshlrev_b32_e32 v20, 24, v20
	v_lshlrev_b32_e32 v42, 20, v42
	v_and_b32_e32 v20, 0x80000000, v20
	v_lshl_add_u32 v18, v18, 23, v38
	v_or3_b32 v42, v20, v18, v42
.LBB614_63:                             ;   in Loop: Header=BB614_17 Depth=1
	s_or_b64 exec, exec, s[10:11]
.LBB614_64:                             ;   in Loop: Header=BB614_17 Depth=1
	s_or_b64 exec, exec, s[6:7]
.LBB614_65:                             ;   in Loop: Header=BB614_17 Depth=1
	s_or_b64 exec, exec, s[4:5]
	v_cvt_pkrtz_f16_f32 v18, v21, v19
	v_cvt_pkrtz_f16_f32 v19, v23, v32
	;; [unrolled: 1-line block ×4, first 2 shown]
	v_mov_b32_e32 v32, 0
	v_mfma_f32_16x16x16f16 v[18:21], v[18:19], v[2:3], 0
	s_waitcnt vmcnt(1)
	v_cmp_ne_u16_sdwa s[6:7], v28, v35 src0_sel:BYTE_0 src1_sel:DWORD
	v_mov_b32_e32 v34, 0
	v_mfma_f32_16x16x16f16 v[18:21], v[52:53], v[4:5], v[18:21]
	s_and_saveexec_b64 s[4:5], s[6:7]
	s_cbranch_execz .LBB614_71
; %bb.66:                               ;   in Loop: Header=BB614_17 Depth=1
	v_cmp_ne_u16_sdwa s[10:11], v28, s13 src0_sel:BYTE_0 src1_sel:DWORD
	v_bfrev_b32_e32 v34, 1
	s_and_saveexec_b64 s[6:7], s[10:11]
	s_cbranch_execz .LBB614_70
; %bb.67:                               ;   in Loop: Header=BB614_17 Depth=1
	v_and_b32_e32 v23, 0x7f, v28
	v_cmp_ne_u32_e32 vcc, s14, v23
	v_mov_b32_e32 v34, 0x7f800001
	s_and_saveexec_b64 s[10:11], vcc
	s_cbranch_execz .LBB614_69
; %bb.68:                               ;   in Loop: Header=BB614_17 Depth=1
	v_and_b32_e32 v30, 7, v28
	v_ffbh_u32_e32 v40, v30
	v_min_u32_e32 v40, 32, v40
	v_subrev_u32_e32 v42, 28, v40
	v_lshlrev_b64 v[52:53], v42, v[28:29]
	v_lshrrev_b32_e32 v34, 3, v23
	v_sub_u32_e32 v40, 29, v40
	v_and_b32_e32 v42, 7, v52
	v_cmp_gt_u32_e32 vcc, 8, v23
	v_cndmask_b32_e32 v23, v34, v40, vcc
	v_cndmask_b32_e32 v30, v30, v42, vcc
	v_lshlrev_b32_e32 v34, 24, v28
	v_lshlrev_b32_e32 v30, 20, v30
	v_and_b32_e32 v34, 0x80000000, v34
	v_lshl_add_u32 v23, v23, 23, v38
	v_or3_b32 v34, v34, v23, v30
.LBB614_69:                             ;   in Loop: Header=BB614_17 Depth=1
	s_or_b64 exec, exec, s[10:11]
.LBB614_70:                             ;   in Loop: Header=BB614_17 Depth=1
	s_or_b64 exec, exec, s[6:7]
.LBB614_71:                             ;   in Loop: Header=BB614_17 Depth=1
	s_or_b64 exec, exec, s[4:5]
	v_lshrrev_b16_e32 v30, 8, v28
	v_cmp_ne_u16_e32 vcc, 0, v30
	v_mov_b32_e32 v40, 0
	s_and_saveexec_b64 s[4:5], vcc
	s_cbranch_execz .LBB614_77
; %bb.72:                               ;   in Loop: Header=BB614_17 Depth=1
	v_cmp_ne_u16_e32 vcc, s13, v30
	v_bfrev_b32_e32 v40, 1
	s_and_saveexec_b64 s[6:7], vcc
	s_cbranch_execz .LBB614_76
; %bb.73:                               ;   in Loop: Header=BB614_17 Depth=1
	v_and_b32_e32 v23, 0x7f, v30
	v_cmp_ne_u32_e32 vcc, s14, v23
	v_mov_b32_e32 v40, 0x7f800001
	s_and_saveexec_b64 s[10:11], vcc
	s_cbranch_execz .LBB614_75
; %bb.74:                               ;   in Loop: Header=BB614_17 Depth=1
	v_and_b32_e32 v40, 7, v30
	v_ffbh_u32_e32 v44, v40
	v_min_u32_e32 v44, 32, v44
	v_subrev_u32_e32 v52, 28, v44
	v_lshlrev_b64 v[52:53], v52, v[30:31]
	v_lshrrev_b32_e32 v42, 3, v23
	v_sub_u32_e32 v30, 29, v44
	v_and_b32_e32 v44, 7, v52
	v_cmp_gt_u32_e32 vcc, 8, v23
	v_cndmask_b32_e32 v23, v42, v30, vcc
	v_cndmask_b32_e32 v30, v40, v44, vcc
	v_lshlrev_b32_e32 v40, 16, v28
	v_lshlrev_b32_e32 v30, 20, v30
	v_and_b32_e32 v40, 0x80000000, v40
	v_lshl_add_u32 v23, v23, 23, v38
	v_or3_b32 v40, v40, v23, v30
.LBB614_75:                             ;   in Loop: Header=BB614_17 Depth=1
	s_or_b64 exec, exec, s[10:11]
.LBB614_76:                             ;   in Loop: Header=BB614_17 Depth=1
	s_or_b64 exec, exec, s[6:7]
.LBB614_77:                             ;   in Loop: Header=BB614_17 Depth=1
	s_or_b64 exec, exec, s[4:5]
	v_lshrrev_b32_e32 v30, 16, v28
	v_cmp_ne_u16_sdwa s[6:7], v30, v35 src0_sel:BYTE_0 src1_sel:DWORD
	s_and_saveexec_b64 s[4:5], s[6:7]
	s_cbranch_execz .LBB614_83
; %bb.78:                               ;   in Loop: Header=BB614_17 Depth=1
	v_cmp_ne_u16_sdwa s[10:11], v30, s13 src0_sel:BYTE_0 src1_sel:DWORD
	v_bfrev_b32_e32 v32, 1
	s_and_saveexec_b64 s[6:7], s[10:11]
	s_cbranch_execz .LBB614_82
; %bb.79:                               ;   in Loop: Header=BB614_17 Depth=1
	v_bfe_u32 v23, v28, 16, 7
	v_cmp_ne_u32_e32 vcc, s14, v23
	v_mov_b32_e32 v32, 0x7f800001
	s_and_saveexec_b64 s[10:11], vcc
	s_cbranch_execz .LBB614_81
; %bb.80:                               ;   in Loop: Header=BB614_17 Depth=1
	v_and_b32_e32 v32, 7, v30
	v_ffbh_u32_e32 v44, v32
	v_min_u32_e32 v44, 32, v44
	v_subrev_u32_e32 v52, 28, v44
	v_lshlrev_b64 v[52:53], v52, v[30:31]
	v_lshrrev_b32_e32 v42, 3, v23
	v_sub_u32_e32 v44, 29, v44
	v_and_b32_e32 v52, 7, v52
	v_cmp_gt_u32_e32 vcc, 8, v23
	v_cndmask_b32_e32 v23, v42, v44, vcc
	v_cndmask_b32_e32 v32, v32, v52, vcc
	v_lshlrev_b32_e32 v30, 24, v30
	v_lshlrev_b32_e32 v32, 20, v32
	v_and_b32_e32 v30, 0x80000000, v30
	v_lshl_add_u32 v23, v23, 23, v38
	v_or3_b32 v32, v30, v23, v32
.LBB614_81:                             ;   in Loop: Header=BB614_17 Depth=1
	s_or_b64 exec, exec, s[10:11]
.LBB614_82:                             ;   in Loop: Header=BB614_17 Depth=1
	s_or_b64 exec, exec, s[6:7]
.LBB614_83:                             ;   in Loop: Header=BB614_17 Depth=1
	s_or_b64 exec, exec, s[4:5]
	v_cmp_lt_u32_e32 vcc, s15, v28
	v_mov_b32_e32 v42, 0
	v_mov_b32_e32 v44, 0
	s_and_saveexec_b64 s[4:5], vcc
	s_cbranch_execz .LBB614_89
; %bb.84:                               ;   in Loop: Header=BB614_17 Depth=1
	v_lshrrev_b32_e32 v30, 24, v28
	v_cmp_ne_u32_e32 vcc, s13, v30
	v_bfrev_b32_e32 v44, 1
	s_and_saveexec_b64 s[6:7], vcc
	s_cbranch_execz .LBB614_88
; %bb.85:                               ;   in Loop: Header=BB614_17 Depth=1
	v_bfe_u32 v23, v28, 24, 7
	v_cmp_ne_u32_e32 vcc, s14, v23
	v_mov_b32_e32 v44, 0x7f800001
	s_and_saveexec_b64 s[10:11], vcc
	s_cbranch_execz .LBB614_87
; %bb.86:                               ;   in Loop: Header=BB614_17 Depth=1
	v_and_b32_e32 v28, 7, v30
	v_ffbh_u32_e32 v52, v28
	v_min_u32_e32 v54, 32, v52
	v_subrev_u32_e32 v52, 28, v54
	v_lshlrev_b64 v[52:53], v52, v[30:31]
	v_lshrrev_b32_e32 v44, 3, v23
	v_sub_u32_e32 v53, 29, v54
	v_and_b32_e32 v52, 7, v52
	v_cmp_gt_u32_e32 vcc, 8, v23
	v_cndmask_b32_e32 v23, v44, v53, vcc
	v_cndmask_b32_e32 v28, v28, v52, vcc
	v_lshlrev_b32_e32 v30, 24, v30
	v_lshlrev_b32_e32 v28, 20, v28
	v_and_b32_e32 v30, 0x80000000, v30
	v_lshl_add_u32 v23, v23, 23, v38
	v_or3_b32 v44, v30, v23, v28
.LBB614_87:                             ;   in Loop: Header=BB614_17 Depth=1
	s_or_b64 exec, exec, s[10:11]
.LBB614_88:                             ;   in Loop: Header=BB614_17 Depth=1
	s_or_b64 exec, exec, s[6:7]
.LBB614_89:                             ;   in Loop: Header=BB614_17 Depth=1
	s_or_b64 exec, exec, s[4:5]
	s_waitcnt vmcnt(0)
	v_cmp_ne_u16_sdwa s[6:7], v26, v35 src0_sel:BYTE_0 src1_sel:DWORD
	s_and_saveexec_b64 s[4:5], s[6:7]
	s_cbranch_execz .LBB614_95
; %bb.90:                               ;   in Loop: Header=BB614_17 Depth=1
	v_cmp_ne_u16_sdwa s[10:11], v26, s13 src0_sel:BYTE_0 src1_sel:DWORD
	v_bfrev_b32_e32 v42, 1
	s_and_saveexec_b64 s[6:7], s[10:11]
	s_cbranch_execz .LBB614_94
; %bb.91:                               ;   in Loop: Header=BB614_17 Depth=1
	v_and_b32_e32 v23, 0x7f, v26
	v_cmp_ne_u32_e32 vcc, s14, v23
	v_mov_b32_e32 v42, 0x7f800001
	s_and_saveexec_b64 s[10:11], vcc
	s_cbranch_execz .LBB614_93
; %bb.92:                               ;   in Loop: Header=BB614_17 Depth=1
	v_and_b32_e32 v28, 7, v26
	v_ffbh_u32_e32 v42, v28
	v_min_u32_e32 v42, 32, v42
	v_subrev_u32_e32 v52, 28, v42
	v_lshlrev_b64 v[52:53], v52, v[26:27]
	v_lshrrev_b32_e32 v30, 3, v23
	v_sub_u32_e32 v42, 29, v42
	v_and_b32_e32 v52, 7, v52
	v_cmp_gt_u32_e32 vcc, 8, v23
	v_cndmask_b32_e32 v23, v30, v42, vcc
	v_cndmask_b32_e32 v28, v28, v52, vcc
	v_lshlrev_b32_e32 v30, 24, v26
	v_lshlrev_b32_e32 v28, 20, v28
	v_and_b32_e32 v30, 0x80000000, v30
	v_lshl_add_u32 v23, v23, 23, v38
	v_or3_b32 v42, v30, v23, v28
.LBB614_93:                             ;   in Loop: Header=BB614_17 Depth=1
	s_or_b64 exec, exec, s[10:11]
.LBB614_94:                             ;   in Loop: Header=BB614_17 Depth=1
	s_or_b64 exec, exec, s[6:7]
.LBB614_95:                             ;   in Loop: Header=BB614_17 Depth=1
	s_or_b64 exec, exec, s[4:5]
	v_lshrrev_b16_e32 v28, 8, v26
	v_cmp_ne_u16_e32 vcc, 0, v28
	v_mov_b32_e32 v52, 0
	v_mov_b32_e32 v53, 0
	s_and_saveexec_b64 s[4:5], vcc
	s_cbranch_execz .LBB614_101
; %bb.96:                               ;   in Loop: Header=BB614_17 Depth=1
	v_cmp_ne_u16_e32 vcc, s13, v28
	v_bfrev_b32_e32 v53, 1
	s_and_saveexec_b64 s[6:7], vcc
	s_cbranch_execz .LBB614_100
; %bb.97:                               ;   in Loop: Header=BB614_17 Depth=1
	v_and_b32_e32 v23, 0x7f, v28
	v_cmp_ne_u32_e32 vcc, s14, v23
	v_mov_b32_e32 v53, 0x7f800001
	s_and_saveexec_b64 s[10:11], vcc
	s_cbranch_execz .LBB614_99
; %bb.98:                               ;   in Loop: Header=BB614_17 Depth=1
	v_and_b32_e32 v30, 7, v28
	v_ffbh_u32_e32 v54, v30
	v_min_u32_e32 v56, 32, v54
	v_subrev_u32_e32 v54, 28, v56
	v_lshlrev_b64 v[54:55], v54, v[28:29]
	v_lshrrev_b32_e32 v53, 3, v23
	v_sub_u32_e32 v28, 29, v56
	v_and_b32_e32 v54, 7, v54
	v_cmp_gt_u32_e32 vcc, 8, v23
	v_cndmask_b32_e32 v23, v53, v28, vcc
	v_cndmask_b32_e32 v28, v30, v54, vcc
	v_lshlrev_b32_e32 v30, 16, v26
	v_lshlrev_b32_e32 v28, 20, v28
	v_and_b32_e32 v30, 0x80000000, v30
	v_lshl_add_u32 v23, v23, 23, v38
	v_or3_b32 v53, v30, v23, v28
.LBB614_99:                             ;   in Loop: Header=BB614_17 Depth=1
	s_or_b64 exec, exec, s[10:11]
.LBB614_100:                            ;   in Loop: Header=BB614_17 Depth=1
	s_or_b64 exec, exec, s[6:7]
.LBB614_101:                            ;   in Loop: Header=BB614_17 Depth=1
	s_or_b64 exec, exec, s[4:5]
	v_lshrrev_b32_e32 v28, 16, v26
	v_cmp_ne_u16_sdwa s[6:7], v28, v35 src0_sel:BYTE_0 src1_sel:DWORD
	s_and_saveexec_b64 s[4:5], s[6:7]
	s_cbranch_execz .LBB614_107
; %bb.102:                              ;   in Loop: Header=BB614_17 Depth=1
	v_cmp_ne_u16_sdwa s[10:11], v28, s13 src0_sel:BYTE_0 src1_sel:DWORD
	v_bfrev_b32_e32 v52, 1
	s_and_saveexec_b64 s[6:7], s[10:11]
	s_cbranch_execz .LBB614_106
; %bb.103:                              ;   in Loop: Header=BB614_17 Depth=1
	v_bfe_u32 v23, v26, 16, 7
	v_cmp_ne_u32_e32 vcc, s14, v23
	v_mov_b32_e32 v52, 0x7f800001
	s_and_saveexec_b64 s[10:11], vcc
	s_cbranch_execz .LBB614_105
; %bb.104:                              ;   in Loop: Header=BB614_17 Depth=1
	v_and_b32_e32 v30, 7, v28
	v_ffbh_u32_e32 v54, v30
	v_min_u32_e32 v56, 32, v54
	v_subrev_u32_e32 v54, 28, v56
	v_lshlrev_b64 v[54:55], v54, v[28:29]
	v_lshrrev_b32_e32 v52, 3, v23
	v_sub_u32_e32 v55, 29, v56
	v_and_b32_e32 v54, 7, v54
	v_cmp_gt_u32_e32 vcc, 8, v23
	v_cndmask_b32_e32 v23, v52, v55, vcc
	v_cndmask_b32_e32 v30, v30, v54, vcc
	v_lshlrev_b32_e32 v28, 24, v28
	v_lshlrev_b32_e32 v30, 20, v30
	v_and_b32_e32 v28, 0x80000000, v28
	v_lshl_add_u32 v23, v23, 23, v38
	v_or3_b32 v52, v28, v23, v30
.LBB614_105:                            ;   in Loop: Header=BB614_17 Depth=1
	s_or_b64 exec, exec, s[10:11]
.LBB614_106:                            ;   in Loop: Header=BB614_17 Depth=1
	s_or_b64 exec, exec, s[6:7]
.LBB614_107:                            ;   in Loop: Header=BB614_17 Depth=1
	s_or_b64 exec, exec, s[4:5]
	v_cmp_lt_u32_e32 vcc, s15, v26
	v_mov_b32_e32 v23, 0
	v_mov_b32_e32 v54, 0
	s_and_saveexec_b64 s[4:5], vcc
	s_cbranch_execz .LBB614_113
; %bb.108:                              ;   in Loop: Header=BB614_17 Depth=1
	v_lshrrev_b32_e32 v28, 24, v26
	v_cmp_ne_u32_e32 vcc, s13, v28
	v_bfrev_b32_e32 v54, 1
	s_and_saveexec_b64 s[6:7], vcc
	s_cbranch_execz .LBB614_112
; %bb.109:                              ;   in Loop: Header=BB614_17 Depth=1
	v_bfe_u32 v26, v26, 24, 7
	v_cmp_ne_u32_e32 vcc, s14, v26
	v_mov_b32_e32 v54, 0x7f800001
	s_and_saveexec_b64 s[10:11], vcc
	s_cbranch_execz .LBB614_111
; %bb.110:                              ;   in Loop: Header=BB614_17 Depth=1
	v_and_b32_e32 v30, 7, v28
	v_ffbh_u32_e32 v54, v30
	v_min_u32_e32 v57, 32, v54
	v_subrev_u32_e32 v54, 28, v57
	v_lshlrev_b64 v[54:55], v54, v[28:29]
	v_lshrrev_b32_e32 v56, 3, v26
	v_sub_u32_e32 v55, 29, v57
	v_and_b32_e32 v54, 7, v54
	v_cmp_gt_u32_e32 vcc, 8, v26
	v_cndmask_b32_e32 v26, v56, v55, vcc
	v_cndmask_b32_e32 v30, v30, v54, vcc
	v_lshlrev_b32_e32 v28, 24, v28
	v_lshlrev_b32_e32 v30, 20, v30
	v_and_b32_e32 v28, 0x80000000, v28
	v_lshl_add_u32 v26, v26, 23, v38
	v_or3_b32 v54, v28, v26, v30
.LBB614_111:                            ;   in Loop: Header=BB614_17 Depth=1
	s_or_b64 exec, exec, s[10:11]
.LBB614_112:                            ;   in Loop: Header=BB614_17 Depth=1
	s_or_b64 exec, exec, s[6:7]
.LBB614_113:                            ;   in Loop: Header=BB614_17 Depth=1
	s_or_b64 exec, exec, s[4:5]
	v_cvt_pkrtz_f16_f32 v57, v32, v44
	buffer_load_dword v32, v36, s[0:3], 0 offen offset:16
	buffer_load_dword v30, v36, s[0:3], 0 offen offset:20
	;; [unrolled: 1-line block ×4, first 2 shown]
	v_cvt_pkrtz_f16_f32 v56, v34, v40
	s_waitcnt vmcnt(3)
	v_cmp_ne_u16_sdwa s[6:7], v32, v35 src0_sel:BYTE_0 src1_sel:DWORD
	v_mfma_f32_16x16x16f16 v[18:21], v[56:57], v[6:7], v[18:21]
	v_cvt_pkrtz_f16_f32 v56, v42, v53
	v_cvt_pkrtz_f16_f32 v57, v52, v54
	s_nop 1
	v_mfma_f32_16x16x16f16 v[18:21], v[56:57], v[8:9], v[18:21]
	s_and_saveexec_b64 s[4:5], s[6:7]
	s_cbranch_execz .LBB614_119
; %bb.114:                              ;   in Loop: Header=BB614_17 Depth=1
	v_cmp_ne_u16_sdwa s[10:11], v32, s13 src0_sel:BYTE_0 src1_sel:DWORD
	v_bfrev_b32_e32 v23, 1
	s_and_saveexec_b64 s[6:7], s[10:11]
	s_cbranch_execz .LBB614_118
; %bb.115:                              ;   in Loop: Header=BB614_17 Depth=1
	v_and_b32_e32 v34, 0x7f, v32
	v_cmp_ne_u32_e32 vcc, s14, v34
	v_mov_b32_e32 v23, 0x7f800001
	s_and_saveexec_b64 s[10:11], vcc
	s_cbranch_execz .LBB614_117
; %bb.116:                              ;   in Loop: Header=BB614_17 Depth=1
	v_and_b32_e32 v23, 7, v32
	v_ffbh_u32_e32 v42, v23
	v_min_u32_e32 v42, 32, v42
	v_subrev_u32_e32 v44, 28, v42
	v_lshlrev_b64 v[52:53], v44, v[32:33]
	v_lshrrev_b32_e32 v40, 3, v34
	v_sub_u32_e32 v42, 29, v42
	v_and_b32_e32 v44, 7, v52
	v_cmp_gt_u32_e32 vcc, 8, v34
	v_cndmask_b32_e32 v34, v40, v42, vcc
	v_cndmask_b32_e32 v23, v23, v44, vcc
	v_lshlrev_b32_e32 v40, 24, v32
	v_lshlrev_b32_e32 v23, 20, v23
	v_and_b32_e32 v40, 0x80000000, v40
	v_lshl_add_u32 v34, v34, 23, v38
	v_or3_b32 v23, v40, v34, v23
.LBB614_117:                            ;   in Loop: Header=BB614_17 Depth=1
	s_or_b64 exec, exec, s[10:11]
.LBB614_118:                            ;   in Loop: Header=BB614_17 Depth=1
	s_or_b64 exec, exec, s[6:7]
.LBB614_119:                            ;   in Loop: Header=BB614_17 Depth=1
	s_or_b64 exec, exec, s[4:5]
	v_lshrrev_b16_e32 v34, 8, v32
	v_cmp_ne_u16_e32 vcc, 0, v34
	v_mov_b32_e32 v40, 0
	v_mov_b32_e32 v42, 0
	s_and_saveexec_b64 s[4:5], vcc
	s_cbranch_execz .LBB614_125
; %bb.120:                              ;   in Loop: Header=BB614_17 Depth=1
	v_cmp_ne_u16_e32 vcc, s13, v34
	v_bfrev_b32_e32 v42, 1
	s_and_saveexec_b64 s[6:7], vcc
	s_cbranch_execz .LBB614_124
; %bb.121:                              ;   in Loop: Header=BB614_17 Depth=1
	v_and_b32_e32 v44, 0x7f, v34
	v_cmp_ne_u32_e32 vcc, s14, v44
	v_mov_b32_e32 v42, 0x7f800001
	s_and_saveexec_b64 s[10:11], vcc
	s_cbranch_execz .LBB614_123
; %bb.122:                              ;   in Loop: Header=BB614_17 Depth=1
	v_and_b32_e32 v42, 7, v34
	v_ffbh_u32_e32 v52, v42
	v_min_u32_e32 v55, 32, v52
	v_subrev_u32_e32 v52, 28, v55
	v_lshlrev_b64 v[52:53], v52, v[34:35]
	v_lshrrev_b32_e32 v54, 3, v44
	v_sub_u32_e32 v34, 29, v55
	v_and_b32_e32 v52, 7, v52
	v_cmp_gt_u32_e32 vcc, 8, v44
	v_cndmask_b32_e32 v34, v54, v34, vcc
	v_cndmask_b32_e32 v42, v42, v52, vcc
	v_lshlrev_b32_e32 v44, 16, v32
	v_lshlrev_b32_e32 v42, 20, v42
	v_and_b32_e32 v44, 0x80000000, v44
	v_lshl_add_u32 v34, v34, 23, v38
	v_or3_b32 v42, v44, v34, v42
.LBB614_123:                            ;   in Loop: Header=BB614_17 Depth=1
	s_or_b64 exec, exec, s[10:11]
.LBB614_124:                            ;   in Loop: Header=BB614_17 Depth=1
	s_or_b64 exec, exec, s[6:7]
.LBB614_125:                            ;   in Loop: Header=BB614_17 Depth=1
	s_or_b64 exec, exec, s[4:5]
	v_lshrrev_b32_e32 v34, 16, v32
	v_cmp_ne_u16_sdwa s[6:7], v34, v35 src0_sel:BYTE_0 src1_sel:DWORD
	s_and_saveexec_b64 s[4:5], s[6:7]
	s_cbranch_execz .LBB614_131
; %bb.126:                              ;   in Loop: Header=BB614_17 Depth=1
	v_cmp_ne_u16_sdwa s[10:11], v34, s13 src0_sel:BYTE_0 src1_sel:DWORD
	v_bfrev_b32_e32 v40, 1
	s_and_saveexec_b64 s[6:7], s[10:11]
	s_cbranch_execz .LBB614_130
; %bb.127:                              ;   in Loop: Header=BB614_17 Depth=1
	v_bfe_u32 v44, v32, 16, 7
	v_cmp_ne_u32_e32 vcc, s14, v44
	v_mov_b32_e32 v40, 0x7f800001
	s_and_saveexec_b64 s[10:11], vcc
	s_cbranch_execz .LBB614_129
; %bb.128:                              ;   in Loop: Header=BB614_17 Depth=1
	v_and_b32_e32 v40, 7, v34
	v_ffbh_u32_e32 v52, v40
	v_min_u32_e32 v55, 32, v52
	v_subrev_u32_e32 v52, 28, v55
	v_lshlrev_b64 v[52:53], v52, v[34:35]
	v_lshrrev_b32_e32 v54, 3, v44
	v_sub_u32_e32 v53, 29, v55
	v_and_b32_e32 v52, 7, v52
	v_cmp_gt_u32_e32 vcc, 8, v44
	v_cndmask_b32_e32 v44, v54, v53, vcc
	v_cndmask_b32_e32 v40, v40, v52, vcc
	v_lshlrev_b32_e32 v34, 24, v34
	v_lshlrev_b32_e32 v40, 20, v40
	v_and_b32_e32 v34, 0x80000000, v34
	v_lshl_add_u32 v44, v44, 23, v38
	v_or3_b32 v40, v34, v44, v40
.LBB614_129:                            ;   in Loop: Header=BB614_17 Depth=1
	s_or_b64 exec, exec, s[10:11]
.LBB614_130:                            ;   in Loop: Header=BB614_17 Depth=1
	s_or_b64 exec, exec, s[6:7]
.LBB614_131:                            ;   in Loop: Header=BB614_17 Depth=1
	s_or_b64 exec, exec, s[4:5]
	v_cmp_lt_u32_e32 vcc, s15, v32
	v_mov_b32_e32 v44, 0
	v_mov_b32_e32 v52, 0
	s_and_saveexec_b64 s[4:5], vcc
	s_cbranch_execz .LBB614_137
; %bb.132:                              ;   in Loop: Header=BB614_17 Depth=1
	v_lshrrev_b32_e32 v34, 24, v32
	v_cmp_ne_u32_e32 vcc, s13, v34
	v_bfrev_b32_e32 v52, 1
	s_and_saveexec_b64 s[6:7], vcc
	s_cbranch_execz .LBB614_136
; %bb.133:                              ;   in Loop: Header=BB614_17 Depth=1
	v_bfe_u32 v32, v32, 24, 7
	v_cmp_ne_u32_e32 vcc, s14, v32
	v_mov_b32_e32 v52, 0x7f800001
	s_and_saveexec_b64 s[10:11], vcc
	s_cbranch_execz .LBB614_135
; %bb.134:                              ;   in Loop: Header=BB614_17 Depth=1
	v_and_b32_e32 v54, 7, v34
	v_ffbh_u32_e32 v52, v54
	v_min_u32_e32 v56, 32, v52
	v_subrev_u32_e32 v52, 28, v56
	v_lshlrev_b64 v[52:53], v52, v[34:35]
	v_lshrrev_b32_e32 v55, 3, v32
	v_sub_u32_e32 v53, 29, v56
	v_and_b32_e32 v52, 7, v52
	v_cmp_gt_u32_e32 vcc, 8, v32
	v_cndmask_b32_e32 v32, v55, v53, vcc
	v_cndmask_b32_e32 v52, v54, v52, vcc
	v_lshlrev_b32_e32 v34, 24, v34
	v_lshlrev_b32_e32 v52, 20, v52
	v_and_b32_e32 v34, 0x80000000, v34
	v_lshl_add_u32 v32, v32, 23, v38
	v_or3_b32 v52, v34, v32, v52
.LBB614_135:                            ;   in Loop: Header=BB614_17 Depth=1
	s_or_b64 exec, exec, s[10:11]
.LBB614_136:                            ;   in Loop: Header=BB614_17 Depth=1
	s_or_b64 exec, exec, s[6:7]
.LBB614_137:                            ;   in Loop: Header=BB614_17 Depth=1
	s_or_b64 exec, exec, s[4:5]
	s_waitcnt vmcnt(2)
	v_cmp_ne_u16_sdwa s[6:7], v30, v35 src0_sel:BYTE_0 src1_sel:DWORD
	s_and_saveexec_b64 s[4:5], s[6:7]
	s_cbranch_execz .LBB614_143
; %bb.138:                              ;   in Loop: Header=BB614_17 Depth=1
	v_cmp_ne_u16_sdwa s[10:11], v30, s13 src0_sel:BYTE_0 src1_sel:DWORD
	v_bfrev_b32_e32 v44, 1
	s_and_saveexec_b64 s[6:7], s[10:11]
	s_cbranch_execz .LBB614_142
; %bb.139:                              ;   in Loop: Header=BB614_17 Depth=1
	v_and_b32_e32 v32, 0x7f, v30
	v_cmp_ne_u32_e32 vcc, s14, v32
	v_mov_b32_e32 v44, 0x7f800001
	s_and_saveexec_b64 s[10:11], vcc
	s_cbranch_execz .LBB614_141
; %bb.140:                              ;   in Loop: Header=BB614_17 Depth=1
	v_and_b32_e32 v34, 7, v30
	v_ffbh_u32_e32 v53, v34
	v_min_u32_e32 v53, 32, v53
	v_subrev_u32_e32 v54, 28, v53
	v_lshlrev_b64 v[54:55], v54, v[30:31]
	v_lshrrev_b32_e32 v44, 3, v32
	v_sub_u32_e32 v53, 29, v53
	v_and_b32_e32 v54, 7, v54
	v_cmp_gt_u32_e32 vcc, 8, v32
	v_cndmask_b32_e32 v32, v44, v53, vcc
	v_cndmask_b32_e32 v34, v34, v54, vcc
	v_lshlrev_b32_e32 v44, 24, v30
	v_lshlrev_b32_e32 v34, 20, v34
	v_and_b32_e32 v44, 0x80000000, v44
	v_lshl_add_u32 v32, v32, 23, v38
	v_or3_b32 v44, v44, v32, v34
.LBB614_141:                            ;   in Loop: Header=BB614_17 Depth=1
	s_or_b64 exec, exec, s[10:11]
.LBB614_142:                            ;   in Loop: Header=BB614_17 Depth=1
	s_or_b64 exec, exec, s[6:7]
.LBB614_143:                            ;   in Loop: Header=BB614_17 Depth=1
	s_or_b64 exec, exec, s[4:5]
	v_lshrrev_b16_e32 v32, 8, v30
	v_cmp_ne_u16_e32 vcc, 0, v32
	v_mov_b32_e32 v53, 0
	v_mov_b32_e32 v54, 0
	s_and_saveexec_b64 s[4:5], vcc
	s_cbranch_execz .LBB614_149
; %bb.144:                              ;   in Loop: Header=BB614_17 Depth=1
	v_cmp_ne_u16_e32 vcc, s13, v32
	v_bfrev_b32_e32 v54, 1
	s_and_saveexec_b64 s[6:7], vcc
	s_cbranch_execz .LBB614_148
; %bb.145:                              ;   in Loop: Header=BB614_17 Depth=1
	v_and_b32_e32 v34, 0x7f, v32
	v_cmp_ne_u32_e32 vcc, s14, v34
	v_mov_b32_e32 v54, 0x7f800001
	s_and_saveexec_b64 s[10:11], vcc
	s_cbranch_execz .LBB614_147
; %bb.146:                              ;   in Loop: Header=BB614_17 Depth=1
	v_and_b32_e32 v56, 7, v32
	v_ffbh_u32_e32 v54, v56
	v_min_u32_e32 v58, 32, v54
	v_subrev_u32_e32 v54, 28, v58
	v_lshlrev_b64 v[54:55], v54, v[32:33]
	v_lshrrev_b32_e32 v57, 3, v34
	v_sub_u32_e32 v32, 29, v58
	v_and_b32_e32 v54, 7, v54
	v_cmp_gt_u32_e32 vcc, 8, v34
	v_cndmask_b32_e32 v32, v57, v32, vcc
	v_cndmask_b32_e32 v34, v56, v54, vcc
	v_lshlrev_b32_e32 v54, 16, v30
	v_lshlrev_b32_e32 v34, 20, v34
	v_and_b32_e32 v54, 0x80000000, v54
	v_lshl_add_u32 v32, v32, 23, v38
	v_or3_b32 v54, v54, v32, v34
.LBB614_147:                            ;   in Loop: Header=BB614_17 Depth=1
	s_or_b64 exec, exec, s[10:11]
.LBB614_148:                            ;   in Loop: Header=BB614_17 Depth=1
	s_or_b64 exec, exec, s[6:7]
.LBB614_149:                            ;   in Loop: Header=BB614_17 Depth=1
	s_or_b64 exec, exec, s[4:5]
	v_lshrrev_b32_e32 v32, 16, v30
	v_cmp_ne_u16_sdwa s[6:7], v32, v35 src0_sel:BYTE_0 src1_sel:DWORD
	s_and_saveexec_b64 s[4:5], s[6:7]
	s_cbranch_execz .LBB614_155
; %bb.150:                              ;   in Loop: Header=BB614_17 Depth=1
	v_cmp_ne_u16_sdwa s[10:11], v32, s13 src0_sel:BYTE_0 src1_sel:DWORD
	v_bfrev_b32_e32 v53, 1
	s_and_saveexec_b64 s[6:7], s[10:11]
	s_cbranch_execz .LBB614_154
; %bb.151:                              ;   in Loop: Header=BB614_17 Depth=1
	v_bfe_u32 v34, v30, 16, 7
	v_cmp_ne_u32_e32 vcc, s14, v34
	v_mov_b32_e32 v53, 0x7f800001
	s_and_saveexec_b64 s[10:11], vcc
	s_cbranch_execz .LBB614_153
; %bb.152:                              ;   in Loop: Header=BB614_17 Depth=1
	v_and_b32_e32 v53, 7, v32
	v_ffbh_u32_e32 v56, v53
	v_min_u32_e32 v58, 32, v56
	v_subrev_u32_e32 v56, 28, v58
	v_lshlrev_b64 v[56:57], v56, v[32:33]
	v_lshrrev_b32_e32 v55, 3, v34
	v_sub_u32_e32 v57, 29, v58
	v_and_b32_e32 v56, 7, v56
	v_cmp_gt_u32_e32 vcc, 8, v34
	v_cndmask_b32_e32 v34, v55, v57, vcc
	v_cndmask_b32_e32 v53, v53, v56, vcc
	v_lshlrev_b32_e32 v32, 24, v32
	v_lshlrev_b32_e32 v53, 20, v53
	v_and_b32_e32 v32, 0x80000000, v32
	v_lshl_add_u32 v34, v34, 23, v38
	v_or3_b32 v53, v32, v34, v53
.LBB614_153:                            ;   in Loop: Header=BB614_17 Depth=1
	s_or_b64 exec, exec, s[10:11]
.LBB614_154:                            ;   in Loop: Header=BB614_17 Depth=1
	s_or_b64 exec, exec, s[6:7]
.LBB614_155:                            ;   in Loop: Header=BB614_17 Depth=1
	s_or_b64 exec, exec, s[4:5]
	v_cmp_lt_u32_e32 vcc, s15, v30
	v_mov_b32_e32 v34, 0
	v_mov_b32_e32 v55, 0
	s_and_saveexec_b64 s[4:5], vcc
	s_cbranch_execz .LBB614_161
; %bb.156:                              ;   in Loop: Header=BB614_17 Depth=1
	v_lshrrev_b32_e32 v32, 24, v30
	v_cmp_ne_u32_e32 vcc, s13, v32
	v_bfrev_b32_e32 v55, 1
	s_and_saveexec_b64 s[6:7], vcc
	s_cbranch_execz .LBB614_160
; %bb.157:                              ;   in Loop: Header=BB614_17 Depth=1
	v_bfe_u32 v30, v30, 24, 7
	v_cmp_ne_u32_e32 vcc, s14, v30
	v_mov_b32_e32 v55, 0x7f800001
	s_and_saveexec_b64 s[10:11], vcc
	s_cbranch_execz .LBB614_159
; %bb.158:                              ;   in Loop: Header=BB614_17 Depth=1
	v_and_b32_e32 v55, 7, v32
	v_ffbh_u32_e32 v56, v55
	v_min_u32_e32 v59, 32, v56
	v_subrev_u32_e32 v56, 28, v59
	v_lshlrev_b64 v[56:57], v56, v[32:33]
	v_lshrrev_b32_e32 v58, 3, v30
	v_sub_u32_e32 v57, 29, v59
	v_and_b32_e32 v56, 7, v56
	v_cmp_gt_u32_e32 vcc, 8, v30
	v_cndmask_b32_e32 v30, v58, v57, vcc
	v_cndmask_b32_e32 v55, v55, v56, vcc
	v_lshlrev_b32_e32 v32, 24, v32
	v_lshlrev_b32_e32 v55, 20, v55
	v_and_b32_e32 v32, 0x80000000, v32
	v_lshl_add_u32 v30, v30, 23, v38
	v_or3_b32 v55, v32, v30, v55
.LBB614_159:                            ;   in Loop: Header=BB614_17 Depth=1
	s_or_b64 exec, exec, s[10:11]
.LBB614_160:                            ;   in Loop: Header=BB614_17 Depth=1
	s_or_b64 exec, exec, s[6:7]
.LBB614_161:                            ;   in Loop: Header=BB614_17 Depth=1
	s_or_b64 exec, exec, s[4:5]
	v_cvt_pkrtz_f16_f32 v56, v23, v42
	v_cvt_pkrtz_f16_f32 v57, v40, v52
	v_cvt_pkrtz_f16_f32 v52, v44, v54
	v_cvt_pkrtz_f16_f32 v53, v53, v55
	s_waitcnt vmcnt(1)
	v_cmp_ne_u16_sdwa s[6:7], v28, v35 src0_sel:BYTE_0 src1_sel:DWORD
	v_mfma_f32_16x16x16f16 v[18:21], v[56:57], v[10:11], v[18:21]
	v_mfma_f32_16x16x16f16 v[18:21], v[52:53], v[12:13], v[18:21]
	s_and_saveexec_b64 s[4:5], s[6:7]
	s_cbranch_execz .LBB614_167
; %bb.162:                              ;   in Loop: Header=BB614_17 Depth=1
	v_cmp_ne_u16_sdwa s[10:11], v28, s13 src0_sel:BYTE_0 src1_sel:DWORD
	v_bfrev_b32_e32 v34, 1
	s_and_saveexec_b64 s[6:7], s[10:11]
	s_cbranch_execz .LBB614_166
; %bb.163:                              ;   in Loop: Header=BB614_17 Depth=1
	v_and_b32_e32 v23, 0x7f, v28
	v_cmp_ne_u32_e32 vcc, s14, v23
	v_mov_b32_e32 v34, 0x7f800001
	s_and_saveexec_b64 s[10:11], vcc
	s_cbranch_execz .LBB614_165
; %bb.164:                              ;   in Loop: Header=BB614_17 Depth=1
	v_and_b32_e32 v30, 7, v28
	v_ffbh_u32_e32 v34, v30
	v_min_u32_e32 v34, 32, v34
	v_subrev_u32_e32 v40, 28, v34
	v_lshlrev_b64 v[52:53], v40, v[28:29]
	v_lshrrev_b32_e32 v32, 3, v23
	v_sub_u32_e32 v34, 29, v34
	v_and_b32_e32 v40, 7, v52
	v_cmp_gt_u32_e32 vcc, 8, v23
	v_cndmask_b32_e32 v23, v32, v34, vcc
	v_cndmask_b32_e32 v30, v30, v40, vcc
	v_lshlrev_b32_e32 v32, 24, v28
	v_lshlrev_b32_e32 v30, 20, v30
	v_and_b32_e32 v32, 0x80000000, v32
	v_lshl_add_u32 v23, v23, 23, v38
	v_or3_b32 v34, v32, v23, v30
.LBB614_165:                            ;   in Loop: Header=BB614_17 Depth=1
	s_or_b64 exec, exec, s[10:11]
.LBB614_166:                            ;   in Loop: Header=BB614_17 Depth=1
	s_or_b64 exec, exec, s[6:7]
.LBB614_167:                            ;   in Loop: Header=BB614_17 Depth=1
	s_or_b64 exec, exec, s[4:5]
	v_lshrrev_b16_e32 v30, 8, v28
	v_cmp_ne_u16_e32 vcc, 0, v30
	v_mov_b32_e32 v23, 0
	v_mov_b32_e32 v32, 0
	s_and_saveexec_b64 s[4:5], vcc
	s_cbranch_execz .LBB614_173
; %bb.168:                              ;   in Loop: Header=BB614_17 Depth=1
	v_cmp_ne_u16_e32 vcc, s13, v30
	v_bfrev_b32_e32 v32, 1
	s_and_saveexec_b64 s[6:7], vcc
	s_cbranch_execz .LBB614_172
; %bb.169:                              ;   in Loop: Header=BB614_17 Depth=1
	v_and_b32_e32 v40, 0x7f, v30
	v_cmp_ne_u32_e32 vcc, s14, v40
	v_mov_b32_e32 v32, 0x7f800001
	s_and_saveexec_b64 s[10:11], vcc
	s_cbranch_execz .LBB614_171
; %bb.170:                              ;   in Loop: Header=BB614_17 Depth=1
	v_and_b32_e32 v32, 7, v30
	v_ffbh_u32_e32 v44, v32
	v_min_u32_e32 v44, 32, v44
	v_subrev_u32_e32 v52, 28, v44
	v_lshlrev_b64 v[52:53], v52, v[30:31]
	v_lshrrev_b32_e32 v42, 3, v40
	v_sub_u32_e32 v30, 29, v44
	v_and_b32_e32 v44, 7, v52
	v_cmp_gt_u32_e32 vcc, 8, v40
	v_cndmask_b32_e32 v30, v42, v30, vcc
	v_cndmask_b32_e32 v32, v32, v44, vcc
	v_lshlrev_b32_e32 v40, 16, v28
	v_lshlrev_b32_e32 v32, 20, v32
	v_and_b32_e32 v40, 0x80000000, v40
	v_lshl_add_u32 v30, v30, 23, v38
	v_or3_b32 v32, v40, v30, v32
.LBB614_171:                            ;   in Loop: Header=BB614_17 Depth=1
	s_or_b64 exec, exec, s[10:11]
.LBB614_172:                            ;   in Loop: Header=BB614_17 Depth=1
	s_or_b64 exec, exec, s[6:7]
.LBB614_173:                            ;   in Loop: Header=BB614_17 Depth=1
	s_or_b64 exec, exec, s[4:5]
	v_lshrrev_b32_e32 v30, 16, v28
	v_cmp_ne_u16_sdwa s[6:7], v30, v35 src0_sel:BYTE_0 src1_sel:DWORD
	s_and_saveexec_b64 s[4:5], s[6:7]
	s_cbranch_execz .LBB614_179
; %bb.174:                              ;   in Loop: Header=BB614_17 Depth=1
	v_cmp_ne_u16_sdwa s[10:11], v30, s13 src0_sel:BYTE_0 src1_sel:DWORD
	v_bfrev_b32_e32 v23, 1
	s_and_saveexec_b64 s[6:7], s[10:11]
	s_cbranch_execz .LBB614_178
; %bb.175:                              ;   in Loop: Header=BB614_17 Depth=1
	v_bfe_u32 v40, v28, 16, 7
	v_cmp_ne_u32_e32 vcc, s14, v40
	v_mov_b32_e32 v23, 0x7f800001
	s_and_saveexec_b64 s[10:11], vcc
	s_cbranch_execz .LBB614_177
; %bb.176:                              ;   in Loop: Header=BB614_17 Depth=1
	v_and_b32_e32 v23, 7, v30
	v_ffbh_u32_e32 v44, v23
	v_min_u32_e32 v44, 32, v44
	v_subrev_u32_e32 v52, 28, v44
	v_lshlrev_b64 v[52:53], v52, v[30:31]
	v_lshrrev_b32_e32 v42, 3, v40
	v_sub_u32_e32 v44, 29, v44
	v_and_b32_e32 v52, 7, v52
	v_cmp_gt_u32_e32 vcc, 8, v40
	v_cndmask_b32_e32 v40, v42, v44, vcc
	v_cndmask_b32_e32 v23, v23, v52, vcc
	v_lshlrev_b32_e32 v30, 24, v30
	v_lshlrev_b32_e32 v23, 20, v23
	v_and_b32_e32 v30, 0x80000000, v30
	v_lshl_add_u32 v40, v40, 23, v38
	v_or3_b32 v23, v30, v40, v23
.LBB614_177:                            ;   in Loop: Header=BB614_17 Depth=1
	s_or_b64 exec, exec, s[10:11]
.LBB614_178:                            ;   in Loop: Header=BB614_17 Depth=1
	s_or_b64 exec, exec, s[6:7]
.LBB614_179:                            ;   in Loop: Header=BB614_17 Depth=1
	s_or_b64 exec, exec, s[4:5]
	v_cmp_lt_u32_e32 vcc, s15, v28
	v_mov_b32_e32 v40, 0
	v_mov_b32_e32 v42, 0
	s_and_saveexec_b64 s[4:5], vcc
	s_cbranch_execz .LBB614_185
; %bb.180:                              ;   in Loop: Header=BB614_17 Depth=1
	v_lshrrev_b32_e32 v30, 24, v28
	v_cmp_ne_u32_e32 vcc, s13, v30
	v_bfrev_b32_e32 v42, 1
	s_and_saveexec_b64 s[6:7], vcc
	s_cbranch_execz .LBB614_184
; %bb.181:                              ;   in Loop: Header=BB614_17 Depth=1
	v_bfe_u32 v28, v28, 24, 7
	v_cmp_ne_u32_e32 vcc, s14, v28
	v_mov_b32_e32 v42, 0x7f800001
	s_and_saveexec_b64 s[10:11], vcc
	s_cbranch_execz .LBB614_183
; %bb.182:                              ;   in Loop: Header=BB614_17 Depth=1
	v_and_b32_e32 v42, 7, v30
	v_ffbh_u32_e32 v52, v42
	v_min_u32_e32 v54, 32, v52
	v_subrev_u32_e32 v52, 28, v54
	v_lshlrev_b64 v[52:53], v52, v[30:31]
	v_lshrrev_b32_e32 v44, 3, v28
	v_sub_u32_e32 v53, 29, v54
	v_and_b32_e32 v52, 7, v52
	v_cmp_gt_u32_e32 vcc, 8, v28
	v_cndmask_b32_e32 v28, v44, v53, vcc
	v_cndmask_b32_e32 v42, v42, v52, vcc
	v_lshlrev_b32_e32 v30, 24, v30
	v_lshlrev_b32_e32 v42, 20, v42
	v_and_b32_e32 v30, 0x80000000, v30
	v_lshl_add_u32 v28, v28, 23, v38
	v_or3_b32 v42, v30, v28, v42
.LBB614_183:                            ;   in Loop: Header=BB614_17 Depth=1
	s_or_b64 exec, exec, s[10:11]
.LBB614_184:                            ;   in Loop: Header=BB614_17 Depth=1
	s_or_b64 exec, exec, s[6:7]
.LBB614_185:                            ;   in Loop: Header=BB614_17 Depth=1
	s_or_b64 exec, exec, s[4:5]
	s_waitcnt vmcnt(0)
	v_cmp_ne_u16_sdwa s[6:7], v26, v35 src0_sel:BYTE_0 src1_sel:DWORD
	s_and_saveexec_b64 s[4:5], s[6:7]
	s_cbranch_execz .LBB614_191
; %bb.186:                              ;   in Loop: Header=BB614_17 Depth=1
	v_cmp_ne_u16_sdwa s[10:11], v26, s13 src0_sel:BYTE_0 src1_sel:DWORD
	v_bfrev_b32_e32 v40, 1
	s_and_saveexec_b64 s[6:7], s[10:11]
	s_cbranch_execz .LBB614_190
; %bb.187:                              ;   in Loop: Header=BB614_17 Depth=1
	v_and_b32_e32 v28, 0x7f, v26
	v_cmp_ne_u32_e32 vcc, s14, v28
	v_mov_b32_e32 v40, 0x7f800001
	s_and_saveexec_b64 s[10:11], vcc
	s_cbranch_execz .LBB614_189
; %bb.188:                              ;   in Loop: Header=BB614_17 Depth=1
	v_and_b32_e32 v30, 7, v26
	v_ffbh_u32_e32 v44, v30
	v_min_u32_e32 v44, 32, v44
	v_subrev_u32_e32 v52, 28, v44
	v_lshlrev_b64 v[52:53], v52, v[26:27]
	v_lshrrev_b32_e32 v40, 3, v28
	v_sub_u32_e32 v44, 29, v44
	v_and_b32_e32 v52, 7, v52
	v_cmp_gt_u32_e32 vcc, 8, v28
	v_cndmask_b32_e32 v28, v40, v44, vcc
	v_cndmask_b32_e32 v30, v30, v52, vcc
	v_lshlrev_b32_e32 v40, 24, v26
	v_lshlrev_b32_e32 v30, 20, v30
	v_and_b32_e32 v40, 0x80000000, v40
	v_lshl_add_u32 v28, v28, 23, v38
	v_or3_b32 v40, v40, v28, v30
.LBB614_189:                            ;   in Loop: Header=BB614_17 Depth=1
	s_or_b64 exec, exec, s[10:11]
.LBB614_190:                            ;   in Loop: Header=BB614_17 Depth=1
	s_or_b64 exec, exec, s[6:7]
.LBB614_191:                            ;   in Loop: Header=BB614_17 Depth=1
	s_or_b64 exec, exec, s[4:5]
	v_lshrrev_b16_e32 v28, 8, v26
	v_cmp_ne_u16_e32 vcc, 0, v28
	v_mov_b32_e32 v30, 0
	v_mov_b32_e32 v44, 0
	s_and_saveexec_b64 s[4:5], vcc
	s_cbranch_execz .LBB614_197
; %bb.192:                              ;   in Loop: Header=BB614_17 Depth=1
	v_cmp_ne_u16_e32 vcc, s13, v28
	v_bfrev_b32_e32 v44, 1
	s_and_saveexec_b64 s[6:7], vcc
	s_cbranch_execz .LBB614_196
; %bb.193:                              ;   in Loop: Header=BB614_17 Depth=1
	v_and_b32_e32 v52, 0x7f, v28
	v_cmp_ne_u32_e32 vcc, s14, v52
	v_mov_b32_e32 v44, 0x7f800001
	s_and_saveexec_b64 s[10:11], vcc
	s_cbranch_execz .LBB614_195
; %bb.194:                              ;   in Loop: Header=BB614_17 Depth=1
	v_and_b32_e32 v44, 7, v28
	v_ffbh_u32_e32 v54, v44
	v_min_u32_e32 v56, 32, v54
	v_subrev_u32_e32 v54, 28, v56
	v_lshlrev_b64 v[54:55], v54, v[28:29]
	v_lshrrev_b32_e32 v53, 3, v52
	v_sub_u32_e32 v28, 29, v56
	v_and_b32_e32 v54, 7, v54
	v_cmp_gt_u32_e32 vcc, 8, v52
	v_cndmask_b32_e32 v28, v53, v28, vcc
	v_cndmask_b32_e32 v44, v44, v54, vcc
	v_lshlrev_b32_e32 v52, 16, v26
	v_lshlrev_b32_e32 v44, 20, v44
	v_and_b32_e32 v52, 0x80000000, v52
	v_lshl_add_u32 v28, v28, 23, v38
	v_or3_b32 v44, v52, v28, v44
.LBB614_195:                            ;   in Loop: Header=BB614_17 Depth=1
	s_or_b64 exec, exec, s[10:11]
.LBB614_196:                            ;   in Loop: Header=BB614_17 Depth=1
	s_or_b64 exec, exec, s[6:7]
.LBB614_197:                            ;   in Loop: Header=BB614_17 Depth=1
	s_or_b64 exec, exec, s[4:5]
	v_lshrrev_b32_e32 v28, 16, v26
	v_cmp_ne_u16_sdwa s[6:7], v28, v35 src0_sel:BYTE_0 src1_sel:DWORD
	s_and_saveexec_b64 s[4:5], s[6:7]
	s_cbranch_execz .LBB614_203
; %bb.198:                              ;   in Loop: Header=BB614_17 Depth=1
	v_cmp_ne_u16_sdwa s[10:11], v28, s13 src0_sel:BYTE_0 src1_sel:DWORD
	v_bfrev_b32_e32 v30, 1
	s_and_saveexec_b64 s[6:7], s[10:11]
	s_cbranch_execz .LBB614_202
; %bb.199:                              ;   in Loop: Header=BB614_17 Depth=1
	v_bfe_u32 v52, v26, 16, 7
	v_cmp_ne_u32_e32 vcc, s14, v52
	v_mov_b32_e32 v30, 0x7f800001
	s_and_saveexec_b64 s[10:11], vcc
	s_cbranch_execz .LBB614_201
; %bb.200:                              ;   in Loop: Header=BB614_17 Depth=1
	v_and_b32_e32 v30, 7, v28
	v_ffbh_u32_e32 v54, v30
	v_min_u32_e32 v56, 32, v54
	v_subrev_u32_e32 v54, 28, v56
	v_lshlrev_b64 v[54:55], v54, v[28:29]
	v_lshrrev_b32_e32 v53, 3, v52
	v_sub_u32_e32 v55, 29, v56
	v_and_b32_e32 v54, 7, v54
	v_cmp_gt_u32_e32 vcc, 8, v52
	v_cndmask_b32_e32 v52, v53, v55, vcc
	v_cndmask_b32_e32 v30, v30, v54, vcc
	v_lshlrev_b32_e32 v28, 24, v28
	v_lshlrev_b32_e32 v30, 20, v30
	v_and_b32_e32 v28, 0x80000000, v28
	v_lshl_add_u32 v52, v52, 23, v38
	v_or3_b32 v30, v28, v52, v30
.LBB614_201:                            ;   in Loop: Header=BB614_17 Depth=1
	s_or_b64 exec, exec, s[10:11]
.LBB614_202:                            ;   in Loop: Header=BB614_17 Depth=1
	s_or_b64 exec, exec, s[6:7]
.LBB614_203:                            ;   in Loop: Header=BB614_17 Depth=1
	s_or_b64 exec, exec, s[4:5]
	v_cmp_lt_u32_e32 vcc, s15, v26
	v_mov_b32_e32 v52, 0
	s_and_saveexec_b64 s[4:5], vcc
	s_cbranch_execz .LBB614_16
; %bb.204:                              ;   in Loop: Header=BB614_17 Depth=1
	v_lshrrev_b32_e32 v28, 24, v26
	v_cmp_ne_u32_e32 vcc, s13, v28
	v_bfrev_b32_e32 v52, 1
	s_and_saveexec_b64 s[6:7], vcc
	s_cbranch_execz .LBB614_15
; %bb.205:                              ;   in Loop: Header=BB614_17 Depth=1
	v_bfe_u32 v26, v26, 24, 7
	v_cmp_ne_u32_e32 vcc, s14, v26
	v_mov_b32_e32 v52, 0x7f800001
	s_and_saveexec_b64 s[10:11], vcc
	s_cbranch_execz .LBB614_14
; %bb.206:                              ;   in Loop: Header=BB614_17 Depth=1
	v_and_b32_e32 v54, 7, v28
	v_ffbh_u32_e32 v52, v54
	v_min_u32_e32 v56, 32, v52
	v_subrev_u32_e32 v52, 28, v56
	v_lshlrev_b64 v[52:53], v52, v[28:29]
	v_lshrrev_b32_e32 v55, 3, v26
	v_sub_u32_e32 v53, 29, v56
	v_and_b32_e32 v52, 7, v52
	v_cmp_gt_u32_e32 vcc, 8, v26
	v_cndmask_b32_e32 v26, v55, v53, vcc
	v_cndmask_b32_e32 v52, v54, v52, vcc
	v_lshlrev_b32_e32 v28, 24, v28
	v_lshlrev_b32_e32 v52, 20, v52
	v_and_b32_e32 v28, 0x80000000, v28
	v_lshl_add_u32 v26, v26, 23, v38
	v_or3_b32 v52, v28, v26, v52
	s_branch .LBB614_14
.LBB614_207:
	buffer_load_dword v17, off, s[0:3], 0 offset:256
	buffer_load_dword v16, off, s[0:3], 0 offset:260
	;; [unrolled: 1-line block ×16, first 2 shown]
	v_and_b32_e32 v18, 0xc0, v0
	v_add_u32_e32 v18, s20, v18
	v_lshl_or_b32 v18, v1, 2, v18
	v_or_b32_e32 v20, 1, v18
	v_subrev_u32_e32 v24, s33, v20
	v_add_u32_e32 v26, 1, v24
	v_cvt_f32_i32_e32 v25, v24
	v_add_u32_e32 v28, 2, v24
	v_add_u32_e32 v30, 3, v24
	;; [unrolled: 1-line block ×14, first 2 shown]
	v_cvt_f32_i32_e32 v26, v26
	v_cvt_f32_i32_e32 v28, v28
	;; [unrolled: 1-line block ×4, first 2 shown]
	v_mov_b32_e32 v19, 0xff7fffff
	v_or_b32_e32 v21, 2, v18
	v_or_b32_e32 v22, 3, v18
	v_cvt_f32_i32_e32 v32, v32
	v_cvt_f32_i32_e32 v34, v34
	v_cmp_gt_i32_e64 s[28:29], s33, v18
	v_cmp_gt_i32_e64 s[30:31], s33, v20
	s_mov_b32 s52, 0xff7fffff
	v_cmp_gt_i32_e64 s[34:35], s33, v21
	v_cmp_gt_i32_e64 s[36:37], s33, v22
	v_or_b32_e32 v23, 16, v18
	v_cvt_f32_i32_e32 v35, v35
	v_cvt_f32_i32_e32 v36, v36
	v_cmp_gt_i32_e64 s[24:25], s33, v23
	v_cvt_f32_i32_e32 v37, v37
	v_cvt_f32_i32_e32 v38, v38
	;; [unrolled: 1-line block ×7, first 2 shown]
	s_waitcnt vmcnt(15)
	v_fmac_f32_e32 v17, v31, v25
	s_waitcnt vmcnt(14)
	v_fmac_f32_e32 v16, v31, v26
	;; [unrolled: 2-line block ×4, first 2 shown]
	v_cndmask_b32_e64 v20, v19, v16, s[30:31]
	v_cndmask_b32_e64 v21, v19, v15, s[34:35]
	;; [unrolled: 1-line block ×3, first 2 shown]
	s_waitcnt vmcnt(11)
	v_fmac_f32_e32 v13, v31, v32
	s_waitcnt vmcnt(10)
	v_fmac_f32_e32 v12, v31, v34
	;; [unrolled: 2-line block ×9, first 2 shown]
	v_cndmask_b32_e64 v24, v19, v17, s[28:29]
	v_max3_f32 v20, v24, s52, v20
	v_max3_f32 v20, v20, v21, v22
	v_or_b32_e32 v22, 17, v18
	v_cmp_gt_i32_e64 s[38:39], s33, v22
	v_cndmask_b32_e64 v21, v19, v13, s[24:25]
	v_cndmask_b32_e64 v22, v19, v12, s[38:39]
	v_max3_f32 v20, v20, v21, v22
	v_or_b32_e32 v21, 18, v18
	v_or_b32_e32 v22, 19, v18
	v_cmp_gt_i32_e64 s[20:21], s33, v21
	v_cmp_gt_i32_e64 s[22:23], s33, v22
	v_cndmask_b32_e64 v21, v19, v11, s[20:21]
	v_cndmask_b32_e64 v22, v19, v10, s[22:23]
	v_max3_f32 v20, v20, v21, v22
	v_or_b32_e32 v21, 32, v18
	v_or_b32_e32 v22, 33, v18
	v_cmp_gt_i32_e64 s[16:17], s33, v21
	;; [unrolled: 7-line block ×3, first 2 shown]
	v_cmp_gt_i32_e64 s[14:15], s33, v22
	v_cndmask_b32_e64 v21, v19, v7, s[12:13]
	v_cndmask_b32_e64 v22, v19, v6, s[14:15]
	v_max3_f32 v20, v20, v21, v22
	v_or_b32_e32 v21, 48, v18
	v_or_b32_e32 v22, 49, v18
	v_fmac_f32_e32 v5, v31, v44
	v_fmac_f32_e32 v4, v31, v52
	v_cmp_gt_i32_e64 s[6:7], s33, v21
	v_cmp_gt_i32_e64 s[10:11], s33, v22
	v_cndmask_b32_e64 v21, v19, v5, s[6:7]
	v_cndmask_b32_e64 v22, v19, v4, s[10:11]
	v_max3_f32 v20, v20, v21, v22
	v_or_b32_e32 v21, 50, v18
	v_or_b32_e32 v18, 51, v18
	v_fmac_f32_e32 v3, v31, v53
	v_cmp_gt_i32_e32 vcc, s33, v21
	v_cmp_gt_i32_e64 s[4:5], s33, v18
	v_cndmask_b32_e32 v21, v19, v3, vcc
	v_cndmask_b32_e64 v18, v19, v2, s[4:5]
	v_mbcnt_lo_u32_b32 v19, -1, 0
	v_mbcnt_hi_u32_b32 v19, -1, v19
	v_max3_f32 v18, v20, v21, v18
	v_and_b32_e32 v20, 64, v19
	v_add_u32_e32 v20, 64, v20
	v_xor_b32_e32 v21, 32, v19
	v_cmp_lt_i32_e64 s[40:41], v21, v20
	v_cndmask_b32_e64 v21, v19, v21, s[40:41]
	v_lshlrev_b32_e32 v21, 2, v21
	ds_bpermute_b32 v22, v21, v18
	s_waitcnt lgkmcnt(0)
	v_max_f32_e32 v22, v22, v22
	v_max_f32_e32 v18, v18, v22
	v_xor_b32_e32 v22, 16, v19
	v_cmp_lt_i32_e64 s[40:41], v22, v20
	v_cndmask_b32_e64 v19, v19, v22, s[40:41]
	v_lshlrev_b32_e32 v19, 2, v19
	ds_bpermute_b32 v20, v19, v18
	s_waitcnt lgkmcnt(0)
	v_max_f32_e32 v20, v20, v20
	v_max_f32_e32 v18, v18, v20
	v_sub_f32_e32 v17, v17, v18
	v_mul_f32_e32 v17, 0x3fb8aa3b, v17
	v_sub_f32_e32 v16, v16, v18
	v_exp_f32_e32 v17, v17
	v_mul_f32_e32 v16, 0x3fb8aa3b, v16
	v_sub_f32_e32 v15, v15, v18
	v_exp_f32_e32 v16, v16
	;; [unrolled: 3-line block ×4, first 2 shown]
	v_mul_f32_e32 v13, 0x3fb8aa3b, v13
	v_sub_f32_e32 v12, v12, v18
	v_cndmask_b32_e64 v17, 0, v17, s[28:29]
	v_exp_f32_e32 v13, v13
	v_mul_f32_e32 v12, 0x3fb8aa3b, v12
	v_sub_f32_e32 v11, v11, v18
	v_add_f32_e32 v20, 0, v17
	v_cndmask_b32_e64 v16, 0, v16, s[30:31]
	v_exp_f32_e32 v12, v12
	v_mul_f32_e32 v11, 0x3fb8aa3b, v11
	v_sub_f32_e32 v10, v10, v18
	v_add_f32_e32 v20, v20, v16
	;; [unrolled: 5-line block ×4, first 2 shown]
	v_cndmask_b32_e64 v13, 0, v13, s[24:25]
	v_exp_f32_e32 v9, v9
	v_mul_f32_e32 v8, 0x3fb8aa3b, v8
	v_sub_f32_e32 v7, v7, v18
	buffer_store_dword v17, off, s[0:3], 0 offset:256
	buffer_store_dword v16, off, s[0:3], 0 offset:260
	;; [unrolled: 1-line block ×4, first 2 shown]
	v_add_f32_e32 v14, v20, v13
	v_cndmask_b32_e64 v12, 0, v12, s[38:39]
	v_exp_f32_e32 v8, v8
	v_mul_f32_e32 v7, 0x3fb8aa3b, v7
	v_sub_f32_e32 v6, v6, v18
	v_add_f32_e32 v14, v14, v12
	v_cndmask_b32_e64 v11, 0, v11, s[20:21]
	v_exp_f32_e32 v7, v7
	v_mul_f32_e32 v6, 0x3fb8aa3b, v6
	v_sub_f32_e32 v5, v5, v18
	;; [unrolled: 5-line block ×4, first 2 shown]
	buffer_store_dword v13, off, s[0:3], 0 offset:272
	buffer_store_dword v12, off, s[0:3], 0 offset:276
	;; [unrolled: 1-line block ×4, first 2 shown]
	v_add_f32_e32 v10, v14, v9
	v_cndmask_b32_e64 v8, 0, v8, s[18:19]
	v_exp_f32_e32 v4, v4
	v_mul_f32_e32 v3, 0x3fb8aa3b, v3
	v_sub_f32_e32 v2, v2, v18
	v_add_f32_e32 v10, v10, v8
	v_cndmask_b32_e64 v7, 0, v7, s[12:13]
	v_exp_f32_e32 v3, v3
	v_mul_f32_e32 v2, 0x3fb8aa3b, v2
	v_add_f32_e32 v10, v10, v7
	v_cndmask_b32_e64 v6, 0, v6, s[14:15]
	v_exp_f32_e32 v2, v2
	v_add_f32_e32 v10, v10, v6
	v_cndmask_b32_e64 v5, 0, v5, s[6:7]
	buffer_store_dword v9, off, s[0:3], 0 offset:288
	buffer_store_dword v8, off, s[0:3], 0 offset:292
	;; [unrolled: 1-line block ×4, first 2 shown]
	v_add_f32_e32 v6, v10, v5
	v_cndmask_b32_e64 v4, 0, v4, s[10:11]
	v_add_f32_e32 v6, v6, v4
	v_cndmask_b32_e32 v3, 0, v3, vcc
	v_add_f32_e32 v6, v6, v3
	v_cndmask_b32_e64 v2, 0, v2, s[4:5]
	v_add_f32_e32 v6, v6, v2
	ds_bpermute_b32 v7, v21, v6
	buffer_store_dword v5, off, s[0:3], 0 offset:304
	buffer_store_dword v4, off, s[0:3], 0 offset:308
	;; [unrolled: 1-line block ×4, first 2 shown]
	v_cmp_gt_u32_e64 s[4:5], 16, v33
	s_waitcnt lgkmcnt(0)
	s_barrier
	v_add_f32_e32 v2, v6, v7
	ds_bpermute_b32 v3, v19, v2
	s_waitcnt lgkmcnt(0)
	s_and_saveexec_b64 s[6:7], s[4:5]
	s_cbranch_execz .LBB614_209
; %bb.208:
	v_add_f32_e32 v2, v2, v3
	v_lshlrev_b32_e32 v3, 2, v29
	ds_write2st64_b32 v3, v18, v2 offset1:1
.LBB614_209:
	s_or_b64 exec, exec, s[6:7]
	v_lshlrev_b32_e32 v2, 2, v41
	s_waitcnt lgkmcnt(0)
	s_barrier
	ds_read2_b32 v[12:13], v2 offset1:16
	ds_read2_b32 v[14:15], v2 offset0:32 offset1:48
	ds_read2_b32 v[6:7], v2 offset0:64 offset1:80
	;; [unrolled: 1-line block ×3, first 2 shown]
	s_waitcnt lgkmcnt(0)
	s_barrier
	buffer_load_dword v20, off, s[0:3], 0 offset:256
	buffer_load_dword v21, off, s[0:3], 0 offset:260
	;; [unrolled: 1-line block ×16, first 2 shown]
	v_lshlrev_b32_e32 v19, 3, v1
	v_lshlrev_b32_e32 v18, 5, v41
	;; [unrolled: 1-line block ×3, first 2 shown]
	v_or3_b32 v52, v26, v18, v19
	v_max3_f32 v19, v12, s52, v13
	v_max3_f32 v19, v19, v14, v15
	v_sub_f32_e32 v12, v12, v19
	v_sub_f32_e32 v13, v13, v19
	v_mul_f32_e32 v12, 0x3fb8aa3b, v12
	v_sub_f32_e32 v14, v14, v19
	v_mul_f32_e32 v13, 0x3fb8aa3b, v13
	v_exp_f32_e32 v12, v12
	v_sub_f32_e32 v15, v15, v19
	v_mul_f32_e32 v14, 0x3fb8aa3b, v14
	v_exp_f32_e32 v13, v13
	v_mul_f32_e32 v15, 0x3fb8aa3b, v15
	v_exp_f32_e32 v14, v14
	v_exp_f32_e32 v15, v15
	v_fma_f32 v6, v12, v6, 0
	v_fmac_f32_e32 v6, v13, v7
	v_fmac_f32_e32 v6, v14, v10
	;; [unrolled: 1-line block ×3, first 2 shown]
	v_cmp_eq_u32_e32 vcc, 1, v27
	v_add_f32_e32 v10, 0x358637bd, v6
	v_cndmask_b32_e32 v12, v12, v13, vcc
	v_cmp_eq_u32_e32 vcc, 2, v27
	v_div_scale_f32 v11, s[6:7], v10, v10, 1.0
	v_cndmask_b32_e32 v7, v12, v14, vcc
	v_rcp_f32_e32 v12, v11
	v_cmp_eq_u32_e32 vcc, 3, v27
	v_cndmask_b32_e32 v7, v7, v15, vcc
	v_div_scale_f32 v13, vcc, 1.0, v10, 1.0
	v_fma_f32 v14, -v11, v12, 1.0
	v_fmac_f32_e32 v12, v14, v12
	v_mul_f32_e32 v14, v13, v12
	v_fma_f32 v15, -v11, v14, v13
	v_fmac_f32_e32 v14, v15, v12
	v_fma_f32 v11, -v11, v14, v13
	v_div_fmas_f32 v11, v11, v12, v14
	v_div_fixup_f32 v10, v11, v10, 1.0
	v_mul_f32_e32 v10, v7, v10
	s_mul_i32 s20, s49, 9
	v_cmp_gt_u32_e32 vcc, 9, v0
	s_waitcnt vmcnt(14)
	v_pk_mul_f32 v[14:15], v[10:11], v[20:21] op_sel_hi:[0,1]
	v_cvt_f16_f32_e32 v7, v14
	s_waitcnt vmcnt(12)
	v_pk_mul_f32 v[12:13], v[10:11], v[22:23] op_sel_hi:[0,1]
	buffer_store_dword v14, off, s[0:3], 0 offset:256
	buffer_store_dword v15, off, s[0:3], 0 offset:260
	;; [unrolled: 1-line block ×3, first 2 shown]
	s_waitcnt vmcnt(13)
	v_pk_mul_f32 v[20:21], v[10:11], v[24:25] op_sel_hi:[0,1]
	v_cvt_f16_f32_e32 v14, v12
	s_waitcnt vmcnt(11)
	v_pk_mul_f32 v[22:23], v[10:11], v[28:29] op_sel_hi:[0,1]
	v_cvt_f16_f32_e32 v11, v15
	v_cvt_f16_f32_e32 v15, v13
	buffer_store_dword v13, off, s[0:3], 0 offset:268
	buffer_store_dword v22, off, s[0:3], 0 offset:272
	;; [unrolled: 1-line block ×3, first 2 shown]
	v_pack_b32_f16 v12, v7, v11
	v_cvt_f16_f32_e32 v11, v23
	v_pack_b32_f16 v13, v14, v15
	v_cvt_f16_f32_e32 v7, v22
	v_cvt_f16_f32_e32 v15, v20
	;; [unrolled: 1-line block ×3, first 2 shown]
	s_waitcnt vmcnt(12)
	v_pk_mul_f32 v[4:5], v[10:11], v[4:5] op_sel_hi:[0,1]
	v_pack_b32_f16 v14, v7, v11
	s_waitcnt vmcnt(10)
	v_pk_mul_f32 v[2:3], v[10:11], v[2:3] op_sel_hi:[0,1]
	v_pack_b32_f16 v15, v15, v22
	v_cvt_f16_f32_e32 v11, v5
	buffer_store_dword v20, off, s[0:3], 0 offset:280
	buffer_store_dword v21, off, s[0:3], 0 offset:284
	ds_write2st64_b64 v52, v[12:13], v[14:15] offset1:1
	buffer_store_dword v2, off, s[0:3], 0 offset:288
	buffer_store_dword v3, off, s[0:3], 0 offset:292
	v_cvt_f16_f32_e32 v2, v2
	v_cvt_f16_f32_e32 v3, v3
	;; [unrolled: 1-line block ×3, first 2 shown]
	buffer_store_dword v4, off, s[0:3], 0 offset:296
	buffer_store_dword v5, off, s[0:3], 0 offset:300
	s_waitcnt vmcnt(12)
	v_pk_mul_f32 v[4:5], v[10:11], v[16:17] op_sel_hi:[0,1]
	v_pk_mul_f32 v[8:9], v[10:11], v[8:9] op_sel_hi:[0,1]
	v_pack_b32_f16 v2, v2, v3
	v_pack_b32_f16 v3, v7, v11
	buffer_store_dword v8, off, s[0:3], 0 offset:304
	buffer_store_dword v9, off, s[0:3], 0 offset:308
	v_cvt_f16_f32_e32 v7, v8
	v_cvt_f16_f32_e32 v8, v9
	;; [unrolled: 1-line block ×4, first 2 shown]
	buffer_store_dword v4, off, s[0:3], 0 offset:312
	buffer_store_dword v5, off, s[0:3], 0 offset:316
	v_pack_b32_f16 v4, v7, v8
	v_pack_b32_f16 v5, v9, v10
	ds_write2st64_b64 v52, v[2:3], v[4:5] offset0:2 offset1:3
	s_and_saveexec_b64 s[6:7], vcc
	s_cbranch_execz .LBB614_211
; %bb.210:
	v_add_co_u32_e32 v4, vcc, s27, v41
	v_addc_co_u32_e64 v5, s[10:11], 0, 0, vcc
	v_mov_b32_e32 v2, s20
	v_mov_b32_e32 v3, 0
	v_mad_u64_u32 v[4:5], s[10:11], s8, v2, v[4:5]
	v_mov_b32_e32 v2, s26
	s_mul_i32 s9, s9, s20
	v_mad_u64_u32 v[2:3], s[10:11], v4, s48, v[2:3]
	v_add_u32_e32 v5, s9, v5
	v_mov_b32_e32 v4, v3
	v_mad_u64_u32 v[4:5], s[10:11], v5, s48, v[4:5]
	v_mov_b32_e32 v3, v4
	v_lshlrev_b64 v[2:3], 2, v[2:3]
	v_mov_b32_e32 v5, s47
	v_add_co_u32_e32 v4, vcc, s46, v2
	v_addc_co_u32_e32 v5, vcc, v5, v3, vcc
	global_store_dword v[4:5], v19, off
	v_mov_b32_e32 v4, s45
	v_add_co_u32_e32 v2, vcc, s44, v2
	v_addc_co_u32_e32 v3, vcc, v4, v3, vcc
	global_store_dword v[2:3], v6, off
.LBB614_211:
	s_or_b64 exec, exec, s[6:7]
	v_lshl_or_b32 v30, v1, 9, v18
	s_waitcnt lgkmcnt(0)
	s_barrier
	s_load_dword s6, s[42:43], 0x0
	ds_read_b128 v[2:5], v30
	ds_read_b128 v[6:9], v30 offset:16
	ds_read_b128 v[10:13], v30 offset:2048
	ds_read_b128 v[14:17], v30 offset:2064
	ds_read_b128 v[18:21], v30 offset:4096
	ds_read_b128 v[22:25], v30 offset:4112
	ds_read_b128 v[26:29], v30 offset:6144
	ds_read_b128 v[30:33], v30 offset:6160
	v_mov_b32_e32 v35, 0x80
	v_mov_b32_e32 v53, 0x140
	s_mov_b64 s[12:13], -1
	s_waitcnt lgkmcnt(0)
	s_mov_b32 s7, s6
	s_mov_b32 s10, s6
	;; [unrolled: 1-line block ×3, first 2 shown]
	s_movk_i32 s9, 0x80
	s_movk_i32 s21, 0x7f
	s_mov_b32 s22, 0xffffff
	v_mov_b32_e32 v54, 0
	v_bfrev_b32_e32 v55, 60
	s_branch .LBB614_215
.LBB614_212:                            ;   in Loop: Header=BB614_215 Depth=1
	s_or_b64 exec, exec, s[18:19]
.LBB614_213:                            ;   in Loop: Header=BB614_215 Depth=1
	s_or_b64 exec, exec, s[16:17]
.LBB614_214:                            ;   in Loop: Header=BB614_215 Depth=1
	s_or_b64 exec, exec, s[14:15]
	v_cvt_pkrtz_f16_f32 v60, v46, v50
	v_cvt_pkrtz_f16_f32 v61, v44, v56
	s_xor_b64 s[14:15], s[12:13], -1
	s_mov_b64 s[12:13], 0
	v_mov_b32_e32 v46, v47
	v_mfma_f32_16x16x16f16 v[60:63], v[60:61], v[30:31], v[34:37]
	v_mov_b32_e32 v50, v49
	s_and_b64 vcc, exec, s[14:15]
	s_nop 4
	v_cvt_pkrtz_f16_f32 v36, v51, v57
	v_cvt_pkrtz_f16_f32 v37, v42, v58
	v_mov_b32_e32 v35, v45
	v_mov_b32_e32 v51, v48
	v_mfma_f32_16x16x16f16 v[56:59], v[36:37], v[32:33], v[60:63]
	s_nop 7
	s_nop 2
	v_pk_mul_f32 v[56:57], v[56:57], s[6:7]
	v_pk_mul_f32 v[36:37], v[58:59], s[10:11]
	v_cvt_f16_f32_e32 v34, v56
	v_cvt_f16_f32_e32 v38, v57
	v_cvt_f16_f32_e32 v36, v36
	v_cvt_f16_f32_e32 v37, v37
	v_pack_b32_f16 v34, v34, v38
	v_pack_b32_f16 v36, v36, v37
	buffer_store_dword v34, v53, s[0:3], 0 offen
	buffer_store_dword v36, v53, s[0:3], 0 offen offset:4
	v_mov_b32_e32 v53, 0x148
	s_cbranch_vccnz .LBB614_597
.LBB614_215:                            ; =>This Inner Loop Header: Depth=1
	buffer_load_dword v36, v35, s[0:3], 0 offen
	buffer_load_dword v34, v35, s[0:3], 0 offen offset:4
	buffer_load_dword v40, v35, s[0:3], 0 offen offset:8
	;; [unrolled: 1-line block ×3, first 2 shown]
	v_mov_b32_e32 v35, 0
	s_waitcnt vmcnt(3)
	v_cmp_ne_u16_sdwa s[16:17], v36, v54 src0_sel:BYTE_0 src1_sel:DWORD
	s_and_saveexec_b64 s[14:15], s[16:17]
	s_cbranch_execz .LBB614_221
; %bb.216:                              ;   in Loop: Header=BB614_215 Depth=1
	v_cmp_ne_u16_sdwa s[18:19], v36, s9 src0_sel:BYTE_0 src1_sel:DWORD
	v_bfrev_b32_e32 v35, 1
	s_and_saveexec_b64 s[16:17], s[18:19]
	s_cbranch_execz .LBB614_220
; %bb.217:                              ;   in Loop: Header=BB614_215 Depth=1
	v_and_b32_e32 v37, 0x7f, v36
	v_cmp_ne_u32_e32 vcc, s21, v37
	v_mov_b32_e32 v35, 0x7f800001
	s_and_saveexec_b64 s[18:19], vcc
	s_cbranch_execz .LBB614_219
; %bb.218:                              ;   in Loop: Header=BB614_215 Depth=1
	v_and_b32_e32 v35, 7, v36
	v_ffbh_u32_e32 v44, v35
	v_min_u32_e32 v44, 32, v44
	v_subrev_u32_e32 v56, 28, v44
	v_lshlrev_b64 v[56:57], v56, v[36:37]
	v_lshrrev_b32_e32 v42, 3, v37
	v_sub_u32_e32 v44, 29, v44
	v_and_b32_e32 v56, 7, v56
	v_cmp_gt_u32_e32 vcc, 8, v37
	v_cndmask_b32_e32 v37, v42, v44, vcc
	v_cndmask_b32_e32 v35, v35, v56, vcc
	v_lshlrev_b32_e32 v42, 24, v36
	v_lshlrev_b32_e32 v35, 20, v35
	v_and_b32_e32 v42, 0x80000000, v42
	v_lshl_add_u32 v37, v37, 23, v55
	v_or3_b32 v35, v42, v37, v35
.LBB614_219:                            ;   in Loop: Header=BB614_215 Depth=1
	s_or_b64 exec, exec, s[18:19]
.LBB614_220:                            ;   in Loop: Header=BB614_215 Depth=1
	s_or_b64 exec, exec, s[16:17]
.LBB614_221:                            ;   in Loop: Header=BB614_215 Depth=1
	s_or_b64 exec, exec, s[14:15]
	v_lshrrev_b16_e32 v42, 8, v36
	v_cmp_ne_u16_e32 vcc, 0, v42
	v_mov_b32_e32 v37, 0
	s_and_saveexec_b64 s[14:15], vcc
	s_cbranch_execz .LBB614_227
; %bb.222:                              ;   in Loop: Header=BB614_215 Depth=1
	v_cmp_ne_u16_e32 vcc, s9, v42
	v_bfrev_b32_e32 v37, 1
	s_and_saveexec_b64 s[16:17], vcc
	s_cbranch_execz .LBB614_226
; %bb.223:                              ;   in Loop: Header=BB614_215 Depth=1
	v_and_b32_e32 v44, 0x7f, v42
	v_cmp_ne_u32_e32 vcc, s21, v44
	v_mov_b32_e32 v37, 0x7f800001
	s_and_saveexec_b64 s[18:19], vcc
	s_cbranch_execz .LBB614_225
; %bb.224:                              ;   in Loop: Header=BB614_215 Depth=1
	v_and_b32_e32 v37, 7, v42
	v_ffbh_u32_e32 v56, v37
	v_min_u32_e32 v59, 32, v56
	v_subrev_u32_e32 v56, 28, v59
	v_lshlrev_b64 v[56:57], v56, v[42:43]
	v_lshrrev_b32_e32 v58, 3, v44
	v_sub_u32_e32 v42, 29, v59
	v_and_b32_e32 v56, 7, v56
	v_cmp_gt_u32_e32 vcc, 8, v44
	v_cndmask_b32_e32 v42, v58, v42, vcc
	v_cndmask_b32_e32 v37, v37, v56, vcc
	v_lshlrev_b32_e32 v44, 16, v36
	v_lshlrev_b32_e32 v37, 20, v37
	v_and_b32_e32 v44, 0x80000000, v44
	v_lshl_add_u32 v42, v42, 23, v55
	v_or3_b32 v37, v44, v42, v37
.LBB614_225:                            ;   in Loop: Header=BB614_215 Depth=1
	s_or_b64 exec, exec, s[18:19]
.LBB614_226:                            ;   in Loop: Header=BB614_215 Depth=1
	s_or_b64 exec, exec, s[16:17]
.LBB614_227:                            ;   in Loop: Header=BB614_215 Depth=1
	s_or_b64 exec, exec, s[14:15]
	v_lshrrev_b32_e32 v42, 16, v36
	v_cmp_ne_u16_sdwa s[16:17], v42, v54 src0_sel:BYTE_0 src1_sel:DWORD
	v_mov_b32_e32 v56, 0
	v_mov_b32_e32 v44, 0
	s_and_saveexec_b64 s[14:15], s[16:17]
	s_cbranch_execz .LBB614_233
; %bb.228:                              ;   in Loop: Header=BB614_215 Depth=1
	v_cmp_ne_u16_sdwa s[18:19], v42, s9 src0_sel:BYTE_0 src1_sel:DWORD
	v_bfrev_b32_e32 v44, 1
	s_and_saveexec_b64 s[16:17], s[18:19]
	s_cbranch_execz .LBB614_232
; %bb.229:                              ;   in Loop: Header=BB614_215 Depth=1
	v_bfe_u32 v57, v36, 16, 7
	v_cmp_ne_u32_e32 vcc, s21, v57
	v_mov_b32_e32 v44, 0x7f800001
	s_and_saveexec_b64 s[18:19], vcc
	s_cbranch_execz .LBB614_231
; %bb.230:                              ;   in Loop: Header=BB614_215 Depth=1
	v_and_b32_e32 v44, 7, v42
	v_ffbh_u32_e32 v58, v44
	v_min_u32_e32 v61, 32, v58
	v_subrev_u32_e32 v58, 28, v61
	v_lshlrev_b64 v[58:59], v58, v[42:43]
	v_lshrrev_b32_e32 v60, 3, v57
	v_sub_u32_e32 v59, 29, v61
	v_and_b32_e32 v58, 7, v58
	v_cmp_gt_u32_e32 vcc, 8, v57
	v_cndmask_b32_e32 v57, v60, v59, vcc
	v_cndmask_b32_e32 v44, v44, v58, vcc
	v_lshlrev_b32_e32 v42, 24, v42
	v_lshlrev_b32_e32 v44, 20, v44
	v_and_b32_e32 v42, 0x80000000, v42
	v_lshl_add_u32 v57, v57, 23, v55
	v_or3_b32 v44, v42, v57, v44
.LBB614_231:                            ;   in Loop: Header=BB614_215 Depth=1
	s_or_b64 exec, exec, s[18:19]
.LBB614_232:                            ;   in Loop: Header=BB614_215 Depth=1
	s_or_b64 exec, exec, s[16:17]
.LBB614_233:                            ;   in Loop: Header=BB614_215 Depth=1
	s_or_b64 exec, exec, s[14:15]
	v_cmp_lt_u32_e32 vcc, s22, v36
	s_and_saveexec_b64 s[14:15], vcc
	s_cbranch_execz .LBB614_239
; %bb.234:                              ;   in Loop: Header=BB614_215 Depth=1
	v_lshrrev_b32_e32 v42, 24, v36
	v_cmp_ne_u32_e32 vcc, s9, v42
	v_bfrev_b32_e32 v56, 1
	s_and_saveexec_b64 s[16:17], vcc
	s_cbranch_execz .LBB614_238
; %bb.235:                              ;   in Loop: Header=BB614_215 Depth=1
	v_bfe_u32 v36, v36, 24, 7
	v_cmp_ne_u32_e32 vcc, s21, v36
	v_mov_b32_e32 v56, 0x7f800001
	s_and_saveexec_b64 s[18:19], vcc
	s_cbranch_execz .LBB614_237
; %bb.236:                              ;   in Loop: Header=BB614_215 Depth=1
	v_and_b32_e32 v58, 7, v42
	v_ffbh_u32_e32 v56, v58
	v_min_u32_e32 v60, 32, v56
	v_subrev_u32_e32 v56, 28, v60
	v_lshlrev_b64 v[56:57], v56, v[42:43]
	v_lshrrev_b32_e32 v59, 3, v36
	v_sub_u32_e32 v57, 29, v60
	v_and_b32_e32 v56, 7, v56
	v_cmp_gt_u32_e32 vcc, 8, v36
	v_cndmask_b32_e32 v36, v59, v57, vcc
	v_cndmask_b32_e32 v56, v58, v56, vcc
	v_lshlrev_b32_e32 v42, 24, v42
	v_lshlrev_b32_e32 v56, 20, v56
	v_and_b32_e32 v42, 0x80000000, v42
	v_lshl_add_u32 v36, v36, 23, v55
	v_or3_b32 v56, v42, v36, v56
.LBB614_237:                            ;   in Loop: Header=BB614_215 Depth=1
	s_or_b64 exec, exec, s[18:19]
.LBB614_238:                            ;   in Loop: Header=BB614_215 Depth=1
	s_or_b64 exec, exec, s[16:17]
.LBB614_239:                            ;   in Loop: Header=BB614_215 Depth=1
	s_or_b64 exec, exec, s[14:15]
	s_waitcnt vmcnt(2)
	v_cmp_ne_u16_sdwa s[16:17], v34, v54 src0_sel:BYTE_0 src1_sel:DWORD
	v_mov_b32_e32 v42, 0
	v_mov_b32_e32 v57, 0
	s_and_saveexec_b64 s[14:15], s[16:17]
	s_cbranch_execz .LBB614_245
; %bb.240:                              ;   in Loop: Header=BB614_215 Depth=1
	v_cmp_ne_u16_sdwa s[18:19], v34, s9 src0_sel:BYTE_0 src1_sel:DWORD
	v_bfrev_b32_e32 v57, 1
	s_and_saveexec_b64 s[16:17], s[18:19]
	s_cbranch_execz .LBB614_244
; %bb.241:                              ;   in Loop: Header=BB614_215 Depth=1
	v_and_b32_e32 v36, 0x7f, v34
	v_cmp_ne_u32_e32 vcc, s21, v36
	v_mov_b32_e32 v57, 0x7f800001
	s_and_saveexec_b64 s[18:19], vcc
	s_cbranch_execz .LBB614_243
; %bb.242:                              ;   in Loop: Header=BB614_215 Depth=1
	v_and_b32_e32 v57, 7, v34
	v_ffbh_u32_e32 v58, v57
	v_min_u32_e32 v61, 32, v58
	v_subrev_u32_e32 v58, 28, v61
	v_lshlrev_b64 v[58:59], v58, v[34:35]
	v_lshrrev_b32_e32 v60, 3, v36
	v_sub_u32_e32 v59, 29, v61
	v_and_b32_e32 v58, 7, v58
	v_cmp_gt_u32_e32 vcc, 8, v36
	v_cndmask_b32_e32 v36, v60, v59, vcc
	v_cndmask_b32_e32 v57, v57, v58, vcc
	v_lshlrev_b32_e32 v58, 24, v34
	v_lshlrev_b32_e32 v57, 20, v57
	v_and_b32_e32 v58, 0x80000000, v58
	v_lshl_add_u32 v36, v36, 23, v55
	v_or3_b32 v57, v58, v36, v57
.LBB614_243:                            ;   in Loop: Header=BB614_215 Depth=1
	s_or_b64 exec, exec, s[18:19]
.LBB614_244:                            ;   in Loop: Header=BB614_215 Depth=1
	s_or_b64 exec, exec, s[16:17]
.LBB614_245:                            ;   in Loop: Header=BB614_215 Depth=1
	s_or_b64 exec, exec, s[14:15]
	v_lshrrev_b16_e32 v36, 8, v34
	v_cmp_ne_u16_e32 vcc, 0, v36
	s_and_saveexec_b64 s[14:15], vcc
	s_cbranch_execz .LBB614_251
; %bb.246:                              ;   in Loop: Header=BB614_215 Depth=1
	v_cmp_ne_u16_e32 vcc, s9, v36
	v_bfrev_b32_e32 v42, 1
	s_and_saveexec_b64 s[16:17], vcc
	s_cbranch_execz .LBB614_250
; %bb.247:                              ;   in Loop: Header=BB614_215 Depth=1
	v_and_b32_e32 v58, 0x7f, v36
	v_cmp_ne_u32_e32 vcc, s21, v58
	v_mov_b32_e32 v42, 0x7f800001
	s_and_saveexec_b64 s[18:19], vcc
	s_cbranch_execz .LBB614_249
; %bb.248:                              ;   in Loop: Header=BB614_215 Depth=1
	v_and_b32_e32 v42, 7, v36
	v_ffbh_u32_e32 v60, v42
	v_min_u32_e32 v62, 32, v60
	v_subrev_u32_e32 v60, 28, v62
	v_lshlrev_b64 v[60:61], v60, v[36:37]
	v_lshrrev_b32_e32 v59, 3, v58
	v_sub_u32_e32 v36, 29, v62
	v_and_b32_e32 v60, 7, v60
	v_cmp_gt_u32_e32 vcc, 8, v58
	v_cndmask_b32_e32 v36, v59, v36, vcc
	v_cndmask_b32_e32 v42, v42, v60, vcc
	v_lshlrev_b32_e32 v58, 16, v34
	v_lshlrev_b32_e32 v42, 20, v42
	v_and_b32_e32 v58, 0x80000000, v58
	v_lshl_add_u32 v36, v36, 23, v55
	v_or3_b32 v42, v58, v36, v42
.LBB614_249:                            ;   in Loop: Header=BB614_215 Depth=1
	s_or_b64 exec, exec, s[18:19]
.LBB614_250:                            ;   in Loop: Header=BB614_215 Depth=1
	s_or_b64 exec, exec, s[16:17]
.LBB614_251:                            ;   in Loop: Header=BB614_215 Depth=1
	s_or_b64 exec, exec, s[14:15]
	v_lshrrev_b32_e32 v36, 16, v34
	v_cmp_ne_u16_sdwa s[16:17], v36, v54 src0_sel:BYTE_0 src1_sel:DWORD
	v_mov_b32_e32 v59, 0
	v_mov_b32_e32 v58, 0
	s_and_saveexec_b64 s[14:15], s[16:17]
	s_cbranch_execz .LBB614_257
; %bb.252:                              ;   in Loop: Header=BB614_215 Depth=1
	v_cmp_ne_u16_sdwa s[18:19], v36, s9 src0_sel:BYTE_0 src1_sel:DWORD
	v_bfrev_b32_e32 v58, 1
	s_and_saveexec_b64 s[16:17], s[18:19]
	s_cbranch_execz .LBB614_256
; %bb.253:                              ;   in Loop: Header=BB614_215 Depth=1
	v_bfe_u32 v60, v34, 16, 7
	v_cmp_ne_u32_e32 vcc, s21, v60
	v_mov_b32_e32 v58, 0x7f800001
	s_and_saveexec_b64 s[18:19], vcc
	s_cbranch_execz .LBB614_255
; %bb.254:                              ;   in Loop: Header=BB614_215 Depth=1
	v_and_b32_e32 v58, 7, v36
	v_ffbh_u32_e32 v62, v58
	v_min_u32_e32 v64, 32, v62
	v_subrev_u32_e32 v62, 28, v64
	v_lshlrev_b64 v[62:63], v62, v[36:37]
	v_lshrrev_b32_e32 v61, 3, v60
	v_sub_u32_e32 v63, 29, v64
	v_and_b32_e32 v62, 7, v62
	v_cmp_gt_u32_e32 vcc, 8, v60
	v_cndmask_b32_e32 v60, v61, v63, vcc
	v_cndmask_b32_e32 v58, v58, v62, vcc
	v_lshlrev_b32_e32 v36, 24, v36
	v_lshlrev_b32_e32 v58, 20, v58
	v_and_b32_e32 v36, 0x80000000, v36
	v_lshl_add_u32 v60, v60, 23, v55
	v_or3_b32 v58, v36, v60, v58
.LBB614_255:                            ;   in Loop: Header=BB614_215 Depth=1
	s_or_b64 exec, exec, s[18:19]
.LBB614_256:                            ;   in Loop: Header=BB614_215 Depth=1
	s_or_b64 exec, exec, s[16:17]
.LBB614_257:                            ;   in Loop: Header=BB614_215 Depth=1
	s_or_b64 exec, exec, s[14:15]
	v_cmp_lt_u32_e32 vcc, s22, v34
	s_and_saveexec_b64 s[14:15], vcc
	s_cbranch_execz .LBB614_263
; %bb.258:                              ;   in Loop: Header=BB614_215 Depth=1
	v_lshrrev_b32_e32 v36, 24, v34
	v_cmp_ne_u32_e32 vcc, s9, v36
	v_bfrev_b32_e32 v59, 1
	s_and_saveexec_b64 s[16:17], vcc
	s_cbranch_execz .LBB614_262
; %bb.259:                              ;   in Loop: Header=BB614_215 Depth=1
	v_bfe_u32 v34, v34, 24, 7
	v_cmp_ne_u32_e32 vcc, s21, v34
	v_mov_b32_e32 v59, 0x7f800001
	s_and_saveexec_b64 s[18:19], vcc
	s_cbranch_execz .LBB614_261
; %bb.260:                              ;   in Loop: Header=BB614_215 Depth=1
	v_and_b32_e32 v59, 7, v36
	v_ffbh_u32_e32 v60, v59
	v_min_u32_e32 v63, 32, v60
	v_subrev_u32_e32 v60, 28, v63
	v_lshlrev_b64 v[60:61], v60, v[36:37]
	v_lshrrev_b32_e32 v62, 3, v34
	v_sub_u32_e32 v61, 29, v63
	v_and_b32_e32 v60, 7, v60
	v_cmp_gt_u32_e32 vcc, 8, v34
	v_cndmask_b32_e32 v34, v62, v61, vcc
	v_cndmask_b32_e32 v59, v59, v60, vcc
	v_lshlrev_b32_e32 v36, 24, v36
	v_lshlrev_b32_e32 v59, 20, v59
	v_and_b32_e32 v36, 0x80000000, v36
	v_lshl_add_u32 v34, v34, 23, v55
	v_or3_b32 v59, v36, v34, v59
.LBB614_261:                            ;   in Loop: Header=BB614_215 Depth=1
	s_or_b64 exec, exec, s[18:19]
.LBB614_262:                            ;   in Loop: Header=BB614_215 Depth=1
	s_or_b64 exec, exec, s[16:17]
.LBB614_263:                            ;   in Loop: Header=BB614_215 Depth=1
	s_or_b64 exec, exec, s[14:15]
	v_cvt_pkrtz_f16_f32 v34, v35, v37
	v_cvt_pkrtz_f16_f32 v35, v44, v56
	;; [unrolled: 1-line block ×4, first 2 shown]
	v_mov_b32_e32 v44, 0
	v_mfma_f32_16x16x16f16 v[34:37], v[34:35], v[2:3], 0
	s_waitcnt vmcnt(1)
	v_cmp_ne_u16_sdwa s[16:17], v40, v54 src0_sel:BYTE_0 src1_sel:DWORD
	v_mov_b32_e32 v57, 0
	v_mfma_f32_16x16x16f16 v[34:37], v[60:61], v[4:5], v[34:37]
	s_and_saveexec_b64 s[14:15], s[16:17]
	s_cbranch_execz .LBB614_269
; %bb.264:                              ;   in Loop: Header=BB614_215 Depth=1
	v_cmp_ne_u16_sdwa s[18:19], v40, s9 src0_sel:BYTE_0 src1_sel:DWORD
	v_bfrev_b32_e32 v57, 1
	s_and_saveexec_b64 s[16:17], s[18:19]
	s_cbranch_execz .LBB614_268
; %bb.265:                              ;   in Loop: Header=BB614_215 Depth=1
	v_and_b32_e32 v42, 0x7f, v40
	v_cmp_ne_u32_e32 vcc, s21, v42
	v_mov_b32_e32 v57, 0x7f800001
	s_and_saveexec_b64 s[18:19], vcc
	s_cbranch_execz .LBB614_267
; %bb.266:                              ;   in Loop: Header=BB614_215 Depth=1
	v_and_b32_e32 v58, 7, v40
	v_ffbh_u32_e32 v56, v58
	v_min_u32_e32 v60, 32, v56
	v_subrev_u32_e32 v56, 28, v60
	v_lshlrev_b64 v[56:57], v56, v[40:41]
	v_lshrrev_b32_e32 v59, 3, v42
	v_sub_u32_e32 v57, 29, v60
	v_and_b32_e32 v56, 7, v56
	v_cmp_gt_u32_e32 vcc, 8, v42
	v_cndmask_b32_e32 v42, v59, v57, vcc
	v_cndmask_b32_e32 v56, v58, v56, vcc
	v_lshlrev_b32_e32 v57, 24, v40
	v_lshlrev_b32_e32 v56, 20, v56
	v_and_b32_e32 v57, 0x80000000, v57
	v_lshl_add_u32 v42, v42, 23, v55
	v_or3_b32 v57, v57, v42, v56
.LBB614_267:                            ;   in Loop: Header=BB614_215 Depth=1
	s_or_b64 exec, exec, s[18:19]
.LBB614_268:                            ;   in Loop: Header=BB614_215 Depth=1
	s_or_b64 exec, exec, s[16:17]
.LBB614_269:                            ;   in Loop: Header=BB614_215 Depth=1
	s_or_b64 exec, exec, s[14:15]
	v_lshrrev_b16_e32 v42, 8, v40
	v_cmp_ne_u16_e32 vcc, 0, v42
	v_mov_b32_e32 v58, 0
	s_and_saveexec_b64 s[14:15], vcc
	s_cbranch_execz .LBB614_275
; %bb.270:                              ;   in Loop: Header=BB614_215 Depth=1
	v_cmp_ne_u16_e32 vcc, s9, v42
	v_bfrev_b32_e32 v58, 1
	s_and_saveexec_b64 s[16:17], vcc
	s_cbranch_execz .LBB614_274
; %bb.271:                              ;   in Loop: Header=BB614_215 Depth=1
	v_and_b32_e32 v56, 0x7f, v42
	v_cmp_ne_u32_e32 vcc, s21, v56
	v_mov_b32_e32 v58, 0x7f800001
	s_and_saveexec_b64 s[18:19], vcc
	s_cbranch_execz .LBB614_273
; %bb.272:                              ;   in Loop: Header=BB614_215 Depth=1
	v_and_b32_e32 v60, 7, v42
	v_ffbh_u32_e32 v58, v60
	v_min_u32_e32 v62, 32, v58
	v_subrev_u32_e32 v58, 28, v62
	v_lshlrev_b64 v[58:59], v58, v[42:43]
	v_lshrrev_b32_e32 v61, 3, v56
	v_sub_u32_e32 v42, 29, v62
	v_and_b32_e32 v58, 7, v58
	v_cmp_gt_u32_e32 vcc, 8, v56
	v_cndmask_b32_e32 v42, v61, v42, vcc
	v_cndmask_b32_e32 v56, v60, v58, vcc
	v_lshlrev_b32_e32 v58, 16, v40
	v_lshlrev_b32_e32 v56, 20, v56
	v_and_b32_e32 v58, 0x80000000, v58
	v_lshl_add_u32 v42, v42, 23, v55
	v_or3_b32 v58, v58, v42, v56
.LBB614_273:                            ;   in Loop: Header=BB614_215 Depth=1
	s_or_b64 exec, exec, s[18:19]
.LBB614_274:                            ;   in Loop: Header=BB614_215 Depth=1
	s_or_b64 exec, exec, s[16:17]
.LBB614_275:                            ;   in Loop: Header=BB614_215 Depth=1
	s_or_b64 exec, exec, s[14:15]
	v_lshrrev_b32_e32 v42, 16, v40
	v_cmp_ne_u16_sdwa s[16:17], v42, v54 src0_sel:BYTE_0 src1_sel:DWORD
	s_and_saveexec_b64 s[14:15], s[16:17]
	s_cbranch_execz .LBB614_281
; %bb.276:                              ;   in Loop: Header=BB614_215 Depth=1
	v_cmp_ne_u16_sdwa s[18:19], v42, s9 src0_sel:BYTE_0 src1_sel:DWORD
	v_bfrev_b32_e32 v44, 1
	s_and_saveexec_b64 s[16:17], s[18:19]
	s_cbranch_execz .LBB614_280
; %bb.277:                              ;   in Loop: Header=BB614_215 Depth=1
	v_bfe_u32 v56, v40, 16, 7
	v_cmp_ne_u32_e32 vcc, s21, v56
	v_mov_b32_e32 v44, 0x7f800001
	s_and_saveexec_b64 s[18:19], vcc
	s_cbranch_execz .LBB614_279
; %bb.278:                              ;   in Loop: Header=BB614_215 Depth=1
	v_and_b32_e32 v44, 7, v42
	v_ffbh_u32_e32 v60, v44
	v_min_u32_e32 v62, 32, v60
	v_subrev_u32_e32 v60, 28, v62
	v_lshlrev_b64 v[60:61], v60, v[42:43]
	v_lshrrev_b32_e32 v59, 3, v56
	v_sub_u32_e32 v61, 29, v62
	v_and_b32_e32 v60, 7, v60
	v_cmp_gt_u32_e32 vcc, 8, v56
	v_cndmask_b32_e32 v56, v59, v61, vcc
	v_cndmask_b32_e32 v44, v44, v60, vcc
	v_lshlrev_b32_e32 v42, 24, v42
	v_lshlrev_b32_e32 v44, 20, v44
	v_and_b32_e32 v42, 0x80000000, v42
	v_lshl_add_u32 v56, v56, 23, v55
	v_or3_b32 v44, v42, v56, v44
.LBB614_279:                            ;   in Loop: Header=BB614_215 Depth=1
	s_or_b64 exec, exec, s[18:19]
.LBB614_280:                            ;   in Loop: Header=BB614_215 Depth=1
	s_or_b64 exec, exec, s[16:17]
.LBB614_281:                            ;   in Loop: Header=BB614_215 Depth=1
	s_or_b64 exec, exec, s[14:15]
	v_cmp_lt_u32_e32 vcc, s22, v40
	v_mov_b32_e32 v59, 0
	v_mov_b32_e32 v60, 0
	s_and_saveexec_b64 s[14:15], vcc
	s_cbranch_execz .LBB614_287
; %bb.282:                              ;   in Loop: Header=BB614_215 Depth=1
	v_lshrrev_b32_e32 v42, 24, v40
	v_cmp_ne_u32_e32 vcc, s9, v42
	v_bfrev_b32_e32 v60, 1
	s_and_saveexec_b64 s[16:17], vcc
	s_cbranch_execz .LBB614_286
; %bb.283:                              ;   in Loop: Header=BB614_215 Depth=1
	v_bfe_u32 v40, v40, 24, 7
	v_cmp_ne_u32_e32 vcc, s21, v40
	v_mov_b32_e32 v60, 0x7f800001
	s_and_saveexec_b64 s[18:19], vcc
	s_cbranch_execz .LBB614_285
; %bb.284:                              ;   in Loop: Header=BB614_215 Depth=1
	v_and_b32_e32 v56, 7, v42
	v_ffbh_u32_e32 v60, v56
	v_min_u32_e32 v63, 32, v60
	v_subrev_u32_e32 v60, 28, v63
	v_lshlrev_b64 v[60:61], v60, v[42:43]
	v_lshrrev_b32_e32 v62, 3, v40
	v_sub_u32_e32 v61, 29, v63
	v_and_b32_e32 v60, 7, v60
	v_cmp_gt_u32_e32 vcc, 8, v40
	v_cndmask_b32_e32 v40, v62, v61, vcc
	v_cndmask_b32_e32 v56, v56, v60, vcc
	v_lshlrev_b32_e32 v42, 24, v42
	v_lshlrev_b32_e32 v56, 20, v56
	v_and_b32_e32 v42, 0x80000000, v42
	v_lshl_add_u32 v40, v40, 23, v55
	v_or3_b32 v60, v42, v40, v56
.LBB614_285:                            ;   in Loop: Header=BB614_215 Depth=1
	s_or_b64 exec, exec, s[18:19]
.LBB614_286:                            ;   in Loop: Header=BB614_215 Depth=1
	s_or_b64 exec, exec, s[16:17]
.LBB614_287:                            ;   in Loop: Header=BB614_215 Depth=1
	s_or_b64 exec, exec, s[14:15]
	s_waitcnt vmcnt(0)
	v_cmp_ne_u16_sdwa s[16:17], v38, v54 src0_sel:BYTE_0 src1_sel:DWORD
	s_and_saveexec_b64 s[14:15], s[16:17]
	s_cbranch_execz .LBB614_293
; %bb.288:                              ;   in Loop: Header=BB614_215 Depth=1
	v_cmp_ne_u16_sdwa s[18:19], v38, s9 src0_sel:BYTE_0 src1_sel:DWORD
	v_bfrev_b32_e32 v59, 1
	s_and_saveexec_b64 s[16:17], s[18:19]
	s_cbranch_execz .LBB614_292
; %bb.289:                              ;   in Loop: Header=BB614_215 Depth=1
	v_and_b32_e32 v40, 0x7f, v38
	v_cmp_ne_u32_e32 vcc, s21, v40
	v_mov_b32_e32 v59, 0x7f800001
	s_and_saveexec_b64 s[18:19], vcc
	s_cbranch_execz .LBB614_291
; %bb.290:                              ;   in Loop: Header=BB614_215 Depth=1
	v_and_b32_e32 v42, 7, v38
	v_ffbh_u32_e32 v59, v42
	v_min_u32_e32 v59, 32, v59
	v_subrev_u32_e32 v61, 28, v59
	v_lshlrev_b64 v[62:63], v61, v[38:39]
	v_lshrrev_b32_e32 v56, 3, v40
	v_sub_u32_e32 v59, 29, v59
	v_and_b32_e32 v61, 7, v62
	v_cmp_gt_u32_e32 vcc, 8, v40
	v_cndmask_b32_e32 v40, v56, v59, vcc
	v_cndmask_b32_e32 v42, v42, v61, vcc
	v_lshlrev_b32_e32 v56, 24, v38
	v_lshlrev_b32_e32 v42, 20, v42
	v_and_b32_e32 v56, 0x80000000, v56
	v_lshl_add_u32 v40, v40, 23, v55
	v_or3_b32 v59, v56, v40, v42
.LBB614_291:                            ;   in Loop: Header=BB614_215 Depth=1
	s_or_b64 exec, exec, s[18:19]
.LBB614_292:                            ;   in Loop: Header=BB614_215 Depth=1
	s_or_b64 exec, exec, s[16:17]
.LBB614_293:                            ;   in Loop: Header=BB614_215 Depth=1
	s_or_b64 exec, exec, s[14:15]
	v_lshrrev_b16_e32 v40, 8, v38
	v_cmp_ne_u16_e32 vcc, 0, v40
	v_mov_b32_e32 v61, 0
	v_mov_b32_e32 v62, 0
	s_and_saveexec_b64 s[14:15], vcc
	s_cbranch_execz .LBB614_299
; %bb.294:                              ;   in Loop: Header=BB614_215 Depth=1
	v_cmp_ne_u16_e32 vcc, s9, v40
	v_bfrev_b32_e32 v62, 1
	s_and_saveexec_b64 s[16:17], vcc
	s_cbranch_execz .LBB614_298
; %bb.295:                              ;   in Loop: Header=BB614_215 Depth=1
	v_and_b32_e32 v42, 0x7f, v40
	v_cmp_ne_u32_e32 vcc, s21, v42
	v_mov_b32_e32 v62, 0x7f800001
	s_and_saveexec_b64 s[18:19], vcc
	s_cbranch_execz .LBB614_297
; %bb.296:                              ;   in Loop: Header=BB614_215 Depth=1
	v_and_b32_e32 v56, 7, v40
	v_ffbh_u32_e32 v62, v56
	v_min_u32_e32 v65, 32, v62
	v_subrev_u32_e32 v62, 28, v65
	v_lshlrev_b64 v[62:63], v62, v[40:41]
	v_lshrrev_b32_e32 v64, 3, v42
	v_sub_u32_e32 v40, 29, v65
	v_and_b32_e32 v62, 7, v62
	v_cmp_gt_u32_e32 vcc, 8, v42
	v_cndmask_b32_e32 v40, v64, v40, vcc
	v_cndmask_b32_e32 v42, v56, v62, vcc
	v_lshlrev_b32_e32 v56, 16, v38
	v_lshlrev_b32_e32 v42, 20, v42
	v_and_b32_e32 v56, 0x80000000, v56
	v_lshl_add_u32 v40, v40, 23, v55
	v_or3_b32 v62, v56, v40, v42
.LBB614_297:                            ;   in Loop: Header=BB614_215 Depth=1
	s_or_b64 exec, exec, s[18:19]
.LBB614_298:                            ;   in Loop: Header=BB614_215 Depth=1
	s_or_b64 exec, exec, s[16:17]
.LBB614_299:                            ;   in Loop: Header=BB614_215 Depth=1
	s_or_b64 exec, exec, s[14:15]
	v_lshrrev_b32_e32 v40, 16, v38
	v_cmp_ne_u16_sdwa s[16:17], v40, v54 src0_sel:BYTE_0 src1_sel:DWORD
	s_and_saveexec_b64 s[14:15], s[16:17]
	s_cbranch_execz .LBB614_305
; %bb.300:                              ;   in Loop: Header=BB614_215 Depth=1
	v_cmp_ne_u16_sdwa s[18:19], v40, s9 src0_sel:BYTE_0 src1_sel:DWORD
	v_bfrev_b32_e32 v61, 1
	s_and_saveexec_b64 s[16:17], s[18:19]
	s_cbranch_execz .LBB614_304
; %bb.301:                              ;   in Loop: Header=BB614_215 Depth=1
	v_bfe_u32 v42, v38, 16, 7
	v_cmp_ne_u32_e32 vcc, s21, v42
	v_mov_b32_e32 v61, 0x7f800001
	s_and_saveexec_b64 s[18:19], vcc
	s_cbranch_execz .LBB614_303
; %bb.302:                              ;   in Loop: Header=BB614_215 Depth=1
	v_and_b32_e32 v56, 7, v40
	v_ffbh_u32_e32 v63, v56
	v_min_u32_e32 v63, 32, v63
	v_subrev_u32_e32 v64, 28, v63
	v_lshlrev_b64 v[64:65], v64, v[40:41]
	v_lshrrev_b32_e32 v61, 3, v42
	v_sub_u32_e32 v63, 29, v63
	v_and_b32_e32 v64, 7, v64
	v_cmp_gt_u32_e32 vcc, 8, v42
	v_cndmask_b32_e32 v42, v61, v63, vcc
	v_cndmask_b32_e32 v56, v56, v64, vcc
	v_lshlrev_b32_e32 v40, 24, v40
	v_lshlrev_b32_e32 v56, 20, v56
	v_and_b32_e32 v40, 0x80000000, v40
	v_lshl_add_u32 v42, v42, 23, v55
	v_or3_b32 v61, v40, v42, v56
.LBB614_303:                            ;   in Loop: Header=BB614_215 Depth=1
	s_or_b64 exec, exec, s[18:19]
.LBB614_304:                            ;   in Loop: Header=BB614_215 Depth=1
	s_or_b64 exec, exec, s[16:17]
.LBB614_305:                            ;   in Loop: Header=BB614_215 Depth=1
	s_or_b64 exec, exec, s[14:15]
	v_cmp_lt_u32_e32 vcc, s22, v38
	v_mov_b32_e32 v56, 0
	v_mov_b32_e32 v63, 0
	s_and_saveexec_b64 s[14:15], vcc
	s_cbranch_execz .LBB614_311
; %bb.306:                              ;   in Loop: Header=BB614_215 Depth=1
	v_lshrrev_b32_e32 v40, 24, v38
	v_cmp_ne_u32_e32 vcc, s9, v40
	v_bfrev_b32_e32 v63, 1
	s_and_saveexec_b64 s[16:17], vcc
	s_cbranch_execz .LBB614_310
; %bb.307:                              ;   in Loop: Header=BB614_215 Depth=1
	v_bfe_u32 v38, v38, 24, 7
	v_cmp_ne_u32_e32 vcc, s21, v38
	v_mov_b32_e32 v63, 0x7f800001
	s_and_saveexec_b64 s[18:19], vcc
	s_cbranch_execz .LBB614_309
; %bb.308:                              ;   in Loop: Header=BB614_215 Depth=1
	v_and_b32_e32 v42, 7, v40
	v_ffbh_u32_e32 v64, v42
	v_min_u32_e32 v66, 32, v64
	v_subrev_u32_e32 v64, 28, v66
	v_lshlrev_b64 v[64:65], v64, v[40:41]
	v_lshrrev_b32_e32 v63, 3, v38
	v_sub_u32_e32 v65, 29, v66
	v_and_b32_e32 v64, 7, v64
	v_cmp_gt_u32_e32 vcc, 8, v38
	v_cndmask_b32_e32 v38, v63, v65, vcc
	v_cndmask_b32_e32 v42, v42, v64, vcc
	v_lshlrev_b32_e32 v40, 24, v40
	v_lshlrev_b32_e32 v42, 20, v42
	v_and_b32_e32 v40, 0x80000000, v40
	v_lshl_add_u32 v38, v38, 23, v55
	v_or3_b32 v63, v40, v38, v42
.LBB614_309:                            ;   in Loop: Header=BB614_215 Depth=1
	s_or_b64 exec, exec, s[18:19]
.LBB614_310:                            ;   in Loop: Header=BB614_215 Depth=1
	s_or_b64 exec, exec, s[16:17]
.LBB614_311:                            ;   in Loop: Header=BB614_215 Depth=1
	s_or_b64 exec, exec, s[14:15]
	v_cvt_pkrtz_f16_f32 v65, v44, v60
	buffer_load_dword v44, v46, s[0:3], 0 offen
	buffer_load_dword v42, v46, s[0:3], 0 offen offset:4
	buffer_load_dword v40, v46, s[0:3], 0 offen offset:8
	buffer_load_dword v38, v46, s[0:3], 0 offen offset:12
	v_cvt_pkrtz_f16_f32 v64, v57, v58
	v_cvt_pkrtz_f16_f32 v58, v59, v62
	;; [unrolled: 1-line block ×3, first 2 shown]
	v_mfma_f32_16x16x16f16 v[34:37], v[64:65], v[6:7], v[34:37]
	s_waitcnt vmcnt(3)
	v_cmp_ne_u16_sdwa s[16:17], v44, v54 src0_sel:BYTE_0 src1_sel:DWORD
	v_mfma_f32_16x16x16f16 v[34:37], v[58:59], v[8:9], v[34:37]
	s_and_saveexec_b64 s[14:15], s[16:17]
	s_cbranch_execz .LBB614_317
; %bb.312:                              ;   in Loop: Header=BB614_215 Depth=1
	v_cmp_ne_u16_sdwa s[18:19], v44, s9 src0_sel:BYTE_0 src1_sel:DWORD
	v_bfrev_b32_e32 v56, 1
	s_and_saveexec_b64 s[16:17], s[18:19]
	s_cbranch_execz .LBB614_316
; %bb.313:                              ;   in Loop: Header=BB614_215 Depth=1
	v_and_b32_e32 v46, 0x7f, v44
	v_cmp_ne_u32_e32 vcc, s21, v46
	v_mov_b32_e32 v56, 0x7f800001
	s_and_saveexec_b64 s[18:19], vcc
	s_cbranch_execz .LBB614_315
; %bb.314:                              ;   in Loop: Header=BB614_215 Depth=1
	v_and_b32_e32 v58, 7, v44
	v_ffbh_u32_e32 v56, v58
	v_min_u32_e32 v60, 32, v56
	v_subrev_u32_e32 v56, 28, v60
	v_lshlrev_b64 v[56:57], v56, v[44:45]
	v_lshrrev_b32_e32 v59, 3, v46
	v_sub_u32_e32 v57, 29, v60
	v_and_b32_e32 v56, 7, v56
	v_cmp_gt_u32_e32 vcc, 8, v46
	v_cndmask_b32_e32 v46, v59, v57, vcc
	v_cndmask_b32_e32 v56, v58, v56, vcc
	v_lshlrev_b32_e32 v57, 24, v44
	v_lshlrev_b32_e32 v56, 20, v56
	v_and_b32_e32 v57, 0x80000000, v57
	v_lshl_add_u32 v46, v46, 23, v55
	v_or3_b32 v56, v57, v46, v56
.LBB614_315:                            ;   in Loop: Header=BB614_215 Depth=1
	s_or_b64 exec, exec, s[18:19]
.LBB614_316:                            ;   in Loop: Header=BB614_215 Depth=1
	s_or_b64 exec, exec, s[16:17]
.LBB614_317:                            ;   in Loop: Header=BB614_215 Depth=1
	s_or_b64 exec, exec, s[14:15]
	v_lshrrev_b16_e32 v46, 8, v44
	v_cmp_ne_u16_e32 vcc, 0, v46
	v_mov_b32_e32 v57, 0
	v_mov_b32_e32 v58, 0
	s_and_saveexec_b64 s[14:15], vcc
	s_cbranch_execz .LBB614_323
; %bb.318:                              ;   in Loop: Header=BB614_215 Depth=1
	v_cmp_ne_u16_e32 vcc, s9, v46
	v_bfrev_b32_e32 v58, 1
	s_and_saveexec_b64 s[16:17], vcc
	s_cbranch_execz .LBB614_322
; %bb.319:                              ;   in Loop: Header=BB614_215 Depth=1
	v_and_b32_e32 v59, 0x7f, v46
	v_cmp_ne_u32_e32 vcc, s21, v59
	v_mov_b32_e32 v58, 0x7f800001
	s_and_saveexec_b64 s[18:19], vcc
	s_cbranch_execz .LBB614_321
; %bb.320:                              ;   in Loop: Header=BB614_215 Depth=1
	v_and_b32_e32 v58, 7, v46
	v_ffbh_u32_e32 v60, v58
	v_min_u32_e32 v63, 32, v60
	v_subrev_u32_e32 v60, 28, v63
	v_lshlrev_b64 v[60:61], v60, v[46:47]
	v_lshrrev_b32_e32 v62, 3, v59
	v_sub_u32_e32 v46, 29, v63
	v_and_b32_e32 v60, 7, v60
	v_cmp_gt_u32_e32 vcc, 8, v59
	v_cndmask_b32_e32 v46, v62, v46, vcc
	v_cndmask_b32_e32 v58, v58, v60, vcc
	v_lshlrev_b32_e32 v59, 16, v44
	v_lshlrev_b32_e32 v58, 20, v58
	v_and_b32_e32 v59, 0x80000000, v59
	v_lshl_add_u32 v46, v46, 23, v55
	v_or3_b32 v58, v59, v46, v58
.LBB614_321:                            ;   in Loop: Header=BB614_215 Depth=1
	s_or_b64 exec, exec, s[18:19]
.LBB614_322:                            ;   in Loop: Header=BB614_215 Depth=1
	s_or_b64 exec, exec, s[16:17]
.LBB614_323:                            ;   in Loop: Header=BB614_215 Depth=1
	s_or_b64 exec, exec, s[14:15]
	v_lshrrev_b32_e32 v46, 16, v44
	v_cmp_ne_u16_sdwa s[16:17], v46, v54 src0_sel:BYTE_0 src1_sel:DWORD
	s_and_saveexec_b64 s[14:15], s[16:17]
	s_cbranch_execz .LBB614_329
; %bb.324:                              ;   in Loop: Header=BB614_215 Depth=1
	v_cmp_ne_u16_sdwa s[18:19], v46, s9 src0_sel:BYTE_0 src1_sel:DWORD
	v_bfrev_b32_e32 v57, 1
	s_and_saveexec_b64 s[16:17], s[18:19]
	s_cbranch_execz .LBB614_328
; %bb.325:                              ;   in Loop: Header=BB614_215 Depth=1
	v_bfe_u32 v59, v44, 16, 7
	v_cmp_ne_u32_e32 vcc, s21, v59
	v_mov_b32_e32 v57, 0x7f800001
	s_and_saveexec_b64 s[18:19], vcc
	s_cbranch_execz .LBB614_327
; %bb.326:                              ;   in Loop: Header=BB614_215 Depth=1
	v_and_b32_e32 v57, 7, v46
	v_ffbh_u32_e32 v60, v57
	v_min_u32_e32 v63, 32, v60
	v_subrev_u32_e32 v60, 28, v63
	v_lshlrev_b64 v[60:61], v60, v[46:47]
	v_lshrrev_b32_e32 v62, 3, v59
	v_sub_u32_e32 v61, 29, v63
	v_and_b32_e32 v60, 7, v60
	v_cmp_gt_u32_e32 vcc, 8, v59
	v_cndmask_b32_e32 v59, v62, v61, vcc
	v_cndmask_b32_e32 v57, v57, v60, vcc
	v_lshlrev_b32_e32 v46, 24, v46
	v_lshlrev_b32_e32 v57, 20, v57
	v_and_b32_e32 v46, 0x80000000, v46
	v_lshl_add_u32 v59, v59, 23, v55
	v_or3_b32 v57, v46, v59, v57
.LBB614_327:                            ;   in Loop: Header=BB614_215 Depth=1
	s_or_b64 exec, exec, s[18:19]
.LBB614_328:                            ;   in Loop: Header=BB614_215 Depth=1
	s_or_b64 exec, exec, s[16:17]
.LBB614_329:                            ;   in Loop: Header=BB614_215 Depth=1
	s_or_b64 exec, exec, s[14:15]
	v_cmp_lt_u32_e32 vcc, s22, v44
	v_mov_b32_e32 v59, 0
	v_mov_b32_e32 v60, 0
	s_and_saveexec_b64 s[14:15], vcc
	s_cbranch_execz .LBB614_335
; %bb.330:                              ;   in Loop: Header=BB614_215 Depth=1
	v_lshrrev_b32_e32 v46, 24, v44
	v_cmp_ne_u32_e32 vcc, s9, v46
	v_bfrev_b32_e32 v60, 1
	s_and_saveexec_b64 s[16:17], vcc
	s_cbranch_execz .LBB614_334
; %bb.331:                              ;   in Loop: Header=BB614_215 Depth=1
	v_bfe_u32 v44, v44, 24, 7
	v_cmp_ne_u32_e32 vcc, s21, v44
	v_mov_b32_e32 v60, 0x7f800001
	s_and_saveexec_b64 s[18:19], vcc
	s_cbranch_execz .LBB614_333
; %bb.332:                              ;   in Loop: Header=BB614_215 Depth=1
	v_and_b32_e32 v62, 7, v46
	v_ffbh_u32_e32 v60, v62
	v_min_u32_e32 v64, 32, v60
	v_subrev_u32_e32 v60, 28, v64
	v_lshlrev_b64 v[60:61], v60, v[46:47]
	v_lshrrev_b32_e32 v63, 3, v44
	v_sub_u32_e32 v61, 29, v64
	v_and_b32_e32 v60, 7, v60
	v_cmp_gt_u32_e32 vcc, 8, v44
	v_cndmask_b32_e32 v44, v63, v61, vcc
	v_cndmask_b32_e32 v60, v62, v60, vcc
	v_lshlrev_b32_e32 v46, 24, v46
	v_lshlrev_b32_e32 v60, 20, v60
	v_and_b32_e32 v46, 0x80000000, v46
	v_lshl_add_u32 v44, v44, 23, v55
	v_or3_b32 v60, v46, v44, v60
.LBB614_333:                            ;   in Loop: Header=BB614_215 Depth=1
	s_or_b64 exec, exec, s[18:19]
.LBB614_334:                            ;   in Loop: Header=BB614_215 Depth=1
	s_or_b64 exec, exec, s[16:17]
.LBB614_335:                            ;   in Loop: Header=BB614_215 Depth=1
	s_or_b64 exec, exec, s[14:15]
	s_waitcnt vmcnt(2)
	v_cmp_ne_u16_sdwa s[16:17], v42, v54 src0_sel:BYTE_0 src1_sel:DWORD
	s_and_saveexec_b64 s[14:15], s[16:17]
	s_cbranch_execz .LBB614_341
; %bb.336:                              ;   in Loop: Header=BB614_215 Depth=1
	v_cmp_ne_u16_sdwa s[18:19], v42, s9 src0_sel:BYTE_0 src1_sel:DWORD
	v_bfrev_b32_e32 v59, 1
	s_and_saveexec_b64 s[16:17], s[18:19]
	s_cbranch_execz .LBB614_340
; %bb.337:                              ;   in Loop: Header=BB614_215 Depth=1
	v_and_b32_e32 v44, 0x7f, v42
	v_cmp_ne_u32_e32 vcc, s21, v44
	v_mov_b32_e32 v59, 0x7f800001
	s_and_saveexec_b64 s[18:19], vcc
	s_cbranch_execz .LBB614_339
; %bb.338:                              ;   in Loop: Header=BB614_215 Depth=1
	v_and_b32_e32 v46, 7, v42
	v_ffbh_u32_e32 v61, v46
	v_min_u32_e32 v61, 32, v61
	v_subrev_u32_e32 v62, 28, v61
	v_lshlrev_b64 v[62:63], v62, v[42:43]
	v_lshrrev_b32_e32 v59, 3, v44
	v_sub_u32_e32 v61, 29, v61
	v_and_b32_e32 v62, 7, v62
	v_cmp_gt_u32_e32 vcc, 8, v44
	v_cndmask_b32_e32 v44, v59, v61, vcc
	v_cndmask_b32_e32 v46, v46, v62, vcc
	v_lshlrev_b32_e32 v59, 24, v42
	v_lshlrev_b32_e32 v46, 20, v46
	v_and_b32_e32 v59, 0x80000000, v59
	v_lshl_add_u32 v44, v44, 23, v55
	v_or3_b32 v59, v59, v44, v46
.LBB614_339:                            ;   in Loop: Header=BB614_215 Depth=1
	s_or_b64 exec, exec, s[18:19]
.LBB614_340:                            ;   in Loop: Header=BB614_215 Depth=1
	s_or_b64 exec, exec, s[16:17]
.LBB614_341:                            ;   in Loop: Header=BB614_215 Depth=1
	s_or_b64 exec, exec, s[14:15]
	v_lshrrev_b16_e32 v44, 8, v42
	v_cmp_ne_u16_e32 vcc, 0, v44
	v_mov_b32_e32 v61, 0
	v_mov_b32_e32 v62, 0
	s_and_saveexec_b64 s[14:15], vcc
	s_cbranch_execz .LBB614_347
; %bb.342:                              ;   in Loop: Header=BB614_215 Depth=1
	v_cmp_ne_u16_e32 vcc, s9, v44
	v_bfrev_b32_e32 v62, 1
	s_and_saveexec_b64 s[16:17], vcc
	s_cbranch_execz .LBB614_346
; %bb.343:                              ;   in Loop: Header=BB614_215 Depth=1
	v_and_b32_e32 v46, 0x7f, v44
	v_cmp_ne_u32_e32 vcc, s21, v46
	v_mov_b32_e32 v62, 0x7f800001
	s_and_saveexec_b64 s[18:19], vcc
	s_cbranch_execz .LBB614_345
; %bb.344:                              ;   in Loop: Header=BB614_215 Depth=1
	v_and_b32_e32 v64, 7, v44
	v_ffbh_u32_e32 v62, v64
	v_min_u32_e32 v66, 32, v62
	v_subrev_u32_e32 v62, 28, v66
	v_lshlrev_b64 v[62:63], v62, v[44:45]
	v_lshrrev_b32_e32 v65, 3, v46
	v_sub_u32_e32 v44, 29, v66
	v_and_b32_e32 v62, 7, v62
	v_cmp_gt_u32_e32 vcc, 8, v46
	v_cndmask_b32_e32 v44, v65, v44, vcc
	v_cndmask_b32_e32 v46, v64, v62, vcc
	v_lshlrev_b32_e32 v62, 16, v42
	v_lshlrev_b32_e32 v46, 20, v46
	v_and_b32_e32 v62, 0x80000000, v62
	v_lshl_add_u32 v44, v44, 23, v55
	v_or3_b32 v62, v62, v44, v46
.LBB614_345:                            ;   in Loop: Header=BB614_215 Depth=1
	s_or_b64 exec, exec, s[18:19]
.LBB614_346:                            ;   in Loop: Header=BB614_215 Depth=1
	s_or_b64 exec, exec, s[16:17]
.LBB614_347:                            ;   in Loop: Header=BB614_215 Depth=1
	s_or_b64 exec, exec, s[14:15]
	v_lshrrev_b32_e32 v44, 16, v42
	v_cmp_ne_u16_sdwa s[16:17], v44, v54 src0_sel:BYTE_0 src1_sel:DWORD
	s_and_saveexec_b64 s[14:15], s[16:17]
	s_cbranch_execz .LBB614_353
; %bb.348:                              ;   in Loop: Header=BB614_215 Depth=1
	v_cmp_ne_u16_sdwa s[18:19], v44, s9 src0_sel:BYTE_0 src1_sel:DWORD
	v_bfrev_b32_e32 v61, 1
	s_and_saveexec_b64 s[16:17], s[18:19]
	s_cbranch_execz .LBB614_352
; %bb.349:                              ;   in Loop: Header=BB614_215 Depth=1
	v_bfe_u32 v46, v42, 16, 7
	v_cmp_ne_u32_e32 vcc, s21, v46
	v_mov_b32_e32 v61, 0x7f800001
	s_and_saveexec_b64 s[18:19], vcc
	s_cbranch_execz .LBB614_351
; %bb.350:                              ;   in Loop: Header=BB614_215 Depth=1
	v_and_b32_e32 v61, 7, v44
	v_ffbh_u32_e32 v64, v61
	v_min_u32_e32 v66, 32, v64
	v_subrev_u32_e32 v64, 28, v66
	v_lshlrev_b64 v[64:65], v64, v[44:45]
	v_lshrrev_b32_e32 v63, 3, v46
	v_sub_u32_e32 v65, 29, v66
	v_and_b32_e32 v64, 7, v64
	v_cmp_gt_u32_e32 vcc, 8, v46
	v_cndmask_b32_e32 v46, v63, v65, vcc
	v_cndmask_b32_e32 v61, v61, v64, vcc
	v_lshlrev_b32_e32 v44, 24, v44
	v_lshlrev_b32_e32 v61, 20, v61
	v_and_b32_e32 v44, 0x80000000, v44
	v_lshl_add_u32 v46, v46, 23, v55
	v_or3_b32 v61, v44, v46, v61
.LBB614_351:                            ;   in Loop: Header=BB614_215 Depth=1
	s_or_b64 exec, exec, s[18:19]
.LBB614_352:                            ;   in Loop: Header=BB614_215 Depth=1
	s_or_b64 exec, exec, s[16:17]
.LBB614_353:                            ;   in Loop: Header=BB614_215 Depth=1
	s_or_b64 exec, exec, s[14:15]
	v_cmp_lt_u32_e32 vcc, s22, v42
	v_mov_b32_e32 v46, 0
	v_mov_b32_e32 v63, 0
	s_and_saveexec_b64 s[14:15], vcc
	s_cbranch_execz .LBB614_359
; %bb.354:                              ;   in Loop: Header=BB614_215 Depth=1
	v_lshrrev_b32_e32 v44, 24, v42
	v_cmp_ne_u32_e32 vcc, s9, v44
	v_bfrev_b32_e32 v63, 1
	s_and_saveexec_b64 s[16:17], vcc
	s_cbranch_execz .LBB614_358
; %bb.355:                              ;   in Loop: Header=BB614_215 Depth=1
	v_bfe_u32 v42, v42, 24, 7
	v_cmp_ne_u32_e32 vcc, s21, v42
	v_mov_b32_e32 v63, 0x7f800001
	s_and_saveexec_b64 s[18:19], vcc
	s_cbranch_execz .LBB614_357
; %bb.356:                              ;   in Loop: Header=BB614_215 Depth=1
	v_and_b32_e32 v63, 7, v44
	v_ffbh_u32_e32 v64, v63
	v_min_u32_e32 v67, 32, v64
	v_subrev_u32_e32 v64, 28, v67
	v_lshlrev_b64 v[64:65], v64, v[44:45]
	v_lshrrev_b32_e32 v66, 3, v42
	v_sub_u32_e32 v65, 29, v67
	v_and_b32_e32 v64, 7, v64
	v_cmp_gt_u32_e32 vcc, 8, v42
	v_cndmask_b32_e32 v42, v66, v65, vcc
	v_cndmask_b32_e32 v63, v63, v64, vcc
	v_lshlrev_b32_e32 v44, 24, v44
	v_lshlrev_b32_e32 v63, 20, v63
	v_and_b32_e32 v44, 0x80000000, v44
	v_lshl_add_u32 v42, v42, 23, v55
	v_or3_b32 v63, v44, v42, v63
.LBB614_357:                            ;   in Loop: Header=BB614_215 Depth=1
	s_or_b64 exec, exec, s[18:19]
.LBB614_358:                            ;   in Loop: Header=BB614_215 Depth=1
	s_or_b64 exec, exec, s[16:17]
.LBB614_359:                            ;   in Loop: Header=BB614_215 Depth=1
	s_or_b64 exec, exec, s[14:15]
	v_cvt_pkrtz_f16_f32 v56, v56, v58
	v_cvt_pkrtz_f16_f32 v57, v57, v60
	s_waitcnt vmcnt(1)
	v_cmp_ne_u16_sdwa s[16:17], v40, v54 src0_sel:BYTE_0 src1_sel:DWORD
	v_mfma_f32_16x16x16f16 v[34:37], v[56:57], v[10:11], v[34:37]
	v_cvt_pkrtz_f16_f32 v56, v59, v62
	v_cvt_pkrtz_f16_f32 v57, v61, v63
	s_nop 1
	v_mfma_f32_16x16x16f16 v[34:37], v[56:57], v[12:13], v[34:37]
	s_and_saveexec_b64 s[14:15], s[16:17]
	s_cbranch_execz .LBB614_365
; %bb.360:                              ;   in Loop: Header=BB614_215 Depth=1
	v_cmp_ne_u16_sdwa s[18:19], v40, s9 src0_sel:BYTE_0 src1_sel:DWORD
	v_bfrev_b32_e32 v46, 1
	s_and_saveexec_b64 s[16:17], s[18:19]
	s_cbranch_execz .LBB614_364
; %bb.361:                              ;   in Loop: Header=BB614_215 Depth=1
	v_and_b32_e32 v42, 0x7f, v40
	v_cmp_ne_u32_e32 vcc, s21, v42
	v_mov_b32_e32 v46, 0x7f800001
	s_and_saveexec_b64 s[18:19], vcc
	s_cbranch_execz .LBB614_363
; %bb.362:                              ;   in Loop: Header=BB614_215 Depth=1
	v_and_b32_e32 v44, 7, v40
	v_ffbh_u32_e32 v56, v44
	v_min_u32_e32 v58, 32, v56
	v_subrev_u32_e32 v56, 28, v58
	v_lshlrev_b64 v[56:57], v56, v[40:41]
	v_lshrrev_b32_e32 v46, 3, v42
	v_sub_u32_e32 v57, 29, v58
	v_and_b32_e32 v56, 7, v56
	v_cmp_gt_u32_e32 vcc, 8, v42
	v_cndmask_b32_e32 v42, v46, v57, vcc
	v_cndmask_b32_e32 v44, v44, v56, vcc
	v_lshlrev_b32_e32 v46, 24, v40
	v_lshlrev_b32_e32 v44, 20, v44
	v_and_b32_e32 v46, 0x80000000, v46
	v_lshl_add_u32 v42, v42, 23, v55
	v_or3_b32 v46, v46, v42, v44
.LBB614_363:                            ;   in Loop: Header=BB614_215 Depth=1
	s_or_b64 exec, exec, s[18:19]
.LBB614_364:                            ;   in Loop: Header=BB614_215 Depth=1
	s_or_b64 exec, exec, s[16:17]
.LBB614_365:                            ;   in Loop: Header=BB614_215 Depth=1
	s_or_b64 exec, exec, s[14:15]
	v_lshrrev_b16_e32 v42, 8, v40
	v_cmp_ne_u16_e32 vcc, 0, v42
	v_mov_b32_e32 v44, 0
	v_mov_b32_e32 v57, 0
	s_and_saveexec_b64 s[14:15], vcc
	s_cbranch_execz .LBB614_371
; %bb.366:                              ;   in Loop: Header=BB614_215 Depth=1
	v_cmp_ne_u16_e32 vcc, s9, v42
	v_bfrev_b32_e32 v57, 1
	s_and_saveexec_b64 s[16:17], vcc
	s_cbranch_execz .LBB614_370
; %bb.367:                              ;   in Loop: Header=BB614_215 Depth=1
	v_and_b32_e32 v56, 0x7f, v42
	v_cmp_ne_u32_e32 vcc, s21, v56
	v_mov_b32_e32 v57, 0x7f800001
	s_and_saveexec_b64 s[18:19], vcc
	s_cbranch_execz .LBB614_369
; %bb.368:                              ;   in Loop: Header=BB614_215 Depth=1
	v_and_b32_e32 v57, 7, v42
	v_ffbh_u32_e32 v58, v57
	v_min_u32_e32 v61, 32, v58
	v_subrev_u32_e32 v58, 28, v61
	v_lshlrev_b64 v[58:59], v58, v[42:43]
	v_lshrrev_b32_e32 v60, 3, v56
	v_sub_u32_e32 v42, 29, v61
	v_and_b32_e32 v58, 7, v58
	v_cmp_gt_u32_e32 vcc, 8, v56
	v_cndmask_b32_e32 v42, v60, v42, vcc
	v_cndmask_b32_e32 v56, v57, v58, vcc
	v_lshlrev_b32_e32 v57, 16, v40
	v_lshlrev_b32_e32 v56, 20, v56
	v_and_b32_e32 v57, 0x80000000, v57
	v_lshl_add_u32 v42, v42, 23, v55
	v_or3_b32 v57, v57, v42, v56
.LBB614_369:                            ;   in Loop: Header=BB614_215 Depth=1
	s_or_b64 exec, exec, s[18:19]
.LBB614_370:                            ;   in Loop: Header=BB614_215 Depth=1
	s_or_b64 exec, exec, s[16:17]
.LBB614_371:                            ;   in Loop: Header=BB614_215 Depth=1
	s_or_b64 exec, exec, s[14:15]
	v_lshrrev_b32_e32 v42, 16, v40
	v_cmp_ne_u16_sdwa s[16:17], v42, v54 src0_sel:BYTE_0 src1_sel:DWORD
	s_and_saveexec_b64 s[14:15], s[16:17]
	s_cbranch_execz .LBB614_377
; %bb.372:                              ;   in Loop: Header=BB614_215 Depth=1
	v_cmp_ne_u16_sdwa s[18:19], v42, s9 src0_sel:BYTE_0 src1_sel:DWORD
	v_bfrev_b32_e32 v44, 1
	s_and_saveexec_b64 s[16:17], s[18:19]
	s_cbranch_execz .LBB614_376
; %bb.373:                              ;   in Loop: Header=BB614_215 Depth=1
	v_bfe_u32 v56, v40, 16, 7
	v_cmp_ne_u32_e32 vcc, s21, v56
	v_mov_b32_e32 v44, 0x7f800001
	s_and_saveexec_b64 s[18:19], vcc
	s_cbranch_execz .LBB614_375
; %bb.374:                              ;   in Loop: Header=BB614_215 Depth=1
	v_and_b32_e32 v44, 7, v42
	v_ffbh_u32_e32 v58, v44
	v_min_u32_e32 v61, 32, v58
	v_subrev_u32_e32 v58, 28, v61
	v_lshlrev_b64 v[58:59], v58, v[42:43]
	v_lshrrev_b32_e32 v60, 3, v56
	v_sub_u32_e32 v59, 29, v61
	v_and_b32_e32 v58, 7, v58
	v_cmp_gt_u32_e32 vcc, 8, v56
	v_cndmask_b32_e32 v56, v60, v59, vcc
	v_cndmask_b32_e32 v44, v44, v58, vcc
	v_lshlrev_b32_e32 v42, 24, v42
	v_lshlrev_b32_e32 v44, 20, v44
	v_and_b32_e32 v42, 0x80000000, v42
	v_lshl_add_u32 v56, v56, 23, v55
	v_or3_b32 v44, v42, v56, v44
.LBB614_375:                            ;   in Loop: Header=BB614_215 Depth=1
	s_or_b64 exec, exec, s[18:19]
.LBB614_376:                            ;   in Loop: Header=BB614_215 Depth=1
	s_or_b64 exec, exec, s[16:17]
.LBB614_377:                            ;   in Loop: Header=BB614_215 Depth=1
	s_or_b64 exec, exec, s[14:15]
	v_cmp_lt_u32_e32 vcc, s22, v40
	v_mov_b32_e32 v58, 0
	v_mov_b32_e32 v59, 0
	s_and_saveexec_b64 s[14:15], vcc
	s_cbranch_execz .LBB614_383
; %bb.378:                              ;   in Loop: Header=BB614_215 Depth=1
	v_lshrrev_b32_e32 v42, 24, v40
	v_cmp_ne_u32_e32 vcc, s9, v42
	v_bfrev_b32_e32 v59, 1
	s_and_saveexec_b64 s[16:17], vcc
	s_cbranch_execz .LBB614_382
; %bb.379:                              ;   in Loop: Header=BB614_215 Depth=1
	v_bfe_u32 v40, v40, 24, 7
	v_cmp_ne_u32_e32 vcc, s21, v40
	v_mov_b32_e32 v59, 0x7f800001
	s_and_saveexec_b64 s[18:19], vcc
	s_cbranch_execz .LBB614_381
; %bb.380:                              ;   in Loop: Header=BB614_215 Depth=1
	v_and_b32_e32 v56, 7, v42
	v_ffbh_u32_e32 v60, v56
	v_min_u32_e32 v62, 32, v60
	v_subrev_u32_e32 v60, 28, v62
	v_lshlrev_b64 v[60:61], v60, v[42:43]
	v_lshrrev_b32_e32 v59, 3, v40
	v_sub_u32_e32 v61, 29, v62
	v_and_b32_e32 v60, 7, v60
	v_cmp_gt_u32_e32 vcc, 8, v40
	v_cndmask_b32_e32 v40, v59, v61, vcc
	v_cndmask_b32_e32 v56, v56, v60, vcc
	v_lshlrev_b32_e32 v42, 24, v42
	v_lshlrev_b32_e32 v56, 20, v56
	v_and_b32_e32 v42, 0x80000000, v42
	v_lshl_add_u32 v40, v40, 23, v55
	v_or3_b32 v59, v42, v40, v56
.LBB614_381:                            ;   in Loop: Header=BB614_215 Depth=1
	s_or_b64 exec, exec, s[18:19]
.LBB614_382:                            ;   in Loop: Header=BB614_215 Depth=1
	s_or_b64 exec, exec, s[16:17]
.LBB614_383:                            ;   in Loop: Header=BB614_215 Depth=1
	s_or_b64 exec, exec, s[14:15]
	s_waitcnt vmcnt(0)
	v_cmp_ne_u16_sdwa s[16:17], v38, v54 src0_sel:BYTE_0 src1_sel:DWORD
	s_and_saveexec_b64 s[14:15], s[16:17]
	s_cbranch_execz .LBB614_389
; %bb.384:                              ;   in Loop: Header=BB614_215 Depth=1
	v_cmp_ne_u16_sdwa s[18:19], v38, s9 src0_sel:BYTE_0 src1_sel:DWORD
	v_bfrev_b32_e32 v58, 1
	s_and_saveexec_b64 s[16:17], s[18:19]
	s_cbranch_execz .LBB614_388
; %bb.385:                              ;   in Loop: Header=BB614_215 Depth=1
	v_and_b32_e32 v40, 0x7f, v38
	v_cmp_ne_u32_e32 vcc, s21, v40
	v_mov_b32_e32 v58, 0x7f800001
	s_and_saveexec_b64 s[18:19], vcc
	s_cbranch_execz .LBB614_387
; %bb.386:                              ;   in Loop: Header=BB614_215 Depth=1
	v_and_b32_e32 v42, 7, v38
	v_ffbh_u32_e32 v58, v42
	v_min_u32_e32 v58, 32, v58
	v_subrev_u32_e32 v60, 28, v58
	v_lshlrev_b64 v[60:61], v60, v[38:39]
	v_lshrrev_b32_e32 v56, 3, v40
	v_sub_u32_e32 v58, 29, v58
	v_and_b32_e32 v60, 7, v60
	v_cmp_gt_u32_e32 vcc, 8, v40
	v_cndmask_b32_e32 v40, v56, v58, vcc
	v_cndmask_b32_e32 v42, v42, v60, vcc
	v_lshlrev_b32_e32 v56, 24, v38
	v_lshlrev_b32_e32 v42, 20, v42
	v_and_b32_e32 v56, 0x80000000, v56
	v_lshl_add_u32 v40, v40, 23, v55
	v_or3_b32 v58, v56, v40, v42
.LBB614_387:                            ;   in Loop: Header=BB614_215 Depth=1
	s_or_b64 exec, exec, s[18:19]
.LBB614_388:                            ;   in Loop: Header=BB614_215 Depth=1
	s_or_b64 exec, exec, s[16:17]
.LBB614_389:                            ;   in Loop: Header=BB614_215 Depth=1
	s_or_b64 exec, exec, s[14:15]
	v_lshrrev_b16_e32 v40, 8, v38
	v_cmp_ne_u16_e32 vcc, 0, v40
	v_mov_b32_e32 v60, 0
	v_mov_b32_e32 v61, 0
	s_and_saveexec_b64 s[14:15], vcc
	s_cbranch_execz .LBB614_395
; %bb.390:                              ;   in Loop: Header=BB614_215 Depth=1
	v_cmp_ne_u16_e32 vcc, s9, v40
	v_bfrev_b32_e32 v61, 1
	s_and_saveexec_b64 s[16:17], vcc
	s_cbranch_execz .LBB614_394
; %bb.391:                              ;   in Loop: Header=BB614_215 Depth=1
	v_and_b32_e32 v42, 0x7f, v40
	v_cmp_ne_u32_e32 vcc, s21, v42
	v_mov_b32_e32 v61, 0x7f800001
	s_and_saveexec_b64 s[18:19], vcc
	s_cbranch_execz .LBB614_393
; %bb.392:                              ;   in Loop: Header=BB614_215 Depth=1
	v_and_b32_e32 v56, 7, v40
	v_ffbh_u32_e32 v62, v56
	v_min_u32_e32 v64, 32, v62
	v_subrev_u32_e32 v62, 28, v64
	v_lshlrev_b64 v[62:63], v62, v[40:41]
	v_lshrrev_b32_e32 v61, 3, v42
	v_sub_u32_e32 v40, 29, v64
	v_and_b32_e32 v62, 7, v62
	v_cmp_gt_u32_e32 vcc, 8, v42
	v_cndmask_b32_e32 v40, v61, v40, vcc
	v_cndmask_b32_e32 v42, v56, v62, vcc
	v_lshlrev_b32_e32 v56, 16, v38
	v_lshlrev_b32_e32 v42, 20, v42
	v_and_b32_e32 v56, 0x80000000, v56
	v_lshl_add_u32 v40, v40, 23, v55
	v_or3_b32 v61, v56, v40, v42
.LBB614_393:                            ;   in Loop: Header=BB614_215 Depth=1
	s_or_b64 exec, exec, s[18:19]
.LBB614_394:                            ;   in Loop: Header=BB614_215 Depth=1
	s_or_b64 exec, exec, s[16:17]
.LBB614_395:                            ;   in Loop: Header=BB614_215 Depth=1
	s_or_b64 exec, exec, s[14:15]
	v_lshrrev_b32_e32 v40, 16, v38
	v_cmp_ne_u16_sdwa s[16:17], v40, v54 src0_sel:BYTE_0 src1_sel:DWORD
	s_and_saveexec_b64 s[14:15], s[16:17]
	s_cbranch_execz .LBB614_401
; %bb.396:                              ;   in Loop: Header=BB614_215 Depth=1
	v_cmp_ne_u16_sdwa s[18:19], v40, s9 src0_sel:BYTE_0 src1_sel:DWORD
	v_bfrev_b32_e32 v60, 1
	s_and_saveexec_b64 s[16:17], s[18:19]
	s_cbranch_execz .LBB614_400
; %bb.397:                              ;   in Loop: Header=BB614_215 Depth=1
	v_bfe_u32 v42, v38, 16, 7
	v_cmp_ne_u32_e32 vcc, s21, v42
	v_mov_b32_e32 v60, 0x7f800001
	s_and_saveexec_b64 s[18:19], vcc
	s_cbranch_execz .LBB614_399
; %bb.398:                              ;   in Loop: Header=BB614_215 Depth=1
	v_and_b32_e32 v56, 7, v40
	v_ffbh_u32_e32 v62, v56
	v_min_u32_e32 v64, 32, v62
	v_subrev_u32_e32 v62, 28, v64
	v_lshlrev_b64 v[62:63], v62, v[40:41]
	v_lshrrev_b32_e32 v60, 3, v42
	v_sub_u32_e32 v63, 29, v64
	v_and_b32_e32 v62, 7, v62
	v_cmp_gt_u32_e32 vcc, 8, v42
	v_cndmask_b32_e32 v42, v60, v63, vcc
	v_cndmask_b32_e32 v56, v56, v62, vcc
	v_lshlrev_b32_e32 v40, 24, v40
	v_lshlrev_b32_e32 v56, 20, v56
	v_and_b32_e32 v40, 0x80000000, v40
	v_lshl_add_u32 v42, v42, 23, v55
	v_or3_b32 v60, v40, v42, v56
.LBB614_399:                            ;   in Loop: Header=BB614_215 Depth=1
	s_or_b64 exec, exec, s[18:19]
.LBB614_400:                            ;   in Loop: Header=BB614_215 Depth=1
	s_or_b64 exec, exec, s[16:17]
.LBB614_401:                            ;   in Loop: Header=BB614_215 Depth=1
	s_or_b64 exec, exec, s[14:15]
	v_cmp_lt_u32_e32 vcc, s22, v38
	v_mov_b32_e32 v56, 0
	v_mov_b32_e32 v62, 0
	s_and_saveexec_b64 s[14:15], vcc
	s_cbranch_execz .LBB614_407
; %bb.402:                              ;   in Loop: Header=BB614_215 Depth=1
	v_lshrrev_b32_e32 v40, 24, v38
	v_cmp_ne_u32_e32 vcc, s9, v40
	v_bfrev_b32_e32 v62, 1
	s_and_saveexec_b64 s[16:17], vcc
	s_cbranch_execz .LBB614_406
; %bb.403:                              ;   in Loop: Header=BB614_215 Depth=1
	v_bfe_u32 v38, v38, 24, 7
	v_cmp_ne_u32_e32 vcc, s21, v38
	v_mov_b32_e32 v62, 0x7f800001
	s_and_saveexec_b64 s[18:19], vcc
	s_cbranch_execz .LBB614_405
; %bb.404:                              ;   in Loop: Header=BB614_215 Depth=1
	v_and_b32_e32 v42, 7, v40
	v_ffbh_u32_e32 v62, v42
	v_min_u32_e32 v65, 32, v62
	v_subrev_u32_e32 v62, 28, v65
	v_lshlrev_b64 v[62:63], v62, v[40:41]
	v_lshrrev_b32_e32 v64, 3, v38
	v_sub_u32_e32 v63, 29, v65
	v_and_b32_e32 v62, 7, v62
	v_cmp_gt_u32_e32 vcc, 8, v38
	v_cndmask_b32_e32 v38, v64, v63, vcc
	v_cndmask_b32_e32 v42, v42, v62, vcc
	v_lshlrev_b32_e32 v40, 24, v40
	v_lshlrev_b32_e32 v42, 20, v42
	v_and_b32_e32 v40, 0x80000000, v40
	v_lshl_add_u32 v38, v38, 23, v55
	v_or3_b32 v62, v40, v38, v42
.LBB614_405:                            ;   in Loop: Header=BB614_215 Depth=1
	s_or_b64 exec, exec, s[18:19]
.LBB614_406:                            ;   in Loop: Header=BB614_215 Depth=1
	s_or_b64 exec, exec, s[16:17]
.LBB614_407:                            ;   in Loop: Header=BB614_215 Depth=1
	s_or_b64 exec, exec, s[14:15]
	v_cvt_pkrtz_f16_f32 v65, v44, v59
	buffer_load_dword v44, v51, s[0:3], 0 offen
	buffer_load_dword v42, v51, s[0:3], 0 offen offset:4
	buffer_load_dword v40, v51, s[0:3], 0 offen offset:8
	;; [unrolled: 1-line block ×3, first 2 shown]
	v_cvt_pkrtz_f16_f32 v64, v46, v57
	v_cvt_pkrtz_f16_f32 v58, v58, v61
	;; [unrolled: 1-line block ×3, first 2 shown]
	v_mfma_f32_16x16x16f16 v[34:37], v[64:65], v[14:15], v[34:37]
	s_waitcnt vmcnt(3)
	v_cmp_ne_u16_sdwa s[16:17], v44, v54 src0_sel:BYTE_0 src1_sel:DWORD
	v_mfma_f32_16x16x16f16 v[34:37], v[58:59], v[16:17], v[34:37]
	s_and_saveexec_b64 s[14:15], s[16:17]
	s_cbranch_execz .LBB614_413
; %bb.408:                              ;   in Loop: Header=BB614_215 Depth=1
	v_cmp_ne_u16_sdwa s[18:19], v44, s9 src0_sel:BYTE_0 src1_sel:DWORD
	v_bfrev_b32_e32 v56, 1
	s_and_saveexec_b64 s[16:17], s[18:19]
	s_cbranch_execz .LBB614_412
; %bb.409:                              ;   in Loop: Header=BB614_215 Depth=1
	v_and_b32_e32 v46, 0x7f, v44
	v_cmp_ne_u32_e32 vcc, s21, v46
	v_mov_b32_e32 v56, 0x7f800001
	s_and_saveexec_b64 s[18:19], vcc
	s_cbranch_execz .LBB614_411
; %bb.410:                              ;   in Loop: Header=BB614_215 Depth=1
	v_and_b32_e32 v51, 7, v44
	v_ffbh_u32_e32 v56, v51
	v_min_u32_e32 v59, 32, v56
	v_subrev_u32_e32 v56, 28, v59
	v_lshlrev_b64 v[56:57], v56, v[44:45]
	v_lshrrev_b32_e32 v58, 3, v46
	v_sub_u32_e32 v57, 29, v59
	v_and_b32_e32 v56, 7, v56
	v_cmp_gt_u32_e32 vcc, 8, v46
	v_cndmask_b32_e32 v46, v58, v57, vcc
	v_cndmask_b32_e32 v51, v51, v56, vcc
	v_lshlrev_b32_e32 v56, 24, v44
	v_lshlrev_b32_e32 v51, 20, v51
	v_and_b32_e32 v56, 0x80000000, v56
	v_lshl_add_u32 v46, v46, 23, v55
	v_or3_b32 v56, v56, v46, v51
.LBB614_411:                            ;   in Loop: Header=BB614_215 Depth=1
	s_or_b64 exec, exec, s[18:19]
.LBB614_412:                            ;   in Loop: Header=BB614_215 Depth=1
	s_or_b64 exec, exec, s[16:17]
.LBB614_413:                            ;   in Loop: Header=BB614_215 Depth=1
	s_or_b64 exec, exec, s[14:15]
	v_lshrrev_b16_e32 v46, 8, v44
	v_cmp_ne_u16_e32 vcc, 0, v46
	v_mov_b32_e32 v51, 0
	v_mov_b32_e32 v57, 0
	s_and_saveexec_b64 s[14:15], vcc
	s_cbranch_execz .LBB614_419
; %bb.414:                              ;   in Loop: Header=BB614_215 Depth=1
	v_cmp_ne_u16_e32 vcc, s9, v46
	v_bfrev_b32_e32 v57, 1
	s_and_saveexec_b64 s[16:17], vcc
	s_cbranch_execz .LBB614_418
; %bb.415:                              ;   in Loop: Header=BB614_215 Depth=1
	v_and_b32_e32 v58, 0x7f, v46
	v_cmp_ne_u32_e32 vcc, s21, v58
	v_mov_b32_e32 v57, 0x7f800001
	s_and_saveexec_b64 s[18:19], vcc
	s_cbranch_execz .LBB614_417
; %bb.416:                              ;   in Loop: Header=BB614_215 Depth=1
	v_and_b32_e32 v57, 7, v46
	v_ffbh_u32_e32 v60, v57
	v_min_u32_e32 v62, 32, v60
	v_subrev_u32_e32 v60, 28, v62
	v_lshlrev_b64 v[60:61], v60, v[46:47]
	v_lshrrev_b32_e32 v59, 3, v58
	v_sub_u32_e32 v46, 29, v62
	v_and_b32_e32 v60, 7, v60
	v_cmp_gt_u32_e32 vcc, 8, v58
	v_cndmask_b32_e32 v46, v59, v46, vcc
	v_cndmask_b32_e32 v57, v57, v60, vcc
	v_lshlrev_b32_e32 v58, 16, v44
	v_lshlrev_b32_e32 v57, 20, v57
	v_and_b32_e32 v58, 0x80000000, v58
	v_lshl_add_u32 v46, v46, 23, v55
	v_or3_b32 v57, v58, v46, v57
.LBB614_417:                            ;   in Loop: Header=BB614_215 Depth=1
	s_or_b64 exec, exec, s[18:19]
.LBB614_418:                            ;   in Loop: Header=BB614_215 Depth=1
	s_or_b64 exec, exec, s[16:17]
.LBB614_419:                            ;   in Loop: Header=BB614_215 Depth=1
	s_or_b64 exec, exec, s[14:15]
	v_lshrrev_b32_e32 v46, 16, v44
	v_cmp_ne_u16_sdwa s[16:17], v46, v54 src0_sel:BYTE_0 src1_sel:DWORD
	s_and_saveexec_b64 s[14:15], s[16:17]
	s_cbranch_execz .LBB614_425
; %bb.420:                              ;   in Loop: Header=BB614_215 Depth=1
	v_cmp_ne_u16_sdwa s[18:19], v46, s9 src0_sel:BYTE_0 src1_sel:DWORD
	v_bfrev_b32_e32 v51, 1
	s_and_saveexec_b64 s[16:17], s[18:19]
	s_cbranch_execz .LBB614_424
; %bb.421:                              ;   in Loop: Header=BB614_215 Depth=1
	v_bfe_u32 v58, v44, 16, 7
	v_cmp_ne_u32_e32 vcc, s21, v58
	v_mov_b32_e32 v51, 0x7f800001
	s_and_saveexec_b64 s[18:19], vcc
	s_cbranch_execz .LBB614_423
; %bb.422:                              ;   in Loop: Header=BB614_215 Depth=1
	v_and_b32_e32 v51, 7, v46
	v_ffbh_u32_e32 v60, v51
	v_min_u32_e32 v62, 32, v60
	v_subrev_u32_e32 v60, 28, v62
	v_lshlrev_b64 v[60:61], v60, v[46:47]
	v_lshrrev_b32_e32 v59, 3, v58
	v_sub_u32_e32 v61, 29, v62
	v_and_b32_e32 v60, 7, v60
	v_cmp_gt_u32_e32 vcc, 8, v58
	v_cndmask_b32_e32 v58, v59, v61, vcc
	v_cndmask_b32_e32 v51, v51, v60, vcc
	v_lshlrev_b32_e32 v46, 24, v46
	v_lshlrev_b32_e32 v51, 20, v51
	v_and_b32_e32 v46, 0x80000000, v46
	v_lshl_add_u32 v58, v58, 23, v55
	v_or3_b32 v51, v46, v58, v51
.LBB614_423:                            ;   in Loop: Header=BB614_215 Depth=1
	s_or_b64 exec, exec, s[18:19]
.LBB614_424:                            ;   in Loop: Header=BB614_215 Depth=1
	s_or_b64 exec, exec, s[16:17]
.LBB614_425:                            ;   in Loop: Header=BB614_215 Depth=1
	s_or_b64 exec, exec, s[14:15]
	v_cmp_lt_u32_e32 vcc, s22, v44
	v_mov_b32_e32 v58, 0
	v_mov_b32_e32 v59, 0
	s_and_saveexec_b64 s[14:15], vcc
	s_cbranch_execz .LBB614_431
; %bb.426:                              ;   in Loop: Header=BB614_215 Depth=1
	v_lshrrev_b32_e32 v46, 24, v44
	v_cmp_ne_u32_e32 vcc, s9, v46
	v_bfrev_b32_e32 v59, 1
	s_and_saveexec_b64 s[16:17], vcc
	s_cbranch_execz .LBB614_430
; %bb.427:                              ;   in Loop: Header=BB614_215 Depth=1
	v_bfe_u32 v44, v44, 24, 7
	v_cmp_ne_u32_e32 vcc, s21, v44
	v_mov_b32_e32 v59, 0x7f800001
	s_and_saveexec_b64 s[18:19], vcc
	s_cbranch_execz .LBB614_429
; %bb.428:                              ;   in Loop: Header=BB614_215 Depth=1
	v_and_b32_e32 v59, 7, v46
	v_ffbh_u32_e32 v60, v59
	v_min_u32_e32 v63, 32, v60
	v_subrev_u32_e32 v60, 28, v63
	v_lshlrev_b64 v[60:61], v60, v[46:47]
	v_lshrrev_b32_e32 v62, 3, v44
	v_sub_u32_e32 v61, 29, v63
	v_and_b32_e32 v60, 7, v60
	v_cmp_gt_u32_e32 vcc, 8, v44
	v_cndmask_b32_e32 v44, v62, v61, vcc
	v_cndmask_b32_e32 v59, v59, v60, vcc
	v_lshlrev_b32_e32 v46, 24, v46
	v_lshlrev_b32_e32 v59, 20, v59
	v_and_b32_e32 v46, 0x80000000, v46
	v_lshl_add_u32 v44, v44, 23, v55
	v_or3_b32 v59, v46, v44, v59
.LBB614_429:                            ;   in Loop: Header=BB614_215 Depth=1
	s_or_b64 exec, exec, s[18:19]
.LBB614_430:                            ;   in Loop: Header=BB614_215 Depth=1
	s_or_b64 exec, exec, s[16:17]
.LBB614_431:                            ;   in Loop: Header=BB614_215 Depth=1
	s_or_b64 exec, exec, s[14:15]
	s_waitcnt vmcnt(2)
	v_cmp_ne_u16_sdwa s[16:17], v42, v54 src0_sel:BYTE_0 src1_sel:DWORD
	s_and_saveexec_b64 s[14:15], s[16:17]
	s_cbranch_execz .LBB614_437
; %bb.432:                              ;   in Loop: Header=BB614_215 Depth=1
	v_cmp_ne_u16_sdwa s[18:19], v42, s9 src0_sel:BYTE_0 src1_sel:DWORD
	v_bfrev_b32_e32 v58, 1
	s_and_saveexec_b64 s[16:17], s[18:19]
	s_cbranch_execz .LBB614_436
; %bb.433:                              ;   in Loop: Header=BB614_215 Depth=1
	v_and_b32_e32 v44, 0x7f, v42
	v_cmp_ne_u32_e32 vcc, s21, v44
	v_mov_b32_e32 v58, 0x7f800001
	s_and_saveexec_b64 s[18:19], vcc
	s_cbranch_execz .LBB614_435
; %bb.434:                              ;   in Loop: Header=BB614_215 Depth=1
	v_and_b32_e32 v46, 7, v42
	v_ffbh_u32_e32 v60, v46
	v_min_u32_e32 v62, 32, v60
	v_subrev_u32_e32 v60, 28, v62
	v_lshlrev_b64 v[60:61], v60, v[42:43]
	v_lshrrev_b32_e32 v58, 3, v44
	v_sub_u32_e32 v61, 29, v62
	v_and_b32_e32 v60, 7, v60
	v_cmp_gt_u32_e32 vcc, 8, v44
	v_cndmask_b32_e32 v44, v58, v61, vcc
	v_cndmask_b32_e32 v46, v46, v60, vcc
	v_lshlrev_b32_e32 v58, 24, v42
	v_lshlrev_b32_e32 v46, 20, v46
	v_and_b32_e32 v58, 0x80000000, v58
	v_lshl_add_u32 v44, v44, 23, v55
	v_or3_b32 v58, v58, v44, v46
.LBB614_435:                            ;   in Loop: Header=BB614_215 Depth=1
	s_or_b64 exec, exec, s[18:19]
.LBB614_436:                            ;   in Loop: Header=BB614_215 Depth=1
	s_or_b64 exec, exec, s[16:17]
.LBB614_437:                            ;   in Loop: Header=BB614_215 Depth=1
	s_or_b64 exec, exec, s[14:15]
	v_lshrrev_b16_e32 v44, 8, v42
	v_cmp_ne_u16_e32 vcc, 0, v44
	v_mov_b32_e32 v60, 0
	v_mov_b32_e32 v61, 0
	s_and_saveexec_b64 s[14:15], vcc
	s_cbranch_execz .LBB614_443
; %bb.438:                              ;   in Loop: Header=BB614_215 Depth=1
	v_cmp_ne_u16_e32 vcc, s9, v44
	v_bfrev_b32_e32 v61, 1
	s_and_saveexec_b64 s[16:17], vcc
	s_cbranch_execz .LBB614_442
; %bb.439:                              ;   in Loop: Header=BB614_215 Depth=1
	v_and_b32_e32 v46, 0x7f, v44
	v_cmp_ne_u32_e32 vcc, s21, v46
	v_mov_b32_e32 v61, 0x7f800001
	s_and_saveexec_b64 s[18:19], vcc
	s_cbranch_execz .LBB614_441
; %bb.440:                              ;   in Loop: Header=BB614_215 Depth=1
	v_and_b32_e32 v61, 7, v44
	v_ffbh_u32_e32 v62, v61
	v_min_u32_e32 v65, 32, v62
	v_subrev_u32_e32 v62, 28, v65
	v_lshlrev_b64 v[62:63], v62, v[44:45]
	v_lshrrev_b32_e32 v64, 3, v46
	v_sub_u32_e32 v44, 29, v65
	v_and_b32_e32 v62, 7, v62
	v_cmp_gt_u32_e32 vcc, 8, v46
	v_cndmask_b32_e32 v44, v64, v44, vcc
	v_cndmask_b32_e32 v46, v61, v62, vcc
	v_lshlrev_b32_e32 v61, 16, v42
	v_lshlrev_b32_e32 v46, 20, v46
	v_and_b32_e32 v61, 0x80000000, v61
	v_lshl_add_u32 v44, v44, 23, v55
	v_or3_b32 v61, v61, v44, v46
.LBB614_441:                            ;   in Loop: Header=BB614_215 Depth=1
	s_or_b64 exec, exec, s[18:19]
.LBB614_442:                            ;   in Loop: Header=BB614_215 Depth=1
	s_or_b64 exec, exec, s[16:17]
.LBB614_443:                            ;   in Loop: Header=BB614_215 Depth=1
	s_or_b64 exec, exec, s[14:15]
	v_lshrrev_b32_e32 v44, 16, v42
	v_cmp_ne_u16_sdwa s[16:17], v44, v54 src0_sel:BYTE_0 src1_sel:DWORD
	s_and_saveexec_b64 s[14:15], s[16:17]
	s_cbranch_execz .LBB614_449
; %bb.444:                              ;   in Loop: Header=BB614_215 Depth=1
	v_cmp_ne_u16_sdwa s[18:19], v44, s9 src0_sel:BYTE_0 src1_sel:DWORD
	v_bfrev_b32_e32 v60, 1
	s_and_saveexec_b64 s[16:17], s[18:19]
	s_cbranch_execz .LBB614_448
; %bb.445:                              ;   in Loop: Header=BB614_215 Depth=1
	v_bfe_u32 v46, v42, 16, 7
	v_cmp_ne_u32_e32 vcc, s21, v46
	v_mov_b32_e32 v60, 0x7f800001
	s_and_saveexec_b64 s[18:19], vcc
	s_cbranch_execz .LBB614_447
; %bb.446:                              ;   in Loop: Header=BB614_215 Depth=1
	v_and_b32_e32 v60, 7, v44
	v_ffbh_u32_e32 v62, v60
	v_min_u32_e32 v65, 32, v62
	v_subrev_u32_e32 v62, 28, v65
	v_lshlrev_b64 v[62:63], v62, v[44:45]
	v_lshrrev_b32_e32 v64, 3, v46
	v_sub_u32_e32 v63, 29, v65
	v_and_b32_e32 v62, 7, v62
	v_cmp_gt_u32_e32 vcc, 8, v46
	v_cndmask_b32_e32 v46, v64, v63, vcc
	v_cndmask_b32_e32 v60, v60, v62, vcc
	v_lshlrev_b32_e32 v44, 24, v44
	v_lshlrev_b32_e32 v60, 20, v60
	v_and_b32_e32 v44, 0x80000000, v44
	v_lshl_add_u32 v46, v46, 23, v55
	v_or3_b32 v60, v44, v46, v60
.LBB614_447:                            ;   in Loop: Header=BB614_215 Depth=1
	s_or_b64 exec, exec, s[18:19]
.LBB614_448:                            ;   in Loop: Header=BB614_215 Depth=1
	s_or_b64 exec, exec, s[16:17]
.LBB614_449:                            ;   in Loop: Header=BB614_215 Depth=1
	s_or_b64 exec, exec, s[14:15]
	v_cmp_lt_u32_e32 vcc, s22, v42
	v_mov_b32_e32 v46, 0
	v_mov_b32_e32 v62, 0
	s_and_saveexec_b64 s[14:15], vcc
	s_cbranch_execz .LBB614_455
; %bb.450:                              ;   in Loop: Header=BB614_215 Depth=1
	v_lshrrev_b32_e32 v44, 24, v42
	v_cmp_ne_u32_e32 vcc, s9, v44
	v_bfrev_b32_e32 v62, 1
	s_and_saveexec_b64 s[16:17], vcc
	s_cbranch_execz .LBB614_454
; %bb.451:                              ;   in Loop: Header=BB614_215 Depth=1
	v_bfe_u32 v42, v42, 24, 7
	v_cmp_ne_u32_e32 vcc, s21, v42
	v_mov_b32_e32 v62, 0x7f800001
	s_and_saveexec_b64 s[18:19], vcc
	s_cbranch_execz .LBB614_453
; %bb.452:                              ;   in Loop: Header=BB614_215 Depth=1
	v_and_b32_e32 v64, 7, v44
	v_ffbh_u32_e32 v62, v64
	v_min_u32_e32 v66, 32, v62
	v_subrev_u32_e32 v62, 28, v66
	v_lshlrev_b64 v[62:63], v62, v[44:45]
	v_lshrrev_b32_e32 v65, 3, v42
	v_sub_u32_e32 v63, 29, v66
	v_and_b32_e32 v62, 7, v62
	v_cmp_gt_u32_e32 vcc, 8, v42
	v_cndmask_b32_e32 v42, v65, v63, vcc
	v_cndmask_b32_e32 v62, v64, v62, vcc
	v_lshlrev_b32_e32 v44, 24, v44
	v_lshlrev_b32_e32 v62, 20, v62
	v_and_b32_e32 v44, 0x80000000, v44
	v_lshl_add_u32 v42, v42, 23, v55
	v_or3_b32 v62, v44, v42, v62
.LBB614_453:                            ;   in Loop: Header=BB614_215 Depth=1
	s_or_b64 exec, exec, s[18:19]
.LBB614_454:                            ;   in Loop: Header=BB614_215 Depth=1
	s_or_b64 exec, exec, s[16:17]
.LBB614_455:                            ;   in Loop: Header=BB614_215 Depth=1
	s_or_b64 exec, exec, s[14:15]
	v_cvt_pkrtz_f16_f32 v56, v56, v57
	v_cvt_pkrtz_f16_f32 v57, v51, v59
	s_waitcnt vmcnt(1)
	v_cmp_ne_u16_sdwa s[16:17], v40, v54 src0_sel:BYTE_0 src1_sel:DWORD
	v_mfma_f32_16x16x16f16 v[34:37], v[56:57], v[18:19], v[34:37]
	v_cvt_pkrtz_f16_f32 v56, v58, v61
	v_cvt_pkrtz_f16_f32 v57, v60, v62
	s_nop 1
	v_mfma_f32_16x16x16f16 v[34:37], v[56:57], v[20:21], v[34:37]
	s_and_saveexec_b64 s[14:15], s[16:17]
	s_cbranch_execz .LBB614_461
; %bb.456:                              ;   in Loop: Header=BB614_215 Depth=1
	v_cmp_ne_u16_sdwa s[18:19], v40, s9 src0_sel:BYTE_0 src1_sel:DWORD
	v_bfrev_b32_e32 v46, 1
	s_and_saveexec_b64 s[16:17], s[18:19]
	s_cbranch_execz .LBB614_460
; %bb.457:                              ;   in Loop: Header=BB614_215 Depth=1
	v_and_b32_e32 v42, 0x7f, v40
	v_cmp_ne_u32_e32 vcc, s21, v42
	v_mov_b32_e32 v46, 0x7f800001
	s_and_saveexec_b64 s[18:19], vcc
	s_cbranch_execz .LBB614_459
; %bb.458:                              ;   in Loop: Header=BB614_215 Depth=1
	v_and_b32_e32 v44, 7, v40
	v_ffbh_u32_e32 v51, v44
	v_min_u32_e32 v51, 32, v51
	v_subrev_u32_e32 v56, 28, v51
	v_lshlrev_b64 v[56:57], v56, v[40:41]
	v_lshrrev_b32_e32 v46, 3, v42
	v_sub_u32_e32 v51, 29, v51
	v_and_b32_e32 v56, 7, v56
	v_cmp_gt_u32_e32 vcc, 8, v42
	v_cndmask_b32_e32 v42, v46, v51, vcc
	v_cndmask_b32_e32 v44, v44, v56, vcc
	v_lshlrev_b32_e32 v46, 24, v40
	v_lshlrev_b32_e32 v44, 20, v44
	v_and_b32_e32 v46, 0x80000000, v46
	v_lshl_add_u32 v42, v42, 23, v55
	v_or3_b32 v46, v46, v42, v44
.LBB614_459:                            ;   in Loop: Header=BB614_215 Depth=1
	s_or_b64 exec, exec, s[18:19]
.LBB614_460:                            ;   in Loop: Header=BB614_215 Depth=1
	s_or_b64 exec, exec, s[16:17]
.LBB614_461:                            ;   in Loop: Header=BB614_215 Depth=1
	s_or_b64 exec, exec, s[14:15]
	v_lshrrev_b16_e32 v42, 8, v40
	v_cmp_ne_u16_e32 vcc, 0, v42
	v_mov_b32_e32 v44, 0
	v_mov_b32_e32 v56, 0
	s_and_saveexec_b64 s[14:15], vcc
	s_cbranch_execz .LBB614_467
; %bb.462:                              ;   in Loop: Header=BB614_215 Depth=1
	v_cmp_ne_u16_e32 vcc, s9, v42
	v_bfrev_b32_e32 v56, 1
	s_and_saveexec_b64 s[16:17], vcc
	s_cbranch_execz .LBB614_466
; %bb.463:                              ;   in Loop: Header=BB614_215 Depth=1
	v_and_b32_e32 v51, 0x7f, v42
	v_cmp_ne_u32_e32 vcc, s21, v51
	v_mov_b32_e32 v56, 0x7f800001
	s_and_saveexec_b64 s[18:19], vcc
	s_cbranch_execz .LBB614_465
; %bb.464:                              ;   in Loop: Header=BB614_215 Depth=1
	v_and_b32_e32 v58, 7, v42
	v_ffbh_u32_e32 v56, v58
	v_min_u32_e32 v60, 32, v56
	v_subrev_u32_e32 v56, 28, v60
	v_lshlrev_b64 v[56:57], v56, v[42:43]
	v_lshrrev_b32_e32 v59, 3, v51
	v_sub_u32_e32 v42, 29, v60
	v_and_b32_e32 v56, 7, v56
	v_cmp_gt_u32_e32 vcc, 8, v51
	v_cndmask_b32_e32 v42, v59, v42, vcc
	v_cndmask_b32_e32 v51, v58, v56, vcc
	v_lshlrev_b32_e32 v56, 16, v40
	v_lshlrev_b32_e32 v51, 20, v51
	v_and_b32_e32 v56, 0x80000000, v56
	v_lshl_add_u32 v42, v42, 23, v55
	v_or3_b32 v56, v56, v42, v51
.LBB614_465:                            ;   in Loop: Header=BB614_215 Depth=1
	s_or_b64 exec, exec, s[18:19]
.LBB614_466:                            ;   in Loop: Header=BB614_215 Depth=1
	s_or_b64 exec, exec, s[16:17]
.LBB614_467:                            ;   in Loop: Header=BB614_215 Depth=1
	s_or_b64 exec, exec, s[14:15]
	v_lshrrev_b32_e32 v42, 16, v40
	v_cmp_ne_u16_sdwa s[16:17], v42, v54 src0_sel:BYTE_0 src1_sel:DWORD
	s_and_saveexec_b64 s[14:15], s[16:17]
	s_cbranch_execz .LBB614_473
; %bb.468:                              ;   in Loop: Header=BB614_215 Depth=1
	v_cmp_ne_u16_sdwa s[18:19], v42, s9 src0_sel:BYTE_0 src1_sel:DWORD
	v_bfrev_b32_e32 v44, 1
	s_and_saveexec_b64 s[16:17], s[18:19]
	s_cbranch_execz .LBB614_472
; %bb.469:                              ;   in Loop: Header=BB614_215 Depth=1
	v_bfe_u32 v51, v40, 16, 7
	v_cmp_ne_u32_e32 vcc, s21, v51
	v_mov_b32_e32 v44, 0x7f800001
	s_and_saveexec_b64 s[18:19], vcc
	s_cbranch_execz .LBB614_471
; %bb.470:                              ;   in Loop: Header=BB614_215 Depth=1
	v_and_b32_e32 v44, 7, v42
	v_ffbh_u32_e32 v58, v44
	v_min_u32_e32 v60, 32, v58
	v_subrev_u32_e32 v58, 28, v60
	v_lshlrev_b64 v[58:59], v58, v[42:43]
	v_lshrrev_b32_e32 v57, 3, v51
	v_sub_u32_e32 v59, 29, v60
	v_and_b32_e32 v58, 7, v58
	v_cmp_gt_u32_e32 vcc, 8, v51
	v_cndmask_b32_e32 v51, v57, v59, vcc
	v_cndmask_b32_e32 v44, v44, v58, vcc
	v_lshlrev_b32_e32 v42, 24, v42
	v_lshlrev_b32_e32 v44, 20, v44
	v_and_b32_e32 v42, 0x80000000, v42
	v_lshl_add_u32 v51, v51, 23, v55
	v_or3_b32 v44, v42, v51, v44
.LBB614_471:                            ;   in Loop: Header=BB614_215 Depth=1
	s_or_b64 exec, exec, s[18:19]
.LBB614_472:                            ;   in Loop: Header=BB614_215 Depth=1
	s_or_b64 exec, exec, s[16:17]
.LBB614_473:                            ;   in Loop: Header=BB614_215 Depth=1
	s_or_b64 exec, exec, s[14:15]
	v_cmp_lt_u32_e32 vcc, s22, v40
	v_mov_b32_e32 v57, 0
	v_mov_b32_e32 v58, 0
	s_and_saveexec_b64 s[14:15], vcc
	s_cbranch_execz .LBB614_479
; %bb.474:                              ;   in Loop: Header=BB614_215 Depth=1
	v_lshrrev_b32_e32 v42, 24, v40
	v_cmp_ne_u32_e32 vcc, s9, v42
	v_bfrev_b32_e32 v58, 1
	s_and_saveexec_b64 s[16:17], vcc
	s_cbranch_execz .LBB614_478
; %bb.475:                              ;   in Loop: Header=BB614_215 Depth=1
	v_bfe_u32 v40, v40, 24, 7
	v_cmp_ne_u32_e32 vcc, s21, v40
	v_mov_b32_e32 v58, 0x7f800001
	s_and_saveexec_b64 s[18:19], vcc
	s_cbranch_execz .LBB614_477
; %bb.476:                              ;   in Loop: Header=BB614_215 Depth=1
	v_and_b32_e32 v51, 7, v42
	v_ffbh_u32_e32 v58, v51
	v_min_u32_e32 v61, 32, v58
	v_subrev_u32_e32 v58, 28, v61
	v_lshlrev_b64 v[58:59], v58, v[42:43]
	v_lshrrev_b32_e32 v60, 3, v40
	v_sub_u32_e32 v59, 29, v61
	v_and_b32_e32 v58, 7, v58
	v_cmp_gt_u32_e32 vcc, 8, v40
	v_cndmask_b32_e32 v40, v60, v59, vcc
	v_cndmask_b32_e32 v51, v51, v58, vcc
	v_lshlrev_b32_e32 v42, 24, v42
	v_lshlrev_b32_e32 v51, 20, v51
	v_and_b32_e32 v42, 0x80000000, v42
	v_lshl_add_u32 v40, v40, 23, v55
	v_or3_b32 v58, v42, v40, v51
.LBB614_477:                            ;   in Loop: Header=BB614_215 Depth=1
	s_or_b64 exec, exec, s[18:19]
.LBB614_478:                            ;   in Loop: Header=BB614_215 Depth=1
	s_or_b64 exec, exec, s[16:17]
.LBB614_479:                            ;   in Loop: Header=BB614_215 Depth=1
	s_or_b64 exec, exec, s[14:15]
	s_waitcnt vmcnt(0)
	v_cmp_ne_u16_sdwa s[16:17], v38, v54 src0_sel:BYTE_0 src1_sel:DWORD
	s_and_saveexec_b64 s[14:15], s[16:17]
	s_cbranch_execz .LBB614_485
; %bb.480:                              ;   in Loop: Header=BB614_215 Depth=1
	v_cmp_ne_u16_sdwa s[18:19], v38, s9 src0_sel:BYTE_0 src1_sel:DWORD
	v_bfrev_b32_e32 v57, 1
	s_and_saveexec_b64 s[16:17], s[18:19]
	s_cbranch_execz .LBB614_484
; %bb.481:                              ;   in Loop: Header=BB614_215 Depth=1
	v_and_b32_e32 v40, 0x7f, v38
	v_cmp_ne_u32_e32 vcc, s21, v40
	v_mov_b32_e32 v57, 0x7f800001
	s_and_saveexec_b64 s[18:19], vcc
	s_cbranch_execz .LBB614_483
; %bb.482:                              ;   in Loop: Header=BB614_215 Depth=1
	v_and_b32_e32 v42, 7, v38
	v_ffbh_u32_e32 v57, v42
	v_min_u32_e32 v57, 32, v57
	v_subrev_u32_e32 v59, 28, v57
	v_lshlrev_b64 v[60:61], v59, v[38:39]
	v_lshrrev_b32_e32 v51, 3, v40
	v_sub_u32_e32 v57, 29, v57
	v_and_b32_e32 v59, 7, v60
	v_cmp_gt_u32_e32 vcc, 8, v40
	v_cndmask_b32_e32 v40, v51, v57, vcc
	v_cndmask_b32_e32 v42, v42, v59, vcc
	v_lshlrev_b32_e32 v51, 24, v38
	v_lshlrev_b32_e32 v42, 20, v42
	v_and_b32_e32 v51, 0x80000000, v51
	v_lshl_add_u32 v40, v40, 23, v55
	v_or3_b32 v57, v51, v40, v42
.LBB614_483:                            ;   in Loop: Header=BB614_215 Depth=1
	s_or_b64 exec, exec, s[18:19]
.LBB614_484:                            ;   in Loop: Header=BB614_215 Depth=1
	s_or_b64 exec, exec, s[16:17]
.LBB614_485:                            ;   in Loop: Header=BB614_215 Depth=1
	s_or_b64 exec, exec, s[14:15]
	v_lshrrev_b16_e32 v40, 8, v38
	v_cmp_ne_u16_e32 vcc, 0, v40
	v_mov_b32_e32 v59, 0
	v_mov_b32_e32 v60, 0
	s_and_saveexec_b64 s[14:15], vcc
	s_cbranch_execz .LBB614_491
; %bb.486:                              ;   in Loop: Header=BB614_215 Depth=1
	v_cmp_ne_u16_e32 vcc, s9, v40
	v_bfrev_b32_e32 v60, 1
	s_and_saveexec_b64 s[16:17], vcc
	s_cbranch_execz .LBB614_490
; %bb.487:                              ;   in Loop: Header=BB614_215 Depth=1
	v_and_b32_e32 v42, 0x7f, v40
	v_cmp_ne_u32_e32 vcc, s21, v42
	v_mov_b32_e32 v60, 0x7f800001
	s_and_saveexec_b64 s[18:19], vcc
	s_cbranch_execz .LBB614_489
; %bb.488:                              ;   in Loop: Header=BB614_215 Depth=1
	v_and_b32_e32 v51, 7, v40
	v_ffbh_u32_e32 v60, v51
	v_min_u32_e32 v63, 32, v60
	v_subrev_u32_e32 v60, 28, v63
	v_lshlrev_b64 v[60:61], v60, v[40:41]
	v_lshrrev_b32_e32 v62, 3, v42
	v_sub_u32_e32 v40, 29, v63
	v_and_b32_e32 v60, 7, v60
	v_cmp_gt_u32_e32 vcc, 8, v42
	v_cndmask_b32_e32 v40, v62, v40, vcc
	v_cndmask_b32_e32 v42, v51, v60, vcc
	v_lshlrev_b32_e32 v51, 16, v38
	v_lshlrev_b32_e32 v42, 20, v42
	v_and_b32_e32 v51, 0x80000000, v51
	v_lshl_add_u32 v40, v40, 23, v55
	v_or3_b32 v60, v51, v40, v42
.LBB614_489:                            ;   in Loop: Header=BB614_215 Depth=1
	s_or_b64 exec, exec, s[18:19]
.LBB614_490:                            ;   in Loop: Header=BB614_215 Depth=1
	s_or_b64 exec, exec, s[16:17]
.LBB614_491:                            ;   in Loop: Header=BB614_215 Depth=1
	s_or_b64 exec, exec, s[14:15]
	v_lshrrev_b32_e32 v40, 16, v38
	v_cmp_ne_u16_sdwa s[16:17], v40, v54 src0_sel:BYTE_0 src1_sel:DWORD
	s_and_saveexec_b64 s[14:15], s[16:17]
	s_cbranch_execz .LBB614_497
; %bb.492:                              ;   in Loop: Header=BB614_215 Depth=1
	v_cmp_ne_u16_sdwa s[18:19], v40, s9 src0_sel:BYTE_0 src1_sel:DWORD
	v_bfrev_b32_e32 v59, 1
	s_and_saveexec_b64 s[16:17], s[18:19]
	s_cbranch_execz .LBB614_496
; %bb.493:                              ;   in Loop: Header=BB614_215 Depth=1
	v_bfe_u32 v42, v38, 16, 7
	v_cmp_ne_u32_e32 vcc, s21, v42
	v_mov_b32_e32 v59, 0x7f800001
	s_and_saveexec_b64 s[18:19], vcc
	s_cbranch_execz .LBB614_495
; %bb.494:                              ;   in Loop: Header=BB614_215 Depth=1
	v_and_b32_e32 v51, 7, v40
	v_ffbh_u32_e32 v61, v51
	v_min_u32_e32 v61, 32, v61
	v_subrev_u32_e32 v62, 28, v61
	v_lshlrev_b64 v[62:63], v62, v[40:41]
	v_lshrrev_b32_e32 v59, 3, v42
	v_sub_u32_e32 v61, 29, v61
	v_and_b32_e32 v62, 7, v62
	v_cmp_gt_u32_e32 vcc, 8, v42
	v_cndmask_b32_e32 v42, v59, v61, vcc
	v_cndmask_b32_e32 v51, v51, v62, vcc
	v_lshlrev_b32_e32 v40, 24, v40
	v_lshlrev_b32_e32 v51, 20, v51
	v_and_b32_e32 v40, 0x80000000, v40
	v_lshl_add_u32 v42, v42, 23, v55
	v_or3_b32 v59, v40, v42, v51
.LBB614_495:                            ;   in Loop: Header=BB614_215 Depth=1
	s_or_b64 exec, exec, s[18:19]
.LBB614_496:                            ;   in Loop: Header=BB614_215 Depth=1
	s_or_b64 exec, exec, s[16:17]
.LBB614_497:                            ;   in Loop: Header=BB614_215 Depth=1
	s_or_b64 exec, exec, s[14:15]
	v_cmp_lt_u32_e32 vcc, s22, v38
	v_mov_b32_e32 v51, 0
	v_mov_b32_e32 v61, 0
	s_and_saveexec_b64 s[14:15], vcc
	s_cbranch_execz .LBB614_503
; %bb.498:                              ;   in Loop: Header=BB614_215 Depth=1
	v_lshrrev_b32_e32 v40, 24, v38
	v_cmp_ne_u32_e32 vcc, s9, v40
	v_bfrev_b32_e32 v61, 1
	s_and_saveexec_b64 s[16:17], vcc
	s_cbranch_execz .LBB614_502
; %bb.499:                              ;   in Loop: Header=BB614_215 Depth=1
	v_bfe_u32 v38, v38, 24, 7
	v_cmp_ne_u32_e32 vcc, s21, v38
	v_mov_b32_e32 v61, 0x7f800001
	s_and_saveexec_b64 s[18:19], vcc
	s_cbranch_execz .LBB614_501
; %bb.500:                              ;   in Loop: Header=BB614_215 Depth=1
	v_and_b32_e32 v42, 7, v40
	v_ffbh_u32_e32 v62, v42
	v_min_u32_e32 v64, 32, v62
	v_subrev_u32_e32 v62, 28, v64
	v_lshlrev_b64 v[62:63], v62, v[40:41]
	v_lshrrev_b32_e32 v61, 3, v38
	v_sub_u32_e32 v63, 29, v64
	v_and_b32_e32 v62, 7, v62
	v_cmp_gt_u32_e32 vcc, 8, v38
	v_cndmask_b32_e32 v38, v61, v63, vcc
	v_cndmask_b32_e32 v42, v42, v62, vcc
	v_lshlrev_b32_e32 v40, 24, v40
	v_lshlrev_b32_e32 v42, 20, v42
	v_and_b32_e32 v40, 0x80000000, v40
	v_lshl_add_u32 v38, v38, 23, v55
	v_or3_b32 v61, v40, v38, v42
.LBB614_501:                            ;   in Loop: Header=BB614_215 Depth=1
	s_or_b64 exec, exec, s[18:19]
.LBB614_502:                            ;   in Loop: Header=BB614_215 Depth=1
	s_or_b64 exec, exec, s[16:17]
.LBB614_503:                            ;   in Loop: Header=BB614_215 Depth=1
	s_or_b64 exec, exec, s[14:15]
	v_cvt_pkrtz_f16_f32 v63, v44, v58
	buffer_load_dword v44, v50, s[0:3], 0 offen
	buffer_load_dword v42, v50, s[0:3], 0 offen offset:4
	buffer_load_dword v40, v50, s[0:3], 0 offen offset:8
	;; [unrolled: 1-line block ×3, first 2 shown]
	v_cvt_pkrtz_f16_f32 v62, v46, v56
	v_cvt_pkrtz_f16_f32 v56, v57, v60
	;; [unrolled: 1-line block ×3, first 2 shown]
	v_mfma_f32_16x16x16f16 v[34:37], v[62:63], v[22:23], v[34:37]
	s_waitcnt vmcnt(3)
	v_cmp_ne_u16_sdwa s[16:17], v44, v54 src0_sel:BYTE_0 src1_sel:DWORD
	v_mfma_f32_16x16x16f16 v[34:37], v[56:57], v[24:25], v[34:37]
	s_and_saveexec_b64 s[14:15], s[16:17]
	s_cbranch_execz .LBB614_509
; %bb.504:                              ;   in Loop: Header=BB614_215 Depth=1
	v_cmp_ne_u16_sdwa s[18:19], v44, s9 src0_sel:BYTE_0 src1_sel:DWORD
	v_bfrev_b32_e32 v51, 1
	s_and_saveexec_b64 s[16:17], s[18:19]
	s_cbranch_execz .LBB614_508
; %bb.505:                              ;   in Loop: Header=BB614_215 Depth=1
	v_and_b32_e32 v46, 0x7f, v44
	v_cmp_ne_u32_e32 vcc, s21, v46
	v_mov_b32_e32 v51, 0x7f800001
	s_and_saveexec_b64 s[18:19], vcc
	s_cbranch_execz .LBB614_507
; %bb.506:                              ;   in Loop: Header=BB614_215 Depth=1
	v_and_b32_e32 v56, 7, v44
	v_ffbh_u32_e32 v50, v56
	v_min_u32_e32 v58, 32, v50
	v_subrev_u32_e32 v50, 28, v58
	v_lshlrev_b64 v[50:51], v50, v[44:45]
	v_lshrrev_b32_e32 v57, 3, v46
	v_sub_u32_e32 v51, 29, v58
	v_and_b32_e32 v50, 7, v50
	v_cmp_gt_u32_e32 vcc, 8, v46
	v_cndmask_b32_e32 v46, v57, v51, vcc
	v_cndmask_b32_e32 v50, v56, v50, vcc
	v_lshlrev_b32_e32 v51, 24, v44
	v_lshlrev_b32_e32 v50, 20, v50
	v_and_b32_e32 v51, 0x80000000, v51
	v_lshl_add_u32 v46, v46, 23, v55
	v_or3_b32 v51, v51, v46, v50
.LBB614_507:                            ;   in Loop: Header=BB614_215 Depth=1
	s_or_b64 exec, exec, s[18:19]
.LBB614_508:                            ;   in Loop: Header=BB614_215 Depth=1
	s_or_b64 exec, exec, s[16:17]
.LBB614_509:                            ;   in Loop: Header=BB614_215 Depth=1
	s_or_b64 exec, exec, s[14:15]
	v_lshrrev_b16_e32 v46, 8, v44
	v_cmp_ne_u16_e32 vcc, 0, v46
	v_mov_b32_e32 v50, 0
	v_mov_b32_e32 v56, 0
	s_and_saveexec_b64 s[14:15], vcc
	s_cbranch_execz .LBB614_515
; %bb.510:                              ;   in Loop: Header=BB614_215 Depth=1
	v_cmp_ne_u16_e32 vcc, s9, v46
	v_bfrev_b32_e32 v56, 1
	s_and_saveexec_b64 s[16:17], vcc
	s_cbranch_execz .LBB614_514
; %bb.511:                              ;   in Loop: Header=BB614_215 Depth=1
	v_and_b32_e32 v57, 0x7f, v46
	v_cmp_ne_u32_e32 vcc, s21, v57
	v_mov_b32_e32 v56, 0x7f800001
	s_and_saveexec_b64 s[18:19], vcc
	s_cbranch_execz .LBB614_513
; %bb.512:                              ;   in Loop: Header=BB614_215 Depth=1
	v_and_b32_e32 v56, 7, v46
	v_ffbh_u32_e32 v58, v56
	v_min_u32_e32 v61, 32, v58
	v_subrev_u32_e32 v58, 28, v61
	v_lshlrev_b64 v[58:59], v58, v[46:47]
	v_lshrrev_b32_e32 v60, 3, v57
	v_sub_u32_e32 v46, 29, v61
	v_and_b32_e32 v58, 7, v58
	v_cmp_gt_u32_e32 vcc, 8, v57
	v_cndmask_b32_e32 v46, v60, v46, vcc
	v_cndmask_b32_e32 v56, v56, v58, vcc
	v_lshlrev_b32_e32 v57, 16, v44
	v_lshlrev_b32_e32 v56, 20, v56
	v_and_b32_e32 v57, 0x80000000, v57
	v_lshl_add_u32 v46, v46, 23, v55
	v_or3_b32 v56, v57, v46, v56
.LBB614_513:                            ;   in Loop: Header=BB614_215 Depth=1
	s_or_b64 exec, exec, s[18:19]
.LBB614_514:                            ;   in Loop: Header=BB614_215 Depth=1
	s_or_b64 exec, exec, s[16:17]
.LBB614_515:                            ;   in Loop: Header=BB614_215 Depth=1
	s_or_b64 exec, exec, s[14:15]
	v_lshrrev_b32_e32 v46, 16, v44
	v_cmp_ne_u16_sdwa s[16:17], v46, v54 src0_sel:BYTE_0 src1_sel:DWORD
	s_and_saveexec_b64 s[14:15], s[16:17]
	s_cbranch_execz .LBB614_521
; %bb.516:                              ;   in Loop: Header=BB614_215 Depth=1
	v_cmp_ne_u16_sdwa s[18:19], v46, s9 src0_sel:BYTE_0 src1_sel:DWORD
	v_bfrev_b32_e32 v50, 1
	s_and_saveexec_b64 s[16:17], s[18:19]
	s_cbranch_execz .LBB614_520
; %bb.517:                              ;   in Loop: Header=BB614_215 Depth=1
	v_bfe_u32 v57, v44, 16, 7
	v_cmp_ne_u32_e32 vcc, s21, v57
	v_mov_b32_e32 v50, 0x7f800001
	s_and_saveexec_b64 s[18:19], vcc
	s_cbranch_execz .LBB614_519
; %bb.518:                              ;   in Loop: Header=BB614_215 Depth=1
	v_and_b32_e32 v50, 7, v46
	v_ffbh_u32_e32 v58, v50
	v_min_u32_e32 v61, 32, v58
	v_subrev_u32_e32 v58, 28, v61
	v_lshlrev_b64 v[58:59], v58, v[46:47]
	v_lshrrev_b32_e32 v60, 3, v57
	v_sub_u32_e32 v59, 29, v61
	v_and_b32_e32 v58, 7, v58
	v_cmp_gt_u32_e32 vcc, 8, v57
	v_cndmask_b32_e32 v57, v60, v59, vcc
	v_cndmask_b32_e32 v50, v50, v58, vcc
	v_lshlrev_b32_e32 v46, 24, v46
	v_lshlrev_b32_e32 v50, 20, v50
	v_and_b32_e32 v46, 0x80000000, v46
	v_lshl_add_u32 v57, v57, 23, v55
	v_or3_b32 v50, v46, v57, v50
.LBB614_519:                            ;   in Loop: Header=BB614_215 Depth=1
	s_or_b64 exec, exec, s[18:19]
.LBB614_520:                            ;   in Loop: Header=BB614_215 Depth=1
	s_or_b64 exec, exec, s[16:17]
.LBB614_521:                            ;   in Loop: Header=BB614_215 Depth=1
	s_or_b64 exec, exec, s[14:15]
	v_cmp_lt_u32_e32 vcc, s22, v44
	v_mov_b32_e32 v57, 0
	v_mov_b32_e32 v58, 0
	s_and_saveexec_b64 s[14:15], vcc
	s_cbranch_execz .LBB614_527
; %bb.522:                              ;   in Loop: Header=BB614_215 Depth=1
	v_lshrrev_b32_e32 v46, 24, v44
	v_cmp_ne_u32_e32 vcc, s9, v46
	v_bfrev_b32_e32 v58, 1
	s_and_saveexec_b64 s[16:17], vcc
	s_cbranch_execz .LBB614_526
; %bb.523:                              ;   in Loop: Header=BB614_215 Depth=1
	v_bfe_u32 v44, v44, 24, 7
	v_cmp_ne_u32_e32 vcc, s21, v44
	v_mov_b32_e32 v58, 0x7f800001
	s_and_saveexec_b64 s[18:19], vcc
	s_cbranch_execz .LBB614_525
; %bb.524:                              ;   in Loop: Header=BB614_215 Depth=1
	v_and_b32_e32 v60, 7, v46
	v_ffbh_u32_e32 v58, v60
	v_min_u32_e32 v62, 32, v58
	v_subrev_u32_e32 v58, 28, v62
	v_lshlrev_b64 v[58:59], v58, v[46:47]
	v_lshrrev_b32_e32 v61, 3, v44
	v_sub_u32_e32 v59, 29, v62
	v_and_b32_e32 v58, 7, v58
	v_cmp_gt_u32_e32 vcc, 8, v44
	v_cndmask_b32_e32 v44, v61, v59, vcc
	v_cndmask_b32_e32 v58, v60, v58, vcc
	v_lshlrev_b32_e32 v46, 24, v46
	v_lshlrev_b32_e32 v58, 20, v58
	v_and_b32_e32 v46, 0x80000000, v46
	v_lshl_add_u32 v44, v44, 23, v55
	v_or3_b32 v58, v46, v44, v58
.LBB614_525:                            ;   in Loop: Header=BB614_215 Depth=1
	s_or_b64 exec, exec, s[18:19]
.LBB614_526:                            ;   in Loop: Header=BB614_215 Depth=1
	s_or_b64 exec, exec, s[16:17]
.LBB614_527:                            ;   in Loop: Header=BB614_215 Depth=1
	s_or_b64 exec, exec, s[14:15]
	s_waitcnt vmcnt(2)
	v_cmp_ne_u16_sdwa s[16:17], v42, v54 src0_sel:BYTE_0 src1_sel:DWORD
	s_and_saveexec_b64 s[14:15], s[16:17]
	s_cbranch_execz .LBB614_533
; %bb.528:                              ;   in Loop: Header=BB614_215 Depth=1
	v_cmp_ne_u16_sdwa s[18:19], v42, s9 src0_sel:BYTE_0 src1_sel:DWORD
	v_bfrev_b32_e32 v57, 1
	s_and_saveexec_b64 s[16:17], s[18:19]
	s_cbranch_execz .LBB614_532
; %bb.529:                              ;   in Loop: Header=BB614_215 Depth=1
	v_and_b32_e32 v44, 0x7f, v42
	v_cmp_ne_u32_e32 vcc, s21, v44
	v_mov_b32_e32 v57, 0x7f800001
	s_and_saveexec_b64 s[18:19], vcc
	s_cbranch_execz .LBB614_531
; %bb.530:                              ;   in Loop: Header=BB614_215 Depth=1
	v_and_b32_e32 v46, 7, v42
	v_ffbh_u32_e32 v59, v46
	v_min_u32_e32 v59, 32, v59
	v_subrev_u32_e32 v60, 28, v59
	v_lshlrev_b64 v[60:61], v60, v[42:43]
	v_lshrrev_b32_e32 v57, 3, v44
	v_sub_u32_e32 v59, 29, v59
	v_and_b32_e32 v60, 7, v60
	v_cmp_gt_u32_e32 vcc, 8, v44
	v_cndmask_b32_e32 v44, v57, v59, vcc
	v_cndmask_b32_e32 v46, v46, v60, vcc
	v_lshlrev_b32_e32 v57, 24, v42
	v_lshlrev_b32_e32 v46, 20, v46
	v_and_b32_e32 v57, 0x80000000, v57
	v_lshl_add_u32 v44, v44, 23, v55
	v_or3_b32 v57, v57, v44, v46
.LBB614_531:                            ;   in Loop: Header=BB614_215 Depth=1
	s_or_b64 exec, exec, s[18:19]
.LBB614_532:                            ;   in Loop: Header=BB614_215 Depth=1
	s_or_b64 exec, exec, s[16:17]
.LBB614_533:                            ;   in Loop: Header=BB614_215 Depth=1
	s_or_b64 exec, exec, s[14:15]
	v_lshrrev_b16_e32 v44, 8, v42
	v_cmp_ne_u16_e32 vcc, 0, v44
	v_mov_b32_e32 v59, 0
	v_mov_b32_e32 v60, 0
	s_and_saveexec_b64 s[14:15], vcc
	s_cbranch_execz .LBB614_539
; %bb.534:                              ;   in Loop: Header=BB614_215 Depth=1
	v_cmp_ne_u16_e32 vcc, s9, v44
	v_bfrev_b32_e32 v60, 1
	s_and_saveexec_b64 s[16:17], vcc
	s_cbranch_execz .LBB614_538
; %bb.535:                              ;   in Loop: Header=BB614_215 Depth=1
	v_and_b32_e32 v46, 0x7f, v44
	v_cmp_ne_u32_e32 vcc, s21, v46
	v_mov_b32_e32 v60, 0x7f800001
	s_and_saveexec_b64 s[18:19], vcc
	s_cbranch_execz .LBB614_537
; %bb.536:                              ;   in Loop: Header=BB614_215 Depth=1
	v_and_b32_e32 v62, 7, v44
	v_ffbh_u32_e32 v60, v62
	v_min_u32_e32 v64, 32, v60
	v_subrev_u32_e32 v60, 28, v64
	v_lshlrev_b64 v[60:61], v60, v[44:45]
	v_lshrrev_b32_e32 v63, 3, v46
	v_sub_u32_e32 v44, 29, v64
	v_and_b32_e32 v60, 7, v60
	v_cmp_gt_u32_e32 vcc, 8, v46
	v_cndmask_b32_e32 v44, v63, v44, vcc
	v_cndmask_b32_e32 v46, v62, v60, vcc
	v_lshlrev_b32_e32 v60, 16, v42
	v_lshlrev_b32_e32 v46, 20, v46
	v_and_b32_e32 v60, 0x80000000, v60
	v_lshl_add_u32 v44, v44, 23, v55
	v_or3_b32 v60, v60, v44, v46
.LBB614_537:                            ;   in Loop: Header=BB614_215 Depth=1
	s_or_b64 exec, exec, s[18:19]
.LBB614_538:                            ;   in Loop: Header=BB614_215 Depth=1
	s_or_b64 exec, exec, s[16:17]
.LBB614_539:                            ;   in Loop: Header=BB614_215 Depth=1
	s_or_b64 exec, exec, s[14:15]
	v_lshrrev_b32_e32 v44, 16, v42
	v_cmp_ne_u16_sdwa s[16:17], v44, v54 src0_sel:BYTE_0 src1_sel:DWORD
	s_and_saveexec_b64 s[14:15], s[16:17]
	s_cbranch_execz .LBB614_545
; %bb.540:                              ;   in Loop: Header=BB614_215 Depth=1
	v_cmp_ne_u16_sdwa s[18:19], v44, s9 src0_sel:BYTE_0 src1_sel:DWORD
	v_bfrev_b32_e32 v59, 1
	s_and_saveexec_b64 s[16:17], s[18:19]
	s_cbranch_execz .LBB614_544
; %bb.541:                              ;   in Loop: Header=BB614_215 Depth=1
	v_bfe_u32 v46, v42, 16, 7
	v_cmp_ne_u32_e32 vcc, s21, v46
	v_mov_b32_e32 v59, 0x7f800001
	s_and_saveexec_b64 s[18:19], vcc
	s_cbranch_execz .LBB614_543
; %bb.542:                              ;   in Loop: Header=BB614_215 Depth=1
	v_and_b32_e32 v59, 7, v44
	v_ffbh_u32_e32 v62, v59
	v_min_u32_e32 v64, 32, v62
	v_subrev_u32_e32 v62, 28, v64
	v_lshlrev_b64 v[62:63], v62, v[44:45]
	v_lshrrev_b32_e32 v61, 3, v46
	v_sub_u32_e32 v63, 29, v64
	v_and_b32_e32 v62, 7, v62
	v_cmp_gt_u32_e32 vcc, 8, v46
	v_cndmask_b32_e32 v46, v61, v63, vcc
	v_cndmask_b32_e32 v59, v59, v62, vcc
	v_lshlrev_b32_e32 v44, 24, v44
	v_lshlrev_b32_e32 v59, 20, v59
	v_and_b32_e32 v44, 0x80000000, v44
	v_lshl_add_u32 v46, v46, 23, v55
	v_or3_b32 v59, v44, v46, v59
.LBB614_543:                            ;   in Loop: Header=BB614_215 Depth=1
	s_or_b64 exec, exec, s[18:19]
.LBB614_544:                            ;   in Loop: Header=BB614_215 Depth=1
	s_or_b64 exec, exec, s[16:17]
.LBB614_545:                            ;   in Loop: Header=BB614_215 Depth=1
	s_or_b64 exec, exec, s[14:15]
	v_cmp_lt_u32_e32 vcc, s22, v42
	v_mov_b32_e32 v46, 0
	v_mov_b32_e32 v61, 0
	s_and_saveexec_b64 s[14:15], vcc
	s_cbranch_execz .LBB614_551
; %bb.546:                              ;   in Loop: Header=BB614_215 Depth=1
	v_lshrrev_b32_e32 v44, 24, v42
	v_cmp_ne_u32_e32 vcc, s9, v44
	v_bfrev_b32_e32 v61, 1
	s_and_saveexec_b64 s[16:17], vcc
	s_cbranch_execz .LBB614_550
; %bb.547:                              ;   in Loop: Header=BB614_215 Depth=1
	v_bfe_u32 v42, v42, 24, 7
	v_cmp_ne_u32_e32 vcc, s21, v42
	v_mov_b32_e32 v61, 0x7f800001
	s_and_saveexec_b64 s[18:19], vcc
	s_cbranch_execz .LBB614_549
; %bb.548:                              ;   in Loop: Header=BB614_215 Depth=1
	v_and_b32_e32 v61, 7, v44
	v_ffbh_u32_e32 v62, v61
	v_min_u32_e32 v65, 32, v62
	v_subrev_u32_e32 v62, 28, v65
	v_lshlrev_b64 v[62:63], v62, v[44:45]
	v_lshrrev_b32_e32 v64, 3, v42
	v_sub_u32_e32 v63, 29, v65
	v_and_b32_e32 v62, 7, v62
	v_cmp_gt_u32_e32 vcc, 8, v42
	v_cndmask_b32_e32 v42, v64, v63, vcc
	v_cndmask_b32_e32 v61, v61, v62, vcc
	v_lshlrev_b32_e32 v44, 24, v44
	v_lshlrev_b32_e32 v61, 20, v61
	v_and_b32_e32 v44, 0x80000000, v44
	v_lshl_add_u32 v42, v42, 23, v55
	v_or3_b32 v61, v44, v42, v61
.LBB614_549:                            ;   in Loop: Header=BB614_215 Depth=1
	s_or_b64 exec, exec, s[18:19]
.LBB614_550:                            ;   in Loop: Header=BB614_215 Depth=1
	s_or_b64 exec, exec, s[16:17]
.LBB614_551:                            ;   in Loop: Header=BB614_215 Depth=1
	s_or_b64 exec, exec, s[14:15]
	v_cvt_pkrtz_f16_f32 v62, v51, v56
	v_cvt_pkrtz_f16_f32 v63, v50, v58
	;; [unrolled: 1-line block ×4, first 2 shown]
	s_waitcnt vmcnt(1)
	v_cmp_ne_u16_sdwa s[16:17], v40, v54 src0_sel:BYTE_0 src1_sel:DWORD
	v_mfma_f32_16x16x16f16 v[34:37], v[62:63], v[26:27], v[34:37]
	v_mfma_f32_16x16x16f16 v[34:37], v[50:51], v[28:29], v[34:37]
	s_and_saveexec_b64 s[14:15], s[16:17]
	s_cbranch_execz .LBB614_557
; %bb.552:                              ;   in Loop: Header=BB614_215 Depth=1
	v_cmp_ne_u16_sdwa s[18:19], v40, s9 src0_sel:BYTE_0 src1_sel:DWORD
	v_bfrev_b32_e32 v46, 1
	s_and_saveexec_b64 s[16:17], s[18:19]
	s_cbranch_execz .LBB614_556
; %bb.553:                              ;   in Loop: Header=BB614_215 Depth=1
	v_and_b32_e32 v42, 0x7f, v40
	v_cmp_ne_u32_e32 vcc, s21, v42
	v_mov_b32_e32 v46, 0x7f800001
	s_and_saveexec_b64 s[18:19], vcc
	s_cbranch_execz .LBB614_555
; %bb.554:                              ;   in Loop: Header=BB614_215 Depth=1
	v_and_b32_e32 v44, 7, v40
	v_ffbh_u32_e32 v50, v44
	v_min_u32_e32 v56, 32, v50
	v_subrev_u32_e32 v50, 28, v56
	v_lshlrev_b64 v[50:51], v50, v[40:41]
	v_lshrrev_b32_e32 v46, 3, v42
	v_sub_u32_e32 v51, 29, v56
	v_and_b32_e32 v50, 7, v50
	v_cmp_gt_u32_e32 vcc, 8, v42
	v_cndmask_b32_e32 v42, v46, v51, vcc
	v_cndmask_b32_e32 v44, v44, v50, vcc
	v_lshlrev_b32_e32 v46, 24, v40
	v_lshlrev_b32_e32 v44, 20, v44
	v_and_b32_e32 v46, 0x80000000, v46
	v_lshl_add_u32 v42, v42, 23, v55
	v_or3_b32 v46, v46, v42, v44
.LBB614_555:                            ;   in Loop: Header=BB614_215 Depth=1
	s_or_b64 exec, exec, s[18:19]
.LBB614_556:                            ;   in Loop: Header=BB614_215 Depth=1
	s_or_b64 exec, exec, s[16:17]
.LBB614_557:                            ;   in Loop: Header=BB614_215 Depth=1
	s_or_b64 exec, exec, s[14:15]
	v_lshrrev_b16_e32 v42, 8, v40
	v_cmp_ne_u16_e32 vcc, 0, v42
	v_mov_b32_e32 v44, 0
	v_mov_b32_e32 v50, 0
	s_and_saveexec_b64 s[14:15], vcc
	s_cbranch_execz .LBB614_563
; %bb.558:                              ;   in Loop: Header=BB614_215 Depth=1
	v_cmp_ne_u16_e32 vcc, s9, v42
	v_bfrev_b32_e32 v50, 1
	s_and_saveexec_b64 s[16:17], vcc
	s_cbranch_execz .LBB614_562
; %bb.559:                              ;   in Loop: Header=BB614_215 Depth=1
	v_and_b32_e32 v51, 0x7f, v42
	v_cmp_ne_u32_e32 vcc, s21, v51
	v_mov_b32_e32 v50, 0x7f800001
	s_and_saveexec_b64 s[18:19], vcc
	s_cbranch_execz .LBB614_561
; %bb.560:                              ;   in Loop: Header=BB614_215 Depth=1
	v_and_b32_e32 v50, 7, v42
	v_ffbh_u32_e32 v56, v50
	v_min_u32_e32 v59, 32, v56
	v_subrev_u32_e32 v56, 28, v59
	v_lshlrev_b64 v[56:57], v56, v[42:43]
	v_lshrrev_b32_e32 v58, 3, v51
	v_sub_u32_e32 v42, 29, v59
	v_and_b32_e32 v56, 7, v56
	v_cmp_gt_u32_e32 vcc, 8, v51
	v_cndmask_b32_e32 v42, v58, v42, vcc
	v_cndmask_b32_e32 v50, v50, v56, vcc
	v_lshlrev_b32_e32 v51, 16, v40
	v_lshlrev_b32_e32 v50, 20, v50
	v_and_b32_e32 v51, 0x80000000, v51
	v_lshl_add_u32 v42, v42, 23, v55
	v_or3_b32 v50, v51, v42, v50
.LBB614_561:                            ;   in Loop: Header=BB614_215 Depth=1
	s_or_b64 exec, exec, s[18:19]
.LBB614_562:                            ;   in Loop: Header=BB614_215 Depth=1
	s_or_b64 exec, exec, s[16:17]
.LBB614_563:                            ;   in Loop: Header=BB614_215 Depth=1
	s_or_b64 exec, exec, s[14:15]
	v_lshrrev_b32_e32 v42, 16, v40
	v_cmp_ne_u16_sdwa s[16:17], v42, v54 src0_sel:BYTE_0 src1_sel:DWORD
	s_and_saveexec_b64 s[14:15], s[16:17]
	s_cbranch_execz .LBB614_569
; %bb.564:                              ;   in Loop: Header=BB614_215 Depth=1
	v_cmp_ne_u16_sdwa s[18:19], v42, s9 src0_sel:BYTE_0 src1_sel:DWORD
	v_bfrev_b32_e32 v44, 1
	s_and_saveexec_b64 s[16:17], s[18:19]
	s_cbranch_execz .LBB614_568
; %bb.565:                              ;   in Loop: Header=BB614_215 Depth=1
	v_bfe_u32 v51, v40, 16, 7
	v_cmp_ne_u32_e32 vcc, s21, v51
	v_mov_b32_e32 v44, 0x7f800001
	s_and_saveexec_b64 s[18:19], vcc
	s_cbranch_execz .LBB614_567
; %bb.566:                              ;   in Loop: Header=BB614_215 Depth=1
	v_and_b32_e32 v44, 7, v42
	v_ffbh_u32_e32 v56, v44
	v_min_u32_e32 v59, 32, v56
	v_subrev_u32_e32 v56, 28, v59
	v_lshlrev_b64 v[56:57], v56, v[42:43]
	v_lshrrev_b32_e32 v58, 3, v51
	v_sub_u32_e32 v57, 29, v59
	v_and_b32_e32 v56, 7, v56
	v_cmp_gt_u32_e32 vcc, 8, v51
	v_cndmask_b32_e32 v51, v58, v57, vcc
	v_cndmask_b32_e32 v44, v44, v56, vcc
	v_lshlrev_b32_e32 v42, 24, v42
	v_lshlrev_b32_e32 v44, 20, v44
	v_and_b32_e32 v42, 0x80000000, v42
	v_lshl_add_u32 v51, v51, 23, v55
	v_or3_b32 v44, v42, v51, v44
.LBB614_567:                            ;   in Loop: Header=BB614_215 Depth=1
	s_or_b64 exec, exec, s[18:19]
.LBB614_568:                            ;   in Loop: Header=BB614_215 Depth=1
	s_or_b64 exec, exec, s[16:17]
.LBB614_569:                            ;   in Loop: Header=BB614_215 Depth=1
	s_or_b64 exec, exec, s[14:15]
	v_cmp_lt_u32_e32 vcc, s22, v40
	v_mov_b32_e32 v51, 0
	v_mov_b32_e32 v56, 0
	s_and_saveexec_b64 s[14:15], vcc
	s_cbranch_execz .LBB614_575
; %bb.570:                              ;   in Loop: Header=BB614_215 Depth=1
	v_lshrrev_b32_e32 v42, 24, v40
	v_cmp_ne_u32_e32 vcc, s9, v42
	v_bfrev_b32_e32 v56, 1
	s_and_saveexec_b64 s[16:17], vcc
	s_cbranch_execz .LBB614_574
; %bb.571:                              ;   in Loop: Header=BB614_215 Depth=1
	v_bfe_u32 v40, v40, 24, 7
	v_cmp_ne_u32_e32 vcc, s21, v40
	v_mov_b32_e32 v56, 0x7f800001
	s_and_saveexec_b64 s[18:19], vcc
	s_cbranch_execz .LBB614_573
; %bb.572:                              ;   in Loop: Header=BB614_215 Depth=1
	v_and_b32_e32 v58, 7, v42
	v_ffbh_u32_e32 v56, v58
	v_min_u32_e32 v60, 32, v56
	v_subrev_u32_e32 v56, 28, v60
	v_lshlrev_b64 v[56:57], v56, v[42:43]
	v_lshrrev_b32_e32 v59, 3, v40
	v_sub_u32_e32 v57, 29, v60
	v_and_b32_e32 v56, 7, v56
	v_cmp_gt_u32_e32 vcc, 8, v40
	v_cndmask_b32_e32 v40, v59, v57, vcc
	v_cndmask_b32_e32 v56, v58, v56, vcc
	v_lshlrev_b32_e32 v42, 24, v42
	v_lshlrev_b32_e32 v56, 20, v56
	v_and_b32_e32 v42, 0x80000000, v42
	v_lshl_add_u32 v40, v40, 23, v55
	v_or3_b32 v56, v42, v40, v56
.LBB614_573:                            ;   in Loop: Header=BB614_215 Depth=1
	s_or_b64 exec, exec, s[18:19]
.LBB614_574:                            ;   in Loop: Header=BB614_215 Depth=1
	s_or_b64 exec, exec, s[16:17]
.LBB614_575:                            ;   in Loop: Header=BB614_215 Depth=1
	s_or_b64 exec, exec, s[14:15]
	s_waitcnt vmcnt(0)
	v_cmp_ne_u16_sdwa s[16:17], v38, v54 src0_sel:BYTE_0 src1_sel:DWORD
	s_and_saveexec_b64 s[14:15], s[16:17]
	s_cbranch_execz .LBB614_581
; %bb.576:                              ;   in Loop: Header=BB614_215 Depth=1
	v_cmp_ne_u16_sdwa s[18:19], v38, s9 src0_sel:BYTE_0 src1_sel:DWORD
	v_bfrev_b32_e32 v51, 1
	s_and_saveexec_b64 s[16:17], s[18:19]
	s_cbranch_execz .LBB614_580
; %bb.577:                              ;   in Loop: Header=BB614_215 Depth=1
	v_and_b32_e32 v40, 0x7f, v38
	v_cmp_ne_u32_e32 vcc, s21, v40
	v_mov_b32_e32 v51, 0x7f800001
	s_and_saveexec_b64 s[18:19], vcc
	s_cbranch_execz .LBB614_579
; %bb.578:                              ;   in Loop: Header=BB614_215 Depth=1
	v_and_b32_e32 v42, 7, v38
	v_ffbh_u32_e32 v57, v42
	v_min_u32_e32 v57, 32, v57
	v_subrev_u32_e32 v58, 28, v57
	v_lshlrev_b64 v[58:59], v58, v[38:39]
	v_lshrrev_b32_e32 v51, 3, v40
	v_sub_u32_e32 v57, 29, v57
	v_and_b32_e32 v58, 7, v58
	v_cmp_gt_u32_e32 vcc, 8, v40
	v_cndmask_b32_e32 v40, v51, v57, vcc
	v_cndmask_b32_e32 v42, v42, v58, vcc
	v_lshlrev_b32_e32 v51, 24, v38
	v_lshlrev_b32_e32 v42, 20, v42
	v_and_b32_e32 v51, 0x80000000, v51
	v_lshl_add_u32 v40, v40, 23, v55
	v_or3_b32 v51, v51, v40, v42
.LBB614_579:                            ;   in Loop: Header=BB614_215 Depth=1
	s_or_b64 exec, exec, s[18:19]
.LBB614_580:                            ;   in Loop: Header=BB614_215 Depth=1
	s_or_b64 exec, exec, s[16:17]
.LBB614_581:                            ;   in Loop: Header=BB614_215 Depth=1
	s_or_b64 exec, exec, s[14:15]
	v_lshrrev_b16_e32 v40, 8, v38
	v_cmp_ne_u16_e32 vcc, 0, v40
	v_mov_b32_e32 v42, 0
	v_mov_b32_e32 v57, 0
	s_and_saveexec_b64 s[14:15], vcc
	s_cbranch_execz .LBB614_587
; %bb.582:                              ;   in Loop: Header=BB614_215 Depth=1
	v_cmp_ne_u16_e32 vcc, s9, v40
	v_bfrev_b32_e32 v57, 1
	s_and_saveexec_b64 s[16:17], vcc
	s_cbranch_execz .LBB614_586
; %bb.583:                              ;   in Loop: Header=BB614_215 Depth=1
	v_and_b32_e32 v58, 0x7f, v40
	v_cmp_ne_u32_e32 vcc, s21, v58
	v_mov_b32_e32 v57, 0x7f800001
	s_and_saveexec_b64 s[18:19], vcc
	s_cbranch_execz .LBB614_585
; %bb.584:                              ;   in Loop: Header=BB614_215 Depth=1
	v_and_b32_e32 v57, 7, v40
	v_ffbh_u32_e32 v60, v57
	v_min_u32_e32 v62, 32, v60
	v_subrev_u32_e32 v60, 28, v62
	v_lshlrev_b64 v[60:61], v60, v[40:41]
	v_lshrrev_b32_e32 v59, 3, v58
	v_sub_u32_e32 v40, 29, v62
	v_and_b32_e32 v60, 7, v60
	v_cmp_gt_u32_e32 vcc, 8, v58
	v_cndmask_b32_e32 v40, v59, v40, vcc
	v_cndmask_b32_e32 v57, v57, v60, vcc
	v_lshlrev_b32_e32 v58, 16, v38
	v_lshlrev_b32_e32 v57, 20, v57
	v_and_b32_e32 v58, 0x80000000, v58
	v_lshl_add_u32 v40, v40, 23, v55
	v_or3_b32 v57, v58, v40, v57
.LBB614_585:                            ;   in Loop: Header=BB614_215 Depth=1
	s_or_b64 exec, exec, s[18:19]
.LBB614_586:                            ;   in Loop: Header=BB614_215 Depth=1
	s_or_b64 exec, exec, s[16:17]
.LBB614_587:                            ;   in Loop: Header=BB614_215 Depth=1
	s_or_b64 exec, exec, s[14:15]
	v_lshrrev_b32_e32 v40, 16, v38
	v_cmp_ne_u16_sdwa s[16:17], v40, v54 src0_sel:BYTE_0 src1_sel:DWORD
	s_and_saveexec_b64 s[14:15], s[16:17]
	s_cbranch_execz .LBB614_593
; %bb.588:                              ;   in Loop: Header=BB614_215 Depth=1
	v_cmp_ne_u16_sdwa s[18:19], v40, s9 src0_sel:BYTE_0 src1_sel:DWORD
	v_bfrev_b32_e32 v42, 1
	s_and_saveexec_b64 s[16:17], s[18:19]
	s_cbranch_execz .LBB614_592
; %bb.589:                              ;   in Loop: Header=BB614_215 Depth=1
	v_bfe_u32 v58, v38, 16, 7
	v_cmp_ne_u32_e32 vcc, s21, v58
	v_mov_b32_e32 v42, 0x7f800001
	s_and_saveexec_b64 s[18:19], vcc
	s_cbranch_execz .LBB614_591
; %bb.590:                              ;   in Loop: Header=BB614_215 Depth=1
	v_and_b32_e32 v42, 7, v40
	v_ffbh_u32_e32 v60, v42
	v_min_u32_e32 v62, 32, v60
	v_subrev_u32_e32 v60, 28, v62
	v_lshlrev_b64 v[60:61], v60, v[40:41]
	v_lshrrev_b32_e32 v59, 3, v58
	v_sub_u32_e32 v61, 29, v62
	v_and_b32_e32 v60, 7, v60
	v_cmp_gt_u32_e32 vcc, 8, v58
	v_cndmask_b32_e32 v58, v59, v61, vcc
	v_cndmask_b32_e32 v42, v42, v60, vcc
	v_lshlrev_b32_e32 v40, 24, v40
	v_lshlrev_b32_e32 v42, 20, v42
	v_and_b32_e32 v40, 0x80000000, v40
	v_lshl_add_u32 v58, v58, 23, v55
	v_or3_b32 v42, v40, v58, v42
.LBB614_591:                            ;   in Loop: Header=BB614_215 Depth=1
	s_or_b64 exec, exec, s[18:19]
.LBB614_592:                            ;   in Loop: Header=BB614_215 Depth=1
	s_or_b64 exec, exec, s[16:17]
.LBB614_593:                            ;   in Loop: Header=BB614_215 Depth=1
	s_or_b64 exec, exec, s[14:15]
	v_cmp_lt_u32_e32 vcc, s22, v38
	v_mov_b32_e32 v58, 0
	s_and_saveexec_b64 s[14:15], vcc
	s_cbranch_execz .LBB614_214
; %bb.594:                              ;   in Loop: Header=BB614_215 Depth=1
	v_lshrrev_b32_e32 v40, 24, v38
	v_cmp_ne_u32_e32 vcc, s9, v40
	v_bfrev_b32_e32 v58, 1
	s_and_saveexec_b64 s[16:17], vcc
	s_cbranch_execz .LBB614_213
; %bb.595:                              ;   in Loop: Header=BB614_215 Depth=1
	v_bfe_u32 v38, v38, 24, 7
	v_cmp_ne_u32_e32 vcc, s21, v38
	v_mov_b32_e32 v58, 0x7f800001
	s_and_saveexec_b64 s[18:19], vcc
	s_cbranch_execz .LBB614_212
; %bb.596:                              ;   in Loop: Header=BB614_215 Depth=1
	v_and_b32_e32 v60, 7, v40
	v_ffbh_u32_e32 v58, v60
	v_min_u32_e32 v62, 32, v58
	v_subrev_u32_e32 v58, 28, v62
	v_lshlrev_b64 v[58:59], v58, v[40:41]
	v_lshrrev_b32_e32 v61, 3, v38
	v_sub_u32_e32 v59, 29, v62
	v_and_b32_e32 v58, 7, v58
	v_cmp_gt_u32_e32 vcc, 8, v38
	v_cndmask_b32_e32 v38, v61, v59, vcc
	v_cndmask_b32_e32 v58, v60, v58, vcc
	v_lshlrev_b32_e32 v40, 24, v40
	v_lshlrev_b32_e32 v58, 20, v58
	v_and_b32_e32 v40, 0x80000000, v40
	v_lshl_add_u32 v38, v38, 23, v55
	v_or3_b32 v58, v40, v38, v58
	s_branch .LBB614_212
.LBB614_597:
	s_barrier
	buffer_load_dword v2, off, s[0:3], 0 offset:320
	buffer_load_dword v5, off, s[0:3], 0 offset:332
	;; [unrolled: 1-line block ×4, first 2 shown]
	v_cmp_gt_u32_e32 vcc, 64, v0
	s_waitcnt vmcnt(0)
	ds_write2st64_b64 v52, v[2:3], v[4:5] offset1:1
	s_waitcnt lgkmcnt(0)
	s_barrier
	s_and_saveexec_b64 s[6:7], vcc
	s_cbranch_execz .LBB614_600
; %bb.598:
	s_lshl_b32 s6, s48, 7
	s_mul_i32 s7, s20, s8
	s_mul_hi_u32 s11, s7, s6
	s_mul_i32 s10, s7, s6
	s_lshl_b64 s[10:11], s[10:11], 1
	v_lshlrev_b32_e32 v4, 6, v41
	s_add_u32 s7, s50, s10
	v_lshl_or_b32 v0, v0, 10, v4
	s_mov_b32 s9, 0
	s_addc_u32 s10, s51, s11
	s_lshl_b32 s8, s26, 7
	v_lshlrev_b32_e32 v2, 5, v1
	v_and_b32_e32 v3, 16, v43
	v_and_b32_e32 v0, 0x1a00, v0
	s_lshl_b64 s[8:9], s[8:9], 1
	v_or3_b32 v0, v0, v2, v3
	s_add_u32 s7, s7, s8
	s_addc_u32 s8, s10, s9
	ds_read_b128 v[4:7], v0 offset:128
	ds_read_b128 v[8:11], v0
	v_add_u32_e32 v14, s27, v1
	v_mov_b32_e32 v3, s8
	v_add_co_u32_e32 v2, vcc, s7, v39
	v_mad_u64_u32 v[12:13], s[8:9], v14, s6, 0
	v_addc_co_u32_e32 v3, vcc, 0, v3, vcc
	v_lshlrev_b64 v[12:13], 1, v[12:13]
	v_add_co_u32_e32 v12, vcc, v2, v12
	v_addc_co_u32_e32 v13, vcc, v3, v13, vcc
	s_waitcnt lgkmcnt(0)
	global_store_dwordx4 v[12:13], v[8:11], off
	s_nop 0
	v_add_u32_e32 v8, 4, v14
	v_mad_u64_u32 v[8:9], s[8:9], v8, s6, 0
	v_lshlrev_b64 v[8:9], 1, v[8:9]
	v_add_co_u32_e32 v8, vcc, v2, v8
	v_addc_co_u32_e32 v9, vcc, v3, v9, vcc
	global_store_dwordx4 v[8:9], v[4:7], off
	s_and_b64 exec, exec, s[4:5]
	s_cbranch_execz .LBB614_600
; %bb.599:
	ds_read_b128 v[4:7], v0 offset:256
	v_add3_u32 v0, s27, v1, 8
	v_mad_u64_u32 v[0:1], s[4:5], v0, s6, 0
	v_lshlrev_b64 v[0:1], 1, v[0:1]
	v_add_co_u32_e32 v0, vcc, v2, v0
	v_addc_co_u32_e32 v1, vcc, v3, v1, vcc
	s_waitcnt lgkmcnt(0)
	global_store_dwordx4 v[0:1], v[4:7], off
.LBB614_600:
	s_endpgm
	.section	.rodata,"a",@progbits
	.p2align	6, 0x0
	.amdhsa_kernel _Z39paged_attention_ll4mi_QKV_mfma16_kernelIDF16_hLN4vllm18Fp8KVCacheDataTypeE1EDF16_Li16ELi128ELi256ELb1ELi9EL8MFMAType0EEvPKT_PKT0_S8_ifPKiSA_SA_iPKfiiiPfSD_PS3_PT2_iSC_SC_
		.amdhsa_group_segment_fixed_size 8192
		.amdhsa_private_segment_fixed_size 352
		.amdhsa_kernarg_size 400
		.amdhsa_user_sgpr_count 8
		.amdhsa_user_sgpr_private_segment_buffer 1
		.amdhsa_user_sgpr_dispatch_ptr 0
		.amdhsa_user_sgpr_queue_ptr 0
		.amdhsa_user_sgpr_kernarg_segment_ptr 1
		.amdhsa_user_sgpr_dispatch_id 0
		.amdhsa_user_sgpr_flat_scratch_init 1
		.amdhsa_user_sgpr_kernarg_preload_length 0
		.amdhsa_user_sgpr_kernarg_preload_offset 0
		.amdhsa_user_sgpr_private_segment_size 0
		.amdhsa_uses_dynamic_stack 0
		.amdhsa_system_sgpr_private_segment_wavefront_offset 1
		.amdhsa_system_sgpr_workgroup_id_x 1
		.amdhsa_system_sgpr_workgroup_id_y 1
		.amdhsa_system_sgpr_workgroup_id_z 1
		.amdhsa_system_sgpr_workgroup_info 0
		.amdhsa_system_vgpr_workitem_id 0
		.amdhsa_next_free_vgpr 80
		.amdhsa_next_free_sgpr 53
		.amdhsa_accum_offset 80
		.amdhsa_reserve_vcc 1
		.amdhsa_reserve_flat_scratch 0
		.amdhsa_float_round_mode_32 0
		.amdhsa_float_round_mode_16_64 0
		.amdhsa_float_denorm_mode_32 3
		.amdhsa_float_denorm_mode_16_64 3
		.amdhsa_dx10_clamp 1
		.amdhsa_ieee_mode 1
		.amdhsa_fp16_overflow 0
		.amdhsa_tg_split 0
		.amdhsa_exception_fp_ieee_invalid_op 0
		.amdhsa_exception_fp_denorm_src 0
		.amdhsa_exception_fp_ieee_div_zero 0
		.amdhsa_exception_fp_ieee_overflow 0
		.amdhsa_exception_fp_ieee_underflow 0
		.amdhsa_exception_fp_ieee_inexact 0
		.amdhsa_exception_int_div_zero 0
	.end_amdhsa_kernel
	.section	.text._Z39paged_attention_ll4mi_QKV_mfma16_kernelIDF16_hLN4vllm18Fp8KVCacheDataTypeE1EDF16_Li16ELi128ELi256ELb1ELi9EL8MFMAType0EEvPKT_PKT0_S8_ifPKiSA_SA_iPKfiiiPfSD_PS3_PT2_iSC_SC_,"axG",@progbits,_Z39paged_attention_ll4mi_QKV_mfma16_kernelIDF16_hLN4vllm18Fp8KVCacheDataTypeE1EDF16_Li16ELi128ELi256ELb1ELi9EL8MFMAType0EEvPKT_PKT0_S8_ifPKiSA_SA_iPKfiiiPfSD_PS3_PT2_iSC_SC_,comdat
.Lfunc_end614:
	.size	_Z39paged_attention_ll4mi_QKV_mfma16_kernelIDF16_hLN4vllm18Fp8KVCacheDataTypeE1EDF16_Li16ELi128ELi256ELb1ELi9EL8MFMAType0EEvPKT_PKT0_S8_ifPKiSA_SA_iPKfiiiPfSD_PS3_PT2_iSC_SC_, .Lfunc_end614-_Z39paged_attention_ll4mi_QKV_mfma16_kernelIDF16_hLN4vllm18Fp8KVCacheDataTypeE1EDF16_Li16ELi128ELi256ELb1ELi9EL8MFMAType0EEvPKT_PKT0_S8_ifPKiSA_SA_iPKfiiiPfSD_PS3_PT2_iSC_SC_
                                        ; -- End function
	.section	.AMDGPU.csdata,"",@progbits
; Kernel info:
; codeLenInByte = 21456
; NumSgprs: 57
; NumVgprs: 80
; NumAgprs: 0
; TotalNumVgprs: 80
; ScratchSize: 352
; MemoryBound: 0
; FloatMode: 240
; IeeeMode: 1
; LDSByteSize: 8192 bytes/workgroup (compile time only)
; SGPRBlocks: 7
; VGPRBlocks: 9
; NumSGPRsForWavesPerEU: 57
; NumVGPRsForWavesPerEU: 80
; AccumOffset: 80
; Occupancy: 6
; WaveLimiterHint : 1
; COMPUTE_PGM_RSRC2:SCRATCH_EN: 1
; COMPUTE_PGM_RSRC2:USER_SGPR: 8
; COMPUTE_PGM_RSRC2:TRAP_HANDLER: 0
; COMPUTE_PGM_RSRC2:TGID_X_EN: 1
; COMPUTE_PGM_RSRC2:TGID_Y_EN: 1
; COMPUTE_PGM_RSRC2:TGID_Z_EN: 1
; COMPUTE_PGM_RSRC2:TIDIG_COMP_CNT: 0
; COMPUTE_PGM_RSRC3_GFX90A:ACCUM_OFFSET: 19
; COMPUTE_PGM_RSRC3_GFX90A:TG_SPLIT: 0
	.section	.text._Z39paged_attention_ll4mi_QKV_mfma16_kernelIDF16_hLN4vllm18Fp8KVCacheDataTypeE1EDF16_Li16ELi128ELi256ELb1ELi10EL8MFMAType0EEvPKT_PKT0_S8_ifPKiSA_SA_iPKfiiiPfSD_PS3_PT2_iSC_SC_,"axG",@progbits,_Z39paged_attention_ll4mi_QKV_mfma16_kernelIDF16_hLN4vllm18Fp8KVCacheDataTypeE1EDF16_Li16ELi128ELi256ELb1ELi10EL8MFMAType0EEvPKT_PKT0_S8_ifPKiSA_SA_iPKfiiiPfSD_PS3_PT2_iSC_SC_,comdat
	.protected	_Z39paged_attention_ll4mi_QKV_mfma16_kernelIDF16_hLN4vllm18Fp8KVCacheDataTypeE1EDF16_Li16ELi128ELi256ELb1ELi10EL8MFMAType0EEvPKT_PKT0_S8_ifPKiSA_SA_iPKfiiiPfSD_PS3_PT2_iSC_SC_ ; -- Begin function _Z39paged_attention_ll4mi_QKV_mfma16_kernelIDF16_hLN4vllm18Fp8KVCacheDataTypeE1EDF16_Li16ELi128ELi256ELb1ELi10EL8MFMAType0EEvPKT_PKT0_S8_ifPKiSA_SA_iPKfiiiPfSD_PS3_PT2_iSC_SC_
	.globl	_Z39paged_attention_ll4mi_QKV_mfma16_kernelIDF16_hLN4vllm18Fp8KVCacheDataTypeE1EDF16_Li16ELi128ELi256ELb1ELi10EL8MFMAType0EEvPKT_PKT0_S8_ifPKiSA_SA_iPKfiiiPfSD_PS3_PT2_iSC_SC_
	.p2align	8
	.type	_Z39paged_attention_ll4mi_QKV_mfma16_kernelIDF16_hLN4vllm18Fp8KVCacheDataTypeE1EDF16_Li16ELi128ELi256ELb1ELi10EL8MFMAType0EEvPKT_PKT0_S8_ifPKiSA_SA_iPKfiiiPfSD_PS3_PT2_iSC_SC_,@function
_Z39paged_attention_ll4mi_QKV_mfma16_kernelIDF16_hLN4vllm18Fp8KVCacheDataTypeE1EDF16_Li16ELi128ELi256ELb1ELi10EL8MFMAType0EEvPKT_PKT0_S8_ifPKiSA_SA_iPKfiiiPfSD_PS3_PT2_iSC_SC_: ; @_Z39paged_attention_ll4mi_QKV_mfma16_kernelIDF16_hLN4vllm18Fp8KVCacheDataTypeE1EDF16_Li16ELi128ELi256ELb1ELi10EL8MFMAType0EEvPKT_PKT0_S8_ifPKiSA_SA_iPKfiiiPfSD_PS3_PT2_iSC_SC_
; %bb.0:
	s_load_dwordx2 s[6:7], s[4:5], 0x30
	s_add_u32 s0, s0, s11
	s_addc_u32 s1, s1, 0
	s_mov_b32 s26, s9
	s_mov_b64 s[14:15], 0
	s_waitcnt lgkmcnt(0)
	s_cmp_lg_u64 s[6:7], 0
	s_cselect_b64 s[12:13], -1, 0
	s_and_b64 vcc, exec, s[12:13]
	s_cbranch_vccz .LBB615_7
; %bb.1:
	s_add_i32 s16, s8, 1
	s_mov_b32 s17, 0
	s_lshl_b64 s[18:19], s[16:17], 2
	s_add_u32 s18, s6, s18
	s_mov_b32 s9, s17
	s_addc_u32 s19, s7, s19
	s_lshl_b64 s[16:17], s[8:9], 2
	s_add_u32 s16, s6, s16
	s_addc_u32 s17, s7, s17
	s_load_dword s11, s[18:19], 0x0
	s_load_dword s20, s[16:17], 0x0
	s_waitcnt lgkmcnt(0)
	s_sub_i32 s11, s11, s20
	s_cmp_eq_u32 s11, 1
	s_cselect_b64 s[16:17], -1, 0
	s_andn2_b64 vcc, exec, s[14:15]
	s_cbranch_vccnz .LBB615_3
.LBB615_2:
	s_mov_b32 s9, 0
	s_mov_b64 s[16:17], -1
.LBB615_3:
	s_andn2_b64 vcc, exec, s[16:17]
	s_cbranch_vccnz .LBB615_600
; %bb.4:
	s_load_dwordx2 s[16:17], s[4:5], 0x28
	s_lshl_b64 s[14:15], s[8:9], 2
	s_waitcnt lgkmcnt(0)
	s_add_u32 s16, s16, s14
	s_addc_u32 s17, s17, s15
	s_load_dword s33, s[16:17], 0x0
	s_lshl_b32 s20, s26, 8
	s_waitcnt lgkmcnt(0)
	s_cmp_ge_i32 s20, s33
	s_cbranch_scc1 .LBB615_600
; %bb.5:
	s_add_i32 s18, s33, 15
	s_load_dwordx2 s[16:17], s[4:5], 0x20
	s_load_dword s11, s[4:5], 0x38
	s_ashr_i32 s19, s18, 31
	v_and_b32_e32 v1, 0xcf, v0
	s_lshr_b32 s19, s19, 28
	v_add_u32_e32 v1, s20, v1
	s_add_i32 s18, s18, s19
	v_ashrrev_i32_e32 v2, 31, v1
	s_ashr_i32 s23, s18, 4
	v_lshrrev_b32_e32 v4, 28, v2
	s_add_i32 s23, s23, -1
	v_add_u32_e32 v2, v1, v4
	s_waitcnt lgkmcnt(0)
	s_mul_i32 s18, s8, s11
	s_mov_b32 s19, 0
	v_ashrrev_i32_e32 v2, 4, v2
	v_mov_b32_e32 v5, s23
	v_cmp_gt_i32_e32 vcc, s33, v1
	s_lshl_b64 s[18:19], s[18:19], 2
	v_cndmask_b32_e32 v2, v5, v2, vcc
	s_add_u32 s21, s16, s18
	v_ashrrev_i32_e32 v3, 31, v2
	s_addc_u32 s22, s17, s19
	v_lshlrev_b64 v[2:3], 2, v[2:3]
	v_mov_b32_e32 v7, s22
	v_add_co_u32_e32 v6, vcc, s21, v2
	v_or_b32_e32 v2, 16, v1
	v_addc_co_u32_e32 v7, vcc, v7, v3, vcc
	v_add_u32_e32 v3, v2, v4
	v_ashrrev_i32_e32 v3, 4, v3
	v_cmp_gt_i32_e32 vcc, s33, v2
	v_cndmask_b32_e32 v2, v5, v3, vcc
	v_ashrrev_i32_e32 v3, 31, v2
	v_lshlrev_b64 v[2:3], 2, v[2:3]
	v_mov_b32_e32 v9, s22
	v_add_co_u32_e32 v8, vcc, s21, v2
	v_or_b32_e32 v2, 32, v1
	v_addc_co_u32_e32 v9, vcc, v9, v3, vcc
	v_add_u32_e32 v3, v2, v4
	v_ashrrev_i32_e32 v3, 4, v3
	v_cmp_gt_i32_e32 vcc, s33, v2
	v_cndmask_b32_e32 v2, v5, v3, vcc
	v_ashrrev_i32_e32 v3, 31, v2
	;; [unrolled: 10-line block ×3, first 2 shown]
	v_lshlrev_b64 v[2:3], 2, v[2:3]
	v_mov_b32_e32 v1, s22
	v_add_co_u32_e32 v12, vcc, s21, v2
	v_addc_co_u32_e32 v13, vcc, v1, v3, vcc
	global_load_dword v5, v[6:7], off
	global_load_dword v4, v[8:9], off
	;; [unrolled: 1-line block ×4, first 2 shown]
	s_load_dwordx2 s[16:17], s[4:5], 0x8
	s_andn2_b64 vcc, exec, s[12:13]
	s_cbranch_vccnz .LBB615_8
; %bb.6:
	s_add_u32 s6, s6, s14
	s_addc_u32 s7, s7, s15
	s_load_dword s11, s[6:7], 0x0
	s_branch .LBB615_9
.LBB615_7:
	s_mov_b64 s[16:17], 0
	s_branch .LBB615_2
.LBB615_8:
	s_mov_b32 s11, s8
.LBB615_9:
	s_load_dwordx2 s[6:7], s[4:5], 0x10
	s_load_dwordx4 s[12:15], s[4:5], 0x48
	v_lshrrev_b32_e32 v27, 6, v0
	v_bfe_u32 v1, v0, 4, 2
	v_and_b32_e32 v41, 15, v0
	v_lshl_or_b32 v6, v27, 2, v1
	v_lshlrev_b32_e32 v7, 3, v41
	s_mul_i32 s27, s10, 10
	v_cmp_gt_u32_e32 vcc, 10, v6
	v_lshlrev_b32_e32 v39, 1, v7
	v_lshlrev_b32_e32 v43, 4, v0
	s_and_saveexec_b64 s[18:19], vcc
	s_cbranch_execz .LBB615_11
; %bb.10:
	s_load_dwordx2 s[24:25], s[4:5], 0x0
	s_waitcnt lgkmcnt(0)
	s_ashr_i32 s15, s12, 31
	s_mul_hi_u32 s28, s11, s12
	s_mul_i32 s15, s11, s15
	s_add_i32 s29, s28, s15
	s_mul_i32 s28, s11, s12
	s_lshl_b64 s[28:29], s[28:29], 1
	v_add_lshl_u32 v8, v6, s27, 7
	s_add_u32 s11, s24, s28
	v_ashrrev_i32_e32 v9, 31, v8
	s_addc_u32 s12, s25, s29
	v_lshlrev_b64 v[8:9], 1, v[8:9]
	v_mov_b32_e32 v7, s12
	v_add_co_u32_e32 v8, vcc, s11, v8
	v_addc_co_u32_e32 v7, vcc, v7, v9, vcc
	v_add_co_u32_e32 v8, vcc, v8, v39
	v_addc_co_u32_e32 v9, vcc, 0, v7, vcc
	global_load_dwordx4 v[8:11], v[8:9], off
	v_lshlrev_b32_e32 v12, 8, v0
	v_lshlrev_b32_e32 v7, 8, v41
	v_and_b32_e32 v12, 0x600, v12
	s_movk_i32 s11, 0x800
	v_and_or_b32 v7, v7, s11, v12
	v_lshlrev_b32_e32 v6, 5, v6
	v_and_b32_e32 v12, 16, v43
	v_or3_b32 v6, v7, v6, v12
	s_waitcnt vmcnt(0)
	ds_write_b128 v6, v[8:11]
.LBB615_11:
	s_or_b64 exec, exec, s[18:19]
	s_waitcnt lgkmcnt(0)
	s_mul_i32 s14, s10, s14
	s_add_u32 s10, s16, s14
	s_addc_u32 s11, s17, 0
	v_and_b32_e32 v6, 0xf0, v43
	v_mov_b32_e32 v7, s11
	v_add_co_u32_e32 v6, vcc, s10, v6
	v_and_b32_e32 v18, 48, v0
	v_addc_co_u32_e32 v7, vcc, 0, v7, vcc
	v_lshlrev_b32_e32 v10, 4, v18
	s_waitcnt vmcnt(3)
	v_mad_i64_i32 v[8:9], s[10:11], v5, s13, v[6:7]
	v_add_co_u32_e32 v8, vcc, v8, v10
	v_addc_co_u32_e32 v9, vcc, 0, v9, vcc
	s_waitcnt vmcnt(2)
	v_mad_i64_i32 v[4:5], s[10:11], v4, s13, v[6:7]
	v_add_co_u32_e32 v4, vcc, v4, v10
	v_addc_co_u32_e32 v5, vcc, 0, v5, vcc
	s_load_dwordx2 s[48:49], s[4:5], 0x94
	s_waitcnt lgkmcnt(0)
	s_barrier
	global_load_dwordx4 v[20:23], v[8:9], off
	global_load_dwordx4 v[28:31], v[8:9], off offset:1024
	global_load_dwordx4 v[32:35], v[4:5], off
	global_load_dwordx4 v[44:47], v[4:5], off offset:1024
	s_waitcnt vmcnt(5)
	v_mad_i64_i32 v[4:5], s[10:11], v3, s13, v[6:7]
	v_add_co_u32_e32 v4, vcc, v4, v10
	v_addc_co_u32_e32 v5, vcc, 0, v5, vcc
	s_waitcnt vmcnt(4)
	v_mad_i64_i32 v[2:3], s[10:11], v2, s13, v[6:7]
	v_add_co_u32_e32 v2, vcc, v2, v10
	v_addc_co_u32_e32 v3, vcc, 0, v3, vcc
	global_load_dwordx4 v[48:51], v[4:5], off
	global_load_dwordx4 v[52:55], v[4:5], off offset:1024
	global_load_dwordx4 v[56:59], v[2:3], off
	global_load_dwordx4 v[60:63], v[2:3], off offset:1024
	v_add_u32_e32 v2, -10, v41
	v_cmp_gt_u32_e32 vcc, 10, v41
	v_cndmask_b32_e32 v2, v2, v41, vcc
	v_lshlrev_b32_e32 v2, 5, v2
	v_lshl_add_u32 v14, v1, 9, v2
	s_load_dwordx2 s[50:51], s[4:5], 0x68
	s_load_dwordx4 s[44:47], s[4:5], 0x58
	ds_read_b128 v[2:5], v14
	ds_read_b128 v[6:9], v14 offset:16
	ds_read_b128 v[10:13], v14 offset:2048
	;; [unrolled: 1-line block ×3, first 2 shown]
	s_mov_b32 s12, 0
	s_waitcnt vmcnt(7)
	buffer_store_dword v23, off, s[0:3], 0 offset:12
	buffer_store_dword v22, off, s[0:3], 0 offset:8
	;; [unrolled: 1-line block ×3, first 2 shown]
	buffer_store_dword v20, off, s[0:3], 0
	s_waitcnt vmcnt(10)
	buffer_store_dword v31, off, s[0:3], 0 offset:28
	buffer_store_dword v30, off, s[0:3], 0 offset:24
	buffer_store_dword v29, off, s[0:3], 0 offset:20
	buffer_store_dword v28, off, s[0:3], 0 offset:16
	s_waitcnt vmcnt(13)
	buffer_store_dword v35, off, s[0:3], 0 offset:44
	buffer_store_dword v34, off, s[0:3], 0 offset:40
	buffer_store_dword v33, off, s[0:3], 0 offset:36
	buffer_store_dword v32, off, s[0:3], 0 offset:32
	;; [unrolled: 5-line block ×7, first 2 shown]
	v_mov_b32_e32 v35, 0
	v_mov_b32_e32 v31, 0
	s_and_saveexec_b64 s[10:11], vcc
	s_cbranch_execz .LBB615_13
; %bb.12:
	s_load_dwordx2 s[16:17], s[4:5], 0x40
	v_add_u32_e32 v20, s27, v41
	v_ashrrev_i32_e32 v21, 31, v20
	v_lshlrev_b64 v[20:21], 2, v[20:21]
	s_waitcnt lgkmcnt(0)
	v_mov_b32_e32 v19, s17
	v_add_co_u32_e32 v20, vcc, s16, v20
	v_addc_co_u32_e32 v21, vcc, v19, v21, vcc
	global_load_dword v31, v[20:21], off
.LBB615_13:
	s_or_b64 exec, exec, s[10:11]
	v_or_b32_e32 v22, s20, v18
	v_ashrrev_i32_e32 v18, 4, v22
	v_mov_b32_e32 v23, s23
	v_cmp_gt_i32_e32 vcc, s33, v22
	v_cndmask_b32_e32 v18, v23, v18, vcc
	v_ashrrev_i32_e32 v19, 31, v18
	v_lshlrev_b64 v[18:19], 2, v[18:19]
	v_mov_b32_e32 v20, s22
	v_add_co_u32_e32 v18, vcc, s21, v18
	v_addc_co_u32_e32 v19, vcc, v20, v19, vcc
	global_load_dword v26, v[18:19], off
	v_or_b32_e32 v18, 64, v22
	v_ashrrev_i32_e32 v19, 4, v18
	v_cmp_gt_i32_e32 vcc, s33, v18
	v_cndmask_b32_e32 v18, v23, v19, vcc
	v_ashrrev_i32_e32 v19, 31, v18
	v_lshlrev_b64 v[18:19], 2, v[18:19]
	v_add_co_u32_e32 v18, vcc, s21, v18
	v_addc_co_u32_e32 v19, vcc, v20, v19, vcc
	v_or_b32_e32 v20, 0x80, v22
	v_ashrrev_i32_e32 v21, 4, v20
	v_cmp_gt_i32_e32 vcc, s33, v20
	v_cndmask_b32_e32 v20, v23, v21, vcc
	v_ashrrev_i32_e32 v21, 31, v20
	v_lshlrev_b64 v[20:21], 2, v[20:21]
	v_mov_b32_e32 v24, s22
	v_add_co_u32_e32 v20, vcc, s21, v20
	v_addc_co_u32_e32 v21, vcc, v24, v21, vcc
	global_load_dword v28, v[18:19], off
	global_load_dword v30, v[20:21], off
	v_or_b32_e32 v18, 0xc0, v22
	v_ashrrev_i32_e32 v19, 4, v18
	v_cmp_gt_i32_e32 vcc, s33, v18
	v_cndmask_b32_e32 v18, v23, v19, vcc
	v_ashrrev_i32_e32 v19, 31, v18
	v_lshlrev_b64 v[18:19], 2, v[18:19]
	v_mov_b32_e32 v20, s22
	v_add_co_u32_e32 v18, vcc, s21, v18
	v_addc_co_u32_e32 v19, vcc, v20, v19, vcc
	global_load_dword v34, v[18:19], off
	s_add_u32 s10, s6, s14
	v_lshl_or_b32 v29, v27, 4, v41
	s_addc_u32 s6, s7, 0
	v_lshlrev_b32_e32 v18, 4, v29
	v_mov_b32_e32 v19, s6
	v_add_co_u32_e32 v22, vcc, s10, v18
	v_addc_co_u32_e32 v23, vcc, 0, v19, vcc
	v_or_b32_e32 v24, 0x400, v18
	v_mov_b32_e32 v25, s6
	v_add_co_u32_e32 v24, vcc, s10, v24
	v_addc_co_u32_e32 v25, vcc, 0, v25, vcc
	v_mov_b32_e32 v36, 0
	s_movk_i32 s14, 0x7f
	s_mov_b32 s15, 0xffffff
	v_mov_b32_e32 v37, 0x100
	v_bfrev_b32_e32 v38, 60
	s_waitcnt vmcnt(3)
	v_mad_i64_i32 v[18:19], s[6:7], v26, s13, v[22:23]
	global_load_dwordx4 v[18:21], v[18:19], off
	v_mad_i64_i32 v[32:33], s[6:7], v26, s13, v[24:25]
	global_load_dwordx4 v[52:55], v[32:33], off
	s_waitcnt vmcnt(4)
	v_mad_i64_i32 v[32:33], s[6:7], v28, s13, v[22:23]
	global_load_dwordx4 v[56:59], v[32:33], off
	s_waitcnt vmcnt(4)
	;; [unrolled: 3-line block ×3, first 2 shown]
	v_mad_i64_i32 v[22:23], s[6:7], v34, s13, v[22:23]
	global_load_dwordx4 v[64:67], v[22:23], off
	v_mad_i64_i32 v[22:23], s[6:7], v28, s13, v[24:25]
	global_load_dwordx4 v[68:71], v[22:23], off
	v_mad_i64_i32 v[22:23], s[6:7], v30, s13, v[24:25]
	global_load_dwordx4 v[72:75], v[22:23], off
	v_mad_i64_i32 v[22:23], s[6:7], v34, s13, v[24:25]
	global_load_dwordx4 v[76:79], v[22:23], off
	s_load_dword s6, s[4:5], 0x1c
	s_load_dwordx4 s[40:43], s[4:5], 0x80
	v_mov_b32_e32 v22, 0x80
	v_add_u32_e32 v45, 16, v22
	v_add_u32_e32 v46, 32, v22
	;; [unrolled: 1-line block ×3, first 2 shown]
	s_waitcnt lgkmcnt(0)
	s_load_dword s4, s[40:41], 0x0
	v_add_u32_e32 v51, 64, v22
	v_add_u32_e32 v48, 0x50, v22
	;; [unrolled: 1-line block ×4, first 2 shown]
	v_mov_b32_e32 v22, s6
	s_waitcnt lgkmcnt(0)
	v_mul_f32_e32 v22, s4, v22
	v_and_b32_e32 v33, 63, v0
	s_movk_i32 s13, 0x80
	v_mov_b32_e32 v24, v22
	v_mov_b32_e32 v25, v22
	s_waitcnt vmcnt(7)
	buffer_store_dword v21, off, s[0:3], 0 offset:140
	buffer_store_dword v20, off, s[0:3], 0 offset:136
	buffer_store_dword v19, off, s[0:3], 0 offset:132
	buffer_store_dword v18, off, s[0:3], 0 offset:128
	s_waitcnt vmcnt(10)
	buffer_store_dword v55, off, s[0:3], 0 offset:156
	buffer_store_dword v54, off, s[0:3], 0 offset:152
	buffer_store_dword v53, off, s[0:3], 0 offset:148
	buffer_store_dword v52, off, s[0:3], 0 offset:144
	;; [unrolled: 5-line block ×8, first 2 shown]
	s_branch .LBB615_17
.LBB615_14:                             ;   in Loop: Header=BB615_17 Depth=1
	s_or_b64 exec, exec, s[10:11]
.LBB615_15:                             ;   in Loop: Header=BB615_17 Depth=1
	s_or_b64 exec, exec, s[6:7]
.LBB615_16:                             ;   in Loop: Header=BB615_17 Depth=1
	s_or_b64 exec, exec, s[4:5]
	v_cvt_pkrtz_f16_f32 v54, v34, v32
	v_cvt_pkrtz_f16_f32 v55, v23, v42
	v_add_u32_e32 v26, s12, v37
	s_add_i32 s12, s12, 16
	v_mov_b32_e32 v23, v22
	v_mfma_f32_16x16x16f16 v[18:21], v[54:55], v[14:15], v[18:21]
	v_cvt_pkrtz_f16_f32 v54, v40, v44
	v_cvt_pkrtz_f16_f32 v55, v30, v52
	s_cmp_eq_u32 s12, 64
	v_add_u32_e32 v36, 32, v36
	v_mfma_f32_16x16x16f16 v[18:21], v[54:55], v[16:17], v[18:21]
	s_nop 7
	s_nop 2
	v_pk_mul_f32 v[18:19], v[24:25], v[18:19]
	v_pk_mul_f32 v[20:21], v[22:23], v[20:21]
	buffer_store_dword v19, v26, s[0:3], 0 offen offset:4
	buffer_store_dword v18, v26, s[0:3], 0 offen
	buffer_store_dword v21, v26, s[0:3], 0 offen offset:12
	buffer_store_dword v20, v26, s[0:3], 0 offen offset:8
	s_cbranch_scc1 .LBB615_207
.LBB615_17:                             ; =>This Inner Loop Header: Depth=1
	buffer_load_dword v20, v36, s[0:3], 0 offen
	buffer_load_dword v18, v36, s[0:3], 0 offen offset:4
	buffer_load_dword v28, v36, s[0:3], 0 offen offset:8
	;; [unrolled: 1-line block ×3, first 2 shown]
	v_mov_b32_e32 v19, 0
	v_mov_b32_e32 v21, 0
	s_waitcnt vmcnt(3)
	v_cmp_ne_u16_sdwa s[6:7], v20, v35 src0_sel:BYTE_0 src1_sel:DWORD
	s_and_saveexec_b64 s[4:5], s[6:7]
	s_cbranch_execz .LBB615_23
; %bb.18:                               ;   in Loop: Header=BB615_17 Depth=1
	v_cmp_ne_u16_sdwa s[10:11], v20, s13 src0_sel:BYTE_0 src1_sel:DWORD
	v_bfrev_b32_e32 v21, 1
	s_and_saveexec_b64 s[6:7], s[10:11]
	s_cbranch_execz .LBB615_22
; %bb.19:                               ;   in Loop: Header=BB615_17 Depth=1
	v_and_b32_e32 v23, 0x7f, v20
	v_cmp_ne_u32_e32 vcc, s14, v23
	v_mov_b32_e32 v21, 0x7f800001
	s_and_saveexec_b64 s[10:11], vcc
	s_cbranch_execz .LBB615_21
; %bb.20:                               ;   in Loop: Header=BB615_17 Depth=1
	v_and_b32_e32 v21, 7, v20
	v_ffbh_u32_e32 v32, v21
	v_min_u32_e32 v32, 32, v32
	v_subrev_u32_e32 v34, 28, v32
	v_lshlrev_b64 v[52:53], v34, v[20:21]
	v_lshrrev_b32_e32 v30, 3, v23
	v_sub_u32_e32 v32, 29, v32
	v_and_b32_e32 v34, 7, v52
	v_cmp_gt_u32_e32 vcc, 8, v23
	v_cndmask_b32_e32 v23, v30, v32, vcc
	v_cndmask_b32_e32 v21, v21, v34, vcc
	v_lshlrev_b32_e32 v30, 24, v20
	v_lshlrev_b32_e32 v21, 20, v21
	v_and_b32_e32 v30, 0x80000000, v30
	v_lshl_add_u32 v23, v23, 23, v38
	v_or3_b32 v21, v30, v23, v21
.LBB615_21:                             ;   in Loop: Header=BB615_17 Depth=1
	s_or_b64 exec, exec, s[10:11]
.LBB615_22:                             ;   in Loop: Header=BB615_17 Depth=1
	s_or_b64 exec, exec, s[6:7]
.LBB615_23:                             ;   in Loop: Header=BB615_17 Depth=1
	s_or_b64 exec, exec, s[4:5]
	v_lshrrev_b16_e32 v30, 8, v20
	v_cmp_ne_u16_e32 vcc, 0, v30
	s_and_saveexec_b64 s[4:5], vcc
	s_cbranch_execz .LBB615_29
; %bb.24:                               ;   in Loop: Header=BB615_17 Depth=1
	v_cmp_ne_u16_e32 vcc, s13, v30
	v_bfrev_b32_e32 v19, 1
	s_and_saveexec_b64 s[6:7], vcc
	s_cbranch_execz .LBB615_28
; %bb.25:                               ;   in Loop: Header=BB615_17 Depth=1
	v_and_b32_e32 v23, 0x7f, v30
	v_cmp_ne_u32_e32 vcc, s14, v23
	v_mov_b32_e32 v19, 0x7f800001
	s_and_saveexec_b64 s[10:11], vcc
	s_cbranch_execz .LBB615_27
; %bb.26:                               ;   in Loop: Header=BB615_17 Depth=1
	v_and_b32_e32 v19, 7, v30
	v_ffbh_u32_e32 v34, v19
	v_min_u32_e32 v34, 32, v34
	v_subrev_u32_e32 v40, 28, v34
	v_lshlrev_b64 v[52:53], v40, v[30:31]
	v_lshrrev_b32_e32 v32, 3, v23
	v_sub_u32_e32 v30, 29, v34
	v_and_b32_e32 v34, 7, v52
	v_cmp_gt_u32_e32 vcc, 8, v23
	v_cndmask_b32_e32 v23, v32, v30, vcc
	v_cndmask_b32_e32 v19, v19, v34, vcc
	v_lshlrev_b32_e32 v30, 16, v20
	v_lshlrev_b32_e32 v19, 20, v19
	v_and_b32_e32 v30, 0x80000000, v30
	v_lshl_add_u32 v23, v23, 23, v38
	v_or3_b32 v19, v30, v23, v19
.LBB615_27:                             ;   in Loop: Header=BB615_17 Depth=1
	s_or_b64 exec, exec, s[10:11]
.LBB615_28:                             ;   in Loop: Header=BB615_17 Depth=1
	s_or_b64 exec, exec, s[6:7]
.LBB615_29:                             ;   in Loop: Header=BB615_17 Depth=1
	s_or_b64 exec, exec, s[4:5]
	v_lshrrev_b32_e32 v30, 16, v20
	v_cmp_ne_u16_sdwa s[6:7], v30, v35 src0_sel:BYTE_0 src1_sel:DWORD
	v_mov_b32_e32 v32, 0
	v_mov_b32_e32 v23, 0
	s_and_saveexec_b64 s[4:5], s[6:7]
	s_cbranch_execz .LBB615_35
; %bb.30:                               ;   in Loop: Header=BB615_17 Depth=1
	v_cmp_ne_u16_sdwa s[10:11], v30, s13 src0_sel:BYTE_0 src1_sel:DWORD
	v_bfrev_b32_e32 v23, 1
	s_and_saveexec_b64 s[6:7], s[10:11]
	s_cbranch_execz .LBB615_34
; %bb.31:                               ;   in Loop: Header=BB615_17 Depth=1
	v_bfe_u32 v34, v20, 16, 7
	v_cmp_ne_u32_e32 vcc, s14, v34
	v_mov_b32_e32 v23, 0x7f800001
	s_and_saveexec_b64 s[10:11], vcc
	s_cbranch_execz .LBB615_33
; %bb.32:                               ;   in Loop: Header=BB615_17 Depth=1
	v_and_b32_e32 v23, 7, v30
	v_ffbh_u32_e32 v42, v23
	v_min_u32_e32 v42, 32, v42
	v_subrev_u32_e32 v44, 28, v42
	v_lshlrev_b64 v[52:53], v44, v[30:31]
	v_lshrrev_b32_e32 v40, 3, v34
	v_sub_u32_e32 v42, 29, v42
	v_and_b32_e32 v44, 7, v52
	v_cmp_gt_u32_e32 vcc, 8, v34
	v_cndmask_b32_e32 v34, v40, v42, vcc
	v_cndmask_b32_e32 v23, v23, v44, vcc
	v_lshlrev_b32_e32 v30, 24, v30
	v_lshlrev_b32_e32 v23, 20, v23
	v_and_b32_e32 v30, 0x80000000, v30
	v_lshl_add_u32 v34, v34, 23, v38
	v_or3_b32 v23, v30, v34, v23
.LBB615_33:                             ;   in Loop: Header=BB615_17 Depth=1
	s_or_b64 exec, exec, s[10:11]
.LBB615_34:                             ;   in Loop: Header=BB615_17 Depth=1
	s_or_b64 exec, exec, s[6:7]
.LBB615_35:                             ;   in Loop: Header=BB615_17 Depth=1
	s_or_b64 exec, exec, s[4:5]
	v_cmp_lt_u32_e32 vcc, s15, v20
	s_and_saveexec_b64 s[4:5], vcc
	s_cbranch_execz .LBB615_41
; %bb.36:                               ;   in Loop: Header=BB615_17 Depth=1
	v_lshrrev_b32_e32 v30, 24, v20
	v_cmp_ne_u32_e32 vcc, s13, v30
	v_bfrev_b32_e32 v32, 1
	s_and_saveexec_b64 s[6:7], vcc
	s_cbranch_execz .LBB615_40
; %bb.37:                               ;   in Loop: Header=BB615_17 Depth=1
	v_bfe_u32 v20, v20, 24, 7
	v_cmp_ne_u32_e32 vcc, s14, v20
	v_mov_b32_e32 v32, 0x7f800001
	s_and_saveexec_b64 s[10:11], vcc
	s_cbranch_execz .LBB615_39
; %bb.38:                               ;   in Loop: Header=BB615_17 Depth=1
	v_and_b32_e32 v32, 7, v30
	v_ffbh_u32_e32 v40, v32
	v_min_u32_e32 v40, 32, v40
	v_subrev_u32_e32 v42, 28, v40
	v_lshlrev_b64 v[52:53], v42, v[30:31]
	v_lshrrev_b32_e32 v34, 3, v20
	v_sub_u32_e32 v40, 29, v40
	v_and_b32_e32 v42, 7, v52
	v_cmp_gt_u32_e32 vcc, 8, v20
	v_cndmask_b32_e32 v20, v34, v40, vcc
	v_cndmask_b32_e32 v32, v32, v42, vcc
	v_lshlrev_b32_e32 v30, 24, v30
	v_lshlrev_b32_e32 v32, 20, v32
	v_and_b32_e32 v30, 0x80000000, v30
	v_lshl_add_u32 v20, v20, 23, v38
	v_or3_b32 v32, v30, v20, v32
.LBB615_39:                             ;   in Loop: Header=BB615_17 Depth=1
	s_or_b64 exec, exec, s[10:11]
.LBB615_40:                             ;   in Loop: Header=BB615_17 Depth=1
	s_or_b64 exec, exec, s[6:7]
.LBB615_41:                             ;   in Loop: Header=BB615_17 Depth=1
	s_or_b64 exec, exec, s[4:5]
	s_waitcnt vmcnt(2)
	v_cmp_ne_u16_sdwa s[6:7], v18, v35 src0_sel:BYTE_0 src1_sel:DWORD
	v_mov_b32_e32 v30, 0
	v_mov_b32_e32 v34, 0
	s_and_saveexec_b64 s[4:5], s[6:7]
	s_cbranch_execz .LBB615_47
; %bb.42:                               ;   in Loop: Header=BB615_17 Depth=1
	v_cmp_ne_u16_sdwa s[10:11], v18, s13 src0_sel:BYTE_0 src1_sel:DWORD
	v_bfrev_b32_e32 v34, 1
	s_and_saveexec_b64 s[6:7], s[10:11]
	s_cbranch_execz .LBB615_46
; %bb.43:                               ;   in Loop: Header=BB615_17 Depth=1
	v_and_b32_e32 v20, 0x7f, v18
	v_cmp_ne_u32_e32 vcc, s14, v20
	v_mov_b32_e32 v34, 0x7f800001
	s_and_saveexec_b64 s[10:11], vcc
	s_cbranch_execz .LBB615_45
; %bb.44:                               ;   in Loop: Header=BB615_17 Depth=1
	v_and_b32_e32 v34, 7, v18
	v_ffbh_u32_e32 v42, v34
	v_min_u32_e32 v42, 32, v42
	v_subrev_u32_e32 v44, 28, v42
	v_lshlrev_b64 v[52:53], v44, v[18:19]
	v_lshrrev_b32_e32 v40, 3, v20
	v_sub_u32_e32 v42, 29, v42
	v_and_b32_e32 v44, 7, v52
	v_cmp_gt_u32_e32 vcc, 8, v20
	v_cndmask_b32_e32 v20, v40, v42, vcc
	v_cndmask_b32_e32 v34, v34, v44, vcc
	v_lshlrev_b32_e32 v40, 24, v18
	v_lshlrev_b32_e32 v34, 20, v34
	v_and_b32_e32 v40, 0x80000000, v40
	v_lshl_add_u32 v20, v20, 23, v38
	v_or3_b32 v34, v40, v20, v34
.LBB615_45:                             ;   in Loop: Header=BB615_17 Depth=1
	s_or_b64 exec, exec, s[10:11]
.LBB615_46:                             ;   in Loop: Header=BB615_17 Depth=1
	s_or_b64 exec, exec, s[6:7]
.LBB615_47:                             ;   in Loop: Header=BB615_17 Depth=1
	s_or_b64 exec, exec, s[4:5]
	v_lshrrev_b16_e32 v20, 8, v18
	v_cmp_ne_u16_e32 vcc, 0, v20
	s_and_saveexec_b64 s[4:5], vcc
	s_cbranch_execz .LBB615_53
; %bb.48:                               ;   in Loop: Header=BB615_17 Depth=1
	v_cmp_ne_u16_e32 vcc, s13, v20
	v_bfrev_b32_e32 v30, 1
	s_and_saveexec_b64 s[6:7], vcc
	s_cbranch_execz .LBB615_52
; %bb.49:                               ;   in Loop: Header=BB615_17 Depth=1
	v_and_b32_e32 v40, 0x7f, v20
	v_cmp_ne_u32_e32 vcc, s14, v40
	v_mov_b32_e32 v30, 0x7f800001
	s_and_saveexec_b64 s[10:11], vcc
	s_cbranch_execz .LBB615_51
; %bb.50:                               ;   in Loop: Header=BB615_17 Depth=1
	v_and_b32_e32 v30, 7, v20
	v_ffbh_u32_e32 v44, v30
	v_min_u32_e32 v44, 32, v44
	v_subrev_u32_e32 v52, 28, v44
	v_lshlrev_b64 v[52:53], v52, v[20:21]
	v_lshrrev_b32_e32 v42, 3, v40
	v_sub_u32_e32 v20, 29, v44
	v_and_b32_e32 v44, 7, v52
	v_cmp_gt_u32_e32 vcc, 8, v40
	v_cndmask_b32_e32 v20, v42, v20, vcc
	v_cndmask_b32_e32 v30, v30, v44, vcc
	v_lshlrev_b32_e32 v40, 16, v18
	v_lshlrev_b32_e32 v30, 20, v30
	v_and_b32_e32 v40, 0x80000000, v40
	v_lshl_add_u32 v20, v20, 23, v38
	v_or3_b32 v30, v40, v20, v30
.LBB615_51:                             ;   in Loop: Header=BB615_17 Depth=1
	s_or_b64 exec, exec, s[10:11]
.LBB615_52:                             ;   in Loop: Header=BB615_17 Depth=1
	s_or_b64 exec, exec, s[6:7]
.LBB615_53:                             ;   in Loop: Header=BB615_17 Depth=1
	s_or_b64 exec, exec, s[4:5]
	v_lshrrev_b32_e32 v20, 16, v18
	v_cmp_ne_u16_sdwa s[6:7], v20, v35 src0_sel:BYTE_0 src1_sel:DWORD
	v_mov_b32_e32 v42, 0
	v_mov_b32_e32 v40, 0
	s_and_saveexec_b64 s[4:5], s[6:7]
	s_cbranch_execz .LBB615_59
; %bb.54:                               ;   in Loop: Header=BB615_17 Depth=1
	v_cmp_ne_u16_sdwa s[10:11], v20, s13 src0_sel:BYTE_0 src1_sel:DWORD
	v_bfrev_b32_e32 v40, 1
	s_and_saveexec_b64 s[6:7], s[10:11]
	s_cbranch_execz .LBB615_58
; %bb.55:                               ;   in Loop: Header=BB615_17 Depth=1
	v_bfe_u32 v44, v18, 16, 7
	v_cmp_ne_u32_e32 vcc, s14, v44
	v_mov_b32_e32 v40, 0x7f800001
	s_and_saveexec_b64 s[10:11], vcc
	s_cbranch_execz .LBB615_57
; %bb.56:                               ;   in Loop: Header=BB615_17 Depth=1
	v_and_b32_e32 v40, 7, v20
	v_ffbh_u32_e32 v52, v40
	v_min_u32_e32 v55, 32, v52
	v_subrev_u32_e32 v52, 28, v55
	v_lshlrev_b64 v[52:53], v52, v[20:21]
	v_lshrrev_b32_e32 v54, 3, v44
	v_sub_u32_e32 v53, 29, v55
	v_and_b32_e32 v52, 7, v52
	v_cmp_gt_u32_e32 vcc, 8, v44
	v_cndmask_b32_e32 v44, v54, v53, vcc
	v_cndmask_b32_e32 v40, v40, v52, vcc
	v_lshlrev_b32_e32 v20, 24, v20
	v_lshlrev_b32_e32 v40, 20, v40
	v_and_b32_e32 v20, 0x80000000, v20
	v_lshl_add_u32 v44, v44, 23, v38
	v_or3_b32 v40, v20, v44, v40
.LBB615_57:                             ;   in Loop: Header=BB615_17 Depth=1
	s_or_b64 exec, exec, s[10:11]
.LBB615_58:                             ;   in Loop: Header=BB615_17 Depth=1
	s_or_b64 exec, exec, s[6:7]
.LBB615_59:                             ;   in Loop: Header=BB615_17 Depth=1
	s_or_b64 exec, exec, s[4:5]
	v_cmp_lt_u32_e32 vcc, s15, v18
	s_and_saveexec_b64 s[4:5], vcc
	s_cbranch_execz .LBB615_65
; %bb.60:                               ;   in Loop: Header=BB615_17 Depth=1
	v_lshrrev_b32_e32 v20, 24, v18
	v_cmp_ne_u32_e32 vcc, s13, v20
	v_bfrev_b32_e32 v42, 1
	s_and_saveexec_b64 s[6:7], vcc
	s_cbranch_execz .LBB615_64
; %bb.61:                               ;   in Loop: Header=BB615_17 Depth=1
	v_bfe_u32 v18, v18, 24, 7
	v_cmp_ne_u32_e32 vcc, s14, v18
	v_mov_b32_e32 v42, 0x7f800001
	s_and_saveexec_b64 s[10:11], vcc
	s_cbranch_execz .LBB615_63
; %bb.62:                               ;   in Loop: Header=BB615_17 Depth=1
	v_and_b32_e32 v42, 7, v20
	v_ffbh_u32_e32 v52, v42
	v_min_u32_e32 v54, 32, v52
	v_subrev_u32_e32 v52, 28, v54
	v_lshlrev_b64 v[52:53], v52, v[20:21]
	v_lshrrev_b32_e32 v44, 3, v18
	v_sub_u32_e32 v53, 29, v54
	v_and_b32_e32 v52, 7, v52
	v_cmp_gt_u32_e32 vcc, 8, v18
	v_cndmask_b32_e32 v18, v44, v53, vcc
	v_cndmask_b32_e32 v42, v42, v52, vcc
	v_lshlrev_b32_e32 v20, 24, v20
	v_lshlrev_b32_e32 v42, 20, v42
	v_and_b32_e32 v20, 0x80000000, v20
	v_lshl_add_u32 v18, v18, 23, v38
	v_or3_b32 v42, v20, v18, v42
.LBB615_63:                             ;   in Loop: Header=BB615_17 Depth=1
	s_or_b64 exec, exec, s[10:11]
.LBB615_64:                             ;   in Loop: Header=BB615_17 Depth=1
	s_or_b64 exec, exec, s[6:7]
.LBB615_65:                             ;   in Loop: Header=BB615_17 Depth=1
	s_or_b64 exec, exec, s[4:5]
	v_cvt_pkrtz_f16_f32 v18, v21, v19
	v_cvt_pkrtz_f16_f32 v19, v23, v32
	;; [unrolled: 1-line block ×4, first 2 shown]
	v_mov_b32_e32 v32, 0
	v_mfma_f32_16x16x16f16 v[18:21], v[18:19], v[2:3], 0
	s_waitcnt vmcnt(1)
	v_cmp_ne_u16_sdwa s[6:7], v28, v35 src0_sel:BYTE_0 src1_sel:DWORD
	v_mov_b32_e32 v34, 0
	v_mfma_f32_16x16x16f16 v[18:21], v[52:53], v[4:5], v[18:21]
	s_and_saveexec_b64 s[4:5], s[6:7]
	s_cbranch_execz .LBB615_71
; %bb.66:                               ;   in Loop: Header=BB615_17 Depth=1
	v_cmp_ne_u16_sdwa s[10:11], v28, s13 src0_sel:BYTE_0 src1_sel:DWORD
	v_bfrev_b32_e32 v34, 1
	s_and_saveexec_b64 s[6:7], s[10:11]
	s_cbranch_execz .LBB615_70
; %bb.67:                               ;   in Loop: Header=BB615_17 Depth=1
	v_and_b32_e32 v23, 0x7f, v28
	v_cmp_ne_u32_e32 vcc, s14, v23
	v_mov_b32_e32 v34, 0x7f800001
	s_and_saveexec_b64 s[10:11], vcc
	s_cbranch_execz .LBB615_69
; %bb.68:                               ;   in Loop: Header=BB615_17 Depth=1
	v_and_b32_e32 v30, 7, v28
	v_ffbh_u32_e32 v40, v30
	v_min_u32_e32 v40, 32, v40
	v_subrev_u32_e32 v42, 28, v40
	v_lshlrev_b64 v[52:53], v42, v[28:29]
	v_lshrrev_b32_e32 v34, 3, v23
	v_sub_u32_e32 v40, 29, v40
	v_and_b32_e32 v42, 7, v52
	v_cmp_gt_u32_e32 vcc, 8, v23
	v_cndmask_b32_e32 v23, v34, v40, vcc
	v_cndmask_b32_e32 v30, v30, v42, vcc
	v_lshlrev_b32_e32 v34, 24, v28
	v_lshlrev_b32_e32 v30, 20, v30
	v_and_b32_e32 v34, 0x80000000, v34
	v_lshl_add_u32 v23, v23, 23, v38
	v_or3_b32 v34, v34, v23, v30
.LBB615_69:                             ;   in Loop: Header=BB615_17 Depth=1
	s_or_b64 exec, exec, s[10:11]
.LBB615_70:                             ;   in Loop: Header=BB615_17 Depth=1
	s_or_b64 exec, exec, s[6:7]
.LBB615_71:                             ;   in Loop: Header=BB615_17 Depth=1
	s_or_b64 exec, exec, s[4:5]
	v_lshrrev_b16_e32 v30, 8, v28
	v_cmp_ne_u16_e32 vcc, 0, v30
	v_mov_b32_e32 v40, 0
	s_and_saveexec_b64 s[4:5], vcc
	s_cbranch_execz .LBB615_77
; %bb.72:                               ;   in Loop: Header=BB615_17 Depth=1
	v_cmp_ne_u16_e32 vcc, s13, v30
	v_bfrev_b32_e32 v40, 1
	s_and_saveexec_b64 s[6:7], vcc
	s_cbranch_execz .LBB615_76
; %bb.73:                               ;   in Loop: Header=BB615_17 Depth=1
	v_and_b32_e32 v23, 0x7f, v30
	v_cmp_ne_u32_e32 vcc, s14, v23
	v_mov_b32_e32 v40, 0x7f800001
	s_and_saveexec_b64 s[10:11], vcc
	s_cbranch_execz .LBB615_75
; %bb.74:                               ;   in Loop: Header=BB615_17 Depth=1
	v_and_b32_e32 v40, 7, v30
	v_ffbh_u32_e32 v44, v40
	v_min_u32_e32 v44, 32, v44
	v_subrev_u32_e32 v52, 28, v44
	v_lshlrev_b64 v[52:53], v52, v[30:31]
	v_lshrrev_b32_e32 v42, 3, v23
	v_sub_u32_e32 v30, 29, v44
	v_and_b32_e32 v44, 7, v52
	v_cmp_gt_u32_e32 vcc, 8, v23
	v_cndmask_b32_e32 v23, v42, v30, vcc
	v_cndmask_b32_e32 v30, v40, v44, vcc
	v_lshlrev_b32_e32 v40, 16, v28
	v_lshlrev_b32_e32 v30, 20, v30
	v_and_b32_e32 v40, 0x80000000, v40
	v_lshl_add_u32 v23, v23, 23, v38
	v_or3_b32 v40, v40, v23, v30
.LBB615_75:                             ;   in Loop: Header=BB615_17 Depth=1
	s_or_b64 exec, exec, s[10:11]
.LBB615_76:                             ;   in Loop: Header=BB615_17 Depth=1
	s_or_b64 exec, exec, s[6:7]
.LBB615_77:                             ;   in Loop: Header=BB615_17 Depth=1
	s_or_b64 exec, exec, s[4:5]
	v_lshrrev_b32_e32 v30, 16, v28
	v_cmp_ne_u16_sdwa s[6:7], v30, v35 src0_sel:BYTE_0 src1_sel:DWORD
	s_and_saveexec_b64 s[4:5], s[6:7]
	s_cbranch_execz .LBB615_83
; %bb.78:                               ;   in Loop: Header=BB615_17 Depth=1
	v_cmp_ne_u16_sdwa s[10:11], v30, s13 src0_sel:BYTE_0 src1_sel:DWORD
	v_bfrev_b32_e32 v32, 1
	s_and_saveexec_b64 s[6:7], s[10:11]
	s_cbranch_execz .LBB615_82
; %bb.79:                               ;   in Loop: Header=BB615_17 Depth=1
	v_bfe_u32 v23, v28, 16, 7
	v_cmp_ne_u32_e32 vcc, s14, v23
	v_mov_b32_e32 v32, 0x7f800001
	s_and_saveexec_b64 s[10:11], vcc
	s_cbranch_execz .LBB615_81
; %bb.80:                               ;   in Loop: Header=BB615_17 Depth=1
	v_and_b32_e32 v32, 7, v30
	v_ffbh_u32_e32 v44, v32
	v_min_u32_e32 v44, 32, v44
	v_subrev_u32_e32 v52, 28, v44
	v_lshlrev_b64 v[52:53], v52, v[30:31]
	v_lshrrev_b32_e32 v42, 3, v23
	v_sub_u32_e32 v44, 29, v44
	v_and_b32_e32 v52, 7, v52
	v_cmp_gt_u32_e32 vcc, 8, v23
	v_cndmask_b32_e32 v23, v42, v44, vcc
	v_cndmask_b32_e32 v32, v32, v52, vcc
	v_lshlrev_b32_e32 v30, 24, v30
	v_lshlrev_b32_e32 v32, 20, v32
	v_and_b32_e32 v30, 0x80000000, v30
	v_lshl_add_u32 v23, v23, 23, v38
	v_or3_b32 v32, v30, v23, v32
.LBB615_81:                             ;   in Loop: Header=BB615_17 Depth=1
	s_or_b64 exec, exec, s[10:11]
.LBB615_82:                             ;   in Loop: Header=BB615_17 Depth=1
	s_or_b64 exec, exec, s[6:7]
.LBB615_83:                             ;   in Loop: Header=BB615_17 Depth=1
	s_or_b64 exec, exec, s[4:5]
	v_cmp_lt_u32_e32 vcc, s15, v28
	v_mov_b32_e32 v42, 0
	v_mov_b32_e32 v44, 0
	s_and_saveexec_b64 s[4:5], vcc
	s_cbranch_execz .LBB615_89
; %bb.84:                               ;   in Loop: Header=BB615_17 Depth=1
	v_lshrrev_b32_e32 v30, 24, v28
	v_cmp_ne_u32_e32 vcc, s13, v30
	v_bfrev_b32_e32 v44, 1
	s_and_saveexec_b64 s[6:7], vcc
	s_cbranch_execz .LBB615_88
; %bb.85:                               ;   in Loop: Header=BB615_17 Depth=1
	v_bfe_u32 v23, v28, 24, 7
	v_cmp_ne_u32_e32 vcc, s14, v23
	v_mov_b32_e32 v44, 0x7f800001
	s_and_saveexec_b64 s[10:11], vcc
	s_cbranch_execz .LBB615_87
; %bb.86:                               ;   in Loop: Header=BB615_17 Depth=1
	v_and_b32_e32 v28, 7, v30
	v_ffbh_u32_e32 v52, v28
	v_min_u32_e32 v54, 32, v52
	v_subrev_u32_e32 v52, 28, v54
	v_lshlrev_b64 v[52:53], v52, v[30:31]
	v_lshrrev_b32_e32 v44, 3, v23
	v_sub_u32_e32 v53, 29, v54
	v_and_b32_e32 v52, 7, v52
	v_cmp_gt_u32_e32 vcc, 8, v23
	v_cndmask_b32_e32 v23, v44, v53, vcc
	v_cndmask_b32_e32 v28, v28, v52, vcc
	v_lshlrev_b32_e32 v30, 24, v30
	v_lshlrev_b32_e32 v28, 20, v28
	v_and_b32_e32 v30, 0x80000000, v30
	v_lshl_add_u32 v23, v23, 23, v38
	v_or3_b32 v44, v30, v23, v28
.LBB615_87:                             ;   in Loop: Header=BB615_17 Depth=1
	s_or_b64 exec, exec, s[10:11]
.LBB615_88:                             ;   in Loop: Header=BB615_17 Depth=1
	s_or_b64 exec, exec, s[6:7]
.LBB615_89:                             ;   in Loop: Header=BB615_17 Depth=1
	s_or_b64 exec, exec, s[4:5]
	s_waitcnt vmcnt(0)
	v_cmp_ne_u16_sdwa s[6:7], v26, v35 src0_sel:BYTE_0 src1_sel:DWORD
	s_and_saveexec_b64 s[4:5], s[6:7]
	s_cbranch_execz .LBB615_95
; %bb.90:                               ;   in Loop: Header=BB615_17 Depth=1
	v_cmp_ne_u16_sdwa s[10:11], v26, s13 src0_sel:BYTE_0 src1_sel:DWORD
	v_bfrev_b32_e32 v42, 1
	s_and_saveexec_b64 s[6:7], s[10:11]
	s_cbranch_execz .LBB615_94
; %bb.91:                               ;   in Loop: Header=BB615_17 Depth=1
	v_and_b32_e32 v23, 0x7f, v26
	v_cmp_ne_u32_e32 vcc, s14, v23
	v_mov_b32_e32 v42, 0x7f800001
	s_and_saveexec_b64 s[10:11], vcc
	s_cbranch_execz .LBB615_93
; %bb.92:                               ;   in Loop: Header=BB615_17 Depth=1
	v_and_b32_e32 v28, 7, v26
	v_ffbh_u32_e32 v42, v28
	v_min_u32_e32 v42, 32, v42
	v_subrev_u32_e32 v52, 28, v42
	v_lshlrev_b64 v[52:53], v52, v[26:27]
	v_lshrrev_b32_e32 v30, 3, v23
	v_sub_u32_e32 v42, 29, v42
	v_and_b32_e32 v52, 7, v52
	v_cmp_gt_u32_e32 vcc, 8, v23
	v_cndmask_b32_e32 v23, v30, v42, vcc
	v_cndmask_b32_e32 v28, v28, v52, vcc
	v_lshlrev_b32_e32 v30, 24, v26
	v_lshlrev_b32_e32 v28, 20, v28
	v_and_b32_e32 v30, 0x80000000, v30
	v_lshl_add_u32 v23, v23, 23, v38
	v_or3_b32 v42, v30, v23, v28
.LBB615_93:                             ;   in Loop: Header=BB615_17 Depth=1
	s_or_b64 exec, exec, s[10:11]
.LBB615_94:                             ;   in Loop: Header=BB615_17 Depth=1
	s_or_b64 exec, exec, s[6:7]
.LBB615_95:                             ;   in Loop: Header=BB615_17 Depth=1
	s_or_b64 exec, exec, s[4:5]
	v_lshrrev_b16_e32 v28, 8, v26
	v_cmp_ne_u16_e32 vcc, 0, v28
	v_mov_b32_e32 v52, 0
	v_mov_b32_e32 v53, 0
	s_and_saveexec_b64 s[4:5], vcc
	s_cbranch_execz .LBB615_101
; %bb.96:                               ;   in Loop: Header=BB615_17 Depth=1
	v_cmp_ne_u16_e32 vcc, s13, v28
	v_bfrev_b32_e32 v53, 1
	s_and_saveexec_b64 s[6:7], vcc
	s_cbranch_execz .LBB615_100
; %bb.97:                               ;   in Loop: Header=BB615_17 Depth=1
	v_and_b32_e32 v23, 0x7f, v28
	v_cmp_ne_u32_e32 vcc, s14, v23
	v_mov_b32_e32 v53, 0x7f800001
	s_and_saveexec_b64 s[10:11], vcc
	s_cbranch_execz .LBB615_99
; %bb.98:                               ;   in Loop: Header=BB615_17 Depth=1
	v_and_b32_e32 v30, 7, v28
	v_ffbh_u32_e32 v54, v30
	v_min_u32_e32 v56, 32, v54
	v_subrev_u32_e32 v54, 28, v56
	v_lshlrev_b64 v[54:55], v54, v[28:29]
	v_lshrrev_b32_e32 v53, 3, v23
	v_sub_u32_e32 v28, 29, v56
	v_and_b32_e32 v54, 7, v54
	v_cmp_gt_u32_e32 vcc, 8, v23
	v_cndmask_b32_e32 v23, v53, v28, vcc
	v_cndmask_b32_e32 v28, v30, v54, vcc
	v_lshlrev_b32_e32 v30, 16, v26
	v_lshlrev_b32_e32 v28, 20, v28
	v_and_b32_e32 v30, 0x80000000, v30
	v_lshl_add_u32 v23, v23, 23, v38
	v_or3_b32 v53, v30, v23, v28
.LBB615_99:                             ;   in Loop: Header=BB615_17 Depth=1
	s_or_b64 exec, exec, s[10:11]
.LBB615_100:                            ;   in Loop: Header=BB615_17 Depth=1
	s_or_b64 exec, exec, s[6:7]
.LBB615_101:                            ;   in Loop: Header=BB615_17 Depth=1
	s_or_b64 exec, exec, s[4:5]
	v_lshrrev_b32_e32 v28, 16, v26
	v_cmp_ne_u16_sdwa s[6:7], v28, v35 src0_sel:BYTE_0 src1_sel:DWORD
	s_and_saveexec_b64 s[4:5], s[6:7]
	s_cbranch_execz .LBB615_107
; %bb.102:                              ;   in Loop: Header=BB615_17 Depth=1
	v_cmp_ne_u16_sdwa s[10:11], v28, s13 src0_sel:BYTE_0 src1_sel:DWORD
	v_bfrev_b32_e32 v52, 1
	s_and_saveexec_b64 s[6:7], s[10:11]
	s_cbranch_execz .LBB615_106
; %bb.103:                              ;   in Loop: Header=BB615_17 Depth=1
	v_bfe_u32 v23, v26, 16, 7
	v_cmp_ne_u32_e32 vcc, s14, v23
	v_mov_b32_e32 v52, 0x7f800001
	s_and_saveexec_b64 s[10:11], vcc
	s_cbranch_execz .LBB615_105
; %bb.104:                              ;   in Loop: Header=BB615_17 Depth=1
	v_and_b32_e32 v30, 7, v28
	v_ffbh_u32_e32 v54, v30
	v_min_u32_e32 v56, 32, v54
	v_subrev_u32_e32 v54, 28, v56
	v_lshlrev_b64 v[54:55], v54, v[28:29]
	v_lshrrev_b32_e32 v52, 3, v23
	v_sub_u32_e32 v55, 29, v56
	v_and_b32_e32 v54, 7, v54
	v_cmp_gt_u32_e32 vcc, 8, v23
	v_cndmask_b32_e32 v23, v52, v55, vcc
	v_cndmask_b32_e32 v30, v30, v54, vcc
	v_lshlrev_b32_e32 v28, 24, v28
	v_lshlrev_b32_e32 v30, 20, v30
	v_and_b32_e32 v28, 0x80000000, v28
	v_lshl_add_u32 v23, v23, 23, v38
	v_or3_b32 v52, v28, v23, v30
.LBB615_105:                            ;   in Loop: Header=BB615_17 Depth=1
	s_or_b64 exec, exec, s[10:11]
.LBB615_106:                            ;   in Loop: Header=BB615_17 Depth=1
	s_or_b64 exec, exec, s[6:7]
.LBB615_107:                            ;   in Loop: Header=BB615_17 Depth=1
	s_or_b64 exec, exec, s[4:5]
	v_cmp_lt_u32_e32 vcc, s15, v26
	v_mov_b32_e32 v23, 0
	v_mov_b32_e32 v54, 0
	s_and_saveexec_b64 s[4:5], vcc
	s_cbranch_execz .LBB615_113
; %bb.108:                              ;   in Loop: Header=BB615_17 Depth=1
	v_lshrrev_b32_e32 v28, 24, v26
	v_cmp_ne_u32_e32 vcc, s13, v28
	v_bfrev_b32_e32 v54, 1
	s_and_saveexec_b64 s[6:7], vcc
	s_cbranch_execz .LBB615_112
; %bb.109:                              ;   in Loop: Header=BB615_17 Depth=1
	v_bfe_u32 v26, v26, 24, 7
	v_cmp_ne_u32_e32 vcc, s14, v26
	v_mov_b32_e32 v54, 0x7f800001
	s_and_saveexec_b64 s[10:11], vcc
	s_cbranch_execz .LBB615_111
; %bb.110:                              ;   in Loop: Header=BB615_17 Depth=1
	v_and_b32_e32 v30, 7, v28
	v_ffbh_u32_e32 v54, v30
	v_min_u32_e32 v57, 32, v54
	v_subrev_u32_e32 v54, 28, v57
	v_lshlrev_b64 v[54:55], v54, v[28:29]
	v_lshrrev_b32_e32 v56, 3, v26
	v_sub_u32_e32 v55, 29, v57
	v_and_b32_e32 v54, 7, v54
	v_cmp_gt_u32_e32 vcc, 8, v26
	v_cndmask_b32_e32 v26, v56, v55, vcc
	v_cndmask_b32_e32 v30, v30, v54, vcc
	v_lshlrev_b32_e32 v28, 24, v28
	v_lshlrev_b32_e32 v30, 20, v30
	v_and_b32_e32 v28, 0x80000000, v28
	v_lshl_add_u32 v26, v26, 23, v38
	v_or3_b32 v54, v28, v26, v30
.LBB615_111:                            ;   in Loop: Header=BB615_17 Depth=1
	s_or_b64 exec, exec, s[10:11]
.LBB615_112:                            ;   in Loop: Header=BB615_17 Depth=1
	s_or_b64 exec, exec, s[6:7]
.LBB615_113:                            ;   in Loop: Header=BB615_17 Depth=1
	s_or_b64 exec, exec, s[4:5]
	v_cvt_pkrtz_f16_f32 v57, v32, v44
	buffer_load_dword v32, v36, s[0:3], 0 offen offset:16
	buffer_load_dword v30, v36, s[0:3], 0 offen offset:20
	;; [unrolled: 1-line block ×4, first 2 shown]
	v_cvt_pkrtz_f16_f32 v56, v34, v40
	s_waitcnt vmcnt(3)
	v_cmp_ne_u16_sdwa s[6:7], v32, v35 src0_sel:BYTE_0 src1_sel:DWORD
	v_mfma_f32_16x16x16f16 v[18:21], v[56:57], v[6:7], v[18:21]
	v_cvt_pkrtz_f16_f32 v56, v42, v53
	v_cvt_pkrtz_f16_f32 v57, v52, v54
	s_nop 1
	v_mfma_f32_16x16x16f16 v[18:21], v[56:57], v[8:9], v[18:21]
	s_and_saveexec_b64 s[4:5], s[6:7]
	s_cbranch_execz .LBB615_119
; %bb.114:                              ;   in Loop: Header=BB615_17 Depth=1
	v_cmp_ne_u16_sdwa s[10:11], v32, s13 src0_sel:BYTE_0 src1_sel:DWORD
	v_bfrev_b32_e32 v23, 1
	s_and_saveexec_b64 s[6:7], s[10:11]
	s_cbranch_execz .LBB615_118
; %bb.115:                              ;   in Loop: Header=BB615_17 Depth=1
	v_and_b32_e32 v34, 0x7f, v32
	v_cmp_ne_u32_e32 vcc, s14, v34
	v_mov_b32_e32 v23, 0x7f800001
	s_and_saveexec_b64 s[10:11], vcc
	s_cbranch_execz .LBB615_117
; %bb.116:                              ;   in Loop: Header=BB615_17 Depth=1
	v_and_b32_e32 v23, 7, v32
	v_ffbh_u32_e32 v42, v23
	v_min_u32_e32 v42, 32, v42
	v_subrev_u32_e32 v44, 28, v42
	v_lshlrev_b64 v[52:53], v44, v[32:33]
	v_lshrrev_b32_e32 v40, 3, v34
	v_sub_u32_e32 v42, 29, v42
	v_and_b32_e32 v44, 7, v52
	v_cmp_gt_u32_e32 vcc, 8, v34
	v_cndmask_b32_e32 v34, v40, v42, vcc
	v_cndmask_b32_e32 v23, v23, v44, vcc
	v_lshlrev_b32_e32 v40, 24, v32
	v_lshlrev_b32_e32 v23, 20, v23
	v_and_b32_e32 v40, 0x80000000, v40
	v_lshl_add_u32 v34, v34, 23, v38
	v_or3_b32 v23, v40, v34, v23
.LBB615_117:                            ;   in Loop: Header=BB615_17 Depth=1
	s_or_b64 exec, exec, s[10:11]
.LBB615_118:                            ;   in Loop: Header=BB615_17 Depth=1
	s_or_b64 exec, exec, s[6:7]
.LBB615_119:                            ;   in Loop: Header=BB615_17 Depth=1
	s_or_b64 exec, exec, s[4:5]
	v_lshrrev_b16_e32 v34, 8, v32
	v_cmp_ne_u16_e32 vcc, 0, v34
	v_mov_b32_e32 v40, 0
	v_mov_b32_e32 v42, 0
	s_and_saveexec_b64 s[4:5], vcc
	s_cbranch_execz .LBB615_125
; %bb.120:                              ;   in Loop: Header=BB615_17 Depth=1
	v_cmp_ne_u16_e32 vcc, s13, v34
	v_bfrev_b32_e32 v42, 1
	s_and_saveexec_b64 s[6:7], vcc
	s_cbranch_execz .LBB615_124
; %bb.121:                              ;   in Loop: Header=BB615_17 Depth=1
	v_and_b32_e32 v44, 0x7f, v34
	v_cmp_ne_u32_e32 vcc, s14, v44
	v_mov_b32_e32 v42, 0x7f800001
	s_and_saveexec_b64 s[10:11], vcc
	s_cbranch_execz .LBB615_123
; %bb.122:                              ;   in Loop: Header=BB615_17 Depth=1
	v_and_b32_e32 v42, 7, v34
	v_ffbh_u32_e32 v52, v42
	v_min_u32_e32 v55, 32, v52
	v_subrev_u32_e32 v52, 28, v55
	v_lshlrev_b64 v[52:53], v52, v[34:35]
	v_lshrrev_b32_e32 v54, 3, v44
	v_sub_u32_e32 v34, 29, v55
	v_and_b32_e32 v52, 7, v52
	v_cmp_gt_u32_e32 vcc, 8, v44
	v_cndmask_b32_e32 v34, v54, v34, vcc
	v_cndmask_b32_e32 v42, v42, v52, vcc
	v_lshlrev_b32_e32 v44, 16, v32
	v_lshlrev_b32_e32 v42, 20, v42
	v_and_b32_e32 v44, 0x80000000, v44
	v_lshl_add_u32 v34, v34, 23, v38
	v_or3_b32 v42, v44, v34, v42
.LBB615_123:                            ;   in Loop: Header=BB615_17 Depth=1
	s_or_b64 exec, exec, s[10:11]
.LBB615_124:                            ;   in Loop: Header=BB615_17 Depth=1
	s_or_b64 exec, exec, s[6:7]
.LBB615_125:                            ;   in Loop: Header=BB615_17 Depth=1
	s_or_b64 exec, exec, s[4:5]
	v_lshrrev_b32_e32 v34, 16, v32
	v_cmp_ne_u16_sdwa s[6:7], v34, v35 src0_sel:BYTE_0 src1_sel:DWORD
	s_and_saveexec_b64 s[4:5], s[6:7]
	s_cbranch_execz .LBB615_131
; %bb.126:                              ;   in Loop: Header=BB615_17 Depth=1
	v_cmp_ne_u16_sdwa s[10:11], v34, s13 src0_sel:BYTE_0 src1_sel:DWORD
	v_bfrev_b32_e32 v40, 1
	s_and_saveexec_b64 s[6:7], s[10:11]
	s_cbranch_execz .LBB615_130
; %bb.127:                              ;   in Loop: Header=BB615_17 Depth=1
	v_bfe_u32 v44, v32, 16, 7
	v_cmp_ne_u32_e32 vcc, s14, v44
	v_mov_b32_e32 v40, 0x7f800001
	s_and_saveexec_b64 s[10:11], vcc
	s_cbranch_execz .LBB615_129
; %bb.128:                              ;   in Loop: Header=BB615_17 Depth=1
	v_and_b32_e32 v40, 7, v34
	v_ffbh_u32_e32 v52, v40
	v_min_u32_e32 v55, 32, v52
	v_subrev_u32_e32 v52, 28, v55
	v_lshlrev_b64 v[52:53], v52, v[34:35]
	v_lshrrev_b32_e32 v54, 3, v44
	v_sub_u32_e32 v53, 29, v55
	v_and_b32_e32 v52, 7, v52
	v_cmp_gt_u32_e32 vcc, 8, v44
	v_cndmask_b32_e32 v44, v54, v53, vcc
	v_cndmask_b32_e32 v40, v40, v52, vcc
	v_lshlrev_b32_e32 v34, 24, v34
	v_lshlrev_b32_e32 v40, 20, v40
	v_and_b32_e32 v34, 0x80000000, v34
	v_lshl_add_u32 v44, v44, 23, v38
	v_or3_b32 v40, v34, v44, v40
.LBB615_129:                            ;   in Loop: Header=BB615_17 Depth=1
	s_or_b64 exec, exec, s[10:11]
.LBB615_130:                            ;   in Loop: Header=BB615_17 Depth=1
	s_or_b64 exec, exec, s[6:7]
.LBB615_131:                            ;   in Loop: Header=BB615_17 Depth=1
	s_or_b64 exec, exec, s[4:5]
	v_cmp_lt_u32_e32 vcc, s15, v32
	v_mov_b32_e32 v44, 0
	v_mov_b32_e32 v52, 0
	s_and_saveexec_b64 s[4:5], vcc
	s_cbranch_execz .LBB615_137
; %bb.132:                              ;   in Loop: Header=BB615_17 Depth=1
	v_lshrrev_b32_e32 v34, 24, v32
	v_cmp_ne_u32_e32 vcc, s13, v34
	v_bfrev_b32_e32 v52, 1
	s_and_saveexec_b64 s[6:7], vcc
	s_cbranch_execz .LBB615_136
; %bb.133:                              ;   in Loop: Header=BB615_17 Depth=1
	v_bfe_u32 v32, v32, 24, 7
	v_cmp_ne_u32_e32 vcc, s14, v32
	v_mov_b32_e32 v52, 0x7f800001
	s_and_saveexec_b64 s[10:11], vcc
	s_cbranch_execz .LBB615_135
; %bb.134:                              ;   in Loop: Header=BB615_17 Depth=1
	v_and_b32_e32 v54, 7, v34
	v_ffbh_u32_e32 v52, v54
	v_min_u32_e32 v56, 32, v52
	v_subrev_u32_e32 v52, 28, v56
	v_lshlrev_b64 v[52:53], v52, v[34:35]
	v_lshrrev_b32_e32 v55, 3, v32
	v_sub_u32_e32 v53, 29, v56
	v_and_b32_e32 v52, 7, v52
	v_cmp_gt_u32_e32 vcc, 8, v32
	v_cndmask_b32_e32 v32, v55, v53, vcc
	v_cndmask_b32_e32 v52, v54, v52, vcc
	v_lshlrev_b32_e32 v34, 24, v34
	v_lshlrev_b32_e32 v52, 20, v52
	v_and_b32_e32 v34, 0x80000000, v34
	v_lshl_add_u32 v32, v32, 23, v38
	v_or3_b32 v52, v34, v32, v52
.LBB615_135:                            ;   in Loop: Header=BB615_17 Depth=1
	s_or_b64 exec, exec, s[10:11]
.LBB615_136:                            ;   in Loop: Header=BB615_17 Depth=1
	s_or_b64 exec, exec, s[6:7]
.LBB615_137:                            ;   in Loop: Header=BB615_17 Depth=1
	s_or_b64 exec, exec, s[4:5]
	s_waitcnt vmcnt(2)
	v_cmp_ne_u16_sdwa s[6:7], v30, v35 src0_sel:BYTE_0 src1_sel:DWORD
	s_and_saveexec_b64 s[4:5], s[6:7]
	s_cbranch_execz .LBB615_143
; %bb.138:                              ;   in Loop: Header=BB615_17 Depth=1
	v_cmp_ne_u16_sdwa s[10:11], v30, s13 src0_sel:BYTE_0 src1_sel:DWORD
	v_bfrev_b32_e32 v44, 1
	s_and_saveexec_b64 s[6:7], s[10:11]
	s_cbranch_execz .LBB615_142
; %bb.139:                              ;   in Loop: Header=BB615_17 Depth=1
	v_and_b32_e32 v32, 0x7f, v30
	v_cmp_ne_u32_e32 vcc, s14, v32
	v_mov_b32_e32 v44, 0x7f800001
	s_and_saveexec_b64 s[10:11], vcc
	s_cbranch_execz .LBB615_141
; %bb.140:                              ;   in Loop: Header=BB615_17 Depth=1
	v_and_b32_e32 v34, 7, v30
	v_ffbh_u32_e32 v53, v34
	v_min_u32_e32 v53, 32, v53
	v_subrev_u32_e32 v54, 28, v53
	v_lshlrev_b64 v[54:55], v54, v[30:31]
	v_lshrrev_b32_e32 v44, 3, v32
	v_sub_u32_e32 v53, 29, v53
	v_and_b32_e32 v54, 7, v54
	v_cmp_gt_u32_e32 vcc, 8, v32
	v_cndmask_b32_e32 v32, v44, v53, vcc
	v_cndmask_b32_e32 v34, v34, v54, vcc
	v_lshlrev_b32_e32 v44, 24, v30
	v_lshlrev_b32_e32 v34, 20, v34
	v_and_b32_e32 v44, 0x80000000, v44
	v_lshl_add_u32 v32, v32, 23, v38
	v_or3_b32 v44, v44, v32, v34
.LBB615_141:                            ;   in Loop: Header=BB615_17 Depth=1
	s_or_b64 exec, exec, s[10:11]
.LBB615_142:                            ;   in Loop: Header=BB615_17 Depth=1
	s_or_b64 exec, exec, s[6:7]
.LBB615_143:                            ;   in Loop: Header=BB615_17 Depth=1
	s_or_b64 exec, exec, s[4:5]
	v_lshrrev_b16_e32 v32, 8, v30
	v_cmp_ne_u16_e32 vcc, 0, v32
	v_mov_b32_e32 v53, 0
	v_mov_b32_e32 v54, 0
	s_and_saveexec_b64 s[4:5], vcc
	s_cbranch_execz .LBB615_149
; %bb.144:                              ;   in Loop: Header=BB615_17 Depth=1
	v_cmp_ne_u16_e32 vcc, s13, v32
	v_bfrev_b32_e32 v54, 1
	s_and_saveexec_b64 s[6:7], vcc
	s_cbranch_execz .LBB615_148
; %bb.145:                              ;   in Loop: Header=BB615_17 Depth=1
	v_and_b32_e32 v34, 0x7f, v32
	v_cmp_ne_u32_e32 vcc, s14, v34
	v_mov_b32_e32 v54, 0x7f800001
	s_and_saveexec_b64 s[10:11], vcc
	s_cbranch_execz .LBB615_147
; %bb.146:                              ;   in Loop: Header=BB615_17 Depth=1
	v_and_b32_e32 v56, 7, v32
	v_ffbh_u32_e32 v54, v56
	v_min_u32_e32 v58, 32, v54
	v_subrev_u32_e32 v54, 28, v58
	v_lshlrev_b64 v[54:55], v54, v[32:33]
	v_lshrrev_b32_e32 v57, 3, v34
	v_sub_u32_e32 v32, 29, v58
	v_and_b32_e32 v54, 7, v54
	v_cmp_gt_u32_e32 vcc, 8, v34
	v_cndmask_b32_e32 v32, v57, v32, vcc
	v_cndmask_b32_e32 v34, v56, v54, vcc
	v_lshlrev_b32_e32 v54, 16, v30
	v_lshlrev_b32_e32 v34, 20, v34
	v_and_b32_e32 v54, 0x80000000, v54
	v_lshl_add_u32 v32, v32, 23, v38
	v_or3_b32 v54, v54, v32, v34
.LBB615_147:                            ;   in Loop: Header=BB615_17 Depth=1
	s_or_b64 exec, exec, s[10:11]
.LBB615_148:                            ;   in Loop: Header=BB615_17 Depth=1
	s_or_b64 exec, exec, s[6:7]
.LBB615_149:                            ;   in Loop: Header=BB615_17 Depth=1
	s_or_b64 exec, exec, s[4:5]
	v_lshrrev_b32_e32 v32, 16, v30
	v_cmp_ne_u16_sdwa s[6:7], v32, v35 src0_sel:BYTE_0 src1_sel:DWORD
	s_and_saveexec_b64 s[4:5], s[6:7]
	s_cbranch_execz .LBB615_155
; %bb.150:                              ;   in Loop: Header=BB615_17 Depth=1
	v_cmp_ne_u16_sdwa s[10:11], v32, s13 src0_sel:BYTE_0 src1_sel:DWORD
	v_bfrev_b32_e32 v53, 1
	s_and_saveexec_b64 s[6:7], s[10:11]
	s_cbranch_execz .LBB615_154
; %bb.151:                              ;   in Loop: Header=BB615_17 Depth=1
	v_bfe_u32 v34, v30, 16, 7
	v_cmp_ne_u32_e32 vcc, s14, v34
	v_mov_b32_e32 v53, 0x7f800001
	s_and_saveexec_b64 s[10:11], vcc
	s_cbranch_execz .LBB615_153
; %bb.152:                              ;   in Loop: Header=BB615_17 Depth=1
	v_and_b32_e32 v53, 7, v32
	v_ffbh_u32_e32 v56, v53
	v_min_u32_e32 v58, 32, v56
	v_subrev_u32_e32 v56, 28, v58
	v_lshlrev_b64 v[56:57], v56, v[32:33]
	v_lshrrev_b32_e32 v55, 3, v34
	v_sub_u32_e32 v57, 29, v58
	v_and_b32_e32 v56, 7, v56
	v_cmp_gt_u32_e32 vcc, 8, v34
	v_cndmask_b32_e32 v34, v55, v57, vcc
	v_cndmask_b32_e32 v53, v53, v56, vcc
	v_lshlrev_b32_e32 v32, 24, v32
	v_lshlrev_b32_e32 v53, 20, v53
	v_and_b32_e32 v32, 0x80000000, v32
	v_lshl_add_u32 v34, v34, 23, v38
	v_or3_b32 v53, v32, v34, v53
.LBB615_153:                            ;   in Loop: Header=BB615_17 Depth=1
	s_or_b64 exec, exec, s[10:11]
.LBB615_154:                            ;   in Loop: Header=BB615_17 Depth=1
	s_or_b64 exec, exec, s[6:7]
.LBB615_155:                            ;   in Loop: Header=BB615_17 Depth=1
	s_or_b64 exec, exec, s[4:5]
	v_cmp_lt_u32_e32 vcc, s15, v30
	v_mov_b32_e32 v34, 0
	v_mov_b32_e32 v55, 0
	s_and_saveexec_b64 s[4:5], vcc
	s_cbranch_execz .LBB615_161
; %bb.156:                              ;   in Loop: Header=BB615_17 Depth=1
	v_lshrrev_b32_e32 v32, 24, v30
	v_cmp_ne_u32_e32 vcc, s13, v32
	v_bfrev_b32_e32 v55, 1
	s_and_saveexec_b64 s[6:7], vcc
	s_cbranch_execz .LBB615_160
; %bb.157:                              ;   in Loop: Header=BB615_17 Depth=1
	v_bfe_u32 v30, v30, 24, 7
	v_cmp_ne_u32_e32 vcc, s14, v30
	v_mov_b32_e32 v55, 0x7f800001
	s_and_saveexec_b64 s[10:11], vcc
	s_cbranch_execz .LBB615_159
; %bb.158:                              ;   in Loop: Header=BB615_17 Depth=1
	v_and_b32_e32 v55, 7, v32
	v_ffbh_u32_e32 v56, v55
	v_min_u32_e32 v59, 32, v56
	v_subrev_u32_e32 v56, 28, v59
	v_lshlrev_b64 v[56:57], v56, v[32:33]
	v_lshrrev_b32_e32 v58, 3, v30
	v_sub_u32_e32 v57, 29, v59
	v_and_b32_e32 v56, 7, v56
	v_cmp_gt_u32_e32 vcc, 8, v30
	v_cndmask_b32_e32 v30, v58, v57, vcc
	v_cndmask_b32_e32 v55, v55, v56, vcc
	v_lshlrev_b32_e32 v32, 24, v32
	v_lshlrev_b32_e32 v55, 20, v55
	v_and_b32_e32 v32, 0x80000000, v32
	v_lshl_add_u32 v30, v30, 23, v38
	v_or3_b32 v55, v32, v30, v55
.LBB615_159:                            ;   in Loop: Header=BB615_17 Depth=1
	s_or_b64 exec, exec, s[10:11]
.LBB615_160:                            ;   in Loop: Header=BB615_17 Depth=1
	s_or_b64 exec, exec, s[6:7]
.LBB615_161:                            ;   in Loop: Header=BB615_17 Depth=1
	s_or_b64 exec, exec, s[4:5]
	v_cvt_pkrtz_f16_f32 v56, v23, v42
	v_cvt_pkrtz_f16_f32 v57, v40, v52
	;; [unrolled: 1-line block ×4, first 2 shown]
	s_waitcnt vmcnt(1)
	v_cmp_ne_u16_sdwa s[6:7], v28, v35 src0_sel:BYTE_0 src1_sel:DWORD
	v_mfma_f32_16x16x16f16 v[18:21], v[56:57], v[10:11], v[18:21]
	v_mfma_f32_16x16x16f16 v[18:21], v[52:53], v[12:13], v[18:21]
	s_and_saveexec_b64 s[4:5], s[6:7]
	s_cbranch_execz .LBB615_167
; %bb.162:                              ;   in Loop: Header=BB615_17 Depth=1
	v_cmp_ne_u16_sdwa s[10:11], v28, s13 src0_sel:BYTE_0 src1_sel:DWORD
	v_bfrev_b32_e32 v34, 1
	s_and_saveexec_b64 s[6:7], s[10:11]
	s_cbranch_execz .LBB615_166
; %bb.163:                              ;   in Loop: Header=BB615_17 Depth=1
	v_and_b32_e32 v23, 0x7f, v28
	v_cmp_ne_u32_e32 vcc, s14, v23
	v_mov_b32_e32 v34, 0x7f800001
	s_and_saveexec_b64 s[10:11], vcc
	s_cbranch_execz .LBB615_165
; %bb.164:                              ;   in Loop: Header=BB615_17 Depth=1
	v_and_b32_e32 v30, 7, v28
	v_ffbh_u32_e32 v34, v30
	v_min_u32_e32 v34, 32, v34
	v_subrev_u32_e32 v40, 28, v34
	v_lshlrev_b64 v[52:53], v40, v[28:29]
	v_lshrrev_b32_e32 v32, 3, v23
	v_sub_u32_e32 v34, 29, v34
	v_and_b32_e32 v40, 7, v52
	v_cmp_gt_u32_e32 vcc, 8, v23
	v_cndmask_b32_e32 v23, v32, v34, vcc
	v_cndmask_b32_e32 v30, v30, v40, vcc
	v_lshlrev_b32_e32 v32, 24, v28
	v_lshlrev_b32_e32 v30, 20, v30
	v_and_b32_e32 v32, 0x80000000, v32
	v_lshl_add_u32 v23, v23, 23, v38
	v_or3_b32 v34, v32, v23, v30
.LBB615_165:                            ;   in Loop: Header=BB615_17 Depth=1
	s_or_b64 exec, exec, s[10:11]
.LBB615_166:                            ;   in Loop: Header=BB615_17 Depth=1
	s_or_b64 exec, exec, s[6:7]
.LBB615_167:                            ;   in Loop: Header=BB615_17 Depth=1
	s_or_b64 exec, exec, s[4:5]
	v_lshrrev_b16_e32 v30, 8, v28
	v_cmp_ne_u16_e32 vcc, 0, v30
	v_mov_b32_e32 v23, 0
	v_mov_b32_e32 v32, 0
	s_and_saveexec_b64 s[4:5], vcc
	s_cbranch_execz .LBB615_173
; %bb.168:                              ;   in Loop: Header=BB615_17 Depth=1
	v_cmp_ne_u16_e32 vcc, s13, v30
	v_bfrev_b32_e32 v32, 1
	s_and_saveexec_b64 s[6:7], vcc
	s_cbranch_execz .LBB615_172
; %bb.169:                              ;   in Loop: Header=BB615_17 Depth=1
	v_and_b32_e32 v40, 0x7f, v30
	v_cmp_ne_u32_e32 vcc, s14, v40
	v_mov_b32_e32 v32, 0x7f800001
	s_and_saveexec_b64 s[10:11], vcc
	s_cbranch_execz .LBB615_171
; %bb.170:                              ;   in Loop: Header=BB615_17 Depth=1
	v_and_b32_e32 v32, 7, v30
	v_ffbh_u32_e32 v44, v32
	v_min_u32_e32 v44, 32, v44
	v_subrev_u32_e32 v52, 28, v44
	v_lshlrev_b64 v[52:53], v52, v[30:31]
	v_lshrrev_b32_e32 v42, 3, v40
	v_sub_u32_e32 v30, 29, v44
	v_and_b32_e32 v44, 7, v52
	v_cmp_gt_u32_e32 vcc, 8, v40
	v_cndmask_b32_e32 v30, v42, v30, vcc
	v_cndmask_b32_e32 v32, v32, v44, vcc
	v_lshlrev_b32_e32 v40, 16, v28
	v_lshlrev_b32_e32 v32, 20, v32
	v_and_b32_e32 v40, 0x80000000, v40
	v_lshl_add_u32 v30, v30, 23, v38
	v_or3_b32 v32, v40, v30, v32
.LBB615_171:                            ;   in Loop: Header=BB615_17 Depth=1
	s_or_b64 exec, exec, s[10:11]
.LBB615_172:                            ;   in Loop: Header=BB615_17 Depth=1
	s_or_b64 exec, exec, s[6:7]
.LBB615_173:                            ;   in Loop: Header=BB615_17 Depth=1
	s_or_b64 exec, exec, s[4:5]
	v_lshrrev_b32_e32 v30, 16, v28
	v_cmp_ne_u16_sdwa s[6:7], v30, v35 src0_sel:BYTE_0 src1_sel:DWORD
	s_and_saveexec_b64 s[4:5], s[6:7]
	s_cbranch_execz .LBB615_179
; %bb.174:                              ;   in Loop: Header=BB615_17 Depth=1
	v_cmp_ne_u16_sdwa s[10:11], v30, s13 src0_sel:BYTE_0 src1_sel:DWORD
	v_bfrev_b32_e32 v23, 1
	s_and_saveexec_b64 s[6:7], s[10:11]
	s_cbranch_execz .LBB615_178
; %bb.175:                              ;   in Loop: Header=BB615_17 Depth=1
	v_bfe_u32 v40, v28, 16, 7
	v_cmp_ne_u32_e32 vcc, s14, v40
	v_mov_b32_e32 v23, 0x7f800001
	s_and_saveexec_b64 s[10:11], vcc
	s_cbranch_execz .LBB615_177
; %bb.176:                              ;   in Loop: Header=BB615_17 Depth=1
	v_and_b32_e32 v23, 7, v30
	v_ffbh_u32_e32 v44, v23
	v_min_u32_e32 v44, 32, v44
	v_subrev_u32_e32 v52, 28, v44
	v_lshlrev_b64 v[52:53], v52, v[30:31]
	v_lshrrev_b32_e32 v42, 3, v40
	v_sub_u32_e32 v44, 29, v44
	v_and_b32_e32 v52, 7, v52
	v_cmp_gt_u32_e32 vcc, 8, v40
	v_cndmask_b32_e32 v40, v42, v44, vcc
	v_cndmask_b32_e32 v23, v23, v52, vcc
	v_lshlrev_b32_e32 v30, 24, v30
	v_lshlrev_b32_e32 v23, 20, v23
	v_and_b32_e32 v30, 0x80000000, v30
	v_lshl_add_u32 v40, v40, 23, v38
	v_or3_b32 v23, v30, v40, v23
.LBB615_177:                            ;   in Loop: Header=BB615_17 Depth=1
	s_or_b64 exec, exec, s[10:11]
.LBB615_178:                            ;   in Loop: Header=BB615_17 Depth=1
	s_or_b64 exec, exec, s[6:7]
.LBB615_179:                            ;   in Loop: Header=BB615_17 Depth=1
	s_or_b64 exec, exec, s[4:5]
	v_cmp_lt_u32_e32 vcc, s15, v28
	v_mov_b32_e32 v40, 0
	v_mov_b32_e32 v42, 0
	s_and_saveexec_b64 s[4:5], vcc
	s_cbranch_execz .LBB615_185
; %bb.180:                              ;   in Loop: Header=BB615_17 Depth=1
	v_lshrrev_b32_e32 v30, 24, v28
	v_cmp_ne_u32_e32 vcc, s13, v30
	v_bfrev_b32_e32 v42, 1
	s_and_saveexec_b64 s[6:7], vcc
	s_cbranch_execz .LBB615_184
; %bb.181:                              ;   in Loop: Header=BB615_17 Depth=1
	v_bfe_u32 v28, v28, 24, 7
	v_cmp_ne_u32_e32 vcc, s14, v28
	v_mov_b32_e32 v42, 0x7f800001
	s_and_saveexec_b64 s[10:11], vcc
	s_cbranch_execz .LBB615_183
; %bb.182:                              ;   in Loop: Header=BB615_17 Depth=1
	v_and_b32_e32 v42, 7, v30
	v_ffbh_u32_e32 v52, v42
	v_min_u32_e32 v54, 32, v52
	v_subrev_u32_e32 v52, 28, v54
	v_lshlrev_b64 v[52:53], v52, v[30:31]
	v_lshrrev_b32_e32 v44, 3, v28
	v_sub_u32_e32 v53, 29, v54
	v_and_b32_e32 v52, 7, v52
	v_cmp_gt_u32_e32 vcc, 8, v28
	v_cndmask_b32_e32 v28, v44, v53, vcc
	v_cndmask_b32_e32 v42, v42, v52, vcc
	v_lshlrev_b32_e32 v30, 24, v30
	v_lshlrev_b32_e32 v42, 20, v42
	v_and_b32_e32 v30, 0x80000000, v30
	v_lshl_add_u32 v28, v28, 23, v38
	v_or3_b32 v42, v30, v28, v42
.LBB615_183:                            ;   in Loop: Header=BB615_17 Depth=1
	s_or_b64 exec, exec, s[10:11]
.LBB615_184:                            ;   in Loop: Header=BB615_17 Depth=1
	s_or_b64 exec, exec, s[6:7]
.LBB615_185:                            ;   in Loop: Header=BB615_17 Depth=1
	s_or_b64 exec, exec, s[4:5]
	s_waitcnt vmcnt(0)
	v_cmp_ne_u16_sdwa s[6:7], v26, v35 src0_sel:BYTE_0 src1_sel:DWORD
	s_and_saveexec_b64 s[4:5], s[6:7]
	s_cbranch_execz .LBB615_191
; %bb.186:                              ;   in Loop: Header=BB615_17 Depth=1
	v_cmp_ne_u16_sdwa s[10:11], v26, s13 src0_sel:BYTE_0 src1_sel:DWORD
	v_bfrev_b32_e32 v40, 1
	s_and_saveexec_b64 s[6:7], s[10:11]
	s_cbranch_execz .LBB615_190
; %bb.187:                              ;   in Loop: Header=BB615_17 Depth=1
	v_and_b32_e32 v28, 0x7f, v26
	v_cmp_ne_u32_e32 vcc, s14, v28
	v_mov_b32_e32 v40, 0x7f800001
	s_and_saveexec_b64 s[10:11], vcc
	s_cbranch_execz .LBB615_189
; %bb.188:                              ;   in Loop: Header=BB615_17 Depth=1
	v_and_b32_e32 v30, 7, v26
	v_ffbh_u32_e32 v44, v30
	v_min_u32_e32 v44, 32, v44
	v_subrev_u32_e32 v52, 28, v44
	v_lshlrev_b64 v[52:53], v52, v[26:27]
	v_lshrrev_b32_e32 v40, 3, v28
	v_sub_u32_e32 v44, 29, v44
	v_and_b32_e32 v52, 7, v52
	v_cmp_gt_u32_e32 vcc, 8, v28
	v_cndmask_b32_e32 v28, v40, v44, vcc
	v_cndmask_b32_e32 v30, v30, v52, vcc
	v_lshlrev_b32_e32 v40, 24, v26
	v_lshlrev_b32_e32 v30, 20, v30
	v_and_b32_e32 v40, 0x80000000, v40
	v_lshl_add_u32 v28, v28, 23, v38
	v_or3_b32 v40, v40, v28, v30
.LBB615_189:                            ;   in Loop: Header=BB615_17 Depth=1
	s_or_b64 exec, exec, s[10:11]
.LBB615_190:                            ;   in Loop: Header=BB615_17 Depth=1
	s_or_b64 exec, exec, s[6:7]
.LBB615_191:                            ;   in Loop: Header=BB615_17 Depth=1
	s_or_b64 exec, exec, s[4:5]
	v_lshrrev_b16_e32 v28, 8, v26
	v_cmp_ne_u16_e32 vcc, 0, v28
	v_mov_b32_e32 v30, 0
	v_mov_b32_e32 v44, 0
	s_and_saveexec_b64 s[4:5], vcc
	s_cbranch_execz .LBB615_197
; %bb.192:                              ;   in Loop: Header=BB615_17 Depth=1
	v_cmp_ne_u16_e32 vcc, s13, v28
	v_bfrev_b32_e32 v44, 1
	s_and_saveexec_b64 s[6:7], vcc
	s_cbranch_execz .LBB615_196
; %bb.193:                              ;   in Loop: Header=BB615_17 Depth=1
	v_and_b32_e32 v52, 0x7f, v28
	v_cmp_ne_u32_e32 vcc, s14, v52
	v_mov_b32_e32 v44, 0x7f800001
	s_and_saveexec_b64 s[10:11], vcc
	s_cbranch_execz .LBB615_195
; %bb.194:                              ;   in Loop: Header=BB615_17 Depth=1
	v_and_b32_e32 v44, 7, v28
	v_ffbh_u32_e32 v54, v44
	v_min_u32_e32 v56, 32, v54
	v_subrev_u32_e32 v54, 28, v56
	v_lshlrev_b64 v[54:55], v54, v[28:29]
	v_lshrrev_b32_e32 v53, 3, v52
	v_sub_u32_e32 v28, 29, v56
	v_and_b32_e32 v54, 7, v54
	v_cmp_gt_u32_e32 vcc, 8, v52
	v_cndmask_b32_e32 v28, v53, v28, vcc
	v_cndmask_b32_e32 v44, v44, v54, vcc
	v_lshlrev_b32_e32 v52, 16, v26
	v_lshlrev_b32_e32 v44, 20, v44
	v_and_b32_e32 v52, 0x80000000, v52
	v_lshl_add_u32 v28, v28, 23, v38
	v_or3_b32 v44, v52, v28, v44
.LBB615_195:                            ;   in Loop: Header=BB615_17 Depth=1
	s_or_b64 exec, exec, s[10:11]
.LBB615_196:                            ;   in Loop: Header=BB615_17 Depth=1
	s_or_b64 exec, exec, s[6:7]
.LBB615_197:                            ;   in Loop: Header=BB615_17 Depth=1
	s_or_b64 exec, exec, s[4:5]
	v_lshrrev_b32_e32 v28, 16, v26
	v_cmp_ne_u16_sdwa s[6:7], v28, v35 src0_sel:BYTE_0 src1_sel:DWORD
	s_and_saveexec_b64 s[4:5], s[6:7]
	s_cbranch_execz .LBB615_203
; %bb.198:                              ;   in Loop: Header=BB615_17 Depth=1
	v_cmp_ne_u16_sdwa s[10:11], v28, s13 src0_sel:BYTE_0 src1_sel:DWORD
	v_bfrev_b32_e32 v30, 1
	s_and_saveexec_b64 s[6:7], s[10:11]
	s_cbranch_execz .LBB615_202
; %bb.199:                              ;   in Loop: Header=BB615_17 Depth=1
	v_bfe_u32 v52, v26, 16, 7
	v_cmp_ne_u32_e32 vcc, s14, v52
	v_mov_b32_e32 v30, 0x7f800001
	s_and_saveexec_b64 s[10:11], vcc
	s_cbranch_execz .LBB615_201
; %bb.200:                              ;   in Loop: Header=BB615_17 Depth=1
	v_and_b32_e32 v30, 7, v28
	v_ffbh_u32_e32 v54, v30
	v_min_u32_e32 v56, 32, v54
	v_subrev_u32_e32 v54, 28, v56
	v_lshlrev_b64 v[54:55], v54, v[28:29]
	v_lshrrev_b32_e32 v53, 3, v52
	v_sub_u32_e32 v55, 29, v56
	v_and_b32_e32 v54, 7, v54
	v_cmp_gt_u32_e32 vcc, 8, v52
	v_cndmask_b32_e32 v52, v53, v55, vcc
	v_cndmask_b32_e32 v30, v30, v54, vcc
	v_lshlrev_b32_e32 v28, 24, v28
	v_lshlrev_b32_e32 v30, 20, v30
	v_and_b32_e32 v28, 0x80000000, v28
	v_lshl_add_u32 v52, v52, 23, v38
	v_or3_b32 v30, v28, v52, v30
.LBB615_201:                            ;   in Loop: Header=BB615_17 Depth=1
	s_or_b64 exec, exec, s[10:11]
.LBB615_202:                            ;   in Loop: Header=BB615_17 Depth=1
	s_or_b64 exec, exec, s[6:7]
.LBB615_203:                            ;   in Loop: Header=BB615_17 Depth=1
	s_or_b64 exec, exec, s[4:5]
	v_cmp_lt_u32_e32 vcc, s15, v26
	v_mov_b32_e32 v52, 0
	s_and_saveexec_b64 s[4:5], vcc
	s_cbranch_execz .LBB615_16
; %bb.204:                              ;   in Loop: Header=BB615_17 Depth=1
	v_lshrrev_b32_e32 v28, 24, v26
	v_cmp_ne_u32_e32 vcc, s13, v28
	v_bfrev_b32_e32 v52, 1
	s_and_saveexec_b64 s[6:7], vcc
	s_cbranch_execz .LBB615_15
; %bb.205:                              ;   in Loop: Header=BB615_17 Depth=1
	v_bfe_u32 v26, v26, 24, 7
	v_cmp_ne_u32_e32 vcc, s14, v26
	v_mov_b32_e32 v52, 0x7f800001
	s_and_saveexec_b64 s[10:11], vcc
	s_cbranch_execz .LBB615_14
; %bb.206:                              ;   in Loop: Header=BB615_17 Depth=1
	v_and_b32_e32 v54, 7, v28
	v_ffbh_u32_e32 v52, v54
	v_min_u32_e32 v56, 32, v52
	v_subrev_u32_e32 v52, 28, v56
	v_lshlrev_b64 v[52:53], v52, v[28:29]
	v_lshrrev_b32_e32 v55, 3, v26
	v_sub_u32_e32 v53, 29, v56
	v_and_b32_e32 v52, 7, v52
	v_cmp_gt_u32_e32 vcc, 8, v26
	v_cndmask_b32_e32 v26, v55, v53, vcc
	v_cndmask_b32_e32 v52, v54, v52, vcc
	v_lshlrev_b32_e32 v28, 24, v28
	v_lshlrev_b32_e32 v52, 20, v52
	v_and_b32_e32 v28, 0x80000000, v28
	v_lshl_add_u32 v26, v26, 23, v38
	v_or3_b32 v52, v28, v26, v52
	s_branch .LBB615_14
.LBB615_207:
	buffer_load_dword v17, off, s[0:3], 0 offset:256
	buffer_load_dword v16, off, s[0:3], 0 offset:260
	buffer_load_dword v15, off, s[0:3], 0 offset:264
	buffer_load_dword v14, off, s[0:3], 0 offset:268
	buffer_load_dword v13, off, s[0:3], 0 offset:272
	buffer_load_dword v12, off, s[0:3], 0 offset:276
	buffer_load_dword v11, off, s[0:3], 0 offset:280
	buffer_load_dword v10, off, s[0:3], 0 offset:284
	buffer_load_dword v9, off, s[0:3], 0 offset:288
	buffer_load_dword v8, off, s[0:3], 0 offset:292
	buffer_load_dword v7, off, s[0:3], 0 offset:296
	buffer_load_dword v6, off, s[0:3], 0 offset:300
	buffer_load_dword v5, off, s[0:3], 0 offset:304
	buffer_load_dword v4, off, s[0:3], 0 offset:308
	buffer_load_dword v3, off, s[0:3], 0 offset:312
	buffer_load_dword v2, off, s[0:3], 0 offset:316
	v_and_b32_e32 v18, 0xc0, v0
	v_add_u32_e32 v18, s20, v18
	v_lshl_or_b32 v18, v1, 2, v18
	v_or_b32_e32 v20, 1, v18
	v_subrev_u32_e32 v24, s33, v20
	v_add_u32_e32 v26, 1, v24
	v_cvt_f32_i32_e32 v25, v24
	v_add_u32_e32 v28, 2, v24
	v_add_u32_e32 v30, 3, v24
	;; [unrolled: 1-line block ×14, first 2 shown]
	v_cvt_f32_i32_e32 v26, v26
	v_cvt_f32_i32_e32 v28, v28
	;; [unrolled: 1-line block ×4, first 2 shown]
	v_mov_b32_e32 v19, 0xff7fffff
	v_or_b32_e32 v21, 2, v18
	v_or_b32_e32 v22, 3, v18
	v_cvt_f32_i32_e32 v32, v32
	v_cvt_f32_i32_e32 v34, v34
	v_cmp_gt_i32_e64 s[28:29], s33, v18
	v_cmp_gt_i32_e64 s[30:31], s33, v20
	s_mov_b32 s52, 0xff7fffff
	v_cmp_gt_i32_e64 s[34:35], s33, v21
	v_cmp_gt_i32_e64 s[36:37], s33, v22
	v_or_b32_e32 v23, 16, v18
	v_cvt_f32_i32_e32 v35, v35
	v_cvt_f32_i32_e32 v36, v36
	v_cmp_gt_i32_e64 s[24:25], s33, v23
	v_cvt_f32_i32_e32 v37, v37
	v_cvt_f32_i32_e32 v38, v38
	;; [unrolled: 1-line block ×7, first 2 shown]
	s_waitcnt vmcnt(15)
	v_fmac_f32_e32 v17, v31, v25
	s_waitcnt vmcnt(14)
	v_fmac_f32_e32 v16, v31, v26
	;; [unrolled: 2-line block ×4, first 2 shown]
	v_cndmask_b32_e64 v20, v19, v16, s[30:31]
	v_cndmask_b32_e64 v21, v19, v15, s[34:35]
	;; [unrolled: 1-line block ×3, first 2 shown]
	s_waitcnt vmcnt(11)
	v_fmac_f32_e32 v13, v31, v32
	s_waitcnt vmcnt(10)
	v_fmac_f32_e32 v12, v31, v34
	;; [unrolled: 2-line block ×9, first 2 shown]
	v_cndmask_b32_e64 v24, v19, v17, s[28:29]
	v_max3_f32 v20, v24, s52, v20
	v_max3_f32 v20, v20, v21, v22
	v_or_b32_e32 v22, 17, v18
	v_cmp_gt_i32_e64 s[38:39], s33, v22
	v_cndmask_b32_e64 v21, v19, v13, s[24:25]
	v_cndmask_b32_e64 v22, v19, v12, s[38:39]
	v_max3_f32 v20, v20, v21, v22
	v_or_b32_e32 v21, 18, v18
	v_or_b32_e32 v22, 19, v18
	v_cmp_gt_i32_e64 s[20:21], s33, v21
	v_cmp_gt_i32_e64 s[22:23], s33, v22
	v_cndmask_b32_e64 v21, v19, v11, s[20:21]
	v_cndmask_b32_e64 v22, v19, v10, s[22:23]
	v_max3_f32 v20, v20, v21, v22
	v_or_b32_e32 v21, 32, v18
	v_or_b32_e32 v22, 33, v18
	v_cmp_gt_i32_e64 s[16:17], s33, v21
	;; [unrolled: 7-line block ×3, first 2 shown]
	v_cmp_gt_i32_e64 s[14:15], s33, v22
	v_cndmask_b32_e64 v21, v19, v7, s[12:13]
	v_cndmask_b32_e64 v22, v19, v6, s[14:15]
	v_max3_f32 v20, v20, v21, v22
	v_or_b32_e32 v21, 48, v18
	v_or_b32_e32 v22, 49, v18
	v_fmac_f32_e32 v5, v31, v44
	v_fmac_f32_e32 v4, v31, v52
	v_cmp_gt_i32_e64 s[6:7], s33, v21
	v_cmp_gt_i32_e64 s[10:11], s33, v22
	v_cndmask_b32_e64 v21, v19, v5, s[6:7]
	v_cndmask_b32_e64 v22, v19, v4, s[10:11]
	v_max3_f32 v20, v20, v21, v22
	v_or_b32_e32 v21, 50, v18
	v_or_b32_e32 v18, 51, v18
	v_fmac_f32_e32 v3, v31, v53
	v_cmp_gt_i32_e32 vcc, s33, v21
	v_cmp_gt_i32_e64 s[4:5], s33, v18
	v_cndmask_b32_e32 v21, v19, v3, vcc
	v_cndmask_b32_e64 v18, v19, v2, s[4:5]
	v_mbcnt_lo_u32_b32 v19, -1, 0
	v_mbcnt_hi_u32_b32 v19, -1, v19
	v_max3_f32 v18, v20, v21, v18
	v_and_b32_e32 v20, 64, v19
	v_add_u32_e32 v20, 64, v20
	v_xor_b32_e32 v21, 32, v19
	v_cmp_lt_i32_e64 s[40:41], v21, v20
	v_cndmask_b32_e64 v21, v19, v21, s[40:41]
	v_lshlrev_b32_e32 v21, 2, v21
	ds_bpermute_b32 v22, v21, v18
	s_waitcnt lgkmcnt(0)
	v_max_f32_e32 v22, v22, v22
	v_max_f32_e32 v18, v18, v22
	v_xor_b32_e32 v22, 16, v19
	v_cmp_lt_i32_e64 s[40:41], v22, v20
	v_cndmask_b32_e64 v19, v19, v22, s[40:41]
	v_lshlrev_b32_e32 v19, 2, v19
	ds_bpermute_b32 v20, v19, v18
	s_waitcnt lgkmcnt(0)
	v_max_f32_e32 v20, v20, v20
	v_max_f32_e32 v18, v18, v20
	v_sub_f32_e32 v17, v17, v18
	v_mul_f32_e32 v17, 0x3fb8aa3b, v17
	v_sub_f32_e32 v16, v16, v18
	v_exp_f32_e32 v17, v17
	v_mul_f32_e32 v16, 0x3fb8aa3b, v16
	v_sub_f32_e32 v15, v15, v18
	v_exp_f32_e32 v16, v16
	;; [unrolled: 3-line block ×4, first 2 shown]
	v_mul_f32_e32 v13, 0x3fb8aa3b, v13
	v_sub_f32_e32 v12, v12, v18
	v_cndmask_b32_e64 v17, 0, v17, s[28:29]
	v_exp_f32_e32 v13, v13
	v_mul_f32_e32 v12, 0x3fb8aa3b, v12
	v_sub_f32_e32 v11, v11, v18
	v_add_f32_e32 v20, 0, v17
	v_cndmask_b32_e64 v16, 0, v16, s[30:31]
	v_exp_f32_e32 v12, v12
	v_mul_f32_e32 v11, 0x3fb8aa3b, v11
	v_sub_f32_e32 v10, v10, v18
	v_add_f32_e32 v20, v20, v16
	;; [unrolled: 5-line block ×4, first 2 shown]
	v_cndmask_b32_e64 v13, 0, v13, s[24:25]
	v_exp_f32_e32 v9, v9
	v_mul_f32_e32 v8, 0x3fb8aa3b, v8
	v_sub_f32_e32 v7, v7, v18
	buffer_store_dword v17, off, s[0:3], 0 offset:256
	buffer_store_dword v16, off, s[0:3], 0 offset:260
	;; [unrolled: 1-line block ×4, first 2 shown]
	v_add_f32_e32 v14, v20, v13
	v_cndmask_b32_e64 v12, 0, v12, s[38:39]
	v_exp_f32_e32 v8, v8
	v_mul_f32_e32 v7, 0x3fb8aa3b, v7
	v_sub_f32_e32 v6, v6, v18
	v_add_f32_e32 v14, v14, v12
	v_cndmask_b32_e64 v11, 0, v11, s[20:21]
	v_exp_f32_e32 v7, v7
	v_mul_f32_e32 v6, 0x3fb8aa3b, v6
	v_sub_f32_e32 v5, v5, v18
	;; [unrolled: 5-line block ×4, first 2 shown]
	buffer_store_dword v13, off, s[0:3], 0 offset:272
	buffer_store_dword v12, off, s[0:3], 0 offset:276
	;; [unrolled: 1-line block ×4, first 2 shown]
	v_add_f32_e32 v10, v14, v9
	v_cndmask_b32_e64 v8, 0, v8, s[18:19]
	v_exp_f32_e32 v4, v4
	v_mul_f32_e32 v3, 0x3fb8aa3b, v3
	v_sub_f32_e32 v2, v2, v18
	v_add_f32_e32 v10, v10, v8
	v_cndmask_b32_e64 v7, 0, v7, s[12:13]
	v_exp_f32_e32 v3, v3
	v_mul_f32_e32 v2, 0x3fb8aa3b, v2
	v_add_f32_e32 v10, v10, v7
	v_cndmask_b32_e64 v6, 0, v6, s[14:15]
	v_exp_f32_e32 v2, v2
	v_add_f32_e32 v10, v10, v6
	v_cndmask_b32_e64 v5, 0, v5, s[6:7]
	buffer_store_dword v9, off, s[0:3], 0 offset:288
	buffer_store_dword v8, off, s[0:3], 0 offset:292
	;; [unrolled: 1-line block ×4, first 2 shown]
	v_add_f32_e32 v6, v10, v5
	v_cndmask_b32_e64 v4, 0, v4, s[10:11]
	v_add_f32_e32 v6, v6, v4
	v_cndmask_b32_e32 v3, 0, v3, vcc
	v_add_f32_e32 v6, v6, v3
	v_cndmask_b32_e64 v2, 0, v2, s[4:5]
	v_add_f32_e32 v6, v6, v2
	ds_bpermute_b32 v7, v21, v6
	buffer_store_dword v5, off, s[0:3], 0 offset:304
	buffer_store_dword v4, off, s[0:3], 0 offset:308
	;; [unrolled: 1-line block ×4, first 2 shown]
	v_cmp_gt_u32_e32 vcc, 16, v33
	s_waitcnt lgkmcnt(0)
	s_barrier
	v_add_f32_e32 v2, v6, v7
	ds_bpermute_b32 v3, v19, v2
	s_waitcnt lgkmcnt(0)
	s_and_saveexec_b64 s[4:5], vcc
	s_cbranch_execz .LBB615_209
; %bb.208:
	v_add_f32_e32 v2, v2, v3
	v_lshlrev_b32_e32 v3, 2, v29
	ds_write2st64_b32 v3, v18, v2 offset1:1
.LBB615_209:
	s_or_b64 exec, exec, s[4:5]
	v_lshlrev_b32_e32 v2, 2, v41
	s_waitcnt lgkmcnt(0)
	s_barrier
	ds_read2_b32 v[12:13], v2 offset1:16
	ds_read2_b32 v[14:15], v2 offset0:32 offset1:48
	ds_read2_b32 v[6:7], v2 offset0:64 offset1:80
	;; [unrolled: 1-line block ×3, first 2 shown]
	s_waitcnt lgkmcnt(0)
	s_barrier
	buffer_load_dword v20, off, s[0:3], 0 offset:256
	buffer_load_dword v21, off, s[0:3], 0 offset:260
	;; [unrolled: 1-line block ×16, first 2 shown]
	v_lshlrev_b32_e32 v19, 3, v1
	v_lshlrev_b32_e32 v18, 5, v41
	;; [unrolled: 1-line block ×3, first 2 shown]
	v_or3_b32 v52, v26, v18, v19
	v_max3_f32 v19, v12, s52, v13
	v_max3_f32 v19, v19, v14, v15
	v_sub_f32_e32 v12, v12, v19
	v_sub_f32_e32 v13, v13, v19
	v_mul_f32_e32 v12, 0x3fb8aa3b, v12
	v_sub_f32_e32 v14, v14, v19
	v_mul_f32_e32 v13, 0x3fb8aa3b, v13
	v_exp_f32_e32 v12, v12
	v_sub_f32_e32 v15, v15, v19
	v_mul_f32_e32 v14, 0x3fb8aa3b, v14
	v_exp_f32_e32 v13, v13
	v_mul_f32_e32 v15, 0x3fb8aa3b, v15
	v_exp_f32_e32 v14, v14
	v_exp_f32_e32 v15, v15
	v_fma_f32 v6, v12, v6, 0
	v_fmac_f32_e32 v6, v13, v7
	v_fmac_f32_e32 v6, v14, v10
	;; [unrolled: 1-line block ×3, first 2 shown]
	v_cmp_eq_u32_e32 vcc, 1, v27
	v_add_f32_e32 v10, 0x358637bd, v6
	v_cndmask_b32_e32 v12, v12, v13, vcc
	v_cmp_eq_u32_e32 vcc, 2, v27
	v_div_scale_f32 v11, s[4:5], v10, v10, 1.0
	v_cndmask_b32_e32 v7, v12, v14, vcc
	v_rcp_f32_e32 v12, v11
	v_cmp_eq_u32_e32 vcc, 3, v27
	v_cndmask_b32_e32 v7, v7, v15, vcc
	v_div_scale_f32 v13, vcc, 1.0, v10, 1.0
	v_fma_f32 v14, -v11, v12, 1.0
	v_fmac_f32_e32 v12, v14, v12
	v_mul_f32_e32 v14, v13, v12
	v_fma_f32 v15, -v11, v14, v13
	v_fmac_f32_e32 v14, v15, v12
	v_fma_f32 v11, -v11, v14, v13
	v_div_fmas_f32 v11, v11, v12, v14
	v_div_fixup_f32 v10, v11, v10, 1.0
	v_mul_f32_e32 v10, v7, v10
	s_mul_i32 s18, s49, 10
	v_cmp_gt_u32_e32 vcc, 10, v0
	s_waitcnt vmcnt(14)
	v_pk_mul_f32 v[14:15], v[10:11], v[20:21] op_sel_hi:[0,1]
	v_cvt_f16_f32_e32 v7, v14
	s_waitcnt vmcnt(12)
	v_pk_mul_f32 v[12:13], v[10:11], v[22:23] op_sel_hi:[0,1]
	buffer_store_dword v14, off, s[0:3], 0 offset:256
	buffer_store_dword v15, off, s[0:3], 0 offset:260
	;; [unrolled: 1-line block ×3, first 2 shown]
	s_waitcnt vmcnt(13)
	v_pk_mul_f32 v[20:21], v[10:11], v[24:25] op_sel_hi:[0,1]
	v_cvt_f16_f32_e32 v14, v12
	s_waitcnt vmcnt(11)
	v_pk_mul_f32 v[22:23], v[10:11], v[28:29] op_sel_hi:[0,1]
	v_cvt_f16_f32_e32 v11, v15
	v_cvt_f16_f32_e32 v15, v13
	buffer_store_dword v13, off, s[0:3], 0 offset:268
	buffer_store_dword v22, off, s[0:3], 0 offset:272
	;; [unrolled: 1-line block ×3, first 2 shown]
	v_pack_b32_f16 v12, v7, v11
	v_cvt_f16_f32_e32 v11, v23
	v_pack_b32_f16 v13, v14, v15
	v_cvt_f16_f32_e32 v7, v22
	v_cvt_f16_f32_e32 v15, v20
	;; [unrolled: 1-line block ×3, first 2 shown]
	s_waitcnt vmcnt(12)
	v_pk_mul_f32 v[4:5], v[10:11], v[4:5] op_sel_hi:[0,1]
	v_pack_b32_f16 v14, v7, v11
	s_waitcnt vmcnt(10)
	v_pk_mul_f32 v[2:3], v[10:11], v[2:3] op_sel_hi:[0,1]
	v_pack_b32_f16 v15, v15, v22
	v_cvt_f16_f32_e32 v11, v5
	buffer_store_dword v20, off, s[0:3], 0 offset:280
	buffer_store_dword v21, off, s[0:3], 0 offset:284
	ds_write2st64_b64 v52, v[12:13], v[14:15] offset1:1
	buffer_store_dword v2, off, s[0:3], 0 offset:288
	buffer_store_dword v3, off, s[0:3], 0 offset:292
	v_cvt_f16_f32_e32 v2, v2
	v_cvt_f16_f32_e32 v3, v3
	;; [unrolled: 1-line block ×3, first 2 shown]
	buffer_store_dword v4, off, s[0:3], 0 offset:296
	buffer_store_dword v5, off, s[0:3], 0 offset:300
	s_waitcnt vmcnt(12)
	v_pk_mul_f32 v[4:5], v[10:11], v[16:17] op_sel_hi:[0,1]
	v_pk_mul_f32 v[8:9], v[10:11], v[8:9] op_sel_hi:[0,1]
	v_pack_b32_f16 v2, v2, v3
	v_pack_b32_f16 v3, v7, v11
	buffer_store_dword v8, off, s[0:3], 0 offset:304
	buffer_store_dword v9, off, s[0:3], 0 offset:308
	v_cvt_f16_f32_e32 v7, v8
	v_cvt_f16_f32_e32 v8, v9
	;; [unrolled: 1-line block ×4, first 2 shown]
	buffer_store_dword v4, off, s[0:3], 0 offset:312
	buffer_store_dword v5, off, s[0:3], 0 offset:316
	v_pack_b32_f16 v4, v7, v8
	v_pack_b32_f16 v5, v9, v10
	ds_write2st64_b64 v52, v[2:3], v[4:5] offset0:2 offset1:3
	s_and_saveexec_b64 s[4:5], vcc
	s_cbranch_execz .LBB615_211
; %bb.210:
	v_add_co_u32_e32 v4, vcc, s27, v41
	v_addc_co_u32_e64 v5, s[6:7], 0, 0, vcc
	v_mov_b32_e32 v2, s18
	v_mad_u64_u32 v[4:5], s[6:7], s8, v2, v[4:5]
	v_mov_b32_e32 v3, 0
	s_mul_i32 s6, s9, s18
	v_mov_b32_e32 v2, s26
	v_add_u32_e32 v5, s6, v5
	v_mad_u64_u32 v[2:3], s[6:7], v4, s48, v[2:3]
	v_mov_b32_e32 v4, v3
	v_mad_u64_u32 v[4:5], s[6:7], v5, s48, v[4:5]
	v_mov_b32_e32 v3, v4
	v_lshlrev_b64 v[2:3], 2, v[2:3]
	v_mov_b32_e32 v5, s47
	v_add_co_u32_e32 v4, vcc, s46, v2
	v_addc_co_u32_e32 v5, vcc, v5, v3, vcc
	global_store_dword v[4:5], v19, off
	v_mov_b32_e32 v4, s45
	v_add_co_u32_e32 v2, vcc, s44, v2
	v_addc_co_u32_e32 v3, vcc, v4, v3, vcc
	global_store_dword v[2:3], v6, off
.LBB615_211:
	s_or_b64 exec, exec, s[4:5]
	v_lshl_or_b32 v30, v1, 9, v18
	s_waitcnt lgkmcnt(0)
	s_barrier
	s_load_dword s4, s[42:43], 0x0
	ds_read_b128 v[2:5], v30
	ds_read_b128 v[6:9], v30 offset:16
	ds_read_b128 v[10:13], v30 offset:2048
	;; [unrolled: 1-line block ×7, first 2 shown]
	v_mov_b32_e32 v35, 0x80
	v_mov_b32_e32 v53, 0x140
	s_mov_b64 s[10:11], -1
	s_waitcnt lgkmcnt(0)
	s_mov_b32 s5, s4
	s_mov_b32 s6, s4
	;; [unrolled: 1-line block ×3, first 2 shown]
	s_movk_i32 s9, 0x80
	s_movk_i32 s19, 0x7f
	s_mov_b32 s20, 0xffffff
	v_mov_b32_e32 v54, 0
	v_bfrev_b32_e32 v55, 60
	s_branch .LBB615_215
.LBB615_212:                            ;   in Loop: Header=BB615_215 Depth=1
	s_or_b64 exec, exec, s[16:17]
.LBB615_213:                            ;   in Loop: Header=BB615_215 Depth=1
	s_or_b64 exec, exec, s[14:15]
.LBB615_214:                            ;   in Loop: Header=BB615_215 Depth=1
	s_or_b64 exec, exec, s[12:13]
	v_cvt_pkrtz_f16_f32 v60, v46, v50
	v_cvt_pkrtz_f16_f32 v61, v44, v56
	s_xor_b64 s[12:13], s[10:11], -1
	s_mov_b64 s[10:11], 0
	v_mov_b32_e32 v46, v47
	v_mfma_f32_16x16x16f16 v[60:63], v[60:61], v[30:31], v[34:37]
	v_mov_b32_e32 v50, v49
	s_and_b64 vcc, exec, s[12:13]
	s_nop 4
	v_cvt_pkrtz_f16_f32 v36, v51, v57
	v_cvt_pkrtz_f16_f32 v37, v42, v58
	v_mov_b32_e32 v35, v45
	v_mov_b32_e32 v51, v48
	v_mfma_f32_16x16x16f16 v[56:59], v[36:37], v[32:33], v[60:63]
	s_nop 7
	s_nop 2
	v_pk_mul_f32 v[56:57], v[56:57], s[4:5]
	v_pk_mul_f32 v[36:37], v[58:59], s[6:7]
	v_cvt_f16_f32_e32 v34, v56
	v_cvt_f16_f32_e32 v38, v57
	;; [unrolled: 1-line block ×4, first 2 shown]
	v_pack_b32_f16 v34, v34, v38
	v_pack_b32_f16 v36, v36, v37
	buffer_store_dword v34, v53, s[0:3], 0 offen
	buffer_store_dword v36, v53, s[0:3], 0 offen offset:4
	v_mov_b32_e32 v53, 0x148
	s_cbranch_vccnz .LBB615_597
.LBB615_215:                            ; =>This Inner Loop Header: Depth=1
	buffer_load_dword v36, v35, s[0:3], 0 offen
	buffer_load_dword v34, v35, s[0:3], 0 offen offset:4
	buffer_load_dword v40, v35, s[0:3], 0 offen offset:8
	;; [unrolled: 1-line block ×3, first 2 shown]
	v_mov_b32_e32 v35, 0
	s_waitcnt vmcnt(3)
	v_cmp_ne_u16_sdwa s[14:15], v36, v54 src0_sel:BYTE_0 src1_sel:DWORD
	s_and_saveexec_b64 s[12:13], s[14:15]
	s_cbranch_execz .LBB615_221
; %bb.216:                              ;   in Loop: Header=BB615_215 Depth=1
	v_cmp_ne_u16_sdwa s[16:17], v36, s9 src0_sel:BYTE_0 src1_sel:DWORD
	v_bfrev_b32_e32 v35, 1
	s_and_saveexec_b64 s[14:15], s[16:17]
	s_cbranch_execz .LBB615_220
; %bb.217:                              ;   in Loop: Header=BB615_215 Depth=1
	v_and_b32_e32 v37, 0x7f, v36
	v_cmp_ne_u32_e32 vcc, s19, v37
	v_mov_b32_e32 v35, 0x7f800001
	s_and_saveexec_b64 s[16:17], vcc
	s_cbranch_execz .LBB615_219
; %bb.218:                              ;   in Loop: Header=BB615_215 Depth=1
	v_and_b32_e32 v35, 7, v36
	v_ffbh_u32_e32 v44, v35
	v_min_u32_e32 v44, 32, v44
	v_subrev_u32_e32 v56, 28, v44
	v_lshlrev_b64 v[56:57], v56, v[36:37]
	v_lshrrev_b32_e32 v42, 3, v37
	v_sub_u32_e32 v44, 29, v44
	v_and_b32_e32 v56, 7, v56
	v_cmp_gt_u32_e32 vcc, 8, v37
	v_cndmask_b32_e32 v37, v42, v44, vcc
	v_cndmask_b32_e32 v35, v35, v56, vcc
	v_lshlrev_b32_e32 v42, 24, v36
	v_lshlrev_b32_e32 v35, 20, v35
	v_and_b32_e32 v42, 0x80000000, v42
	v_lshl_add_u32 v37, v37, 23, v55
	v_or3_b32 v35, v42, v37, v35
.LBB615_219:                            ;   in Loop: Header=BB615_215 Depth=1
	s_or_b64 exec, exec, s[16:17]
.LBB615_220:                            ;   in Loop: Header=BB615_215 Depth=1
	s_or_b64 exec, exec, s[14:15]
.LBB615_221:                            ;   in Loop: Header=BB615_215 Depth=1
	s_or_b64 exec, exec, s[12:13]
	v_lshrrev_b16_e32 v42, 8, v36
	v_cmp_ne_u16_e32 vcc, 0, v42
	v_mov_b32_e32 v37, 0
	s_and_saveexec_b64 s[12:13], vcc
	s_cbranch_execz .LBB615_227
; %bb.222:                              ;   in Loop: Header=BB615_215 Depth=1
	v_cmp_ne_u16_e32 vcc, s9, v42
	v_bfrev_b32_e32 v37, 1
	s_and_saveexec_b64 s[14:15], vcc
	s_cbranch_execz .LBB615_226
; %bb.223:                              ;   in Loop: Header=BB615_215 Depth=1
	v_and_b32_e32 v44, 0x7f, v42
	v_cmp_ne_u32_e32 vcc, s19, v44
	v_mov_b32_e32 v37, 0x7f800001
	s_and_saveexec_b64 s[16:17], vcc
	s_cbranch_execz .LBB615_225
; %bb.224:                              ;   in Loop: Header=BB615_215 Depth=1
	v_and_b32_e32 v37, 7, v42
	v_ffbh_u32_e32 v56, v37
	v_min_u32_e32 v59, 32, v56
	v_subrev_u32_e32 v56, 28, v59
	v_lshlrev_b64 v[56:57], v56, v[42:43]
	v_lshrrev_b32_e32 v58, 3, v44
	v_sub_u32_e32 v42, 29, v59
	v_and_b32_e32 v56, 7, v56
	v_cmp_gt_u32_e32 vcc, 8, v44
	v_cndmask_b32_e32 v42, v58, v42, vcc
	v_cndmask_b32_e32 v37, v37, v56, vcc
	v_lshlrev_b32_e32 v44, 16, v36
	v_lshlrev_b32_e32 v37, 20, v37
	v_and_b32_e32 v44, 0x80000000, v44
	v_lshl_add_u32 v42, v42, 23, v55
	v_or3_b32 v37, v44, v42, v37
.LBB615_225:                            ;   in Loop: Header=BB615_215 Depth=1
	s_or_b64 exec, exec, s[16:17]
.LBB615_226:                            ;   in Loop: Header=BB615_215 Depth=1
	s_or_b64 exec, exec, s[14:15]
.LBB615_227:                            ;   in Loop: Header=BB615_215 Depth=1
	s_or_b64 exec, exec, s[12:13]
	v_lshrrev_b32_e32 v42, 16, v36
	v_cmp_ne_u16_sdwa s[14:15], v42, v54 src0_sel:BYTE_0 src1_sel:DWORD
	v_mov_b32_e32 v56, 0
	v_mov_b32_e32 v44, 0
	s_and_saveexec_b64 s[12:13], s[14:15]
	s_cbranch_execz .LBB615_233
; %bb.228:                              ;   in Loop: Header=BB615_215 Depth=1
	v_cmp_ne_u16_sdwa s[16:17], v42, s9 src0_sel:BYTE_0 src1_sel:DWORD
	v_bfrev_b32_e32 v44, 1
	s_and_saveexec_b64 s[14:15], s[16:17]
	s_cbranch_execz .LBB615_232
; %bb.229:                              ;   in Loop: Header=BB615_215 Depth=1
	v_bfe_u32 v57, v36, 16, 7
	v_cmp_ne_u32_e32 vcc, s19, v57
	v_mov_b32_e32 v44, 0x7f800001
	s_and_saveexec_b64 s[16:17], vcc
	s_cbranch_execz .LBB615_231
; %bb.230:                              ;   in Loop: Header=BB615_215 Depth=1
	v_and_b32_e32 v44, 7, v42
	v_ffbh_u32_e32 v58, v44
	v_min_u32_e32 v61, 32, v58
	v_subrev_u32_e32 v58, 28, v61
	v_lshlrev_b64 v[58:59], v58, v[42:43]
	v_lshrrev_b32_e32 v60, 3, v57
	v_sub_u32_e32 v59, 29, v61
	v_and_b32_e32 v58, 7, v58
	v_cmp_gt_u32_e32 vcc, 8, v57
	v_cndmask_b32_e32 v57, v60, v59, vcc
	v_cndmask_b32_e32 v44, v44, v58, vcc
	v_lshlrev_b32_e32 v42, 24, v42
	v_lshlrev_b32_e32 v44, 20, v44
	v_and_b32_e32 v42, 0x80000000, v42
	v_lshl_add_u32 v57, v57, 23, v55
	v_or3_b32 v44, v42, v57, v44
.LBB615_231:                            ;   in Loop: Header=BB615_215 Depth=1
	s_or_b64 exec, exec, s[16:17]
.LBB615_232:                            ;   in Loop: Header=BB615_215 Depth=1
	s_or_b64 exec, exec, s[14:15]
.LBB615_233:                            ;   in Loop: Header=BB615_215 Depth=1
	s_or_b64 exec, exec, s[12:13]
	v_cmp_lt_u32_e32 vcc, s20, v36
	s_and_saveexec_b64 s[12:13], vcc
	s_cbranch_execz .LBB615_239
; %bb.234:                              ;   in Loop: Header=BB615_215 Depth=1
	v_lshrrev_b32_e32 v42, 24, v36
	v_cmp_ne_u32_e32 vcc, s9, v42
	v_bfrev_b32_e32 v56, 1
	s_and_saveexec_b64 s[14:15], vcc
	s_cbranch_execz .LBB615_238
; %bb.235:                              ;   in Loop: Header=BB615_215 Depth=1
	v_bfe_u32 v36, v36, 24, 7
	v_cmp_ne_u32_e32 vcc, s19, v36
	v_mov_b32_e32 v56, 0x7f800001
	s_and_saveexec_b64 s[16:17], vcc
	s_cbranch_execz .LBB615_237
; %bb.236:                              ;   in Loop: Header=BB615_215 Depth=1
	v_and_b32_e32 v58, 7, v42
	v_ffbh_u32_e32 v56, v58
	v_min_u32_e32 v60, 32, v56
	v_subrev_u32_e32 v56, 28, v60
	v_lshlrev_b64 v[56:57], v56, v[42:43]
	v_lshrrev_b32_e32 v59, 3, v36
	v_sub_u32_e32 v57, 29, v60
	v_and_b32_e32 v56, 7, v56
	v_cmp_gt_u32_e32 vcc, 8, v36
	v_cndmask_b32_e32 v36, v59, v57, vcc
	v_cndmask_b32_e32 v56, v58, v56, vcc
	v_lshlrev_b32_e32 v42, 24, v42
	v_lshlrev_b32_e32 v56, 20, v56
	v_and_b32_e32 v42, 0x80000000, v42
	v_lshl_add_u32 v36, v36, 23, v55
	v_or3_b32 v56, v42, v36, v56
.LBB615_237:                            ;   in Loop: Header=BB615_215 Depth=1
	s_or_b64 exec, exec, s[16:17]
.LBB615_238:                            ;   in Loop: Header=BB615_215 Depth=1
	s_or_b64 exec, exec, s[14:15]
.LBB615_239:                            ;   in Loop: Header=BB615_215 Depth=1
	s_or_b64 exec, exec, s[12:13]
	s_waitcnt vmcnt(2)
	v_cmp_ne_u16_sdwa s[14:15], v34, v54 src0_sel:BYTE_0 src1_sel:DWORD
	v_mov_b32_e32 v42, 0
	v_mov_b32_e32 v57, 0
	s_and_saveexec_b64 s[12:13], s[14:15]
	s_cbranch_execz .LBB615_245
; %bb.240:                              ;   in Loop: Header=BB615_215 Depth=1
	v_cmp_ne_u16_sdwa s[16:17], v34, s9 src0_sel:BYTE_0 src1_sel:DWORD
	v_bfrev_b32_e32 v57, 1
	s_and_saveexec_b64 s[14:15], s[16:17]
	s_cbranch_execz .LBB615_244
; %bb.241:                              ;   in Loop: Header=BB615_215 Depth=1
	v_and_b32_e32 v36, 0x7f, v34
	v_cmp_ne_u32_e32 vcc, s19, v36
	v_mov_b32_e32 v57, 0x7f800001
	s_and_saveexec_b64 s[16:17], vcc
	s_cbranch_execz .LBB615_243
; %bb.242:                              ;   in Loop: Header=BB615_215 Depth=1
	v_and_b32_e32 v57, 7, v34
	v_ffbh_u32_e32 v58, v57
	v_min_u32_e32 v61, 32, v58
	v_subrev_u32_e32 v58, 28, v61
	v_lshlrev_b64 v[58:59], v58, v[34:35]
	v_lshrrev_b32_e32 v60, 3, v36
	v_sub_u32_e32 v59, 29, v61
	v_and_b32_e32 v58, 7, v58
	v_cmp_gt_u32_e32 vcc, 8, v36
	v_cndmask_b32_e32 v36, v60, v59, vcc
	v_cndmask_b32_e32 v57, v57, v58, vcc
	v_lshlrev_b32_e32 v58, 24, v34
	v_lshlrev_b32_e32 v57, 20, v57
	v_and_b32_e32 v58, 0x80000000, v58
	v_lshl_add_u32 v36, v36, 23, v55
	v_or3_b32 v57, v58, v36, v57
.LBB615_243:                            ;   in Loop: Header=BB615_215 Depth=1
	s_or_b64 exec, exec, s[16:17]
.LBB615_244:                            ;   in Loop: Header=BB615_215 Depth=1
	s_or_b64 exec, exec, s[14:15]
.LBB615_245:                            ;   in Loop: Header=BB615_215 Depth=1
	s_or_b64 exec, exec, s[12:13]
	v_lshrrev_b16_e32 v36, 8, v34
	v_cmp_ne_u16_e32 vcc, 0, v36
	s_and_saveexec_b64 s[12:13], vcc
	s_cbranch_execz .LBB615_251
; %bb.246:                              ;   in Loop: Header=BB615_215 Depth=1
	v_cmp_ne_u16_e32 vcc, s9, v36
	v_bfrev_b32_e32 v42, 1
	s_and_saveexec_b64 s[14:15], vcc
	s_cbranch_execz .LBB615_250
; %bb.247:                              ;   in Loop: Header=BB615_215 Depth=1
	v_and_b32_e32 v58, 0x7f, v36
	v_cmp_ne_u32_e32 vcc, s19, v58
	v_mov_b32_e32 v42, 0x7f800001
	s_and_saveexec_b64 s[16:17], vcc
	s_cbranch_execz .LBB615_249
; %bb.248:                              ;   in Loop: Header=BB615_215 Depth=1
	v_and_b32_e32 v42, 7, v36
	v_ffbh_u32_e32 v60, v42
	v_min_u32_e32 v62, 32, v60
	v_subrev_u32_e32 v60, 28, v62
	v_lshlrev_b64 v[60:61], v60, v[36:37]
	v_lshrrev_b32_e32 v59, 3, v58
	v_sub_u32_e32 v36, 29, v62
	v_and_b32_e32 v60, 7, v60
	v_cmp_gt_u32_e32 vcc, 8, v58
	v_cndmask_b32_e32 v36, v59, v36, vcc
	v_cndmask_b32_e32 v42, v42, v60, vcc
	v_lshlrev_b32_e32 v58, 16, v34
	v_lshlrev_b32_e32 v42, 20, v42
	v_and_b32_e32 v58, 0x80000000, v58
	v_lshl_add_u32 v36, v36, 23, v55
	v_or3_b32 v42, v58, v36, v42
.LBB615_249:                            ;   in Loop: Header=BB615_215 Depth=1
	s_or_b64 exec, exec, s[16:17]
.LBB615_250:                            ;   in Loop: Header=BB615_215 Depth=1
	s_or_b64 exec, exec, s[14:15]
.LBB615_251:                            ;   in Loop: Header=BB615_215 Depth=1
	s_or_b64 exec, exec, s[12:13]
	v_lshrrev_b32_e32 v36, 16, v34
	v_cmp_ne_u16_sdwa s[14:15], v36, v54 src0_sel:BYTE_0 src1_sel:DWORD
	v_mov_b32_e32 v59, 0
	v_mov_b32_e32 v58, 0
	s_and_saveexec_b64 s[12:13], s[14:15]
	s_cbranch_execz .LBB615_257
; %bb.252:                              ;   in Loop: Header=BB615_215 Depth=1
	v_cmp_ne_u16_sdwa s[16:17], v36, s9 src0_sel:BYTE_0 src1_sel:DWORD
	v_bfrev_b32_e32 v58, 1
	s_and_saveexec_b64 s[14:15], s[16:17]
	s_cbranch_execz .LBB615_256
; %bb.253:                              ;   in Loop: Header=BB615_215 Depth=1
	v_bfe_u32 v60, v34, 16, 7
	v_cmp_ne_u32_e32 vcc, s19, v60
	v_mov_b32_e32 v58, 0x7f800001
	s_and_saveexec_b64 s[16:17], vcc
	s_cbranch_execz .LBB615_255
; %bb.254:                              ;   in Loop: Header=BB615_215 Depth=1
	v_and_b32_e32 v58, 7, v36
	v_ffbh_u32_e32 v62, v58
	v_min_u32_e32 v64, 32, v62
	v_subrev_u32_e32 v62, 28, v64
	v_lshlrev_b64 v[62:63], v62, v[36:37]
	v_lshrrev_b32_e32 v61, 3, v60
	v_sub_u32_e32 v63, 29, v64
	v_and_b32_e32 v62, 7, v62
	v_cmp_gt_u32_e32 vcc, 8, v60
	v_cndmask_b32_e32 v60, v61, v63, vcc
	v_cndmask_b32_e32 v58, v58, v62, vcc
	v_lshlrev_b32_e32 v36, 24, v36
	v_lshlrev_b32_e32 v58, 20, v58
	v_and_b32_e32 v36, 0x80000000, v36
	v_lshl_add_u32 v60, v60, 23, v55
	v_or3_b32 v58, v36, v60, v58
.LBB615_255:                            ;   in Loop: Header=BB615_215 Depth=1
	s_or_b64 exec, exec, s[16:17]
.LBB615_256:                            ;   in Loop: Header=BB615_215 Depth=1
	s_or_b64 exec, exec, s[14:15]
.LBB615_257:                            ;   in Loop: Header=BB615_215 Depth=1
	s_or_b64 exec, exec, s[12:13]
	v_cmp_lt_u32_e32 vcc, s20, v34
	s_and_saveexec_b64 s[12:13], vcc
	s_cbranch_execz .LBB615_263
; %bb.258:                              ;   in Loop: Header=BB615_215 Depth=1
	v_lshrrev_b32_e32 v36, 24, v34
	v_cmp_ne_u32_e32 vcc, s9, v36
	v_bfrev_b32_e32 v59, 1
	s_and_saveexec_b64 s[14:15], vcc
	s_cbranch_execz .LBB615_262
; %bb.259:                              ;   in Loop: Header=BB615_215 Depth=1
	v_bfe_u32 v34, v34, 24, 7
	v_cmp_ne_u32_e32 vcc, s19, v34
	v_mov_b32_e32 v59, 0x7f800001
	s_and_saveexec_b64 s[16:17], vcc
	s_cbranch_execz .LBB615_261
; %bb.260:                              ;   in Loop: Header=BB615_215 Depth=1
	v_and_b32_e32 v59, 7, v36
	v_ffbh_u32_e32 v60, v59
	v_min_u32_e32 v63, 32, v60
	v_subrev_u32_e32 v60, 28, v63
	v_lshlrev_b64 v[60:61], v60, v[36:37]
	v_lshrrev_b32_e32 v62, 3, v34
	v_sub_u32_e32 v61, 29, v63
	v_and_b32_e32 v60, 7, v60
	v_cmp_gt_u32_e32 vcc, 8, v34
	v_cndmask_b32_e32 v34, v62, v61, vcc
	v_cndmask_b32_e32 v59, v59, v60, vcc
	v_lshlrev_b32_e32 v36, 24, v36
	v_lshlrev_b32_e32 v59, 20, v59
	v_and_b32_e32 v36, 0x80000000, v36
	v_lshl_add_u32 v34, v34, 23, v55
	v_or3_b32 v59, v36, v34, v59
.LBB615_261:                            ;   in Loop: Header=BB615_215 Depth=1
	s_or_b64 exec, exec, s[16:17]
.LBB615_262:                            ;   in Loop: Header=BB615_215 Depth=1
	s_or_b64 exec, exec, s[14:15]
.LBB615_263:                            ;   in Loop: Header=BB615_215 Depth=1
	s_or_b64 exec, exec, s[12:13]
	v_cvt_pkrtz_f16_f32 v34, v35, v37
	v_cvt_pkrtz_f16_f32 v35, v44, v56
	;; [unrolled: 1-line block ×4, first 2 shown]
	v_mov_b32_e32 v44, 0
	v_mfma_f32_16x16x16f16 v[34:37], v[34:35], v[2:3], 0
	s_waitcnt vmcnt(1)
	v_cmp_ne_u16_sdwa s[14:15], v40, v54 src0_sel:BYTE_0 src1_sel:DWORD
	v_mov_b32_e32 v57, 0
	v_mfma_f32_16x16x16f16 v[34:37], v[60:61], v[4:5], v[34:37]
	s_and_saveexec_b64 s[12:13], s[14:15]
	s_cbranch_execz .LBB615_269
; %bb.264:                              ;   in Loop: Header=BB615_215 Depth=1
	v_cmp_ne_u16_sdwa s[16:17], v40, s9 src0_sel:BYTE_0 src1_sel:DWORD
	v_bfrev_b32_e32 v57, 1
	s_and_saveexec_b64 s[14:15], s[16:17]
	s_cbranch_execz .LBB615_268
; %bb.265:                              ;   in Loop: Header=BB615_215 Depth=1
	v_and_b32_e32 v42, 0x7f, v40
	v_cmp_ne_u32_e32 vcc, s19, v42
	v_mov_b32_e32 v57, 0x7f800001
	s_and_saveexec_b64 s[16:17], vcc
	s_cbranch_execz .LBB615_267
; %bb.266:                              ;   in Loop: Header=BB615_215 Depth=1
	v_and_b32_e32 v58, 7, v40
	v_ffbh_u32_e32 v56, v58
	v_min_u32_e32 v60, 32, v56
	v_subrev_u32_e32 v56, 28, v60
	v_lshlrev_b64 v[56:57], v56, v[40:41]
	v_lshrrev_b32_e32 v59, 3, v42
	v_sub_u32_e32 v57, 29, v60
	v_and_b32_e32 v56, 7, v56
	v_cmp_gt_u32_e32 vcc, 8, v42
	v_cndmask_b32_e32 v42, v59, v57, vcc
	v_cndmask_b32_e32 v56, v58, v56, vcc
	v_lshlrev_b32_e32 v57, 24, v40
	v_lshlrev_b32_e32 v56, 20, v56
	v_and_b32_e32 v57, 0x80000000, v57
	v_lshl_add_u32 v42, v42, 23, v55
	v_or3_b32 v57, v57, v42, v56
.LBB615_267:                            ;   in Loop: Header=BB615_215 Depth=1
	s_or_b64 exec, exec, s[16:17]
.LBB615_268:                            ;   in Loop: Header=BB615_215 Depth=1
	s_or_b64 exec, exec, s[14:15]
.LBB615_269:                            ;   in Loop: Header=BB615_215 Depth=1
	s_or_b64 exec, exec, s[12:13]
	v_lshrrev_b16_e32 v42, 8, v40
	v_cmp_ne_u16_e32 vcc, 0, v42
	v_mov_b32_e32 v58, 0
	s_and_saveexec_b64 s[12:13], vcc
	s_cbranch_execz .LBB615_275
; %bb.270:                              ;   in Loop: Header=BB615_215 Depth=1
	v_cmp_ne_u16_e32 vcc, s9, v42
	v_bfrev_b32_e32 v58, 1
	s_and_saveexec_b64 s[14:15], vcc
	s_cbranch_execz .LBB615_274
; %bb.271:                              ;   in Loop: Header=BB615_215 Depth=1
	v_and_b32_e32 v56, 0x7f, v42
	v_cmp_ne_u32_e32 vcc, s19, v56
	v_mov_b32_e32 v58, 0x7f800001
	s_and_saveexec_b64 s[16:17], vcc
	s_cbranch_execz .LBB615_273
; %bb.272:                              ;   in Loop: Header=BB615_215 Depth=1
	v_and_b32_e32 v60, 7, v42
	v_ffbh_u32_e32 v58, v60
	v_min_u32_e32 v62, 32, v58
	v_subrev_u32_e32 v58, 28, v62
	v_lshlrev_b64 v[58:59], v58, v[42:43]
	v_lshrrev_b32_e32 v61, 3, v56
	v_sub_u32_e32 v42, 29, v62
	v_and_b32_e32 v58, 7, v58
	v_cmp_gt_u32_e32 vcc, 8, v56
	v_cndmask_b32_e32 v42, v61, v42, vcc
	v_cndmask_b32_e32 v56, v60, v58, vcc
	v_lshlrev_b32_e32 v58, 16, v40
	v_lshlrev_b32_e32 v56, 20, v56
	v_and_b32_e32 v58, 0x80000000, v58
	v_lshl_add_u32 v42, v42, 23, v55
	v_or3_b32 v58, v58, v42, v56
.LBB615_273:                            ;   in Loop: Header=BB615_215 Depth=1
	s_or_b64 exec, exec, s[16:17]
.LBB615_274:                            ;   in Loop: Header=BB615_215 Depth=1
	s_or_b64 exec, exec, s[14:15]
.LBB615_275:                            ;   in Loop: Header=BB615_215 Depth=1
	s_or_b64 exec, exec, s[12:13]
	v_lshrrev_b32_e32 v42, 16, v40
	v_cmp_ne_u16_sdwa s[14:15], v42, v54 src0_sel:BYTE_0 src1_sel:DWORD
	s_and_saveexec_b64 s[12:13], s[14:15]
	s_cbranch_execz .LBB615_281
; %bb.276:                              ;   in Loop: Header=BB615_215 Depth=1
	v_cmp_ne_u16_sdwa s[16:17], v42, s9 src0_sel:BYTE_0 src1_sel:DWORD
	v_bfrev_b32_e32 v44, 1
	s_and_saveexec_b64 s[14:15], s[16:17]
	s_cbranch_execz .LBB615_280
; %bb.277:                              ;   in Loop: Header=BB615_215 Depth=1
	v_bfe_u32 v56, v40, 16, 7
	v_cmp_ne_u32_e32 vcc, s19, v56
	v_mov_b32_e32 v44, 0x7f800001
	s_and_saveexec_b64 s[16:17], vcc
	s_cbranch_execz .LBB615_279
; %bb.278:                              ;   in Loop: Header=BB615_215 Depth=1
	v_and_b32_e32 v44, 7, v42
	v_ffbh_u32_e32 v60, v44
	v_min_u32_e32 v62, 32, v60
	v_subrev_u32_e32 v60, 28, v62
	v_lshlrev_b64 v[60:61], v60, v[42:43]
	v_lshrrev_b32_e32 v59, 3, v56
	v_sub_u32_e32 v61, 29, v62
	v_and_b32_e32 v60, 7, v60
	v_cmp_gt_u32_e32 vcc, 8, v56
	v_cndmask_b32_e32 v56, v59, v61, vcc
	v_cndmask_b32_e32 v44, v44, v60, vcc
	v_lshlrev_b32_e32 v42, 24, v42
	v_lshlrev_b32_e32 v44, 20, v44
	v_and_b32_e32 v42, 0x80000000, v42
	v_lshl_add_u32 v56, v56, 23, v55
	v_or3_b32 v44, v42, v56, v44
.LBB615_279:                            ;   in Loop: Header=BB615_215 Depth=1
	s_or_b64 exec, exec, s[16:17]
.LBB615_280:                            ;   in Loop: Header=BB615_215 Depth=1
	s_or_b64 exec, exec, s[14:15]
.LBB615_281:                            ;   in Loop: Header=BB615_215 Depth=1
	s_or_b64 exec, exec, s[12:13]
	v_cmp_lt_u32_e32 vcc, s20, v40
	v_mov_b32_e32 v59, 0
	v_mov_b32_e32 v60, 0
	s_and_saveexec_b64 s[12:13], vcc
	s_cbranch_execz .LBB615_287
; %bb.282:                              ;   in Loop: Header=BB615_215 Depth=1
	v_lshrrev_b32_e32 v42, 24, v40
	v_cmp_ne_u32_e32 vcc, s9, v42
	v_bfrev_b32_e32 v60, 1
	s_and_saveexec_b64 s[14:15], vcc
	s_cbranch_execz .LBB615_286
; %bb.283:                              ;   in Loop: Header=BB615_215 Depth=1
	v_bfe_u32 v40, v40, 24, 7
	v_cmp_ne_u32_e32 vcc, s19, v40
	v_mov_b32_e32 v60, 0x7f800001
	s_and_saveexec_b64 s[16:17], vcc
	s_cbranch_execz .LBB615_285
; %bb.284:                              ;   in Loop: Header=BB615_215 Depth=1
	v_and_b32_e32 v56, 7, v42
	v_ffbh_u32_e32 v60, v56
	v_min_u32_e32 v63, 32, v60
	v_subrev_u32_e32 v60, 28, v63
	v_lshlrev_b64 v[60:61], v60, v[42:43]
	v_lshrrev_b32_e32 v62, 3, v40
	v_sub_u32_e32 v61, 29, v63
	v_and_b32_e32 v60, 7, v60
	v_cmp_gt_u32_e32 vcc, 8, v40
	v_cndmask_b32_e32 v40, v62, v61, vcc
	v_cndmask_b32_e32 v56, v56, v60, vcc
	v_lshlrev_b32_e32 v42, 24, v42
	v_lshlrev_b32_e32 v56, 20, v56
	v_and_b32_e32 v42, 0x80000000, v42
	v_lshl_add_u32 v40, v40, 23, v55
	v_or3_b32 v60, v42, v40, v56
.LBB615_285:                            ;   in Loop: Header=BB615_215 Depth=1
	s_or_b64 exec, exec, s[16:17]
.LBB615_286:                            ;   in Loop: Header=BB615_215 Depth=1
	s_or_b64 exec, exec, s[14:15]
.LBB615_287:                            ;   in Loop: Header=BB615_215 Depth=1
	s_or_b64 exec, exec, s[12:13]
	s_waitcnt vmcnt(0)
	v_cmp_ne_u16_sdwa s[14:15], v38, v54 src0_sel:BYTE_0 src1_sel:DWORD
	s_and_saveexec_b64 s[12:13], s[14:15]
	s_cbranch_execz .LBB615_293
; %bb.288:                              ;   in Loop: Header=BB615_215 Depth=1
	v_cmp_ne_u16_sdwa s[16:17], v38, s9 src0_sel:BYTE_0 src1_sel:DWORD
	v_bfrev_b32_e32 v59, 1
	s_and_saveexec_b64 s[14:15], s[16:17]
	s_cbranch_execz .LBB615_292
; %bb.289:                              ;   in Loop: Header=BB615_215 Depth=1
	v_and_b32_e32 v40, 0x7f, v38
	v_cmp_ne_u32_e32 vcc, s19, v40
	v_mov_b32_e32 v59, 0x7f800001
	s_and_saveexec_b64 s[16:17], vcc
	s_cbranch_execz .LBB615_291
; %bb.290:                              ;   in Loop: Header=BB615_215 Depth=1
	v_and_b32_e32 v42, 7, v38
	v_ffbh_u32_e32 v59, v42
	v_min_u32_e32 v59, 32, v59
	v_subrev_u32_e32 v61, 28, v59
	v_lshlrev_b64 v[62:63], v61, v[38:39]
	v_lshrrev_b32_e32 v56, 3, v40
	v_sub_u32_e32 v59, 29, v59
	v_and_b32_e32 v61, 7, v62
	v_cmp_gt_u32_e32 vcc, 8, v40
	v_cndmask_b32_e32 v40, v56, v59, vcc
	v_cndmask_b32_e32 v42, v42, v61, vcc
	v_lshlrev_b32_e32 v56, 24, v38
	v_lshlrev_b32_e32 v42, 20, v42
	v_and_b32_e32 v56, 0x80000000, v56
	v_lshl_add_u32 v40, v40, 23, v55
	v_or3_b32 v59, v56, v40, v42
.LBB615_291:                            ;   in Loop: Header=BB615_215 Depth=1
	s_or_b64 exec, exec, s[16:17]
.LBB615_292:                            ;   in Loop: Header=BB615_215 Depth=1
	s_or_b64 exec, exec, s[14:15]
.LBB615_293:                            ;   in Loop: Header=BB615_215 Depth=1
	s_or_b64 exec, exec, s[12:13]
	v_lshrrev_b16_e32 v40, 8, v38
	v_cmp_ne_u16_e32 vcc, 0, v40
	v_mov_b32_e32 v61, 0
	v_mov_b32_e32 v62, 0
	s_and_saveexec_b64 s[12:13], vcc
	s_cbranch_execz .LBB615_299
; %bb.294:                              ;   in Loop: Header=BB615_215 Depth=1
	v_cmp_ne_u16_e32 vcc, s9, v40
	v_bfrev_b32_e32 v62, 1
	s_and_saveexec_b64 s[14:15], vcc
	s_cbranch_execz .LBB615_298
; %bb.295:                              ;   in Loop: Header=BB615_215 Depth=1
	v_and_b32_e32 v42, 0x7f, v40
	v_cmp_ne_u32_e32 vcc, s19, v42
	v_mov_b32_e32 v62, 0x7f800001
	s_and_saveexec_b64 s[16:17], vcc
	s_cbranch_execz .LBB615_297
; %bb.296:                              ;   in Loop: Header=BB615_215 Depth=1
	v_and_b32_e32 v56, 7, v40
	v_ffbh_u32_e32 v62, v56
	v_min_u32_e32 v65, 32, v62
	v_subrev_u32_e32 v62, 28, v65
	v_lshlrev_b64 v[62:63], v62, v[40:41]
	v_lshrrev_b32_e32 v64, 3, v42
	v_sub_u32_e32 v40, 29, v65
	v_and_b32_e32 v62, 7, v62
	v_cmp_gt_u32_e32 vcc, 8, v42
	v_cndmask_b32_e32 v40, v64, v40, vcc
	v_cndmask_b32_e32 v42, v56, v62, vcc
	v_lshlrev_b32_e32 v56, 16, v38
	v_lshlrev_b32_e32 v42, 20, v42
	v_and_b32_e32 v56, 0x80000000, v56
	v_lshl_add_u32 v40, v40, 23, v55
	v_or3_b32 v62, v56, v40, v42
.LBB615_297:                            ;   in Loop: Header=BB615_215 Depth=1
	s_or_b64 exec, exec, s[16:17]
.LBB615_298:                            ;   in Loop: Header=BB615_215 Depth=1
	s_or_b64 exec, exec, s[14:15]
.LBB615_299:                            ;   in Loop: Header=BB615_215 Depth=1
	s_or_b64 exec, exec, s[12:13]
	v_lshrrev_b32_e32 v40, 16, v38
	v_cmp_ne_u16_sdwa s[14:15], v40, v54 src0_sel:BYTE_0 src1_sel:DWORD
	s_and_saveexec_b64 s[12:13], s[14:15]
	s_cbranch_execz .LBB615_305
; %bb.300:                              ;   in Loop: Header=BB615_215 Depth=1
	v_cmp_ne_u16_sdwa s[16:17], v40, s9 src0_sel:BYTE_0 src1_sel:DWORD
	v_bfrev_b32_e32 v61, 1
	s_and_saveexec_b64 s[14:15], s[16:17]
	s_cbranch_execz .LBB615_304
; %bb.301:                              ;   in Loop: Header=BB615_215 Depth=1
	v_bfe_u32 v42, v38, 16, 7
	v_cmp_ne_u32_e32 vcc, s19, v42
	v_mov_b32_e32 v61, 0x7f800001
	s_and_saveexec_b64 s[16:17], vcc
	s_cbranch_execz .LBB615_303
; %bb.302:                              ;   in Loop: Header=BB615_215 Depth=1
	v_and_b32_e32 v56, 7, v40
	v_ffbh_u32_e32 v63, v56
	v_min_u32_e32 v63, 32, v63
	v_subrev_u32_e32 v64, 28, v63
	v_lshlrev_b64 v[64:65], v64, v[40:41]
	v_lshrrev_b32_e32 v61, 3, v42
	v_sub_u32_e32 v63, 29, v63
	v_and_b32_e32 v64, 7, v64
	v_cmp_gt_u32_e32 vcc, 8, v42
	v_cndmask_b32_e32 v42, v61, v63, vcc
	v_cndmask_b32_e32 v56, v56, v64, vcc
	v_lshlrev_b32_e32 v40, 24, v40
	v_lshlrev_b32_e32 v56, 20, v56
	v_and_b32_e32 v40, 0x80000000, v40
	v_lshl_add_u32 v42, v42, 23, v55
	v_or3_b32 v61, v40, v42, v56
.LBB615_303:                            ;   in Loop: Header=BB615_215 Depth=1
	s_or_b64 exec, exec, s[16:17]
.LBB615_304:                            ;   in Loop: Header=BB615_215 Depth=1
	s_or_b64 exec, exec, s[14:15]
.LBB615_305:                            ;   in Loop: Header=BB615_215 Depth=1
	s_or_b64 exec, exec, s[12:13]
	v_cmp_lt_u32_e32 vcc, s20, v38
	v_mov_b32_e32 v56, 0
	v_mov_b32_e32 v63, 0
	s_and_saveexec_b64 s[12:13], vcc
	s_cbranch_execz .LBB615_311
; %bb.306:                              ;   in Loop: Header=BB615_215 Depth=1
	v_lshrrev_b32_e32 v40, 24, v38
	v_cmp_ne_u32_e32 vcc, s9, v40
	v_bfrev_b32_e32 v63, 1
	s_and_saveexec_b64 s[14:15], vcc
	s_cbranch_execz .LBB615_310
; %bb.307:                              ;   in Loop: Header=BB615_215 Depth=1
	v_bfe_u32 v38, v38, 24, 7
	v_cmp_ne_u32_e32 vcc, s19, v38
	v_mov_b32_e32 v63, 0x7f800001
	s_and_saveexec_b64 s[16:17], vcc
	s_cbranch_execz .LBB615_309
; %bb.308:                              ;   in Loop: Header=BB615_215 Depth=1
	v_and_b32_e32 v42, 7, v40
	v_ffbh_u32_e32 v64, v42
	v_min_u32_e32 v66, 32, v64
	v_subrev_u32_e32 v64, 28, v66
	v_lshlrev_b64 v[64:65], v64, v[40:41]
	v_lshrrev_b32_e32 v63, 3, v38
	v_sub_u32_e32 v65, 29, v66
	v_and_b32_e32 v64, 7, v64
	v_cmp_gt_u32_e32 vcc, 8, v38
	v_cndmask_b32_e32 v38, v63, v65, vcc
	v_cndmask_b32_e32 v42, v42, v64, vcc
	v_lshlrev_b32_e32 v40, 24, v40
	v_lshlrev_b32_e32 v42, 20, v42
	v_and_b32_e32 v40, 0x80000000, v40
	v_lshl_add_u32 v38, v38, 23, v55
	v_or3_b32 v63, v40, v38, v42
.LBB615_309:                            ;   in Loop: Header=BB615_215 Depth=1
	s_or_b64 exec, exec, s[16:17]
.LBB615_310:                            ;   in Loop: Header=BB615_215 Depth=1
	s_or_b64 exec, exec, s[14:15]
.LBB615_311:                            ;   in Loop: Header=BB615_215 Depth=1
	s_or_b64 exec, exec, s[12:13]
	v_cvt_pkrtz_f16_f32 v65, v44, v60
	buffer_load_dword v44, v46, s[0:3], 0 offen
	buffer_load_dword v42, v46, s[0:3], 0 offen offset:4
	buffer_load_dword v40, v46, s[0:3], 0 offen offset:8
	;; [unrolled: 1-line block ×3, first 2 shown]
	v_cvt_pkrtz_f16_f32 v64, v57, v58
	v_cvt_pkrtz_f16_f32 v58, v59, v62
	;; [unrolled: 1-line block ×3, first 2 shown]
	v_mfma_f32_16x16x16f16 v[34:37], v[64:65], v[6:7], v[34:37]
	s_waitcnt vmcnt(3)
	v_cmp_ne_u16_sdwa s[14:15], v44, v54 src0_sel:BYTE_0 src1_sel:DWORD
	v_mfma_f32_16x16x16f16 v[34:37], v[58:59], v[8:9], v[34:37]
	s_and_saveexec_b64 s[12:13], s[14:15]
	s_cbranch_execz .LBB615_317
; %bb.312:                              ;   in Loop: Header=BB615_215 Depth=1
	v_cmp_ne_u16_sdwa s[16:17], v44, s9 src0_sel:BYTE_0 src1_sel:DWORD
	v_bfrev_b32_e32 v56, 1
	s_and_saveexec_b64 s[14:15], s[16:17]
	s_cbranch_execz .LBB615_316
; %bb.313:                              ;   in Loop: Header=BB615_215 Depth=1
	v_and_b32_e32 v46, 0x7f, v44
	v_cmp_ne_u32_e32 vcc, s19, v46
	v_mov_b32_e32 v56, 0x7f800001
	s_and_saveexec_b64 s[16:17], vcc
	s_cbranch_execz .LBB615_315
; %bb.314:                              ;   in Loop: Header=BB615_215 Depth=1
	v_and_b32_e32 v58, 7, v44
	v_ffbh_u32_e32 v56, v58
	v_min_u32_e32 v60, 32, v56
	v_subrev_u32_e32 v56, 28, v60
	v_lshlrev_b64 v[56:57], v56, v[44:45]
	v_lshrrev_b32_e32 v59, 3, v46
	v_sub_u32_e32 v57, 29, v60
	v_and_b32_e32 v56, 7, v56
	v_cmp_gt_u32_e32 vcc, 8, v46
	v_cndmask_b32_e32 v46, v59, v57, vcc
	v_cndmask_b32_e32 v56, v58, v56, vcc
	v_lshlrev_b32_e32 v57, 24, v44
	v_lshlrev_b32_e32 v56, 20, v56
	v_and_b32_e32 v57, 0x80000000, v57
	v_lshl_add_u32 v46, v46, 23, v55
	v_or3_b32 v56, v57, v46, v56
.LBB615_315:                            ;   in Loop: Header=BB615_215 Depth=1
	s_or_b64 exec, exec, s[16:17]
.LBB615_316:                            ;   in Loop: Header=BB615_215 Depth=1
	s_or_b64 exec, exec, s[14:15]
.LBB615_317:                            ;   in Loop: Header=BB615_215 Depth=1
	s_or_b64 exec, exec, s[12:13]
	v_lshrrev_b16_e32 v46, 8, v44
	v_cmp_ne_u16_e32 vcc, 0, v46
	v_mov_b32_e32 v57, 0
	v_mov_b32_e32 v58, 0
	s_and_saveexec_b64 s[12:13], vcc
	s_cbranch_execz .LBB615_323
; %bb.318:                              ;   in Loop: Header=BB615_215 Depth=1
	v_cmp_ne_u16_e32 vcc, s9, v46
	v_bfrev_b32_e32 v58, 1
	s_and_saveexec_b64 s[14:15], vcc
	s_cbranch_execz .LBB615_322
; %bb.319:                              ;   in Loop: Header=BB615_215 Depth=1
	v_and_b32_e32 v59, 0x7f, v46
	v_cmp_ne_u32_e32 vcc, s19, v59
	v_mov_b32_e32 v58, 0x7f800001
	s_and_saveexec_b64 s[16:17], vcc
	s_cbranch_execz .LBB615_321
; %bb.320:                              ;   in Loop: Header=BB615_215 Depth=1
	v_and_b32_e32 v58, 7, v46
	v_ffbh_u32_e32 v60, v58
	v_min_u32_e32 v63, 32, v60
	v_subrev_u32_e32 v60, 28, v63
	v_lshlrev_b64 v[60:61], v60, v[46:47]
	v_lshrrev_b32_e32 v62, 3, v59
	v_sub_u32_e32 v46, 29, v63
	v_and_b32_e32 v60, 7, v60
	v_cmp_gt_u32_e32 vcc, 8, v59
	v_cndmask_b32_e32 v46, v62, v46, vcc
	v_cndmask_b32_e32 v58, v58, v60, vcc
	v_lshlrev_b32_e32 v59, 16, v44
	v_lshlrev_b32_e32 v58, 20, v58
	v_and_b32_e32 v59, 0x80000000, v59
	v_lshl_add_u32 v46, v46, 23, v55
	v_or3_b32 v58, v59, v46, v58
.LBB615_321:                            ;   in Loop: Header=BB615_215 Depth=1
	s_or_b64 exec, exec, s[16:17]
.LBB615_322:                            ;   in Loop: Header=BB615_215 Depth=1
	s_or_b64 exec, exec, s[14:15]
.LBB615_323:                            ;   in Loop: Header=BB615_215 Depth=1
	s_or_b64 exec, exec, s[12:13]
	v_lshrrev_b32_e32 v46, 16, v44
	v_cmp_ne_u16_sdwa s[14:15], v46, v54 src0_sel:BYTE_0 src1_sel:DWORD
	s_and_saveexec_b64 s[12:13], s[14:15]
	s_cbranch_execz .LBB615_329
; %bb.324:                              ;   in Loop: Header=BB615_215 Depth=1
	v_cmp_ne_u16_sdwa s[16:17], v46, s9 src0_sel:BYTE_0 src1_sel:DWORD
	v_bfrev_b32_e32 v57, 1
	s_and_saveexec_b64 s[14:15], s[16:17]
	s_cbranch_execz .LBB615_328
; %bb.325:                              ;   in Loop: Header=BB615_215 Depth=1
	v_bfe_u32 v59, v44, 16, 7
	v_cmp_ne_u32_e32 vcc, s19, v59
	v_mov_b32_e32 v57, 0x7f800001
	s_and_saveexec_b64 s[16:17], vcc
	s_cbranch_execz .LBB615_327
; %bb.326:                              ;   in Loop: Header=BB615_215 Depth=1
	v_and_b32_e32 v57, 7, v46
	v_ffbh_u32_e32 v60, v57
	v_min_u32_e32 v63, 32, v60
	v_subrev_u32_e32 v60, 28, v63
	v_lshlrev_b64 v[60:61], v60, v[46:47]
	v_lshrrev_b32_e32 v62, 3, v59
	v_sub_u32_e32 v61, 29, v63
	v_and_b32_e32 v60, 7, v60
	v_cmp_gt_u32_e32 vcc, 8, v59
	v_cndmask_b32_e32 v59, v62, v61, vcc
	v_cndmask_b32_e32 v57, v57, v60, vcc
	v_lshlrev_b32_e32 v46, 24, v46
	v_lshlrev_b32_e32 v57, 20, v57
	v_and_b32_e32 v46, 0x80000000, v46
	v_lshl_add_u32 v59, v59, 23, v55
	v_or3_b32 v57, v46, v59, v57
.LBB615_327:                            ;   in Loop: Header=BB615_215 Depth=1
	s_or_b64 exec, exec, s[16:17]
.LBB615_328:                            ;   in Loop: Header=BB615_215 Depth=1
	s_or_b64 exec, exec, s[14:15]
.LBB615_329:                            ;   in Loop: Header=BB615_215 Depth=1
	s_or_b64 exec, exec, s[12:13]
	v_cmp_lt_u32_e32 vcc, s20, v44
	v_mov_b32_e32 v59, 0
	v_mov_b32_e32 v60, 0
	s_and_saveexec_b64 s[12:13], vcc
	s_cbranch_execz .LBB615_335
; %bb.330:                              ;   in Loop: Header=BB615_215 Depth=1
	v_lshrrev_b32_e32 v46, 24, v44
	v_cmp_ne_u32_e32 vcc, s9, v46
	v_bfrev_b32_e32 v60, 1
	s_and_saveexec_b64 s[14:15], vcc
	s_cbranch_execz .LBB615_334
; %bb.331:                              ;   in Loop: Header=BB615_215 Depth=1
	v_bfe_u32 v44, v44, 24, 7
	v_cmp_ne_u32_e32 vcc, s19, v44
	v_mov_b32_e32 v60, 0x7f800001
	s_and_saveexec_b64 s[16:17], vcc
	s_cbranch_execz .LBB615_333
; %bb.332:                              ;   in Loop: Header=BB615_215 Depth=1
	v_and_b32_e32 v62, 7, v46
	v_ffbh_u32_e32 v60, v62
	v_min_u32_e32 v64, 32, v60
	v_subrev_u32_e32 v60, 28, v64
	v_lshlrev_b64 v[60:61], v60, v[46:47]
	v_lshrrev_b32_e32 v63, 3, v44
	v_sub_u32_e32 v61, 29, v64
	v_and_b32_e32 v60, 7, v60
	v_cmp_gt_u32_e32 vcc, 8, v44
	v_cndmask_b32_e32 v44, v63, v61, vcc
	v_cndmask_b32_e32 v60, v62, v60, vcc
	v_lshlrev_b32_e32 v46, 24, v46
	v_lshlrev_b32_e32 v60, 20, v60
	v_and_b32_e32 v46, 0x80000000, v46
	v_lshl_add_u32 v44, v44, 23, v55
	v_or3_b32 v60, v46, v44, v60
.LBB615_333:                            ;   in Loop: Header=BB615_215 Depth=1
	s_or_b64 exec, exec, s[16:17]
.LBB615_334:                            ;   in Loop: Header=BB615_215 Depth=1
	s_or_b64 exec, exec, s[14:15]
.LBB615_335:                            ;   in Loop: Header=BB615_215 Depth=1
	s_or_b64 exec, exec, s[12:13]
	s_waitcnt vmcnt(2)
	v_cmp_ne_u16_sdwa s[14:15], v42, v54 src0_sel:BYTE_0 src1_sel:DWORD
	s_and_saveexec_b64 s[12:13], s[14:15]
	s_cbranch_execz .LBB615_341
; %bb.336:                              ;   in Loop: Header=BB615_215 Depth=1
	v_cmp_ne_u16_sdwa s[16:17], v42, s9 src0_sel:BYTE_0 src1_sel:DWORD
	v_bfrev_b32_e32 v59, 1
	s_and_saveexec_b64 s[14:15], s[16:17]
	s_cbranch_execz .LBB615_340
; %bb.337:                              ;   in Loop: Header=BB615_215 Depth=1
	v_and_b32_e32 v44, 0x7f, v42
	v_cmp_ne_u32_e32 vcc, s19, v44
	v_mov_b32_e32 v59, 0x7f800001
	s_and_saveexec_b64 s[16:17], vcc
	s_cbranch_execz .LBB615_339
; %bb.338:                              ;   in Loop: Header=BB615_215 Depth=1
	v_and_b32_e32 v46, 7, v42
	v_ffbh_u32_e32 v61, v46
	v_min_u32_e32 v61, 32, v61
	v_subrev_u32_e32 v62, 28, v61
	v_lshlrev_b64 v[62:63], v62, v[42:43]
	v_lshrrev_b32_e32 v59, 3, v44
	v_sub_u32_e32 v61, 29, v61
	v_and_b32_e32 v62, 7, v62
	v_cmp_gt_u32_e32 vcc, 8, v44
	v_cndmask_b32_e32 v44, v59, v61, vcc
	v_cndmask_b32_e32 v46, v46, v62, vcc
	v_lshlrev_b32_e32 v59, 24, v42
	v_lshlrev_b32_e32 v46, 20, v46
	v_and_b32_e32 v59, 0x80000000, v59
	v_lshl_add_u32 v44, v44, 23, v55
	v_or3_b32 v59, v59, v44, v46
.LBB615_339:                            ;   in Loop: Header=BB615_215 Depth=1
	s_or_b64 exec, exec, s[16:17]
.LBB615_340:                            ;   in Loop: Header=BB615_215 Depth=1
	s_or_b64 exec, exec, s[14:15]
.LBB615_341:                            ;   in Loop: Header=BB615_215 Depth=1
	s_or_b64 exec, exec, s[12:13]
	v_lshrrev_b16_e32 v44, 8, v42
	v_cmp_ne_u16_e32 vcc, 0, v44
	v_mov_b32_e32 v61, 0
	v_mov_b32_e32 v62, 0
	s_and_saveexec_b64 s[12:13], vcc
	s_cbranch_execz .LBB615_347
; %bb.342:                              ;   in Loop: Header=BB615_215 Depth=1
	v_cmp_ne_u16_e32 vcc, s9, v44
	v_bfrev_b32_e32 v62, 1
	s_and_saveexec_b64 s[14:15], vcc
	s_cbranch_execz .LBB615_346
; %bb.343:                              ;   in Loop: Header=BB615_215 Depth=1
	v_and_b32_e32 v46, 0x7f, v44
	v_cmp_ne_u32_e32 vcc, s19, v46
	v_mov_b32_e32 v62, 0x7f800001
	s_and_saveexec_b64 s[16:17], vcc
	s_cbranch_execz .LBB615_345
; %bb.344:                              ;   in Loop: Header=BB615_215 Depth=1
	v_and_b32_e32 v64, 7, v44
	v_ffbh_u32_e32 v62, v64
	v_min_u32_e32 v66, 32, v62
	v_subrev_u32_e32 v62, 28, v66
	v_lshlrev_b64 v[62:63], v62, v[44:45]
	v_lshrrev_b32_e32 v65, 3, v46
	v_sub_u32_e32 v44, 29, v66
	v_and_b32_e32 v62, 7, v62
	v_cmp_gt_u32_e32 vcc, 8, v46
	v_cndmask_b32_e32 v44, v65, v44, vcc
	v_cndmask_b32_e32 v46, v64, v62, vcc
	v_lshlrev_b32_e32 v62, 16, v42
	v_lshlrev_b32_e32 v46, 20, v46
	v_and_b32_e32 v62, 0x80000000, v62
	v_lshl_add_u32 v44, v44, 23, v55
	v_or3_b32 v62, v62, v44, v46
.LBB615_345:                            ;   in Loop: Header=BB615_215 Depth=1
	s_or_b64 exec, exec, s[16:17]
.LBB615_346:                            ;   in Loop: Header=BB615_215 Depth=1
	s_or_b64 exec, exec, s[14:15]
.LBB615_347:                            ;   in Loop: Header=BB615_215 Depth=1
	s_or_b64 exec, exec, s[12:13]
	v_lshrrev_b32_e32 v44, 16, v42
	v_cmp_ne_u16_sdwa s[14:15], v44, v54 src0_sel:BYTE_0 src1_sel:DWORD
	s_and_saveexec_b64 s[12:13], s[14:15]
	s_cbranch_execz .LBB615_353
; %bb.348:                              ;   in Loop: Header=BB615_215 Depth=1
	v_cmp_ne_u16_sdwa s[16:17], v44, s9 src0_sel:BYTE_0 src1_sel:DWORD
	v_bfrev_b32_e32 v61, 1
	s_and_saveexec_b64 s[14:15], s[16:17]
	s_cbranch_execz .LBB615_352
; %bb.349:                              ;   in Loop: Header=BB615_215 Depth=1
	v_bfe_u32 v46, v42, 16, 7
	v_cmp_ne_u32_e32 vcc, s19, v46
	v_mov_b32_e32 v61, 0x7f800001
	s_and_saveexec_b64 s[16:17], vcc
	s_cbranch_execz .LBB615_351
; %bb.350:                              ;   in Loop: Header=BB615_215 Depth=1
	v_and_b32_e32 v61, 7, v44
	v_ffbh_u32_e32 v64, v61
	v_min_u32_e32 v66, 32, v64
	v_subrev_u32_e32 v64, 28, v66
	v_lshlrev_b64 v[64:65], v64, v[44:45]
	v_lshrrev_b32_e32 v63, 3, v46
	v_sub_u32_e32 v65, 29, v66
	v_and_b32_e32 v64, 7, v64
	v_cmp_gt_u32_e32 vcc, 8, v46
	v_cndmask_b32_e32 v46, v63, v65, vcc
	v_cndmask_b32_e32 v61, v61, v64, vcc
	v_lshlrev_b32_e32 v44, 24, v44
	v_lshlrev_b32_e32 v61, 20, v61
	v_and_b32_e32 v44, 0x80000000, v44
	v_lshl_add_u32 v46, v46, 23, v55
	v_or3_b32 v61, v44, v46, v61
.LBB615_351:                            ;   in Loop: Header=BB615_215 Depth=1
	s_or_b64 exec, exec, s[16:17]
.LBB615_352:                            ;   in Loop: Header=BB615_215 Depth=1
	s_or_b64 exec, exec, s[14:15]
.LBB615_353:                            ;   in Loop: Header=BB615_215 Depth=1
	s_or_b64 exec, exec, s[12:13]
	v_cmp_lt_u32_e32 vcc, s20, v42
	v_mov_b32_e32 v46, 0
	v_mov_b32_e32 v63, 0
	s_and_saveexec_b64 s[12:13], vcc
	s_cbranch_execz .LBB615_359
; %bb.354:                              ;   in Loop: Header=BB615_215 Depth=1
	v_lshrrev_b32_e32 v44, 24, v42
	v_cmp_ne_u32_e32 vcc, s9, v44
	v_bfrev_b32_e32 v63, 1
	s_and_saveexec_b64 s[14:15], vcc
	s_cbranch_execz .LBB615_358
; %bb.355:                              ;   in Loop: Header=BB615_215 Depth=1
	v_bfe_u32 v42, v42, 24, 7
	v_cmp_ne_u32_e32 vcc, s19, v42
	v_mov_b32_e32 v63, 0x7f800001
	s_and_saveexec_b64 s[16:17], vcc
	s_cbranch_execz .LBB615_357
; %bb.356:                              ;   in Loop: Header=BB615_215 Depth=1
	v_and_b32_e32 v63, 7, v44
	v_ffbh_u32_e32 v64, v63
	v_min_u32_e32 v67, 32, v64
	v_subrev_u32_e32 v64, 28, v67
	v_lshlrev_b64 v[64:65], v64, v[44:45]
	v_lshrrev_b32_e32 v66, 3, v42
	v_sub_u32_e32 v65, 29, v67
	v_and_b32_e32 v64, 7, v64
	v_cmp_gt_u32_e32 vcc, 8, v42
	v_cndmask_b32_e32 v42, v66, v65, vcc
	v_cndmask_b32_e32 v63, v63, v64, vcc
	v_lshlrev_b32_e32 v44, 24, v44
	v_lshlrev_b32_e32 v63, 20, v63
	v_and_b32_e32 v44, 0x80000000, v44
	v_lshl_add_u32 v42, v42, 23, v55
	v_or3_b32 v63, v44, v42, v63
.LBB615_357:                            ;   in Loop: Header=BB615_215 Depth=1
	s_or_b64 exec, exec, s[16:17]
.LBB615_358:                            ;   in Loop: Header=BB615_215 Depth=1
	s_or_b64 exec, exec, s[14:15]
.LBB615_359:                            ;   in Loop: Header=BB615_215 Depth=1
	s_or_b64 exec, exec, s[12:13]
	v_cvt_pkrtz_f16_f32 v56, v56, v58
	v_cvt_pkrtz_f16_f32 v57, v57, v60
	s_waitcnt vmcnt(1)
	v_cmp_ne_u16_sdwa s[14:15], v40, v54 src0_sel:BYTE_0 src1_sel:DWORD
	v_mfma_f32_16x16x16f16 v[34:37], v[56:57], v[10:11], v[34:37]
	v_cvt_pkrtz_f16_f32 v56, v59, v62
	v_cvt_pkrtz_f16_f32 v57, v61, v63
	s_nop 1
	v_mfma_f32_16x16x16f16 v[34:37], v[56:57], v[12:13], v[34:37]
	s_and_saveexec_b64 s[12:13], s[14:15]
	s_cbranch_execz .LBB615_365
; %bb.360:                              ;   in Loop: Header=BB615_215 Depth=1
	v_cmp_ne_u16_sdwa s[16:17], v40, s9 src0_sel:BYTE_0 src1_sel:DWORD
	v_bfrev_b32_e32 v46, 1
	s_and_saveexec_b64 s[14:15], s[16:17]
	s_cbranch_execz .LBB615_364
; %bb.361:                              ;   in Loop: Header=BB615_215 Depth=1
	v_and_b32_e32 v42, 0x7f, v40
	v_cmp_ne_u32_e32 vcc, s19, v42
	v_mov_b32_e32 v46, 0x7f800001
	s_and_saveexec_b64 s[16:17], vcc
	s_cbranch_execz .LBB615_363
; %bb.362:                              ;   in Loop: Header=BB615_215 Depth=1
	v_and_b32_e32 v44, 7, v40
	v_ffbh_u32_e32 v56, v44
	v_min_u32_e32 v58, 32, v56
	v_subrev_u32_e32 v56, 28, v58
	v_lshlrev_b64 v[56:57], v56, v[40:41]
	v_lshrrev_b32_e32 v46, 3, v42
	v_sub_u32_e32 v57, 29, v58
	v_and_b32_e32 v56, 7, v56
	v_cmp_gt_u32_e32 vcc, 8, v42
	v_cndmask_b32_e32 v42, v46, v57, vcc
	v_cndmask_b32_e32 v44, v44, v56, vcc
	v_lshlrev_b32_e32 v46, 24, v40
	v_lshlrev_b32_e32 v44, 20, v44
	v_and_b32_e32 v46, 0x80000000, v46
	v_lshl_add_u32 v42, v42, 23, v55
	v_or3_b32 v46, v46, v42, v44
.LBB615_363:                            ;   in Loop: Header=BB615_215 Depth=1
	s_or_b64 exec, exec, s[16:17]
.LBB615_364:                            ;   in Loop: Header=BB615_215 Depth=1
	s_or_b64 exec, exec, s[14:15]
.LBB615_365:                            ;   in Loop: Header=BB615_215 Depth=1
	s_or_b64 exec, exec, s[12:13]
	v_lshrrev_b16_e32 v42, 8, v40
	v_cmp_ne_u16_e32 vcc, 0, v42
	v_mov_b32_e32 v44, 0
	v_mov_b32_e32 v57, 0
	s_and_saveexec_b64 s[12:13], vcc
	s_cbranch_execz .LBB615_371
; %bb.366:                              ;   in Loop: Header=BB615_215 Depth=1
	v_cmp_ne_u16_e32 vcc, s9, v42
	v_bfrev_b32_e32 v57, 1
	s_and_saveexec_b64 s[14:15], vcc
	s_cbranch_execz .LBB615_370
; %bb.367:                              ;   in Loop: Header=BB615_215 Depth=1
	v_and_b32_e32 v56, 0x7f, v42
	v_cmp_ne_u32_e32 vcc, s19, v56
	v_mov_b32_e32 v57, 0x7f800001
	s_and_saveexec_b64 s[16:17], vcc
	s_cbranch_execz .LBB615_369
; %bb.368:                              ;   in Loop: Header=BB615_215 Depth=1
	v_and_b32_e32 v57, 7, v42
	v_ffbh_u32_e32 v58, v57
	v_min_u32_e32 v61, 32, v58
	v_subrev_u32_e32 v58, 28, v61
	v_lshlrev_b64 v[58:59], v58, v[42:43]
	v_lshrrev_b32_e32 v60, 3, v56
	v_sub_u32_e32 v42, 29, v61
	v_and_b32_e32 v58, 7, v58
	v_cmp_gt_u32_e32 vcc, 8, v56
	v_cndmask_b32_e32 v42, v60, v42, vcc
	v_cndmask_b32_e32 v56, v57, v58, vcc
	v_lshlrev_b32_e32 v57, 16, v40
	v_lshlrev_b32_e32 v56, 20, v56
	v_and_b32_e32 v57, 0x80000000, v57
	v_lshl_add_u32 v42, v42, 23, v55
	v_or3_b32 v57, v57, v42, v56
.LBB615_369:                            ;   in Loop: Header=BB615_215 Depth=1
	s_or_b64 exec, exec, s[16:17]
.LBB615_370:                            ;   in Loop: Header=BB615_215 Depth=1
	s_or_b64 exec, exec, s[14:15]
.LBB615_371:                            ;   in Loop: Header=BB615_215 Depth=1
	s_or_b64 exec, exec, s[12:13]
	v_lshrrev_b32_e32 v42, 16, v40
	v_cmp_ne_u16_sdwa s[14:15], v42, v54 src0_sel:BYTE_0 src1_sel:DWORD
	s_and_saveexec_b64 s[12:13], s[14:15]
	s_cbranch_execz .LBB615_377
; %bb.372:                              ;   in Loop: Header=BB615_215 Depth=1
	v_cmp_ne_u16_sdwa s[16:17], v42, s9 src0_sel:BYTE_0 src1_sel:DWORD
	v_bfrev_b32_e32 v44, 1
	s_and_saveexec_b64 s[14:15], s[16:17]
	s_cbranch_execz .LBB615_376
; %bb.373:                              ;   in Loop: Header=BB615_215 Depth=1
	v_bfe_u32 v56, v40, 16, 7
	v_cmp_ne_u32_e32 vcc, s19, v56
	v_mov_b32_e32 v44, 0x7f800001
	s_and_saveexec_b64 s[16:17], vcc
	s_cbranch_execz .LBB615_375
; %bb.374:                              ;   in Loop: Header=BB615_215 Depth=1
	v_and_b32_e32 v44, 7, v42
	v_ffbh_u32_e32 v58, v44
	v_min_u32_e32 v61, 32, v58
	v_subrev_u32_e32 v58, 28, v61
	v_lshlrev_b64 v[58:59], v58, v[42:43]
	v_lshrrev_b32_e32 v60, 3, v56
	v_sub_u32_e32 v59, 29, v61
	v_and_b32_e32 v58, 7, v58
	v_cmp_gt_u32_e32 vcc, 8, v56
	v_cndmask_b32_e32 v56, v60, v59, vcc
	v_cndmask_b32_e32 v44, v44, v58, vcc
	v_lshlrev_b32_e32 v42, 24, v42
	v_lshlrev_b32_e32 v44, 20, v44
	v_and_b32_e32 v42, 0x80000000, v42
	v_lshl_add_u32 v56, v56, 23, v55
	v_or3_b32 v44, v42, v56, v44
.LBB615_375:                            ;   in Loop: Header=BB615_215 Depth=1
	s_or_b64 exec, exec, s[16:17]
.LBB615_376:                            ;   in Loop: Header=BB615_215 Depth=1
	s_or_b64 exec, exec, s[14:15]
.LBB615_377:                            ;   in Loop: Header=BB615_215 Depth=1
	s_or_b64 exec, exec, s[12:13]
	v_cmp_lt_u32_e32 vcc, s20, v40
	v_mov_b32_e32 v58, 0
	v_mov_b32_e32 v59, 0
	s_and_saveexec_b64 s[12:13], vcc
	s_cbranch_execz .LBB615_383
; %bb.378:                              ;   in Loop: Header=BB615_215 Depth=1
	v_lshrrev_b32_e32 v42, 24, v40
	v_cmp_ne_u32_e32 vcc, s9, v42
	v_bfrev_b32_e32 v59, 1
	s_and_saveexec_b64 s[14:15], vcc
	s_cbranch_execz .LBB615_382
; %bb.379:                              ;   in Loop: Header=BB615_215 Depth=1
	v_bfe_u32 v40, v40, 24, 7
	v_cmp_ne_u32_e32 vcc, s19, v40
	v_mov_b32_e32 v59, 0x7f800001
	s_and_saveexec_b64 s[16:17], vcc
	s_cbranch_execz .LBB615_381
; %bb.380:                              ;   in Loop: Header=BB615_215 Depth=1
	v_and_b32_e32 v56, 7, v42
	v_ffbh_u32_e32 v60, v56
	v_min_u32_e32 v62, 32, v60
	v_subrev_u32_e32 v60, 28, v62
	v_lshlrev_b64 v[60:61], v60, v[42:43]
	v_lshrrev_b32_e32 v59, 3, v40
	v_sub_u32_e32 v61, 29, v62
	v_and_b32_e32 v60, 7, v60
	v_cmp_gt_u32_e32 vcc, 8, v40
	v_cndmask_b32_e32 v40, v59, v61, vcc
	v_cndmask_b32_e32 v56, v56, v60, vcc
	v_lshlrev_b32_e32 v42, 24, v42
	v_lshlrev_b32_e32 v56, 20, v56
	v_and_b32_e32 v42, 0x80000000, v42
	v_lshl_add_u32 v40, v40, 23, v55
	v_or3_b32 v59, v42, v40, v56
.LBB615_381:                            ;   in Loop: Header=BB615_215 Depth=1
	s_or_b64 exec, exec, s[16:17]
.LBB615_382:                            ;   in Loop: Header=BB615_215 Depth=1
	s_or_b64 exec, exec, s[14:15]
.LBB615_383:                            ;   in Loop: Header=BB615_215 Depth=1
	s_or_b64 exec, exec, s[12:13]
	s_waitcnt vmcnt(0)
	v_cmp_ne_u16_sdwa s[14:15], v38, v54 src0_sel:BYTE_0 src1_sel:DWORD
	s_and_saveexec_b64 s[12:13], s[14:15]
	s_cbranch_execz .LBB615_389
; %bb.384:                              ;   in Loop: Header=BB615_215 Depth=1
	v_cmp_ne_u16_sdwa s[16:17], v38, s9 src0_sel:BYTE_0 src1_sel:DWORD
	v_bfrev_b32_e32 v58, 1
	s_and_saveexec_b64 s[14:15], s[16:17]
	s_cbranch_execz .LBB615_388
; %bb.385:                              ;   in Loop: Header=BB615_215 Depth=1
	v_and_b32_e32 v40, 0x7f, v38
	v_cmp_ne_u32_e32 vcc, s19, v40
	v_mov_b32_e32 v58, 0x7f800001
	s_and_saveexec_b64 s[16:17], vcc
	s_cbranch_execz .LBB615_387
; %bb.386:                              ;   in Loop: Header=BB615_215 Depth=1
	v_and_b32_e32 v42, 7, v38
	v_ffbh_u32_e32 v58, v42
	v_min_u32_e32 v58, 32, v58
	v_subrev_u32_e32 v60, 28, v58
	v_lshlrev_b64 v[60:61], v60, v[38:39]
	v_lshrrev_b32_e32 v56, 3, v40
	v_sub_u32_e32 v58, 29, v58
	v_and_b32_e32 v60, 7, v60
	v_cmp_gt_u32_e32 vcc, 8, v40
	v_cndmask_b32_e32 v40, v56, v58, vcc
	v_cndmask_b32_e32 v42, v42, v60, vcc
	v_lshlrev_b32_e32 v56, 24, v38
	v_lshlrev_b32_e32 v42, 20, v42
	v_and_b32_e32 v56, 0x80000000, v56
	v_lshl_add_u32 v40, v40, 23, v55
	v_or3_b32 v58, v56, v40, v42
.LBB615_387:                            ;   in Loop: Header=BB615_215 Depth=1
	s_or_b64 exec, exec, s[16:17]
.LBB615_388:                            ;   in Loop: Header=BB615_215 Depth=1
	s_or_b64 exec, exec, s[14:15]
.LBB615_389:                            ;   in Loop: Header=BB615_215 Depth=1
	s_or_b64 exec, exec, s[12:13]
	v_lshrrev_b16_e32 v40, 8, v38
	v_cmp_ne_u16_e32 vcc, 0, v40
	v_mov_b32_e32 v60, 0
	v_mov_b32_e32 v61, 0
	s_and_saveexec_b64 s[12:13], vcc
	s_cbranch_execz .LBB615_395
; %bb.390:                              ;   in Loop: Header=BB615_215 Depth=1
	v_cmp_ne_u16_e32 vcc, s9, v40
	v_bfrev_b32_e32 v61, 1
	s_and_saveexec_b64 s[14:15], vcc
	s_cbranch_execz .LBB615_394
; %bb.391:                              ;   in Loop: Header=BB615_215 Depth=1
	v_and_b32_e32 v42, 0x7f, v40
	v_cmp_ne_u32_e32 vcc, s19, v42
	v_mov_b32_e32 v61, 0x7f800001
	s_and_saveexec_b64 s[16:17], vcc
	s_cbranch_execz .LBB615_393
; %bb.392:                              ;   in Loop: Header=BB615_215 Depth=1
	v_and_b32_e32 v56, 7, v40
	v_ffbh_u32_e32 v62, v56
	v_min_u32_e32 v64, 32, v62
	v_subrev_u32_e32 v62, 28, v64
	v_lshlrev_b64 v[62:63], v62, v[40:41]
	v_lshrrev_b32_e32 v61, 3, v42
	v_sub_u32_e32 v40, 29, v64
	v_and_b32_e32 v62, 7, v62
	v_cmp_gt_u32_e32 vcc, 8, v42
	v_cndmask_b32_e32 v40, v61, v40, vcc
	v_cndmask_b32_e32 v42, v56, v62, vcc
	v_lshlrev_b32_e32 v56, 16, v38
	v_lshlrev_b32_e32 v42, 20, v42
	v_and_b32_e32 v56, 0x80000000, v56
	v_lshl_add_u32 v40, v40, 23, v55
	v_or3_b32 v61, v56, v40, v42
.LBB615_393:                            ;   in Loop: Header=BB615_215 Depth=1
	s_or_b64 exec, exec, s[16:17]
.LBB615_394:                            ;   in Loop: Header=BB615_215 Depth=1
	s_or_b64 exec, exec, s[14:15]
.LBB615_395:                            ;   in Loop: Header=BB615_215 Depth=1
	s_or_b64 exec, exec, s[12:13]
	v_lshrrev_b32_e32 v40, 16, v38
	v_cmp_ne_u16_sdwa s[14:15], v40, v54 src0_sel:BYTE_0 src1_sel:DWORD
	s_and_saveexec_b64 s[12:13], s[14:15]
	s_cbranch_execz .LBB615_401
; %bb.396:                              ;   in Loop: Header=BB615_215 Depth=1
	v_cmp_ne_u16_sdwa s[16:17], v40, s9 src0_sel:BYTE_0 src1_sel:DWORD
	v_bfrev_b32_e32 v60, 1
	s_and_saveexec_b64 s[14:15], s[16:17]
	s_cbranch_execz .LBB615_400
; %bb.397:                              ;   in Loop: Header=BB615_215 Depth=1
	v_bfe_u32 v42, v38, 16, 7
	v_cmp_ne_u32_e32 vcc, s19, v42
	v_mov_b32_e32 v60, 0x7f800001
	s_and_saveexec_b64 s[16:17], vcc
	s_cbranch_execz .LBB615_399
; %bb.398:                              ;   in Loop: Header=BB615_215 Depth=1
	v_and_b32_e32 v56, 7, v40
	v_ffbh_u32_e32 v62, v56
	v_min_u32_e32 v64, 32, v62
	v_subrev_u32_e32 v62, 28, v64
	v_lshlrev_b64 v[62:63], v62, v[40:41]
	v_lshrrev_b32_e32 v60, 3, v42
	v_sub_u32_e32 v63, 29, v64
	v_and_b32_e32 v62, 7, v62
	v_cmp_gt_u32_e32 vcc, 8, v42
	v_cndmask_b32_e32 v42, v60, v63, vcc
	v_cndmask_b32_e32 v56, v56, v62, vcc
	v_lshlrev_b32_e32 v40, 24, v40
	v_lshlrev_b32_e32 v56, 20, v56
	v_and_b32_e32 v40, 0x80000000, v40
	v_lshl_add_u32 v42, v42, 23, v55
	v_or3_b32 v60, v40, v42, v56
.LBB615_399:                            ;   in Loop: Header=BB615_215 Depth=1
	s_or_b64 exec, exec, s[16:17]
.LBB615_400:                            ;   in Loop: Header=BB615_215 Depth=1
	s_or_b64 exec, exec, s[14:15]
.LBB615_401:                            ;   in Loop: Header=BB615_215 Depth=1
	s_or_b64 exec, exec, s[12:13]
	v_cmp_lt_u32_e32 vcc, s20, v38
	v_mov_b32_e32 v56, 0
	v_mov_b32_e32 v62, 0
	s_and_saveexec_b64 s[12:13], vcc
	s_cbranch_execz .LBB615_407
; %bb.402:                              ;   in Loop: Header=BB615_215 Depth=1
	v_lshrrev_b32_e32 v40, 24, v38
	v_cmp_ne_u32_e32 vcc, s9, v40
	v_bfrev_b32_e32 v62, 1
	s_and_saveexec_b64 s[14:15], vcc
	s_cbranch_execz .LBB615_406
; %bb.403:                              ;   in Loop: Header=BB615_215 Depth=1
	v_bfe_u32 v38, v38, 24, 7
	v_cmp_ne_u32_e32 vcc, s19, v38
	v_mov_b32_e32 v62, 0x7f800001
	s_and_saveexec_b64 s[16:17], vcc
	s_cbranch_execz .LBB615_405
; %bb.404:                              ;   in Loop: Header=BB615_215 Depth=1
	v_and_b32_e32 v42, 7, v40
	v_ffbh_u32_e32 v62, v42
	v_min_u32_e32 v65, 32, v62
	v_subrev_u32_e32 v62, 28, v65
	v_lshlrev_b64 v[62:63], v62, v[40:41]
	v_lshrrev_b32_e32 v64, 3, v38
	v_sub_u32_e32 v63, 29, v65
	v_and_b32_e32 v62, 7, v62
	v_cmp_gt_u32_e32 vcc, 8, v38
	v_cndmask_b32_e32 v38, v64, v63, vcc
	v_cndmask_b32_e32 v42, v42, v62, vcc
	v_lshlrev_b32_e32 v40, 24, v40
	v_lshlrev_b32_e32 v42, 20, v42
	v_and_b32_e32 v40, 0x80000000, v40
	v_lshl_add_u32 v38, v38, 23, v55
	v_or3_b32 v62, v40, v38, v42
.LBB615_405:                            ;   in Loop: Header=BB615_215 Depth=1
	s_or_b64 exec, exec, s[16:17]
.LBB615_406:                            ;   in Loop: Header=BB615_215 Depth=1
	s_or_b64 exec, exec, s[14:15]
.LBB615_407:                            ;   in Loop: Header=BB615_215 Depth=1
	s_or_b64 exec, exec, s[12:13]
	v_cvt_pkrtz_f16_f32 v65, v44, v59
	buffer_load_dword v44, v51, s[0:3], 0 offen
	buffer_load_dword v42, v51, s[0:3], 0 offen offset:4
	buffer_load_dword v40, v51, s[0:3], 0 offen offset:8
	;; [unrolled: 1-line block ×3, first 2 shown]
	v_cvt_pkrtz_f16_f32 v64, v46, v57
	v_cvt_pkrtz_f16_f32 v58, v58, v61
	;; [unrolled: 1-line block ×3, first 2 shown]
	v_mfma_f32_16x16x16f16 v[34:37], v[64:65], v[14:15], v[34:37]
	s_waitcnt vmcnt(3)
	v_cmp_ne_u16_sdwa s[14:15], v44, v54 src0_sel:BYTE_0 src1_sel:DWORD
	v_mfma_f32_16x16x16f16 v[34:37], v[58:59], v[16:17], v[34:37]
	s_and_saveexec_b64 s[12:13], s[14:15]
	s_cbranch_execz .LBB615_413
; %bb.408:                              ;   in Loop: Header=BB615_215 Depth=1
	v_cmp_ne_u16_sdwa s[16:17], v44, s9 src0_sel:BYTE_0 src1_sel:DWORD
	v_bfrev_b32_e32 v56, 1
	s_and_saveexec_b64 s[14:15], s[16:17]
	s_cbranch_execz .LBB615_412
; %bb.409:                              ;   in Loop: Header=BB615_215 Depth=1
	v_and_b32_e32 v46, 0x7f, v44
	v_cmp_ne_u32_e32 vcc, s19, v46
	v_mov_b32_e32 v56, 0x7f800001
	s_and_saveexec_b64 s[16:17], vcc
	s_cbranch_execz .LBB615_411
; %bb.410:                              ;   in Loop: Header=BB615_215 Depth=1
	v_and_b32_e32 v51, 7, v44
	v_ffbh_u32_e32 v56, v51
	v_min_u32_e32 v59, 32, v56
	v_subrev_u32_e32 v56, 28, v59
	v_lshlrev_b64 v[56:57], v56, v[44:45]
	v_lshrrev_b32_e32 v58, 3, v46
	v_sub_u32_e32 v57, 29, v59
	v_and_b32_e32 v56, 7, v56
	v_cmp_gt_u32_e32 vcc, 8, v46
	v_cndmask_b32_e32 v46, v58, v57, vcc
	v_cndmask_b32_e32 v51, v51, v56, vcc
	v_lshlrev_b32_e32 v56, 24, v44
	v_lshlrev_b32_e32 v51, 20, v51
	v_and_b32_e32 v56, 0x80000000, v56
	v_lshl_add_u32 v46, v46, 23, v55
	v_or3_b32 v56, v56, v46, v51
.LBB615_411:                            ;   in Loop: Header=BB615_215 Depth=1
	s_or_b64 exec, exec, s[16:17]
.LBB615_412:                            ;   in Loop: Header=BB615_215 Depth=1
	s_or_b64 exec, exec, s[14:15]
.LBB615_413:                            ;   in Loop: Header=BB615_215 Depth=1
	s_or_b64 exec, exec, s[12:13]
	v_lshrrev_b16_e32 v46, 8, v44
	v_cmp_ne_u16_e32 vcc, 0, v46
	v_mov_b32_e32 v51, 0
	v_mov_b32_e32 v57, 0
	s_and_saveexec_b64 s[12:13], vcc
	s_cbranch_execz .LBB615_419
; %bb.414:                              ;   in Loop: Header=BB615_215 Depth=1
	v_cmp_ne_u16_e32 vcc, s9, v46
	v_bfrev_b32_e32 v57, 1
	s_and_saveexec_b64 s[14:15], vcc
	s_cbranch_execz .LBB615_418
; %bb.415:                              ;   in Loop: Header=BB615_215 Depth=1
	v_and_b32_e32 v58, 0x7f, v46
	v_cmp_ne_u32_e32 vcc, s19, v58
	v_mov_b32_e32 v57, 0x7f800001
	s_and_saveexec_b64 s[16:17], vcc
	s_cbranch_execz .LBB615_417
; %bb.416:                              ;   in Loop: Header=BB615_215 Depth=1
	v_and_b32_e32 v57, 7, v46
	v_ffbh_u32_e32 v60, v57
	v_min_u32_e32 v62, 32, v60
	v_subrev_u32_e32 v60, 28, v62
	v_lshlrev_b64 v[60:61], v60, v[46:47]
	v_lshrrev_b32_e32 v59, 3, v58
	v_sub_u32_e32 v46, 29, v62
	v_and_b32_e32 v60, 7, v60
	v_cmp_gt_u32_e32 vcc, 8, v58
	v_cndmask_b32_e32 v46, v59, v46, vcc
	v_cndmask_b32_e32 v57, v57, v60, vcc
	v_lshlrev_b32_e32 v58, 16, v44
	v_lshlrev_b32_e32 v57, 20, v57
	v_and_b32_e32 v58, 0x80000000, v58
	v_lshl_add_u32 v46, v46, 23, v55
	v_or3_b32 v57, v58, v46, v57
.LBB615_417:                            ;   in Loop: Header=BB615_215 Depth=1
	s_or_b64 exec, exec, s[16:17]
.LBB615_418:                            ;   in Loop: Header=BB615_215 Depth=1
	s_or_b64 exec, exec, s[14:15]
.LBB615_419:                            ;   in Loop: Header=BB615_215 Depth=1
	s_or_b64 exec, exec, s[12:13]
	v_lshrrev_b32_e32 v46, 16, v44
	v_cmp_ne_u16_sdwa s[14:15], v46, v54 src0_sel:BYTE_0 src1_sel:DWORD
	s_and_saveexec_b64 s[12:13], s[14:15]
	s_cbranch_execz .LBB615_425
; %bb.420:                              ;   in Loop: Header=BB615_215 Depth=1
	v_cmp_ne_u16_sdwa s[16:17], v46, s9 src0_sel:BYTE_0 src1_sel:DWORD
	v_bfrev_b32_e32 v51, 1
	s_and_saveexec_b64 s[14:15], s[16:17]
	s_cbranch_execz .LBB615_424
; %bb.421:                              ;   in Loop: Header=BB615_215 Depth=1
	v_bfe_u32 v58, v44, 16, 7
	v_cmp_ne_u32_e32 vcc, s19, v58
	v_mov_b32_e32 v51, 0x7f800001
	s_and_saveexec_b64 s[16:17], vcc
	s_cbranch_execz .LBB615_423
; %bb.422:                              ;   in Loop: Header=BB615_215 Depth=1
	v_and_b32_e32 v51, 7, v46
	v_ffbh_u32_e32 v60, v51
	v_min_u32_e32 v62, 32, v60
	v_subrev_u32_e32 v60, 28, v62
	v_lshlrev_b64 v[60:61], v60, v[46:47]
	v_lshrrev_b32_e32 v59, 3, v58
	v_sub_u32_e32 v61, 29, v62
	v_and_b32_e32 v60, 7, v60
	v_cmp_gt_u32_e32 vcc, 8, v58
	v_cndmask_b32_e32 v58, v59, v61, vcc
	v_cndmask_b32_e32 v51, v51, v60, vcc
	v_lshlrev_b32_e32 v46, 24, v46
	v_lshlrev_b32_e32 v51, 20, v51
	v_and_b32_e32 v46, 0x80000000, v46
	v_lshl_add_u32 v58, v58, 23, v55
	v_or3_b32 v51, v46, v58, v51
.LBB615_423:                            ;   in Loop: Header=BB615_215 Depth=1
	s_or_b64 exec, exec, s[16:17]
.LBB615_424:                            ;   in Loop: Header=BB615_215 Depth=1
	s_or_b64 exec, exec, s[14:15]
.LBB615_425:                            ;   in Loop: Header=BB615_215 Depth=1
	s_or_b64 exec, exec, s[12:13]
	v_cmp_lt_u32_e32 vcc, s20, v44
	v_mov_b32_e32 v58, 0
	v_mov_b32_e32 v59, 0
	s_and_saveexec_b64 s[12:13], vcc
	s_cbranch_execz .LBB615_431
; %bb.426:                              ;   in Loop: Header=BB615_215 Depth=1
	v_lshrrev_b32_e32 v46, 24, v44
	v_cmp_ne_u32_e32 vcc, s9, v46
	v_bfrev_b32_e32 v59, 1
	s_and_saveexec_b64 s[14:15], vcc
	s_cbranch_execz .LBB615_430
; %bb.427:                              ;   in Loop: Header=BB615_215 Depth=1
	v_bfe_u32 v44, v44, 24, 7
	v_cmp_ne_u32_e32 vcc, s19, v44
	v_mov_b32_e32 v59, 0x7f800001
	s_and_saveexec_b64 s[16:17], vcc
	s_cbranch_execz .LBB615_429
; %bb.428:                              ;   in Loop: Header=BB615_215 Depth=1
	v_and_b32_e32 v59, 7, v46
	v_ffbh_u32_e32 v60, v59
	v_min_u32_e32 v63, 32, v60
	v_subrev_u32_e32 v60, 28, v63
	v_lshlrev_b64 v[60:61], v60, v[46:47]
	v_lshrrev_b32_e32 v62, 3, v44
	v_sub_u32_e32 v61, 29, v63
	v_and_b32_e32 v60, 7, v60
	v_cmp_gt_u32_e32 vcc, 8, v44
	v_cndmask_b32_e32 v44, v62, v61, vcc
	v_cndmask_b32_e32 v59, v59, v60, vcc
	v_lshlrev_b32_e32 v46, 24, v46
	v_lshlrev_b32_e32 v59, 20, v59
	v_and_b32_e32 v46, 0x80000000, v46
	v_lshl_add_u32 v44, v44, 23, v55
	v_or3_b32 v59, v46, v44, v59
.LBB615_429:                            ;   in Loop: Header=BB615_215 Depth=1
	s_or_b64 exec, exec, s[16:17]
.LBB615_430:                            ;   in Loop: Header=BB615_215 Depth=1
	s_or_b64 exec, exec, s[14:15]
.LBB615_431:                            ;   in Loop: Header=BB615_215 Depth=1
	s_or_b64 exec, exec, s[12:13]
	s_waitcnt vmcnt(2)
	v_cmp_ne_u16_sdwa s[14:15], v42, v54 src0_sel:BYTE_0 src1_sel:DWORD
	s_and_saveexec_b64 s[12:13], s[14:15]
	s_cbranch_execz .LBB615_437
; %bb.432:                              ;   in Loop: Header=BB615_215 Depth=1
	v_cmp_ne_u16_sdwa s[16:17], v42, s9 src0_sel:BYTE_0 src1_sel:DWORD
	v_bfrev_b32_e32 v58, 1
	s_and_saveexec_b64 s[14:15], s[16:17]
	s_cbranch_execz .LBB615_436
; %bb.433:                              ;   in Loop: Header=BB615_215 Depth=1
	v_and_b32_e32 v44, 0x7f, v42
	v_cmp_ne_u32_e32 vcc, s19, v44
	v_mov_b32_e32 v58, 0x7f800001
	s_and_saveexec_b64 s[16:17], vcc
	s_cbranch_execz .LBB615_435
; %bb.434:                              ;   in Loop: Header=BB615_215 Depth=1
	v_and_b32_e32 v46, 7, v42
	v_ffbh_u32_e32 v60, v46
	v_min_u32_e32 v62, 32, v60
	v_subrev_u32_e32 v60, 28, v62
	v_lshlrev_b64 v[60:61], v60, v[42:43]
	v_lshrrev_b32_e32 v58, 3, v44
	v_sub_u32_e32 v61, 29, v62
	v_and_b32_e32 v60, 7, v60
	v_cmp_gt_u32_e32 vcc, 8, v44
	v_cndmask_b32_e32 v44, v58, v61, vcc
	v_cndmask_b32_e32 v46, v46, v60, vcc
	v_lshlrev_b32_e32 v58, 24, v42
	v_lshlrev_b32_e32 v46, 20, v46
	v_and_b32_e32 v58, 0x80000000, v58
	v_lshl_add_u32 v44, v44, 23, v55
	v_or3_b32 v58, v58, v44, v46
.LBB615_435:                            ;   in Loop: Header=BB615_215 Depth=1
	s_or_b64 exec, exec, s[16:17]
.LBB615_436:                            ;   in Loop: Header=BB615_215 Depth=1
	s_or_b64 exec, exec, s[14:15]
.LBB615_437:                            ;   in Loop: Header=BB615_215 Depth=1
	s_or_b64 exec, exec, s[12:13]
	v_lshrrev_b16_e32 v44, 8, v42
	v_cmp_ne_u16_e32 vcc, 0, v44
	v_mov_b32_e32 v60, 0
	v_mov_b32_e32 v61, 0
	s_and_saveexec_b64 s[12:13], vcc
	s_cbranch_execz .LBB615_443
; %bb.438:                              ;   in Loop: Header=BB615_215 Depth=1
	v_cmp_ne_u16_e32 vcc, s9, v44
	v_bfrev_b32_e32 v61, 1
	s_and_saveexec_b64 s[14:15], vcc
	s_cbranch_execz .LBB615_442
; %bb.439:                              ;   in Loop: Header=BB615_215 Depth=1
	v_and_b32_e32 v46, 0x7f, v44
	v_cmp_ne_u32_e32 vcc, s19, v46
	v_mov_b32_e32 v61, 0x7f800001
	s_and_saveexec_b64 s[16:17], vcc
	s_cbranch_execz .LBB615_441
; %bb.440:                              ;   in Loop: Header=BB615_215 Depth=1
	v_and_b32_e32 v61, 7, v44
	v_ffbh_u32_e32 v62, v61
	v_min_u32_e32 v65, 32, v62
	v_subrev_u32_e32 v62, 28, v65
	v_lshlrev_b64 v[62:63], v62, v[44:45]
	v_lshrrev_b32_e32 v64, 3, v46
	v_sub_u32_e32 v44, 29, v65
	v_and_b32_e32 v62, 7, v62
	v_cmp_gt_u32_e32 vcc, 8, v46
	v_cndmask_b32_e32 v44, v64, v44, vcc
	v_cndmask_b32_e32 v46, v61, v62, vcc
	v_lshlrev_b32_e32 v61, 16, v42
	v_lshlrev_b32_e32 v46, 20, v46
	v_and_b32_e32 v61, 0x80000000, v61
	v_lshl_add_u32 v44, v44, 23, v55
	v_or3_b32 v61, v61, v44, v46
.LBB615_441:                            ;   in Loop: Header=BB615_215 Depth=1
	s_or_b64 exec, exec, s[16:17]
.LBB615_442:                            ;   in Loop: Header=BB615_215 Depth=1
	s_or_b64 exec, exec, s[14:15]
.LBB615_443:                            ;   in Loop: Header=BB615_215 Depth=1
	s_or_b64 exec, exec, s[12:13]
	v_lshrrev_b32_e32 v44, 16, v42
	v_cmp_ne_u16_sdwa s[14:15], v44, v54 src0_sel:BYTE_0 src1_sel:DWORD
	s_and_saveexec_b64 s[12:13], s[14:15]
	s_cbranch_execz .LBB615_449
; %bb.444:                              ;   in Loop: Header=BB615_215 Depth=1
	v_cmp_ne_u16_sdwa s[16:17], v44, s9 src0_sel:BYTE_0 src1_sel:DWORD
	v_bfrev_b32_e32 v60, 1
	s_and_saveexec_b64 s[14:15], s[16:17]
	s_cbranch_execz .LBB615_448
; %bb.445:                              ;   in Loop: Header=BB615_215 Depth=1
	v_bfe_u32 v46, v42, 16, 7
	v_cmp_ne_u32_e32 vcc, s19, v46
	v_mov_b32_e32 v60, 0x7f800001
	s_and_saveexec_b64 s[16:17], vcc
	s_cbranch_execz .LBB615_447
; %bb.446:                              ;   in Loop: Header=BB615_215 Depth=1
	v_and_b32_e32 v60, 7, v44
	v_ffbh_u32_e32 v62, v60
	v_min_u32_e32 v65, 32, v62
	v_subrev_u32_e32 v62, 28, v65
	v_lshlrev_b64 v[62:63], v62, v[44:45]
	v_lshrrev_b32_e32 v64, 3, v46
	v_sub_u32_e32 v63, 29, v65
	v_and_b32_e32 v62, 7, v62
	v_cmp_gt_u32_e32 vcc, 8, v46
	v_cndmask_b32_e32 v46, v64, v63, vcc
	v_cndmask_b32_e32 v60, v60, v62, vcc
	v_lshlrev_b32_e32 v44, 24, v44
	v_lshlrev_b32_e32 v60, 20, v60
	v_and_b32_e32 v44, 0x80000000, v44
	v_lshl_add_u32 v46, v46, 23, v55
	v_or3_b32 v60, v44, v46, v60
.LBB615_447:                            ;   in Loop: Header=BB615_215 Depth=1
	s_or_b64 exec, exec, s[16:17]
.LBB615_448:                            ;   in Loop: Header=BB615_215 Depth=1
	s_or_b64 exec, exec, s[14:15]
.LBB615_449:                            ;   in Loop: Header=BB615_215 Depth=1
	s_or_b64 exec, exec, s[12:13]
	v_cmp_lt_u32_e32 vcc, s20, v42
	v_mov_b32_e32 v46, 0
	v_mov_b32_e32 v62, 0
	s_and_saveexec_b64 s[12:13], vcc
	s_cbranch_execz .LBB615_455
; %bb.450:                              ;   in Loop: Header=BB615_215 Depth=1
	v_lshrrev_b32_e32 v44, 24, v42
	v_cmp_ne_u32_e32 vcc, s9, v44
	v_bfrev_b32_e32 v62, 1
	s_and_saveexec_b64 s[14:15], vcc
	s_cbranch_execz .LBB615_454
; %bb.451:                              ;   in Loop: Header=BB615_215 Depth=1
	v_bfe_u32 v42, v42, 24, 7
	v_cmp_ne_u32_e32 vcc, s19, v42
	v_mov_b32_e32 v62, 0x7f800001
	s_and_saveexec_b64 s[16:17], vcc
	s_cbranch_execz .LBB615_453
; %bb.452:                              ;   in Loop: Header=BB615_215 Depth=1
	v_and_b32_e32 v64, 7, v44
	v_ffbh_u32_e32 v62, v64
	v_min_u32_e32 v66, 32, v62
	v_subrev_u32_e32 v62, 28, v66
	v_lshlrev_b64 v[62:63], v62, v[44:45]
	v_lshrrev_b32_e32 v65, 3, v42
	v_sub_u32_e32 v63, 29, v66
	v_and_b32_e32 v62, 7, v62
	v_cmp_gt_u32_e32 vcc, 8, v42
	v_cndmask_b32_e32 v42, v65, v63, vcc
	v_cndmask_b32_e32 v62, v64, v62, vcc
	v_lshlrev_b32_e32 v44, 24, v44
	v_lshlrev_b32_e32 v62, 20, v62
	v_and_b32_e32 v44, 0x80000000, v44
	v_lshl_add_u32 v42, v42, 23, v55
	v_or3_b32 v62, v44, v42, v62
.LBB615_453:                            ;   in Loop: Header=BB615_215 Depth=1
	s_or_b64 exec, exec, s[16:17]
.LBB615_454:                            ;   in Loop: Header=BB615_215 Depth=1
	s_or_b64 exec, exec, s[14:15]
.LBB615_455:                            ;   in Loop: Header=BB615_215 Depth=1
	s_or_b64 exec, exec, s[12:13]
	v_cvt_pkrtz_f16_f32 v56, v56, v57
	v_cvt_pkrtz_f16_f32 v57, v51, v59
	s_waitcnt vmcnt(1)
	v_cmp_ne_u16_sdwa s[14:15], v40, v54 src0_sel:BYTE_0 src1_sel:DWORD
	v_mfma_f32_16x16x16f16 v[34:37], v[56:57], v[18:19], v[34:37]
	v_cvt_pkrtz_f16_f32 v56, v58, v61
	v_cvt_pkrtz_f16_f32 v57, v60, v62
	s_nop 1
	v_mfma_f32_16x16x16f16 v[34:37], v[56:57], v[20:21], v[34:37]
	s_and_saveexec_b64 s[12:13], s[14:15]
	s_cbranch_execz .LBB615_461
; %bb.456:                              ;   in Loop: Header=BB615_215 Depth=1
	v_cmp_ne_u16_sdwa s[16:17], v40, s9 src0_sel:BYTE_0 src1_sel:DWORD
	v_bfrev_b32_e32 v46, 1
	s_and_saveexec_b64 s[14:15], s[16:17]
	s_cbranch_execz .LBB615_460
; %bb.457:                              ;   in Loop: Header=BB615_215 Depth=1
	v_and_b32_e32 v42, 0x7f, v40
	v_cmp_ne_u32_e32 vcc, s19, v42
	v_mov_b32_e32 v46, 0x7f800001
	s_and_saveexec_b64 s[16:17], vcc
	s_cbranch_execz .LBB615_459
; %bb.458:                              ;   in Loop: Header=BB615_215 Depth=1
	v_and_b32_e32 v44, 7, v40
	v_ffbh_u32_e32 v51, v44
	v_min_u32_e32 v51, 32, v51
	v_subrev_u32_e32 v56, 28, v51
	v_lshlrev_b64 v[56:57], v56, v[40:41]
	v_lshrrev_b32_e32 v46, 3, v42
	v_sub_u32_e32 v51, 29, v51
	v_and_b32_e32 v56, 7, v56
	v_cmp_gt_u32_e32 vcc, 8, v42
	v_cndmask_b32_e32 v42, v46, v51, vcc
	v_cndmask_b32_e32 v44, v44, v56, vcc
	v_lshlrev_b32_e32 v46, 24, v40
	v_lshlrev_b32_e32 v44, 20, v44
	v_and_b32_e32 v46, 0x80000000, v46
	v_lshl_add_u32 v42, v42, 23, v55
	v_or3_b32 v46, v46, v42, v44
.LBB615_459:                            ;   in Loop: Header=BB615_215 Depth=1
	s_or_b64 exec, exec, s[16:17]
.LBB615_460:                            ;   in Loop: Header=BB615_215 Depth=1
	s_or_b64 exec, exec, s[14:15]
.LBB615_461:                            ;   in Loop: Header=BB615_215 Depth=1
	s_or_b64 exec, exec, s[12:13]
	v_lshrrev_b16_e32 v42, 8, v40
	v_cmp_ne_u16_e32 vcc, 0, v42
	v_mov_b32_e32 v44, 0
	v_mov_b32_e32 v56, 0
	s_and_saveexec_b64 s[12:13], vcc
	s_cbranch_execz .LBB615_467
; %bb.462:                              ;   in Loop: Header=BB615_215 Depth=1
	v_cmp_ne_u16_e32 vcc, s9, v42
	v_bfrev_b32_e32 v56, 1
	s_and_saveexec_b64 s[14:15], vcc
	s_cbranch_execz .LBB615_466
; %bb.463:                              ;   in Loop: Header=BB615_215 Depth=1
	v_and_b32_e32 v51, 0x7f, v42
	v_cmp_ne_u32_e32 vcc, s19, v51
	v_mov_b32_e32 v56, 0x7f800001
	s_and_saveexec_b64 s[16:17], vcc
	s_cbranch_execz .LBB615_465
; %bb.464:                              ;   in Loop: Header=BB615_215 Depth=1
	v_and_b32_e32 v58, 7, v42
	v_ffbh_u32_e32 v56, v58
	v_min_u32_e32 v60, 32, v56
	v_subrev_u32_e32 v56, 28, v60
	v_lshlrev_b64 v[56:57], v56, v[42:43]
	v_lshrrev_b32_e32 v59, 3, v51
	v_sub_u32_e32 v42, 29, v60
	v_and_b32_e32 v56, 7, v56
	v_cmp_gt_u32_e32 vcc, 8, v51
	v_cndmask_b32_e32 v42, v59, v42, vcc
	v_cndmask_b32_e32 v51, v58, v56, vcc
	v_lshlrev_b32_e32 v56, 16, v40
	v_lshlrev_b32_e32 v51, 20, v51
	v_and_b32_e32 v56, 0x80000000, v56
	v_lshl_add_u32 v42, v42, 23, v55
	v_or3_b32 v56, v56, v42, v51
.LBB615_465:                            ;   in Loop: Header=BB615_215 Depth=1
	s_or_b64 exec, exec, s[16:17]
.LBB615_466:                            ;   in Loop: Header=BB615_215 Depth=1
	s_or_b64 exec, exec, s[14:15]
.LBB615_467:                            ;   in Loop: Header=BB615_215 Depth=1
	s_or_b64 exec, exec, s[12:13]
	v_lshrrev_b32_e32 v42, 16, v40
	v_cmp_ne_u16_sdwa s[14:15], v42, v54 src0_sel:BYTE_0 src1_sel:DWORD
	s_and_saveexec_b64 s[12:13], s[14:15]
	s_cbranch_execz .LBB615_473
; %bb.468:                              ;   in Loop: Header=BB615_215 Depth=1
	v_cmp_ne_u16_sdwa s[16:17], v42, s9 src0_sel:BYTE_0 src1_sel:DWORD
	v_bfrev_b32_e32 v44, 1
	s_and_saveexec_b64 s[14:15], s[16:17]
	s_cbranch_execz .LBB615_472
; %bb.469:                              ;   in Loop: Header=BB615_215 Depth=1
	v_bfe_u32 v51, v40, 16, 7
	v_cmp_ne_u32_e32 vcc, s19, v51
	v_mov_b32_e32 v44, 0x7f800001
	s_and_saveexec_b64 s[16:17], vcc
	s_cbranch_execz .LBB615_471
; %bb.470:                              ;   in Loop: Header=BB615_215 Depth=1
	v_and_b32_e32 v44, 7, v42
	v_ffbh_u32_e32 v58, v44
	v_min_u32_e32 v60, 32, v58
	v_subrev_u32_e32 v58, 28, v60
	v_lshlrev_b64 v[58:59], v58, v[42:43]
	v_lshrrev_b32_e32 v57, 3, v51
	v_sub_u32_e32 v59, 29, v60
	v_and_b32_e32 v58, 7, v58
	v_cmp_gt_u32_e32 vcc, 8, v51
	v_cndmask_b32_e32 v51, v57, v59, vcc
	v_cndmask_b32_e32 v44, v44, v58, vcc
	v_lshlrev_b32_e32 v42, 24, v42
	v_lshlrev_b32_e32 v44, 20, v44
	v_and_b32_e32 v42, 0x80000000, v42
	v_lshl_add_u32 v51, v51, 23, v55
	v_or3_b32 v44, v42, v51, v44
.LBB615_471:                            ;   in Loop: Header=BB615_215 Depth=1
	s_or_b64 exec, exec, s[16:17]
.LBB615_472:                            ;   in Loop: Header=BB615_215 Depth=1
	s_or_b64 exec, exec, s[14:15]
.LBB615_473:                            ;   in Loop: Header=BB615_215 Depth=1
	s_or_b64 exec, exec, s[12:13]
	v_cmp_lt_u32_e32 vcc, s20, v40
	v_mov_b32_e32 v57, 0
	v_mov_b32_e32 v58, 0
	s_and_saveexec_b64 s[12:13], vcc
	s_cbranch_execz .LBB615_479
; %bb.474:                              ;   in Loop: Header=BB615_215 Depth=1
	v_lshrrev_b32_e32 v42, 24, v40
	v_cmp_ne_u32_e32 vcc, s9, v42
	v_bfrev_b32_e32 v58, 1
	s_and_saveexec_b64 s[14:15], vcc
	s_cbranch_execz .LBB615_478
; %bb.475:                              ;   in Loop: Header=BB615_215 Depth=1
	v_bfe_u32 v40, v40, 24, 7
	v_cmp_ne_u32_e32 vcc, s19, v40
	v_mov_b32_e32 v58, 0x7f800001
	s_and_saveexec_b64 s[16:17], vcc
	s_cbranch_execz .LBB615_477
; %bb.476:                              ;   in Loop: Header=BB615_215 Depth=1
	v_and_b32_e32 v51, 7, v42
	v_ffbh_u32_e32 v58, v51
	v_min_u32_e32 v61, 32, v58
	v_subrev_u32_e32 v58, 28, v61
	v_lshlrev_b64 v[58:59], v58, v[42:43]
	v_lshrrev_b32_e32 v60, 3, v40
	v_sub_u32_e32 v59, 29, v61
	v_and_b32_e32 v58, 7, v58
	v_cmp_gt_u32_e32 vcc, 8, v40
	v_cndmask_b32_e32 v40, v60, v59, vcc
	v_cndmask_b32_e32 v51, v51, v58, vcc
	v_lshlrev_b32_e32 v42, 24, v42
	v_lshlrev_b32_e32 v51, 20, v51
	v_and_b32_e32 v42, 0x80000000, v42
	v_lshl_add_u32 v40, v40, 23, v55
	v_or3_b32 v58, v42, v40, v51
.LBB615_477:                            ;   in Loop: Header=BB615_215 Depth=1
	s_or_b64 exec, exec, s[16:17]
.LBB615_478:                            ;   in Loop: Header=BB615_215 Depth=1
	s_or_b64 exec, exec, s[14:15]
.LBB615_479:                            ;   in Loop: Header=BB615_215 Depth=1
	s_or_b64 exec, exec, s[12:13]
	s_waitcnt vmcnt(0)
	v_cmp_ne_u16_sdwa s[14:15], v38, v54 src0_sel:BYTE_0 src1_sel:DWORD
	s_and_saveexec_b64 s[12:13], s[14:15]
	s_cbranch_execz .LBB615_485
; %bb.480:                              ;   in Loop: Header=BB615_215 Depth=1
	v_cmp_ne_u16_sdwa s[16:17], v38, s9 src0_sel:BYTE_0 src1_sel:DWORD
	v_bfrev_b32_e32 v57, 1
	s_and_saveexec_b64 s[14:15], s[16:17]
	s_cbranch_execz .LBB615_484
; %bb.481:                              ;   in Loop: Header=BB615_215 Depth=1
	v_and_b32_e32 v40, 0x7f, v38
	v_cmp_ne_u32_e32 vcc, s19, v40
	v_mov_b32_e32 v57, 0x7f800001
	s_and_saveexec_b64 s[16:17], vcc
	s_cbranch_execz .LBB615_483
; %bb.482:                              ;   in Loop: Header=BB615_215 Depth=1
	v_and_b32_e32 v42, 7, v38
	v_ffbh_u32_e32 v57, v42
	v_min_u32_e32 v57, 32, v57
	v_subrev_u32_e32 v59, 28, v57
	v_lshlrev_b64 v[60:61], v59, v[38:39]
	v_lshrrev_b32_e32 v51, 3, v40
	v_sub_u32_e32 v57, 29, v57
	v_and_b32_e32 v59, 7, v60
	v_cmp_gt_u32_e32 vcc, 8, v40
	v_cndmask_b32_e32 v40, v51, v57, vcc
	v_cndmask_b32_e32 v42, v42, v59, vcc
	v_lshlrev_b32_e32 v51, 24, v38
	v_lshlrev_b32_e32 v42, 20, v42
	v_and_b32_e32 v51, 0x80000000, v51
	v_lshl_add_u32 v40, v40, 23, v55
	v_or3_b32 v57, v51, v40, v42
.LBB615_483:                            ;   in Loop: Header=BB615_215 Depth=1
	s_or_b64 exec, exec, s[16:17]
.LBB615_484:                            ;   in Loop: Header=BB615_215 Depth=1
	s_or_b64 exec, exec, s[14:15]
.LBB615_485:                            ;   in Loop: Header=BB615_215 Depth=1
	s_or_b64 exec, exec, s[12:13]
	v_lshrrev_b16_e32 v40, 8, v38
	v_cmp_ne_u16_e32 vcc, 0, v40
	v_mov_b32_e32 v59, 0
	v_mov_b32_e32 v60, 0
	s_and_saveexec_b64 s[12:13], vcc
	s_cbranch_execz .LBB615_491
; %bb.486:                              ;   in Loop: Header=BB615_215 Depth=1
	v_cmp_ne_u16_e32 vcc, s9, v40
	v_bfrev_b32_e32 v60, 1
	s_and_saveexec_b64 s[14:15], vcc
	s_cbranch_execz .LBB615_490
; %bb.487:                              ;   in Loop: Header=BB615_215 Depth=1
	v_and_b32_e32 v42, 0x7f, v40
	v_cmp_ne_u32_e32 vcc, s19, v42
	v_mov_b32_e32 v60, 0x7f800001
	s_and_saveexec_b64 s[16:17], vcc
	s_cbranch_execz .LBB615_489
; %bb.488:                              ;   in Loop: Header=BB615_215 Depth=1
	v_and_b32_e32 v51, 7, v40
	v_ffbh_u32_e32 v60, v51
	v_min_u32_e32 v63, 32, v60
	v_subrev_u32_e32 v60, 28, v63
	v_lshlrev_b64 v[60:61], v60, v[40:41]
	v_lshrrev_b32_e32 v62, 3, v42
	v_sub_u32_e32 v40, 29, v63
	v_and_b32_e32 v60, 7, v60
	v_cmp_gt_u32_e32 vcc, 8, v42
	v_cndmask_b32_e32 v40, v62, v40, vcc
	v_cndmask_b32_e32 v42, v51, v60, vcc
	v_lshlrev_b32_e32 v51, 16, v38
	v_lshlrev_b32_e32 v42, 20, v42
	v_and_b32_e32 v51, 0x80000000, v51
	v_lshl_add_u32 v40, v40, 23, v55
	v_or3_b32 v60, v51, v40, v42
.LBB615_489:                            ;   in Loop: Header=BB615_215 Depth=1
	s_or_b64 exec, exec, s[16:17]
.LBB615_490:                            ;   in Loop: Header=BB615_215 Depth=1
	s_or_b64 exec, exec, s[14:15]
.LBB615_491:                            ;   in Loop: Header=BB615_215 Depth=1
	s_or_b64 exec, exec, s[12:13]
	v_lshrrev_b32_e32 v40, 16, v38
	v_cmp_ne_u16_sdwa s[14:15], v40, v54 src0_sel:BYTE_0 src1_sel:DWORD
	s_and_saveexec_b64 s[12:13], s[14:15]
	s_cbranch_execz .LBB615_497
; %bb.492:                              ;   in Loop: Header=BB615_215 Depth=1
	v_cmp_ne_u16_sdwa s[16:17], v40, s9 src0_sel:BYTE_0 src1_sel:DWORD
	v_bfrev_b32_e32 v59, 1
	s_and_saveexec_b64 s[14:15], s[16:17]
	s_cbranch_execz .LBB615_496
; %bb.493:                              ;   in Loop: Header=BB615_215 Depth=1
	v_bfe_u32 v42, v38, 16, 7
	v_cmp_ne_u32_e32 vcc, s19, v42
	v_mov_b32_e32 v59, 0x7f800001
	s_and_saveexec_b64 s[16:17], vcc
	s_cbranch_execz .LBB615_495
; %bb.494:                              ;   in Loop: Header=BB615_215 Depth=1
	v_and_b32_e32 v51, 7, v40
	v_ffbh_u32_e32 v61, v51
	v_min_u32_e32 v61, 32, v61
	v_subrev_u32_e32 v62, 28, v61
	v_lshlrev_b64 v[62:63], v62, v[40:41]
	v_lshrrev_b32_e32 v59, 3, v42
	v_sub_u32_e32 v61, 29, v61
	v_and_b32_e32 v62, 7, v62
	v_cmp_gt_u32_e32 vcc, 8, v42
	v_cndmask_b32_e32 v42, v59, v61, vcc
	v_cndmask_b32_e32 v51, v51, v62, vcc
	v_lshlrev_b32_e32 v40, 24, v40
	v_lshlrev_b32_e32 v51, 20, v51
	v_and_b32_e32 v40, 0x80000000, v40
	v_lshl_add_u32 v42, v42, 23, v55
	v_or3_b32 v59, v40, v42, v51
.LBB615_495:                            ;   in Loop: Header=BB615_215 Depth=1
	s_or_b64 exec, exec, s[16:17]
.LBB615_496:                            ;   in Loop: Header=BB615_215 Depth=1
	s_or_b64 exec, exec, s[14:15]
.LBB615_497:                            ;   in Loop: Header=BB615_215 Depth=1
	s_or_b64 exec, exec, s[12:13]
	v_cmp_lt_u32_e32 vcc, s20, v38
	v_mov_b32_e32 v51, 0
	v_mov_b32_e32 v61, 0
	s_and_saveexec_b64 s[12:13], vcc
	s_cbranch_execz .LBB615_503
; %bb.498:                              ;   in Loop: Header=BB615_215 Depth=1
	v_lshrrev_b32_e32 v40, 24, v38
	v_cmp_ne_u32_e32 vcc, s9, v40
	v_bfrev_b32_e32 v61, 1
	s_and_saveexec_b64 s[14:15], vcc
	s_cbranch_execz .LBB615_502
; %bb.499:                              ;   in Loop: Header=BB615_215 Depth=1
	v_bfe_u32 v38, v38, 24, 7
	v_cmp_ne_u32_e32 vcc, s19, v38
	v_mov_b32_e32 v61, 0x7f800001
	s_and_saveexec_b64 s[16:17], vcc
	s_cbranch_execz .LBB615_501
; %bb.500:                              ;   in Loop: Header=BB615_215 Depth=1
	v_and_b32_e32 v42, 7, v40
	v_ffbh_u32_e32 v62, v42
	v_min_u32_e32 v64, 32, v62
	v_subrev_u32_e32 v62, 28, v64
	v_lshlrev_b64 v[62:63], v62, v[40:41]
	v_lshrrev_b32_e32 v61, 3, v38
	v_sub_u32_e32 v63, 29, v64
	v_and_b32_e32 v62, 7, v62
	v_cmp_gt_u32_e32 vcc, 8, v38
	v_cndmask_b32_e32 v38, v61, v63, vcc
	v_cndmask_b32_e32 v42, v42, v62, vcc
	v_lshlrev_b32_e32 v40, 24, v40
	v_lshlrev_b32_e32 v42, 20, v42
	v_and_b32_e32 v40, 0x80000000, v40
	v_lshl_add_u32 v38, v38, 23, v55
	v_or3_b32 v61, v40, v38, v42
.LBB615_501:                            ;   in Loop: Header=BB615_215 Depth=1
	s_or_b64 exec, exec, s[16:17]
.LBB615_502:                            ;   in Loop: Header=BB615_215 Depth=1
	s_or_b64 exec, exec, s[14:15]
.LBB615_503:                            ;   in Loop: Header=BB615_215 Depth=1
	s_or_b64 exec, exec, s[12:13]
	v_cvt_pkrtz_f16_f32 v63, v44, v58
	buffer_load_dword v44, v50, s[0:3], 0 offen
	buffer_load_dword v42, v50, s[0:3], 0 offen offset:4
	buffer_load_dword v40, v50, s[0:3], 0 offen offset:8
	;; [unrolled: 1-line block ×3, first 2 shown]
	v_cvt_pkrtz_f16_f32 v62, v46, v56
	v_cvt_pkrtz_f16_f32 v56, v57, v60
	;; [unrolled: 1-line block ×3, first 2 shown]
	v_mfma_f32_16x16x16f16 v[34:37], v[62:63], v[22:23], v[34:37]
	s_waitcnt vmcnt(3)
	v_cmp_ne_u16_sdwa s[14:15], v44, v54 src0_sel:BYTE_0 src1_sel:DWORD
	v_mfma_f32_16x16x16f16 v[34:37], v[56:57], v[24:25], v[34:37]
	s_and_saveexec_b64 s[12:13], s[14:15]
	s_cbranch_execz .LBB615_509
; %bb.504:                              ;   in Loop: Header=BB615_215 Depth=1
	v_cmp_ne_u16_sdwa s[16:17], v44, s9 src0_sel:BYTE_0 src1_sel:DWORD
	v_bfrev_b32_e32 v51, 1
	s_and_saveexec_b64 s[14:15], s[16:17]
	s_cbranch_execz .LBB615_508
; %bb.505:                              ;   in Loop: Header=BB615_215 Depth=1
	v_and_b32_e32 v46, 0x7f, v44
	v_cmp_ne_u32_e32 vcc, s19, v46
	v_mov_b32_e32 v51, 0x7f800001
	s_and_saveexec_b64 s[16:17], vcc
	s_cbranch_execz .LBB615_507
; %bb.506:                              ;   in Loop: Header=BB615_215 Depth=1
	v_and_b32_e32 v56, 7, v44
	v_ffbh_u32_e32 v50, v56
	v_min_u32_e32 v58, 32, v50
	v_subrev_u32_e32 v50, 28, v58
	v_lshlrev_b64 v[50:51], v50, v[44:45]
	v_lshrrev_b32_e32 v57, 3, v46
	v_sub_u32_e32 v51, 29, v58
	v_and_b32_e32 v50, 7, v50
	v_cmp_gt_u32_e32 vcc, 8, v46
	v_cndmask_b32_e32 v46, v57, v51, vcc
	v_cndmask_b32_e32 v50, v56, v50, vcc
	v_lshlrev_b32_e32 v51, 24, v44
	v_lshlrev_b32_e32 v50, 20, v50
	v_and_b32_e32 v51, 0x80000000, v51
	v_lshl_add_u32 v46, v46, 23, v55
	v_or3_b32 v51, v51, v46, v50
.LBB615_507:                            ;   in Loop: Header=BB615_215 Depth=1
	s_or_b64 exec, exec, s[16:17]
.LBB615_508:                            ;   in Loop: Header=BB615_215 Depth=1
	s_or_b64 exec, exec, s[14:15]
.LBB615_509:                            ;   in Loop: Header=BB615_215 Depth=1
	s_or_b64 exec, exec, s[12:13]
	v_lshrrev_b16_e32 v46, 8, v44
	v_cmp_ne_u16_e32 vcc, 0, v46
	v_mov_b32_e32 v50, 0
	v_mov_b32_e32 v56, 0
	s_and_saveexec_b64 s[12:13], vcc
	s_cbranch_execz .LBB615_515
; %bb.510:                              ;   in Loop: Header=BB615_215 Depth=1
	v_cmp_ne_u16_e32 vcc, s9, v46
	v_bfrev_b32_e32 v56, 1
	s_and_saveexec_b64 s[14:15], vcc
	s_cbranch_execz .LBB615_514
; %bb.511:                              ;   in Loop: Header=BB615_215 Depth=1
	v_and_b32_e32 v57, 0x7f, v46
	v_cmp_ne_u32_e32 vcc, s19, v57
	v_mov_b32_e32 v56, 0x7f800001
	s_and_saveexec_b64 s[16:17], vcc
	s_cbranch_execz .LBB615_513
; %bb.512:                              ;   in Loop: Header=BB615_215 Depth=1
	v_and_b32_e32 v56, 7, v46
	v_ffbh_u32_e32 v58, v56
	v_min_u32_e32 v61, 32, v58
	v_subrev_u32_e32 v58, 28, v61
	v_lshlrev_b64 v[58:59], v58, v[46:47]
	v_lshrrev_b32_e32 v60, 3, v57
	v_sub_u32_e32 v46, 29, v61
	v_and_b32_e32 v58, 7, v58
	v_cmp_gt_u32_e32 vcc, 8, v57
	v_cndmask_b32_e32 v46, v60, v46, vcc
	v_cndmask_b32_e32 v56, v56, v58, vcc
	v_lshlrev_b32_e32 v57, 16, v44
	v_lshlrev_b32_e32 v56, 20, v56
	v_and_b32_e32 v57, 0x80000000, v57
	v_lshl_add_u32 v46, v46, 23, v55
	v_or3_b32 v56, v57, v46, v56
.LBB615_513:                            ;   in Loop: Header=BB615_215 Depth=1
	s_or_b64 exec, exec, s[16:17]
.LBB615_514:                            ;   in Loop: Header=BB615_215 Depth=1
	s_or_b64 exec, exec, s[14:15]
.LBB615_515:                            ;   in Loop: Header=BB615_215 Depth=1
	s_or_b64 exec, exec, s[12:13]
	v_lshrrev_b32_e32 v46, 16, v44
	v_cmp_ne_u16_sdwa s[14:15], v46, v54 src0_sel:BYTE_0 src1_sel:DWORD
	s_and_saveexec_b64 s[12:13], s[14:15]
	s_cbranch_execz .LBB615_521
; %bb.516:                              ;   in Loop: Header=BB615_215 Depth=1
	v_cmp_ne_u16_sdwa s[16:17], v46, s9 src0_sel:BYTE_0 src1_sel:DWORD
	v_bfrev_b32_e32 v50, 1
	s_and_saveexec_b64 s[14:15], s[16:17]
	s_cbranch_execz .LBB615_520
; %bb.517:                              ;   in Loop: Header=BB615_215 Depth=1
	v_bfe_u32 v57, v44, 16, 7
	v_cmp_ne_u32_e32 vcc, s19, v57
	v_mov_b32_e32 v50, 0x7f800001
	s_and_saveexec_b64 s[16:17], vcc
	s_cbranch_execz .LBB615_519
; %bb.518:                              ;   in Loop: Header=BB615_215 Depth=1
	v_and_b32_e32 v50, 7, v46
	v_ffbh_u32_e32 v58, v50
	v_min_u32_e32 v61, 32, v58
	v_subrev_u32_e32 v58, 28, v61
	v_lshlrev_b64 v[58:59], v58, v[46:47]
	v_lshrrev_b32_e32 v60, 3, v57
	v_sub_u32_e32 v59, 29, v61
	v_and_b32_e32 v58, 7, v58
	v_cmp_gt_u32_e32 vcc, 8, v57
	v_cndmask_b32_e32 v57, v60, v59, vcc
	v_cndmask_b32_e32 v50, v50, v58, vcc
	v_lshlrev_b32_e32 v46, 24, v46
	v_lshlrev_b32_e32 v50, 20, v50
	v_and_b32_e32 v46, 0x80000000, v46
	v_lshl_add_u32 v57, v57, 23, v55
	v_or3_b32 v50, v46, v57, v50
.LBB615_519:                            ;   in Loop: Header=BB615_215 Depth=1
	s_or_b64 exec, exec, s[16:17]
.LBB615_520:                            ;   in Loop: Header=BB615_215 Depth=1
	s_or_b64 exec, exec, s[14:15]
.LBB615_521:                            ;   in Loop: Header=BB615_215 Depth=1
	s_or_b64 exec, exec, s[12:13]
	v_cmp_lt_u32_e32 vcc, s20, v44
	v_mov_b32_e32 v57, 0
	v_mov_b32_e32 v58, 0
	s_and_saveexec_b64 s[12:13], vcc
	s_cbranch_execz .LBB615_527
; %bb.522:                              ;   in Loop: Header=BB615_215 Depth=1
	v_lshrrev_b32_e32 v46, 24, v44
	v_cmp_ne_u32_e32 vcc, s9, v46
	v_bfrev_b32_e32 v58, 1
	s_and_saveexec_b64 s[14:15], vcc
	s_cbranch_execz .LBB615_526
; %bb.523:                              ;   in Loop: Header=BB615_215 Depth=1
	v_bfe_u32 v44, v44, 24, 7
	v_cmp_ne_u32_e32 vcc, s19, v44
	v_mov_b32_e32 v58, 0x7f800001
	s_and_saveexec_b64 s[16:17], vcc
	s_cbranch_execz .LBB615_525
; %bb.524:                              ;   in Loop: Header=BB615_215 Depth=1
	v_and_b32_e32 v60, 7, v46
	v_ffbh_u32_e32 v58, v60
	v_min_u32_e32 v62, 32, v58
	v_subrev_u32_e32 v58, 28, v62
	v_lshlrev_b64 v[58:59], v58, v[46:47]
	v_lshrrev_b32_e32 v61, 3, v44
	v_sub_u32_e32 v59, 29, v62
	v_and_b32_e32 v58, 7, v58
	v_cmp_gt_u32_e32 vcc, 8, v44
	v_cndmask_b32_e32 v44, v61, v59, vcc
	v_cndmask_b32_e32 v58, v60, v58, vcc
	v_lshlrev_b32_e32 v46, 24, v46
	v_lshlrev_b32_e32 v58, 20, v58
	v_and_b32_e32 v46, 0x80000000, v46
	v_lshl_add_u32 v44, v44, 23, v55
	v_or3_b32 v58, v46, v44, v58
.LBB615_525:                            ;   in Loop: Header=BB615_215 Depth=1
	s_or_b64 exec, exec, s[16:17]
.LBB615_526:                            ;   in Loop: Header=BB615_215 Depth=1
	s_or_b64 exec, exec, s[14:15]
.LBB615_527:                            ;   in Loop: Header=BB615_215 Depth=1
	s_or_b64 exec, exec, s[12:13]
	s_waitcnt vmcnt(2)
	v_cmp_ne_u16_sdwa s[14:15], v42, v54 src0_sel:BYTE_0 src1_sel:DWORD
	s_and_saveexec_b64 s[12:13], s[14:15]
	s_cbranch_execz .LBB615_533
; %bb.528:                              ;   in Loop: Header=BB615_215 Depth=1
	v_cmp_ne_u16_sdwa s[16:17], v42, s9 src0_sel:BYTE_0 src1_sel:DWORD
	v_bfrev_b32_e32 v57, 1
	s_and_saveexec_b64 s[14:15], s[16:17]
	s_cbranch_execz .LBB615_532
; %bb.529:                              ;   in Loop: Header=BB615_215 Depth=1
	v_and_b32_e32 v44, 0x7f, v42
	v_cmp_ne_u32_e32 vcc, s19, v44
	v_mov_b32_e32 v57, 0x7f800001
	s_and_saveexec_b64 s[16:17], vcc
	s_cbranch_execz .LBB615_531
; %bb.530:                              ;   in Loop: Header=BB615_215 Depth=1
	v_and_b32_e32 v46, 7, v42
	v_ffbh_u32_e32 v59, v46
	v_min_u32_e32 v59, 32, v59
	v_subrev_u32_e32 v60, 28, v59
	v_lshlrev_b64 v[60:61], v60, v[42:43]
	v_lshrrev_b32_e32 v57, 3, v44
	v_sub_u32_e32 v59, 29, v59
	v_and_b32_e32 v60, 7, v60
	v_cmp_gt_u32_e32 vcc, 8, v44
	v_cndmask_b32_e32 v44, v57, v59, vcc
	v_cndmask_b32_e32 v46, v46, v60, vcc
	v_lshlrev_b32_e32 v57, 24, v42
	v_lshlrev_b32_e32 v46, 20, v46
	v_and_b32_e32 v57, 0x80000000, v57
	v_lshl_add_u32 v44, v44, 23, v55
	v_or3_b32 v57, v57, v44, v46
.LBB615_531:                            ;   in Loop: Header=BB615_215 Depth=1
	s_or_b64 exec, exec, s[16:17]
.LBB615_532:                            ;   in Loop: Header=BB615_215 Depth=1
	s_or_b64 exec, exec, s[14:15]
.LBB615_533:                            ;   in Loop: Header=BB615_215 Depth=1
	s_or_b64 exec, exec, s[12:13]
	v_lshrrev_b16_e32 v44, 8, v42
	v_cmp_ne_u16_e32 vcc, 0, v44
	v_mov_b32_e32 v59, 0
	v_mov_b32_e32 v60, 0
	s_and_saveexec_b64 s[12:13], vcc
	s_cbranch_execz .LBB615_539
; %bb.534:                              ;   in Loop: Header=BB615_215 Depth=1
	v_cmp_ne_u16_e32 vcc, s9, v44
	v_bfrev_b32_e32 v60, 1
	s_and_saveexec_b64 s[14:15], vcc
	s_cbranch_execz .LBB615_538
; %bb.535:                              ;   in Loop: Header=BB615_215 Depth=1
	v_and_b32_e32 v46, 0x7f, v44
	v_cmp_ne_u32_e32 vcc, s19, v46
	v_mov_b32_e32 v60, 0x7f800001
	s_and_saveexec_b64 s[16:17], vcc
	s_cbranch_execz .LBB615_537
; %bb.536:                              ;   in Loop: Header=BB615_215 Depth=1
	v_and_b32_e32 v62, 7, v44
	v_ffbh_u32_e32 v60, v62
	v_min_u32_e32 v64, 32, v60
	v_subrev_u32_e32 v60, 28, v64
	v_lshlrev_b64 v[60:61], v60, v[44:45]
	v_lshrrev_b32_e32 v63, 3, v46
	v_sub_u32_e32 v44, 29, v64
	v_and_b32_e32 v60, 7, v60
	v_cmp_gt_u32_e32 vcc, 8, v46
	v_cndmask_b32_e32 v44, v63, v44, vcc
	v_cndmask_b32_e32 v46, v62, v60, vcc
	v_lshlrev_b32_e32 v60, 16, v42
	v_lshlrev_b32_e32 v46, 20, v46
	v_and_b32_e32 v60, 0x80000000, v60
	v_lshl_add_u32 v44, v44, 23, v55
	v_or3_b32 v60, v60, v44, v46
.LBB615_537:                            ;   in Loop: Header=BB615_215 Depth=1
	s_or_b64 exec, exec, s[16:17]
.LBB615_538:                            ;   in Loop: Header=BB615_215 Depth=1
	s_or_b64 exec, exec, s[14:15]
.LBB615_539:                            ;   in Loop: Header=BB615_215 Depth=1
	s_or_b64 exec, exec, s[12:13]
	v_lshrrev_b32_e32 v44, 16, v42
	v_cmp_ne_u16_sdwa s[14:15], v44, v54 src0_sel:BYTE_0 src1_sel:DWORD
	s_and_saveexec_b64 s[12:13], s[14:15]
	s_cbranch_execz .LBB615_545
; %bb.540:                              ;   in Loop: Header=BB615_215 Depth=1
	v_cmp_ne_u16_sdwa s[16:17], v44, s9 src0_sel:BYTE_0 src1_sel:DWORD
	v_bfrev_b32_e32 v59, 1
	s_and_saveexec_b64 s[14:15], s[16:17]
	s_cbranch_execz .LBB615_544
; %bb.541:                              ;   in Loop: Header=BB615_215 Depth=1
	v_bfe_u32 v46, v42, 16, 7
	v_cmp_ne_u32_e32 vcc, s19, v46
	v_mov_b32_e32 v59, 0x7f800001
	s_and_saveexec_b64 s[16:17], vcc
	s_cbranch_execz .LBB615_543
; %bb.542:                              ;   in Loop: Header=BB615_215 Depth=1
	v_and_b32_e32 v59, 7, v44
	v_ffbh_u32_e32 v62, v59
	v_min_u32_e32 v64, 32, v62
	v_subrev_u32_e32 v62, 28, v64
	v_lshlrev_b64 v[62:63], v62, v[44:45]
	v_lshrrev_b32_e32 v61, 3, v46
	v_sub_u32_e32 v63, 29, v64
	v_and_b32_e32 v62, 7, v62
	v_cmp_gt_u32_e32 vcc, 8, v46
	v_cndmask_b32_e32 v46, v61, v63, vcc
	v_cndmask_b32_e32 v59, v59, v62, vcc
	v_lshlrev_b32_e32 v44, 24, v44
	v_lshlrev_b32_e32 v59, 20, v59
	v_and_b32_e32 v44, 0x80000000, v44
	v_lshl_add_u32 v46, v46, 23, v55
	v_or3_b32 v59, v44, v46, v59
.LBB615_543:                            ;   in Loop: Header=BB615_215 Depth=1
	s_or_b64 exec, exec, s[16:17]
.LBB615_544:                            ;   in Loop: Header=BB615_215 Depth=1
	s_or_b64 exec, exec, s[14:15]
.LBB615_545:                            ;   in Loop: Header=BB615_215 Depth=1
	s_or_b64 exec, exec, s[12:13]
	v_cmp_lt_u32_e32 vcc, s20, v42
	v_mov_b32_e32 v46, 0
	v_mov_b32_e32 v61, 0
	s_and_saveexec_b64 s[12:13], vcc
	s_cbranch_execz .LBB615_551
; %bb.546:                              ;   in Loop: Header=BB615_215 Depth=1
	v_lshrrev_b32_e32 v44, 24, v42
	v_cmp_ne_u32_e32 vcc, s9, v44
	v_bfrev_b32_e32 v61, 1
	s_and_saveexec_b64 s[14:15], vcc
	s_cbranch_execz .LBB615_550
; %bb.547:                              ;   in Loop: Header=BB615_215 Depth=1
	v_bfe_u32 v42, v42, 24, 7
	v_cmp_ne_u32_e32 vcc, s19, v42
	v_mov_b32_e32 v61, 0x7f800001
	s_and_saveexec_b64 s[16:17], vcc
	s_cbranch_execz .LBB615_549
; %bb.548:                              ;   in Loop: Header=BB615_215 Depth=1
	v_and_b32_e32 v61, 7, v44
	v_ffbh_u32_e32 v62, v61
	v_min_u32_e32 v65, 32, v62
	v_subrev_u32_e32 v62, 28, v65
	v_lshlrev_b64 v[62:63], v62, v[44:45]
	v_lshrrev_b32_e32 v64, 3, v42
	v_sub_u32_e32 v63, 29, v65
	v_and_b32_e32 v62, 7, v62
	v_cmp_gt_u32_e32 vcc, 8, v42
	v_cndmask_b32_e32 v42, v64, v63, vcc
	v_cndmask_b32_e32 v61, v61, v62, vcc
	v_lshlrev_b32_e32 v44, 24, v44
	v_lshlrev_b32_e32 v61, 20, v61
	v_and_b32_e32 v44, 0x80000000, v44
	v_lshl_add_u32 v42, v42, 23, v55
	v_or3_b32 v61, v44, v42, v61
.LBB615_549:                            ;   in Loop: Header=BB615_215 Depth=1
	s_or_b64 exec, exec, s[16:17]
.LBB615_550:                            ;   in Loop: Header=BB615_215 Depth=1
	s_or_b64 exec, exec, s[14:15]
.LBB615_551:                            ;   in Loop: Header=BB615_215 Depth=1
	s_or_b64 exec, exec, s[12:13]
	v_cvt_pkrtz_f16_f32 v62, v51, v56
	v_cvt_pkrtz_f16_f32 v63, v50, v58
	;; [unrolled: 1-line block ×4, first 2 shown]
	s_waitcnt vmcnt(1)
	v_cmp_ne_u16_sdwa s[14:15], v40, v54 src0_sel:BYTE_0 src1_sel:DWORD
	v_mfma_f32_16x16x16f16 v[34:37], v[62:63], v[26:27], v[34:37]
	v_mfma_f32_16x16x16f16 v[34:37], v[50:51], v[28:29], v[34:37]
	s_and_saveexec_b64 s[12:13], s[14:15]
	s_cbranch_execz .LBB615_557
; %bb.552:                              ;   in Loop: Header=BB615_215 Depth=1
	v_cmp_ne_u16_sdwa s[16:17], v40, s9 src0_sel:BYTE_0 src1_sel:DWORD
	v_bfrev_b32_e32 v46, 1
	s_and_saveexec_b64 s[14:15], s[16:17]
	s_cbranch_execz .LBB615_556
; %bb.553:                              ;   in Loop: Header=BB615_215 Depth=1
	v_and_b32_e32 v42, 0x7f, v40
	v_cmp_ne_u32_e32 vcc, s19, v42
	v_mov_b32_e32 v46, 0x7f800001
	s_and_saveexec_b64 s[16:17], vcc
	s_cbranch_execz .LBB615_555
; %bb.554:                              ;   in Loop: Header=BB615_215 Depth=1
	v_and_b32_e32 v44, 7, v40
	v_ffbh_u32_e32 v50, v44
	v_min_u32_e32 v56, 32, v50
	v_subrev_u32_e32 v50, 28, v56
	v_lshlrev_b64 v[50:51], v50, v[40:41]
	v_lshrrev_b32_e32 v46, 3, v42
	v_sub_u32_e32 v51, 29, v56
	v_and_b32_e32 v50, 7, v50
	v_cmp_gt_u32_e32 vcc, 8, v42
	v_cndmask_b32_e32 v42, v46, v51, vcc
	v_cndmask_b32_e32 v44, v44, v50, vcc
	v_lshlrev_b32_e32 v46, 24, v40
	v_lshlrev_b32_e32 v44, 20, v44
	v_and_b32_e32 v46, 0x80000000, v46
	v_lshl_add_u32 v42, v42, 23, v55
	v_or3_b32 v46, v46, v42, v44
.LBB615_555:                            ;   in Loop: Header=BB615_215 Depth=1
	s_or_b64 exec, exec, s[16:17]
.LBB615_556:                            ;   in Loop: Header=BB615_215 Depth=1
	s_or_b64 exec, exec, s[14:15]
.LBB615_557:                            ;   in Loop: Header=BB615_215 Depth=1
	s_or_b64 exec, exec, s[12:13]
	v_lshrrev_b16_e32 v42, 8, v40
	v_cmp_ne_u16_e32 vcc, 0, v42
	v_mov_b32_e32 v44, 0
	v_mov_b32_e32 v50, 0
	s_and_saveexec_b64 s[12:13], vcc
	s_cbranch_execz .LBB615_563
; %bb.558:                              ;   in Loop: Header=BB615_215 Depth=1
	v_cmp_ne_u16_e32 vcc, s9, v42
	v_bfrev_b32_e32 v50, 1
	s_and_saveexec_b64 s[14:15], vcc
	s_cbranch_execz .LBB615_562
; %bb.559:                              ;   in Loop: Header=BB615_215 Depth=1
	v_and_b32_e32 v51, 0x7f, v42
	v_cmp_ne_u32_e32 vcc, s19, v51
	v_mov_b32_e32 v50, 0x7f800001
	s_and_saveexec_b64 s[16:17], vcc
	s_cbranch_execz .LBB615_561
; %bb.560:                              ;   in Loop: Header=BB615_215 Depth=1
	v_and_b32_e32 v50, 7, v42
	v_ffbh_u32_e32 v56, v50
	v_min_u32_e32 v59, 32, v56
	v_subrev_u32_e32 v56, 28, v59
	v_lshlrev_b64 v[56:57], v56, v[42:43]
	v_lshrrev_b32_e32 v58, 3, v51
	v_sub_u32_e32 v42, 29, v59
	v_and_b32_e32 v56, 7, v56
	v_cmp_gt_u32_e32 vcc, 8, v51
	v_cndmask_b32_e32 v42, v58, v42, vcc
	v_cndmask_b32_e32 v50, v50, v56, vcc
	v_lshlrev_b32_e32 v51, 16, v40
	v_lshlrev_b32_e32 v50, 20, v50
	v_and_b32_e32 v51, 0x80000000, v51
	v_lshl_add_u32 v42, v42, 23, v55
	v_or3_b32 v50, v51, v42, v50
.LBB615_561:                            ;   in Loop: Header=BB615_215 Depth=1
	s_or_b64 exec, exec, s[16:17]
.LBB615_562:                            ;   in Loop: Header=BB615_215 Depth=1
	s_or_b64 exec, exec, s[14:15]
.LBB615_563:                            ;   in Loop: Header=BB615_215 Depth=1
	s_or_b64 exec, exec, s[12:13]
	v_lshrrev_b32_e32 v42, 16, v40
	v_cmp_ne_u16_sdwa s[14:15], v42, v54 src0_sel:BYTE_0 src1_sel:DWORD
	s_and_saveexec_b64 s[12:13], s[14:15]
	s_cbranch_execz .LBB615_569
; %bb.564:                              ;   in Loop: Header=BB615_215 Depth=1
	v_cmp_ne_u16_sdwa s[16:17], v42, s9 src0_sel:BYTE_0 src1_sel:DWORD
	v_bfrev_b32_e32 v44, 1
	s_and_saveexec_b64 s[14:15], s[16:17]
	s_cbranch_execz .LBB615_568
; %bb.565:                              ;   in Loop: Header=BB615_215 Depth=1
	v_bfe_u32 v51, v40, 16, 7
	v_cmp_ne_u32_e32 vcc, s19, v51
	v_mov_b32_e32 v44, 0x7f800001
	s_and_saveexec_b64 s[16:17], vcc
	s_cbranch_execz .LBB615_567
; %bb.566:                              ;   in Loop: Header=BB615_215 Depth=1
	v_and_b32_e32 v44, 7, v42
	v_ffbh_u32_e32 v56, v44
	v_min_u32_e32 v59, 32, v56
	v_subrev_u32_e32 v56, 28, v59
	v_lshlrev_b64 v[56:57], v56, v[42:43]
	v_lshrrev_b32_e32 v58, 3, v51
	v_sub_u32_e32 v57, 29, v59
	v_and_b32_e32 v56, 7, v56
	v_cmp_gt_u32_e32 vcc, 8, v51
	v_cndmask_b32_e32 v51, v58, v57, vcc
	v_cndmask_b32_e32 v44, v44, v56, vcc
	v_lshlrev_b32_e32 v42, 24, v42
	v_lshlrev_b32_e32 v44, 20, v44
	v_and_b32_e32 v42, 0x80000000, v42
	v_lshl_add_u32 v51, v51, 23, v55
	v_or3_b32 v44, v42, v51, v44
.LBB615_567:                            ;   in Loop: Header=BB615_215 Depth=1
	s_or_b64 exec, exec, s[16:17]
.LBB615_568:                            ;   in Loop: Header=BB615_215 Depth=1
	s_or_b64 exec, exec, s[14:15]
.LBB615_569:                            ;   in Loop: Header=BB615_215 Depth=1
	s_or_b64 exec, exec, s[12:13]
	v_cmp_lt_u32_e32 vcc, s20, v40
	v_mov_b32_e32 v51, 0
	v_mov_b32_e32 v56, 0
	s_and_saveexec_b64 s[12:13], vcc
	s_cbranch_execz .LBB615_575
; %bb.570:                              ;   in Loop: Header=BB615_215 Depth=1
	v_lshrrev_b32_e32 v42, 24, v40
	v_cmp_ne_u32_e32 vcc, s9, v42
	v_bfrev_b32_e32 v56, 1
	s_and_saveexec_b64 s[14:15], vcc
	s_cbranch_execz .LBB615_574
; %bb.571:                              ;   in Loop: Header=BB615_215 Depth=1
	v_bfe_u32 v40, v40, 24, 7
	v_cmp_ne_u32_e32 vcc, s19, v40
	v_mov_b32_e32 v56, 0x7f800001
	s_and_saveexec_b64 s[16:17], vcc
	s_cbranch_execz .LBB615_573
; %bb.572:                              ;   in Loop: Header=BB615_215 Depth=1
	v_and_b32_e32 v58, 7, v42
	v_ffbh_u32_e32 v56, v58
	v_min_u32_e32 v60, 32, v56
	v_subrev_u32_e32 v56, 28, v60
	v_lshlrev_b64 v[56:57], v56, v[42:43]
	v_lshrrev_b32_e32 v59, 3, v40
	v_sub_u32_e32 v57, 29, v60
	v_and_b32_e32 v56, 7, v56
	v_cmp_gt_u32_e32 vcc, 8, v40
	v_cndmask_b32_e32 v40, v59, v57, vcc
	v_cndmask_b32_e32 v56, v58, v56, vcc
	v_lshlrev_b32_e32 v42, 24, v42
	v_lshlrev_b32_e32 v56, 20, v56
	v_and_b32_e32 v42, 0x80000000, v42
	v_lshl_add_u32 v40, v40, 23, v55
	v_or3_b32 v56, v42, v40, v56
.LBB615_573:                            ;   in Loop: Header=BB615_215 Depth=1
	s_or_b64 exec, exec, s[16:17]
.LBB615_574:                            ;   in Loop: Header=BB615_215 Depth=1
	s_or_b64 exec, exec, s[14:15]
.LBB615_575:                            ;   in Loop: Header=BB615_215 Depth=1
	s_or_b64 exec, exec, s[12:13]
	s_waitcnt vmcnt(0)
	v_cmp_ne_u16_sdwa s[14:15], v38, v54 src0_sel:BYTE_0 src1_sel:DWORD
	s_and_saveexec_b64 s[12:13], s[14:15]
	s_cbranch_execz .LBB615_581
; %bb.576:                              ;   in Loop: Header=BB615_215 Depth=1
	v_cmp_ne_u16_sdwa s[16:17], v38, s9 src0_sel:BYTE_0 src1_sel:DWORD
	v_bfrev_b32_e32 v51, 1
	s_and_saveexec_b64 s[14:15], s[16:17]
	s_cbranch_execz .LBB615_580
; %bb.577:                              ;   in Loop: Header=BB615_215 Depth=1
	v_and_b32_e32 v40, 0x7f, v38
	v_cmp_ne_u32_e32 vcc, s19, v40
	v_mov_b32_e32 v51, 0x7f800001
	s_and_saveexec_b64 s[16:17], vcc
	s_cbranch_execz .LBB615_579
; %bb.578:                              ;   in Loop: Header=BB615_215 Depth=1
	v_and_b32_e32 v42, 7, v38
	v_ffbh_u32_e32 v57, v42
	v_min_u32_e32 v57, 32, v57
	v_subrev_u32_e32 v58, 28, v57
	v_lshlrev_b64 v[58:59], v58, v[38:39]
	v_lshrrev_b32_e32 v51, 3, v40
	v_sub_u32_e32 v57, 29, v57
	v_and_b32_e32 v58, 7, v58
	v_cmp_gt_u32_e32 vcc, 8, v40
	v_cndmask_b32_e32 v40, v51, v57, vcc
	v_cndmask_b32_e32 v42, v42, v58, vcc
	v_lshlrev_b32_e32 v51, 24, v38
	v_lshlrev_b32_e32 v42, 20, v42
	v_and_b32_e32 v51, 0x80000000, v51
	v_lshl_add_u32 v40, v40, 23, v55
	v_or3_b32 v51, v51, v40, v42
.LBB615_579:                            ;   in Loop: Header=BB615_215 Depth=1
	s_or_b64 exec, exec, s[16:17]
.LBB615_580:                            ;   in Loop: Header=BB615_215 Depth=1
	s_or_b64 exec, exec, s[14:15]
.LBB615_581:                            ;   in Loop: Header=BB615_215 Depth=1
	s_or_b64 exec, exec, s[12:13]
	v_lshrrev_b16_e32 v40, 8, v38
	v_cmp_ne_u16_e32 vcc, 0, v40
	v_mov_b32_e32 v42, 0
	v_mov_b32_e32 v57, 0
	s_and_saveexec_b64 s[12:13], vcc
	s_cbranch_execz .LBB615_587
; %bb.582:                              ;   in Loop: Header=BB615_215 Depth=1
	v_cmp_ne_u16_e32 vcc, s9, v40
	v_bfrev_b32_e32 v57, 1
	s_and_saveexec_b64 s[14:15], vcc
	s_cbranch_execz .LBB615_586
; %bb.583:                              ;   in Loop: Header=BB615_215 Depth=1
	v_and_b32_e32 v58, 0x7f, v40
	v_cmp_ne_u32_e32 vcc, s19, v58
	v_mov_b32_e32 v57, 0x7f800001
	s_and_saveexec_b64 s[16:17], vcc
	s_cbranch_execz .LBB615_585
; %bb.584:                              ;   in Loop: Header=BB615_215 Depth=1
	v_and_b32_e32 v57, 7, v40
	v_ffbh_u32_e32 v60, v57
	v_min_u32_e32 v62, 32, v60
	v_subrev_u32_e32 v60, 28, v62
	v_lshlrev_b64 v[60:61], v60, v[40:41]
	v_lshrrev_b32_e32 v59, 3, v58
	v_sub_u32_e32 v40, 29, v62
	v_and_b32_e32 v60, 7, v60
	v_cmp_gt_u32_e32 vcc, 8, v58
	v_cndmask_b32_e32 v40, v59, v40, vcc
	v_cndmask_b32_e32 v57, v57, v60, vcc
	v_lshlrev_b32_e32 v58, 16, v38
	v_lshlrev_b32_e32 v57, 20, v57
	v_and_b32_e32 v58, 0x80000000, v58
	v_lshl_add_u32 v40, v40, 23, v55
	v_or3_b32 v57, v58, v40, v57
.LBB615_585:                            ;   in Loop: Header=BB615_215 Depth=1
	s_or_b64 exec, exec, s[16:17]
.LBB615_586:                            ;   in Loop: Header=BB615_215 Depth=1
	s_or_b64 exec, exec, s[14:15]
.LBB615_587:                            ;   in Loop: Header=BB615_215 Depth=1
	s_or_b64 exec, exec, s[12:13]
	v_lshrrev_b32_e32 v40, 16, v38
	v_cmp_ne_u16_sdwa s[14:15], v40, v54 src0_sel:BYTE_0 src1_sel:DWORD
	s_and_saveexec_b64 s[12:13], s[14:15]
	s_cbranch_execz .LBB615_593
; %bb.588:                              ;   in Loop: Header=BB615_215 Depth=1
	v_cmp_ne_u16_sdwa s[16:17], v40, s9 src0_sel:BYTE_0 src1_sel:DWORD
	v_bfrev_b32_e32 v42, 1
	s_and_saveexec_b64 s[14:15], s[16:17]
	s_cbranch_execz .LBB615_592
; %bb.589:                              ;   in Loop: Header=BB615_215 Depth=1
	v_bfe_u32 v58, v38, 16, 7
	v_cmp_ne_u32_e32 vcc, s19, v58
	v_mov_b32_e32 v42, 0x7f800001
	s_and_saveexec_b64 s[16:17], vcc
	s_cbranch_execz .LBB615_591
; %bb.590:                              ;   in Loop: Header=BB615_215 Depth=1
	v_and_b32_e32 v42, 7, v40
	v_ffbh_u32_e32 v60, v42
	v_min_u32_e32 v62, 32, v60
	v_subrev_u32_e32 v60, 28, v62
	v_lshlrev_b64 v[60:61], v60, v[40:41]
	v_lshrrev_b32_e32 v59, 3, v58
	v_sub_u32_e32 v61, 29, v62
	v_and_b32_e32 v60, 7, v60
	v_cmp_gt_u32_e32 vcc, 8, v58
	v_cndmask_b32_e32 v58, v59, v61, vcc
	v_cndmask_b32_e32 v42, v42, v60, vcc
	v_lshlrev_b32_e32 v40, 24, v40
	v_lshlrev_b32_e32 v42, 20, v42
	v_and_b32_e32 v40, 0x80000000, v40
	v_lshl_add_u32 v58, v58, 23, v55
	v_or3_b32 v42, v40, v58, v42
.LBB615_591:                            ;   in Loop: Header=BB615_215 Depth=1
	s_or_b64 exec, exec, s[16:17]
.LBB615_592:                            ;   in Loop: Header=BB615_215 Depth=1
	s_or_b64 exec, exec, s[14:15]
.LBB615_593:                            ;   in Loop: Header=BB615_215 Depth=1
	s_or_b64 exec, exec, s[12:13]
	v_cmp_lt_u32_e32 vcc, s20, v38
	v_mov_b32_e32 v58, 0
	s_and_saveexec_b64 s[12:13], vcc
	s_cbranch_execz .LBB615_214
; %bb.594:                              ;   in Loop: Header=BB615_215 Depth=1
	v_lshrrev_b32_e32 v40, 24, v38
	v_cmp_ne_u32_e32 vcc, s9, v40
	v_bfrev_b32_e32 v58, 1
	s_and_saveexec_b64 s[14:15], vcc
	s_cbranch_execz .LBB615_213
; %bb.595:                              ;   in Loop: Header=BB615_215 Depth=1
	v_bfe_u32 v38, v38, 24, 7
	v_cmp_ne_u32_e32 vcc, s19, v38
	v_mov_b32_e32 v58, 0x7f800001
	s_and_saveexec_b64 s[16:17], vcc
	s_cbranch_execz .LBB615_212
; %bb.596:                              ;   in Loop: Header=BB615_215 Depth=1
	v_and_b32_e32 v60, 7, v40
	v_ffbh_u32_e32 v58, v60
	v_min_u32_e32 v62, 32, v58
	v_subrev_u32_e32 v58, 28, v62
	v_lshlrev_b64 v[58:59], v58, v[40:41]
	v_lshrrev_b32_e32 v61, 3, v38
	v_sub_u32_e32 v59, 29, v62
	v_and_b32_e32 v58, 7, v58
	v_cmp_gt_u32_e32 vcc, 8, v38
	v_cndmask_b32_e32 v38, v61, v59, vcc
	v_cndmask_b32_e32 v58, v60, v58, vcc
	v_lshlrev_b32_e32 v40, 24, v40
	v_lshlrev_b32_e32 v58, 20, v58
	v_and_b32_e32 v40, 0x80000000, v40
	v_lshl_add_u32 v38, v38, 23, v55
	v_or3_b32 v58, v40, v38, v58
	s_branch .LBB615_212
.LBB615_597:
	s_barrier
	buffer_load_dword v2, off, s[0:3], 0 offset:320
	buffer_load_dword v5, off, s[0:3], 0 offset:332
	;; [unrolled: 1-line block ×4, first 2 shown]
	v_cmp_gt_u32_e32 vcc, 64, v0
	s_waitcnt vmcnt(0)
	ds_write2st64_b64 v52, v[2:3], v[4:5] offset1:1
	s_waitcnt lgkmcnt(0)
	s_barrier
	s_and_saveexec_b64 s[4:5], vcc
	s_cbranch_execz .LBB615_600
; %bb.598:
	s_lshl_b32 s4, s48, 7
	s_mul_i32 s5, s18, s8
	s_mul_hi_u32 s9, s5, s4
	s_mul_i32 s8, s5, s4
	s_lshl_b64 s[8:9], s[8:9], 1
	v_lshlrev_b32_e32 v4, 6, v41
	s_add_u32 s5, s50, s8
	v_lshl_or_b32 v0, v0, 10, v4
	s_mov_b32 s7, 0
	s_addc_u32 s8, s51, s9
	s_lshl_b32 s6, s26, 7
	v_lshlrev_b32_e32 v2, 5, v1
	v_and_b32_e32 v3, 16, v43
	v_and_b32_e32 v0, 0x1a00, v0
	s_lshl_b64 s[6:7], s[6:7], 1
	v_or3_b32 v0, v0, v2, v3
	s_add_u32 s5, s5, s6
	v_or_b32_e32 v2, 8, v1
	s_addc_u32 s6, s8, s7
	ds_read_b128 v[6:9], v0 offset:128
	ds_read_b128 v[10:13], v0
	v_add_u32_e32 v1, s27, v1
	v_mov_b32_e32 v4, s6
	v_add_co_u32_e32 v3, vcc, s5, v39
	v_mad_u64_u32 v[14:15], s[6:7], v1, s4, 0
	v_addc_co_u32_e32 v4, vcc, 0, v4, vcc
	v_lshlrev_b64 v[14:15], 1, v[14:15]
	v_add_co_u32_e32 v14, vcc, v3, v14
	v_addc_co_u32_e32 v15, vcc, v4, v15, vcc
	v_add_u32_e32 v1, 4, v1
	s_waitcnt lgkmcnt(0)
	global_store_dwordx4 v[14:15], v[10:13], off
	s_nop 0
	v_mad_u64_u32 v[10:11], s[6:7], v1, s4, 0
	v_lshlrev_b64 v[10:11], 1, v[10:11]
	v_add_co_u32_e32 v10, vcc, v3, v10
	v_addc_co_u32_e32 v11, vcc, v4, v11, vcc
	v_cmp_gt_u32_e32 vcc, 10, v2
	global_store_dwordx4 v[10:11], v[6:9], off
	s_and_b64 exec, exec, vcc
	s_cbranch_execz .LBB615_600
; %bb.599:
	ds_read_b128 v[6:9], v0 offset:256
	v_add_u32_e32 v0, s27, v2
	v_mad_u64_u32 v[0:1], s[4:5], v0, s4, 0
	v_lshlrev_b64 v[0:1], 1, v[0:1]
	v_add_co_u32_e32 v0, vcc, v3, v0
	v_addc_co_u32_e32 v1, vcc, v4, v1, vcc
	s_waitcnt lgkmcnt(0)
	global_store_dwordx4 v[0:1], v[6:9], off
.LBB615_600:
	s_endpgm
	.section	.rodata,"a",@progbits
	.p2align	6, 0x0
	.amdhsa_kernel _Z39paged_attention_ll4mi_QKV_mfma16_kernelIDF16_hLN4vllm18Fp8KVCacheDataTypeE1EDF16_Li16ELi128ELi256ELb1ELi10EL8MFMAType0EEvPKT_PKT0_S8_ifPKiSA_SA_iPKfiiiPfSD_PS3_PT2_iSC_SC_
		.amdhsa_group_segment_fixed_size 8192
		.amdhsa_private_segment_fixed_size 352
		.amdhsa_kernarg_size 400
		.amdhsa_user_sgpr_count 8
		.amdhsa_user_sgpr_private_segment_buffer 1
		.amdhsa_user_sgpr_dispatch_ptr 0
		.amdhsa_user_sgpr_queue_ptr 0
		.amdhsa_user_sgpr_kernarg_segment_ptr 1
		.amdhsa_user_sgpr_dispatch_id 0
		.amdhsa_user_sgpr_flat_scratch_init 1
		.amdhsa_user_sgpr_kernarg_preload_length 0
		.amdhsa_user_sgpr_kernarg_preload_offset 0
		.amdhsa_user_sgpr_private_segment_size 0
		.amdhsa_uses_dynamic_stack 0
		.amdhsa_system_sgpr_private_segment_wavefront_offset 1
		.amdhsa_system_sgpr_workgroup_id_x 1
		.amdhsa_system_sgpr_workgroup_id_y 1
		.amdhsa_system_sgpr_workgroup_id_z 1
		.amdhsa_system_sgpr_workgroup_info 0
		.amdhsa_system_vgpr_workitem_id 0
		.amdhsa_next_free_vgpr 80
		.amdhsa_next_free_sgpr 53
		.amdhsa_accum_offset 80
		.amdhsa_reserve_vcc 1
		.amdhsa_reserve_flat_scratch 0
		.amdhsa_float_round_mode_32 0
		.amdhsa_float_round_mode_16_64 0
		.amdhsa_float_denorm_mode_32 3
		.amdhsa_float_denorm_mode_16_64 3
		.amdhsa_dx10_clamp 1
		.amdhsa_ieee_mode 1
		.amdhsa_fp16_overflow 0
		.amdhsa_tg_split 0
		.amdhsa_exception_fp_ieee_invalid_op 0
		.amdhsa_exception_fp_denorm_src 0
		.amdhsa_exception_fp_ieee_div_zero 0
		.amdhsa_exception_fp_ieee_overflow 0
		.amdhsa_exception_fp_ieee_underflow 0
		.amdhsa_exception_fp_ieee_inexact 0
		.amdhsa_exception_int_div_zero 0
	.end_amdhsa_kernel
	.section	.text._Z39paged_attention_ll4mi_QKV_mfma16_kernelIDF16_hLN4vllm18Fp8KVCacheDataTypeE1EDF16_Li16ELi128ELi256ELb1ELi10EL8MFMAType0EEvPKT_PKT0_S8_ifPKiSA_SA_iPKfiiiPfSD_PS3_PT2_iSC_SC_,"axG",@progbits,_Z39paged_attention_ll4mi_QKV_mfma16_kernelIDF16_hLN4vllm18Fp8KVCacheDataTypeE1EDF16_Li16ELi128ELi256ELb1ELi10EL8MFMAType0EEvPKT_PKT0_S8_ifPKiSA_SA_iPKfiiiPfSD_PS3_PT2_iSC_SC_,comdat
.Lfunc_end615:
	.size	_Z39paged_attention_ll4mi_QKV_mfma16_kernelIDF16_hLN4vllm18Fp8KVCacheDataTypeE1EDF16_Li16ELi128ELi256ELb1ELi10EL8MFMAType0EEvPKT_PKT0_S8_ifPKiSA_SA_iPKfiiiPfSD_PS3_PT2_iSC_SC_, .Lfunc_end615-_Z39paged_attention_ll4mi_QKV_mfma16_kernelIDF16_hLN4vllm18Fp8KVCacheDataTypeE1EDF16_Li16ELi128ELi256ELb1ELi10EL8MFMAType0EEvPKT_PKT0_S8_ifPKiSA_SA_iPKfiiiPfSD_PS3_PT2_iSC_SC_
                                        ; -- End function
	.section	.AMDGPU.csdata,"",@progbits
; Kernel info:
; codeLenInByte = 21456
; NumSgprs: 57
; NumVgprs: 80
; NumAgprs: 0
; TotalNumVgprs: 80
; ScratchSize: 352
; MemoryBound: 0
; FloatMode: 240
; IeeeMode: 1
; LDSByteSize: 8192 bytes/workgroup (compile time only)
; SGPRBlocks: 7
; VGPRBlocks: 9
; NumSGPRsForWavesPerEU: 57
; NumVGPRsForWavesPerEU: 80
; AccumOffset: 80
; Occupancy: 6
; WaveLimiterHint : 1
; COMPUTE_PGM_RSRC2:SCRATCH_EN: 1
; COMPUTE_PGM_RSRC2:USER_SGPR: 8
; COMPUTE_PGM_RSRC2:TRAP_HANDLER: 0
; COMPUTE_PGM_RSRC2:TGID_X_EN: 1
; COMPUTE_PGM_RSRC2:TGID_Y_EN: 1
; COMPUTE_PGM_RSRC2:TGID_Z_EN: 1
; COMPUTE_PGM_RSRC2:TIDIG_COMP_CNT: 0
; COMPUTE_PGM_RSRC3_GFX90A:ACCUM_OFFSET: 19
; COMPUTE_PGM_RSRC3_GFX90A:TG_SPLIT: 0
	.section	.text._Z39paged_attention_ll4mi_QKV_mfma16_kernelIDF16_hLN4vllm18Fp8KVCacheDataTypeE1EDF16_Li16ELi128ELi256ELb1ELi11EL8MFMAType0EEvPKT_PKT0_S8_ifPKiSA_SA_iPKfiiiPfSD_PS3_PT2_iSC_SC_,"axG",@progbits,_Z39paged_attention_ll4mi_QKV_mfma16_kernelIDF16_hLN4vllm18Fp8KVCacheDataTypeE1EDF16_Li16ELi128ELi256ELb1ELi11EL8MFMAType0EEvPKT_PKT0_S8_ifPKiSA_SA_iPKfiiiPfSD_PS3_PT2_iSC_SC_,comdat
	.protected	_Z39paged_attention_ll4mi_QKV_mfma16_kernelIDF16_hLN4vllm18Fp8KVCacheDataTypeE1EDF16_Li16ELi128ELi256ELb1ELi11EL8MFMAType0EEvPKT_PKT0_S8_ifPKiSA_SA_iPKfiiiPfSD_PS3_PT2_iSC_SC_ ; -- Begin function _Z39paged_attention_ll4mi_QKV_mfma16_kernelIDF16_hLN4vllm18Fp8KVCacheDataTypeE1EDF16_Li16ELi128ELi256ELb1ELi11EL8MFMAType0EEvPKT_PKT0_S8_ifPKiSA_SA_iPKfiiiPfSD_PS3_PT2_iSC_SC_
	.globl	_Z39paged_attention_ll4mi_QKV_mfma16_kernelIDF16_hLN4vllm18Fp8KVCacheDataTypeE1EDF16_Li16ELi128ELi256ELb1ELi11EL8MFMAType0EEvPKT_PKT0_S8_ifPKiSA_SA_iPKfiiiPfSD_PS3_PT2_iSC_SC_
	.p2align	8
	.type	_Z39paged_attention_ll4mi_QKV_mfma16_kernelIDF16_hLN4vllm18Fp8KVCacheDataTypeE1EDF16_Li16ELi128ELi256ELb1ELi11EL8MFMAType0EEvPKT_PKT0_S8_ifPKiSA_SA_iPKfiiiPfSD_PS3_PT2_iSC_SC_,@function
_Z39paged_attention_ll4mi_QKV_mfma16_kernelIDF16_hLN4vllm18Fp8KVCacheDataTypeE1EDF16_Li16ELi128ELi256ELb1ELi11EL8MFMAType0EEvPKT_PKT0_S8_ifPKiSA_SA_iPKfiiiPfSD_PS3_PT2_iSC_SC_: ; @_Z39paged_attention_ll4mi_QKV_mfma16_kernelIDF16_hLN4vllm18Fp8KVCacheDataTypeE1EDF16_Li16ELi128ELi256ELb1ELi11EL8MFMAType0EEvPKT_PKT0_S8_ifPKiSA_SA_iPKfiiiPfSD_PS3_PT2_iSC_SC_
; %bb.0:
	s_load_dwordx2 s[6:7], s[4:5], 0x30
	s_add_u32 s0, s0, s11
	s_addc_u32 s1, s1, 0
	s_mov_b32 s26, s9
	s_mov_b64 s[14:15], 0
	s_waitcnt lgkmcnt(0)
	s_cmp_lg_u64 s[6:7], 0
	s_cselect_b64 s[12:13], -1, 0
	s_and_b64 vcc, exec, s[12:13]
	s_cbranch_vccz .LBB616_7
; %bb.1:
	s_add_i32 s16, s8, 1
	s_mov_b32 s17, 0
	s_lshl_b64 s[18:19], s[16:17], 2
	s_add_u32 s18, s6, s18
	s_mov_b32 s9, s17
	s_addc_u32 s19, s7, s19
	s_lshl_b64 s[16:17], s[8:9], 2
	s_add_u32 s16, s6, s16
	s_addc_u32 s17, s7, s17
	s_load_dword s11, s[18:19], 0x0
	s_load_dword s20, s[16:17], 0x0
	s_waitcnt lgkmcnt(0)
	s_sub_i32 s11, s11, s20
	s_cmp_eq_u32 s11, 1
	s_cselect_b64 s[16:17], -1, 0
	s_andn2_b64 vcc, exec, s[14:15]
	s_cbranch_vccnz .LBB616_3
.LBB616_2:
	s_mov_b32 s9, 0
	s_mov_b64 s[16:17], -1
.LBB616_3:
	s_andn2_b64 vcc, exec, s[16:17]
	s_cbranch_vccnz .LBB616_600
; %bb.4:
	s_load_dwordx2 s[16:17], s[4:5], 0x28
	s_lshl_b64 s[14:15], s[8:9], 2
	s_waitcnt lgkmcnt(0)
	s_add_u32 s16, s16, s14
	s_addc_u32 s17, s17, s15
	s_load_dword s33, s[16:17], 0x0
	s_lshl_b32 s20, s26, 8
	s_waitcnt lgkmcnt(0)
	s_cmp_ge_i32 s20, s33
	s_cbranch_scc1 .LBB616_600
; %bb.5:
	s_add_i32 s18, s33, 15
	s_load_dwordx2 s[16:17], s[4:5], 0x20
	s_load_dword s11, s[4:5], 0x38
	s_ashr_i32 s19, s18, 31
	v_and_b32_e32 v1, 0xcf, v0
	s_lshr_b32 s19, s19, 28
	v_add_u32_e32 v1, s20, v1
	s_add_i32 s18, s18, s19
	v_ashrrev_i32_e32 v2, 31, v1
	s_ashr_i32 s23, s18, 4
	v_lshrrev_b32_e32 v4, 28, v2
	s_add_i32 s23, s23, -1
	v_add_u32_e32 v2, v1, v4
	s_waitcnt lgkmcnt(0)
	s_mul_i32 s18, s8, s11
	s_mov_b32 s19, 0
	v_ashrrev_i32_e32 v2, 4, v2
	v_mov_b32_e32 v5, s23
	v_cmp_gt_i32_e32 vcc, s33, v1
	s_lshl_b64 s[18:19], s[18:19], 2
	v_cndmask_b32_e32 v2, v5, v2, vcc
	s_add_u32 s21, s16, s18
	v_ashrrev_i32_e32 v3, 31, v2
	s_addc_u32 s22, s17, s19
	v_lshlrev_b64 v[2:3], 2, v[2:3]
	v_mov_b32_e32 v7, s22
	v_add_co_u32_e32 v6, vcc, s21, v2
	v_or_b32_e32 v2, 16, v1
	v_addc_co_u32_e32 v7, vcc, v7, v3, vcc
	v_add_u32_e32 v3, v2, v4
	v_ashrrev_i32_e32 v3, 4, v3
	v_cmp_gt_i32_e32 vcc, s33, v2
	v_cndmask_b32_e32 v2, v5, v3, vcc
	v_ashrrev_i32_e32 v3, 31, v2
	v_lshlrev_b64 v[2:3], 2, v[2:3]
	v_mov_b32_e32 v9, s22
	v_add_co_u32_e32 v8, vcc, s21, v2
	v_or_b32_e32 v2, 32, v1
	v_addc_co_u32_e32 v9, vcc, v9, v3, vcc
	v_add_u32_e32 v3, v2, v4
	v_ashrrev_i32_e32 v3, 4, v3
	v_cmp_gt_i32_e32 vcc, s33, v2
	v_cndmask_b32_e32 v2, v5, v3, vcc
	v_ashrrev_i32_e32 v3, 31, v2
	;; [unrolled: 10-line block ×3, first 2 shown]
	v_lshlrev_b64 v[2:3], 2, v[2:3]
	v_mov_b32_e32 v1, s22
	v_add_co_u32_e32 v12, vcc, s21, v2
	v_addc_co_u32_e32 v13, vcc, v1, v3, vcc
	global_load_dword v5, v[6:7], off
	global_load_dword v4, v[8:9], off
	;; [unrolled: 1-line block ×4, first 2 shown]
	s_load_dwordx2 s[16:17], s[4:5], 0x8
	s_andn2_b64 vcc, exec, s[12:13]
	s_cbranch_vccnz .LBB616_8
; %bb.6:
	s_add_u32 s6, s6, s14
	s_addc_u32 s7, s7, s15
	s_load_dword s11, s[6:7], 0x0
	s_branch .LBB616_9
.LBB616_7:
	s_mov_b64 s[16:17], 0
	s_branch .LBB616_2
.LBB616_8:
	s_mov_b32 s11, s8
.LBB616_9:
	s_load_dwordx2 s[6:7], s[4:5], 0x10
	s_load_dwordx4 s[12:15], s[4:5], 0x48
	v_lshrrev_b32_e32 v27, 6, v0
	v_bfe_u32 v1, v0, 4, 2
	v_and_b32_e32 v41, 15, v0
	v_lshl_or_b32 v6, v27, 2, v1
	v_lshlrev_b32_e32 v7, 3, v41
	s_mul_i32 s27, s10, 11
	v_cmp_gt_u32_e32 vcc, 11, v6
	v_lshlrev_b32_e32 v39, 1, v7
	v_lshlrev_b32_e32 v43, 4, v0
	s_and_saveexec_b64 s[18:19], vcc
	s_cbranch_execz .LBB616_11
; %bb.10:
	s_load_dwordx2 s[24:25], s[4:5], 0x0
	s_waitcnt lgkmcnt(0)
	s_ashr_i32 s15, s12, 31
	s_mul_hi_u32 s28, s11, s12
	s_mul_i32 s15, s11, s15
	s_add_i32 s29, s28, s15
	s_mul_i32 s28, s11, s12
	s_lshl_b64 s[28:29], s[28:29], 1
	v_add_lshl_u32 v8, v6, s27, 7
	s_add_u32 s11, s24, s28
	v_ashrrev_i32_e32 v9, 31, v8
	s_addc_u32 s12, s25, s29
	v_lshlrev_b64 v[8:9], 1, v[8:9]
	v_mov_b32_e32 v7, s12
	v_add_co_u32_e32 v8, vcc, s11, v8
	v_addc_co_u32_e32 v7, vcc, v7, v9, vcc
	v_add_co_u32_e32 v8, vcc, v8, v39
	v_addc_co_u32_e32 v9, vcc, 0, v7, vcc
	global_load_dwordx4 v[8:11], v[8:9], off
	v_lshlrev_b32_e32 v12, 8, v0
	v_lshlrev_b32_e32 v7, 8, v41
	v_and_b32_e32 v12, 0x600, v12
	s_movk_i32 s11, 0x800
	v_and_or_b32 v7, v7, s11, v12
	v_lshlrev_b32_e32 v6, 5, v6
	v_and_b32_e32 v12, 16, v43
	v_or3_b32 v6, v7, v6, v12
	s_waitcnt vmcnt(0)
	ds_write_b128 v6, v[8:11]
.LBB616_11:
	s_or_b64 exec, exec, s[18:19]
	s_waitcnt lgkmcnt(0)
	s_mul_i32 s14, s10, s14
	s_add_u32 s10, s16, s14
	s_addc_u32 s11, s17, 0
	v_and_b32_e32 v6, 0xf0, v43
	v_mov_b32_e32 v7, s11
	v_add_co_u32_e32 v6, vcc, s10, v6
	v_and_b32_e32 v18, 48, v0
	v_addc_co_u32_e32 v7, vcc, 0, v7, vcc
	v_lshlrev_b32_e32 v10, 4, v18
	s_waitcnt vmcnt(3)
	v_mad_i64_i32 v[8:9], s[10:11], v5, s13, v[6:7]
	v_add_co_u32_e32 v8, vcc, v8, v10
	v_addc_co_u32_e32 v9, vcc, 0, v9, vcc
	s_waitcnt vmcnt(2)
	v_mad_i64_i32 v[4:5], s[10:11], v4, s13, v[6:7]
	v_add_co_u32_e32 v4, vcc, v4, v10
	v_addc_co_u32_e32 v5, vcc, 0, v5, vcc
	s_load_dwordx2 s[48:49], s[4:5], 0x94
	s_waitcnt lgkmcnt(0)
	s_barrier
	global_load_dwordx4 v[20:23], v[8:9], off
	global_load_dwordx4 v[28:31], v[8:9], off offset:1024
	global_load_dwordx4 v[32:35], v[4:5], off
	global_load_dwordx4 v[44:47], v[4:5], off offset:1024
	s_waitcnt vmcnt(5)
	v_mad_i64_i32 v[4:5], s[10:11], v3, s13, v[6:7]
	v_add_co_u32_e32 v4, vcc, v4, v10
	v_addc_co_u32_e32 v5, vcc, 0, v5, vcc
	s_waitcnt vmcnt(4)
	v_mad_i64_i32 v[2:3], s[10:11], v2, s13, v[6:7]
	v_add_co_u32_e32 v2, vcc, v2, v10
	v_addc_co_u32_e32 v3, vcc, 0, v3, vcc
	global_load_dwordx4 v[48:51], v[4:5], off
	global_load_dwordx4 v[52:55], v[4:5], off offset:1024
	global_load_dwordx4 v[56:59], v[2:3], off
	global_load_dwordx4 v[60:63], v[2:3], off offset:1024
	v_add_u32_e32 v2, -11, v41
	v_cmp_gt_u32_e32 vcc, 11, v41
	v_cndmask_b32_e32 v2, v2, v41, vcc
	v_lshlrev_b32_e32 v2, 5, v2
	v_lshl_add_u32 v14, v1, 9, v2
	s_load_dwordx2 s[50:51], s[4:5], 0x68
	s_load_dwordx4 s[44:47], s[4:5], 0x58
	ds_read_b128 v[2:5], v14
	ds_read_b128 v[6:9], v14 offset:16
	ds_read_b128 v[10:13], v14 offset:2048
	;; [unrolled: 1-line block ×3, first 2 shown]
	s_mov_b32 s12, 0
	s_waitcnt vmcnt(7)
	buffer_store_dword v23, off, s[0:3], 0 offset:12
	buffer_store_dword v22, off, s[0:3], 0 offset:8
	;; [unrolled: 1-line block ×3, first 2 shown]
	buffer_store_dword v20, off, s[0:3], 0
	s_waitcnt vmcnt(10)
	buffer_store_dword v31, off, s[0:3], 0 offset:28
	buffer_store_dword v30, off, s[0:3], 0 offset:24
	buffer_store_dword v29, off, s[0:3], 0 offset:20
	buffer_store_dword v28, off, s[0:3], 0 offset:16
	s_waitcnt vmcnt(13)
	buffer_store_dword v35, off, s[0:3], 0 offset:44
	buffer_store_dword v34, off, s[0:3], 0 offset:40
	buffer_store_dword v33, off, s[0:3], 0 offset:36
	buffer_store_dword v32, off, s[0:3], 0 offset:32
	;; [unrolled: 5-line block ×7, first 2 shown]
	v_mov_b32_e32 v35, 0
	v_mov_b32_e32 v31, 0
	s_and_saveexec_b64 s[10:11], vcc
	s_cbranch_execz .LBB616_13
; %bb.12:
	s_load_dwordx2 s[16:17], s[4:5], 0x40
	v_add_u32_e32 v20, s27, v41
	v_ashrrev_i32_e32 v21, 31, v20
	v_lshlrev_b64 v[20:21], 2, v[20:21]
	s_waitcnt lgkmcnt(0)
	v_mov_b32_e32 v19, s17
	v_add_co_u32_e32 v20, vcc, s16, v20
	v_addc_co_u32_e32 v21, vcc, v19, v21, vcc
	global_load_dword v31, v[20:21], off
.LBB616_13:
	s_or_b64 exec, exec, s[10:11]
	v_or_b32_e32 v22, s20, v18
	v_ashrrev_i32_e32 v18, 4, v22
	v_mov_b32_e32 v23, s23
	v_cmp_gt_i32_e32 vcc, s33, v22
	v_cndmask_b32_e32 v18, v23, v18, vcc
	v_ashrrev_i32_e32 v19, 31, v18
	v_lshlrev_b64 v[18:19], 2, v[18:19]
	v_mov_b32_e32 v20, s22
	v_add_co_u32_e32 v18, vcc, s21, v18
	v_addc_co_u32_e32 v19, vcc, v20, v19, vcc
	global_load_dword v26, v[18:19], off
	v_or_b32_e32 v18, 64, v22
	v_ashrrev_i32_e32 v19, 4, v18
	v_cmp_gt_i32_e32 vcc, s33, v18
	v_cndmask_b32_e32 v18, v23, v19, vcc
	v_ashrrev_i32_e32 v19, 31, v18
	v_lshlrev_b64 v[18:19], 2, v[18:19]
	v_add_co_u32_e32 v18, vcc, s21, v18
	v_addc_co_u32_e32 v19, vcc, v20, v19, vcc
	v_or_b32_e32 v20, 0x80, v22
	v_ashrrev_i32_e32 v21, 4, v20
	v_cmp_gt_i32_e32 vcc, s33, v20
	v_cndmask_b32_e32 v20, v23, v21, vcc
	v_ashrrev_i32_e32 v21, 31, v20
	v_lshlrev_b64 v[20:21], 2, v[20:21]
	v_mov_b32_e32 v24, s22
	v_add_co_u32_e32 v20, vcc, s21, v20
	v_addc_co_u32_e32 v21, vcc, v24, v21, vcc
	global_load_dword v28, v[18:19], off
	global_load_dword v30, v[20:21], off
	v_or_b32_e32 v18, 0xc0, v22
	v_ashrrev_i32_e32 v19, 4, v18
	v_cmp_gt_i32_e32 vcc, s33, v18
	v_cndmask_b32_e32 v18, v23, v19, vcc
	v_ashrrev_i32_e32 v19, 31, v18
	v_lshlrev_b64 v[18:19], 2, v[18:19]
	v_mov_b32_e32 v20, s22
	v_add_co_u32_e32 v18, vcc, s21, v18
	v_addc_co_u32_e32 v19, vcc, v20, v19, vcc
	global_load_dword v34, v[18:19], off
	s_add_u32 s10, s6, s14
	v_lshl_or_b32 v29, v27, 4, v41
	s_addc_u32 s6, s7, 0
	v_lshlrev_b32_e32 v18, 4, v29
	v_mov_b32_e32 v19, s6
	v_add_co_u32_e32 v22, vcc, s10, v18
	v_addc_co_u32_e32 v23, vcc, 0, v19, vcc
	v_or_b32_e32 v24, 0x400, v18
	v_mov_b32_e32 v25, s6
	v_add_co_u32_e32 v24, vcc, s10, v24
	v_addc_co_u32_e32 v25, vcc, 0, v25, vcc
	v_mov_b32_e32 v36, 0
	s_movk_i32 s14, 0x7f
	s_mov_b32 s15, 0xffffff
	v_mov_b32_e32 v37, 0x100
	v_bfrev_b32_e32 v38, 60
	s_waitcnt vmcnt(3)
	v_mad_i64_i32 v[18:19], s[6:7], v26, s13, v[22:23]
	global_load_dwordx4 v[18:21], v[18:19], off
	v_mad_i64_i32 v[32:33], s[6:7], v26, s13, v[24:25]
	global_load_dwordx4 v[52:55], v[32:33], off
	s_waitcnt vmcnt(4)
	v_mad_i64_i32 v[32:33], s[6:7], v28, s13, v[22:23]
	global_load_dwordx4 v[56:59], v[32:33], off
	s_waitcnt vmcnt(4)
	;; [unrolled: 3-line block ×3, first 2 shown]
	v_mad_i64_i32 v[22:23], s[6:7], v34, s13, v[22:23]
	global_load_dwordx4 v[64:67], v[22:23], off
	v_mad_i64_i32 v[22:23], s[6:7], v28, s13, v[24:25]
	global_load_dwordx4 v[68:71], v[22:23], off
	;; [unrolled: 2-line block ×4, first 2 shown]
	s_load_dword s6, s[4:5], 0x1c
	s_load_dwordx4 s[40:43], s[4:5], 0x80
	v_mov_b32_e32 v22, 0x80
	v_add_u32_e32 v45, 16, v22
	v_add_u32_e32 v46, 32, v22
	;; [unrolled: 1-line block ×3, first 2 shown]
	s_waitcnt lgkmcnt(0)
	s_load_dword s4, s[40:41], 0x0
	v_add_u32_e32 v51, 64, v22
	v_add_u32_e32 v48, 0x50, v22
	;; [unrolled: 1-line block ×4, first 2 shown]
	v_mov_b32_e32 v22, s6
	s_waitcnt lgkmcnt(0)
	v_mul_f32_e32 v22, s4, v22
	v_and_b32_e32 v33, 63, v0
	s_movk_i32 s13, 0x80
	v_mov_b32_e32 v24, v22
	v_mov_b32_e32 v25, v22
	s_waitcnt vmcnt(7)
	buffer_store_dword v21, off, s[0:3], 0 offset:140
	buffer_store_dword v20, off, s[0:3], 0 offset:136
	buffer_store_dword v19, off, s[0:3], 0 offset:132
	buffer_store_dword v18, off, s[0:3], 0 offset:128
	s_waitcnt vmcnt(10)
	buffer_store_dword v55, off, s[0:3], 0 offset:156
	buffer_store_dword v54, off, s[0:3], 0 offset:152
	buffer_store_dword v53, off, s[0:3], 0 offset:148
	buffer_store_dword v52, off, s[0:3], 0 offset:144
	;; [unrolled: 5-line block ×8, first 2 shown]
	s_branch .LBB616_17
.LBB616_14:                             ;   in Loop: Header=BB616_17 Depth=1
	s_or_b64 exec, exec, s[10:11]
.LBB616_15:                             ;   in Loop: Header=BB616_17 Depth=1
	s_or_b64 exec, exec, s[6:7]
.LBB616_16:                             ;   in Loop: Header=BB616_17 Depth=1
	s_or_b64 exec, exec, s[4:5]
	v_cvt_pkrtz_f16_f32 v54, v34, v32
	v_cvt_pkrtz_f16_f32 v55, v23, v42
	v_add_u32_e32 v26, s12, v37
	s_add_i32 s12, s12, 16
	v_mov_b32_e32 v23, v22
	v_mfma_f32_16x16x16f16 v[18:21], v[54:55], v[14:15], v[18:21]
	v_cvt_pkrtz_f16_f32 v54, v40, v44
	v_cvt_pkrtz_f16_f32 v55, v30, v52
	s_cmp_eq_u32 s12, 64
	v_add_u32_e32 v36, 32, v36
	v_mfma_f32_16x16x16f16 v[18:21], v[54:55], v[16:17], v[18:21]
	s_nop 7
	s_nop 2
	v_pk_mul_f32 v[18:19], v[24:25], v[18:19]
	v_pk_mul_f32 v[20:21], v[22:23], v[20:21]
	buffer_store_dword v19, v26, s[0:3], 0 offen offset:4
	buffer_store_dword v18, v26, s[0:3], 0 offen
	buffer_store_dword v21, v26, s[0:3], 0 offen offset:12
	buffer_store_dword v20, v26, s[0:3], 0 offen offset:8
	s_cbranch_scc1 .LBB616_207
.LBB616_17:                             ; =>This Inner Loop Header: Depth=1
	buffer_load_dword v20, v36, s[0:3], 0 offen
	buffer_load_dword v18, v36, s[0:3], 0 offen offset:4
	buffer_load_dword v28, v36, s[0:3], 0 offen offset:8
	;; [unrolled: 1-line block ×3, first 2 shown]
	v_mov_b32_e32 v19, 0
	v_mov_b32_e32 v21, 0
	s_waitcnt vmcnt(3)
	v_cmp_ne_u16_sdwa s[6:7], v20, v35 src0_sel:BYTE_0 src1_sel:DWORD
	s_and_saveexec_b64 s[4:5], s[6:7]
	s_cbranch_execz .LBB616_23
; %bb.18:                               ;   in Loop: Header=BB616_17 Depth=1
	v_cmp_ne_u16_sdwa s[10:11], v20, s13 src0_sel:BYTE_0 src1_sel:DWORD
	v_bfrev_b32_e32 v21, 1
	s_and_saveexec_b64 s[6:7], s[10:11]
	s_cbranch_execz .LBB616_22
; %bb.19:                               ;   in Loop: Header=BB616_17 Depth=1
	v_and_b32_e32 v23, 0x7f, v20
	v_cmp_ne_u32_e32 vcc, s14, v23
	v_mov_b32_e32 v21, 0x7f800001
	s_and_saveexec_b64 s[10:11], vcc
	s_cbranch_execz .LBB616_21
; %bb.20:                               ;   in Loop: Header=BB616_17 Depth=1
	v_and_b32_e32 v21, 7, v20
	v_ffbh_u32_e32 v32, v21
	v_min_u32_e32 v32, 32, v32
	v_subrev_u32_e32 v34, 28, v32
	v_lshlrev_b64 v[52:53], v34, v[20:21]
	v_lshrrev_b32_e32 v30, 3, v23
	v_sub_u32_e32 v32, 29, v32
	v_and_b32_e32 v34, 7, v52
	v_cmp_gt_u32_e32 vcc, 8, v23
	v_cndmask_b32_e32 v23, v30, v32, vcc
	v_cndmask_b32_e32 v21, v21, v34, vcc
	v_lshlrev_b32_e32 v30, 24, v20
	v_lshlrev_b32_e32 v21, 20, v21
	v_and_b32_e32 v30, 0x80000000, v30
	v_lshl_add_u32 v23, v23, 23, v38
	v_or3_b32 v21, v30, v23, v21
.LBB616_21:                             ;   in Loop: Header=BB616_17 Depth=1
	s_or_b64 exec, exec, s[10:11]
.LBB616_22:                             ;   in Loop: Header=BB616_17 Depth=1
	s_or_b64 exec, exec, s[6:7]
.LBB616_23:                             ;   in Loop: Header=BB616_17 Depth=1
	s_or_b64 exec, exec, s[4:5]
	v_lshrrev_b16_e32 v30, 8, v20
	v_cmp_ne_u16_e32 vcc, 0, v30
	s_and_saveexec_b64 s[4:5], vcc
	s_cbranch_execz .LBB616_29
; %bb.24:                               ;   in Loop: Header=BB616_17 Depth=1
	v_cmp_ne_u16_e32 vcc, s13, v30
	v_bfrev_b32_e32 v19, 1
	s_and_saveexec_b64 s[6:7], vcc
	s_cbranch_execz .LBB616_28
; %bb.25:                               ;   in Loop: Header=BB616_17 Depth=1
	v_and_b32_e32 v23, 0x7f, v30
	v_cmp_ne_u32_e32 vcc, s14, v23
	v_mov_b32_e32 v19, 0x7f800001
	s_and_saveexec_b64 s[10:11], vcc
	s_cbranch_execz .LBB616_27
; %bb.26:                               ;   in Loop: Header=BB616_17 Depth=1
	v_and_b32_e32 v19, 7, v30
	v_ffbh_u32_e32 v34, v19
	v_min_u32_e32 v34, 32, v34
	v_subrev_u32_e32 v40, 28, v34
	v_lshlrev_b64 v[52:53], v40, v[30:31]
	v_lshrrev_b32_e32 v32, 3, v23
	v_sub_u32_e32 v30, 29, v34
	v_and_b32_e32 v34, 7, v52
	v_cmp_gt_u32_e32 vcc, 8, v23
	v_cndmask_b32_e32 v23, v32, v30, vcc
	v_cndmask_b32_e32 v19, v19, v34, vcc
	v_lshlrev_b32_e32 v30, 16, v20
	v_lshlrev_b32_e32 v19, 20, v19
	v_and_b32_e32 v30, 0x80000000, v30
	v_lshl_add_u32 v23, v23, 23, v38
	v_or3_b32 v19, v30, v23, v19
.LBB616_27:                             ;   in Loop: Header=BB616_17 Depth=1
	s_or_b64 exec, exec, s[10:11]
.LBB616_28:                             ;   in Loop: Header=BB616_17 Depth=1
	s_or_b64 exec, exec, s[6:7]
.LBB616_29:                             ;   in Loop: Header=BB616_17 Depth=1
	s_or_b64 exec, exec, s[4:5]
	v_lshrrev_b32_e32 v30, 16, v20
	v_cmp_ne_u16_sdwa s[6:7], v30, v35 src0_sel:BYTE_0 src1_sel:DWORD
	v_mov_b32_e32 v32, 0
	v_mov_b32_e32 v23, 0
	s_and_saveexec_b64 s[4:5], s[6:7]
	s_cbranch_execz .LBB616_35
; %bb.30:                               ;   in Loop: Header=BB616_17 Depth=1
	v_cmp_ne_u16_sdwa s[10:11], v30, s13 src0_sel:BYTE_0 src1_sel:DWORD
	v_bfrev_b32_e32 v23, 1
	s_and_saveexec_b64 s[6:7], s[10:11]
	s_cbranch_execz .LBB616_34
; %bb.31:                               ;   in Loop: Header=BB616_17 Depth=1
	v_bfe_u32 v34, v20, 16, 7
	v_cmp_ne_u32_e32 vcc, s14, v34
	v_mov_b32_e32 v23, 0x7f800001
	s_and_saveexec_b64 s[10:11], vcc
	s_cbranch_execz .LBB616_33
; %bb.32:                               ;   in Loop: Header=BB616_17 Depth=1
	v_and_b32_e32 v23, 7, v30
	v_ffbh_u32_e32 v42, v23
	v_min_u32_e32 v42, 32, v42
	v_subrev_u32_e32 v44, 28, v42
	v_lshlrev_b64 v[52:53], v44, v[30:31]
	v_lshrrev_b32_e32 v40, 3, v34
	v_sub_u32_e32 v42, 29, v42
	v_and_b32_e32 v44, 7, v52
	v_cmp_gt_u32_e32 vcc, 8, v34
	v_cndmask_b32_e32 v34, v40, v42, vcc
	v_cndmask_b32_e32 v23, v23, v44, vcc
	v_lshlrev_b32_e32 v30, 24, v30
	v_lshlrev_b32_e32 v23, 20, v23
	v_and_b32_e32 v30, 0x80000000, v30
	v_lshl_add_u32 v34, v34, 23, v38
	v_or3_b32 v23, v30, v34, v23
.LBB616_33:                             ;   in Loop: Header=BB616_17 Depth=1
	s_or_b64 exec, exec, s[10:11]
.LBB616_34:                             ;   in Loop: Header=BB616_17 Depth=1
	s_or_b64 exec, exec, s[6:7]
.LBB616_35:                             ;   in Loop: Header=BB616_17 Depth=1
	s_or_b64 exec, exec, s[4:5]
	v_cmp_lt_u32_e32 vcc, s15, v20
	s_and_saveexec_b64 s[4:5], vcc
	s_cbranch_execz .LBB616_41
; %bb.36:                               ;   in Loop: Header=BB616_17 Depth=1
	v_lshrrev_b32_e32 v30, 24, v20
	v_cmp_ne_u32_e32 vcc, s13, v30
	v_bfrev_b32_e32 v32, 1
	s_and_saveexec_b64 s[6:7], vcc
	s_cbranch_execz .LBB616_40
; %bb.37:                               ;   in Loop: Header=BB616_17 Depth=1
	v_bfe_u32 v20, v20, 24, 7
	v_cmp_ne_u32_e32 vcc, s14, v20
	v_mov_b32_e32 v32, 0x7f800001
	s_and_saveexec_b64 s[10:11], vcc
	s_cbranch_execz .LBB616_39
; %bb.38:                               ;   in Loop: Header=BB616_17 Depth=1
	v_and_b32_e32 v32, 7, v30
	v_ffbh_u32_e32 v40, v32
	v_min_u32_e32 v40, 32, v40
	v_subrev_u32_e32 v42, 28, v40
	v_lshlrev_b64 v[52:53], v42, v[30:31]
	v_lshrrev_b32_e32 v34, 3, v20
	v_sub_u32_e32 v40, 29, v40
	v_and_b32_e32 v42, 7, v52
	v_cmp_gt_u32_e32 vcc, 8, v20
	v_cndmask_b32_e32 v20, v34, v40, vcc
	v_cndmask_b32_e32 v32, v32, v42, vcc
	v_lshlrev_b32_e32 v30, 24, v30
	v_lshlrev_b32_e32 v32, 20, v32
	v_and_b32_e32 v30, 0x80000000, v30
	v_lshl_add_u32 v20, v20, 23, v38
	v_or3_b32 v32, v30, v20, v32
.LBB616_39:                             ;   in Loop: Header=BB616_17 Depth=1
	s_or_b64 exec, exec, s[10:11]
.LBB616_40:                             ;   in Loop: Header=BB616_17 Depth=1
	s_or_b64 exec, exec, s[6:7]
.LBB616_41:                             ;   in Loop: Header=BB616_17 Depth=1
	s_or_b64 exec, exec, s[4:5]
	s_waitcnt vmcnt(2)
	v_cmp_ne_u16_sdwa s[6:7], v18, v35 src0_sel:BYTE_0 src1_sel:DWORD
	v_mov_b32_e32 v30, 0
	v_mov_b32_e32 v34, 0
	s_and_saveexec_b64 s[4:5], s[6:7]
	s_cbranch_execz .LBB616_47
; %bb.42:                               ;   in Loop: Header=BB616_17 Depth=1
	v_cmp_ne_u16_sdwa s[10:11], v18, s13 src0_sel:BYTE_0 src1_sel:DWORD
	v_bfrev_b32_e32 v34, 1
	s_and_saveexec_b64 s[6:7], s[10:11]
	s_cbranch_execz .LBB616_46
; %bb.43:                               ;   in Loop: Header=BB616_17 Depth=1
	v_and_b32_e32 v20, 0x7f, v18
	v_cmp_ne_u32_e32 vcc, s14, v20
	v_mov_b32_e32 v34, 0x7f800001
	s_and_saveexec_b64 s[10:11], vcc
	s_cbranch_execz .LBB616_45
; %bb.44:                               ;   in Loop: Header=BB616_17 Depth=1
	v_and_b32_e32 v34, 7, v18
	v_ffbh_u32_e32 v42, v34
	v_min_u32_e32 v42, 32, v42
	v_subrev_u32_e32 v44, 28, v42
	v_lshlrev_b64 v[52:53], v44, v[18:19]
	v_lshrrev_b32_e32 v40, 3, v20
	v_sub_u32_e32 v42, 29, v42
	v_and_b32_e32 v44, 7, v52
	v_cmp_gt_u32_e32 vcc, 8, v20
	v_cndmask_b32_e32 v20, v40, v42, vcc
	v_cndmask_b32_e32 v34, v34, v44, vcc
	v_lshlrev_b32_e32 v40, 24, v18
	v_lshlrev_b32_e32 v34, 20, v34
	v_and_b32_e32 v40, 0x80000000, v40
	v_lshl_add_u32 v20, v20, 23, v38
	v_or3_b32 v34, v40, v20, v34
.LBB616_45:                             ;   in Loop: Header=BB616_17 Depth=1
	s_or_b64 exec, exec, s[10:11]
.LBB616_46:                             ;   in Loop: Header=BB616_17 Depth=1
	s_or_b64 exec, exec, s[6:7]
.LBB616_47:                             ;   in Loop: Header=BB616_17 Depth=1
	s_or_b64 exec, exec, s[4:5]
	v_lshrrev_b16_e32 v20, 8, v18
	v_cmp_ne_u16_e32 vcc, 0, v20
	s_and_saveexec_b64 s[4:5], vcc
	s_cbranch_execz .LBB616_53
; %bb.48:                               ;   in Loop: Header=BB616_17 Depth=1
	v_cmp_ne_u16_e32 vcc, s13, v20
	v_bfrev_b32_e32 v30, 1
	s_and_saveexec_b64 s[6:7], vcc
	s_cbranch_execz .LBB616_52
; %bb.49:                               ;   in Loop: Header=BB616_17 Depth=1
	v_and_b32_e32 v40, 0x7f, v20
	v_cmp_ne_u32_e32 vcc, s14, v40
	v_mov_b32_e32 v30, 0x7f800001
	s_and_saveexec_b64 s[10:11], vcc
	s_cbranch_execz .LBB616_51
; %bb.50:                               ;   in Loop: Header=BB616_17 Depth=1
	v_and_b32_e32 v30, 7, v20
	v_ffbh_u32_e32 v44, v30
	v_min_u32_e32 v44, 32, v44
	v_subrev_u32_e32 v52, 28, v44
	v_lshlrev_b64 v[52:53], v52, v[20:21]
	v_lshrrev_b32_e32 v42, 3, v40
	v_sub_u32_e32 v20, 29, v44
	v_and_b32_e32 v44, 7, v52
	v_cmp_gt_u32_e32 vcc, 8, v40
	v_cndmask_b32_e32 v20, v42, v20, vcc
	v_cndmask_b32_e32 v30, v30, v44, vcc
	v_lshlrev_b32_e32 v40, 16, v18
	v_lshlrev_b32_e32 v30, 20, v30
	v_and_b32_e32 v40, 0x80000000, v40
	v_lshl_add_u32 v20, v20, 23, v38
	v_or3_b32 v30, v40, v20, v30
.LBB616_51:                             ;   in Loop: Header=BB616_17 Depth=1
	s_or_b64 exec, exec, s[10:11]
.LBB616_52:                             ;   in Loop: Header=BB616_17 Depth=1
	s_or_b64 exec, exec, s[6:7]
.LBB616_53:                             ;   in Loop: Header=BB616_17 Depth=1
	s_or_b64 exec, exec, s[4:5]
	v_lshrrev_b32_e32 v20, 16, v18
	v_cmp_ne_u16_sdwa s[6:7], v20, v35 src0_sel:BYTE_0 src1_sel:DWORD
	v_mov_b32_e32 v42, 0
	v_mov_b32_e32 v40, 0
	s_and_saveexec_b64 s[4:5], s[6:7]
	s_cbranch_execz .LBB616_59
; %bb.54:                               ;   in Loop: Header=BB616_17 Depth=1
	v_cmp_ne_u16_sdwa s[10:11], v20, s13 src0_sel:BYTE_0 src1_sel:DWORD
	v_bfrev_b32_e32 v40, 1
	s_and_saveexec_b64 s[6:7], s[10:11]
	s_cbranch_execz .LBB616_58
; %bb.55:                               ;   in Loop: Header=BB616_17 Depth=1
	v_bfe_u32 v44, v18, 16, 7
	v_cmp_ne_u32_e32 vcc, s14, v44
	v_mov_b32_e32 v40, 0x7f800001
	s_and_saveexec_b64 s[10:11], vcc
	s_cbranch_execz .LBB616_57
; %bb.56:                               ;   in Loop: Header=BB616_17 Depth=1
	v_and_b32_e32 v40, 7, v20
	v_ffbh_u32_e32 v52, v40
	v_min_u32_e32 v55, 32, v52
	v_subrev_u32_e32 v52, 28, v55
	v_lshlrev_b64 v[52:53], v52, v[20:21]
	v_lshrrev_b32_e32 v54, 3, v44
	v_sub_u32_e32 v53, 29, v55
	v_and_b32_e32 v52, 7, v52
	v_cmp_gt_u32_e32 vcc, 8, v44
	v_cndmask_b32_e32 v44, v54, v53, vcc
	v_cndmask_b32_e32 v40, v40, v52, vcc
	v_lshlrev_b32_e32 v20, 24, v20
	v_lshlrev_b32_e32 v40, 20, v40
	v_and_b32_e32 v20, 0x80000000, v20
	v_lshl_add_u32 v44, v44, 23, v38
	v_or3_b32 v40, v20, v44, v40
.LBB616_57:                             ;   in Loop: Header=BB616_17 Depth=1
	s_or_b64 exec, exec, s[10:11]
.LBB616_58:                             ;   in Loop: Header=BB616_17 Depth=1
	s_or_b64 exec, exec, s[6:7]
.LBB616_59:                             ;   in Loop: Header=BB616_17 Depth=1
	s_or_b64 exec, exec, s[4:5]
	v_cmp_lt_u32_e32 vcc, s15, v18
	s_and_saveexec_b64 s[4:5], vcc
	s_cbranch_execz .LBB616_65
; %bb.60:                               ;   in Loop: Header=BB616_17 Depth=1
	v_lshrrev_b32_e32 v20, 24, v18
	v_cmp_ne_u32_e32 vcc, s13, v20
	v_bfrev_b32_e32 v42, 1
	s_and_saveexec_b64 s[6:7], vcc
	s_cbranch_execz .LBB616_64
; %bb.61:                               ;   in Loop: Header=BB616_17 Depth=1
	v_bfe_u32 v18, v18, 24, 7
	v_cmp_ne_u32_e32 vcc, s14, v18
	v_mov_b32_e32 v42, 0x7f800001
	s_and_saveexec_b64 s[10:11], vcc
	s_cbranch_execz .LBB616_63
; %bb.62:                               ;   in Loop: Header=BB616_17 Depth=1
	v_and_b32_e32 v42, 7, v20
	v_ffbh_u32_e32 v52, v42
	v_min_u32_e32 v54, 32, v52
	v_subrev_u32_e32 v52, 28, v54
	v_lshlrev_b64 v[52:53], v52, v[20:21]
	v_lshrrev_b32_e32 v44, 3, v18
	v_sub_u32_e32 v53, 29, v54
	v_and_b32_e32 v52, 7, v52
	v_cmp_gt_u32_e32 vcc, 8, v18
	v_cndmask_b32_e32 v18, v44, v53, vcc
	v_cndmask_b32_e32 v42, v42, v52, vcc
	v_lshlrev_b32_e32 v20, 24, v20
	v_lshlrev_b32_e32 v42, 20, v42
	v_and_b32_e32 v20, 0x80000000, v20
	v_lshl_add_u32 v18, v18, 23, v38
	v_or3_b32 v42, v20, v18, v42
.LBB616_63:                             ;   in Loop: Header=BB616_17 Depth=1
	s_or_b64 exec, exec, s[10:11]
.LBB616_64:                             ;   in Loop: Header=BB616_17 Depth=1
	s_or_b64 exec, exec, s[6:7]
.LBB616_65:                             ;   in Loop: Header=BB616_17 Depth=1
	s_or_b64 exec, exec, s[4:5]
	v_cvt_pkrtz_f16_f32 v18, v21, v19
	v_cvt_pkrtz_f16_f32 v19, v23, v32
	;; [unrolled: 1-line block ×4, first 2 shown]
	v_mov_b32_e32 v32, 0
	v_mfma_f32_16x16x16f16 v[18:21], v[18:19], v[2:3], 0
	s_waitcnt vmcnt(1)
	v_cmp_ne_u16_sdwa s[6:7], v28, v35 src0_sel:BYTE_0 src1_sel:DWORD
	v_mov_b32_e32 v34, 0
	v_mfma_f32_16x16x16f16 v[18:21], v[52:53], v[4:5], v[18:21]
	s_and_saveexec_b64 s[4:5], s[6:7]
	s_cbranch_execz .LBB616_71
; %bb.66:                               ;   in Loop: Header=BB616_17 Depth=1
	v_cmp_ne_u16_sdwa s[10:11], v28, s13 src0_sel:BYTE_0 src1_sel:DWORD
	v_bfrev_b32_e32 v34, 1
	s_and_saveexec_b64 s[6:7], s[10:11]
	s_cbranch_execz .LBB616_70
; %bb.67:                               ;   in Loop: Header=BB616_17 Depth=1
	v_and_b32_e32 v23, 0x7f, v28
	v_cmp_ne_u32_e32 vcc, s14, v23
	v_mov_b32_e32 v34, 0x7f800001
	s_and_saveexec_b64 s[10:11], vcc
	s_cbranch_execz .LBB616_69
; %bb.68:                               ;   in Loop: Header=BB616_17 Depth=1
	v_and_b32_e32 v30, 7, v28
	v_ffbh_u32_e32 v40, v30
	v_min_u32_e32 v40, 32, v40
	v_subrev_u32_e32 v42, 28, v40
	v_lshlrev_b64 v[52:53], v42, v[28:29]
	v_lshrrev_b32_e32 v34, 3, v23
	v_sub_u32_e32 v40, 29, v40
	v_and_b32_e32 v42, 7, v52
	v_cmp_gt_u32_e32 vcc, 8, v23
	v_cndmask_b32_e32 v23, v34, v40, vcc
	v_cndmask_b32_e32 v30, v30, v42, vcc
	v_lshlrev_b32_e32 v34, 24, v28
	v_lshlrev_b32_e32 v30, 20, v30
	v_and_b32_e32 v34, 0x80000000, v34
	v_lshl_add_u32 v23, v23, 23, v38
	v_or3_b32 v34, v34, v23, v30
.LBB616_69:                             ;   in Loop: Header=BB616_17 Depth=1
	s_or_b64 exec, exec, s[10:11]
.LBB616_70:                             ;   in Loop: Header=BB616_17 Depth=1
	s_or_b64 exec, exec, s[6:7]
.LBB616_71:                             ;   in Loop: Header=BB616_17 Depth=1
	s_or_b64 exec, exec, s[4:5]
	v_lshrrev_b16_e32 v30, 8, v28
	v_cmp_ne_u16_e32 vcc, 0, v30
	v_mov_b32_e32 v40, 0
	s_and_saveexec_b64 s[4:5], vcc
	s_cbranch_execz .LBB616_77
; %bb.72:                               ;   in Loop: Header=BB616_17 Depth=1
	v_cmp_ne_u16_e32 vcc, s13, v30
	v_bfrev_b32_e32 v40, 1
	s_and_saveexec_b64 s[6:7], vcc
	s_cbranch_execz .LBB616_76
; %bb.73:                               ;   in Loop: Header=BB616_17 Depth=1
	v_and_b32_e32 v23, 0x7f, v30
	v_cmp_ne_u32_e32 vcc, s14, v23
	v_mov_b32_e32 v40, 0x7f800001
	s_and_saveexec_b64 s[10:11], vcc
	s_cbranch_execz .LBB616_75
; %bb.74:                               ;   in Loop: Header=BB616_17 Depth=1
	v_and_b32_e32 v40, 7, v30
	v_ffbh_u32_e32 v44, v40
	v_min_u32_e32 v44, 32, v44
	v_subrev_u32_e32 v52, 28, v44
	v_lshlrev_b64 v[52:53], v52, v[30:31]
	v_lshrrev_b32_e32 v42, 3, v23
	v_sub_u32_e32 v30, 29, v44
	v_and_b32_e32 v44, 7, v52
	v_cmp_gt_u32_e32 vcc, 8, v23
	v_cndmask_b32_e32 v23, v42, v30, vcc
	v_cndmask_b32_e32 v30, v40, v44, vcc
	v_lshlrev_b32_e32 v40, 16, v28
	v_lshlrev_b32_e32 v30, 20, v30
	v_and_b32_e32 v40, 0x80000000, v40
	v_lshl_add_u32 v23, v23, 23, v38
	v_or3_b32 v40, v40, v23, v30
.LBB616_75:                             ;   in Loop: Header=BB616_17 Depth=1
	s_or_b64 exec, exec, s[10:11]
.LBB616_76:                             ;   in Loop: Header=BB616_17 Depth=1
	s_or_b64 exec, exec, s[6:7]
.LBB616_77:                             ;   in Loop: Header=BB616_17 Depth=1
	s_or_b64 exec, exec, s[4:5]
	v_lshrrev_b32_e32 v30, 16, v28
	v_cmp_ne_u16_sdwa s[6:7], v30, v35 src0_sel:BYTE_0 src1_sel:DWORD
	s_and_saveexec_b64 s[4:5], s[6:7]
	s_cbranch_execz .LBB616_83
; %bb.78:                               ;   in Loop: Header=BB616_17 Depth=1
	v_cmp_ne_u16_sdwa s[10:11], v30, s13 src0_sel:BYTE_0 src1_sel:DWORD
	v_bfrev_b32_e32 v32, 1
	s_and_saveexec_b64 s[6:7], s[10:11]
	s_cbranch_execz .LBB616_82
; %bb.79:                               ;   in Loop: Header=BB616_17 Depth=1
	v_bfe_u32 v23, v28, 16, 7
	v_cmp_ne_u32_e32 vcc, s14, v23
	v_mov_b32_e32 v32, 0x7f800001
	s_and_saveexec_b64 s[10:11], vcc
	s_cbranch_execz .LBB616_81
; %bb.80:                               ;   in Loop: Header=BB616_17 Depth=1
	v_and_b32_e32 v32, 7, v30
	v_ffbh_u32_e32 v44, v32
	v_min_u32_e32 v44, 32, v44
	v_subrev_u32_e32 v52, 28, v44
	v_lshlrev_b64 v[52:53], v52, v[30:31]
	v_lshrrev_b32_e32 v42, 3, v23
	v_sub_u32_e32 v44, 29, v44
	v_and_b32_e32 v52, 7, v52
	v_cmp_gt_u32_e32 vcc, 8, v23
	v_cndmask_b32_e32 v23, v42, v44, vcc
	v_cndmask_b32_e32 v32, v32, v52, vcc
	v_lshlrev_b32_e32 v30, 24, v30
	v_lshlrev_b32_e32 v32, 20, v32
	v_and_b32_e32 v30, 0x80000000, v30
	v_lshl_add_u32 v23, v23, 23, v38
	v_or3_b32 v32, v30, v23, v32
.LBB616_81:                             ;   in Loop: Header=BB616_17 Depth=1
	s_or_b64 exec, exec, s[10:11]
.LBB616_82:                             ;   in Loop: Header=BB616_17 Depth=1
	s_or_b64 exec, exec, s[6:7]
.LBB616_83:                             ;   in Loop: Header=BB616_17 Depth=1
	s_or_b64 exec, exec, s[4:5]
	v_cmp_lt_u32_e32 vcc, s15, v28
	v_mov_b32_e32 v42, 0
	v_mov_b32_e32 v44, 0
	s_and_saveexec_b64 s[4:5], vcc
	s_cbranch_execz .LBB616_89
; %bb.84:                               ;   in Loop: Header=BB616_17 Depth=1
	v_lshrrev_b32_e32 v30, 24, v28
	v_cmp_ne_u32_e32 vcc, s13, v30
	v_bfrev_b32_e32 v44, 1
	s_and_saveexec_b64 s[6:7], vcc
	s_cbranch_execz .LBB616_88
; %bb.85:                               ;   in Loop: Header=BB616_17 Depth=1
	v_bfe_u32 v23, v28, 24, 7
	v_cmp_ne_u32_e32 vcc, s14, v23
	v_mov_b32_e32 v44, 0x7f800001
	s_and_saveexec_b64 s[10:11], vcc
	s_cbranch_execz .LBB616_87
; %bb.86:                               ;   in Loop: Header=BB616_17 Depth=1
	v_and_b32_e32 v28, 7, v30
	v_ffbh_u32_e32 v52, v28
	v_min_u32_e32 v54, 32, v52
	v_subrev_u32_e32 v52, 28, v54
	v_lshlrev_b64 v[52:53], v52, v[30:31]
	v_lshrrev_b32_e32 v44, 3, v23
	v_sub_u32_e32 v53, 29, v54
	v_and_b32_e32 v52, 7, v52
	v_cmp_gt_u32_e32 vcc, 8, v23
	v_cndmask_b32_e32 v23, v44, v53, vcc
	v_cndmask_b32_e32 v28, v28, v52, vcc
	v_lshlrev_b32_e32 v30, 24, v30
	v_lshlrev_b32_e32 v28, 20, v28
	v_and_b32_e32 v30, 0x80000000, v30
	v_lshl_add_u32 v23, v23, 23, v38
	v_or3_b32 v44, v30, v23, v28
.LBB616_87:                             ;   in Loop: Header=BB616_17 Depth=1
	s_or_b64 exec, exec, s[10:11]
.LBB616_88:                             ;   in Loop: Header=BB616_17 Depth=1
	s_or_b64 exec, exec, s[6:7]
.LBB616_89:                             ;   in Loop: Header=BB616_17 Depth=1
	s_or_b64 exec, exec, s[4:5]
	s_waitcnt vmcnt(0)
	v_cmp_ne_u16_sdwa s[6:7], v26, v35 src0_sel:BYTE_0 src1_sel:DWORD
	s_and_saveexec_b64 s[4:5], s[6:7]
	s_cbranch_execz .LBB616_95
; %bb.90:                               ;   in Loop: Header=BB616_17 Depth=1
	v_cmp_ne_u16_sdwa s[10:11], v26, s13 src0_sel:BYTE_0 src1_sel:DWORD
	v_bfrev_b32_e32 v42, 1
	s_and_saveexec_b64 s[6:7], s[10:11]
	s_cbranch_execz .LBB616_94
; %bb.91:                               ;   in Loop: Header=BB616_17 Depth=1
	v_and_b32_e32 v23, 0x7f, v26
	v_cmp_ne_u32_e32 vcc, s14, v23
	v_mov_b32_e32 v42, 0x7f800001
	s_and_saveexec_b64 s[10:11], vcc
	s_cbranch_execz .LBB616_93
; %bb.92:                               ;   in Loop: Header=BB616_17 Depth=1
	v_and_b32_e32 v28, 7, v26
	v_ffbh_u32_e32 v42, v28
	v_min_u32_e32 v42, 32, v42
	v_subrev_u32_e32 v52, 28, v42
	v_lshlrev_b64 v[52:53], v52, v[26:27]
	v_lshrrev_b32_e32 v30, 3, v23
	v_sub_u32_e32 v42, 29, v42
	v_and_b32_e32 v52, 7, v52
	v_cmp_gt_u32_e32 vcc, 8, v23
	v_cndmask_b32_e32 v23, v30, v42, vcc
	v_cndmask_b32_e32 v28, v28, v52, vcc
	v_lshlrev_b32_e32 v30, 24, v26
	v_lshlrev_b32_e32 v28, 20, v28
	v_and_b32_e32 v30, 0x80000000, v30
	v_lshl_add_u32 v23, v23, 23, v38
	v_or3_b32 v42, v30, v23, v28
.LBB616_93:                             ;   in Loop: Header=BB616_17 Depth=1
	s_or_b64 exec, exec, s[10:11]
.LBB616_94:                             ;   in Loop: Header=BB616_17 Depth=1
	s_or_b64 exec, exec, s[6:7]
.LBB616_95:                             ;   in Loop: Header=BB616_17 Depth=1
	s_or_b64 exec, exec, s[4:5]
	v_lshrrev_b16_e32 v28, 8, v26
	v_cmp_ne_u16_e32 vcc, 0, v28
	v_mov_b32_e32 v52, 0
	v_mov_b32_e32 v53, 0
	s_and_saveexec_b64 s[4:5], vcc
	s_cbranch_execz .LBB616_101
; %bb.96:                               ;   in Loop: Header=BB616_17 Depth=1
	v_cmp_ne_u16_e32 vcc, s13, v28
	v_bfrev_b32_e32 v53, 1
	s_and_saveexec_b64 s[6:7], vcc
	s_cbranch_execz .LBB616_100
; %bb.97:                               ;   in Loop: Header=BB616_17 Depth=1
	v_and_b32_e32 v23, 0x7f, v28
	v_cmp_ne_u32_e32 vcc, s14, v23
	v_mov_b32_e32 v53, 0x7f800001
	s_and_saveexec_b64 s[10:11], vcc
	s_cbranch_execz .LBB616_99
; %bb.98:                               ;   in Loop: Header=BB616_17 Depth=1
	v_and_b32_e32 v30, 7, v28
	v_ffbh_u32_e32 v54, v30
	v_min_u32_e32 v56, 32, v54
	v_subrev_u32_e32 v54, 28, v56
	v_lshlrev_b64 v[54:55], v54, v[28:29]
	v_lshrrev_b32_e32 v53, 3, v23
	v_sub_u32_e32 v28, 29, v56
	v_and_b32_e32 v54, 7, v54
	v_cmp_gt_u32_e32 vcc, 8, v23
	v_cndmask_b32_e32 v23, v53, v28, vcc
	v_cndmask_b32_e32 v28, v30, v54, vcc
	v_lshlrev_b32_e32 v30, 16, v26
	v_lshlrev_b32_e32 v28, 20, v28
	v_and_b32_e32 v30, 0x80000000, v30
	v_lshl_add_u32 v23, v23, 23, v38
	v_or3_b32 v53, v30, v23, v28
.LBB616_99:                             ;   in Loop: Header=BB616_17 Depth=1
	s_or_b64 exec, exec, s[10:11]
.LBB616_100:                            ;   in Loop: Header=BB616_17 Depth=1
	s_or_b64 exec, exec, s[6:7]
.LBB616_101:                            ;   in Loop: Header=BB616_17 Depth=1
	s_or_b64 exec, exec, s[4:5]
	v_lshrrev_b32_e32 v28, 16, v26
	v_cmp_ne_u16_sdwa s[6:7], v28, v35 src0_sel:BYTE_0 src1_sel:DWORD
	s_and_saveexec_b64 s[4:5], s[6:7]
	s_cbranch_execz .LBB616_107
; %bb.102:                              ;   in Loop: Header=BB616_17 Depth=1
	v_cmp_ne_u16_sdwa s[10:11], v28, s13 src0_sel:BYTE_0 src1_sel:DWORD
	v_bfrev_b32_e32 v52, 1
	s_and_saveexec_b64 s[6:7], s[10:11]
	s_cbranch_execz .LBB616_106
; %bb.103:                              ;   in Loop: Header=BB616_17 Depth=1
	v_bfe_u32 v23, v26, 16, 7
	v_cmp_ne_u32_e32 vcc, s14, v23
	v_mov_b32_e32 v52, 0x7f800001
	s_and_saveexec_b64 s[10:11], vcc
	s_cbranch_execz .LBB616_105
; %bb.104:                              ;   in Loop: Header=BB616_17 Depth=1
	v_and_b32_e32 v30, 7, v28
	v_ffbh_u32_e32 v54, v30
	v_min_u32_e32 v56, 32, v54
	v_subrev_u32_e32 v54, 28, v56
	v_lshlrev_b64 v[54:55], v54, v[28:29]
	v_lshrrev_b32_e32 v52, 3, v23
	v_sub_u32_e32 v55, 29, v56
	v_and_b32_e32 v54, 7, v54
	v_cmp_gt_u32_e32 vcc, 8, v23
	v_cndmask_b32_e32 v23, v52, v55, vcc
	v_cndmask_b32_e32 v30, v30, v54, vcc
	v_lshlrev_b32_e32 v28, 24, v28
	v_lshlrev_b32_e32 v30, 20, v30
	v_and_b32_e32 v28, 0x80000000, v28
	v_lshl_add_u32 v23, v23, 23, v38
	v_or3_b32 v52, v28, v23, v30
.LBB616_105:                            ;   in Loop: Header=BB616_17 Depth=1
	s_or_b64 exec, exec, s[10:11]
.LBB616_106:                            ;   in Loop: Header=BB616_17 Depth=1
	s_or_b64 exec, exec, s[6:7]
.LBB616_107:                            ;   in Loop: Header=BB616_17 Depth=1
	s_or_b64 exec, exec, s[4:5]
	v_cmp_lt_u32_e32 vcc, s15, v26
	v_mov_b32_e32 v23, 0
	v_mov_b32_e32 v54, 0
	s_and_saveexec_b64 s[4:5], vcc
	s_cbranch_execz .LBB616_113
; %bb.108:                              ;   in Loop: Header=BB616_17 Depth=1
	v_lshrrev_b32_e32 v28, 24, v26
	v_cmp_ne_u32_e32 vcc, s13, v28
	v_bfrev_b32_e32 v54, 1
	s_and_saveexec_b64 s[6:7], vcc
	s_cbranch_execz .LBB616_112
; %bb.109:                              ;   in Loop: Header=BB616_17 Depth=1
	v_bfe_u32 v26, v26, 24, 7
	v_cmp_ne_u32_e32 vcc, s14, v26
	v_mov_b32_e32 v54, 0x7f800001
	s_and_saveexec_b64 s[10:11], vcc
	s_cbranch_execz .LBB616_111
; %bb.110:                              ;   in Loop: Header=BB616_17 Depth=1
	v_and_b32_e32 v30, 7, v28
	v_ffbh_u32_e32 v54, v30
	v_min_u32_e32 v57, 32, v54
	v_subrev_u32_e32 v54, 28, v57
	v_lshlrev_b64 v[54:55], v54, v[28:29]
	v_lshrrev_b32_e32 v56, 3, v26
	v_sub_u32_e32 v55, 29, v57
	v_and_b32_e32 v54, 7, v54
	v_cmp_gt_u32_e32 vcc, 8, v26
	v_cndmask_b32_e32 v26, v56, v55, vcc
	v_cndmask_b32_e32 v30, v30, v54, vcc
	v_lshlrev_b32_e32 v28, 24, v28
	v_lshlrev_b32_e32 v30, 20, v30
	v_and_b32_e32 v28, 0x80000000, v28
	v_lshl_add_u32 v26, v26, 23, v38
	v_or3_b32 v54, v28, v26, v30
.LBB616_111:                            ;   in Loop: Header=BB616_17 Depth=1
	s_or_b64 exec, exec, s[10:11]
.LBB616_112:                            ;   in Loop: Header=BB616_17 Depth=1
	s_or_b64 exec, exec, s[6:7]
.LBB616_113:                            ;   in Loop: Header=BB616_17 Depth=1
	s_or_b64 exec, exec, s[4:5]
	v_cvt_pkrtz_f16_f32 v57, v32, v44
	buffer_load_dword v32, v36, s[0:3], 0 offen offset:16
	buffer_load_dword v30, v36, s[0:3], 0 offen offset:20
	;; [unrolled: 1-line block ×4, first 2 shown]
	v_cvt_pkrtz_f16_f32 v56, v34, v40
	s_waitcnt vmcnt(3)
	v_cmp_ne_u16_sdwa s[6:7], v32, v35 src0_sel:BYTE_0 src1_sel:DWORD
	v_mfma_f32_16x16x16f16 v[18:21], v[56:57], v[6:7], v[18:21]
	v_cvt_pkrtz_f16_f32 v56, v42, v53
	v_cvt_pkrtz_f16_f32 v57, v52, v54
	s_nop 1
	v_mfma_f32_16x16x16f16 v[18:21], v[56:57], v[8:9], v[18:21]
	s_and_saveexec_b64 s[4:5], s[6:7]
	s_cbranch_execz .LBB616_119
; %bb.114:                              ;   in Loop: Header=BB616_17 Depth=1
	v_cmp_ne_u16_sdwa s[10:11], v32, s13 src0_sel:BYTE_0 src1_sel:DWORD
	v_bfrev_b32_e32 v23, 1
	s_and_saveexec_b64 s[6:7], s[10:11]
	s_cbranch_execz .LBB616_118
; %bb.115:                              ;   in Loop: Header=BB616_17 Depth=1
	v_and_b32_e32 v34, 0x7f, v32
	v_cmp_ne_u32_e32 vcc, s14, v34
	v_mov_b32_e32 v23, 0x7f800001
	s_and_saveexec_b64 s[10:11], vcc
	s_cbranch_execz .LBB616_117
; %bb.116:                              ;   in Loop: Header=BB616_17 Depth=1
	v_and_b32_e32 v23, 7, v32
	v_ffbh_u32_e32 v42, v23
	v_min_u32_e32 v42, 32, v42
	v_subrev_u32_e32 v44, 28, v42
	v_lshlrev_b64 v[52:53], v44, v[32:33]
	v_lshrrev_b32_e32 v40, 3, v34
	v_sub_u32_e32 v42, 29, v42
	v_and_b32_e32 v44, 7, v52
	v_cmp_gt_u32_e32 vcc, 8, v34
	v_cndmask_b32_e32 v34, v40, v42, vcc
	v_cndmask_b32_e32 v23, v23, v44, vcc
	v_lshlrev_b32_e32 v40, 24, v32
	v_lshlrev_b32_e32 v23, 20, v23
	v_and_b32_e32 v40, 0x80000000, v40
	v_lshl_add_u32 v34, v34, 23, v38
	v_or3_b32 v23, v40, v34, v23
.LBB616_117:                            ;   in Loop: Header=BB616_17 Depth=1
	s_or_b64 exec, exec, s[10:11]
.LBB616_118:                            ;   in Loop: Header=BB616_17 Depth=1
	s_or_b64 exec, exec, s[6:7]
.LBB616_119:                            ;   in Loop: Header=BB616_17 Depth=1
	s_or_b64 exec, exec, s[4:5]
	v_lshrrev_b16_e32 v34, 8, v32
	v_cmp_ne_u16_e32 vcc, 0, v34
	v_mov_b32_e32 v40, 0
	v_mov_b32_e32 v42, 0
	s_and_saveexec_b64 s[4:5], vcc
	s_cbranch_execz .LBB616_125
; %bb.120:                              ;   in Loop: Header=BB616_17 Depth=1
	v_cmp_ne_u16_e32 vcc, s13, v34
	v_bfrev_b32_e32 v42, 1
	s_and_saveexec_b64 s[6:7], vcc
	s_cbranch_execz .LBB616_124
; %bb.121:                              ;   in Loop: Header=BB616_17 Depth=1
	v_and_b32_e32 v44, 0x7f, v34
	v_cmp_ne_u32_e32 vcc, s14, v44
	v_mov_b32_e32 v42, 0x7f800001
	s_and_saveexec_b64 s[10:11], vcc
	s_cbranch_execz .LBB616_123
; %bb.122:                              ;   in Loop: Header=BB616_17 Depth=1
	v_and_b32_e32 v42, 7, v34
	v_ffbh_u32_e32 v52, v42
	v_min_u32_e32 v55, 32, v52
	v_subrev_u32_e32 v52, 28, v55
	v_lshlrev_b64 v[52:53], v52, v[34:35]
	v_lshrrev_b32_e32 v54, 3, v44
	v_sub_u32_e32 v34, 29, v55
	v_and_b32_e32 v52, 7, v52
	v_cmp_gt_u32_e32 vcc, 8, v44
	v_cndmask_b32_e32 v34, v54, v34, vcc
	v_cndmask_b32_e32 v42, v42, v52, vcc
	v_lshlrev_b32_e32 v44, 16, v32
	v_lshlrev_b32_e32 v42, 20, v42
	v_and_b32_e32 v44, 0x80000000, v44
	v_lshl_add_u32 v34, v34, 23, v38
	v_or3_b32 v42, v44, v34, v42
.LBB616_123:                            ;   in Loop: Header=BB616_17 Depth=1
	s_or_b64 exec, exec, s[10:11]
.LBB616_124:                            ;   in Loop: Header=BB616_17 Depth=1
	s_or_b64 exec, exec, s[6:7]
.LBB616_125:                            ;   in Loop: Header=BB616_17 Depth=1
	s_or_b64 exec, exec, s[4:5]
	v_lshrrev_b32_e32 v34, 16, v32
	v_cmp_ne_u16_sdwa s[6:7], v34, v35 src0_sel:BYTE_0 src1_sel:DWORD
	s_and_saveexec_b64 s[4:5], s[6:7]
	s_cbranch_execz .LBB616_131
; %bb.126:                              ;   in Loop: Header=BB616_17 Depth=1
	v_cmp_ne_u16_sdwa s[10:11], v34, s13 src0_sel:BYTE_0 src1_sel:DWORD
	v_bfrev_b32_e32 v40, 1
	s_and_saveexec_b64 s[6:7], s[10:11]
	s_cbranch_execz .LBB616_130
; %bb.127:                              ;   in Loop: Header=BB616_17 Depth=1
	v_bfe_u32 v44, v32, 16, 7
	v_cmp_ne_u32_e32 vcc, s14, v44
	v_mov_b32_e32 v40, 0x7f800001
	s_and_saveexec_b64 s[10:11], vcc
	s_cbranch_execz .LBB616_129
; %bb.128:                              ;   in Loop: Header=BB616_17 Depth=1
	v_and_b32_e32 v40, 7, v34
	v_ffbh_u32_e32 v52, v40
	v_min_u32_e32 v55, 32, v52
	v_subrev_u32_e32 v52, 28, v55
	v_lshlrev_b64 v[52:53], v52, v[34:35]
	v_lshrrev_b32_e32 v54, 3, v44
	v_sub_u32_e32 v53, 29, v55
	v_and_b32_e32 v52, 7, v52
	v_cmp_gt_u32_e32 vcc, 8, v44
	v_cndmask_b32_e32 v44, v54, v53, vcc
	v_cndmask_b32_e32 v40, v40, v52, vcc
	v_lshlrev_b32_e32 v34, 24, v34
	v_lshlrev_b32_e32 v40, 20, v40
	v_and_b32_e32 v34, 0x80000000, v34
	v_lshl_add_u32 v44, v44, 23, v38
	v_or3_b32 v40, v34, v44, v40
.LBB616_129:                            ;   in Loop: Header=BB616_17 Depth=1
	s_or_b64 exec, exec, s[10:11]
.LBB616_130:                            ;   in Loop: Header=BB616_17 Depth=1
	s_or_b64 exec, exec, s[6:7]
.LBB616_131:                            ;   in Loop: Header=BB616_17 Depth=1
	s_or_b64 exec, exec, s[4:5]
	v_cmp_lt_u32_e32 vcc, s15, v32
	v_mov_b32_e32 v44, 0
	v_mov_b32_e32 v52, 0
	s_and_saveexec_b64 s[4:5], vcc
	s_cbranch_execz .LBB616_137
; %bb.132:                              ;   in Loop: Header=BB616_17 Depth=1
	v_lshrrev_b32_e32 v34, 24, v32
	v_cmp_ne_u32_e32 vcc, s13, v34
	v_bfrev_b32_e32 v52, 1
	s_and_saveexec_b64 s[6:7], vcc
	s_cbranch_execz .LBB616_136
; %bb.133:                              ;   in Loop: Header=BB616_17 Depth=1
	v_bfe_u32 v32, v32, 24, 7
	v_cmp_ne_u32_e32 vcc, s14, v32
	v_mov_b32_e32 v52, 0x7f800001
	s_and_saveexec_b64 s[10:11], vcc
	s_cbranch_execz .LBB616_135
; %bb.134:                              ;   in Loop: Header=BB616_17 Depth=1
	v_and_b32_e32 v54, 7, v34
	v_ffbh_u32_e32 v52, v54
	v_min_u32_e32 v56, 32, v52
	v_subrev_u32_e32 v52, 28, v56
	v_lshlrev_b64 v[52:53], v52, v[34:35]
	v_lshrrev_b32_e32 v55, 3, v32
	v_sub_u32_e32 v53, 29, v56
	v_and_b32_e32 v52, 7, v52
	v_cmp_gt_u32_e32 vcc, 8, v32
	v_cndmask_b32_e32 v32, v55, v53, vcc
	v_cndmask_b32_e32 v52, v54, v52, vcc
	v_lshlrev_b32_e32 v34, 24, v34
	v_lshlrev_b32_e32 v52, 20, v52
	v_and_b32_e32 v34, 0x80000000, v34
	v_lshl_add_u32 v32, v32, 23, v38
	v_or3_b32 v52, v34, v32, v52
.LBB616_135:                            ;   in Loop: Header=BB616_17 Depth=1
	s_or_b64 exec, exec, s[10:11]
.LBB616_136:                            ;   in Loop: Header=BB616_17 Depth=1
	s_or_b64 exec, exec, s[6:7]
.LBB616_137:                            ;   in Loop: Header=BB616_17 Depth=1
	s_or_b64 exec, exec, s[4:5]
	s_waitcnt vmcnt(2)
	v_cmp_ne_u16_sdwa s[6:7], v30, v35 src0_sel:BYTE_0 src1_sel:DWORD
	s_and_saveexec_b64 s[4:5], s[6:7]
	s_cbranch_execz .LBB616_143
; %bb.138:                              ;   in Loop: Header=BB616_17 Depth=1
	v_cmp_ne_u16_sdwa s[10:11], v30, s13 src0_sel:BYTE_0 src1_sel:DWORD
	v_bfrev_b32_e32 v44, 1
	s_and_saveexec_b64 s[6:7], s[10:11]
	s_cbranch_execz .LBB616_142
; %bb.139:                              ;   in Loop: Header=BB616_17 Depth=1
	v_and_b32_e32 v32, 0x7f, v30
	v_cmp_ne_u32_e32 vcc, s14, v32
	v_mov_b32_e32 v44, 0x7f800001
	s_and_saveexec_b64 s[10:11], vcc
	s_cbranch_execz .LBB616_141
; %bb.140:                              ;   in Loop: Header=BB616_17 Depth=1
	v_and_b32_e32 v34, 7, v30
	v_ffbh_u32_e32 v53, v34
	v_min_u32_e32 v53, 32, v53
	v_subrev_u32_e32 v54, 28, v53
	v_lshlrev_b64 v[54:55], v54, v[30:31]
	v_lshrrev_b32_e32 v44, 3, v32
	v_sub_u32_e32 v53, 29, v53
	v_and_b32_e32 v54, 7, v54
	v_cmp_gt_u32_e32 vcc, 8, v32
	v_cndmask_b32_e32 v32, v44, v53, vcc
	v_cndmask_b32_e32 v34, v34, v54, vcc
	v_lshlrev_b32_e32 v44, 24, v30
	v_lshlrev_b32_e32 v34, 20, v34
	v_and_b32_e32 v44, 0x80000000, v44
	v_lshl_add_u32 v32, v32, 23, v38
	v_or3_b32 v44, v44, v32, v34
.LBB616_141:                            ;   in Loop: Header=BB616_17 Depth=1
	s_or_b64 exec, exec, s[10:11]
.LBB616_142:                            ;   in Loop: Header=BB616_17 Depth=1
	s_or_b64 exec, exec, s[6:7]
.LBB616_143:                            ;   in Loop: Header=BB616_17 Depth=1
	s_or_b64 exec, exec, s[4:5]
	v_lshrrev_b16_e32 v32, 8, v30
	v_cmp_ne_u16_e32 vcc, 0, v32
	v_mov_b32_e32 v53, 0
	v_mov_b32_e32 v54, 0
	s_and_saveexec_b64 s[4:5], vcc
	s_cbranch_execz .LBB616_149
; %bb.144:                              ;   in Loop: Header=BB616_17 Depth=1
	v_cmp_ne_u16_e32 vcc, s13, v32
	v_bfrev_b32_e32 v54, 1
	s_and_saveexec_b64 s[6:7], vcc
	s_cbranch_execz .LBB616_148
; %bb.145:                              ;   in Loop: Header=BB616_17 Depth=1
	v_and_b32_e32 v34, 0x7f, v32
	v_cmp_ne_u32_e32 vcc, s14, v34
	v_mov_b32_e32 v54, 0x7f800001
	s_and_saveexec_b64 s[10:11], vcc
	s_cbranch_execz .LBB616_147
; %bb.146:                              ;   in Loop: Header=BB616_17 Depth=1
	v_and_b32_e32 v56, 7, v32
	v_ffbh_u32_e32 v54, v56
	v_min_u32_e32 v58, 32, v54
	v_subrev_u32_e32 v54, 28, v58
	v_lshlrev_b64 v[54:55], v54, v[32:33]
	v_lshrrev_b32_e32 v57, 3, v34
	v_sub_u32_e32 v32, 29, v58
	v_and_b32_e32 v54, 7, v54
	v_cmp_gt_u32_e32 vcc, 8, v34
	v_cndmask_b32_e32 v32, v57, v32, vcc
	v_cndmask_b32_e32 v34, v56, v54, vcc
	v_lshlrev_b32_e32 v54, 16, v30
	v_lshlrev_b32_e32 v34, 20, v34
	v_and_b32_e32 v54, 0x80000000, v54
	v_lshl_add_u32 v32, v32, 23, v38
	v_or3_b32 v54, v54, v32, v34
.LBB616_147:                            ;   in Loop: Header=BB616_17 Depth=1
	s_or_b64 exec, exec, s[10:11]
.LBB616_148:                            ;   in Loop: Header=BB616_17 Depth=1
	s_or_b64 exec, exec, s[6:7]
.LBB616_149:                            ;   in Loop: Header=BB616_17 Depth=1
	s_or_b64 exec, exec, s[4:5]
	v_lshrrev_b32_e32 v32, 16, v30
	v_cmp_ne_u16_sdwa s[6:7], v32, v35 src0_sel:BYTE_0 src1_sel:DWORD
	s_and_saveexec_b64 s[4:5], s[6:7]
	s_cbranch_execz .LBB616_155
; %bb.150:                              ;   in Loop: Header=BB616_17 Depth=1
	v_cmp_ne_u16_sdwa s[10:11], v32, s13 src0_sel:BYTE_0 src1_sel:DWORD
	v_bfrev_b32_e32 v53, 1
	s_and_saveexec_b64 s[6:7], s[10:11]
	s_cbranch_execz .LBB616_154
; %bb.151:                              ;   in Loop: Header=BB616_17 Depth=1
	v_bfe_u32 v34, v30, 16, 7
	v_cmp_ne_u32_e32 vcc, s14, v34
	v_mov_b32_e32 v53, 0x7f800001
	s_and_saveexec_b64 s[10:11], vcc
	s_cbranch_execz .LBB616_153
; %bb.152:                              ;   in Loop: Header=BB616_17 Depth=1
	v_and_b32_e32 v53, 7, v32
	v_ffbh_u32_e32 v56, v53
	v_min_u32_e32 v58, 32, v56
	v_subrev_u32_e32 v56, 28, v58
	v_lshlrev_b64 v[56:57], v56, v[32:33]
	v_lshrrev_b32_e32 v55, 3, v34
	v_sub_u32_e32 v57, 29, v58
	v_and_b32_e32 v56, 7, v56
	v_cmp_gt_u32_e32 vcc, 8, v34
	v_cndmask_b32_e32 v34, v55, v57, vcc
	v_cndmask_b32_e32 v53, v53, v56, vcc
	v_lshlrev_b32_e32 v32, 24, v32
	v_lshlrev_b32_e32 v53, 20, v53
	v_and_b32_e32 v32, 0x80000000, v32
	v_lshl_add_u32 v34, v34, 23, v38
	v_or3_b32 v53, v32, v34, v53
.LBB616_153:                            ;   in Loop: Header=BB616_17 Depth=1
	s_or_b64 exec, exec, s[10:11]
.LBB616_154:                            ;   in Loop: Header=BB616_17 Depth=1
	s_or_b64 exec, exec, s[6:7]
.LBB616_155:                            ;   in Loop: Header=BB616_17 Depth=1
	s_or_b64 exec, exec, s[4:5]
	v_cmp_lt_u32_e32 vcc, s15, v30
	v_mov_b32_e32 v34, 0
	v_mov_b32_e32 v55, 0
	s_and_saveexec_b64 s[4:5], vcc
	s_cbranch_execz .LBB616_161
; %bb.156:                              ;   in Loop: Header=BB616_17 Depth=1
	v_lshrrev_b32_e32 v32, 24, v30
	v_cmp_ne_u32_e32 vcc, s13, v32
	v_bfrev_b32_e32 v55, 1
	s_and_saveexec_b64 s[6:7], vcc
	s_cbranch_execz .LBB616_160
; %bb.157:                              ;   in Loop: Header=BB616_17 Depth=1
	v_bfe_u32 v30, v30, 24, 7
	v_cmp_ne_u32_e32 vcc, s14, v30
	v_mov_b32_e32 v55, 0x7f800001
	s_and_saveexec_b64 s[10:11], vcc
	s_cbranch_execz .LBB616_159
; %bb.158:                              ;   in Loop: Header=BB616_17 Depth=1
	v_and_b32_e32 v55, 7, v32
	v_ffbh_u32_e32 v56, v55
	v_min_u32_e32 v59, 32, v56
	v_subrev_u32_e32 v56, 28, v59
	v_lshlrev_b64 v[56:57], v56, v[32:33]
	v_lshrrev_b32_e32 v58, 3, v30
	v_sub_u32_e32 v57, 29, v59
	v_and_b32_e32 v56, 7, v56
	v_cmp_gt_u32_e32 vcc, 8, v30
	v_cndmask_b32_e32 v30, v58, v57, vcc
	v_cndmask_b32_e32 v55, v55, v56, vcc
	v_lshlrev_b32_e32 v32, 24, v32
	v_lshlrev_b32_e32 v55, 20, v55
	v_and_b32_e32 v32, 0x80000000, v32
	v_lshl_add_u32 v30, v30, 23, v38
	v_or3_b32 v55, v32, v30, v55
.LBB616_159:                            ;   in Loop: Header=BB616_17 Depth=1
	s_or_b64 exec, exec, s[10:11]
.LBB616_160:                            ;   in Loop: Header=BB616_17 Depth=1
	s_or_b64 exec, exec, s[6:7]
.LBB616_161:                            ;   in Loop: Header=BB616_17 Depth=1
	s_or_b64 exec, exec, s[4:5]
	v_cvt_pkrtz_f16_f32 v56, v23, v42
	v_cvt_pkrtz_f16_f32 v57, v40, v52
	v_cvt_pkrtz_f16_f32 v52, v44, v54
	v_cvt_pkrtz_f16_f32 v53, v53, v55
	s_waitcnt vmcnt(1)
	v_cmp_ne_u16_sdwa s[6:7], v28, v35 src0_sel:BYTE_0 src1_sel:DWORD
	v_mfma_f32_16x16x16f16 v[18:21], v[56:57], v[10:11], v[18:21]
	v_mfma_f32_16x16x16f16 v[18:21], v[52:53], v[12:13], v[18:21]
	s_and_saveexec_b64 s[4:5], s[6:7]
	s_cbranch_execz .LBB616_167
; %bb.162:                              ;   in Loop: Header=BB616_17 Depth=1
	v_cmp_ne_u16_sdwa s[10:11], v28, s13 src0_sel:BYTE_0 src1_sel:DWORD
	v_bfrev_b32_e32 v34, 1
	s_and_saveexec_b64 s[6:7], s[10:11]
	s_cbranch_execz .LBB616_166
; %bb.163:                              ;   in Loop: Header=BB616_17 Depth=1
	v_and_b32_e32 v23, 0x7f, v28
	v_cmp_ne_u32_e32 vcc, s14, v23
	v_mov_b32_e32 v34, 0x7f800001
	s_and_saveexec_b64 s[10:11], vcc
	s_cbranch_execz .LBB616_165
; %bb.164:                              ;   in Loop: Header=BB616_17 Depth=1
	v_and_b32_e32 v30, 7, v28
	v_ffbh_u32_e32 v34, v30
	v_min_u32_e32 v34, 32, v34
	v_subrev_u32_e32 v40, 28, v34
	v_lshlrev_b64 v[52:53], v40, v[28:29]
	v_lshrrev_b32_e32 v32, 3, v23
	v_sub_u32_e32 v34, 29, v34
	v_and_b32_e32 v40, 7, v52
	v_cmp_gt_u32_e32 vcc, 8, v23
	v_cndmask_b32_e32 v23, v32, v34, vcc
	v_cndmask_b32_e32 v30, v30, v40, vcc
	v_lshlrev_b32_e32 v32, 24, v28
	v_lshlrev_b32_e32 v30, 20, v30
	v_and_b32_e32 v32, 0x80000000, v32
	v_lshl_add_u32 v23, v23, 23, v38
	v_or3_b32 v34, v32, v23, v30
.LBB616_165:                            ;   in Loop: Header=BB616_17 Depth=1
	s_or_b64 exec, exec, s[10:11]
.LBB616_166:                            ;   in Loop: Header=BB616_17 Depth=1
	s_or_b64 exec, exec, s[6:7]
.LBB616_167:                            ;   in Loop: Header=BB616_17 Depth=1
	s_or_b64 exec, exec, s[4:5]
	v_lshrrev_b16_e32 v30, 8, v28
	v_cmp_ne_u16_e32 vcc, 0, v30
	v_mov_b32_e32 v23, 0
	v_mov_b32_e32 v32, 0
	s_and_saveexec_b64 s[4:5], vcc
	s_cbranch_execz .LBB616_173
; %bb.168:                              ;   in Loop: Header=BB616_17 Depth=1
	v_cmp_ne_u16_e32 vcc, s13, v30
	v_bfrev_b32_e32 v32, 1
	s_and_saveexec_b64 s[6:7], vcc
	s_cbranch_execz .LBB616_172
; %bb.169:                              ;   in Loop: Header=BB616_17 Depth=1
	v_and_b32_e32 v40, 0x7f, v30
	v_cmp_ne_u32_e32 vcc, s14, v40
	v_mov_b32_e32 v32, 0x7f800001
	s_and_saveexec_b64 s[10:11], vcc
	s_cbranch_execz .LBB616_171
; %bb.170:                              ;   in Loop: Header=BB616_17 Depth=1
	v_and_b32_e32 v32, 7, v30
	v_ffbh_u32_e32 v44, v32
	v_min_u32_e32 v44, 32, v44
	v_subrev_u32_e32 v52, 28, v44
	v_lshlrev_b64 v[52:53], v52, v[30:31]
	v_lshrrev_b32_e32 v42, 3, v40
	v_sub_u32_e32 v30, 29, v44
	v_and_b32_e32 v44, 7, v52
	v_cmp_gt_u32_e32 vcc, 8, v40
	v_cndmask_b32_e32 v30, v42, v30, vcc
	v_cndmask_b32_e32 v32, v32, v44, vcc
	v_lshlrev_b32_e32 v40, 16, v28
	v_lshlrev_b32_e32 v32, 20, v32
	v_and_b32_e32 v40, 0x80000000, v40
	v_lshl_add_u32 v30, v30, 23, v38
	v_or3_b32 v32, v40, v30, v32
.LBB616_171:                            ;   in Loop: Header=BB616_17 Depth=1
	s_or_b64 exec, exec, s[10:11]
.LBB616_172:                            ;   in Loop: Header=BB616_17 Depth=1
	s_or_b64 exec, exec, s[6:7]
.LBB616_173:                            ;   in Loop: Header=BB616_17 Depth=1
	s_or_b64 exec, exec, s[4:5]
	v_lshrrev_b32_e32 v30, 16, v28
	v_cmp_ne_u16_sdwa s[6:7], v30, v35 src0_sel:BYTE_0 src1_sel:DWORD
	s_and_saveexec_b64 s[4:5], s[6:7]
	s_cbranch_execz .LBB616_179
; %bb.174:                              ;   in Loop: Header=BB616_17 Depth=1
	v_cmp_ne_u16_sdwa s[10:11], v30, s13 src0_sel:BYTE_0 src1_sel:DWORD
	v_bfrev_b32_e32 v23, 1
	s_and_saveexec_b64 s[6:7], s[10:11]
	s_cbranch_execz .LBB616_178
; %bb.175:                              ;   in Loop: Header=BB616_17 Depth=1
	v_bfe_u32 v40, v28, 16, 7
	v_cmp_ne_u32_e32 vcc, s14, v40
	v_mov_b32_e32 v23, 0x7f800001
	s_and_saveexec_b64 s[10:11], vcc
	s_cbranch_execz .LBB616_177
; %bb.176:                              ;   in Loop: Header=BB616_17 Depth=1
	v_and_b32_e32 v23, 7, v30
	v_ffbh_u32_e32 v44, v23
	v_min_u32_e32 v44, 32, v44
	v_subrev_u32_e32 v52, 28, v44
	v_lshlrev_b64 v[52:53], v52, v[30:31]
	v_lshrrev_b32_e32 v42, 3, v40
	v_sub_u32_e32 v44, 29, v44
	v_and_b32_e32 v52, 7, v52
	v_cmp_gt_u32_e32 vcc, 8, v40
	v_cndmask_b32_e32 v40, v42, v44, vcc
	v_cndmask_b32_e32 v23, v23, v52, vcc
	v_lshlrev_b32_e32 v30, 24, v30
	v_lshlrev_b32_e32 v23, 20, v23
	v_and_b32_e32 v30, 0x80000000, v30
	v_lshl_add_u32 v40, v40, 23, v38
	v_or3_b32 v23, v30, v40, v23
.LBB616_177:                            ;   in Loop: Header=BB616_17 Depth=1
	s_or_b64 exec, exec, s[10:11]
.LBB616_178:                            ;   in Loop: Header=BB616_17 Depth=1
	s_or_b64 exec, exec, s[6:7]
.LBB616_179:                            ;   in Loop: Header=BB616_17 Depth=1
	s_or_b64 exec, exec, s[4:5]
	v_cmp_lt_u32_e32 vcc, s15, v28
	v_mov_b32_e32 v40, 0
	v_mov_b32_e32 v42, 0
	s_and_saveexec_b64 s[4:5], vcc
	s_cbranch_execz .LBB616_185
; %bb.180:                              ;   in Loop: Header=BB616_17 Depth=1
	v_lshrrev_b32_e32 v30, 24, v28
	v_cmp_ne_u32_e32 vcc, s13, v30
	v_bfrev_b32_e32 v42, 1
	s_and_saveexec_b64 s[6:7], vcc
	s_cbranch_execz .LBB616_184
; %bb.181:                              ;   in Loop: Header=BB616_17 Depth=1
	v_bfe_u32 v28, v28, 24, 7
	v_cmp_ne_u32_e32 vcc, s14, v28
	v_mov_b32_e32 v42, 0x7f800001
	s_and_saveexec_b64 s[10:11], vcc
	s_cbranch_execz .LBB616_183
; %bb.182:                              ;   in Loop: Header=BB616_17 Depth=1
	v_and_b32_e32 v42, 7, v30
	v_ffbh_u32_e32 v52, v42
	v_min_u32_e32 v54, 32, v52
	v_subrev_u32_e32 v52, 28, v54
	v_lshlrev_b64 v[52:53], v52, v[30:31]
	v_lshrrev_b32_e32 v44, 3, v28
	v_sub_u32_e32 v53, 29, v54
	v_and_b32_e32 v52, 7, v52
	v_cmp_gt_u32_e32 vcc, 8, v28
	v_cndmask_b32_e32 v28, v44, v53, vcc
	v_cndmask_b32_e32 v42, v42, v52, vcc
	v_lshlrev_b32_e32 v30, 24, v30
	v_lshlrev_b32_e32 v42, 20, v42
	v_and_b32_e32 v30, 0x80000000, v30
	v_lshl_add_u32 v28, v28, 23, v38
	v_or3_b32 v42, v30, v28, v42
.LBB616_183:                            ;   in Loop: Header=BB616_17 Depth=1
	s_or_b64 exec, exec, s[10:11]
.LBB616_184:                            ;   in Loop: Header=BB616_17 Depth=1
	s_or_b64 exec, exec, s[6:7]
.LBB616_185:                            ;   in Loop: Header=BB616_17 Depth=1
	s_or_b64 exec, exec, s[4:5]
	s_waitcnt vmcnt(0)
	v_cmp_ne_u16_sdwa s[6:7], v26, v35 src0_sel:BYTE_0 src1_sel:DWORD
	s_and_saveexec_b64 s[4:5], s[6:7]
	s_cbranch_execz .LBB616_191
; %bb.186:                              ;   in Loop: Header=BB616_17 Depth=1
	v_cmp_ne_u16_sdwa s[10:11], v26, s13 src0_sel:BYTE_0 src1_sel:DWORD
	v_bfrev_b32_e32 v40, 1
	s_and_saveexec_b64 s[6:7], s[10:11]
	s_cbranch_execz .LBB616_190
; %bb.187:                              ;   in Loop: Header=BB616_17 Depth=1
	v_and_b32_e32 v28, 0x7f, v26
	v_cmp_ne_u32_e32 vcc, s14, v28
	v_mov_b32_e32 v40, 0x7f800001
	s_and_saveexec_b64 s[10:11], vcc
	s_cbranch_execz .LBB616_189
; %bb.188:                              ;   in Loop: Header=BB616_17 Depth=1
	v_and_b32_e32 v30, 7, v26
	v_ffbh_u32_e32 v44, v30
	v_min_u32_e32 v44, 32, v44
	v_subrev_u32_e32 v52, 28, v44
	v_lshlrev_b64 v[52:53], v52, v[26:27]
	v_lshrrev_b32_e32 v40, 3, v28
	v_sub_u32_e32 v44, 29, v44
	v_and_b32_e32 v52, 7, v52
	v_cmp_gt_u32_e32 vcc, 8, v28
	v_cndmask_b32_e32 v28, v40, v44, vcc
	v_cndmask_b32_e32 v30, v30, v52, vcc
	v_lshlrev_b32_e32 v40, 24, v26
	v_lshlrev_b32_e32 v30, 20, v30
	v_and_b32_e32 v40, 0x80000000, v40
	v_lshl_add_u32 v28, v28, 23, v38
	v_or3_b32 v40, v40, v28, v30
.LBB616_189:                            ;   in Loop: Header=BB616_17 Depth=1
	s_or_b64 exec, exec, s[10:11]
.LBB616_190:                            ;   in Loop: Header=BB616_17 Depth=1
	s_or_b64 exec, exec, s[6:7]
.LBB616_191:                            ;   in Loop: Header=BB616_17 Depth=1
	s_or_b64 exec, exec, s[4:5]
	v_lshrrev_b16_e32 v28, 8, v26
	v_cmp_ne_u16_e32 vcc, 0, v28
	v_mov_b32_e32 v30, 0
	v_mov_b32_e32 v44, 0
	s_and_saveexec_b64 s[4:5], vcc
	s_cbranch_execz .LBB616_197
; %bb.192:                              ;   in Loop: Header=BB616_17 Depth=1
	v_cmp_ne_u16_e32 vcc, s13, v28
	v_bfrev_b32_e32 v44, 1
	s_and_saveexec_b64 s[6:7], vcc
	s_cbranch_execz .LBB616_196
; %bb.193:                              ;   in Loop: Header=BB616_17 Depth=1
	v_and_b32_e32 v52, 0x7f, v28
	v_cmp_ne_u32_e32 vcc, s14, v52
	v_mov_b32_e32 v44, 0x7f800001
	s_and_saveexec_b64 s[10:11], vcc
	s_cbranch_execz .LBB616_195
; %bb.194:                              ;   in Loop: Header=BB616_17 Depth=1
	v_and_b32_e32 v44, 7, v28
	v_ffbh_u32_e32 v54, v44
	v_min_u32_e32 v56, 32, v54
	v_subrev_u32_e32 v54, 28, v56
	v_lshlrev_b64 v[54:55], v54, v[28:29]
	v_lshrrev_b32_e32 v53, 3, v52
	v_sub_u32_e32 v28, 29, v56
	v_and_b32_e32 v54, 7, v54
	v_cmp_gt_u32_e32 vcc, 8, v52
	v_cndmask_b32_e32 v28, v53, v28, vcc
	v_cndmask_b32_e32 v44, v44, v54, vcc
	v_lshlrev_b32_e32 v52, 16, v26
	v_lshlrev_b32_e32 v44, 20, v44
	v_and_b32_e32 v52, 0x80000000, v52
	v_lshl_add_u32 v28, v28, 23, v38
	v_or3_b32 v44, v52, v28, v44
.LBB616_195:                            ;   in Loop: Header=BB616_17 Depth=1
	s_or_b64 exec, exec, s[10:11]
.LBB616_196:                            ;   in Loop: Header=BB616_17 Depth=1
	s_or_b64 exec, exec, s[6:7]
.LBB616_197:                            ;   in Loop: Header=BB616_17 Depth=1
	s_or_b64 exec, exec, s[4:5]
	v_lshrrev_b32_e32 v28, 16, v26
	v_cmp_ne_u16_sdwa s[6:7], v28, v35 src0_sel:BYTE_0 src1_sel:DWORD
	s_and_saveexec_b64 s[4:5], s[6:7]
	s_cbranch_execz .LBB616_203
; %bb.198:                              ;   in Loop: Header=BB616_17 Depth=1
	v_cmp_ne_u16_sdwa s[10:11], v28, s13 src0_sel:BYTE_0 src1_sel:DWORD
	v_bfrev_b32_e32 v30, 1
	s_and_saveexec_b64 s[6:7], s[10:11]
	s_cbranch_execz .LBB616_202
; %bb.199:                              ;   in Loop: Header=BB616_17 Depth=1
	v_bfe_u32 v52, v26, 16, 7
	v_cmp_ne_u32_e32 vcc, s14, v52
	v_mov_b32_e32 v30, 0x7f800001
	s_and_saveexec_b64 s[10:11], vcc
	s_cbranch_execz .LBB616_201
; %bb.200:                              ;   in Loop: Header=BB616_17 Depth=1
	v_and_b32_e32 v30, 7, v28
	v_ffbh_u32_e32 v54, v30
	v_min_u32_e32 v56, 32, v54
	v_subrev_u32_e32 v54, 28, v56
	v_lshlrev_b64 v[54:55], v54, v[28:29]
	v_lshrrev_b32_e32 v53, 3, v52
	v_sub_u32_e32 v55, 29, v56
	v_and_b32_e32 v54, 7, v54
	v_cmp_gt_u32_e32 vcc, 8, v52
	v_cndmask_b32_e32 v52, v53, v55, vcc
	v_cndmask_b32_e32 v30, v30, v54, vcc
	v_lshlrev_b32_e32 v28, 24, v28
	v_lshlrev_b32_e32 v30, 20, v30
	v_and_b32_e32 v28, 0x80000000, v28
	v_lshl_add_u32 v52, v52, 23, v38
	v_or3_b32 v30, v28, v52, v30
.LBB616_201:                            ;   in Loop: Header=BB616_17 Depth=1
	s_or_b64 exec, exec, s[10:11]
.LBB616_202:                            ;   in Loop: Header=BB616_17 Depth=1
	s_or_b64 exec, exec, s[6:7]
.LBB616_203:                            ;   in Loop: Header=BB616_17 Depth=1
	s_or_b64 exec, exec, s[4:5]
	v_cmp_lt_u32_e32 vcc, s15, v26
	v_mov_b32_e32 v52, 0
	s_and_saveexec_b64 s[4:5], vcc
	s_cbranch_execz .LBB616_16
; %bb.204:                              ;   in Loop: Header=BB616_17 Depth=1
	v_lshrrev_b32_e32 v28, 24, v26
	v_cmp_ne_u32_e32 vcc, s13, v28
	v_bfrev_b32_e32 v52, 1
	s_and_saveexec_b64 s[6:7], vcc
	s_cbranch_execz .LBB616_15
; %bb.205:                              ;   in Loop: Header=BB616_17 Depth=1
	v_bfe_u32 v26, v26, 24, 7
	v_cmp_ne_u32_e32 vcc, s14, v26
	v_mov_b32_e32 v52, 0x7f800001
	s_and_saveexec_b64 s[10:11], vcc
	s_cbranch_execz .LBB616_14
; %bb.206:                              ;   in Loop: Header=BB616_17 Depth=1
	v_and_b32_e32 v54, 7, v28
	v_ffbh_u32_e32 v52, v54
	v_min_u32_e32 v56, 32, v52
	v_subrev_u32_e32 v52, 28, v56
	v_lshlrev_b64 v[52:53], v52, v[28:29]
	v_lshrrev_b32_e32 v55, 3, v26
	v_sub_u32_e32 v53, 29, v56
	v_and_b32_e32 v52, 7, v52
	v_cmp_gt_u32_e32 vcc, 8, v26
	v_cndmask_b32_e32 v26, v55, v53, vcc
	v_cndmask_b32_e32 v52, v54, v52, vcc
	v_lshlrev_b32_e32 v28, 24, v28
	v_lshlrev_b32_e32 v52, 20, v52
	v_and_b32_e32 v28, 0x80000000, v28
	v_lshl_add_u32 v26, v26, 23, v38
	v_or3_b32 v52, v28, v26, v52
	s_branch .LBB616_14
.LBB616_207:
	buffer_load_dword v17, off, s[0:3], 0 offset:256
	buffer_load_dword v16, off, s[0:3], 0 offset:260
	;; [unrolled: 1-line block ×16, first 2 shown]
	v_and_b32_e32 v18, 0xc0, v0
	v_add_u32_e32 v18, s20, v18
	v_lshl_or_b32 v18, v1, 2, v18
	v_or_b32_e32 v20, 1, v18
	v_subrev_u32_e32 v24, s33, v20
	v_add_u32_e32 v26, 1, v24
	v_cvt_f32_i32_e32 v25, v24
	v_add_u32_e32 v28, 2, v24
	v_add_u32_e32 v30, 3, v24
	;; [unrolled: 1-line block ×14, first 2 shown]
	v_cvt_f32_i32_e32 v26, v26
	v_cvt_f32_i32_e32 v28, v28
	;; [unrolled: 1-line block ×4, first 2 shown]
	v_mov_b32_e32 v19, 0xff7fffff
	v_or_b32_e32 v21, 2, v18
	v_or_b32_e32 v22, 3, v18
	v_cvt_f32_i32_e32 v32, v32
	v_cvt_f32_i32_e32 v34, v34
	v_cmp_gt_i32_e64 s[28:29], s33, v18
	v_cmp_gt_i32_e64 s[30:31], s33, v20
	s_mov_b32 s52, 0xff7fffff
	v_cmp_gt_i32_e64 s[34:35], s33, v21
	v_cmp_gt_i32_e64 s[36:37], s33, v22
	v_or_b32_e32 v23, 16, v18
	v_cvt_f32_i32_e32 v35, v35
	v_cvt_f32_i32_e32 v36, v36
	v_cmp_gt_i32_e64 s[24:25], s33, v23
	v_cvt_f32_i32_e32 v37, v37
	v_cvt_f32_i32_e32 v38, v38
	;; [unrolled: 1-line block ×7, first 2 shown]
	s_waitcnt vmcnt(15)
	v_fmac_f32_e32 v17, v31, v25
	s_waitcnt vmcnt(14)
	v_fmac_f32_e32 v16, v31, v26
	;; [unrolled: 2-line block ×4, first 2 shown]
	v_cndmask_b32_e64 v20, v19, v16, s[30:31]
	v_cndmask_b32_e64 v21, v19, v15, s[34:35]
	;; [unrolled: 1-line block ×3, first 2 shown]
	s_waitcnt vmcnt(11)
	v_fmac_f32_e32 v13, v31, v32
	s_waitcnt vmcnt(10)
	v_fmac_f32_e32 v12, v31, v34
	;; [unrolled: 2-line block ×9, first 2 shown]
	v_cndmask_b32_e64 v24, v19, v17, s[28:29]
	v_max3_f32 v20, v24, s52, v20
	v_max3_f32 v20, v20, v21, v22
	v_or_b32_e32 v22, 17, v18
	v_cmp_gt_i32_e64 s[38:39], s33, v22
	v_cndmask_b32_e64 v21, v19, v13, s[24:25]
	v_cndmask_b32_e64 v22, v19, v12, s[38:39]
	v_max3_f32 v20, v20, v21, v22
	v_or_b32_e32 v21, 18, v18
	v_or_b32_e32 v22, 19, v18
	v_cmp_gt_i32_e64 s[20:21], s33, v21
	v_cmp_gt_i32_e64 s[22:23], s33, v22
	v_cndmask_b32_e64 v21, v19, v11, s[20:21]
	v_cndmask_b32_e64 v22, v19, v10, s[22:23]
	v_max3_f32 v20, v20, v21, v22
	v_or_b32_e32 v21, 32, v18
	v_or_b32_e32 v22, 33, v18
	v_cmp_gt_i32_e64 s[16:17], s33, v21
	;; [unrolled: 7-line block ×3, first 2 shown]
	v_cmp_gt_i32_e64 s[14:15], s33, v22
	v_cndmask_b32_e64 v21, v19, v7, s[12:13]
	v_cndmask_b32_e64 v22, v19, v6, s[14:15]
	v_max3_f32 v20, v20, v21, v22
	v_or_b32_e32 v21, 48, v18
	v_or_b32_e32 v22, 49, v18
	v_fmac_f32_e32 v5, v31, v44
	v_fmac_f32_e32 v4, v31, v52
	v_cmp_gt_i32_e64 s[6:7], s33, v21
	v_cmp_gt_i32_e64 s[10:11], s33, v22
	v_cndmask_b32_e64 v21, v19, v5, s[6:7]
	v_cndmask_b32_e64 v22, v19, v4, s[10:11]
	v_max3_f32 v20, v20, v21, v22
	v_or_b32_e32 v21, 50, v18
	v_or_b32_e32 v18, 51, v18
	v_fmac_f32_e32 v3, v31, v53
	v_cmp_gt_i32_e32 vcc, s33, v21
	v_cmp_gt_i32_e64 s[4:5], s33, v18
	v_cndmask_b32_e32 v21, v19, v3, vcc
	v_cndmask_b32_e64 v18, v19, v2, s[4:5]
	v_mbcnt_lo_u32_b32 v19, -1, 0
	v_mbcnt_hi_u32_b32 v19, -1, v19
	v_max3_f32 v18, v20, v21, v18
	v_and_b32_e32 v20, 64, v19
	v_add_u32_e32 v20, 64, v20
	v_xor_b32_e32 v21, 32, v19
	v_cmp_lt_i32_e64 s[40:41], v21, v20
	v_cndmask_b32_e64 v21, v19, v21, s[40:41]
	v_lshlrev_b32_e32 v21, 2, v21
	ds_bpermute_b32 v22, v21, v18
	s_waitcnt lgkmcnt(0)
	v_max_f32_e32 v22, v22, v22
	v_max_f32_e32 v18, v18, v22
	v_xor_b32_e32 v22, 16, v19
	v_cmp_lt_i32_e64 s[40:41], v22, v20
	v_cndmask_b32_e64 v19, v19, v22, s[40:41]
	v_lshlrev_b32_e32 v19, 2, v19
	ds_bpermute_b32 v20, v19, v18
	s_waitcnt lgkmcnt(0)
	v_max_f32_e32 v20, v20, v20
	v_max_f32_e32 v18, v18, v20
	v_sub_f32_e32 v17, v17, v18
	v_mul_f32_e32 v17, 0x3fb8aa3b, v17
	v_sub_f32_e32 v16, v16, v18
	v_exp_f32_e32 v17, v17
	v_mul_f32_e32 v16, 0x3fb8aa3b, v16
	v_sub_f32_e32 v15, v15, v18
	v_exp_f32_e32 v16, v16
	v_mul_f32_e32 v15, 0x3fb8aa3b, v15
	v_sub_f32_e32 v14, v14, v18
	v_exp_f32_e32 v15, v15
	v_mul_f32_e32 v14, 0x3fb8aa3b, v14
	v_sub_f32_e32 v13, v13, v18
	v_exp_f32_e32 v14, v14
	v_mul_f32_e32 v13, 0x3fb8aa3b, v13
	v_sub_f32_e32 v12, v12, v18
	v_cndmask_b32_e64 v17, 0, v17, s[28:29]
	v_exp_f32_e32 v13, v13
	v_mul_f32_e32 v12, 0x3fb8aa3b, v12
	v_sub_f32_e32 v11, v11, v18
	v_add_f32_e32 v20, 0, v17
	v_cndmask_b32_e64 v16, 0, v16, s[30:31]
	v_exp_f32_e32 v12, v12
	v_mul_f32_e32 v11, 0x3fb8aa3b, v11
	v_sub_f32_e32 v10, v10, v18
	v_add_f32_e32 v20, v20, v16
	;; [unrolled: 5-line block ×4, first 2 shown]
	v_cndmask_b32_e64 v13, 0, v13, s[24:25]
	v_exp_f32_e32 v9, v9
	v_mul_f32_e32 v8, 0x3fb8aa3b, v8
	v_sub_f32_e32 v7, v7, v18
	buffer_store_dword v17, off, s[0:3], 0 offset:256
	buffer_store_dword v16, off, s[0:3], 0 offset:260
	;; [unrolled: 1-line block ×4, first 2 shown]
	v_add_f32_e32 v14, v20, v13
	v_cndmask_b32_e64 v12, 0, v12, s[38:39]
	v_exp_f32_e32 v8, v8
	v_mul_f32_e32 v7, 0x3fb8aa3b, v7
	v_sub_f32_e32 v6, v6, v18
	v_add_f32_e32 v14, v14, v12
	v_cndmask_b32_e64 v11, 0, v11, s[20:21]
	v_exp_f32_e32 v7, v7
	v_mul_f32_e32 v6, 0x3fb8aa3b, v6
	v_sub_f32_e32 v5, v5, v18
	;; [unrolled: 5-line block ×4, first 2 shown]
	buffer_store_dword v13, off, s[0:3], 0 offset:272
	buffer_store_dword v12, off, s[0:3], 0 offset:276
	;; [unrolled: 1-line block ×4, first 2 shown]
	v_add_f32_e32 v10, v14, v9
	v_cndmask_b32_e64 v8, 0, v8, s[18:19]
	v_exp_f32_e32 v4, v4
	v_mul_f32_e32 v3, 0x3fb8aa3b, v3
	v_sub_f32_e32 v2, v2, v18
	v_add_f32_e32 v10, v10, v8
	v_cndmask_b32_e64 v7, 0, v7, s[12:13]
	v_exp_f32_e32 v3, v3
	v_mul_f32_e32 v2, 0x3fb8aa3b, v2
	v_add_f32_e32 v10, v10, v7
	v_cndmask_b32_e64 v6, 0, v6, s[14:15]
	v_exp_f32_e32 v2, v2
	v_add_f32_e32 v10, v10, v6
	v_cndmask_b32_e64 v5, 0, v5, s[6:7]
	buffer_store_dword v9, off, s[0:3], 0 offset:288
	buffer_store_dword v8, off, s[0:3], 0 offset:292
	;; [unrolled: 1-line block ×4, first 2 shown]
	v_add_f32_e32 v6, v10, v5
	v_cndmask_b32_e64 v4, 0, v4, s[10:11]
	v_add_f32_e32 v6, v6, v4
	v_cndmask_b32_e32 v3, 0, v3, vcc
	v_add_f32_e32 v6, v6, v3
	v_cndmask_b32_e64 v2, 0, v2, s[4:5]
	v_add_f32_e32 v6, v6, v2
	ds_bpermute_b32 v7, v21, v6
	buffer_store_dword v5, off, s[0:3], 0 offset:304
	buffer_store_dword v4, off, s[0:3], 0 offset:308
	;; [unrolled: 1-line block ×4, first 2 shown]
	v_cmp_gt_u32_e32 vcc, 16, v33
	s_waitcnt lgkmcnt(0)
	s_barrier
	v_add_f32_e32 v2, v6, v7
	ds_bpermute_b32 v3, v19, v2
	s_waitcnt lgkmcnt(0)
	s_and_saveexec_b64 s[4:5], vcc
	s_cbranch_execz .LBB616_209
; %bb.208:
	v_add_f32_e32 v2, v2, v3
	v_lshlrev_b32_e32 v3, 2, v29
	ds_write2st64_b32 v3, v18, v2 offset1:1
.LBB616_209:
	s_or_b64 exec, exec, s[4:5]
	v_lshlrev_b32_e32 v2, 2, v41
	s_waitcnt lgkmcnt(0)
	s_barrier
	ds_read2_b32 v[12:13], v2 offset1:16
	ds_read2_b32 v[14:15], v2 offset0:32 offset1:48
	ds_read2_b32 v[6:7], v2 offset0:64 offset1:80
	;; [unrolled: 1-line block ×3, first 2 shown]
	s_waitcnt lgkmcnt(0)
	s_barrier
	buffer_load_dword v20, off, s[0:3], 0 offset:256
	buffer_load_dword v21, off, s[0:3], 0 offset:260
	;; [unrolled: 1-line block ×16, first 2 shown]
	v_lshlrev_b32_e32 v19, 3, v1
	v_lshlrev_b32_e32 v18, 5, v41
	;; [unrolled: 1-line block ×3, first 2 shown]
	v_or3_b32 v52, v26, v18, v19
	v_max3_f32 v19, v12, s52, v13
	v_max3_f32 v19, v19, v14, v15
	v_sub_f32_e32 v12, v12, v19
	v_sub_f32_e32 v13, v13, v19
	v_mul_f32_e32 v12, 0x3fb8aa3b, v12
	v_sub_f32_e32 v14, v14, v19
	v_mul_f32_e32 v13, 0x3fb8aa3b, v13
	v_exp_f32_e32 v12, v12
	v_sub_f32_e32 v15, v15, v19
	v_mul_f32_e32 v14, 0x3fb8aa3b, v14
	v_exp_f32_e32 v13, v13
	v_mul_f32_e32 v15, 0x3fb8aa3b, v15
	v_exp_f32_e32 v14, v14
	v_exp_f32_e32 v15, v15
	v_fma_f32 v6, v12, v6, 0
	v_fmac_f32_e32 v6, v13, v7
	v_fmac_f32_e32 v6, v14, v10
	;; [unrolled: 1-line block ×3, first 2 shown]
	v_cmp_eq_u32_e32 vcc, 1, v27
	v_add_f32_e32 v10, 0x358637bd, v6
	v_cndmask_b32_e32 v12, v12, v13, vcc
	v_cmp_eq_u32_e32 vcc, 2, v27
	v_div_scale_f32 v11, s[4:5], v10, v10, 1.0
	v_cndmask_b32_e32 v7, v12, v14, vcc
	v_rcp_f32_e32 v12, v11
	v_cmp_eq_u32_e32 vcc, 3, v27
	v_cndmask_b32_e32 v7, v7, v15, vcc
	v_div_scale_f32 v13, vcc, 1.0, v10, 1.0
	v_fma_f32 v14, -v11, v12, 1.0
	v_fmac_f32_e32 v12, v14, v12
	v_mul_f32_e32 v14, v13, v12
	v_fma_f32 v15, -v11, v14, v13
	v_fmac_f32_e32 v14, v15, v12
	v_fma_f32 v11, -v11, v14, v13
	v_div_fmas_f32 v11, v11, v12, v14
	v_div_fixup_f32 v10, v11, v10, 1.0
	v_mul_f32_e32 v10, v7, v10
	s_mul_i32 s18, s49, 11
	v_cmp_gt_u32_e32 vcc, 11, v0
	s_waitcnt vmcnt(14)
	v_pk_mul_f32 v[14:15], v[10:11], v[20:21] op_sel_hi:[0,1]
	v_cvt_f16_f32_e32 v7, v14
	s_waitcnt vmcnt(12)
	v_pk_mul_f32 v[12:13], v[10:11], v[22:23] op_sel_hi:[0,1]
	buffer_store_dword v14, off, s[0:3], 0 offset:256
	buffer_store_dword v15, off, s[0:3], 0 offset:260
	;; [unrolled: 1-line block ×3, first 2 shown]
	s_waitcnt vmcnt(13)
	v_pk_mul_f32 v[20:21], v[10:11], v[24:25] op_sel_hi:[0,1]
	v_cvt_f16_f32_e32 v14, v12
	s_waitcnt vmcnt(11)
	v_pk_mul_f32 v[22:23], v[10:11], v[28:29] op_sel_hi:[0,1]
	v_cvt_f16_f32_e32 v11, v15
	v_cvt_f16_f32_e32 v15, v13
	buffer_store_dword v13, off, s[0:3], 0 offset:268
	buffer_store_dword v22, off, s[0:3], 0 offset:272
	;; [unrolled: 1-line block ×3, first 2 shown]
	v_pack_b32_f16 v12, v7, v11
	v_cvt_f16_f32_e32 v11, v23
	v_pack_b32_f16 v13, v14, v15
	v_cvt_f16_f32_e32 v7, v22
	v_cvt_f16_f32_e32 v15, v20
	;; [unrolled: 1-line block ×3, first 2 shown]
	s_waitcnt vmcnt(12)
	v_pk_mul_f32 v[4:5], v[10:11], v[4:5] op_sel_hi:[0,1]
	v_pack_b32_f16 v14, v7, v11
	s_waitcnt vmcnt(10)
	v_pk_mul_f32 v[2:3], v[10:11], v[2:3] op_sel_hi:[0,1]
	v_pack_b32_f16 v15, v15, v22
	v_cvt_f16_f32_e32 v11, v5
	buffer_store_dword v20, off, s[0:3], 0 offset:280
	buffer_store_dword v21, off, s[0:3], 0 offset:284
	ds_write2st64_b64 v52, v[12:13], v[14:15] offset1:1
	buffer_store_dword v2, off, s[0:3], 0 offset:288
	buffer_store_dword v3, off, s[0:3], 0 offset:292
	v_cvt_f16_f32_e32 v2, v2
	v_cvt_f16_f32_e32 v3, v3
	;; [unrolled: 1-line block ×3, first 2 shown]
	buffer_store_dword v4, off, s[0:3], 0 offset:296
	buffer_store_dword v5, off, s[0:3], 0 offset:300
	s_waitcnt vmcnt(12)
	v_pk_mul_f32 v[4:5], v[10:11], v[16:17] op_sel_hi:[0,1]
	v_pk_mul_f32 v[8:9], v[10:11], v[8:9] op_sel_hi:[0,1]
	v_pack_b32_f16 v2, v2, v3
	v_pack_b32_f16 v3, v7, v11
	buffer_store_dword v8, off, s[0:3], 0 offset:304
	buffer_store_dword v9, off, s[0:3], 0 offset:308
	v_cvt_f16_f32_e32 v7, v8
	v_cvt_f16_f32_e32 v8, v9
	;; [unrolled: 1-line block ×4, first 2 shown]
	buffer_store_dword v4, off, s[0:3], 0 offset:312
	buffer_store_dword v5, off, s[0:3], 0 offset:316
	v_pack_b32_f16 v4, v7, v8
	v_pack_b32_f16 v5, v9, v10
	ds_write2st64_b64 v52, v[2:3], v[4:5] offset0:2 offset1:3
	s_and_saveexec_b64 s[4:5], vcc
	s_cbranch_execz .LBB616_211
; %bb.210:
	v_add_co_u32_e32 v4, vcc, s27, v41
	v_addc_co_u32_e64 v5, s[6:7], 0, 0, vcc
	v_mov_b32_e32 v2, s18
	v_mad_u64_u32 v[4:5], s[6:7], s8, v2, v[4:5]
	v_mov_b32_e32 v3, 0
	s_mul_i32 s6, s9, s18
	v_mov_b32_e32 v2, s26
	v_add_u32_e32 v5, s6, v5
	v_mad_u64_u32 v[2:3], s[6:7], v4, s48, v[2:3]
	v_mov_b32_e32 v4, v3
	v_mad_u64_u32 v[4:5], s[6:7], v5, s48, v[4:5]
	v_mov_b32_e32 v3, v4
	v_lshlrev_b64 v[2:3], 2, v[2:3]
	v_mov_b32_e32 v5, s47
	v_add_co_u32_e32 v4, vcc, s46, v2
	v_addc_co_u32_e32 v5, vcc, v5, v3, vcc
	global_store_dword v[4:5], v19, off
	v_mov_b32_e32 v4, s45
	v_add_co_u32_e32 v2, vcc, s44, v2
	v_addc_co_u32_e32 v3, vcc, v4, v3, vcc
	global_store_dword v[2:3], v6, off
.LBB616_211:
	s_or_b64 exec, exec, s[4:5]
	v_lshl_or_b32 v30, v1, 9, v18
	s_waitcnt lgkmcnt(0)
	s_barrier
	s_load_dword s4, s[42:43], 0x0
	ds_read_b128 v[2:5], v30
	ds_read_b128 v[6:9], v30 offset:16
	ds_read_b128 v[10:13], v30 offset:2048
	;; [unrolled: 1-line block ×7, first 2 shown]
	v_mov_b32_e32 v35, 0x80
	v_mov_b32_e32 v53, 0x140
	s_mov_b64 s[10:11], -1
	s_waitcnt lgkmcnt(0)
	s_mov_b32 s5, s4
	s_mov_b32 s6, s4
	;; [unrolled: 1-line block ×3, first 2 shown]
	s_movk_i32 s9, 0x80
	s_movk_i32 s19, 0x7f
	s_mov_b32 s20, 0xffffff
	v_mov_b32_e32 v54, 0
	v_bfrev_b32_e32 v55, 60
	s_branch .LBB616_215
.LBB616_212:                            ;   in Loop: Header=BB616_215 Depth=1
	s_or_b64 exec, exec, s[16:17]
.LBB616_213:                            ;   in Loop: Header=BB616_215 Depth=1
	s_or_b64 exec, exec, s[14:15]
.LBB616_214:                            ;   in Loop: Header=BB616_215 Depth=1
	s_or_b64 exec, exec, s[12:13]
	v_cvt_pkrtz_f16_f32 v60, v46, v50
	v_cvt_pkrtz_f16_f32 v61, v44, v56
	s_xor_b64 s[12:13], s[10:11], -1
	s_mov_b64 s[10:11], 0
	v_mov_b32_e32 v46, v47
	v_mfma_f32_16x16x16f16 v[60:63], v[60:61], v[30:31], v[34:37]
	v_mov_b32_e32 v50, v49
	s_and_b64 vcc, exec, s[12:13]
	s_nop 4
	v_cvt_pkrtz_f16_f32 v36, v51, v57
	v_cvt_pkrtz_f16_f32 v37, v42, v58
	v_mov_b32_e32 v35, v45
	v_mov_b32_e32 v51, v48
	v_mfma_f32_16x16x16f16 v[56:59], v[36:37], v[32:33], v[60:63]
	s_nop 7
	s_nop 2
	v_pk_mul_f32 v[56:57], v[56:57], s[4:5]
	v_pk_mul_f32 v[36:37], v[58:59], s[6:7]
	v_cvt_f16_f32_e32 v34, v56
	v_cvt_f16_f32_e32 v38, v57
	;; [unrolled: 1-line block ×4, first 2 shown]
	v_pack_b32_f16 v34, v34, v38
	v_pack_b32_f16 v36, v36, v37
	buffer_store_dword v34, v53, s[0:3], 0 offen
	buffer_store_dword v36, v53, s[0:3], 0 offen offset:4
	v_mov_b32_e32 v53, 0x148
	s_cbranch_vccnz .LBB616_597
.LBB616_215:                            ; =>This Inner Loop Header: Depth=1
	buffer_load_dword v36, v35, s[0:3], 0 offen
	buffer_load_dword v34, v35, s[0:3], 0 offen offset:4
	buffer_load_dword v40, v35, s[0:3], 0 offen offset:8
	;; [unrolled: 1-line block ×3, first 2 shown]
	v_mov_b32_e32 v35, 0
	s_waitcnt vmcnt(3)
	v_cmp_ne_u16_sdwa s[14:15], v36, v54 src0_sel:BYTE_0 src1_sel:DWORD
	s_and_saveexec_b64 s[12:13], s[14:15]
	s_cbranch_execz .LBB616_221
; %bb.216:                              ;   in Loop: Header=BB616_215 Depth=1
	v_cmp_ne_u16_sdwa s[16:17], v36, s9 src0_sel:BYTE_0 src1_sel:DWORD
	v_bfrev_b32_e32 v35, 1
	s_and_saveexec_b64 s[14:15], s[16:17]
	s_cbranch_execz .LBB616_220
; %bb.217:                              ;   in Loop: Header=BB616_215 Depth=1
	v_and_b32_e32 v37, 0x7f, v36
	v_cmp_ne_u32_e32 vcc, s19, v37
	v_mov_b32_e32 v35, 0x7f800001
	s_and_saveexec_b64 s[16:17], vcc
	s_cbranch_execz .LBB616_219
; %bb.218:                              ;   in Loop: Header=BB616_215 Depth=1
	v_and_b32_e32 v35, 7, v36
	v_ffbh_u32_e32 v44, v35
	v_min_u32_e32 v44, 32, v44
	v_subrev_u32_e32 v56, 28, v44
	v_lshlrev_b64 v[56:57], v56, v[36:37]
	v_lshrrev_b32_e32 v42, 3, v37
	v_sub_u32_e32 v44, 29, v44
	v_and_b32_e32 v56, 7, v56
	v_cmp_gt_u32_e32 vcc, 8, v37
	v_cndmask_b32_e32 v37, v42, v44, vcc
	v_cndmask_b32_e32 v35, v35, v56, vcc
	v_lshlrev_b32_e32 v42, 24, v36
	v_lshlrev_b32_e32 v35, 20, v35
	v_and_b32_e32 v42, 0x80000000, v42
	v_lshl_add_u32 v37, v37, 23, v55
	v_or3_b32 v35, v42, v37, v35
.LBB616_219:                            ;   in Loop: Header=BB616_215 Depth=1
	s_or_b64 exec, exec, s[16:17]
.LBB616_220:                            ;   in Loop: Header=BB616_215 Depth=1
	s_or_b64 exec, exec, s[14:15]
.LBB616_221:                            ;   in Loop: Header=BB616_215 Depth=1
	s_or_b64 exec, exec, s[12:13]
	v_lshrrev_b16_e32 v42, 8, v36
	v_cmp_ne_u16_e32 vcc, 0, v42
	v_mov_b32_e32 v37, 0
	s_and_saveexec_b64 s[12:13], vcc
	s_cbranch_execz .LBB616_227
; %bb.222:                              ;   in Loop: Header=BB616_215 Depth=1
	v_cmp_ne_u16_e32 vcc, s9, v42
	v_bfrev_b32_e32 v37, 1
	s_and_saveexec_b64 s[14:15], vcc
	s_cbranch_execz .LBB616_226
; %bb.223:                              ;   in Loop: Header=BB616_215 Depth=1
	v_and_b32_e32 v44, 0x7f, v42
	v_cmp_ne_u32_e32 vcc, s19, v44
	v_mov_b32_e32 v37, 0x7f800001
	s_and_saveexec_b64 s[16:17], vcc
	s_cbranch_execz .LBB616_225
; %bb.224:                              ;   in Loop: Header=BB616_215 Depth=1
	v_and_b32_e32 v37, 7, v42
	v_ffbh_u32_e32 v56, v37
	v_min_u32_e32 v59, 32, v56
	v_subrev_u32_e32 v56, 28, v59
	v_lshlrev_b64 v[56:57], v56, v[42:43]
	v_lshrrev_b32_e32 v58, 3, v44
	v_sub_u32_e32 v42, 29, v59
	v_and_b32_e32 v56, 7, v56
	v_cmp_gt_u32_e32 vcc, 8, v44
	v_cndmask_b32_e32 v42, v58, v42, vcc
	v_cndmask_b32_e32 v37, v37, v56, vcc
	v_lshlrev_b32_e32 v44, 16, v36
	v_lshlrev_b32_e32 v37, 20, v37
	v_and_b32_e32 v44, 0x80000000, v44
	v_lshl_add_u32 v42, v42, 23, v55
	v_or3_b32 v37, v44, v42, v37
.LBB616_225:                            ;   in Loop: Header=BB616_215 Depth=1
	s_or_b64 exec, exec, s[16:17]
.LBB616_226:                            ;   in Loop: Header=BB616_215 Depth=1
	s_or_b64 exec, exec, s[14:15]
.LBB616_227:                            ;   in Loop: Header=BB616_215 Depth=1
	s_or_b64 exec, exec, s[12:13]
	v_lshrrev_b32_e32 v42, 16, v36
	v_cmp_ne_u16_sdwa s[14:15], v42, v54 src0_sel:BYTE_0 src1_sel:DWORD
	v_mov_b32_e32 v56, 0
	v_mov_b32_e32 v44, 0
	s_and_saveexec_b64 s[12:13], s[14:15]
	s_cbranch_execz .LBB616_233
; %bb.228:                              ;   in Loop: Header=BB616_215 Depth=1
	v_cmp_ne_u16_sdwa s[16:17], v42, s9 src0_sel:BYTE_0 src1_sel:DWORD
	v_bfrev_b32_e32 v44, 1
	s_and_saveexec_b64 s[14:15], s[16:17]
	s_cbranch_execz .LBB616_232
; %bb.229:                              ;   in Loop: Header=BB616_215 Depth=1
	v_bfe_u32 v57, v36, 16, 7
	v_cmp_ne_u32_e32 vcc, s19, v57
	v_mov_b32_e32 v44, 0x7f800001
	s_and_saveexec_b64 s[16:17], vcc
	s_cbranch_execz .LBB616_231
; %bb.230:                              ;   in Loop: Header=BB616_215 Depth=1
	v_and_b32_e32 v44, 7, v42
	v_ffbh_u32_e32 v58, v44
	v_min_u32_e32 v61, 32, v58
	v_subrev_u32_e32 v58, 28, v61
	v_lshlrev_b64 v[58:59], v58, v[42:43]
	v_lshrrev_b32_e32 v60, 3, v57
	v_sub_u32_e32 v59, 29, v61
	v_and_b32_e32 v58, 7, v58
	v_cmp_gt_u32_e32 vcc, 8, v57
	v_cndmask_b32_e32 v57, v60, v59, vcc
	v_cndmask_b32_e32 v44, v44, v58, vcc
	v_lshlrev_b32_e32 v42, 24, v42
	v_lshlrev_b32_e32 v44, 20, v44
	v_and_b32_e32 v42, 0x80000000, v42
	v_lshl_add_u32 v57, v57, 23, v55
	v_or3_b32 v44, v42, v57, v44
.LBB616_231:                            ;   in Loop: Header=BB616_215 Depth=1
	s_or_b64 exec, exec, s[16:17]
.LBB616_232:                            ;   in Loop: Header=BB616_215 Depth=1
	s_or_b64 exec, exec, s[14:15]
.LBB616_233:                            ;   in Loop: Header=BB616_215 Depth=1
	s_or_b64 exec, exec, s[12:13]
	v_cmp_lt_u32_e32 vcc, s20, v36
	s_and_saveexec_b64 s[12:13], vcc
	s_cbranch_execz .LBB616_239
; %bb.234:                              ;   in Loop: Header=BB616_215 Depth=1
	v_lshrrev_b32_e32 v42, 24, v36
	v_cmp_ne_u32_e32 vcc, s9, v42
	v_bfrev_b32_e32 v56, 1
	s_and_saveexec_b64 s[14:15], vcc
	s_cbranch_execz .LBB616_238
; %bb.235:                              ;   in Loop: Header=BB616_215 Depth=1
	v_bfe_u32 v36, v36, 24, 7
	v_cmp_ne_u32_e32 vcc, s19, v36
	v_mov_b32_e32 v56, 0x7f800001
	s_and_saveexec_b64 s[16:17], vcc
	s_cbranch_execz .LBB616_237
; %bb.236:                              ;   in Loop: Header=BB616_215 Depth=1
	v_and_b32_e32 v58, 7, v42
	v_ffbh_u32_e32 v56, v58
	v_min_u32_e32 v60, 32, v56
	v_subrev_u32_e32 v56, 28, v60
	v_lshlrev_b64 v[56:57], v56, v[42:43]
	v_lshrrev_b32_e32 v59, 3, v36
	v_sub_u32_e32 v57, 29, v60
	v_and_b32_e32 v56, 7, v56
	v_cmp_gt_u32_e32 vcc, 8, v36
	v_cndmask_b32_e32 v36, v59, v57, vcc
	v_cndmask_b32_e32 v56, v58, v56, vcc
	v_lshlrev_b32_e32 v42, 24, v42
	v_lshlrev_b32_e32 v56, 20, v56
	v_and_b32_e32 v42, 0x80000000, v42
	v_lshl_add_u32 v36, v36, 23, v55
	v_or3_b32 v56, v42, v36, v56
.LBB616_237:                            ;   in Loop: Header=BB616_215 Depth=1
	s_or_b64 exec, exec, s[16:17]
.LBB616_238:                            ;   in Loop: Header=BB616_215 Depth=1
	s_or_b64 exec, exec, s[14:15]
.LBB616_239:                            ;   in Loop: Header=BB616_215 Depth=1
	s_or_b64 exec, exec, s[12:13]
	s_waitcnt vmcnt(2)
	v_cmp_ne_u16_sdwa s[14:15], v34, v54 src0_sel:BYTE_0 src1_sel:DWORD
	v_mov_b32_e32 v42, 0
	v_mov_b32_e32 v57, 0
	s_and_saveexec_b64 s[12:13], s[14:15]
	s_cbranch_execz .LBB616_245
; %bb.240:                              ;   in Loop: Header=BB616_215 Depth=1
	v_cmp_ne_u16_sdwa s[16:17], v34, s9 src0_sel:BYTE_0 src1_sel:DWORD
	v_bfrev_b32_e32 v57, 1
	s_and_saveexec_b64 s[14:15], s[16:17]
	s_cbranch_execz .LBB616_244
; %bb.241:                              ;   in Loop: Header=BB616_215 Depth=1
	v_and_b32_e32 v36, 0x7f, v34
	v_cmp_ne_u32_e32 vcc, s19, v36
	v_mov_b32_e32 v57, 0x7f800001
	s_and_saveexec_b64 s[16:17], vcc
	s_cbranch_execz .LBB616_243
; %bb.242:                              ;   in Loop: Header=BB616_215 Depth=1
	v_and_b32_e32 v57, 7, v34
	v_ffbh_u32_e32 v58, v57
	v_min_u32_e32 v61, 32, v58
	v_subrev_u32_e32 v58, 28, v61
	v_lshlrev_b64 v[58:59], v58, v[34:35]
	v_lshrrev_b32_e32 v60, 3, v36
	v_sub_u32_e32 v59, 29, v61
	v_and_b32_e32 v58, 7, v58
	v_cmp_gt_u32_e32 vcc, 8, v36
	v_cndmask_b32_e32 v36, v60, v59, vcc
	v_cndmask_b32_e32 v57, v57, v58, vcc
	v_lshlrev_b32_e32 v58, 24, v34
	v_lshlrev_b32_e32 v57, 20, v57
	v_and_b32_e32 v58, 0x80000000, v58
	v_lshl_add_u32 v36, v36, 23, v55
	v_or3_b32 v57, v58, v36, v57
.LBB616_243:                            ;   in Loop: Header=BB616_215 Depth=1
	s_or_b64 exec, exec, s[16:17]
.LBB616_244:                            ;   in Loop: Header=BB616_215 Depth=1
	s_or_b64 exec, exec, s[14:15]
.LBB616_245:                            ;   in Loop: Header=BB616_215 Depth=1
	s_or_b64 exec, exec, s[12:13]
	v_lshrrev_b16_e32 v36, 8, v34
	v_cmp_ne_u16_e32 vcc, 0, v36
	s_and_saveexec_b64 s[12:13], vcc
	s_cbranch_execz .LBB616_251
; %bb.246:                              ;   in Loop: Header=BB616_215 Depth=1
	v_cmp_ne_u16_e32 vcc, s9, v36
	v_bfrev_b32_e32 v42, 1
	s_and_saveexec_b64 s[14:15], vcc
	s_cbranch_execz .LBB616_250
; %bb.247:                              ;   in Loop: Header=BB616_215 Depth=1
	v_and_b32_e32 v58, 0x7f, v36
	v_cmp_ne_u32_e32 vcc, s19, v58
	v_mov_b32_e32 v42, 0x7f800001
	s_and_saveexec_b64 s[16:17], vcc
	s_cbranch_execz .LBB616_249
; %bb.248:                              ;   in Loop: Header=BB616_215 Depth=1
	v_and_b32_e32 v42, 7, v36
	v_ffbh_u32_e32 v60, v42
	v_min_u32_e32 v62, 32, v60
	v_subrev_u32_e32 v60, 28, v62
	v_lshlrev_b64 v[60:61], v60, v[36:37]
	v_lshrrev_b32_e32 v59, 3, v58
	v_sub_u32_e32 v36, 29, v62
	v_and_b32_e32 v60, 7, v60
	v_cmp_gt_u32_e32 vcc, 8, v58
	v_cndmask_b32_e32 v36, v59, v36, vcc
	v_cndmask_b32_e32 v42, v42, v60, vcc
	v_lshlrev_b32_e32 v58, 16, v34
	v_lshlrev_b32_e32 v42, 20, v42
	v_and_b32_e32 v58, 0x80000000, v58
	v_lshl_add_u32 v36, v36, 23, v55
	v_or3_b32 v42, v58, v36, v42
.LBB616_249:                            ;   in Loop: Header=BB616_215 Depth=1
	s_or_b64 exec, exec, s[16:17]
.LBB616_250:                            ;   in Loop: Header=BB616_215 Depth=1
	s_or_b64 exec, exec, s[14:15]
.LBB616_251:                            ;   in Loop: Header=BB616_215 Depth=1
	s_or_b64 exec, exec, s[12:13]
	v_lshrrev_b32_e32 v36, 16, v34
	v_cmp_ne_u16_sdwa s[14:15], v36, v54 src0_sel:BYTE_0 src1_sel:DWORD
	v_mov_b32_e32 v59, 0
	v_mov_b32_e32 v58, 0
	s_and_saveexec_b64 s[12:13], s[14:15]
	s_cbranch_execz .LBB616_257
; %bb.252:                              ;   in Loop: Header=BB616_215 Depth=1
	v_cmp_ne_u16_sdwa s[16:17], v36, s9 src0_sel:BYTE_0 src1_sel:DWORD
	v_bfrev_b32_e32 v58, 1
	s_and_saveexec_b64 s[14:15], s[16:17]
	s_cbranch_execz .LBB616_256
; %bb.253:                              ;   in Loop: Header=BB616_215 Depth=1
	v_bfe_u32 v60, v34, 16, 7
	v_cmp_ne_u32_e32 vcc, s19, v60
	v_mov_b32_e32 v58, 0x7f800001
	s_and_saveexec_b64 s[16:17], vcc
	s_cbranch_execz .LBB616_255
; %bb.254:                              ;   in Loop: Header=BB616_215 Depth=1
	v_and_b32_e32 v58, 7, v36
	v_ffbh_u32_e32 v62, v58
	v_min_u32_e32 v64, 32, v62
	v_subrev_u32_e32 v62, 28, v64
	v_lshlrev_b64 v[62:63], v62, v[36:37]
	v_lshrrev_b32_e32 v61, 3, v60
	v_sub_u32_e32 v63, 29, v64
	v_and_b32_e32 v62, 7, v62
	v_cmp_gt_u32_e32 vcc, 8, v60
	v_cndmask_b32_e32 v60, v61, v63, vcc
	v_cndmask_b32_e32 v58, v58, v62, vcc
	v_lshlrev_b32_e32 v36, 24, v36
	v_lshlrev_b32_e32 v58, 20, v58
	v_and_b32_e32 v36, 0x80000000, v36
	v_lshl_add_u32 v60, v60, 23, v55
	v_or3_b32 v58, v36, v60, v58
.LBB616_255:                            ;   in Loop: Header=BB616_215 Depth=1
	s_or_b64 exec, exec, s[16:17]
.LBB616_256:                            ;   in Loop: Header=BB616_215 Depth=1
	s_or_b64 exec, exec, s[14:15]
.LBB616_257:                            ;   in Loop: Header=BB616_215 Depth=1
	s_or_b64 exec, exec, s[12:13]
	v_cmp_lt_u32_e32 vcc, s20, v34
	s_and_saveexec_b64 s[12:13], vcc
	s_cbranch_execz .LBB616_263
; %bb.258:                              ;   in Loop: Header=BB616_215 Depth=1
	v_lshrrev_b32_e32 v36, 24, v34
	v_cmp_ne_u32_e32 vcc, s9, v36
	v_bfrev_b32_e32 v59, 1
	s_and_saveexec_b64 s[14:15], vcc
	s_cbranch_execz .LBB616_262
; %bb.259:                              ;   in Loop: Header=BB616_215 Depth=1
	v_bfe_u32 v34, v34, 24, 7
	v_cmp_ne_u32_e32 vcc, s19, v34
	v_mov_b32_e32 v59, 0x7f800001
	s_and_saveexec_b64 s[16:17], vcc
	s_cbranch_execz .LBB616_261
; %bb.260:                              ;   in Loop: Header=BB616_215 Depth=1
	v_and_b32_e32 v59, 7, v36
	v_ffbh_u32_e32 v60, v59
	v_min_u32_e32 v63, 32, v60
	v_subrev_u32_e32 v60, 28, v63
	v_lshlrev_b64 v[60:61], v60, v[36:37]
	v_lshrrev_b32_e32 v62, 3, v34
	v_sub_u32_e32 v61, 29, v63
	v_and_b32_e32 v60, 7, v60
	v_cmp_gt_u32_e32 vcc, 8, v34
	v_cndmask_b32_e32 v34, v62, v61, vcc
	v_cndmask_b32_e32 v59, v59, v60, vcc
	v_lshlrev_b32_e32 v36, 24, v36
	v_lshlrev_b32_e32 v59, 20, v59
	v_and_b32_e32 v36, 0x80000000, v36
	v_lshl_add_u32 v34, v34, 23, v55
	v_or3_b32 v59, v36, v34, v59
.LBB616_261:                            ;   in Loop: Header=BB616_215 Depth=1
	s_or_b64 exec, exec, s[16:17]
.LBB616_262:                            ;   in Loop: Header=BB616_215 Depth=1
	s_or_b64 exec, exec, s[14:15]
.LBB616_263:                            ;   in Loop: Header=BB616_215 Depth=1
	s_or_b64 exec, exec, s[12:13]
	v_cvt_pkrtz_f16_f32 v34, v35, v37
	v_cvt_pkrtz_f16_f32 v35, v44, v56
	;; [unrolled: 1-line block ×4, first 2 shown]
	v_mov_b32_e32 v44, 0
	v_mfma_f32_16x16x16f16 v[34:37], v[34:35], v[2:3], 0
	s_waitcnt vmcnt(1)
	v_cmp_ne_u16_sdwa s[14:15], v40, v54 src0_sel:BYTE_0 src1_sel:DWORD
	v_mov_b32_e32 v57, 0
	v_mfma_f32_16x16x16f16 v[34:37], v[60:61], v[4:5], v[34:37]
	s_and_saveexec_b64 s[12:13], s[14:15]
	s_cbranch_execz .LBB616_269
; %bb.264:                              ;   in Loop: Header=BB616_215 Depth=1
	v_cmp_ne_u16_sdwa s[16:17], v40, s9 src0_sel:BYTE_0 src1_sel:DWORD
	v_bfrev_b32_e32 v57, 1
	s_and_saveexec_b64 s[14:15], s[16:17]
	s_cbranch_execz .LBB616_268
; %bb.265:                              ;   in Loop: Header=BB616_215 Depth=1
	v_and_b32_e32 v42, 0x7f, v40
	v_cmp_ne_u32_e32 vcc, s19, v42
	v_mov_b32_e32 v57, 0x7f800001
	s_and_saveexec_b64 s[16:17], vcc
	s_cbranch_execz .LBB616_267
; %bb.266:                              ;   in Loop: Header=BB616_215 Depth=1
	v_and_b32_e32 v58, 7, v40
	v_ffbh_u32_e32 v56, v58
	v_min_u32_e32 v60, 32, v56
	v_subrev_u32_e32 v56, 28, v60
	v_lshlrev_b64 v[56:57], v56, v[40:41]
	v_lshrrev_b32_e32 v59, 3, v42
	v_sub_u32_e32 v57, 29, v60
	v_and_b32_e32 v56, 7, v56
	v_cmp_gt_u32_e32 vcc, 8, v42
	v_cndmask_b32_e32 v42, v59, v57, vcc
	v_cndmask_b32_e32 v56, v58, v56, vcc
	v_lshlrev_b32_e32 v57, 24, v40
	v_lshlrev_b32_e32 v56, 20, v56
	v_and_b32_e32 v57, 0x80000000, v57
	v_lshl_add_u32 v42, v42, 23, v55
	v_or3_b32 v57, v57, v42, v56
.LBB616_267:                            ;   in Loop: Header=BB616_215 Depth=1
	s_or_b64 exec, exec, s[16:17]
.LBB616_268:                            ;   in Loop: Header=BB616_215 Depth=1
	s_or_b64 exec, exec, s[14:15]
.LBB616_269:                            ;   in Loop: Header=BB616_215 Depth=1
	s_or_b64 exec, exec, s[12:13]
	v_lshrrev_b16_e32 v42, 8, v40
	v_cmp_ne_u16_e32 vcc, 0, v42
	v_mov_b32_e32 v58, 0
	s_and_saveexec_b64 s[12:13], vcc
	s_cbranch_execz .LBB616_275
; %bb.270:                              ;   in Loop: Header=BB616_215 Depth=1
	v_cmp_ne_u16_e32 vcc, s9, v42
	v_bfrev_b32_e32 v58, 1
	s_and_saveexec_b64 s[14:15], vcc
	s_cbranch_execz .LBB616_274
; %bb.271:                              ;   in Loop: Header=BB616_215 Depth=1
	v_and_b32_e32 v56, 0x7f, v42
	v_cmp_ne_u32_e32 vcc, s19, v56
	v_mov_b32_e32 v58, 0x7f800001
	s_and_saveexec_b64 s[16:17], vcc
	s_cbranch_execz .LBB616_273
; %bb.272:                              ;   in Loop: Header=BB616_215 Depth=1
	v_and_b32_e32 v60, 7, v42
	v_ffbh_u32_e32 v58, v60
	v_min_u32_e32 v62, 32, v58
	v_subrev_u32_e32 v58, 28, v62
	v_lshlrev_b64 v[58:59], v58, v[42:43]
	v_lshrrev_b32_e32 v61, 3, v56
	v_sub_u32_e32 v42, 29, v62
	v_and_b32_e32 v58, 7, v58
	v_cmp_gt_u32_e32 vcc, 8, v56
	v_cndmask_b32_e32 v42, v61, v42, vcc
	v_cndmask_b32_e32 v56, v60, v58, vcc
	v_lshlrev_b32_e32 v58, 16, v40
	v_lshlrev_b32_e32 v56, 20, v56
	v_and_b32_e32 v58, 0x80000000, v58
	v_lshl_add_u32 v42, v42, 23, v55
	v_or3_b32 v58, v58, v42, v56
.LBB616_273:                            ;   in Loop: Header=BB616_215 Depth=1
	s_or_b64 exec, exec, s[16:17]
.LBB616_274:                            ;   in Loop: Header=BB616_215 Depth=1
	s_or_b64 exec, exec, s[14:15]
.LBB616_275:                            ;   in Loop: Header=BB616_215 Depth=1
	s_or_b64 exec, exec, s[12:13]
	v_lshrrev_b32_e32 v42, 16, v40
	v_cmp_ne_u16_sdwa s[14:15], v42, v54 src0_sel:BYTE_0 src1_sel:DWORD
	s_and_saveexec_b64 s[12:13], s[14:15]
	s_cbranch_execz .LBB616_281
; %bb.276:                              ;   in Loop: Header=BB616_215 Depth=1
	v_cmp_ne_u16_sdwa s[16:17], v42, s9 src0_sel:BYTE_0 src1_sel:DWORD
	v_bfrev_b32_e32 v44, 1
	s_and_saveexec_b64 s[14:15], s[16:17]
	s_cbranch_execz .LBB616_280
; %bb.277:                              ;   in Loop: Header=BB616_215 Depth=1
	v_bfe_u32 v56, v40, 16, 7
	v_cmp_ne_u32_e32 vcc, s19, v56
	v_mov_b32_e32 v44, 0x7f800001
	s_and_saveexec_b64 s[16:17], vcc
	s_cbranch_execz .LBB616_279
; %bb.278:                              ;   in Loop: Header=BB616_215 Depth=1
	v_and_b32_e32 v44, 7, v42
	v_ffbh_u32_e32 v60, v44
	v_min_u32_e32 v62, 32, v60
	v_subrev_u32_e32 v60, 28, v62
	v_lshlrev_b64 v[60:61], v60, v[42:43]
	v_lshrrev_b32_e32 v59, 3, v56
	v_sub_u32_e32 v61, 29, v62
	v_and_b32_e32 v60, 7, v60
	v_cmp_gt_u32_e32 vcc, 8, v56
	v_cndmask_b32_e32 v56, v59, v61, vcc
	v_cndmask_b32_e32 v44, v44, v60, vcc
	v_lshlrev_b32_e32 v42, 24, v42
	v_lshlrev_b32_e32 v44, 20, v44
	v_and_b32_e32 v42, 0x80000000, v42
	v_lshl_add_u32 v56, v56, 23, v55
	v_or3_b32 v44, v42, v56, v44
.LBB616_279:                            ;   in Loop: Header=BB616_215 Depth=1
	s_or_b64 exec, exec, s[16:17]
.LBB616_280:                            ;   in Loop: Header=BB616_215 Depth=1
	s_or_b64 exec, exec, s[14:15]
.LBB616_281:                            ;   in Loop: Header=BB616_215 Depth=1
	s_or_b64 exec, exec, s[12:13]
	v_cmp_lt_u32_e32 vcc, s20, v40
	v_mov_b32_e32 v59, 0
	v_mov_b32_e32 v60, 0
	s_and_saveexec_b64 s[12:13], vcc
	s_cbranch_execz .LBB616_287
; %bb.282:                              ;   in Loop: Header=BB616_215 Depth=1
	v_lshrrev_b32_e32 v42, 24, v40
	v_cmp_ne_u32_e32 vcc, s9, v42
	v_bfrev_b32_e32 v60, 1
	s_and_saveexec_b64 s[14:15], vcc
	s_cbranch_execz .LBB616_286
; %bb.283:                              ;   in Loop: Header=BB616_215 Depth=1
	v_bfe_u32 v40, v40, 24, 7
	v_cmp_ne_u32_e32 vcc, s19, v40
	v_mov_b32_e32 v60, 0x7f800001
	s_and_saveexec_b64 s[16:17], vcc
	s_cbranch_execz .LBB616_285
; %bb.284:                              ;   in Loop: Header=BB616_215 Depth=1
	v_and_b32_e32 v56, 7, v42
	v_ffbh_u32_e32 v60, v56
	v_min_u32_e32 v63, 32, v60
	v_subrev_u32_e32 v60, 28, v63
	v_lshlrev_b64 v[60:61], v60, v[42:43]
	v_lshrrev_b32_e32 v62, 3, v40
	v_sub_u32_e32 v61, 29, v63
	v_and_b32_e32 v60, 7, v60
	v_cmp_gt_u32_e32 vcc, 8, v40
	v_cndmask_b32_e32 v40, v62, v61, vcc
	v_cndmask_b32_e32 v56, v56, v60, vcc
	v_lshlrev_b32_e32 v42, 24, v42
	v_lshlrev_b32_e32 v56, 20, v56
	v_and_b32_e32 v42, 0x80000000, v42
	v_lshl_add_u32 v40, v40, 23, v55
	v_or3_b32 v60, v42, v40, v56
.LBB616_285:                            ;   in Loop: Header=BB616_215 Depth=1
	s_or_b64 exec, exec, s[16:17]
.LBB616_286:                            ;   in Loop: Header=BB616_215 Depth=1
	s_or_b64 exec, exec, s[14:15]
.LBB616_287:                            ;   in Loop: Header=BB616_215 Depth=1
	s_or_b64 exec, exec, s[12:13]
	s_waitcnt vmcnt(0)
	v_cmp_ne_u16_sdwa s[14:15], v38, v54 src0_sel:BYTE_0 src1_sel:DWORD
	s_and_saveexec_b64 s[12:13], s[14:15]
	s_cbranch_execz .LBB616_293
; %bb.288:                              ;   in Loop: Header=BB616_215 Depth=1
	v_cmp_ne_u16_sdwa s[16:17], v38, s9 src0_sel:BYTE_0 src1_sel:DWORD
	v_bfrev_b32_e32 v59, 1
	s_and_saveexec_b64 s[14:15], s[16:17]
	s_cbranch_execz .LBB616_292
; %bb.289:                              ;   in Loop: Header=BB616_215 Depth=1
	v_and_b32_e32 v40, 0x7f, v38
	v_cmp_ne_u32_e32 vcc, s19, v40
	v_mov_b32_e32 v59, 0x7f800001
	s_and_saveexec_b64 s[16:17], vcc
	s_cbranch_execz .LBB616_291
; %bb.290:                              ;   in Loop: Header=BB616_215 Depth=1
	v_and_b32_e32 v42, 7, v38
	v_ffbh_u32_e32 v59, v42
	v_min_u32_e32 v59, 32, v59
	v_subrev_u32_e32 v61, 28, v59
	v_lshlrev_b64 v[62:63], v61, v[38:39]
	v_lshrrev_b32_e32 v56, 3, v40
	v_sub_u32_e32 v59, 29, v59
	v_and_b32_e32 v61, 7, v62
	v_cmp_gt_u32_e32 vcc, 8, v40
	v_cndmask_b32_e32 v40, v56, v59, vcc
	v_cndmask_b32_e32 v42, v42, v61, vcc
	v_lshlrev_b32_e32 v56, 24, v38
	v_lshlrev_b32_e32 v42, 20, v42
	v_and_b32_e32 v56, 0x80000000, v56
	v_lshl_add_u32 v40, v40, 23, v55
	v_or3_b32 v59, v56, v40, v42
.LBB616_291:                            ;   in Loop: Header=BB616_215 Depth=1
	s_or_b64 exec, exec, s[16:17]
.LBB616_292:                            ;   in Loop: Header=BB616_215 Depth=1
	s_or_b64 exec, exec, s[14:15]
.LBB616_293:                            ;   in Loop: Header=BB616_215 Depth=1
	s_or_b64 exec, exec, s[12:13]
	v_lshrrev_b16_e32 v40, 8, v38
	v_cmp_ne_u16_e32 vcc, 0, v40
	v_mov_b32_e32 v61, 0
	v_mov_b32_e32 v62, 0
	s_and_saveexec_b64 s[12:13], vcc
	s_cbranch_execz .LBB616_299
; %bb.294:                              ;   in Loop: Header=BB616_215 Depth=1
	v_cmp_ne_u16_e32 vcc, s9, v40
	v_bfrev_b32_e32 v62, 1
	s_and_saveexec_b64 s[14:15], vcc
	s_cbranch_execz .LBB616_298
; %bb.295:                              ;   in Loop: Header=BB616_215 Depth=1
	v_and_b32_e32 v42, 0x7f, v40
	v_cmp_ne_u32_e32 vcc, s19, v42
	v_mov_b32_e32 v62, 0x7f800001
	s_and_saveexec_b64 s[16:17], vcc
	s_cbranch_execz .LBB616_297
; %bb.296:                              ;   in Loop: Header=BB616_215 Depth=1
	v_and_b32_e32 v56, 7, v40
	v_ffbh_u32_e32 v62, v56
	v_min_u32_e32 v65, 32, v62
	v_subrev_u32_e32 v62, 28, v65
	v_lshlrev_b64 v[62:63], v62, v[40:41]
	v_lshrrev_b32_e32 v64, 3, v42
	v_sub_u32_e32 v40, 29, v65
	v_and_b32_e32 v62, 7, v62
	v_cmp_gt_u32_e32 vcc, 8, v42
	v_cndmask_b32_e32 v40, v64, v40, vcc
	v_cndmask_b32_e32 v42, v56, v62, vcc
	v_lshlrev_b32_e32 v56, 16, v38
	v_lshlrev_b32_e32 v42, 20, v42
	v_and_b32_e32 v56, 0x80000000, v56
	v_lshl_add_u32 v40, v40, 23, v55
	v_or3_b32 v62, v56, v40, v42
.LBB616_297:                            ;   in Loop: Header=BB616_215 Depth=1
	s_or_b64 exec, exec, s[16:17]
.LBB616_298:                            ;   in Loop: Header=BB616_215 Depth=1
	s_or_b64 exec, exec, s[14:15]
.LBB616_299:                            ;   in Loop: Header=BB616_215 Depth=1
	s_or_b64 exec, exec, s[12:13]
	v_lshrrev_b32_e32 v40, 16, v38
	v_cmp_ne_u16_sdwa s[14:15], v40, v54 src0_sel:BYTE_0 src1_sel:DWORD
	s_and_saveexec_b64 s[12:13], s[14:15]
	s_cbranch_execz .LBB616_305
; %bb.300:                              ;   in Loop: Header=BB616_215 Depth=1
	v_cmp_ne_u16_sdwa s[16:17], v40, s9 src0_sel:BYTE_0 src1_sel:DWORD
	v_bfrev_b32_e32 v61, 1
	s_and_saveexec_b64 s[14:15], s[16:17]
	s_cbranch_execz .LBB616_304
; %bb.301:                              ;   in Loop: Header=BB616_215 Depth=1
	v_bfe_u32 v42, v38, 16, 7
	v_cmp_ne_u32_e32 vcc, s19, v42
	v_mov_b32_e32 v61, 0x7f800001
	s_and_saveexec_b64 s[16:17], vcc
	s_cbranch_execz .LBB616_303
; %bb.302:                              ;   in Loop: Header=BB616_215 Depth=1
	v_and_b32_e32 v56, 7, v40
	v_ffbh_u32_e32 v63, v56
	v_min_u32_e32 v63, 32, v63
	v_subrev_u32_e32 v64, 28, v63
	v_lshlrev_b64 v[64:65], v64, v[40:41]
	v_lshrrev_b32_e32 v61, 3, v42
	v_sub_u32_e32 v63, 29, v63
	v_and_b32_e32 v64, 7, v64
	v_cmp_gt_u32_e32 vcc, 8, v42
	v_cndmask_b32_e32 v42, v61, v63, vcc
	v_cndmask_b32_e32 v56, v56, v64, vcc
	v_lshlrev_b32_e32 v40, 24, v40
	v_lshlrev_b32_e32 v56, 20, v56
	v_and_b32_e32 v40, 0x80000000, v40
	v_lshl_add_u32 v42, v42, 23, v55
	v_or3_b32 v61, v40, v42, v56
.LBB616_303:                            ;   in Loop: Header=BB616_215 Depth=1
	s_or_b64 exec, exec, s[16:17]
.LBB616_304:                            ;   in Loop: Header=BB616_215 Depth=1
	s_or_b64 exec, exec, s[14:15]
.LBB616_305:                            ;   in Loop: Header=BB616_215 Depth=1
	s_or_b64 exec, exec, s[12:13]
	v_cmp_lt_u32_e32 vcc, s20, v38
	v_mov_b32_e32 v56, 0
	v_mov_b32_e32 v63, 0
	s_and_saveexec_b64 s[12:13], vcc
	s_cbranch_execz .LBB616_311
; %bb.306:                              ;   in Loop: Header=BB616_215 Depth=1
	v_lshrrev_b32_e32 v40, 24, v38
	v_cmp_ne_u32_e32 vcc, s9, v40
	v_bfrev_b32_e32 v63, 1
	s_and_saveexec_b64 s[14:15], vcc
	s_cbranch_execz .LBB616_310
; %bb.307:                              ;   in Loop: Header=BB616_215 Depth=1
	v_bfe_u32 v38, v38, 24, 7
	v_cmp_ne_u32_e32 vcc, s19, v38
	v_mov_b32_e32 v63, 0x7f800001
	s_and_saveexec_b64 s[16:17], vcc
	s_cbranch_execz .LBB616_309
; %bb.308:                              ;   in Loop: Header=BB616_215 Depth=1
	v_and_b32_e32 v42, 7, v40
	v_ffbh_u32_e32 v64, v42
	v_min_u32_e32 v66, 32, v64
	v_subrev_u32_e32 v64, 28, v66
	v_lshlrev_b64 v[64:65], v64, v[40:41]
	v_lshrrev_b32_e32 v63, 3, v38
	v_sub_u32_e32 v65, 29, v66
	v_and_b32_e32 v64, 7, v64
	v_cmp_gt_u32_e32 vcc, 8, v38
	v_cndmask_b32_e32 v38, v63, v65, vcc
	v_cndmask_b32_e32 v42, v42, v64, vcc
	v_lshlrev_b32_e32 v40, 24, v40
	v_lshlrev_b32_e32 v42, 20, v42
	v_and_b32_e32 v40, 0x80000000, v40
	v_lshl_add_u32 v38, v38, 23, v55
	v_or3_b32 v63, v40, v38, v42
.LBB616_309:                            ;   in Loop: Header=BB616_215 Depth=1
	s_or_b64 exec, exec, s[16:17]
.LBB616_310:                            ;   in Loop: Header=BB616_215 Depth=1
	s_or_b64 exec, exec, s[14:15]
.LBB616_311:                            ;   in Loop: Header=BB616_215 Depth=1
	s_or_b64 exec, exec, s[12:13]
	v_cvt_pkrtz_f16_f32 v65, v44, v60
	buffer_load_dword v44, v46, s[0:3], 0 offen
	buffer_load_dword v42, v46, s[0:3], 0 offen offset:4
	buffer_load_dword v40, v46, s[0:3], 0 offen offset:8
	;; [unrolled: 1-line block ×3, first 2 shown]
	v_cvt_pkrtz_f16_f32 v64, v57, v58
	v_cvt_pkrtz_f16_f32 v58, v59, v62
	;; [unrolled: 1-line block ×3, first 2 shown]
	v_mfma_f32_16x16x16f16 v[34:37], v[64:65], v[6:7], v[34:37]
	s_waitcnt vmcnt(3)
	v_cmp_ne_u16_sdwa s[14:15], v44, v54 src0_sel:BYTE_0 src1_sel:DWORD
	v_mfma_f32_16x16x16f16 v[34:37], v[58:59], v[8:9], v[34:37]
	s_and_saveexec_b64 s[12:13], s[14:15]
	s_cbranch_execz .LBB616_317
; %bb.312:                              ;   in Loop: Header=BB616_215 Depth=1
	v_cmp_ne_u16_sdwa s[16:17], v44, s9 src0_sel:BYTE_0 src1_sel:DWORD
	v_bfrev_b32_e32 v56, 1
	s_and_saveexec_b64 s[14:15], s[16:17]
	s_cbranch_execz .LBB616_316
; %bb.313:                              ;   in Loop: Header=BB616_215 Depth=1
	v_and_b32_e32 v46, 0x7f, v44
	v_cmp_ne_u32_e32 vcc, s19, v46
	v_mov_b32_e32 v56, 0x7f800001
	s_and_saveexec_b64 s[16:17], vcc
	s_cbranch_execz .LBB616_315
; %bb.314:                              ;   in Loop: Header=BB616_215 Depth=1
	v_and_b32_e32 v58, 7, v44
	v_ffbh_u32_e32 v56, v58
	v_min_u32_e32 v60, 32, v56
	v_subrev_u32_e32 v56, 28, v60
	v_lshlrev_b64 v[56:57], v56, v[44:45]
	v_lshrrev_b32_e32 v59, 3, v46
	v_sub_u32_e32 v57, 29, v60
	v_and_b32_e32 v56, 7, v56
	v_cmp_gt_u32_e32 vcc, 8, v46
	v_cndmask_b32_e32 v46, v59, v57, vcc
	v_cndmask_b32_e32 v56, v58, v56, vcc
	v_lshlrev_b32_e32 v57, 24, v44
	v_lshlrev_b32_e32 v56, 20, v56
	v_and_b32_e32 v57, 0x80000000, v57
	v_lshl_add_u32 v46, v46, 23, v55
	v_or3_b32 v56, v57, v46, v56
.LBB616_315:                            ;   in Loop: Header=BB616_215 Depth=1
	s_or_b64 exec, exec, s[16:17]
.LBB616_316:                            ;   in Loop: Header=BB616_215 Depth=1
	s_or_b64 exec, exec, s[14:15]
.LBB616_317:                            ;   in Loop: Header=BB616_215 Depth=1
	s_or_b64 exec, exec, s[12:13]
	v_lshrrev_b16_e32 v46, 8, v44
	v_cmp_ne_u16_e32 vcc, 0, v46
	v_mov_b32_e32 v57, 0
	v_mov_b32_e32 v58, 0
	s_and_saveexec_b64 s[12:13], vcc
	s_cbranch_execz .LBB616_323
; %bb.318:                              ;   in Loop: Header=BB616_215 Depth=1
	v_cmp_ne_u16_e32 vcc, s9, v46
	v_bfrev_b32_e32 v58, 1
	s_and_saveexec_b64 s[14:15], vcc
	s_cbranch_execz .LBB616_322
; %bb.319:                              ;   in Loop: Header=BB616_215 Depth=1
	v_and_b32_e32 v59, 0x7f, v46
	v_cmp_ne_u32_e32 vcc, s19, v59
	v_mov_b32_e32 v58, 0x7f800001
	s_and_saveexec_b64 s[16:17], vcc
	s_cbranch_execz .LBB616_321
; %bb.320:                              ;   in Loop: Header=BB616_215 Depth=1
	v_and_b32_e32 v58, 7, v46
	v_ffbh_u32_e32 v60, v58
	v_min_u32_e32 v63, 32, v60
	v_subrev_u32_e32 v60, 28, v63
	v_lshlrev_b64 v[60:61], v60, v[46:47]
	v_lshrrev_b32_e32 v62, 3, v59
	v_sub_u32_e32 v46, 29, v63
	v_and_b32_e32 v60, 7, v60
	v_cmp_gt_u32_e32 vcc, 8, v59
	v_cndmask_b32_e32 v46, v62, v46, vcc
	v_cndmask_b32_e32 v58, v58, v60, vcc
	v_lshlrev_b32_e32 v59, 16, v44
	v_lshlrev_b32_e32 v58, 20, v58
	v_and_b32_e32 v59, 0x80000000, v59
	v_lshl_add_u32 v46, v46, 23, v55
	v_or3_b32 v58, v59, v46, v58
.LBB616_321:                            ;   in Loop: Header=BB616_215 Depth=1
	s_or_b64 exec, exec, s[16:17]
.LBB616_322:                            ;   in Loop: Header=BB616_215 Depth=1
	s_or_b64 exec, exec, s[14:15]
.LBB616_323:                            ;   in Loop: Header=BB616_215 Depth=1
	s_or_b64 exec, exec, s[12:13]
	v_lshrrev_b32_e32 v46, 16, v44
	v_cmp_ne_u16_sdwa s[14:15], v46, v54 src0_sel:BYTE_0 src1_sel:DWORD
	s_and_saveexec_b64 s[12:13], s[14:15]
	s_cbranch_execz .LBB616_329
; %bb.324:                              ;   in Loop: Header=BB616_215 Depth=1
	v_cmp_ne_u16_sdwa s[16:17], v46, s9 src0_sel:BYTE_0 src1_sel:DWORD
	v_bfrev_b32_e32 v57, 1
	s_and_saveexec_b64 s[14:15], s[16:17]
	s_cbranch_execz .LBB616_328
; %bb.325:                              ;   in Loop: Header=BB616_215 Depth=1
	v_bfe_u32 v59, v44, 16, 7
	v_cmp_ne_u32_e32 vcc, s19, v59
	v_mov_b32_e32 v57, 0x7f800001
	s_and_saveexec_b64 s[16:17], vcc
	s_cbranch_execz .LBB616_327
; %bb.326:                              ;   in Loop: Header=BB616_215 Depth=1
	v_and_b32_e32 v57, 7, v46
	v_ffbh_u32_e32 v60, v57
	v_min_u32_e32 v63, 32, v60
	v_subrev_u32_e32 v60, 28, v63
	v_lshlrev_b64 v[60:61], v60, v[46:47]
	v_lshrrev_b32_e32 v62, 3, v59
	v_sub_u32_e32 v61, 29, v63
	v_and_b32_e32 v60, 7, v60
	v_cmp_gt_u32_e32 vcc, 8, v59
	v_cndmask_b32_e32 v59, v62, v61, vcc
	v_cndmask_b32_e32 v57, v57, v60, vcc
	v_lshlrev_b32_e32 v46, 24, v46
	v_lshlrev_b32_e32 v57, 20, v57
	v_and_b32_e32 v46, 0x80000000, v46
	v_lshl_add_u32 v59, v59, 23, v55
	v_or3_b32 v57, v46, v59, v57
.LBB616_327:                            ;   in Loop: Header=BB616_215 Depth=1
	s_or_b64 exec, exec, s[16:17]
.LBB616_328:                            ;   in Loop: Header=BB616_215 Depth=1
	s_or_b64 exec, exec, s[14:15]
.LBB616_329:                            ;   in Loop: Header=BB616_215 Depth=1
	s_or_b64 exec, exec, s[12:13]
	v_cmp_lt_u32_e32 vcc, s20, v44
	v_mov_b32_e32 v59, 0
	v_mov_b32_e32 v60, 0
	s_and_saveexec_b64 s[12:13], vcc
	s_cbranch_execz .LBB616_335
; %bb.330:                              ;   in Loop: Header=BB616_215 Depth=1
	v_lshrrev_b32_e32 v46, 24, v44
	v_cmp_ne_u32_e32 vcc, s9, v46
	v_bfrev_b32_e32 v60, 1
	s_and_saveexec_b64 s[14:15], vcc
	s_cbranch_execz .LBB616_334
; %bb.331:                              ;   in Loop: Header=BB616_215 Depth=1
	v_bfe_u32 v44, v44, 24, 7
	v_cmp_ne_u32_e32 vcc, s19, v44
	v_mov_b32_e32 v60, 0x7f800001
	s_and_saveexec_b64 s[16:17], vcc
	s_cbranch_execz .LBB616_333
; %bb.332:                              ;   in Loop: Header=BB616_215 Depth=1
	v_and_b32_e32 v62, 7, v46
	v_ffbh_u32_e32 v60, v62
	v_min_u32_e32 v64, 32, v60
	v_subrev_u32_e32 v60, 28, v64
	v_lshlrev_b64 v[60:61], v60, v[46:47]
	v_lshrrev_b32_e32 v63, 3, v44
	v_sub_u32_e32 v61, 29, v64
	v_and_b32_e32 v60, 7, v60
	v_cmp_gt_u32_e32 vcc, 8, v44
	v_cndmask_b32_e32 v44, v63, v61, vcc
	v_cndmask_b32_e32 v60, v62, v60, vcc
	v_lshlrev_b32_e32 v46, 24, v46
	v_lshlrev_b32_e32 v60, 20, v60
	v_and_b32_e32 v46, 0x80000000, v46
	v_lshl_add_u32 v44, v44, 23, v55
	v_or3_b32 v60, v46, v44, v60
.LBB616_333:                            ;   in Loop: Header=BB616_215 Depth=1
	s_or_b64 exec, exec, s[16:17]
.LBB616_334:                            ;   in Loop: Header=BB616_215 Depth=1
	s_or_b64 exec, exec, s[14:15]
.LBB616_335:                            ;   in Loop: Header=BB616_215 Depth=1
	s_or_b64 exec, exec, s[12:13]
	s_waitcnt vmcnt(2)
	v_cmp_ne_u16_sdwa s[14:15], v42, v54 src0_sel:BYTE_0 src1_sel:DWORD
	s_and_saveexec_b64 s[12:13], s[14:15]
	s_cbranch_execz .LBB616_341
; %bb.336:                              ;   in Loop: Header=BB616_215 Depth=1
	v_cmp_ne_u16_sdwa s[16:17], v42, s9 src0_sel:BYTE_0 src1_sel:DWORD
	v_bfrev_b32_e32 v59, 1
	s_and_saveexec_b64 s[14:15], s[16:17]
	s_cbranch_execz .LBB616_340
; %bb.337:                              ;   in Loop: Header=BB616_215 Depth=1
	v_and_b32_e32 v44, 0x7f, v42
	v_cmp_ne_u32_e32 vcc, s19, v44
	v_mov_b32_e32 v59, 0x7f800001
	s_and_saveexec_b64 s[16:17], vcc
	s_cbranch_execz .LBB616_339
; %bb.338:                              ;   in Loop: Header=BB616_215 Depth=1
	v_and_b32_e32 v46, 7, v42
	v_ffbh_u32_e32 v61, v46
	v_min_u32_e32 v61, 32, v61
	v_subrev_u32_e32 v62, 28, v61
	v_lshlrev_b64 v[62:63], v62, v[42:43]
	v_lshrrev_b32_e32 v59, 3, v44
	v_sub_u32_e32 v61, 29, v61
	v_and_b32_e32 v62, 7, v62
	v_cmp_gt_u32_e32 vcc, 8, v44
	v_cndmask_b32_e32 v44, v59, v61, vcc
	v_cndmask_b32_e32 v46, v46, v62, vcc
	v_lshlrev_b32_e32 v59, 24, v42
	v_lshlrev_b32_e32 v46, 20, v46
	v_and_b32_e32 v59, 0x80000000, v59
	v_lshl_add_u32 v44, v44, 23, v55
	v_or3_b32 v59, v59, v44, v46
.LBB616_339:                            ;   in Loop: Header=BB616_215 Depth=1
	s_or_b64 exec, exec, s[16:17]
.LBB616_340:                            ;   in Loop: Header=BB616_215 Depth=1
	s_or_b64 exec, exec, s[14:15]
.LBB616_341:                            ;   in Loop: Header=BB616_215 Depth=1
	s_or_b64 exec, exec, s[12:13]
	v_lshrrev_b16_e32 v44, 8, v42
	v_cmp_ne_u16_e32 vcc, 0, v44
	v_mov_b32_e32 v61, 0
	v_mov_b32_e32 v62, 0
	s_and_saveexec_b64 s[12:13], vcc
	s_cbranch_execz .LBB616_347
; %bb.342:                              ;   in Loop: Header=BB616_215 Depth=1
	v_cmp_ne_u16_e32 vcc, s9, v44
	v_bfrev_b32_e32 v62, 1
	s_and_saveexec_b64 s[14:15], vcc
	s_cbranch_execz .LBB616_346
; %bb.343:                              ;   in Loop: Header=BB616_215 Depth=1
	v_and_b32_e32 v46, 0x7f, v44
	v_cmp_ne_u32_e32 vcc, s19, v46
	v_mov_b32_e32 v62, 0x7f800001
	s_and_saveexec_b64 s[16:17], vcc
	s_cbranch_execz .LBB616_345
; %bb.344:                              ;   in Loop: Header=BB616_215 Depth=1
	v_and_b32_e32 v64, 7, v44
	v_ffbh_u32_e32 v62, v64
	v_min_u32_e32 v66, 32, v62
	v_subrev_u32_e32 v62, 28, v66
	v_lshlrev_b64 v[62:63], v62, v[44:45]
	v_lshrrev_b32_e32 v65, 3, v46
	v_sub_u32_e32 v44, 29, v66
	v_and_b32_e32 v62, 7, v62
	v_cmp_gt_u32_e32 vcc, 8, v46
	v_cndmask_b32_e32 v44, v65, v44, vcc
	v_cndmask_b32_e32 v46, v64, v62, vcc
	v_lshlrev_b32_e32 v62, 16, v42
	v_lshlrev_b32_e32 v46, 20, v46
	v_and_b32_e32 v62, 0x80000000, v62
	v_lshl_add_u32 v44, v44, 23, v55
	v_or3_b32 v62, v62, v44, v46
.LBB616_345:                            ;   in Loop: Header=BB616_215 Depth=1
	s_or_b64 exec, exec, s[16:17]
.LBB616_346:                            ;   in Loop: Header=BB616_215 Depth=1
	s_or_b64 exec, exec, s[14:15]
.LBB616_347:                            ;   in Loop: Header=BB616_215 Depth=1
	s_or_b64 exec, exec, s[12:13]
	v_lshrrev_b32_e32 v44, 16, v42
	v_cmp_ne_u16_sdwa s[14:15], v44, v54 src0_sel:BYTE_0 src1_sel:DWORD
	s_and_saveexec_b64 s[12:13], s[14:15]
	s_cbranch_execz .LBB616_353
; %bb.348:                              ;   in Loop: Header=BB616_215 Depth=1
	v_cmp_ne_u16_sdwa s[16:17], v44, s9 src0_sel:BYTE_0 src1_sel:DWORD
	v_bfrev_b32_e32 v61, 1
	s_and_saveexec_b64 s[14:15], s[16:17]
	s_cbranch_execz .LBB616_352
; %bb.349:                              ;   in Loop: Header=BB616_215 Depth=1
	v_bfe_u32 v46, v42, 16, 7
	v_cmp_ne_u32_e32 vcc, s19, v46
	v_mov_b32_e32 v61, 0x7f800001
	s_and_saveexec_b64 s[16:17], vcc
	s_cbranch_execz .LBB616_351
; %bb.350:                              ;   in Loop: Header=BB616_215 Depth=1
	v_and_b32_e32 v61, 7, v44
	v_ffbh_u32_e32 v64, v61
	v_min_u32_e32 v66, 32, v64
	v_subrev_u32_e32 v64, 28, v66
	v_lshlrev_b64 v[64:65], v64, v[44:45]
	v_lshrrev_b32_e32 v63, 3, v46
	v_sub_u32_e32 v65, 29, v66
	v_and_b32_e32 v64, 7, v64
	v_cmp_gt_u32_e32 vcc, 8, v46
	v_cndmask_b32_e32 v46, v63, v65, vcc
	v_cndmask_b32_e32 v61, v61, v64, vcc
	v_lshlrev_b32_e32 v44, 24, v44
	v_lshlrev_b32_e32 v61, 20, v61
	v_and_b32_e32 v44, 0x80000000, v44
	v_lshl_add_u32 v46, v46, 23, v55
	v_or3_b32 v61, v44, v46, v61
.LBB616_351:                            ;   in Loop: Header=BB616_215 Depth=1
	s_or_b64 exec, exec, s[16:17]
.LBB616_352:                            ;   in Loop: Header=BB616_215 Depth=1
	s_or_b64 exec, exec, s[14:15]
.LBB616_353:                            ;   in Loop: Header=BB616_215 Depth=1
	s_or_b64 exec, exec, s[12:13]
	v_cmp_lt_u32_e32 vcc, s20, v42
	v_mov_b32_e32 v46, 0
	v_mov_b32_e32 v63, 0
	s_and_saveexec_b64 s[12:13], vcc
	s_cbranch_execz .LBB616_359
; %bb.354:                              ;   in Loop: Header=BB616_215 Depth=1
	v_lshrrev_b32_e32 v44, 24, v42
	v_cmp_ne_u32_e32 vcc, s9, v44
	v_bfrev_b32_e32 v63, 1
	s_and_saveexec_b64 s[14:15], vcc
	s_cbranch_execz .LBB616_358
; %bb.355:                              ;   in Loop: Header=BB616_215 Depth=1
	v_bfe_u32 v42, v42, 24, 7
	v_cmp_ne_u32_e32 vcc, s19, v42
	v_mov_b32_e32 v63, 0x7f800001
	s_and_saveexec_b64 s[16:17], vcc
	s_cbranch_execz .LBB616_357
; %bb.356:                              ;   in Loop: Header=BB616_215 Depth=1
	v_and_b32_e32 v63, 7, v44
	v_ffbh_u32_e32 v64, v63
	v_min_u32_e32 v67, 32, v64
	v_subrev_u32_e32 v64, 28, v67
	v_lshlrev_b64 v[64:65], v64, v[44:45]
	v_lshrrev_b32_e32 v66, 3, v42
	v_sub_u32_e32 v65, 29, v67
	v_and_b32_e32 v64, 7, v64
	v_cmp_gt_u32_e32 vcc, 8, v42
	v_cndmask_b32_e32 v42, v66, v65, vcc
	v_cndmask_b32_e32 v63, v63, v64, vcc
	v_lshlrev_b32_e32 v44, 24, v44
	v_lshlrev_b32_e32 v63, 20, v63
	v_and_b32_e32 v44, 0x80000000, v44
	v_lshl_add_u32 v42, v42, 23, v55
	v_or3_b32 v63, v44, v42, v63
.LBB616_357:                            ;   in Loop: Header=BB616_215 Depth=1
	s_or_b64 exec, exec, s[16:17]
.LBB616_358:                            ;   in Loop: Header=BB616_215 Depth=1
	s_or_b64 exec, exec, s[14:15]
.LBB616_359:                            ;   in Loop: Header=BB616_215 Depth=1
	s_or_b64 exec, exec, s[12:13]
	v_cvt_pkrtz_f16_f32 v56, v56, v58
	v_cvt_pkrtz_f16_f32 v57, v57, v60
	s_waitcnt vmcnt(1)
	v_cmp_ne_u16_sdwa s[14:15], v40, v54 src0_sel:BYTE_0 src1_sel:DWORD
	v_mfma_f32_16x16x16f16 v[34:37], v[56:57], v[10:11], v[34:37]
	v_cvt_pkrtz_f16_f32 v56, v59, v62
	v_cvt_pkrtz_f16_f32 v57, v61, v63
	s_nop 1
	v_mfma_f32_16x16x16f16 v[34:37], v[56:57], v[12:13], v[34:37]
	s_and_saveexec_b64 s[12:13], s[14:15]
	s_cbranch_execz .LBB616_365
; %bb.360:                              ;   in Loop: Header=BB616_215 Depth=1
	v_cmp_ne_u16_sdwa s[16:17], v40, s9 src0_sel:BYTE_0 src1_sel:DWORD
	v_bfrev_b32_e32 v46, 1
	s_and_saveexec_b64 s[14:15], s[16:17]
	s_cbranch_execz .LBB616_364
; %bb.361:                              ;   in Loop: Header=BB616_215 Depth=1
	v_and_b32_e32 v42, 0x7f, v40
	v_cmp_ne_u32_e32 vcc, s19, v42
	v_mov_b32_e32 v46, 0x7f800001
	s_and_saveexec_b64 s[16:17], vcc
	s_cbranch_execz .LBB616_363
; %bb.362:                              ;   in Loop: Header=BB616_215 Depth=1
	v_and_b32_e32 v44, 7, v40
	v_ffbh_u32_e32 v56, v44
	v_min_u32_e32 v58, 32, v56
	v_subrev_u32_e32 v56, 28, v58
	v_lshlrev_b64 v[56:57], v56, v[40:41]
	v_lshrrev_b32_e32 v46, 3, v42
	v_sub_u32_e32 v57, 29, v58
	v_and_b32_e32 v56, 7, v56
	v_cmp_gt_u32_e32 vcc, 8, v42
	v_cndmask_b32_e32 v42, v46, v57, vcc
	v_cndmask_b32_e32 v44, v44, v56, vcc
	v_lshlrev_b32_e32 v46, 24, v40
	v_lshlrev_b32_e32 v44, 20, v44
	v_and_b32_e32 v46, 0x80000000, v46
	v_lshl_add_u32 v42, v42, 23, v55
	v_or3_b32 v46, v46, v42, v44
.LBB616_363:                            ;   in Loop: Header=BB616_215 Depth=1
	s_or_b64 exec, exec, s[16:17]
.LBB616_364:                            ;   in Loop: Header=BB616_215 Depth=1
	s_or_b64 exec, exec, s[14:15]
.LBB616_365:                            ;   in Loop: Header=BB616_215 Depth=1
	s_or_b64 exec, exec, s[12:13]
	v_lshrrev_b16_e32 v42, 8, v40
	v_cmp_ne_u16_e32 vcc, 0, v42
	v_mov_b32_e32 v44, 0
	v_mov_b32_e32 v57, 0
	s_and_saveexec_b64 s[12:13], vcc
	s_cbranch_execz .LBB616_371
; %bb.366:                              ;   in Loop: Header=BB616_215 Depth=1
	v_cmp_ne_u16_e32 vcc, s9, v42
	v_bfrev_b32_e32 v57, 1
	s_and_saveexec_b64 s[14:15], vcc
	s_cbranch_execz .LBB616_370
; %bb.367:                              ;   in Loop: Header=BB616_215 Depth=1
	v_and_b32_e32 v56, 0x7f, v42
	v_cmp_ne_u32_e32 vcc, s19, v56
	v_mov_b32_e32 v57, 0x7f800001
	s_and_saveexec_b64 s[16:17], vcc
	s_cbranch_execz .LBB616_369
; %bb.368:                              ;   in Loop: Header=BB616_215 Depth=1
	v_and_b32_e32 v57, 7, v42
	v_ffbh_u32_e32 v58, v57
	v_min_u32_e32 v61, 32, v58
	v_subrev_u32_e32 v58, 28, v61
	v_lshlrev_b64 v[58:59], v58, v[42:43]
	v_lshrrev_b32_e32 v60, 3, v56
	v_sub_u32_e32 v42, 29, v61
	v_and_b32_e32 v58, 7, v58
	v_cmp_gt_u32_e32 vcc, 8, v56
	v_cndmask_b32_e32 v42, v60, v42, vcc
	v_cndmask_b32_e32 v56, v57, v58, vcc
	v_lshlrev_b32_e32 v57, 16, v40
	v_lshlrev_b32_e32 v56, 20, v56
	v_and_b32_e32 v57, 0x80000000, v57
	v_lshl_add_u32 v42, v42, 23, v55
	v_or3_b32 v57, v57, v42, v56
.LBB616_369:                            ;   in Loop: Header=BB616_215 Depth=1
	s_or_b64 exec, exec, s[16:17]
.LBB616_370:                            ;   in Loop: Header=BB616_215 Depth=1
	s_or_b64 exec, exec, s[14:15]
.LBB616_371:                            ;   in Loop: Header=BB616_215 Depth=1
	s_or_b64 exec, exec, s[12:13]
	v_lshrrev_b32_e32 v42, 16, v40
	v_cmp_ne_u16_sdwa s[14:15], v42, v54 src0_sel:BYTE_0 src1_sel:DWORD
	s_and_saveexec_b64 s[12:13], s[14:15]
	s_cbranch_execz .LBB616_377
; %bb.372:                              ;   in Loop: Header=BB616_215 Depth=1
	v_cmp_ne_u16_sdwa s[16:17], v42, s9 src0_sel:BYTE_0 src1_sel:DWORD
	v_bfrev_b32_e32 v44, 1
	s_and_saveexec_b64 s[14:15], s[16:17]
	s_cbranch_execz .LBB616_376
; %bb.373:                              ;   in Loop: Header=BB616_215 Depth=1
	v_bfe_u32 v56, v40, 16, 7
	v_cmp_ne_u32_e32 vcc, s19, v56
	v_mov_b32_e32 v44, 0x7f800001
	s_and_saveexec_b64 s[16:17], vcc
	s_cbranch_execz .LBB616_375
; %bb.374:                              ;   in Loop: Header=BB616_215 Depth=1
	v_and_b32_e32 v44, 7, v42
	v_ffbh_u32_e32 v58, v44
	v_min_u32_e32 v61, 32, v58
	v_subrev_u32_e32 v58, 28, v61
	v_lshlrev_b64 v[58:59], v58, v[42:43]
	v_lshrrev_b32_e32 v60, 3, v56
	v_sub_u32_e32 v59, 29, v61
	v_and_b32_e32 v58, 7, v58
	v_cmp_gt_u32_e32 vcc, 8, v56
	v_cndmask_b32_e32 v56, v60, v59, vcc
	v_cndmask_b32_e32 v44, v44, v58, vcc
	v_lshlrev_b32_e32 v42, 24, v42
	v_lshlrev_b32_e32 v44, 20, v44
	v_and_b32_e32 v42, 0x80000000, v42
	v_lshl_add_u32 v56, v56, 23, v55
	v_or3_b32 v44, v42, v56, v44
.LBB616_375:                            ;   in Loop: Header=BB616_215 Depth=1
	s_or_b64 exec, exec, s[16:17]
.LBB616_376:                            ;   in Loop: Header=BB616_215 Depth=1
	s_or_b64 exec, exec, s[14:15]
.LBB616_377:                            ;   in Loop: Header=BB616_215 Depth=1
	s_or_b64 exec, exec, s[12:13]
	v_cmp_lt_u32_e32 vcc, s20, v40
	v_mov_b32_e32 v58, 0
	v_mov_b32_e32 v59, 0
	s_and_saveexec_b64 s[12:13], vcc
	s_cbranch_execz .LBB616_383
; %bb.378:                              ;   in Loop: Header=BB616_215 Depth=1
	v_lshrrev_b32_e32 v42, 24, v40
	v_cmp_ne_u32_e32 vcc, s9, v42
	v_bfrev_b32_e32 v59, 1
	s_and_saveexec_b64 s[14:15], vcc
	s_cbranch_execz .LBB616_382
; %bb.379:                              ;   in Loop: Header=BB616_215 Depth=1
	v_bfe_u32 v40, v40, 24, 7
	v_cmp_ne_u32_e32 vcc, s19, v40
	v_mov_b32_e32 v59, 0x7f800001
	s_and_saveexec_b64 s[16:17], vcc
	s_cbranch_execz .LBB616_381
; %bb.380:                              ;   in Loop: Header=BB616_215 Depth=1
	v_and_b32_e32 v56, 7, v42
	v_ffbh_u32_e32 v60, v56
	v_min_u32_e32 v62, 32, v60
	v_subrev_u32_e32 v60, 28, v62
	v_lshlrev_b64 v[60:61], v60, v[42:43]
	v_lshrrev_b32_e32 v59, 3, v40
	v_sub_u32_e32 v61, 29, v62
	v_and_b32_e32 v60, 7, v60
	v_cmp_gt_u32_e32 vcc, 8, v40
	v_cndmask_b32_e32 v40, v59, v61, vcc
	v_cndmask_b32_e32 v56, v56, v60, vcc
	v_lshlrev_b32_e32 v42, 24, v42
	v_lshlrev_b32_e32 v56, 20, v56
	v_and_b32_e32 v42, 0x80000000, v42
	v_lshl_add_u32 v40, v40, 23, v55
	v_or3_b32 v59, v42, v40, v56
.LBB616_381:                            ;   in Loop: Header=BB616_215 Depth=1
	s_or_b64 exec, exec, s[16:17]
.LBB616_382:                            ;   in Loop: Header=BB616_215 Depth=1
	s_or_b64 exec, exec, s[14:15]
.LBB616_383:                            ;   in Loop: Header=BB616_215 Depth=1
	s_or_b64 exec, exec, s[12:13]
	s_waitcnt vmcnt(0)
	v_cmp_ne_u16_sdwa s[14:15], v38, v54 src0_sel:BYTE_0 src1_sel:DWORD
	s_and_saveexec_b64 s[12:13], s[14:15]
	s_cbranch_execz .LBB616_389
; %bb.384:                              ;   in Loop: Header=BB616_215 Depth=1
	v_cmp_ne_u16_sdwa s[16:17], v38, s9 src0_sel:BYTE_0 src1_sel:DWORD
	v_bfrev_b32_e32 v58, 1
	s_and_saveexec_b64 s[14:15], s[16:17]
	s_cbranch_execz .LBB616_388
; %bb.385:                              ;   in Loop: Header=BB616_215 Depth=1
	v_and_b32_e32 v40, 0x7f, v38
	v_cmp_ne_u32_e32 vcc, s19, v40
	v_mov_b32_e32 v58, 0x7f800001
	s_and_saveexec_b64 s[16:17], vcc
	s_cbranch_execz .LBB616_387
; %bb.386:                              ;   in Loop: Header=BB616_215 Depth=1
	v_and_b32_e32 v42, 7, v38
	v_ffbh_u32_e32 v58, v42
	v_min_u32_e32 v58, 32, v58
	v_subrev_u32_e32 v60, 28, v58
	v_lshlrev_b64 v[60:61], v60, v[38:39]
	v_lshrrev_b32_e32 v56, 3, v40
	v_sub_u32_e32 v58, 29, v58
	v_and_b32_e32 v60, 7, v60
	v_cmp_gt_u32_e32 vcc, 8, v40
	v_cndmask_b32_e32 v40, v56, v58, vcc
	v_cndmask_b32_e32 v42, v42, v60, vcc
	v_lshlrev_b32_e32 v56, 24, v38
	v_lshlrev_b32_e32 v42, 20, v42
	v_and_b32_e32 v56, 0x80000000, v56
	v_lshl_add_u32 v40, v40, 23, v55
	v_or3_b32 v58, v56, v40, v42
.LBB616_387:                            ;   in Loop: Header=BB616_215 Depth=1
	s_or_b64 exec, exec, s[16:17]
.LBB616_388:                            ;   in Loop: Header=BB616_215 Depth=1
	s_or_b64 exec, exec, s[14:15]
.LBB616_389:                            ;   in Loop: Header=BB616_215 Depth=1
	s_or_b64 exec, exec, s[12:13]
	v_lshrrev_b16_e32 v40, 8, v38
	v_cmp_ne_u16_e32 vcc, 0, v40
	v_mov_b32_e32 v60, 0
	v_mov_b32_e32 v61, 0
	s_and_saveexec_b64 s[12:13], vcc
	s_cbranch_execz .LBB616_395
; %bb.390:                              ;   in Loop: Header=BB616_215 Depth=1
	v_cmp_ne_u16_e32 vcc, s9, v40
	v_bfrev_b32_e32 v61, 1
	s_and_saveexec_b64 s[14:15], vcc
	s_cbranch_execz .LBB616_394
; %bb.391:                              ;   in Loop: Header=BB616_215 Depth=1
	v_and_b32_e32 v42, 0x7f, v40
	v_cmp_ne_u32_e32 vcc, s19, v42
	v_mov_b32_e32 v61, 0x7f800001
	s_and_saveexec_b64 s[16:17], vcc
	s_cbranch_execz .LBB616_393
; %bb.392:                              ;   in Loop: Header=BB616_215 Depth=1
	v_and_b32_e32 v56, 7, v40
	v_ffbh_u32_e32 v62, v56
	v_min_u32_e32 v64, 32, v62
	v_subrev_u32_e32 v62, 28, v64
	v_lshlrev_b64 v[62:63], v62, v[40:41]
	v_lshrrev_b32_e32 v61, 3, v42
	v_sub_u32_e32 v40, 29, v64
	v_and_b32_e32 v62, 7, v62
	v_cmp_gt_u32_e32 vcc, 8, v42
	v_cndmask_b32_e32 v40, v61, v40, vcc
	v_cndmask_b32_e32 v42, v56, v62, vcc
	v_lshlrev_b32_e32 v56, 16, v38
	v_lshlrev_b32_e32 v42, 20, v42
	v_and_b32_e32 v56, 0x80000000, v56
	v_lshl_add_u32 v40, v40, 23, v55
	v_or3_b32 v61, v56, v40, v42
.LBB616_393:                            ;   in Loop: Header=BB616_215 Depth=1
	s_or_b64 exec, exec, s[16:17]
.LBB616_394:                            ;   in Loop: Header=BB616_215 Depth=1
	s_or_b64 exec, exec, s[14:15]
.LBB616_395:                            ;   in Loop: Header=BB616_215 Depth=1
	s_or_b64 exec, exec, s[12:13]
	v_lshrrev_b32_e32 v40, 16, v38
	v_cmp_ne_u16_sdwa s[14:15], v40, v54 src0_sel:BYTE_0 src1_sel:DWORD
	s_and_saveexec_b64 s[12:13], s[14:15]
	s_cbranch_execz .LBB616_401
; %bb.396:                              ;   in Loop: Header=BB616_215 Depth=1
	v_cmp_ne_u16_sdwa s[16:17], v40, s9 src0_sel:BYTE_0 src1_sel:DWORD
	v_bfrev_b32_e32 v60, 1
	s_and_saveexec_b64 s[14:15], s[16:17]
	s_cbranch_execz .LBB616_400
; %bb.397:                              ;   in Loop: Header=BB616_215 Depth=1
	v_bfe_u32 v42, v38, 16, 7
	v_cmp_ne_u32_e32 vcc, s19, v42
	v_mov_b32_e32 v60, 0x7f800001
	s_and_saveexec_b64 s[16:17], vcc
	s_cbranch_execz .LBB616_399
; %bb.398:                              ;   in Loop: Header=BB616_215 Depth=1
	v_and_b32_e32 v56, 7, v40
	v_ffbh_u32_e32 v62, v56
	v_min_u32_e32 v64, 32, v62
	v_subrev_u32_e32 v62, 28, v64
	v_lshlrev_b64 v[62:63], v62, v[40:41]
	v_lshrrev_b32_e32 v60, 3, v42
	v_sub_u32_e32 v63, 29, v64
	v_and_b32_e32 v62, 7, v62
	v_cmp_gt_u32_e32 vcc, 8, v42
	v_cndmask_b32_e32 v42, v60, v63, vcc
	v_cndmask_b32_e32 v56, v56, v62, vcc
	v_lshlrev_b32_e32 v40, 24, v40
	v_lshlrev_b32_e32 v56, 20, v56
	v_and_b32_e32 v40, 0x80000000, v40
	v_lshl_add_u32 v42, v42, 23, v55
	v_or3_b32 v60, v40, v42, v56
.LBB616_399:                            ;   in Loop: Header=BB616_215 Depth=1
	s_or_b64 exec, exec, s[16:17]
.LBB616_400:                            ;   in Loop: Header=BB616_215 Depth=1
	s_or_b64 exec, exec, s[14:15]
.LBB616_401:                            ;   in Loop: Header=BB616_215 Depth=1
	s_or_b64 exec, exec, s[12:13]
	v_cmp_lt_u32_e32 vcc, s20, v38
	v_mov_b32_e32 v56, 0
	v_mov_b32_e32 v62, 0
	s_and_saveexec_b64 s[12:13], vcc
	s_cbranch_execz .LBB616_407
; %bb.402:                              ;   in Loop: Header=BB616_215 Depth=1
	v_lshrrev_b32_e32 v40, 24, v38
	v_cmp_ne_u32_e32 vcc, s9, v40
	v_bfrev_b32_e32 v62, 1
	s_and_saveexec_b64 s[14:15], vcc
	s_cbranch_execz .LBB616_406
; %bb.403:                              ;   in Loop: Header=BB616_215 Depth=1
	v_bfe_u32 v38, v38, 24, 7
	v_cmp_ne_u32_e32 vcc, s19, v38
	v_mov_b32_e32 v62, 0x7f800001
	s_and_saveexec_b64 s[16:17], vcc
	s_cbranch_execz .LBB616_405
; %bb.404:                              ;   in Loop: Header=BB616_215 Depth=1
	v_and_b32_e32 v42, 7, v40
	v_ffbh_u32_e32 v62, v42
	v_min_u32_e32 v65, 32, v62
	v_subrev_u32_e32 v62, 28, v65
	v_lshlrev_b64 v[62:63], v62, v[40:41]
	v_lshrrev_b32_e32 v64, 3, v38
	v_sub_u32_e32 v63, 29, v65
	v_and_b32_e32 v62, 7, v62
	v_cmp_gt_u32_e32 vcc, 8, v38
	v_cndmask_b32_e32 v38, v64, v63, vcc
	v_cndmask_b32_e32 v42, v42, v62, vcc
	v_lshlrev_b32_e32 v40, 24, v40
	v_lshlrev_b32_e32 v42, 20, v42
	v_and_b32_e32 v40, 0x80000000, v40
	v_lshl_add_u32 v38, v38, 23, v55
	v_or3_b32 v62, v40, v38, v42
.LBB616_405:                            ;   in Loop: Header=BB616_215 Depth=1
	s_or_b64 exec, exec, s[16:17]
.LBB616_406:                            ;   in Loop: Header=BB616_215 Depth=1
	s_or_b64 exec, exec, s[14:15]
.LBB616_407:                            ;   in Loop: Header=BB616_215 Depth=1
	s_or_b64 exec, exec, s[12:13]
	v_cvt_pkrtz_f16_f32 v65, v44, v59
	buffer_load_dword v44, v51, s[0:3], 0 offen
	buffer_load_dword v42, v51, s[0:3], 0 offen offset:4
	buffer_load_dword v40, v51, s[0:3], 0 offen offset:8
	;; [unrolled: 1-line block ×3, first 2 shown]
	v_cvt_pkrtz_f16_f32 v64, v46, v57
	v_cvt_pkrtz_f16_f32 v58, v58, v61
	;; [unrolled: 1-line block ×3, first 2 shown]
	v_mfma_f32_16x16x16f16 v[34:37], v[64:65], v[14:15], v[34:37]
	s_waitcnt vmcnt(3)
	v_cmp_ne_u16_sdwa s[14:15], v44, v54 src0_sel:BYTE_0 src1_sel:DWORD
	v_mfma_f32_16x16x16f16 v[34:37], v[58:59], v[16:17], v[34:37]
	s_and_saveexec_b64 s[12:13], s[14:15]
	s_cbranch_execz .LBB616_413
; %bb.408:                              ;   in Loop: Header=BB616_215 Depth=1
	v_cmp_ne_u16_sdwa s[16:17], v44, s9 src0_sel:BYTE_0 src1_sel:DWORD
	v_bfrev_b32_e32 v56, 1
	s_and_saveexec_b64 s[14:15], s[16:17]
	s_cbranch_execz .LBB616_412
; %bb.409:                              ;   in Loop: Header=BB616_215 Depth=1
	v_and_b32_e32 v46, 0x7f, v44
	v_cmp_ne_u32_e32 vcc, s19, v46
	v_mov_b32_e32 v56, 0x7f800001
	s_and_saveexec_b64 s[16:17], vcc
	s_cbranch_execz .LBB616_411
; %bb.410:                              ;   in Loop: Header=BB616_215 Depth=1
	v_and_b32_e32 v51, 7, v44
	v_ffbh_u32_e32 v56, v51
	v_min_u32_e32 v59, 32, v56
	v_subrev_u32_e32 v56, 28, v59
	v_lshlrev_b64 v[56:57], v56, v[44:45]
	v_lshrrev_b32_e32 v58, 3, v46
	v_sub_u32_e32 v57, 29, v59
	v_and_b32_e32 v56, 7, v56
	v_cmp_gt_u32_e32 vcc, 8, v46
	v_cndmask_b32_e32 v46, v58, v57, vcc
	v_cndmask_b32_e32 v51, v51, v56, vcc
	v_lshlrev_b32_e32 v56, 24, v44
	v_lshlrev_b32_e32 v51, 20, v51
	v_and_b32_e32 v56, 0x80000000, v56
	v_lshl_add_u32 v46, v46, 23, v55
	v_or3_b32 v56, v56, v46, v51
.LBB616_411:                            ;   in Loop: Header=BB616_215 Depth=1
	s_or_b64 exec, exec, s[16:17]
.LBB616_412:                            ;   in Loop: Header=BB616_215 Depth=1
	s_or_b64 exec, exec, s[14:15]
.LBB616_413:                            ;   in Loop: Header=BB616_215 Depth=1
	s_or_b64 exec, exec, s[12:13]
	v_lshrrev_b16_e32 v46, 8, v44
	v_cmp_ne_u16_e32 vcc, 0, v46
	v_mov_b32_e32 v51, 0
	v_mov_b32_e32 v57, 0
	s_and_saveexec_b64 s[12:13], vcc
	s_cbranch_execz .LBB616_419
; %bb.414:                              ;   in Loop: Header=BB616_215 Depth=1
	v_cmp_ne_u16_e32 vcc, s9, v46
	v_bfrev_b32_e32 v57, 1
	s_and_saveexec_b64 s[14:15], vcc
	s_cbranch_execz .LBB616_418
; %bb.415:                              ;   in Loop: Header=BB616_215 Depth=1
	v_and_b32_e32 v58, 0x7f, v46
	v_cmp_ne_u32_e32 vcc, s19, v58
	v_mov_b32_e32 v57, 0x7f800001
	s_and_saveexec_b64 s[16:17], vcc
	s_cbranch_execz .LBB616_417
; %bb.416:                              ;   in Loop: Header=BB616_215 Depth=1
	v_and_b32_e32 v57, 7, v46
	v_ffbh_u32_e32 v60, v57
	v_min_u32_e32 v62, 32, v60
	v_subrev_u32_e32 v60, 28, v62
	v_lshlrev_b64 v[60:61], v60, v[46:47]
	v_lshrrev_b32_e32 v59, 3, v58
	v_sub_u32_e32 v46, 29, v62
	v_and_b32_e32 v60, 7, v60
	v_cmp_gt_u32_e32 vcc, 8, v58
	v_cndmask_b32_e32 v46, v59, v46, vcc
	v_cndmask_b32_e32 v57, v57, v60, vcc
	v_lshlrev_b32_e32 v58, 16, v44
	v_lshlrev_b32_e32 v57, 20, v57
	v_and_b32_e32 v58, 0x80000000, v58
	v_lshl_add_u32 v46, v46, 23, v55
	v_or3_b32 v57, v58, v46, v57
.LBB616_417:                            ;   in Loop: Header=BB616_215 Depth=1
	s_or_b64 exec, exec, s[16:17]
.LBB616_418:                            ;   in Loop: Header=BB616_215 Depth=1
	s_or_b64 exec, exec, s[14:15]
.LBB616_419:                            ;   in Loop: Header=BB616_215 Depth=1
	s_or_b64 exec, exec, s[12:13]
	v_lshrrev_b32_e32 v46, 16, v44
	v_cmp_ne_u16_sdwa s[14:15], v46, v54 src0_sel:BYTE_0 src1_sel:DWORD
	s_and_saveexec_b64 s[12:13], s[14:15]
	s_cbranch_execz .LBB616_425
; %bb.420:                              ;   in Loop: Header=BB616_215 Depth=1
	v_cmp_ne_u16_sdwa s[16:17], v46, s9 src0_sel:BYTE_0 src1_sel:DWORD
	v_bfrev_b32_e32 v51, 1
	s_and_saveexec_b64 s[14:15], s[16:17]
	s_cbranch_execz .LBB616_424
; %bb.421:                              ;   in Loop: Header=BB616_215 Depth=1
	v_bfe_u32 v58, v44, 16, 7
	v_cmp_ne_u32_e32 vcc, s19, v58
	v_mov_b32_e32 v51, 0x7f800001
	s_and_saveexec_b64 s[16:17], vcc
	s_cbranch_execz .LBB616_423
; %bb.422:                              ;   in Loop: Header=BB616_215 Depth=1
	v_and_b32_e32 v51, 7, v46
	v_ffbh_u32_e32 v60, v51
	v_min_u32_e32 v62, 32, v60
	v_subrev_u32_e32 v60, 28, v62
	v_lshlrev_b64 v[60:61], v60, v[46:47]
	v_lshrrev_b32_e32 v59, 3, v58
	v_sub_u32_e32 v61, 29, v62
	v_and_b32_e32 v60, 7, v60
	v_cmp_gt_u32_e32 vcc, 8, v58
	v_cndmask_b32_e32 v58, v59, v61, vcc
	v_cndmask_b32_e32 v51, v51, v60, vcc
	v_lshlrev_b32_e32 v46, 24, v46
	v_lshlrev_b32_e32 v51, 20, v51
	v_and_b32_e32 v46, 0x80000000, v46
	v_lshl_add_u32 v58, v58, 23, v55
	v_or3_b32 v51, v46, v58, v51
.LBB616_423:                            ;   in Loop: Header=BB616_215 Depth=1
	s_or_b64 exec, exec, s[16:17]
.LBB616_424:                            ;   in Loop: Header=BB616_215 Depth=1
	s_or_b64 exec, exec, s[14:15]
.LBB616_425:                            ;   in Loop: Header=BB616_215 Depth=1
	s_or_b64 exec, exec, s[12:13]
	v_cmp_lt_u32_e32 vcc, s20, v44
	v_mov_b32_e32 v58, 0
	v_mov_b32_e32 v59, 0
	s_and_saveexec_b64 s[12:13], vcc
	s_cbranch_execz .LBB616_431
; %bb.426:                              ;   in Loop: Header=BB616_215 Depth=1
	v_lshrrev_b32_e32 v46, 24, v44
	v_cmp_ne_u32_e32 vcc, s9, v46
	v_bfrev_b32_e32 v59, 1
	s_and_saveexec_b64 s[14:15], vcc
	s_cbranch_execz .LBB616_430
; %bb.427:                              ;   in Loop: Header=BB616_215 Depth=1
	v_bfe_u32 v44, v44, 24, 7
	v_cmp_ne_u32_e32 vcc, s19, v44
	v_mov_b32_e32 v59, 0x7f800001
	s_and_saveexec_b64 s[16:17], vcc
	s_cbranch_execz .LBB616_429
; %bb.428:                              ;   in Loop: Header=BB616_215 Depth=1
	v_and_b32_e32 v59, 7, v46
	v_ffbh_u32_e32 v60, v59
	v_min_u32_e32 v63, 32, v60
	v_subrev_u32_e32 v60, 28, v63
	v_lshlrev_b64 v[60:61], v60, v[46:47]
	v_lshrrev_b32_e32 v62, 3, v44
	v_sub_u32_e32 v61, 29, v63
	v_and_b32_e32 v60, 7, v60
	v_cmp_gt_u32_e32 vcc, 8, v44
	v_cndmask_b32_e32 v44, v62, v61, vcc
	v_cndmask_b32_e32 v59, v59, v60, vcc
	v_lshlrev_b32_e32 v46, 24, v46
	v_lshlrev_b32_e32 v59, 20, v59
	v_and_b32_e32 v46, 0x80000000, v46
	v_lshl_add_u32 v44, v44, 23, v55
	v_or3_b32 v59, v46, v44, v59
.LBB616_429:                            ;   in Loop: Header=BB616_215 Depth=1
	s_or_b64 exec, exec, s[16:17]
.LBB616_430:                            ;   in Loop: Header=BB616_215 Depth=1
	s_or_b64 exec, exec, s[14:15]
.LBB616_431:                            ;   in Loop: Header=BB616_215 Depth=1
	s_or_b64 exec, exec, s[12:13]
	s_waitcnt vmcnt(2)
	v_cmp_ne_u16_sdwa s[14:15], v42, v54 src0_sel:BYTE_0 src1_sel:DWORD
	s_and_saveexec_b64 s[12:13], s[14:15]
	s_cbranch_execz .LBB616_437
; %bb.432:                              ;   in Loop: Header=BB616_215 Depth=1
	v_cmp_ne_u16_sdwa s[16:17], v42, s9 src0_sel:BYTE_0 src1_sel:DWORD
	v_bfrev_b32_e32 v58, 1
	s_and_saveexec_b64 s[14:15], s[16:17]
	s_cbranch_execz .LBB616_436
; %bb.433:                              ;   in Loop: Header=BB616_215 Depth=1
	v_and_b32_e32 v44, 0x7f, v42
	v_cmp_ne_u32_e32 vcc, s19, v44
	v_mov_b32_e32 v58, 0x7f800001
	s_and_saveexec_b64 s[16:17], vcc
	s_cbranch_execz .LBB616_435
; %bb.434:                              ;   in Loop: Header=BB616_215 Depth=1
	v_and_b32_e32 v46, 7, v42
	v_ffbh_u32_e32 v60, v46
	v_min_u32_e32 v62, 32, v60
	v_subrev_u32_e32 v60, 28, v62
	v_lshlrev_b64 v[60:61], v60, v[42:43]
	v_lshrrev_b32_e32 v58, 3, v44
	v_sub_u32_e32 v61, 29, v62
	v_and_b32_e32 v60, 7, v60
	v_cmp_gt_u32_e32 vcc, 8, v44
	v_cndmask_b32_e32 v44, v58, v61, vcc
	v_cndmask_b32_e32 v46, v46, v60, vcc
	v_lshlrev_b32_e32 v58, 24, v42
	v_lshlrev_b32_e32 v46, 20, v46
	v_and_b32_e32 v58, 0x80000000, v58
	v_lshl_add_u32 v44, v44, 23, v55
	v_or3_b32 v58, v58, v44, v46
.LBB616_435:                            ;   in Loop: Header=BB616_215 Depth=1
	s_or_b64 exec, exec, s[16:17]
.LBB616_436:                            ;   in Loop: Header=BB616_215 Depth=1
	s_or_b64 exec, exec, s[14:15]
.LBB616_437:                            ;   in Loop: Header=BB616_215 Depth=1
	s_or_b64 exec, exec, s[12:13]
	v_lshrrev_b16_e32 v44, 8, v42
	v_cmp_ne_u16_e32 vcc, 0, v44
	v_mov_b32_e32 v60, 0
	v_mov_b32_e32 v61, 0
	s_and_saveexec_b64 s[12:13], vcc
	s_cbranch_execz .LBB616_443
; %bb.438:                              ;   in Loop: Header=BB616_215 Depth=1
	v_cmp_ne_u16_e32 vcc, s9, v44
	v_bfrev_b32_e32 v61, 1
	s_and_saveexec_b64 s[14:15], vcc
	s_cbranch_execz .LBB616_442
; %bb.439:                              ;   in Loop: Header=BB616_215 Depth=1
	v_and_b32_e32 v46, 0x7f, v44
	v_cmp_ne_u32_e32 vcc, s19, v46
	v_mov_b32_e32 v61, 0x7f800001
	s_and_saveexec_b64 s[16:17], vcc
	s_cbranch_execz .LBB616_441
; %bb.440:                              ;   in Loop: Header=BB616_215 Depth=1
	v_and_b32_e32 v61, 7, v44
	v_ffbh_u32_e32 v62, v61
	v_min_u32_e32 v65, 32, v62
	v_subrev_u32_e32 v62, 28, v65
	v_lshlrev_b64 v[62:63], v62, v[44:45]
	v_lshrrev_b32_e32 v64, 3, v46
	v_sub_u32_e32 v44, 29, v65
	v_and_b32_e32 v62, 7, v62
	v_cmp_gt_u32_e32 vcc, 8, v46
	v_cndmask_b32_e32 v44, v64, v44, vcc
	v_cndmask_b32_e32 v46, v61, v62, vcc
	v_lshlrev_b32_e32 v61, 16, v42
	v_lshlrev_b32_e32 v46, 20, v46
	v_and_b32_e32 v61, 0x80000000, v61
	v_lshl_add_u32 v44, v44, 23, v55
	v_or3_b32 v61, v61, v44, v46
.LBB616_441:                            ;   in Loop: Header=BB616_215 Depth=1
	s_or_b64 exec, exec, s[16:17]
.LBB616_442:                            ;   in Loop: Header=BB616_215 Depth=1
	s_or_b64 exec, exec, s[14:15]
.LBB616_443:                            ;   in Loop: Header=BB616_215 Depth=1
	s_or_b64 exec, exec, s[12:13]
	v_lshrrev_b32_e32 v44, 16, v42
	v_cmp_ne_u16_sdwa s[14:15], v44, v54 src0_sel:BYTE_0 src1_sel:DWORD
	s_and_saveexec_b64 s[12:13], s[14:15]
	s_cbranch_execz .LBB616_449
; %bb.444:                              ;   in Loop: Header=BB616_215 Depth=1
	v_cmp_ne_u16_sdwa s[16:17], v44, s9 src0_sel:BYTE_0 src1_sel:DWORD
	v_bfrev_b32_e32 v60, 1
	s_and_saveexec_b64 s[14:15], s[16:17]
	s_cbranch_execz .LBB616_448
; %bb.445:                              ;   in Loop: Header=BB616_215 Depth=1
	v_bfe_u32 v46, v42, 16, 7
	v_cmp_ne_u32_e32 vcc, s19, v46
	v_mov_b32_e32 v60, 0x7f800001
	s_and_saveexec_b64 s[16:17], vcc
	s_cbranch_execz .LBB616_447
; %bb.446:                              ;   in Loop: Header=BB616_215 Depth=1
	v_and_b32_e32 v60, 7, v44
	v_ffbh_u32_e32 v62, v60
	v_min_u32_e32 v65, 32, v62
	v_subrev_u32_e32 v62, 28, v65
	v_lshlrev_b64 v[62:63], v62, v[44:45]
	v_lshrrev_b32_e32 v64, 3, v46
	v_sub_u32_e32 v63, 29, v65
	v_and_b32_e32 v62, 7, v62
	v_cmp_gt_u32_e32 vcc, 8, v46
	v_cndmask_b32_e32 v46, v64, v63, vcc
	v_cndmask_b32_e32 v60, v60, v62, vcc
	v_lshlrev_b32_e32 v44, 24, v44
	v_lshlrev_b32_e32 v60, 20, v60
	v_and_b32_e32 v44, 0x80000000, v44
	v_lshl_add_u32 v46, v46, 23, v55
	v_or3_b32 v60, v44, v46, v60
.LBB616_447:                            ;   in Loop: Header=BB616_215 Depth=1
	s_or_b64 exec, exec, s[16:17]
.LBB616_448:                            ;   in Loop: Header=BB616_215 Depth=1
	s_or_b64 exec, exec, s[14:15]
.LBB616_449:                            ;   in Loop: Header=BB616_215 Depth=1
	s_or_b64 exec, exec, s[12:13]
	v_cmp_lt_u32_e32 vcc, s20, v42
	v_mov_b32_e32 v46, 0
	v_mov_b32_e32 v62, 0
	s_and_saveexec_b64 s[12:13], vcc
	s_cbranch_execz .LBB616_455
; %bb.450:                              ;   in Loop: Header=BB616_215 Depth=1
	v_lshrrev_b32_e32 v44, 24, v42
	v_cmp_ne_u32_e32 vcc, s9, v44
	v_bfrev_b32_e32 v62, 1
	s_and_saveexec_b64 s[14:15], vcc
	s_cbranch_execz .LBB616_454
; %bb.451:                              ;   in Loop: Header=BB616_215 Depth=1
	v_bfe_u32 v42, v42, 24, 7
	v_cmp_ne_u32_e32 vcc, s19, v42
	v_mov_b32_e32 v62, 0x7f800001
	s_and_saveexec_b64 s[16:17], vcc
	s_cbranch_execz .LBB616_453
; %bb.452:                              ;   in Loop: Header=BB616_215 Depth=1
	v_and_b32_e32 v64, 7, v44
	v_ffbh_u32_e32 v62, v64
	v_min_u32_e32 v66, 32, v62
	v_subrev_u32_e32 v62, 28, v66
	v_lshlrev_b64 v[62:63], v62, v[44:45]
	v_lshrrev_b32_e32 v65, 3, v42
	v_sub_u32_e32 v63, 29, v66
	v_and_b32_e32 v62, 7, v62
	v_cmp_gt_u32_e32 vcc, 8, v42
	v_cndmask_b32_e32 v42, v65, v63, vcc
	v_cndmask_b32_e32 v62, v64, v62, vcc
	v_lshlrev_b32_e32 v44, 24, v44
	v_lshlrev_b32_e32 v62, 20, v62
	v_and_b32_e32 v44, 0x80000000, v44
	v_lshl_add_u32 v42, v42, 23, v55
	v_or3_b32 v62, v44, v42, v62
.LBB616_453:                            ;   in Loop: Header=BB616_215 Depth=1
	s_or_b64 exec, exec, s[16:17]
.LBB616_454:                            ;   in Loop: Header=BB616_215 Depth=1
	s_or_b64 exec, exec, s[14:15]
.LBB616_455:                            ;   in Loop: Header=BB616_215 Depth=1
	s_or_b64 exec, exec, s[12:13]
	v_cvt_pkrtz_f16_f32 v56, v56, v57
	v_cvt_pkrtz_f16_f32 v57, v51, v59
	s_waitcnt vmcnt(1)
	v_cmp_ne_u16_sdwa s[14:15], v40, v54 src0_sel:BYTE_0 src1_sel:DWORD
	v_mfma_f32_16x16x16f16 v[34:37], v[56:57], v[18:19], v[34:37]
	v_cvt_pkrtz_f16_f32 v56, v58, v61
	v_cvt_pkrtz_f16_f32 v57, v60, v62
	s_nop 1
	v_mfma_f32_16x16x16f16 v[34:37], v[56:57], v[20:21], v[34:37]
	s_and_saveexec_b64 s[12:13], s[14:15]
	s_cbranch_execz .LBB616_461
; %bb.456:                              ;   in Loop: Header=BB616_215 Depth=1
	v_cmp_ne_u16_sdwa s[16:17], v40, s9 src0_sel:BYTE_0 src1_sel:DWORD
	v_bfrev_b32_e32 v46, 1
	s_and_saveexec_b64 s[14:15], s[16:17]
	s_cbranch_execz .LBB616_460
; %bb.457:                              ;   in Loop: Header=BB616_215 Depth=1
	v_and_b32_e32 v42, 0x7f, v40
	v_cmp_ne_u32_e32 vcc, s19, v42
	v_mov_b32_e32 v46, 0x7f800001
	s_and_saveexec_b64 s[16:17], vcc
	s_cbranch_execz .LBB616_459
; %bb.458:                              ;   in Loop: Header=BB616_215 Depth=1
	v_and_b32_e32 v44, 7, v40
	v_ffbh_u32_e32 v51, v44
	v_min_u32_e32 v51, 32, v51
	v_subrev_u32_e32 v56, 28, v51
	v_lshlrev_b64 v[56:57], v56, v[40:41]
	v_lshrrev_b32_e32 v46, 3, v42
	v_sub_u32_e32 v51, 29, v51
	v_and_b32_e32 v56, 7, v56
	v_cmp_gt_u32_e32 vcc, 8, v42
	v_cndmask_b32_e32 v42, v46, v51, vcc
	v_cndmask_b32_e32 v44, v44, v56, vcc
	v_lshlrev_b32_e32 v46, 24, v40
	v_lshlrev_b32_e32 v44, 20, v44
	v_and_b32_e32 v46, 0x80000000, v46
	v_lshl_add_u32 v42, v42, 23, v55
	v_or3_b32 v46, v46, v42, v44
.LBB616_459:                            ;   in Loop: Header=BB616_215 Depth=1
	s_or_b64 exec, exec, s[16:17]
.LBB616_460:                            ;   in Loop: Header=BB616_215 Depth=1
	s_or_b64 exec, exec, s[14:15]
.LBB616_461:                            ;   in Loop: Header=BB616_215 Depth=1
	s_or_b64 exec, exec, s[12:13]
	v_lshrrev_b16_e32 v42, 8, v40
	v_cmp_ne_u16_e32 vcc, 0, v42
	v_mov_b32_e32 v44, 0
	v_mov_b32_e32 v56, 0
	s_and_saveexec_b64 s[12:13], vcc
	s_cbranch_execz .LBB616_467
; %bb.462:                              ;   in Loop: Header=BB616_215 Depth=1
	v_cmp_ne_u16_e32 vcc, s9, v42
	v_bfrev_b32_e32 v56, 1
	s_and_saveexec_b64 s[14:15], vcc
	s_cbranch_execz .LBB616_466
; %bb.463:                              ;   in Loop: Header=BB616_215 Depth=1
	v_and_b32_e32 v51, 0x7f, v42
	v_cmp_ne_u32_e32 vcc, s19, v51
	v_mov_b32_e32 v56, 0x7f800001
	s_and_saveexec_b64 s[16:17], vcc
	s_cbranch_execz .LBB616_465
; %bb.464:                              ;   in Loop: Header=BB616_215 Depth=1
	v_and_b32_e32 v58, 7, v42
	v_ffbh_u32_e32 v56, v58
	v_min_u32_e32 v60, 32, v56
	v_subrev_u32_e32 v56, 28, v60
	v_lshlrev_b64 v[56:57], v56, v[42:43]
	v_lshrrev_b32_e32 v59, 3, v51
	v_sub_u32_e32 v42, 29, v60
	v_and_b32_e32 v56, 7, v56
	v_cmp_gt_u32_e32 vcc, 8, v51
	v_cndmask_b32_e32 v42, v59, v42, vcc
	v_cndmask_b32_e32 v51, v58, v56, vcc
	v_lshlrev_b32_e32 v56, 16, v40
	v_lshlrev_b32_e32 v51, 20, v51
	v_and_b32_e32 v56, 0x80000000, v56
	v_lshl_add_u32 v42, v42, 23, v55
	v_or3_b32 v56, v56, v42, v51
.LBB616_465:                            ;   in Loop: Header=BB616_215 Depth=1
	s_or_b64 exec, exec, s[16:17]
.LBB616_466:                            ;   in Loop: Header=BB616_215 Depth=1
	s_or_b64 exec, exec, s[14:15]
.LBB616_467:                            ;   in Loop: Header=BB616_215 Depth=1
	s_or_b64 exec, exec, s[12:13]
	v_lshrrev_b32_e32 v42, 16, v40
	v_cmp_ne_u16_sdwa s[14:15], v42, v54 src0_sel:BYTE_0 src1_sel:DWORD
	s_and_saveexec_b64 s[12:13], s[14:15]
	s_cbranch_execz .LBB616_473
; %bb.468:                              ;   in Loop: Header=BB616_215 Depth=1
	v_cmp_ne_u16_sdwa s[16:17], v42, s9 src0_sel:BYTE_0 src1_sel:DWORD
	v_bfrev_b32_e32 v44, 1
	s_and_saveexec_b64 s[14:15], s[16:17]
	s_cbranch_execz .LBB616_472
; %bb.469:                              ;   in Loop: Header=BB616_215 Depth=1
	v_bfe_u32 v51, v40, 16, 7
	v_cmp_ne_u32_e32 vcc, s19, v51
	v_mov_b32_e32 v44, 0x7f800001
	s_and_saveexec_b64 s[16:17], vcc
	s_cbranch_execz .LBB616_471
; %bb.470:                              ;   in Loop: Header=BB616_215 Depth=1
	v_and_b32_e32 v44, 7, v42
	v_ffbh_u32_e32 v58, v44
	v_min_u32_e32 v60, 32, v58
	v_subrev_u32_e32 v58, 28, v60
	v_lshlrev_b64 v[58:59], v58, v[42:43]
	v_lshrrev_b32_e32 v57, 3, v51
	v_sub_u32_e32 v59, 29, v60
	v_and_b32_e32 v58, 7, v58
	v_cmp_gt_u32_e32 vcc, 8, v51
	v_cndmask_b32_e32 v51, v57, v59, vcc
	v_cndmask_b32_e32 v44, v44, v58, vcc
	v_lshlrev_b32_e32 v42, 24, v42
	v_lshlrev_b32_e32 v44, 20, v44
	v_and_b32_e32 v42, 0x80000000, v42
	v_lshl_add_u32 v51, v51, 23, v55
	v_or3_b32 v44, v42, v51, v44
.LBB616_471:                            ;   in Loop: Header=BB616_215 Depth=1
	s_or_b64 exec, exec, s[16:17]
.LBB616_472:                            ;   in Loop: Header=BB616_215 Depth=1
	s_or_b64 exec, exec, s[14:15]
.LBB616_473:                            ;   in Loop: Header=BB616_215 Depth=1
	s_or_b64 exec, exec, s[12:13]
	v_cmp_lt_u32_e32 vcc, s20, v40
	v_mov_b32_e32 v57, 0
	v_mov_b32_e32 v58, 0
	s_and_saveexec_b64 s[12:13], vcc
	s_cbranch_execz .LBB616_479
; %bb.474:                              ;   in Loop: Header=BB616_215 Depth=1
	v_lshrrev_b32_e32 v42, 24, v40
	v_cmp_ne_u32_e32 vcc, s9, v42
	v_bfrev_b32_e32 v58, 1
	s_and_saveexec_b64 s[14:15], vcc
	s_cbranch_execz .LBB616_478
; %bb.475:                              ;   in Loop: Header=BB616_215 Depth=1
	v_bfe_u32 v40, v40, 24, 7
	v_cmp_ne_u32_e32 vcc, s19, v40
	v_mov_b32_e32 v58, 0x7f800001
	s_and_saveexec_b64 s[16:17], vcc
	s_cbranch_execz .LBB616_477
; %bb.476:                              ;   in Loop: Header=BB616_215 Depth=1
	v_and_b32_e32 v51, 7, v42
	v_ffbh_u32_e32 v58, v51
	v_min_u32_e32 v61, 32, v58
	v_subrev_u32_e32 v58, 28, v61
	v_lshlrev_b64 v[58:59], v58, v[42:43]
	v_lshrrev_b32_e32 v60, 3, v40
	v_sub_u32_e32 v59, 29, v61
	v_and_b32_e32 v58, 7, v58
	v_cmp_gt_u32_e32 vcc, 8, v40
	v_cndmask_b32_e32 v40, v60, v59, vcc
	v_cndmask_b32_e32 v51, v51, v58, vcc
	v_lshlrev_b32_e32 v42, 24, v42
	v_lshlrev_b32_e32 v51, 20, v51
	v_and_b32_e32 v42, 0x80000000, v42
	v_lshl_add_u32 v40, v40, 23, v55
	v_or3_b32 v58, v42, v40, v51
.LBB616_477:                            ;   in Loop: Header=BB616_215 Depth=1
	s_or_b64 exec, exec, s[16:17]
.LBB616_478:                            ;   in Loop: Header=BB616_215 Depth=1
	s_or_b64 exec, exec, s[14:15]
.LBB616_479:                            ;   in Loop: Header=BB616_215 Depth=1
	s_or_b64 exec, exec, s[12:13]
	s_waitcnt vmcnt(0)
	v_cmp_ne_u16_sdwa s[14:15], v38, v54 src0_sel:BYTE_0 src1_sel:DWORD
	s_and_saveexec_b64 s[12:13], s[14:15]
	s_cbranch_execz .LBB616_485
; %bb.480:                              ;   in Loop: Header=BB616_215 Depth=1
	v_cmp_ne_u16_sdwa s[16:17], v38, s9 src0_sel:BYTE_0 src1_sel:DWORD
	v_bfrev_b32_e32 v57, 1
	s_and_saveexec_b64 s[14:15], s[16:17]
	s_cbranch_execz .LBB616_484
; %bb.481:                              ;   in Loop: Header=BB616_215 Depth=1
	v_and_b32_e32 v40, 0x7f, v38
	v_cmp_ne_u32_e32 vcc, s19, v40
	v_mov_b32_e32 v57, 0x7f800001
	s_and_saveexec_b64 s[16:17], vcc
	s_cbranch_execz .LBB616_483
; %bb.482:                              ;   in Loop: Header=BB616_215 Depth=1
	v_and_b32_e32 v42, 7, v38
	v_ffbh_u32_e32 v57, v42
	v_min_u32_e32 v57, 32, v57
	v_subrev_u32_e32 v59, 28, v57
	v_lshlrev_b64 v[60:61], v59, v[38:39]
	v_lshrrev_b32_e32 v51, 3, v40
	v_sub_u32_e32 v57, 29, v57
	v_and_b32_e32 v59, 7, v60
	v_cmp_gt_u32_e32 vcc, 8, v40
	v_cndmask_b32_e32 v40, v51, v57, vcc
	v_cndmask_b32_e32 v42, v42, v59, vcc
	v_lshlrev_b32_e32 v51, 24, v38
	v_lshlrev_b32_e32 v42, 20, v42
	v_and_b32_e32 v51, 0x80000000, v51
	v_lshl_add_u32 v40, v40, 23, v55
	v_or3_b32 v57, v51, v40, v42
.LBB616_483:                            ;   in Loop: Header=BB616_215 Depth=1
	s_or_b64 exec, exec, s[16:17]
.LBB616_484:                            ;   in Loop: Header=BB616_215 Depth=1
	s_or_b64 exec, exec, s[14:15]
.LBB616_485:                            ;   in Loop: Header=BB616_215 Depth=1
	s_or_b64 exec, exec, s[12:13]
	v_lshrrev_b16_e32 v40, 8, v38
	v_cmp_ne_u16_e32 vcc, 0, v40
	v_mov_b32_e32 v59, 0
	v_mov_b32_e32 v60, 0
	s_and_saveexec_b64 s[12:13], vcc
	s_cbranch_execz .LBB616_491
; %bb.486:                              ;   in Loop: Header=BB616_215 Depth=1
	v_cmp_ne_u16_e32 vcc, s9, v40
	v_bfrev_b32_e32 v60, 1
	s_and_saveexec_b64 s[14:15], vcc
	s_cbranch_execz .LBB616_490
; %bb.487:                              ;   in Loop: Header=BB616_215 Depth=1
	v_and_b32_e32 v42, 0x7f, v40
	v_cmp_ne_u32_e32 vcc, s19, v42
	v_mov_b32_e32 v60, 0x7f800001
	s_and_saveexec_b64 s[16:17], vcc
	s_cbranch_execz .LBB616_489
; %bb.488:                              ;   in Loop: Header=BB616_215 Depth=1
	v_and_b32_e32 v51, 7, v40
	v_ffbh_u32_e32 v60, v51
	v_min_u32_e32 v63, 32, v60
	v_subrev_u32_e32 v60, 28, v63
	v_lshlrev_b64 v[60:61], v60, v[40:41]
	v_lshrrev_b32_e32 v62, 3, v42
	v_sub_u32_e32 v40, 29, v63
	v_and_b32_e32 v60, 7, v60
	v_cmp_gt_u32_e32 vcc, 8, v42
	v_cndmask_b32_e32 v40, v62, v40, vcc
	v_cndmask_b32_e32 v42, v51, v60, vcc
	v_lshlrev_b32_e32 v51, 16, v38
	v_lshlrev_b32_e32 v42, 20, v42
	v_and_b32_e32 v51, 0x80000000, v51
	v_lshl_add_u32 v40, v40, 23, v55
	v_or3_b32 v60, v51, v40, v42
.LBB616_489:                            ;   in Loop: Header=BB616_215 Depth=1
	s_or_b64 exec, exec, s[16:17]
.LBB616_490:                            ;   in Loop: Header=BB616_215 Depth=1
	s_or_b64 exec, exec, s[14:15]
.LBB616_491:                            ;   in Loop: Header=BB616_215 Depth=1
	s_or_b64 exec, exec, s[12:13]
	v_lshrrev_b32_e32 v40, 16, v38
	v_cmp_ne_u16_sdwa s[14:15], v40, v54 src0_sel:BYTE_0 src1_sel:DWORD
	s_and_saveexec_b64 s[12:13], s[14:15]
	s_cbranch_execz .LBB616_497
; %bb.492:                              ;   in Loop: Header=BB616_215 Depth=1
	v_cmp_ne_u16_sdwa s[16:17], v40, s9 src0_sel:BYTE_0 src1_sel:DWORD
	v_bfrev_b32_e32 v59, 1
	s_and_saveexec_b64 s[14:15], s[16:17]
	s_cbranch_execz .LBB616_496
; %bb.493:                              ;   in Loop: Header=BB616_215 Depth=1
	v_bfe_u32 v42, v38, 16, 7
	v_cmp_ne_u32_e32 vcc, s19, v42
	v_mov_b32_e32 v59, 0x7f800001
	s_and_saveexec_b64 s[16:17], vcc
	s_cbranch_execz .LBB616_495
; %bb.494:                              ;   in Loop: Header=BB616_215 Depth=1
	v_and_b32_e32 v51, 7, v40
	v_ffbh_u32_e32 v61, v51
	v_min_u32_e32 v61, 32, v61
	v_subrev_u32_e32 v62, 28, v61
	v_lshlrev_b64 v[62:63], v62, v[40:41]
	v_lshrrev_b32_e32 v59, 3, v42
	v_sub_u32_e32 v61, 29, v61
	v_and_b32_e32 v62, 7, v62
	v_cmp_gt_u32_e32 vcc, 8, v42
	v_cndmask_b32_e32 v42, v59, v61, vcc
	v_cndmask_b32_e32 v51, v51, v62, vcc
	v_lshlrev_b32_e32 v40, 24, v40
	v_lshlrev_b32_e32 v51, 20, v51
	v_and_b32_e32 v40, 0x80000000, v40
	v_lshl_add_u32 v42, v42, 23, v55
	v_or3_b32 v59, v40, v42, v51
.LBB616_495:                            ;   in Loop: Header=BB616_215 Depth=1
	s_or_b64 exec, exec, s[16:17]
.LBB616_496:                            ;   in Loop: Header=BB616_215 Depth=1
	s_or_b64 exec, exec, s[14:15]
.LBB616_497:                            ;   in Loop: Header=BB616_215 Depth=1
	s_or_b64 exec, exec, s[12:13]
	v_cmp_lt_u32_e32 vcc, s20, v38
	v_mov_b32_e32 v51, 0
	v_mov_b32_e32 v61, 0
	s_and_saveexec_b64 s[12:13], vcc
	s_cbranch_execz .LBB616_503
; %bb.498:                              ;   in Loop: Header=BB616_215 Depth=1
	v_lshrrev_b32_e32 v40, 24, v38
	v_cmp_ne_u32_e32 vcc, s9, v40
	v_bfrev_b32_e32 v61, 1
	s_and_saveexec_b64 s[14:15], vcc
	s_cbranch_execz .LBB616_502
; %bb.499:                              ;   in Loop: Header=BB616_215 Depth=1
	v_bfe_u32 v38, v38, 24, 7
	v_cmp_ne_u32_e32 vcc, s19, v38
	v_mov_b32_e32 v61, 0x7f800001
	s_and_saveexec_b64 s[16:17], vcc
	s_cbranch_execz .LBB616_501
; %bb.500:                              ;   in Loop: Header=BB616_215 Depth=1
	v_and_b32_e32 v42, 7, v40
	v_ffbh_u32_e32 v62, v42
	v_min_u32_e32 v64, 32, v62
	v_subrev_u32_e32 v62, 28, v64
	v_lshlrev_b64 v[62:63], v62, v[40:41]
	v_lshrrev_b32_e32 v61, 3, v38
	v_sub_u32_e32 v63, 29, v64
	v_and_b32_e32 v62, 7, v62
	v_cmp_gt_u32_e32 vcc, 8, v38
	v_cndmask_b32_e32 v38, v61, v63, vcc
	v_cndmask_b32_e32 v42, v42, v62, vcc
	v_lshlrev_b32_e32 v40, 24, v40
	v_lshlrev_b32_e32 v42, 20, v42
	v_and_b32_e32 v40, 0x80000000, v40
	v_lshl_add_u32 v38, v38, 23, v55
	v_or3_b32 v61, v40, v38, v42
.LBB616_501:                            ;   in Loop: Header=BB616_215 Depth=1
	s_or_b64 exec, exec, s[16:17]
.LBB616_502:                            ;   in Loop: Header=BB616_215 Depth=1
	s_or_b64 exec, exec, s[14:15]
.LBB616_503:                            ;   in Loop: Header=BB616_215 Depth=1
	s_or_b64 exec, exec, s[12:13]
	v_cvt_pkrtz_f16_f32 v63, v44, v58
	buffer_load_dword v44, v50, s[0:3], 0 offen
	buffer_load_dword v42, v50, s[0:3], 0 offen offset:4
	buffer_load_dword v40, v50, s[0:3], 0 offen offset:8
	;; [unrolled: 1-line block ×3, first 2 shown]
	v_cvt_pkrtz_f16_f32 v62, v46, v56
	v_cvt_pkrtz_f16_f32 v56, v57, v60
	;; [unrolled: 1-line block ×3, first 2 shown]
	v_mfma_f32_16x16x16f16 v[34:37], v[62:63], v[22:23], v[34:37]
	s_waitcnt vmcnt(3)
	v_cmp_ne_u16_sdwa s[14:15], v44, v54 src0_sel:BYTE_0 src1_sel:DWORD
	v_mfma_f32_16x16x16f16 v[34:37], v[56:57], v[24:25], v[34:37]
	s_and_saveexec_b64 s[12:13], s[14:15]
	s_cbranch_execz .LBB616_509
; %bb.504:                              ;   in Loop: Header=BB616_215 Depth=1
	v_cmp_ne_u16_sdwa s[16:17], v44, s9 src0_sel:BYTE_0 src1_sel:DWORD
	v_bfrev_b32_e32 v51, 1
	s_and_saveexec_b64 s[14:15], s[16:17]
	s_cbranch_execz .LBB616_508
; %bb.505:                              ;   in Loop: Header=BB616_215 Depth=1
	v_and_b32_e32 v46, 0x7f, v44
	v_cmp_ne_u32_e32 vcc, s19, v46
	v_mov_b32_e32 v51, 0x7f800001
	s_and_saveexec_b64 s[16:17], vcc
	s_cbranch_execz .LBB616_507
; %bb.506:                              ;   in Loop: Header=BB616_215 Depth=1
	v_and_b32_e32 v56, 7, v44
	v_ffbh_u32_e32 v50, v56
	v_min_u32_e32 v58, 32, v50
	v_subrev_u32_e32 v50, 28, v58
	v_lshlrev_b64 v[50:51], v50, v[44:45]
	v_lshrrev_b32_e32 v57, 3, v46
	v_sub_u32_e32 v51, 29, v58
	v_and_b32_e32 v50, 7, v50
	v_cmp_gt_u32_e32 vcc, 8, v46
	v_cndmask_b32_e32 v46, v57, v51, vcc
	v_cndmask_b32_e32 v50, v56, v50, vcc
	v_lshlrev_b32_e32 v51, 24, v44
	v_lshlrev_b32_e32 v50, 20, v50
	v_and_b32_e32 v51, 0x80000000, v51
	v_lshl_add_u32 v46, v46, 23, v55
	v_or3_b32 v51, v51, v46, v50
.LBB616_507:                            ;   in Loop: Header=BB616_215 Depth=1
	s_or_b64 exec, exec, s[16:17]
.LBB616_508:                            ;   in Loop: Header=BB616_215 Depth=1
	s_or_b64 exec, exec, s[14:15]
.LBB616_509:                            ;   in Loop: Header=BB616_215 Depth=1
	s_or_b64 exec, exec, s[12:13]
	v_lshrrev_b16_e32 v46, 8, v44
	v_cmp_ne_u16_e32 vcc, 0, v46
	v_mov_b32_e32 v50, 0
	v_mov_b32_e32 v56, 0
	s_and_saveexec_b64 s[12:13], vcc
	s_cbranch_execz .LBB616_515
; %bb.510:                              ;   in Loop: Header=BB616_215 Depth=1
	v_cmp_ne_u16_e32 vcc, s9, v46
	v_bfrev_b32_e32 v56, 1
	s_and_saveexec_b64 s[14:15], vcc
	s_cbranch_execz .LBB616_514
; %bb.511:                              ;   in Loop: Header=BB616_215 Depth=1
	v_and_b32_e32 v57, 0x7f, v46
	v_cmp_ne_u32_e32 vcc, s19, v57
	v_mov_b32_e32 v56, 0x7f800001
	s_and_saveexec_b64 s[16:17], vcc
	s_cbranch_execz .LBB616_513
; %bb.512:                              ;   in Loop: Header=BB616_215 Depth=1
	v_and_b32_e32 v56, 7, v46
	v_ffbh_u32_e32 v58, v56
	v_min_u32_e32 v61, 32, v58
	v_subrev_u32_e32 v58, 28, v61
	v_lshlrev_b64 v[58:59], v58, v[46:47]
	v_lshrrev_b32_e32 v60, 3, v57
	v_sub_u32_e32 v46, 29, v61
	v_and_b32_e32 v58, 7, v58
	v_cmp_gt_u32_e32 vcc, 8, v57
	v_cndmask_b32_e32 v46, v60, v46, vcc
	v_cndmask_b32_e32 v56, v56, v58, vcc
	v_lshlrev_b32_e32 v57, 16, v44
	v_lshlrev_b32_e32 v56, 20, v56
	v_and_b32_e32 v57, 0x80000000, v57
	v_lshl_add_u32 v46, v46, 23, v55
	v_or3_b32 v56, v57, v46, v56
.LBB616_513:                            ;   in Loop: Header=BB616_215 Depth=1
	s_or_b64 exec, exec, s[16:17]
.LBB616_514:                            ;   in Loop: Header=BB616_215 Depth=1
	s_or_b64 exec, exec, s[14:15]
.LBB616_515:                            ;   in Loop: Header=BB616_215 Depth=1
	s_or_b64 exec, exec, s[12:13]
	v_lshrrev_b32_e32 v46, 16, v44
	v_cmp_ne_u16_sdwa s[14:15], v46, v54 src0_sel:BYTE_0 src1_sel:DWORD
	s_and_saveexec_b64 s[12:13], s[14:15]
	s_cbranch_execz .LBB616_521
; %bb.516:                              ;   in Loop: Header=BB616_215 Depth=1
	v_cmp_ne_u16_sdwa s[16:17], v46, s9 src0_sel:BYTE_0 src1_sel:DWORD
	v_bfrev_b32_e32 v50, 1
	s_and_saveexec_b64 s[14:15], s[16:17]
	s_cbranch_execz .LBB616_520
; %bb.517:                              ;   in Loop: Header=BB616_215 Depth=1
	v_bfe_u32 v57, v44, 16, 7
	v_cmp_ne_u32_e32 vcc, s19, v57
	v_mov_b32_e32 v50, 0x7f800001
	s_and_saveexec_b64 s[16:17], vcc
	s_cbranch_execz .LBB616_519
; %bb.518:                              ;   in Loop: Header=BB616_215 Depth=1
	v_and_b32_e32 v50, 7, v46
	v_ffbh_u32_e32 v58, v50
	v_min_u32_e32 v61, 32, v58
	v_subrev_u32_e32 v58, 28, v61
	v_lshlrev_b64 v[58:59], v58, v[46:47]
	v_lshrrev_b32_e32 v60, 3, v57
	v_sub_u32_e32 v59, 29, v61
	v_and_b32_e32 v58, 7, v58
	v_cmp_gt_u32_e32 vcc, 8, v57
	v_cndmask_b32_e32 v57, v60, v59, vcc
	v_cndmask_b32_e32 v50, v50, v58, vcc
	v_lshlrev_b32_e32 v46, 24, v46
	v_lshlrev_b32_e32 v50, 20, v50
	v_and_b32_e32 v46, 0x80000000, v46
	v_lshl_add_u32 v57, v57, 23, v55
	v_or3_b32 v50, v46, v57, v50
.LBB616_519:                            ;   in Loop: Header=BB616_215 Depth=1
	s_or_b64 exec, exec, s[16:17]
.LBB616_520:                            ;   in Loop: Header=BB616_215 Depth=1
	s_or_b64 exec, exec, s[14:15]
.LBB616_521:                            ;   in Loop: Header=BB616_215 Depth=1
	s_or_b64 exec, exec, s[12:13]
	v_cmp_lt_u32_e32 vcc, s20, v44
	v_mov_b32_e32 v57, 0
	v_mov_b32_e32 v58, 0
	s_and_saveexec_b64 s[12:13], vcc
	s_cbranch_execz .LBB616_527
; %bb.522:                              ;   in Loop: Header=BB616_215 Depth=1
	v_lshrrev_b32_e32 v46, 24, v44
	v_cmp_ne_u32_e32 vcc, s9, v46
	v_bfrev_b32_e32 v58, 1
	s_and_saveexec_b64 s[14:15], vcc
	s_cbranch_execz .LBB616_526
; %bb.523:                              ;   in Loop: Header=BB616_215 Depth=1
	v_bfe_u32 v44, v44, 24, 7
	v_cmp_ne_u32_e32 vcc, s19, v44
	v_mov_b32_e32 v58, 0x7f800001
	s_and_saveexec_b64 s[16:17], vcc
	s_cbranch_execz .LBB616_525
; %bb.524:                              ;   in Loop: Header=BB616_215 Depth=1
	v_and_b32_e32 v60, 7, v46
	v_ffbh_u32_e32 v58, v60
	v_min_u32_e32 v62, 32, v58
	v_subrev_u32_e32 v58, 28, v62
	v_lshlrev_b64 v[58:59], v58, v[46:47]
	v_lshrrev_b32_e32 v61, 3, v44
	v_sub_u32_e32 v59, 29, v62
	v_and_b32_e32 v58, 7, v58
	v_cmp_gt_u32_e32 vcc, 8, v44
	v_cndmask_b32_e32 v44, v61, v59, vcc
	v_cndmask_b32_e32 v58, v60, v58, vcc
	v_lshlrev_b32_e32 v46, 24, v46
	v_lshlrev_b32_e32 v58, 20, v58
	v_and_b32_e32 v46, 0x80000000, v46
	v_lshl_add_u32 v44, v44, 23, v55
	v_or3_b32 v58, v46, v44, v58
.LBB616_525:                            ;   in Loop: Header=BB616_215 Depth=1
	s_or_b64 exec, exec, s[16:17]
.LBB616_526:                            ;   in Loop: Header=BB616_215 Depth=1
	s_or_b64 exec, exec, s[14:15]
.LBB616_527:                            ;   in Loop: Header=BB616_215 Depth=1
	s_or_b64 exec, exec, s[12:13]
	s_waitcnt vmcnt(2)
	v_cmp_ne_u16_sdwa s[14:15], v42, v54 src0_sel:BYTE_0 src1_sel:DWORD
	s_and_saveexec_b64 s[12:13], s[14:15]
	s_cbranch_execz .LBB616_533
; %bb.528:                              ;   in Loop: Header=BB616_215 Depth=1
	v_cmp_ne_u16_sdwa s[16:17], v42, s9 src0_sel:BYTE_0 src1_sel:DWORD
	v_bfrev_b32_e32 v57, 1
	s_and_saveexec_b64 s[14:15], s[16:17]
	s_cbranch_execz .LBB616_532
; %bb.529:                              ;   in Loop: Header=BB616_215 Depth=1
	v_and_b32_e32 v44, 0x7f, v42
	v_cmp_ne_u32_e32 vcc, s19, v44
	v_mov_b32_e32 v57, 0x7f800001
	s_and_saveexec_b64 s[16:17], vcc
	s_cbranch_execz .LBB616_531
; %bb.530:                              ;   in Loop: Header=BB616_215 Depth=1
	v_and_b32_e32 v46, 7, v42
	v_ffbh_u32_e32 v59, v46
	v_min_u32_e32 v59, 32, v59
	v_subrev_u32_e32 v60, 28, v59
	v_lshlrev_b64 v[60:61], v60, v[42:43]
	v_lshrrev_b32_e32 v57, 3, v44
	v_sub_u32_e32 v59, 29, v59
	v_and_b32_e32 v60, 7, v60
	v_cmp_gt_u32_e32 vcc, 8, v44
	v_cndmask_b32_e32 v44, v57, v59, vcc
	v_cndmask_b32_e32 v46, v46, v60, vcc
	v_lshlrev_b32_e32 v57, 24, v42
	v_lshlrev_b32_e32 v46, 20, v46
	v_and_b32_e32 v57, 0x80000000, v57
	v_lshl_add_u32 v44, v44, 23, v55
	v_or3_b32 v57, v57, v44, v46
.LBB616_531:                            ;   in Loop: Header=BB616_215 Depth=1
	s_or_b64 exec, exec, s[16:17]
.LBB616_532:                            ;   in Loop: Header=BB616_215 Depth=1
	s_or_b64 exec, exec, s[14:15]
.LBB616_533:                            ;   in Loop: Header=BB616_215 Depth=1
	s_or_b64 exec, exec, s[12:13]
	v_lshrrev_b16_e32 v44, 8, v42
	v_cmp_ne_u16_e32 vcc, 0, v44
	v_mov_b32_e32 v59, 0
	v_mov_b32_e32 v60, 0
	s_and_saveexec_b64 s[12:13], vcc
	s_cbranch_execz .LBB616_539
; %bb.534:                              ;   in Loop: Header=BB616_215 Depth=1
	v_cmp_ne_u16_e32 vcc, s9, v44
	v_bfrev_b32_e32 v60, 1
	s_and_saveexec_b64 s[14:15], vcc
	s_cbranch_execz .LBB616_538
; %bb.535:                              ;   in Loop: Header=BB616_215 Depth=1
	v_and_b32_e32 v46, 0x7f, v44
	v_cmp_ne_u32_e32 vcc, s19, v46
	v_mov_b32_e32 v60, 0x7f800001
	s_and_saveexec_b64 s[16:17], vcc
	s_cbranch_execz .LBB616_537
; %bb.536:                              ;   in Loop: Header=BB616_215 Depth=1
	v_and_b32_e32 v62, 7, v44
	v_ffbh_u32_e32 v60, v62
	v_min_u32_e32 v64, 32, v60
	v_subrev_u32_e32 v60, 28, v64
	v_lshlrev_b64 v[60:61], v60, v[44:45]
	v_lshrrev_b32_e32 v63, 3, v46
	v_sub_u32_e32 v44, 29, v64
	v_and_b32_e32 v60, 7, v60
	v_cmp_gt_u32_e32 vcc, 8, v46
	v_cndmask_b32_e32 v44, v63, v44, vcc
	v_cndmask_b32_e32 v46, v62, v60, vcc
	v_lshlrev_b32_e32 v60, 16, v42
	v_lshlrev_b32_e32 v46, 20, v46
	v_and_b32_e32 v60, 0x80000000, v60
	v_lshl_add_u32 v44, v44, 23, v55
	v_or3_b32 v60, v60, v44, v46
.LBB616_537:                            ;   in Loop: Header=BB616_215 Depth=1
	s_or_b64 exec, exec, s[16:17]
.LBB616_538:                            ;   in Loop: Header=BB616_215 Depth=1
	s_or_b64 exec, exec, s[14:15]
.LBB616_539:                            ;   in Loop: Header=BB616_215 Depth=1
	s_or_b64 exec, exec, s[12:13]
	v_lshrrev_b32_e32 v44, 16, v42
	v_cmp_ne_u16_sdwa s[14:15], v44, v54 src0_sel:BYTE_0 src1_sel:DWORD
	s_and_saveexec_b64 s[12:13], s[14:15]
	s_cbranch_execz .LBB616_545
; %bb.540:                              ;   in Loop: Header=BB616_215 Depth=1
	v_cmp_ne_u16_sdwa s[16:17], v44, s9 src0_sel:BYTE_0 src1_sel:DWORD
	v_bfrev_b32_e32 v59, 1
	s_and_saveexec_b64 s[14:15], s[16:17]
	s_cbranch_execz .LBB616_544
; %bb.541:                              ;   in Loop: Header=BB616_215 Depth=1
	v_bfe_u32 v46, v42, 16, 7
	v_cmp_ne_u32_e32 vcc, s19, v46
	v_mov_b32_e32 v59, 0x7f800001
	s_and_saveexec_b64 s[16:17], vcc
	s_cbranch_execz .LBB616_543
; %bb.542:                              ;   in Loop: Header=BB616_215 Depth=1
	v_and_b32_e32 v59, 7, v44
	v_ffbh_u32_e32 v62, v59
	v_min_u32_e32 v64, 32, v62
	v_subrev_u32_e32 v62, 28, v64
	v_lshlrev_b64 v[62:63], v62, v[44:45]
	v_lshrrev_b32_e32 v61, 3, v46
	v_sub_u32_e32 v63, 29, v64
	v_and_b32_e32 v62, 7, v62
	v_cmp_gt_u32_e32 vcc, 8, v46
	v_cndmask_b32_e32 v46, v61, v63, vcc
	v_cndmask_b32_e32 v59, v59, v62, vcc
	v_lshlrev_b32_e32 v44, 24, v44
	v_lshlrev_b32_e32 v59, 20, v59
	v_and_b32_e32 v44, 0x80000000, v44
	v_lshl_add_u32 v46, v46, 23, v55
	v_or3_b32 v59, v44, v46, v59
.LBB616_543:                            ;   in Loop: Header=BB616_215 Depth=1
	s_or_b64 exec, exec, s[16:17]
.LBB616_544:                            ;   in Loop: Header=BB616_215 Depth=1
	s_or_b64 exec, exec, s[14:15]
.LBB616_545:                            ;   in Loop: Header=BB616_215 Depth=1
	s_or_b64 exec, exec, s[12:13]
	v_cmp_lt_u32_e32 vcc, s20, v42
	v_mov_b32_e32 v46, 0
	v_mov_b32_e32 v61, 0
	s_and_saveexec_b64 s[12:13], vcc
	s_cbranch_execz .LBB616_551
; %bb.546:                              ;   in Loop: Header=BB616_215 Depth=1
	v_lshrrev_b32_e32 v44, 24, v42
	v_cmp_ne_u32_e32 vcc, s9, v44
	v_bfrev_b32_e32 v61, 1
	s_and_saveexec_b64 s[14:15], vcc
	s_cbranch_execz .LBB616_550
; %bb.547:                              ;   in Loop: Header=BB616_215 Depth=1
	v_bfe_u32 v42, v42, 24, 7
	v_cmp_ne_u32_e32 vcc, s19, v42
	v_mov_b32_e32 v61, 0x7f800001
	s_and_saveexec_b64 s[16:17], vcc
	s_cbranch_execz .LBB616_549
; %bb.548:                              ;   in Loop: Header=BB616_215 Depth=1
	v_and_b32_e32 v61, 7, v44
	v_ffbh_u32_e32 v62, v61
	v_min_u32_e32 v65, 32, v62
	v_subrev_u32_e32 v62, 28, v65
	v_lshlrev_b64 v[62:63], v62, v[44:45]
	v_lshrrev_b32_e32 v64, 3, v42
	v_sub_u32_e32 v63, 29, v65
	v_and_b32_e32 v62, 7, v62
	v_cmp_gt_u32_e32 vcc, 8, v42
	v_cndmask_b32_e32 v42, v64, v63, vcc
	v_cndmask_b32_e32 v61, v61, v62, vcc
	v_lshlrev_b32_e32 v44, 24, v44
	v_lshlrev_b32_e32 v61, 20, v61
	v_and_b32_e32 v44, 0x80000000, v44
	v_lshl_add_u32 v42, v42, 23, v55
	v_or3_b32 v61, v44, v42, v61
.LBB616_549:                            ;   in Loop: Header=BB616_215 Depth=1
	s_or_b64 exec, exec, s[16:17]
.LBB616_550:                            ;   in Loop: Header=BB616_215 Depth=1
	s_or_b64 exec, exec, s[14:15]
.LBB616_551:                            ;   in Loop: Header=BB616_215 Depth=1
	s_or_b64 exec, exec, s[12:13]
	v_cvt_pkrtz_f16_f32 v62, v51, v56
	v_cvt_pkrtz_f16_f32 v63, v50, v58
	v_cvt_pkrtz_f16_f32 v50, v57, v60
	v_cvt_pkrtz_f16_f32 v51, v59, v61
	s_waitcnt vmcnt(1)
	v_cmp_ne_u16_sdwa s[14:15], v40, v54 src0_sel:BYTE_0 src1_sel:DWORD
	v_mfma_f32_16x16x16f16 v[34:37], v[62:63], v[26:27], v[34:37]
	v_mfma_f32_16x16x16f16 v[34:37], v[50:51], v[28:29], v[34:37]
	s_and_saveexec_b64 s[12:13], s[14:15]
	s_cbranch_execz .LBB616_557
; %bb.552:                              ;   in Loop: Header=BB616_215 Depth=1
	v_cmp_ne_u16_sdwa s[16:17], v40, s9 src0_sel:BYTE_0 src1_sel:DWORD
	v_bfrev_b32_e32 v46, 1
	s_and_saveexec_b64 s[14:15], s[16:17]
	s_cbranch_execz .LBB616_556
; %bb.553:                              ;   in Loop: Header=BB616_215 Depth=1
	v_and_b32_e32 v42, 0x7f, v40
	v_cmp_ne_u32_e32 vcc, s19, v42
	v_mov_b32_e32 v46, 0x7f800001
	s_and_saveexec_b64 s[16:17], vcc
	s_cbranch_execz .LBB616_555
; %bb.554:                              ;   in Loop: Header=BB616_215 Depth=1
	v_and_b32_e32 v44, 7, v40
	v_ffbh_u32_e32 v50, v44
	v_min_u32_e32 v56, 32, v50
	v_subrev_u32_e32 v50, 28, v56
	v_lshlrev_b64 v[50:51], v50, v[40:41]
	v_lshrrev_b32_e32 v46, 3, v42
	v_sub_u32_e32 v51, 29, v56
	v_and_b32_e32 v50, 7, v50
	v_cmp_gt_u32_e32 vcc, 8, v42
	v_cndmask_b32_e32 v42, v46, v51, vcc
	v_cndmask_b32_e32 v44, v44, v50, vcc
	v_lshlrev_b32_e32 v46, 24, v40
	v_lshlrev_b32_e32 v44, 20, v44
	v_and_b32_e32 v46, 0x80000000, v46
	v_lshl_add_u32 v42, v42, 23, v55
	v_or3_b32 v46, v46, v42, v44
.LBB616_555:                            ;   in Loop: Header=BB616_215 Depth=1
	s_or_b64 exec, exec, s[16:17]
.LBB616_556:                            ;   in Loop: Header=BB616_215 Depth=1
	s_or_b64 exec, exec, s[14:15]
.LBB616_557:                            ;   in Loop: Header=BB616_215 Depth=1
	s_or_b64 exec, exec, s[12:13]
	v_lshrrev_b16_e32 v42, 8, v40
	v_cmp_ne_u16_e32 vcc, 0, v42
	v_mov_b32_e32 v44, 0
	v_mov_b32_e32 v50, 0
	s_and_saveexec_b64 s[12:13], vcc
	s_cbranch_execz .LBB616_563
; %bb.558:                              ;   in Loop: Header=BB616_215 Depth=1
	v_cmp_ne_u16_e32 vcc, s9, v42
	v_bfrev_b32_e32 v50, 1
	s_and_saveexec_b64 s[14:15], vcc
	s_cbranch_execz .LBB616_562
; %bb.559:                              ;   in Loop: Header=BB616_215 Depth=1
	v_and_b32_e32 v51, 0x7f, v42
	v_cmp_ne_u32_e32 vcc, s19, v51
	v_mov_b32_e32 v50, 0x7f800001
	s_and_saveexec_b64 s[16:17], vcc
	s_cbranch_execz .LBB616_561
; %bb.560:                              ;   in Loop: Header=BB616_215 Depth=1
	v_and_b32_e32 v50, 7, v42
	v_ffbh_u32_e32 v56, v50
	v_min_u32_e32 v59, 32, v56
	v_subrev_u32_e32 v56, 28, v59
	v_lshlrev_b64 v[56:57], v56, v[42:43]
	v_lshrrev_b32_e32 v58, 3, v51
	v_sub_u32_e32 v42, 29, v59
	v_and_b32_e32 v56, 7, v56
	v_cmp_gt_u32_e32 vcc, 8, v51
	v_cndmask_b32_e32 v42, v58, v42, vcc
	v_cndmask_b32_e32 v50, v50, v56, vcc
	v_lshlrev_b32_e32 v51, 16, v40
	v_lshlrev_b32_e32 v50, 20, v50
	v_and_b32_e32 v51, 0x80000000, v51
	v_lshl_add_u32 v42, v42, 23, v55
	v_or3_b32 v50, v51, v42, v50
.LBB616_561:                            ;   in Loop: Header=BB616_215 Depth=1
	s_or_b64 exec, exec, s[16:17]
.LBB616_562:                            ;   in Loop: Header=BB616_215 Depth=1
	s_or_b64 exec, exec, s[14:15]
.LBB616_563:                            ;   in Loop: Header=BB616_215 Depth=1
	s_or_b64 exec, exec, s[12:13]
	v_lshrrev_b32_e32 v42, 16, v40
	v_cmp_ne_u16_sdwa s[14:15], v42, v54 src0_sel:BYTE_0 src1_sel:DWORD
	s_and_saveexec_b64 s[12:13], s[14:15]
	s_cbranch_execz .LBB616_569
; %bb.564:                              ;   in Loop: Header=BB616_215 Depth=1
	v_cmp_ne_u16_sdwa s[16:17], v42, s9 src0_sel:BYTE_0 src1_sel:DWORD
	v_bfrev_b32_e32 v44, 1
	s_and_saveexec_b64 s[14:15], s[16:17]
	s_cbranch_execz .LBB616_568
; %bb.565:                              ;   in Loop: Header=BB616_215 Depth=1
	v_bfe_u32 v51, v40, 16, 7
	v_cmp_ne_u32_e32 vcc, s19, v51
	v_mov_b32_e32 v44, 0x7f800001
	s_and_saveexec_b64 s[16:17], vcc
	s_cbranch_execz .LBB616_567
; %bb.566:                              ;   in Loop: Header=BB616_215 Depth=1
	v_and_b32_e32 v44, 7, v42
	v_ffbh_u32_e32 v56, v44
	v_min_u32_e32 v59, 32, v56
	v_subrev_u32_e32 v56, 28, v59
	v_lshlrev_b64 v[56:57], v56, v[42:43]
	v_lshrrev_b32_e32 v58, 3, v51
	v_sub_u32_e32 v57, 29, v59
	v_and_b32_e32 v56, 7, v56
	v_cmp_gt_u32_e32 vcc, 8, v51
	v_cndmask_b32_e32 v51, v58, v57, vcc
	v_cndmask_b32_e32 v44, v44, v56, vcc
	v_lshlrev_b32_e32 v42, 24, v42
	v_lshlrev_b32_e32 v44, 20, v44
	v_and_b32_e32 v42, 0x80000000, v42
	v_lshl_add_u32 v51, v51, 23, v55
	v_or3_b32 v44, v42, v51, v44
.LBB616_567:                            ;   in Loop: Header=BB616_215 Depth=1
	s_or_b64 exec, exec, s[16:17]
.LBB616_568:                            ;   in Loop: Header=BB616_215 Depth=1
	s_or_b64 exec, exec, s[14:15]
.LBB616_569:                            ;   in Loop: Header=BB616_215 Depth=1
	s_or_b64 exec, exec, s[12:13]
	v_cmp_lt_u32_e32 vcc, s20, v40
	v_mov_b32_e32 v51, 0
	v_mov_b32_e32 v56, 0
	s_and_saveexec_b64 s[12:13], vcc
	s_cbranch_execz .LBB616_575
; %bb.570:                              ;   in Loop: Header=BB616_215 Depth=1
	v_lshrrev_b32_e32 v42, 24, v40
	v_cmp_ne_u32_e32 vcc, s9, v42
	v_bfrev_b32_e32 v56, 1
	s_and_saveexec_b64 s[14:15], vcc
	s_cbranch_execz .LBB616_574
; %bb.571:                              ;   in Loop: Header=BB616_215 Depth=1
	v_bfe_u32 v40, v40, 24, 7
	v_cmp_ne_u32_e32 vcc, s19, v40
	v_mov_b32_e32 v56, 0x7f800001
	s_and_saveexec_b64 s[16:17], vcc
	s_cbranch_execz .LBB616_573
; %bb.572:                              ;   in Loop: Header=BB616_215 Depth=1
	v_and_b32_e32 v58, 7, v42
	v_ffbh_u32_e32 v56, v58
	v_min_u32_e32 v60, 32, v56
	v_subrev_u32_e32 v56, 28, v60
	v_lshlrev_b64 v[56:57], v56, v[42:43]
	v_lshrrev_b32_e32 v59, 3, v40
	v_sub_u32_e32 v57, 29, v60
	v_and_b32_e32 v56, 7, v56
	v_cmp_gt_u32_e32 vcc, 8, v40
	v_cndmask_b32_e32 v40, v59, v57, vcc
	v_cndmask_b32_e32 v56, v58, v56, vcc
	v_lshlrev_b32_e32 v42, 24, v42
	v_lshlrev_b32_e32 v56, 20, v56
	v_and_b32_e32 v42, 0x80000000, v42
	v_lshl_add_u32 v40, v40, 23, v55
	v_or3_b32 v56, v42, v40, v56
.LBB616_573:                            ;   in Loop: Header=BB616_215 Depth=1
	s_or_b64 exec, exec, s[16:17]
.LBB616_574:                            ;   in Loop: Header=BB616_215 Depth=1
	s_or_b64 exec, exec, s[14:15]
.LBB616_575:                            ;   in Loop: Header=BB616_215 Depth=1
	s_or_b64 exec, exec, s[12:13]
	s_waitcnt vmcnt(0)
	v_cmp_ne_u16_sdwa s[14:15], v38, v54 src0_sel:BYTE_0 src1_sel:DWORD
	s_and_saveexec_b64 s[12:13], s[14:15]
	s_cbranch_execz .LBB616_581
; %bb.576:                              ;   in Loop: Header=BB616_215 Depth=1
	v_cmp_ne_u16_sdwa s[16:17], v38, s9 src0_sel:BYTE_0 src1_sel:DWORD
	v_bfrev_b32_e32 v51, 1
	s_and_saveexec_b64 s[14:15], s[16:17]
	s_cbranch_execz .LBB616_580
; %bb.577:                              ;   in Loop: Header=BB616_215 Depth=1
	v_and_b32_e32 v40, 0x7f, v38
	v_cmp_ne_u32_e32 vcc, s19, v40
	v_mov_b32_e32 v51, 0x7f800001
	s_and_saveexec_b64 s[16:17], vcc
	s_cbranch_execz .LBB616_579
; %bb.578:                              ;   in Loop: Header=BB616_215 Depth=1
	v_and_b32_e32 v42, 7, v38
	v_ffbh_u32_e32 v57, v42
	v_min_u32_e32 v57, 32, v57
	v_subrev_u32_e32 v58, 28, v57
	v_lshlrev_b64 v[58:59], v58, v[38:39]
	v_lshrrev_b32_e32 v51, 3, v40
	v_sub_u32_e32 v57, 29, v57
	v_and_b32_e32 v58, 7, v58
	v_cmp_gt_u32_e32 vcc, 8, v40
	v_cndmask_b32_e32 v40, v51, v57, vcc
	v_cndmask_b32_e32 v42, v42, v58, vcc
	v_lshlrev_b32_e32 v51, 24, v38
	v_lshlrev_b32_e32 v42, 20, v42
	v_and_b32_e32 v51, 0x80000000, v51
	v_lshl_add_u32 v40, v40, 23, v55
	v_or3_b32 v51, v51, v40, v42
.LBB616_579:                            ;   in Loop: Header=BB616_215 Depth=1
	s_or_b64 exec, exec, s[16:17]
.LBB616_580:                            ;   in Loop: Header=BB616_215 Depth=1
	s_or_b64 exec, exec, s[14:15]
.LBB616_581:                            ;   in Loop: Header=BB616_215 Depth=1
	s_or_b64 exec, exec, s[12:13]
	v_lshrrev_b16_e32 v40, 8, v38
	v_cmp_ne_u16_e32 vcc, 0, v40
	v_mov_b32_e32 v42, 0
	v_mov_b32_e32 v57, 0
	s_and_saveexec_b64 s[12:13], vcc
	s_cbranch_execz .LBB616_587
; %bb.582:                              ;   in Loop: Header=BB616_215 Depth=1
	v_cmp_ne_u16_e32 vcc, s9, v40
	v_bfrev_b32_e32 v57, 1
	s_and_saveexec_b64 s[14:15], vcc
	s_cbranch_execz .LBB616_586
; %bb.583:                              ;   in Loop: Header=BB616_215 Depth=1
	v_and_b32_e32 v58, 0x7f, v40
	v_cmp_ne_u32_e32 vcc, s19, v58
	v_mov_b32_e32 v57, 0x7f800001
	s_and_saveexec_b64 s[16:17], vcc
	s_cbranch_execz .LBB616_585
; %bb.584:                              ;   in Loop: Header=BB616_215 Depth=1
	v_and_b32_e32 v57, 7, v40
	v_ffbh_u32_e32 v60, v57
	v_min_u32_e32 v62, 32, v60
	v_subrev_u32_e32 v60, 28, v62
	v_lshlrev_b64 v[60:61], v60, v[40:41]
	v_lshrrev_b32_e32 v59, 3, v58
	v_sub_u32_e32 v40, 29, v62
	v_and_b32_e32 v60, 7, v60
	v_cmp_gt_u32_e32 vcc, 8, v58
	v_cndmask_b32_e32 v40, v59, v40, vcc
	v_cndmask_b32_e32 v57, v57, v60, vcc
	v_lshlrev_b32_e32 v58, 16, v38
	v_lshlrev_b32_e32 v57, 20, v57
	v_and_b32_e32 v58, 0x80000000, v58
	v_lshl_add_u32 v40, v40, 23, v55
	v_or3_b32 v57, v58, v40, v57
.LBB616_585:                            ;   in Loop: Header=BB616_215 Depth=1
	s_or_b64 exec, exec, s[16:17]
.LBB616_586:                            ;   in Loop: Header=BB616_215 Depth=1
	s_or_b64 exec, exec, s[14:15]
.LBB616_587:                            ;   in Loop: Header=BB616_215 Depth=1
	s_or_b64 exec, exec, s[12:13]
	v_lshrrev_b32_e32 v40, 16, v38
	v_cmp_ne_u16_sdwa s[14:15], v40, v54 src0_sel:BYTE_0 src1_sel:DWORD
	s_and_saveexec_b64 s[12:13], s[14:15]
	s_cbranch_execz .LBB616_593
; %bb.588:                              ;   in Loop: Header=BB616_215 Depth=1
	v_cmp_ne_u16_sdwa s[16:17], v40, s9 src0_sel:BYTE_0 src1_sel:DWORD
	v_bfrev_b32_e32 v42, 1
	s_and_saveexec_b64 s[14:15], s[16:17]
	s_cbranch_execz .LBB616_592
; %bb.589:                              ;   in Loop: Header=BB616_215 Depth=1
	v_bfe_u32 v58, v38, 16, 7
	v_cmp_ne_u32_e32 vcc, s19, v58
	v_mov_b32_e32 v42, 0x7f800001
	s_and_saveexec_b64 s[16:17], vcc
	s_cbranch_execz .LBB616_591
; %bb.590:                              ;   in Loop: Header=BB616_215 Depth=1
	v_and_b32_e32 v42, 7, v40
	v_ffbh_u32_e32 v60, v42
	v_min_u32_e32 v62, 32, v60
	v_subrev_u32_e32 v60, 28, v62
	v_lshlrev_b64 v[60:61], v60, v[40:41]
	v_lshrrev_b32_e32 v59, 3, v58
	v_sub_u32_e32 v61, 29, v62
	v_and_b32_e32 v60, 7, v60
	v_cmp_gt_u32_e32 vcc, 8, v58
	v_cndmask_b32_e32 v58, v59, v61, vcc
	v_cndmask_b32_e32 v42, v42, v60, vcc
	v_lshlrev_b32_e32 v40, 24, v40
	v_lshlrev_b32_e32 v42, 20, v42
	v_and_b32_e32 v40, 0x80000000, v40
	v_lshl_add_u32 v58, v58, 23, v55
	v_or3_b32 v42, v40, v58, v42
.LBB616_591:                            ;   in Loop: Header=BB616_215 Depth=1
	s_or_b64 exec, exec, s[16:17]
.LBB616_592:                            ;   in Loop: Header=BB616_215 Depth=1
	s_or_b64 exec, exec, s[14:15]
.LBB616_593:                            ;   in Loop: Header=BB616_215 Depth=1
	s_or_b64 exec, exec, s[12:13]
	v_cmp_lt_u32_e32 vcc, s20, v38
	v_mov_b32_e32 v58, 0
	s_and_saveexec_b64 s[12:13], vcc
	s_cbranch_execz .LBB616_214
; %bb.594:                              ;   in Loop: Header=BB616_215 Depth=1
	v_lshrrev_b32_e32 v40, 24, v38
	v_cmp_ne_u32_e32 vcc, s9, v40
	v_bfrev_b32_e32 v58, 1
	s_and_saveexec_b64 s[14:15], vcc
	s_cbranch_execz .LBB616_213
; %bb.595:                              ;   in Loop: Header=BB616_215 Depth=1
	v_bfe_u32 v38, v38, 24, 7
	v_cmp_ne_u32_e32 vcc, s19, v38
	v_mov_b32_e32 v58, 0x7f800001
	s_and_saveexec_b64 s[16:17], vcc
	s_cbranch_execz .LBB616_212
; %bb.596:                              ;   in Loop: Header=BB616_215 Depth=1
	v_and_b32_e32 v60, 7, v40
	v_ffbh_u32_e32 v58, v60
	v_min_u32_e32 v62, 32, v58
	v_subrev_u32_e32 v58, 28, v62
	v_lshlrev_b64 v[58:59], v58, v[40:41]
	v_lshrrev_b32_e32 v61, 3, v38
	v_sub_u32_e32 v59, 29, v62
	v_and_b32_e32 v58, 7, v58
	v_cmp_gt_u32_e32 vcc, 8, v38
	v_cndmask_b32_e32 v38, v61, v59, vcc
	v_cndmask_b32_e32 v58, v60, v58, vcc
	v_lshlrev_b32_e32 v40, 24, v40
	v_lshlrev_b32_e32 v58, 20, v58
	v_and_b32_e32 v40, 0x80000000, v40
	v_lshl_add_u32 v38, v38, 23, v55
	v_or3_b32 v58, v40, v38, v58
	s_branch .LBB616_212
.LBB616_597:
	s_barrier
	buffer_load_dword v2, off, s[0:3], 0 offset:320
	buffer_load_dword v5, off, s[0:3], 0 offset:332
	;; [unrolled: 1-line block ×4, first 2 shown]
	v_cmp_gt_u32_e32 vcc, 64, v0
	s_waitcnt vmcnt(0)
	ds_write2st64_b64 v52, v[2:3], v[4:5] offset1:1
	s_waitcnt lgkmcnt(0)
	s_barrier
	s_and_saveexec_b64 s[4:5], vcc
	s_cbranch_execz .LBB616_600
; %bb.598:
	s_lshl_b32 s4, s48, 7
	s_mul_i32 s5, s18, s8
	s_mul_hi_u32 s9, s5, s4
	s_mul_i32 s8, s5, s4
	s_lshl_b64 s[8:9], s[8:9], 1
	v_lshlrev_b32_e32 v4, 6, v41
	s_add_u32 s5, s50, s8
	v_lshl_or_b32 v0, v0, 10, v4
	s_mov_b32 s7, 0
	s_addc_u32 s8, s51, s9
	s_lshl_b32 s6, s26, 7
	v_lshlrev_b32_e32 v2, 5, v1
	v_and_b32_e32 v3, 16, v43
	v_and_b32_e32 v0, 0x1a00, v0
	s_lshl_b64 s[6:7], s[6:7], 1
	v_or3_b32 v0, v0, v2, v3
	s_add_u32 s5, s5, s6
	s_addc_u32 s6, s8, s7
	ds_read_b128 v[4:7], v0 offset:128
	ds_read_b128 v[8:11], v0
	v_add_u32_e32 v14, s27, v1
	v_mov_b32_e32 v3, s6
	v_add_co_u32_e32 v2, vcc, s5, v39
	v_mad_u64_u32 v[12:13], s[6:7], v14, s4, 0
	v_addc_co_u32_e32 v3, vcc, 0, v3, vcc
	v_lshlrev_b64 v[12:13], 1, v[12:13]
	v_add_co_u32_e32 v12, vcc, v2, v12
	v_addc_co_u32_e32 v13, vcc, v3, v13, vcc
	s_waitcnt lgkmcnt(0)
	global_store_dwordx4 v[12:13], v[8:11], off
	s_nop 0
	v_add_u32_e32 v8, 4, v14
	v_mad_u64_u32 v[8:9], s[6:7], v8, s4, 0
	v_lshlrev_b64 v[8:9], 1, v[8:9]
	v_add_co_u32_e32 v8, vcc, v2, v8
	v_addc_co_u32_e32 v9, vcc, v3, v9, vcc
	v_cmp_ne_u32_e32 vcc, 3, v1
	global_store_dwordx4 v[8:9], v[4:7], off
	s_and_b64 exec, exec, vcc
	s_cbranch_execz .LBB616_600
; %bb.599:
	ds_read_b128 v[4:7], v0 offset:256
	v_add3_u32 v0, s27, v1, 8
	v_mad_u64_u32 v[0:1], s[4:5], v0, s4, 0
	v_lshlrev_b64 v[0:1], 1, v[0:1]
	v_add_co_u32_e32 v0, vcc, v2, v0
	v_addc_co_u32_e32 v1, vcc, v3, v1, vcc
	s_waitcnt lgkmcnt(0)
	global_store_dwordx4 v[0:1], v[4:7], off
.LBB616_600:
	s_endpgm
	.section	.rodata,"a",@progbits
	.p2align	6, 0x0
	.amdhsa_kernel _Z39paged_attention_ll4mi_QKV_mfma16_kernelIDF16_hLN4vllm18Fp8KVCacheDataTypeE1EDF16_Li16ELi128ELi256ELb1ELi11EL8MFMAType0EEvPKT_PKT0_S8_ifPKiSA_SA_iPKfiiiPfSD_PS3_PT2_iSC_SC_
		.amdhsa_group_segment_fixed_size 8192
		.amdhsa_private_segment_fixed_size 352
		.amdhsa_kernarg_size 400
		.amdhsa_user_sgpr_count 8
		.amdhsa_user_sgpr_private_segment_buffer 1
		.amdhsa_user_sgpr_dispatch_ptr 0
		.amdhsa_user_sgpr_queue_ptr 0
		.amdhsa_user_sgpr_kernarg_segment_ptr 1
		.amdhsa_user_sgpr_dispatch_id 0
		.amdhsa_user_sgpr_flat_scratch_init 1
		.amdhsa_user_sgpr_kernarg_preload_length 0
		.amdhsa_user_sgpr_kernarg_preload_offset 0
		.amdhsa_user_sgpr_private_segment_size 0
		.amdhsa_uses_dynamic_stack 0
		.amdhsa_system_sgpr_private_segment_wavefront_offset 1
		.amdhsa_system_sgpr_workgroup_id_x 1
		.amdhsa_system_sgpr_workgroup_id_y 1
		.amdhsa_system_sgpr_workgroup_id_z 1
		.amdhsa_system_sgpr_workgroup_info 0
		.amdhsa_system_vgpr_workitem_id 0
		.amdhsa_next_free_vgpr 80
		.amdhsa_next_free_sgpr 53
		.amdhsa_accum_offset 80
		.amdhsa_reserve_vcc 1
		.amdhsa_reserve_flat_scratch 0
		.amdhsa_float_round_mode_32 0
		.amdhsa_float_round_mode_16_64 0
		.amdhsa_float_denorm_mode_32 3
		.amdhsa_float_denorm_mode_16_64 3
		.amdhsa_dx10_clamp 1
		.amdhsa_ieee_mode 1
		.amdhsa_fp16_overflow 0
		.amdhsa_tg_split 0
		.amdhsa_exception_fp_ieee_invalid_op 0
		.amdhsa_exception_fp_denorm_src 0
		.amdhsa_exception_fp_ieee_div_zero 0
		.amdhsa_exception_fp_ieee_overflow 0
		.amdhsa_exception_fp_ieee_underflow 0
		.amdhsa_exception_fp_ieee_inexact 0
		.amdhsa_exception_int_div_zero 0
	.end_amdhsa_kernel
	.section	.text._Z39paged_attention_ll4mi_QKV_mfma16_kernelIDF16_hLN4vllm18Fp8KVCacheDataTypeE1EDF16_Li16ELi128ELi256ELb1ELi11EL8MFMAType0EEvPKT_PKT0_S8_ifPKiSA_SA_iPKfiiiPfSD_PS3_PT2_iSC_SC_,"axG",@progbits,_Z39paged_attention_ll4mi_QKV_mfma16_kernelIDF16_hLN4vllm18Fp8KVCacheDataTypeE1EDF16_Li16ELi128ELi256ELb1ELi11EL8MFMAType0EEvPKT_PKT0_S8_ifPKiSA_SA_iPKfiiiPfSD_PS3_PT2_iSC_SC_,comdat
.Lfunc_end616:
	.size	_Z39paged_attention_ll4mi_QKV_mfma16_kernelIDF16_hLN4vllm18Fp8KVCacheDataTypeE1EDF16_Li16ELi128ELi256ELb1ELi11EL8MFMAType0EEvPKT_PKT0_S8_ifPKiSA_SA_iPKfiiiPfSD_PS3_PT2_iSC_SC_, .Lfunc_end616-_Z39paged_attention_ll4mi_QKV_mfma16_kernelIDF16_hLN4vllm18Fp8KVCacheDataTypeE1EDF16_Li16ELi128ELi256ELb1ELi11EL8MFMAType0EEvPKT_PKT0_S8_ifPKiSA_SA_iPKfiiiPfSD_PS3_PT2_iSC_SC_
                                        ; -- End function
	.section	.AMDGPU.csdata,"",@progbits
; Kernel info:
; codeLenInByte = 21456
; NumSgprs: 57
; NumVgprs: 80
; NumAgprs: 0
; TotalNumVgprs: 80
; ScratchSize: 352
; MemoryBound: 0
; FloatMode: 240
; IeeeMode: 1
; LDSByteSize: 8192 bytes/workgroup (compile time only)
; SGPRBlocks: 7
; VGPRBlocks: 9
; NumSGPRsForWavesPerEU: 57
; NumVGPRsForWavesPerEU: 80
; AccumOffset: 80
; Occupancy: 6
; WaveLimiterHint : 1
; COMPUTE_PGM_RSRC2:SCRATCH_EN: 1
; COMPUTE_PGM_RSRC2:USER_SGPR: 8
; COMPUTE_PGM_RSRC2:TRAP_HANDLER: 0
; COMPUTE_PGM_RSRC2:TGID_X_EN: 1
; COMPUTE_PGM_RSRC2:TGID_Y_EN: 1
; COMPUTE_PGM_RSRC2:TGID_Z_EN: 1
; COMPUTE_PGM_RSRC2:TIDIG_COMP_CNT: 0
; COMPUTE_PGM_RSRC3_GFX90A:ACCUM_OFFSET: 19
; COMPUTE_PGM_RSRC3_GFX90A:TG_SPLIT: 0
	.section	.text._Z39paged_attention_ll4mi_QKV_mfma16_kernelIDF16_hLN4vllm18Fp8KVCacheDataTypeE1EDF16_Li16ELi128ELi256ELb1ELi12EL8MFMAType0EEvPKT_PKT0_S8_ifPKiSA_SA_iPKfiiiPfSD_PS3_PT2_iSC_SC_,"axG",@progbits,_Z39paged_attention_ll4mi_QKV_mfma16_kernelIDF16_hLN4vllm18Fp8KVCacheDataTypeE1EDF16_Li16ELi128ELi256ELb1ELi12EL8MFMAType0EEvPKT_PKT0_S8_ifPKiSA_SA_iPKfiiiPfSD_PS3_PT2_iSC_SC_,comdat
	.protected	_Z39paged_attention_ll4mi_QKV_mfma16_kernelIDF16_hLN4vllm18Fp8KVCacheDataTypeE1EDF16_Li16ELi128ELi256ELb1ELi12EL8MFMAType0EEvPKT_PKT0_S8_ifPKiSA_SA_iPKfiiiPfSD_PS3_PT2_iSC_SC_ ; -- Begin function _Z39paged_attention_ll4mi_QKV_mfma16_kernelIDF16_hLN4vllm18Fp8KVCacheDataTypeE1EDF16_Li16ELi128ELi256ELb1ELi12EL8MFMAType0EEvPKT_PKT0_S8_ifPKiSA_SA_iPKfiiiPfSD_PS3_PT2_iSC_SC_
	.globl	_Z39paged_attention_ll4mi_QKV_mfma16_kernelIDF16_hLN4vllm18Fp8KVCacheDataTypeE1EDF16_Li16ELi128ELi256ELb1ELi12EL8MFMAType0EEvPKT_PKT0_S8_ifPKiSA_SA_iPKfiiiPfSD_PS3_PT2_iSC_SC_
	.p2align	8
	.type	_Z39paged_attention_ll4mi_QKV_mfma16_kernelIDF16_hLN4vllm18Fp8KVCacheDataTypeE1EDF16_Li16ELi128ELi256ELb1ELi12EL8MFMAType0EEvPKT_PKT0_S8_ifPKiSA_SA_iPKfiiiPfSD_PS3_PT2_iSC_SC_,@function
_Z39paged_attention_ll4mi_QKV_mfma16_kernelIDF16_hLN4vllm18Fp8KVCacheDataTypeE1EDF16_Li16ELi128ELi256ELb1ELi12EL8MFMAType0EEvPKT_PKT0_S8_ifPKiSA_SA_iPKfiiiPfSD_PS3_PT2_iSC_SC_: ; @_Z39paged_attention_ll4mi_QKV_mfma16_kernelIDF16_hLN4vllm18Fp8KVCacheDataTypeE1EDF16_Li16ELi128ELi256ELb1ELi12EL8MFMAType0EEvPKT_PKT0_S8_ifPKiSA_SA_iPKfiiiPfSD_PS3_PT2_iSC_SC_
; %bb.0:
	s_load_dwordx2 s[6:7], s[4:5], 0x30
	s_add_u32 s0, s0, s11
	s_addc_u32 s1, s1, 0
	s_mov_b32 s26, s9
	s_mov_b64 s[14:15], 0
	s_waitcnt lgkmcnt(0)
	s_cmp_lg_u64 s[6:7], 0
	s_cselect_b64 s[12:13], -1, 0
	s_and_b64 vcc, exec, s[12:13]
	s_cbranch_vccz .LBB617_7
; %bb.1:
	s_add_i32 s16, s8, 1
	s_mov_b32 s17, 0
	s_lshl_b64 s[18:19], s[16:17], 2
	s_add_u32 s18, s6, s18
	s_mov_b32 s9, s17
	s_addc_u32 s19, s7, s19
	s_lshl_b64 s[16:17], s[8:9], 2
	s_add_u32 s16, s6, s16
	s_addc_u32 s17, s7, s17
	s_load_dword s11, s[18:19], 0x0
	s_load_dword s20, s[16:17], 0x0
	s_waitcnt lgkmcnt(0)
	s_sub_i32 s11, s11, s20
	s_cmp_eq_u32 s11, 1
	s_cselect_b64 s[16:17], -1, 0
	s_andn2_b64 vcc, exec, s[14:15]
	s_cbranch_vccnz .LBB617_3
.LBB617_2:
	s_mov_b32 s9, 0
	s_mov_b64 s[16:17], -1
.LBB617_3:
	s_andn2_b64 vcc, exec, s[16:17]
	s_cbranch_vccnz .LBB617_599
; %bb.4:
	s_load_dwordx2 s[16:17], s[4:5], 0x28
	s_lshl_b64 s[14:15], s[8:9], 2
	s_waitcnt lgkmcnt(0)
	s_add_u32 s16, s16, s14
	s_addc_u32 s17, s17, s15
	s_load_dword s33, s[16:17], 0x0
	s_lshl_b32 s20, s26, 8
	s_waitcnt lgkmcnt(0)
	s_cmp_ge_i32 s20, s33
	s_cbranch_scc1 .LBB617_599
; %bb.5:
	s_add_i32 s18, s33, 15
	s_load_dwordx2 s[16:17], s[4:5], 0x20
	s_load_dword s11, s[4:5], 0x38
	s_ashr_i32 s19, s18, 31
	v_and_b32_e32 v1, 0xcf, v0
	s_lshr_b32 s19, s19, 28
	v_add_u32_e32 v1, s20, v1
	s_add_i32 s18, s18, s19
	v_ashrrev_i32_e32 v2, 31, v1
	s_ashr_i32 s23, s18, 4
	v_lshrrev_b32_e32 v4, 28, v2
	s_add_i32 s23, s23, -1
	v_add_u32_e32 v2, v1, v4
	s_waitcnt lgkmcnt(0)
	s_mul_i32 s18, s8, s11
	s_mov_b32 s19, 0
	v_ashrrev_i32_e32 v2, 4, v2
	v_mov_b32_e32 v5, s23
	v_cmp_gt_i32_e32 vcc, s33, v1
	s_lshl_b64 s[18:19], s[18:19], 2
	v_cndmask_b32_e32 v2, v5, v2, vcc
	s_add_u32 s21, s16, s18
	v_ashrrev_i32_e32 v3, 31, v2
	s_addc_u32 s22, s17, s19
	v_lshlrev_b64 v[2:3], 2, v[2:3]
	v_mov_b32_e32 v7, s22
	v_add_co_u32_e32 v6, vcc, s21, v2
	v_or_b32_e32 v2, 16, v1
	v_addc_co_u32_e32 v7, vcc, v7, v3, vcc
	v_add_u32_e32 v3, v2, v4
	v_ashrrev_i32_e32 v3, 4, v3
	v_cmp_gt_i32_e32 vcc, s33, v2
	v_cndmask_b32_e32 v2, v5, v3, vcc
	v_ashrrev_i32_e32 v3, 31, v2
	v_lshlrev_b64 v[2:3], 2, v[2:3]
	v_mov_b32_e32 v9, s22
	v_add_co_u32_e32 v8, vcc, s21, v2
	v_or_b32_e32 v2, 32, v1
	v_addc_co_u32_e32 v9, vcc, v9, v3, vcc
	v_add_u32_e32 v3, v2, v4
	v_ashrrev_i32_e32 v3, 4, v3
	v_cmp_gt_i32_e32 vcc, s33, v2
	v_cndmask_b32_e32 v2, v5, v3, vcc
	v_ashrrev_i32_e32 v3, 31, v2
	v_lshlrev_b64 v[2:3], 2, v[2:3]
	v_mov_b32_e32 v11, s22
	v_add_co_u32_e32 v10, vcc, s21, v2
	v_or_b32_e32 v1, 48, v1
	v_addc_co_u32_e32 v11, vcc, v11, v3, vcc
	v_add_u32_e32 v2, v1, v4
	v_ashrrev_i32_e32 v2, 4, v2
	v_cmp_gt_i32_e32 vcc, s33, v1
	v_cndmask_b32_e32 v2, v5, v2, vcc
	v_ashrrev_i32_e32 v3, 31, v2
	v_lshlrev_b64 v[2:3], 2, v[2:3]
	v_mov_b32_e32 v1, s22
	v_add_co_u32_e32 v12, vcc, s21, v2
	v_addc_co_u32_e32 v13, vcc, v1, v3, vcc
	global_load_dword v5, v[6:7], off
	global_load_dword v4, v[8:9], off
	;; [unrolled: 1-line block ×4, first 2 shown]
	s_load_dwordx2 s[16:17], s[4:5], 0x8
	s_andn2_b64 vcc, exec, s[12:13]
	s_cbranch_vccnz .LBB617_8
; %bb.6:
	s_add_u32 s6, s6, s14
	s_addc_u32 s7, s7, s15
	s_load_dword s11, s[6:7], 0x0
	s_branch .LBB617_9
.LBB617_7:
	s_mov_b64 s[16:17], 0
	s_branch .LBB617_2
.LBB617_8:
	s_mov_b32 s11, s8
.LBB617_9:
	s_load_dwordx2 s[6:7], s[4:5], 0x10
	s_load_dwordx4 s[12:15], s[4:5], 0x48
	v_and_b32_e32 v41, 15, v0
	v_lshlrev_b32_e32 v6, 3, v41
	s_waitcnt lgkmcnt(0)
	s_movk_i32 s15, 0xc0
	v_lshrrev_b32_e32 v27, 6, v0
	v_bfe_u32 v1, v0, 4, 2
	s_mul_i32 s27, s10, 12
	v_cmp_gt_u32_e32 vcc, s15, v0
	v_lshlrev_b32_e32 v39, 1, v6
	v_lshlrev_b32_e32 v43, 4, v0
	s_and_saveexec_b64 s[18:19], vcc
	s_cbranch_execz .LBB617_11
; %bb.10:
	s_load_dwordx2 s[24:25], s[4:5], 0x0
	s_ashr_i32 s15, s12, 31
	s_mul_hi_u32 s28, s11, s12
	s_mul_i32 s15, s11, s15
	v_lshl_or_b32 v10, v27, 2, v1
	s_add_i32 s29, s28, s15
	s_mul_i32 s28, s11, s12
	s_lshl_b64 s[28:29], s[28:29], 1
	v_add_lshl_u32 v6, v10, s27, 7
	s_waitcnt lgkmcnt(0)
	s_add_u32 s11, s24, s28
	v_ashrrev_i32_e32 v7, 31, v6
	s_addc_u32 s12, s25, s29
	v_lshlrev_b64 v[6:7], 1, v[6:7]
	v_mov_b32_e32 v8, s12
	v_add_co_u32_e32 v6, vcc, s11, v6
	v_addc_co_u32_e32 v7, vcc, v8, v7, vcc
	v_add_co_u32_e32 v6, vcc, v6, v39
	v_addc_co_u32_e32 v7, vcc, 0, v7, vcc
	global_load_dwordx4 v[6:9], v[6:7], off
	v_lshlrev_b32_e32 v12, 8, v0
	v_lshlrev_b32_e32 v11, 8, v41
	v_and_b32_e32 v12, 0x600, v12
	s_movk_i32 s11, 0x800
	v_and_or_b32 v11, v11, s11, v12
	v_lshlrev_b32_e32 v10, 5, v10
	v_and_b32_e32 v12, 16, v43
	v_or3_b32 v10, v11, v10, v12
	s_waitcnt vmcnt(0)
	ds_write_b128 v10, v[6:9]
.LBB617_11:
	s_or_b64 exec, exec, s[18:19]
	s_mul_i32 s14, s10, s14
	s_add_u32 s10, s16, s14
	s_addc_u32 s11, s17, 0
	v_and_b32_e32 v6, 0xf0, v43
	v_mov_b32_e32 v7, s11
	v_add_co_u32_e32 v6, vcc, s10, v6
	v_and_b32_e32 v18, 48, v0
	v_addc_co_u32_e32 v7, vcc, 0, v7, vcc
	v_lshlrev_b32_e32 v10, 4, v18
	s_waitcnt vmcnt(3)
	v_mad_i64_i32 v[8:9], s[10:11], v5, s13, v[6:7]
	v_add_co_u32_e32 v8, vcc, v8, v10
	v_addc_co_u32_e32 v9, vcc, 0, v9, vcc
	s_waitcnt vmcnt(2)
	v_mad_i64_i32 v[4:5], s[10:11], v4, s13, v[6:7]
	v_add_co_u32_e32 v4, vcc, v4, v10
	v_addc_co_u32_e32 v5, vcc, 0, v5, vcc
	s_load_dwordx2 s[48:49], s[4:5], 0x94
	s_waitcnt lgkmcnt(0)
	s_barrier
	global_load_dwordx4 v[20:23], v[8:9], off
	global_load_dwordx4 v[28:31], v[8:9], off offset:1024
	global_load_dwordx4 v[32:35], v[4:5], off
	global_load_dwordx4 v[44:47], v[4:5], off offset:1024
	s_waitcnt vmcnt(5)
	v_mad_i64_i32 v[4:5], s[10:11], v3, s13, v[6:7]
	v_add_co_u32_e32 v4, vcc, v4, v10
	v_addc_co_u32_e32 v5, vcc, 0, v5, vcc
	s_waitcnt vmcnt(4)
	v_mad_i64_i32 v[2:3], s[10:11], v2, s13, v[6:7]
	v_add_co_u32_e32 v2, vcc, v2, v10
	v_addc_co_u32_e32 v3, vcc, 0, v3, vcc
	global_load_dwordx4 v[48:51], v[4:5], off
	global_load_dwordx4 v[52:55], v[4:5], off offset:1024
	global_load_dwordx4 v[56:59], v[2:3], off
	global_load_dwordx4 v[60:63], v[2:3], off offset:1024
	v_add_u32_e32 v2, -12, v41
	v_cmp_gt_u32_e32 vcc, 12, v41
	v_cndmask_b32_e32 v2, v2, v41, vcc
	v_lshlrev_b32_e32 v2, 5, v2
	v_lshl_add_u32 v14, v1, 9, v2
	s_load_dwordx2 s[50:51], s[4:5], 0x68
	s_load_dwordx4 s[44:47], s[4:5], 0x58
	ds_read_b128 v[2:5], v14
	ds_read_b128 v[6:9], v14 offset:16
	ds_read_b128 v[10:13], v14 offset:2048
	;; [unrolled: 1-line block ×3, first 2 shown]
	s_mov_b32 s12, 0
	s_waitcnt vmcnt(7)
	buffer_store_dword v23, off, s[0:3], 0 offset:12
	buffer_store_dword v22, off, s[0:3], 0 offset:8
	;; [unrolled: 1-line block ×3, first 2 shown]
	buffer_store_dword v20, off, s[0:3], 0
	s_waitcnt vmcnt(10)
	buffer_store_dword v31, off, s[0:3], 0 offset:28
	buffer_store_dword v30, off, s[0:3], 0 offset:24
	buffer_store_dword v29, off, s[0:3], 0 offset:20
	buffer_store_dword v28, off, s[0:3], 0 offset:16
	s_waitcnt vmcnt(13)
	buffer_store_dword v35, off, s[0:3], 0 offset:44
	buffer_store_dword v34, off, s[0:3], 0 offset:40
	buffer_store_dword v33, off, s[0:3], 0 offset:36
	buffer_store_dword v32, off, s[0:3], 0 offset:32
	s_waitcnt vmcnt(16)
	buffer_store_dword v47, off, s[0:3], 0 offset:60
	buffer_store_dword v46, off, s[0:3], 0 offset:56
	buffer_store_dword v45, off, s[0:3], 0 offset:52
	buffer_store_dword v44, off, s[0:3], 0 offset:48
	s_waitcnt vmcnt(19)
	buffer_store_dword v51, off, s[0:3], 0 offset:76
	buffer_store_dword v50, off, s[0:3], 0 offset:72
	buffer_store_dword v49, off, s[0:3], 0 offset:68
	buffer_store_dword v48, off, s[0:3], 0 offset:64
	s_waitcnt vmcnt(22)
	buffer_store_dword v55, off, s[0:3], 0 offset:92
	buffer_store_dword v54, off, s[0:3], 0 offset:88
	buffer_store_dword v53, off, s[0:3], 0 offset:84
	buffer_store_dword v52, off, s[0:3], 0 offset:80
	s_waitcnt vmcnt(25)
	buffer_store_dword v59, off, s[0:3], 0 offset:108
	buffer_store_dword v58, off, s[0:3], 0 offset:104
	buffer_store_dword v57, off, s[0:3], 0 offset:100
	buffer_store_dword v56, off, s[0:3], 0 offset:96
	s_waitcnt vmcnt(28)
	buffer_store_dword v60, off, s[0:3], 0 offset:112
	buffer_store_dword v61, off, s[0:3], 0 offset:116
	buffer_store_dword v62, off, s[0:3], 0 offset:120
	buffer_store_dword v63, off, s[0:3], 0 offset:124
	v_mov_b32_e32 v35, 0
	v_mov_b32_e32 v31, 0
	s_and_saveexec_b64 s[10:11], vcc
	s_cbranch_execz .LBB617_13
; %bb.12:
	s_load_dwordx2 s[16:17], s[4:5], 0x40
	v_add_u32_e32 v20, s27, v41
	v_ashrrev_i32_e32 v21, 31, v20
	v_lshlrev_b64 v[20:21], 2, v[20:21]
	s_waitcnt lgkmcnt(0)
	v_mov_b32_e32 v19, s17
	v_add_co_u32_e32 v20, vcc, s16, v20
	v_addc_co_u32_e32 v21, vcc, v19, v21, vcc
	global_load_dword v31, v[20:21], off
.LBB617_13:
	s_or_b64 exec, exec, s[10:11]
	v_or_b32_e32 v22, s20, v18
	v_ashrrev_i32_e32 v18, 4, v22
	v_mov_b32_e32 v23, s23
	v_cmp_gt_i32_e32 vcc, s33, v22
	v_cndmask_b32_e32 v18, v23, v18, vcc
	v_ashrrev_i32_e32 v19, 31, v18
	v_lshlrev_b64 v[18:19], 2, v[18:19]
	v_mov_b32_e32 v20, s22
	v_add_co_u32_e32 v18, vcc, s21, v18
	v_addc_co_u32_e32 v19, vcc, v20, v19, vcc
	global_load_dword v26, v[18:19], off
	v_or_b32_e32 v18, 64, v22
	v_ashrrev_i32_e32 v19, 4, v18
	v_cmp_gt_i32_e32 vcc, s33, v18
	v_cndmask_b32_e32 v18, v23, v19, vcc
	v_ashrrev_i32_e32 v19, 31, v18
	v_lshlrev_b64 v[18:19], 2, v[18:19]
	v_add_co_u32_e32 v18, vcc, s21, v18
	v_addc_co_u32_e32 v19, vcc, v20, v19, vcc
	v_or_b32_e32 v20, 0x80, v22
	v_ashrrev_i32_e32 v21, 4, v20
	v_cmp_gt_i32_e32 vcc, s33, v20
	v_cndmask_b32_e32 v20, v23, v21, vcc
	v_ashrrev_i32_e32 v21, 31, v20
	v_lshlrev_b64 v[20:21], 2, v[20:21]
	v_mov_b32_e32 v24, s22
	v_add_co_u32_e32 v20, vcc, s21, v20
	v_addc_co_u32_e32 v21, vcc, v24, v21, vcc
	global_load_dword v28, v[18:19], off
	global_load_dword v30, v[20:21], off
	v_or_b32_e32 v18, 0xc0, v22
	v_ashrrev_i32_e32 v19, 4, v18
	v_cmp_gt_i32_e32 vcc, s33, v18
	v_cndmask_b32_e32 v18, v23, v19, vcc
	v_ashrrev_i32_e32 v19, 31, v18
	v_lshlrev_b64 v[18:19], 2, v[18:19]
	v_mov_b32_e32 v20, s22
	v_add_co_u32_e32 v18, vcc, s21, v18
	v_addc_co_u32_e32 v19, vcc, v20, v19, vcc
	global_load_dword v34, v[18:19], off
	s_add_u32 s10, s6, s14
	v_lshl_or_b32 v29, v27, 4, v41
	s_addc_u32 s6, s7, 0
	v_lshlrev_b32_e32 v18, 4, v29
	v_mov_b32_e32 v19, s6
	v_add_co_u32_e32 v22, vcc, s10, v18
	v_addc_co_u32_e32 v23, vcc, 0, v19, vcc
	v_or_b32_e32 v24, 0x400, v18
	v_mov_b32_e32 v25, s6
	v_add_co_u32_e32 v24, vcc, s10, v24
	v_addc_co_u32_e32 v25, vcc, 0, v25, vcc
	v_mov_b32_e32 v36, 0
	s_movk_i32 s14, 0x7f
	s_mov_b32 s15, 0xffffff
	v_mov_b32_e32 v37, 0x100
	v_bfrev_b32_e32 v38, 60
	s_waitcnt vmcnt(3)
	v_mad_i64_i32 v[18:19], s[6:7], v26, s13, v[22:23]
	global_load_dwordx4 v[18:21], v[18:19], off
	v_mad_i64_i32 v[32:33], s[6:7], v26, s13, v[24:25]
	global_load_dwordx4 v[52:55], v[32:33], off
	s_waitcnt vmcnt(4)
	v_mad_i64_i32 v[32:33], s[6:7], v28, s13, v[22:23]
	global_load_dwordx4 v[56:59], v[32:33], off
	s_waitcnt vmcnt(4)
	;; [unrolled: 3-line block ×3, first 2 shown]
	v_mad_i64_i32 v[22:23], s[6:7], v34, s13, v[22:23]
	global_load_dwordx4 v[64:67], v[22:23], off
	v_mad_i64_i32 v[22:23], s[6:7], v28, s13, v[24:25]
	global_load_dwordx4 v[68:71], v[22:23], off
	;; [unrolled: 2-line block ×4, first 2 shown]
	s_load_dword s6, s[4:5], 0x1c
	s_load_dwordx4 s[40:43], s[4:5], 0x80
	v_mov_b32_e32 v22, 0x80
	v_add_u32_e32 v45, 16, v22
	v_add_u32_e32 v46, 32, v22
	;; [unrolled: 1-line block ×3, first 2 shown]
	s_waitcnt lgkmcnt(0)
	s_load_dword s4, s[40:41], 0x0
	v_add_u32_e32 v51, 64, v22
	v_add_u32_e32 v48, 0x50, v22
	;; [unrolled: 1-line block ×4, first 2 shown]
	v_mov_b32_e32 v22, s6
	s_waitcnt lgkmcnt(0)
	v_mul_f32_e32 v22, s4, v22
	v_and_b32_e32 v33, 63, v0
	s_movk_i32 s13, 0x80
	v_mov_b32_e32 v24, v22
	v_mov_b32_e32 v25, v22
	s_waitcnt vmcnt(7)
	buffer_store_dword v21, off, s[0:3], 0 offset:140
	buffer_store_dword v20, off, s[0:3], 0 offset:136
	buffer_store_dword v19, off, s[0:3], 0 offset:132
	buffer_store_dword v18, off, s[0:3], 0 offset:128
	s_waitcnt vmcnt(10)
	buffer_store_dword v55, off, s[0:3], 0 offset:156
	buffer_store_dword v54, off, s[0:3], 0 offset:152
	buffer_store_dword v53, off, s[0:3], 0 offset:148
	buffer_store_dword v52, off, s[0:3], 0 offset:144
	;; [unrolled: 5-line block ×8, first 2 shown]
	s_branch .LBB617_17
.LBB617_14:                             ;   in Loop: Header=BB617_17 Depth=1
	s_or_b64 exec, exec, s[10:11]
.LBB617_15:                             ;   in Loop: Header=BB617_17 Depth=1
	s_or_b64 exec, exec, s[6:7]
.LBB617_16:                             ;   in Loop: Header=BB617_17 Depth=1
	s_or_b64 exec, exec, s[4:5]
	v_cvt_pkrtz_f16_f32 v54, v34, v32
	v_cvt_pkrtz_f16_f32 v55, v23, v42
	v_add_u32_e32 v26, s12, v37
	s_add_i32 s12, s12, 16
	v_mov_b32_e32 v23, v22
	v_mfma_f32_16x16x16f16 v[18:21], v[54:55], v[14:15], v[18:21]
	v_cvt_pkrtz_f16_f32 v54, v40, v44
	v_cvt_pkrtz_f16_f32 v55, v30, v52
	s_cmp_eq_u32 s12, 64
	v_add_u32_e32 v36, 32, v36
	v_mfma_f32_16x16x16f16 v[18:21], v[54:55], v[16:17], v[18:21]
	s_nop 7
	s_nop 2
	v_pk_mul_f32 v[18:19], v[24:25], v[18:19]
	v_pk_mul_f32 v[20:21], v[22:23], v[20:21]
	buffer_store_dword v19, v26, s[0:3], 0 offen offset:4
	buffer_store_dword v18, v26, s[0:3], 0 offen
	buffer_store_dword v21, v26, s[0:3], 0 offen offset:12
	buffer_store_dword v20, v26, s[0:3], 0 offen offset:8
	s_cbranch_scc1 .LBB617_207
.LBB617_17:                             ; =>This Inner Loop Header: Depth=1
	buffer_load_dword v20, v36, s[0:3], 0 offen
	buffer_load_dword v18, v36, s[0:3], 0 offen offset:4
	buffer_load_dword v28, v36, s[0:3], 0 offen offset:8
	;; [unrolled: 1-line block ×3, first 2 shown]
	v_mov_b32_e32 v19, 0
	v_mov_b32_e32 v21, 0
	s_waitcnt vmcnt(3)
	v_cmp_ne_u16_sdwa s[6:7], v20, v35 src0_sel:BYTE_0 src1_sel:DWORD
	s_and_saveexec_b64 s[4:5], s[6:7]
	s_cbranch_execz .LBB617_23
; %bb.18:                               ;   in Loop: Header=BB617_17 Depth=1
	v_cmp_ne_u16_sdwa s[10:11], v20, s13 src0_sel:BYTE_0 src1_sel:DWORD
	v_bfrev_b32_e32 v21, 1
	s_and_saveexec_b64 s[6:7], s[10:11]
	s_cbranch_execz .LBB617_22
; %bb.19:                               ;   in Loop: Header=BB617_17 Depth=1
	v_and_b32_e32 v23, 0x7f, v20
	v_cmp_ne_u32_e32 vcc, s14, v23
	v_mov_b32_e32 v21, 0x7f800001
	s_and_saveexec_b64 s[10:11], vcc
	s_cbranch_execz .LBB617_21
; %bb.20:                               ;   in Loop: Header=BB617_17 Depth=1
	v_and_b32_e32 v21, 7, v20
	v_ffbh_u32_e32 v32, v21
	v_min_u32_e32 v32, 32, v32
	v_subrev_u32_e32 v34, 28, v32
	v_lshlrev_b64 v[52:53], v34, v[20:21]
	v_lshrrev_b32_e32 v30, 3, v23
	v_sub_u32_e32 v32, 29, v32
	v_and_b32_e32 v34, 7, v52
	v_cmp_gt_u32_e32 vcc, 8, v23
	v_cndmask_b32_e32 v23, v30, v32, vcc
	v_cndmask_b32_e32 v21, v21, v34, vcc
	v_lshlrev_b32_e32 v30, 24, v20
	v_lshlrev_b32_e32 v21, 20, v21
	v_and_b32_e32 v30, 0x80000000, v30
	v_lshl_add_u32 v23, v23, 23, v38
	v_or3_b32 v21, v30, v23, v21
.LBB617_21:                             ;   in Loop: Header=BB617_17 Depth=1
	s_or_b64 exec, exec, s[10:11]
.LBB617_22:                             ;   in Loop: Header=BB617_17 Depth=1
	s_or_b64 exec, exec, s[6:7]
.LBB617_23:                             ;   in Loop: Header=BB617_17 Depth=1
	s_or_b64 exec, exec, s[4:5]
	v_lshrrev_b16_e32 v30, 8, v20
	v_cmp_ne_u16_e32 vcc, 0, v30
	s_and_saveexec_b64 s[4:5], vcc
	s_cbranch_execz .LBB617_29
; %bb.24:                               ;   in Loop: Header=BB617_17 Depth=1
	v_cmp_ne_u16_e32 vcc, s13, v30
	v_bfrev_b32_e32 v19, 1
	s_and_saveexec_b64 s[6:7], vcc
	s_cbranch_execz .LBB617_28
; %bb.25:                               ;   in Loop: Header=BB617_17 Depth=1
	v_and_b32_e32 v23, 0x7f, v30
	v_cmp_ne_u32_e32 vcc, s14, v23
	v_mov_b32_e32 v19, 0x7f800001
	s_and_saveexec_b64 s[10:11], vcc
	s_cbranch_execz .LBB617_27
; %bb.26:                               ;   in Loop: Header=BB617_17 Depth=1
	v_and_b32_e32 v19, 7, v30
	v_ffbh_u32_e32 v34, v19
	v_min_u32_e32 v34, 32, v34
	v_subrev_u32_e32 v40, 28, v34
	v_lshlrev_b64 v[52:53], v40, v[30:31]
	v_lshrrev_b32_e32 v32, 3, v23
	v_sub_u32_e32 v30, 29, v34
	v_and_b32_e32 v34, 7, v52
	v_cmp_gt_u32_e32 vcc, 8, v23
	v_cndmask_b32_e32 v23, v32, v30, vcc
	v_cndmask_b32_e32 v19, v19, v34, vcc
	v_lshlrev_b32_e32 v30, 16, v20
	v_lshlrev_b32_e32 v19, 20, v19
	v_and_b32_e32 v30, 0x80000000, v30
	v_lshl_add_u32 v23, v23, 23, v38
	v_or3_b32 v19, v30, v23, v19
.LBB617_27:                             ;   in Loop: Header=BB617_17 Depth=1
	s_or_b64 exec, exec, s[10:11]
.LBB617_28:                             ;   in Loop: Header=BB617_17 Depth=1
	s_or_b64 exec, exec, s[6:7]
.LBB617_29:                             ;   in Loop: Header=BB617_17 Depth=1
	s_or_b64 exec, exec, s[4:5]
	v_lshrrev_b32_e32 v30, 16, v20
	v_cmp_ne_u16_sdwa s[6:7], v30, v35 src0_sel:BYTE_0 src1_sel:DWORD
	v_mov_b32_e32 v32, 0
	v_mov_b32_e32 v23, 0
	s_and_saveexec_b64 s[4:5], s[6:7]
	s_cbranch_execz .LBB617_35
; %bb.30:                               ;   in Loop: Header=BB617_17 Depth=1
	v_cmp_ne_u16_sdwa s[10:11], v30, s13 src0_sel:BYTE_0 src1_sel:DWORD
	v_bfrev_b32_e32 v23, 1
	s_and_saveexec_b64 s[6:7], s[10:11]
	s_cbranch_execz .LBB617_34
; %bb.31:                               ;   in Loop: Header=BB617_17 Depth=1
	v_bfe_u32 v34, v20, 16, 7
	v_cmp_ne_u32_e32 vcc, s14, v34
	v_mov_b32_e32 v23, 0x7f800001
	s_and_saveexec_b64 s[10:11], vcc
	s_cbranch_execz .LBB617_33
; %bb.32:                               ;   in Loop: Header=BB617_17 Depth=1
	v_and_b32_e32 v23, 7, v30
	v_ffbh_u32_e32 v42, v23
	v_min_u32_e32 v42, 32, v42
	v_subrev_u32_e32 v44, 28, v42
	v_lshlrev_b64 v[52:53], v44, v[30:31]
	v_lshrrev_b32_e32 v40, 3, v34
	v_sub_u32_e32 v42, 29, v42
	v_and_b32_e32 v44, 7, v52
	v_cmp_gt_u32_e32 vcc, 8, v34
	v_cndmask_b32_e32 v34, v40, v42, vcc
	v_cndmask_b32_e32 v23, v23, v44, vcc
	v_lshlrev_b32_e32 v30, 24, v30
	v_lshlrev_b32_e32 v23, 20, v23
	v_and_b32_e32 v30, 0x80000000, v30
	v_lshl_add_u32 v34, v34, 23, v38
	v_or3_b32 v23, v30, v34, v23
.LBB617_33:                             ;   in Loop: Header=BB617_17 Depth=1
	s_or_b64 exec, exec, s[10:11]
.LBB617_34:                             ;   in Loop: Header=BB617_17 Depth=1
	s_or_b64 exec, exec, s[6:7]
.LBB617_35:                             ;   in Loop: Header=BB617_17 Depth=1
	s_or_b64 exec, exec, s[4:5]
	v_cmp_lt_u32_e32 vcc, s15, v20
	s_and_saveexec_b64 s[4:5], vcc
	s_cbranch_execz .LBB617_41
; %bb.36:                               ;   in Loop: Header=BB617_17 Depth=1
	v_lshrrev_b32_e32 v30, 24, v20
	v_cmp_ne_u32_e32 vcc, s13, v30
	v_bfrev_b32_e32 v32, 1
	s_and_saveexec_b64 s[6:7], vcc
	s_cbranch_execz .LBB617_40
; %bb.37:                               ;   in Loop: Header=BB617_17 Depth=1
	v_bfe_u32 v20, v20, 24, 7
	v_cmp_ne_u32_e32 vcc, s14, v20
	v_mov_b32_e32 v32, 0x7f800001
	s_and_saveexec_b64 s[10:11], vcc
	s_cbranch_execz .LBB617_39
; %bb.38:                               ;   in Loop: Header=BB617_17 Depth=1
	v_and_b32_e32 v32, 7, v30
	v_ffbh_u32_e32 v40, v32
	v_min_u32_e32 v40, 32, v40
	v_subrev_u32_e32 v42, 28, v40
	v_lshlrev_b64 v[52:53], v42, v[30:31]
	v_lshrrev_b32_e32 v34, 3, v20
	v_sub_u32_e32 v40, 29, v40
	v_and_b32_e32 v42, 7, v52
	v_cmp_gt_u32_e32 vcc, 8, v20
	v_cndmask_b32_e32 v20, v34, v40, vcc
	v_cndmask_b32_e32 v32, v32, v42, vcc
	v_lshlrev_b32_e32 v30, 24, v30
	v_lshlrev_b32_e32 v32, 20, v32
	v_and_b32_e32 v30, 0x80000000, v30
	v_lshl_add_u32 v20, v20, 23, v38
	v_or3_b32 v32, v30, v20, v32
.LBB617_39:                             ;   in Loop: Header=BB617_17 Depth=1
	s_or_b64 exec, exec, s[10:11]
.LBB617_40:                             ;   in Loop: Header=BB617_17 Depth=1
	s_or_b64 exec, exec, s[6:7]
.LBB617_41:                             ;   in Loop: Header=BB617_17 Depth=1
	s_or_b64 exec, exec, s[4:5]
	s_waitcnt vmcnt(2)
	v_cmp_ne_u16_sdwa s[6:7], v18, v35 src0_sel:BYTE_0 src1_sel:DWORD
	v_mov_b32_e32 v30, 0
	v_mov_b32_e32 v34, 0
	s_and_saveexec_b64 s[4:5], s[6:7]
	s_cbranch_execz .LBB617_47
; %bb.42:                               ;   in Loop: Header=BB617_17 Depth=1
	v_cmp_ne_u16_sdwa s[10:11], v18, s13 src0_sel:BYTE_0 src1_sel:DWORD
	v_bfrev_b32_e32 v34, 1
	s_and_saveexec_b64 s[6:7], s[10:11]
	s_cbranch_execz .LBB617_46
; %bb.43:                               ;   in Loop: Header=BB617_17 Depth=1
	v_and_b32_e32 v20, 0x7f, v18
	v_cmp_ne_u32_e32 vcc, s14, v20
	v_mov_b32_e32 v34, 0x7f800001
	s_and_saveexec_b64 s[10:11], vcc
	s_cbranch_execz .LBB617_45
; %bb.44:                               ;   in Loop: Header=BB617_17 Depth=1
	v_and_b32_e32 v34, 7, v18
	v_ffbh_u32_e32 v42, v34
	v_min_u32_e32 v42, 32, v42
	v_subrev_u32_e32 v44, 28, v42
	v_lshlrev_b64 v[52:53], v44, v[18:19]
	v_lshrrev_b32_e32 v40, 3, v20
	v_sub_u32_e32 v42, 29, v42
	v_and_b32_e32 v44, 7, v52
	v_cmp_gt_u32_e32 vcc, 8, v20
	v_cndmask_b32_e32 v20, v40, v42, vcc
	v_cndmask_b32_e32 v34, v34, v44, vcc
	v_lshlrev_b32_e32 v40, 24, v18
	v_lshlrev_b32_e32 v34, 20, v34
	v_and_b32_e32 v40, 0x80000000, v40
	v_lshl_add_u32 v20, v20, 23, v38
	v_or3_b32 v34, v40, v20, v34
.LBB617_45:                             ;   in Loop: Header=BB617_17 Depth=1
	s_or_b64 exec, exec, s[10:11]
.LBB617_46:                             ;   in Loop: Header=BB617_17 Depth=1
	s_or_b64 exec, exec, s[6:7]
.LBB617_47:                             ;   in Loop: Header=BB617_17 Depth=1
	s_or_b64 exec, exec, s[4:5]
	v_lshrrev_b16_e32 v20, 8, v18
	v_cmp_ne_u16_e32 vcc, 0, v20
	s_and_saveexec_b64 s[4:5], vcc
	s_cbranch_execz .LBB617_53
; %bb.48:                               ;   in Loop: Header=BB617_17 Depth=1
	v_cmp_ne_u16_e32 vcc, s13, v20
	v_bfrev_b32_e32 v30, 1
	s_and_saveexec_b64 s[6:7], vcc
	s_cbranch_execz .LBB617_52
; %bb.49:                               ;   in Loop: Header=BB617_17 Depth=1
	v_and_b32_e32 v40, 0x7f, v20
	v_cmp_ne_u32_e32 vcc, s14, v40
	v_mov_b32_e32 v30, 0x7f800001
	s_and_saveexec_b64 s[10:11], vcc
	s_cbranch_execz .LBB617_51
; %bb.50:                               ;   in Loop: Header=BB617_17 Depth=1
	v_and_b32_e32 v30, 7, v20
	v_ffbh_u32_e32 v44, v30
	v_min_u32_e32 v44, 32, v44
	v_subrev_u32_e32 v52, 28, v44
	v_lshlrev_b64 v[52:53], v52, v[20:21]
	v_lshrrev_b32_e32 v42, 3, v40
	v_sub_u32_e32 v20, 29, v44
	v_and_b32_e32 v44, 7, v52
	v_cmp_gt_u32_e32 vcc, 8, v40
	v_cndmask_b32_e32 v20, v42, v20, vcc
	v_cndmask_b32_e32 v30, v30, v44, vcc
	v_lshlrev_b32_e32 v40, 16, v18
	v_lshlrev_b32_e32 v30, 20, v30
	v_and_b32_e32 v40, 0x80000000, v40
	v_lshl_add_u32 v20, v20, 23, v38
	v_or3_b32 v30, v40, v20, v30
.LBB617_51:                             ;   in Loop: Header=BB617_17 Depth=1
	s_or_b64 exec, exec, s[10:11]
.LBB617_52:                             ;   in Loop: Header=BB617_17 Depth=1
	s_or_b64 exec, exec, s[6:7]
.LBB617_53:                             ;   in Loop: Header=BB617_17 Depth=1
	s_or_b64 exec, exec, s[4:5]
	v_lshrrev_b32_e32 v20, 16, v18
	v_cmp_ne_u16_sdwa s[6:7], v20, v35 src0_sel:BYTE_0 src1_sel:DWORD
	v_mov_b32_e32 v42, 0
	v_mov_b32_e32 v40, 0
	s_and_saveexec_b64 s[4:5], s[6:7]
	s_cbranch_execz .LBB617_59
; %bb.54:                               ;   in Loop: Header=BB617_17 Depth=1
	v_cmp_ne_u16_sdwa s[10:11], v20, s13 src0_sel:BYTE_0 src1_sel:DWORD
	v_bfrev_b32_e32 v40, 1
	s_and_saveexec_b64 s[6:7], s[10:11]
	s_cbranch_execz .LBB617_58
; %bb.55:                               ;   in Loop: Header=BB617_17 Depth=1
	v_bfe_u32 v44, v18, 16, 7
	v_cmp_ne_u32_e32 vcc, s14, v44
	v_mov_b32_e32 v40, 0x7f800001
	s_and_saveexec_b64 s[10:11], vcc
	s_cbranch_execz .LBB617_57
; %bb.56:                               ;   in Loop: Header=BB617_17 Depth=1
	v_and_b32_e32 v40, 7, v20
	v_ffbh_u32_e32 v52, v40
	v_min_u32_e32 v55, 32, v52
	v_subrev_u32_e32 v52, 28, v55
	v_lshlrev_b64 v[52:53], v52, v[20:21]
	v_lshrrev_b32_e32 v54, 3, v44
	v_sub_u32_e32 v53, 29, v55
	v_and_b32_e32 v52, 7, v52
	v_cmp_gt_u32_e32 vcc, 8, v44
	v_cndmask_b32_e32 v44, v54, v53, vcc
	v_cndmask_b32_e32 v40, v40, v52, vcc
	v_lshlrev_b32_e32 v20, 24, v20
	v_lshlrev_b32_e32 v40, 20, v40
	v_and_b32_e32 v20, 0x80000000, v20
	v_lshl_add_u32 v44, v44, 23, v38
	v_or3_b32 v40, v20, v44, v40
.LBB617_57:                             ;   in Loop: Header=BB617_17 Depth=1
	s_or_b64 exec, exec, s[10:11]
.LBB617_58:                             ;   in Loop: Header=BB617_17 Depth=1
	s_or_b64 exec, exec, s[6:7]
.LBB617_59:                             ;   in Loop: Header=BB617_17 Depth=1
	s_or_b64 exec, exec, s[4:5]
	v_cmp_lt_u32_e32 vcc, s15, v18
	s_and_saveexec_b64 s[4:5], vcc
	s_cbranch_execz .LBB617_65
; %bb.60:                               ;   in Loop: Header=BB617_17 Depth=1
	v_lshrrev_b32_e32 v20, 24, v18
	v_cmp_ne_u32_e32 vcc, s13, v20
	v_bfrev_b32_e32 v42, 1
	s_and_saveexec_b64 s[6:7], vcc
	s_cbranch_execz .LBB617_64
; %bb.61:                               ;   in Loop: Header=BB617_17 Depth=1
	v_bfe_u32 v18, v18, 24, 7
	v_cmp_ne_u32_e32 vcc, s14, v18
	v_mov_b32_e32 v42, 0x7f800001
	s_and_saveexec_b64 s[10:11], vcc
	s_cbranch_execz .LBB617_63
; %bb.62:                               ;   in Loop: Header=BB617_17 Depth=1
	v_and_b32_e32 v42, 7, v20
	v_ffbh_u32_e32 v52, v42
	v_min_u32_e32 v54, 32, v52
	v_subrev_u32_e32 v52, 28, v54
	v_lshlrev_b64 v[52:53], v52, v[20:21]
	v_lshrrev_b32_e32 v44, 3, v18
	v_sub_u32_e32 v53, 29, v54
	v_and_b32_e32 v52, 7, v52
	v_cmp_gt_u32_e32 vcc, 8, v18
	v_cndmask_b32_e32 v18, v44, v53, vcc
	v_cndmask_b32_e32 v42, v42, v52, vcc
	v_lshlrev_b32_e32 v20, 24, v20
	v_lshlrev_b32_e32 v42, 20, v42
	v_and_b32_e32 v20, 0x80000000, v20
	v_lshl_add_u32 v18, v18, 23, v38
	v_or3_b32 v42, v20, v18, v42
.LBB617_63:                             ;   in Loop: Header=BB617_17 Depth=1
	s_or_b64 exec, exec, s[10:11]
.LBB617_64:                             ;   in Loop: Header=BB617_17 Depth=1
	s_or_b64 exec, exec, s[6:7]
.LBB617_65:                             ;   in Loop: Header=BB617_17 Depth=1
	s_or_b64 exec, exec, s[4:5]
	v_cvt_pkrtz_f16_f32 v18, v21, v19
	v_cvt_pkrtz_f16_f32 v19, v23, v32
	;; [unrolled: 1-line block ×4, first 2 shown]
	v_mov_b32_e32 v32, 0
	v_mfma_f32_16x16x16f16 v[18:21], v[18:19], v[2:3], 0
	s_waitcnt vmcnt(1)
	v_cmp_ne_u16_sdwa s[6:7], v28, v35 src0_sel:BYTE_0 src1_sel:DWORD
	v_mov_b32_e32 v34, 0
	v_mfma_f32_16x16x16f16 v[18:21], v[52:53], v[4:5], v[18:21]
	s_and_saveexec_b64 s[4:5], s[6:7]
	s_cbranch_execz .LBB617_71
; %bb.66:                               ;   in Loop: Header=BB617_17 Depth=1
	v_cmp_ne_u16_sdwa s[10:11], v28, s13 src0_sel:BYTE_0 src1_sel:DWORD
	v_bfrev_b32_e32 v34, 1
	s_and_saveexec_b64 s[6:7], s[10:11]
	s_cbranch_execz .LBB617_70
; %bb.67:                               ;   in Loop: Header=BB617_17 Depth=1
	v_and_b32_e32 v23, 0x7f, v28
	v_cmp_ne_u32_e32 vcc, s14, v23
	v_mov_b32_e32 v34, 0x7f800001
	s_and_saveexec_b64 s[10:11], vcc
	s_cbranch_execz .LBB617_69
; %bb.68:                               ;   in Loop: Header=BB617_17 Depth=1
	v_and_b32_e32 v30, 7, v28
	v_ffbh_u32_e32 v40, v30
	v_min_u32_e32 v40, 32, v40
	v_subrev_u32_e32 v42, 28, v40
	v_lshlrev_b64 v[52:53], v42, v[28:29]
	v_lshrrev_b32_e32 v34, 3, v23
	v_sub_u32_e32 v40, 29, v40
	v_and_b32_e32 v42, 7, v52
	v_cmp_gt_u32_e32 vcc, 8, v23
	v_cndmask_b32_e32 v23, v34, v40, vcc
	v_cndmask_b32_e32 v30, v30, v42, vcc
	v_lshlrev_b32_e32 v34, 24, v28
	v_lshlrev_b32_e32 v30, 20, v30
	v_and_b32_e32 v34, 0x80000000, v34
	v_lshl_add_u32 v23, v23, 23, v38
	v_or3_b32 v34, v34, v23, v30
.LBB617_69:                             ;   in Loop: Header=BB617_17 Depth=1
	s_or_b64 exec, exec, s[10:11]
.LBB617_70:                             ;   in Loop: Header=BB617_17 Depth=1
	s_or_b64 exec, exec, s[6:7]
.LBB617_71:                             ;   in Loop: Header=BB617_17 Depth=1
	s_or_b64 exec, exec, s[4:5]
	v_lshrrev_b16_e32 v30, 8, v28
	v_cmp_ne_u16_e32 vcc, 0, v30
	v_mov_b32_e32 v40, 0
	s_and_saveexec_b64 s[4:5], vcc
	s_cbranch_execz .LBB617_77
; %bb.72:                               ;   in Loop: Header=BB617_17 Depth=1
	v_cmp_ne_u16_e32 vcc, s13, v30
	v_bfrev_b32_e32 v40, 1
	s_and_saveexec_b64 s[6:7], vcc
	s_cbranch_execz .LBB617_76
; %bb.73:                               ;   in Loop: Header=BB617_17 Depth=1
	v_and_b32_e32 v23, 0x7f, v30
	v_cmp_ne_u32_e32 vcc, s14, v23
	v_mov_b32_e32 v40, 0x7f800001
	s_and_saveexec_b64 s[10:11], vcc
	s_cbranch_execz .LBB617_75
; %bb.74:                               ;   in Loop: Header=BB617_17 Depth=1
	v_and_b32_e32 v40, 7, v30
	v_ffbh_u32_e32 v44, v40
	v_min_u32_e32 v44, 32, v44
	v_subrev_u32_e32 v52, 28, v44
	v_lshlrev_b64 v[52:53], v52, v[30:31]
	v_lshrrev_b32_e32 v42, 3, v23
	v_sub_u32_e32 v30, 29, v44
	v_and_b32_e32 v44, 7, v52
	v_cmp_gt_u32_e32 vcc, 8, v23
	v_cndmask_b32_e32 v23, v42, v30, vcc
	v_cndmask_b32_e32 v30, v40, v44, vcc
	v_lshlrev_b32_e32 v40, 16, v28
	v_lshlrev_b32_e32 v30, 20, v30
	v_and_b32_e32 v40, 0x80000000, v40
	v_lshl_add_u32 v23, v23, 23, v38
	v_or3_b32 v40, v40, v23, v30
.LBB617_75:                             ;   in Loop: Header=BB617_17 Depth=1
	s_or_b64 exec, exec, s[10:11]
.LBB617_76:                             ;   in Loop: Header=BB617_17 Depth=1
	s_or_b64 exec, exec, s[6:7]
.LBB617_77:                             ;   in Loop: Header=BB617_17 Depth=1
	s_or_b64 exec, exec, s[4:5]
	v_lshrrev_b32_e32 v30, 16, v28
	v_cmp_ne_u16_sdwa s[6:7], v30, v35 src0_sel:BYTE_0 src1_sel:DWORD
	s_and_saveexec_b64 s[4:5], s[6:7]
	s_cbranch_execz .LBB617_83
; %bb.78:                               ;   in Loop: Header=BB617_17 Depth=1
	v_cmp_ne_u16_sdwa s[10:11], v30, s13 src0_sel:BYTE_0 src1_sel:DWORD
	v_bfrev_b32_e32 v32, 1
	s_and_saveexec_b64 s[6:7], s[10:11]
	s_cbranch_execz .LBB617_82
; %bb.79:                               ;   in Loop: Header=BB617_17 Depth=1
	v_bfe_u32 v23, v28, 16, 7
	v_cmp_ne_u32_e32 vcc, s14, v23
	v_mov_b32_e32 v32, 0x7f800001
	s_and_saveexec_b64 s[10:11], vcc
	s_cbranch_execz .LBB617_81
; %bb.80:                               ;   in Loop: Header=BB617_17 Depth=1
	v_and_b32_e32 v32, 7, v30
	v_ffbh_u32_e32 v44, v32
	v_min_u32_e32 v44, 32, v44
	v_subrev_u32_e32 v52, 28, v44
	v_lshlrev_b64 v[52:53], v52, v[30:31]
	v_lshrrev_b32_e32 v42, 3, v23
	v_sub_u32_e32 v44, 29, v44
	v_and_b32_e32 v52, 7, v52
	v_cmp_gt_u32_e32 vcc, 8, v23
	v_cndmask_b32_e32 v23, v42, v44, vcc
	v_cndmask_b32_e32 v32, v32, v52, vcc
	v_lshlrev_b32_e32 v30, 24, v30
	v_lshlrev_b32_e32 v32, 20, v32
	v_and_b32_e32 v30, 0x80000000, v30
	v_lshl_add_u32 v23, v23, 23, v38
	v_or3_b32 v32, v30, v23, v32
.LBB617_81:                             ;   in Loop: Header=BB617_17 Depth=1
	s_or_b64 exec, exec, s[10:11]
.LBB617_82:                             ;   in Loop: Header=BB617_17 Depth=1
	s_or_b64 exec, exec, s[6:7]
.LBB617_83:                             ;   in Loop: Header=BB617_17 Depth=1
	s_or_b64 exec, exec, s[4:5]
	v_cmp_lt_u32_e32 vcc, s15, v28
	v_mov_b32_e32 v42, 0
	v_mov_b32_e32 v44, 0
	s_and_saveexec_b64 s[4:5], vcc
	s_cbranch_execz .LBB617_89
; %bb.84:                               ;   in Loop: Header=BB617_17 Depth=1
	v_lshrrev_b32_e32 v30, 24, v28
	v_cmp_ne_u32_e32 vcc, s13, v30
	v_bfrev_b32_e32 v44, 1
	s_and_saveexec_b64 s[6:7], vcc
	s_cbranch_execz .LBB617_88
; %bb.85:                               ;   in Loop: Header=BB617_17 Depth=1
	v_bfe_u32 v23, v28, 24, 7
	v_cmp_ne_u32_e32 vcc, s14, v23
	v_mov_b32_e32 v44, 0x7f800001
	s_and_saveexec_b64 s[10:11], vcc
	s_cbranch_execz .LBB617_87
; %bb.86:                               ;   in Loop: Header=BB617_17 Depth=1
	v_and_b32_e32 v28, 7, v30
	v_ffbh_u32_e32 v52, v28
	v_min_u32_e32 v54, 32, v52
	v_subrev_u32_e32 v52, 28, v54
	v_lshlrev_b64 v[52:53], v52, v[30:31]
	v_lshrrev_b32_e32 v44, 3, v23
	v_sub_u32_e32 v53, 29, v54
	v_and_b32_e32 v52, 7, v52
	v_cmp_gt_u32_e32 vcc, 8, v23
	v_cndmask_b32_e32 v23, v44, v53, vcc
	v_cndmask_b32_e32 v28, v28, v52, vcc
	v_lshlrev_b32_e32 v30, 24, v30
	v_lshlrev_b32_e32 v28, 20, v28
	v_and_b32_e32 v30, 0x80000000, v30
	v_lshl_add_u32 v23, v23, 23, v38
	v_or3_b32 v44, v30, v23, v28
.LBB617_87:                             ;   in Loop: Header=BB617_17 Depth=1
	s_or_b64 exec, exec, s[10:11]
.LBB617_88:                             ;   in Loop: Header=BB617_17 Depth=1
	s_or_b64 exec, exec, s[6:7]
.LBB617_89:                             ;   in Loop: Header=BB617_17 Depth=1
	s_or_b64 exec, exec, s[4:5]
	s_waitcnt vmcnt(0)
	v_cmp_ne_u16_sdwa s[6:7], v26, v35 src0_sel:BYTE_0 src1_sel:DWORD
	s_and_saveexec_b64 s[4:5], s[6:7]
	s_cbranch_execz .LBB617_95
; %bb.90:                               ;   in Loop: Header=BB617_17 Depth=1
	v_cmp_ne_u16_sdwa s[10:11], v26, s13 src0_sel:BYTE_0 src1_sel:DWORD
	v_bfrev_b32_e32 v42, 1
	s_and_saveexec_b64 s[6:7], s[10:11]
	s_cbranch_execz .LBB617_94
; %bb.91:                               ;   in Loop: Header=BB617_17 Depth=1
	v_and_b32_e32 v23, 0x7f, v26
	v_cmp_ne_u32_e32 vcc, s14, v23
	v_mov_b32_e32 v42, 0x7f800001
	s_and_saveexec_b64 s[10:11], vcc
	s_cbranch_execz .LBB617_93
; %bb.92:                               ;   in Loop: Header=BB617_17 Depth=1
	v_and_b32_e32 v28, 7, v26
	v_ffbh_u32_e32 v42, v28
	v_min_u32_e32 v42, 32, v42
	v_subrev_u32_e32 v52, 28, v42
	v_lshlrev_b64 v[52:53], v52, v[26:27]
	v_lshrrev_b32_e32 v30, 3, v23
	v_sub_u32_e32 v42, 29, v42
	v_and_b32_e32 v52, 7, v52
	v_cmp_gt_u32_e32 vcc, 8, v23
	v_cndmask_b32_e32 v23, v30, v42, vcc
	v_cndmask_b32_e32 v28, v28, v52, vcc
	v_lshlrev_b32_e32 v30, 24, v26
	v_lshlrev_b32_e32 v28, 20, v28
	v_and_b32_e32 v30, 0x80000000, v30
	v_lshl_add_u32 v23, v23, 23, v38
	v_or3_b32 v42, v30, v23, v28
.LBB617_93:                             ;   in Loop: Header=BB617_17 Depth=1
	s_or_b64 exec, exec, s[10:11]
.LBB617_94:                             ;   in Loop: Header=BB617_17 Depth=1
	s_or_b64 exec, exec, s[6:7]
.LBB617_95:                             ;   in Loop: Header=BB617_17 Depth=1
	s_or_b64 exec, exec, s[4:5]
	v_lshrrev_b16_e32 v28, 8, v26
	v_cmp_ne_u16_e32 vcc, 0, v28
	v_mov_b32_e32 v52, 0
	v_mov_b32_e32 v53, 0
	s_and_saveexec_b64 s[4:5], vcc
	s_cbranch_execz .LBB617_101
; %bb.96:                               ;   in Loop: Header=BB617_17 Depth=1
	v_cmp_ne_u16_e32 vcc, s13, v28
	v_bfrev_b32_e32 v53, 1
	s_and_saveexec_b64 s[6:7], vcc
	s_cbranch_execz .LBB617_100
; %bb.97:                               ;   in Loop: Header=BB617_17 Depth=1
	v_and_b32_e32 v23, 0x7f, v28
	v_cmp_ne_u32_e32 vcc, s14, v23
	v_mov_b32_e32 v53, 0x7f800001
	s_and_saveexec_b64 s[10:11], vcc
	s_cbranch_execz .LBB617_99
; %bb.98:                               ;   in Loop: Header=BB617_17 Depth=1
	v_and_b32_e32 v30, 7, v28
	v_ffbh_u32_e32 v54, v30
	v_min_u32_e32 v56, 32, v54
	v_subrev_u32_e32 v54, 28, v56
	v_lshlrev_b64 v[54:55], v54, v[28:29]
	v_lshrrev_b32_e32 v53, 3, v23
	v_sub_u32_e32 v28, 29, v56
	v_and_b32_e32 v54, 7, v54
	v_cmp_gt_u32_e32 vcc, 8, v23
	v_cndmask_b32_e32 v23, v53, v28, vcc
	v_cndmask_b32_e32 v28, v30, v54, vcc
	v_lshlrev_b32_e32 v30, 16, v26
	v_lshlrev_b32_e32 v28, 20, v28
	v_and_b32_e32 v30, 0x80000000, v30
	v_lshl_add_u32 v23, v23, 23, v38
	v_or3_b32 v53, v30, v23, v28
.LBB617_99:                             ;   in Loop: Header=BB617_17 Depth=1
	s_or_b64 exec, exec, s[10:11]
.LBB617_100:                            ;   in Loop: Header=BB617_17 Depth=1
	s_or_b64 exec, exec, s[6:7]
.LBB617_101:                            ;   in Loop: Header=BB617_17 Depth=1
	s_or_b64 exec, exec, s[4:5]
	v_lshrrev_b32_e32 v28, 16, v26
	v_cmp_ne_u16_sdwa s[6:7], v28, v35 src0_sel:BYTE_0 src1_sel:DWORD
	s_and_saveexec_b64 s[4:5], s[6:7]
	s_cbranch_execz .LBB617_107
; %bb.102:                              ;   in Loop: Header=BB617_17 Depth=1
	v_cmp_ne_u16_sdwa s[10:11], v28, s13 src0_sel:BYTE_0 src1_sel:DWORD
	v_bfrev_b32_e32 v52, 1
	s_and_saveexec_b64 s[6:7], s[10:11]
	s_cbranch_execz .LBB617_106
; %bb.103:                              ;   in Loop: Header=BB617_17 Depth=1
	v_bfe_u32 v23, v26, 16, 7
	v_cmp_ne_u32_e32 vcc, s14, v23
	v_mov_b32_e32 v52, 0x7f800001
	s_and_saveexec_b64 s[10:11], vcc
	s_cbranch_execz .LBB617_105
; %bb.104:                              ;   in Loop: Header=BB617_17 Depth=1
	v_and_b32_e32 v30, 7, v28
	v_ffbh_u32_e32 v54, v30
	v_min_u32_e32 v56, 32, v54
	v_subrev_u32_e32 v54, 28, v56
	v_lshlrev_b64 v[54:55], v54, v[28:29]
	v_lshrrev_b32_e32 v52, 3, v23
	v_sub_u32_e32 v55, 29, v56
	v_and_b32_e32 v54, 7, v54
	v_cmp_gt_u32_e32 vcc, 8, v23
	v_cndmask_b32_e32 v23, v52, v55, vcc
	v_cndmask_b32_e32 v30, v30, v54, vcc
	v_lshlrev_b32_e32 v28, 24, v28
	v_lshlrev_b32_e32 v30, 20, v30
	v_and_b32_e32 v28, 0x80000000, v28
	v_lshl_add_u32 v23, v23, 23, v38
	v_or3_b32 v52, v28, v23, v30
.LBB617_105:                            ;   in Loop: Header=BB617_17 Depth=1
	s_or_b64 exec, exec, s[10:11]
.LBB617_106:                            ;   in Loop: Header=BB617_17 Depth=1
	s_or_b64 exec, exec, s[6:7]
.LBB617_107:                            ;   in Loop: Header=BB617_17 Depth=1
	s_or_b64 exec, exec, s[4:5]
	v_cmp_lt_u32_e32 vcc, s15, v26
	v_mov_b32_e32 v23, 0
	v_mov_b32_e32 v54, 0
	s_and_saveexec_b64 s[4:5], vcc
	s_cbranch_execz .LBB617_113
; %bb.108:                              ;   in Loop: Header=BB617_17 Depth=1
	v_lshrrev_b32_e32 v28, 24, v26
	v_cmp_ne_u32_e32 vcc, s13, v28
	v_bfrev_b32_e32 v54, 1
	s_and_saveexec_b64 s[6:7], vcc
	s_cbranch_execz .LBB617_112
; %bb.109:                              ;   in Loop: Header=BB617_17 Depth=1
	v_bfe_u32 v26, v26, 24, 7
	v_cmp_ne_u32_e32 vcc, s14, v26
	v_mov_b32_e32 v54, 0x7f800001
	s_and_saveexec_b64 s[10:11], vcc
	s_cbranch_execz .LBB617_111
; %bb.110:                              ;   in Loop: Header=BB617_17 Depth=1
	v_and_b32_e32 v30, 7, v28
	v_ffbh_u32_e32 v54, v30
	v_min_u32_e32 v57, 32, v54
	v_subrev_u32_e32 v54, 28, v57
	v_lshlrev_b64 v[54:55], v54, v[28:29]
	v_lshrrev_b32_e32 v56, 3, v26
	v_sub_u32_e32 v55, 29, v57
	v_and_b32_e32 v54, 7, v54
	v_cmp_gt_u32_e32 vcc, 8, v26
	v_cndmask_b32_e32 v26, v56, v55, vcc
	v_cndmask_b32_e32 v30, v30, v54, vcc
	v_lshlrev_b32_e32 v28, 24, v28
	v_lshlrev_b32_e32 v30, 20, v30
	v_and_b32_e32 v28, 0x80000000, v28
	v_lshl_add_u32 v26, v26, 23, v38
	v_or3_b32 v54, v28, v26, v30
.LBB617_111:                            ;   in Loop: Header=BB617_17 Depth=1
	s_or_b64 exec, exec, s[10:11]
.LBB617_112:                            ;   in Loop: Header=BB617_17 Depth=1
	s_or_b64 exec, exec, s[6:7]
.LBB617_113:                            ;   in Loop: Header=BB617_17 Depth=1
	s_or_b64 exec, exec, s[4:5]
	v_cvt_pkrtz_f16_f32 v57, v32, v44
	buffer_load_dword v32, v36, s[0:3], 0 offen offset:16
	buffer_load_dword v30, v36, s[0:3], 0 offen offset:20
	;; [unrolled: 1-line block ×4, first 2 shown]
	v_cvt_pkrtz_f16_f32 v56, v34, v40
	s_waitcnt vmcnt(3)
	v_cmp_ne_u16_sdwa s[6:7], v32, v35 src0_sel:BYTE_0 src1_sel:DWORD
	v_mfma_f32_16x16x16f16 v[18:21], v[56:57], v[6:7], v[18:21]
	v_cvt_pkrtz_f16_f32 v56, v42, v53
	v_cvt_pkrtz_f16_f32 v57, v52, v54
	s_nop 1
	v_mfma_f32_16x16x16f16 v[18:21], v[56:57], v[8:9], v[18:21]
	s_and_saveexec_b64 s[4:5], s[6:7]
	s_cbranch_execz .LBB617_119
; %bb.114:                              ;   in Loop: Header=BB617_17 Depth=1
	v_cmp_ne_u16_sdwa s[10:11], v32, s13 src0_sel:BYTE_0 src1_sel:DWORD
	v_bfrev_b32_e32 v23, 1
	s_and_saveexec_b64 s[6:7], s[10:11]
	s_cbranch_execz .LBB617_118
; %bb.115:                              ;   in Loop: Header=BB617_17 Depth=1
	v_and_b32_e32 v34, 0x7f, v32
	v_cmp_ne_u32_e32 vcc, s14, v34
	v_mov_b32_e32 v23, 0x7f800001
	s_and_saveexec_b64 s[10:11], vcc
	s_cbranch_execz .LBB617_117
; %bb.116:                              ;   in Loop: Header=BB617_17 Depth=1
	v_and_b32_e32 v23, 7, v32
	v_ffbh_u32_e32 v42, v23
	v_min_u32_e32 v42, 32, v42
	v_subrev_u32_e32 v44, 28, v42
	v_lshlrev_b64 v[52:53], v44, v[32:33]
	v_lshrrev_b32_e32 v40, 3, v34
	v_sub_u32_e32 v42, 29, v42
	v_and_b32_e32 v44, 7, v52
	v_cmp_gt_u32_e32 vcc, 8, v34
	v_cndmask_b32_e32 v34, v40, v42, vcc
	v_cndmask_b32_e32 v23, v23, v44, vcc
	v_lshlrev_b32_e32 v40, 24, v32
	v_lshlrev_b32_e32 v23, 20, v23
	v_and_b32_e32 v40, 0x80000000, v40
	v_lshl_add_u32 v34, v34, 23, v38
	v_or3_b32 v23, v40, v34, v23
.LBB617_117:                            ;   in Loop: Header=BB617_17 Depth=1
	s_or_b64 exec, exec, s[10:11]
.LBB617_118:                            ;   in Loop: Header=BB617_17 Depth=1
	s_or_b64 exec, exec, s[6:7]
.LBB617_119:                            ;   in Loop: Header=BB617_17 Depth=1
	s_or_b64 exec, exec, s[4:5]
	v_lshrrev_b16_e32 v34, 8, v32
	v_cmp_ne_u16_e32 vcc, 0, v34
	v_mov_b32_e32 v40, 0
	v_mov_b32_e32 v42, 0
	s_and_saveexec_b64 s[4:5], vcc
	s_cbranch_execz .LBB617_125
; %bb.120:                              ;   in Loop: Header=BB617_17 Depth=1
	v_cmp_ne_u16_e32 vcc, s13, v34
	v_bfrev_b32_e32 v42, 1
	s_and_saveexec_b64 s[6:7], vcc
	s_cbranch_execz .LBB617_124
; %bb.121:                              ;   in Loop: Header=BB617_17 Depth=1
	v_and_b32_e32 v44, 0x7f, v34
	v_cmp_ne_u32_e32 vcc, s14, v44
	v_mov_b32_e32 v42, 0x7f800001
	s_and_saveexec_b64 s[10:11], vcc
	s_cbranch_execz .LBB617_123
; %bb.122:                              ;   in Loop: Header=BB617_17 Depth=1
	v_and_b32_e32 v42, 7, v34
	v_ffbh_u32_e32 v52, v42
	v_min_u32_e32 v55, 32, v52
	v_subrev_u32_e32 v52, 28, v55
	v_lshlrev_b64 v[52:53], v52, v[34:35]
	v_lshrrev_b32_e32 v54, 3, v44
	v_sub_u32_e32 v34, 29, v55
	v_and_b32_e32 v52, 7, v52
	v_cmp_gt_u32_e32 vcc, 8, v44
	v_cndmask_b32_e32 v34, v54, v34, vcc
	v_cndmask_b32_e32 v42, v42, v52, vcc
	v_lshlrev_b32_e32 v44, 16, v32
	v_lshlrev_b32_e32 v42, 20, v42
	v_and_b32_e32 v44, 0x80000000, v44
	v_lshl_add_u32 v34, v34, 23, v38
	v_or3_b32 v42, v44, v34, v42
.LBB617_123:                            ;   in Loop: Header=BB617_17 Depth=1
	s_or_b64 exec, exec, s[10:11]
.LBB617_124:                            ;   in Loop: Header=BB617_17 Depth=1
	s_or_b64 exec, exec, s[6:7]
.LBB617_125:                            ;   in Loop: Header=BB617_17 Depth=1
	s_or_b64 exec, exec, s[4:5]
	v_lshrrev_b32_e32 v34, 16, v32
	v_cmp_ne_u16_sdwa s[6:7], v34, v35 src0_sel:BYTE_0 src1_sel:DWORD
	s_and_saveexec_b64 s[4:5], s[6:7]
	s_cbranch_execz .LBB617_131
; %bb.126:                              ;   in Loop: Header=BB617_17 Depth=1
	v_cmp_ne_u16_sdwa s[10:11], v34, s13 src0_sel:BYTE_0 src1_sel:DWORD
	v_bfrev_b32_e32 v40, 1
	s_and_saveexec_b64 s[6:7], s[10:11]
	s_cbranch_execz .LBB617_130
; %bb.127:                              ;   in Loop: Header=BB617_17 Depth=1
	v_bfe_u32 v44, v32, 16, 7
	v_cmp_ne_u32_e32 vcc, s14, v44
	v_mov_b32_e32 v40, 0x7f800001
	s_and_saveexec_b64 s[10:11], vcc
	s_cbranch_execz .LBB617_129
; %bb.128:                              ;   in Loop: Header=BB617_17 Depth=1
	v_and_b32_e32 v40, 7, v34
	v_ffbh_u32_e32 v52, v40
	v_min_u32_e32 v55, 32, v52
	v_subrev_u32_e32 v52, 28, v55
	v_lshlrev_b64 v[52:53], v52, v[34:35]
	v_lshrrev_b32_e32 v54, 3, v44
	v_sub_u32_e32 v53, 29, v55
	v_and_b32_e32 v52, 7, v52
	v_cmp_gt_u32_e32 vcc, 8, v44
	v_cndmask_b32_e32 v44, v54, v53, vcc
	v_cndmask_b32_e32 v40, v40, v52, vcc
	v_lshlrev_b32_e32 v34, 24, v34
	v_lshlrev_b32_e32 v40, 20, v40
	v_and_b32_e32 v34, 0x80000000, v34
	v_lshl_add_u32 v44, v44, 23, v38
	v_or3_b32 v40, v34, v44, v40
.LBB617_129:                            ;   in Loop: Header=BB617_17 Depth=1
	s_or_b64 exec, exec, s[10:11]
.LBB617_130:                            ;   in Loop: Header=BB617_17 Depth=1
	s_or_b64 exec, exec, s[6:7]
.LBB617_131:                            ;   in Loop: Header=BB617_17 Depth=1
	s_or_b64 exec, exec, s[4:5]
	v_cmp_lt_u32_e32 vcc, s15, v32
	v_mov_b32_e32 v44, 0
	v_mov_b32_e32 v52, 0
	s_and_saveexec_b64 s[4:5], vcc
	s_cbranch_execz .LBB617_137
; %bb.132:                              ;   in Loop: Header=BB617_17 Depth=1
	v_lshrrev_b32_e32 v34, 24, v32
	v_cmp_ne_u32_e32 vcc, s13, v34
	v_bfrev_b32_e32 v52, 1
	s_and_saveexec_b64 s[6:7], vcc
	s_cbranch_execz .LBB617_136
; %bb.133:                              ;   in Loop: Header=BB617_17 Depth=1
	v_bfe_u32 v32, v32, 24, 7
	v_cmp_ne_u32_e32 vcc, s14, v32
	v_mov_b32_e32 v52, 0x7f800001
	s_and_saveexec_b64 s[10:11], vcc
	s_cbranch_execz .LBB617_135
; %bb.134:                              ;   in Loop: Header=BB617_17 Depth=1
	v_and_b32_e32 v54, 7, v34
	v_ffbh_u32_e32 v52, v54
	v_min_u32_e32 v56, 32, v52
	v_subrev_u32_e32 v52, 28, v56
	v_lshlrev_b64 v[52:53], v52, v[34:35]
	v_lshrrev_b32_e32 v55, 3, v32
	v_sub_u32_e32 v53, 29, v56
	v_and_b32_e32 v52, 7, v52
	v_cmp_gt_u32_e32 vcc, 8, v32
	v_cndmask_b32_e32 v32, v55, v53, vcc
	v_cndmask_b32_e32 v52, v54, v52, vcc
	v_lshlrev_b32_e32 v34, 24, v34
	v_lshlrev_b32_e32 v52, 20, v52
	v_and_b32_e32 v34, 0x80000000, v34
	v_lshl_add_u32 v32, v32, 23, v38
	v_or3_b32 v52, v34, v32, v52
.LBB617_135:                            ;   in Loop: Header=BB617_17 Depth=1
	s_or_b64 exec, exec, s[10:11]
.LBB617_136:                            ;   in Loop: Header=BB617_17 Depth=1
	s_or_b64 exec, exec, s[6:7]
.LBB617_137:                            ;   in Loop: Header=BB617_17 Depth=1
	s_or_b64 exec, exec, s[4:5]
	s_waitcnt vmcnt(2)
	v_cmp_ne_u16_sdwa s[6:7], v30, v35 src0_sel:BYTE_0 src1_sel:DWORD
	s_and_saveexec_b64 s[4:5], s[6:7]
	s_cbranch_execz .LBB617_143
; %bb.138:                              ;   in Loop: Header=BB617_17 Depth=1
	v_cmp_ne_u16_sdwa s[10:11], v30, s13 src0_sel:BYTE_0 src1_sel:DWORD
	v_bfrev_b32_e32 v44, 1
	s_and_saveexec_b64 s[6:7], s[10:11]
	s_cbranch_execz .LBB617_142
; %bb.139:                              ;   in Loop: Header=BB617_17 Depth=1
	v_and_b32_e32 v32, 0x7f, v30
	v_cmp_ne_u32_e32 vcc, s14, v32
	v_mov_b32_e32 v44, 0x7f800001
	s_and_saveexec_b64 s[10:11], vcc
	s_cbranch_execz .LBB617_141
; %bb.140:                              ;   in Loop: Header=BB617_17 Depth=1
	v_and_b32_e32 v34, 7, v30
	v_ffbh_u32_e32 v53, v34
	v_min_u32_e32 v53, 32, v53
	v_subrev_u32_e32 v54, 28, v53
	v_lshlrev_b64 v[54:55], v54, v[30:31]
	v_lshrrev_b32_e32 v44, 3, v32
	v_sub_u32_e32 v53, 29, v53
	v_and_b32_e32 v54, 7, v54
	v_cmp_gt_u32_e32 vcc, 8, v32
	v_cndmask_b32_e32 v32, v44, v53, vcc
	v_cndmask_b32_e32 v34, v34, v54, vcc
	v_lshlrev_b32_e32 v44, 24, v30
	v_lshlrev_b32_e32 v34, 20, v34
	v_and_b32_e32 v44, 0x80000000, v44
	v_lshl_add_u32 v32, v32, 23, v38
	v_or3_b32 v44, v44, v32, v34
.LBB617_141:                            ;   in Loop: Header=BB617_17 Depth=1
	s_or_b64 exec, exec, s[10:11]
.LBB617_142:                            ;   in Loop: Header=BB617_17 Depth=1
	s_or_b64 exec, exec, s[6:7]
.LBB617_143:                            ;   in Loop: Header=BB617_17 Depth=1
	s_or_b64 exec, exec, s[4:5]
	v_lshrrev_b16_e32 v32, 8, v30
	v_cmp_ne_u16_e32 vcc, 0, v32
	v_mov_b32_e32 v53, 0
	v_mov_b32_e32 v54, 0
	s_and_saveexec_b64 s[4:5], vcc
	s_cbranch_execz .LBB617_149
; %bb.144:                              ;   in Loop: Header=BB617_17 Depth=1
	v_cmp_ne_u16_e32 vcc, s13, v32
	v_bfrev_b32_e32 v54, 1
	s_and_saveexec_b64 s[6:7], vcc
	s_cbranch_execz .LBB617_148
; %bb.145:                              ;   in Loop: Header=BB617_17 Depth=1
	v_and_b32_e32 v34, 0x7f, v32
	v_cmp_ne_u32_e32 vcc, s14, v34
	v_mov_b32_e32 v54, 0x7f800001
	s_and_saveexec_b64 s[10:11], vcc
	s_cbranch_execz .LBB617_147
; %bb.146:                              ;   in Loop: Header=BB617_17 Depth=1
	v_and_b32_e32 v56, 7, v32
	v_ffbh_u32_e32 v54, v56
	v_min_u32_e32 v58, 32, v54
	v_subrev_u32_e32 v54, 28, v58
	v_lshlrev_b64 v[54:55], v54, v[32:33]
	v_lshrrev_b32_e32 v57, 3, v34
	v_sub_u32_e32 v32, 29, v58
	v_and_b32_e32 v54, 7, v54
	v_cmp_gt_u32_e32 vcc, 8, v34
	v_cndmask_b32_e32 v32, v57, v32, vcc
	v_cndmask_b32_e32 v34, v56, v54, vcc
	v_lshlrev_b32_e32 v54, 16, v30
	v_lshlrev_b32_e32 v34, 20, v34
	v_and_b32_e32 v54, 0x80000000, v54
	v_lshl_add_u32 v32, v32, 23, v38
	v_or3_b32 v54, v54, v32, v34
.LBB617_147:                            ;   in Loop: Header=BB617_17 Depth=1
	s_or_b64 exec, exec, s[10:11]
.LBB617_148:                            ;   in Loop: Header=BB617_17 Depth=1
	s_or_b64 exec, exec, s[6:7]
.LBB617_149:                            ;   in Loop: Header=BB617_17 Depth=1
	s_or_b64 exec, exec, s[4:5]
	v_lshrrev_b32_e32 v32, 16, v30
	v_cmp_ne_u16_sdwa s[6:7], v32, v35 src0_sel:BYTE_0 src1_sel:DWORD
	s_and_saveexec_b64 s[4:5], s[6:7]
	s_cbranch_execz .LBB617_155
; %bb.150:                              ;   in Loop: Header=BB617_17 Depth=1
	v_cmp_ne_u16_sdwa s[10:11], v32, s13 src0_sel:BYTE_0 src1_sel:DWORD
	v_bfrev_b32_e32 v53, 1
	s_and_saveexec_b64 s[6:7], s[10:11]
	s_cbranch_execz .LBB617_154
; %bb.151:                              ;   in Loop: Header=BB617_17 Depth=1
	v_bfe_u32 v34, v30, 16, 7
	v_cmp_ne_u32_e32 vcc, s14, v34
	v_mov_b32_e32 v53, 0x7f800001
	s_and_saveexec_b64 s[10:11], vcc
	s_cbranch_execz .LBB617_153
; %bb.152:                              ;   in Loop: Header=BB617_17 Depth=1
	v_and_b32_e32 v53, 7, v32
	v_ffbh_u32_e32 v56, v53
	v_min_u32_e32 v58, 32, v56
	v_subrev_u32_e32 v56, 28, v58
	v_lshlrev_b64 v[56:57], v56, v[32:33]
	v_lshrrev_b32_e32 v55, 3, v34
	v_sub_u32_e32 v57, 29, v58
	v_and_b32_e32 v56, 7, v56
	v_cmp_gt_u32_e32 vcc, 8, v34
	v_cndmask_b32_e32 v34, v55, v57, vcc
	v_cndmask_b32_e32 v53, v53, v56, vcc
	v_lshlrev_b32_e32 v32, 24, v32
	v_lshlrev_b32_e32 v53, 20, v53
	v_and_b32_e32 v32, 0x80000000, v32
	v_lshl_add_u32 v34, v34, 23, v38
	v_or3_b32 v53, v32, v34, v53
.LBB617_153:                            ;   in Loop: Header=BB617_17 Depth=1
	s_or_b64 exec, exec, s[10:11]
.LBB617_154:                            ;   in Loop: Header=BB617_17 Depth=1
	s_or_b64 exec, exec, s[6:7]
.LBB617_155:                            ;   in Loop: Header=BB617_17 Depth=1
	s_or_b64 exec, exec, s[4:5]
	v_cmp_lt_u32_e32 vcc, s15, v30
	v_mov_b32_e32 v34, 0
	v_mov_b32_e32 v55, 0
	s_and_saveexec_b64 s[4:5], vcc
	s_cbranch_execz .LBB617_161
; %bb.156:                              ;   in Loop: Header=BB617_17 Depth=1
	v_lshrrev_b32_e32 v32, 24, v30
	v_cmp_ne_u32_e32 vcc, s13, v32
	v_bfrev_b32_e32 v55, 1
	s_and_saveexec_b64 s[6:7], vcc
	s_cbranch_execz .LBB617_160
; %bb.157:                              ;   in Loop: Header=BB617_17 Depth=1
	v_bfe_u32 v30, v30, 24, 7
	v_cmp_ne_u32_e32 vcc, s14, v30
	v_mov_b32_e32 v55, 0x7f800001
	s_and_saveexec_b64 s[10:11], vcc
	s_cbranch_execz .LBB617_159
; %bb.158:                              ;   in Loop: Header=BB617_17 Depth=1
	v_and_b32_e32 v55, 7, v32
	v_ffbh_u32_e32 v56, v55
	v_min_u32_e32 v59, 32, v56
	v_subrev_u32_e32 v56, 28, v59
	v_lshlrev_b64 v[56:57], v56, v[32:33]
	v_lshrrev_b32_e32 v58, 3, v30
	v_sub_u32_e32 v57, 29, v59
	v_and_b32_e32 v56, 7, v56
	v_cmp_gt_u32_e32 vcc, 8, v30
	v_cndmask_b32_e32 v30, v58, v57, vcc
	v_cndmask_b32_e32 v55, v55, v56, vcc
	v_lshlrev_b32_e32 v32, 24, v32
	v_lshlrev_b32_e32 v55, 20, v55
	v_and_b32_e32 v32, 0x80000000, v32
	v_lshl_add_u32 v30, v30, 23, v38
	v_or3_b32 v55, v32, v30, v55
.LBB617_159:                            ;   in Loop: Header=BB617_17 Depth=1
	s_or_b64 exec, exec, s[10:11]
.LBB617_160:                            ;   in Loop: Header=BB617_17 Depth=1
	s_or_b64 exec, exec, s[6:7]
.LBB617_161:                            ;   in Loop: Header=BB617_17 Depth=1
	s_or_b64 exec, exec, s[4:5]
	v_cvt_pkrtz_f16_f32 v56, v23, v42
	v_cvt_pkrtz_f16_f32 v57, v40, v52
	;; [unrolled: 1-line block ×4, first 2 shown]
	s_waitcnt vmcnt(1)
	v_cmp_ne_u16_sdwa s[6:7], v28, v35 src0_sel:BYTE_0 src1_sel:DWORD
	v_mfma_f32_16x16x16f16 v[18:21], v[56:57], v[10:11], v[18:21]
	v_mfma_f32_16x16x16f16 v[18:21], v[52:53], v[12:13], v[18:21]
	s_and_saveexec_b64 s[4:5], s[6:7]
	s_cbranch_execz .LBB617_167
; %bb.162:                              ;   in Loop: Header=BB617_17 Depth=1
	v_cmp_ne_u16_sdwa s[10:11], v28, s13 src0_sel:BYTE_0 src1_sel:DWORD
	v_bfrev_b32_e32 v34, 1
	s_and_saveexec_b64 s[6:7], s[10:11]
	s_cbranch_execz .LBB617_166
; %bb.163:                              ;   in Loop: Header=BB617_17 Depth=1
	v_and_b32_e32 v23, 0x7f, v28
	v_cmp_ne_u32_e32 vcc, s14, v23
	v_mov_b32_e32 v34, 0x7f800001
	s_and_saveexec_b64 s[10:11], vcc
	s_cbranch_execz .LBB617_165
; %bb.164:                              ;   in Loop: Header=BB617_17 Depth=1
	v_and_b32_e32 v30, 7, v28
	v_ffbh_u32_e32 v34, v30
	v_min_u32_e32 v34, 32, v34
	v_subrev_u32_e32 v40, 28, v34
	v_lshlrev_b64 v[52:53], v40, v[28:29]
	v_lshrrev_b32_e32 v32, 3, v23
	v_sub_u32_e32 v34, 29, v34
	v_and_b32_e32 v40, 7, v52
	v_cmp_gt_u32_e32 vcc, 8, v23
	v_cndmask_b32_e32 v23, v32, v34, vcc
	v_cndmask_b32_e32 v30, v30, v40, vcc
	v_lshlrev_b32_e32 v32, 24, v28
	v_lshlrev_b32_e32 v30, 20, v30
	v_and_b32_e32 v32, 0x80000000, v32
	v_lshl_add_u32 v23, v23, 23, v38
	v_or3_b32 v34, v32, v23, v30
.LBB617_165:                            ;   in Loop: Header=BB617_17 Depth=1
	s_or_b64 exec, exec, s[10:11]
.LBB617_166:                            ;   in Loop: Header=BB617_17 Depth=1
	s_or_b64 exec, exec, s[6:7]
.LBB617_167:                            ;   in Loop: Header=BB617_17 Depth=1
	s_or_b64 exec, exec, s[4:5]
	v_lshrrev_b16_e32 v30, 8, v28
	v_cmp_ne_u16_e32 vcc, 0, v30
	v_mov_b32_e32 v23, 0
	v_mov_b32_e32 v32, 0
	s_and_saveexec_b64 s[4:5], vcc
	s_cbranch_execz .LBB617_173
; %bb.168:                              ;   in Loop: Header=BB617_17 Depth=1
	v_cmp_ne_u16_e32 vcc, s13, v30
	v_bfrev_b32_e32 v32, 1
	s_and_saveexec_b64 s[6:7], vcc
	s_cbranch_execz .LBB617_172
; %bb.169:                              ;   in Loop: Header=BB617_17 Depth=1
	v_and_b32_e32 v40, 0x7f, v30
	v_cmp_ne_u32_e32 vcc, s14, v40
	v_mov_b32_e32 v32, 0x7f800001
	s_and_saveexec_b64 s[10:11], vcc
	s_cbranch_execz .LBB617_171
; %bb.170:                              ;   in Loop: Header=BB617_17 Depth=1
	v_and_b32_e32 v32, 7, v30
	v_ffbh_u32_e32 v44, v32
	v_min_u32_e32 v44, 32, v44
	v_subrev_u32_e32 v52, 28, v44
	v_lshlrev_b64 v[52:53], v52, v[30:31]
	v_lshrrev_b32_e32 v42, 3, v40
	v_sub_u32_e32 v30, 29, v44
	v_and_b32_e32 v44, 7, v52
	v_cmp_gt_u32_e32 vcc, 8, v40
	v_cndmask_b32_e32 v30, v42, v30, vcc
	v_cndmask_b32_e32 v32, v32, v44, vcc
	v_lshlrev_b32_e32 v40, 16, v28
	v_lshlrev_b32_e32 v32, 20, v32
	v_and_b32_e32 v40, 0x80000000, v40
	v_lshl_add_u32 v30, v30, 23, v38
	v_or3_b32 v32, v40, v30, v32
.LBB617_171:                            ;   in Loop: Header=BB617_17 Depth=1
	s_or_b64 exec, exec, s[10:11]
.LBB617_172:                            ;   in Loop: Header=BB617_17 Depth=1
	s_or_b64 exec, exec, s[6:7]
.LBB617_173:                            ;   in Loop: Header=BB617_17 Depth=1
	s_or_b64 exec, exec, s[4:5]
	v_lshrrev_b32_e32 v30, 16, v28
	v_cmp_ne_u16_sdwa s[6:7], v30, v35 src0_sel:BYTE_0 src1_sel:DWORD
	s_and_saveexec_b64 s[4:5], s[6:7]
	s_cbranch_execz .LBB617_179
; %bb.174:                              ;   in Loop: Header=BB617_17 Depth=1
	v_cmp_ne_u16_sdwa s[10:11], v30, s13 src0_sel:BYTE_0 src1_sel:DWORD
	v_bfrev_b32_e32 v23, 1
	s_and_saveexec_b64 s[6:7], s[10:11]
	s_cbranch_execz .LBB617_178
; %bb.175:                              ;   in Loop: Header=BB617_17 Depth=1
	v_bfe_u32 v40, v28, 16, 7
	v_cmp_ne_u32_e32 vcc, s14, v40
	v_mov_b32_e32 v23, 0x7f800001
	s_and_saveexec_b64 s[10:11], vcc
	s_cbranch_execz .LBB617_177
; %bb.176:                              ;   in Loop: Header=BB617_17 Depth=1
	v_and_b32_e32 v23, 7, v30
	v_ffbh_u32_e32 v44, v23
	v_min_u32_e32 v44, 32, v44
	v_subrev_u32_e32 v52, 28, v44
	v_lshlrev_b64 v[52:53], v52, v[30:31]
	v_lshrrev_b32_e32 v42, 3, v40
	v_sub_u32_e32 v44, 29, v44
	v_and_b32_e32 v52, 7, v52
	v_cmp_gt_u32_e32 vcc, 8, v40
	v_cndmask_b32_e32 v40, v42, v44, vcc
	v_cndmask_b32_e32 v23, v23, v52, vcc
	v_lshlrev_b32_e32 v30, 24, v30
	v_lshlrev_b32_e32 v23, 20, v23
	v_and_b32_e32 v30, 0x80000000, v30
	v_lshl_add_u32 v40, v40, 23, v38
	v_or3_b32 v23, v30, v40, v23
.LBB617_177:                            ;   in Loop: Header=BB617_17 Depth=1
	s_or_b64 exec, exec, s[10:11]
.LBB617_178:                            ;   in Loop: Header=BB617_17 Depth=1
	s_or_b64 exec, exec, s[6:7]
.LBB617_179:                            ;   in Loop: Header=BB617_17 Depth=1
	s_or_b64 exec, exec, s[4:5]
	v_cmp_lt_u32_e32 vcc, s15, v28
	v_mov_b32_e32 v40, 0
	v_mov_b32_e32 v42, 0
	s_and_saveexec_b64 s[4:5], vcc
	s_cbranch_execz .LBB617_185
; %bb.180:                              ;   in Loop: Header=BB617_17 Depth=1
	v_lshrrev_b32_e32 v30, 24, v28
	v_cmp_ne_u32_e32 vcc, s13, v30
	v_bfrev_b32_e32 v42, 1
	s_and_saveexec_b64 s[6:7], vcc
	s_cbranch_execz .LBB617_184
; %bb.181:                              ;   in Loop: Header=BB617_17 Depth=1
	v_bfe_u32 v28, v28, 24, 7
	v_cmp_ne_u32_e32 vcc, s14, v28
	v_mov_b32_e32 v42, 0x7f800001
	s_and_saveexec_b64 s[10:11], vcc
	s_cbranch_execz .LBB617_183
; %bb.182:                              ;   in Loop: Header=BB617_17 Depth=1
	v_and_b32_e32 v42, 7, v30
	v_ffbh_u32_e32 v52, v42
	v_min_u32_e32 v54, 32, v52
	v_subrev_u32_e32 v52, 28, v54
	v_lshlrev_b64 v[52:53], v52, v[30:31]
	v_lshrrev_b32_e32 v44, 3, v28
	v_sub_u32_e32 v53, 29, v54
	v_and_b32_e32 v52, 7, v52
	v_cmp_gt_u32_e32 vcc, 8, v28
	v_cndmask_b32_e32 v28, v44, v53, vcc
	v_cndmask_b32_e32 v42, v42, v52, vcc
	v_lshlrev_b32_e32 v30, 24, v30
	v_lshlrev_b32_e32 v42, 20, v42
	v_and_b32_e32 v30, 0x80000000, v30
	v_lshl_add_u32 v28, v28, 23, v38
	v_or3_b32 v42, v30, v28, v42
.LBB617_183:                            ;   in Loop: Header=BB617_17 Depth=1
	s_or_b64 exec, exec, s[10:11]
.LBB617_184:                            ;   in Loop: Header=BB617_17 Depth=1
	s_or_b64 exec, exec, s[6:7]
.LBB617_185:                            ;   in Loop: Header=BB617_17 Depth=1
	s_or_b64 exec, exec, s[4:5]
	s_waitcnt vmcnt(0)
	v_cmp_ne_u16_sdwa s[6:7], v26, v35 src0_sel:BYTE_0 src1_sel:DWORD
	s_and_saveexec_b64 s[4:5], s[6:7]
	s_cbranch_execz .LBB617_191
; %bb.186:                              ;   in Loop: Header=BB617_17 Depth=1
	v_cmp_ne_u16_sdwa s[10:11], v26, s13 src0_sel:BYTE_0 src1_sel:DWORD
	v_bfrev_b32_e32 v40, 1
	s_and_saveexec_b64 s[6:7], s[10:11]
	s_cbranch_execz .LBB617_190
; %bb.187:                              ;   in Loop: Header=BB617_17 Depth=1
	v_and_b32_e32 v28, 0x7f, v26
	v_cmp_ne_u32_e32 vcc, s14, v28
	v_mov_b32_e32 v40, 0x7f800001
	s_and_saveexec_b64 s[10:11], vcc
	s_cbranch_execz .LBB617_189
; %bb.188:                              ;   in Loop: Header=BB617_17 Depth=1
	v_and_b32_e32 v30, 7, v26
	v_ffbh_u32_e32 v44, v30
	v_min_u32_e32 v44, 32, v44
	v_subrev_u32_e32 v52, 28, v44
	v_lshlrev_b64 v[52:53], v52, v[26:27]
	v_lshrrev_b32_e32 v40, 3, v28
	v_sub_u32_e32 v44, 29, v44
	v_and_b32_e32 v52, 7, v52
	v_cmp_gt_u32_e32 vcc, 8, v28
	v_cndmask_b32_e32 v28, v40, v44, vcc
	v_cndmask_b32_e32 v30, v30, v52, vcc
	v_lshlrev_b32_e32 v40, 24, v26
	v_lshlrev_b32_e32 v30, 20, v30
	v_and_b32_e32 v40, 0x80000000, v40
	v_lshl_add_u32 v28, v28, 23, v38
	v_or3_b32 v40, v40, v28, v30
.LBB617_189:                            ;   in Loop: Header=BB617_17 Depth=1
	s_or_b64 exec, exec, s[10:11]
.LBB617_190:                            ;   in Loop: Header=BB617_17 Depth=1
	s_or_b64 exec, exec, s[6:7]
.LBB617_191:                            ;   in Loop: Header=BB617_17 Depth=1
	s_or_b64 exec, exec, s[4:5]
	v_lshrrev_b16_e32 v28, 8, v26
	v_cmp_ne_u16_e32 vcc, 0, v28
	v_mov_b32_e32 v30, 0
	v_mov_b32_e32 v44, 0
	s_and_saveexec_b64 s[4:5], vcc
	s_cbranch_execz .LBB617_197
; %bb.192:                              ;   in Loop: Header=BB617_17 Depth=1
	v_cmp_ne_u16_e32 vcc, s13, v28
	v_bfrev_b32_e32 v44, 1
	s_and_saveexec_b64 s[6:7], vcc
	s_cbranch_execz .LBB617_196
; %bb.193:                              ;   in Loop: Header=BB617_17 Depth=1
	v_and_b32_e32 v52, 0x7f, v28
	v_cmp_ne_u32_e32 vcc, s14, v52
	v_mov_b32_e32 v44, 0x7f800001
	s_and_saveexec_b64 s[10:11], vcc
	s_cbranch_execz .LBB617_195
; %bb.194:                              ;   in Loop: Header=BB617_17 Depth=1
	v_and_b32_e32 v44, 7, v28
	v_ffbh_u32_e32 v54, v44
	v_min_u32_e32 v56, 32, v54
	v_subrev_u32_e32 v54, 28, v56
	v_lshlrev_b64 v[54:55], v54, v[28:29]
	v_lshrrev_b32_e32 v53, 3, v52
	v_sub_u32_e32 v28, 29, v56
	v_and_b32_e32 v54, 7, v54
	v_cmp_gt_u32_e32 vcc, 8, v52
	v_cndmask_b32_e32 v28, v53, v28, vcc
	v_cndmask_b32_e32 v44, v44, v54, vcc
	v_lshlrev_b32_e32 v52, 16, v26
	v_lshlrev_b32_e32 v44, 20, v44
	v_and_b32_e32 v52, 0x80000000, v52
	v_lshl_add_u32 v28, v28, 23, v38
	v_or3_b32 v44, v52, v28, v44
.LBB617_195:                            ;   in Loop: Header=BB617_17 Depth=1
	s_or_b64 exec, exec, s[10:11]
.LBB617_196:                            ;   in Loop: Header=BB617_17 Depth=1
	s_or_b64 exec, exec, s[6:7]
.LBB617_197:                            ;   in Loop: Header=BB617_17 Depth=1
	s_or_b64 exec, exec, s[4:5]
	v_lshrrev_b32_e32 v28, 16, v26
	v_cmp_ne_u16_sdwa s[6:7], v28, v35 src0_sel:BYTE_0 src1_sel:DWORD
	s_and_saveexec_b64 s[4:5], s[6:7]
	s_cbranch_execz .LBB617_203
; %bb.198:                              ;   in Loop: Header=BB617_17 Depth=1
	v_cmp_ne_u16_sdwa s[10:11], v28, s13 src0_sel:BYTE_0 src1_sel:DWORD
	v_bfrev_b32_e32 v30, 1
	s_and_saveexec_b64 s[6:7], s[10:11]
	s_cbranch_execz .LBB617_202
; %bb.199:                              ;   in Loop: Header=BB617_17 Depth=1
	v_bfe_u32 v52, v26, 16, 7
	v_cmp_ne_u32_e32 vcc, s14, v52
	v_mov_b32_e32 v30, 0x7f800001
	s_and_saveexec_b64 s[10:11], vcc
	s_cbranch_execz .LBB617_201
; %bb.200:                              ;   in Loop: Header=BB617_17 Depth=1
	v_and_b32_e32 v30, 7, v28
	v_ffbh_u32_e32 v54, v30
	v_min_u32_e32 v56, 32, v54
	v_subrev_u32_e32 v54, 28, v56
	v_lshlrev_b64 v[54:55], v54, v[28:29]
	v_lshrrev_b32_e32 v53, 3, v52
	v_sub_u32_e32 v55, 29, v56
	v_and_b32_e32 v54, 7, v54
	v_cmp_gt_u32_e32 vcc, 8, v52
	v_cndmask_b32_e32 v52, v53, v55, vcc
	v_cndmask_b32_e32 v30, v30, v54, vcc
	v_lshlrev_b32_e32 v28, 24, v28
	v_lshlrev_b32_e32 v30, 20, v30
	v_and_b32_e32 v28, 0x80000000, v28
	v_lshl_add_u32 v52, v52, 23, v38
	v_or3_b32 v30, v28, v52, v30
.LBB617_201:                            ;   in Loop: Header=BB617_17 Depth=1
	s_or_b64 exec, exec, s[10:11]
.LBB617_202:                            ;   in Loop: Header=BB617_17 Depth=1
	s_or_b64 exec, exec, s[6:7]
.LBB617_203:                            ;   in Loop: Header=BB617_17 Depth=1
	s_or_b64 exec, exec, s[4:5]
	v_cmp_lt_u32_e32 vcc, s15, v26
	v_mov_b32_e32 v52, 0
	s_and_saveexec_b64 s[4:5], vcc
	s_cbranch_execz .LBB617_16
; %bb.204:                              ;   in Loop: Header=BB617_17 Depth=1
	v_lshrrev_b32_e32 v28, 24, v26
	v_cmp_ne_u32_e32 vcc, s13, v28
	v_bfrev_b32_e32 v52, 1
	s_and_saveexec_b64 s[6:7], vcc
	s_cbranch_execz .LBB617_15
; %bb.205:                              ;   in Loop: Header=BB617_17 Depth=1
	v_bfe_u32 v26, v26, 24, 7
	v_cmp_ne_u32_e32 vcc, s14, v26
	v_mov_b32_e32 v52, 0x7f800001
	s_and_saveexec_b64 s[10:11], vcc
	s_cbranch_execz .LBB617_14
; %bb.206:                              ;   in Loop: Header=BB617_17 Depth=1
	v_and_b32_e32 v54, 7, v28
	v_ffbh_u32_e32 v52, v54
	v_min_u32_e32 v56, 32, v52
	v_subrev_u32_e32 v52, 28, v56
	v_lshlrev_b64 v[52:53], v52, v[28:29]
	v_lshrrev_b32_e32 v55, 3, v26
	v_sub_u32_e32 v53, 29, v56
	v_and_b32_e32 v52, 7, v52
	v_cmp_gt_u32_e32 vcc, 8, v26
	v_cndmask_b32_e32 v26, v55, v53, vcc
	v_cndmask_b32_e32 v52, v54, v52, vcc
	v_lshlrev_b32_e32 v28, 24, v28
	v_lshlrev_b32_e32 v52, 20, v52
	v_and_b32_e32 v28, 0x80000000, v28
	v_lshl_add_u32 v26, v26, 23, v38
	v_or3_b32 v52, v28, v26, v52
	s_branch .LBB617_14
.LBB617_207:
	buffer_load_dword v17, off, s[0:3], 0 offset:256
	buffer_load_dword v16, off, s[0:3], 0 offset:260
	buffer_load_dword v15, off, s[0:3], 0 offset:264
	buffer_load_dword v14, off, s[0:3], 0 offset:268
	buffer_load_dword v13, off, s[0:3], 0 offset:272
	buffer_load_dword v12, off, s[0:3], 0 offset:276
	buffer_load_dword v11, off, s[0:3], 0 offset:280
	buffer_load_dword v10, off, s[0:3], 0 offset:284
	buffer_load_dword v9, off, s[0:3], 0 offset:288
	buffer_load_dword v8, off, s[0:3], 0 offset:292
	buffer_load_dword v7, off, s[0:3], 0 offset:296
	buffer_load_dword v6, off, s[0:3], 0 offset:300
	buffer_load_dword v5, off, s[0:3], 0 offset:304
	buffer_load_dword v4, off, s[0:3], 0 offset:308
	buffer_load_dword v3, off, s[0:3], 0 offset:312
	buffer_load_dword v2, off, s[0:3], 0 offset:316
	v_and_b32_e32 v18, 0xc0, v0
	v_add_u32_e32 v18, s20, v18
	v_lshl_or_b32 v18, v1, 2, v18
	v_or_b32_e32 v20, 1, v18
	v_subrev_u32_e32 v24, s33, v20
	v_add_u32_e32 v26, 1, v24
	v_cvt_f32_i32_e32 v25, v24
	v_add_u32_e32 v28, 2, v24
	v_add_u32_e32 v30, 3, v24
	;; [unrolled: 1-line block ×14, first 2 shown]
	v_cvt_f32_i32_e32 v26, v26
	v_cvt_f32_i32_e32 v28, v28
	;; [unrolled: 1-line block ×4, first 2 shown]
	v_mov_b32_e32 v19, 0xff7fffff
	v_or_b32_e32 v21, 2, v18
	v_or_b32_e32 v22, 3, v18
	v_cvt_f32_i32_e32 v32, v32
	v_cvt_f32_i32_e32 v34, v34
	v_cmp_gt_i32_e64 s[28:29], s33, v18
	v_cmp_gt_i32_e64 s[30:31], s33, v20
	s_mov_b32 s52, 0xff7fffff
	v_cmp_gt_i32_e64 s[34:35], s33, v21
	v_cmp_gt_i32_e64 s[36:37], s33, v22
	v_or_b32_e32 v23, 16, v18
	v_cvt_f32_i32_e32 v35, v35
	v_cvt_f32_i32_e32 v36, v36
	v_cmp_gt_i32_e64 s[24:25], s33, v23
	v_cvt_f32_i32_e32 v37, v37
	v_cvt_f32_i32_e32 v38, v38
	;; [unrolled: 1-line block ×7, first 2 shown]
	s_waitcnt vmcnt(15)
	v_fmac_f32_e32 v17, v31, v25
	s_waitcnt vmcnt(14)
	v_fmac_f32_e32 v16, v31, v26
	s_waitcnt vmcnt(13)
	v_fmac_f32_e32 v15, v31, v28
	s_waitcnt vmcnt(12)
	v_fmac_f32_e32 v14, v31, v30
	v_cndmask_b32_e64 v20, v19, v16, s[30:31]
	v_cndmask_b32_e64 v21, v19, v15, s[34:35]
	;; [unrolled: 1-line block ×3, first 2 shown]
	s_waitcnt vmcnt(11)
	v_fmac_f32_e32 v13, v31, v32
	s_waitcnt vmcnt(10)
	v_fmac_f32_e32 v12, v31, v34
	;; [unrolled: 2-line block ×9, first 2 shown]
	v_cndmask_b32_e64 v24, v19, v17, s[28:29]
	v_max3_f32 v20, v24, s52, v20
	v_max3_f32 v20, v20, v21, v22
	v_or_b32_e32 v22, 17, v18
	v_cmp_gt_i32_e64 s[38:39], s33, v22
	v_cndmask_b32_e64 v21, v19, v13, s[24:25]
	v_cndmask_b32_e64 v22, v19, v12, s[38:39]
	v_max3_f32 v20, v20, v21, v22
	v_or_b32_e32 v21, 18, v18
	v_or_b32_e32 v22, 19, v18
	v_cmp_gt_i32_e64 s[20:21], s33, v21
	v_cmp_gt_i32_e64 s[22:23], s33, v22
	v_cndmask_b32_e64 v21, v19, v11, s[20:21]
	v_cndmask_b32_e64 v22, v19, v10, s[22:23]
	v_max3_f32 v20, v20, v21, v22
	v_or_b32_e32 v21, 32, v18
	v_or_b32_e32 v22, 33, v18
	v_cmp_gt_i32_e64 s[16:17], s33, v21
	v_cmp_gt_i32_e64 s[18:19], s33, v22
	v_cndmask_b32_e64 v21, v19, v9, s[16:17]
	v_cndmask_b32_e64 v22, v19, v8, s[18:19]
	v_max3_f32 v20, v20, v21, v22
	v_or_b32_e32 v21, 34, v18
	v_or_b32_e32 v22, 35, v18
	v_cmp_gt_i32_e64 s[12:13], s33, v21
	v_cmp_gt_i32_e64 s[14:15], s33, v22
	v_cndmask_b32_e64 v21, v19, v7, s[12:13]
	v_cndmask_b32_e64 v22, v19, v6, s[14:15]
	v_max3_f32 v20, v20, v21, v22
	v_or_b32_e32 v21, 48, v18
	v_or_b32_e32 v22, 49, v18
	v_fmac_f32_e32 v5, v31, v44
	v_fmac_f32_e32 v4, v31, v52
	v_cmp_gt_i32_e64 s[6:7], s33, v21
	v_cmp_gt_i32_e64 s[10:11], s33, v22
	v_cndmask_b32_e64 v21, v19, v5, s[6:7]
	v_cndmask_b32_e64 v22, v19, v4, s[10:11]
	v_max3_f32 v20, v20, v21, v22
	v_or_b32_e32 v21, 50, v18
	v_or_b32_e32 v18, 51, v18
	v_fmac_f32_e32 v3, v31, v53
	v_cmp_gt_i32_e32 vcc, s33, v21
	v_cmp_gt_i32_e64 s[4:5], s33, v18
	v_cndmask_b32_e32 v21, v19, v3, vcc
	v_cndmask_b32_e64 v18, v19, v2, s[4:5]
	v_mbcnt_lo_u32_b32 v19, -1, 0
	v_mbcnt_hi_u32_b32 v19, -1, v19
	v_max3_f32 v18, v20, v21, v18
	v_and_b32_e32 v20, 64, v19
	v_add_u32_e32 v20, 64, v20
	v_xor_b32_e32 v21, 32, v19
	v_cmp_lt_i32_e64 s[40:41], v21, v20
	v_cndmask_b32_e64 v21, v19, v21, s[40:41]
	v_lshlrev_b32_e32 v21, 2, v21
	ds_bpermute_b32 v22, v21, v18
	s_waitcnt lgkmcnt(0)
	v_max_f32_e32 v22, v22, v22
	v_max_f32_e32 v18, v18, v22
	v_xor_b32_e32 v22, 16, v19
	v_cmp_lt_i32_e64 s[40:41], v22, v20
	v_cndmask_b32_e64 v19, v19, v22, s[40:41]
	v_lshlrev_b32_e32 v19, 2, v19
	ds_bpermute_b32 v20, v19, v18
	s_waitcnt lgkmcnt(0)
	v_max_f32_e32 v20, v20, v20
	v_max_f32_e32 v18, v18, v20
	v_sub_f32_e32 v17, v17, v18
	v_mul_f32_e32 v17, 0x3fb8aa3b, v17
	v_sub_f32_e32 v16, v16, v18
	v_exp_f32_e32 v17, v17
	v_mul_f32_e32 v16, 0x3fb8aa3b, v16
	v_sub_f32_e32 v15, v15, v18
	v_exp_f32_e32 v16, v16
	;; [unrolled: 3-line block ×4, first 2 shown]
	v_mul_f32_e32 v13, 0x3fb8aa3b, v13
	v_sub_f32_e32 v12, v12, v18
	v_cndmask_b32_e64 v17, 0, v17, s[28:29]
	v_exp_f32_e32 v13, v13
	v_mul_f32_e32 v12, 0x3fb8aa3b, v12
	v_sub_f32_e32 v11, v11, v18
	v_add_f32_e32 v20, 0, v17
	v_cndmask_b32_e64 v16, 0, v16, s[30:31]
	v_exp_f32_e32 v12, v12
	v_mul_f32_e32 v11, 0x3fb8aa3b, v11
	v_sub_f32_e32 v10, v10, v18
	v_add_f32_e32 v20, v20, v16
	;; [unrolled: 5-line block ×4, first 2 shown]
	v_cndmask_b32_e64 v13, 0, v13, s[24:25]
	v_exp_f32_e32 v9, v9
	v_mul_f32_e32 v8, 0x3fb8aa3b, v8
	v_sub_f32_e32 v7, v7, v18
	buffer_store_dword v17, off, s[0:3], 0 offset:256
	buffer_store_dword v16, off, s[0:3], 0 offset:260
	;; [unrolled: 1-line block ×4, first 2 shown]
	v_add_f32_e32 v14, v20, v13
	v_cndmask_b32_e64 v12, 0, v12, s[38:39]
	v_exp_f32_e32 v8, v8
	v_mul_f32_e32 v7, 0x3fb8aa3b, v7
	v_sub_f32_e32 v6, v6, v18
	v_add_f32_e32 v14, v14, v12
	v_cndmask_b32_e64 v11, 0, v11, s[20:21]
	v_exp_f32_e32 v7, v7
	v_mul_f32_e32 v6, 0x3fb8aa3b, v6
	v_sub_f32_e32 v5, v5, v18
	;; [unrolled: 5-line block ×4, first 2 shown]
	buffer_store_dword v13, off, s[0:3], 0 offset:272
	buffer_store_dword v12, off, s[0:3], 0 offset:276
	;; [unrolled: 1-line block ×4, first 2 shown]
	v_add_f32_e32 v10, v14, v9
	v_cndmask_b32_e64 v8, 0, v8, s[18:19]
	v_exp_f32_e32 v4, v4
	v_mul_f32_e32 v3, 0x3fb8aa3b, v3
	v_sub_f32_e32 v2, v2, v18
	v_add_f32_e32 v10, v10, v8
	v_cndmask_b32_e64 v7, 0, v7, s[12:13]
	v_exp_f32_e32 v3, v3
	v_mul_f32_e32 v2, 0x3fb8aa3b, v2
	v_add_f32_e32 v10, v10, v7
	v_cndmask_b32_e64 v6, 0, v6, s[14:15]
	v_exp_f32_e32 v2, v2
	v_add_f32_e32 v10, v10, v6
	v_cndmask_b32_e64 v5, 0, v5, s[6:7]
	buffer_store_dword v9, off, s[0:3], 0 offset:288
	buffer_store_dword v8, off, s[0:3], 0 offset:292
	;; [unrolled: 1-line block ×4, first 2 shown]
	v_add_f32_e32 v6, v10, v5
	v_cndmask_b32_e64 v4, 0, v4, s[10:11]
	v_add_f32_e32 v6, v6, v4
	v_cndmask_b32_e32 v3, 0, v3, vcc
	v_add_f32_e32 v6, v6, v3
	v_cndmask_b32_e64 v2, 0, v2, s[4:5]
	v_add_f32_e32 v6, v6, v2
	ds_bpermute_b32 v7, v21, v6
	buffer_store_dword v5, off, s[0:3], 0 offset:304
	buffer_store_dword v4, off, s[0:3], 0 offset:308
	;; [unrolled: 1-line block ×4, first 2 shown]
	v_cmp_gt_u32_e32 vcc, 16, v33
	s_waitcnt lgkmcnt(0)
	s_barrier
	v_add_f32_e32 v2, v6, v7
	ds_bpermute_b32 v3, v19, v2
	s_waitcnt lgkmcnt(0)
	s_and_saveexec_b64 s[4:5], vcc
	s_cbranch_execz .LBB617_209
; %bb.208:
	v_add_f32_e32 v2, v2, v3
	v_lshlrev_b32_e32 v3, 2, v29
	ds_write2st64_b32 v3, v18, v2 offset1:1
.LBB617_209:
	s_or_b64 exec, exec, s[4:5]
	v_lshlrev_b32_e32 v2, 2, v41
	s_waitcnt lgkmcnt(0)
	s_barrier
	ds_read2_b32 v[12:13], v2 offset1:16
	ds_read2_b32 v[14:15], v2 offset0:32 offset1:48
	ds_read2_b32 v[6:7], v2 offset0:64 offset1:80
	;; [unrolled: 1-line block ×3, first 2 shown]
	s_waitcnt lgkmcnt(0)
	s_barrier
	buffer_load_dword v20, off, s[0:3], 0 offset:256
	buffer_load_dword v21, off, s[0:3], 0 offset:260
	;; [unrolled: 1-line block ×16, first 2 shown]
	v_lshlrev_b32_e32 v19, 3, v1
	v_lshlrev_b32_e32 v18, 5, v41
	;; [unrolled: 1-line block ×3, first 2 shown]
	v_or3_b32 v52, v26, v18, v19
	v_max3_f32 v19, v12, s52, v13
	v_max3_f32 v19, v19, v14, v15
	v_sub_f32_e32 v12, v12, v19
	v_sub_f32_e32 v13, v13, v19
	v_mul_f32_e32 v12, 0x3fb8aa3b, v12
	v_sub_f32_e32 v14, v14, v19
	v_mul_f32_e32 v13, 0x3fb8aa3b, v13
	v_exp_f32_e32 v12, v12
	v_sub_f32_e32 v15, v15, v19
	v_mul_f32_e32 v14, 0x3fb8aa3b, v14
	v_exp_f32_e32 v13, v13
	v_mul_f32_e32 v15, 0x3fb8aa3b, v15
	v_exp_f32_e32 v14, v14
	v_exp_f32_e32 v15, v15
	v_fma_f32 v6, v12, v6, 0
	v_fmac_f32_e32 v6, v13, v7
	v_fmac_f32_e32 v6, v14, v10
	;; [unrolled: 1-line block ×3, first 2 shown]
	v_cmp_eq_u32_e32 vcc, 1, v27
	v_add_f32_e32 v10, 0x358637bd, v6
	v_cndmask_b32_e32 v12, v12, v13, vcc
	v_cmp_eq_u32_e32 vcc, 2, v27
	v_div_scale_f32 v11, s[4:5], v10, v10, 1.0
	v_cndmask_b32_e32 v7, v12, v14, vcc
	v_rcp_f32_e32 v12, v11
	v_cmp_eq_u32_e32 vcc, 3, v27
	v_cndmask_b32_e32 v7, v7, v15, vcc
	v_div_scale_f32 v13, vcc, 1.0, v10, 1.0
	v_fma_f32 v14, -v11, v12, 1.0
	v_fmac_f32_e32 v12, v14, v12
	v_mul_f32_e32 v14, v13, v12
	v_fma_f32 v15, -v11, v14, v13
	v_fmac_f32_e32 v14, v15, v12
	v_fma_f32 v11, -v11, v14, v13
	v_div_fmas_f32 v11, v11, v12, v14
	v_div_fixup_f32 v10, v11, v10, 1.0
	v_mul_f32_e32 v10, v7, v10
	s_mul_i32 s18, s49, 12
	v_cmp_gt_u32_e32 vcc, 12, v0
	s_waitcnt vmcnt(14)
	v_pk_mul_f32 v[14:15], v[10:11], v[20:21] op_sel_hi:[0,1]
	v_cvt_f16_f32_e32 v7, v14
	s_waitcnt vmcnt(12)
	v_pk_mul_f32 v[12:13], v[10:11], v[22:23] op_sel_hi:[0,1]
	buffer_store_dword v14, off, s[0:3], 0 offset:256
	buffer_store_dword v15, off, s[0:3], 0 offset:260
	;; [unrolled: 1-line block ×3, first 2 shown]
	s_waitcnt vmcnt(13)
	v_pk_mul_f32 v[20:21], v[10:11], v[24:25] op_sel_hi:[0,1]
	v_cvt_f16_f32_e32 v14, v12
	s_waitcnt vmcnt(11)
	v_pk_mul_f32 v[22:23], v[10:11], v[28:29] op_sel_hi:[0,1]
	v_cvt_f16_f32_e32 v11, v15
	v_cvt_f16_f32_e32 v15, v13
	buffer_store_dword v13, off, s[0:3], 0 offset:268
	buffer_store_dword v22, off, s[0:3], 0 offset:272
	;; [unrolled: 1-line block ×3, first 2 shown]
	v_pack_b32_f16 v12, v7, v11
	v_cvt_f16_f32_e32 v11, v23
	v_pack_b32_f16 v13, v14, v15
	v_cvt_f16_f32_e32 v7, v22
	v_cvt_f16_f32_e32 v15, v20
	;; [unrolled: 1-line block ×3, first 2 shown]
	s_waitcnt vmcnt(12)
	v_pk_mul_f32 v[4:5], v[10:11], v[4:5] op_sel_hi:[0,1]
	v_pack_b32_f16 v14, v7, v11
	s_waitcnt vmcnt(10)
	v_pk_mul_f32 v[2:3], v[10:11], v[2:3] op_sel_hi:[0,1]
	v_pack_b32_f16 v15, v15, v22
	v_cvt_f16_f32_e32 v11, v5
	buffer_store_dword v20, off, s[0:3], 0 offset:280
	buffer_store_dword v21, off, s[0:3], 0 offset:284
	ds_write2st64_b64 v52, v[12:13], v[14:15] offset1:1
	buffer_store_dword v2, off, s[0:3], 0 offset:288
	buffer_store_dword v3, off, s[0:3], 0 offset:292
	v_cvt_f16_f32_e32 v2, v2
	v_cvt_f16_f32_e32 v3, v3
	;; [unrolled: 1-line block ×3, first 2 shown]
	buffer_store_dword v4, off, s[0:3], 0 offset:296
	buffer_store_dword v5, off, s[0:3], 0 offset:300
	s_waitcnt vmcnt(12)
	v_pk_mul_f32 v[4:5], v[10:11], v[16:17] op_sel_hi:[0,1]
	v_pk_mul_f32 v[8:9], v[10:11], v[8:9] op_sel_hi:[0,1]
	v_pack_b32_f16 v2, v2, v3
	v_pack_b32_f16 v3, v7, v11
	buffer_store_dword v8, off, s[0:3], 0 offset:304
	buffer_store_dword v9, off, s[0:3], 0 offset:308
	v_cvt_f16_f32_e32 v7, v8
	v_cvt_f16_f32_e32 v8, v9
	;; [unrolled: 1-line block ×4, first 2 shown]
	buffer_store_dword v4, off, s[0:3], 0 offset:312
	buffer_store_dword v5, off, s[0:3], 0 offset:316
	v_pack_b32_f16 v4, v7, v8
	v_pack_b32_f16 v5, v9, v10
	ds_write2st64_b64 v52, v[2:3], v[4:5] offset0:2 offset1:3
	s_and_saveexec_b64 s[4:5], vcc
	s_cbranch_execz .LBB617_211
; %bb.210:
	v_add_co_u32_e32 v4, vcc, s27, v41
	v_addc_co_u32_e64 v5, s[6:7], 0, 0, vcc
	v_mov_b32_e32 v2, s18
	v_mad_u64_u32 v[4:5], s[6:7], s8, v2, v[4:5]
	v_mov_b32_e32 v3, 0
	s_mul_i32 s6, s9, s18
	v_mov_b32_e32 v2, s26
	v_add_u32_e32 v5, s6, v5
	v_mad_u64_u32 v[2:3], s[6:7], v4, s48, v[2:3]
	v_mov_b32_e32 v4, v3
	v_mad_u64_u32 v[4:5], s[6:7], v5, s48, v[4:5]
	v_mov_b32_e32 v3, v4
	v_lshlrev_b64 v[2:3], 2, v[2:3]
	v_mov_b32_e32 v5, s47
	v_add_co_u32_e32 v4, vcc, s46, v2
	v_addc_co_u32_e32 v5, vcc, v5, v3, vcc
	global_store_dword v[4:5], v19, off
	v_mov_b32_e32 v4, s45
	v_add_co_u32_e32 v2, vcc, s44, v2
	v_addc_co_u32_e32 v3, vcc, v4, v3, vcc
	global_store_dword v[2:3], v6, off
.LBB617_211:
	s_or_b64 exec, exec, s[4:5]
	v_lshl_or_b32 v30, v1, 9, v18
	s_waitcnt lgkmcnt(0)
	s_barrier
	s_load_dword s4, s[42:43], 0x0
	ds_read_b128 v[2:5], v30
	ds_read_b128 v[6:9], v30 offset:16
	ds_read_b128 v[10:13], v30 offset:2048
	;; [unrolled: 1-line block ×7, first 2 shown]
	v_mov_b32_e32 v35, 0x80
	v_mov_b32_e32 v53, 0x140
	s_mov_b64 s[10:11], -1
	s_waitcnt lgkmcnt(0)
	s_mov_b32 s5, s4
	s_mov_b32 s6, s4
	;; [unrolled: 1-line block ×3, first 2 shown]
	s_movk_i32 s9, 0x80
	s_movk_i32 s19, 0x7f
	s_mov_b32 s20, 0xffffff
	v_mov_b32_e32 v54, 0
	v_bfrev_b32_e32 v55, 60
	s_branch .LBB617_215
.LBB617_212:                            ;   in Loop: Header=BB617_215 Depth=1
	s_or_b64 exec, exec, s[16:17]
.LBB617_213:                            ;   in Loop: Header=BB617_215 Depth=1
	s_or_b64 exec, exec, s[14:15]
.LBB617_214:                            ;   in Loop: Header=BB617_215 Depth=1
	s_or_b64 exec, exec, s[12:13]
	v_cvt_pkrtz_f16_f32 v60, v46, v50
	v_cvt_pkrtz_f16_f32 v61, v44, v56
	s_xor_b64 s[12:13], s[10:11], -1
	s_mov_b64 s[10:11], 0
	v_mov_b32_e32 v46, v47
	v_mfma_f32_16x16x16f16 v[60:63], v[60:61], v[30:31], v[34:37]
	v_mov_b32_e32 v50, v49
	s_and_b64 vcc, exec, s[12:13]
	s_nop 4
	v_cvt_pkrtz_f16_f32 v36, v51, v57
	v_cvt_pkrtz_f16_f32 v37, v42, v58
	v_mov_b32_e32 v35, v45
	v_mov_b32_e32 v51, v48
	v_mfma_f32_16x16x16f16 v[56:59], v[36:37], v[32:33], v[60:63]
	s_nop 7
	s_nop 2
	v_pk_mul_f32 v[56:57], v[56:57], s[4:5]
	v_pk_mul_f32 v[36:37], v[58:59], s[6:7]
	v_cvt_f16_f32_e32 v34, v56
	v_cvt_f16_f32_e32 v38, v57
	;; [unrolled: 1-line block ×4, first 2 shown]
	v_pack_b32_f16 v34, v34, v38
	v_pack_b32_f16 v36, v36, v37
	buffer_store_dword v34, v53, s[0:3], 0 offen
	buffer_store_dword v36, v53, s[0:3], 0 offen offset:4
	v_mov_b32_e32 v53, 0x148
	s_cbranch_vccnz .LBB617_597
.LBB617_215:                            ; =>This Inner Loop Header: Depth=1
	buffer_load_dword v36, v35, s[0:3], 0 offen
	buffer_load_dword v34, v35, s[0:3], 0 offen offset:4
	buffer_load_dword v40, v35, s[0:3], 0 offen offset:8
	;; [unrolled: 1-line block ×3, first 2 shown]
	v_mov_b32_e32 v35, 0
	s_waitcnt vmcnt(3)
	v_cmp_ne_u16_sdwa s[14:15], v36, v54 src0_sel:BYTE_0 src1_sel:DWORD
	s_and_saveexec_b64 s[12:13], s[14:15]
	s_cbranch_execz .LBB617_221
; %bb.216:                              ;   in Loop: Header=BB617_215 Depth=1
	v_cmp_ne_u16_sdwa s[16:17], v36, s9 src0_sel:BYTE_0 src1_sel:DWORD
	v_bfrev_b32_e32 v35, 1
	s_and_saveexec_b64 s[14:15], s[16:17]
	s_cbranch_execz .LBB617_220
; %bb.217:                              ;   in Loop: Header=BB617_215 Depth=1
	v_and_b32_e32 v37, 0x7f, v36
	v_cmp_ne_u32_e32 vcc, s19, v37
	v_mov_b32_e32 v35, 0x7f800001
	s_and_saveexec_b64 s[16:17], vcc
	s_cbranch_execz .LBB617_219
; %bb.218:                              ;   in Loop: Header=BB617_215 Depth=1
	v_and_b32_e32 v35, 7, v36
	v_ffbh_u32_e32 v44, v35
	v_min_u32_e32 v44, 32, v44
	v_subrev_u32_e32 v56, 28, v44
	v_lshlrev_b64 v[56:57], v56, v[36:37]
	v_lshrrev_b32_e32 v42, 3, v37
	v_sub_u32_e32 v44, 29, v44
	v_and_b32_e32 v56, 7, v56
	v_cmp_gt_u32_e32 vcc, 8, v37
	v_cndmask_b32_e32 v37, v42, v44, vcc
	v_cndmask_b32_e32 v35, v35, v56, vcc
	v_lshlrev_b32_e32 v42, 24, v36
	v_lshlrev_b32_e32 v35, 20, v35
	v_and_b32_e32 v42, 0x80000000, v42
	v_lshl_add_u32 v37, v37, 23, v55
	v_or3_b32 v35, v42, v37, v35
.LBB617_219:                            ;   in Loop: Header=BB617_215 Depth=1
	s_or_b64 exec, exec, s[16:17]
.LBB617_220:                            ;   in Loop: Header=BB617_215 Depth=1
	s_or_b64 exec, exec, s[14:15]
.LBB617_221:                            ;   in Loop: Header=BB617_215 Depth=1
	s_or_b64 exec, exec, s[12:13]
	v_lshrrev_b16_e32 v42, 8, v36
	v_cmp_ne_u16_e32 vcc, 0, v42
	v_mov_b32_e32 v37, 0
	s_and_saveexec_b64 s[12:13], vcc
	s_cbranch_execz .LBB617_227
; %bb.222:                              ;   in Loop: Header=BB617_215 Depth=1
	v_cmp_ne_u16_e32 vcc, s9, v42
	v_bfrev_b32_e32 v37, 1
	s_and_saveexec_b64 s[14:15], vcc
	s_cbranch_execz .LBB617_226
; %bb.223:                              ;   in Loop: Header=BB617_215 Depth=1
	v_and_b32_e32 v44, 0x7f, v42
	v_cmp_ne_u32_e32 vcc, s19, v44
	v_mov_b32_e32 v37, 0x7f800001
	s_and_saveexec_b64 s[16:17], vcc
	s_cbranch_execz .LBB617_225
; %bb.224:                              ;   in Loop: Header=BB617_215 Depth=1
	v_and_b32_e32 v37, 7, v42
	v_ffbh_u32_e32 v56, v37
	v_min_u32_e32 v59, 32, v56
	v_subrev_u32_e32 v56, 28, v59
	v_lshlrev_b64 v[56:57], v56, v[42:43]
	v_lshrrev_b32_e32 v58, 3, v44
	v_sub_u32_e32 v42, 29, v59
	v_and_b32_e32 v56, 7, v56
	v_cmp_gt_u32_e32 vcc, 8, v44
	v_cndmask_b32_e32 v42, v58, v42, vcc
	v_cndmask_b32_e32 v37, v37, v56, vcc
	v_lshlrev_b32_e32 v44, 16, v36
	v_lshlrev_b32_e32 v37, 20, v37
	v_and_b32_e32 v44, 0x80000000, v44
	v_lshl_add_u32 v42, v42, 23, v55
	v_or3_b32 v37, v44, v42, v37
.LBB617_225:                            ;   in Loop: Header=BB617_215 Depth=1
	s_or_b64 exec, exec, s[16:17]
.LBB617_226:                            ;   in Loop: Header=BB617_215 Depth=1
	s_or_b64 exec, exec, s[14:15]
.LBB617_227:                            ;   in Loop: Header=BB617_215 Depth=1
	s_or_b64 exec, exec, s[12:13]
	v_lshrrev_b32_e32 v42, 16, v36
	v_cmp_ne_u16_sdwa s[14:15], v42, v54 src0_sel:BYTE_0 src1_sel:DWORD
	v_mov_b32_e32 v56, 0
	v_mov_b32_e32 v44, 0
	s_and_saveexec_b64 s[12:13], s[14:15]
	s_cbranch_execz .LBB617_233
; %bb.228:                              ;   in Loop: Header=BB617_215 Depth=1
	v_cmp_ne_u16_sdwa s[16:17], v42, s9 src0_sel:BYTE_0 src1_sel:DWORD
	v_bfrev_b32_e32 v44, 1
	s_and_saveexec_b64 s[14:15], s[16:17]
	s_cbranch_execz .LBB617_232
; %bb.229:                              ;   in Loop: Header=BB617_215 Depth=1
	v_bfe_u32 v57, v36, 16, 7
	v_cmp_ne_u32_e32 vcc, s19, v57
	v_mov_b32_e32 v44, 0x7f800001
	s_and_saveexec_b64 s[16:17], vcc
	s_cbranch_execz .LBB617_231
; %bb.230:                              ;   in Loop: Header=BB617_215 Depth=1
	v_and_b32_e32 v44, 7, v42
	v_ffbh_u32_e32 v58, v44
	v_min_u32_e32 v61, 32, v58
	v_subrev_u32_e32 v58, 28, v61
	v_lshlrev_b64 v[58:59], v58, v[42:43]
	v_lshrrev_b32_e32 v60, 3, v57
	v_sub_u32_e32 v59, 29, v61
	v_and_b32_e32 v58, 7, v58
	v_cmp_gt_u32_e32 vcc, 8, v57
	v_cndmask_b32_e32 v57, v60, v59, vcc
	v_cndmask_b32_e32 v44, v44, v58, vcc
	v_lshlrev_b32_e32 v42, 24, v42
	v_lshlrev_b32_e32 v44, 20, v44
	v_and_b32_e32 v42, 0x80000000, v42
	v_lshl_add_u32 v57, v57, 23, v55
	v_or3_b32 v44, v42, v57, v44
.LBB617_231:                            ;   in Loop: Header=BB617_215 Depth=1
	s_or_b64 exec, exec, s[16:17]
.LBB617_232:                            ;   in Loop: Header=BB617_215 Depth=1
	s_or_b64 exec, exec, s[14:15]
.LBB617_233:                            ;   in Loop: Header=BB617_215 Depth=1
	s_or_b64 exec, exec, s[12:13]
	v_cmp_lt_u32_e32 vcc, s20, v36
	s_and_saveexec_b64 s[12:13], vcc
	s_cbranch_execz .LBB617_239
; %bb.234:                              ;   in Loop: Header=BB617_215 Depth=1
	v_lshrrev_b32_e32 v42, 24, v36
	v_cmp_ne_u32_e32 vcc, s9, v42
	v_bfrev_b32_e32 v56, 1
	s_and_saveexec_b64 s[14:15], vcc
	s_cbranch_execz .LBB617_238
; %bb.235:                              ;   in Loop: Header=BB617_215 Depth=1
	v_bfe_u32 v36, v36, 24, 7
	v_cmp_ne_u32_e32 vcc, s19, v36
	v_mov_b32_e32 v56, 0x7f800001
	s_and_saveexec_b64 s[16:17], vcc
	s_cbranch_execz .LBB617_237
; %bb.236:                              ;   in Loop: Header=BB617_215 Depth=1
	v_and_b32_e32 v58, 7, v42
	v_ffbh_u32_e32 v56, v58
	v_min_u32_e32 v60, 32, v56
	v_subrev_u32_e32 v56, 28, v60
	v_lshlrev_b64 v[56:57], v56, v[42:43]
	v_lshrrev_b32_e32 v59, 3, v36
	v_sub_u32_e32 v57, 29, v60
	v_and_b32_e32 v56, 7, v56
	v_cmp_gt_u32_e32 vcc, 8, v36
	v_cndmask_b32_e32 v36, v59, v57, vcc
	v_cndmask_b32_e32 v56, v58, v56, vcc
	v_lshlrev_b32_e32 v42, 24, v42
	v_lshlrev_b32_e32 v56, 20, v56
	v_and_b32_e32 v42, 0x80000000, v42
	v_lshl_add_u32 v36, v36, 23, v55
	v_or3_b32 v56, v42, v36, v56
.LBB617_237:                            ;   in Loop: Header=BB617_215 Depth=1
	s_or_b64 exec, exec, s[16:17]
.LBB617_238:                            ;   in Loop: Header=BB617_215 Depth=1
	s_or_b64 exec, exec, s[14:15]
.LBB617_239:                            ;   in Loop: Header=BB617_215 Depth=1
	s_or_b64 exec, exec, s[12:13]
	s_waitcnt vmcnt(2)
	v_cmp_ne_u16_sdwa s[14:15], v34, v54 src0_sel:BYTE_0 src1_sel:DWORD
	v_mov_b32_e32 v42, 0
	v_mov_b32_e32 v57, 0
	s_and_saveexec_b64 s[12:13], s[14:15]
	s_cbranch_execz .LBB617_245
; %bb.240:                              ;   in Loop: Header=BB617_215 Depth=1
	v_cmp_ne_u16_sdwa s[16:17], v34, s9 src0_sel:BYTE_0 src1_sel:DWORD
	v_bfrev_b32_e32 v57, 1
	s_and_saveexec_b64 s[14:15], s[16:17]
	s_cbranch_execz .LBB617_244
; %bb.241:                              ;   in Loop: Header=BB617_215 Depth=1
	v_and_b32_e32 v36, 0x7f, v34
	v_cmp_ne_u32_e32 vcc, s19, v36
	v_mov_b32_e32 v57, 0x7f800001
	s_and_saveexec_b64 s[16:17], vcc
	s_cbranch_execz .LBB617_243
; %bb.242:                              ;   in Loop: Header=BB617_215 Depth=1
	v_and_b32_e32 v57, 7, v34
	v_ffbh_u32_e32 v58, v57
	v_min_u32_e32 v61, 32, v58
	v_subrev_u32_e32 v58, 28, v61
	v_lshlrev_b64 v[58:59], v58, v[34:35]
	v_lshrrev_b32_e32 v60, 3, v36
	v_sub_u32_e32 v59, 29, v61
	v_and_b32_e32 v58, 7, v58
	v_cmp_gt_u32_e32 vcc, 8, v36
	v_cndmask_b32_e32 v36, v60, v59, vcc
	v_cndmask_b32_e32 v57, v57, v58, vcc
	v_lshlrev_b32_e32 v58, 24, v34
	v_lshlrev_b32_e32 v57, 20, v57
	v_and_b32_e32 v58, 0x80000000, v58
	v_lshl_add_u32 v36, v36, 23, v55
	v_or3_b32 v57, v58, v36, v57
.LBB617_243:                            ;   in Loop: Header=BB617_215 Depth=1
	s_or_b64 exec, exec, s[16:17]
.LBB617_244:                            ;   in Loop: Header=BB617_215 Depth=1
	s_or_b64 exec, exec, s[14:15]
.LBB617_245:                            ;   in Loop: Header=BB617_215 Depth=1
	s_or_b64 exec, exec, s[12:13]
	v_lshrrev_b16_e32 v36, 8, v34
	v_cmp_ne_u16_e32 vcc, 0, v36
	s_and_saveexec_b64 s[12:13], vcc
	s_cbranch_execz .LBB617_251
; %bb.246:                              ;   in Loop: Header=BB617_215 Depth=1
	v_cmp_ne_u16_e32 vcc, s9, v36
	v_bfrev_b32_e32 v42, 1
	s_and_saveexec_b64 s[14:15], vcc
	s_cbranch_execz .LBB617_250
; %bb.247:                              ;   in Loop: Header=BB617_215 Depth=1
	v_and_b32_e32 v58, 0x7f, v36
	v_cmp_ne_u32_e32 vcc, s19, v58
	v_mov_b32_e32 v42, 0x7f800001
	s_and_saveexec_b64 s[16:17], vcc
	s_cbranch_execz .LBB617_249
; %bb.248:                              ;   in Loop: Header=BB617_215 Depth=1
	v_and_b32_e32 v42, 7, v36
	v_ffbh_u32_e32 v60, v42
	v_min_u32_e32 v62, 32, v60
	v_subrev_u32_e32 v60, 28, v62
	v_lshlrev_b64 v[60:61], v60, v[36:37]
	v_lshrrev_b32_e32 v59, 3, v58
	v_sub_u32_e32 v36, 29, v62
	v_and_b32_e32 v60, 7, v60
	v_cmp_gt_u32_e32 vcc, 8, v58
	v_cndmask_b32_e32 v36, v59, v36, vcc
	v_cndmask_b32_e32 v42, v42, v60, vcc
	v_lshlrev_b32_e32 v58, 16, v34
	v_lshlrev_b32_e32 v42, 20, v42
	v_and_b32_e32 v58, 0x80000000, v58
	v_lshl_add_u32 v36, v36, 23, v55
	v_or3_b32 v42, v58, v36, v42
.LBB617_249:                            ;   in Loop: Header=BB617_215 Depth=1
	s_or_b64 exec, exec, s[16:17]
.LBB617_250:                            ;   in Loop: Header=BB617_215 Depth=1
	s_or_b64 exec, exec, s[14:15]
.LBB617_251:                            ;   in Loop: Header=BB617_215 Depth=1
	s_or_b64 exec, exec, s[12:13]
	v_lshrrev_b32_e32 v36, 16, v34
	v_cmp_ne_u16_sdwa s[14:15], v36, v54 src0_sel:BYTE_0 src1_sel:DWORD
	v_mov_b32_e32 v59, 0
	v_mov_b32_e32 v58, 0
	s_and_saveexec_b64 s[12:13], s[14:15]
	s_cbranch_execz .LBB617_257
; %bb.252:                              ;   in Loop: Header=BB617_215 Depth=1
	v_cmp_ne_u16_sdwa s[16:17], v36, s9 src0_sel:BYTE_0 src1_sel:DWORD
	v_bfrev_b32_e32 v58, 1
	s_and_saveexec_b64 s[14:15], s[16:17]
	s_cbranch_execz .LBB617_256
; %bb.253:                              ;   in Loop: Header=BB617_215 Depth=1
	v_bfe_u32 v60, v34, 16, 7
	v_cmp_ne_u32_e32 vcc, s19, v60
	v_mov_b32_e32 v58, 0x7f800001
	s_and_saveexec_b64 s[16:17], vcc
	s_cbranch_execz .LBB617_255
; %bb.254:                              ;   in Loop: Header=BB617_215 Depth=1
	v_and_b32_e32 v58, 7, v36
	v_ffbh_u32_e32 v62, v58
	v_min_u32_e32 v64, 32, v62
	v_subrev_u32_e32 v62, 28, v64
	v_lshlrev_b64 v[62:63], v62, v[36:37]
	v_lshrrev_b32_e32 v61, 3, v60
	v_sub_u32_e32 v63, 29, v64
	v_and_b32_e32 v62, 7, v62
	v_cmp_gt_u32_e32 vcc, 8, v60
	v_cndmask_b32_e32 v60, v61, v63, vcc
	v_cndmask_b32_e32 v58, v58, v62, vcc
	v_lshlrev_b32_e32 v36, 24, v36
	v_lshlrev_b32_e32 v58, 20, v58
	v_and_b32_e32 v36, 0x80000000, v36
	v_lshl_add_u32 v60, v60, 23, v55
	v_or3_b32 v58, v36, v60, v58
.LBB617_255:                            ;   in Loop: Header=BB617_215 Depth=1
	s_or_b64 exec, exec, s[16:17]
.LBB617_256:                            ;   in Loop: Header=BB617_215 Depth=1
	s_or_b64 exec, exec, s[14:15]
.LBB617_257:                            ;   in Loop: Header=BB617_215 Depth=1
	s_or_b64 exec, exec, s[12:13]
	v_cmp_lt_u32_e32 vcc, s20, v34
	s_and_saveexec_b64 s[12:13], vcc
	s_cbranch_execz .LBB617_263
; %bb.258:                              ;   in Loop: Header=BB617_215 Depth=1
	v_lshrrev_b32_e32 v36, 24, v34
	v_cmp_ne_u32_e32 vcc, s9, v36
	v_bfrev_b32_e32 v59, 1
	s_and_saveexec_b64 s[14:15], vcc
	s_cbranch_execz .LBB617_262
; %bb.259:                              ;   in Loop: Header=BB617_215 Depth=1
	v_bfe_u32 v34, v34, 24, 7
	v_cmp_ne_u32_e32 vcc, s19, v34
	v_mov_b32_e32 v59, 0x7f800001
	s_and_saveexec_b64 s[16:17], vcc
	s_cbranch_execz .LBB617_261
; %bb.260:                              ;   in Loop: Header=BB617_215 Depth=1
	v_and_b32_e32 v59, 7, v36
	v_ffbh_u32_e32 v60, v59
	v_min_u32_e32 v63, 32, v60
	v_subrev_u32_e32 v60, 28, v63
	v_lshlrev_b64 v[60:61], v60, v[36:37]
	v_lshrrev_b32_e32 v62, 3, v34
	v_sub_u32_e32 v61, 29, v63
	v_and_b32_e32 v60, 7, v60
	v_cmp_gt_u32_e32 vcc, 8, v34
	v_cndmask_b32_e32 v34, v62, v61, vcc
	v_cndmask_b32_e32 v59, v59, v60, vcc
	v_lshlrev_b32_e32 v36, 24, v36
	v_lshlrev_b32_e32 v59, 20, v59
	v_and_b32_e32 v36, 0x80000000, v36
	v_lshl_add_u32 v34, v34, 23, v55
	v_or3_b32 v59, v36, v34, v59
.LBB617_261:                            ;   in Loop: Header=BB617_215 Depth=1
	s_or_b64 exec, exec, s[16:17]
.LBB617_262:                            ;   in Loop: Header=BB617_215 Depth=1
	s_or_b64 exec, exec, s[14:15]
.LBB617_263:                            ;   in Loop: Header=BB617_215 Depth=1
	s_or_b64 exec, exec, s[12:13]
	v_cvt_pkrtz_f16_f32 v34, v35, v37
	v_cvt_pkrtz_f16_f32 v35, v44, v56
	;; [unrolled: 1-line block ×4, first 2 shown]
	v_mov_b32_e32 v44, 0
	v_mfma_f32_16x16x16f16 v[34:37], v[34:35], v[2:3], 0
	s_waitcnt vmcnt(1)
	v_cmp_ne_u16_sdwa s[14:15], v40, v54 src0_sel:BYTE_0 src1_sel:DWORD
	v_mov_b32_e32 v57, 0
	v_mfma_f32_16x16x16f16 v[34:37], v[60:61], v[4:5], v[34:37]
	s_and_saveexec_b64 s[12:13], s[14:15]
	s_cbranch_execz .LBB617_269
; %bb.264:                              ;   in Loop: Header=BB617_215 Depth=1
	v_cmp_ne_u16_sdwa s[16:17], v40, s9 src0_sel:BYTE_0 src1_sel:DWORD
	v_bfrev_b32_e32 v57, 1
	s_and_saveexec_b64 s[14:15], s[16:17]
	s_cbranch_execz .LBB617_268
; %bb.265:                              ;   in Loop: Header=BB617_215 Depth=1
	v_and_b32_e32 v42, 0x7f, v40
	v_cmp_ne_u32_e32 vcc, s19, v42
	v_mov_b32_e32 v57, 0x7f800001
	s_and_saveexec_b64 s[16:17], vcc
	s_cbranch_execz .LBB617_267
; %bb.266:                              ;   in Loop: Header=BB617_215 Depth=1
	v_and_b32_e32 v58, 7, v40
	v_ffbh_u32_e32 v56, v58
	v_min_u32_e32 v60, 32, v56
	v_subrev_u32_e32 v56, 28, v60
	v_lshlrev_b64 v[56:57], v56, v[40:41]
	v_lshrrev_b32_e32 v59, 3, v42
	v_sub_u32_e32 v57, 29, v60
	v_and_b32_e32 v56, 7, v56
	v_cmp_gt_u32_e32 vcc, 8, v42
	v_cndmask_b32_e32 v42, v59, v57, vcc
	v_cndmask_b32_e32 v56, v58, v56, vcc
	v_lshlrev_b32_e32 v57, 24, v40
	v_lshlrev_b32_e32 v56, 20, v56
	v_and_b32_e32 v57, 0x80000000, v57
	v_lshl_add_u32 v42, v42, 23, v55
	v_or3_b32 v57, v57, v42, v56
.LBB617_267:                            ;   in Loop: Header=BB617_215 Depth=1
	s_or_b64 exec, exec, s[16:17]
.LBB617_268:                            ;   in Loop: Header=BB617_215 Depth=1
	s_or_b64 exec, exec, s[14:15]
.LBB617_269:                            ;   in Loop: Header=BB617_215 Depth=1
	s_or_b64 exec, exec, s[12:13]
	v_lshrrev_b16_e32 v42, 8, v40
	v_cmp_ne_u16_e32 vcc, 0, v42
	v_mov_b32_e32 v58, 0
	s_and_saveexec_b64 s[12:13], vcc
	s_cbranch_execz .LBB617_275
; %bb.270:                              ;   in Loop: Header=BB617_215 Depth=1
	v_cmp_ne_u16_e32 vcc, s9, v42
	v_bfrev_b32_e32 v58, 1
	s_and_saveexec_b64 s[14:15], vcc
	s_cbranch_execz .LBB617_274
; %bb.271:                              ;   in Loop: Header=BB617_215 Depth=1
	v_and_b32_e32 v56, 0x7f, v42
	v_cmp_ne_u32_e32 vcc, s19, v56
	v_mov_b32_e32 v58, 0x7f800001
	s_and_saveexec_b64 s[16:17], vcc
	s_cbranch_execz .LBB617_273
; %bb.272:                              ;   in Loop: Header=BB617_215 Depth=1
	v_and_b32_e32 v60, 7, v42
	v_ffbh_u32_e32 v58, v60
	v_min_u32_e32 v62, 32, v58
	v_subrev_u32_e32 v58, 28, v62
	v_lshlrev_b64 v[58:59], v58, v[42:43]
	v_lshrrev_b32_e32 v61, 3, v56
	v_sub_u32_e32 v42, 29, v62
	v_and_b32_e32 v58, 7, v58
	v_cmp_gt_u32_e32 vcc, 8, v56
	v_cndmask_b32_e32 v42, v61, v42, vcc
	v_cndmask_b32_e32 v56, v60, v58, vcc
	v_lshlrev_b32_e32 v58, 16, v40
	v_lshlrev_b32_e32 v56, 20, v56
	v_and_b32_e32 v58, 0x80000000, v58
	v_lshl_add_u32 v42, v42, 23, v55
	v_or3_b32 v58, v58, v42, v56
.LBB617_273:                            ;   in Loop: Header=BB617_215 Depth=1
	s_or_b64 exec, exec, s[16:17]
.LBB617_274:                            ;   in Loop: Header=BB617_215 Depth=1
	s_or_b64 exec, exec, s[14:15]
.LBB617_275:                            ;   in Loop: Header=BB617_215 Depth=1
	s_or_b64 exec, exec, s[12:13]
	v_lshrrev_b32_e32 v42, 16, v40
	v_cmp_ne_u16_sdwa s[14:15], v42, v54 src0_sel:BYTE_0 src1_sel:DWORD
	s_and_saveexec_b64 s[12:13], s[14:15]
	s_cbranch_execz .LBB617_281
; %bb.276:                              ;   in Loop: Header=BB617_215 Depth=1
	v_cmp_ne_u16_sdwa s[16:17], v42, s9 src0_sel:BYTE_0 src1_sel:DWORD
	v_bfrev_b32_e32 v44, 1
	s_and_saveexec_b64 s[14:15], s[16:17]
	s_cbranch_execz .LBB617_280
; %bb.277:                              ;   in Loop: Header=BB617_215 Depth=1
	v_bfe_u32 v56, v40, 16, 7
	v_cmp_ne_u32_e32 vcc, s19, v56
	v_mov_b32_e32 v44, 0x7f800001
	s_and_saveexec_b64 s[16:17], vcc
	s_cbranch_execz .LBB617_279
; %bb.278:                              ;   in Loop: Header=BB617_215 Depth=1
	v_and_b32_e32 v44, 7, v42
	v_ffbh_u32_e32 v60, v44
	v_min_u32_e32 v62, 32, v60
	v_subrev_u32_e32 v60, 28, v62
	v_lshlrev_b64 v[60:61], v60, v[42:43]
	v_lshrrev_b32_e32 v59, 3, v56
	v_sub_u32_e32 v61, 29, v62
	v_and_b32_e32 v60, 7, v60
	v_cmp_gt_u32_e32 vcc, 8, v56
	v_cndmask_b32_e32 v56, v59, v61, vcc
	v_cndmask_b32_e32 v44, v44, v60, vcc
	v_lshlrev_b32_e32 v42, 24, v42
	v_lshlrev_b32_e32 v44, 20, v44
	v_and_b32_e32 v42, 0x80000000, v42
	v_lshl_add_u32 v56, v56, 23, v55
	v_or3_b32 v44, v42, v56, v44
.LBB617_279:                            ;   in Loop: Header=BB617_215 Depth=1
	s_or_b64 exec, exec, s[16:17]
.LBB617_280:                            ;   in Loop: Header=BB617_215 Depth=1
	s_or_b64 exec, exec, s[14:15]
.LBB617_281:                            ;   in Loop: Header=BB617_215 Depth=1
	s_or_b64 exec, exec, s[12:13]
	v_cmp_lt_u32_e32 vcc, s20, v40
	v_mov_b32_e32 v59, 0
	v_mov_b32_e32 v60, 0
	s_and_saveexec_b64 s[12:13], vcc
	s_cbranch_execz .LBB617_287
; %bb.282:                              ;   in Loop: Header=BB617_215 Depth=1
	v_lshrrev_b32_e32 v42, 24, v40
	v_cmp_ne_u32_e32 vcc, s9, v42
	v_bfrev_b32_e32 v60, 1
	s_and_saveexec_b64 s[14:15], vcc
	s_cbranch_execz .LBB617_286
; %bb.283:                              ;   in Loop: Header=BB617_215 Depth=1
	v_bfe_u32 v40, v40, 24, 7
	v_cmp_ne_u32_e32 vcc, s19, v40
	v_mov_b32_e32 v60, 0x7f800001
	s_and_saveexec_b64 s[16:17], vcc
	s_cbranch_execz .LBB617_285
; %bb.284:                              ;   in Loop: Header=BB617_215 Depth=1
	v_and_b32_e32 v56, 7, v42
	v_ffbh_u32_e32 v60, v56
	v_min_u32_e32 v63, 32, v60
	v_subrev_u32_e32 v60, 28, v63
	v_lshlrev_b64 v[60:61], v60, v[42:43]
	v_lshrrev_b32_e32 v62, 3, v40
	v_sub_u32_e32 v61, 29, v63
	v_and_b32_e32 v60, 7, v60
	v_cmp_gt_u32_e32 vcc, 8, v40
	v_cndmask_b32_e32 v40, v62, v61, vcc
	v_cndmask_b32_e32 v56, v56, v60, vcc
	v_lshlrev_b32_e32 v42, 24, v42
	v_lshlrev_b32_e32 v56, 20, v56
	v_and_b32_e32 v42, 0x80000000, v42
	v_lshl_add_u32 v40, v40, 23, v55
	v_or3_b32 v60, v42, v40, v56
.LBB617_285:                            ;   in Loop: Header=BB617_215 Depth=1
	s_or_b64 exec, exec, s[16:17]
.LBB617_286:                            ;   in Loop: Header=BB617_215 Depth=1
	s_or_b64 exec, exec, s[14:15]
.LBB617_287:                            ;   in Loop: Header=BB617_215 Depth=1
	s_or_b64 exec, exec, s[12:13]
	s_waitcnt vmcnt(0)
	v_cmp_ne_u16_sdwa s[14:15], v38, v54 src0_sel:BYTE_0 src1_sel:DWORD
	s_and_saveexec_b64 s[12:13], s[14:15]
	s_cbranch_execz .LBB617_293
; %bb.288:                              ;   in Loop: Header=BB617_215 Depth=1
	v_cmp_ne_u16_sdwa s[16:17], v38, s9 src0_sel:BYTE_0 src1_sel:DWORD
	v_bfrev_b32_e32 v59, 1
	s_and_saveexec_b64 s[14:15], s[16:17]
	s_cbranch_execz .LBB617_292
; %bb.289:                              ;   in Loop: Header=BB617_215 Depth=1
	v_and_b32_e32 v40, 0x7f, v38
	v_cmp_ne_u32_e32 vcc, s19, v40
	v_mov_b32_e32 v59, 0x7f800001
	s_and_saveexec_b64 s[16:17], vcc
	s_cbranch_execz .LBB617_291
; %bb.290:                              ;   in Loop: Header=BB617_215 Depth=1
	v_and_b32_e32 v42, 7, v38
	v_ffbh_u32_e32 v59, v42
	v_min_u32_e32 v59, 32, v59
	v_subrev_u32_e32 v61, 28, v59
	v_lshlrev_b64 v[62:63], v61, v[38:39]
	v_lshrrev_b32_e32 v56, 3, v40
	v_sub_u32_e32 v59, 29, v59
	v_and_b32_e32 v61, 7, v62
	v_cmp_gt_u32_e32 vcc, 8, v40
	v_cndmask_b32_e32 v40, v56, v59, vcc
	v_cndmask_b32_e32 v42, v42, v61, vcc
	v_lshlrev_b32_e32 v56, 24, v38
	v_lshlrev_b32_e32 v42, 20, v42
	v_and_b32_e32 v56, 0x80000000, v56
	v_lshl_add_u32 v40, v40, 23, v55
	v_or3_b32 v59, v56, v40, v42
.LBB617_291:                            ;   in Loop: Header=BB617_215 Depth=1
	s_or_b64 exec, exec, s[16:17]
.LBB617_292:                            ;   in Loop: Header=BB617_215 Depth=1
	s_or_b64 exec, exec, s[14:15]
.LBB617_293:                            ;   in Loop: Header=BB617_215 Depth=1
	s_or_b64 exec, exec, s[12:13]
	v_lshrrev_b16_e32 v40, 8, v38
	v_cmp_ne_u16_e32 vcc, 0, v40
	v_mov_b32_e32 v61, 0
	v_mov_b32_e32 v62, 0
	s_and_saveexec_b64 s[12:13], vcc
	s_cbranch_execz .LBB617_299
; %bb.294:                              ;   in Loop: Header=BB617_215 Depth=1
	v_cmp_ne_u16_e32 vcc, s9, v40
	v_bfrev_b32_e32 v62, 1
	s_and_saveexec_b64 s[14:15], vcc
	s_cbranch_execz .LBB617_298
; %bb.295:                              ;   in Loop: Header=BB617_215 Depth=1
	v_and_b32_e32 v42, 0x7f, v40
	v_cmp_ne_u32_e32 vcc, s19, v42
	v_mov_b32_e32 v62, 0x7f800001
	s_and_saveexec_b64 s[16:17], vcc
	s_cbranch_execz .LBB617_297
; %bb.296:                              ;   in Loop: Header=BB617_215 Depth=1
	v_and_b32_e32 v56, 7, v40
	v_ffbh_u32_e32 v62, v56
	v_min_u32_e32 v65, 32, v62
	v_subrev_u32_e32 v62, 28, v65
	v_lshlrev_b64 v[62:63], v62, v[40:41]
	v_lshrrev_b32_e32 v64, 3, v42
	v_sub_u32_e32 v40, 29, v65
	v_and_b32_e32 v62, 7, v62
	v_cmp_gt_u32_e32 vcc, 8, v42
	v_cndmask_b32_e32 v40, v64, v40, vcc
	v_cndmask_b32_e32 v42, v56, v62, vcc
	v_lshlrev_b32_e32 v56, 16, v38
	v_lshlrev_b32_e32 v42, 20, v42
	v_and_b32_e32 v56, 0x80000000, v56
	v_lshl_add_u32 v40, v40, 23, v55
	v_or3_b32 v62, v56, v40, v42
.LBB617_297:                            ;   in Loop: Header=BB617_215 Depth=1
	s_or_b64 exec, exec, s[16:17]
.LBB617_298:                            ;   in Loop: Header=BB617_215 Depth=1
	s_or_b64 exec, exec, s[14:15]
.LBB617_299:                            ;   in Loop: Header=BB617_215 Depth=1
	s_or_b64 exec, exec, s[12:13]
	v_lshrrev_b32_e32 v40, 16, v38
	v_cmp_ne_u16_sdwa s[14:15], v40, v54 src0_sel:BYTE_0 src1_sel:DWORD
	s_and_saveexec_b64 s[12:13], s[14:15]
	s_cbranch_execz .LBB617_305
; %bb.300:                              ;   in Loop: Header=BB617_215 Depth=1
	v_cmp_ne_u16_sdwa s[16:17], v40, s9 src0_sel:BYTE_0 src1_sel:DWORD
	v_bfrev_b32_e32 v61, 1
	s_and_saveexec_b64 s[14:15], s[16:17]
	s_cbranch_execz .LBB617_304
; %bb.301:                              ;   in Loop: Header=BB617_215 Depth=1
	v_bfe_u32 v42, v38, 16, 7
	v_cmp_ne_u32_e32 vcc, s19, v42
	v_mov_b32_e32 v61, 0x7f800001
	s_and_saveexec_b64 s[16:17], vcc
	s_cbranch_execz .LBB617_303
; %bb.302:                              ;   in Loop: Header=BB617_215 Depth=1
	v_and_b32_e32 v56, 7, v40
	v_ffbh_u32_e32 v63, v56
	v_min_u32_e32 v63, 32, v63
	v_subrev_u32_e32 v64, 28, v63
	v_lshlrev_b64 v[64:65], v64, v[40:41]
	v_lshrrev_b32_e32 v61, 3, v42
	v_sub_u32_e32 v63, 29, v63
	v_and_b32_e32 v64, 7, v64
	v_cmp_gt_u32_e32 vcc, 8, v42
	v_cndmask_b32_e32 v42, v61, v63, vcc
	v_cndmask_b32_e32 v56, v56, v64, vcc
	v_lshlrev_b32_e32 v40, 24, v40
	v_lshlrev_b32_e32 v56, 20, v56
	v_and_b32_e32 v40, 0x80000000, v40
	v_lshl_add_u32 v42, v42, 23, v55
	v_or3_b32 v61, v40, v42, v56
.LBB617_303:                            ;   in Loop: Header=BB617_215 Depth=1
	s_or_b64 exec, exec, s[16:17]
.LBB617_304:                            ;   in Loop: Header=BB617_215 Depth=1
	s_or_b64 exec, exec, s[14:15]
.LBB617_305:                            ;   in Loop: Header=BB617_215 Depth=1
	s_or_b64 exec, exec, s[12:13]
	v_cmp_lt_u32_e32 vcc, s20, v38
	v_mov_b32_e32 v56, 0
	v_mov_b32_e32 v63, 0
	s_and_saveexec_b64 s[12:13], vcc
	s_cbranch_execz .LBB617_311
; %bb.306:                              ;   in Loop: Header=BB617_215 Depth=1
	v_lshrrev_b32_e32 v40, 24, v38
	v_cmp_ne_u32_e32 vcc, s9, v40
	v_bfrev_b32_e32 v63, 1
	s_and_saveexec_b64 s[14:15], vcc
	s_cbranch_execz .LBB617_310
; %bb.307:                              ;   in Loop: Header=BB617_215 Depth=1
	v_bfe_u32 v38, v38, 24, 7
	v_cmp_ne_u32_e32 vcc, s19, v38
	v_mov_b32_e32 v63, 0x7f800001
	s_and_saveexec_b64 s[16:17], vcc
	s_cbranch_execz .LBB617_309
; %bb.308:                              ;   in Loop: Header=BB617_215 Depth=1
	v_and_b32_e32 v42, 7, v40
	v_ffbh_u32_e32 v64, v42
	v_min_u32_e32 v66, 32, v64
	v_subrev_u32_e32 v64, 28, v66
	v_lshlrev_b64 v[64:65], v64, v[40:41]
	v_lshrrev_b32_e32 v63, 3, v38
	v_sub_u32_e32 v65, 29, v66
	v_and_b32_e32 v64, 7, v64
	v_cmp_gt_u32_e32 vcc, 8, v38
	v_cndmask_b32_e32 v38, v63, v65, vcc
	v_cndmask_b32_e32 v42, v42, v64, vcc
	v_lshlrev_b32_e32 v40, 24, v40
	v_lshlrev_b32_e32 v42, 20, v42
	v_and_b32_e32 v40, 0x80000000, v40
	v_lshl_add_u32 v38, v38, 23, v55
	v_or3_b32 v63, v40, v38, v42
.LBB617_309:                            ;   in Loop: Header=BB617_215 Depth=1
	s_or_b64 exec, exec, s[16:17]
.LBB617_310:                            ;   in Loop: Header=BB617_215 Depth=1
	s_or_b64 exec, exec, s[14:15]
.LBB617_311:                            ;   in Loop: Header=BB617_215 Depth=1
	s_or_b64 exec, exec, s[12:13]
	v_cvt_pkrtz_f16_f32 v65, v44, v60
	buffer_load_dword v44, v46, s[0:3], 0 offen
	buffer_load_dword v42, v46, s[0:3], 0 offen offset:4
	buffer_load_dword v40, v46, s[0:3], 0 offen offset:8
	;; [unrolled: 1-line block ×3, first 2 shown]
	v_cvt_pkrtz_f16_f32 v64, v57, v58
	v_cvt_pkrtz_f16_f32 v58, v59, v62
	;; [unrolled: 1-line block ×3, first 2 shown]
	v_mfma_f32_16x16x16f16 v[34:37], v[64:65], v[6:7], v[34:37]
	s_waitcnt vmcnt(3)
	v_cmp_ne_u16_sdwa s[14:15], v44, v54 src0_sel:BYTE_0 src1_sel:DWORD
	v_mfma_f32_16x16x16f16 v[34:37], v[58:59], v[8:9], v[34:37]
	s_and_saveexec_b64 s[12:13], s[14:15]
	s_cbranch_execz .LBB617_317
; %bb.312:                              ;   in Loop: Header=BB617_215 Depth=1
	v_cmp_ne_u16_sdwa s[16:17], v44, s9 src0_sel:BYTE_0 src1_sel:DWORD
	v_bfrev_b32_e32 v56, 1
	s_and_saveexec_b64 s[14:15], s[16:17]
	s_cbranch_execz .LBB617_316
; %bb.313:                              ;   in Loop: Header=BB617_215 Depth=1
	v_and_b32_e32 v46, 0x7f, v44
	v_cmp_ne_u32_e32 vcc, s19, v46
	v_mov_b32_e32 v56, 0x7f800001
	s_and_saveexec_b64 s[16:17], vcc
	s_cbranch_execz .LBB617_315
; %bb.314:                              ;   in Loop: Header=BB617_215 Depth=1
	v_and_b32_e32 v58, 7, v44
	v_ffbh_u32_e32 v56, v58
	v_min_u32_e32 v60, 32, v56
	v_subrev_u32_e32 v56, 28, v60
	v_lshlrev_b64 v[56:57], v56, v[44:45]
	v_lshrrev_b32_e32 v59, 3, v46
	v_sub_u32_e32 v57, 29, v60
	v_and_b32_e32 v56, 7, v56
	v_cmp_gt_u32_e32 vcc, 8, v46
	v_cndmask_b32_e32 v46, v59, v57, vcc
	v_cndmask_b32_e32 v56, v58, v56, vcc
	v_lshlrev_b32_e32 v57, 24, v44
	v_lshlrev_b32_e32 v56, 20, v56
	v_and_b32_e32 v57, 0x80000000, v57
	v_lshl_add_u32 v46, v46, 23, v55
	v_or3_b32 v56, v57, v46, v56
.LBB617_315:                            ;   in Loop: Header=BB617_215 Depth=1
	s_or_b64 exec, exec, s[16:17]
.LBB617_316:                            ;   in Loop: Header=BB617_215 Depth=1
	s_or_b64 exec, exec, s[14:15]
.LBB617_317:                            ;   in Loop: Header=BB617_215 Depth=1
	s_or_b64 exec, exec, s[12:13]
	v_lshrrev_b16_e32 v46, 8, v44
	v_cmp_ne_u16_e32 vcc, 0, v46
	v_mov_b32_e32 v57, 0
	v_mov_b32_e32 v58, 0
	s_and_saveexec_b64 s[12:13], vcc
	s_cbranch_execz .LBB617_323
; %bb.318:                              ;   in Loop: Header=BB617_215 Depth=1
	v_cmp_ne_u16_e32 vcc, s9, v46
	v_bfrev_b32_e32 v58, 1
	s_and_saveexec_b64 s[14:15], vcc
	s_cbranch_execz .LBB617_322
; %bb.319:                              ;   in Loop: Header=BB617_215 Depth=1
	v_and_b32_e32 v59, 0x7f, v46
	v_cmp_ne_u32_e32 vcc, s19, v59
	v_mov_b32_e32 v58, 0x7f800001
	s_and_saveexec_b64 s[16:17], vcc
	s_cbranch_execz .LBB617_321
; %bb.320:                              ;   in Loop: Header=BB617_215 Depth=1
	v_and_b32_e32 v58, 7, v46
	v_ffbh_u32_e32 v60, v58
	v_min_u32_e32 v63, 32, v60
	v_subrev_u32_e32 v60, 28, v63
	v_lshlrev_b64 v[60:61], v60, v[46:47]
	v_lshrrev_b32_e32 v62, 3, v59
	v_sub_u32_e32 v46, 29, v63
	v_and_b32_e32 v60, 7, v60
	v_cmp_gt_u32_e32 vcc, 8, v59
	v_cndmask_b32_e32 v46, v62, v46, vcc
	v_cndmask_b32_e32 v58, v58, v60, vcc
	v_lshlrev_b32_e32 v59, 16, v44
	v_lshlrev_b32_e32 v58, 20, v58
	v_and_b32_e32 v59, 0x80000000, v59
	v_lshl_add_u32 v46, v46, 23, v55
	v_or3_b32 v58, v59, v46, v58
.LBB617_321:                            ;   in Loop: Header=BB617_215 Depth=1
	s_or_b64 exec, exec, s[16:17]
.LBB617_322:                            ;   in Loop: Header=BB617_215 Depth=1
	s_or_b64 exec, exec, s[14:15]
.LBB617_323:                            ;   in Loop: Header=BB617_215 Depth=1
	s_or_b64 exec, exec, s[12:13]
	v_lshrrev_b32_e32 v46, 16, v44
	v_cmp_ne_u16_sdwa s[14:15], v46, v54 src0_sel:BYTE_0 src1_sel:DWORD
	s_and_saveexec_b64 s[12:13], s[14:15]
	s_cbranch_execz .LBB617_329
; %bb.324:                              ;   in Loop: Header=BB617_215 Depth=1
	v_cmp_ne_u16_sdwa s[16:17], v46, s9 src0_sel:BYTE_0 src1_sel:DWORD
	v_bfrev_b32_e32 v57, 1
	s_and_saveexec_b64 s[14:15], s[16:17]
	s_cbranch_execz .LBB617_328
; %bb.325:                              ;   in Loop: Header=BB617_215 Depth=1
	v_bfe_u32 v59, v44, 16, 7
	v_cmp_ne_u32_e32 vcc, s19, v59
	v_mov_b32_e32 v57, 0x7f800001
	s_and_saveexec_b64 s[16:17], vcc
	s_cbranch_execz .LBB617_327
; %bb.326:                              ;   in Loop: Header=BB617_215 Depth=1
	v_and_b32_e32 v57, 7, v46
	v_ffbh_u32_e32 v60, v57
	v_min_u32_e32 v63, 32, v60
	v_subrev_u32_e32 v60, 28, v63
	v_lshlrev_b64 v[60:61], v60, v[46:47]
	v_lshrrev_b32_e32 v62, 3, v59
	v_sub_u32_e32 v61, 29, v63
	v_and_b32_e32 v60, 7, v60
	v_cmp_gt_u32_e32 vcc, 8, v59
	v_cndmask_b32_e32 v59, v62, v61, vcc
	v_cndmask_b32_e32 v57, v57, v60, vcc
	v_lshlrev_b32_e32 v46, 24, v46
	v_lshlrev_b32_e32 v57, 20, v57
	v_and_b32_e32 v46, 0x80000000, v46
	v_lshl_add_u32 v59, v59, 23, v55
	v_or3_b32 v57, v46, v59, v57
.LBB617_327:                            ;   in Loop: Header=BB617_215 Depth=1
	s_or_b64 exec, exec, s[16:17]
.LBB617_328:                            ;   in Loop: Header=BB617_215 Depth=1
	s_or_b64 exec, exec, s[14:15]
.LBB617_329:                            ;   in Loop: Header=BB617_215 Depth=1
	s_or_b64 exec, exec, s[12:13]
	v_cmp_lt_u32_e32 vcc, s20, v44
	v_mov_b32_e32 v59, 0
	v_mov_b32_e32 v60, 0
	s_and_saveexec_b64 s[12:13], vcc
	s_cbranch_execz .LBB617_335
; %bb.330:                              ;   in Loop: Header=BB617_215 Depth=1
	v_lshrrev_b32_e32 v46, 24, v44
	v_cmp_ne_u32_e32 vcc, s9, v46
	v_bfrev_b32_e32 v60, 1
	s_and_saveexec_b64 s[14:15], vcc
	s_cbranch_execz .LBB617_334
; %bb.331:                              ;   in Loop: Header=BB617_215 Depth=1
	v_bfe_u32 v44, v44, 24, 7
	v_cmp_ne_u32_e32 vcc, s19, v44
	v_mov_b32_e32 v60, 0x7f800001
	s_and_saveexec_b64 s[16:17], vcc
	s_cbranch_execz .LBB617_333
; %bb.332:                              ;   in Loop: Header=BB617_215 Depth=1
	v_and_b32_e32 v62, 7, v46
	v_ffbh_u32_e32 v60, v62
	v_min_u32_e32 v64, 32, v60
	v_subrev_u32_e32 v60, 28, v64
	v_lshlrev_b64 v[60:61], v60, v[46:47]
	v_lshrrev_b32_e32 v63, 3, v44
	v_sub_u32_e32 v61, 29, v64
	v_and_b32_e32 v60, 7, v60
	v_cmp_gt_u32_e32 vcc, 8, v44
	v_cndmask_b32_e32 v44, v63, v61, vcc
	v_cndmask_b32_e32 v60, v62, v60, vcc
	v_lshlrev_b32_e32 v46, 24, v46
	v_lshlrev_b32_e32 v60, 20, v60
	v_and_b32_e32 v46, 0x80000000, v46
	v_lshl_add_u32 v44, v44, 23, v55
	v_or3_b32 v60, v46, v44, v60
.LBB617_333:                            ;   in Loop: Header=BB617_215 Depth=1
	s_or_b64 exec, exec, s[16:17]
.LBB617_334:                            ;   in Loop: Header=BB617_215 Depth=1
	s_or_b64 exec, exec, s[14:15]
.LBB617_335:                            ;   in Loop: Header=BB617_215 Depth=1
	s_or_b64 exec, exec, s[12:13]
	s_waitcnt vmcnt(2)
	v_cmp_ne_u16_sdwa s[14:15], v42, v54 src0_sel:BYTE_0 src1_sel:DWORD
	s_and_saveexec_b64 s[12:13], s[14:15]
	s_cbranch_execz .LBB617_341
; %bb.336:                              ;   in Loop: Header=BB617_215 Depth=1
	v_cmp_ne_u16_sdwa s[16:17], v42, s9 src0_sel:BYTE_0 src1_sel:DWORD
	v_bfrev_b32_e32 v59, 1
	s_and_saveexec_b64 s[14:15], s[16:17]
	s_cbranch_execz .LBB617_340
; %bb.337:                              ;   in Loop: Header=BB617_215 Depth=1
	v_and_b32_e32 v44, 0x7f, v42
	v_cmp_ne_u32_e32 vcc, s19, v44
	v_mov_b32_e32 v59, 0x7f800001
	s_and_saveexec_b64 s[16:17], vcc
	s_cbranch_execz .LBB617_339
; %bb.338:                              ;   in Loop: Header=BB617_215 Depth=1
	v_and_b32_e32 v46, 7, v42
	v_ffbh_u32_e32 v61, v46
	v_min_u32_e32 v61, 32, v61
	v_subrev_u32_e32 v62, 28, v61
	v_lshlrev_b64 v[62:63], v62, v[42:43]
	v_lshrrev_b32_e32 v59, 3, v44
	v_sub_u32_e32 v61, 29, v61
	v_and_b32_e32 v62, 7, v62
	v_cmp_gt_u32_e32 vcc, 8, v44
	v_cndmask_b32_e32 v44, v59, v61, vcc
	v_cndmask_b32_e32 v46, v46, v62, vcc
	v_lshlrev_b32_e32 v59, 24, v42
	v_lshlrev_b32_e32 v46, 20, v46
	v_and_b32_e32 v59, 0x80000000, v59
	v_lshl_add_u32 v44, v44, 23, v55
	v_or3_b32 v59, v59, v44, v46
.LBB617_339:                            ;   in Loop: Header=BB617_215 Depth=1
	s_or_b64 exec, exec, s[16:17]
.LBB617_340:                            ;   in Loop: Header=BB617_215 Depth=1
	s_or_b64 exec, exec, s[14:15]
.LBB617_341:                            ;   in Loop: Header=BB617_215 Depth=1
	s_or_b64 exec, exec, s[12:13]
	v_lshrrev_b16_e32 v44, 8, v42
	v_cmp_ne_u16_e32 vcc, 0, v44
	v_mov_b32_e32 v61, 0
	v_mov_b32_e32 v62, 0
	s_and_saveexec_b64 s[12:13], vcc
	s_cbranch_execz .LBB617_347
; %bb.342:                              ;   in Loop: Header=BB617_215 Depth=1
	v_cmp_ne_u16_e32 vcc, s9, v44
	v_bfrev_b32_e32 v62, 1
	s_and_saveexec_b64 s[14:15], vcc
	s_cbranch_execz .LBB617_346
; %bb.343:                              ;   in Loop: Header=BB617_215 Depth=1
	v_and_b32_e32 v46, 0x7f, v44
	v_cmp_ne_u32_e32 vcc, s19, v46
	v_mov_b32_e32 v62, 0x7f800001
	s_and_saveexec_b64 s[16:17], vcc
	s_cbranch_execz .LBB617_345
; %bb.344:                              ;   in Loop: Header=BB617_215 Depth=1
	v_and_b32_e32 v64, 7, v44
	v_ffbh_u32_e32 v62, v64
	v_min_u32_e32 v66, 32, v62
	v_subrev_u32_e32 v62, 28, v66
	v_lshlrev_b64 v[62:63], v62, v[44:45]
	v_lshrrev_b32_e32 v65, 3, v46
	v_sub_u32_e32 v44, 29, v66
	v_and_b32_e32 v62, 7, v62
	v_cmp_gt_u32_e32 vcc, 8, v46
	v_cndmask_b32_e32 v44, v65, v44, vcc
	v_cndmask_b32_e32 v46, v64, v62, vcc
	v_lshlrev_b32_e32 v62, 16, v42
	v_lshlrev_b32_e32 v46, 20, v46
	v_and_b32_e32 v62, 0x80000000, v62
	v_lshl_add_u32 v44, v44, 23, v55
	v_or3_b32 v62, v62, v44, v46
.LBB617_345:                            ;   in Loop: Header=BB617_215 Depth=1
	s_or_b64 exec, exec, s[16:17]
.LBB617_346:                            ;   in Loop: Header=BB617_215 Depth=1
	s_or_b64 exec, exec, s[14:15]
.LBB617_347:                            ;   in Loop: Header=BB617_215 Depth=1
	s_or_b64 exec, exec, s[12:13]
	v_lshrrev_b32_e32 v44, 16, v42
	v_cmp_ne_u16_sdwa s[14:15], v44, v54 src0_sel:BYTE_0 src1_sel:DWORD
	s_and_saveexec_b64 s[12:13], s[14:15]
	s_cbranch_execz .LBB617_353
; %bb.348:                              ;   in Loop: Header=BB617_215 Depth=1
	v_cmp_ne_u16_sdwa s[16:17], v44, s9 src0_sel:BYTE_0 src1_sel:DWORD
	v_bfrev_b32_e32 v61, 1
	s_and_saveexec_b64 s[14:15], s[16:17]
	s_cbranch_execz .LBB617_352
; %bb.349:                              ;   in Loop: Header=BB617_215 Depth=1
	v_bfe_u32 v46, v42, 16, 7
	v_cmp_ne_u32_e32 vcc, s19, v46
	v_mov_b32_e32 v61, 0x7f800001
	s_and_saveexec_b64 s[16:17], vcc
	s_cbranch_execz .LBB617_351
; %bb.350:                              ;   in Loop: Header=BB617_215 Depth=1
	v_and_b32_e32 v61, 7, v44
	v_ffbh_u32_e32 v64, v61
	v_min_u32_e32 v66, 32, v64
	v_subrev_u32_e32 v64, 28, v66
	v_lshlrev_b64 v[64:65], v64, v[44:45]
	v_lshrrev_b32_e32 v63, 3, v46
	v_sub_u32_e32 v65, 29, v66
	v_and_b32_e32 v64, 7, v64
	v_cmp_gt_u32_e32 vcc, 8, v46
	v_cndmask_b32_e32 v46, v63, v65, vcc
	v_cndmask_b32_e32 v61, v61, v64, vcc
	v_lshlrev_b32_e32 v44, 24, v44
	v_lshlrev_b32_e32 v61, 20, v61
	v_and_b32_e32 v44, 0x80000000, v44
	v_lshl_add_u32 v46, v46, 23, v55
	v_or3_b32 v61, v44, v46, v61
.LBB617_351:                            ;   in Loop: Header=BB617_215 Depth=1
	s_or_b64 exec, exec, s[16:17]
.LBB617_352:                            ;   in Loop: Header=BB617_215 Depth=1
	s_or_b64 exec, exec, s[14:15]
.LBB617_353:                            ;   in Loop: Header=BB617_215 Depth=1
	s_or_b64 exec, exec, s[12:13]
	v_cmp_lt_u32_e32 vcc, s20, v42
	v_mov_b32_e32 v46, 0
	v_mov_b32_e32 v63, 0
	s_and_saveexec_b64 s[12:13], vcc
	s_cbranch_execz .LBB617_359
; %bb.354:                              ;   in Loop: Header=BB617_215 Depth=1
	v_lshrrev_b32_e32 v44, 24, v42
	v_cmp_ne_u32_e32 vcc, s9, v44
	v_bfrev_b32_e32 v63, 1
	s_and_saveexec_b64 s[14:15], vcc
	s_cbranch_execz .LBB617_358
; %bb.355:                              ;   in Loop: Header=BB617_215 Depth=1
	v_bfe_u32 v42, v42, 24, 7
	v_cmp_ne_u32_e32 vcc, s19, v42
	v_mov_b32_e32 v63, 0x7f800001
	s_and_saveexec_b64 s[16:17], vcc
	s_cbranch_execz .LBB617_357
; %bb.356:                              ;   in Loop: Header=BB617_215 Depth=1
	v_and_b32_e32 v63, 7, v44
	v_ffbh_u32_e32 v64, v63
	v_min_u32_e32 v67, 32, v64
	v_subrev_u32_e32 v64, 28, v67
	v_lshlrev_b64 v[64:65], v64, v[44:45]
	v_lshrrev_b32_e32 v66, 3, v42
	v_sub_u32_e32 v65, 29, v67
	v_and_b32_e32 v64, 7, v64
	v_cmp_gt_u32_e32 vcc, 8, v42
	v_cndmask_b32_e32 v42, v66, v65, vcc
	v_cndmask_b32_e32 v63, v63, v64, vcc
	v_lshlrev_b32_e32 v44, 24, v44
	v_lshlrev_b32_e32 v63, 20, v63
	v_and_b32_e32 v44, 0x80000000, v44
	v_lshl_add_u32 v42, v42, 23, v55
	v_or3_b32 v63, v44, v42, v63
.LBB617_357:                            ;   in Loop: Header=BB617_215 Depth=1
	s_or_b64 exec, exec, s[16:17]
.LBB617_358:                            ;   in Loop: Header=BB617_215 Depth=1
	s_or_b64 exec, exec, s[14:15]
.LBB617_359:                            ;   in Loop: Header=BB617_215 Depth=1
	s_or_b64 exec, exec, s[12:13]
	v_cvt_pkrtz_f16_f32 v56, v56, v58
	v_cvt_pkrtz_f16_f32 v57, v57, v60
	s_waitcnt vmcnt(1)
	v_cmp_ne_u16_sdwa s[14:15], v40, v54 src0_sel:BYTE_0 src1_sel:DWORD
	v_mfma_f32_16x16x16f16 v[34:37], v[56:57], v[10:11], v[34:37]
	v_cvt_pkrtz_f16_f32 v56, v59, v62
	v_cvt_pkrtz_f16_f32 v57, v61, v63
	s_nop 1
	v_mfma_f32_16x16x16f16 v[34:37], v[56:57], v[12:13], v[34:37]
	s_and_saveexec_b64 s[12:13], s[14:15]
	s_cbranch_execz .LBB617_365
; %bb.360:                              ;   in Loop: Header=BB617_215 Depth=1
	v_cmp_ne_u16_sdwa s[16:17], v40, s9 src0_sel:BYTE_0 src1_sel:DWORD
	v_bfrev_b32_e32 v46, 1
	s_and_saveexec_b64 s[14:15], s[16:17]
	s_cbranch_execz .LBB617_364
; %bb.361:                              ;   in Loop: Header=BB617_215 Depth=1
	v_and_b32_e32 v42, 0x7f, v40
	v_cmp_ne_u32_e32 vcc, s19, v42
	v_mov_b32_e32 v46, 0x7f800001
	s_and_saveexec_b64 s[16:17], vcc
	s_cbranch_execz .LBB617_363
; %bb.362:                              ;   in Loop: Header=BB617_215 Depth=1
	v_and_b32_e32 v44, 7, v40
	v_ffbh_u32_e32 v56, v44
	v_min_u32_e32 v58, 32, v56
	v_subrev_u32_e32 v56, 28, v58
	v_lshlrev_b64 v[56:57], v56, v[40:41]
	v_lshrrev_b32_e32 v46, 3, v42
	v_sub_u32_e32 v57, 29, v58
	v_and_b32_e32 v56, 7, v56
	v_cmp_gt_u32_e32 vcc, 8, v42
	v_cndmask_b32_e32 v42, v46, v57, vcc
	v_cndmask_b32_e32 v44, v44, v56, vcc
	v_lshlrev_b32_e32 v46, 24, v40
	v_lshlrev_b32_e32 v44, 20, v44
	v_and_b32_e32 v46, 0x80000000, v46
	v_lshl_add_u32 v42, v42, 23, v55
	v_or3_b32 v46, v46, v42, v44
.LBB617_363:                            ;   in Loop: Header=BB617_215 Depth=1
	s_or_b64 exec, exec, s[16:17]
.LBB617_364:                            ;   in Loop: Header=BB617_215 Depth=1
	s_or_b64 exec, exec, s[14:15]
.LBB617_365:                            ;   in Loop: Header=BB617_215 Depth=1
	s_or_b64 exec, exec, s[12:13]
	v_lshrrev_b16_e32 v42, 8, v40
	v_cmp_ne_u16_e32 vcc, 0, v42
	v_mov_b32_e32 v44, 0
	v_mov_b32_e32 v57, 0
	s_and_saveexec_b64 s[12:13], vcc
	s_cbranch_execz .LBB617_371
; %bb.366:                              ;   in Loop: Header=BB617_215 Depth=1
	v_cmp_ne_u16_e32 vcc, s9, v42
	v_bfrev_b32_e32 v57, 1
	s_and_saveexec_b64 s[14:15], vcc
	s_cbranch_execz .LBB617_370
; %bb.367:                              ;   in Loop: Header=BB617_215 Depth=1
	v_and_b32_e32 v56, 0x7f, v42
	v_cmp_ne_u32_e32 vcc, s19, v56
	v_mov_b32_e32 v57, 0x7f800001
	s_and_saveexec_b64 s[16:17], vcc
	s_cbranch_execz .LBB617_369
; %bb.368:                              ;   in Loop: Header=BB617_215 Depth=1
	v_and_b32_e32 v57, 7, v42
	v_ffbh_u32_e32 v58, v57
	v_min_u32_e32 v61, 32, v58
	v_subrev_u32_e32 v58, 28, v61
	v_lshlrev_b64 v[58:59], v58, v[42:43]
	v_lshrrev_b32_e32 v60, 3, v56
	v_sub_u32_e32 v42, 29, v61
	v_and_b32_e32 v58, 7, v58
	v_cmp_gt_u32_e32 vcc, 8, v56
	v_cndmask_b32_e32 v42, v60, v42, vcc
	v_cndmask_b32_e32 v56, v57, v58, vcc
	v_lshlrev_b32_e32 v57, 16, v40
	v_lshlrev_b32_e32 v56, 20, v56
	v_and_b32_e32 v57, 0x80000000, v57
	v_lshl_add_u32 v42, v42, 23, v55
	v_or3_b32 v57, v57, v42, v56
.LBB617_369:                            ;   in Loop: Header=BB617_215 Depth=1
	s_or_b64 exec, exec, s[16:17]
.LBB617_370:                            ;   in Loop: Header=BB617_215 Depth=1
	s_or_b64 exec, exec, s[14:15]
.LBB617_371:                            ;   in Loop: Header=BB617_215 Depth=1
	s_or_b64 exec, exec, s[12:13]
	v_lshrrev_b32_e32 v42, 16, v40
	v_cmp_ne_u16_sdwa s[14:15], v42, v54 src0_sel:BYTE_0 src1_sel:DWORD
	s_and_saveexec_b64 s[12:13], s[14:15]
	s_cbranch_execz .LBB617_377
; %bb.372:                              ;   in Loop: Header=BB617_215 Depth=1
	v_cmp_ne_u16_sdwa s[16:17], v42, s9 src0_sel:BYTE_0 src1_sel:DWORD
	v_bfrev_b32_e32 v44, 1
	s_and_saveexec_b64 s[14:15], s[16:17]
	s_cbranch_execz .LBB617_376
; %bb.373:                              ;   in Loop: Header=BB617_215 Depth=1
	v_bfe_u32 v56, v40, 16, 7
	v_cmp_ne_u32_e32 vcc, s19, v56
	v_mov_b32_e32 v44, 0x7f800001
	s_and_saveexec_b64 s[16:17], vcc
	s_cbranch_execz .LBB617_375
; %bb.374:                              ;   in Loop: Header=BB617_215 Depth=1
	v_and_b32_e32 v44, 7, v42
	v_ffbh_u32_e32 v58, v44
	v_min_u32_e32 v61, 32, v58
	v_subrev_u32_e32 v58, 28, v61
	v_lshlrev_b64 v[58:59], v58, v[42:43]
	v_lshrrev_b32_e32 v60, 3, v56
	v_sub_u32_e32 v59, 29, v61
	v_and_b32_e32 v58, 7, v58
	v_cmp_gt_u32_e32 vcc, 8, v56
	v_cndmask_b32_e32 v56, v60, v59, vcc
	v_cndmask_b32_e32 v44, v44, v58, vcc
	v_lshlrev_b32_e32 v42, 24, v42
	v_lshlrev_b32_e32 v44, 20, v44
	v_and_b32_e32 v42, 0x80000000, v42
	v_lshl_add_u32 v56, v56, 23, v55
	v_or3_b32 v44, v42, v56, v44
.LBB617_375:                            ;   in Loop: Header=BB617_215 Depth=1
	s_or_b64 exec, exec, s[16:17]
.LBB617_376:                            ;   in Loop: Header=BB617_215 Depth=1
	s_or_b64 exec, exec, s[14:15]
.LBB617_377:                            ;   in Loop: Header=BB617_215 Depth=1
	s_or_b64 exec, exec, s[12:13]
	v_cmp_lt_u32_e32 vcc, s20, v40
	v_mov_b32_e32 v58, 0
	v_mov_b32_e32 v59, 0
	s_and_saveexec_b64 s[12:13], vcc
	s_cbranch_execz .LBB617_383
; %bb.378:                              ;   in Loop: Header=BB617_215 Depth=1
	v_lshrrev_b32_e32 v42, 24, v40
	v_cmp_ne_u32_e32 vcc, s9, v42
	v_bfrev_b32_e32 v59, 1
	s_and_saveexec_b64 s[14:15], vcc
	s_cbranch_execz .LBB617_382
; %bb.379:                              ;   in Loop: Header=BB617_215 Depth=1
	v_bfe_u32 v40, v40, 24, 7
	v_cmp_ne_u32_e32 vcc, s19, v40
	v_mov_b32_e32 v59, 0x7f800001
	s_and_saveexec_b64 s[16:17], vcc
	s_cbranch_execz .LBB617_381
; %bb.380:                              ;   in Loop: Header=BB617_215 Depth=1
	v_and_b32_e32 v56, 7, v42
	v_ffbh_u32_e32 v60, v56
	v_min_u32_e32 v62, 32, v60
	v_subrev_u32_e32 v60, 28, v62
	v_lshlrev_b64 v[60:61], v60, v[42:43]
	v_lshrrev_b32_e32 v59, 3, v40
	v_sub_u32_e32 v61, 29, v62
	v_and_b32_e32 v60, 7, v60
	v_cmp_gt_u32_e32 vcc, 8, v40
	v_cndmask_b32_e32 v40, v59, v61, vcc
	v_cndmask_b32_e32 v56, v56, v60, vcc
	v_lshlrev_b32_e32 v42, 24, v42
	v_lshlrev_b32_e32 v56, 20, v56
	v_and_b32_e32 v42, 0x80000000, v42
	v_lshl_add_u32 v40, v40, 23, v55
	v_or3_b32 v59, v42, v40, v56
.LBB617_381:                            ;   in Loop: Header=BB617_215 Depth=1
	s_or_b64 exec, exec, s[16:17]
.LBB617_382:                            ;   in Loop: Header=BB617_215 Depth=1
	s_or_b64 exec, exec, s[14:15]
.LBB617_383:                            ;   in Loop: Header=BB617_215 Depth=1
	s_or_b64 exec, exec, s[12:13]
	s_waitcnt vmcnt(0)
	v_cmp_ne_u16_sdwa s[14:15], v38, v54 src0_sel:BYTE_0 src1_sel:DWORD
	s_and_saveexec_b64 s[12:13], s[14:15]
	s_cbranch_execz .LBB617_389
; %bb.384:                              ;   in Loop: Header=BB617_215 Depth=1
	v_cmp_ne_u16_sdwa s[16:17], v38, s9 src0_sel:BYTE_0 src1_sel:DWORD
	v_bfrev_b32_e32 v58, 1
	s_and_saveexec_b64 s[14:15], s[16:17]
	s_cbranch_execz .LBB617_388
; %bb.385:                              ;   in Loop: Header=BB617_215 Depth=1
	v_and_b32_e32 v40, 0x7f, v38
	v_cmp_ne_u32_e32 vcc, s19, v40
	v_mov_b32_e32 v58, 0x7f800001
	s_and_saveexec_b64 s[16:17], vcc
	s_cbranch_execz .LBB617_387
; %bb.386:                              ;   in Loop: Header=BB617_215 Depth=1
	v_and_b32_e32 v42, 7, v38
	v_ffbh_u32_e32 v58, v42
	v_min_u32_e32 v58, 32, v58
	v_subrev_u32_e32 v60, 28, v58
	v_lshlrev_b64 v[60:61], v60, v[38:39]
	v_lshrrev_b32_e32 v56, 3, v40
	v_sub_u32_e32 v58, 29, v58
	v_and_b32_e32 v60, 7, v60
	v_cmp_gt_u32_e32 vcc, 8, v40
	v_cndmask_b32_e32 v40, v56, v58, vcc
	v_cndmask_b32_e32 v42, v42, v60, vcc
	v_lshlrev_b32_e32 v56, 24, v38
	v_lshlrev_b32_e32 v42, 20, v42
	v_and_b32_e32 v56, 0x80000000, v56
	v_lshl_add_u32 v40, v40, 23, v55
	v_or3_b32 v58, v56, v40, v42
.LBB617_387:                            ;   in Loop: Header=BB617_215 Depth=1
	s_or_b64 exec, exec, s[16:17]
.LBB617_388:                            ;   in Loop: Header=BB617_215 Depth=1
	s_or_b64 exec, exec, s[14:15]
.LBB617_389:                            ;   in Loop: Header=BB617_215 Depth=1
	s_or_b64 exec, exec, s[12:13]
	v_lshrrev_b16_e32 v40, 8, v38
	v_cmp_ne_u16_e32 vcc, 0, v40
	v_mov_b32_e32 v60, 0
	v_mov_b32_e32 v61, 0
	s_and_saveexec_b64 s[12:13], vcc
	s_cbranch_execz .LBB617_395
; %bb.390:                              ;   in Loop: Header=BB617_215 Depth=1
	v_cmp_ne_u16_e32 vcc, s9, v40
	v_bfrev_b32_e32 v61, 1
	s_and_saveexec_b64 s[14:15], vcc
	s_cbranch_execz .LBB617_394
; %bb.391:                              ;   in Loop: Header=BB617_215 Depth=1
	v_and_b32_e32 v42, 0x7f, v40
	v_cmp_ne_u32_e32 vcc, s19, v42
	v_mov_b32_e32 v61, 0x7f800001
	s_and_saveexec_b64 s[16:17], vcc
	s_cbranch_execz .LBB617_393
; %bb.392:                              ;   in Loop: Header=BB617_215 Depth=1
	v_and_b32_e32 v56, 7, v40
	v_ffbh_u32_e32 v62, v56
	v_min_u32_e32 v64, 32, v62
	v_subrev_u32_e32 v62, 28, v64
	v_lshlrev_b64 v[62:63], v62, v[40:41]
	v_lshrrev_b32_e32 v61, 3, v42
	v_sub_u32_e32 v40, 29, v64
	v_and_b32_e32 v62, 7, v62
	v_cmp_gt_u32_e32 vcc, 8, v42
	v_cndmask_b32_e32 v40, v61, v40, vcc
	v_cndmask_b32_e32 v42, v56, v62, vcc
	v_lshlrev_b32_e32 v56, 16, v38
	v_lshlrev_b32_e32 v42, 20, v42
	v_and_b32_e32 v56, 0x80000000, v56
	v_lshl_add_u32 v40, v40, 23, v55
	v_or3_b32 v61, v56, v40, v42
.LBB617_393:                            ;   in Loop: Header=BB617_215 Depth=1
	s_or_b64 exec, exec, s[16:17]
.LBB617_394:                            ;   in Loop: Header=BB617_215 Depth=1
	s_or_b64 exec, exec, s[14:15]
.LBB617_395:                            ;   in Loop: Header=BB617_215 Depth=1
	s_or_b64 exec, exec, s[12:13]
	v_lshrrev_b32_e32 v40, 16, v38
	v_cmp_ne_u16_sdwa s[14:15], v40, v54 src0_sel:BYTE_0 src1_sel:DWORD
	s_and_saveexec_b64 s[12:13], s[14:15]
	s_cbranch_execz .LBB617_401
; %bb.396:                              ;   in Loop: Header=BB617_215 Depth=1
	v_cmp_ne_u16_sdwa s[16:17], v40, s9 src0_sel:BYTE_0 src1_sel:DWORD
	v_bfrev_b32_e32 v60, 1
	s_and_saveexec_b64 s[14:15], s[16:17]
	s_cbranch_execz .LBB617_400
; %bb.397:                              ;   in Loop: Header=BB617_215 Depth=1
	v_bfe_u32 v42, v38, 16, 7
	v_cmp_ne_u32_e32 vcc, s19, v42
	v_mov_b32_e32 v60, 0x7f800001
	s_and_saveexec_b64 s[16:17], vcc
	s_cbranch_execz .LBB617_399
; %bb.398:                              ;   in Loop: Header=BB617_215 Depth=1
	v_and_b32_e32 v56, 7, v40
	v_ffbh_u32_e32 v62, v56
	v_min_u32_e32 v64, 32, v62
	v_subrev_u32_e32 v62, 28, v64
	v_lshlrev_b64 v[62:63], v62, v[40:41]
	v_lshrrev_b32_e32 v60, 3, v42
	v_sub_u32_e32 v63, 29, v64
	v_and_b32_e32 v62, 7, v62
	v_cmp_gt_u32_e32 vcc, 8, v42
	v_cndmask_b32_e32 v42, v60, v63, vcc
	v_cndmask_b32_e32 v56, v56, v62, vcc
	v_lshlrev_b32_e32 v40, 24, v40
	v_lshlrev_b32_e32 v56, 20, v56
	v_and_b32_e32 v40, 0x80000000, v40
	v_lshl_add_u32 v42, v42, 23, v55
	v_or3_b32 v60, v40, v42, v56
.LBB617_399:                            ;   in Loop: Header=BB617_215 Depth=1
	s_or_b64 exec, exec, s[16:17]
.LBB617_400:                            ;   in Loop: Header=BB617_215 Depth=1
	s_or_b64 exec, exec, s[14:15]
.LBB617_401:                            ;   in Loop: Header=BB617_215 Depth=1
	s_or_b64 exec, exec, s[12:13]
	v_cmp_lt_u32_e32 vcc, s20, v38
	v_mov_b32_e32 v56, 0
	v_mov_b32_e32 v62, 0
	s_and_saveexec_b64 s[12:13], vcc
	s_cbranch_execz .LBB617_407
; %bb.402:                              ;   in Loop: Header=BB617_215 Depth=1
	v_lshrrev_b32_e32 v40, 24, v38
	v_cmp_ne_u32_e32 vcc, s9, v40
	v_bfrev_b32_e32 v62, 1
	s_and_saveexec_b64 s[14:15], vcc
	s_cbranch_execz .LBB617_406
; %bb.403:                              ;   in Loop: Header=BB617_215 Depth=1
	v_bfe_u32 v38, v38, 24, 7
	v_cmp_ne_u32_e32 vcc, s19, v38
	v_mov_b32_e32 v62, 0x7f800001
	s_and_saveexec_b64 s[16:17], vcc
	s_cbranch_execz .LBB617_405
; %bb.404:                              ;   in Loop: Header=BB617_215 Depth=1
	v_and_b32_e32 v42, 7, v40
	v_ffbh_u32_e32 v62, v42
	v_min_u32_e32 v65, 32, v62
	v_subrev_u32_e32 v62, 28, v65
	v_lshlrev_b64 v[62:63], v62, v[40:41]
	v_lshrrev_b32_e32 v64, 3, v38
	v_sub_u32_e32 v63, 29, v65
	v_and_b32_e32 v62, 7, v62
	v_cmp_gt_u32_e32 vcc, 8, v38
	v_cndmask_b32_e32 v38, v64, v63, vcc
	v_cndmask_b32_e32 v42, v42, v62, vcc
	v_lshlrev_b32_e32 v40, 24, v40
	v_lshlrev_b32_e32 v42, 20, v42
	v_and_b32_e32 v40, 0x80000000, v40
	v_lshl_add_u32 v38, v38, 23, v55
	v_or3_b32 v62, v40, v38, v42
.LBB617_405:                            ;   in Loop: Header=BB617_215 Depth=1
	s_or_b64 exec, exec, s[16:17]
.LBB617_406:                            ;   in Loop: Header=BB617_215 Depth=1
	s_or_b64 exec, exec, s[14:15]
.LBB617_407:                            ;   in Loop: Header=BB617_215 Depth=1
	s_or_b64 exec, exec, s[12:13]
	v_cvt_pkrtz_f16_f32 v65, v44, v59
	buffer_load_dword v44, v51, s[0:3], 0 offen
	buffer_load_dword v42, v51, s[0:3], 0 offen offset:4
	buffer_load_dword v40, v51, s[0:3], 0 offen offset:8
	;; [unrolled: 1-line block ×3, first 2 shown]
	v_cvt_pkrtz_f16_f32 v64, v46, v57
	v_cvt_pkrtz_f16_f32 v58, v58, v61
	;; [unrolled: 1-line block ×3, first 2 shown]
	v_mfma_f32_16x16x16f16 v[34:37], v[64:65], v[14:15], v[34:37]
	s_waitcnt vmcnt(3)
	v_cmp_ne_u16_sdwa s[14:15], v44, v54 src0_sel:BYTE_0 src1_sel:DWORD
	v_mfma_f32_16x16x16f16 v[34:37], v[58:59], v[16:17], v[34:37]
	s_and_saveexec_b64 s[12:13], s[14:15]
	s_cbranch_execz .LBB617_413
; %bb.408:                              ;   in Loop: Header=BB617_215 Depth=1
	v_cmp_ne_u16_sdwa s[16:17], v44, s9 src0_sel:BYTE_0 src1_sel:DWORD
	v_bfrev_b32_e32 v56, 1
	s_and_saveexec_b64 s[14:15], s[16:17]
	s_cbranch_execz .LBB617_412
; %bb.409:                              ;   in Loop: Header=BB617_215 Depth=1
	v_and_b32_e32 v46, 0x7f, v44
	v_cmp_ne_u32_e32 vcc, s19, v46
	v_mov_b32_e32 v56, 0x7f800001
	s_and_saveexec_b64 s[16:17], vcc
	s_cbranch_execz .LBB617_411
; %bb.410:                              ;   in Loop: Header=BB617_215 Depth=1
	v_and_b32_e32 v51, 7, v44
	v_ffbh_u32_e32 v56, v51
	v_min_u32_e32 v59, 32, v56
	v_subrev_u32_e32 v56, 28, v59
	v_lshlrev_b64 v[56:57], v56, v[44:45]
	v_lshrrev_b32_e32 v58, 3, v46
	v_sub_u32_e32 v57, 29, v59
	v_and_b32_e32 v56, 7, v56
	v_cmp_gt_u32_e32 vcc, 8, v46
	v_cndmask_b32_e32 v46, v58, v57, vcc
	v_cndmask_b32_e32 v51, v51, v56, vcc
	v_lshlrev_b32_e32 v56, 24, v44
	v_lshlrev_b32_e32 v51, 20, v51
	v_and_b32_e32 v56, 0x80000000, v56
	v_lshl_add_u32 v46, v46, 23, v55
	v_or3_b32 v56, v56, v46, v51
.LBB617_411:                            ;   in Loop: Header=BB617_215 Depth=1
	s_or_b64 exec, exec, s[16:17]
.LBB617_412:                            ;   in Loop: Header=BB617_215 Depth=1
	s_or_b64 exec, exec, s[14:15]
.LBB617_413:                            ;   in Loop: Header=BB617_215 Depth=1
	s_or_b64 exec, exec, s[12:13]
	v_lshrrev_b16_e32 v46, 8, v44
	v_cmp_ne_u16_e32 vcc, 0, v46
	v_mov_b32_e32 v51, 0
	v_mov_b32_e32 v57, 0
	s_and_saveexec_b64 s[12:13], vcc
	s_cbranch_execz .LBB617_419
; %bb.414:                              ;   in Loop: Header=BB617_215 Depth=1
	v_cmp_ne_u16_e32 vcc, s9, v46
	v_bfrev_b32_e32 v57, 1
	s_and_saveexec_b64 s[14:15], vcc
	s_cbranch_execz .LBB617_418
; %bb.415:                              ;   in Loop: Header=BB617_215 Depth=1
	v_and_b32_e32 v58, 0x7f, v46
	v_cmp_ne_u32_e32 vcc, s19, v58
	v_mov_b32_e32 v57, 0x7f800001
	s_and_saveexec_b64 s[16:17], vcc
	s_cbranch_execz .LBB617_417
; %bb.416:                              ;   in Loop: Header=BB617_215 Depth=1
	v_and_b32_e32 v57, 7, v46
	v_ffbh_u32_e32 v60, v57
	v_min_u32_e32 v62, 32, v60
	v_subrev_u32_e32 v60, 28, v62
	v_lshlrev_b64 v[60:61], v60, v[46:47]
	v_lshrrev_b32_e32 v59, 3, v58
	v_sub_u32_e32 v46, 29, v62
	v_and_b32_e32 v60, 7, v60
	v_cmp_gt_u32_e32 vcc, 8, v58
	v_cndmask_b32_e32 v46, v59, v46, vcc
	v_cndmask_b32_e32 v57, v57, v60, vcc
	v_lshlrev_b32_e32 v58, 16, v44
	v_lshlrev_b32_e32 v57, 20, v57
	v_and_b32_e32 v58, 0x80000000, v58
	v_lshl_add_u32 v46, v46, 23, v55
	v_or3_b32 v57, v58, v46, v57
.LBB617_417:                            ;   in Loop: Header=BB617_215 Depth=1
	s_or_b64 exec, exec, s[16:17]
.LBB617_418:                            ;   in Loop: Header=BB617_215 Depth=1
	s_or_b64 exec, exec, s[14:15]
.LBB617_419:                            ;   in Loop: Header=BB617_215 Depth=1
	s_or_b64 exec, exec, s[12:13]
	v_lshrrev_b32_e32 v46, 16, v44
	v_cmp_ne_u16_sdwa s[14:15], v46, v54 src0_sel:BYTE_0 src1_sel:DWORD
	s_and_saveexec_b64 s[12:13], s[14:15]
	s_cbranch_execz .LBB617_425
; %bb.420:                              ;   in Loop: Header=BB617_215 Depth=1
	v_cmp_ne_u16_sdwa s[16:17], v46, s9 src0_sel:BYTE_0 src1_sel:DWORD
	v_bfrev_b32_e32 v51, 1
	s_and_saveexec_b64 s[14:15], s[16:17]
	s_cbranch_execz .LBB617_424
; %bb.421:                              ;   in Loop: Header=BB617_215 Depth=1
	v_bfe_u32 v58, v44, 16, 7
	v_cmp_ne_u32_e32 vcc, s19, v58
	v_mov_b32_e32 v51, 0x7f800001
	s_and_saveexec_b64 s[16:17], vcc
	s_cbranch_execz .LBB617_423
; %bb.422:                              ;   in Loop: Header=BB617_215 Depth=1
	v_and_b32_e32 v51, 7, v46
	v_ffbh_u32_e32 v60, v51
	v_min_u32_e32 v62, 32, v60
	v_subrev_u32_e32 v60, 28, v62
	v_lshlrev_b64 v[60:61], v60, v[46:47]
	v_lshrrev_b32_e32 v59, 3, v58
	v_sub_u32_e32 v61, 29, v62
	v_and_b32_e32 v60, 7, v60
	v_cmp_gt_u32_e32 vcc, 8, v58
	v_cndmask_b32_e32 v58, v59, v61, vcc
	v_cndmask_b32_e32 v51, v51, v60, vcc
	v_lshlrev_b32_e32 v46, 24, v46
	v_lshlrev_b32_e32 v51, 20, v51
	v_and_b32_e32 v46, 0x80000000, v46
	v_lshl_add_u32 v58, v58, 23, v55
	v_or3_b32 v51, v46, v58, v51
.LBB617_423:                            ;   in Loop: Header=BB617_215 Depth=1
	s_or_b64 exec, exec, s[16:17]
.LBB617_424:                            ;   in Loop: Header=BB617_215 Depth=1
	s_or_b64 exec, exec, s[14:15]
.LBB617_425:                            ;   in Loop: Header=BB617_215 Depth=1
	s_or_b64 exec, exec, s[12:13]
	v_cmp_lt_u32_e32 vcc, s20, v44
	v_mov_b32_e32 v58, 0
	v_mov_b32_e32 v59, 0
	s_and_saveexec_b64 s[12:13], vcc
	s_cbranch_execz .LBB617_431
; %bb.426:                              ;   in Loop: Header=BB617_215 Depth=1
	v_lshrrev_b32_e32 v46, 24, v44
	v_cmp_ne_u32_e32 vcc, s9, v46
	v_bfrev_b32_e32 v59, 1
	s_and_saveexec_b64 s[14:15], vcc
	s_cbranch_execz .LBB617_430
; %bb.427:                              ;   in Loop: Header=BB617_215 Depth=1
	v_bfe_u32 v44, v44, 24, 7
	v_cmp_ne_u32_e32 vcc, s19, v44
	v_mov_b32_e32 v59, 0x7f800001
	s_and_saveexec_b64 s[16:17], vcc
	s_cbranch_execz .LBB617_429
; %bb.428:                              ;   in Loop: Header=BB617_215 Depth=1
	v_and_b32_e32 v59, 7, v46
	v_ffbh_u32_e32 v60, v59
	v_min_u32_e32 v63, 32, v60
	v_subrev_u32_e32 v60, 28, v63
	v_lshlrev_b64 v[60:61], v60, v[46:47]
	v_lshrrev_b32_e32 v62, 3, v44
	v_sub_u32_e32 v61, 29, v63
	v_and_b32_e32 v60, 7, v60
	v_cmp_gt_u32_e32 vcc, 8, v44
	v_cndmask_b32_e32 v44, v62, v61, vcc
	v_cndmask_b32_e32 v59, v59, v60, vcc
	v_lshlrev_b32_e32 v46, 24, v46
	v_lshlrev_b32_e32 v59, 20, v59
	v_and_b32_e32 v46, 0x80000000, v46
	v_lshl_add_u32 v44, v44, 23, v55
	v_or3_b32 v59, v46, v44, v59
.LBB617_429:                            ;   in Loop: Header=BB617_215 Depth=1
	s_or_b64 exec, exec, s[16:17]
.LBB617_430:                            ;   in Loop: Header=BB617_215 Depth=1
	s_or_b64 exec, exec, s[14:15]
.LBB617_431:                            ;   in Loop: Header=BB617_215 Depth=1
	s_or_b64 exec, exec, s[12:13]
	s_waitcnt vmcnt(2)
	v_cmp_ne_u16_sdwa s[14:15], v42, v54 src0_sel:BYTE_0 src1_sel:DWORD
	s_and_saveexec_b64 s[12:13], s[14:15]
	s_cbranch_execz .LBB617_437
; %bb.432:                              ;   in Loop: Header=BB617_215 Depth=1
	v_cmp_ne_u16_sdwa s[16:17], v42, s9 src0_sel:BYTE_0 src1_sel:DWORD
	v_bfrev_b32_e32 v58, 1
	s_and_saveexec_b64 s[14:15], s[16:17]
	s_cbranch_execz .LBB617_436
; %bb.433:                              ;   in Loop: Header=BB617_215 Depth=1
	v_and_b32_e32 v44, 0x7f, v42
	v_cmp_ne_u32_e32 vcc, s19, v44
	v_mov_b32_e32 v58, 0x7f800001
	s_and_saveexec_b64 s[16:17], vcc
	s_cbranch_execz .LBB617_435
; %bb.434:                              ;   in Loop: Header=BB617_215 Depth=1
	v_and_b32_e32 v46, 7, v42
	v_ffbh_u32_e32 v60, v46
	v_min_u32_e32 v62, 32, v60
	v_subrev_u32_e32 v60, 28, v62
	v_lshlrev_b64 v[60:61], v60, v[42:43]
	v_lshrrev_b32_e32 v58, 3, v44
	v_sub_u32_e32 v61, 29, v62
	v_and_b32_e32 v60, 7, v60
	v_cmp_gt_u32_e32 vcc, 8, v44
	v_cndmask_b32_e32 v44, v58, v61, vcc
	v_cndmask_b32_e32 v46, v46, v60, vcc
	v_lshlrev_b32_e32 v58, 24, v42
	v_lshlrev_b32_e32 v46, 20, v46
	v_and_b32_e32 v58, 0x80000000, v58
	v_lshl_add_u32 v44, v44, 23, v55
	v_or3_b32 v58, v58, v44, v46
.LBB617_435:                            ;   in Loop: Header=BB617_215 Depth=1
	s_or_b64 exec, exec, s[16:17]
.LBB617_436:                            ;   in Loop: Header=BB617_215 Depth=1
	s_or_b64 exec, exec, s[14:15]
.LBB617_437:                            ;   in Loop: Header=BB617_215 Depth=1
	s_or_b64 exec, exec, s[12:13]
	v_lshrrev_b16_e32 v44, 8, v42
	v_cmp_ne_u16_e32 vcc, 0, v44
	v_mov_b32_e32 v60, 0
	v_mov_b32_e32 v61, 0
	s_and_saveexec_b64 s[12:13], vcc
	s_cbranch_execz .LBB617_443
; %bb.438:                              ;   in Loop: Header=BB617_215 Depth=1
	v_cmp_ne_u16_e32 vcc, s9, v44
	v_bfrev_b32_e32 v61, 1
	s_and_saveexec_b64 s[14:15], vcc
	s_cbranch_execz .LBB617_442
; %bb.439:                              ;   in Loop: Header=BB617_215 Depth=1
	v_and_b32_e32 v46, 0x7f, v44
	v_cmp_ne_u32_e32 vcc, s19, v46
	v_mov_b32_e32 v61, 0x7f800001
	s_and_saveexec_b64 s[16:17], vcc
	s_cbranch_execz .LBB617_441
; %bb.440:                              ;   in Loop: Header=BB617_215 Depth=1
	v_and_b32_e32 v61, 7, v44
	v_ffbh_u32_e32 v62, v61
	v_min_u32_e32 v65, 32, v62
	v_subrev_u32_e32 v62, 28, v65
	v_lshlrev_b64 v[62:63], v62, v[44:45]
	v_lshrrev_b32_e32 v64, 3, v46
	v_sub_u32_e32 v44, 29, v65
	v_and_b32_e32 v62, 7, v62
	v_cmp_gt_u32_e32 vcc, 8, v46
	v_cndmask_b32_e32 v44, v64, v44, vcc
	v_cndmask_b32_e32 v46, v61, v62, vcc
	v_lshlrev_b32_e32 v61, 16, v42
	v_lshlrev_b32_e32 v46, 20, v46
	v_and_b32_e32 v61, 0x80000000, v61
	v_lshl_add_u32 v44, v44, 23, v55
	v_or3_b32 v61, v61, v44, v46
.LBB617_441:                            ;   in Loop: Header=BB617_215 Depth=1
	s_or_b64 exec, exec, s[16:17]
.LBB617_442:                            ;   in Loop: Header=BB617_215 Depth=1
	s_or_b64 exec, exec, s[14:15]
.LBB617_443:                            ;   in Loop: Header=BB617_215 Depth=1
	s_or_b64 exec, exec, s[12:13]
	v_lshrrev_b32_e32 v44, 16, v42
	v_cmp_ne_u16_sdwa s[14:15], v44, v54 src0_sel:BYTE_0 src1_sel:DWORD
	s_and_saveexec_b64 s[12:13], s[14:15]
	s_cbranch_execz .LBB617_449
; %bb.444:                              ;   in Loop: Header=BB617_215 Depth=1
	v_cmp_ne_u16_sdwa s[16:17], v44, s9 src0_sel:BYTE_0 src1_sel:DWORD
	v_bfrev_b32_e32 v60, 1
	s_and_saveexec_b64 s[14:15], s[16:17]
	s_cbranch_execz .LBB617_448
; %bb.445:                              ;   in Loop: Header=BB617_215 Depth=1
	v_bfe_u32 v46, v42, 16, 7
	v_cmp_ne_u32_e32 vcc, s19, v46
	v_mov_b32_e32 v60, 0x7f800001
	s_and_saveexec_b64 s[16:17], vcc
	s_cbranch_execz .LBB617_447
; %bb.446:                              ;   in Loop: Header=BB617_215 Depth=1
	v_and_b32_e32 v60, 7, v44
	v_ffbh_u32_e32 v62, v60
	v_min_u32_e32 v65, 32, v62
	v_subrev_u32_e32 v62, 28, v65
	v_lshlrev_b64 v[62:63], v62, v[44:45]
	v_lshrrev_b32_e32 v64, 3, v46
	v_sub_u32_e32 v63, 29, v65
	v_and_b32_e32 v62, 7, v62
	v_cmp_gt_u32_e32 vcc, 8, v46
	v_cndmask_b32_e32 v46, v64, v63, vcc
	v_cndmask_b32_e32 v60, v60, v62, vcc
	v_lshlrev_b32_e32 v44, 24, v44
	v_lshlrev_b32_e32 v60, 20, v60
	v_and_b32_e32 v44, 0x80000000, v44
	v_lshl_add_u32 v46, v46, 23, v55
	v_or3_b32 v60, v44, v46, v60
.LBB617_447:                            ;   in Loop: Header=BB617_215 Depth=1
	s_or_b64 exec, exec, s[16:17]
.LBB617_448:                            ;   in Loop: Header=BB617_215 Depth=1
	s_or_b64 exec, exec, s[14:15]
.LBB617_449:                            ;   in Loop: Header=BB617_215 Depth=1
	s_or_b64 exec, exec, s[12:13]
	v_cmp_lt_u32_e32 vcc, s20, v42
	v_mov_b32_e32 v46, 0
	v_mov_b32_e32 v62, 0
	s_and_saveexec_b64 s[12:13], vcc
	s_cbranch_execz .LBB617_455
; %bb.450:                              ;   in Loop: Header=BB617_215 Depth=1
	v_lshrrev_b32_e32 v44, 24, v42
	v_cmp_ne_u32_e32 vcc, s9, v44
	v_bfrev_b32_e32 v62, 1
	s_and_saveexec_b64 s[14:15], vcc
	s_cbranch_execz .LBB617_454
; %bb.451:                              ;   in Loop: Header=BB617_215 Depth=1
	v_bfe_u32 v42, v42, 24, 7
	v_cmp_ne_u32_e32 vcc, s19, v42
	v_mov_b32_e32 v62, 0x7f800001
	s_and_saveexec_b64 s[16:17], vcc
	s_cbranch_execz .LBB617_453
; %bb.452:                              ;   in Loop: Header=BB617_215 Depth=1
	v_and_b32_e32 v64, 7, v44
	v_ffbh_u32_e32 v62, v64
	v_min_u32_e32 v66, 32, v62
	v_subrev_u32_e32 v62, 28, v66
	v_lshlrev_b64 v[62:63], v62, v[44:45]
	v_lshrrev_b32_e32 v65, 3, v42
	v_sub_u32_e32 v63, 29, v66
	v_and_b32_e32 v62, 7, v62
	v_cmp_gt_u32_e32 vcc, 8, v42
	v_cndmask_b32_e32 v42, v65, v63, vcc
	v_cndmask_b32_e32 v62, v64, v62, vcc
	v_lshlrev_b32_e32 v44, 24, v44
	v_lshlrev_b32_e32 v62, 20, v62
	v_and_b32_e32 v44, 0x80000000, v44
	v_lshl_add_u32 v42, v42, 23, v55
	v_or3_b32 v62, v44, v42, v62
.LBB617_453:                            ;   in Loop: Header=BB617_215 Depth=1
	s_or_b64 exec, exec, s[16:17]
.LBB617_454:                            ;   in Loop: Header=BB617_215 Depth=1
	s_or_b64 exec, exec, s[14:15]
.LBB617_455:                            ;   in Loop: Header=BB617_215 Depth=1
	s_or_b64 exec, exec, s[12:13]
	v_cvt_pkrtz_f16_f32 v56, v56, v57
	v_cvt_pkrtz_f16_f32 v57, v51, v59
	s_waitcnt vmcnt(1)
	v_cmp_ne_u16_sdwa s[14:15], v40, v54 src0_sel:BYTE_0 src1_sel:DWORD
	v_mfma_f32_16x16x16f16 v[34:37], v[56:57], v[18:19], v[34:37]
	v_cvt_pkrtz_f16_f32 v56, v58, v61
	v_cvt_pkrtz_f16_f32 v57, v60, v62
	s_nop 1
	v_mfma_f32_16x16x16f16 v[34:37], v[56:57], v[20:21], v[34:37]
	s_and_saveexec_b64 s[12:13], s[14:15]
	s_cbranch_execz .LBB617_461
; %bb.456:                              ;   in Loop: Header=BB617_215 Depth=1
	v_cmp_ne_u16_sdwa s[16:17], v40, s9 src0_sel:BYTE_0 src1_sel:DWORD
	v_bfrev_b32_e32 v46, 1
	s_and_saveexec_b64 s[14:15], s[16:17]
	s_cbranch_execz .LBB617_460
; %bb.457:                              ;   in Loop: Header=BB617_215 Depth=1
	v_and_b32_e32 v42, 0x7f, v40
	v_cmp_ne_u32_e32 vcc, s19, v42
	v_mov_b32_e32 v46, 0x7f800001
	s_and_saveexec_b64 s[16:17], vcc
	s_cbranch_execz .LBB617_459
; %bb.458:                              ;   in Loop: Header=BB617_215 Depth=1
	v_and_b32_e32 v44, 7, v40
	v_ffbh_u32_e32 v51, v44
	v_min_u32_e32 v51, 32, v51
	v_subrev_u32_e32 v56, 28, v51
	v_lshlrev_b64 v[56:57], v56, v[40:41]
	v_lshrrev_b32_e32 v46, 3, v42
	v_sub_u32_e32 v51, 29, v51
	v_and_b32_e32 v56, 7, v56
	v_cmp_gt_u32_e32 vcc, 8, v42
	v_cndmask_b32_e32 v42, v46, v51, vcc
	v_cndmask_b32_e32 v44, v44, v56, vcc
	v_lshlrev_b32_e32 v46, 24, v40
	v_lshlrev_b32_e32 v44, 20, v44
	v_and_b32_e32 v46, 0x80000000, v46
	v_lshl_add_u32 v42, v42, 23, v55
	v_or3_b32 v46, v46, v42, v44
.LBB617_459:                            ;   in Loop: Header=BB617_215 Depth=1
	s_or_b64 exec, exec, s[16:17]
.LBB617_460:                            ;   in Loop: Header=BB617_215 Depth=1
	s_or_b64 exec, exec, s[14:15]
.LBB617_461:                            ;   in Loop: Header=BB617_215 Depth=1
	s_or_b64 exec, exec, s[12:13]
	v_lshrrev_b16_e32 v42, 8, v40
	v_cmp_ne_u16_e32 vcc, 0, v42
	v_mov_b32_e32 v44, 0
	v_mov_b32_e32 v56, 0
	s_and_saveexec_b64 s[12:13], vcc
	s_cbranch_execz .LBB617_467
; %bb.462:                              ;   in Loop: Header=BB617_215 Depth=1
	v_cmp_ne_u16_e32 vcc, s9, v42
	v_bfrev_b32_e32 v56, 1
	s_and_saveexec_b64 s[14:15], vcc
	s_cbranch_execz .LBB617_466
; %bb.463:                              ;   in Loop: Header=BB617_215 Depth=1
	v_and_b32_e32 v51, 0x7f, v42
	v_cmp_ne_u32_e32 vcc, s19, v51
	v_mov_b32_e32 v56, 0x7f800001
	s_and_saveexec_b64 s[16:17], vcc
	s_cbranch_execz .LBB617_465
; %bb.464:                              ;   in Loop: Header=BB617_215 Depth=1
	v_and_b32_e32 v58, 7, v42
	v_ffbh_u32_e32 v56, v58
	v_min_u32_e32 v60, 32, v56
	v_subrev_u32_e32 v56, 28, v60
	v_lshlrev_b64 v[56:57], v56, v[42:43]
	v_lshrrev_b32_e32 v59, 3, v51
	v_sub_u32_e32 v42, 29, v60
	v_and_b32_e32 v56, 7, v56
	v_cmp_gt_u32_e32 vcc, 8, v51
	v_cndmask_b32_e32 v42, v59, v42, vcc
	v_cndmask_b32_e32 v51, v58, v56, vcc
	v_lshlrev_b32_e32 v56, 16, v40
	v_lshlrev_b32_e32 v51, 20, v51
	v_and_b32_e32 v56, 0x80000000, v56
	v_lshl_add_u32 v42, v42, 23, v55
	v_or3_b32 v56, v56, v42, v51
.LBB617_465:                            ;   in Loop: Header=BB617_215 Depth=1
	s_or_b64 exec, exec, s[16:17]
.LBB617_466:                            ;   in Loop: Header=BB617_215 Depth=1
	s_or_b64 exec, exec, s[14:15]
.LBB617_467:                            ;   in Loop: Header=BB617_215 Depth=1
	s_or_b64 exec, exec, s[12:13]
	v_lshrrev_b32_e32 v42, 16, v40
	v_cmp_ne_u16_sdwa s[14:15], v42, v54 src0_sel:BYTE_0 src1_sel:DWORD
	s_and_saveexec_b64 s[12:13], s[14:15]
	s_cbranch_execz .LBB617_473
; %bb.468:                              ;   in Loop: Header=BB617_215 Depth=1
	v_cmp_ne_u16_sdwa s[16:17], v42, s9 src0_sel:BYTE_0 src1_sel:DWORD
	v_bfrev_b32_e32 v44, 1
	s_and_saveexec_b64 s[14:15], s[16:17]
	s_cbranch_execz .LBB617_472
; %bb.469:                              ;   in Loop: Header=BB617_215 Depth=1
	v_bfe_u32 v51, v40, 16, 7
	v_cmp_ne_u32_e32 vcc, s19, v51
	v_mov_b32_e32 v44, 0x7f800001
	s_and_saveexec_b64 s[16:17], vcc
	s_cbranch_execz .LBB617_471
; %bb.470:                              ;   in Loop: Header=BB617_215 Depth=1
	v_and_b32_e32 v44, 7, v42
	v_ffbh_u32_e32 v58, v44
	v_min_u32_e32 v60, 32, v58
	v_subrev_u32_e32 v58, 28, v60
	v_lshlrev_b64 v[58:59], v58, v[42:43]
	v_lshrrev_b32_e32 v57, 3, v51
	v_sub_u32_e32 v59, 29, v60
	v_and_b32_e32 v58, 7, v58
	v_cmp_gt_u32_e32 vcc, 8, v51
	v_cndmask_b32_e32 v51, v57, v59, vcc
	v_cndmask_b32_e32 v44, v44, v58, vcc
	v_lshlrev_b32_e32 v42, 24, v42
	v_lshlrev_b32_e32 v44, 20, v44
	v_and_b32_e32 v42, 0x80000000, v42
	v_lshl_add_u32 v51, v51, 23, v55
	v_or3_b32 v44, v42, v51, v44
.LBB617_471:                            ;   in Loop: Header=BB617_215 Depth=1
	s_or_b64 exec, exec, s[16:17]
.LBB617_472:                            ;   in Loop: Header=BB617_215 Depth=1
	s_or_b64 exec, exec, s[14:15]
.LBB617_473:                            ;   in Loop: Header=BB617_215 Depth=1
	s_or_b64 exec, exec, s[12:13]
	v_cmp_lt_u32_e32 vcc, s20, v40
	v_mov_b32_e32 v57, 0
	v_mov_b32_e32 v58, 0
	s_and_saveexec_b64 s[12:13], vcc
	s_cbranch_execz .LBB617_479
; %bb.474:                              ;   in Loop: Header=BB617_215 Depth=1
	v_lshrrev_b32_e32 v42, 24, v40
	v_cmp_ne_u32_e32 vcc, s9, v42
	v_bfrev_b32_e32 v58, 1
	s_and_saveexec_b64 s[14:15], vcc
	s_cbranch_execz .LBB617_478
; %bb.475:                              ;   in Loop: Header=BB617_215 Depth=1
	v_bfe_u32 v40, v40, 24, 7
	v_cmp_ne_u32_e32 vcc, s19, v40
	v_mov_b32_e32 v58, 0x7f800001
	s_and_saveexec_b64 s[16:17], vcc
	s_cbranch_execz .LBB617_477
; %bb.476:                              ;   in Loop: Header=BB617_215 Depth=1
	v_and_b32_e32 v51, 7, v42
	v_ffbh_u32_e32 v58, v51
	v_min_u32_e32 v61, 32, v58
	v_subrev_u32_e32 v58, 28, v61
	v_lshlrev_b64 v[58:59], v58, v[42:43]
	v_lshrrev_b32_e32 v60, 3, v40
	v_sub_u32_e32 v59, 29, v61
	v_and_b32_e32 v58, 7, v58
	v_cmp_gt_u32_e32 vcc, 8, v40
	v_cndmask_b32_e32 v40, v60, v59, vcc
	v_cndmask_b32_e32 v51, v51, v58, vcc
	v_lshlrev_b32_e32 v42, 24, v42
	v_lshlrev_b32_e32 v51, 20, v51
	v_and_b32_e32 v42, 0x80000000, v42
	v_lshl_add_u32 v40, v40, 23, v55
	v_or3_b32 v58, v42, v40, v51
.LBB617_477:                            ;   in Loop: Header=BB617_215 Depth=1
	s_or_b64 exec, exec, s[16:17]
.LBB617_478:                            ;   in Loop: Header=BB617_215 Depth=1
	s_or_b64 exec, exec, s[14:15]
.LBB617_479:                            ;   in Loop: Header=BB617_215 Depth=1
	s_or_b64 exec, exec, s[12:13]
	s_waitcnt vmcnt(0)
	v_cmp_ne_u16_sdwa s[14:15], v38, v54 src0_sel:BYTE_0 src1_sel:DWORD
	s_and_saveexec_b64 s[12:13], s[14:15]
	s_cbranch_execz .LBB617_485
; %bb.480:                              ;   in Loop: Header=BB617_215 Depth=1
	v_cmp_ne_u16_sdwa s[16:17], v38, s9 src0_sel:BYTE_0 src1_sel:DWORD
	v_bfrev_b32_e32 v57, 1
	s_and_saveexec_b64 s[14:15], s[16:17]
	s_cbranch_execz .LBB617_484
; %bb.481:                              ;   in Loop: Header=BB617_215 Depth=1
	v_and_b32_e32 v40, 0x7f, v38
	v_cmp_ne_u32_e32 vcc, s19, v40
	v_mov_b32_e32 v57, 0x7f800001
	s_and_saveexec_b64 s[16:17], vcc
	s_cbranch_execz .LBB617_483
; %bb.482:                              ;   in Loop: Header=BB617_215 Depth=1
	v_and_b32_e32 v42, 7, v38
	v_ffbh_u32_e32 v57, v42
	v_min_u32_e32 v57, 32, v57
	v_subrev_u32_e32 v59, 28, v57
	v_lshlrev_b64 v[60:61], v59, v[38:39]
	v_lshrrev_b32_e32 v51, 3, v40
	v_sub_u32_e32 v57, 29, v57
	v_and_b32_e32 v59, 7, v60
	v_cmp_gt_u32_e32 vcc, 8, v40
	v_cndmask_b32_e32 v40, v51, v57, vcc
	v_cndmask_b32_e32 v42, v42, v59, vcc
	v_lshlrev_b32_e32 v51, 24, v38
	v_lshlrev_b32_e32 v42, 20, v42
	v_and_b32_e32 v51, 0x80000000, v51
	v_lshl_add_u32 v40, v40, 23, v55
	v_or3_b32 v57, v51, v40, v42
.LBB617_483:                            ;   in Loop: Header=BB617_215 Depth=1
	s_or_b64 exec, exec, s[16:17]
.LBB617_484:                            ;   in Loop: Header=BB617_215 Depth=1
	s_or_b64 exec, exec, s[14:15]
.LBB617_485:                            ;   in Loop: Header=BB617_215 Depth=1
	s_or_b64 exec, exec, s[12:13]
	v_lshrrev_b16_e32 v40, 8, v38
	v_cmp_ne_u16_e32 vcc, 0, v40
	v_mov_b32_e32 v59, 0
	v_mov_b32_e32 v60, 0
	s_and_saveexec_b64 s[12:13], vcc
	s_cbranch_execz .LBB617_491
; %bb.486:                              ;   in Loop: Header=BB617_215 Depth=1
	v_cmp_ne_u16_e32 vcc, s9, v40
	v_bfrev_b32_e32 v60, 1
	s_and_saveexec_b64 s[14:15], vcc
	s_cbranch_execz .LBB617_490
; %bb.487:                              ;   in Loop: Header=BB617_215 Depth=1
	v_and_b32_e32 v42, 0x7f, v40
	v_cmp_ne_u32_e32 vcc, s19, v42
	v_mov_b32_e32 v60, 0x7f800001
	s_and_saveexec_b64 s[16:17], vcc
	s_cbranch_execz .LBB617_489
; %bb.488:                              ;   in Loop: Header=BB617_215 Depth=1
	v_and_b32_e32 v51, 7, v40
	v_ffbh_u32_e32 v60, v51
	v_min_u32_e32 v63, 32, v60
	v_subrev_u32_e32 v60, 28, v63
	v_lshlrev_b64 v[60:61], v60, v[40:41]
	v_lshrrev_b32_e32 v62, 3, v42
	v_sub_u32_e32 v40, 29, v63
	v_and_b32_e32 v60, 7, v60
	v_cmp_gt_u32_e32 vcc, 8, v42
	v_cndmask_b32_e32 v40, v62, v40, vcc
	v_cndmask_b32_e32 v42, v51, v60, vcc
	v_lshlrev_b32_e32 v51, 16, v38
	v_lshlrev_b32_e32 v42, 20, v42
	v_and_b32_e32 v51, 0x80000000, v51
	v_lshl_add_u32 v40, v40, 23, v55
	v_or3_b32 v60, v51, v40, v42
.LBB617_489:                            ;   in Loop: Header=BB617_215 Depth=1
	s_or_b64 exec, exec, s[16:17]
.LBB617_490:                            ;   in Loop: Header=BB617_215 Depth=1
	s_or_b64 exec, exec, s[14:15]
.LBB617_491:                            ;   in Loop: Header=BB617_215 Depth=1
	s_or_b64 exec, exec, s[12:13]
	v_lshrrev_b32_e32 v40, 16, v38
	v_cmp_ne_u16_sdwa s[14:15], v40, v54 src0_sel:BYTE_0 src1_sel:DWORD
	s_and_saveexec_b64 s[12:13], s[14:15]
	s_cbranch_execz .LBB617_497
; %bb.492:                              ;   in Loop: Header=BB617_215 Depth=1
	v_cmp_ne_u16_sdwa s[16:17], v40, s9 src0_sel:BYTE_0 src1_sel:DWORD
	v_bfrev_b32_e32 v59, 1
	s_and_saveexec_b64 s[14:15], s[16:17]
	s_cbranch_execz .LBB617_496
; %bb.493:                              ;   in Loop: Header=BB617_215 Depth=1
	v_bfe_u32 v42, v38, 16, 7
	v_cmp_ne_u32_e32 vcc, s19, v42
	v_mov_b32_e32 v59, 0x7f800001
	s_and_saveexec_b64 s[16:17], vcc
	s_cbranch_execz .LBB617_495
; %bb.494:                              ;   in Loop: Header=BB617_215 Depth=1
	v_and_b32_e32 v51, 7, v40
	v_ffbh_u32_e32 v61, v51
	v_min_u32_e32 v61, 32, v61
	v_subrev_u32_e32 v62, 28, v61
	v_lshlrev_b64 v[62:63], v62, v[40:41]
	v_lshrrev_b32_e32 v59, 3, v42
	v_sub_u32_e32 v61, 29, v61
	v_and_b32_e32 v62, 7, v62
	v_cmp_gt_u32_e32 vcc, 8, v42
	v_cndmask_b32_e32 v42, v59, v61, vcc
	v_cndmask_b32_e32 v51, v51, v62, vcc
	v_lshlrev_b32_e32 v40, 24, v40
	v_lshlrev_b32_e32 v51, 20, v51
	v_and_b32_e32 v40, 0x80000000, v40
	v_lshl_add_u32 v42, v42, 23, v55
	v_or3_b32 v59, v40, v42, v51
.LBB617_495:                            ;   in Loop: Header=BB617_215 Depth=1
	s_or_b64 exec, exec, s[16:17]
.LBB617_496:                            ;   in Loop: Header=BB617_215 Depth=1
	s_or_b64 exec, exec, s[14:15]
.LBB617_497:                            ;   in Loop: Header=BB617_215 Depth=1
	s_or_b64 exec, exec, s[12:13]
	v_cmp_lt_u32_e32 vcc, s20, v38
	v_mov_b32_e32 v51, 0
	v_mov_b32_e32 v61, 0
	s_and_saveexec_b64 s[12:13], vcc
	s_cbranch_execz .LBB617_503
; %bb.498:                              ;   in Loop: Header=BB617_215 Depth=1
	v_lshrrev_b32_e32 v40, 24, v38
	v_cmp_ne_u32_e32 vcc, s9, v40
	v_bfrev_b32_e32 v61, 1
	s_and_saveexec_b64 s[14:15], vcc
	s_cbranch_execz .LBB617_502
; %bb.499:                              ;   in Loop: Header=BB617_215 Depth=1
	v_bfe_u32 v38, v38, 24, 7
	v_cmp_ne_u32_e32 vcc, s19, v38
	v_mov_b32_e32 v61, 0x7f800001
	s_and_saveexec_b64 s[16:17], vcc
	s_cbranch_execz .LBB617_501
; %bb.500:                              ;   in Loop: Header=BB617_215 Depth=1
	v_and_b32_e32 v42, 7, v40
	v_ffbh_u32_e32 v62, v42
	v_min_u32_e32 v64, 32, v62
	v_subrev_u32_e32 v62, 28, v64
	v_lshlrev_b64 v[62:63], v62, v[40:41]
	v_lshrrev_b32_e32 v61, 3, v38
	v_sub_u32_e32 v63, 29, v64
	v_and_b32_e32 v62, 7, v62
	v_cmp_gt_u32_e32 vcc, 8, v38
	v_cndmask_b32_e32 v38, v61, v63, vcc
	v_cndmask_b32_e32 v42, v42, v62, vcc
	v_lshlrev_b32_e32 v40, 24, v40
	v_lshlrev_b32_e32 v42, 20, v42
	v_and_b32_e32 v40, 0x80000000, v40
	v_lshl_add_u32 v38, v38, 23, v55
	v_or3_b32 v61, v40, v38, v42
.LBB617_501:                            ;   in Loop: Header=BB617_215 Depth=1
	s_or_b64 exec, exec, s[16:17]
.LBB617_502:                            ;   in Loop: Header=BB617_215 Depth=1
	s_or_b64 exec, exec, s[14:15]
.LBB617_503:                            ;   in Loop: Header=BB617_215 Depth=1
	s_or_b64 exec, exec, s[12:13]
	v_cvt_pkrtz_f16_f32 v63, v44, v58
	buffer_load_dword v44, v50, s[0:3], 0 offen
	buffer_load_dword v42, v50, s[0:3], 0 offen offset:4
	buffer_load_dword v40, v50, s[0:3], 0 offen offset:8
	;; [unrolled: 1-line block ×3, first 2 shown]
	v_cvt_pkrtz_f16_f32 v62, v46, v56
	v_cvt_pkrtz_f16_f32 v56, v57, v60
	v_cvt_pkrtz_f16_f32 v57, v59, v61
	v_mfma_f32_16x16x16f16 v[34:37], v[62:63], v[22:23], v[34:37]
	s_waitcnt vmcnt(3)
	v_cmp_ne_u16_sdwa s[14:15], v44, v54 src0_sel:BYTE_0 src1_sel:DWORD
	v_mfma_f32_16x16x16f16 v[34:37], v[56:57], v[24:25], v[34:37]
	s_and_saveexec_b64 s[12:13], s[14:15]
	s_cbranch_execz .LBB617_509
; %bb.504:                              ;   in Loop: Header=BB617_215 Depth=1
	v_cmp_ne_u16_sdwa s[16:17], v44, s9 src0_sel:BYTE_0 src1_sel:DWORD
	v_bfrev_b32_e32 v51, 1
	s_and_saveexec_b64 s[14:15], s[16:17]
	s_cbranch_execz .LBB617_508
; %bb.505:                              ;   in Loop: Header=BB617_215 Depth=1
	v_and_b32_e32 v46, 0x7f, v44
	v_cmp_ne_u32_e32 vcc, s19, v46
	v_mov_b32_e32 v51, 0x7f800001
	s_and_saveexec_b64 s[16:17], vcc
	s_cbranch_execz .LBB617_507
; %bb.506:                              ;   in Loop: Header=BB617_215 Depth=1
	v_and_b32_e32 v56, 7, v44
	v_ffbh_u32_e32 v50, v56
	v_min_u32_e32 v58, 32, v50
	v_subrev_u32_e32 v50, 28, v58
	v_lshlrev_b64 v[50:51], v50, v[44:45]
	v_lshrrev_b32_e32 v57, 3, v46
	v_sub_u32_e32 v51, 29, v58
	v_and_b32_e32 v50, 7, v50
	v_cmp_gt_u32_e32 vcc, 8, v46
	v_cndmask_b32_e32 v46, v57, v51, vcc
	v_cndmask_b32_e32 v50, v56, v50, vcc
	v_lshlrev_b32_e32 v51, 24, v44
	v_lshlrev_b32_e32 v50, 20, v50
	v_and_b32_e32 v51, 0x80000000, v51
	v_lshl_add_u32 v46, v46, 23, v55
	v_or3_b32 v51, v51, v46, v50
.LBB617_507:                            ;   in Loop: Header=BB617_215 Depth=1
	s_or_b64 exec, exec, s[16:17]
.LBB617_508:                            ;   in Loop: Header=BB617_215 Depth=1
	s_or_b64 exec, exec, s[14:15]
.LBB617_509:                            ;   in Loop: Header=BB617_215 Depth=1
	s_or_b64 exec, exec, s[12:13]
	v_lshrrev_b16_e32 v46, 8, v44
	v_cmp_ne_u16_e32 vcc, 0, v46
	v_mov_b32_e32 v50, 0
	v_mov_b32_e32 v56, 0
	s_and_saveexec_b64 s[12:13], vcc
	s_cbranch_execz .LBB617_515
; %bb.510:                              ;   in Loop: Header=BB617_215 Depth=1
	v_cmp_ne_u16_e32 vcc, s9, v46
	v_bfrev_b32_e32 v56, 1
	s_and_saveexec_b64 s[14:15], vcc
	s_cbranch_execz .LBB617_514
; %bb.511:                              ;   in Loop: Header=BB617_215 Depth=1
	v_and_b32_e32 v57, 0x7f, v46
	v_cmp_ne_u32_e32 vcc, s19, v57
	v_mov_b32_e32 v56, 0x7f800001
	s_and_saveexec_b64 s[16:17], vcc
	s_cbranch_execz .LBB617_513
; %bb.512:                              ;   in Loop: Header=BB617_215 Depth=1
	v_and_b32_e32 v56, 7, v46
	v_ffbh_u32_e32 v58, v56
	v_min_u32_e32 v61, 32, v58
	v_subrev_u32_e32 v58, 28, v61
	v_lshlrev_b64 v[58:59], v58, v[46:47]
	v_lshrrev_b32_e32 v60, 3, v57
	v_sub_u32_e32 v46, 29, v61
	v_and_b32_e32 v58, 7, v58
	v_cmp_gt_u32_e32 vcc, 8, v57
	v_cndmask_b32_e32 v46, v60, v46, vcc
	v_cndmask_b32_e32 v56, v56, v58, vcc
	v_lshlrev_b32_e32 v57, 16, v44
	v_lshlrev_b32_e32 v56, 20, v56
	v_and_b32_e32 v57, 0x80000000, v57
	v_lshl_add_u32 v46, v46, 23, v55
	v_or3_b32 v56, v57, v46, v56
.LBB617_513:                            ;   in Loop: Header=BB617_215 Depth=1
	s_or_b64 exec, exec, s[16:17]
.LBB617_514:                            ;   in Loop: Header=BB617_215 Depth=1
	s_or_b64 exec, exec, s[14:15]
.LBB617_515:                            ;   in Loop: Header=BB617_215 Depth=1
	s_or_b64 exec, exec, s[12:13]
	v_lshrrev_b32_e32 v46, 16, v44
	v_cmp_ne_u16_sdwa s[14:15], v46, v54 src0_sel:BYTE_0 src1_sel:DWORD
	s_and_saveexec_b64 s[12:13], s[14:15]
	s_cbranch_execz .LBB617_521
; %bb.516:                              ;   in Loop: Header=BB617_215 Depth=1
	v_cmp_ne_u16_sdwa s[16:17], v46, s9 src0_sel:BYTE_0 src1_sel:DWORD
	v_bfrev_b32_e32 v50, 1
	s_and_saveexec_b64 s[14:15], s[16:17]
	s_cbranch_execz .LBB617_520
; %bb.517:                              ;   in Loop: Header=BB617_215 Depth=1
	v_bfe_u32 v57, v44, 16, 7
	v_cmp_ne_u32_e32 vcc, s19, v57
	v_mov_b32_e32 v50, 0x7f800001
	s_and_saveexec_b64 s[16:17], vcc
	s_cbranch_execz .LBB617_519
; %bb.518:                              ;   in Loop: Header=BB617_215 Depth=1
	v_and_b32_e32 v50, 7, v46
	v_ffbh_u32_e32 v58, v50
	v_min_u32_e32 v61, 32, v58
	v_subrev_u32_e32 v58, 28, v61
	v_lshlrev_b64 v[58:59], v58, v[46:47]
	v_lshrrev_b32_e32 v60, 3, v57
	v_sub_u32_e32 v59, 29, v61
	v_and_b32_e32 v58, 7, v58
	v_cmp_gt_u32_e32 vcc, 8, v57
	v_cndmask_b32_e32 v57, v60, v59, vcc
	v_cndmask_b32_e32 v50, v50, v58, vcc
	v_lshlrev_b32_e32 v46, 24, v46
	v_lshlrev_b32_e32 v50, 20, v50
	v_and_b32_e32 v46, 0x80000000, v46
	v_lshl_add_u32 v57, v57, 23, v55
	v_or3_b32 v50, v46, v57, v50
.LBB617_519:                            ;   in Loop: Header=BB617_215 Depth=1
	s_or_b64 exec, exec, s[16:17]
.LBB617_520:                            ;   in Loop: Header=BB617_215 Depth=1
	s_or_b64 exec, exec, s[14:15]
.LBB617_521:                            ;   in Loop: Header=BB617_215 Depth=1
	s_or_b64 exec, exec, s[12:13]
	v_cmp_lt_u32_e32 vcc, s20, v44
	v_mov_b32_e32 v57, 0
	v_mov_b32_e32 v58, 0
	s_and_saveexec_b64 s[12:13], vcc
	s_cbranch_execz .LBB617_527
; %bb.522:                              ;   in Loop: Header=BB617_215 Depth=1
	v_lshrrev_b32_e32 v46, 24, v44
	v_cmp_ne_u32_e32 vcc, s9, v46
	v_bfrev_b32_e32 v58, 1
	s_and_saveexec_b64 s[14:15], vcc
	s_cbranch_execz .LBB617_526
; %bb.523:                              ;   in Loop: Header=BB617_215 Depth=1
	v_bfe_u32 v44, v44, 24, 7
	v_cmp_ne_u32_e32 vcc, s19, v44
	v_mov_b32_e32 v58, 0x7f800001
	s_and_saveexec_b64 s[16:17], vcc
	s_cbranch_execz .LBB617_525
; %bb.524:                              ;   in Loop: Header=BB617_215 Depth=1
	v_and_b32_e32 v60, 7, v46
	v_ffbh_u32_e32 v58, v60
	v_min_u32_e32 v62, 32, v58
	v_subrev_u32_e32 v58, 28, v62
	v_lshlrev_b64 v[58:59], v58, v[46:47]
	v_lshrrev_b32_e32 v61, 3, v44
	v_sub_u32_e32 v59, 29, v62
	v_and_b32_e32 v58, 7, v58
	v_cmp_gt_u32_e32 vcc, 8, v44
	v_cndmask_b32_e32 v44, v61, v59, vcc
	v_cndmask_b32_e32 v58, v60, v58, vcc
	v_lshlrev_b32_e32 v46, 24, v46
	v_lshlrev_b32_e32 v58, 20, v58
	v_and_b32_e32 v46, 0x80000000, v46
	v_lshl_add_u32 v44, v44, 23, v55
	v_or3_b32 v58, v46, v44, v58
.LBB617_525:                            ;   in Loop: Header=BB617_215 Depth=1
	s_or_b64 exec, exec, s[16:17]
.LBB617_526:                            ;   in Loop: Header=BB617_215 Depth=1
	s_or_b64 exec, exec, s[14:15]
.LBB617_527:                            ;   in Loop: Header=BB617_215 Depth=1
	s_or_b64 exec, exec, s[12:13]
	s_waitcnt vmcnt(2)
	v_cmp_ne_u16_sdwa s[14:15], v42, v54 src0_sel:BYTE_0 src1_sel:DWORD
	s_and_saveexec_b64 s[12:13], s[14:15]
	s_cbranch_execz .LBB617_533
; %bb.528:                              ;   in Loop: Header=BB617_215 Depth=1
	v_cmp_ne_u16_sdwa s[16:17], v42, s9 src0_sel:BYTE_0 src1_sel:DWORD
	v_bfrev_b32_e32 v57, 1
	s_and_saveexec_b64 s[14:15], s[16:17]
	s_cbranch_execz .LBB617_532
; %bb.529:                              ;   in Loop: Header=BB617_215 Depth=1
	v_and_b32_e32 v44, 0x7f, v42
	v_cmp_ne_u32_e32 vcc, s19, v44
	v_mov_b32_e32 v57, 0x7f800001
	s_and_saveexec_b64 s[16:17], vcc
	s_cbranch_execz .LBB617_531
; %bb.530:                              ;   in Loop: Header=BB617_215 Depth=1
	v_and_b32_e32 v46, 7, v42
	v_ffbh_u32_e32 v59, v46
	v_min_u32_e32 v59, 32, v59
	v_subrev_u32_e32 v60, 28, v59
	v_lshlrev_b64 v[60:61], v60, v[42:43]
	v_lshrrev_b32_e32 v57, 3, v44
	v_sub_u32_e32 v59, 29, v59
	v_and_b32_e32 v60, 7, v60
	v_cmp_gt_u32_e32 vcc, 8, v44
	v_cndmask_b32_e32 v44, v57, v59, vcc
	v_cndmask_b32_e32 v46, v46, v60, vcc
	v_lshlrev_b32_e32 v57, 24, v42
	v_lshlrev_b32_e32 v46, 20, v46
	v_and_b32_e32 v57, 0x80000000, v57
	v_lshl_add_u32 v44, v44, 23, v55
	v_or3_b32 v57, v57, v44, v46
.LBB617_531:                            ;   in Loop: Header=BB617_215 Depth=1
	s_or_b64 exec, exec, s[16:17]
.LBB617_532:                            ;   in Loop: Header=BB617_215 Depth=1
	s_or_b64 exec, exec, s[14:15]
.LBB617_533:                            ;   in Loop: Header=BB617_215 Depth=1
	s_or_b64 exec, exec, s[12:13]
	v_lshrrev_b16_e32 v44, 8, v42
	v_cmp_ne_u16_e32 vcc, 0, v44
	v_mov_b32_e32 v59, 0
	v_mov_b32_e32 v60, 0
	s_and_saveexec_b64 s[12:13], vcc
	s_cbranch_execz .LBB617_539
; %bb.534:                              ;   in Loop: Header=BB617_215 Depth=1
	v_cmp_ne_u16_e32 vcc, s9, v44
	v_bfrev_b32_e32 v60, 1
	s_and_saveexec_b64 s[14:15], vcc
	s_cbranch_execz .LBB617_538
; %bb.535:                              ;   in Loop: Header=BB617_215 Depth=1
	v_and_b32_e32 v46, 0x7f, v44
	v_cmp_ne_u32_e32 vcc, s19, v46
	v_mov_b32_e32 v60, 0x7f800001
	s_and_saveexec_b64 s[16:17], vcc
	s_cbranch_execz .LBB617_537
; %bb.536:                              ;   in Loop: Header=BB617_215 Depth=1
	v_and_b32_e32 v62, 7, v44
	v_ffbh_u32_e32 v60, v62
	v_min_u32_e32 v64, 32, v60
	v_subrev_u32_e32 v60, 28, v64
	v_lshlrev_b64 v[60:61], v60, v[44:45]
	v_lshrrev_b32_e32 v63, 3, v46
	v_sub_u32_e32 v44, 29, v64
	v_and_b32_e32 v60, 7, v60
	v_cmp_gt_u32_e32 vcc, 8, v46
	v_cndmask_b32_e32 v44, v63, v44, vcc
	v_cndmask_b32_e32 v46, v62, v60, vcc
	v_lshlrev_b32_e32 v60, 16, v42
	v_lshlrev_b32_e32 v46, 20, v46
	v_and_b32_e32 v60, 0x80000000, v60
	v_lshl_add_u32 v44, v44, 23, v55
	v_or3_b32 v60, v60, v44, v46
.LBB617_537:                            ;   in Loop: Header=BB617_215 Depth=1
	s_or_b64 exec, exec, s[16:17]
.LBB617_538:                            ;   in Loop: Header=BB617_215 Depth=1
	s_or_b64 exec, exec, s[14:15]
.LBB617_539:                            ;   in Loop: Header=BB617_215 Depth=1
	s_or_b64 exec, exec, s[12:13]
	v_lshrrev_b32_e32 v44, 16, v42
	v_cmp_ne_u16_sdwa s[14:15], v44, v54 src0_sel:BYTE_0 src1_sel:DWORD
	s_and_saveexec_b64 s[12:13], s[14:15]
	s_cbranch_execz .LBB617_545
; %bb.540:                              ;   in Loop: Header=BB617_215 Depth=1
	v_cmp_ne_u16_sdwa s[16:17], v44, s9 src0_sel:BYTE_0 src1_sel:DWORD
	v_bfrev_b32_e32 v59, 1
	s_and_saveexec_b64 s[14:15], s[16:17]
	s_cbranch_execz .LBB617_544
; %bb.541:                              ;   in Loop: Header=BB617_215 Depth=1
	v_bfe_u32 v46, v42, 16, 7
	v_cmp_ne_u32_e32 vcc, s19, v46
	v_mov_b32_e32 v59, 0x7f800001
	s_and_saveexec_b64 s[16:17], vcc
	s_cbranch_execz .LBB617_543
; %bb.542:                              ;   in Loop: Header=BB617_215 Depth=1
	v_and_b32_e32 v59, 7, v44
	v_ffbh_u32_e32 v62, v59
	v_min_u32_e32 v64, 32, v62
	v_subrev_u32_e32 v62, 28, v64
	v_lshlrev_b64 v[62:63], v62, v[44:45]
	v_lshrrev_b32_e32 v61, 3, v46
	v_sub_u32_e32 v63, 29, v64
	v_and_b32_e32 v62, 7, v62
	v_cmp_gt_u32_e32 vcc, 8, v46
	v_cndmask_b32_e32 v46, v61, v63, vcc
	v_cndmask_b32_e32 v59, v59, v62, vcc
	v_lshlrev_b32_e32 v44, 24, v44
	v_lshlrev_b32_e32 v59, 20, v59
	v_and_b32_e32 v44, 0x80000000, v44
	v_lshl_add_u32 v46, v46, 23, v55
	v_or3_b32 v59, v44, v46, v59
.LBB617_543:                            ;   in Loop: Header=BB617_215 Depth=1
	s_or_b64 exec, exec, s[16:17]
.LBB617_544:                            ;   in Loop: Header=BB617_215 Depth=1
	s_or_b64 exec, exec, s[14:15]
.LBB617_545:                            ;   in Loop: Header=BB617_215 Depth=1
	s_or_b64 exec, exec, s[12:13]
	v_cmp_lt_u32_e32 vcc, s20, v42
	v_mov_b32_e32 v46, 0
	v_mov_b32_e32 v61, 0
	s_and_saveexec_b64 s[12:13], vcc
	s_cbranch_execz .LBB617_551
; %bb.546:                              ;   in Loop: Header=BB617_215 Depth=1
	v_lshrrev_b32_e32 v44, 24, v42
	v_cmp_ne_u32_e32 vcc, s9, v44
	v_bfrev_b32_e32 v61, 1
	s_and_saveexec_b64 s[14:15], vcc
	s_cbranch_execz .LBB617_550
; %bb.547:                              ;   in Loop: Header=BB617_215 Depth=1
	v_bfe_u32 v42, v42, 24, 7
	v_cmp_ne_u32_e32 vcc, s19, v42
	v_mov_b32_e32 v61, 0x7f800001
	s_and_saveexec_b64 s[16:17], vcc
	s_cbranch_execz .LBB617_549
; %bb.548:                              ;   in Loop: Header=BB617_215 Depth=1
	v_and_b32_e32 v61, 7, v44
	v_ffbh_u32_e32 v62, v61
	v_min_u32_e32 v65, 32, v62
	v_subrev_u32_e32 v62, 28, v65
	v_lshlrev_b64 v[62:63], v62, v[44:45]
	v_lshrrev_b32_e32 v64, 3, v42
	v_sub_u32_e32 v63, 29, v65
	v_and_b32_e32 v62, 7, v62
	v_cmp_gt_u32_e32 vcc, 8, v42
	v_cndmask_b32_e32 v42, v64, v63, vcc
	v_cndmask_b32_e32 v61, v61, v62, vcc
	v_lshlrev_b32_e32 v44, 24, v44
	v_lshlrev_b32_e32 v61, 20, v61
	v_and_b32_e32 v44, 0x80000000, v44
	v_lshl_add_u32 v42, v42, 23, v55
	v_or3_b32 v61, v44, v42, v61
.LBB617_549:                            ;   in Loop: Header=BB617_215 Depth=1
	s_or_b64 exec, exec, s[16:17]
.LBB617_550:                            ;   in Loop: Header=BB617_215 Depth=1
	s_or_b64 exec, exec, s[14:15]
.LBB617_551:                            ;   in Loop: Header=BB617_215 Depth=1
	s_or_b64 exec, exec, s[12:13]
	v_cvt_pkrtz_f16_f32 v62, v51, v56
	v_cvt_pkrtz_f16_f32 v63, v50, v58
	;; [unrolled: 1-line block ×4, first 2 shown]
	s_waitcnt vmcnt(1)
	v_cmp_ne_u16_sdwa s[14:15], v40, v54 src0_sel:BYTE_0 src1_sel:DWORD
	v_mfma_f32_16x16x16f16 v[34:37], v[62:63], v[26:27], v[34:37]
	v_mfma_f32_16x16x16f16 v[34:37], v[50:51], v[28:29], v[34:37]
	s_and_saveexec_b64 s[12:13], s[14:15]
	s_cbranch_execz .LBB617_557
; %bb.552:                              ;   in Loop: Header=BB617_215 Depth=1
	v_cmp_ne_u16_sdwa s[16:17], v40, s9 src0_sel:BYTE_0 src1_sel:DWORD
	v_bfrev_b32_e32 v46, 1
	s_and_saveexec_b64 s[14:15], s[16:17]
	s_cbranch_execz .LBB617_556
; %bb.553:                              ;   in Loop: Header=BB617_215 Depth=1
	v_and_b32_e32 v42, 0x7f, v40
	v_cmp_ne_u32_e32 vcc, s19, v42
	v_mov_b32_e32 v46, 0x7f800001
	s_and_saveexec_b64 s[16:17], vcc
	s_cbranch_execz .LBB617_555
; %bb.554:                              ;   in Loop: Header=BB617_215 Depth=1
	v_and_b32_e32 v44, 7, v40
	v_ffbh_u32_e32 v50, v44
	v_min_u32_e32 v56, 32, v50
	v_subrev_u32_e32 v50, 28, v56
	v_lshlrev_b64 v[50:51], v50, v[40:41]
	v_lshrrev_b32_e32 v46, 3, v42
	v_sub_u32_e32 v51, 29, v56
	v_and_b32_e32 v50, 7, v50
	v_cmp_gt_u32_e32 vcc, 8, v42
	v_cndmask_b32_e32 v42, v46, v51, vcc
	v_cndmask_b32_e32 v44, v44, v50, vcc
	v_lshlrev_b32_e32 v46, 24, v40
	v_lshlrev_b32_e32 v44, 20, v44
	v_and_b32_e32 v46, 0x80000000, v46
	v_lshl_add_u32 v42, v42, 23, v55
	v_or3_b32 v46, v46, v42, v44
.LBB617_555:                            ;   in Loop: Header=BB617_215 Depth=1
	s_or_b64 exec, exec, s[16:17]
.LBB617_556:                            ;   in Loop: Header=BB617_215 Depth=1
	s_or_b64 exec, exec, s[14:15]
.LBB617_557:                            ;   in Loop: Header=BB617_215 Depth=1
	s_or_b64 exec, exec, s[12:13]
	v_lshrrev_b16_e32 v42, 8, v40
	v_cmp_ne_u16_e32 vcc, 0, v42
	v_mov_b32_e32 v44, 0
	v_mov_b32_e32 v50, 0
	s_and_saveexec_b64 s[12:13], vcc
	s_cbranch_execz .LBB617_563
; %bb.558:                              ;   in Loop: Header=BB617_215 Depth=1
	v_cmp_ne_u16_e32 vcc, s9, v42
	v_bfrev_b32_e32 v50, 1
	s_and_saveexec_b64 s[14:15], vcc
	s_cbranch_execz .LBB617_562
; %bb.559:                              ;   in Loop: Header=BB617_215 Depth=1
	v_and_b32_e32 v51, 0x7f, v42
	v_cmp_ne_u32_e32 vcc, s19, v51
	v_mov_b32_e32 v50, 0x7f800001
	s_and_saveexec_b64 s[16:17], vcc
	s_cbranch_execz .LBB617_561
; %bb.560:                              ;   in Loop: Header=BB617_215 Depth=1
	v_and_b32_e32 v50, 7, v42
	v_ffbh_u32_e32 v56, v50
	v_min_u32_e32 v59, 32, v56
	v_subrev_u32_e32 v56, 28, v59
	v_lshlrev_b64 v[56:57], v56, v[42:43]
	v_lshrrev_b32_e32 v58, 3, v51
	v_sub_u32_e32 v42, 29, v59
	v_and_b32_e32 v56, 7, v56
	v_cmp_gt_u32_e32 vcc, 8, v51
	v_cndmask_b32_e32 v42, v58, v42, vcc
	v_cndmask_b32_e32 v50, v50, v56, vcc
	v_lshlrev_b32_e32 v51, 16, v40
	v_lshlrev_b32_e32 v50, 20, v50
	v_and_b32_e32 v51, 0x80000000, v51
	v_lshl_add_u32 v42, v42, 23, v55
	v_or3_b32 v50, v51, v42, v50
.LBB617_561:                            ;   in Loop: Header=BB617_215 Depth=1
	s_or_b64 exec, exec, s[16:17]
.LBB617_562:                            ;   in Loop: Header=BB617_215 Depth=1
	s_or_b64 exec, exec, s[14:15]
.LBB617_563:                            ;   in Loop: Header=BB617_215 Depth=1
	s_or_b64 exec, exec, s[12:13]
	v_lshrrev_b32_e32 v42, 16, v40
	v_cmp_ne_u16_sdwa s[14:15], v42, v54 src0_sel:BYTE_0 src1_sel:DWORD
	s_and_saveexec_b64 s[12:13], s[14:15]
	s_cbranch_execz .LBB617_569
; %bb.564:                              ;   in Loop: Header=BB617_215 Depth=1
	v_cmp_ne_u16_sdwa s[16:17], v42, s9 src0_sel:BYTE_0 src1_sel:DWORD
	v_bfrev_b32_e32 v44, 1
	s_and_saveexec_b64 s[14:15], s[16:17]
	s_cbranch_execz .LBB617_568
; %bb.565:                              ;   in Loop: Header=BB617_215 Depth=1
	v_bfe_u32 v51, v40, 16, 7
	v_cmp_ne_u32_e32 vcc, s19, v51
	v_mov_b32_e32 v44, 0x7f800001
	s_and_saveexec_b64 s[16:17], vcc
	s_cbranch_execz .LBB617_567
; %bb.566:                              ;   in Loop: Header=BB617_215 Depth=1
	v_and_b32_e32 v44, 7, v42
	v_ffbh_u32_e32 v56, v44
	v_min_u32_e32 v59, 32, v56
	v_subrev_u32_e32 v56, 28, v59
	v_lshlrev_b64 v[56:57], v56, v[42:43]
	v_lshrrev_b32_e32 v58, 3, v51
	v_sub_u32_e32 v57, 29, v59
	v_and_b32_e32 v56, 7, v56
	v_cmp_gt_u32_e32 vcc, 8, v51
	v_cndmask_b32_e32 v51, v58, v57, vcc
	v_cndmask_b32_e32 v44, v44, v56, vcc
	v_lshlrev_b32_e32 v42, 24, v42
	v_lshlrev_b32_e32 v44, 20, v44
	v_and_b32_e32 v42, 0x80000000, v42
	v_lshl_add_u32 v51, v51, 23, v55
	v_or3_b32 v44, v42, v51, v44
.LBB617_567:                            ;   in Loop: Header=BB617_215 Depth=1
	s_or_b64 exec, exec, s[16:17]
.LBB617_568:                            ;   in Loop: Header=BB617_215 Depth=1
	s_or_b64 exec, exec, s[14:15]
.LBB617_569:                            ;   in Loop: Header=BB617_215 Depth=1
	s_or_b64 exec, exec, s[12:13]
	v_cmp_lt_u32_e32 vcc, s20, v40
	v_mov_b32_e32 v51, 0
	v_mov_b32_e32 v56, 0
	s_and_saveexec_b64 s[12:13], vcc
	s_cbranch_execz .LBB617_575
; %bb.570:                              ;   in Loop: Header=BB617_215 Depth=1
	v_lshrrev_b32_e32 v42, 24, v40
	v_cmp_ne_u32_e32 vcc, s9, v42
	v_bfrev_b32_e32 v56, 1
	s_and_saveexec_b64 s[14:15], vcc
	s_cbranch_execz .LBB617_574
; %bb.571:                              ;   in Loop: Header=BB617_215 Depth=1
	v_bfe_u32 v40, v40, 24, 7
	v_cmp_ne_u32_e32 vcc, s19, v40
	v_mov_b32_e32 v56, 0x7f800001
	s_and_saveexec_b64 s[16:17], vcc
	s_cbranch_execz .LBB617_573
; %bb.572:                              ;   in Loop: Header=BB617_215 Depth=1
	v_and_b32_e32 v58, 7, v42
	v_ffbh_u32_e32 v56, v58
	v_min_u32_e32 v60, 32, v56
	v_subrev_u32_e32 v56, 28, v60
	v_lshlrev_b64 v[56:57], v56, v[42:43]
	v_lshrrev_b32_e32 v59, 3, v40
	v_sub_u32_e32 v57, 29, v60
	v_and_b32_e32 v56, 7, v56
	v_cmp_gt_u32_e32 vcc, 8, v40
	v_cndmask_b32_e32 v40, v59, v57, vcc
	v_cndmask_b32_e32 v56, v58, v56, vcc
	v_lshlrev_b32_e32 v42, 24, v42
	v_lshlrev_b32_e32 v56, 20, v56
	v_and_b32_e32 v42, 0x80000000, v42
	v_lshl_add_u32 v40, v40, 23, v55
	v_or3_b32 v56, v42, v40, v56
.LBB617_573:                            ;   in Loop: Header=BB617_215 Depth=1
	s_or_b64 exec, exec, s[16:17]
.LBB617_574:                            ;   in Loop: Header=BB617_215 Depth=1
	s_or_b64 exec, exec, s[14:15]
.LBB617_575:                            ;   in Loop: Header=BB617_215 Depth=1
	s_or_b64 exec, exec, s[12:13]
	s_waitcnt vmcnt(0)
	v_cmp_ne_u16_sdwa s[14:15], v38, v54 src0_sel:BYTE_0 src1_sel:DWORD
	s_and_saveexec_b64 s[12:13], s[14:15]
	s_cbranch_execz .LBB617_581
; %bb.576:                              ;   in Loop: Header=BB617_215 Depth=1
	v_cmp_ne_u16_sdwa s[16:17], v38, s9 src0_sel:BYTE_0 src1_sel:DWORD
	v_bfrev_b32_e32 v51, 1
	s_and_saveexec_b64 s[14:15], s[16:17]
	s_cbranch_execz .LBB617_580
; %bb.577:                              ;   in Loop: Header=BB617_215 Depth=1
	v_and_b32_e32 v40, 0x7f, v38
	v_cmp_ne_u32_e32 vcc, s19, v40
	v_mov_b32_e32 v51, 0x7f800001
	s_and_saveexec_b64 s[16:17], vcc
	s_cbranch_execz .LBB617_579
; %bb.578:                              ;   in Loop: Header=BB617_215 Depth=1
	v_and_b32_e32 v42, 7, v38
	v_ffbh_u32_e32 v57, v42
	v_min_u32_e32 v57, 32, v57
	v_subrev_u32_e32 v58, 28, v57
	v_lshlrev_b64 v[58:59], v58, v[38:39]
	v_lshrrev_b32_e32 v51, 3, v40
	v_sub_u32_e32 v57, 29, v57
	v_and_b32_e32 v58, 7, v58
	v_cmp_gt_u32_e32 vcc, 8, v40
	v_cndmask_b32_e32 v40, v51, v57, vcc
	v_cndmask_b32_e32 v42, v42, v58, vcc
	v_lshlrev_b32_e32 v51, 24, v38
	v_lshlrev_b32_e32 v42, 20, v42
	v_and_b32_e32 v51, 0x80000000, v51
	v_lshl_add_u32 v40, v40, 23, v55
	v_or3_b32 v51, v51, v40, v42
.LBB617_579:                            ;   in Loop: Header=BB617_215 Depth=1
	s_or_b64 exec, exec, s[16:17]
.LBB617_580:                            ;   in Loop: Header=BB617_215 Depth=1
	s_or_b64 exec, exec, s[14:15]
.LBB617_581:                            ;   in Loop: Header=BB617_215 Depth=1
	s_or_b64 exec, exec, s[12:13]
	v_lshrrev_b16_e32 v40, 8, v38
	v_cmp_ne_u16_e32 vcc, 0, v40
	v_mov_b32_e32 v42, 0
	v_mov_b32_e32 v57, 0
	s_and_saveexec_b64 s[12:13], vcc
	s_cbranch_execz .LBB617_587
; %bb.582:                              ;   in Loop: Header=BB617_215 Depth=1
	v_cmp_ne_u16_e32 vcc, s9, v40
	v_bfrev_b32_e32 v57, 1
	s_and_saveexec_b64 s[14:15], vcc
	s_cbranch_execz .LBB617_586
; %bb.583:                              ;   in Loop: Header=BB617_215 Depth=1
	v_and_b32_e32 v58, 0x7f, v40
	v_cmp_ne_u32_e32 vcc, s19, v58
	v_mov_b32_e32 v57, 0x7f800001
	s_and_saveexec_b64 s[16:17], vcc
	s_cbranch_execz .LBB617_585
; %bb.584:                              ;   in Loop: Header=BB617_215 Depth=1
	v_and_b32_e32 v57, 7, v40
	v_ffbh_u32_e32 v60, v57
	v_min_u32_e32 v62, 32, v60
	v_subrev_u32_e32 v60, 28, v62
	v_lshlrev_b64 v[60:61], v60, v[40:41]
	v_lshrrev_b32_e32 v59, 3, v58
	v_sub_u32_e32 v40, 29, v62
	v_and_b32_e32 v60, 7, v60
	v_cmp_gt_u32_e32 vcc, 8, v58
	v_cndmask_b32_e32 v40, v59, v40, vcc
	v_cndmask_b32_e32 v57, v57, v60, vcc
	v_lshlrev_b32_e32 v58, 16, v38
	v_lshlrev_b32_e32 v57, 20, v57
	v_and_b32_e32 v58, 0x80000000, v58
	v_lshl_add_u32 v40, v40, 23, v55
	v_or3_b32 v57, v58, v40, v57
.LBB617_585:                            ;   in Loop: Header=BB617_215 Depth=1
	s_or_b64 exec, exec, s[16:17]
.LBB617_586:                            ;   in Loop: Header=BB617_215 Depth=1
	s_or_b64 exec, exec, s[14:15]
.LBB617_587:                            ;   in Loop: Header=BB617_215 Depth=1
	s_or_b64 exec, exec, s[12:13]
	v_lshrrev_b32_e32 v40, 16, v38
	v_cmp_ne_u16_sdwa s[14:15], v40, v54 src0_sel:BYTE_0 src1_sel:DWORD
	s_and_saveexec_b64 s[12:13], s[14:15]
	s_cbranch_execz .LBB617_593
; %bb.588:                              ;   in Loop: Header=BB617_215 Depth=1
	v_cmp_ne_u16_sdwa s[16:17], v40, s9 src0_sel:BYTE_0 src1_sel:DWORD
	v_bfrev_b32_e32 v42, 1
	s_and_saveexec_b64 s[14:15], s[16:17]
	s_cbranch_execz .LBB617_592
; %bb.589:                              ;   in Loop: Header=BB617_215 Depth=1
	v_bfe_u32 v58, v38, 16, 7
	v_cmp_ne_u32_e32 vcc, s19, v58
	v_mov_b32_e32 v42, 0x7f800001
	s_and_saveexec_b64 s[16:17], vcc
	s_cbranch_execz .LBB617_591
; %bb.590:                              ;   in Loop: Header=BB617_215 Depth=1
	v_and_b32_e32 v42, 7, v40
	v_ffbh_u32_e32 v60, v42
	v_min_u32_e32 v62, 32, v60
	v_subrev_u32_e32 v60, 28, v62
	v_lshlrev_b64 v[60:61], v60, v[40:41]
	v_lshrrev_b32_e32 v59, 3, v58
	v_sub_u32_e32 v61, 29, v62
	v_and_b32_e32 v60, 7, v60
	v_cmp_gt_u32_e32 vcc, 8, v58
	v_cndmask_b32_e32 v58, v59, v61, vcc
	v_cndmask_b32_e32 v42, v42, v60, vcc
	v_lshlrev_b32_e32 v40, 24, v40
	v_lshlrev_b32_e32 v42, 20, v42
	v_and_b32_e32 v40, 0x80000000, v40
	v_lshl_add_u32 v58, v58, 23, v55
	v_or3_b32 v42, v40, v58, v42
.LBB617_591:                            ;   in Loop: Header=BB617_215 Depth=1
	s_or_b64 exec, exec, s[16:17]
.LBB617_592:                            ;   in Loop: Header=BB617_215 Depth=1
	s_or_b64 exec, exec, s[14:15]
.LBB617_593:                            ;   in Loop: Header=BB617_215 Depth=1
	s_or_b64 exec, exec, s[12:13]
	v_cmp_lt_u32_e32 vcc, s20, v38
	v_mov_b32_e32 v58, 0
	s_and_saveexec_b64 s[12:13], vcc
	s_cbranch_execz .LBB617_214
; %bb.594:                              ;   in Loop: Header=BB617_215 Depth=1
	v_lshrrev_b32_e32 v40, 24, v38
	v_cmp_ne_u32_e32 vcc, s9, v40
	v_bfrev_b32_e32 v58, 1
	s_and_saveexec_b64 s[14:15], vcc
	s_cbranch_execz .LBB617_213
; %bb.595:                              ;   in Loop: Header=BB617_215 Depth=1
	v_bfe_u32 v38, v38, 24, 7
	v_cmp_ne_u32_e32 vcc, s19, v38
	v_mov_b32_e32 v58, 0x7f800001
	s_and_saveexec_b64 s[16:17], vcc
	s_cbranch_execz .LBB617_212
; %bb.596:                              ;   in Loop: Header=BB617_215 Depth=1
	v_and_b32_e32 v60, 7, v40
	v_ffbh_u32_e32 v58, v60
	v_min_u32_e32 v62, 32, v58
	v_subrev_u32_e32 v58, 28, v62
	v_lshlrev_b64 v[58:59], v58, v[40:41]
	v_lshrrev_b32_e32 v61, 3, v38
	v_sub_u32_e32 v59, 29, v62
	v_and_b32_e32 v58, 7, v58
	v_cmp_gt_u32_e32 vcc, 8, v38
	v_cndmask_b32_e32 v38, v61, v59, vcc
	v_cndmask_b32_e32 v58, v60, v58, vcc
	v_lshlrev_b32_e32 v40, 24, v40
	v_lshlrev_b32_e32 v58, 20, v58
	v_and_b32_e32 v40, 0x80000000, v40
	v_lshl_add_u32 v38, v38, 23, v55
	v_or3_b32 v58, v40, v38, v58
	s_branch .LBB617_212
.LBB617_597:
	s_barrier
	buffer_load_dword v2, off, s[0:3], 0 offset:320
	buffer_load_dword v5, off, s[0:3], 0 offset:332
	buffer_load_dword v3, off, s[0:3], 0 offset:324
	buffer_load_dword v4, off, s[0:3], 0 offset:328
	v_cmp_gt_u32_e32 vcc, 64, v0
	s_waitcnt vmcnt(0)
	ds_write2st64_b64 v52, v[2:3], v[4:5] offset1:1
	s_waitcnt lgkmcnt(0)
	s_barrier
	s_and_saveexec_b64 s[4:5], vcc
	s_cbranch_execz .LBB617_599
; %bb.598:
	s_lshl_b32 s6, s48, 7
	s_mul_i32 s4, s18, s8
	s_mul_hi_u32 s5, s4, s6
	s_mul_i32 s4, s4, s6
	s_lshl_b64 s[4:5], s[4:5], 1
	s_add_u32 s7, s50, s4
	v_lshlrev_b32_e32 v4, 6, v41
	s_addc_u32 s8, s51, s5
	s_lshl_b32 s4, s26, 7
	s_mov_b32 s5, 0
	v_lshl_or_b32 v0, v0, 10, v4
	s_lshl_b64 s[4:5], s[4:5], 1
	v_lshlrev_b32_e32 v2, 5, v1
	v_and_b32_e32 v3, 16, v43
	v_and_b32_e32 v0, 0x1a00, v0
	s_add_u32 s4, s7, s4
	v_or3_b32 v0, v0, v2, v3
	s_addc_u32 s5, s8, s5
	ds_read_b128 v[2:5], v0
	ds_read_b128 v[6:9], v0 offset:128
	ds_read_b128 v[10:13], v0 offset:256
	v_or_b32_e32 v14, s27, v1
	v_mov_b32_e32 v0, s5
	v_add_co_u32_e32 v15, vcc, s4, v39
	v_addc_co_u32_e32 v16, vcc, 0, v0, vcc
	v_mad_u64_u32 v[0:1], s[4:5], v14, s6, 0
	v_lshlrev_b64 v[0:1], 1, v[0:1]
	v_add_co_u32_e32 v0, vcc, v15, v0
	v_addc_co_u32_e32 v1, vcc, v16, v1, vcc
	s_waitcnt lgkmcnt(2)
	global_store_dwordx4 v[0:1], v[2:5], off
	v_add_u32_e32 v0, 4, v14
	v_mad_u64_u32 v[0:1], s[4:5], v0, s6, 0
	v_lshlrev_b64 v[0:1], 1, v[0:1]
	v_add_co_u32_e32 v0, vcc, v15, v0
	v_addc_co_u32_e32 v1, vcc, v16, v1, vcc
	s_waitcnt lgkmcnt(1)
	global_store_dwordx4 v[0:1], v[6:9], off
	v_add_u32_e32 v0, 8, v14
	v_mad_u64_u32 v[0:1], s[4:5], v0, s6, 0
	v_lshlrev_b64 v[0:1], 1, v[0:1]
	v_add_co_u32_e32 v0, vcc, v15, v0
	v_addc_co_u32_e32 v1, vcc, v16, v1, vcc
	s_waitcnt lgkmcnt(0)
	global_store_dwordx4 v[0:1], v[10:13], off
.LBB617_599:
	s_endpgm
	.section	.rodata,"a",@progbits
	.p2align	6, 0x0
	.amdhsa_kernel _Z39paged_attention_ll4mi_QKV_mfma16_kernelIDF16_hLN4vllm18Fp8KVCacheDataTypeE1EDF16_Li16ELi128ELi256ELb1ELi12EL8MFMAType0EEvPKT_PKT0_S8_ifPKiSA_SA_iPKfiiiPfSD_PS3_PT2_iSC_SC_
		.amdhsa_group_segment_fixed_size 8192
		.amdhsa_private_segment_fixed_size 352
		.amdhsa_kernarg_size 400
		.amdhsa_user_sgpr_count 8
		.amdhsa_user_sgpr_private_segment_buffer 1
		.amdhsa_user_sgpr_dispatch_ptr 0
		.amdhsa_user_sgpr_queue_ptr 0
		.amdhsa_user_sgpr_kernarg_segment_ptr 1
		.amdhsa_user_sgpr_dispatch_id 0
		.amdhsa_user_sgpr_flat_scratch_init 1
		.amdhsa_user_sgpr_kernarg_preload_length 0
		.amdhsa_user_sgpr_kernarg_preload_offset 0
		.amdhsa_user_sgpr_private_segment_size 0
		.amdhsa_uses_dynamic_stack 0
		.amdhsa_system_sgpr_private_segment_wavefront_offset 1
		.amdhsa_system_sgpr_workgroup_id_x 1
		.amdhsa_system_sgpr_workgroup_id_y 1
		.amdhsa_system_sgpr_workgroup_id_z 1
		.amdhsa_system_sgpr_workgroup_info 0
		.amdhsa_system_vgpr_workitem_id 0
		.amdhsa_next_free_vgpr 80
		.amdhsa_next_free_sgpr 53
		.amdhsa_accum_offset 80
		.amdhsa_reserve_vcc 1
		.amdhsa_reserve_flat_scratch 0
		.amdhsa_float_round_mode_32 0
		.amdhsa_float_round_mode_16_64 0
		.amdhsa_float_denorm_mode_32 3
		.amdhsa_float_denorm_mode_16_64 3
		.amdhsa_dx10_clamp 1
		.amdhsa_ieee_mode 1
		.amdhsa_fp16_overflow 0
		.amdhsa_tg_split 0
		.amdhsa_exception_fp_ieee_invalid_op 0
		.amdhsa_exception_fp_denorm_src 0
		.amdhsa_exception_fp_ieee_div_zero 0
		.amdhsa_exception_fp_ieee_overflow 0
		.amdhsa_exception_fp_ieee_underflow 0
		.amdhsa_exception_fp_ieee_inexact 0
		.amdhsa_exception_int_div_zero 0
	.end_amdhsa_kernel
	.section	.text._Z39paged_attention_ll4mi_QKV_mfma16_kernelIDF16_hLN4vllm18Fp8KVCacheDataTypeE1EDF16_Li16ELi128ELi256ELb1ELi12EL8MFMAType0EEvPKT_PKT0_S8_ifPKiSA_SA_iPKfiiiPfSD_PS3_PT2_iSC_SC_,"axG",@progbits,_Z39paged_attention_ll4mi_QKV_mfma16_kernelIDF16_hLN4vllm18Fp8KVCacheDataTypeE1EDF16_Li16ELi128ELi256ELb1ELi12EL8MFMAType0EEvPKT_PKT0_S8_ifPKiSA_SA_iPKfiiiPfSD_PS3_PT2_iSC_SC_,comdat
.Lfunc_end617:
	.size	_Z39paged_attention_ll4mi_QKV_mfma16_kernelIDF16_hLN4vllm18Fp8KVCacheDataTypeE1EDF16_Li16ELi128ELi256ELb1ELi12EL8MFMAType0EEvPKT_PKT0_S8_ifPKiSA_SA_iPKfiiiPfSD_PS3_PT2_iSC_SC_, .Lfunc_end617-_Z39paged_attention_ll4mi_QKV_mfma16_kernelIDF16_hLN4vllm18Fp8KVCacheDataTypeE1EDF16_Li16ELi128ELi256ELb1ELi12EL8MFMAType0EEvPKT_PKT0_S8_ifPKiSA_SA_iPKfiiiPfSD_PS3_PT2_iSC_SC_
                                        ; -- End function
	.section	.AMDGPU.csdata,"",@progbits
; Kernel info:
; codeLenInByte = 21444
; NumSgprs: 57
; NumVgprs: 80
; NumAgprs: 0
; TotalNumVgprs: 80
; ScratchSize: 352
; MemoryBound: 0
; FloatMode: 240
; IeeeMode: 1
; LDSByteSize: 8192 bytes/workgroup (compile time only)
; SGPRBlocks: 7
; VGPRBlocks: 9
; NumSGPRsForWavesPerEU: 57
; NumVGPRsForWavesPerEU: 80
; AccumOffset: 80
; Occupancy: 6
; WaveLimiterHint : 1
; COMPUTE_PGM_RSRC2:SCRATCH_EN: 1
; COMPUTE_PGM_RSRC2:USER_SGPR: 8
; COMPUTE_PGM_RSRC2:TRAP_HANDLER: 0
; COMPUTE_PGM_RSRC2:TGID_X_EN: 1
; COMPUTE_PGM_RSRC2:TGID_Y_EN: 1
; COMPUTE_PGM_RSRC2:TGID_Z_EN: 1
; COMPUTE_PGM_RSRC2:TIDIG_COMP_CNT: 0
; COMPUTE_PGM_RSRC3_GFX90A:ACCUM_OFFSET: 19
; COMPUTE_PGM_RSRC3_GFX90A:TG_SPLIT: 0
	.section	.text._Z39paged_attention_ll4mi_QKV_mfma16_kernelIDF16_hLN4vllm18Fp8KVCacheDataTypeE1EDF16_Li16ELi128ELi256ELb1ELi13EL8MFMAType0EEvPKT_PKT0_S8_ifPKiSA_SA_iPKfiiiPfSD_PS3_PT2_iSC_SC_,"axG",@progbits,_Z39paged_attention_ll4mi_QKV_mfma16_kernelIDF16_hLN4vllm18Fp8KVCacheDataTypeE1EDF16_Li16ELi128ELi256ELb1ELi13EL8MFMAType0EEvPKT_PKT0_S8_ifPKiSA_SA_iPKfiiiPfSD_PS3_PT2_iSC_SC_,comdat
	.protected	_Z39paged_attention_ll4mi_QKV_mfma16_kernelIDF16_hLN4vllm18Fp8KVCacheDataTypeE1EDF16_Li16ELi128ELi256ELb1ELi13EL8MFMAType0EEvPKT_PKT0_S8_ifPKiSA_SA_iPKfiiiPfSD_PS3_PT2_iSC_SC_ ; -- Begin function _Z39paged_attention_ll4mi_QKV_mfma16_kernelIDF16_hLN4vllm18Fp8KVCacheDataTypeE1EDF16_Li16ELi128ELi256ELb1ELi13EL8MFMAType0EEvPKT_PKT0_S8_ifPKiSA_SA_iPKfiiiPfSD_PS3_PT2_iSC_SC_
	.globl	_Z39paged_attention_ll4mi_QKV_mfma16_kernelIDF16_hLN4vllm18Fp8KVCacheDataTypeE1EDF16_Li16ELi128ELi256ELb1ELi13EL8MFMAType0EEvPKT_PKT0_S8_ifPKiSA_SA_iPKfiiiPfSD_PS3_PT2_iSC_SC_
	.p2align	8
	.type	_Z39paged_attention_ll4mi_QKV_mfma16_kernelIDF16_hLN4vllm18Fp8KVCacheDataTypeE1EDF16_Li16ELi128ELi256ELb1ELi13EL8MFMAType0EEvPKT_PKT0_S8_ifPKiSA_SA_iPKfiiiPfSD_PS3_PT2_iSC_SC_,@function
_Z39paged_attention_ll4mi_QKV_mfma16_kernelIDF16_hLN4vllm18Fp8KVCacheDataTypeE1EDF16_Li16ELi128ELi256ELb1ELi13EL8MFMAType0EEvPKT_PKT0_S8_ifPKiSA_SA_iPKfiiiPfSD_PS3_PT2_iSC_SC_: ; @_Z39paged_attention_ll4mi_QKV_mfma16_kernelIDF16_hLN4vllm18Fp8KVCacheDataTypeE1EDF16_Li16ELi128ELi256ELb1ELi13EL8MFMAType0EEvPKT_PKT0_S8_ifPKiSA_SA_iPKfiiiPfSD_PS3_PT2_iSC_SC_
; %bb.0:
	s_load_dwordx2 s[6:7], s[4:5], 0x30
	s_add_u32 s0, s0, s11
	s_addc_u32 s1, s1, 0
	s_mov_b32 s26, s9
	s_mov_b64 s[14:15], 0
	s_waitcnt lgkmcnt(0)
	s_cmp_lg_u64 s[6:7], 0
	s_cselect_b64 s[12:13], -1, 0
	s_and_b64 vcc, exec, s[12:13]
	s_cbranch_vccz .LBB618_7
; %bb.1:
	s_add_i32 s16, s8, 1
	s_mov_b32 s17, 0
	s_lshl_b64 s[18:19], s[16:17], 2
	s_add_u32 s18, s6, s18
	s_mov_b32 s9, s17
	s_addc_u32 s19, s7, s19
	s_lshl_b64 s[16:17], s[8:9], 2
	s_add_u32 s16, s6, s16
	s_addc_u32 s17, s7, s17
	s_load_dword s11, s[18:19], 0x0
	s_load_dword s20, s[16:17], 0x0
	s_waitcnt lgkmcnt(0)
	s_sub_i32 s11, s11, s20
	s_cmp_eq_u32 s11, 1
	s_cselect_b64 s[16:17], -1, 0
	s_andn2_b64 vcc, exec, s[14:15]
	s_cbranch_vccnz .LBB618_3
.LBB618_2:
	s_mov_b32 s9, 0
	s_mov_b64 s[16:17], -1
.LBB618_3:
	s_andn2_b64 vcc, exec, s[16:17]
	s_cbranch_vccnz .LBB618_600
; %bb.4:
	s_load_dwordx2 s[16:17], s[4:5], 0x28
	s_lshl_b64 s[14:15], s[8:9], 2
	s_waitcnt lgkmcnt(0)
	s_add_u32 s16, s16, s14
	s_addc_u32 s17, s17, s15
	s_load_dword s33, s[16:17], 0x0
	s_lshl_b32 s20, s26, 8
	s_waitcnt lgkmcnt(0)
	s_cmp_ge_i32 s20, s33
	s_cbranch_scc1 .LBB618_600
; %bb.5:
	s_add_i32 s18, s33, 15
	s_load_dwordx2 s[16:17], s[4:5], 0x20
	s_load_dword s11, s[4:5], 0x38
	s_ashr_i32 s19, s18, 31
	v_and_b32_e32 v1, 0xcf, v0
	s_lshr_b32 s19, s19, 28
	v_add_u32_e32 v1, s20, v1
	s_add_i32 s18, s18, s19
	v_ashrrev_i32_e32 v2, 31, v1
	s_ashr_i32 s23, s18, 4
	v_lshrrev_b32_e32 v4, 28, v2
	s_add_i32 s23, s23, -1
	v_add_u32_e32 v2, v1, v4
	s_waitcnt lgkmcnt(0)
	s_mul_i32 s18, s8, s11
	s_mov_b32 s19, 0
	v_ashrrev_i32_e32 v2, 4, v2
	v_mov_b32_e32 v5, s23
	v_cmp_gt_i32_e32 vcc, s33, v1
	s_lshl_b64 s[18:19], s[18:19], 2
	v_cndmask_b32_e32 v2, v5, v2, vcc
	s_add_u32 s21, s16, s18
	v_ashrrev_i32_e32 v3, 31, v2
	s_addc_u32 s22, s17, s19
	v_lshlrev_b64 v[2:3], 2, v[2:3]
	v_mov_b32_e32 v7, s22
	v_add_co_u32_e32 v6, vcc, s21, v2
	v_or_b32_e32 v2, 16, v1
	v_addc_co_u32_e32 v7, vcc, v7, v3, vcc
	v_add_u32_e32 v3, v2, v4
	v_ashrrev_i32_e32 v3, 4, v3
	v_cmp_gt_i32_e32 vcc, s33, v2
	v_cndmask_b32_e32 v2, v5, v3, vcc
	v_ashrrev_i32_e32 v3, 31, v2
	v_lshlrev_b64 v[2:3], 2, v[2:3]
	v_mov_b32_e32 v9, s22
	v_add_co_u32_e32 v8, vcc, s21, v2
	v_or_b32_e32 v2, 32, v1
	v_addc_co_u32_e32 v9, vcc, v9, v3, vcc
	v_add_u32_e32 v3, v2, v4
	v_ashrrev_i32_e32 v3, 4, v3
	v_cmp_gt_i32_e32 vcc, s33, v2
	v_cndmask_b32_e32 v2, v5, v3, vcc
	v_ashrrev_i32_e32 v3, 31, v2
	;; [unrolled: 10-line block ×3, first 2 shown]
	v_lshlrev_b64 v[2:3], 2, v[2:3]
	v_mov_b32_e32 v1, s22
	v_add_co_u32_e32 v12, vcc, s21, v2
	v_addc_co_u32_e32 v13, vcc, v1, v3, vcc
	global_load_dword v5, v[6:7], off
	global_load_dword v4, v[8:9], off
	;; [unrolled: 1-line block ×4, first 2 shown]
	s_load_dwordx2 s[16:17], s[4:5], 0x8
	s_andn2_b64 vcc, exec, s[12:13]
	s_cbranch_vccnz .LBB618_8
; %bb.6:
	s_add_u32 s6, s6, s14
	s_addc_u32 s7, s7, s15
	s_load_dword s11, s[6:7], 0x0
	s_branch .LBB618_9
.LBB618_7:
	s_mov_b64 s[16:17], 0
	s_branch .LBB618_2
.LBB618_8:
	s_mov_b32 s11, s8
.LBB618_9:
	s_load_dwordx2 s[6:7], s[4:5], 0x10
	s_load_dwordx4 s[12:15], s[4:5], 0x48
	v_lshrrev_b32_e32 v27, 6, v0
	v_bfe_u32 v1, v0, 4, 2
	v_and_b32_e32 v41, 15, v0
	v_lshl_or_b32 v6, v27, 2, v1
	v_lshlrev_b32_e32 v7, 3, v41
	s_mul_i32 s27, s10, 13
	v_cmp_gt_u32_e32 vcc, 13, v6
	v_lshlrev_b32_e32 v39, 1, v7
	v_lshlrev_b32_e32 v43, 4, v0
	s_and_saveexec_b64 s[18:19], vcc
	s_cbranch_execz .LBB618_11
; %bb.10:
	s_load_dwordx2 s[24:25], s[4:5], 0x0
	s_waitcnt lgkmcnt(0)
	s_ashr_i32 s15, s12, 31
	s_mul_hi_u32 s28, s11, s12
	s_mul_i32 s15, s11, s15
	s_add_i32 s29, s28, s15
	s_mul_i32 s28, s11, s12
	s_lshl_b64 s[28:29], s[28:29], 1
	v_add_lshl_u32 v8, v6, s27, 7
	s_add_u32 s11, s24, s28
	v_ashrrev_i32_e32 v9, 31, v8
	s_addc_u32 s12, s25, s29
	v_lshlrev_b64 v[8:9], 1, v[8:9]
	v_mov_b32_e32 v7, s12
	v_add_co_u32_e32 v8, vcc, s11, v8
	v_addc_co_u32_e32 v7, vcc, v7, v9, vcc
	v_add_co_u32_e32 v8, vcc, v8, v39
	v_addc_co_u32_e32 v9, vcc, 0, v7, vcc
	global_load_dwordx4 v[8:11], v[8:9], off
	v_lshlrev_b32_e32 v12, 8, v0
	v_lshlrev_b32_e32 v7, 8, v41
	v_and_b32_e32 v12, 0x600, v12
	s_movk_i32 s11, 0x800
	v_and_or_b32 v7, v7, s11, v12
	v_lshlrev_b32_e32 v6, 5, v6
	v_and_b32_e32 v12, 16, v43
	v_or3_b32 v6, v7, v6, v12
	s_waitcnt vmcnt(0)
	ds_write_b128 v6, v[8:11]
.LBB618_11:
	s_or_b64 exec, exec, s[18:19]
	s_waitcnt lgkmcnt(0)
	s_mul_i32 s14, s10, s14
	s_add_u32 s10, s16, s14
	s_addc_u32 s11, s17, 0
	v_and_b32_e32 v6, 0xf0, v43
	v_mov_b32_e32 v7, s11
	v_add_co_u32_e32 v6, vcc, s10, v6
	v_and_b32_e32 v18, 48, v0
	v_addc_co_u32_e32 v7, vcc, 0, v7, vcc
	v_lshlrev_b32_e32 v10, 4, v18
	s_waitcnt vmcnt(3)
	v_mad_i64_i32 v[8:9], s[10:11], v5, s13, v[6:7]
	v_add_co_u32_e32 v8, vcc, v8, v10
	v_addc_co_u32_e32 v9, vcc, 0, v9, vcc
	s_waitcnt vmcnt(2)
	v_mad_i64_i32 v[4:5], s[10:11], v4, s13, v[6:7]
	v_add_co_u32_e32 v4, vcc, v4, v10
	v_addc_co_u32_e32 v5, vcc, 0, v5, vcc
	s_load_dwordx2 s[48:49], s[4:5], 0x94
	s_waitcnt lgkmcnt(0)
	s_barrier
	global_load_dwordx4 v[20:23], v[8:9], off
	global_load_dwordx4 v[28:31], v[8:9], off offset:1024
	global_load_dwordx4 v[32:35], v[4:5], off
	global_load_dwordx4 v[44:47], v[4:5], off offset:1024
	s_waitcnt vmcnt(5)
	v_mad_i64_i32 v[4:5], s[10:11], v3, s13, v[6:7]
	v_add_co_u32_e32 v4, vcc, v4, v10
	v_addc_co_u32_e32 v5, vcc, 0, v5, vcc
	s_waitcnt vmcnt(4)
	v_mad_i64_i32 v[2:3], s[10:11], v2, s13, v[6:7]
	v_add_co_u32_e32 v2, vcc, v2, v10
	v_addc_co_u32_e32 v3, vcc, 0, v3, vcc
	global_load_dwordx4 v[48:51], v[4:5], off
	global_load_dwordx4 v[52:55], v[4:5], off offset:1024
	global_load_dwordx4 v[56:59], v[2:3], off
	global_load_dwordx4 v[60:63], v[2:3], off offset:1024
	v_add_u32_e32 v2, -13, v41
	v_cmp_gt_u32_e32 vcc, 13, v41
	v_cndmask_b32_e32 v2, v2, v41, vcc
	v_lshlrev_b32_e32 v2, 5, v2
	v_lshl_add_u32 v14, v1, 9, v2
	s_load_dwordx2 s[50:51], s[4:5], 0x68
	s_load_dwordx4 s[44:47], s[4:5], 0x58
	ds_read_b128 v[2:5], v14
	ds_read_b128 v[6:9], v14 offset:16
	ds_read_b128 v[10:13], v14 offset:2048
	;; [unrolled: 1-line block ×3, first 2 shown]
	s_mov_b32 s12, 0
	s_waitcnt vmcnt(7)
	buffer_store_dword v23, off, s[0:3], 0 offset:12
	buffer_store_dword v22, off, s[0:3], 0 offset:8
	;; [unrolled: 1-line block ×3, first 2 shown]
	buffer_store_dword v20, off, s[0:3], 0
	s_waitcnt vmcnt(10)
	buffer_store_dword v31, off, s[0:3], 0 offset:28
	buffer_store_dword v30, off, s[0:3], 0 offset:24
	buffer_store_dword v29, off, s[0:3], 0 offset:20
	buffer_store_dword v28, off, s[0:3], 0 offset:16
	s_waitcnt vmcnt(13)
	buffer_store_dword v35, off, s[0:3], 0 offset:44
	buffer_store_dword v34, off, s[0:3], 0 offset:40
	buffer_store_dword v33, off, s[0:3], 0 offset:36
	buffer_store_dword v32, off, s[0:3], 0 offset:32
	;; [unrolled: 5-line block ×7, first 2 shown]
	v_mov_b32_e32 v35, 0
	v_mov_b32_e32 v31, 0
	s_and_saveexec_b64 s[10:11], vcc
	s_cbranch_execz .LBB618_13
; %bb.12:
	s_load_dwordx2 s[16:17], s[4:5], 0x40
	v_add_u32_e32 v20, s27, v41
	v_ashrrev_i32_e32 v21, 31, v20
	v_lshlrev_b64 v[20:21], 2, v[20:21]
	s_waitcnt lgkmcnt(0)
	v_mov_b32_e32 v19, s17
	v_add_co_u32_e32 v20, vcc, s16, v20
	v_addc_co_u32_e32 v21, vcc, v19, v21, vcc
	global_load_dword v31, v[20:21], off
.LBB618_13:
	s_or_b64 exec, exec, s[10:11]
	v_or_b32_e32 v22, s20, v18
	v_ashrrev_i32_e32 v18, 4, v22
	v_mov_b32_e32 v23, s23
	v_cmp_gt_i32_e32 vcc, s33, v22
	v_cndmask_b32_e32 v18, v23, v18, vcc
	v_ashrrev_i32_e32 v19, 31, v18
	v_lshlrev_b64 v[18:19], 2, v[18:19]
	v_mov_b32_e32 v20, s22
	v_add_co_u32_e32 v18, vcc, s21, v18
	v_addc_co_u32_e32 v19, vcc, v20, v19, vcc
	global_load_dword v26, v[18:19], off
	v_or_b32_e32 v18, 64, v22
	v_ashrrev_i32_e32 v19, 4, v18
	v_cmp_gt_i32_e32 vcc, s33, v18
	v_cndmask_b32_e32 v18, v23, v19, vcc
	v_ashrrev_i32_e32 v19, 31, v18
	v_lshlrev_b64 v[18:19], 2, v[18:19]
	v_add_co_u32_e32 v18, vcc, s21, v18
	v_addc_co_u32_e32 v19, vcc, v20, v19, vcc
	v_or_b32_e32 v20, 0x80, v22
	v_ashrrev_i32_e32 v21, 4, v20
	v_cmp_gt_i32_e32 vcc, s33, v20
	v_cndmask_b32_e32 v20, v23, v21, vcc
	v_ashrrev_i32_e32 v21, 31, v20
	v_lshlrev_b64 v[20:21], 2, v[20:21]
	v_mov_b32_e32 v24, s22
	v_add_co_u32_e32 v20, vcc, s21, v20
	v_addc_co_u32_e32 v21, vcc, v24, v21, vcc
	global_load_dword v28, v[18:19], off
	global_load_dword v30, v[20:21], off
	v_or_b32_e32 v18, 0xc0, v22
	v_ashrrev_i32_e32 v19, 4, v18
	v_cmp_gt_i32_e32 vcc, s33, v18
	v_cndmask_b32_e32 v18, v23, v19, vcc
	v_ashrrev_i32_e32 v19, 31, v18
	v_lshlrev_b64 v[18:19], 2, v[18:19]
	v_mov_b32_e32 v20, s22
	v_add_co_u32_e32 v18, vcc, s21, v18
	v_addc_co_u32_e32 v19, vcc, v20, v19, vcc
	global_load_dword v34, v[18:19], off
	s_add_u32 s10, s6, s14
	v_lshl_or_b32 v29, v27, 4, v41
	s_addc_u32 s6, s7, 0
	v_lshlrev_b32_e32 v18, 4, v29
	v_mov_b32_e32 v19, s6
	v_add_co_u32_e32 v22, vcc, s10, v18
	v_addc_co_u32_e32 v23, vcc, 0, v19, vcc
	v_or_b32_e32 v24, 0x400, v18
	v_mov_b32_e32 v25, s6
	v_add_co_u32_e32 v24, vcc, s10, v24
	v_addc_co_u32_e32 v25, vcc, 0, v25, vcc
	v_mov_b32_e32 v36, 0
	s_movk_i32 s14, 0x7f
	s_mov_b32 s15, 0xffffff
	v_mov_b32_e32 v37, 0x100
	v_bfrev_b32_e32 v38, 60
	s_waitcnt vmcnt(3)
	v_mad_i64_i32 v[18:19], s[6:7], v26, s13, v[22:23]
	global_load_dwordx4 v[18:21], v[18:19], off
	v_mad_i64_i32 v[32:33], s[6:7], v26, s13, v[24:25]
	global_load_dwordx4 v[52:55], v[32:33], off
	s_waitcnt vmcnt(4)
	v_mad_i64_i32 v[32:33], s[6:7], v28, s13, v[22:23]
	global_load_dwordx4 v[56:59], v[32:33], off
	s_waitcnt vmcnt(4)
	;; [unrolled: 3-line block ×3, first 2 shown]
	v_mad_i64_i32 v[22:23], s[6:7], v34, s13, v[22:23]
	global_load_dwordx4 v[64:67], v[22:23], off
	v_mad_i64_i32 v[22:23], s[6:7], v28, s13, v[24:25]
	global_load_dwordx4 v[68:71], v[22:23], off
	v_mad_i64_i32 v[22:23], s[6:7], v30, s13, v[24:25]
	global_load_dwordx4 v[72:75], v[22:23], off
	v_mad_i64_i32 v[22:23], s[6:7], v34, s13, v[24:25]
	global_load_dwordx4 v[76:79], v[22:23], off
	s_load_dword s6, s[4:5], 0x1c
	s_load_dwordx4 s[40:43], s[4:5], 0x80
	v_mov_b32_e32 v22, 0x80
	v_add_u32_e32 v45, 16, v22
	v_add_u32_e32 v46, 32, v22
	;; [unrolled: 1-line block ×3, first 2 shown]
	s_waitcnt lgkmcnt(0)
	s_load_dword s4, s[40:41], 0x0
	v_add_u32_e32 v51, 64, v22
	v_add_u32_e32 v48, 0x50, v22
	;; [unrolled: 1-line block ×4, first 2 shown]
	v_mov_b32_e32 v22, s6
	s_waitcnt lgkmcnt(0)
	v_mul_f32_e32 v22, s4, v22
	v_and_b32_e32 v33, 63, v0
	s_movk_i32 s13, 0x80
	v_mov_b32_e32 v24, v22
	v_mov_b32_e32 v25, v22
	s_waitcnt vmcnt(7)
	buffer_store_dword v21, off, s[0:3], 0 offset:140
	buffer_store_dword v20, off, s[0:3], 0 offset:136
	buffer_store_dword v19, off, s[0:3], 0 offset:132
	buffer_store_dword v18, off, s[0:3], 0 offset:128
	s_waitcnt vmcnt(10)
	buffer_store_dword v55, off, s[0:3], 0 offset:156
	buffer_store_dword v54, off, s[0:3], 0 offset:152
	buffer_store_dword v53, off, s[0:3], 0 offset:148
	buffer_store_dword v52, off, s[0:3], 0 offset:144
	;; [unrolled: 5-line block ×8, first 2 shown]
	s_branch .LBB618_17
.LBB618_14:                             ;   in Loop: Header=BB618_17 Depth=1
	s_or_b64 exec, exec, s[10:11]
.LBB618_15:                             ;   in Loop: Header=BB618_17 Depth=1
	s_or_b64 exec, exec, s[6:7]
.LBB618_16:                             ;   in Loop: Header=BB618_17 Depth=1
	s_or_b64 exec, exec, s[4:5]
	v_cvt_pkrtz_f16_f32 v54, v34, v32
	v_cvt_pkrtz_f16_f32 v55, v23, v42
	v_add_u32_e32 v26, s12, v37
	s_add_i32 s12, s12, 16
	v_mov_b32_e32 v23, v22
	v_mfma_f32_16x16x16f16 v[18:21], v[54:55], v[14:15], v[18:21]
	v_cvt_pkrtz_f16_f32 v54, v40, v44
	v_cvt_pkrtz_f16_f32 v55, v30, v52
	s_cmp_eq_u32 s12, 64
	v_add_u32_e32 v36, 32, v36
	v_mfma_f32_16x16x16f16 v[18:21], v[54:55], v[16:17], v[18:21]
	s_nop 7
	s_nop 2
	v_pk_mul_f32 v[18:19], v[24:25], v[18:19]
	v_pk_mul_f32 v[20:21], v[22:23], v[20:21]
	buffer_store_dword v19, v26, s[0:3], 0 offen offset:4
	buffer_store_dword v18, v26, s[0:3], 0 offen
	buffer_store_dword v21, v26, s[0:3], 0 offen offset:12
	buffer_store_dword v20, v26, s[0:3], 0 offen offset:8
	s_cbranch_scc1 .LBB618_207
.LBB618_17:                             ; =>This Inner Loop Header: Depth=1
	buffer_load_dword v20, v36, s[0:3], 0 offen
	buffer_load_dword v18, v36, s[0:3], 0 offen offset:4
	buffer_load_dword v28, v36, s[0:3], 0 offen offset:8
	;; [unrolled: 1-line block ×3, first 2 shown]
	v_mov_b32_e32 v19, 0
	v_mov_b32_e32 v21, 0
	s_waitcnt vmcnt(3)
	v_cmp_ne_u16_sdwa s[6:7], v20, v35 src0_sel:BYTE_0 src1_sel:DWORD
	s_and_saveexec_b64 s[4:5], s[6:7]
	s_cbranch_execz .LBB618_23
; %bb.18:                               ;   in Loop: Header=BB618_17 Depth=1
	v_cmp_ne_u16_sdwa s[10:11], v20, s13 src0_sel:BYTE_0 src1_sel:DWORD
	v_bfrev_b32_e32 v21, 1
	s_and_saveexec_b64 s[6:7], s[10:11]
	s_cbranch_execz .LBB618_22
; %bb.19:                               ;   in Loop: Header=BB618_17 Depth=1
	v_and_b32_e32 v23, 0x7f, v20
	v_cmp_ne_u32_e32 vcc, s14, v23
	v_mov_b32_e32 v21, 0x7f800001
	s_and_saveexec_b64 s[10:11], vcc
	s_cbranch_execz .LBB618_21
; %bb.20:                               ;   in Loop: Header=BB618_17 Depth=1
	v_and_b32_e32 v21, 7, v20
	v_ffbh_u32_e32 v32, v21
	v_min_u32_e32 v32, 32, v32
	v_subrev_u32_e32 v34, 28, v32
	v_lshlrev_b64 v[52:53], v34, v[20:21]
	v_lshrrev_b32_e32 v30, 3, v23
	v_sub_u32_e32 v32, 29, v32
	v_and_b32_e32 v34, 7, v52
	v_cmp_gt_u32_e32 vcc, 8, v23
	v_cndmask_b32_e32 v23, v30, v32, vcc
	v_cndmask_b32_e32 v21, v21, v34, vcc
	v_lshlrev_b32_e32 v30, 24, v20
	v_lshlrev_b32_e32 v21, 20, v21
	v_and_b32_e32 v30, 0x80000000, v30
	v_lshl_add_u32 v23, v23, 23, v38
	v_or3_b32 v21, v30, v23, v21
.LBB618_21:                             ;   in Loop: Header=BB618_17 Depth=1
	s_or_b64 exec, exec, s[10:11]
.LBB618_22:                             ;   in Loop: Header=BB618_17 Depth=1
	s_or_b64 exec, exec, s[6:7]
.LBB618_23:                             ;   in Loop: Header=BB618_17 Depth=1
	s_or_b64 exec, exec, s[4:5]
	v_lshrrev_b16_e32 v30, 8, v20
	v_cmp_ne_u16_e32 vcc, 0, v30
	s_and_saveexec_b64 s[4:5], vcc
	s_cbranch_execz .LBB618_29
; %bb.24:                               ;   in Loop: Header=BB618_17 Depth=1
	v_cmp_ne_u16_e32 vcc, s13, v30
	v_bfrev_b32_e32 v19, 1
	s_and_saveexec_b64 s[6:7], vcc
	s_cbranch_execz .LBB618_28
; %bb.25:                               ;   in Loop: Header=BB618_17 Depth=1
	v_and_b32_e32 v23, 0x7f, v30
	v_cmp_ne_u32_e32 vcc, s14, v23
	v_mov_b32_e32 v19, 0x7f800001
	s_and_saveexec_b64 s[10:11], vcc
	s_cbranch_execz .LBB618_27
; %bb.26:                               ;   in Loop: Header=BB618_17 Depth=1
	v_and_b32_e32 v19, 7, v30
	v_ffbh_u32_e32 v34, v19
	v_min_u32_e32 v34, 32, v34
	v_subrev_u32_e32 v40, 28, v34
	v_lshlrev_b64 v[52:53], v40, v[30:31]
	v_lshrrev_b32_e32 v32, 3, v23
	v_sub_u32_e32 v30, 29, v34
	v_and_b32_e32 v34, 7, v52
	v_cmp_gt_u32_e32 vcc, 8, v23
	v_cndmask_b32_e32 v23, v32, v30, vcc
	v_cndmask_b32_e32 v19, v19, v34, vcc
	v_lshlrev_b32_e32 v30, 16, v20
	v_lshlrev_b32_e32 v19, 20, v19
	v_and_b32_e32 v30, 0x80000000, v30
	v_lshl_add_u32 v23, v23, 23, v38
	v_or3_b32 v19, v30, v23, v19
.LBB618_27:                             ;   in Loop: Header=BB618_17 Depth=1
	s_or_b64 exec, exec, s[10:11]
.LBB618_28:                             ;   in Loop: Header=BB618_17 Depth=1
	s_or_b64 exec, exec, s[6:7]
.LBB618_29:                             ;   in Loop: Header=BB618_17 Depth=1
	s_or_b64 exec, exec, s[4:5]
	v_lshrrev_b32_e32 v30, 16, v20
	v_cmp_ne_u16_sdwa s[6:7], v30, v35 src0_sel:BYTE_0 src1_sel:DWORD
	v_mov_b32_e32 v32, 0
	v_mov_b32_e32 v23, 0
	s_and_saveexec_b64 s[4:5], s[6:7]
	s_cbranch_execz .LBB618_35
; %bb.30:                               ;   in Loop: Header=BB618_17 Depth=1
	v_cmp_ne_u16_sdwa s[10:11], v30, s13 src0_sel:BYTE_0 src1_sel:DWORD
	v_bfrev_b32_e32 v23, 1
	s_and_saveexec_b64 s[6:7], s[10:11]
	s_cbranch_execz .LBB618_34
; %bb.31:                               ;   in Loop: Header=BB618_17 Depth=1
	v_bfe_u32 v34, v20, 16, 7
	v_cmp_ne_u32_e32 vcc, s14, v34
	v_mov_b32_e32 v23, 0x7f800001
	s_and_saveexec_b64 s[10:11], vcc
	s_cbranch_execz .LBB618_33
; %bb.32:                               ;   in Loop: Header=BB618_17 Depth=1
	v_and_b32_e32 v23, 7, v30
	v_ffbh_u32_e32 v42, v23
	v_min_u32_e32 v42, 32, v42
	v_subrev_u32_e32 v44, 28, v42
	v_lshlrev_b64 v[52:53], v44, v[30:31]
	v_lshrrev_b32_e32 v40, 3, v34
	v_sub_u32_e32 v42, 29, v42
	v_and_b32_e32 v44, 7, v52
	v_cmp_gt_u32_e32 vcc, 8, v34
	v_cndmask_b32_e32 v34, v40, v42, vcc
	v_cndmask_b32_e32 v23, v23, v44, vcc
	v_lshlrev_b32_e32 v30, 24, v30
	v_lshlrev_b32_e32 v23, 20, v23
	v_and_b32_e32 v30, 0x80000000, v30
	v_lshl_add_u32 v34, v34, 23, v38
	v_or3_b32 v23, v30, v34, v23
.LBB618_33:                             ;   in Loop: Header=BB618_17 Depth=1
	s_or_b64 exec, exec, s[10:11]
.LBB618_34:                             ;   in Loop: Header=BB618_17 Depth=1
	s_or_b64 exec, exec, s[6:7]
.LBB618_35:                             ;   in Loop: Header=BB618_17 Depth=1
	s_or_b64 exec, exec, s[4:5]
	v_cmp_lt_u32_e32 vcc, s15, v20
	s_and_saveexec_b64 s[4:5], vcc
	s_cbranch_execz .LBB618_41
; %bb.36:                               ;   in Loop: Header=BB618_17 Depth=1
	v_lshrrev_b32_e32 v30, 24, v20
	v_cmp_ne_u32_e32 vcc, s13, v30
	v_bfrev_b32_e32 v32, 1
	s_and_saveexec_b64 s[6:7], vcc
	s_cbranch_execz .LBB618_40
; %bb.37:                               ;   in Loop: Header=BB618_17 Depth=1
	v_bfe_u32 v20, v20, 24, 7
	v_cmp_ne_u32_e32 vcc, s14, v20
	v_mov_b32_e32 v32, 0x7f800001
	s_and_saveexec_b64 s[10:11], vcc
	s_cbranch_execz .LBB618_39
; %bb.38:                               ;   in Loop: Header=BB618_17 Depth=1
	v_and_b32_e32 v32, 7, v30
	v_ffbh_u32_e32 v40, v32
	v_min_u32_e32 v40, 32, v40
	v_subrev_u32_e32 v42, 28, v40
	v_lshlrev_b64 v[52:53], v42, v[30:31]
	v_lshrrev_b32_e32 v34, 3, v20
	v_sub_u32_e32 v40, 29, v40
	v_and_b32_e32 v42, 7, v52
	v_cmp_gt_u32_e32 vcc, 8, v20
	v_cndmask_b32_e32 v20, v34, v40, vcc
	v_cndmask_b32_e32 v32, v32, v42, vcc
	v_lshlrev_b32_e32 v30, 24, v30
	v_lshlrev_b32_e32 v32, 20, v32
	v_and_b32_e32 v30, 0x80000000, v30
	v_lshl_add_u32 v20, v20, 23, v38
	v_or3_b32 v32, v30, v20, v32
.LBB618_39:                             ;   in Loop: Header=BB618_17 Depth=1
	s_or_b64 exec, exec, s[10:11]
.LBB618_40:                             ;   in Loop: Header=BB618_17 Depth=1
	s_or_b64 exec, exec, s[6:7]
.LBB618_41:                             ;   in Loop: Header=BB618_17 Depth=1
	s_or_b64 exec, exec, s[4:5]
	s_waitcnt vmcnt(2)
	v_cmp_ne_u16_sdwa s[6:7], v18, v35 src0_sel:BYTE_0 src1_sel:DWORD
	v_mov_b32_e32 v30, 0
	v_mov_b32_e32 v34, 0
	s_and_saveexec_b64 s[4:5], s[6:7]
	s_cbranch_execz .LBB618_47
; %bb.42:                               ;   in Loop: Header=BB618_17 Depth=1
	v_cmp_ne_u16_sdwa s[10:11], v18, s13 src0_sel:BYTE_0 src1_sel:DWORD
	v_bfrev_b32_e32 v34, 1
	s_and_saveexec_b64 s[6:7], s[10:11]
	s_cbranch_execz .LBB618_46
; %bb.43:                               ;   in Loop: Header=BB618_17 Depth=1
	v_and_b32_e32 v20, 0x7f, v18
	v_cmp_ne_u32_e32 vcc, s14, v20
	v_mov_b32_e32 v34, 0x7f800001
	s_and_saveexec_b64 s[10:11], vcc
	s_cbranch_execz .LBB618_45
; %bb.44:                               ;   in Loop: Header=BB618_17 Depth=1
	v_and_b32_e32 v34, 7, v18
	v_ffbh_u32_e32 v42, v34
	v_min_u32_e32 v42, 32, v42
	v_subrev_u32_e32 v44, 28, v42
	v_lshlrev_b64 v[52:53], v44, v[18:19]
	v_lshrrev_b32_e32 v40, 3, v20
	v_sub_u32_e32 v42, 29, v42
	v_and_b32_e32 v44, 7, v52
	v_cmp_gt_u32_e32 vcc, 8, v20
	v_cndmask_b32_e32 v20, v40, v42, vcc
	v_cndmask_b32_e32 v34, v34, v44, vcc
	v_lshlrev_b32_e32 v40, 24, v18
	v_lshlrev_b32_e32 v34, 20, v34
	v_and_b32_e32 v40, 0x80000000, v40
	v_lshl_add_u32 v20, v20, 23, v38
	v_or3_b32 v34, v40, v20, v34
.LBB618_45:                             ;   in Loop: Header=BB618_17 Depth=1
	s_or_b64 exec, exec, s[10:11]
.LBB618_46:                             ;   in Loop: Header=BB618_17 Depth=1
	s_or_b64 exec, exec, s[6:7]
.LBB618_47:                             ;   in Loop: Header=BB618_17 Depth=1
	s_or_b64 exec, exec, s[4:5]
	v_lshrrev_b16_e32 v20, 8, v18
	v_cmp_ne_u16_e32 vcc, 0, v20
	s_and_saveexec_b64 s[4:5], vcc
	s_cbranch_execz .LBB618_53
; %bb.48:                               ;   in Loop: Header=BB618_17 Depth=1
	v_cmp_ne_u16_e32 vcc, s13, v20
	v_bfrev_b32_e32 v30, 1
	s_and_saveexec_b64 s[6:7], vcc
	s_cbranch_execz .LBB618_52
; %bb.49:                               ;   in Loop: Header=BB618_17 Depth=1
	v_and_b32_e32 v40, 0x7f, v20
	v_cmp_ne_u32_e32 vcc, s14, v40
	v_mov_b32_e32 v30, 0x7f800001
	s_and_saveexec_b64 s[10:11], vcc
	s_cbranch_execz .LBB618_51
; %bb.50:                               ;   in Loop: Header=BB618_17 Depth=1
	v_and_b32_e32 v30, 7, v20
	v_ffbh_u32_e32 v44, v30
	v_min_u32_e32 v44, 32, v44
	v_subrev_u32_e32 v52, 28, v44
	v_lshlrev_b64 v[52:53], v52, v[20:21]
	v_lshrrev_b32_e32 v42, 3, v40
	v_sub_u32_e32 v20, 29, v44
	v_and_b32_e32 v44, 7, v52
	v_cmp_gt_u32_e32 vcc, 8, v40
	v_cndmask_b32_e32 v20, v42, v20, vcc
	v_cndmask_b32_e32 v30, v30, v44, vcc
	v_lshlrev_b32_e32 v40, 16, v18
	v_lshlrev_b32_e32 v30, 20, v30
	v_and_b32_e32 v40, 0x80000000, v40
	v_lshl_add_u32 v20, v20, 23, v38
	v_or3_b32 v30, v40, v20, v30
.LBB618_51:                             ;   in Loop: Header=BB618_17 Depth=1
	s_or_b64 exec, exec, s[10:11]
.LBB618_52:                             ;   in Loop: Header=BB618_17 Depth=1
	s_or_b64 exec, exec, s[6:7]
.LBB618_53:                             ;   in Loop: Header=BB618_17 Depth=1
	s_or_b64 exec, exec, s[4:5]
	v_lshrrev_b32_e32 v20, 16, v18
	v_cmp_ne_u16_sdwa s[6:7], v20, v35 src0_sel:BYTE_0 src1_sel:DWORD
	v_mov_b32_e32 v42, 0
	v_mov_b32_e32 v40, 0
	s_and_saveexec_b64 s[4:5], s[6:7]
	s_cbranch_execz .LBB618_59
; %bb.54:                               ;   in Loop: Header=BB618_17 Depth=1
	v_cmp_ne_u16_sdwa s[10:11], v20, s13 src0_sel:BYTE_0 src1_sel:DWORD
	v_bfrev_b32_e32 v40, 1
	s_and_saveexec_b64 s[6:7], s[10:11]
	s_cbranch_execz .LBB618_58
; %bb.55:                               ;   in Loop: Header=BB618_17 Depth=1
	v_bfe_u32 v44, v18, 16, 7
	v_cmp_ne_u32_e32 vcc, s14, v44
	v_mov_b32_e32 v40, 0x7f800001
	s_and_saveexec_b64 s[10:11], vcc
	s_cbranch_execz .LBB618_57
; %bb.56:                               ;   in Loop: Header=BB618_17 Depth=1
	v_and_b32_e32 v40, 7, v20
	v_ffbh_u32_e32 v52, v40
	v_min_u32_e32 v55, 32, v52
	v_subrev_u32_e32 v52, 28, v55
	v_lshlrev_b64 v[52:53], v52, v[20:21]
	v_lshrrev_b32_e32 v54, 3, v44
	v_sub_u32_e32 v53, 29, v55
	v_and_b32_e32 v52, 7, v52
	v_cmp_gt_u32_e32 vcc, 8, v44
	v_cndmask_b32_e32 v44, v54, v53, vcc
	v_cndmask_b32_e32 v40, v40, v52, vcc
	v_lshlrev_b32_e32 v20, 24, v20
	v_lshlrev_b32_e32 v40, 20, v40
	v_and_b32_e32 v20, 0x80000000, v20
	v_lshl_add_u32 v44, v44, 23, v38
	v_or3_b32 v40, v20, v44, v40
.LBB618_57:                             ;   in Loop: Header=BB618_17 Depth=1
	s_or_b64 exec, exec, s[10:11]
.LBB618_58:                             ;   in Loop: Header=BB618_17 Depth=1
	s_or_b64 exec, exec, s[6:7]
.LBB618_59:                             ;   in Loop: Header=BB618_17 Depth=1
	s_or_b64 exec, exec, s[4:5]
	v_cmp_lt_u32_e32 vcc, s15, v18
	s_and_saveexec_b64 s[4:5], vcc
	s_cbranch_execz .LBB618_65
; %bb.60:                               ;   in Loop: Header=BB618_17 Depth=1
	v_lshrrev_b32_e32 v20, 24, v18
	v_cmp_ne_u32_e32 vcc, s13, v20
	v_bfrev_b32_e32 v42, 1
	s_and_saveexec_b64 s[6:7], vcc
	s_cbranch_execz .LBB618_64
; %bb.61:                               ;   in Loop: Header=BB618_17 Depth=1
	v_bfe_u32 v18, v18, 24, 7
	v_cmp_ne_u32_e32 vcc, s14, v18
	v_mov_b32_e32 v42, 0x7f800001
	s_and_saveexec_b64 s[10:11], vcc
	s_cbranch_execz .LBB618_63
; %bb.62:                               ;   in Loop: Header=BB618_17 Depth=1
	v_and_b32_e32 v42, 7, v20
	v_ffbh_u32_e32 v52, v42
	v_min_u32_e32 v54, 32, v52
	v_subrev_u32_e32 v52, 28, v54
	v_lshlrev_b64 v[52:53], v52, v[20:21]
	v_lshrrev_b32_e32 v44, 3, v18
	v_sub_u32_e32 v53, 29, v54
	v_and_b32_e32 v52, 7, v52
	v_cmp_gt_u32_e32 vcc, 8, v18
	v_cndmask_b32_e32 v18, v44, v53, vcc
	v_cndmask_b32_e32 v42, v42, v52, vcc
	v_lshlrev_b32_e32 v20, 24, v20
	v_lshlrev_b32_e32 v42, 20, v42
	v_and_b32_e32 v20, 0x80000000, v20
	v_lshl_add_u32 v18, v18, 23, v38
	v_or3_b32 v42, v20, v18, v42
.LBB618_63:                             ;   in Loop: Header=BB618_17 Depth=1
	s_or_b64 exec, exec, s[10:11]
.LBB618_64:                             ;   in Loop: Header=BB618_17 Depth=1
	s_or_b64 exec, exec, s[6:7]
.LBB618_65:                             ;   in Loop: Header=BB618_17 Depth=1
	s_or_b64 exec, exec, s[4:5]
	v_cvt_pkrtz_f16_f32 v18, v21, v19
	v_cvt_pkrtz_f16_f32 v19, v23, v32
	;; [unrolled: 1-line block ×4, first 2 shown]
	v_mov_b32_e32 v32, 0
	v_mfma_f32_16x16x16f16 v[18:21], v[18:19], v[2:3], 0
	s_waitcnt vmcnt(1)
	v_cmp_ne_u16_sdwa s[6:7], v28, v35 src0_sel:BYTE_0 src1_sel:DWORD
	v_mov_b32_e32 v34, 0
	v_mfma_f32_16x16x16f16 v[18:21], v[52:53], v[4:5], v[18:21]
	s_and_saveexec_b64 s[4:5], s[6:7]
	s_cbranch_execz .LBB618_71
; %bb.66:                               ;   in Loop: Header=BB618_17 Depth=1
	v_cmp_ne_u16_sdwa s[10:11], v28, s13 src0_sel:BYTE_0 src1_sel:DWORD
	v_bfrev_b32_e32 v34, 1
	s_and_saveexec_b64 s[6:7], s[10:11]
	s_cbranch_execz .LBB618_70
; %bb.67:                               ;   in Loop: Header=BB618_17 Depth=1
	v_and_b32_e32 v23, 0x7f, v28
	v_cmp_ne_u32_e32 vcc, s14, v23
	v_mov_b32_e32 v34, 0x7f800001
	s_and_saveexec_b64 s[10:11], vcc
	s_cbranch_execz .LBB618_69
; %bb.68:                               ;   in Loop: Header=BB618_17 Depth=1
	v_and_b32_e32 v30, 7, v28
	v_ffbh_u32_e32 v40, v30
	v_min_u32_e32 v40, 32, v40
	v_subrev_u32_e32 v42, 28, v40
	v_lshlrev_b64 v[52:53], v42, v[28:29]
	v_lshrrev_b32_e32 v34, 3, v23
	v_sub_u32_e32 v40, 29, v40
	v_and_b32_e32 v42, 7, v52
	v_cmp_gt_u32_e32 vcc, 8, v23
	v_cndmask_b32_e32 v23, v34, v40, vcc
	v_cndmask_b32_e32 v30, v30, v42, vcc
	v_lshlrev_b32_e32 v34, 24, v28
	v_lshlrev_b32_e32 v30, 20, v30
	v_and_b32_e32 v34, 0x80000000, v34
	v_lshl_add_u32 v23, v23, 23, v38
	v_or3_b32 v34, v34, v23, v30
.LBB618_69:                             ;   in Loop: Header=BB618_17 Depth=1
	s_or_b64 exec, exec, s[10:11]
.LBB618_70:                             ;   in Loop: Header=BB618_17 Depth=1
	s_or_b64 exec, exec, s[6:7]
.LBB618_71:                             ;   in Loop: Header=BB618_17 Depth=1
	s_or_b64 exec, exec, s[4:5]
	v_lshrrev_b16_e32 v30, 8, v28
	v_cmp_ne_u16_e32 vcc, 0, v30
	v_mov_b32_e32 v40, 0
	s_and_saveexec_b64 s[4:5], vcc
	s_cbranch_execz .LBB618_77
; %bb.72:                               ;   in Loop: Header=BB618_17 Depth=1
	v_cmp_ne_u16_e32 vcc, s13, v30
	v_bfrev_b32_e32 v40, 1
	s_and_saveexec_b64 s[6:7], vcc
	s_cbranch_execz .LBB618_76
; %bb.73:                               ;   in Loop: Header=BB618_17 Depth=1
	v_and_b32_e32 v23, 0x7f, v30
	v_cmp_ne_u32_e32 vcc, s14, v23
	v_mov_b32_e32 v40, 0x7f800001
	s_and_saveexec_b64 s[10:11], vcc
	s_cbranch_execz .LBB618_75
; %bb.74:                               ;   in Loop: Header=BB618_17 Depth=1
	v_and_b32_e32 v40, 7, v30
	v_ffbh_u32_e32 v44, v40
	v_min_u32_e32 v44, 32, v44
	v_subrev_u32_e32 v52, 28, v44
	v_lshlrev_b64 v[52:53], v52, v[30:31]
	v_lshrrev_b32_e32 v42, 3, v23
	v_sub_u32_e32 v30, 29, v44
	v_and_b32_e32 v44, 7, v52
	v_cmp_gt_u32_e32 vcc, 8, v23
	v_cndmask_b32_e32 v23, v42, v30, vcc
	v_cndmask_b32_e32 v30, v40, v44, vcc
	v_lshlrev_b32_e32 v40, 16, v28
	v_lshlrev_b32_e32 v30, 20, v30
	v_and_b32_e32 v40, 0x80000000, v40
	v_lshl_add_u32 v23, v23, 23, v38
	v_or3_b32 v40, v40, v23, v30
.LBB618_75:                             ;   in Loop: Header=BB618_17 Depth=1
	s_or_b64 exec, exec, s[10:11]
.LBB618_76:                             ;   in Loop: Header=BB618_17 Depth=1
	s_or_b64 exec, exec, s[6:7]
.LBB618_77:                             ;   in Loop: Header=BB618_17 Depth=1
	s_or_b64 exec, exec, s[4:5]
	v_lshrrev_b32_e32 v30, 16, v28
	v_cmp_ne_u16_sdwa s[6:7], v30, v35 src0_sel:BYTE_0 src1_sel:DWORD
	s_and_saveexec_b64 s[4:5], s[6:7]
	s_cbranch_execz .LBB618_83
; %bb.78:                               ;   in Loop: Header=BB618_17 Depth=1
	v_cmp_ne_u16_sdwa s[10:11], v30, s13 src0_sel:BYTE_0 src1_sel:DWORD
	v_bfrev_b32_e32 v32, 1
	s_and_saveexec_b64 s[6:7], s[10:11]
	s_cbranch_execz .LBB618_82
; %bb.79:                               ;   in Loop: Header=BB618_17 Depth=1
	v_bfe_u32 v23, v28, 16, 7
	v_cmp_ne_u32_e32 vcc, s14, v23
	v_mov_b32_e32 v32, 0x7f800001
	s_and_saveexec_b64 s[10:11], vcc
	s_cbranch_execz .LBB618_81
; %bb.80:                               ;   in Loop: Header=BB618_17 Depth=1
	v_and_b32_e32 v32, 7, v30
	v_ffbh_u32_e32 v44, v32
	v_min_u32_e32 v44, 32, v44
	v_subrev_u32_e32 v52, 28, v44
	v_lshlrev_b64 v[52:53], v52, v[30:31]
	v_lshrrev_b32_e32 v42, 3, v23
	v_sub_u32_e32 v44, 29, v44
	v_and_b32_e32 v52, 7, v52
	v_cmp_gt_u32_e32 vcc, 8, v23
	v_cndmask_b32_e32 v23, v42, v44, vcc
	v_cndmask_b32_e32 v32, v32, v52, vcc
	v_lshlrev_b32_e32 v30, 24, v30
	v_lshlrev_b32_e32 v32, 20, v32
	v_and_b32_e32 v30, 0x80000000, v30
	v_lshl_add_u32 v23, v23, 23, v38
	v_or3_b32 v32, v30, v23, v32
.LBB618_81:                             ;   in Loop: Header=BB618_17 Depth=1
	s_or_b64 exec, exec, s[10:11]
.LBB618_82:                             ;   in Loop: Header=BB618_17 Depth=1
	s_or_b64 exec, exec, s[6:7]
.LBB618_83:                             ;   in Loop: Header=BB618_17 Depth=1
	s_or_b64 exec, exec, s[4:5]
	v_cmp_lt_u32_e32 vcc, s15, v28
	v_mov_b32_e32 v42, 0
	v_mov_b32_e32 v44, 0
	s_and_saveexec_b64 s[4:5], vcc
	s_cbranch_execz .LBB618_89
; %bb.84:                               ;   in Loop: Header=BB618_17 Depth=1
	v_lshrrev_b32_e32 v30, 24, v28
	v_cmp_ne_u32_e32 vcc, s13, v30
	v_bfrev_b32_e32 v44, 1
	s_and_saveexec_b64 s[6:7], vcc
	s_cbranch_execz .LBB618_88
; %bb.85:                               ;   in Loop: Header=BB618_17 Depth=1
	v_bfe_u32 v23, v28, 24, 7
	v_cmp_ne_u32_e32 vcc, s14, v23
	v_mov_b32_e32 v44, 0x7f800001
	s_and_saveexec_b64 s[10:11], vcc
	s_cbranch_execz .LBB618_87
; %bb.86:                               ;   in Loop: Header=BB618_17 Depth=1
	v_and_b32_e32 v28, 7, v30
	v_ffbh_u32_e32 v52, v28
	v_min_u32_e32 v54, 32, v52
	v_subrev_u32_e32 v52, 28, v54
	v_lshlrev_b64 v[52:53], v52, v[30:31]
	v_lshrrev_b32_e32 v44, 3, v23
	v_sub_u32_e32 v53, 29, v54
	v_and_b32_e32 v52, 7, v52
	v_cmp_gt_u32_e32 vcc, 8, v23
	v_cndmask_b32_e32 v23, v44, v53, vcc
	v_cndmask_b32_e32 v28, v28, v52, vcc
	v_lshlrev_b32_e32 v30, 24, v30
	v_lshlrev_b32_e32 v28, 20, v28
	v_and_b32_e32 v30, 0x80000000, v30
	v_lshl_add_u32 v23, v23, 23, v38
	v_or3_b32 v44, v30, v23, v28
.LBB618_87:                             ;   in Loop: Header=BB618_17 Depth=1
	s_or_b64 exec, exec, s[10:11]
.LBB618_88:                             ;   in Loop: Header=BB618_17 Depth=1
	s_or_b64 exec, exec, s[6:7]
.LBB618_89:                             ;   in Loop: Header=BB618_17 Depth=1
	s_or_b64 exec, exec, s[4:5]
	s_waitcnt vmcnt(0)
	v_cmp_ne_u16_sdwa s[6:7], v26, v35 src0_sel:BYTE_0 src1_sel:DWORD
	s_and_saveexec_b64 s[4:5], s[6:7]
	s_cbranch_execz .LBB618_95
; %bb.90:                               ;   in Loop: Header=BB618_17 Depth=1
	v_cmp_ne_u16_sdwa s[10:11], v26, s13 src0_sel:BYTE_0 src1_sel:DWORD
	v_bfrev_b32_e32 v42, 1
	s_and_saveexec_b64 s[6:7], s[10:11]
	s_cbranch_execz .LBB618_94
; %bb.91:                               ;   in Loop: Header=BB618_17 Depth=1
	v_and_b32_e32 v23, 0x7f, v26
	v_cmp_ne_u32_e32 vcc, s14, v23
	v_mov_b32_e32 v42, 0x7f800001
	s_and_saveexec_b64 s[10:11], vcc
	s_cbranch_execz .LBB618_93
; %bb.92:                               ;   in Loop: Header=BB618_17 Depth=1
	v_and_b32_e32 v28, 7, v26
	v_ffbh_u32_e32 v42, v28
	v_min_u32_e32 v42, 32, v42
	v_subrev_u32_e32 v52, 28, v42
	v_lshlrev_b64 v[52:53], v52, v[26:27]
	v_lshrrev_b32_e32 v30, 3, v23
	v_sub_u32_e32 v42, 29, v42
	v_and_b32_e32 v52, 7, v52
	v_cmp_gt_u32_e32 vcc, 8, v23
	v_cndmask_b32_e32 v23, v30, v42, vcc
	v_cndmask_b32_e32 v28, v28, v52, vcc
	v_lshlrev_b32_e32 v30, 24, v26
	v_lshlrev_b32_e32 v28, 20, v28
	v_and_b32_e32 v30, 0x80000000, v30
	v_lshl_add_u32 v23, v23, 23, v38
	v_or3_b32 v42, v30, v23, v28
.LBB618_93:                             ;   in Loop: Header=BB618_17 Depth=1
	s_or_b64 exec, exec, s[10:11]
.LBB618_94:                             ;   in Loop: Header=BB618_17 Depth=1
	s_or_b64 exec, exec, s[6:7]
.LBB618_95:                             ;   in Loop: Header=BB618_17 Depth=1
	s_or_b64 exec, exec, s[4:5]
	v_lshrrev_b16_e32 v28, 8, v26
	v_cmp_ne_u16_e32 vcc, 0, v28
	v_mov_b32_e32 v52, 0
	v_mov_b32_e32 v53, 0
	s_and_saveexec_b64 s[4:5], vcc
	s_cbranch_execz .LBB618_101
; %bb.96:                               ;   in Loop: Header=BB618_17 Depth=1
	v_cmp_ne_u16_e32 vcc, s13, v28
	v_bfrev_b32_e32 v53, 1
	s_and_saveexec_b64 s[6:7], vcc
	s_cbranch_execz .LBB618_100
; %bb.97:                               ;   in Loop: Header=BB618_17 Depth=1
	v_and_b32_e32 v23, 0x7f, v28
	v_cmp_ne_u32_e32 vcc, s14, v23
	v_mov_b32_e32 v53, 0x7f800001
	s_and_saveexec_b64 s[10:11], vcc
	s_cbranch_execz .LBB618_99
; %bb.98:                               ;   in Loop: Header=BB618_17 Depth=1
	v_and_b32_e32 v30, 7, v28
	v_ffbh_u32_e32 v54, v30
	v_min_u32_e32 v56, 32, v54
	v_subrev_u32_e32 v54, 28, v56
	v_lshlrev_b64 v[54:55], v54, v[28:29]
	v_lshrrev_b32_e32 v53, 3, v23
	v_sub_u32_e32 v28, 29, v56
	v_and_b32_e32 v54, 7, v54
	v_cmp_gt_u32_e32 vcc, 8, v23
	v_cndmask_b32_e32 v23, v53, v28, vcc
	v_cndmask_b32_e32 v28, v30, v54, vcc
	v_lshlrev_b32_e32 v30, 16, v26
	v_lshlrev_b32_e32 v28, 20, v28
	v_and_b32_e32 v30, 0x80000000, v30
	v_lshl_add_u32 v23, v23, 23, v38
	v_or3_b32 v53, v30, v23, v28
.LBB618_99:                             ;   in Loop: Header=BB618_17 Depth=1
	s_or_b64 exec, exec, s[10:11]
.LBB618_100:                            ;   in Loop: Header=BB618_17 Depth=1
	s_or_b64 exec, exec, s[6:7]
.LBB618_101:                            ;   in Loop: Header=BB618_17 Depth=1
	s_or_b64 exec, exec, s[4:5]
	v_lshrrev_b32_e32 v28, 16, v26
	v_cmp_ne_u16_sdwa s[6:7], v28, v35 src0_sel:BYTE_0 src1_sel:DWORD
	s_and_saveexec_b64 s[4:5], s[6:7]
	s_cbranch_execz .LBB618_107
; %bb.102:                              ;   in Loop: Header=BB618_17 Depth=1
	v_cmp_ne_u16_sdwa s[10:11], v28, s13 src0_sel:BYTE_0 src1_sel:DWORD
	v_bfrev_b32_e32 v52, 1
	s_and_saveexec_b64 s[6:7], s[10:11]
	s_cbranch_execz .LBB618_106
; %bb.103:                              ;   in Loop: Header=BB618_17 Depth=1
	v_bfe_u32 v23, v26, 16, 7
	v_cmp_ne_u32_e32 vcc, s14, v23
	v_mov_b32_e32 v52, 0x7f800001
	s_and_saveexec_b64 s[10:11], vcc
	s_cbranch_execz .LBB618_105
; %bb.104:                              ;   in Loop: Header=BB618_17 Depth=1
	v_and_b32_e32 v30, 7, v28
	v_ffbh_u32_e32 v54, v30
	v_min_u32_e32 v56, 32, v54
	v_subrev_u32_e32 v54, 28, v56
	v_lshlrev_b64 v[54:55], v54, v[28:29]
	v_lshrrev_b32_e32 v52, 3, v23
	v_sub_u32_e32 v55, 29, v56
	v_and_b32_e32 v54, 7, v54
	v_cmp_gt_u32_e32 vcc, 8, v23
	v_cndmask_b32_e32 v23, v52, v55, vcc
	v_cndmask_b32_e32 v30, v30, v54, vcc
	v_lshlrev_b32_e32 v28, 24, v28
	v_lshlrev_b32_e32 v30, 20, v30
	v_and_b32_e32 v28, 0x80000000, v28
	v_lshl_add_u32 v23, v23, 23, v38
	v_or3_b32 v52, v28, v23, v30
.LBB618_105:                            ;   in Loop: Header=BB618_17 Depth=1
	s_or_b64 exec, exec, s[10:11]
.LBB618_106:                            ;   in Loop: Header=BB618_17 Depth=1
	s_or_b64 exec, exec, s[6:7]
.LBB618_107:                            ;   in Loop: Header=BB618_17 Depth=1
	s_or_b64 exec, exec, s[4:5]
	v_cmp_lt_u32_e32 vcc, s15, v26
	v_mov_b32_e32 v23, 0
	v_mov_b32_e32 v54, 0
	s_and_saveexec_b64 s[4:5], vcc
	s_cbranch_execz .LBB618_113
; %bb.108:                              ;   in Loop: Header=BB618_17 Depth=1
	v_lshrrev_b32_e32 v28, 24, v26
	v_cmp_ne_u32_e32 vcc, s13, v28
	v_bfrev_b32_e32 v54, 1
	s_and_saveexec_b64 s[6:7], vcc
	s_cbranch_execz .LBB618_112
; %bb.109:                              ;   in Loop: Header=BB618_17 Depth=1
	v_bfe_u32 v26, v26, 24, 7
	v_cmp_ne_u32_e32 vcc, s14, v26
	v_mov_b32_e32 v54, 0x7f800001
	s_and_saveexec_b64 s[10:11], vcc
	s_cbranch_execz .LBB618_111
; %bb.110:                              ;   in Loop: Header=BB618_17 Depth=1
	v_and_b32_e32 v30, 7, v28
	v_ffbh_u32_e32 v54, v30
	v_min_u32_e32 v57, 32, v54
	v_subrev_u32_e32 v54, 28, v57
	v_lshlrev_b64 v[54:55], v54, v[28:29]
	v_lshrrev_b32_e32 v56, 3, v26
	v_sub_u32_e32 v55, 29, v57
	v_and_b32_e32 v54, 7, v54
	v_cmp_gt_u32_e32 vcc, 8, v26
	v_cndmask_b32_e32 v26, v56, v55, vcc
	v_cndmask_b32_e32 v30, v30, v54, vcc
	v_lshlrev_b32_e32 v28, 24, v28
	v_lshlrev_b32_e32 v30, 20, v30
	v_and_b32_e32 v28, 0x80000000, v28
	v_lshl_add_u32 v26, v26, 23, v38
	v_or3_b32 v54, v28, v26, v30
.LBB618_111:                            ;   in Loop: Header=BB618_17 Depth=1
	s_or_b64 exec, exec, s[10:11]
.LBB618_112:                            ;   in Loop: Header=BB618_17 Depth=1
	s_or_b64 exec, exec, s[6:7]
.LBB618_113:                            ;   in Loop: Header=BB618_17 Depth=1
	s_or_b64 exec, exec, s[4:5]
	v_cvt_pkrtz_f16_f32 v57, v32, v44
	buffer_load_dword v32, v36, s[0:3], 0 offen offset:16
	buffer_load_dword v30, v36, s[0:3], 0 offen offset:20
	;; [unrolled: 1-line block ×4, first 2 shown]
	v_cvt_pkrtz_f16_f32 v56, v34, v40
	s_waitcnt vmcnt(3)
	v_cmp_ne_u16_sdwa s[6:7], v32, v35 src0_sel:BYTE_0 src1_sel:DWORD
	v_mfma_f32_16x16x16f16 v[18:21], v[56:57], v[6:7], v[18:21]
	v_cvt_pkrtz_f16_f32 v56, v42, v53
	v_cvt_pkrtz_f16_f32 v57, v52, v54
	s_nop 1
	v_mfma_f32_16x16x16f16 v[18:21], v[56:57], v[8:9], v[18:21]
	s_and_saveexec_b64 s[4:5], s[6:7]
	s_cbranch_execz .LBB618_119
; %bb.114:                              ;   in Loop: Header=BB618_17 Depth=1
	v_cmp_ne_u16_sdwa s[10:11], v32, s13 src0_sel:BYTE_0 src1_sel:DWORD
	v_bfrev_b32_e32 v23, 1
	s_and_saveexec_b64 s[6:7], s[10:11]
	s_cbranch_execz .LBB618_118
; %bb.115:                              ;   in Loop: Header=BB618_17 Depth=1
	v_and_b32_e32 v34, 0x7f, v32
	v_cmp_ne_u32_e32 vcc, s14, v34
	v_mov_b32_e32 v23, 0x7f800001
	s_and_saveexec_b64 s[10:11], vcc
	s_cbranch_execz .LBB618_117
; %bb.116:                              ;   in Loop: Header=BB618_17 Depth=1
	v_and_b32_e32 v23, 7, v32
	v_ffbh_u32_e32 v42, v23
	v_min_u32_e32 v42, 32, v42
	v_subrev_u32_e32 v44, 28, v42
	v_lshlrev_b64 v[52:53], v44, v[32:33]
	v_lshrrev_b32_e32 v40, 3, v34
	v_sub_u32_e32 v42, 29, v42
	v_and_b32_e32 v44, 7, v52
	v_cmp_gt_u32_e32 vcc, 8, v34
	v_cndmask_b32_e32 v34, v40, v42, vcc
	v_cndmask_b32_e32 v23, v23, v44, vcc
	v_lshlrev_b32_e32 v40, 24, v32
	v_lshlrev_b32_e32 v23, 20, v23
	v_and_b32_e32 v40, 0x80000000, v40
	v_lshl_add_u32 v34, v34, 23, v38
	v_or3_b32 v23, v40, v34, v23
.LBB618_117:                            ;   in Loop: Header=BB618_17 Depth=1
	s_or_b64 exec, exec, s[10:11]
.LBB618_118:                            ;   in Loop: Header=BB618_17 Depth=1
	s_or_b64 exec, exec, s[6:7]
.LBB618_119:                            ;   in Loop: Header=BB618_17 Depth=1
	s_or_b64 exec, exec, s[4:5]
	v_lshrrev_b16_e32 v34, 8, v32
	v_cmp_ne_u16_e32 vcc, 0, v34
	v_mov_b32_e32 v40, 0
	v_mov_b32_e32 v42, 0
	s_and_saveexec_b64 s[4:5], vcc
	s_cbranch_execz .LBB618_125
; %bb.120:                              ;   in Loop: Header=BB618_17 Depth=1
	v_cmp_ne_u16_e32 vcc, s13, v34
	v_bfrev_b32_e32 v42, 1
	s_and_saveexec_b64 s[6:7], vcc
	s_cbranch_execz .LBB618_124
; %bb.121:                              ;   in Loop: Header=BB618_17 Depth=1
	v_and_b32_e32 v44, 0x7f, v34
	v_cmp_ne_u32_e32 vcc, s14, v44
	v_mov_b32_e32 v42, 0x7f800001
	s_and_saveexec_b64 s[10:11], vcc
	s_cbranch_execz .LBB618_123
; %bb.122:                              ;   in Loop: Header=BB618_17 Depth=1
	v_and_b32_e32 v42, 7, v34
	v_ffbh_u32_e32 v52, v42
	v_min_u32_e32 v55, 32, v52
	v_subrev_u32_e32 v52, 28, v55
	v_lshlrev_b64 v[52:53], v52, v[34:35]
	v_lshrrev_b32_e32 v54, 3, v44
	v_sub_u32_e32 v34, 29, v55
	v_and_b32_e32 v52, 7, v52
	v_cmp_gt_u32_e32 vcc, 8, v44
	v_cndmask_b32_e32 v34, v54, v34, vcc
	v_cndmask_b32_e32 v42, v42, v52, vcc
	v_lshlrev_b32_e32 v44, 16, v32
	v_lshlrev_b32_e32 v42, 20, v42
	v_and_b32_e32 v44, 0x80000000, v44
	v_lshl_add_u32 v34, v34, 23, v38
	v_or3_b32 v42, v44, v34, v42
.LBB618_123:                            ;   in Loop: Header=BB618_17 Depth=1
	s_or_b64 exec, exec, s[10:11]
.LBB618_124:                            ;   in Loop: Header=BB618_17 Depth=1
	s_or_b64 exec, exec, s[6:7]
.LBB618_125:                            ;   in Loop: Header=BB618_17 Depth=1
	s_or_b64 exec, exec, s[4:5]
	v_lshrrev_b32_e32 v34, 16, v32
	v_cmp_ne_u16_sdwa s[6:7], v34, v35 src0_sel:BYTE_0 src1_sel:DWORD
	s_and_saveexec_b64 s[4:5], s[6:7]
	s_cbranch_execz .LBB618_131
; %bb.126:                              ;   in Loop: Header=BB618_17 Depth=1
	v_cmp_ne_u16_sdwa s[10:11], v34, s13 src0_sel:BYTE_0 src1_sel:DWORD
	v_bfrev_b32_e32 v40, 1
	s_and_saveexec_b64 s[6:7], s[10:11]
	s_cbranch_execz .LBB618_130
; %bb.127:                              ;   in Loop: Header=BB618_17 Depth=1
	v_bfe_u32 v44, v32, 16, 7
	v_cmp_ne_u32_e32 vcc, s14, v44
	v_mov_b32_e32 v40, 0x7f800001
	s_and_saveexec_b64 s[10:11], vcc
	s_cbranch_execz .LBB618_129
; %bb.128:                              ;   in Loop: Header=BB618_17 Depth=1
	v_and_b32_e32 v40, 7, v34
	v_ffbh_u32_e32 v52, v40
	v_min_u32_e32 v55, 32, v52
	v_subrev_u32_e32 v52, 28, v55
	v_lshlrev_b64 v[52:53], v52, v[34:35]
	v_lshrrev_b32_e32 v54, 3, v44
	v_sub_u32_e32 v53, 29, v55
	v_and_b32_e32 v52, 7, v52
	v_cmp_gt_u32_e32 vcc, 8, v44
	v_cndmask_b32_e32 v44, v54, v53, vcc
	v_cndmask_b32_e32 v40, v40, v52, vcc
	v_lshlrev_b32_e32 v34, 24, v34
	v_lshlrev_b32_e32 v40, 20, v40
	v_and_b32_e32 v34, 0x80000000, v34
	v_lshl_add_u32 v44, v44, 23, v38
	v_or3_b32 v40, v34, v44, v40
.LBB618_129:                            ;   in Loop: Header=BB618_17 Depth=1
	s_or_b64 exec, exec, s[10:11]
.LBB618_130:                            ;   in Loop: Header=BB618_17 Depth=1
	s_or_b64 exec, exec, s[6:7]
.LBB618_131:                            ;   in Loop: Header=BB618_17 Depth=1
	s_or_b64 exec, exec, s[4:5]
	v_cmp_lt_u32_e32 vcc, s15, v32
	v_mov_b32_e32 v44, 0
	v_mov_b32_e32 v52, 0
	s_and_saveexec_b64 s[4:5], vcc
	s_cbranch_execz .LBB618_137
; %bb.132:                              ;   in Loop: Header=BB618_17 Depth=1
	v_lshrrev_b32_e32 v34, 24, v32
	v_cmp_ne_u32_e32 vcc, s13, v34
	v_bfrev_b32_e32 v52, 1
	s_and_saveexec_b64 s[6:7], vcc
	s_cbranch_execz .LBB618_136
; %bb.133:                              ;   in Loop: Header=BB618_17 Depth=1
	v_bfe_u32 v32, v32, 24, 7
	v_cmp_ne_u32_e32 vcc, s14, v32
	v_mov_b32_e32 v52, 0x7f800001
	s_and_saveexec_b64 s[10:11], vcc
	s_cbranch_execz .LBB618_135
; %bb.134:                              ;   in Loop: Header=BB618_17 Depth=1
	v_and_b32_e32 v54, 7, v34
	v_ffbh_u32_e32 v52, v54
	v_min_u32_e32 v56, 32, v52
	v_subrev_u32_e32 v52, 28, v56
	v_lshlrev_b64 v[52:53], v52, v[34:35]
	v_lshrrev_b32_e32 v55, 3, v32
	v_sub_u32_e32 v53, 29, v56
	v_and_b32_e32 v52, 7, v52
	v_cmp_gt_u32_e32 vcc, 8, v32
	v_cndmask_b32_e32 v32, v55, v53, vcc
	v_cndmask_b32_e32 v52, v54, v52, vcc
	v_lshlrev_b32_e32 v34, 24, v34
	v_lshlrev_b32_e32 v52, 20, v52
	v_and_b32_e32 v34, 0x80000000, v34
	v_lshl_add_u32 v32, v32, 23, v38
	v_or3_b32 v52, v34, v32, v52
.LBB618_135:                            ;   in Loop: Header=BB618_17 Depth=1
	s_or_b64 exec, exec, s[10:11]
.LBB618_136:                            ;   in Loop: Header=BB618_17 Depth=1
	s_or_b64 exec, exec, s[6:7]
.LBB618_137:                            ;   in Loop: Header=BB618_17 Depth=1
	s_or_b64 exec, exec, s[4:5]
	s_waitcnt vmcnt(2)
	v_cmp_ne_u16_sdwa s[6:7], v30, v35 src0_sel:BYTE_0 src1_sel:DWORD
	s_and_saveexec_b64 s[4:5], s[6:7]
	s_cbranch_execz .LBB618_143
; %bb.138:                              ;   in Loop: Header=BB618_17 Depth=1
	v_cmp_ne_u16_sdwa s[10:11], v30, s13 src0_sel:BYTE_0 src1_sel:DWORD
	v_bfrev_b32_e32 v44, 1
	s_and_saveexec_b64 s[6:7], s[10:11]
	s_cbranch_execz .LBB618_142
; %bb.139:                              ;   in Loop: Header=BB618_17 Depth=1
	v_and_b32_e32 v32, 0x7f, v30
	v_cmp_ne_u32_e32 vcc, s14, v32
	v_mov_b32_e32 v44, 0x7f800001
	s_and_saveexec_b64 s[10:11], vcc
	s_cbranch_execz .LBB618_141
; %bb.140:                              ;   in Loop: Header=BB618_17 Depth=1
	v_and_b32_e32 v34, 7, v30
	v_ffbh_u32_e32 v53, v34
	v_min_u32_e32 v53, 32, v53
	v_subrev_u32_e32 v54, 28, v53
	v_lshlrev_b64 v[54:55], v54, v[30:31]
	v_lshrrev_b32_e32 v44, 3, v32
	v_sub_u32_e32 v53, 29, v53
	v_and_b32_e32 v54, 7, v54
	v_cmp_gt_u32_e32 vcc, 8, v32
	v_cndmask_b32_e32 v32, v44, v53, vcc
	v_cndmask_b32_e32 v34, v34, v54, vcc
	v_lshlrev_b32_e32 v44, 24, v30
	v_lshlrev_b32_e32 v34, 20, v34
	v_and_b32_e32 v44, 0x80000000, v44
	v_lshl_add_u32 v32, v32, 23, v38
	v_or3_b32 v44, v44, v32, v34
.LBB618_141:                            ;   in Loop: Header=BB618_17 Depth=1
	s_or_b64 exec, exec, s[10:11]
.LBB618_142:                            ;   in Loop: Header=BB618_17 Depth=1
	s_or_b64 exec, exec, s[6:7]
.LBB618_143:                            ;   in Loop: Header=BB618_17 Depth=1
	s_or_b64 exec, exec, s[4:5]
	v_lshrrev_b16_e32 v32, 8, v30
	v_cmp_ne_u16_e32 vcc, 0, v32
	v_mov_b32_e32 v53, 0
	v_mov_b32_e32 v54, 0
	s_and_saveexec_b64 s[4:5], vcc
	s_cbranch_execz .LBB618_149
; %bb.144:                              ;   in Loop: Header=BB618_17 Depth=1
	v_cmp_ne_u16_e32 vcc, s13, v32
	v_bfrev_b32_e32 v54, 1
	s_and_saveexec_b64 s[6:7], vcc
	s_cbranch_execz .LBB618_148
; %bb.145:                              ;   in Loop: Header=BB618_17 Depth=1
	v_and_b32_e32 v34, 0x7f, v32
	v_cmp_ne_u32_e32 vcc, s14, v34
	v_mov_b32_e32 v54, 0x7f800001
	s_and_saveexec_b64 s[10:11], vcc
	s_cbranch_execz .LBB618_147
; %bb.146:                              ;   in Loop: Header=BB618_17 Depth=1
	v_and_b32_e32 v56, 7, v32
	v_ffbh_u32_e32 v54, v56
	v_min_u32_e32 v58, 32, v54
	v_subrev_u32_e32 v54, 28, v58
	v_lshlrev_b64 v[54:55], v54, v[32:33]
	v_lshrrev_b32_e32 v57, 3, v34
	v_sub_u32_e32 v32, 29, v58
	v_and_b32_e32 v54, 7, v54
	v_cmp_gt_u32_e32 vcc, 8, v34
	v_cndmask_b32_e32 v32, v57, v32, vcc
	v_cndmask_b32_e32 v34, v56, v54, vcc
	v_lshlrev_b32_e32 v54, 16, v30
	v_lshlrev_b32_e32 v34, 20, v34
	v_and_b32_e32 v54, 0x80000000, v54
	v_lshl_add_u32 v32, v32, 23, v38
	v_or3_b32 v54, v54, v32, v34
.LBB618_147:                            ;   in Loop: Header=BB618_17 Depth=1
	s_or_b64 exec, exec, s[10:11]
.LBB618_148:                            ;   in Loop: Header=BB618_17 Depth=1
	s_or_b64 exec, exec, s[6:7]
.LBB618_149:                            ;   in Loop: Header=BB618_17 Depth=1
	s_or_b64 exec, exec, s[4:5]
	v_lshrrev_b32_e32 v32, 16, v30
	v_cmp_ne_u16_sdwa s[6:7], v32, v35 src0_sel:BYTE_0 src1_sel:DWORD
	s_and_saveexec_b64 s[4:5], s[6:7]
	s_cbranch_execz .LBB618_155
; %bb.150:                              ;   in Loop: Header=BB618_17 Depth=1
	v_cmp_ne_u16_sdwa s[10:11], v32, s13 src0_sel:BYTE_0 src1_sel:DWORD
	v_bfrev_b32_e32 v53, 1
	s_and_saveexec_b64 s[6:7], s[10:11]
	s_cbranch_execz .LBB618_154
; %bb.151:                              ;   in Loop: Header=BB618_17 Depth=1
	v_bfe_u32 v34, v30, 16, 7
	v_cmp_ne_u32_e32 vcc, s14, v34
	v_mov_b32_e32 v53, 0x7f800001
	s_and_saveexec_b64 s[10:11], vcc
	s_cbranch_execz .LBB618_153
; %bb.152:                              ;   in Loop: Header=BB618_17 Depth=1
	v_and_b32_e32 v53, 7, v32
	v_ffbh_u32_e32 v56, v53
	v_min_u32_e32 v58, 32, v56
	v_subrev_u32_e32 v56, 28, v58
	v_lshlrev_b64 v[56:57], v56, v[32:33]
	v_lshrrev_b32_e32 v55, 3, v34
	v_sub_u32_e32 v57, 29, v58
	v_and_b32_e32 v56, 7, v56
	v_cmp_gt_u32_e32 vcc, 8, v34
	v_cndmask_b32_e32 v34, v55, v57, vcc
	v_cndmask_b32_e32 v53, v53, v56, vcc
	v_lshlrev_b32_e32 v32, 24, v32
	v_lshlrev_b32_e32 v53, 20, v53
	v_and_b32_e32 v32, 0x80000000, v32
	v_lshl_add_u32 v34, v34, 23, v38
	v_or3_b32 v53, v32, v34, v53
.LBB618_153:                            ;   in Loop: Header=BB618_17 Depth=1
	s_or_b64 exec, exec, s[10:11]
.LBB618_154:                            ;   in Loop: Header=BB618_17 Depth=1
	s_or_b64 exec, exec, s[6:7]
.LBB618_155:                            ;   in Loop: Header=BB618_17 Depth=1
	s_or_b64 exec, exec, s[4:5]
	v_cmp_lt_u32_e32 vcc, s15, v30
	v_mov_b32_e32 v34, 0
	v_mov_b32_e32 v55, 0
	s_and_saveexec_b64 s[4:5], vcc
	s_cbranch_execz .LBB618_161
; %bb.156:                              ;   in Loop: Header=BB618_17 Depth=1
	v_lshrrev_b32_e32 v32, 24, v30
	v_cmp_ne_u32_e32 vcc, s13, v32
	v_bfrev_b32_e32 v55, 1
	s_and_saveexec_b64 s[6:7], vcc
	s_cbranch_execz .LBB618_160
; %bb.157:                              ;   in Loop: Header=BB618_17 Depth=1
	v_bfe_u32 v30, v30, 24, 7
	v_cmp_ne_u32_e32 vcc, s14, v30
	v_mov_b32_e32 v55, 0x7f800001
	s_and_saveexec_b64 s[10:11], vcc
	s_cbranch_execz .LBB618_159
; %bb.158:                              ;   in Loop: Header=BB618_17 Depth=1
	v_and_b32_e32 v55, 7, v32
	v_ffbh_u32_e32 v56, v55
	v_min_u32_e32 v59, 32, v56
	v_subrev_u32_e32 v56, 28, v59
	v_lshlrev_b64 v[56:57], v56, v[32:33]
	v_lshrrev_b32_e32 v58, 3, v30
	v_sub_u32_e32 v57, 29, v59
	v_and_b32_e32 v56, 7, v56
	v_cmp_gt_u32_e32 vcc, 8, v30
	v_cndmask_b32_e32 v30, v58, v57, vcc
	v_cndmask_b32_e32 v55, v55, v56, vcc
	v_lshlrev_b32_e32 v32, 24, v32
	v_lshlrev_b32_e32 v55, 20, v55
	v_and_b32_e32 v32, 0x80000000, v32
	v_lshl_add_u32 v30, v30, 23, v38
	v_or3_b32 v55, v32, v30, v55
.LBB618_159:                            ;   in Loop: Header=BB618_17 Depth=1
	s_or_b64 exec, exec, s[10:11]
.LBB618_160:                            ;   in Loop: Header=BB618_17 Depth=1
	s_or_b64 exec, exec, s[6:7]
.LBB618_161:                            ;   in Loop: Header=BB618_17 Depth=1
	s_or_b64 exec, exec, s[4:5]
	v_cvt_pkrtz_f16_f32 v56, v23, v42
	v_cvt_pkrtz_f16_f32 v57, v40, v52
	;; [unrolled: 1-line block ×4, first 2 shown]
	s_waitcnt vmcnt(1)
	v_cmp_ne_u16_sdwa s[6:7], v28, v35 src0_sel:BYTE_0 src1_sel:DWORD
	v_mfma_f32_16x16x16f16 v[18:21], v[56:57], v[10:11], v[18:21]
	v_mfma_f32_16x16x16f16 v[18:21], v[52:53], v[12:13], v[18:21]
	s_and_saveexec_b64 s[4:5], s[6:7]
	s_cbranch_execz .LBB618_167
; %bb.162:                              ;   in Loop: Header=BB618_17 Depth=1
	v_cmp_ne_u16_sdwa s[10:11], v28, s13 src0_sel:BYTE_0 src1_sel:DWORD
	v_bfrev_b32_e32 v34, 1
	s_and_saveexec_b64 s[6:7], s[10:11]
	s_cbranch_execz .LBB618_166
; %bb.163:                              ;   in Loop: Header=BB618_17 Depth=1
	v_and_b32_e32 v23, 0x7f, v28
	v_cmp_ne_u32_e32 vcc, s14, v23
	v_mov_b32_e32 v34, 0x7f800001
	s_and_saveexec_b64 s[10:11], vcc
	s_cbranch_execz .LBB618_165
; %bb.164:                              ;   in Loop: Header=BB618_17 Depth=1
	v_and_b32_e32 v30, 7, v28
	v_ffbh_u32_e32 v34, v30
	v_min_u32_e32 v34, 32, v34
	v_subrev_u32_e32 v40, 28, v34
	v_lshlrev_b64 v[52:53], v40, v[28:29]
	v_lshrrev_b32_e32 v32, 3, v23
	v_sub_u32_e32 v34, 29, v34
	v_and_b32_e32 v40, 7, v52
	v_cmp_gt_u32_e32 vcc, 8, v23
	v_cndmask_b32_e32 v23, v32, v34, vcc
	v_cndmask_b32_e32 v30, v30, v40, vcc
	v_lshlrev_b32_e32 v32, 24, v28
	v_lshlrev_b32_e32 v30, 20, v30
	v_and_b32_e32 v32, 0x80000000, v32
	v_lshl_add_u32 v23, v23, 23, v38
	v_or3_b32 v34, v32, v23, v30
.LBB618_165:                            ;   in Loop: Header=BB618_17 Depth=1
	s_or_b64 exec, exec, s[10:11]
.LBB618_166:                            ;   in Loop: Header=BB618_17 Depth=1
	s_or_b64 exec, exec, s[6:7]
.LBB618_167:                            ;   in Loop: Header=BB618_17 Depth=1
	s_or_b64 exec, exec, s[4:5]
	v_lshrrev_b16_e32 v30, 8, v28
	v_cmp_ne_u16_e32 vcc, 0, v30
	v_mov_b32_e32 v23, 0
	v_mov_b32_e32 v32, 0
	s_and_saveexec_b64 s[4:5], vcc
	s_cbranch_execz .LBB618_173
; %bb.168:                              ;   in Loop: Header=BB618_17 Depth=1
	v_cmp_ne_u16_e32 vcc, s13, v30
	v_bfrev_b32_e32 v32, 1
	s_and_saveexec_b64 s[6:7], vcc
	s_cbranch_execz .LBB618_172
; %bb.169:                              ;   in Loop: Header=BB618_17 Depth=1
	v_and_b32_e32 v40, 0x7f, v30
	v_cmp_ne_u32_e32 vcc, s14, v40
	v_mov_b32_e32 v32, 0x7f800001
	s_and_saveexec_b64 s[10:11], vcc
	s_cbranch_execz .LBB618_171
; %bb.170:                              ;   in Loop: Header=BB618_17 Depth=1
	v_and_b32_e32 v32, 7, v30
	v_ffbh_u32_e32 v44, v32
	v_min_u32_e32 v44, 32, v44
	v_subrev_u32_e32 v52, 28, v44
	v_lshlrev_b64 v[52:53], v52, v[30:31]
	v_lshrrev_b32_e32 v42, 3, v40
	v_sub_u32_e32 v30, 29, v44
	v_and_b32_e32 v44, 7, v52
	v_cmp_gt_u32_e32 vcc, 8, v40
	v_cndmask_b32_e32 v30, v42, v30, vcc
	v_cndmask_b32_e32 v32, v32, v44, vcc
	v_lshlrev_b32_e32 v40, 16, v28
	v_lshlrev_b32_e32 v32, 20, v32
	v_and_b32_e32 v40, 0x80000000, v40
	v_lshl_add_u32 v30, v30, 23, v38
	v_or3_b32 v32, v40, v30, v32
.LBB618_171:                            ;   in Loop: Header=BB618_17 Depth=1
	s_or_b64 exec, exec, s[10:11]
.LBB618_172:                            ;   in Loop: Header=BB618_17 Depth=1
	s_or_b64 exec, exec, s[6:7]
.LBB618_173:                            ;   in Loop: Header=BB618_17 Depth=1
	s_or_b64 exec, exec, s[4:5]
	v_lshrrev_b32_e32 v30, 16, v28
	v_cmp_ne_u16_sdwa s[6:7], v30, v35 src0_sel:BYTE_0 src1_sel:DWORD
	s_and_saveexec_b64 s[4:5], s[6:7]
	s_cbranch_execz .LBB618_179
; %bb.174:                              ;   in Loop: Header=BB618_17 Depth=1
	v_cmp_ne_u16_sdwa s[10:11], v30, s13 src0_sel:BYTE_0 src1_sel:DWORD
	v_bfrev_b32_e32 v23, 1
	s_and_saveexec_b64 s[6:7], s[10:11]
	s_cbranch_execz .LBB618_178
; %bb.175:                              ;   in Loop: Header=BB618_17 Depth=1
	v_bfe_u32 v40, v28, 16, 7
	v_cmp_ne_u32_e32 vcc, s14, v40
	v_mov_b32_e32 v23, 0x7f800001
	s_and_saveexec_b64 s[10:11], vcc
	s_cbranch_execz .LBB618_177
; %bb.176:                              ;   in Loop: Header=BB618_17 Depth=1
	v_and_b32_e32 v23, 7, v30
	v_ffbh_u32_e32 v44, v23
	v_min_u32_e32 v44, 32, v44
	v_subrev_u32_e32 v52, 28, v44
	v_lshlrev_b64 v[52:53], v52, v[30:31]
	v_lshrrev_b32_e32 v42, 3, v40
	v_sub_u32_e32 v44, 29, v44
	v_and_b32_e32 v52, 7, v52
	v_cmp_gt_u32_e32 vcc, 8, v40
	v_cndmask_b32_e32 v40, v42, v44, vcc
	v_cndmask_b32_e32 v23, v23, v52, vcc
	v_lshlrev_b32_e32 v30, 24, v30
	v_lshlrev_b32_e32 v23, 20, v23
	v_and_b32_e32 v30, 0x80000000, v30
	v_lshl_add_u32 v40, v40, 23, v38
	v_or3_b32 v23, v30, v40, v23
.LBB618_177:                            ;   in Loop: Header=BB618_17 Depth=1
	s_or_b64 exec, exec, s[10:11]
.LBB618_178:                            ;   in Loop: Header=BB618_17 Depth=1
	s_or_b64 exec, exec, s[6:7]
.LBB618_179:                            ;   in Loop: Header=BB618_17 Depth=1
	s_or_b64 exec, exec, s[4:5]
	v_cmp_lt_u32_e32 vcc, s15, v28
	v_mov_b32_e32 v40, 0
	v_mov_b32_e32 v42, 0
	s_and_saveexec_b64 s[4:5], vcc
	s_cbranch_execz .LBB618_185
; %bb.180:                              ;   in Loop: Header=BB618_17 Depth=1
	v_lshrrev_b32_e32 v30, 24, v28
	v_cmp_ne_u32_e32 vcc, s13, v30
	v_bfrev_b32_e32 v42, 1
	s_and_saveexec_b64 s[6:7], vcc
	s_cbranch_execz .LBB618_184
; %bb.181:                              ;   in Loop: Header=BB618_17 Depth=1
	v_bfe_u32 v28, v28, 24, 7
	v_cmp_ne_u32_e32 vcc, s14, v28
	v_mov_b32_e32 v42, 0x7f800001
	s_and_saveexec_b64 s[10:11], vcc
	s_cbranch_execz .LBB618_183
; %bb.182:                              ;   in Loop: Header=BB618_17 Depth=1
	v_and_b32_e32 v42, 7, v30
	v_ffbh_u32_e32 v52, v42
	v_min_u32_e32 v54, 32, v52
	v_subrev_u32_e32 v52, 28, v54
	v_lshlrev_b64 v[52:53], v52, v[30:31]
	v_lshrrev_b32_e32 v44, 3, v28
	v_sub_u32_e32 v53, 29, v54
	v_and_b32_e32 v52, 7, v52
	v_cmp_gt_u32_e32 vcc, 8, v28
	v_cndmask_b32_e32 v28, v44, v53, vcc
	v_cndmask_b32_e32 v42, v42, v52, vcc
	v_lshlrev_b32_e32 v30, 24, v30
	v_lshlrev_b32_e32 v42, 20, v42
	v_and_b32_e32 v30, 0x80000000, v30
	v_lshl_add_u32 v28, v28, 23, v38
	v_or3_b32 v42, v30, v28, v42
.LBB618_183:                            ;   in Loop: Header=BB618_17 Depth=1
	s_or_b64 exec, exec, s[10:11]
.LBB618_184:                            ;   in Loop: Header=BB618_17 Depth=1
	s_or_b64 exec, exec, s[6:7]
.LBB618_185:                            ;   in Loop: Header=BB618_17 Depth=1
	s_or_b64 exec, exec, s[4:5]
	s_waitcnt vmcnt(0)
	v_cmp_ne_u16_sdwa s[6:7], v26, v35 src0_sel:BYTE_0 src1_sel:DWORD
	s_and_saveexec_b64 s[4:5], s[6:7]
	s_cbranch_execz .LBB618_191
; %bb.186:                              ;   in Loop: Header=BB618_17 Depth=1
	v_cmp_ne_u16_sdwa s[10:11], v26, s13 src0_sel:BYTE_0 src1_sel:DWORD
	v_bfrev_b32_e32 v40, 1
	s_and_saveexec_b64 s[6:7], s[10:11]
	s_cbranch_execz .LBB618_190
; %bb.187:                              ;   in Loop: Header=BB618_17 Depth=1
	v_and_b32_e32 v28, 0x7f, v26
	v_cmp_ne_u32_e32 vcc, s14, v28
	v_mov_b32_e32 v40, 0x7f800001
	s_and_saveexec_b64 s[10:11], vcc
	s_cbranch_execz .LBB618_189
; %bb.188:                              ;   in Loop: Header=BB618_17 Depth=1
	v_and_b32_e32 v30, 7, v26
	v_ffbh_u32_e32 v44, v30
	v_min_u32_e32 v44, 32, v44
	v_subrev_u32_e32 v52, 28, v44
	v_lshlrev_b64 v[52:53], v52, v[26:27]
	v_lshrrev_b32_e32 v40, 3, v28
	v_sub_u32_e32 v44, 29, v44
	v_and_b32_e32 v52, 7, v52
	v_cmp_gt_u32_e32 vcc, 8, v28
	v_cndmask_b32_e32 v28, v40, v44, vcc
	v_cndmask_b32_e32 v30, v30, v52, vcc
	v_lshlrev_b32_e32 v40, 24, v26
	v_lshlrev_b32_e32 v30, 20, v30
	v_and_b32_e32 v40, 0x80000000, v40
	v_lshl_add_u32 v28, v28, 23, v38
	v_or3_b32 v40, v40, v28, v30
.LBB618_189:                            ;   in Loop: Header=BB618_17 Depth=1
	s_or_b64 exec, exec, s[10:11]
.LBB618_190:                            ;   in Loop: Header=BB618_17 Depth=1
	s_or_b64 exec, exec, s[6:7]
.LBB618_191:                            ;   in Loop: Header=BB618_17 Depth=1
	s_or_b64 exec, exec, s[4:5]
	v_lshrrev_b16_e32 v28, 8, v26
	v_cmp_ne_u16_e32 vcc, 0, v28
	v_mov_b32_e32 v30, 0
	v_mov_b32_e32 v44, 0
	s_and_saveexec_b64 s[4:5], vcc
	s_cbranch_execz .LBB618_197
; %bb.192:                              ;   in Loop: Header=BB618_17 Depth=1
	v_cmp_ne_u16_e32 vcc, s13, v28
	v_bfrev_b32_e32 v44, 1
	s_and_saveexec_b64 s[6:7], vcc
	s_cbranch_execz .LBB618_196
; %bb.193:                              ;   in Loop: Header=BB618_17 Depth=1
	v_and_b32_e32 v52, 0x7f, v28
	v_cmp_ne_u32_e32 vcc, s14, v52
	v_mov_b32_e32 v44, 0x7f800001
	s_and_saveexec_b64 s[10:11], vcc
	s_cbranch_execz .LBB618_195
; %bb.194:                              ;   in Loop: Header=BB618_17 Depth=1
	v_and_b32_e32 v44, 7, v28
	v_ffbh_u32_e32 v54, v44
	v_min_u32_e32 v56, 32, v54
	v_subrev_u32_e32 v54, 28, v56
	v_lshlrev_b64 v[54:55], v54, v[28:29]
	v_lshrrev_b32_e32 v53, 3, v52
	v_sub_u32_e32 v28, 29, v56
	v_and_b32_e32 v54, 7, v54
	v_cmp_gt_u32_e32 vcc, 8, v52
	v_cndmask_b32_e32 v28, v53, v28, vcc
	v_cndmask_b32_e32 v44, v44, v54, vcc
	v_lshlrev_b32_e32 v52, 16, v26
	v_lshlrev_b32_e32 v44, 20, v44
	v_and_b32_e32 v52, 0x80000000, v52
	v_lshl_add_u32 v28, v28, 23, v38
	v_or3_b32 v44, v52, v28, v44
.LBB618_195:                            ;   in Loop: Header=BB618_17 Depth=1
	s_or_b64 exec, exec, s[10:11]
.LBB618_196:                            ;   in Loop: Header=BB618_17 Depth=1
	s_or_b64 exec, exec, s[6:7]
.LBB618_197:                            ;   in Loop: Header=BB618_17 Depth=1
	s_or_b64 exec, exec, s[4:5]
	v_lshrrev_b32_e32 v28, 16, v26
	v_cmp_ne_u16_sdwa s[6:7], v28, v35 src0_sel:BYTE_0 src1_sel:DWORD
	s_and_saveexec_b64 s[4:5], s[6:7]
	s_cbranch_execz .LBB618_203
; %bb.198:                              ;   in Loop: Header=BB618_17 Depth=1
	v_cmp_ne_u16_sdwa s[10:11], v28, s13 src0_sel:BYTE_0 src1_sel:DWORD
	v_bfrev_b32_e32 v30, 1
	s_and_saveexec_b64 s[6:7], s[10:11]
	s_cbranch_execz .LBB618_202
; %bb.199:                              ;   in Loop: Header=BB618_17 Depth=1
	v_bfe_u32 v52, v26, 16, 7
	v_cmp_ne_u32_e32 vcc, s14, v52
	v_mov_b32_e32 v30, 0x7f800001
	s_and_saveexec_b64 s[10:11], vcc
	s_cbranch_execz .LBB618_201
; %bb.200:                              ;   in Loop: Header=BB618_17 Depth=1
	v_and_b32_e32 v30, 7, v28
	v_ffbh_u32_e32 v54, v30
	v_min_u32_e32 v56, 32, v54
	v_subrev_u32_e32 v54, 28, v56
	v_lshlrev_b64 v[54:55], v54, v[28:29]
	v_lshrrev_b32_e32 v53, 3, v52
	v_sub_u32_e32 v55, 29, v56
	v_and_b32_e32 v54, 7, v54
	v_cmp_gt_u32_e32 vcc, 8, v52
	v_cndmask_b32_e32 v52, v53, v55, vcc
	v_cndmask_b32_e32 v30, v30, v54, vcc
	v_lshlrev_b32_e32 v28, 24, v28
	v_lshlrev_b32_e32 v30, 20, v30
	v_and_b32_e32 v28, 0x80000000, v28
	v_lshl_add_u32 v52, v52, 23, v38
	v_or3_b32 v30, v28, v52, v30
.LBB618_201:                            ;   in Loop: Header=BB618_17 Depth=1
	s_or_b64 exec, exec, s[10:11]
.LBB618_202:                            ;   in Loop: Header=BB618_17 Depth=1
	s_or_b64 exec, exec, s[6:7]
.LBB618_203:                            ;   in Loop: Header=BB618_17 Depth=1
	s_or_b64 exec, exec, s[4:5]
	v_cmp_lt_u32_e32 vcc, s15, v26
	v_mov_b32_e32 v52, 0
	s_and_saveexec_b64 s[4:5], vcc
	s_cbranch_execz .LBB618_16
; %bb.204:                              ;   in Loop: Header=BB618_17 Depth=1
	v_lshrrev_b32_e32 v28, 24, v26
	v_cmp_ne_u32_e32 vcc, s13, v28
	v_bfrev_b32_e32 v52, 1
	s_and_saveexec_b64 s[6:7], vcc
	s_cbranch_execz .LBB618_15
; %bb.205:                              ;   in Loop: Header=BB618_17 Depth=1
	v_bfe_u32 v26, v26, 24, 7
	v_cmp_ne_u32_e32 vcc, s14, v26
	v_mov_b32_e32 v52, 0x7f800001
	s_and_saveexec_b64 s[10:11], vcc
	s_cbranch_execz .LBB618_14
; %bb.206:                              ;   in Loop: Header=BB618_17 Depth=1
	v_and_b32_e32 v54, 7, v28
	v_ffbh_u32_e32 v52, v54
	v_min_u32_e32 v56, 32, v52
	v_subrev_u32_e32 v52, 28, v56
	v_lshlrev_b64 v[52:53], v52, v[28:29]
	v_lshrrev_b32_e32 v55, 3, v26
	v_sub_u32_e32 v53, 29, v56
	v_and_b32_e32 v52, 7, v52
	v_cmp_gt_u32_e32 vcc, 8, v26
	v_cndmask_b32_e32 v26, v55, v53, vcc
	v_cndmask_b32_e32 v52, v54, v52, vcc
	v_lshlrev_b32_e32 v28, 24, v28
	v_lshlrev_b32_e32 v52, 20, v52
	v_and_b32_e32 v28, 0x80000000, v28
	v_lshl_add_u32 v26, v26, 23, v38
	v_or3_b32 v52, v28, v26, v52
	s_branch .LBB618_14
.LBB618_207:
	buffer_load_dword v17, off, s[0:3], 0 offset:256
	buffer_load_dword v16, off, s[0:3], 0 offset:260
	;; [unrolled: 1-line block ×16, first 2 shown]
	v_and_b32_e32 v18, 0xc0, v0
	v_add_u32_e32 v18, s20, v18
	v_lshl_or_b32 v18, v1, 2, v18
	v_or_b32_e32 v20, 1, v18
	v_subrev_u32_e32 v24, s33, v20
	v_add_u32_e32 v26, 1, v24
	v_cvt_f32_i32_e32 v25, v24
	v_add_u32_e32 v28, 2, v24
	v_add_u32_e32 v30, 3, v24
	;; [unrolled: 1-line block ×14, first 2 shown]
	v_cvt_f32_i32_e32 v26, v26
	v_cvt_f32_i32_e32 v28, v28
	;; [unrolled: 1-line block ×4, first 2 shown]
	v_mov_b32_e32 v19, 0xff7fffff
	v_or_b32_e32 v21, 2, v18
	v_or_b32_e32 v22, 3, v18
	v_cvt_f32_i32_e32 v32, v32
	v_cvt_f32_i32_e32 v34, v34
	v_cmp_gt_i32_e64 s[28:29], s33, v18
	v_cmp_gt_i32_e64 s[30:31], s33, v20
	s_mov_b32 s52, 0xff7fffff
	v_cmp_gt_i32_e64 s[34:35], s33, v21
	v_cmp_gt_i32_e64 s[36:37], s33, v22
	v_or_b32_e32 v23, 16, v18
	v_cvt_f32_i32_e32 v35, v35
	v_cvt_f32_i32_e32 v36, v36
	v_cmp_gt_i32_e64 s[24:25], s33, v23
	v_cvt_f32_i32_e32 v37, v37
	v_cvt_f32_i32_e32 v38, v38
	;; [unrolled: 1-line block ×7, first 2 shown]
	s_waitcnt vmcnt(15)
	v_fmac_f32_e32 v17, v31, v25
	s_waitcnt vmcnt(14)
	v_fmac_f32_e32 v16, v31, v26
	;; [unrolled: 2-line block ×4, first 2 shown]
	v_cndmask_b32_e64 v20, v19, v16, s[30:31]
	v_cndmask_b32_e64 v21, v19, v15, s[34:35]
	;; [unrolled: 1-line block ×3, first 2 shown]
	s_waitcnt vmcnt(11)
	v_fmac_f32_e32 v13, v31, v32
	s_waitcnt vmcnt(10)
	v_fmac_f32_e32 v12, v31, v34
	;; [unrolled: 2-line block ×9, first 2 shown]
	v_cndmask_b32_e64 v24, v19, v17, s[28:29]
	v_max3_f32 v20, v24, s52, v20
	v_max3_f32 v20, v20, v21, v22
	v_or_b32_e32 v22, 17, v18
	v_cmp_gt_i32_e64 s[38:39], s33, v22
	v_cndmask_b32_e64 v21, v19, v13, s[24:25]
	v_cndmask_b32_e64 v22, v19, v12, s[38:39]
	v_max3_f32 v20, v20, v21, v22
	v_or_b32_e32 v21, 18, v18
	v_or_b32_e32 v22, 19, v18
	v_cmp_gt_i32_e64 s[20:21], s33, v21
	v_cmp_gt_i32_e64 s[22:23], s33, v22
	v_cndmask_b32_e64 v21, v19, v11, s[20:21]
	v_cndmask_b32_e64 v22, v19, v10, s[22:23]
	v_max3_f32 v20, v20, v21, v22
	v_or_b32_e32 v21, 32, v18
	v_or_b32_e32 v22, 33, v18
	v_cmp_gt_i32_e64 s[16:17], s33, v21
	;; [unrolled: 7-line block ×3, first 2 shown]
	v_cmp_gt_i32_e64 s[14:15], s33, v22
	v_cndmask_b32_e64 v21, v19, v7, s[12:13]
	v_cndmask_b32_e64 v22, v19, v6, s[14:15]
	v_max3_f32 v20, v20, v21, v22
	v_or_b32_e32 v21, 48, v18
	v_or_b32_e32 v22, 49, v18
	v_fmac_f32_e32 v5, v31, v44
	v_fmac_f32_e32 v4, v31, v52
	v_cmp_gt_i32_e64 s[6:7], s33, v21
	v_cmp_gt_i32_e64 s[10:11], s33, v22
	v_cndmask_b32_e64 v21, v19, v5, s[6:7]
	v_cndmask_b32_e64 v22, v19, v4, s[10:11]
	v_max3_f32 v20, v20, v21, v22
	v_or_b32_e32 v21, 50, v18
	v_or_b32_e32 v18, 51, v18
	v_fmac_f32_e32 v3, v31, v53
	v_cmp_gt_i32_e32 vcc, s33, v21
	v_cmp_gt_i32_e64 s[4:5], s33, v18
	v_cndmask_b32_e32 v21, v19, v3, vcc
	v_cndmask_b32_e64 v18, v19, v2, s[4:5]
	v_mbcnt_lo_u32_b32 v19, -1, 0
	v_mbcnt_hi_u32_b32 v19, -1, v19
	v_max3_f32 v18, v20, v21, v18
	v_and_b32_e32 v20, 64, v19
	v_add_u32_e32 v20, 64, v20
	v_xor_b32_e32 v21, 32, v19
	v_cmp_lt_i32_e64 s[40:41], v21, v20
	v_cndmask_b32_e64 v21, v19, v21, s[40:41]
	v_lshlrev_b32_e32 v21, 2, v21
	ds_bpermute_b32 v22, v21, v18
	s_waitcnt lgkmcnt(0)
	v_max_f32_e32 v22, v22, v22
	v_max_f32_e32 v18, v18, v22
	v_xor_b32_e32 v22, 16, v19
	v_cmp_lt_i32_e64 s[40:41], v22, v20
	v_cndmask_b32_e64 v19, v19, v22, s[40:41]
	v_lshlrev_b32_e32 v19, 2, v19
	ds_bpermute_b32 v20, v19, v18
	s_waitcnt lgkmcnt(0)
	v_max_f32_e32 v20, v20, v20
	v_max_f32_e32 v18, v18, v20
	v_sub_f32_e32 v17, v17, v18
	v_mul_f32_e32 v17, 0x3fb8aa3b, v17
	v_sub_f32_e32 v16, v16, v18
	v_exp_f32_e32 v17, v17
	v_mul_f32_e32 v16, 0x3fb8aa3b, v16
	v_sub_f32_e32 v15, v15, v18
	v_exp_f32_e32 v16, v16
	;; [unrolled: 3-line block ×4, first 2 shown]
	v_mul_f32_e32 v13, 0x3fb8aa3b, v13
	v_sub_f32_e32 v12, v12, v18
	v_cndmask_b32_e64 v17, 0, v17, s[28:29]
	v_exp_f32_e32 v13, v13
	v_mul_f32_e32 v12, 0x3fb8aa3b, v12
	v_sub_f32_e32 v11, v11, v18
	v_add_f32_e32 v20, 0, v17
	v_cndmask_b32_e64 v16, 0, v16, s[30:31]
	v_exp_f32_e32 v12, v12
	v_mul_f32_e32 v11, 0x3fb8aa3b, v11
	v_sub_f32_e32 v10, v10, v18
	v_add_f32_e32 v20, v20, v16
	;; [unrolled: 5-line block ×4, first 2 shown]
	v_cndmask_b32_e64 v13, 0, v13, s[24:25]
	v_exp_f32_e32 v9, v9
	v_mul_f32_e32 v8, 0x3fb8aa3b, v8
	v_sub_f32_e32 v7, v7, v18
	buffer_store_dword v17, off, s[0:3], 0 offset:256
	buffer_store_dword v16, off, s[0:3], 0 offset:260
	;; [unrolled: 1-line block ×4, first 2 shown]
	v_add_f32_e32 v14, v20, v13
	v_cndmask_b32_e64 v12, 0, v12, s[38:39]
	v_exp_f32_e32 v8, v8
	v_mul_f32_e32 v7, 0x3fb8aa3b, v7
	v_sub_f32_e32 v6, v6, v18
	v_add_f32_e32 v14, v14, v12
	v_cndmask_b32_e64 v11, 0, v11, s[20:21]
	v_exp_f32_e32 v7, v7
	v_mul_f32_e32 v6, 0x3fb8aa3b, v6
	v_sub_f32_e32 v5, v5, v18
	;; [unrolled: 5-line block ×4, first 2 shown]
	buffer_store_dword v13, off, s[0:3], 0 offset:272
	buffer_store_dword v12, off, s[0:3], 0 offset:276
	;; [unrolled: 1-line block ×4, first 2 shown]
	v_add_f32_e32 v10, v14, v9
	v_cndmask_b32_e64 v8, 0, v8, s[18:19]
	v_exp_f32_e32 v4, v4
	v_mul_f32_e32 v3, 0x3fb8aa3b, v3
	v_sub_f32_e32 v2, v2, v18
	v_add_f32_e32 v10, v10, v8
	v_cndmask_b32_e64 v7, 0, v7, s[12:13]
	v_exp_f32_e32 v3, v3
	v_mul_f32_e32 v2, 0x3fb8aa3b, v2
	v_add_f32_e32 v10, v10, v7
	v_cndmask_b32_e64 v6, 0, v6, s[14:15]
	v_exp_f32_e32 v2, v2
	v_add_f32_e32 v10, v10, v6
	v_cndmask_b32_e64 v5, 0, v5, s[6:7]
	buffer_store_dword v9, off, s[0:3], 0 offset:288
	buffer_store_dword v8, off, s[0:3], 0 offset:292
	;; [unrolled: 1-line block ×4, first 2 shown]
	v_add_f32_e32 v6, v10, v5
	v_cndmask_b32_e64 v4, 0, v4, s[10:11]
	v_add_f32_e32 v6, v6, v4
	v_cndmask_b32_e32 v3, 0, v3, vcc
	v_add_f32_e32 v6, v6, v3
	v_cndmask_b32_e64 v2, 0, v2, s[4:5]
	v_add_f32_e32 v6, v6, v2
	ds_bpermute_b32 v7, v21, v6
	buffer_store_dword v5, off, s[0:3], 0 offset:304
	buffer_store_dword v4, off, s[0:3], 0 offset:308
	;; [unrolled: 1-line block ×4, first 2 shown]
	v_cmp_gt_u32_e64 s[4:5], 16, v33
	s_waitcnt lgkmcnt(0)
	s_barrier
	v_add_f32_e32 v2, v6, v7
	ds_bpermute_b32 v3, v19, v2
	s_waitcnt lgkmcnt(0)
	s_and_saveexec_b64 s[6:7], s[4:5]
	s_cbranch_execz .LBB618_209
; %bb.208:
	v_add_f32_e32 v2, v2, v3
	v_lshlrev_b32_e32 v3, 2, v29
	ds_write2st64_b32 v3, v18, v2 offset1:1
.LBB618_209:
	s_or_b64 exec, exec, s[6:7]
	v_lshlrev_b32_e32 v2, 2, v41
	s_waitcnt lgkmcnt(0)
	s_barrier
	ds_read2_b32 v[12:13], v2 offset1:16
	ds_read2_b32 v[14:15], v2 offset0:32 offset1:48
	ds_read2_b32 v[6:7], v2 offset0:64 offset1:80
	;; [unrolled: 1-line block ×3, first 2 shown]
	s_waitcnt lgkmcnt(0)
	s_barrier
	buffer_load_dword v20, off, s[0:3], 0 offset:256
	buffer_load_dword v21, off, s[0:3], 0 offset:260
	;; [unrolled: 1-line block ×16, first 2 shown]
	v_lshlrev_b32_e32 v19, 3, v1
	v_lshlrev_b32_e32 v18, 5, v41
	;; [unrolled: 1-line block ×3, first 2 shown]
	v_or3_b32 v52, v26, v18, v19
	v_max3_f32 v19, v12, s52, v13
	v_max3_f32 v19, v19, v14, v15
	v_sub_f32_e32 v12, v12, v19
	v_sub_f32_e32 v13, v13, v19
	v_mul_f32_e32 v12, 0x3fb8aa3b, v12
	v_sub_f32_e32 v14, v14, v19
	v_mul_f32_e32 v13, 0x3fb8aa3b, v13
	v_exp_f32_e32 v12, v12
	v_sub_f32_e32 v15, v15, v19
	v_mul_f32_e32 v14, 0x3fb8aa3b, v14
	v_exp_f32_e32 v13, v13
	v_mul_f32_e32 v15, 0x3fb8aa3b, v15
	v_exp_f32_e32 v14, v14
	v_exp_f32_e32 v15, v15
	v_fma_f32 v6, v12, v6, 0
	v_fmac_f32_e32 v6, v13, v7
	v_fmac_f32_e32 v6, v14, v10
	;; [unrolled: 1-line block ×3, first 2 shown]
	v_cmp_eq_u32_e32 vcc, 1, v27
	v_add_f32_e32 v10, 0x358637bd, v6
	v_cndmask_b32_e32 v12, v12, v13, vcc
	v_cmp_eq_u32_e32 vcc, 2, v27
	v_div_scale_f32 v11, s[6:7], v10, v10, 1.0
	v_cndmask_b32_e32 v7, v12, v14, vcc
	v_rcp_f32_e32 v12, v11
	v_cmp_eq_u32_e32 vcc, 3, v27
	v_cndmask_b32_e32 v7, v7, v15, vcc
	v_div_scale_f32 v13, vcc, 1.0, v10, 1.0
	v_fma_f32 v14, -v11, v12, 1.0
	v_fmac_f32_e32 v12, v14, v12
	v_mul_f32_e32 v14, v13, v12
	v_fma_f32 v15, -v11, v14, v13
	v_fmac_f32_e32 v14, v15, v12
	v_fma_f32 v11, -v11, v14, v13
	v_div_fmas_f32 v11, v11, v12, v14
	v_div_fixup_f32 v10, v11, v10, 1.0
	v_mul_f32_e32 v10, v7, v10
	s_mul_i32 s20, s49, 13
	v_cmp_gt_u32_e32 vcc, 13, v0
	s_waitcnt vmcnt(14)
	v_pk_mul_f32 v[14:15], v[10:11], v[20:21] op_sel_hi:[0,1]
	v_cvt_f16_f32_e32 v7, v14
	s_waitcnt vmcnt(12)
	v_pk_mul_f32 v[12:13], v[10:11], v[22:23] op_sel_hi:[0,1]
	buffer_store_dword v14, off, s[0:3], 0 offset:256
	buffer_store_dword v15, off, s[0:3], 0 offset:260
	;; [unrolled: 1-line block ×3, first 2 shown]
	s_waitcnt vmcnt(13)
	v_pk_mul_f32 v[20:21], v[10:11], v[24:25] op_sel_hi:[0,1]
	v_cvt_f16_f32_e32 v14, v12
	s_waitcnt vmcnt(11)
	v_pk_mul_f32 v[22:23], v[10:11], v[28:29] op_sel_hi:[0,1]
	v_cvt_f16_f32_e32 v11, v15
	v_cvt_f16_f32_e32 v15, v13
	buffer_store_dword v13, off, s[0:3], 0 offset:268
	buffer_store_dword v22, off, s[0:3], 0 offset:272
	;; [unrolled: 1-line block ×3, first 2 shown]
	v_pack_b32_f16 v12, v7, v11
	v_cvt_f16_f32_e32 v11, v23
	v_pack_b32_f16 v13, v14, v15
	v_cvt_f16_f32_e32 v7, v22
	v_cvt_f16_f32_e32 v15, v20
	;; [unrolled: 1-line block ×3, first 2 shown]
	s_waitcnt vmcnt(12)
	v_pk_mul_f32 v[4:5], v[10:11], v[4:5] op_sel_hi:[0,1]
	v_pack_b32_f16 v14, v7, v11
	s_waitcnt vmcnt(10)
	v_pk_mul_f32 v[2:3], v[10:11], v[2:3] op_sel_hi:[0,1]
	v_pack_b32_f16 v15, v15, v22
	v_cvt_f16_f32_e32 v11, v5
	buffer_store_dword v20, off, s[0:3], 0 offset:280
	buffer_store_dword v21, off, s[0:3], 0 offset:284
	ds_write2st64_b64 v52, v[12:13], v[14:15] offset1:1
	buffer_store_dword v2, off, s[0:3], 0 offset:288
	buffer_store_dword v3, off, s[0:3], 0 offset:292
	v_cvt_f16_f32_e32 v2, v2
	v_cvt_f16_f32_e32 v3, v3
	;; [unrolled: 1-line block ×3, first 2 shown]
	buffer_store_dword v4, off, s[0:3], 0 offset:296
	buffer_store_dword v5, off, s[0:3], 0 offset:300
	s_waitcnt vmcnt(12)
	v_pk_mul_f32 v[4:5], v[10:11], v[16:17] op_sel_hi:[0,1]
	v_pk_mul_f32 v[8:9], v[10:11], v[8:9] op_sel_hi:[0,1]
	v_pack_b32_f16 v2, v2, v3
	v_pack_b32_f16 v3, v7, v11
	buffer_store_dword v8, off, s[0:3], 0 offset:304
	buffer_store_dword v9, off, s[0:3], 0 offset:308
	v_cvt_f16_f32_e32 v7, v8
	v_cvt_f16_f32_e32 v8, v9
	v_cvt_f16_f32_e32 v9, v4
	v_cvt_f16_f32_e32 v10, v5
	buffer_store_dword v4, off, s[0:3], 0 offset:312
	buffer_store_dword v5, off, s[0:3], 0 offset:316
	v_pack_b32_f16 v4, v7, v8
	v_pack_b32_f16 v5, v9, v10
	ds_write2st64_b64 v52, v[2:3], v[4:5] offset0:2 offset1:3
	s_and_saveexec_b64 s[6:7], vcc
	s_cbranch_execz .LBB618_211
; %bb.210:
	v_add_co_u32_e32 v4, vcc, s27, v41
	v_addc_co_u32_e64 v5, s[10:11], 0, 0, vcc
	v_mov_b32_e32 v2, s20
	v_mov_b32_e32 v3, 0
	v_mad_u64_u32 v[4:5], s[10:11], s8, v2, v[4:5]
	v_mov_b32_e32 v2, s26
	s_mul_i32 s9, s9, s20
	v_mad_u64_u32 v[2:3], s[10:11], v4, s48, v[2:3]
	v_add_u32_e32 v5, s9, v5
	v_mov_b32_e32 v4, v3
	v_mad_u64_u32 v[4:5], s[10:11], v5, s48, v[4:5]
	v_mov_b32_e32 v3, v4
	v_lshlrev_b64 v[2:3], 2, v[2:3]
	v_mov_b32_e32 v5, s47
	v_add_co_u32_e32 v4, vcc, s46, v2
	v_addc_co_u32_e32 v5, vcc, v5, v3, vcc
	global_store_dword v[4:5], v19, off
	v_mov_b32_e32 v4, s45
	v_add_co_u32_e32 v2, vcc, s44, v2
	v_addc_co_u32_e32 v3, vcc, v4, v3, vcc
	global_store_dword v[2:3], v6, off
.LBB618_211:
	s_or_b64 exec, exec, s[6:7]
	v_lshl_or_b32 v30, v1, 9, v18
	s_waitcnt lgkmcnt(0)
	s_barrier
	s_load_dword s6, s[42:43], 0x0
	ds_read_b128 v[2:5], v30
	ds_read_b128 v[6:9], v30 offset:16
	ds_read_b128 v[10:13], v30 offset:2048
	;; [unrolled: 1-line block ×7, first 2 shown]
	v_mov_b32_e32 v35, 0x80
	v_mov_b32_e32 v53, 0x140
	s_mov_b64 s[12:13], -1
	s_waitcnt lgkmcnt(0)
	s_mov_b32 s7, s6
	s_mov_b32 s10, s6
	;; [unrolled: 1-line block ×3, first 2 shown]
	s_movk_i32 s9, 0x80
	s_movk_i32 s21, 0x7f
	s_mov_b32 s22, 0xffffff
	v_mov_b32_e32 v54, 0
	v_bfrev_b32_e32 v55, 60
	s_branch .LBB618_215
.LBB618_212:                            ;   in Loop: Header=BB618_215 Depth=1
	s_or_b64 exec, exec, s[18:19]
.LBB618_213:                            ;   in Loop: Header=BB618_215 Depth=1
	s_or_b64 exec, exec, s[16:17]
.LBB618_214:                            ;   in Loop: Header=BB618_215 Depth=1
	s_or_b64 exec, exec, s[14:15]
	v_cvt_pkrtz_f16_f32 v60, v46, v50
	v_cvt_pkrtz_f16_f32 v61, v44, v56
	s_xor_b64 s[14:15], s[12:13], -1
	s_mov_b64 s[12:13], 0
	v_mov_b32_e32 v46, v47
	v_mfma_f32_16x16x16f16 v[60:63], v[60:61], v[30:31], v[34:37]
	v_mov_b32_e32 v50, v49
	s_and_b64 vcc, exec, s[14:15]
	s_nop 4
	v_cvt_pkrtz_f16_f32 v36, v51, v57
	v_cvt_pkrtz_f16_f32 v37, v42, v58
	v_mov_b32_e32 v35, v45
	v_mov_b32_e32 v51, v48
	v_mfma_f32_16x16x16f16 v[56:59], v[36:37], v[32:33], v[60:63]
	s_nop 7
	s_nop 2
	v_pk_mul_f32 v[56:57], v[56:57], s[6:7]
	v_pk_mul_f32 v[36:37], v[58:59], s[10:11]
	v_cvt_f16_f32_e32 v34, v56
	v_cvt_f16_f32_e32 v38, v57
	;; [unrolled: 1-line block ×4, first 2 shown]
	v_pack_b32_f16 v34, v34, v38
	v_pack_b32_f16 v36, v36, v37
	buffer_store_dword v34, v53, s[0:3], 0 offen
	buffer_store_dword v36, v53, s[0:3], 0 offen offset:4
	v_mov_b32_e32 v53, 0x148
	s_cbranch_vccnz .LBB618_597
.LBB618_215:                            ; =>This Inner Loop Header: Depth=1
	buffer_load_dword v36, v35, s[0:3], 0 offen
	buffer_load_dword v34, v35, s[0:3], 0 offen offset:4
	buffer_load_dword v40, v35, s[0:3], 0 offen offset:8
	;; [unrolled: 1-line block ×3, first 2 shown]
	v_mov_b32_e32 v35, 0
	s_waitcnt vmcnt(3)
	v_cmp_ne_u16_sdwa s[16:17], v36, v54 src0_sel:BYTE_0 src1_sel:DWORD
	s_and_saveexec_b64 s[14:15], s[16:17]
	s_cbranch_execz .LBB618_221
; %bb.216:                              ;   in Loop: Header=BB618_215 Depth=1
	v_cmp_ne_u16_sdwa s[18:19], v36, s9 src0_sel:BYTE_0 src1_sel:DWORD
	v_bfrev_b32_e32 v35, 1
	s_and_saveexec_b64 s[16:17], s[18:19]
	s_cbranch_execz .LBB618_220
; %bb.217:                              ;   in Loop: Header=BB618_215 Depth=1
	v_and_b32_e32 v37, 0x7f, v36
	v_cmp_ne_u32_e32 vcc, s21, v37
	v_mov_b32_e32 v35, 0x7f800001
	s_and_saveexec_b64 s[18:19], vcc
	s_cbranch_execz .LBB618_219
; %bb.218:                              ;   in Loop: Header=BB618_215 Depth=1
	v_and_b32_e32 v35, 7, v36
	v_ffbh_u32_e32 v44, v35
	v_min_u32_e32 v44, 32, v44
	v_subrev_u32_e32 v56, 28, v44
	v_lshlrev_b64 v[56:57], v56, v[36:37]
	v_lshrrev_b32_e32 v42, 3, v37
	v_sub_u32_e32 v44, 29, v44
	v_and_b32_e32 v56, 7, v56
	v_cmp_gt_u32_e32 vcc, 8, v37
	v_cndmask_b32_e32 v37, v42, v44, vcc
	v_cndmask_b32_e32 v35, v35, v56, vcc
	v_lshlrev_b32_e32 v42, 24, v36
	v_lshlrev_b32_e32 v35, 20, v35
	v_and_b32_e32 v42, 0x80000000, v42
	v_lshl_add_u32 v37, v37, 23, v55
	v_or3_b32 v35, v42, v37, v35
.LBB618_219:                            ;   in Loop: Header=BB618_215 Depth=1
	s_or_b64 exec, exec, s[18:19]
.LBB618_220:                            ;   in Loop: Header=BB618_215 Depth=1
	s_or_b64 exec, exec, s[16:17]
.LBB618_221:                            ;   in Loop: Header=BB618_215 Depth=1
	s_or_b64 exec, exec, s[14:15]
	v_lshrrev_b16_e32 v42, 8, v36
	v_cmp_ne_u16_e32 vcc, 0, v42
	v_mov_b32_e32 v37, 0
	s_and_saveexec_b64 s[14:15], vcc
	s_cbranch_execz .LBB618_227
; %bb.222:                              ;   in Loop: Header=BB618_215 Depth=1
	v_cmp_ne_u16_e32 vcc, s9, v42
	v_bfrev_b32_e32 v37, 1
	s_and_saveexec_b64 s[16:17], vcc
	s_cbranch_execz .LBB618_226
; %bb.223:                              ;   in Loop: Header=BB618_215 Depth=1
	v_and_b32_e32 v44, 0x7f, v42
	v_cmp_ne_u32_e32 vcc, s21, v44
	v_mov_b32_e32 v37, 0x7f800001
	s_and_saveexec_b64 s[18:19], vcc
	s_cbranch_execz .LBB618_225
; %bb.224:                              ;   in Loop: Header=BB618_215 Depth=1
	v_and_b32_e32 v37, 7, v42
	v_ffbh_u32_e32 v56, v37
	v_min_u32_e32 v59, 32, v56
	v_subrev_u32_e32 v56, 28, v59
	v_lshlrev_b64 v[56:57], v56, v[42:43]
	v_lshrrev_b32_e32 v58, 3, v44
	v_sub_u32_e32 v42, 29, v59
	v_and_b32_e32 v56, 7, v56
	v_cmp_gt_u32_e32 vcc, 8, v44
	v_cndmask_b32_e32 v42, v58, v42, vcc
	v_cndmask_b32_e32 v37, v37, v56, vcc
	v_lshlrev_b32_e32 v44, 16, v36
	v_lshlrev_b32_e32 v37, 20, v37
	v_and_b32_e32 v44, 0x80000000, v44
	v_lshl_add_u32 v42, v42, 23, v55
	v_or3_b32 v37, v44, v42, v37
.LBB618_225:                            ;   in Loop: Header=BB618_215 Depth=1
	s_or_b64 exec, exec, s[18:19]
.LBB618_226:                            ;   in Loop: Header=BB618_215 Depth=1
	s_or_b64 exec, exec, s[16:17]
.LBB618_227:                            ;   in Loop: Header=BB618_215 Depth=1
	s_or_b64 exec, exec, s[14:15]
	v_lshrrev_b32_e32 v42, 16, v36
	v_cmp_ne_u16_sdwa s[16:17], v42, v54 src0_sel:BYTE_0 src1_sel:DWORD
	v_mov_b32_e32 v56, 0
	v_mov_b32_e32 v44, 0
	s_and_saveexec_b64 s[14:15], s[16:17]
	s_cbranch_execz .LBB618_233
; %bb.228:                              ;   in Loop: Header=BB618_215 Depth=1
	v_cmp_ne_u16_sdwa s[18:19], v42, s9 src0_sel:BYTE_0 src1_sel:DWORD
	v_bfrev_b32_e32 v44, 1
	s_and_saveexec_b64 s[16:17], s[18:19]
	s_cbranch_execz .LBB618_232
; %bb.229:                              ;   in Loop: Header=BB618_215 Depth=1
	v_bfe_u32 v57, v36, 16, 7
	v_cmp_ne_u32_e32 vcc, s21, v57
	v_mov_b32_e32 v44, 0x7f800001
	s_and_saveexec_b64 s[18:19], vcc
	s_cbranch_execz .LBB618_231
; %bb.230:                              ;   in Loop: Header=BB618_215 Depth=1
	v_and_b32_e32 v44, 7, v42
	v_ffbh_u32_e32 v58, v44
	v_min_u32_e32 v61, 32, v58
	v_subrev_u32_e32 v58, 28, v61
	v_lshlrev_b64 v[58:59], v58, v[42:43]
	v_lshrrev_b32_e32 v60, 3, v57
	v_sub_u32_e32 v59, 29, v61
	v_and_b32_e32 v58, 7, v58
	v_cmp_gt_u32_e32 vcc, 8, v57
	v_cndmask_b32_e32 v57, v60, v59, vcc
	v_cndmask_b32_e32 v44, v44, v58, vcc
	v_lshlrev_b32_e32 v42, 24, v42
	v_lshlrev_b32_e32 v44, 20, v44
	v_and_b32_e32 v42, 0x80000000, v42
	v_lshl_add_u32 v57, v57, 23, v55
	v_or3_b32 v44, v42, v57, v44
.LBB618_231:                            ;   in Loop: Header=BB618_215 Depth=1
	s_or_b64 exec, exec, s[18:19]
.LBB618_232:                            ;   in Loop: Header=BB618_215 Depth=1
	s_or_b64 exec, exec, s[16:17]
.LBB618_233:                            ;   in Loop: Header=BB618_215 Depth=1
	s_or_b64 exec, exec, s[14:15]
	v_cmp_lt_u32_e32 vcc, s22, v36
	s_and_saveexec_b64 s[14:15], vcc
	s_cbranch_execz .LBB618_239
; %bb.234:                              ;   in Loop: Header=BB618_215 Depth=1
	v_lshrrev_b32_e32 v42, 24, v36
	v_cmp_ne_u32_e32 vcc, s9, v42
	v_bfrev_b32_e32 v56, 1
	s_and_saveexec_b64 s[16:17], vcc
	s_cbranch_execz .LBB618_238
; %bb.235:                              ;   in Loop: Header=BB618_215 Depth=1
	v_bfe_u32 v36, v36, 24, 7
	v_cmp_ne_u32_e32 vcc, s21, v36
	v_mov_b32_e32 v56, 0x7f800001
	s_and_saveexec_b64 s[18:19], vcc
	s_cbranch_execz .LBB618_237
; %bb.236:                              ;   in Loop: Header=BB618_215 Depth=1
	v_and_b32_e32 v58, 7, v42
	v_ffbh_u32_e32 v56, v58
	v_min_u32_e32 v60, 32, v56
	v_subrev_u32_e32 v56, 28, v60
	v_lshlrev_b64 v[56:57], v56, v[42:43]
	v_lshrrev_b32_e32 v59, 3, v36
	v_sub_u32_e32 v57, 29, v60
	v_and_b32_e32 v56, 7, v56
	v_cmp_gt_u32_e32 vcc, 8, v36
	v_cndmask_b32_e32 v36, v59, v57, vcc
	v_cndmask_b32_e32 v56, v58, v56, vcc
	v_lshlrev_b32_e32 v42, 24, v42
	v_lshlrev_b32_e32 v56, 20, v56
	v_and_b32_e32 v42, 0x80000000, v42
	v_lshl_add_u32 v36, v36, 23, v55
	v_or3_b32 v56, v42, v36, v56
.LBB618_237:                            ;   in Loop: Header=BB618_215 Depth=1
	s_or_b64 exec, exec, s[18:19]
.LBB618_238:                            ;   in Loop: Header=BB618_215 Depth=1
	s_or_b64 exec, exec, s[16:17]
.LBB618_239:                            ;   in Loop: Header=BB618_215 Depth=1
	s_or_b64 exec, exec, s[14:15]
	s_waitcnt vmcnt(2)
	v_cmp_ne_u16_sdwa s[16:17], v34, v54 src0_sel:BYTE_0 src1_sel:DWORD
	v_mov_b32_e32 v42, 0
	v_mov_b32_e32 v57, 0
	s_and_saveexec_b64 s[14:15], s[16:17]
	s_cbranch_execz .LBB618_245
; %bb.240:                              ;   in Loop: Header=BB618_215 Depth=1
	v_cmp_ne_u16_sdwa s[18:19], v34, s9 src0_sel:BYTE_0 src1_sel:DWORD
	v_bfrev_b32_e32 v57, 1
	s_and_saveexec_b64 s[16:17], s[18:19]
	s_cbranch_execz .LBB618_244
; %bb.241:                              ;   in Loop: Header=BB618_215 Depth=1
	v_and_b32_e32 v36, 0x7f, v34
	v_cmp_ne_u32_e32 vcc, s21, v36
	v_mov_b32_e32 v57, 0x7f800001
	s_and_saveexec_b64 s[18:19], vcc
	s_cbranch_execz .LBB618_243
; %bb.242:                              ;   in Loop: Header=BB618_215 Depth=1
	v_and_b32_e32 v57, 7, v34
	v_ffbh_u32_e32 v58, v57
	v_min_u32_e32 v61, 32, v58
	v_subrev_u32_e32 v58, 28, v61
	v_lshlrev_b64 v[58:59], v58, v[34:35]
	v_lshrrev_b32_e32 v60, 3, v36
	v_sub_u32_e32 v59, 29, v61
	v_and_b32_e32 v58, 7, v58
	v_cmp_gt_u32_e32 vcc, 8, v36
	v_cndmask_b32_e32 v36, v60, v59, vcc
	v_cndmask_b32_e32 v57, v57, v58, vcc
	v_lshlrev_b32_e32 v58, 24, v34
	v_lshlrev_b32_e32 v57, 20, v57
	v_and_b32_e32 v58, 0x80000000, v58
	v_lshl_add_u32 v36, v36, 23, v55
	v_or3_b32 v57, v58, v36, v57
.LBB618_243:                            ;   in Loop: Header=BB618_215 Depth=1
	s_or_b64 exec, exec, s[18:19]
.LBB618_244:                            ;   in Loop: Header=BB618_215 Depth=1
	s_or_b64 exec, exec, s[16:17]
.LBB618_245:                            ;   in Loop: Header=BB618_215 Depth=1
	s_or_b64 exec, exec, s[14:15]
	v_lshrrev_b16_e32 v36, 8, v34
	v_cmp_ne_u16_e32 vcc, 0, v36
	s_and_saveexec_b64 s[14:15], vcc
	s_cbranch_execz .LBB618_251
; %bb.246:                              ;   in Loop: Header=BB618_215 Depth=1
	v_cmp_ne_u16_e32 vcc, s9, v36
	v_bfrev_b32_e32 v42, 1
	s_and_saveexec_b64 s[16:17], vcc
	s_cbranch_execz .LBB618_250
; %bb.247:                              ;   in Loop: Header=BB618_215 Depth=1
	v_and_b32_e32 v58, 0x7f, v36
	v_cmp_ne_u32_e32 vcc, s21, v58
	v_mov_b32_e32 v42, 0x7f800001
	s_and_saveexec_b64 s[18:19], vcc
	s_cbranch_execz .LBB618_249
; %bb.248:                              ;   in Loop: Header=BB618_215 Depth=1
	v_and_b32_e32 v42, 7, v36
	v_ffbh_u32_e32 v60, v42
	v_min_u32_e32 v62, 32, v60
	v_subrev_u32_e32 v60, 28, v62
	v_lshlrev_b64 v[60:61], v60, v[36:37]
	v_lshrrev_b32_e32 v59, 3, v58
	v_sub_u32_e32 v36, 29, v62
	v_and_b32_e32 v60, 7, v60
	v_cmp_gt_u32_e32 vcc, 8, v58
	v_cndmask_b32_e32 v36, v59, v36, vcc
	v_cndmask_b32_e32 v42, v42, v60, vcc
	v_lshlrev_b32_e32 v58, 16, v34
	v_lshlrev_b32_e32 v42, 20, v42
	v_and_b32_e32 v58, 0x80000000, v58
	v_lshl_add_u32 v36, v36, 23, v55
	v_or3_b32 v42, v58, v36, v42
.LBB618_249:                            ;   in Loop: Header=BB618_215 Depth=1
	s_or_b64 exec, exec, s[18:19]
.LBB618_250:                            ;   in Loop: Header=BB618_215 Depth=1
	s_or_b64 exec, exec, s[16:17]
.LBB618_251:                            ;   in Loop: Header=BB618_215 Depth=1
	s_or_b64 exec, exec, s[14:15]
	v_lshrrev_b32_e32 v36, 16, v34
	v_cmp_ne_u16_sdwa s[16:17], v36, v54 src0_sel:BYTE_0 src1_sel:DWORD
	v_mov_b32_e32 v59, 0
	v_mov_b32_e32 v58, 0
	s_and_saveexec_b64 s[14:15], s[16:17]
	s_cbranch_execz .LBB618_257
; %bb.252:                              ;   in Loop: Header=BB618_215 Depth=1
	v_cmp_ne_u16_sdwa s[18:19], v36, s9 src0_sel:BYTE_0 src1_sel:DWORD
	v_bfrev_b32_e32 v58, 1
	s_and_saveexec_b64 s[16:17], s[18:19]
	s_cbranch_execz .LBB618_256
; %bb.253:                              ;   in Loop: Header=BB618_215 Depth=1
	v_bfe_u32 v60, v34, 16, 7
	v_cmp_ne_u32_e32 vcc, s21, v60
	v_mov_b32_e32 v58, 0x7f800001
	s_and_saveexec_b64 s[18:19], vcc
	s_cbranch_execz .LBB618_255
; %bb.254:                              ;   in Loop: Header=BB618_215 Depth=1
	v_and_b32_e32 v58, 7, v36
	v_ffbh_u32_e32 v62, v58
	v_min_u32_e32 v64, 32, v62
	v_subrev_u32_e32 v62, 28, v64
	v_lshlrev_b64 v[62:63], v62, v[36:37]
	v_lshrrev_b32_e32 v61, 3, v60
	v_sub_u32_e32 v63, 29, v64
	v_and_b32_e32 v62, 7, v62
	v_cmp_gt_u32_e32 vcc, 8, v60
	v_cndmask_b32_e32 v60, v61, v63, vcc
	v_cndmask_b32_e32 v58, v58, v62, vcc
	v_lshlrev_b32_e32 v36, 24, v36
	v_lshlrev_b32_e32 v58, 20, v58
	v_and_b32_e32 v36, 0x80000000, v36
	v_lshl_add_u32 v60, v60, 23, v55
	v_or3_b32 v58, v36, v60, v58
.LBB618_255:                            ;   in Loop: Header=BB618_215 Depth=1
	s_or_b64 exec, exec, s[18:19]
.LBB618_256:                            ;   in Loop: Header=BB618_215 Depth=1
	s_or_b64 exec, exec, s[16:17]
.LBB618_257:                            ;   in Loop: Header=BB618_215 Depth=1
	s_or_b64 exec, exec, s[14:15]
	v_cmp_lt_u32_e32 vcc, s22, v34
	s_and_saveexec_b64 s[14:15], vcc
	s_cbranch_execz .LBB618_263
; %bb.258:                              ;   in Loop: Header=BB618_215 Depth=1
	v_lshrrev_b32_e32 v36, 24, v34
	v_cmp_ne_u32_e32 vcc, s9, v36
	v_bfrev_b32_e32 v59, 1
	s_and_saveexec_b64 s[16:17], vcc
	s_cbranch_execz .LBB618_262
; %bb.259:                              ;   in Loop: Header=BB618_215 Depth=1
	v_bfe_u32 v34, v34, 24, 7
	v_cmp_ne_u32_e32 vcc, s21, v34
	v_mov_b32_e32 v59, 0x7f800001
	s_and_saveexec_b64 s[18:19], vcc
	s_cbranch_execz .LBB618_261
; %bb.260:                              ;   in Loop: Header=BB618_215 Depth=1
	v_and_b32_e32 v59, 7, v36
	v_ffbh_u32_e32 v60, v59
	v_min_u32_e32 v63, 32, v60
	v_subrev_u32_e32 v60, 28, v63
	v_lshlrev_b64 v[60:61], v60, v[36:37]
	v_lshrrev_b32_e32 v62, 3, v34
	v_sub_u32_e32 v61, 29, v63
	v_and_b32_e32 v60, 7, v60
	v_cmp_gt_u32_e32 vcc, 8, v34
	v_cndmask_b32_e32 v34, v62, v61, vcc
	v_cndmask_b32_e32 v59, v59, v60, vcc
	v_lshlrev_b32_e32 v36, 24, v36
	v_lshlrev_b32_e32 v59, 20, v59
	v_and_b32_e32 v36, 0x80000000, v36
	v_lshl_add_u32 v34, v34, 23, v55
	v_or3_b32 v59, v36, v34, v59
.LBB618_261:                            ;   in Loop: Header=BB618_215 Depth=1
	s_or_b64 exec, exec, s[18:19]
.LBB618_262:                            ;   in Loop: Header=BB618_215 Depth=1
	s_or_b64 exec, exec, s[16:17]
.LBB618_263:                            ;   in Loop: Header=BB618_215 Depth=1
	s_or_b64 exec, exec, s[14:15]
	v_cvt_pkrtz_f16_f32 v34, v35, v37
	v_cvt_pkrtz_f16_f32 v35, v44, v56
	v_cvt_pkrtz_f16_f32 v60, v57, v42
	v_cvt_pkrtz_f16_f32 v61, v58, v59
	v_mov_b32_e32 v44, 0
	v_mfma_f32_16x16x16f16 v[34:37], v[34:35], v[2:3], 0
	s_waitcnt vmcnt(1)
	v_cmp_ne_u16_sdwa s[16:17], v40, v54 src0_sel:BYTE_0 src1_sel:DWORD
	v_mov_b32_e32 v57, 0
	v_mfma_f32_16x16x16f16 v[34:37], v[60:61], v[4:5], v[34:37]
	s_and_saveexec_b64 s[14:15], s[16:17]
	s_cbranch_execz .LBB618_269
; %bb.264:                              ;   in Loop: Header=BB618_215 Depth=1
	v_cmp_ne_u16_sdwa s[18:19], v40, s9 src0_sel:BYTE_0 src1_sel:DWORD
	v_bfrev_b32_e32 v57, 1
	s_and_saveexec_b64 s[16:17], s[18:19]
	s_cbranch_execz .LBB618_268
; %bb.265:                              ;   in Loop: Header=BB618_215 Depth=1
	v_and_b32_e32 v42, 0x7f, v40
	v_cmp_ne_u32_e32 vcc, s21, v42
	v_mov_b32_e32 v57, 0x7f800001
	s_and_saveexec_b64 s[18:19], vcc
	s_cbranch_execz .LBB618_267
; %bb.266:                              ;   in Loop: Header=BB618_215 Depth=1
	v_and_b32_e32 v58, 7, v40
	v_ffbh_u32_e32 v56, v58
	v_min_u32_e32 v60, 32, v56
	v_subrev_u32_e32 v56, 28, v60
	v_lshlrev_b64 v[56:57], v56, v[40:41]
	v_lshrrev_b32_e32 v59, 3, v42
	v_sub_u32_e32 v57, 29, v60
	v_and_b32_e32 v56, 7, v56
	v_cmp_gt_u32_e32 vcc, 8, v42
	v_cndmask_b32_e32 v42, v59, v57, vcc
	v_cndmask_b32_e32 v56, v58, v56, vcc
	v_lshlrev_b32_e32 v57, 24, v40
	v_lshlrev_b32_e32 v56, 20, v56
	v_and_b32_e32 v57, 0x80000000, v57
	v_lshl_add_u32 v42, v42, 23, v55
	v_or3_b32 v57, v57, v42, v56
.LBB618_267:                            ;   in Loop: Header=BB618_215 Depth=1
	s_or_b64 exec, exec, s[18:19]
.LBB618_268:                            ;   in Loop: Header=BB618_215 Depth=1
	s_or_b64 exec, exec, s[16:17]
.LBB618_269:                            ;   in Loop: Header=BB618_215 Depth=1
	s_or_b64 exec, exec, s[14:15]
	v_lshrrev_b16_e32 v42, 8, v40
	v_cmp_ne_u16_e32 vcc, 0, v42
	v_mov_b32_e32 v58, 0
	s_and_saveexec_b64 s[14:15], vcc
	s_cbranch_execz .LBB618_275
; %bb.270:                              ;   in Loop: Header=BB618_215 Depth=1
	v_cmp_ne_u16_e32 vcc, s9, v42
	v_bfrev_b32_e32 v58, 1
	s_and_saveexec_b64 s[16:17], vcc
	s_cbranch_execz .LBB618_274
; %bb.271:                              ;   in Loop: Header=BB618_215 Depth=1
	v_and_b32_e32 v56, 0x7f, v42
	v_cmp_ne_u32_e32 vcc, s21, v56
	v_mov_b32_e32 v58, 0x7f800001
	s_and_saveexec_b64 s[18:19], vcc
	s_cbranch_execz .LBB618_273
; %bb.272:                              ;   in Loop: Header=BB618_215 Depth=1
	v_and_b32_e32 v60, 7, v42
	v_ffbh_u32_e32 v58, v60
	v_min_u32_e32 v62, 32, v58
	v_subrev_u32_e32 v58, 28, v62
	v_lshlrev_b64 v[58:59], v58, v[42:43]
	v_lshrrev_b32_e32 v61, 3, v56
	v_sub_u32_e32 v42, 29, v62
	v_and_b32_e32 v58, 7, v58
	v_cmp_gt_u32_e32 vcc, 8, v56
	v_cndmask_b32_e32 v42, v61, v42, vcc
	v_cndmask_b32_e32 v56, v60, v58, vcc
	v_lshlrev_b32_e32 v58, 16, v40
	v_lshlrev_b32_e32 v56, 20, v56
	v_and_b32_e32 v58, 0x80000000, v58
	v_lshl_add_u32 v42, v42, 23, v55
	v_or3_b32 v58, v58, v42, v56
.LBB618_273:                            ;   in Loop: Header=BB618_215 Depth=1
	s_or_b64 exec, exec, s[18:19]
.LBB618_274:                            ;   in Loop: Header=BB618_215 Depth=1
	s_or_b64 exec, exec, s[16:17]
.LBB618_275:                            ;   in Loop: Header=BB618_215 Depth=1
	s_or_b64 exec, exec, s[14:15]
	v_lshrrev_b32_e32 v42, 16, v40
	v_cmp_ne_u16_sdwa s[16:17], v42, v54 src0_sel:BYTE_0 src1_sel:DWORD
	s_and_saveexec_b64 s[14:15], s[16:17]
	s_cbranch_execz .LBB618_281
; %bb.276:                              ;   in Loop: Header=BB618_215 Depth=1
	v_cmp_ne_u16_sdwa s[18:19], v42, s9 src0_sel:BYTE_0 src1_sel:DWORD
	v_bfrev_b32_e32 v44, 1
	s_and_saveexec_b64 s[16:17], s[18:19]
	s_cbranch_execz .LBB618_280
; %bb.277:                              ;   in Loop: Header=BB618_215 Depth=1
	v_bfe_u32 v56, v40, 16, 7
	v_cmp_ne_u32_e32 vcc, s21, v56
	v_mov_b32_e32 v44, 0x7f800001
	s_and_saveexec_b64 s[18:19], vcc
	s_cbranch_execz .LBB618_279
; %bb.278:                              ;   in Loop: Header=BB618_215 Depth=1
	v_and_b32_e32 v44, 7, v42
	v_ffbh_u32_e32 v60, v44
	v_min_u32_e32 v62, 32, v60
	v_subrev_u32_e32 v60, 28, v62
	v_lshlrev_b64 v[60:61], v60, v[42:43]
	v_lshrrev_b32_e32 v59, 3, v56
	v_sub_u32_e32 v61, 29, v62
	v_and_b32_e32 v60, 7, v60
	v_cmp_gt_u32_e32 vcc, 8, v56
	v_cndmask_b32_e32 v56, v59, v61, vcc
	v_cndmask_b32_e32 v44, v44, v60, vcc
	v_lshlrev_b32_e32 v42, 24, v42
	v_lshlrev_b32_e32 v44, 20, v44
	v_and_b32_e32 v42, 0x80000000, v42
	v_lshl_add_u32 v56, v56, 23, v55
	v_or3_b32 v44, v42, v56, v44
.LBB618_279:                            ;   in Loop: Header=BB618_215 Depth=1
	s_or_b64 exec, exec, s[18:19]
.LBB618_280:                            ;   in Loop: Header=BB618_215 Depth=1
	s_or_b64 exec, exec, s[16:17]
.LBB618_281:                            ;   in Loop: Header=BB618_215 Depth=1
	s_or_b64 exec, exec, s[14:15]
	v_cmp_lt_u32_e32 vcc, s22, v40
	v_mov_b32_e32 v59, 0
	v_mov_b32_e32 v60, 0
	s_and_saveexec_b64 s[14:15], vcc
	s_cbranch_execz .LBB618_287
; %bb.282:                              ;   in Loop: Header=BB618_215 Depth=1
	v_lshrrev_b32_e32 v42, 24, v40
	v_cmp_ne_u32_e32 vcc, s9, v42
	v_bfrev_b32_e32 v60, 1
	s_and_saveexec_b64 s[16:17], vcc
	s_cbranch_execz .LBB618_286
; %bb.283:                              ;   in Loop: Header=BB618_215 Depth=1
	v_bfe_u32 v40, v40, 24, 7
	v_cmp_ne_u32_e32 vcc, s21, v40
	v_mov_b32_e32 v60, 0x7f800001
	s_and_saveexec_b64 s[18:19], vcc
	s_cbranch_execz .LBB618_285
; %bb.284:                              ;   in Loop: Header=BB618_215 Depth=1
	v_and_b32_e32 v56, 7, v42
	v_ffbh_u32_e32 v60, v56
	v_min_u32_e32 v63, 32, v60
	v_subrev_u32_e32 v60, 28, v63
	v_lshlrev_b64 v[60:61], v60, v[42:43]
	v_lshrrev_b32_e32 v62, 3, v40
	v_sub_u32_e32 v61, 29, v63
	v_and_b32_e32 v60, 7, v60
	v_cmp_gt_u32_e32 vcc, 8, v40
	v_cndmask_b32_e32 v40, v62, v61, vcc
	v_cndmask_b32_e32 v56, v56, v60, vcc
	v_lshlrev_b32_e32 v42, 24, v42
	v_lshlrev_b32_e32 v56, 20, v56
	v_and_b32_e32 v42, 0x80000000, v42
	v_lshl_add_u32 v40, v40, 23, v55
	v_or3_b32 v60, v42, v40, v56
.LBB618_285:                            ;   in Loop: Header=BB618_215 Depth=1
	s_or_b64 exec, exec, s[18:19]
.LBB618_286:                            ;   in Loop: Header=BB618_215 Depth=1
	s_or_b64 exec, exec, s[16:17]
.LBB618_287:                            ;   in Loop: Header=BB618_215 Depth=1
	s_or_b64 exec, exec, s[14:15]
	s_waitcnt vmcnt(0)
	v_cmp_ne_u16_sdwa s[16:17], v38, v54 src0_sel:BYTE_0 src1_sel:DWORD
	s_and_saveexec_b64 s[14:15], s[16:17]
	s_cbranch_execz .LBB618_293
; %bb.288:                              ;   in Loop: Header=BB618_215 Depth=1
	v_cmp_ne_u16_sdwa s[18:19], v38, s9 src0_sel:BYTE_0 src1_sel:DWORD
	v_bfrev_b32_e32 v59, 1
	s_and_saveexec_b64 s[16:17], s[18:19]
	s_cbranch_execz .LBB618_292
; %bb.289:                              ;   in Loop: Header=BB618_215 Depth=1
	v_and_b32_e32 v40, 0x7f, v38
	v_cmp_ne_u32_e32 vcc, s21, v40
	v_mov_b32_e32 v59, 0x7f800001
	s_and_saveexec_b64 s[18:19], vcc
	s_cbranch_execz .LBB618_291
; %bb.290:                              ;   in Loop: Header=BB618_215 Depth=1
	v_and_b32_e32 v42, 7, v38
	v_ffbh_u32_e32 v59, v42
	v_min_u32_e32 v59, 32, v59
	v_subrev_u32_e32 v61, 28, v59
	v_lshlrev_b64 v[62:63], v61, v[38:39]
	v_lshrrev_b32_e32 v56, 3, v40
	v_sub_u32_e32 v59, 29, v59
	v_and_b32_e32 v61, 7, v62
	v_cmp_gt_u32_e32 vcc, 8, v40
	v_cndmask_b32_e32 v40, v56, v59, vcc
	v_cndmask_b32_e32 v42, v42, v61, vcc
	v_lshlrev_b32_e32 v56, 24, v38
	v_lshlrev_b32_e32 v42, 20, v42
	v_and_b32_e32 v56, 0x80000000, v56
	v_lshl_add_u32 v40, v40, 23, v55
	v_or3_b32 v59, v56, v40, v42
.LBB618_291:                            ;   in Loop: Header=BB618_215 Depth=1
	s_or_b64 exec, exec, s[18:19]
.LBB618_292:                            ;   in Loop: Header=BB618_215 Depth=1
	s_or_b64 exec, exec, s[16:17]
.LBB618_293:                            ;   in Loop: Header=BB618_215 Depth=1
	s_or_b64 exec, exec, s[14:15]
	v_lshrrev_b16_e32 v40, 8, v38
	v_cmp_ne_u16_e32 vcc, 0, v40
	v_mov_b32_e32 v61, 0
	v_mov_b32_e32 v62, 0
	s_and_saveexec_b64 s[14:15], vcc
	s_cbranch_execz .LBB618_299
; %bb.294:                              ;   in Loop: Header=BB618_215 Depth=1
	v_cmp_ne_u16_e32 vcc, s9, v40
	v_bfrev_b32_e32 v62, 1
	s_and_saveexec_b64 s[16:17], vcc
	s_cbranch_execz .LBB618_298
; %bb.295:                              ;   in Loop: Header=BB618_215 Depth=1
	v_and_b32_e32 v42, 0x7f, v40
	v_cmp_ne_u32_e32 vcc, s21, v42
	v_mov_b32_e32 v62, 0x7f800001
	s_and_saveexec_b64 s[18:19], vcc
	s_cbranch_execz .LBB618_297
; %bb.296:                              ;   in Loop: Header=BB618_215 Depth=1
	v_and_b32_e32 v56, 7, v40
	v_ffbh_u32_e32 v62, v56
	v_min_u32_e32 v65, 32, v62
	v_subrev_u32_e32 v62, 28, v65
	v_lshlrev_b64 v[62:63], v62, v[40:41]
	v_lshrrev_b32_e32 v64, 3, v42
	v_sub_u32_e32 v40, 29, v65
	v_and_b32_e32 v62, 7, v62
	v_cmp_gt_u32_e32 vcc, 8, v42
	v_cndmask_b32_e32 v40, v64, v40, vcc
	v_cndmask_b32_e32 v42, v56, v62, vcc
	v_lshlrev_b32_e32 v56, 16, v38
	v_lshlrev_b32_e32 v42, 20, v42
	v_and_b32_e32 v56, 0x80000000, v56
	v_lshl_add_u32 v40, v40, 23, v55
	v_or3_b32 v62, v56, v40, v42
.LBB618_297:                            ;   in Loop: Header=BB618_215 Depth=1
	s_or_b64 exec, exec, s[18:19]
.LBB618_298:                            ;   in Loop: Header=BB618_215 Depth=1
	s_or_b64 exec, exec, s[16:17]
.LBB618_299:                            ;   in Loop: Header=BB618_215 Depth=1
	s_or_b64 exec, exec, s[14:15]
	v_lshrrev_b32_e32 v40, 16, v38
	v_cmp_ne_u16_sdwa s[16:17], v40, v54 src0_sel:BYTE_0 src1_sel:DWORD
	s_and_saveexec_b64 s[14:15], s[16:17]
	s_cbranch_execz .LBB618_305
; %bb.300:                              ;   in Loop: Header=BB618_215 Depth=1
	v_cmp_ne_u16_sdwa s[18:19], v40, s9 src0_sel:BYTE_0 src1_sel:DWORD
	v_bfrev_b32_e32 v61, 1
	s_and_saveexec_b64 s[16:17], s[18:19]
	s_cbranch_execz .LBB618_304
; %bb.301:                              ;   in Loop: Header=BB618_215 Depth=1
	v_bfe_u32 v42, v38, 16, 7
	v_cmp_ne_u32_e32 vcc, s21, v42
	v_mov_b32_e32 v61, 0x7f800001
	s_and_saveexec_b64 s[18:19], vcc
	s_cbranch_execz .LBB618_303
; %bb.302:                              ;   in Loop: Header=BB618_215 Depth=1
	v_and_b32_e32 v56, 7, v40
	v_ffbh_u32_e32 v63, v56
	v_min_u32_e32 v63, 32, v63
	v_subrev_u32_e32 v64, 28, v63
	v_lshlrev_b64 v[64:65], v64, v[40:41]
	v_lshrrev_b32_e32 v61, 3, v42
	v_sub_u32_e32 v63, 29, v63
	v_and_b32_e32 v64, 7, v64
	v_cmp_gt_u32_e32 vcc, 8, v42
	v_cndmask_b32_e32 v42, v61, v63, vcc
	v_cndmask_b32_e32 v56, v56, v64, vcc
	v_lshlrev_b32_e32 v40, 24, v40
	v_lshlrev_b32_e32 v56, 20, v56
	v_and_b32_e32 v40, 0x80000000, v40
	v_lshl_add_u32 v42, v42, 23, v55
	v_or3_b32 v61, v40, v42, v56
.LBB618_303:                            ;   in Loop: Header=BB618_215 Depth=1
	s_or_b64 exec, exec, s[18:19]
.LBB618_304:                            ;   in Loop: Header=BB618_215 Depth=1
	s_or_b64 exec, exec, s[16:17]
.LBB618_305:                            ;   in Loop: Header=BB618_215 Depth=1
	s_or_b64 exec, exec, s[14:15]
	v_cmp_lt_u32_e32 vcc, s22, v38
	v_mov_b32_e32 v56, 0
	v_mov_b32_e32 v63, 0
	s_and_saveexec_b64 s[14:15], vcc
	s_cbranch_execz .LBB618_311
; %bb.306:                              ;   in Loop: Header=BB618_215 Depth=1
	v_lshrrev_b32_e32 v40, 24, v38
	v_cmp_ne_u32_e32 vcc, s9, v40
	v_bfrev_b32_e32 v63, 1
	s_and_saveexec_b64 s[16:17], vcc
	s_cbranch_execz .LBB618_310
; %bb.307:                              ;   in Loop: Header=BB618_215 Depth=1
	v_bfe_u32 v38, v38, 24, 7
	v_cmp_ne_u32_e32 vcc, s21, v38
	v_mov_b32_e32 v63, 0x7f800001
	s_and_saveexec_b64 s[18:19], vcc
	s_cbranch_execz .LBB618_309
; %bb.308:                              ;   in Loop: Header=BB618_215 Depth=1
	v_and_b32_e32 v42, 7, v40
	v_ffbh_u32_e32 v64, v42
	v_min_u32_e32 v66, 32, v64
	v_subrev_u32_e32 v64, 28, v66
	v_lshlrev_b64 v[64:65], v64, v[40:41]
	v_lshrrev_b32_e32 v63, 3, v38
	v_sub_u32_e32 v65, 29, v66
	v_and_b32_e32 v64, 7, v64
	v_cmp_gt_u32_e32 vcc, 8, v38
	v_cndmask_b32_e32 v38, v63, v65, vcc
	v_cndmask_b32_e32 v42, v42, v64, vcc
	v_lshlrev_b32_e32 v40, 24, v40
	v_lshlrev_b32_e32 v42, 20, v42
	v_and_b32_e32 v40, 0x80000000, v40
	v_lshl_add_u32 v38, v38, 23, v55
	v_or3_b32 v63, v40, v38, v42
.LBB618_309:                            ;   in Loop: Header=BB618_215 Depth=1
	s_or_b64 exec, exec, s[18:19]
.LBB618_310:                            ;   in Loop: Header=BB618_215 Depth=1
	s_or_b64 exec, exec, s[16:17]
.LBB618_311:                            ;   in Loop: Header=BB618_215 Depth=1
	s_or_b64 exec, exec, s[14:15]
	v_cvt_pkrtz_f16_f32 v65, v44, v60
	buffer_load_dword v44, v46, s[0:3], 0 offen
	buffer_load_dword v42, v46, s[0:3], 0 offen offset:4
	buffer_load_dword v40, v46, s[0:3], 0 offen offset:8
	;; [unrolled: 1-line block ×3, first 2 shown]
	v_cvt_pkrtz_f16_f32 v64, v57, v58
	v_cvt_pkrtz_f16_f32 v58, v59, v62
	;; [unrolled: 1-line block ×3, first 2 shown]
	v_mfma_f32_16x16x16f16 v[34:37], v[64:65], v[6:7], v[34:37]
	s_waitcnt vmcnt(3)
	v_cmp_ne_u16_sdwa s[16:17], v44, v54 src0_sel:BYTE_0 src1_sel:DWORD
	v_mfma_f32_16x16x16f16 v[34:37], v[58:59], v[8:9], v[34:37]
	s_and_saveexec_b64 s[14:15], s[16:17]
	s_cbranch_execz .LBB618_317
; %bb.312:                              ;   in Loop: Header=BB618_215 Depth=1
	v_cmp_ne_u16_sdwa s[18:19], v44, s9 src0_sel:BYTE_0 src1_sel:DWORD
	v_bfrev_b32_e32 v56, 1
	s_and_saveexec_b64 s[16:17], s[18:19]
	s_cbranch_execz .LBB618_316
; %bb.313:                              ;   in Loop: Header=BB618_215 Depth=1
	v_and_b32_e32 v46, 0x7f, v44
	v_cmp_ne_u32_e32 vcc, s21, v46
	v_mov_b32_e32 v56, 0x7f800001
	s_and_saveexec_b64 s[18:19], vcc
	s_cbranch_execz .LBB618_315
; %bb.314:                              ;   in Loop: Header=BB618_215 Depth=1
	v_and_b32_e32 v58, 7, v44
	v_ffbh_u32_e32 v56, v58
	v_min_u32_e32 v60, 32, v56
	v_subrev_u32_e32 v56, 28, v60
	v_lshlrev_b64 v[56:57], v56, v[44:45]
	v_lshrrev_b32_e32 v59, 3, v46
	v_sub_u32_e32 v57, 29, v60
	v_and_b32_e32 v56, 7, v56
	v_cmp_gt_u32_e32 vcc, 8, v46
	v_cndmask_b32_e32 v46, v59, v57, vcc
	v_cndmask_b32_e32 v56, v58, v56, vcc
	v_lshlrev_b32_e32 v57, 24, v44
	v_lshlrev_b32_e32 v56, 20, v56
	v_and_b32_e32 v57, 0x80000000, v57
	v_lshl_add_u32 v46, v46, 23, v55
	v_or3_b32 v56, v57, v46, v56
.LBB618_315:                            ;   in Loop: Header=BB618_215 Depth=1
	s_or_b64 exec, exec, s[18:19]
.LBB618_316:                            ;   in Loop: Header=BB618_215 Depth=1
	s_or_b64 exec, exec, s[16:17]
.LBB618_317:                            ;   in Loop: Header=BB618_215 Depth=1
	s_or_b64 exec, exec, s[14:15]
	v_lshrrev_b16_e32 v46, 8, v44
	v_cmp_ne_u16_e32 vcc, 0, v46
	v_mov_b32_e32 v57, 0
	v_mov_b32_e32 v58, 0
	s_and_saveexec_b64 s[14:15], vcc
	s_cbranch_execz .LBB618_323
; %bb.318:                              ;   in Loop: Header=BB618_215 Depth=1
	v_cmp_ne_u16_e32 vcc, s9, v46
	v_bfrev_b32_e32 v58, 1
	s_and_saveexec_b64 s[16:17], vcc
	s_cbranch_execz .LBB618_322
; %bb.319:                              ;   in Loop: Header=BB618_215 Depth=1
	v_and_b32_e32 v59, 0x7f, v46
	v_cmp_ne_u32_e32 vcc, s21, v59
	v_mov_b32_e32 v58, 0x7f800001
	s_and_saveexec_b64 s[18:19], vcc
	s_cbranch_execz .LBB618_321
; %bb.320:                              ;   in Loop: Header=BB618_215 Depth=1
	v_and_b32_e32 v58, 7, v46
	v_ffbh_u32_e32 v60, v58
	v_min_u32_e32 v63, 32, v60
	v_subrev_u32_e32 v60, 28, v63
	v_lshlrev_b64 v[60:61], v60, v[46:47]
	v_lshrrev_b32_e32 v62, 3, v59
	v_sub_u32_e32 v46, 29, v63
	v_and_b32_e32 v60, 7, v60
	v_cmp_gt_u32_e32 vcc, 8, v59
	v_cndmask_b32_e32 v46, v62, v46, vcc
	v_cndmask_b32_e32 v58, v58, v60, vcc
	v_lshlrev_b32_e32 v59, 16, v44
	v_lshlrev_b32_e32 v58, 20, v58
	v_and_b32_e32 v59, 0x80000000, v59
	v_lshl_add_u32 v46, v46, 23, v55
	v_or3_b32 v58, v59, v46, v58
.LBB618_321:                            ;   in Loop: Header=BB618_215 Depth=1
	s_or_b64 exec, exec, s[18:19]
.LBB618_322:                            ;   in Loop: Header=BB618_215 Depth=1
	s_or_b64 exec, exec, s[16:17]
.LBB618_323:                            ;   in Loop: Header=BB618_215 Depth=1
	s_or_b64 exec, exec, s[14:15]
	v_lshrrev_b32_e32 v46, 16, v44
	v_cmp_ne_u16_sdwa s[16:17], v46, v54 src0_sel:BYTE_0 src1_sel:DWORD
	s_and_saveexec_b64 s[14:15], s[16:17]
	s_cbranch_execz .LBB618_329
; %bb.324:                              ;   in Loop: Header=BB618_215 Depth=1
	v_cmp_ne_u16_sdwa s[18:19], v46, s9 src0_sel:BYTE_0 src1_sel:DWORD
	v_bfrev_b32_e32 v57, 1
	s_and_saveexec_b64 s[16:17], s[18:19]
	s_cbranch_execz .LBB618_328
; %bb.325:                              ;   in Loop: Header=BB618_215 Depth=1
	v_bfe_u32 v59, v44, 16, 7
	v_cmp_ne_u32_e32 vcc, s21, v59
	v_mov_b32_e32 v57, 0x7f800001
	s_and_saveexec_b64 s[18:19], vcc
	s_cbranch_execz .LBB618_327
; %bb.326:                              ;   in Loop: Header=BB618_215 Depth=1
	v_and_b32_e32 v57, 7, v46
	v_ffbh_u32_e32 v60, v57
	v_min_u32_e32 v63, 32, v60
	v_subrev_u32_e32 v60, 28, v63
	v_lshlrev_b64 v[60:61], v60, v[46:47]
	v_lshrrev_b32_e32 v62, 3, v59
	v_sub_u32_e32 v61, 29, v63
	v_and_b32_e32 v60, 7, v60
	v_cmp_gt_u32_e32 vcc, 8, v59
	v_cndmask_b32_e32 v59, v62, v61, vcc
	v_cndmask_b32_e32 v57, v57, v60, vcc
	v_lshlrev_b32_e32 v46, 24, v46
	v_lshlrev_b32_e32 v57, 20, v57
	v_and_b32_e32 v46, 0x80000000, v46
	v_lshl_add_u32 v59, v59, 23, v55
	v_or3_b32 v57, v46, v59, v57
.LBB618_327:                            ;   in Loop: Header=BB618_215 Depth=1
	s_or_b64 exec, exec, s[18:19]
.LBB618_328:                            ;   in Loop: Header=BB618_215 Depth=1
	s_or_b64 exec, exec, s[16:17]
.LBB618_329:                            ;   in Loop: Header=BB618_215 Depth=1
	s_or_b64 exec, exec, s[14:15]
	v_cmp_lt_u32_e32 vcc, s22, v44
	v_mov_b32_e32 v59, 0
	v_mov_b32_e32 v60, 0
	s_and_saveexec_b64 s[14:15], vcc
	s_cbranch_execz .LBB618_335
; %bb.330:                              ;   in Loop: Header=BB618_215 Depth=1
	v_lshrrev_b32_e32 v46, 24, v44
	v_cmp_ne_u32_e32 vcc, s9, v46
	v_bfrev_b32_e32 v60, 1
	s_and_saveexec_b64 s[16:17], vcc
	s_cbranch_execz .LBB618_334
; %bb.331:                              ;   in Loop: Header=BB618_215 Depth=1
	v_bfe_u32 v44, v44, 24, 7
	v_cmp_ne_u32_e32 vcc, s21, v44
	v_mov_b32_e32 v60, 0x7f800001
	s_and_saveexec_b64 s[18:19], vcc
	s_cbranch_execz .LBB618_333
; %bb.332:                              ;   in Loop: Header=BB618_215 Depth=1
	v_and_b32_e32 v62, 7, v46
	v_ffbh_u32_e32 v60, v62
	v_min_u32_e32 v64, 32, v60
	v_subrev_u32_e32 v60, 28, v64
	v_lshlrev_b64 v[60:61], v60, v[46:47]
	v_lshrrev_b32_e32 v63, 3, v44
	v_sub_u32_e32 v61, 29, v64
	v_and_b32_e32 v60, 7, v60
	v_cmp_gt_u32_e32 vcc, 8, v44
	v_cndmask_b32_e32 v44, v63, v61, vcc
	v_cndmask_b32_e32 v60, v62, v60, vcc
	v_lshlrev_b32_e32 v46, 24, v46
	v_lshlrev_b32_e32 v60, 20, v60
	v_and_b32_e32 v46, 0x80000000, v46
	v_lshl_add_u32 v44, v44, 23, v55
	v_or3_b32 v60, v46, v44, v60
.LBB618_333:                            ;   in Loop: Header=BB618_215 Depth=1
	s_or_b64 exec, exec, s[18:19]
.LBB618_334:                            ;   in Loop: Header=BB618_215 Depth=1
	s_or_b64 exec, exec, s[16:17]
.LBB618_335:                            ;   in Loop: Header=BB618_215 Depth=1
	s_or_b64 exec, exec, s[14:15]
	s_waitcnt vmcnt(2)
	v_cmp_ne_u16_sdwa s[16:17], v42, v54 src0_sel:BYTE_0 src1_sel:DWORD
	s_and_saveexec_b64 s[14:15], s[16:17]
	s_cbranch_execz .LBB618_341
; %bb.336:                              ;   in Loop: Header=BB618_215 Depth=1
	v_cmp_ne_u16_sdwa s[18:19], v42, s9 src0_sel:BYTE_0 src1_sel:DWORD
	v_bfrev_b32_e32 v59, 1
	s_and_saveexec_b64 s[16:17], s[18:19]
	s_cbranch_execz .LBB618_340
; %bb.337:                              ;   in Loop: Header=BB618_215 Depth=1
	v_and_b32_e32 v44, 0x7f, v42
	v_cmp_ne_u32_e32 vcc, s21, v44
	v_mov_b32_e32 v59, 0x7f800001
	s_and_saveexec_b64 s[18:19], vcc
	s_cbranch_execz .LBB618_339
; %bb.338:                              ;   in Loop: Header=BB618_215 Depth=1
	v_and_b32_e32 v46, 7, v42
	v_ffbh_u32_e32 v61, v46
	v_min_u32_e32 v61, 32, v61
	v_subrev_u32_e32 v62, 28, v61
	v_lshlrev_b64 v[62:63], v62, v[42:43]
	v_lshrrev_b32_e32 v59, 3, v44
	v_sub_u32_e32 v61, 29, v61
	v_and_b32_e32 v62, 7, v62
	v_cmp_gt_u32_e32 vcc, 8, v44
	v_cndmask_b32_e32 v44, v59, v61, vcc
	v_cndmask_b32_e32 v46, v46, v62, vcc
	v_lshlrev_b32_e32 v59, 24, v42
	v_lshlrev_b32_e32 v46, 20, v46
	v_and_b32_e32 v59, 0x80000000, v59
	v_lshl_add_u32 v44, v44, 23, v55
	v_or3_b32 v59, v59, v44, v46
.LBB618_339:                            ;   in Loop: Header=BB618_215 Depth=1
	s_or_b64 exec, exec, s[18:19]
.LBB618_340:                            ;   in Loop: Header=BB618_215 Depth=1
	s_or_b64 exec, exec, s[16:17]
.LBB618_341:                            ;   in Loop: Header=BB618_215 Depth=1
	s_or_b64 exec, exec, s[14:15]
	v_lshrrev_b16_e32 v44, 8, v42
	v_cmp_ne_u16_e32 vcc, 0, v44
	v_mov_b32_e32 v61, 0
	v_mov_b32_e32 v62, 0
	s_and_saveexec_b64 s[14:15], vcc
	s_cbranch_execz .LBB618_347
; %bb.342:                              ;   in Loop: Header=BB618_215 Depth=1
	v_cmp_ne_u16_e32 vcc, s9, v44
	v_bfrev_b32_e32 v62, 1
	s_and_saveexec_b64 s[16:17], vcc
	s_cbranch_execz .LBB618_346
; %bb.343:                              ;   in Loop: Header=BB618_215 Depth=1
	v_and_b32_e32 v46, 0x7f, v44
	v_cmp_ne_u32_e32 vcc, s21, v46
	v_mov_b32_e32 v62, 0x7f800001
	s_and_saveexec_b64 s[18:19], vcc
	s_cbranch_execz .LBB618_345
; %bb.344:                              ;   in Loop: Header=BB618_215 Depth=1
	v_and_b32_e32 v64, 7, v44
	v_ffbh_u32_e32 v62, v64
	v_min_u32_e32 v66, 32, v62
	v_subrev_u32_e32 v62, 28, v66
	v_lshlrev_b64 v[62:63], v62, v[44:45]
	v_lshrrev_b32_e32 v65, 3, v46
	v_sub_u32_e32 v44, 29, v66
	v_and_b32_e32 v62, 7, v62
	v_cmp_gt_u32_e32 vcc, 8, v46
	v_cndmask_b32_e32 v44, v65, v44, vcc
	v_cndmask_b32_e32 v46, v64, v62, vcc
	v_lshlrev_b32_e32 v62, 16, v42
	v_lshlrev_b32_e32 v46, 20, v46
	v_and_b32_e32 v62, 0x80000000, v62
	v_lshl_add_u32 v44, v44, 23, v55
	v_or3_b32 v62, v62, v44, v46
.LBB618_345:                            ;   in Loop: Header=BB618_215 Depth=1
	s_or_b64 exec, exec, s[18:19]
.LBB618_346:                            ;   in Loop: Header=BB618_215 Depth=1
	s_or_b64 exec, exec, s[16:17]
.LBB618_347:                            ;   in Loop: Header=BB618_215 Depth=1
	s_or_b64 exec, exec, s[14:15]
	v_lshrrev_b32_e32 v44, 16, v42
	v_cmp_ne_u16_sdwa s[16:17], v44, v54 src0_sel:BYTE_0 src1_sel:DWORD
	s_and_saveexec_b64 s[14:15], s[16:17]
	s_cbranch_execz .LBB618_353
; %bb.348:                              ;   in Loop: Header=BB618_215 Depth=1
	v_cmp_ne_u16_sdwa s[18:19], v44, s9 src0_sel:BYTE_0 src1_sel:DWORD
	v_bfrev_b32_e32 v61, 1
	s_and_saveexec_b64 s[16:17], s[18:19]
	s_cbranch_execz .LBB618_352
; %bb.349:                              ;   in Loop: Header=BB618_215 Depth=1
	v_bfe_u32 v46, v42, 16, 7
	v_cmp_ne_u32_e32 vcc, s21, v46
	v_mov_b32_e32 v61, 0x7f800001
	s_and_saveexec_b64 s[18:19], vcc
	s_cbranch_execz .LBB618_351
; %bb.350:                              ;   in Loop: Header=BB618_215 Depth=1
	v_and_b32_e32 v61, 7, v44
	v_ffbh_u32_e32 v64, v61
	v_min_u32_e32 v66, 32, v64
	v_subrev_u32_e32 v64, 28, v66
	v_lshlrev_b64 v[64:65], v64, v[44:45]
	v_lshrrev_b32_e32 v63, 3, v46
	v_sub_u32_e32 v65, 29, v66
	v_and_b32_e32 v64, 7, v64
	v_cmp_gt_u32_e32 vcc, 8, v46
	v_cndmask_b32_e32 v46, v63, v65, vcc
	v_cndmask_b32_e32 v61, v61, v64, vcc
	v_lshlrev_b32_e32 v44, 24, v44
	v_lshlrev_b32_e32 v61, 20, v61
	v_and_b32_e32 v44, 0x80000000, v44
	v_lshl_add_u32 v46, v46, 23, v55
	v_or3_b32 v61, v44, v46, v61
.LBB618_351:                            ;   in Loop: Header=BB618_215 Depth=1
	s_or_b64 exec, exec, s[18:19]
.LBB618_352:                            ;   in Loop: Header=BB618_215 Depth=1
	s_or_b64 exec, exec, s[16:17]
.LBB618_353:                            ;   in Loop: Header=BB618_215 Depth=1
	s_or_b64 exec, exec, s[14:15]
	v_cmp_lt_u32_e32 vcc, s22, v42
	v_mov_b32_e32 v46, 0
	v_mov_b32_e32 v63, 0
	s_and_saveexec_b64 s[14:15], vcc
	s_cbranch_execz .LBB618_359
; %bb.354:                              ;   in Loop: Header=BB618_215 Depth=1
	v_lshrrev_b32_e32 v44, 24, v42
	v_cmp_ne_u32_e32 vcc, s9, v44
	v_bfrev_b32_e32 v63, 1
	s_and_saveexec_b64 s[16:17], vcc
	s_cbranch_execz .LBB618_358
; %bb.355:                              ;   in Loop: Header=BB618_215 Depth=1
	v_bfe_u32 v42, v42, 24, 7
	v_cmp_ne_u32_e32 vcc, s21, v42
	v_mov_b32_e32 v63, 0x7f800001
	s_and_saveexec_b64 s[18:19], vcc
	s_cbranch_execz .LBB618_357
; %bb.356:                              ;   in Loop: Header=BB618_215 Depth=1
	v_and_b32_e32 v63, 7, v44
	v_ffbh_u32_e32 v64, v63
	v_min_u32_e32 v67, 32, v64
	v_subrev_u32_e32 v64, 28, v67
	v_lshlrev_b64 v[64:65], v64, v[44:45]
	v_lshrrev_b32_e32 v66, 3, v42
	v_sub_u32_e32 v65, 29, v67
	v_and_b32_e32 v64, 7, v64
	v_cmp_gt_u32_e32 vcc, 8, v42
	v_cndmask_b32_e32 v42, v66, v65, vcc
	v_cndmask_b32_e32 v63, v63, v64, vcc
	v_lshlrev_b32_e32 v44, 24, v44
	v_lshlrev_b32_e32 v63, 20, v63
	v_and_b32_e32 v44, 0x80000000, v44
	v_lshl_add_u32 v42, v42, 23, v55
	v_or3_b32 v63, v44, v42, v63
.LBB618_357:                            ;   in Loop: Header=BB618_215 Depth=1
	s_or_b64 exec, exec, s[18:19]
.LBB618_358:                            ;   in Loop: Header=BB618_215 Depth=1
	s_or_b64 exec, exec, s[16:17]
.LBB618_359:                            ;   in Loop: Header=BB618_215 Depth=1
	s_or_b64 exec, exec, s[14:15]
	v_cvt_pkrtz_f16_f32 v56, v56, v58
	v_cvt_pkrtz_f16_f32 v57, v57, v60
	s_waitcnt vmcnt(1)
	v_cmp_ne_u16_sdwa s[16:17], v40, v54 src0_sel:BYTE_0 src1_sel:DWORD
	v_mfma_f32_16x16x16f16 v[34:37], v[56:57], v[10:11], v[34:37]
	v_cvt_pkrtz_f16_f32 v56, v59, v62
	v_cvt_pkrtz_f16_f32 v57, v61, v63
	s_nop 1
	v_mfma_f32_16x16x16f16 v[34:37], v[56:57], v[12:13], v[34:37]
	s_and_saveexec_b64 s[14:15], s[16:17]
	s_cbranch_execz .LBB618_365
; %bb.360:                              ;   in Loop: Header=BB618_215 Depth=1
	v_cmp_ne_u16_sdwa s[18:19], v40, s9 src0_sel:BYTE_0 src1_sel:DWORD
	v_bfrev_b32_e32 v46, 1
	s_and_saveexec_b64 s[16:17], s[18:19]
	s_cbranch_execz .LBB618_364
; %bb.361:                              ;   in Loop: Header=BB618_215 Depth=1
	v_and_b32_e32 v42, 0x7f, v40
	v_cmp_ne_u32_e32 vcc, s21, v42
	v_mov_b32_e32 v46, 0x7f800001
	s_and_saveexec_b64 s[18:19], vcc
	s_cbranch_execz .LBB618_363
; %bb.362:                              ;   in Loop: Header=BB618_215 Depth=1
	v_and_b32_e32 v44, 7, v40
	v_ffbh_u32_e32 v56, v44
	v_min_u32_e32 v58, 32, v56
	v_subrev_u32_e32 v56, 28, v58
	v_lshlrev_b64 v[56:57], v56, v[40:41]
	v_lshrrev_b32_e32 v46, 3, v42
	v_sub_u32_e32 v57, 29, v58
	v_and_b32_e32 v56, 7, v56
	v_cmp_gt_u32_e32 vcc, 8, v42
	v_cndmask_b32_e32 v42, v46, v57, vcc
	v_cndmask_b32_e32 v44, v44, v56, vcc
	v_lshlrev_b32_e32 v46, 24, v40
	v_lshlrev_b32_e32 v44, 20, v44
	v_and_b32_e32 v46, 0x80000000, v46
	v_lshl_add_u32 v42, v42, 23, v55
	v_or3_b32 v46, v46, v42, v44
.LBB618_363:                            ;   in Loop: Header=BB618_215 Depth=1
	s_or_b64 exec, exec, s[18:19]
.LBB618_364:                            ;   in Loop: Header=BB618_215 Depth=1
	s_or_b64 exec, exec, s[16:17]
.LBB618_365:                            ;   in Loop: Header=BB618_215 Depth=1
	s_or_b64 exec, exec, s[14:15]
	v_lshrrev_b16_e32 v42, 8, v40
	v_cmp_ne_u16_e32 vcc, 0, v42
	v_mov_b32_e32 v44, 0
	v_mov_b32_e32 v57, 0
	s_and_saveexec_b64 s[14:15], vcc
	s_cbranch_execz .LBB618_371
; %bb.366:                              ;   in Loop: Header=BB618_215 Depth=1
	v_cmp_ne_u16_e32 vcc, s9, v42
	v_bfrev_b32_e32 v57, 1
	s_and_saveexec_b64 s[16:17], vcc
	s_cbranch_execz .LBB618_370
; %bb.367:                              ;   in Loop: Header=BB618_215 Depth=1
	v_and_b32_e32 v56, 0x7f, v42
	v_cmp_ne_u32_e32 vcc, s21, v56
	v_mov_b32_e32 v57, 0x7f800001
	s_and_saveexec_b64 s[18:19], vcc
	s_cbranch_execz .LBB618_369
; %bb.368:                              ;   in Loop: Header=BB618_215 Depth=1
	v_and_b32_e32 v57, 7, v42
	v_ffbh_u32_e32 v58, v57
	v_min_u32_e32 v61, 32, v58
	v_subrev_u32_e32 v58, 28, v61
	v_lshlrev_b64 v[58:59], v58, v[42:43]
	v_lshrrev_b32_e32 v60, 3, v56
	v_sub_u32_e32 v42, 29, v61
	v_and_b32_e32 v58, 7, v58
	v_cmp_gt_u32_e32 vcc, 8, v56
	v_cndmask_b32_e32 v42, v60, v42, vcc
	v_cndmask_b32_e32 v56, v57, v58, vcc
	v_lshlrev_b32_e32 v57, 16, v40
	v_lshlrev_b32_e32 v56, 20, v56
	v_and_b32_e32 v57, 0x80000000, v57
	v_lshl_add_u32 v42, v42, 23, v55
	v_or3_b32 v57, v57, v42, v56
.LBB618_369:                            ;   in Loop: Header=BB618_215 Depth=1
	s_or_b64 exec, exec, s[18:19]
.LBB618_370:                            ;   in Loop: Header=BB618_215 Depth=1
	s_or_b64 exec, exec, s[16:17]
.LBB618_371:                            ;   in Loop: Header=BB618_215 Depth=1
	s_or_b64 exec, exec, s[14:15]
	v_lshrrev_b32_e32 v42, 16, v40
	v_cmp_ne_u16_sdwa s[16:17], v42, v54 src0_sel:BYTE_0 src1_sel:DWORD
	s_and_saveexec_b64 s[14:15], s[16:17]
	s_cbranch_execz .LBB618_377
; %bb.372:                              ;   in Loop: Header=BB618_215 Depth=1
	v_cmp_ne_u16_sdwa s[18:19], v42, s9 src0_sel:BYTE_0 src1_sel:DWORD
	v_bfrev_b32_e32 v44, 1
	s_and_saveexec_b64 s[16:17], s[18:19]
	s_cbranch_execz .LBB618_376
; %bb.373:                              ;   in Loop: Header=BB618_215 Depth=1
	v_bfe_u32 v56, v40, 16, 7
	v_cmp_ne_u32_e32 vcc, s21, v56
	v_mov_b32_e32 v44, 0x7f800001
	s_and_saveexec_b64 s[18:19], vcc
	s_cbranch_execz .LBB618_375
; %bb.374:                              ;   in Loop: Header=BB618_215 Depth=1
	v_and_b32_e32 v44, 7, v42
	v_ffbh_u32_e32 v58, v44
	v_min_u32_e32 v61, 32, v58
	v_subrev_u32_e32 v58, 28, v61
	v_lshlrev_b64 v[58:59], v58, v[42:43]
	v_lshrrev_b32_e32 v60, 3, v56
	v_sub_u32_e32 v59, 29, v61
	v_and_b32_e32 v58, 7, v58
	v_cmp_gt_u32_e32 vcc, 8, v56
	v_cndmask_b32_e32 v56, v60, v59, vcc
	v_cndmask_b32_e32 v44, v44, v58, vcc
	v_lshlrev_b32_e32 v42, 24, v42
	v_lshlrev_b32_e32 v44, 20, v44
	v_and_b32_e32 v42, 0x80000000, v42
	v_lshl_add_u32 v56, v56, 23, v55
	v_or3_b32 v44, v42, v56, v44
.LBB618_375:                            ;   in Loop: Header=BB618_215 Depth=1
	s_or_b64 exec, exec, s[18:19]
.LBB618_376:                            ;   in Loop: Header=BB618_215 Depth=1
	s_or_b64 exec, exec, s[16:17]
.LBB618_377:                            ;   in Loop: Header=BB618_215 Depth=1
	s_or_b64 exec, exec, s[14:15]
	v_cmp_lt_u32_e32 vcc, s22, v40
	v_mov_b32_e32 v58, 0
	v_mov_b32_e32 v59, 0
	s_and_saveexec_b64 s[14:15], vcc
	s_cbranch_execz .LBB618_383
; %bb.378:                              ;   in Loop: Header=BB618_215 Depth=1
	v_lshrrev_b32_e32 v42, 24, v40
	v_cmp_ne_u32_e32 vcc, s9, v42
	v_bfrev_b32_e32 v59, 1
	s_and_saveexec_b64 s[16:17], vcc
	s_cbranch_execz .LBB618_382
; %bb.379:                              ;   in Loop: Header=BB618_215 Depth=1
	v_bfe_u32 v40, v40, 24, 7
	v_cmp_ne_u32_e32 vcc, s21, v40
	v_mov_b32_e32 v59, 0x7f800001
	s_and_saveexec_b64 s[18:19], vcc
	s_cbranch_execz .LBB618_381
; %bb.380:                              ;   in Loop: Header=BB618_215 Depth=1
	v_and_b32_e32 v56, 7, v42
	v_ffbh_u32_e32 v60, v56
	v_min_u32_e32 v62, 32, v60
	v_subrev_u32_e32 v60, 28, v62
	v_lshlrev_b64 v[60:61], v60, v[42:43]
	v_lshrrev_b32_e32 v59, 3, v40
	v_sub_u32_e32 v61, 29, v62
	v_and_b32_e32 v60, 7, v60
	v_cmp_gt_u32_e32 vcc, 8, v40
	v_cndmask_b32_e32 v40, v59, v61, vcc
	v_cndmask_b32_e32 v56, v56, v60, vcc
	v_lshlrev_b32_e32 v42, 24, v42
	v_lshlrev_b32_e32 v56, 20, v56
	v_and_b32_e32 v42, 0x80000000, v42
	v_lshl_add_u32 v40, v40, 23, v55
	v_or3_b32 v59, v42, v40, v56
.LBB618_381:                            ;   in Loop: Header=BB618_215 Depth=1
	s_or_b64 exec, exec, s[18:19]
.LBB618_382:                            ;   in Loop: Header=BB618_215 Depth=1
	s_or_b64 exec, exec, s[16:17]
.LBB618_383:                            ;   in Loop: Header=BB618_215 Depth=1
	s_or_b64 exec, exec, s[14:15]
	s_waitcnt vmcnt(0)
	v_cmp_ne_u16_sdwa s[16:17], v38, v54 src0_sel:BYTE_0 src1_sel:DWORD
	s_and_saveexec_b64 s[14:15], s[16:17]
	s_cbranch_execz .LBB618_389
; %bb.384:                              ;   in Loop: Header=BB618_215 Depth=1
	v_cmp_ne_u16_sdwa s[18:19], v38, s9 src0_sel:BYTE_0 src1_sel:DWORD
	v_bfrev_b32_e32 v58, 1
	s_and_saveexec_b64 s[16:17], s[18:19]
	s_cbranch_execz .LBB618_388
; %bb.385:                              ;   in Loop: Header=BB618_215 Depth=1
	v_and_b32_e32 v40, 0x7f, v38
	v_cmp_ne_u32_e32 vcc, s21, v40
	v_mov_b32_e32 v58, 0x7f800001
	s_and_saveexec_b64 s[18:19], vcc
	s_cbranch_execz .LBB618_387
; %bb.386:                              ;   in Loop: Header=BB618_215 Depth=1
	v_and_b32_e32 v42, 7, v38
	v_ffbh_u32_e32 v58, v42
	v_min_u32_e32 v58, 32, v58
	v_subrev_u32_e32 v60, 28, v58
	v_lshlrev_b64 v[60:61], v60, v[38:39]
	v_lshrrev_b32_e32 v56, 3, v40
	v_sub_u32_e32 v58, 29, v58
	v_and_b32_e32 v60, 7, v60
	v_cmp_gt_u32_e32 vcc, 8, v40
	v_cndmask_b32_e32 v40, v56, v58, vcc
	v_cndmask_b32_e32 v42, v42, v60, vcc
	v_lshlrev_b32_e32 v56, 24, v38
	v_lshlrev_b32_e32 v42, 20, v42
	v_and_b32_e32 v56, 0x80000000, v56
	v_lshl_add_u32 v40, v40, 23, v55
	v_or3_b32 v58, v56, v40, v42
.LBB618_387:                            ;   in Loop: Header=BB618_215 Depth=1
	s_or_b64 exec, exec, s[18:19]
.LBB618_388:                            ;   in Loop: Header=BB618_215 Depth=1
	s_or_b64 exec, exec, s[16:17]
.LBB618_389:                            ;   in Loop: Header=BB618_215 Depth=1
	s_or_b64 exec, exec, s[14:15]
	v_lshrrev_b16_e32 v40, 8, v38
	v_cmp_ne_u16_e32 vcc, 0, v40
	v_mov_b32_e32 v60, 0
	v_mov_b32_e32 v61, 0
	s_and_saveexec_b64 s[14:15], vcc
	s_cbranch_execz .LBB618_395
; %bb.390:                              ;   in Loop: Header=BB618_215 Depth=1
	v_cmp_ne_u16_e32 vcc, s9, v40
	v_bfrev_b32_e32 v61, 1
	s_and_saveexec_b64 s[16:17], vcc
	s_cbranch_execz .LBB618_394
; %bb.391:                              ;   in Loop: Header=BB618_215 Depth=1
	v_and_b32_e32 v42, 0x7f, v40
	v_cmp_ne_u32_e32 vcc, s21, v42
	v_mov_b32_e32 v61, 0x7f800001
	s_and_saveexec_b64 s[18:19], vcc
	s_cbranch_execz .LBB618_393
; %bb.392:                              ;   in Loop: Header=BB618_215 Depth=1
	v_and_b32_e32 v56, 7, v40
	v_ffbh_u32_e32 v62, v56
	v_min_u32_e32 v64, 32, v62
	v_subrev_u32_e32 v62, 28, v64
	v_lshlrev_b64 v[62:63], v62, v[40:41]
	v_lshrrev_b32_e32 v61, 3, v42
	v_sub_u32_e32 v40, 29, v64
	v_and_b32_e32 v62, 7, v62
	v_cmp_gt_u32_e32 vcc, 8, v42
	v_cndmask_b32_e32 v40, v61, v40, vcc
	v_cndmask_b32_e32 v42, v56, v62, vcc
	v_lshlrev_b32_e32 v56, 16, v38
	v_lshlrev_b32_e32 v42, 20, v42
	v_and_b32_e32 v56, 0x80000000, v56
	v_lshl_add_u32 v40, v40, 23, v55
	v_or3_b32 v61, v56, v40, v42
.LBB618_393:                            ;   in Loop: Header=BB618_215 Depth=1
	s_or_b64 exec, exec, s[18:19]
.LBB618_394:                            ;   in Loop: Header=BB618_215 Depth=1
	s_or_b64 exec, exec, s[16:17]
.LBB618_395:                            ;   in Loop: Header=BB618_215 Depth=1
	s_or_b64 exec, exec, s[14:15]
	v_lshrrev_b32_e32 v40, 16, v38
	v_cmp_ne_u16_sdwa s[16:17], v40, v54 src0_sel:BYTE_0 src1_sel:DWORD
	s_and_saveexec_b64 s[14:15], s[16:17]
	s_cbranch_execz .LBB618_401
; %bb.396:                              ;   in Loop: Header=BB618_215 Depth=1
	v_cmp_ne_u16_sdwa s[18:19], v40, s9 src0_sel:BYTE_0 src1_sel:DWORD
	v_bfrev_b32_e32 v60, 1
	s_and_saveexec_b64 s[16:17], s[18:19]
	s_cbranch_execz .LBB618_400
; %bb.397:                              ;   in Loop: Header=BB618_215 Depth=1
	v_bfe_u32 v42, v38, 16, 7
	v_cmp_ne_u32_e32 vcc, s21, v42
	v_mov_b32_e32 v60, 0x7f800001
	s_and_saveexec_b64 s[18:19], vcc
	s_cbranch_execz .LBB618_399
; %bb.398:                              ;   in Loop: Header=BB618_215 Depth=1
	v_and_b32_e32 v56, 7, v40
	v_ffbh_u32_e32 v62, v56
	v_min_u32_e32 v64, 32, v62
	v_subrev_u32_e32 v62, 28, v64
	v_lshlrev_b64 v[62:63], v62, v[40:41]
	v_lshrrev_b32_e32 v60, 3, v42
	v_sub_u32_e32 v63, 29, v64
	v_and_b32_e32 v62, 7, v62
	v_cmp_gt_u32_e32 vcc, 8, v42
	v_cndmask_b32_e32 v42, v60, v63, vcc
	v_cndmask_b32_e32 v56, v56, v62, vcc
	v_lshlrev_b32_e32 v40, 24, v40
	v_lshlrev_b32_e32 v56, 20, v56
	v_and_b32_e32 v40, 0x80000000, v40
	v_lshl_add_u32 v42, v42, 23, v55
	v_or3_b32 v60, v40, v42, v56
.LBB618_399:                            ;   in Loop: Header=BB618_215 Depth=1
	s_or_b64 exec, exec, s[18:19]
.LBB618_400:                            ;   in Loop: Header=BB618_215 Depth=1
	s_or_b64 exec, exec, s[16:17]
.LBB618_401:                            ;   in Loop: Header=BB618_215 Depth=1
	s_or_b64 exec, exec, s[14:15]
	v_cmp_lt_u32_e32 vcc, s22, v38
	v_mov_b32_e32 v56, 0
	v_mov_b32_e32 v62, 0
	s_and_saveexec_b64 s[14:15], vcc
	s_cbranch_execz .LBB618_407
; %bb.402:                              ;   in Loop: Header=BB618_215 Depth=1
	v_lshrrev_b32_e32 v40, 24, v38
	v_cmp_ne_u32_e32 vcc, s9, v40
	v_bfrev_b32_e32 v62, 1
	s_and_saveexec_b64 s[16:17], vcc
	s_cbranch_execz .LBB618_406
; %bb.403:                              ;   in Loop: Header=BB618_215 Depth=1
	v_bfe_u32 v38, v38, 24, 7
	v_cmp_ne_u32_e32 vcc, s21, v38
	v_mov_b32_e32 v62, 0x7f800001
	s_and_saveexec_b64 s[18:19], vcc
	s_cbranch_execz .LBB618_405
; %bb.404:                              ;   in Loop: Header=BB618_215 Depth=1
	v_and_b32_e32 v42, 7, v40
	v_ffbh_u32_e32 v62, v42
	v_min_u32_e32 v65, 32, v62
	v_subrev_u32_e32 v62, 28, v65
	v_lshlrev_b64 v[62:63], v62, v[40:41]
	v_lshrrev_b32_e32 v64, 3, v38
	v_sub_u32_e32 v63, 29, v65
	v_and_b32_e32 v62, 7, v62
	v_cmp_gt_u32_e32 vcc, 8, v38
	v_cndmask_b32_e32 v38, v64, v63, vcc
	v_cndmask_b32_e32 v42, v42, v62, vcc
	v_lshlrev_b32_e32 v40, 24, v40
	v_lshlrev_b32_e32 v42, 20, v42
	v_and_b32_e32 v40, 0x80000000, v40
	v_lshl_add_u32 v38, v38, 23, v55
	v_or3_b32 v62, v40, v38, v42
.LBB618_405:                            ;   in Loop: Header=BB618_215 Depth=1
	s_or_b64 exec, exec, s[18:19]
.LBB618_406:                            ;   in Loop: Header=BB618_215 Depth=1
	s_or_b64 exec, exec, s[16:17]
.LBB618_407:                            ;   in Loop: Header=BB618_215 Depth=1
	s_or_b64 exec, exec, s[14:15]
	v_cvt_pkrtz_f16_f32 v65, v44, v59
	buffer_load_dword v44, v51, s[0:3], 0 offen
	buffer_load_dword v42, v51, s[0:3], 0 offen offset:4
	buffer_load_dword v40, v51, s[0:3], 0 offen offset:8
	;; [unrolled: 1-line block ×3, first 2 shown]
	v_cvt_pkrtz_f16_f32 v64, v46, v57
	v_cvt_pkrtz_f16_f32 v58, v58, v61
	;; [unrolled: 1-line block ×3, first 2 shown]
	v_mfma_f32_16x16x16f16 v[34:37], v[64:65], v[14:15], v[34:37]
	s_waitcnt vmcnt(3)
	v_cmp_ne_u16_sdwa s[16:17], v44, v54 src0_sel:BYTE_0 src1_sel:DWORD
	v_mfma_f32_16x16x16f16 v[34:37], v[58:59], v[16:17], v[34:37]
	s_and_saveexec_b64 s[14:15], s[16:17]
	s_cbranch_execz .LBB618_413
; %bb.408:                              ;   in Loop: Header=BB618_215 Depth=1
	v_cmp_ne_u16_sdwa s[18:19], v44, s9 src0_sel:BYTE_0 src1_sel:DWORD
	v_bfrev_b32_e32 v56, 1
	s_and_saveexec_b64 s[16:17], s[18:19]
	s_cbranch_execz .LBB618_412
; %bb.409:                              ;   in Loop: Header=BB618_215 Depth=1
	v_and_b32_e32 v46, 0x7f, v44
	v_cmp_ne_u32_e32 vcc, s21, v46
	v_mov_b32_e32 v56, 0x7f800001
	s_and_saveexec_b64 s[18:19], vcc
	s_cbranch_execz .LBB618_411
; %bb.410:                              ;   in Loop: Header=BB618_215 Depth=1
	v_and_b32_e32 v51, 7, v44
	v_ffbh_u32_e32 v56, v51
	v_min_u32_e32 v59, 32, v56
	v_subrev_u32_e32 v56, 28, v59
	v_lshlrev_b64 v[56:57], v56, v[44:45]
	v_lshrrev_b32_e32 v58, 3, v46
	v_sub_u32_e32 v57, 29, v59
	v_and_b32_e32 v56, 7, v56
	v_cmp_gt_u32_e32 vcc, 8, v46
	v_cndmask_b32_e32 v46, v58, v57, vcc
	v_cndmask_b32_e32 v51, v51, v56, vcc
	v_lshlrev_b32_e32 v56, 24, v44
	v_lshlrev_b32_e32 v51, 20, v51
	v_and_b32_e32 v56, 0x80000000, v56
	v_lshl_add_u32 v46, v46, 23, v55
	v_or3_b32 v56, v56, v46, v51
.LBB618_411:                            ;   in Loop: Header=BB618_215 Depth=1
	s_or_b64 exec, exec, s[18:19]
.LBB618_412:                            ;   in Loop: Header=BB618_215 Depth=1
	s_or_b64 exec, exec, s[16:17]
.LBB618_413:                            ;   in Loop: Header=BB618_215 Depth=1
	s_or_b64 exec, exec, s[14:15]
	v_lshrrev_b16_e32 v46, 8, v44
	v_cmp_ne_u16_e32 vcc, 0, v46
	v_mov_b32_e32 v51, 0
	v_mov_b32_e32 v57, 0
	s_and_saveexec_b64 s[14:15], vcc
	s_cbranch_execz .LBB618_419
; %bb.414:                              ;   in Loop: Header=BB618_215 Depth=1
	v_cmp_ne_u16_e32 vcc, s9, v46
	v_bfrev_b32_e32 v57, 1
	s_and_saveexec_b64 s[16:17], vcc
	s_cbranch_execz .LBB618_418
; %bb.415:                              ;   in Loop: Header=BB618_215 Depth=1
	v_and_b32_e32 v58, 0x7f, v46
	v_cmp_ne_u32_e32 vcc, s21, v58
	v_mov_b32_e32 v57, 0x7f800001
	s_and_saveexec_b64 s[18:19], vcc
	s_cbranch_execz .LBB618_417
; %bb.416:                              ;   in Loop: Header=BB618_215 Depth=1
	v_and_b32_e32 v57, 7, v46
	v_ffbh_u32_e32 v60, v57
	v_min_u32_e32 v62, 32, v60
	v_subrev_u32_e32 v60, 28, v62
	v_lshlrev_b64 v[60:61], v60, v[46:47]
	v_lshrrev_b32_e32 v59, 3, v58
	v_sub_u32_e32 v46, 29, v62
	v_and_b32_e32 v60, 7, v60
	v_cmp_gt_u32_e32 vcc, 8, v58
	v_cndmask_b32_e32 v46, v59, v46, vcc
	v_cndmask_b32_e32 v57, v57, v60, vcc
	v_lshlrev_b32_e32 v58, 16, v44
	v_lshlrev_b32_e32 v57, 20, v57
	v_and_b32_e32 v58, 0x80000000, v58
	v_lshl_add_u32 v46, v46, 23, v55
	v_or3_b32 v57, v58, v46, v57
.LBB618_417:                            ;   in Loop: Header=BB618_215 Depth=1
	s_or_b64 exec, exec, s[18:19]
.LBB618_418:                            ;   in Loop: Header=BB618_215 Depth=1
	s_or_b64 exec, exec, s[16:17]
.LBB618_419:                            ;   in Loop: Header=BB618_215 Depth=1
	s_or_b64 exec, exec, s[14:15]
	v_lshrrev_b32_e32 v46, 16, v44
	v_cmp_ne_u16_sdwa s[16:17], v46, v54 src0_sel:BYTE_0 src1_sel:DWORD
	s_and_saveexec_b64 s[14:15], s[16:17]
	s_cbranch_execz .LBB618_425
; %bb.420:                              ;   in Loop: Header=BB618_215 Depth=1
	v_cmp_ne_u16_sdwa s[18:19], v46, s9 src0_sel:BYTE_0 src1_sel:DWORD
	v_bfrev_b32_e32 v51, 1
	s_and_saveexec_b64 s[16:17], s[18:19]
	s_cbranch_execz .LBB618_424
; %bb.421:                              ;   in Loop: Header=BB618_215 Depth=1
	v_bfe_u32 v58, v44, 16, 7
	v_cmp_ne_u32_e32 vcc, s21, v58
	v_mov_b32_e32 v51, 0x7f800001
	s_and_saveexec_b64 s[18:19], vcc
	s_cbranch_execz .LBB618_423
; %bb.422:                              ;   in Loop: Header=BB618_215 Depth=1
	v_and_b32_e32 v51, 7, v46
	v_ffbh_u32_e32 v60, v51
	v_min_u32_e32 v62, 32, v60
	v_subrev_u32_e32 v60, 28, v62
	v_lshlrev_b64 v[60:61], v60, v[46:47]
	v_lshrrev_b32_e32 v59, 3, v58
	v_sub_u32_e32 v61, 29, v62
	v_and_b32_e32 v60, 7, v60
	v_cmp_gt_u32_e32 vcc, 8, v58
	v_cndmask_b32_e32 v58, v59, v61, vcc
	v_cndmask_b32_e32 v51, v51, v60, vcc
	v_lshlrev_b32_e32 v46, 24, v46
	v_lshlrev_b32_e32 v51, 20, v51
	v_and_b32_e32 v46, 0x80000000, v46
	v_lshl_add_u32 v58, v58, 23, v55
	v_or3_b32 v51, v46, v58, v51
.LBB618_423:                            ;   in Loop: Header=BB618_215 Depth=1
	s_or_b64 exec, exec, s[18:19]
.LBB618_424:                            ;   in Loop: Header=BB618_215 Depth=1
	s_or_b64 exec, exec, s[16:17]
.LBB618_425:                            ;   in Loop: Header=BB618_215 Depth=1
	s_or_b64 exec, exec, s[14:15]
	v_cmp_lt_u32_e32 vcc, s22, v44
	v_mov_b32_e32 v58, 0
	v_mov_b32_e32 v59, 0
	s_and_saveexec_b64 s[14:15], vcc
	s_cbranch_execz .LBB618_431
; %bb.426:                              ;   in Loop: Header=BB618_215 Depth=1
	v_lshrrev_b32_e32 v46, 24, v44
	v_cmp_ne_u32_e32 vcc, s9, v46
	v_bfrev_b32_e32 v59, 1
	s_and_saveexec_b64 s[16:17], vcc
	s_cbranch_execz .LBB618_430
; %bb.427:                              ;   in Loop: Header=BB618_215 Depth=1
	v_bfe_u32 v44, v44, 24, 7
	v_cmp_ne_u32_e32 vcc, s21, v44
	v_mov_b32_e32 v59, 0x7f800001
	s_and_saveexec_b64 s[18:19], vcc
	s_cbranch_execz .LBB618_429
; %bb.428:                              ;   in Loop: Header=BB618_215 Depth=1
	v_and_b32_e32 v59, 7, v46
	v_ffbh_u32_e32 v60, v59
	v_min_u32_e32 v63, 32, v60
	v_subrev_u32_e32 v60, 28, v63
	v_lshlrev_b64 v[60:61], v60, v[46:47]
	v_lshrrev_b32_e32 v62, 3, v44
	v_sub_u32_e32 v61, 29, v63
	v_and_b32_e32 v60, 7, v60
	v_cmp_gt_u32_e32 vcc, 8, v44
	v_cndmask_b32_e32 v44, v62, v61, vcc
	v_cndmask_b32_e32 v59, v59, v60, vcc
	v_lshlrev_b32_e32 v46, 24, v46
	v_lshlrev_b32_e32 v59, 20, v59
	v_and_b32_e32 v46, 0x80000000, v46
	v_lshl_add_u32 v44, v44, 23, v55
	v_or3_b32 v59, v46, v44, v59
.LBB618_429:                            ;   in Loop: Header=BB618_215 Depth=1
	s_or_b64 exec, exec, s[18:19]
.LBB618_430:                            ;   in Loop: Header=BB618_215 Depth=1
	s_or_b64 exec, exec, s[16:17]
.LBB618_431:                            ;   in Loop: Header=BB618_215 Depth=1
	s_or_b64 exec, exec, s[14:15]
	s_waitcnt vmcnt(2)
	v_cmp_ne_u16_sdwa s[16:17], v42, v54 src0_sel:BYTE_0 src1_sel:DWORD
	s_and_saveexec_b64 s[14:15], s[16:17]
	s_cbranch_execz .LBB618_437
; %bb.432:                              ;   in Loop: Header=BB618_215 Depth=1
	v_cmp_ne_u16_sdwa s[18:19], v42, s9 src0_sel:BYTE_0 src1_sel:DWORD
	v_bfrev_b32_e32 v58, 1
	s_and_saveexec_b64 s[16:17], s[18:19]
	s_cbranch_execz .LBB618_436
; %bb.433:                              ;   in Loop: Header=BB618_215 Depth=1
	v_and_b32_e32 v44, 0x7f, v42
	v_cmp_ne_u32_e32 vcc, s21, v44
	v_mov_b32_e32 v58, 0x7f800001
	s_and_saveexec_b64 s[18:19], vcc
	s_cbranch_execz .LBB618_435
; %bb.434:                              ;   in Loop: Header=BB618_215 Depth=1
	v_and_b32_e32 v46, 7, v42
	v_ffbh_u32_e32 v60, v46
	v_min_u32_e32 v62, 32, v60
	v_subrev_u32_e32 v60, 28, v62
	v_lshlrev_b64 v[60:61], v60, v[42:43]
	v_lshrrev_b32_e32 v58, 3, v44
	v_sub_u32_e32 v61, 29, v62
	v_and_b32_e32 v60, 7, v60
	v_cmp_gt_u32_e32 vcc, 8, v44
	v_cndmask_b32_e32 v44, v58, v61, vcc
	v_cndmask_b32_e32 v46, v46, v60, vcc
	v_lshlrev_b32_e32 v58, 24, v42
	v_lshlrev_b32_e32 v46, 20, v46
	v_and_b32_e32 v58, 0x80000000, v58
	v_lshl_add_u32 v44, v44, 23, v55
	v_or3_b32 v58, v58, v44, v46
.LBB618_435:                            ;   in Loop: Header=BB618_215 Depth=1
	s_or_b64 exec, exec, s[18:19]
.LBB618_436:                            ;   in Loop: Header=BB618_215 Depth=1
	s_or_b64 exec, exec, s[16:17]
.LBB618_437:                            ;   in Loop: Header=BB618_215 Depth=1
	s_or_b64 exec, exec, s[14:15]
	v_lshrrev_b16_e32 v44, 8, v42
	v_cmp_ne_u16_e32 vcc, 0, v44
	v_mov_b32_e32 v60, 0
	v_mov_b32_e32 v61, 0
	s_and_saveexec_b64 s[14:15], vcc
	s_cbranch_execz .LBB618_443
; %bb.438:                              ;   in Loop: Header=BB618_215 Depth=1
	v_cmp_ne_u16_e32 vcc, s9, v44
	v_bfrev_b32_e32 v61, 1
	s_and_saveexec_b64 s[16:17], vcc
	s_cbranch_execz .LBB618_442
; %bb.439:                              ;   in Loop: Header=BB618_215 Depth=1
	v_and_b32_e32 v46, 0x7f, v44
	v_cmp_ne_u32_e32 vcc, s21, v46
	v_mov_b32_e32 v61, 0x7f800001
	s_and_saveexec_b64 s[18:19], vcc
	s_cbranch_execz .LBB618_441
; %bb.440:                              ;   in Loop: Header=BB618_215 Depth=1
	v_and_b32_e32 v61, 7, v44
	v_ffbh_u32_e32 v62, v61
	v_min_u32_e32 v65, 32, v62
	v_subrev_u32_e32 v62, 28, v65
	v_lshlrev_b64 v[62:63], v62, v[44:45]
	v_lshrrev_b32_e32 v64, 3, v46
	v_sub_u32_e32 v44, 29, v65
	v_and_b32_e32 v62, 7, v62
	v_cmp_gt_u32_e32 vcc, 8, v46
	v_cndmask_b32_e32 v44, v64, v44, vcc
	v_cndmask_b32_e32 v46, v61, v62, vcc
	v_lshlrev_b32_e32 v61, 16, v42
	v_lshlrev_b32_e32 v46, 20, v46
	v_and_b32_e32 v61, 0x80000000, v61
	v_lshl_add_u32 v44, v44, 23, v55
	v_or3_b32 v61, v61, v44, v46
.LBB618_441:                            ;   in Loop: Header=BB618_215 Depth=1
	s_or_b64 exec, exec, s[18:19]
.LBB618_442:                            ;   in Loop: Header=BB618_215 Depth=1
	s_or_b64 exec, exec, s[16:17]
.LBB618_443:                            ;   in Loop: Header=BB618_215 Depth=1
	s_or_b64 exec, exec, s[14:15]
	v_lshrrev_b32_e32 v44, 16, v42
	v_cmp_ne_u16_sdwa s[16:17], v44, v54 src0_sel:BYTE_0 src1_sel:DWORD
	s_and_saveexec_b64 s[14:15], s[16:17]
	s_cbranch_execz .LBB618_449
; %bb.444:                              ;   in Loop: Header=BB618_215 Depth=1
	v_cmp_ne_u16_sdwa s[18:19], v44, s9 src0_sel:BYTE_0 src1_sel:DWORD
	v_bfrev_b32_e32 v60, 1
	s_and_saveexec_b64 s[16:17], s[18:19]
	s_cbranch_execz .LBB618_448
; %bb.445:                              ;   in Loop: Header=BB618_215 Depth=1
	v_bfe_u32 v46, v42, 16, 7
	v_cmp_ne_u32_e32 vcc, s21, v46
	v_mov_b32_e32 v60, 0x7f800001
	s_and_saveexec_b64 s[18:19], vcc
	s_cbranch_execz .LBB618_447
; %bb.446:                              ;   in Loop: Header=BB618_215 Depth=1
	v_and_b32_e32 v60, 7, v44
	v_ffbh_u32_e32 v62, v60
	v_min_u32_e32 v65, 32, v62
	v_subrev_u32_e32 v62, 28, v65
	v_lshlrev_b64 v[62:63], v62, v[44:45]
	v_lshrrev_b32_e32 v64, 3, v46
	v_sub_u32_e32 v63, 29, v65
	v_and_b32_e32 v62, 7, v62
	v_cmp_gt_u32_e32 vcc, 8, v46
	v_cndmask_b32_e32 v46, v64, v63, vcc
	v_cndmask_b32_e32 v60, v60, v62, vcc
	v_lshlrev_b32_e32 v44, 24, v44
	v_lshlrev_b32_e32 v60, 20, v60
	v_and_b32_e32 v44, 0x80000000, v44
	v_lshl_add_u32 v46, v46, 23, v55
	v_or3_b32 v60, v44, v46, v60
.LBB618_447:                            ;   in Loop: Header=BB618_215 Depth=1
	s_or_b64 exec, exec, s[18:19]
.LBB618_448:                            ;   in Loop: Header=BB618_215 Depth=1
	s_or_b64 exec, exec, s[16:17]
.LBB618_449:                            ;   in Loop: Header=BB618_215 Depth=1
	s_or_b64 exec, exec, s[14:15]
	v_cmp_lt_u32_e32 vcc, s22, v42
	v_mov_b32_e32 v46, 0
	v_mov_b32_e32 v62, 0
	s_and_saveexec_b64 s[14:15], vcc
	s_cbranch_execz .LBB618_455
; %bb.450:                              ;   in Loop: Header=BB618_215 Depth=1
	v_lshrrev_b32_e32 v44, 24, v42
	v_cmp_ne_u32_e32 vcc, s9, v44
	v_bfrev_b32_e32 v62, 1
	s_and_saveexec_b64 s[16:17], vcc
	s_cbranch_execz .LBB618_454
; %bb.451:                              ;   in Loop: Header=BB618_215 Depth=1
	v_bfe_u32 v42, v42, 24, 7
	v_cmp_ne_u32_e32 vcc, s21, v42
	v_mov_b32_e32 v62, 0x7f800001
	s_and_saveexec_b64 s[18:19], vcc
	s_cbranch_execz .LBB618_453
; %bb.452:                              ;   in Loop: Header=BB618_215 Depth=1
	v_and_b32_e32 v64, 7, v44
	v_ffbh_u32_e32 v62, v64
	v_min_u32_e32 v66, 32, v62
	v_subrev_u32_e32 v62, 28, v66
	v_lshlrev_b64 v[62:63], v62, v[44:45]
	v_lshrrev_b32_e32 v65, 3, v42
	v_sub_u32_e32 v63, 29, v66
	v_and_b32_e32 v62, 7, v62
	v_cmp_gt_u32_e32 vcc, 8, v42
	v_cndmask_b32_e32 v42, v65, v63, vcc
	v_cndmask_b32_e32 v62, v64, v62, vcc
	v_lshlrev_b32_e32 v44, 24, v44
	v_lshlrev_b32_e32 v62, 20, v62
	v_and_b32_e32 v44, 0x80000000, v44
	v_lshl_add_u32 v42, v42, 23, v55
	v_or3_b32 v62, v44, v42, v62
.LBB618_453:                            ;   in Loop: Header=BB618_215 Depth=1
	s_or_b64 exec, exec, s[18:19]
.LBB618_454:                            ;   in Loop: Header=BB618_215 Depth=1
	s_or_b64 exec, exec, s[16:17]
.LBB618_455:                            ;   in Loop: Header=BB618_215 Depth=1
	s_or_b64 exec, exec, s[14:15]
	v_cvt_pkrtz_f16_f32 v56, v56, v57
	v_cvt_pkrtz_f16_f32 v57, v51, v59
	s_waitcnt vmcnt(1)
	v_cmp_ne_u16_sdwa s[16:17], v40, v54 src0_sel:BYTE_0 src1_sel:DWORD
	v_mfma_f32_16x16x16f16 v[34:37], v[56:57], v[18:19], v[34:37]
	v_cvt_pkrtz_f16_f32 v56, v58, v61
	v_cvt_pkrtz_f16_f32 v57, v60, v62
	s_nop 1
	v_mfma_f32_16x16x16f16 v[34:37], v[56:57], v[20:21], v[34:37]
	s_and_saveexec_b64 s[14:15], s[16:17]
	s_cbranch_execz .LBB618_461
; %bb.456:                              ;   in Loop: Header=BB618_215 Depth=1
	v_cmp_ne_u16_sdwa s[18:19], v40, s9 src0_sel:BYTE_0 src1_sel:DWORD
	v_bfrev_b32_e32 v46, 1
	s_and_saveexec_b64 s[16:17], s[18:19]
	s_cbranch_execz .LBB618_460
; %bb.457:                              ;   in Loop: Header=BB618_215 Depth=1
	v_and_b32_e32 v42, 0x7f, v40
	v_cmp_ne_u32_e32 vcc, s21, v42
	v_mov_b32_e32 v46, 0x7f800001
	s_and_saveexec_b64 s[18:19], vcc
	s_cbranch_execz .LBB618_459
; %bb.458:                              ;   in Loop: Header=BB618_215 Depth=1
	v_and_b32_e32 v44, 7, v40
	v_ffbh_u32_e32 v51, v44
	v_min_u32_e32 v51, 32, v51
	v_subrev_u32_e32 v56, 28, v51
	v_lshlrev_b64 v[56:57], v56, v[40:41]
	v_lshrrev_b32_e32 v46, 3, v42
	v_sub_u32_e32 v51, 29, v51
	v_and_b32_e32 v56, 7, v56
	v_cmp_gt_u32_e32 vcc, 8, v42
	v_cndmask_b32_e32 v42, v46, v51, vcc
	v_cndmask_b32_e32 v44, v44, v56, vcc
	v_lshlrev_b32_e32 v46, 24, v40
	v_lshlrev_b32_e32 v44, 20, v44
	v_and_b32_e32 v46, 0x80000000, v46
	v_lshl_add_u32 v42, v42, 23, v55
	v_or3_b32 v46, v46, v42, v44
.LBB618_459:                            ;   in Loop: Header=BB618_215 Depth=1
	s_or_b64 exec, exec, s[18:19]
.LBB618_460:                            ;   in Loop: Header=BB618_215 Depth=1
	s_or_b64 exec, exec, s[16:17]
.LBB618_461:                            ;   in Loop: Header=BB618_215 Depth=1
	s_or_b64 exec, exec, s[14:15]
	v_lshrrev_b16_e32 v42, 8, v40
	v_cmp_ne_u16_e32 vcc, 0, v42
	v_mov_b32_e32 v44, 0
	v_mov_b32_e32 v56, 0
	s_and_saveexec_b64 s[14:15], vcc
	s_cbranch_execz .LBB618_467
; %bb.462:                              ;   in Loop: Header=BB618_215 Depth=1
	v_cmp_ne_u16_e32 vcc, s9, v42
	v_bfrev_b32_e32 v56, 1
	s_and_saveexec_b64 s[16:17], vcc
	s_cbranch_execz .LBB618_466
; %bb.463:                              ;   in Loop: Header=BB618_215 Depth=1
	v_and_b32_e32 v51, 0x7f, v42
	v_cmp_ne_u32_e32 vcc, s21, v51
	v_mov_b32_e32 v56, 0x7f800001
	s_and_saveexec_b64 s[18:19], vcc
	s_cbranch_execz .LBB618_465
; %bb.464:                              ;   in Loop: Header=BB618_215 Depth=1
	v_and_b32_e32 v58, 7, v42
	v_ffbh_u32_e32 v56, v58
	v_min_u32_e32 v60, 32, v56
	v_subrev_u32_e32 v56, 28, v60
	v_lshlrev_b64 v[56:57], v56, v[42:43]
	v_lshrrev_b32_e32 v59, 3, v51
	v_sub_u32_e32 v42, 29, v60
	v_and_b32_e32 v56, 7, v56
	v_cmp_gt_u32_e32 vcc, 8, v51
	v_cndmask_b32_e32 v42, v59, v42, vcc
	v_cndmask_b32_e32 v51, v58, v56, vcc
	v_lshlrev_b32_e32 v56, 16, v40
	v_lshlrev_b32_e32 v51, 20, v51
	v_and_b32_e32 v56, 0x80000000, v56
	v_lshl_add_u32 v42, v42, 23, v55
	v_or3_b32 v56, v56, v42, v51
.LBB618_465:                            ;   in Loop: Header=BB618_215 Depth=1
	s_or_b64 exec, exec, s[18:19]
.LBB618_466:                            ;   in Loop: Header=BB618_215 Depth=1
	s_or_b64 exec, exec, s[16:17]
.LBB618_467:                            ;   in Loop: Header=BB618_215 Depth=1
	s_or_b64 exec, exec, s[14:15]
	v_lshrrev_b32_e32 v42, 16, v40
	v_cmp_ne_u16_sdwa s[16:17], v42, v54 src0_sel:BYTE_0 src1_sel:DWORD
	s_and_saveexec_b64 s[14:15], s[16:17]
	s_cbranch_execz .LBB618_473
; %bb.468:                              ;   in Loop: Header=BB618_215 Depth=1
	v_cmp_ne_u16_sdwa s[18:19], v42, s9 src0_sel:BYTE_0 src1_sel:DWORD
	v_bfrev_b32_e32 v44, 1
	s_and_saveexec_b64 s[16:17], s[18:19]
	s_cbranch_execz .LBB618_472
; %bb.469:                              ;   in Loop: Header=BB618_215 Depth=1
	v_bfe_u32 v51, v40, 16, 7
	v_cmp_ne_u32_e32 vcc, s21, v51
	v_mov_b32_e32 v44, 0x7f800001
	s_and_saveexec_b64 s[18:19], vcc
	s_cbranch_execz .LBB618_471
; %bb.470:                              ;   in Loop: Header=BB618_215 Depth=1
	v_and_b32_e32 v44, 7, v42
	v_ffbh_u32_e32 v58, v44
	v_min_u32_e32 v60, 32, v58
	v_subrev_u32_e32 v58, 28, v60
	v_lshlrev_b64 v[58:59], v58, v[42:43]
	v_lshrrev_b32_e32 v57, 3, v51
	v_sub_u32_e32 v59, 29, v60
	v_and_b32_e32 v58, 7, v58
	v_cmp_gt_u32_e32 vcc, 8, v51
	v_cndmask_b32_e32 v51, v57, v59, vcc
	v_cndmask_b32_e32 v44, v44, v58, vcc
	v_lshlrev_b32_e32 v42, 24, v42
	v_lshlrev_b32_e32 v44, 20, v44
	v_and_b32_e32 v42, 0x80000000, v42
	v_lshl_add_u32 v51, v51, 23, v55
	v_or3_b32 v44, v42, v51, v44
.LBB618_471:                            ;   in Loop: Header=BB618_215 Depth=1
	s_or_b64 exec, exec, s[18:19]
.LBB618_472:                            ;   in Loop: Header=BB618_215 Depth=1
	s_or_b64 exec, exec, s[16:17]
.LBB618_473:                            ;   in Loop: Header=BB618_215 Depth=1
	s_or_b64 exec, exec, s[14:15]
	v_cmp_lt_u32_e32 vcc, s22, v40
	v_mov_b32_e32 v57, 0
	v_mov_b32_e32 v58, 0
	s_and_saveexec_b64 s[14:15], vcc
	s_cbranch_execz .LBB618_479
; %bb.474:                              ;   in Loop: Header=BB618_215 Depth=1
	v_lshrrev_b32_e32 v42, 24, v40
	v_cmp_ne_u32_e32 vcc, s9, v42
	v_bfrev_b32_e32 v58, 1
	s_and_saveexec_b64 s[16:17], vcc
	s_cbranch_execz .LBB618_478
; %bb.475:                              ;   in Loop: Header=BB618_215 Depth=1
	v_bfe_u32 v40, v40, 24, 7
	v_cmp_ne_u32_e32 vcc, s21, v40
	v_mov_b32_e32 v58, 0x7f800001
	s_and_saveexec_b64 s[18:19], vcc
	s_cbranch_execz .LBB618_477
; %bb.476:                              ;   in Loop: Header=BB618_215 Depth=1
	v_and_b32_e32 v51, 7, v42
	v_ffbh_u32_e32 v58, v51
	v_min_u32_e32 v61, 32, v58
	v_subrev_u32_e32 v58, 28, v61
	v_lshlrev_b64 v[58:59], v58, v[42:43]
	v_lshrrev_b32_e32 v60, 3, v40
	v_sub_u32_e32 v59, 29, v61
	v_and_b32_e32 v58, 7, v58
	v_cmp_gt_u32_e32 vcc, 8, v40
	v_cndmask_b32_e32 v40, v60, v59, vcc
	v_cndmask_b32_e32 v51, v51, v58, vcc
	v_lshlrev_b32_e32 v42, 24, v42
	v_lshlrev_b32_e32 v51, 20, v51
	v_and_b32_e32 v42, 0x80000000, v42
	v_lshl_add_u32 v40, v40, 23, v55
	v_or3_b32 v58, v42, v40, v51
.LBB618_477:                            ;   in Loop: Header=BB618_215 Depth=1
	s_or_b64 exec, exec, s[18:19]
.LBB618_478:                            ;   in Loop: Header=BB618_215 Depth=1
	s_or_b64 exec, exec, s[16:17]
.LBB618_479:                            ;   in Loop: Header=BB618_215 Depth=1
	s_or_b64 exec, exec, s[14:15]
	s_waitcnt vmcnt(0)
	v_cmp_ne_u16_sdwa s[16:17], v38, v54 src0_sel:BYTE_0 src1_sel:DWORD
	s_and_saveexec_b64 s[14:15], s[16:17]
	s_cbranch_execz .LBB618_485
; %bb.480:                              ;   in Loop: Header=BB618_215 Depth=1
	v_cmp_ne_u16_sdwa s[18:19], v38, s9 src0_sel:BYTE_0 src1_sel:DWORD
	v_bfrev_b32_e32 v57, 1
	s_and_saveexec_b64 s[16:17], s[18:19]
	s_cbranch_execz .LBB618_484
; %bb.481:                              ;   in Loop: Header=BB618_215 Depth=1
	v_and_b32_e32 v40, 0x7f, v38
	v_cmp_ne_u32_e32 vcc, s21, v40
	v_mov_b32_e32 v57, 0x7f800001
	s_and_saveexec_b64 s[18:19], vcc
	s_cbranch_execz .LBB618_483
; %bb.482:                              ;   in Loop: Header=BB618_215 Depth=1
	v_and_b32_e32 v42, 7, v38
	v_ffbh_u32_e32 v57, v42
	v_min_u32_e32 v57, 32, v57
	v_subrev_u32_e32 v59, 28, v57
	v_lshlrev_b64 v[60:61], v59, v[38:39]
	v_lshrrev_b32_e32 v51, 3, v40
	v_sub_u32_e32 v57, 29, v57
	v_and_b32_e32 v59, 7, v60
	v_cmp_gt_u32_e32 vcc, 8, v40
	v_cndmask_b32_e32 v40, v51, v57, vcc
	v_cndmask_b32_e32 v42, v42, v59, vcc
	v_lshlrev_b32_e32 v51, 24, v38
	v_lshlrev_b32_e32 v42, 20, v42
	v_and_b32_e32 v51, 0x80000000, v51
	v_lshl_add_u32 v40, v40, 23, v55
	v_or3_b32 v57, v51, v40, v42
.LBB618_483:                            ;   in Loop: Header=BB618_215 Depth=1
	s_or_b64 exec, exec, s[18:19]
.LBB618_484:                            ;   in Loop: Header=BB618_215 Depth=1
	s_or_b64 exec, exec, s[16:17]
.LBB618_485:                            ;   in Loop: Header=BB618_215 Depth=1
	s_or_b64 exec, exec, s[14:15]
	v_lshrrev_b16_e32 v40, 8, v38
	v_cmp_ne_u16_e32 vcc, 0, v40
	v_mov_b32_e32 v59, 0
	v_mov_b32_e32 v60, 0
	s_and_saveexec_b64 s[14:15], vcc
	s_cbranch_execz .LBB618_491
; %bb.486:                              ;   in Loop: Header=BB618_215 Depth=1
	v_cmp_ne_u16_e32 vcc, s9, v40
	v_bfrev_b32_e32 v60, 1
	s_and_saveexec_b64 s[16:17], vcc
	s_cbranch_execz .LBB618_490
; %bb.487:                              ;   in Loop: Header=BB618_215 Depth=1
	v_and_b32_e32 v42, 0x7f, v40
	v_cmp_ne_u32_e32 vcc, s21, v42
	v_mov_b32_e32 v60, 0x7f800001
	s_and_saveexec_b64 s[18:19], vcc
	s_cbranch_execz .LBB618_489
; %bb.488:                              ;   in Loop: Header=BB618_215 Depth=1
	v_and_b32_e32 v51, 7, v40
	v_ffbh_u32_e32 v60, v51
	v_min_u32_e32 v63, 32, v60
	v_subrev_u32_e32 v60, 28, v63
	v_lshlrev_b64 v[60:61], v60, v[40:41]
	v_lshrrev_b32_e32 v62, 3, v42
	v_sub_u32_e32 v40, 29, v63
	v_and_b32_e32 v60, 7, v60
	v_cmp_gt_u32_e32 vcc, 8, v42
	v_cndmask_b32_e32 v40, v62, v40, vcc
	v_cndmask_b32_e32 v42, v51, v60, vcc
	v_lshlrev_b32_e32 v51, 16, v38
	v_lshlrev_b32_e32 v42, 20, v42
	v_and_b32_e32 v51, 0x80000000, v51
	v_lshl_add_u32 v40, v40, 23, v55
	v_or3_b32 v60, v51, v40, v42
.LBB618_489:                            ;   in Loop: Header=BB618_215 Depth=1
	s_or_b64 exec, exec, s[18:19]
.LBB618_490:                            ;   in Loop: Header=BB618_215 Depth=1
	s_or_b64 exec, exec, s[16:17]
.LBB618_491:                            ;   in Loop: Header=BB618_215 Depth=1
	s_or_b64 exec, exec, s[14:15]
	v_lshrrev_b32_e32 v40, 16, v38
	v_cmp_ne_u16_sdwa s[16:17], v40, v54 src0_sel:BYTE_0 src1_sel:DWORD
	s_and_saveexec_b64 s[14:15], s[16:17]
	s_cbranch_execz .LBB618_497
; %bb.492:                              ;   in Loop: Header=BB618_215 Depth=1
	v_cmp_ne_u16_sdwa s[18:19], v40, s9 src0_sel:BYTE_0 src1_sel:DWORD
	v_bfrev_b32_e32 v59, 1
	s_and_saveexec_b64 s[16:17], s[18:19]
	s_cbranch_execz .LBB618_496
; %bb.493:                              ;   in Loop: Header=BB618_215 Depth=1
	v_bfe_u32 v42, v38, 16, 7
	v_cmp_ne_u32_e32 vcc, s21, v42
	v_mov_b32_e32 v59, 0x7f800001
	s_and_saveexec_b64 s[18:19], vcc
	s_cbranch_execz .LBB618_495
; %bb.494:                              ;   in Loop: Header=BB618_215 Depth=1
	v_and_b32_e32 v51, 7, v40
	v_ffbh_u32_e32 v61, v51
	v_min_u32_e32 v61, 32, v61
	v_subrev_u32_e32 v62, 28, v61
	v_lshlrev_b64 v[62:63], v62, v[40:41]
	v_lshrrev_b32_e32 v59, 3, v42
	v_sub_u32_e32 v61, 29, v61
	v_and_b32_e32 v62, 7, v62
	v_cmp_gt_u32_e32 vcc, 8, v42
	v_cndmask_b32_e32 v42, v59, v61, vcc
	v_cndmask_b32_e32 v51, v51, v62, vcc
	v_lshlrev_b32_e32 v40, 24, v40
	v_lshlrev_b32_e32 v51, 20, v51
	v_and_b32_e32 v40, 0x80000000, v40
	v_lshl_add_u32 v42, v42, 23, v55
	v_or3_b32 v59, v40, v42, v51
.LBB618_495:                            ;   in Loop: Header=BB618_215 Depth=1
	s_or_b64 exec, exec, s[18:19]
.LBB618_496:                            ;   in Loop: Header=BB618_215 Depth=1
	s_or_b64 exec, exec, s[16:17]
.LBB618_497:                            ;   in Loop: Header=BB618_215 Depth=1
	s_or_b64 exec, exec, s[14:15]
	v_cmp_lt_u32_e32 vcc, s22, v38
	v_mov_b32_e32 v51, 0
	v_mov_b32_e32 v61, 0
	s_and_saveexec_b64 s[14:15], vcc
	s_cbranch_execz .LBB618_503
; %bb.498:                              ;   in Loop: Header=BB618_215 Depth=1
	v_lshrrev_b32_e32 v40, 24, v38
	v_cmp_ne_u32_e32 vcc, s9, v40
	v_bfrev_b32_e32 v61, 1
	s_and_saveexec_b64 s[16:17], vcc
	s_cbranch_execz .LBB618_502
; %bb.499:                              ;   in Loop: Header=BB618_215 Depth=1
	v_bfe_u32 v38, v38, 24, 7
	v_cmp_ne_u32_e32 vcc, s21, v38
	v_mov_b32_e32 v61, 0x7f800001
	s_and_saveexec_b64 s[18:19], vcc
	s_cbranch_execz .LBB618_501
; %bb.500:                              ;   in Loop: Header=BB618_215 Depth=1
	v_and_b32_e32 v42, 7, v40
	v_ffbh_u32_e32 v62, v42
	v_min_u32_e32 v64, 32, v62
	v_subrev_u32_e32 v62, 28, v64
	v_lshlrev_b64 v[62:63], v62, v[40:41]
	v_lshrrev_b32_e32 v61, 3, v38
	v_sub_u32_e32 v63, 29, v64
	v_and_b32_e32 v62, 7, v62
	v_cmp_gt_u32_e32 vcc, 8, v38
	v_cndmask_b32_e32 v38, v61, v63, vcc
	v_cndmask_b32_e32 v42, v42, v62, vcc
	v_lshlrev_b32_e32 v40, 24, v40
	v_lshlrev_b32_e32 v42, 20, v42
	v_and_b32_e32 v40, 0x80000000, v40
	v_lshl_add_u32 v38, v38, 23, v55
	v_or3_b32 v61, v40, v38, v42
.LBB618_501:                            ;   in Loop: Header=BB618_215 Depth=1
	s_or_b64 exec, exec, s[18:19]
.LBB618_502:                            ;   in Loop: Header=BB618_215 Depth=1
	s_or_b64 exec, exec, s[16:17]
.LBB618_503:                            ;   in Loop: Header=BB618_215 Depth=1
	s_or_b64 exec, exec, s[14:15]
	v_cvt_pkrtz_f16_f32 v63, v44, v58
	buffer_load_dword v44, v50, s[0:3], 0 offen
	buffer_load_dword v42, v50, s[0:3], 0 offen offset:4
	buffer_load_dword v40, v50, s[0:3], 0 offen offset:8
	;; [unrolled: 1-line block ×3, first 2 shown]
	v_cvt_pkrtz_f16_f32 v62, v46, v56
	v_cvt_pkrtz_f16_f32 v56, v57, v60
	;; [unrolled: 1-line block ×3, first 2 shown]
	v_mfma_f32_16x16x16f16 v[34:37], v[62:63], v[22:23], v[34:37]
	s_waitcnt vmcnt(3)
	v_cmp_ne_u16_sdwa s[16:17], v44, v54 src0_sel:BYTE_0 src1_sel:DWORD
	v_mfma_f32_16x16x16f16 v[34:37], v[56:57], v[24:25], v[34:37]
	s_and_saveexec_b64 s[14:15], s[16:17]
	s_cbranch_execz .LBB618_509
; %bb.504:                              ;   in Loop: Header=BB618_215 Depth=1
	v_cmp_ne_u16_sdwa s[18:19], v44, s9 src0_sel:BYTE_0 src1_sel:DWORD
	v_bfrev_b32_e32 v51, 1
	s_and_saveexec_b64 s[16:17], s[18:19]
	s_cbranch_execz .LBB618_508
; %bb.505:                              ;   in Loop: Header=BB618_215 Depth=1
	v_and_b32_e32 v46, 0x7f, v44
	v_cmp_ne_u32_e32 vcc, s21, v46
	v_mov_b32_e32 v51, 0x7f800001
	s_and_saveexec_b64 s[18:19], vcc
	s_cbranch_execz .LBB618_507
; %bb.506:                              ;   in Loop: Header=BB618_215 Depth=1
	v_and_b32_e32 v56, 7, v44
	v_ffbh_u32_e32 v50, v56
	v_min_u32_e32 v58, 32, v50
	v_subrev_u32_e32 v50, 28, v58
	v_lshlrev_b64 v[50:51], v50, v[44:45]
	v_lshrrev_b32_e32 v57, 3, v46
	v_sub_u32_e32 v51, 29, v58
	v_and_b32_e32 v50, 7, v50
	v_cmp_gt_u32_e32 vcc, 8, v46
	v_cndmask_b32_e32 v46, v57, v51, vcc
	v_cndmask_b32_e32 v50, v56, v50, vcc
	v_lshlrev_b32_e32 v51, 24, v44
	v_lshlrev_b32_e32 v50, 20, v50
	v_and_b32_e32 v51, 0x80000000, v51
	v_lshl_add_u32 v46, v46, 23, v55
	v_or3_b32 v51, v51, v46, v50
.LBB618_507:                            ;   in Loop: Header=BB618_215 Depth=1
	s_or_b64 exec, exec, s[18:19]
.LBB618_508:                            ;   in Loop: Header=BB618_215 Depth=1
	s_or_b64 exec, exec, s[16:17]
.LBB618_509:                            ;   in Loop: Header=BB618_215 Depth=1
	s_or_b64 exec, exec, s[14:15]
	v_lshrrev_b16_e32 v46, 8, v44
	v_cmp_ne_u16_e32 vcc, 0, v46
	v_mov_b32_e32 v50, 0
	v_mov_b32_e32 v56, 0
	s_and_saveexec_b64 s[14:15], vcc
	s_cbranch_execz .LBB618_515
; %bb.510:                              ;   in Loop: Header=BB618_215 Depth=1
	v_cmp_ne_u16_e32 vcc, s9, v46
	v_bfrev_b32_e32 v56, 1
	s_and_saveexec_b64 s[16:17], vcc
	s_cbranch_execz .LBB618_514
; %bb.511:                              ;   in Loop: Header=BB618_215 Depth=1
	v_and_b32_e32 v57, 0x7f, v46
	v_cmp_ne_u32_e32 vcc, s21, v57
	v_mov_b32_e32 v56, 0x7f800001
	s_and_saveexec_b64 s[18:19], vcc
	s_cbranch_execz .LBB618_513
; %bb.512:                              ;   in Loop: Header=BB618_215 Depth=1
	v_and_b32_e32 v56, 7, v46
	v_ffbh_u32_e32 v58, v56
	v_min_u32_e32 v61, 32, v58
	v_subrev_u32_e32 v58, 28, v61
	v_lshlrev_b64 v[58:59], v58, v[46:47]
	v_lshrrev_b32_e32 v60, 3, v57
	v_sub_u32_e32 v46, 29, v61
	v_and_b32_e32 v58, 7, v58
	v_cmp_gt_u32_e32 vcc, 8, v57
	v_cndmask_b32_e32 v46, v60, v46, vcc
	v_cndmask_b32_e32 v56, v56, v58, vcc
	v_lshlrev_b32_e32 v57, 16, v44
	v_lshlrev_b32_e32 v56, 20, v56
	v_and_b32_e32 v57, 0x80000000, v57
	v_lshl_add_u32 v46, v46, 23, v55
	v_or3_b32 v56, v57, v46, v56
.LBB618_513:                            ;   in Loop: Header=BB618_215 Depth=1
	s_or_b64 exec, exec, s[18:19]
.LBB618_514:                            ;   in Loop: Header=BB618_215 Depth=1
	s_or_b64 exec, exec, s[16:17]
.LBB618_515:                            ;   in Loop: Header=BB618_215 Depth=1
	s_or_b64 exec, exec, s[14:15]
	v_lshrrev_b32_e32 v46, 16, v44
	v_cmp_ne_u16_sdwa s[16:17], v46, v54 src0_sel:BYTE_0 src1_sel:DWORD
	s_and_saveexec_b64 s[14:15], s[16:17]
	s_cbranch_execz .LBB618_521
; %bb.516:                              ;   in Loop: Header=BB618_215 Depth=1
	v_cmp_ne_u16_sdwa s[18:19], v46, s9 src0_sel:BYTE_0 src1_sel:DWORD
	v_bfrev_b32_e32 v50, 1
	s_and_saveexec_b64 s[16:17], s[18:19]
	s_cbranch_execz .LBB618_520
; %bb.517:                              ;   in Loop: Header=BB618_215 Depth=1
	v_bfe_u32 v57, v44, 16, 7
	v_cmp_ne_u32_e32 vcc, s21, v57
	v_mov_b32_e32 v50, 0x7f800001
	s_and_saveexec_b64 s[18:19], vcc
	s_cbranch_execz .LBB618_519
; %bb.518:                              ;   in Loop: Header=BB618_215 Depth=1
	v_and_b32_e32 v50, 7, v46
	v_ffbh_u32_e32 v58, v50
	v_min_u32_e32 v61, 32, v58
	v_subrev_u32_e32 v58, 28, v61
	v_lshlrev_b64 v[58:59], v58, v[46:47]
	v_lshrrev_b32_e32 v60, 3, v57
	v_sub_u32_e32 v59, 29, v61
	v_and_b32_e32 v58, 7, v58
	v_cmp_gt_u32_e32 vcc, 8, v57
	v_cndmask_b32_e32 v57, v60, v59, vcc
	v_cndmask_b32_e32 v50, v50, v58, vcc
	v_lshlrev_b32_e32 v46, 24, v46
	v_lshlrev_b32_e32 v50, 20, v50
	v_and_b32_e32 v46, 0x80000000, v46
	v_lshl_add_u32 v57, v57, 23, v55
	v_or3_b32 v50, v46, v57, v50
.LBB618_519:                            ;   in Loop: Header=BB618_215 Depth=1
	s_or_b64 exec, exec, s[18:19]
.LBB618_520:                            ;   in Loop: Header=BB618_215 Depth=1
	s_or_b64 exec, exec, s[16:17]
.LBB618_521:                            ;   in Loop: Header=BB618_215 Depth=1
	s_or_b64 exec, exec, s[14:15]
	v_cmp_lt_u32_e32 vcc, s22, v44
	v_mov_b32_e32 v57, 0
	v_mov_b32_e32 v58, 0
	s_and_saveexec_b64 s[14:15], vcc
	s_cbranch_execz .LBB618_527
; %bb.522:                              ;   in Loop: Header=BB618_215 Depth=1
	v_lshrrev_b32_e32 v46, 24, v44
	v_cmp_ne_u32_e32 vcc, s9, v46
	v_bfrev_b32_e32 v58, 1
	s_and_saveexec_b64 s[16:17], vcc
	s_cbranch_execz .LBB618_526
; %bb.523:                              ;   in Loop: Header=BB618_215 Depth=1
	v_bfe_u32 v44, v44, 24, 7
	v_cmp_ne_u32_e32 vcc, s21, v44
	v_mov_b32_e32 v58, 0x7f800001
	s_and_saveexec_b64 s[18:19], vcc
	s_cbranch_execz .LBB618_525
; %bb.524:                              ;   in Loop: Header=BB618_215 Depth=1
	v_and_b32_e32 v60, 7, v46
	v_ffbh_u32_e32 v58, v60
	v_min_u32_e32 v62, 32, v58
	v_subrev_u32_e32 v58, 28, v62
	v_lshlrev_b64 v[58:59], v58, v[46:47]
	v_lshrrev_b32_e32 v61, 3, v44
	v_sub_u32_e32 v59, 29, v62
	v_and_b32_e32 v58, 7, v58
	v_cmp_gt_u32_e32 vcc, 8, v44
	v_cndmask_b32_e32 v44, v61, v59, vcc
	v_cndmask_b32_e32 v58, v60, v58, vcc
	v_lshlrev_b32_e32 v46, 24, v46
	v_lshlrev_b32_e32 v58, 20, v58
	v_and_b32_e32 v46, 0x80000000, v46
	v_lshl_add_u32 v44, v44, 23, v55
	v_or3_b32 v58, v46, v44, v58
.LBB618_525:                            ;   in Loop: Header=BB618_215 Depth=1
	s_or_b64 exec, exec, s[18:19]
.LBB618_526:                            ;   in Loop: Header=BB618_215 Depth=1
	s_or_b64 exec, exec, s[16:17]
.LBB618_527:                            ;   in Loop: Header=BB618_215 Depth=1
	s_or_b64 exec, exec, s[14:15]
	s_waitcnt vmcnt(2)
	v_cmp_ne_u16_sdwa s[16:17], v42, v54 src0_sel:BYTE_0 src1_sel:DWORD
	s_and_saveexec_b64 s[14:15], s[16:17]
	s_cbranch_execz .LBB618_533
; %bb.528:                              ;   in Loop: Header=BB618_215 Depth=1
	v_cmp_ne_u16_sdwa s[18:19], v42, s9 src0_sel:BYTE_0 src1_sel:DWORD
	v_bfrev_b32_e32 v57, 1
	s_and_saveexec_b64 s[16:17], s[18:19]
	s_cbranch_execz .LBB618_532
; %bb.529:                              ;   in Loop: Header=BB618_215 Depth=1
	v_and_b32_e32 v44, 0x7f, v42
	v_cmp_ne_u32_e32 vcc, s21, v44
	v_mov_b32_e32 v57, 0x7f800001
	s_and_saveexec_b64 s[18:19], vcc
	s_cbranch_execz .LBB618_531
; %bb.530:                              ;   in Loop: Header=BB618_215 Depth=1
	v_and_b32_e32 v46, 7, v42
	v_ffbh_u32_e32 v59, v46
	v_min_u32_e32 v59, 32, v59
	v_subrev_u32_e32 v60, 28, v59
	v_lshlrev_b64 v[60:61], v60, v[42:43]
	v_lshrrev_b32_e32 v57, 3, v44
	v_sub_u32_e32 v59, 29, v59
	v_and_b32_e32 v60, 7, v60
	v_cmp_gt_u32_e32 vcc, 8, v44
	v_cndmask_b32_e32 v44, v57, v59, vcc
	v_cndmask_b32_e32 v46, v46, v60, vcc
	v_lshlrev_b32_e32 v57, 24, v42
	v_lshlrev_b32_e32 v46, 20, v46
	v_and_b32_e32 v57, 0x80000000, v57
	v_lshl_add_u32 v44, v44, 23, v55
	v_or3_b32 v57, v57, v44, v46
.LBB618_531:                            ;   in Loop: Header=BB618_215 Depth=1
	s_or_b64 exec, exec, s[18:19]
.LBB618_532:                            ;   in Loop: Header=BB618_215 Depth=1
	s_or_b64 exec, exec, s[16:17]
.LBB618_533:                            ;   in Loop: Header=BB618_215 Depth=1
	s_or_b64 exec, exec, s[14:15]
	v_lshrrev_b16_e32 v44, 8, v42
	v_cmp_ne_u16_e32 vcc, 0, v44
	v_mov_b32_e32 v59, 0
	v_mov_b32_e32 v60, 0
	s_and_saveexec_b64 s[14:15], vcc
	s_cbranch_execz .LBB618_539
; %bb.534:                              ;   in Loop: Header=BB618_215 Depth=1
	v_cmp_ne_u16_e32 vcc, s9, v44
	v_bfrev_b32_e32 v60, 1
	s_and_saveexec_b64 s[16:17], vcc
	s_cbranch_execz .LBB618_538
; %bb.535:                              ;   in Loop: Header=BB618_215 Depth=1
	v_and_b32_e32 v46, 0x7f, v44
	v_cmp_ne_u32_e32 vcc, s21, v46
	v_mov_b32_e32 v60, 0x7f800001
	s_and_saveexec_b64 s[18:19], vcc
	s_cbranch_execz .LBB618_537
; %bb.536:                              ;   in Loop: Header=BB618_215 Depth=1
	v_and_b32_e32 v62, 7, v44
	v_ffbh_u32_e32 v60, v62
	v_min_u32_e32 v64, 32, v60
	v_subrev_u32_e32 v60, 28, v64
	v_lshlrev_b64 v[60:61], v60, v[44:45]
	v_lshrrev_b32_e32 v63, 3, v46
	v_sub_u32_e32 v44, 29, v64
	v_and_b32_e32 v60, 7, v60
	v_cmp_gt_u32_e32 vcc, 8, v46
	v_cndmask_b32_e32 v44, v63, v44, vcc
	v_cndmask_b32_e32 v46, v62, v60, vcc
	v_lshlrev_b32_e32 v60, 16, v42
	v_lshlrev_b32_e32 v46, 20, v46
	v_and_b32_e32 v60, 0x80000000, v60
	v_lshl_add_u32 v44, v44, 23, v55
	v_or3_b32 v60, v60, v44, v46
.LBB618_537:                            ;   in Loop: Header=BB618_215 Depth=1
	s_or_b64 exec, exec, s[18:19]
.LBB618_538:                            ;   in Loop: Header=BB618_215 Depth=1
	s_or_b64 exec, exec, s[16:17]
.LBB618_539:                            ;   in Loop: Header=BB618_215 Depth=1
	s_or_b64 exec, exec, s[14:15]
	v_lshrrev_b32_e32 v44, 16, v42
	v_cmp_ne_u16_sdwa s[16:17], v44, v54 src0_sel:BYTE_0 src1_sel:DWORD
	s_and_saveexec_b64 s[14:15], s[16:17]
	s_cbranch_execz .LBB618_545
; %bb.540:                              ;   in Loop: Header=BB618_215 Depth=1
	v_cmp_ne_u16_sdwa s[18:19], v44, s9 src0_sel:BYTE_0 src1_sel:DWORD
	v_bfrev_b32_e32 v59, 1
	s_and_saveexec_b64 s[16:17], s[18:19]
	s_cbranch_execz .LBB618_544
; %bb.541:                              ;   in Loop: Header=BB618_215 Depth=1
	v_bfe_u32 v46, v42, 16, 7
	v_cmp_ne_u32_e32 vcc, s21, v46
	v_mov_b32_e32 v59, 0x7f800001
	s_and_saveexec_b64 s[18:19], vcc
	s_cbranch_execz .LBB618_543
; %bb.542:                              ;   in Loop: Header=BB618_215 Depth=1
	v_and_b32_e32 v59, 7, v44
	v_ffbh_u32_e32 v62, v59
	v_min_u32_e32 v64, 32, v62
	v_subrev_u32_e32 v62, 28, v64
	v_lshlrev_b64 v[62:63], v62, v[44:45]
	v_lshrrev_b32_e32 v61, 3, v46
	v_sub_u32_e32 v63, 29, v64
	v_and_b32_e32 v62, 7, v62
	v_cmp_gt_u32_e32 vcc, 8, v46
	v_cndmask_b32_e32 v46, v61, v63, vcc
	v_cndmask_b32_e32 v59, v59, v62, vcc
	v_lshlrev_b32_e32 v44, 24, v44
	v_lshlrev_b32_e32 v59, 20, v59
	v_and_b32_e32 v44, 0x80000000, v44
	v_lshl_add_u32 v46, v46, 23, v55
	v_or3_b32 v59, v44, v46, v59
.LBB618_543:                            ;   in Loop: Header=BB618_215 Depth=1
	s_or_b64 exec, exec, s[18:19]
.LBB618_544:                            ;   in Loop: Header=BB618_215 Depth=1
	s_or_b64 exec, exec, s[16:17]
.LBB618_545:                            ;   in Loop: Header=BB618_215 Depth=1
	s_or_b64 exec, exec, s[14:15]
	v_cmp_lt_u32_e32 vcc, s22, v42
	v_mov_b32_e32 v46, 0
	v_mov_b32_e32 v61, 0
	s_and_saveexec_b64 s[14:15], vcc
	s_cbranch_execz .LBB618_551
; %bb.546:                              ;   in Loop: Header=BB618_215 Depth=1
	v_lshrrev_b32_e32 v44, 24, v42
	v_cmp_ne_u32_e32 vcc, s9, v44
	v_bfrev_b32_e32 v61, 1
	s_and_saveexec_b64 s[16:17], vcc
	s_cbranch_execz .LBB618_550
; %bb.547:                              ;   in Loop: Header=BB618_215 Depth=1
	v_bfe_u32 v42, v42, 24, 7
	v_cmp_ne_u32_e32 vcc, s21, v42
	v_mov_b32_e32 v61, 0x7f800001
	s_and_saveexec_b64 s[18:19], vcc
	s_cbranch_execz .LBB618_549
; %bb.548:                              ;   in Loop: Header=BB618_215 Depth=1
	v_and_b32_e32 v61, 7, v44
	v_ffbh_u32_e32 v62, v61
	v_min_u32_e32 v65, 32, v62
	v_subrev_u32_e32 v62, 28, v65
	v_lshlrev_b64 v[62:63], v62, v[44:45]
	v_lshrrev_b32_e32 v64, 3, v42
	v_sub_u32_e32 v63, 29, v65
	v_and_b32_e32 v62, 7, v62
	v_cmp_gt_u32_e32 vcc, 8, v42
	v_cndmask_b32_e32 v42, v64, v63, vcc
	v_cndmask_b32_e32 v61, v61, v62, vcc
	v_lshlrev_b32_e32 v44, 24, v44
	v_lshlrev_b32_e32 v61, 20, v61
	v_and_b32_e32 v44, 0x80000000, v44
	v_lshl_add_u32 v42, v42, 23, v55
	v_or3_b32 v61, v44, v42, v61
.LBB618_549:                            ;   in Loop: Header=BB618_215 Depth=1
	s_or_b64 exec, exec, s[18:19]
.LBB618_550:                            ;   in Loop: Header=BB618_215 Depth=1
	s_or_b64 exec, exec, s[16:17]
.LBB618_551:                            ;   in Loop: Header=BB618_215 Depth=1
	s_or_b64 exec, exec, s[14:15]
	v_cvt_pkrtz_f16_f32 v62, v51, v56
	v_cvt_pkrtz_f16_f32 v63, v50, v58
	;; [unrolled: 1-line block ×4, first 2 shown]
	s_waitcnt vmcnt(1)
	v_cmp_ne_u16_sdwa s[16:17], v40, v54 src0_sel:BYTE_0 src1_sel:DWORD
	v_mfma_f32_16x16x16f16 v[34:37], v[62:63], v[26:27], v[34:37]
	v_mfma_f32_16x16x16f16 v[34:37], v[50:51], v[28:29], v[34:37]
	s_and_saveexec_b64 s[14:15], s[16:17]
	s_cbranch_execz .LBB618_557
; %bb.552:                              ;   in Loop: Header=BB618_215 Depth=1
	v_cmp_ne_u16_sdwa s[18:19], v40, s9 src0_sel:BYTE_0 src1_sel:DWORD
	v_bfrev_b32_e32 v46, 1
	s_and_saveexec_b64 s[16:17], s[18:19]
	s_cbranch_execz .LBB618_556
; %bb.553:                              ;   in Loop: Header=BB618_215 Depth=1
	v_and_b32_e32 v42, 0x7f, v40
	v_cmp_ne_u32_e32 vcc, s21, v42
	v_mov_b32_e32 v46, 0x7f800001
	s_and_saveexec_b64 s[18:19], vcc
	s_cbranch_execz .LBB618_555
; %bb.554:                              ;   in Loop: Header=BB618_215 Depth=1
	v_and_b32_e32 v44, 7, v40
	v_ffbh_u32_e32 v50, v44
	v_min_u32_e32 v56, 32, v50
	v_subrev_u32_e32 v50, 28, v56
	v_lshlrev_b64 v[50:51], v50, v[40:41]
	v_lshrrev_b32_e32 v46, 3, v42
	v_sub_u32_e32 v51, 29, v56
	v_and_b32_e32 v50, 7, v50
	v_cmp_gt_u32_e32 vcc, 8, v42
	v_cndmask_b32_e32 v42, v46, v51, vcc
	v_cndmask_b32_e32 v44, v44, v50, vcc
	v_lshlrev_b32_e32 v46, 24, v40
	v_lshlrev_b32_e32 v44, 20, v44
	v_and_b32_e32 v46, 0x80000000, v46
	v_lshl_add_u32 v42, v42, 23, v55
	v_or3_b32 v46, v46, v42, v44
.LBB618_555:                            ;   in Loop: Header=BB618_215 Depth=1
	s_or_b64 exec, exec, s[18:19]
.LBB618_556:                            ;   in Loop: Header=BB618_215 Depth=1
	s_or_b64 exec, exec, s[16:17]
.LBB618_557:                            ;   in Loop: Header=BB618_215 Depth=1
	s_or_b64 exec, exec, s[14:15]
	v_lshrrev_b16_e32 v42, 8, v40
	v_cmp_ne_u16_e32 vcc, 0, v42
	v_mov_b32_e32 v44, 0
	v_mov_b32_e32 v50, 0
	s_and_saveexec_b64 s[14:15], vcc
	s_cbranch_execz .LBB618_563
; %bb.558:                              ;   in Loop: Header=BB618_215 Depth=1
	v_cmp_ne_u16_e32 vcc, s9, v42
	v_bfrev_b32_e32 v50, 1
	s_and_saveexec_b64 s[16:17], vcc
	s_cbranch_execz .LBB618_562
; %bb.559:                              ;   in Loop: Header=BB618_215 Depth=1
	v_and_b32_e32 v51, 0x7f, v42
	v_cmp_ne_u32_e32 vcc, s21, v51
	v_mov_b32_e32 v50, 0x7f800001
	s_and_saveexec_b64 s[18:19], vcc
	s_cbranch_execz .LBB618_561
; %bb.560:                              ;   in Loop: Header=BB618_215 Depth=1
	v_and_b32_e32 v50, 7, v42
	v_ffbh_u32_e32 v56, v50
	v_min_u32_e32 v59, 32, v56
	v_subrev_u32_e32 v56, 28, v59
	v_lshlrev_b64 v[56:57], v56, v[42:43]
	v_lshrrev_b32_e32 v58, 3, v51
	v_sub_u32_e32 v42, 29, v59
	v_and_b32_e32 v56, 7, v56
	v_cmp_gt_u32_e32 vcc, 8, v51
	v_cndmask_b32_e32 v42, v58, v42, vcc
	v_cndmask_b32_e32 v50, v50, v56, vcc
	v_lshlrev_b32_e32 v51, 16, v40
	v_lshlrev_b32_e32 v50, 20, v50
	v_and_b32_e32 v51, 0x80000000, v51
	v_lshl_add_u32 v42, v42, 23, v55
	v_or3_b32 v50, v51, v42, v50
.LBB618_561:                            ;   in Loop: Header=BB618_215 Depth=1
	s_or_b64 exec, exec, s[18:19]
.LBB618_562:                            ;   in Loop: Header=BB618_215 Depth=1
	s_or_b64 exec, exec, s[16:17]
.LBB618_563:                            ;   in Loop: Header=BB618_215 Depth=1
	s_or_b64 exec, exec, s[14:15]
	v_lshrrev_b32_e32 v42, 16, v40
	v_cmp_ne_u16_sdwa s[16:17], v42, v54 src0_sel:BYTE_0 src1_sel:DWORD
	s_and_saveexec_b64 s[14:15], s[16:17]
	s_cbranch_execz .LBB618_569
; %bb.564:                              ;   in Loop: Header=BB618_215 Depth=1
	v_cmp_ne_u16_sdwa s[18:19], v42, s9 src0_sel:BYTE_0 src1_sel:DWORD
	v_bfrev_b32_e32 v44, 1
	s_and_saveexec_b64 s[16:17], s[18:19]
	s_cbranch_execz .LBB618_568
; %bb.565:                              ;   in Loop: Header=BB618_215 Depth=1
	v_bfe_u32 v51, v40, 16, 7
	v_cmp_ne_u32_e32 vcc, s21, v51
	v_mov_b32_e32 v44, 0x7f800001
	s_and_saveexec_b64 s[18:19], vcc
	s_cbranch_execz .LBB618_567
; %bb.566:                              ;   in Loop: Header=BB618_215 Depth=1
	v_and_b32_e32 v44, 7, v42
	v_ffbh_u32_e32 v56, v44
	v_min_u32_e32 v59, 32, v56
	v_subrev_u32_e32 v56, 28, v59
	v_lshlrev_b64 v[56:57], v56, v[42:43]
	v_lshrrev_b32_e32 v58, 3, v51
	v_sub_u32_e32 v57, 29, v59
	v_and_b32_e32 v56, 7, v56
	v_cmp_gt_u32_e32 vcc, 8, v51
	v_cndmask_b32_e32 v51, v58, v57, vcc
	v_cndmask_b32_e32 v44, v44, v56, vcc
	v_lshlrev_b32_e32 v42, 24, v42
	v_lshlrev_b32_e32 v44, 20, v44
	v_and_b32_e32 v42, 0x80000000, v42
	v_lshl_add_u32 v51, v51, 23, v55
	v_or3_b32 v44, v42, v51, v44
.LBB618_567:                            ;   in Loop: Header=BB618_215 Depth=1
	s_or_b64 exec, exec, s[18:19]
.LBB618_568:                            ;   in Loop: Header=BB618_215 Depth=1
	s_or_b64 exec, exec, s[16:17]
.LBB618_569:                            ;   in Loop: Header=BB618_215 Depth=1
	s_or_b64 exec, exec, s[14:15]
	v_cmp_lt_u32_e32 vcc, s22, v40
	v_mov_b32_e32 v51, 0
	v_mov_b32_e32 v56, 0
	s_and_saveexec_b64 s[14:15], vcc
	s_cbranch_execz .LBB618_575
; %bb.570:                              ;   in Loop: Header=BB618_215 Depth=1
	v_lshrrev_b32_e32 v42, 24, v40
	v_cmp_ne_u32_e32 vcc, s9, v42
	v_bfrev_b32_e32 v56, 1
	s_and_saveexec_b64 s[16:17], vcc
	s_cbranch_execz .LBB618_574
; %bb.571:                              ;   in Loop: Header=BB618_215 Depth=1
	v_bfe_u32 v40, v40, 24, 7
	v_cmp_ne_u32_e32 vcc, s21, v40
	v_mov_b32_e32 v56, 0x7f800001
	s_and_saveexec_b64 s[18:19], vcc
	s_cbranch_execz .LBB618_573
; %bb.572:                              ;   in Loop: Header=BB618_215 Depth=1
	v_and_b32_e32 v58, 7, v42
	v_ffbh_u32_e32 v56, v58
	v_min_u32_e32 v60, 32, v56
	v_subrev_u32_e32 v56, 28, v60
	v_lshlrev_b64 v[56:57], v56, v[42:43]
	v_lshrrev_b32_e32 v59, 3, v40
	v_sub_u32_e32 v57, 29, v60
	v_and_b32_e32 v56, 7, v56
	v_cmp_gt_u32_e32 vcc, 8, v40
	v_cndmask_b32_e32 v40, v59, v57, vcc
	v_cndmask_b32_e32 v56, v58, v56, vcc
	v_lshlrev_b32_e32 v42, 24, v42
	v_lshlrev_b32_e32 v56, 20, v56
	v_and_b32_e32 v42, 0x80000000, v42
	v_lshl_add_u32 v40, v40, 23, v55
	v_or3_b32 v56, v42, v40, v56
.LBB618_573:                            ;   in Loop: Header=BB618_215 Depth=1
	s_or_b64 exec, exec, s[18:19]
.LBB618_574:                            ;   in Loop: Header=BB618_215 Depth=1
	s_or_b64 exec, exec, s[16:17]
.LBB618_575:                            ;   in Loop: Header=BB618_215 Depth=1
	s_or_b64 exec, exec, s[14:15]
	s_waitcnt vmcnt(0)
	v_cmp_ne_u16_sdwa s[16:17], v38, v54 src0_sel:BYTE_0 src1_sel:DWORD
	s_and_saveexec_b64 s[14:15], s[16:17]
	s_cbranch_execz .LBB618_581
; %bb.576:                              ;   in Loop: Header=BB618_215 Depth=1
	v_cmp_ne_u16_sdwa s[18:19], v38, s9 src0_sel:BYTE_0 src1_sel:DWORD
	v_bfrev_b32_e32 v51, 1
	s_and_saveexec_b64 s[16:17], s[18:19]
	s_cbranch_execz .LBB618_580
; %bb.577:                              ;   in Loop: Header=BB618_215 Depth=1
	v_and_b32_e32 v40, 0x7f, v38
	v_cmp_ne_u32_e32 vcc, s21, v40
	v_mov_b32_e32 v51, 0x7f800001
	s_and_saveexec_b64 s[18:19], vcc
	s_cbranch_execz .LBB618_579
; %bb.578:                              ;   in Loop: Header=BB618_215 Depth=1
	v_and_b32_e32 v42, 7, v38
	v_ffbh_u32_e32 v57, v42
	v_min_u32_e32 v57, 32, v57
	v_subrev_u32_e32 v58, 28, v57
	v_lshlrev_b64 v[58:59], v58, v[38:39]
	v_lshrrev_b32_e32 v51, 3, v40
	v_sub_u32_e32 v57, 29, v57
	v_and_b32_e32 v58, 7, v58
	v_cmp_gt_u32_e32 vcc, 8, v40
	v_cndmask_b32_e32 v40, v51, v57, vcc
	v_cndmask_b32_e32 v42, v42, v58, vcc
	v_lshlrev_b32_e32 v51, 24, v38
	v_lshlrev_b32_e32 v42, 20, v42
	v_and_b32_e32 v51, 0x80000000, v51
	v_lshl_add_u32 v40, v40, 23, v55
	v_or3_b32 v51, v51, v40, v42
.LBB618_579:                            ;   in Loop: Header=BB618_215 Depth=1
	s_or_b64 exec, exec, s[18:19]
.LBB618_580:                            ;   in Loop: Header=BB618_215 Depth=1
	s_or_b64 exec, exec, s[16:17]
.LBB618_581:                            ;   in Loop: Header=BB618_215 Depth=1
	s_or_b64 exec, exec, s[14:15]
	v_lshrrev_b16_e32 v40, 8, v38
	v_cmp_ne_u16_e32 vcc, 0, v40
	v_mov_b32_e32 v42, 0
	v_mov_b32_e32 v57, 0
	s_and_saveexec_b64 s[14:15], vcc
	s_cbranch_execz .LBB618_587
; %bb.582:                              ;   in Loop: Header=BB618_215 Depth=1
	v_cmp_ne_u16_e32 vcc, s9, v40
	v_bfrev_b32_e32 v57, 1
	s_and_saveexec_b64 s[16:17], vcc
	s_cbranch_execz .LBB618_586
; %bb.583:                              ;   in Loop: Header=BB618_215 Depth=1
	v_and_b32_e32 v58, 0x7f, v40
	v_cmp_ne_u32_e32 vcc, s21, v58
	v_mov_b32_e32 v57, 0x7f800001
	s_and_saveexec_b64 s[18:19], vcc
	s_cbranch_execz .LBB618_585
; %bb.584:                              ;   in Loop: Header=BB618_215 Depth=1
	v_and_b32_e32 v57, 7, v40
	v_ffbh_u32_e32 v60, v57
	v_min_u32_e32 v62, 32, v60
	v_subrev_u32_e32 v60, 28, v62
	v_lshlrev_b64 v[60:61], v60, v[40:41]
	v_lshrrev_b32_e32 v59, 3, v58
	v_sub_u32_e32 v40, 29, v62
	v_and_b32_e32 v60, 7, v60
	v_cmp_gt_u32_e32 vcc, 8, v58
	v_cndmask_b32_e32 v40, v59, v40, vcc
	v_cndmask_b32_e32 v57, v57, v60, vcc
	v_lshlrev_b32_e32 v58, 16, v38
	v_lshlrev_b32_e32 v57, 20, v57
	v_and_b32_e32 v58, 0x80000000, v58
	v_lshl_add_u32 v40, v40, 23, v55
	v_or3_b32 v57, v58, v40, v57
.LBB618_585:                            ;   in Loop: Header=BB618_215 Depth=1
	s_or_b64 exec, exec, s[18:19]
.LBB618_586:                            ;   in Loop: Header=BB618_215 Depth=1
	s_or_b64 exec, exec, s[16:17]
.LBB618_587:                            ;   in Loop: Header=BB618_215 Depth=1
	s_or_b64 exec, exec, s[14:15]
	v_lshrrev_b32_e32 v40, 16, v38
	v_cmp_ne_u16_sdwa s[16:17], v40, v54 src0_sel:BYTE_0 src1_sel:DWORD
	s_and_saveexec_b64 s[14:15], s[16:17]
	s_cbranch_execz .LBB618_593
; %bb.588:                              ;   in Loop: Header=BB618_215 Depth=1
	v_cmp_ne_u16_sdwa s[18:19], v40, s9 src0_sel:BYTE_0 src1_sel:DWORD
	v_bfrev_b32_e32 v42, 1
	s_and_saveexec_b64 s[16:17], s[18:19]
	s_cbranch_execz .LBB618_592
; %bb.589:                              ;   in Loop: Header=BB618_215 Depth=1
	v_bfe_u32 v58, v38, 16, 7
	v_cmp_ne_u32_e32 vcc, s21, v58
	v_mov_b32_e32 v42, 0x7f800001
	s_and_saveexec_b64 s[18:19], vcc
	s_cbranch_execz .LBB618_591
; %bb.590:                              ;   in Loop: Header=BB618_215 Depth=1
	v_and_b32_e32 v42, 7, v40
	v_ffbh_u32_e32 v60, v42
	v_min_u32_e32 v62, 32, v60
	v_subrev_u32_e32 v60, 28, v62
	v_lshlrev_b64 v[60:61], v60, v[40:41]
	v_lshrrev_b32_e32 v59, 3, v58
	v_sub_u32_e32 v61, 29, v62
	v_and_b32_e32 v60, 7, v60
	v_cmp_gt_u32_e32 vcc, 8, v58
	v_cndmask_b32_e32 v58, v59, v61, vcc
	v_cndmask_b32_e32 v42, v42, v60, vcc
	v_lshlrev_b32_e32 v40, 24, v40
	v_lshlrev_b32_e32 v42, 20, v42
	v_and_b32_e32 v40, 0x80000000, v40
	v_lshl_add_u32 v58, v58, 23, v55
	v_or3_b32 v42, v40, v58, v42
.LBB618_591:                            ;   in Loop: Header=BB618_215 Depth=1
	s_or_b64 exec, exec, s[18:19]
.LBB618_592:                            ;   in Loop: Header=BB618_215 Depth=1
	s_or_b64 exec, exec, s[16:17]
.LBB618_593:                            ;   in Loop: Header=BB618_215 Depth=1
	s_or_b64 exec, exec, s[14:15]
	v_cmp_lt_u32_e32 vcc, s22, v38
	v_mov_b32_e32 v58, 0
	s_and_saveexec_b64 s[14:15], vcc
	s_cbranch_execz .LBB618_214
; %bb.594:                              ;   in Loop: Header=BB618_215 Depth=1
	v_lshrrev_b32_e32 v40, 24, v38
	v_cmp_ne_u32_e32 vcc, s9, v40
	v_bfrev_b32_e32 v58, 1
	s_and_saveexec_b64 s[16:17], vcc
	s_cbranch_execz .LBB618_213
; %bb.595:                              ;   in Loop: Header=BB618_215 Depth=1
	v_bfe_u32 v38, v38, 24, 7
	v_cmp_ne_u32_e32 vcc, s21, v38
	v_mov_b32_e32 v58, 0x7f800001
	s_and_saveexec_b64 s[18:19], vcc
	s_cbranch_execz .LBB618_212
; %bb.596:                              ;   in Loop: Header=BB618_215 Depth=1
	v_and_b32_e32 v60, 7, v40
	v_ffbh_u32_e32 v58, v60
	v_min_u32_e32 v62, 32, v58
	v_subrev_u32_e32 v58, 28, v62
	v_lshlrev_b64 v[58:59], v58, v[40:41]
	v_lshrrev_b32_e32 v61, 3, v38
	v_sub_u32_e32 v59, 29, v62
	v_and_b32_e32 v58, 7, v58
	v_cmp_gt_u32_e32 vcc, 8, v38
	v_cndmask_b32_e32 v38, v61, v59, vcc
	v_cndmask_b32_e32 v58, v60, v58, vcc
	v_lshlrev_b32_e32 v40, 24, v40
	v_lshlrev_b32_e32 v58, 20, v58
	v_and_b32_e32 v40, 0x80000000, v40
	v_lshl_add_u32 v38, v38, 23, v55
	v_or3_b32 v58, v40, v38, v58
	s_branch .LBB618_212
.LBB618_597:
	s_barrier
	buffer_load_dword v2, off, s[0:3], 0 offset:320
	buffer_load_dword v5, off, s[0:3], 0 offset:332
	;; [unrolled: 1-line block ×4, first 2 shown]
	v_cmp_gt_u32_e32 vcc, 64, v0
	s_waitcnt vmcnt(0)
	ds_write2st64_b64 v52, v[2:3], v[4:5] offset1:1
	s_waitcnt lgkmcnt(0)
	s_barrier
	s_and_saveexec_b64 s[6:7], vcc
	s_cbranch_execz .LBB618_600
; %bb.598:
	s_lshl_b32 s6, s48, 7
	s_mul_i32 s7, s20, s8
	s_mul_hi_u32 s11, s7, s6
	s_mul_i32 s10, s7, s6
	s_lshl_b64 s[10:11], s[10:11], 1
	v_lshlrev_b32_e32 v4, 6, v41
	s_add_u32 s7, s50, s10
	v_lshl_or_b32 v0, v0, 10, v4
	s_mov_b32 s9, 0
	s_addc_u32 s10, s51, s11
	s_lshl_b32 s8, s26, 7
	v_lshlrev_b32_e32 v2, 5, v1
	v_and_b32_e32 v3, 16, v43
	v_and_b32_e32 v0, 0x1a00, v0
	s_lshl_b64 s[8:9], s[8:9], 1
	v_or3_b32 v0, v0, v2, v3
	s_add_u32 s7, s7, s8
	ds_read_b128 v[4:7], v0 offset:256
	s_addc_u32 s8, s10, s9
	ds_read_b128 v[8:11], v0 offset:128
	ds_read_b128 v[12:15], v0
	v_add_u32_e32 v18, s27, v1
	v_mov_b32_e32 v3, s8
	v_add_co_u32_e32 v2, vcc, s7, v39
	v_mad_u64_u32 v[16:17], s[8:9], v18, s6, 0
	v_addc_co_u32_e32 v3, vcc, 0, v3, vcc
	v_lshlrev_b64 v[16:17], 1, v[16:17]
	v_add_co_u32_e32 v16, vcc, v2, v16
	v_addc_co_u32_e32 v17, vcc, v3, v17, vcc
	s_waitcnt lgkmcnt(0)
	global_store_dwordx4 v[16:17], v[12:15], off
	s_nop 0
	v_add_u32_e32 v12, 4, v18
	v_mad_u64_u32 v[12:13], s[8:9], v12, s6, 0
	v_lshlrev_b64 v[12:13], 1, v[12:13]
	v_add_co_u32_e32 v12, vcc, v2, v12
	v_addc_co_u32_e32 v13, vcc, v3, v13, vcc
	global_store_dwordx4 v[12:13], v[8:11], off
	s_nop 0
	v_add_u32_e32 v8, 8, v18
	v_mad_u64_u32 v[8:9], s[8:9], v8, s6, 0
	v_lshlrev_b64 v[8:9], 1, v[8:9]
	v_add_co_u32_e32 v8, vcc, v2, v8
	v_addc_co_u32_e32 v9, vcc, v3, v9, vcc
	global_store_dwordx4 v[8:9], v[4:7], off
	s_and_b64 exec, exec, s[4:5]
	s_cbranch_execz .LBB618_600
; %bb.599:
	ds_read_b128 v[4:7], v0 offset:384
	v_add3_u32 v0, s27, v1, 12
	v_mad_u64_u32 v[0:1], s[4:5], v0, s6, 0
	v_lshlrev_b64 v[0:1], 1, v[0:1]
	v_add_co_u32_e32 v0, vcc, v2, v0
	v_addc_co_u32_e32 v1, vcc, v3, v1, vcc
	s_waitcnt lgkmcnt(0)
	global_store_dwordx4 v[0:1], v[4:7], off
.LBB618_600:
	s_endpgm
	.section	.rodata,"a",@progbits
	.p2align	6, 0x0
	.amdhsa_kernel _Z39paged_attention_ll4mi_QKV_mfma16_kernelIDF16_hLN4vllm18Fp8KVCacheDataTypeE1EDF16_Li16ELi128ELi256ELb1ELi13EL8MFMAType0EEvPKT_PKT0_S8_ifPKiSA_SA_iPKfiiiPfSD_PS3_PT2_iSC_SC_
		.amdhsa_group_segment_fixed_size 8192
		.amdhsa_private_segment_fixed_size 352
		.amdhsa_kernarg_size 400
		.amdhsa_user_sgpr_count 8
		.amdhsa_user_sgpr_private_segment_buffer 1
		.amdhsa_user_sgpr_dispatch_ptr 0
		.amdhsa_user_sgpr_queue_ptr 0
		.amdhsa_user_sgpr_kernarg_segment_ptr 1
		.amdhsa_user_sgpr_dispatch_id 0
		.amdhsa_user_sgpr_flat_scratch_init 1
		.amdhsa_user_sgpr_kernarg_preload_length 0
		.amdhsa_user_sgpr_kernarg_preload_offset 0
		.amdhsa_user_sgpr_private_segment_size 0
		.amdhsa_uses_dynamic_stack 0
		.amdhsa_system_sgpr_private_segment_wavefront_offset 1
		.amdhsa_system_sgpr_workgroup_id_x 1
		.amdhsa_system_sgpr_workgroup_id_y 1
		.amdhsa_system_sgpr_workgroup_id_z 1
		.amdhsa_system_sgpr_workgroup_info 0
		.amdhsa_system_vgpr_workitem_id 0
		.amdhsa_next_free_vgpr 80
		.amdhsa_next_free_sgpr 53
		.amdhsa_accum_offset 80
		.amdhsa_reserve_vcc 1
		.amdhsa_reserve_flat_scratch 0
		.amdhsa_float_round_mode_32 0
		.amdhsa_float_round_mode_16_64 0
		.amdhsa_float_denorm_mode_32 3
		.amdhsa_float_denorm_mode_16_64 3
		.amdhsa_dx10_clamp 1
		.amdhsa_ieee_mode 1
		.amdhsa_fp16_overflow 0
		.amdhsa_tg_split 0
		.amdhsa_exception_fp_ieee_invalid_op 0
		.amdhsa_exception_fp_denorm_src 0
		.amdhsa_exception_fp_ieee_div_zero 0
		.amdhsa_exception_fp_ieee_overflow 0
		.amdhsa_exception_fp_ieee_underflow 0
		.amdhsa_exception_fp_ieee_inexact 0
		.amdhsa_exception_int_div_zero 0
	.end_amdhsa_kernel
	.section	.text._Z39paged_attention_ll4mi_QKV_mfma16_kernelIDF16_hLN4vllm18Fp8KVCacheDataTypeE1EDF16_Li16ELi128ELi256ELb1ELi13EL8MFMAType0EEvPKT_PKT0_S8_ifPKiSA_SA_iPKfiiiPfSD_PS3_PT2_iSC_SC_,"axG",@progbits,_Z39paged_attention_ll4mi_QKV_mfma16_kernelIDF16_hLN4vllm18Fp8KVCacheDataTypeE1EDF16_Li16ELi128ELi256ELb1ELi13EL8MFMAType0EEvPKT_PKT0_S8_ifPKiSA_SA_iPKfiiiPfSD_PS3_PT2_iSC_SC_,comdat
.Lfunc_end618:
	.size	_Z39paged_attention_ll4mi_QKV_mfma16_kernelIDF16_hLN4vllm18Fp8KVCacheDataTypeE1EDF16_Li16ELi128ELi256ELb1ELi13EL8MFMAType0EEvPKT_PKT0_S8_ifPKiSA_SA_iPKfiiiPfSD_PS3_PT2_iSC_SC_, .Lfunc_end618-_Z39paged_attention_ll4mi_QKV_mfma16_kernelIDF16_hLN4vllm18Fp8KVCacheDataTypeE1EDF16_Li16ELi128ELi256ELb1ELi13EL8MFMAType0EEvPKT_PKT0_S8_ifPKiSA_SA_iPKfiiiPfSD_PS3_PT2_iSC_SC_
                                        ; -- End function
	.section	.AMDGPU.csdata,"",@progbits
; Kernel info:
; codeLenInByte = 21504
; NumSgprs: 57
; NumVgprs: 80
; NumAgprs: 0
; TotalNumVgprs: 80
; ScratchSize: 352
; MemoryBound: 0
; FloatMode: 240
; IeeeMode: 1
; LDSByteSize: 8192 bytes/workgroup (compile time only)
; SGPRBlocks: 7
; VGPRBlocks: 9
; NumSGPRsForWavesPerEU: 57
; NumVGPRsForWavesPerEU: 80
; AccumOffset: 80
; Occupancy: 6
; WaveLimiterHint : 1
; COMPUTE_PGM_RSRC2:SCRATCH_EN: 1
; COMPUTE_PGM_RSRC2:USER_SGPR: 8
; COMPUTE_PGM_RSRC2:TRAP_HANDLER: 0
; COMPUTE_PGM_RSRC2:TGID_X_EN: 1
; COMPUTE_PGM_RSRC2:TGID_Y_EN: 1
; COMPUTE_PGM_RSRC2:TGID_Z_EN: 1
; COMPUTE_PGM_RSRC2:TIDIG_COMP_CNT: 0
; COMPUTE_PGM_RSRC3_GFX90A:ACCUM_OFFSET: 19
; COMPUTE_PGM_RSRC3_GFX90A:TG_SPLIT: 0
	.section	.text._Z39paged_attention_ll4mi_QKV_mfma16_kernelIDF16_hLN4vllm18Fp8KVCacheDataTypeE1EDF16_Li16ELi128ELi256ELb1ELi14EL8MFMAType0EEvPKT_PKT0_S8_ifPKiSA_SA_iPKfiiiPfSD_PS3_PT2_iSC_SC_,"axG",@progbits,_Z39paged_attention_ll4mi_QKV_mfma16_kernelIDF16_hLN4vllm18Fp8KVCacheDataTypeE1EDF16_Li16ELi128ELi256ELb1ELi14EL8MFMAType0EEvPKT_PKT0_S8_ifPKiSA_SA_iPKfiiiPfSD_PS3_PT2_iSC_SC_,comdat
	.protected	_Z39paged_attention_ll4mi_QKV_mfma16_kernelIDF16_hLN4vllm18Fp8KVCacheDataTypeE1EDF16_Li16ELi128ELi256ELb1ELi14EL8MFMAType0EEvPKT_PKT0_S8_ifPKiSA_SA_iPKfiiiPfSD_PS3_PT2_iSC_SC_ ; -- Begin function _Z39paged_attention_ll4mi_QKV_mfma16_kernelIDF16_hLN4vllm18Fp8KVCacheDataTypeE1EDF16_Li16ELi128ELi256ELb1ELi14EL8MFMAType0EEvPKT_PKT0_S8_ifPKiSA_SA_iPKfiiiPfSD_PS3_PT2_iSC_SC_
	.globl	_Z39paged_attention_ll4mi_QKV_mfma16_kernelIDF16_hLN4vllm18Fp8KVCacheDataTypeE1EDF16_Li16ELi128ELi256ELb1ELi14EL8MFMAType0EEvPKT_PKT0_S8_ifPKiSA_SA_iPKfiiiPfSD_PS3_PT2_iSC_SC_
	.p2align	8
	.type	_Z39paged_attention_ll4mi_QKV_mfma16_kernelIDF16_hLN4vllm18Fp8KVCacheDataTypeE1EDF16_Li16ELi128ELi256ELb1ELi14EL8MFMAType0EEvPKT_PKT0_S8_ifPKiSA_SA_iPKfiiiPfSD_PS3_PT2_iSC_SC_,@function
_Z39paged_attention_ll4mi_QKV_mfma16_kernelIDF16_hLN4vllm18Fp8KVCacheDataTypeE1EDF16_Li16ELi128ELi256ELb1ELi14EL8MFMAType0EEvPKT_PKT0_S8_ifPKiSA_SA_iPKfiiiPfSD_PS3_PT2_iSC_SC_: ; @_Z39paged_attention_ll4mi_QKV_mfma16_kernelIDF16_hLN4vllm18Fp8KVCacheDataTypeE1EDF16_Li16ELi128ELi256ELb1ELi14EL8MFMAType0EEvPKT_PKT0_S8_ifPKiSA_SA_iPKfiiiPfSD_PS3_PT2_iSC_SC_
; %bb.0:
	s_load_dwordx2 s[6:7], s[4:5], 0x30
	s_add_u32 s0, s0, s11
	s_addc_u32 s1, s1, 0
	s_mov_b32 s26, s9
	s_mov_b64 s[14:15], 0
	s_waitcnt lgkmcnt(0)
	s_cmp_lg_u64 s[6:7], 0
	s_cselect_b64 s[12:13], -1, 0
	s_and_b64 vcc, exec, s[12:13]
	s_cbranch_vccz .LBB619_7
; %bb.1:
	s_add_i32 s16, s8, 1
	s_mov_b32 s17, 0
	s_lshl_b64 s[18:19], s[16:17], 2
	s_add_u32 s18, s6, s18
	s_mov_b32 s9, s17
	s_addc_u32 s19, s7, s19
	s_lshl_b64 s[16:17], s[8:9], 2
	s_add_u32 s16, s6, s16
	s_addc_u32 s17, s7, s17
	s_load_dword s11, s[18:19], 0x0
	s_load_dword s20, s[16:17], 0x0
	s_waitcnt lgkmcnt(0)
	s_sub_i32 s11, s11, s20
	s_cmp_eq_u32 s11, 1
	s_cselect_b64 s[16:17], -1, 0
	s_andn2_b64 vcc, exec, s[14:15]
	s_cbranch_vccnz .LBB619_3
.LBB619_2:
	s_mov_b32 s9, 0
	s_mov_b64 s[16:17], -1
.LBB619_3:
	s_andn2_b64 vcc, exec, s[16:17]
	s_cbranch_vccnz .LBB619_600
; %bb.4:
	s_load_dwordx2 s[16:17], s[4:5], 0x28
	s_lshl_b64 s[14:15], s[8:9], 2
	s_waitcnt lgkmcnt(0)
	s_add_u32 s16, s16, s14
	s_addc_u32 s17, s17, s15
	s_load_dword s33, s[16:17], 0x0
	s_lshl_b32 s20, s26, 8
	s_waitcnt lgkmcnt(0)
	s_cmp_ge_i32 s20, s33
	s_cbranch_scc1 .LBB619_600
; %bb.5:
	s_add_i32 s18, s33, 15
	s_load_dwordx2 s[16:17], s[4:5], 0x20
	s_load_dword s11, s[4:5], 0x38
	s_ashr_i32 s19, s18, 31
	v_and_b32_e32 v1, 0xcf, v0
	s_lshr_b32 s19, s19, 28
	v_add_u32_e32 v1, s20, v1
	s_add_i32 s18, s18, s19
	v_ashrrev_i32_e32 v2, 31, v1
	s_ashr_i32 s23, s18, 4
	v_lshrrev_b32_e32 v4, 28, v2
	s_add_i32 s23, s23, -1
	v_add_u32_e32 v2, v1, v4
	s_waitcnt lgkmcnt(0)
	s_mul_i32 s18, s8, s11
	s_mov_b32 s19, 0
	v_ashrrev_i32_e32 v2, 4, v2
	v_mov_b32_e32 v5, s23
	v_cmp_gt_i32_e32 vcc, s33, v1
	s_lshl_b64 s[18:19], s[18:19], 2
	v_cndmask_b32_e32 v2, v5, v2, vcc
	s_add_u32 s21, s16, s18
	v_ashrrev_i32_e32 v3, 31, v2
	s_addc_u32 s22, s17, s19
	v_lshlrev_b64 v[2:3], 2, v[2:3]
	v_mov_b32_e32 v7, s22
	v_add_co_u32_e32 v6, vcc, s21, v2
	v_or_b32_e32 v2, 16, v1
	v_addc_co_u32_e32 v7, vcc, v7, v3, vcc
	v_add_u32_e32 v3, v2, v4
	v_ashrrev_i32_e32 v3, 4, v3
	v_cmp_gt_i32_e32 vcc, s33, v2
	v_cndmask_b32_e32 v2, v5, v3, vcc
	v_ashrrev_i32_e32 v3, 31, v2
	v_lshlrev_b64 v[2:3], 2, v[2:3]
	v_mov_b32_e32 v9, s22
	v_add_co_u32_e32 v8, vcc, s21, v2
	v_or_b32_e32 v2, 32, v1
	v_addc_co_u32_e32 v9, vcc, v9, v3, vcc
	v_add_u32_e32 v3, v2, v4
	v_ashrrev_i32_e32 v3, 4, v3
	v_cmp_gt_i32_e32 vcc, s33, v2
	v_cndmask_b32_e32 v2, v5, v3, vcc
	v_ashrrev_i32_e32 v3, 31, v2
	v_lshlrev_b64 v[2:3], 2, v[2:3]
	v_mov_b32_e32 v11, s22
	v_add_co_u32_e32 v10, vcc, s21, v2
	v_or_b32_e32 v1, 48, v1
	v_addc_co_u32_e32 v11, vcc, v11, v3, vcc
	v_add_u32_e32 v2, v1, v4
	v_ashrrev_i32_e32 v2, 4, v2
	v_cmp_gt_i32_e32 vcc, s33, v1
	v_cndmask_b32_e32 v2, v5, v2, vcc
	v_ashrrev_i32_e32 v3, 31, v2
	v_lshlrev_b64 v[2:3], 2, v[2:3]
	v_mov_b32_e32 v1, s22
	v_add_co_u32_e32 v12, vcc, s21, v2
	v_addc_co_u32_e32 v13, vcc, v1, v3, vcc
	global_load_dword v5, v[6:7], off
	global_load_dword v4, v[8:9], off
	;; [unrolled: 1-line block ×4, first 2 shown]
	s_load_dwordx2 s[16:17], s[4:5], 0x8
	s_andn2_b64 vcc, exec, s[12:13]
	s_cbranch_vccnz .LBB619_8
; %bb.6:
	s_add_u32 s6, s6, s14
	s_addc_u32 s7, s7, s15
	s_load_dword s11, s[6:7], 0x0
	s_branch .LBB619_9
.LBB619_7:
	s_mov_b64 s[16:17], 0
	s_branch .LBB619_2
.LBB619_8:
	s_mov_b32 s11, s8
.LBB619_9:
	s_load_dwordx2 s[6:7], s[4:5], 0x10
	s_load_dwordx4 s[12:15], s[4:5], 0x48
	v_lshrrev_b32_e32 v27, 6, v0
	v_bfe_u32 v1, v0, 4, 2
	v_and_b32_e32 v41, 15, v0
	v_lshl_or_b32 v6, v27, 2, v1
	v_lshlrev_b32_e32 v7, 3, v41
	s_mul_i32 s27, s10, 14
	v_cmp_gt_u32_e32 vcc, 14, v6
	v_lshlrev_b32_e32 v39, 1, v7
	v_lshlrev_b32_e32 v43, 4, v0
	s_and_saveexec_b64 s[18:19], vcc
	s_cbranch_execz .LBB619_11
; %bb.10:
	s_load_dwordx2 s[24:25], s[4:5], 0x0
	s_waitcnt lgkmcnt(0)
	s_ashr_i32 s15, s12, 31
	s_mul_hi_u32 s28, s11, s12
	s_mul_i32 s15, s11, s15
	s_add_i32 s29, s28, s15
	s_mul_i32 s28, s11, s12
	s_lshl_b64 s[28:29], s[28:29], 1
	v_add_lshl_u32 v8, v6, s27, 7
	s_add_u32 s11, s24, s28
	v_ashrrev_i32_e32 v9, 31, v8
	s_addc_u32 s12, s25, s29
	v_lshlrev_b64 v[8:9], 1, v[8:9]
	v_mov_b32_e32 v7, s12
	v_add_co_u32_e32 v8, vcc, s11, v8
	v_addc_co_u32_e32 v7, vcc, v7, v9, vcc
	v_add_co_u32_e32 v8, vcc, v8, v39
	v_addc_co_u32_e32 v9, vcc, 0, v7, vcc
	global_load_dwordx4 v[8:11], v[8:9], off
	v_lshlrev_b32_e32 v12, 8, v0
	v_lshlrev_b32_e32 v7, 8, v41
	v_and_b32_e32 v12, 0x600, v12
	s_movk_i32 s11, 0x800
	v_and_or_b32 v7, v7, s11, v12
	v_lshlrev_b32_e32 v6, 5, v6
	v_and_b32_e32 v12, 16, v43
	v_or3_b32 v6, v7, v6, v12
	s_waitcnt vmcnt(0)
	ds_write_b128 v6, v[8:11]
.LBB619_11:
	s_or_b64 exec, exec, s[18:19]
	s_waitcnt lgkmcnt(0)
	s_mul_i32 s14, s10, s14
	s_add_u32 s10, s16, s14
	s_addc_u32 s11, s17, 0
	v_and_b32_e32 v6, 0xf0, v43
	v_mov_b32_e32 v7, s11
	v_add_co_u32_e32 v6, vcc, s10, v6
	v_and_b32_e32 v18, 48, v0
	v_addc_co_u32_e32 v7, vcc, 0, v7, vcc
	v_lshlrev_b32_e32 v10, 4, v18
	s_waitcnt vmcnt(3)
	v_mad_i64_i32 v[8:9], s[10:11], v5, s13, v[6:7]
	v_add_co_u32_e32 v8, vcc, v8, v10
	v_addc_co_u32_e32 v9, vcc, 0, v9, vcc
	s_waitcnt vmcnt(2)
	v_mad_i64_i32 v[4:5], s[10:11], v4, s13, v[6:7]
	v_add_co_u32_e32 v4, vcc, v4, v10
	v_addc_co_u32_e32 v5, vcc, 0, v5, vcc
	s_load_dwordx2 s[48:49], s[4:5], 0x94
	s_waitcnt lgkmcnt(0)
	s_barrier
	global_load_dwordx4 v[20:23], v[8:9], off
	global_load_dwordx4 v[28:31], v[8:9], off offset:1024
	global_load_dwordx4 v[32:35], v[4:5], off
	global_load_dwordx4 v[44:47], v[4:5], off offset:1024
	s_waitcnt vmcnt(5)
	v_mad_i64_i32 v[4:5], s[10:11], v3, s13, v[6:7]
	v_add_co_u32_e32 v4, vcc, v4, v10
	v_addc_co_u32_e32 v5, vcc, 0, v5, vcc
	s_waitcnt vmcnt(4)
	v_mad_i64_i32 v[2:3], s[10:11], v2, s13, v[6:7]
	v_add_co_u32_e32 v2, vcc, v2, v10
	v_addc_co_u32_e32 v3, vcc, 0, v3, vcc
	global_load_dwordx4 v[48:51], v[4:5], off
	global_load_dwordx4 v[52:55], v[4:5], off offset:1024
	global_load_dwordx4 v[56:59], v[2:3], off
	global_load_dwordx4 v[60:63], v[2:3], off offset:1024
	v_add_u32_e32 v2, -14, v41
	v_cmp_gt_u32_e32 vcc, 14, v41
	v_cndmask_b32_e32 v2, v2, v41, vcc
	v_lshlrev_b32_e32 v2, 5, v2
	v_lshl_add_u32 v14, v1, 9, v2
	s_load_dwordx2 s[50:51], s[4:5], 0x68
	s_load_dwordx4 s[44:47], s[4:5], 0x58
	ds_read_b128 v[2:5], v14
	ds_read_b128 v[6:9], v14 offset:16
	ds_read_b128 v[10:13], v14 offset:2048
	;; [unrolled: 1-line block ×3, first 2 shown]
	s_mov_b32 s12, 0
	s_waitcnt vmcnt(7)
	buffer_store_dword v23, off, s[0:3], 0 offset:12
	buffer_store_dword v22, off, s[0:3], 0 offset:8
	;; [unrolled: 1-line block ×3, first 2 shown]
	buffer_store_dword v20, off, s[0:3], 0
	s_waitcnt vmcnt(10)
	buffer_store_dword v31, off, s[0:3], 0 offset:28
	buffer_store_dword v30, off, s[0:3], 0 offset:24
	buffer_store_dword v29, off, s[0:3], 0 offset:20
	buffer_store_dword v28, off, s[0:3], 0 offset:16
	s_waitcnt vmcnt(13)
	buffer_store_dword v35, off, s[0:3], 0 offset:44
	buffer_store_dword v34, off, s[0:3], 0 offset:40
	buffer_store_dword v33, off, s[0:3], 0 offset:36
	buffer_store_dword v32, off, s[0:3], 0 offset:32
	;; [unrolled: 5-line block ×7, first 2 shown]
	v_mov_b32_e32 v35, 0
	v_mov_b32_e32 v31, 0
	s_and_saveexec_b64 s[10:11], vcc
	s_cbranch_execz .LBB619_13
; %bb.12:
	s_load_dwordx2 s[16:17], s[4:5], 0x40
	v_add_u32_e32 v20, s27, v41
	v_ashrrev_i32_e32 v21, 31, v20
	v_lshlrev_b64 v[20:21], 2, v[20:21]
	s_waitcnt lgkmcnt(0)
	v_mov_b32_e32 v19, s17
	v_add_co_u32_e32 v20, vcc, s16, v20
	v_addc_co_u32_e32 v21, vcc, v19, v21, vcc
	global_load_dword v31, v[20:21], off
.LBB619_13:
	s_or_b64 exec, exec, s[10:11]
	v_or_b32_e32 v22, s20, v18
	v_ashrrev_i32_e32 v18, 4, v22
	v_mov_b32_e32 v23, s23
	v_cmp_gt_i32_e32 vcc, s33, v22
	v_cndmask_b32_e32 v18, v23, v18, vcc
	v_ashrrev_i32_e32 v19, 31, v18
	v_lshlrev_b64 v[18:19], 2, v[18:19]
	v_mov_b32_e32 v20, s22
	v_add_co_u32_e32 v18, vcc, s21, v18
	v_addc_co_u32_e32 v19, vcc, v20, v19, vcc
	global_load_dword v26, v[18:19], off
	v_or_b32_e32 v18, 64, v22
	v_ashrrev_i32_e32 v19, 4, v18
	v_cmp_gt_i32_e32 vcc, s33, v18
	v_cndmask_b32_e32 v18, v23, v19, vcc
	v_ashrrev_i32_e32 v19, 31, v18
	v_lshlrev_b64 v[18:19], 2, v[18:19]
	v_add_co_u32_e32 v18, vcc, s21, v18
	v_addc_co_u32_e32 v19, vcc, v20, v19, vcc
	v_or_b32_e32 v20, 0x80, v22
	v_ashrrev_i32_e32 v21, 4, v20
	v_cmp_gt_i32_e32 vcc, s33, v20
	v_cndmask_b32_e32 v20, v23, v21, vcc
	v_ashrrev_i32_e32 v21, 31, v20
	v_lshlrev_b64 v[20:21], 2, v[20:21]
	v_mov_b32_e32 v24, s22
	v_add_co_u32_e32 v20, vcc, s21, v20
	v_addc_co_u32_e32 v21, vcc, v24, v21, vcc
	global_load_dword v28, v[18:19], off
	global_load_dword v30, v[20:21], off
	v_or_b32_e32 v18, 0xc0, v22
	v_ashrrev_i32_e32 v19, 4, v18
	v_cmp_gt_i32_e32 vcc, s33, v18
	v_cndmask_b32_e32 v18, v23, v19, vcc
	v_ashrrev_i32_e32 v19, 31, v18
	v_lshlrev_b64 v[18:19], 2, v[18:19]
	v_mov_b32_e32 v20, s22
	v_add_co_u32_e32 v18, vcc, s21, v18
	v_addc_co_u32_e32 v19, vcc, v20, v19, vcc
	global_load_dword v34, v[18:19], off
	s_add_u32 s10, s6, s14
	v_lshl_or_b32 v29, v27, 4, v41
	s_addc_u32 s6, s7, 0
	v_lshlrev_b32_e32 v18, 4, v29
	v_mov_b32_e32 v19, s6
	v_add_co_u32_e32 v22, vcc, s10, v18
	v_addc_co_u32_e32 v23, vcc, 0, v19, vcc
	v_or_b32_e32 v24, 0x400, v18
	v_mov_b32_e32 v25, s6
	v_add_co_u32_e32 v24, vcc, s10, v24
	v_addc_co_u32_e32 v25, vcc, 0, v25, vcc
	v_mov_b32_e32 v36, 0
	s_movk_i32 s14, 0x7f
	s_mov_b32 s15, 0xffffff
	v_mov_b32_e32 v37, 0x100
	v_bfrev_b32_e32 v38, 60
	s_waitcnt vmcnt(3)
	v_mad_i64_i32 v[18:19], s[6:7], v26, s13, v[22:23]
	global_load_dwordx4 v[18:21], v[18:19], off
	v_mad_i64_i32 v[32:33], s[6:7], v26, s13, v[24:25]
	global_load_dwordx4 v[52:55], v[32:33], off
	s_waitcnt vmcnt(4)
	v_mad_i64_i32 v[32:33], s[6:7], v28, s13, v[22:23]
	global_load_dwordx4 v[56:59], v[32:33], off
	s_waitcnt vmcnt(4)
	;; [unrolled: 3-line block ×3, first 2 shown]
	v_mad_i64_i32 v[22:23], s[6:7], v34, s13, v[22:23]
	global_load_dwordx4 v[64:67], v[22:23], off
	v_mad_i64_i32 v[22:23], s[6:7], v28, s13, v[24:25]
	global_load_dwordx4 v[68:71], v[22:23], off
	;; [unrolled: 2-line block ×4, first 2 shown]
	s_load_dword s6, s[4:5], 0x1c
	s_load_dwordx4 s[40:43], s[4:5], 0x80
	v_mov_b32_e32 v22, 0x80
	v_add_u32_e32 v45, 16, v22
	v_add_u32_e32 v46, 32, v22
	;; [unrolled: 1-line block ×3, first 2 shown]
	s_waitcnt lgkmcnt(0)
	s_load_dword s4, s[40:41], 0x0
	v_add_u32_e32 v51, 64, v22
	v_add_u32_e32 v48, 0x50, v22
	;; [unrolled: 1-line block ×4, first 2 shown]
	v_mov_b32_e32 v22, s6
	s_waitcnt lgkmcnt(0)
	v_mul_f32_e32 v22, s4, v22
	v_and_b32_e32 v33, 63, v0
	s_movk_i32 s13, 0x80
	v_mov_b32_e32 v24, v22
	v_mov_b32_e32 v25, v22
	s_waitcnt vmcnt(7)
	buffer_store_dword v21, off, s[0:3], 0 offset:140
	buffer_store_dword v20, off, s[0:3], 0 offset:136
	buffer_store_dword v19, off, s[0:3], 0 offset:132
	buffer_store_dword v18, off, s[0:3], 0 offset:128
	s_waitcnt vmcnt(10)
	buffer_store_dword v55, off, s[0:3], 0 offset:156
	buffer_store_dword v54, off, s[0:3], 0 offset:152
	buffer_store_dword v53, off, s[0:3], 0 offset:148
	buffer_store_dword v52, off, s[0:3], 0 offset:144
	;; [unrolled: 5-line block ×8, first 2 shown]
	s_branch .LBB619_17
.LBB619_14:                             ;   in Loop: Header=BB619_17 Depth=1
	s_or_b64 exec, exec, s[10:11]
.LBB619_15:                             ;   in Loop: Header=BB619_17 Depth=1
	s_or_b64 exec, exec, s[6:7]
.LBB619_16:                             ;   in Loop: Header=BB619_17 Depth=1
	s_or_b64 exec, exec, s[4:5]
	v_cvt_pkrtz_f16_f32 v54, v34, v32
	v_cvt_pkrtz_f16_f32 v55, v23, v42
	v_add_u32_e32 v26, s12, v37
	s_add_i32 s12, s12, 16
	v_mov_b32_e32 v23, v22
	v_mfma_f32_16x16x16f16 v[18:21], v[54:55], v[14:15], v[18:21]
	v_cvt_pkrtz_f16_f32 v54, v40, v44
	v_cvt_pkrtz_f16_f32 v55, v30, v52
	s_cmp_eq_u32 s12, 64
	v_add_u32_e32 v36, 32, v36
	v_mfma_f32_16x16x16f16 v[18:21], v[54:55], v[16:17], v[18:21]
	s_nop 7
	s_nop 2
	v_pk_mul_f32 v[18:19], v[24:25], v[18:19]
	v_pk_mul_f32 v[20:21], v[22:23], v[20:21]
	buffer_store_dword v19, v26, s[0:3], 0 offen offset:4
	buffer_store_dword v18, v26, s[0:3], 0 offen
	buffer_store_dword v21, v26, s[0:3], 0 offen offset:12
	buffer_store_dword v20, v26, s[0:3], 0 offen offset:8
	s_cbranch_scc1 .LBB619_207
.LBB619_17:                             ; =>This Inner Loop Header: Depth=1
	buffer_load_dword v20, v36, s[0:3], 0 offen
	buffer_load_dword v18, v36, s[0:3], 0 offen offset:4
	buffer_load_dword v28, v36, s[0:3], 0 offen offset:8
	buffer_load_dword v26, v36, s[0:3], 0 offen offset:12
	v_mov_b32_e32 v19, 0
	v_mov_b32_e32 v21, 0
	s_waitcnt vmcnt(3)
	v_cmp_ne_u16_sdwa s[6:7], v20, v35 src0_sel:BYTE_0 src1_sel:DWORD
	s_and_saveexec_b64 s[4:5], s[6:7]
	s_cbranch_execz .LBB619_23
; %bb.18:                               ;   in Loop: Header=BB619_17 Depth=1
	v_cmp_ne_u16_sdwa s[10:11], v20, s13 src0_sel:BYTE_0 src1_sel:DWORD
	v_bfrev_b32_e32 v21, 1
	s_and_saveexec_b64 s[6:7], s[10:11]
	s_cbranch_execz .LBB619_22
; %bb.19:                               ;   in Loop: Header=BB619_17 Depth=1
	v_and_b32_e32 v23, 0x7f, v20
	v_cmp_ne_u32_e32 vcc, s14, v23
	v_mov_b32_e32 v21, 0x7f800001
	s_and_saveexec_b64 s[10:11], vcc
	s_cbranch_execz .LBB619_21
; %bb.20:                               ;   in Loop: Header=BB619_17 Depth=1
	v_and_b32_e32 v21, 7, v20
	v_ffbh_u32_e32 v32, v21
	v_min_u32_e32 v32, 32, v32
	v_subrev_u32_e32 v34, 28, v32
	v_lshlrev_b64 v[52:53], v34, v[20:21]
	v_lshrrev_b32_e32 v30, 3, v23
	v_sub_u32_e32 v32, 29, v32
	v_and_b32_e32 v34, 7, v52
	v_cmp_gt_u32_e32 vcc, 8, v23
	v_cndmask_b32_e32 v23, v30, v32, vcc
	v_cndmask_b32_e32 v21, v21, v34, vcc
	v_lshlrev_b32_e32 v30, 24, v20
	v_lshlrev_b32_e32 v21, 20, v21
	v_and_b32_e32 v30, 0x80000000, v30
	v_lshl_add_u32 v23, v23, 23, v38
	v_or3_b32 v21, v30, v23, v21
.LBB619_21:                             ;   in Loop: Header=BB619_17 Depth=1
	s_or_b64 exec, exec, s[10:11]
.LBB619_22:                             ;   in Loop: Header=BB619_17 Depth=1
	s_or_b64 exec, exec, s[6:7]
.LBB619_23:                             ;   in Loop: Header=BB619_17 Depth=1
	s_or_b64 exec, exec, s[4:5]
	v_lshrrev_b16_e32 v30, 8, v20
	v_cmp_ne_u16_e32 vcc, 0, v30
	s_and_saveexec_b64 s[4:5], vcc
	s_cbranch_execz .LBB619_29
; %bb.24:                               ;   in Loop: Header=BB619_17 Depth=1
	v_cmp_ne_u16_e32 vcc, s13, v30
	v_bfrev_b32_e32 v19, 1
	s_and_saveexec_b64 s[6:7], vcc
	s_cbranch_execz .LBB619_28
; %bb.25:                               ;   in Loop: Header=BB619_17 Depth=1
	v_and_b32_e32 v23, 0x7f, v30
	v_cmp_ne_u32_e32 vcc, s14, v23
	v_mov_b32_e32 v19, 0x7f800001
	s_and_saveexec_b64 s[10:11], vcc
	s_cbranch_execz .LBB619_27
; %bb.26:                               ;   in Loop: Header=BB619_17 Depth=1
	v_and_b32_e32 v19, 7, v30
	v_ffbh_u32_e32 v34, v19
	v_min_u32_e32 v34, 32, v34
	v_subrev_u32_e32 v40, 28, v34
	v_lshlrev_b64 v[52:53], v40, v[30:31]
	v_lshrrev_b32_e32 v32, 3, v23
	v_sub_u32_e32 v30, 29, v34
	v_and_b32_e32 v34, 7, v52
	v_cmp_gt_u32_e32 vcc, 8, v23
	v_cndmask_b32_e32 v23, v32, v30, vcc
	v_cndmask_b32_e32 v19, v19, v34, vcc
	v_lshlrev_b32_e32 v30, 16, v20
	v_lshlrev_b32_e32 v19, 20, v19
	v_and_b32_e32 v30, 0x80000000, v30
	v_lshl_add_u32 v23, v23, 23, v38
	v_or3_b32 v19, v30, v23, v19
.LBB619_27:                             ;   in Loop: Header=BB619_17 Depth=1
	s_or_b64 exec, exec, s[10:11]
.LBB619_28:                             ;   in Loop: Header=BB619_17 Depth=1
	s_or_b64 exec, exec, s[6:7]
.LBB619_29:                             ;   in Loop: Header=BB619_17 Depth=1
	s_or_b64 exec, exec, s[4:5]
	v_lshrrev_b32_e32 v30, 16, v20
	v_cmp_ne_u16_sdwa s[6:7], v30, v35 src0_sel:BYTE_0 src1_sel:DWORD
	v_mov_b32_e32 v32, 0
	v_mov_b32_e32 v23, 0
	s_and_saveexec_b64 s[4:5], s[6:7]
	s_cbranch_execz .LBB619_35
; %bb.30:                               ;   in Loop: Header=BB619_17 Depth=1
	v_cmp_ne_u16_sdwa s[10:11], v30, s13 src0_sel:BYTE_0 src1_sel:DWORD
	v_bfrev_b32_e32 v23, 1
	s_and_saveexec_b64 s[6:7], s[10:11]
	s_cbranch_execz .LBB619_34
; %bb.31:                               ;   in Loop: Header=BB619_17 Depth=1
	v_bfe_u32 v34, v20, 16, 7
	v_cmp_ne_u32_e32 vcc, s14, v34
	v_mov_b32_e32 v23, 0x7f800001
	s_and_saveexec_b64 s[10:11], vcc
	s_cbranch_execz .LBB619_33
; %bb.32:                               ;   in Loop: Header=BB619_17 Depth=1
	v_and_b32_e32 v23, 7, v30
	v_ffbh_u32_e32 v42, v23
	v_min_u32_e32 v42, 32, v42
	v_subrev_u32_e32 v44, 28, v42
	v_lshlrev_b64 v[52:53], v44, v[30:31]
	v_lshrrev_b32_e32 v40, 3, v34
	v_sub_u32_e32 v42, 29, v42
	v_and_b32_e32 v44, 7, v52
	v_cmp_gt_u32_e32 vcc, 8, v34
	v_cndmask_b32_e32 v34, v40, v42, vcc
	v_cndmask_b32_e32 v23, v23, v44, vcc
	v_lshlrev_b32_e32 v30, 24, v30
	v_lshlrev_b32_e32 v23, 20, v23
	v_and_b32_e32 v30, 0x80000000, v30
	v_lshl_add_u32 v34, v34, 23, v38
	v_or3_b32 v23, v30, v34, v23
.LBB619_33:                             ;   in Loop: Header=BB619_17 Depth=1
	s_or_b64 exec, exec, s[10:11]
.LBB619_34:                             ;   in Loop: Header=BB619_17 Depth=1
	s_or_b64 exec, exec, s[6:7]
.LBB619_35:                             ;   in Loop: Header=BB619_17 Depth=1
	s_or_b64 exec, exec, s[4:5]
	v_cmp_lt_u32_e32 vcc, s15, v20
	s_and_saveexec_b64 s[4:5], vcc
	s_cbranch_execz .LBB619_41
; %bb.36:                               ;   in Loop: Header=BB619_17 Depth=1
	v_lshrrev_b32_e32 v30, 24, v20
	v_cmp_ne_u32_e32 vcc, s13, v30
	v_bfrev_b32_e32 v32, 1
	s_and_saveexec_b64 s[6:7], vcc
	s_cbranch_execz .LBB619_40
; %bb.37:                               ;   in Loop: Header=BB619_17 Depth=1
	v_bfe_u32 v20, v20, 24, 7
	v_cmp_ne_u32_e32 vcc, s14, v20
	v_mov_b32_e32 v32, 0x7f800001
	s_and_saveexec_b64 s[10:11], vcc
	s_cbranch_execz .LBB619_39
; %bb.38:                               ;   in Loop: Header=BB619_17 Depth=1
	v_and_b32_e32 v32, 7, v30
	v_ffbh_u32_e32 v40, v32
	v_min_u32_e32 v40, 32, v40
	v_subrev_u32_e32 v42, 28, v40
	v_lshlrev_b64 v[52:53], v42, v[30:31]
	v_lshrrev_b32_e32 v34, 3, v20
	v_sub_u32_e32 v40, 29, v40
	v_and_b32_e32 v42, 7, v52
	v_cmp_gt_u32_e32 vcc, 8, v20
	v_cndmask_b32_e32 v20, v34, v40, vcc
	v_cndmask_b32_e32 v32, v32, v42, vcc
	v_lshlrev_b32_e32 v30, 24, v30
	v_lshlrev_b32_e32 v32, 20, v32
	v_and_b32_e32 v30, 0x80000000, v30
	v_lshl_add_u32 v20, v20, 23, v38
	v_or3_b32 v32, v30, v20, v32
.LBB619_39:                             ;   in Loop: Header=BB619_17 Depth=1
	s_or_b64 exec, exec, s[10:11]
.LBB619_40:                             ;   in Loop: Header=BB619_17 Depth=1
	s_or_b64 exec, exec, s[6:7]
.LBB619_41:                             ;   in Loop: Header=BB619_17 Depth=1
	s_or_b64 exec, exec, s[4:5]
	s_waitcnt vmcnt(2)
	v_cmp_ne_u16_sdwa s[6:7], v18, v35 src0_sel:BYTE_0 src1_sel:DWORD
	v_mov_b32_e32 v30, 0
	v_mov_b32_e32 v34, 0
	s_and_saveexec_b64 s[4:5], s[6:7]
	s_cbranch_execz .LBB619_47
; %bb.42:                               ;   in Loop: Header=BB619_17 Depth=1
	v_cmp_ne_u16_sdwa s[10:11], v18, s13 src0_sel:BYTE_0 src1_sel:DWORD
	v_bfrev_b32_e32 v34, 1
	s_and_saveexec_b64 s[6:7], s[10:11]
	s_cbranch_execz .LBB619_46
; %bb.43:                               ;   in Loop: Header=BB619_17 Depth=1
	v_and_b32_e32 v20, 0x7f, v18
	v_cmp_ne_u32_e32 vcc, s14, v20
	v_mov_b32_e32 v34, 0x7f800001
	s_and_saveexec_b64 s[10:11], vcc
	s_cbranch_execz .LBB619_45
; %bb.44:                               ;   in Loop: Header=BB619_17 Depth=1
	v_and_b32_e32 v34, 7, v18
	v_ffbh_u32_e32 v42, v34
	v_min_u32_e32 v42, 32, v42
	v_subrev_u32_e32 v44, 28, v42
	v_lshlrev_b64 v[52:53], v44, v[18:19]
	v_lshrrev_b32_e32 v40, 3, v20
	v_sub_u32_e32 v42, 29, v42
	v_and_b32_e32 v44, 7, v52
	v_cmp_gt_u32_e32 vcc, 8, v20
	v_cndmask_b32_e32 v20, v40, v42, vcc
	v_cndmask_b32_e32 v34, v34, v44, vcc
	v_lshlrev_b32_e32 v40, 24, v18
	v_lshlrev_b32_e32 v34, 20, v34
	v_and_b32_e32 v40, 0x80000000, v40
	v_lshl_add_u32 v20, v20, 23, v38
	v_or3_b32 v34, v40, v20, v34
.LBB619_45:                             ;   in Loop: Header=BB619_17 Depth=1
	s_or_b64 exec, exec, s[10:11]
.LBB619_46:                             ;   in Loop: Header=BB619_17 Depth=1
	s_or_b64 exec, exec, s[6:7]
.LBB619_47:                             ;   in Loop: Header=BB619_17 Depth=1
	s_or_b64 exec, exec, s[4:5]
	v_lshrrev_b16_e32 v20, 8, v18
	v_cmp_ne_u16_e32 vcc, 0, v20
	s_and_saveexec_b64 s[4:5], vcc
	s_cbranch_execz .LBB619_53
; %bb.48:                               ;   in Loop: Header=BB619_17 Depth=1
	v_cmp_ne_u16_e32 vcc, s13, v20
	v_bfrev_b32_e32 v30, 1
	s_and_saveexec_b64 s[6:7], vcc
	s_cbranch_execz .LBB619_52
; %bb.49:                               ;   in Loop: Header=BB619_17 Depth=1
	v_and_b32_e32 v40, 0x7f, v20
	v_cmp_ne_u32_e32 vcc, s14, v40
	v_mov_b32_e32 v30, 0x7f800001
	s_and_saveexec_b64 s[10:11], vcc
	s_cbranch_execz .LBB619_51
; %bb.50:                               ;   in Loop: Header=BB619_17 Depth=1
	v_and_b32_e32 v30, 7, v20
	v_ffbh_u32_e32 v44, v30
	v_min_u32_e32 v44, 32, v44
	v_subrev_u32_e32 v52, 28, v44
	v_lshlrev_b64 v[52:53], v52, v[20:21]
	v_lshrrev_b32_e32 v42, 3, v40
	v_sub_u32_e32 v20, 29, v44
	v_and_b32_e32 v44, 7, v52
	v_cmp_gt_u32_e32 vcc, 8, v40
	v_cndmask_b32_e32 v20, v42, v20, vcc
	v_cndmask_b32_e32 v30, v30, v44, vcc
	v_lshlrev_b32_e32 v40, 16, v18
	v_lshlrev_b32_e32 v30, 20, v30
	v_and_b32_e32 v40, 0x80000000, v40
	v_lshl_add_u32 v20, v20, 23, v38
	v_or3_b32 v30, v40, v20, v30
.LBB619_51:                             ;   in Loop: Header=BB619_17 Depth=1
	s_or_b64 exec, exec, s[10:11]
.LBB619_52:                             ;   in Loop: Header=BB619_17 Depth=1
	s_or_b64 exec, exec, s[6:7]
.LBB619_53:                             ;   in Loop: Header=BB619_17 Depth=1
	s_or_b64 exec, exec, s[4:5]
	v_lshrrev_b32_e32 v20, 16, v18
	v_cmp_ne_u16_sdwa s[6:7], v20, v35 src0_sel:BYTE_0 src1_sel:DWORD
	v_mov_b32_e32 v42, 0
	v_mov_b32_e32 v40, 0
	s_and_saveexec_b64 s[4:5], s[6:7]
	s_cbranch_execz .LBB619_59
; %bb.54:                               ;   in Loop: Header=BB619_17 Depth=1
	v_cmp_ne_u16_sdwa s[10:11], v20, s13 src0_sel:BYTE_0 src1_sel:DWORD
	v_bfrev_b32_e32 v40, 1
	s_and_saveexec_b64 s[6:7], s[10:11]
	s_cbranch_execz .LBB619_58
; %bb.55:                               ;   in Loop: Header=BB619_17 Depth=1
	v_bfe_u32 v44, v18, 16, 7
	v_cmp_ne_u32_e32 vcc, s14, v44
	v_mov_b32_e32 v40, 0x7f800001
	s_and_saveexec_b64 s[10:11], vcc
	s_cbranch_execz .LBB619_57
; %bb.56:                               ;   in Loop: Header=BB619_17 Depth=1
	v_and_b32_e32 v40, 7, v20
	v_ffbh_u32_e32 v52, v40
	v_min_u32_e32 v55, 32, v52
	v_subrev_u32_e32 v52, 28, v55
	v_lshlrev_b64 v[52:53], v52, v[20:21]
	v_lshrrev_b32_e32 v54, 3, v44
	v_sub_u32_e32 v53, 29, v55
	v_and_b32_e32 v52, 7, v52
	v_cmp_gt_u32_e32 vcc, 8, v44
	v_cndmask_b32_e32 v44, v54, v53, vcc
	v_cndmask_b32_e32 v40, v40, v52, vcc
	v_lshlrev_b32_e32 v20, 24, v20
	v_lshlrev_b32_e32 v40, 20, v40
	v_and_b32_e32 v20, 0x80000000, v20
	v_lshl_add_u32 v44, v44, 23, v38
	v_or3_b32 v40, v20, v44, v40
.LBB619_57:                             ;   in Loop: Header=BB619_17 Depth=1
	s_or_b64 exec, exec, s[10:11]
.LBB619_58:                             ;   in Loop: Header=BB619_17 Depth=1
	s_or_b64 exec, exec, s[6:7]
.LBB619_59:                             ;   in Loop: Header=BB619_17 Depth=1
	s_or_b64 exec, exec, s[4:5]
	v_cmp_lt_u32_e32 vcc, s15, v18
	s_and_saveexec_b64 s[4:5], vcc
	s_cbranch_execz .LBB619_65
; %bb.60:                               ;   in Loop: Header=BB619_17 Depth=1
	v_lshrrev_b32_e32 v20, 24, v18
	v_cmp_ne_u32_e32 vcc, s13, v20
	v_bfrev_b32_e32 v42, 1
	s_and_saveexec_b64 s[6:7], vcc
	s_cbranch_execz .LBB619_64
; %bb.61:                               ;   in Loop: Header=BB619_17 Depth=1
	v_bfe_u32 v18, v18, 24, 7
	v_cmp_ne_u32_e32 vcc, s14, v18
	v_mov_b32_e32 v42, 0x7f800001
	s_and_saveexec_b64 s[10:11], vcc
	s_cbranch_execz .LBB619_63
; %bb.62:                               ;   in Loop: Header=BB619_17 Depth=1
	v_and_b32_e32 v42, 7, v20
	v_ffbh_u32_e32 v52, v42
	v_min_u32_e32 v54, 32, v52
	v_subrev_u32_e32 v52, 28, v54
	v_lshlrev_b64 v[52:53], v52, v[20:21]
	v_lshrrev_b32_e32 v44, 3, v18
	v_sub_u32_e32 v53, 29, v54
	v_and_b32_e32 v52, 7, v52
	v_cmp_gt_u32_e32 vcc, 8, v18
	v_cndmask_b32_e32 v18, v44, v53, vcc
	v_cndmask_b32_e32 v42, v42, v52, vcc
	v_lshlrev_b32_e32 v20, 24, v20
	v_lshlrev_b32_e32 v42, 20, v42
	v_and_b32_e32 v20, 0x80000000, v20
	v_lshl_add_u32 v18, v18, 23, v38
	v_or3_b32 v42, v20, v18, v42
.LBB619_63:                             ;   in Loop: Header=BB619_17 Depth=1
	s_or_b64 exec, exec, s[10:11]
.LBB619_64:                             ;   in Loop: Header=BB619_17 Depth=1
	s_or_b64 exec, exec, s[6:7]
.LBB619_65:                             ;   in Loop: Header=BB619_17 Depth=1
	s_or_b64 exec, exec, s[4:5]
	v_cvt_pkrtz_f16_f32 v18, v21, v19
	v_cvt_pkrtz_f16_f32 v19, v23, v32
	;; [unrolled: 1-line block ×4, first 2 shown]
	v_mov_b32_e32 v32, 0
	v_mfma_f32_16x16x16f16 v[18:21], v[18:19], v[2:3], 0
	s_waitcnt vmcnt(1)
	v_cmp_ne_u16_sdwa s[6:7], v28, v35 src0_sel:BYTE_0 src1_sel:DWORD
	v_mov_b32_e32 v34, 0
	v_mfma_f32_16x16x16f16 v[18:21], v[52:53], v[4:5], v[18:21]
	s_and_saveexec_b64 s[4:5], s[6:7]
	s_cbranch_execz .LBB619_71
; %bb.66:                               ;   in Loop: Header=BB619_17 Depth=1
	v_cmp_ne_u16_sdwa s[10:11], v28, s13 src0_sel:BYTE_0 src1_sel:DWORD
	v_bfrev_b32_e32 v34, 1
	s_and_saveexec_b64 s[6:7], s[10:11]
	s_cbranch_execz .LBB619_70
; %bb.67:                               ;   in Loop: Header=BB619_17 Depth=1
	v_and_b32_e32 v23, 0x7f, v28
	v_cmp_ne_u32_e32 vcc, s14, v23
	v_mov_b32_e32 v34, 0x7f800001
	s_and_saveexec_b64 s[10:11], vcc
	s_cbranch_execz .LBB619_69
; %bb.68:                               ;   in Loop: Header=BB619_17 Depth=1
	v_and_b32_e32 v30, 7, v28
	v_ffbh_u32_e32 v40, v30
	v_min_u32_e32 v40, 32, v40
	v_subrev_u32_e32 v42, 28, v40
	v_lshlrev_b64 v[52:53], v42, v[28:29]
	v_lshrrev_b32_e32 v34, 3, v23
	v_sub_u32_e32 v40, 29, v40
	v_and_b32_e32 v42, 7, v52
	v_cmp_gt_u32_e32 vcc, 8, v23
	v_cndmask_b32_e32 v23, v34, v40, vcc
	v_cndmask_b32_e32 v30, v30, v42, vcc
	v_lshlrev_b32_e32 v34, 24, v28
	v_lshlrev_b32_e32 v30, 20, v30
	v_and_b32_e32 v34, 0x80000000, v34
	v_lshl_add_u32 v23, v23, 23, v38
	v_or3_b32 v34, v34, v23, v30
.LBB619_69:                             ;   in Loop: Header=BB619_17 Depth=1
	s_or_b64 exec, exec, s[10:11]
.LBB619_70:                             ;   in Loop: Header=BB619_17 Depth=1
	s_or_b64 exec, exec, s[6:7]
.LBB619_71:                             ;   in Loop: Header=BB619_17 Depth=1
	s_or_b64 exec, exec, s[4:5]
	v_lshrrev_b16_e32 v30, 8, v28
	v_cmp_ne_u16_e32 vcc, 0, v30
	v_mov_b32_e32 v40, 0
	s_and_saveexec_b64 s[4:5], vcc
	s_cbranch_execz .LBB619_77
; %bb.72:                               ;   in Loop: Header=BB619_17 Depth=1
	v_cmp_ne_u16_e32 vcc, s13, v30
	v_bfrev_b32_e32 v40, 1
	s_and_saveexec_b64 s[6:7], vcc
	s_cbranch_execz .LBB619_76
; %bb.73:                               ;   in Loop: Header=BB619_17 Depth=1
	v_and_b32_e32 v23, 0x7f, v30
	v_cmp_ne_u32_e32 vcc, s14, v23
	v_mov_b32_e32 v40, 0x7f800001
	s_and_saveexec_b64 s[10:11], vcc
	s_cbranch_execz .LBB619_75
; %bb.74:                               ;   in Loop: Header=BB619_17 Depth=1
	v_and_b32_e32 v40, 7, v30
	v_ffbh_u32_e32 v44, v40
	v_min_u32_e32 v44, 32, v44
	v_subrev_u32_e32 v52, 28, v44
	v_lshlrev_b64 v[52:53], v52, v[30:31]
	v_lshrrev_b32_e32 v42, 3, v23
	v_sub_u32_e32 v30, 29, v44
	v_and_b32_e32 v44, 7, v52
	v_cmp_gt_u32_e32 vcc, 8, v23
	v_cndmask_b32_e32 v23, v42, v30, vcc
	v_cndmask_b32_e32 v30, v40, v44, vcc
	v_lshlrev_b32_e32 v40, 16, v28
	v_lshlrev_b32_e32 v30, 20, v30
	v_and_b32_e32 v40, 0x80000000, v40
	v_lshl_add_u32 v23, v23, 23, v38
	v_or3_b32 v40, v40, v23, v30
.LBB619_75:                             ;   in Loop: Header=BB619_17 Depth=1
	s_or_b64 exec, exec, s[10:11]
.LBB619_76:                             ;   in Loop: Header=BB619_17 Depth=1
	s_or_b64 exec, exec, s[6:7]
.LBB619_77:                             ;   in Loop: Header=BB619_17 Depth=1
	s_or_b64 exec, exec, s[4:5]
	v_lshrrev_b32_e32 v30, 16, v28
	v_cmp_ne_u16_sdwa s[6:7], v30, v35 src0_sel:BYTE_0 src1_sel:DWORD
	s_and_saveexec_b64 s[4:5], s[6:7]
	s_cbranch_execz .LBB619_83
; %bb.78:                               ;   in Loop: Header=BB619_17 Depth=1
	v_cmp_ne_u16_sdwa s[10:11], v30, s13 src0_sel:BYTE_0 src1_sel:DWORD
	v_bfrev_b32_e32 v32, 1
	s_and_saveexec_b64 s[6:7], s[10:11]
	s_cbranch_execz .LBB619_82
; %bb.79:                               ;   in Loop: Header=BB619_17 Depth=1
	v_bfe_u32 v23, v28, 16, 7
	v_cmp_ne_u32_e32 vcc, s14, v23
	v_mov_b32_e32 v32, 0x7f800001
	s_and_saveexec_b64 s[10:11], vcc
	s_cbranch_execz .LBB619_81
; %bb.80:                               ;   in Loop: Header=BB619_17 Depth=1
	v_and_b32_e32 v32, 7, v30
	v_ffbh_u32_e32 v44, v32
	v_min_u32_e32 v44, 32, v44
	v_subrev_u32_e32 v52, 28, v44
	v_lshlrev_b64 v[52:53], v52, v[30:31]
	v_lshrrev_b32_e32 v42, 3, v23
	v_sub_u32_e32 v44, 29, v44
	v_and_b32_e32 v52, 7, v52
	v_cmp_gt_u32_e32 vcc, 8, v23
	v_cndmask_b32_e32 v23, v42, v44, vcc
	v_cndmask_b32_e32 v32, v32, v52, vcc
	v_lshlrev_b32_e32 v30, 24, v30
	v_lshlrev_b32_e32 v32, 20, v32
	v_and_b32_e32 v30, 0x80000000, v30
	v_lshl_add_u32 v23, v23, 23, v38
	v_or3_b32 v32, v30, v23, v32
.LBB619_81:                             ;   in Loop: Header=BB619_17 Depth=1
	s_or_b64 exec, exec, s[10:11]
.LBB619_82:                             ;   in Loop: Header=BB619_17 Depth=1
	s_or_b64 exec, exec, s[6:7]
.LBB619_83:                             ;   in Loop: Header=BB619_17 Depth=1
	s_or_b64 exec, exec, s[4:5]
	v_cmp_lt_u32_e32 vcc, s15, v28
	v_mov_b32_e32 v42, 0
	v_mov_b32_e32 v44, 0
	s_and_saveexec_b64 s[4:5], vcc
	s_cbranch_execz .LBB619_89
; %bb.84:                               ;   in Loop: Header=BB619_17 Depth=1
	v_lshrrev_b32_e32 v30, 24, v28
	v_cmp_ne_u32_e32 vcc, s13, v30
	v_bfrev_b32_e32 v44, 1
	s_and_saveexec_b64 s[6:7], vcc
	s_cbranch_execz .LBB619_88
; %bb.85:                               ;   in Loop: Header=BB619_17 Depth=1
	v_bfe_u32 v23, v28, 24, 7
	v_cmp_ne_u32_e32 vcc, s14, v23
	v_mov_b32_e32 v44, 0x7f800001
	s_and_saveexec_b64 s[10:11], vcc
	s_cbranch_execz .LBB619_87
; %bb.86:                               ;   in Loop: Header=BB619_17 Depth=1
	v_and_b32_e32 v28, 7, v30
	v_ffbh_u32_e32 v52, v28
	v_min_u32_e32 v54, 32, v52
	v_subrev_u32_e32 v52, 28, v54
	v_lshlrev_b64 v[52:53], v52, v[30:31]
	v_lshrrev_b32_e32 v44, 3, v23
	v_sub_u32_e32 v53, 29, v54
	v_and_b32_e32 v52, 7, v52
	v_cmp_gt_u32_e32 vcc, 8, v23
	v_cndmask_b32_e32 v23, v44, v53, vcc
	v_cndmask_b32_e32 v28, v28, v52, vcc
	v_lshlrev_b32_e32 v30, 24, v30
	v_lshlrev_b32_e32 v28, 20, v28
	v_and_b32_e32 v30, 0x80000000, v30
	v_lshl_add_u32 v23, v23, 23, v38
	v_or3_b32 v44, v30, v23, v28
.LBB619_87:                             ;   in Loop: Header=BB619_17 Depth=1
	s_or_b64 exec, exec, s[10:11]
.LBB619_88:                             ;   in Loop: Header=BB619_17 Depth=1
	s_or_b64 exec, exec, s[6:7]
.LBB619_89:                             ;   in Loop: Header=BB619_17 Depth=1
	s_or_b64 exec, exec, s[4:5]
	s_waitcnt vmcnt(0)
	v_cmp_ne_u16_sdwa s[6:7], v26, v35 src0_sel:BYTE_0 src1_sel:DWORD
	s_and_saveexec_b64 s[4:5], s[6:7]
	s_cbranch_execz .LBB619_95
; %bb.90:                               ;   in Loop: Header=BB619_17 Depth=1
	v_cmp_ne_u16_sdwa s[10:11], v26, s13 src0_sel:BYTE_0 src1_sel:DWORD
	v_bfrev_b32_e32 v42, 1
	s_and_saveexec_b64 s[6:7], s[10:11]
	s_cbranch_execz .LBB619_94
; %bb.91:                               ;   in Loop: Header=BB619_17 Depth=1
	v_and_b32_e32 v23, 0x7f, v26
	v_cmp_ne_u32_e32 vcc, s14, v23
	v_mov_b32_e32 v42, 0x7f800001
	s_and_saveexec_b64 s[10:11], vcc
	s_cbranch_execz .LBB619_93
; %bb.92:                               ;   in Loop: Header=BB619_17 Depth=1
	v_and_b32_e32 v28, 7, v26
	v_ffbh_u32_e32 v42, v28
	v_min_u32_e32 v42, 32, v42
	v_subrev_u32_e32 v52, 28, v42
	v_lshlrev_b64 v[52:53], v52, v[26:27]
	v_lshrrev_b32_e32 v30, 3, v23
	v_sub_u32_e32 v42, 29, v42
	v_and_b32_e32 v52, 7, v52
	v_cmp_gt_u32_e32 vcc, 8, v23
	v_cndmask_b32_e32 v23, v30, v42, vcc
	v_cndmask_b32_e32 v28, v28, v52, vcc
	v_lshlrev_b32_e32 v30, 24, v26
	v_lshlrev_b32_e32 v28, 20, v28
	v_and_b32_e32 v30, 0x80000000, v30
	v_lshl_add_u32 v23, v23, 23, v38
	v_or3_b32 v42, v30, v23, v28
.LBB619_93:                             ;   in Loop: Header=BB619_17 Depth=1
	s_or_b64 exec, exec, s[10:11]
.LBB619_94:                             ;   in Loop: Header=BB619_17 Depth=1
	s_or_b64 exec, exec, s[6:7]
.LBB619_95:                             ;   in Loop: Header=BB619_17 Depth=1
	s_or_b64 exec, exec, s[4:5]
	v_lshrrev_b16_e32 v28, 8, v26
	v_cmp_ne_u16_e32 vcc, 0, v28
	v_mov_b32_e32 v52, 0
	v_mov_b32_e32 v53, 0
	s_and_saveexec_b64 s[4:5], vcc
	s_cbranch_execz .LBB619_101
; %bb.96:                               ;   in Loop: Header=BB619_17 Depth=1
	v_cmp_ne_u16_e32 vcc, s13, v28
	v_bfrev_b32_e32 v53, 1
	s_and_saveexec_b64 s[6:7], vcc
	s_cbranch_execz .LBB619_100
; %bb.97:                               ;   in Loop: Header=BB619_17 Depth=1
	v_and_b32_e32 v23, 0x7f, v28
	v_cmp_ne_u32_e32 vcc, s14, v23
	v_mov_b32_e32 v53, 0x7f800001
	s_and_saveexec_b64 s[10:11], vcc
	s_cbranch_execz .LBB619_99
; %bb.98:                               ;   in Loop: Header=BB619_17 Depth=1
	v_and_b32_e32 v30, 7, v28
	v_ffbh_u32_e32 v54, v30
	v_min_u32_e32 v56, 32, v54
	v_subrev_u32_e32 v54, 28, v56
	v_lshlrev_b64 v[54:55], v54, v[28:29]
	v_lshrrev_b32_e32 v53, 3, v23
	v_sub_u32_e32 v28, 29, v56
	v_and_b32_e32 v54, 7, v54
	v_cmp_gt_u32_e32 vcc, 8, v23
	v_cndmask_b32_e32 v23, v53, v28, vcc
	v_cndmask_b32_e32 v28, v30, v54, vcc
	v_lshlrev_b32_e32 v30, 16, v26
	v_lshlrev_b32_e32 v28, 20, v28
	v_and_b32_e32 v30, 0x80000000, v30
	v_lshl_add_u32 v23, v23, 23, v38
	v_or3_b32 v53, v30, v23, v28
.LBB619_99:                             ;   in Loop: Header=BB619_17 Depth=1
	s_or_b64 exec, exec, s[10:11]
.LBB619_100:                            ;   in Loop: Header=BB619_17 Depth=1
	s_or_b64 exec, exec, s[6:7]
.LBB619_101:                            ;   in Loop: Header=BB619_17 Depth=1
	s_or_b64 exec, exec, s[4:5]
	v_lshrrev_b32_e32 v28, 16, v26
	v_cmp_ne_u16_sdwa s[6:7], v28, v35 src0_sel:BYTE_0 src1_sel:DWORD
	s_and_saveexec_b64 s[4:5], s[6:7]
	s_cbranch_execz .LBB619_107
; %bb.102:                              ;   in Loop: Header=BB619_17 Depth=1
	v_cmp_ne_u16_sdwa s[10:11], v28, s13 src0_sel:BYTE_0 src1_sel:DWORD
	v_bfrev_b32_e32 v52, 1
	s_and_saveexec_b64 s[6:7], s[10:11]
	s_cbranch_execz .LBB619_106
; %bb.103:                              ;   in Loop: Header=BB619_17 Depth=1
	v_bfe_u32 v23, v26, 16, 7
	v_cmp_ne_u32_e32 vcc, s14, v23
	v_mov_b32_e32 v52, 0x7f800001
	s_and_saveexec_b64 s[10:11], vcc
	s_cbranch_execz .LBB619_105
; %bb.104:                              ;   in Loop: Header=BB619_17 Depth=1
	v_and_b32_e32 v30, 7, v28
	v_ffbh_u32_e32 v54, v30
	v_min_u32_e32 v56, 32, v54
	v_subrev_u32_e32 v54, 28, v56
	v_lshlrev_b64 v[54:55], v54, v[28:29]
	v_lshrrev_b32_e32 v52, 3, v23
	v_sub_u32_e32 v55, 29, v56
	v_and_b32_e32 v54, 7, v54
	v_cmp_gt_u32_e32 vcc, 8, v23
	v_cndmask_b32_e32 v23, v52, v55, vcc
	v_cndmask_b32_e32 v30, v30, v54, vcc
	v_lshlrev_b32_e32 v28, 24, v28
	v_lshlrev_b32_e32 v30, 20, v30
	v_and_b32_e32 v28, 0x80000000, v28
	v_lshl_add_u32 v23, v23, 23, v38
	v_or3_b32 v52, v28, v23, v30
.LBB619_105:                            ;   in Loop: Header=BB619_17 Depth=1
	s_or_b64 exec, exec, s[10:11]
.LBB619_106:                            ;   in Loop: Header=BB619_17 Depth=1
	s_or_b64 exec, exec, s[6:7]
.LBB619_107:                            ;   in Loop: Header=BB619_17 Depth=1
	s_or_b64 exec, exec, s[4:5]
	v_cmp_lt_u32_e32 vcc, s15, v26
	v_mov_b32_e32 v23, 0
	v_mov_b32_e32 v54, 0
	s_and_saveexec_b64 s[4:5], vcc
	s_cbranch_execz .LBB619_113
; %bb.108:                              ;   in Loop: Header=BB619_17 Depth=1
	v_lshrrev_b32_e32 v28, 24, v26
	v_cmp_ne_u32_e32 vcc, s13, v28
	v_bfrev_b32_e32 v54, 1
	s_and_saveexec_b64 s[6:7], vcc
	s_cbranch_execz .LBB619_112
; %bb.109:                              ;   in Loop: Header=BB619_17 Depth=1
	v_bfe_u32 v26, v26, 24, 7
	v_cmp_ne_u32_e32 vcc, s14, v26
	v_mov_b32_e32 v54, 0x7f800001
	s_and_saveexec_b64 s[10:11], vcc
	s_cbranch_execz .LBB619_111
; %bb.110:                              ;   in Loop: Header=BB619_17 Depth=1
	v_and_b32_e32 v30, 7, v28
	v_ffbh_u32_e32 v54, v30
	v_min_u32_e32 v57, 32, v54
	v_subrev_u32_e32 v54, 28, v57
	v_lshlrev_b64 v[54:55], v54, v[28:29]
	v_lshrrev_b32_e32 v56, 3, v26
	v_sub_u32_e32 v55, 29, v57
	v_and_b32_e32 v54, 7, v54
	v_cmp_gt_u32_e32 vcc, 8, v26
	v_cndmask_b32_e32 v26, v56, v55, vcc
	v_cndmask_b32_e32 v30, v30, v54, vcc
	v_lshlrev_b32_e32 v28, 24, v28
	v_lshlrev_b32_e32 v30, 20, v30
	v_and_b32_e32 v28, 0x80000000, v28
	v_lshl_add_u32 v26, v26, 23, v38
	v_or3_b32 v54, v28, v26, v30
.LBB619_111:                            ;   in Loop: Header=BB619_17 Depth=1
	s_or_b64 exec, exec, s[10:11]
.LBB619_112:                            ;   in Loop: Header=BB619_17 Depth=1
	s_or_b64 exec, exec, s[6:7]
.LBB619_113:                            ;   in Loop: Header=BB619_17 Depth=1
	s_or_b64 exec, exec, s[4:5]
	v_cvt_pkrtz_f16_f32 v57, v32, v44
	buffer_load_dword v32, v36, s[0:3], 0 offen offset:16
	buffer_load_dword v30, v36, s[0:3], 0 offen offset:20
	buffer_load_dword v28, v36, s[0:3], 0 offen offset:24
	buffer_load_dword v26, v36, s[0:3], 0 offen offset:28
	v_cvt_pkrtz_f16_f32 v56, v34, v40
	s_waitcnt vmcnt(3)
	v_cmp_ne_u16_sdwa s[6:7], v32, v35 src0_sel:BYTE_0 src1_sel:DWORD
	v_mfma_f32_16x16x16f16 v[18:21], v[56:57], v[6:7], v[18:21]
	v_cvt_pkrtz_f16_f32 v56, v42, v53
	v_cvt_pkrtz_f16_f32 v57, v52, v54
	s_nop 1
	v_mfma_f32_16x16x16f16 v[18:21], v[56:57], v[8:9], v[18:21]
	s_and_saveexec_b64 s[4:5], s[6:7]
	s_cbranch_execz .LBB619_119
; %bb.114:                              ;   in Loop: Header=BB619_17 Depth=1
	v_cmp_ne_u16_sdwa s[10:11], v32, s13 src0_sel:BYTE_0 src1_sel:DWORD
	v_bfrev_b32_e32 v23, 1
	s_and_saveexec_b64 s[6:7], s[10:11]
	s_cbranch_execz .LBB619_118
; %bb.115:                              ;   in Loop: Header=BB619_17 Depth=1
	v_and_b32_e32 v34, 0x7f, v32
	v_cmp_ne_u32_e32 vcc, s14, v34
	v_mov_b32_e32 v23, 0x7f800001
	s_and_saveexec_b64 s[10:11], vcc
	s_cbranch_execz .LBB619_117
; %bb.116:                              ;   in Loop: Header=BB619_17 Depth=1
	v_and_b32_e32 v23, 7, v32
	v_ffbh_u32_e32 v42, v23
	v_min_u32_e32 v42, 32, v42
	v_subrev_u32_e32 v44, 28, v42
	v_lshlrev_b64 v[52:53], v44, v[32:33]
	v_lshrrev_b32_e32 v40, 3, v34
	v_sub_u32_e32 v42, 29, v42
	v_and_b32_e32 v44, 7, v52
	v_cmp_gt_u32_e32 vcc, 8, v34
	v_cndmask_b32_e32 v34, v40, v42, vcc
	v_cndmask_b32_e32 v23, v23, v44, vcc
	v_lshlrev_b32_e32 v40, 24, v32
	v_lshlrev_b32_e32 v23, 20, v23
	v_and_b32_e32 v40, 0x80000000, v40
	v_lshl_add_u32 v34, v34, 23, v38
	v_or3_b32 v23, v40, v34, v23
.LBB619_117:                            ;   in Loop: Header=BB619_17 Depth=1
	s_or_b64 exec, exec, s[10:11]
.LBB619_118:                            ;   in Loop: Header=BB619_17 Depth=1
	s_or_b64 exec, exec, s[6:7]
.LBB619_119:                            ;   in Loop: Header=BB619_17 Depth=1
	s_or_b64 exec, exec, s[4:5]
	v_lshrrev_b16_e32 v34, 8, v32
	v_cmp_ne_u16_e32 vcc, 0, v34
	v_mov_b32_e32 v40, 0
	v_mov_b32_e32 v42, 0
	s_and_saveexec_b64 s[4:5], vcc
	s_cbranch_execz .LBB619_125
; %bb.120:                              ;   in Loop: Header=BB619_17 Depth=1
	v_cmp_ne_u16_e32 vcc, s13, v34
	v_bfrev_b32_e32 v42, 1
	s_and_saveexec_b64 s[6:7], vcc
	s_cbranch_execz .LBB619_124
; %bb.121:                              ;   in Loop: Header=BB619_17 Depth=1
	v_and_b32_e32 v44, 0x7f, v34
	v_cmp_ne_u32_e32 vcc, s14, v44
	v_mov_b32_e32 v42, 0x7f800001
	s_and_saveexec_b64 s[10:11], vcc
	s_cbranch_execz .LBB619_123
; %bb.122:                              ;   in Loop: Header=BB619_17 Depth=1
	v_and_b32_e32 v42, 7, v34
	v_ffbh_u32_e32 v52, v42
	v_min_u32_e32 v55, 32, v52
	v_subrev_u32_e32 v52, 28, v55
	v_lshlrev_b64 v[52:53], v52, v[34:35]
	v_lshrrev_b32_e32 v54, 3, v44
	v_sub_u32_e32 v34, 29, v55
	v_and_b32_e32 v52, 7, v52
	v_cmp_gt_u32_e32 vcc, 8, v44
	v_cndmask_b32_e32 v34, v54, v34, vcc
	v_cndmask_b32_e32 v42, v42, v52, vcc
	v_lshlrev_b32_e32 v44, 16, v32
	v_lshlrev_b32_e32 v42, 20, v42
	v_and_b32_e32 v44, 0x80000000, v44
	v_lshl_add_u32 v34, v34, 23, v38
	v_or3_b32 v42, v44, v34, v42
.LBB619_123:                            ;   in Loop: Header=BB619_17 Depth=1
	s_or_b64 exec, exec, s[10:11]
.LBB619_124:                            ;   in Loop: Header=BB619_17 Depth=1
	s_or_b64 exec, exec, s[6:7]
.LBB619_125:                            ;   in Loop: Header=BB619_17 Depth=1
	s_or_b64 exec, exec, s[4:5]
	v_lshrrev_b32_e32 v34, 16, v32
	v_cmp_ne_u16_sdwa s[6:7], v34, v35 src0_sel:BYTE_0 src1_sel:DWORD
	s_and_saveexec_b64 s[4:5], s[6:7]
	s_cbranch_execz .LBB619_131
; %bb.126:                              ;   in Loop: Header=BB619_17 Depth=1
	v_cmp_ne_u16_sdwa s[10:11], v34, s13 src0_sel:BYTE_0 src1_sel:DWORD
	v_bfrev_b32_e32 v40, 1
	s_and_saveexec_b64 s[6:7], s[10:11]
	s_cbranch_execz .LBB619_130
; %bb.127:                              ;   in Loop: Header=BB619_17 Depth=1
	v_bfe_u32 v44, v32, 16, 7
	v_cmp_ne_u32_e32 vcc, s14, v44
	v_mov_b32_e32 v40, 0x7f800001
	s_and_saveexec_b64 s[10:11], vcc
	s_cbranch_execz .LBB619_129
; %bb.128:                              ;   in Loop: Header=BB619_17 Depth=1
	v_and_b32_e32 v40, 7, v34
	v_ffbh_u32_e32 v52, v40
	v_min_u32_e32 v55, 32, v52
	v_subrev_u32_e32 v52, 28, v55
	v_lshlrev_b64 v[52:53], v52, v[34:35]
	v_lshrrev_b32_e32 v54, 3, v44
	v_sub_u32_e32 v53, 29, v55
	v_and_b32_e32 v52, 7, v52
	v_cmp_gt_u32_e32 vcc, 8, v44
	v_cndmask_b32_e32 v44, v54, v53, vcc
	v_cndmask_b32_e32 v40, v40, v52, vcc
	v_lshlrev_b32_e32 v34, 24, v34
	v_lshlrev_b32_e32 v40, 20, v40
	v_and_b32_e32 v34, 0x80000000, v34
	v_lshl_add_u32 v44, v44, 23, v38
	v_or3_b32 v40, v34, v44, v40
.LBB619_129:                            ;   in Loop: Header=BB619_17 Depth=1
	s_or_b64 exec, exec, s[10:11]
.LBB619_130:                            ;   in Loop: Header=BB619_17 Depth=1
	s_or_b64 exec, exec, s[6:7]
.LBB619_131:                            ;   in Loop: Header=BB619_17 Depth=1
	s_or_b64 exec, exec, s[4:5]
	v_cmp_lt_u32_e32 vcc, s15, v32
	v_mov_b32_e32 v44, 0
	v_mov_b32_e32 v52, 0
	s_and_saveexec_b64 s[4:5], vcc
	s_cbranch_execz .LBB619_137
; %bb.132:                              ;   in Loop: Header=BB619_17 Depth=1
	v_lshrrev_b32_e32 v34, 24, v32
	v_cmp_ne_u32_e32 vcc, s13, v34
	v_bfrev_b32_e32 v52, 1
	s_and_saveexec_b64 s[6:7], vcc
	s_cbranch_execz .LBB619_136
; %bb.133:                              ;   in Loop: Header=BB619_17 Depth=1
	v_bfe_u32 v32, v32, 24, 7
	v_cmp_ne_u32_e32 vcc, s14, v32
	v_mov_b32_e32 v52, 0x7f800001
	s_and_saveexec_b64 s[10:11], vcc
	s_cbranch_execz .LBB619_135
; %bb.134:                              ;   in Loop: Header=BB619_17 Depth=1
	v_and_b32_e32 v54, 7, v34
	v_ffbh_u32_e32 v52, v54
	v_min_u32_e32 v56, 32, v52
	v_subrev_u32_e32 v52, 28, v56
	v_lshlrev_b64 v[52:53], v52, v[34:35]
	v_lshrrev_b32_e32 v55, 3, v32
	v_sub_u32_e32 v53, 29, v56
	v_and_b32_e32 v52, 7, v52
	v_cmp_gt_u32_e32 vcc, 8, v32
	v_cndmask_b32_e32 v32, v55, v53, vcc
	v_cndmask_b32_e32 v52, v54, v52, vcc
	v_lshlrev_b32_e32 v34, 24, v34
	v_lshlrev_b32_e32 v52, 20, v52
	v_and_b32_e32 v34, 0x80000000, v34
	v_lshl_add_u32 v32, v32, 23, v38
	v_or3_b32 v52, v34, v32, v52
.LBB619_135:                            ;   in Loop: Header=BB619_17 Depth=1
	s_or_b64 exec, exec, s[10:11]
.LBB619_136:                            ;   in Loop: Header=BB619_17 Depth=1
	s_or_b64 exec, exec, s[6:7]
.LBB619_137:                            ;   in Loop: Header=BB619_17 Depth=1
	s_or_b64 exec, exec, s[4:5]
	s_waitcnt vmcnt(2)
	v_cmp_ne_u16_sdwa s[6:7], v30, v35 src0_sel:BYTE_0 src1_sel:DWORD
	s_and_saveexec_b64 s[4:5], s[6:7]
	s_cbranch_execz .LBB619_143
; %bb.138:                              ;   in Loop: Header=BB619_17 Depth=1
	v_cmp_ne_u16_sdwa s[10:11], v30, s13 src0_sel:BYTE_0 src1_sel:DWORD
	v_bfrev_b32_e32 v44, 1
	s_and_saveexec_b64 s[6:7], s[10:11]
	s_cbranch_execz .LBB619_142
; %bb.139:                              ;   in Loop: Header=BB619_17 Depth=1
	v_and_b32_e32 v32, 0x7f, v30
	v_cmp_ne_u32_e32 vcc, s14, v32
	v_mov_b32_e32 v44, 0x7f800001
	s_and_saveexec_b64 s[10:11], vcc
	s_cbranch_execz .LBB619_141
; %bb.140:                              ;   in Loop: Header=BB619_17 Depth=1
	v_and_b32_e32 v34, 7, v30
	v_ffbh_u32_e32 v53, v34
	v_min_u32_e32 v53, 32, v53
	v_subrev_u32_e32 v54, 28, v53
	v_lshlrev_b64 v[54:55], v54, v[30:31]
	v_lshrrev_b32_e32 v44, 3, v32
	v_sub_u32_e32 v53, 29, v53
	v_and_b32_e32 v54, 7, v54
	v_cmp_gt_u32_e32 vcc, 8, v32
	v_cndmask_b32_e32 v32, v44, v53, vcc
	v_cndmask_b32_e32 v34, v34, v54, vcc
	v_lshlrev_b32_e32 v44, 24, v30
	v_lshlrev_b32_e32 v34, 20, v34
	v_and_b32_e32 v44, 0x80000000, v44
	v_lshl_add_u32 v32, v32, 23, v38
	v_or3_b32 v44, v44, v32, v34
.LBB619_141:                            ;   in Loop: Header=BB619_17 Depth=1
	s_or_b64 exec, exec, s[10:11]
.LBB619_142:                            ;   in Loop: Header=BB619_17 Depth=1
	s_or_b64 exec, exec, s[6:7]
.LBB619_143:                            ;   in Loop: Header=BB619_17 Depth=1
	s_or_b64 exec, exec, s[4:5]
	v_lshrrev_b16_e32 v32, 8, v30
	v_cmp_ne_u16_e32 vcc, 0, v32
	v_mov_b32_e32 v53, 0
	v_mov_b32_e32 v54, 0
	s_and_saveexec_b64 s[4:5], vcc
	s_cbranch_execz .LBB619_149
; %bb.144:                              ;   in Loop: Header=BB619_17 Depth=1
	v_cmp_ne_u16_e32 vcc, s13, v32
	v_bfrev_b32_e32 v54, 1
	s_and_saveexec_b64 s[6:7], vcc
	s_cbranch_execz .LBB619_148
; %bb.145:                              ;   in Loop: Header=BB619_17 Depth=1
	v_and_b32_e32 v34, 0x7f, v32
	v_cmp_ne_u32_e32 vcc, s14, v34
	v_mov_b32_e32 v54, 0x7f800001
	s_and_saveexec_b64 s[10:11], vcc
	s_cbranch_execz .LBB619_147
; %bb.146:                              ;   in Loop: Header=BB619_17 Depth=1
	v_and_b32_e32 v56, 7, v32
	v_ffbh_u32_e32 v54, v56
	v_min_u32_e32 v58, 32, v54
	v_subrev_u32_e32 v54, 28, v58
	v_lshlrev_b64 v[54:55], v54, v[32:33]
	v_lshrrev_b32_e32 v57, 3, v34
	v_sub_u32_e32 v32, 29, v58
	v_and_b32_e32 v54, 7, v54
	v_cmp_gt_u32_e32 vcc, 8, v34
	v_cndmask_b32_e32 v32, v57, v32, vcc
	v_cndmask_b32_e32 v34, v56, v54, vcc
	v_lshlrev_b32_e32 v54, 16, v30
	v_lshlrev_b32_e32 v34, 20, v34
	v_and_b32_e32 v54, 0x80000000, v54
	v_lshl_add_u32 v32, v32, 23, v38
	v_or3_b32 v54, v54, v32, v34
.LBB619_147:                            ;   in Loop: Header=BB619_17 Depth=1
	s_or_b64 exec, exec, s[10:11]
.LBB619_148:                            ;   in Loop: Header=BB619_17 Depth=1
	s_or_b64 exec, exec, s[6:7]
.LBB619_149:                            ;   in Loop: Header=BB619_17 Depth=1
	s_or_b64 exec, exec, s[4:5]
	v_lshrrev_b32_e32 v32, 16, v30
	v_cmp_ne_u16_sdwa s[6:7], v32, v35 src0_sel:BYTE_0 src1_sel:DWORD
	s_and_saveexec_b64 s[4:5], s[6:7]
	s_cbranch_execz .LBB619_155
; %bb.150:                              ;   in Loop: Header=BB619_17 Depth=1
	v_cmp_ne_u16_sdwa s[10:11], v32, s13 src0_sel:BYTE_0 src1_sel:DWORD
	v_bfrev_b32_e32 v53, 1
	s_and_saveexec_b64 s[6:7], s[10:11]
	s_cbranch_execz .LBB619_154
; %bb.151:                              ;   in Loop: Header=BB619_17 Depth=1
	v_bfe_u32 v34, v30, 16, 7
	v_cmp_ne_u32_e32 vcc, s14, v34
	v_mov_b32_e32 v53, 0x7f800001
	s_and_saveexec_b64 s[10:11], vcc
	s_cbranch_execz .LBB619_153
; %bb.152:                              ;   in Loop: Header=BB619_17 Depth=1
	v_and_b32_e32 v53, 7, v32
	v_ffbh_u32_e32 v56, v53
	v_min_u32_e32 v58, 32, v56
	v_subrev_u32_e32 v56, 28, v58
	v_lshlrev_b64 v[56:57], v56, v[32:33]
	v_lshrrev_b32_e32 v55, 3, v34
	v_sub_u32_e32 v57, 29, v58
	v_and_b32_e32 v56, 7, v56
	v_cmp_gt_u32_e32 vcc, 8, v34
	v_cndmask_b32_e32 v34, v55, v57, vcc
	v_cndmask_b32_e32 v53, v53, v56, vcc
	v_lshlrev_b32_e32 v32, 24, v32
	v_lshlrev_b32_e32 v53, 20, v53
	v_and_b32_e32 v32, 0x80000000, v32
	v_lshl_add_u32 v34, v34, 23, v38
	v_or3_b32 v53, v32, v34, v53
.LBB619_153:                            ;   in Loop: Header=BB619_17 Depth=1
	s_or_b64 exec, exec, s[10:11]
.LBB619_154:                            ;   in Loop: Header=BB619_17 Depth=1
	s_or_b64 exec, exec, s[6:7]
.LBB619_155:                            ;   in Loop: Header=BB619_17 Depth=1
	s_or_b64 exec, exec, s[4:5]
	v_cmp_lt_u32_e32 vcc, s15, v30
	v_mov_b32_e32 v34, 0
	v_mov_b32_e32 v55, 0
	s_and_saveexec_b64 s[4:5], vcc
	s_cbranch_execz .LBB619_161
; %bb.156:                              ;   in Loop: Header=BB619_17 Depth=1
	v_lshrrev_b32_e32 v32, 24, v30
	v_cmp_ne_u32_e32 vcc, s13, v32
	v_bfrev_b32_e32 v55, 1
	s_and_saveexec_b64 s[6:7], vcc
	s_cbranch_execz .LBB619_160
; %bb.157:                              ;   in Loop: Header=BB619_17 Depth=1
	v_bfe_u32 v30, v30, 24, 7
	v_cmp_ne_u32_e32 vcc, s14, v30
	v_mov_b32_e32 v55, 0x7f800001
	s_and_saveexec_b64 s[10:11], vcc
	s_cbranch_execz .LBB619_159
; %bb.158:                              ;   in Loop: Header=BB619_17 Depth=1
	v_and_b32_e32 v55, 7, v32
	v_ffbh_u32_e32 v56, v55
	v_min_u32_e32 v59, 32, v56
	v_subrev_u32_e32 v56, 28, v59
	v_lshlrev_b64 v[56:57], v56, v[32:33]
	v_lshrrev_b32_e32 v58, 3, v30
	v_sub_u32_e32 v57, 29, v59
	v_and_b32_e32 v56, 7, v56
	v_cmp_gt_u32_e32 vcc, 8, v30
	v_cndmask_b32_e32 v30, v58, v57, vcc
	v_cndmask_b32_e32 v55, v55, v56, vcc
	v_lshlrev_b32_e32 v32, 24, v32
	v_lshlrev_b32_e32 v55, 20, v55
	v_and_b32_e32 v32, 0x80000000, v32
	v_lshl_add_u32 v30, v30, 23, v38
	v_or3_b32 v55, v32, v30, v55
.LBB619_159:                            ;   in Loop: Header=BB619_17 Depth=1
	s_or_b64 exec, exec, s[10:11]
.LBB619_160:                            ;   in Loop: Header=BB619_17 Depth=1
	s_or_b64 exec, exec, s[6:7]
.LBB619_161:                            ;   in Loop: Header=BB619_17 Depth=1
	s_or_b64 exec, exec, s[4:5]
	v_cvt_pkrtz_f16_f32 v56, v23, v42
	v_cvt_pkrtz_f16_f32 v57, v40, v52
	;; [unrolled: 1-line block ×4, first 2 shown]
	s_waitcnt vmcnt(1)
	v_cmp_ne_u16_sdwa s[6:7], v28, v35 src0_sel:BYTE_0 src1_sel:DWORD
	v_mfma_f32_16x16x16f16 v[18:21], v[56:57], v[10:11], v[18:21]
	v_mfma_f32_16x16x16f16 v[18:21], v[52:53], v[12:13], v[18:21]
	s_and_saveexec_b64 s[4:5], s[6:7]
	s_cbranch_execz .LBB619_167
; %bb.162:                              ;   in Loop: Header=BB619_17 Depth=1
	v_cmp_ne_u16_sdwa s[10:11], v28, s13 src0_sel:BYTE_0 src1_sel:DWORD
	v_bfrev_b32_e32 v34, 1
	s_and_saveexec_b64 s[6:7], s[10:11]
	s_cbranch_execz .LBB619_166
; %bb.163:                              ;   in Loop: Header=BB619_17 Depth=1
	v_and_b32_e32 v23, 0x7f, v28
	v_cmp_ne_u32_e32 vcc, s14, v23
	v_mov_b32_e32 v34, 0x7f800001
	s_and_saveexec_b64 s[10:11], vcc
	s_cbranch_execz .LBB619_165
; %bb.164:                              ;   in Loop: Header=BB619_17 Depth=1
	v_and_b32_e32 v30, 7, v28
	v_ffbh_u32_e32 v34, v30
	v_min_u32_e32 v34, 32, v34
	v_subrev_u32_e32 v40, 28, v34
	v_lshlrev_b64 v[52:53], v40, v[28:29]
	v_lshrrev_b32_e32 v32, 3, v23
	v_sub_u32_e32 v34, 29, v34
	v_and_b32_e32 v40, 7, v52
	v_cmp_gt_u32_e32 vcc, 8, v23
	v_cndmask_b32_e32 v23, v32, v34, vcc
	v_cndmask_b32_e32 v30, v30, v40, vcc
	v_lshlrev_b32_e32 v32, 24, v28
	v_lshlrev_b32_e32 v30, 20, v30
	v_and_b32_e32 v32, 0x80000000, v32
	v_lshl_add_u32 v23, v23, 23, v38
	v_or3_b32 v34, v32, v23, v30
.LBB619_165:                            ;   in Loop: Header=BB619_17 Depth=1
	s_or_b64 exec, exec, s[10:11]
.LBB619_166:                            ;   in Loop: Header=BB619_17 Depth=1
	s_or_b64 exec, exec, s[6:7]
.LBB619_167:                            ;   in Loop: Header=BB619_17 Depth=1
	s_or_b64 exec, exec, s[4:5]
	v_lshrrev_b16_e32 v30, 8, v28
	v_cmp_ne_u16_e32 vcc, 0, v30
	v_mov_b32_e32 v23, 0
	v_mov_b32_e32 v32, 0
	s_and_saveexec_b64 s[4:5], vcc
	s_cbranch_execz .LBB619_173
; %bb.168:                              ;   in Loop: Header=BB619_17 Depth=1
	v_cmp_ne_u16_e32 vcc, s13, v30
	v_bfrev_b32_e32 v32, 1
	s_and_saveexec_b64 s[6:7], vcc
	s_cbranch_execz .LBB619_172
; %bb.169:                              ;   in Loop: Header=BB619_17 Depth=1
	v_and_b32_e32 v40, 0x7f, v30
	v_cmp_ne_u32_e32 vcc, s14, v40
	v_mov_b32_e32 v32, 0x7f800001
	s_and_saveexec_b64 s[10:11], vcc
	s_cbranch_execz .LBB619_171
; %bb.170:                              ;   in Loop: Header=BB619_17 Depth=1
	v_and_b32_e32 v32, 7, v30
	v_ffbh_u32_e32 v44, v32
	v_min_u32_e32 v44, 32, v44
	v_subrev_u32_e32 v52, 28, v44
	v_lshlrev_b64 v[52:53], v52, v[30:31]
	v_lshrrev_b32_e32 v42, 3, v40
	v_sub_u32_e32 v30, 29, v44
	v_and_b32_e32 v44, 7, v52
	v_cmp_gt_u32_e32 vcc, 8, v40
	v_cndmask_b32_e32 v30, v42, v30, vcc
	v_cndmask_b32_e32 v32, v32, v44, vcc
	v_lshlrev_b32_e32 v40, 16, v28
	v_lshlrev_b32_e32 v32, 20, v32
	v_and_b32_e32 v40, 0x80000000, v40
	v_lshl_add_u32 v30, v30, 23, v38
	v_or3_b32 v32, v40, v30, v32
.LBB619_171:                            ;   in Loop: Header=BB619_17 Depth=1
	s_or_b64 exec, exec, s[10:11]
.LBB619_172:                            ;   in Loop: Header=BB619_17 Depth=1
	s_or_b64 exec, exec, s[6:7]
.LBB619_173:                            ;   in Loop: Header=BB619_17 Depth=1
	s_or_b64 exec, exec, s[4:5]
	v_lshrrev_b32_e32 v30, 16, v28
	v_cmp_ne_u16_sdwa s[6:7], v30, v35 src0_sel:BYTE_0 src1_sel:DWORD
	s_and_saveexec_b64 s[4:5], s[6:7]
	s_cbranch_execz .LBB619_179
; %bb.174:                              ;   in Loop: Header=BB619_17 Depth=1
	v_cmp_ne_u16_sdwa s[10:11], v30, s13 src0_sel:BYTE_0 src1_sel:DWORD
	v_bfrev_b32_e32 v23, 1
	s_and_saveexec_b64 s[6:7], s[10:11]
	s_cbranch_execz .LBB619_178
; %bb.175:                              ;   in Loop: Header=BB619_17 Depth=1
	v_bfe_u32 v40, v28, 16, 7
	v_cmp_ne_u32_e32 vcc, s14, v40
	v_mov_b32_e32 v23, 0x7f800001
	s_and_saveexec_b64 s[10:11], vcc
	s_cbranch_execz .LBB619_177
; %bb.176:                              ;   in Loop: Header=BB619_17 Depth=1
	v_and_b32_e32 v23, 7, v30
	v_ffbh_u32_e32 v44, v23
	v_min_u32_e32 v44, 32, v44
	v_subrev_u32_e32 v52, 28, v44
	v_lshlrev_b64 v[52:53], v52, v[30:31]
	v_lshrrev_b32_e32 v42, 3, v40
	v_sub_u32_e32 v44, 29, v44
	v_and_b32_e32 v52, 7, v52
	v_cmp_gt_u32_e32 vcc, 8, v40
	v_cndmask_b32_e32 v40, v42, v44, vcc
	v_cndmask_b32_e32 v23, v23, v52, vcc
	v_lshlrev_b32_e32 v30, 24, v30
	v_lshlrev_b32_e32 v23, 20, v23
	v_and_b32_e32 v30, 0x80000000, v30
	v_lshl_add_u32 v40, v40, 23, v38
	v_or3_b32 v23, v30, v40, v23
.LBB619_177:                            ;   in Loop: Header=BB619_17 Depth=1
	s_or_b64 exec, exec, s[10:11]
.LBB619_178:                            ;   in Loop: Header=BB619_17 Depth=1
	s_or_b64 exec, exec, s[6:7]
.LBB619_179:                            ;   in Loop: Header=BB619_17 Depth=1
	s_or_b64 exec, exec, s[4:5]
	v_cmp_lt_u32_e32 vcc, s15, v28
	v_mov_b32_e32 v40, 0
	v_mov_b32_e32 v42, 0
	s_and_saveexec_b64 s[4:5], vcc
	s_cbranch_execz .LBB619_185
; %bb.180:                              ;   in Loop: Header=BB619_17 Depth=1
	v_lshrrev_b32_e32 v30, 24, v28
	v_cmp_ne_u32_e32 vcc, s13, v30
	v_bfrev_b32_e32 v42, 1
	s_and_saveexec_b64 s[6:7], vcc
	s_cbranch_execz .LBB619_184
; %bb.181:                              ;   in Loop: Header=BB619_17 Depth=1
	v_bfe_u32 v28, v28, 24, 7
	v_cmp_ne_u32_e32 vcc, s14, v28
	v_mov_b32_e32 v42, 0x7f800001
	s_and_saveexec_b64 s[10:11], vcc
	s_cbranch_execz .LBB619_183
; %bb.182:                              ;   in Loop: Header=BB619_17 Depth=1
	v_and_b32_e32 v42, 7, v30
	v_ffbh_u32_e32 v52, v42
	v_min_u32_e32 v54, 32, v52
	v_subrev_u32_e32 v52, 28, v54
	v_lshlrev_b64 v[52:53], v52, v[30:31]
	v_lshrrev_b32_e32 v44, 3, v28
	v_sub_u32_e32 v53, 29, v54
	v_and_b32_e32 v52, 7, v52
	v_cmp_gt_u32_e32 vcc, 8, v28
	v_cndmask_b32_e32 v28, v44, v53, vcc
	v_cndmask_b32_e32 v42, v42, v52, vcc
	v_lshlrev_b32_e32 v30, 24, v30
	v_lshlrev_b32_e32 v42, 20, v42
	v_and_b32_e32 v30, 0x80000000, v30
	v_lshl_add_u32 v28, v28, 23, v38
	v_or3_b32 v42, v30, v28, v42
.LBB619_183:                            ;   in Loop: Header=BB619_17 Depth=1
	s_or_b64 exec, exec, s[10:11]
.LBB619_184:                            ;   in Loop: Header=BB619_17 Depth=1
	s_or_b64 exec, exec, s[6:7]
.LBB619_185:                            ;   in Loop: Header=BB619_17 Depth=1
	s_or_b64 exec, exec, s[4:5]
	s_waitcnt vmcnt(0)
	v_cmp_ne_u16_sdwa s[6:7], v26, v35 src0_sel:BYTE_0 src1_sel:DWORD
	s_and_saveexec_b64 s[4:5], s[6:7]
	s_cbranch_execz .LBB619_191
; %bb.186:                              ;   in Loop: Header=BB619_17 Depth=1
	v_cmp_ne_u16_sdwa s[10:11], v26, s13 src0_sel:BYTE_0 src1_sel:DWORD
	v_bfrev_b32_e32 v40, 1
	s_and_saveexec_b64 s[6:7], s[10:11]
	s_cbranch_execz .LBB619_190
; %bb.187:                              ;   in Loop: Header=BB619_17 Depth=1
	v_and_b32_e32 v28, 0x7f, v26
	v_cmp_ne_u32_e32 vcc, s14, v28
	v_mov_b32_e32 v40, 0x7f800001
	s_and_saveexec_b64 s[10:11], vcc
	s_cbranch_execz .LBB619_189
; %bb.188:                              ;   in Loop: Header=BB619_17 Depth=1
	v_and_b32_e32 v30, 7, v26
	v_ffbh_u32_e32 v44, v30
	v_min_u32_e32 v44, 32, v44
	v_subrev_u32_e32 v52, 28, v44
	v_lshlrev_b64 v[52:53], v52, v[26:27]
	v_lshrrev_b32_e32 v40, 3, v28
	v_sub_u32_e32 v44, 29, v44
	v_and_b32_e32 v52, 7, v52
	v_cmp_gt_u32_e32 vcc, 8, v28
	v_cndmask_b32_e32 v28, v40, v44, vcc
	v_cndmask_b32_e32 v30, v30, v52, vcc
	v_lshlrev_b32_e32 v40, 24, v26
	v_lshlrev_b32_e32 v30, 20, v30
	v_and_b32_e32 v40, 0x80000000, v40
	v_lshl_add_u32 v28, v28, 23, v38
	v_or3_b32 v40, v40, v28, v30
.LBB619_189:                            ;   in Loop: Header=BB619_17 Depth=1
	s_or_b64 exec, exec, s[10:11]
.LBB619_190:                            ;   in Loop: Header=BB619_17 Depth=1
	s_or_b64 exec, exec, s[6:7]
.LBB619_191:                            ;   in Loop: Header=BB619_17 Depth=1
	s_or_b64 exec, exec, s[4:5]
	v_lshrrev_b16_e32 v28, 8, v26
	v_cmp_ne_u16_e32 vcc, 0, v28
	v_mov_b32_e32 v30, 0
	v_mov_b32_e32 v44, 0
	s_and_saveexec_b64 s[4:5], vcc
	s_cbranch_execz .LBB619_197
; %bb.192:                              ;   in Loop: Header=BB619_17 Depth=1
	v_cmp_ne_u16_e32 vcc, s13, v28
	v_bfrev_b32_e32 v44, 1
	s_and_saveexec_b64 s[6:7], vcc
	s_cbranch_execz .LBB619_196
; %bb.193:                              ;   in Loop: Header=BB619_17 Depth=1
	v_and_b32_e32 v52, 0x7f, v28
	v_cmp_ne_u32_e32 vcc, s14, v52
	v_mov_b32_e32 v44, 0x7f800001
	s_and_saveexec_b64 s[10:11], vcc
	s_cbranch_execz .LBB619_195
; %bb.194:                              ;   in Loop: Header=BB619_17 Depth=1
	v_and_b32_e32 v44, 7, v28
	v_ffbh_u32_e32 v54, v44
	v_min_u32_e32 v56, 32, v54
	v_subrev_u32_e32 v54, 28, v56
	v_lshlrev_b64 v[54:55], v54, v[28:29]
	v_lshrrev_b32_e32 v53, 3, v52
	v_sub_u32_e32 v28, 29, v56
	v_and_b32_e32 v54, 7, v54
	v_cmp_gt_u32_e32 vcc, 8, v52
	v_cndmask_b32_e32 v28, v53, v28, vcc
	v_cndmask_b32_e32 v44, v44, v54, vcc
	v_lshlrev_b32_e32 v52, 16, v26
	v_lshlrev_b32_e32 v44, 20, v44
	v_and_b32_e32 v52, 0x80000000, v52
	v_lshl_add_u32 v28, v28, 23, v38
	v_or3_b32 v44, v52, v28, v44
.LBB619_195:                            ;   in Loop: Header=BB619_17 Depth=1
	s_or_b64 exec, exec, s[10:11]
.LBB619_196:                            ;   in Loop: Header=BB619_17 Depth=1
	s_or_b64 exec, exec, s[6:7]
.LBB619_197:                            ;   in Loop: Header=BB619_17 Depth=1
	s_or_b64 exec, exec, s[4:5]
	v_lshrrev_b32_e32 v28, 16, v26
	v_cmp_ne_u16_sdwa s[6:7], v28, v35 src0_sel:BYTE_0 src1_sel:DWORD
	s_and_saveexec_b64 s[4:5], s[6:7]
	s_cbranch_execz .LBB619_203
; %bb.198:                              ;   in Loop: Header=BB619_17 Depth=1
	v_cmp_ne_u16_sdwa s[10:11], v28, s13 src0_sel:BYTE_0 src1_sel:DWORD
	v_bfrev_b32_e32 v30, 1
	s_and_saveexec_b64 s[6:7], s[10:11]
	s_cbranch_execz .LBB619_202
; %bb.199:                              ;   in Loop: Header=BB619_17 Depth=1
	v_bfe_u32 v52, v26, 16, 7
	v_cmp_ne_u32_e32 vcc, s14, v52
	v_mov_b32_e32 v30, 0x7f800001
	s_and_saveexec_b64 s[10:11], vcc
	s_cbranch_execz .LBB619_201
; %bb.200:                              ;   in Loop: Header=BB619_17 Depth=1
	v_and_b32_e32 v30, 7, v28
	v_ffbh_u32_e32 v54, v30
	v_min_u32_e32 v56, 32, v54
	v_subrev_u32_e32 v54, 28, v56
	v_lshlrev_b64 v[54:55], v54, v[28:29]
	v_lshrrev_b32_e32 v53, 3, v52
	v_sub_u32_e32 v55, 29, v56
	v_and_b32_e32 v54, 7, v54
	v_cmp_gt_u32_e32 vcc, 8, v52
	v_cndmask_b32_e32 v52, v53, v55, vcc
	v_cndmask_b32_e32 v30, v30, v54, vcc
	v_lshlrev_b32_e32 v28, 24, v28
	v_lshlrev_b32_e32 v30, 20, v30
	v_and_b32_e32 v28, 0x80000000, v28
	v_lshl_add_u32 v52, v52, 23, v38
	v_or3_b32 v30, v28, v52, v30
.LBB619_201:                            ;   in Loop: Header=BB619_17 Depth=1
	s_or_b64 exec, exec, s[10:11]
.LBB619_202:                            ;   in Loop: Header=BB619_17 Depth=1
	s_or_b64 exec, exec, s[6:7]
.LBB619_203:                            ;   in Loop: Header=BB619_17 Depth=1
	s_or_b64 exec, exec, s[4:5]
	v_cmp_lt_u32_e32 vcc, s15, v26
	v_mov_b32_e32 v52, 0
	s_and_saveexec_b64 s[4:5], vcc
	s_cbranch_execz .LBB619_16
; %bb.204:                              ;   in Loop: Header=BB619_17 Depth=1
	v_lshrrev_b32_e32 v28, 24, v26
	v_cmp_ne_u32_e32 vcc, s13, v28
	v_bfrev_b32_e32 v52, 1
	s_and_saveexec_b64 s[6:7], vcc
	s_cbranch_execz .LBB619_15
; %bb.205:                              ;   in Loop: Header=BB619_17 Depth=1
	v_bfe_u32 v26, v26, 24, 7
	v_cmp_ne_u32_e32 vcc, s14, v26
	v_mov_b32_e32 v52, 0x7f800001
	s_and_saveexec_b64 s[10:11], vcc
	s_cbranch_execz .LBB619_14
; %bb.206:                              ;   in Loop: Header=BB619_17 Depth=1
	v_and_b32_e32 v54, 7, v28
	v_ffbh_u32_e32 v52, v54
	v_min_u32_e32 v56, 32, v52
	v_subrev_u32_e32 v52, 28, v56
	v_lshlrev_b64 v[52:53], v52, v[28:29]
	v_lshrrev_b32_e32 v55, 3, v26
	v_sub_u32_e32 v53, 29, v56
	v_and_b32_e32 v52, 7, v52
	v_cmp_gt_u32_e32 vcc, 8, v26
	v_cndmask_b32_e32 v26, v55, v53, vcc
	v_cndmask_b32_e32 v52, v54, v52, vcc
	v_lshlrev_b32_e32 v28, 24, v28
	v_lshlrev_b32_e32 v52, 20, v52
	v_and_b32_e32 v28, 0x80000000, v28
	v_lshl_add_u32 v26, v26, 23, v38
	v_or3_b32 v52, v28, v26, v52
	s_branch .LBB619_14
.LBB619_207:
	buffer_load_dword v17, off, s[0:3], 0 offset:256
	buffer_load_dword v16, off, s[0:3], 0 offset:260
	;; [unrolled: 1-line block ×16, first 2 shown]
	v_and_b32_e32 v18, 0xc0, v0
	v_add_u32_e32 v18, s20, v18
	v_lshl_or_b32 v18, v1, 2, v18
	v_or_b32_e32 v20, 1, v18
	v_subrev_u32_e32 v24, s33, v20
	v_add_u32_e32 v26, 1, v24
	v_cvt_f32_i32_e32 v25, v24
	v_add_u32_e32 v28, 2, v24
	v_add_u32_e32 v30, 3, v24
	v_add_u32_e32 v32, 16, v24
	v_add_u32_e32 v34, 17, v24
	v_add_u32_e32 v35, 18, v24
	v_add_u32_e32 v36, 19, v24
	v_add_u32_e32 v37, 32, v24
	v_add_u32_e32 v38, 33, v24
	v_add_u32_e32 v40, 34, v24
	v_add_u32_e32 v42, 35, v24
	v_add_u32_e32 v44, 48, v24
	v_add_u32_e32 v52, 49, v24
	v_add_u32_e32 v53, 50, v24
	v_add_u32_e32 v24, 51, v24
	v_cvt_f32_i32_e32 v26, v26
	v_cvt_f32_i32_e32 v28, v28
	;; [unrolled: 1-line block ×4, first 2 shown]
	v_mov_b32_e32 v19, 0xff7fffff
	v_or_b32_e32 v21, 2, v18
	v_or_b32_e32 v22, 3, v18
	v_cvt_f32_i32_e32 v32, v32
	v_cvt_f32_i32_e32 v34, v34
	v_cmp_gt_i32_e64 s[28:29], s33, v18
	v_cmp_gt_i32_e64 s[30:31], s33, v20
	s_mov_b32 s52, 0xff7fffff
	v_cmp_gt_i32_e64 s[34:35], s33, v21
	v_cmp_gt_i32_e64 s[36:37], s33, v22
	v_or_b32_e32 v23, 16, v18
	v_cvt_f32_i32_e32 v35, v35
	v_cvt_f32_i32_e32 v36, v36
	v_cmp_gt_i32_e64 s[24:25], s33, v23
	v_cvt_f32_i32_e32 v37, v37
	v_cvt_f32_i32_e32 v38, v38
	;; [unrolled: 1-line block ×7, first 2 shown]
	s_waitcnt vmcnt(15)
	v_fmac_f32_e32 v17, v31, v25
	s_waitcnt vmcnt(14)
	v_fmac_f32_e32 v16, v31, v26
	s_waitcnt vmcnt(13)
	v_fmac_f32_e32 v15, v31, v28
	s_waitcnt vmcnt(12)
	v_fmac_f32_e32 v14, v31, v30
	v_cndmask_b32_e64 v20, v19, v16, s[30:31]
	v_cndmask_b32_e64 v21, v19, v15, s[34:35]
	;; [unrolled: 1-line block ×3, first 2 shown]
	s_waitcnt vmcnt(11)
	v_fmac_f32_e32 v13, v31, v32
	s_waitcnt vmcnt(10)
	v_fmac_f32_e32 v12, v31, v34
	;; [unrolled: 2-line block ×9, first 2 shown]
	v_cndmask_b32_e64 v24, v19, v17, s[28:29]
	v_max3_f32 v20, v24, s52, v20
	v_max3_f32 v20, v20, v21, v22
	v_or_b32_e32 v22, 17, v18
	v_cmp_gt_i32_e64 s[38:39], s33, v22
	v_cndmask_b32_e64 v21, v19, v13, s[24:25]
	v_cndmask_b32_e64 v22, v19, v12, s[38:39]
	v_max3_f32 v20, v20, v21, v22
	v_or_b32_e32 v21, 18, v18
	v_or_b32_e32 v22, 19, v18
	v_cmp_gt_i32_e64 s[20:21], s33, v21
	v_cmp_gt_i32_e64 s[22:23], s33, v22
	v_cndmask_b32_e64 v21, v19, v11, s[20:21]
	v_cndmask_b32_e64 v22, v19, v10, s[22:23]
	v_max3_f32 v20, v20, v21, v22
	v_or_b32_e32 v21, 32, v18
	v_or_b32_e32 v22, 33, v18
	v_cmp_gt_i32_e64 s[16:17], s33, v21
	;; [unrolled: 7-line block ×3, first 2 shown]
	v_cmp_gt_i32_e64 s[14:15], s33, v22
	v_cndmask_b32_e64 v21, v19, v7, s[12:13]
	v_cndmask_b32_e64 v22, v19, v6, s[14:15]
	v_max3_f32 v20, v20, v21, v22
	v_or_b32_e32 v21, 48, v18
	v_or_b32_e32 v22, 49, v18
	v_fmac_f32_e32 v5, v31, v44
	v_fmac_f32_e32 v4, v31, v52
	v_cmp_gt_i32_e64 s[6:7], s33, v21
	v_cmp_gt_i32_e64 s[10:11], s33, v22
	v_cndmask_b32_e64 v21, v19, v5, s[6:7]
	v_cndmask_b32_e64 v22, v19, v4, s[10:11]
	v_max3_f32 v20, v20, v21, v22
	v_or_b32_e32 v21, 50, v18
	v_or_b32_e32 v18, 51, v18
	v_fmac_f32_e32 v3, v31, v53
	v_cmp_gt_i32_e32 vcc, s33, v21
	v_cmp_gt_i32_e64 s[4:5], s33, v18
	v_cndmask_b32_e32 v21, v19, v3, vcc
	v_cndmask_b32_e64 v18, v19, v2, s[4:5]
	v_mbcnt_lo_u32_b32 v19, -1, 0
	v_mbcnt_hi_u32_b32 v19, -1, v19
	v_max3_f32 v18, v20, v21, v18
	v_and_b32_e32 v20, 64, v19
	v_add_u32_e32 v20, 64, v20
	v_xor_b32_e32 v21, 32, v19
	v_cmp_lt_i32_e64 s[40:41], v21, v20
	v_cndmask_b32_e64 v21, v19, v21, s[40:41]
	v_lshlrev_b32_e32 v21, 2, v21
	ds_bpermute_b32 v22, v21, v18
	s_waitcnt lgkmcnt(0)
	v_max_f32_e32 v22, v22, v22
	v_max_f32_e32 v18, v18, v22
	v_xor_b32_e32 v22, 16, v19
	v_cmp_lt_i32_e64 s[40:41], v22, v20
	v_cndmask_b32_e64 v19, v19, v22, s[40:41]
	v_lshlrev_b32_e32 v19, 2, v19
	ds_bpermute_b32 v20, v19, v18
	s_waitcnt lgkmcnt(0)
	v_max_f32_e32 v20, v20, v20
	v_max_f32_e32 v18, v18, v20
	v_sub_f32_e32 v17, v17, v18
	v_mul_f32_e32 v17, 0x3fb8aa3b, v17
	v_sub_f32_e32 v16, v16, v18
	v_exp_f32_e32 v17, v17
	v_mul_f32_e32 v16, 0x3fb8aa3b, v16
	v_sub_f32_e32 v15, v15, v18
	v_exp_f32_e32 v16, v16
	;; [unrolled: 3-line block ×4, first 2 shown]
	v_mul_f32_e32 v13, 0x3fb8aa3b, v13
	v_sub_f32_e32 v12, v12, v18
	v_cndmask_b32_e64 v17, 0, v17, s[28:29]
	v_exp_f32_e32 v13, v13
	v_mul_f32_e32 v12, 0x3fb8aa3b, v12
	v_sub_f32_e32 v11, v11, v18
	v_add_f32_e32 v20, 0, v17
	v_cndmask_b32_e64 v16, 0, v16, s[30:31]
	v_exp_f32_e32 v12, v12
	v_mul_f32_e32 v11, 0x3fb8aa3b, v11
	v_sub_f32_e32 v10, v10, v18
	v_add_f32_e32 v20, v20, v16
	;; [unrolled: 5-line block ×4, first 2 shown]
	v_cndmask_b32_e64 v13, 0, v13, s[24:25]
	v_exp_f32_e32 v9, v9
	v_mul_f32_e32 v8, 0x3fb8aa3b, v8
	v_sub_f32_e32 v7, v7, v18
	buffer_store_dword v17, off, s[0:3], 0 offset:256
	buffer_store_dword v16, off, s[0:3], 0 offset:260
	;; [unrolled: 1-line block ×4, first 2 shown]
	v_add_f32_e32 v14, v20, v13
	v_cndmask_b32_e64 v12, 0, v12, s[38:39]
	v_exp_f32_e32 v8, v8
	v_mul_f32_e32 v7, 0x3fb8aa3b, v7
	v_sub_f32_e32 v6, v6, v18
	v_add_f32_e32 v14, v14, v12
	v_cndmask_b32_e64 v11, 0, v11, s[20:21]
	v_exp_f32_e32 v7, v7
	v_mul_f32_e32 v6, 0x3fb8aa3b, v6
	v_sub_f32_e32 v5, v5, v18
	;; [unrolled: 5-line block ×4, first 2 shown]
	buffer_store_dword v13, off, s[0:3], 0 offset:272
	buffer_store_dword v12, off, s[0:3], 0 offset:276
	;; [unrolled: 1-line block ×4, first 2 shown]
	v_add_f32_e32 v10, v14, v9
	v_cndmask_b32_e64 v8, 0, v8, s[18:19]
	v_exp_f32_e32 v4, v4
	v_mul_f32_e32 v3, 0x3fb8aa3b, v3
	v_sub_f32_e32 v2, v2, v18
	v_add_f32_e32 v10, v10, v8
	v_cndmask_b32_e64 v7, 0, v7, s[12:13]
	v_exp_f32_e32 v3, v3
	v_mul_f32_e32 v2, 0x3fb8aa3b, v2
	v_add_f32_e32 v10, v10, v7
	v_cndmask_b32_e64 v6, 0, v6, s[14:15]
	v_exp_f32_e32 v2, v2
	v_add_f32_e32 v10, v10, v6
	v_cndmask_b32_e64 v5, 0, v5, s[6:7]
	buffer_store_dword v9, off, s[0:3], 0 offset:288
	buffer_store_dword v8, off, s[0:3], 0 offset:292
	;; [unrolled: 1-line block ×4, first 2 shown]
	v_add_f32_e32 v6, v10, v5
	v_cndmask_b32_e64 v4, 0, v4, s[10:11]
	v_add_f32_e32 v6, v6, v4
	v_cndmask_b32_e32 v3, 0, v3, vcc
	v_add_f32_e32 v6, v6, v3
	v_cndmask_b32_e64 v2, 0, v2, s[4:5]
	v_add_f32_e32 v6, v6, v2
	ds_bpermute_b32 v7, v21, v6
	buffer_store_dword v5, off, s[0:3], 0 offset:304
	buffer_store_dword v4, off, s[0:3], 0 offset:308
	;; [unrolled: 1-line block ×4, first 2 shown]
	v_cmp_gt_u32_e32 vcc, 16, v33
	s_waitcnt lgkmcnt(0)
	s_barrier
	v_add_f32_e32 v2, v6, v7
	ds_bpermute_b32 v3, v19, v2
	s_waitcnt lgkmcnt(0)
	s_and_saveexec_b64 s[4:5], vcc
	s_cbranch_execz .LBB619_209
; %bb.208:
	v_add_f32_e32 v2, v2, v3
	v_lshlrev_b32_e32 v3, 2, v29
	ds_write2st64_b32 v3, v18, v2 offset1:1
.LBB619_209:
	s_or_b64 exec, exec, s[4:5]
	v_lshlrev_b32_e32 v2, 2, v41
	s_waitcnt lgkmcnt(0)
	s_barrier
	ds_read2_b32 v[12:13], v2 offset1:16
	ds_read2_b32 v[14:15], v2 offset0:32 offset1:48
	ds_read2_b32 v[6:7], v2 offset0:64 offset1:80
	;; [unrolled: 1-line block ×3, first 2 shown]
	s_waitcnt lgkmcnt(0)
	s_barrier
	buffer_load_dword v20, off, s[0:3], 0 offset:256
	buffer_load_dword v21, off, s[0:3], 0 offset:260
	;; [unrolled: 1-line block ×16, first 2 shown]
	v_lshlrev_b32_e32 v19, 3, v1
	v_lshlrev_b32_e32 v18, 5, v41
	;; [unrolled: 1-line block ×3, first 2 shown]
	v_or3_b32 v52, v26, v18, v19
	v_max3_f32 v19, v12, s52, v13
	v_max3_f32 v19, v19, v14, v15
	v_sub_f32_e32 v12, v12, v19
	v_sub_f32_e32 v13, v13, v19
	v_mul_f32_e32 v12, 0x3fb8aa3b, v12
	v_sub_f32_e32 v14, v14, v19
	v_mul_f32_e32 v13, 0x3fb8aa3b, v13
	v_exp_f32_e32 v12, v12
	v_sub_f32_e32 v15, v15, v19
	v_mul_f32_e32 v14, 0x3fb8aa3b, v14
	v_exp_f32_e32 v13, v13
	v_mul_f32_e32 v15, 0x3fb8aa3b, v15
	v_exp_f32_e32 v14, v14
	v_exp_f32_e32 v15, v15
	v_fma_f32 v6, v12, v6, 0
	v_fmac_f32_e32 v6, v13, v7
	v_fmac_f32_e32 v6, v14, v10
	;; [unrolled: 1-line block ×3, first 2 shown]
	v_cmp_eq_u32_e32 vcc, 1, v27
	v_add_f32_e32 v10, 0x358637bd, v6
	v_cndmask_b32_e32 v12, v12, v13, vcc
	v_cmp_eq_u32_e32 vcc, 2, v27
	v_div_scale_f32 v11, s[4:5], v10, v10, 1.0
	v_cndmask_b32_e32 v7, v12, v14, vcc
	v_rcp_f32_e32 v12, v11
	v_cmp_eq_u32_e32 vcc, 3, v27
	v_cndmask_b32_e32 v7, v7, v15, vcc
	v_div_scale_f32 v13, vcc, 1.0, v10, 1.0
	v_fma_f32 v14, -v11, v12, 1.0
	v_fmac_f32_e32 v12, v14, v12
	v_mul_f32_e32 v14, v13, v12
	v_fma_f32 v15, -v11, v14, v13
	v_fmac_f32_e32 v14, v15, v12
	v_fma_f32 v11, -v11, v14, v13
	v_div_fmas_f32 v11, v11, v12, v14
	v_div_fixup_f32 v10, v11, v10, 1.0
	v_mul_f32_e32 v10, v7, v10
	s_mul_i32 s18, s49, 14
	v_cmp_gt_u32_e32 vcc, 14, v0
	s_waitcnt vmcnt(14)
	v_pk_mul_f32 v[14:15], v[10:11], v[20:21] op_sel_hi:[0,1]
	v_cvt_f16_f32_e32 v7, v14
	s_waitcnt vmcnt(12)
	v_pk_mul_f32 v[12:13], v[10:11], v[22:23] op_sel_hi:[0,1]
	buffer_store_dword v14, off, s[0:3], 0 offset:256
	buffer_store_dword v15, off, s[0:3], 0 offset:260
	;; [unrolled: 1-line block ×3, first 2 shown]
	s_waitcnt vmcnt(13)
	v_pk_mul_f32 v[20:21], v[10:11], v[24:25] op_sel_hi:[0,1]
	v_cvt_f16_f32_e32 v14, v12
	s_waitcnt vmcnt(11)
	v_pk_mul_f32 v[22:23], v[10:11], v[28:29] op_sel_hi:[0,1]
	v_cvt_f16_f32_e32 v11, v15
	v_cvt_f16_f32_e32 v15, v13
	buffer_store_dword v13, off, s[0:3], 0 offset:268
	buffer_store_dword v22, off, s[0:3], 0 offset:272
	buffer_store_dword v23, off, s[0:3], 0 offset:276
	v_pack_b32_f16 v12, v7, v11
	v_cvt_f16_f32_e32 v11, v23
	v_pack_b32_f16 v13, v14, v15
	v_cvt_f16_f32_e32 v7, v22
	v_cvt_f16_f32_e32 v15, v20
	;; [unrolled: 1-line block ×3, first 2 shown]
	s_waitcnt vmcnt(12)
	v_pk_mul_f32 v[4:5], v[10:11], v[4:5] op_sel_hi:[0,1]
	v_pack_b32_f16 v14, v7, v11
	s_waitcnt vmcnt(10)
	v_pk_mul_f32 v[2:3], v[10:11], v[2:3] op_sel_hi:[0,1]
	v_pack_b32_f16 v15, v15, v22
	v_cvt_f16_f32_e32 v11, v5
	buffer_store_dword v20, off, s[0:3], 0 offset:280
	buffer_store_dword v21, off, s[0:3], 0 offset:284
	ds_write2st64_b64 v52, v[12:13], v[14:15] offset1:1
	buffer_store_dword v2, off, s[0:3], 0 offset:288
	buffer_store_dword v3, off, s[0:3], 0 offset:292
	v_cvt_f16_f32_e32 v2, v2
	v_cvt_f16_f32_e32 v3, v3
	;; [unrolled: 1-line block ×3, first 2 shown]
	buffer_store_dword v4, off, s[0:3], 0 offset:296
	buffer_store_dword v5, off, s[0:3], 0 offset:300
	s_waitcnt vmcnt(12)
	v_pk_mul_f32 v[4:5], v[10:11], v[16:17] op_sel_hi:[0,1]
	v_pk_mul_f32 v[8:9], v[10:11], v[8:9] op_sel_hi:[0,1]
	v_pack_b32_f16 v2, v2, v3
	v_pack_b32_f16 v3, v7, v11
	buffer_store_dword v8, off, s[0:3], 0 offset:304
	buffer_store_dword v9, off, s[0:3], 0 offset:308
	v_cvt_f16_f32_e32 v7, v8
	v_cvt_f16_f32_e32 v8, v9
	;; [unrolled: 1-line block ×4, first 2 shown]
	buffer_store_dword v4, off, s[0:3], 0 offset:312
	buffer_store_dword v5, off, s[0:3], 0 offset:316
	v_pack_b32_f16 v4, v7, v8
	v_pack_b32_f16 v5, v9, v10
	ds_write2st64_b64 v52, v[2:3], v[4:5] offset0:2 offset1:3
	s_and_saveexec_b64 s[4:5], vcc
	s_cbranch_execz .LBB619_211
; %bb.210:
	v_add_co_u32_e32 v4, vcc, s27, v41
	v_addc_co_u32_e64 v5, s[6:7], 0, 0, vcc
	v_mov_b32_e32 v2, s18
	v_mad_u64_u32 v[4:5], s[6:7], s8, v2, v[4:5]
	v_mov_b32_e32 v3, 0
	s_mul_i32 s6, s9, s18
	v_mov_b32_e32 v2, s26
	v_add_u32_e32 v5, s6, v5
	v_mad_u64_u32 v[2:3], s[6:7], v4, s48, v[2:3]
	v_mov_b32_e32 v4, v3
	v_mad_u64_u32 v[4:5], s[6:7], v5, s48, v[4:5]
	v_mov_b32_e32 v3, v4
	v_lshlrev_b64 v[2:3], 2, v[2:3]
	v_mov_b32_e32 v5, s47
	v_add_co_u32_e32 v4, vcc, s46, v2
	v_addc_co_u32_e32 v5, vcc, v5, v3, vcc
	global_store_dword v[4:5], v19, off
	v_mov_b32_e32 v4, s45
	v_add_co_u32_e32 v2, vcc, s44, v2
	v_addc_co_u32_e32 v3, vcc, v4, v3, vcc
	global_store_dword v[2:3], v6, off
.LBB619_211:
	s_or_b64 exec, exec, s[4:5]
	v_lshl_or_b32 v30, v1, 9, v18
	s_waitcnt lgkmcnt(0)
	s_barrier
	s_load_dword s4, s[42:43], 0x0
	ds_read_b128 v[2:5], v30
	ds_read_b128 v[6:9], v30 offset:16
	ds_read_b128 v[10:13], v30 offset:2048
	;; [unrolled: 1-line block ×7, first 2 shown]
	v_mov_b32_e32 v35, 0x80
	v_mov_b32_e32 v53, 0x140
	s_mov_b64 s[10:11], -1
	s_waitcnt lgkmcnt(0)
	s_mov_b32 s5, s4
	s_mov_b32 s6, s4
	;; [unrolled: 1-line block ×3, first 2 shown]
	s_movk_i32 s9, 0x80
	s_movk_i32 s19, 0x7f
	s_mov_b32 s20, 0xffffff
	v_mov_b32_e32 v54, 0
	v_bfrev_b32_e32 v55, 60
	s_branch .LBB619_215
.LBB619_212:                            ;   in Loop: Header=BB619_215 Depth=1
	s_or_b64 exec, exec, s[16:17]
.LBB619_213:                            ;   in Loop: Header=BB619_215 Depth=1
	s_or_b64 exec, exec, s[14:15]
.LBB619_214:                            ;   in Loop: Header=BB619_215 Depth=1
	s_or_b64 exec, exec, s[12:13]
	v_cvt_pkrtz_f16_f32 v60, v46, v50
	v_cvt_pkrtz_f16_f32 v61, v44, v56
	s_xor_b64 s[12:13], s[10:11], -1
	s_mov_b64 s[10:11], 0
	v_mov_b32_e32 v46, v47
	v_mfma_f32_16x16x16f16 v[60:63], v[60:61], v[30:31], v[34:37]
	v_mov_b32_e32 v50, v49
	s_and_b64 vcc, exec, s[12:13]
	s_nop 4
	v_cvt_pkrtz_f16_f32 v36, v51, v57
	v_cvt_pkrtz_f16_f32 v37, v42, v58
	v_mov_b32_e32 v35, v45
	v_mov_b32_e32 v51, v48
	v_mfma_f32_16x16x16f16 v[56:59], v[36:37], v[32:33], v[60:63]
	s_nop 7
	s_nop 2
	v_pk_mul_f32 v[56:57], v[56:57], s[4:5]
	v_pk_mul_f32 v[36:37], v[58:59], s[6:7]
	v_cvt_f16_f32_e32 v34, v56
	v_cvt_f16_f32_e32 v38, v57
	;; [unrolled: 1-line block ×4, first 2 shown]
	v_pack_b32_f16 v34, v34, v38
	v_pack_b32_f16 v36, v36, v37
	buffer_store_dword v34, v53, s[0:3], 0 offen
	buffer_store_dword v36, v53, s[0:3], 0 offen offset:4
	v_mov_b32_e32 v53, 0x148
	s_cbranch_vccnz .LBB619_597
.LBB619_215:                            ; =>This Inner Loop Header: Depth=1
	buffer_load_dword v36, v35, s[0:3], 0 offen
	buffer_load_dword v34, v35, s[0:3], 0 offen offset:4
	buffer_load_dword v40, v35, s[0:3], 0 offen offset:8
	;; [unrolled: 1-line block ×3, first 2 shown]
	v_mov_b32_e32 v35, 0
	s_waitcnt vmcnt(3)
	v_cmp_ne_u16_sdwa s[14:15], v36, v54 src0_sel:BYTE_0 src1_sel:DWORD
	s_and_saveexec_b64 s[12:13], s[14:15]
	s_cbranch_execz .LBB619_221
; %bb.216:                              ;   in Loop: Header=BB619_215 Depth=1
	v_cmp_ne_u16_sdwa s[16:17], v36, s9 src0_sel:BYTE_0 src1_sel:DWORD
	v_bfrev_b32_e32 v35, 1
	s_and_saveexec_b64 s[14:15], s[16:17]
	s_cbranch_execz .LBB619_220
; %bb.217:                              ;   in Loop: Header=BB619_215 Depth=1
	v_and_b32_e32 v37, 0x7f, v36
	v_cmp_ne_u32_e32 vcc, s19, v37
	v_mov_b32_e32 v35, 0x7f800001
	s_and_saveexec_b64 s[16:17], vcc
	s_cbranch_execz .LBB619_219
; %bb.218:                              ;   in Loop: Header=BB619_215 Depth=1
	v_and_b32_e32 v35, 7, v36
	v_ffbh_u32_e32 v44, v35
	v_min_u32_e32 v44, 32, v44
	v_subrev_u32_e32 v56, 28, v44
	v_lshlrev_b64 v[56:57], v56, v[36:37]
	v_lshrrev_b32_e32 v42, 3, v37
	v_sub_u32_e32 v44, 29, v44
	v_and_b32_e32 v56, 7, v56
	v_cmp_gt_u32_e32 vcc, 8, v37
	v_cndmask_b32_e32 v37, v42, v44, vcc
	v_cndmask_b32_e32 v35, v35, v56, vcc
	v_lshlrev_b32_e32 v42, 24, v36
	v_lshlrev_b32_e32 v35, 20, v35
	v_and_b32_e32 v42, 0x80000000, v42
	v_lshl_add_u32 v37, v37, 23, v55
	v_or3_b32 v35, v42, v37, v35
.LBB619_219:                            ;   in Loop: Header=BB619_215 Depth=1
	s_or_b64 exec, exec, s[16:17]
.LBB619_220:                            ;   in Loop: Header=BB619_215 Depth=1
	s_or_b64 exec, exec, s[14:15]
.LBB619_221:                            ;   in Loop: Header=BB619_215 Depth=1
	s_or_b64 exec, exec, s[12:13]
	v_lshrrev_b16_e32 v42, 8, v36
	v_cmp_ne_u16_e32 vcc, 0, v42
	v_mov_b32_e32 v37, 0
	s_and_saveexec_b64 s[12:13], vcc
	s_cbranch_execz .LBB619_227
; %bb.222:                              ;   in Loop: Header=BB619_215 Depth=1
	v_cmp_ne_u16_e32 vcc, s9, v42
	v_bfrev_b32_e32 v37, 1
	s_and_saveexec_b64 s[14:15], vcc
	s_cbranch_execz .LBB619_226
; %bb.223:                              ;   in Loop: Header=BB619_215 Depth=1
	v_and_b32_e32 v44, 0x7f, v42
	v_cmp_ne_u32_e32 vcc, s19, v44
	v_mov_b32_e32 v37, 0x7f800001
	s_and_saveexec_b64 s[16:17], vcc
	s_cbranch_execz .LBB619_225
; %bb.224:                              ;   in Loop: Header=BB619_215 Depth=1
	v_and_b32_e32 v37, 7, v42
	v_ffbh_u32_e32 v56, v37
	v_min_u32_e32 v59, 32, v56
	v_subrev_u32_e32 v56, 28, v59
	v_lshlrev_b64 v[56:57], v56, v[42:43]
	v_lshrrev_b32_e32 v58, 3, v44
	v_sub_u32_e32 v42, 29, v59
	v_and_b32_e32 v56, 7, v56
	v_cmp_gt_u32_e32 vcc, 8, v44
	v_cndmask_b32_e32 v42, v58, v42, vcc
	v_cndmask_b32_e32 v37, v37, v56, vcc
	v_lshlrev_b32_e32 v44, 16, v36
	v_lshlrev_b32_e32 v37, 20, v37
	v_and_b32_e32 v44, 0x80000000, v44
	v_lshl_add_u32 v42, v42, 23, v55
	v_or3_b32 v37, v44, v42, v37
.LBB619_225:                            ;   in Loop: Header=BB619_215 Depth=1
	s_or_b64 exec, exec, s[16:17]
.LBB619_226:                            ;   in Loop: Header=BB619_215 Depth=1
	s_or_b64 exec, exec, s[14:15]
.LBB619_227:                            ;   in Loop: Header=BB619_215 Depth=1
	s_or_b64 exec, exec, s[12:13]
	v_lshrrev_b32_e32 v42, 16, v36
	v_cmp_ne_u16_sdwa s[14:15], v42, v54 src0_sel:BYTE_0 src1_sel:DWORD
	v_mov_b32_e32 v56, 0
	v_mov_b32_e32 v44, 0
	s_and_saveexec_b64 s[12:13], s[14:15]
	s_cbranch_execz .LBB619_233
; %bb.228:                              ;   in Loop: Header=BB619_215 Depth=1
	v_cmp_ne_u16_sdwa s[16:17], v42, s9 src0_sel:BYTE_0 src1_sel:DWORD
	v_bfrev_b32_e32 v44, 1
	s_and_saveexec_b64 s[14:15], s[16:17]
	s_cbranch_execz .LBB619_232
; %bb.229:                              ;   in Loop: Header=BB619_215 Depth=1
	v_bfe_u32 v57, v36, 16, 7
	v_cmp_ne_u32_e32 vcc, s19, v57
	v_mov_b32_e32 v44, 0x7f800001
	s_and_saveexec_b64 s[16:17], vcc
	s_cbranch_execz .LBB619_231
; %bb.230:                              ;   in Loop: Header=BB619_215 Depth=1
	v_and_b32_e32 v44, 7, v42
	v_ffbh_u32_e32 v58, v44
	v_min_u32_e32 v61, 32, v58
	v_subrev_u32_e32 v58, 28, v61
	v_lshlrev_b64 v[58:59], v58, v[42:43]
	v_lshrrev_b32_e32 v60, 3, v57
	v_sub_u32_e32 v59, 29, v61
	v_and_b32_e32 v58, 7, v58
	v_cmp_gt_u32_e32 vcc, 8, v57
	v_cndmask_b32_e32 v57, v60, v59, vcc
	v_cndmask_b32_e32 v44, v44, v58, vcc
	v_lshlrev_b32_e32 v42, 24, v42
	v_lshlrev_b32_e32 v44, 20, v44
	v_and_b32_e32 v42, 0x80000000, v42
	v_lshl_add_u32 v57, v57, 23, v55
	v_or3_b32 v44, v42, v57, v44
.LBB619_231:                            ;   in Loop: Header=BB619_215 Depth=1
	s_or_b64 exec, exec, s[16:17]
.LBB619_232:                            ;   in Loop: Header=BB619_215 Depth=1
	s_or_b64 exec, exec, s[14:15]
.LBB619_233:                            ;   in Loop: Header=BB619_215 Depth=1
	s_or_b64 exec, exec, s[12:13]
	v_cmp_lt_u32_e32 vcc, s20, v36
	s_and_saveexec_b64 s[12:13], vcc
	s_cbranch_execz .LBB619_239
; %bb.234:                              ;   in Loop: Header=BB619_215 Depth=1
	v_lshrrev_b32_e32 v42, 24, v36
	v_cmp_ne_u32_e32 vcc, s9, v42
	v_bfrev_b32_e32 v56, 1
	s_and_saveexec_b64 s[14:15], vcc
	s_cbranch_execz .LBB619_238
; %bb.235:                              ;   in Loop: Header=BB619_215 Depth=1
	v_bfe_u32 v36, v36, 24, 7
	v_cmp_ne_u32_e32 vcc, s19, v36
	v_mov_b32_e32 v56, 0x7f800001
	s_and_saveexec_b64 s[16:17], vcc
	s_cbranch_execz .LBB619_237
; %bb.236:                              ;   in Loop: Header=BB619_215 Depth=1
	v_and_b32_e32 v58, 7, v42
	v_ffbh_u32_e32 v56, v58
	v_min_u32_e32 v60, 32, v56
	v_subrev_u32_e32 v56, 28, v60
	v_lshlrev_b64 v[56:57], v56, v[42:43]
	v_lshrrev_b32_e32 v59, 3, v36
	v_sub_u32_e32 v57, 29, v60
	v_and_b32_e32 v56, 7, v56
	v_cmp_gt_u32_e32 vcc, 8, v36
	v_cndmask_b32_e32 v36, v59, v57, vcc
	v_cndmask_b32_e32 v56, v58, v56, vcc
	v_lshlrev_b32_e32 v42, 24, v42
	v_lshlrev_b32_e32 v56, 20, v56
	v_and_b32_e32 v42, 0x80000000, v42
	v_lshl_add_u32 v36, v36, 23, v55
	v_or3_b32 v56, v42, v36, v56
.LBB619_237:                            ;   in Loop: Header=BB619_215 Depth=1
	s_or_b64 exec, exec, s[16:17]
.LBB619_238:                            ;   in Loop: Header=BB619_215 Depth=1
	s_or_b64 exec, exec, s[14:15]
.LBB619_239:                            ;   in Loop: Header=BB619_215 Depth=1
	s_or_b64 exec, exec, s[12:13]
	s_waitcnt vmcnt(2)
	v_cmp_ne_u16_sdwa s[14:15], v34, v54 src0_sel:BYTE_0 src1_sel:DWORD
	v_mov_b32_e32 v42, 0
	v_mov_b32_e32 v57, 0
	s_and_saveexec_b64 s[12:13], s[14:15]
	s_cbranch_execz .LBB619_245
; %bb.240:                              ;   in Loop: Header=BB619_215 Depth=1
	v_cmp_ne_u16_sdwa s[16:17], v34, s9 src0_sel:BYTE_0 src1_sel:DWORD
	v_bfrev_b32_e32 v57, 1
	s_and_saveexec_b64 s[14:15], s[16:17]
	s_cbranch_execz .LBB619_244
; %bb.241:                              ;   in Loop: Header=BB619_215 Depth=1
	v_and_b32_e32 v36, 0x7f, v34
	v_cmp_ne_u32_e32 vcc, s19, v36
	v_mov_b32_e32 v57, 0x7f800001
	s_and_saveexec_b64 s[16:17], vcc
	s_cbranch_execz .LBB619_243
; %bb.242:                              ;   in Loop: Header=BB619_215 Depth=1
	v_and_b32_e32 v57, 7, v34
	v_ffbh_u32_e32 v58, v57
	v_min_u32_e32 v61, 32, v58
	v_subrev_u32_e32 v58, 28, v61
	v_lshlrev_b64 v[58:59], v58, v[34:35]
	v_lshrrev_b32_e32 v60, 3, v36
	v_sub_u32_e32 v59, 29, v61
	v_and_b32_e32 v58, 7, v58
	v_cmp_gt_u32_e32 vcc, 8, v36
	v_cndmask_b32_e32 v36, v60, v59, vcc
	v_cndmask_b32_e32 v57, v57, v58, vcc
	v_lshlrev_b32_e32 v58, 24, v34
	v_lshlrev_b32_e32 v57, 20, v57
	v_and_b32_e32 v58, 0x80000000, v58
	v_lshl_add_u32 v36, v36, 23, v55
	v_or3_b32 v57, v58, v36, v57
.LBB619_243:                            ;   in Loop: Header=BB619_215 Depth=1
	s_or_b64 exec, exec, s[16:17]
.LBB619_244:                            ;   in Loop: Header=BB619_215 Depth=1
	s_or_b64 exec, exec, s[14:15]
.LBB619_245:                            ;   in Loop: Header=BB619_215 Depth=1
	s_or_b64 exec, exec, s[12:13]
	v_lshrrev_b16_e32 v36, 8, v34
	v_cmp_ne_u16_e32 vcc, 0, v36
	s_and_saveexec_b64 s[12:13], vcc
	s_cbranch_execz .LBB619_251
; %bb.246:                              ;   in Loop: Header=BB619_215 Depth=1
	v_cmp_ne_u16_e32 vcc, s9, v36
	v_bfrev_b32_e32 v42, 1
	s_and_saveexec_b64 s[14:15], vcc
	s_cbranch_execz .LBB619_250
; %bb.247:                              ;   in Loop: Header=BB619_215 Depth=1
	v_and_b32_e32 v58, 0x7f, v36
	v_cmp_ne_u32_e32 vcc, s19, v58
	v_mov_b32_e32 v42, 0x7f800001
	s_and_saveexec_b64 s[16:17], vcc
	s_cbranch_execz .LBB619_249
; %bb.248:                              ;   in Loop: Header=BB619_215 Depth=1
	v_and_b32_e32 v42, 7, v36
	v_ffbh_u32_e32 v60, v42
	v_min_u32_e32 v62, 32, v60
	v_subrev_u32_e32 v60, 28, v62
	v_lshlrev_b64 v[60:61], v60, v[36:37]
	v_lshrrev_b32_e32 v59, 3, v58
	v_sub_u32_e32 v36, 29, v62
	v_and_b32_e32 v60, 7, v60
	v_cmp_gt_u32_e32 vcc, 8, v58
	v_cndmask_b32_e32 v36, v59, v36, vcc
	v_cndmask_b32_e32 v42, v42, v60, vcc
	v_lshlrev_b32_e32 v58, 16, v34
	v_lshlrev_b32_e32 v42, 20, v42
	v_and_b32_e32 v58, 0x80000000, v58
	v_lshl_add_u32 v36, v36, 23, v55
	v_or3_b32 v42, v58, v36, v42
.LBB619_249:                            ;   in Loop: Header=BB619_215 Depth=1
	s_or_b64 exec, exec, s[16:17]
.LBB619_250:                            ;   in Loop: Header=BB619_215 Depth=1
	s_or_b64 exec, exec, s[14:15]
.LBB619_251:                            ;   in Loop: Header=BB619_215 Depth=1
	s_or_b64 exec, exec, s[12:13]
	v_lshrrev_b32_e32 v36, 16, v34
	v_cmp_ne_u16_sdwa s[14:15], v36, v54 src0_sel:BYTE_0 src1_sel:DWORD
	v_mov_b32_e32 v59, 0
	v_mov_b32_e32 v58, 0
	s_and_saveexec_b64 s[12:13], s[14:15]
	s_cbranch_execz .LBB619_257
; %bb.252:                              ;   in Loop: Header=BB619_215 Depth=1
	v_cmp_ne_u16_sdwa s[16:17], v36, s9 src0_sel:BYTE_0 src1_sel:DWORD
	v_bfrev_b32_e32 v58, 1
	s_and_saveexec_b64 s[14:15], s[16:17]
	s_cbranch_execz .LBB619_256
; %bb.253:                              ;   in Loop: Header=BB619_215 Depth=1
	v_bfe_u32 v60, v34, 16, 7
	v_cmp_ne_u32_e32 vcc, s19, v60
	v_mov_b32_e32 v58, 0x7f800001
	s_and_saveexec_b64 s[16:17], vcc
	s_cbranch_execz .LBB619_255
; %bb.254:                              ;   in Loop: Header=BB619_215 Depth=1
	v_and_b32_e32 v58, 7, v36
	v_ffbh_u32_e32 v62, v58
	v_min_u32_e32 v64, 32, v62
	v_subrev_u32_e32 v62, 28, v64
	v_lshlrev_b64 v[62:63], v62, v[36:37]
	v_lshrrev_b32_e32 v61, 3, v60
	v_sub_u32_e32 v63, 29, v64
	v_and_b32_e32 v62, 7, v62
	v_cmp_gt_u32_e32 vcc, 8, v60
	v_cndmask_b32_e32 v60, v61, v63, vcc
	v_cndmask_b32_e32 v58, v58, v62, vcc
	v_lshlrev_b32_e32 v36, 24, v36
	v_lshlrev_b32_e32 v58, 20, v58
	v_and_b32_e32 v36, 0x80000000, v36
	v_lshl_add_u32 v60, v60, 23, v55
	v_or3_b32 v58, v36, v60, v58
.LBB619_255:                            ;   in Loop: Header=BB619_215 Depth=1
	s_or_b64 exec, exec, s[16:17]
.LBB619_256:                            ;   in Loop: Header=BB619_215 Depth=1
	s_or_b64 exec, exec, s[14:15]
.LBB619_257:                            ;   in Loop: Header=BB619_215 Depth=1
	s_or_b64 exec, exec, s[12:13]
	v_cmp_lt_u32_e32 vcc, s20, v34
	s_and_saveexec_b64 s[12:13], vcc
	s_cbranch_execz .LBB619_263
; %bb.258:                              ;   in Loop: Header=BB619_215 Depth=1
	v_lshrrev_b32_e32 v36, 24, v34
	v_cmp_ne_u32_e32 vcc, s9, v36
	v_bfrev_b32_e32 v59, 1
	s_and_saveexec_b64 s[14:15], vcc
	s_cbranch_execz .LBB619_262
; %bb.259:                              ;   in Loop: Header=BB619_215 Depth=1
	v_bfe_u32 v34, v34, 24, 7
	v_cmp_ne_u32_e32 vcc, s19, v34
	v_mov_b32_e32 v59, 0x7f800001
	s_and_saveexec_b64 s[16:17], vcc
	s_cbranch_execz .LBB619_261
; %bb.260:                              ;   in Loop: Header=BB619_215 Depth=1
	v_and_b32_e32 v59, 7, v36
	v_ffbh_u32_e32 v60, v59
	v_min_u32_e32 v63, 32, v60
	v_subrev_u32_e32 v60, 28, v63
	v_lshlrev_b64 v[60:61], v60, v[36:37]
	v_lshrrev_b32_e32 v62, 3, v34
	v_sub_u32_e32 v61, 29, v63
	v_and_b32_e32 v60, 7, v60
	v_cmp_gt_u32_e32 vcc, 8, v34
	v_cndmask_b32_e32 v34, v62, v61, vcc
	v_cndmask_b32_e32 v59, v59, v60, vcc
	v_lshlrev_b32_e32 v36, 24, v36
	v_lshlrev_b32_e32 v59, 20, v59
	v_and_b32_e32 v36, 0x80000000, v36
	v_lshl_add_u32 v34, v34, 23, v55
	v_or3_b32 v59, v36, v34, v59
.LBB619_261:                            ;   in Loop: Header=BB619_215 Depth=1
	s_or_b64 exec, exec, s[16:17]
.LBB619_262:                            ;   in Loop: Header=BB619_215 Depth=1
	s_or_b64 exec, exec, s[14:15]
.LBB619_263:                            ;   in Loop: Header=BB619_215 Depth=1
	s_or_b64 exec, exec, s[12:13]
	v_cvt_pkrtz_f16_f32 v34, v35, v37
	v_cvt_pkrtz_f16_f32 v35, v44, v56
	;; [unrolled: 1-line block ×4, first 2 shown]
	v_mov_b32_e32 v44, 0
	v_mfma_f32_16x16x16f16 v[34:37], v[34:35], v[2:3], 0
	s_waitcnt vmcnt(1)
	v_cmp_ne_u16_sdwa s[14:15], v40, v54 src0_sel:BYTE_0 src1_sel:DWORD
	v_mov_b32_e32 v57, 0
	v_mfma_f32_16x16x16f16 v[34:37], v[60:61], v[4:5], v[34:37]
	s_and_saveexec_b64 s[12:13], s[14:15]
	s_cbranch_execz .LBB619_269
; %bb.264:                              ;   in Loop: Header=BB619_215 Depth=1
	v_cmp_ne_u16_sdwa s[16:17], v40, s9 src0_sel:BYTE_0 src1_sel:DWORD
	v_bfrev_b32_e32 v57, 1
	s_and_saveexec_b64 s[14:15], s[16:17]
	s_cbranch_execz .LBB619_268
; %bb.265:                              ;   in Loop: Header=BB619_215 Depth=1
	v_and_b32_e32 v42, 0x7f, v40
	v_cmp_ne_u32_e32 vcc, s19, v42
	v_mov_b32_e32 v57, 0x7f800001
	s_and_saveexec_b64 s[16:17], vcc
	s_cbranch_execz .LBB619_267
; %bb.266:                              ;   in Loop: Header=BB619_215 Depth=1
	v_and_b32_e32 v58, 7, v40
	v_ffbh_u32_e32 v56, v58
	v_min_u32_e32 v60, 32, v56
	v_subrev_u32_e32 v56, 28, v60
	v_lshlrev_b64 v[56:57], v56, v[40:41]
	v_lshrrev_b32_e32 v59, 3, v42
	v_sub_u32_e32 v57, 29, v60
	v_and_b32_e32 v56, 7, v56
	v_cmp_gt_u32_e32 vcc, 8, v42
	v_cndmask_b32_e32 v42, v59, v57, vcc
	v_cndmask_b32_e32 v56, v58, v56, vcc
	v_lshlrev_b32_e32 v57, 24, v40
	v_lshlrev_b32_e32 v56, 20, v56
	v_and_b32_e32 v57, 0x80000000, v57
	v_lshl_add_u32 v42, v42, 23, v55
	v_or3_b32 v57, v57, v42, v56
.LBB619_267:                            ;   in Loop: Header=BB619_215 Depth=1
	s_or_b64 exec, exec, s[16:17]
.LBB619_268:                            ;   in Loop: Header=BB619_215 Depth=1
	s_or_b64 exec, exec, s[14:15]
.LBB619_269:                            ;   in Loop: Header=BB619_215 Depth=1
	s_or_b64 exec, exec, s[12:13]
	v_lshrrev_b16_e32 v42, 8, v40
	v_cmp_ne_u16_e32 vcc, 0, v42
	v_mov_b32_e32 v58, 0
	s_and_saveexec_b64 s[12:13], vcc
	s_cbranch_execz .LBB619_275
; %bb.270:                              ;   in Loop: Header=BB619_215 Depth=1
	v_cmp_ne_u16_e32 vcc, s9, v42
	v_bfrev_b32_e32 v58, 1
	s_and_saveexec_b64 s[14:15], vcc
	s_cbranch_execz .LBB619_274
; %bb.271:                              ;   in Loop: Header=BB619_215 Depth=1
	v_and_b32_e32 v56, 0x7f, v42
	v_cmp_ne_u32_e32 vcc, s19, v56
	v_mov_b32_e32 v58, 0x7f800001
	s_and_saveexec_b64 s[16:17], vcc
	s_cbranch_execz .LBB619_273
; %bb.272:                              ;   in Loop: Header=BB619_215 Depth=1
	v_and_b32_e32 v60, 7, v42
	v_ffbh_u32_e32 v58, v60
	v_min_u32_e32 v62, 32, v58
	v_subrev_u32_e32 v58, 28, v62
	v_lshlrev_b64 v[58:59], v58, v[42:43]
	v_lshrrev_b32_e32 v61, 3, v56
	v_sub_u32_e32 v42, 29, v62
	v_and_b32_e32 v58, 7, v58
	v_cmp_gt_u32_e32 vcc, 8, v56
	v_cndmask_b32_e32 v42, v61, v42, vcc
	v_cndmask_b32_e32 v56, v60, v58, vcc
	v_lshlrev_b32_e32 v58, 16, v40
	v_lshlrev_b32_e32 v56, 20, v56
	v_and_b32_e32 v58, 0x80000000, v58
	v_lshl_add_u32 v42, v42, 23, v55
	v_or3_b32 v58, v58, v42, v56
.LBB619_273:                            ;   in Loop: Header=BB619_215 Depth=1
	s_or_b64 exec, exec, s[16:17]
.LBB619_274:                            ;   in Loop: Header=BB619_215 Depth=1
	s_or_b64 exec, exec, s[14:15]
.LBB619_275:                            ;   in Loop: Header=BB619_215 Depth=1
	s_or_b64 exec, exec, s[12:13]
	v_lshrrev_b32_e32 v42, 16, v40
	v_cmp_ne_u16_sdwa s[14:15], v42, v54 src0_sel:BYTE_0 src1_sel:DWORD
	s_and_saveexec_b64 s[12:13], s[14:15]
	s_cbranch_execz .LBB619_281
; %bb.276:                              ;   in Loop: Header=BB619_215 Depth=1
	v_cmp_ne_u16_sdwa s[16:17], v42, s9 src0_sel:BYTE_0 src1_sel:DWORD
	v_bfrev_b32_e32 v44, 1
	s_and_saveexec_b64 s[14:15], s[16:17]
	s_cbranch_execz .LBB619_280
; %bb.277:                              ;   in Loop: Header=BB619_215 Depth=1
	v_bfe_u32 v56, v40, 16, 7
	v_cmp_ne_u32_e32 vcc, s19, v56
	v_mov_b32_e32 v44, 0x7f800001
	s_and_saveexec_b64 s[16:17], vcc
	s_cbranch_execz .LBB619_279
; %bb.278:                              ;   in Loop: Header=BB619_215 Depth=1
	v_and_b32_e32 v44, 7, v42
	v_ffbh_u32_e32 v60, v44
	v_min_u32_e32 v62, 32, v60
	v_subrev_u32_e32 v60, 28, v62
	v_lshlrev_b64 v[60:61], v60, v[42:43]
	v_lshrrev_b32_e32 v59, 3, v56
	v_sub_u32_e32 v61, 29, v62
	v_and_b32_e32 v60, 7, v60
	v_cmp_gt_u32_e32 vcc, 8, v56
	v_cndmask_b32_e32 v56, v59, v61, vcc
	v_cndmask_b32_e32 v44, v44, v60, vcc
	v_lshlrev_b32_e32 v42, 24, v42
	v_lshlrev_b32_e32 v44, 20, v44
	v_and_b32_e32 v42, 0x80000000, v42
	v_lshl_add_u32 v56, v56, 23, v55
	v_or3_b32 v44, v42, v56, v44
.LBB619_279:                            ;   in Loop: Header=BB619_215 Depth=1
	s_or_b64 exec, exec, s[16:17]
.LBB619_280:                            ;   in Loop: Header=BB619_215 Depth=1
	s_or_b64 exec, exec, s[14:15]
.LBB619_281:                            ;   in Loop: Header=BB619_215 Depth=1
	s_or_b64 exec, exec, s[12:13]
	v_cmp_lt_u32_e32 vcc, s20, v40
	v_mov_b32_e32 v59, 0
	v_mov_b32_e32 v60, 0
	s_and_saveexec_b64 s[12:13], vcc
	s_cbranch_execz .LBB619_287
; %bb.282:                              ;   in Loop: Header=BB619_215 Depth=1
	v_lshrrev_b32_e32 v42, 24, v40
	v_cmp_ne_u32_e32 vcc, s9, v42
	v_bfrev_b32_e32 v60, 1
	s_and_saveexec_b64 s[14:15], vcc
	s_cbranch_execz .LBB619_286
; %bb.283:                              ;   in Loop: Header=BB619_215 Depth=1
	v_bfe_u32 v40, v40, 24, 7
	v_cmp_ne_u32_e32 vcc, s19, v40
	v_mov_b32_e32 v60, 0x7f800001
	s_and_saveexec_b64 s[16:17], vcc
	s_cbranch_execz .LBB619_285
; %bb.284:                              ;   in Loop: Header=BB619_215 Depth=1
	v_and_b32_e32 v56, 7, v42
	v_ffbh_u32_e32 v60, v56
	v_min_u32_e32 v63, 32, v60
	v_subrev_u32_e32 v60, 28, v63
	v_lshlrev_b64 v[60:61], v60, v[42:43]
	v_lshrrev_b32_e32 v62, 3, v40
	v_sub_u32_e32 v61, 29, v63
	v_and_b32_e32 v60, 7, v60
	v_cmp_gt_u32_e32 vcc, 8, v40
	v_cndmask_b32_e32 v40, v62, v61, vcc
	v_cndmask_b32_e32 v56, v56, v60, vcc
	v_lshlrev_b32_e32 v42, 24, v42
	v_lshlrev_b32_e32 v56, 20, v56
	v_and_b32_e32 v42, 0x80000000, v42
	v_lshl_add_u32 v40, v40, 23, v55
	v_or3_b32 v60, v42, v40, v56
.LBB619_285:                            ;   in Loop: Header=BB619_215 Depth=1
	s_or_b64 exec, exec, s[16:17]
.LBB619_286:                            ;   in Loop: Header=BB619_215 Depth=1
	s_or_b64 exec, exec, s[14:15]
.LBB619_287:                            ;   in Loop: Header=BB619_215 Depth=1
	s_or_b64 exec, exec, s[12:13]
	s_waitcnt vmcnt(0)
	v_cmp_ne_u16_sdwa s[14:15], v38, v54 src0_sel:BYTE_0 src1_sel:DWORD
	s_and_saveexec_b64 s[12:13], s[14:15]
	s_cbranch_execz .LBB619_293
; %bb.288:                              ;   in Loop: Header=BB619_215 Depth=1
	v_cmp_ne_u16_sdwa s[16:17], v38, s9 src0_sel:BYTE_0 src1_sel:DWORD
	v_bfrev_b32_e32 v59, 1
	s_and_saveexec_b64 s[14:15], s[16:17]
	s_cbranch_execz .LBB619_292
; %bb.289:                              ;   in Loop: Header=BB619_215 Depth=1
	v_and_b32_e32 v40, 0x7f, v38
	v_cmp_ne_u32_e32 vcc, s19, v40
	v_mov_b32_e32 v59, 0x7f800001
	s_and_saveexec_b64 s[16:17], vcc
	s_cbranch_execz .LBB619_291
; %bb.290:                              ;   in Loop: Header=BB619_215 Depth=1
	v_and_b32_e32 v42, 7, v38
	v_ffbh_u32_e32 v59, v42
	v_min_u32_e32 v59, 32, v59
	v_subrev_u32_e32 v61, 28, v59
	v_lshlrev_b64 v[62:63], v61, v[38:39]
	v_lshrrev_b32_e32 v56, 3, v40
	v_sub_u32_e32 v59, 29, v59
	v_and_b32_e32 v61, 7, v62
	v_cmp_gt_u32_e32 vcc, 8, v40
	v_cndmask_b32_e32 v40, v56, v59, vcc
	v_cndmask_b32_e32 v42, v42, v61, vcc
	v_lshlrev_b32_e32 v56, 24, v38
	v_lshlrev_b32_e32 v42, 20, v42
	v_and_b32_e32 v56, 0x80000000, v56
	v_lshl_add_u32 v40, v40, 23, v55
	v_or3_b32 v59, v56, v40, v42
.LBB619_291:                            ;   in Loop: Header=BB619_215 Depth=1
	s_or_b64 exec, exec, s[16:17]
.LBB619_292:                            ;   in Loop: Header=BB619_215 Depth=1
	s_or_b64 exec, exec, s[14:15]
.LBB619_293:                            ;   in Loop: Header=BB619_215 Depth=1
	s_or_b64 exec, exec, s[12:13]
	v_lshrrev_b16_e32 v40, 8, v38
	v_cmp_ne_u16_e32 vcc, 0, v40
	v_mov_b32_e32 v61, 0
	v_mov_b32_e32 v62, 0
	s_and_saveexec_b64 s[12:13], vcc
	s_cbranch_execz .LBB619_299
; %bb.294:                              ;   in Loop: Header=BB619_215 Depth=1
	v_cmp_ne_u16_e32 vcc, s9, v40
	v_bfrev_b32_e32 v62, 1
	s_and_saveexec_b64 s[14:15], vcc
	s_cbranch_execz .LBB619_298
; %bb.295:                              ;   in Loop: Header=BB619_215 Depth=1
	v_and_b32_e32 v42, 0x7f, v40
	v_cmp_ne_u32_e32 vcc, s19, v42
	v_mov_b32_e32 v62, 0x7f800001
	s_and_saveexec_b64 s[16:17], vcc
	s_cbranch_execz .LBB619_297
; %bb.296:                              ;   in Loop: Header=BB619_215 Depth=1
	v_and_b32_e32 v56, 7, v40
	v_ffbh_u32_e32 v62, v56
	v_min_u32_e32 v65, 32, v62
	v_subrev_u32_e32 v62, 28, v65
	v_lshlrev_b64 v[62:63], v62, v[40:41]
	v_lshrrev_b32_e32 v64, 3, v42
	v_sub_u32_e32 v40, 29, v65
	v_and_b32_e32 v62, 7, v62
	v_cmp_gt_u32_e32 vcc, 8, v42
	v_cndmask_b32_e32 v40, v64, v40, vcc
	v_cndmask_b32_e32 v42, v56, v62, vcc
	v_lshlrev_b32_e32 v56, 16, v38
	v_lshlrev_b32_e32 v42, 20, v42
	v_and_b32_e32 v56, 0x80000000, v56
	v_lshl_add_u32 v40, v40, 23, v55
	v_or3_b32 v62, v56, v40, v42
.LBB619_297:                            ;   in Loop: Header=BB619_215 Depth=1
	s_or_b64 exec, exec, s[16:17]
.LBB619_298:                            ;   in Loop: Header=BB619_215 Depth=1
	s_or_b64 exec, exec, s[14:15]
.LBB619_299:                            ;   in Loop: Header=BB619_215 Depth=1
	s_or_b64 exec, exec, s[12:13]
	v_lshrrev_b32_e32 v40, 16, v38
	v_cmp_ne_u16_sdwa s[14:15], v40, v54 src0_sel:BYTE_0 src1_sel:DWORD
	s_and_saveexec_b64 s[12:13], s[14:15]
	s_cbranch_execz .LBB619_305
; %bb.300:                              ;   in Loop: Header=BB619_215 Depth=1
	v_cmp_ne_u16_sdwa s[16:17], v40, s9 src0_sel:BYTE_0 src1_sel:DWORD
	v_bfrev_b32_e32 v61, 1
	s_and_saveexec_b64 s[14:15], s[16:17]
	s_cbranch_execz .LBB619_304
; %bb.301:                              ;   in Loop: Header=BB619_215 Depth=1
	v_bfe_u32 v42, v38, 16, 7
	v_cmp_ne_u32_e32 vcc, s19, v42
	v_mov_b32_e32 v61, 0x7f800001
	s_and_saveexec_b64 s[16:17], vcc
	s_cbranch_execz .LBB619_303
; %bb.302:                              ;   in Loop: Header=BB619_215 Depth=1
	v_and_b32_e32 v56, 7, v40
	v_ffbh_u32_e32 v63, v56
	v_min_u32_e32 v63, 32, v63
	v_subrev_u32_e32 v64, 28, v63
	v_lshlrev_b64 v[64:65], v64, v[40:41]
	v_lshrrev_b32_e32 v61, 3, v42
	v_sub_u32_e32 v63, 29, v63
	v_and_b32_e32 v64, 7, v64
	v_cmp_gt_u32_e32 vcc, 8, v42
	v_cndmask_b32_e32 v42, v61, v63, vcc
	v_cndmask_b32_e32 v56, v56, v64, vcc
	v_lshlrev_b32_e32 v40, 24, v40
	v_lshlrev_b32_e32 v56, 20, v56
	v_and_b32_e32 v40, 0x80000000, v40
	v_lshl_add_u32 v42, v42, 23, v55
	v_or3_b32 v61, v40, v42, v56
.LBB619_303:                            ;   in Loop: Header=BB619_215 Depth=1
	s_or_b64 exec, exec, s[16:17]
.LBB619_304:                            ;   in Loop: Header=BB619_215 Depth=1
	s_or_b64 exec, exec, s[14:15]
.LBB619_305:                            ;   in Loop: Header=BB619_215 Depth=1
	s_or_b64 exec, exec, s[12:13]
	v_cmp_lt_u32_e32 vcc, s20, v38
	v_mov_b32_e32 v56, 0
	v_mov_b32_e32 v63, 0
	s_and_saveexec_b64 s[12:13], vcc
	s_cbranch_execz .LBB619_311
; %bb.306:                              ;   in Loop: Header=BB619_215 Depth=1
	v_lshrrev_b32_e32 v40, 24, v38
	v_cmp_ne_u32_e32 vcc, s9, v40
	v_bfrev_b32_e32 v63, 1
	s_and_saveexec_b64 s[14:15], vcc
	s_cbranch_execz .LBB619_310
; %bb.307:                              ;   in Loop: Header=BB619_215 Depth=1
	v_bfe_u32 v38, v38, 24, 7
	v_cmp_ne_u32_e32 vcc, s19, v38
	v_mov_b32_e32 v63, 0x7f800001
	s_and_saveexec_b64 s[16:17], vcc
	s_cbranch_execz .LBB619_309
; %bb.308:                              ;   in Loop: Header=BB619_215 Depth=1
	v_and_b32_e32 v42, 7, v40
	v_ffbh_u32_e32 v64, v42
	v_min_u32_e32 v66, 32, v64
	v_subrev_u32_e32 v64, 28, v66
	v_lshlrev_b64 v[64:65], v64, v[40:41]
	v_lshrrev_b32_e32 v63, 3, v38
	v_sub_u32_e32 v65, 29, v66
	v_and_b32_e32 v64, 7, v64
	v_cmp_gt_u32_e32 vcc, 8, v38
	v_cndmask_b32_e32 v38, v63, v65, vcc
	v_cndmask_b32_e32 v42, v42, v64, vcc
	v_lshlrev_b32_e32 v40, 24, v40
	v_lshlrev_b32_e32 v42, 20, v42
	v_and_b32_e32 v40, 0x80000000, v40
	v_lshl_add_u32 v38, v38, 23, v55
	v_or3_b32 v63, v40, v38, v42
.LBB619_309:                            ;   in Loop: Header=BB619_215 Depth=1
	s_or_b64 exec, exec, s[16:17]
.LBB619_310:                            ;   in Loop: Header=BB619_215 Depth=1
	s_or_b64 exec, exec, s[14:15]
.LBB619_311:                            ;   in Loop: Header=BB619_215 Depth=1
	s_or_b64 exec, exec, s[12:13]
	v_cvt_pkrtz_f16_f32 v65, v44, v60
	buffer_load_dword v44, v46, s[0:3], 0 offen
	buffer_load_dword v42, v46, s[0:3], 0 offen offset:4
	buffer_load_dword v40, v46, s[0:3], 0 offen offset:8
	;; [unrolled: 1-line block ×3, first 2 shown]
	v_cvt_pkrtz_f16_f32 v64, v57, v58
	v_cvt_pkrtz_f16_f32 v58, v59, v62
	;; [unrolled: 1-line block ×3, first 2 shown]
	v_mfma_f32_16x16x16f16 v[34:37], v[64:65], v[6:7], v[34:37]
	s_waitcnt vmcnt(3)
	v_cmp_ne_u16_sdwa s[14:15], v44, v54 src0_sel:BYTE_0 src1_sel:DWORD
	v_mfma_f32_16x16x16f16 v[34:37], v[58:59], v[8:9], v[34:37]
	s_and_saveexec_b64 s[12:13], s[14:15]
	s_cbranch_execz .LBB619_317
; %bb.312:                              ;   in Loop: Header=BB619_215 Depth=1
	v_cmp_ne_u16_sdwa s[16:17], v44, s9 src0_sel:BYTE_0 src1_sel:DWORD
	v_bfrev_b32_e32 v56, 1
	s_and_saveexec_b64 s[14:15], s[16:17]
	s_cbranch_execz .LBB619_316
; %bb.313:                              ;   in Loop: Header=BB619_215 Depth=1
	v_and_b32_e32 v46, 0x7f, v44
	v_cmp_ne_u32_e32 vcc, s19, v46
	v_mov_b32_e32 v56, 0x7f800001
	s_and_saveexec_b64 s[16:17], vcc
	s_cbranch_execz .LBB619_315
; %bb.314:                              ;   in Loop: Header=BB619_215 Depth=1
	v_and_b32_e32 v58, 7, v44
	v_ffbh_u32_e32 v56, v58
	v_min_u32_e32 v60, 32, v56
	v_subrev_u32_e32 v56, 28, v60
	v_lshlrev_b64 v[56:57], v56, v[44:45]
	v_lshrrev_b32_e32 v59, 3, v46
	v_sub_u32_e32 v57, 29, v60
	v_and_b32_e32 v56, 7, v56
	v_cmp_gt_u32_e32 vcc, 8, v46
	v_cndmask_b32_e32 v46, v59, v57, vcc
	v_cndmask_b32_e32 v56, v58, v56, vcc
	v_lshlrev_b32_e32 v57, 24, v44
	v_lshlrev_b32_e32 v56, 20, v56
	v_and_b32_e32 v57, 0x80000000, v57
	v_lshl_add_u32 v46, v46, 23, v55
	v_or3_b32 v56, v57, v46, v56
.LBB619_315:                            ;   in Loop: Header=BB619_215 Depth=1
	s_or_b64 exec, exec, s[16:17]
.LBB619_316:                            ;   in Loop: Header=BB619_215 Depth=1
	s_or_b64 exec, exec, s[14:15]
.LBB619_317:                            ;   in Loop: Header=BB619_215 Depth=1
	s_or_b64 exec, exec, s[12:13]
	v_lshrrev_b16_e32 v46, 8, v44
	v_cmp_ne_u16_e32 vcc, 0, v46
	v_mov_b32_e32 v57, 0
	v_mov_b32_e32 v58, 0
	s_and_saveexec_b64 s[12:13], vcc
	s_cbranch_execz .LBB619_323
; %bb.318:                              ;   in Loop: Header=BB619_215 Depth=1
	v_cmp_ne_u16_e32 vcc, s9, v46
	v_bfrev_b32_e32 v58, 1
	s_and_saveexec_b64 s[14:15], vcc
	s_cbranch_execz .LBB619_322
; %bb.319:                              ;   in Loop: Header=BB619_215 Depth=1
	v_and_b32_e32 v59, 0x7f, v46
	v_cmp_ne_u32_e32 vcc, s19, v59
	v_mov_b32_e32 v58, 0x7f800001
	s_and_saveexec_b64 s[16:17], vcc
	s_cbranch_execz .LBB619_321
; %bb.320:                              ;   in Loop: Header=BB619_215 Depth=1
	v_and_b32_e32 v58, 7, v46
	v_ffbh_u32_e32 v60, v58
	v_min_u32_e32 v63, 32, v60
	v_subrev_u32_e32 v60, 28, v63
	v_lshlrev_b64 v[60:61], v60, v[46:47]
	v_lshrrev_b32_e32 v62, 3, v59
	v_sub_u32_e32 v46, 29, v63
	v_and_b32_e32 v60, 7, v60
	v_cmp_gt_u32_e32 vcc, 8, v59
	v_cndmask_b32_e32 v46, v62, v46, vcc
	v_cndmask_b32_e32 v58, v58, v60, vcc
	v_lshlrev_b32_e32 v59, 16, v44
	v_lshlrev_b32_e32 v58, 20, v58
	v_and_b32_e32 v59, 0x80000000, v59
	v_lshl_add_u32 v46, v46, 23, v55
	v_or3_b32 v58, v59, v46, v58
.LBB619_321:                            ;   in Loop: Header=BB619_215 Depth=1
	s_or_b64 exec, exec, s[16:17]
.LBB619_322:                            ;   in Loop: Header=BB619_215 Depth=1
	s_or_b64 exec, exec, s[14:15]
.LBB619_323:                            ;   in Loop: Header=BB619_215 Depth=1
	s_or_b64 exec, exec, s[12:13]
	v_lshrrev_b32_e32 v46, 16, v44
	v_cmp_ne_u16_sdwa s[14:15], v46, v54 src0_sel:BYTE_0 src1_sel:DWORD
	s_and_saveexec_b64 s[12:13], s[14:15]
	s_cbranch_execz .LBB619_329
; %bb.324:                              ;   in Loop: Header=BB619_215 Depth=1
	v_cmp_ne_u16_sdwa s[16:17], v46, s9 src0_sel:BYTE_0 src1_sel:DWORD
	v_bfrev_b32_e32 v57, 1
	s_and_saveexec_b64 s[14:15], s[16:17]
	s_cbranch_execz .LBB619_328
; %bb.325:                              ;   in Loop: Header=BB619_215 Depth=1
	v_bfe_u32 v59, v44, 16, 7
	v_cmp_ne_u32_e32 vcc, s19, v59
	v_mov_b32_e32 v57, 0x7f800001
	s_and_saveexec_b64 s[16:17], vcc
	s_cbranch_execz .LBB619_327
; %bb.326:                              ;   in Loop: Header=BB619_215 Depth=1
	v_and_b32_e32 v57, 7, v46
	v_ffbh_u32_e32 v60, v57
	v_min_u32_e32 v63, 32, v60
	v_subrev_u32_e32 v60, 28, v63
	v_lshlrev_b64 v[60:61], v60, v[46:47]
	v_lshrrev_b32_e32 v62, 3, v59
	v_sub_u32_e32 v61, 29, v63
	v_and_b32_e32 v60, 7, v60
	v_cmp_gt_u32_e32 vcc, 8, v59
	v_cndmask_b32_e32 v59, v62, v61, vcc
	v_cndmask_b32_e32 v57, v57, v60, vcc
	v_lshlrev_b32_e32 v46, 24, v46
	v_lshlrev_b32_e32 v57, 20, v57
	v_and_b32_e32 v46, 0x80000000, v46
	v_lshl_add_u32 v59, v59, 23, v55
	v_or3_b32 v57, v46, v59, v57
.LBB619_327:                            ;   in Loop: Header=BB619_215 Depth=1
	s_or_b64 exec, exec, s[16:17]
.LBB619_328:                            ;   in Loop: Header=BB619_215 Depth=1
	s_or_b64 exec, exec, s[14:15]
.LBB619_329:                            ;   in Loop: Header=BB619_215 Depth=1
	s_or_b64 exec, exec, s[12:13]
	v_cmp_lt_u32_e32 vcc, s20, v44
	v_mov_b32_e32 v59, 0
	v_mov_b32_e32 v60, 0
	s_and_saveexec_b64 s[12:13], vcc
	s_cbranch_execz .LBB619_335
; %bb.330:                              ;   in Loop: Header=BB619_215 Depth=1
	v_lshrrev_b32_e32 v46, 24, v44
	v_cmp_ne_u32_e32 vcc, s9, v46
	v_bfrev_b32_e32 v60, 1
	s_and_saveexec_b64 s[14:15], vcc
	s_cbranch_execz .LBB619_334
; %bb.331:                              ;   in Loop: Header=BB619_215 Depth=1
	v_bfe_u32 v44, v44, 24, 7
	v_cmp_ne_u32_e32 vcc, s19, v44
	v_mov_b32_e32 v60, 0x7f800001
	s_and_saveexec_b64 s[16:17], vcc
	s_cbranch_execz .LBB619_333
; %bb.332:                              ;   in Loop: Header=BB619_215 Depth=1
	v_and_b32_e32 v62, 7, v46
	v_ffbh_u32_e32 v60, v62
	v_min_u32_e32 v64, 32, v60
	v_subrev_u32_e32 v60, 28, v64
	v_lshlrev_b64 v[60:61], v60, v[46:47]
	v_lshrrev_b32_e32 v63, 3, v44
	v_sub_u32_e32 v61, 29, v64
	v_and_b32_e32 v60, 7, v60
	v_cmp_gt_u32_e32 vcc, 8, v44
	v_cndmask_b32_e32 v44, v63, v61, vcc
	v_cndmask_b32_e32 v60, v62, v60, vcc
	v_lshlrev_b32_e32 v46, 24, v46
	v_lshlrev_b32_e32 v60, 20, v60
	v_and_b32_e32 v46, 0x80000000, v46
	v_lshl_add_u32 v44, v44, 23, v55
	v_or3_b32 v60, v46, v44, v60
.LBB619_333:                            ;   in Loop: Header=BB619_215 Depth=1
	s_or_b64 exec, exec, s[16:17]
.LBB619_334:                            ;   in Loop: Header=BB619_215 Depth=1
	s_or_b64 exec, exec, s[14:15]
.LBB619_335:                            ;   in Loop: Header=BB619_215 Depth=1
	s_or_b64 exec, exec, s[12:13]
	s_waitcnt vmcnt(2)
	v_cmp_ne_u16_sdwa s[14:15], v42, v54 src0_sel:BYTE_0 src1_sel:DWORD
	s_and_saveexec_b64 s[12:13], s[14:15]
	s_cbranch_execz .LBB619_341
; %bb.336:                              ;   in Loop: Header=BB619_215 Depth=1
	v_cmp_ne_u16_sdwa s[16:17], v42, s9 src0_sel:BYTE_0 src1_sel:DWORD
	v_bfrev_b32_e32 v59, 1
	s_and_saveexec_b64 s[14:15], s[16:17]
	s_cbranch_execz .LBB619_340
; %bb.337:                              ;   in Loop: Header=BB619_215 Depth=1
	v_and_b32_e32 v44, 0x7f, v42
	v_cmp_ne_u32_e32 vcc, s19, v44
	v_mov_b32_e32 v59, 0x7f800001
	s_and_saveexec_b64 s[16:17], vcc
	s_cbranch_execz .LBB619_339
; %bb.338:                              ;   in Loop: Header=BB619_215 Depth=1
	v_and_b32_e32 v46, 7, v42
	v_ffbh_u32_e32 v61, v46
	v_min_u32_e32 v61, 32, v61
	v_subrev_u32_e32 v62, 28, v61
	v_lshlrev_b64 v[62:63], v62, v[42:43]
	v_lshrrev_b32_e32 v59, 3, v44
	v_sub_u32_e32 v61, 29, v61
	v_and_b32_e32 v62, 7, v62
	v_cmp_gt_u32_e32 vcc, 8, v44
	v_cndmask_b32_e32 v44, v59, v61, vcc
	v_cndmask_b32_e32 v46, v46, v62, vcc
	v_lshlrev_b32_e32 v59, 24, v42
	v_lshlrev_b32_e32 v46, 20, v46
	v_and_b32_e32 v59, 0x80000000, v59
	v_lshl_add_u32 v44, v44, 23, v55
	v_or3_b32 v59, v59, v44, v46
.LBB619_339:                            ;   in Loop: Header=BB619_215 Depth=1
	s_or_b64 exec, exec, s[16:17]
.LBB619_340:                            ;   in Loop: Header=BB619_215 Depth=1
	s_or_b64 exec, exec, s[14:15]
.LBB619_341:                            ;   in Loop: Header=BB619_215 Depth=1
	s_or_b64 exec, exec, s[12:13]
	v_lshrrev_b16_e32 v44, 8, v42
	v_cmp_ne_u16_e32 vcc, 0, v44
	v_mov_b32_e32 v61, 0
	v_mov_b32_e32 v62, 0
	s_and_saveexec_b64 s[12:13], vcc
	s_cbranch_execz .LBB619_347
; %bb.342:                              ;   in Loop: Header=BB619_215 Depth=1
	v_cmp_ne_u16_e32 vcc, s9, v44
	v_bfrev_b32_e32 v62, 1
	s_and_saveexec_b64 s[14:15], vcc
	s_cbranch_execz .LBB619_346
; %bb.343:                              ;   in Loop: Header=BB619_215 Depth=1
	v_and_b32_e32 v46, 0x7f, v44
	v_cmp_ne_u32_e32 vcc, s19, v46
	v_mov_b32_e32 v62, 0x7f800001
	s_and_saveexec_b64 s[16:17], vcc
	s_cbranch_execz .LBB619_345
; %bb.344:                              ;   in Loop: Header=BB619_215 Depth=1
	v_and_b32_e32 v64, 7, v44
	v_ffbh_u32_e32 v62, v64
	v_min_u32_e32 v66, 32, v62
	v_subrev_u32_e32 v62, 28, v66
	v_lshlrev_b64 v[62:63], v62, v[44:45]
	v_lshrrev_b32_e32 v65, 3, v46
	v_sub_u32_e32 v44, 29, v66
	v_and_b32_e32 v62, 7, v62
	v_cmp_gt_u32_e32 vcc, 8, v46
	v_cndmask_b32_e32 v44, v65, v44, vcc
	v_cndmask_b32_e32 v46, v64, v62, vcc
	v_lshlrev_b32_e32 v62, 16, v42
	v_lshlrev_b32_e32 v46, 20, v46
	v_and_b32_e32 v62, 0x80000000, v62
	v_lshl_add_u32 v44, v44, 23, v55
	v_or3_b32 v62, v62, v44, v46
.LBB619_345:                            ;   in Loop: Header=BB619_215 Depth=1
	s_or_b64 exec, exec, s[16:17]
.LBB619_346:                            ;   in Loop: Header=BB619_215 Depth=1
	s_or_b64 exec, exec, s[14:15]
.LBB619_347:                            ;   in Loop: Header=BB619_215 Depth=1
	s_or_b64 exec, exec, s[12:13]
	v_lshrrev_b32_e32 v44, 16, v42
	v_cmp_ne_u16_sdwa s[14:15], v44, v54 src0_sel:BYTE_0 src1_sel:DWORD
	s_and_saveexec_b64 s[12:13], s[14:15]
	s_cbranch_execz .LBB619_353
; %bb.348:                              ;   in Loop: Header=BB619_215 Depth=1
	v_cmp_ne_u16_sdwa s[16:17], v44, s9 src0_sel:BYTE_0 src1_sel:DWORD
	v_bfrev_b32_e32 v61, 1
	s_and_saveexec_b64 s[14:15], s[16:17]
	s_cbranch_execz .LBB619_352
; %bb.349:                              ;   in Loop: Header=BB619_215 Depth=1
	v_bfe_u32 v46, v42, 16, 7
	v_cmp_ne_u32_e32 vcc, s19, v46
	v_mov_b32_e32 v61, 0x7f800001
	s_and_saveexec_b64 s[16:17], vcc
	s_cbranch_execz .LBB619_351
; %bb.350:                              ;   in Loop: Header=BB619_215 Depth=1
	v_and_b32_e32 v61, 7, v44
	v_ffbh_u32_e32 v64, v61
	v_min_u32_e32 v66, 32, v64
	v_subrev_u32_e32 v64, 28, v66
	v_lshlrev_b64 v[64:65], v64, v[44:45]
	v_lshrrev_b32_e32 v63, 3, v46
	v_sub_u32_e32 v65, 29, v66
	v_and_b32_e32 v64, 7, v64
	v_cmp_gt_u32_e32 vcc, 8, v46
	v_cndmask_b32_e32 v46, v63, v65, vcc
	v_cndmask_b32_e32 v61, v61, v64, vcc
	v_lshlrev_b32_e32 v44, 24, v44
	v_lshlrev_b32_e32 v61, 20, v61
	v_and_b32_e32 v44, 0x80000000, v44
	v_lshl_add_u32 v46, v46, 23, v55
	v_or3_b32 v61, v44, v46, v61
.LBB619_351:                            ;   in Loop: Header=BB619_215 Depth=1
	s_or_b64 exec, exec, s[16:17]
.LBB619_352:                            ;   in Loop: Header=BB619_215 Depth=1
	s_or_b64 exec, exec, s[14:15]
.LBB619_353:                            ;   in Loop: Header=BB619_215 Depth=1
	s_or_b64 exec, exec, s[12:13]
	v_cmp_lt_u32_e32 vcc, s20, v42
	v_mov_b32_e32 v46, 0
	v_mov_b32_e32 v63, 0
	s_and_saveexec_b64 s[12:13], vcc
	s_cbranch_execz .LBB619_359
; %bb.354:                              ;   in Loop: Header=BB619_215 Depth=1
	v_lshrrev_b32_e32 v44, 24, v42
	v_cmp_ne_u32_e32 vcc, s9, v44
	v_bfrev_b32_e32 v63, 1
	s_and_saveexec_b64 s[14:15], vcc
	s_cbranch_execz .LBB619_358
; %bb.355:                              ;   in Loop: Header=BB619_215 Depth=1
	v_bfe_u32 v42, v42, 24, 7
	v_cmp_ne_u32_e32 vcc, s19, v42
	v_mov_b32_e32 v63, 0x7f800001
	s_and_saveexec_b64 s[16:17], vcc
	s_cbranch_execz .LBB619_357
; %bb.356:                              ;   in Loop: Header=BB619_215 Depth=1
	v_and_b32_e32 v63, 7, v44
	v_ffbh_u32_e32 v64, v63
	v_min_u32_e32 v67, 32, v64
	v_subrev_u32_e32 v64, 28, v67
	v_lshlrev_b64 v[64:65], v64, v[44:45]
	v_lshrrev_b32_e32 v66, 3, v42
	v_sub_u32_e32 v65, 29, v67
	v_and_b32_e32 v64, 7, v64
	v_cmp_gt_u32_e32 vcc, 8, v42
	v_cndmask_b32_e32 v42, v66, v65, vcc
	v_cndmask_b32_e32 v63, v63, v64, vcc
	v_lshlrev_b32_e32 v44, 24, v44
	v_lshlrev_b32_e32 v63, 20, v63
	v_and_b32_e32 v44, 0x80000000, v44
	v_lshl_add_u32 v42, v42, 23, v55
	v_or3_b32 v63, v44, v42, v63
.LBB619_357:                            ;   in Loop: Header=BB619_215 Depth=1
	s_or_b64 exec, exec, s[16:17]
.LBB619_358:                            ;   in Loop: Header=BB619_215 Depth=1
	s_or_b64 exec, exec, s[14:15]
.LBB619_359:                            ;   in Loop: Header=BB619_215 Depth=1
	s_or_b64 exec, exec, s[12:13]
	v_cvt_pkrtz_f16_f32 v56, v56, v58
	v_cvt_pkrtz_f16_f32 v57, v57, v60
	s_waitcnt vmcnt(1)
	v_cmp_ne_u16_sdwa s[14:15], v40, v54 src0_sel:BYTE_0 src1_sel:DWORD
	v_mfma_f32_16x16x16f16 v[34:37], v[56:57], v[10:11], v[34:37]
	v_cvt_pkrtz_f16_f32 v56, v59, v62
	v_cvt_pkrtz_f16_f32 v57, v61, v63
	s_nop 1
	v_mfma_f32_16x16x16f16 v[34:37], v[56:57], v[12:13], v[34:37]
	s_and_saveexec_b64 s[12:13], s[14:15]
	s_cbranch_execz .LBB619_365
; %bb.360:                              ;   in Loop: Header=BB619_215 Depth=1
	v_cmp_ne_u16_sdwa s[16:17], v40, s9 src0_sel:BYTE_0 src1_sel:DWORD
	v_bfrev_b32_e32 v46, 1
	s_and_saveexec_b64 s[14:15], s[16:17]
	s_cbranch_execz .LBB619_364
; %bb.361:                              ;   in Loop: Header=BB619_215 Depth=1
	v_and_b32_e32 v42, 0x7f, v40
	v_cmp_ne_u32_e32 vcc, s19, v42
	v_mov_b32_e32 v46, 0x7f800001
	s_and_saveexec_b64 s[16:17], vcc
	s_cbranch_execz .LBB619_363
; %bb.362:                              ;   in Loop: Header=BB619_215 Depth=1
	v_and_b32_e32 v44, 7, v40
	v_ffbh_u32_e32 v56, v44
	v_min_u32_e32 v58, 32, v56
	v_subrev_u32_e32 v56, 28, v58
	v_lshlrev_b64 v[56:57], v56, v[40:41]
	v_lshrrev_b32_e32 v46, 3, v42
	v_sub_u32_e32 v57, 29, v58
	v_and_b32_e32 v56, 7, v56
	v_cmp_gt_u32_e32 vcc, 8, v42
	v_cndmask_b32_e32 v42, v46, v57, vcc
	v_cndmask_b32_e32 v44, v44, v56, vcc
	v_lshlrev_b32_e32 v46, 24, v40
	v_lshlrev_b32_e32 v44, 20, v44
	v_and_b32_e32 v46, 0x80000000, v46
	v_lshl_add_u32 v42, v42, 23, v55
	v_or3_b32 v46, v46, v42, v44
.LBB619_363:                            ;   in Loop: Header=BB619_215 Depth=1
	s_or_b64 exec, exec, s[16:17]
.LBB619_364:                            ;   in Loop: Header=BB619_215 Depth=1
	s_or_b64 exec, exec, s[14:15]
.LBB619_365:                            ;   in Loop: Header=BB619_215 Depth=1
	s_or_b64 exec, exec, s[12:13]
	v_lshrrev_b16_e32 v42, 8, v40
	v_cmp_ne_u16_e32 vcc, 0, v42
	v_mov_b32_e32 v44, 0
	v_mov_b32_e32 v57, 0
	s_and_saveexec_b64 s[12:13], vcc
	s_cbranch_execz .LBB619_371
; %bb.366:                              ;   in Loop: Header=BB619_215 Depth=1
	v_cmp_ne_u16_e32 vcc, s9, v42
	v_bfrev_b32_e32 v57, 1
	s_and_saveexec_b64 s[14:15], vcc
	s_cbranch_execz .LBB619_370
; %bb.367:                              ;   in Loop: Header=BB619_215 Depth=1
	v_and_b32_e32 v56, 0x7f, v42
	v_cmp_ne_u32_e32 vcc, s19, v56
	v_mov_b32_e32 v57, 0x7f800001
	s_and_saveexec_b64 s[16:17], vcc
	s_cbranch_execz .LBB619_369
; %bb.368:                              ;   in Loop: Header=BB619_215 Depth=1
	v_and_b32_e32 v57, 7, v42
	v_ffbh_u32_e32 v58, v57
	v_min_u32_e32 v61, 32, v58
	v_subrev_u32_e32 v58, 28, v61
	v_lshlrev_b64 v[58:59], v58, v[42:43]
	v_lshrrev_b32_e32 v60, 3, v56
	v_sub_u32_e32 v42, 29, v61
	v_and_b32_e32 v58, 7, v58
	v_cmp_gt_u32_e32 vcc, 8, v56
	v_cndmask_b32_e32 v42, v60, v42, vcc
	v_cndmask_b32_e32 v56, v57, v58, vcc
	v_lshlrev_b32_e32 v57, 16, v40
	v_lshlrev_b32_e32 v56, 20, v56
	v_and_b32_e32 v57, 0x80000000, v57
	v_lshl_add_u32 v42, v42, 23, v55
	v_or3_b32 v57, v57, v42, v56
.LBB619_369:                            ;   in Loop: Header=BB619_215 Depth=1
	s_or_b64 exec, exec, s[16:17]
.LBB619_370:                            ;   in Loop: Header=BB619_215 Depth=1
	s_or_b64 exec, exec, s[14:15]
.LBB619_371:                            ;   in Loop: Header=BB619_215 Depth=1
	s_or_b64 exec, exec, s[12:13]
	v_lshrrev_b32_e32 v42, 16, v40
	v_cmp_ne_u16_sdwa s[14:15], v42, v54 src0_sel:BYTE_0 src1_sel:DWORD
	s_and_saveexec_b64 s[12:13], s[14:15]
	s_cbranch_execz .LBB619_377
; %bb.372:                              ;   in Loop: Header=BB619_215 Depth=1
	v_cmp_ne_u16_sdwa s[16:17], v42, s9 src0_sel:BYTE_0 src1_sel:DWORD
	v_bfrev_b32_e32 v44, 1
	s_and_saveexec_b64 s[14:15], s[16:17]
	s_cbranch_execz .LBB619_376
; %bb.373:                              ;   in Loop: Header=BB619_215 Depth=1
	v_bfe_u32 v56, v40, 16, 7
	v_cmp_ne_u32_e32 vcc, s19, v56
	v_mov_b32_e32 v44, 0x7f800001
	s_and_saveexec_b64 s[16:17], vcc
	s_cbranch_execz .LBB619_375
; %bb.374:                              ;   in Loop: Header=BB619_215 Depth=1
	v_and_b32_e32 v44, 7, v42
	v_ffbh_u32_e32 v58, v44
	v_min_u32_e32 v61, 32, v58
	v_subrev_u32_e32 v58, 28, v61
	v_lshlrev_b64 v[58:59], v58, v[42:43]
	v_lshrrev_b32_e32 v60, 3, v56
	v_sub_u32_e32 v59, 29, v61
	v_and_b32_e32 v58, 7, v58
	v_cmp_gt_u32_e32 vcc, 8, v56
	v_cndmask_b32_e32 v56, v60, v59, vcc
	v_cndmask_b32_e32 v44, v44, v58, vcc
	v_lshlrev_b32_e32 v42, 24, v42
	v_lshlrev_b32_e32 v44, 20, v44
	v_and_b32_e32 v42, 0x80000000, v42
	v_lshl_add_u32 v56, v56, 23, v55
	v_or3_b32 v44, v42, v56, v44
.LBB619_375:                            ;   in Loop: Header=BB619_215 Depth=1
	s_or_b64 exec, exec, s[16:17]
.LBB619_376:                            ;   in Loop: Header=BB619_215 Depth=1
	s_or_b64 exec, exec, s[14:15]
.LBB619_377:                            ;   in Loop: Header=BB619_215 Depth=1
	s_or_b64 exec, exec, s[12:13]
	v_cmp_lt_u32_e32 vcc, s20, v40
	v_mov_b32_e32 v58, 0
	v_mov_b32_e32 v59, 0
	s_and_saveexec_b64 s[12:13], vcc
	s_cbranch_execz .LBB619_383
; %bb.378:                              ;   in Loop: Header=BB619_215 Depth=1
	v_lshrrev_b32_e32 v42, 24, v40
	v_cmp_ne_u32_e32 vcc, s9, v42
	v_bfrev_b32_e32 v59, 1
	s_and_saveexec_b64 s[14:15], vcc
	s_cbranch_execz .LBB619_382
; %bb.379:                              ;   in Loop: Header=BB619_215 Depth=1
	v_bfe_u32 v40, v40, 24, 7
	v_cmp_ne_u32_e32 vcc, s19, v40
	v_mov_b32_e32 v59, 0x7f800001
	s_and_saveexec_b64 s[16:17], vcc
	s_cbranch_execz .LBB619_381
; %bb.380:                              ;   in Loop: Header=BB619_215 Depth=1
	v_and_b32_e32 v56, 7, v42
	v_ffbh_u32_e32 v60, v56
	v_min_u32_e32 v62, 32, v60
	v_subrev_u32_e32 v60, 28, v62
	v_lshlrev_b64 v[60:61], v60, v[42:43]
	v_lshrrev_b32_e32 v59, 3, v40
	v_sub_u32_e32 v61, 29, v62
	v_and_b32_e32 v60, 7, v60
	v_cmp_gt_u32_e32 vcc, 8, v40
	v_cndmask_b32_e32 v40, v59, v61, vcc
	v_cndmask_b32_e32 v56, v56, v60, vcc
	v_lshlrev_b32_e32 v42, 24, v42
	v_lshlrev_b32_e32 v56, 20, v56
	v_and_b32_e32 v42, 0x80000000, v42
	v_lshl_add_u32 v40, v40, 23, v55
	v_or3_b32 v59, v42, v40, v56
.LBB619_381:                            ;   in Loop: Header=BB619_215 Depth=1
	s_or_b64 exec, exec, s[16:17]
.LBB619_382:                            ;   in Loop: Header=BB619_215 Depth=1
	s_or_b64 exec, exec, s[14:15]
.LBB619_383:                            ;   in Loop: Header=BB619_215 Depth=1
	s_or_b64 exec, exec, s[12:13]
	s_waitcnt vmcnt(0)
	v_cmp_ne_u16_sdwa s[14:15], v38, v54 src0_sel:BYTE_0 src1_sel:DWORD
	s_and_saveexec_b64 s[12:13], s[14:15]
	s_cbranch_execz .LBB619_389
; %bb.384:                              ;   in Loop: Header=BB619_215 Depth=1
	v_cmp_ne_u16_sdwa s[16:17], v38, s9 src0_sel:BYTE_0 src1_sel:DWORD
	v_bfrev_b32_e32 v58, 1
	s_and_saveexec_b64 s[14:15], s[16:17]
	s_cbranch_execz .LBB619_388
; %bb.385:                              ;   in Loop: Header=BB619_215 Depth=1
	v_and_b32_e32 v40, 0x7f, v38
	v_cmp_ne_u32_e32 vcc, s19, v40
	v_mov_b32_e32 v58, 0x7f800001
	s_and_saveexec_b64 s[16:17], vcc
	s_cbranch_execz .LBB619_387
; %bb.386:                              ;   in Loop: Header=BB619_215 Depth=1
	v_and_b32_e32 v42, 7, v38
	v_ffbh_u32_e32 v58, v42
	v_min_u32_e32 v58, 32, v58
	v_subrev_u32_e32 v60, 28, v58
	v_lshlrev_b64 v[60:61], v60, v[38:39]
	v_lshrrev_b32_e32 v56, 3, v40
	v_sub_u32_e32 v58, 29, v58
	v_and_b32_e32 v60, 7, v60
	v_cmp_gt_u32_e32 vcc, 8, v40
	v_cndmask_b32_e32 v40, v56, v58, vcc
	v_cndmask_b32_e32 v42, v42, v60, vcc
	v_lshlrev_b32_e32 v56, 24, v38
	v_lshlrev_b32_e32 v42, 20, v42
	v_and_b32_e32 v56, 0x80000000, v56
	v_lshl_add_u32 v40, v40, 23, v55
	v_or3_b32 v58, v56, v40, v42
.LBB619_387:                            ;   in Loop: Header=BB619_215 Depth=1
	s_or_b64 exec, exec, s[16:17]
.LBB619_388:                            ;   in Loop: Header=BB619_215 Depth=1
	s_or_b64 exec, exec, s[14:15]
.LBB619_389:                            ;   in Loop: Header=BB619_215 Depth=1
	s_or_b64 exec, exec, s[12:13]
	v_lshrrev_b16_e32 v40, 8, v38
	v_cmp_ne_u16_e32 vcc, 0, v40
	v_mov_b32_e32 v60, 0
	v_mov_b32_e32 v61, 0
	s_and_saveexec_b64 s[12:13], vcc
	s_cbranch_execz .LBB619_395
; %bb.390:                              ;   in Loop: Header=BB619_215 Depth=1
	v_cmp_ne_u16_e32 vcc, s9, v40
	v_bfrev_b32_e32 v61, 1
	s_and_saveexec_b64 s[14:15], vcc
	s_cbranch_execz .LBB619_394
; %bb.391:                              ;   in Loop: Header=BB619_215 Depth=1
	v_and_b32_e32 v42, 0x7f, v40
	v_cmp_ne_u32_e32 vcc, s19, v42
	v_mov_b32_e32 v61, 0x7f800001
	s_and_saveexec_b64 s[16:17], vcc
	s_cbranch_execz .LBB619_393
; %bb.392:                              ;   in Loop: Header=BB619_215 Depth=1
	v_and_b32_e32 v56, 7, v40
	v_ffbh_u32_e32 v62, v56
	v_min_u32_e32 v64, 32, v62
	v_subrev_u32_e32 v62, 28, v64
	v_lshlrev_b64 v[62:63], v62, v[40:41]
	v_lshrrev_b32_e32 v61, 3, v42
	v_sub_u32_e32 v40, 29, v64
	v_and_b32_e32 v62, 7, v62
	v_cmp_gt_u32_e32 vcc, 8, v42
	v_cndmask_b32_e32 v40, v61, v40, vcc
	v_cndmask_b32_e32 v42, v56, v62, vcc
	v_lshlrev_b32_e32 v56, 16, v38
	v_lshlrev_b32_e32 v42, 20, v42
	v_and_b32_e32 v56, 0x80000000, v56
	v_lshl_add_u32 v40, v40, 23, v55
	v_or3_b32 v61, v56, v40, v42
.LBB619_393:                            ;   in Loop: Header=BB619_215 Depth=1
	s_or_b64 exec, exec, s[16:17]
.LBB619_394:                            ;   in Loop: Header=BB619_215 Depth=1
	s_or_b64 exec, exec, s[14:15]
.LBB619_395:                            ;   in Loop: Header=BB619_215 Depth=1
	s_or_b64 exec, exec, s[12:13]
	v_lshrrev_b32_e32 v40, 16, v38
	v_cmp_ne_u16_sdwa s[14:15], v40, v54 src0_sel:BYTE_0 src1_sel:DWORD
	s_and_saveexec_b64 s[12:13], s[14:15]
	s_cbranch_execz .LBB619_401
; %bb.396:                              ;   in Loop: Header=BB619_215 Depth=1
	v_cmp_ne_u16_sdwa s[16:17], v40, s9 src0_sel:BYTE_0 src1_sel:DWORD
	v_bfrev_b32_e32 v60, 1
	s_and_saveexec_b64 s[14:15], s[16:17]
	s_cbranch_execz .LBB619_400
; %bb.397:                              ;   in Loop: Header=BB619_215 Depth=1
	v_bfe_u32 v42, v38, 16, 7
	v_cmp_ne_u32_e32 vcc, s19, v42
	v_mov_b32_e32 v60, 0x7f800001
	s_and_saveexec_b64 s[16:17], vcc
	s_cbranch_execz .LBB619_399
; %bb.398:                              ;   in Loop: Header=BB619_215 Depth=1
	v_and_b32_e32 v56, 7, v40
	v_ffbh_u32_e32 v62, v56
	v_min_u32_e32 v64, 32, v62
	v_subrev_u32_e32 v62, 28, v64
	v_lshlrev_b64 v[62:63], v62, v[40:41]
	v_lshrrev_b32_e32 v60, 3, v42
	v_sub_u32_e32 v63, 29, v64
	v_and_b32_e32 v62, 7, v62
	v_cmp_gt_u32_e32 vcc, 8, v42
	v_cndmask_b32_e32 v42, v60, v63, vcc
	v_cndmask_b32_e32 v56, v56, v62, vcc
	v_lshlrev_b32_e32 v40, 24, v40
	v_lshlrev_b32_e32 v56, 20, v56
	v_and_b32_e32 v40, 0x80000000, v40
	v_lshl_add_u32 v42, v42, 23, v55
	v_or3_b32 v60, v40, v42, v56
.LBB619_399:                            ;   in Loop: Header=BB619_215 Depth=1
	s_or_b64 exec, exec, s[16:17]
.LBB619_400:                            ;   in Loop: Header=BB619_215 Depth=1
	s_or_b64 exec, exec, s[14:15]
.LBB619_401:                            ;   in Loop: Header=BB619_215 Depth=1
	s_or_b64 exec, exec, s[12:13]
	v_cmp_lt_u32_e32 vcc, s20, v38
	v_mov_b32_e32 v56, 0
	v_mov_b32_e32 v62, 0
	s_and_saveexec_b64 s[12:13], vcc
	s_cbranch_execz .LBB619_407
; %bb.402:                              ;   in Loop: Header=BB619_215 Depth=1
	v_lshrrev_b32_e32 v40, 24, v38
	v_cmp_ne_u32_e32 vcc, s9, v40
	v_bfrev_b32_e32 v62, 1
	s_and_saveexec_b64 s[14:15], vcc
	s_cbranch_execz .LBB619_406
; %bb.403:                              ;   in Loop: Header=BB619_215 Depth=1
	v_bfe_u32 v38, v38, 24, 7
	v_cmp_ne_u32_e32 vcc, s19, v38
	v_mov_b32_e32 v62, 0x7f800001
	s_and_saveexec_b64 s[16:17], vcc
	s_cbranch_execz .LBB619_405
; %bb.404:                              ;   in Loop: Header=BB619_215 Depth=1
	v_and_b32_e32 v42, 7, v40
	v_ffbh_u32_e32 v62, v42
	v_min_u32_e32 v65, 32, v62
	v_subrev_u32_e32 v62, 28, v65
	v_lshlrev_b64 v[62:63], v62, v[40:41]
	v_lshrrev_b32_e32 v64, 3, v38
	v_sub_u32_e32 v63, 29, v65
	v_and_b32_e32 v62, 7, v62
	v_cmp_gt_u32_e32 vcc, 8, v38
	v_cndmask_b32_e32 v38, v64, v63, vcc
	v_cndmask_b32_e32 v42, v42, v62, vcc
	v_lshlrev_b32_e32 v40, 24, v40
	v_lshlrev_b32_e32 v42, 20, v42
	v_and_b32_e32 v40, 0x80000000, v40
	v_lshl_add_u32 v38, v38, 23, v55
	v_or3_b32 v62, v40, v38, v42
.LBB619_405:                            ;   in Loop: Header=BB619_215 Depth=1
	s_or_b64 exec, exec, s[16:17]
.LBB619_406:                            ;   in Loop: Header=BB619_215 Depth=1
	s_or_b64 exec, exec, s[14:15]
.LBB619_407:                            ;   in Loop: Header=BB619_215 Depth=1
	s_or_b64 exec, exec, s[12:13]
	v_cvt_pkrtz_f16_f32 v65, v44, v59
	buffer_load_dword v44, v51, s[0:3], 0 offen
	buffer_load_dword v42, v51, s[0:3], 0 offen offset:4
	buffer_load_dword v40, v51, s[0:3], 0 offen offset:8
	;; [unrolled: 1-line block ×3, first 2 shown]
	v_cvt_pkrtz_f16_f32 v64, v46, v57
	v_cvt_pkrtz_f16_f32 v58, v58, v61
	;; [unrolled: 1-line block ×3, first 2 shown]
	v_mfma_f32_16x16x16f16 v[34:37], v[64:65], v[14:15], v[34:37]
	s_waitcnt vmcnt(3)
	v_cmp_ne_u16_sdwa s[14:15], v44, v54 src0_sel:BYTE_0 src1_sel:DWORD
	v_mfma_f32_16x16x16f16 v[34:37], v[58:59], v[16:17], v[34:37]
	s_and_saveexec_b64 s[12:13], s[14:15]
	s_cbranch_execz .LBB619_413
; %bb.408:                              ;   in Loop: Header=BB619_215 Depth=1
	v_cmp_ne_u16_sdwa s[16:17], v44, s9 src0_sel:BYTE_0 src1_sel:DWORD
	v_bfrev_b32_e32 v56, 1
	s_and_saveexec_b64 s[14:15], s[16:17]
	s_cbranch_execz .LBB619_412
; %bb.409:                              ;   in Loop: Header=BB619_215 Depth=1
	v_and_b32_e32 v46, 0x7f, v44
	v_cmp_ne_u32_e32 vcc, s19, v46
	v_mov_b32_e32 v56, 0x7f800001
	s_and_saveexec_b64 s[16:17], vcc
	s_cbranch_execz .LBB619_411
; %bb.410:                              ;   in Loop: Header=BB619_215 Depth=1
	v_and_b32_e32 v51, 7, v44
	v_ffbh_u32_e32 v56, v51
	v_min_u32_e32 v59, 32, v56
	v_subrev_u32_e32 v56, 28, v59
	v_lshlrev_b64 v[56:57], v56, v[44:45]
	v_lshrrev_b32_e32 v58, 3, v46
	v_sub_u32_e32 v57, 29, v59
	v_and_b32_e32 v56, 7, v56
	v_cmp_gt_u32_e32 vcc, 8, v46
	v_cndmask_b32_e32 v46, v58, v57, vcc
	v_cndmask_b32_e32 v51, v51, v56, vcc
	v_lshlrev_b32_e32 v56, 24, v44
	v_lshlrev_b32_e32 v51, 20, v51
	v_and_b32_e32 v56, 0x80000000, v56
	v_lshl_add_u32 v46, v46, 23, v55
	v_or3_b32 v56, v56, v46, v51
.LBB619_411:                            ;   in Loop: Header=BB619_215 Depth=1
	s_or_b64 exec, exec, s[16:17]
.LBB619_412:                            ;   in Loop: Header=BB619_215 Depth=1
	s_or_b64 exec, exec, s[14:15]
.LBB619_413:                            ;   in Loop: Header=BB619_215 Depth=1
	s_or_b64 exec, exec, s[12:13]
	v_lshrrev_b16_e32 v46, 8, v44
	v_cmp_ne_u16_e32 vcc, 0, v46
	v_mov_b32_e32 v51, 0
	v_mov_b32_e32 v57, 0
	s_and_saveexec_b64 s[12:13], vcc
	s_cbranch_execz .LBB619_419
; %bb.414:                              ;   in Loop: Header=BB619_215 Depth=1
	v_cmp_ne_u16_e32 vcc, s9, v46
	v_bfrev_b32_e32 v57, 1
	s_and_saveexec_b64 s[14:15], vcc
	s_cbranch_execz .LBB619_418
; %bb.415:                              ;   in Loop: Header=BB619_215 Depth=1
	v_and_b32_e32 v58, 0x7f, v46
	v_cmp_ne_u32_e32 vcc, s19, v58
	v_mov_b32_e32 v57, 0x7f800001
	s_and_saveexec_b64 s[16:17], vcc
	s_cbranch_execz .LBB619_417
; %bb.416:                              ;   in Loop: Header=BB619_215 Depth=1
	v_and_b32_e32 v57, 7, v46
	v_ffbh_u32_e32 v60, v57
	v_min_u32_e32 v62, 32, v60
	v_subrev_u32_e32 v60, 28, v62
	v_lshlrev_b64 v[60:61], v60, v[46:47]
	v_lshrrev_b32_e32 v59, 3, v58
	v_sub_u32_e32 v46, 29, v62
	v_and_b32_e32 v60, 7, v60
	v_cmp_gt_u32_e32 vcc, 8, v58
	v_cndmask_b32_e32 v46, v59, v46, vcc
	v_cndmask_b32_e32 v57, v57, v60, vcc
	v_lshlrev_b32_e32 v58, 16, v44
	v_lshlrev_b32_e32 v57, 20, v57
	v_and_b32_e32 v58, 0x80000000, v58
	v_lshl_add_u32 v46, v46, 23, v55
	v_or3_b32 v57, v58, v46, v57
.LBB619_417:                            ;   in Loop: Header=BB619_215 Depth=1
	s_or_b64 exec, exec, s[16:17]
.LBB619_418:                            ;   in Loop: Header=BB619_215 Depth=1
	s_or_b64 exec, exec, s[14:15]
.LBB619_419:                            ;   in Loop: Header=BB619_215 Depth=1
	s_or_b64 exec, exec, s[12:13]
	v_lshrrev_b32_e32 v46, 16, v44
	v_cmp_ne_u16_sdwa s[14:15], v46, v54 src0_sel:BYTE_0 src1_sel:DWORD
	s_and_saveexec_b64 s[12:13], s[14:15]
	s_cbranch_execz .LBB619_425
; %bb.420:                              ;   in Loop: Header=BB619_215 Depth=1
	v_cmp_ne_u16_sdwa s[16:17], v46, s9 src0_sel:BYTE_0 src1_sel:DWORD
	v_bfrev_b32_e32 v51, 1
	s_and_saveexec_b64 s[14:15], s[16:17]
	s_cbranch_execz .LBB619_424
; %bb.421:                              ;   in Loop: Header=BB619_215 Depth=1
	v_bfe_u32 v58, v44, 16, 7
	v_cmp_ne_u32_e32 vcc, s19, v58
	v_mov_b32_e32 v51, 0x7f800001
	s_and_saveexec_b64 s[16:17], vcc
	s_cbranch_execz .LBB619_423
; %bb.422:                              ;   in Loop: Header=BB619_215 Depth=1
	v_and_b32_e32 v51, 7, v46
	v_ffbh_u32_e32 v60, v51
	v_min_u32_e32 v62, 32, v60
	v_subrev_u32_e32 v60, 28, v62
	v_lshlrev_b64 v[60:61], v60, v[46:47]
	v_lshrrev_b32_e32 v59, 3, v58
	v_sub_u32_e32 v61, 29, v62
	v_and_b32_e32 v60, 7, v60
	v_cmp_gt_u32_e32 vcc, 8, v58
	v_cndmask_b32_e32 v58, v59, v61, vcc
	v_cndmask_b32_e32 v51, v51, v60, vcc
	v_lshlrev_b32_e32 v46, 24, v46
	v_lshlrev_b32_e32 v51, 20, v51
	v_and_b32_e32 v46, 0x80000000, v46
	v_lshl_add_u32 v58, v58, 23, v55
	v_or3_b32 v51, v46, v58, v51
.LBB619_423:                            ;   in Loop: Header=BB619_215 Depth=1
	s_or_b64 exec, exec, s[16:17]
.LBB619_424:                            ;   in Loop: Header=BB619_215 Depth=1
	s_or_b64 exec, exec, s[14:15]
.LBB619_425:                            ;   in Loop: Header=BB619_215 Depth=1
	s_or_b64 exec, exec, s[12:13]
	v_cmp_lt_u32_e32 vcc, s20, v44
	v_mov_b32_e32 v58, 0
	v_mov_b32_e32 v59, 0
	s_and_saveexec_b64 s[12:13], vcc
	s_cbranch_execz .LBB619_431
; %bb.426:                              ;   in Loop: Header=BB619_215 Depth=1
	v_lshrrev_b32_e32 v46, 24, v44
	v_cmp_ne_u32_e32 vcc, s9, v46
	v_bfrev_b32_e32 v59, 1
	s_and_saveexec_b64 s[14:15], vcc
	s_cbranch_execz .LBB619_430
; %bb.427:                              ;   in Loop: Header=BB619_215 Depth=1
	v_bfe_u32 v44, v44, 24, 7
	v_cmp_ne_u32_e32 vcc, s19, v44
	v_mov_b32_e32 v59, 0x7f800001
	s_and_saveexec_b64 s[16:17], vcc
	s_cbranch_execz .LBB619_429
; %bb.428:                              ;   in Loop: Header=BB619_215 Depth=1
	v_and_b32_e32 v59, 7, v46
	v_ffbh_u32_e32 v60, v59
	v_min_u32_e32 v63, 32, v60
	v_subrev_u32_e32 v60, 28, v63
	v_lshlrev_b64 v[60:61], v60, v[46:47]
	v_lshrrev_b32_e32 v62, 3, v44
	v_sub_u32_e32 v61, 29, v63
	v_and_b32_e32 v60, 7, v60
	v_cmp_gt_u32_e32 vcc, 8, v44
	v_cndmask_b32_e32 v44, v62, v61, vcc
	v_cndmask_b32_e32 v59, v59, v60, vcc
	v_lshlrev_b32_e32 v46, 24, v46
	v_lshlrev_b32_e32 v59, 20, v59
	v_and_b32_e32 v46, 0x80000000, v46
	v_lshl_add_u32 v44, v44, 23, v55
	v_or3_b32 v59, v46, v44, v59
.LBB619_429:                            ;   in Loop: Header=BB619_215 Depth=1
	s_or_b64 exec, exec, s[16:17]
.LBB619_430:                            ;   in Loop: Header=BB619_215 Depth=1
	s_or_b64 exec, exec, s[14:15]
.LBB619_431:                            ;   in Loop: Header=BB619_215 Depth=1
	s_or_b64 exec, exec, s[12:13]
	s_waitcnt vmcnt(2)
	v_cmp_ne_u16_sdwa s[14:15], v42, v54 src0_sel:BYTE_0 src1_sel:DWORD
	s_and_saveexec_b64 s[12:13], s[14:15]
	s_cbranch_execz .LBB619_437
; %bb.432:                              ;   in Loop: Header=BB619_215 Depth=1
	v_cmp_ne_u16_sdwa s[16:17], v42, s9 src0_sel:BYTE_0 src1_sel:DWORD
	v_bfrev_b32_e32 v58, 1
	s_and_saveexec_b64 s[14:15], s[16:17]
	s_cbranch_execz .LBB619_436
; %bb.433:                              ;   in Loop: Header=BB619_215 Depth=1
	v_and_b32_e32 v44, 0x7f, v42
	v_cmp_ne_u32_e32 vcc, s19, v44
	v_mov_b32_e32 v58, 0x7f800001
	s_and_saveexec_b64 s[16:17], vcc
	s_cbranch_execz .LBB619_435
; %bb.434:                              ;   in Loop: Header=BB619_215 Depth=1
	v_and_b32_e32 v46, 7, v42
	v_ffbh_u32_e32 v60, v46
	v_min_u32_e32 v62, 32, v60
	v_subrev_u32_e32 v60, 28, v62
	v_lshlrev_b64 v[60:61], v60, v[42:43]
	v_lshrrev_b32_e32 v58, 3, v44
	v_sub_u32_e32 v61, 29, v62
	v_and_b32_e32 v60, 7, v60
	v_cmp_gt_u32_e32 vcc, 8, v44
	v_cndmask_b32_e32 v44, v58, v61, vcc
	v_cndmask_b32_e32 v46, v46, v60, vcc
	v_lshlrev_b32_e32 v58, 24, v42
	v_lshlrev_b32_e32 v46, 20, v46
	v_and_b32_e32 v58, 0x80000000, v58
	v_lshl_add_u32 v44, v44, 23, v55
	v_or3_b32 v58, v58, v44, v46
.LBB619_435:                            ;   in Loop: Header=BB619_215 Depth=1
	s_or_b64 exec, exec, s[16:17]
.LBB619_436:                            ;   in Loop: Header=BB619_215 Depth=1
	s_or_b64 exec, exec, s[14:15]
.LBB619_437:                            ;   in Loop: Header=BB619_215 Depth=1
	s_or_b64 exec, exec, s[12:13]
	v_lshrrev_b16_e32 v44, 8, v42
	v_cmp_ne_u16_e32 vcc, 0, v44
	v_mov_b32_e32 v60, 0
	v_mov_b32_e32 v61, 0
	s_and_saveexec_b64 s[12:13], vcc
	s_cbranch_execz .LBB619_443
; %bb.438:                              ;   in Loop: Header=BB619_215 Depth=1
	v_cmp_ne_u16_e32 vcc, s9, v44
	v_bfrev_b32_e32 v61, 1
	s_and_saveexec_b64 s[14:15], vcc
	s_cbranch_execz .LBB619_442
; %bb.439:                              ;   in Loop: Header=BB619_215 Depth=1
	v_and_b32_e32 v46, 0x7f, v44
	v_cmp_ne_u32_e32 vcc, s19, v46
	v_mov_b32_e32 v61, 0x7f800001
	s_and_saveexec_b64 s[16:17], vcc
	s_cbranch_execz .LBB619_441
; %bb.440:                              ;   in Loop: Header=BB619_215 Depth=1
	v_and_b32_e32 v61, 7, v44
	v_ffbh_u32_e32 v62, v61
	v_min_u32_e32 v65, 32, v62
	v_subrev_u32_e32 v62, 28, v65
	v_lshlrev_b64 v[62:63], v62, v[44:45]
	v_lshrrev_b32_e32 v64, 3, v46
	v_sub_u32_e32 v44, 29, v65
	v_and_b32_e32 v62, 7, v62
	v_cmp_gt_u32_e32 vcc, 8, v46
	v_cndmask_b32_e32 v44, v64, v44, vcc
	v_cndmask_b32_e32 v46, v61, v62, vcc
	v_lshlrev_b32_e32 v61, 16, v42
	v_lshlrev_b32_e32 v46, 20, v46
	v_and_b32_e32 v61, 0x80000000, v61
	v_lshl_add_u32 v44, v44, 23, v55
	v_or3_b32 v61, v61, v44, v46
.LBB619_441:                            ;   in Loop: Header=BB619_215 Depth=1
	s_or_b64 exec, exec, s[16:17]
.LBB619_442:                            ;   in Loop: Header=BB619_215 Depth=1
	s_or_b64 exec, exec, s[14:15]
.LBB619_443:                            ;   in Loop: Header=BB619_215 Depth=1
	s_or_b64 exec, exec, s[12:13]
	v_lshrrev_b32_e32 v44, 16, v42
	v_cmp_ne_u16_sdwa s[14:15], v44, v54 src0_sel:BYTE_0 src1_sel:DWORD
	s_and_saveexec_b64 s[12:13], s[14:15]
	s_cbranch_execz .LBB619_449
; %bb.444:                              ;   in Loop: Header=BB619_215 Depth=1
	v_cmp_ne_u16_sdwa s[16:17], v44, s9 src0_sel:BYTE_0 src1_sel:DWORD
	v_bfrev_b32_e32 v60, 1
	s_and_saveexec_b64 s[14:15], s[16:17]
	s_cbranch_execz .LBB619_448
; %bb.445:                              ;   in Loop: Header=BB619_215 Depth=1
	v_bfe_u32 v46, v42, 16, 7
	v_cmp_ne_u32_e32 vcc, s19, v46
	v_mov_b32_e32 v60, 0x7f800001
	s_and_saveexec_b64 s[16:17], vcc
	s_cbranch_execz .LBB619_447
; %bb.446:                              ;   in Loop: Header=BB619_215 Depth=1
	v_and_b32_e32 v60, 7, v44
	v_ffbh_u32_e32 v62, v60
	v_min_u32_e32 v65, 32, v62
	v_subrev_u32_e32 v62, 28, v65
	v_lshlrev_b64 v[62:63], v62, v[44:45]
	v_lshrrev_b32_e32 v64, 3, v46
	v_sub_u32_e32 v63, 29, v65
	v_and_b32_e32 v62, 7, v62
	v_cmp_gt_u32_e32 vcc, 8, v46
	v_cndmask_b32_e32 v46, v64, v63, vcc
	v_cndmask_b32_e32 v60, v60, v62, vcc
	v_lshlrev_b32_e32 v44, 24, v44
	v_lshlrev_b32_e32 v60, 20, v60
	v_and_b32_e32 v44, 0x80000000, v44
	v_lshl_add_u32 v46, v46, 23, v55
	v_or3_b32 v60, v44, v46, v60
.LBB619_447:                            ;   in Loop: Header=BB619_215 Depth=1
	s_or_b64 exec, exec, s[16:17]
.LBB619_448:                            ;   in Loop: Header=BB619_215 Depth=1
	s_or_b64 exec, exec, s[14:15]
.LBB619_449:                            ;   in Loop: Header=BB619_215 Depth=1
	s_or_b64 exec, exec, s[12:13]
	v_cmp_lt_u32_e32 vcc, s20, v42
	v_mov_b32_e32 v46, 0
	v_mov_b32_e32 v62, 0
	s_and_saveexec_b64 s[12:13], vcc
	s_cbranch_execz .LBB619_455
; %bb.450:                              ;   in Loop: Header=BB619_215 Depth=1
	v_lshrrev_b32_e32 v44, 24, v42
	v_cmp_ne_u32_e32 vcc, s9, v44
	v_bfrev_b32_e32 v62, 1
	s_and_saveexec_b64 s[14:15], vcc
	s_cbranch_execz .LBB619_454
; %bb.451:                              ;   in Loop: Header=BB619_215 Depth=1
	v_bfe_u32 v42, v42, 24, 7
	v_cmp_ne_u32_e32 vcc, s19, v42
	v_mov_b32_e32 v62, 0x7f800001
	s_and_saveexec_b64 s[16:17], vcc
	s_cbranch_execz .LBB619_453
; %bb.452:                              ;   in Loop: Header=BB619_215 Depth=1
	v_and_b32_e32 v64, 7, v44
	v_ffbh_u32_e32 v62, v64
	v_min_u32_e32 v66, 32, v62
	v_subrev_u32_e32 v62, 28, v66
	v_lshlrev_b64 v[62:63], v62, v[44:45]
	v_lshrrev_b32_e32 v65, 3, v42
	v_sub_u32_e32 v63, 29, v66
	v_and_b32_e32 v62, 7, v62
	v_cmp_gt_u32_e32 vcc, 8, v42
	v_cndmask_b32_e32 v42, v65, v63, vcc
	v_cndmask_b32_e32 v62, v64, v62, vcc
	v_lshlrev_b32_e32 v44, 24, v44
	v_lshlrev_b32_e32 v62, 20, v62
	v_and_b32_e32 v44, 0x80000000, v44
	v_lshl_add_u32 v42, v42, 23, v55
	v_or3_b32 v62, v44, v42, v62
.LBB619_453:                            ;   in Loop: Header=BB619_215 Depth=1
	s_or_b64 exec, exec, s[16:17]
.LBB619_454:                            ;   in Loop: Header=BB619_215 Depth=1
	s_or_b64 exec, exec, s[14:15]
.LBB619_455:                            ;   in Loop: Header=BB619_215 Depth=1
	s_or_b64 exec, exec, s[12:13]
	v_cvt_pkrtz_f16_f32 v56, v56, v57
	v_cvt_pkrtz_f16_f32 v57, v51, v59
	s_waitcnt vmcnt(1)
	v_cmp_ne_u16_sdwa s[14:15], v40, v54 src0_sel:BYTE_0 src1_sel:DWORD
	v_mfma_f32_16x16x16f16 v[34:37], v[56:57], v[18:19], v[34:37]
	v_cvt_pkrtz_f16_f32 v56, v58, v61
	v_cvt_pkrtz_f16_f32 v57, v60, v62
	s_nop 1
	v_mfma_f32_16x16x16f16 v[34:37], v[56:57], v[20:21], v[34:37]
	s_and_saveexec_b64 s[12:13], s[14:15]
	s_cbranch_execz .LBB619_461
; %bb.456:                              ;   in Loop: Header=BB619_215 Depth=1
	v_cmp_ne_u16_sdwa s[16:17], v40, s9 src0_sel:BYTE_0 src1_sel:DWORD
	v_bfrev_b32_e32 v46, 1
	s_and_saveexec_b64 s[14:15], s[16:17]
	s_cbranch_execz .LBB619_460
; %bb.457:                              ;   in Loop: Header=BB619_215 Depth=1
	v_and_b32_e32 v42, 0x7f, v40
	v_cmp_ne_u32_e32 vcc, s19, v42
	v_mov_b32_e32 v46, 0x7f800001
	s_and_saveexec_b64 s[16:17], vcc
	s_cbranch_execz .LBB619_459
; %bb.458:                              ;   in Loop: Header=BB619_215 Depth=1
	v_and_b32_e32 v44, 7, v40
	v_ffbh_u32_e32 v51, v44
	v_min_u32_e32 v51, 32, v51
	v_subrev_u32_e32 v56, 28, v51
	v_lshlrev_b64 v[56:57], v56, v[40:41]
	v_lshrrev_b32_e32 v46, 3, v42
	v_sub_u32_e32 v51, 29, v51
	v_and_b32_e32 v56, 7, v56
	v_cmp_gt_u32_e32 vcc, 8, v42
	v_cndmask_b32_e32 v42, v46, v51, vcc
	v_cndmask_b32_e32 v44, v44, v56, vcc
	v_lshlrev_b32_e32 v46, 24, v40
	v_lshlrev_b32_e32 v44, 20, v44
	v_and_b32_e32 v46, 0x80000000, v46
	v_lshl_add_u32 v42, v42, 23, v55
	v_or3_b32 v46, v46, v42, v44
.LBB619_459:                            ;   in Loop: Header=BB619_215 Depth=1
	s_or_b64 exec, exec, s[16:17]
.LBB619_460:                            ;   in Loop: Header=BB619_215 Depth=1
	s_or_b64 exec, exec, s[14:15]
.LBB619_461:                            ;   in Loop: Header=BB619_215 Depth=1
	s_or_b64 exec, exec, s[12:13]
	v_lshrrev_b16_e32 v42, 8, v40
	v_cmp_ne_u16_e32 vcc, 0, v42
	v_mov_b32_e32 v44, 0
	v_mov_b32_e32 v56, 0
	s_and_saveexec_b64 s[12:13], vcc
	s_cbranch_execz .LBB619_467
; %bb.462:                              ;   in Loop: Header=BB619_215 Depth=1
	v_cmp_ne_u16_e32 vcc, s9, v42
	v_bfrev_b32_e32 v56, 1
	s_and_saveexec_b64 s[14:15], vcc
	s_cbranch_execz .LBB619_466
; %bb.463:                              ;   in Loop: Header=BB619_215 Depth=1
	v_and_b32_e32 v51, 0x7f, v42
	v_cmp_ne_u32_e32 vcc, s19, v51
	v_mov_b32_e32 v56, 0x7f800001
	s_and_saveexec_b64 s[16:17], vcc
	s_cbranch_execz .LBB619_465
; %bb.464:                              ;   in Loop: Header=BB619_215 Depth=1
	v_and_b32_e32 v58, 7, v42
	v_ffbh_u32_e32 v56, v58
	v_min_u32_e32 v60, 32, v56
	v_subrev_u32_e32 v56, 28, v60
	v_lshlrev_b64 v[56:57], v56, v[42:43]
	v_lshrrev_b32_e32 v59, 3, v51
	v_sub_u32_e32 v42, 29, v60
	v_and_b32_e32 v56, 7, v56
	v_cmp_gt_u32_e32 vcc, 8, v51
	v_cndmask_b32_e32 v42, v59, v42, vcc
	v_cndmask_b32_e32 v51, v58, v56, vcc
	v_lshlrev_b32_e32 v56, 16, v40
	v_lshlrev_b32_e32 v51, 20, v51
	v_and_b32_e32 v56, 0x80000000, v56
	v_lshl_add_u32 v42, v42, 23, v55
	v_or3_b32 v56, v56, v42, v51
.LBB619_465:                            ;   in Loop: Header=BB619_215 Depth=1
	s_or_b64 exec, exec, s[16:17]
.LBB619_466:                            ;   in Loop: Header=BB619_215 Depth=1
	s_or_b64 exec, exec, s[14:15]
.LBB619_467:                            ;   in Loop: Header=BB619_215 Depth=1
	s_or_b64 exec, exec, s[12:13]
	v_lshrrev_b32_e32 v42, 16, v40
	v_cmp_ne_u16_sdwa s[14:15], v42, v54 src0_sel:BYTE_0 src1_sel:DWORD
	s_and_saveexec_b64 s[12:13], s[14:15]
	s_cbranch_execz .LBB619_473
; %bb.468:                              ;   in Loop: Header=BB619_215 Depth=1
	v_cmp_ne_u16_sdwa s[16:17], v42, s9 src0_sel:BYTE_0 src1_sel:DWORD
	v_bfrev_b32_e32 v44, 1
	s_and_saveexec_b64 s[14:15], s[16:17]
	s_cbranch_execz .LBB619_472
; %bb.469:                              ;   in Loop: Header=BB619_215 Depth=1
	v_bfe_u32 v51, v40, 16, 7
	v_cmp_ne_u32_e32 vcc, s19, v51
	v_mov_b32_e32 v44, 0x7f800001
	s_and_saveexec_b64 s[16:17], vcc
	s_cbranch_execz .LBB619_471
; %bb.470:                              ;   in Loop: Header=BB619_215 Depth=1
	v_and_b32_e32 v44, 7, v42
	v_ffbh_u32_e32 v58, v44
	v_min_u32_e32 v60, 32, v58
	v_subrev_u32_e32 v58, 28, v60
	v_lshlrev_b64 v[58:59], v58, v[42:43]
	v_lshrrev_b32_e32 v57, 3, v51
	v_sub_u32_e32 v59, 29, v60
	v_and_b32_e32 v58, 7, v58
	v_cmp_gt_u32_e32 vcc, 8, v51
	v_cndmask_b32_e32 v51, v57, v59, vcc
	v_cndmask_b32_e32 v44, v44, v58, vcc
	v_lshlrev_b32_e32 v42, 24, v42
	v_lshlrev_b32_e32 v44, 20, v44
	v_and_b32_e32 v42, 0x80000000, v42
	v_lshl_add_u32 v51, v51, 23, v55
	v_or3_b32 v44, v42, v51, v44
.LBB619_471:                            ;   in Loop: Header=BB619_215 Depth=1
	s_or_b64 exec, exec, s[16:17]
.LBB619_472:                            ;   in Loop: Header=BB619_215 Depth=1
	s_or_b64 exec, exec, s[14:15]
.LBB619_473:                            ;   in Loop: Header=BB619_215 Depth=1
	s_or_b64 exec, exec, s[12:13]
	v_cmp_lt_u32_e32 vcc, s20, v40
	v_mov_b32_e32 v57, 0
	v_mov_b32_e32 v58, 0
	s_and_saveexec_b64 s[12:13], vcc
	s_cbranch_execz .LBB619_479
; %bb.474:                              ;   in Loop: Header=BB619_215 Depth=1
	v_lshrrev_b32_e32 v42, 24, v40
	v_cmp_ne_u32_e32 vcc, s9, v42
	v_bfrev_b32_e32 v58, 1
	s_and_saveexec_b64 s[14:15], vcc
	s_cbranch_execz .LBB619_478
; %bb.475:                              ;   in Loop: Header=BB619_215 Depth=1
	v_bfe_u32 v40, v40, 24, 7
	v_cmp_ne_u32_e32 vcc, s19, v40
	v_mov_b32_e32 v58, 0x7f800001
	s_and_saveexec_b64 s[16:17], vcc
	s_cbranch_execz .LBB619_477
; %bb.476:                              ;   in Loop: Header=BB619_215 Depth=1
	v_and_b32_e32 v51, 7, v42
	v_ffbh_u32_e32 v58, v51
	v_min_u32_e32 v61, 32, v58
	v_subrev_u32_e32 v58, 28, v61
	v_lshlrev_b64 v[58:59], v58, v[42:43]
	v_lshrrev_b32_e32 v60, 3, v40
	v_sub_u32_e32 v59, 29, v61
	v_and_b32_e32 v58, 7, v58
	v_cmp_gt_u32_e32 vcc, 8, v40
	v_cndmask_b32_e32 v40, v60, v59, vcc
	v_cndmask_b32_e32 v51, v51, v58, vcc
	v_lshlrev_b32_e32 v42, 24, v42
	v_lshlrev_b32_e32 v51, 20, v51
	v_and_b32_e32 v42, 0x80000000, v42
	v_lshl_add_u32 v40, v40, 23, v55
	v_or3_b32 v58, v42, v40, v51
.LBB619_477:                            ;   in Loop: Header=BB619_215 Depth=1
	s_or_b64 exec, exec, s[16:17]
.LBB619_478:                            ;   in Loop: Header=BB619_215 Depth=1
	s_or_b64 exec, exec, s[14:15]
.LBB619_479:                            ;   in Loop: Header=BB619_215 Depth=1
	s_or_b64 exec, exec, s[12:13]
	s_waitcnt vmcnt(0)
	v_cmp_ne_u16_sdwa s[14:15], v38, v54 src0_sel:BYTE_0 src1_sel:DWORD
	s_and_saveexec_b64 s[12:13], s[14:15]
	s_cbranch_execz .LBB619_485
; %bb.480:                              ;   in Loop: Header=BB619_215 Depth=1
	v_cmp_ne_u16_sdwa s[16:17], v38, s9 src0_sel:BYTE_0 src1_sel:DWORD
	v_bfrev_b32_e32 v57, 1
	s_and_saveexec_b64 s[14:15], s[16:17]
	s_cbranch_execz .LBB619_484
; %bb.481:                              ;   in Loop: Header=BB619_215 Depth=1
	v_and_b32_e32 v40, 0x7f, v38
	v_cmp_ne_u32_e32 vcc, s19, v40
	v_mov_b32_e32 v57, 0x7f800001
	s_and_saveexec_b64 s[16:17], vcc
	s_cbranch_execz .LBB619_483
; %bb.482:                              ;   in Loop: Header=BB619_215 Depth=1
	v_and_b32_e32 v42, 7, v38
	v_ffbh_u32_e32 v57, v42
	v_min_u32_e32 v57, 32, v57
	v_subrev_u32_e32 v59, 28, v57
	v_lshlrev_b64 v[60:61], v59, v[38:39]
	v_lshrrev_b32_e32 v51, 3, v40
	v_sub_u32_e32 v57, 29, v57
	v_and_b32_e32 v59, 7, v60
	v_cmp_gt_u32_e32 vcc, 8, v40
	v_cndmask_b32_e32 v40, v51, v57, vcc
	v_cndmask_b32_e32 v42, v42, v59, vcc
	v_lshlrev_b32_e32 v51, 24, v38
	v_lshlrev_b32_e32 v42, 20, v42
	v_and_b32_e32 v51, 0x80000000, v51
	v_lshl_add_u32 v40, v40, 23, v55
	v_or3_b32 v57, v51, v40, v42
.LBB619_483:                            ;   in Loop: Header=BB619_215 Depth=1
	s_or_b64 exec, exec, s[16:17]
.LBB619_484:                            ;   in Loop: Header=BB619_215 Depth=1
	s_or_b64 exec, exec, s[14:15]
.LBB619_485:                            ;   in Loop: Header=BB619_215 Depth=1
	s_or_b64 exec, exec, s[12:13]
	v_lshrrev_b16_e32 v40, 8, v38
	v_cmp_ne_u16_e32 vcc, 0, v40
	v_mov_b32_e32 v59, 0
	v_mov_b32_e32 v60, 0
	s_and_saveexec_b64 s[12:13], vcc
	s_cbranch_execz .LBB619_491
; %bb.486:                              ;   in Loop: Header=BB619_215 Depth=1
	v_cmp_ne_u16_e32 vcc, s9, v40
	v_bfrev_b32_e32 v60, 1
	s_and_saveexec_b64 s[14:15], vcc
	s_cbranch_execz .LBB619_490
; %bb.487:                              ;   in Loop: Header=BB619_215 Depth=1
	v_and_b32_e32 v42, 0x7f, v40
	v_cmp_ne_u32_e32 vcc, s19, v42
	v_mov_b32_e32 v60, 0x7f800001
	s_and_saveexec_b64 s[16:17], vcc
	s_cbranch_execz .LBB619_489
; %bb.488:                              ;   in Loop: Header=BB619_215 Depth=1
	v_and_b32_e32 v51, 7, v40
	v_ffbh_u32_e32 v60, v51
	v_min_u32_e32 v63, 32, v60
	v_subrev_u32_e32 v60, 28, v63
	v_lshlrev_b64 v[60:61], v60, v[40:41]
	v_lshrrev_b32_e32 v62, 3, v42
	v_sub_u32_e32 v40, 29, v63
	v_and_b32_e32 v60, 7, v60
	v_cmp_gt_u32_e32 vcc, 8, v42
	v_cndmask_b32_e32 v40, v62, v40, vcc
	v_cndmask_b32_e32 v42, v51, v60, vcc
	v_lshlrev_b32_e32 v51, 16, v38
	v_lshlrev_b32_e32 v42, 20, v42
	v_and_b32_e32 v51, 0x80000000, v51
	v_lshl_add_u32 v40, v40, 23, v55
	v_or3_b32 v60, v51, v40, v42
.LBB619_489:                            ;   in Loop: Header=BB619_215 Depth=1
	s_or_b64 exec, exec, s[16:17]
.LBB619_490:                            ;   in Loop: Header=BB619_215 Depth=1
	s_or_b64 exec, exec, s[14:15]
.LBB619_491:                            ;   in Loop: Header=BB619_215 Depth=1
	s_or_b64 exec, exec, s[12:13]
	v_lshrrev_b32_e32 v40, 16, v38
	v_cmp_ne_u16_sdwa s[14:15], v40, v54 src0_sel:BYTE_0 src1_sel:DWORD
	s_and_saveexec_b64 s[12:13], s[14:15]
	s_cbranch_execz .LBB619_497
; %bb.492:                              ;   in Loop: Header=BB619_215 Depth=1
	v_cmp_ne_u16_sdwa s[16:17], v40, s9 src0_sel:BYTE_0 src1_sel:DWORD
	v_bfrev_b32_e32 v59, 1
	s_and_saveexec_b64 s[14:15], s[16:17]
	s_cbranch_execz .LBB619_496
; %bb.493:                              ;   in Loop: Header=BB619_215 Depth=1
	v_bfe_u32 v42, v38, 16, 7
	v_cmp_ne_u32_e32 vcc, s19, v42
	v_mov_b32_e32 v59, 0x7f800001
	s_and_saveexec_b64 s[16:17], vcc
	s_cbranch_execz .LBB619_495
; %bb.494:                              ;   in Loop: Header=BB619_215 Depth=1
	v_and_b32_e32 v51, 7, v40
	v_ffbh_u32_e32 v61, v51
	v_min_u32_e32 v61, 32, v61
	v_subrev_u32_e32 v62, 28, v61
	v_lshlrev_b64 v[62:63], v62, v[40:41]
	v_lshrrev_b32_e32 v59, 3, v42
	v_sub_u32_e32 v61, 29, v61
	v_and_b32_e32 v62, 7, v62
	v_cmp_gt_u32_e32 vcc, 8, v42
	v_cndmask_b32_e32 v42, v59, v61, vcc
	v_cndmask_b32_e32 v51, v51, v62, vcc
	v_lshlrev_b32_e32 v40, 24, v40
	v_lshlrev_b32_e32 v51, 20, v51
	v_and_b32_e32 v40, 0x80000000, v40
	v_lshl_add_u32 v42, v42, 23, v55
	v_or3_b32 v59, v40, v42, v51
.LBB619_495:                            ;   in Loop: Header=BB619_215 Depth=1
	s_or_b64 exec, exec, s[16:17]
.LBB619_496:                            ;   in Loop: Header=BB619_215 Depth=1
	s_or_b64 exec, exec, s[14:15]
.LBB619_497:                            ;   in Loop: Header=BB619_215 Depth=1
	s_or_b64 exec, exec, s[12:13]
	v_cmp_lt_u32_e32 vcc, s20, v38
	v_mov_b32_e32 v51, 0
	v_mov_b32_e32 v61, 0
	s_and_saveexec_b64 s[12:13], vcc
	s_cbranch_execz .LBB619_503
; %bb.498:                              ;   in Loop: Header=BB619_215 Depth=1
	v_lshrrev_b32_e32 v40, 24, v38
	v_cmp_ne_u32_e32 vcc, s9, v40
	v_bfrev_b32_e32 v61, 1
	s_and_saveexec_b64 s[14:15], vcc
	s_cbranch_execz .LBB619_502
; %bb.499:                              ;   in Loop: Header=BB619_215 Depth=1
	v_bfe_u32 v38, v38, 24, 7
	v_cmp_ne_u32_e32 vcc, s19, v38
	v_mov_b32_e32 v61, 0x7f800001
	s_and_saveexec_b64 s[16:17], vcc
	s_cbranch_execz .LBB619_501
; %bb.500:                              ;   in Loop: Header=BB619_215 Depth=1
	v_and_b32_e32 v42, 7, v40
	v_ffbh_u32_e32 v62, v42
	v_min_u32_e32 v64, 32, v62
	v_subrev_u32_e32 v62, 28, v64
	v_lshlrev_b64 v[62:63], v62, v[40:41]
	v_lshrrev_b32_e32 v61, 3, v38
	v_sub_u32_e32 v63, 29, v64
	v_and_b32_e32 v62, 7, v62
	v_cmp_gt_u32_e32 vcc, 8, v38
	v_cndmask_b32_e32 v38, v61, v63, vcc
	v_cndmask_b32_e32 v42, v42, v62, vcc
	v_lshlrev_b32_e32 v40, 24, v40
	v_lshlrev_b32_e32 v42, 20, v42
	v_and_b32_e32 v40, 0x80000000, v40
	v_lshl_add_u32 v38, v38, 23, v55
	v_or3_b32 v61, v40, v38, v42
.LBB619_501:                            ;   in Loop: Header=BB619_215 Depth=1
	s_or_b64 exec, exec, s[16:17]
.LBB619_502:                            ;   in Loop: Header=BB619_215 Depth=1
	s_or_b64 exec, exec, s[14:15]
.LBB619_503:                            ;   in Loop: Header=BB619_215 Depth=1
	s_or_b64 exec, exec, s[12:13]
	v_cvt_pkrtz_f16_f32 v63, v44, v58
	buffer_load_dword v44, v50, s[0:3], 0 offen
	buffer_load_dword v42, v50, s[0:3], 0 offen offset:4
	buffer_load_dword v40, v50, s[0:3], 0 offen offset:8
	;; [unrolled: 1-line block ×3, first 2 shown]
	v_cvt_pkrtz_f16_f32 v62, v46, v56
	v_cvt_pkrtz_f16_f32 v56, v57, v60
	;; [unrolled: 1-line block ×3, first 2 shown]
	v_mfma_f32_16x16x16f16 v[34:37], v[62:63], v[22:23], v[34:37]
	s_waitcnt vmcnt(3)
	v_cmp_ne_u16_sdwa s[14:15], v44, v54 src0_sel:BYTE_0 src1_sel:DWORD
	v_mfma_f32_16x16x16f16 v[34:37], v[56:57], v[24:25], v[34:37]
	s_and_saveexec_b64 s[12:13], s[14:15]
	s_cbranch_execz .LBB619_509
; %bb.504:                              ;   in Loop: Header=BB619_215 Depth=1
	v_cmp_ne_u16_sdwa s[16:17], v44, s9 src0_sel:BYTE_0 src1_sel:DWORD
	v_bfrev_b32_e32 v51, 1
	s_and_saveexec_b64 s[14:15], s[16:17]
	s_cbranch_execz .LBB619_508
; %bb.505:                              ;   in Loop: Header=BB619_215 Depth=1
	v_and_b32_e32 v46, 0x7f, v44
	v_cmp_ne_u32_e32 vcc, s19, v46
	v_mov_b32_e32 v51, 0x7f800001
	s_and_saveexec_b64 s[16:17], vcc
	s_cbranch_execz .LBB619_507
; %bb.506:                              ;   in Loop: Header=BB619_215 Depth=1
	v_and_b32_e32 v56, 7, v44
	v_ffbh_u32_e32 v50, v56
	v_min_u32_e32 v58, 32, v50
	v_subrev_u32_e32 v50, 28, v58
	v_lshlrev_b64 v[50:51], v50, v[44:45]
	v_lshrrev_b32_e32 v57, 3, v46
	v_sub_u32_e32 v51, 29, v58
	v_and_b32_e32 v50, 7, v50
	v_cmp_gt_u32_e32 vcc, 8, v46
	v_cndmask_b32_e32 v46, v57, v51, vcc
	v_cndmask_b32_e32 v50, v56, v50, vcc
	v_lshlrev_b32_e32 v51, 24, v44
	v_lshlrev_b32_e32 v50, 20, v50
	v_and_b32_e32 v51, 0x80000000, v51
	v_lshl_add_u32 v46, v46, 23, v55
	v_or3_b32 v51, v51, v46, v50
.LBB619_507:                            ;   in Loop: Header=BB619_215 Depth=1
	s_or_b64 exec, exec, s[16:17]
.LBB619_508:                            ;   in Loop: Header=BB619_215 Depth=1
	s_or_b64 exec, exec, s[14:15]
.LBB619_509:                            ;   in Loop: Header=BB619_215 Depth=1
	s_or_b64 exec, exec, s[12:13]
	v_lshrrev_b16_e32 v46, 8, v44
	v_cmp_ne_u16_e32 vcc, 0, v46
	v_mov_b32_e32 v50, 0
	v_mov_b32_e32 v56, 0
	s_and_saveexec_b64 s[12:13], vcc
	s_cbranch_execz .LBB619_515
; %bb.510:                              ;   in Loop: Header=BB619_215 Depth=1
	v_cmp_ne_u16_e32 vcc, s9, v46
	v_bfrev_b32_e32 v56, 1
	s_and_saveexec_b64 s[14:15], vcc
	s_cbranch_execz .LBB619_514
; %bb.511:                              ;   in Loop: Header=BB619_215 Depth=1
	v_and_b32_e32 v57, 0x7f, v46
	v_cmp_ne_u32_e32 vcc, s19, v57
	v_mov_b32_e32 v56, 0x7f800001
	s_and_saveexec_b64 s[16:17], vcc
	s_cbranch_execz .LBB619_513
; %bb.512:                              ;   in Loop: Header=BB619_215 Depth=1
	v_and_b32_e32 v56, 7, v46
	v_ffbh_u32_e32 v58, v56
	v_min_u32_e32 v61, 32, v58
	v_subrev_u32_e32 v58, 28, v61
	v_lshlrev_b64 v[58:59], v58, v[46:47]
	v_lshrrev_b32_e32 v60, 3, v57
	v_sub_u32_e32 v46, 29, v61
	v_and_b32_e32 v58, 7, v58
	v_cmp_gt_u32_e32 vcc, 8, v57
	v_cndmask_b32_e32 v46, v60, v46, vcc
	v_cndmask_b32_e32 v56, v56, v58, vcc
	v_lshlrev_b32_e32 v57, 16, v44
	v_lshlrev_b32_e32 v56, 20, v56
	v_and_b32_e32 v57, 0x80000000, v57
	v_lshl_add_u32 v46, v46, 23, v55
	v_or3_b32 v56, v57, v46, v56
.LBB619_513:                            ;   in Loop: Header=BB619_215 Depth=1
	s_or_b64 exec, exec, s[16:17]
.LBB619_514:                            ;   in Loop: Header=BB619_215 Depth=1
	s_or_b64 exec, exec, s[14:15]
.LBB619_515:                            ;   in Loop: Header=BB619_215 Depth=1
	s_or_b64 exec, exec, s[12:13]
	v_lshrrev_b32_e32 v46, 16, v44
	v_cmp_ne_u16_sdwa s[14:15], v46, v54 src0_sel:BYTE_0 src1_sel:DWORD
	s_and_saveexec_b64 s[12:13], s[14:15]
	s_cbranch_execz .LBB619_521
; %bb.516:                              ;   in Loop: Header=BB619_215 Depth=1
	v_cmp_ne_u16_sdwa s[16:17], v46, s9 src0_sel:BYTE_0 src1_sel:DWORD
	v_bfrev_b32_e32 v50, 1
	s_and_saveexec_b64 s[14:15], s[16:17]
	s_cbranch_execz .LBB619_520
; %bb.517:                              ;   in Loop: Header=BB619_215 Depth=1
	v_bfe_u32 v57, v44, 16, 7
	v_cmp_ne_u32_e32 vcc, s19, v57
	v_mov_b32_e32 v50, 0x7f800001
	s_and_saveexec_b64 s[16:17], vcc
	s_cbranch_execz .LBB619_519
; %bb.518:                              ;   in Loop: Header=BB619_215 Depth=1
	v_and_b32_e32 v50, 7, v46
	v_ffbh_u32_e32 v58, v50
	v_min_u32_e32 v61, 32, v58
	v_subrev_u32_e32 v58, 28, v61
	v_lshlrev_b64 v[58:59], v58, v[46:47]
	v_lshrrev_b32_e32 v60, 3, v57
	v_sub_u32_e32 v59, 29, v61
	v_and_b32_e32 v58, 7, v58
	v_cmp_gt_u32_e32 vcc, 8, v57
	v_cndmask_b32_e32 v57, v60, v59, vcc
	v_cndmask_b32_e32 v50, v50, v58, vcc
	v_lshlrev_b32_e32 v46, 24, v46
	v_lshlrev_b32_e32 v50, 20, v50
	v_and_b32_e32 v46, 0x80000000, v46
	v_lshl_add_u32 v57, v57, 23, v55
	v_or3_b32 v50, v46, v57, v50
.LBB619_519:                            ;   in Loop: Header=BB619_215 Depth=1
	s_or_b64 exec, exec, s[16:17]
.LBB619_520:                            ;   in Loop: Header=BB619_215 Depth=1
	s_or_b64 exec, exec, s[14:15]
.LBB619_521:                            ;   in Loop: Header=BB619_215 Depth=1
	s_or_b64 exec, exec, s[12:13]
	v_cmp_lt_u32_e32 vcc, s20, v44
	v_mov_b32_e32 v57, 0
	v_mov_b32_e32 v58, 0
	s_and_saveexec_b64 s[12:13], vcc
	s_cbranch_execz .LBB619_527
; %bb.522:                              ;   in Loop: Header=BB619_215 Depth=1
	v_lshrrev_b32_e32 v46, 24, v44
	v_cmp_ne_u32_e32 vcc, s9, v46
	v_bfrev_b32_e32 v58, 1
	s_and_saveexec_b64 s[14:15], vcc
	s_cbranch_execz .LBB619_526
; %bb.523:                              ;   in Loop: Header=BB619_215 Depth=1
	v_bfe_u32 v44, v44, 24, 7
	v_cmp_ne_u32_e32 vcc, s19, v44
	v_mov_b32_e32 v58, 0x7f800001
	s_and_saveexec_b64 s[16:17], vcc
	s_cbranch_execz .LBB619_525
; %bb.524:                              ;   in Loop: Header=BB619_215 Depth=1
	v_and_b32_e32 v60, 7, v46
	v_ffbh_u32_e32 v58, v60
	v_min_u32_e32 v62, 32, v58
	v_subrev_u32_e32 v58, 28, v62
	v_lshlrev_b64 v[58:59], v58, v[46:47]
	v_lshrrev_b32_e32 v61, 3, v44
	v_sub_u32_e32 v59, 29, v62
	v_and_b32_e32 v58, 7, v58
	v_cmp_gt_u32_e32 vcc, 8, v44
	v_cndmask_b32_e32 v44, v61, v59, vcc
	v_cndmask_b32_e32 v58, v60, v58, vcc
	v_lshlrev_b32_e32 v46, 24, v46
	v_lshlrev_b32_e32 v58, 20, v58
	v_and_b32_e32 v46, 0x80000000, v46
	v_lshl_add_u32 v44, v44, 23, v55
	v_or3_b32 v58, v46, v44, v58
.LBB619_525:                            ;   in Loop: Header=BB619_215 Depth=1
	s_or_b64 exec, exec, s[16:17]
.LBB619_526:                            ;   in Loop: Header=BB619_215 Depth=1
	s_or_b64 exec, exec, s[14:15]
.LBB619_527:                            ;   in Loop: Header=BB619_215 Depth=1
	s_or_b64 exec, exec, s[12:13]
	s_waitcnt vmcnt(2)
	v_cmp_ne_u16_sdwa s[14:15], v42, v54 src0_sel:BYTE_0 src1_sel:DWORD
	s_and_saveexec_b64 s[12:13], s[14:15]
	s_cbranch_execz .LBB619_533
; %bb.528:                              ;   in Loop: Header=BB619_215 Depth=1
	v_cmp_ne_u16_sdwa s[16:17], v42, s9 src0_sel:BYTE_0 src1_sel:DWORD
	v_bfrev_b32_e32 v57, 1
	s_and_saveexec_b64 s[14:15], s[16:17]
	s_cbranch_execz .LBB619_532
; %bb.529:                              ;   in Loop: Header=BB619_215 Depth=1
	v_and_b32_e32 v44, 0x7f, v42
	v_cmp_ne_u32_e32 vcc, s19, v44
	v_mov_b32_e32 v57, 0x7f800001
	s_and_saveexec_b64 s[16:17], vcc
	s_cbranch_execz .LBB619_531
; %bb.530:                              ;   in Loop: Header=BB619_215 Depth=1
	v_and_b32_e32 v46, 7, v42
	v_ffbh_u32_e32 v59, v46
	v_min_u32_e32 v59, 32, v59
	v_subrev_u32_e32 v60, 28, v59
	v_lshlrev_b64 v[60:61], v60, v[42:43]
	v_lshrrev_b32_e32 v57, 3, v44
	v_sub_u32_e32 v59, 29, v59
	v_and_b32_e32 v60, 7, v60
	v_cmp_gt_u32_e32 vcc, 8, v44
	v_cndmask_b32_e32 v44, v57, v59, vcc
	v_cndmask_b32_e32 v46, v46, v60, vcc
	v_lshlrev_b32_e32 v57, 24, v42
	v_lshlrev_b32_e32 v46, 20, v46
	v_and_b32_e32 v57, 0x80000000, v57
	v_lshl_add_u32 v44, v44, 23, v55
	v_or3_b32 v57, v57, v44, v46
.LBB619_531:                            ;   in Loop: Header=BB619_215 Depth=1
	s_or_b64 exec, exec, s[16:17]
.LBB619_532:                            ;   in Loop: Header=BB619_215 Depth=1
	s_or_b64 exec, exec, s[14:15]
.LBB619_533:                            ;   in Loop: Header=BB619_215 Depth=1
	s_or_b64 exec, exec, s[12:13]
	v_lshrrev_b16_e32 v44, 8, v42
	v_cmp_ne_u16_e32 vcc, 0, v44
	v_mov_b32_e32 v59, 0
	v_mov_b32_e32 v60, 0
	s_and_saveexec_b64 s[12:13], vcc
	s_cbranch_execz .LBB619_539
; %bb.534:                              ;   in Loop: Header=BB619_215 Depth=1
	v_cmp_ne_u16_e32 vcc, s9, v44
	v_bfrev_b32_e32 v60, 1
	s_and_saveexec_b64 s[14:15], vcc
	s_cbranch_execz .LBB619_538
; %bb.535:                              ;   in Loop: Header=BB619_215 Depth=1
	v_and_b32_e32 v46, 0x7f, v44
	v_cmp_ne_u32_e32 vcc, s19, v46
	v_mov_b32_e32 v60, 0x7f800001
	s_and_saveexec_b64 s[16:17], vcc
	s_cbranch_execz .LBB619_537
; %bb.536:                              ;   in Loop: Header=BB619_215 Depth=1
	v_and_b32_e32 v62, 7, v44
	v_ffbh_u32_e32 v60, v62
	v_min_u32_e32 v64, 32, v60
	v_subrev_u32_e32 v60, 28, v64
	v_lshlrev_b64 v[60:61], v60, v[44:45]
	v_lshrrev_b32_e32 v63, 3, v46
	v_sub_u32_e32 v44, 29, v64
	v_and_b32_e32 v60, 7, v60
	v_cmp_gt_u32_e32 vcc, 8, v46
	v_cndmask_b32_e32 v44, v63, v44, vcc
	v_cndmask_b32_e32 v46, v62, v60, vcc
	v_lshlrev_b32_e32 v60, 16, v42
	v_lshlrev_b32_e32 v46, 20, v46
	v_and_b32_e32 v60, 0x80000000, v60
	v_lshl_add_u32 v44, v44, 23, v55
	v_or3_b32 v60, v60, v44, v46
.LBB619_537:                            ;   in Loop: Header=BB619_215 Depth=1
	s_or_b64 exec, exec, s[16:17]
.LBB619_538:                            ;   in Loop: Header=BB619_215 Depth=1
	s_or_b64 exec, exec, s[14:15]
.LBB619_539:                            ;   in Loop: Header=BB619_215 Depth=1
	s_or_b64 exec, exec, s[12:13]
	v_lshrrev_b32_e32 v44, 16, v42
	v_cmp_ne_u16_sdwa s[14:15], v44, v54 src0_sel:BYTE_0 src1_sel:DWORD
	s_and_saveexec_b64 s[12:13], s[14:15]
	s_cbranch_execz .LBB619_545
; %bb.540:                              ;   in Loop: Header=BB619_215 Depth=1
	v_cmp_ne_u16_sdwa s[16:17], v44, s9 src0_sel:BYTE_0 src1_sel:DWORD
	v_bfrev_b32_e32 v59, 1
	s_and_saveexec_b64 s[14:15], s[16:17]
	s_cbranch_execz .LBB619_544
; %bb.541:                              ;   in Loop: Header=BB619_215 Depth=1
	v_bfe_u32 v46, v42, 16, 7
	v_cmp_ne_u32_e32 vcc, s19, v46
	v_mov_b32_e32 v59, 0x7f800001
	s_and_saveexec_b64 s[16:17], vcc
	s_cbranch_execz .LBB619_543
; %bb.542:                              ;   in Loop: Header=BB619_215 Depth=1
	v_and_b32_e32 v59, 7, v44
	v_ffbh_u32_e32 v62, v59
	v_min_u32_e32 v64, 32, v62
	v_subrev_u32_e32 v62, 28, v64
	v_lshlrev_b64 v[62:63], v62, v[44:45]
	v_lshrrev_b32_e32 v61, 3, v46
	v_sub_u32_e32 v63, 29, v64
	v_and_b32_e32 v62, 7, v62
	v_cmp_gt_u32_e32 vcc, 8, v46
	v_cndmask_b32_e32 v46, v61, v63, vcc
	v_cndmask_b32_e32 v59, v59, v62, vcc
	v_lshlrev_b32_e32 v44, 24, v44
	v_lshlrev_b32_e32 v59, 20, v59
	v_and_b32_e32 v44, 0x80000000, v44
	v_lshl_add_u32 v46, v46, 23, v55
	v_or3_b32 v59, v44, v46, v59
.LBB619_543:                            ;   in Loop: Header=BB619_215 Depth=1
	s_or_b64 exec, exec, s[16:17]
.LBB619_544:                            ;   in Loop: Header=BB619_215 Depth=1
	s_or_b64 exec, exec, s[14:15]
.LBB619_545:                            ;   in Loop: Header=BB619_215 Depth=1
	s_or_b64 exec, exec, s[12:13]
	v_cmp_lt_u32_e32 vcc, s20, v42
	v_mov_b32_e32 v46, 0
	v_mov_b32_e32 v61, 0
	s_and_saveexec_b64 s[12:13], vcc
	s_cbranch_execz .LBB619_551
; %bb.546:                              ;   in Loop: Header=BB619_215 Depth=1
	v_lshrrev_b32_e32 v44, 24, v42
	v_cmp_ne_u32_e32 vcc, s9, v44
	v_bfrev_b32_e32 v61, 1
	s_and_saveexec_b64 s[14:15], vcc
	s_cbranch_execz .LBB619_550
; %bb.547:                              ;   in Loop: Header=BB619_215 Depth=1
	v_bfe_u32 v42, v42, 24, 7
	v_cmp_ne_u32_e32 vcc, s19, v42
	v_mov_b32_e32 v61, 0x7f800001
	s_and_saveexec_b64 s[16:17], vcc
	s_cbranch_execz .LBB619_549
; %bb.548:                              ;   in Loop: Header=BB619_215 Depth=1
	v_and_b32_e32 v61, 7, v44
	v_ffbh_u32_e32 v62, v61
	v_min_u32_e32 v65, 32, v62
	v_subrev_u32_e32 v62, 28, v65
	v_lshlrev_b64 v[62:63], v62, v[44:45]
	v_lshrrev_b32_e32 v64, 3, v42
	v_sub_u32_e32 v63, 29, v65
	v_and_b32_e32 v62, 7, v62
	v_cmp_gt_u32_e32 vcc, 8, v42
	v_cndmask_b32_e32 v42, v64, v63, vcc
	v_cndmask_b32_e32 v61, v61, v62, vcc
	v_lshlrev_b32_e32 v44, 24, v44
	v_lshlrev_b32_e32 v61, 20, v61
	v_and_b32_e32 v44, 0x80000000, v44
	v_lshl_add_u32 v42, v42, 23, v55
	v_or3_b32 v61, v44, v42, v61
.LBB619_549:                            ;   in Loop: Header=BB619_215 Depth=1
	s_or_b64 exec, exec, s[16:17]
.LBB619_550:                            ;   in Loop: Header=BB619_215 Depth=1
	s_or_b64 exec, exec, s[14:15]
.LBB619_551:                            ;   in Loop: Header=BB619_215 Depth=1
	s_or_b64 exec, exec, s[12:13]
	v_cvt_pkrtz_f16_f32 v62, v51, v56
	v_cvt_pkrtz_f16_f32 v63, v50, v58
	;; [unrolled: 1-line block ×4, first 2 shown]
	s_waitcnt vmcnt(1)
	v_cmp_ne_u16_sdwa s[14:15], v40, v54 src0_sel:BYTE_0 src1_sel:DWORD
	v_mfma_f32_16x16x16f16 v[34:37], v[62:63], v[26:27], v[34:37]
	v_mfma_f32_16x16x16f16 v[34:37], v[50:51], v[28:29], v[34:37]
	s_and_saveexec_b64 s[12:13], s[14:15]
	s_cbranch_execz .LBB619_557
; %bb.552:                              ;   in Loop: Header=BB619_215 Depth=1
	v_cmp_ne_u16_sdwa s[16:17], v40, s9 src0_sel:BYTE_0 src1_sel:DWORD
	v_bfrev_b32_e32 v46, 1
	s_and_saveexec_b64 s[14:15], s[16:17]
	s_cbranch_execz .LBB619_556
; %bb.553:                              ;   in Loop: Header=BB619_215 Depth=1
	v_and_b32_e32 v42, 0x7f, v40
	v_cmp_ne_u32_e32 vcc, s19, v42
	v_mov_b32_e32 v46, 0x7f800001
	s_and_saveexec_b64 s[16:17], vcc
	s_cbranch_execz .LBB619_555
; %bb.554:                              ;   in Loop: Header=BB619_215 Depth=1
	v_and_b32_e32 v44, 7, v40
	v_ffbh_u32_e32 v50, v44
	v_min_u32_e32 v56, 32, v50
	v_subrev_u32_e32 v50, 28, v56
	v_lshlrev_b64 v[50:51], v50, v[40:41]
	v_lshrrev_b32_e32 v46, 3, v42
	v_sub_u32_e32 v51, 29, v56
	v_and_b32_e32 v50, 7, v50
	v_cmp_gt_u32_e32 vcc, 8, v42
	v_cndmask_b32_e32 v42, v46, v51, vcc
	v_cndmask_b32_e32 v44, v44, v50, vcc
	v_lshlrev_b32_e32 v46, 24, v40
	v_lshlrev_b32_e32 v44, 20, v44
	v_and_b32_e32 v46, 0x80000000, v46
	v_lshl_add_u32 v42, v42, 23, v55
	v_or3_b32 v46, v46, v42, v44
.LBB619_555:                            ;   in Loop: Header=BB619_215 Depth=1
	s_or_b64 exec, exec, s[16:17]
.LBB619_556:                            ;   in Loop: Header=BB619_215 Depth=1
	s_or_b64 exec, exec, s[14:15]
.LBB619_557:                            ;   in Loop: Header=BB619_215 Depth=1
	s_or_b64 exec, exec, s[12:13]
	v_lshrrev_b16_e32 v42, 8, v40
	v_cmp_ne_u16_e32 vcc, 0, v42
	v_mov_b32_e32 v44, 0
	v_mov_b32_e32 v50, 0
	s_and_saveexec_b64 s[12:13], vcc
	s_cbranch_execz .LBB619_563
; %bb.558:                              ;   in Loop: Header=BB619_215 Depth=1
	v_cmp_ne_u16_e32 vcc, s9, v42
	v_bfrev_b32_e32 v50, 1
	s_and_saveexec_b64 s[14:15], vcc
	s_cbranch_execz .LBB619_562
; %bb.559:                              ;   in Loop: Header=BB619_215 Depth=1
	v_and_b32_e32 v51, 0x7f, v42
	v_cmp_ne_u32_e32 vcc, s19, v51
	v_mov_b32_e32 v50, 0x7f800001
	s_and_saveexec_b64 s[16:17], vcc
	s_cbranch_execz .LBB619_561
; %bb.560:                              ;   in Loop: Header=BB619_215 Depth=1
	v_and_b32_e32 v50, 7, v42
	v_ffbh_u32_e32 v56, v50
	v_min_u32_e32 v59, 32, v56
	v_subrev_u32_e32 v56, 28, v59
	v_lshlrev_b64 v[56:57], v56, v[42:43]
	v_lshrrev_b32_e32 v58, 3, v51
	v_sub_u32_e32 v42, 29, v59
	v_and_b32_e32 v56, 7, v56
	v_cmp_gt_u32_e32 vcc, 8, v51
	v_cndmask_b32_e32 v42, v58, v42, vcc
	v_cndmask_b32_e32 v50, v50, v56, vcc
	v_lshlrev_b32_e32 v51, 16, v40
	v_lshlrev_b32_e32 v50, 20, v50
	v_and_b32_e32 v51, 0x80000000, v51
	v_lshl_add_u32 v42, v42, 23, v55
	v_or3_b32 v50, v51, v42, v50
.LBB619_561:                            ;   in Loop: Header=BB619_215 Depth=1
	s_or_b64 exec, exec, s[16:17]
.LBB619_562:                            ;   in Loop: Header=BB619_215 Depth=1
	s_or_b64 exec, exec, s[14:15]
.LBB619_563:                            ;   in Loop: Header=BB619_215 Depth=1
	s_or_b64 exec, exec, s[12:13]
	v_lshrrev_b32_e32 v42, 16, v40
	v_cmp_ne_u16_sdwa s[14:15], v42, v54 src0_sel:BYTE_0 src1_sel:DWORD
	s_and_saveexec_b64 s[12:13], s[14:15]
	s_cbranch_execz .LBB619_569
; %bb.564:                              ;   in Loop: Header=BB619_215 Depth=1
	v_cmp_ne_u16_sdwa s[16:17], v42, s9 src0_sel:BYTE_0 src1_sel:DWORD
	v_bfrev_b32_e32 v44, 1
	s_and_saveexec_b64 s[14:15], s[16:17]
	s_cbranch_execz .LBB619_568
; %bb.565:                              ;   in Loop: Header=BB619_215 Depth=1
	v_bfe_u32 v51, v40, 16, 7
	v_cmp_ne_u32_e32 vcc, s19, v51
	v_mov_b32_e32 v44, 0x7f800001
	s_and_saveexec_b64 s[16:17], vcc
	s_cbranch_execz .LBB619_567
; %bb.566:                              ;   in Loop: Header=BB619_215 Depth=1
	v_and_b32_e32 v44, 7, v42
	v_ffbh_u32_e32 v56, v44
	v_min_u32_e32 v59, 32, v56
	v_subrev_u32_e32 v56, 28, v59
	v_lshlrev_b64 v[56:57], v56, v[42:43]
	v_lshrrev_b32_e32 v58, 3, v51
	v_sub_u32_e32 v57, 29, v59
	v_and_b32_e32 v56, 7, v56
	v_cmp_gt_u32_e32 vcc, 8, v51
	v_cndmask_b32_e32 v51, v58, v57, vcc
	v_cndmask_b32_e32 v44, v44, v56, vcc
	v_lshlrev_b32_e32 v42, 24, v42
	v_lshlrev_b32_e32 v44, 20, v44
	v_and_b32_e32 v42, 0x80000000, v42
	v_lshl_add_u32 v51, v51, 23, v55
	v_or3_b32 v44, v42, v51, v44
.LBB619_567:                            ;   in Loop: Header=BB619_215 Depth=1
	s_or_b64 exec, exec, s[16:17]
.LBB619_568:                            ;   in Loop: Header=BB619_215 Depth=1
	s_or_b64 exec, exec, s[14:15]
.LBB619_569:                            ;   in Loop: Header=BB619_215 Depth=1
	s_or_b64 exec, exec, s[12:13]
	v_cmp_lt_u32_e32 vcc, s20, v40
	v_mov_b32_e32 v51, 0
	v_mov_b32_e32 v56, 0
	s_and_saveexec_b64 s[12:13], vcc
	s_cbranch_execz .LBB619_575
; %bb.570:                              ;   in Loop: Header=BB619_215 Depth=1
	v_lshrrev_b32_e32 v42, 24, v40
	v_cmp_ne_u32_e32 vcc, s9, v42
	v_bfrev_b32_e32 v56, 1
	s_and_saveexec_b64 s[14:15], vcc
	s_cbranch_execz .LBB619_574
; %bb.571:                              ;   in Loop: Header=BB619_215 Depth=1
	v_bfe_u32 v40, v40, 24, 7
	v_cmp_ne_u32_e32 vcc, s19, v40
	v_mov_b32_e32 v56, 0x7f800001
	s_and_saveexec_b64 s[16:17], vcc
	s_cbranch_execz .LBB619_573
; %bb.572:                              ;   in Loop: Header=BB619_215 Depth=1
	v_and_b32_e32 v58, 7, v42
	v_ffbh_u32_e32 v56, v58
	v_min_u32_e32 v60, 32, v56
	v_subrev_u32_e32 v56, 28, v60
	v_lshlrev_b64 v[56:57], v56, v[42:43]
	v_lshrrev_b32_e32 v59, 3, v40
	v_sub_u32_e32 v57, 29, v60
	v_and_b32_e32 v56, 7, v56
	v_cmp_gt_u32_e32 vcc, 8, v40
	v_cndmask_b32_e32 v40, v59, v57, vcc
	v_cndmask_b32_e32 v56, v58, v56, vcc
	v_lshlrev_b32_e32 v42, 24, v42
	v_lshlrev_b32_e32 v56, 20, v56
	v_and_b32_e32 v42, 0x80000000, v42
	v_lshl_add_u32 v40, v40, 23, v55
	v_or3_b32 v56, v42, v40, v56
.LBB619_573:                            ;   in Loop: Header=BB619_215 Depth=1
	s_or_b64 exec, exec, s[16:17]
.LBB619_574:                            ;   in Loop: Header=BB619_215 Depth=1
	s_or_b64 exec, exec, s[14:15]
.LBB619_575:                            ;   in Loop: Header=BB619_215 Depth=1
	s_or_b64 exec, exec, s[12:13]
	s_waitcnt vmcnt(0)
	v_cmp_ne_u16_sdwa s[14:15], v38, v54 src0_sel:BYTE_0 src1_sel:DWORD
	s_and_saveexec_b64 s[12:13], s[14:15]
	s_cbranch_execz .LBB619_581
; %bb.576:                              ;   in Loop: Header=BB619_215 Depth=1
	v_cmp_ne_u16_sdwa s[16:17], v38, s9 src0_sel:BYTE_0 src1_sel:DWORD
	v_bfrev_b32_e32 v51, 1
	s_and_saveexec_b64 s[14:15], s[16:17]
	s_cbranch_execz .LBB619_580
; %bb.577:                              ;   in Loop: Header=BB619_215 Depth=1
	v_and_b32_e32 v40, 0x7f, v38
	v_cmp_ne_u32_e32 vcc, s19, v40
	v_mov_b32_e32 v51, 0x7f800001
	s_and_saveexec_b64 s[16:17], vcc
	s_cbranch_execz .LBB619_579
; %bb.578:                              ;   in Loop: Header=BB619_215 Depth=1
	v_and_b32_e32 v42, 7, v38
	v_ffbh_u32_e32 v57, v42
	v_min_u32_e32 v57, 32, v57
	v_subrev_u32_e32 v58, 28, v57
	v_lshlrev_b64 v[58:59], v58, v[38:39]
	v_lshrrev_b32_e32 v51, 3, v40
	v_sub_u32_e32 v57, 29, v57
	v_and_b32_e32 v58, 7, v58
	v_cmp_gt_u32_e32 vcc, 8, v40
	v_cndmask_b32_e32 v40, v51, v57, vcc
	v_cndmask_b32_e32 v42, v42, v58, vcc
	v_lshlrev_b32_e32 v51, 24, v38
	v_lshlrev_b32_e32 v42, 20, v42
	v_and_b32_e32 v51, 0x80000000, v51
	v_lshl_add_u32 v40, v40, 23, v55
	v_or3_b32 v51, v51, v40, v42
.LBB619_579:                            ;   in Loop: Header=BB619_215 Depth=1
	s_or_b64 exec, exec, s[16:17]
.LBB619_580:                            ;   in Loop: Header=BB619_215 Depth=1
	s_or_b64 exec, exec, s[14:15]
.LBB619_581:                            ;   in Loop: Header=BB619_215 Depth=1
	s_or_b64 exec, exec, s[12:13]
	v_lshrrev_b16_e32 v40, 8, v38
	v_cmp_ne_u16_e32 vcc, 0, v40
	v_mov_b32_e32 v42, 0
	v_mov_b32_e32 v57, 0
	s_and_saveexec_b64 s[12:13], vcc
	s_cbranch_execz .LBB619_587
; %bb.582:                              ;   in Loop: Header=BB619_215 Depth=1
	v_cmp_ne_u16_e32 vcc, s9, v40
	v_bfrev_b32_e32 v57, 1
	s_and_saveexec_b64 s[14:15], vcc
	s_cbranch_execz .LBB619_586
; %bb.583:                              ;   in Loop: Header=BB619_215 Depth=1
	v_and_b32_e32 v58, 0x7f, v40
	v_cmp_ne_u32_e32 vcc, s19, v58
	v_mov_b32_e32 v57, 0x7f800001
	s_and_saveexec_b64 s[16:17], vcc
	s_cbranch_execz .LBB619_585
; %bb.584:                              ;   in Loop: Header=BB619_215 Depth=1
	v_and_b32_e32 v57, 7, v40
	v_ffbh_u32_e32 v60, v57
	v_min_u32_e32 v62, 32, v60
	v_subrev_u32_e32 v60, 28, v62
	v_lshlrev_b64 v[60:61], v60, v[40:41]
	v_lshrrev_b32_e32 v59, 3, v58
	v_sub_u32_e32 v40, 29, v62
	v_and_b32_e32 v60, 7, v60
	v_cmp_gt_u32_e32 vcc, 8, v58
	v_cndmask_b32_e32 v40, v59, v40, vcc
	v_cndmask_b32_e32 v57, v57, v60, vcc
	v_lshlrev_b32_e32 v58, 16, v38
	v_lshlrev_b32_e32 v57, 20, v57
	v_and_b32_e32 v58, 0x80000000, v58
	v_lshl_add_u32 v40, v40, 23, v55
	v_or3_b32 v57, v58, v40, v57
.LBB619_585:                            ;   in Loop: Header=BB619_215 Depth=1
	s_or_b64 exec, exec, s[16:17]
.LBB619_586:                            ;   in Loop: Header=BB619_215 Depth=1
	s_or_b64 exec, exec, s[14:15]
.LBB619_587:                            ;   in Loop: Header=BB619_215 Depth=1
	s_or_b64 exec, exec, s[12:13]
	v_lshrrev_b32_e32 v40, 16, v38
	v_cmp_ne_u16_sdwa s[14:15], v40, v54 src0_sel:BYTE_0 src1_sel:DWORD
	s_and_saveexec_b64 s[12:13], s[14:15]
	s_cbranch_execz .LBB619_593
; %bb.588:                              ;   in Loop: Header=BB619_215 Depth=1
	v_cmp_ne_u16_sdwa s[16:17], v40, s9 src0_sel:BYTE_0 src1_sel:DWORD
	v_bfrev_b32_e32 v42, 1
	s_and_saveexec_b64 s[14:15], s[16:17]
	s_cbranch_execz .LBB619_592
; %bb.589:                              ;   in Loop: Header=BB619_215 Depth=1
	v_bfe_u32 v58, v38, 16, 7
	v_cmp_ne_u32_e32 vcc, s19, v58
	v_mov_b32_e32 v42, 0x7f800001
	s_and_saveexec_b64 s[16:17], vcc
	s_cbranch_execz .LBB619_591
; %bb.590:                              ;   in Loop: Header=BB619_215 Depth=1
	v_and_b32_e32 v42, 7, v40
	v_ffbh_u32_e32 v60, v42
	v_min_u32_e32 v62, 32, v60
	v_subrev_u32_e32 v60, 28, v62
	v_lshlrev_b64 v[60:61], v60, v[40:41]
	v_lshrrev_b32_e32 v59, 3, v58
	v_sub_u32_e32 v61, 29, v62
	v_and_b32_e32 v60, 7, v60
	v_cmp_gt_u32_e32 vcc, 8, v58
	v_cndmask_b32_e32 v58, v59, v61, vcc
	v_cndmask_b32_e32 v42, v42, v60, vcc
	v_lshlrev_b32_e32 v40, 24, v40
	v_lshlrev_b32_e32 v42, 20, v42
	v_and_b32_e32 v40, 0x80000000, v40
	v_lshl_add_u32 v58, v58, 23, v55
	v_or3_b32 v42, v40, v58, v42
.LBB619_591:                            ;   in Loop: Header=BB619_215 Depth=1
	s_or_b64 exec, exec, s[16:17]
.LBB619_592:                            ;   in Loop: Header=BB619_215 Depth=1
	s_or_b64 exec, exec, s[14:15]
.LBB619_593:                            ;   in Loop: Header=BB619_215 Depth=1
	s_or_b64 exec, exec, s[12:13]
	v_cmp_lt_u32_e32 vcc, s20, v38
	v_mov_b32_e32 v58, 0
	s_and_saveexec_b64 s[12:13], vcc
	s_cbranch_execz .LBB619_214
; %bb.594:                              ;   in Loop: Header=BB619_215 Depth=1
	v_lshrrev_b32_e32 v40, 24, v38
	v_cmp_ne_u32_e32 vcc, s9, v40
	v_bfrev_b32_e32 v58, 1
	s_and_saveexec_b64 s[14:15], vcc
	s_cbranch_execz .LBB619_213
; %bb.595:                              ;   in Loop: Header=BB619_215 Depth=1
	v_bfe_u32 v38, v38, 24, 7
	v_cmp_ne_u32_e32 vcc, s19, v38
	v_mov_b32_e32 v58, 0x7f800001
	s_and_saveexec_b64 s[16:17], vcc
	s_cbranch_execz .LBB619_212
; %bb.596:                              ;   in Loop: Header=BB619_215 Depth=1
	v_and_b32_e32 v60, 7, v40
	v_ffbh_u32_e32 v58, v60
	v_min_u32_e32 v62, 32, v58
	v_subrev_u32_e32 v58, 28, v62
	v_lshlrev_b64 v[58:59], v58, v[40:41]
	v_lshrrev_b32_e32 v61, 3, v38
	v_sub_u32_e32 v59, 29, v62
	v_and_b32_e32 v58, 7, v58
	v_cmp_gt_u32_e32 vcc, 8, v38
	v_cndmask_b32_e32 v38, v61, v59, vcc
	v_cndmask_b32_e32 v58, v60, v58, vcc
	v_lshlrev_b32_e32 v40, 24, v40
	v_lshlrev_b32_e32 v58, 20, v58
	v_and_b32_e32 v40, 0x80000000, v40
	v_lshl_add_u32 v38, v38, 23, v55
	v_or3_b32 v58, v40, v38, v58
	s_branch .LBB619_212
.LBB619_597:
	s_barrier
	buffer_load_dword v2, off, s[0:3], 0 offset:320
	buffer_load_dword v5, off, s[0:3], 0 offset:332
	;; [unrolled: 1-line block ×4, first 2 shown]
	v_cmp_gt_u32_e32 vcc, 64, v0
	s_waitcnt vmcnt(0)
	ds_write2st64_b64 v52, v[2:3], v[4:5] offset1:1
	s_waitcnt lgkmcnt(0)
	s_barrier
	s_and_saveexec_b64 s[4:5], vcc
	s_cbranch_execz .LBB619_600
; %bb.598:
	s_lshl_b32 s4, s48, 7
	s_mul_i32 s5, s18, s8
	s_mul_hi_u32 s9, s5, s4
	s_mul_i32 s8, s5, s4
	s_lshl_b64 s[8:9], s[8:9], 1
	v_lshlrev_b32_e32 v4, 6, v41
	s_add_u32 s5, s50, s8
	v_lshl_or_b32 v0, v0, 10, v4
	s_mov_b32 s7, 0
	s_addc_u32 s8, s51, s9
	s_lshl_b32 s6, s26, 7
	v_lshlrev_b32_e32 v2, 5, v1
	v_and_b32_e32 v3, 16, v43
	v_and_b32_e32 v0, 0x1a00, v0
	s_lshl_b64 s[6:7], s[6:7], 1
	v_or3_b32 v0, v0, v2, v3
	s_add_u32 s5, s5, s6
	ds_read_b128 v[6:9], v0 offset:256
	v_or_b32_e32 v2, 12, v1
	s_addc_u32 s6, s8, s7
	ds_read_b128 v[10:13], v0 offset:128
	ds_read_b128 v[14:17], v0
	v_add_u32_e32 v1, s27, v1
	v_mov_b32_e32 v4, s6
	v_add_co_u32_e32 v3, vcc, s5, v39
	v_mad_u64_u32 v[18:19], s[6:7], v1, s4, 0
	v_addc_co_u32_e32 v4, vcc, 0, v4, vcc
	v_lshlrev_b64 v[18:19], 1, v[18:19]
	v_add_co_u32_e32 v18, vcc, v3, v18
	v_addc_co_u32_e32 v19, vcc, v4, v19, vcc
	v_add_u32_e32 v5, 4, v1
	s_waitcnt lgkmcnt(0)
	global_store_dwordx4 v[18:19], v[14:17], off
	v_add_u32_e32 v1, 8, v1
	v_mad_u64_u32 v[14:15], s[6:7], v5, s4, 0
	v_lshlrev_b64 v[14:15], 1, v[14:15]
	v_add_co_u32_e32 v14, vcc, v3, v14
	v_addc_co_u32_e32 v15, vcc, v4, v15, vcc
	global_store_dwordx4 v[14:15], v[10:13], off
	s_nop 0
	v_mad_u64_u32 v[10:11], s[6:7], v1, s4, 0
	v_lshlrev_b64 v[10:11], 1, v[10:11]
	v_add_co_u32_e32 v10, vcc, v3, v10
	v_addc_co_u32_e32 v11, vcc, v4, v11, vcc
	v_cmp_gt_u32_e32 vcc, 14, v2
	global_store_dwordx4 v[10:11], v[6:9], off
	s_and_b64 exec, exec, vcc
	s_cbranch_execz .LBB619_600
; %bb.599:
	ds_read_b128 v[6:9], v0 offset:384
	v_add_u32_e32 v0, s27, v2
	v_mad_u64_u32 v[0:1], s[4:5], v0, s4, 0
	v_lshlrev_b64 v[0:1], 1, v[0:1]
	v_add_co_u32_e32 v0, vcc, v3, v0
	v_addc_co_u32_e32 v1, vcc, v4, v1, vcc
	s_waitcnt lgkmcnt(0)
	global_store_dwordx4 v[0:1], v[6:9], off
.LBB619_600:
	s_endpgm
	.section	.rodata,"a",@progbits
	.p2align	6, 0x0
	.amdhsa_kernel _Z39paged_attention_ll4mi_QKV_mfma16_kernelIDF16_hLN4vllm18Fp8KVCacheDataTypeE1EDF16_Li16ELi128ELi256ELb1ELi14EL8MFMAType0EEvPKT_PKT0_S8_ifPKiSA_SA_iPKfiiiPfSD_PS3_PT2_iSC_SC_
		.amdhsa_group_segment_fixed_size 8192
		.amdhsa_private_segment_fixed_size 352
		.amdhsa_kernarg_size 400
		.amdhsa_user_sgpr_count 8
		.amdhsa_user_sgpr_private_segment_buffer 1
		.amdhsa_user_sgpr_dispatch_ptr 0
		.amdhsa_user_sgpr_queue_ptr 0
		.amdhsa_user_sgpr_kernarg_segment_ptr 1
		.amdhsa_user_sgpr_dispatch_id 0
		.amdhsa_user_sgpr_flat_scratch_init 1
		.amdhsa_user_sgpr_kernarg_preload_length 0
		.amdhsa_user_sgpr_kernarg_preload_offset 0
		.amdhsa_user_sgpr_private_segment_size 0
		.amdhsa_uses_dynamic_stack 0
		.amdhsa_system_sgpr_private_segment_wavefront_offset 1
		.amdhsa_system_sgpr_workgroup_id_x 1
		.amdhsa_system_sgpr_workgroup_id_y 1
		.amdhsa_system_sgpr_workgroup_id_z 1
		.amdhsa_system_sgpr_workgroup_info 0
		.amdhsa_system_vgpr_workitem_id 0
		.amdhsa_next_free_vgpr 80
		.amdhsa_next_free_sgpr 53
		.amdhsa_accum_offset 80
		.amdhsa_reserve_vcc 1
		.amdhsa_reserve_flat_scratch 0
		.amdhsa_float_round_mode_32 0
		.amdhsa_float_round_mode_16_64 0
		.amdhsa_float_denorm_mode_32 3
		.amdhsa_float_denorm_mode_16_64 3
		.amdhsa_dx10_clamp 1
		.amdhsa_ieee_mode 1
		.amdhsa_fp16_overflow 0
		.amdhsa_tg_split 0
		.amdhsa_exception_fp_ieee_invalid_op 0
		.amdhsa_exception_fp_denorm_src 0
		.amdhsa_exception_fp_ieee_div_zero 0
		.amdhsa_exception_fp_ieee_overflow 0
		.amdhsa_exception_fp_ieee_underflow 0
		.amdhsa_exception_fp_ieee_inexact 0
		.amdhsa_exception_int_div_zero 0
	.end_amdhsa_kernel
	.section	.text._Z39paged_attention_ll4mi_QKV_mfma16_kernelIDF16_hLN4vllm18Fp8KVCacheDataTypeE1EDF16_Li16ELi128ELi256ELb1ELi14EL8MFMAType0EEvPKT_PKT0_S8_ifPKiSA_SA_iPKfiiiPfSD_PS3_PT2_iSC_SC_,"axG",@progbits,_Z39paged_attention_ll4mi_QKV_mfma16_kernelIDF16_hLN4vllm18Fp8KVCacheDataTypeE1EDF16_Li16ELi128ELi256ELb1ELi14EL8MFMAType0EEvPKT_PKT0_S8_ifPKiSA_SA_iPKfiiiPfSD_PS3_PT2_iSC_SC_,comdat
.Lfunc_end619:
	.size	_Z39paged_attention_ll4mi_QKV_mfma16_kernelIDF16_hLN4vllm18Fp8KVCacheDataTypeE1EDF16_Li16ELi128ELi256ELb1ELi14EL8MFMAType0EEvPKT_PKT0_S8_ifPKiSA_SA_iPKfiiiPfSD_PS3_PT2_iSC_SC_, .Lfunc_end619-_Z39paged_attention_ll4mi_QKV_mfma16_kernelIDF16_hLN4vllm18Fp8KVCacheDataTypeE1EDF16_Li16ELi128ELi256ELb1ELi14EL8MFMAType0EEvPKT_PKT0_S8_ifPKiSA_SA_iPKfiiiPfSD_PS3_PT2_iSC_SC_
                                        ; -- End function
	.section	.AMDGPU.csdata,"",@progbits
; Kernel info:
; codeLenInByte = 21500
; NumSgprs: 57
; NumVgprs: 80
; NumAgprs: 0
; TotalNumVgprs: 80
; ScratchSize: 352
; MemoryBound: 0
; FloatMode: 240
; IeeeMode: 1
; LDSByteSize: 8192 bytes/workgroup (compile time only)
; SGPRBlocks: 7
; VGPRBlocks: 9
; NumSGPRsForWavesPerEU: 57
; NumVGPRsForWavesPerEU: 80
; AccumOffset: 80
; Occupancy: 6
; WaveLimiterHint : 1
; COMPUTE_PGM_RSRC2:SCRATCH_EN: 1
; COMPUTE_PGM_RSRC2:USER_SGPR: 8
; COMPUTE_PGM_RSRC2:TRAP_HANDLER: 0
; COMPUTE_PGM_RSRC2:TGID_X_EN: 1
; COMPUTE_PGM_RSRC2:TGID_Y_EN: 1
; COMPUTE_PGM_RSRC2:TGID_Z_EN: 1
; COMPUTE_PGM_RSRC2:TIDIG_COMP_CNT: 0
; COMPUTE_PGM_RSRC3_GFX90A:ACCUM_OFFSET: 19
; COMPUTE_PGM_RSRC3_GFX90A:TG_SPLIT: 0
	.section	.text._Z39paged_attention_ll4mi_QKV_mfma16_kernelIDF16_hLN4vllm18Fp8KVCacheDataTypeE1EDF16_Li16ELi128ELi256ELb1ELi15EL8MFMAType0EEvPKT_PKT0_S8_ifPKiSA_SA_iPKfiiiPfSD_PS3_PT2_iSC_SC_,"axG",@progbits,_Z39paged_attention_ll4mi_QKV_mfma16_kernelIDF16_hLN4vllm18Fp8KVCacheDataTypeE1EDF16_Li16ELi128ELi256ELb1ELi15EL8MFMAType0EEvPKT_PKT0_S8_ifPKiSA_SA_iPKfiiiPfSD_PS3_PT2_iSC_SC_,comdat
	.protected	_Z39paged_attention_ll4mi_QKV_mfma16_kernelIDF16_hLN4vllm18Fp8KVCacheDataTypeE1EDF16_Li16ELi128ELi256ELb1ELi15EL8MFMAType0EEvPKT_PKT0_S8_ifPKiSA_SA_iPKfiiiPfSD_PS3_PT2_iSC_SC_ ; -- Begin function _Z39paged_attention_ll4mi_QKV_mfma16_kernelIDF16_hLN4vllm18Fp8KVCacheDataTypeE1EDF16_Li16ELi128ELi256ELb1ELi15EL8MFMAType0EEvPKT_PKT0_S8_ifPKiSA_SA_iPKfiiiPfSD_PS3_PT2_iSC_SC_
	.globl	_Z39paged_attention_ll4mi_QKV_mfma16_kernelIDF16_hLN4vllm18Fp8KVCacheDataTypeE1EDF16_Li16ELi128ELi256ELb1ELi15EL8MFMAType0EEvPKT_PKT0_S8_ifPKiSA_SA_iPKfiiiPfSD_PS3_PT2_iSC_SC_
	.p2align	8
	.type	_Z39paged_attention_ll4mi_QKV_mfma16_kernelIDF16_hLN4vllm18Fp8KVCacheDataTypeE1EDF16_Li16ELi128ELi256ELb1ELi15EL8MFMAType0EEvPKT_PKT0_S8_ifPKiSA_SA_iPKfiiiPfSD_PS3_PT2_iSC_SC_,@function
_Z39paged_attention_ll4mi_QKV_mfma16_kernelIDF16_hLN4vllm18Fp8KVCacheDataTypeE1EDF16_Li16ELi128ELi256ELb1ELi15EL8MFMAType0EEvPKT_PKT0_S8_ifPKiSA_SA_iPKfiiiPfSD_PS3_PT2_iSC_SC_: ; @_Z39paged_attention_ll4mi_QKV_mfma16_kernelIDF16_hLN4vllm18Fp8KVCacheDataTypeE1EDF16_Li16ELi128ELi256ELb1ELi15EL8MFMAType0EEvPKT_PKT0_S8_ifPKiSA_SA_iPKfiiiPfSD_PS3_PT2_iSC_SC_
; %bb.0:
	s_load_dwordx2 s[6:7], s[4:5], 0x30
	s_add_u32 s0, s0, s11
	s_addc_u32 s1, s1, 0
	s_mov_b32 s26, s9
	s_mov_b64 s[14:15], 0
	s_waitcnt lgkmcnt(0)
	s_cmp_lg_u64 s[6:7], 0
	s_cselect_b64 s[12:13], -1, 0
	s_and_b64 vcc, exec, s[12:13]
	s_cbranch_vccz .LBB620_7
; %bb.1:
	s_add_i32 s16, s8, 1
	s_mov_b32 s17, 0
	s_lshl_b64 s[18:19], s[16:17], 2
	s_add_u32 s18, s6, s18
	s_mov_b32 s9, s17
	s_addc_u32 s19, s7, s19
	s_lshl_b64 s[16:17], s[8:9], 2
	s_add_u32 s16, s6, s16
	s_addc_u32 s17, s7, s17
	s_load_dword s11, s[18:19], 0x0
	s_load_dword s20, s[16:17], 0x0
	s_waitcnt lgkmcnt(0)
	s_sub_i32 s11, s11, s20
	s_cmp_eq_u32 s11, 1
	s_cselect_b64 s[16:17], -1, 0
	s_andn2_b64 vcc, exec, s[14:15]
	s_cbranch_vccnz .LBB620_3
.LBB620_2:
	s_mov_b32 s9, 0
	s_mov_b64 s[16:17], -1
.LBB620_3:
	s_andn2_b64 vcc, exec, s[16:17]
	s_cbranch_vccnz .LBB620_600
; %bb.4:
	s_load_dwordx2 s[16:17], s[4:5], 0x28
	s_lshl_b64 s[14:15], s[8:9], 2
	s_waitcnt lgkmcnt(0)
	s_add_u32 s16, s16, s14
	s_addc_u32 s17, s17, s15
	s_load_dword s33, s[16:17], 0x0
	s_lshl_b32 s20, s26, 8
	s_waitcnt lgkmcnt(0)
	s_cmp_ge_i32 s20, s33
	s_cbranch_scc1 .LBB620_600
; %bb.5:
	s_add_i32 s18, s33, 15
	s_load_dwordx2 s[16:17], s[4:5], 0x20
	s_load_dword s11, s[4:5], 0x38
	s_ashr_i32 s19, s18, 31
	v_and_b32_e32 v1, 0xcf, v0
	s_lshr_b32 s19, s19, 28
	v_add_u32_e32 v1, s20, v1
	s_add_i32 s18, s18, s19
	v_ashrrev_i32_e32 v2, 31, v1
	s_ashr_i32 s23, s18, 4
	v_lshrrev_b32_e32 v4, 28, v2
	s_add_i32 s23, s23, -1
	v_add_u32_e32 v2, v1, v4
	s_waitcnt lgkmcnt(0)
	s_mul_i32 s18, s8, s11
	s_mov_b32 s19, 0
	v_ashrrev_i32_e32 v2, 4, v2
	v_mov_b32_e32 v5, s23
	v_cmp_gt_i32_e32 vcc, s33, v1
	s_lshl_b64 s[18:19], s[18:19], 2
	v_cndmask_b32_e32 v2, v5, v2, vcc
	s_add_u32 s21, s16, s18
	v_ashrrev_i32_e32 v3, 31, v2
	s_addc_u32 s22, s17, s19
	v_lshlrev_b64 v[2:3], 2, v[2:3]
	v_mov_b32_e32 v7, s22
	v_add_co_u32_e32 v6, vcc, s21, v2
	v_or_b32_e32 v2, 16, v1
	v_addc_co_u32_e32 v7, vcc, v7, v3, vcc
	v_add_u32_e32 v3, v2, v4
	v_ashrrev_i32_e32 v3, 4, v3
	v_cmp_gt_i32_e32 vcc, s33, v2
	v_cndmask_b32_e32 v2, v5, v3, vcc
	v_ashrrev_i32_e32 v3, 31, v2
	v_lshlrev_b64 v[2:3], 2, v[2:3]
	v_mov_b32_e32 v9, s22
	v_add_co_u32_e32 v8, vcc, s21, v2
	v_or_b32_e32 v2, 32, v1
	v_addc_co_u32_e32 v9, vcc, v9, v3, vcc
	v_add_u32_e32 v3, v2, v4
	v_ashrrev_i32_e32 v3, 4, v3
	v_cmp_gt_i32_e32 vcc, s33, v2
	v_cndmask_b32_e32 v2, v5, v3, vcc
	v_ashrrev_i32_e32 v3, 31, v2
	;; [unrolled: 10-line block ×3, first 2 shown]
	v_lshlrev_b64 v[2:3], 2, v[2:3]
	v_mov_b32_e32 v1, s22
	v_add_co_u32_e32 v12, vcc, s21, v2
	v_addc_co_u32_e32 v13, vcc, v1, v3, vcc
	global_load_dword v5, v[6:7], off
	global_load_dword v4, v[8:9], off
	;; [unrolled: 1-line block ×4, first 2 shown]
	s_load_dwordx2 s[16:17], s[4:5], 0x8
	s_andn2_b64 vcc, exec, s[12:13]
	s_cbranch_vccnz .LBB620_8
; %bb.6:
	s_add_u32 s6, s6, s14
	s_addc_u32 s7, s7, s15
	s_load_dword s11, s[6:7], 0x0
	s_branch .LBB620_9
.LBB620_7:
	s_mov_b64 s[16:17], 0
	s_branch .LBB620_2
.LBB620_8:
	s_mov_b32 s11, s8
.LBB620_9:
	s_load_dwordx2 s[6:7], s[4:5], 0x10
	s_load_dwordx4 s[12:15], s[4:5], 0x48
	v_lshrrev_b32_e32 v27, 6, v0
	v_bfe_u32 v1, v0, 4, 2
	v_and_b32_e32 v41, 15, v0
	v_lshl_or_b32 v6, v27, 2, v1
	v_lshlrev_b32_e32 v7, 3, v41
	s_mul_i32 s27, s10, 15
	v_cmp_gt_u32_e32 vcc, 15, v6
	v_lshlrev_b32_e32 v39, 1, v7
	v_lshlrev_b32_e32 v43, 4, v0
	s_and_saveexec_b64 s[18:19], vcc
	s_cbranch_execz .LBB620_11
; %bb.10:
	s_load_dwordx2 s[24:25], s[4:5], 0x0
	s_waitcnt lgkmcnt(0)
	s_ashr_i32 s15, s12, 31
	s_mul_hi_u32 s28, s11, s12
	s_mul_i32 s15, s11, s15
	s_add_i32 s29, s28, s15
	s_mul_i32 s28, s11, s12
	s_lshl_b64 s[28:29], s[28:29], 1
	v_add_lshl_u32 v8, v6, s27, 7
	s_add_u32 s11, s24, s28
	v_ashrrev_i32_e32 v9, 31, v8
	s_addc_u32 s12, s25, s29
	v_lshlrev_b64 v[8:9], 1, v[8:9]
	v_mov_b32_e32 v7, s12
	v_add_co_u32_e32 v8, vcc, s11, v8
	v_addc_co_u32_e32 v7, vcc, v7, v9, vcc
	v_add_co_u32_e32 v8, vcc, v8, v39
	v_addc_co_u32_e32 v9, vcc, 0, v7, vcc
	global_load_dwordx4 v[8:11], v[8:9], off
	v_lshlrev_b32_e32 v12, 8, v0
	v_lshlrev_b32_e32 v7, 8, v41
	v_and_b32_e32 v12, 0x600, v12
	s_movk_i32 s11, 0x800
	v_and_or_b32 v7, v7, s11, v12
	v_lshlrev_b32_e32 v6, 5, v6
	v_and_b32_e32 v12, 16, v43
	v_or3_b32 v6, v7, v6, v12
	s_waitcnt vmcnt(0)
	ds_write_b128 v6, v[8:11]
.LBB620_11:
	s_or_b64 exec, exec, s[18:19]
	s_waitcnt lgkmcnt(0)
	s_mul_i32 s14, s10, s14
	s_add_u32 s10, s16, s14
	s_addc_u32 s11, s17, 0
	v_and_b32_e32 v6, 0xf0, v43
	v_mov_b32_e32 v7, s11
	v_add_co_u32_e32 v6, vcc, s10, v6
	v_and_b32_e32 v18, 48, v0
	v_addc_co_u32_e32 v7, vcc, 0, v7, vcc
	v_lshlrev_b32_e32 v10, 4, v18
	s_waitcnt vmcnt(3)
	v_mad_i64_i32 v[8:9], s[10:11], v5, s13, v[6:7]
	v_add_co_u32_e32 v8, vcc, v8, v10
	v_addc_co_u32_e32 v9, vcc, 0, v9, vcc
	s_waitcnt vmcnt(2)
	v_mad_i64_i32 v[4:5], s[10:11], v4, s13, v[6:7]
	v_add_co_u32_e32 v4, vcc, v4, v10
	v_addc_co_u32_e32 v5, vcc, 0, v5, vcc
	s_load_dwordx2 s[48:49], s[4:5], 0x94
	s_waitcnt lgkmcnt(0)
	s_barrier
	global_load_dwordx4 v[20:23], v[8:9], off
	global_load_dwordx4 v[28:31], v[8:9], off offset:1024
	global_load_dwordx4 v[32:35], v[4:5], off
	global_load_dwordx4 v[44:47], v[4:5], off offset:1024
	s_waitcnt vmcnt(5)
	v_mad_i64_i32 v[4:5], s[10:11], v3, s13, v[6:7]
	v_add_co_u32_e32 v4, vcc, v4, v10
	v_addc_co_u32_e32 v5, vcc, 0, v5, vcc
	s_waitcnt vmcnt(4)
	v_mad_i64_i32 v[2:3], s[10:11], v2, s13, v[6:7]
	v_add_co_u32_e32 v2, vcc, v2, v10
	v_addc_co_u32_e32 v3, vcc, 0, v3, vcc
	global_load_dwordx4 v[48:51], v[4:5], off
	global_load_dwordx4 v[52:55], v[4:5], off offset:1024
	global_load_dwordx4 v[56:59], v[2:3], off
	global_load_dwordx4 v[60:63], v[2:3], off offset:1024
	v_cmp_ne_u32_e32 vcc, 15, v41
	v_cndmask_b32_e32 v2, 0, v41, vcc
	v_lshlrev_b32_e32 v2, 5, v2
	v_lshl_or_b32 v14, v1, 9, v2
	s_load_dwordx2 s[50:51], s[4:5], 0x68
	s_load_dwordx4 s[44:47], s[4:5], 0x58
	ds_read_b128 v[2:5], v14
	ds_read_b128 v[6:9], v14 offset:16
	ds_read_b128 v[10:13], v14 offset:2048
	;; [unrolled: 1-line block ×3, first 2 shown]
	s_mov_b32 s12, 0
	s_waitcnt vmcnt(7)
	buffer_store_dword v23, off, s[0:3], 0 offset:12
	buffer_store_dword v22, off, s[0:3], 0 offset:8
	;; [unrolled: 1-line block ×3, first 2 shown]
	buffer_store_dword v20, off, s[0:3], 0
	s_waitcnt vmcnt(10)
	buffer_store_dword v31, off, s[0:3], 0 offset:28
	buffer_store_dword v30, off, s[0:3], 0 offset:24
	buffer_store_dword v29, off, s[0:3], 0 offset:20
	buffer_store_dword v28, off, s[0:3], 0 offset:16
	s_waitcnt vmcnt(13)
	buffer_store_dword v35, off, s[0:3], 0 offset:44
	buffer_store_dword v34, off, s[0:3], 0 offset:40
	buffer_store_dword v33, off, s[0:3], 0 offset:36
	buffer_store_dword v32, off, s[0:3], 0 offset:32
	;; [unrolled: 5-line block ×7, first 2 shown]
	v_mov_b32_e32 v35, 0
	v_mov_b32_e32 v31, 0
	s_and_saveexec_b64 s[10:11], vcc
	s_cbranch_execz .LBB620_13
; %bb.12:
	s_load_dwordx2 s[16:17], s[4:5], 0x40
	v_add_u32_e32 v20, s27, v41
	v_ashrrev_i32_e32 v21, 31, v20
	v_lshlrev_b64 v[20:21], 2, v[20:21]
	s_waitcnt lgkmcnt(0)
	v_mov_b32_e32 v19, s17
	v_add_co_u32_e32 v20, vcc, s16, v20
	v_addc_co_u32_e32 v21, vcc, v19, v21, vcc
	global_load_dword v31, v[20:21], off
.LBB620_13:
	s_or_b64 exec, exec, s[10:11]
	v_or_b32_e32 v22, s20, v18
	v_ashrrev_i32_e32 v18, 4, v22
	v_mov_b32_e32 v23, s23
	v_cmp_gt_i32_e32 vcc, s33, v22
	v_cndmask_b32_e32 v18, v23, v18, vcc
	v_ashrrev_i32_e32 v19, 31, v18
	v_lshlrev_b64 v[18:19], 2, v[18:19]
	v_mov_b32_e32 v20, s22
	v_add_co_u32_e32 v18, vcc, s21, v18
	v_addc_co_u32_e32 v19, vcc, v20, v19, vcc
	global_load_dword v26, v[18:19], off
	v_or_b32_e32 v18, 64, v22
	v_ashrrev_i32_e32 v19, 4, v18
	v_cmp_gt_i32_e32 vcc, s33, v18
	v_cndmask_b32_e32 v18, v23, v19, vcc
	v_ashrrev_i32_e32 v19, 31, v18
	v_lshlrev_b64 v[18:19], 2, v[18:19]
	v_add_co_u32_e32 v18, vcc, s21, v18
	v_addc_co_u32_e32 v19, vcc, v20, v19, vcc
	v_or_b32_e32 v20, 0x80, v22
	v_ashrrev_i32_e32 v21, 4, v20
	v_cmp_gt_i32_e32 vcc, s33, v20
	v_cndmask_b32_e32 v20, v23, v21, vcc
	v_ashrrev_i32_e32 v21, 31, v20
	v_lshlrev_b64 v[20:21], 2, v[20:21]
	v_mov_b32_e32 v24, s22
	v_add_co_u32_e32 v20, vcc, s21, v20
	v_addc_co_u32_e32 v21, vcc, v24, v21, vcc
	global_load_dword v28, v[18:19], off
	global_load_dword v30, v[20:21], off
	v_or_b32_e32 v18, 0xc0, v22
	v_ashrrev_i32_e32 v19, 4, v18
	v_cmp_gt_i32_e32 vcc, s33, v18
	v_cndmask_b32_e32 v18, v23, v19, vcc
	v_ashrrev_i32_e32 v19, 31, v18
	v_lshlrev_b64 v[18:19], 2, v[18:19]
	v_mov_b32_e32 v20, s22
	v_add_co_u32_e32 v18, vcc, s21, v18
	v_addc_co_u32_e32 v19, vcc, v20, v19, vcc
	global_load_dword v34, v[18:19], off
	s_add_u32 s10, s6, s14
	v_lshl_or_b32 v29, v27, 4, v41
	s_addc_u32 s6, s7, 0
	v_lshlrev_b32_e32 v18, 4, v29
	v_mov_b32_e32 v19, s6
	v_add_co_u32_e32 v22, vcc, s10, v18
	v_addc_co_u32_e32 v23, vcc, 0, v19, vcc
	v_or_b32_e32 v24, 0x400, v18
	v_mov_b32_e32 v25, s6
	v_add_co_u32_e32 v24, vcc, s10, v24
	v_addc_co_u32_e32 v25, vcc, 0, v25, vcc
	v_mov_b32_e32 v36, 0
	s_movk_i32 s14, 0x7f
	s_mov_b32 s15, 0xffffff
	v_mov_b32_e32 v37, 0x100
	v_bfrev_b32_e32 v38, 60
	s_waitcnt vmcnt(3)
	v_mad_i64_i32 v[18:19], s[6:7], v26, s13, v[22:23]
	global_load_dwordx4 v[18:21], v[18:19], off
	v_mad_i64_i32 v[32:33], s[6:7], v26, s13, v[24:25]
	global_load_dwordx4 v[52:55], v[32:33], off
	s_waitcnt vmcnt(4)
	v_mad_i64_i32 v[32:33], s[6:7], v28, s13, v[22:23]
	global_load_dwordx4 v[56:59], v[32:33], off
	s_waitcnt vmcnt(4)
	;; [unrolled: 3-line block ×3, first 2 shown]
	v_mad_i64_i32 v[22:23], s[6:7], v34, s13, v[22:23]
	global_load_dwordx4 v[64:67], v[22:23], off
	v_mad_i64_i32 v[22:23], s[6:7], v28, s13, v[24:25]
	global_load_dwordx4 v[68:71], v[22:23], off
	;; [unrolled: 2-line block ×4, first 2 shown]
	s_load_dword s6, s[4:5], 0x1c
	s_load_dwordx4 s[40:43], s[4:5], 0x80
	v_mov_b32_e32 v22, 0x80
	v_add_u32_e32 v45, 16, v22
	v_add_u32_e32 v46, 32, v22
	v_add_u32_e32 v47, 48, v22
	s_waitcnt lgkmcnt(0)
	s_load_dword s4, s[40:41], 0x0
	v_add_u32_e32 v51, 64, v22
	v_add_u32_e32 v48, 0x50, v22
	;; [unrolled: 1-line block ×4, first 2 shown]
	v_mov_b32_e32 v22, s6
	s_waitcnt lgkmcnt(0)
	v_mul_f32_e32 v22, s4, v22
	v_and_b32_e32 v33, 63, v0
	s_movk_i32 s13, 0x80
	v_mov_b32_e32 v24, v22
	v_mov_b32_e32 v25, v22
	s_waitcnt vmcnt(7)
	buffer_store_dword v21, off, s[0:3], 0 offset:140
	buffer_store_dword v20, off, s[0:3], 0 offset:136
	buffer_store_dword v19, off, s[0:3], 0 offset:132
	buffer_store_dword v18, off, s[0:3], 0 offset:128
	s_waitcnt vmcnt(10)
	buffer_store_dword v55, off, s[0:3], 0 offset:156
	buffer_store_dword v54, off, s[0:3], 0 offset:152
	buffer_store_dword v53, off, s[0:3], 0 offset:148
	buffer_store_dword v52, off, s[0:3], 0 offset:144
	;; [unrolled: 5-line block ×8, first 2 shown]
	s_branch .LBB620_17
.LBB620_14:                             ;   in Loop: Header=BB620_17 Depth=1
	s_or_b64 exec, exec, s[10:11]
.LBB620_15:                             ;   in Loop: Header=BB620_17 Depth=1
	s_or_b64 exec, exec, s[6:7]
.LBB620_16:                             ;   in Loop: Header=BB620_17 Depth=1
	s_or_b64 exec, exec, s[4:5]
	v_cvt_pkrtz_f16_f32 v54, v34, v32
	v_cvt_pkrtz_f16_f32 v55, v23, v42
	v_add_u32_e32 v26, s12, v37
	s_add_i32 s12, s12, 16
	v_mov_b32_e32 v23, v22
	v_mfma_f32_16x16x16f16 v[18:21], v[54:55], v[14:15], v[18:21]
	v_cvt_pkrtz_f16_f32 v54, v40, v44
	v_cvt_pkrtz_f16_f32 v55, v30, v52
	s_cmp_eq_u32 s12, 64
	v_add_u32_e32 v36, 32, v36
	v_mfma_f32_16x16x16f16 v[18:21], v[54:55], v[16:17], v[18:21]
	s_nop 7
	s_nop 2
	v_pk_mul_f32 v[18:19], v[24:25], v[18:19]
	v_pk_mul_f32 v[20:21], v[22:23], v[20:21]
	buffer_store_dword v19, v26, s[0:3], 0 offen offset:4
	buffer_store_dword v18, v26, s[0:3], 0 offen
	buffer_store_dword v21, v26, s[0:3], 0 offen offset:12
	buffer_store_dword v20, v26, s[0:3], 0 offen offset:8
	s_cbranch_scc1 .LBB620_207
.LBB620_17:                             ; =>This Inner Loop Header: Depth=1
	buffer_load_dword v20, v36, s[0:3], 0 offen
	buffer_load_dword v18, v36, s[0:3], 0 offen offset:4
	buffer_load_dword v28, v36, s[0:3], 0 offen offset:8
	;; [unrolled: 1-line block ×3, first 2 shown]
	v_mov_b32_e32 v19, 0
	v_mov_b32_e32 v21, 0
	s_waitcnt vmcnt(3)
	v_cmp_ne_u16_sdwa s[6:7], v20, v35 src0_sel:BYTE_0 src1_sel:DWORD
	s_and_saveexec_b64 s[4:5], s[6:7]
	s_cbranch_execz .LBB620_23
; %bb.18:                               ;   in Loop: Header=BB620_17 Depth=1
	v_cmp_ne_u16_sdwa s[10:11], v20, s13 src0_sel:BYTE_0 src1_sel:DWORD
	v_bfrev_b32_e32 v21, 1
	s_and_saveexec_b64 s[6:7], s[10:11]
	s_cbranch_execz .LBB620_22
; %bb.19:                               ;   in Loop: Header=BB620_17 Depth=1
	v_and_b32_e32 v23, 0x7f, v20
	v_cmp_ne_u32_e32 vcc, s14, v23
	v_mov_b32_e32 v21, 0x7f800001
	s_and_saveexec_b64 s[10:11], vcc
	s_cbranch_execz .LBB620_21
; %bb.20:                               ;   in Loop: Header=BB620_17 Depth=1
	v_and_b32_e32 v21, 7, v20
	v_ffbh_u32_e32 v32, v21
	v_min_u32_e32 v32, 32, v32
	v_subrev_u32_e32 v34, 28, v32
	v_lshlrev_b64 v[52:53], v34, v[20:21]
	v_lshrrev_b32_e32 v30, 3, v23
	v_sub_u32_e32 v32, 29, v32
	v_and_b32_e32 v34, 7, v52
	v_cmp_gt_u32_e32 vcc, 8, v23
	v_cndmask_b32_e32 v23, v30, v32, vcc
	v_cndmask_b32_e32 v21, v21, v34, vcc
	v_lshlrev_b32_e32 v30, 24, v20
	v_lshlrev_b32_e32 v21, 20, v21
	v_and_b32_e32 v30, 0x80000000, v30
	v_lshl_add_u32 v23, v23, 23, v38
	v_or3_b32 v21, v30, v23, v21
.LBB620_21:                             ;   in Loop: Header=BB620_17 Depth=1
	s_or_b64 exec, exec, s[10:11]
.LBB620_22:                             ;   in Loop: Header=BB620_17 Depth=1
	s_or_b64 exec, exec, s[6:7]
.LBB620_23:                             ;   in Loop: Header=BB620_17 Depth=1
	s_or_b64 exec, exec, s[4:5]
	v_lshrrev_b16_e32 v30, 8, v20
	v_cmp_ne_u16_e32 vcc, 0, v30
	s_and_saveexec_b64 s[4:5], vcc
	s_cbranch_execz .LBB620_29
; %bb.24:                               ;   in Loop: Header=BB620_17 Depth=1
	v_cmp_ne_u16_e32 vcc, s13, v30
	v_bfrev_b32_e32 v19, 1
	s_and_saveexec_b64 s[6:7], vcc
	s_cbranch_execz .LBB620_28
; %bb.25:                               ;   in Loop: Header=BB620_17 Depth=1
	v_and_b32_e32 v23, 0x7f, v30
	v_cmp_ne_u32_e32 vcc, s14, v23
	v_mov_b32_e32 v19, 0x7f800001
	s_and_saveexec_b64 s[10:11], vcc
	s_cbranch_execz .LBB620_27
; %bb.26:                               ;   in Loop: Header=BB620_17 Depth=1
	v_and_b32_e32 v19, 7, v30
	v_ffbh_u32_e32 v34, v19
	v_min_u32_e32 v34, 32, v34
	v_subrev_u32_e32 v40, 28, v34
	v_lshlrev_b64 v[52:53], v40, v[30:31]
	v_lshrrev_b32_e32 v32, 3, v23
	v_sub_u32_e32 v30, 29, v34
	v_and_b32_e32 v34, 7, v52
	v_cmp_gt_u32_e32 vcc, 8, v23
	v_cndmask_b32_e32 v23, v32, v30, vcc
	v_cndmask_b32_e32 v19, v19, v34, vcc
	v_lshlrev_b32_e32 v30, 16, v20
	v_lshlrev_b32_e32 v19, 20, v19
	v_and_b32_e32 v30, 0x80000000, v30
	v_lshl_add_u32 v23, v23, 23, v38
	v_or3_b32 v19, v30, v23, v19
.LBB620_27:                             ;   in Loop: Header=BB620_17 Depth=1
	s_or_b64 exec, exec, s[10:11]
.LBB620_28:                             ;   in Loop: Header=BB620_17 Depth=1
	s_or_b64 exec, exec, s[6:7]
.LBB620_29:                             ;   in Loop: Header=BB620_17 Depth=1
	s_or_b64 exec, exec, s[4:5]
	v_lshrrev_b32_e32 v30, 16, v20
	v_cmp_ne_u16_sdwa s[6:7], v30, v35 src0_sel:BYTE_0 src1_sel:DWORD
	v_mov_b32_e32 v32, 0
	v_mov_b32_e32 v23, 0
	s_and_saveexec_b64 s[4:5], s[6:7]
	s_cbranch_execz .LBB620_35
; %bb.30:                               ;   in Loop: Header=BB620_17 Depth=1
	v_cmp_ne_u16_sdwa s[10:11], v30, s13 src0_sel:BYTE_0 src1_sel:DWORD
	v_bfrev_b32_e32 v23, 1
	s_and_saveexec_b64 s[6:7], s[10:11]
	s_cbranch_execz .LBB620_34
; %bb.31:                               ;   in Loop: Header=BB620_17 Depth=1
	v_bfe_u32 v34, v20, 16, 7
	v_cmp_ne_u32_e32 vcc, s14, v34
	v_mov_b32_e32 v23, 0x7f800001
	s_and_saveexec_b64 s[10:11], vcc
	s_cbranch_execz .LBB620_33
; %bb.32:                               ;   in Loop: Header=BB620_17 Depth=1
	v_and_b32_e32 v23, 7, v30
	v_ffbh_u32_e32 v42, v23
	v_min_u32_e32 v42, 32, v42
	v_subrev_u32_e32 v44, 28, v42
	v_lshlrev_b64 v[52:53], v44, v[30:31]
	v_lshrrev_b32_e32 v40, 3, v34
	v_sub_u32_e32 v42, 29, v42
	v_and_b32_e32 v44, 7, v52
	v_cmp_gt_u32_e32 vcc, 8, v34
	v_cndmask_b32_e32 v34, v40, v42, vcc
	v_cndmask_b32_e32 v23, v23, v44, vcc
	v_lshlrev_b32_e32 v30, 24, v30
	v_lshlrev_b32_e32 v23, 20, v23
	v_and_b32_e32 v30, 0x80000000, v30
	v_lshl_add_u32 v34, v34, 23, v38
	v_or3_b32 v23, v30, v34, v23
.LBB620_33:                             ;   in Loop: Header=BB620_17 Depth=1
	s_or_b64 exec, exec, s[10:11]
.LBB620_34:                             ;   in Loop: Header=BB620_17 Depth=1
	s_or_b64 exec, exec, s[6:7]
.LBB620_35:                             ;   in Loop: Header=BB620_17 Depth=1
	s_or_b64 exec, exec, s[4:5]
	v_cmp_lt_u32_e32 vcc, s15, v20
	s_and_saveexec_b64 s[4:5], vcc
	s_cbranch_execz .LBB620_41
; %bb.36:                               ;   in Loop: Header=BB620_17 Depth=1
	v_lshrrev_b32_e32 v30, 24, v20
	v_cmp_ne_u32_e32 vcc, s13, v30
	v_bfrev_b32_e32 v32, 1
	s_and_saveexec_b64 s[6:7], vcc
	s_cbranch_execz .LBB620_40
; %bb.37:                               ;   in Loop: Header=BB620_17 Depth=1
	v_bfe_u32 v20, v20, 24, 7
	v_cmp_ne_u32_e32 vcc, s14, v20
	v_mov_b32_e32 v32, 0x7f800001
	s_and_saveexec_b64 s[10:11], vcc
	s_cbranch_execz .LBB620_39
; %bb.38:                               ;   in Loop: Header=BB620_17 Depth=1
	v_and_b32_e32 v32, 7, v30
	v_ffbh_u32_e32 v40, v32
	v_min_u32_e32 v40, 32, v40
	v_subrev_u32_e32 v42, 28, v40
	v_lshlrev_b64 v[52:53], v42, v[30:31]
	v_lshrrev_b32_e32 v34, 3, v20
	v_sub_u32_e32 v40, 29, v40
	v_and_b32_e32 v42, 7, v52
	v_cmp_gt_u32_e32 vcc, 8, v20
	v_cndmask_b32_e32 v20, v34, v40, vcc
	v_cndmask_b32_e32 v32, v32, v42, vcc
	v_lshlrev_b32_e32 v30, 24, v30
	v_lshlrev_b32_e32 v32, 20, v32
	v_and_b32_e32 v30, 0x80000000, v30
	v_lshl_add_u32 v20, v20, 23, v38
	v_or3_b32 v32, v30, v20, v32
.LBB620_39:                             ;   in Loop: Header=BB620_17 Depth=1
	s_or_b64 exec, exec, s[10:11]
.LBB620_40:                             ;   in Loop: Header=BB620_17 Depth=1
	s_or_b64 exec, exec, s[6:7]
.LBB620_41:                             ;   in Loop: Header=BB620_17 Depth=1
	s_or_b64 exec, exec, s[4:5]
	s_waitcnt vmcnt(2)
	v_cmp_ne_u16_sdwa s[6:7], v18, v35 src0_sel:BYTE_0 src1_sel:DWORD
	v_mov_b32_e32 v30, 0
	v_mov_b32_e32 v34, 0
	s_and_saveexec_b64 s[4:5], s[6:7]
	s_cbranch_execz .LBB620_47
; %bb.42:                               ;   in Loop: Header=BB620_17 Depth=1
	v_cmp_ne_u16_sdwa s[10:11], v18, s13 src0_sel:BYTE_0 src1_sel:DWORD
	v_bfrev_b32_e32 v34, 1
	s_and_saveexec_b64 s[6:7], s[10:11]
	s_cbranch_execz .LBB620_46
; %bb.43:                               ;   in Loop: Header=BB620_17 Depth=1
	v_and_b32_e32 v20, 0x7f, v18
	v_cmp_ne_u32_e32 vcc, s14, v20
	v_mov_b32_e32 v34, 0x7f800001
	s_and_saveexec_b64 s[10:11], vcc
	s_cbranch_execz .LBB620_45
; %bb.44:                               ;   in Loop: Header=BB620_17 Depth=1
	v_and_b32_e32 v34, 7, v18
	v_ffbh_u32_e32 v42, v34
	v_min_u32_e32 v42, 32, v42
	v_subrev_u32_e32 v44, 28, v42
	v_lshlrev_b64 v[52:53], v44, v[18:19]
	v_lshrrev_b32_e32 v40, 3, v20
	v_sub_u32_e32 v42, 29, v42
	v_and_b32_e32 v44, 7, v52
	v_cmp_gt_u32_e32 vcc, 8, v20
	v_cndmask_b32_e32 v20, v40, v42, vcc
	v_cndmask_b32_e32 v34, v34, v44, vcc
	v_lshlrev_b32_e32 v40, 24, v18
	v_lshlrev_b32_e32 v34, 20, v34
	v_and_b32_e32 v40, 0x80000000, v40
	v_lshl_add_u32 v20, v20, 23, v38
	v_or3_b32 v34, v40, v20, v34
.LBB620_45:                             ;   in Loop: Header=BB620_17 Depth=1
	s_or_b64 exec, exec, s[10:11]
.LBB620_46:                             ;   in Loop: Header=BB620_17 Depth=1
	s_or_b64 exec, exec, s[6:7]
.LBB620_47:                             ;   in Loop: Header=BB620_17 Depth=1
	s_or_b64 exec, exec, s[4:5]
	v_lshrrev_b16_e32 v20, 8, v18
	v_cmp_ne_u16_e32 vcc, 0, v20
	s_and_saveexec_b64 s[4:5], vcc
	s_cbranch_execz .LBB620_53
; %bb.48:                               ;   in Loop: Header=BB620_17 Depth=1
	v_cmp_ne_u16_e32 vcc, s13, v20
	v_bfrev_b32_e32 v30, 1
	s_and_saveexec_b64 s[6:7], vcc
	s_cbranch_execz .LBB620_52
; %bb.49:                               ;   in Loop: Header=BB620_17 Depth=1
	v_and_b32_e32 v40, 0x7f, v20
	v_cmp_ne_u32_e32 vcc, s14, v40
	v_mov_b32_e32 v30, 0x7f800001
	s_and_saveexec_b64 s[10:11], vcc
	s_cbranch_execz .LBB620_51
; %bb.50:                               ;   in Loop: Header=BB620_17 Depth=1
	v_and_b32_e32 v30, 7, v20
	v_ffbh_u32_e32 v44, v30
	v_min_u32_e32 v44, 32, v44
	v_subrev_u32_e32 v52, 28, v44
	v_lshlrev_b64 v[52:53], v52, v[20:21]
	v_lshrrev_b32_e32 v42, 3, v40
	v_sub_u32_e32 v20, 29, v44
	v_and_b32_e32 v44, 7, v52
	v_cmp_gt_u32_e32 vcc, 8, v40
	v_cndmask_b32_e32 v20, v42, v20, vcc
	v_cndmask_b32_e32 v30, v30, v44, vcc
	v_lshlrev_b32_e32 v40, 16, v18
	v_lshlrev_b32_e32 v30, 20, v30
	v_and_b32_e32 v40, 0x80000000, v40
	v_lshl_add_u32 v20, v20, 23, v38
	v_or3_b32 v30, v40, v20, v30
.LBB620_51:                             ;   in Loop: Header=BB620_17 Depth=1
	s_or_b64 exec, exec, s[10:11]
.LBB620_52:                             ;   in Loop: Header=BB620_17 Depth=1
	s_or_b64 exec, exec, s[6:7]
.LBB620_53:                             ;   in Loop: Header=BB620_17 Depth=1
	s_or_b64 exec, exec, s[4:5]
	v_lshrrev_b32_e32 v20, 16, v18
	v_cmp_ne_u16_sdwa s[6:7], v20, v35 src0_sel:BYTE_0 src1_sel:DWORD
	v_mov_b32_e32 v42, 0
	v_mov_b32_e32 v40, 0
	s_and_saveexec_b64 s[4:5], s[6:7]
	s_cbranch_execz .LBB620_59
; %bb.54:                               ;   in Loop: Header=BB620_17 Depth=1
	v_cmp_ne_u16_sdwa s[10:11], v20, s13 src0_sel:BYTE_0 src1_sel:DWORD
	v_bfrev_b32_e32 v40, 1
	s_and_saveexec_b64 s[6:7], s[10:11]
	s_cbranch_execz .LBB620_58
; %bb.55:                               ;   in Loop: Header=BB620_17 Depth=1
	v_bfe_u32 v44, v18, 16, 7
	v_cmp_ne_u32_e32 vcc, s14, v44
	v_mov_b32_e32 v40, 0x7f800001
	s_and_saveexec_b64 s[10:11], vcc
	s_cbranch_execz .LBB620_57
; %bb.56:                               ;   in Loop: Header=BB620_17 Depth=1
	v_and_b32_e32 v40, 7, v20
	v_ffbh_u32_e32 v52, v40
	v_min_u32_e32 v55, 32, v52
	v_subrev_u32_e32 v52, 28, v55
	v_lshlrev_b64 v[52:53], v52, v[20:21]
	v_lshrrev_b32_e32 v54, 3, v44
	v_sub_u32_e32 v53, 29, v55
	v_and_b32_e32 v52, 7, v52
	v_cmp_gt_u32_e32 vcc, 8, v44
	v_cndmask_b32_e32 v44, v54, v53, vcc
	v_cndmask_b32_e32 v40, v40, v52, vcc
	v_lshlrev_b32_e32 v20, 24, v20
	v_lshlrev_b32_e32 v40, 20, v40
	v_and_b32_e32 v20, 0x80000000, v20
	v_lshl_add_u32 v44, v44, 23, v38
	v_or3_b32 v40, v20, v44, v40
.LBB620_57:                             ;   in Loop: Header=BB620_17 Depth=1
	s_or_b64 exec, exec, s[10:11]
.LBB620_58:                             ;   in Loop: Header=BB620_17 Depth=1
	s_or_b64 exec, exec, s[6:7]
.LBB620_59:                             ;   in Loop: Header=BB620_17 Depth=1
	s_or_b64 exec, exec, s[4:5]
	v_cmp_lt_u32_e32 vcc, s15, v18
	s_and_saveexec_b64 s[4:5], vcc
	s_cbranch_execz .LBB620_65
; %bb.60:                               ;   in Loop: Header=BB620_17 Depth=1
	v_lshrrev_b32_e32 v20, 24, v18
	v_cmp_ne_u32_e32 vcc, s13, v20
	v_bfrev_b32_e32 v42, 1
	s_and_saveexec_b64 s[6:7], vcc
	s_cbranch_execz .LBB620_64
; %bb.61:                               ;   in Loop: Header=BB620_17 Depth=1
	v_bfe_u32 v18, v18, 24, 7
	v_cmp_ne_u32_e32 vcc, s14, v18
	v_mov_b32_e32 v42, 0x7f800001
	s_and_saveexec_b64 s[10:11], vcc
	s_cbranch_execz .LBB620_63
; %bb.62:                               ;   in Loop: Header=BB620_17 Depth=1
	v_and_b32_e32 v42, 7, v20
	v_ffbh_u32_e32 v52, v42
	v_min_u32_e32 v54, 32, v52
	v_subrev_u32_e32 v52, 28, v54
	v_lshlrev_b64 v[52:53], v52, v[20:21]
	v_lshrrev_b32_e32 v44, 3, v18
	v_sub_u32_e32 v53, 29, v54
	v_and_b32_e32 v52, 7, v52
	v_cmp_gt_u32_e32 vcc, 8, v18
	v_cndmask_b32_e32 v18, v44, v53, vcc
	v_cndmask_b32_e32 v42, v42, v52, vcc
	v_lshlrev_b32_e32 v20, 24, v20
	v_lshlrev_b32_e32 v42, 20, v42
	v_and_b32_e32 v20, 0x80000000, v20
	v_lshl_add_u32 v18, v18, 23, v38
	v_or3_b32 v42, v20, v18, v42
.LBB620_63:                             ;   in Loop: Header=BB620_17 Depth=1
	s_or_b64 exec, exec, s[10:11]
.LBB620_64:                             ;   in Loop: Header=BB620_17 Depth=1
	s_or_b64 exec, exec, s[6:7]
.LBB620_65:                             ;   in Loop: Header=BB620_17 Depth=1
	s_or_b64 exec, exec, s[4:5]
	v_cvt_pkrtz_f16_f32 v18, v21, v19
	v_cvt_pkrtz_f16_f32 v19, v23, v32
	;; [unrolled: 1-line block ×4, first 2 shown]
	v_mov_b32_e32 v32, 0
	v_mfma_f32_16x16x16f16 v[18:21], v[18:19], v[2:3], 0
	s_waitcnt vmcnt(1)
	v_cmp_ne_u16_sdwa s[6:7], v28, v35 src0_sel:BYTE_0 src1_sel:DWORD
	v_mov_b32_e32 v34, 0
	v_mfma_f32_16x16x16f16 v[18:21], v[52:53], v[4:5], v[18:21]
	s_and_saveexec_b64 s[4:5], s[6:7]
	s_cbranch_execz .LBB620_71
; %bb.66:                               ;   in Loop: Header=BB620_17 Depth=1
	v_cmp_ne_u16_sdwa s[10:11], v28, s13 src0_sel:BYTE_0 src1_sel:DWORD
	v_bfrev_b32_e32 v34, 1
	s_and_saveexec_b64 s[6:7], s[10:11]
	s_cbranch_execz .LBB620_70
; %bb.67:                               ;   in Loop: Header=BB620_17 Depth=1
	v_and_b32_e32 v23, 0x7f, v28
	v_cmp_ne_u32_e32 vcc, s14, v23
	v_mov_b32_e32 v34, 0x7f800001
	s_and_saveexec_b64 s[10:11], vcc
	s_cbranch_execz .LBB620_69
; %bb.68:                               ;   in Loop: Header=BB620_17 Depth=1
	v_and_b32_e32 v30, 7, v28
	v_ffbh_u32_e32 v40, v30
	v_min_u32_e32 v40, 32, v40
	v_subrev_u32_e32 v42, 28, v40
	v_lshlrev_b64 v[52:53], v42, v[28:29]
	v_lshrrev_b32_e32 v34, 3, v23
	v_sub_u32_e32 v40, 29, v40
	v_and_b32_e32 v42, 7, v52
	v_cmp_gt_u32_e32 vcc, 8, v23
	v_cndmask_b32_e32 v23, v34, v40, vcc
	v_cndmask_b32_e32 v30, v30, v42, vcc
	v_lshlrev_b32_e32 v34, 24, v28
	v_lshlrev_b32_e32 v30, 20, v30
	v_and_b32_e32 v34, 0x80000000, v34
	v_lshl_add_u32 v23, v23, 23, v38
	v_or3_b32 v34, v34, v23, v30
.LBB620_69:                             ;   in Loop: Header=BB620_17 Depth=1
	s_or_b64 exec, exec, s[10:11]
.LBB620_70:                             ;   in Loop: Header=BB620_17 Depth=1
	s_or_b64 exec, exec, s[6:7]
.LBB620_71:                             ;   in Loop: Header=BB620_17 Depth=1
	s_or_b64 exec, exec, s[4:5]
	v_lshrrev_b16_e32 v30, 8, v28
	v_cmp_ne_u16_e32 vcc, 0, v30
	v_mov_b32_e32 v40, 0
	s_and_saveexec_b64 s[4:5], vcc
	s_cbranch_execz .LBB620_77
; %bb.72:                               ;   in Loop: Header=BB620_17 Depth=1
	v_cmp_ne_u16_e32 vcc, s13, v30
	v_bfrev_b32_e32 v40, 1
	s_and_saveexec_b64 s[6:7], vcc
	s_cbranch_execz .LBB620_76
; %bb.73:                               ;   in Loop: Header=BB620_17 Depth=1
	v_and_b32_e32 v23, 0x7f, v30
	v_cmp_ne_u32_e32 vcc, s14, v23
	v_mov_b32_e32 v40, 0x7f800001
	s_and_saveexec_b64 s[10:11], vcc
	s_cbranch_execz .LBB620_75
; %bb.74:                               ;   in Loop: Header=BB620_17 Depth=1
	v_and_b32_e32 v40, 7, v30
	v_ffbh_u32_e32 v44, v40
	v_min_u32_e32 v44, 32, v44
	v_subrev_u32_e32 v52, 28, v44
	v_lshlrev_b64 v[52:53], v52, v[30:31]
	v_lshrrev_b32_e32 v42, 3, v23
	v_sub_u32_e32 v30, 29, v44
	v_and_b32_e32 v44, 7, v52
	v_cmp_gt_u32_e32 vcc, 8, v23
	v_cndmask_b32_e32 v23, v42, v30, vcc
	v_cndmask_b32_e32 v30, v40, v44, vcc
	v_lshlrev_b32_e32 v40, 16, v28
	v_lshlrev_b32_e32 v30, 20, v30
	v_and_b32_e32 v40, 0x80000000, v40
	v_lshl_add_u32 v23, v23, 23, v38
	v_or3_b32 v40, v40, v23, v30
.LBB620_75:                             ;   in Loop: Header=BB620_17 Depth=1
	s_or_b64 exec, exec, s[10:11]
.LBB620_76:                             ;   in Loop: Header=BB620_17 Depth=1
	s_or_b64 exec, exec, s[6:7]
.LBB620_77:                             ;   in Loop: Header=BB620_17 Depth=1
	s_or_b64 exec, exec, s[4:5]
	v_lshrrev_b32_e32 v30, 16, v28
	v_cmp_ne_u16_sdwa s[6:7], v30, v35 src0_sel:BYTE_0 src1_sel:DWORD
	s_and_saveexec_b64 s[4:5], s[6:7]
	s_cbranch_execz .LBB620_83
; %bb.78:                               ;   in Loop: Header=BB620_17 Depth=1
	v_cmp_ne_u16_sdwa s[10:11], v30, s13 src0_sel:BYTE_0 src1_sel:DWORD
	v_bfrev_b32_e32 v32, 1
	s_and_saveexec_b64 s[6:7], s[10:11]
	s_cbranch_execz .LBB620_82
; %bb.79:                               ;   in Loop: Header=BB620_17 Depth=1
	v_bfe_u32 v23, v28, 16, 7
	v_cmp_ne_u32_e32 vcc, s14, v23
	v_mov_b32_e32 v32, 0x7f800001
	s_and_saveexec_b64 s[10:11], vcc
	s_cbranch_execz .LBB620_81
; %bb.80:                               ;   in Loop: Header=BB620_17 Depth=1
	v_and_b32_e32 v32, 7, v30
	v_ffbh_u32_e32 v44, v32
	v_min_u32_e32 v44, 32, v44
	v_subrev_u32_e32 v52, 28, v44
	v_lshlrev_b64 v[52:53], v52, v[30:31]
	v_lshrrev_b32_e32 v42, 3, v23
	v_sub_u32_e32 v44, 29, v44
	v_and_b32_e32 v52, 7, v52
	v_cmp_gt_u32_e32 vcc, 8, v23
	v_cndmask_b32_e32 v23, v42, v44, vcc
	v_cndmask_b32_e32 v32, v32, v52, vcc
	v_lshlrev_b32_e32 v30, 24, v30
	v_lshlrev_b32_e32 v32, 20, v32
	v_and_b32_e32 v30, 0x80000000, v30
	v_lshl_add_u32 v23, v23, 23, v38
	v_or3_b32 v32, v30, v23, v32
.LBB620_81:                             ;   in Loop: Header=BB620_17 Depth=1
	s_or_b64 exec, exec, s[10:11]
.LBB620_82:                             ;   in Loop: Header=BB620_17 Depth=1
	s_or_b64 exec, exec, s[6:7]
.LBB620_83:                             ;   in Loop: Header=BB620_17 Depth=1
	s_or_b64 exec, exec, s[4:5]
	v_cmp_lt_u32_e32 vcc, s15, v28
	v_mov_b32_e32 v42, 0
	v_mov_b32_e32 v44, 0
	s_and_saveexec_b64 s[4:5], vcc
	s_cbranch_execz .LBB620_89
; %bb.84:                               ;   in Loop: Header=BB620_17 Depth=1
	v_lshrrev_b32_e32 v30, 24, v28
	v_cmp_ne_u32_e32 vcc, s13, v30
	v_bfrev_b32_e32 v44, 1
	s_and_saveexec_b64 s[6:7], vcc
	s_cbranch_execz .LBB620_88
; %bb.85:                               ;   in Loop: Header=BB620_17 Depth=1
	v_bfe_u32 v23, v28, 24, 7
	v_cmp_ne_u32_e32 vcc, s14, v23
	v_mov_b32_e32 v44, 0x7f800001
	s_and_saveexec_b64 s[10:11], vcc
	s_cbranch_execz .LBB620_87
; %bb.86:                               ;   in Loop: Header=BB620_17 Depth=1
	v_and_b32_e32 v28, 7, v30
	v_ffbh_u32_e32 v52, v28
	v_min_u32_e32 v54, 32, v52
	v_subrev_u32_e32 v52, 28, v54
	v_lshlrev_b64 v[52:53], v52, v[30:31]
	v_lshrrev_b32_e32 v44, 3, v23
	v_sub_u32_e32 v53, 29, v54
	v_and_b32_e32 v52, 7, v52
	v_cmp_gt_u32_e32 vcc, 8, v23
	v_cndmask_b32_e32 v23, v44, v53, vcc
	v_cndmask_b32_e32 v28, v28, v52, vcc
	v_lshlrev_b32_e32 v30, 24, v30
	v_lshlrev_b32_e32 v28, 20, v28
	v_and_b32_e32 v30, 0x80000000, v30
	v_lshl_add_u32 v23, v23, 23, v38
	v_or3_b32 v44, v30, v23, v28
.LBB620_87:                             ;   in Loop: Header=BB620_17 Depth=1
	s_or_b64 exec, exec, s[10:11]
.LBB620_88:                             ;   in Loop: Header=BB620_17 Depth=1
	s_or_b64 exec, exec, s[6:7]
.LBB620_89:                             ;   in Loop: Header=BB620_17 Depth=1
	s_or_b64 exec, exec, s[4:5]
	s_waitcnt vmcnt(0)
	v_cmp_ne_u16_sdwa s[6:7], v26, v35 src0_sel:BYTE_0 src1_sel:DWORD
	s_and_saveexec_b64 s[4:5], s[6:7]
	s_cbranch_execz .LBB620_95
; %bb.90:                               ;   in Loop: Header=BB620_17 Depth=1
	v_cmp_ne_u16_sdwa s[10:11], v26, s13 src0_sel:BYTE_0 src1_sel:DWORD
	v_bfrev_b32_e32 v42, 1
	s_and_saveexec_b64 s[6:7], s[10:11]
	s_cbranch_execz .LBB620_94
; %bb.91:                               ;   in Loop: Header=BB620_17 Depth=1
	v_and_b32_e32 v23, 0x7f, v26
	v_cmp_ne_u32_e32 vcc, s14, v23
	v_mov_b32_e32 v42, 0x7f800001
	s_and_saveexec_b64 s[10:11], vcc
	s_cbranch_execz .LBB620_93
; %bb.92:                               ;   in Loop: Header=BB620_17 Depth=1
	v_and_b32_e32 v28, 7, v26
	v_ffbh_u32_e32 v42, v28
	v_min_u32_e32 v42, 32, v42
	v_subrev_u32_e32 v52, 28, v42
	v_lshlrev_b64 v[52:53], v52, v[26:27]
	v_lshrrev_b32_e32 v30, 3, v23
	v_sub_u32_e32 v42, 29, v42
	v_and_b32_e32 v52, 7, v52
	v_cmp_gt_u32_e32 vcc, 8, v23
	v_cndmask_b32_e32 v23, v30, v42, vcc
	v_cndmask_b32_e32 v28, v28, v52, vcc
	v_lshlrev_b32_e32 v30, 24, v26
	v_lshlrev_b32_e32 v28, 20, v28
	v_and_b32_e32 v30, 0x80000000, v30
	v_lshl_add_u32 v23, v23, 23, v38
	v_or3_b32 v42, v30, v23, v28
.LBB620_93:                             ;   in Loop: Header=BB620_17 Depth=1
	s_or_b64 exec, exec, s[10:11]
.LBB620_94:                             ;   in Loop: Header=BB620_17 Depth=1
	s_or_b64 exec, exec, s[6:7]
.LBB620_95:                             ;   in Loop: Header=BB620_17 Depth=1
	s_or_b64 exec, exec, s[4:5]
	v_lshrrev_b16_e32 v28, 8, v26
	v_cmp_ne_u16_e32 vcc, 0, v28
	v_mov_b32_e32 v52, 0
	v_mov_b32_e32 v53, 0
	s_and_saveexec_b64 s[4:5], vcc
	s_cbranch_execz .LBB620_101
; %bb.96:                               ;   in Loop: Header=BB620_17 Depth=1
	v_cmp_ne_u16_e32 vcc, s13, v28
	v_bfrev_b32_e32 v53, 1
	s_and_saveexec_b64 s[6:7], vcc
	s_cbranch_execz .LBB620_100
; %bb.97:                               ;   in Loop: Header=BB620_17 Depth=1
	v_and_b32_e32 v23, 0x7f, v28
	v_cmp_ne_u32_e32 vcc, s14, v23
	v_mov_b32_e32 v53, 0x7f800001
	s_and_saveexec_b64 s[10:11], vcc
	s_cbranch_execz .LBB620_99
; %bb.98:                               ;   in Loop: Header=BB620_17 Depth=1
	v_and_b32_e32 v30, 7, v28
	v_ffbh_u32_e32 v54, v30
	v_min_u32_e32 v56, 32, v54
	v_subrev_u32_e32 v54, 28, v56
	v_lshlrev_b64 v[54:55], v54, v[28:29]
	v_lshrrev_b32_e32 v53, 3, v23
	v_sub_u32_e32 v28, 29, v56
	v_and_b32_e32 v54, 7, v54
	v_cmp_gt_u32_e32 vcc, 8, v23
	v_cndmask_b32_e32 v23, v53, v28, vcc
	v_cndmask_b32_e32 v28, v30, v54, vcc
	v_lshlrev_b32_e32 v30, 16, v26
	v_lshlrev_b32_e32 v28, 20, v28
	v_and_b32_e32 v30, 0x80000000, v30
	v_lshl_add_u32 v23, v23, 23, v38
	v_or3_b32 v53, v30, v23, v28
.LBB620_99:                             ;   in Loop: Header=BB620_17 Depth=1
	s_or_b64 exec, exec, s[10:11]
.LBB620_100:                            ;   in Loop: Header=BB620_17 Depth=1
	s_or_b64 exec, exec, s[6:7]
.LBB620_101:                            ;   in Loop: Header=BB620_17 Depth=1
	s_or_b64 exec, exec, s[4:5]
	v_lshrrev_b32_e32 v28, 16, v26
	v_cmp_ne_u16_sdwa s[6:7], v28, v35 src0_sel:BYTE_0 src1_sel:DWORD
	s_and_saveexec_b64 s[4:5], s[6:7]
	s_cbranch_execz .LBB620_107
; %bb.102:                              ;   in Loop: Header=BB620_17 Depth=1
	v_cmp_ne_u16_sdwa s[10:11], v28, s13 src0_sel:BYTE_0 src1_sel:DWORD
	v_bfrev_b32_e32 v52, 1
	s_and_saveexec_b64 s[6:7], s[10:11]
	s_cbranch_execz .LBB620_106
; %bb.103:                              ;   in Loop: Header=BB620_17 Depth=1
	v_bfe_u32 v23, v26, 16, 7
	v_cmp_ne_u32_e32 vcc, s14, v23
	v_mov_b32_e32 v52, 0x7f800001
	s_and_saveexec_b64 s[10:11], vcc
	s_cbranch_execz .LBB620_105
; %bb.104:                              ;   in Loop: Header=BB620_17 Depth=1
	v_and_b32_e32 v30, 7, v28
	v_ffbh_u32_e32 v54, v30
	v_min_u32_e32 v56, 32, v54
	v_subrev_u32_e32 v54, 28, v56
	v_lshlrev_b64 v[54:55], v54, v[28:29]
	v_lshrrev_b32_e32 v52, 3, v23
	v_sub_u32_e32 v55, 29, v56
	v_and_b32_e32 v54, 7, v54
	v_cmp_gt_u32_e32 vcc, 8, v23
	v_cndmask_b32_e32 v23, v52, v55, vcc
	v_cndmask_b32_e32 v30, v30, v54, vcc
	v_lshlrev_b32_e32 v28, 24, v28
	v_lshlrev_b32_e32 v30, 20, v30
	v_and_b32_e32 v28, 0x80000000, v28
	v_lshl_add_u32 v23, v23, 23, v38
	v_or3_b32 v52, v28, v23, v30
.LBB620_105:                            ;   in Loop: Header=BB620_17 Depth=1
	s_or_b64 exec, exec, s[10:11]
.LBB620_106:                            ;   in Loop: Header=BB620_17 Depth=1
	s_or_b64 exec, exec, s[6:7]
.LBB620_107:                            ;   in Loop: Header=BB620_17 Depth=1
	s_or_b64 exec, exec, s[4:5]
	v_cmp_lt_u32_e32 vcc, s15, v26
	v_mov_b32_e32 v23, 0
	v_mov_b32_e32 v54, 0
	s_and_saveexec_b64 s[4:5], vcc
	s_cbranch_execz .LBB620_113
; %bb.108:                              ;   in Loop: Header=BB620_17 Depth=1
	v_lshrrev_b32_e32 v28, 24, v26
	v_cmp_ne_u32_e32 vcc, s13, v28
	v_bfrev_b32_e32 v54, 1
	s_and_saveexec_b64 s[6:7], vcc
	s_cbranch_execz .LBB620_112
; %bb.109:                              ;   in Loop: Header=BB620_17 Depth=1
	v_bfe_u32 v26, v26, 24, 7
	v_cmp_ne_u32_e32 vcc, s14, v26
	v_mov_b32_e32 v54, 0x7f800001
	s_and_saveexec_b64 s[10:11], vcc
	s_cbranch_execz .LBB620_111
; %bb.110:                              ;   in Loop: Header=BB620_17 Depth=1
	v_and_b32_e32 v30, 7, v28
	v_ffbh_u32_e32 v54, v30
	v_min_u32_e32 v57, 32, v54
	v_subrev_u32_e32 v54, 28, v57
	v_lshlrev_b64 v[54:55], v54, v[28:29]
	v_lshrrev_b32_e32 v56, 3, v26
	v_sub_u32_e32 v55, 29, v57
	v_and_b32_e32 v54, 7, v54
	v_cmp_gt_u32_e32 vcc, 8, v26
	v_cndmask_b32_e32 v26, v56, v55, vcc
	v_cndmask_b32_e32 v30, v30, v54, vcc
	v_lshlrev_b32_e32 v28, 24, v28
	v_lshlrev_b32_e32 v30, 20, v30
	v_and_b32_e32 v28, 0x80000000, v28
	v_lshl_add_u32 v26, v26, 23, v38
	v_or3_b32 v54, v28, v26, v30
.LBB620_111:                            ;   in Loop: Header=BB620_17 Depth=1
	s_or_b64 exec, exec, s[10:11]
.LBB620_112:                            ;   in Loop: Header=BB620_17 Depth=1
	s_or_b64 exec, exec, s[6:7]
.LBB620_113:                            ;   in Loop: Header=BB620_17 Depth=1
	s_or_b64 exec, exec, s[4:5]
	v_cvt_pkrtz_f16_f32 v57, v32, v44
	buffer_load_dword v32, v36, s[0:3], 0 offen offset:16
	buffer_load_dword v30, v36, s[0:3], 0 offen offset:20
	buffer_load_dword v28, v36, s[0:3], 0 offen offset:24
	buffer_load_dword v26, v36, s[0:3], 0 offen offset:28
	v_cvt_pkrtz_f16_f32 v56, v34, v40
	s_waitcnt vmcnt(3)
	v_cmp_ne_u16_sdwa s[6:7], v32, v35 src0_sel:BYTE_0 src1_sel:DWORD
	v_mfma_f32_16x16x16f16 v[18:21], v[56:57], v[6:7], v[18:21]
	v_cvt_pkrtz_f16_f32 v56, v42, v53
	v_cvt_pkrtz_f16_f32 v57, v52, v54
	s_nop 1
	v_mfma_f32_16x16x16f16 v[18:21], v[56:57], v[8:9], v[18:21]
	s_and_saveexec_b64 s[4:5], s[6:7]
	s_cbranch_execz .LBB620_119
; %bb.114:                              ;   in Loop: Header=BB620_17 Depth=1
	v_cmp_ne_u16_sdwa s[10:11], v32, s13 src0_sel:BYTE_0 src1_sel:DWORD
	v_bfrev_b32_e32 v23, 1
	s_and_saveexec_b64 s[6:7], s[10:11]
	s_cbranch_execz .LBB620_118
; %bb.115:                              ;   in Loop: Header=BB620_17 Depth=1
	v_and_b32_e32 v34, 0x7f, v32
	v_cmp_ne_u32_e32 vcc, s14, v34
	v_mov_b32_e32 v23, 0x7f800001
	s_and_saveexec_b64 s[10:11], vcc
	s_cbranch_execz .LBB620_117
; %bb.116:                              ;   in Loop: Header=BB620_17 Depth=1
	v_and_b32_e32 v23, 7, v32
	v_ffbh_u32_e32 v42, v23
	v_min_u32_e32 v42, 32, v42
	v_subrev_u32_e32 v44, 28, v42
	v_lshlrev_b64 v[52:53], v44, v[32:33]
	v_lshrrev_b32_e32 v40, 3, v34
	v_sub_u32_e32 v42, 29, v42
	v_and_b32_e32 v44, 7, v52
	v_cmp_gt_u32_e32 vcc, 8, v34
	v_cndmask_b32_e32 v34, v40, v42, vcc
	v_cndmask_b32_e32 v23, v23, v44, vcc
	v_lshlrev_b32_e32 v40, 24, v32
	v_lshlrev_b32_e32 v23, 20, v23
	v_and_b32_e32 v40, 0x80000000, v40
	v_lshl_add_u32 v34, v34, 23, v38
	v_or3_b32 v23, v40, v34, v23
.LBB620_117:                            ;   in Loop: Header=BB620_17 Depth=1
	s_or_b64 exec, exec, s[10:11]
.LBB620_118:                            ;   in Loop: Header=BB620_17 Depth=1
	s_or_b64 exec, exec, s[6:7]
.LBB620_119:                            ;   in Loop: Header=BB620_17 Depth=1
	s_or_b64 exec, exec, s[4:5]
	v_lshrrev_b16_e32 v34, 8, v32
	v_cmp_ne_u16_e32 vcc, 0, v34
	v_mov_b32_e32 v40, 0
	v_mov_b32_e32 v42, 0
	s_and_saveexec_b64 s[4:5], vcc
	s_cbranch_execz .LBB620_125
; %bb.120:                              ;   in Loop: Header=BB620_17 Depth=1
	v_cmp_ne_u16_e32 vcc, s13, v34
	v_bfrev_b32_e32 v42, 1
	s_and_saveexec_b64 s[6:7], vcc
	s_cbranch_execz .LBB620_124
; %bb.121:                              ;   in Loop: Header=BB620_17 Depth=1
	v_and_b32_e32 v44, 0x7f, v34
	v_cmp_ne_u32_e32 vcc, s14, v44
	v_mov_b32_e32 v42, 0x7f800001
	s_and_saveexec_b64 s[10:11], vcc
	s_cbranch_execz .LBB620_123
; %bb.122:                              ;   in Loop: Header=BB620_17 Depth=1
	v_and_b32_e32 v42, 7, v34
	v_ffbh_u32_e32 v52, v42
	v_min_u32_e32 v55, 32, v52
	v_subrev_u32_e32 v52, 28, v55
	v_lshlrev_b64 v[52:53], v52, v[34:35]
	v_lshrrev_b32_e32 v54, 3, v44
	v_sub_u32_e32 v34, 29, v55
	v_and_b32_e32 v52, 7, v52
	v_cmp_gt_u32_e32 vcc, 8, v44
	v_cndmask_b32_e32 v34, v54, v34, vcc
	v_cndmask_b32_e32 v42, v42, v52, vcc
	v_lshlrev_b32_e32 v44, 16, v32
	v_lshlrev_b32_e32 v42, 20, v42
	v_and_b32_e32 v44, 0x80000000, v44
	v_lshl_add_u32 v34, v34, 23, v38
	v_or3_b32 v42, v44, v34, v42
.LBB620_123:                            ;   in Loop: Header=BB620_17 Depth=1
	s_or_b64 exec, exec, s[10:11]
.LBB620_124:                            ;   in Loop: Header=BB620_17 Depth=1
	s_or_b64 exec, exec, s[6:7]
.LBB620_125:                            ;   in Loop: Header=BB620_17 Depth=1
	s_or_b64 exec, exec, s[4:5]
	v_lshrrev_b32_e32 v34, 16, v32
	v_cmp_ne_u16_sdwa s[6:7], v34, v35 src0_sel:BYTE_0 src1_sel:DWORD
	s_and_saveexec_b64 s[4:5], s[6:7]
	s_cbranch_execz .LBB620_131
; %bb.126:                              ;   in Loop: Header=BB620_17 Depth=1
	v_cmp_ne_u16_sdwa s[10:11], v34, s13 src0_sel:BYTE_0 src1_sel:DWORD
	v_bfrev_b32_e32 v40, 1
	s_and_saveexec_b64 s[6:7], s[10:11]
	s_cbranch_execz .LBB620_130
; %bb.127:                              ;   in Loop: Header=BB620_17 Depth=1
	v_bfe_u32 v44, v32, 16, 7
	v_cmp_ne_u32_e32 vcc, s14, v44
	v_mov_b32_e32 v40, 0x7f800001
	s_and_saveexec_b64 s[10:11], vcc
	s_cbranch_execz .LBB620_129
; %bb.128:                              ;   in Loop: Header=BB620_17 Depth=1
	v_and_b32_e32 v40, 7, v34
	v_ffbh_u32_e32 v52, v40
	v_min_u32_e32 v55, 32, v52
	v_subrev_u32_e32 v52, 28, v55
	v_lshlrev_b64 v[52:53], v52, v[34:35]
	v_lshrrev_b32_e32 v54, 3, v44
	v_sub_u32_e32 v53, 29, v55
	v_and_b32_e32 v52, 7, v52
	v_cmp_gt_u32_e32 vcc, 8, v44
	v_cndmask_b32_e32 v44, v54, v53, vcc
	v_cndmask_b32_e32 v40, v40, v52, vcc
	v_lshlrev_b32_e32 v34, 24, v34
	v_lshlrev_b32_e32 v40, 20, v40
	v_and_b32_e32 v34, 0x80000000, v34
	v_lshl_add_u32 v44, v44, 23, v38
	v_or3_b32 v40, v34, v44, v40
.LBB620_129:                            ;   in Loop: Header=BB620_17 Depth=1
	s_or_b64 exec, exec, s[10:11]
.LBB620_130:                            ;   in Loop: Header=BB620_17 Depth=1
	s_or_b64 exec, exec, s[6:7]
.LBB620_131:                            ;   in Loop: Header=BB620_17 Depth=1
	s_or_b64 exec, exec, s[4:5]
	v_cmp_lt_u32_e32 vcc, s15, v32
	v_mov_b32_e32 v44, 0
	v_mov_b32_e32 v52, 0
	s_and_saveexec_b64 s[4:5], vcc
	s_cbranch_execz .LBB620_137
; %bb.132:                              ;   in Loop: Header=BB620_17 Depth=1
	v_lshrrev_b32_e32 v34, 24, v32
	v_cmp_ne_u32_e32 vcc, s13, v34
	v_bfrev_b32_e32 v52, 1
	s_and_saveexec_b64 s[6:7], vcc
	s_cbranch_execz .LBB620_136
; %bb.133:                              ;   in Loop: Header=BB620_17 Depth=1
	v_bfe_u32 v32, v32, 24, 7
	v_cmp_ne_u32_e32 vcc, s14, v32
	v_mov_b32_e32 v52, 0x7f800001
	s_and_saveexec_b64 s[10:11], vcc
	s_cbranch_execz .LBB620_135
; %bb.134:                              ;   in Loop: Header=BB620_17 Depth=1
	v_and_b32_e32 v54, 7, v34
	v_ffbh_u32_e32 v52, v54
	v_min_u32_e32 v56, 32, v52
	v_subrev_u32_e32 v52, 28, v56
	v_lshlrev_b64 v[52:53], v52, v[34:35]
	v_lshrrev_b32_e32 v55, 3, v32
	v_sub_u32_e32 v53, 29, v56
	v_and_b32_e32 v52, 7, v52
	v_cmp_gt_u32_e32 vcc, 8, v32
	v_cndmask_b32_e32 v32, v55, v53, vcc
	v_cndmask_b32_e32 v52, v54, v52, vcc
	v_lshlrev_b32_e32 v34, 24, v34
	v_lshlrev_b32_e32 v52, 20, v52
	v_and_b32_e32 v34, 0x80000000, v34
	v_lshl_add_u32 v32, v32, 23, v38
	v_or3_b32 v52, v34, v32, v52
.LBB620_135:                            ;   in Loop: Header=BB620_17 Depth=1
	s_or_b64 exec, exec, s[10:11]
.LBB620_136:                            ;   in Loop: Header=BB620_17 Depth=1
	s_or_b64 exec, exec, s[6:7]
.LBB620_137:                            ;   in Loop: Header=BB620_17 Depth=1
	s_or_b64 exec, exec, s[4:5]
	s_waitcnt vmcnt(2)
	v_cmp_ne_u16_sdwa s[6:7], v30, v35 src0_sel:BYTE_0 src1_sel:DWORD
	s_and_saveexec_b64 s[4:5], s[6:7]
	s_cbranch_execz .LBB620_143
; %bb.138:                              ;   in Loop: Header=BB620_17 Depth=1
	v_cmp_ne_u16_sdwa s[10:11], v30, s13 src0_sel:BYTE_0 src1_sel:DWORD
	v_bfrev_b32_e32 v44, 1
	s_and_saveexec_b64 s[6:7], s[10:11]
	s_cbranch_execz .LBB620_142
; %bb.139:                              ;   in Loop: Header=BB620_17 Depth=1
	v_and_b32_e32 v32, 0x7f, v30
	v_cmp_ne_u32_e32 vcc, s14, v32
	v_mov_b32_e32 v44, 0x7f800001
	s_and_saveexec_b64 s[10:11], vcc
	s_cbranch_execz .LBB620_141
; %bb.140:                              ;   in Loop: Header=BB620_17 Depth=1
	v_and_b32_e32 v34, 7, v30
	v_ffbh_u32_e32 v53, v34
	v_min_u32_e32 v53, 32, v53
	v_subrev_u32_e32 v54, 28, v53
	v_lshlrev_b64 v[54:55], v54, v[30:31]
	v_lshrrev_b32_e32 v44, 3, v32
	v_sub_u32_e32 v53, 29, v53
	v_and_b32_e32 v54, 7, v54
	v_cmp_gt_u32_e32 vcc, 8, v32
	v_cndmask_b32_e32 v32, v44, v53, vcc
	v_cndmask_b32_e32 v34, v34, v54, vcc
	v_lshlrev_b32_e32 v44, 24, v30
	v_lshlrev_b32_e32 v34, 20, v34
	v_and_b32_e32 v44, 0x80000000, v44
	v_lshl_add_u32 v32, v32, 23, v38
	v_or3_b32 v44, v44, v32, v34
.LBB620_141:                            ;   in Loop: Header=BB620_17 Depth=1
	s_or_b64 exec, exec, s[10:11]
.LBB620_142:                            ;   in Loop: Header=BB620_17 Depth=1
	s_or_b64 exec, exec, s[6:7]
.LBB620_143:                            ;   in Loop: Header=BB620_17 Depth=1
	s_or_b64 exec, exec, s[4:5]
	v_lshrrev_b16_e32 v32, 8, v30
	v_cmp_ne_u16_e32 vcc, 0, v32
	v_mov_b32_e32 v53, 0
	v_mov_b32_e32 v54, 0
	s_and_saveexec_b64 s[4:5], vcc
	s_cbranch_execz .LBB620_149
; %bb.144:                              ;   in Loop: Header=BB620_17 Depth=1
	v_cmp_ne_u16_e32 vcc, s13, v32
	v_bfrev_b32_e32 v54, 1
	s_and_saveexec_b64 s[6:7], vcc
	s_cbranch_execz .LBB620_148
; %bb.145:                              ;   in Loop: Header=BB620_17 Depth=1
	v_and_b32_e32 v34, 0x7f, v32
	v_cmp_ne_u32_e32 vcc, s14, v34
	v_mov_b32_e32 v54, 0x7f800001
	s_and_saveexec_b64 s[10:11], vcc
	s_cbranch_execz .LBB620_147
; %bb.146:                              ;   in Loop: Header=BB620_17 Depth=1
	v_and_b32_e32 v56, 7, v32
	v_ffbh_u32_e32 v54, v56
	v_min_u32_e32 v58, 32, v54
	v_subrev_u32_e32 v54, 28, v58
	v_lshlrev_b64 v[54:55], v54, v[32:33]
	v_lshrrev_b32_e32 v57, 3, v34
	v_sub_u32_e32 v32, 29, v58
	v_and_b32_e32 v54, 7, v54
	v_cmp_gt_u32_e32 vcc, 8, v34
	v_cndmask_b32_e32 v32, v57, v32, vcc
	v_cndmask_b32_e32 v34, v56, v54, vcc
	v_lshlrev_b32_e32 v54, 16, v30
	v_lshlrev_b32_e32 v34, 20, v34
	v_and_b32_e32 v54, 0x80000000, v54
	v_lshl_add_u32 v32, v32, 23, v38
	v_or3_b32 v54, v54, v32, v34
.LBB620_147:                            ;   in Loop: Header=BB620_17 Depth=1
	s_or_b64 exec, exec, s[10:11]
.LBB620_148:                            ;   in Loop: Header=BB620_17 Depth=1
	s_or_b64 exec, exec, s[6:7]
.LBB620_149:                            ;   in Loop: Header=BB620_17 Depth=1
	s_or_b64 exec, exec, s[4:5]
	v_lshrrev_b32_e32 v32, 16, v30
	v_cmp_ne_u16_sdwa s[6:7], v32, v35 src0_sel:BYTE_0 src1_sel:DWORD
	s_and_saveexec_b64 s[4:5], s[6:7]
	s_cbranch_execz .LBB620_155
; %bb.150:                              ;   in Loop: Header=BB620_17 Depth=1
	v_cmp_ne_u16_sdwa s[10:11], v32, s13 src0_sel:BYTE_0 src1_sel:DWORD
	v_bfrev_b32_e32 v53, 1
	s_and_saveexec_b64 s[6:7], s[10:11]
	s_cbranch_execz .LBB620_154
; %bb.151:                              ;   in Loop: Header=BB620_17 Depth=1
	v_bfe_u32 v34, v30, 16, 7
	v_cmp_ne_u32_e32 vcc, s14, v34
	v_mov_b32_e32 v53, 0x7f800001
	s_and_saveexec_b64 s[10:11], vcc
	s_cbranch_execz .LBB620_153
; %bb.152:                              ;   in Loop: Header=BB620_17 Depth=1
	v_and_b32_e32 v53, 7, v32
	v_ffbh_u32_e32 v56, v53
	v_min_u32_e32 v58, 32, v56
	v_subrev_u32_e32 v56, 28, v58
	v_lshlrev_b64 v[56:57], v56, v[32:33]
	v_lshrrev_b32_e32 v55, 3, v34
	v_sub_u32_e32 v57, 29, v58
	v_and_b32_e32 v56, 7, v56
	v_cmp_gt_u32_e32 vcc, 8, v34
	v_cndmask_b32_e32 v34, v55, v57, vcc
	v_cndmask_b32_e32 v53, v53, v56, vcc
	v_lshlrev_b32_e32 v32, 24, v32
	v_lshlrev_b32_e32 v53, 20, v53
	v_and_b32_e32 v32, 0x80000000, v32
	v_lshl_add_u32 v34, v34, 23, v38
	v_or3_b32 v53, v32, v34, v53
.LBB620_153:                            ;   in Loop: Header=BB620_17 Depth=1
	s_or_b64 exec, exec, s[10:11]
.LBB620_154:                            ;   in Loop: Header=BB620_17 Depth=1
	s_or_b64 exec, exec, s[6:7]
.LBB620_155:                            ;   in Loop: Header=BB620_17 Depth=1
	s_or_b64 exec, exec, s[4:5]
	v_cmp_lt_u32_e32 vcc, s15, v30
	v_mov_b32_e32 v34, 0
	v_mov_b32_e32 v55, 0
	s_and_saveexec_b64 s[4:5], vcc
	s_cbranch_execz .LBB620_161
; %bb.156:                              ;   in Loop: Header=BB620_17 Depth=1
	v_lshrrev_b32_e32 v32, 24, v30
	v_cmp_ne_u32_e32 vcc, s13, v32
	v_bfrev_b32_e32 v55, 1
	s_and_saveexec_b64 s[6:7], vcc
	s_cbranch_execz .LBB620_160
; %bb.157:                              ;   in Loop: Header=BB620_17 Depth=1
	v_bfe_u32 v30, v30, 24, 7
	v_cmp_ne_u32_e32 vcc, s14, v30
	v_mov_b32_e32 v55, 0x7f800001
	s_and_saveexec_b64 s[10:11], vcc
	s_cbranch_execz .LBB620_159
; %bb.158:                              ;   in Loop: Header=BB620_17 Depth=1
	v_and_b32_e32 v55, 7, v32
	v_ffbh_u32_e32 v56, v55
	v_min_u32_e32 v59, 32, v56
	v_subrev_u32_e32 v56, 28, v59
	v_lshlrev_b64 v[56:57], v56, v[32:33]
	v_lshrrev_b32_e32 v58, 3, v30
	v_sub_u32_e32 v57, 29, v59
	v_and_b32_e32 v56, 7, v56
	v_cmp_gt_u32_e32 vcc, 8, v30
	v_cndmask_b32_e32 v30, v58, v57, vcc
	v_cndmask_b32_e32 v55, v55, v56, vcc
	v_lshlrev_b32_e32 v32, 24, v32
	v_lshlrev_b32_e32 v55, 20, v55
	v_and_b32_e32 v32, 0x80000000, v32
	v_lshl_add_u32 v30, v30, 23, v38
	v_or3_b32 v55, v32, v30, v55
.LBB620_159:                            ;   in Loop: Header=BB620_17 Depth=1
	s_or_b64 exec, exec, s[10:11]
.LBB620_160:                            ;   in Loop: Header=BB620_17 Depth=1
	s_or_b64 exec, exec, s[6:7]
.LBB620_161:                            ;   in Loop: Header=BB620_17 Depth=1
	s_or_b64 exec, exec, s[4:5]
	v_cvt_pkrtz_f16_f32 v56, v23, v42
	v_cvt_pkrtz_f16_f32 v57, v40, v52
	;; [unrolled: 1-line block ×4, first 2 shown]
	s_waitcnt vmcnt(1)
	v_cmp_ne_u16_sdwa s[6:7], v28, v35 src0_sel:BYTE_0 src1_sel:DWORD
	v_mfma_f32_16x16x16f16 v[18:21], v[56:57], v[10:11], v[18:21]
	v_mfma_f32_16x16x16f16 v[18:21], v[52:53], v[12:13], v[18:21]
	s_and_saveexec_b64 s[4:5], s[6:7]
	s_cbranch_execz .LBB620_167
; %bb.162:                              ;   in Loop: Header=BB620_17 Depth=1
	v_cmp_ne_u16_sdwa s[10:11], v28, s13 src0_sel:BYTE_0 src1_sel:DWORD
	v_bfrev_b32_e32 v34, 1
	s_and_saveexec_b64 s[6:7], s[10:11]
	s_cbranch_execz .LBB620_166
; %bb.163:                              ;   in Loop: Header=BB620_17 Depth=1
	v_and_b32_e32 v23, 0x7f, v28
	v_cmp_ne_u32_e32 vcc, s14, v23
	v_mov_b32_e32 v34, 0x7f800001
	s_and_saveexec_b64 s[10:11], vcc
	s_cbranch_execz .LBB620_165
; %bb.164:                              ;   in Loop: Header=BB620_17 Depth=1
	v_and_b32_e32 v30, 7, v28
	v_ffbh_u32_e32 v34, v30
	v_min_u32_e32 v34, 32, v34
	v_subrev_u32_e32 v40, 28, v34
	v_lshlrev_b64 v[52:53], v40, v[28:29]
	v_lshrrev_b32_e32 v32, 3, v23
	v_sub_u32_e32 v34, 29, v34
	v_and_b32_e32 v40, 7, v52
	v_cmp_gt_u32_e32 vcc, 8, v23
	v_cndmask_b32_e32 v23, v32, v34, vcc
	v_cndmask_b32_e32 v30, v30, v40, vcc
	v_lshlrev_b32_e32 v32, 24, v28
	v_lshlrev_b32_e32 v30, 20, v30
	v_and_b32_e32 v32, 0x80000000, v32
	v_lshl_add_u32 v23, v23, 23, v38
	v_or3_b32 v34, v32, v23, v30
.LBB620_165:                            ;   in Loop: Header=BB620_17 Depth=1
	s_or_b64 exec, exec, s[10:11]
.LBB620_166:                            ;   in Loop: Header=BB620_17 Depth=1
	s_or_b64 exec, exec, s[6:7]
.LBB620_167:                            ;   in Loop: Header=BB620_17 Depth=1
	s_or_b64 exec, exec, s[4:5]
	v_lshrrev_b16_e32 v30, 8, v28
	v_cmp_ne_u16_e32 vcc, 0, v30
	v_mov_b32_e32 v23, 0
	v_mov_b32_e32 v32, 0
	s_and_saveexec_b64 s[4:5], vcc
	s_cbranch_execz .LBB620_173
; %bb.168:                              ;   in Loop: Header=BB620_17 Depth=1
	v_cmp_ne_u16_e32 vcc, s13, v30
	v_bfrev_b32_e32 v32, 1
	s_and_saveexec_b64 s[6:7], vcc
	s_cbranch_execz .LBB620_172
; %bb.169:                              ;   in Loop: Header=BB620_17 Depth=1
	v_and_b32_e32 v40, 0x7f, v30
	v_cmp_ne_u32_e32 vcc, s14, v40
	v_mov_b32_e32 v32, 0x7f800001
	s_and_saveexec_b64 s[10:11], vcc
	s_cbranch_execz .LBB620_171
; %bb.170:                              ;   in Loop: Header=BB620_17 Depth=1
	v_and_b32_e32 v32, 7, v30
	v_ffbh_u32_e32 v44, v32
	v_min_u32_e32 v44, 32, v44
	v_subrev_u32_e32 v52, 28, v44
	v_lshlrev_b64 v[52:53], v52, v[30:31]
	v_lshrrev_b32_e32 v42, 3, v40
	v_sub_u32_e32 v30, 29, v44
	v_and_b32_e32 v44, 7, v52
	v_cmp_gt_u32_e32 vcc, 8, v40
	v_cndmask_b32_e32 v30, v42, v30, vcc
	v_cndmask_b32_e32 v32, v32, v44, vcc
	v_lshlrev_b32_e32 v40, 16, v28
	v_lshlrev_b32_e32 v32, 20, v32
	v_and_b32_e32 v40, 0x80000000, v40
	v_lshl_add_u32 v30, v30, 23, v38
	v_or3_b32 v32, v40, v30, v32
.LBB620_171:                            ;   in Loop: Header=BB620_17 Depth=1
	s_or_b64 exec, exec, s[10:11]
.LBB620_172:                            ;   in Loop: Header=BB620_17 Depth=1
	s_or_b64 exec, exec, s[6:7]
.LBB620_173:                            ;   in Loop: Header=BB620_17 Depth=1
	s_or_b64 exec, exec, s[4:5]
	v_lshrrev_b32_e32 v30, 16, v28
	v_cmp_ne_u16_sdwa s[6:7], v30, v35 src0_sel:BYTE_0 src1_sel:DWORD
	s_and_saveexec_b64 s[4:5], s[6:7]
	s_cbranch_execz .LBB620_179
; %bb.174:                              ;   in Loop: Header=BB620_17 Depth=1
	v_cmp_ne_u16_sdwa s[10:11], v30, s13 src0_sel:BYTE_0 src1_sel:DWORD
	v_bfrev_b32_e32 v23, 1
	s_and_saveexec_b64 s[6:7], s[10:11]
	s_cbranch_execz .LBB620_178
; %bb.175:                              ;   in Loop: Header=BB620_17 Depth=1
	v_bfe_u32 v40, v28, 16, 7
	v_cmp_ne_u32_e32 vcc, s14, v40
	v_mov_b32_e32 v23, 0x7f800001
	s_and_saveexec_b64 s[10:11], vcc
	s_cbranch_execz .LBB620_177
; %bb.176:                              ;   in Loop: Header=BB620_17 Depth=1
	v_and_b32_e32 v23, 7, v30
	v_ffbh_u32_e32 v44, v23
	v_min_u32_e32 v44, 32, v44
	v_subrev_u32_e32 v52, 28, v44
	v_lshlrev_b64 v[52:53], v52, v[30:31]
	v_lshrrev_b32_e32 v42, 3, v40
	v_sub_u32_e32 v44, 29, v44
	v_and_b32_e32 v52, 7, v52
	v_cmp_gt_u32_e32 vcc, 8, v40
	v_cndmask_b32_e32 v40, v42, v44, vcc
	v_cndmask_b32_e32 v23, v23, v52, vcc
	v_lshlrev_b32_e32 v30, 24, v30
	v_lshlrev_b32_e32 v23, 20, v23
	v_and_b32_e32 v30, 0x80000000, v30
	v_lshl_add_u32 v40, v40, 23, v38
	v_or3_b32 v23, v30, v40, v23
.LBB620_177:                            ;   in Loop: Header=BB620_17 Depth=1
	s_or_b64 exec, exec, s[10:11]
.LBB620_178:                            ;   in Loop: Header=BB620_17 Depth=1
	s_or_b64 exec, exec, s[6:7]
.LBB620_179:                            ;   in Loop: Header=BB620_17 Depth=1
	s_or_b64 exec, exec, s[4:5]
	v_cmp_lt_u32_e32 vcc, s15, v28
	v_mov_b32_e32 v40, 0
	v_mov_b32_e32 v42, 0
	s_and_saveexec_b64 s[4:5], vcc
	s_cbranch_execz .LBB620_185
; %bb.180:                              ;   in Loop: Header=BB620_17 Depth=1
	v_lshrrev_b32_e32 v30, 24, v28
	v_cmp_ne_u32_e32 vcc, s13, v30
	v_bfrev_b32_e32 v42, 1
	s_and_saveexec_b64 s[6:7], vcc
	s_cbranch_execz .LBB620_184
; %bb.181:                              ;   in Loop: Header=BB620_17 Depth=1
	v_bfe_u32 v28, v28, 24, 7
	v_cmp_ne_u32_e32 vcc, s14, v28
	v_mov_b32_e32 v42, 0x7f800001
	s_and_saveexec_b64 s[10:11], vcc
	s_cbranch_execz .LBB620_183
; %bb.182:                              ;   in Loop: Header=BB620_17 Depth=1
	v_and_b32_e32 v42, 7, v30
	v_ffbh_u32_e32 v52, v42
	v_min_u32_e32 v54, 32, v52
	v_subrev_u32_e32 v52, 28, v54
	v_lshlrev_b64 v[52:53], v52, v[30:31]
	v_lshrrev_b32_e32 v44, 3, v28
	v_sub_u32_e32 v53, 29, v54
	v_and_b32_e32 v52, 7, v52
	v_cmp_gt_u32_e32 vcc, 8, v28
	v_cndmask_b32_e32 v28, v44, v53, vcc
	v_cndmask_b32_e32 v42, v42, v52, vcc
	v_lshlrev_b32_e32 v30, 24, v30
	v_lshlrev_b32_e32 v42, 20, v42
	v_and_b32_e32 v30, 0x80000000, v30
	v_lshl_add_u32 v28, v28, 23, v38
	v_or3_b32 v42, v30, v28, v42
.LBB620_183:                            ;   in Loop: Header=BB620_17 Depth=1
	s_or_b64 exec, exec, s[10:11]
.LBB620_184:                            ;   in Loop: Header=BB620_17 Depth=1
	s_or_b64 exec, exec, s[6:7]
.LBB620_185:                            ;   in Loop: Header=BB620_17 Depth=1
	s_or_b64 exec, exec, s[4:5]
	s_waitcnt vmcnt(0)
	v_cmp_ne_u16_sdwa s[6:7], v26, v35 src0_sel:BYTE_0 src1_sel:DWORD
	s_and_saveexec_b64 s[4:5], s[6:7]
	s_cbranch_execz .LBB620_191
; %bb.186:                              ;   in Loop: Header=BB620_17 Depth=1
	v_cmp_ne_u16_sdwa s[10:11], v26, s13 src0_sel:BYTE_0 src1_sel:DWORD
	v_bfrev_b32_e32 v40, 1
	s_and_saveexec_b64 s[6:7], s[10:11]
	s_cbranch_execz .LBB620_190
; %bb.187:                              ;   in Loop: Header=BB620_17 Depth=1
	v_and_b32_e32 v28, 0x7f, v26
	v_cmp_ne_u32_e32 vcc, s14, v28
	v_mov_b32_e32 v40, 0x7f800001
	s_and_saveexec_b64 s[10:11], vcc
	s_cbranch_execz .LBB620_189
; %bb.188:                              ;   in Loop: Header=BB620_17 Depth=1
	v_and_b32_e32 v30, 7, v26
	v_ffbh_u32_e32 v44, v30
	v_min_u32_e32 v44, 32, v44
	v_subrev_u32_e32 v52, 28, v44
	v_lshlrev_b64 v[52:53], v52, v[26:27]
	v_lshrrev_b32_e32 v40, 3, v28
	v_sub_u32_e32 v44, 29, v44
	v_and_b32_e32 v52, 7, v52
	v_cmp_gt_u32_e32 vcc, 8, v28
	v_cndmask_b32_e32 v28, v40, v44, vcc
	v_cndmask_b32_e32 v30, v30, v52, vcc
	v_lshlrev_b32_e32 v40, 24, v26
	v_lshlrev_b32_e32 v30, 20, v30
	v_and_b32_e32 v40, 0x80000000, v40
	v_lshl_add_u32 v28, v28, 23, v38
	v_or3_b32 v40, v40, v28, v30
.LBB620_189:                            ;   in Loop: Header=BB620_17 Depth=1
	s_or_b64 exec, exec, s[10:11]
.LBB620_190:                            ;   in Loop: Header=BB620_17 Depth=1
	s_or_b64 exec, exec, s[6:7]
.LBB620_191:                            ;   in Loop: Header=BB620_17 Depth=1
	s_or_b64 exec, exec, s[4:5]
	v_lshrrev_b16_e32 v28, 8, v26
	v_cmp_ne_u16_e32 vcc, 0, v28
	v_mov_b32_e32 v30, 0
	v_mov_b32_e32 v44, 0
	s_and_saveexec_b64 s[4:5], vcc
	s_cbranch_execz .LBB620_197
; %bb.192:                              ;   in Loop: Header=BB620_17 Depth=1
	v_cmp_ne_u16_e32 vcc, s13, v28
	v_bfrev_b32_e32 v44, 1
	s_and_saveexec_b64 s[6:7], vcc
	s_cbranch_execz .LBB620_196
; %bb.193:                              ;   in Loop: Header=BB620_17 Depth=1
	v_and_b32_e32 v52, 0x7f, v28
	v_cmp_ne_u32_e32 vcc, s14, v52
	v_mov_b32_e32 v44, 0x7f800001
	s_and_saveexec_b64 s[10:11], vcc
	s_cbranch_execz .LBB620_195
; %bb.194:                              ;   in Loop: Header=BB620_17 Depth=1
	v_and_b32_e32 v44, 7, v28
	v_ffbh_u32_e32 v54, v44
	v_min_u32_e32 v56, 32, v54
	v_subrev_u32_e32 v54, 28, v56
	v_lshlrev_b64 v[54:55], v54, v[28:29]
	v_lshrrev_b32_e32 v53, 3, v52
	v_sub_u32_e32 v28, 29, v56
	v_and_b32_e32 v54, 7, v54
	v_cmp_gt_u32_e32 vcc, 8, v52
	v_cndmask_b32_e32 v28, v53, v28, vcc
	v_cndmask_b32_e32 v44, v44, v54, vcc
	v_lshlrev_b32_e32 v52, 16, v26
	v_lshlrev_b32_e32 v44, 20, v44
	v_and_b32_e32 v52, 0x80000000, v52
	v_lshl_add_u32 v28, v28, 23, v38
	v_or3_b32 v44, v52, v28, v44
.LBB620_195:                            ;   in Loop: Header=BB620_17 Depth=1
	s_or_b64 exec, exec, s[10:11]
.LBB620_196:                            ;   in Loop: Header=BB620_17 Depth=1
	s_or_b64 exec, exec, s[6:7]
.LBB620_197:                            ;   in Loop: Header=BB620_17 Depth=1
	s_or_b64 exec, exec, s[4:5]
	v_lshrrev_b32_e32 v28, 16, v26
	v_cmp_ne_u16_sdwa s[6:7], v28, v35 src0_sel:BYTE_0 src1_sel:DWORD
	s_and_saveexec_b64 s[4:5], s[6:7]
	s_cbranch_execz .LBB620_203
; %bb.198:                              ;   in Loop: Header=BB620_17 Depth=1
	v_cmp_ne_u16_sdwa s[10:11], v28, s13 src0_sel:BYTE_0 src1_sel:DWORD
	v_bfrev_b32_e32 v30, 1
	s_and_saveexec_b64 s[6:7], s[10:11]
	s_cbranch_execz .LBB620_202
; %bb.199:                              ;   in Loop: Header=BB620_17 Depth=1
	v_bfe_u32 v52, v26, 16, 7
	v_cmp_ne_u32_e32 vcc, s14, v52
	v_mov_b32_e32 v30, 0x7f800001
	s_and_saveexec_b64 s[10:11], vcc
	s_cbranch_execz .LBB620_201
; %bb.200:                              ;   in Loop: Header=BB620_17 Depth=1
	v_and_b32_e32 v30, 7, v28
	v_ffbh_u32_e32 v54, v30
	v_min_u32_e32 v56, 32, v54
	v_subrev_u32_e32 v54, 28, v56
	v_lshlrev_b64 v[54:55], v54, v[28:29]
	v_lshrrev_b32_e32 v53, 3, v52
	v_sub_u32_e32 v55, 29, v56
	v_and_b32_e32 v54, 7, v54
	v_cmp_gt_u32_e32 vcc, 8, v52
	v_cndmask_b32_e32 v52, v53, v55, vcc
	v_cndmask_b32_e32 v30, v30, v54, vcc
	v_lshlrev_b32_e32 v28, 24, v28
	v_lshlrev_b32_e32 v30, 20, v30
	v_and_b32_e32 v28, 0x80000000, v28
	v_lshl_add_u32 v52, v52, 23, v38
	v_or3_b32 v30, v28, v52, v30
.LBB620_201:                            ;   in Loop: Header=BB620_17 Depth=1
	s_or_b64 exec, exec, s[10:11]
.LBB620_202:                            ;   in Loop: Header=BB620_17 Depth=1
	s_or_b64 exec, exec, s[6:7]
.LBB620_203:                            ;   in Loop: Header=BB620_17 Depth=1
	s_or_b64 exec, exec, s[4:5]
	v_cmp_lt_u32_e32 vcc, s15, v26
	v_mov_b32_e32 v52, 0
	s_and_saveexec_b64 s[4:5], vcc
	s_cbranch_execz .LBB620_16
; %bb.204:                              ;   in Loop: Header=BB620_17 Depth=1
	v_lshrrev_b32_e32 v28, 24, v26
	v_cmp_ne_u32_e32 vcc, s13, v28
	v_bfrev_b32_e32 v52, 1
	s_and_saveexec_b64 s[6:7], vcc
	s_cbranch_execz .LBB620_15
; %bb.205:                              ;   in Loop: Header=BB620_17 Depth=1
	v_bfe_u32 v26, v26, 24, 7
	v_cmp_ne_u32_e32 vcc, s14, v26
	v_mov_b32_e32 v52, 0x7f800001
	s_and_saveexec_b64 s[10:11], vcc
	s_cbranch_execz .LBB620_14
; %bb.206:                              ;   in Loop: Header=BB620_17 Depth=1
	v_and_b32_e32 v54, 7, v28
	v_ffbh_u32_e32 v52, v54
	v_min_u32_e32 v56, 32, v52
	v_subrev_u32_e32 v52, 28, v56
	v_lshlrev_b64 v[52:53], v52, v[28:29]
	v_lshrrev_b32_e32 v55, 3, v26
	v_sub_u32_e32 v53, 29, v56
	v_and_b32_e32 v52, 7, v52
	v_cmp_gt_u32_e32 vcc, 8, v26
	v_cndmask_b32_e32 v26, v55, v53, vcc
	v_cndmask_b32_e32 v52, v54, v52, vcc
	v_lshlrev_b32_e32 v28, 24, v28
	v_lshlrev_b32_e32 v52, 20, v52
	v_and_b32_e32 v28, 0x80000000, v28
	v_lshl_add_u32 v26, v26, 23, v38
	v_or3_b32 v52, v28, v26, v52
	s_branch .LBB620_14
.LBB620_207:
	buffer_load_dword v17, off, s[0:3], 0 offset:256
	buffer_load_dword v16, off, s[0:3], 0 offset:260
	;; [unrolled: 1-line block ×16, first 2 shown]
	v_and_b32_e32 v18, 0xc0, v0
	v_add_u32_e32 v18, s20, v18
	v_lshl_or_b32 v18, v1, 2, v18
	v_or_b32_e32 v20, 1, v18
	v_subrev_u32_e32 v24, s33, v20
	v_add_u32_e32 v26, 1, v24
	v_cvt_f32_i32_e32 v25, v24
	v_add_u32_e32 v28, 2, v24
	v_add_u32_e32 v30, 3, v24
	v_add_u32_e32 v32, 16, v24
	v_add_u32_e32 v34, 17, v24
	v_add_u32_e32 v35, 18, v24
	v_add_u32_e32 v36, 19, v24
	v_add_u32_e32 v37, 32, v24
	v_add_u32_e32 v38, 33, v24
	v_add_u32_e32 v40, 34, v24
	v_add_u32_e32 v42, 35, v24
	v_add_u32_e32 v44, 48, v24
	v_add_u32_e32 v52, 49, v24
	v_add_u32_e32 v53, 50, v24
	v_add_u32_e32 v24, 51, v24
	v_cvt_f32_i32_e32 v26, v26
	v_cvt_f32_i32_e32 v28, v28
	v_cvt_f32_i32_e32 v30, v30
	v_cvt_f32_i32_e32 v24, v24
	v_mov_b32_e32 v19, 0xff7fffff
	v_or_b32_e32 v21, 2, v18
	v_or_b32_e32 v22, 3, v18
	v_cvt_f32_i32_e32 v32, v32
	v_cvt_f32_i32_e32 v34, v34
	v_cmp_gt_i32_e64 s[28:29], s33, v18
	v_cmp_gt_i32_e64 s[30:31], s33, v20
	s_mov_b32 s52, 0xff7fffff
	v_cmp_gt_i32_e64 s[34:35], s33, v21
	v_cmp_gt_i32_e64 s[36:37], s33, v22
	v_or_b32_e32 v23, 16, v18
	v_cvt_f32_i32_e32 v35, v35
	v_cvt_f32_i32_e32 v36, v36
	v_cmp_gt_i32_e64 s[24:25], s33, v23
	v_cvt_f32_i32_e32 v37, v37
	v_cvt_f32_i32_e32 v38, v38
	;; [unrolled: 1-line block ×7, first 2 shown]
	s_waitcnt vmcnt(15)
	v_fmac_f32_e32 v17, v31, v25
	s_waitcnt vmcnt(14)
	v_fmac_f32_e32 v16, v31, v26
	;; [unrolled: 2-line block ×4, first 2 shown]
	v_cndmask_b32_e64 v20, v19, v16, s[30:31]
	v_cndmask_b32_e64 v21, v19, v15, s[34:35]
	;; [unrolled: 1-line block ×3, first 2 shown]
	s_waitcnt vmcnt(11)
	v_fmac_f32_e32 v13, v31, v32
	s_waitcnt vmcnt(10)
	v_fmac_f32_e32 v12, v31, v34
	s_waitcnt vmcnt(9)
	v_fmac_f32_e32 v11, v31, v35
	s_waitcnt vmcnt(8)
	v_fmac_f32_e32 v10, v31, v36
	s_waitcnt vmcnt(7)
	v_fmac_f32_e32 v9, v31, v37
	s_waitcnt vmcnt(6)
	v_fmac_f32_e32 v8, v31, v38
	s_waitcnt vmcnt(5)
	v_fmac_f32_e32 v7, v31, v40
	s_waitcnt vmcnt(4)
	v_fmac_f32_e32 v6, v31, v42
	s_waitcnt vmcnt(0)
	v_fmac_f32_e32 v2, v31, v24
	v_cndmask_b32_e64 v24, v19, v17, s[28:29]
	v_max3_f32 v20, v24, s52, v20
	v_max3_f32 v20, v20, v21, v22
	v_or_b32_e32 v22, 17, v18
	v_cmp_gt_i32_e64 s[38:39], s33, v22
	v_cndmask_b32_e64 v21, v19, v13, s[24:25]
	v_cndmask_b32_e64 v22, v19, v12, s[38:39]
	v_max3_f32 v20, v20, v21, v22
	v_or_b32_e32 v21, 18, v18
	v_or_b32_e32 v22, 19, v18
	v_cmp_gt_i32_e64 s[20:21], s33, v21
	v_cmp_gt_i32_e64 s[22:23], s33, v22
	v_cndmask_b32_e64 v21, v19, v11, s[20:21]
	v_cndmask_b32_e64 v22, v19, v10, s[22:23]
	v_max3_f32 v20, v20, v21, v22
	v_or_b32_e32 v21, 32, v18
	v_or_b32_e32 v22, 33, v18
	v_cmp_gt_i32_e64 s[16:17], s33, v21
	;; [unrolled: 7-line block ×3, first 2 shown]
	v_cmp_gt_i32_e64 s[14:15], s33, v22
	v_cndmask_b32_e64 v21, v19, v7, s[12:13]
	v_cndmask_b32_e64 v22, v19, v6, s[14:15]
	v_max3_f32 v20, v20, v21, v22
	v_or_b32_e32 v21, 48, v18
	v_or_b32_e32 v22, 49, v18
	v_fmac_f32_e32 v5, v31, v44
	v_fmac_f32_e32 v4, v31, v52
	v_cmp_gt_i32_e64 s[6:7], s33, v21
	v_cmp_gt_i32_e64 s[10:11], s33, v22
	v_cndmask_b32_e64 v21, v19, v5, s[6:7]
	v_cndmask_b32_e64 v22, v19, v4, s[10:11]
	v_max3_f32 v20, v20, v21, v22
	v_or_b32_e32 v21, 50, v18
	v_or_b32_e32 v18, 51, v18
	v_fmac_f32_e32 v3, v31, v53
	v_cmp_gt_i32_e32 vcc, s33, v21
	v_cmp_gt_i32_e64 s[4:5], s33, v18
	v_cndmask_b32_e32 v21, v19, v3, vcc
	v_cndmask_b32_e64 v18, v19, v2, s[4:5]
	v_mbcnt_lo_u32_b32 v19, -1, 0
	v_mbcnt_hi_u32_b32 v19, -1, v19
	v_max3_f32 v18, v20, v21, v18
	v_and_b32_e32 v20, 64, v19
	v_add_u32_e32 v20, 64, v20
	v_xor_b32_e32 v21, 32, v19
	v_cmp_lt_i32_e64 s[40:41], v21, v20
	v_cndmask_b32_e64 v21, v19, v21, s[40:41]
	v_lshlrev_b32_e32 v21, 2, v21
	ds_bpermute_b32 v22, v21, v18
	s_waitcnt lgkmcnt(0)
	v_max_f32_e32 v22, v22, v22
	v_max_f32_e32 v18, v18, v22
	v_xor_b32_e32 v22, 16, v19
	v_cmp_lt_i32_e64 s[40:41], v22, v20
	v_cndmask_b32_e64 v19, v19, v22, s[40:41]
	v_lshlrev_b32_e32 v19, 2, v19
	ds_bpermute_b32 v20, v19, v18
	s_waitcnt lgkmcnt(0)
	v_max_f32_e32 v20, v20, v20
	v_max_f32_e32 v18, v18, v20
	v_sub_f32_e32 v17, v17, v18
	v_mul_f32_e32 v17, 0x3fb8aa3b, v17
	v_sub_f32_e32 v16, v16, v18
	v_exp_f32_e32 v17, v17
	v_mul_f32_e32 v16, 0x3fb8aa3b, v16
	v_sub_f32_e32 v15, v15, v18
	v_exp_f32_e32 v16, v16
	;; [unrolled: 3-line block ×4, first 2 shown]
	v_mul_f32_e32 v13, 0x3fb8aa3b, v13
	v_sub_f32_e32 v12, v12, v18
	v_cndmask_b32_e64 v17, 0, v17, s[28:29]
	v_exp_f32_e32 v13, v13
	v_mul_f32_e32 v12, 0x3fb8aa3b, v12
	v_sub_f32_e32 v11, v11, v18
	v_add_f32_e32 v20, 0, v17
	v_cndmask_b32_e64 v16, 0, v16, s[30:31]
	v_exp_f32_e32 v12, v12
	v_mul_f32_e32 v11, 0x3fb8aa3b, v11
	v_sub_f32_e32 v10, v10, v18
	v_add_f32_e32 v20, v20, v16
	;; [unrolled: 5-line block ×4, first 2 shown]
	v_cndmask_b32_e64 v13, 0, v13, s[24:25]
	v_exp_f32_e32 v9, v9
	v_mul_f32_e32 v8, 0x3fb8aa3b, v8
	v_sub_f32_e32 v7, v7, v18
	buffer_store_dword v17, off, s[0:3], 0 offset:256
	buffer_store_dword v16, off, s[0:3], 0 offset:260
	buffer_store_dword v15, off, s[0:3], 0 offset:264
	buffer_store_dword v14, off, s[0:3], 0 offset:268
	v_add_f32_e32 v14, v20, v13
	v_cndmask_b32_e64 v12, 0, v12, s[38:39]
	v_exp_f32_e32 v8, v8
	v_mul_f32_e32 v7, 0x3fb8aa3b, v7
	v_sub_f32_e32 v6, v6, v18
	v_add_f32_e32 v14, v14, v12
	v_cndmask_b32_e64 v11, 0, v11, s[20:21]
	v_exp_f32_e32 v7, v7
	v_mul_f32_e32 v6, 0x3fb8aa3b, v6
	v_sub_f32_e32 v5, v5, v18
	;; [unrolled: 5-line block ×4, first 2 shown]
	buffer_store_dword v13, off, s[0:3], 0 offset:272
	buffer_store_dword v12, off, s[0:3], 0 offset:276
	buffer_store_dword v11, off, s[0:3], 0 offset:280
	buffer_store_dword v10, off, s[0:3], 0 offset:284
	v_add_f32_e32 v10, v14, v9
	v_cndmask_b32_e64 v8, 0, v8, s[18:19]
	v_exp_f32_e32 v4, v4
	v_mul_f32_e32 v3, 0x3fb8aa3b, v3
	v_sub_f32_e32 v2, v2, v18
	v_add_f32_e32 v10, v10, v8
	v_cndmask_b32_e64 v7, 0, v7, s[12:13]
	v_exp_f32_e32 v3, v3
	v_mul_f32_e32 v2, 0x3fb8aa3b, v2
	v_add_f32_e32 v10, v10, v7
	v_cndmask_b32_e64 v6, 0, v6, s[14:15]
	v_exp_f32_e32 v2, v2
	v_add_f32_e32 v10, v10, v6
	v_cndmask_b32_e64 v5, 0, v5, s[6:7]
	buffer_store_dword v9, off, s[0:3], 0 offset:288
	buffer_store_dword v8, off, s[0:3], 0 offset:292
	;; [unrolled: 1-line block ×4, first 2 shown]
	v_add_f32_e32 v6, v10, v5
	v_cndmask_b32_e64 v4, 0, v4, s[10:11]
	v_add_f32_e32 v6, v6, v4
	v_cndmask_b32_e32 v3, 0, v3, vcc
	v_add_f32_e32 v6, v6, v3
	v_cndmask_b32_e64 v2, 0, v2, s[4:5]
	v_add_f32_e32 v6, v6, v2
	ds_bpermute_b32 v7, v21, v6
	buffer_store_dword v5, off, s[0:3], 0 offset:304
	buffer_store_dword v4, off, s[0:3], 0 offset:308
	;; [unrolled: 1-line block ×4, first 2 shown]
	v_cmp_gt_u32_e32 vcc, 16, v33
	s_waitcnt lgkmcnt(0)
	s_barrier
	v_add_f32_e32 v2, v6, v7
	ds_bpermute_b32 v3, v19, v2
	s_waitcnt lgkmcnt(0)
	s_and_saveexec_b64 s[4:5], vcc
	s_cbranch_execz .LBB620_209
; %bb.208:
	v_add_f32_e32 v2, v2, v3
	v_lshlrev_b32_e32 v3, 2, v29
	ds_write2st64_b32 v3, v18, v2 offset1:1
.LBB620_209:
	s_or_b64 exec, exec, s[4:5]
	v_lshlrev_b32_e32 v2, 2, v41
	s_waitcnt lgkmcnt(0)
	s_barrier
	ds_read2_b32 v[12:13], v2 offset1:16
	ds_read2_b32 v[14:15], v2 offset0:32 offset1:48
	ds_read2_b32 v[6:7], v2 offset0:64 offset1:80
	;; [unrolled: 1-line block ×3, first 2 shown]
	s_waitcnt lgkmcnt(0)
	s_barrier
	buffer_load_dword v20, off, s[0:3], 0 offset:256
	buffer_load_dword v21, off, s[0:3], 0 offset:260
	;; [unrolled: 1-line block ×16, first 2 shown]
	v_lshlrev_b32_e32 v19, 3, v1
	v_lshlrev_b32_e32 v18, 5, v41
	;; [unrolled: 1-line block ×3, first 2 shown]
	v_or3_b32 v52, v26, v18, v19
	v_max3_f32 v19, v12, s52, v13
	v_max3_f32 v19, v19, v14, v15
	v_sub_f32_e32 v12, v12, v19
	v_sub_f32_e32 v13, v13, v19
	v_mul_f32_e32 v12, 0x3fb8aa3b, v12
	v_sub_f32_e32 v14, v14, v19
	v_mul_f32_e32 v13, 0x3fb8aa3b, v13
	v_exp_f32_e32 v12, v12
	v_sub_f32_e32 v15, v15, v19
	v_mul_f32_e32 v14, 0x3fb8aa3b, v14
	v_exp_f32_e32 v13, v13
	v_mul_f32_e32 v15, 0x3fb8aa3b, v15
	v_exp_f32_e32 v14, v14
	v_exp_f32_e32 v15, v15
	v_fma_f32 v6, v12, v6, 0
	v_fmac_f32_e32 v6, v13, v7
	v_fmac_f32_e32 v6, v14, v10
	;; [unrolled: 1-line block ×3, first 2 shown]
	v_cmp_eq_u32_e32 vcc, 1, v27
	v_add_f32_e32 v10, 0x358637bd, v6
	v_cndmask_b32_e32 v12, v12, v13, vcc
	v_cmp_eq_u32_e32 vcc, 2, v27
	v_div_scale_f32 v11, s[4:5], v10, v10, 1.0
	v_cndmask_b32_e32 v7, v12, v14, vcc
	v_rcp_f32_e32 v12, v11
	v_cmp_eq_u32_e32 vcc, 3, v27
	v_cndmask_b32_e32 v7, v7, v15, vcc
	v_div_scale_f32 v13, vcc, 1.0, v10, 1.0
	v_fma_f32 v14, -v11, v12, 1.0
	v_fmac_f32_e32 v12, v14, v12
	v_mul_f32_e32 v14, v13, v12
	v_fma_f32 v15, -v11, v14, v13
	v_fmac_f32_e32 v14, v15, v12
	v_fma_f32 v11, -v11, v14, v13
	v_div_fmas_f32 v11, v11, v12, v14
	v_div_fixup_f32 v10, v11, v10, 1.0
	v_mul_f32_e32 v10, v7, v10
	s_mul_i32 s18, s49, 15
	v_cmp_gt_u32_e32 vcc, 15, v0
	s_waitcnt vmcnt(14)
	v_pk_mul_f32 v[14:15], v[10:11], v[20:21] op_sel_hi:[0,1]
	v_cvt_f16_f32_e32 v7, v14
	s_waitcnt vmcnt(12)
	v_pk_mul_f32 v[12:13], v[10:11], v[22:23] op_sel_hi:[0,1]
	buffer_store_dword v14, off, s[0:3], 0 offset:256
	buffer_store_dword v15, off, s[0:3], 0 offset:260
	;; [unrolled: 1-line block ×3, first 2 shown]
	s_waitcnt vmcnt(13)
	v_pk_mul_f32 v[20:21], v[10:11], v[24:25] op_sel_hi:[0,1]
	v_cvt_f16_f32_e32 v14, v12
	s_waitcnt vmcnt(11)
	v_pk_mul_f32 v[22:23], v[10:11], v[28:29] op_sel_hi:[0,1]
	v_cvt_f16_f32_e32 v11, v15
	v_cvt_f16_f32_e32 v15, v13
	buffer_store_dword v13, off, s[0:3], 0 offset:268
	buffer_store_dword v22, off, s[0:3], 0 offset:272
	;; [unrolled: 1-line block ×3, first 2 shown]
	v_pack_b32_f16 v12, v7, v11
	v_cvt_f16_f32_e32 v11, v23
	v_pack_b32_f16 v13, v14, v15
	v_cvt_f16_f32_e32 v7, v22
	v_cvt_f16_f32_e32 v15, v20
	;; [unrolled: 1-line block ×3, first 2 shown]
	s_waitcnt vmcnt(12)
	v_pk_mul_f32 v[4:5], v[10:11], v[4:5] op_sel_hi:[0,1]
	v_pack_b32_f16 v14, v7, v11
	s_waitcnt vmcnt(10)
	v_pk_mul_f32 v[2:3], v[10:11], v[2:3] op_sel_hi:[0,1]
	v_pack_b32_f16 v15, v15, v22
	v_cvt_f16_f32_e32 v11, v5
	buffer_store_dword v20, off, s[0:3], 0 offset:280
	buffer_store_dword v21, off, s[0:3], 0 offset:284
	ds_write2st64_b64 v52, v[12:13], v[14:15] offset1:1
	buffer_store_dword v2, off, s[0:3], 0 offset:288
	buffer_store_dword v3, off, s[0:3], 0 offset:292
	v_cvt_f16_f32_e32 v2, v2
	v_cvt_f16_f32_e32 v3, v3
	v_cvt_f16_f32_e32 v7, v4
	buffer_store_dword v4, off, s[0:3], 0 offset:296
	buffer_store_dword v5, off, s[0:3], 0 offset:300
	s_waitcnt vmcnt(12)
	v_pk_mul_f32 v[4:5], v[10:11], v[16:17] op_sel_hi:[0,1]
	v_pk_mul_f32 v[8:9], v[10:11], v[8:9] op_sel_hi:[0,1]
	v_pack_b32_f16 v2, v2, v3
	v_pack_b32_f16 v3, v7, v11
	buffer_store_dword v8, off, s[0:3], 0 offset:304
	buffer_store_dword v9, off, s[0:3], 0 offset:308
	v_cvt_f16_f32_e32 v7, v8
	v_cvt_f16_f32_e32 v8, v9
	;; [unrolled: 1-line block ×4, first 2 shown]
	buffer_store_dword v4, off, s[0:3], 0 offset:312
	buffer_store_dword v5, off, s[0:3], 0 offset:316
	v_pack_b32_f16 v4, v7, v8
	v_pack_b32_f16 v5, v9, v10
	ds_write2st64_b64 v52, v[2:3], v[4:5] offset0:2 offset1:3
	s_and_saveexec_b64 s[4:5], vcc
	s_cbranch_execz .LBB620_211
; %bb.210:
	v_add_co_u32_e32 v4, vcc, s27, v41
	v_addc_co_u32_e64 v5, s[6:7], 0, 0, vcc
	v_mov_b32_e32 v2, s18
	v_mad_u64_u32 v[4:5], s[6:7], s8, v2, v[4:5]
	v_mov_b32_e32 v3, 0
	s_mul_i32 s6, s9, s18
	v_mov_b32_e32 v2, s26
	v_add_u32_e32 v5, s6, v5
	v_mad_u64_u32 v[2:3], s[6:7], v4, s48, v[2:3]
	v_mov_b32_e32 v4, v3
	v_mad_u64_u32 v[4:5], s[6:7], v5, s48, v[4:5]
	v_mov_b32_e32 v3, v4
	v_lshlrev_b64 v[2:3], 2, v[2:3]
	v_mov_b32_e32 v5, s47
	v_add_co_u32_e32 v4, vcc, s46, v2
	v_addc_co_u32_e32 v5, vcc, v5, v3, vcc
	global_store_dword v[4:5], v19, off
	v_mov_b32_e32 v4, s45
	v_add_co_u32_e32 v2, vcc, s44, v2
	v_addc_co_u32_e32 v3, vcc, v4, v3, vcc
	global_store_dword v[2:3], v6, off
.LBB620_211:
	s_or_b64 exec, exec, s[4:5]
	v_lshl_or_b32 v30, v1, 9, v18
	s_waitcnt lgkmcnt(0)
	s_barrier
	s_load_dword s4, s[42:43], 0x0
	ds_read_b128 v[2:5], v30
	ds_read_b128 v[6:9], v30 offset:16
	ds_read_b128 v[10:13], v30 offset:2048
	;; [unrolled: 1-line block ×7, first 2 shown]
	v_mov_b32_e32 v35, 0x80
	v_mov_b32_e32 v53, 0x140
	s_mov_b64 s[10:11], -1
	s_waitcnt lgkmcnt(0)
	s_mov_b32 s5, s4
	s_mov_b32 s6, s4
	;; [unrolled: 1-line block ×3, first 2 shown]
	s_movk_i32 s9, 0x80
	s_movk_i32 s19, 0x7f
	s_mov_b32 s20, 0xffffff
	v_mov_b32_e32 v54, 0
	v_bfrev_b32_e32 v55, 60
	s_branch .LBB620_215
.LBB620_212:                            ;   in Loop: Header=BB620_215 Depth=1
	s_or_b64 exec, exec, s[16:17]
.LBB620_213:                            ;   in Loop: Header=BB620_215 Depth=1
	s_or_b64 exec, exec, s[14:15]
.LBB620_214:                            ;   in Loop: Header=BB620_215 Depth=1
	s_or_b64 exec, exec, s[12:13]
	v_cvt_pkrtz_f16_f32 v60, v46, v50
	v_cvt_pkrtz_f16_f32 v61, v44, v56
	s_xor_b64 s[12:13], s[10:11], -1
	s_mov_b64 s[10:11], 0
	v_mov_b32_e32 v46, v47
	v_mfma_f32_16x16x16f16 v[60:63], v[60:61], v[30:31], v[34:37]
	v_mov_b32_e32 v50, v49
	s_and_b64 vcc, exec, s[12:13]
	s_nop 4
	v_cvt_pkrtz_f16_f32 v36, v51, v57
	v_cvt_pkrtz_f16_f32 v37, v42, v58
	v_mov_b32_e32 v35, v45
	v_mov_b32_e32 v51, v48
	v_mfma_f32_16x16x16f16 v[56:59], v[36:37], v[32:33], v[60:63]
	s_nop 7
	s_nop 2
	v_pk_mul_f32 v[56:57], v[56:57], s[4:5]
	v_pk_mul_f32 v[36:37], v[58:59], s[6:7]
	v_cvt_f16_f32_e32 v34, v56
	v_cvt_f16_f32_e32 v38, v57
	;; [unrolled: 1-line block ×4, first 2 shown]
	v_pack_b32_f16 v34, v34, v38
	v_pack_b32_f16 v36, v36, v37
	buffer_store_dword v34, v53, s[0:3], 0 offen
	buffer_store_dword v36, v53, s[0:3], 0 offen offset:4
	v_mov_b32_e32 v53, 0x148
	s_cbranch_vccnz .LBB620_597
.LBB620_215:                            ; =>This Inner Loop Header: Depth=1
	buffer_load_dword v36, v35, s[0:3], 0 offen
	buffer_load_dword v34, v35, s[0:3], 0 offen offset:4
	buffer_load_dword v40, v35, s[0:3], 0 offen offset:8
	;; [unrolled: 1-line block ×3, first 2 shown]
	v_mov_b32_e32 v35, 0
	s_waitcnt vmcnt(3)
	v_cmp_ne_u16_sdwa s[14:15], v36, v54 src0_sel:BYTE_0 src1_sel:DWORD
	s_and_saveexec_b64 s[12:13], s[14:15]
	s_cbranch_execz .LBB620_221
; %bb.216:                              ;   in Loop: Header=BB620_215 Depth=1
	v_cmp_ne_u16_sdwa s[16:17], v36, s9 src0_sel:BYTE_0 src1_sel:DWORD
	v_bfrev_b32_e32 v35, 1
	s_and_saveexec_b64 s[14:15], s[16:17]
	s_cbranch_execz .LBB620_220
; %bb.217:                              ;   in Loop: Header=BB620_215 Depth=1
	v_and_b32_e32 v37, 0x7f, v36
	v_cmp_ne_u32_e32 vcc, s19, v37
	v_mov_b32_e32 v35, 0x7f800001
	s_and_saveexec_b64 s[16:17], vcc
	s_cbranch_execz .LBB620_219
; %bb.218:                              ;   in Loop: Header=BB620_215 Depth=1
	v_and_b32_e32 v35, 7, v36
	v_ffbh_u32_e32 v44, v35
	v_min_u32_e32 v44, 32, v44
	v_subrev_u32_e32 v56, 28, v44
	v_lshlrev_b64 v[56:57], v56, v[36:37]
	v_lshrrev_b32_e32 v42, 3, v37
	v_sub_u32_e32 v44, 29, v44
	v_and_b32_e32 v56, 7, v56
	v_cmp_gt_u32_e32 vcc, 8, v37
	v_cndmask_b32_e32 v37, v42, v44, vcc
	v_cndmask_b32_e32 v35, v35, v56, vcc
	v_lshlrev_b32_e32 v42, 24, v36
	v_lshlrev_b32_e32 v35, 20, v35
	v_and_b32_e32 v42, 0x80000000, v42
	v_lshl_add_u32 v37, v37, 23, v55
	v_or3_b32 v35, v42, v37, v35
.LBB620_219:                            ;   in Loop: Header=BB620_215 Depth=1
	s_or_b64 exec, exec, s[16:17]
.LBB620_220:                            ;   in Loop: Header=BB620_215 Depth=1
	s_or_b64 exec, exec, s[14:15]
.LBB620_221:                            ;   in Loop: Header=BB620_215 Depth=1
	s_or_b64 exec, exec, s[12:13]
	v_lshrrev_b16_e32 v42, 8, v36
	v_cmp_ne_u16_e32 vcc, 0, v42
	v_mov_b32_e32 v37, 0
	s_and_saveexec_b64 s[12:13], vcc
	s_cbranch_execz .LBB620_227
; %bb.222:                              ;   in Loop: Header=BB620_215 Depth=1
	v_cmp_ne_u16_e32 vcc, s9, v42
	v_bfrev_b32_e32 v37, 1
	s_and_saveexec_b64 s[14:15], vcc
	s_cbranch_execz .LBB620_226
; %bb.223:                              ;   in Loop: Header=BB620_215 Depth=1
	v_and_b32_e32 v44, 0x7f, v42
	v_cmp_ne_u32_e32 vcc, s19, v44
	v_mov_b32_e32 v37, 0x7f800001
	s_and_saveexec_b64 s[16:17], vcc
	s_cbranch_execz .LBB620_225
; %bb.224:                              ;   in Loop: Header=BB620_215 Depth=1
	v_and_b32_e32 v37, 7, v42
	v_ffbh_u32_e32 v56, v37
	v_min_u32_e32 v59, 32, v56
	v_subrev_u32_e32 v56, 28, v59
	v_lshlrev_b64 v[56:57], v56, v[42:43]
	v_lshrrev_b32_e32 v58, 3, v44
	v_sub_u32_e32 v42, 29, v59
	v_and_b32_e32 v56, 7, v56
	v_cmp_gt_u32_e32 vcc, 8, v44
	v_cndmask_b32_e32 v42, v58, v42, vcc
	v_cndmask_b32_e32 v37, v37, v56, vcc
	v_lshlrev_b32_e32 v44, 16, v36
	v_lshlrev_b32_e32 v37, 20, v37
	v_and_b32_e32 v44, 0x80000000, v44
	v_lshl_add_u32 v42, v42, 23, v55
	v_or3_b32 v37, v44, v42, v37
.LBB620_225:                            ;   in Loop: Header=BB620_215 Depth=1
	s_or_b64 exec, exec, s[16:17]
.LBB620_226:                            ;   in Loop: Header=BB620_215 Depth=1
	s_or_b64 exec, exec, s[14:15]
.LBB620_227:                            ;   in Loop: Header=BB620_215 Depth=1
	s_or_b64 exec, exec, s[12:13]
	v_lshrrev_b32_e32 v42, 16, v36
	v_cmp_ne_u16_sdwa s[14:15], v42, v54 src0_sel:BYTE_0 src1_sel:DWORD
	v_mov_b32_e32 v56, 0
	v_mov_b32_e32 v44, 0
	s_and_saveexec_b64 s[12:13], s[14:15]
	s_cbranch_execz .LBB620_233
; %bb.228:                              ;   in Loop: Header=BB620_215 Depth=1
	v_cmp_ne_u16_sdwa s[16:17], v42, s9 src0_sel:BYTE_0 src1_sel:DWORD
	v_bfrev_b32_e32 v44, 1
	s_and_saveexec_b64 s[14:15], s[16:17]
	s_cbranch_execz .LBB620_232
; %bb.229:                              ;   in Loop: Header=BB620_215 Depth=1
	v_bfe_u32 v57, v36, 16, 7
	v_cmp_ne_u32_e32 vcc, s19, v57
	v_mov_b32_e32 v44, 0x7f800001
	s_and_saveexec_b64 s[16:17], vcc
	s_cbranch_execz .LBB620_231
; %bb.230:                              ;   in Loop: Header=BB620_215 Depth=1
	v_and_b32_e32 v44, 7, v42
	v_ffbh_u32_e32 v58, v44
	v_min_u32_e32 v61, 32, v58
	v_subrev_u32_e32 v58, 28, v61
	v_lshlrev_b64 v[58:59], v58, v[42:43]
	v_lshrrev_b32_e32 v60, 3, v57
	v_sub_u32_e32 v59, 29, v61
	v_and_b32_e32 v58, 7, v58
	v_cmp_gt_u32_e32 vcc, 8, v57
	v_cndmask_b32_e32 v57, v60, v59, vcc
	v_cndmask_b32_e32 v44, v44, v58, vcc
	v_lshlrev_b32_e32 v42, 24, v42
	v_lshlrev_b32_e32 v44, 20, v44
	v_and_b32_e32 v42, 0x80000000, v42
	v_lshl_add_u32 v57, v57, 23, v55
	v_or3_b32 v44, v42, v57, v44
.LBB620_231:                            ;   in Loop: Header=BB620_215 Depth=1
	s_or_b64 exec, exec, s[16:17]
.LBB620_232:                            ;   in Loop: Header=BB620_215 Depth=1
	s_or_b64 exec, exec, s[14:15]
.LBB620_233:                            ;   in Loop: Header=BB620_215 Depth=1
	s_or_b64 exec, exec, s[12:13]
	v_cmp_lt_u32_e32 vcc, s20, v36
	s_and_saveexec_b64 s[12:13], vcc
	s_cbranch_execz .LBB620_239
; %bb.234:                              ;   in Loop: Header=BB620_215 Depth=1
	v_lshrrev_b32_e32 v42, 24, v36
	v_cmp_ne_u32_e32 vcc, s9, v42
	v_bfrev_b32_e32 v56, 1
	s_and_saveexec_b64 s[14:15], vcc
	s_cbranch_execz .LBB620_238
; %bb.235:                              ;   in Loop: Header=BB620_215 Depth=1
	v_bfe_u32 v36, v36, 24, 7
	v_cmp_ne_u32_e32 vcc, s19, v36
	v_mov_b32_e32 v56, 0x7f800001
	s_and_saveexec_b64 s[16:17], vcc
	s_cbranch_execz .LBB620_237
; %bb.236:                              ;   in Loop: Header=BB620_215 Depth=1
	v_and_b32_e32 v58, 7, v42
	v_ffbh_u32_e32 v56, v58
	v_min_u32_e32 v60, 32, v56
	v_subrev_u32_e32 v56, 28, v60
	v_lshlrev_b64 v[56:57], v56, v[42:43]
	v_lshrrev_b32_e32 v59, 3, v36
	v_sub_u32_e32 v57, 29, v60
	v_and_b32_e32 v56, 7, v56
	v_cmp_gt_u32_e32 vcc, 8, v36
	v_cndmask_b32_e32 v36, v59, v57, vcc
	v_cndmask_b32_e32 v56, v58, v56, vcc
	v_lshlrev_b32_e32 v42, 24, v42
	v_lshlrev_b32_e32 v56, 20, v56
	v_and_b32_e32 v42, 0x80000000, v42
	v_lshl_add_u32 v36, v36, 23, v55
	v_or3_b32 v56, v42, v36, v56
.LBB620_237:                            ;   in Loop: Header=BB620_215 Depth=1
	s_or_b64 exec, exec, s[16:17]
.LBB620_238:                            ;   in Loop: Header=BB620_215 Depth=1
	s_or_b64 exec, exec, s[14:15]
.LBB620_239:                            ;   in Loop: Header=BB620_215 Depth=1
	s_or_b64 exec, exec, s[12:13]
	s_waitcnt vmcnt(2)
	v_cmp_ne_u16_sdwa s[14:15], v34, v54 src0_sel:BYTE_0 src1_sel:DWORD
	v_mov_b32_e32 v42, 0
	v_mov_b32_e32 v57, 0
	s_and_saveexec_b64 s[12:13], s[14:15]
	s_cbranch_execz .LBB620_245
; %bb.240:                              ;   in Loop: Header=BB620_215 Depth=1
	v_cmp_ne_u16_sdwa s[16:17], v34, s9 src0_sel:BYTE_0 src1_sel:DWORD
	v_bfrev_b32_e32 v57, 1
	s_and_saveexec_b64 s[14:15], s[16:17]
	s_cbranch_execz .LBB620_244
; %bb.241:                              ;   in Loop: Header=BB620_215 Depth=1
	v_and_b32_e32 v36, 0x7f, v34
	v_cmp_ne_u32_e32 vcc, s19, v36
	v_mov_b32_e32 v57, 0x7f800001
	s_and_saveexec_b64 s[16:17], vcc
	s_cbranch_execz .LBB620_243
; %bb.242:                              ;   in Loop: Header=BB620_215 Depth=1
	v_and_b32_e32 v57, 7, v34
	v_ffbh_u32_e32 v58, v57
	v_min_u32_e32 v61, 32, v58
	v_subrev_u32_e32 v58, 28, v61
	v_lshlrev_b64 v[58:59], v58, v[34:35]
	v_lshrrev_b32_e32 v60, 3, v36
	v_sub_u32_e32 v59, 29, v61
	v_and_b32_e32 v58, 7, v58
	v_cmp_gt_u32_e32 vcc, 8, v36
	v_cndmask_b32_e32 v36, v60, v59, vcc
	v_cndmask_b32_e32 v57, v57, v58, vcc
	v_lshlrev_b32_e32 v58, 24, v34
	v_lshlrev_b32_e32 v57, 20, v57
	v_and_b32_e32 v58, 0x80000000, v58
	v_lshl_add_u32 v36, v36, 23, v55
	v_or3_b32 v57, v58, v36, v57
.LBB620_243:                            ;   in Loop: Header=BB620_215 Depth=1
	s_or_b64 exec, exec, s[16:17]
.LBB620_244:                            ;   in Loop: Header=BB620_215 Depth=1
	s_or_b64 exec, exec, s[14:15]
.LBB620_245:                            ;   in Loop: Header=BB620_215 Depth=1
	s_or_b64 exec, exec, s[12:13]
	v_lshrrev_b16_e32 v36, 8, v34
	v_cmp_ne_u16_e32 vcc, 0, v36
	s_and_saveexec_b64 s[12:13], vcc
	s_cbranch_execz .LBB620_251
; %bb.246:                              ;   in Loop: Header=BB620_215 Depth=1
	v_cmp_ne_u16_e32 vcc, s9, v36
	v_bfrev_b32_e32 v42, 1
	s_and_saveexec_b64 s[14:15], vcc
	s_cbranch_execz .LBB620_250
; %bb.247:                              ;   in Loop: Header=BB620_215 Depth=1
	v_and_b32_e32 v58, 0x7f, v36
	v_cmp_ne_u32_e32 vcc, s19, v58
	v_mov_b32_e32 v42, 0x7f800001
	s_and_saveexec_b64 s[16:17], vcc
	s_cbranch_execz .LBB620_249
; %bb.248:                              ;   in Loop: Header=BB620_215 Depth=1
	v_and_b32_e32 v42, 7, v36
	v_ffbh_u32_e32 v60, v42
	v_min_u32_e32 v62, 32, v60
	v_subrev_u32_e32 v60, 28, v62
	v_lshlrev_b64 v[60:61], v60, v[36:37]
	v_lshrrev_b32_e32 v59, 3, v58
	v_sub_u32_e32 v36, 29, v62
	v_and_b32_e32 v60, 7, v60
	v_cmp_gt_u32_e32 vcc, 8, v58
	v_cndmask_b32_e32 v36, v59, v36, vcc
	v_cndmask_b32_e32 v42, v42, v60, vcc
	v_lshlrev_b32_e32 v58, 16, v34
	v_lshlrev_b32_e32 v42, 20, v42
	v_and_b32_e32 v58, 0x80000000, v58
	v_lshl_add_u32 v36, v36, 23, v55
	v_or3_b32 v42, v58, v36, v42
.LBB620_249:                            ;   in Loop: Header=BB620_215 Depth=1
	s_or_b64 exec, exec, s[16:17]
.LBB620_250:                            ;   in Loop: Header=BB620_215 Depth=1
	s_or_b64 exec, exec, s[14:15]
.LBB620_251:                            ;   in Loop: Header=BB620_215 Depth=1
	s_or_b64 exec, exec, s[12:13]
	v_lshrrev_b32_e32 v36, 16, v34
	v_cmp_ne_u16_sdwa s[14:15], v36, v54 src0_sel:BYTE_0 src1_sel:DWORD
	v_mov_b32_e32 v59, 0
	v_mov_b32_e32 v58, 0
	s_and_saveexec_b64 s[12:13], s[14:15]
	s_cbranch_execz .LBB620_257
; %bb.252:                              ;   in Loop: Header=BB620_215 Depth=1
	v_cmp_ne_u16_sdwa s[16:17], v36, s9 src0_sel:BYTE_0 src1_sel:DWORD
	v_bfrev_b32_e32 v58, 1
	s_and_saveexec_b64 s[14:15], s[16:17]
	s_cbranch_execz .LBB620_256
; %bb.253:                              ;   in Loop: Header=BB620_215 Depth=1
	v_bfe_u32 v60, v34, 16, 7
	v_cmp_ne_u32_e32 vcc, s19, v60
	v_mov_b32_e32 v58, 0x7f800001
	s_and_saveexec_b64 s[16:17], vcc
	s_cbranch_execz .LBB620_255
; %bb.254:                              ;   in Loop: Header=BB620_215 Depth=1
	v_and_b32_e32 v58, 7, v36
	v_ffbh_u32_e32 v62, v58
	v_min_u32_e32 v64, 32, v62
	v_subrev_u32_e32 v62, 28, v64
	v_lshlrev_b64 v[62:63], v62, v[36:37]
	v_lshrrev_b32_e32 v61, 3, v60
	v_sub_u32_e32 v63, 29, v64
	v_and_b32_e32 v62, 7, v62
	v_cmp_gt_u32_e32 vcc, 8, v60
	v_cndmask_b32_e32 v60, v61, v63, vcc
	v_cndmask_b32_e32 v58, v58, v62, vcc
	v_lshlrev_b32_e32 v36, 24, v36
	v_lshlrev_b32_e32 v58, 20, v58
	v_and_b32_e32 v36, 0x80000000, v36
	v_lshl_add_u32 v60, v60, 23, v55
	v_or3_b32 v58, v36, v60, v58
.LBB620_255:                            ;   in Loop: Header=BB620_215 Depth=1
	s_or_b64 exec, exec, s[16:17]
.LBB620_256:                            ;   in Loop: Header=BB620_215 Depth=1
	s_or_b64 exec, exec, s[14:15]
.LBB620_257:                            ;   in Loop: Header=BB620_215 Depth=1
	s_or_b64 exec, exec, s[12:13]
	v_cmp_lt_u32_e32 vcc, s20, v34
	s_and_saveexec_b64 s[12:13], vcc
	s_cbranch_execz .LBB620_263
; %bb.258:                              ;   in Loop: Header=BB620_215 Depth=1
	v_lshrrev_b32_e32 v36, 24, v34
	v_cmp_ne_u32_e32 vcc, s9, v36
	v_bfrev_b32_e32 v59, 1
	s_and_saveexec_b64 s[14:15], vcc
	s_cbranch_execz .LBB620_262
; %bb.259:                              ;   in Loop: Header=BB620_215 Depth=1
	v_bfe_u32 v34, v34, 24, 7
	v_cmp_ne_u32_e32 vcc, s19, v34
	v_mov_b32_e32 v59, 0x7f800001
	s_and_saveexec_b64 s[16:17], vcc
	s_cbranch_execz .LBB620_261
; %bb.260:                              ;   in Loop: Header=BB620_215 Depth=1
	v_and_b32_e32 v59, 7, v36
	v_ffbh_u32_e32 v60, v59
	v_min_u32_e32 v63, 32, v60
	v_subrev_u32_e32 v60, 28, v63
	v_lshlrev_b64 v[60:61], v60, v[36:37]
	v_lshrrev_b32_e32 v62, 3, v34
	v_sub_u32_e32 v61, 29, v63
	v_and_b32_e32 v60, 7, v60
	v_cmp_gt_u32_e32 vcc, 8, v34
	v_cndmask_b32_e32 v34, v62, v61, vcc
	v_cndmask_b32_e32 v59, v59, v60, vcc
	v_lshlrev_b32_e32 v36, 24, v36
	v_lshlrev_b32_e32 v59, 20, v59
	v_and_b32_e32 v36, 0x80000000, v36
	v_lshl_add_u32 v34, v34, 23, v55
	v_or3_b32 v59, v36, v34, v59
.LBB620_261:                            ;   in Loop: Header=BB620_215 Depth=1
	s_or_b64 exec, exec, s[16:17]
.LBB620_262:                            ;   in Loop: Header=BB620_215 Depth=1
	s_or_b64 exec, exec, s[14:15]
.LBB620_263:                            ;   in Loop: Header=BB620_215 Depth=1
	s_or_b64 exec, exec, s[12:13]
	v_cvt_pkrtz_f16_f32 v34, v35, v37
	v_cvt_pkrtz_f16_f32 v35, v44, v56
	;; [unrolled: 1-line block ×4, first 2 shown]
	v_mov_b32_e32 v44, 0
	v_mfma_f32_16x16x16f16 v[34:37], v[34:35], v[2:3], 0
	s_waitcnt vmcnt(1)
	v_cmp_ne_u16_sdwa s[14:15], v40, v54 src0_sel:BYTE_0 src1_sel:DWORD
	v_mov_b32_e32 v57, 0
	v_mfma_f32_16x16x16f16 v[34:37], v[60:61], v[4:5], v[34:37]
	s_and_saveexec_b64 s[12:13], s[14:15]
	s_cbranch_execz .LBB620_269
; %bb.264:                              ;   in Loop: Header=BB620_215 Depth=1
	v_cmp_ne_u16_sdwa s[16:17], v40, s9 src0_sel:BYTE_0 src1_sel:DWORD
	v_bfrev_b32_e32 v57, 1
	s_and_saveexec_b64 s[14:15], s[16:17]
	s_cbranch_execz .LBB620_268
; %bb.265:                              ;   in Loop: Header=BB620_215 Depth=1
	v_and_b32_e32 v42, 0x7f, v40
	v_cmp_ne_u32_e32 vcc, s19, v42
	v_mov_b32_e32 v57, 0x7f800001
	s_and_saveexec_b64 s[16:17], vcc
	s_cbranch_execz .LBB620_267
; %bb.266:                              ;   in Loop: Header=BB620_215 Depth=1
	v_and_b32_e32 v58, 7, v40
	v_ffbh_u32_e32 v56, v58
	v_min_u32_e32 v60, 32, v56
	v_subrev_u32_e32 v56, 28, v60
	v_lshlrev_b64 v[56:57], v56, v[40:41]
	v_lshrrev_b32_e32 v59, 3, v42
	v_sub_u32_e32 v57, 29, v60
	v_and_b32_e32 v56, 7, v56
	v_cmp_gt_u32_e32 vcc, 8, v42
	v_cndmask_b32_e32 v42, v59, v57, vcc
	v_cndmask_b32_e32 v56, v58, v56, vcc
	v_lshlrev_b32_e32 v57, 24, v40
	v_lshlrev_b32_e32 v56, 20, v56
	v_and_b32_e32 v57, 0x80000000, v57
	v_lshl_add_u32 v42, v42, 23, v55
	v_or3_b32 v57, v57, v42, v56
.LBB620_267:                            ;   in Loop: Header=BB620_215 Depth=1
	s_or_b64 exec, exec, s[16:17]
.LBB620_268:                            ;   in Loop: Header=BB620_215 Depth=1
	s_or_b64 exec, exec, s[14:15]
.LBB620_269:                            ;   in Loop: Header=BB620_215 Depth=1
	s_or_b64 exec, exec, s[12:13]
	v_lshrrev_b16_e32 v42, 8, v40
	v_cmp_ne_u16_e32 vcc, 0, v42
	v_mov_b32_e32 v58, 0
	s_and_saveexec_b64 s[12:13], vcc
	s_cbranch_execz .LBB620_275
; %bb.270:                              ;   in Loop: Header=BB620_215 Depth=1
	v_cmp_ne_u16_e32 vcc, s9, v42
	v_bfrev_b32_e32 v58, 1
	s_and_saveexec_b64 s[14:15], vcc
	s_cbranch_execz .LBB620_274
; %bb.271:                              ;   in Loop: Header=BB620_215 Depth=1
	v_and_b32_e32 v56, 0x7f, v42
	v_cmp_ne_u32_e32 vcc, s19, v56
	v_mov_b32_e32 v58, 0x7f800001
	s_and_saveexec_b64 s[16:17], vcc
	s_cbranch_execz .LBB620_273
; %bb.272:                              ;   in Loop: Header=BB620_215 Depth=1
	v_and_b32_e32 v60, 7, v42
	v_ffbh_u32_e32 v58, v60
	v_min_u32_e32 v62, 32, v58
	v_subrev_u32_e32 v58, 28, v62
	v_lshlrev_b64 v[58:59], v58, v[42:43]
	v_lshrrev_b32_e32 v61, 3, v56
	v_sub_u32_e32 v42, 29, v62
	v_and_b32_e32 v58, 7, v58
	v_cmp_gt_u32_e32 vcc, 8, v56
	v_cndmask_b32_e32 v42, v61, v42, vcc
	v_cndmask_b32_e32 v56, v60, v58, vcc
	v_lshlrev_b32_e32 v58, 16, v40
	v_lshlrev_b32_e32 v56, 20, v56
	v_and_b32_e32 v58, 0x80000000, v58
	v_lshl_add_u32 v42, v42, 23, v55
	v_or3_b32 v58, v58, v42, v56
.LBB620_273:                            ;   in Loop: Header=BB620_215 Depth=1
	s_or_b64 exec, exec, s[16:17]
.LBB620_274:                            ;   in Loop: Header=BB620_215 Depth=1
	s_or_b64 exec, exec, s[14:15]
.LBB620_275:                            ;   in Loop: Header=BB620_215 Depth=1
	s_or_b64 exec, exec, s[12:13]
	v_lshrrev_b32_e32 v42, 16, v40
	v_cmp_ne_u16_sdwa s[14:15], v42, v54 src0_sel:BYTE_0 src1_sel:DWORD
	s_and_saveexec_b64 s[12:13], s[14:15]
	s_cbranch_execz .LBB620_281
; %bb.276:                              ;   in Loop: Header=BB620_215 Depth=1
	v_cmp_ne_u16_sdwa s[16:17], v42, s9 src0_sel:BYTE_0 src1_sel:DWORD
	v_bfrev_b32_e32 v44, 1
	s_and_saveexec_b64 s[14:15], s[16:17]
	s_cbranch_execz .LBB620_280
; %bb.277:                              ;   in Loop: Header=BB620_215 Depth=1
	v_bfe_u32 v56, v40, 16, 7
	v_cmp_ne_u32_e32 vcc, s19, v56
	v_mov_b32_e32 v44, 0x7f800001
	s_and_saveexec_b64 s[16:17], vcc
	s_cbranch_execz .LBB620_279
; %bb.278:                              ;   in Loop: Header=BB620_215 Depth=1
	v_and_b32_e32 v44, 7, v42
	v_ffbh_u32_e32 v60, v44
	v_min_u32_e32 v62, 32, v60
	v_subrev_u32_e32 v60, 28, v62
	v_lshlrev_b64 v[60:61], v60, v[42:43]
	v_lshrrev_b32_e32 v59, 3, v56
	v_sub_u32_e32 v61, 29, v62
	v_and_b32_e32 v60, 7, v60
	v_cmp_gt_u32_e32 vcc, 8, v56
	v_cndmask_b32_e32 v56, v59, v61, vcc
	v_cndmask_b32_e32 v44, v44, v60, vcc
	v_lshlrev_b32_e32 v42, 24, v42
	v_lshlrev_b32_e32 v44, 20, v44
	v_and_b32_e32 v42, 0x80000000, v42
	v_lshl_add_u32 v56, v56, 23, v55
	v_or3_b32 v44, v42, v56, v44
.LBB620_279:                            ;   in Loop: Header=BB620_215 Depth=1
	s_or_b64 exec, exec, s[16:17]
.LBB620_280:                            ;   in Loop: Header=BB620_215 Depth=1
	s_or_b64 exec, exec, s[14:15]
.LBB620_281:                            ;   in Loop: Header=BB620_215 Depth=1
	s_or_b64 exec, exec, s[12:13]
	v_cmp_lt_u32_e32 vcc, s20, v40
	v_mov_b32_e32 v59, 0
	v_mov_b32_e32 v60, 0
	s_and_saveexec_b64 s[12:13], vcc
	s_cbranch_execz .LBB620_287
; %bb.282:                              ;   in Loop: Header=BB620_215 Depth=1
	v_lshrrev_b32_e32 v42, 24, v40
	v_cmp_ne_u32_e32 vcc, s9, v42
	v_bfrev_b32_e32 v60, 1
	s_and_saveexec_b64 s[14:15], vcc
	s_cbranch_execz .LBB620_286
; %bb.283:                              ;   in Loop: Header=BB620_215 Depth=1
	v_bfe_u32 v40, v40, 24, 7
	v_cmp_ne_u32_e32 vcc, s19, v40
	v_mov_b32_e32 v60, 0x7f800001
	s_and_saveexec_b64 s[16:17], vcc
	s_cbranch_execz .LBB620_285
; %bb.284:                              ;   in Loop: Header=BB620_215 Depth=1
	v_and_b32_e32 v56, 7, v42
	v_ffbh_u32_e32 v60, v56
	v_min_u32_e32 v63, 32, v60
	v_subrev_u32_e32 v60, 28, v63
	v_lshlrev_b64 v[60:61], v60, v[42:43]
	v_lshrrev_b32_e32 v62, 3, v40
	v_sub_u32_e32 v61, 29, v63
	v_and_b32_e32 v60, 7, v60
	v_cmp_gt_u32_e32 vcc, 8, v40
	v_cndmask_b32_e32 v40, v62, v61, vcc
	v_cndmask_b32_e32 v56, v56, v60, vcc
	v_lshlrev_b32_e32 v42, 24, v42
	v_lshlrev_b32_e32 v56, 20, v56
	v_and_b32_e32 v42, 0x80000000, v42
	v_lshl_add_u32 v40, v40, 23, v55
	v_or3_b32 v60, v42, v40, v56
.LBB620_285:                            ;   in Loop: Header=BB620_215 Depth=1
	s_or_b64 exec, exec, s[16:17]
.LBB620_286:                            ;   in Loop: Header=BB620_215 Depth=1
	s_or_b64 exec, exec, s[14:15]
.LBB620_287:                            ;   in Loop: Header=BB620_215 Depth=1
	s_or_b64 exec, exec, s[12:13]
	s_waitcnt vmcnt(0)
	v_cmp_ne_u16_sdwa s[14:15], v38, v54 src0_sel:BYTE_0 src1_sel:DWORD
	s_and_saveexec_b64 s[12:13], s[14:15]
	s_cbranch_execz .LBB620_293
; %bb.288:                              ;   in Loop: Header=BB620_215 Depth=1
	v_cmp_ne_u16_sdwa s[16:17], v38, s9 src0_sel:BYTE_0 src1_sel:DWORD
	v_bfrev_b32_e32 v59, 1
	s_and_saveexec_b64 s[14:15], s[16:17]
	s_cbranch_execz .LBB620_292
; %bb.289:                              ;   in Loop: Header=BB620_215 Depth=1
	v_and_b32_e32 v40, 0x7f, v38
	v_cmp_ne_u32_e32 vcc, s19, v40
	v_mov_b32_e32 v59, 0x7f800001
	s_and_saveexec_b64 s[16:17], vcc
	s_cbranch_execz .LBB620_291
; %bb.290:                              ;   in Loop: Header=BB620_215 Depth=1
	v_and_b32_e32 v42, 7, v38
	v_ffbh_u32_e32 v59, v42
	v_min_u32_e32 v59, 32, v59
	v_subrev_u32_e32 v61, 28, v59
	v_lshlrev_b64 v[62:63], v61, v[38:39]
	v_lshrrev_b32_e32 v56, 3, v40
	v_sub_u32_e32 v59, 29, v59
	v_and_b32_e32 v61, 7, v62
	v_cmp_gt_u32_e32 vcc, 8, v40
	v_cndmask_b32_e32 v40, v56, v59, vcc
	v_cndmask_b32_e32 v42, v42, v61, vcc
	v_lshlrev_b32_e32 v56, 24, v38
	v_lshlrev_b32_e32 v42, 20, v42
	v_and_b32_e32 v56, 0x80000000, v56
	v_lshl_add_u32 v40, v40, 23, v55
	v_or3_b32 v59, v56, v40, v42
.LBB620_291:                            ;   in Loop: Header=BB620_215 Depth=1
	s_or_b64 exec, exec, s[16:17]
.LBB620_292:                            ;   in Loop: Header=BB620_215 Depth=1
	s_or_b64 exec, exec, s[14:15]
.LBB620_293:                            ;   in Loop: Header=BB620_215 Depth=1
	s_or_b64 exec, exec, s[12:13]
	v_lshrrev_b16_e32 v40, 8, v38
	v_cmp_ne_u16_e32 vcc, 0, v40
	v_mov_b32_e32 v61, 0
	v_mov_b32_e32 v62, 0
	s_and_saveexec_b64 s[12:13], vcc
	s_cbranch_execz .LBB620_299
; %bb.294:                              ;   in Loop: Header=BB620_215 Depth=1
	v_cmp_ne_u16_e32 vcc, s9, v40
	v_bfrev_b32_e32 v62, 1
	s_and_saveexec_b64 s[14:15], vcc
	s_cbranch_execz .LBB620_298
; %bb.295:                              ;   in Loop: Header=BB620_215 Depth=1
	v_and_b32_e32 v42, 0x7f, v40
	v_cmp_ne_u32_e32 vcc, s19, v42
	v_mov_b32_e32 v62, 0x7f800001
	s_and_saveexec_b64 s[16:17], vcc
	s_cbranch_execz .LBB620_297
; %bb.296:                              ;   in Loop: Header=BB620_215 Depth=1
	v_and_b32_e32 v56, 7, v40
	v_ffbh_u32_e32 v62, v56
	v_min_u32_e32 v65, 32, v62
	v_subrev_u32_e32 v62, 28, v65
	v_lshlrev_b64 v[62:63], v62, v[40:41]
	v_lshrrev_b32_e32 v64, 3, v42
	v_sub_u32_e32 v40, 29, v65
	v_and_b32_e32 v62, 7, v62
	v_cmp_gt_u32_e32 vcc, 8, v42
	v_cndmask_b32_e32 v40, v64, v40, vcc
	v_cndmask_b32_e32 v42, v56, v62, vcc
	v_lshlrev_b32_e32 v56, 16, v38
	v_lshlrev_b32_e32 v42, 20, v42
	v_and_b32_e32 v56, 0x80000000, v56
	v_lshl_add_u32 v40, v40, 23, v55
	v_or3_b32 v62, v56, v40, v42
.LBB620_297:                            ;   in Loop: Header=BB620_215 Depth=1
	s_or_b64 exec, exec, s[16:17]
.LBB620_298:                            ;   in Loop: Header=BB620_215 Depth=1
	s_or_b64 exec, exec, s[14:15]
.LBB620_299:                            ;   in Loop: Header=BB620_215 Depth=1
	s_or_b64 exec, exec, s[12:13]
	v_lshrrev_b32_e32 v40, 16, v38
	v_cmp_ne_u16_sdwa s[14:15], v40, v54 src0_sel:BYTE_0 src1_sel:DWORD
	s_and_saveexec_b64 s[12:13], s[14:15]
	s_cbranch_execz .LBB620_305
; %bb.300:                              ;   in Loop: Header=BB620_215 Depth=1
	v_cmp_ne_u16_sdwa s[16:17], v40, s9 src0_sel:BYTE_0 src1_sel:DWORD
	v_bfrev_b32_e32 v61, 1
	s_and_saveexec_b64 s[14:15], s[16:17]
	s_cbranch_execz .LBB620_304
; %bb.301:                              ;   in Loop: Header=BB620_215 Depth=1
	v_bfe_u32 v42, v38, 16, 7
	v_cmp_ne_u32_e32 vcc, s19, v42
	v_mov_b32_e32 v61, 0x7f800001
	s_and_saveexec_b64 s[16:17], vcc
	s_cbranch_execz .LBB620_303
; %bb.302:                              ;   in Loop: Header=BB620_215 Depth=1
	v_and_b32_e32 v56, 7, v40
	v_ffbh_u32_e32 v63, v56
	v_min_u32_e32 v63, 32, v63
	v_subrev_u32_e32 v64, 28, v63
	v_lshlrev_b64 v[64:65], v64, v[40:41]
	v_lshrrev_b32_e32 v61, 3, v42
	v_sub_u32_e32 v63, 29, v63
	v_and_b32_e32 v64, 7, v64
	v_cmp_gt_u32_e32 vcc, 8, v42
	v_cndmask_b32_e32 v42, v61, v63, vcc
	v_cndmask_b32_e32 v56, v56, v64, vcc
	v_lshlrev_b32_e32 v40, 24, v40
	v_lshlrev_b32_e32 v56, 20, v56
	v_and_b32_e32 v40, 0x80000000, v40
	v_lshl_add_u32 v42, v42, 23, v55
	v_or3_b32 v61, v40, v42, v56
.LBB620_303:                            ;   in Loop: Header=BB620_215 Depth=1
	s_or_b64 exec, exec, s[16:17]
.LBB620_304:                            ;   in Loop: Header=BB620_215 Depth=1
	s_or_b64 exec, exec, s[14:15]
.LBB620_305:                            ;   in Loop: Header=BB620_215 Depth=1
	s_or_b64 exec, exec, s[12:13]
	v_cmp_lt_u32_e32 vcc, s20, v38
	v_mov_b32_e32 v56, 0
	v_mov_b32_e32 v63, 0
	s_and_saveexec_b64 s[12:13], vcc
	s_cbranch_execz .LBB620_311
; %bb.306:                              ;   in Loop: Header=BB620_215 Depth=1
	v_lshrrev_b32_e32 v40, 24, v38
	v_cmp_ne_u32_e32 vcc, s9, v40
	v_bfrev_b32_e32 v63, 1
	s_and_saveexec_b64 s[14:15], vcc
	s_cbranch_execz .LBB620_310
; %bb.307:                              ;   in Loop: Header=BB620_215 Depth=1
	v_bfe_u32 v38, v38, 24, 7
	v_cmp_ne_u32_e32 vcc, s19, v38
	v_mov_b32_e32 v63, 0x7f800001
	s_and_saveexec_b64 s[16:17], vcc
	s_cbranch_execz .LBB620_309
; %bb.308:                              ;   in Loop: Header=BB620_215 Depth=1
	v_and_b32_e32 v42, 7, v40
	v_ffbh_u32_e32 v64, v42
	v_min_u32_e32 v66, 32, v64
	v_subrev_u32_e32 v64, 28, v66
	v_lshlrev_b64 v[64:65], v64, v[40:41]
	v_lshrrev_b32_e32 v63, 3, v38
	v_sub_u32_e32 v65, 29, v66
	v_and_b32_e32 v64, 7, v64
	v_cmp_gt_u32_e32 vcc, 8, v38
	v_cndmask_b32_e32 v38, v63, v65, vcc
	v_cndmask_b32_e32 v42, v42, v64, vcc
	v_lshlrev_b32_e32 v40, 24, v40
	v_lshlrev_b32_e32 v42, 20, v42
	v_and_b32_e32 v40, 0x80000000, v40
	v_lshl_add_u32 v38, v38, 23, v55
	v_or3_b32 v63, v40, v38, v42
.LBB620_309:                            ;   in Loop: Header=BB620_215 Depth=1
	s_or_b64 exec, exec, s[16:17]
.LBB620_310:                            ;   in Loop: Header=BB620_215 Depth=1
	s_or_b64 exec, exec, s[14:15]
.LBB620_311:                            ;   in Loop: Header=BB620_215 Depth=1
	s_or_b64 exec, exec, s[12:13]
	v_cvt_pkrtz_f16_f32 v65, v44, v60
	buffer_load_dword v44, v46, s[0:3], 0 offen
	buffer_load_dword v42, v46, s[0:3], 0 offen offset:4
	buffer_load_dword v40, v46, s[0:3], 0 offen offset:8
	;; [unrolled: 1-line block ×3, first 2 shown]
	v_cvt_pkrtz_f16_f32 v64, v57, v58
	v_cvt_pkrtz_f16_f32 v58, v59, v62
	;; [unrolled: 1-line block ×3, first 2 shown]
	v_mfma_f32_16x16x16f16 v[34:37], v[64:65], v[6:7], v[34:37]
	s_waitcnt vmcnt(3)
	v_cmp_ne_u16_sdwa s[14:15], v44, v54 src0_sel:BYTE_0 src1_sel:DWORD
	v_mfma_f32_16x16x16f16 v[34:37], v[58:59], v[8:9], v[34:37]
	s_and_saveexec_b64 s[12:13], s[14:15]
	s_cbranch_execz .LBB620_317
; %bb.312:                              ;   in Loop: Header=BB620_215 Depth=1
	v_cmp_ne_u16_sdwa s[16:17], v44, s9 src0_sel:BYTE_0 src1_sel:DWORD
	v_bfrev_b32_e32 v56, 1
	s_and_saveexec_b64 s[14:15], s[16:17]
	s_cbranch_execz .LBB620_316
; %bb.313:                              ;   in Loop: Header=BB620_215 Depth=1
	v_and_b32_e32 v46, 0x7f, v44
	v_cmp_ne_u32_e32 vcc, s19, v46
	v_mov_b32_e32 v56, 0x7f800001
	s_and_saveexec_b64 s[16:17], vcc
	s_cbranch_execz .LBB620_315
; %bb.314:                              ;   in Loop: Header=BB620_215 Depth=1
	v_and_b32_e32 v58, 7, v44
	v_ffbh_u32_e32 v56, v58
	v_min_u32_e32 v60, 32, v56
	v_subrev_u32_e32 v56, 28, v60
	v_lshlrev_b64 v[56:57], v56, v[44:45]
	v_lshrrev_b32_e32 v59, 3, v46
	v_sub_u32_e32 v57, 29, v60
	v_and_b32_e32 v56, 7, v56
	v_cmp_gt_u32_e32 vcc, 8, v46
	v_cndmask_b32_e32 v46, v59, v57, vcc
	v_cndmask_b32_e32 v56, v58, v56, vcc
	v_lshlrev_b32_e32 v57, 24, v44
	v_lshlrev_b32_e32 v56, 20, v56
	v_and_b32_e32 v57, 0x80000000, v57
	v_lshl_add_u32 v46, v46, 23, v55
	v_or3_b32 v56, v57, v46, v56
.LBB620_315:                            ;   in Loop: Header=BB620_215 Depth=1
	s_or_b64 exec, exec, s[16:17]
.LBB620_316:                            ;   in Loop: Header=BB620_215 Depth=1
	s_or_b64 exec, exec, s[14:15]
.LBB620_317:                            ;   in Loop: Header=BB620_215 Depth=1
	s_or_b64 exec, exec, s[12:13]
	v_lshrrev_b16_e32 v46, 8, v44
	v_cmp_ne_u16_e32 vcc, 0, v46
	v_mov_b32_e32 v57, 0
	v_mov_b32_e32 v58, 0
	s_and_saveexec_b64 s[12:13], vcc
	s_cbranch_execz .LBB620_323
; %bb.318:                              ;   in Loop: Header=BB620_215 Depth=1
	v_cmp_ne_u16_e32 vcc, s9, v46
	v_bfrev_b32_e32 v58, 1
	s_and_saveexec_b64 s[14:15], vcc
	s_cbranch_execz .LBB620_322
; %bb.319:                              ;   in Loop: Header=BB620_215 Depth=1
	v_and_b32_e32 v59, 0x7f, v46
	v_cmp_ne_u32_e32 vcc, s19, v59
	v_mov_b32_e32 v58, 0x7f800001
	s_and_saveexec_b64 s[16:17], vcc
	s_cbranch_execz .LBB620_321
; %bb.320:                              ;   in Loop: Header=BB620_215 Depth=1
	v_and_b32_e32 v58, 7, v46
	v_ffbh_u32_e32 v60, v58
	v_min_u32_e32 v63, 32, v60
	v_subrev_u32_e32 v60, 28, v63
	v_lshlrev_b64 v[60:61], v60, v[46:47]
	v_lshrrev_b32_e32 v62, 3, v59
	v_sub_u32_e32 v46, 29, v63
	v_and_b32_e32 v60, 7, v60
	v_cmp_gt_u32_e32 vcc, 8, v59
	v_cndmask_b32_e32 v46, v62, v46, vcc
	v_cndmask_b32_e32 v58, v58, v60, vcc
	v_lshlrev_b32_e32 v59, 16, v44
	v_lshlrev_b32_e32 v58, 20, v58
	v_and_b32_e32 v59, 0x80000000, v59
	v_lshl_add_u32 v46, v46, 23, v55
	v_or3_b32 v58, v59, v46, v58
.LBB620_321:                            ;   in Loop: Header=BB620_215 Depth=1
	s_or_b64 exec, exec, s[16:17]
.LBB620_322:                            ;   in Loop: Header=BB620_215 Depth=1
	s_or_b64 exec, exec, s[14:15]
.LBB620_323:                            ;   in Loop: Header=BB620_215 Depth=1
	s_or_b64 exec, exec, s[12:13]
	v_lshrrev_b32_e32 v46, 16, v44
	v_cmp_ne_u16_sdwa s[14:15], v46, v54 src0_sel:BYTE_0 src1_sel:DWORD
	s_and_saveexec_b64 s[12:13], s[14:15]
	s_cbranch_execz .LBB620_329
; %bb.324:                              ;   in Loop: Header=BB620_215 Depth=1
	v_cmp_ne_u16_sdwa s[16:17], v46, s9 src0_sel:BYTE_0 src1_sel:DWORD
	v_bfrev_b32_e32 v57, 1
	s_and_saveexec_b64 s[14:15], s[16:17]
	s_cbranch_execz .LBB620_328
; %bb.325:                              ;   in Loop: Header=BB620_215 Depth=1
	v_bfe_u32 v59, v44, 16, 7
	v_cmp_ne_u32_e32 vcc, s19, v59
	v_mov_b32_e32 v57, 0x7f800001
	s_and_saveexec_b64 s[16:17], vcc
	s_cbranch_execz .LBB620_327
; %bb.326:                              ;   in Loop: Header=BB620_215 Depth=1
	v_and_b32_e32 v57, 7, v46
	v_ffbh_u32_e32 v60, v57
	v_min_u32_e32 v63, 32, v60
	v_subrev_u32_e32 v60, 28, v63
	v_lshlrev_b64 v[60:61], v60, v[46:47]
	v_lshrrev_b32_e32 v62, 3, v59
	v_sub_u32_e32 v61, 29, v63
	v_and_b32_e32 v60, 7, v60
	v_cmp_gt_u32_e32 vcc, 8, v59
	v_cndmask_b32_e32 v59, v62, v61, vcc
	v_cndmask_b32_e32 v57, v57, v60, vcc
	v_lshlrev_b32_e32 v46, 24, v46
	v_lshlrev_b32_e32 v57, 20, v57
	v_and_b32_e32 v46, 0x80000000, v46
	v_lshl_add_u32 v59, v59, 23, v55
	v_or3_b32 v57, v46, v59, v57
.LBB620_327:                            ;   in Loop: Header=BB620_215 Depth=1
	s_or_b64 exec, exec, s[16:17]
.LBB620_328:                            ;   in Loop: Header=BB620_215 Depth=1
	s_or_b64 exec, exec, s[14:15]
.LBB620_329:                            ;   in Loop: Header=BB620_215 Depth=1
	s_or_b64 exec, exec, s[12:13]
	v_cmp_lt_u32_e32 vcc, s20, v44
	v_mov_b32_e32 v59, 0
	v_mov_b32_e32 v60, 0
	s_and_saveexec_b64 s[12:13], vcc
	s_cbranch_execz .LBB620_335
; %bb.330:                              ;   in Loop: Header=BB620_215 Depth=1
	v_lshrrev_b32_e32 v46, 24, v44
	v_cmp_ne_u32_e32 vcc, s9, v46
	v_bfrev_b32_e32 v60, 1
	s_and_saveexec_b64 s[14:15], vcc
	s_cbranch_execz .LBB620_334
; %bb.331:                              ;   in Loop: Header=BB620_215 Depth=1
	v_bfe_u32 v44, v44, 24, 7
	v_cmp_ne_u32_e32 vcc, s19, v44
	v_mov_b32_e32 v60, 0x7f800001
	s_and_saveexec_b64 s[16:17], vcc
	s_cbranch_execz .LBB620_333
; %bb.332:                              ;   in Loop: Header=BB620_215 Depth=1
	v_and_b32_e32 v62, 7, v46
	v_ffbh_u32_e32 v60, v62
	v_min_u32_e32 v64, 32, v60
	v_subrev_u32_e32 v60, 28, v64
	v_lshlrev_b64 v[60:61], v60, v[46:47]
	v_lshrrev_b32_e32 v63, 3, v44
	v_sub_u32_e32 v61, 29, v64
	v_and_b32_e32 v60, 7, v60
	v_cmp_gt_u32_e32 vcc, 8, v44
	v_cndmask_b32_e32 v44, v63, v61, vcc
	v_cndmask_b32_e32 v60, v62, v60, vcc
	v_lshlrev_b32_e32 v46, 24, v46
	v_lshlrev_b32_e32 v60, 20, v60
	v_and_b32_e32 v46, 0x80000000, v46
	v_lshl_add_u32 v44, v44, 23, v55
	v_or3_b32 v60, v46, v44, v60
.LBB620_333:                            ;   in Loop: Header=BB620_215 Depth=1
	s_or_b64 exec, exec, s[16:17]
.LBB620_334:                            ;   in Loop: Header=BB620_215 Depth=1
	s_or_b64 exec, exec, s[14:15]
.LBB620_335:                            ;   in Loop: Header=BB620_215 Depth=1
	s_or_b64 exec, exec, s[12:13]
	s_waitcnt vmcnt(2)
	v_cmp_ne_u16_sdwa s[14:15], v42, v54 src0_sel:BYTE_0 src1_sel:DWORD
	s_and_saveexec_b64 s[12:13], s[14:15]
	s_cbranch_execz .LBB620_341
; %bb.336:                              ;   in Loop: Header=BB620_215 Depth=1
	v_cmp_ne_u16_sdwa s[16:17], v42, s9 src0_sel:BYTE_0 src1_sel:DWORD
	v_bfrev_b32_e32 v59, 1
	s_and_saveexec_b64 s[14:15], s[16:17]
	s_cbranch_execz .LBB620_340
; %bb.337:                              ;   in Loop: Header=BB620_215 Depth=1
	v_and_b32_e32 v44, 0x7f, v42
	v_cmp_ne_u32_e32 vcc, s19, v44
	v_mov_b32_e32 v59, 0x7f800001
	s_and_saveexec_b64 s[16:17], vcc
	s_cbranch_execz .LBB620_339
; %bb.338:                              ;   in Loop: Header=BB620_215 Depth=1
	v_and_b32_e32 v46, 7, v42
	v_ffbh_u32_e32 v61, v46
	v_min_u32_e32 v61, 32, v61
	v_subrev_u32_e32 v62, 28, v61
	v_lshlrev_b64 v[62:63], v62, v[42:43]
	v_lshrrev_b32_e32 v59, 3, v44
	v_sub_u32_e32 v61, 29, v61
	v_and_b32_e32 v62, 7, v62
	v_cmp_gt_u32_e32 vcc, 8, v44
	v_cndmask_b32_e32 v44, v59, v61, vcc
	v_cndmask_b32_e32 v46, v46, v62, vcc
	v_lshlrev_b32_e32 v59, 24, v42
	v_lshlrev_b32_e32 v46, 20, v46
	v_and_b32_e32 v59, 0x80000000, v59
	v_lshl_add_u32 v44, v44, 23, v55
	v_or3_b32 v59, v59, v44, v46
.LBB620_339:                            ;   in Loop: Header=BB620_215 Depth=1
	s_or_b64 exec, exec, s[16:17]
.LBB620_340:                            ;   in Loop: Header=BB620_215 Depth=1
	s_or_b64 exec, exec, s[14:15]
.LBB620_341:                            ;   in Loop: Header=BB620_215 Depth=1
	s_or_b64 exec, exec, s[12:13]
	v_lshrrev_b16_e32 v44, 8, v42
	v_cmp_ne_u16_e32 vcc, 0, v44
	v_mov_b32_e32 v61, 0
	v_mov_b32_e32 v62, 0
	s_and_saveexec_b64 s[12:13], vcc
	s_cbranch_execz .LBB620_347
; %bb.342:                              ;   in Loop: Header=BB620_215 Depth=1
	v_cmp_ne_u16_e32 vcc, s9, v44
	v_bfrev_b32_e32 v62, 1
	s_and_saveexec_b64 s[14:15], vcc
	s_cbranch_execz .LBB620_346
; %bb.343:                              ;   in Loop: Header=BB620_215 Depth=1
	v_and_b32_e32 v46, 0x7f, v44
	v_cmp_ne_u32_e32 vcc, s19, v46
	v_mov_b32_e32 v62, 0x7f800001
	s_and_saveexec_b64 s[16:17], vcc
	s_cbranch_execz .LBB620_345
; %bb.344:                              ;   in Loop: Header=BB620_215 Depth=1
	v_and_b32_e32 v64, 7, v44
	v_ffbh_u32_e32 v62, v64
	v_min_u32_e32 v66, 32, v62
	v_subrev_u32_e32 v62, 28, v66
	v_lshlrev_b64 v[62:63], v62, v[44:45]
	v_lshrrev_b32_e32 v65, 3, v46
	v_sub_u32_e32 v44, 29, v66
	v_and_b32_e32 v62, 7, v62
	v_cmp_gt_u32_e32 vcc, 8, v46
	v_cndmask_b32_e32 v44, v65, v44, vcc
	v_cndmask_b32_e32 v46, v64, v62, vcc
	v_lshlrev_b32_e32 v62, 16, v42
	v_lshlrev_b32_e32 v46, 20, v46
	v_and_b32_e32 v62, 0x80000000, v62
	v_lshl_add_u32 v44, v44, 23, v55
	v_or3_b32 v62, v62, v44, v46
.LBB620_345:                            ;   in Loop: Header=BB620_215 Depth=1
	s_or_b64 exec, exec, s[16:17]
.LBB620_346:                            ;   in Loop: Header=BB620_215 Depth=1
	s_or_b64 exec, exec, s[14:15]
.LBB620_347:                            ;   in Loop: Header=BB620_215 Depth=1
	s_or_b64 exec, exec, s[12:13]
	v_lshrrev_b32_e32 v44, 16, v42
	v_cmp_ne_u16_sdwa s[14:15], v44, v54 src0_sel:BYTE_0 src1_sel:DWORD
	s_and_saveexec_b64 s[12:13], s[14:15]
	s_cbranch_execz .LBB620_353
; %bb.348:                              ;   in Loop: Header=BB620_215 Depth=1
	v_cmp_ne_u16_sdwa s[16:17], v44, s9 src0_sel:BYTE_0 src1_sel:DWORD
	v_bfrev_b32_e32 v61, 1
	s_and_saveexec_b64 s[14:15], s[16:17]
	s_cbranch_execz .LBB620_352
; %bb.349:                              ;   in Loop: Header=BB620_215 Depth=1
	v_bfe_u32 v46, v42, 16, 7
	v_cmp_ne_u32_e32 vcc, s19, v46
	v_mov_b32_e32 v61, 0x7f800001
	s_and_saveexec_b64 s[16:17], vcc
	s_cbranch_execz .LBB620_351
; %bb.350:                              ;   in Loop: Header=BB620_215 Depth=1
	v_and_b32_e32 v61, 7, v44
	v_ffbh_u32_e32 v64, v61
	v_min_u32_e32 v66, 32, v64
	v_subrev_u32_e32 v64, 28, v66
	v_lshlrev_b64 v[64:65], v64, v[44:45]
	v_lshrrev_b32_e32 v63, 3, v46
	v_sub_u32_e32 v65, 29, v66
	v_and_b32_e32 v64, 7, v64
	v_cmp_gt_u32_e32 vcc, 8, v46
	v_cndmask_b32_e32 v46, v63, v65, vcc
	v_cndmask_b32_e32 v61, v61, v64, vcc
	v_lshlrev_b32_e32 v44, 24, v44
	v_lshlrev_b32_e32 v61, 20, v61
	v_and_b32_e32 v44, 0x80000000, v44
	v_lshl_add_u32 v46, v46, 23, v55
	v_or3_b32 v61, v44, v46, v61
.LBB620_351:                            ;   in Loop: Header=BB620_215 Depth=1
	s_or_b64 exec, exec, s[16:17]
.LBB620_352:                            ;   in Loop: Header=BB620_215 Depth=1
	s_or_b64 exec, exec, s[14:15]
.LBB620_353:                            ;   in Loop: Header=BB620_215 Depth=1
	s_or_b64 exec, exec, s[12:13]
	v_cmp_lt_u32_e32 vcc, s20, v42
	v_mov_b32_e32 v46, 0
	v_mov_b32_e32 v63, 0
	s_and_saveexec_b64 s[12:13], vcc
	s_cbranch_execz .LBB620_359
; %bb.354:                              ;   in Loop: Header=BB620_215 Depth=1
	v_lshrrev_b32_e32 v44, 24, v42
	v_cmp_ne_u32_e32 vcc, s9, v44
	v_bfrev_b32_e32 v63, 1
	s_and_saveexec_b64 s[14:15], vcc
	s_cbranch_execz .LBB620_358
; %bb.355:                              ;   in Loop: Header=BB620_215 Depth=1
	v_bfe_u32 v42, v42, 24, 7
	v_cmp_ne_u32_e32 vcc, s19, v42
	v_mov_b32_e32 v63, 0x7f800001
	s_and_saveexec_b64 s[16:17], vcc
	s_cbranch_execz .LBB620_357
; %bb.356:                              ;   in Loop: Header=BB620_215 Depth=1
	v_and_b32_e32 v63, 7, v44
	v_ffbh_u32_e32 v64, v63
	v_min_u32_e32 v67, 32, v64
	v_subrev_u32_e32 v64, 28, v67
	v_lshlrev_b64 v[64:65], v64, v[44:45]
	v_lshrrev_b32_e32 v66, 3, v42
	v_sub_u32_e32 v65, 29, v67
	v_and_b32_e32 v64, 7, v64
	v_cmp_gt_u32_e32 vcc, 8, v42
	v_cndmask_b32_e32 v42, v66, v65, vcc
	v_cndmask_b32_e32 v63, v63, v64, vcc
	v_lshlrev_b32_e32 v44, 24, v44
	v_lshlrev_b32_e32 v63, 20, v63
	v_and_b32_e32 v44, 0x80000000, v44
	v_lshl_add_u32 v42, v42, 23, v55
	v_or3_b32 v63, v44, v42, v63
.LBB620_357:                            ;   in Loop: Header=BB620_215 Depth=1
	s_or_b64 exec, exec, s[16:17]
.LBB620_358:                            ;   in Loop: Header=BB620_215 Depth=1
	s_or_b64 exec, exec, s[14:15]
.LBB620_359:                            ;   in Loop: Header=BB620_215 Depth=1
	s_or_b64 exec, exec, s[12:13]
	v_cvt_pkrtz_f16_f32 v56, v56, v58
	v_cvt_pkrtz_f16_f32 v57, v57, v60
	s_waitcnt vmcnt(1)
	v_cmp_ne_u16_sdwa s[14:15], v40, v54 src0_sel:BYTE_0 src1_sel:DWORD
	v_mfma_f32_16x16x16f16 v[34:37], v[56:57], v[10:11], v[34:37]
	v_cvt_pkrtz_f16_f32 v56, v59, v62
	v_cvt_pkrtz_f16_f32 v57, v61, v63
	s_nop 1
	v_mfma_f32_16x16x16f16 v[34:37], v[56:57], v[12:13], v[34:37]
	s_and_saveexec_b64 s[12:13], s[14:15]
	s_cbranch_execz .LBB620_365
; %bb.360:                              ;   in Loop: Header=BB620_215 Depth=1
	v_cmp_ne_u16_sdwa s[16:17], v40, s9 src0_sel:BYTE_0 src1_sel:DWORD
	v_bfrev_b32_e32 v46, 1
	s_and_saveexec_b64 s[14:15], s[16:17]
	s_cbranch_execz .LBB620_364
; %bb.361:                              ;   in Loop: Header=BB620_215 Depth=1
	v_and_b32_e32 v42, 0x7f, v40
	v_cmp_ne_u32_e32 vcc, s19, v42
	v_mov_b32_e32 v46, 0x7f800001
	s_and_saveexec_b64 s[16:17], vcc
	s_cbranch_execz .LBB620_363
; %bb.362:                              ;   in Loop: Header=BB620_215 Depth=1
	v_and_b32_e32 v44, 7, v40
	v_ffbh_u32_e32 v56, v44
	v_min_u32_e32 v58, 32, v56
	v_subrev_u32_e32 v56, 28, v58
	v_lshlrev_b64 v[56:57], v56, v[40:41]
	v_lshrrev_b32_e32 v46, 3, v42
	v_sub_u32_e32 v57, 29, v58
	v_and_b32_e32 v56, 7, v56
	v_cmp_gt_u32_e32 vcc, 8, v42
	v_cndmask_b32_e32 v42, v46, v57, vcc
	v_cndmask_b32_e32 v44, v44, v56, vcc
	v_lshlrev_b32_e32 v46, 24, v40
	v_lshlrev_b32_e32 v44, 20, v44
	v_and_b32_e32 v46, 0x80000000, v46
	v_lshl_add_u32 v42, v42, 23, v55
	v_or3_b32 v46, v46, v42, v44
.LBB620_363:                            ;   in Loop: Header=BB620_215 Depth=1
	s_or_b64 exec, exec, s[16:17]
.LBB620_364:                            ;   in Loop: Header=BB620_215 Depth=1
	s_or_b64 exec, exec, s[14:15]
.LBB620_365:                            ;   in Loop: Header=BB620_215 Depth=1
	s_or_b64 exec, exec, s[12:13]
	v_lshrrev_b16_e32 v42, 8, v40
	v_cmp_ne_u16_e32 vcc, 0, v42
	v_mov_b32_e32 v44, 0
	v_mov_b32_e32 v57, 0
	s_and_saveexec_b64 s[12:13], vcc
	s_cbranch_execz .LBB620_371
; %bb.366:                              ;   in Loop: Header=BB620_215 Depth=1
	v_cmp_ne_u16_e32 vcc, s9, v42
	v_bfrev_b32_e32 v57, 1
	s_and_saveexec_b64 s[14:15], vcc
	s_cbranch_execz .LBB620_370
; %bb.367:                              ;   in Loop: Header=BB620_215 Depth=1
	v_and_b32_e32 v56, 0x7f, v42
	v_cmp_ne_u32_e32 vcc, s19, v56
	v_mov_b32_e32 v57, 0x7f800001
	s_and_saveexec_b64 s[16:17], vcc
	s_cbranch_execz .LBB620_369
; %bb.368:                              ;   in Loop: Header=BB620_215 Depth=1
	v_and_b32_e32 v57, 7, v42
	v_ffbh_u32_e32 v58, v57
	v_min_u32_e32 v61, 32, v58
	v_subrev_u32_e32 v58, 28, v61
	v_lshlrev_b64 v[58:59], v58, v[42:43]
	v_lshrrev_b32_e32 v60, 3, v56
	v_sub_u32_e32 v42, 29, v61
	v_and_b32_e32 v58, 7, v58
	v_cmp_gt_u32_e32 vcc, 8, v56
	v_cndmask_b32_e32 v42, v60, v42, vcc
	v_cndmask_b32_e32 v56, v57, v58, vcc
	v_lshlrev_b32_e32 v57, 16, v40
	v_lshlrev_b32_e32 v56, 20, v56
	v_and_b32_e32 v57, 0x80000000, v57
	v_lshl_add_u32 v42, v42, 23, v55
	v_or3_b32 v57, v57, v42, v56
.LBB620_369:                            ;   in Loop: Header=BB620_215 Depth=1
	s_or_b64 exec, exec, s[16:17]
.LBB620_370:                            ;   in Loop: Header=BB620_215 Depth=1
	s_or_b64 exec, exec, s[14:15]
.LBB620_371:                            ;   in Loop: Header=BB620_215 Depth=1
	s_or_b64 exec, exec, s[12:13]
	v_lshrrev_b32_e32 v42, 16, v40
	v_cmp_ne_u16_sdwa s[14:15], v42, v54 src0_sel:BYTE_0 src1_sel:DWORD
	s_and_saveexec_b64 s[12:13], s[14:15]
	s_cbranch_execz .LBB620_377
; %bb.372:                              ;   in Loop: Header=BB620_215 Depth=1
	v_cmp_ne_u16_sdwa s[16:17], v42, s9 src0_sel:BYTE_0 src1_sel:DWORD
	v_bfrev_b32_e32 v44, 1
	s_and_saveexec_b64 s[14:15], s[16:17]
	s_cbranch_execz .LBB620_376
; %bb.373:                              ;   in Loop: Header=BB620_215 Depth=1
	v_bfe_u32 v56, v40, 16, 7
	v_cmp_ne_u32_e32 vcc, s19, v56
	v_mov_b32_e32 v44, 0x7f800001
	s_and_saveexec_b64 s[16:17], vcc
	s_cbranch_execz .LBB620_375
; %bb.374:                              ;   in Loop: Header=BB620_215 Depth=1
	v_and_b32_e32 v44, 7, v42
	v_ffbh_u32_e32 v58, v44
	v_min_u32_e32 v61, 32, v58
	v_subrev_u32_e32 v58, 28, v61
	v_lshlrev_b64 v[58:59], v58, v[42:43]
	v_lshrrev_b32_e32 v60, 3, v56
	v_sub_u32_e32 v59, 29, v61
	v_and_b32_e32 v58, 7, v58
	v_cmp_gt_u32_e32 vcc, 8, v56
	v_cndmask_b32_e32 v56, v60, v59, vcc
	v_cndmask_b32_e32 v44, v44, v58, vcc
	v_lshlrev_b32_e32 v42, 24, v42
	v_lshlrev_b32_e32 v44, 20, v44
	v_and_b32_e32 v42, 0x80000000, v42
	v_lshl_add_u32 v56, v56, 23, v55
	v_or3_b32 v44, v42, v56, v44
.LBB620_375:                            ;   in Loop: Header=BB620_215 Depth=1
	s_or_b64 exec, exec, s[16:17]
.LBB620_376:                            ;   in Loop: Header=BB620_215 Depth=1
	s_or_b64 exec, exec, s[14:15]
.LBB620_377:                            ;   in Loop: Header=BB620_215 Depth=1
	s_or_b64 exec, exec, s[12:13]
	v_cmp_lt_u32_e32 vcc, s20, v40
	v_mov_b32_e32 v58, 0
	v_mov_b32_e32 v59, 0
	s_and_saveexec_b64 s[12:13], vcc
	s_cbranch_execz .LBB620_383
; %bb.378:                              ;   in Loop: Header=BB620_215 Depth=1
	v_lshrrev_b32_e32 v42, 24, v40
	v_cmp_ne_u32_e32 vcc, s9, v42
	v_bfrev_b32_e32 v59, 1
	s_and_saveexec_b64 s[14:15], vcc
	s_cbranch_execz .LBB620_382
; %bb.379:                              ;   in Loop: Header=BB620_215 Depth=1
	v_bfe_u32 v40, v40, 24, 7
	v_cmp_ne_u32_e32 vcc, s19, v40
	v_mov_b32_e32 v59, 0x7f800001
	s_and_saveexec_b64 s[16:17], vcc
	s_cbranch_execz .LBB620_381
; %bb.380:                              ;   in Loop: Header=BB620_215 Depth=1
	v_and_b32_e32 v56, 7, v42
	v_ffbh_u32_e32 v60, v56
	v_min_u32_e32 v62, 32, v60
	v_subrev_u32_e32 v60, 28, v62
	v_lshlrev_b64 v[60:61], v60, v[42:43]
	v_lshrrev_b32_e32 v59, 3, v40
	v_sub_u32_e32 v61, 29, v62
	v_and_b32_e32 v60, 7, v60
	v_cmp_gt_u32_e32 vcc, 8, v40
	v_cndmask_b32_e32 v40, v59, v61, vcc
	v_cndmask_b32_e32 v56, v56, v60, vcc
	v_lshlrev_b32_e32 v42, 24, v42
	v_lshlrev_b32_e32 v56, 20, v56
	v_and_b32_e32 v42, 0x80000000, v42
	v_lshl_add_u32 v40, v40, 23, v55
	v_or3_b32 v59, v42, v40, v56
.LBB620_381:                            ;   in Loop: Header=BB620_215 Depth=1
	s_or_b64 exec, exec, s[16:17]
.LBB620_382:                            ;   in Loop: Header=BB620_215 Depth=1
	s_or_b64 exec, exec, s[14:15]
.LBB620_383:                            ;   in Loop: Header=BB620_215 Depth=1
	s_or_b64 exec, exec, s[12:13]
	s_waitcnt vmcnt(0)
	v_cmp_ne_u16_sdwa s[14:15], v38, v54 src0_sel:BYTE_0 src1_sel:DWORD
	s_and_saveexec_b64 s[12:13], s[14:15]
	s_cbranch_execz .LBB620_389
; %bb.384:                              ;   in Loop: Header=BB620_215 Depth=1
	v_cmp_ne_u16_sdwa s[16:17], v38, s9 src0_sel:BYTE_0 src1_sel:DWORD
	v_bfrev_b32_e32 v58, 1
	s_and_saveexec_b64 s[14:15], s[16:17]
	s_cbranch_execz .LBB620_388
; %bb.385:                              ;   in Loop: Header=BB620_215 Depth=1
	v_and_b32_e32 v40, 0x7f, v38
	v_cmp_ne_u32_e32 vcc, s19, v40
	v_mov_b32_e32 v58, 0x7f800001
	s_and_saveexec_b64 s[16:17], vcc
	s_cbranch_execz .LBB620_387
; %bb.386:                              ;   in Loop: Header=BB620_215 Depth=1
	v_and_b32_e32 v42, 7, v38
	v_ffbh_u32_e32 v58, v42
	v_min_u32_e32 v58, 32, v58
	v_subrev_u32_e32 v60, 28, v58
	v_lshlrev_b64 v[60:61], v60, v[38:39]
	v_lshrrev_b32_e32 v56, 3, v40
	v_sub_u32_e32 v58, 29, v58
	v_and_b32_e32 v60, 7, v60
	v_cmp_gt_u32_e32 vcc, 8, v40
	v_cndmask_b32_e32 v40, v56, v58, vcc
	v_cndmask_b32_e32 v42, v42, v60, vcc
	v_lshlrev_b32_e32 v56, 24, v38
	v_lshlrev_b32_e32 v42, 20, v42
	v_and_b32_e32 v56, 0x80000000, v56
	v_lshl_add_u32 v40, v40, 23, v55
	v_or3_b32 v58, v56, v40, v42
.LBB620_387:                            ;   in Loop: Header=BB620_215 Depth=1
	s_or_b64 exec, exec, s[16:17]
.LBB620_388:                            ;   in Loop: Header=BB620_215 Depth=1
	s_or_b64 exec, exec, s[14:15]
.LBB620_389:                            ;   in Loop: Header=BB620_215 Depth=1
	s_or_b64 exec, exec, s[12:13]
	v_lshrrev_b16_e32 v40, 8, v38
	v_cmp_ne_u16_e32 vcc, 0, v40
	v_mov_b32_e32 v60, 0
	v_mov_b32_e32 v61, 0
	s_and_saveexec_b64 s[12:13], vcc
	s_cbranch_execz .LBB620_395
; %bb.390:                              ;   in Loop: Header=BB620_215 Depth=1
	v_cmp_ne_u16_e32 vcc, s9, v40
	v_bfrev_b32_e32 v61, 1
	s_and_saveexec_b64 s[14:15], vcc
	s_cbranch_execz .LBB620_394
; %bb.391:                              ;   in Loop: Header=BB620_215 Depth=1
	v_and_b32_e32 v42, 0x7f, v40
	v_cmp_ne_u32_e32 vcc, s19, v42
	v_mov_b32_e32 v61, 0x7f800001
	s_and_saveexec_b64 s[16:17], vcc
	s_cbranch_execz .LBB620_393
; %bb.392:                              ;   in Loop: Header=BB620_215 Depth=1
	v_and_b32_e32 v56, 7, v40
	v_ffbh_u32_e32 v62, v56
	v_min_u32_e32 v64, 32, v62
	v_subrev_u32_e32 v62, 28, v64
	v_lshlrev_b64 v[62:63], v62, v[40:41]
	v_lshrrev_b32_e32 v61, 3, v42
	v_sub_u32_e32 v40, 29, v64
	v_and_b32_e32 v62, 7, v62
	v_cmp_gt_u32_e32 vcc, 8, v42
	v_cndmask_b32_e32 v40, v61, v40, vcc
	v_cndmask_b32_e32 v42, v56, v62, vcc
	v_lshlrev_b32_e32 v56, 16, v38
	v_lshlrev_b32_e32 v42, 20, v42
	v_and_b32_e32 v56, 0x80000000, v56
	v_lshl_add_u32 v40, v40, 23, v55
	v_or3_b32 v61, v56, v40, v42
.LBB620_393:                            ;   in Loop: Header=BB620_215 Depth=1
	s_or_b64 exec, exec, s[16:17]
.LBB620_394:                            ;   in Loop: Header=BB620_215 Depth=1
	s_or_b64 exec, exec, s[14:15]
.LBB620_395:                            ;   in Loop: Header=BB620_215 Depth=1
	s_or_b64 exec, exec, s[12:13]
	v_lshrrev_b32_e32 v40, 16, v38
	v_cmp_ne_u16_sdwa s[14:15], v40, v54 src0_sel:BYTE_0 src1_sel:DWORD
	s_and_saveexec_b64 s[12:13], s[14:15]
	s_cbranch_execz .LBB620_401
; %bb.396:                              ;   in Loop: Header=BB620_215 Depth=1
	v_cmp_ne_u16_sdwa s[16:17], v40, s9 src0_sel:BYTE_0 src1_sel:DWORD
	v_bfrev_b32_e32 v60, 1
	s_and_saveexec_b64 s[14:15], s[16:17]
	s_cbranch_execz .LBB620_400
; %bb.397:                              ;   in Loop: Header=BB620_215 Depth=1
	v_bfe_u32 v42, v38, 16, 7
	v_cmp_ne_u32_e32 vcc, s19, v42
	v_mov_b32_e32 v60, 0x7f800001
	s_and_saveexec_b64 s[16:17], vcc
	s_cbranch_execz .LBB620_399
; %bb.398:                              ;   in Loop: Header=BB620_215 Depth=1
	v_and_b32_e32 v56, 7, v40
	v_ffbh_u32_e32 v62, v56
	v_min_u32_e32 v64, 32, v62
	v_subrev_u32_e32 v62, 28, v64
	v_lshlrev_b64 v[62:63], v62, v[40:41]
	v_lshrrev_b32_e32 v60, 3, v42
	v_sub_u32_e32 v63, 29, v64
	v_and_b32_e32 v62, 7, v62
	v_cmp_gt_u32_e32 vcc, 8, v42
	v_cndmask_b32_e32 v42, v60, v63, vcc
	v_cndmask_b32_e32 v56, v56, v62, vcc
	v_lshlrev_b32_e32 v40, 24, v40
	v_lshlrev_b32_e32 v56, 20, v56
	v_and_b32_e32 v40, 0x80000000, v40
	v_lshl_add_u32 v42, v42, 23, v55
	v_or3_b32 v60, v40, v42, v56
.LBB620_399:                            ;   in Loop: Header=BB620_215 Depth=1
	s_or_b64 exec, exec, s[16:17]
.LBB620_400:                            ;   in Loop: Header=BB620_215 Depth=1
	s_or_b64 exec, exec, s[14:15]
.LBB620_401:                            ;   in Loop: Header=BB620_215 Depth=1
	s_or_b64 exec, exec, s[12:13]
	v_cmp_lt_u32_e32 vcc, s20, v38
	v_mov_b32_e32 v56, 0
	v_mov_b32_e32 v62, 0
	s_and_saveexec_b64 s[12:13], vcc
	s_cbranch_execz .LBB620_407
; %bb.402:                              ;   in Loop: Header=BB620_215 Depth=1
	v_lshrrev_b32_e32 v40, 24, v38
	v_cmp_ne_u32_e32 vcc, s9, v40
	v_bfrev_b32_e32 v62, 1
	s_and_saveexec_b64 s[14:15], vcc
	s_cbranch_execz .LBB620_406
; %bb.403:                              ;   in Loop: Header=BB620_215 Depth=1
	v_bfe_u32 v38, v38, 24, 7
	v_cmp_ne_u32_e32 vcc, s19, v38
	v_mov_b32_e32 v62, 0x7f800001
	s_and_saveexec_b64 s[16:17], vcc
	s_cbranch_execz .LBB620_405
; %bb.404:                              ;   in Loop: Header=BB620_215 Depth=1
	v_and_b32_e32 v42, 7, v40
	v_ffbh_u32_e32 v62, v42
	v_min_u32_e32 v65, 32, v62
	v_subrev_u32_e32 v62, 28, v65
	v_lshlrev_b64 v[62:63], v62, v[40:41]
	v_lshrrev_b32_e32 v64, 3, v38
	v_sub_u32_e32 v63, 29, v65
	v_and_b32_e32 v62, 7, v62
	v_cmp_gt_u32_e32 vcc, 8, v38
	v_cndmask_b32_e32 v38, v64, v63, vcc
	v_cndmask_b32_e32 v42, v42, v62, vcc
	v_lshlrev_b32_e32 v40, 24, v40
	v_lshlrev_b32_e32 v42, 20, v42
	v_and_b32_e32 v40, 0x80000000, v40
	v_lshl_add_u32 v38, v38, 23, v55
	v_or3_b32 v62, v40, v38, v42
.LBB620_405:                            ;   in Loop: Header=BB620_215 Depth=1
	s_or_b64 exec, exec, s[16:17]
.LBB620_406:                            ;   in Loop: Header=BB620_215 Depth=1
	s_or_b64 exec, exec, s[14:15]
.LBB620_407:                            ;   in Loop: Header=BB620_215 Depth=1
	s_or_b64 exec, exec, s[12:13]
	v_cvt_pkrtz_f16_f32 v65, v44, v59
	buffer_load_dword v44, v51, s[0:3], 0 offen
	buffer_load_dword v42, v51, s[0:3], 0 offen offset:4
	buffer_load_dword v40, v51, s[0:3], 0 offen offset:8
	;; [unrolled: 1-line block ×3, first 2 shown]
	v_cvt_pkrtz_f16_f32 v64, v46, v57
	v_cvt_pkrtz_f16_f32 v58, v58, v61
	;; [unrolled: 1-line block ×3, first 2 shown]
	v_mfma_f32_16x16x16f16 v[34:37], v[64:65], v[14:15], v[34:37]
	s_waitcnt vmcnt(3)
	v_cmp_ne_u16_sdwa s[14:15], v44, v54 src0_sel:BYTE_0 src1_sel:DWORD
	v_mfma_f32_16x16x16f16 v[34:37], v[58:59], v[16:17], v[34:37]
	s_and_saveexec_b64 s[12:13], s[14:15]
	s_cbranch_execz .LBB620_413
; %bb.408:                              ;   in Loop: Header=BB620_215 Depth=1
	v_cmp_ne_u16_sdwa s[16:17], v44, s9 src0_sel:BYTE_0 src1_sel:DWORD
	v_bfrev_b32_e32 v56, 1
	s_and_saveexec_b64 s[14:15], s[16:17]
	s_cbranch_execz .LBB620_412
; %bb.409:                              ;   in Loop: Header=BB620_215 Depth=1
	v_and_b32_e32 v46, 0x7f, v44
	v_cmp_ne_u32_e32 vcc, s19, v46
	v_mov_b32_e32 v56, 0x7f800001
	s_and_saveexec_b64 s[16:17], vcc
	s_cbranch_execz .LBB620_411
; %bb.410:                              ;   in Loop: Header=BB620_215 Depth=1
	v_and_b32_e32 v51, 7, v44
	v_ffbh_u32_e32 v56, v51
	v_min_u32_e32 v59, 32, v56
	v_subrev_u32_e32 v56, 28, v59
	v_lshlrev_b64 v[56:57], v56, v[44:45]
	v_lshrrev_b32_e32 v58, 3, v46
	v_sub_u32_e32 v57, 29, v59
	v_and_b32_e32 v56, 7, v56
	v_cmp_gt_u32_e32 vcc, 8, v46
	v_cndmask_b32_e32 v46, v58, v57, vcc
	v_cndmask_b32_e32 v51, v51, v56, vcc
	v_lshlrev_b32_e32 v56, 24, v44
	v_lshlrev_b32_e32 v51, 20, v51
	v_and_b32_e32 v56, 0x80000000, v56
	v_lshl_add_u32 v46, v46, 23, v55
	v_or3_b32 v56, v56, v46, v51
.LBB620_411:                            ;   in Loop: Header=BB620_215 Depth=1
	s_or_b64 exec, exec, s[16:17]
.LBB620_412:                            ;   in Loop: Header=BB620_215 Depth=1
	s_or_b64 exec, exec, s[14:15]
.LBB620_413:                            ;   in Loop: Header=BB620_215 Depth=1
	s_or_b64 exec, exec, s[12:13]
	v_lshrrev_b16_e32 v46, 8, v44
	v_cmp_ne_u16_e32 vcc, 0, v46
	v_mov_b32_e32 v51, 0
	v_mov_b32_e32 v57, 0
	s_and_saveexec_b64 s[12:13], vcc
	s_cbranch_execz .LBB620_419
; %bb.414:                              ;   in Loop: Header=BB620_215 Depth=1
	v_cmp_ne_u16_e32 vcc, s9, v46
	v_bfrev_b32_e32 v57, 1
	s_and_saveexec_b64 s[14:15], vcc
	s_cbranch_execz .LBB620_418
; %bb.415:                              ;   in Loop: Header=BB620_215 Depth=1
	v_and_b32_e32 v58, 0x7f, v46
	v_cmp_ne_u32_e32 vcc, s19, v58
	v_mov_b32_e32 v57, 0x7f800001
	s_and_saveexec_b64 s[16:17], vcc
	s_cbranch_execz .LBB620_417
; %bb.416:                              ;   in Loop: Header=BB620_215 Depth=1
	v_and_b32_e32 v57, 7, v46
	v_ffbh_u32_e32 v60, v57
	v_min_u32_e32 v62, 32, v60
	v_subrev_u32_e32 v60, 28, v62
	v_lshlrev_b64 v[60:61], v60, v[46:47]
	v_lshrrev_b32_e32 v59, 3, v58
	v_sub_u32_e32 v46, 29, v62
	v_and_b32_e32 v60, 7, v60
	v_cmp_gt_u32_e32 vcc, 8, v58
	v_cndmask_b32_e32 v46, v59, v46, vcc
	v_cndmask_b32_e32 v57, v57, v60, vcc
	v_lshlrev_b32_e32 v58, 16, v44
	v_lshlrev_b32_e32 v57, 20, v57
	v_and_b32_e32 v58, 0x80000000, v58
	v_lshl_add_u32 v46, v46, 23, v55
	v_or3_b32 v57, v58, v46, v57
.LBB620_417:                            ;   in Loop: Header=BB620_215 Depth=1
	s_or_b64 exec, exec, s[16:17]
.LBB620_418:                            ;   in Loop: Header=BB620_215 Depth=1
	s_or_b64 exec, exec, s[14:15]
.LBB620_419:                            ;   in Loop: Header=BB620_215 Depth=1
	s_or_b64 exec, exec, s[12:13]
	v_lshrrev_b32_e32 v46, 16, v44
	v_cmp_ne_u16_sdwa s[14:15], v46, v54 src0_sel:BYTE_0 src1_sel:DWORD
	s_and_saveexec_b64 s[12:13], s[14:15]
	s_cbranch_execz .LBB620_425
; %bb.420:                              ;   in Loop: Header=BB620_215 Depth=1
	v_cmp_ne_u16_sdwa s[16:17], v46, s9 src0_sel:BYTE_0 src1_sel:DWORD
	v_bfrev_b32_e32 v51, 1
	s_and_saveexec_b64 s[14:15], s[16:17]
	s_cbranch_execz .LBB620_424
; %bb.421:                              ;   in Loop: Header=BB620_215 Depth=1
	v_bfe_u32 v58, v44, 16, 7
	v_cmp_ne_u32_e32 vcc, s19, v58
	v_mov_b32_e32 v51, 0x7f800001
	s_and_saveexec_b64 s[16:17], vcc
	s_cbranch_execz .LBB620_423
; %bb.422:                              ;   in Loop: Header=BB620_215 Depth=1
	v_and_b32_e32 v51, 7, v46
	v_ffbh_u32_e32 v60, v51
	v_min_u32_e32 v62, 32, v60
	v_subrev_u32_e32 v60, 28, v62
	v_lshlrev_b64 v[60:61], v60, v[46:47]
	v_lshrrev_b32_e32 v59, 3, v58
	v_sub_u32_e32 v61, 29, v62
	v_and_b32_e32 v60, 7, v60
	v_cmp_gt_u32_e32 vcc, 8, v58
	v_cndmask_b32_e32 v58, v59, v61, vcc
	v_cndmask_b32_e32 v51, v51, v60, vcc
	v_lshlrev_b32_e32 v46, 24, v46
	v_lshlrev_b32_e32 v51, 20, v51
	v_and_b32_e32 v46, 0x80000000, v46
	v_lshl_add_u32 v58, v58, 23, v55
	v_or3_b32 v51, v46, v58, v51
.LBB620_423:                            ;   in Loop: Header=BB620_215 Depth=1
	s_or_b64 exec, exec, s[16:17]
.LBB620_424:                            ;   in Loop: Header=BB620_215 Depth=1
	s_or_b64 exec, exec, s[14:15]
.LBB620_425:                            ;   in Loop: Header=BB620_215 Depth=1
	s_or_b64 exec, exec, s[12:13]
	v_cmp_lt_u32_e32 vcc, s20, v44
	v_mov_b32_e32 v58, 0
	v_mov_b32_e32 v59, 0
	s_and_saveexec_b64 s[12:13], vcc
	s_cbranch_execz .LBB620_431
; %bb.426:                              ;   in Loop: Header=BB620_215 Depth=1
	v_lshrrev_b32_e32 v46, 24, v44
	v_cmp_ne_u32_e32 vcc, s9, v46
	v_bfrev_b32_e32 v59, 1
	s_and_saveexec_b64 s[14:15], vcc
	s_cbranch_execz .LBB620_430
; %bb.427:                              ;   in Loop: Header=BB620_215 Depth=1
	v_bfe_u32 v44, v44, 24, 7
	v_cmp_ne_u32_e32 vcc, s19, v44
	v_mov_b32_e32 v59, 0x7f800001
	s_and_saveexec_b64 s[16:17], vcc
	s_cbranch_execz .LBB620_429
; %bb.428:                              ;   in Loop: Header=BB620_215 Depth=1
	v_and_b32_e32 v59, 7, v46
	v_ffbh_u32_e32 v60, v59
	v_min_u32_e32 v63, 32, v60
	v_subrev_u32_e32 v60, 28, v63
	v_lshlrev_b64 v[60:61], v60, v[46:47]
	v_lshrrev_b32_e32 v62, 3, v44
	v_sub_u32_e32 v61, 29, v63
	v_and_b32_e32 v60, 7, v60
	v_cmp_gt_u32_e32 vcc, 8, v44
	v_cndmask_b32_e32 v44, v62, v61, vcc
	v_cndmask_b32_e32 v59, v59, v60, vcc
	v_lshlrev_b32_e32 v46, 24, v46
	v_lshlrev_b32_e32 v59, 20, v59
	v_and_b32_e32 v46, 0x80000000, v46
	v_lshl_add_u32 v44, v44, 23, v55
	v_or3_b32 v59, v46, v44, v59
.LBB620_429:                            ;   in Loop: Header=BB620_215 Depth=1
	s_or_b64 exec, exec, s[16:17]
.LBB620_430:                            ;   in Loop: Header=BB620_215 Depth=1
	s_or_b64 exec, exec, s[14:15]
.LBB620_431:                            ;   in Loop: Header=BB620_215 Depth=1
	s_or_b64 exec, exec, s[12:13]
	s_waitcnt vmcnt(2)
	v_cmp_ne_u16_sdwa s[14:15], v42, v54 src0_sel:BYTE_0 src1_sel:DWORD
	s_and_saveexec_b64 s[12:13], s[14:15]
	s_cbranch_execz .LBB620_437
; %bb.432:                              ;   in Loop: Header=BB620_215 Depth=1
	v_cmp_ne_u16_sdwa s[16:17], v42, s9 src0_sel:BYTE_0 src1_sel:DWORD
	v_bfrev_b32_e32 v58, 1
	s_and_saveexec_b64 s[14:15], s[16:17]
	s_cbranch_execz .LBB620_436
; %bb.433:                              ;   in Loop: Header=BB620_215 Depth=1
	v_and_b32_e32 v44, 0x7f, v42
	v_cmp_ne_u32_e32 vcc, s19, v44
	v_mov_b32_e32 v58, 0x7f800001
	s_and_saveexec_b64 s[16:17], vcc
	s_cbranch_execz .LBB620_435
; %bb.434:                              ;   in Loop: Header=BB620_215 Depth=1
	v_and_b32_e32 v46, 7, v42
	v_ffbh_u32_e32 v60, v46
	v_min_u32_e32 v62, 32, v60
	v_subrev_u32_e32 v60, 28, v62
	v_lshlrev_b64 v[60:61], v60, v[42:43]
	v_lshrrev_b32_e32 v58, 3, v44
	v_sub_u32_e32 v61, 29, v62
	v_and_b32_e32 v60, 7, v60
	v_cmp_gt_u32_e32 vcc, 8, v44
	v_cndmask_b32_e32 v44, v58, v61, vcc
	v_cndmask_b32_e32 v46, v46, v60, vcc
	v_lshlrev_b32_e32 v58, 24, v42
	v_lshlrev_b32_e32 v46, 20, v46
	v_and_b32_e32 v58, 0x80000000, v58
	v_lshl_add_u32 v44, v44, 23, v55
	v_or3_b32 v58, v58, v44, v46
.LBB620_435:                            ;   in Loop: Header=BB620_215 Depth=1
	s_or_b64 exec, exec, s[16:17]
.LBB620_436:                            ;   in Loop: Header=BB620_215 Depth=1
	s_or_b64 exec, exec, s[14:15]
.LBB620_437:                            ;   in Loop: Header=BB620_215 Depth=1
	s_or_b64 exec, exec, s[12:13]
	v_lshrrev_b16_e32 v44, 8, v42
	v_cmp_ne_u16_e32 vcc, 0, v44
	v_mov_b32_e32 v60, 0
	v_mov_b32_e32 v61, 0
	s_and_saveexec_b64 s[12:13], vcc
	s_cbranch_execz .LBB620_443
; %bb.438:                              ;   in Loop: Header=BB620_215 Depth=1
	v_cmp_ne_u16_e32 vcc, s9, v44
	v_bfrev_b32_e32 v61, 1
	s_and_saveexec_b64 s[14:15], vcc
	s_cbranch_execz .LBB620_442
; %bb.439:                              ;   in Loop: Header=BB620_215 Depth=1
	v_and_b32_e32 v46, 0x7f, v44
	v_cmp_ne_u32_e32 vcc, s19, v46
	v_mov_b32_e32 v61, 0x7f800001
	s_and_saveexec_b64 s[16:17], vcc
	s_cbranch_execz .LBB620_441
; %bb.440:                              ;   in Loop: Header=BB620_215 Depth=1
	v_and_b32_e32 v61, 7, v44
	v_ffbh_u32_e32 v62, v61
	v_min_u32_e32 v65, 32, v62
	v_subrev_u32_e32 v62, 28, v65
	v_lshlrev_b64 v[62:63], v62, v[44:45]
	v_lshrrev_b32_e32 v64, 3, v46
	v_sub_u32_e32 v44, 29, v65
	v_and_b32_e32 v62, 7, v62
	v_cmp_gt_u32_e32 vcc, 8, v46
	v_cndmask_b32_e32 v44, v64, v44, vcc
	v_cndmask_b32_e32 v46, v61, v62, vcc
	v_lshlrev_b32_e32 v61, 16, v42
	v_lshlrev_b32_e32 v46, 20, v46
	v_and_b32_e32 v61, 0x80000000, v61
	v_lshl_add_u32 v44, v44, 23, v55
	v_or3_b32 v61, v61, v44, v46
.LBB620_441:                            ;   in Loop: Header=BB620_215 Depth=1
	s_or_b64 exec, exec, s[16:17]
.LBB620_442:                            ;   in Loop: Header=BB620_215 Depth=1
	s_or_b64 exec, exec, s[14:15]
.LBB620_443:                            ;   in Loop: Header=BB620_215 Depth=1
	s_or_b64 exec, exec, s[12:13]
	v_lshrrev_b32_e32 v44, 16, v42
	v_cmp_ne_u16_sdwa s[14:15], v44, v54 src0_sel:BYTE_0 src1_sel:DWORD
	s_and_saveexec_b64 s[12:13], s[14:15]
	s_cbranch_execz .LBB620_449
; %bb.444:                              ;   in Loop: Header=BB620_215 Depth=1
	v_cmp_ne_u16_sdwa s[16:17], v44, s9 src0_sel:BYTE_0 src1_sel:DWORD
	v_bfrev_b32_e32 v60, 1
	s_and_saveexec_b64 s[14:15], s[16:17]
	s_cbranch_execz .LBB620_448
; %bb.445:                              ;   in Loop: Header=BB620_215 Depth=1
	v_bfe_u32 v46, v42, 16, 7
	v_cmp_ne_u32_e32 vcc, s19, v46
	v_mov_b32_e32 v60, 0x7f800001
	s_and_saveexec_b64 s[16:17], vcc
	s_cbranch_execz .LBB620_447
; %bb.446:                              ;   in Loop: Header=BB620_215 Depth=1
	v_and_b32_e32 v60, 7, v44
	v_ffbh_u32_e32 v62, v60
	v_min_u32_e32 v65, 32, v62
	v_subrev_u32_e32 v62, 28, v65
	v_lshlrev_b64 v[62:63], v62, v[44:45]
	v_lshrrev_b32_e32 v64, 3, v46
	v_sub_u32_e32 v63, 29, v65
	v_and_b32_e32 v62, 7, v62
	v_cmp_gt_u32_e32 vcc, 8, v46
	v_cndmask_b32_e32 v46, v64, v63, vcc
	v_cndmask_b32_e32 v60, v60, v62, vcc
	v_lshlrev_b32_e32 v44, 24, v44
	v_lshlrev_b32_e32 v60, 20, v60
	v_and_b32_e32 v44, 0x80000000, v44
	v_lshl_add_u32 v46, v46, 23, v55
	v_or3_b32 v60, v44, v46, v60
.LBB620_447:                            ;   in Loop: Header=BB620_215 Depth=1
	s_or_b64 exec, exec, s[16:17]
.LBB620_448:                            ;   in Loop: Header=BB620_215 Depth=1
	s_or_b64 exec, exec, s[14:15]
.LBB620_449:                            ;   in Loop: Header=BB620_215 Depth=1
	s_or_b64 exec, exec, s[12:13]
	v_cmp_lt_u32_e32 vcc, s20, v42
	v_mov_b32_e32 v46, 0
	v_mov_b32_e32 v62, 0
	s_and_saveexec_b64 s[12:13], vcc
	s_cbranch_execz .LBB620_455
; %bb.450:                              ;   in Loop: Header=BB620_215 Depth=1
	v_lshrrev_b32_e32 v44, 24, v42
	v_cmp_ne_u32_e32 vcc, s9, v44
	v_bfrev_b32_e32 v62, 1
	s_and_saveexec_b64 s[14:15], vcc
	s_cbranch_execz .LBB620_454
; %bb.451:                              ;   in Loop: Header=BB620_215 Depth=1
	v_bfe_u32 v42, v42, 24, 7
	v_cmp_ne_u32_e32 vcc, s19, v42
	v_mov_b32_e32 v62, 0x7f800001
	s_and_saveexec_b64 s[16:17], vcc
	s_cbranch_execz .LBB620_453
; %bb.452:                              ;   in Loop: Header=BB620_215 Depth=1
	v_and_b32_e32 v64, 7, v44
	v_ffbh_u32_e32 v62, v64
	v_min_u32_e32 v66, 32, v62
	v_subrev_u32_e32 v62, 28, v66
	v_lshlrev_b64 v[62:63], v62, v[44:45]
	v_lshrrev_b32_e32 v65, 3, v42
	v_sub_u32_e32 v63, 29, v66
	v_and_b32_e32 v62, 7, v62
	v_cmp_gt_u32_e32 vcc, 8, v42
	v_cndmask_b32_e32 v42, v65, v63, vcc
	v_cndmask_b32_e32 v62, v64, v62, vcc
	v_lshlrev_b32_e32 v44, 24, v44
	v_lshlrev_b32_e32 v62, 20, v62
	v_and_b32_e32 v44, 0x80000000, v44
	v_lshl_add_u32 v42, v42, 23, v55
	v_or3_b32 v62, v44, v42, v62
.LBB620_453:                            ;   in Loop: Header=BB620_215 Depth=1
	s_or_b64 exec, exec, s[16:17]
.LBB620_454:                            ;   in Loop: Header=BB620_215 Depth=1
	s_or_b64 exec, exec, s[14:15]
.LBB620_455:                            ;   in Loop: Header=BB620_215 Depth=1
	s_or_b64 exec, exec, s[12:13]
	v_cvt_pkrtz_f16_f32 v56, v56, v57
	v_cvt_pkrtz_f16_f32 v57, v51, v59
	s_waitcnt vmcnt(1)
	v_cmp_ne_u16_sdwa s[14:15], v40, v54 src0_sel:BYTE_0 src1_sel:DWORD
	v_mfma_f32_16x16x16f16 v[34:37], v[56:57], v[18:19], v[34:37]
	v_cvt_pkrtz_f16_f32 v56, v58, v61
	v_cvt_pkrtz_f16_f32 v57, v60, v62
	s_nop 1
	v_mfma_f32_16x16x16f16 v[34:37], v[56:57], v[20:21], v[34:37]
	s_and_saveexec_b64 s[12:13], s[14:15]
	s_cbranch_execz .LBB620_461
; %bb.456:                              ;   in Loop: Header=BB620_215 Depth=1
	v_cmp_ne_u16_sdwa s[16:17], v40, s9 src0_sel:BYTE_0 src1_sel:DWORD
	v_bfrev_b32_e32 v46, 1
	s_and_saveexec_b64 s[14:15], s[16:17]
	s_cbranch_execz .LBB620_460
; %bb.457:                              ;   in Loop: Header=BB620_215 Depth=1
	v_and_b32_e32 v42, 0x7f, v40
	v_cmp_ne_u32_e32 vcc, s19, v42
	v_mov_b32_e32 v46, 0x7f800001
	s_and_saveexec_b64 s[16:17], vcc
	s_cbranch_execz .LBB620_459
; %bb.458:                              ;   in Loop: Header=BB620_215 Depth=1
	v_and_b32_e32 v44, 7, v40
	v_ffbh_u32_e32 v51, v44
	v_min_u32_e32 v51, 32, v51
	v_subrev_u32_e32 v56, 28, v51
	v_lshlrev_b64 v[56:57], v56, v[40:41]
	v_lshrrev_b32_e32 v46, 3, v42
	v_sub_u32_e32 v51, 29, v51
	v_and_b32_e32 v56, 7, v56
	v_cmp_gt_u32_e32 vcc, 8, v42
	v_cndmask_b32_e32 v42, v46, v51, vcc
	v_cndmask_b32_e32 v44, v44, v56, vcc
	v_lshlrev_b32_e32 v46, 24, v40
	v_lshlrev_b32_e32 v44, 20, v44
	v_and_b32_e32 v46, 0x80000000, v46
	v_lshl_add_u32 v42, v42, 23, v55
	v_or3_b32 v46, v46, v42, v44
.LBB620_459:                            ;   in Loop: Header=BB620_215 Depth=1
	s_or_b64 exec, exec, s[16:17]
.LBB620_460:                            ;   in Loop: Header=BB620_215 Depth=1
	s_or_b64 exec, exec, s[14:15]
.LBB620_461:                            ;   in Loop: Header=BB620_215 Depth=1
	s_or_b64 exec, exec, s[12:13]
	v_lshrrev_b16_e32 v42, 8, v40
	v_cmp_ne_u16_e32 vcc, 0, v42
	v_mov_b32_e32 v44, 0
	v_mov_b32_e32 v56, 0
	s_and_saveexec_b64 s[12:13], vcc
	s_cbranch_execz .LBB620_467
; %bb.462:                              ;   in Loop: Header=BB620_215 Depth=1
	v_cmp_ne_u16_e32 vcc, s9, v42
	v_bfrev_b32_e32 v56, 1
	s_and_saveexec_b64 s[14:15], vcc
	s_cbranch_execz .LBB620_466
; %bb.463:                              ;   in Loop: Header=BB620_215 Depth=1
	v_and_b32_e32 v51, 0x7f, v42
	v_cmp_ne_u32_e32 vcc, s19, v51
	v_mov_b32_e32 v56, 0x7f800001
	s_and_saveexec_b64 s[16:17], vcc
	s_cbranch_execz .LBB620_465
; %bb.464:                              ;   in Loop: Header=BB620_215 Depth=1
	v_and_b32_e32 v58, 7, v42
	v_ffbh_u32_e32 v56, v58
	v_min_u32_e32 v60, 32, v56
	v_subrev_u32_e32 v56, 28, v60
	v_lshlrev_b64 v[56:57], v56, v[42:43]
	v_lshrrev_b32_e32 v59, 3, v51
	v_sub_u32_e32 v42, 29, v60
	v_and_b32_e32 v56, 7, v56
	v_cmp_gt_u32_e32 vcc, 8, v51
	v_cndmask_b32_e32 v42, v59, v42, vcc
	v_cndmask_b32_e32 v51, v58, v56, vcc
	v_lshlrev_b32_e32 v56, 16, v40
	v_lshlrev_b32_e32 v51, 20, v51
	v_and_b32_e32 v56, 0x80000000, v56
	v_lshl_add_u32 v42, v42, 23, v55
	v_or3_b32 v56, v56, v42, v51
.LBB620_465:                            ;   in Loop: Header=BB620_215 Depth=1
	s_or_b64 exec, exec, s[16:17]
.LBB620_466:                            ;   in Loop: Header=BB620_215 Depth=1
	s_or_b64 exec, exec, s[14:15]
.LBB620_467:                            ;   in Loop: Header=BB620_215 Depth=1
	s_or_b64 exec, exec, s[12:13]
	v_lshrrev_b32_e32 v42, 16, v40
	v_cmp_ne_u16_sdwa s[14:15], v42, v54 src0_sel:BYTE_0 src1_sel:DWORD
	s_and_saveexec_b64 s[12:13], s[14:15]
	s_cbranch_execz .LBB620_473
; %bb.468:                              ;   in Loop: Header=BB620_215 Depth=1
	v_cmp_ne_u16_sdwa s[16:17], v42, s9 src0_sel:BYTE_0 src1_sel:DWORD
	v_bfrev_b32_e32 v44, 1
	s_and_saveexec_b64 s[14:15], s[16:17]
	s_cbranch_execz .LBB620_472
; %bb.469:                              ;   in Loop: Header=BB620_215 Depth=1
	v_bfe_u32 v51, v40, 16, 7
	v_cmp_ne_u32_e32 vcc, s19, v51
	v_mov_b32_e32 v44, 0x7f800001
	s_and_saveexec_b64 s[16:17], vcc
	s_cbranch_execz .LBB620_471
; %bb.470:                              ;   in Loop: Header=BB620_215 Depth=1
	v_and_b32_e32 v44, 7, v42
	v_ffbh_u32_e32 v58, v44
	v_min_u32_e32 v60, 32, v58
	v_subrev_u32_e32 v58, 28, v60
	v_lshlrev_b64 v[58:59], v58, v[42:43]
	v_lshrrev_b32_e32 v57, 3, v51
	v_sub_u32_e32 v59, 29, v60
	v_and_b32_e32 v58, 7, v58
	v_cmp_gt_u32_e32 vcc, 8, v51
	v_cndmask_b32_e32 v51, v57, v59, vcc
	v_cndmask_b32_e32 v44, v44, v58, vcc
	v_lshlrev_b32_e32 v42, 24, v42
	v_lshlrev_b32_e32 v44, 20, v44
	v_and_b32_e32 v42, 0x80000000, v42
	v_lshl_add_u32 v51, v51, 23, v55
	v_or3_b32 v44, v42, v51, v44
.LBB620_471:                            ;   in Loop: Header=BB620_215 Depth=1
	s_or_b64 exec, exec, s[16:17]
.LBB620_472:                            ;   in Loop: Header=BB620_215 Depth=1
	s_or_b64 exec, exec, s[14:15]
.LBB620_473:                            ;   in Loop: Header=BB620_215 Depth=1
	s_or_b64 exec, exec, s[12:13]
	v_cmp_lt_u32_e32 vcc, s20, v40
	v_mov_b32_e32 v57, 0
	v_mov_b32_e32 v58, 0
	s_and_saveexec_b64 s[12:13], vcc
	s_cbranch_execz .LBB620_479
; %bb.474:                              ;   in Loop: Header=BB620_215 Depth=1
	v_lshrrev_b32_e32 v42, 24, v40
	v_cmp_ne_u32_e32 vcc, s9, v42
	v_bfrev_b32_e32 v58, 1
	s_and_saveexec_b64 s[14:15], vcc
	s_cbranch_execz .LBB620_478
; %bb.475:                              ;   in Loop: Header=BB620_215 Depth=1
	v_bfe_u32 v40, v40, 24, 7
	v_cmp_ne_u32_e32 vcc, s19, v40
	v_mov_b32_e32 v58, 0x7f800001
	s_and_saveexec_b64 s[16:17], vcc
	s_cbranch_execz .LBB620_477
; %bb.476:                              ;   in Loop: Header=BB620_215 Depth=1
	v_and_b32_e32 v51, 7, v42
	v_ffbh_u32_e32 v58, v51
	v_min_u32_e32 v61, 32, v58
	v_subrev_u32_e32 v58, 28, v61
	v_lshlrev_b64 v[58:59], v58, v[42:43]
	v_lshrrev_b32_e32 v60, 3, v40
	v_sub_u32_e32 v59, 29, v61
	v_and_b32_e32 v58, 7, v58
	v_cmp_gt_u32_e32 vcc, 8, v40
	v_cndmask_b32_e32 v40, v60, v59, vcc
	v_cndmask_b32_e32 v51, v51, v58, vcc
	v_lshlrev_b32_e32 v42, 24, v42
	v_lshlrev_b32_e32 v51, 20, v51
	v_and_b32_e32 v42, 0x80000000, v42
	v_lshl_add_u32 v40, v40, 23, v55
	v_or3_b32 v58, v42, v40, v51
.LBB620_477:                            ;   in Loop: Header=BB620_215 Depth=1
	s_or_b64 exec, exec, s[16:17]
.LBB620_478:                            ;   in Loop: Header=BB620_215 Depth=1
	s_or_b64 exec, exec, s[14:15]
.LBB620_479:                            ;   in Loop: Header=BB620_215 Depth=1
	s_or_b64 exec, exec, s[12:13]
	s_waitcnt vmcnt(0)
	v_cmp_ne_u16_sdwa s[14:15], v38, v54 src0_sel:BYTE_0 src1_sel:DWORD
	s_and_saveexec_b64 s[12:13], s[14:15]
	s_cbranch_execz .LBB620_485
; %bb.480:                              ;   in Loop: Header=BB620_215 Depth=1
	v_cmp_ne_u16_sdwa s[16:17], v38, s9 src0_sel:BYTE_0 src1_sel:DWORD
	v_bfrev_b32_e32 v57, 1
	s_and_saveexec_b64 s[14:15], s[16:17]
	s_cbranch_execz .LBB620_484
; %bb.481:                              ;   in Loop: Header=BB620_215 Depth=1
	v_and_b32_e32 v40, 0x7f, v38
	v_cmp_ne_u32_e32 vcc, s19, v40
	v_mov_b32_e32 v57, 0x7f800001
	s_and_saveexec_b64 s[16:17], vcc
	s_cbranch_execz .LBB620_483
; %bb.482:                              ;   in Loop: Header=BB620_215 Depth=1
	v_and_b32_e32 v42, 7, v38
	v_ffbh_u32_e32 v57, v42
	v_min_u32_e32 v57, 32, v57
	v_subrev_u32_e32 v59, 28, v57
	v_lshlrev_b64 v[60:61], v59, v[38:39]
	v_lshrrev_b32_e32 v51, 3, v40
	v_sub_u32_e32 v57, 29, v57
	v_and_b32_e32 v59, 7, v60
	v_cmp_gt_u32_e32 vcc, 8, v40
	v_cndmask_b32_e32 v40, v51, v57, vcc
	v_cndmask_b32_e32 v42, v42, v59, vcc
	v_lshlrev_b32_e32 v51, 24, v38
	v_lshlrev_b32_e32 v42, 20, v42
	v_and_b32_e32 v51, 0x80000000, v51
	v_lshl_add_u32 v40, v40, 23, v55
	v_or3_b32 v57, v51, v40, v42
.LBB620_483:                            ;   in Loop: Header=BB620_215 Depth=1
	s_or_b64 exec, exec, s[16:17]
.LBB620_484:                            ;   in Loop: Header=BB620_215 Depth=1
	s_or_b64 exec, exec, s[14:15]
.LBB620_485:                            ;   in Loop: Header=BB620_215 Depth=1
	s_or_b64 exec, exec, s[12:13]
	v_lshrrev_b16_e32 v40, 8, v38
	v_cmp_ne_u16_e32 vcc, 0, v40
	v_mov_b32_e32 v59, 0
	v_mov_b32_e32 v60, 0
	s_and_saveexec_b64 s[12:13], vcc
	s_cbranch_execz .LBB620_491
; %bb.486:                              ;   in Loop: Header=BB620_215 Depth=1
	v_cmp_ne_u16_e32 vcc, s9, v40
	v_bfrev_b32_e32 v60, 1
	s_and_saveexec_b64 s[14:15], vcc
	s_cbranch_execz .LBB620_490
; %bb.487:                              ;   in Loop: Header=BB620_215 Depth=1
	v_and_b32_e32 v42, 0x7f, v40
	v_cmp_ne_u32_e32 vcc, s19, v42
	v_mov_b32_e32 v60, 0x7f800001
	s_and_saveexec_b64 s[16:17], vcc
	s_cbranch_execz .LBB620_489
; %bb.488:                              ;   in Loop: Header=BB620_215 Depth=1
	v_and_b32_e32 v51, 7, v40
	v_ffbh_u32_e32 v60, v51
	v_min_u32_e32 v63, 32, v60
	v_subrev_u32_e32 v60, 28, v63
	v_lshlrev_b64 v[60:61], v60, v[40:41]
	v_lshrrev_b32_e32 v62, 3, v42
	v_sub_u32_e32 v40, 29, v63
	v_and_b32_e32 v60, 7, v60
	v_cmp_gt_u32_e32 vcc, 8, v42
	v_cndmask_b32_e32 v40, v62, v40, vcc
	v_cndmask_b32_e32 v42, v51, v60, vcc
	v_lshlrev_b32_e32 v51, 16, v38
	v_lshlrev_b32_e32 v42, 20, v42
	v_and_b32_e32 v51, 0x80000000, v51
	v_lshl_add_u32 v40, v40, 23, v55
	v_or3_b32 v60, v51, v40, v42
.LBB620_489:                            ;   in Loop: Header=BB620_215 Depth=1
	s_or_b64 exec, exec, s[16:17]
.LBB620_490:                            ;   in Loop: Header=BB620_215 Depth=1
	s_or_b64 exec, exec, s[14:15]
.LBB620_491:                            ;   in Loop: Header=BB620_215 Depth=1
	s_or_b64 exec, exec, s[12:13]
	v_lshrrev_b32_e32 v40, 16, v38
	v_cmp_ne_u16_sdwa s[14:15], v40, v54 src0_sel:BYTE_0 src1_sel:DWORD
	s_and_saveexec_b64 s[12:13], s[14:15]
	s_cbranch_execz .LBB620_497
; %bb.492:                              ;   in Loop: Header=BB620_215 Depth=1
	v_cmp_ne_u16_sdwa s[16:17], v40, s9 src0_sel:BYTE_0 src1_sel:DWORD
	v_bfrev_b32_e32 v59, 1
	s_and_saveexec_b64 s[14:15], s[16:17]
	s_cbranch_execz .LBB620_496
; %bb.493:                              ;   in Loop: Header=BB620_215 Depth=1
	v_bfe_u32 v42, v38, 16, 7
	v_cmp_ne_u32_e32 vcc, s19, v42
	v_mov_b32_e32 v59, 0x7f800001
	s_and_saveexec_b64 s[16:17], vcc
	s_cbranch_execz .LBB620_495
; %bb.494:                              ;   in Loop: Header=BB620_215 Depth=1
	v_and_b32_e32 v51, 7, v40
	v_ffbh_u32_e32 v61, v51
	v_min_u32_e32 v61, 32, v61
	v_subrev_u32_e32 v62, 28, v61
	v_lshlrev_b64 v[62:63], v62, v[40:41]
	v_lshrrev_b32_e32 v59, 3, v42
	v_sub_u32_e32 v61, 29, v61
	v_and_b32_e32 v62, 7, v62
	v_cmp_gt_u32_e32 vcc, 8, v42
	v_cndmask_b32_e32 v42, v59, v61, vcc
	v_cndmask_b32_e32 v51, v51, v62, vcc
	v_lshlrev_b32_e32 v40, 24, v40
	v_lshlrev_b32_e32 v51, 20, v51
	v_and_b32_e32 v40, 0x80000000, v40
	v_lshl_add_u32 v42, v42, 23, v55
	v_or3_b32 v59, v40, v42, v51
.LBB620_495:                            ;   in Loop: Header=BB620_215 Depth=1
	s_or_b64 exec, exec, s[16:17]
.LBB620_496:                            ;   in Loop: Header=BB620_215 Depth=1
	s_or_b64 exec, exec, s[14:15]
.LBB620_497:                            ;   in Loop: Header=BB620_215 Depth=1
	s_or_b64 exec, exec, s[12:13]
	v_cmp_lt_u32_e32 vcc, s20, v38
	v_mov_b32_e32 v51, 0
	v_mov_b32_e32 v61, 0
	s_and_saveexec_b64 s[12:13], vcc
	s_cbranch_execz .LBB620_503
; %bb.498:                              ;   in Loop: Header=BB620_215 Depth=1
	v_lshrrev_b32_e32 v40, 24, v38
	v_cmp_ne_u32_e32 vcc, s9, v40
	v_bfrev_b32_e32 v61, 1
	s_and_saveexec_b64 s[14:15], vcc
	s_cbranch_execz .LBB620_502
; %bb.499:                              ;   in Loop: Header=BB620_215 Depth=1
	v_bfe_u32 v38, v38, 24, 7
	v_cmp_ne_u32_e32 vcc, s19, v38
	v_mov_b32_e32 v61, 0x7f800001
	s_and_saveexec_b64 s[16:17], vcc
	s_cbranch_execz .LBB620_501
; %bb.500:                              ;   in Loop: Header=BB620_215 Depth=1
	v_and_b32_e32 v42, 7, v40
	v_ffbh_u32_e32 v62, v42
	v_min_u32_e32 v64, 32, v62
	v_subrev_u32_e32 v62, 28, v64
	v_lshlrev_b64 v[62:63], v62, v[40:41]
	v_lshrrev_b32_e32 v61, 3, v38
	v_sub_u32_e32 v63, 29, v64
	v_and_b32_e32 v62, 7, v62
	v_cmp_gt_u32_e32 vcc, 8, v38
	v_cndmask_b32_e32 v38, v61, v63, vcc
	v_cndmask_b32_e32 v42, v42, v62, vcc
	v_lshlrev_b32_e32 v40, 24, v40
	v_lshlrev_b32_e32 v42, 20, v42
	v_and_b32_e32 v40, 0x80000000, v40
	v_lshl_add_u32 v38, v38, 23, v55
	v_or3_b32 v61, v40, v38, v42
.LBB620_501:                            ;   in Loop: Header=BB620_215 Depth=1
	s_or_b64 exec, exec, s[16:17]
.LBB620_502:                            ;   in Loop: Header=BB620_215 Depth=1
	s_or_b64 exec, exec, s[14:15]
.LBB620_503:                            ;   in Loop: Header=BB620_215 Depth=1
	s_or_b64 exec, exec, s[12:13]
	v_cvt_pkrtz_f16_f32 v63, v44, v58
	buffer_load_dword v44, v50, s[0:3], 0 offen
	buffer_load_dword v42, v50, s[0:3], 0 offen offset:4
	buffer_load_dword v40, v50, s[0:3], 0 offen offset:8
	buffer_load_dword v38, v50, s[0:3], 0 offen offset:12
	v_cvt_pkrtz_f16_f32 v62, v46, v56
	v_cvt_pkrtz_f16_f32 v56, v57, v60
	;; [unrolled: 1-line block ×3, first 2 shown]
	v_mfma_f32_16x16x16f16 v[34:37], v[62:63], v[22:23], v[34:37]
	s_waitcnt vmcnt(3)
	v_cmp_ne_u16_sdwa s[14:15], v44, v54 src0_sel:BYTE_0 src1_sel:DWORD
	v_mfma_f32_16x16x16f16 v[34:37], v[56:57], v[24:25], v[34:37]
	s_and_saveexec_b64 s[12:13], s[14:15]
	s_cbranch_execz .LBB620_509
; %bb.504:                              ;   in Loop: Header=BB620_215 Depth=1
	v_cmp_ne_u16_sdwa s[16:17], v44, s9 src0_sel:BYTE_0 src1_sel:DWORD
	v_bfrev_b32_e32 v51, 1
	s_and_saveexec_b64 s[14:15], s[16:17]
	s_cbranch_execz .LBB620_508
; %bb.505:                              ;   in Loop: Header=BB620_215 Depth=1
	v_and_b32_e32 v46, 0x7f, v44
	v_cmp_ne_u32_e32 vcc, s19, v46
	v_mov_b32_e32 v51, 0x7f800001
	s_and_saveexec_b64 s[16:17], vcc
	s_cbranch_execz .LBB620_507
; %bb.506:                              ;   in Loop: Header=BB620_215 Depth=1
	v_and_b32_e32 v56, 7, v44
	v_ffbh_u32_e32 v50, v56
	v_min_u32_e32 v58, 32, v50
	v_subrev_u32_e32 v50, 28, v58
	v_lshlrev_b64 v[50:51], v50, v[44:45]
	v_lshrrev_b32_e32 v57, 3, v46
	v_sub_u32_e32 v51, 29, v58
	v_and_b32_e32 v50, 7, v50
	v_cmp_gt_u32_e32 vcc, 8, v46
	v_cndmask_b32_e32 v46, v57, v51, vcc
	v_cndmask_b32_e32 v50, v56, v50, vcc
	v_lshlrev_b32_e32 v51, 24, v44
	v_lshlrev_b32_e32 v50, 20, v50
	v_and_b32_e32 v51, 0x80000000, v51
	v_lshl_add_u32 v46, v46, 23, v55
	v_or3_b32 v51, v51, v46, v50
.LBB620_507:                            ;   in Loop: Header=BB620_215 Depth=1
	s_or_b64 exec, exec, s[16:17]
.LBB620_508:                            ;   in Loop: Header=BB620_215 Depth=1
	s_or_b64 exec, exec, s[14:15]
.LBB620_509:                            ;   in Loop: Header=BB620_215 Depth=1
	s_or_b64 exec, exec, s[12:13]
	v_lshrrev_b16_e32 v46, 8, v44
	v_cmp_ne_u16_e32 vcc, 0, v46
	v_mov_b32_e32 v50, 0
	v_mov_b32_e32 v56, 0
	s_and_saveexec_b64 s[12:13], vcc
	s_cbranch_execz .LBB620_515
; %bb.510:                              ;   in Loop: Header=BB620_215 Depth=1
	v_cmp_ne_u16_e32 vcc, s9, v46
	v_bfrev_b32_e32 v56, 1
	s_and_saveexec_b64 s[14:15], vcc
	s_cbranch_execz .LBB620_514
; %bb.511:                              ;   in Loop: Header=BB620_215 Depth=1
	v_and_b32_e32 v57, 0x7f, v46
	v_cmp_ne_u32_e32 vcc, s19, v57
	v_mov_b32_e32 v56, 0x7f800001
	s_and_saveexec_b64 s[16:17], vcc
	s_cbranch_execz .LBB620_513
; %bb.512:                              ;   in Loop: Header=BB620_215 Depth=1
	v_and_b32_e32 v56, 7, v46
	v_ffbh_u32_e32 v58, v56
	v_min_u32_e32 v61, 32, v58
	v_subrev_u32_e32 v58, 28, v61
	v_lshlrev_b64 v[58:59], v58, v[46:47]
	v_lshrrev_b32_e32 v60, 3, v57
	v_sub_u32_e32 v46, 29, v61
	v_and_b32_e32 v58, 7, v58
	v_cmp_gt_u32_e32 vcc, 8, v57
	v_cndmask_b32_e32 v46, v60, v46, vcc
	v_cndmask_b32_e32 v56, v56, v58, vcc
	v_lshlrev_b32_e32 v57, 16, v44
	v_lshlrev_b32_e32 v56, 20, v56
	v_and_b32_e32 v57, 0x80000000, v57
	v_lshl_add_u32 v46, v46, 23, v55
	v_or3_b32 v56, v57, v46, v56
.LBB620_513:                            ;   in Loop: Header=BB620_215 Depth=1
	s_or_b64 exec, exec, s[16:17]
.LBB620_514:                            ;   in Loop: Header=BB620_215 Depth=1
	s_or_b64 exec, exec, s[14:15]
.LBB620_515:                            ;   in Loop: Header=BB620_215 Depth=1
	s_or_b64 exec, exec, s[12:13]
	v_lshrrev_b32_e32 v46, 16, v44
	v_cmp_ne_u16_sdwa s[14:15], v46, v54 src0_sel:BYTE_0 src1_sel:DWORD
	s_and_saveexec_b64 s[12:13], s[14:15]
	s_cbranch_execz .LBB620_521
; %bb.516:                              ;   in Loop: Header=BB620_215 Depth=1
	v_cmp_ne_u16_sdwa s[16:17], v46, s9 src0_sel:BYTE_0 src1_sel:DWORD
	v_bfrev_b32_e32 v50, 1
	s_and_saveexec_b64 s[14:15], s[16:17]
	s_cbranch_execz .LBB620_520
; %bb.517:                              ;   in Loop: Header=BB620_215 Depth=1
	v_bfe_u32 v57, v44, 16, 7
	v_cmp_ne_u32_e32 vcc, s19, v57
	v_mov_b32_e32 v50, 0x7f800001
	s_and_saveexec_b64 s[16:17], vcc
	s_cbranch_execz .LBB620_519
; %bb.518:                              ;   in Loop: Header=BB620_215 Depth=1
	v_and_b32_e32 v50, 7, v46
	v_ffbh_u32_e32 v58, v50
	v_min_u32_e32 v61, 32, v58
	v_subrev_u32_e32 v58, 28, v61
	v_lshlrev_b64 v[58:59], v58, v[46:47]
	v_lshrrev_b32_e32 v60, 3, v57
	v_sub_u32_e32 v59, 29, v61
	v_and_b32_e32 v58, 7, v58
	v_cmp_gt_u32_e32 vcc, 8, v57
	v_cndmask_b32_e32 v57, v60, v59, vcc
	v_cndmask_b32_e32 v50, v50, v58, vcc
	v_lshlrev_b32_e32 v46, 24, v46
	v_lshlrev_b32_e32 v50, 20, v50
	v_and_b32_e32 v46, 0x80000000, v46
	v_lshl_add_u32 v57, v57, 23, v55
	v_or3_b32 v50, v46, v57, v50
.LBB620_519:                            ;   in Loop: Header=BB620_215 Depth=1
	s_or_b64 exec, exec, s[16:17]
.LBB620_520:                            ;   in Loop: Header=BB620_215 Depth=1
	s_or_b64 exec, exec, s[14:15]
.LBB620_521:                            ;   in Loop: Header=BB620_215 Depth=1
	s_or_b64 exec, exec, s[12:13]
	v_cmp_lt_u32_e32 vcc, s20, v44
	v_mov_b32_e32 v57, 0
	v_mov_b32_e32 v58, 0
	s_and_saveexec_b64 s[12:13], vcc
	s_cbranch_execz .LBB620_527
; %bb.522:                              ;   in Loop: Header=BB620_215 Depth=1
	v_lshrrev_b32_e32 v46, 24, v44
	v_cmp_ne_u32_e32 vcc, s9, v46
	v_bfrev_b32_e32 v58, 1
	s_and_saveexec_b64 s[14:15], vcc
	s_cbranch_execz .LBB620_526
; %bb.523:                              ;   in Loop: Header=BB620_215 Depth=1
	v_bfe_u32 v44, v44, 24, 7
	v_cmp_ne_u32_e32 vcc, s19, v44
	v_mov_b32_e32 v58, 0x7f800001
	s_and_saveexec_b64 s[16:17], vcc
	s_cbranch_execz .LBB620_525
; %bb.524:                              ;   in Loop: Header=BB620_215 Depth=1
	v_and_b32_e32 v60, 7, v46
	v_ffbh_u32_e32 v58, v60
	v_min_u32_e32 v62, 32, v58
	v_subrev_u32_e32 v58, 28, v62
	v_lshlrev_b64 v[58:59], v58, v[46:47]
	v_lshrrev_b32_e32 v61, 3, v44
	v_sub_u32_e32 v59, 29, v62
	v_and_b32_e32 v58, 7, v58
	v_cmp_gt_u32_e32 vcc, 8, v44
	v_cndmask_b32_e32 v44, v61, v59, vcc
	v_cndmask_b32_e32 v58, v60, v58, vcc
	v_lshlrev_b32_e32 v46, 24, v46
	v_lshlrev_b32_e32 v58, 20, v58
	v_and_b32_e32 v46, 0x80000000, v46
	v_lshl_add_u32 v44, v44, 23, v55
	v_or3_b32 v58, v46, v44, v58
.LBB620_525:                            ;   in Loop: Header=BB620_215 Depth=1
	s_or_b64 exec, exec, s[16:17]
.LBB620_526:                            ;   in Loop: Header=BB620_215 Depth=1
	s_or_b64 exec, exec, s[14:15]
.LBB620_527:                            ;   in Loop: Header=BB620_215 Depth=1
	s_or_b64 exec, exec, s[12:13]
	s_waitcnt vmcnt(2)
	v_cmp_ne_u16_sdwa s[14:15], v42, v54 src0_sel:BYTE_0 src1_sel:DWORD
	s_and_saveexec_b64 s[12:13], s[14:15]
	s_cbranch_execz .LBB620_533
; %bb.528:                              ;   in Loop: Header=BB620_215 Depth=1
	v_cmp_ne_u16_sdwa s[16:17], v42, s9 src0_sel:BYTE_0 src1_sel:DWORD
	v_bfrev_b32_e32 v57, 1
	s_and_saveexec_b64 s[14:15], s[16:17]
	s_cbranch_execz .LBB620_532
; %bb.529:                              ;   in Loop: Header=BB620_215 Depth=1
	v_and_b32_e32 v44, 0x7f, v42
	v_cmp_ne_u32_e32 vcc, s19, v44
	v_mov_b32_e32 v57, 0x7f800001
	s_and_saveexec_b64 s[16:17], vcc
	s_cbranch_execz .LBB620_531
; %bb.530:                              ;   in Loop: Header=BB620_215 Depth=1
	v_and_b32_e32 v46, 7, v42
	v_ffbh_u32_e32 v59, v46
	v_min_u32_e32 v59, 32, v59
	v_subrev_u32_e32 v60, 28, v59
	v_lshlrev_b64 v[60:61], v60, v[42:43]
	v_lshrrev_b32_e32 v57, 3, v44
	v_sub_u32_e32 v59, 29, v59
	v_and_b32_e32 v60, 7, v60
	v_cmp_gt_u32_e32 vcc, 8, v44
	v_cndmask_b32_e32 v44, v57, v59, vcc
	v_cndmask_b32_e32 v46, v46, v60, vcc
	v_lshlrev_b32_e32 v57, 24, v42
	v_lshlrev_b32_e32 v46, 20, v46
	v_and_b32_e32 v57, 0x80000000, v57
	v_lshl_add_u32 v44, v44, 23, v55
	v_or3_b32 v57, v57, v44, v46
.LBB620_531:                            ;   in Loop: Header=BB620_215 Depth=1
	s_or_b64 exec, exec, s[16:17]
.LBB620_532:                            ;   in Loop: Header=BB620_215 Depth=1
	s_or_b64 exec, exec, s[14:15]
.LBB620_533:                            ;   in Loop: Header=BB620_215 Depth=1
	s_or_b64 exec, exec, s[12:13]
	v_lshrrev_b16_e32 v44, 8, v42
	v_cmp_ne_u16_e32 vcc, 0, v44
	v_mov_b32_e32 v59, 0
	v_mov_b32_e32 v60, 0
	s_and_saveexec_b64 s[12:13], vcc
	s_cbranch_execz .LBB620_539
; %bb.534:                              ;   in Loop: Header=BB620_215 Depth=1
	v_cmp_ne_u16_e32 vcc, s9, v44
	v_bfrev_b32_e32 v60, 1
	s_and_saveexec_b64 s[14:15], vcc
	s_cbranch_execz .LBB620_538
; %bb.535:                              ;   in Loop: Header=BB620_215 Depth=1
	v_and_b32_e32 v46, 0x7f, v44
	v_cmp_ne_u32_e32 vcc, s19, v46
	v_mov_b32_e32 v60, 0x7f800001
	s_and_saveexec_b64 s[16:17], vcc
	s_cbranch_execz .LBB620_537
; %bb.536:                              ;   in Loop: Header=BB620_215 Depth=1
	v_and_b32_e32 v62, 7, v44
	v_ffbh_u32_e32 v60, v62
	v_min_u32_e32 v64, 32, v60
	v_subrev_u32_e32 v60, 28, v64
	v_lshlrev_b64 v[60:61], v60, v[44:45]
	v_lshrrev_b32_e32 v63, 3, v46
	v_sub_u32_e32 v44, 29, v64
	v_and_b32_e32 v60, 7, v60
	v_cmp_gt_u32_e32 vcc, 8, v46
	v_cndmask_b32_e32 v44, v63, v44, vcc
	v_cndmask_b32_e32 v46, v62, v60, vcc
	v_lshlrev_b32_e32 v60, 16, v42
	v_lshlrev_b32_e32 v46, 20, v46
	v_and_b32_e32 v60, 0x80000000, v60
	v_lshl_add_u32 v44, v44, 23, v55
	v_or3_b32 v60, v60, v44, v46
.LBB620_537:                            ;   in Loop: Header=BB620_215 Depth=1
	s_or_b64 exec, exec, s[16:17]
.LBB620_538:                            ;   in Loop: Header=BB620_215 Depth=1
	s_or_b64 exec, exec, s[14:15]
.LBB620_539:                            ;   in Loop: Header=BB620_215 Depth=1
	s_or_b64 exec, exec, s[12:13]
	v_lshrrev_b32_e32 v44, 16, v42
	v_cmp_ne_u16_sdwa s[14:15], v44, v54 src0_sel:BYTE_0 src1_sel:DWORD
	s_and_saveexec_b64 s[12:13], s[14:15]
	s_cbranch_execz .LBB620_545
; %bb.540:                              ;   in Loop: Header=BB620_215 Depth=1
	v_cmp_ne_u16_sdwa s[16:17], v44, s9 src0_sel:BYTE_0 src1_sel:DWORD
	v_bfrev_b32_e32 v59, 1
	s_and_saveexec_b64 s[14:15], s[16:17]
	s_cbranch_execz .LBB620_544
; %bb.541:                              ;   in Loop: Header=BB620_215 Depth=1
	v_bfe_u32 v46, v42, 16, 7
	v_cmp_ne_u32_e32 vcc, s19, v46
	v_mov_b32_e32 v59, 0x7f800001
	s_and_saveexec_b64 s[16:17], vcc
	s_cbranch_execz .LBB620_543
; %bb.542:                              ;   in Loop: Header=BB620_215 Depth=1
	v_and_b32_e32 v59, 7, v44
	v_ffbh_u32_e32 v62, v59
	v_min_u32_e32 v64, 32, v62
	v_subrev_u32_e32 v62, 28, v64
	v_lshlrev_b64 v[62:63], v62, v[44:45]
	v_lshrrev_b32_e32 v61, 3, v46
	v_sub_u32_e32 v63, 29, v64
	v_and_b32_e32 v62, 7, v62
	v_cmp_gt_u32_e32 vcc, 8, v46
	v_cndmask_b32_e32 v46, v61, v63, vcc
	v_cndmask_b32_e32 v59, v59, v62, vcc
	v_lshlrev_b32_e32 v44, 24, v44
	v_lshlrev_b32_e32 v59, 20, v59
	v_and_b32_e32 v44, 0x80000000, v44
	v_lshl_add_u32 v46, v46, 23, v55
	v_or3_b32 v59, v44, v46, v59
.LBB620_543:                            ;   in Loop: Header=BB620_215 Depth=1
	s_or_b64 exec, exec, s[16:17]
.LBB620_544:                            ;   in Loop: Header=BB620_215 Depth=1
	s_or_b64 exec, exec, s[14:15]
.LBB620_545:                            ;   in Loop: Header=BB620_215 Depth=1
	s_or_b64 exec, exec, s[12:13]
	v_cmp_lt_u32_e32 vcc, s20, v42
	v_mov_b32_e32 v46, 0
	v_mov_b32_e32 v61, 0
	s_and_saveexec_b64 s[12:13], vcc
	s_cbranch_execz .LBB620_551
; %bb.546:                              ;   in Loop: Header=BB620_215 Depth=1
	v_lshrrev_b32_e32 v44, 24, v42
	v_cmp_ne_u32_e32 vcc, s9, v44
	v_bfrev_b32_e32 v61, 1
	s_and_saveexec_b64 s[14:15], vcc
	s_cbranch_execz .LBB620_550
; %bb.547:                              ;   in Loop: Header=BB620_215 Depth=1
	v_bfe_u32 v42, v42, 24, 7
	v_cmp_ne_u32_e32 vcc, s19, v42
	v_mov_b32_e32 v61, 0x7f800001
	s_and_saveexec_b64 s[16:17], vcc
	s_cbranch_execz .LBB620_549
; %bb.548:                              ;   in Loop: Header=BB620_215 Depth=1
	v_and_b32_e32 v61, 7, v44
	v_ffbh_u32_e32 v62, v61
	v_min_u32_e32 v65, 32, v62
	v_subrev_u32_e32 v62, 28, v65
	v_lshlrev_b64 v[62:63], v62, v[44:45]
	v_lshrrev_b32_e32 v64, 3, v42
	v_sub_u32_e32 v63, 29, v65
	v_and_b32_e32 v62, 7, v62
	v_cmp_gt_u32_e32 vcc, 8, v42
	v_cndmask_b32_e32 v42, v64, v63, vcc
	v_cndmask_b32_e32 v61, v61, v62, vcc
	v_lshlrev_b32_e32 v44, 24, v44
	v_lshlrev_b32_e32 v61, 20, v61
	v_and_b32_e32 v44, 0x80000000, v44
	v_lshl_add_u32 v42, v42, 23, v55
	v_or3_b32 v61, v44, v42, v61
.LBB620_549:                            ;   in Loop: Header=BB620_215 Depth=1
	s_or_b64 exec, exec, s[16:17]
.LBB620_550:                            ;   in Loop: Header=BB620_215 Depth=1
	s_or_b64 exec, exec, s[14:15]
.LBB620_551:                            ;   in Loop: Header=BB620_215 Depth=1
	s_or_b64 exec, exec, s[12:13]
	v_cvt_pkrtz_f16_f32 v62, v51, v56
	v_cvt_pkrtz_f16_f32 v63, v50, v58
	;; [unrolled: 1-line block ×4, first 2 shown]
	s_waitcnt vmcnt(1)
	v_cmp_ne_u16_sdwa s[14:15], v40, v54 src0_sel:BYTE_0 src1_sel:DWORD
	v_mfma_f32_16x16x16f16 v[34:37], v[62:63], v[26:27], v[34:37]
	v_mfma_f32_16x16x16f16 v[34:37], v[50:51], v[28:29], v[34:37]
	s_and_saveexec_b64 s[12:13], s[14:15]
	s_cbranch_execz .LBB620_557
; %bb.552:                              ;   in Loop: Header=BB620_215 Depth=1
	v_cmp_ne_u16_sdwa s[16:17], v40, s9 src0_sel:BYTE_0 src1_sel:DWORD
	v_bfrev_b32_e32 v46, 1
	s_and_saveexec_b64 s[14:15], s[16:17]
	s_cbranch_execz .LBB620_556
; %bb.553:                              ;   in Loop: Header=BB620_215 Depth=1
	v_and_b32_e32 v42, 0x7f, v40
	v_cmp_ne_u32_e32 vcc, s19, v42
	v_mov_b32_e32 v46, 0x7f800001
	s_and_saveexec_b64 s[16:17], vcc
	s_cbranch_execz .LBB620_555
; %bb.554:                              ;   in Loop: Header=BB620_215 Depth=1
	v_and_b32_e32 v44, 7, v40
	v_ffbh_u32_e32 v50, v44
	v_min_u32_e32 v56, 32, v50
	v_subrev_u32_e32 v50, 28, v56
	v_lshlrev_b64 v[50:51], v50, v[40:41]
	v_lshrrev_b32_e32 v46, 3, v42
	v_sub_u32_e32 v51, 29, v56
	v_and_b32_e32 v50, 7, v50
	v_cmp_gt_u32_e32 vcc, 8, v42
	v_cndmask_b32_e32 v42, v46, v51, vcc
	v_cndmask_b32_e32 v44, v44, v50, vcc
	v_lshlrev_b32_e32 v46, 24, v40
	v_lshlrev_b32_e32 v44, 20, v44
	v_and_b32_e32 v46, 0x80000000, v46
	v_lshl_add_u32 v42, v42, 23, v55
	v_or3_b32 v46, v46, v42, v44
.LBB620_555:                            ;   in Loop: Header=BB620_215 Depth=1
	s_or_b64 exec, exec, s[16:17]
.LBB620_556:                            ;   in Loop: Header=BB620_215 Depth=1
	s_or_b64 exec, exec, s[14:15]
.LBB620_557:                            ;   in Loop: Header=BB620_215 Depth=1
	s_or_b64 exec, exec, s[12:13]
	v_lshrrev_b16_e32 v42, 8, v40
	v_cmp_ne_u16_e32 vcc, 0, v42
	v_mov_b32_e32 v44, 0
	v_mov_b32_e32 v50, 0
	s_and_saveexec_b64 s[12:13], vcc
	s_cbranch_execz .LBB620_563
; %bb.558:                              ;   in Loop: Header=BB620_215 Depth=1
	v_cmp_ne_u16_e32 vcc, s9, v42
	v_bfrev_b32_e32 v50, 1
	s_and_saveexec_b64 s[14:15], vcc
	s_cbranch_execz .LBB620_562
; %bb.559:                              ;   in Loop: Header=BB620_215 Depth=1
	v_and_b32_e32 v51, 0x7f, v42
	v_cmp_ne_u32_e32 vcc, s19, v51
	v_mov_b32_e32 v50, 0x7f800001
	s_and_saveexec_b64 s[16:17], vcc
	s_cbranch_execz .LBB620_561
; %bb.560:                              ;   in Loop: Header=BB620_215 Depth=1
	v_and_b32_e32 v50, 7, v42
	v_ffbh_u32_e32 v56, v50
	v_min_u32_e32 v59, 32, v56
	v_subrev_u32_e32 v56, 28, v59
	v_lshlrev_b64 v[56:57], v56, v[42:43]
	v_lshrrev_b32_e32 v58, 3, v51
	v_sub_u32_e32 v42, 29, v59
	v_and_b32_e32 v56, 7, v56
	v_cmp_gt_u32_e32 vcc, 8, v51
	v_cndmask_b32_e32 v42, v58, v42, vcc
	v_cndmask_b32_e32 v50, v50, v56, vcc
	v_lshlrev_b32_e32 v51, 16, v40
	v_lshlrev_b32_e32 v50, 20, v50
	v_and_b32_e32 v51, 0x80000000, v51
	v_lshl_add_u32 v42, v42, 23, v55
	v_or3_b32 v50, v51, v42, v50
.LBB620_561:                            ;   in Loop: Header=BB620_215 Depth=1
	s_or_b64 exec, exec, s[16:17]
.LBB620_562:                            ;   in Loop: Header=BB620_215 Depth=1
	s_or_b64 exec, exec, s[14:15]
.LBB620_563:                            ;   in Loop: Header=BB620_215 Depth=1
	s_or_b64 exec, exec, s[12:13]
	v_lshrrev_b32_e32 v42, 16, v40
	v_cmp_ne_u16_sdwa s[14:15], v42, v54 src0_sel:BYTE_0 src1_sel:DWORD
	s_and_saveexec_b64 s[12:13], s[14:15]
	s_cbranch_execz .LBB620_569
; %bb.564:                              ;   in Loop: Header=BB620_215 Depth=1
	v_cmp_ne_u16_sdwa s[16:17], v42, s9 src0_sel:BYTE_0 src1_sel:DWORD
	v_bfrev_b32_e32 v44, 1
	s_and_saveexec_b64 s[14:15], s[16:17]
	s_cbranch_execz .LBB620_568
; %bb.565:                              ;   in Loop: Header=BB620_215 Depth=1
	v_bfe_u32 v51, v40, 16, 7
	v_cmp_ne_u32_e32 vcc, s19, v51
	v_mov_b32_e32 v44, 0x7f800001
	s_and_saveexec_b64 s[16:17], vcc
	s_cbranch_execz .LBB620_567
; %bb.566:                              ;   in Loop: Header=BB620_215 Depth=1
	v_and_b32_e32 v44, 7, v42
	v_ffbh_u32_e32 v56, v44
	v_min_u32_e32 v59, 32, v56
	v_subrev_u32_e32 v56, 28, v59
	v_lshlrev_b64 v[56:57], v56, v[42:43]
	v_lshrrev_b32_e32 v58, 3, v51
	v_sub_u32_e32 v57, 29, v59
	v_and_b32_e32 v56, 7, v56
	v_cmp_gt_u32_e32 vcc, 8, v51
	v_cndmask_b32_e32 v51, v58, v57, vcc
	v_cndmask_b32_e32 v44, v44, v56, vcc
	v_lshlrev_b32_e32 v42, 24, v42
	v_lshlrev_b32_e32 v44, 20, v44
	v_and_b32_e32 v42, 0x80000000, v42
	v_lshl_add_u32 v51, v51, 23, v55
	v_or3_b32 v44, v42, v51, v44
.LBB620_567:                            ;   in Loop: Header=BB620_215 Depth=1
	s_or_b64 exec, exec, s[16:17]
.LBB620_568:                            ;   in Loop: Header=BB620_215 Depth=1
	s_or_b64 exec, exec, s[14:15]
.LBB620_569:                            ;   in Loop: Header=BB620_215 Depth=1
	s_or_b64 exec, exec, s[12:13]
	v_cmp_lt_u32_e32 vcc, s20, v40
	v_mov_b32_e32 v51, 0
	v_mov_b32_e32 v56, 0
	s_and_saveexec_b64 s[12:13], vcc
	s_cbranch_execz .LBB620_575
; %bb.570:                              ;   in Loop: Header=BB620_215 Depth=1
	v_lshrrev_b32_e32 v42, 24, v40
	v_cmp_ne_u32_e32 vcc, s9, v42
	v_bfrev_b32_e32 v56, 1
	s_and_saveexec_b64 s[14:15], vcc
	s_cbranch_execz .LBB620_574
; %bb.571:                              ;   in Loop: Header=BB620_215 Depth=1
	v_bfe_u32 v40, v40, 24, 7
	v_cmp_ne_u32_e32 vcc, s19, v40
	v_mov_b32_e32 v56, 0x7f800001
	s_and_saveexec_b64 s[16:17], vcc
	s_cbranch_execz .LBB620_573
; %bb.572:                              ;   in Loop: Header=BB620_215 Depth=1
	v_and_b32_e32 v58, 7, v42
	v_ffbh_u32_e32 v56, v58
	v_min_u32_e32 v60, 32, v56
	v_subrev_u32_e32 v56, 28, v60
	v_lshlrev_b64 v[56:57], v56, v[42:43]
	v_lshrrev_b32_e32 v59, 3, v40
	v_sub_u32_e32 v57, 29, v60
	v_and_b32_e32 v56, 7, v56
	v_cmp_gt_u32_e32 vcc, 8, v40
	v_cndmask_b32_e32 v40, v59, v57, vcc
	v_cndmask_b32_e32 v56, v58, v56, vcc
	v_lshlrev_b32_e32 v42, 24, v42
	v_lshlrev_b32_e32 v56, 20, v56
	v_and_b32_e32 v42, 0x80000000, v42
	v_lshl_add_u32 v40, v40, 23, v55
	v_or3_b32 v56, v42, v40, v56
.LBB620_573:                            ;   in Loop: Header=BB620_215 Depth=1
	s_or_b64 exec, exec, s[16:17]
.LBB620_574:                            ;   in Loop: Header=BB620_215 Depth=1
	s_or_b64 exec, exec, s[14:15]
.LBB620_575:                            ;   in Loop: Header=BB620_215 Depth=1
	s_or_b64 exec, exec, s[12:13]
	s_waitcnt vmcnt(0)
	v_cmp_ne_u16_sdwa s[14:15], v38, v54 src0_sel:BYTE_0 src1_sel:DWORD
	s_and_saveexec_b64 s[12:13], s[14:15]
	s_cbranch_execz .LBB620_581
; %bb.576:                              ;   in Loop: Header=BB620_215 Depth=1
	v_cmp_ne_u16_sdwa s[16:17], v38, s9 src0_sel:BYTE_0 src1_sel:DWORD
	v_bfrev_b32_e32 v51, 1
	s_and_saveexec_b64 s[14:15], s[16:17]
	s_cbranch_execz .LBB620_580
; %bb.577:                              ;   in Loop: Header=BB620_215 Depth=1
	v_and_b32_e32 v40, 0x7f, v38
	v_cmp_ne_u32_e32 vcc, s19, v40
	v_mov_b32_e32 v51, 0x7f800001
	s_and_saveexec_b64 s[16:17], vcc
	s_cbranch_execz .LBB620_579
; %bb.578:                              ;   in Loop: Header=BB620_215 Depth=1
	v_and_b32_e32 v42, 7, v38
	v_ffbh_u32_e32 v57, v42
	v_min_u32_e32 v57, 32, v57
	v_subrev_u32_e32 v58, 28, v57
	v_lshlrev_b64 v[58:59], v58, v[38:39]
	v_lshrrev_b32_e32 v51, 3, v40
	v_sub_u32_e32 v57, 29, v57
	v_and_b32_e32 v58, 7, v58
	v_cmp_gt_u32_e32 vcc, 8, v40
	v_cndmask_b32_e32 v40, v51, v57, vcc
	v_cndmask_b32_e32 v42, v42, v58, vcc
	v_lshlrev_b32_e32 v51, 24, v38
	v_lshlrev_b32_e32 v42, 20, v42
	v_and_b32_e32 v51, 0x80000000, v51
	v_lshl_add_u32 v40, v40, 23, v55
	v_or3_b32 v51, v51, v40, v42
.LBB620_579:                            ;   in Loop: Header=BB620_215 Depth=1
	s_or_b64 exec, exec, s[16:17]
.LBB620_580:                            ;   in Loop: Header=BB620_215 Depth=1
	s_or_b64 exec, exec, s[14:15]
.LBB620_581:                            ;   in Loop: Header=BB620_215 Depth=1
	s_or_b64 exec, exec, s[12:13]
	v_lshrrev_b16_e32 v40, 8, v38
	v_cmp_ne_u16_e32 vcc, 0, v40
	v_mov_b32_e32 v42, 0
	v_mov_b32_e32 v57, 0
	s_and_saveexec_b64 s[12:13], vcc
	s_cbranch_execz .LBB620_587
; %bb.582:                              ;   in Loop: Header=BB620_215 Depth=1
	v_cmp_ne_u16_e32 vcc, s9, v40
	v_bfrev_b32_e32 v57, 1
	s_and_saveexec_b64 s[14:15], vcc
	s_cbranch_execz .LBB620_586
; %bb.583:                              ;   in Loop: Header=BB620_215 Depth=1
	v_and_b32_e32 v58, 0x7f, v40
	v_cmp_ne_u32_e32 vcc, s19, v58
	v_mov_b32_e32 v57, 0x7f800001
	s_and_saveexec_b64 s[16:17], vcc
	s_cbranch_execz .LBB620_585
; %bb.584:                              ;   in Loop: Header=BB620_215 Depth=1
	v_and_b32_e32 v57, 7, v40
	v_ffbh_u32_e32 v60, v57
	v_min_u32_e32 v62, 32, v60
	v_subrev_u32_e32 v60, 28, v62
	v_lshlrev_b64 v[60:61], v60, v[40:41]
	v_lshrrev_b32_e32 v59, 3, v58
	v_sub_u32_e32 v40, 29, v62
	v_and_b32_e32 v60, 7, v60
	v_cmp_gt_u32_e32 vcc, 8, v58
	v_cndmask_b32_e32 v40, v59, v40, vcc
	v_cndmask_b32_e32 v57, v57, v60, vcc
	v_lshlrev_b32_e32 v58, 16, v38
	v_lshlrev_b32_e32 v57, 20, v57
	v_and_b32_e32 v58, 0x80000000, v58
	v_lshl_add_u32 v40, v40, 23, v55
	v_or3_b32 v57, v58, v40, v57
.LBB620_585:                            ;   in Loop: Header=BB620_215 Depth=1
	s_or_b64 exec, exec, s[16:17]
.LBB620_586:                            ;   in Loop: Header=BB620_215 Depth=1
	s_or_b64 exec, exec, s[14:15]
.LBB620_587:                            ;   in Loop: Header=BB620_215 Depth=1
	s_or_b64 exec, exec, s[12:13]
	v_lshrrev_b32_e32 v40, 16, v38
	v_cmp_ne_u16_sdwa s[14:15], v40, v54 src0_sel:BYTE_0 src1_sel:DWORD
	s_and_saveexec_b64 s[12:13], s[14:15]
	s_cbranch_execz .LBB620_593
; %bb.588:                              ;   in Loop: Header=BB620_215 Depth=1
	v_cmp_ne_u16_sdwa s[16:17], v40, s9 src0_sel:BYTE_0 src1_sel:DWORD
	v_bfrev_b32_e32 v42, 1
	s_and_saveexec_b64 s[14:15], s[16:17]
	s_cbranch_execz .LBB620_592
; %bb.589:                              ;   in Loop: Header=BB620_215 Depth=1
	v_bfe_u32 v58, v38, 16, 7
	v_cmp_ne_u32_e32 vcc, s19, v58
	v_mov_b32_e32 v42, 0x7f800001
	s_and_saveexec_b64 s[16:17], vcc
	s_cbranch_execz .LBB620_591
; %bb.590:                              ;   in Loop: Header=BB620_215 Depth=1
	v_and_b32_e32 v42, 7, v40
	v_ffbh_u32_e32 v60, v42
	v_min_u32_e32 v62, 32, v60
	v_subrev_u32_e32 v60, 28, v62
	v_lshlrev_b64 v[60:61], v60, v[40:41]
	v_lshrrev_b32_e32 v59, 3, v58
	v_sub_u32_e32 v61, 29, v62
	v_and_b32_e32 v60, 7, v60
	v_cmp_gt_u32_e32 vcc, 8, v58
	v_cndmask_b32_e32 v58, v59, v61, vcc
	v_cndmask_b32_e32 v42, v42, v60, vcc
	v_lshlrev_b32_e32 v40, 24, v40
	v_lshlrev_b32_e32 v42, 20, v42
	v_and_b32_e32 v40, 0x80000000, v40
	v_lshl_add_u32 v58, v58, 23, v55
	v_or3_b32 v42, v40, v58, v42
.LBB620_591:                            ;   in Loop: Header=BB620_215 Depth=1
	s_or_b64 exec, exec, s[16:17]
.LBB620_592:                            ;   in Loop: Header=BB620_215 Depth=1
	s_or_b64 exec, exec, s[14:15]
.LBB620_593:                            ;   in Loop: Header=BB620_215 Depth=1
	s_or_b64 exec, exec, s[12:13]
	v_cmp_lt_u32_e32 vcc, s20, v38
	v_mov_b32_e32 v58, 0
	s_and_saveexec_b64 s[12:13], vcc
	s_cbranch_execz .LBB620_214
; %bb.594:                              ;   in Loop: Header=BB620_215 Depth=1
	v_lshrrev_b32_e32 v40, 24, v38
	v_cmp_ne_u32_e32 vcc, s9, v40
	v_bfrev_b32_e32 v58, 1
	s_and_saveexec_b64 s[14:15], vcc
	s_cbranch_execz .LBB620_213
; %bb.595:                              ;   in Loop: Header=BB620_215 Depth=1
	v_bfe_u32 v38, v38, 24, 7
	v_cmp_ne_u32_e32 vcc, s19, v38
	v_mov_b32_e32 v58, 0x7f800001
	s_and_saveexec_b64 s[16:17], vcc
	s_cbranch_execz .LBB620_212
; %bb.596:                              ;   in Loop: Header=BB620_215 Depth=1
	v_and_b32_e32 v60, 7, v40
	v_ffbh_u32_e32 v58, v60
	v_min_u32_e32 v62, 32, v58
	v_subrev_u32_e32 v58, 28, v62
	v_lshlrev_b64 v[58:59], v58, v[40:41]
	v_lshrrev_b32_e32 v61, 3, v38
	v_sub_u32_e32 v59, 29, v62
	v_and_b32_e32 v58, 7, v58
	v_cmp_gt_u32_e32 vcc, 8, v38
	v_cndmask_b32_e32 v38, v61, v59, vcc
	v_cndmask_b32_e32 v58, v60, v58, vcc
	v_lshlrev_b32_e32 v40, 24, v40
	v_lshlrev_b32_e32 v58, 20, v58
	v_and_b32_e32 v40, 0x80000000, v40
	v_lshl_add_u32 v38, v38, 23, v55
	v_or3_b32 v58, v40, v38, v58
	s_branch .LBB620_212
.LBB620_597:
	s_barrier
	buffer_load_dword v2, off, s[0:3], 0 offset:320
	buffer_load_dword v5, off, s[0:3], 0 offset:332
	;; [unrolled: 1-line block ×4, first 2 shown]
	v_cmp_gt_u32_e32 vcc, 64, v0
	s_waitcnt vmcnt(0)
	ds_write2st64_b64 v52, v[2:3], v[4:5] offset1:1
	s_waitcnt lgkmcnt(0)
	s_barrier
	s_and_saveexec_b64 s[4:5], vcc
	s_cbranch_execz .LBB620_600
; %bb.598:
	s_lshl_b32 s4, s48, 7
	s_mul_i32 s5, s18, s8
	s_mul_hi_u32 s9, s5, s4
	s_mul_i32 s8, s5, s4
	s_lshl_b64 s[8:9], s[8:9], 1
	v_lshlrev_b32_e32 v4, 6, v41
	s_add_u32 s5, s50, s8
	v_lshl_or_b32 v0, v0, 10, v4
	s_mov_b32 s7, 0
	s_addc_u32 s8, s51, s9
	s_lshl_b32 s6, s26, 7
	v_lshlrev_b32_e32 v2, 5, v1
	v_and_b32_e32 v3, 16, v43
	v_and_b32_e32 v0, 0x1a00, v0
	s_lshl_b64 s[6:7], s[6:7], 1
	v_or3_b32 v0, v0, v2, v3
	s_add_u32 s5, s5, s6
	ds_read_b128 v[4:7], v0 offset:256
	s_addc_u32 s6, s8, s7
	ds_read_b128 v[8:11], v0 offset:128
	ds_read_b128 v[12:15], v0
	v_add_u32_e32 v18, s27, v1
	v_mov_b32_e32 v3, s6
	v_add_co_u32_e32 v2, vcc, s5, v39
	v_mad_u64_u32 v[16:17], s[6:7], v18, s4, 0
	v_addc_co_u32_e32 v3, vcc, 0, v3, vcc
	v_lshlrev_b64 v[16:17], 1, v[16:17]
	v_add_co_u32_e32 v16, vcc, v2, v16
	v_addc_co_u32_e32 v17, vcc, v3, v17, vcc
	s_waitcnt lgkmcnt(0)
	global_store_dwordx4 v[16:17], v[12:15], off
	s_nop 0
	v_add_u32_e32 v12, 4, v18
	v_mad_u64_u32 v[12:13], s[6:7], v12, s4, 0
	v_lshlrev_b64 v[12:13], 1, v[12:13]
	v_add_co_u32_e32 v12, vcc, v2, v12
	v_addc_co_u32_e32 v13, vcc, v3, v13, vcc
	global_store_dwordx4 v[12:13], v[8:11], off
	s_nop 0
	v_add_u32_e32 v8, 8, v18
	v_mad_u64_u32 v[8:9], s[6:7], v8, s4, 0
	v_lshlrev_b64 v[8:9], 1, v[8:9]
	v_add_co_u32_e32 v8, vcc, v2, v8
	v_addc_co_u32_e32 v9, vcc, v3, v9, vcc
	v_cmp_ne_u32_e32 vcc, 3, v1
	global_store_dwordx4 v[8:9], v[4:7], off
	s_and_b64 exec, exec, vcc
	s_cbranch_execz .LBB620_600
; %bb.599:
	ds_read_b128 v[4:7], v0 offset:384
	v_add3_u32 v0, s27, v1, 12
	v_mad_u64_u32 v[0:1], s[4:5], v0, s4, 0
	v_lshlrev_b64 v[0:1], 1, v[0:1]
	v_add_co_u32_e32 v0, vcc, v2, v0
	v_addc_co_u32_e32 v1, vcc, v3, v1, vcc
	s_waitcnt lgkmcnt(0)
	global_store_dwordx4 v[0:1], v[4:7], off
.LBB620_600:
	s_endpgm
	.section	.rodata,"a",@progbits
	.p2align	6, 0x0
	.amdhsa_kernel _Z39paged_attention_ll4mi_QKV_mfma16_kernelIDF16_hLN4vllm18Fp8KVCacheDataTypeE1EDF16_Li16ELi128ELi256ELb1ELi15EL8MFMAType0EEvPKT_PKT0_S8_ifPKiSA_SA_iPKfiiiPfSD_PS3_PT2_iSC_SC_
		.amdhsa_group_segment_fixed_size 8192
		.amdhsa_private_segment_fixed_size 352
		.amdhsa_kernarg_size 400
		.amdhsa_user_sgpr_count 8
		.amdhsa_user_sgpr_private_segment_buffer 1
		.amdhsa_user_sgpr_dispatch_ptr 0
		.amdhsa_user_sgpr_queue_ptr 0
		.amdhsa_user_sgpr_kernarg_segment_ptr 1
		.amdhsa_user_sgpr_dispatch_id 0
		.amdhsa_user_sgpr_flat_scratch_init 1
		.amdhsa_user_sgpr_kernarg_preload_length 0
		.amdhsa_user_sgpr_kernarg_preload_offset 0
		.amdhsa_user_sgpr_private_segment_size 0
		.amdhsa_uses_dynamic_stack 0
		.amdhsa_system_sgpr_private_segment_wavefront_offset 1
		.amdhsa_system_sgpr_workgroup_id_x 1
		.amdhsa_system_sgpr_workgroup_id_y 1
		.amdhsa_system_sgpr_workgroup_id_z 1
		.amdhsa_system_sgpr_workgroup_info 0
		.amdhsa_system_vgpr_workitem_id 0
		.amdhsa_next_free_vgpr 80
		.amdhsa_next_free_sgpr 53
		.amdhsa_accum_offset 80
		.amdhsa_reserve_vcc 1
		.amdhsa_reserve_flat_scratch 0
		.amdhsa_float_round_mode_32 0
		.amdhsa_float_round_mode_16_64 0
		.amdhsa_float_denorm_mode_32 3
		.amdhsa_float_denorm_mode_16_64 3
		.amdhsa_dx10_clamp 1
		.amdhsa_ieee_mode 1
		.amdhsa_fp16_overflow 0
		.amdhsa_tg_split 0
		.amdhsa_exception_fp_ieee_invalid_op 0
		.amdhsa_exception_fp_denorm_src 0
		.amdhsa_exception_fp_ieee_div_zero 0
		.amdhsa_exception_fp_ieee_overflow 0
		.amdhsa_exception_fp_ieee_underflow 0
		.amdhsa_exception_fp_ieee_inexact 0
		.amdhsa_exception_int_div_zero 0
	.end_amdhsa_kernel
	.section	.text._Z39paged_attention_ll4mi_QKV_mfma16_kernelIDF16_hLN4vllm18Fp8KVCacheDataTypeE1EDF16_Li16ELi128ELi256ELb1ELi15EL8MFMAType0EEvPKT_PKT0_S8_ifPKiSA_SA_iPKfiiiPfSD_PS3_PT2_iSC_SC_,"axG",@progbits,_Z39paged_attention_ll4mi_QKV_mfma16_kernelIDF16_hLN4vllm18Fp8KVCacheDataTypeE1EDF16_Li16ELi128ELi256ELb1ELi15EL8MFMAType0EEvPKT_PKT0_S8_ifPKiSA_SA_iPKfiiiPfSD_PS3_PT2_iSC_SC_,comdat
.Lfunc_end620:
	.size	_Z39paged_attention_ll4mi_QKV_mfma16_kernelIDF16_hLN4vllm18Fp8KVCacheDataTypeE1EDF16_Li16ELi128ELi256ELb1ELi15EL8MFMAType0EEvPKT_PKT0_S8_ifPKiSA_SA_iPKfiiiPfSD_PS3_PT2_iSC_SC_, .Lfunc_end620-_Z39paged_attention_ll4mi_QKV_mfma16_kernelIDF16_hLN4vllm18Fp8KVCacheDataTypeE1EDF16_Li16ELi128ELi256ELb1ELi15EL8MFMAType0EEvPKT_PKT0_S8_ifPKiSA_SA_iPKfiiiPfSD_PS3_PT2_iSC_SC_
                                        ; -- End function
	.section	.AMDGPU.csdata,"",@progbits
; Kernel info:
; codeLenInByte = 21500
; NumSgprs: 57
; NumVgprs: 80
; NumAgprs: 0
; TotalNumVgprs: 80
; ScratchSize: 352
; MemoryBound: 0
; FloatMode: 240
; IeeeMode: 1
; LDSByteSize: 8192 bytes/workgroup (compile time only)
; SGPRBlocks: 7
; VGPRBlocks: 9
; NumSGPRsForWavesPerEU: 57
; NumVGPRsForWavesPerEU: 80
; AccumOffset: 80
; Occupancy: 6
; WaveLimiterHint : 1
; COMPUTE_PGM_RSRC2:SCRATCH_EN: 1
; COMPUTE_PGM_RSRC2:USER_SGPR: 8
; COMPUTE_PGM_RSRC2:TRAP_HANDLER: 0
; COMPUTE_PGM_RSRC2:TGID_X_EN: 1
; COMPUTE_PGM_RSRC2:TGID_Y_EN: 1
; COMPUTE_PGM_RSRC2:TGID_Z_EN: 1
; COMPUTE_PGM_RSRC2:TIDIG_COMP_CNT: 0
; COMPUTE_PGM_RSRC3_GFX90A:ACCUM_OFFSET: 19
; COMPUTE_PGM_RSRC3_GFX90A:TG_SPLIT: 0
	.section	.text._Z39paged_attention_ll4mi_QKV_mfma16_kernelIDF16_hLN4vllm18Fp8KVCacheDataTypeE1EDF16_Li16ELi128ELi256ELb1ELi16EL8MFMAType0EEvPKT_PKT0_S8_ifPKiSA_SA_iPKfiiiPfSD_PS3_PT2_iSC_SC_,"axG",@progbits,_Z39paged_attention_ll4mi_QKV_mfma16_kernelIDF16_hLN4vllm18Fp8KVCacheDataTypeE1EDF16_Li16ELi128ELi256ELb1ELi16EL8MFMAType0EEvPKT_PKT0_S8_ifPKiSA_SA_iPKfiiiPfSD_PS3_PT2_iSC_SC_,comdat
	.protected	_Z39paged_attention_ll4mi_QKV_mfma16_kernelIDF16_hLN4vllm18Fp8KVCacheDataTypeE1EDF16_Li16ELi128ELi256ELb1ELi16EL8MFMAType0EEvPKT_PKT0_S8_ifPKiSA_SA_iPKfiiiPfSD_PS3_PT2_iSC_SC_ ; -- Begin function _Z39paged_attention_ll4mi_QKV_mfma16_kernelIDF16_hLN4vllm18Fp8KVCacheDataTypeE1EDF16_Li16ELi128ELi256ELb1ELi16EL8MFMAType0EEvPKT_PKT0_S8_ifPKiSA_SA_iPKfiiiPfSD_PS3_PT2_iSC_SC_
	.globl	_Z39paged_attention_ll4mi_QKV_mfma16_kernelIDF16_hLN4vllm18Fp8KVCacheDataTypeE1EDF16_Li16ELi128ELi256ELb1ELi16EL8MFMAType0EEvPKT_PKT0_S8_ifPKiSA_SA_iPKfiiiPfSD_PS3_PT2_iSC_SC_
	.p2align	8
	.type	_Z39paged_attention_ll4mi_QKV_mfma16_kernelIDF16_hLN4vllm18Fp8KVCacheDataTypeE1EDF16_Li16ELi128ELi256ELb1ELi16EL8MFMAType0EEvPKT_PKT0_S8_ifPKiSA_SA_iPKfiiiPfSD_PS3_PT2_iSC_SC_,@function
_Z39paged_attention_ll4mi_QKV_mfma16_kernelIDF16_hLN4vllm18Fp8KVCacheDataTypeE1EDF16_Li16ELi128ELi256ELb1ELi16EL8MFMAType0EEvPKT_PKT0_S8_ifPKiSA_SA_iPKfiiiPfSD_PS3_PT2_iSC_SC_: ; @_Z39paged_attention_ll4mi_QKV_mfma16_kernelIDF16_hLN4vllm18Fp8KVCacheDataTypeE1EDF16_Li16ELi128ELi256ELb1ELi16EL8MFMAType0EEvPKT_PKT0_S8_ifPKiSA_SA_iPKfiiiPfSD_PS3_PT2_iSC_SC_
; %bb.0:
	s_load_dwordx2 s[16:17], s[4:5], 0x30
	s_add_u32 s0, s0, s11
	s_addc_u32 s1, s1, 0
	s_mov_b32 s26, s9
	s_mov_b64 s[6:7], 0
	s_waitcnt lgkmcnt(0)
	s_cmp_lg_u64 s[16:17], 0
	s_cselect_b64 s[18:19], -1, 0
	s_and_b64 vcc, exec, s[18:19]
	s_cbranch_vccz .LBB621_7
; %bb.1:
	s_add_i32 s12, s8, 1
	s_mov_b32 s13, 0
	s_lshl_b64 s[14:15], s[12:13], 2
	s_add_u32 s14, s16, s14
	s_mov_b32 s9, s13
	s_addc_u32 s15, s17, s15
	s_lshl_b64 s[12:13], s[8:9], 2
	s_add_u32 s12, s16, s12
	s_addc_u32 s13, s17, s13
	s_load_dword s11, s[14:15], 0x0
	s_load_dword s20, s[12:13], 0x0
	s_waitcnt lgkmcnt(0)
	s_sub_i32 s11, s11, s20
	s_cmp_eq_u32 s11, 1
	s_cselect_b64 s[12:13], -1, 0
	s_andn2_b64 vcc, exec, s[6:7]
	s_cbranch_vccnz .LBB621_3
.LBB621_2:
	s_mov_b32 s9, 0
	s_mov_b64 s[12:13], -1
.LBB621_3:
	s_andn2_b64 vcc, exec, s[12:13]
	s_cbranch_vccnz .LBB621_597
; %bb.4:
	s_load_dwordx2 s[6:7], s[4:5], 0x28
	s_lshl_b64 s[20:21], s[8:9], 2
	s_waitcnt lgkmcnt(0)
	s_add_u32 s6, s6, s20
	s_addc_u32 s7, s7, s21
	s_load_dword s33, s[6:7], 0x0
	s_lshl_b32 s22, s26, 8
	s_waitcnt lgkmcnt(0)
	s_cmp_ge_i32 s22, s33
	s_cbranch_scc1 .LBB621_597
; %bb.5:
	s_add_i32 s12, s33, 15
	s_load_dwordx2 s[6:7], s[4:5], 0x20
	s_load_dword s11, s[4:5], 0x38
	s_ashr_i32 s13, s12, 31
	v_and_b32_e32 v1, 0xcf, v0
	s_lshr_b32 s13, s13, 28
	v_add_u32_e32 v1, s22, v1
	s_add_i32 s12, s12, s13
	v_ashrrev_i32_e32 v2, 31, v1
	s_ashr_i32 s24, s12, 4
	v_lshrrev_b32_e32 v10, 28, v2
	s_add_i32 s24, s24, -1
	v_add_u32_e32 v2, v1, v10
	s_waitcnt lgkmcnt(0)
	s_mul_i32 s12, s8, s11
	s_mov_b32 s13, 0
	v_ashrrev_i32_e32 v2, 4, v2
	v_mov_b32_e32 v11, s24
	v_cmp_gt_i32_e32 vcc, s33, v1
	s_lshl_b64 s[12:13], s[12:13], 2
	v_cndmask_b32_e32 v2, v11, v2, vcc
	s_add_u32 s11, s6, s12
	v_ashrrev_i32_e32 v3, 31, v2
	s_addc_u32 s23, s7, s13
	v_lshlrev_b64 v[2:3], 2, v[2:3]
	v_mov_b32_e32 v5, s23
	v_add_co_u32_e32 v4, vcc, s11, v2
	v_or_b32_e32 v2, 16, v1
	v_addc_co_u32_e32 v5, vcc, v5, v3, vcc
	v_add_u32_e32 v3, v2, v10
	v_ashrrev_i32_e32 v3, 4, v3
	v_cmp_gt_i32_e32 vcc, s33, v2
	v_cndmask_b32_e32 v2, v11, v3, vcc
	v_ashrrev_i32_e32 v3, 31, v2
	v_lshlrev_b64 v[2:3], 2, v[2:3]
	v_mov_b32_e32 v7, s23
	v_add_co_u32_e32 v6, vcc, s11, v2
	v_or_b32_e32 v2, 32, v1
	v_addc_co_u32_e32 v7, vcc, v7, v3, vcc
	v_add_u32_e32 v3, v2, v10
	v_ashrrev_i32_e32 v3, 4, v3
	v_cmp_gt_i32_e32 vcc, s33, v2
	v_cndmask_b32_e32 v2, v11, v3, vcc
	v_ashrrev_i32_e32 v3, 31, v2
	;; [unrolled: 10-line block ×3, first 2 shown]
	v_lshlrev_b64 v[2:3], 2, v[2:3]
	v_mov_b32_e32 v1, s23
	v_add_co_u32_e32 v12, vcc, s11, v2
	v_addc_co_u32_e32 v13, vcc, v1, v3, vcc
	global_load_dword v2, v[4:5], off
	global_load_dword v10, v[6:7], off
	;; [unrolled: 1-line block ×4, first 2 shown]
	s_load_dwordx2 s[6:7], s[4:5], 0x40
	s_load_dwordx4 s[12:15], s[4:5], 0x8
	s_andn2_b64 vcc, exec, s[18:19]
	s_cbranch_vccnz .LBB621_8
; %bb.6:
	s_add_u32 s16, s16, s20
	s_addc_u32 s17, s17, s21
	s_load_dword s18, s[16:17], 0x0
	s_branch .LBB621_9
.LBB621_7:
	s_mov_b64 s[12:13], 0
	s_branch .LBB621_2
.LBB621_8:
	s_mov_b32 s18, s8
.LBB621_9:
	s_load_dwordx2 s[48:49], s[4:5], 0x68
	s_load_dwordx8 s[40:47], s[4:5], 0x48
	v_and_b32_e32 v53, 15, v0
	v_lshlrev_b32_e32 v3, 3, v53
	s_movk_i32 s16, 0x100
	v_lshrrev_b32_e32 v62, 6, v0
	v_bfe_u32 v1, v0, 4, 2
	s_lshl_b32 s27, s10, 4
	v_cmp_gt_u32_e32 vcc, s16, v0
	v_lshlrev_b32_e32 v52, 1, v3
	v_lshlrev_b32_e32 v54, 4, v0
	s_and_saveexec_b64 s[16:17], vcc
	s_cbranch_execz .LBB621_11
; %bb.10:
	s_load_dwordx2 s[20:21], s[4:5], 0x0
	s_waitcnt lgkmcnt(0)
	s_ashr_i32 s19, s40, 31
	s_mul_hi_u32 s25, s18, s40
	s_mul_i32 s19, s18, s19
	v_lshl_or_b32 v3, v62, 2, v1
	s_add_i32 s19, s25, s19
	s_mul_i32 s18, s18, s40
	s_lshl_b64 s[18:19], s[18:19], 1
	v_add_lshl_u32 v4, v3, s27, 7
	s_add_u32 s18, s20, s18
	v_ashrrev_i32_e32 v5, 31, v4
	s_addc_u32 s19, s21, s19
	v_lshlrev_b64 v[4:5], 1, v[4:5]
	v_mov_b32_e32 v6, s19
	v_add_co_u32_e32 v4, vcc, s18, v4
	v_addc_co_u32_e32 v5, vcc, v6, v5, vcc
	v_add_co_u32_e32 v4, vcc, v4, v52
	v_addc_co_u32_e32 v5, vcc, 0, v5, vcc
	global_load_dwordx4 v[4:7], v[4:5], off
	v_lshlrev_b32_e32 v9, 8, v0
	v_lshlrev_b32_e32 v8, 8, v53
	v_and_b32_e32 v9, 0x600, v9
	s_movk_i32 s18, 0x800
	v_and_or_b32 v8, v8, s18, v9
	v_lshlrev_b32_e32 v3, 5, v3
	v_and_b32_e32 v9, 16, v54
	v_or3_b32 v3, v8, v3, v9
	s_waitcnt vmcnt(0)
	ds_write_b128 v3, v[4:7]
.LBB621_11:
	s_or_b64 exec, exec, s[16:17]
	s_waitcnt lgkmcnt(0)
	s_mul_i32 s10, s10, s42
	s_add_u32 s12, s12, s10
	s_addc_u32 s13, s13, 0
	v_and_b32_e32 v3, 0xf0, v54
	v_mov_b32_e32 v4, s13
	v_add_co_u32_e32 v18, vcc, s12, v3
	v_and_b32_e32 v11, 48, v0
	v_addc_co_u32_e32 v19, vcc, 0, v4, vcc
	v_lshlrev_b32_e32 v24, 4, v11
	s_waitcnt vmcnt(3)
	v_mad_i64_i32 v[2:3], s[12:13], v2, s41, v[18:19]
	v_add_co_u32_e32 v12, vcc, v2, v24
	v_addc_co_u32_e32 v13, vcc, 0, v3, vcc
	v_or_b32_e32 v11, s22, v11
	s_load_dwordx2 s[50:51], s[4:5], 0x94
	s_waitcnt lgkmcnt(0)
	s_barrier
	global_load_dwordx4 v[6:9], v[12:13], off
	global_load_dwordx4 v[2:5], v[12:13], off offset:1024
	v_ashrrev_i32_e32 v12, 4, v11
	v_mov_b32_e32 v22, s24
	v_cmp_gt_i32_e32 vcc, s33, v11
	v_cndmask_b32_e32 v12, v22, v12, vcc
	v_ashrrev_i32_e32 v13, 31, v12
	v_lshlrev_b64 v[12:13], 2, v[12:13]
	v_mov_b32_e32 v14, s23
	v_add_co_u32_e32 v12, vcc, s11, v12
	v_addc_co_u32_e32 v13, vcc, v14, v13, vcc
	v_or_b32_e32 v14, 64, v11
	v_ashrrev_i32_e32 v15, 4, v14
	v_cmp_gt_i32_e32 vcc, s33, v14
	v_cndmask_b32_e32 v14, v22, v15, vcc
	v_ashrrev_i32_e32 v15, 31, v14
	v_lshlrev_b64 v[14:15], 2, v[14:15]
	v_mov_b32_e32 v16, s23
	v_add_co_u32_e32 v14, vcc, s11, v14
	v_addc_co_u32_e32 v15, vcc, v16, v15, vcc
	v_or_b32_e32 v16, 0x80, v11
	v_ashrrev_i32_e32 v17, 4, v16
	v_cmp_gt_i32_e32 vcc, s33, v16
	v_cndmask_b32_e32 v16, v22, v17, vcc
	v_ashrrev_i32_e32 v17, 31, v16
	v_lshlrev_b64 v[16:17], 2, v[16:17]
	v_mov_b32_e32 v23, s23
	v_add_co_u32_e32 v16, vcc, s11, v16
	v_addc_co_u32_e32 v17, vcc, v23, v17, vcc
	v_or_b32_e32 v11, 0xc0, v11
	global_load_dword v46, v[12:13], off
	global_load_dword v50, v[14:15], off
	;; [unrolled: 1-line block ×3, first 2 shown]
	v_ashrrev_i32_e32 v12, 4, v11
	v_cmp_gt_i32_e32 vcc, s33, v11
	v_cndmask_b32_e32 v12, v22, v12, vcc
	v_ashrrev_i32_e32 v13, 31, v12
	v_lshlrev_b64 v[12:13], 2, v[12:13]
	v_mov_b32_e32 v11, s23
	v_add_co_u32_e32 v12, vcc, s11, v12
	v_addc_co_u32_e32 v13, vcc, v11, v13, vcc
	global_load_dword v56, v[12:13], off
	s_waitcnt vmcnt(8)
	v_mad_i64_i32 v[10:11], s[12:13], v10, s41, v[18:19]
	v_add_co_u32_e32 v22, vcc, v10, v24
	v_addc_co_u32_e32 v23, vcc, 0, v11, vcc
	global_load_dwordx4 v[14:17], v[22:23], off
	global_load_dwordx4 v[10:13], v[22:23], off offset:1024
	s_waitcnt vmcnt(9)
	v_mad_i64_i32 v[22:23], s[12:13], v21, s41, v[18:19]
	v_add_co_u32_e32 v22, vcc, v22, v24
	v_addc_co_u32_e32 v23, vcc, 0, v23, vcc
	global_load_dwordx4 v[26:29], v[22:23], off
	v_lshl_or_b32 v64, v62, 4, v53
	v_lshlrev_b32_e32 v47, 4, v64
	s_waitcnt vmcnt(8)
	buffer_store_dword v9, off, s[0:3], 0 offset:12
	buffer_store_dword v8, off, s[0:3], 0 offset:8
	;; [unrolled: 1-line block ×3, first 2 shown]
	buffer_store_dword v6, off, s[0:3], 0
	s_waitcnt vmcnt(11)
	buffer_store_dword v5, off, s[0:3], 0 offset:28
	buffer_store_dword v4, off, s[0:3], 0 offset:24
	v_mad_i64_i32 v[8:9], s[12:13], v20, s41, v[18:19]
	v_add_co_u32_e32 v8, vcc, v8, v24
	s_add_u32 s12, s14, s10
	v_addc_co_u32_e32 v9, vcc, 0, v9, vcc
	s_addc_u32 s13, s15, 0
	global_load_dwordx4 v[4:7], v[22:23], off offset:1024
	s_nop 0
	global_load_dwordx4 v[22:25], v[8:9], off
	global_load_dwordx4 v[18:21], v[8:9], off offset:1024
	v_mov_b32_e32 v9, s13
	v_add_co_u32_e32 v8, vcc, s12, v47
	v_addc_co_u32_e32 v9, vcc, 0, v9, vcc
	s_movk_i32 s14, 0x7f
	s_mov_b32 s15, 0xffffff
	s_waitcnt vmcnt(15)
	v_mad_i64_i32 v[30:31], s[10:11], v46, s41, v[8:9]
	s_waitcnt vmcnt(14)
	v_mad_i64_i32 v[32:33], s[10:11], v50, s41, v[8:9]
	;; [unrolled: 2-line block ×3, first 2 shown]
	global_load_dwordx4 v[34:37], v[30:31], off
	s_nop 0
	global_load_dwordx4 v[30:33], v[32:33], off
	s_waitcnt vmcnt(14)
	v_mad_i64_i32 v[8:9], s[10:11], v56, s41, v[8:9]
	global_load_dwordx4 v[42:45], v[38:39], off
	s_nop 0
	global_load_dwordx4 v[38:41], v[8:9], off
	v_or_b32_e32 v8, 0x400, v47
	v_mov_b32_e32 v9, s13
	v_add_co_u32_e32 v8, vcc, s12, v8
	v_addc_co_u32_e32 v9, vcc, 0, v9, vcc
	v_mad_i64_i32 v[46:47], s[10:11], v46, s41, v[8:9]
	buffer_store_dword v3, off, s[0:3], 0 offset:20
	buffer_store_dword v2, off, s[0:3], 0 offset:16
	v_mad_i64_i32 v[2:3], s[10:11], v55, s41, v[8:9]
	global_load_dwordx4 v[46:49], v[46:47], off
	v_mad_i64_i32 v[50:51], s[10:11], v50, s41, v[8:9]
	global_load_dwordx4 v[70:73], v[2:3], off
	v_mad_i64_i32 v[2:3], s[10:11], v56, s41, v[8:9]
	global_load_dwordx4 v[66:69], v[50:51], off
	global_load_dwordx4 v[74:77], v[2:3], off
	v_or_b32_e32 v50, s27, v53
	v_ashrrev_i32_e32 v51, 31, v50
	v_lshlrev_b64 v[2:3], 2, v[50:51]
	v_mov_b32_e32 v8, s7
	v_add_co_u32_e32 v2, vcc, s6, v2
	s_waitcnt vmcnt(21)
	buffer_store_dword v17, off, s[0:3], 0 offset:44
	buffer_store_dword v16, off, s[0:3], 0 offset:40
	;; [unrolled: 1-line block ×4, first 2 shown]
	v_addc_co_u32_e32 v3, vcc, v8, v3, vcc
	global_load_dword v65, v[2:3], off
	s_waitcnt vmcnt(25)
	buffer_store_dword v13, off, s[0:3], 0 offset:60
	buffer_store_dword v12, off, s[0:3], 0 offset:56
	;; [unrolled: 1-line block ×4, first 2 shown]
	s_load_dword s6, s[4:5], 0x1c
	s_load_dwordx4 s[40:43], s[4:5], 0x80
	s_waitcnt vmcnt(28)
	buffer_store_dword v29, off, s[0:3], 0 offset:76
	buffer_store_dword v28, off, s[0:3], 0 offset:72
	;; [unrolled: 1-line block ×4, first 2 shown]
	v_lshlrev_b32_e32 v27, 5, v53
	v_mov_b32_e32 v2, 0x80
	s_waitcnt vmcnt(25)
	buffer_store_dword v7, off, s[0:3], 0 offset:92
	buffer_store_dword v6, off, s[0:3], 0 offset:88
	;; [unrolled: 1-line block ×4, first 2 shown]
	v_lshl_or_b32 v63, v1, 9, v27
	v_add_u32_e32 v55, 16, v2
	v_add_u32_e32 v61, 32, v2
	;; [unrolled: 1-line block ×7, first 2 shown]
	ds_read_b128 v[2:5], v63
	ds_read_b128 v[6:9], v63 offset:16
	ds_read_b128 v[10:13], v63 offset:2048
	;; [unrolled: 1-line block ×3, first 2 shown]
	s_waitcnt vmcnt(28)
	buffer_store_dword v25, off, s[0:3], 0 offset:108
	buffer_store_dword v24, off, s[0:3], 0 offset:104
	buffer_store_dword v23, off, s[0:3], 0 offset:100
	buffer_store_dword v22, off, s[0:3], 0 offset:96
	s_waitcnt vmcnt(31)
	buffer_store_dword v18, off, s[0:3], 0 offset:112
	buffer_store_dword v19, off, s[0:3], 0 offset:116
	buffer_store_dword v20, off, s[0:3], 0 offset:120
	buffer_store_dword v21, off, s[0:3], 0 offset:124
	;; [unrolled: 5-line block ×8, first 2 shown]
	buffer_store_dword v73, off, s[0:3], 0 offset:220
	buffer_store_dword v72, off, s[0:3], 0 offset:216
	;; [unrolled: 1-line block ×4, first 2 shown]
	s_waitcnt vmcnt(53)
	buffer_store_dword v77, off, s[0:3], 0 offset:252
	s_waitcnt lgkmcnt(0)
	s_load_dword s4, s[40:41], 0x0
	v_mov_b32_e32 v18, s6
	v_and_b32_e32 v51, 63, v0
	s_mov_b32 s12, 0
	s_movk_i32 s13, 0x80
	s_waitcnt lgkmcnt(0)
	v_mul_f32_e32 v22, s4, v18
	v_mov_b32_e32 v24, v22
	v_mov_b32_e32 v25, v22
	;; [unrolled: 1-line block ×5, first 2 shown]
	v_bfrev_b32_e32 v35, 60
	buffer_store_dword v76, off, s[0:3], 0 offset:248
	buffer_store_dword v75, off, s[0:3], 0 offset:244
	buffer_store_dword v74, off, s[0:3], 0 offset:240
	s_branch .LBB621_15
.LBB621_12:                             ;   in Loop: Header=BB621_15 Depth=1
	s_or_b64 exec, exec, s[10:11]
.LBB621_13:                             ;   in Loop: Header=BB621_15 Depth=1
	s_or_b64 exec, exec, s[6:7]
.LBB621_14:                             ;   in Loop: Header=BB621_15 Depth=1
	s_or_b64 exec, exec, s[4:5]
	v_cvt_pkrtz_f16_f32 v40, v34, v32
	v_cvt_pkrtz_f16_f32 v41, v23, v37
	;; [unrolled: 1-line block ×4, first 2 shown]
	v_add_u32_e32 v26, s12, v33
	v_mfma_f32_16x16x16f16 v[18:21], v[40:41], v[14:15], v[18:21]
	s_add_i32 s12, s12, 16
	v_mov_b32_e32 v23, v22
	s_cmp_eq_u32 s12, 64
	v_add_u32_e32 v29, 32, v29
	v_mfma_f32_16x16x16f16 v[18:21], v[36:37], v[16:17], v[18:21]
	s_nop 7
	s_nop 2
	v_pk_mul_f32 v[18:19], v[24:25], v[18:19]
	v_pk_mul_f32 v[20:21], v[22:23], v[20:21]
	buffer_store_dword v19, v26, s[0:3], 0 offen offset:4
	buffer_store_dword v18, v26, s[0:3], 0 offen
	buffer_store_dword v21, v26, s[0:3], 0 offen offset:12
	buffer_store_dword v20, v26, s[0:3], 0 offen offset:8
	s_cbranch_scc1 .LBB621_205
.LBB621_15:                             ; =>This Inner Loop Header: Depth=1
	buffer_load_dword v20, v29, s[0:3], 0 offen
	buffer_load_dword v18, v29, s[0:3], 0 offen offset:4
	buffer_load_dword v28, v29, s[0:3], 0 offen offset:8
	;; [unrolled: 1-line block ×3, first 2 shown]
	v_mov_b32_e32 v19, 0
	s_waitcnt vmcnt(3)
	v_cmp_ne_u16_sdwa s[6:7], v20, v31 src0_sel:BYTE_0 src1_sel:DWORD
	s_and_saveexec_b64 s[4:5], s[6:7]
	s_cbranch_execz .LBB621_21
; %bb.16:                               ;   in Loop: Header=BB621_15 Depth=1
	v_cmp_ne_u16_sdwa s[10:11], v20, s13 src0_sel:BYTE_0 src1_sel:DWORD
	v_bfrev_b32_e32 v19, 1
	s_and_saveexec_b64 s[6:7], s[10:11]
	s_cbranch_execz .LBB621_20
; %bb.17:                               ;   in Loop: Header=BB621_15 Depth=1
	v_and_b32_e32 v21, 0x7f, v20
	v_cmp_ne_u32_e32 vcc, s14, v21
	v_mov_b32_e32 v19, 0x7f800001
	s_and_saveexec_b64 s[10:11], vcc
	s_cbranch_execz .LBB621_19
; %bb.18:                               ;   in Loop: Header=BB621_15 Depth=1
	v_and_b32_e32 v19, 7, v20
	v_ffbh_u32_e32 v30, v19
	v_min_u32_e32 v30, 32, v30
	v_subrev_u32_e32 v32, 28, v30
	v_lshlrev_b64 v[36:37], v32, v[20:21]
	v_lshrrev_b32_e32 v23, 3, v21
	v_sub_u32_e32 v30, 29, v30
	v_and_b32_e32 v32, 7, v36
	v_cmp_gt_u32_e32 vcc, 8, v21
	v_cndmask_b32_e32 v21, v23, v30, vcc
	v_cndmask_b32_e32 v19, v19, v32, vcc
	v_lshlrev_b32_e32 v23, 24, v20
	v_lshlrev_b32_e32 v19, 20, v19
	v_and_b32_e32 v23, 0x80000000, v23
	v_lshl_add_u32 v21, v21, 23, v35
	v_or3_b32 v19, v23, v21, v19
.LBB621_19:                             ;   in Loop: Header=BB621_15 Depth=1
	s_or_b64 exec, exec, s[10:11]
.LBB621_20:                             ;   in Loop: Header=BB621_15 Depth=1
	s_or_b64 exec, exec, s[6:7]
.LBB621_21:                             ;   in Loop: Header=BB621_15 Depth=1
	s_or_b64 exec, exec, s[4:5]
	v_lshrrev_b16_e32 v30, 8, v20
	v_cmp_ne_u16_e32 vcc, 0, v30
	v_mov_b32_e32 v21, 0
	v_mov_b32_e32 v23, 0
	s_and_saveexec_b64 s[4:5], vcc
	s_cbranch_execz .LBB621_27
; %bb.22:                               ;   in Loop: Header=BB621_15 Depth=1
	v_cmp_ne_u16_e32 vcc, s13, v30
	v_bfrev_b32_e32 v23, 1
	s_and_saveexec_b64 s[6:7], vcc
	s_cbranch_execz .LBB621_26
; %bb.23:                               ;   in Loop: Header=BB621_15 Depth=1
	v_and_b32_e32 v32, 0x7f, v30
	v_cmp_ne_u32_e32 vcc, s14, v32
	v_mov_b32_e32 v23, 0x7f800001
	s_and_saveexec_b64 s[10:11], vcc
	s_cbranch_execz .LBB621_25
; %bb.24:                               ;   in Loop: Header=BB621_15 Depth=1
	v_and_b32_e32 v23, 7, v30
	v_ffbh_u32_e32 v36, v23
	v_min_u32_e32 v38, 32, v36
	v_subrev_u32_e32 v36, 28, v38
	v_lshlrev_b64 v[36:37], v36, v[30:31]
	v_lshrrev_b32_e32 v34, 3, v32
	v_sub_u32_e32 v30, 29, v38
	v_and_b32_e32 v36, 7, v36
	v_cmp_gt_u32_e32 vcc, 8, v32
	v_cndmask_b32_e32 v30, v34, v30, vcc
	v_cndmask_b32_e32 v23, v23, v36, vcc
	v_lshlrev_b32_e32 v32, 16, v20
	v_lshlrev_b32_e32 v23, 20, v23
	v_and_b32_e32 v32, 0x80000000, v32
	v_lshl_add_u32 v30, v30, 23, v35
	v_or3_b32 v23, v32, v30, v23
.LBB621_25:                             ;   in Loop: Header=BB621_15 Depth=1
	s_or_b64 exec, exec, s[10:11]
.LBB621_26:                             ;   in Loop: Header=BB621_15 Depth=1
	s_or_b64 exec, exec, s[6:7]
.LBB621_27:                             ;   in Loop: Header=BB621_15 Depth=1
	s_or_b64 exec, exec, s[4:5]
	v_lshrrev_b32_e32 v30, 16, v20
	v_cmp_ne_u16_sdwa s[6:7], v30, v31 src0_sel:BYTE_0 src1_sel:DWORD
	s_and_saveexec_b64 s[4:5], s[6:7]
	s_cbranch_execz .LBB621_33
; %bb.28:                               ;   in Loop: Header=BB621_15 Depth=1
	v_cmp_ne_u16_sdwa s[10:11], v30, s13 src0_sel:BYTE_0 src1_sel:DWORD
	v_bfrev_b32_e32 v21, 1
	s_and_saveexec_b64 s[6:7], s[10:11]
	s_cbranch_execz .LBB621_32
; %bb.29:                               ;   in Loop: Header=BB621_15 Depth=1
	v_bfe_u32 v32, v20, 16, 7
	v_cmp_ne_u32_e32 vcc, s14, v32
	v_mov_b32_e32 v21, 0x7f800001
	s_and_saveexec_b64 s[10:11], vcc
	s_cbranch_execz .LBB621_31
; %bb.30:                               ;   in Loop: Header=BB621_15 Depth=1
	v_and_b32_e32 v21, 7, v30
	v_ffbh_u32_e32 v36, v21
	v_min_u32_e32 v38, 32, v36
	v_subrev_u32_e32 v36, 28, v38
	v_lshlrev_b64 v[36:37], v36, v[30:31]
	v_lshrrev_b32_e32 v34, 3, v32
	v_sub_u32_e32 v37, 29, v38
	v_and_b32_e32 v36, 7, v36
	v_cmp_gt_u32_e32 vcc, 8, v32
	v_cndmask_b32_e32 v32, v34, v37, vcc
	v_cndmask_b32_e32 v21, v21, v36, vcc
	v_lshlrev_b32_e32 v30, 24, v30
	v_lshlrev_b32_e32 v21, 20, v21
	v_and_b32_e32 v30, 0x80000000, v30
	v_lshl_add_u32 v32, v32, 23, v35
	v_or3_b32 v21, v30, v32, v21
.LBB621_31:                             ;   in Loop: Header=BB621_15 Depth=1
	s_or_b64 exec, exec, s[10:11]
.LBB621_32:                             ;   in Loop: Header=BB621_15 Depth=1
	s_or_b64 exec, exec, s[6:7]
.LBB621_33:                             ;   in Loop: Header=BB621_15 Depth=1
	s_or_b64 exec, exec, s[4:5]
	v_cmp_lt_u32_e32 vcc, s15, v20
	v_mov_b32_e32 v34, 0
	v_mov_b32_e32 v36, 0
	s_and_saveexec_b64 s[4:5], vcc
	s_cbranch_execz .LBB621_39
; %bb.34:                               ;   in Loop: Header=BB621_15 Depth=1
	v_lshrrev_b32_e32 v30, 24, v20
	v_cmp_ne_u32_e32 vcc, s13, v30
	v_bfrev_b32_e32 v36, 1
	s_and_saveexec_b64 s[6:7], vcc
	s_cbranch_execz .LBB621_38
; %bb.35:                               ;   in Loop: Header=BB621_15 Depth=1
	v_bfe_u32 v20, v20, 24, 7
	v_cmp_ne_u32_e32 vcc, s14, v20
	v_mov_b32_e32 v36, 0x7f800001
	s_and_saveexec_b64 s[10:11], vcc
	s_cbranch_execz .LBB621_37
; %bb.36:                               ;   in Loop: Header=BB621_15 Depth=1
	v_and_b32_e32 v32, 7, v30
	v_ffbh_u32_e32 v36, v32
	v_min_u32_e32 v39, 32, v36
	v_subrev_u32_e32 v36, 28, v39
	v_lshlrev_b64 v[36:37], v36, v[30:31]
	v_lshrrev_b32_e32 v38, 3, v20
	v_sub_u32_e32 v37, 29, v39
	v_and_b32_e32 v36, 7, v36
	v_cmp_gt_u32_e32 vcc, 8, v20
	v_cndmask_b32_e32 v20, v38, v37, vcc
	v_cndmask_b32_e32 v32, v32, v36, vcc
	v_lshlrev_b32_e32 v30, 24, v30
	v_lshlrev_b32_e32 v32, 20, v32
	v_and_b32_e32 v30, 0x80000000, v30
	v_lshl_add_u32 v20, v20, 23, v35
	v_or3_b32 v36, v30, v20, v32
.LBB621_37:                             ;   in Loop: Header=BB621_15 Depth=1
	s_or_b64 exec, exec, s[10:11]
.LBB621_38:                             ;   in Loop: Header=BB621_15 Depth=1
	s_or_b64 exec, exec, s[6:7]
.LBB621_39:                             ;   in Loop: Header=BB621_15 Depth=1
	s_or_b64 exec, exec, s[4:5]
	s_waitcnt vmcnt(2)
	v_cmp_ne_u16_sdwa s[6:7], v18, v31 src0_sel:BYTE_0 src1_sel:DWORD
	s_and_saveexec_b64 s[4:5], s[6:7]
	s_cbranch_execz .LBB621_45
; %bb.40:                               ;   in Loop: Header=BB621_15 Depth=1
	v_cmp_ne_u16_sdwa s[10:11], v18, s13 src0_sel:BYTE_0 src1_sel:DWORD
	v_bfrev_b32_e32 v34, 1
	s_and_saveexec_b64 s[6:7], s[10:11]
	s_cbranch_execz .LBB621_44
; %bb.41:                               ;   in Loop: Header=BB621_15 Depth=1
	v_and_b32_e32 v20, 0x7f, v18
	v_cmp_ne_u32_e32 vcc, s14, v20
	v_mov_b32_e32 v34, 0x7f800001
	s_and_saveexec_b64 s[10:11], vcc
	s_cbranch_execz .LBB621_43
; %bb.42:                               ;   in Loop: Header=BB621_15 Depth=1
	v_and_b32_e32 v30, 7, v18
	v_ffbh_u32_e32 v34, v30
	v_min_u32_e32 v34, 32, v34
	v_subrev_u32_e32 v37, 28, v34
	v_lshlrev_b64 v[38:39], v37, v[18:19]
	v_lshrrev_b32_e32 v32, 3, v20
	v_sub_u32_e32 v34, 29, v34
	v_and_b32_e32 v37, 7, v38
	v_cmp_gt_u32_e32 vcc, 8, v20
	v_cndmask_b32_e32 v20, v32, v34, vcc
	v_cndmask_b32_e32 v30, v30, v37, vcc
	v_lshlrev_b32_e32 v32, 24, v18
	v_lshlrev_b32_e32 v30, 20, v30
	v_and_b32_e32 v32, 0x80000000, v32
	v_lshl_add_u32 v20, v20, 23, v35
	v_or3_b32 v34, v32, v20, v30
.LBB621_43:                             ;   in Loop: Header=BB621_15 Depth=1
	s_or_b64 exec, exec, s[10:11]
.LBB621_44:                             ;   in Loop: Header=BB621_15 Depth=1
	s_or_b64 exec, exec, s[6:7]
.LBB621_45:                             ;   in Loop: Header=BB621_15 Depth=1
	s_or_b64 exec, exec, s[4:5]
	v_lshrrev_b16_e32 v20, 8, v18
	v_cmp_ne_u16_e32 vcc, 0, v20
	v_mov_b32_e32 v30, 0
	v_mov_b32_e32 v37, 0
	s_and_saveexec_b64 s[4:5], vcc
	s_cbranch_execz .LBB621_51
; %bb.46:                               ;   in Loop: Header=BB621_15 Depth=1
	v_cmp_ne_u16_e32 vcc, s13, v20
	v_bfrev_b32_e32 v37, 1
	s_and_saveexec_b64 s[6:7], vcc
	s_cbranch_execz .LBB621_50
; %bb.47:                               ;   in Loop: Header=BB621_15 Depth=1
	v_and_b32_e32 v32, 0x7f, v20
	v_cmp_ne_u32_e32 vcc, s14, v32
	v_mov_b32_e32 v37, 0x7f800001
	s_and_saveexec_b64 s[10:11], vcc
	s_cbranch_execz .LBB621_49
; %bb.48:                               ;   in Loop: Header=BB621_15 Depth=1
	v_and_b32_e32 v37, 7, v20
	v_ffbh_u32_e32 v38, v37
	v_min_u32_e32 v41, 32, v38
	v_subrev_u32_e32 v38, 28, v41
	v_lshlrev_b64 v[38:39], v38, v[20:21]
	v_lshrrev_b32_e32 v40, 3, v32
	v_sub_u32_e32 v20, 29, v41
	v_and_b32_e32 v38, 7, v38
	v_cmp_gt_u32_e32 vcc, 8, v32
	v_cndmask_b32_e32 v20, v40, v20, vcc
	v_cndmask_b32_e32 v32, v37, v38, vcc
	v_lshlrev_b32_e32 v37, 16, v18
	v_lshlrev_b32_e32 v32, 20, v32
	v_and_b32_e32 v37, 0x80000000, v37
	v_lshl_add_u32 v20, v20, 23, v35
	v_or3_b32 v37, v37, v20, v32
.LBB621_49:                             ;   in Loop: Header=BB621_15 Depth=1
	s_or_b64 exec, exec, s[10:11]
.LBB621_50:                             ;   in Loop: Header=BB621_15 Depth=1
	s_or_b64 exec, exec, s[6:7]
.LBB621_51:                             ;   in Loop: Header=BB621_15 Depth=1
	s_or_b64 exec, exec, s[4:5]
	v_lshrrev_b32_e32 v20, 16, v18
	v_cmp_ne_u16_sdwa s[6:7], v20, v31 src0_sel:BYTE_0 src1_sel:DWORD
	s_and_saveexec_b64 s[4:5], s[6:7]
	s_cbranch_execz .LBB621_57
; %bb.52:                               ;   in Loop: Header=BB621_15 Depth=1
	v_cmp_ne_u16_sdwa s[10:11], v20, s13 src0_sel:BYTE_0 src1_sel:DWORD
	v_bfrev_b32_e32 v30, 1
	s_and_saveexec_b64 s[6:7], s[10:11]
	s_cbranch_execz .LBB621_56
; %bb.53:                               ;   in Loop: Header=BB621_15 Depth=1
	v_bfe_u32 v32, v18, 16, 7
	v_cmp_ne_u32_e32 vcc, s14, v32
	v_mov_b32_e32 v30, 0x7f800001
	s_and_saveexec_b64 s[10:11], vcc
	s_cbranch_execz .LBB621_55
; %bb.54:                               ;   in Loop: Header=BB621_15 Depth=1
	v_and_b32_e32 v30, 7, v20
	v_ffbh_u32_e32 v38, v30
	v_min_u32_e32 v41, 32, v38
	v_subrev_u32_e32 v38, 28, v41
	v_lshlrev_b64 v[38:39], v38, v[20:21]
	v_lshrrev_b32_e32 v40, 3, v32
	v_sub_u32_e32 v39, 29, v41
	v_and_b32_e32 v38, 7, v38
	v_cmp_gt_u32_e32 vcc, 8, v32
	v_cndmask_b32_e32 v32, v40, v39, vcc
	v_cndmask_b32_e32 v30, v30, v38, vcc
	v_lshlrev_b32_e32 v20, 24, v20
	v_lshlrev_b32_e32 v30, 20, v30
	v_and_b32_e32 v20, 0x80000000, v20
	v_lshl_add_u32 v32, v32, 23, v35
	v_or3_b32 v30, v20, v32, v30
.LBB621_55:                             ;   in Loop: Header=BB621_15 Depth=1
	s_or_b64 exec, exec, s[10:11]
.LBB621_56:                             ;   in Loop: Header=BB621_15 Depth=1
	s_or_b64 exec, exec, s[6:7]
.LBB621_57:                             ;   in Loop: Header=BB621_15 Depth=1
	s_or_b64 exec, exec, s[4:5]
	v_cmp_lt_u32_e32 vcc, s15, v18
	v_mov_b32_e32 v32, 0
	v_mov_b32_e32 v38, 0
	s_and_saveexec_b64 s[4:5], vcc
	s_cbranch_execz .LBB621_63
; %bb.58:                               ;   in Loop: Header=BB621_15 Depth=1
	v_lshrrev_b32_e32 v20, 24, v18
	v_cmp_ne_u32_e32 vcc, s13, v20
	v_bfrev_b32_e32 v38, 1
	s_and_saveexec_b64 s[6:7], vcc
	s_cbranch_execz .LBB621_62
; %bb.59:                               ;   in Loop: Header=BB621_15 Depth=1
	v_bfe_u32 v18, v18, 24, 7
	v_cmp_ne_u32_e32 vcc, s14, v18
	v_mov_b32_e32 v38, 0x7f800001
	s_and_saveexec_b64 s[10:11], vcc
	s_cbranch_execz .LBB621_61
; %bb.60:                               ;   in Loop: Header=BB621_15 Depth=1
	v_and_b32_e32 v40, 7, v20
	v_ffbh_u32_e32 v38, v40
	v_min_u32_e32 v42, 32, v38
	v_subrev_u32_e32 v38, 28, v42
	v_lshlrev_b64 v[38:39], v38, v[20:21]
	v_lshrrev_b32_e32 v41, 3, v18
	v_sub_u32_e32 v39, 29, v42
	v_and_b32_e32 v38, 7, v38
	v_cmp_gt_u32_e32 vcc, 8, v18
	v_cndmask_b32_e32 v18, v41, v39, vcc
	v_cndmask_b32_e32 v38, v40, v38, vcc
	v_lshlrev_b32_e32 v20, 24, v20
	v_lshlrev_b32_e32 v38, 20, v38
	v_and_b32_e32 v20, 0x80000000, v20
	v_lshl_add_u32 v18, v18, 23, v35
	v_or3_b32 v38, v20, v18, v38
.LBB621_61:                             ;   in Loop: Header=BB621_15 Depth=1
	s_or_b64 exec, exec, s[10:11]
.LBB621_62:                             ;   in Loop: Header=BB621_15 Depth=1
	s_or_b64 exec, exec, s[6:7]
.LBB621_63:                             ;   in Loop: Header=BB621_15 Depth=1
	s_or_b64 exec, exec, s[4:5]
	v_cvt_pkrtz_f16_f32 v18, v19, v23
	v_cvt_pkrtz_f16_f32 v19, v21, v36
	;; [unrolled: 1-line block ×4, first 2 shown]
	s_waitcnt vmcnt(1)
	v_cmp_ne_u16_sdwa s[6:7], v28, v31 src0_sel:BYTE_0 src1_sel:DWORD
	v_mfma_f32_16x16x16f16 v[18:21], v[18:19], v[2:3], 0
	v_mfma_f32_16x16x16f16 v[18:21], v[36:37], v[4:5], v[18:21]
	s_and_saveexec_b64 s[4:5], s[6:7]
	s_cbranch_execz .LBB621_69
; %bb.64:                               ;   in Loop: Header=BB621_15 Depth=1
	v_cmp_ne_u16_sdwa s[10:11], v28, s13 src0_sel:BYTE_0 src1_sel:DWORD
	v_bfrev_b32_e32 v32, 1
	s_and_saveexec_b64 s[6:7], s[10:11]
	s_cbranch_execz .LBB621_68
; %bb.65:                               ;   in Loop: Header=BB621_15 Depth=1
	v_and_b32_e32 v23, 0x7f, v28
	v_cmp_ne_u32_e32 vcc, s14, v23
	v_mov_b32_e32 v32, 0x7f800001
	s_and_saveexec_b64 s[10:11], vcc
	s_cbranch_execz .LBB621_67
; %bb.66:                               ;   in Loop: Header=BB621_15 Depth=1
	v_and_b32_e32 v30, 7, v28
	v_ffbh_u32_e32 v34, v30
	v_min_u32_e32 v34, 32, v34
	v_subrev_u32_e32 v36, 28, v34
	v_lshlrev_b64 v[36:37], v36, v[28:29]
	v_lshrrev_b32_e32 v32, 3, v23
	v_sub_u32_e32 v34, 29, v34
	v_and_b32_e32 v36, 7, v36
	v_cmp_gt_u32_e32 vcc, 8, v23
	v_cndmask_b32_e32 v23, v32, v34, vcc
	v_cndmask_b32_e32 v30, v30, v36, vcc
	v_lshlrev_b32_e32 v32, 24, v28
	v_lshlrev_b32_e32 v30, 20, v30
	v_and_b32_e32 v32, 0x80000000, v32
	v_lshl_add_u32 v23, v23, 23, v35
	v_or3_b32 v32, v32, v23, v30
.LBB621_67:                             ;   in Loop: Header=BB621_15 Depth=1
	s_or_b64 exec, exec, s[10:11]
.LBB621_68:                             ;   in Loop: Header=BB621_15 Depth=1
	s_or_b64 exec, exec, s[6:7]
.LBB621_69:                             ;   in Loop: Header=BB621_15 Depth=1
	s_or_b64 exec, exec, s[4:5]
	v_lshrrev_b16_e32 v30, 8, v28
	v_cmp_ne_u16_e32 vcc, 0, v30
	v_mov_b32_e32 v34, 0
	v_mov_b32_e32 v36, 0
	s_and_saveexec_b64 s[4:5], vcc
	s_cbranch_execz .LBB621_75
; %bb.70:                               ;   in Loop: Header=BB621_15 Depth=1
	v_cmp_ne_u16_e32 vcc, s13, v30
	v_bfrev_b32_e32 v36, 1
	s_and_saveexec_b64 s[6:7], vcc
	s_cbranch_execz .LBB621_74
; %bb.71:                               ;   in Loop: Header=BB621_15 Depth=1
	v_and_b32_e32 v23, 0x7f, v30
	v_cmp_ne_u32_e32 vcc, s14, v23
	v_mov_b32_e32 v36, 0x7f800001
	s_and_saveexec_b64 s[10:11], vcc
	s_cbranch_execz .LBB621_73
; %bb.72:                               ;   in Loop: Header=BB621_15 Depth=1
	v_and_b32_e32 v38, 7, v30
	v_ffbh_u32_e32 v36, v38
	v_min_u32_e32 v40, 32, v36
	v_subrev_u32_e32 v36, 28, v40
	v_lshlrev_b64 v[36:37], v36, v[30:31]
	v_lshrrev_b32_e32 v39, 3, v23
	v_sub_u32_e32 v30, 29, v40
	v_and_b32_e32 v36, 7, v36
	v_cmp_gt_u32_e32 vcc, 8, v23
	v_cndmask_b32_e32 v23, v39, v30, vcc
	v_cndmask_b32_e32 v30, v38, v36, vcc
	v_lshlrev_b32_e32 v36, 16, v28
	v_lshlrev_b32_e32 v30, 20, v30
	v_and_b32_e32 v36, 0x80000000, v36
	v_lshl_add_u32 v23, v23, 23, v35
	v_or3_b32 v36, v36, v23, v30
.LBB621_73:                             ;   in Loop: Header=BB621_15 Depth=1
	s_or_b64 exec, exec, s[10:11]
.LBB621_74:                             ;   in Loop: Header=BB621_15 Depth=1
	s_or_b64 exec, exec, s[6:7]
.LBB621_75:                             ;   in Loop: Header=BB621_15 Depth=1
	s_or_b64 exec, exec, s[4:5]
	v_lshrrev_b32_e32 v30, 16, v28
	v_cmp_ne_u16_sdwa s[6:7], v30, v31 src0_sel:BYTE_0 src1_sel:DWORD
	s_and_saveexec_b64 s[4:5], s[6:7]
	s_cbranch_execz .LBB621_81
; %bb.76:                               ;   in Loop: Header=BB621_15 Depth=1
	v_cmp_ne_u16_sdwa s[10:11], v30, s13 src0_sel:BYTE_0 src1_sel:DWORD
	v_bfrev_b32_e32 v34, 1
	s_and_saveexec_b64 s[6:7], s[10:11]
	s_cbranch_execz .LBB621_80
; %bb.77:                               ;   in Loop: Header=BB621_15 Depth=1
	v_bfe_u32 v23, v28, 16, 7
	v_cmp_ne_u32_e32 vcc, s14, v23
	v_mov_b32_e32 v34, 0x7f800001
	s_and_saveexec_b64 s[10:11], vcc
	s_cbranch_execz .LBB621_79
; %bb.78:                               ;   in Loop: Header=BB621_15 Depth=1
	v_and_b32_e32 v34, 7, v30
	v_ffbh_u32_e32 v38, v34
	v_min_u32_e32 v40, 32, v38
	v_subrev_u32_e32 v38, 28, v40
	v_lshlrev_b64 v[38:39], v38, v[30:31]
	v_lshrrev_b32_e32 v37, 3, v23
	v_sub_u32_e32 v39, 29, v40
	v_and_b32_e32 v38, 7, v38
	v_cmp_gt_u32_e32 vcc, 8, v23
	v_cndmask_b32_e32 v23, v37, v39, vcc
	v_cndmask_b32_e32 v34, v34, v38, vcc
	v_lshlrev_b32_e32 v30, 24, v30
	v_lshlrev_b32_e32 v34, 20, v34
	v_and_b32_e32 v30, 0x80000000, v30
	v_lshl_add_u32 v23, v23, 23, v35
	v_or3_b32 v34, v30, v23, v34
.LBB621_79:                             ;   in Loop: Header=BB621_15 Depth=1
	s_or_b64 exec, exec, s[10:11]
.LBB621_80:                             ;   in Loop: Header=BB621_15 Depth=1
	s_or_b64 exec, exec, s[6:7]
.LBB621_81:                             ;   in Loop: Header=BB621_15 Depth=1
	s_or_b64 exec, exec, s[4:5]
	v_cmp_lt_u32_e32 vcc, s15, v28
	v_mov_b32_e32 v37, 0
	v_mov_b32_e32 v38, 0
	s_and_saveexec_b64 s[4:5], vcc
	s_cbranch_execz .LBB621_87
; %bb.82:                               ;   in Loop: Header=BB621_15 Depth=1
	v_lshrrev_b32_e32 v30, 24, v28
	v_cmp_ne_u32_e32 vcc, s13, v30
	v_bfrev_b32_e32 v38, 1
	s_and_saveexec_b64 s[6:7], vcc
	s_cbranch_execz .LBB621_86
; %bb.83:                               ;   in Loop: Header=BB621_15 Depth=1
	v_bfe_u32 v23, v28, 24, 7
	v_cmp_ne_u32_e32 vcc, s14, v23
	v_mov_b32_e32 v38, 0x7f800001
	s_and_saveexec_b64 s[10:11], vcc
	s_cbranch_execz .LBB621_85
; %bb.84:                               ;   in Loop: Header=BB621_15 Depth=1
	v_and_b32_e32 v28, 7, v30
	v_ffbh_u32_e32 v38, v28
	v_min_u32_e32 v41, 32, v38
	v_subrev_u32_e32 v38, 28, v41
	v_lshlrev_b64 v[38:39], v38, v[30:31]
	v_lshrrev_b32_e32 v40, 3, v23
	v_sub_u32_e32 v39, 29, v41
	v_and_b32_e32 v38, 7, v38
	v_cmp_gt_u32_e32 vcc, 8, v23
	v_cndmask_b32_e32 v23, v40, v39, vcc
	v_cndmask_b32_e32 v28, v28, v38, vcc
	v_lshlrev_b32_e32 v30, 24, v30
	v_lshlrev_b32_e32 v28, 20, v28
	v_and_b32_e32 v30, 0x80000000, v30
	v_lshl_add_u32 v23, v23, 23, v35
	v_or3_b32 v38, v30, v23, v28
.LBB621_85:                             ;   in Loop: Header=BB621_15 Depth=1
	s_or_b64 exec, exec, s[10:11]
.LBB621_86:                             ;   in Loop: Header=BB621_15 Depth=1
	s_or_b64 exec, exec, s[6:7]
.LBB621_87:                             ;   in Loop: Header=BB621_15 Depth=1
	s_or_b64 exec, exec, s[4:5]
	s_waitcnt vmcnt(0)
	v_cmp_ne_u16_sdwa s[6:7], v26, v31 src0_sel:BYTE_0 src1_sel:DWORD
	s_and_saveexec_b64 s[4:5], s[6:7]
	s_cbranch_execz .LBB621_93
; %bb.88:                               ;   in Loop: Header=BB621_15 Depth=1
	v_cmp_ne_u16_sdwa s[10:11], v26, s13 src0_sel:BYTE_0 src1_sel:DWORD
	v_bfrev_b32_e32 v37, 1
	s_and_saveexec_b64 s[6:7], s[10:11]
	s_cbranch_execz .LBB621_92
; %bb.89:                               ;   in Loop: Header=BB621_15 Depth=1
	v_and_b32_e32 v23, 0x7f, v26
	v_cmp_ne_u32_e32 vcc, s14, v23
	v_mov_b32_e32 v37, 0x7f800001
	s_and_saveexec_b64 s[10:11], vcc
	s_cbranch_execz .LBB621_91
; %bb.90:                               ;   in Loop: Header=BB621_15 Depth=1
	v_and_b32_e32 v28, 7, v26
	v_ffbh_u32_e32 v37, v28
	v_min_u32_e32 v37, 32, v37
	v_subrev_u32_e32 v39, 28, v37
	v_lshlrev_b64 v[40:41], v39, v[26:27]
	v_lshrrev_b32_e32 v30, 3, v23
	v_sub_u32_e32 v37, 29, v37
	v_and_b32_e32 v39, 7, v40
	v_cmp_gt_u32_e32 vcc, 8, v23
	v_cndmask_b32_e32 v23, v30, v37, vcc
	v_cndmask_b32_e32 v28, v28, v39, vcc
	v_lshlrev_b32_e32 v30, 24, v26
	v_lshlrev_b32_e32 v28, 20, v28
	v_and_b32_e32 v30, 0x80000000, v30
	v_lshl_add_u32 v23, v23, 23, v35
	v_or3_b32 v37, v30, v23, v28
.LBB621_91:                             ;   in Loop: Header=BB621_15 Depth=1
	s_or_b64 exec, exec, s[10:11]
.LBB621_92:                             ;   in Loop: Header=BB621_15 Depth=1
	s_or_b64 exec, exec, s[6:7]
.LBB621_93:                             ;   in Loop: Header=BB621_15 Depth=1
	s_or_b64 exec, exec, s[4:5]
	v_lshrrev_b16_e32 v28, 8, v26
	v_cmp_ne_u16_e32 vcc, 0, v28
	v_mov_b32_e32 v39, 0
	v_mov_b32_e32 v40, 0
	s_and_saveexec_b64 s[4:5], vcc
	s_cbranch_execz .LBB621_99
; %bb.94:                               ;   in Loop: Header=BB621_15 Depth=1
	v_cmp_ne_u16_e32 vcc, s13, v28
	v_bfrev_b32_e32 v40, 1
	s_and_saveexec_b64 s[6:7], vcc
	s_cbranch_execz .LBB621_98
; %bb.95:                               ;   in Loop: Header=BB621_15 Depth=1
	v_and_b32_e32 v23, 0x7f, v28
	v_cmp_ne_u32_e32 vcc, s14, v23
	v_mov_b32_e32 v40, 0x7f800001
	s_and_saveexec_b64 s[10:11], vcc
	s_cbranch_execz .LBB621_97
; %bb.96:                               ;   in Loop: Header=BB621_15 Depth=1
	v_and_b32_e32 v30, 7, v28
	v_ffbh_u32_e32 v40, v30
	v_min_u32_e32 v43, 32, v40
	v_subrev_u32_e32 v40, 28, v43
	v_lshlrev_b64 v[40:41], v40, v[28:29]
	v_lshrrev_b32_e32 v42, 3, v23
	v_sub_u32_e32 v28, 29, v43
	v_and_b32_e32 v40, 7, v40
	v_cmp_gt_u32_e32 vcc, 8, v23
	v_cndmask_b32_e32 v23, v42, v28, vcc
	v_cndmask_b32_e32 v28, v30, v40, vcc
	v_lshlrev_b32_e32 v30, 16, v26
	v_lshlrev_b32_e32 v28, 20, v28
	v_and_b32_e32 v30, 0x80000000, v30
	v_lshl_add_u32 v23, v23, 23, v35
	v_or3_b32 v40, v30, v23, v28
.LBB621_97:                             ;   in Loop: Header=BB621_15 Depth=1
	s_or_b64 exec, exec, s[10:11]
.LBB621_98:                             ;   in Loop: Header=BB621_15 Depth=1
	s_or_b64 exec, exec, s[6:7]
.LBB621_99:                             ;   in Loop: Header=BB621_15 Depth=1
	s_or_b64 exec, exec, s[4:5]
	v_lshrrev_b32_e32 v28, 16, v26
	v_cmp_ne_u16_sdwa s[6:7], v28, v31 src0_sel:BYTE_0 src1_sel:DWORD
	s_and_saveexec_b64 s[4:5], s[6:7]
	s_cbranch_execz .LBB621_105
; %bb.100:                              ;   in Loop: Header=BB621_15 Depth=1
	v_cmp_ne_u16_sdwa s[10:11], v28, s13 src0_sel:BYTE_0 src1_sel:DWORD
	v_bfrev_b32_e32 v39, 1
	s_and_saveexec_b64 s[6:7], s[10:11]
	s_cbranch_execz .LBB621_104
; %bb.101:                              ;   in Loop: Header=BB621_15 Depth=1
	v_bfe_u32 v23, v26, 16, 7
	v_cmp_ne_u32_e32 vcc, s14, v23
	v_mov_b32_e32 v39, 0x7f800001
	s_and_saveexec_b64 s[10:11], vcc
	s_cbranch_execz .LBB621_103
; %bb.102:                              ;   in Loop: Header=BB621_15 Depth=1
	v_and_b32_e32 v30, 7, v28
	v_ffbh_u32_e32 v41, v30
	v_min_u32_e32 v41, 32, v41
	v_subrev_u32_e32 v42, 28, v41
	v_lshlrev_b64 v[42:43], v42, v[28:29]
	v_lshrrev_b32_e32 v39, 3, v23
	v_sub_u32_e32 v41, 29, v41
	v_and_b32_e32 v42, 7, v42
	v_cmp_gt_u32_e32 vcc, 8, v23
	v_cndmask_b32_e32 v23, v39, v41, vcc
	v_cndmask_b32_e32 v30, v30, v42, vcc
	v_lshlrev_b32_e32 v28, 24, v28
	v_lshlrev_b32_e32 v30, 20, v30
	v_and_b32_e32 v28, 0x80000000, v28
	v_lshl_add_u32 v23, v23, 23, v35
	v_or3_b32 v39, v28, v23, v30
.LBB621_103:                            ;   in Loop: Header=BB621_15 Depth=1
	s_or_b64 exec, exec, s[10:11]
.LBB621_104:                            ;   in Loop: Header=BB621_15 Depth=1
	s_or_b64 exec, exec, s[6:7]
.LBB621_105:                            ;   in Loop: Header=BB621_15 Depth=1
	s_or_b64 exec, exec, s[4:5]
	v_cmp_lt_u32_e32 vcc, s15, v26
	v_mov_b32_e32 v23, 0
	v_mov_b32_e32 v41, 0
	s_and_saveexec_b64 s[4:5], vcc
	s_cbranch_execz .LBB621_111
; %bb.106:                              ;   in Loop: Header=BB621_15 Depth=1
	v_lshrrev_b32_e32 v28, 24, v26
	v_cmp_ne_u32_e32 vcc, s13, v28
	v_bfrev_b32_e32 v41, 1
	s_and_saveexec_b64 s[6:7], vcc
	s_cbranch_execz .LBB621_110
; %bb.107:                              ;   in Loop: Header=BB621_15 Depth=1
	v_bfe_u32 v26, v26, 24, 7
	v_cmp_ne_u32_e32 vcc, s14, v26
	v_mov_b32_e32 v41, 0x7f800001
	s_and_saveexec_b64 s[10:11], vcc
	s_cbranch_execz .LBB621_109
; %bb.108:                              ;   in Loop: Header=BB621_15 Depth=1
	v_and_b32_e32 v30, 7, v28
	v_ffbh_u32_e32 v42, v30
	v_min_u32_e32 v44, 32, v42
	v_subrev_u32_e32 v42, 28, v44
	v_lshlrev_b64 v[42:43], v42, v[28:29]
	v_lshrrev_b32_e32 v41, 3, v26
	v_sub_u32_e32 v43, 29, v44
	v_and_b32_e32 v42, 7, v42
	v_cmp_gt_u32_e32 vcc, 8, v26
	v_cndmask_b32_e32 v26, v41, v43, vcc
	v_cndmask_b32_e32 v30, v30, v42, vcc
	v_lshlrev_b32_e32 v28, 24, v28
	v_lshlrev_b32_e32 v30, 20, v30
	v_and_b32_e32 v28, 0x80000000, v28
	v_lshl_add_u32 v26, v26, 23, v35
	v_or3_b32 v41, v28, v26, v30
.LBB621_109:                            ;   in Loop: Header=BB621_15 Depth=1
	s_or_b64 exec, exec, s[10:11]
.LBB621_110:                            ;   in Loop: Header=BB621_15 Depth=1
	s_or_b64 exec, exec, s[6:7]
.LBB621_111:                            ;   in Loop: Header=BB621_15 Depth=1
	s_or_b64 exec, exec, s[4:5]
	v_cvt_pkrtz_f16_f32 v42, v32, v36
	buffer_load_dword v32, v29, s[0:3], 0 offen offset:16
	buffer_load_dword v30, v29, s[0:3], 0 offen offset:20
	;; [unrolled: 1-line block ×4, first 2 shown]
	v_cvt_pkrtz_f16_f32 v43, v34, v38
	v_cvt_pkrtz_f16_f32 v36, v37, v40
	;; [unrolled: 1-line block ×3, first 2 shown]
	v_mfma_f32_16x16x16f16 v[18:21], v[42:43], v[6:7], v[18:21]
	s_waitcnt vmcnt(3)
	v_cmp_ne_u16_sdwa s[6:7], v32, v31 src0_sel:BYTE_0 src1_sel:DWORD
	v_mfma_f32_16x16x16f16 v[18:21], v[36:37], v[8:9], v[18:21]
	s_and_saveexec_b64 s[4:5], s[6:7]
	s_cbranch_execz .LBB621_117
; %bb.112:                              ;   in Loop: Header=BB621_15 Depth=1
	v_cmp_ne_u16_sdwa s[10:11], v32, s13 src0_sel:BYTE_0 src1_sel:DWORD
	v_bfrev_b32_e32 v23, 1
	s_and_saveexec_b64 s[6:7], s[10:11]
	s_cbranch_execz .LBB621_116
; %bb.113:                              ;   in Loop: Header=BB621_15 Depth=1
	v_and_b32_e32 v34, 0x7f, v32
	v_cmp_ne_u32_e32 vcc, s14, v34
	v_mov_b32_e32 v23, 0x7f800001
	s_and_saveexec_b64 s[10:11], vcc
	s_cbranch_execz .LBB621_115
; %bb.114:                              ;   in Loop: Header=BB621_15 Depth=1
	v_and_b32_e32 v23, 7, v32
	v_ffbh_u32_e32 v36, v23
	v_min_u32_e32 v39, 32, v36
	v_subrev_u32_e32 v36, 28, v39
	v_lshlrev_b64 v[36:37], v36, v[32:33]
	v_lshrrev_b32_e32 v38, 3, v34
	v_sub_u32_e32 v37, 29, v39
	v_and_b32_e32 v36, 7, v36
	v_cmp_gt_u32_e32 vcc, 8, v34
	v_cndmask_b32_e32 v34, v38, v37, vcc
	v_cndmask_b32_e32 v23, v23, v36, vcc
	v_lshlrev_b32_e32 v36, 24, v32
	v_lshlrev_b32_e32 v23, 20, v23
	v_and_b32_e32 v36, 0x80000000, v36
	v_lshl_add_u32 v34, v34, 23, v35
	v_or3_b32 v23, v36, v34, v23
.LBB621_115:                            ;   in Loop: Header=BB621_15 Depth=1
	s_or_b64 exec, exec, s[10:11]
.LBB621_116:                            ;   in Loop: Header=BB621_15 Depth=1
	s_or_b64 exec, exec, s[6:7]
.LBB621_117:                            ;   in Loop: Header=BB621_15 Depth=1
	s_or_b64 exec, exec, s[4:5]
	v_lshrrev_b16_e32 v34, 8, v32
	v_cmp_ne_u16_e32 vcc, 0, v34
	v_mov_b32_e32 v36, 0
	v_mov_b32_e32 v37, 0
	s_and_saveexec_b64 s[4:5], vcc
	s_cbranch_execz .LBB621_123
; %bb.118:                              ;   in Loop: Header=BB621_15 Depth=1
	v_cmp_ne_u16_e32 vcc, s13, v34
	v_bfrev_b32_e32 v37, 1
	s_and_saveexec_b64 s[6:7], vcc
	s_cbranch_execz .LBB621_122
; %bb.119:                              ;   in Loop: Header=BB621_15 Depth=1
	v_and_b32_e32 v38, 0x7f, v34
	v_cmp_ne_u32_e32 vcc, s14, v38
	v_mov_b32_e32 v37, 0x7f800001
	s_and_saveexec_b64 s[10:11], vcc
	s_cbranch_execz .LBB621_121
; %bb.120:                              ;   in Loop: Header=BB621_15 Depth=1
	v_and_b32_e32 v37, 7, v34
	v_ffbh_u32_e32 v40, v37
	v_min_u32_e32 v42, 32, v40
	v_subrev_u32_e32 v40, 28, v42
	v_lshlrev_b64 v[40:41], v40, v[34:35]
	v_lshrrev_b32_e32 v39, 3, v38
	v_sub_u32_e32 v34, 29, v42
	v_and_b32_e32 v40, 7, v40
	v_cmp_gt_u32_e32 vcc, 8, v38
	v_cndmask_b32_e32 v34, v39, v34, vcc
	v_cndmask_b32_e32 v37, v37, v40, vcc
	v_lshlrev_b32_e32 v38, 16, v32
	v_lshlrev_b32_e32 v37, 20, v37
	v_and_b32_e32 v38, 0x80000000, v38
	v_lshl_add_u32 v34, v34, 23, v35
	v_or3_b32 v37, v38, v34, v37
.LBB621_121:                            ;   in Loop: Header=BB621_15 Depth=1
	s_or_b64 exec, exec, s[10:11]
.LBB621_122:                            ;   in Loop: Header=BB621_15 Depth=1
	s_or_b64 exec, exec, s[6:7]
.LBB621_123:                            ;   in Loop: Header=BB621_15 Depth=1
	s_or_b64 exec, exec, s[4:5]
	v_lshrrev_b32_e32 v34, 16, v32
	v_cmp_ne_u16_sdwa s[6:7], v34, v31 src0_sel:BYTE_0 src1_sel:DWORD
	s_and_saveexec_b64 s[4:5], s[6:7]
	s_cbranch_execz .LBB621_129
; %bb.124:                              ;   in Loop: Header=BB621_15 Depth=1
	v_cmp_ne_u16_sdwa s[10:11], v34, s13 src0_sel:BYTE_0 src1_sel:DWORD
	v_bfrev_b32_e32 v36, 1
	s_and_saveexec_b64 s[6:7], s[10:11]
	s_cbranch_execz .LBB621_128
; %bb.125:                              ;   in Loop: Header=BB621_15 Depth=1
	v_bfe_u32 v38, v32, 16, 7
	v_cmp_ne_u32_e32 vcc, s14, v38
	v_mov_b32_e32 v36, 0x7f800001
	s_and_saveexec_b64 s[10:11], vcc
	s_cbranch_execz .LBB621_127
; %bb.126:                              ;   in Loop: Header=BB621_15 Depth=1
	v_and_b32_e32 v36, 7, v34
	v_ffbh_u32_e32 v40, v36
	v_min_u32_e32 v42, 32, v40
	v_subrev_u32_e32 v40, 28, v42
	v_lshlrev_b64 v[40:41], v40, v[34:35]
	v_lshrrev_b32_e32 v39, 3, v38
	v_sub_u32_e32 v41, 29, v42
	v_and_b32_e32 v40, 7, v40
	v_cmp_gt_u32_e32 vcc, 8, v38
	v_cndmask_b32_e32 v38, v39, v41, vcc
	v_cndmask_b32_e32 v36, v36, v40, vcc
	v_lshlrev_b32_e32 v34, 24, v34
	v_lshlrev_b32_e32 v36, 20, v36
	v_and_b32_e32 v34, 0x80000000, v34
	v_lshl_add_u32 v38, v38, 23, v35
	v_or3_b32 v36, v34, v38, v36
.LBB621_127:                            ;   in Loop: Header=BB621_15 Depth=1
	s_or_b64 exec, exec, s[10:11]
.LBB621_128:                            ;   in Loop: Header=BB621_15 Depth=1
	s_or_b64 exec, exec, s[6:7]
.LBB621_129:                            ;   in Loop: Header=BB621_15 Depth=1
	s_or_b64 exec, exec, s[4:5]
	v_cmp_lt_u32_e32 vcc, s15, v32
	v_mov_b32_e32 v38, 0
	v_mov_b32_e32 v39, 0
	s_and_saveexec_b64 s[4:5], vcc
	s_cbranch_execz .LBB621_135
; %bb.130:                              ;   in Loop: Header=BB621_15 Depth=1
	v_lshrrev_b32_e32 v34, 24, v32
	v_cmp_ne_u32_e32 vcc, s13, v34
	v_bfrev_b32_e32 v39, 1
	s_and_saveexec_b64 s[6:7], vcc
	s_cbranch_execz .LBB621_134
; %bb.131:                              ;   in Loop: Header=BB621_15 Depth=1
	v_bfe_u32 v32, v32, 24, 7
	v_cmp_ne_u32_e32 vcc, s14, v32
	v_mov_b32_e32 v39, 0x7f800001
	s_and_saveexec_b64 s[10:11], vcc
	s_cbranch_execz .LBB621_133
; %bb.132:                              ;   in Loop: Header=BB621_15 Depth=1
	v_and_b32_e32 v39, 7, v34
	v_ffbh_u32_e32 v40, v39
	v_min_u32_e32 v43, 32, v40
	v_subrev_u32_e32 v40, 28, v43
	v_lshlrev_b64 v[40:41], v40, v[34:35]
	v_lshrrev_b32_e32 v42, 3, v32
	v_sub_u32_e32 v41, 29, v43
	v_and_b32_e32 v40, 7, v40
	v_cmp_gt_u32_e32 vcc, 8, v32
	v_cndmask_b32_e32 v32, v42, v41, vcc
	v_cndmask_b32_e32 v39, v39, v40, vcc
	v_lshlrev_b32_e32 v34, 24, v34
	v_lshlrev_b32_e32 v39, 20, v39
	v_and_b32_e32 v34, 0x80000000, v34
	v_lshl_add_u32 v32, v32, 23, v35
	v_or3_b32 v39, v34, v32, v39
.LBB621_133:                            ;   in Loop: Header=BB621_15 Depth=1
	s_or_b64 exec, exec, s[10:11]
.LBB621_134:                            ;   in Loop: Header=BB621_15 Depth=1
	s_or_b64 exec, exec, s[6:7]
.LBB621_135:                            ;   in Loop: Header=BB621_15 Depth=1
	s_or_b64 exec, exec, s[4:5]
	s_waitcnt vmcnt(2)
	v_cmp_ne_u16_sdwa s[6:7], v30, v31 src0_sel:BYTE_0 src1_sel:DWORD
	s_and_saveexec_b64 s[4:5], s[6:7]
	s_cbranch_execz .LBB621_141
; %bb.136:                              ;   in Loop: Header=BB621_15 Depth=1
	v_cmp_ne_u16_sdwa s[10:11], v30, s13 src0_sel:BYTE_0 src1_sel:DWORD
	v_bfrev_b32_e32 v38, 1
	s_and_saveexec_b64 s[6:7], s[10:11]
	s_cbranch_execz .LBB621_140
; %bb.137:                              ;   in Loop: Header=BB621_15 Depth=1
	v_and_b32_e32 v32, 0x7f, v30
	v_cmp_ne_u32_e32 vcc, s14, v32
	v_mov_b32_e32 v38, 0x7f800001
	s_and_saveexec_b64 s[10:11], vcc
	s_cbranch_execz .LBB621_139
; %bb.138:                              ;   in Loop: Header=BB621_15 Depth=1
	v_and_b32_e32 v34, 7, v30
	v_ffbh_u32_e32 v40, v34
	v_min_u32_e32 v42, 32, v40
	v_subrev_u32_e32 v40, 28, v42
	v_lshlrev_b64 v[40:41], v40, v[30:31]
	v_lshrrev_b32_e32 v38, 3, v32
	v_sub_u32_e32 v41, 29, v42
	v_and_b32_e32 v40, 7, v40
	v_cmp_gt_u32_e32 vcc, 8, v32
	v_cndmask_b32_e32 v32, v38, v41, vcc
	v_cndmask_b32_e32 v34, v34, v40, vcc
	v_lshlrev_b32_e32 v38, 24, v30
	v_lshlrev_b32_e32 v34, 20, v34
	v_and_b32_e32 v38, 0x80000000, v38
	v_lshl_add_u32 v32, v32, 23, v35
	v_or3_b32 v38, v38, v32, v34
.LBB621_139:                            ;   in Loop: Header=BB621_15 Depth=1
	s_or_b64 exec, exec, s[10:11]
.LBB621_140:                            ;   in Loop: Header=BB621_15 Depth=1
	s_or_b64 exec, exec, s[6:7]
.LBB621_141:                            ;   in Loop: Header=BB621_15 Depth=1
	s_or_b64 exec, exec, s[4:5]
	v_lshrrev_b16_e32 v32, 8, v30
	v_cmp_ne_u16_e32 vcc, 0, v32
	v_mov_b32_e32 v40, 0
	v_mov_b32_e32 v41, 0
	s_and_saveexec_b64 s[4:5], vcc
	s_cbranch_execz .LBB621_147
; %bb.142:                              ;   in Loop: Header=BB621_15 Depth=1
	v_cmp_ne_u16_e32 vcc, s13, v32
	v_bfrev_b32_e32 v41, 1
	s_and_saveexec_b64 s[6:7], vcc
	s_cbranch_execz .LBB621_146
; %bb.143:                              ;   in Loop: Header=BB621_15 Depth=1
	v_and_b32_e32 v34, 0x7f, v32
	v_cmp_ne_u32_e32 vcc, s14, v34
	v_mov_b32_e32 v41, 0x7f800001
	s_and_saveexec_b64 s[10:11], vcc
	s_cbranch_execz .LBB621_145
; %bb.144:                              ;   in Loop: Header=BB621_15 Depth=1
	v_and_b32_e32 v41, 7, v32
	v_ffbh_u32_e32 v42, v41
	v_min_u32_e32 v45, 32, v42
	v_subrev_u32_e32 v42, 28, v45
	v_lshlrev_b64 v[42:43], v42, v[32:33]
	v_lshrrev_b32_e32 v44, 3, v34
	v_sub_u32_e32 v32, 29, v45
	v_and_b32_e32 v42, 7, v42
	v_cmp_gt_u32_e32 vcc, 8, v34
	v_cndmask_b32_e32 v32, v44, v32, vcc
	v_cndmask_b32_e32 v34, v41, v42, vcc
	v_lshlrev_b32_e32 v41, 16, v30
	v_lshlrev_b32_e32 v34, 20, v34
	v_and_b32_e32 v41, 0x80000000, v41
	v_lshl_add_u32 v32, v32, 23, v35
	v_or3_b32 v41, v41, v32, v34
.LBB621_145:                            ;   in Loop: Header=BB621_15 Depth=1
	s_or_b64 exec, exec, s[10:11]
.LBB621_146:                            ;   in Loop: Header=BB621_15 Depth=1
	s_or_b64 exec, exec, s[6:7]
.LBB621_147:                            ;   in Loop: Header=BB621_15 Depth=1
	s_or_b64 exec, exec, s[4:5]
	v_lshrrev_b32_e32 v32, 16, v30
	v_cmp_ne_u16_sdwa s[6:7], v32, v31 src0_sel:BYTE_0 src1_sel:DWORD
	s_and_saveexec_b64 s[4:5], s[6:7]
	s_cbranch_execz .LBB621_153
; %bb.148:                              ;   in Loop: Header=BB621_15 Depth=1
	v_cmp_ne_u16_sdwa s[10:11], v32, s13 src0_sel:BYTE_0 src1_sel:DWORD
	v_bfrev_b32_e32 v40, 1
	s_and_saveexec_b64 s[6:7], s[10:11]
	s_cbranch_execz .LBB621_152
; %bb.149:                              ;   in Loop: Header=BB621_15 Depth=1
	v_bfe_u32 v34, v30, 16, 7
	v_cmp_ne_u32_e32 vcc, s14, v34
	v_mov_b32_e32 v40, 0x7f800001
	s_and_saveexec_b64 s[10:11], vcc
	s_cbranch_execz .LBB621_151
; %bb.150:                              ;   in Loop: Header=BB621_15 Depth=1
	v_and_b32_e32 v40, 7, v32
	v_ffbh_u32_e32 v42, v40
	v_min_u32_e32 v45, 32, v42
	v_subrev_u32_e32 v42, 28, v45
	v_lshlrev_b64 v[42:43], v42, v[32:33]
	v_lshrrev_b32_e32 v44, 3, v34
	v_sub_u32_e32 v43, 29, v45
	v_and_b32_e32 v42, 7, v42
	v_cmp_gt_u32_e32 vcc, 8, v34
	v_cndmask_b32_e32 v34, v44, v43, vcc
	v_cndmask_b32_e32 v40, v40, v42, vcc
	v_lshlrev_b32_e32 v32, 24, v32
	v_lshlrev_b32_e32 v40, 20, v40
	v_and_b32_e32 v32, 0x80000000, v32
	v_lshl_add_u32 v34, v34, 23, v35
	v_or3_b32 v40, v32, v34, v40
.LBB621_151:                            ;   in Loop: Header=BB621_15 Depth=1
	s_or_b64 exec, exec, s[10:11]
.LBB621_152:                            ;   in Loop: Header=BB621_15 Depth=1
	s_or_b64 exec, exec, s[6:7]
.LBB621_153:                            ;   in Loop: Header=BB621_15 Depth=1
	s_or_b64 exec, exec, s[4:5]
	v_cmp_lt_u32_e32 vcc, s15, v30
	v_mov_b32_e32 v34, 0
	v_mov_b32_e32 v42, 0
	s_and_saveexec_b64 s[4:5], vcc
	s_cbranch_execz .LBB621_159
; %bb.154:                              ;   in Loop: Header=BB621_15 Depth=1
	v_lshrrev_b32_e32 v32, 24, v30
	v_cmp_ne_u32_e32 vcc, s13, v32
	v_bfrev_b32_e32 v42, 1
	s_and_saveexec_b64 s[6:7], vcc
	s_cbranch_execz .LBB621_158
; %bb.155:                              ;   in Loop: Header=BB621_15 Depth=1
	v_bfe_u32 v30, v30, 24, 7
	v_cmp_ne_u32_e32 vcc, s14, v30
	v_mov_b32_e32 v42, 0x7f800001
	s_and_saveexec_b64 s[10:11], vcc
	s_cbranch_execz .LBB621_157
; %bb.156:                              ;   in Loop: Header=BB621_15 Depth=1
	v_and_b32_e32 v44, 7, v32
	v_ffbh_u32_e32 v42, v44
	v_min_u32_e32 v46, 32, v42
	v_subrev_u32_e32 v42, 28, v46
	v_lshlrev_b64 v[42:43], v42, v[32:33]
	v_lshrrev_b32_e32 v45, 3, v30
	v_sub_u32_e32 v43, 29, v46
	v_and_b32_e32 v42, 7, v42
	v_cmp_gt_u32_e32 vcc, 8, v30
	v_cndmask_b32_e32 v30, v45, v43, vcc
	v_cndmask_b32_e32 v42, v44, v42, vcc
	v_lshlrev_b32_e32 v32, 24, v32
	v_lshlrev_b32_e32 v42, 20, v42
	v_and_b32_e32 v32, 0x80000000, v32
	v_lshl_add_u32 v30, v30, 23, v35
	v_or3_b32 v42, v32, v30, v42
.LBB621_157:                            ;   in Loop: Header=BB621_15 Depth=1
	s_or_b64 exec, exec, s[10:11]
.LBB621_158:                            ;   in Loop: Header=BB621_15 Depth=1
	s_or_b64 exec, exec, s[6:7]
.LBB621_159:                            ;   in Loop: Header=BB621_15 Depth=1
	s_or_b64 exec, exec, s[4:5]
	v_cvt_pkrtz_f16_f32 v44, v23, v37
	v_cvt_pkrtz_f16_f32 v45, v36, v39
	;; [unrolled: 1-line block ×4, first 2 shown]
	s_waitcnt vmcnt(1)
	v_cmp_ne_u16_sdwa s[6:7], v28, v31 src0_sel:BYTE_0 src1_sel:DWORD
	v_mfma_f32_16x16x16f16 v[18:21], v[44:45], v[10:11], v[18:21]
	v_mfma_f32_16x16x16f16 v[18:21], v[36:37], v[12:13], v[18:21]
	s_and_saveexec_b64 s[4:5], s[6:7]
	s_cbranch_execz .LBB621_165
; %bb.160:                              ;   in Loop: Header=BB621_15 Depth=1
	v_cmp_ne_u16_sdwa s[10:11], v28, s13 src0_sel:BYTE_0 src1_sel:DWORD
	v_bfrev_b32_e32 v34, 1
	s_and_saveexec_b64 s[6:7], s[10:11]
	s_cbranch_execz .LBB621_164
; %bb.161:                              ;   in Loop: Header=BB621_15 Depth=1
	v_and_b32_e32 v23, 0x7f, v28
	v_cmp_ne_u32_e32 vcc, s14, v23
	v_mov_b32_e32 v34, 0x7f800001
	s_and_saveexec_b64 s[10:11], vcc
	s_cbranch_execz .LBB621_163
; %bb.162:                              ;   in Loop: Header=BB621_15 Depth=1
	v_and_b32_e32 v30, 7, v28
	v_ffbh_u32_e32 v34, v30
	v_min_u32_e32 v34, 32, v34
	v_subrev_u32_e32 v36, 28, v34
	v_lshlrev_b64 v[36:37], v36, v[28:29]
	v_lshrrev_b32_e32 v32, 3, v23
	v_sub_u32_e32 v34, 29, v34
	v_and_b32_e32 v36, 7, v36
	v_cmp_gt_u32_e32 vcc, 8, v23
	v_cndmask_b32_e32 v23, v32, v34, vcc
	v_cndmask_b32_e32 v30, v30, v36, vcc
	v_lshlrev_b32_e32 v32, 24, v28
	v_lshlrev_b32_e32 v30, 20, v30
	v_and_b32_e32 v32, 0x80000000, v32
	v_lshl_add_u32 v23, v23, 23, v35
	v_or3_b32 v34, v32, v23, v30
.LBB621_163:                            ;   in Loop: Header=BB621_15 Depth=1
	s_or_b64 exec, exec, s[10:11]
.LBB621_164:                            ;   in Loop: Header=BB621_15 Depth=1
	s_or_b64 exec, exec, s[6:7]
.LBB621_165:                            ;   in Loop: Header=BB621_15 Depth=1
	s_or_b64 exec, exec, s[4:5]
	v_lshrrev_b16_e32 v30, 8, v28
	v_cmp_ne_u16_e32 vcc, 0, v30
	v_mov_b32_e32 v23, 0
	v_mov_b32_e32 v32, 0
	s_and_saveexec_b64 s[4:5], vcc
	s_cbranch_execz .LBB621_171
; %bb.166:                              ;   in Loop: Header=BB621_15 Depth=1
	v_cmp_ne_u16_e32 vcc, s13, v30
	v_bfrev_b32_e32 v32, 1
	s_and_saveexec_b64 s[6:7], vcc
	s_cbranch_execz .LBB621_170
; %bb.167:                              ;   in Loop: Header=BB621_15 Depth=1
	v_and_b32_e32 v36, 0x7f, v30
	v_cmp_ne_u32_e32 vcc, s14, v36
	v_mov_b32_e32 v32, 0x7f800001
	s_and_saveexec_b64 s[10:11], vcc
	s_cbranch_execz .LBB621_169
; %bb.168:                              ;   in Loop: Header=BB621_15 Depth=1
	v_and_b32_e32 v32, 7, v30
	v_ffbh_u32_e32 v38, v32
	v_min_u32_e32 v40, 32, v38
	v_subrev_u32_e32 v38, 28, v40
	v_lshlrev_b64 v[38:39], v38, v[30:31]
	v_lshrrev_b32_e32 v37, 3, v36
	v_sub_u32_e32 v30, 29, v40
	v_and_b32_e32 v38, 7, v38
	v_cmp_gt_u32_e32 vcc, 8, v36
	v_cndmask_b32_e32 v30, v37, v30, vcc
	v_cndmask_b32_e32 v32, v32, v38, vcc
	v_lshlrev_b32_e32 v36, 16, v28
	v_lshlrev_b32_e32 v32, 20, v32
	v_and_b32_e32 v36, 0x80000000, v36
	v_lshl_add_u32 v30, v30, 23, v35
	v_or3_b32 v32, v36, v30, v32
.LBB621_169:                            ;   in Loop: Header=BB621_15 Depth=1
	s_or_b64 exec, exec, s[10:11]
.LBB621_170:                            ;   in Loop: Header=BB621_15 Depth=1
	s_or_b64 exec, exec, s[6:7]
.LBB621_171:                            ;   in Loop: Header=BB621_15 Depth=1
	s_or_b64 exec, exec, s[4:5]
	v_lshrrev_b32_e32 v30, 16, v28
	v_cmp_ne_u16_sdwa s[6:7], v30, v31 src0_sel:BYTE_0 src1_sel:DWORD
	s_and_saveexec_b64 s[4:5], s[6:7]
	s_cbranch_execz .LBB621_177
; %bb.172:                              ;   in Loop: Header=BB621_15 Depth=1
	v_cmp_ne_u16_sdwa s[10:11], v30, s13 src0_sel:BYTE_0 src1_sel:DWORD
	v_bfrev_b32_e32 v23, 1
	s_and_saveexec_b64 s[6:7], s[10:11]
	s_cbranch_execz .LBB621_176
; %bb.173:                              ;   in Loop: Header=BB621_15 Depth=1
	v_bfe_u32 v36, v28, 16, 7
	v_cmp_ne_u32_e32 vcc, s14, v36
	v_mov_b32_e32 v23, 0x7f800001
	s_and_saveexec_b64 s[10:11], vcc
	s_cbranch_execz .LBB621_175
; %bb.174:                              ;   in Loop: Header=BB621_15 Depth=1
	v_and_b32_e32 v23, 7, v30
	v_ffbh_u32_e32 v38, v23
	v_min_u32_e32 v40, 32, v38
	v_subrev_u32_e32 v38, 28, v40
	v_lshlrev_b64 v[38:39], v38, v[30:31]
	v_lshrrev_b32_e32 v37, 3, v36
	v_sub_u32_e32 v39, 29, v40
	v_and_b32_e32 v38, 7, v38
	v_cmp_gt_u32_e32 vcc, 8, v36
	v_cndmask_b32_e32 v36, v37, v39, vcc
	v_cndmask_b32_e32 v23, v23, v38, vcc
	v_lshlrev_b32_e32 v30, 24, v30
	v_lshlrev_b32_e32 v23, 20, v23
	v_and_b32_e32 v30, 0x80000000, v30
	v_lshl_add_u32 v36, v36, 23, v35
	v_or3_b32 v23, v30, v36, v23
.LBB621_175:                            ;   in Loop: Header=BB621_15 Depth=1
	s_or_b64 exec, exec, s[10:11]
.LBB621_176:                            ;   in Loop: Header=BB621_15 Depth=1
	s_or_b64 exec, exec, s[6:7]
.LBB621_177:                            ;   in Loop: Header=BB621_15 Depth=1
	s_or_b64 exec, exec, s[4:5]
	v_cmp_lt_u32_e32 vcc, s15, v28
	v_mov_b32_e32 v36, 0
	v_mov_b32_e32 v37, 0
	s_and_saveexec_b64 s[4:5], vcc
	s_cbranch_execz .LBB621_183
; %bb.178:                              ;   in Loop: Header=BB621_15 Depth=1
	v_lshrrev_b32_e32 v30, 24, v28
	v_cmp_ne_u32_e32 vcc, s13, v30
	v_bfrev_b32_e32 v37, 1
	s_and_saveexec_b64 s[6:7], vcc
	s_cbranch_execz .LBB621_182
; %bb.179:                              ;   in Loop: Header=BB621_15 Depth=1
	v_bfe_u32 v28, v28, 24, 7
	v_cmp_ne_u32_e32 vcc, s14, v28
	v_mov_b32_e32 v37, 0x7f800001
	s_and_saveexec_b64 s[10:11], vcc
	s_cbranch_execz .LBB621_181
; %bb.180:                              ;   in Loop: Header=BB621_15 Depth=1
	v_and_b32_e32 v37, 7, v30
	v_ffbh_u32_e32 v38, v37
	v_min_u32_e32 v41, 32, v38
	v_subrev_u32_e32 v38, 28, v41
	v_lshlrev_b64 v[38:39], v38, v[30:31]
	v_lshrrev_b32_e32 v40, 3, v28
	v_sub_u32_e32 v39, 29, v41
	v_and_b32_e32 v38, 7, v38
	v_cmp_gt_u32_e32 vcc, 8, v28
	v_cndmask_b32_e32 v28, v40, v39, vcc
	v_cndmask_b32_e32 v37, v37, v38, vcc
	v_lshlrev_b32_e32 v30, 24, v30
	v_lshlrev_b32_e32 v37, 20, v37
	v_and_b32_e32 v30, 0x80000000, v30
	v_lshl_add_u32 v28, v28, 23, v35
	v_or3_b32 v37, v30, v28, v37
.LBB621_181:                            ;   in Loop: Header=BB621_15 Depth=1
	s_or_b64 exec, exec, s[10:11]
.LBB621_182:                            ;   in Loop: Header=BB621_15 Depth=1
	s_or_b64 exec, exec, s[6:7]
.LBB621_183:                            ;   in Loop: Header=BB621_15 Depth=1
	s_or_b64 exec, exec, s[4:5]
	s_waitcnt vmcnt(0)
	v_cmp_ne_u16_sdwa s[6:7], v26, v31 src0_sel:BYTE_0 src1_sel:DWORD
	s_and_saveexec_b64 s[4:5], s[6:7]
	s_cbranch_execz .LBB621_189
; %bb.184:                              ;   in Loop: Header=BB621_15 Depth=1
	v_cmp_ne_u16_sdwa s[10:11], v26, s13 src0_sel:BYTE_0 src1_sel:DWORD
	v_bfrev_b32_e32 v36, 1
	s_and_saveexec_b64 s[6:7], s[10:11]
	s_cbranch_execz .LBB621_188
; %bb.185:                              ;   in Loop: Header=BB621_15 Depth=1
	v_and_b32_e32 v28, 0x7f, v26
	v_cmp_ne_u32_e32 vcc, s14, v28
	v_mov_b32_e32 v36, 0x7f800001
	s_and_saveexec_b64 s[10:11], vcc
	s_cbranch_execz .LBB621_187
; %bb.186:                              ;   in Loop: Header=BB621_15 Depth=1
	v_and_b32_e32 v30, 7, v26
	v_ffbh_u32_e32 v38, v30
	v_min_u32_e32 v40, 32, v38
	v_subrev_u32_e32 v38, 28, v40
	v_lshlrev_b64 v[38:39], v38, v[26:27]
	v_lshrrev_b32_e32 v36, 3, v28
	v_sub_u32_e32 v39, 29, v40
	v_and_b32_e32 v38, 7, v38
	v_cmp_gt_u32_e32 vcc, 8, v28
	v_cndmask_b32_e32 v28, v36, v39, vcc
	v_cndmask_b32_e32 v30, v30, v38, vcc
	v_lshlrev_b32_e32 v36, 24, v26
	v_lshlrev_b32_e32 v30, 20, v30
	v_and_b32_e32 v36, 0x80000000, v36
	v_lshl_add_u32 v28, v28, 23, v35
	v_or3_b32 v36, v36, v28, v30
.LBB621_187:                            ;   in Loop: Header=BB621_15 Depth=1
	s_or_b64 exec, exec, s[10:11]
.LBB621_188:                            ;   in Loop: Header=BB621_15 Depth=1
	s_or_b64 exec, exec, s[6:7]
.LBB621_189:                            ;   in Loop: Header=BB621_15 Depth=1
	s_or_b64 exec, exec, s[4:5]
	v_lshrrev_b16_e32 v28, 8, v26
	v_cmp_ne_u16_e32 vcc, 0, v28
	v_mov_b32_e32 v30, 0
	v_mov_b32_e32 v38, 0
	s_and_saveexec_b64 s[4:5], vcc
	s_cbranch_execz .LBB621_195
; %bb.190:                              ;   in Loop: Header=BB621_15 Depth=1
	v_cmp_ne_u16_e32 vcc, s13, v28
	v_bfrev_b32_e32 v38, 1
	s_and_saveexec_b64 s[6:7], vcc
	s_cbranch_execz .LBB621_194
; %bb.191:                              ;   in Loop: Header=BB621_15 Depth=1
	v_and_b32_e32 v39, 0x7f, v28
	v_cmp_ne_u32_e32 vcc, s14, v39
	v_mov_b32_e32 v38, 0x7f800001
	s_and_saveexec_b64 s[10:11], vcc
	s_cbranch_execz .LBB621_193
; %bb.192:                              ;   in Loop: Header=BB621_15 Depth=1
	v_and_b32_e32 v38, 7, v28
	v_ffbh_u32_e32 v40, v38
	v_min_u32_e32 v43, 32, v40
	v_subrev_u32_e32 v40, 28, v43
	v_lshlrev_b64 v[40:41], v40, v[28:29]
	v_lshrrev_b32_e32 v42, 3, v39
	v_sub_u32_e32 v28, 29, v43
	v_and_b32_e32 v40, 7, v40
	v_cmp_gt_u32_e32 vcc, 8, v39
	v_cndmask_b32_e32 v28, v42, v28, vcc
	v_cndmask_b32_e32 v38, v38, v40, vcc
	v_lshlrev_b32_e32 v39, 16, v26
	v_lshlrev_b32_e32 v38, 20, v38
	v_and_b32_e32 v39, 0x80000000, v39
	v_lshl_add_u32 v28, v28, 23, v35
	v_or3_b32 v38, v39, v28, v38
.LBB621_193:                            ;   in Loop: Header=BB621_15 Depth=1
	s_or_b64 exec, exec, s[10:11]
.LBB621_194:                            ;   in Loop: Header=BB621_15 Depth=1
	s_or_b64 exec, exec, s[6:7]
.LBB621_195:                            ;   in Loop: Header=BB621_15 Depth=1
	s_or_b64 exec, exec, s[4:5]
	v_lshrrev_b32_e32 v28, 16, v26
	v_cmp_ne_u16_sdwa s[6:7], v28, v31 src0_sel:BYTE_0 src1_sel:DWORD
	s_and_saveexec_b64 s[4:5], s[6:7]
	s_cbranch_execz .LBB621_201
; %bb.196:                              ;   in Loop: Header=BB621_15 Depth=1
	v_cmp_ne_u16_sdwa s[10:11], v28, s13 src0_sel:BYTE_0 src1_sel:DWORD
	v_bfrev_b32_e32 v30, 1
	s_and_saveexec_b64 s[6:7], s[10:11]
	s_cbranch_execz .LBB621_200
; %bb.197:                              ;   in Loop: Header=BB621_15 Depth=1
	v_bfe_u32 v39, v26, 16, 7
	v_cmp_ne_u32_e32 vcc, s14, v39
	v_mov_b32_e32 v30, 0x7f800001
	s_and_saveexec_b64 s[10:11], vcc
	s_cbranch_execz .LBB621_199
; %bb.198:                              ;   in Loop: Header=BB621_15 Depth=1
	v_and_b32_e32 v30, 7, v28
	v_ffbh_u32_e32 v40, v30
	v_min_u32_e32 v43, 32, v40
	v_subrev_u32_e32 v40, 28, v43
	v_lshlrev_b64 v[40:41], v40, v[28:29]
	v_lshrrev_b32_e32 v42, 3, v39
	v_sub_u32_e32 v41, 29, v43
	v_and_b32_e32 v40, 7, v40
	v_cmp_gt_u32_e32 vcc, 8, v39
	v_cndmask_b32_e32 v39, v42, v41, vcc
	v_cndmask_b32_e32 v30, v30, v40, vcc
	v_lshlrev_b32_e32 v28, 24, v28
	v_lshlrev_b32_e32 v30, 20, v30
	v_and_b32_e32 v28, 0x80000000, v28
	v_lshl_add_u32 v39, v39, 23, v35
	v_or3_b32 v30, v28, v39, v30
.LBB621_199:                            ;   in Loop: Header=BB621_15 Depth=1
	s_or_b64 exec, exec, s[10:11]
.LBB621_200:                            ;   in Loop: Header=BB621_15 Depth=1
	s_or_b64 exec, exec, s[6:7]
.LBB621_201:                            ;   in Loop: Header=BB621_15 Depth=1
	s_or_b64 exec, exec, s[4:5]
	v_cmp_lt_u32_e32 vcc, s15, v26
	v_mov_b32_e32 v39, 0
	s_and_saveexec_b64 s[4:5], vcc
	s_cbranch_execz .LBB621_14
; %bb.202:                              ;   in Loop: Header=BB621_15 Depth=1
	v_lshrrev_b32_e32 v28, 24, v26
	v_cmp_ne_u32_e32 vcc, s13, v28
	v_bfrev_b32_e32 v39, 1
	s_and_saveexec_b64 s[6:7], vcc
	s_cbranch_execz .LBB621_13
; %bb.203:                              ;   in Loop: Header=BB621_15 Depth=1
	v_bfe_u32 v26, v26, 24, 7
	v_cmp_ne_u32_e32 vcc, s14, v26
	v_mov_b32_e32 v39, 0x7f800001
	s_and_saveexec_b64 s[10:11], vcc
	s_cbranch_execz .LBB621_12
; %bb.204:                              ;   in Loop: Header=BB621_15 Depth=1
	v_and_b32_e32 v39, 7, v28
	v_ffbh_u32_e32 v40, v39
	v_min_u32_e32 v43, 32, v40
	v_subrev_u32_e32 v40, 28, v43
	v_lshlrev_b64 v[40:41], v40, v[28:29]
	v_lshrrev_b32_e32 v42, 3, v26
	v_sub_u32_e32 v41, 29, v43
	v_and_b32_e32 v40, 7, v40
	v_cmp_gt_u32_e32 vcc, 8, v26
	v_cndmask_b32_e32 v26, v42, v41, vcc
	v_cndmask_b32_e32 v39, v39, v40, vcc
	v_lshlrev_b32_e32 v28, 24, v28
	v_lshlrev_b32_e32 v39, 20, v39
	v_and_b32_e32 v28, 0x80000000, v28
	v_lshl_add_u32 v26, v26, 23, v35
	v_or3_b32 v39, v28, v26, v39
	s_branch .LBB621_12
.LBB621_205:
	buffer_load_dword v17, off, s[0:3], 0 offset:256
	buffer_load_dword v16, off, s[0:3], 0 offset:260
	buffer_load_dword v15, off, s[0:3], 0 offset:264
	buffer_load_dword v14, off, s[0:3], 0 offset:268
	buffer_load_dword v13, off, s[0:3], 0 offset:272
	buffer_load_dword v12, off, s[0:3], 0 offset:276
	buffer_load_dword v11, off, s[0:3], 0 offset:280
	buffer_load_dword v10, off, s[0:3], 0 offset:284
	buffer_load_dword v9, off, s[0:3], 0 offset:288
	buffer_load_dword v8, off, s[0:3], 0 offset:292
	buffer_load_dword v7, off, s[0:3], 0 offset:296
	buffer_load_dword v6, off, s[0:3], 0 offset:300
	buffer_load_dword v5, off, s[0:3], 0 offset:304
	buffer_load_dword v4, off, s[0:3], 0 offset:308
	buffer_load_dword v3, off, s[0:3], 0 offset:312
	buffer_load_dword v2, off, s[0:3], 0 offset:316
	v_and_b32_e32 v18, 0xc0, v0
	v_add_u32_e32 v18, s22, v18
	v_lshl_or_b32 v18, v1, 2, v18
	v_or_b32_e32 v20, 1, v18
	v_subrev_u32_e32 v24, s33, v20
	v_add_u32_e32 v26, 1, v24
	v_cvt_f32_i32_e32 v25, v24
	v_add_u32_e32 v28, 2, v24
	v_add_u32_e32 v29, 3, v24
	;; [unrolled: 1-line block ×14, first 2 shown]
	v_cvt_f32_i32_e32 v26, v26
	v_cvt_f32_i32_e32 v28, v28
	;; [unrolled: 1-line block ×4, first 2 shown]
	v_mov_b32_e32 v19, 0xff7fffff
	v_or_b32_e32 v21, 2, v18
	v_or_b32_e32 v22, 3, v18
	v_cvt_f32_i32_e32 v30, v30
	v_cvt_f32_i32_e32 v31, v31
	v_cmp_gt_i32_e64 s[28:29], s33, v18
	v_cmp_gt_i32_e64 s[30:31], s33, v20
	s_mov_b32 s52, 0xff7fffff
	v_cmp_gt_i32_e64 s[34:35], s33, v21
	v_cmp_gt_i32_e64 s[36:37], s33, v22
	v_or_b32_e32 v23, 16, v18
	v_cvt_f32_i32_e32 v32, v32
	v_cvt_f32_i32_e32 v33, v33
	v_cmp_gt_i32_e64 s[24:25], s33, v23
	v_cvt_f32_i32_e32 v34, v34
	v_cvt_f32_i32_e32 v35, v35
	;; [unrolled: 1-line block ×7, first 2 shown]
	s_waitcnt vmcnt(15)
	v_fmac_f32_e32 v17, v65, v25
	s_waitcnt vmcnt(14)
	v_fmac_f32_e32 v16, v65, v26
	;; [unrolled: 2-line block ×4, first 2 shown]
	v_cndmask_b32_e64 v20, v19, v16, s[30:31]
	v_cndmask_b32_e64 v21, v19, v15, s[34:35]
	;; [unrolled: 1-line block ×3, first 2 shown]
	s_waitcnt vmcnt(11)
	v_fmac_f32_e32 v13, v65, v30
	s_waitcnt vmcnt(10)
	v_fmac_f32_e32 v12, v65, v31
	;; [unrolled: 2-line block ×9, first 2 shown]
	v_cndmask_b32_e64 v24, v19, v17, s[28:29]
	v_max3_f32 v20, v24, s52, v20
	v_max3_f32 v20, v20, v21, v22
	v_or_b32_e32 v22, 17, v18
	v_cmp_gt_i32_e64 s[38:39], s33, v22
	v_cndmask_b32_e64 v21, v19, v13, s[24:25]
	v_cndmask_b32_e64 v22, v19, v12, s[38:39]
	v_max3_f32 v20, v20, v21, v22
	v_or_b32_e32 v21, 18, v18
	v_or_b32_e32 v22, 19, v18
	v_cmp_gt_i32_e64 s[20:21], s33, v21
	v_cmp_gt_i32_e64 s[22:23], s33, v22
	v_cndmask_b32_e64 v21, v19, v11, s[20:21]
	v_cndmask_b32_e64 v22, v19, v10, s[22:23]
	v_max3_f32 v20, v20, v21, v22
	v_or_b32_e32 v21, 32, v18
	v_or_b32_e32 v22, 33, v18
	v_cmp_gt_i32_e64 s[16:17], s33, v21
	v_cmp_gt_i32_e64 s[18:19], s33, v22
	v_cndmask_b32_e64 v21, v19, v9, s[16:17]
	v_cndmask_b32_e64 v22, v19, v8, s[18:19]
	v_max3_f32 v20, v20, v21, v22
	v_or_b32_e32 v21, 34, v18
	v_or_b32_e32 v22, 35, v18
	v_cmp_gt_i32_e64 s[12:13], s33, v21
	v_cmp_gt_i32_e64 s[14:15], s33, v22
	v_cndmask_b32_e64 v21, v19, v7, s[12:13]
	v_cndmask_b32_e64 v22, v19, v6, s[14:15]
	v_max3_f32 v20, v20, v21, v22
	v_or_b32_e32 v21, 48, v18
	v_or_b32_e32 v22, 49, v18
	v_fmac_f32_e32 v5, v65, v38
	v_fmac_f32_e32 v4, v65, v39
	v_cmp_gt_i32_e64 s[6:7], s33, v21
	v_cmp_gt_i32_e64 s[10:11], s33, v22
	v_cndmask_b32_e64 v21, v19, v5, s[6:7]
	v_cndmask_b32_e64 v22, v19, v4, s[10:11]
	v_max3_f32 v20, v20, v21, v22
	v_or_b32_e32 v21, 50, v18
	v_or_b32_e32 v18, 51, v18
	v_fmac_f32_e32 v3, v65, v40
	v_cmp_gt_i32_e32 vcc, s33, v21
	v_cmp_gt_i32_e64 s[4:5], s33, v18
	v_cndmask_b32_e32 v21, v19, v3, vcc
	v_cndmask_b32_e64 v18, v19, v2, s[4:5]
	v_mbcnt_lo_u32_b32 v19, -1, 0
	v_mbcnt_hi_u32_b32 v19, -1, v19
	v_max3_f32 v18, v20, v21, v18
	v_and_b32_e32 v20, 64, v19
	v_add_u32_e32 v20, 64, v20
	v_xor_b32_e32 v21, 32, v19
	v_cmp_lt_i32_e64 s[40:41], v21, v20
	v_cndmask_b32_e64 v21, v19, v21, s[40:41]
	v_lshlrev_b32_e32 v21, 2, v21
	ds_bpermute_b32 v22, v21, v18
	s_waitcnt lgkmcnt(0)
	v_max_f32_e32 v22, v22, v22
	v_max_f32_e32 v18, v18, v22
	v_xor_b32_e32 v22, 16, v19
	v_cmp_lt_i32_e64 s[40:41], v22, v20
	v_cndmask_b32_e64 v19, v19, v22, s[40:41]
	v_lshlrev_b32_e32 v19, 2, v19
	ds_bpermute_b32 v20, v19, v18
	s_waitcnt lgkmcnt(0)
	v_max_f32_e32 v20, v20, v20
	v_max_f32_e32 v18, v18, v20
	v_sub_f32_e32 v17, v17, v18
	v_mul_f32_e32 v17, 0x3fb8aa3b, v17
	v_sub_f32_e32 v16, v16, v18
	v_exp_f32_e32 v17, v17
	v_mul_f32_e32 v16, 0x3fb8aa3b, v16
	v_sub_f32_e32 v15, v15, v18
	v_exp_f32_e32 v16, v16
	;; [unrolled: 3-line block ×4, first 2 shown]
	v_mul_f32_e32 v13, 0x3fb8aa3b, v13
	v_sub_f32_e32 v12, v12, v18
	v_cndmask_b32_e64 v17, 0, v17, s[28:29]
	v_exp_f32_e32 v13, v13
	v_mul_f32_e32 v12, 0x3fb8aa3b, v12
	v_sub_f32_e32 v11, v11, v18
	v_add_f32_e32 v20, 0, v17
	v_cndmask_b32_e64 v16, 0, v16, s[30:31]
	v_exp_f32_e32 v12, v12
	v_mul_f32_e32 v11, 0x3fb8aa3b, v11
	v_sub_f32_e32 v10, v10, v18
	v_add_f32_e32 v20, v20, v16
	v_cndmask_b32_e64 v15, 0, v15, s[34:35]
	v_exp_f32_e32 v11, v11
	v_mul_f32_e32 v10, 0x3fb8aa3b, v10
	v_sub_f32_e32 v9, v9, v18
	v_add_f32_e32 v20, v20, v15
	v_cndmask_b32_e64 v14, 0, v14, s[36:37]
	v_exp_f32_e32 v10, v10
	v_mul_f32_e32 v9, 0x3fb8aa3b, v9
	v_sub_f32_e32 v8, v8, v18
	v_add_f32_e32 v20, v20, v14
	v_cndmask_b32_e64 v13, 0, v13, s[24:25]
	v_exp_f32_e32 v9, v9
	v_mul_f32_e32 v8, 0x3fb8aa3b, v8
	v_sub_f32_e32 v7, v7, v18
	buffer_store_dword v17, off, s[0:3], 0 offset:256
	buffer_store_dword v16, off, s[0:3], 0 offset:260
	buffer_store_dword v15, off, s[0:3], 0 offset:264
	buffer_store_dword v14, off, s[0:3], 0 offset:268
	v_add_f32_e32 v14, v20, v13
	v_cndmask_b32_e64 v12, 0, v12, s[38:39]
	v_exp_f32_e32 v8, v8
	v_mul_f32_e32 v7, 0x3fb8aa3b, v7
	v_sub_f32_e32 v6, v6, v18
	v_add_f32_e32 v14, v14, v12
	v_cndmask_b32_e64 v11, 0, v11, s[20:21]
	v_exp_f32_e32 v7, v7
	v_mul_f32_e32 v6, 0x3fb8aa3b, v6
	v_sub_f32_e32 v5, v5, v18
	;; [unrolled: 5-line block ×4, first 2 shown]
	buffer_store_dword v13, off, s[0:3], 0 offset:272
	buffer_store_dword v12, off, s[0:3], 0 offset:276
	;; [unrolled: 1-line block ×4, first 2 shown]
	v_add_f32_e32 v10, v14, v9
	v_cndmask_b32_e64 v8, 0, v8, s[18:19]
	v_exp_f32_e32 v4, v4
	v_mul_f32_e32 v3, 0x3fb8aa3b, v3
	v_sub_f32_e32 v2, v2, v18
	v_add_f32_e32 v10, v10, v8
	v_cndmask_b32_e64 v7, 0, v7, s[12:13]
	v_exp_f32_e32 v3, v3
	v_mul_f32_e32 v2, 0x3fb8aa3b, v2
	v_add_f32_e32 v10, v10, v7
	v_cndmask_b32_e64 v6, 0, v6, s[14:15]
	v_exp_f32_e32 v2, v2
	v_add_f32_e32 v10, v10, v6
	v_cndmask_b32_e64 v5, 0, v5, s[6:7]
	buffer_store_dword v9, off, s[0:3], 0 offset:288
	buffer_store_dword v8, off, s[0:3], 0 offset:292
	;; [unrolled: 1-line block ×4, first 2 shown]
	v_add_f32_e32 v6, v10, v5
	v_cndmask_b32_e64 v4, 0, v4, s[10:11]
	v_add_f32_e32 v6, v6, v4
	v_cndmask_b32_e32 v3, 0, v3, vcc
	v_add_f32_e32 v6, v6, v3
	v_cndmask_b32_e64 v2, 0, v2, s[4:5]
	v_add_f32_e32 v6, v6, v2
	ds_bpermute_b32 v7, v21, v6
	buffer_store_dword v5, off, s[0:3], 0 offset:304
	buffer_store_dword v4, off, s[0:3], 0 offset:308
	;; [unrolled: 1-line block ×4, first 2 shown]
	v_cmp_gt_u32_e32 vcc, 16, v51
	s_waitcnt lgkmcnt(0)
	s_barrier
	v_add_f32_e32 v2, v6, v7
	ds_bpermute_b32 v3, v19, v2
	s_waitcnt lgkmcnt(0)
	s_and_saveexec_b64 s[4:5], vcc
	s_cbranch_execz .LBB621_207
; %bb.206:
	v_add_f32_e32 v2, v2, v3
	v_lshlrev_b32_e32 v3, 2, v64
	ds_write2st64_b32 v3, v18, v2 offset1:1
.LBB621_207:
	s_or_b64 exec, exec, s[4:5]
	v_lshlrev_b32_e32 v2, 2, v53
	s_waitcnt lgkmcnt(0)
	s_barrier
	ds_read2_b32 v[12:13], v2 offset1:16
	ds_read2_b32 v[14:15], v2 offset0:32 offset1:48
	ds_read2_b32 v[6:7], v2 offset0:64 offset1:80
	;; [unrolled: 1-line block ×3, first 2 shown]
	s_waitcnt lgkmcnt(0)
	s_barrier
	buffer_load_dword v20, off, s[0:3], 0 offset:256
	buffer_load_dword v21, off, s[0:3], 0 offset:260
	;; [unrolled: 1-line block ×16, first 2 shown]
	v_lshlrev_b32_e32 v18, 3, v1
	v_lshlrev_b32_e32 v19, 11, v62
	v_or3_b32 v39, v19, v27, v18
	v_max3_f32 v18, v12, s52, v13
	v_max3_f32 v18, v18, v14, v15
	v_sub_f32_e32 v12, v12, v18
	v_sub_f32_e32 v13, v13, v18
	v_mul_f32_e32 v12, 0x3fb8aa3b, v12
	v_sub_f32_e32 v14, v14, v18
	v_mul_f32_e32 v13, 0x3fb8aa3b, v13
	v_exp_f32_e32 v12, v12
	v_sub_f32_e32 v15, v15, v18
	v_mul_f32_e32 v14, 0x3fb8aa3b, v14
	v_exp_f32_e32 v13, v13
	v_mul_f32_e32 v15, 0x3fb8aa3b, v15
	v_exp_f32_e32 v14, v14
	v_exp_f32_e32 v15, v15
	v_fma_f32 v6, v12, v6, 0
	v_fmac_f32_e32 v6, v13, v7
	v_fmac_f32_e32 v6, v14, v10
	;; [unrolled: 1-line block ×3, first 2 shown]
	v_cmp_eq_u32_e32 vcc, 1, v62
	v_add_f32_e32 v10, 0x358637bd, v6
	v_cndmask_b32_e32 v12, v12, v13, vcc
	v_cmp_eq_u32_e32 vcc, 2, v62
	v_div_scale_f32 v11, s[4:5], v10, v10, 1.0
	v_cndmask_b32_e32 v7, v12, v14, vcc
	v_rcp_f32_e32 v12, v11
	v_cmp_eq_u32_e32 vcc, 3, v62
	v_cndmask_b32_e32 v7, v7, v15, vcc
	v_div_scale_f32 v13, vcc, 1.0, v10, 1.0
	v_fma_f32 v14, -v11, v12, 1.0
	v_fmac_f32_e32 v12, v14, v12
	v_mul_f32_e32 v14, v13, v12
	v_fma_f32 v15, -v11, v14, v13
	v_fmac_f32_e32 v14, v15, v12
	v_fma_f32 v11, -v11, v14, v13
	v_div_fmas_f32 v11, v11, v12, v14
	v_div_fixup_f32 v10, v11, v10, 1.0
	v_mul_f32_e32 v10, v7, v10
	s_lshl_b32 s18, s51, 4
	v_cmp_gt_u32_e32 vcc, 16, v0
	s_waitcnt vmcnt(14)
	v_pk_mul_f32 v[14:15], v[10:11], v[20:21] op_sel_hi:[0,1]
	v_cvt_f16_f32_e32 v7, v14
	s_waitcnt vmcnt(12)
	v_pk_mul_f32 v[12:13], v[10:11], v[22:23] op_sel_hi:[0,1]
	buffer_store_dword v14, off, s[0:3], 0 offset:256
	buffer_store_dword v15, off, s[0:3], 0 offset:260
	;; [unrolled: 1-line block ×4, first 2 shown]
	s_waitcnt vmcnt(14)
	v_pk_mul_f32 v[20:21], v[10:11], v[24:25] op_sel_hi:[0,1]
	v_cvt_f16_f32_e32 v14, v12
	s_waitcnt vmcnt(12)
	v_pk_mul_f32 v[22:23], v[10:11], v[28:29] op_sel_hi:[0,1]
	v_cvt_f16_f32_e32 v11, v15
	v_cvt_f16_f32_e32 v13, v13
	;; [unrolled: 1-line block ×4, first 2 shown]
	v_pack_b32_f16 v12, v7, v11
	v_cvt_f16_f32_e32 v11, v23
	v_cvt_f16_f32_e32 v7, v22
	v_pack_b32_f16 v13, v14, v13
	v_pack_b32_f16 v15, v15, v19
	s_waitcnt vmcnt(10)
	v_pk_mul_f32 v[4:5], v[10:11], v[4:5] op_sel_hi:[0,1]
	v_pack_b32_f16 v14, v7, v11
	s_waitcnt vmcnt(8)
	v_pk_mul_f32 v[2:3], v[10:11], v[2:3] op_sel_hi:[0,1]
	v_cvt_f16_f32_e32 v11, v5
	buffer_store_dword v22, off, s[0:3], 0 offset:272
	buffer_store_dword v23, off, s[0:3], 0 offset:276
	;; [unrolled: 1-line block ×4, first 2 shown]
	ds_write2st64_b64 v39, v[12:13], v[14:15] offset1:1
	buffer_store_dword v2, off, s[0:3], 0 offset:288
	buffer_store_dword v3, off, s[0:3], 0 offset:292
	v_cvt_f16_f32_e32 v2, v2
	v_cvt_f16_f32_e32 v3, v3
	;; [unrolled: 1-line block ×3, first 2 shown]
	buffer_store_dword v4, off, s[0:3], 0 offset:296
	buffer_store_dword v5, off, s[0:3], 0 offset:300
	s_waitcnt vmcnt(12)
	v_pk_mul_f32 v[4:5], v[10:11], v[16:17] op_sel_hi:[0,1]
	v_pk_mul_f32 v[8:9], v[10:11], v[8:9] op_sel_hi:[0,1]
	v_pack_b32_f16 v2, v2, v3
	v_pack_b32_f16 v3, v7, v11
	buffer_store_dword v8, off, s[0:3], 0 offset:304
	buffer_store_dword v9, off, s[0:3], 0 offset:308
	v_cvt_f16_f32_e32 v7, v8
	v_cvt_f16_f32_e32 v8, v9
	;; [unrolled: 1-line block ×4, first 2 shown]
	buffer_store_dword v4, off, s[0:3], 0 offset:312
	buffer_store_dword v5, off, s[0:3], 0 offset:316
	v_pack_b32_f16 v4, v7, v8
	v_pack_b32_f16 v5, v9, v10
	ds_write2st64_b64 v39, v[2:3], v[4:5] offset0:2 offset1:3
	s_and_saveexec_b64 s[4:5], vcc
	s_cbranch_execz .LBB621_209
; %bb.208:
	v_mov_b32_e32 v51, 0
	v_mov_b32_e32 v2, s18
	s_mul_i32 s9, s9, s18
	v_mad_u64_u32 v[2:3], s[6:7], s8, v2, v[50:51]
	v_mov_b32_e32 v50, s26
	v_add_u32_e32 v5, s9, v3
	v_mad_u64_u32 v[2:3], s[6:7], v2, s50, v[50:51]
	v_mov_b32_e32 v4, v3
	v_mad_u64_u32 v[4:5], s[6:7], v5, s50, v[4:5]
	v_mov_b32_e32 v3, v4
	v_lshlrev_b64 v[2:3], 2, v[2:3]
	v_mov_b32_e32 v5, s47
	v_add_co_u32_e32 v4, vcc, s46, v2
	v_addc_co_u32_e32 v5, vcc, v5, v3, vcc
	global_store_dword v[4:5], v18, off
	v_mov_b32_e32 v4, s45
	v_add_co_u32_e32 v2, vcc, s44, v2
	v_addc_co_u32_e32 v3, vcc, v4, v3, vcc
	global_store_dword v[2:3], v6, off
.LBB621_209:
	s_or_b64 exec, exec, s[4:5]
	s_waitcnt lgkmcnt(0)
	s_barrier
	s_load_dword s4, s[42:43], 0x0
	ds_read_b128 v[2:5], v63
	ds_read_b128 v[6:9], v63 offset:16
	ds_read_b128 v[10:13], v63 offset:2048
	;; [unrolled: 1-line block ×7, first 2 shown]
	v_mov_b32_e32 v35, 0x80
	v_mov_b32_e32 v41, 0x140
	s_mov_b64 s[10:11], -1
	s_waitcnt lgkmcnt(0)
	s_mov_b32 s5, s4
	s_mov_b32 s6, s4
	;; [unrolled: 1-line block ×3, first 2 shown]
	s_movk_i32 s9, 0x80
	s_movk_i32 s19, 0x7f
	s_mov_b32 s20, 0xffffff
	v_mov_b32_e32 v43, 0
	v_bfrev_b32_e32 v45, 60
	s_branch .LBB621_213
.LBB621_210:                            ;   in Loop: Header=BB621_213 Depth=1
	s_or_b64 exec, exec, s[16:17]
.LBB621_211:                            ;   in Loop: Header=BB621_213 Depth=1
	s_or_b64 exec, exec, s[14:15]
.LBB621_212:                            ;   in Loop: Header=BB621_213 Depth=1
	s_or_b64 exec, exec, s[12:13]
	v_cvt_pkrtz_f16_f32 v46, v46, v47
	v_cvt_pkrtz_f16_f32 v47, v44, v49
	s_xor_b64 s[12:13], s[10:11], -1
	s_mov_b64 s[10:11], 0
	v_mov_b32_e32 v61, v56
	v_mfma_f32_16x16x16f16 v[62:65], v[46:47], v[30:31], v[34:37]
	v_mov_b32_e32 v60, v57
	v_mov_b32_e32 v59, v58
	s_and_b64 vcc, exec, s[12:13]
	s_nop 3
	v_cvt_pkrtz_f16_f32 v36, v48, v50
	v_cvt_pkrtz_f16_f32 v37, v42, v51
	v_mov_b32_e32 v35, v55
	s_nop 0
	v_mfma_f32_16x16x16f16 v[46:49], v[36:37], v[32:33], v[62:65]
	s_nop 7
	s_nop 2
	v_pk_mul_f32 v[46:47], v[46:47], s[4:5]
	v_pk_mul_f32 v[36:37], v[48:49], s[6:7]
	v_cvt_f16_f32_e32 v34, v46
	v_cvt_f16_f32_e32 v38, v47
	;; [unrolled: 1-line block ×4, first 2 shown]
	v_pack_b32_f16 v34, v34, v38
	v_pack_b32_f16 v36, v36, v37
	buffer_store_dword v34, v41, s[0:3], 0 offen
	buffer_store_dword v36, v41, s[0:3], 0 offen offset:4
	v_mov_b32_e32 v41, 0x148
	s_cbranch_vccnz .LBB621_595
.LBB621_213:                            ; =>This Inner Loop Header: Depth=1
	buffer_load_dword v36, v35, s[0:3], 0 offen
	buffer_load_dword v34, v35, s[0:3], 0 offen offset:4
	buffer_load_dword v40, v35, s[0:3], 0 offen offset:8
	;; [unrolled: 1-line block ×3, first 2 shown]
	v_mov_b32_e32 v35, 0
	s_waitcnt vmcnt(3)
	v_cmp_ne_u16_sdwa s[14:15], v36, v43 src0_sel:BYTE_0 src1_sel:DWORD
	s_and_saveexec_b64 s[12:13], s[14:15]
	s_cbranch_execz .LBB621_219
; %bb.214:                              ;   in Loop: Header=BB621_213 Depth=1
	v_cmp_ne_u16_sdwa s[16:17], v36, s9 src0_sel:BYTE_0 src1_sel:DWORD
	v_bfrev_b32_e32 v35, 1
	s_and_saveexec_b64 s[14:15], s[16:17]
	s_cbranch_execz .LBB621_218
; %bb.215:                              ;   in Loop: Header=BB621_213 Depth=1
	v_and_b32_e32 v37, 0x7f, v36
	v_cmp_ne_u32_e32 vcc, s19, v37
	v_mov_b32_e32 v35, 0x7f800001
	s_and_saveexec_b64 s[16:17], vcc
	s_cbranch_execz .LBB621_217
; %bb.216:                              ;   in Loop: Header=BB621_213 Depth=1
	v_and_b32_e32 v35, 7, v36
	v_ffbh_u32_e32 v44, v35
	v_min_u32_e32 v44, 32, v44
	v_subrev_u32_e32 v46, 28, v44
	v_lshlrev_b64 v[46:47], v46, v[36:37]
	v_lshrrev_b32_e32 v42, 3, v37
	v_sub_u32_e32 v44, 29, v44
	v_and_b32_e32 v46, 7, v46
	v_cmp_gt_u32_e32 vcc, 8, v37
	v_cndmask_b32_e32 v37, v42, v44, vcc
	v_cndmask_b32_e32 v35, v35, v46, vcc
	v_lshlrev_b32_e32 v42, 24, v36
	v_lshlrev_b32_e32 v35, 20, v35
	v_and_b32_e32 v42, 0x80000000, v42
	v_lshl_add_u32 v37, v37, 23, v45
	v_or3_b32 v35, v42, v37, v35
.LBB621_217:                            ;   in Loop: Header=BB621_213 Depth=1
	s_or_b64 exec, exec, s[16:17]
.LBB621_218:                            ;   in Loop: Header=BB621_213 Depth=1
	s_or_b64 exec, exec, s[14:15]
.LBB621_219:                            ;   in Loop: Header=BB621_213 Depth=1
	s_or_b64 exec, exec, s[12:13]
	v_lshrrev_b16_e32 v42, 8, v36
	v_cmp_ne_u16_e32 vcc, 0, v42
	v_mov_b32_e32 v37, 0
	s_and_saveexec_b64 s[12:13], vcc
	s_cbranch_execz .LBB621_225
; %bb.220:                              ;   in Loop: Header=BB621_213 Depth=1
	v_cmp_ne_u16_e32 vcc, s9, v42
	v_bfrev_b32_e32 v37, 1
	s_and_saveexec_b64 s[14:15], vcc
	s_cbranch_execz .LBB621_224
; %bb.221:                              ;   in Loop: Header=BB621_213 Depth=1
	v_and_b32_e32 v44, 0x7f, v42
	v_cmp_ne_u32_e32 vcc, s19, v44
	v_mov_b32_e32 v37, 0x7f800001
	s_and_saveexec_b64 s[16:17], vcc
	s_cbranch_execz .LBB621_223
; %bb.222:                              ;   in Loop: Header=BB621_213 Depth=1
	v_and_b32_e32 v37, 7, v42
	v_ffbh_u32_e32 v46, v37
	v_min_u32_e32 v49, 32, v46
	v_subrev_u32_e32 v46, 28, v49
	v_lshlrev_b64 v[46:47], v46, v[42:43]
	v_lshrrev_b32_e32 v48, 3, v44
	v_sub_u32_e32 v42, 29, v49
	v_and_b32_e32 v46, 7, v46
	v_cmp_gt_u32_e32 vcc, 8, v44
	v_cndmask_b32_e32 v42, v48, v42, vcc
	v_cndmask_b32_e32 v37, v37, v46, vcc
	v_lshlrev_b32_e32 v44, 16, v36
	v_lshlrev_b32_e32 v37, 20, v37
	v_and_b32_e32 v44, 0x80000000, v44
	v_lshl_add_u32 v42, v42, 23, v45
	v_or3_b32 v37, v44, v42, v37
.LBB621_223:                            ;   in Loop: Header=BB621_213 Depth=1
	s_or_b64 exec, exec, s[16:17]
.LBB621_224:                            ;   in Loop: Header=BB621_213 Depth=1
	s_or_b64 exec, exec, s[14:15]
.LBB621_225:                            ;   in Loop: Header=BB621_213 Depth=1
	s_or_b64 exec, exec, s[12:13]
	v_lshrrev_b32_e32 v42, 16, v36
	v_cmp_ne_u16_sdwa s[14:15], v42, v43 src0_sel:BYTE_0 src1_sel:DWORD
	v_mov_b32_e32 v46, 0
	v_mov_b32_e32 v44, 0
	s_and_saveexec_b64 s[12:13], s[14:15]
	s_cbranch_execz .LBB621_231
; %bb.226:                              ;   in Loop: Header=BB621_213 Depth=1
	v_cmp_ne_u16_sdwa s[16:17], v42, s9 src0_sel:BYTE_0 src1_sel:DWORD
	v_bfrev_b32_e32 v44, 1
	s_and_saveexec_b64 s[14:15], s[16:17]
	s_cbranch_execz .LBB621_230
; %bb.227:                              ;   in Loop: Header=BB621_213 Depth=1
	v_bfe_u32 v47, v36, 16, 7
	v_cmp_ne_u32_e32 vcc, s19, v47
	v_mov_b32_e32 v44, 0x7f800001
	s_and_saveexec_b64 s[16:17], vcc
	s_cbranch_execz .LBB621_229
; %bb.228:                              ;   in Loop: Header=BB621_213 Depth=1
	v_and_b32_e32 v44, 7, v42
	v_ffbh_u32_e32 v48, v44
	v_min_u32_e32 v51, 32, v48
	v_subrev_u32_e32 v48, 28, v51
	v_lshlrev_b64 v[48:49], v48, v[42:43]
	v_lshrrev_b32_e32 v50, 3, v47
	v_sub_u32_e32 v49, 29, v51
	v_and_b32_e32 v48, 7, v48
	v_cmp_gt_u32_e32 vcc, 8, v47
	v_cndmask_b32_e32 v47, v50, v49, vcc
	v_cndmask_b32_e32 v44, v44, v48, vcc
	v_lshlrev_b32_e32 v42, 24, v42
	v_lshlrev_b32_e32 v44, 20, v44
	v_and_b32_e32 v42, 0x80000000, v42
	v_lshl_add_u32 v47, v47, 23, v45
	v_or3_b32 v44, v42, v47, v44
.LBB621_229:                            ;   in Loop: Header=BB621_213 Depth=1
	s_or_b64 exec, exec, s[16:17]
.LBB621_230:                            ;   in Loop: Header=BB621_213 Depth=1
	s_or_b64 exec, exec, s[14:15]
.LBB621_231:                            ;   in Loop: Header=BB621_213 Depth=1
	s_or_b64 exec, exec, s[12:13]
	v_cmp_lt_u32_e32 vcc, s20, v36
	s_and_saveexec_b64 s[12:13], vcc
	s_cbranch_execz .LBB621_237
; %bb.232:                              ;   in Loop: Header=BB621_213 Depth=1
	v_lshrrev_b32_e32 v42, 24, v36
	v_cmp_ne_u32_e32 vcc, s9, v42
	v_bfrev_b32_e32 v46, 1
	s_and_saveexec_b64 s[14:15], vcc
	s_cbranch_execz .LBB621_236
; %bb.233:                              ;   in Loop: Header=BB621_213 Depth=1
	v_bfe_u32 v36, v36, 24, 7
	v_cmp_ne_u32_e32 vcc, s19, v36
	v_mov_b32_e32 v46, 0x7f800001
	s_and_saveexec_b64 s[16:17], vcc
	s_cbranch_execz .LBB621_235
; %bb.234:                              ;   in Loop: Header=BB621_213 Depth=1
	v_and_b32_e32 v48, 7, v42
	v_ffbh_u32_e32 v46, v48
	v_min_u32_e32 v50, 32, v46
	v_subrev_u32_e32 v46, 28, v50
	v_lshlrev_b64 v[46:47], v46, v[42:43]
	v_lshrrev_b32_e32 v49, 3, v36
	v_sub_u32_e32 v47, 29, v50
	v_and_b32_e32 v46, 7, v46
	v_cmp_gt_u32_e32 vcc, 8, v36
	v_cndmask_b32_e32 v36, v49, v47, vcc
	v_cndmask_b32_e32 v46, v48, v46, vcc
	v_lshlrev_b32_e32 v42, 24, v42
	v_lshlrev_b32_e32 v46, 20, v46
	v_and_b32_e32 v42, 0x80000000, v42
	v_lshl_add_u32 v36, v36, 23, v45
	v_or3_b32 v46, v42, v36, v46
.LBB621_235:                            ;   in Loop: Header=BB621_213 Depth=1
	s_or_b64 exec, exec, s[16:17]
.LBB621_236:                            ;   in Loop: Header=BB621_213 Depth=1
	s_or_b64 exec, exec, s[14:15]
.LBB621_237:                            ;   in Loop: Header=BB621_213 Depth=1
	s_or_b64 exec, exec, s[12:13]
	s_waitcnt vmcnt(2)
	v_cmp_ne_u16_sdwa s[14:15], v34, v43 src0_sel:BYTE_0 src1_sel:DWORD
	v_mov_b32_e32 v42, 0
	v_mov_b32_e32 v47, 0
	s_and_saveexec_b64 s[12:13], s[14:15]
	s_cbranch_execz .LBB621_243
; %bb.238:                              ;   in Loop: Header=BB621_213 Depth=1
	v_cmp_ne_u16_sdwa s[16:17], v34, s9 src0_sel:BYTE_0 src1_sel:DWORD
	v_bfrev_b32_e32 v47, 1
	s_and_saveexec_b64 s[14:15], s[16:17]
	s_cbranch_execz .LBB621_242
; %bb.239:                              ;   in Loop: Header=BB621_213 Depth=1
	v_and_b32_e32 v36, 0x7f, v34
	v_cmp_ne_u32_e32 vcc, s19, v36
	v_mov_b32_e32 v47, 0x7f800001
	s_and_saveexec_b64 s[16:17], vcc
	s_cbranch_execz .LBB621_241
; %bb.240:                              ;   in Loop: Header=BB621_213 Depth=1
	v_and_b32_e32 v47, 7, v34
	v_ffbh_u32_e32 v48, v47
	v_min_u32_e32 v51, 32, v48
	v_subrev_u32_e32 v48, 28, v51
	v_lshlrev_b64 v[48:49], v48, v[34:35]
	v_lshrrev_b32_e32 v50, 3, v36
	v_sub_u32_e32 v49, 29, v51
	v_and_b32_e32 v48, 7, v48
	v_cmp_gt_u32_e32 vcc, 8, v36
	v_cndmask_b32_e32 v36, v50, v49, vcc
	v_cndmask_b32_e32 v47, v47, v48, vcc
	v_lshlrev_b32_e32 v48, 24, v34
	v_lshlrev_b32_e32 v47, 20, v47
	v_and_b32_e32 v48, 0x80000000, v48
	v_lshl_add_u32 v36, v36, 23, v45
	v_or3_b32 v47, v48, v36, v47
.LBB621_241:                            ;   in Loop: Header=BB621_213 Depth=1
	s_or_b64 exec, exec, s[16:17]
.LBB621_242:                            ;   in Loop: Header=BB621_213 Depth=1
	s_or_b64 exec, exec, s[14:15]
.LBB621_243:                            ;   in Loop: Header=BB621_213 Depth=1
	s_or_b64 exec, exec, s[12:13]
	v_lshrrev_b16_e32 v36, 8, v34
	v_cmp_ne_u16_e32 vcc, 0, v36
	s_and_saveexec_b64 s[12:13], vcc
	s_cbranch_execz .LBB621_249
; %bb.244:                              ;   in Loop: Header=BB621_213 Depth=1
	v_cmp_ne_u16_e32 vcc, s9, v36
	v_bfrev_b32_e32 v42, 1
	s_and_saveexec_b64 s[14:15], vcc
	s_cbranch_execz .LBB621_248
; %bb.245:                              ;   in Loop: Header=BB621_213 Depth=1
	v_and_b32_e32 v48, 0x7f, v36
	v_cmp_ne_u32_e32 vcc, s19, v48
	v_mov_b32_e32 v42, 0x7f800001
	s_and_saveexec_b64 s[16:17], vcc
	s_cbranch_execz .LBB621_247
; %bb.246:                              ;   in Loop: Header=BB621_213 Depth=1
	v_and_b32_e32 v42, 7, v36
	v_ffbh_u32_e32 v50, v42
	v_min_u32_e32 v62, 32, v50
	v_subrev_u32_e32 v50, 28, v62
	v_lshlrev_b64 v[50:51], v50, v[36:37]
	v_lshrrev_b32_e32 v49, 3, v48
	v_sub_u32_e32 v36, 29, v62
	v_and_b32_e32 v50, 7, v50
	v_cmp_gt_u32_e32 vcc, 8, v48
	v_cndmask_b32_e32 v36, v49, v36, vcc
	v_cndmask_b32_e32 v42, v42, v50, vcc
	v_lshlrev_b32_e32 v48, 16, v34
	v_lshlrev_b32_e32 v42, 20, v42
	v_and_b32_e32 v48, 0x80000000, v48
	v_lshl_add_u32 v36, v36, 23, v45
	v_or3_b32 v42, v48, v36, v42
.LBB621_247:                            ;   in Loop: Header=BB621_213 Depth=1
	s_or_b64 exec, exec, s[16:17]
.LBB621_248:                            ;   in Loop: Header=BB621_213 Depth=1
	s_or_b64 exec, exec, s[14:15]
.LBB621_249:                            ;   in Loop: Header=BB621_213 Depth=1
	s_or_b64 exec, exec, s[12:13]
	v_lshrrev_b32_e32 v36, 16, v34
	v_cmp_ne_u16_sdwa s[14:15], v36, v43 src0_sel:BYTE_0 src1_sel:DWORD
	v_mov_b32_e32 v49, 0
	v_mov_b32_e32 v48, 0
	s_and_saveexec_b64 s[12:13], s[14:15]
	s_cbranch_execz .LBB621_255
; %bb.250:                              ;   in Loop: Header=BB621_213 Depth=1
	v_cmp_ne_u16_sdwa s[16:17], v36, s9 src0_sel:BYTE_0 src1_sel:DWORD
	v_bfrev_b32_e32 v48, 1
	s_and_saveexec_b64 s[14:15], s[16:17]
	s_cbranch_execz .LBB621_254
; %bb.251:                              ;   in Loop: Header=BB621_213 Depth=1
	v_bfe_u32 v50, v34, 16, 7
	v_cmp_ne_u32_e32 vcc, s19, v50
	v_mov_b32_e32 v48, 0x7f800001
	s_and_saveexec_b64 s[16:17], vcc
	s_cbranch_execz .LBB621_253
; %bb.252:                              ;   in Loop: Header=BB621_213 Depth=1
	v_and_b32_e32 v48, 7, v36
	v_ffbh_u32_e32 v62, v48
	v_min_u32_e32 v64, 32, v62
	v_subrev_u32_e32 v62, 28, v64
	v_lshlrev_b64 v[62:63], v62, v[36:37]
	v_lshrrev_b32_e32 v51, 3, v50
	v_sub_u32_e32 v63, 29, v64
	v_and_b32_e32 v62, 7, v62
	v_cmp_gt_u32_e32 vcc, 8, v50
	v_cndmask_b32_e32 v50, v51, v63, vcc
	v_cndmask_b32_e32 v48, v48, v62, vcc
	v_lshlrev_b32_e32 v36, 24, v36
	v_lshlrev_b32_e32 v48, 20, v48
	v_and_b32_e32 v36, 0x80000000, v36
	v_lshl_add_u32 v50, v50, 23, v45
	v_or3_b32 v48, v36, v50, v48
.LBB621_253:                            ;   in Loop: Header=BB621_213 Depth=1
	s_or_b64 exec, exec, s[16:17]
.LBB621_254:                            ;   in Loop: Header=BB621_213 Depth=1
	s_or_b64 exec, exec, s[14:15]
.LBB621_255:                            ;   in Loop: Header=BB621_213 Depth=1
	s_or_b64 exec, exec, s[12:13]
	v_cmp_lt_u32_e32 vcc, s20, v34
	s_and_saveexec_b64 s[12:13], vcc
	s_cbranch_execz .LBB621_261
; %bb.256:                              ;   in Loop: Header=BB621_213 Depth=1
	v_lshrrev_b32_e32 v36, 24, v34
	v_cmp_ne_u32_e32 vcc, s9, v36
	v_bfrev_b32_e32 v49, 1
	s_and_saveexec_b64 s[14:15], vcc
	s_cbranch_execz .LBB621_260
; %bb.257:                              ;   in Loop: Header=BB621_213 Depth=1
	v_bfe_u32 v34, v34, 24, 7
	v_cmp_ne_u32_e32 vcc, s19, v34
	v_mov_b32_e32 v49, 0x7f800001
	s_and_saveexec_b64 s[16:17], vcc
	s_cbranch_execz .LBB621_259
; %bb.258:                              ;   in Loop: Header=BB621_213 Depth=1
	v_and_b32_e32 v49, 7, v36
	v_ffbh_u32_e32 v50, v49
	v_min_u32_e32 v63, 32, v50
	v_subrev_u32_e32 v50, 28, v63
	v_lshlrev_b64 v[50:51], v50, v[36:37]
	v_lshrrev_b32_e32 v62, 3, v34
	v_sub_u32_e32 v51, 29, v63
	v_and_b32_e32 v50, 7, v50
	v_cmp_gt_u32_e32 vcc, 8, v34
	v_cndmask_b32_e32 v34, v62, v51, vcc
	v_cndmask_b32_e32 v49, v49, v50, vcc
	v_lshlrev_b32_e32 v36, 24, v36
	v_lshlrev_b32_e32 v49, 20, v49
	v_and_b32_e32 v36, 0x80000000, v36
	v_lshl_add_u32 v34, v34, 23, v45
	v_or3_b32 v49, v36, v34, v49
.LBB621_259:                            ;   in Loop: Header=BB621_213 Depth=1
	s_or_b64 exec, exec, s[16:17]
.LBB621_260:                            ;   in Loop: Header=BB621_213 Depth=1
	s_or_b64 exec, exec, s[14:15]
.LBB621_261:                            ;   in Loop: Header=BB621_213 Depth=1
	s_or_b64 exec, exec, s[12:13]
	v_cvt_pkrtz_f16_f32 v34, v35, v37
	v_cvt_pkrtz_f16_f32 v35, v44, v46
	;; [unrolled: 1-line block ×4, first 2 shown]
	v_mov_b32_e32 v44, 0
	v_mfma_f32_16x16x16f16 v[34:37], v[34:35], v[2:3], 0
	s_waitcnt vmcnt(1)
	v_cmp_ne_u16_sdwa s[14:15], v40, v43 src0_sel:BYTE_0 src1_sel:DWORD
	v_mov_b32_e32 v46, 0
	v_mfma_f32_16x16x16f16 v[34:37], v[50:51], v[4:5], v[34:37]
	s_and_saveexec_b64 s[12:13], s[14:15]
	s_cbranch_execz .LBB621_267
; %bb.262:                              ;   in Loop: Header=BB621_213 Depth=1
	v_cmp_ne_u16_sdwa s[16:17], v40, s9 src0_sel:BYTE_0 src1_sel:DWORD
	v_bfrev_b32_e32 v46, 1
	s_and_saveexec_b64 s[14:15], s[16:17]
	s_cbranch_execz .LBB621_266
; %bb.263:                              ;   in Loop: Header=BB621_213 Depth=1
	v_and_b32_e32 v42, 0x7f, v40
	v_cmp_ne_u32_e32 vcc, s19, v42
	v_mov_b32_e32 v46, 0x7f800001
	s_and_saveexec_b64 s[16:17], vcc
	s_cbranch_execz .LBB621_265
; %bb.264:                              ;   in Loop: Header=BB621_213 Depth=1
	v_and_b32_e32 v48, 7, v40
	v_ffbh_u32_e32 v46, v48
	v_min_u32_e32 v50, 32, v46
	v_subrev_u32_e32 v46, 28, v50
	v_lshlrev_b64 v[46:47], v46, v[40:41]
	v_lshrrev_b32_e32 v49, 3, v42
	v_sub_u32_e32 v47, 29, v50
	v_and_b32_e32 v46, 7, v46
	v_cmp_gt_u32_e32 vcc, 8, v42
	v_cndmask_b32_e32 v42, v49, v47, vcc
	v_cndmask_b32_e32 v46, v48, v46, vcc
	v_lshlrev_b32_e32 v47, 24, v40
	v_lshlrev_b32_e32 v46, 20, v46
	v_and_b32_e32 v47, 0x80000000, v47
	v_lshl_add_u32 v42, v42, 23, v45
	v_or3_b32 v46, v47, v42, v46
.LBB621_265:                            ;   in Loop: Header=BB621_213 Depth=1
	s_or_b64 exec, exec, s[16:17]
.LBB621_266:                            ;   in Loop: Header=BB621_213 Depth=1
	s_or_b64 exec, exec, s[14:15]
.LBB621_267:                            ;   in Loop: Header=BB621_213 Depth=1
	s_or_b64 exec, exec, s[12:13]
	v_lshrrev_b16_e32 v42, 8, v40
	v_cmp_ne_u16_e32 vcc, 0, v42
	v_mov_b32_e32 v48, 0
	s_and_saveexec_b64 s[12:13], vcc
	s_cbranch_execz .LBB621_273
; %bb.268:                              ;   in Loop: Header=BB621_213 Depth=1
	v_cmp_ne_u16_e32 vcc, s9, v42
	v_bfrev_b32_e32 v48, 1
	s_and_saveexec_b64 s[14:15], vcc
	s_cbranch_execz .LBB621_272
; %bb.269:                              ;   in Loop: Header=BB621_213 Depth=1
	v_and_b32_e32 v47, 0x7f, v42
	v_cmp_ne_u32_e32 vcc, s19, v47
	v_mov_b32_e32 v48, 0x7f800001
	s_and_saveexec_b64 s[16:17], vcc
	s_cbranch_execz .LBB621_271
; %bb.270:                              ;   in Loop: Header=BB621_213 Depth=1
	v_and_b32_e32 v50, 7, v42
	v_ffbh_u32_e32 v48, v50
	v_min_u32_e32 v62, 32, v48
	v_subrev_u32_e32 v48, 28, v62
	v_lshlrev_b64 v[48:49], v48, v[42:43]
	v_lshrrev_b32_e32 v51, 3, v47
	v_sub_u32_e32 v42, 29, v62
	v_and_b32_e32 v48, 7, v48
	v_cmp_gt_u32_e32 vcc, 8, v47
	v_cndmask_b32_e32 v42, v51, v42, vcc
	v_cndmask_b32_e32 v47, v50, v48, vcc
	v_lshlrev_b32_e32 v48, 16, v40
	v_lshlrev_b32_e32 v47, 20, v47
	v_and_b32_e32 v48, 0x80000000, v48
	v_lshl_add_u32 v42, v42, 23, v45
	v_or3_b32 v48, v48, v42, v47
.LBB621_271:                            ;   in Loop: Header=BB621_213 Depth=1
	s_or_b64 exec, exec, s[16:17]
.LBB621_272:                            ;   in Loop: Header=BB621_213 Depth=1
	s_or_b64 exec, exec, s[14:15]
.LBB621_273:                            ;   in Loop: Header=BB621_213 Depth=1
	s_or_b64 exec, exec, s[12:13]
	v_lshrrev_b32_e32 v42, 16, v40
	v_cmp_ne_u16_sdwa s[14:15], v42, v43 src0_sel:BYTE_0 src1_sel:DWORD
	s_and_saveexec_b64 s[12:13], s[14:15]
	s_cbranch_execz .LBB621_279
; %bb.274:                              ;   in Loop: Header=BB621_213 Depth=1
	v_cmp_ne_u16_sdwa s[16:17], v42, s9 src0_sel:BYTE_0 src1_sel:DWORD
	v_bfrev_b32_e32 v44, 1
	s_and_saveexec_b64 s[14:15], s[16:17]
	s_cbranch_execz .LBB621_278
; %bb.275:                              ;   in Loop: Header=BB621_213 Depth=1
	v_bfe_u32 v47, v40, 16, 7
	v_cmp_ne_u32_e32 vcc, s19, v47
	v_mov_b32_e32 v44, 0x7f800001
	s_and_saveexec_b64 s[16:17], vcc
	s_cbranch_execz .LBB621_277
; %bb.276:                              ;   in Loop: Header=BB621_213 Depth=1
	v_and_b32_e32 v44, 7, v42
	v_ffbh_u32_e32 v50, v44
	v_min_u32_e32 v62, 32, v50
	v_subrev_u32_e32 v50, 28, v62
	v_lshlrev_b64 v[50:51], v50, v[42:43]
	v_lshrrev_b32_e32 v49, 3, v47
	v_sub_u32_e32 v51, 29, v62
	v_and_b32_e32 v50, 7, v50
	v_cmp_gt_u32_e32 vcc, 8, v47
	v_cndmask_b32_e32 v47, v49, v51, vcc
	v_cndmask_b32_e32 v44, v44, v50, vcc
	v_lshlrev_b32_e32 v42, 24, v42
	v_lshlrev_b32_e32 v44, 20, v44
	v_and_b32_e32 v42, 0x80000000, v42
	v_lshl_add_u32 v47, v47, 23, v45
	v_or3_b32 v44, v42, v47, v44
.LBB621_277:                            ;   in Loop: Header=BB621_213 Depth=1
	s_or_b64 exec, exec, s[16:17]
.LBB621_278:                            ;   in Loop: Header=BB621_213 Depth=1
	s_or_b64 exec, exec, s[14:15]
.LBB621_279:                            ;   in Loop: Header=BB621_213 Depth=1
	s_or_b64 exec, exec, s[12:13]
	v_cmp_lt_u32_e32 vcc, s20, v40
	v_mov_b32_e32 v49, 0
	v_mov_b32_e32 v50, 0
	s_and_saveexec_b64 s[12:13], vcc
	s_cbranch_execz .LBB621_285
; %bb.280:                              ;   in Loop: Header=BB621_213 Depth=1
	v_lshrrev_b32_e32 v42, 24, v40
	v_cmp_ne_u32_e32 vcc, s9, v42
	v_bfrev_b32_e32 v50, 1
	s_and_saveexec_b64 s[14:15], vcc
	s_cbranch_execz .LBB621_284
; %bb.281:                              ;   in Loop: Header=BB621_213 Depth=1
	v_bfe_u32 v40, v40, 24, 7
	v_cmp_ne_u32_e32 vcc, s19, v40
	v_mov_b32_e32 v50, 0x7f800001
	s_and_saveexec_b64 s[16:17], vcc
	s_cbranch_execz .LBB621_283
; %bb.282:                              ;   in Loop: Header=BB621_213 Depth=1
	v_and_b32_e32 v47, 7, v42
	v_ffbh_u32_e32 v50, v47
	v_min_u32_e32 v63, 32, v50
	v_subrev_u32_e32 v50, 28, v63
	v_lshlrev_b64 v[50:51], v50, v[42:43]
	v_lshrrev_b32_e32 v62, 3, v40
	v_sub_u32_e32 v51, 29, v63
	v_and_b32_e32 v50, 7, v50
	v_cmp_gt_u32_e32 vcc, 8, v40
	v_cndmask_b32_e32 v40, v62, v51, vcc
	v_cndmask_b32_e32 v47, v47, v50, vcc
	v_lshlrev_b32_e32 v42, 24, v42
	v_lshlrev_b32_e32 v47, 20, v47
	v_and_b32_e32 v42, 0x80000000, v42
	v_lshl_add_u32 v40, v40, 23, v45
	v_or3_b32 v50, v42, v40, v47
.LBB621_283:                            ;   in Loop: Header=BB621_213 Depth=1
	s_or_b64 exec, exec, s[16:17]
.LBB621_284:                            ;   in Loop: Header=BB621_213 Depth=1
	s_or_b64 exec, exec, s[14:15]
.LBB621_285:                            ;   in Loop: Header=BB621_213 Depth=1
	s_or_b64 exec, exec, s[12:13]
	s_waitcnt vmcnt(0)
	v_cmp_ne_u16_sdwa s[14:15], v38, v43 src0_sel:BYTE_0 src1_sel:DWORD
	s_and_saveexec_b64 s[12:13], s[14:15]
	s_cbranch_execz .LBB621_291
; %bb.286:                              ;   in Loop: Header=BB621_213 Depth=1
	v_cmp_ne_u16_sdwa s[16:17], v38, s9 src0_sel:BYTE_0 src1_sel:DWORD
	v_bfrev_b32_e32 v49, 1
	s_and_saveexec_b64 s[14:15], s[16:17]
	s_cbranch_execz .LBB621_290
; %bb.287:                              ;   in Loop: Header=BB621_213 Depth=1
	v_and_b32_e32 v40, 0x7f, v38
	v_cmp_ne_u32_e32 vcc, s19, v40
	v_mov_b32_e32 v49, 0x7f800001
	s_and_saveexec_b64 s[16:17], vcc
	s_cbranch_execz .LBB621_289
; %bb.288:                              ;   in Loop: Header=BB621_213 Depth=1
	v_and_b32_e32 v42, 7, v38
	v_ffbh_u32_e32 v49, v42
	v_min_u32_e32 v49, 32, v49
	v_subrev_u32_e32 v51, 28, v49
	v_lshlrev_b64 v[62:63], v51, v[38:39]
	v_lshrrev_b32_e32 v47, 3, v40
	v_sub_u32_e32 v49, 29, v49
	v_and_b32_e32 v51, 7, v62
	v_cmp_gt_u32_e32 vcc, 8, v40
	v_cndmask_b32_e32 v40, v47, v49, vcc
	v_cndmask_b32_e32 v42, v42, v51, vcc
	v_lshlrev_b32_e32 v47, 24, v38
	v_lshlrev_b32_e32 v42, 20, v42
	v_and_b32_e32 v47, 0x80000000, v47
	v_lshl_add_u32 v40, v40, 23, v45
	v_or3_b32 v49, v47, v40, v42
.LBB621_289:                            ;   in Loop: Header=BB621_213 Depth=1
	s_or_b64 exec, exec, s[16:17]
.LBB621_290:                            ;   in Loop: Header=BB621_213 Depth=1
	s_or_b64 exec, exec, s[14:15]
.LBB621_291:                            ;   in Loop: Header=BB621_213 Depth=1
	s_or_b64 exec, exec, s[12:13]
	v_lshrrev_b16_e32 v40, 8, v38
	v_cmp_ne_u16_e32 vcc, 0, v40
	v_mov_b32_e32 v51, 0
	v_mov_b32_e32 v62, 0
	s_and_saveexec_b64 s[12:13], vcc
	s_cbranch_execz .LBB621_297
; %bb.292:                              ;   in Loop: Header=BB621_213 Depth=1
	v_cmp_ne_u16_e32 vcc, s9, v40
	v_bfrev_b32_e32 v62, 1
	s_and_saveexec_b64 s[14:15], vcc
	s_cbranch_execz .LBB621_296
; %bb.293:                              ;   in Loop: Header=BB621_213 Depth=1
	v_and_b32_e32 v42, 0x7f, v40
	v_cmp_ne_u32_e32 vcc, s19, v42
	v_mov_b32_e32 v62, 0x7f800001
	s_and_saveexec_b64 s[16:17], vcc
	s_cbranch_execz .LBB621_295
; %bb.294:                              ;   in Loop: Header=BB621_213 Depth=1
	v_and_b32_e32 v47, 7, v40
	v_ffbh_u32_e32 v62, v47
	v_min_u32_e32 v65, 32, v62
	v_subrev_u32_e32 v62, 28, v65
	v_lshlrev_b64 v[62:63], v62, v[40:41]
	v_lshrrev_b32_e32 v64, 3, v42
	v_sub_u32_e32 v40, 29, v65
	v_and_b32_e32 v62, 7, v62
	v_cmp_gt_u32_e32 vcc, 8, v42
	v_cndmask_b32_e32 v40, v64, v40, vcc
	v_cndmask_b32_e32 v42, v47, v62, vcc
	v_lshlrev_b32_e32 v47, 16, v38
	v_lshlrev_b32_e32 v42, 20, v42
	v_and_b32_e32 v47, 0x80000000, v47
	v_lshl_add_u32 v40, v40, 23, v45
	v_or3_b32 v62, v47, v40, v42
.LBB621_295:                            ;   in Loop: Header=BB621_213 Depth=1
	s_or_b64 exec, exec, s[16:17]
.LBB621_296:                            ;   in Loop: Header=BB621_213 Depth=1
	s_or_b64 exec, exec, s[14:15]
.LBB621_297:                            ;   in Loop: Header=BB621_213 Depth=1
	s_or_b64 exec, exec, s[12:13]
	v_lshrrev_b32_e32 v40, 16, v38
	v_cmp_ne_u16_sdwa s[14:15], v40, v43 src0_sel:BYTE_0 src1_sel:DWORD
	s_and_saveexec_b64 s[12:13], s[14:15]
	s_cbranch_execz .LBB621_303
; %bb.298:                              ;   in Loop: Header=BB621_213 Depth=1
	v_cmp_ne_u16_sdwa s[16:17], v40, s9 src0_sel:BYTE_0 src1_sel:DWORD
	v_bfrev_b32_e32 v51, 1
	s_and_saveexec_b64 s[14:15], s[16:17]
	s_cbranch_execz .LBB621_302
; %bb.299:                              ;   in Loop: Header=BB621_213 Depth=1
	v_bfe_u32 v42, v38, 16, 7
	v_cmp_ne_u32_e32 vcc, s19, v42
	v_mov_b32_e32 v51, 0x7f800001
	s_and_saveexec_b64 s[16:17], vcc
	s_cbranch_execz .LBB621_301
; %bb.300:                              ;   in Loop: Header=BB621_213 Depth=1
	v_and_b32_e32 v47, 7, v40
	v_ffbh_u32_e32 v63, v47
	v_min_u32_e32 v63, 32, v63
	v_subrev_u32_e32 v64, 28, v63
	v_lshlrev_b64 v[64:65], v64, v[40:41]
	v_lshrrev_b32_e32 v51, 3, v42
	v_sub_u32_e32 v63, 29, v63
	v_and_b32_e32 v64, 7, v64
	v_cmp_gt_u32_e32 vcc, 8, v42
	v_cndmask_b32_e32 v42, v51, v63, vcc
	v_cndmask_b32_e32 v47, v47, v64, vcc
	v_lshlrev_b32_e32 v40, 24, v40
	v_lshlrev_b32_e32 v47, 20, v47
	v_and_b32_e32 v40, 0x80000000, v40
	v_lshl_add_u32 v42, v42, 23, v45
	v_or3_b32 v51, v40, v42, v47
.LBB621_301:                            ;   in Loop: Header=BB621_213 Depth=1
	s_or_b64 exec, exec, s[16:17]
.LBB621_302:                            ;   in Loop: Header=BB621_213 Depth=1
	s_or_b64 exec, exec, s[14:15]
.LBB621_303:                            ;   in Loop: Header=BB621_213 Depth=1
	s_or_b64 exec, exec, s[12:13]
	v_cmp_lt_u32_e32 vcc, s20, v38
	v_mov_b32_e32 v47, 0
	v_mov_b32_e32 v63, 0
	s_and_saveexec_b64 s[12:13], vcc
	s_cbranch_execz .LBB621_309
; %bb.304:                              ;   in Loop: Header=BB621_213 Depth=1
	v_lshrrev_b32_e32 v40, 24, v38
	v_cmp_ne_u32_e32 vcc, s9, v40
	v_bfrev_b32_e32 v63, 1
	s_and_saveexec_b64 s[14:15], vcc
	s_cbranch_execz .LBB621_308
; %bb.305:                              ;   in Loop: Header=BB621_213 Depth=1
	v_bfe_u32 v38, v38, 24, 7
	v_cmp_ne_u32_e32 vcc, s19, v38
	v_mov_b32_e32 v63, 0x7f800001
	s_and_saveexec_b64 s[16:17], vcc
	s_cbranch_execz .LBB621_307
; %bb.306:                              ;   in Loop: Header=BB621_213 Depth=1
	v_and_b32_e32 v42, 7, v40
	v_ffbh_u32_e32 v64, v42
	v_min_u32_e32 v66, 32, v64
	v_subrev_u32_e32 v64, 28, v66
	v_lshlrev_b64 v[64:65], v64, v[40:41]
	v_lshrrev_b32_e32 v63, 3, v38
	v_sub_u32_e32 v65, 29, v66
	v_and_b32_e32 v64, 7, v64
	v_cmp_gt_u32_e32 vcc, 8, v38
	v_cndmask_b32_e32 v38, v63, v65, vcc
	v_cndmask_b32_e32 v42, v42, v64, vcc
	v_lshlrev_b32_e32 v40, 24, v40
	v_lshlrev_b32_e32 v42, 20, v42
	v_and_b32_e32 v40, 0x80000000, v40
	v_lshl_add_u32 v38, v38, 23, v45
	v_or3_b32 v63, v40, v38, v42
.LBB621_307:                            ;   in Loop: Header=BB621_213 Depth=1
	s_or_b64 exec, exec, s[16:17]
.LBB621_308:                            ;   in Loop: Header=BB621_213 Depth=1
	s_or_b64 exec, exec, s[14:15]
.LBB621_309:                            ;   in Loop: Header=BB621_213 Depth=1
	s_or_b64 exec, exec, s[12:13]
	v_cvt_pkrtz_f16_f32 v65, v44, v50
	buffer_load_dword v44, v61, s[0:3], 0 offen
	buffer_load_dword v42, v61, s[0:3], 0 offen offset:4
	buffer_load_dword v40, v61, s[0:3], 0 offen offset:8
	;; [unrolled: 1-line block ×3, first 2 shown]
	v_cvt_pkrtz_f16_f32 v64, v46, v48
	v_cvt_pkrtz_f16_f32 v48, v49, v62
	;; [unrolled: 1-line block ×3, first 2 shown]
	v_mfma_f32_16x16x16f16 v[34:37], v[64:65], v[6:7], v[34:37]
	s_waitcnt vmcnt(3)
	v_cmp_ne_u16_sdwa s[14:15], v44, v43 src0_sel:BYTE_0 src1_sel:DWORD
	v_mfma_f32_16x16x16f16 v[34:37], v[48:49], v[8:9], v[34:37]
	s_and_saveexec_b64 s[12:13], s[14:15]
	s_cbranch_execz .LBB621_315
; %bb.310:                              ;   in Loop: Header=BB621_213 Depth=1
	v_cmp_ne_u16_sdwa s[16:17], v44, s9 src0_sel:BYTE_0 src1_sel:DWORD
	v_bfrev_b32_e32 v47, 1
	s_and_saveexec_b64 s[14:15], s[16:17]
	s_cbranch_execz .LBB621_314
; %bb.311:                              ;   in Loop: Header=BB621_213 Depth=1
	v_and_b32_e32 v46, 0x7f, v44
	v_cmp_ne_u32_e32 vcc, s19, v46
	v_mov_b32_e32 v47, 0x7f800001
	s_and_saveexec_b64 s[16:17], vcc
	s_cbranch_execz .LBB621_313
; %bb.312:                              ;   in Loop: Header=BB621_213 Depth=1
	v_and_b32_e32 v47, 7, v44
	v_ffbh_u32_e32 v48, v47
	v_min_u32_e32 v51, 32, v48
	v_subrev_u32_e32 v48, 28, v51
	v_lshlrev_b64 v[48:49], v48, v[44:45]
	v_lshrrev_b32_e32 v50, 3, v46
	v_sub_u32_e32 v49, 29, v51
	v_and_b32_e32 v48, 7, v48
	v_cmp_gt_u32_e32 vcc, 8, v46
	v_cndmask_b32_e32 v46, v50, v49, vcc
	v_cndmask_b32_e32 v47, v47, v48, vcc
	v_lshlrev_b32_e32 v48, 24, v44
	v_lshlrev_b32_e32 v47, 20, v47
	v_and_b32_e32 v48, 0x80000000, v48
	v_lshl_add_u32 v46, v46, 23, v45
	v_or3_b32 v47, v48, v46, v47
.LBB621_313:                            ;   in Loop: Header=BB621_213 Depth=1
	s_or_b64 exec, exec, s[16:17]
.LBB621_314:                            ;   in Loop: Header=BB621_213 Depth=1
	s_or_b64 exec, exec, s[14:15]
.LBB621_315:                            ;   in Loop: Header=BB621_213 Depth=1
	s_or_b64 exec, exec, s[12:13]
	v_lshrrev_b16_e32 v46, 8, v44
	v_cmp_ne_u16_e32 vcc, 0, v46
	v_mov_b32_e32 v48, 0
	v_mov_b32_e32 v49, 0
	s_and_saveexec_b64 s[12:13], vcc
	s_cbranch_execz .LBB621_321
; %bb.316:                              ;   in Loop: Header=BB621_213 Depth=1
	v_cmp_ne_u16_e32 vcc, s9, v46
	v_bfrev_b32_e32 v49, 1
	s_and_saveexec_b64 s[14:15], vcc
	s_cbranch_execz .LBB621_320
; %bb.317:                              ;   in Loop: Header=BB621_213 Depth=1
	v_and_b32_e32 v50, 0x7f, v46
	v_cmp_ne_u32_e32 vcc, s19, v50
	v_mov_b32_e32 v49, 0x7f800001
	s_and_saveexec_b64 s[16:17], vcc
	s_cbranch_execz .LBB621_319
; %bb.318:                              ;   in Loop: Header=BB621_213 Depth=1
	v_and_b32_e32 v49, 7, v46
	v_ffbh_u32_e32 v61, v49
	v_min_u32_e32 v61, 32, v61
	v_subrev_u32_e32 v62, 28, v61
	v_lshlrev_b64 v[62:63], v62, v[46:47]
	v_lshrrev_b32_e32 v51, 3, v50
	v_sub_u32_e32 v46, 29, v61
	v_and_b32_e32 v61, 7, v62
	v_cmp_gt_u32_e32 vcc, 8, v50
	v_cndmask_b32_e32 v46, v51, v46, vcc
	v_cndmask_b32_e32 v49, v49, v61, vcc
	v_lshlrev_b32_e32 v50, 16, v44
	v_lshlrev_b32_e32 v49, 20, v49
	v_and_b32_e32 v50, 0x80000000, v50
	v_lshl_add_u32 v46, v46, 23, v45
	v_or3_b32 v49, v50, v46, v49
.LBB621_319:                            ;   in Loop: Header=BB621_213 Depth=1
	s_or_b64 exec, exec, s[16:17]
.LBB621_320:                            ;   in Loop: Header=BB621_213 Depth=1
	s_or_b64 exec, exec, s[14:15]
.LBB621_321:                            ;   in Loop: Header=BB621_213 Depth=1
	s_or_b64 exec, exec, s[12:13]
	v_lshrrev_b32_e32 v46, 16, v44
	v_cmp_ne_u16_sdwa s[14:15], v46, v43 src0_sel:BYTE_0 src1_sel:DWORD
	s_and_saveexec_b64 s[12:13], s[14:15]
	s_cbranch_execz .LBB621_327
; %bb.322:                              ;   in Loop: Header=BB621_213 Depth=1
	v_cmp_ne_u16_sdwa s[16:17], v46, s9 src0_sel:BYTE_0 src1_sel:DWORD
	v_bfrev_b32_e32 v48, 1
	s_and_saveexec_b64 s[14:15], s[16:17]
	s_cbranch_execz .LBB621_326
; %bb.323:                              ;   in Loop: Header=BB621_213 Depth=1
	v_bfe_u32 v50, v44, 16, 7
	v_cmp_ne_u32_e32 vcc, s19, v50
	v_mov_b32_e32 v48, 0x7f800001
	s_and_saveexec_b64 s[16:17], vcc
	s_cbranch_execz .LBB621_325
; %bb.324:                              ;   in Loop: Header=BB621_213 Depth=1
	v_and_b32_e32 v48, 7, v46
	v_ffbh_u32_e32 v61, v48
	v_min_u32_e32 v61, 32, v61
	v_subrev_u32_e32 v62, 28, v61
	v_lshlrev_b64 v[62:63], v62, v[46:47]
	v_lshrrev_b32_e32 v51, 3, v50
	v_sub_u32_e32 v61, 29, v61
	v_and_b32_e32 v62, 7, v62
	v_cmp_gt_u32_e32 vcc, 8, v50
	v_cndmask_b32_e32 v50, v51, v61, vcc
	v_cndmask_b32_e32 v48, v48, v62, vcc
	v_lshlrev_b32_e32 v46, 24, v46
	v_lshlrev_b32_e32 v48, 20, v48
	v_and_b32_e32 v46, 0x80000000, v46
	v_lshl_add_u32 v50, v50, 23, v45
	v_or3_b32 v48, v46, v50, v48
.LBB621_325:                            ;   in Loop: Header=BB621_213 Depth=1
	s_or_b64 exec, exec, s[16:17]
.LBB621_326:                            ;   in Loop: Header=BB621_213 Depth=1
	s_or_b64 exec, exec, s[14:15]
.LBB621_327:                            ;   in Loop: Header=BB621_213 Depth=1
	s_or_b64 exec, exec, s[12:13]
	v_cmp_lt_u32_e32 vcc, s20, v44
	v_mov_b32_e32 v50, 0
	v_mov_b32_e32 v51, 0
	s_and_saveexec_b64 s[12:13], vcc
	s_cbranch_execz .LBB621_333
; %bb.328:                              ;   in Loop: Header=BB621_213 Depth=1
	v_lshrrev_b32_e32 v46, 24, v44
	v_cmp_ne_u32_e32 vcc, s9, v46
	v_bfrev_b32_e32 v51, 1
	s_and_saveexec_b64 s[14:15], vcc
	s_cbranch_execz .LBB621_332
; %bb.329:                              ;   in Loop: Header=BB621_213 Depth=1
	v_bfe_u32 v44, v44, 24, 7
	v_cmp_ne_u32_e32 vcc, s19, v44
	v_mov_b32_e32 v51, 0x7f800001
	s_and_saveexec_b64 s[16:17], vcc
	s_cbranch_execz .LBB621_331
; %bb.330:                              ;   in Loop: Header=BB621_213 Depth=1
	v_and_b32_e32 v51, 7, v46
	v_ffbh_u32_e32 v62, v51
	v_min_u32_e32 v64, 32, v62
	v_subrev_u32_e32 v62, 28, v64
	v_lshlrev_b64 v[62:63], v62, v[46:47]
	v_lshrrev_b32_e32 v61, 3, v44
	v_sub_u32_e32 v63, 29, v64
	v_and_b32_e32 v62, 7, v62
	v_cmp_gt_u32_e32 vcc, 8, v44
	v_cndmask_b32_e32 v44, v61, v63, vcc
	v_cndmask_b32_e32 v51, v51, v62, vcc
	v_lshlrev_b32_e32 v46, 24, v46
	v_lshlrev_b32_e32 v51, 20, v51
	v_and_b32_e32 v46, 0x80000000, v46
	v_lshl_add_u32 v44, v44, 23, v45
	v_or3_b32 v51, v46, v44, v51
.LBB621_331:                            ;   in Loop: Header=BB621_213 Depth=1
	s_or_b64 exec, exec, s[16:17]
.LBB621_332:                            ;   in Loop: Header=BB621_213 Depth=1
	s_or_b64 exec, exec, s[14:15]
.LBB621_333:                            ;   in Loop: Header=BB621_213 Depth=1
	s_or_b64 exec, exec, s[12:13]
	s_waitcnt vmcnt(2)
	v_cmp_ne_u16_sdwa s[14:15], v42, v43 src0_sel:BYTE_0 src1_sel:DWORD
	s_and_saveexec_b64 s[12:13], s[14:15]
	s_cbranch_execz .LBB621_339
; %bb.334:                              ;   in Loop: Header=BB621_213 Depth=1
	v_cmp_ne_u16_sdwa s[16:17], v42, s9 src0_sel:BYTE_0 src1_sel:DWORD
	v_bfrev_b32_e32 v50, 1
	s_and_saveexec_b64 s[14:15], s[16:17]
	s_cbranch_execz .LBB621_338
; %bb.335:                              ;   in Loop: Header=BB621_213 Depth=1
	v_and_b32_e32 v44, 0x7f, v42
	v_cmp_ne_u32_e32 vcc, s19, v44
	v_mov_b32_e32 v50, 0x7f800001
	s_and_saveexec_b64 s[16:17], vcc
	s_cbranch_execz .LBB621_337
; %bb.336:                              ;   in Loop: Header=BB621_213 Depth=1
	v_and_b32_e32 v46, 7, v42
	v_ffbh_u32_e32 v61, v46
	v_min_u32_e32 v61, 32, v61
	v_subrev_u32_e32 v62, 28, v61
	v_lshlrev_b64 v[62:63], v62, v[42:43]
	v_lshrrev_b32_e32 v50, 3, v44
	v_sub_u32_e32 v61, 29, v61
	v_and_b32_e32 v62, 7, v62
	v_cmp_gt_u32_e32 vcc, 8, v44
	v_cndmask_b32_e32 v44, v50, v61, vcc
	v_cndmask_b32_e32 v46, v46, v62, vcc
	v_lshlrev_b32_e32 v50, 24, v42
	v_lshlrev_b32_e32 v46, 20, v46
	v_and_b32_e32 v50, 0x80000000, v50
	v_lshl_add_u32 v44, v44, 23, v45
	v_or3_b32 v50, v50, v44, v46
.LBB621_337:                            ;   in Loop: Header=BB621_213 Depth=1
	s_or_b64 exec, exec, s[16:17]
.LBB621_338:                            ;   in Loop: Header=BB621_213 Depth=1
	s_or_b64 exec, exec, s[14:15]
.LBB621_339:                            ;   in Loop: Header=BB621_213 Depth=1
	s_or_b64 exec, exec, s[12:13]
	v_lshrrev_b16_e32 v44, 8, v42
	v_cmp_ne_u16_e32 vcc, 0, v44
	v_mov_b32_e32 v61, 0
	v_mov_b32_e32 v62, 0
	s_and_saveexec_b64 s[12:13], vcc
	s_cbranch_execz .LBB621_345
; %bb.340:                              ;   in Loop: Header=BB621_213 Depth=1
	v_cmp_ne_u16_e32 vcc, s9, v44
	v_bfrev_b32_e32 v62, 1
	s_and_saveexec_b64 s[14:15], vcc
	s_cbranch_execz .LBB621_344
; %bb.341:                              ;   in Loop: Header=BB621_213 Depth=1
	v_and_b32_e32 v46, 0x7f, v44
	v_cmp_ne_u32_e32 vcc, s19, v46
	v_mov_b32_e32 v62, 0x7f800001
	s_and_saveexec_b64 s[16:17], vcc
	s_cbranch_execz .LBB621_343
; %bb.342:                              ;   in Loop: Header=BB621_213 Depth=1
	v_and_b32_e32 v64, 7, v44
	v_ffbh_u32_e32 v62, v64
	v_min_u32_e32 v66, 32, v62
	v_subrev_u32_e32 v62, 28, v66
	v_lshlrev_b64 v[62:63], v62, v[44:45]
	v_lshrrev_b32_e32 v65, 3, v46
	v_sub_u32_e32 v44, 29, v66
	v_and_b32_e32 v62, 7, v62
	v_cmp_gt_u32_e32 vcc, 8, v46
	v_cndmask_b32_e32 v44, v65, v44, vcc
	v_cndmask_b32_e32 v46, v64, v62, vcc
	v_lshlrev_b32_e32 v62, 16, v42
	v_lshlrev_b32_e32 v46, 20, v46
	v_and_b32_e32 v62, 0x80000000, v62
	v_lshl_add_u32 v44, v44, 23, v45
	v_or3_b32 v62, v62, v44, v46
.LBB621_343:                            ;   in Loop: Header=BB621_213 Depth=1
	s_or_b64 exec, exec, s[16:17]
.LBB621_344:                            ;   in Loop: Header=BB621_213 Depth=1
	s_or_b64 exec, exec, s[14:15]
.LBB621_345:                            ;   in Loop: Header=BB621_213 Depth=1
	s_or_b64 exec, exec, s[12:13]
	v_lshrrev_b32_e32 v44, 16, v42
	v_cmp_ne_u16_sdwa s[14:15], v44, v43 src0_sel:BYTE_0 src1_sel:DWORD
	s_and_saveexec_b64 s[12:13], s[14:15]
	s_cbranch_execz .LBB621_351
; %bb.346:                              ;   in Loop: Header=BB621_213 Depth=1
	v_cmp_ne_u16_sdwa s[16:17], v44, s9 src0_sel:BYTE_0 src1_sel:DWORD
	v_bfrev_b32_e32 v61, 1
	s_and_saveexec_b64 s[14:15], s[16:17]
	s_cbranch_execz .LBB621_350
; %bb.347:                              ;   in Loop: Header=BB621_213 Depth=1
	v_bfe_u32 v46, v42, 16, 7
	v_cmp_ne_u32_e32 vcc, s19, v46
	v_mov_b32_e32 v61, 0x7f800001
	s_and_saveexec_b64 s[16:17], vcc
	s_cbranch_execz .LBB621_349
; %bb.348:                              ;   in Loop: Header=BB621_213 Depth=1
	v_and_b32_e32 v61, 7, v44
	v_ffbh_u32_e32 v64, v61
	v_min_u32_e32 v66, 32, v64
	v_subrev_u32_e32 v64, 28, v66
	v_lshlrev_b64 v[64:65], v64, v[44:45]
	v_lshrrev_b32_e32 v63, 3, v46
	v_sub_u32_e32 v65, 29, v66
	v_and_b32_e32 v64, 7, v64
	v_cmp_gt_u32_e32 vcc, 8, v46
	v_cndmask_b32_e32 v46, v63, v65, vcc
	v_cndmask_b32_e32 v61, v61, v64, vcc
	v_lshlrev_b32_e32 v44, 24, v44
	v_lshlrev_b32_e32 v61, 20, v61
	v_and_b32_e32 v44, 0x80000000, v44
	v_lshl_add_u32 v46, v46, 23, v45
	v_or3_b32 v61, v44, v46, v61
.LBB621_349:                            ;   in Loop: Header=BB621_213 Depth=1
	s_or_b64 exec, exec, s[16:17]
.LBB621_350:                            ;   in Loop: Header=BB621_213 Depth=1
	s_or_b64 exec, exec, s[14:15]
.LBB621_351:                            ;   in Loop: Header=BB621_213 Depth=1
	s_or_b64 exec, exec, s[12:13]
	v_cmp_lt_u32_e32 vcc, s20, v42
	v_mov_b32_e32 v46, 0
	v_mov_b32_e32 v63, 0
	s_and_saveexec_b64 s[12:13], vcc
	s_cbranch_execz .LBB621_357
; %bb.352:                              ;   in Loop: Header=BB621_213 Depth=1
	v_lshrrev_b32_e32 v44, 24, v42
	v_cmp_ne_u32_e32 vcc, s9, v44
	v_bfrev_b32_e32 v63, 1
	s_and_saveexec_b64 s[14:15], vcc
	s_cbranch_execz .LBB621_356
; %bb.353:                              ;   in Loop: Header=BB621_213 Depth=1
	v_bfe_u32 v42, v42, 24, 7
	v_cmp_ne_u32_e32 vcc, s19, v42
	v_mov_b32_e32 v63, 0x7f800001
	s_and_saveexec_b64 s[16:17], vcc
	s_cbranch_execz .LBB621_355
; %bb.354:                              ;   in Loop: Header=BB621_213 Depth=1
	v_and_b32_e32 v63, 7, v44
	v_ffbh_u32_e32 v64, v63
	v_min_u32_e32 v67, 32, v64
	v_subrev_u32_e32 v64, 28, v67
	v_lshlrev_b64 v[64:65], v64, v[44:45]
	v_lshrrev_b32_e32 v66, 3, v42
	v_sub_u32_e32 v65, 29, v67
	v_and_b32_e32 v64, 7, v64
	v_cmp_gt_u32_e32 vcc, 8, v42
	v_cndmask_b32_e32 v42, v66, v65, vcc
	v_cndmask_b32_e32 v63, v63, v64, vcc
	v_lshlrev_b32_e32 v44, 24, v44
	v_lshlrev_b32_e32 v63, 20, v63
	v_and_b32_e32 v44, 0x80000000, v44
	v_lshl_add_u32 v42, v42, 23, v45
	v_or3_b32 v63, v44, v42, v63
.LBB621_355:                            ;   in Loop: Header=BB621_213 Depth=1
	s_or_b64 exec, exec, s[16:17]
.LBB621_356:                            ;   in Loop: Header=BB621_213 Depth=1
	s_or_b64 exec, exec, s[14:15]
.LBB621_357:                            ;   in Loop: Header=BB621_213 Depth=1
	s_or_b64 exec, exec, s[12:13]
	v_cvt_pkrtz_f16_f32 v64, v47, v49
	v_cvt_pkrtz_f16_f32 v65, v48, v51
	;; [unrolled: 1-line block ×4, first 2 shown]
	s_waitcnt vmcnt(1)
	v_cmp_ne_u16_sdwa s[14:15], v40, v43 src0_sel:BYTE_0 src1_sel:DWORD
	v_mfma_f32_16x16x16f16 v[34:37], v[64:65], v[10:11], v[34:37]
	v_mfma_f32_16x16x16f16 v[34:37], v[48:49], v[12:13], v[34:37]
	s_and_saveexec_b64 s[12:13], s[14:15]
	s_cbranch_execz .LBB621_363
; %bb.358:                              ;   in Loop: Header=BB621_213 Depth=1
	v_cmp_ne_u16_sdwa s[16:17], v40, s9 src0_sel:BYTE_0 src1_sel:DWORD
	v_bfrev_b32_e32 v46, 1
	s_and_saveexec_b64 s[14:15], s[16:17]
	s_cbranch_execz .LBB621_362
; %bb.359:                              ;   in Loop: Header=BB621_213 Depth=1
	v_and_b32_e32 v42, 0x7f, v40
	v_cmp_ne_u32_e32 vcc, s19, v42
	v_mov_b32_e32 v46, 0x7f800001
	s_and_saveexec_b64 s[16:17], vcc
	s_cbranch_execz .LBB621_361
; %bb.360:                              ;   in Loop: Header=BB621_213 Depth=1
	v_and_b32_e32 v44, 7, v40
	v_ffbh_u32_e32 v46, v44
	v_min_u32_e32 v49, 32, v46
	v_subrev_u32_e32 v46, 28, v49
	v_lshlrev_b64 v[46:47], v46, v[40:41]
	v_lshrrev_b32_e32 v48, 3, v42
	v_sub_u32_e32 v47, 29, v49
	v_and_b32_e32 v46, 7, v46
	v_cmp_gt_u32_e32 vcc, 8, v42
	v_cndmask_b32_e32 v42, v48, v47, vcc
	v_cndmask_b32_e32 v44, v44, v46, vcc
	v_lshlrev_b32_e32 v46, 24, v40
	v_lshlrev_b32_e32 v44, 20, v44
	v_and_b32_e32 v46, 0x80000000, v46
	v_lshl_add_u32 v42, v42, 23, v45
	v_or3_b32 v46, v46, v42, v44
.LBB621_361:                            ;   in Loop: Header=BB621_213 Depth=1
	s_or_b64 exec, exec, s[16:17]
.LBB621_362:                            ;   in Loop: Header=BB621_213 Depth=1
	s_or_b64 exec, exec, s[14:15]
.LBB621_363:                            ;   in Loop: Header=BB621_213 Depth=1
	s_or_b64 exec, exec, s[12:13]
	v_lshrrev_b16_e32 v42, 8, v40
	v_cmp_ne_u16_e32 vcc, 0, v42
	v_mov_b32_e32 v44, 0
	v_mov_b32_e32 v48, 0
	s_and_saveexec_b64 s[12:13], vcc
	s_cbranch_execz .LBB621_369
; %bb.364:                              ;   in Loop: Header=BB621_213 Depth=1
	v_cmp_ne_u16_e32 vcc, s9, v42
	v_bfrev_b32_e32 v48, 1
	s_and_saveexec_b64 s[14:15], vcc
	s_cbranch_execz .LBB621_368
; %bb.365:                              ;   in Loop: Header=BB621_213 Depth=1
	v_and_b32_e32 v47, 0x7f, v42
	v_cmp_ne_u32_e32 vcc, s19, v47
	v_mov_b32_e32 v48, 0x7f800001
	s_and_saveexec_b64 s[16:17], vcc
	s_cbranch_execz .LBB621_367
; %bb.366:                              ;   in Loop: Header=BB621_213 Depth=1
	v_and_b32_e32 v50, 7, v42
	v_ffbh_u32_e32 v48, v50
	v_min_u32_e32 v61, 32, v48
	v_subrev_u32_e32 v48, 28, v61
	v_lshlrev_b64 v[48:49], v48, v[42:43]
	v_lshrrev_b32_e32 v51, 3, v47
	v_sub_u32_e32 v42, 29, v61
	v_and_b32_e32 v48, 7, v48
	v_cmp_gt_u32_e32 vcc, 8, v47
	v_cndmask_b32_e32 v42, v51, v42, vcc
	v_cndmask_b32_e32 v47, v50, v48, vcc
	v_lshlrev_b32_e32 v48, 16, v40
	v_lshlrev_b32_e32 v47, 20, v47
	v_and_b32_e32 v48, 0x80000000, v48
	v_lshl_add_u32 v42, v42, 23, v45
	v_or3_b32 v48, v48, v42, v47
.LBB621_367:                            ;   in Loop: Header=BB621_213 Depth=1
	s_or_b64 exec, exec, s[16:17]
.LBB621_368:                            ;   in Loop: Header=BB621_213 Depth=1
	s_or_b64 exec, exec, s[14:15]
.LBB621_369:                            ;   in Loop: Header=BB621_213 Depth=1
	s_or_b64 exec, exec, s[12:13]
	v_lshrrev_b32_e32 v42, 16, v40
	v_cmp_ne_u16_sdwa s[14:15], v42, v43 src0_sel:BYTE_0 src1_sel:DWORD
	s_and_saveexec_b64 s[12:13], s[14:15]
	s_cbranch_execz .LBB621_375
; %bb.370:                              ;   in Loop: Header=BB621_213 Depth=1
	v_cmp_ne_u16_sdwa s[16:17], v42, s9 src0_sel:BYTE_0 src1_sel:DWORD
	v_bfrev_b32_e32 v44, 1
	s_and_saveexec_b64 s[14:15], s[16:17]
	s_cbranch_execz .LBB621_374
; %bb.371:                              ;   in Loop: Header=BB621_213 Depth=1
	v_bfe_u32 v47, v40, 16, 7
	v_cmp_ne_u32_e32 vcc, s19, v47
	v_mov_b32_e32 v44, 0x7f800001
	s_and_saveexec_b64 s[16:17], vcc
	s_cbranch_execz .LBB621_373
; %bb.372:                              ;   in Loop: Header=BB621_213 Depth=1
	v_and_b32_e32 v44, 7, v42
	v_ffbh_u32_e32 v50, v44
	v_min_u32_e32 v61, 32, v50
	v_subrev_u32_e32 v50, 28, v61
	v_lshlrev_b64 v[50:51], v50, v[42:43]
	v_lshrrev_b32_e32 v49, 3, v47
	v_sub_u32_e32 v51, 29, v61
	v_and_b32_e32 v50, 7, v50
	v_cmp_gt_u32_e32 vcc, 8, v47
	v_cndmask_b32_e32 v47, v49, v51, vcc
	v_cndmask_b32_e32 v44, v44, v50, vcc
	v_lshlrev_b32_e32 v42, 24, v42
	v_lshlrev_b32_e32 v44, 20, v44
	v_and_b32_e32 v42, 0x80000000, v42
	v_lshl_add_u32 v47, v47, 23, v45
	v_or3_b32 v44, v42, v47, v44
.LBB621_373:                            ;   in Loop: Header=BB621_213 Depth=1
	s_or_b64 exec, exec, s[16:17]
.LBB621_374:                            ;   in Loop: Header=BB621_213 Depth=1
	s_or_b64 exec, exec, s[14:15]
.LBB621_375:                            ;   in Loop: Header=BB621_213 Depth=1
	s_or_b64 exec, exec, s[12:13]
	v_cmp_lt_u32_e32 vcc, s20, v40
	v_mov_b32_e32 v49, 0
	v_mov_b32_e32 v50, 0
	s_and_saveexec_b64 s[12:13], vcc
	s_cbranch_execz .LBB621_381
; %bb.376:                              ;   in Loop: Header=BB621_213 Depth=1
	v_lshrrev_b32_e32 v42, 24, v40
	v_cmp_ne_u32_e32 vcc, s9, v42
	v_bfrev_b32_e32 v50, 1
	s_and_saveexec_b64 s[14:15], vcc
	s_cbranch_execz .LBB621_380
; %bb.377:                              ;   in Loop: Header=BB621_213 Depth=1
	v_bfe_u32 v40, v40, 24, 7
	v_cmp_ne_u32_e32 vcc, s19, v40
	v_mov_b32_e32 v50, 0x7f800001
	s_and_saveexec_b64 s[16:17], vcc
	s_cbranch_execz .LBB621_379
; %bb.378:                              ;   in Loop: Header=BB621_213 Depth=1
	v_and_b32_e32 v47, 7, v42
	v_ffbh_u32_e32 v50, v47
	v_min_u32_e32 v62, 32, v50
	v_subrev_u32_e32 v50, 28, v62
	v_lshlrev_b64 v[50:51], v50, v[42:43]
	v_lshrrev_b32_e32 v61, 3, v40
	v_sub_u32_e32 v51, 29, v62
	v_and_b32_e32 v50, 7, v50
	v_cmp_gt_u32_e32 vcc, 8, v40
	v_cndmask_b32_e32 v40, v61, v51, vcc
	v_cndmask_b32_e32 v47, v47, v50, vcc
	v_lshlrev_b32_e32 v42, 24, v42
	v_lshlrev_b32_e32 v47, 20, v47
	v_and_b32_e32 v42, 0x80000000, v42
	v_lshl_add_u32 v40, v40, 23, v45
	v_or3_b32 v50, v42, v40, v47
.LBB621_379:                            ;   in Loop: Header=BB621_213 Depth=1
	s_or_b64 exec, exec, s[16:17]
.LBB621_380:                            ;   in Loop: Header=BB621_213 Depth=1
	s_or_b64 exec, exec, s[14:15]
.LBB621_381:                            ;   in Loop: Header=BB621_213 Depth=1
	s_or_b64 exec, exec, s[12:13]
	s_waitcnt vmcnt(0)
	v_cmp_ne_u16_sdwa s[14:15], v38, v43 src0_sel:BYTE_0 src1_sel:DWORD
	s_and_saveexec_b64 s[12:13], s[14:15]
	s_cbranch_execz .LBB621_387
; %bb.382:                              ;   in Loop: Header=BB621_213 Depth=1
	v_cmp_ne_u16_sdwa s[16:17], v38, s9 src0_sel:BYTE_0 src1_sel:DWORD
	v_bfrev_b32_e32 v49, 1
	s_and_saveexec_b64 s[14:15], s[16:17]
	s_cbranch_execz .LBB621_386
; %bb.383:                              ;   in Loop: Header=BB621_213 Depth=1
	v_and_b32_e32 v40, 0x7f, v38
	v_cmp_ne_u32_e32 vcc, s19, v40
	v_mov_b32_e32 v49, 0x7f800001
	s_and_saveexec_b64 s[16:17], vcc
	s_cbranch_execz .LBB621_385
; %bb.384:                              ;   in Loop: Header=BB621_213 Depth=1
	v_and_b32_e32 v42, 7, v38
	v_ffbh_u32_e32 v49, v42
	v_min_u32_e32 v49, 32, v49
	v_subrev_u32_e32 v51, 28, v49
	v_lshlrev_b64 v[62:63], v51, v[38:39]
	v_lshrrev_b32_e32 v47, 3, v40
	v_sub_u32_e32 v49, 29, v49
	v_and_b32_e32 v51, 7, v62
	v_cmp_gt_u32_e32 vcc, 8, v40
	v_cndmask_b32_e32 v40, v47, v49, vcc
	v_cndmask_b32_e32 v42, v42, v51, vcc
	v_lshlrev_b32_e32 v47, 24, v38
	v_lshlrev_b32_e32 v42, 20, v42
	v_and_b32_e32 v47, 0x80000000, v47
	v_lshl_add_u32 v40, v40, 23, v45
	v_or3_b32 v49, v47, v40, v42
.LBB621_385:                            ;   in Loop: Header=BB621_213 Depth=1
	s_or_b64 exec, exec, s[16:17]
.LBB621_386:                            ;   in Loop: Header=BB621_213 Depth=1
	s_or_b64 exec, exec, s[14:15]
.LBB621_387:                            ;   in Loop: Header=BB621_213 Depth=1
	s_or_b64 exec, exec, s[12:13]
	v_lshrrev_b16_e32 v40, 8, v38
	v_cmp_ne_u16_e32 vcc, 0, v40
	v_mov_b32_e32 v51, 0
	v_mov_b32_e32 v61, 0
	s_and_saveexec_b64 s[12:13], vcc
	s_cbranch_execz .LBB621_393
; %bb.388:                              ;   in Loop: Header=BB621_213 Depth=1
	v_cmp_ne_u16_e32 vcc, s9, v40
	v_bfrev_b32_e32 v61, 1
	s_and_saveexec_b64 s[14:15], vcc
	s_cbranch_execz .LBB621_392
; %bb.389:                              ;   in Loop: Header=BB621_213 Depth=1
	v_and_b32_e32 v42, 0x7f, v40
	v_cmp_ne_u32_e32 vcc, s19, v42
	v_mov_b32_e32 v61, 0x7f800001
	s_and_saveexec_b64 s[16:17], vcc
	s_cbranch_execz .LBB621_391
; %bb.390:                              ;   in Loop: Header=BB621_213 Depth=1
	v_and_b32_e32 v47, 7, v40
	v_ffbh_u32_e32 v62, v47
	v_min_u32_e32 v64, 32, v62
	v_subrev_u32_e32 v62, 28, v64
	v_lshlrev_b64 v[62:63], v62, v[40:41]
	v_lshrrev_b32_e32 v61, 3, v42
	v_sub_u32_e32 v40, 29, v64
	v_and_b32_e32 v62, 7, v62
	v_cmp_gt_u32_e32 vcc, 8, v42
	v_cndmask_b32_e32 v40, v61, v40, vcc
	v_cndmask_b32_e32 v42, v47, v62, vcc
	v_lshlrev_b32_e32 v47, 16, v38
	v_lshlrev_b32_e32 v42, 20, v42
	v_and_b32_e32 v47, 0x80000000, v47
	v_lshl_add_u32 v40, v40, 23, v45
	v_or3_b32 v61, v47, v40, v42
.LBB621_391:                            ;   in Loop: Header=BB621_213 Depth=1
	s_or_b64 exec, exec, s[16:17]
.LBB621_392:                            ;   in Loop: Header=BB621_213 Depth=1
	s_or_b64 exec, exec, s[14:15]
.LBB621_393:                            ;   in Loop: Header=BB621_213 Depth=1
	s_or_b64 exec, exec, s[12:13]
	v_lshrrev_b32_e32 v40, 16, v38
	v_cmp_ne_u16_sdwa s[14:15], v40, v43 src0_sel:BYTE_0 src1_sel:DWORD
	s_and_saveexec_b64 s[12:13], s[14:15]
	s_cbranch_execz .LBB621_399
; %bb.394:                              ;   in Loop: Header=BB621_213 Depth=1
	v_cmp_ne_u16_sdwa s[16:17], v40, s9 src0_sel:BYTE_0 src1_sel:DWORD
	v_bfrev_b32_e32 v51, 1
	s_and_saveexec_b64 s[14:15], s[16:17]
	s_cbranch_execz .LBB621_398
; %bb.395:                              ;   in Loop: Header=BB621_213 Depth=1
	v_bfe_u32 v42, v38, 16, 7
	v_cmp_ne_u32_e32 vcc, s19, v42
	v_mov_b32_e32 v51, 0x7f800001
	s_and_saveexec_b64 s[16:17], vcc
	s_cbranch_execz .LBB621_397
; %bb.396:                              ;   in Loop: Header=BB621_213 Depth=1
	v_and_b32_e32 v47, 7, v40
	v_ffbh_u32_e32 v62, v47
	v_min_u32_e32 v64, 32, v62
	v_subrev_u32_e32 v62, 28, v64
	v_lshlrev_b64 v[62:63], v62, v[40:41]
	v_lshrrev_b32_e32 v51, 3, v42
	v_sub_u32_e32 v63, 29, v64
	v_and_b32_e32 v62, 7, v62
	v_cmp_gt_u32_e32 vcc, 8, v42
	v_cndmask_b32_e32 v42, v51, v63, vcc
	v_cndmask_b32_e32 v47, v47, v62, vcc
	v_lshlrev_b32_e32 v40, 24, v40
	v_lshlrev_b32_e32 v47, 20, v47
	v_and_b32_e32 v40, 0x80000000, v40
	v_lshl_add_u32 v42, v42, 23, v45
	v_or3_b32 v51, v40, v42, v47
.LBB621_397:                            ;   in Loop: Header=BB621_213 Depth=1
	s_or_b64 exec, exec, s[16:17]
.LBB621_398:                            ;   in Loop: Header=BB621_213 Depth=1
	s_or_b64 exec, exec, s[14:15]
.LBB621_399:                            ;   in Loop: Header=BB621_213 Depth=1
	s_or_b64 exec, exec, s[12:13]
	v_cmp_lt_u32_e32 vcc, s20, v38
	v_mov_b32_e32 v47, 0
	v_mov_b32_e32 v62, 0
	s_and_saveexec_b64 s[12:13], vcc
	s_cbranch_execz .LBB621_405
; %bb.400:                              ;   in Loop: Header=BB621_213 Depth=1
	v_lshrrev_b32_e32 v40, 24, v38
	v_cmp_ne_u32_e32 vcc, s9, v40
	v_bfrev_b32_e32 v62, 1
	s_and_saveexec_b64 s[14:15], vcc
	s_cbranch_execz .LBB621_404
; %bb.401:                              ;   in Loop: Header=BB621_213 Depth=1
	v_bfe_u32 v38, v38, 24, 7
	v_cmp_ne_u32_e32 vcc, s19, v38
	v_mov_b32_e32 v62, 0x7f800001
	s_and_saveexec_b64 s[16:17], vcc
	s_cbranch_execz .LBB621_403
; %bb.402:                              ;   in Loop: Header=BB621_213 Depth=1
	v_and_b32_e32 v42, 7, v40
	v_ffbh_u32_e32 v62, v42
	v_min_u32_e32 v65, 32, v62
	v_subrev_u32_e32 v62, 28, v65
	v_lshlrev_b64 v[62:63], v62, v[40:41]
	v_lshrrev_b32_e32 v64, 3, v38
	v_sub_u32_e32 v63, 29, v65
	v_and_b32_e32 v62, 7, v62
	v_cmp_gt_u32_e32 vcc, 8, v38
	v_cndmask_b32_e32 v38, v64, v63, vcc
	v_cndmask_b32_e32 v42, v42, v62, vcc
	v_lshlrev_b32_e32 v40, 24, v40
	v_lshlrev_b32_e32 v42, 20, v42
	v_and_b32_e32 v40, 0x80000000, v40
	v_lshl_add_u32 v38, v38, 23, v45
	v_or3_b32 v62, v40, v38, v42
.LBB621_403:                            ;   in Loop: Header=BB621_213 Depth=1
	s_or_b64 exec, exec, s[16:17]
.LBB621_404:                            ;   in Loop: Header=BB621_213 Depth=1
	s_or_b64 exec, exec, s[14:15]
.LBB621_405:                            ;   in Loop: Header=BB621_213 Depth=1
	s_or_b64 exec, exec, s[12:13]
	v_cvt_pkrtz_f16_f32 v65, v44, v50
	buffer_load_dword v44, v60, s[0:3], 0 offen
	buffer_load_dword v42, v60, s[0:3], 0 offen offset:4
	buffer_load_dword v40, v60, s[0:3], 0 offen offset:8
	;; [unrolled: 1-line block ×3, first 2 shown]
	v_cvt_pkrtz_f16_f32 v64, v46, v48
	v_cvt_pkrtz_f16_f32 v48, v49, v61
	;; [unrolled: 1-line block ×3, first 2 shown]
	v_mfma_f32_16x16x16f16 v[34:37], v[64:65], v[14:15], v[34:37]
	s_waitcnt vmcnt(3)
	v_cmp_ne_u16_sdwa s[14:15], v44, v43 src0_sel:BYTE_0 src1_sel:DWORD
	v_mfma_f32_16x16x16f16 v[34:37], v[48:49], v[16:17], v[34:37]
	s_and_saveexec_b64 s[12:13], s[14:15]
	s_cbranch_execz .LBB621_411
; %bb.406:                              ;   in Loop: Header=BB621_213 Depth=1
	v_cmp_ne_u16_sdwa s[16:17], v44, s9 src0_sel:BYTE_0 src1_sel:DWORD
	v_bfrev_b32_e32 v47, 1
	s_and_saveexec_b64 s[14:15], s[16:17]
	s_cbranch_execz .LBB621_410
; %bb.407:                              ;   in Loop: Header=BB621_213 Depth=1
	v_and_b32_e32 v46, 0x7f, v44
	v_cmp_ne_u32_e32 vcc, s19, v46
	v_mov_b32_e32 v47, 0x7f800001
	s_and_saveexec_b64 s[16:17], vcc
	s_cbranch_execz .LBB621_409
; %bb.408:                              ;   in Loop: Header=BB621_213 Depth=1
	v_and_b32_e32 v47, 7, v44
	v_ffbh_u32_e32 v48, v47
	v_min_u32_e32 v51, 32, v48
	v_subrev_u32_e32 v48, 28, v51
	v_lshlrev_b64 v[48:49], v48, v[44:45]
	v_lshrrev_b32_e32 v50, 3, v46
	v_sub_u32_e32 v49, 29, v51
	v_and_b32_e32 v48, 7, v48
	v_cmp_gt_u32_e32 vcc, 8, v46
	v_cndmask_b32_e32 v46, v50, v49, vcc
	v_cndmask_b32_e32 v47, v47, v48, vcc
	v_lshlrev_b32_e32 v48, 24, v44
	v_lshlrev_b32_e32 v47, 20, v47
	v_and_b32_e32 v48, 0x80000000, v48
	v_lshl_add_u32 v46, v46, 23, v45
	v_or3_b32 v47, v48, v46, v47
.LBB621_409:                            ;   in Loop: Header=BB621_213 Depth=1
	s_or_b64 exec, exec, s[16:17]
.LBB621_410:                            ;   in Loop: Header=BB621_213 Depth=1
	s_or_b64 exec, exec, s[14:15]
.LBB621_411:                            ;   in Loop: Header=BB621_213 Depth=1
	s_or_b64 exec, exec, s[12:13]
	v_lshrrev_b16_e32 v46, 8, v44
	v_cmp_ne_u16_e32 vcc, 0, v46
	v_mov_b32_e32 v48, 0
	v_mov_b32_e32 v49, 0
	s_and_saveexec_b64 s[12:13], vcc
	s_cbranch_execz .LBB621_417
; %bb.412:                              ;   in Loop: Header=BB621_213 Depth=1
	v_cmp_ne_u16_e32 vcc, s9, v46
	v_bfrev_b32_e32 v49, 1
	s_and_saveexec_b64 s[14:15], vcc
	s_cbranch_execz .LBB621_416
; %bb.413:                              ;   in Loop: Header=BB621_213 Depth=1
	v_and_b32_e32 v50, 0x7f, v46
	v_cmp_ne_u32_e32 vcc, s19, v50
	v_mov_b32_e32 v49, 0x7f800001
	s_and_saveexec_b64 s[16:17], vcc
	s_cbranch_execz .LBB621_415
; %bb.414:                              ;   in Loop: Header=BB621_213 Depth=1
	v_and_b32_e32 v49, 7, v46
	v_ffbh_u32_e32 v60, v49
	v_min_u32_e32 v62, 32, v60
	v_subrev_u32_e32 v60, 28, v62
	v_lshlrev_b64 v[60:61], v60, v[46:47]
	v_lshrrev_b32_e32 v51, 3, v50
	v_sub_u32_e32 v46, 29, v62
	v_and_b32_e32 v60, 7, v60
	v_cmp_gt_u32_e32 vcc, 8, v50
	v_cndmask_b32_e32 v46, v51, v46, vcc
	v_cndmask_b32_e32 v49, v49, v60, vcc
	v_lshlrev_b32_e32 v50, 16, v44
	v_lshlrev_b32_e32 v49, 20, v49
	v_and_b32_e32 v50, 0x80000000, v50
	v_lshl_add_u32 v46, v46, 23, v45
	v_or3_b32 v49, v50, v46, v49
.LBB621_415:                            ;   in Loop: Header=BB621_213 Depth=1
	s_or_b64 exec, exec, s[16:17]
.LBB621_416:                            ;   in Loop: Header=BB621_213 Depth=1
	s_or_b64 exec, exec, s[14:15]
.LBB621_417:                            ;   in Loop: Header=BB621_213 Depth=1
	s_or_b64 exec, exec, s[12:13]
	v_lshrrev_b32_e32 v46, 16, v44
	v_cmp_ne_u16_sdwa s[14:15], v46, v43 src0_sel:BYTE_0 src1_sel:DWORD
	s_and_saveexec_b64 s[12:13], s[14:15]
	s_cbranch_execz .LBB621_423
; %bb.418:                              ;   in Loop: Header=BB621_213 Depth=1
	v_cmp_ne_u16_sdwa s[16:17], v46, s9 src0_sel:BYTE_0 src1_sel:DWORD
	v_bfrev_b32_e32 v48, 1
	s_and_saveexec_b64 s[14:15], s[16:17]
	s_cbranch_execz .LBB621_422
; %bb.419:                              ;   in Loop: Header=BB621_213 Depth=1
	v_bfe_u32 v50, v44, 16, 7
	v_cmp_ne_u32_e32 vcc, s19, v50
	v_mov_b32_e32 v48, 0x7f800001
	s_and_saveexec_b64 s[16:17], vcc
	s_cbranch_execz .LBB621_421
; %bb.420:                              ;   in Loop: Header=BB621_213 Depth=1
	v_and_b32_e32 v48, 7, v46
	v_ffbh_u32_e32 v60, v48
	v_min_u32_e32 v62, 32, v60
	v_subrev_u32_e32 v60, 28, v62
	v_lshlrev_b64 v[60:61], v60, v[46:47]
	v_lshrrev_b32_e32 v51, 3, v50
	v_sub_u32_e32 v61, 29, v62
	v_and_b32_e32 v60, 7, v60
	v_cmp_gt_u32_e32 vcc, 8, v50
	v_cndmask_b32_e32 v50, v51, v61, vcc
	v_cndmask_b32_e32 v48, v48, v60, vcc
	v_lshlrev_b32_e32 v46, 24, v46
	v_lshlrev_b32_e32 v48, 20, v48
	v_and_b32_e32 v46, 0x80000000, v46
	v_lshl_add_u32 v50, v50, 23, v45
	v_or3_b32 v48, v46, v50, v48
.LBB621_421:                            ;   in Loop: Header=BB621_213 Depth=1
	s_or_b64 exec, exec, s[16:17]
.LBB621_422:                            ;   in Loop: Header=BB621_213 Depth=1
	s_or_b64 exec, exec, s[14:15]
.LBB621_423:                            ;   in Loop: Header=BB621_213 Depth=1
	s_or_b64 exec, exec, s[12:13]
	v_cmp_lt_u32_e32 vcc, s20, v44
	v_mov_b32_e32 v50, 0
	v_mov_b32_e32 v51, 0
	s_and_saveexec_b64 s[12:13], vcc
	s_cbranch_execz .LBB621_429
; %bb.424:                              ;   in Loop: Header=BB621_213 Depth=1
	v_lshrrev_b32_e32 v46, 24, v44
	v_cmp_ne_u32_e32 vcc, s9, v46
	v_bfrev_b32_e32 v51, 1
	s_and_saveexec_b64 s[14:15], vcc
	s_cbranch_execz .LBB621_428
; %bb.425:                              ;   in Loop: Header=BB621_213 Depth=1
	v_bfe_u32 v44, v44, 24, 7
	v_cmp_ne_u32_e32 vcc, s19, v44
	v_mov_b32_e32 v51, 0x7f800001
	s_and_saveexec_b64 s[16:17], vcc
	s_cbranch_execz .LBB621_427
; %bb.426:                              ;   in Loop: Header=BB621_213 Depth=1
	v_and_b32_e32 v51, 7, v46
	v_ffbh_u32_e32 v60, v51
	v_min_u32_e32 v63, 32, v60
	v_subrev_u32_e32 v60, 28, v63
	v_lshlrev_b64 v[60:61], v60, v[46:47]
	v_lshrrev_b32_e32 v62, 3, v44
	v_sub_u32_e32 v61, 29, v63
	v_and_b32_e32 v60, 7, v60
	v_cmp_gt_u32_e32 vcc, 8, v44
	v_cndmask_b32_e32 v44, v62, v61, vcc
	v_cndmask_b32_e32 v51, v51, v60, vcc
	v_lshlrev_b32_e32 v46, 24, v46
	v_lshlrev_b32_e32 v51, 20, v51
	v_and_b32_e32 v46, 0x80000000, v46
	v_lshl_add_u32 v44, v44, 23, v45
	v_or3_b32 v51, v46, v44, v51
.LBB621_427:                            ;   in Loop: Header=BB621_213 Depth=1
	s_or_b64 exec, exec, s[16:17]
.LBB621_428:                            ;   in Loop: Header=BB621_213 Depth=1
	s_or_b64 exec, exec, s[14:15]
.LBB621_429:                            ;   in Loop: Header=BB621_213 Depth=1
	s_or_b64 exec, exec, s[12:13]
	s_waitcnt vmcnt(2)
	v_cmp_ne_u16_sdwa s[14:15], v42, v43 src0_sel:BYTE_0 src1_sel:DWORD
	s_and_saveexec_b64 s[12:13], s[14:15]
	s_cbranch_execz .LBB621_435
; %bb.430:                              ;   in Loop: Header=BB621_213 Depth=1
	v_cmp_ne_u16_sdwa s[16:17], v42, s9 src0_sel:BYTE_0 src1_sel:DWORD
	v_bfrev_b32_e32 v50, 1
	s_and_saveexec_b64 s[14:15], s[16:17]
	s_cbranch_execz .LBB621_434
; %bb.431:                              ;   in Loop: Header=BB621_213 Depth=1
	v_and_b32_e32 v44, 0x7f, v42
	v_cmp_ne_u32_e32 vcc, s19, v44
	v_mov_b32_e32 v50, 0x7f800001
	s_and_saveexec_b64 s[16:17], vcc
	s_cbranch_execz .LBB621_433
; %bb.432:                              ;   in Loop: Header=BB621_213 Depth=1
	v_and_b32_e32 v46, 7, v42
	v_ffbh_u32_e32 v60, v46
	v_min_u32_e32 v62, 32, v60
	v_subrev_u32_e32 v60, 28, v62
	v_lshlrev_b64 v[60:61], v60, v[42:43]
	v_lshrrev_b32_e32 v50, 3, v44
	v_sub_u32_e32 v61, 29, v62
	v_and_b32_e32 v60, 7, v60
	v_cmp_gt_u32_e32 vcc, 8, v44
	v_cndmask_b32_e32 v44, v50, v61, vcc
	v_cndmask_b32_e32 v46, v46, v60, vcc
	v_lshlrev_b32_e32 v50, 24, v42
	v_lshlrev_b32_e32 v46, 20, v46
	v_and_b32_e32 v50, 0x80000000, v50
	v_lshl_add_u32 v44, v44, 23, v45
	v_or3_b32 v50, v50, v44, v46
.LBB621_433:                            ;   in Loop: Header=BB621_213 Depth=1
	s_or_b64 exec, exec, s[16:17]
.LBB621_434:                            ;   in Loop: Header=BB621_213 Depth=1
	s_or_b64 exec, exec, s[14:15]
.LBB621_435:                            ;   in Loop: Header=BB621_213 Depth=1
	s_or_b64 exec, exec, s[12:13]
	v_lshrrev_b16_e32 v44, 8, v42
	v_cmp_ne_u16_e32 vcc, 0, v44
	v_mov_b32_e32 v60, 0
	v_mov_b32_e32 v61, 0
	s_and_saveexec_b64 s[12:13], vcc
	s_cbranch_execz .LBB621_441
; %bb.436:                              ;   in Loop: Header=BB621_213 Depth=1
	v_cmp_ne_u16_e32 vcc, s9, v44
	v_bfrev_b32_e32 v61, 1
	s_and_saveexec_b64 s[14:15], vcc
	s_cbranch_execz .LBB621_440
; %bb.437:                              ;   in Loop: Header=BB621_213 Depth=1
	v_and_b32_e32 v46, 0x7f, v44
	v_cmp_ne_u32_e32 vcc, s19, v46
	v_mov_b32_e32 v61, 0x7f800001
	s_and_saveexec_b64 s[16:17], vcc
	s_cbranch_execz .LBB621_439
; %bb.438:                              ;   in Loop: Header=BB621_213 Depth=1
	v_and_b32_e32 v61, 7, v44
	v_ffbh_u32_e32 v62, v61
	v_min_u32_e32 v65, 32, v62
	v_subrev_u32_e32 v62, 28, v65
	v_lshlrev_b64 v[62:63], v62, v[44:45]
	v_lshrrev_b32_e32 v64, 3, v46
	v_sub_u32_e32 v44, 29, v65
	v_and_b32_e32 v62, 7, v62
	v_cmp_gt_u32_e32 vcc, 8, v46
	v_cndmask_b32_e32 v44, v64, v44, vcc
	v_cndmask_b32_e32 v46, v61, v62, vcc
	v_lshlrev_b32_e32 v61, 16, v42
	v_lshlrev_b32_e32 v46, 20, v46
	v_and_b32_e32 v61, 0x80000000, v61
	v_lshl_add_u32 v44, v44, 23, v45
	v_or3_b32 v61, v61, v44, v46
.LBB621_439:                            ;   in Loop: Header=BB621_213 Depth=1
	s_or_b64 exec, exec, s[16:17]
.LBB621_440:                            ;   in Loop: Header=BB621_213 Depth=1
	s_or_b64 exec, exec, s[14:15]
.LBB621_441:                            ;   in Loop: Header=BB621_213 Depth=1
	s_or_b64 exec, exec, s[12:13]
	v_lshrrev_b32_e32 v44, 16, v42
	v_cmp_ne_u16_sdwa s[14:15], v44, v43 src0_sel:BYTE_0 src1_sel:DWORD
	s_and_saveexec_b64 s[12:13], s[14:15]
	s_cbranch_execz .LBB621_447
; %bb.442:                              ;   in Loop: Header=BB621_213 Depth=1
	v_cmp_ne_u16_sdwa s[16:17], v44, s9 src0_sel:BYTE_0 src1_sel:DWORD
	v_bfrev_b32_e32 v60, 1
	s_and_saveexec_b64 s[14:15], s[16:17]
	s_cbranch_execz .LBB621_446
; %bb.443:                              ;   in Loop: Header=BB621_213 Depth=1
	v_bfe_u32 v46, v42, 16, 7
	v_cmp_ne_u32_e32 vcc, s19, v46
	v_mov_b32_e32 v60, 0x7f800001
	s_and_saveexec_b64 s[16:17], vcc
	s_cbranch_execz .LBB621_445
; %bb.444:                              ;   in Loop: Header=BB621_213 Depth=1
	v_and_b32_e32 v60, 7, v44
	v_ffbh_u32_e32 v62, v60
	v_min_u32_e32 v65, 32, v62
	v_subrev_u32_e32 v62, 28, v65
	v_lshlrev_b64 v[62:63], v62, v[44:45]
	v_lshrrev_b32_e32 v64, 3, v46
	v_sub_u32_e32 v63, 29, v65
	v_and_b32_e32 v62, 7, v62
	v_cmp_gt_u32_e32 vcc, 8, v46
	v_cndmask_b32_e32 v46, v64, v63, vcc
	v_cndmask_b32_e32 v60, v60, v62, vcc
	v_lshlrev_b32_e32 v44, 24, v44
	v_lshlrev_b32_e32 v60, 20, v60
	v_and_b32_e32 v44, 0x80000000, v44
	v_lshl_add_u32 v46, v46, 23, v45
	v_or3_b32 v60, v44, v46, v60
.LBB621_445:                            ;   in Loop: Header=BB621_213 Depth=1
	s_or_b64 exec, exec, s[16:17]
.LBB621_446:                            ;   in Loop: Header=BB621_213 Depth=1
	s_or_b64 exec, exec, s[14:15]
.LBB621_447:                            ;   in Loop: Header=BB621_213 Depth=1
	s_or_b64 exec, exec, s[12:13]
	v_cmp_lt_u32_e32 vcc, s20, v42
	v_mov_b32_e32 v46, 0
	v_mov_b32_e32 v62, 0
	s_and_saveexec_b64 s[12:13], vcc
	s_cbranch_execz .LBB621_453
; %bb.448:                              ;   in Loop: Header=BB621_213 Depth=1
	v_lshrrev_b32_e32 v44, 24, v42
	v_cmp_ne_u32_e32 vcc, s9, v44
	v_bfrev_b32_e32 v62, 1
	s_and_saveexec_b64 s[14:15], vcc
	s_cbranch_execz .LBB621_452
; %bb.449:                              ;   in Loop: Header=BB621_213 Depth=1
	v_bfe_u32 v42, v42, 24, 7
	v_cmp_ne_u32_e32 vcc, s19, v42
	v_mov_b32_e32 v62, 0x7f800001
	s_and_saveexec_b64 s[16:17], vcc
	s_cbranch_execz .LBB621_451
; %bb.450:                              ;   in Loop: Header=BB621_213 Depth=1
	v_and_b32_e32 v64, 7, v44
	v_ffbh_u32_e32 v62, v64
	v_min_u32_e32 v66, 32, v62
	v_subrev_u32_e32 v62, 28, v66
	v_lshlrev_b64 v[62:63], v62, v[44:45]
	v_lshrrev_b32_e32 v65, 3, v42
	v_sub_u32_e32 v63, 29, v66
	v_and_b32_e32 v62, 7, v62
	v_cmp_gt_u32_e32 vcc, 8, v42
	v_cndmask_b32_e32 v42, v65, v63, vcc
	v_cndmask_b32_e32 v62, v64, v62, vcc
	v_lshlrev_b32_e32 v44, 24, v44
	v_lshlrev_b32_e32 v62, 20, v62
	v_and_b32_e32 v44, 0x80000000, v44
	v_lshl_add_u32 v42, v42, 23, v45
	v_or3_b32 v62, v44, v42, v62
.LBB621_451:                            ;   in Loop: Header=BB621_213 Depth=1
	s_or_b64 exec, exec, s[16:17]
.LBB621_452:                            ;   in Loop: Header=BB621_213 Depth=1
	s_or_b64 exec, exec, s[14:15]
.LBB621_453:                            ;   in Loop: Header=BB621_213 Depth=1
	s_or_b64 exec, exec, s[12:13]
	v_cvt_pkrtz_f16_f32 v64, v47, v49
	v_cvt_pkrtz_f16_f32 v65, v48, v51
	;; [unrolled: 1-line block ×4, first 2 shown]
	s_waitcnt vmcnt(1)
	v_cmp_ne_u16_sdwa s[14:15], v40, v43 src0_sel:BYTE_0 src1_sel:DWORD
	v_mfma_f32_16x16x16f16 v[34:37], v[64:65], v[18:19], v[34:37]
	v_mfma_f32_16x16x16f16 v[34:37], v[48:49], v[20:21], v[34:37]
	s_and_saveexec_b64 s[12:13], s[14:15]
	s_cbranch_execz .LBB621_459
; %bb.454:                              ;   in Loop: Header=BB621_213 Depth=1
	v_cmp_ne_u16_sdwa s[16:17], v40, s9 src0_sel:BYTE_0 src1_sel:DWORD
	v_bfrev_b32_e32 v46, 1
	s_and_saveexec_b64 s[14:15], s[16:17]
	s_cbranch_execz .LBB621_458
; %bb.455:                              ;   in Loop: Header=BB621_213 Depth=1
	v_and_b32_e32 v42, 0x7f, v40
	v_cmp_ne_u32_e32 vcc, s19, v42
	v_mov_b32_e32 v46, 0x7f800001
	s_and_saveexec_b64 s[16:17], vcc
	s_cbranch_execz .LBB621_457
; %bb.456:                              ;   in Loop: Header=BB621_213 Depth=1
	v_and_b32_e32 v44, 7, v40
	v_ffbh_u32_e32 v46, v44
	v_min_u32_e32 v49, 32, v46
	v_subrev_u32_e32 v46, 28, v49
	v_lshlrev_b64 v[46:47], v46, v[40:41]
	v_lshrrev_b32_e32 v48, 3, v42
	v_sub_u32_e32 v47, 29, v49
	v_and_b32_e32 v46, 7, v46
	v_cmp_gt_u32_e32 vcc, 8, v42
	v_cndmask_b32_e32 v42, v48, v47, vcc
	v_cndmask_b32_e32 v44, v44, v46, vcc
	v_lshlrev_b32_e32 v46, 24, v40
	v_lshlrev_b32_e32 v44, 20, v44
	v_and_b32_e32 v46, 0x80000000, v46
	v_lshl_add_u32 v42, v42, 23, v45
	v_or3_b32 v46, v46, v42, v44
.LBB621_457:                            ;   in Loop: Header=BB621_213 Depth=1
	s_or_b64 exec, exec, s[16:17]
.LBB621_458:                            ;   in Loop: Header=BB621_213 Depth=1
	s_or_b64 exec, exec, s[14:15]
.LBB621_459:                            ;   in Loop: Header=BB621_213 Depth=1
	s_or_b64 exec, exec, s[12:13]
	v_lshrrev_b16_e32 v42, 8, v40
	v_cmp_ne_u16_e32 vcc, 0, v42
	v_mov_b32_e32 v44, 0
	v_mov_b32_e32 v48, 0
	s_and_saveexec_b64 s[12:13], vcc
	s_cbranch_execz .LBB621_465
; %bb.460:                              ;   in Loop: Header=BB621_213 Depth=1
	v_cmp_ne_u16_e32 vcc, s9, v42
	v_bfrev_b32_e32 v48, 1
	s_and_saveexec_b64 s[14:15], vcc
	s_cbranch_execz .LBB621_464
; %bb.461:                              ;   in Loop: Header=BB621_213 Depth=1
	v_and_b32_e32 v47, 0x7f, v42
	v_cmp_ne_u32_e32 vcc, s19, v47
	v_mov_b32_e32 v48, 0x7f800001
	s_and_saveexec_b64 s[16:17], vcc
	s_cbranch_execz .LBB621_463
; %bb.462:                              ;   in Loop: Header=BB621_213 Depth=1
	v_and_b32_e32 v50, 7, v42
	v_ffbh_u32_e32 v48, v50
	v_min_u32_e32 v60, 32, v48
	v_subrev_u32_e32 v48, 28, v60
	v_lshlrev_b64 v[48:49], v48, v[42:43]
	v_lshrrev_b32_e32 v51, 3, v47
	v_sub_u32_e32 v42, 29, v60
	v_and_b32_e32 v48, 7, v48
	v_cmp_gt_u32_e32 vcc, 8, v47
	v_cndmask_b32_e32 v42, v51, v42, vcc
	v_cndmask_b32_e32 v47, v50, v48, vcc
	v_lshlrev_b32_e32 v48, 16, v40
	v_lshlrev_b32_e32 v47, 20, v47
	v_and_b32_e32 v48, 0x80000000, v48
	v_lshl_add_u32 v42, v42, 23, v45
	v_or3_b32 v48, v48, v42, v47
.LBB621_463:                            ;   in Loop: Header=BB621_213 Depth=1
	s_or_b64 exec, exec, s[16:17]
.LBB621_464:                            ;   in Loop: Header=BB621_213 Depth=1
	s_or_b64 exec, exec, s[14:15]
.LBB621_465:                            ;   in Loop: Header=BB621_213 Depth=1
	s_or_b64 exec, exec, s[12:13]
	v_lshrrev_b32_e32 v42, 16, v40
	v_cmp_ne_u16_sdwa s[14:15], v42, v43 src0_sel:BYTE_0 src1_sel:DWORD
	s_and_saveexec_b64 s[12:13], s[14:15]
	s_cbranch_execz .LBB621_471
; %bb.466:                              ;   in Loop: Header=BB621_213 Depth=1
	v_cmp_ne_u16_sdwa s[16:17], v42, s9 src0_sel:BYTE_0 src1_sel:DWORD
	v_bfrev_b32_e32 v44, 1
	s_and_saveexec_b64 s[14:15], s[16:17]
	s_cbranch_execz .LBB621_470
; %bb.467:                              ;   in Loop: Header=BB621_213 Depth=1
	v_bfe_u32 v47, v40, 16, 7
	v_cmp_ne_u32_e32 vcc, s19, v47
	v_mov_b32_e32 v44, 0x7f800001
	s_and_saveexec_b64 s[16:17], vcc
	s_cbranch_execz .LBB621_469
; %bb.468:                              ;   in Loop: Header=BB621_213 Depth=1
	v_and_b32_e32 v44, 7, v42
	v_ffbh_u32_e32 v50, v44
	v_min_u32_e32 v60, 32, v50
	v_subrev_u32_e32 v50, 28, v60
	v_lshlrev_b64 v[50:51], v50, v[42:43]
	v_lshrrev_b32_e32 v49, 3, v47
	v_sub_u32_e32 v51, 29, v60
	v_and_b32_e32 v50, 7, v50
	v_cmp_gt_u32_e32 vcc, 8, v47
	v_cndmask_b32_e32 v47, v49, v51, vcc
	v_cndmask_b32_e32 v44, v44, v50, vcc
	v_lshlrev_b32_e32 v42, 24, v42
	v_lshlrev_b32_e32 v44, 20, v44
	v_and_b32_e32 v42, 0x80000000, v42
	v_lshl_add_u32 v47, v47, 23, v45
	v_or3_b32 v44, v42, v47, v44
.LBB621_469:                            ;   in Loop: Header=BB621_213 Depth=1
	s_or_b64 exec, exec, s[16:17]
.LBB621_470:                            ;   in Loop: Header=BB621_213 Depth=1
	s_or_b64 exec, exec, s[14:15]
.LBB621_471:                            ;   in Loop: Header=BB621_213 Depth=1
	s_or_b64 exec, exec, s[12:13]
	v_cmp_lt_u32_e32 vcc, s20, v40
	v_mov_b32_e32 v49, 0
	v_mov_b32_e32 v50, 0
	s_and_saveexec_b64 s[12:13], vcc
	s_cbranch_execz .LBB621_477
; %bb.472:                              ;   in Loop: Header=BB621_213 Depth=1
	v_lshrrev_b32_e32 v42, 24, v40
	v_cmp_ne_u32_e32 vcc, s9, v42
	v_bfrev_b32_e32 v50, 1
	s_and_saveexec_b64 s[14:15], vcc
	s_cbranch_execz .LBB621_476
; %bb.473:                              ;   in Loop: Header=BB621_213 Depth=1
	v_bfe_u32 v40, v40, 24, 7
	v_cmp_ne_u32_e32 vcc, s19, v40
	v_mov_b32_e32 v50, 0x7f800001
	s_and_saveexec_b64 s[16:17], vcc
	s_cbranch_execz .LBB621_475
; %bb.474:                              ;   in Loop: Header=BB621_213 Depth=1
	v_and_b32_e32 v47, 7, v42
	v_ffbh_u32_e32 v50, v47
	v_min_u32_e32 v61, 32, v50
	v_subrev_u32_e32 v50, 28, v61
	v_lshlrev_b64 v[50:51], v50, v[42:43]
	v_lshrrev_b32_e32 v60, 3, v40
	v_sub_u32_e32 v51, 29, v61
	v_and_b32_e32 v50, 7, v50
	v_cmp_gt_u32_e32 vcc, 8, v40
	v_cndmask_b32_e32 v40, v60, v51, vcc
	v_cndmask_b32_e32 v47, v47, v50, vcc
	v_lshlrev_b32_e32 v42, 24, v42
	v_lshlrev_b32_e32 v47, 20, v47
	v_and_b32_e32 v42, 0x80000000, v42
	v_lshl_add_u32 v40, v40, 23, v45
	v_or3_b32 v50, v42, v40, v47
.LBB621_475:                            ;   in Loop: Header=BB621_213 Depth=1
	s_or_b64 exec, exec, s[16:17]
.LBB621_476:                            ;   in Loop: Header=BB621_213 Depth=1
	s_or_b64 exec, exec, s[14:15]
.LBB621_477:                            ;   in Loop: Header=BB621_213 Depth=1
	s_or_b64 exec, exec, s[12:13]
	s_waitcnt vmcnt(0)
	v_cmp_ne_u16_sdwa s[14:15], v38, v43 src0_sel:BYTE_0 src1_sel:DWORD
	s_and_saveexec_b64 s[12:13], s[14:15]
	s_cbranch_execz .LBB621_483
; %bb.478:                              ;   in Loop: Header=BB621_213 Depth=1
	v_cmp_ne_u16_sdwa s[16:17], v38, s9 src0_sel:BYTE_0 src1_sel:DWORD
	v_bfrev_b32_e32 v49, 1
	s_and_saveexec_b64 s[14:15], s[16:17]
	s_cbranch_execz .LBB621_482
; %bb.479:                              ;   in Loop: Header=BB621_213 Depth=1
	v_and_b32_e32 v40, 0x7f, v38
	v_cmp_ne_u32_e32 vcc, s19, v40
	v_mov_b32_e32 v49, 0x7f800001
	s_and_saveexec_b64 s[16:17], vcc
	s_cbranch_execz .LBB621_481
; %bb.480:                              ;   in Loop: Header=BB621_213 Depth=1
	v_and_b32_e32 v42, 7, v38
	v_ffbh_u32_e32 v49, v42
	v_min_u32_e32 v49, 32, v49
	v_subrev_u32_e32 v51, 28, v49
	v_lshlrev_b64 v[60:61], v51, v[38:39]
	v_lshrrev_b32_e32 v47, 3, v40
	v_sub_u32_e32 v49, 29, v49
	v_and_b32_e32 v51, 7, v60
	v_cmp_gt_u32_e32 vcc, 8, v40
	v_cndmask_b32_e32 v40, v47, v49, vcc
	v_cndmask_b32_e32 v42, v42, v51, vcc
	v_lshlrev_b32_e32 v47, 24, v38
	v_lshlrev_b32_e32 v42, 20, v42
	v_and_b32_e32 v47, 0x80000000, v47
	v_lshl_add_u32 v40, v40, 23, v45
	v_or3_b32 v49, v47, v40, v42
.LBB621_481:                            ;   in Loop: Header=BB621_213 Depth=1
	s_or_b64 exec, exec, s[16:17]
.LBB621_482:                            ;   in Loop: Header=BB621_213 Depth=1
	s_or_b64 exec, exec, s[14:15]
.LBB621_483:                            ;   in Loop: Header=BB621_213 Depth=1
	s_or_b64 exec, exec, s[12:13]
	v_lshrrev_b16_e32 v40, 8, v38
	v_cmp_ne_u16_e32 vcc, 0, v40
	v_mov_b32_e32 v51, 0
	v_mov_b32_e32 v60, 0
	s_and_saveexec_b64 s[12:13], vcc
	s_cbranch_execz .LBB621_489
; %bb.484:                              ;   in Loop: Header=BB621_213 Depth=1
	v_cmp_ne_u16_e32 vcc, s9, v40
	v_bfrev_b32_e32 v60, 1
	s_and_saveexec_b64 s[14:15], vcc
	s_cbranch_execz .LBB621_488
; %bb.485:                              ;   in Loop: Header=BB621_213 Depth=1
	v_and_b32_e32 v42, 0x7f, v40
	v_cmp_ne_u32_e32 vcc, s19, v42
	v_mov_b32_e32 v60, 0x7f800001
	s_and_saveexec_b64 s[16:17], vcc
	s_cbranch_execz .LBB621_487
; %bb.486:                              ;   in Loop: Header=BB621_213 Depth=1
	v_and_b32_e32 v47, 7, v40
	v_ffbh_u32_e32 v60, v47
	v_min_u32_e32 v63, 32, v60
	v_subrev_u32_e32 v60, 28, v63
	v_lshlrev_b64 v[60:61], v60, v[40:41]
	v_lshrrev_b32_e32 v62, 3, v42
	v_sub_u32_e32 v40, 29, v63
	v_and_b32_e32 v60, 7, v60
	v_cmp_gt_u32_e32 vcc, 8, v42
	v_cndmask_b32_e32 v40, v62, v40, vcc
	v_cndmask_b32_e32 v42, v47, v60, vcc
	v_lshlrev_b32_e32 v47, 16, v38
	v_lshlrev_b32_e32 v42, 20, v42
	v_and_b32_e32 v47, 0x80000000, v47
	v_lshl_add_u32 v40, v40, 23, v45
	v_or3_b32 v60, v47, v40, v42
.LBB621_487:                            ;   in Loop: Header=BB621_213 Depth=1
	s_or_b64 exec, exec, s[16:17]
.LBB621_488:                            ;   in Loop: Header=BB621_213 Depth=1
	s_or_b64 exec, exec, s[14:15]
.LBB621_489:                            ;   in Loop: Header=BB621_213 Depth=1
	s_or_b64 exec, exec, s[12:13]
	v_lshrrev_b32_e32 v40, 16, v38
	v_cmp_ne_u16_sdwa s[14:15], v40, v43 src0_sel:BYTE_0 src1_sel:DWORD
	s_and_saveexec_b64 s[12:13], s[14:15]
	s_cbranch_execz .LBB621_495
; %bb.490:                              ;   in Loop: Header=BB621_213 Depth=1
	v_cmp_ne_u16_sdwa s[16:17], v40, s9 src0_sel:BYTE_0 src1_sel:DWORD
	v_bfrev_b32_e32 v51, 1
	s_and_saveexec_b64 s[14:15], s[16:17]
	s_cbranch_execz .LBB621_494
; %bb.491:                              ;   in Loop: Header=BB621_213 Depth=1
	v_bfe_u32 v42, v38, 16, 7
	v_cmp_ne_u32_e32 vcc, s19, v42
	v_mov_b32_e32 v51, 0x7f800001
	s_and_saveexec_b64 s[16:17], vcc
	s_cbranch_execz .LBB621_493
; %bb.492:                              ;   in Loop: Header=BB621_213 Depth=1
	v_and_b32_e32 v47, 7, v40
	v_ffbh_u32_e32 v61, v47
	v_min_u32_e32 v61, 32, v61
	v_subrev_u32_e32 v62, 28, v61
	v_lshlrev_b64 v[62:63], v62, v[40:41]
	v_lshrrev_b32_e32 v51, 3, v42
	v_sub_u32_e32 v61, 29, v61
	v_and_b32_e32 v62, 7, v62
	v_cmp_gt_u32_e32 vcc, 8, v42
	v_cndmask_b32_e32 v42, v51, v61, vcc
	v_cndmask_b32_e32 v47, v47, v62, vcc
	v_lshlrev_b32_e32 v40, 24, v40
	v_lshlrev_b32_e32 v47, 20, v47
	v_and_b32_e32 v40, 0x80000000, v40
	v_lshl_add_u32 v42, v42, 23, v45
	v_or3_b32 v51, v40, v42, v47
.LBB621_493:                            ;   in Loop: Header=BB621_213 Depth=1
	s_or_b64 exec, exec, s[16:17]
.LBB621_494:                            ;   in Loop: Header=BB621_213 Depth=1
	s_or_b64 exec, exec, s[14:15]
.LBB621_495:                            ;   in Loop: Header=BB621_213 Depth=1
	s_or_b64 exec, exec, s[12:13]
	v_cmp_lt_u32_e32 vcc, s20, v38
	v_mov_b32_e32 v47, 0
	v_mov_b32_e32 v61, 0
	s_and_saveexec_b64 s[12:13], vcc
	s_cbranch_execz .LBB621_501
; %bb.496:                              ;   in Loop: Header=BB621_213 Depth=1
	v_lshrrev_b32_e32 v40, 24, v38
	v_cmp_ne_u32_e32 vcc, s9, v40
	v_bfrev_b32_e32 v61, 1
	s_and_saveexec_b64 s[14:15], vcc
	s_cbranch_execz .LBB621_500
; %bb.497:                              ;   in Loop: Header=BB621_213 Depth=1
	v_bfe_u32 v38, v38, 24, 7
	v_cmp_ne_u32_e32 vcc, s19, v38
	v_mov_b32_e32 v61, 0x7f800001
	s_and_saveexec_b64 s[16:17], vcc
	s_cbranch_execz .LBB621_499
; %bb.498:                              ;   in Loop: Header=BB621_213 Depth=1
	v_and_b32_e32 v42, 7, v40
	v_ffbh_u32_e32 v62, v42
	v_min_u32_e32 v64, 32, v62
	v_subrev_u32_e32 v62, 28, v64
	v_lshlrev_b64 v[62:63], v62, v[40:41]
	v_lshrrev_b32_e32 v61, 3, v38
	v_sub_u32_e32 v63, 29, v64
	v_and_b32_e32 v62, 7, v62
	v_cmp_gt_u32_e32 vcc, 8, v38
	v_cndmask_b32_e32 v38, v61, v63, vcc
	v_cndmask_b32_e32 v42, v42, v62, vcc
	v_lshlrev_b32_e32 v40, 24, v40
	v_lshlrev_b32_e32 v42, 20, v42
	v_and_b32_e32 v40, 0x80000000, v40
	v_lshl_add_u32 v38, v38, 23, v45
	v_or3_b32 v61, v40, v38, v42
.LBB621_499:                            ;   in Loop: Header=BB621_213 Depth=1
	s_or_b64 exec, exec, s[16:17]
.LBB621_500:                            ;   in Loop: Header=BB621_213 Depth=1
	s_or_b64 exec, exec, s[14:15]
.LBB621_501:                            ;   in Loop: Header=BB621_213 Depth=1
	s_or_b64 exec, exec, s[12:13]
	v_cvt_pkrtz_f16_f32 v63, v44, v50
	buffer_load_dword v44, v59, s[0:3], 0 offen
	buffer_load_dword v42, v59, s[0:3], 0 offen offset:4
	buffer_load_dword v40, v59, s[0:3], 0 offen offset:8
	buffer_load_dword v38, v59, s[0:3], 0 offen offset:12
	v_cvt_pkrtz_f16_f32 v62, v46, v48
	v_cvt_pkrtz_f16_f32 v48, v49, v60
	v_cvt_pkrtz_f16_f32 v49, v51, v61
	v_mfma_f32_16x16x16f16 v[34:37], v[62:63], v[22:23], v[34:37]
	s_waitcnt vmcnt(3)
	v_cmp_ne_u16_sdwa s[14:15], v44, v43 src0_sel:BYTE_0 src1_sel:DWORD
	v_mfma_f32_16x16x16f16 v[34:37], v[48:49], v[24:25], v[34:37]
	s_and_saveexec_b64 s[12:13], s[14:15]
	s_cbranch_execz .LBB621_507
; %bb.502:                              ;   in Loop: Header=BB621_213 Depth=1
	v_cmp_ne_u16_sdwa s[16:17], v44, s9 src0_sel:BYTE_0 src1_sel:DWORD
	v_bfrev_b32_e32 v47, 1
	s_and_saveexec_b64 s[14:15], s[16:17]
	s_cbranch_execz .LBB621_506
; %bb.503:                              ;   in Loop: Header=BB621_213 Depth=1
	v_and_b32_e32 v46, 0x7f, v44
	v_cmp_ne_u32_e32 vcc, s19, v46
	v_mov_b32_e32 v47, 0x7f800001
	s_and_saveexec_b64 s[16:17], vcc
	s_cbranch_execz .LBB621_505
; %bb.504:                              ;   in Loop: Header=BB621_213 Depth=1
	v_and_b32_e32 v47, 7, v44
	v_ffbh_u32_e32 v48, v47
	v_min_u32_e32 v51, 32, v48
	v_subrev_u32_e32 v48, 28, v51
	v_lshlrev_b64 v[48:49], v48, v[44:45]
	v_lshrrev_b32_e32 v50, 3, v46
	v_sub_u32_e32 v49, 29, v51
	v_and_b32_e32 v48, 7, v48
	v_cmp_gt_u32_e32 vcc, 8, v46
	v_cndmask_b32_e32 v46, v50, v49, vcc
	v_cndmask_b32_e32 v47, v47, v48, vcc
	v_lshlrev_b32_e32 v48, 24, v44
	v_lshlrev_b32_e32 v47, 20, v47
	v_and_b32_e32 v48, 0x80000000, v48
	v_lshl_add_u32 v46, v46, 23, v45
	v_or3_b32 v47, v48, v46, v47
.LBB621_505:                            ;   in Loop: Header=BB621_213 Depth=1
	s_or_b64 exec, exec, s[16:17]
.LBB621_506:                            ;   in Loop: Header=BB621_213 Depth=1
	s_or_b64 exec, exec, s[14:15]
.LBB621_507:                            ;   in Loop: Header=BB621_213 Depth=1
	s_or_b64 exec, exec, s[12:13]
	v_lshrrev_b16_e32 v46, 8, v44
	v_cmp_ne_u16_e32 vcc, 0, v46
	v_mov_b32_e32 v48, 0
	v_mov_b32_e32 v49, 0
	s_and_saveexec_b64 s[12:13], vcc
	s_cbranch_execz .LBB621_513
; %bb.508:                              ;   in Loop: Header=BB621_213 Depth=1
	v_cmp_ne_u16_e32 vcc, s9, v46
	v_bfrev_b32_e32 v49, 1
	s_and_saveexec_b64 s[14:15], vcc
	s_cbranch_execz .LBB621_512
; %bb.509:                              ;   in Loop: Header=BB621_213 Depth=1
	v_and_b32_e32 v50, 0x7f, v46
	v_cmp_ne_u32_e32 vcc, s19, v50
	v_mov_b32_e32 v49, 0x7f800001
	s_and_saveexec_b64 s[16:17], vcc
	s_cbranch_execz .LBB621_511
; %bb.510:                              ;   in Loop: Header=BB621_213 Depth=1
	v_and_b32_e32 v49, 7, v46
	v_ffbh_u32_e32 v59, v49
	v_min_u32_e32 v59, 32, v59
	v_subrev_u32_e32 v60, 28, v59
	v_lshlrev_b64 v[60:61], v60, v[46:47]
	v_lshrrev_b32_e32 v51, 3, v50
	v_sub_u32_e32 v46, 29, v59
	v_and_b32_e32 v59, 7, v60
	v_cmp_gt_u32_e32 vcc, 8, v50
	v_cndmask_b32_e32 v46, v51, v46, vcc
	v_cndmask_b32_e32 v49, v49, v59, vcc
	v_lshlrev_b32_e32 v50, 16, v44
	v_lshlrev_b32_e32 v49, 20, v49
	v_and_b32_e32 v50, 0x80000000, v50
	v_lshl_add_u32 v46, v46, 23, v45
	v_or3_b32 v49, v50, v46, v49
.LBB621_511:                            ;   in Loop: Header=BB621_213 Depth=1
	s_or_b64 exec, exec, s[16:17]
.LBB621_512:                            ;   in Loop: Header=BB621_213 Depth=1
	s_or_b64 exec, exec, s[14:15]
.LBB621_513:                            ;   in Loop: Header=BB621_213 Depth=1
	s_or_b64 exec, exec, s[12:13]
	v_lshrrev_b32_e32 v46, 16, v44
	v_cmp_ne_u16_sdwa s[14:15], v46, v43 src0_sel:BYTE_0 src1_sel:DWORD
	s_and_saveexec_b64 s[12:13], s[14:15]
	s_cbranch_execz .LBB621_519
; %bb.514:                              ;   in Loop: Header=BB621_213 Depth=1
	v_cmp_ne_u16_sdwa s[16:17], v46, s9 src0_sel:BYTE_0 src1_sel:DWORD
	v_bfrev_b32_e32 v48, 1
	s_and_saveexec_b64 s[14:15], s[16:17]
	s_cbranch_execz .LBB621_518
; %bb.515:                              ;   in Loop: Header=BB621_213 Depth=1
	v_bfe_u32 v50, v44, 16, 7
	v_cmp_ne_u32_e32 vcc, s19, v50
	v_mov_b32_e32 v48, 0x7f800001
	s_and_saveexec_b64 s[16:17], vcc
	s_cbranch_execz .LBB621_517
; %bb.516:                              ;   in Loop: Header=BB621_213 Depth=1
	v_and_b32_e32 v48, 7, v46
	v_ffbh_u32_e32 v59, v48
	v_min_u32_e32 v59, 32, v59
	v_subrev_u32_e32 v60, 28, v59
	v_lshlrev_b64 v[60:61], v60, v[46:47]
	v_lshrrev_b32_e32 v51, 3, v50
	v_sub_u32_e32 v59, 29, v59
	v_and_b32_e32 v60, 7, v60
	v_cmp_gt_u32_e32 vcc, 8, v50
	v_cndmask_b32_e32 v50, v51, v59, vcc
	v_cndmask_b32_e32 v48, v48, v60, vcc
	v_lshlrev_b32_e32 v46, 24, v46
	v_lshlrev_b32_e32 v48, 20, v48
	v_and_b32_e32 v46, 0x80000000, v46
	v_lshl_add_u32 v50, v50, 23, v45
	v_or3_b32 v48, v46, v50, v48
.LBB621_517:                            ;   in Loop: Header=BB621_213 Depth=1
	s_or_b64 exec, exec, s[16:17]
.LBB621_518:                            ;   in Loop: Header=BB621_213 Depth=1
	s_or_b64 exec, exec, s[14:15]
.LBB621_519:                            ;   in Loop: Header=BB621_213 Depth=1
	s_or_b64 exec, exec, s[12:13]
	v_cmp_lt_u32_e32 vcc, s20, v44
	v_mov_b32_e32 v50, 0
	v_mov_b32_e32 v51, 0
	s_and_saveexec_b64 s[12:13], vcc
	s_cbranch_execz .LBB621_525
; %bb.520:                              ;   in Loop: Header=BB621_213 Depth=1
	v_lshrrev_b32_e32 v46, 24, v44
	v_cmp_ne_u32_e32 vcc, s9, v46
	v_bfrev_b32_e32 v51, 1
	s_and_saveexec_b64 s[14:15], vcc
	s_cbranch_execz .LBB621_524
; %bb.521:                              ;   in Loop: Header=BB621_213 Depth=1
	v_bfe_u32 v44, v44, 24, 7
	v_cmp_ne_u32_e32 vcc, s19, v44
	v_mov_b32_e32 v51, 0x7f800001
	s_and_saveexec_b64 s[16:17], vcc
	s_cbranch_execz .LBB621_523
; %bb.522:                              ;   in Loop: Header=BB621_213 Depth=1
	v_and_b32_e32 v51, 7, v46
	v_ffbh_u32_e32 v60, v51
	v_min_u32_e32 v62, 32, v60
	v_subrev_u32_e32 v60, 28, v62
	v_lshlrev_b64 v[60:61], v60, v[46:47]
	v_lshrrev_b32_e32 v59, 3, v44
	v_sub_u32_e32 v61, 29, v62
	v_and_b32_e32 v60, 7, v60
	v_cmp_gt_u32_e32 vcc, 8, v44
	v_cndmask_b32_e32 v44, v59, v61, vcc
	v_cndmask_b32_e32 v51, v51, v60, vcc
	v_lshlrev_b32_e32 v46, 24, v46
	v_lshlrev_b32_e32 v51, 20, v51
	v_and_b32_e32 v46, 0x80000000, v46
	v_lshl_add_u32 v44, v44, 23, v45
	v_or3_b32 v51, v46, v44, v51
.LBB621_523:                            ;   in Loop: Header=BB621_213 Depth=1
	s_or_b64 exec, exec, s[16:17]
.LBB621_524:                            ;   in Loop: Header=BB621_213 Depth=1
	s_or_b64 exec, exec, s[14:15]
.LBB621_525:                            ;   in Loop: Header=BB621_213 Depth=1
	s_or_b64 exec, exec, s[12:13]
	s_waitcnt vmcnt(2)
	v_cmp_ne_u16_sdwa s[14:15], v42, v43 src0_sel:BYTE_0 src1_sel:DWORD
	s_and_saveexec_b64 s[12:13], s[14:15]
	s_cbranch_execz .LBB621_531
; %bb.526:                              ;   in Loop: Header=BB621_213 Depth=1
	v_cmp_ne_u16_sdwa s[16:17], v42, s9 src0_sel:BYTE_0 src1_sel:DWORD
	v_bfrev_b32_e32 v50, 1
	s_and_saveexec_b64 s[14:15], s[16:17]
	s_cbranch_execz .LBB621_530
; %bb.527:                              ;   in Loop: Header=BB621_213 Depth=1
	v_and_b32_e32 v44, 0x7f, v42
	v_cmp_ne_u32_e32 vcc, s19, v44
	v_mov_b32_e32 v50, 0x7f800001
	s_and_saveexec_b64 s[16:17], vcc
	s_cbranch_execz .LBB621_529
; %bb.528:                              ;   in Loop: Header=BB621_213 Depth=1
	v_and_b32_e32 v46, 7, v42
	v_ffbh_u32_e32 v59, v46
	v_min_u32_e32 v59, 32, v59
	v_subrev_u32_e32 v60, 28, v59
	v_lshlrev_b64 v[60:61], v60, v[42:43]
	v_lshrrev_b32_e32 v50, 3, v44
	v_sub_u32_e32 v59, 29, v59
	v_and_b32_e32 v60, 7, v60
	v_cmp_gt_u32_e32 vcc, 8, v44
	v_cndmask_b32_e32 v44, v50, v59, vcc
	v_cndmask_b32_e32 v46, v46, v60, vcc
	v_lshlrev_b32_e32 v50, 24, v42
	v_lshlrev_b32_e32 v46, 20, v46
	v_and_b32_e32 v50, 0x80000000, v50
	v_lshl_add_u32 v44, v44, 23, v45
	v_or3_b32 v50, v50, v44, v46
.LBB621_529:                            ;   in Loop: Header=BB621_213 Depth=1
	s_or_b64 exec, exec, s[16:17]
.LBB621_530:                            ;   in Loop: Header=BB621_213 Depth=1
	s_or_b64 exec, exec, s[14:15]
.LBB621_531:                            ;   in Loop: Header=BB621_213 Depth=1
	s_or_b64 exec, exec, s[12:13]
	v_lshrrev_b16_e32 v44, 8, v42
	v_cmp_ne_u16_e32 vcc, 0, v44
	v_mov_b32_e32 v59, 0
	v_mov_b32_e32 v60, 0
	s_and_saveexec_b64 s[12:13], vcc
	s_cbranch_execz .LBB621_537
; %bb.532:                              ;   in Loop: Header=BB621_213 Depth=1
	v_cmp_ne_u16_e32 vcc, s9, v44
	v_bfrev_b32_e32 v60, 1
	s_and_saveexec_b64 s[14:15], vcc
	s_cbranch_execz .LBB621_536
; %bb.533:                              ;   in Loop: Header=BB621_213 Depth=1
	v_and_b32_e32 v46, 0x7f, v44
	v_cmp_ne_u32_e32 vcc, s19, v46
	v_mov_b32_e32 v60, 0x7f800001
	s_and_saveexec_b64 s[16:17], vcc
	s_cbranch_execz .LBB621_535
; %bb.534:                              ;   in Loop: Header=BB621_213 Depth=1
	v_and_b32_e32 v62, 7, v44
	v_ffbh_u32_e32 v60, v62
	v_min_u32_e32 v64, 32, v60
	v_subrev_u32_e32 v60, 28, v64
	v_lshlrev_b64 v[60:61], v60, v[44:45]
	v_lshrrev_b32_e32 v63, 3, v46
	v_sub_u32_e32 v44, 29, v64
	v_and_b32_e32 v60, 7, v60
	v_cmp_gt_u32_e32 vcc, 8, v46
	v_cndmask_b32_e32 v44, v63, v44, vcc
	v_cndmask_b32_e32 v46, v62, v60, vcc
	v_lshlrev_b32_e32 v60, 16, v42
	v_lshlrev_b32_e32 v46, 20, v46
	v_and_b32_e32 v60, 0x80000000, v60
	v_lshl_add_u32 v44, v44, 23, v45
	v_or3_b32 v60, v60, v44, v46
.LBB621_535:                            ;   in Loop: Header=BB621_213 Depth=1
	s_or_b64 exec, exec, s[16:17]
.LBB621_536:                            ;   in Loop: Header=BB621_213 Depth=1
	s_or_b64 exec, exec, s[14:15]
.LBB621_537:                            ;   in Loop: Header=BB621_213 Depth=1
	s_or_b64 exec, exec, s[12:13]
	v_lshrrev_b32_e32 v44, 16, v42
	v_cmp_ne_u16_sdwa s[14:15], v44, v43 src0_sel:BYTE_0 src1_sel:DWORD
	s_and_saveexec_b64 s[12:13], s[14:15]
	s_cbranch_execz .LBB621_543
; %bb.538:                              ;   in Loop: Header=BB621_213 Depth=1
	v_cmp_ne_u16_sdwa s[16:17], v44, s9 src0_sel:BYTE_0 src1_sel:DWORD
	v_bfrev_b32_e32 v59, 1
	s_and_saveexec_b64 s[14:15], s[16:17]
	s_cbranch_execz .LBB621_542
; %bb.539:                              ;   in Loop: Header=BB621_213 Depth=1
	v_bfe_u32 v46, v42, 16, 7
	v_cmp_ne_u32_e32 vcc, s19, v46
	v_mov_b32_e32 v59, 0x7f800001
	s_and_saveexec_b64 s[16:17], vcc
	s_cbranch_execz .LBB621_541
; %bb.540:                              ;   in Loop: Header=BB621_213 Depth=1
	v_and_b32_e32 v59, 7, v44
	v_ffbh_u32_e32 v62, v59
	v_min_u32_e32 v64, 32, v62
	v_subrev_u32_e32 v62, 28, v64
	v_lshlrev_b64 v[62:63], v62, v[44:45]
	v_lshrrev_b32_e32 v61, 3, v46
	v_sub_u32_e32 v63, 29, v64
	v_and_b32_e32 v62, 7, v62
	v_cmp_gt_u32_e32 vcc, 8, v46
	v_cndmask_b32_e32 v46, v61, v63, vcc
	v_cndmask_b32_e32 v59, v59, v62, vcc
	v_lshlrev_b32_e32 v44, 24, v44
	v_lshlrev_b32_e32 v59, 20, v59
	v_and_b32_e32 v44, 0x80000000, v44
	v_lshl_add_u32 v46, v46, 23, v45
	v_or3_b32 v59, v44, v46, v59
.LBB621_541:                            ;   in Loop: Header=BB621_213 Depth=1
	s_or_b64 exec, exec, s[16:17]
.LBB621_542:                            ;   in Loop: Header=BB621_213 Depth=1
	s_or_b64 exec, exec, s[14:15]
.LBB621_543:                            ;   in Loop: Header=BB621_213 Depth=1
	s_or_b64 exec, exec, s[12:13]
	v_cmp_lt_u32_e32 vcc, s20, v42
	v_mov_b32_e32 v46, 0
	v_mov_b32_e32 v61, 0
	s_and_saveexec_b64 s[12:13], vcc
	s_cbranch_execz .LBB621_549
; %bb.544:                              ;   in Loop: Header=BB621_213 Depth=1
	v_lshrrev_b32_e32 v44, 24, v42
	v_cmp_ne_u32_e32 vcc, s9, v44
	v_bfrev_b32_e32 v61, 1
	s_and_saveexec_b64 s[14:15], vcc
	s_cbranch_execz .LBB621_548
; %bb.545:                              ;   in Loop: Header=BB621_213 Depth=1
	v_bfe_u32 v42, v42, 24, 7
	v_cmp_ne_u32_e32 vcc, s19, v42
	v_mov_b32_e32 v61, 0x7f800001
	s_and_saveexec_b64 s[16:17], vcc
	s_cbranch_execz .LBB621_547
; %bb.546:                              ;   in Loop: Header=BB621_213 Depth=1
	v_and_b32_e32 v61, 7, v44
	v_ffbh_u32_e32 v62, v61
	v_min_u32_e32 v65, 32, v62
	v_subrev_u32_e32 v62, 28, v65
	v_lshlrev_b64 v[62:63], v62, v[44:45]
	v_lshrrev_b32_e32 v64, 3, v42
	v_sub_u32_e32 v63, 29, v65
	v_and_b32_e32 v62, 7, v62
	v_cmp_gt_u32_e32 vcc, 8, v42
	v_cndmask_b32_e32 v42, v64, v63, vcc
	v_cndmask_b32_e32 v61, v61, v62, vcc
	v_lshlrev_b32_e32 v44, 24, v44
	v_lshlrev_b32_e32 v61, 20, v61
	v_and_b32_e32 v44, 0x80000000, v44
	v_lshl_add_u32 v42, v42, 23, v45
	v_or3_b32 v61, v44, v42, v61
.LBB621_547:                            ;   in Loop: Header=BB621_213 Depth=1
	s_or_b64 exec, exec, s[16:17]
.LBB621_548:                            ;   in Loop: Header=BB621_213 Depth=1
	s_or_b64 exec, exec, s[14:15]
.LBB621_549:                            ;   in Loop: Header=BB621_213 Depth=1
	s_or_b64 exec, exec, s[12:13]
	v_cvt_pkrtz_f16_f32 v62, v47, v49
	v_cvt_pkrtz_f16_f32 v63, v48, v51
	;; [unrolled: 1-line block ×4, first 2 shown]
	s_waitcnt vmcnt(1)
	v_cmp_ne_u16_sdwa s[14:15], v40, v43 src0_sel:BYTE_0 src1_sel:DWORD
	v_mfma_f32_16x16x16f16 v[34:37], v[62:63], v[26:27], v[34:37]
	v_mfma_f32_16x16x16f16 v[34:37], v[48:49], v[28:29], v[34:37]
	s_and_saveexec_b64 s[12:13], s[14:15]
	s_cbranch_execz .LBB621_555
; %bb.550:                              ;   in Loop: Header=BB621_213 Depth=1
	v_cmp_ne_u16_sdwa s[16:17], v40, s9 src0_sel:BYTE_0 src1_sel:DWORD
	v_bfrev_b32_e32 v46, 1
	s_and_saveexec_b64 s[14:15], s[16:17]
	s_cbranch_execz .LBB621_554
; %bb.551:                              ;   in Loop: Header=BB621_213 Depth=1
	v_and_b32_e32 v42, 0x7f, v40
	v_cmp_ne_u32_e32 vcc, s19, v42
	v_mov_b32_e32 v46, 0x7f800001
	s_and_saveexec_b64 s[16:17], vcc
	s_cbranch_execz .LBB621_553
; %bb.552:                              ;   in Loop: Header=BB621_213 Depth=1
	v_and_b32_e32 v44, 7, v40
	v_ffbh_u32_e32 v46, v44
	v_min_u32_e32 v49, 32, v46
	v_subrev_u32_e32 v46, 28, v49
	v_lshlrev_b64 v[46:47], v46, v[40:41]
	v_lshrrev_b32_e32 v48, 3, v42
	v_sub_u32_e32 v47, 29, v49
	v_and_b32_e32 v46, 7, v46
	v_cmp_gt_u32_e32 vcc, 8, v42
	v_cndmask_b32_e32 v42, v48, v47, vcc
	v_cndmask_b32_e32 v44, v44, v46, vcc
	v_lshlrev_b32_e32 v46, 24, v40
	v_lshlrev_b32_e32 v44, 20, v44
	v_and_b32_e32 v46, 0x80000000, v46
	v_lshl_add_u32 v42, v42, 23, v45
	v_or3_b32 v46, v46, v42, v44
.LBB621_553:                            ;   in Loop: Header=BB621_213 Depth=1
	s_or_b64 exec, exec, s[16:17]
.LBB621_554:                            ;   in Loop: Header=BB621_213 Depth=1
	s_or_b64 exec, exec, s[14:15]
.LBB621_555:                            ;   in Loop: Header=BB621_213 Depth=1
	s_or_b64 exec, exec, s[12:13]
	v_lshrrev_b16_e32 v42, 8, v40
	v_cmp_ne_u16_e32 vcc, 0, v42
	v_mov_b32_e32 v44, 0
	v_mov_b32_e32 v47, 0
	s_and_saveexec_b64 s[12:13], vcc
	s_cbranch_execz .LBB621_561
; %bb.556:                              ;   in Loop: Header=BB621_213 Depth=1
	v_cmp_ne_u16_e32 vcc, s9, v42
	v_bfrev_b32_e32 v47, 1
	s_and_saveexec_b64 s[14:15], vcc
	s_cbranch_execz .LBB621_560
; %bb.557:                              ;   in Loop: Header=BB621_213 Depth=1
	v_and_b32_e32 v48, 0x7f, v42
	v_cmp_ne_u32_e32 vcc, s19, v48
	v_mov_b32_e32 v47, 0x7f800001
	s_and_saveexec_b64 s[16:17], vcc
	s_cbranch_execz .LBB621_559
; %bb.558:                              ;   in Loop: Header=BB621_213 Depth=1
	v_and_b32_e32 v47, 7, v42
	v_ffbh_u32_e32 v50, v47
	v_min_u32_e32 v59, 32, v50
	v_subrev_u32_e32 v50, 28, v59
	v_lshlrev_b64 v[50:51], v50, v[42:43]
	v_lshrrev_b32_e32 v49, 3, v48
	v_sub_u32_e32 v42, 29, v59
	v_and_b32_e32 v50, 7, v50
	v_cmp_gt_u32_e32 vcc, 8, v48
	v_cndmask_b32_e32 v42, v49, v42, vcc
	v_cndmask_b32_e32 v47, v47, v50, vcc
	v_lshlrev_b32_e32 v48, 16, v40
	v_lshlrev_b32_e32 v47, 20, v47
	v_and_b32_e32 v48, 0x80000000, v48
	v_lshl_add_u32 v42, v42, 23, v45
	v_or3_b32 v47, v48, v42, v47
.LBB621_559:                            ;   in Loop: Header=BB621_213 Depth=1
	s_or_b64 exec, exec, s[16:17]
.LBB621_560:                            ;   in Loop: Header=BB621_213 Depth=1
	s_or_b64 exec, exec, s[14:15]
.LBB621_561:                            ;   in Loop: Header=BB621_213 Depth=1
	s_or_b64 exec, exec, s[12:13]
	v_lshrrev_b32_e32 v42, 16, v40
	v_cmp_ne_u16_sdwa s[14:15], v42, v43 src0_sel:BYTE_0 src1_sel:DWORD
	s_and_saveexec_b64 s[12:13], s[14:15]
	s_cbranch_execz .LBB621_567
; %bb.562:                              ;   in Loop: Header=BB621_213 Depth=1
	v_cmp_ne_u16_sdwa s[16:17], v42, s9 src0_sel:BYTE_0 src1_sel:DWORD
	v_bfrev_b32_e32 v44, 1
	s_and_saveexec_b64 s[14:15], s[16:17]
	s_cbranch_execz .LBB621_566
; %bb.563:                              ;   in Loop: Header=BB621_213 Depth=1
	v_bfe_u32 v48, v40, 16, 7
	v_cmp_ne_u32_e32 vcc, s19, v48
	v_mov_b32_e32 v44, 0x7f800001
	s_and_saveexec_b64 s[16:17], vcc
	s_cbranch_execz .LBB621_565
; %bb.564:                              ;   in Loop: Header=BB621_213 Depth=1
	v_and_b32_e32 v44, 7, v42
	v_ffbh_u32_e32 v50, v44
	v_min_u32_e32 v59, 32, v50
	v_subrev_u32_e32 v50, 28, v59
	v_lshlrev_b64 v[50:51], v50, v[42:43]
	v_lshrrev_b32_e32 v49, 3, v48
	v_sub_u32_e32 v51, 29, v59
	v_and_b32_e32 v50, 7, v50
	v_cmp_gt_u32_e32 vcc, 8, v48
	v_cndmask_b32_e32 v48, v49, v51, vcc
	v_cndmask_b32_e32 v44, v44, v50, vcc
	v_lshlrev_b32_e32 v42, 24, v42
	v_lshlrev_b32_e32 v44, 20, v44
	v_and_b32_e32 v42, 0x80000000, v42
	v_lshl_add_u32 v48, v48, 23, v45
	v_or3_b32 v44, v42, v48, v44
.LBB621_565:                            ;   in Loop: Header=BB621_213 Depth=1
	s_or_b64 exec, exec, s[16:17]
.LBB621_566:                            ;   in Loop: Header=BB621_213 Depth=1
	s_or_b64 exec, exec, s[14:15]
.LBB621_567:                            ;   in Loop: Header=BB621_213 Depth=1
	s_or_b64 exec, exec, s[12:13]
	v_cmp_lt_u32_e32 vcc, s20, v40
	v_mov_b32_e32 v48, 0
	v_mov_b32_e32 v49, 0
	s_and_saveexec_b64 s[12:13], vcc
	s_cbranch_execz .LBB621_573
; %bb.568:                              ;   in Loop: Header=BB621_213 Depth=1
	v_lshrrev_b32_e32 v42, 24, v40
	v_cmp_ne_u32_e32 vcc, s9, v42
	v_bfrev_b32_e32 v49, 1
	s_and_saveexec_b64 s[14:15], vcc
	s_cbranch_execz .LBB621_572
; %bb.569:                              ;   in Loop: Header=BB621_213 Depth=1
	v_bfe_u32 v40, v40, 24, 7
	v_cmp_ne_u32_e32 vcc, s19, v40
	v_mov_b32_e32 v49, 0x7f800001
	s_and_saveexec_b64 s[16:17], vcc
	s_cbranch_execz .LBB621_571
; %bb.570:                              ;   in Loop: Header=BB621_213 Depth=1
	v_and_b32_e32 v49, 7, v42
	v_ffbh_u32_e32 v50, v49
	v_min_u32_e32 v60, 32, v50
	v_subrev_u32_e32 v50, 28, v60
	v_lshlrev_b64 v[50:51], v50, v[42:43]
	v_lshrrev_b32_e32 v59, 3, v40
	v_sub_u32_e32 v51, 29, v60
	v_and_b32_e32 v50, 7, v50
	v_cmp_gt_u32_e32 vcc, 8, v40
	v_cndmask_b32_e32 v40, v59, v51, vcc
	v_cndmask_b32_e32 v49, v49, v50, vcc
	v_lshlrev_b32_e32 v42, 24, v42
	v_lshlrev_b32_e32 v49, 20, v49
	v_and_b32_e32 v42, 0x80000000, v42
	v_lshl_add_u32 v40, v40, 23, v45
	v_or3_b32 v49, v42, v40, v49
.LBB621_571:                            ;   in Loop: Header=BB621_213 Depth=1
	s_or_b64 exec, exec, s[16:17]
.LBB621_572:                            ;   in Loop: Header=BB621_213 Depth=1
	s_or_b64 exec, exec, s[14:15]
.LBB621_573:                            ;   in Loop: Header=BB621_213 Depth=1
	s_or_b64 exec, exec, s[12:13]
	s_waitcnt vmcnt(0)
	v_cmp_ne_u16_sdwa s[14:15], v38, v43 src0_sel:BYTE_0 src1_sel:DWORD
	s_and_saveexec_b64 s[12:13], s[14:15]
	s_cbranch_execz .LBB621_579
; %bb.574:                              ;   in Loop: Header=BB621_213 Depth=1
	v_cmp_ne_u16_sdwa s[16:17], v38, s9 src0_sel:BYTE_0 src1_sel:DWORD
	v_bfrev_b32_e32 v48, 1
	s_and_saveexec_b64 s[14:15], s[16:17]
	s_cbranch_execz .LBB621_578
; %bb.575:                              ;   in Loop: Header=BB621_213 Depth=1
	v_and_b32_e32 v40, 0x7f, v38
	v_cmp_ne_u32_e32 vcc, s19, v40
	v_mov_b32_e32 v48, 0x7f800001
	s_and_saveexec_b64 s[16:17], vcc
	s_cbranch_execz .LBB621_577
; %bb.576:                              ;   in Loop: Header=BB621_213 Depth=1
	v_and_b32_e32 v42, 7, v38
	v_ffbh_u32_e32 v50, v42
	v_min_u32_e32 v59, 32, v50
	v_subrev_u32_e32 v50, 28, v59
	v_lshlrev_b64 v[50:51], v50, v[38:39]
	v_lshrrev_b32_e32 v48, 3, v40
	v_sub_u32_e32 v51, 29, v59
	v_and_b32_e32 v50, 7, v50
	v_cmp_gt_u32_e32 vcc, 8, v40
	v_cndmask_b32_e32 v40, v48, v51, vcc
	v_cndmask_b32_e32 v42, v42, v50, vcc
	v_lshlrev_b32_e32 v48, 24, v38
	v_lshlrev_b32_e32 v42, 20, v42
	v_and_b32_e32 v48, 0x80000000, v48
	v_lshl_add_u32 v40, v40, 23, v45
	v_or3_b32 v48, v48, v40, v42
.LBB621_577:                            ;   in Loop: Header=BB621_213 Depth=1
	s_or_b64 exec, exec, s[16:17]
.LBB621_578:                            ;   in Loop: Header=BB621_213 Depth=1
	s_or_b64 exec, exec, s[14:15]
.LBB621_579:                            ;   in Loop: Header=BB621_213 Depth=1
	s_or_b64 exec, exec, s[12:13]
	v_lshrrev_b16_e32 v40, 8, v38
	v_cmp_ne_u16_e32 vcc, 0, v40
	v_mov_b32_e32 v42, 0
	v_mov_b32_e32 v50, 0
	s_and_saveexec_b64 s[12:13], vcc
	s_cbranch_execz .LBB621_585
; %bb.580:                              ;   in Loop: Header=BB621_213 Depth=1
	v_cmp_ne_u16_e32 vcc, s9, v40
	v_bfrev_b32_e32 v50, 1
	s_and_saveexec_b64 s[14:15], vcc
	s_cbranch_execz .LBB621_584
; %bb.581:                              ;   in Loop: Header=BB621_213 Depth=1
	v_and_b32_e32 v51, 0x7f, v40
	v_cmp_ne_u32_e32 vcc, s19, v51
	v_mov_b32_e32 v50, 0x7f800001
	s_and_saveexec_b64 s[16:17], vcc
	s_cbranch_execz .LBB621_583
; %bb.582:                              ;   in Loop: Header=BB621_213 Depth=1
	v_and_b32_e32 v50, 7, v40
	v_ffbh_u32_e32 v60, v50
	v_min_u32_e32 v62, 32, v60
	v_subrev_u32_e32 v60, 28, v62
	v_lshlrev_b64 v[60:61], v60, v[40:41]
	v_lshrrev_b32_e32 v59, 3, v51
	v_sub_u32_e32 v40, 29, v62
	v_and_b32_e32 v60, 7, v60
	v_cmp_gt_u32_e32 vcc, 8, v51
	v_cndmask_b32_e32 v40, v59, v40, vcc
	v_cndmask_b32_e32 v50, v50, v60, vcc
	v_lshlrev_b32_e32 v51, 16, v38
	v_lshlrev_b32_e32 v50, 20, v50
	v_and_b32_e32 v51, 0x80000000, v51
	v_lshl_add_u32 v40, v40, 23, v45
	v_or3_b32 v50, v51, v40, v50
.LBB621_583:                            ;   in Loop: Header=BB621_213 Depth=1
	s_or_b64 exec, exec, s[16:17]
.LBB621_584:                            ;   in Loop: Header=BB621_213 Depth=1
	s_or_b64 exec, exec, s[14:15]
.LBB621_585:                            ;   in Loop: Header=BB621_213 Depth=1
	s_or_b64 exec, exec, s[12:13]
	v_lshrrev_b32_e32 v40, 16, v38
	v_cmp_ne_u16_sdwa s[14:15], v40, v43 src0_sel:BYTE_0 src1_sel:DWORD
	s_and_saveexec_b64 s[12:13], s[14:15]
	s_cbranch_execz .LBB621_591
; %bb.586:                              ;   in Loop: Header=BB621_213 Depth=1
	v_cmp_ne_u16_sdwa s[16:17], v40, s9 src0_sel:BYTE_0 src1_sel:DWORD
	v_bfrev_b32_e32 v42, 1
	s_and_saveexec_b64 s[14:15], s[16:17]
	s_cbranch_execz .LBB621_590
; %bb.587:                              ;   in Loop: Header=BB621_213 Depth=1
	v_bfe_u32 v51, v38, 16, 7
	v_cmp_ne_u32_e32 vcc, s19, v51
	v_mov_b32_e32 v42, 0x7f800001
	s_and_saveexec_b64 s[16:17], vcc
	s_cbranch_execz .LBB621_589
; %bb.588:                              ;   in Loop: Header=BB621_213 Depth=1
	v_and_b32_e32 v42, 7, v40
	v_ffbh_u32_e32 v60, v42
	v_min_u32_e32 v62, 32, v60
	v_subrev_u32_e32 v60, 28, v62
	v_lshlrev_b64 v[60:61], v60, v[40:41]
	v_lshrrev_b32_e32 v59, 3, v51
	v_sub_u32_e32 v61, 29, v62
	v_and_b32_e32 v60, 7, v60
	v_cmp_gt_u32_e32 vcc, 8, v51
	v_cndmask_b32_e32 v51, v59, v61, vcc
	v_cndmask_b32_e32 v42, v42, v60, vcc
	v_lshlrev_b32_e32 v40, 24, v40
	v_lshlrev_b32_e32 v42, 20, v42
	v_and_b32_e32 v40, 0x80000000, v40
	v_lshl_add_u32 v51, v51, 23, v45
	v_or3_b32 v42, v40, v51, v42
.LBB621_589:                            ;   in Loop: Header=BB621_213 Depth=1
	s_or_b64 exec, exec, s[16:17]
.LBB621_590:                            ;   in Loop: Header=BB621_213 Depth=1
	s_or_b64 exec, exec, s[14:15]
.LBB621_591:                            ;   in Loop: Header=BB621_213 Depth=1
	s_or_b64 exec, exec, s[12:13]
	v_cmp_lt_u32_e32 vcc, s20, v38
	v_mov_b32_e32 v51, 0
	s_and_saveexec_b64 s[12:13], vcc
	s_cbranch_execz .LBB621_212
; %bb.592:                              ;   in Loop: Header=BB621_213 Depth=1
	v_lshrrev_b32_e32 v40, 24, v38
	v_cmp_ne_u32_e32 vcc, s9, v40
	v_bfrev_b32_e32 v51, 1
	s_and_saveexec_b64 s[14:15], vcc
	s_cbranch_execz .LBB621_211
; %bb.593:                              ;   in Loop: Header=BB621_213 Depth=1
	v_bfe_u32 v38, v38, 24, 7
	v_cmp_ne_u32_e32 vcc, s19, v38
	v_mov_b32_e32 v51, 0x7f800001
	s_and_saveexec_b64 s[16:17], vcc
	s_cbranch_execz .LBB621_210
; %bb.594:                              ;   in Loop: Header=BB621_213 Depth=1
	v_and_b32_e32 v51, 7, v40
	v_ffbh_u32_e32 v60, v51
	v_min_u32_e32 v62, 32, v60
	v_subrev_u32_e32 v60, 28, v62
	v_lshlrev_b64 v[60:61], v60, v[40:41]
	v_lshrrev_b32_e32 v59, 3, v38
	v_sub_u32_e32 v61, 29, v62
	v_and_b32_e32 v60, 7, v60
	v_cmp_gt_u32_e32 vcc, 8, v38
	v_cndmask_b32_e32 v38, v59, v61, vcc
	v_cndmask_b32_e32 v51, v51, v60, vcc
	v_lshlrev_b32_e32 v40, 24, v40
	v_lshlrev_b32_e32 v51, 20, v51
	v_and_b32_e32 v40, 0x80000000, v40
	v_lshl_add_u32 v38, v38, 23, v45
	v_or3_b32 v51, v40, v38, v51
	s_branch .LBB621_210
.LBB621_595:
	s_barrier
	buffer_load_dword v2, off, s[0:3], 0 offset:320
	buffer_load_dword v5, off, s[0:3], 0 offset:332
	;; [unrolled: 1-line block ×4, first 2 shown]
	v_cmp_gt_u32_e32 vcc, 64, v0
	s_waitcnt vmcnt(0)
	ds_write2st64_b64 v39, v[2:3], v[4:5] offset1:1
	s_waitcnt lgkmcnt(0)
	s_barrier
	s_and_saveexec_b64 s[4:5], vcc
	s_cbranch_execz .LBB621_597
; %bb.596:
	s_lshl_b32 s6, s50, 7
	s_mul_i32 s4, s18, s8
	s_mul_hi_u32 s5, s4, s6
	s_mul_i32 s4, s4, s6
	s_lshl_b64 s[4:5], s[4:5], 1
	s_add_u32 s7, s48, s4
	v_lshlrev_b32_e32 v4, 6, v53
	s_addc_u32 s8, s49, s5
	s_lshl_b32 s4, s26, 7
	s_mov_b32 s5, 0
	v_lshl_or_b32 v0, v0, 10, v4
	s_lshl_b64 s[4:5], s[4:5], 1
	v_lshlrev_b32_e32 v2, 5, v1
	v_and_b32_e32 v3, 16, v54
	v_and_b32_e32 v0, 0x1a00, v0
	s_add_u32 s4, s7, s4
	v_or3_b32 v0, v0, v2, v3
	s_addc_u32 s5, s8, s5
	ds_read_b128 v[2:5], v0
	ds_read_b128 v[6:9], v0 offset:128
	ds_read_b128 v[10:13], v0 offset:256
	;; [unrolled: 1-line block ×3, first 2 shown]
	v_mov_b32_e32 v0, s5
	v_add_co_u32_e32 v18, vcc, s4, v52
	v_or_b32_e32 v20, s27, v1
	v_addc_co_u32_e32 v19, vcc, 0, v0, vcc
	v_mad_u64_u32 v[0:1], s[4:5], v20, s6, 0
	v_lshlrev_b64 v[0:1], 1, v[0:1]
	v_add_co_u32_e32 v0, vcc, v18, v0
	v_addc_co_u32_e32 v1, vcc, v19, v1, vcc
	s_waitcnt lgkmcnt(3)
	global_store_dwordx4 v[0:1], v[2:5], off
	v_or_b32_e32 v0, 4, v20
	v_mad_u64_u32 v[0:1], s[4:5], v0, s6, 0
	v_lshlrev_b64 v[0:1], 1, v[0:1]
	v_add_co_u32_e32 v0, vcc, v18, v0
	v_addc_co_u32_e32 v1, vcc, v19, v1, vcc
	s_waitcnt lgkmcnt(2)
	global_store_dwordx4 v[0:1], v[6:9], off
	v_or_b32_e32 v0, 8, v20
	;; [unrolled: 7-line block ×3, first 2 shown]
	v_mad_u64_u32 v[0:1], s[4:5], v0, s6, 0
	v_lshlrev_b64 v[0:1], 1, v[0:1]
	v_add_co_u32_e32 v0, vcc, v18, v0
	v_addc_co_u32_e32 v1, vcc, v19, v1, vcc
	s_waitcnt lgkmcnt(0)
	global_store_dwordx4 v[0:1], v[14:17], off
.LBB621_597:
	s_endpgm
	.section	.rodata,"a",@progbits
	.p2align	6, 0x0
	.amdhsa_kernel _Z39paged_attention_ll4mi_QKV_mfma16_kernelIDF16_hLN4vllm18Fp8KVCacheDataTypeE1EDF16_Li16ELi128ELi256ELb1ELi16EL8MFMAType0EEvPKT_PKT0_S8_ifPKiSA_SA_iPKfiiiPfSD_PS3_PT2_iSC_SC_
		.amdhsa_group_segment_fixed_size 8192
		.amdhsa_private_segment_fixed_size 352
		.amdhsa_kernarg_size 400
		.amdhsa_user_sgpr_count 8
		.amdhsa_user_sgpr_private_segment_buffer 1
		.amdhsa_user_sgpr_dispatch_ptr 0
		.amdhsa_user_sgpr_queue_ptr 0
		.amdhsa_user_sgpr_kernarg_segment_ptr 1
		.amdhsa_user_sgpr_dispatch_id 0
		.amdhsa_user_sgpr_flat_scratch_init 1
		.amdhsa_user_sgpr_kernarg_preload_length 0
		.amdhsa_user_sgpr_kernarg_preload_offset 0
		.amdhsa_user_sgpr_private_segment_size 0
		.amdhsa_uses_dynamic_stack 0
		.amdhsa_system_sgpr_private_segment_wavefront_offset 1
		.amdhsa_system_sgpr_workgroup_id_x 1
		.amdhsa_system_sgpr_workgroup_id_y 1
		.amdhsa_system_sgpr_workgroup_id_z 1
		.amdhsa_system_sgpr_workgroup_info 0
		.amdhsa_system_vgpr_workitem_id 0
		.amdhsa_next_free_vgpr 78
		.amdhsa_next_free_sgpr 53
		.amdhsa_accum_offset 80
		.amdhsa_reserve_vcc 1
		.amdhsa_reserve_flat_scratch 0
		.amdhsa_float_round_mode_32 0
		.amdhsa_float_round_mode_16_64 0
		.amdhsa_float_denorm_mode_32 3
		.amdhsa_float_denorm_mode_16_64 3
		.amdhsa_dx10_clamp 1
		.amdhsa_ieee_mode 1
		.amdhsa_fp16_overflow 0
		.amdhsa_tg_split 0
		.amdhsa_exception_fp_ieee_invalid_op 0
		.amdhsa_exception_fp_denorm_src 0
		.amdhsa_exception_fp_ieee_div_zero 0
		.amdhsa_exception_fp_ieee_overflow 0
		.amdhsa_exception_fp_ieee_underflow 0
		.amdhsa_exception_fp_ieee_inexact 0
		.amdhsa_exception_int_div_zero 0
	.end_amdhsa_kernel
	.section	.text._Z39paged_attention_ll4mi_QKV_mfma16_kernelIDF16_hLN4vllm18Fp8KVCacheDataTypeE1EDF16_Li16ELi128ELi256ELb1ELi16EL8MFMAType0EEvPKT_PKT0_S8_ifPKiSA_SA_iPKfiiiPfSD_PS3_PT2_iSC_SC_,"axG",@progbits,_Z39paged_attention_ll4mi_QKV_mfma16_kernelIDF16_hLN4vllm18Fp8KVCacheDataTypeE1EDF16_Li16ELi128ELi256ELb1ELi16EL8MFMAType0EEvPKT_PKT0_S8_ifPKiSA_SA_iPKfiiiPfSD_PS3_PT2_iSC_SC_,comdat
.Lfunc_end621:
	.size	_Z39paged_attention_ll4mi_QKV_mfma16_kernelIDF16_hLN4vllm18Fp8KVCacheDataTypeE1EDF16_Li16ELi128ELi256ELb1ELi16EL8MFMAType0EEvPKT_PKT0_S8_ifPKiSA_SA_iPKfiiiPfSD_PS3_PT2_iSC_SC_, .Lfunc_end621-_Z39paged_attention_ll4mi_QKV_mfma16_kernelIDF16_hLN4vllm18Fp8KVCacheDataTypeE1EDF16_Li16ELi128ELi256ELb1ELi16EL8MFMAType0EEvPKT_PKT0_S8_ifPKiSA_SA_iPKfiiiPfSD_PS3_PT2_iSC_SC_
                                        ; -- End function
	.section	.AMDGPU.csdata,"",@progbits
; Kernel info:
; codeLenInByte = 21420
; NumSgprs: 57
; NumVgprs: 78
; NumAgprs: 0
; TotalNumVgprs: 78
; ScratchSize: 352
; MemoryBound: 0
; FloatMode: 240
; IeeeMode: 1
; LDSByteSize: 8192 bytes/workgroup (compile time only)
; SGPRBlocks: 7
; VGPRBlocks: 9
; NumSGPRsForWavesPerEU: 57
; NumVGPRsForWavesPerEU: 78
; AccumOffset: 80
; Occupancy: 6
; WaveLimiterHint : 1
; COMPUTE_PGM_RSRC2:SCRATCH_EN: 1
; COMPUTE_PGM_RSRC2:USER_SGPR: 8
; COMPUTE_PGM_RSRC2:TRAP_HANDLER: 0
; COMPUTE_PGM_RSRC2:TGID_X_EN: 1
; COMPUTE_PGM_RSRC2:TGID_Y_EN: 1
; COMPUTE_PGM_RSRC2:TGID_Z_EN: 1
; COMPUTE_PGM_RSRC2:TIDIG_COMP_CNT: 0
; COMPUTE_PGM_RSRC3_GFX90A:ACCUM_OFFSET: 19
; COMPUTE_PGM_RSRC3_GFX90A:TG_SPLIT: 0
	.section	.text._Z39paged_attention_ll4mi_QKV_mfma16_kernelIDF16_hLN4vllm18Fp8KVCacheDataTypeE1EDF16_Li16ELi128ELi256ELb1ELi1EL8MFMAType0EEvPKT_PKT0_S8_ifPKiSA_SA_iPKfiiiPfSD_PS3_PT2_iSC_SC_,"axG",@progbits,_Z39paged_attention_ll4mi_QKV_mfma16_kernelIDF16_hLN4vllm18Fp8KVCacheDataTypeE1EDF16_Li16ELi128ELi256ELb1ELi1EL8MFMAType0EEvPKT_PKT0_S8_ifPKiSA_SA_iPKfiiiPfSD_PS3_PT2_iSC_SC_,comdat
	.protected	_Z39paged_attention_ll4mi_QKV_mfma16_kernelIDF16_hLN4vllm18Fp8KVCacheDataTypeE1EDF16_Li16ELi128ELi256ELb1ELi1EL8MFMAType0EEvPKT_PKT0_S8_ifPKiSA_SA_iPKfiiiPfSD_PS3_PT2_iSC_SC_ ; -- Begin function _Z39paged_attention_ll4mi_QKV_mfma16_kernelIDF16_hLN4vllm18Fp8KVCacheDataTypeE1EDF16_Li16ELi128ELi256ELb1ELi1EL8MFMAType0EEvPKT_PKT0_S8_ifPKiSA_SA_iPKfiiiPfSD_PS3_PT2_iSC_SC_
	.globl	_Z39paged_attention_ll4mi_QKV_mfma16_kernelIDF16_hLN4vllm18Fp8KVCacheDataTypeE1EDF16_Li16ELi128ELi256ELb1ELi1EL8MFMAType0EEvPKT_PKT0_S8_ifPKiSA_SA_iPKfiiiPfSD_PS3_PT2_iSC_SC_
	.p2align	8
	.type	_Z39paged_attention_ll4mi_QKV_mfma16_kernelIDF16_hLN4vllm18Fp8KVCacheDataTypeE1EDF16_Li16ELi128ELi256ELb1ELi1EL8MFMAType0EEvPKT_PKT0_S8_ifPKiSA_SA_iPKfiiiPfSD_PS3_PT2_iSC_SC_,@function
_Z39paged_attention_ll4mi_QKV_mfma16_kernelIDF16_hLN4vllm18Fp8KVCacheDataTypeE1EDF16_Li16ELi128ELi256ELb1ELi1EL8MFMAType0EEvPKT_PKT0_S8_ifPKiSA_SA_iPKfiiiPfSD_PS3_PT2_iSC_SC_: ; @_Z39paged_attention_ll4mi_QKV_mfma16_kernelIDF16_hLN4vllm18Fp8KVCacheDataTypeE1EDF16_Li16ELi128ELi256ELb1ELi1EL8MFMAType0EEvPKT_PKT0_S8_ifPKiSA_SA_iPKfiiiPfSD_PS3_PT2_iSC_SC_
; %bb.0:
	s_load_dwordx2 s[6:7], s[4:5], 0x30
	s_add_u32 s0, s0, s11
	s_addc_u32 s1, s1, 0
	s_mov_b32 s28, s9
	s_mov_b64 s[14:15], 0
	s_waitcnt lgkmcnt(0)
	s_cmp_lg_u64 s[6:7], 0
	s_cselect_b64 s[12:13], -1, 0
	s_and_b64 vcc, exec, s[12:13]
	s_cbranch_vccz .LBB622_7
; %bb.1:
	s_add_i32 s16, s8, 1
	s_mov_b32 s17, 0
	s_lshl_b64 s[18:19], s[16:17], 2
	s_add_u32 s18, s6, s18
	s_mov_b32 s9, s17
	s_addc_u32 s19, s7, s19
	s_lshl_b64 s[16:17], s[8:9], 2
	s_add_u32 s16, s6, s16
	s_addc_u32 s17, s7, s17
	s_load_dword s11, s[18:19], 0x0
	s_load_dword s20, s[16:17], 0x0
	s_waitcnt lgkmcnt(0)
	s_sub_i32 s11, s11, s20
	s_cmp_eq_u32 s11, 1
	s_cselect_b64 s[16:17], -1, 0
	s_andn2_b64 vcc, exec, s[14:15]
	s_cbranch_vccnz .LBB622_3
.LBB622_2:
	s_mov_b32 s9, 0
	s_mov_b64 s[16:17], -1
.LBB622_3:
	s_andn2_b64 vcc, exec, s[16:17]
	s_cbranch_vccnz .LBB622_599
; %bb.4:
	s_load_dwordx2 s[16:17], s[4:5], 0x28
	s_lshl_b64 s[14:15], s[8:9], 2
	s_waitcnt lgkmcnt(0)
	s_add_u32 s16, s16, s14
	s_addc_u32 s17, s17, s15
	s_load_dword s29, s[16:17], 0x0
	s_lshl_b32 s20, s28, 8
	s_waitcnt lgkmcnt(0)
	s_cmp_ge_i32 s20, s29
	s_cbranch_scc1 .LBB622_599
; %bb.5:
	s_add_i32 s18, s29, 15
	s_load_dwordx2 s[16:17], s[4:5], 0x20
	s_load_dword s11, s[4:5], 0x38
	s_ashr_i32 s19, s18, 31
	v_and_b32_e32 v1, 0xcf, v0
	s_lshr_b32 s19, s19, 28
	v_add_u32_e32 v1, s20, v1
	s_add_i32 s18, s18, s19
	v_ashrrev_i32_e32 v2, 31, v1
	s_ashr_i32 s23, s18, 4
	v_lshrrev_b32_e32 v4, 28, v2
	s_add_i32 s23, s23, -1
	v_add_u32_e32 v2, v1, v4
	s_waitcnt lgkmcnt(0)
	s_mul_i32 s18, s8, s11
	s_mov_b32 s19, 0
	v_ashrrev_i32_e32 v2, 4, v2
	v_mov_b32_e32 v5, s23
	v_cmp_gt_i32_e32 vcc, s29, v1
	s_lshl_b64 s[18:19], s[18:19], 2
	v_cndmask_b32_e32 v2, v5, v2, vcc
	s_add_u32 s21, s16, s18
	v_ashrrev_i32_e32 v3, 31, v2
	s_addc_u32 s22, s17, s19
	v_lshlrev_b64 v[2:3], 2, v[2:3]
	v_mov_b32_e32 v7, s22
	v_add_co_u32_e32 v6, vcc, s21, v2
	v_or_b32_e32 v2, 16, v1
	v_addc_co_u32_e32 v7, vcc, v7, v3, vcc
	v_add_u32_e32 v3, v2, v4
	v_ashrrev_i32_e32 v3, 4, v3
	v_cmp_gt_i32_e32 vcc, s29, v2
	v_cndmask_b32_e32 v2, v5, v3, vcc
	v_ashrrev_i32_e32 v3, 31, v2
	v_lshlrev_b64 v[2:3], 2, v[2:3]
	v_mov_b32_e32 v9, s22
	v_add_co_u32_e32 v8, vcc, s21, v2
	v_or_b32_e32 v2, 32, v1
	v_addc_co_u32_e32 v9, vcc, v9, v3, vcc
	v_add_u32_e32 v3, v2, v4
	v_ashrrev_i32_e32 v3, 4, v3
	v_cmp_gt_i32_e32 vcc, s29, v2
	v_cndmask_b32_e32 v2, v5, v3, vcc
	v_ashrrev_i32_e32 v3, 31, v2
	;; [unrolled: 10-line block ×3, first 2 shown]
	v_lshlrev_b64 v[2:3], 2, v[2:3]
	v_mov_b32_e32 v1, s22
	v_add_co_u32_e32 v12, vcc, s21, v2
	v_addc_co_u32_e32 v13, vcc, v1, v3, vcc
	global_load_dword v5, v[6:7], off
	global_load_dword v4, v[8:9], off
	;; [unrolled: 1-line block ×4, first 2 shown]
	s_load_dwordx2 s[16:17], s[4:5], 0x8
	s_andn2_b64 vcc, exec, s[12:13]
	s_cbranch_vccnz .LBB622_8
; %bb.6:
	s_add_u32 s6, s6, s14
	s_addc_u32 s7, s7, s15
	s_load_dword s11, s[6:7], 0x0
	s_branch .LBB622_9
.LBB622_7:
	s_mov_b64 s[16:17], 0
	s_branch .LBB622_2
.LBB622_8:
	s_mov_b32 s11, s8
.LBB622_9:
	s_load_dwordx2 s[6:7], s[4:5], 0x10
	s_load_dwordx4 s[12:15], s[4:5], 0x48
	v_lshrrev_b32_e32 v27, 6, v0
	v_bfe_u32 v39, v0, 4, 2
	v_and_b32_e32 v41, 15, v0
	v_lshl_or_b32 v1, v27, 2, v39
	v_lshlrev_b32_e32 v6, 3, v41
	v_cmp_eq_u32_e32 vcc, 0, v1
	v_lshlrev_b32_e32 v1, 1, v6
	v_lshlrev_b32_e32 v43, 4, v0
	s_and_saveexec_b64 s[18:19], vcc
	s_cbranch_execz .LBB622_11
; %bb.10:
	s_load_dwordx2 s[24:25], s[4:5], 0x0
	s_waitcnt lgkmcnt(0)
	s_ashr_i32 s15, s12, 31
	s_mul_hi_u32 s26, s11, s12
	s_mul_i32 s15, s11, s15
	s_add_i32 s27, s26, s15
	s_mul_i32 s26, s11, s12
	s_lshl_b64 s[26:27], s[26:27], 1
	s_add_u32 s11, s24, s26
	s_addc_u32 s12, s25, s27
	s_lshl_b32 s24, s10, 7
	s_ashr_i32 s25, s24, 31
	s_lshl_b64 s[24:25], s[24:25], 1
	s_add_u32 s24, s11, s24
	s_addc_u32 s25, s12, s25
	global_load_dwordx4 v[6:9], v1, s[24:25]
	v_lshlrev_b32_e32 v10, 8, v0
	v_lshlrev_b32_e32 v11, 8, v41
	v_and_b32_e32 v10, 0x600, v10
	v_and_b32_e32 v11, 0x800, v11
	;; [unrolled: 1-line block ×3, first 2 shown]
	v_or3_b32 v10, v11, v10, v12
	s_waitcnt vmcnt(0)
	ds_write_b128 v10, v[6:9]
.LBB622_11:
	s_or_b64 exec, exec, s[18:19]
	s_waitcnt lgkmcnt(0)
	s_mul_i32 s12, s10, s14
	s_add_u32 s11, s16, s12
	s_addc_u32 s14, s17, 0
	v_and_b32_e32 v6, 0xf0, v43
	v_mov_b32_e32 v7, s14
	v_add_co_u32_e32 v6, vcc, s11, v6
	v_and_b32_e32 v18, 48, v0
	v_addc_co_u32_e32 v7, vcc, 0, v7, vcc
	v_lshlrev_b32_e32 v10, 4, v18
	s_waitcnt vmcnt(3)
	v_mad_i64_i32 v[8:9], s[14:15], v5, s13, v[6:7]
	v_add_co_u32_e32 v8, vcc, v8, v10
	v_addc_co_u32_e32 v9, vcc, 0, v9, vcc
	s_waitcnt vmcnt(2)
	v_mad_i64_i32 v[4:5], s[14:15], v4, s13, v[6:7]
	v_add_co_u32_e32 v4, vcc, v4, v10
	v_addc_co_u32_e32 v5, vcc, 0, v5, vcc
	s_load_dwordx2 s[52:53], s[4:5], 0x94
	s_waitcnt lgkmcnt(0)
	s_barrier
	global_load_dwordx4 v[20:23], v[8:9], off
	global_load_dwordx4 v[28:31], v[8:9], off offset:1024
	global_load_dwordx4 v[32:35], v[4:5], off
	global_load_dwordx4 v[44:47], v[4:5], off offset:1024
	s_waitcnt vmcnt(5)
	v_mad_i64_i32 v[4:5], s[14:15], v3, s13, v[6:7]
	v_add_co_u32_e32 v4, vcc, v4, v10
	v_addc_co_u32_e32 v5, vcc, 0, v5, vcc
	s_waitcnt vmcnt(4)
	v_mad_i64_i32 v[2:3], s[14:15], v2, s13, v[6:7]
	v_add_co_u32_e32 v2, vcc, v2, v10
	v_addc_co_u32_e32 v3, vcc, 0, v3, vcc
	global_load_dwordx4 v[48:51], v[4:5], off
	global_load_dwordx4 v[52:55], v[4:5], off offset:1024
	global_load_dwordx4 v[56:59], v[2:3], off
	global_load_dwordx4 v[60:63], v[2:3], off offset:1024
	v_lshlrev_b32_e32 v14, 9, v39
	s_load_dwordx2 s[54:55], s[4:5], 0x68
	s_load_dwordx4 s[44:47], s[4:5], 0x58
	ds_read_b128 v[2:5], v14
	ds_read_b128 v[6:9], v14 offset:16
	ds_read_b128 v[10:13], v14 offset:2048
	;; [unrolled: 1-line block ×3, first 2 shown]
	s_mov_b32 s16, 0
	v_cmp_eq_u32_e32 vcc, 0, v41
	s_waitcnt vmcnt(7)
	buffer_store_dword v23, off, s[0:3], 0 offset:12
	buffer_store_dword v22, off, s[0:3], 0 offset:8
	;; [unrolled: 1-line block ×3, first 2 shown]
	buffer_store_dword v20, off, s[0:3], 0
	s_waitcnt vmcnt(10)
	buffer_store_dword v31, off, s[0:3], 0 offset:28
	buffer_store_dword v30, off, s[0:3], 0 offset:24
	buffer_store_dword v29, off, s[0:3], 0 offset:20
	buffer_store_dword v28, off, s[0:3], 0 offset:16
	s_waitcnt vmcnt(13)
	buffer_store_dword v35, off, s[0:3], 0 offset:44
	buffer_store_dword v34, off, s[0:3], 0 offset:40
	buffer_store_dword v33, off, s[0:3], 0 offset:36
	buffer_store_dword v32, off, s[0:3], 0 offset:32
	;; [unrolled: 5-line block ×7, first 2 shown]
	v_mov_b32_e32 v35, 0
	v_mov_b32_e32 v33, 0
	s_and_saveexec_b64 s[14:15], vcc
	s_cbranch_execz .LBB622_13
; %bb.12:
	s_load_dwordx2 s[18:19], s[4:5], 0x40
	s_ashr_i32 s11, s10, 31
	s_lshl_b64 s[24:25], s[10:11], 2
	s_waitcnt lgkmcnt(0)
	s_add_u32 s18, s18, s24
	s_addc_u32 s19, s19, s25
	s_load_dword s11, s[18:19], 0x0
	s_waitcnt lgkmcnt(0)
	v_mov_b32_e32 v33, s11
.LBB622_13:
	s_or_b64 exec, exec, s[14:15]
	v_or_b32_e32 v22, s20, v18
	v_ashrrev_i32_e32 v18, 4, v22
	v_mov_b32_e32 v23, s23
	v_cmp_gt_i32_e32 vcc, s29, v22
	v_cndmask_b32_e32 v18, v23, v18, vcc
	v_ashrrev_i32_e32 v19, 31, v18
	v_lshlrev_b64 v[18:19], 2, v[18:19]
	v_mov_b32_e32 v20, s22
	v_add_co_u32_e32 v18, vcc, s21, v18
	v_addc_co_u32_e32 v19, vcc, v20, v19, vcc
	global_load_dword v26, v[18:19], off
	v_or_b32_e32 v18, 64, v22
	v_ashrrev_i32_e32 v19, 4, v18
	v_cmp_gt_i32_e32 vcc, s29, v18
	v_cndmask_b32_e32 v18, v23, v19, vcc
	v_ashrrev_i32_e32 v19, 31, v18
	v_lshlrev_b64 v[18:19], 2, v[18:19]
	v_add_co_u32_e32 v18, vcc, s21, v18
	v_addc_co_u32_e32 v19, vcc, v20, v19, vcc
	v_or_b32_e32 v20, 0x80, v22
	v_ashrrev_i32_e32 v21, 4, v20
	v_cmp_gt_i32_e32 vcc, s29, v20
	v_cndmask_b32_e32 v20, v23, v21, vcc
	v_ashrrev_i32_e32 v21, 31, v20
	v_lshlrev_b64 v[20:21], 2, v[20:21]
	v_mov_b32_e32 v24, s22
	v_add_co_u32_e32 v20, vcc, s21, v20
	v_addc_co_u32_e32 v21, vcc, v24, v21, vcc
	global_load_dword v28, v[18:19], off
	global_load_dword v32, v[20:21], off
	v_or_b32_e32 v18, 0xc0, v22
	v_ashrrev_i32_e32 v19, 4, v18
	v_cmp_gt_i32_e32 vcc, s29, v18
	v_cndmask_b32_e32 v18, v23, v19, vcc
	v_ashrrev_i32_e32 v19, 31, v18
	v_lshlrev_b64 v[18:19], 2, v[18:19]
	v_mov_b32_e32 v20, s22
	v_add_co_u32_e32 v18, vcc, s21, v18
	v_addc_co_u32_e32 v19, vcc, v20, v19, vcc
	global_load_dword v34, v[18:19], off
	s_add_u32 s11, s6, s12
	v_lshl_or_b32 v29, v27, 4, v41
	s_addc_u32 s6, s7, 0
	v_lshlrev_b32_e32 v18, 4, v29
	v_mov_b32_e32 v19, s6
	v_add_co_u32_e32 v22, vcc, s11, v18
	v_addc_co_u32_e32 v23, vcc, 0, v19, vcc
	v_or_b32_e32 v24, 0x400, v18
	v_mov_b32_e32 v25, s6
	v_add_co_u32_e32 v24, vcc, s11, v24
	v_addc_co_u32_e32 v25, vcc, 0, v25, vcc
	s_movk_i32 s11, 0x80
	v_mov_b32_e32 v36, 0
	s_movk_i32 s14, 0x7f
	s_mov_b32 s15, 0xffffff
	v_mov_b32_e32 v37, 0x100
	v_bfrev_b32_e32 v38, 60
	s_waitcnt vmcnt(3)
	v_mad_i64_i32 v[18:19], s[6:7], v26, s13, v[22:23]
	global_load_dwordx4 v[18:21], v[18:19], off
	v_mad_i64_i32 v[30:31], s[6:7], v26, s13, v[24:25]
	global_load_dwordx4 v[52:55], v[30:31], off
	s_waitcnt vmcnt(4)
	v_mad_i64_i32 v[30:31], s[6:7], v28, s13, v[22:23]
	global_load_dwordx4 v[56:59], v[30:31], off
	s_waitcnt vmcnt(4)
	;; [unrolled: 3-line block ×3, first 2 shown]
	v_mad_i64_i32 v[22:23], s[6:7], v34, s13, v[22:23]
	global_load_dwordx4 v[64:67], v[22:23], off
	v_mad_i64_i32 v[22:23], s[6:7], v28, s13, v[24:25]
	global_load_dwordx4 v[68:71], v[22:23], off
	;; [unrolled: 2-line block ×4, first 2 shown]
	s_load_dword s6, s[4:5], 0x1c
	s_load_dwordx4 s[48:51], s[4:5], 0x80
	v_mov_b32_e32 v22, 0x80
	v_add_u32_e32 v45, 16, v22
	v_add_u32_e32 v46, 32, v22
	;; [unrolled: 1-line block ×3, first 2 shown]
	s_waitcnt lgkmcnt(0)
	s_load_dword s4, s[48:49], 0x0
	v_add_u32_e32 v51, 64, v22
	v_add_u32_e32 v48, 0x50, v22
	;; [unrolled: 1-line block ×4, first 2 shown]
	v_mov_b32_e32 v22, s6
	s_waitcnt lgkmcnt(0)
	v_mul_f32_e32 v22, s4, v22
	v_and_b32_e32 v31, 63, v0
	v_mov_b32_e32 v24, v22
	v_mov_b32_e32 v25, v22
	s_waitcnt vmcnt(7)
	buffer_store_dword v21, off, s[0:3], 0 offset:140
	buffer_store_dword v20, off, s[0:3], 0 offset:136
	buffer_store_dword v19, off, s[0:3], 0 offset:132
	buffer_store_dword v18, off, s[0:3], 0 offset:128
	s_waitcnt vmcnt(10)
	buffer_store_dword v55, off, s[0:3], 0 offset:156
	buffer_store_dword v54, off, s[0:3], 0 offset:152
	buffer_store_dword v53, off, s[0:3], 0 offset:148
	buffer_store_dword v52, off, s[0:3], 0 offset:144
	;; [unrolled: 5-line block ×8, first 2 shown]
	s_branch .LBB622_17
.LBB622_14:                             ;   in Loop: Header=BB622_17 Depth=1
	s_or_b64 exec, exec, s[12:13]
.LBB622_15:                             ;   in Loop: Header=BB622_17 Depth=1
	s_or_b64 exec, exec, s[6:7]
.LBB622_16:                             ;   in Loop: Header=BB622_17 Depth=1
	s_or_b64 exec, exec, s[4:5]
	v_cvt_pkrtz_f16_f32 v54, v34, v32
	v_cvt_pkrtz_f16_f32 v55, v23, v42
	v_add_u32_e32 v26, s16, v37
	s_add_i32 s16, s16, 16
	v_mov_b32_e32 v23, v22
	v_mfma_f32_16x16x16f16 v[18:21], v[54:55], v[14:15], v[18:21]
	v_cvt_pkrtz_f16_f32 v54, v40, v44
	v_cvt_pkrtz_f16_f32 v55, v30, v52
	s_cmp_eq_u32 s16, 64
	v_add_u32_e32 v36, 32, v36
	v_mfma_f32_16x16x16f16 v[18:21], v[54:55], v[16:17], v[18:21]
	s_nop 7
	s_nop 2
	v_pk_mul_f32 v[18:19], v[24:25], v[18:19]
	v_pk_mul_f32 v[20:21], v[22:23], v[20:21]
	buffer_store_dword v19, v26, s[0:3], 0 offen offset:4
	buffer_store_dword v18, v26, s[0:3], 0 offen
	buffer_store_dword v21, v26, s[0:3], 0 offen offset:12
	buffer_store_dword v20, v26, s[0:3], 0 offen offset:8
	s_cbranch_scc1 .LBB622_207
.LBB622_17:                             ; =>This Inner Loop Header: Depth=1
	buffer_load_dword v20, v36, s[0:3], 0 offen
	buffer_load_dword v18, v36, s[0:3], 0 offen offset:4
	buffer_load_dword v28, v36, s[0:3], 0 offen offset:8
	;; [unrolled: 1-line block ×3, first 2 shown]
	v_mov_b32_e32 v19, 0
	v_mov_b32_e32 v21, 0
	s_waitcnt vmcnt(3)
	v_cmp_ne_u16_sdwa s[6:7], v20, v35 src0_sel:BYTE_0 src1_sel:DWORD
	s_and_saveexec_b64 s[4:5], s[6:7]
	s_cbranch_execz .LBB622_23
; %bb.18:                               ;   in Loop: Header=BB622_17 Depth=1
	v_cmp_ne_u16_sdwa s[12:13], v20, s11 src0_sel:BYTE_0 src1_sel:DWORD
	v_bfrev_b32_e32 v21, 1
	s_and_saveexec_b64 s[6:7], s[12:13]
	s_cbranch_execz .LBB622_22
; %bb.19:                               ;   in Loop: Header=BB622_17 Depth=1
	v_and_b32_e32 v23, 0x7f, v20
	v_cmp_ne_u32_e32 vcc, s14, v23
	v_mov_b32_e32 v21, 0x7f800001
	s_and_saveexec_b64 s[12:13], vcc
	s_cbranch_execz .LBB622_21
; %bb.20:                               ;   in Loop: Header=BB622_17 Depth=1
	v_and_b32_e32 v21, 7, v20
	v_ffbh_u32_e32 v32, v21
	v_min_u32_e32 v32, 32, v32
	v_subrev_u32_e32 v34, 28, v32
	v_lshlrev_b64 v[52:53], v34, v[20:21]
	v_lshrrev_b32_e32 v30, 3, v23
	v_sub_u32_e32 v32, 29, v32
	v_and_b32_e32 v34, 7, v52
	v_cmp_gt_u32_e32 vcc, 8, v23
	v_cndmask_b32_e32 v23, v30, v32, vcc
	v_cndmask_b32_e32 v21, v21, v34, vcc
	v_lshlrev_b32_e32 v30, 24, v20
	v_lshlrev_b32_e32 v21, 20, v21
	v_and_b32_e32 v30, 0x80000000, v30
	v_lshl_add_u32 v23, v23, 23, v38
	v_or3_b32 v21, v30, v23, v21
.LBB622_21:                             ;   in Loop: Header=BB622_17 Depth=1
	s_or_b64 exec, exec, s[12:13]
.LBB622_22:                             ;   in Loop: Header=BB622_17 Depth=1
	s_or_b64 exec, exec, s[6:7]
.LBB622_23:                             ;   in Loop: Header=BB622_17 Depth=1
	s_or_b64 exec, exec, s[4:5]
	v_lshrrev_b16_e32 v30, 8, v20
	v_cmp_ne_u16_e32 vcc, 0, v30
	s_and_saveexec_b64 s[4:5], vcc
	s_cbranch_execz .LBB622_29
; %bb.24:                               ;   in Loop: Header=BB622_17 Depth=1
	v_cmp_ne_u16_e32 vcc, s11, v30
	v_bfrev_b32_e32 v19, 1
	s_and_saveexec_b64 s[6:7], vcc
	s_cbranch_execz .LBB622_28
; %bb.25:                               ;   in Loop: Header=BB622_17 Depth=1
	v_and_b32_e32 v23, 0x7f, v30
	v_cmp_ne_u32_e32 vcc, s14, v23
	v_mov_b32_e32 v19, 0x7f800001
	s_and_saveexec_b64 s[12:13], vcc
	s_cbranch_execz .LBB622_27
; %bb.26:                               ;   in Loop: Header=BB622_17 Depth=1
	v_and_b32_e32 v19, 7, v30
	v_ffbh_u32_e32 v34, v19
	v_min_u32_e32 v34, 32, v34
	v_subrev_u32_e32 v40, 28, v34
	v_lshlrev_b64 v[52:53], v40, v[30:31]
	v_lshrrev_b32_e32 v32, 3, v23
	v_sub_u32_e32 v30, 29, v34
	v_and_b32_e32 v34, 7, v52
	v_cmp_gt_u32_e32 vcc, 8, v23
	v_cndmask_b32_e32 v23, v32, v30, vcc
	v_cndmask_b32_e32 v19, v19, v34, vcc
	v_lshlrev_b32_e32 v30, 16, v20
	v_lshlrev_b32_e32 v19, 20, v19
	v_and_b32_e32 v30, 0x80000000, v30
	v_lshl_add_u32 v23, v23, 23, v38
	v_or3_b32 v19, v30, v23, v19
.LBB622_27:                             ;   in Loop: Header=BB622_17 Depth=1
	s_or_b64 exec, exec, s[12:13]
.LBB622_28:                             ;   in Loop: Header=BB622_17 Depth=1
	s_or_b64 exec, exec, s[6:7]
.LBB622_29:                             ;   in Loop: Header=BB622_17 Depth=1
	s_or_b64 exec, exec, s[4:5]
	v_lshrrev_b32_e32 v30, 16, v20
	v_cmp_ne_u16_sdwa s[6:7], v30, v35 src0_sel:BYTE_0 src1_sel:DWORD
	v_mov_b32_e32 v32, 0
	v_mov_b32_e32 v23, 0
	s_and_saveexec_b64 s[4:5], s[6:7]
	s_cbranch_execz .LBB622_35
; %bb.30:                               ;   in Loop: Header=BB622_17 Depth=1
	v_cmp_ne_u16_sdwa s[12:13], v30, s11 src0_sel:BYTE_0 src1_sel:DWORD
	v_bfrev_b32_e32 v23, 1
	s_and_saveexec_b64 s[6:7], s[12:13]
	s_cbranch_execz .LBB622_34
; %bb.31:                               ;   in Loop: Header=BB622_17 Depth=1
	v_bfe_u32 v34, v20, 16, 7
	v_cmp_ne_u32_e32 vcc, s14, v34
	v_mov_b32_e32 v23, 0x7f800001
	s_and_saveexec_b64 s[12:13], vcc
	s_cbranch_execz .LBB622_33
; %bb.32:                               ;   in Loop: Header=BB622_17 Depth=1
	v_and_b32_e32 v23, 7, v30
	v_ffbh_u32_e32 v42, v23
	v_min_u32_e32 v42, 32, v42
	v_subrev_u32_e32 v44, 28, v42
	v_lshlrev_b64 v[52:53], v44, v[30:31]
	v_lshrrev_b32_e32 v40, 3, v34
	v_sub_u32_e32 v42, 29, v42
	v_and_b32_e32 v44, 7, v52
	v_cmp_gt_u32_e32 vcc, 8, v34
	v_cndmask_b32_e32 v34, v40, v42, vcc
	v_cndmask_b32_e32 v23, v23, v44, vcc
	v_lshlrev_b32_e32 v30, 24, v30
	v_lshlrev_b32_e32 v23, 20, v23
	v_and_b32_e32 v30, 0x80000000, v30
	v_lshl_add_u32 v34, v34, 23, v38
	v_or3_b32 v23, v30, v34, v23
.LBB622_33:                             ;   in Loop: Header=BB622_17 Depth=1
	s_or_b64 exec, exec, s[12:13]
.LBB622_34:                             ;   in Loop: Header=BB622_17 Depth=1
	s_or_b64 exec, exec, s[6:7]
.LBB622_35:                             ;   in Loop: Header=BB622_17 Depth=1
	s_or_b64 exec, exec, s[4:5]
	v_cmp_lt_u32_e32 vcc, s15, v20
	s_and_saveexec_b64 s[4:5], vcc
	s_cbranch_execz .LBB622_41
; %bb.36:                               ;   in Loop: Header=BB622_17 Depth=1
	v_lshrrev_b32_e32 v30, 24, v20
	v_cmp_ne_u32_e32 vcc, s11, v30
	v_bfrev_b32_e32 v32, 1
	s_and_saveexec_b64 s[6:7], vcc
	s_cbranch_execz .LBB622_40
; %bb.37:                               ;   in Loop: Header=BB622_17 Depth=1
	v_bfe_u32 v20, v20, 24, 7
	v_cmp_ne_u32_e32 vcc, s14, v20
	v_mov_b32_e32 v32, 0x7f800001
	s_and_saveexec_b64 s[12:13], vcc
	s_cbranch_execz .LBB622_39
; %bb.38:                               ;   in Loop: Header=BB622_17 Depth=1
	v_and_b32_e32 v32, 7, v30
	v_ffbh_u32_e32 v40, v32
	v_min_u32_e32 v40, 32, v40
	v_subrev_u32_e32 v42, 28, v40
	v_lshlrev_b64 v[52:53], v42, v[30:31]
	v_lshrrev_b32_e32 v34, 3, v20
	v_sub_u32_e32 v40, 29, v40
	v_and_b32_e32 v42, 7, v52
	v_cmp_gt_u32_e32 vcc, 8, v20
	v_cndmask_b32_e32 v20, v34, v40, vcc
	v_cndmask_b32_e32 v32, v32, v42, vcc
	v_lshlrev_b32_e32 v30, 24, v30
	v_lshlrev_b32_e32 v32, 20, v32
	v_and_b32_e32 v30, 0x80000000, v30
	v_lshl_add_u32 v20, v20, 23, v38
	v_or3_b32 v32, v30, v20, v32
.LBB622_39:                             ;   in Loop: Header=BB622_17 Depth=1
	s_or_b64 exec, exec, s[12:13]
.LBB622_40:                             ;   in Loop: Header=BB622_17 Depth=1
	s_or_b64 exec, exec, s[6:7]
.LBB622_41:                             ;   in Loop: Header=BB622_17 Depth=1
	s_or_b64 exec, exec, s[4:5]
	s_waitcnt vmcnt(2)
	v_cmp_ne_u16_sdwa s[6:7], v18, v35 src0_sel:BYTE_0 src1_sel:DWORD
	v_mov_b32_e32 v30, 0
	v_mov_b32_e32 v34, 0
	s_and_saveexec_b64 s[4:5], s[6:7]
	s_cbranch_execz .LBB622_47
; %bb.42:                               ;   in Loop: Header=BB622_17 Depth=1
	v_cmp_ne_u16_sdwa s[12:13], v18, s11 src0_sel:BYTE_0 src1_sel:DWORD
	v_bfrev_b32_e32 v34, 1
	s_and_saveexec_b64 s[6:7], s[12:13]
	s_cbranch_execz .LBB622_46
; %bb.43:                               ;   in Loop: Header=BB622_17 Depth=1
	v_and_b32_e32 v20, 0x7f, v18
	v_cmp_ne_u32_e32 vcc, s14, v20
	v_mov_b32_e32 v34, 0x7f800001
	s_and_saveexec_b64 s[12:13], vcc
	s_cbranch_execz .LBB622_45
; %bb.44:                               ;   in Loop: Header=BB622_17 Depth=1
	v_and_b32_e32 v34, 7, v18
	v_ffbh_u32_e32 v42, v34
	v_min_u32_e32 v42, 32, v42
	v_subrev_u32_e32 v44, 28, v42
	v_lshlrev_b64 v[52:53], v44, v[18:19]
	v_lshrrev_b32_e32 v40, 3, v20
	v_sub_u32_e32 v42, 29, v42
	v_and_b32_e32 v44, 7, v52
	v_cmp_gt_u32_e32 vcc, 8, v20
	v_cndmask_b32_e32 v20, v40, v42, vcc
	v_cndmask_b32_e32 v34, v34, v44, vcc
	v_lshlrev_b32_e32 v40, 24, v18
	v_lshlrev_b32_e32 v34, 20, v34
	v_and_b32_e32 v40, 0x80000000, v40
	v_lshl_add_u32 v20, v20, 23, v38
	v_or3_b32 v34, v40, v20, v34
.LBB622_45:                             ;   in Loop: Header=BB622_17 Depth=1
	s_or_b64 exec, exec, s[12:13]
.LBB622_46:                             ;   in Loop: Header=BB622_17 Depth=1
	s_or_b64 exec, exec, s[6:7]
.LBB622_47:                             ;   in Loop: Header=BB622_17 Depth=1
	s_or_b64 exec, exec, s[4:5]
	v_lshrrev_b16_e32 v20, 8, v18
	v_cmp_ne_u16_e32 vcc, 0, v20
	s_and_saveexec_b64 s[4:5], vcc
	s_cbranch_execz .LBB622_53
; %bb.48:                               ;   in Loop: Header=BB622_17 Depth=1
	v_cmp_ne_u16_e32 vcc, s11, v20
	v_bfrev_b32_e32 v30, 1
	s_and_saveexec_b64 s[6:7], vcc
	s_cbranch_execz .LBB622_52
; %bb.49:                               ;   in Loop: Header=BB622_17 Depth=1
	v_and_b32_e32 v40, 0x7f, v20
	v_cmp_ne_u32_e32 vcc, s14, v40
	v_mov_b32_e32 v30, 0x7f800001
	s_and_saveexec_b64 s[12:13], vcc
	s_cbranch_execz .LBB622_51
; %bb.50:                               ;   in Loop: Header=BB622_17 Depth=1
	v_and_b32_e32 v30, 7, v20
	v_ffbh_u32_e32 v44, v30
	v_min_u32_e32 v44, 32, v44
	v_subrev_u32_e32 v52, 28, v44
	v_lshlrev_b64 v[52:53], v52, v[20:21]
	v_lshrrev_b32_e32 v42, 3, v40
	v_sub_u32_e32 v20, 29, v44
	v_and_b32_e32 v44, 7, v52
	v_cmp_gt_u32_e32 vcc, 8, v40
	v_cndmask_b32_e32 v20, v42, v20, vcc
	v_cndmask_b32_e32 v30, v30, v44, vcc
	v_lshlrev_b32_e32 v40, 16, v18
	v_lshlrev_b32_e32 v30, 20, v30
	v_and_b32_e32 v40, 0x80000000, v40
	v_lshl_add_u32 v20, v20, 23, v38
	v_or3_b32 v30, v40, v20, v30
.LBB622_51:                             ;   in Loop: Header=BB622_17 Depth=1
	s_or_b64 exec, exec, s[12:13]
.LBB622_52:                             ;   in Loop: Header=BB622_17 Depth=1
	s_or_b64 exec, exec, s[6:7]
.LBB622_53:                             ;   in Loop: Header=BB622_17 Depth=1
	s_or_b64 exec, exec, s[4:5]
	v_lshrrev_b32_e32 v20, 16, v18
	v_cmp_ne_u16_sdwa s[6:7], v20, v35 src0_sel:BYTE_0 src1_sel:DWORD
	v_mov_b32_e32 v42, 0
	v_mov_b32_e32 v40, 0
	s_and_saveexec_b64 s[4:5], s[6:7]
	s_cbranch_execz .LBB622_59
; %bb.54:                               ;   in Loop: Header=BB622_17 Depth=1
	v_cmp_ne_u16_sdwa s[12:13], v20, s11 src0_sel:BYTE_0 src1_sel:DWORD
	v_bfrev_b32_e32 v40, 1
	s_and_saveexec_b64 s[6:7], s[12:13]
	s_cbranch_execz .LBB622_58
; %bb.55:                               ;   in Loop: Header=BB622_17 Depth=1
	v_bfe_u32 v44, v18, 16, 7
	v_cmp_ne_u32_e32 vcc, s14, v44
	v_mov_b32_e32 v40, 0x7f800001
	s_and_saveexec_b64 s[12:13], vcc
	s_cbranch_execz .LBB622_57
; %bb.56:                               ;   in Loop: Header=BB622_17 Depth=1
	v_and_b32_e32 v40, 7, v20
	v_ffbh_u32_e32 v52, v40
	v_min_u32_e32 v55, 32, v52
	v_subrev_u32_e32 v52, 28, v55
	v_lshlrev_b64 v[52:53], v52, v[20:21]
	v_lshrrev_b32_e32 v54, 3, v44
	v_sub_u32_e32 v53, 29, v55
	v_and_b32_e32 v52, 7, v52
	v_cmp_gt_u32_e32 vcc, 8, v44
	v_cndmask_b32_e32 v44, v54, v53, vcc
	v_cndmask_b32_e32 v40, v40, v52, vcc
	v_lshlrev_b32_e32 v20, 24, v20
	v_lshlrev_b32_e32 v40, 20, v40
	v_and_b32_e32 v20, 0x80000000, v20
	v_lshl_add_u32 v44, v44, 23, v38
	v_or3_b32 v40, v20, v44, v40
.LBB622_57:                             ;   in Loop: Header=BB622_17 Depth=1
	s_or_b64 exec, exec, s[12:13]
.LBB622_58:                             ;   in Loop: Header=BB622_17 Depth=1
	s_or_b64 exec, exec, s[6:7]
.LBB622_59:                             ;   in Loop: Header=BB622_17 Depth=1
	s_or_b64 exec, exec, s[4:5]
	v_cmp_lt_u32_e32 vcc, s15, v18
	s_and_saveexec_b64 s[4:5], vcc
	s_cbranch_execz .LBB622_65
; %bb.60:                               ;   in Loop: Header=BB622_17 Depth=1
	v_lshrrev_b32_e32 v20, 24, v18
	v_cmp_ne_u32_e32 vcc, s11, v20
	v_bfrev_b32_e32 v42, 1
	s_and_saveexec_b64 s[6:7], vcc
	s_cbranch_execz .LBB622_64
; %bb.61:                               ;   in Loop: Header=BB622_17 Depth=1
	v_bfe_u32 v18, v18, 24, 7
	v_cmp_ne_u32_e32 vcc, s14, v18
	v_mov_b32_e32 v42, 0x7f800001
	s_and_saveexec_b64 s[12:13], vcc
	s_cbranch_execz .LBB622_63
; %bb.62:                               ;   in Loop: Header=BB622_17 Depth=1
	v_and_b32_e32 v42, 7, v20
	v_ffbh_u32_e32 v52, v42
	v_min_u32_e32 v54, 32, v52
	v_subrev_u32_e32 v52, 28, v54
	v_lshlrev_b64 v[52:53], v52, v[20:21]
	v_lshrrev_b32_e32 v44, 3, v18
	v_sub_u32_e32 v53, 29, v54
	v_and_b32_e32 v52, 7, v52
	v_cmp_gt_u32_e32 vcc, 8, v18
	v_cndmask_b32_e32 v18, v44, v53, vcc
	v_cndmask_b32_e32 v42, v42, v52, vcc
	v_lshlrev_b32_e32 v20, 24, v20
	v_lshlrev_b32_e32 v42, 20, v42
	v_and_b32_e32 v20, 0x80000000, v20
	v_lshl_add_u32 v18, v18, 23, v38
	v_or3_b32 v42, v20, v18, v42
.LBB622_63:                             ;   in Loop: Header=BB622_17 Depth=1
	s_or_b64 exec, exec, s[12:13]
.LBB622_64:                             ;   in Loop: Header=BB622_17 Depth=1
	s_or_b64 exec, exec, s[6:7]
.LBB622_65:                             ;   in Loop: Header=BB622_17 Depth=1
	s_or_b64 exec, exec, s[4:5]
	v_cvt_pkrtz_f16_f32 v18, v21, v19
	v_cvt_pkrtz_f16_f32 v19, v23, v32
	;; [unrolled: 1-line block ×4, first 2 shown]
	v_mov_b32_e32 v32, 0
	v_mfma_f32_16x16x16f16 v[18:21], v[18:19], v[2:3], 0
	s_waitcnt vmcnt(1)
	v_cmp_ne_u16_sdwa s[6:7], v28, v35 src0_sel:BYTE_0 src1_sel:DWORD
	v_mov_b32_e32 v34, 0
	v_mfma_f32_16x16x16f16 v[18:21], v[52:53], v[4:5], v[18:21]
	s_and_saveexec_b64 s[4:5], s[6:7]
	s_cbranch_execz .LBB622_71
; %bb.66:                               ;   in Loop: Header=BB622_17 Depth=1
	v_cmp_ne_u16_sdwa s[12:13], v28, s11 src0_sel:BYTE_0 src1_sel:DWORD
	v_bfrev_b32_e32 v34, 1
	s_and_saveexec_b64 s[6:7], s[12:13]
	s_cbranch_execz .LBB622_70
; %bb.67:                               ;   in Loop: Header=BB622_17 Depth=1
	v_and_b32_e32 v23, 0x7f, v28
	v_cmp_ne_u32_e32 vcc, s14, v23
	v_mov_b32_e32 v34, 0x7f800001
	s_and_saveexec_b64 s[12:13], vcc
	s_cbranch_execz .LBB622_69
; %bb.68:                               ;   in Loop: Header=BB622_17 Depth=1
	v_and_b32_e32 v30, 7, v28
	v_ffbh_u32_e32 v40, v30
	v_min_u32_e32 v40, 32, v40
	v_subrev_u32_e32 v42, 28, v40
	v_lshlrev_b64 v[52:53], v42, v[28:29]
	v_lshrrev_b32_e32 v34, 3, v23
	v_sub_u32_e32 v40, 29, v40
	v_and_b32_e32 v42, 7, v52
	v_cmp_gt_u32_e32 vcc, 8, v23
	v_cndmask_b32_e32 v23, v34, v40, vcc
	v_cndmask_b32_e32 v30, v30, v42, vcc
	v_lshlrev_b32_e32 v34, 24, v28
	v_lshlrev_b32_e32 v30, 20, v30
	v_and_b32_e32 v34, 0x80000000, v34
	v_lshl_add_u32 v23, v23, 23, v38
	v_or3_b32 v34, v34, v23, v30
.LBB622_69:                             ;   in Loop: Header=BB622_17 Depth=1
	s_or_b64 exec, exec, s[12:13]
.LBB622_70:                             ;   in Loop: Header=BB622_17 Depth=1
	s_or_b64 exec, exec, s[6:7]
.LBB622_71:                             ;   in Loop: Header=BB622_17 Depth=1
	s_or_b64 exec, exec, s[4:5]
	v_lshrrev_b16_e32 v30, 8, v28
	v_cmp_ne_u16_e32 vcc, 0, v30
	v_mov_b32_e32 v40, 0
	s_and_saveexec_b64 s[4:5], vcc
	s_cbranch_execz .LBB622_77
; %bb.72:                               ;   in Loop: Header=BB622_17 Depth=1
	v_cmp_ne_u16_e32 vcc, s11, v30
	v_bfrev_b32_e32 v40, 1
	s_and_saveexec_b64 s[6:7], vcc
	s_cbranch_execz .LBB622_76
; %bb.73:                               ;   in Loop: Header=BB622_17 Depth=1
	v_and_b32_e32 v23, 0x7f, v30
	v_cmp_ne_u32_e32 vcc, s14, v23
	v_mov_b32_e32 v40, 0x7f800001
	s_and_saveexec_b64 s[12:13], vcc
	s_cbranch_execz .LBB622_75
; %bb.74:                               ;   in Loop: Header=BB622_17 Depth=1
	v_and_b32_e32 v40, 7, v30
	v_ffbh_u32_e32 v44, v40
	v_min_u32_e32 v44, 32, v44
	v_subrev_u32_e32 v52, 28, v44
	v_lshlrev_b64 v[52:53], v52, v[30:31]
	v_lshrrev_b32_e32 v42, 3, v23
	v_sub_u32_e32 v30, 29, v44
	v_and_b32_e32 v44, 7, v52
	v_cmp_gt_u32_e32 vcc, 8, v23
	v_cndmask_b32_e32 v23, v42, v30, vcc
	v_cndmask_b32_e32 v30, v40, v44, vcc
	v_lshlrev_b32_e32 v40, 16, v28
	v_lshlrev_b32_e32 v30, 20, v30
	v_and_b32_e32 v40, 0x80000000, v40
	v_lshl_add_u32 v23, v23, 23, v38
	v_or3_b32 v40, v40, v23, v30
.LBB622_75:                             ;   in Loop: Header=BB622_17 Depth=1
	s_or_b64 exec, exec, s[12:13]
.LBB622_76:                             ;   in Loop: Header=BB622_17 Depth=1
	s_or_b64 exec, exec, s[6:7]
.LBB622_77:                             ;   in Loop: Header=BB622_17 Depth=1
	s_or_b64 exec, exec, s[4:5]
	v_lshrrev_b32_e32 v30, 16, v28
	v_cmp_ne_u16_sdwa s[6:7], v30, v35 src0_sel:BYTE_0 src1_sel:DWORD
	s_and_saveexec_b64 s[4:5], s[6:7]
	s_cbranch_execz .LBB622_83
; %bb.78:                               ;   in Loop: Header=BB622_17 Depth=1
	v_cmp_ne_u16_sdwa s[12:13], v30, s11 src0_sel:BYTE_0 src1_sel:DWORD
	v_bfrev_b32_e32 v32, 1
	s_and_saveexec_b64 s[6:7], s[12:13]
	s_cbranch_execz .LBB622_82
; %bb.79:                               ;   in Loop: Header=BB622_17 Depth=1
	v_bfe_u32 v23, v28, 16, 7
	v_cmp_ne_u32_e32 vcc, s14, v23
	v_mov_b32_e32 v32, 0x7f800001
	s_and_saveexec_b64 s[12:13], vcc
	s_cbranch_execz .LBB622_81
; %bb.80:                               ;   in Loop: Header=BB622_17 Depth=1
	v_and_b32_e32 v32, 7, v30
	v_ffbh_u32_e32 v44, v32
	v_min_u32_e32 v44, 32, v44
	v_subrev_u32_e32 v52, 28, v44
	v_lshlrev_b64 v[52:53], v52, v[30:31]
	v_lshrrev_b32_e32 v42, 3, v23
	v_sub_u32_e32 v44, 29, v44
	v_and_b32_e32 v52, 7, v52
	v_cmp_gt_u32_e32 vcc, 8, v23
	v_cndmask_b32_e32 v23, v42, v44, vcc
	v_cndmask_b32_e32 v32, v32, v52, vcc
	v_lshlrev_b32_e32 v30, 24, v30
	v_lshlrev_b32_e32 v32, 20, v32
	v_and_b32_e32 v30, 0x80000000, v30
	v_lshl_add_u32 v23, v23, 23, v38
	v_or3_b32 v32, v30, v23, v32
.LBB622_81:                             ;   in Loop: Header=BB622_17 Depth=1
	s_or_b64 exec, exec, s[12:13]
.LBB622_82:                             ;   in Loop: Header=BB622_17 Depth=1
	s_or_b64 exec, exec, s[6:7]
.LBB622_83:                             ;   in Loop: Header=BB622_17 Depth=1
	s_or_b64 exec, exec, s[4:5]
	v_cmp_lt_u32_e32 vcc, s15, v28
	v_mov_b32_e32 v42, 0
	v_mov_b32_e32 v44, 0
	s_and_saveexec_b64 s[4:5], vcc
	s_cbranch_execz .LBB622_89
; %bb.84:                               ;   in Loop: Header=BB622_17 Depth=1
	v_lshrrev_b32_e32 v30, 24, v28
	v_cmp_ne_u32_e32 vcc, s11, v30
	v_bfrev_b32_e32 v44, 1
	s_and_saveexec_b64 s[6:7], vcc
	s_cbranch_execz .LBB622_88
; %bb.85:                               ;   in Loop: Header=BB622_17 Depth=1
	v_bfe_u32 v23, v28, 24, 7
	v_cmp_ne_u32_e32 vcc, s14, v23
	v_mov_b32_e32 v44, 0x7f800001
	s_and_saveexec_b64 s[12:13], vcc
	s_cbranch_execz .LBB622_87
; %bb.86:                               ;   in Loop: Header=BB622_17 Depth=1
	v_and_b32_e32 v28, 7, v30
	v_ffbh_u32_e32 v52, v28
	v_min_u32_e32 v54, 32, v52
	v_subrev_u32_e32 v52, 28, v54
	v_lshlrev_b64 v[52:53], v52, v[30:31]
	v_lshrrev_b32_e32 v44, 3, v23
	v_sub_u32_e32 v53, 29, v54
	v_and_b32_e32 v52, 7, v52
	v_cmp_gt_u32_e32 vcc, 8, v23
	v_cndmask_b32_e32 v23, v44, v53, vcc
	v_cndmask_b32_e32 v28, v28, v52, vcc
	v_lshlrev_b32_e32 v30, 24, v30
	v_lshlrev_b32_e32 v28, 20, v28
	v_and_b32_e32 v30, 0x80000000, v30
	v_lshl_add_u32 v23, v23, 23, v38
	v_or3_b32 v44, v30, v23, v28
.LBB622_87:                             ;   in Loop: Header=BB622_17 Depth=1
	s_or_b64 exec, exec, s[12:13]
.LBB622_88:                             ;   in Loop: Header=BB622_17 Depth=1
	s_or_b64 exec, exec, s[6:7]
.LBB622_89:                             ;   in Loop: Header=BB622_17 Depth=1
	s_or_b64 exec, exec, s[4:5]
	s_waitcnt vmcnt(0)
	v_cmp_ne_u16_sdwa s[6:7], v26, v35 src0_sel:BYTE_0 src1_sel:DWORD
	s_and_saveexec_b64 s[4:5], s[6:7]
	s_cbranch_execz .LBB622_95
; %bb.90:                               ;   in Loop: Header=BB622_17 Depth=1
	v_cmp_ne_u16_sdwa s[12:13], v26, s11 src0_sel:BYTE_0 src1_sel:DWORD
	v_bfrev_b32_e32 v42, 1
	s_and_saveexec_b64 s[6:7], s[12:13]
	s_cbranch_execz .LBB622_94
; %bb.91:                               ;   in Loop: Header=BB622_17 Depth=1
	v_and_b32_e32 v23, 0x7f, v26
	v_cmp_ne_u32_e32 vcc, s14, v23
	v_mov_b32_e32 v42, 0x7f800001
	s_and_saveexec_b64 s[12:13], vcc
	s_cbranch_execz .LBB622_93
; %bb.92:                               ;   in Loop: Header=BB622_17 Depth=1
	v_and_b32_e32 v28, 7, v26
	v_ffbh_u32_e32 v42, v28
	v_min_u32_e32 v42, 32, v42
	v_subrev_u32_e32 v52, 28, v42
	v_lshlrev_b64 v[52:53], v52, v[26:27]
	v_lshrrev_b32_e32 v30, 3, v23
	v_sub_u32_e32 v42, 29, v42
	v_and_b32_e32 v52, 7, v52
	v_cmp_gt_u32_e32 vcc, 8, v23
	v_cndmask_b32_e32 v23, v30, v42, vcc
	v_cndmask_b32_e32 v28, v28, v52, vcc
	v_lshlrev_b32_e32 v30, 24, v26
	v_lshlrev_b32_e32 v28, 20, v28
	v_and_b32_e32 v30, 0x80000000, v30
	v_lshl_add_u32 v23, v23, 23, v38
	v_or3_b32 v42, v30, v23, v28
.LBB622_93:                             ;   in Loop: Header=BB622_17 Depth=1
	s_or_b64 exec, exec, s[12:13]
.LBB622_94:                             ;   in Loop: Header=BB622_17 Depth=1
	s_or_b64 exec, exec, s[6:7]
.LBB622_95:                             ;   in Loop: Header=BB622_17 Depth=1
	s_or_b64 exec, exec, s[4:5]
	v_lshrrev_b16_e32 v28, 8, v26
	v_cmp_ne_u16_e32 vcc, 0, v28
	v_mov_b32_e32 v52, 0
	v_mov_b32_e32 v53, 0
	s_and_saveexec_b64 s[4:5], vcc
	s_cbranch_execz .LBB622_101
; %bb.96:                               ;   in Loop: Header=BB622_17 Depth=1
	v_cmp_ne_u16_e32 vcc, s11, v28
	v_bfrev_b32_e32 v53, 1
	s_and_saveexec_b64 s[6:7], vcc
	s_cbranch_execz .LBB622_100
; %bb.97:                               ;   in Loop: Header=BB622_17 Depth=1
	v_and_b32_e32 v23, 0x7f, v28
	v_cmp_ne_u32_e32 vcc, s14, v23
	v_mov_b32_e32 v53, 0x7f800001
	s_and_saveexec_b64 s[12:13], vcc
	s_cbranch_execz .LBB622_99
; %bb.98:                               ;   in Loop: Header=BB622_17 Depth=1
	v_and_b32_e32 v30, 7, v28
	v_ffbh_u32_e32 v54, v30
	v_min_u32_e32 v56, 32, v54
	v_subrev_u32_e32 v54, 28, v56
	v_lshlrev_b64 v[54:55], v54, v[28:29]
	v_lshrrev_b32_e32 v53, 3, v23
	v_sub_u32_e32 v28, 29, v56
	v_and_b32_e32 v54, 7, v54
	v_cmp_gt_u32_e32 vcc, 8, v23
	v_cndmask_b32_e32 v23, v53, v28, vcc
	v_cndmask_b32_e32 v28, v30, v54, vcc
	v_lshlrev_b32_e32 v30, 16, v26
	v_lshlrev_b32_e32 v28, 20, v28
	v_and_b32_e32 v30, 0x80000000, v30
	v_lshl_add_u32 v23, v23, 23, v38
	v_or3_b32 v53, v30, v23, v28
.LBB622_99:                             ;   in Loop: Header=BB622_17 Depth=1
	s_or_b64 exec, exec, s[12:13]
.LBB622_100:                            ;   in Loop: Header=BB622_17 Depth=1
	s_or_b64 exec, exec, s[6:7]
.LBB622_101:                            ;   in Loop: Header=BB622_17 Depth=1
	s_or_b64 exec, exec, s[4:5]
	v_lshrrev_b32_e32 v28, 16, v26
	v_cmp_ne_u16_sdwa s[6:7], v28, v35 src0_sel:BYTE_0 src1_sel:DWORD
	s_and_saveexec_b64 s[4:5], s[6:7]
	s_cbranch_execz .LBB622_107
; %bb.102:                              ;   in Loop: Header=BB622_17 Depth=1
	v_cmp_ne_u16_sdwa s[12:13], v28, s11 src0_sel:BYTE_0 src1_sel:DWORD
	v_bfrev_b32_e32 v52, 1
	s_and_saveexec_b64 s[6:7], s[12:13]
	s_cbranch_execz .LBB622_106
; %bb.103:                              ;   in Loop: Header=BB622_17 Depth=1
	v_bfe_u32 v23, v26, 16, 7
	v_cmp_ne_u32_e32 vcc, s14, v23
	v_mov_b32_e32 v52, 0x7f800001
	s_and_saveexec_b64 s[12:13], vcc
	s_cbranch_execz .LBB622_105
; %bb.104:                              ;   in Loop: Header=BB622_17 Depth=1
	v_and_b32_e32 v30, 7, v28
	v_ffbh_u32_e32 v54, v30
	v_min_u32_e32 v56, 32, v54
	v_subrev_u32_e32 v54, 28, v56
	v_lshlrev_b64 v[54:55], v54, v[28:29]
	v_lshrrev_b32_e32 v52, 3, v23
	v_sub_u32_e32 v55, 29, v56
	v_and_b32_e32 v54, 7, v54
	v_cmp_gt_u32_e32 vcc, 8, v23
	v_cndmask_b32_e32 v23, v52, v55, vcc
	v_cndmask_b32_e32 v30, v30, v54, vcc
	v_lshlrev_b32_e32 v28, 24, v28
	v_lshlrev_b32_e32 v30, 20, v30
	v_and_b32_e32 v28, 0x80000000, v28
	v_lshl_add_u32 v23, v23, 23, v38
	v_or3_b32 v52, v28, v23, v30
.LBB622_105:                            ;   in Loop: Header=BB622_17 Depth=1
	s_or_b64 exec, exec, s[12:13]
.LBB622_106:                            ;   in Loop: Header=BB622_17 Depth=1
	s_or_b64 exec, exec, s[6:7]
.LBB622_107:                            ;   in Loop: Header=BB622_17 Depth=1
	s_or_b64 exec, exec, s[4:5]
	v_cmp_lt_u32_e32 vcc, s15, v26
	v_mov_b32_e32 v23, 0
	v_mov_b32_e32 v54, 0
	s_and_saveexec_b64 s[4:5], vcc
	s_cbranch_execz .LBB622_113
; %bb.108:                              ;   in Loop: Header=BB622_17 Depth=1
	v_lshrrev_b32_e32 v28, 24, v26
	v_cmp_ne_u32_e32 vcc, s11, v28
	v_bfrev_b32_e32 v54, 1
	s_and_saveexec_b64 s[6:7], vcc
	s_cbranch_execz .LBB622_112
; %bb.109:                              ;   in Loop: Header=BB622_17 Depth=1
	v_bfe_u32 v26, v26, 24, 7
	v_cmp_ne_u32_e32 vcc, s14, v26
	v_mov_b32_e32 v54, 0x7f800001
	s_and_saveexec_b64 s[12:13], vcc
	s_cbranch_execz .LBB622_111
; %bb.110:                              ;   in Loop: Header=BB622_17 Depth=1
	v_and_b32_e32 v30, 7, v28
	v_ffbh_u32_e32 v54, v30
	v_min_u32_e32 v57, 32, v54
	v_subrev_u32_e32 v54, 28, v57
	v_lshlrev_b64 v[54:55], v54, v[28:29]
	v_lshrrev_b32_e32 v56, 3, v26
	v_sub_u32_e32 v55, 29, v57
	v_and_b32_e32 v54, 7, v54
	v_cmp_gt_u32_e32 vcc, 8, v26
	v_cndmask_b32_e32 v26, v56, v55, vcc
	v_cndmask_b32_e32 v30, v30, v54, vcc
	v_lshlrev_b32_e32 v28, 24, v28
	v_lshlrev_b32_e32 v30, 20, v30
	v_and_b32_e32 v28, 0x80000000, v28
	v_lshl_add_u32 v26, v26, 23, v38
	v_or3_b32 v54, v28, v26, v30
.LBB622_111:                            ;   in Loop: Header=BB622_17 Depth=1
	s_or_b64 exec, exec, s[12:13]
.LBB622_112:                            ;   in Loop: Header=BB622_17 Depth=1
	s_or_b64 exec, exec, s[6:7]
.LBB622_113:                            ;   in Loop: Header=BB622_17 Depth=1
	s_or_b64 exec, exec, s[4:5]
	v_cvt_pkrtz_f16_f32 v57, v32, v44
	buffer_load_dword v32, v36, s[0:3], 0 offen offset:16
	buffer_load_dword v30, v36, s[0:3], 0 offen offset:20
	;; [unrolled: 1-line block ×4, first 2 shown]
	v_cvt_pkrtz_f16_f32 v56, v34, v40
	s_waitcnt vmcnt(3)
	v_cmp_ne_u16_sdwa s[6:7], v32, v35 src0_sel:BYTE_0 src1_sel:DWORD
	v_mfma_f32_16x16x16f16 v[18:21], v[56:57], v[6:7], v[18:21]
	v_cvt_pkrtz_f16_f32 v56, v42, v53
	v_cvt_pkrtz_f16_f32 v57, v52, v54
	s_nop 1
	v_mfma_f32_16x16x16f16 v[18:21], v[56:57], v[8:9], v[18:21]
	s_and_saveexec_b64 s[4:5], s[6:7]
	s_cbranch_execz .LBB622_119
; %bb.114:                              ;   in Loop: Header=BB622_17 Depth=1
	v_cmp_ne_u16_sdwa s[12:13], v32, s11 src0_sel:BYTE_0 src1_sel:DWORD
	v_bfrev_b32_e32 v23, 1
	s_and_saveexec_b64 s[6:7], s[12:13]
	s_cbranch_execz .LBB622_118
; %bb.115:                              ;   in Loop: Header=BB622_17 Depth=1
	v_and_b32_e32 v34, 0x7f, v32
	v_cmp_ne_u32_e32 vcc, s14, v34
	v_mov_b32_e32 v23, 0x7f800001
	s_and_saveexec_b64 s[12:13], vcc
	s_cbranch_execz .LBB622_117
; %bb.116:                              ;   in Loop: Header=BB622_17 Depth=1
	v_and_b32_e32 v23, 7, v32
	v_ffbh_u32_e32 v42, v23
	v_min_u32_e32 v42, 32, v42
	v_subrev_u32_e32 v44, 28, v42
	v_lshlrev_b64 v[52:53], v44, v[32:33]
	v_lshrrev_b32_e32 v40, 3, v34
	v_sub_u32_e32 v42, 29, v42
	v_and_b32_e32 v44, 7, v52
	v_cmp_gt_u32_e32 vcc, 8, v34
	v_cndmask_b32_e32 v34, v40, v42, vcc
	v_cndmask_b32_e32 v23, v23, v44, vcc
	v_lshlrev_b32_e32 v40, 24, v32
	v_lshlrev_b32_e32 v23, 20, v23
	v_and_b32_e32 v40, 0x80000000, v40
	v_lshl_add_u32 v34, v34, 23, v38
	v_or3_b32 v23, v40, v34, v23
.LBB622_117:                            ;   in Loop: Header=BB622_17 Depth=1
	s_or_b64 exec, exec, s[12:13]
.LBB622_118:                            ;   in Loop: Header=BB622_17 Depth=1
	s_or_b64 exec, exec, s[6:7]
.LBB622_119:                            ;   in Loop: Header=BB622_17 Depth=1
	s_or_b64 exec, exec, s[4:5]
	v_lshrrev_b16_e32 v34, 8, v32
	v_cmp_ne_u16_e32 vcc, 0, v34
	v_mov_b32_e32 v40, 0
	v_mov_b32_e32 v42, 0
	s_and_saveexec_b64 s[4:5], vcc
	s_cbranch_execz .LBB622_125
; %bb.120:                              ;   in Loop: Header=BB622_17 Depth=1
	v_cmp_ne_u16_e32 vcc, s11, v34
	v_bfrev_b32_e32 v42, 1
	s_and_saveexec_b64 s[6:7], vcc
	s_cbranch_execz .LBB622_124
; %bb.121:                              ;   in Loop: Header=BB622_17 Depth=1
	v_and_b32_e32 v44, 0x7f, v34
	v_cmp_ne_u32_e32 vcc, s14, v44
	v_mov_b32_e32 v42, 0x7f800001
	s_and_saveexec_b64 s[12:13], vcc
	s_cbranch_execz .LBB622_123
; %bb.122:                              ;   in Loop: Header=BB622_17 Depth=1
	v_and_b32_e32 v42, 7, v34
	v_ffbh_u32_e32 v52, v42
	v_min_u32_e32 v55, 32, v52
	v_subrev_u32_e32 v52, 28, v55
	v_lshlrev_b64 v[52:53], v52, v[34:35]
	v_lshrrev_b32_e32 v54, 3, v44
	v_sub_u32_e32 v34, 29, v55
	v_and_b32_e32 v52, 7, v52
	v_cmp_gt_u32_e32 vcc, 8, v44
	v_cndmask_b32_e32 v34, v54, v34, vcc
	v_cndmask_b32_e32 v42, v42, v52, vcc
	v_lshlrev_b32_e32 v44, 16, v32
	v_lshlrev_b32_e32 v42, 20, v42
	v_and_b32_e32 v44, 0x80000000, v44
	v_lshl_add_u32 v34, v34, 23, v38
	v_or3_b32 v42, v44, v34, v42
.LBB622_123:                            ;   in Loop: Header=BB622_17 Depth=1
	s_or_b64 exec, exec, s[12:13]
.LBB622_124:                            ;   in Loop: Header=BB622_17 Depth=1
	s_or_b64 exec, exec, s[6:7]
.LBB622_125:                            ;   in Loop: Header=BB622_17 Depth=1
	s_or_b64 exec, exec, s[4:5]
	v_lshrrev_b32_e32 v34, 16, v32
	v_cmp_ne_u16_sdwa s[6:7], v34, v35 src0_sel:BYTE_0 src1_sel:DWORD
	s_and_saveexec_b64 s[4:5], s[6:7]
	s_cbranch_execz .LBB622_131
; %bb.126:                              ;   in Loop: Header=BB622_17 Depth=1
	v_cmp_ne_u16_sdwa s[12:13], v34, s11 src0_sel:BYTE_0 src1_sel:DWORD
	v_bfrev_b32_e32 v40, 1
	s_and_saveexec_b64 s[6:7], s[12:13]
	s_cbranch_execz .LBB622_130
; %bb.127:                              ;   in Loop: Header=BB622_17 Depth=1
	v_bfe_u32 v44, v32, 16, 7
	v_cmp_ne_u32_e32 vcc, s14, v44
	v_mov_b32_e32 v40, 0x7f800001
	s_and_saveexec_b64 s[12:13], vcc
	s_cbranch_execz .LBB622_129
; %bb.128:                              ;   in Loop: Header=BB622_17 Depth=1
	v_and_b32_e32 v40, 7, v34
	v_ffbh_u32_e32 v52, v40
	v_min_u32_e32 v55, 32, v52
	v_subrev_u32_e32 v52, 28, v55
	v_lshlrev_b64 v[52:53], v52, v[34:35]
	v_lshrrev_b32_e32 v54, 3, v44
	v_sub_u32_e32 v53, 29, v55
	v_and_b32_e32 v52, 7, v52
	v_cmp_gt_u32_e32 vcc, 8, v44
	v_cndmask_b32_e32 v44, v54, v53, vcc
	v_cndmask_b32_e32 v40, v40, v52, vcc
	v_lshlrev_b32_e32 v34, 24, v34
	v_lshlrev_b32_e32 v40, 20, v40
	v_and_b32_e32 v34, 0x80000000, v34
	v_lshl_add_u32 v44, v44, 23, v38
	v_or3_b32 v40, v34, v44, v40
.LBB622_129:                            ;   in Loop: Header=BB622_17 Depth=1
	s_or_b64 exec, exec, s[12:13]
.LBB622_130:                            ;   in Loop: Header=BB622_17 Depth=1
	s_or_b64 exec, exec, s[6:7]
.LBB622_131:                            ;   in Loop: Header=BB622_17 Depth=1
	s_or_b64 exec, exec, s[4:5]
	v_cmp_lt_u32_e32 vcc, s15, v32
	v_mov_b32_e32 v44, 0
	v_mov_b32_e32 v52, 0
	s_and_saveexec_b64 s[4:5], vcc
	s_cbranch_execz .LBB622_137
; %bb.132:                              ;   in Loop: Header=BB622_17 Depth=1
	v_lshrrev_b32_e32 v34, 24, v32
	v_cmp_ne_u32_e32 vcc, s11, v34
	v_bfrev_b32_e32 v52, 1
	s_and_saveexec_b64 s[6:7], vcc
	s_cbranch_execz .LBB622_136
; %bb.133:                              ;   in Loop: Header=BB622_17 Depth=1
	v_bfe_u32 v32, v32, 24, 7
	v_cmp_ne_u32_e32 vcc, s14, v32
	v_mov_b32_e32 v52, 0x7f800001
	s_and_saveexec_b64 s[12:13], vcc
	s_cbranch_execz .LBB622_135
; %bb.134:                              ;   in Loop: Header=BB622_17 Depth=1
	v_and_b32_e32 v54, 7, v34
	v_ffbh_u32_e32 v52, v54
	v_min_u32_e32 v56, 32, v52
	v_subrev_u32_e32 v52, 28, v56
	v_lshlrev_b64 v[52:53], v52, v[34:35]
	v_lshrrev_b32_e32 v55, 3, v32
	v_sub_u32_e32 v53, 29, v56
	v_and_b32_e32 v52, 7, v52
	v_cmp_gt_u32_e32 vcc, 8, v32
	v_cndmask_b32_e32 v32, v55, v53, vcc
	v_cndmask_b32_e32 v52, v54, v52, vcc
	v_lshlrev_b32_e32 v34, 24, v34
	v_lshlrev_b32_e32 v52, 20, v52
	v_and_b32_e32 v34, 0x80000000, v34
	v_lshl_add_u32 v32, v32, 23, v38
	v_or3_b32 v52, v34, v32, v52
.LBB622_135:                            ;   in Loop: Header=BB622_17 Depth=1
	s_or_b64 exec, exec, s[12:13]
.LBB622_136:                            ;   in Loop: Header=BB622_17 Depth=1
	s_or_b64 exec, exec, s[6:7]
.LBB622_137:                            ;   in Loop: Header=BB622_17 Depth=1
	s_or_b64 exec, exec, s[4:5]
	s_waitcnt vmcnt(2)
	v_cmp_ne_u16_sdwa s[6:7], v30, v35 src0_sel:BYTE_0 src1_sel:DWORD
	s_and_saveexec_b64 s[4:5], s[6:7]
	s_cbranch_execz .LBB622_143
; %bb.138:                              ;   in Loop: Header=BB622_17 Depth=1
	v_cmp_ne_u16_sdwa s[12:13], v30, s11 src0_sel:BYTE_0 src1_sel:DWORD
	v_bfrev_b32_e32 v44, 1
	s_and_saveexec_b64 s[6:7], s[12:13]
	s_cbranch_execz .LBB622_142
; %bb.139:                              ;   in Loop: Header=BB622_17 Depth=1
	v_and_b32_e32 v32, 0x7f, v30
	v_cmp_ne_u32_e32 vcc, s14, v32
	v_mov_b32_e32 v44, 0x7f800001
	s_and_saveexec_b64 s[12:13], vcc
	s_cbranch_execz .LBB622_141
; %bb.140:                              ;   in Loop: Header=BB622_17 Depth=1
	v_and_b32_e32 v34, 7, v30
	v_ffbh_u32_e32 v53, v34
	v_min_u32_e32 v53, 32, v53
	v_subrev_u32_e32 v54, 28, v53
	v_lshlrev_b64 v[54:55], v54, v[30:31]
	v_lshrrev_b32_e32 v44, 3, v32
	v_sub_u32_e32 v53, 29, v53
	v_and_b32_e32 v54, 7, v54
	v_cmp_gt_u32_e32 vcc, 8, v32
	v_cndmask_b32_e32 v32, v44, v53, vcc
	v_cndmask_b32_e32 v34, v34, v54, vcc
	v_lshlrev_b32_e32 v44, 24, v30
	v_lshlrev_b32_e32 v34, 20, v34
	v_and_b32_e32 v44, 0x80000000, v44
	v_lshl_add_u32 v32, v32, 23, v38
	v_or3_b32 v44, v44, v32, v34
.LBB622_141:                            ;   in Loop: Header=BB622_17 Depth=1
	s_or_b64 exec, exec, s[12:13]
.LBB622_142:                            ;   in Loop: Header=BB622_17 Depth=1
	s_or_b64 exec, exec, s[6:7]
.LBB622_143:                            ;   in Loop: Header=BB622_17 Depth=1
	s_or_b64 exec, exec, s[4:5]
	v_lshrrev_b16_e32 v32, 8, v30
	v_cmp_ne_u16_e32 vcc, 0, v32
	v_mov_b32_e32 v53, 0
	v_mov_b32_e32 v54, 0
	s_and_saveexec_b64 s[4:5], vcc
	s_cbranch_execz .LBB622_149
; %bb.144:                              ;   in Loop: Header=BB622_17 Depth=1
	v_cmp_ne_u16_e32 vcc, s11, v32
	v_bfrev_b32_e32 v54, 1
	s_and_saveexec_b64 s[6:7], vcc
	s_cbranch_execz .LBB622_148
; %bb.145:                              ;   in Loop: Header=BB622_17 Depth=1
	v_and_b32_e32 v34, 0x7f, v32
	v_cmp_ne_u32_e32 vcc, s14, v34
	v_mov_b32_e32 v54, 0x7f800001
	s_and_saveexec_b64 s[12:13], vcc
	s_cbranch_execz .LBB622_147
; %bb.146:                              ;   in Loop: Header=BB622_17 Depth=1
	v_and_b32_e32 v56, 7, v32
	v_ffbh_u32_e32 v54, v56
	v_min_u32_e32 v58, 32, v54
	v_subrev_u32_e32 v54, 28, v58
	v_lshlrev_b64 v[54:55], v54, v[32:33]
	v_lshrrev_b32_e32 v57, 3, v34
	v_sub_u32_e32 v32, 29, v58
	v_and_b32_e32 v54, 7, v54
	v_cmp_gt_u32_e32 vcc, 8, v34
	v_cndmask_b32_e32 v32, v57, v32, vcc
	v_cndmask_b32_e32 v34, v56, v54, vcc
	v_lshlrev_b32_e32 v54, 16, v30
	v_lshlrev_b32_e32 v34, 20, v34
	v_and_b32_e32 v54, 0x80000000, v54
	v_lshl_add_u32 v32, v32, 23, v38
	v_or3_b32 v54, v54, v32, v34
.LBB622_147:                            ;   in Loop: Header=BB622_17 Depth=1
	s_or_b64 exec, exec, s[12:13]
.LBB622_148:                            ;   in Loop: Header=BB622_17 Depth=1
	s_or_b64 exec, exec, s[6:7]
.LBB622_149:                            ;   in Loop: Header=BB622_17 Depth=1
	s_or_b64 exec, exec, s[4:5]
	v_lshrrev_b32_e32 v32, 16, v30
	v_cmp_ne_u16_sdwa s[6:7], v32, v35 src0_sel:BYTE_0 src1_sel:DWORD
	s_and_saveexec_b64 s[4:5], s[6:7]
	s_cbranch_execz .LBB622_155
; %bb.150:                              ;   in Loop: Header=BB622_17 Depth=1
	v_cmp_ne_u16_sdwa s[12:13], v32, s11 src0_sel:BYTE_0 src1_sel:DWORD
	v_bfrev_b32_e32 v53, 1
	s_and_saveexec_b64 s[6:7], s[12:13]
	s_cbranch_execz .LBB622_154
; %bb.151:                              ;   in Loop: Header=BB622_17 Depth=1
	v_bfe_u32 v34, v30, 16, 7
	v_cmp_ne_u32_e32 vcc, s14, v34
	v_mov_b32_e32 v53, 0x7f800001
	s_and_saveexec_b64 s[12:13], vcc
	s_cbranch_execz .LBB622_153
; %bb.152:                              ;   in Loop: Header=BB622_17 Depth=1
	v_and_b32_e32 v53, 7, v32
	v_ffbh_u32_e32 v56, v53
	v_min_u32_e32 v58, 32, v56
	v_subrev_u32_e32 v56, 28, v58
	v_lshlrev_b64 v[56:57], v56, v[32:33]
	v_lshrrev_b32_e32 v55, 3, v34
	v_sub_u32_e32 v57, 29, v58
	v_and_b32_e32 v56, 7, v56
	v_cmp_gt_u32_e32 vcc, 8, v34
	v_cndmask_b32_e32 v34, v55, v57, vcc
	v_cndmask_b32_e32 v53, v53, v56, vcc
	v_lshlrev_b32_e32 v32, 24, v32
	v_lshlrev_b32_e32 v53, 20, v53
	v_and_b32_e32 v32, 0x80000000, v32
	v_lshl_add_u32 v34, v34, 23, v38
	v_or3_b32 v53, v32, v34, v53
.LBB622_153:                            ;   in Loop: Header=BB622_17 Depth=1
	s_or_b64 exec, exec, s[12:13]
.LBB622_154:                            ;   in Loop: Header=BB622_17 Depth=1
	s_or_b64 exec, exec, s[6:7]
.LBB622_155:                            ;   in Loop: Header=BB622_17 Depth=1
	s_or_b64 exec, exec, s[4:5]
	v_cmp_lt_u32_e32 vcc, s15, v30
	v_mov_b32_e32 v34, 0
	v_mov_b32_e32 v55, 0
	s_and_saveexec_b64 s[4:5], vcc
	s_cbranch_execz .LBB622_161
; %bb.156:                              ;   in Loop: Header=BB622_17 Depth=1
	v_lshrrev_b32_e32 v32, 24, v30
	v_cmp_ne_u32_e32 vcc, s11, v32
	v_bfrev_b32_e32 v55, 1
	s_and_saveexec_b64 s[6:7], vcc
	s_cbranch_execz .LBB622_160
; %bb.157:                              ;   in Loop: Header=BB622_17 Depth=1
	v_bfe_u32 v30, v30, 24, 7
	v_cmp_ne_u32_e32 vcc, s14, v30
	v_mov_b32_e32 v55, 0x7f800001
	s_and_saveexec_b64 s[12:13], vcc
	s_cbranch_execz .LBB622_159
; %bb.158:                              ;   in Loop: Header=BB622_17 Depth=1
	v_and_b32_e32 v55, 7, v32
	v_ffbh_u32_e32 v56, v55
	v_min_u32_e32 v59, 32, v56
	v_subrev_u32_e32 v56, 28, v59
	v_lshlrev_b64 v[56:57], v56, v[32:33]
	v_lshrrev_b32_e32 v58, 3, v30
	v_sub_u32_e32 v57, 29, v59
	v_and_b32_e32 v56, 7, v56
	v_cmp_gt_u32_e32 vcc, 8, v30
	v_cndmask_b32_e32 v30, v58, v57, vcc
	v_cndmask_b32_e32 v55, v55, v56, vcc
	v_lshlrev_b32_e32 v32, 24, v32
	v_lshlrev_b32_e32 v55, 20, v55
	v_and_b32_e32 v32, 0x80000000, v32
	v_lshl_add_u32 v30, v30, 23, v38
	v_or3_b32 v55, v32, v30, v55
.LBB622_159:                            ;   in Loop: Header=BB622_17 Depth=1
	s_or_b64 exec, exec, s[12:13]
.LBB622_160:                            ;   in Loop: Header=BB622_17 Depth=1
	s_or_b64 exec, exec, s[6:7]
.LBB622_161:                            ;   in Loop: Header=BB622_17 Depth=1
	s_or_b64 exec, exec, s[4:5]
	v_cvt_pkrtz_f16_f32 v56, v23, v42
	v_cvt_pkrtz_f16_f32 v57, v40, v52
	;; [unrolled: 1-line block ×4, first 2 shown]
	s_waitcnt vmcnt(1)
	v_cmp_ne_u16_sdwa s[6:7], v28, v35 src0_sel:BYTE_0 src1_sel:DWORD
	v_mfma_f32_16x16x16f16 v[18:21], v[56:57], v[10:11], v[18:21]
	v_mfma_f32_16x16x16f16 v[18:21], v[52:53], v[12:13], v[18:21]
	s_and_saveexec_b64 s[4:5], s[6:7]
	s_cbranch_execz .LBB622_167
; %bb.162:                              ;   in Loop: Header=BB622_17 Depth=1
	v_cmp_ne_u16_sdwa s[12:13], v28, s11 src0_sel:BYTE_0 src1_sel:DWORD
	v_bfrev_b32_e32 v34, 1
	s_and_saveexec_b64 s[6:7], s[12:13]
	s_cbranch_execz .LBB622_166
; %bb.163:                              ;   in Loop: Header=BB622_17 Depth=1
	v_and_b32_e32 v23, 0x7f, v28
	v_cmp_ne_u32_e32 vcc, s14, v23
	v_mov_b32_e32 v34, 0x7f800001
	s_and_saveexec_b64 s[12:13], vcc
	s_cbranch_execz .LBB622_165
; %bb.164:                              ;   in Loop: Header=BB622_17 Depth=1
	v_and_b32_e32 v30, 7, v28
	v_ffbh_u32_e32 v34, v30
	v_min_u32_e32 v34, 32, v34
	v_subrev_u32_e32 v40, 28, v34
	v_lshlrev_b64 v[52:53], v40, v[28:29]
	v_lshrrev_b32_e32 v32, 3, v23
	v_sub_u32_e32 v34, 29, v34
	v_and_b32_e32 v40, 7, v52
	v_cmp_gt_u32_e32 vcc, 8, v23
	v_cndmask_b32_e32 v23, v32, v34, vcc
	v_cndmask_b32_e32 v30, v30, v40, vcc
	v_lshlrev_b32_e32 v32, 24, v28
	v_lshlrev_b32_e32 v30, 20, v30
	v_and_b32_e32 v32, 0x80000000, v32
	v_lshl_add_u32 v23, v23, 23, v38
	v_or3_b32 v34, v32, v23, v30
.LBB622_165:                            ;   in Loop: Header=BB622_17 Depth=1
	s_or_b64 exec, exec, s[12:13]
.LBB622_166:                            ;   in Loop: Header=BB622_17 Depth=1
	s_or_b64 exec, exec, s[6:7]
.LBB622_167:                            ;   in Loop: Header=BB622_17 Depth=1
	s_or_b64 exec, exec, s[4:5]
	v_lshrrev_b16_e32 v30, 8, v28
	v_cmp_ne_u16_e32 vcc, 0, v30
	v_mov_b32_e32 v23, 0
	v_mov_b32_e32 v32, 0
	s_and_saveexec_b64 s[4:5], vcc
	s_cbranch_execz .LBB622_173
; %bb.168:                              ;   in Loop: Header=BB622_17 Depth=1
	v_cmp_ne_u16_e32 vcc, s11, v30
	v_bfrev_b32_e32 v32, 1
	s_and_saveexec_b64 s[6:7], vcc
	s_cbranch_execz .LBB622_172
; %bb.169:                              ;   in Loop: Header=BB622_17 Depth=1
	v_and_b32_e32 v40, 0x7f, v30
	v_cmp_ne_u32_e32 vcc, s14, v40
	v_mov_b32_e32 v32, 0x7f800001
	s_and_saveexec_b64 s[12:13], vcc
	s_cbranch_execz .LBB622_171
; %bb.170:                              ;   in Loop: Header=BB622_17 Depth=1
	v_and_b32_e32 v32, 7, v30
	v_ffbh_u32_e32 v44, v32
	v_min_u32_e32 v44, 32, v44
	v_subrev_u32_e32 v52, 28, v44
	v_lshlrev_b64 v[52:53], v52, v[30:31]
	v_lshrrev_b32_e32 v42, 3, v40
	v_sub_u32_e32 v30, 29, v44
	v_and_b32_e32 v44, 7, v52
	v_cmp_gt_u32_e32 vcc, 8, v40
	v_cndmask_b32_e32 v30, v42, v30, vcc
	v_cndmask_b32_e32 v32, v32, v44, vcc
	v_lshlrev_b32_e32 v40, 16, v28
	v_lshlrev_b32_e32 v32, 20, v32
	v_and_b32_e32 v40, 0x80000000, v40
	v_lshl_add_u32 v30, v30, 23, v38
	v_or3_b32 v32, v40, v30, v32
.LBB622_171:                            ;   in Loop: Header=BB622_17 Depth=1
	s_or_b64 exec, exec, s[12:13]
.LBB622_172:                            ;   in Loop: Header=BB622_17 Depth=1
	s_or_b64 exec, exec, s[6:7]
.LBB622_173:                            ;   in Loop: Header=BB622_17 Depth=1
	s_or_b64 exec, exec, s[4:5]
	v_lshrrev_b32_e32 v30, 16, v28
	v_cmp_ne_u16_sdwa s[6:7], v30, v35 src0_sel:BYTE_0 src1_sel:DWORD
	s_and_saveexec_b64 s[4:5], s[6:7]
	s_cbranch_execz .LBB622_179
; %bb.174:                              ;   in Loop: Header=BB622_17 Depth=1
	v_cmp_ne_u16_sdwa s[12:13], v30, s11 src0_sel:BYTE_0 src1_sel:DWORD
	v_bfrev_b32_e32 v23, 1
	s_and_saveexec_b64 s[6:7], s[12:13]
	s_cbranch_execz .LBB622_178
; %bb.175:                              ;   in Loop: Header=BB622_17 Depth=1
	v_bfe_u32 v40, v28, 16, 7
	v_cmp_ne_u32_e32 vcc, s14, v40
	v_mov_b32_e32 v23, 0x7f800001
	s_and_saveexec_b64 s[12:13], vcc
	s_cbranch_execz .LBB622_177
; %bb.176:                              ;   in Loop: Header=BB622_17 Depth=1
	v_and_b32_e32 v23, 7, v30
	v_ffbh_u32_e32 v44, v23
	v_min_u32_e32 v44, 32, v44
	v_subrev_u32_e32 v52, 28, v44
	v_lshlrev_b64 v[52:53], v52, v[30:31]
	v_lshrrev_b32_e32 v42, 3, v40
	v_sub_u32_e32 v44, 29, v44
	v_and_b32_e32 v52, 7, v52
	v_cmp_gt_u32_e32 vcc, 8, v40
	v_cndmask_b32_e32 v40, v42, v44, vcc
	v_cndmask_b32_e32 v23, v23, v52, vcc
	v_lshlrev_b32_e32 v30, 24, v30
	v_lshlrev_b32_e32 v23, 20, v23
	v_and_b32_e32 v30, 0x80000000, v30
	v_lshl_add_u32 v40, v40, 23, v38
	v_or3_b32 v23, v30, v40, v23
.LBB622_177:                            ;   in Loop: Header=BB622_17 Depth=1
	s_or_b64 exec, exec, s[12:13]
.LBB622_178:                            ;   in Loop: Header=BB622_17 Depth=1
	s_or_b64 exec, exec, s[6:7]
.LBB622_179:                            ;   in Loop: Header=BB622_17 Depth=1
	s_or_b64 exec, exec, s[4:5]
	v_cmp_lt_u32_e32 vcc, s15, v28
	v_mov_b32_e32 v40, 0
	v_mov_b32_e32 v42, 0
	s_and_saveexec_b64 s[4:5], vcc
	s_cbranch_execz .LBB622_185
; %bb.180:                              ;   in Loop: Header=BB622_17 Depth=1
	v_lshrrev_b32_e32 v30, 24, v28
	v_cmp_ne_u32_e32 vcc, s11, v30
	v_bfrev_b32_e32 v42, 1
	s_and_saveexec_b64 s[6:7], vcc
	s_cbranch_execz .LBB622_184
; %bb.181:                              ;   in Loop: Header=BB622_17 Depth=1
	v_bfe_u32 v28, v28, 24, 7
	v_cmp_ne_u32_e32 vcc, s14, v28
	v_mov_b32_e32 v42, 0x7f800001
	s_and_saveexec_b64 s[12:13], vcc
	s_cbranch_execz .LBB622_183
; %bb.182:                              ;   in Loop: Header=BB622_17 Depth=1
	v_and_b32_e32 v42, 7, v30
	v_ffbh_u32_e32 v52, v42
	v_min_u32_e32 v54, 32, v52
	v_subrev_u32_e32 v52, 28, v54
	v_lshlrev_b64 v[52:53], v52, v[30:31]
	v_lshrrev_b32_e32 v44, 3, v28
	v_sub_u32_e32 v53, 29, v54
	v_and_b32_e32 v52, 7, v52
	v_cmp_gt_u32_e32 vcc, 8, v28
	v_cndmask_b32_e32 v28, v44, v53, vcc
	v_cndmask_b32_e32 v42, v42, v52, vcc
	v_lshlrev_b32_e32 v30, 24, v30
	v_lshlrev_b32_e32 v42, 20, v42
	v_and_b32_e32 v30, 0x80000000, v30
	v_lshl_add_u32 v28, v28, 23, v38
	v_or3_b32 v42, v30, v28, v42
.LBB622_183:                            ;   in Loop: Header=BB622_17 Depth=1
	s_or_b64 exec, exec, s[12:13]
.LBB622_184:                            ;   in Loop: Header=BB622_17 Depth=1
	s_or_b64 exec, exec, s[6:7]
.LBB622_185:                            ;   in Loop: Header=BB622_17 Depth=1
	s_or_b64 exec, exec, s[4:5]
	s_waitcnt vmcnt(0)
	v_cmp_ne_u16_sdwa s[6:7], v26, v35 src0_sel:BYTE_0 src1_sel:DWORD
	s_and_saveexec_b64 s[4:5], s[6:7]
	s_cbranch_execz .LBB622_191
; %bb.186:                              ;   in Loop: Header=BB622_17 Depth=1
	v_cmp_ne_u16_sdwa s[12:13], v26, s11 src0_sel:BYTE_0 src1_sel:DWORD
	v_bfrev_b32_e32 v40, 1
	s_and_saveexec_b64 s[6:7], s[12:13]
	s_cbranch_execz .LBB622_190
; %bb.187:                              ;   in Loop: Header=BB622_17 Depth=1
	v_and_b32_e32 v28, 0x7f, v26
	v_cmp_ne_u32_e32 vcc, s14, v28
	v_mov_b32_e32 v40, 0x7f800001
	s_and_saveexec_b64 s[12:13], vcc
	s_cbranch_execz .LBB622_189
; %bb.188:                              ;   in Loop: Header=BB622_17 Depth=1
	v_and_b32_e32 v30, 7, v26
	v_ffbh_u32_e32 v44, v30
	v_min_u32_e32 v44, 32, v44
	v_subrev_u32_e32 v52, 28, v44
	v_lshlrev_b64 v[52:53], v52, v[26:27]
	v_lshrrev_b32_e32 v40, 3, v28
	v_sub_u32_e32 v44, 29, v44
	v_and_b32_e32 v52, 7, v52
	v_cmp_gt_u32_e32 vcc, 8, v28
	v_cndmask_b32_e32 v28, v40, v44, vcc
	v_cndmask_b32_e32 v30, v30, v52, vcc
	v_lshlrev_b32_e32 v40, 24, v26
	v_lshlrev_b32_e32 v30, 20, v30
	v_and_b32_e32 v40, 0x80000000, v40
	v_lshl_add_u32 v28, v28, 23, v38
	v_or3_b32 v40, v40, v28, v30
.LBB622_189:                            ;   in Loop: Header=BB622_17 Depth=1
	s_or_b64 exec, exec, s[12:13]
.LBB622_190:                            ;   in Loop: Header=BB622_17 Depth=1
	s_or_b64 exec, exec, s[6:7]
.LBB622_191:                            ;   in Loop: Header=BB622_17 Depth=1
	s_or_b64 exec, exec, s[4:5]
	v_lshrrev_b16_e32 v28, 8, v26
	v_cmp_ne_u16_e32 vcc, 0, v28
	v_mov_b32_e32 v30, 0
	v_mov_b32_e32 v44, 0
	s_and_saveexec_b64 s[4:5], vcc
	s_cbranch_execz .LBB622_197
; %bb.192:                              ;   in Loop: Header=BB622_17 Depth=1
	v_cmp_ne_u16_e32 vcc, s11, v28
	v_bfrev_b32_e32 v44, 1
	s_and_saveexec_b64 s[6:7], vcc
	s_cbranch_execz .LBB622_196
; %bb.193:                              ;   in Loop: Header=BB622_17 Depth=1
	v_and_b32_e32 v52, 0x7f, v28
	v_cmp_ne_u32_e32 vcc, s14, v52
	v_mov_b32_e32 v44, 0x7f800001
	s_and_saveexec_b64 s[12:13], vcc
	s_cbranch_execz .LBB622_195
; %bb.194:                              ;   in Loop: Header=BB622_17 Depth=1
	v_and_b32_e32 v44, 7, v28
	v_ffbh_u32_e32 v54, v44
	v_min_u32_e32 v56, 32, v54
	v_subrev_u32_e32 v54, 28, v56
	v_lshlrev_b64 v[54:55], v54, v[28:29]
	v_lshrrev_b32_e32 v53, 3, v52
	v_sub_u32_e32 v28, 29, v56
	v_and_b32_e32 v54, 7, v54
	v_cmp_gt_u32_e32 vcc, 8, v52
	v_cndmask_b32_e32 v28, v53, v28, vcc
	v_cndmask_b32_e32 v44, v44, v54, vcc
	v_lshlrev_b32_e32 v52, 16, v26
	v_lshlrev_b32_e32 v44, 20, v44
	v_and_b32_e32 v52, 0x80000000, v52
	v_lshl_add_u32 v28, v28, 23, v38
	v_or3_b32 v44, v52, v28, v44
.LBB622_195:                            ;   in Loop: Header=BB622_17 Depth=1
	s_or_b64 exec, exec, s[12:13]
.LBB622_196:                            ;   in Loop: Header=BB622_17 Depth=1
	s_or_b64 exec, exec, s[6:7]
.LBB622_197:                            ;   in Loop: Header=BB622_17 Depth=1
	s_or_b64 exec, exec, s[4:5]
	v_lshrrev_b32_e32 v28, 16, v26
	v_cmp_ne_u16_sdwa s[6:7], v28, v35 src0_sel:BYTE_0 src1_sel:DWORD
	s_and_saveexec_b64 s[4:5], s[6:7]
	s_cbranch_execz .LBB622_203
; %bb.198:                              ;   in Loop: Header=BB622_17 Depth=1
	v_cmp_ne_u16_sdwa s[12:13], v28, s11 src0_sel:BYTE_0 src1_sel:DWORD
	v_bfrev_b32_e32 v30, 1
	s_and_saveexec_b64 s[6:7], s[12:13]
	s_cbranch_execz .LBB622_202
; %bb.199:                              ;   in Loop: Header=BB622_17 Depth=1
	v_bfe_u32 v52, v26, 16, 7
	v_cmp_ne_u32_e32 vcc, s14, v52
	v_mov_b32_e32 v30, 0x7f800001
	s_and_saveexec_b64 s[12:13], vcc
	s_cbranch_execz .LBB622_201
; %bb.200:                              ;   in Loop: Header=BB622_17 Depth=1
	v_and_b32_e32 v30, 7, v28
	v_ffbh_u32_e32 v54, v30
	v_min_u32_e32 v56, 32, v54
	v_subrev_u32_e32 v54, 28, v56
	v_lshlrev_b64 v[54:55], v54, v[28:29]
	v_lshrrev_b32_e32 v53, 3, v52
	v_sub_u32_e32 v55, 29, v56
	v_and_b32_e32 v54, 7, v54
	v_cmp_gt_u32_e32 vcc, 8, v52
	v_cndmask_b32_e32 v52, v53, v55, vcc
	v_cndmask_b32_e32 v30, v30, v54, vcc
	v_lshlrev_b32_e32 v28, 24, v28
	v_lshlrev_b32_e32 v30, 20, v30
	v_and_b32_e32 v28, 0x80000000, v28
	v_lshl_add_u32 v52, v52, 23, v38
	v_or3_b32 v30, v28, v52, v30
.LBB622_201:                            ;   in Loop: Header=BB622_17 Depth=1
	s_or_b64 exec, exec, s[12:13]
.LBB622_202:                            ;   in Loop: Header=BB622_17 Depth=1
	s_or_b64 exec, exec, s[6:7]
.LBB622_203:                            ;   in Loop: Header=BB622_17 Depth=1
	s_or_b64 exec, exec, s[4:5]
	v_cmp_lt_u32_e32 vcc, s15, v26
	v_mov_b32_e32 v52, 0
	s_and_saveexec_b64 s[4:5], vcc
	s_cbranch_execz .LBB622_16
; %bb.204:                              ;   in Loop: Header=BB622_17 Depth=1
	v_lshrrev_b32_e32 v28, 24, v26
	v_cmp_ne_u32_e32 vcc, s11, v28
	v_bfrev_b32_e32 v52, 1
	s_and_saveexec_b64 s[6:7], vcc
	s_cbranch_execz .LBB622_15
; %bb.205:                              ;   in Loop: Header=BB622_17 Depth=1
	v_bfe_u32 v26, v26, 24, 7
	v_cmp_ne_u32_e32 vcc, s14, v26
	v_mov_b32_e32 v52, 0x7f800001
	s_and_saveexec_b64 s[12:13], vcc
	s_cbranch_execz .LBB622_14
; %bb.206:                              ;   in Loop: Header=BB622_17 Depth=1
	v_and_b32_e32 v54, 7, v28
	v_ffbh_u32_e32 v52, v54
	v_min_u32_e32 v56, 32, v52
	v_subrev_u32_e32 v52, 28, v56
	v_lshlrev_b64 v[52:53], v52, v[28:29]
	v_lshrrev_b32_e32 v55, 3, v26
	v_sub_u32_e32 v53, 29, v56
	v_and_b32_e32 v52, 7, v52
	v_cmp_gt_u32_e32 vcc, 8, v26
	v_cndmask_b32_e32 v26, v55, v53, vcc
	v_cndmask_b32_e32 v52, v54, v52, vcc
	v_lshlrev_b32_e32 v28, 24, v28
	v_lshlrev_b32_e32 v52, 20, v52
	v_and_b32_e32 v28, 0x80000000, v28
	v_lshl_add_u32 v26, v26, 23, v38
	v_or3_b32 v52, v28, v26, v52
	s_branch .LBB622_14
.LBB622_207:
	buffer_load_dword v17, off, s[0:3], 0 offset:256
	buffer_load_dword v16, off, s[0:3], 0 offset:260
	buffer_load_dword v15, off, s[0:3], 0 offset:264
	buffer_load_dword v14, off, s[0:3], 0 offset:268
	buffer_load_dword v13, off, s[0:3], 0 offset:272
	buffer_load_dword v12, off, s[0:3], 0 offset:276
	buffer_load_dword v11, off, s[0:3], 0 offset:280
	buffer_load_dword v10, off, s[0:3], 0 offset:284
	buffer_load_dword v9, off, s[0:3], 0 offset:288
	buffer_load_dword v8, off, s[0:3], 0 offset:292
	buffer_load_dword v7, off, s[0:3], 0 offset:296
	buffer_load_dword v6, off, s[0:3], 0 offset:300
	buffer_load_dword v5, off, s[0:3], 0 offset:304
	buffer_load_dword v4, off, s[0:3], 0 offset:308
	buffer_load_dword v3, off, s[0:3], 0 offset:312
	buffer_load_dword v2, off, s[0:3], 0 offset:316
	v_and_b32_e32 v18, 0xc0, v0
	v_add_u32_e32 v18, s20, v18
	v_lshl_or_b32 v18, v39, 2, v18
	v_or_b32_e32 v20, 1, v18
	v_subrev_u32_e32 v24, s29, v20
	v_add_u32_e32 v26, 1, v24
	v_cvt_f32_i32_e32 v25, v24
	v_add_u32_e32 v28, 2, v24
	v_add_u32_e32 v30, 3, v24
	;; [unrolled: 1-line block ×14, first 2 shown]
	v_cvt_f32_i32_e32 v26, v26
	v_cvt_f32_i32_e32 v28, v28
	;; [unrolled: 1-line block ×4, first 2 shown]
	v_mov_b32_e32 v19, 0xff7fffff
	v_or_b32_e32 v21, 2, v18
	v_or_b32_e32 v22, 3, v18
	v_cvt_f32_i32_e32 v32, v32
	v_cvt_f32_i32_e32 v34, v34
	v_cmp_gt_i32_e64 s[30:31], s29, v18
	v_cmp_gt_i32_e64 s[34:35], s29, v20
	s_mov_b32 s11, 0xff7fffff
	v_cmp_gt_i32_e64 s[36:37], s29, v21
	v_cmp_gt_i32_e64 s[38:39], s29, v22
	v_or_b32_e32 v23, 16, v18
	v_cvt_f32_i32_e32 v35, v35
	v_cvt_f32_i32_e32 v36, v36
	v_cmp_gt_i32_e64 s[26:27], s29, v23
	v_cvt_f32_i32_e32 v37, v37
	v_cvt_f32_i32_e32 v38, v38
	;; [unrolled: 1-line block ×7, first 2 shown]
	s_waitcnt vmcnt(15)
	v_fmac_f32_e32 v17, v33, v25
	s_waitcnt vmcnt(14)
	v_fmac_f32_e32 v16, v33, v26
	;; [unrolled: 2-line block ×4, first 2 shown]
	v_cndmask_b32_e64 v20, v19, v16, s[34:35]
	v_cndmask_b32_e64 v21, v19, v15, s[36:37]
	;; [unrolled: 1-line block ×3, first 2 shown]
	s_waitcnt vmcnt(11)
	v_fmac_f32_e32 v13, v33, v32
	s_waitcnt vmcnt(10)
	v_fmac_f32_e32 v12, v33, v34
	;; [unrolled: 2-line block ×9, first 2 shown]
	v_cndmask_b32_e64 v24, v19, v17, s[30:31]
	v_max3_f32 v20, v24, s11, v20
	v_max3_f32 v20, v20, v21, v22
	v_or_b32_e32 v22, 17, v18
	v_cmp_gt_i32_e64 s[40:41], s29, v22
	v_cndmask_b32_e64 v21, v19, v13, s[26:27]
	v_cndmask_b32_e64 v22, v19, v12, s[40:41]
	v_max3_f32 v20, v20, v21, v22
	v_or_b32_e32 v21, 18, v18
	v_or_b32_e32 v22, 19, v18
	v_cmp_gt_i32_e64 s[22:23], s29, v21
	v_cmp_gt_i32_e64 s[24:25], s29, v22
	v_cndmask_b32_e64 v21, v19, v11, s[22:23]
	v_cndmask_b32_e64 v22, v19, v10, s[24:25]
	v_max3_f32 v20, v20, v21, v22
	v_or_b32_e32 v21, 32, v18
	v_or_b32_e32 v22, 33, v18
	v_cmp_gt_i32_e64 s[18:19], s29, v21
	;; [unrolled: 7-line block ×3, first 2 shown]
	v_cmp_gt_i32_e64 s[16:17], s29, v22
	v_cndmask_b32_e64 v21, v19, v7, s[14:15]
	v_cndmask_b32_e64 v22, v19, v6, s[16:17]
	v_max3_f32 v20, v20, v21, v22
	v_or_b32_e32 v21, 48, v18
	v_or_b32_e32 v22, 49, v18
	v_fmac_f32_e32 v5, v33, v44
	v_fmac_f32_e32 v4, v33, v52
	v_cmp_gt_i32_e64 s[6:7], s29, v21
	v_cmp_gt_i32_e64 s[12:13], s29, v22
	v_cndmask_b32_e64 v21, v19, v5, s[6:7]
	v_cndmask_b32_e64 v22, v19, v4, s[12:13]
	v_max3_f32 v20, v20, v21, v22
	v_or_b32_e32 v21, 50, v18
	v_or_b32_e32 v18, 51, v18
	v_fmac_f32_e32 v3, v33, v53
	v_cmp_gt_i32_e32 vcc, s29, v21
	v_cmp_gt_i32_e64 s[4:5], s29, v18
	v_cndmask_b32_e32 v21, v19, v3, vcc
	v_cndmask_b32_e64 v18, v19, v2, s[4:5]
	v_mbcnt_lo_u32_b32 v19, -1, 0
	v_mbcnt_hi_u32_b32 v19, -1, v19
	v_max3_f32 v18, v20, v21, v18
	v_and_b32_e32 v20, 64, v19
	v_add_u32_e32 v20, 64, v20
	v_xor_b32_e32 v21, 32, v19
	v_cmp_lt_i32_e64 s[42:43], v21, v20
	v_cndmask_b32_e64 v21, v19, v21, s[42:43]
	v_lshlrev_b32_e32 v21, 2, v21
	ds_bpermute_b32 v22, v21, v18
	s_waitcnt lgkmcnt(0)
	v_max_f32_e32 v22, v22, v22
	v_max_f32_e32 v18, v18, v22
	v_xor_b32_e32 v22, 16, v19
	v_cmp_lt_i32_e64 s[42:43], v22, v20
	v_cndmask_b32_e64 v19, v19, v22, s[42:43]
	v_lshlrev_b32_e32 v19, 2, v19
	ds_bpermute_b32 v20, v19, v18
	s_waitcnt lgkmcnt(0)
	v_max_f32_e32 v20, v20, v20
	v_max_f32_e32 v18, v18, v20
	v_sub_f32_e32 v17, v17, v18
	v_mul_f32_e32 v17, 0x3fb8aa3b, v17
	v_sub_f32_e32 v16, v16, v18
	v_exp_f32_e32 v17, v17
	v_mul_f32_e32 v16, 0x3fb8aa3b, v16
	v_sub_f32_e32 v15, v15, v18
	v_exp_f32_e32 v16, v16
	;; [unrolled: 3-line block ×4, first 2 shown]
	v_mul_f32_e32 v13, 0x3fb8aa3b, v13
	v_sub_f32_e32 v12, v12, v18
	v_cndmask_b32_e64 v17, 0, v17, s[30:31]
	v_exp_f32_e32 v13, v13
	v_mul_f32_e32 v12, 0x3fb8aa3b, v12
	v_sub_f32_e32 v11, v11, v18
	v_add_f32_e32 v20, 0, v17
	v_cndmask_b32_e64 v16, 0, v16, s[34:35]
	v_exp_f32_e32 v12, v12
	v_mul_f32_e32 v11, 0x3fb8aa3b, v11
	v_sub_f32_e32 v10, v10, v18
	v_add_f32_e32 v20, v20, v16
	;; [unrolled: 5-line block ×4, first 2 shown]
	v_cndmask_b32_e64 v13, 0, v13, s[26:27]
	v_exp_f32_e32 v9, v9
	v_mul_f32_e32 v8, 0x3fb8aa3b, v8
	v_sub_f32_e32 v7, v7, v18
	buffer_store_dword v17, off, s[0:3], 0 offset:256
	buffer_store_dword v16, off, s[0:3], 0 offset:260
	buffer_store_dword v15, off, s[0:3], 0 offset:264
	buffer_store_dword v14, off, s[0:3], 0 offset:268
	v_add_f32_e32 v14, v20, v13
	v_cndmask_b32_e64 v12, 0, v12, s[40:41]
	v_exp_f32_e32 v8, v8
	v_mul_f32_e32 v7, 0x3fb8aa3b, v7
	v_sub_f32_e32 v6, v6, v18
	v_add_f32_e32 v14, v14, v12
	v_cndmask_b32_e64 v11, 0, v11, s[22:23]
	v_exp_f32_e32 v7, v7
	v_mul_f32_e32 v6, 0x3fb8aa3b, v6
	v_sub_f32_e32 v5, v5, v18
	;; [unrolled: 5-line block ×4, first 2 shown]
	buffer_store_dword v13, off, s[0:3], 0 offset:272
	buffer_store_dword v12, off, s[0:3], 0 offset:276
	;; [unrolled: 1-line block ×4, first 2 shown]
	v_add_f32_e32 v10, v14, v9
	v_cndmask_b32_e64 v8, 0, v8, s[20:21]
	v_exp_f32_e32 v4, v4
	v_mul_f32_e32 v3, 0x3fb8aa3b, v3
	v_sub_f32_e32 v2, v2, v18
	v_add_f32_e32 v10, v10, v8
	v_cndmask_b32_e64 v7, 0, v7, s[14:15]
	v_exp_f32_e32 v3, v3
	v_mul_f32_e32 v2, 0x3fb8aa3b, v2
	v_add_f32_e32 v10, v10, v7
	v_cndmask_b32_e64 v6, 0, v6, s[16:17]
	v_exp_f32_e32 v2, v2
	v_add_f32_e32 v10, v10, v6
	v_cndmask_b32_e64 v5, 0, v5, s[6:7]
	buffer_store_dword v9, off, s[0:3], 0 offset:288
	buffer_store_dword v8, off, s[0:3], 0 offset:292
	;; [unrolled: 1-line block ×4, first 2 shown]
	v_add_f32_e32 v6, v10, v5
	v_cndmask_b32_e64 v4, 0, v4, s[12:13]
	v_add_f32_e32 v6, v6, v4
	v_cndmask_b32_e32 v3, 0, v3, vcc
	v_add_f32_e32 v6, v6, v3
	v_cndmask_b32_e64 v2, 0, v2, s[4:5]
	v_add_f32_e32 v6, v6, v2
	ds_bpermute_b32 v7, v21, v6
	buffer_store_dword v5, off, s[0:3], 0 offset:304
	buffer_store_dword v4, off, s[0:3], 0 offset:308
	;; [unrolled: 1-line block ×4, first 2 shown]
	v_cmp_lt_u32_e64 s[4:5], 15, v31
	v_cmp_gt_u32_e32 vcc, 16, v31
	s_waitcnt lgkmcnt(0)
	v_add_f32_e32 v2, v6, v7
	ds_bpermute_b32 v3, v19, v2
	s_barrier
	s_waitcnt lgkmcnt(0)
	s_and_saveexec_b64 s[6:7], vcc
	s_cbranch_execz .LBB622_209
; %bb.208:
	v_add_f32_e32 v2, v2, v3
	v_lshlrev_b32_e32 v3, 2, v29
	ds_write2st64_b32 v3, v18, v2 offset1:1
.LBB622_209:
	s_or_b64 exec, exec, s[6:7]
	v_lshlrev_b32_e32 v2, 2, v41
	s_waitcnt lgkmcnt(0)
	s_barrier
	ds_read2_b32 v[10:11], v2 offset1:16
	ds_read2_b32 v[12:13], v2 offset0:32 offset1:48
	ds_read2_b32 v[6:7], v2 offset0:64 offset1:80
	;; [unrolled: 1-line block ×3, first 2 shown]
	s_waitcnt lgkmcnt(0)
	s_barrier
	buffer_load_dword v20, off, s[0:3], 0 offset:256
	buffer_load_dword v21, off, s[0:3], 0 offset:260
	buffer_load_dword v22, off, s[0:3], 0 offset:264
	buffer_load_dword v23, off, s[0:3], 0 offset:268
	buffer_load_dword v24, off, s[0:3], 0 offset:280
	buffer_load_dword v25, off, s[0:3], 0 offset:284
	buffer_load_dword v28, off, s[0:3], 0 offset:272
	buffer_load_dword v29, off, s[0:3], 0 offset:276
	buffer_load_dword v4, off, s[0:3], 0 offset:296
	buffer_load_dword v5, off, s[0:3], 0 offset:300
	buffer_load_dword v2, off, s[0:3], 0 offset:288
	buffer_load_dword v3, off, s[0:3], 0 offset:292
	buffer_load_dword v8, off, s[0:3], 0 offset:304
	buffer_load_dword v9, off, s[0:3], 0 offset:308
	buffer_load_dword v16, off, s[0:3], 0 offset:312
	buffer_load_dword v17, off, s[0:3], 0 offset:316
	v_lshlrev_b32_e32 v19, 3, v39
	v_lshlrev_b32_e32 v18, 5, v41
	;; [unrolled: 1-line block ×3, first 2 shown]
	v_or3_b32 v53, v26, v18, v19
	v_max3_f32 v19, v10, s11, v11
	v_max3_f32 v19, v19, v12, v13
	v_sub_f32_e32 v10, v10, v19
	v_sub_f32_e32 v11, v11, v19
	v_mul_f32_e32 v10, 0x3fb8aa3b, v10
	v_sub_f32_e32 v12, v12, v19
	v_mul_f32_e32 v11, 0x3fb8aa3b, v11
	v_exp_f32_e32 v10, v10
	v_sub_f32_e32 v13, v13, v19
	v_mul_f32_e32 v12, 0x3fb8aa3b, v12
	v_exp_f32_e32 v11, v11
	v_mul_f32_e32 v13, 0x3fb8aa3b, v13
	v_exp_f32_e32 v12, v12
	v_exp_f32_e32 v13, v13
	v_fma_f32 v6, v10, v6, 0
	v_fmac_f32_e32 v6, v11, v7
	v_cmp_eq_u32_e32 vcc, 1, v27
	v_fmac_f32_e32 v6, v12, v14
	v_cndmask_b32_e32 v10, v10, v11, vcc
	v_cmp_eq_u32_e32 vcc, 2, v27
	v_fmac_f32_e32 v6, v13, v15
	v_cndmask_b32_e32 v7, v10, v12, vcc
	v_add_f32_e32 v10, 0x358637bd, v6
	v_div_scale_f32 v11, s[6:7], v10, v10, 1.0
	v_rcp_f32_e32 v12, v11
	v_cmp_eq_u32_e32 vcc, 3, v27
	v_cndmask_b32_e32 v7, v7, v13, vcc
	v_div_scale_f32 v13, vcc, 1.0, v10, 1.0
	v_fma_f32 v14, -v11, v12, 1.0
	v_fmac_f32_e32 v12, v14, v12
	v_mul_f32_e32 v14, v13, v12
	v_fma_f32 v15, -v11, v14, v13
	v_fmac_f32_e32 v14, v15, v12
	v_fma_f32 v11, -v11, v14, v13
	v_div_fmas_f32 v11, v11, v12, v14
	v_div_fixup_f32 v10, v11, v10, 1.0
	v_mul_f32_e32 v10, v7, v10
	v_mov_b32_e32 v52, 0
	v_cmp_eq_u32_e32 vcc, 0, v0
	s_waitcnt vmcnt(14)
	v_pk_mul_f32 v[14:15], v[10:11], v[20:21] op_sel_hi:[0,1]
	v_cvt_f16_f32_e32 v7, v14
	s_waitcnt vmcnt(12)
	v_pk_mul_f32 v[12:13], v[10:11], v[22:23] op_sel_hi:[0,1]
	buffer_store_dword v14, off, s[0:3], 0 offset:256
	buffer_store_dword v15, off, s[0:3], 0 offset:260
	;; [unrolled: 1-line block ×3, first 2 shown]
	s_waitcnt vmcnt(13)
	v_pk_mul_f32 v[20:21], v[10:11], v[24:25] op_sel_hi:[0,1]
	v_cvt_f16_f32_e32 v14, v12
	s_waitcnt vmcnt(11)
	v_pk_mul_f32 v[22:23], v[10:11], v[28:29] op_sel_hi:[0,1]
	v_cvt_f16_f32_e32 v11, v15
	v_cvt_f16_f32_e32 v15, v13
	buffer_store_dword v13, off, s[0:3], 0 offset:268
	buffer_store_dword v22, off, s[0:3], 0 offset:272
	;; [unrolled: 1-line block ×3, first 2 shown]
	v_pack_b32_f16 v12, v7, v11
	v_cvt_f16_f32_e32 v11, v23
	v_pack_b32_f16 v13, v14, v15
	v_cvt_f16_f32_e32 v7, v22
	v_cvt_f16_f32_e32 v15, v20
	;; [unrolled: 1-line block ×3, first 2 shown]
	s_waitcnt vmcnt(12)
	v_pk_mul_f32 v[4:5], v[10:11], v[4:5] op_sel_hi:[0,1]
	v_pack_b32_f16 v14, v7, v11
	s_waitcnt vmcnt(10)
	v_pk_mul_f32 v[2:3], v[10:11], v[2:3] op_sel_hi:[0,1]
	v_pack_b32_f16 v15, v15, v22
	v_cvt_f16_f32_e32 v11, v5
	buffer_store_dword v20, off, s[0:3], 0 offset:280
	buffer_store_dword v21, off, s[0:3], 0 offset:284
	ds_write2st64_b64 v53, v[12:13], v[14:15] offset1:1
	buffer_store_dword v2, off, s[0:3], 0 offset:288
	buffer_store_dword v3, off, s[0:3], 0 offset:292
	v_cvt_f16_f32_e32 v2, v2
	v_cvt_f16_f32_e32 v3, v3
	;; [unrolled: 1-line block ×3, first 2 shown]
	buffer_store_dword v4, off, s[0:3], 0 offset:296
	buffer_store_dword v5, off, s[0:3], 0 offset:300
	s_waitcnt vmcnt(12)
	v_pk_mul_f32 v[4:5], v[10:11], v[16:17] op_sel_hi:[0,1]
	v_pk_mul_f32 v[8:9], v[10:11], v[8:9] op_sel_hi:[0,1]
	v_pack_b32_f16 v2, v2, v3
	v_pack_b32_f16 v3, v7, v11
	buffer_store_dword v8, off, s[0:3], 0 offset:304
	buffer_store_dword v9, off, s[0:3], 0 offset:308
	v_cvt_f16_f32_e32 v7, v8
	v_cvt_f16_f32_e32 v8, v9
	;; [unrolled: 1-line block ×4, first 2 shown]
	buffer_store_dword v4, off, s[0:3], 0 offset:312
	buffer_store_dword v5, off, s[0:3], 0 offset:316
	v_pack_b32_f16 v4, v7, v8
	v_pack_b32_f16 v5, v9, v10
	ds_write2st64_b64 v53, v[2:3], v[4:5] offset0:2 offset1:3
	s_and_saveexec_b64 s[6:7], vcc
	s_cbranch_execz .LBB622_211
; %bb.210:
	s_mul_i32 s9, s9, s53
	s_mul_hi_u32 s11, s8, s53
	s_add_i32 s11, s11, s9
	s_mul_i32 s9, s8, s53
	s_add_u32 s9, s9, s10
	s_addc_u32 s11, s11, 0
	s_mul_i32 s11, s11, s52
	s_mul_hi_u32 s12, s9, s52
	s_add_i32 s11, s12, s11
	s_mul_i32 s9, s9, s52
	s_add_u32 s12, s9, s28
	s_addc_u32 s13, s11, 0
	s_lshl_b64 s[12:13], s[12:13], 2
	s_add_u32 s14, s46, s12
	s_addc_u32 s15, s47, s13
	s_add_u32 s12, s44, s12
	s_addc_u32 s13, s45, s13
	global_store_dword v52, v19, s[14:15]
	global_store_dword v52, v6, s[12:13]
.LBB622_211:
	s_or_b64 exec, exec, s[6:7]
	v_lshl_or_b32 v30, v39, 9, v18
	s_waitcnt lgkmcnt(0)
	s_barrier
	s_load_dword s6, s[50:51], 0x0
	ds_read_b128 v[2:5], v30
	ds_read_b128 v[6:9], v30 offset:16
	ds_read_b128 v[10:13], v30 offset:2048
	;; [unrolled: 1-line block ×7, first 2 shown]
	v_mov_b32_e32 v35, 0x80
	v_mov_b32_e32 v54, 0x140
	s_mov_b64 s[14:15], -1
	s_waitcnt lgkmcnt(0)
	s_mov_b32 s7, s6
	s_mov_b32 s12, s6
	;; [unrolled: 1-line block ×3, first 2 shown]
	s_movk_i32 s9, 0x80
	s_movk_i32 s11, 0x7f
	s_mov_b32 s22, 0xffffff
	v_bfrev_b32_e32 v55, 60
	s_branch .LBB622_215
.LBB622_212:                            ;   in Loop: Header=BB622_215 Depth=1
	s_or_b64 exec, exec, s[20:21]
.LBB622_213:                            ;   in Loop: Header=BB622_215 Depth=1
	s_or_b64 exec, exec, s[18:19]
.LBB622_214:                            ;   in Loop: Header=BB622_215 Depth=1
	s_or_b64 exec, exec, s[16:17]
	v_cvt_pkrtz_f16_f32 v60, v46, v50
	v_cvt_pkrtz_f16_f32 v61, v44, v56
	s_xor_b64 s[16:17], s[14:15], -1
	s_mov_b64 s[14:15], 0
	v_mov_b32_e32 v46, v47
	v_mfma_f32_16x16x16f16 v[60:63], v[60:61], v[30:31], v[34:37]
	v_mov_b32_e32 v50, v49
	s_and_b64 vcc, exec, s[16:17]
	s_nop 4
	v_cvt_pkrtz_f16_f32 v36, v51, v57
	v_cvt_pkrtz_f16_f32 v37, v42, v58
	v_mov_b32_e32 v35, v45
	v_mov_b32_e32 v51, v48
	v_mfma_f32_16x16x16f16 v[56:59], v[36:37], v[32:33], v[60:63]
	s_nop 7
	s_nop 2
	v_pk_mul_f32 v[56:57], v[56:57], s[6:7]
	v_pk_mul_f32 v[36:37], v[58:59], s[12:13]
	v_cvt_f16_f32_e32 v34, v56
	v_cvt_f16_f32_e32 v38, v57
	;; [unrolled: 1-line block ×4, first 2 shown]
	v_pack_b32_f16 v34, v34, v38
	v_pack_b32_f16 v36, v36, v37
	buffer_store_dword v34, v54, s[0:3], 0 offen
	buffer_store_dword v36, v54, s[0:3], 0 offen offset:4
	v_mov_b32_e32 v54, 0x148
	s_cbranch_vccnz .LBB622_597
.LBB622_215:                            ; =>This Inner Loop Header: Depth=1
	buffer_load_dword v36, v35, s[0:3], 0 offen
	buffer_load_dword v34, v35, s[0:3], 0 offen offset:4
	buffer_load_dword v40, v35, s[0:3], 0 offen offset:8
	buffer_load_dword v38, v35, s[0:3], 0 offen offset:12
	v_mov_b32_e32 v35, 0
	v_mov_b32_e32 v37, 0
	s_waitcnt vmcnt(3)
	v_cmp_ne_u16_sdwa s[18:19], v36, v52 src0_sel:BYTE_0 src1_sel:DWORD
	s_and_saveexec_b64 s[16:17], s[18:19]
	s_cbranch_execz .LBB622_221
; %bb.216:                              ;   in Loop: Header=BB622_215 Depth=1
	v_cmp_ne_u16_sdwa s[20:21], v36, s9 src0_sel:BYTE_0 src1_sel:DWORD
	v_bfrev_b32_e32 v37, 1
	s_and_saveexec_b64 s[18:19], s[20:21]
	s_cbranch_execz .LBB622_220
; %bb.217:                              ;   in Loop: Header=BB622_215 Depth=1
	v_and_b32_e32 v42, 0x7f, v36
	v_cmp_ne_u32_e32 vcc, s11, v42
	v_mov_b32_e32 v37, 0x7f800001
	s_and_saveexec_b64 s[20:21], vcc
	s_cbranch_execz .LBB622_219
; %bb.218:                              ;   in Loop: Header=BB622_215 Depth=1
	v_and_b32_e32 v37, 7, v36
	v_ffbh_u32_e32 v56, v37
	v_min_u32_e32 v58, 32, v56
	v_subrev_u32_e32 v56, 28, v58
	v_lshlrev_b64 v[56:57], v56, v[36:37]
	v_lshrrev_b32_e32 v44, 3, v42
	v_sub_u32_e32 v57, 29, v58
	v_and_b32_e32 v56, 7, v56
	v_cmp_gt_u32_e32 vcc, 8, v42
	v_cndmask_b32_e32 v42, v44, v57, vcc
	v_cndmask_b32_e32 v37, v37, v56, vcc
	v_lshlrev_b32_e32 v44, 24, v36
	v_lshlrev_b32_e32 v37, 20, v37
	v_and_b32_e32 v44, 0x80000000, v44
	v_lshl_add_u32 v42, v42, 23, v55
	v_or3_b32 v37, v44, v42, v37
.LBB622_219:                            ;   in Loop: Header=BB622_215 Depth=1
	s_or_b64 exec, exec, s[20:21]
.LBB622_220:                            ;   in Loop: Header=BB622_215 Depth=1
	s_or_b64 exec, exec, s[18:19]
.LBB622_221:                            ;   in Loop: Header=BB622_215 Depth=1
	s_or_b64 exec, exec, s[16:17]
	v_lshrrev_b16_e32 v42, 8, v36
	v_cmp_ne_u16_e32 vcc, 0, v42
	s_and_saveexec_b64 s[16:17], vcc
	s_cbranch_execz .LBB622_227
; %bb.222:                              ;   in Loop: Header=BB622_215 Depth=1
	v_cmp_ne_u16_e32 vcc, s9, v42
	v_bfrev_b32_e32 v35, 1
	s_and_saveexec_b64 s[18:19], vcc
	s_cbranch_execz .LBB622_226
; %bb.223:                              ;   in Loop: Header=BB622_215 Depth=1
	v_and_b32_e32 v44, 0x7f, v42
	v_cmp_ne_u32_e32 vcc, s11, v44
	v_mov_b32_e32 v35, 0x7f800001
	s_and_saveexec_b64 s[20:21], vcc
	s_cbranch_execz .LBB622_225
; %bb.224:                              ;   in Loop: Header=BB622_215 Depth=1
	v_and_b32_e32 v35, 7, v42
	v_ffbh_u32_e32 v56, v35
	v_min_u32_e32 v59, 32, v56
	v_subrev_u32_e32 v56, 28, v59
	v_lshlrev_b64 v[56:57], v56, v[42:43]
	v_lshrrev_b32_e32 v58, 3, v44
	v_sub_u32_e32 v42, 29, v59
	v_and_b32_e32 v56, 7, v56
	v_cmp_gt_u32_e32 vcc, 8, v44
	v_cndmask_b32_e32 v42, v58, v42, vcc
	v_cndmask_b32_e32 v35, v35, v56, vcc
	v_lshlrev_b32_e32 v44, 16, v36
	v_lshlrev_b32_e32 v35, 20, v35
	v_and_b32_e32 v44, 0x80000000, v44
	v_lshl_add_u32 v42, v42, 23, v55
	v_or3_b32 v35, v44, v42, v35
.LBB622_225:                            ;   in Loop: Header=BB622_215 Depth=1
	s_or_b64 exec, exec, s[20:21]
.LBB622_226:                            ;   in Loop: Header=BB622_215 Depth=1
	s_or_b64 exec, exec, s[18:19]
.LBB622_227:                            ;   in Loop: Header=BB622_215 Depth=1
	s_or_b64 exec, exec, s[16:17]
	v_lshrrev_b32_e32 v42, 16, v36
	v_cmp_ne_u16_sdwa s[18:19], v42, v52 src0_sel:BYTE_0 src1_sel:DWORD
	v_mov_b32_e32 v56, 0
	v_mov_b32_e32 v44, 0
	s_and_saveexec_b64 s[16:17], s[18:19]
	s_cbranch_execz .LBB622_233
; %bb.228:                              ;   in Loop: Header=BB622_215 Depth=1
	v_cmp_ne_u16_sdwa s[20:21], v42, s9 src0_sel:BYTE_0 src1_sel:DWORD
	v_bfrev_b32_e32 v44, 1
	s_and_saveexec_b64 s[18:19], s[20:21]
	s_cbranch_execz .LBB622_232
; %bb.229:                              ;   in Loop: Header=BB622_215 Depth=1
	v_bfe_u32 v57, v36, 16, 7
	v_cmp_ne_u32_e32 vcc, s11, v57
	v_mov_b32_e32 v44, 0x7f800001
	s_and_saveexec_b64 s[20:21], vcc
	s_cbranch_execz .LBB622_231
; %bb.230:                              ;   in Loop: Header=BB622_215 Depth=1
	v_and_b32_e32 v44, 7, v42
	v_ffbh_u32_e32 v58, v44
	v_min_u32_e32 v61, 32, v58
	v_subrev_u32_e32 v58, 28, v61
	v_lshlrev_b64 v[58:59], v58, v[42:43]
	v_lshrrev_b32_e32 v60, 3, v57
	v_sub_u32_e32 v59, 29, v61
	v_and_b32_e32 v58, 7, v58
	v_cmp_gt_u32_e32 vcc, 8, v57
	v_cndmask_b32_e32 v57, v60, v59, vcc
	v_cndmask_b32_e32 v44, v44, v58, vcc
	v_lshlrev_b32_e32 v42, 24, v42
	v_lshlrev_b32_e32 v44, 20, v44
	v_and_b32_e32 v42, 0x80000000, v42
	v_lshl_add_u32 v57, v57, 23, v55
	v_or3_b32 v44, v42, v57, v44
.LBB622_231:                            ;   in Loop: Header=BB622_215 Depth=1
	s_or_b64 exec, exec, s[20:21]
.LBB622_232:                            ;   in Loop: Header=BB622_215 Depth=1
	s_or_b64 exec, exec, s[18:19]
.LBB622_233:                            ;   in Loop: Header=BB622_215 Depth=1
	s_or_b64 exec, exec, s[16:17]
	v_cmp_lt_u32_e32 vcc, s22, v36
	s_and_saveexec_b64 s[16:17], vcc
	s_cbranch_execz .LBB622_239
; %bb.234:                              ;   in Loop: Header=BB622_215 Depth=1
	v_lshrrev_b32_e32 v42, 24, v36
	v_cmp_ne_u32_e32 vcc, s9, v42
	v_bfrev_b32_e32 v56, 1
	s_and_saveexec_b64 s[18:19], vcc
	s_cbranch_execz .LBB622_238
; %bb.235:                              ;   in Loop: Header=BB622_215 Depth=1
	v_bfe_u32 v36, v36, 24, 7
	v_cmp_ne_u32_e32 vcc, s11, v36
	v_mov_b32_e32 v56, 0x7f800001
	s_and_saveexec_b64 s[20:21], vcc
	s_cbranch_execz .LBB622_237
; %bb.236:                              ;   in Loop: Header=BB622_215 Depth=1
	v_and_b32_e32 v58, 7, v42
	v_ffbh_u32_e32 v56, v58
	v_min_u32_e32 v60, 32, v56
	v_subrev_u32_e32 v56, 28, v60
	v_lshlrev_b64 v[56:57], v56, v[42:43]
	v_lshrrev_b32_e32 v59, 3, v36
	v_sub_u32_e32 v57, 29, v60
	v_and_b32_e32 v56, 7, v56
	v_cmp_gt_u32_e32 vcc, 8, v36
	v_cndmask_b32_e32 v36, v59, v57, vcc
	v_cndmask_b32_e32 v56, v58, v56, vcc
	v_lshlrev_b32_e32 v42, 24, v42
	v_lshlrev_b32_e32 v56, 20, v56
	v_and_b32_e32 v42, 0x80000000, v42
	v_lshl_add_u32 v36, v36, 23, v55
	v_or3_b32 v56, v42, v36, v56
.LBB622_237:                            ;   in Loop: Header=BB622_215 Depth=1
	s_or_b64 exec, exec, s[20:21]
.LBB622_238:                            ;   in Loop: Header=BB622_215 Depth=1
	s_or_b64 exec, exec, s[18:19]
.LBB622_239:                            ;   in Loop: Header=BB622_215 Depth=1
	s_or_b64 exec, exec, s[16:17]
	s_waitcnt vmcnt(2)
	v_cmp_ne_u16_sdwa s[18:19], v34, v52 src0_sel:BYTE_0 src1_sel:DWORD
	v_mov_b32_e32 v42, 0
	v_mov_b32_e32 v57, 0
	s_and_saveexec_b64 s[16:17], s[18:19]
	s_cbranch_execz .LBB622_245
; %bb.240:                              ;   in Loop: Header=BB622_215 Depth=1
	v_cmp_ne_u16_sdwa s[20:21], v34, s9 src0_sel:BYTE_0 src1_sel:DWORD
	v_bfrev_b32_e32 v57, 1
	s_and_saveexec_b64 s[18:19], s[20:21]
	s_cbranch_execz .LBB622_244
; %bb.241:                              ;   in Loop: Header=BB622_215 Depth=1
	v_and_b32_e32 v36, 0x7f, v34
	v_cmp_ne_u32_e32 vcc, s11, v36
	v_mov_b32_e32 v57, 0x7f800001
	s_and_saveexec_b64 s[20:21], vcc
	s_cbranch_execz .LBB622_243
; %bb.242:                              ;   in Loop: Header=BB622_215 Depth=1
	v_and_b32_e32 v57, 7, v34
	v_ffbh_u32_e32 v58, v57
	v_min_u32_e32 v61, 32, v58
	v_subrev_u32_e32 v58, 28, v61
	v_lshlrev_b64 v[58:59], v58, v[34:35]
	v_lshrrev_b32_e32 v60, 3, v36
	v_sub_u32_e32 v59, 29, v61
	v_and_b32_e32 v58, 7, v58
	v_cmp_gt_u32_e32 vcc, 8, v36
	v_cndmask_b32_e32 v36, v60, v59, vcc
	v_cndmask_b32_e32 v57, v57, v58, vcc
	v_lshlrev_b32_e32 v58, 24, v34
	v_lshlrev_b32_e32 v57, 20, v57
	v_and_b32_e32 v58, 0x80000000, v58
	v_lshl_add_u32 v36, v36, 23, v55
	v_or3_b32 v57, v58, v36, v57
.LBB622_243:                            ;   in Loop: Header=BB622_215 Depth=1
	s_or_b64 exec, exec, s[20:21]
.LBB622_244:                            ;   in Loop: Header=BB622_215 Depth=1
	s_or_b64 exec, exec, s[18:19]
.LBB622_245:                            ;   in Loop: Header=BB622_215 Depth=1
	s_or_b64 exec, exec, s[16:17]
	v_lshrrev_b16_e32 v36, 8, v34
	v_cmp_ne_u16_e32 vcc, 0, v36
	s_and_saveexec_b64 s[16:17], vcc
	s_cbranch_execz .LBB622_251
; %bb.246:                              ;   in Loop: Header=BB622_215 Depth=1
	v_cmp_ne_u16_e32 vcc, s9, v36
	v_bfrev_b32_e32 v42, 1
	s_and_saveexec_b64 s[18:19], vcc
	s_cbranch_execz .LBB622_250
; %bb.247:                              ;   in Loop: Header=BB622_215 Depth=1
	v_and_b32_e32 v58, 0x7f, v36
	v_cmp_ne_u32_e32 vcc, s11, v58
	v_mov_b32_e32 v42, 0x7f800001
	s_and_saveexec_b64 s[20:21], vcc
	s_cbranch_execz .LBB622_249
; %bb.248:                              ;   in Loop: Header=BB622_215 Depth=1
	v_and_b32_e32 v42, 7, v36
	v_ffbh_u32_e32 v60, v42
	v_min_u32_e32 v62, 32, v60
	v_subrev_u32_e32 v60, 28, v62
	v_lshlrev_b64 v[60:61], v60, v[36:37]
	v_lshrrev_b32_e32 v59, 3, v58
	v_sub_u32_e32 v36, 29, v62
	v_and_b32_e32 v60, 7, v60
	v_cmp_gt_u32_e32 vcc, 8, v58
	v_cndmask_b32_e32 v36, v59, v36, vcc
	v_cndmask_b32_e32 v42, v42, v60, vcc
	v_lshlrev_b32_e32 v58, 16, v34
	v_lshlrev_b32_e32 v42, 20, v42
	v_and_b32_e32 v58, 0x80000000, v58
	v_lshl_add_u32 v36, v36, 23, v55
	v_or3_b32 v42, v58, v36, v42
.LBB622_249:                            ;   in Loop: Header=BB622_215 Depth=1
	s_or_b64 exec, exec, s[20:21]
.LBB622_250:                            ;   in Loop: Header=BB622_215 Depth=1
	s_or_b64 exec, exec, s[18:19]
.LBB622_251:                            ;   in Loop: Header=BB622_215 Depth=1
	s_or_b64 exec, exec, s[16:17]
	v_lshrrev_b32_e32 v36, 16, v34
	v_cmp_ne_u16_sdwa s[18:19], v36, v52 src0_sel:BYTE_0 src1_sel:DWORD
	v_mov_b32_e32 v59, 0
	v_mov_b32_e32 v58, 0
	s_and_saveexec_b64 s[16:17], s[18:19]
	s_cbranch_execz .LBB622_257
; %bb.252:                              ;   in Loop: Header=BB622_215 Depth=1
	v_cmp_ne_u16_sdwa s[20:21], v36, s9 src0_sel:BYTE_0 src1_sel:DWORD
	v_bfrev_b32_e32 v58, 1
	s_and_saveexec_b64 s[18:19], s[20:21]
	s_cbranch_execz .LBB622_256
; %bb.253:                              ;   in Loop: Header=BB622_215 Depth=1
	v_bfe_u32 v60, v34, 16, 7
	v_cmp_ne_u32_e32 vcc, s11, v60
	v_mov_b32_e32 v58, 0x7f800001
	s_and_saveexec_b64 s[20:21], vcc
	s_cbranch_execz .LBB622_255
; %bb.254:                              ;   in Loop: Header=BB622_215 Depth=1
	v_and_b32_e32 v58, 7, v36
	v_ffbh_u32_e32 v62, v58
	v_min_u32_e32 v64, 32, v62
	v_subrev_u32_e32 v62, 28, v64
	v_lshlrev_b64 v[62:63], v62, v[36:37]
	v_lshrrev_b32_e32 v61, 3, v60
	v_sub_u32_e32 v63, 29, v64
	v_and_b32_e32 v62, 7, v62
	v_cmp_gt_u32_e32 vcc, 8, v60
	v_cndmask_b32_e32 v60, v61, v63, vcc
	v_cndmask_b32_e32 v58, v58, v62, vcc
	v_lshlrev_b32_e32 v36, 24, v36
	v_lshlrev_b32_e32 v58, 20, v58
	v_and_b32_e32 v36, 0x80000000, v36
	v_lshl_add_u32 v60, v60, 23, v55
	v_or3_b32 v58, v36, v60, v58
.LBB622_255:                            ;   in Loop: Header=BB622_215 Depth=1
	s_or_b64 exec, exec, s[20:21]
.LBB622_256:                            ;   in Loop: Header=BB622_215 Depth=1
	s_or_b64 exec, exec, s[18:19]
.LBB622_257:                            ;   in Loop: Header=BB622_215 Depth=1
	s_or_b64 exec, exec, s[16:17]
	v_cmp_lt_u32_e32 vcc, s22, v34
	s_and_saveexec_b64 s[16:17], vcc
	s_cbranch_execz .LBB622_263
; %bb.258:                              ;   in Loop: Header=BB622_215 Depth=1
	v_lshrrev_b32_e32 v36, 24, v34
	v_cmp_ne_u32_e32 vcc, s9, v36
	v_bfrev_b32_e32 v59, 1
	s_and_saveexec_b64 s[18:19], vcc
	s_cbranch_execz .LBB622_262
; %bb.259:                              ;   in Loop: Header=BB622_215 Depth=1
	v_bfe_u32 v34, v34, 24, 7
	v_cmp_ne_u32_e32 vcc, s11, v34
	v_mov_b32_e32 v59, 0x7f800001
	s_and_saveexec_b64 s[20:21], vcc
	s_cbranch_execz .LBB622_261
; %bb.260:                              ;   in Loop: Header=BB622_215 Depth=1
	v_and_b32_e32 v59, 7, v36
	v_ffbh_u32_e32 v60, v59
	v_min_u32_e32 v63, 32, v60
	v_subrev_u32_e32 v60, 28, v63
	v_lshlrev_b64 v[60:61], v60, v[36:37]
	v_lshrrev_b32_e32 v62, 3, v34
	v_sub_u32_e32 v61, 29, v63
	v_and_b32_e32 v60, 7, v60
	v_cmp_gt_u32_e32 vcc, 8, v34
	v_cndmask_b32_e32 v34, v62, v61, vcc
	v_cndmask_b32_e32 v59, v59, v60, vcc
	v_lshlrev_b32_e32 v36, 24, v36
	v_lshlrev_b32_e32 v59, 20, v59
	v_and_b32_e32 v36, 0x80000000, v36
	v_lshl_add_u32 v34, v34, 23, v55
	v_or3_b32 v59, v36, v34, v59
.LBB622_261:                            ;   in Loop: Header=BB622_215 Depth=1
	s_or_b64 exec, exec, s[20:21]
.LBB622_262:                            ;   in Loop: Header=BB622_215 Depth=1
	s_or_b64 exec, exec, s[18:19]
.LBB622_263:                            ;   in Loop: Header=BB622_215 Depth=1
	s_or_b64 exec, exec, s[16:17]
	v_cvt_pkrtz_f16_f32 v34, v37, v35
	v_cvt_pkrtz_f16_f32 v35, v44, v56
	;; [unrolled: 1-line block ×4, first 2 shown]
	v_mov_b32_e32 v44, 0
	v_mfma_f32_16x16x16f16 v[34:37], v[34:35], v[2:3], 0
	s_waitcnt vmcnt(1)
	v_cmp_ne_u16_sdwa s[18:19], v40, v52 src0_sel:BYTE_0 src1_sel:DWORD
	v_mov_b32_e32 v57, 0
	v_mfma_f32_16x16x16f16 v[34:37], v[60:61], v[4:5], v[34:37]
	s_and_saveexec_b64 s[16:17], s[18:19]
	s_cbranch_execz .LBB622_269
; %bb.264:                              ;   in Loop: Header=BB622_215 Depth=1
	v_cmp_ne_u16_sdwa s[20:21], v40, s9 src0_sel:BYTE_0 src1_sel:DWORD
	v_bfrev_b32_e32 v57, 1
	s_and_saveexec_b64 s[18:19], s[20:21]
	s_cbranch_execz .LBB622_268
; %bb.265:                              ;   in Loop: Header=BB622_215 Depth=1
	v_and_b32_e32 v42, 0x7f, v40
	v_cmp_ne_u32_e32 vcc, s11, v42
	v_mov_b32_e32 v57, 0x7f800001
	s_and_saveexec_b64 s[20:21], vcc
	s_cbranch_execz .LBB622_267
; %bb.266:                              ;   in Loop: Header=BB622_215 Depth=1
	v_and_b32_e32 v58, 7, v40
	v_ffbh_u32_e32 v56, v58
	v_min_u32_e32 v60, 32, v56
	v_subrev_u32_e32 v56, 28, v60
	v_lshlrev_b64 v[56:57], v56, v[40:41]
	v_lshrrev_b32_e32 v59, 3, v42
	v_sub_u32_e32 v57, 29, v60
	v_and_b32_e32 v56, 7, v56
	v_cmp_gt_u32_e32 vcc, 8, v42
	v_cndmask_b32_e32 v42, v59, v57, vcc
	v_cndmask_b32_e32 v56, v58, v56, vcc
	v_lshlrev_b32_e32 v57, 24, v40
	v_lshlrev_b32_e32 v56, 20, v56
	v_and_b32_e32 v57, 0x80000000, v57
	v_lshl_add_u32 v42, v42, 23, v55
	v_or3_b32 v57, v57, v42, v56
.LBB622_267:                            ;   in Loop: Header=BB622_215 Depth=1
	s_or_b64 exec, exec, s[20:21]
.LBB622_268:                            ;   in Loop: Header=BB622_215 Depth=1
	s_or_b64 exec, exec, s[18:19]
.LBB622_269:                            ;   in Loop: Header=BB622_215 Depth=1
	s_or_b64 exec, exec, s[16:17]
	v_lshrrev_b16_e32 v42, 8, v40
	v_cmp_ne_u16_e32 vcc, 0, v42
	v_mov_b32_e32 v58, 0
	s_and_saveexec_b64 s[16:17], vcc
	s_cbranch_execz .LBB622_275
; %bb.270:                              ;   in Loop: Header=BB622_215 Depth=1
	v_cmp_ne_u16_e32 vcc, s9, v42
	v_bfrev_b32_e32 v58, 1
	s_and_saveexec_b64 s[18:19], vcc
	s_cbranch_execz .LBB622_274
; %bb.271:                              ;   in Loop: Header=BB622_215 Depth=1
	v_and_b32_e32 v56, 0x7f, v42
	v_cmp_ne_u32_e32 vcc, s11, v56
	v_mov_b32_e32 v58, 0x7f800001
	s_and_saveexec_b64 s[20:21], vcc
	s_cbranch_execz .LBB622_273
; %bb.272:                              ;   in Loop: Header=BB622_215 Depth=1
	v_and_b32_e32 v60, 7, v42
	v_ffbh_u32_e32 v58, v60
	v_min_u32_e32 v62, 32, v58
	v_subrev_u32_e32 v58, 28, v62
	v_lshlrev_b64 v[58:59], v58, v[42:43]
	v_lshrrev_b32_e32 v61, 3, v56
	v_sub_u32_e32 v42, 29, v62
	v_and_b32_e32 v58, 7, v58
	v_cmp_gt_u32_e32 vcc, 8, v56
	v_cndmask_b32_e32 v42, v61, v42, vcc
	v_cndmask_b32_e32 v56, v60, v58, vcc
	v_lshlrev_b32_e32 v58, 16, v40
	v_lshlrev_b32_e32 v56, 20, v56
	v_and_b32_e32 v58, 0x80000000, v58
	v_lshl_add_u32 v42, v42, 23, v55
	v_or3_b32 v58, v58, v42, v56
.LBB622_273:                            ;   in Loop: Header=BB622_215 Depth=1
	s_or_b64 exec, exec, s[20:21]
.LBB622_274:                            ;   in Loop: Header=BB622_215 Depth=1
	s_or_b64 exec, exec, s[18:19]
.LBB622_275:                            ;   in Loop: Header=BB622_215 Depth=1
	s_or_b64 exec, exec, s[16:17]
	v_lshrrev_b32_e32 v42, 16, v40
	v_cmp_ne_u16_sdwa s[18:19], v42, v52 src0_sel:BYTE_0 src1_sel:DWORD
	s_and_saveexec_b64 s[16:17], s[18:19]
	s_cbranch_execz .LBB622_281
; %bb.276:                              ;   in Loop: Header=BB622_215 Depth=1
	v_cmp_ne_u16_sdwa s[20:21], v42, s9 src0_sel:BYTE_0 src1_sel:DWORD
	v_bfrev_b32_e32 v44, 1
	s_and_saveexec_b64 s[18:19], s[20:21]
	s_cbranch_execz .LBB622_280
; %bb.277:                              ;   in Loop: Header=BB622_215 Depth=1
	v_bfe_u32 v56, v40, 16, 7
	v_cmp_ne_u32_e32 vcc, s11, v56
	v_mov_b32_e32 v44, 0x7f800001
	s_and_saveexec_b64 s[20:21], vcc
	s_cbranch_execz .LBB622_279
; %bb.278:                              ;   in Loop: Header=BB622_215 Depth=1
	v_and_b32_e32 v44, 7, v42
	v_ffbh_u32_e32 v60, v44
	v_min_u32_e32 v62, 32, v60
	v_subrev_u32_e32 v60, 28, v62
	v_lshlrev_b64 v[60:61], v60, v[42:43]
	v_lshrrev_b32_e32 v59, 3, v56
	v_sub_u32_e32 v61, 29, v62
	v_and_b32_e32 v60, 7, v60
	v_cmp_gt_u32_e32 vcc, 8, v56
	v_cndmask_b32_e32 v56, v59, v61, vcc
	v_cndmask_b32_e32 v44, v44, v60, vcc
	v_lshlrev_b32_e32 v42, 24, v42
	v_lshlrev_b32_e32 v44, 20, v44
	v_and_b32_e32 v42, 0x80000000, v42
	v_lshl_add_u32 v56, v56, 23, v55
	v_or3_b32 v44, v42, v56, v44
.LBB622_279:                            ;   in Loop: Header=BB622_215 Depth=1
	s_or_b64 exec, exec, s[20:21]
.LBB622_280:                            ;   in Loop: Header=BB622_215 Depth=1
	s_or_b64 exec, exec, s[18:19]
.LBB622_281:                            ;   in Loop: Header=BB622_215 Depth=1
	s_or_b64 exec, exec, s[16:17]
	v_cmp_lt_u32_e32 vcc, s22, v40
	v_mov_b32_e32 v59, 0
	v_mov_b32_e32 v60, 0
	s_and_saveexec_b64 s[16:17], vcc
	s_cbranch_execz .LBB622_287
; %bb.282:                              ;   in Loop: Header=BB622_215 Depth=1
	v_lshrrev_b32_e32 v42, 24, v40
	v_cmp_ne_u32_e32 vcc, s9, v42
	v_bfrev_b32_e32 v60, 1
	s_and_saveexec_b64 s[18:19], vcc
	s_cbranch_execz .LBB622_286
; %bb.283:                              ;   in Loop: Header=BB622_215 Depth=1
	v_bfe_u32 v40, v40, 24, 7
	v_cmp_ne_u32_e32 vcc, s11, v40
	v_mov_b32_e32 v60, 0x7f800001
	s_and_saveexec_b64 s[20:21], vcc
	s_cbranch_execz .LBB622_285
; %bb.284:                              ;   in Loop: Header=BB622_215 Depth=1
	v_and_b32_e32 v56, 7, v42
	v_ffbh_u32_e32 v60, v56
	v_min_u32_e32 v63, 32, v60
	v_subrev_u32_e32 v60, 28, v63
	v_lshlrev_b64 v[60:61], v60, v[42:43]
	v_lshrrev_b32_e32 v62, 3, v40
	v_sub_u32_e32 v61, 29, v63
	v_and_b32_e32 v60, 7, v60
	v_cmp_gt_u32_e32 vcc, 8, v40
	v_cndmask_b32_e32 v40, v62, v61, vcc
	v_cndmask_b32_e32 v56, v56, v60, vcc
	v_lshlrev_b32_e32 v42, 24, v42
	v_lshlrev_b32_e32 v56, 20, v56
	v_and_b32_e32 v42, 0x80000000, v42
	v_lshl_add_u32 v40, v40, 23, v55
	v_or3_b32 v60, v42, v40, v56
.LBB622_285:                            ;   in Loop: Header=BB622_215 Depth=1
	s_or_b64 exec, exec, s[20:21]
.LBB622_286:                            ;   in Loop: Header=BB622_215 Depth=1
	s_or_b64 exec, exec, s[18:19]
.LBB622_287:                            ;   in Loop: Header=BB622_215 Depth=1
	s_or_b64 exec, exec, s[16:17]
	s_waitcnt vmcnt(0)
	v_cmp_ne_u16_sdwa s[18:19], v38, v52 src0_sel:BYTE_0 src1_sel:DWORD
	s_and_saveexec_b64 s[16:17], s[18:19]
	s_cbranch_execz .LBB622_293
; %bb.288:                              ;   in Loop: Header=BB622_215 Depth=1
	v_cmp_ne_u16_sdwa s[20:21], v38, s9 src0_sel:BYTE_0 src1_sel:DWORD
	v_bfrev_b32_e32 v59, 1
	s_and_saveexec_b64 s[18:19], s[20:21]
	s_cbranch_execz .LBB622_292
; %bb.289:                              ;   in Loop: Header=BB622_215 Depth=1
	v_and_b32_e32 v40, 0x7f, v38
	v_cmp_ne_u32_e32 vcc, s11, v40
	v_mov_b32_e32 v59, 0x7f800001
	s_and_saveexec_b64 s[20:21], vcc
	s_cbranch_execz .LBB622_291
; %bb.290:                              ;   in Loop: Header=BB622_215 Depth=1
	v_and_b32_e32 v42, 7, v38
	v_ffbh_u32_e32 v59, v42
	v_min_u32_e32 v59, 32, v59
	v_subrev_u32_e32 v61, 28, v59
	v_lshlrev_b64 v[62:63], v61, v[38:39]
	v_lshrrev_b32_e32 v56, 3, v40
	v_sub_u32_e32 v59, 29, v59
	v_and_b32_e32 v61, 7, v62
	v_cmp_gt_u32_e32 vcc, 8, v40
	v_cndmask_b32_e32 v40, v56, v59, vcc
	v_cndmask_b32_e32 v42, v42, v61, vcc
	v_lshlrev_b32_e32 v56, 24, v38
	v_lshlrev_b32_e32 v42, 20, v42
	v_and_b32_e32 v56, 0x80000000, v56
	v_lshl_add_u32 v40, v40, 23, v55
	v_or3_b32 v59, v56, v40, v42
.LBB622_291:                            ;   in Loop: Header=BB622_215 Depth=1
	s_or_b64 exec, exec, s[20:21]
.LBB622_292:                            ;   in Loop: Header=BB622_215 Depth=1
	s_or_b64 exec, exec, s[18:19]
.LBB622_293:                            ;   in Loop: Header=BB622_215 Depth=1
	s_or_b64 exec, exec, s[16:17]
	v_lshrrev_b16_e32 v40, 8, v38
	v_cmp_ne_u16_e32 vcc, 0, v40
	v_mov_b32_e32 v61, 0
	v_mov_b32_e32 v62, 0
	s_and_saveexec_b64 s[16:17], vcc
	s_cbranch_execz .LBB622_299
; %bb.294:                              ;   in Loop: Header=BB622_215 Depth=1
	v_cmp_ne_u16_e32 vcc, s9, v40
	v_bfrev_b32_e32 v62, 1
	s_and_saveexec_b64 s[18:19], vcc
	s_cbranch_execz .LBB622_298
; %bb.295:                              ;   in Loop: Header=BB622_215 Depth=1
	v_and_b32_e32 v42, 0x7f, v40
	v_cmp_ne_u32_e32 vcc, s11, v42
	v_mov_b32_e32 v62, 0x7f800001
	s_and_saveexec_b64 s[20:21], vcc
	s_cbranch_execz .LBB622_297
; %bb.296:                              ;   in Loop: Header=BB622_215 Depth=1
	v_and_b32_e32 v56, 7, v40
	v_ffbh_u32_e32 v62, v56
	v_min_u32_e32 v65, 32, v62
	v_subrev_u32_e32 v62, 28, v65
	v_lshlrev_b64 v[62:63], v62, v[40:41]
	v_lshrrev_b32_e32 v64, 3, v42
	v_sub_u32_e32 v40, 29, v65
	v_and_b32_e32 v62, 7, v62
	v_cmp_gt_u32_e32 vcc, 8, v42
	v_cndmask_b32_e32 v40, v64, v40, vcc
	v_cndmask_b32_e32 v42, v56, v62, vcc
	v_lshlrev_b32_e32 v56, 16, v38
	v_lshlrev_b32_e32 v42, 20, v42
	v_and_b32_e32 v56, 0x80000000, v56
	v_lshl_add_u32 v40, v40, 23, v55
	v_or3_b32 v62, v56, v40, v42
.LBB622_297:                            ;   in Loop: Header=BB622_215 Depth=1
	s_or_b64 exec, exec, s[20:21]
.LBB622_298:                            ;   in Loop: Header=BB622_215 Depth=1
	s_or_b64 exec, exec, s[18:19]
.LBB622_299:                            ;   in Loop: Header=BB622_215 Depth=1
	s_or_b64 exec, exec, s[16:17]
	v_lshrrev_b32_e32 v40, 16, v38
	v_cmp_ne_u16_sdwa s[18:19], v40, v52 src0_sel:BYTE_0 src1_sel:DWORD
	s_and_saveexec_b64 s[16:17], s[18:19]
	s_cbranch_execz .LBB622_305
; %bb.300:                              ;   in Loop: Header=BB622_215 Depth=1
	v_cmp_ne_u16_sdwa s[20:21], v40, s9 src0_sel:BYTE_0 src1_sel:DWORD
	v_bfrev_b32_e32 v61, 1
	s_and_saveexec_b64 s[18:19], s[20:21]
	s_cbranch_execz .LBB622_304
; %bb.301:                              ;   in Loop: Header=BB622_215 Depth=1
	v_bfe_u32 v42, v38, 16, 7
	v_cmp_ne_u32_e32 vcc, s11, v42
	v_mov_b32_e32 v61, 0x7f800001
	s_and_saveexec_b64 s[20:21], vcc
	s_cbranch_execz .LBB622_303
; %bb.302:                              ;   in Loop: Header=BB622_215 Depth=1
	v_and_b32_e32 v56, 7, v40
	v_ffbh_u32_e32 v63, v56
	v_min_u32_e32 v63, 32, v63
	v_subrev_u32_e32 v64, 28, v63
	v_lshlrev_b64 v[64:65], v64, v[40:41]
	v_lshrrev_b32_e32 v61, 3, v42
	v_sub_u32_e32 v63, 29, v63
	v_and_b32_e32 v64, 7, v64
	v_cmp_gt_u32_e32 vcc, 8, v42
	v_cndmask_b32_e32 v42, v61, v63, vcc
	v_cndmask_b32_e32 v56, v56, v64, vcc
	v_lshlrev_b32_e32 v40, 24, v40
	v_lshlrev_b32_e32 v56, 20, v56
	v_and_b32_e32 v40, 0x80000000, v40
	v_lshl_add_u32 v42, v42, 23, v55
	v_or3_b32 v61, v40, v42, v56
.LBB622_303:                            ;   in Loop: Header=BB622_215 Depth=1
	s_or_b64 exec, exec, s[20:21]
.LBB622_304:                            ;   in Loop: Header=BB622_215 Depth=1
	s_or_b64 exec, exec, s[18:19]
.LBB622_305:                            ;   in Loop: Header=BB622_215 Depth=1
	s_or_b64 exec, exec, s[16:17]
	v_cmp_lt_u32_e32 vcc, s22, v38
	v_mov_b32_e32 v56, 0
	v_mov_b32_e32 v63, 0
	s_and_saveexec_b64 s[16:17], vcc
	s_cbranch_execz .LBB622_311
; %bb.306:                              ;   in Loop: Header=BB622_215 Depth=1
	v_lshrrev_b32_e32 v40, 24, v38
	v_cmp_ne_u32_e32 vcc, s9, v40
	v_bfrev_b32_e32 v63, 1
	s_and_saveexec_b64 s[18:19], vcc
	s_cbranch_execz .LBB622_310
; %bb.307:                              ;   in Loop: Header=BB622_215 Depth=1
	v_bfe_u32 v38, v38, 24, 7
	v_cmp_ne_u32_e32 vcc, s11, v38
	v_mov_b32_e32 v63, 0x7f800001
	s_and_saveexec_b64 s[20:21], vcc
	s_cbranch_execz .LBB622_309
; %bb.308:                              ;   in Loop: Header=BB622_215 Depth=1
	v_and_b32_e32 v42, 7, v40
	v_ffbh_u32_e32 v64, v42
	v_min_u32_e32 v66, 32, v64
	v_subrev_u32_e32 v64, 28, v66
	v_lshlrev_b64 v[64:65], v64, v[40:41]
	v_lshrrev_b32_e32 v63, 3, v38
	v_sub_u32_e32 v65, 29, v66
	v_and_b32_e32 v64, 7, v64
	v_cmp_gt_u32_e32 vcc, 8, v38
	v_cndmask_b32_e32 v38, v63, v65, vcc
	v_cndmask_b32_e32 v42, v42, v64, vcc
	v_lshlrev_b32_e32 v40, 24, v40
	v_lshlrev_b32_e32 v42, 20, v42
	v_and_b32_e32 v40, 0x80000000, v40
	v_lshl_add_u32 v38, v38, 23, v55
	v_or3_b32 v63, v40, v38, v42
.LBB622_309:                            ;   in Loop: Header=BB622_215 Depth=1
	s_or_b64 exec, exec, s[20:21]
.LBB622_310:                            ;   in Loop: Header=BB622_215 Depth=1
	s_or_b64 exec, exec, s[18:19]
.LBB622_311:                            ;   in Loop: Header=BB622_215 Depth=1
	s_or_b64 exec, exec, s[16:17]
	v_cvt_pkrtz_f16_f32 v65, v44, v60
	buffer_load_dword v44, v46, s[0:3], 0 offen
	buffer_load_dword v42, v46, s[0:3], 0 offen offset:4
	buffer_load_dword v40, v46, s[0:3], 0 offen offset:8
	buffer_load_dword v38, v46, s[0:3], 0 offen offset:12
	v_cvt_pkrtz_f16_f32 v64, v57, v58
	v_cvt_pkrtz_f16_f32 v58, v59, v62
	;; [unrolled: 1-line block ×3, first 2 shown]
	v_mfma_f32_16x16x16f16 v[34:37], v[64:65], v[6:7], v[34:37]
	s_waitcnt vmcnt(3)
	v_cmp_ne_u16_sdwa s[18:19], v44, v52 src0_sel:BYTE_0 src1_sel:DWORD
	v_mfma_f32_16x16x16f16 v[34:37], v[58:59], v[8:9], v[34:37]
	s_and_saveexec_b64 s[16:17], s[18:19]
	s_cbranch_execz .LBB622_317
; %bb.312:                              ;   in Loop: Header=BB622_215 Depth=1
	v_cmp_ne_u16_sdwa s[20:21], v44, s9 src0_sel:BYTE_0 src1_sel:DWORD
	v_bfrev_b32_e32 v56, 1
	s_and_saveexec_b64 s[18:19], s[20:21]
	s_cbranch_execz .LBB622_316
; %bb.313:                              ;   in Loop: Header=BB622_215 Depth=1
	v_and_b32_e32 v46, 0x7f, v44
	v_cmp_ne_u32_e32 vcc, s11, v46
	v_mov_b32_e32 v56, 0x7f800001
	s_and_saveexec_b64 s[20:21], vcc
	s_cbranch_execz .LBB622_315
; %bb.314:                              ;   in Loop: Header=BB622_215 Depth=1
	v_and_b32_e32 v58, 7, v44
	v_ffbh_u32_e32 v56, v58
	v_min_u32_e32 v60, 32, v56
	v_subrev_u32_e32 v56, 28, v60
	v_lshlrev_b64 v[56:57], v56, v[44:45]
	v_lshrrev_b32_e32 v59, 3, v46
	v_sub_u32_e32 v57, 29, v60
	v_and_b32_e32 v56, 7, v56
	v_cmp_gt_u32_e32 vcc, 8, v46
	v_cndmask_b32_e32 v46, v59, v57, vcc
	v_cndmask_b32_e32 v56, v58, v56, vcc
	v_lshlrev_b32_e32 v57, 24, v44
	v_lshlrev_b32_e32 v56, 20, v56
	v_and_b32_e32 v57, 0x80000000, v57
	v_lshl_add_u32 v46, v46, 23, v55
	v_or3_b32 v56, v57, v46, v56
.LBB622_315:                            ;   in Loop: Header=BB622_215 Depth=1
	s_or_b64 exec, exec, s[20:21]
.LBB622_316:                            ;   in Loop: Header=BB622_215 Depth=1
	s_or_b64 exec, exec, s[18:19]
.LBB622_317:                            ;   in Loop: Header=BB622_215 Depth=1
	s_or_b64 exec, exec, s[16:17]
	v_lshrrev_b16_e32 v46, 8, v44
	v_cmp_ne_u16_e32 vcc, 0, v46
	v_mov_b32_e32 v57, 0
	v_mov_b32_e32 v58, 0
	s_and_saveexec_b64 s[16:17], vcc
	s_cbranch_execz .LBB622_323
; %bb.318:                              ;   in Loop: Header=BB622_215 Depth=1
	v_cmp_ne_u16_e32 vcc, s9, v46
	v_bfrev_b32_e32 v58, 1
	s_and_saveexec_b64 s[18:19], vcc
	s_cbranch_execz .LBB622_322
; %bb.319:                              ;   in Loop: Header=BB622_215 Depth=1
	v_and_b32_e32 v59, 0x7f, v46
	v_cmp_ne_u32_e32 vcc, s11, v59
	v_mov_b32_e32 v58, 0x7f800001
	s_and_saveexec_b64 s[20:21], vcc
	s_cbranch_execz .LBB622_321
; %bb.320:                              ;   in Loop: Header=BB622_215 Depth=1
	v_and_b32_e32 v58, 7, v46
	v_ffbh_u32_e32 v60, v58
	v_min_u32_e32 v63, 32, v60
	v_subrev_u32_e32 v60, 28, v63
	v_lshlrev_b64 v[60:61], v60, v[46:47]
	v_lshrrev_b32_e32 v62, 3, v59
	v_sub_u32_e32 v46, 29, v63
	v_and_b32_e32 v60, 7, v60
	v_cmp_gt_u32_e32 vcc, 8, v59
	v_cndmask_b32_e32 v46, v62, v46, vcc
	v_cndmask_b32_e32 v58, v58, v60, vcc
	v_lshlrev_b32_e32 v59, 16, v44
	v_lshlrev_b32_e32 v58, 20, v58
	v_and_b32_e32 v59, 0x80000000, v59
	v_lshl_add_u32 v46, v46, 23, v55
	v_or3_b32 v58, v59, v46, v58
.LBB622_321:                            ;   in Loop: Header=BB622_215 Depth=1
	s_or_b64 exec, exec, s[20:21]
.LBB622_322:                            ;   in Loop: Header=BB622_215 Depth=1
	s_or_b64 exec, exec, s[18:19]
.LBB622_323:                            ;   in Loop: Header=BB622_215 Depth=1
	s_or_b64 exec, exec, s[16:17]
	v_lshrrev_b32_e32 v46, 16, v44
	v_cmp_ne_u16_sdwa s[18:19], v46, v52 src0_sel:BYTE_0 src1_sel:DWORD
	s_and_saveexec_b64 s[16:17], s[18:19]
	s_cbranch_execz .LBB622_329
; %bb.324:                              ;   in Loop: Header=BB622_215 Depth=1
	v_cmp_ne_u16_sdwa s[20:21], v46, s9 src0_sel:BYTE_0 src1_sel:DWORD
	v_bfrev_b32_e32 v57, 1
	s_and_saveexec_b64 s[18:19], s[20:21]
	s_cbranch_execz .LBB622_328
; %bb.325:                              ;   in Loop: Header=BB622_215 Depth=1
	v_bfe_u32 v59, v44, 16, 7
	v_cmp_ne_u32_e32 vcc, s11, v59
	v_mov_b32_e32 v57, 0x7f800001
	s_and_saveexec_b64 s[20:21], vcc
	s_cbranch_execz .LBB622_327
; %bb.326:                              ;   in Loop: Header=BB622_215 Depth=1
	v_and_b32_e32 v57, 7, v46
	v_ffbh_u32_e32 v60, v57
	v_min_u32_e32 v63, 32, v60
	v_subrev_u32_e32 v60, 28, v63
	v_lshlrev_b64 v[60:61], v60, v[46:47]
	v_lshrrev_b32_e32 v62, 3, v59
	v_sub_u32_e32 v61, 29, v63
	v_and_b32_e32 v60, 7, v60
	v_cmp_gt_u32_e32 vcc, 8, v59
	v_cndmask_b32_e32 v59, v62, v61, vcc
	v_cndmask_b32_e32 v57, v57, v60, vcc
	v_lshlrev_b32_e32 v46, 24, v46
	v_lshlrev_b32_e32 v57, 20, v57
	v_and_b32_e32 v46, 0x80000000, v46
	v_lshl_add_u32 v59, v59, 23, v55
	v_or3_b32 v57, v46, v59, v57
.LBB622_327:                            ;   in Loop: Header=BB622_215 Depth=1
	s_or_b64 exec, exec, s[20:21]
.LBB622_328:                            ;   in Loop: Header=BB622_215 Depth=1
	s_or_b64 exec, exec, s[18:19]
.LBB622_329:                            ;   in Loop: Header=BB622_215 Depth=1
	s_or_b64 exec, exec, s[16:17]
	v_cmp_lt_u32_e32 vcc, s22, v44
	v_mov_b32_e32 v59, 0
	v_mov_b32_e32 v60, 0
	s_and_saveexec_b64 s[16:17], vcc
	s_cbranch_execz .LBB622_335
; %bb.330:                              ;   in Loop: Header=BB622_215 Depth=1
	v_lshrrev_b32_e32 v46, 24, v44
	v_cmp_ne_u32_e32 vcc, s9, v46
	v_bfrev_b32_e32 v60, 1
	s_and_saveexec_b64 s[18:19], vcc
	s_cbranch_execz .LBB622_334
; %bb.331:                              ;   in Loop: Header=BB622_215 Depth=1
	v_bfe_u32 v44, v44, 24, 7
	v_cmp_ne_u32_e32 vcc, s11, v44
	v_mov_b32_e32 v60, 0x7f800001
	s_and_saveexec_b64 s[20:21], vcc
	s_cbranch_execz .LBB622_333
; %bb.332:                              ;   in Loop: Header=BB622_215 Depth=1
	v_and_b32_e32 v62, 7, v46
	v_ffbh_u32_e32 v60, v62
	v_min_u32_e32 v64, 32, v60
	v_subrev_u32_e32 v60, 28, v64
	v_lshlrev_b64 v[60:61], v60, v[46:47]
	v_lshrrev_b32_e32 v63, 3, v44
	v_sub_u32_e32 v61, 29, v64
	v_and_b32_e32 v60, 7, v60
	v_cmp_gt_u32_e32 vcc, 8, v44
	v_cndmask_b32_e32 v44, v63, v61, vcc
	v_cndmask_b32_e32 v60, v62, v60, vcc
	v_lshlrev_b32_e32 v46, 24, v46
	v_lshlrev_b32_e32 v60, 20, v60
	v_and_b32_e32 v46, 0x80000000, v46
	v_lshl_add_u32 v44, v44, 23, v55
	v_or3_b32 v60, v46, v44, v60
.LBB622_333:                            ;   in Loop: Header=BB622_215 Depth=1
	s_or_b64 exec, exec, s[20:21]
.LBB622_334:                            ;   in Loop: Header=BB622_215 Depth=1
	s_or_b64 exec, exec, s[18:19]
.LBB622_335:                            ;   in Loop: Header=BB622_215 Depth=1
	s_or_b64 exec, exec, s[16:17]
	s_waitcnt vmcnt(2)
	v_cmp_ne_u16_sdwa s[18:19], v42, v52 src0_sel:BYTE_0 src1_sel:DWORD
	s_and_saveexec_b64 s[16:17], s[18:19]
	s_cbranch_execz .LBB622_341
; %bb.336:                              ;   in Loop: Header=BB622_215 Depth=1
	v_cmp_ne_u16_sdwa s[20:21], v42, s9 src0_sel:BYTE_0 src1_sel:DWORD
	v_bfrev_b32_e32 v59, 1
	s_and_saveexec_b64 s[18:19], s[20:21]
	s_cbranch_execz .LBB622_340
; %bb.337:                              ;   in Loop: Header=BB622_215 Depth=1
	v_and_b32_e32 v44, 0x7f, v42
	v_cmp_ne_u32_e32 vcc, s11, v44
	v_mov_b32_e32 v59, 0x7f800001
	s_and_saveexec_b64 s[20:21], vcc
	s_cbranch_execz .LBB622_339
; %bb.338:                              ;   in Loop: Header=BB622_215 Depth=1
	v_and_b32_e32 v46, 7, v42
	v_ffbh_u32_e32 v61, v46
	v_min_u32_e32 v61, 32, v61
	v_subrev_u32_e32 v62, 28, v61
	v_lshlrev_b64 v[62:63], v62, v[42:43]
	v_lshrrev_b32_e32 v59, 3, v44
	v_sub_u32_e32 v61, 29, v61
	v_and_b32_e32 v62, 7, v62
	v_cmp_gt_u32_e32 vcc, 8, v44
	v_cndmask_b32_e32 v44, v59, v61, vcc
	v_cndmask_b32_e32 v46, v46, v62, vcc
	v_lshlrev_b32_e32 v59, 24, v42
	v_lshlrev_b32_e32 v46, 20, v46
	v_and_b32_e32 v59, 0x80000000, v59
	v_lshl_add_u32 v44, v44, 23, v55
	v_or3_b32 v59, v59, v44, v46
.LBB622_339:                            ;   in Loop: Header=BB622_215 Depth=1
	s_or_b64 exec, exec, s[20:21]
.LBB622_340:                            ;   in Loop: Header=BB622_215 Depth=1
	s_or_b64 exec, exec, s[18:19]
.LBB622_341:                            ;   in Loop: Header=BB622_215 Depth=1
	s_or_b64 exec, exec, s[16:17]
	v_lshrrev_b16_e32 v44, 8, v42
	v_cmp_ne_u16_e32 vcc, 0, v44
	v_mov_b32_e32 v61, 0
	v_mov_b32_e32 v62, 0
	s_and_saveexec_b64 s[16:17], vcc
	s_cbranch_execz .LBB622_347
; %bb.342:                              ;   in Loop: Header=BB622_215 Depth=1
	v_cmp_ne_u16_e32 vcc, s9, v44
	v_bfrev_b32_e32 v62, 1
	s_and_saveexec_b64 s[18:19], vcc
	s_cbranch_execz .LBB622_346
; %bb.343:                              ;   in Loop: Header=BB622_215 Depth=1
	v_and_b32_e32 v46, 0x7f, v44
	v_cmp_ne_u32_e32 vcc, s11, v46
	v_mov_b32_e32 v62, 0x7f800001
	s_and_saveexec_b64 s[20:21], vcc
	s_cbranch_execz .LBB622_345
; %bb.344:                              ;   in Loop: Header=BB622_215 Depth=1
	v_and_b32_e32 v64, 7, v44
	v_ffbh_u32_e32 v62, v64
	v_min_u32_e32 v66, 32, v62
	v_subrev_u32_e32 v62, 28, v66
	v_lshlrev_b64 v[62:63], v62, v[44:45]
	v_lshrrev_b32_e32 v65, 3, v46
	v_sub_u32_e32 v44, 29, v66
	v_and_b32_e32 v62, 7, v62
	v_cmp_gt_u32_e32 vcc, 8, v46
	v_cndmask_b32_e32 v44, v65, v44, vcc
	v_cndmask_b32_e32 v46, v64, v62, vcc
	v_lshlrev_b32_e32 v62, 16, v42
	v_lshlrev_b32_e32 v46, 20, v46
	v_and_b32_e32 v62, 0x80000000, v62
	v_lshl_add_u32 v44, v44, 23, v55
	v_or3_b32 v62, v62, v44, v46
.LBB622_345:                            ;   in Loop: Header=BB622_215 Depth=1
	s_or_b64 exec, exec, s[20:21]
.LBB622_346:                            ;   in Loop: Header=BB622_215 Depth=1
	s_or_b64 exec, exec, s[18:19]
.LBB622_347:                            ;   in Loop: Header=BB622_215 Depth=1
	s_or_b64 exec, exec, s[16:17]
	v_lshrrev_b32_e32 v44, 16, v42
	v_cmp_ne_u16_sdwa s[18:19], v44, v52 src0_sel:BYTE_0 src1_sel:DWORD
	s_and_saveexec_b64 s[16:17], s[18:19]
	s_cbranch_execz .LBB622_353
; %bb.348:                              ;   in Loop: Header=BB622_215 Depth=1
	v_cmp_ne_u16_sdwa s[20:21], v44, s9 src0_sel:BYTE_0 src1_sel:DWORD
	v_bfrev_b32_e32 v61, 1
	s_and_saveexec_b64 s[18:19], s[20:21]
	s_cbranch_execz .LBB622_352
; %bb.349:                              ;   in Loop: Header=BB622_215 Depth=1
	v_bfe_u32 v46, v42, 16, 7
	v_cmp_ne_u32_e32 vcc, s11, v46
	v_mov_b32_e32 v61, 0x7f800001
	s_and_saveexec_b64 s[20:21], vcc
	s_cbranch_execz .LBB622_351
; %bb.350:                              ;   in Loop: Header=BB622_215 Depth=1
	v_and_b32_e32 v61, 7, v44
	v_ffbh_u32_e32 v64, v61
	v_min_u32_e32 v66, 32, v64
	v_subrev_u32_e32 v64, 28, v66
	v_lshlrev_b64 v[64:65], v64, v[44:45]
	v_lshrrev_b32_e32 v63, 3, v46
	v_sub_u32_e32 v65, 29, v66
	v_and_b32_e32 v64, 7, v64
	v_cmp_gt_u32_e32 vcc, 8, v46
	v_cndmask_b32_e32 v46, v63, v65, vcc
	v_cndmask_b32_e32 v61, v61, v64, vcc
	v_lshlrev_b32_e32 v44, 24, v44
	v_lshlrev_b32_e32 v61, 20, v61
	v_and_b32_e32 v44, 0x80000000, v44
	v_lshl_add_u32 v46, v46, 23, v55
	v_or3_b32 v61, v44, v46, v61
.LBB622_351:                            ;   in Loop: Header=BB622_215 Depth=1
	s_or_b64 exec, exec, s[20:21]
.LBB622_352:                            ;   in Loop: Header=BB622_215 Depth=1
	s_or_b64 exec, exec, s[18:19]
.LBB622_353:                            ;   in Loop: Header=BB622_215 Depth=1
	s_or_b64 exec, exec, s[16:17]
	v_cmp_lt_u32_e32 vcc, s22, v42
	v_mov_b32_e32 v46, 0
	v_mov_b32_e32 v63, 0
	s_and_saveexec_b64 s[16:17], vcc
	s_cbranch_execz .LBB622_359
; %bb.354:                              ;   in Loop: Header=BB622_215 Depth=1
	v_lshrrev_b32_e32 v44, 24, v42
	v_cmp_ne_u32_e32 vcc, s9, v44
	v_bfrev_b32_e32 v63, 1
	s_and_saveexec_b64 s[18:19], vcc
	s_cbranch_execz .LBB622_358
; %bb.355:                              ;   in Loop: Header=BB622_215 Depth=1
	v_bfe_u32 v42, v42, 24, 7
	v_cmp_ne_u32_e32 vcc, s11, v42
	v_mov_b32_e32 v63, 0x7f800001
	s_and_saveexec_b64 s[20:21], vcc
	s_cbranch_execz .LBB622_357
; %bb.356:                              ;   in Loop: Header=BB622_215 Depth=1
	v_and_b32_e32 v63, 7, v44
	v_ffbh_u32_e32 v64, v63
	v_min_u32_e32 v67, 32, v64
	v_subrev_u32_e32 v64, 28, v67
	v_lshlrev_b64 v[64:65], v64, v[44:45]
	v_lshrrev_b32_e32 v66, 3, v42
	v_sub_u32_e32 v65, 29, v67
	v_and_b32_e32 v64, 7, v64
	v_cmp_gt_u32_e32 vcc, 8, v42
	v_cndmask_b32_e32 v42, v66, v65, vcc
	v_cndmask_b32_e32 v63, v63, v64, vcc
	v_lshlrev_b32_e32 v44, 24, v44
	v_lshlrev_b32_e32 v63, 20, v63
	v_and_b32_e32 v44, 0x80000000, v44
	v_lshl_add_u32 v42, v42, 23, v55
	v_or3_b32 v63, v44, v42, v63
.LBB622_357:                            ;   in Loop: Header=BB622_215 Depth=1
	s_or_b64 exec, exec, s[20:21]
.LBB622_358:                            ;   in Loop: Header=BB622_215 Depth=1
	s_or_b64 exec, exec, s[18:19]
.LBB622_359:                            ;   in Loop: Header=BB622_215 Depth=1
	s_or_b64 exec, exec, s[16:17]
	v_cvt_pkrtz_f16_f32 v56, v56, v58
	v_cvt_pkrtz_f16_f32 v57, v57, v60
	s_waitcnt vmcnt(1)
	v_cmp_ne_u16_sdwa s[18:19], v40, v52 src0_sel:BYTE_0 src1_sel:DWORD
	v_mfma_f32_16x16x16f16 v[34:37], v[56:57], v[10:11], v[34:37]
	v_cvt_pkrtz_f16_f32 v56, v59, v62
	v_cvt_pkrtz_f16_f32 v57, v61, v63
	s_nop 1
	v_mfma_f32_16x16x16f16 v[34:37], v[56:57], v[12:13], v[34:37]
	s_and_saveexec_b64 s[16:17], s[18:19]
	s_cbranch_execz .LBB622_365
; %bb.360:                              ;   in Loop: Header=BB622_215 Depth=1
	v_cmp_ne_u16_sdwa s[20:21], v40, s9 src0_sel:BYTE_0 src1_sel:DWORD
	v_bfrev_b32_e32 v46, 1
	s_and_saveexec_b64 s[18:19], s[20:21]
	s_cbranch_execz .LBB622_364
; %bb.361:                              ;   in Loop: Header=BB622_215 Depth=1
	v_and_b32_e32 v42, 0x7f, v40
	v_cmp_ne_u32_e32 vcc, s11, v42
	v_mov_b32_e32 v46, 0x7f800001
	s_and_saveexec_b64 s[20:21], vcc
	s_cbranch_execz .LBB622_363
; %bb.362:                              ;   in Loop: Header=BB622_215 Depth=1
	v_and_b32_e32 v44, 7, v40
	v_ffbh_u32_e32 v56, v44
	v_min_u32_e32 v58, 32, v56
	v_subrev_u32_e32 v56, 28, v58
	v_lshlrev_b64 v[56:57], v56, v[40:41]
	v_lshrrev_b32_e32 v46, 3, v42
	v_sub_u32_e32 v57, 29, v58
	v_and_b32_e32 v56, 7, v56
	v_cmp_gt_u32_e32 vcc, 8, v42
	v_cndmask_b32_e32 v42, v46, v57, vcc
	v_cndmask_b32_e32 v44, v44, v56, vcc
	v_lshlrev_b32_e32 v46, 24, v40
	v_lshlrev_b32_e32 v44, 20, v44
	v_and_b32_e32 v46, 0x80000000, v46
	v_lshl_add_u32 v42, v42, 23, v55
	v_or3_b32 v46, v46, v42, v44
.LBB622_363:                            ;   in Loop: Header=BB622_215 Depth=1
	s_or_b64 exec, exec, s[20:21]
.LBB622_364:                            ;   in Loop: Header=BB622_215 Depth=1
	s_or_b64 exec, exec, s[18:19]
.LBB622_365:                            ;   in Loop: Header=BB622_215 Depth=1
	s_or_b64 exec, exec, s[16:17]
	v_lshrrev_b16_e32 v42, 8, v40
	v_cmp_ne_u16_e32 vcc, 0, v42
	v_mov_b32_e32 v44, 0
	v_mov_b32_e32 v57, 0
	s_and_saveexec_b64 s[16:17], vcc
	s_cbranch_execz .LBB622_371
; %bb.366:                              ;   in Loop: Header=BB622_215 Depth=1
	v_cmp_ne_u16_e32 vcc, s9, v42
	v_bfrev_b32_e32 v57, 1
	s_and_saveexec_b64 s[18:19], vcc
	s_cbranch_execz .LBB622_370
; %bb.367:                              ;   in Loop: Header=BB622_215 Depth=1
	v_and_b32_e32 v56, 0x7f, v42
	v_cmp_ne_u32_e32 vcc, s11, v56
	v_mov_b32_e32 v57, 0x7f800001
	s_and_saveexec_b64 s[20:21], vcc
	s_cbranch_execz .LBB622_369
; %bb.368:                              ;   in Loop: Header=BB622_215 Depth=1
	v_and_b32_e32 v57, 7, v42
	v_ffbh_u32_e32 v58, v57
	v_min_u32_e32 v61, 32, v58
	v_subrev_u32_e32 v58, 28, v61
	v_lshlrev_b64 v[58:59], v58, v[42:43]
	v_lshrrev_b32_e32 v60, 3, v56
	v_sub_u32_e32 v42, 29, v61
	v_and_b32_e32 v58, 7, v58
	v_cmp_gt_u32_e32 vcc, 8, v56
	v_cndmask_b32_e32 v42, v60, v42, vcc
	v_cndmask_b32_e32 v56, v57, v58, vcc
	v_lshlrev_b32_e32 v57, 16, v40
	v_lshlrev_b32_e32 v56, 20, v56
	v_and_b32_e32 v57, 0x80000000, v57
	v_lshl_add_u32 v42, v42, 23, v55
	v_or3_b32 v57, v57, v42, v56
.LBB622_369:                            ;   in Loop: Header=BB622_215 Depth=1
	s_or_b64 exec, exec, s[20:21]
.LBB622_370:                            ;   in Loop: Header=BB622_215 Depth=1
	s_or_b64 exec, exec, s[18:19]
.LBB622_371:                            ;   in Loop: Header=BB622_215 Depth=1
	s_or_b64 exec, exec, s[16:17]
	v_lshrrev_b32_e32 v42, 16, v40
	v_cmp_ne_u16_sdwa s[18:19], v42, v52 src0_sel:BYTE_0 src1_sel:DWORD
	s_and_saveexec_b64 s[16:17], s[18:19]
	s_cbranch_execz .LBB622_377
; %bb.372:                              ;   in Loop: Header=BB622_215 Depth=1
	v_cmp_ne_u16_sdwa s[20:21], v42, s9 src0_sel:BYTE_0 src1_sel:DWORD
	v_bfrev_b32_e32 v44, 1
	s_and_saveexec_b64 s[18:19], s[20:21]
	s_cbranch_execz .LBB622_376
; %bb.373:                              ;   in Loop: Header=BB622_215 Depth=1
	v_bfe_u32 v56, v40, 16, 7
	v_cmp_ne_u32_e32 vcc, s11, v56
	v_mov_b32_e32 v44, 0x7f800001
	s_and_saveexec_b64 s[20:21], vcc
	s_cbranch_execz .LBB622_375
; %bb.374:                              ;   in Loop: Header=BB622_215 Depth=1
	v_and_b32_e32 v44, 7, v42
	v_ffbh_u32_e32 v58, v44
	v_min_u32_e32 v61, 32, v58
	v_subrev_u32_e32 v58, 28, v61
	v_lshlrev_b64 v[58:59], v58, v[42:43]
	v_lshrrev_b32_e32 v60, 3, v56
	v_sub_u32_e32 v59, 29, v61
	v_and_b32_e32 v58, 7, v58
	v_cmp_gt_u32_e32 vcc, 8, v56
	v_cndmask_b32_e32 v56, v60, v59, vcc
	v_cndmask_b32_e32 v44, v44, v58, vcc
	v_lshlrev_b32_e32 v42, 24, v42
	v_lshlrev_b32_e32 v44, 20, v44
	v_and_b32_e32 v42, 0x80000000, v42
	v_lshl_add_u32 v56, v56, 23, v55
	v_or3_b32 v44, v42, v56, v44
.LBB622_375:                            ;   in Loop: Header=BB622_215 Depth=1
	s_or_b64 exec, exec, s[20:21]
.LBB622_376:                            ;   in Loop: Header=BB622_215 Depth=1
	s_or_b64 exec, exec, s[18:19]
.LBB622_377:                            ;   in Loop: Header=BB622_215 Depth=1
	s_or_b64 exec, exec, s[16:17]
	v_cmp_lt_u32_e32 vcc, s22, v40
	v_mov_b32_e32 v58, 0
	v_mov_b32_e32 v59, 0
	s_and_saveexec_b64 s[16:17], vcc
	s_cbranch_execz .LBB622_383
; %bb.378:                              ;   in Loop: Header=BB622_215 Depth=1
	v_lshrrev_b32_e32 v42, 24, v40
	v_cmp_ne_u32_e32 vcc, s9, v42
	v_bfrev_b32_e32 v59, 1
	s_and_saveexec_b64 s[18:19], vcc
	s_cbranch_execz .LBB622_382
; %bb.379:                              ;   in Loop: Header=BB622_215 Depth=1
	v_bfe_u32 v40, v40, 24, 7
	v_cmp_ne_u32_e32 vcc, s11, v40
	v_mov_b32_e32 v59, 0x7f800001
	s_and_saveexec_b64 s[20:21], vcc
	s_cbranch_execz .LBB622_381
; %bb.380:                              ;   in Loop: Header=BB622_215 Depth=1
	v_and_b32_e32 v56, 7, v42
	v_ffbh_u32_e32 v60, v56
	v_min_u32_e32 v62, 32, v60
	v_subrev_u32_e32 v60, 28, v62
	v_lshlrev_b64 v[60:61], v60, v[42:43]
	v_lshrrev_b32_e32 v59, 3, v40
	v_sub_u32_e32 v61, 29, v62
	v_and_b32_e32 v60, 7, v60
	v_cmp_gt_u32_e32 vcc, 8, v40
	v_cndmask_b32_e32 v40, v59, v61, vcc
	v_cndmask_b32_e32 v56, v56, v60, vcc
	v_lshlrev_b32_e32 v42, 24, v42
	v_lshlrev_b32_e32 v56, 20, v56
	v_and_b32_e32 v42, 0x80000000, v42
	v_lshl_add_u32 v40, v40, 23, v55
	v_or3_b32 v59, v42, v40, v56
.LBB622_381:                            ;   in Loop: Header=BB622_215 Depth=1
	s_or_b64 exec, exec, s[20:21]
.LBB622_382:                            ;   in Loop: Header=BB622_215 Depth=1
	s_or_b64 exec, exec, s[18:19]
.LBB622_383:                            ;   in Loop: Header=BB622_215 Depth=1
	s_or_b64 exec, exec, s[16:17]
	s_waitcnt vmcnt(0)
	v_cmp_ne_u16_sdwa s[18:19], v38, v52 src0_sel:BYTE_0 src1_sel:DWORD
	s_and_saveexec_b64 s[16:17], s[18:19]
	s_cbranch_execz .LBB622_389
; %bb.384:                              ;   in Loop: Header=BB622_215 Depth=1
	v_cmp_ne_u16_sdwa s[20:21], v38, s9 src0_sel:BYTE_0 src1_sel:DWORD
	v_bfrev_b32_e32 v58, 1
	s_and_saveexec_b64 s[18:19], s[20:21]
	s_cbranch_execz .LBB622_388
; %bb.385:                              ;   in Loop: Header=BB622_215 Depth=1
	v_and_b32_e32 v40, 0x7f, v38
	v_cmp_ne_u32_e32 vcc, s11, v40
	v_mov_b32_e32 v58, 0x7f800001
	s_and_saveexec_b64 s[20:21], vcc
	s_cbranch_execz .LBB622_387
; %bb.386:                              ;   in Loop: Header=BB622_215 Depth=1
	v_and_b32_e32 v42, 7, v38
	v_ffbh_u32_e32 v58, v42
	v_min_u32_e32 v58, 32, v58
	v_subrev_u32_e32 v60, 28, v58
	v_lshlrev_b64 v[60:61], v60, v[38:39]
	v_lshrrev_b32_e32 v56, 3, v40
	v_sub_u32_e32 v58, 29, v58
	v_and_b32_e32 v60, 7, v60
	v_cmp_gt_u32_e32 vcc, 8, v40
	v_cndmask_b32_e32 v40, v56, v58, vcc
	v_cndmask_b32_e32 v42, v42, v60, vcc
	v_lshlrev_b32_e32 v56, 24, v38
	v_lshlrev_b32_e32 v42, 20, v42
	v_and_b32_e32 v56, 0x80000000, v56
	v_lshl_add_u32 v40, v40, 23, v55
	v_or3_b32 v58, v56, v40, v42
.LBB622_387:                            ;   in Loop: Header=BB622_215 Depth=1
	s_or_b64 exec, exec, s[20:21]
.LBB622_388:                            ;   in Loop: Header=BB622_215 Depth=1
	s_or_b64 exec, exec, s[18:19]
.LBB622_389:                            ;   in Loop: Header=BB622_215 Depth=1
	s_or_b64 exec, exec, s[16:17]
	v_lshrrev_b16_e32 v40, 8, v38
	v_cmp_ne_u16_e32 vcc, 0, v40
	v_mov_b32_e32 v60, 0
	v_mov_b32_e32 v61, 0
	s_and_saveexec_b64 s[16:17], vcc
	s_cbranch_execz .LBB622_395
; %bb.390:                              ;   in Loop: Header=BB622_215 Depth=1
	v_cmp_ne_u16_e32 vcc, s9, v40
	v_bfrev_b32_e32 v61, 1
	s_and_saveexec_b64 s[18:19], vcc
	s_cbranch_execz .LBB622_394
; %bb.391:                              ;   in Loop: Header=BB622_215 Depth=1
	v_and_b32_e32 v42, 0x7f, v40
	v_cmp_ne_u32_e32 vcc, s11, v42
	v_mov_b32_e32 v61, 0x7f800001
	s_and_saveexec_b64 s[20:21], vcc
	s_cbranch_execz .LBB622_393
; %bb.392:                              ;   in Loop: Header=BB622_215 Depth=1
	v_and_b32_e32 v56, 7, v40
	v_ffbh_u32_e32 v62, v56
	v_min_u32_e32 v64, 32, v62
	v_subrev_u32_e32 v62, 28, v64
	v_lshlrev_b64 v[62:63], v62, v[40:41]
	v_lshrrev_b32_e32 v61, 3, v42
	v_sub_u32_e32 v40, 29, v64
	v_and_b32_e32 v62, 7, v62
	v_cmp_gt_u32_e32 vcc, 8, v42
	v_cndmask_b32_e32 v40, v61, v40, vcc
	v_cndmask_b32_e32 v42, v56, v62, vcc
	v_lshlrev_b32_e32 v56, 16, v38
	v_lshlrev_b32_e32 v42, 20, v42
	v_and_b32_e32 v56, 0x80000000, v56
	v_lshl_add_u32 v40, v40, 23, v55
	v_or3_b32 v61, v56, v40, v42
.LBB622_393:                            ;   in Loop: Header=BB622_215 Depth=1
	s_or_b64 exec, exec, s[20:21]
.LBB622_394:                            ;   in Loop: Header=BB622_215 Depth=1
	s_or_b64 exec, exec, s[18:19]
.LBB622_395:                            ;   in Loop: Header=BB622_215 Depth=1
	s_or_b64 exec, exec, s[16:17]
	v_lshrrev_b32_e32 v40, 16, v38
	v_cmp_ne_u16_sdwa s[18:19], v40, v52 src0_sel:BYTE_0 src1_sel:DWORD
	s_and_saveexec_b64 s[16:17], s[18:19]
	s_cbranch_execz .LBB622_401
; %bb.396:                              ;   in Loop: Header=BB622_215 Depth=1
	v_cmp_ne_u16_sdwa s[20:21], v40, s9 src0_sel:BYTE_0 src1_sel:DWORD
	v_bfrev_b32_e32 v60, 1
	s_and_saveexec_b64 s[18:19], s[20:21]
	s_cbranch_execz .LBB622_400
; %bb.397:                              ;   in Loop: Header=BB622_215 Depth=1
	v_bfe_u32 v42, v38, 16, 7
	v_cmp_ne_u32_e32 vcc, s11, v42
	v_mov_b32_e32 v60, 0x7f800001
	s_and_saveexec_b64 s[20:21], vcc
	s_cbranch_execz .LBB622_399
; %bb.398:                              ;   in Loop: Header=BB622_215 Depth=1
	v_and_b32_e32 v56, 7, v40
	v_ffbh_u32_e32 v62, v56
	v_min_u32_e32 v64, 32, v62
	v_subrev_u32_e32 v62, 28, v64
	v_lshlrev_b64 v[62:63], v62, v[40:41]
	v_lshrrev_b32_e32 v60, 3, v42
	v_sub_u32_e32 v63, 29, v64
	v_and_b32_e32 v62, 7, v62
	v_cmp_gt_u32_e32 vcc, 8, v42
	v_cndmask_b32_e32 v42, v60, v63, vcc
	v_cndmask_b32_e32 v56, v56, v62, vcc
	v_lshlrev_b32_e32 v40, 24, v40
	v_lshlrev_b32_e32 v56, 20, v56
	v_and_b32_e32 v40, 0x80000000, v40
	v_lshl_add_u32 v42, v42, 23, v55
	v_or3_b32 v60, v40, v42, v56
.LBB622_399:                            ;   in Loop: Header=BB622_215 Depth=1
	s_or_b64 exec, exec, s[20:21]
.LBB622_400:                            ;   in Loop: Header=BB622_215 Depth=1
	s_or_b64 exec, exec, s[18:19]
.LBB622_401:                            ;   in Loop: Header=BB622_215 Depth=1
	s_or_b64 exec, exec, s[16:17]
	v_cmp_lt_u32_e32 vcc, s22, v38
	v_mov_b32_e32 v56, 0
	v_mov_b32_e32 v62, 0
	s_and_saveexec_b64 s[16:17], vcc
	s_cbranch_execz .LBB622_407
; %bb.402:                              ;   in Loop: Header=BB622_215 Depth=1
	v_lshrrev_b32_e32 v40, 24, v38
	v_cmp_ne_u32_e32 vcc, s9, v40
	v_bfrev_b32_e32 v62, 1
	s_and_saveexec_b64 s[18:19], vcc
	s_cbranch_execz .LBB622_406
; %bb.403:                              ;   in Loop: Header=BB622_215 Depth=1
	v_bfe_u32 v38, v38, 24, 7
	v_cmp_ne_u32_e32 vcc, s11, v38
	v_mov_b32_e32 v62, 0x7f800001
	s_and_saveexec_b64 s[20:21], vcc
	s_cbranch_execz .LBB622_405
; %bb.404:                              ;   in Loop: Header=BB622_215 Depth=1
	v_and_b32_e32 v42, 7, v40
	v_ffbh_u32_e32 v62, v42
	v_min_u32_e32 v65, 32, v62
	v_subrev_u32_e32 v62, 28, v65
	v_lshlrev_b64 v[62:63], v62, v[40:41]
	v_lshrrev_b32_e32 v64, 3, v38
	v_sub_u32_e32 v63, 29, v65
	v_and_b32_e32 v62, 7, v62
	v_cmp_gt_u32_e32 vcc, 8, v38
	v_cndmask_b32_e32 v38, v64, v63, vcc
	v_cndmask_b32_e32 v42, v42, v62, vcc
	v_lshlrev_b32_e32 v40, 24, v40
	v_lshlrev_b32_e32 v42, 20, v42
	v_and_b32_e32 v40, 0x80000000, v40
	v_lshl_add_u32 v38, v38, 23, v55
	v_or3_b32 v62, v40, v38, v42
.LBB622_405:                            ;   in Loop: Header=BB622_215 Depth=1
	s_or_b64 exec, exec, s[20:21]
.LBB622_406:                            ;   in Loop: Header=BB622_215 Depth=1
	s_or_b64 exec, exec, s[18:19]
.LBB622_407:                            ;   in Loop: Header=BB622_215 Depth=1
	s_or_b64 exec, exec, s[16:17]
	v_cvt_pkrtz_f16_f32 v65, v44, v59
	buffer_load_dword v44, v51, s[0:3], 0 offen
	buffer_load_dword v42, v51, s[0:3], 0 offen offset:4
	buffer_load_dword v40, v51, s[0:3], 0 offen offset:8
	;; [unrolled: 1-line block ×3, first 2 shown]
	v_cvt_pkrtz_f16_f32 v64, v46, v57
	v_cvt_pkrtz_f16_f32 v58, v58, v61
	;; [unrolled: 1-line block ×3, first 2 shown]
	v_mfma_f32_16x16x16f16 v[34:37], v[64:65], v[14:15], v[34:37]
	s_waitcnt vmcnt(3)
	v_cmp_ne_u16_sdwa s[18:19], v44, v52 src0_sel:BYTE_0 src1_sel:DWORD
	v_mfma_f32_16x16x16f16 v[34:37], v[58:59], v[16:17], v[34:37]
	s_and_saveexec_b64 s[16:17], s[18:19]
	s_cbranch_execz .LBB622_413
; %bb.408:                              ;   in Loop: Header=BB622_215 Depth=1
	v_cmp_ne_u16_sdwa s[20:21], v44, s9 src0_sel:BYTE_0 src1_sel:DWORD
	v_bfrev_b32_e32 v56, 1
	s_and_saveexec_b64 s[18:19], s[20:21]
	s_cbranch_execz .LBB622_412
; %bb.409:                              ;   in Loop: Header=BB622_215 Depth=1
	v_and_b32_e32 v46, 0x7f, v44
	v_cmp_ne_u32_e32 vcc, s11, v46
	v_mov_b32_e32 v56, 0x7f800001
	s_and_saveexec_b64 s[20:21], vcc
	s_cbranch_execz .LBB622_411
; %bb.410:                              ;   in Loop: Header=BB622_215 Depth=1
	v_and_b32_e32 v51, 7, v44
	v_ffbh_u32_e32 v56, v51
	v_min_u32_e32 v59, 32, v56
	v_subrev_u32_e32 v56, 28, v59
	v_lshlrev_b64 v[56:57], v56, v[44:45]
	v_lshrrev_b32_e32 v58, 3, v46
	v_sub_u32_e32 v57, 29, v59
	v_and_b32_e32 v56, 7, v56
	v_cmp_gt_u32_e32 vcc, 8, v46
	v_cndmask_b32_e32 v46, v58, v57, vcc
	v_cndmask_b32_e32 v51, v51, v56, vcc
	v_lshlrev_b32_e32 v56, 24, v44
	v_lshlrev_b32_e32 v51, 20, v51
	v_and_b32_e32 v56, 0x80000000, v56
	v_lshl_add_u32 v46, v46, 23, v55
	v_or3_b32 v56, v56, v46, v51
.LBB622_411:                            ;   in Loop: Header=BB622_215 Depth=1
	s_or_b64 exec, exec, s[20:21]
.LBB622_412:                            ;   in Loop: Header=BB622_215 Depth=1
	s_or_b64 exec, exec, s[18:19]
.LBB622_413:                            ;   in Loop: Header=BB622_215 Depth=1
	s_or_b64 exec, exec, s[16:17]
	v_lshrrev_b16_e32 v46, 8, v44
	v_cmp_ne_u16_e32 vcc, 0, v46
	v_mov_b32_e32 v51, 0
	v_mov_b32_e32 v57, 0
	s_and_saveexec_b64 s[16:17], vcc
	s_cbranch_execz .LBB622_419
; %bb.414:                              ;   in Loop: Header=BB622_215 Depth=1
	v_cmp_ne_u16_e32 vcc, s9, v46
	v_bfrev_b32_e32 v57, 1
	s_and_saveexec_b64 s[18:19], vcc
	s_cbranch_execz .LBB622_418
; %bb.415:                              ;   in Loop: Header=BB622_215 Depth=1
	v_and_b32_e32 v58, 0x7f, v46
	v_cmp_ne_u32_e32 vcc, s11, v58
	v_mov_b32_e32 v57, 0x7f800001
	s_and_saveexec_b64 s[20:21], vcc
	s_cbranch_execz .LBB622_417
; %bb.416:                              ;   in Loop: Header=BB622_215 Depth=1
	v_and_b32_e32 v57, 7, v46
	v_ffbh_u32_e32 v60, v57
	v_min_u32_e32 v62, 32, v60
	v_subrev_u32_e32 v60, 28, v62
	v_lshlrev_b64 v[60:61], v60, v[46:47]
	v_lshrrev_b32_e32 v59, 3, v58
	v_sub_u32_e32 v46, 29, v62
	v_and_b32_e32 v60, 7, v60
	v_cmp_gt_u32_e32 vcc, 8, v58
	v_cndmask_b32_e32 v46, v59, v46, vcc
	v_cndmask_b32_e32 v57, v57, v60, vcc
	v_lshlrev_b32_e32 v58, 16, v44
	v_lshlrev_b32_e32 v57, 20, v57
	v_and_b32_e32 v58, 0x80000000, v58
	v_lshl_add_u32 v46, v46, 23, v55
	v_or3_b32 v57, v58, v46, v57
.LBB622_417:                            ;   in Loop: Header=BB622_215 Depth=1
	s_or_b64 exec, exec, s[20:21]
.LBB622_418:                            ;   in Loop: Header=BB622_215 Depth=1
	s_or_b64 exec, exec, s[18:19]
.LBB622_419:                            ;   in Loop: Header=BB622_215 Depth=1
	s_or_b64 exec, exec, s[16:17]
	v_lshrrev_b32_e32 v46, 16, v44
	v_cmp_ne_u16_sdwa s[18:19], v46, v52 src0_sel:BYTE_0 src1_sel:DWORD
	s_and_saveexec_b64 s[16:17], s[18:19]
	s_cbranch_execz .LBB622_425
; %bb.420:                              ;   in Loop: Header=BB622_215 Depth=1
	v_cmp_ne_u16_sdwa s[20:21], v46, s9 src0_sel:BYTE_0 src1_sel:DWORD
	v_bfrev_b32_e32 v51, 1
	s_and_saveexec_b64 s[18:19], s[20:21]
	s_cbranch_execz .LBB622_424
; %bb.421:                              ;   in Loop: Header=BB622_215 Depth=1
	v_bfe_u32 v58, v44, 16, 7
	v_cmp_ne_u32_e32 vcc, s11, v58
	v_mov_b32_e32 v51, 0x7f800001
	s_and_saveexec_b64 s[20:21], vcc
	s_cbranch_execz .LBB622_423
; %bb.422:                              ;   in Loop: Header=BB622_215 Depth=1
	v_and_b32_e32 v51, 7, v46
	v_ffbh_u32_e32 v60, v51
	v_min_u32_e32 v62, 32, v60
	v_subrev_u32_e32 v60, 28, v62
	v_lshlrev_b64 v[60:61], v60, v[46:47]
	v_lshrrev_b32_e32 v59, 3, v58
	v_sub_u32_e32 v61, 29, v62
	v_and_b32_e32 v60, 7, v60
	v_cmp_gt_u32_e32 vcc, 8, v58
	v_cndmask_b32_e32 v58, v59, v61, vcc
	v_cndmask_b32_e32 v51, v51, v60, vcc
	v_lshlrev_b32_e32 v46, 24, v46
	v_lshlrev_b32_e32 v51, 20, v51
	v_and_b32_e32 v46, 0x80000000, v46
	v_lshl_add_u32 v58, v58, 23, v55
	v_or3_b32 v51, v46, v58, v51
.LBB622_423:                            ;   in Loop: Header=BB622_215 Depth=1
	s_or_b64 exec, exec, s[20:21]
.LBB622_424:                            ;   in Loop: Header=BB622_215 Depth=1
	s_or_b64 exec, exec, s[18:19]
.LBB622_425:                            ;   in Loop: Header=BB622_215 Depth=1
	s_or_b64 exec, exec, s[16:17]
	v_cmp_lt_u32_e32 vcc, s22, v44
	v_mov_b32_e32 v58, 0
	v_mov_b32_e32 v59, 0
	s_and_saveexec_b64 s[16:17], vcc
	s_cbranch_execz .LBB622_431
; %bb.426:                              ;   in Loop: Header=BB622_215 Depth=1
	v_lshrrev_b32_e32 v46, 24, v44
	v_cmp_ne_u32_e32 vcc, s9, v46
	v_bfrev_b32_e32 v59, 1
	s_and_saveexec_b64 s[18:19], vcc
	s_cbranch_execz .LBB622_430
; %bb.427:                              ;   in Loop: Header=BB622_215 Depth=1
	v_bfe_u32 v44, v44, 24, 7
	v_cmp_ne_u32_e32 vcc, s11, v44
	v_mov_b32_e32 v59, 0x7f800001
	s_and_saveexec_b64 s[20:21], vcc
	s_cbranch_execz .LBB622_429
; %bb.428:                              ;   in Loop: Header=BB622_215 Depth=1
	v_and_b32_e32 v59, 7, v46
	v_ffbh_u32_e32 v60, v59
	v_min_u32_e32 v63, 32, v60
	v_subrev_u32_e32 v60, 28, v63
	v_lshlrev_b64 v[60:61], v60, v[46:47]
	v_lshrrev_b32_e32 v62, 3, v44
	v_sub_u32_e32 v61, 29, v63
	v_and_b32_e32 v60, 7, v60
	v_cmp_gt_u32_e32 vcc, 8, v44
	v_cndmask_b32_e32 v44, v62, v61, vcc
	v_cndmask_b32_e32 v59, v59, v60, vcc
	v_lshlrev_b32_e32 v46, 24, v46
	v_lshlrev_b32_e32 v59, 20, v59
	v_and_b32_e32 v46, 0x80000000, v46
	v_lshl_add_u32 v44, v44, 23, v55
	v_or3_b32 v59, v46, v44, v59
.LBB622_429:                            ;   in Loop: Header=BB622_215 Depth=1
	s_or_b64 exec, exec, s[20:21]
.LBB622_430:                            ;   in Loop: Header=BB622_215 Depth=1
	s_or_b64 exec, exec, s[18:19]
.LBB622_431:                            ;   in Loop: Header=BB622_215 Depth=1
	s_or_b64 exec, exec, s[16:17]
	s_waitcnt vmcnt(2)
	v_cmp_ne_u16_sdwa s[18:19], v42, v52 src0_sel:BYTE_0 src1_sel:DWORD
	s_and_saveexec_b64 s[16:17], s[18:19]
	s_cbranch_execz .LBB622_437
; %bb.432:                              ;   in Loop: Header=BB622_215 Depth=1
	v_cmp_ne_u16_sdwa s[20:21], v42, s9 src0_sel:BYTE_0 src1_sel:DWORD
	v_bfrev_b32_e32 v58, 1
	s_and_saveexec_b64 s[18:19], s[20:21]
	s_cbranch_execz .LBB622_436
; %bb.433:                              ;   in Loop: Header=BB622_215 Depth=1
	v_and_b32_e32 v44, 0x7f, v42
	v_cmp_ne_u32_e32 vcc, s11, v44
	v_mov_b32_e32 v58, 0x7f800001
	s_and_saveexec_b64 s[20:21], vcc
	s_cbranch_execz .LBB622_435
; %bb.434:                              ;   in Loop: Header=BB622_215 Depth=1
	v_and_b32_e32 v46, 7, v42
	v_ffbh_u32_e32 v60, v46
	v_min_u32_e32 v62, 32, v60
	v_subrev_u32_e32 v60, 28, v62
	v_lshlrev_b64 v[60:61], v60, v[42:43]
	v_lshrrev_b32_e32 v58, 3, v44
	v_sub_u32_e32 v61, 29, v62
	v_and_b32_e32 v60, 7, v60
	v_cmp_gt_u32_e32 vcc, 8, v44
	v_cndmask_b32_e32 v44, v58, v61, vcc
	v_cndmask_b32_e32 v46, v46, v60, vcc
	v_lshlrev_b32_e32 v58, 24, v42
	v_lshlrev_b32_e32 v46, 20, v46
	v_and_b32_e32 v58, 0x80000000, v58
	v_lshl_add_u32 v44, v44, 23, v55
	v_or3_b32 v58, v58, v44, v46
.LBB622_435:                            ;   in Loop: Header=BB622_215 Depth=1
	s_or_b64 exec, exec, s[20:21]
.LBB622_436:                            ;   in Loop: Header=BB622_215 Depth=1
	s_or_b64 exec, exec, s[18:19]
.LBB622_437:                            ;   in Loop: Header=BB622_215 Depth=1
	s_or_b64 exec, exec, s[16:17]
	v_lshrrev_b16_e32 v44, 8, v42
	v_cmp_ne_u16_e32 vcc, 0, v44
	v_mov_b32_e32 v60, 0
	v_mov_b32_e32 v61, 0
	s_and_saveexec_b64 s[16:17], vcc
	s_cbranch_execz .LBB622_443
; %bb.438:                              ;   in Loop: Header=BB622_215 Depth=1
	v_cmp_ne_u16_e32 vcc, s9, v44
	v_bfrev_b32_e32 v61, 1
	s_and_saveexec_b64 s[18:19], vcc
	s_cbranch_execz .LBB622_442
; %bb.439:                              ;   in Loop: Header=BB622_215 Depth=1
	v_and_b32_e32 v46, 0x7f, v44
	v_cmp_ne_u32_e32 vcc, s11, v46
	v_mov_b32_e32 v61, 0x7f800001
	s_and_saveexec_b64 s[20:21], vcc
	s_cbranch_execz .LBB622_441
; %bb.440:                              ;   in Loop: Header=BB622_215 Depth=1
	v_and_b32_e32 v61, 7, v44
	v_ffbh_u32_e32 v62, v61
	v_min_u32_e32 v65, 32, v62
	v_subrev_u32_e32 v62, 28, v65
	v_lshlrev_b64 v[62:63], v62, v[44:45]
	v_lshrrev_b32_e32 v64, 3, v46
	v_sub_u32_e32 v44, 29, v65
	v_and_b32_e32 v62, 7, v62
	v_cmp_gt_u32_e32 vcc, 8, v46
	v_cndmask_b32_e32 v44, v64, v44, vcc
	v_cndmask_b32_e32 v46, v61, v62, vcc
	v_lshlrev_b32_e32 v61, 16, v42
	v_lshlrev_b32_e32 v46, 20, v46
	v_and_b32_e32 v61, 0x80000000, v61
	v_lshl_add_u32 v44, v44, 23, v55
	v_or3_b32 v61, v61, v44, v46
.LBB622_441:                            ;   in Loop: Header=BB622_215 Depth=1
	s_or_b64 exec, exec, s[20:21]
.LBB622_442:                            ;   in Loop: Header=BB622_215 Depth=1
	s_or_b64 exec, exec, s[18:19]
.LBB622_443:                            ;   in Loop: Header=BB622_215 Depth=1
	s_or_b64 exec, exec, s[16:17]
	v_lshrrev_b32_e32 v44, 16, v42
	v_cmp_ne_u16_sdwa s[18:19], v44, v52 src0_sel:BYTE_0 src1_sel:DWORD
	s_and_saveexec_b64 s[16:17], s[18:19]
	s_cbranch_execz .LBB622_449
; %bb.444:                              ;   in Loop: Header=BB622_215 Depth=1
	v_cmp_ne_u16_sdwa s[20:21], v44, s9 src0_sel:BYTE_0 src1_sel:DWORD
	v_bfrev_b32_e32 v60, 1
	s_and_saveexec_b64 s[18:19], s[20:21]
	s_cbranch_execz .LBB622_448
; %bb.445:                              ;   in Loop: Header=BB622_215 Depth=1
	v_bfe_u32 v46, v42, 16, 7
	v_cmp_ne_u32_e32 vcc, s11, v46
	v_mov_b32_e32 v60, 0x7f800001
	s_and_saveexec_b64 s[20:21], vcc
	s_cbranch_execz .LBB622_447
; %bb.446:                              ;   in Loop: Header=BB622_215 Depth=1
	v_and_b32_e32 v60, 7, v44
	v_ffbh_u32_e32 v62, v60
	v_min_u32_e32 v65, 32, v62
	v_subrev_u32_e32 v62, 28, v65
	v_lshlrev_b64 v[62:63], v62, v[44:45]
	v_lshrrev_b32_e32 v64, 3, v46
	v_sub_u32_e32 v63, 29, v65
	v_and_b32_e32 v62, 7, v62
	v_cmp_gt_u32_e32 vcc, 8, v46
	v_cndmask_b32_e32 v46, v64, v63, vcc
	v_cndmask_b32_e32 v60, v60, v62, vcc
	v_lshlrev_b32_e32 v44, 24, v44
	v_lshlrev_b32_e32 v60, 20, v60
	v_and_b32_e32 v44, 0x80000000, v44
	v_lshl_add_u32 v46, v46, 23, v55
	v_or3_b32 v60, v44, v46, v60
.LBB622_447:                            ;   in Loop: Header=BB622_215 Depth=1
	s_or_b64 exec, exec, s[20:21]
.LBB622_448:                            ;   in Loop: Header=BB622_215 Depth=1
	s_or_b64 exec, exec, s[18:19]
.LBB622_449:                            ;   in Loop: Header=BB622_215 Depth=1
	s_or_b64 exec, exec, s[16:17]
	v_cmp_lt_u32_e32 vcc, s22, v42
	v_mov_b32_e32 v46, 0
	v_mov_b32_e32 v62, 0
	s_and_saveexec_b64 s[16:17], vcc
	s_cbranch_execz .LBB622_455
; %bb.450:                              ;   in Loop: Header=BB622_215 Depth=1
	v_lshrrev_b32_e32 v44, 24, v42
	v_cmp_ne_u32_e32 vcc, s9, v44
	v_bfrev_b32_e32 v62, 1
	s_and_saveexec_b64 s[18:19], vcc
	s_cbranch_execz .LBB622_454
; %bb.451:                              ;   in Loop: Header=BB622_215 Depth=1
	v_bfe_u32 v42, v42, 24, 7
	v_cmp_ne_u32_e32 vcc, s11, v42
	v_mov_b32_e32 v62, 0x7f800001
	s_and_saveexec_b64 s[20:21], vcc
	s_cbranch_execz .LBB622_453
; %bb.452:                              ;   in Loop: Header=BB622_215 Depth=1
	v_and_b32_e32 v64, 7, v44
	v_ffbh_u32_e32 v62, v64
	v_min_u32_e32 v66, 32, v62
	v_subrev_u32_e32 v62, 28, v66
	v_lshlrev_b64 v[62:63], v62, v[44:45]
	v_lshrrev_b32_e32 v65, 3, v42
	v_sub_u32_e32 v63, 29, v66
	v_and_b32_e32 v62, 7, v62
	v_cmp_gt_u32_e32 vcc, 8, v42
	v_cndmask_b32_e32 v42, v65, v63, vcc
	v_cndmask_b32_e32 v62, v64, v62, vcc
	v_lshlrev_b32_e32 v44, 24, v44
	v_lshlrev_b32_e32 v62, 20, v62
	v_and_b32_e32 v44, 0x80000000, v44
	v_lshl_add_u32 v42, v42, 23, v55
	v_or3_b32 v62, v44, v42, v62
.LBB622_453:                            ;   in Loop: Header=BB622_215 Depth=1
	s_or_b64 exec, exec, s[20:21]
.LBB622_454:                            ;   in Loop: Header=BB622_215 Depth=1
	s_or_b64 exec, exec, s[18:19]
.LBB622_455:                            ;   in Loop: Header=BB622_215 Depth=1
	s_or_b64 exec, exec, s[16:17]
	v_cvt_pkrtz_f16_f32 v56, v56, v57
	v_cvt_pkrtz_f16_f32 v57, v51, v59
	s_waitcnt vmcnt(1)
	v_cmp_ne_u16_sdwa s[18:19], v40, v52 src0_sel:BYTE_0 src1_sel:DWORD
	v_mfma_f32_16x16x16f16 v[34:37], v[56:57], v[18:19], v[34:37]
	v_cvt_pkrtz_f16_f32 v56, v58, v61
	v_cvt_pkrtz_f16_f32 v57, v60, v62
	s_nop 1
	v_mfma_f32_16x16x16f16 v[34:37], v[56:57], v[20:21], v[34:37]
	s_and_saveexec_b64 s[16:17], s[18:19]
	s_cbranch_execz .LBB622_461
; %bb.456:                              ;   in Loop: Header=BB622_215 Depth=1
	v_cmp_ne_u16_sdwa s[20:21], v40, s9 src0_sel:BYTE_0 src1_sel:DWORD
	v_bfrev_b32_e32 v46, 1
	s_and_saveexec_b64 s[18:19], s[20:21]
	s_cbranch_execz .LBB622_460
; %bb.457:                              ;   in Loop: Header=BB622_215 Depth=1
	v_and_b32_e32 v42, 0x7f, v40
	v_cmp_ne_u32_e32 vcc, s11, v42
	v_mov_b32_e32 v46, 0x7f800001
	s_and_saveexec_b64 s[20:21], vcc
	s_cbranch_execz .LBB622_459
; %bb.458:                              ;   in Loop: Header=BB622_215 Depth=1
	v_and_b32_e32 v44, 7, v40
	v_ffbh_u32_e32 v51, v44
	v_min_u32_e32 v51, 32, v51
	v_subrev_u32_e32 v56, 28, v51
	v_lshlrev_b64 v[56:57], v56, v[40:41]
	v_lshrrev_b32_e32 v46, 3, v42
	v_sub_u32_e32 v51, 29, v51
	v_and_b32_e32 v56, 7, v56
	v_cmp_gt_u32_e32 vcc, 8, v42
	v_cndmask_b32_e32 v42, v46, v51, vcc
	v_cndmask_b32_e32 v44, v44, v56, vcc
	v_lshlrev_b32_e32 v46, 24, v40
	v_lshlrev_b32_e32 v44, 20, v44
	v_and_b32_e32 v46, 0x80000000, v46
	v_lshl_add_u32 v42, v42, 23, v55
	v_or3_b32 v46, v46, v42, v44
.LBB622_459:                            ;   in Loop: Header=BB622_215 Depth=1
	s_or_b64 exec, exec, s[20:21]
.LBB622_460:                            ;   in Loop: Header=BB622_215 Depth=1
	s_or_b64 exec, exec, s[18:19]
.LBB622_461:                            ;   in Loop: Header=BB622_215 Depth=1
	s_or_b64 exec, exec, s[16:17]
	v_lshrrev_b16_e32 v42, 8, v40
	v_cmp_ne_u16_e32 vcc, 0, v42
	v_mov_b32_e32 v44, 0
	v_mov_b32_e32 v56, 0
	s_and_saveexec_b64 s[16:17], vcc
	s_cbranch_execz .LBB622_467
; %bb.462:                              ;   in Loop: Header=BB622_215 Depth=1
	v_cmp_ne_u16_e32 vcc, s9, v42
	v_bfrev_b32_e32 v56, 1
	s_and_saveexec_b64 s[18:19], vcc
	s_cbranch_execz .LBB622_466
; %bb.463:                              ;   in Loop: Header=BB622_215 Depth=1
	v_and_b32_e32 v51, 0x7f, v42
	v_cmp_ne_u32_e32 vcc, s11, v51
	v_mov_b32_e32 v56, 0x7f800001
	s_and_saveexec_b64 s[20:21], vcc
	s_cbranch_execz .LBB622_465
; %bb.464:                              ;   in Loop: Header=BB622_215 Depth=1
	v_and_b32_e32 v58, 7, v42
	v_ffbh_u32_e32 v56, v58
	v_min_u32_e32 v60, 32, v56
	v_subrev_u32_e32 v56, 28, v60
	v_lshlrev_b64 v[56:57], v56, v[42:43]
	v_lshrrev_b32_e32 v59, 3, v51
	v_sub_u32_e32 v42, 29, v60
	v_and_b32_e32 v56, 7, v56
	v_cmp_gt_u32_e32 vcc, 8, v51
	v_cndmask_b32_e32 v42, v59, v42, vcc
	v_cndmask_b32_e32 v51, v58, v56, vcc
	v_lshlrev_b32_e32 v56, 16, v40
	v_lshlrev_b32_e32 v51, 20, v51
	v_and_b32_e32 v56, 0x80000000, v56
	v_lshl_add_u32 v42, v42, 23, v55
	v_or3_b32 v56, v56, v42, v51
.LBB622_465:                            ;   in Loop: Header=BB622_215 Depth=1
	s_or_b64 exec, exec, s[20:21]
.LBB622_466:                            ;   in Loop: Header=BB622_215 Depth=1
	s_or_b64 exec, exec, s[18:19]
.LBB622_467:                            ;   in Loop: Header=BB622_215 Depth=1
	s_or_b64 exec, exec, s[16:17]
	v_lshrrev_b32_e32 v42, 16, v40
	v_cmp_ne_u16_sdwa s[18:19], v42, v52 src0_sel:BYTE_0 src1_sel:DWORD
	s_and_saveexec_b64 s[16:17], s[18:19]
	s_cbranch_execz .LBB622_473
; %bb.468:                              ;   in Loop: Header=BB622_215 Depth=1
	v_cmp_ne_u16_sdwa s[20:21], v42, s9 src0_sel:BYTE_0 src1_sel:DWORD
	v_bfrev_b32_e32 v44, 1
	s_and_saveexec_b64 s[18:19], s[20:21]
	s_cbranch_execz .LBB622_472
; %bb.469:                              ;   in Loop: Header=BB622_215 Depth=1
	v_bfe_u32 v51, v40, 16, 7
	v_cmp_ne_u32_e32 vcc, s11, v51
	v_mov_b32_e32 v44, 0x7f800001
	s_and_saveexec_b64 s[20:21], vcc
	s_cbranch_execz .LBB622_471
; %bb.470:                              ;   in Loop: Header=BB622_215 Depth=1
	v_and_b32_e32 v44, 7, v42
	v_ffbh_u32_e32 v58, v44
	v_min_u32_e32 v60, 32, v58
	v_subrev_u32_e32 v58, 28, v60
	v_lshlrev_b64 v[58:59], v58, v[42:43]
	v_lshrrev_b32_e32 v57, 3, v51
	v_sub_u32_e32 v59, 29, v60
	v_and_b32_e32 v58, 7, v58
	v_cmp_gt_u32_e32 vcc, 8, v51
	v_cndmask_b32_e32 v51, v57, v59, vcc
	v_cndmask_b32_e32 v44, v44, v58, vcc
	v_lshlrev_b32_e32 v42, 24, v42
	v_lshlrev_b32_e32 v44, 20, v44
	v_and_b32_e32 v42, 0x80000000, v42
	v_lshl_add_u32 v51, v51, 23, v55
	v_or3_b32 v44, v42, v51, v44
.LBB622_471:                            ;   in Loop: Header=BB622_215 Depth=1
	s_or_b64 exec, exec, s[20:21]
.LBB622_472:                            ;   in Loop: Header=BB622_215 Depth=1
	s_or_b64 exec, exec, s[18:19]
.LBB622_473:                            ;   in Loop: Header=BB622_215 Depth=1
	s_or_b64 exec, exec, s[16:17]
	v_cmp_lt_u32_e32 vcc, s22, v40
	v_mov_b32_e32 v57, 0
	v_mov_b32_e32 v58, 0
	s_and_saveexec_b64 s[16:17], vcc
	s_cbranch_execz .LBB622_479
; %bb.474:                              ;   in Loop: Header=BB622_215 Depth=1
	v_lshrrev_b32_e32 v42, 24, v40
	v_cmp_ne_u32_e32 vcc, s9, v42
	v_bfrev_b32_e32 v58, 1
	s_and_saveexec_b64 s[18:19], vcc
	s_cbranch_execz .LBB622_478
; %bb.475:                              ;   in Loop: Header=BB622_215 Depth=1
	v_bfe_u32 v40, v40, 24, 7
	v_cmp_ne_u32_e32 vcc, s11, v40
	v_mov_b32_e32 v58, 0x7f800001
	s_and_saveexec_b64 s[20:21], vcc
	s_cbranch_execz .LBB622_477
; %bb.476:                              ;   in Loop: Header=BB622_215 Depth=1
	v_and_b32_e32 v51, 7, v42
	v_ffbh_u32_e32 v58, v51
	v_min_u32_e32 v61, 32, v58
	v_subrev_u32_e32 v58, 28, v61
	v_lshlrev_b64 v[58:59], v58, v[42:43]
	v_lshrrev_b32_e32 v60, 3, v40
	v_sub_u32_e32 v59, 29, v61
	v_and_b32_e32 v58, 7, v58
	v_cmp_gt_u32_e32 vcc, 8, v40
	v_cndmask_b32_e32 v40, v60, v59, vcc
	v_cndmask_b32_e32 v51, v51, v58, vcc
	v_lshlrev_b32_e32 v42, 24, v42
	v_lshlrev_b32_e32 v51, 20, v51
	v_and_b32_e32 v42, 0x80000000, v42
	v_lshl_add_u32 v40, v40, 23, v55
	v_or3_b32 v58, v42, v40, v51
.LBB622_477:                            ;   in Loop: Header=BB622_215 Depth=1
	s_or_b64 exec, exec, s[20:21]
.LBB622_478:                            ;   in Loop: Header=BB622_215 Depth=1
	s_or_b64 exec, exec, s[18:19]
.LBB622_479:                            ;   in Loop: Header=BB622_215 Depth=1
	s_or_b64 exec, exec, s[16:17]
	s_waitcnt vmcnt(0)
	v_cmp_ne_u16_sdwa s[18:19], v38, v52 src0_sel:BYTE_0 src1_sel:DWORD
	s_and_saveexec_b64 s[16:17], s[18:19]
	s_cbranch_execz .LBB622_485
; %bb.480:                              ;   in Loop: Header=BB622_215 Depth=1
	v_cmp_ne_u16_sdwa s[20:21], v38, s9 src0_sel:BYTE_0 src1_sel:DWORD
	v_bfrev_b32_e32 v57, 1
	s_and_saveexec_b64 s[18:19], s[20:21]
	s_cbranch_execz .LBB622_484
; %bb.481:                              ;   in Loop: Header=BB622_215 Depth=1
	v_and_b32_e32 v40, 0x7f, v38
	v_cmp_ne_u32_e32 vcc, s11, v40
	v_mov_b32_e32 v57, 0x7f800001
	s_and_saveexec_b64 s[20:21], vcc
	s_cbranch_execz .LBB622_483
; %bb.482:                              ;   in Loop: Header=BB622_215 Depth=1
	v_and_b32_e32 v42, 7, v38
	v_ffbh_u32_e32 v57, v42
	v_min_u32_e32 v57, 32, v57
	v_subrev_u32_e32 v59, 28, v57
	v_lshlrev_b64 v[60:61], v59, v[38:39]
	v_lshrrev_b32_e32 v51, 3, v40
	v_sub_u32_e32 v57, 29, v57
	v_and_b32_e32 v59, 7, v60
	v_cmp_gt_u32_e32 vcc, 8, v40
	v_cndmask_b32_e32 v40, v51, v57, vcc
	v_cndmask_b32_e32 v42, v42, v59, vcc
	v_lshlrev_b32_e32 v51, 24, v38
	v_lshlrev_b32_e32 v42, 20, v42
	v_and_b32_e32 v51, 0x80000000, v51
	v_lshl_add_u32 v40, v40, 23, v55
	v_or3_b32 v57, v51, v40, v42
.LBB622_483:                            ;   in Loop: Header=BB622_215 Depth=1
	s_or_b64 exec, exec, s[20:21]
.LBB622_484:                            ;   in Loop: Header=BB622_215 Depth=1
	s_or_b64 exec, exec, s[18:19]
.LBB622_485:                            ;   in Loop: Header=BB622_215 Depth=1
	s_or_b64 exec, exec, s[16:17]
	v_lshrrev_b16_e32 v40, 8, v38
	v_cmp_ne_u16_e32 vcc, 0, v40
	v_mov_b32_e32 v59, 0
	v_mov_b32_e32 v60, 0
	s_and_saveexec_b64 s[16:17], vcc
	s_cbranch_execz .LBB622_491
; %bb.486:                              ;   in Loop: Header=BB622_215 Depth=1
	v_cmp_ne_u16_e32 vcc, s9, v40
	v_bfrev_b32_e32 v60, 1
	s_and_saveexec_b64 s[18:19], vcc
	s_cbranch_execz .LBB622_490
; %bb.487:                              ;   in Loop: Header=BB622_215 Depth=1
	v_and_b32_e32 v42, 0x7f, v40
	v_cmp_ne_u32_e32 vcc, s11, v42
	v_mov_b32_e32 v60, 0x7f800001
	s_and_saveexec_b64 s[20:21], vcc
	s_cbranch_execz .LBB622_489
; %bb.488:                              ;   in Loop: Header=BB622_215 Depth=1
	v_and_b32_e32 v51, 7, v40
	v_ffbh_u32_e32 v60, v51
	v_min_u32_e32 v63, 32, v60
	v_subrev_u32_e32 v60, 28, v63
	v_lshlrev_b64 v[60:61], v60, v[40:41]
	v_lshrrev_b32_e32 v62, 3, v42
	v_sub_u32_e32 v40, 29, v63
	v_and_b32_e32 v60, 7, v60
	v_cmp_gt_u32_e32 vcc, 8, v42
	v_cndmask_b32_e32 v40, v62, v40, vcc
	v_cndmask_b32_e32 v42, v51, v60, vcc
	v_lshlrev_b32_e32 v51, 16, v38
	v_lshlrev_b32_e32 v42, 20, v42
	v_and_b32_e32 v51, 0x80000000, v51
	v_lshl_add_u32 v40, v40, 23, v55
	v_or3_b32 v60, v51, v40, v42
.LBB622_489:                            ;   in Loop: Header=BB622_215 Depth=1
	s_or_b64 exec, exec, s[20:21]
.LBB622_490:                            ;   in Loop: Header=BB622_215 Depth=1
	s_or_b64 exec, exec, s[18:19]
.LBB622_491:                            ;   in Loop: Header=BB622_215 Depth=1
	s_or_b64 exec, exec, s[16:17]
	v_lshrrev_b32_e32 v40, 16, v38
	v_cmp_ne_u16_sdwa s[18:19], v40, v52 src0_sel:BYTE_0 src1_sel:DWORD
	s_and_saveexec_b64 s[16:17], s[18:19]
	s_cbranch_execz .LBB622_497
; %bb.492:                              ;   in Loop: Header=BB622_215 Depth=1
	v_cmp_ne_u16_sdwa s[20:21], v40, s9 src0_sel:BYTE_0 src1_sel:DWORD
	v_bfrev_b32_e32 v59, 1
	s_and_saveexec_b64 s[18:19], s[20:21]
	s_cbranch_execz .LBB622_496
; %bb.493:                              ;   in Loop: Header=BB622_215 Depth=1
	v_bfe_u32 v42, v38, 16, 7
	v_cmp_ne_u32_e32 vcc, s11, v42
	v_mov_b32_e32 v59, 0x7f800001
	s_and_saveexec_b64 s[20:21], vcc
	s_cbranch_execz .LBB622_495
; %bb.494:                              ;   in Loop: Header=BB622_215 Depth=1
	v_and_b32_e32 v51, 7, v40
	v_ffbh_u32_e32 v61, v51
	v_min_u32_e32 v61, 32, v61
	v_subrev_u32_e32 v62, 28, v61
	v_lshlrev_b64 v[62:63], v62, v[40:41]
	v_lshrrev_b32_e32 v59, 3, v42
	v_sub_u32_e32 v61, 29, v61
	v_and_b32_e32 v62, 7, v62
	v_cmp_gt_u32_e32 vcc, 8, v42
	v_cndmask_b32_e32 v42, v59, v61, vcc
	v_cndmask_b32_e32 v51, v51, v62, vcc
	v_lshlrev_b32_e32 v40, 24, v40
	v_lshlrev_b32_e32 v51, 20, v51
	v_and_b32_e32 v40, 0x80000000, v40
	v_lshl_add_u32 v42, v42, 23, v55
	v_or3_b32 v59, v40, v42, v51
.LBB622_495:                            ;   in Loop: Header=BB622_215 Depth=1
	s_or_b64 exec, exec, s[20:21]
.LBB622_496:                            ;   in Loop: Header=BB622_215 Depth=1
	s_or_b64 exec, exec, s[18:19]
.LBB622_497:                            ;   in Loop: Header=BB622_215 Depth=1
	s_or_b64 exec, exec, s[16:17]
	v_cmp_lt_u32_e32 vcc, s22, v38
	v_mov_b32_e32 v51, 0
	v_mov_b32_e32 v61, 0
	s_and_saveexec_b64 s[16:17], vcc
	s_cbranch_execz .LBB622_503
; %bb.498:                              ;   in Loop: Header=BB622_215 Depth=1
	v_lshrrev_b32_e32 v40, 24, v38
	v_cmp_ne_u32_e32 vcc, s9, v40
	v_bfrev_b32_e32 v61, 1
	s_and_saveexec_b64 s[18:19], vcc
	s_cbranch_execz .LBB622_502
; %bb.499:                              ;   in Loop: Header=BB622_215 Depth=1
	v_bfe_u32 v38, v38, 24, 7
	v_cmp_ne_u32_e32 vcc, s11, v38
	v_mov_b32_e32 v61, 0x7f800001
	s_and_saveexec_b64 s[20:21], vcc
	s_cbranch_execz .LBB622_501
; %bb.500:                              ;   in Loop: Header=BB622_215 Depth=1
	v_and_b32_e32 v42, 7, v40
	v_ffbh_u32_e32 v62, v42
	v_min_u32_e32 v64, 32, v62
	v_subrev_u32_e32 v62, 28, v64
	v_lshlrev_b64 v[62:63], v62, v[40:41]
	v_lshrrev_b32_e32 v61, 3, v38
	v_sub_u32_e32 v63, 29, v64
	v_and_b32_e32 v62, 7, v62
	v_cmp_gt_u32_e32 vcc, 8, v38
	v_cndmask_b32_e32 v38, v61, v63, vcc
	v_cndmask_b32_e32 v42, v42, v62, vcc
	v_lshlrev_b32_e32 v40, 24, v40
	v_lshlrev_b32_e32 v42, 20, v42
	v_and_b32_e32 v40, 0x80000000, v40
	v_lshl_add_u32 v38, v38, 23, v55
	v_or3_b32 v61, v40, v38, v42
.LBB622_501:                            ;   in Loop: Header=BB622_215 Depth=1
	s_or_b64 exec, exec, s[20:21]
.LBB622_502:                            ;   in Loop: Header=BB622_215 Depth=1
	s_or_b64 exec, exec, s[18:19]
.LBB622_503:                            ;   in Loop: Header=BB622_215 Depth=1
	s_or_b64 exec, exec, s[16:17]
	v_cvt_pkrtz_f16_f32 v63, v44, v58
	buffer_load_dword v44, v50, s[0:3], 0 offen
	buffer_load_dword v42, v50, s[0:3], 0 offen offset:4
	buffer_load_dword v40, v50, s[0:3], 0 offen offset:8
	;; [unrolled: 1-line block ×3, first 2 shown]
	v_cvt_pkrtz_f16_f32 v62, v46, v56
	v_cvt_pkrtz_f16_f32 v56, v57, v60
	;; [unrolled: 1-line block ×3, first 2 shown]
	v_mfma_f32_16x16x16f16 v[34:37], v[62:63], v[22:23], v[34:37]
	s_waitcnt vmcnt(3)
	v_cmp_ne_u16_sdwa s[18:19], v44, v52 src0_sel:BYTE_0 src1_sel:DWORD
	v_mfma_f32_16x16x16f16 v[34:37], v[56:57], v[24:25], v[34:37]
	s_and_saveexec_b64 s[16:17], s[18:19]
	s_cbranch_execz .LBB622_509
; %bb.504:                              ;   in Loop: Header=BB622_215 Depth=1
	v_cmp_ne_u16_sdwa s[20:21], v44, s9 src0_sel:BYTE_0 src1_sel:DWORD
	v_bfrev_b32_e32 v51, 1
	s_and_saveexec_b64 s[18:19], s[20:21]
	s_cbranch_execz .LBB622_508
; %bb.505:                              ;   in Loop: Header=BB622_215 Depth=1
	v_and_b32_e32 v46, 0x7f, v44
	v_cmp_ne_u32_e32 vcc, s11, v46
	v_mov_b32_e32 v51, 0x7f800001
	s_and_saveexec_b64 s[20:21], vcc
	s_cbranch_execz .LBB622_507
; %bb.506:                              ;   in Loop: Header=BB622_215 Depth=1
	v_and_b32_e32 v56, 7, v44
	v_ffbh_u32_e32 v50, v56
	v_min_u32_e32 v58, 32, v50
	v_subrev_u32_e32 v50, 28, v58
	v_lshlrev_b64 v[50:51], v50, v[44:45]
	v_lshrrev_b32_e32 v57, 3, v46
	v_sub_u32_e32 v51, 29, v58
	v_and_b32_e32 v50, 7, v50
	v_cmp_gt_u32_e32 vcc, 8, v46
	v_cndmask_b32_e32 v46, v57, v51, vcc
	v_cndmask_b32_e32 v50, v56, v50, vcc
	v_lshlrev_b32_e32 v51, 24, v44
	v_lshlrev_b32_e32 v50, 20, v50
	v_and_b32_e32 v51, 0x80000000, v51
	v_lshl_add_u32 v46, v46, 23, v55
	v_or3_b32 v51, v51, v46, v50
.LBB622_507:                            ;   in Loop: Header=BB622_215 Depth=1
	s_or_b64 exec, exec, s[20:21]
.LBB622_508:                            ;   in Loop: Header=BB622_215 Depth=1
	s_or_b64 exec, exec, s[18:19]
.LBB622_509:                            ;   in Loop: Header=BB622_215 Depth=1
	s_or_b64 exec, exec, s[16:17]
	v_lshrrev_b16_e32 v46, 8, v44
	v_cmp_ne_u16_e32 vcc, 0, v46
	v_mov_b32_e32 v50, 0
	v_mov_b32_e32 v56, 0
	s_and_saveexec_b64 s[16:17], vcc
	s_cbranch_execz .LBB622_515
; %bb.510:                              ;   in Loop: Header=BB622_215 Depth=1
	v_cmp_ne_u16_e32 vcc, s9, v46
	v_bfrev_b32_e32 v56, 1
	s_and_saveexec_b64 s[18:19], vcc
	s_cbranch_execz .LBB622_514
; %bb.511:                              ;   in Loop: Header=BB622_215 Depth=1
	v_and_b32_e32 v57, 0x7f, v46
	v_cmp_ne_u32_e32 vcc, s11, v57
	v_mov_b32_e32 v56, 0x7f800001
	s_and_saveexec_b64 s[20:21], vcc
	s_cbranch_execz .LBB622_513
; %bb.512:                              ;   in Loop: Header=BB622_215 Depth=1
	v_and_b32_e32 v56, 7, v46
	v_ffbh_u32_e32 v58, v56
	v_min_u32_e32 v61, 32, v58
	v_subrev_u32_e32 v58, 28, v61
	v_lshlrev_b64 v[58:59], v58, v[46:47]
	v_lshrrev_b32_e32 v60, 3, v57
	v_sub_u32_e32 v46, 29, v61
	v_and_b32_e32 v58, 7, v58
	v_cmp_gt_u32_e32 vcc, 8, v57
	v_cndmask_b32_e32 v46, v60, v46, vcc
	v_cndmask_b32_e32 v56, v56, v58, vcc
	v_lshlrev_b32_e32 v57, 16, v44
	v_lshlrev_b32_e32 v56, 20, v56
	v_and_b32_e32 v57, 0x80000000, v57
	v_lshl_add_u32 v46, v46, 23, v55
	v_or3_b32 v56, v57, v46, v56
.LBB622_513:                            ;   in Loop: Header=BB622_215 Depth=1
	s_or_b64 exec, exec, s[20:21]
.LBB622_514:                            ;   in Loop: Header=BB622_215 Depth=1
	s_or_b64 exec, exec, s[18:19]
.LBB622_515:                            ;   in Loop: Header=BB622_215 Depth=1
	s_or_b64 exec, exec, s[16:17]
	v_lshrrev_b32_e32 v46, 16, v44
	v_cmp_ne_u16_sdwa s[18:19], v46, v52 src0_sel:BYTE_0 src1_sel:DWORD
	s_and_saveexec_b64 s[16:17], s[18:19]
	s_cbranch_execz .LBB622_521
; %bb.516:                              ;   in Loop: Header=BB622_215 Depth=1
	v_cmp_ne_u16_sdwa s[20:21], v46, s9 src0_sel:BYTE_0 src1_sel:DWORD
	v_bfrev_b32_e32 v50, 1
	s_and_saveexec_b64 s[18:19], s[20:21]
	s_cbranch_execz .LBB622_520
; %bb.517:                              ;   in Loop: Header=BB622_215 Depth=1
	v_bfe_u32 v57, v44, 16, 7
	v_cmp_ne_u32_e32 vcc, s11, v57
	v_mov_b32_e32 v50, 0x7f800001
	s_and_saveexec_b64 s[20:21], vcc
	s_cbranch_execz .LBB622_519
; %bb.518:                              ;   in Loop: Header=BB622_215 Depth=1
	v_and_b32_e32 v50, 7, v46
	v_ffbh_u32_e32 v58, v50
	v_min_u32_e32 v61, 32, v58
	v_subrev_u32_e32 v58, 28, v61
	v_lshlrev_b64 v[58:59], v58, v[46:47]
	v_lshrrev_b32_e32 v60, 3, v57
	v_sub_u32_e32 v59, 29, v61
	v_and_b32_e32 v58, 7, v58
	v_cmp_gt_u32_e32 vcc, 8, v57
	v_cndmask_b32_e32 v57, v60, v59, vcc
	v_cndmask_b32_e32 v50, v50, v58, vcc
	v_lshlrev_b32_e32 v46, 24, v46
	v_lshlrev_b32_e32 v50, 20, v50
	v_and_b32_e32 v46, 0x80000000, v46
	v_lshl_add_u32 v57, v57, 23, v55
	v_or3_b32 v50, v46, v57, v50
.LBB622_519:                            ;   in Loop: Header=BB622_215 Depth=1
	s_or_b64 exec, exec, s[20:21]
.LBB622_520:                            ;   in Loop: Header=BB622_215 Depth=1
	s_or_b64 exec, exec, s[18:19]
.LBB622_521:                            ;   in Loop: Header=BB622_215 Depth=1
	s_or_b64 exec, exec, s[16:17]
	v_cmp_lt_u32_e32 vcc, s22, v44
	v_mov_b32_e32 v57, 0
	v_mov_b32_e32 v58, 0
	s_and_saveexec_b64 s[16:17], vcc
	s_cbranch_execz .LBB622_527
; %bb.522:                              ;   in Loop: Header=BB622_215 Depth=1
	v_lshrrev_b32_e32 v46, 24, v44
	v_cmp_ne_u32_e32 vcc, s9, v46
	v_bfrev_b32_e32 v58, 1
	s_and_saveexec_b64 s[18:19], vcc
	s_cbranch_execz .LBB622_526
; %bb.523:                              ;   in Loop: Header=BB622_215 Depth=1
	v_bfe_u32 v44, v44, 24, 7
	v_cmp_ne_u32_e32 vcc, s11, v44
	v_mov_b32_e32 v58, 0x7f800001
	s_and_saveexec_b64 s[20:21], vcc
	s_cbranch_execz .LBB622_525
; %bb.524:                              ;   in Loop: Header=BB622_215 Depth=1
	v_and_b32_e32 v60, 7, v46
	v_ffbh_u32_e32 v58, v60
	v_min_u32_e32 v62, 32, v58
	v_subrev_u32_e32 v58, 28, v62
	v_lshlrev_b64 v[58:59], v58, v[46:47]
	v_lshrrev_b32_e32 v61, 3, v44
	v_sub_u32_e32 v59, 29, v62
	v_and_b32_e32 v58, 7, v58
	v_cmp_gt_u32_e32 vcc, 8, v44
	v_cndmask_b32_e32 v44, v61, v59, vcc
	v_cndmask_b32_e32 v58, v60, v58, vcc
	v_lshlrev_b32_e32 v46, 24, v46
	v_lshlrev_b32_e32 v58, 20, v58
	v_and_b32_e32 v46, 0x80000000, v46
	v_lshl_add_u32 v44, v44, 23, v55
	v_or3_b32 v58, v46, v44, v58
.LBB622_525:                            ;   in Loop: Header=BB622_215 Depth=1
	s_or_b64 exec, exec, s[20:21]
.LBB622_526:                            ;   in Loop: Header=BB622_215 Depth=1
	s_or_b64 exec, exec, s[18:19]
.LBB622_527:                            ;   in Loop: Header=BB622_215 Depth=1
	s_or_b64 exec, exec, s[16:17]
	s_waitcnt vmcnt(2)
	v_cmp_ne_u16_sdwa s[18:19], v42, v52 src0_sel:BYTE_0 src1_sel:DWORD
	s_and_saveexec_b64 s[16:17], s[18:19]
	s_cbranch_execz .LBB622_533
; %bb.528:                              ;   in Loop: Header=BB622_215 Depth=1
	v_cmp_ne_u16_sdwa s[20:21], v42, s9 src0_sel:BYTE_0 src1_sel:DWORD
	v_bfrev_b32_e32 v57, 1
	s_and_saveexec_b64 s[18:19], s[20:21]
	s_cbranch_execz .LBB622_532
; %bb.529:                              ;   in Loop: Header=BB622_215 Depth=1
	v_and_b32_e32 v44, 0x7f, v42
	v_cmp_ne_u32_e32 vcc, s11, v44
	v_mov_b32_e32 v57, 0x7f800001
	s_and_saveexec_b64 s[20:21], vcc
	s_cbranch_execz .LBB622_531
; %bb.530:                              ;   in Loop: Header=BB622_215 Depth=1
	v_and_b32_e32 v46, 7, v42
	v_ffbh_u32_e32 v59, v46
	v_min_u32_e32 v59, 32, v59
	v_subrev_u32_e32 v60, 28, v59
	v_lshlrev_b64 v[60:61], v60, v[42:43]
	v_lshrrev_b32_e32 v57, 3, v44
	v_sub_u32_e32 v59, 29, v59
	v_and_b32_e32 v60, 7, v60
	v_cmp_gt_u32_e32 vcc, 8, v44
	v_cndmask_b32_e32 v44, v57, v59, vcc
	v_cndmask_b32_e32 v46, v46, v60, vcc
	v_lshlrev_b32_e32 v57, 24, v42
	v_lshlrev_b32_e32 v46, 20, v46
	v_and_b32_e32 v57, 0x80000000, v57
	v_lshl_add_u32 v44, v44, 23, v55
	v_or3_b32 v57, v57, v44, v46
.LBB622_531:                            ;   in Loop: Header=BB622_215 Depth=1
	s_or_b64 exec, exec, s[20:21]
.LBB622_532:                            ;   in Loop: Header=BB622_215 Depth=1
	s_or_b64 exec, exec, s[18:19]
.LBB622_533:                            ;   in Loop: Header=BB622_215 Depth=1
	s_or_b64 exec, exec, s[16:17]
	v_lshrrev_b16_e32 v44, 8, v42
	v_cmp_ne_u16_e32 vcc, 0, v44
	v_mov_b32_e32 v59, 0
	v_mov_b32_e32 v60, 0
	s_and_saveexec_b64 s[16:17], vcc
	s_cbranch_execz .LBB622_539
; %bb.534:                              ;   in Loop: Header=BB622_215 Depth=1
	v_cmp_ne_u16_e32 vcc, s9, v44
	v_bfrev_b32_e32 v60, 1
	s_and_saveexec_b64 s[18:19], vcc
	s_cbranch_execz .LBB622_538
; %bb.535:                              ;   in Loop: Header=BB622_215 Depth=1
	v_and_b32_e32 v46, 0x7f, v44
	v_cmp_ne_u32_e32 vcc, s11, v46
	v_mov_b32_e32 v60, 0x7f800001
	s_and_saveexec_b64 s[20:21], vcc
	s_cbranch_execz .LBB622_537
; %bb.536:                              ;   in Loop: Header=BB622_215 Depth=1
	v_and_b32_e32 v62, 7, v44
	v_ffbh_u32_e32 v60, v62
	v_min_u32_e32 v64, 32, v60
	v_subrev_u32_e32 v60, 28, v64
	v_lshlrev_b64 v[60:61], v60, v[44:45]
	v_lshrrev_b32_e32 v63, 3, v46
	v_sub_u32_e32 v44, 29, v64
	v_and_b32_e32 v60, 7, v60
	v_cmp_gt_u32_e32 vcc, 8, v46
	v_cndmask_b32_e32 v44, v63, v44, vcc
	v_cndmask_b32_e32 v46, v62, v60, vcc
	v_lshlrev_b32_e32 v60, 16, v42
	v_lshlrev_b32_e32 v46, 20, v46
	v_and_b32_e32 v60, 0x80000000, v60
	v_lshl_add_u32 v44, v44, 23, v55
	v_or3_b32 v60, v60, v44, v46
.LBB622_537:                            ;   in Loop: Header=BB622_215 Depth=1
	s_or_b64 exec, exec, s[20:21]
.LBB622_538:                            ;   in Loop: Header=BB622_215 Depth=1
	s_or_b64 exec, exec, s[18:19]
.LBB622_539:                            ;   in Loop: Header=BB622_215 Depth=1
	s_or_b64 exec, exec, s[16:17]
	v_lshrrev_b32_e32 v44, 16, v42
	v_cmp_ne_u16_sdwa s[18:19], v44, v52 src0_sel:BYTE_0 src1_sel:DWORD
	s_and_saveexec_b64 s[16:17], s[18:19]
	s_cbranch_execz .LBB622_545
; %bb.540:                              ;   in Loop: Header=BB622_215 Depth=1
	v_cmp_ne_u16_sdwa s[20:21], v44, s9 src0_sel:BYTE_0 src1_sel:DWORD
	v_bfrev_b32_e32 v59, 1
	s_and_saveexec_b64 s[18:19], s[20:21]
	s_cbranch_execz .LBB622_544
; %bb.541:                              ;   in Loop: Header=BB622_215 Depth=1
	v_bfe_u32 v46, v42, 16, 7
	v_cmp_ne_u32_e32 vcc, s11, v46
	v_mov_b32_e32 v59, 0x7f800001
	s_and_saveexec_b64 s[20:21], vcc
	s_cbranch_execz .LBB622_543
; %bb.542:                              ;   in Loop: Header=BB622_215 Depth=1
	v_and_b32_e32 v59, 7, v44
	v_ffbh_u32_e32 v62, v59
	v_min_u32_e32 v64, 32, v62
	v_subrev_u32_e32 v62, 28, v64
	v_lshlrev_b64 v[62:63], v62, v[44:45]
	v_lshrrev_b32_e32 v61, 3, v46
	v_sub_u32_e32 v63, 29, v64
	v_and_b32_e32 v62, 7, v62
	v_cmp_gt_u32_e32 vcc, 8, v46
	v_cndmask_b32_e32 v46, v61, v63, vcc
	v_cndmask_b32_e32 v59, v59, v62, vcc
	v_lshlrev_b32_e32 v44, 24, v44
	v_lshlrev_b32_e32 v59, 20, v59
	v_and_b32_e32 v44, 0x80000000, v44
	v_lshl_add_u32 v46, v46, 23, v55
	v_or3_b32 v59, v44, v46, v59
.LBB622_543:                            ;   in Loop: Header=BB622_215 Depth=1
	s_or_b64 exec, exec, s[20:21]
.LBB622_544:                            ;   in Loop: Header=BB622_215 Depth=1
	s_or_b64 exec, exec, s[18:19]
.LBB622_545:                            ;   in Loop: Header=BB622_215 Depth=1
	s_or_b64 exec, exec, s[16:17]
	v_cmp_lt_u32_e32 vcc, s22, v42
	v_mov_b32_e32 v46, 0
	v_mov_b32_e32 v61, 0
	s_and_saveexec_b64 s[16:17], vcc
	s_cbranch_execz .LBB622_551
; %bb.546:                              ;   in Loop: Header=BB622_215 Depth=1
	v_lshrrev_b32_e32 v44, 24, v42
	v_cmp_ne_u32_e32 vcc, s9, v44
	v_bfrev_b32_e32 v61, 1
	s_and_saveexec_b64 s[18:19], vcc
	s_cbranch_execz .LBB622_550
; %bb.547:                              ;   in Loop: Header=BB622_215 Depth=1
	v_bfe_u32 v42, v42, 24, 7
	v_cmp_ne_u32_e32 vcc, s11, v42
	v_mov_b32_e32 v61, 0x7f800001
	s_and_saveexec_b64 s[20:21], vcc
	s_cbranch_execz .LBB622_549
; %bb.548:                              ;   in Loop: Header=BB622_215 Depth=1
	v_and_b32_e32 v61, 7, v44
	v_ffbh_u32_e32 v62, v61
	v_min_u32_e32 v65, 32, v62
	v_subrev_u32_e32 v62, 28, v65
	v_lshlrev_b64 v[62:63], v62, v[44:45]
	v_lshrrev_b32_e32 v64, 3, v42
	v_sub_u32_e32 v63, 29, v65
	v_and_b32_e32 v62, 7, v62
	v_cmp_gt_u32_e32 vcc, 8, v42
	v_cndmask_b32_e32 v42, v64, v63, vcc
	v_cndmask_b32_e32 v61, v61, v62, vcc
	v_lshlrev_b32_e32 v44, 24, v44
	v_lshlrev_b32_e32 v61, 20, v61
	v_and_b32_e32 v44, 0x80000000, v44
	v_lshl_add_u32 v42, v42, 23, v55
	v_or3_b32 v61, v44, v42, v61
.LBB622_549:                            ;   in Loop: Header=BB622_215 Depth=1
	s_or_b64 exec, exec, s[20:21]
.LBB622_550:                            ;   in Loop: Header=BB622_215 Depth=1
	s_or_b64 exec, exec, s[18:19]
.LBB622_551:                            ;   in Loop: Header=BB622_215 Depth=1
	s_or_b64 exec, exec, s[16:17]
	v_cvt_pkrtz_f16_f32 v62, v51, v56
	v_cvt_pkrtz_f16_f32 v63, v50, v58
	;; [unrolled: 1-line block ×4, first 2 shown]
	s_waitcnt vmcnt(1)
	v_cmp_ne_u16_sdwa s[18:19], v40, v52 src0_sel:BYTE_0 src1_sel:DWORD
	v_mfma_f32_16x16x16f16 v[34:37], v[62:63], v[26:27], v[34:37]
	v_mfma_f32_16x16x16f16 v[34:37], v[50:51], v[28:29], v[34:37]
	s_and_saveexec_b64 s[16:17], s[18:19]
	s_cbranch_execz .LBB622_557
; %bb.552:                              ;   in Loop: Header=BB622_215 Depth=1
	v_cmp_ne_u16_sdwa s[20:21], v40, s9 src0_sel:BYTE_0 src1_sel:DWORD
	v_bfrev_b32_e32 v46, 1
	s_and_saveexec_b64 s[18:19], s[20:21]
	s_cbranch_execz .LBB622_556
; %bb.553:                              ;   in Loop: Header=BB622_215 Depth=1
	v_and_b32_e32 v42, 0x7f, v40
	v_cmp_ne_u32_e32 vcc, s11, v42
	v_mov_b32_e32 v46, 0x7f800001
	s_and_saveexec_b64 s[20:21], vcc
	s_cbranch_execz .LBB622_555
; %bb.554:                              ;   in Loop: Header=BB622_215 Depth=1
	v_and_b32_e32 v44, 7, v40
	v_ffbh_u32_e32 v50, v44
	v_min_u32_e32 v56, 32, v50
	v_subrev_u32_e32 v50, 28, v56
	v_lshlrev_b64 v[50:51], v50, v[40:41]
	v_lshrrev_b32_e32 v46, 3, v42
	v_sub_u32_e32 v51, 29, v56
	v_and_b32_e32 v50, 7, v50
	v_cmp_gt_u32_e32 vcc, 8, v42
	v_cndmask_b32_e32 v42, v46, v51, vcc
	v_cndmask_b32_e32 v44, v44, v50, vcc
	v_lshlrev_b32_e32 v46, 24, v40
	v_lshlrev_b32_e32 v44, 20, v44
	v_and_b32_e32 v46, 0x80000000, v46
	v_lshl_add_u32 v42, v42, 23, v55
	v_or3_b32 v46, v46, v42, v44
.LBB622_555:                            ;   in Loop: Header=BB622_215 Depth=1
	s_or_b64 exec, exec, s[20:21]
.LBB622_556:                            ;   in Loop: Header=BB622_215 Depth=1
	s_or_b64 exec, exec, s[18:19]
.LBB622_557:                            ;   in Loop: Header=BB622_215 Depth=1
	s_or_b64 exec, exec, s[16:17]
	v_lshrrev_b16_e32 v42, 8, v40
	v_cmp_ne_u16_e32 vcc, 0, v42
	v_mov_b32_e32 v44, 0
	v_mov_b32_e32 v50, 0
	s_and_saveexec_b64 s[16:17], vcc
	s_cbranch_execz .LBB622_563
; %bb.558:                              ;   in Loop: Header=BB622_215 Depth=1
	v_cmp_ne_u16_e32 vcc, s9, v42
	v_bfrev_b32_e32 v50, 1
	s_and_saveexec_b64 s[18:19], vcc
	s_cbranch_execz .LBB622_562
; %bb.559:                              ;   in Loop: Header=BB622_215 Depth=1
	v_and_b32_e32 v51, 0x7f, v42
	v_cmp_ne_u32_e32 vcc, s11, v51
	v_mov_b32_e32 v50, 0x7f800001
	s_and_saveexec_b64 s[20:21], vcc
	s_cbranch_execz .LBB622_561
; %bb.560:                              ;   in Loop: Header=BB622_215 Depth=1
	v_and_b32_e32 v50, 7, v42
	v_ffbh_u32_e32 v56, v50
	v_min_u32_e32 v59, 32, v56
	v_subrev_u32_e32 v56, 28, v59
	v_lshlrev_b64 v[56:57], v56, v[42:43]
	v_lshrrev_b32_e32 v58, 3, v51
	v_sub_u32_e32 v42, 29, v59
	v_and_b32_e32 v56, 7, v56
	v_cmp_gt_u32_e32 vcc, 8, v51
	v_cndmask_b32_e32 v42, v58, v42, vcc
	v_cndmask_b32_e32 v50, v50, v56, vcc
	v_lshlrev_b32_e32 v51, 16, v40
	v_lshlrev_b32_e32 v50, 20, v50
	v_and_b32_e32 v51, 0x80000000, v51
	v_lshl_add_u32 v42, v42, 23, v55
	v_or3_b32 v50, v51, v42, v50
.LBB622_561:                            ;   in Loop: Header=BB622_215 Depth=1
	s_or_b64 exec, exec, s[20:21]
.LBB622_562:                            ;   in Loop: Header=BB622_215 Depth=1
	s_or_b64 exec, exec, s[18:19]
.LBB622_563:                            ;   in Loop: Header=BB622_215 Depth=1
	s_or_b64 exec, exec, s[16:17]
	v_lshrrev_b32_e32 v42, 16, v40
	v_cmp_ne_u16_sdwa s[18:19], v42, v52 src0_sel:BYTE_0 src1_sel:DWORD
	s_and_saveexec_b64 s[16:17], s[18:19]
	s_cbranch_execz .LBB622_569
; %bb.564:                              ;   in Loop: Header=BB622_215 Depth=1
	v_cmp_ne_u16_sdwa s[20:21], v42, s9 src0_sel:BYTE_0 src1_sel:DWORD
	v_bfrev_b32_e32 v44, 1
	s_and_saveexec_b64 s[18:19], s[20:21]
	s_cbranch_execz .LBB622_568
; %bb.565:                              ;   in Loop: Header=BB622_215 Depth=1
	v_bfe_u32 v51, v40, 16, 7
	v_cmp_ne_u32_e32 vcc, s11, v51
	v_mov_b32_e32 v44, 0x7f800001
	s_and_saveexec_b64 s[20:21], vcc
	s_cbranch_execz .LBB622_567
; %bb.566:                              ;   in Loop: Header=BB622_215 Depth=1
	v_and_b32_e32 v44, 7, v42
	v_ffbh_u32_e32 v56, v44
	v_min_u32_e32 v59, 32, v56
	v_subrev_u32_e32 v56, 28, v59
	v_lshlrev_b64 v[56:57], v56, v[42:43]
	v_lshrrev_b32_e32 v58, 3, v51
	v_sub_u32_e32 v57, 29, v59
	v_and_b32_e32 v56, 7, v56
	v_cmp_gt_u32_e32 vcc, 8, v51
	v_cndmask_b32_e32 v51, v58, v57, vcc
	v_cndmask_b32_e32 v44, v44, v56, vcc
	v_lshlrev_b32_e32 v42, 24, v42
	v_lshlrev_b32_e32 v44, 20, v44
	v_and_b32_e32 v42, 0x80000000, v42
	v_lshl_add_u32 v51, v51, 23, v55
	v_or3_b32 v44, v42, v51, v44
.LBB622_567:                            ;   in Loop: Header=BB622_215 Depth=1
	s_or_b64 exec, exec, s[20:21]
.LBB622_568:                            ;   in Loop: Header=BB622_215 Depth=1
	s_or_b64 exec, exec, s[18:19]
.LBB622_569:                            ;   in Loop: Header=BB622_215 Depth=1
	s_or_b64 exec, exec, s[16:17]
	v_cmp_lt_u32_e32 vcc, s22, v40
	v_mov_b32_e32 v51, 0
	v_mov_b32_e32 v56, 0
	s_and_saveexec_b64 s[16:17], vcc
	s_cbranch_execz .LBB622_575
; %bb.570:                              ;   in Loop: Header=BB622_215 Depth=1
	v_lshrrev_b32_e32 v42, 24, v40
	v_cmp_ne_u32_e32 vcc, s9, v42
	v_bfrev_b32_e32 v56, 1
	s_and_saveexec_b64 s[18:19], vcc
	s_cbranch_execz .LBB622_574
; %bb.571:                              ;   in Loop: Header=BB622_215 Depth=1
	v_bfe_u32 v40, v40, 24, 7
	v_cmp_ne_u32_e32 vcc, s11, v40
	v_mov_b32_e32 v56, 0x7f800001
	s_and_saveexec_b64 s[20:21], vcc
	s_cbranch_execz .LBB622_573
; %bb.572:                              ;   in Loop: Header=BB622_215 Depth=1
	v_and_b32_e32 v58, 7, v42
	v_ffbh_u32_e32 v56, v58
	v_min_u32_e32 v60, 32, v56
	v_subrev_u32_e32 v56, 28, v60
	v_lshlrev_b64 v[56:57], v56, v[42:43]
	v_lshrrev_b32_e32 v59, 3, v40
	v_sub_u32_e32 v57, 29, v60
	v_and_b32_e32 v56, 7, v56
	v_cmp_gt_u32_e32 vcc, 8, v40
	v_cndmask_b32_e32 v40, v59, v57, vcc
	v_cndmask_b32_e32 v56, v58, v56, vcc
	v_lshlrev_b32_e32 v42, 24, v42
	v_lshlrev_b32_e32 v56, 20, v56
	v_and_b32_e32 v42, 0x80000000, v42
	v_lshl_add_u32 v40, v40, 23, v55
	v_or3_b32 v56, v42, v40, v56
.LBB622_573:                            ;   in Loop: Header=BB622_215 Depth=1
	s_or_b64 exec, exec, s[20:21]
.LBB622_574:                            ;   in Loop: Header=BB622_215 Depth=1
	s_or_b64 exec, exec, s[18:19]
.LBB622_575:                            ;   in Loop: Header=BB622_215 Depth=1
	s_or_b64 exec, exec, s[16:17]
	s_waitcnt vmcnt(0)
	v_cmp_ne_u16_sdwa s[18:19], v38, v52 src0_sel:BYTE_0 src1_sel:DWORD
	s_and_saveexec_b64 s[16:17], s[18:19]
	s_cbranch_execz .LBB622_581
; %bb.576:                              ;   in Loop: Header=BB622_215 Depth=1
	v_cmp_ne_u16_sdwa s[20:21], v38, s9 src0_sel:BYTE_0 src1_sel:DWORD
	v_bfrev_b32_e32 v51, 1
	s_and_saveexec_b64 s[18:19], s[20:21]
	s_cbranch_execz .LBB622_580
; %bb.577:                              ;   in Loop: Header=BB622_215 Depth=1
	v_and_b32_e32 v40, 0x7f, v38
	v_cmp_ne_u32_e32 vcc, s11, v40
	v_mov_b32_e32 v51, 0x7f800001
	s_and_saveexec_b64 s[20:21], vcc
	s_cbranch_execz .LBB622_579
; %bb.578:                              ;   in Loop: Header=BB622_215 Depth=1
	v_and_b32_e32 v42, 7, v38
	v_ffbh_u32_e32 v57, v42
	v_min_u32_e32 v57, 32, v57
	v_subrev_u32_e32 v58, 28, v57
	v_lshlrev_b64 v[58:59], v58, v[38:39]
	v_lshrrev_b32_e32 v51, 3, v40
	v_sub_u32_e32 v57, 29, v57
	v_and_b32_e32 v58, 7, v58
	v_cmp_gt_u32_e32 vcc, 8, v40
	v_cndmask_b32_e32 v40, v51, v57, vcc
	v_cndmask_b32_e32 v42, v42, v58, vcc
	v_lshlrev_b32_e32 v51, 24, v38
	v_lshlrev_b32_e32 v42, 20, v42
	v_and_b32_e32 v51, 0x80000000, v51
	v_lshl_add_u32 v40, v40, 23, v55
	v_or3_b32 v51, v51, v40, v42
.LBB622_579:                            ;   in Loop: Header=BB622_215 Depth=1
	s_or_b64 exec, exec, s[20:21]
.LBB622_580:                            ;   in Loop: Header=BB622_215 Depth=1
	s_or_b64 exec, exec, s[18:19]
.LBB622_581:                            ;   in Loop: Header=BB622_215 Depth=1
	s_or_b64 exec, exec, s[16:17]
	v_lshrrev_b16_e32 v40, 8, v38
	v_cmp_ne_u16_e32 vcc, 0, v40
	v_mov_b32_e32 v42, 0
	v_mov_b32_e32 v57, 0
	s_and_saveexec_b64 s[16:17], vcc
	s_cbranch_execz .LBB622_587
; %bb.582:                              ;   in Loop: Header=BB622_215 Depth=1
	v_cmp_ne_u16_e32 vcc, s9, v40
	v_bfrev_b32_e32 v57, 1
	s_and_saveexec_b64 s[18:19], vcc
	s_cbranch_execz .LBB622_586
; %bb.583:                              ;   in Loop: Header=BB622_215 Depth=1
	v_and_b32_e32 v58, 0x7f, v40
	v_cmp_ne_u32_e32 vcc, s11, v58
	v_mov_b32_e32 v57, 0x7f800001
	s_and_saveexec_b64 s[20:21], vcc
	s_cbranch_execz .LBB622_585
; %bb.584:                              ;   in Loop: Header=BB622_215 Depth=1
	v_and_b32_e32 v57, 7, v40
	v_ffbh_u32_e32 v60, v57
	v_min_u32_e32 v62, 32, v60
	v_subrev_u32_e32 v60, 28, v62
	v_lshlrev_b64 v[60:61], v60, v[40:41]
	v_lshrrev_b32_e32 v59, 3, v58
	v_sub_u32_e32 v40, 29, v62
	v_and_b32_e32 v60, 7, v60
	v_cmp_gt_u32_e32 vcc, 8, v58
	v_cndmask_b32_e32 v40, v59, v40, vcc
	v_cndmask_b32_e32 v57, v57, v60, vcc
	v_lshlrev_b32_e32 v58, 16, v38
	v_lshlrev_b32_e32 v57, 20, v57
	v_and_b32_e32 v58, 0x80000000, v58
	v_lshl_add_u32 v40, v40, 23, v55
	v_or3_b32 v57, v58, v40, v57
.LBB622_585:                            ;   in Loop: Header=BB622_215 Depth=1
	s_or_b64 exec, exec, s[20:21]
.LBB622_586:                            ;   in Loop: Header=BB622_215 Depth=1
	s_or_b64 exec, exec, s[18:19]
.LBB622_587:                            ;   in Loop: Header=BB622_215 Depth=1
	s_or_b64 exec, exec, s[16:17]
	v_lshrrev_b32_e32 v40, 16, v38
	v_cmp_ne_u16_sdwa s[18:19], v40, v52 src0_sel:BYTE_0 src1_sel:DWORD
	s_and_saveexec_b64 s[16:17], s[18:19]
	s_cbranch_execz .LBB622_593
; %bb.588:                              ;   in Loop: Header=BB622_215 Depth=1
	v_cmp_ne_u16_sdwa s[20:21], v40, s9 src0_sel:BYTE_0 src1_sel:DWORD
	v_bfrev_b32_e32 v42, 1
	s_and_saveexec_b64 s[18:19], s[20:21]
	s_cbranch_execz .LBB622_592
; %bb.589:                              ;   in Loop: Header=BB622_215 Depth=1
	v_bfe_u32 v58, v38, 16, 7
	v_cmp_ne_u32_e32 vcc, s11, v58
	v_mov_b32_e32 v42, 0x7f800001
	s_and_saveexec_b64 s[20:21], vcc
	s_cbranch_execz .LBB622_591
; %bb.590:                              ;   in Loop: Header=BB622_215 Depth=1
	v_and_b32_e32 v42, 7, v40
	v_ffbh_u32_e32 v60, v42
	v_min_u32_e32 v62, 32, v60
	v_subrev_u32_e32 v60, 28, v62
	v_lshlrev_b64 v[60:61], v60, v[40:41]
	v_lshrrev_b32_e32 v59, 3, v58
	v_sub_u32_e32 v61, 29, v62
	v_and_b32_e32 v60, 7, v60
	v_cmp_gt_u32_e32 vcc, 8, v58
	v_cndmask_b32_e32 v58, v59, v61, vcc
	v_cndmask_b32_e32 v42, v42, v60, vcc
	v_lshlrev_b32_e32 v40, 24, v40
	v_lshlrev_b32_e32 v42, 20, v42
	v_and_b32_e32 v40, 0x80000000, v40
	v_lshl_add_u32 v58, v58, 23, v55
	v_or3_b32 v42, v40, v58, v42
.LBB622_591:                            ;   in Loop: Header=BB622_215 Depth=1
	s_or_b64 exec, exec, s[20:21]
.LBB622_592:                            ;   in Loop: Header=BB622_215 Depth=1
	s_or_b64 exec, exec, s[18:19]
.LBB622_593:                            ;   in Loop: Header=BB622_215 Depth=1
	s_or_b64 exec, exec, s[16:17]
	v_cmp_lt_u32_e32 vcc, s22, v38
	v_mov_b32_e32 v58, 0
	s_and_saveexec_b64 s[16:17], vcc
	s_cbranch_execz .LBB622_214
; %bb.594:                              ;   in Loop: Header=BB622_215 Depth=1
	v_lshrrev_b32_e32 v40, 24, v38
	v_cmp_ne_u32_e32 vcc, s9, v40
	v_bfrev_b32_e32 v58, 1
	s_and_saveexec_b64 s[18:19], vcc
	s_cbranch_execz .LBB622_213
; %bb.595:                              ;   in Loop: Header=BB622_215 Depth=1
	v_bfe_u32 v38, v38, 24, 7
	v_cmp_ne_u32_e32 vcc, s11, v38
	v_mov_b32_e32 v58, 0x7f800001
	s_and_saveexec_b64 s[20:21], vcc
	s_cbranch_execz .LBB622_212
; %bb.596:                              ;   in Loop: Header=BB622_215 Depth=1
	v_and_b32_e32 v60, 7, v40
	v_ffbh_u32_e32 v58, v60
	v_min_u32_e32 v62, 32, v58
	v_subrev_u32_e32 v58, 28, v62
	v_lshlrev_b64 v[58:59], v58, v[40:41]
	v_lshrrev_b32_e32 v61, 3, v38
	v_sub_u32_e32 v59, 29, v62
	v_and_b32_e32 v58, 7, v58
	v_cmp_gt_u32_e32 vcc, 8, v38
	v_cndmask_b32_e32 v38, v61, v59, vcc
	v_cndmask_b32_e32 v58, v60, v58, vcc
	v_lshlrev_b32_e32 v40, 24, v40
	v_lshlrev_b32_e32 v58, 20, v58
	v_and_b32_e32 v40, 0x80000000, v40
	v_lshl_add_u32 v38, v38, 23, v55
	v_or3_b32 v58, v40, v38, v58
	s_branch .LBB622_212
.LBB622_597:
	s_barrier
	buffer_load_dword v2, off, s[0:3], 0 offset:320
	buffer_load_dword v5, off, s[0:3], 0 offset:332
	;; [unrolled: 1-line block ×4, first 2 shown]
	v_cmp_gt_u32_e32 vcc, 64, v0
	s_xor_b64 s[4:5], s[4:5], -1
	s_and_b64 s[4:5], vcc, s[4:5]
	s_waitcnt vmcnt(0)
	ds_write2st64_b64 v53, v[2:3], v[4:5] offset1:1
	s_waitcnt lgkmcnt(0)
	s_barrier
	s_and_saveexec_b64 s[6:7], s[4:5]
	s_cbranch_execz .LBB622_599
; %bb.598:
	s_mul_i32 s4, s53, s8
	s_lshl_b32 s6, s52, 7
	s_mul_hi_u32 s5, s4, s6
	s_mul_i32 s4, s4, s6
	v_lshlrev_b32_e32 v4, 6, v41
	s_lshl_b64 s[4:5], s[4:5], 1
	v_lshl_or_b32 v0, v0, 10, v4
	s_add_u32 s7, s54, s4
	v_lshlrev_b32_e32 v2, 5, v39
	v_and_b32_e32 v3, 16, v43
	v_and_b32_e32 v0, 0x1a00, v0
	s_addc_u32 s8, s55, s5
	s_lshl_b32 s4, s28, 7
	s_mov_b32 s5, 0
	v_or3_b32 v0, v0, v2, v3
	s_lshl_b64 s[4:5], s[4:5], 1
	ds_read_b128 v[2:5], v0
	s_add_u32 s7, s7, s4
	s_addc_u32 s8, s8, s5
	s_mul_hi_u32 s5, s6, s10
	s_mul_i32 s4, s6, s10
	s_lshl_b64 s[4:5], s[4:5], 1
	s_add_u32 s4, s7, s4
	s_addc_u32 s5, s8, s5
	s_waitcnt lgkmcnt(0)
	global_store_dwordx4 v1, v[2:5], s[4:5]
.LBB622_599:
	s_endpgm
	.section	.rodata,"a",@progbits
	.p2align	6, 0x0
	.amdhsa_kernel _Z39paged_attention_ll4mi_QKV_mfma16_kernelIDF16_hLN4vllm18Fp8KVCacheDataTypeE1EDF16_Li16ELi128ELi256ELb1ELi1EL8MFMAType0EEvPKT_PKT0_S8_ifPKiSA_SA_iPKfiiiPfSD_PS3_PT2_iSC_SC_
		.amdhsa_group_segment_fixed_size 8192
		.amdhsa_private_segment_fixed_size 352
		.amdhsa_kernarg_size 400
		.amdhsa_user_sgpr_count 8
		.amdhsa_user_sgpr_private_segment_buffer 1
		.amdhsa_user_sgpr_dispatch_ptr 0
		.amdhsa_user_sgpr_queue_ptr 0
		.amdhsa_user_sgpr_kernarg_segment_ptr 1
		.amdhsa_user_sgpr_dispatch_id 0
		.amdhsa_user_sgpr_flat_scratch_init 1
		.amdhsa_user_sgpr_kernarg_preload_length 0
		.amdhsa_user_sgpr_kernarg_preload_offset 0
		.amdhsa_user_sgpr_private_segment_size 0
		.amdhsa_uses_dynamic_stack 0
		.amdhsa_system_sgpr_private_segment_wavefront_offset 1
		.amdhsa_system_sgpr_workgroup_id_x 1
		.amdhsa_system_sgpr_workgroup_id_y 1
		.amdhsa_system_sgpr_workgroup_id_z 1
		.amdhsa_system_sgpr_workgroup_info 0
		.amdhsa_system_vgpr_workitem_id 0
		.amdhsa_next_free_vgpr 80
		.amdhsa_next_free_sgpr 56
		.amdhsa_accum_offset 80
		.amdhsa_reserve_vcc 1
		.amdhsa_reserve_flat_scratch 0
		.amdhsa_float_round_mode_32 0
		.amdhsa_float_round_mode_16_64 0
		.amdhsa_float_denorm_mode_32 3
		.amdhsa_float_denorm_mode_16_64 3
		.amdhsa_dx10_clamp 1
		.amdhsa_ieee_mode 1
		.amdhsa_fp16_overflow 0
		.amdhsa_tg_split 0
		.amdhsa_exception_fp_ieee_invalid_op 0
		.amdhsa_exception_fp_denorm_src 0
		.amdhsa_exception_fp_ieee_div_zero 0
		.amdhsa_exception_fp_ieee_overflow 0
		.amdhsa_exception_fp_ieee_underflow 0
		.amdhsa_exception_fp_ieee_inexact 0
		.amdhsa_exception_int_div_zero 0
	.end_amdhsa_kernel
	.section	.text._Z39paged_attention_ll4mi_QKV_mfma16_kernelIDF16_hLN4vllm18Fp8KVCacheDataTypeE1EDF16_Li16ELi128ELi256ELb1ELi1EL8MFMAType0EEvPKT_PKT0_S8_ifPKiSA_SA_iPKfiiiPfSD_PS3_PT2_iSC_SC_,"axG",@progbits,_Z39paged_attention_ll4mi_QKV_mfma16_kernelIDF16_hLN4vllm18Fp8KVCacheDataTypeE1EDF16_Li16ELi128ELi256ELb1ELi1EL8MFMAType0EEvPKT_PKT0_S8_ifPKiSA_SA_iPKfiiiPfSD_PS3_PT2_iSC_SC_,comdat
.Lfunc_end622:
	.size	_Z39paged_attention_ll4mi_QKV_mfma16_kernelIDF16_hLN4vllm18Fp8KVCacheDataTypeE1EDF16_Li16ELi128ELi256ELb1ELi1EL8MFMAType0EEvPKT_PKT0_S8_ifPKiSA_SA_iPKfiiiPfSD_PS3_PT2_iSC_SC_, .Lfunc_end622-_Z39paged_attention_ll4mi_QKV_mfma16_kernelIDF16_hLN4vllm18Fp8KVCacheDataTypeE1EDF16_Li16ELi128ELi256ELb1ELi1EL8MFMAType0EEvPKT_PKT0_S8_ifPKiSA_SA_iPKfiiiPfSD_PS3_PT2_iSC_SC_
                                        ; -- End function
	.section	.AMDGPU.csdata,"",@progbits
; Kernel info:
; codeLenInByte = 21256
; NumSgprs: 60
; NumVgprs: 80
; NumAgprs: 0
; TotalNumVgprs: 80
; ScratchSize: 352
; MemoryBound: 0
; FloatMode: 240
; IeeeMode: 1
; LDSByteSize: 8192 bytes/workgroup (compile time only)
; SGPRBlocks: 7
; VGPRBlocks: 9
; NumSGPRsForWavesPerEU: 60
; NumVGPRsForWavesPerEU: 80
; AccumOffset: 80
; Occupancy: 6
; WaveLimiterHint : 1
; COMPUTE_PGM_RSRC2:SCRATCH_EN: 1
; COMPUTE_PGM_RSRC2:USER_SGPR: 8
; COMPUTE_PGM_RSRC2:TRAP_HANDLER: 0
; COMPUTE_PGM_RSRC2:TGID_X_EN: 1
; COMPUTE_PGM_RSRC2:TGID_Y_EN: 1
; COMPUTE_PGM_RSRC2:TGID_Z_EN: 1
; COMPUTE_PGM_RSRC2:TIDIG_COMP_CNT: 0
; COMPUTE_PGM_RSRC3_GFX90A:ACCUM_OFFSET: 19
; COMPUTE_PGM_RSRC3_GFX90A:TG_SPLIT: 0
	.section	.text._Z39paged_attention_ll4mi_QKV_mfma16_kernelIDF16_hLN4vllm18Fp8KVCacheDataTypeE1EDF16_Li16ELi128ELi256ELb1ELi2EL8MFMAType0EEvPKT_PKT0_S8_ifPKiSA_SA_iPKfiiiPfSD_PS3_PT2_iSC_SC_,"axG",@progbits,_Z39paged_attention_ll4mi_QKV_mfma16_kernelIDF16_hLN4vllm18Fp8KVCacheDataTypeE1EDF16_Li16ELi128ELi256ELb1ELi2EL8MFMAType0EEvPKT_PKT0_S8_ifPKiSA_SA_iPKfiiiPfSD_PS3_PT2_iSC_SC_,comdat
	.protected	_Z39paged_attention_ll4mi_QKV_mfma16_kernelIDF16_hLN4vllm18Fp8KVCacheDataTypeE1EDF16_Li16ELi128ELi256ELb1ELi2EL8MFMAType0EEvPKT_PKT0_S8_ifPKiSA_SA_iPKfiiiPfSD_PS3_PT2_iSC_SC_ ; -- Begin function _Z39paged_attention_ll4mi_QKV_mfma16_kernelIDF16_hLN4vllm18Fp8KVCacheDataTypeE1EDF16_Li16ELi128ELi256ELb1ELi2EL8MFMAType0EEvPKT_PKT0_S8_ifPKiSA_SA_iPKfiiiPfSD_PS3_PT2_iSC_SC_
	.globl	_Z39paged_attention_ll4mi_QKV_mfma16_kernelIDF16_hLN4vllm18Fp8KVCacheDataTypeE1EDF16_Li16ELi128ELi256ELb1ELi2EL8MFMAType0EEvPKT_PKT0_S8_ifPKiSA_SA_iPKfiiiPfSD_PS3_PT2_iSC_SC_
	.p2align	8
	.type	_Z39paged_attention_ll4mi_QKV_mfma16_kernelIDF16_hLN4vllm18Fp8KVCacheDataTypeE1EDF16_Li16ELi128ELi256ELb1ELi2EL8MFMAType0EEvPKT_PKT0_S8_ifPKiSA_SA_iPKfiiiPfSD_PS3_PT2_iSC_SC_,@function
_Z39paged_attention_ll4mi_QKV_mfma16_kernelIDF16_hLN4vllm18Fp8KVCacheDataTypeE1EDF16_Li16ELi128ELi256ELb1ELi2EL8MFMAType0EEvPKT_PKT0_S8_ifPKiSA_SA_iPKfiiiPfSD_PS3_PT2_iSC_SC_: ; @_Z39paged_attention_ll4mi_QKV_mfma16_kernelIDF16_hLN4vllm18Fp8KVCacheDataTypeE1EDF16_Li16ELi128ELi256ELb1ELi2EL8MFMAType0EEvPKT_PKT0_S8_ifPKiSA_SA_iPKfiiiPfSD_PS3_PT2_iSC_SC_
; %bb.0:
	s_load_dwordx2 s[6:7], s[4:5], 0x30
	s_add_u32 s0, s0, s11
	s_addc_u32 s1, s1, 0
	s_mov_b32 s26, s9
	s_mov_b64 s[14:15], 0
	s_waitcnt lgkmcnt(0)
	s_cmp_lg_u64 s[6:7], 0
	s_cselect_b64 s[12:13], -1, 0
	s_and_b64 vcc, exec, s[12:13]
	s_cbranch_vccz .LBB623_7
; %bb.1:
	s_add_i32 s16, s8, 1
	s_mov_b32 s17, 0
	s_lshl_b64 s[18:19], s[16:17], 2
	s_add_u32 s18, s6, s18
	s_mov_b32 s9, s17
	s_addc_u32 s19, s7, s19
	s_lshl_b64 s[16:17], s[8:9], 2
	s_add_u32 s16, s6, s16
	s_addc_u32 s17, s7, s17
	s_load_dword s11, s[18:19], 0x0
	s_load_dword s20, s[16:17], 0x0
	s_waitcnt lgkmcnt(0)
	s_sub_i32 s11, s11, s20
	s_cmp_eq_u32 s11, 1
	s_cselect_b64 s[16:17], -1, 0
	s_andn2_b64 vcc, exec, s[14:15]
	s_cbranch_vccnz .LBB623_3
.LBB623_2:
	s_mov_b32 s9, 0
	s_mov_b64 s[16:17], -1
.LBB623_3:
	s_andn2_b64 vcc, exec, s[16:17]
	s_cbranch_vccnz .LBB623_599
; %bb.4:
	s_load_dwordx2 s[16:17], s[4:5], 0x28
	s_lshl_b64 s[14:15], s[8:9], 2
	s_waitcnt lgkmcnt(0)
	s_add_u32 s16, s16, s14
	s_addc_u32 s17, s17, s15
	s_load_dword s33, s[16:17], 0x0
	s_lshl_b32 s20, s26, 8
	s_waitcnt lgkmcnt(0)
	s_cmp_ge_i32 s20, s33
	s_cbranch_scc1 .LBB623_599
; %bb.5:
	s_add_i32 s18, s33, 15
	s_load_dwordx2 s[16:17], s[4:5], 0x20
	s_load_dword s11, s[4:5], 0x38
	s_ashr_i32 s19, s18, 31
	v_and_b32_e32 v1, 0xcf, v0
	s_lshr_b32 s19, s19, 28
	v_add_u32_e32 v1, s20, v1
	s_add_i32 s18, s18, s19
	v_ashrrev_i32_e32 v2, 31, v1
	s_ashr_i32 s23, s18, 4
	v_lshrrev_b32_e32 v4, 28, v2
	s_add_i32 s23, s23, -1
	v_add_u32_e32 v2, v1, v4
	s_waitcnt lgkmcnt(0)
	s_mul_i32 s18, s8, s11
	s_mov_b32 s19, 0
	v_ashrrev_i32_e32 v2, 4, v2
	v_mov_b32_e32 v5, s23
	v_cmp_gt_i32_e32 vcc, s33, v1
	s_lshl_b64 s[18:19], s[18:19], 2
	v_cndmask_b32_e32 v2, v5, v2, vcc
	s_add_u32 s21, s16, s18
	v_ashrrev_i32_e32 v3, 31, v2
	s_addc_u32 s22, s17, s19
	v_lshlrev_b64 v[2:3], 2, v[2:3]
	v_mov_b32_e32 v7, s22
	v_add_co_u32_e32 v6, vcc, s21, v2
	v_or_b32_e32 v2, 16, v1
	v_addc_co_u32_e32 v7, vcc, v7, v3, vcc
	v_add_u32_e32 v3, v2, v4
	v_ashrrev_i32_e32 v3, 4, v3
	v_cmp_gt_i32_e32 vcc, s33, v2
	v_cndmask_b32_e32 v2, v5, v3, vcc
	v_ashrrev_i32_e32 v3, 31, v2
	v_lshlrev_b64 v[2:3], 2, v[2:3]
	v_mov_b32_e32 v9, s22
	v_add_co_u32_e32 v8, vcc, s21, v2
	v_or_b32_e32 v2, 32, v1
	v_addc_co_u32_e32 v9, vcc, v9, v3, vcc
	v_add_u32_e32 v3, v2, v4
	v_ashrrev_i32_e32 v3, 4, v3
	v_cmp_gt_i32_e32 vcc, s33, v2
	v_cndmask_b32_e32 v2, v5, v3, vcc
	v_ashrrev_i32_e32 v3, 31, v2
	;; [unrolled: 10-line block ×3, first 2 shown]
	v_lshlrev_b64 v[2:3], 2, v[2:3]
	v_mov_b32_e32 v1, s22
	v_add_co_u32_e32 v12, vcc, s21, v2
	v_addc_co_u32_e32 v13, vcc, v1, v3, vcc
	global_load_dword v5, v[6:7], off
	global_load_dword v4, v[8:9], off
	;; [unrolled: 1-line block ×4, first 2 shown]
	s_load_dwordx2 s[16:17], s[4:5], 0x8
	s_andn2_b64 vcc, exec, s[12:13]
	s_cbranch_vccnz .LBB623_8
; %bb.6:
	s_add_u32 s6, s6, s14
	s_addc_u32 s7, s7, s15
	s_load_dword s11, s[6:7], 0x0
	s_branch .LBB623_9
.LBB623_7:
	s_mov_b64 s[16:17], 0
	s_branch .LBB623_2
.LBB623_8:
	s_mov_b32 s11, s8
.LBB623_9:
	s_load_dwordx2 s[6:7], s[4:5], 0x10
	s_load_dwordx4 s[12:15], s[4:5], 0x48
	v_lshrrev_b32_e32 v27, 6, v0
	v_bfe_u32 v39, v0, 4, 2
	v_and_b32_e32 v41, 15, v0
	v_lshl_or_b32 v6, v27, 2, v39
	v_lshlrev_b32_e32 v1, 3, v41
	s_lshl_b32 s27, s10, 1
	v_cmp_gt_u32_e32 vcc, 2, v6
	v_lshlrev_b32_e32 v1, 1, v1
	v_lshlrev_b32_e32 v43, 4, v0
	s_and_saveexec_b64 s[18:19], vcc
	s_cbranch_execz .LBB623_11
; %bb.10:
	s_load_dwordx2 s[24:25], s[4:5], 0x0
	s_waitcnt lgkmcnt(0)
	s_ashr_i32 s15, s12, 31
	s_mul_hi_u32 s28, s11, s12
	s_mul_i32 s15, s11, s15
	s_add_i32 s29, s28, s15
	s_mul_i32 s28, s11, s12
	s_lshl_b64 s[28:29], s[28:29], 1
	v_add_lshl_u32 v8, v39, s27, 7
	s_add_u32 s11, s24, s28
	v_ashrrev_i32_e32 v9, 31, v8
	s_addc_u32 s12, s25, s29
	v_lshlrev_b64 v[8:9], 1, v[8:9]
	v_mov_b32_e32 v7, s12
	v_add_co_u32_e32 v8, vcc, s11, v8
	v_addc_co_u32_e32 v7, vcc, v7, v9, vcc
	v_add_co_u32_e32 v8, vcc, v8, v1
	v_addc_co_u32_e32 v9, vcc, 0, v7, vcc
	global_load_dwordx4 v[8:11], v[8:9], off
	v_lshlrev_b32_e32 v12, 8, v0
	v_lshlrev_b32_e32 v7, 8, v41
	v_and_b32_e32 v12, 0x600, v12
	s_movk_i32 s11, 0x800
	v_and_or_b32 v7, v7, s11, v12
	v_lshlrev_b32_e32 v6, 5, v6
	v_and_b32_e32 v12, 16, v43
	v_or3_b32 v6, v7, v6, v12
	s_waitcnt vmcnt(0)
	ds_write_b128 v6, v[8:11]
.LBB623_11:
	s_or_b64 exec, exec, s[18:19]
	s_waitcnt lgkmcnt(0)
	s_mul_i32 s14, s10, s14
	s_add_u32 s10, s16, s14
	s_addc_u32 s11, s17, 0
	v_and_b32_e32 v6, 0xf0, v43
	v_mov_b32_e32 v7, s11
	v_add_co_u32_e32 v6, vcc, s10, v6
	v_and_b32_e32 v18, 48, v0
	v_addc_co_u32_e32 v7, vcc, 0, v7, vcc
	v_lshlrev_b32_e32 v10, 4, v18
	s_waitcnt vmcnt(3)
	v_mad_i64_i32 v[8:9], s[10:11], v5, s13, v[6:7]
	v_add_co_u32_e32 v8, vcc, v8, v10
	v_addc_co_u32_e32 v9, vcc, 0, v9, vcc
	s_waitcnt vmcnt(2)
	v_mad_i64_i32 v[4:5], s[10:11], v4, s13, v[6:7]
	v_add_co_u32_e32 v4, vcc, v4, v10
	v_addc_co_u32_e32 v5, vcc, 0, v5, vcc
	s_load_dwordx2 s[48:49], s[4:5], 0x94
	s_waitcnt lgkmcnt(0)
	s_barrier
	global_load_dwordx4 v[20:23], v[8:9], off
	global_load_dwordx4 v[28:31], v[8:9], off offset:1024
	global_load_dwordx4 v[32:35], v[4:5], off
	global_load_dwordx4 v[44:47], v[4:5], off offset:1024
	s_waitcnt vmcnt(5)
	v_mad_i64_i32 v[4:5], s[10:11], v3, s13, v[6:7]
	v_add_co_u32_e32 v4, vcc, v4, v10
	v_addc_co_u32_e32 v5, vcc, 0, v5, vcc
	s_waitcnt vmcnt(4)
	v_mad_i64_i32 v[2:3], s[10:11], v2, s13, v[6:7]
	v_add_co_u32_e32 v2, vcc, v2, v10
	v_addc_co_u32_e32 v3, vcc, 0, v3, vcc
	global_load_dwordx4 v[48:51], v[4:5], off
	global_load_dwordx4 v[52:55], v[4:5], off offset:1024
	global_load_dwordx4 v[56:59], v[2:3], off
	global_load_dwordx4 v[60:63], v[2:3], off offset:1024
	v_and_b32_e32 v2, 1, v0
	v_lshlrev_b32_e32 v2, 5, v2
	v_lshl_or_b32 v14, v39, 9, v2
	s_load_dwordx2 s[50:51], s[4:5], 0x68
	s_load_dwordx4 s[44:47], s[4:5], 0x58
	ds_read_b128 v[2:5], v14
	ds_read_b128 v[6:9], v14 offset:16
	ds_read_b128 v[10:13], v14 offset:2048
	;; [unrolled: 1-line block ×3, first 2 shown]
	s_mov_b32 s12, 0
	v_cmp_gt_u32_e32 vcc, 2, v41
	s_waitcnt vmcnt(7)
	buffer_store_dword v23, off, s[0:3], 0 offset:12
	buffer_store_dword v22, off, s[0:3], 0 offset:8
	;; [unrolled: 1-line block ×3, first 2 shown]
	buffer_store_dword v20, off, s[0:3], 0
	s_waitcnt vmcnt(10)
	buffer_store_dword v31, off, s[0:3], 0 offset:28
	buffer_store_dword v30, off, s[0:3], 0 offset:24
	buffer_store_dword v29, off, s[0:3], 0 offset:20
	buffer_store_dword v28, off, s[0:3], 0 offset:16
	s_waitcnt vmcnt(13)
	buffer_store_dword v35, off, s[0:3], 0 offset:44
	buffer_store_dword v34, off, s[0:3], 0 offset:40
	buffer_store_dword v33, off, s[0:3], 0 offset:36
	buffer_store_dword v32, off, s[0:3], 0 offset:32
	;; [unrolled: 5-line block ×7, first 2 shown]
	v_mov_b32_e32 v33, 0
	v_mov_b32_e32 v31, 0
	s_and_saveexec_b64 s[10:11], vcc
	s_cbranch_execz .LBB623_13
; %bb.12:
	s_load_dwordx2 s[16:17], s[4:5], 0x40
	v_or_b32_e32 v20, s27, v41
	v_ashrrev_i32_e32 v21, 31, v20
	v_lshlrev_b64 v[20:21], 2, v[20:21]
	s_waitcnt lgkmcnt(0)
	v_mov_b32_e32 v19, s17
	v_add_co_u32_e32 v20, vcc, s16, v20
	v_addc_co_u32_e32 v21, vcc, v19, v21, vcc
	global_load_dword v31, v[20:21], off
.LBB623_13:
	s_or_b64 exec, exec, s[10:11]
	v_or_b32_e32 v22, s20, v18
	v_ashrrev_i32_e32 v18, 4, v22
	v_mov_b32_e32 v23, s23
	v_cmp_gt_i32_e32 vcc, s33, v22
	v_cndmask_b32_e32 v18, v23, v18, vcc
	v_ashrrev_i32_e32 v19, 31, v18
	v_lshlrev_b64 v[18:19], 2, v[18:19]
	v_mov_b32_e32 v20, s22
	v_add_co_u32_e32 v18, vcc, s21, v18
	v_addc_co_u32_e32 v19, vcc, v20, v19, vcc
	global_load_dword v26, v[18:19], off
	v_or_b32_e32 v18, 64, v22
	v_ashrrev_i32_e32 v19, 4, v18
	v_cmp_gt_i32_e32 vcc, s33, v18
	v_cndmask_b32_e32 v18, v23, v19, vcc
	v_ashrrev_i32_e32 v19, 31, v18
	v_lshlrev_b64 v[18:19], 2, v[18:19]
	v_add_co_u32_e32 v18, vcc, s21, v18
	v_addc_co_u32_e32 v19, vcc, v20, v19, vcc
	v_or_b32_e32 v20, 0x80, v22
	v_ashrrev_i32_e32 v21, 4, v20
	v_cmp_gt_i32_e32 vcc, s33, v20
	v_cndmask_b32_e32 v20, v23, v21, vcc
	v_ashrrev_i32_e32 v21, 31, v20
	v_lshlrev_b64 v[20:21], 2, v[20:21]
	v_mov_b32_e32 v24, s22
	v_add_co_u32_e32 v20, vcc, s21, v20
	v_addc_co_u32_e32 v21, vcc, v24, v21, vcc
	global_load_dword v28, v[18:19], off
	global_load_dword v30, v[20:21], off
	v_or_b32_e32 v18, 0xc0, v22
	v_ashrrev_i32_e32 v19, 4, v18
	v_cmp_gt_i32_e32 vcc, s33, v18
	v_cndmask_b32_e32 v18, v23, v19, vcc
	v_ashrrev_i32_e32 v19, 31, v18
	v_lshlrev_b64 v[18:19], 2, v[18:19]
	v_mov_b32_e32 v20, s22
	v_add_co_u32_e32 v18, vcc, s21, v18
	v_addc_co_u32_e32 v19, vcc, v20, v19, vcc
	global_load_dword v32, v[18:19], off
	s_add_u32 s10, s6, s14
	v_lshl_or_b32 v29, v27, 4, v41
	s_addc_u32 s6, s7, 0
	v_lshlrev_b32_e32 v18, 4, v29
	v_mov_b32_e32 v19, s6
	v_add_co_u32_e32 v22, vcc, s10, v18
	v_addc_co_u32_e32 v23, vcc, 0, v19, vcc
	v_or_b32_e32 v24, 0x400, v18
	v_mov_b32_e32 v25, s6
	v_add_co_u32_e32 v24, vcc, s10, v24
	v_addc_co_u32_e32 v25, vcc, 0, v25, vcc
	v_and_b32_e32 v45, 63, v0
	s_movk_i32 s14, 0x7f
	s_mov_b32 s15, 0xffffff
	v_mov_b32_e32 v36, 0x100
	v_bfrev_b32_e32 v37, 60
	s_waitcnt vmcnt(3)
	v_mad_i64_i32 v[18:19], s[6:7], v26, s13, v[22:23]
	global_load_dwordx4 v[18:21], v[18:19], off
	v_mad_i64_i32 v[34:35], s[6:7], v26, s13, v[24:25]
	global_load_dwordx4 v[54:57], v[34:35], off
	s_waitcnt vmcnt(4)
	v_mad_i64_i32 v[34:35], s[6:7], v28, s13, v[22:23]
	global_load_dwordx4 v[58:61], v[34:35], off
	s_waitcnt vmcnt(4)
	;; [unrolled: 3-line block ×3, first 2 shown]
	v_mad_i64_i32 v[22:23], s[6:7], v32, s13, v[22:23]
	global_load_dwordx4 v[66:69], v[22:23], off
	v_mad_i64_i32 v[22:23], s[6:7], v28, s13, v[24:25]
	global_load_dwordx4 v[70:73], v[22:23], off
	;; [unrolled: 2-line block ×4, first 2 shown]
	s_load_dword s6, s[4:5], 0x1c
	s_load_dwordx4 s[40:43], s[4:5], 0x80
	v_mov_b32_e32 v22, 0x80
	v_add_u32_e32 v47, 16, v22
	v_add_u32_e32 v46, 32, v22
	;; [unrolled: 1-line block ×3, first 2 shown]
	s_waitcnt lgkmcnt(0)
	s_load_dword s4, s[40:41], 0x0
	v_add_u32_e32 v52, 64, v22
	v_add_u32_e32 v49, 0x50, v22
	;; [unrolled: 1-line block ×4, first 2 shown]
	v_mov_b32_e32 v22, s6
	s_waitcnt lgkmcnt(0)
	v_mul_f32_e32 v22, s4, v22
	s_movk_i32 s13, 0x80
	v_mov_b32_e32 v35, 0
	v_mov_b32_e32 v24, v22
	;; [unrolled: 1-line block ×3, first 2 shown]
	s_waitcnt vmcnt(7)
	buffer_store_dword v21, off, s[0:3], 0 offset:140
	buffer_store_dword v20, off, s[0:3], 0 offset:136
	buffer_store_dword v19, off, s[0:3], 0 offset:132
	buffer_store_dword v18, off, s[0:3], 0 offset:128
	s_waitcnt vmcnt(10)
	buffer_store_dword v57, off, s[0:3], 0 offset:156
	buffer_store_dword v56, off, s[0:3], 0 offset:152
	buffer_store_dword v55, off, s[0:3], 0 offset:148
	buffer_store_dword v54, off, s[0:3], 0 offset:144
	;; [unrolled: 5-line block ×8, first 2 shown]
	s_branch .LBB623_17
.LBB623_14:                             ;   in Loop: Header=BB623_17 Depth=1
	s_or_b64 exec, exec, s[10:11]
.LBB623_15:                             ;   in Loop: Header=BB623_17 Depth=1
	s_or_b64 exec, exec, s[6:7]
.LBB623_16:                             ;   in Loop: Header=BB623_17 Depth=1
	s_or_b64 exec, exec, s[4:5]
	v_cvt_pkrtz_f16_f32 v54, v34, v32
	v_cvt_pkrtz_f16_f32 v55, v23, v40
	v_add_u32_e32 v26, s12, v36
	s_add_i32 s12, s12, 16
	v_mov_b32_e32 v23, v22
	v_mfma_f32_16x16x16f16 v[18:21], v[54:55], v[14:15], v[18:21]
	v_cvt_pkrtz_f16_f32 v54, v38, v42
	v_cvt_pkrtz_f16_f32 v55, v30, v44
	s_cmp_eq_u32 s12, 64
	v_add_u32_e32 v35, 32, v35
	v_mfma_f32_16x16x16f16 v[18:21], v[54:55], v[16:17], v[18:21]
	s_nop 7
	s_nop 2
	v_pk_mul_f32 v[18:19], v[24:25], v[18:19]
	v_pk_mul_f32 v[20:21], v[22:23], v[20:21]
	buffer_store_dword v19, v26, s[0:3], 0 offen offset:4
	buffer_store_dword v18, v26, s[0:3], 0 offen
	buffer_store_dword v21, v26, s[0:3], 0 offen offset:12
	buffer_store_dword v20, v26, s[0:3], 0 offen offset:8
	s_cbranch_scc1 .LBB623_207
.LBB623_17:                             ; =>This Inner Loop Header: Depth=1
	buffer_load_dword v20, v35, s[0:3], 0 offen
	buffer_load_dword v18, v35, s[0:3], 0 offen offset:4
	buffer_load_dword v28, v35, s[0:3], 0 offen offset:8
	;; [unrolled: 1-line block ×3, first 2 shown]
	v_mov_b32_e32 v19, 0
	v_mov_b32_e32 v21, 0
	s_waitcnt vmcnt(3)
	v_cmp_ne_u16_sdwa s[6:7], v20, v33 src0_sel:BYTE_0 src1_sel:DWORD
	s_and_saveexec_b64 s[4:5], s[6:7]
	s_cbranch_execz .LBB623_23
; %bb.18:                               ;   in Loop: Header=BB623_17 Depth=1
	v_cmp_ne_u16_sdwa s[10:11], v20, s13 src0_sel:BYTE_0 src1_sel:DWORD
	v_bfrev_b32_e32 v21, 1
	s_and_saveexec_b64 s[6:7], s[10:11]
	s_cbranch_execz .LBB623_22
; %bb.19:                               ;   in Loop: Header=BB623_17 Depth=1
	v_and_b32_e32 v23, 0x7f, v20
	v_cmp_ne_u32_e32 vcc, s14, v23
	v_mov_b32_e32 v21, 0x7f800001
	s_and_saveexec_b64 s[10:11], vcc
	s_cbranch_execz .LBB623_21
; %bb.20:                               ;   in Loop: Header=BB623_17 Depth=1
	v_and_b32_e32 v21, 7, v20
	v_ffbh_u32_e32 v32, v21
	v_min_u32_e32 v32, 32, v32
	v_subrev_u32_e32 v34, 28, v32
	v_lshlrev_b64 v[54:55], v34, v[20:21]
	v_lshrrev_b32_e32 v30, 3, v23
	v_sub_u32_e32 v32, 29, v32
	v_and_b32_e32 v34, 7, v54
	v_cmp_gt_u32_e32 vcc, 8, v23
	v_cndmask_b32_e32 v23, v30, v32, vcc
	v_cndmask_b32_e32 v21, v21, v34, vcc
	v_lshlrev_b32_e32 v30, 24, v20
	v_lshlrev_b32_e32 v21, 20, v21
	v_and_b32_e32 v30, 0x80000000, v30
	v_lshl_add_u32 v23, v23, 23, v37
	v_or3_b32 v21, v30, v23, v21
.LBB623_21:                             ;   in Loop: Header=BB623_17 Depth=1
	s_or_b64 exec, exec, s[10:11]
.LBB623_22:                             ;   in Loop: Header=BB623_17 Depth=1
	s_or_b64 exec, exec, s[6:7]
.LBB623_23:                             ;   in Loop: Header=BB623_17 Depth=1
	s_or_b64 exec, exec, s[4:5]
	v_lshrrev_b16_e32 v30, 8, v20
	v_cmp_ne_u16_e32 vcc, 0, v30
	s_and_saveexec_b64 s[4:5], vcc
	s_cbranch_execz .LBB623_29
; %bb.24:                               ;   in Loop: Header=BB623_17 Depth=1
	v_cmp_ne_u16_e32 vcc, s13, v30
	v_bfrev_b32_e32 v19, 1
	s_and_saveexec_b64 s[6:7], vcc
	s_cbranch_execz .LBB623_28
; %bb.25:                               ;   in Loop: Header=BB623_17 Depth=1
	v_and_b32_e32 v23, 0x7f, v30
	v_cmp_ne_u32_e32 vcc, s14, v23
	v_mov_b32_e32 v19, 0x7f800001
	s_and_saveexec_b64 s[10:11], vcc
	s_cbranch_execz .LBB623_27
; %bb.26:                               ;   in Loop: Header=BB623_17 Depth=1
	v_and_b32_e32 v19, 7, v30
	v_ffbh_u32_e32 v34, v19
	v_min_u32_e32 v34, 32, v34
	v_subrev_u32_e32 v38, 28, v34
	v_lshlrev_b64 v[54:55], v38, v[30:31]
	v_lshrrev_b32_e32 v32, 3, v23
	v_sub_u32_e32 v30, 29, v34
	v_and_b32_e32 v34, 7, v54
	v_cmp_gt_u32_e32 vcc, 8, v23
	v_cndmask_b32_e32 v23, v32, v30, vcc
	v_cndmask_b32_e32 v19, v19, v34, vcc
	v_lshlrev_b32_e32 v30, 16, v20
	v_lshlrev_b32_e32 v19, 20, v19
	v_and_b32_e32 v30, 0x80000000, v30
	v_lshl_add_u32 v23, v23, 23, v37
	v_or3_b32 v19, v30, v23, v19
.LBB623_27:                             ;   in Loop: Header=BB623_17 Depth=1
	s_or_b64 exec, exec, s[10:11]
.LBB623_28:                             ;   in Loop: Header=BB623_17 Depth=1
	s_or_b64 exec, exec, s[6:7]
.LBB623_29:                             ;   in Loop: Header=BB623_17 Depth=1
	s_or_b64 exec, exec, s[4:5]
	v_lshrrev_b32_e32 v30, 16, v20
	v_cmp_ne_u16_sdwa s[6:7], v30, v33 src0_sel:BYTE_0 src1_sel:DWORD
	v_mov_b32_e32 v32, 0
	v_mov_b32_e32 v23, 0
	s_and_saveexec_b64 s[4:5], s[6:7]
	s_cbranch_execz .LBB623_35
; %bb.30:                               ;   in Loop: Header=BB623_17 Depth=1
	v_cmp_ne_u16_sdwa s[10:11], v30, s13 src0_sel:BYTE_0 src1_sel:DWORD
	v_bfrev_b32_e32 v23, 1
	s_and_saveexec_b64 s[6:7], s[10:11]
	s_cbranch_execz .LBB623_34
; %bb.31:                               ;   in Loop: Header=BB623_17 Depth=1
	v_bfe_u32 v34, v20, 16, 7
	v_cmp_ne_u32_e32 vcc, s14, v34
	v_mov_b32_e32 v23, 0x7f800001
	s_and_saveexec_b64 s[10:11], vcc
	s_cbranch_execz .LBB623_33
; %bb.32:                               ;   in Loop: Header=BB623_17 Depth=1
	v_and_b32_e32 v23, 7, v30
	v_ffbh_u32_e32 v40, v23
	v_min_u32_e32 v40, 32, v40
	v_subrev_u32_e32 v42, 28, v40
	v_lshlrev_b64 v[54:55], v42, v[30:31]
	v_lshrrev_b32_e32 v38, 3, v34
	v_sub_u32_e32 v40, 29, v40
	v_and_b32_e32 v42, 7, v54
	v_cmp_gt_u32_e32 vcc, 8, v34
	v_cndmask_b32_e32 v34, v38, v40, vcc
	v_cndmask_b32_e32 v23, v23, v42, vcc
	v_lshlrev_b32_e32 v30, 24, v30
	v_lshlrev_b32_e32 v23, 20, v23
	v_and_b32_e32 v30, 0x80000000, v30
	v_lshl_add_u32 v34, v34, 23, v37
	v_or3_b32 v23, v30, v34, v23
.LBB623_33:                             ;   in Loop: Header=BB623_17 Depth=1
	s_or_b64 exec, exec, s[10:11]
.LBB623_34:                             ;   in Loop: Header=BB623_17 Depth=1
	s_or_b64 exec, exec, s[6:7]
.LBB623_35:                             ;   in Loop: Header=BB623_17 Depth=1
	s_or_b64 exec, exec, s[4:5]
	v_cmp_lt_u32_e32 vcc, s15, v20
	s_and_saveexec_b64 s[4:5], vcc
	s_cbranch_execz .LBB623_41
; %bb.36:                               ;   in Loop: Header=BB623_17 Depth=1
	v_lshrrev_b32_e32 v30, 24, v20
	v_cmp_ne_u32_e32 vcc, s13, v30
	v_bfrev_b32_e32 v32, 1
	s_and_saveexec_b64 s[6:7], vcc
	s_cbranch_execz .LBB623_40
; %bb.37:                               ;   in Loop: Header=BB623_17 Depth=1
	v_bfe_u32 v20, v20, 24, 7
	v_cmp_ne_u32_e32 vcc, s14, v20
	v_mov_b32_e32 v32, 0x7f800001
	s_and_saveexec_b64 s[10:11], vcc
	s_cbranch_execz .LBB623_39
; %bb.38:                               ;   in Loop: Header=BB623_17 Depth=1
	v_and_b32_e32 v32, 7, v30
	v_ffbh_u32_e32 v38, v32
	v_min_u32_e32 v38, 32, v38
	v_subrev_u32_e32 v40, 28, v38
	v_lshlrev_b64 v[54:55], v40, v[30:31]
	v_lshrrev_b32_e32 v34, 3, v20
	v_sub_u32_e32 v38, 29, v38
	v_and_b32_e32 v40, 7, v54
	v_cmp_gt_u32_e32 vcc, 8, v20
	v_cndmask_b32_e32 v20, v34, v38, vcc
	v_cndmask_b32_e32 v32, v32, v40, vcc
	v_lshlrev_b32_e32 v30, 24, v30
	v_lshlrev_b32_e32 v32, 20, v32
	v_and_b32_e32 v30, 0x80000000, v30
	v_lshl_add_u32 v20, v20, 23, v37
	v_or3_b32 v32, v30, v20, v32
.LBB623_39:                             ;   in Loop: Header=BB623_17 Depth=1
	s_or_b64 exec, exec, s[10:11]
.LBB623_40:                             ;   in Loop: Header=BB623_17 Depth=1
	s_or_b64 exec, exec, s[6:7]
.LBB623_41:                             ;   in Loop: Header=BB623_17 Depth=1
	s_or_b64 exec, exec, s[4:5]
	s_waitcnt vmcnt(2)
	v_cmp_ne_u16_sdwa s[6:7], v18, v33 src0_sel:BYTE_0 src1_sel:DWORD
	v_mov_b32_e32 v30, 0
	v_mov_b32_e32 v34, 0
	s_and_saveexec_b64 s[4:5], s[6:7]
	s_cbranch_execz .LBB623_47
; %bb.42:                               ;   in Loop: Header=BB623_17 Depth=1
	v_cmp_ne_u16_sdwa s[10:11], v18, s13 src0_sel:BYTE_0 src1_sel:DWORD
	v_bfrev_b32_e32 v34, 1
	s_and_saveexec_b64 s[6:7], s[10:11]
	s_cbranch_execz .LBB623_46
; %bb.43:                               ;   in Loop: Header=BB623_17 Depth=1
	v_and_b32_e32 v20, 0x7f, v18
	v_cmp_ne_u32_e32 vcc, s14, v20
	v_mov_b32_e32 v34, 0x7f800001
	s_and_saveexec_b64 s[10:11], vcc
	s_cbranch_execz .LBB623_45
; %bb.44:                               ;   in Loop: Header=BB623_17 Depth=1
	v_and_b32_e32 v34, 7, v18
	v_ffbh_u32_e32 v40, v34
	v_min_u32_e32 v40, 32, v40
	v_subrev_u32_e32 v42, 28, v40
	v_lshlrev_b64 v[54:55], v42, v[18:19]
	v_lshrrev_b32_e32 v38, 3, v20
	v_sub_u32_e32 v40, 29, v40
	v_and_b32_e32 v42, 7, v54
	v_cmp_gt_u32_e32 vcc, 8, v20
	v_cndmask_b32_e32 v20, v38, v40, vcc
	v_cndmask_b32_e32 v34, v34, v42, vcc
	v_lshlrev_b32_e32 v38, 24, v18
	v_lshlrev_b32_e32 v34, 20, v34
	v_and_b32_e32 v38, 0x80000000, v38
	v_lshl_add_u32 v20, v20, 23, v37
	v_or3_b32 v34, v38, v20, v34
.LBB623_45:                             ;   in Loop: Header=BB623_17 Depth=1
	s_or_b64 exec, exec, s[10:11]
.LBB623_46:                             ;   in Loop: Header=BB623_17 Depth=1
	s_or_b64 exec, exec, s[6:7]
.LBB623_47:                             ;   in Loop: Header=BB623_17 Depth=1
	s_or_b64 exec, exec, s[4:5]
	v_lshrrev_b16_e32 v20, 8, v18
	v_cmp_ne_u16_e32 vcc, 0, v20
	s_and_saveexec_b64 s[4:5], vcc
	s_cbranch_execz .LBB623_53
; %bb.48:                               ;   in Loop: Header=BB623_17 Depth=1
	v_cmp_ne_u16_e32 vcc, s13, v20
	v_bfrev_b32_e32 v30, 1
	s_and_saveexec_b64 s[6:7], vcc
	s_cbranch_execz .LBB623_52
; %bb.49:                               ;   in Loop: Header=BB623_17 Depth=1
	v_and_b32_e32 v38, 0x7f, v20
	v_cmp_ne_u32_e32 vcc, s14, v38
	v_mov_b32_e32 v30, 0x7f800001
	s_and_saveexec_b64 s[10:11], vcc
	s_cbranch_execz .LBB623_51
; %bb.50:                               ;   in Loop: Header=BB623_17 Depth=1
	v_and_b32_e32 v30, 7, v20
	v_ffbh_u32_e32 v42, v30
	v_min_u32_e32 v42, 32, v42
	v_subrev_u32_e32 v44, 28, v42
	v_lshlrev_b64 v[54:55], v44, v[20:21]
	v_lshrrev_b32_e32 v40, 3, v38
	v_sub_u32_e32 v20, 29, v42
	v_and_b32_e32 v42, 7, v54
	v_cmp_gt_u32_e32 vcc, 8, v38
	v_cndmask_b32_e32 v20, v40, v20, vcc
	v_cndmask_b32_e32 v30, v30, v42, vcc
	v_lshlrev_b32_e32 v38, 16, v18
	v_lshlrev_b32_e32 v30, 20, v30
	v_and_b32_e32 v38, 0x80000000, v38
	v_lshl_add_u32 v20, v20, 23, v37
	v_or3_b32 v30, v38, v20, v30
.LBB623_51:                             ;   in Loop: Header=BB623_17 Depth=1
	s_or_b64 exec, exec, s[10:11]
.LBB623_52:                             ;   in Loop: Header=BB623_17 Depth=1
	s_or_b64 exec, exec, s[6:7]
.LBB623_53:                             ;   in Loop: Header=BB623_17 Depth=1
	s_or_b64 exec, exec, s[4:5]
	v_lshrrev_b32_e32 v20, 16, v18
	v_cmp_ne_u16_sdwa s[6:7], v20, v33 src0_sel:BYTE_0 src1_sel:DWORD
	v_mov_b32_e32 v40, 0
	v_mov_b32_e32 v38, 0
	s_and_saveexec_b64 s[4:5], s[6:7]
	s_cbranch_execz .LBB623_59
; %bb.54:                               ;   in Loop: Header=BB623_17 Depth=1
	v_cmp_ne_u16_sdwa s[10:11], v20, s13 src0_sel:BYTE_0 src1_sel:DWORD
	v_bfrev_b32_e32 v38, 1
	s_and_saveexec_b64 s[6:7], s[10:11]
	s_cbranch_execz .LBB623_58
; %bb.55:                               ;   in Loop: Header=BB623_17 Depth=1
	v_bfe_u32 v42, v18, 16, 7
	v_cmp_ne_u32_e32 vcc, s14, v42
	v_mov_b32_e32 v38, 0x7f800001
	s_and_saveexec_b64 s[10:11], vcc
	s_cbranch_execz .LBB623_57
; %bb.56:                               ;   in Loop: Header=BB623_17 Depth=1
	v_and_b32_e32 v38, 7, v20
	v_ffbh_u32_e32 v53, v38
	v_min_u32_e32 v53, 32, v53
	v_subrev_u32_e32 v54, 28, v53
	v_lshlrev_b64 v[54:55], v54, v[20:21]
	v_lshrrev_b32_e32 v44, 3, v42
	v_sub_u32_e32 v53, 29, v53
	v_and_b32_e32 v54, 7, v54
	v_cmp_gt_u32_e32 vcc, 8, v42
	v_cndmask_b32_e32 v42, v44, v53, vcc
	v_cndmask_b32_e32 v38, v38, v54, vcc
	v_lshlrev_b32_e32 v20, 24, v20
	v_lshlrev_b32_e32 v38, 20, v38
	v_and_b32_e32 v20, 0x80000000, v20
	v_lshl_add_u32 v42, v42, 23, v37
	v_or3_b32 v38, v20, v42, v38
.LBB623_57:                             ;   in Loop: Header=BB623_17 Depth=1
	s_or_b64 exec, exec, s[10:11]
.LBB623_58:                             ;   in Loop: Header=BB623_17 Depth=1
	s_or_b64 exec, exec, s[6:7]
.LBB623_59:                             ;   in Loop: Header=BB623_17 Depth=1
	s_or_b64 exec, exec, s[4:5]
	v_cmp_lt_u32_e32 vcc, s15, v18
	s_and_saveexec_b64 s[4:5], vcc
	s_cbranch_execz .LBB623_65
; %bb.60:                               ;   in Loop: Header=BB623_17 Depth=1
	v_lshrrev_b32_e32 v20, 24, v18
	v_cmp_ne_u32_e32 vcc, s13, v20
	v_bfrev_b32_e32 v40, 1
	s_and_saveexec_b64 s[6:7], vcc
	s_cbranch_execz .LBB623_64
; %bb.61:                               ;   in Loop: Header=BB623_17 Depth=1
	v_bfe_u32 v18, v18, 24, 7
	v_cmp_ne_u32_e32 vcc, s14, v18
	v_mov_b32_e32 v40, 0x7f800001
	s_and_saveexec_b64 s[10:11], vcc
	s_cbranch_execz .LBB623_63
; %bb.62:                               ;   in Loop: Header=BB623_17 Depth=1
	v_and_b32_e32 v40, 7, v20
	v_ffbh_u32_e32 v44, v40
	v_min_u32_e32 v44, 32, v44
	v_subrev_u32_e32 v53, 28, v44
	v_lshlrev_b64 v[54:55], v53, v[20:21]
	v_lshrrev_b32_e32 v42, 3, v18
	v_sub_u32_e32 v44, 29, v44
	v_and_b32_e32 v53, 7, v54
	v_cmp_gt_u32_e32 vcc, 8, v18
	v_cndmask_b32_e32 v18, v42, v44, vcc
	v_cndmask_b32_e32 v40, v40, v53, vcc
	v_lshlrev_b32_e32 v20, 24, v20
	v_lshlrev_b32_e32 v40, 20, v40
	v_and_b32_e32 v20, 0x80000000, v20
	v_lshl_add_u32 v18, v18, 23, v37
	v_or3_b32 v40, v20, v18, v40
.LBB623_63:                             ;   in Loop: Header=BB623_17 Depth=1
	s_or_b64 exec, exec, s[10:11]
.LBB623_64:                             ;   in Loop: Header=BB623_17 Depth=1
	s_or_b64 exec, exec, s[6:7]
.LBB623_65:                             ;   in Loop: Header=BB623_17 Depth=1
	s_or_b64 exec, exec, s[4:5]
	v_cvt_pkrtz_f16_f32 v18, v21, v19
	v_cvt_pkrtz_f16_f32 v19, v23, v32
	;; [unrolled: 1-line block ×4, first 2 shown]
	v_mov_b32_e32 v32, 0
	v_mfma_f32_16x16x16f16 v[18:21], v[18:19], v[2:3], 0
	s_waitcnt vmcnt(1)
	v_cmp_ne_u16_sdwa s[6:7], v28, v33 src0_sel:BYTE_0 src1_sel:DWORD
	v_mov_b32_e32 v34, 0
	v_mfma_f32_16x16x16f16 v[18:21], v[54:55], v[4:5], v[18:21]
	s_and_saveexec_b64 s[4:5], s[6:7]
	s_cbranch_execz .LBB623_71
; %bb.66:                               ;   in Loop: Header=BB623_17 Depth=1
	v_cmp_ne_u16_sdwa s[10:11], v28, s13 src0_sel:BYTE_0 src1_sel:DWORD
	v_bfrev_b32_e32 v34, 1
	s_and_saveexec_b64 s[6:7], s[10:11]
	s_cbranch_execz .LBB623_70
; %bb.67:                               ;   in Loop: Header=BB623_17 Depth=1
	v_and_b32_e32 v23, 0x7f, v28
	v_cmp_ne_u32_e32 vcc, s14, v23
	v_mov_b32_e32 v34, 0x7f800001
	s_and_saveexec_b64 s[10:11], vcc
	s_cbranch_execz .LBB623_69
; %bb.68:                               ;   in Loop: Header=BB623_17 Depth=1
	v_and_b32_e32 v30, 7, v28
	v_ffbh_u32_e32 v38, v30
	v_min_u32_e32 v38, 32, v38
	v_subrev_u32_e32 v40, 28, v38
	v_lshlrev_b64 v[54:55], v40, v[28:29]
	v_lshrrev_b32_e32 v34, 3, v23
	v_sub_u32_e32 v38, 29, v38
	v_and_b32_e32 v40, 7, v54
	v_cmp_gt_u32_e32 vcc, 8, v23
	v_cndmask_b32_e32 v23, v34, v38, vcc
	v_cndmask_b32_e32 v30, v30, v40, vcc
	v_lshlrev_b32_e32 v34, 24, v28
	v_lshlrev_b32_e32 v30, 20, v30
	v_and_b32_e32 v34, 0x80000000, v34
	v_lshl_add_u32 v23, v23, 23, v37
	v_or3_b32 v34, v34, v23, v30
.LBB623_69:                             ;   in Loop: Header=BB623_17 Depth=1
	s_or_b64 exec, exec, s[10:11]
.LBB623_70:                             ;   in Loop: Header=BB623_17 Depth=1
	s_or_b64 exec, exec, s[6:7]
.LBB623_71:                             ;   in Loop: Header=BB623_17 Depth=1
	s_or_b64 exec, exec, s[4:5]
	v_lshrrev_b16_e32 v30, 8, v28
	v_cmp_ne_u16_e32 vcc, 0, v30
	v_mov_b32_e32 v38, 0
	s_and_saveexec_b64 s[4:5], vcc
	s_cbranch_execz .LBB623_77
; %bb.72:                               ;   in Loop: Header=BB623_17 Depth=1
	v_cmp_ne_u16_e32 vcc, s13, v30
	v_bfrev_b32_e32 v38, 1
	s_and_saveexec_b64 s[6:7], vcc
	s_cbranch_execz .LBB623_76
; %bb.73:                               ;   in Loop: Header=BB623_17 Depth=1
	v_and_b32_e32 v23, 0x7f, v30
	v_cmp_ne_u32_e32 vcc, s14, v23
	v_mov_b32_e32 v38, 0x7f800001
	s_and_saveexec_b64 s[10:11], vcc
	s_cbranch_execz .LBB623_75
; %bb.74:                               ;   in Loop: Header=BB623_17 Depth=1
	v_and_b32_e32 v38, 7, v30
	v_ffbh_u32_e32 v42, v38
	v_min_u32_e32 v42, 32, v42
	v_subrev_u32_e32 v44, 28, v42
	v_lshlrev_b64 v[54:55], v44, v[30:31]
	v_lshrrev_b32_e32 v40, 3, v23
	v_sub_u32_e32 v30, 29, v42
	v_and_b32_e32 v42, 7, v54
	v_cmp_gt_u32_e32 vcc, 8, v23
	v_cndmask_b32_e32 v23, v40, v30, vcc
	v_cndmask_b32_e32 v30, v38, v42, vcc
	v_lshlrev_b32_e32 v38, 16, v28
	v_lshlrev_b32_e32 v30, 20, v30
	v_and_b32_e32 v38, 0x80000000, v38
	v_lshl_add_u32 v23, v23, 23, v37
	v_or3_b32 v38, v38, v23, v30
.LBB623_75:                             ;   in Loop: Header=BB623_17 Depth=1
	s_or_b64 exec, exec, s[10:11]
.LBB623_76:                             ;   in Loop: Header=BB623_17 Depth=1
	s_or_b64 exec, exec, s[6:7]
.LBB623_77:                             ;   in Loop: Header=BB623_17 Depth=1
	s_or_b64 exec, exec, s[4:5]
	v_lshrrev_b32_e32 v30, 16, v28
	v_cmp_ne_u16_sdwa s[6:7], v30, v33 src0_sel:BYTE_0 src1_sel:DWORD
	s_and_saveexec_b64 s[4:5], s[6:7]
	s_cbranch_execz .LBB623_83
; %bb.78:                               ;   in Loop: Header=BB623_17 Depth=1
	v_cmp_ne_u16_sdwa s[10:11], v30, s13 src0_sel:BYTE_0 src1_sel:DWORD
	v_bfrev_b32_e32 v32, 1
	s_and_saveexec_b64 s[6:7], s[10:11]
	s_cbranch_execz .LBB623_82
; %bb.79:                               ;   in Loop: Header=BB623_17 Depth=1
	v_bfe_u32 v23, v28, 16, 7
	v_cmp_ne_u32_e32 vcc, s14, v23
	v_mov_b32_e32 v32, 0x7f800001
	s_and_saveexec_b64 s[10:11], vcc
	s_cbranch_execz .LBB623_81
; %bb.80:                               ;   in Loop: Header=BB623_17 Depth=1
	v_and_b32_e32 v32, 7, v30
	v_ffbh_u32_e32 v42, v32
	v_min_u32_e32 v42, 32, v42
	v_subrev_u32_e32 v44, 28, v42
	v_lshlrev_b64 v[54:55], v44, v[30:31]
	v_lshrrev_b32_e32 v40, 3, v23
	v_sub_u32_e32 v42, 29, v42
	v_and_b32_e32 v44, 7, v54
	v_cmp_gt_u32_e32 vcc, 8, v23
	v_cndmask_b32_e32 v23, v40, v42, vcc
	v_cndmask_b32_e32 v32, v32, v44, vcc
	v_lshlrev_b32_e32 v30, 24, v30
	v_lshlrev_b32_e32 v32, 20, v32
	v_and_b32_e32 v30, 0x80000000, v30
	v_lshl_add_u32 v23, v23, 23, v37
	v_or3_b32 v32, v30, v23, v32
.LBB623_81:                             ;   in Loop: Header=BB623_17 Depth=1
	s_or_b64 exec, exec, s[10:11]
.LBB623_82:                             ;   in Loop: Header=BB623_17 Depth=1
	s_or_b64 exec, exec, s[6:7]
.LBB623_83:                             ;   in Loop: Header=BB623_17 Depth=1
	s_or_b64 exec, exec, s[4:5]
	v_cmp_lt_u32_e32 vcc, s15, v28
	v_mov_b32_e32 v40, 0
	v_mov_b32_e32 v42, 0
	s_and_saveexec_b64 s[4:5], vcc
	s_cbranch_execz .LBB623_89
; %bb.84:                               ;   in Loop: Header=BB623_17 Depth=1
	v_lshrrev_b32_e32 v30, 24, v28
	v_cmp_ne_u32_e32 vcc, s13, v30
	v_bfrev_b32_e32 v42, 1
	s_and_saveexec_b64 s[6:7], vcc
	s_cbranch_execz .LBB623_88
; %bb.85:                               ;   in Loop: Header=BB623_17 Depth=1
	v_bfe_u32 v23, v28, 24, 7
	v_cmp_ne_u32_e32 vcc, s14, v23
	v_mov_b32_e32 v42, 0x7f800001
	s_and_saveexec_b64 s[10:11], vcc
	s_cbranch_execz .LBB623_87
; %bb.86:                               ;   in Loop: Header=BB623_17 Depth=1
	v_and_b32_e32 v28, 7, v30
	v_ffbh_u32_e32 v44, v28
	v_min_u32_e32 v44, 32, v44
	v_subrev_u32_e32 v53, 28, v44
	v_lshlrev_b64 v[54:55], v53, v[30:31]
	v_lshrrev_b32_e32 v42, 3, v23
	v_sub_u32_e32 v44, 29, v44
	v_and_b32_e32 v53, 7, v54
	v_cmp_gt_u32_e32 vcc, 8, v23
	v_cndmask_b32_e32 v23, v42, v44, vcc
	v_cndmask_b32_e32 v28, v28, v53, vcc
	v_lshlrev_b32_e32 v30, 24, v30
	v_lshlrev_b32_e32 v28, 20, v28
	v_and_b32_e32 v30, 0x80000000, v30
	v_lshl_add_u32 v23, v23, 23, v37
	v_or3_b32 v42, v30, v23, v28
.LBB623_87:                             ;   in Loop: Header=BB623_17 Depth=1
	s_or_b64 exec, exec, s[10:11]
.LBB623_88:                             ;   in Loop: Header=BB623_17 Depth=1
	s_or_b64 exec, exec, s[6:7]
.LBB623_89:                             ;   in Loop: Header=BB623_17 Depth=1
	s_or_b64 exec, exec, s[4:5]
	s_waitcnt vmcnt(0)
	v_cmp_ne_u16_sdwa s[6:7], v26, v33 src0_sel:BYTE_0 src1_sel:DWORD
	s_and_saveexec_b64 s[4:5], s[6:7]
	s_cbranch_execz .LBB623_95
; %bb.90:                               ;   in Loop: Header=BB623_17 Depth=1
	v_cmp_ne_u16_sdwa s[10:11], v26, s13 src0_sel:BYTE_0 src1_sel:DWORD
	v_bfrev_b32_e32 v40, 1
	s_and_saveexec_b64 s[6:7], s[10:11]
	s_cbranch_execz .LBB623_94
; %bb.91:                               ;   in Loop: Header=BB623_17 Depth=1
	v_and_b32_e32 v23, 0x7f, v26
	v_cmp_ne_u32_e32 vcc, s14, v23
	v_mov_b32_e32 v40, 0x7f800001
	s_and_saveexec_b64 s[10:11], vcc
	s_cbranch_execz .LBB623_93
; %bb.92:                               ;   in Loop: Header=BB623_17 Depth=1
	v_and_b32_e32 v28, 7, v26
	v_ffbh_u32_e32 v40, v28
	v_min_u32_e32 v40, 32, v40
	v_subrev_u32_e32 v44, 28, v40
	v_lshlrev_b64 v[54:55], v44, v[26:27]
	v_lshrrev_b32_e32 v30, 3, v23
	v_sub_u32_e32 v40, 29, v40
	v_and_b32_e32 v44, 7, v54
	v_cmp_gt_u32_e32 vcc, 8, v23
	v_cndmask_b32_e32 v23, v30, v40, vcc
	v_cndmask_b32_e32 v28, v28, v44, vcc
	v_lshlrev_b32_e32 v30, 24, v26
	v_lshlrev_b32_e32 v28, 20, v28
	v_and_b32_e32 v30, 0x80000000, v30
	v_lshl_add_u32 v23, v23, 23, v37
	v_or3_b32 v40, v30, v23, v28
.LBB623_93:                             ;   in Loop: Header=BB623_17 Depth=1
	s_or_b64 exec, exec, s[10:11]
.LBB623_94:                             ;   in Loop: Header=BB623_17 Depth=1
	s_or_b64 exec, exec, s[6:7]
.LBB623_95:                             ;   in Loop: Header=BB623_17 Depth=1
	s_or_b64 exec, exec, s[4:5]
	v_lshrrev_b16_e32 v28, 8, v26
	v_cmp_ne_u16_e32 vcc, 0, v28
	v_mov_b32_e32 v44, 0
	v_mov_b32_e32 v53, 0
	s_and_saveexec_b64 s[4:5], vcc
	s_cbranch_execz .LBB623_101
; %bb.96:                               ;   in Loop: Header=BB623_17 Depth=1
	v_cmp_ne_u16_e32 vcc, s13, v28
	v_bfrev_b32_e32 v53, 1
	s_and_saveexec_b64 s[6:7], vcc
	s_cbranch_execz .LBB623_100
; %bb.97:                               ;   in Loop: Header=BB623_17 Depth=1
	v_and_b32_e32 v23, 0x7f, v28
	v_cmp_ne_u32_e32 vcc, s14, v23
	v_mov_b32_e32 v53, 0x7f800001
	s_and_saveexec_b64 s[10:11], vcc
	s_cbranch_execz .LBB623_99
; %bb.98:                               ;   in Loop: Header=BB623_17 Depth=1
	v_and_b32_e32 v30, 7, v28
	v_ffbh_u32_e32 v54, v30
	v_min_u32_e32 v56, 32, v54
	v_subrev_u32_e32 v54, 28, v56
	v_lshlrev_b64 v[54:55], v54, v[28:29]
	v_lshrrev_b32_e32 v53, 3, v23
	v_sub_u32_e32 v28, 29, v56
	v_and_b32_e32 v54, 7, v54
	v_cmp_gt_u32_e32 vcc, 8, v23
	v_cndmask_b32_e32 v23, v53, v28, vcc
	v_cndmask_b32_e32 v28, v30, v54, vcc
	v_lshlrev_b32_e32 v30, 16, v26
	v_lshlrev_b32_e32 v28, 20, v28
	v_and_b32_e32 v30, 0x80000000, v30
	v_lshl_add_u32 v23, v23, 23, v37
	v_or3_b32 v53, v30, v23, v28
.LBB623_99:                             ;   in Loop: Header=BB623_17 Depth=1
	s_or_b64 exec, exec, s[10:11]
.LBB623_100:                            ;   in Loop: Header=BB623_17 Depth=1
	s_or_b64 exec, exec, s[6:7]
.LBB623_101:                            ;   in Loop: Header=BB623_17 Depth=1
	s_or_b64 exec, exec, s[4:5]
	v_lshrrev_b32_e32 v28, 16, v26
	v_cmp_ne_u16_sdwa s[6:7], v28, v33 src0_sel:BYTE_0 src1_sel:DWORD
	s_and_saveexec_b64 s[4:5], s[6:7]
	s_cbranch_execz .LBB623_107
; %bb.102:                              ;   in Loop: Header=BB623_17 Depth=1
	v_cmp_ne_u16_sdwa s[10:11], v28, s13 src0_sel:BYTE_0 src1_sel:DWORD
	v_bfrev_b32_e32 v44, 1
	s_and_saveexec_b64 s[6:7], s[10:11]
	s_cbranch_execz .LBB623_106
; %bb.103:                              ;   in Loop: Header=BB623_17 Depth=1
	v_bfe_u32 v23, v26, 16, 7
	v_cmp_ne_u32_e32 vcc, s14, v23
	v_mov_b32_e32 v44, 0x7f800001
	s_and_saveexec_b64 s[10:11], vcc
	s_cbranch_execz .LBB623_105
; %bb.104:                              ;   in Loop: Header=BB623_17 Depth=1
	v_and_b32_e32 v30, 7, v28
	v_ffbh_u32_e32 v54, v30
	v_min_u32_e32 v56, 32, v54
	v_subrev_u32_e32 v54, 28, v56
	v_lshlrev_b64 v[54:55], v54, v[28:29]
	v_lshrrev_b32_e32 v44, 3, v23
	v_sub_u32_e32 v55, 29, v56
	v_and_b32_e32 v54, 7, v54
	v_cmp_gt_u32_e32 vcc, 8, v23
	v_cndmask_b32_e32 v23, v44, v55, vcc
	v_cndmask_b32_e32 v30, v30, v54, vcc
	v_lshlrev_b32_e32 v28, 24, v28
	v_lshlrev_b32_e32 v30, 20, v30
	v_and_b32_e32 v28, 0x80000000, v28
	v_lshl_add_u32 v23, v23, 23, v37
	v_or3_b32 v44, v28, v23, v30
.LBB623_105:                            ;   in Loop: Header=BB623_17 Depth=1
	s_or_b64 exec, exec, s[10:11]
.LBB623_106:                            ;   in Loop: Header=BB623_17 Depth=1
	s_or_b64 exec, exec, s[6:7]
.LBB623_107:                            ;   in Loop: Header=BB623_17 Depth=1
	s_or_b64 exec, exec, s[4:5]
	v_cmp_lt_u32_e32 vcc, s15, v26
	v_mov_b32_e32 v23, 0
	v_mov_b32_e32 v54, 0
	s_and_saveexec_b64 s[4:5], vcc
	s_cbranch_execz .LBB623_113
; %bb.108:                              ;   in Loop: Header=BB623_17 Depth=1
	v_lshrrev_b32_e32 v28, 24, v26
	v_cmp_ne_u32_e32 vcc, s13, v28
	v_bfrev_b32_e32 v54, 1
	s_and_saveexec_b64 s[6:7], vcc
	s_cbranch_execz .LBB623_112
; %bb.109:                              ;   in Loop: Header=BB623_17 Depth=1
	v_bfe_u32 v26, v26, 24, 7
	v_cmp_ne_u32_e32 vcc, s14, v26
	v_mov_b32_e32 v54, 0x7f800001
	s_and_saveexec_b64 s[10:11], vcc
	s_cbranch_execz .LBB623_111
; %bb.110:                              ;   in Loop: Header=BB623_17 Depth=1
	v_and_b32_e32 v30, 7, v28
	v_ffbh_u32_e32 v54, v30
	v_min_u32_e32 v57, 32, v54
	v_subrev_u32_e32 v54, 28, v57
	v_lshlrev_b64 v[54:55], v54, v[28:29]
	v_lshrrev_b32_e32 v56, 3, v26
	v_sub_u32_e32 v55, 29, v57
	v_and_b32_e32 v54, 7, v54
	v_cmp_gt_u32_e32 vcc, 8, v26
	v_cndmask_b32_e32 v26, v56, v55, vcc
	v_cndmask_b32_e32 v30, v30, v54, vcc
	v_lshlrev_b32_e32 v28, 24, v28
	v_lshlrev_b32_e32 v30, 20, v30
	v_and_b32_e32 v28, 0x80000000, v28
	v_lshl_add_u32 v26, v26, 23, v37
	v_or3_b32 v54, v28, v26, v30
.LBB623_111:                            ;   in Loop: Header=BB623_17 Depth=1
	s_or_b64 exec, exec, s[10:11]
.LBB623_112:                            ;   in Loop: Header=BB623_17 Depth=1
	s_or_b64 exec, exec, s[6:7]
.LBB623_113:                            ;   in Loop: Header=BB623_17 Depth=1
	s_or_b64 exec, exec, s[4:5]
	v_cvt_pkrtz_f16_f32 v57, v32, v42
	buffer_load_dword v32, v35, s[0:3], 0 offen offset:16
	buffer_load_dword v30, v35, s[0:3], 0 offen offset:20
	;; [unrolled: 1-line block ×4, first 2 shown]
	v_cvt_pkrtz_f16_f32 v56, v34, v38
	s_waitcnt vmcnt(3)
	v_cmp_ne_u16_sdwa s[6:7], v32, v33 src0_sel:BYTE_0 src1_sel:DWORD
	v_mfma_f32_16x16x16f16 v[18:21], v[56:57], v[6:7], v[18:21]
	v_cvt_pkrtz_f16_f32 v56, v40, v53
	v_cvt_pkrtz_f16_f32 v57, v44, v54
	s_nop 1
	v_mfma_f32_16x16x16f16 v[18:21], v[56:57], v[8:9], v[18:21]
	s_and_saveexec_b64 s[4:5], s[6:7]
	s_cbranch_execz .LBB623_119
; %bb.114:                              ;   in Loop: Header=BB623_17 Depth=1
	v_cmp_ne_u16_sdwa s[10:11], v32, s13 src0_sel:BYTE_0 src1_sel:DWORD
	v_bfrev_b32_e32 v23, 1
	s_and_saveexec_b64 s[6:7], s[10:11]
	s_cbranch_execz .LBB623_118
; %bb.115:                              ;   in Loop: Header=BB623_17 Depth=1
	v_and_b32_e32 v34, 0x7f, v32
	v_cmp_ne_u32_e32 vcc, s14, v34
	v_mov_b32_e32 v23, 0x7f800001
	s_and_saveexec_b64 s[10:11], vcc
	s_cbranch_execz .LBB623_117
; %bb.116:                              ;   in Loop: Header=BB623_17 Depth=1
	v_and_b32_e32 v23, 7, v32
	v_ffbh_u32_e32 v40, v23
	v_min_u32_e32 v40, 32, v40
	v_subrev_u32_e32 v42, 28, v40
	v_lshlrev_b64 v[54:55], v42, v[32:33]
	v_lshrrev_b32_e32 v38, 3, v34
	v_sub_u32_e32 v40, 29, v40
	v_and_b32_e32 v42, 7, v54
	v_cmp_gt_u32_e32 vcc, 8, v34
	v_cndmask_b32_e32 v34, v38, v40, vcc
	v_cndmask_b32_e32 v23, v23, v42, vcc
	v_lshlrev_b32_e32 v38, 24, v32
	v_lshlrev_b32_e32 v23, 20, v23
	v_and_b32_e32 v38, 0x80000000, v38
	v_lshl_add_u32 v34, v34, 23, v37
	v_or3_b32 v23, v38, v34, v23
.LBB623_117:                            ;   in Loop: Header=BB623_17 Depth=1
	s_or_b64 exec, exec, s[10:11]
.LBB623_118:                            ;   in Loop: Header=BB623_17 Depth=1
	s_or_b64 exec, exec, s[6:7]
.LBB623_119:                            ;   in Loop: Header=BB623_17 Depth=1
	s_or_b64 exec, exec, s[4:5]
	v_lshrrev_b16_e32 v34, 8, v32
	v_cmp_ne_u16_e32 vcc, 0, v34
	v_mov_b32_e32 v38, 0
	v_mov_b32_e32 v40, 0
	s_and_saveexec_b64 s[4:5], vcc
	s_cbranch_execz .LBB623_125
; %bb.120:                              ;   in Loop: Header=BB623_17 Depth=1
	v_cmp_ne_u16_e32 vcc, s13, v34
	v_bfrev_b32_e32 v40, 1
	s_and_saveexec_b64 s[6:7], vcc
	s_cbranch_execz .LBB623_124
; %bb.121:                              ;   in Loop: Header=BB623_17 Depth=1
	v_and_b32_e32 v42, 0x7f, v34
	v_cmp_ne_u32_e32 vcc, s14, v42
	v_mov_b32_e32 v40, 0x7f800001
	s_and_saveexec_b64 s[10:11], vcc
	s_cbranch_execz .LBB623_123
; %bb.122:                              ;   in Loop: Header=BB623_17 Depth=1
	v_and_b32_e32 v40, 7, v34
	v_ffbh_u32_e32 v53, v40
	v_min_u32_e32 v53, 32, v53
	v_subrev_u32_e32 v54, 28, v53
	v_lshlrev_b64 v[54:55], v54, v[34:35]
	v_lshrrev_b32_e32 v44, 3, v42
	v_sub_u32_e32 v34, 29, v53
	v_and_b32_e32 v53, 7, v54
	v_cmp_gt_u32_e32 vcc, 8, v42
	v_cndmask_b32_e32 v34, v44, v34, vcc
	v_cndmask_b32_e32 v40, v40, v53, vcc
	v_lshlrev_b32_e32 v42, 16, v32
	v_lshlrev_b32_e32 v40, 20, v40
	v_and_b32_e32 v42, 0x80000000, v42
	v_lshl_add_u32 v34, v34, 23, v37
	v_or3_b32 v40, v42, v34, v40
.LBB623_123:                            ;   in Loop: Header=BB623_17 Depth=1
	s_or_b64 exec, exec, s[10:11]
.LBB623_124:                            ;   in Loop: Header=BB623_17 Depth=1
	s_or_b64 exec, exec, s[6:7]
.LBB623_125:                            ;   in Loop: Header=BB623_17 Depth=1
	s_or_b64 exec, exec, s[4:5]
	v_lshrrev_b32_e32 v34, 16, v32
	v_cmp_ne_u16_sdwa s[6:7], v34, v33 src0_sel:BYTE_0 src1_sel:DWORD
	s_and_saveexec_b64 s[4:5], s[6:7]
	s_cbranch_execz .LBB623_131
; %bb.126:                              ;   in Loop: Header=BB623_17 Depth=1
	v_cmp_ne_u16_sdwa s[10:11], v34, s13 src0_sel:BYTE_0 src1_sel:DWORD
	v_bfrev_b32_e32 v38, 1
	s_and_saveexec_b64 s[6:7], s[10:11]
	s_cbranch_execz .LBB623_130
; %bb.127:                              ;   in Loop: Header=BB623_17 Depth=1
	v_bfe_u32 v42, v32, 16, 7
	v_cmp_ne_u32_e32 vcc, s14, v42
	v_mov_b32_e32 v38, 0x7f800001
	s_and_saveexec_b64 s[10:11], vcc
	s_cbranch_execz .LBB623_129
; %bb.128:                              ;   in Loop: Header=BB623_17 Depth=1
	v_and_b32_e32 v38, 7, v34
	v_ffbh_u32_e32 v53, v38
	v_min_u32_e32 v53, 32, v53
	v_subrev_u32_e32 v54, 28, v53
	v_lshlrev_b64 v[54:55], v54, v[34:35]
	v_lshrrev_b32_e32 v44, 3, v42
	v_sub_u32_e32 v53, 29, v53
	v_and_b32_e32 v54, 7, v54
	v_cmp_gt_u32_e32 vcc, 8, v42
	v_cndmask_b32_e32 v42, v44, v53, vcc
	v_cndmask_b32_e32 v38, v38, v54, vcc
	v_lshlrev_b32_e32 v34, 24, v34
	v_lshlrev_b32_e32 v38, 20, v38
	v_and_b32_e32 v34, 0x80000000, v34
	v_lshl_add_u32 v42, v42, 23, v37
	v_or3_b32 v38, v34, v42, v38
.LBB623_129:                            ;   in Loop: Header=BB623_17 Depth=1
	s_or_b64 exec, exec, s[10:11]
.LBB623_130:                            ;   in Loop: Header=BB623_17 Depth=1
	s_or_b64 exec, exec, s[6:7]
.LBB623_131:                            ;   in Loop: Header=BB623_17 Depth=1
	s_or_b64 exec, exec, s[4:5]
	v_cmp_lt_u32_e32 vcc, s15, v32
	v_mov_b32_e32 v42, 0
	v_mov_b32_e32 v44, 0
	s_and_saveexec_b64 s[4:5], vcc
	s_cbranch_execz .LBB623_137
; %bb.132:                              ;   in Loop: Header=BB623_17 Depth=1
	v_lshrrev_b32_e32 v34, 24, v32
	v_cmp_ne_u32_e32 vcc, s13, v34
	v_bfrev_b32_e32 v44, 1
	s_and_saveexec_b64 s[6:7], vcc
	s_cbranch_execz .LBB623_136
; %bb.133:                              ;   in Loop: Header=BB623_17 Depth=1
	v_bfe_u32 v32, v32, 24, 7
	v_cmp_ne_u32_e32 vcc, s14, v32
	v_mov_b32_e32 v44, 0x7f800001
	s_and_saveexec_b64 s[10:11], vcc
	s_cbranch_execz .LBB623_135
; %bb.134:                              ;   in Loop: Header=BB623_17 Depth=1
	v_and_b32_e32 v44, 7, v34
	v_ffbh_u32_e32 v54, v44
	v_min_u32_e32 v56, 32, v54
	v_subrev_u32_e32 v54, 28, v56
	v_lshlrev_b64 v[54:55], v54, v[34:35]
	v_lshrrev_b32_e32 v53, 3, v32
	v_sub_u32_e32 v55, 29, v56
	v_and_b32_e32 v54, 7, v54
	v_cmp_gt_u32_e32 vcc, 8, v32
	v_cndmask_b32_e32 v32, v53, v55, vcc
	v_cndmask_b32_e32 v44, v44, v54, vcc
	v_lshlrev_b32_e32 v34, 24, v34
	v_lshlrev_b32_e32 v44, 20, v44
	v_and_b32_e32 v34, 0x80000000, v34
	v_lshl_add_u32 v32, v32, 23, v37
	v_or3_b32 v44, v34, v32, v44
.LBB623_135:                            ;   in Loop: Header=BB623_17 Depth=1
	s_or_b64 exec, exec, s[10:11]
.LBB623_136:                            ;   in Loop: Header=BB623_17 Depth=1
	s_or_b64 exec, exec, s[6:7]
.LBB623_137:                            ;   in Loop: Header=BB623_17 Depth=1
	s_or_b64 exec, exec, s[4:5]
	s_waitcnt vmcnt(2)
	v_cmp_ne_u16_sdwa s[6:7], v30, v33 src0_sel:BYTE_0 src1_sel:DWORD
	s_and_saveexec_b64 s[4:5], s[6:7]
	s_cbranch_execz .LBB623_143
; %bb.138:                              ;   in Loop: Header=BB623_17 Depth=1
	v_cmp_ne_u16_sdwa s[10:11], v30, s13 src0_sel:BYTE_0 src1_sel:DWORD
	v_bfrev_b32_e32 v42, 1
	s_and_saveexec_b64 s[6:7], s[10:11]
	s_cbranch_execz .LBB623_142
; %bb.139:                              ;   in Loop: Header=BB623_17 Depth=1
	v_and_b32_e32 v32, 0x7f, v30
	v_cmp_ne_u32_e32 vcc, s14, v32
	v_mov_b32_e32 v42, 0x7f800001
	s_and_saveexec_b64 s[10:11], vcc
	s_cbranch_execz .LBB623_141
; %bb.140:                              ;   in Loop: Header=BB623_17 Depth=1
	v_and_b32_e32 v34, 7, v30
	v_ffbh_u32_e32 v53, v34
	v_min_u32_e32 v53, 32, v53
	v_subrev_u32_e32 v54, 28, v53
	v_lshlrev_b64 v[54:55], v54, v[30:31]
	v_lshrrev_b32_e32 v42, 3, v32
	v_sub_u32_e32 v53, 29, v53
	v_and_b32_e32 v54, 7, v54
	v_cmp_gt_u32_e32 vcc, 8, v32
	v_cndmask_b32_e32 v32, v42, v53, vcc
	v_cndmask_b32_e32 v34, v34, v54, vcc
	v_lshlrev_b32_e32 v42, 24, v30
	v_lshlrev_b32_e32 v34, 20, v34
	v_and_b32_e32 v42, 0x80000000, v42
	v_lshl_add_u32 v32, v32, 23, v37
	v_or3_b32 v42, v42, v32, v34
.LBB623_141:                            ;   in Loop: Header=BB623_17 Depth=1
	s_or_b64 exec, exec, s[10:11]
.LBB623_142:                            ;   in Loop: Header=BB623_17 Depth=1
	s_or_b64 exec, exec, s[6:7]
.LBB623_143:                            ;   in Loop: Header=BB623_17 Depth=1
	s_or_b64 exec, exec, s[4:5]
	v_lshrrev_b16_e32 v32, 8, v30
	v_cmp_ne_u16_e32 vcc, 0, v32
	v_mov_b32_e32 v53, 0
	v_mov_b32_e32 v54, 0
	s_and_saveexec_b64 s[4:5], vcc
	s_cbranch_execz .LBB623_149
; %bb.144:                              ;   in Loop: Header=BB623_17 Depth=1
	v_cmp_ne_u16_e32 vcc, s13, v32
	v_bfrev_b32_e32 v54, 1
	s_and_saveexec_b64 s[6:7], vcc
	s_cbranch_execz .LBB623_148
; %bb.145:                              ;   in Loop: Header=BB623_17 Depth=1
	v_and_b32_e32 v34, 0x7f, v32
	v_cmp_ne_u32_e32 vcc, s14, v34
	v_mov_b32_e32 v54, 0x7f800001
	s_and_saveexec_b64 s[10:11], vcc
	s_cbranch_execz .LBB623_147
; %bb.146:                              ;   in Loop: Header=BB623_17 Depth=1
	v_and_b32_e32 v56, 7, v32
	v_ffbh_u32_e32 v54, v56
	v_min_u32_e32 v58, 32, v54
	v_subrev_u32_e32 v54, 28, v58
	v_lshlrev_b64 v[54:55], v54, v[32:33]
	v_lshrrev_b32_e32 v57, 3, v34
	v_sub_u32_e32 v32, 29, v58
	v_and_b32_e32 v54, 7, v54
	v_cmp_gt_u32_e32 vcc, 8, v34
	v_cndmask_b32_e32 v32, v57, v32, vcc
	v_cndmask_b32_e32 v34, v56, v54, vcc
	v_lshlrev_b32_e32 v54, 16, v30
	v_lshlrev_b32_e32 v34, 20, v34
	v_and_b32_e32 v54, 0x80000000, v54
	v_lshl_add_u32 v32, v32, 23, v37
	v_or3_b32 v54, v54, v32, v34
.LBB623_147:                            ;   in Loop: Header=BB623_17 Depth=1
	s_or_b64 exec, exec, s[10:11]
.LBB623_148:                            ;   in Loop: Header=BB623_17 Depth=1
	s_or_b64 exec, exec, s[6:7]
.LBB623_149:                            ;   in Loop: Header=BB623_17 Depth=1
	s_or_b64 exec, exec, s[4:5]
	v_lshrrev_b32_e32 v32, 16, v30
	v_cmp_ne_u16_sdwa s[6:7], v32, v33 src0_sel:BYTE_0 src1_sel:DWORD
	s_and_saveexec_b64 s[4:5], s[6:7]
	s_cbranch_execz .LBB623_155
; %bb.150:                              ;   in Loop: Header=BB623_17 Depth=1
	v_cmp_ne_u16_sdwa s[10:11], v32, s13 src0_sel:BYTE_0 src1_sel:DWORD
	v_bfrev_b32_e32 v53, 1
	s_and_saveexec_b64 s[6:7], s[10:11]
	s_cbranch_execz .LBB623_154
; %bb.151:                              ;   in Loop: Header=BB623_17 Depth=1
	v_bfe_u32 v34, v30, 16, 7
	v_cmp_ne_u32_e32 vcc, s14, v34
	v_mov_b32_e32 v53, 0x7f800001
	s_and_saveexec_b64 s[10:11], vcc
	s_cbranch_execz .LBB623_153
; %bb.152:                              ;   in Loop: Header=BB623_17 Depth=1
	v_and_b32_e32 v53, 7, v32
	v_ffbh_u32_e32 v56, v53
	v_min_u32_e32 v58, 32, v56
	v_subrev_u32_e32 v56, 28, v58
	v_lshlrev_b64 v[56:57], v56, v[32:33]
	v_lshrrev_b32_e32 v55, 3, v34
	v_sub_u32_e32 v57, 29, v58
	v_and_b32_e32 v56, 7, v56
	v_cmp_gt_u32_e32 vcc, 8, v34
	v_cndmask_b32_e32 v34, v55, v57, vcc
	v_cndmask_b32_e32 v53, v53, v56, vcc
	v_lshlrev_b32_e32 v32, 24, v32
	v_lshlrev_b32_e32 v53, 20, v53
	v_and_b32_e32 v32, 0x80000000, v32
	v_lshl_add_u32 v34, v34, 23, v37
	v_or3_b32 v53, v32, v34, v53
.LBB623_153:                            ;   in Loop: Header=BB623_17 Depth=1
	s_or_b64 exec, exec, s[10:11]
.LBB623_154:                            ;   in Loop: Header=BB623_17 Depth=1
	s_or_b64 exec, exec, s[6:7]
.LBB623_155:                            ;   in Loop: Header=BB623_17 Depth=1
	s_or_b64 exec, exec, s[4:5]
	v_cmp_lt_u32_e32 vcc, s15, v30
	v_mov_b32_e32 v34, 0
	v_mov_b32_e32 v55, 0
	s_and_saveexec_b64 s[4:5], vcc
	s_cbranch_execz .LBB623_161
; %bb.156:                              ;   in Loop: Header=BB623_17 Depth=1
	v_lshrrev_b32_e32 v32, 24, v30
	v_cmp_ne_u32_e32 vcc, s13, v32
	v_bfrev_b32_e32 v55, 1
	s_and_saveexec_b64 s[6:7], vcc
	s_cbranch_execz .LBB623_160
; %bb.157:                              ;   in Loop: Header=BB623_17 Depth=1
	v_bfe_u32 v30, v30, 24, 7
	v_cmp_ne_u32_e32 vcc, s14, v30
	v_mov_b32_e32 v55, 0x7f800001
	s_and_saveexec_b64 s[10:11], vcc
	s_cbranch_execz .LBB623_159
; %bb.158:                              ;   in Loop: Header=BB623_17 Depth=1
	v_and_b32_e32 v55, 7, v32
	v_ffbh_u32_e32 v56, v55
	v_min_u32_e32 v59, 32, v56
	v_subrev_u32_e32 v56, 28, v59
	v_lshlrev_b64 v[56:57], v56, v[32:33]
	v_lshrrev_b32_e32 v58, 3, v30
	v_sub_u32_e32 v57, 29, v59
	v_and_b32_e32 v56, 7, v56
	v_cmp_gt_u32_e32 vcc, 8, v30
	v_cndmask_b32_e32 v30, v58, v57, vcc
	v_cndmask_b32_e32 v55, v55, v56, vcc
	v_lshlrev_b32_e32 v32, 24, v32
	v_lshlrev_b32_e32 v55, 20, v55
	v_and_b32_e32 v32, 0x80000000, v32
	v_lshl_add_u32 v30, v30, 23, v37
	v_or3_b32 v55, v32, v30, v55
.LBB623_159:                            ;   in Loop: Header=BB623_17 Depth=1
	s_or_b64 exec, exec, s[10:11]
.LBB623_160:                            ;   in Loop: Header=BB623_17 Depth=1
	s_or_b64 exec, exec, s[6:7]
.LBB623_161:                            ;   in Loop: Header=BB623_17 Depth=1
	s_or_b64 exec, exec, s[4:5]
	v_cvt_pkrtz_f16_f32 v56, v23, v40
	v_cvt_pkrtz_f16_f32 v57, v38, v44
	;; [unrolled: 1-line block ×4, first 2 shown]
	s_waitcnt vmcnt(1)
	v_cmp_ne_u16_sdwa s[6:7], v28, v33 src0_sel:BYTE_0 src1_sel:DWORD
	v_mfma_f32_16x16x16f16 v[18:21], v[56:57], v[10:11], v[18:21]
	v_mfma_f32_16x16x16f16 v[18:21], v[54:55], v[12:13], v[18:21]
	s_and_saveexec_b64 s[4:5], s[6:7]
	s_cbranch_execz .LBB623_167
; %bb.162:                              ;   in Loop: Header=BB623_17 Depth=1
	v_cmp_ne_u16_sdwa s[10:11], v28, s13 src0_sel:BYTE_0 src1_sel:DWORD
	v_bfrev_b32_e32 v34, 1
	s_and_saveexec_b64 s[6:7], s[10:11]
	s_cbranch_execz .LBB623_166
; %bb.163:                              ;   in Loop: Header=BB623_17 Depth=1
	v_and_b32_e32 v23, 0x7f, v28
	v_cmp_ne_u32_e32 vcc, s14, v23
	v_mov_b32_e32 v34, 0x7f800001
	s_and_saveexec_b64 s[10:11], vcc
	s_cbranch_execz .LBB623_165
; %bb.164:                              ;   in Loop: Header=BB623_17 Depth=1
	v_and_b32_e32 v30, 7, v28
	v_ffbh_u32_e32 v34, v30
	v_min_u32_e32 v34, 32, v34
	v_subrev_u32_e32 v38, 28, v34
	v_lshlrev_b64 v[54:55], v38, v[28:29]
	v_lshrrev_b32_e32 v32, 3, v23
	v_sub_u32_e32 v34, 29, v34
	v_and_b32_e32 v38, 7, v54
	v_cmp_gt_u32_e32 vcc, 8, v23
	v_cndmask_b32_e32 v23, v32, v34, vcc
	v_cndmask_b32_e32 v30, v30, v38, vcc
	v_lshlrev_b32_e32 v32, 24, v28
	v_lshlrev_b32_e32 v30, 20, v30
	v_and_b32_e32 v32, 0x80000000, v32
	v_lshl_add_u32 v23, v23, 23, v37
	v_or3_b32 v34, v32, v23, v30
.LBB623_165:                            ;   in Loop: Header=BB623_17 Depth=1
	s_or_b64 exec, exec, s[10:11]
.LBB623_166:                            ;   in Loop: Header=BB623_17 Depth=1
	s_or_b64 exec, exec, s[6:7]
.LBB623_167:                            ;   in Loop: Header=BB623_17 Depth=1
	s_or_b64 exec, exec, s[4:5]
	v_lshrrev_b16_e32 v30, 8, v28
	v_cmp_ne_u16_e32 vcc, 0, v30
	v_mov_b32_e32 v23, 0
	v_mov_b32_e32 v32, 0
	s_and_saveexec_b64 s[4:5], vcc
	s_cbranch_execz .LBB623_173
; %bb.168:                              ;   in Loop: Header=BB623_17 Depth=1
	v_cmp_ne_u16_e32 vcc, s13, v30
	v_bfrev_b32_e32 v32, 1
	s_and_saveexec_b64 s[6:7], vcc
	s_cbranch_execz .LBB623_172
; %bb.169:                              ;   in Loop: Header=BB623_17 Depth=1
	v_and_b32_e32 v38, 0x7f, v30
	v_cmp_ne_u32_e32 vcc, s14, v38
	v_mov_b32_e32 v32, 0x7f800001
	s_and_saveexec_b64 s[10:11], vcc
	s_cbranch_execz .LBB623_171
; %bb.170:                              ;   in Loop: Header=BB623_17 Depth=1
	v_and_b32_e32 v32, 7, v30
	v_ffbh_u32_e32 v42, v32
	v_min_u32_e32 v42, 32, v42
	v_subrev_u32_e32 v44, 28, v42
	v_lshlrev_b64 v[54:55], v44, v[30:31]
	v_lshrrev_b32_e32 v40, 3, v38
	v_sub_u32_e32 v30, 29, v42
	v_and_b32_e32 v42, 7, v54
	v_cmp_gt_u32_e32 vcc, 8, v38
	v_cndmask_b32_e32 v30, v40, v30, vcc
	v_cndmask_b32_e32 v32, v32, v42, vcc
	v_lshlrev_b32_e32 v38, 16, v28
	v_lshlrev_b32_e32 v32, 20, v32
	v_and_b32_e32 v38, 0x80000000, v38
	v_lshl_add_u32 v30, v30, 23, v37
	v_or3_b32 v32, v38, v30, v32
.LBB623_171:                            ;   in Loop: Header=BB623_17 Depth=1
	s_or_b64 exec, exec, s[10:11]
.LBB623_172:                            ;   in Loop: Header=BB623_17 Depth=1
	s_or_b64 exec, exec, s[6:7]
.LBB623_173:                            ;   in Loop: Header=BB623_17 Depth=1
	s_or_b64 exec, exec, s[4:5]
	v_lshrrev_b32_e32 v30, 16, v28
	v_cmp_ne_u16_sdwa s[6:7], v30, v33 src0_sel:BYTE_0 src1_sel:DWORD
	s_and_saveexec_b64 s[4:5], s[6:7]
	s_cbranch_execz .LBB623_179
; %bb.174:                              ;   in Loop: Header=BB623_17 Depth=1
	v_cmp_ne_u16_sdwa s[10:11], v30, s13 src0_sel:BYTE_0 src1_sel:DWORD
	v_bfrev_b32_e32 v23, 1
	s_and_saveexec_b64 s[6:7], s[10:11]
	s_cbranch_execz .LBB623_178
; %bb.175:                              ;   in Loop: Header=BB623_17 Depth=1
	v_bfe_u32 v38, v28, 16, 7
	v_cmp_ne_u32_e32 vcc, s14, v38
	v_mov_b32_e32 v23, 0x7f800001
	s_and_saveexec_b64 s[10:11], vcc
	s_cbranch_execz .LBB623_177
; %bb.176:                              ;   in Loop: Header=BB623_17 Depth=1
	v_and_b32_e32 v23, 7, v30
	v_ffbh_u32_e32 v42, v23
	v_min_u32_e32 v42, 32, v42
	v_subrev_u32_e32 v44, 28, v42
	v_lshlrev_b64 v[54:55], v44, v[30:31]
	v_lshrrev_b32_e32 v40, 3, v38
	v_sub_u32_e32 v42, 29, v42
	v_and_b32_e32 v44, 7, v54
	v_cmp_gt_u32_e32 vcc, 8, v38
	v_cndmask_b32_e32 v38, v40, v42, vcc
	v_cndmask_b32_e32 v23, v23, v44, vcc
	v_lshlrev_b32_e32 v30, 24, v30
	v_lshlrev_b32_e32 v23, 20, v23
	v_and_b32_e32 v30, 0x80000000, v30
	v_lshl_add_u32 v38, v38, 23, v37
	v_or3_b32 v23, v30, v38, v23
.LBB623_177:                            ;   in Loop: Header=BB623_17 Depth=1
	s_or_b64 exec, exec, s[10:11]
.LBB623_178:                            ;   in Loop: Header=BB623_17 Depth=1
	s_or_b64 exec, exec, s[6:7]
.LBB623_179:                            ;   in Loop: Header=BB623_17 Depth=1
	s_or_b64 exec, exec, s[4:5]
	v_cmp_lt_u32_e32 vcc, s15, v28
	v_mov_b32_e32 v38, 0
	v_mov_b32_e32 v40, 0
	s_and_saveexec_b64 s[4:5], vcc
	s_cbranch_execz .LBB623_185
; %bb.180:                              ;   in Loop: Header=BB623_17 Depth=1
	v_lshrrev_b32_e32 v30, 24, v28
	v_cmp_ne_u32_e32 vcc, s13, v30
	v_bfrev_b32_e32 v40, 1
	s_and_saveexec_b64 s[6:7], vcc
	s_cbranch_execz .LBB623_184
; %bb.181:                              ;   in Loop: Header=BB623_17 Depth=1
	v_bfe_u32 v28, v28, 24, 7
	v_cmp_ne_u32_e32 vcc, s14, v28
	v_mov_b32_e32 v40, 0x7f800001
	s_and_saveexec_b64 s[10:11], vcc
	s_cbranch_execz .LBB623_183
; %bb.182:                              ;   in Loop: Header=BB623_17 Depth=1
	v_and_b32_e32 v40, 7, v30
	v_ffbh_u32_e32 v44, v40
	v_min_u32_e32 v44, 32, v44
	v_subrev_u32_e32 v53, 28, v44
	v_lshlrev_b64 v[54:55], v53, v[30:31]
	v_lshrrev_b32_e32 v42, 3, v28
	v_sub_u32_e32 v44, 29, v44
	v_and_b32_e32 v53, 7, v54
	v_cmp_gt_u32_e32 vcc, 8, v28
	v_cndmask_b32_e32 v28, v42, v44, vcc
	v_cndmask_b32_e32 v40, v40, v53, vcc
	v_lshlrev_b32_e32 v30, 24, v30
	v_lshlrev_b32_e32 v40, 20, v40
	v_and_b32_e32 v30, 0x80000000, v30
	v_lshl_add_u32 v28, v28, 23, v37
	v_or3_b32 v40, v30, v28, v40
.LBB623_183:                            ;   in Loop: Header=BB623_17 Depth=1
	s_or_b64 exec, exec, s[10:11]
.LBB623_184:                            ;   in Loop: Header=BB623_17 Depth=1
	s_or_b64 exec, exec, s[6:7]
.LBB623_185:                            ;   in Loop: Header=BB623_17 Depth=1
	s_or_b64 exec, exec, s[4:5]
	s_waitcnt vmcnt(0)
	v_cmp_ne_u16_sdwa s[6:7], v26, v33 src0_sel:BYTE_0 src1_sel:DWORD
	s_and_saveexec_b64 s[4:5], s[6:7]
	s_cbranch_execz .LBB623_191
; %bb.186:                              ;   in Loop: Header=BB623_17 Depth=1
	v_cmp_ne_u16_sdwa s[10:11], v26, s13 src0_sel:BYTE_0 src1_sel:DWORD
	v_bfrev_b32_e32 v38, 1
	s_and_saveexec_b64 s[6:7], s[10:11]
	s_cbranch_execz .LBB623_190
; %bb.187:                              ;   in Loop: Header=BB623_17 Depth=1
	v_and_b32_e32 v28, 0x7f, v26
	v_cmp_ne_u32_e32 vcc, s14, v28
	v_mov_b32_e32 v38, 0x7f800001
	s_and_saveexec_b64 s[10:11], vcc
	s_cbranch_execz .LBB623_189
; %bb.188:                              ;   in Loop: Header=BB623_17 Depth=1
	v_and_b32_e32 v30, 7, v26
	v_ffbh_u32_e32 v42, v30
	v_min_u32_e32 v42, 32, v42
	v_subrev_u32_e32 v44, 28, v42
	v_lshlrev_b64 v[54:55], v44, v[26:27]
	v_lshrrev_b32_e32 v38, 3, v28
	v_sub_u32_e32 v42, 29, v42
	v_and_b32_e32 v44, 7, v54
	v_cmp_gt_u32_e32 vcc, 8, v28
	v_cndmask_b32_e32 v28, v38, v42, vcc
	v_cndmask_b32_e32 v30, v30, v44, vcc
	v_lshlrev_b32_e32 v38, 24, v26
	v_lshlrev_b32_e32 v30, 20, v30
	v_and_b32_e32 v38, 0x80000000, v38
	v_lshl_add_u32 v28, v28, 23, v37
	v_or3_b32 v38, v38, v28, v30
.LBB623_189:                            ;   in Loop: Header=BB623_17 Depth=1
	s_or_b64 exec, exec, s[10:11]
.LBB623_190:                            ;   in Loop: Header=BB623_17 Depth=1
	s_or_b64 exec, exec, s[6:7]
.LBB623_191:                            ;   in Loop: Header=BB623_17 Depth=1
	s_or_b64 exec, exec, s[4:5]
	v_lshrrev_b16_e32 v28, 8, v26
	v_cmp_ne_u16_e32 vcc, 0, v28
	v_mov_b32_e32 v30, 0
	v_mov_b32_e32 v42, 0
	s_and_saveexec_b64 s[4:5], vcc
	s_cbranch_execz .LBB623_197
; %bb.192:                              ;   in Loop: Header=BB623_17 Depth=1
	v_cmp_ne_u16_e32 vcc, s13, v28
	v_bfrev_b32_e32 v42, 1
	s_and_saveexec_b64 s[6:7], vcc
	s_cbranch_execz .LBB623_196
; %bb.193:                              ;   in Loop: Header=BB623_17 Depth=1
	v_and_b32_e32 v44, 0x7f, v28
	v_cmp_ne_u32_e32 vcc, s14, v44
	v_mov_b32_e32 v42, 0x7f800001
	s_and_saveexec_b64 s[10:11], vcc
	s_cbranch_execz .LBB623_195
; %bb.194:                              ;   in Loop: Header=BB623_17 Depth=1
	v_and_b32_e32 v42, 7, v28
	v_ffbh_u32_e32 v54, v42
	v_min_u32_e32 v56, 32, v54
	v_subrev_u32_e32 v54, 28, v56
	v_lshlrev_b64 v[54:55], v54, v[28:29]
	v_lshrrev_b32_e32 v53, 3, v44
	v_sub_u32_e32 v28, 29, v56
	v_and_b32_e32 v54, 7, v54
	v_cmp_gt_u32_e32 vcc, 8, v44
	v_cndmask_b32_e32 v28, v53, v28, vcc
	v_cndmask_b32_e32 v42, v42, v54, vcc
	v_lshlrev_b32_e32 v44, 16, v26
	v_lshlrev_b32_e32 v42, 20, v42
	v_and_b32_e32 v44, 0x80000000, v44
	v_lshl_add_u32 v28, v28, 23, v37
	v_or3_b32 v42, v44, v28, v42
.LBB623_195:                            ;   in Loop: Header=BB623_17 Depth=1
	s_or_b64 exec, exec, s[10:11]
.LBB623_196:                            ;   in Loop: Header=BB623_17 Depth=1
	s_or_b64 exec, exec, s[6:7]
.LBB623_197:                            ;   in Loop: Header=BB623_17 Depth=1
	s_or_b64 exec, exec, s[4:5]
	v_lshrrev_b32_e32 v28, 16, v26
	v_cmp_ne_u16_sdwa s[6:7], v28, v33 src0_sel:BYTE_0 src1_sel:DWORD
	s_and_saveexec_b64 s[4:5], s[6:7]
	s_cbranch_execz .LBB623_203
; %bb.198:                              ;   in Loop: Header=BB623_17 Depth=1
	v_cmp_ne_u16_sdwa s[10:11], v28, s13 src0_sel:BYTE_0 src1_sel:DWORD
	v_bfrev_b32_e32 v30, 1
	s_and_saveexec_b64 s[6:7], s[10:11]
	s_cbranch_execz .LBB623_202
; %bb.199:                              ;   in Loop: Header=BB623_17 Depth=1
	v_bfe_u32 v44, v26, 16, 7
	v_cmp_ne_u32_e32 vcc, s14, v44
	v_mov_b32_e32 v30, 0x7f800001
	s_and_saveexec_b64 s[10:11], vcc
	s_cbranch_execz .LBB623_201
; %bb.200:                              ;   in Loop: Header=BB623_17 Depth=1
	v_and_b32_e32 v30, 7, v28
	v_ffbh_u32_e32 v54, v30
	v_min_u32_e32 v56, 32, v54
	v_subrev_u32_e32 v54, 28, v56
	v_lshlrev_b64 v[54:55], v54, v[28:29]
	v_lshrrev_b32_e32 v53, 3, v44
	v_sub_u32_e32 v55, 29, v56
	v_and_b32_e32 v54, 7, v54
	v_cmp_gt_u32_e32 vcc, 8, v44
	v_cndmask_b32_e32 v44, v53, v55, vcc
	v_cndmask_b32_e32 v30, v30, v54, vcc
	v_lshlrev_b32_e32 v28, 24, v28
	v_lshlrev_b32_e32 v30, 20, v30
	v_and_b32_e32 v28, 0x80000000, v28
	v_lshl_add_u32 v44, v44, 23, v37
	v_or3_b32 v30, v28, v44, v30
.LBB623_201:                            ;   in Loop: Header=BB623_17 Depth=1
	s_or_b64 exec, exec, s[10:11]
.LBB623_202:                            ;   in Loop: Header=BB623_17 Depth=1
	s_or_b64 exec, exec, s[6:7]
.LBB623_203:                            ;   in Loop: Header=BB623_17 Depth=1
	s_or_b64 exec, exec, s[4:5]
	v_cmp_lt_u32_e32 vcc, s15, v26
	v_mov_b32_e32 v44, 0
	s_and_saveexec_b64 s[4:5], vcc
	s_cbranch_execz .LBB623_16
; %bb.204:                              ;   in Loop: Header=BB623_17 Depth=1
	v_lshrrev_b32_e32 v28, 24, v26
	v_cmp_ne_u32_e32 vcc, s13, v28
	v_bfrev_b32_e32 v44, 1
	s_and_saveexec_b64 s[6:7], vcc
	s_cbranch_execz .LBB623_15
; %bb.205:                              ;   in Loop: Header=BB623_17 Depth=1
	v_bfe_u32 v26, v26, 24, 7
	v_cmp_ne_u32_e32 vcc, s14, v26
	v_mov_b32_e32 v44, 0x7f800001
	s_and_saveexec_b64 s[10:11], vcc
	s_cbranch_execz .LBB623_14
; %bb.206:                              ;   in Loop: Header=BB623_17 Depth=1
	v_and_b32_e32 v44, 7, v28
	v_ffbh_u32_e32 v54, v44
	v_min_u32_e32 v56, 32, v54
	v_subrev_u32_e32 v54, 28, v56
	v_lshlrev_b64 v[54:55], v54, v[28:29]
	v_lshrrev_b32_e32 v53, 3, v26
	v_sub_u32_e32 v55, 29, v56
	v_and_b32_e32 v54, 7, v54
	v_cmp_gt_u32_e32 vcc, 8, v26
	v_cndmask_b32_e32 v26, v53, v55, vcc
	v_cndmask_b32_e32 v44, v44, v54, vcc
	v_lshlrev_b32_e32 v28, 24, v28
	v_lshlrev_b32_e32 v44, 20, v44
	v_and_b32_e32 v28, 0x80000000, v28
	v_lshl_add_u32 v26, v26, 23, v37
	v_or3_b32 v44, v28, v26, v44
	s_branch .LBB623_14
.LBB623_207:
	buffer_load_dword v17, off, s[0:3], 0 offset:256
	buffer_load_dword v16, off, s[0:3], 0 offset:260
	buffer_load_dword v15, off, s[0:3], 0 offset:264
	buffer_load_dword v14, off, s[0:3], 0 offset:268
	buffer_load_dword v13, off, s[0:3], 0 offset:272
	buffer_load_dword v12, off, s[0:3], 0 offset:276
	buffer_load_dword v11, off, s[0:3], 0 offset:280
	buffer_load_dword v10, off, s[0:3], 0 offset:284
	buffer_load_dword v9, off, s[0:3], 0 offset:288
	buffer_load_dword v8, off, s[0:3], 0 offset:292
	buffer_load_dword v7, off, s[0:3], 0 offset:296
	buffer_load_dword v6, off, s[0:3], 0 offset:300
	buffer_load_dword v5, off, s[0:3], 0 offset:304
	buffer_load_dword v4, off, s[0:3], 0 offset:308
	buffer_load_dword v3, off, s[0:3], 0 offset:312
	buffer_load_dword v2, off, s[0:3], 0 offset:316
	v_and_b32_e32 v18, 0xc0, v0
	v_add_u32_e32 v18, s20, v18
	v_lshl_or_b32 v18, v39, 2, v18
	v_or_b32_e32 v20, 1, v18
	v_subrev_u32_e32 v24, s33, v20
	v_add_u32_e32 v26, 1, v24
	v_cvt_f32_i32_e32 v25, v24
	v_add_u32_e32 v28, 2, v24
	v_add_u32_e32 v30, 3, v24
	;; [unrolled: 1-line block ×14, first 2 shown]
	v_cvt_f32_i32_e32 v26, v26
	v_cvt_f32_i32_e32 v28, v28
	;; [unrolled: 1-line block ×4, first 2 shown]
	v_mov_b32_e32 v19, 0xff7fffff
	v_or_b32_e32 v21, 2, v18
	v_or_b32_e32 v22, 3, v18
	v_cvt_f32_i32_e32 v32, v32
	v_cvt_f32_i32_e32 v33, v33
	v_cmp_gt_i32_e64 s[28:29], s33, v18
	v_cmp_gt_i32_e64 s[30:31], s33, v20
	s_mov_b32 s52, 0xff7fffff
	v_cmp_gt_i32_e64 s[34:35], s33, v21
	v_cmp_gt_i32_e64 s[36:37], s33, v22
	v_or_b32_e32 v23, 16, v18
	v_cvt_f32_i32_e32 v34, v34
	v_cvt_f32_i32_e32 v35, v35
	v_cmp_gt_i32_e64 s[24:25], s33, v23
	v_cvt_f32_i32_e32 v36, v36
	v_cvt_f32_i32_e32 v37, v37
	;; [unrolled: 1-line block ×7, first 2 shown]
	s_waitcnt vmcnt(15)
	v_fmac_f32_e32 v17, v31, v25
	s_waitcnt vmcnt(14)
	v_fmac_f32_e32 v16, v31, v26
	;; [unrolled: 2-line block ×4, first 2 shown]
	v_cndmask_b32_e64 v20, v19, v16, s[30:31]
	v_cndmask_b32_e64 v21, v19, v15, s[34:35]
	;; [unrolled: 1-line block ×3, first 2 shown]
	s_waitcnt vmcnt(11)
	v_fmac_f32_e32 v13, v31, v32
	s_waitcnt vmcnt(10)
	v_fmac_f32_e32 v12, v31, v33
	;; [unrolled: 2-line block ×9, first 2 shown]
	v_cndmask_b32_e64 v24, v19, v17, s[28:29]
	v_max3_f32 v20, v24, s52, v20
	v_max3_f32 v20, v20, v21, v22
	v_or_b32_e32 v22, 17, v18
	v_cmp_gt_i32_e64 s[38:39], s33, v22
	v_cndmask_b32_e64 v21, v19, v13, s[24:25]
	v_cndmask_b32_e64 v22, v19, v12, s[38:39]
	v_max3_f32 v20, v20, v21, v22
	v_or_b32_e32 v21, 18, v18
	v_or_b32_e32 v22, 19, v18
	v_cmp_gt_i32_e64 s[20:21], s33, v21
	v_cmp_gt_i32_e64 s[22:23], s33, v22
	v_cndmask_b32_e64 v21, v19, v11, s[20:21]
	v_cndmask_b32_e64 v22, v19, v10, s[22:23]
	v_max3_f32 v20, v20, v21, v22
	v_or_b32_e32 v21, 32, v18
	v_or_b32_e32 v22, 33, v18
	v_cmp_gt_i32_e64 s[16:17], s33, v21
	;; [unrolled: 7-line block ×3, first 2 shown]
	v_cmp_gt_i32_e64 s[14:15], s33, v22
	v_cndmask_b32_e64 v21, v19, v7, s[12:13]
	v_cndmask_b32_e64 v22, v19, v6, s[14:15]
	v_max3_f32 v20, v20, v21, v22
	v_or_b32_e32 v21, 48, v18
	v_or_b32_e32 v22, 49, v18
	v_fmac_f32_e32 v5, v31, v42
	v_fmac_f32_e32 v4, v31, v44
	v_cmp_gt_i32_e64 s[6:7], s33, v21
	v_cmp_gt_i32_e64 s[10:11], s33, v22
	v_cndmask_b32_e64 v21, v19, v5, s[6:7]
	v_cndmask_b32_e64 v22, v19, v4, s[10:11]
	v_max3_f32 v20, v20, v21, v22
	v_or_b32_e32 v21, 50, v18
	v_or_b32_e32 v18, 51, v18
	v_fmac_f32_e32 v3, v31, v53
	v_cmp_gt_i32_e32 vcc, s33, v21
	v_cmp_gt_i32_e64 s[4:5], s33, v18
	v_cndmask_b32_e32 v21, v19, v3, vcc
	v_cndmask_b32_e64 v18, v19, v2, s[4:5]
	v_mbcnt_lo_u32_b32 v19, -1, 0
	v_mbcnt_hi_u32_b32 v19, -1, v19
	v_max3_f32 v18, v20, v21, v18
	v_and_b32_e32 v20, 64, v19
	v_add_u32_e32 v20, 64, v20
	v_xor_b32_e32 v21, 32, v19
	v_cmp_lt_i32_e64 s[40:41], v21, v20
	v_cndmask_b32_e64 v21, v19, v21, s[40:41]
	v_lshlrev_b32_e32 v21, 2, v21
	ds_bpermute_b32 v22, v21, v18
	s_waitcnt lgkmcnt(0)
	v_max_f32_e32 v22, v22, v22
	v_max_f32_e32 v18, v18, v22
	v_xor_b32_e32 v22, 16, v19
	v_cmp_lt_i32_e64 s[40:41], v22, v20
	v_cndmask_b32_e64 v19, v19, v22, s[40:41]
	v_lshlrev_b32_e32 v19, 2, v19
	ds_bpermute_b32 v20, v19, v18
	s_waitcnt lgkmcnt(0)
	v_max_f32_e32 v20, v20, v20
	v_max_f32_e32 v18, v18, v20
	v_sub_f32_e32 v17, v17, v18
	v_mul_f32_e32 v17, 0x3fb8aa3b, v17
	v_sub_f32_e32 v16, v16, v18
	v_exp_f32_e32 v17, v17
	v_mul_f32_e32 v16, 0x3fb8aa3b, v16
	v_sub_f32_e32 v15, v15, v18
	v_exp_f32_e32 v16, v16
	;; [unrolled: 3-line block ×4, first 2 shown]
	v_mul_f32_e32 v13, 0x3fb8aa3b, v13
	v_sub_f32_e32 v12, v12, v18
	v_cndmask_b32_e64 v17, 0, v17, s[28:29]
	v_exp_f32_e32 v13, v13
	v_mul_f32_e32 v12, 0x3fb8aa3b, v12
	v_sub_f32_e32 v11, v11, v18
	v_add_f32_e32 v20, 0, v17
	v_cndmask_b32_e64 v16, 0, v16, s[30:31]
	v_exp_f32_e32 v12, v12
	v_mul_f32_e32 v11, 0x3fb8aa3b, v11
	v_sub_f32_e32 v10, v10, v18
	v_add_f32_e32 v20, v20, v16
	;; [unrolled: 5-line block ×4, first 2 shown]
	v_cndmask_b32_e64 v13, 0, v13, s[24:25]
	v_exp_f32_e32 v9, v9
	v_mul_f32_e32 v8, 0x3fb8aa3b, v8
	v_sub_f32_e32 v7, v7, v18
	buffer_store_dword v17, off, s[0:3], 0 offset:256
	buffer_store_dword v16, off, s[0:3], 0 offset:260
	;; [unrolled: 1-line block ×4, first 2 shown]
	v_add_f32_e32 v14, v20, v13
	v_cndmask_b32_e64 v12, 0, v12, s[38:39]
	v_exp_f32_e32 v8, v8
	v_mul_f32_e32 v7, 0x3fb8aa3b, v7
	v_sub_f32_e32 v6, v6, v18
	v_add_f32_e32 v14, v14, v12
	v_cndmask_b32_e64 v11, 0, v11, s[20:21]
	v_exp_f32_e32 v7, v7
	v_mul_f32_e32 v6, 0x3fb8aa3b, v6
	v_sub_f32_e32 v5, v5, v18
	;; [unrolled: 5-line block ×4, first 2 shown]
	buffer_store_dword v13, off, s[0:3], 0 offset:272
	buffer_store_dword v12, off, s[0:3], 0 offset:276
	;; [unrolled: 1-line block ×4, first 2 shown]
	v_add_f32_e32 v10, v14, v9
	v_cndmask_b32_e64 v8, 0, v8, s[18:19]
	v_exp_f32_e32 v4, v4
	v_mul_f32_e32 v3, 0x3fb8aa3b, v3
	v_sub_f32_e32 v2, v2, v18
	v_add_f32_e32 v10, v10, v8
	v_cndmask_b32_e64 v7, 0, v7, s[12:13]
	v_exp_f32_e32 v3, v3
	v_mul_f32_e32 v2, 0x3fb8aa3b, v2
	v_add_f32_e32 v10, v10, v7
	v_cndmask_b32_e64 v6, 0, v6, s[14:15]
	v_exp_f32_e32 v2, v2
	v_add_f32_e32 v10, v10, v6
	v_cndmask_b32_e64 v5, 0, v5, s[6:7]
	buffer_store_dword v9, off, s[0:3], 0 offset:288
	buffer_store_dword v8, off, s[0:3], 0 offset:292
	;; [unrolled: 1-line block ×4, first 2 shown]
	v_add_f32_e32 v6, v10, v5
	v_cndmask_b32_e64 v4, 0, v4, s[10:11]
	v_add_f32_e32 v6, v6, v4
	v_cndmask_b32_e32 v3, 0, v3, vcc
	v_add_f32_e32 v6, v6, v3
	v_cndmask_b32_e64 v2, 0, v2, s[4:5]
	v_add_f32_e32 v6, v6, v2
	ds_bpermute_b32 v7, v21, v6
	buffer_store_dword v5, off, s[0:3], 0 offset:304
	buffer_store_dword v4, off, s[0:3], 0 offset:308
	;; [unrolled: 1-line block ×4, first 2 shown]
	v_cmp_gt_u32_e32 vcc, 16, v45
	s_waitcnt lgkmcnt(0)
	s_barrier
	v_add_f32_e32 v2, v6, v7
	ds_bpermute_b32 v3, v19, v2
	s_waitcnt lgkmcnt(0)
	s_and_saveexec_b64 s[4:5], vcc
	s_cbranch_execz .LBB623_209
; %bb.208:
	v_add_f32_e32 v2, v2, v3
	v_lshlrev_b32_e32 v3, 2, v29
	ds_write2st64_b32 v3, v18, v2 offset1:1
.LBB623_209:
	s_or_b64 exec, exec, s[4:5]
	v_lshlrev_b32_e32 v2, 2, v41
	s_waitcnt lgkmcnt(0)
	s_barrier
	ds_read2_b32 v[12:13], v2 offset1:16
	ds_read2_b32 v[14:15], v2 offset0:32 offset1:48
	ds_read2_b32 v[6:7], v2 offset0:64 offset1:80
	;; [unrolled: 1-line block ×3, first 2 shown]
	s_waitcnt lgkmcnt(0)
	s_barrier
	buffer_load_dword v20, off, s[0:3], 0 offset:256
	buffer_load_dword v21, off, s[0:3], 0 offset:260
	;; [unrolled: 1-line block ×16, first 2 shown]
	v_lshlrev_b32_e32 v19, 3, v39
	v_lshlrev_b32_e32 v18, 5, v41
	;; [unrolled: 1-line block ×3, first 2 shown]
	v_or3_b32 v53, v26, v18, v19
	v_max3_f32 v19, v12, s52, v13
	v_max3_f32 v19, v19, v14, v15
	v_sub_f32_e32 v12, v12, v19
	v_sub_f32_e32 v13, v13, v19
	v_mul_f32_e32 v12, 0x3fb8aa3b, v12
	v_sub_f32_e32 v14, v14, v19
	v_mul_f32_e32 v13, 0x3fb8aa3b, v13
	v_exp_f32_e32 v12, v12
	v_sub_f32_e32 v15, v15, v19
	v_mul_f32_e32 v14, 0x3fb8aa3b, v14
	v_exp_f32_e32 v13, v13
	v_mul_f32_e32 v15, 0x3fb8aa3b, v15
	v_exp_f32_e32 v14, v14
	v_exp_f32_e32 v15, v15
	v_fma_f32 v6, v12, v6, 0
	v_fmac_f32_e32 v6, v13, v7
	v_fmac_f32_e32 v6, v14, v10
	;; [unrolled: 1-line block ×3, first 2 shown]
	v_cmp_eq_u32_e32 vcc, 1, v27
	v_add_f32_e32 v10, 0x358637bd, v6
	v_cndmask_b32_e32 v12, v12, v13, vcc
	v_cmp_eq_u32_e32 vcc, 2, v27
	v_div_scale_f32 v11, s[4:5], v10, v10, 1.0
	v_cndmask_b32_e32 v7, v12, v14, vcc
	v_rcp_f32_e32 v12, v11
	v_cmp_eq_u32_e32 vcc, 3, v27
	v_cndmask_b32_e32 v7, v7, v15, vcc
	v_div_scale_f32 v13, vcc, 1.0, v10, 1.0
	v_fma_f32 v14, -v11, v12, 1.0
	v_fmac_f32_e32 v12, v14, v12
	v_mul_f32_e32 v14, v13, v12
	v_fma_f32 v15, -v11, v14, v13
	v_fmac_f32_e32 v14, v15, v12
	v_fma_f32 v11, -v11, v14, v13
	v_div_fmas_f32 v11, v11, v12, v14
	v_div_fixup_f32 v10, v11, v10, 1.0
	v_mul_f32_e32 v10, v7, v10
	s_lshl_b32 s18, s49, 1
	v_cmp_gt_u32_e32 vcc, 2, v0
	s_waitcnt vmcnt(14)
	v_pk_mul_f32 v[14:15], v[10:11], v[20:21] op_sel_hi:[0,1]
	v_cvt_f16_f32_e32 v7, v14
	s_waitcnt vmcnt(12)
	v_pk_mul_f32 v[12:13], v[10:11], v[22:23] op_sel_hi:[0,1]
	buffer_store_dword v14, off, s[0:3], 0 offset:256
	buffer_store_dword v15, off, s[0:3], 0 offset:260
	buffer_store_dword v12, off, s[0:3], 0 offset:264
	s_waitcnt vmcnt(13)
	v_pk_mul_f32 v[20:21], v[10:11], v[24:25] op_sel_hi:[0,1]
	v_cvt_f16_f32_e32 v14, v12
	s_waitcnt vmcnt(11)
	v_pk_mul_f32 v[22:23], v[10:11], v[28:29] op_sel_hi:[0,1]
	v_cvt_f16_f32_e32 v11, v15
	v_cvt_f16_f32_e32 v15, v13
	buffer_store_dword v13, off, s[0:3], 0 offset:268
	buffer_store_dword v22, off, s[0:3], 0 offset:272
	;; [unrolled: 1-line block ×3, first 2 shown]
	v_pack_b32_f16 v12, v7, v11
	v_cvt_f16_f32_e32 v11, v23
	v_pack_b32_f16 v13, v14, v15
	v_cvt_f16_f32_e32 v7, v22
	v_cvt_f16_f32_e32 v15, v20
	;; [unrolled: 1-line block ×3, first 2 shown]
	s_waitcnt vmcnt(12)
	v_pk_mul_f32 v[4:5], v[10:11], v[4:5] op_sel_hi:[0,1]
	v_pack_b32_f16 v14, v7, v11
	s_waitcnt vmcnt(10)
	v_pk_mul_f32 v[2:3], v[10:11], v[2:3] op_sel_hi:[0,1]
	v_pack_b32_f16 v15, v15, v22
	v_cvt_f16_f32_e32 v11, v5
	buffer_store_dword v20, off, s[0:3], 0 offset:280
	buffer_store_dword v21, off, s[0:3], 0 offset:284
	ds_write2st64_b64 v53, v[12:13], v[14:15] offset1:1
	buffer_store_dword v2, off, s[0:3], 0 offset:288
	buffer_store_dword v3, off, s[0:3], 0 offset:292
	v_cvt_f16_f32_e32 v2, v2
	v_cvt_f16_f32_e32 v3, v3
	v_cvt_f16_f32_e32 v7, v4
	buffer_store_dword v4, off, s[0:3], 0 offset:296
	buffer_store_dword v5, off, s[0:3], 0 offset:300
	s_waitcnt vmcnt(12)
	v_pk_mul_f32 v[4:5], v[10:11], v[16:17] op_sel_hi:[0,1]
	v_pk_mul_f32 v[8:9], v[10:11], v[8:9] op_sel_hi:[0,1]
	v_pack_b32_f16 v2, v2, v3
	v_pack_b32_f16 v3, v7, v11
	buffer_store_dword v8, off, s[0:3], 0 offset:304
	buffer_store_dword v9, off, s[0:3], 0 offset:308
	v_cvt_f16_f32_e32 v7, v8
	v_cvt_f16_f32_e32 v8, v9
	;; [unrolled: 1-line block ×4, first 2 shown]
	buffer_store_dword v4, off, s[0:3], 0 offset:312
	buffer_store_dword v5, off, s[0:3], 0 offset:316
	v_pack_b32_f16 v4, v7, v8
	v_pack_b32_f16 v5, v9, v10
	ds_write2st64_b64 v53, v[2:3], v[4:5] offset0:2 offset1:3
	s_and_saveexec_b64 s[4:5], vcc
	s_cbranch_execz .LBB623_211
; %bb.210:
	v_or_b32_e32 v2, s27, v0
	v_mov_b32_e32 v3, 0
	v_mov_b32_e32 v4, s18
	v_mad_u64_u32 v[4:5], s[6:7], s8, v4, v[2:3]
	v_mov_b32_e32 v2, s26
	s_mul_i32 s9, s9, s18
	v_mad_u64_u32 v[2:3], s[6:7], v4, s48, v[2:3]
	v_add_u32_e32 v5, s9, v5
	v_mov_b32_e32 v4, v3
	v_mad_u64_u32 v[4:5], s[6:7], v5, s48, v[4:5]
	v_mov_b32_e32 v3, v4
	v_lshlrev_b64 v[2:3], 2, v[2:3]
	v_mov_b32_e32 v5, s47
	v_add_co_u32_e32 v4, vcc, s46, v2
	v_addc_co_u32_e32 v5, vcc, v5, v3, vcc
	global_store_dword v[4:5], v19, off
	v_mov_b32_e32 v4, s45
	v_add_co_u32_e32 v2, vcc, s44, v2
	v_addc_co_u32_e32 v3, vcc, v4, v3, vcc
	global_store_dword v[2:3], v6, off
.LBB623_211:
	s_or_b64 exec, exec, s[4:5]
	v_lshl_or_b32 v30, v39, 9, v18
	s_waitcnt lgkmcnt(0)
	s_barrier
	s_load_dword s4, s[42:43], 0x0
	ds_read_b128 v[2:5], v30
	ds_read_b128 v[6:9], v30 offset:16
	ds_read_b128 v[10:13], v30 offset:2048
	;; [unrolled: 1-line block ×7, first 2 shown]
	v_mov_b32_e32 v35, 0x80
	v_mov_b32_e32 v54, 0x140
	s_mov_b64 s[10:11], -1
	s_waitcnt lgkmcnt(0)
	s_mov_b32 s5, s4
	s_mov_b32 s6, s4
	;; [unrolled: 1-line block ×3, first 2 shown]
	s_movk_i32 s9, 0x80
	s_movk_i32 s19, 0x7f
	s_mov_b32 s20, 0xffffff
	v_mov_b32_e32 v55, 0
	v_bfrev_b32_e32 v56, 60
	s_branch .LBB623_215
.LBB623_212:                            ;   in Loop: Header=BB623_215 Depth=1
	s_or_b64 exec, exec, s[16:17]
.LBB623_213:                            ;   in Loop: Header=BB623_215 Depth=1
	s_or_b64 exec, exec, s[14:15]
.LBB623_214:                            ;   in Loop: Header=BB623_215 Depth=1
	s_or_b64 exec, exec, s[12:13]
	v_cvt_pkrtz_f16_f32 v60, v46, v51
	v_cvt_pkrtz_f16_f32 v61, v44, v57
	s_xor_b64 s[12:13], s[10:11], -1
	s_mov_b64 s[10:11], 0
	v_mov_b32_e32 v46, v48
	v_mfma_f32_16x16x16f16 v[60:63], v[60:61], v[30:31], v[34:37]
	v_mov_b32_e32 v51, v50
	s_and_b64 vcc, exec, s[12:13]
	s_nop 4
	v_cvt_pkrtz_f16_f32 v36, v52, v58
	v_cvt_pkrtz_f16_f32 v37, v42, v59
	v_mov_b32_e32 v35, v47
	v_mov_b32_e32 v52, v49
	v_mfma_f32_16x16x16f16 v[58:61], v[36:37], v[32:33], v[60:63]
	s_nop 7
	s_nop 2
	v_pk_mul_f32 v[58:59], v[58:59], s[4:5]
	v_pk_mul_f32 v[36:37], v[60:61], s[6:7]
	v_cvt_f16_f32_e32 v34, v58
	v_cvt_f16_f32_e32 v38, v59
	;; [unrolled: 1-line block ×4, first 2 shown]
	v_pack_b32_f16 v34, v34, v38
	v_pack_b32_f16 v36, v36, v37
	buffer_store_dword v34, v54, s[0:3], 0 offen
	buffer_store_dword v36, v54, s[0:3], 0 offen offset:4
	v_mov_b32_e32 v54, 0x148
	s_cbranch_vccnz .LBB623_597
.LBB623_215:                            ; =>This Inner Loop Header: Depth=1
	buffer_load_dword v36, v35, s[0:3], 0 offen
	buffer_load_dword v34, v35, s[0:3], 0 offen offset:4
	buffer_load_dword v40, v35, s[0:3], 0 offen offset:8
	;; [unrolled: 1-line block ×3, first 2 shown]
	v_mov_b32_e32 v35, 0
	s_waitcnt vmcnt(3)
	v_cmp_ne_u16_sdwa s[14:15], v36, v55 src0_sel:BYTE_0 src1_sel:DWORD
	s_and_saveexec_b64 s[12:13], s[14:15]
	s_cbranch_execz .LBB623_221
; %bb.216:                              ;   in Loop: Header=BB623_215 Depth=1
	v_cmp_ne_u16_sdwa s[16:17], v36, s9 src0_sel:BYTE_0 src1_sel:DWORD
	v_bfrev_b32_e32 v35, 1
	s_and_saveexec_b64 s[14:15], s[16:17]
	s_cbranch_execz .LBB623_220
; %bb.217:                              ;   in Loop: Header=BB623_215 Depth=1
	v_and_b32_e32 v37, 0x7f, v36
	v_cmp_ne_u32_e32 vcc, s19, v37
	v_mov_b32_e32 v35, 0x7f800001
	s_and_saveexec_b64 s[16:17], vcc
	s_cbranch_execz .LBB623_219
; %bb.218:                              ;   in Loop: Header=BB623_215 Depth=1
	v_and_b32_e32 v35, 7, v36
	v_ffbh_u32_e32 v44, v35
	v_min_u32_e32 v44, 32, v44
	v_subrev_u32_e32 v57, 28, v44
	v_lshlrev_b64 v[58:59], v57, v[36:37]
	v_lshrrev_b32_e32 v42, 3, v37
	v_sub_u32_e32 v44, 29, v44
	v_and_b32_e32 v57, 7, v58
	v_cmp_gt_u32_e32 vcc, 8, v37
	v_cndmask_b32_e32 v37, v42, v44, vcc
	v_cndmask_b32_e32 v35, v35, v57, vcc
	v_lshlrev_b32_e32 v42, 24, v36
	v_lshlrev_b32_e32 v35, 20, v35
	v_and_b32_e32 v42, 0x80000000, v42
	v_lshl_add_u32 v37, v37, 23, v56
	v_or3_b32 v35, v42, v37, v35
.LBB623_219:                            ;   in Loop: Header=BB623_215 Depth=1
	s_or_b64 exec, exec, s[16:17]
.LBB623_220:                            ;   in Loop: Header=BB623_215 Depth=1
	s_or_b64 exec, exec, s[14:15]
.LBB623_221:                            ;   in Loop: Header=BB623_215 Depth=1
	s_or_b64 exec, exec, s[12:13]
	v_lshrrev_b16_e32 v42, 8, v36
	v_cmp_ne_u16_e32 vcc, 0, v42
	v_mov_b32_e32 v37, 0
	s_and_saveexec_b64 s[12:13], vcc
	s_cbranch_execz .LBB623_227
; %bb.222:                              ;   in Loop: Header=BB623_215 Depth=1
	v_cmp_ne_u16_e32 vcc, s9, v42
	v_bfrev_b32_e32 v37, 1
	s_and_saveexec_b64 s[14:15], vcc
	s_cbranch_execz .LBB623_226
; %bb.223:                              ;   in Loop: Header=BB623_215 Depth=1
	v_and_b32_e32 v44, 0x7f, v42
	v_cmp_ne_u32_e32 vcc, s19, v44
	v_mov_b32_e32 v37, 0x7f800001
	s_and_saveexec_b64 s[16:17], vcc
	s_cbranch_execz .LBB623_225
; %bb.224:                              ;   in Loop: Header=BB623_215 Depth=1
	v_and_b32_e32 v37, 7, v42
	v_ffbh_u32_e32 v58, v37
	v_min_u32_e32 v60, 32, v58
	v_subrev_u32_e32 v58, 28, v60
	v_lshlrev_b64 v[58:59], v58, v[42:43]
	v_lshrrev_b32_e32 v57, 3, v44
	v_sub_u32_e32 v42, 29, v60
	v_and_b32_e32 v58, 7, v58
	v_cmp_gt_u32_e32 vcc, 8, v44
	v_cndmask_b32_e32 v42, v57, v42, vcc
	v_cndmask_b32_e32 v37, v37, v58, vcc
	v_lshlrev_b32_e32 v44, 16, v36
	v_lshlrev_b32_e32 v37, 20, v37
	v_and_b32_e32 v44, 0x80000000, v44
	v_lshl_add_u32 v42, v42, 23, v56
	v_or3_b32 v37, v44, v42, v37
.LBB623_225:                            ;   in Loop: Header=BB623_215 Depth=1
	s_or_b64 exec, exec, s[16:17]
.LBB623_226:                            ;   in Loop: Header=BB623_215 Depth=1
	s_or_b64 exec, exec, s[14:15]
.LBB623_227:                            ;   in Loop: Header=BB623_215 Depth=1
	s_or_b64 exec, exec, s[12:13]
	v_lshrrev_b32_e32 v42, 16, v36
	v_cmp_ne_u16_sdwa s[14:15], v42, v55 src0_sel:BYTE_0 src1_sel:DWORD
	v_mov_b32_e32 v57, 0
	v_mov_b32_e32 v44, 0
	s_and_saveexec_b64 s[12:13], s[14:15]
	s_cbranch_execz .LBB623_233
; %bb.228:                              ;   in Loop: Header=BB623_215 Depth=1
	v_cmp_ne_u16_sdwa s[16:17], v42, s9 src0_sel:BYTE_0 src1_sel:DWORD
	v_bfrev_b32_e32 v44, 1
	s_and_saveexec_b64 s[14:15], s[16:17]
	s_cbranch_execz .LBB623_232
; %bb.229:                              ;   in Loop: Header=BB623_215 Depth=1
	v_bfe_u32 v58, v36, 16, 7
	v_cmp_ne_u32_e32 vcc, s19, v58
	v_mov_b32_e32 v44, 0x7f800001
	s_and_saveexec_b64 s[16:17], vcc
	s_cbranch_execz .LBB623_231
; %bb.230:                              ;   in Loop: Header=BB623_215 Depth=1
	v_and_b32_e32 v44, 7, v42
	v_ffbh_u32_e32 v60, v44
	v_min_u32_e32 v62, 32, v60
	v_subrev_u32_e32 v60, 28, v62
	v_lshlrev_b64 v[60:61], v60, v[42:43]
	v_lshrrev_b32_e32 v59, 3, v58
	v_sub_u32_e32 v61, 29, v62
	v_and_b32_e32 v60, 7, v60
	v_cmp_gt_u32_e32 vcc, 8, v58
	v_cndmask_b32_e32 v58, v59, v61, vcc
	v_cndmask_b32_e32 v44, v44, v60, vcc
	v_lshlrev_b32_e32 v42, 24, v42
	v_lshlrev_b32_e32 v44, 20, v44
	v_and_b32_e32 v42, 0x80000000, v42
	v_lshl_add_u32 v58, v58, 23, v56
	v_or3_b32 v44, v42, v58, v44
.LBB623_231:                            ;   in Loop: Header=BB623_215 Depth=1
	s_or_b64 exec, exec, s[16:17]
.LBB623_232:                            ;   in Loop: Header=BB623_215 Depth=1
	s_or_b64 exec, exec, s[14:15]
.LBB623_233:                            ;   in Loop: Header=BB623_215 Depth=1
	s_or_b64 exec, exec, s[12:13]
	v_cmp_lt_u32_e32 vcc, s20, v36
	s_and_saveexec_b64 s[12:13], vcc
	s_cbranch_execz .LBB623_239
; %bb.234:                              ;   in Loop: Header=BB623_215 Depth=1
	v_lshrrev_b32_e32 v42, 24, v36
	v_cmp_ne_u32_e32 vcc, s9, v42
	v_bfrev_b32_e32 v57, 1
	s_and_saveexec_b64 s[14:15], vcc
	s_cbranch_execz .LBB623_238
; %bb.235:                              ;   in Loop: Header=BB623_215 Depth=1
	v_bfe_u32 v36, v36, 24, 7
	v_cmp_ne_u32_e32 vcc, s19, v36
	v_mov_b32_e32 v57, 0x7f800001
	s_and_saveexec_b64 s[16:17], vcc
	s_cbranch_execz .LBB623_237
; %bb.236:                              ;   in Loop: Header=BB623_215 Depth=1
	v_and_b32_e32 v57, 7, v42
	v_ffbh_u32_e32 v58, v57
	v_min_u32_e32 v61, 32, v58
	v_subrev_u32_e32 v58, 28, v61
	v_lshlrev_b64 v[58:59], v58, v[42:43]
	v_lshrrev_b32_e32 v60, 3, v36
	v_sub_u32_e32 v59, 29, v61
	v_and_b32_e32 v58, 7, v58
	v_cmp_gt_u32_e32 vcc, 8, v36
	v_cndmask_b32_e32 v36, v60, v59, vcc
	v_cndmask_b32_e32 v57, v57, v58, vcc
	v_lshlrev_b32_e32 v42, 24, v42
	v_lshlrev_b32_e32 v57, 20, v57
	v_and_b32_e32 v42, 0x80000000, v42
	v_lshl_add_u32 v36, v36, 23, v56
	v_or3_b32 v57, v42, v36, v57
.LBB623_237:                            ;   in Loop: Header=BB623_215 Depth=1
	s_or_b64 exec, exec, s[16:17]
.LBB623_238:                            ;   in Loop: Header=BB623_215 Depth=1
	s_or_b64 exec, exec, s[14:15]
.LBB623_239:                            ;   in Loop: Header=BB623_215 Depth=1
	s_or_b64 exec, exec, s[12:13]
	s_waitcnt vmcnt(2)
	v_cmp_ne_u16_sdwa s[14:15], v34, v55 src0_sel:BYTE_0 src1_sel:DWORD
	v_mov_b32_e32 v42, 0
	v_mov_b32_e32 v58, 0
	s_and_saveexec_b64 s[12:13], s[14:15]
	s_cbranch_execz .LBB623_245
; %bb.240:                              ;   in Loop: Header=BB623_215 Depth=1
	v_cmp_ne_u16_sdwa s[16:17], v34, s9 src0_sel:BYTE_0 src1_sel:DWORD
	v_bfrev_b32_e32 v58, 1
	s_and_saveexec_b64 s[14:15], s[16:17]
	s_cbranch_execz .LBB623_244
; %bb.241:                              ;   in Loop: Header=BB623_215 Depth=1
	v_and_b32_e32 v36, 0x7f, v34
	v_cmp_ne_u32_e32 vcc, s19, v36
	v_mov_b32_e32 v58, 0x7f800001
	s_and_saveexec_b64 s[16:17], vcc
	s_cbranch_execz .LBB623_243
; %bb.242:                              ;   in Loop: Header=BB623_215 Depth=1
	v_and_b32_e32 v60, 7, v34
	v_ffbh_u32_e32 v58, v60
	v_min_u32_e32 v62, 32, v58
	v_subrev_u32_e32 v58, 28, v62
	v_lshlrev_b64 v[58:59], v58, v[34:35]
	v_lshrrev_b32_e32 v61, 3, v36
	v_sub_u32_e32 v59, 29, v62
	v_and_b32_e32 v58, 7, v58
	v_cmp_gt_u32_e32 vcc, 8, v36
	v_cndmask_b32_e32 v36, v61, v59, vcc
	v_cndmask_b32_e32 v58, v60, v58, vcc
	v_lshlrev_b32_e32 v59, 24, v34
	v_lshlrev_b32_e32 v58, 20, v58
	v_and_b32_e32 v59, 0x80000000, v59
	v_lshl_add_u32 v36, v36, 23, v56
	v_or3_b32 v58, v59, v36, v58
.LBB623_243:                            ;   in Loop: Header=BB623_215 Depth=1
	s_or_b64 exec, exec, s[16:17]
.LBB623_244:                            ;   in Loop: Header=BB623_215 Depth=1
	s_or_b64 exec, exec, s[14:15]
.LBB623_245:                            ;   in Loop: Header=BB623_215 Depth=1
	s_or_b64 exec, exec, s[12:13]
	v_lshrrev_b16_e32 v36, 8, v34
	v_cmp_ne_u16_e32 vcc, 0, v36
	s_and_saveexec_b64 s[12:13], vcc
	s_cbranch_execz .LBB623_251
; %bb.246:                              ;   in Loop: Header=BB623_215 Depth=1
	v_cmp_ne_u16_e32 vcc, s9, v36
	v_bfrev_b32_e32 v42, 1
	s_and_saveexec_b64 s[14:15], vcc
	s_cbranch_execz .LBB623_250
; %bb.247:                              ;   in Loop: Header=BB623_215 Depth=1
	v_and_b32_e32 v59, 0x7f, v36
	v_cmp_ne_u32_e32 vcc, s19, v59
	v_mov_b32_e32 v42, 0x7f800001
	s_and_saveexec_b64 s[16:17], vcc
	s_cbranch_execz .LBB623_249
; %bb.248:                              ;   in Loop: Header=BB623_215 Depth=1
	v_and_b32_e32 v42, 7, v36
	v_ffbh_u32_e32 v60, v42
	v_min_u32_e32 v63, 32, v60
	v_subrev_u32_e32 v60, 28, v63
	v_lshlrev_b64 v[60:61], v60, v[36:37]
	v_lshrrev_b32_e32 v62, 3, v59
	v_sub_u32_e32 v36, 29, v63
	v_and_b32_e32 v60, 7, v60
	v_cmp_gt_u32_e32 vcc, 8, v59
	v_cndmask_b32_e32 v36, v62, v36, vcc
	v_cndmask_b32_e32 v42, v42, v60, vcc
	v_lshlrev_b32_e32 v59, 16, v34
	v_lshlrev_b32_e32 v42, 20, v42
	v_and_b32_e32 v59, 0x80000000, v59
	v_lshl_add_u32 v36, v36, 23, v56
	v_or3_b32 v42, v59, v36, v42
.LBB623_249:                            ;   in Loop: Header=BB623_215 Depth=1
	s_or_b64 exec, exec, s[16:17]
.LBB623_250:                            ;   in Loop: Header=BB623_215 Depth=1
	s_or_b64 exec, exec, s[14:15]
.LBB623_251:                            ;   in Loop: Header=BB623_215 Depth=1
	s_or_b64 exec, exec, s[12:13]
	v_lshrrev_b32_e32 v36, 16, v34
	v_cmp_ne_u16_sdwa s[14:15], v36, v55 src0_sel:BYTE_0 src1_sel:DWORD
	v_mov_b32_e32 v60, 0
	v_mov_b32_e32 v59, 0
	s_and_saveexec_b64 s[12:13], s[14:15]
	s_cbranch_execz .LBB623_257
; %bb.252:                              ;   in Loop: Header=BB623_215 Depth=1
	v_cmp_ne_u16_sdwa s[16:17], v36, s9 src0_sel:BYTE_0 src1_sel:DWORD
	v_bfrev_b32_e32 v59, 1
	s_and_saveexec_b64 s[14:15], s[16:17]
	s_cbranch_execz .LBB623_256
; %bb.253:                              ;   in Loop: Header=BB623_215 Depth=1
	v_bfe_u32 v61, v34, 16, 7
	v_cmp_ne_u32_e32 vcc, s19, v61
	v_mov_b32_e32 v59, 0x7f800001
	s_and_saveexec_b64 s[16:17], vcc
	s_cbranch_execz .LBB623_255
; %bb.254:                              ;   in Loop: Header=BB623_215 Depth=1
	v_and_b32_e32 v59, 7, v36
	v_ffbh_u32_e32 v62, v59
	v_min_u32_e32 v65, 32, v62
	v_subrev_u32_e32 v62, 28, v65
	v_lshlrev_b64 v[62:63], v62, v[36:37]
	v_lshrrev_b32_e32 v64, 3, v61
	v_sub_u32_e32 v63, 29, v65
	v_and_b32_e32 v62, 7, v62
	v_cmp_gt_u32_e32 vcc, 8, v61
	v_cndmask_b32_e32 v61, v64, v63, vcc
	v_cndmask_b32_e32 v59, v59, v62, vcc
	v_lshlrev_b32_e32 v36, 24, v36
	v_lshlrev_b32_e32 v59, 20, v59
	v_and_b32_e32 v36, 0x80000000, v36
	v_lshl_add_u32 v61, v61, 23, v56
	v_or3_b32 v59, v36, v61, v59
.LBB623_255:                            ;   in Loop: Header=BB623_215 Depth=1
	s_or_b64 exec, exec, s[16:17]
.LBB623_256:                            ;   in Loop: Header=BB623_215 Depth=1
	s_or_b64 exec, exec, s[14:15]
.LBB623_257:                            ;   in Loop: Header=BB623_215 Depth=1
	s_or_b64 exec, exec, s[12:13]
	v_cmp_lt_u32_e32 vcc, s20, v34
	s_and_saveexec_b64 s[12:13], vcc
	s_cbranch_execz .LBB623_263
; %bb.258:                              ;   in Loop: Header=BB623_215 Depth=1
	v_lshrrev_b32_e32 v36, 24, v34
	v_cmp_ne_u32_e32 vcc, s9, v36
	v_bfrev_b32_e32 v60, 1
	s_and_saveexec_b64 s[14:15], vcc
	s_cbranch_execz .LBB623_262
; %bb.259:                              ;   in Loop: Header=BB623_215 Depth=1
	v_bfe_u32 v34, v34, 24, 7
	v_cmp_ne_u32_e32 vcc, s19, v34
	v_mov_b32_e32 v60, 0x7f800001
	s_and_saveexec_b64 s[16:17], vcc
	s_cbranch_execz .LBB623_261
; %bb.260:                              ;   in Loop: Header=BB623_215 Depth=1
	v_and_b32_e32 v62, 7, v36
	v_ffbh_u32_e32 v60, v62
	v_min_u32_e32 v64, 32, v60
	v_subrev_u32_e32 v60, 28, v64
	v_lshlrev_b64 v[60:61], v60, v[36:37]
	v_lshrrev_b32_e32 v63, 3, v34
	v_sub_u32_e32 v61, 29, v64
	v_and_b32_e32 v60, 7, v60
	v_cmp_gt_u32_e32 vcc, 8, v34
	v_cndmask_b32_e32 v34, v63, v61, vcc
	v_cndmask_b32_e32 v60, v62, v60, vcc
	v_lshlrev_b32_e32 v36, 24, v36
	v_lshlrev_b32_e32 v60, 20, v60
	v_and_b32_e32 v36, 0x80000000, v36
	v_lshl_add_u32 v34, v34, 23, v56
	v_or3_b32 v60, v36, v34, v60
.LBB623_261:                            ;   in Loop: Header=BB623_215 Depth=1
	s_or_b64 exec, exec, s[16:17]
.LBB623_262:                            ;   in Loop: Header=BB623_215 Depth=1
	s_or_b64 exec, exec, s[14:15]
.LBB623_263:                            ;   in Loop: Header=BB623_215 Depth=1
	s_or_b64 exec, exec, s[12:13]
	v_cvt_pkrtz_f16_f32 v34, v35, v37
	v_cvt_pkrtz_f16_f32 v35, v44, v57
	;; [unrolled: 1-line block ×4, first 2 shown]
	v_mov_b32_e32 v44, 0
	v_mfma_f32_16x16x16f16 v[34:37], v[34:35], v[2:3], 0
	s_waitcnt vmcnt(1)
	v_cmp_ne_u16_sdwa s[14:15], v40, v55 src0_sel:BYTE_0 src1_sel:DWORD
	v_mov_b32_e32 v58, 0
	v_mfma_f32_16x16x16f16 v[34:37], v[62:63], v[4:5], v[34:37]
	s_and_saveexec_b64 s[12:13], s[14:15]
	s_cbranch_execz .LBB623_269
; %bb.264:                              ;   in Loop: Header=BB623_215 Depth=1
	v_cmp_ne_u16_sdwa s[16:17], v40, s9 src0_sel:BYTE_0 src1_sel:DWORD
	v_bfrev_b32_e32 v58, 1
	s_and_saveexec_b64 s[14:15], s[16:17]
	s_cbranch_execz .LBB623_268
; %bb.265:                              ;   in Loop: Header=BB623_215 Depth=1
	v_and_b32_e32 v42, 0x7f, v40
	v_cmp_ne_u32_e32 vcc, s19, v42
	v_mov_b32_e32 v58, 0x7f800001
	s_and_saveexec_b64 s[16:17], vcc
	s_cbranch_execz .LBB623_267
; %bb.266:                              ;   in Loop: Header=BB623_215 Depth=1
	v_and_b32_e32 v57, 7, v40
	v_ffbh_u32_e32 v58, v57
	v_min_u32_e32 v61, 32, v58
	v_subrev_u32_e32 v58, 28, v61
	v_lshlrev_b64 v[58:59], v58, v[40:41]
	v_lshrrev_b32_e32 v60, 3, v42
	v_sub_u32_e32 v59, 29, v61
	v_and_b32_e32 v58, 7, v58
	v_cmp_gt_u32_e32 vcc, 8, v42
	v_cndmask_b32_e32 v42, v60, v59, vcc
	v_cndmask_b32_e32 v57, v57, v58, vcc
	v_lshlrev_b32_e32 v58, 24, v40
	v_lshlrev_b32_e32 v57, 20, v57
	v_and_b32_e32 v58, 0x80000000, v58
	v_lshl_add_u32 v42, v42, 23, v56
	v_or3_b32 v58, v58, v42, v57
.LBB623_267:                            ;   in Loop: Header=BB623_215 Depth=1
	s_or_b64 exec, exec, s[16:17]
.LBB623_268:                            ;   in Loop: Header=BB623_215 Depth=1
	s_or_b64 exec, exec, s[14:15]
.LBB623_269:                            ;   in Loop: Header=BB623_215 Depth=1
	s_or_b64 exec, exec, s[12:13]
	v_lshrrev_b16_e32 v42, 8, v40
	v_cmp_ne_u16_e32 vcc, 0, v42
	v_mov_b32_e32 v59, 0
	s_and_saveexec_b64 s[12:13], vcc
	s_cbranch_execz .LBB623_275
; %bb.270:                              ;   in Loop: Header=BB623_215 Depth=1
	v_cmp_ne_u16_e32 vcc, s9, v42
	v_bfrev_b32_e32 v59, 1
	s_and_saveexec_b64 s[14:15], vcc
	s_cbranch_execz .LBB623_274
; %bb.271:                              ;   in Loop: Header=BB623_215 Depth=1
	v_and_b32_e32 v57, 0x7f, v42
	v_cmp_ne_u32_e32 vcc, s19, v57
	v_mov_b32_e32 v59, 0x7f800001
	s_and_saveexec_b64 s[16:17], vcc
	s_cbranch_execz .LBB623_273
; %bb.272:                              ;   in Loop: Header=BB623_215 Depth=1
	v_and_b32_e32 v59, 7, v42
	v_ffbh_u32_e32 v60, v59
	v_min_u32_e32 v63, 32, v60
	v_subrev_u32_e32 v60, 28, v63
	v_lshlrev_b64 v[60:61], v60, v[42:43]
	v_lshrrev_b32_e32 v62, 3, v57
	v_sub_u32_e32 v42, 29, v63
	v_and_b32_e32 v60, 7, v60
	v_cmp_gt_u32_e32 vcc, 8, v57
	v_cndmask_b32_e32 v42, v62, v42, vcc
	v_cndmask_b32_e32 v57, v59, v60, vcc
	v_lshlrev_b32_e32 v59, 16, v40
	v_lshlrev_b32_e32 v57, 20, v57
	v_and_b32_e32 v59, 0x80000000, v59
	v_lshl_add_u32 v42, v42, 23, v56
	v_or3_b32 v59, v59, v42, v57
.LBB623_273:                            ;   in Loop: Header=BB623_215 Depth=1
	s_or_b64 exec, exec, s[16:17]
.LBB623_274:                            ;   in Loop: Header=BB623_215 Depth=1
	s_or_b64 exec, exec, s[14:15]
.LBB623_275:                            ;   in Loop: Header=BB623_215 Depth=1
	s_or_b64 exec, exec, s[12:13]
	v_lshrrev_b32_e32 v42, 16, v40
	v_cmp_ne_u16_sdwa s[14:15], v42, v55 src0_sel:BYTE_0 src1_sel:DWORD
	s_and_saveexec_b64 s[12:13], s[14:15]
	s_cbranch_execz .LBB623_281
; %bb.276:                              ;   in Loop: Header=BB623_215 Depth=1
	v_cmp_ne_u16_sdwa s[16:17], v42, s9 src0_sel:BYTE_0 src1_sel:DWORD
	v_bfrev_b32_e32 v44, 1
	s_and_saveexec_b64 s[14:15], s[16:17]
	s_cbranch_execz .LBB623_280
; %bb.277:                              ;   in Loop: Header=BB623_215 Depth=1
	v_bfe_u32 v57, v40, 16, 7
	v_cmp_ne_u32_e32 vcc, s19, v57
	v_mov_b32_e32 v44, 0x7f800001
	s_and_saveexec_b64 s[16:17], vcc
	s_cbranch_execz .LBB623_279
; %bb.278:                              ;   in Loop: Header=BB623_215 Depth=1
	v_and_b32_e32 v44, 7, v42
	v_ffbh_u32_e32 v60, v44
	v_min_u32_e32 v63, 32, v60
	v_subrev_u32_e32 v60, 28, v63
	v_lshlrev_b64 v[60:61], v60, v[42:43]
	v_lshrrev_b32_e32 v62, 3, v57
	v_sub_u32_e32 v61, 29, v63
	v_and_b32_e32 v60, 7, v60
	v_cmp_gt_u32_e32 vcc, 8, v57
	v_cndmask_b32_e32 v57, v62, v61, vcc
	v_cndmask_b32_e32 v44, v44, v60, vcc
	v_lshlrev_b32_e32 v42, 24, v42
	v_lshlrev_b32_e32 v44, 20, v44
	v_and_b32_e32 v42, 0x80000000, v42
	v_lshl_add_u32 v57, v57, 23, v56
	v_or3_b32 v44, v42, v57, v44
.LBB623_279:                            ;   in Loop: Header=BB623_215 Depth=1
	s_or_b64 exec, exec, s[16:17]
.LBB623_280:                            ;   in Loop: Header=BB623_215 Depth=1
	s_or_b64 exec, exec, s[14:15]
.LBB623_281:                            ;   in Loop: Header=BB623_215 Depth=1
	s_or_b64 exec, exec, s[12:13]
	v_cmp_lt_u32_e32 vcc, s20, v40
	v_mov_b32_e32 v60, 0
	v_mov_b32_e32 v61, 0
	s_and_saveexec_b64 s[12:13], vcc
	s_cbranch_execz .LBB623_287
; %bb.282:                              ;   in Loop: Header=BB623_215 Depth=1
	v_lshrrev_b32_e32 v42, 24, v40
	v_cmp_ne_u32_e32 vcc, s9, v42
	v_bfrev_b32_e32 v61, 1
	s_and_saveexec_b64 s[14:15], vcc
	s_cbranch_execz .LBB623_286
; %bb.283:                              ;   in Loop: Header=BB623_215 Depth=1
	v_bfe_u32 v40, v40, 24, 7
	v_cmp_ne_u32_e32 vcc, s19, v40
	v_mov_b32_e32 v61, 0x7f800001
	s_and_saveexec_b64 s[16:17], vcc
	s_cbranch_execz .LBB623_285
; %bb.284:                              ;   in Loop: Header=BB623_215 Depth=1
	v_and_b32_e32 v57, 7, v42
	v_ffbh_u32_e32 v62, v57
	v_min_u32_e32 v64, 32, v62
	v_subrev_u32_e32 v62, 28, v64
	v_lshlrev_b64 v[62:63], v62, v[42:43]
	v_lshrrev_b32_e32 v61, 3, v40
	v_sub_u32_e32 v63, 29, v64
	v_and_b32_e32 v62, 7, v62
	v_cmp_gt_u32_e32 vcc, 8, v40
	v_cndmask_b32_e32 v40, v61, v63, vcc
	v_cndmask_b32_e32 v57, v57, v62, vcc
	v_lshlrev_b32_e32 v42, 24, v42
	v_lshlrev_b32_e32 v57, 20, v57
	v_and_b32_e32 v42, 0x80000000, v42
	v_lshl_add_u32 v40, v40, 23, v56
	v_or3_b32 v61, v42, v40, v57
.LBB623_285:                            ;   in Loop: Header=BB623_215 Depth=1
	s_or_b64 exec, exec, s[16:17]
.LBB623_286:                            ;   in Loop: Header=BB623_215 Depth=1
	s_or_b64 exec, exec, s[14:15]
.LBB623_287:                            ;   in Loop: Header=BB623_215 Depth=1
	s_or_b64 exec, exec, s[12:13]
	s_waitcnt vmcnt(0)
	v_cmp_ne_u16_sdwa s[14:15], v38, v55 src0_sel:BYTE_0 src1_sel:DWORD
	s_and_saveexec_b64 s[12:13], s[14:15]
	s_cbranch_execz .LBB623_293
; %bb.288:                              ;   in Loop: Header=BB623_215 Depth=1
	v_cmp_ne_u16_sdwa s[16:17], v38, s9 src0_sel:BYTE_0 src1_sel:DWORD
	v_bfrev_b32_e32 v60, 1
	s_and_saveexec_b64 s[14:15], s[16:17]
	s_cbranch_execz .LBB623_292
; %bb.289:                              ;   in Loop: Header=BB623_215 Depth=1
	v_and_b32_e32 v40, 0x7f, v38
	v_cmp_ne_u32_e32 vcc, s19, v40
	v_mov_b32_e32 v60, 0x7f800001
	s_and_saveexec_b64 s[16:17], vcc
	s_cbranch_execz .LBB623_291
; %bb.290:                              ;   in Loop: Header=BB623_215 Depth=1
	v_and_b32_e32 v42, 7, v38
	v_ffbh_u32_e32 v60, v42
	v_min_u32_e32 v60, 32, v60
	v_subrev_u32_e32 v62, 28, v60
	v_lshlrev_b64 v[62:63], v62, v[38:39]
	v_lshrrev_b32_e32 v57, 3, v40
	v_sub_u32_e32 v60, 29, v60
	v_and_b32_e32 v62, 7, v62
	v_cmp_gt_u32_e32 vcc, 8, v40
	v_cndmask_b32_e32 v40, v57, v60, vcc
	v_cndmask_b32_e32 v42, v42, v62, vcc
	v_lshlrev_b32_e32 v57, 24, v38
	v_lshlrev_b32_e32 v42, 20, v42
	v_and_b32_e32 v57, 0x80000000, v57
	v_lshl_add_u32 v40, v40, 23, v56
	v_or3_b32 v60, v57, v40, v42
.LBB623_291:                            ;   in Loop: Header=BB623_215 Depth=1
	s_or_b64 exec, exec, s[16:17]
.LBB623_292:                            ;   in Loop: Header=BB623_215 Depth=1
	s_or_b64 exec, exec, s[14:15]
.LBB623_293:                            ;   in Loop: Header=BB623_215 Depth=1
	s_or_b64 exec, exec, s[12:13]
	v_lshrrev_b16_e32 v40, 8, v38
	v_cmp_ne_u16_e32 vcc, 0, v40
	v_mov_b32_e32 v62, 0
	v_mov_b32_e32 v63, 0
	s_and_saveexec_b64 s[12:13], vcc
	s_cbranch_execz .LBB623_299
; %bb.294:                              ;   in Loop: Header=BB623_215 Depth=1
	v_cmp_ne_u16_e32 vcc, s9, v40
	v_bfrev_b32_e32 v63, 1
	s_and_saveexec_b64 s[14:15], vcc
	s_cbranch_execz .LBB623_298
; %bb.295:                              ;   in Loop: Header=BB623_215 Depth=1
	v_and_b32_e32 v42, 0x7f, v40
	v_cmp_ne_u32_e32 vcc, s19, v42
	v_mov_b32_e32 v63, 0x7f800001
	s_and_saveexec_b64 s[16:17], vcc
	s_cbranch_execz .LBB623_297
; %bb.296:                              ;   in Loop: Header=BB623_215 Depth=1
	v_and_b32_e32 v57, 7, v40
	v_ffbh_u32_e32 v64, v57
	v_min_u32_e32 v66, 32, v64
	v_subrev_u32_e32 v64, 28, v66
	v_lshlrev_b64 v[64:65], v64, v[40:41]
	v_lshrrev_b32_e32 v63, 3, v42
	v_sub_u32_e32 v40, 29, v66
	v_and_b32_e32 v64, 7, v64
	v_cmp_gt_u32_e32 vcc, 8, v42
	v_cndmask_b32_e32 v40, v63, v40, vcc
	v_cndmask_b32_e32 v42, v57, v64, vcc
	v_lshlrev_b32_e32 v57, 16, v38
	v_lshlrev_b32_e32 v42, 20, v42
	v_and_b32_e32 v57, 0x80000000, v57
	v_lshl_add_u32 v40, v40, 23, v56
	v_or3_b32 v63, v57, v40, v42
.LBB623_297:                            ;   in Loop: Header=BB623_215 Depth=1
	s_or_b64 exec, exec, s[16:17]
.LBB623_298:                            ;   in Loop: Header=BB623_215 Depth=1
	s_or_b64 exec, exec, s[14:15]
.LBB623_299:                            ;   in Loop: Header=BB623_215 Depth=1
	s_or_b64 exec, exec, s[12:13]
	v_lshrrev_b32_e32 v40, 16, v38
	v_cmp_ne_u16_sdwa s[14:15], v40, v55 src0_sel:BYTE_0 src1_sel:DWORD
	s_and_saveexec_b64 s[12:13], s[14:15]
	s_cbranch_execz .LBB623_305
; %bb.300:                              ;   in Loop: Header=BB623_215 Depth=1
	v_cmp_ne_u16_sdwa s[16:17], v40, s9 src0_sel:BYTE_0 src1_sel:DWORD
	v_bfrev_b32_e32 v62, 1
	s_and_saveexec_b64 s[14:15], s[16:17]
	s_cbranch_execz .LBB623_304
; %bb.301:                              ;   in Loop: Header=BB623_215 Depth=1
	v_bfe_u32 v42, v38, 16, 7
	v_cmp_ne_u32_e32 vcc, s19, v42
	v_mov_b32_e32 v62, 0x7f800001
	s_and_saveexec_b64 s[16:17], vcc
	s_cbranch_execz .LBB623_303
; %bb.302:                              ;   in Loop: Header=BB623_215 Depth=1
	v_and_b32_e32 v57, 7, v40
	v_ffbh_u32_e32 v64, v57
	v_min_u32_e32 v66, 32, v64
	v_subrev_u32_e32 v64, 28, v66
	v_lshlrev_b64 v[64:65], v64, v[40:41]
	v_lshrrev_b32_e32 v62, 3, v42
	v_sub_u32_e32 v65, 29, v66
	v_and_b32_e32 v64, 7, v64
	v_cmp_gt_u32_e32 vcc, 8, v42
	v_cndmask_b32_e32 v42, v62, v65, vcc
	v_cndmask_b32_e32 v57, v57, v64, vcc
	v_lshlrev_b32_e32 v40, 24, v40
	v_lshlrev_b32_e32 v57, 20, v57
	v_and_b32_e32 v40, 0x80000000, v40
	v_lshl_add_u32 v42, v42, 23, v56
	v_or3_b32 v62, v40, v42, v57
.LBB623_303:                            ;   in Loop: Header=BB623_215 Depth=1
	s_or_b64 exec, exec, s[16:17]
.LBB623_304:                            ;   in Loop: Header=BB623_215 Depth=1
	s_or_b64 exec, exec, s[14:15]
.LBB623_305:                            ;   in Loop: Header=BB623_215 Depth=1
	s_or_b64 exec, exec, s[12:13]
	v_cmp_lt_u32_e32 vcc, s20, v38
	v_mov_b32_e32 v57, 0
	v_mov_b32_e32 v64, 0
	s_and_saveexec_b64 s[12:13], vcc
	s_cbranch_execz .LBB623_311
; %bb.306:                              ;   in Loop: Header=BB623_215 Depth=1
	v_lshrrev_b32_e32 v40, 24, v38
	v_cmp_ne_u32_e32 vcc, s9, v40
	v_bfrev_b32_e32 v64, 1
	s_and_saveexec_b64 s[14:15], vcc
	s_cbranch_execz .LBB623_310
; %bb.307:                              ;   in Loop: Header=BB623_215 Depth=1
	v_bfe_u32 v38, v38, 24, 7
	v_cmp_ne_u32_e32 vcc, s19, v38
	v_mov_b32_e32 v64, 0x7f800001
	s_and_saveexec_b64 s[16:17], vcc
	s_cbranch_execz .LBB623_309
; %bb.308:                              ;   in Loop: Header=BB623_215 Depth=1
	v_and_b32_e32 v42, 7, v40
	v_ffbh_u32_e32 v64, v42
	v_min_u32_e32 v67, 32, v64
	v_subrev_u32_e32 v64, 28, v67
	v_lshlrev_b64 v[64:65], v64, v[40:41]
	v_lshrrev_b32_e32 v66, 3, v38
	v_sub_u32_e32 v65, 29, v67
	v_and_b32_e32 v64, 7, v64
	v_cmp_gt_u32_e32 vcc, 8, v38
	v_cndmask_b32_e32 v38, v66, v65, vcc
	v_cndmask_b32_e32 v42, v42, v64, vcc
	v_lshlrev_b32_e32 v40, 24, v40
	v_lshlrev_b32_e32 v42, 20, v42
	v_and_b32_e32 v40, 0x80000000, v40
	v_lshl_add_u32 v38, v38, 23, v56
	v_or3_b32 v64, v40, v38, v42
.LBB623_309:                            ;   in Loop: Header=BB623_215 Depth=1
	s_or_b64 exec, exec, s[16:17]
.LBB623_310:                            ;   in Loop: Header=BB623_215 Depth=1
	s_or_b64 exec, exec, s[14:15]
.LBB623_311:                            ;   in Loop: Header=BB623_215 Depth=1
	s_or_b64 exec, exec, s[12:13]
	v_cvt_pkrtz_f16_f32 v58, v58, v59
	v_cvt_pkrtz_f16_f32 v59, v44, v61
	buffer_load_dword v44, v46, s[0:3], 0 offen
	buffer_load_dword v42, v46, s[0:3], 0 offen offset:4
	buffer_load_dword v40, v46, s[0:3], 0 offen offset:8
	;; [unrolled: 1-line block ×3, first 2 shown]
	v_mfma_f32_16x16x16f16 v[34:37], v[58:59], v[6:7], v[34:37]
	v_cvt_pkrtz_f16_f32 v58, v60, v63
	v_cvt_pkrtz_f16_f32 v59, v62, v64
	s_waitcnt vmcnt(3)
	v_cmp_ne_u16_sdwa s[14:15], v44, v55 src0_sel:BYTE_0 src1_sel:DWORD
	v_mfma_f32_16x16x16f16 v[34:37], v[58:59], v[8:9], v[34:37]
	s_and_saveexec_b64 s[12:13], s[14:15]
	s_cbranch_execz .LBB623_317
; %bb.312:                              ;   in Loop: Header=BB623_215 Depth=1
	v_cmp_ne_u16_sdwa s[16:17], v44, s9 src0_sel:BYTE_0 src1_sel:DWORD
	v_bfrev_b32_e32 v57, 1
	s_and_saveexec_b64 s[14:15], s[16:17]
	s_cbranch_execz .LBB623_316
; %bb.313:                              ;   in Loop: Header=BB623_215 Depth=1
	v_and_b32_e32 v46, 0x7f, v44
	v_cmp_ne_u32_e32 vcc, s19, v46
	v_mov_b32_e32 v57, 0x7f800001
	s_and_saveexec_b64 s[16:17], vcc
	s_cbranch_execz .LBB623_315
; %bb.314:                              ;   in Loop: Header=BB623_215 Depth=1
	v_and_b32_e32 v57, 7, v44
	v_ffbh_u32_e32 v58, v57
	v_min_u32_e32 v61, 32, v58
	v_subrev_u32_e32 v58, 28, v61
	v_lshlrev_b64 v[58:59], v58, v[44:45]
	v_lshrrev_b32_e32 v60, 3, v46
	v_sub_u32_e32 v59, 29, v61
	v_and_b32_e32 v58, 7, v58
	v_cmp_gt_u32_e32 vcc, 8, v46
	v_cndmask_b32_e32 v46, v60, v59, vcc
	v_cndmask_b32_e32 v57, v57, v58, vcc
	v_lshlrev_b32_e32 v58, 24, v44
	v_lshlrev_b32_e32 v57, 20, v57
	v_and_b32_e32 v58, 0x80000000, v58
	v_lshl_add_u32 v46, v46, 23, v56
	v_or3_b32 v57, v58, v46, v57
.LBB623_315:                            ;   in Loop: Header=BB623_215 Depth=1
	s_or_b64 exec, exec, s[16:17]
.LBB623_316:                            ;   in Loop: Header=BB623_215 Depth=1
	s_or_b64 exec, exec, s[14:15]
.LBB623_317:                            ;   in Loop: Header=BB623_215 Depth=1
	s_or_b64 exec, exec, s[12:13]
	v_lshrrev_b16_e32 v46, 8, v44
	v_cmp_ne_u16_e32 vcc, 0, v46
	v_mov_b32_e32 v58, 0
	v_mov_b32_e32 v59, 0
	s_and_saveexec_b64 s[12:13], vcc
	s_cbranch_execz .LBB623_323
; %bb.318:                              ;   in Loop: Header=BB623_215 Depth=1
	v_cmp_ne_u16_e32 vcc, s9, v46
	v_bfrev_b32_e32 v59, 1
	s_and_saveexec_b64 s[14:15], vcc
	s_cbranch_execz .LBB623_322
; %bb.319:                              ;   in Loop: Header=BB623_215 Depth=1
	v_and_b32_e32 v60, 0x7f, v46
	v_cmp_ne_u32_e32 vcc, s19, v60
	v_mov_b32_e32 v59, 0x7f800001
	s_and_saveexec_b64 s[16:17], vcc
	s_cbranch_execz .LBB623_321
; %bb.320:                              ;   in Loop: Header=BB623_215 Depth=1
	v_and_b32_e32 v59, 7, v46
	v_ffbh_u32_e32 v62, v59
	v_min_u32_e32 v64, 32, v62
	v_subrev_u32_e32 v62, 28, v64
	v_lshlrev_b64 v[62:63], v62, v[46:47]
	v_lshrrev_b32_e32 v61, 3, v60
	v_sub_u32_e32 v46, 29, v64
	v_and_b32_e32 v62, 7, v62
	v_cmp_gt_u32_e32 vcc, 8, v60
	v_cndmask_b32_e32 v46, v61, v46, vcc
	v_cndmask_b32_e32 v59, v59, v62, vcc
	v_lshlrev_b32_e32 v60, 16, v44
	v_lshlrev_b32_e32 v59, 20, v59
	v_and_b32_e32 v60, 0x80000000, v60
	v_lshl_add_u32 v46, v46, 23, v56
	v_or3_b32 v59, v60, v46, v59
.LBB623_321:                            ;   in Loop: Header=BB623_215 Depth=1
	s_or_b64 exec, exec, s[16:17]
.LBB623_322:                            ;   in Loop: Header=BB623_215 Depth=1
	s_or_b64 exec, exec, s[14:15]
.LBB623_323:                            ;   in Loop: Header=BB623_215 Depth=1
	s_or_b64 exec, exec, s[12:13]
	v_lshrrev_b32_e32 v46, 16, v44
	v_cmp_ne_u16_sdwa s[14:15], v46, v55 src0_sel:BYTE_0 src1_sel:DWORD
	s_and_saveexec_b64 s[12:13], s[14:15]
	s_cbranch_execz .LBB623_329
; %bb.324:                              ;   in Loop: Header=BB623_215 Depth=1
	v_cmp_ne_u16_sdwa s[16:17], v46, s9 src0_sel:BYTE_0 src1_sel:DWORD
	v_bfrev_b32_e32 v58, 1
	s_and_saveexec_b64 s[14:15], s[16:17]
	s_cbranch_execz .LBB623_328
; %bb.325:                              ;   in Loop: Header=BB623_215 Depth=1
	v_bfe_u32 v60, v44, 16, 7
	v_cmp_ne_u32_e32 vcc, s19, v60
	v_mov_b32_e32 v58, 0x7f800001
	s_and_saveexec_b64 s[16:17], vcc
	s_cbranch_execz .LBB623_327
; %bb.326:                              ;   in Loop: Header=BB623_215 Depth=1
	v_and_b32_e32 v58, 7, v46
	v_ffbh_u32_e32 v62, v58
	v_min_u32_e32 v64, 32, v62
	v_subrev_u32_e32 v62, 28, v64
	v_lshlrev_b64 v[62:63], v62, v[46:47]
	v_lshrrev_b32_e32 v61, 3, v60
	v_sub_u32_e32 v63, 29, v64
	v_and_b32_e32 v62, 7, v62
	v_cmp_gt_u32_e32 vcc, 8, v60
	v_cndmask_b32_e32 v60, v61, v63, vcc
	v_cndmask_b32_e32 v58, v58, v62, vcc
	v_lshlrev_b32_e32 v46, 24, v46
	v_lshlrev_b32_e32 v58, 20, v58
	v_and_b32_e32 v46, 0x80000000, v46
	v_lshl_add_u32 v60, v60, 23, v56
	v_or3_b32 v58, v46, v60, v58
.LBB623_327:                            ;   in Loop: Header=BB623_215 Depth=1
	s_or_b64 exec, exec, s[16:17]
.LBB623_328:                            ;   in Loop: Header=BB623_215 Depth=1
	s_or_b64 exec, exec, s[14:15]
.LBB623_329:                            ;   in Loop: Header=BB623_215 Depth=1
	s_or_b64 exec, exec, s[12:13]
	v_cmp_lt_u32_e32 vcc, s20, v44
	v_mov_b32_e32 v60, 0
	v_mov_b32_e32 v61, 0
	s_and_saveexec_b64 s[12:13], vcc
	s_cbranch_execz .LBB623_335
; %bb.330:                              ;   in Loop: Header=BB623_215 Depth=1
	v_lshrrev_b32_e32 v46, 24, v44
	v_cmp_ne_u32_e32 vcc, s9, v46
	v_bfrev_b32_e32 v61, 1
	s_and_saveexec_b64 s[14:15], vcc
	s_cbranch_execz .LBB623_334
; %bb.331:                              ;   in Loop: Header=BB623_215 Depth=1
	v_bfe_u32 v44, v44, 24, 7
	v_cmp_ne_u32_e32 vcc, s19, v44
	v_mov_b32_e32 v61, 0x7f800001
	s_and_saveexec_b64 s[16:17], vcc
	s_cbranch_execz .LBB623_333
; %bb.332:                              ;   in Loop: Header=BB623_215 Depth=1
	v_and_b32_e32 v61, 7, v46
	v_ffbh_u32_e32 v62, v61
	v_min_u32_e32 v65, 32, v62
	v_subrev_u32_e32 v62, 28, v65
	v_lshlrev_b64 v[62:63], v62, v[46:47]
	v_lshrrev_b32_e32 v64, 3, v44
	v_sub_u32_e32 v63, 29, v65
	v_and_b32_e32 v62, 7, v62
	v_cmp_gt_u32_e32 vcc, 8, v44
	v_cndmask_b32_e32 v44, v64, v63, vcc
	v_cndmask_b32_e32 v61, v61, v62, vcc
	v_lshlrev_b32_e32 v46, 24, v46
	v_lshlrev_b32_e32 v61, 20, v61
	v_and_b32_e32 v46, 0x80000000, v46
	v_lshl_add_u32 v44, v44, 23, v56
	v_or3_b32 v61, v46, v44, v61
.LBB623_333:                            ;   in Loop: Header=BB623_215 Depth=1
	s_or_b64 exec, exec, s[16:17]
.LBB623_334:                            ;   in Loop: Header=BB623_215 Depth=1
	s_or_b64 exec, exec, s[14:15]
.LBB623_335:                            ;   in Loop: Header=BB623_215 Depth=1
	s_or_b64 exec, exec, s[12:13]
	s_waitcnt vmcnt(2)
	v_cmp_ne_u16_sdwa s[14:15], v42, v55 src0_sel:BYTE_0 src1_sel:DWORD
	s_and_saveexec_b64 s[12:13], s[14:15]
	s_cbranch_execz .LBB623_341
; %bb.336:                              ;   in Loop: Header=BB623_215 Depth=1
	v_cmp_ne_u16_sdwa s[16:17], v42, s9 src0_sel:BYTE_0 src1_sel:DWORD
	v_bfrev_b32_e32 v60, 1
	s_and_saveexec_b64 s[14:15], s[16:17]
	s_cbranch_execz .LBB623_340
; %bb.337:                              ;   in Loop: Header=BB623_215 Depth=1
	v_and_b32_e32 v44, 0x7f, v42
	v_cmp_ne_u32_e32 vcc, s19, v44
	v_mov_b32_e32 v60, 0x7f800001
	s_and_saveexec_b64 s[16:17], vcc
	s_cbranch_execz .LBB623_339
; %bb.338:                              ;   in Loop: Header=BB623_215 Depth=1
	v_and_b32_e32 v46, 7, v42
	v_ffbh_u32_e32 v62, v46
	v_min_u32_e32 v64, 32, v62
	v_subrev_u32_e32 v62, 28, v64
	v_lshlrev_b64 v[62:63], v62, v[42:43]
	v_lshrrev_b32_e32 v60, 3, v44
	v_sub_u32_e32 v63, 29, v64
	v_and_b32_e32 v62, 7, v62
	v_cmp_gt_u32_e32 vcc, 8, v44
	v_cndmask_b32_e32 v44, v60, v63, vcc
	v_cndmask_b32_e32 v46, v46, v62, vcc
	v_lshlrev_b32_e32 v60, 24, v42
	v_lshlrev_b32_e32 v46, 20, v46
	v_and_b32_e32 v60, 0x80000000, v60
	v_lshl_add_u32 v44, v44, 23, v56
	v_or3_b32 v60, v60, v44, v46
.LBB623_339:                            ;   in Loop: Header=BB623_215 Depth=1
	s_or_b64 exec, exec, s[16:17]
.LBB623_340:                            ;   in Loop: Header=BB623_215 Depth=1
	s_or_b64 exec, exec, s[14:15]
.LBB623_341:                            ;   in Loop: Header=BB623_215 Depth=1
	s_or_b64 exec, exec, s[12:13]
	v_lshrrev_b16_e32 v44, 8, v42
	v_cmp_ne_u16_e32 vcc, 0, v44
	v_mov_b32_e32 v62, 0
	v_mov_b32_e32 v63, 0
	s_and_saveexec_b64 s[12:13], vcc
	s_cbranch_execz .LBB623_347
; %bb.342:                              ;   in Loop: Header=BB623_215 Depth=1
	v_cmp_ne_u16_e32 vcc, s9, v44
	v_bfrev_b32_e32 v63, 1
	s_and_saveexec_b64 s[14:15], vcc
	s_cbranch_execz .LBB623_346
; %bb.343:                              ;   in Loop: Header=BB623_215 Depth=1
	v_and_b32_e32 v46, 0x7f, v44
	v_cmp_ne_u32_e32 vcc, s19, v46
	v_mov_b32_e32 v63, 0x7f800001
	s_and_saveexec_b64 s[16:17], vcc
	s_cbranch_execz .LBB623_345
; %bb.344:                              ;   in Loop: Header=BB623_215 Depth=1
	v_and_b32_e32 v63, 7, v44
	v_ffbh_u32_e32 v64, v63
	v_min_u32_e32 v67, 32, v64
	v_subrev_u32_e32 v64, 28, v67
	v_lshlrev_b64 v[64:65], v64, v[44:45]
	v_lshrrev_b32_e32 v66, 3, v46
	v_sub_u32_e32 v44, 29, v67
	v_and_b32_e32 v64, 7, v64
	v_cmp_gt_u32_e32 vcc, 8, v46
	v_cndmask_b32_e32 v44, v66, v44, vcc
	v_cndmask_b32_e32 v46, v63, v64, vcc
	v_lshlrev_b32_e32 v63, 16, v42
	v_lshlrev_b32_e32 v46, 20, v46
	v_and_b32_e32 v63, 0x80000000, v63
	v_lshl_add_u32 v44, v44, 23, v56
	v_or3_b32 v63, v63, v44, v46
.LBB623_345:                            ;   in Loop: Header=BB623_215 Depth=1
	s_or_b64 exec, exec, s[16:17]
.LBB623_346:                            ;   in Loop: Header=BB623_215 Depth=1
	s_or_b64 exec, exec, s[14:15]
.LBB623_347:                            ;   in Loop: Header=BB623_215 Depth=1
	s_or_b64 exec, exec, s[12:13]
	v_lshrrev_b32_e32 v44, 16, v42
	v_cmp_ne_u16_sdwa s[14:15], v44, v55 src0_sel:BYTE_0 src1_sel:DWORD
	s_and_saveexec_b64 s[12:13], s[14:15]
	s_cbranch_execz .LBB623_353
; %bb.348:                              ;   in Loop: Header=BB623_215 Depth=1
	v_cmp_ne_u16_sdwa s[16:17], v44, s9 src0_sel:BYTE_0 src1_sel:DWORD
	v_bfrev_b32_e32 v62, 1
	s_and_saveexec_b64 s[14:15], s[16:17]
	s_cbranch_execz .LBB623_352
; %bb.349:                              ;   in Loop: Header=BB623_215 Depth=1
	v_bfe_u32 v46, v42, 16, 7
	v_cmp_ne_u32_e32 vcc, s19, v46
	v_mov_b32_e32 v62, 0x7f800001
	s_and_saveexec_b64 s[16:17], vcc
	s_cbranch_execz .LBB623_351
; %bb.350:                              ;   in Loop: Header=BB623_215 Depth=1
	v_and_b32_e32 v62, 7, v44
	v_ffbh_u32_e32 v64, v62
	v_min_u32_e32 v67, 32, v64
	v_subrev_u32_e32 v64, 28, v67
	v_lshlrev_b64 v[64:65], v64, v[44:45]
	v_lshrrev_b32_e32 v66, 3, v46
	v_sub_u32_e32 v65, 29, v67
	v_and_b32_e32 v64, 7, v64
	v_cmp_gt_u32_e32 vcc, 8, v46
	v_cndmask_b32_e32 v46, v66, v65, vcc
	v_cndmask_b32_e32 v62, v62, v64, vcc
	v_lshlrev_b32_e32 v44, 24, v44
	v_lshlrev_b32_e32 v62, 20, v62
	v_and_b32_e32 v44, 0x80000000, v44
	v_lshl_add_u32 v46, v46, 23, v56
	v_or3_b32 v62, v44, v46, v62
.LBB623_351:                            ;   in Loop: Header=BB623_215 Depth=1
	s_or_b64 exec, exec, s[16:17]
.LBB623_352:                            ;   in Loop: Header=BB623_215 Depth=1
	s_or_b64 exec, exec, s[14:15]
.LBB623_353:                            ;   in Loop: Header=BB623_215 Depth=1
	s_or_b64 exec, exec, s[12:13]
	v_cmp_lt_u32_e32 vcc, s20, v42
	v_mov_b32_e32 v46, 0
	v_mov_b32_e32 v64, 0
	s_and_saveexec_b64 s[12:13], vcc
	s_cbranch_execz .LBB623_359
; %bb.354:                              ;   in Loop: Header=BB623_215 Depth=1
	v_lshrrev_b32_e32 v44, 24, v42
	v_cmp_ne_u32_e32 vcc, s9, v44
	v_bfrev_b32_e32 v64, 1
	s_and_saveexec_b64 s[14:15], vcc
	s_cbranch_execz .LBB623_358
; %bb.355:                              ;   in Loop: Header=BB623_215 Depth=1
	v_bfe_u32 v42, v42, 24, 7
	v_cmp_ne_u32_e32 vcc, s19, v42
	v_mov_b32_e32 v64, 0x7f800001
	s_and_saveexec_b64 s[16:17], vcc
	s_cbranch_execz .LBB623_357
; %bb.356:                              ;   in Loop: Header=BB623_215 Depth=1
	v_and_b32_e32 v66, 7, v44
	v_ffbh_u32_e32 v64, v66
	v_min_u32_e32 v68, 32, v64
	v_subrev_u32_e32 v64, 28, v68
	v_lshlrev_b64 v[64:65], v64, v[44:45]
	v_lshrrev_b32_e32 v67, 3, v42
	v_sub_u32_e32 v65, 29, v68
	v_and_b32_e32 v64, 7, v64
	v_cmp_gt_u32_e32 vcc, 8, v42
	v_cndmask_b32_e32 v42, v67, v65, vcc
	v_cndmask_b32_e32 v64, v66, v64, vcc
	v_lshlrev_b32_e32 v44, 24, v44
	v_lshlrev_b32_e32 v64, 20, v64
	v_and_b32_e32 v44, 0x80000000, v44
	v_lshl_add_u32 v42, v42, 23, v56
	v_or3_b32 v64, v44, v42, v64
.LBB623_357:                            ;   in Loop: Header=BB623_215 Depth=1
	s_or_b64 exec, exec, s[16:17]
.LBB623_358:                            ;   in Loop: Header=BB623_215 Depth=1
	s_or_b64 exec, exec, s[14:15]
.LBB623_359:                            ;   in Loop: Header=BB623_215 Depth=1
	s_or_b64 exec, exec, s[12:13]
	v_cvt_pkrtz_f16_f32 v66, v57, v59
	v_cvt_pkrtz_f16_f32 v67, v58, v61
	;; [unrolled: 1-line block ×4, first 2 shown]
	s_waitcnt vmcnt(1)
	v_cmp_ne_u16_sdwa s[14:15], v40, v55 src0_sel:BYTE_0 src1_sel:DWORD
	v_mfma_f32_16x16x16f16 v[34:37], v[66:67], v[10:11], v[34:37]
	v_mfma_f32_16x16x16f16 v[34:37], v[58:59], v[12:13], v[34:37]
	s_and_saveexec_b64 s[12:13], s[14:15]
	s_cbranch_execz .LBB623_365
; %bb.360:                              ;   in Loop: Header=BB623_215 Depth=1
	v_cmp_ne_u16_sdwa s[16:17], v40, s9 src0_sel:BYTE_0 src1_sel:DWORD
	v_bfrev_b32_e32 v46, 1
	s_and_saveexec_b64 s[14:15], s[16:17]
	s_cbranch_execz .LBB623_364
; %bb.361:                              ;   in Loop: Header=BB623_215 Depth=1
	v_and_b32_e32 v42, 0x7f, v40
	v_cmp_ne_u32_e32 vcc, s19, v42
	v_mov_b32_e32 v46, 0x7f800001
	s_and_saveexec_b64 s[16:17], vcc
	s_cbranch_execz .LBB623_363
; %bb.362:                              ;   in Loop: Header=BB623_215 Depth=1
	v_and_b32_e32 v44, 7, v40
	v_ffbh_u32_e32 v57, v44
	v_min_u32_e32 v57, 32, v57
	v_subrev_u32_e32 v58, 28, v57
	v_lshlrev_b64 v[58:59], v58, v[40:41]
	v_lshrrev_b32_e32 v46, 3, v42
	v_sub_u32_e32 v57, 29, v57
	v_and_b32_e32 v58, 7, v58
	v_cmp_gt_u32_e32 vcc, 8, v42
	v_cndmask_b32_e32 v42, v46, v57, vcc
	v_cndmask_b32_e32 v44, v44, v58, vcc
	v_lshlrev_b32_e32 v46, 24, v40
	v_lshlrev_b32_e32 v44, 20, v44
	v_and_b32_e32 v46, 0x80000000, v46
	v_lshl_add_u32 v42, v42, 23, v56
	v_or3_b32 v46, v46, v42, v44
.LBB623_363:                            ;   in Loop: Header=BB623_215 Depth=1
	s_or_b64 exec, exec, s[16:17]
.LBB623_364:                            ;   in Loop: Header=BB623_215 Depth=1
	s_or_b64 exec, exec, s[14:15]
.LBB623_365:                            ;   in Loop: Header=BB623_215 Depth=1
	s_or_b64 exec, exec, s[12:13]
	v_lshrrev_b16_e32 v42, 8, v40
	v_cmp_ne_u16_e32 vcc, 0, v42
	v_mov_b32_e32 v44, 0
	v_mov_b32_e32 v58, 0
	s_and_saveexec_b64 s[12:13], vcc
	s_cbranch_execz .LBB623_371
; %bb.366:                              ;   in Loop: Header=BB623_215 Depth=1
	v_cmp_ne_u16_e32 vcc, s9, v42
	v_bfrev_b32_e32 v58, 1
	s_and_saveexec_b64 s[14:15], vcc
	s_cbranch_execz .LBB623_370
; %bb.367:                              ;   in Loop: Header=BB623_215 Depth=1
	v_and_b32_e32 v57, 0x7f, v42
	v_cmp_ne_u32_e32 vcc, s19, v57
	v_mov_b32_e32 v58, 0x7f800001
	s_and_saveexec_b64 s[16:17], vcc
	s_cbranch_execz .LBB623_369
; %bb.368:                              ;   in Loop: Header=BB623_215 Depth=1
	v_and_b32_e32 v60, 7, v42
	v_ffbh_u32_e32 v58, v60
	v_min_u32_e32 v62, 32, v58
	v_subrev_u32_e32 v58, 28, v62
	v_lshlrev_b64 v[58:59], v58, v[42:43]
	v_lshrrev_b32_e32 v61, 3, v57
	v_sub_u32_e32 v42, 29, v62
	v_and_b32_e32 v58, 7, v58
	v_cmp_gt_u32_e32 vcc, 8, v57
	v_cndmask_b32_e32 v42, v61, v42, vcc
	v_cndmask_b32_e32 v57, v60, v58, vcc
	v_lshlrev_b32_e32 v58, 16, v40
	v_lshlrev_b32_e32 v57, 20, v57
	v_and_b32_e32 v58, 0x80000000, v58
	v_lshl_add_u32 v42, v42, 23, v56
	v_or3_b32 v58, v58, v42, v57
.LBB623_369:                            ;   in Loop: Header=BB623_215 Depth=1
	s_or_b64 exec, exec, s[16:17]
.LBB623_370:                            ;   in Loop: Header=BB623_215 Depth=1
	s_or_b64 exec, exec, s[14:15]
.LBB623_371:                            ;   in Loop: Header=BB623_215 Depth=1
	s_or_b64 exec, exec, s[12:13]
	v_lshrrev_b32_e32 v42, 16, v40
	v_cmp_ne_u16_sdwa s[14:15], v42, v55 src0_sel:BYTE_0 src1_sel:DWORD
	s_and_saveexec_b64 s[12:13], s[14:15]
	s_cbranch_execz .LBB623_377
; %bb.372:                              ;   in Loop: Header=BB623_215 Depth=1
	v_cmp_ne_u16_sdwa s[16:17], v42, s9 src0_sel:BYTE_0 src1_sel:DWORD
	v_bfrev_b32_e32 v44, 1
	s_and_saveexec_b64 s[14:15], s[16:17]
	s_cbranch_execz .LBB623_376
; %bb.373:                              ;   in Loop: Header=BB623_215 Depth=1
	v_bfe_u32 v57, v40, 16, 7
	v_cmp_ne_u32_e32 vcc, s19, v57
	v_mov_b32_e32 v44, 0x7f800001
	s_and_saveexec_b64 s[16:17], vcc
	s_cbranch_execz .LBB623_375
; %bb.374:                              ;   in Loop: Header=BB623_215 Depth=1
	v_and_b32_e32 v44, 7, v42
	v_ffbh_u32_e32 v60, v44
	v_min_u32_e32 v62, 32, v60
	v_subrev_u32_e32 v60, 28, v62
	v_lshlrev_b64 v[60:61], v60, v[42:43]
	v_lshrrev_b32_e32 v59, 3, v57
	v_sub_u32_e32 v61, 29, v62
	v_and_b32_e32 v60, 7, v60
	v_cmp_gt_u32_e32 vcc, 8, v57
	v_cndmask_b32_e32 v57, v59, v61, vcc
	v_cndmask_b32_e32 v44, v44, v60, vcc
	v_lshlrev_b32_e32 v42, 24, v42
	v_lshlrev_b32_e32 v44, 20, v44
	v_and_b32_e32 v42, 0x80000000, v42
	v_lshl_add_u32 v57, v57, 23, v56
	v_or3_b32 v44, v42, v57, v44
.LBB623_375:                            ;   in Loop: Header=BB623_215 Depth=1
	s_or_b64 exec, exec, s[16:17]
.LBB623_376:                            ;   in Loop: Header=BB623_215 Depth=1
	s_or_b64 exec, exec, s[14:15]
.LBB623_377:                            ;   in Loop: Header=BB623_215 Depth=1
	s_or_b64 exec, exec, s[12:13]
	v_cmp_lt_u32_e32 vcc, s20, v40
	v_mov_b32_e32 v59, 0
	v_mov_b32_e32 v60, 0
	s_and_saveexec_b64 s[12:13], vcc
	s_cbranch_execz .LBB623_383
; %bb.378:                              ;   in Loop: Header=BB623_215 Depth=1
	v_lshrrev_b32_e32 v42, 24, v40
	v_cmp_ne_u32_e32 vcc, s9, v42
	v_bfrev_b32_e32 v60, 1
	s_and_saveexec_b64 s[14:15], vcc
	s_cbranch_execz .LBB623_382
; %bb.379:                              ;   in Loop: Header=BB623_215 Depth=1
	v_bfe_u32 v40, v40, 24, 7
	v_cmp_ne_u32_e32 vcc, s19, v40
	v_mov_b32_e32 v60, 0x7f800001
	s_and_saveexec_b64 s[16:17], vcc
	s_cbranch_execz .LBB623_381
; %bb.380:                              ;   in Loop: Header=BB623_215 Depth=1
	v_and_b32_e32 v57, 7, v42
	v_ffbh_u32_e32 v60, v57
	v_min_u32_e32 v63, 32, v60
	v_subrev_u32_e32 v60, 28, v63
	v_lshlrev_b64 v[60:61], v60, v[42:43]
	v_lshrrev_b32_e32 v62, 3, v40
	v_sub_u32_e32 v61, 29, v63
	v_and_b32_e32 v60, 7, v60
	v_cmp_gt_u32_e32 vcc, 8, v40
	v_cndmask_b32_e32 v40, v62, v61, vcc
	v_cndmask_b32_e32 v57, v57, v60, vcc
	v_lshlrev_b32_e32 v42, 24, v42
	v_lshlrev_b32_e32 v57, 20, v57
	v_and_b32_e32 v42, 0x80000000, v42
	v_lshl_add_u32 v40, v40, 23, v56
	v_or3_b32 v60, v42, v40, v57
.LBB623_381:                            ;   in Loop: Header=BB623_215 Depth=1
	s_or_b64 exec, exec, s[16:17]
.LBB623_382:                            ;   in Loop: Header=BB623_215 Depth=1
	s_or_b64 exec, exec, s[14:15]
.LBB623_383:                            ;   in Loop: Header=BB623_215 Depth=1
	s_or_b64 exec, exec, s[12:13]
	s_waitcnt vmcnt(0)
	v_cmp_ne_u16_sdwa s[14:15], v38, v55 src0_sel:BYTE_0 src1_sel:DWORD
	s_and_saveexec_b64 s[12:13], s[14:15]
	s_cbranch_execz .LBB623_389
; %bb.384:                              ;   in Loop: Header=BB623_215 Depth=1
	v_cmp_ne_u16_sdwa s[16:17], v38, s9 src0_sel:BYTE_0 src1_sel:DWORD
	v_bfrev_b32_e32 v59, 1
	s_and_saveexec_b64 s[14:15], s[16:17]
	s_cbranch_execz .LBB623_388
; %bb.385:                              ;   in Loop: Header=BB623_215 Depth=1
	v_and_b32_e32 v40, 0x7f, v38
	v_cmp_ne_u32_e32 vcc, s19, v40
	v_mov_b32_e32 v59, 0x7f800001
	s_and_saveexec_b64 s[16:17], vcc
	s_cbranch_execz .LBB623_387
; %bb.386:                              ;   in Loop: Header=BB623_215 Depth=1
	v_and_b32_e32 v42, 7, v38
	v_ffbh_u32_e32 v59, v42
	v_min_u32_e32 v59, 32, v59
	v_subrev_u32_e32 v61, 28, v59
	v_lshlrev_b64 v[62:63], v61, v[38:39]
	v_lshrrev_b32_e32 v57, 3, v40
	v_sub_u32_e32 v59, 29, v59
	v_and_b32_e32 v61, 7, v62
	v_cmp_gt_u32_e32 vcc, 8, v40
	v_cndmask_b32_e32 v40, v57, v59, vcc
	v_cndmask_b32_e32 v42, v42, v61, vcc
	v_lshlrev_b32_e32 v57, 24, v38
	v_lshlrev_b32_e32 v42, 20, v42
	v_and_b32_e32 v57, 0x80000000, v57
	v_lshl_add_u32 v40, v40, 23, v56
	v_or3_b32 v59, v57, v40, v42
.LBB623_387:                            ;   in Loop: Header=BB623_215 Depth=1
	s_or_b64 exec, exec, s[16:17]
.LBB623_388:                            ;   in Loop: Header=BB623_215 Depth=1
	s_or_b64 exec, exec, s[14:15]
.LBB623_389:                            ;   in Loop: Header=BB623_215 Depth=1
	s_or_b64 exec, exec, s[12:13]
	v_lshrrev_b16_e32 v40, 8, v38
	v_cmp_ne_u16_e32 vcc, 0, v40
	v_mov_b32_e32 v61, 0
	v_mov_b32_e32 v62, 0
	s_and_saveexec_b64 s[12:13], vcc
	s_cbranch_execz .LBB623_395
; %bb.390:                              ;   in Loop: Header=BB623_215 Depth=1
	v_cmp_ne_u16_e32 vcc, s9, v40
	v_bfrev_b32_e32 v62, 1
	s_and_saveexec_b64 s[14:15], vcc
	s_cbranch_execz .LBB623_394
; %bb.391:                              ;   in Loop: Header=BB623_215 Depth=1
	v_and_b32_e32 v42, 0x7f, v40
	v_cmp_ne_u32_e32 vcc, s19, v42
	v_mov_b32_e32 v62, 0x7f800001
	s_and_saveexec_b64 s[16:17], vcc
	s_cbranch_execz .LBB623_393
; %bb.392:                              ;   in Loop: Header=BB623_215 Depth=1
	v_and_b32_e32 v57, 7, v40
	v_ffbh_u32_e32 v62, v57
	v_min_u32_e32 v65, 32, v62
	v_subrev_u32_e32 v62, 28, v65
	v_lshlrev_b64 v[62:63], v62, v[40:41]
	v_lshrrev_b32_e32 v64, 3, v42
	v_sub_u32_e32 v40, 29, v65
	v_and_b32_e32 v62, 7, v62
	v_cmp_gt_u32_e32 vcc, 8, v42
	v_cndmask_b32_e32 v40, v64, v40, vcc
	v_cndmask_b32_e32 v42, v57, v62, vcc
	v_lshlrev_b32_e32 v57, 16, v38
	v_lshlrev_b32_e32 v42, 20, v42
	v_and_b32_e32 v57, 0x80000000, v57
	v_lshl_add_u32 v40, v40, 23, v56
	v_or3_b32 v62, v57, v40, v42
.LBB623_393:                            ;   in Loop: Header=BB623_215 Depth=1
	s_or_b64 exec, exec, s[16:17]
.LBB623_394:                            ;   in Loop: Header=BB623_215 Depth=1
	s_or_b64 exec, exec, s[14:15]
.LBB623_395:                            ;   in Loop: Header=BB623_215 Depth=1
	s_or_b64 exec, exec, s[12:13]
	v_lshrrev_b32_e32 v40, 16, v38
	v_cmp_ne_u16_sdwa s[14:15], v40, v55 src0_sel:BYTE_0 src1_sel:DWORD
	s_and_saveexec_b64 s[12:13], s[14:15]
	s_cbranch_execz .LBB623_401
; %bb.396:                              ;   in Loop: Header=BB623_215 Depth=1
	v_cmp_ne_u16_sdwa s[16:17], v40, s9 src0_sel:BYTE_0 src1_sel:DWORD
	v_bfrev_b32_e32 v61, 1
	s_and_saveexec_b64 s[14:15], s[16:17]
	s_cbranch_execz .LBB623_400
; %bb.397:                              ;   in Loop: Header=BB623_215 Depth=1
	v_bfe_u32 v42, v38, 16, 7
	v_cmp_ne_u32_e32 vcc, s19, v42
	v_mov_b32_e32 v61, 0x7f800001
	s_and_saveexec_b64 s[16:17], vcc
	s_cbranch_execz .LBB623_399
; %bb.398:                              ;   in Loop: Header=BB623_215 Depth=1
	v_and_b32_e32 v57, 7, v40
	v_ffbh_u32_e32 v63, v57
	v_min_u32_e32 v63, 32, v63
	v_subrev_u32_e32 v64, 28, v63
	v_lshlrev_b64 v[64:65], v64, v[40:41]
	v_lshrrev_b32_e32 v61, 3, v42
	v_sub_u32_e32 v63, 29, v63
	v_and_b32_e32 v64, 7, v64
	v_cmp_gt_u32_e32 vcc, 8, v42
	v_cndmask_b32_e32 v42, v61, v63, vcc
	v_cndmask_b32_e32 v57, v57, v64, vcc
	v_lshlrev_b32_e32 v40, 24, v40
	v_lshlrev_b32_e32 v57, 20, v57
	v_and_b32_e32 v40, 0x80000000, v40
	v_lshl_add_u32 v42, v42, 23, v56
	v_or3_b32 v61, v40, v42, v57
.LBB623_399:                            ;   in Loop: Header=BB623_215 Depth=1
	s_or_b64 exec, exec, s[16:17]
.LBB623_400:                            ;   in Loop: Header=BB623_215 Depth=1
	s_or_b64 exec, exec, s[14:15]
.LBB623_401:                            ;   in Loop: Header=BB623_215 Depth=1
	s_or_b64 exec, exec, s[12:13]
	v_cmp_lt_u32_e32 vcc, s20, v38
	v_mov_b32_e32 v57, 0
	v_mov_b32_e32 v63, 0
	s_and_saveexec_b64 s[12:13], vcc
	s_cbranch_execz .LBB623_407
; %bb.402:                              ;   in Loop: Header=BB623_215 Depth=1
	v_lshrrev_b32_e32 v40, 24, v38
	v_cmp_ne_u32_e32 vcc, s9, v40
	v_bfrev_b32_e32 v63, 1
	s_and_saveexec_b64 s[14:15], vcc
	s_cbranch_execz .LBB623_406
; %bb.403:                              ;   in Loop: Header=BB623_215 Depth=1
	v_bfe_u32 v38, v38, 24, 7
	v_cmp_ne_u32_e32 vcc, s19, v38
	v_mov_b32_e32 v63, 0x7f800001
	s_and_saveexec_b64 s[16:17], vcc
	s_cbranch_execz .LBB623_405
; %bb.404:                              ;   in Loop: Header=BB623_215 Depth=1
	v_and_b32_e32 v42, 7, v40
	v_ffbh_u32_e32 v64, v42
	v_min_u32_e32 v66, 32, v64
	v_subrev_u32_e32 v64, 28, v66
	v_lshlrev_b64 v[64:65], v64, v[40:41]
	v_lshrrev_b32_e32 v63, 3, v38
	v_sub_u32_e32 v65, 29, v66
	v_and_b32_e32 v64, 7, v64
	v_cmp_gt_u32_e32 vcc, 8, v38
	v_cndmask_b32_e32 v38, v63, v65, vcc
	v_cndmask_b32_e32 v42, v42, v64, vcc
	v_lshlrev_b32_e32 v40, 24, v40
	v_lshlrev_b32_e32 v42, 20, v42
	v_and_b32_e32 v40, 0x80000000, v40
	v_lshl_add_u32 v38, v38, 23, v56
	v_or3_b32 v63, v40, v38, v42
.LBB623_405:                            ;   in Loop: Header=BB623_215 Depth=1
	s_or_b64 exec, exec, s[16:17]
.LBB623_406:                            ;   in Loop: Header=BB623_215 Depth=1
	s_or_b64 exec, exec, s[14:15]
.LBB623_407:                            ;   in Loop: Header=BB623_215 Depth=1
	s_or_b64 exec, exec, s[12:13]
	v_cvt_pkrtz_f16_f32 v65, v44, v60
	buffer_load_dword v44, v52, s[0:3], 0 offen
	buffer_load_dword v42, v52, s[0:3], 0 offen offset:4
	buffer_load_dword v40, v52, s[0:3], 0 offen offset:8
	;; [unrolled: 1-line block ×3, first 2 shown]
	v_cvt_pkrtz_f16_f32 v64, v46, v58
	v_cvt_pkrtz_f16_f32 v58, v59, v62
	v_cvt_pkrtz_f16_f32 v59, v61, v63
	v_mfma_f32_16x16x16f16 v[34:37], v[64:65], v[14:15], v[34:37]
	s_waitcnt vmcnt(3)
	v_cmp_ne_u16_sdwa s[14:15], v44, v55 src0_sel:BYTE_0 src1_sel:DWORD
	v_mfma_f32_16x16x16f16 v[34:37], v[58:59], v[16:17], v[34:37]
	s_and_saveexec_b64 s[12:13], s[14:15]
	s_cbranch_execz .LBB623_413
; %bb.408:                              ;   in Loop: Header=BB623_215 Depth=1
	v_cmp_ne_u16_sdwa s[16:17], v44, s9 src0_sel:BYTE_0 src1_sel:DWORD
	v_bfrev_b32_e32 v57, 1
	s_and_saveexec_b64 s[14:15], s[16:17]
	s_cbranch_execz .LBB623_412
; %bb.409:                              ;   in Loop: Header=BB623_215 Depth=1
	v_and_b32_e32 v46, 0x7f, v44
	v_cmp_ne_u32_e32 vcc, s19, v46
	v_mov_b32_e32 v57, 0x7f800001
	s_and_saveexec_b64 s[16:17], vcc
	s_cbranch_execz .LBB623_411
; %bb.410:                              ;   in Loop: Header=BB623_215 Depth=1
	v_and_b32_e32 v52, 7, v44
	v_ffbh_u32_e32 v58, v52
	v_min_u32_e32 v60, 32, v58
	v_subrev_u32_e32 v58, 28, v60
	v_lshlrev_b64 v[58:59], v58, v[44:45]
	v_lshrrev_b32_e32 v57, 3, v46
	v_sub_u32_e32 v59, 29, v60
	v_and_b32_e32 v58, 7, v58
	v_cmp_gt_u32_e32 vcc, 8, v46
	v_cndmask_b32_e32 v46, v57, v59, vcc
	v_cndmask_b32_e32 v52, v52, v58, vcc
	v_lshlrev_b32_e32 v57, 24, v44
	v_lshlrev_b32_e32 v52, 20, v52
	v_and_b32_e32 v57, 0x80000000, v57
	v_lshl_add_u32 v46, v46, 23, v56
	v_or3_b32 v57, v57, v46, v52
.LBB623_411:                            ;   in Loop: Header=BB623_215 Depth=1
	s_or_b64 exec, exec, s[16:17]
.LBB623_412:                            ;   in Loop: Header=BB623_215 Depth=1
	s_or_b64 exec, exec, s[14:15]
.LBB623_413:                            ;   in Loop: Header=BB623_215 Depth=1
	s_or_b64 exec, exec, s[12:13]
	v_lshrrev_b16_e32 v46, 8, v44
	v_cmp_ne_u16_e32 vcc, 0, v46
	v_mov_b32_e32 v52, 0
	v_mov_b32_e32 v58, 0
	s_and_saveexec_b64 s[12:13], vcc
	s_cbranch_execz .LBB623_419
; %bb.414:                              ;   in Loop: Header=BB623_215 Depth=1
	v_cmp_ne_u16_e32 vcc, s9, v46
	v_bfrev_b32_e32 v58, 1
	s_and_saveexec_b64 s[14:15], vcc
	s_cbranch_execz .LBB623_418
; %bb.415:                              ;   in Loop: Header=BB623_215 Depth=1
	v_and_b32_e32 v59, 0x7f, v46
	v_cmp_ne_u32_e32 vcc, s19, v59
	v_mov_b32_e32 v58, 0x7f800001
	s_and_saveexec_b64 s[16:17], vcc
	s_cbranch_execz .LBB623_417
; %bb.416:                              ;   in Loop: Header=BB623_215 Depth=1
	v_and_b32_e32 v58, 7, v46
	v_ffbh_u32_e32 v60, v58
	v_min_u32_e32 v63, 32, v60
	v_subrev_u32_e32 v60, 28, v63
	v_lshlrev_b64 v[60:61], v60, v[46:47]
	v_lshrrev_b32_e32 v62, 3, v59
	v_sub_u32_e32 v46, 29, v63
	v_and_b32_e32 v60, 7, v60
	v_cmp_gt_u32_e32 vcc, 8, v59
	v_cndmask_b32_e32 v46, v62, v46, vcc
	v_cndmask_b32_e32 v58, v58, v60, vcc
	v_lshlrev_b32_e32 v59, 16, v44
	v_lshlrev_b32_e32 v58, 20, v58
	v_and_b32_e32 v59, 0x80000000, v59
	v_lshl_add_u32 v46, v46, 23, v56
	v_or3_b32 v58, v59, v46, v58
.LBB623_417:                            ;   in Loop: Header=BB623_215 Depth=1
	s_or_b64 exec, exec, s[16:17]
.LBB623_418:                            ;   in Loop: Header=BB623_215 Depth=1
	s_or_b64 exec, exec, s[14:15]
.LBB623_419:                            ;   in Loop: Header=BB623_215 Depth=1
	s_or_b64 exec, exec, s[12:13]
	v_lshrrev_b32_e32 v46, 16, v44
	v_cmp_ne_u16_sdwa s[14:15], v46, v55 src0_sel:BYTE_0 src1_sel:DWORD
	s_and_saveexec_b64 s[12:13], s[14:15]
	s_cbranch_execz .LBB623_425
; %bb.420:                              ;   in Loop: Header=BB623_215 Depth=1
	v_cmp_ne_u16_sdwa s[16:17], v46, s9 src0_sel:BYTE_0 src1_sel:DWORD
	v_bfrev_b32_e32 v52, 1
	s_and_saveexec_b64 s[14:15], s[16:17]
	s_cbranch_execz .LBB623_424
; %bb.421:                              ;   in Loop: Header=BB623_215 Depth=1
	v_bfe_u32 v59, v44, 16, 7
	v_cmp_ne_u32_e32 vcc, s19, v59
	v_mov_b32_e32 v52, 0x7f800001
	s_and_saveexec_b64 s[16:17], vcc
	s_cbranch_execz .LBB623_423
; %bb.422:                              ;   in Loop: Header=BB623_215 Depth=1
	v_and_b32_e32 v52, 7, v46
	v_ffbh_u32_e32 v60, v52
	v_min_u32_e32 v63, 32, v60
	v_subrev_u32_e32 v60, 28, v63
	v_lshlrev_b64 v[60:61], v60, v[46:47]
	v_lshrrev_b32_e32 v62, 3, v59
	v_sub_u32_e32 v61, 29, v63
	v_and_b32_e32 v60, 7, v60
	v_cmp_gt_u32_e32 vcc, 8, v59
	v_cndmask_b32_e32 v59, v62, v61, vcc
	v_cndmask_b32_e32 v52, v52, v60, vcc
	v_lshlrev_b32_e32 v46, 24, v46
	v_lshlrev_b32_e32 v52, 20, v52
	v_and_b32_e32 v46, 0x80000000, v46
	v_lshl_add_u32 v59, v59, 23, v56
	v_or3_b32 v52, v46, v59, v52
.LBB623_423:                            ;   in Loop: Header=BB623_215 Depth=1
	s_or_b64 exec, exec, s[16:17]
.LBB623_424:                            ;   in Loop: Header=BB623_215 Depth=1
	s_or_b64 exec, exec, s[14:15]
.LBB623_425:                            ;   in Loop: Header=BB623_215 Depth=1
	s_or_b64 exec, exec, s[12:13]
	v_cmp_lt_u32_e32 vcc, s20, v44
	v_mov_b32_e32 v59, 0
	v_mov_b32_e32 v60, 0
	s_and_saveexec_b64 s[12:13], vcc
	s_cbranch_execz .LBB623_431
; %bb.426:                              ;   in Loop: Header=BB623_215 Depth=1
	v_lshrrev_b32_e32 v46, 24, v44
	v_cmp_ne_u32_e32 vcc, s9, v46
	v_bfrev_b32_e32 v60, 1
	s_and_saveexec_b64 s[14:15], vcc
	s_cbranch_execz .LBB623_430
; %bb.427:                              ;   in Loop: Header=BB623_215 Depth=1
	v_bfe_u32 v44, v44, 24, 7
	v_cmp_ne_u32_e32 vcc, s19, v44
	v_mov_b32_e32 v60, 0x7f800001
	s_and_saveexec_b64 s[16:17], vcc
	s_cbranch_execz .LBB623_429
; %bb.428:                              ;   in Loop: Header=BB623_215 Depth=1
	v_and_b32_e32 v62, 7, v46
	v_ffbh_u32_e32 v60, v62
	v_min_u32_e32 v64, 32, v60
	v_subrev_u32_e32 v60, 28, v64
	v_lshlrev_b64 v[60:61], v60, v[46:47]
	v_lshrrev_b32_e32 v63, 3, v44
	v_sub_u32_e32 v61, 29, v64
	v_and_b32_e32 v60, 7, v60
	v_cmp_gt_u32_e32 vcc, 8, v44
	v_cndmask_b32_e32 v44, v63, v61, vcc
	v_cndmask_b32_e32 v60, v62, v60, vcc
	v_lshlrev_b32_e32 v46, 24, v46
	v_lshlrev_b32_e32 v60, 20, v60
	v_and_b32_e32 v46, 0x80000000, v46
	v_lshl_add_u32 v44, v44, 23, v56
	v_or3_b32 v60, v46, v44, v60
.LBB623_429:                            ;   in Loop: Header=BB623_215 Depth=1
	s_or_b64 exec, exec, s[16:17]
.LBB623_430:                            ;   in Loop: Header=BB623_215 Depth=1
	s_or_b64 exec, exec, s[14:15]
.LBB623_431:                            ;   in Loop: Header=BB623_215 Depth=1
	s_or_b64 exec, exec, s[12:13]
	s_waitcnt vmcnt(2)
	v_cmp_ne_u16_sdwa s[14:15], v42, v55 src0_sel:BYTE_0 src1_sel:DWORD
	s_and_saveexec_b64 s[12:13], s[14:15]
	s_cbranch_execz .LBB623_437
; %bb.432:                              ;   in Loop: Header=BB623_215 Depth=1
	v_cmp_ne_u16_sdwa s[16:17], v42, s9 src0_sel:BYTE_0 src1_sel:DWORD
	v_bfrev_b32_e32 v59, 1
	s_and_saveexec_b64 s[14:15], s[16:17]
	s_cbranch_execz .LBB623_436
; %bb.433:                              ;   in Loop: Header=BB623_215 Depth=1
	v_and_b32_e32 v44, 0x7f, v42
	v_cmp_ne_u32_e32 vcc, s19, v44
	v_mov_b32_e32 v59, 0x7f800001
	s_and_saveexec_b64 s[16:17], vcc
	s_cbranch_execz .LBB623_435
; %bb.434:                              ;   in Loop: Header=BB623_215 Depth=1
	v_and_b32_e32 v46, 7, v42
	v_ffbh_u32_e32 v61, v46
	v_min_u32_e32 v61, 32, v61
	v_subrev_u32_e32 v62, 28, v61
	v_lshlrev_b64 v[62:63], v62, v[42:43]
	v_lshrrev_b32_e32 v59, 3, v44
	v_sub_u32_e32 v61, 29, v61
	v_and_b32_e32 v62, 7, v62
	v_cmp_gt_u32_e32 vcc, 8, v44
	v_cndmask_b32_e32 v44, v59, v61, vcc
	v_cndmask_b32_e32 v46, v46, v62, vcc
	v_lshlrev_b32_e32 v59, 24, v42
	v_lshlrev_b32_e32 v46, 20, v46
	v_and_b32_e32 v59, 0x80000000, v59
	v_lshl_add_u32 v44, v44, 23, v56
	v_or3_b32 v59, v59, v44, v46
.LBB623_435:                            ;   in Loop: Header=BB623_215 Depth=1
	s_or_b64 exec, exec, s[16:17]
.LBB623_436:                            ;   in Loop: Header=BB623_215 Depth=1
	s_or_b64 exec, exec, s[14:15]
.LBB623_437:                            ;   in Loop: Header=BB623_215 Depth=1
	s_or_b64 exec, exec, s[12:13]
	v_lshrrev_b16_e32 v44, 8, v42
	v_cmp_ne_u16_e32 vcc, 0, v44
	v_mov_b32_e32 v61, 0
	v_mov_b32_e32 v62, 0
	s_and_saveexec_b64 s[12:13], vcc
	s_cbranch_execz .LBB623_443
; %bb.438:                              ;   in Loop: Header=BB623_215 Depth=1
	v_cmp_ne_u16_e32 vcc, s9, v44
	v_bfrev_b32_e32 v62, 1
	s_and_saveexec_b64 s[14:15], vcc
	s_cbranch_execz .LBB623_442
; %bb.439:                              ;   in Loop: Header=BB623_215 Depth=1
	v_and_b32_e32 v46, 0x7f, v44
	v_cmp_ne_u32_e32 vcc, s19, v46
	v_mov_b32_e32 v62, 0x7f800001
	s_and_saveexec_b64 s[16:17], vcc
	s_cbranch_execz .LBB623_441
; %bb.440:                              ;   in Loop: Header=BB623_215 Depth=1
	v_and_b32_e32 v64, 7, v44
	v_ffbh_u32_e32 v62, v64
	v_min_u32_e32 v66, 32, v62
	v_subrev_u32_e32 v62, 28, v66
	v_lshlrev_b64 v[62:63], v62, v[44:45]
	v_lshrrev_b32_e32 v65, 3, v46
	v_sub_u32_e32 v44, 29, v66
	v_and_b32_e32 v62, 7, v62
	v_cmp_gt_u32_e32 vcc, 8, v46
	v_cndmask_b32_e32 v44, v65, v44, vcc
	v_cndmask_b32_e32 v46, v64, v62, vcc
	v_lshlrev_b32_e32 v62, 16, v42
	v_lshlrev_b32_e32 v46, 20, v46
	v_and_b32_e32 v62, 0x80000000, v62
	v_lshl_add_u32 v44, v44, 23, v56
	v_or3_b32 v62, v62, v44, v46
.LBB623_441:                            ;   in Loop: Header=BB623_215 Depth=1
	s_or_b64 exec, exec, s[16:17]
.LBB623_442:                            ;   in Loop: Header=BB623_215 Depth=1
	s_or_b64 exec, exec, s[14:15]
.LBB623_443:                            ;   in Loop: Header=BB623_215 Depth=1
	s_or_b64 exec, exec, s[12:13]
	v_lshrrev_b32_e32 v44, 16, v42
	v_cmp_ne_u16_sdwa s[14:15], v44, v55 src0_sel:BYTE_0 src1_sel:DWORD
	s_and_saveexec_b64 s[12:13], s[14:15]
	s_cbranch_execz .LBB623_449
; %bb.444:                              ;   in Loop: Header=BB623_215 Depth=1
	v_cmp_ne_u16_sdwa s[16:17], v44, s9 src0_sel:BYTE_0 src1_sel:DWORD
	v_bfrev_b32_e32 v61, 1
	s_and_saveexec_b64 s[14:15], s[16:17]
	s_cbranch_execz .LBB623_448
; %bb.445:                              ;   in Loop: Header=BB623_215 Depth=1
	v_bfe_u32 v46, v42, 16, 7
	v_cmp_ne_u32_e32 vcc, s19, v46
	v_mov_b32_e32 v61, 0x7f800001
	s_and_saveexec_b64 s[16:17], vcc
	s_cbranch_execz .LBB623_447
; %bb.446:                              ;   in Loop: Header=BB623_215 Depth=1
	v_and_b32_e32 v61, 7, v44
	v_ffbh_u32_e32 v64, v61
	v_min_u32_e32 v66, 32, v64
	v_subrev_u32_e32 v64, 28, v66
	v_lshlrev_b64 v[64:65], v64, v[44:45]
	v_lshrrev_b32_e32 v63, 3, v46
	v_sub_u32_e32 v65, 29, v66
	v_and_b32_e32 v64, 7, v64
	v_cmp_gt_u32_e32 vcc, 8, v46
	v_cndmask_b32_e32 v46, v63, v65, vcc
	v_cndmask_b32_e32 v61, v61, v64, vcc
	v_lshlrev_b32_e32 v44, 24, v44
	v_lshlrev_b32_e32 v61, 20, v61
	v_and_b32_e32 v44, 0x80000000, v44
	v_lshl_add_u32 v46, v46, 23, v56
	v_or3_b32 v61, v44, v46, v61
.LBB623_447:                            ;   in Loop: Header=BB623_215 Depth=1
	s_or_b64 exec, exec, s[16:17]
.LBB623_448:                            ;   in Loop: Header=BB623_215 Depth=1
	s_or_b64 exec, exec, s[14:15]
.LBB623_449:                            ;   in Loop: Header=BB623_215 Depth=1
	s_or_b64 exec, exec, s[12:13]
	v_cmp_lt_u32_e32 vcc, s20, v42
	v_mov_b32_e32 v46, 0
	v_mov_b32_e32 v63, 0
	s_and_saveexec_b64 s[12:13], vcc
	s_cbranch_execz .LBB623_455
; %bb.450:                              ;   in Loop: Header=BB623_215 Depth=1
	v_lshrrev_b32_e32 v44, 24, v42
	v_cmp_ne_u32_e32 vcc, s9, v44
	v_bfrev_b32_e32 v63, 1
	s_and_saveexec_b64 s[14:15], vcc
	s_cbranch_execz .LBB623_454
; %bb.451:                              ;   in Loop: Header=BB623_215 Depth=1
	v_bfe_u32 v42, v42, 24, 7
	v_cmp_ne_u32_e32 vcc, s19, v42
	v_mov_b32_e32 v63, 0x7f800001
	s_and_saveexec_b64 s[16:17], vcc
	s_cbranch_execz .LBB623_453
; %bb.452:                              ;   in Loop: Header=BB623_215 Depth=1
	v_and_b32_e32 v63, 7, v44
	v_ffbh_u32_e32 v64, v63
	v_min_u32_e32 v67, 32, v64
	v_subrev_u32_e32 v64, 28, v67
	v_lshlrev_b64 v[64:65], v64, v[44:45]
	v_lshrrev_b32_e32 v66, 3, v42
	v_sub_u32_e32 v65, 29, v67
	v_and_b32_e32 v64, 7, v64
	v_cmp_gt_u32_e32 vcc, 8, v42
	v_cndmask_b32_e32 v42, v66, v65, vcc
	v_cndmask_b32_e32 v63, v63, v64, vcc
	v_lshlrev_b32_e32 v44, 24, v44
	v_lshlrev_b32_e32 v63, 20, v63
	v_and_b32_e32 v44, 0x80000000, v44
	v_lshl_add_u32 v42, v42, 23, v56
	v_or3_b32 v63, v44, v42, v63
.LBB623_453:                            ;   in Loop: Header=BB623_215 Depth=1
	s_or_b64 exec, exec, s[16:17]
.LBB623_454:                            ;   in Loop: Header=BB623_215 Depth=1
	s_or_b64 exec, exec, s[14:15]
.LBB623_455:                            ;   in Loop: Header=BB623_215 Depth=1
	s_or_b64 exec, exec, s[12:13]
	v_cvt_pkrtz_f16_f32 v64, v57, v58
	v_cvt_pkrtz_f16_f32 v65, v52, v60
	;; [unrolled: 1-line block ×4, first 2 shown]
	s_waitcnt vmcnt(1)
	v_cmp_ne_u16_sdwa s[14:15], v40, v55 src0_sel:BYTE_0 src1_sel:DWORD
	v_mfma_f32_16x16x16f16 v[34:37], v[64:65], v[18:19], v[34:37]
	v_mfma_f32_16x16x16f16 v[34:37], v[58:59], v[20:21], v[34:37]
	s_and_saveexec_b64 s[12:13], s[14:15]
	s_cbranch_execz .LBB623_461
; %bb.456:                              ;   in Loop: Header=BB623_215 Depth=1
	v_cmp_ne_u16_sdwa s[16:17], v40, s9 src0_sel:BYTE_0 src1_sel:DWORD
	v_bfrev_b32_e32 v46, 1
	s_and_saveexec_b64 s[14:15], s[16:17]
	s_cbranch_execz .LBB623_460
; %bb.457:                              ;   in Loop: Header=BB623_215 Depth=1
	v_and_b32_e32 v42, 0x7f, v40
	v_cmp_ne_u32_e32 vcc, s19, v42
	v_mov_b32_e32 v46, 0x7f800001
	s_and_saveexec_b64 s[16:17], vcc
	s_cbranch_execz .LBB623_459
; %bb.458:                              ;   in Loop: Header=BB623_215 Depth=1
	v_and_b32_e32 v44, 7, v40
	v_ffbh_u32_e32 v52, v44
	v_min_u32_e32 v52, 32, v52
	v_subrev_u32_e32 v57, 28, v52
	v_lshlrev_b64 v[58:59], v57, v[40:41]
	v_lshrrev_b32_e32 v46, 3, v42
	v_sub_u32_e32 v52, 29, v52
	v_and_b32_e32 v57, 7, v58
	v_cmp_gt_u32_e32 vcc, 8, v42
	v_cndmask_b32_e32 v42, v46, v52, vcc
	v_cndmask_b32_e32 v44, v44, v57, vcc
	v_lshlrev_b32_e32 v46, 24, v40
	v_lshlrev_b32_e32 v44, 20, v44
	v_and_b32_e32 v46, 0x80000000, v46
	v_lshl_add_u32 v42, v42, 23, v56
	v_or3_b32 v46, v46, v42, v44
.LBB623_459:                            ;   in Loop: Header=BB623_215 Depth=1
	s_or_b64 exec, exec, s[16:17]
.LBB623_460:                            ;   in Loop: Header=BB623_215 Depth=1
	s_or_b64 exec, exec, s[14:15]
.LBB623_461:                            ;   in Loop: Header=BB623_215 Depth=1
	s_or_b64 exec, exec, s[12:13]
	v_lshrrev_b16_e32 v42, 8, v40
	v_cmp_ne_u16_e32 vcc, 0, v42
	v_mov_b32_e32 v44, 0
	v_mov_b32_e32 v57, 0
	s_and_saveexec_b64 s[12:13], vcc
	s_cbranch_execz .LBB623_467
; %bb.462:                              ;   in Loop: Header=BB623_215 Depth=1
	v_cmp_ne_u16_e32 vcc, s9, v42
	v_bfrev_b32_e32 v57, 1
	s_and_saveexec_b64 s[14:15], vcc
	s_cbranch_execz .LBB623_466
; %bb.463:                              ;   in Loop: Header=BB623_215 Depth=1
	v_and_b32_e32 v52, 0x7f, v42
	v_cmp_ne_u32_e32 vcc, s19, v52
	v_mov_b32_e32 v57, 0x7f800001
	s_and_saveexec_b64 s[16:17], vcc
	s_cbranch_execz .LBB623_465
; %bb.464:                              ;   in Loop: Header=BB623_215 Depth=1
	v_and_b32_e32 v57, 7, v42
	v_ffbh_u32_e32 v58, v57
	v_min_u32_e32 v61, 32, v58
	v_subrev_u32_e32 v58, 28, v61
	v_lshlrev_b64 v[58:59], v58, v[42:43]
	v_lshrrev_b32_e32 v60, 3, v52
	v_sub_u32_e32 v42, 29, v61
	v_and_b32_e32 v58, 7, v58
	v_cmp_gt_u32_e32 vcc, 8, v52
	v_cndmask_b32_e32 v42, v60, v42, vcc
	v_cndmask_b32_e32 v52, v57, v58, vcc
	v_lshlrev_b32_e32 v57, 16, v40
	v_lshlrev_b32_e32 v52, 20, v52
	v_and_b32_e32 v57, 0x80000000, v57
	v_lshl_add_u32 v42, v42, 23, v56
	v_or3_b32 v57, v57, v42, v52
.LBB623_465:                            ;   in Loop: Header=BB623_215 Depth=1
	s_or_b64 exec, exec, s[16:17]
.LBB623_466:                            ;   in Loop: Header=BB623_215 Depth=1
	s_or_b64 exec, exec, s[14:15]
.LBB623_467:                            ;   in Loop: Header=BB623_215 Depth=1
	s_or_b64 exec, exec, s[12:13]
	v_lshrrev_b32_e32 v42, 16, v40
	v_cmp_ne_u16_sdwa s[14:15], v42, v55 src0_sel:BYTE_0 src1_sel:DWORD
	s_and_saveexec_b64 s[12:13], s[14:15]
	s_cbranch_execz .LBB623_473
; %bb.468:                              ;   in Loop: Header=BB623_215 Depth=1
	v_cmp_ne_u16_sdwa s[16:17], v42, s9 src0_sel:BYTE_0 src1_sel:DWORD
	v_bfrev_b32_e32 v44, 1
	s_and_saveexec_b64 s[14:15], s[16:17]
	s_cbranch_execz .LBB623_472
; %bb.469:                              ;   in Loop: Header=BB623_215 Depth=1
	v_bfe_u32 v52, v40, 16, 7
	v_cmp_ne_u32_e32 vcc, s19, v52
	v_mov_b32_e32 v44, 0x7f800001
	s_and_saveexec_b64 s[16:17], vcc
	s_cbranch_execz .LBB623_471
; %bb.470:                              ;   in Loop: Header=BB623_215 Depth=1
	v_and_b32_e32 v44, 7, v42
	v_ffbh_u32_e32 v58, v44
	v_min_u32_e32 v61, 32, v58
	v_subrev_u32_e32 v58, 28, v61
	v_lshlrev_b64 v[58:59], v58, v[42:43]
	v_lshrrev_b32_e32 v60, 3, v52
	v_sub_u32_e32 v59, 29, v61
	v_and_b32_e32 v58, 7, v58
	v_cmp_gt_u32_e32 vcc, 8, v52
	v_cndmask_b32_e32 v52, v60, v59, vcc
	v_cndmask_b32_e32 v44, v44, v58, vcc
	v_lshlrev_b32_e32 v42, 24, v42
	v_lshlrev_b32_e32 v44, 20, v44
	v_and_b32_e32 v42, 0x80000000, v42
	v_lshl_add_u32 v52, v52, 23, v56
	v_or3_b32 v44, v42, v52, v44
.LBB623_471:                            ;   in Loop: Header=BB623_215 Depth=1
	s_or_b64 exec, exec, s[16:17]
.LBB623_472:                            ;   in Loop: Header=BB623_215 Depth=1
	s_or_b64 exec, exec, s[14:15]
.LBB623_473:                            ;   in Loop: Header=BB623_215 Depth=1
	s_or_b64 exec, exec, s[12:13]
	v_cmp_lt_u32_e32 vcc, s20, v40
	v_mov_b32_e32 v58, 0
	v_mov_b32_e32 v59, 0
	s_and_saveexec_b64 s[12:13], vcc
	s_cbranch_execz .LBB623_479
; %bb.474:                              ;   in Loop: Header=BB623_215 Depth=1
	v_lshrrev_b32_e32 v42, 24, v40
	v_cmp_ne_u32_e32 vcc, s9, v42
	v_bfrev_b32_e32 v59, 1
	s_and_saveexec_b64 s[14:15], vcc
	s_cbranch_execz .LBB623_478
; %bb.475:                              ;   in Loop: Header=BB623_215 Depth=1
	v_bfe_u32 v40, v40, 24, 7
	v_cmp_ne_u32_e32 vcc, s19, v40
	v_mov_b32_e32 v59, 0x7f800001
	s_and_saveexec_b64 s[16:17], vcc
	s_cbranch_execz .LBB623_477
; %bb.476:                              ;   in Loop: Header=BB623_215 Depth=1
	v_and_b32_e32 v52, 7, v42
	v_ffbh_u32_e32 v60, v52
	v_min_u32_e32 v62, 32, v60
	v_subrev_u32_e32 v60, 28, v62
	v_lshlrev_b64 v[60:61], v60, v[42:43]
	v_lshrrev_b32_e32 v59, 3, v40
	v_sub_u32_e32 v61, 29, v62
	v_and_b32_e32 v60, 7, v60
	v_cmp_gt_u32_e32 vcc, 8, v40
	v_cndmask_b32_e32 v40, v59, v61, vcc
	v_cndmask_b32_e32 v52, v52, v60, vcc
	v_lshlrev_b32_e32 v42, 24, v42
	v_lshlrev_b32_e32 v52, 20, v52
	v_and_b32_e32 v42, 0x80000000, v42
	v_lshl_add_u32 v40, v40, 23, v56
	v_or3_b32 v59, v42, v40, v52
.LBB623_477:                            ;   in Loop: Header=BB623_215 Depth=1
	s_or_b64 exec, exec, s[16:17]
.LBB623_478:                            ;   in Loop: Header=BB623_215 Depth=1
	s_or_b64 exec, exec, s[14:15]
.LBB623_479:                            ;   in Loop: Header=BB623_215 Depth=1
	s_or_b64 exec, exec, s[12:13]
	s_waitcnt vmcnt(0)
	v_cmp_ne_u16_sdwa s[14:15], v38, v55 src0_sel:BYTE_0 src1_sel:DWORD
	s_and_saveexec_b64 s[12:13], s[14:15]
	s_cbranch_execz .LBB623_485
; %bb.480:                              ;   in Loop: Header=BB623_215 Depth=1
	v_cmp_ne_u16_sdwa s[16:17], v38, s9 src0_sel:BYTE_0 src1_sel:DWORD
	v_bfrev_b32_e32 v58, 1
	s_and_saveexec_b64 s[14:15], s[16:17]
	s_cbranch_execz .LBB623_484
; %bb.481:                              ;   in Loop: Header=BB623_215 Depth=1
	v_and_b32_e32 v40, 0x7f, v38
	v_cmp_ne_u32_e32 vcc, s19, v40
	v_mov_b32_e32 v58, 0x7f800001
	s_and_saveexec_b64 s[16:17], vcc
	s_cbranch_execz .LBB623_483
; %bb.482:                              ;   in Loop: Header=BB623_215 Depth=1
	v_and_b32_e32 v42, 7, v38
	v_ffbh_u32_e32 v58, v42
	v_min_u32_e32 v58, 32, v58
	v_subrev_u32_e32 v60, 28, v58
	v_lshlrev_b64 v[60:61], v60, v[38:39]
	v_lshrrev_b32_e32 v52, 3, v40
	v_sub_u32_e32 v58, 29, v58
	v_and_b32_e32 v60, 7, v60
	v_cmp_gt_u32_e32 vcc, 8, v40
	v_cndmask_b32_e32 v40, v52, v58, vcc
	v_cndmask_b32_e32 v42, v42, v60, vcc
	v_lshlrev_b32_e32 v52, 24, v38
	v_lshlrev_b32_e32 v42, 20, v42
	v_and_b32_e32 v52, 0x80000000, v52
	v_lshl_add_u32 v40, v40, 23, v56
	v_or3_b32 v58, v52, v40, v42
.LBB623_483:                            ;   in Loop: Header=BB623_215 Depth=1
	s_or_b64 exec, exec, s[16:17]
.LBB623_484:                            ;   in Loop: Header=BB623_215 Depth=1
	s_or_b64 exec, exec, s[14:15]
.LBB623_485:                            ;   in Loop: Header=BB623_215 Depth=1
	s_or_b64 exec, exec, s[12:13]
	v_lshrrev_b16_e32 v40, 8, v38
	v_cmp_ne_u16_e32 vcc, 0, v40
	v_mov_b32_e32 v60, 0
	v_mov_b32_e32 v61, 0
	s_and_saveexec_b64 s[12:13], vcc
	s_cbranch_execz .LBB623_491
; %bb.486:                              ;   in Loop: Header=BB623_215 Depth=1
	v_cmp_ne_u16_e32 vcc, s9, v40
	v_bfrev_b32_e32 v61, 1
	s_and_saveexec_b64 s[14:15], vcc
	s_cbranch_execz .LBB623_490
; %bb.487:                              ;   in Loop: Header=BB623_215 Depth=1
	v_and_b32_e32 v42, 0x7f, v40
	v_cmp_ne_u32_e32 vcc, s19, v42
	v_mov_b32_e32 v61, 0x7f800001
	s_and_saveexec_b64 s[16:17], vcc
	s_cbranch_execz .LBB623_489
; %bb.488:                              ;   in Loop: Header=BB623_215 Depth=1
	v_and_b32_e32 v52, 7, v40
	v_ffbh_u32_e32 v62, v52
	v_min_u32_e32 v64, 32, v62
	v_subrev_u32_e32 v62, 28, v64
	v_lshlrev_b64 v[62:63], v62, v[40:41]
	v_lshrrev_b32_e32 v61, 3, v42
	v_sub_u32_e32 v40, 29, v64
	v_and_b32_e32 v62, 7, v62
	v_cmp_gt_u32_e32 vcc, 8, v42
	v_cndmask_b32_e32 v40, v61, v40, vcc
	v_cndmask_b32_e32 v42, v52, v62, vcc
	v_lshlrev_b32_e32 v52, 16, v38
	v_lshlrev_b32_e32 v42, 20, v42
	v_and_b32_e32 v52, 0x80000000, v52
	v_lshl_add_u32 v40, v40, 23, v56
	v_or3_b32 v61, v52, v40, v42
.LBB623_489:                            ;   in Loop: Header=BB623_215 Depth=1
	s_or_b64 exec, exec, s[16:17]
.LBB623_490:                            ;   in Loop: Header=BB623_215 Depth=1
	s_or_b64 exec, exec, s[14:15]
.LBB623_491:                            ;   in Loop: Header=BB623_215 Depth=1
	s_or_b64 exec, exec, s[12:13]
	v_lshrrev_b32_e32 v40, 16, v38
	v_cmp_ne_u16_sdwa s[14:15], v40, v55 src0_sel:BYTE_0 src1_sel:DWORD
	s_and_saveexec_b64 s[12:13], s[14:15]
	s_cbranch_execz .LBB623_497
; %bb.492:                              ;   in Loop: Header=BB623_215 Depth=1
	v_cmp_ne_u16_sdwa s[16:17], v40, s9 src0_sel:BYTE_0 src1_sel:DWORD
	v_bfrev_b32_e32 v60, 1
	s_and_saveexec_b64 s[14:15], s[16:17]
	s_cbranch_execz .LBB623_496
; %bb.493:                              ;   in Loop: Header=BB623_215 Depth=1
	v_bfe_u32 v42, v38, 16, 7
	v_cmp_ne_u32_e32 vcc, s19, v42
	v_mov_b32_e32 v60, 0x7f800001
	s_and_saveexec_b64 s[16:17], vcc
	s_cbranch_execz .LBB623_495
; %bb.494:                              ;   in Loop: Header=BB623_215 Depth=1
	v_and_b32_e32 v52, 7, v40
	v_ffbh_u32_e32 v62, v52
	v_min_u32_e32 v64, 32, v62
	v_subrev_u32_e32 v62, 28, v64
	v_lshlrev_b64 v[62:63], v62, v[40:41]
	v_lshrrev_b32_e32 v60, 3, v42
	v_sub_u32_e32 v63, 29, v64
	v_and_b32_e32 v62, 7, v62
	v_cmp_gt_u32_e32 vcc, 8, v42
	v_cndmask_b32_e32 v42, v60, v63, vcc
	v_cndmask_b32_e32 v52, v52, v62, vcc
	v_lshlrev_b32_e32 v40, 24, v40
	v_lshlrev_b32_e32 v52, 20, v52
	v_and_b32_e32 v40, 0x80000000, v40
	v_lshl_add_u32 v42, v42, 23, v56
	v_or3_b32 v60, v40, v42, v52
.LBB623_495:                            ;   in Loop: Header=BB623_215 Depth=1
	s_or_b64 exec, exec, s[16:17]
.LBB623_496:                            ;   in Loop: Header=BB623_215 Depth=1
	s_or_b64 exec, exec, s[14:15]
.LBB623_497:                            ;   in Loop: Header=BB623_215 Depth=1
	s_or_b64 exec, exec, s[12:13]
	v_cmp_lt_u32_e32 vcc, s20, v38
	v_mov_b32_e32 v52, 0
	v_mov_b32_e32 v62, 0
	s_and_saveexec_b64 s[12:13], vcc
	s_cbranch_execz .LBB623_503
; %bb.498:                              ;   in Loop: Header=BB623_215 Depth=1
	v_lshrrev_b32_e32 v40, 24, v38
	v_cmp_ne_u32_e32 vcc, s9, v40
	v_bfrev_b32_e32 v62, 1
	s_and_saveexec_b64 s[14:15], vcc
	s_cbranch_execz .LBB623_502
; %bb.499:                              ;   in Loop: Header=BB623_215 Depth=1
	v_bfe_u32 v38, v38, 24, 7
	v_cmp_ne_u32_e32 vcc, s19, v38
	v_mov_b32_e32 v62, 0x7f800001
	s_and_saveexec_b64 s[16:17], vcc
	s_cbranch_execz .LBB623_501
; %bb.500:                              ;   in Loop: Header=BB623_215 Depth=1
	v_and_b32_e32 v42, 7, v40
	v_ffbh_u32_e32 v62, v42
	v_min_u32_e32 v65, 32, v62
	v_subrev_u32_e32 v62, 28, v65
	v_lshlrev_b64 v[62:63], v62, v[40:41]
	v_lshrrev_b32_e32 v64, 3, v38
	v_sub_u32_e32 v63, 29, v65
	v_and_b32_e32 v62, 7, v62
	v_cmp_gt_u32_e32 vcc, 8, v38
	v_cndmask_b32_e32 v38, v64, v63, vcc
	v_cndmask_b32_e32 v42, v42, v62, vcc
	v_lshlrev_b32_e32 v40, 24, v40
	v_lshlrev_b32_e32 v42, 20, v42
	v_and_b32_e32 v40, 0x80000000, v40
	v_lshl_add_u32 v38, v38, 23, v56
	v_or3_b32 v62, v40, v38, v42
.LBB623_501:                            ;   in Loop: Header=BB623_215 Depth=1
	s_or_b64 exec, exec, s[16:17]
.LBB623_502:                            ;   in Loop: Header=BB623_215 Depth=1
	s_or_b64 exec, exec, s[14:15]
.LBB623_503:                            ;   in Loop: Header=BB623_215 Depth=1
	s_or_b64 exec, exec, s[12:13]
	v_cvt_pkrtz_f16_f32 v65, v44, v59
	buffer_load_dword v44, v51, s[0:3], 0 offen
	buffer_load_dword v42, v51, s[0:3], 0 offen offset:4
	buffer_load_dword v40, v51, s[0:3], 0 offen offset:8
	;; [unrolled: 1-line block ×3, first 2 shown]
	v_cvt_pkrtz_f16_f32 v64, v46, v57
	v_cvt_pkrtz_f16_f32 v58, v58, v61
	v_cvt_pkrtz_f16_f32 v59, v60, v62
	v_mfma_f32_16x16x16f16 v[34:37], v[64:65], v[22:23], v[34:37]
	s_waitcnt vmcnt(3)
	v_cmp_ne_u16_sdwa s[14:15], v44, v55 src0_sel:BYTE_0 src1_sel:DWORD
	v_mfma_f32_16x16x16f16 v[34:37], v[58:59], v[24:25], v[34:37]
	s_and_saveexec_b64 s[12:13], s[14:15]
	s_cbranch_execz .LBB623_509
; %bb.504:                              ;   in Loop: Header=BB623_215 Depth=1
	v_cmp_ne_u16_sdwa s[16:17], v44, s9 src0_sel:BYTE_0 src1_sel:DWORD
	v_bfrev_b32_e32 v52, 1
	s_and_saveexec_b64 s[14:15], s[16:17]
	s_cbranch_execz .LBB623_508
; %bb.505:                              ;   in Loop: Header=BB623_215 Depth=1
	v_and_b32_e32 v46, 0x7f, v44
	v_cmp_ne_u32_e32 vcc, s19, v46
	v_mov_b32_e32 v52, 0x7f800001
	s_and_saveexec_b64 s[16:17], vcc
	s_cbranch_execz .LBB623_507
; %bb.506:                              ;   in Loop: Header=BB623_215 Depth=1
	v_and_b32_e32 v51, 7, v44
	v_ffbh_u32_e32 v57, v51
	v_min_u32_e32 v57, 32, v57
	v_subrev_u32_e32 v58, 28, v57
	v_lshlrev_b64 v[58:59], v58, v[44:45]
	v_lshrrev_b32_e32 v52, 3, v46
	v_sub_u32_e32 v57, 29, v57
	v_and_b32_e32 v58, 7, v58
	v_cmp_gt_u32_e32 vcc, 8, v46
	v_cndmask_b32_e32 v46, v52, v57, vcc
	v_cndmask_b32_e32 v51, v51, v58, vcc
	v_lshlrev_b32_e32 v52, 24, v44
	v_lshlrev_b32_e32 v51, 20, v51
	v_and_b32_e32 v52, 0x80000000, v52
	v_lshl_add_u32 v46, v46, 23, v56
	v_or3_b32 v52, v52, v46, v51
.LBB623_507:                            ;   in Loop: Header=BB623_215 Depth=1
	s_or_b64 exec, exec, s[16:17]
.LBB623_508:                            ;   in Loop: Header=BB623_215 Depth=1
	s_or_b64 exec, exec, s[14:15]
.LBB623_509:                            ;   in Loop: Header=BB623_215 Depth=1
	s_or_b64 exec, exec, s[12:13]
	v_lshrrev_b16_e32 v46, 8, v44
	v_cmp_ne_u16_e32 vcc, 0, v46
	v_mov_b32_e32 v51, 0
	v_mov_b32_e32 v57, 0
	s_and_saveexec_b64 s[12:13], vcc
	s_cbranch_execz .LBB623_515
; %bb.510:                              ;   in Loop: Header=BB623_215 Depth=1
	v_cmp_ne_u16_e32 vcc, s9, v46
	v_bfrev_b32_e32 v57, 1
	s_and_saveexec_b64 s[14:15], vcc
	s_cbranch_execz .LBB623_514
; %bb.511:                              ;   in Loop: Header=BB623_215 Depth=1
	v_and_b32_e32 v58, 0x7f, v46
	v_cmp_ne_u32_e32 vcc, s19, v58
	v_mov_b32_e32 v57, 0x7f800001
	s_and_saveexec_b64 s[16:17], vcc
	s_cbranch_execz .LBB623_513
; %bb.512:                              ;   in Loop: Header=BB623_215 Depth=1
	v_and_b32_e32 v57, 7, v46
	v_ffbh_u32_e32 v60, v57
	v_min_u32_e32 v62, 32, v60
	v_subrev_u32_e32 v60, 28, v62
	v_lshlrev_b64 v[60:61], v60, v[46:47]
	v_lshrrev_b32_e32 v59, 3, v58
	v_sub_u32_e32 v46, 29, v62
	v_and_b32_e32 v60, 7, v60
	v_cmp_gt_u32_e32 vcc, 8, v58
	v_cndmask_b32_e32 v46, v59, v46, vcc
	v_cndmask_b32_e32 v57, v57, v60, vcc
	v_lshlrev_b32_e32 v58, 16, v44
	v_lshlrev_b32_e32 v57, 20, v57
	v_and_b32_e32 v58, 0x80000000, v58
	v_lshl_add_u32 v46, v46, 23, v56
	v_or3_b32 v57, v58, v46, v57
.LBB623_513:                            ;   in Loop: Header=BB623_215 Depth=1
	s_or_b64 exec, exec, s[16:17]
.LBB623_514:                            ;   in Loop: Header=BB623_215 Depth=1
	s_or_b64 exec, exec, s[14:15]
.LBB623_515:                            ;   in Loop: Header=BB623_215 Depth=1
	s_or_b64 exec, exec, s[12:13]
	v_lshrrev_b32_e32 v46, 16, v44
	v_cmp_ne_u16_sdwa s[14:15], v46, v55 src0_sel:BYTE_0 src1_sel:DWORD
	s_and_saveexec_b64 s[12:13], s[14:15]
	s_cbranch_execz .LBB623_521
; %bb.516:                              ;   in Loop: Header=BB623_215 Depth=1
	v_cmp_ne_u16_sdwa s[16:17], v46, s9 src0_sel:BYTE_0 src1_sel:DWORD
	v_bfrev_b32_e32 v51, 1
	s_and_saveexec_b64 s[14:15], s[16:17]
	s_cbranch_execz .LBB623_520
; %bb.517:                              ;   in Loop: Header=BB623_215 Depth=1
	v_bfe_u32 v58, v44, 16, 7
	v_cmp_ne_u32_e32 vcc, s19, v58
	v_mov_b32_e32 v51, 0x7f800001
	s_and_saveexec_b64 s[16:17], vcc
	s_cbranch_execz .LBB623_519
; %bb.518:                              ;   in Loop: Header=BB623_215 Depth=1
	v_and_b32_e32 v51, 7, v46
	v_ffbh_u32_e32 v60, v51
	v_min_u32_e32 v62, 32, v60
	v_subrev_u32_e32 v60, 28, v62
	v_lshlrev_b64 v[60:61], v60, v[46:47]
	v_lshrrev_b32_e32 v59, 3, v58
	v_sub_u32_e32 v61, 29, v62
	v_and_b32_e32 v60, 7, v60
	v_cmp_gt_u32_e32 vcc, 8, v58
	v_cndmask_b32_e32 v58, v59, v61, vcc
	v_cndmask_b32_e32 v51, v51, v60, vcc
	v_lshlrev_b32_e32 v46, 24, v46
	v_lshlrev_b32_e32 v51, 20, v51
	v_and_b32_e32 v46, 0x80000000, v46
	v_lshl_add_u32 v58, v58, 23, v56
	v_or3_b32 v51, v46, v58, v51
.LBB623_519:                            ;   in Loop: Header=BB623_215 Depth=1
	s_or_b64 exec, exec, s[16:17]
.LBB623_520:                            ;   in Loop: Header=BB623_215 Depth=1
	s_or_b64 exec, exec, s[14:15]
.LBB623_521:                            ;   in Loop: Header=BB623_215 Depth=1
	s_or_b64 exec, exec, s[12:13]
	v_cmp_lt_u32_e32 vcc, s20, v44
	v_mov_b32_e32 v58, 0
	v_mov_b32_e32 v59, 0
	s_and_saveexec_b64 s[12:13], vcc
	s_cbranch_execz .LBB623_527
; %bb.522:                              ;   in Loop: Header=BB623_215 Depth=1
	v_lshrrev_b32_e32 v46, 24, v44
	v_cmp_ne_u32_e32 vcc, s9, v46
	v_bfrev_b32_e32 v59, 1
	s_and_saveexec_b64 s[14:15], vcc
	s_cbranch_execz .LBB623_526
; %bb.523:                              ;   in Loop: Header=BB623_215 Depth=1
	v_bfe_u32 v44, v44, 24, 7
	v_cmp_ne_u32_e32 vcc, s19, v44
	v_mov_b32_e32 v59, 0x7f800001
	s_and_saveexec_b64 s[16:17], vcc
	s_cbranch_execz .LBB623_525
; %bb.524:                              ;   in Loop: Header=BB623_215 Depth=1
	v_and_b32_e32 v59, 7, v46
	v_ffbh_u32_e32 v60, v59
	v_min_u32_e32 v63, 32, v60
	v_subrev_u32_e32 v60, 28, v63
	v_lshlrev_b64 v[60:61], v60, v[46:47]
	v_lshrrev_b32_e32 v62, 3, v44
	v_sub_u32_e32 v61, 29, v63
	v_and_b32_e32 v60, 7, v60
	v_cmp_gt_u32_e32 vcc, 8, v44
	v_cndmask_b32_e32 v44, v62, v61, vcc
	v_cndmask_b32_e32 v59, v59, v60, vcc
	v_lshlrev_b32_e32 v46, 24, v46
	v_lshlrev_b32_e32 v59, 20, v59
	v_and_b32_e32 v46, 0x80000000, v46
	v_lshl_add_u32 v44, v44, 23, v56
	v_or3_b32 v59, v46, v44, v59
.LBB623_525:                            ;   in Loop: Header=BB623_215 Depth=1
	s_or_b64 exec, exec, s[16:17]
.LBB623_526:                            ;   in Loop: Header=BB623_215 Depth=1
	s_or_b64 exec, exec, s[14:15]
.LBB623_527:                            ;   in Loop: Header=BB623_215 Depth=1
	s_or_b64 exec, exec, s[12:13]
	s_waitcnt vmcnt(2)
	v_cmp_ne_u16_sdwa s[14:15], v42, v55 src0_sel:BYTE_0 src1_sel:DWORD
	s_and_saveexec_b64 s[12:13], s[14:15]
	s_cbranch_execz .LBB623_533
; %bb.528:                              ;   in Loop: Header=BB623_215 Depth=1
	v_cmp_ne_u16_sdwa s[16:17], v42, s9 src0_sel:BYTE_0 src1_sel:DWORD
	v_bfrev_b32_e32 v58, 1
	s_and_saveexec_b64 s[14:15], s[16:17]
	s_cbranch_execz .LBB623_532
; %bb.529:                              ;   in Loop: Header=BB623_215 Depth=1
	v_and_b32_e32 v44, 0x7f, v42
	v_cmp_ne_u32_e32 vcc, s19, v44
	v_mov_b32_e32 v58, 0x7f800001
	s_and_saveexec_b64 s[16:17], vcc
	s_cbranch_execz .LBB623_531
; %bb.530:                              ;   in Loop: Header=BB623_215 Depth=1
	v_and_b32_e32 v46, 7, v42
	v_ffbh_u32_e32 v60, v46
	v_min_u32_e32 v62, 32, v60
	v_subrev_u32_e32 v60, 28, v62
	v_lshlrev_b64 v[60:61], v60, v[42:43]
	v_lshrrev_b32_e32 v58, 3, v44
	v_sub_u32_e32 v61, 29, v62
	v_and_b32_e32 v60, 7, v60
	v_cmp_gt_u32_e32 vcc, 8, v44
	v_cndmask_b32_e32 v44, v58, v61, vcc
	v_cndmask_b32_e32 v46, v46, v60, vcc
	v_lshlrev_b32_e32 v58, 24, v42
	v_lshlrev_b32_e32 v46, 20, v46
	v_and_b32_e32 v58, 0x80000000, v58
	v_lshl_add_u32 v44, v44, 23, v56
	v_or3_b32 v58, v58, v44, v46
.LBB623_531:                            ;   in Loop: Header=BB623_215 Depth=1
	s_or_b64 exec, exec, s[16:17]
.LBB623_532:                            ;   in Loop: Header=BB623_215 Depth=1
	s_or_b64 exec, exec, s[14:15]
.LBB623_533:                            ;   in Loop: Header=BB623_215 Depth=1
	s_or_b64 exec, exec, s[12:13]
	v_lshrrev_b16_e32 v44, 8, v42
	v_cmp_ne_u16_e32 vcc, 0, v44
	v_mov_b32_e32 v60, 0
	v_mov_b32_e32 v61, 0
	s_and_saveexec_b64 s[12:13], vcc
	s_cbranch_execz .LBB623_539
; %bb.534:                              ;   in Loop: Header=BB623_215 Depth=1
	v_cmp_ne_u16_e32 vcc, s9, v44
	v_bfrev_b32_e32 v61, 1
	s_and_saveexec_b64 s[14:15], vcc
	s_cbranch_execz .LBB623_538
; %bb.535:                              ;   in Loop: Header=BB623_215 Depth=1
	v_and_b32_e32 v46, 0x7f, v44
	v_cmp_ne_u32_e32 vcc, s19, v46
	v_mov_b32_e32 v61, 0x7f800001
	s_and_saveexec_b64 s[16:17], vcc
	s_cbranch_execz .LBB623_537
; %bb.536:                              ;   in Loop: Header=BB623_215 Depth=1
	v_and_b32_e32 v61, 7, v44
	v_ffbh_u32_e32 v62, v61
	v_min_u32_e32 v65, 32, v62
	v_subrev_u32_e32 v62, 28, v65
	v_lshlrev_b64 v[62:63], v62, v[44:45]
	v_lshrrev_b32_e32 v64, 3, v46
	v_sub_u32_e32 v44, 29, v65
	v_and_b32_e32 v62, 7, v62
	v_cmp_gt_u32_e32 vcc, 8, v46
	v_cndmask_b32_e32 v44, v64, v44, vcc
	v_cndmask_b32_e32 v46, v61, v62, vcc
	v_lshlrev_b32_e32 v61, 16, v42
	v_lshlrev_b32_e32 v46, 20, v46
	v_and_b32_e32 v61, 0x80000000, v61
	v_lshl_add_u32 v44, v44, 23, v56
	v_or3_b32 v61, v61, v44, v46
.LBB623_537:                            ;   in Loop: Header=BB623_215 Depth=1
	s_or_b64 exec, exec, s[16:17]
.LBB623_538:                            ;   in Loop: Header=BB623_215 Depth=1
	s_or_b64 exec, exec, s[14:15]
.LBB623_539:                            ;   in Loop: Header=BB623_215 Depth=1
	s_or_b64 exec, exec, s[12:13]
	v_lshrrev_b32_e32 v44, 16, v42
	v_cmp_ne_u16_sdwa s[14:15], v44, v55 src0_sel:BYTE_0 src1_sel:DWORD
	s_and_saveexec_b64 s[12:13], s[14:15]
	s_cbranch_execz .LBB623_545
; %bb.540:                              ;   in Loop: Header=BB623_215 Depth=1
	v_cmp_ne_u16_sdwa s[16:17], v44, s9 src0_sel:BYTE_0 src1_sel:DWORD
	v_bfrev_b32_e32 v60, 1
	s_and_saveexec_b64 s[14:15], s[16:17]
	s_cbranch_execz .LBB623_544
; %bb.541:                              ;   in Loop: Header=BB623_215 Depth=1
	v_bfe_u32 v46, v42, 16, 7
	v_cmp_ne_u32_e32 vcc, s19, v46
	v_mov_b32_e32 v60, 0x7f800001
	s_and_saveexec_b64 s[16:17], vcc
	s_cbranch_execz .LBB623_543
; %bb.542:                              ;   in Loop: Header=BB623_215 Depth=1
	v_and_b32_e32 v60, 7, v44
	v_ffbh_u32_e32 v62, v60
	v_min_u32_e32 v65, 32, v62
	v_subrev_u32_e32 v62, 28, v65
	v_lshlrev_b64 v[62:63], v62, v[44:45]
	v_lshrrev_b32_e32 v64, 3, v46
	v_sub_u32_e32 v63, 29, v65
	v_and_b32_e32 v62, 7, v62
	v_cmp_gt_u32_e32 vcc, 8, v46
	v_cndmask_b32_e32 v46, v64, v63, vcc
	v_cndmask_b32_e32 v60, v60, v62, vcc
	v_lshlrev_b32_e32 v44, 24, v44
	v_lshlrev_b32_e32 v60, 20, v60
	v_and_b32_e32 v44, 0x80000000, v44
	v_lshl_add_u32 v46, v46, 23, v56
	v_or3_b32 v60, v44, v46, v60
.LBB623_543:                            ;   in Loop: Header=BB623_215 Depth=1
	s_or_b64 exec, exec, s[16:17]
.LBB623_544:                            ;   in Loop: Header=BB623_215 Depth=1
	s_or_b64 exec, exec, s[14:15]
.LBB623_545:                            ;   in Loop: Header=BB623_215 Depth=1
	s_or_b64 exec, exec, s[12:13]
	v_cmp_lt_u32_e32 vcc, s20, v42
	v_mov_b32_e32 v46, 0
	v_mov_b32_e32 v62, 0
	s_and_saveexec_b64 s[12:13], vcc
	s_cbranch_execz .LBB623_551
; %bb.546:                              ;   in Loop: Header=BB623_215 Depth=1
	v_lshrrev_b32_e32 v44, 24, v42
	v_cmp_ne_u32_e32 vcc, s9, v44
	v_bfrev_b32_e32 v62, 1
	s_and_saveexec_b64 s[14:15], vcc
	s_cbranch_execz .LBB623_550
; %bb.547:                              ;   in Loop: Header=BB623_215 Depth=1
	v_bfe_u32 v42, v42, 24, 7
	v_cmp_ne_u32_e32 vcc, s19, v42
	v_mov_b32_e32 v62, 0x7f800001
	s_and_saveexec_b64 s[16:17], vcc
	s_cbranch_execz .LBB623_549
; %bb.548:                              ;   in Loop: Header=BB623_215 Depth=1
	v_and_b32_e32 v64, 7, v44
	v_ffbh_u32_e32 v62, v64
	v_min_u32_e32 v66, 32, v62
	v_subrev_u32_e32 v62, 28, v66
	v_lshlrev_b64 v[62:63], v62, v[44:45]
	v_lshrrev_b32_e32 v65, 3, v42
	v_sub_u32_e32 v63, 29, v66
	v_and_b32_e32 v62, 7, v62
	v_cmp_gt_u32_e32 vcc, 8, v42
	v_cndmask_b32_e32 v42, v65, v63, vcc
	v_cndmask_b32_e32 v62, v64, v62, vcc
	v_lshlrev_b32_e32 v44, 24, v44
	v_lshlrev_b32_e32 v62, 20, v62
	v_and_b32_e32 v44, 0x80000000, v44
	v_lshl_add_u32 v42, v42, 23, v56
	v_or3_b32 v62, v44, v42, v62
.LBB623_549:                            ;   in Loop: Header=BB623_215 Depth=1
	s_or_b64 exec, exec, s[16:17]
.LBB623_550:                            ;   in Loop: Header=BB623_215 Depth=1
	s_or_b64 exec, exec, s[14:15]
.LBB623_551:                            ;   in Loop: Header=BB623_215 Depth=1
	s_or_b64 exec, exec, s[12:13]
	v_cvt_pkrtz_f16_f32 v64, v52, v57
	v_cvt_pkrtz_f16_f32 v65, v51, v59
	;; [unrolled: 1-line block ×4, first 2 shown]
	s_waitcnt vmcnt(1)
	v_cmp_ne_u16_sdwa s[14:15], v40, v55 src0_sel:BYTE_0 src1_sel:DWORD
	v_mfma_f32_16x16x16f16 v[34:37], v[64:65], v[26:27], v[34:37]
	v_mfma_f32_16x16x16f16 v[34:37], v[58:59], v[28:29], v[34:37]
	s_and_saveexec_b64 s[12:13], s[14:15]
	s_cbranch_execz .LBB623_557
; %bb.552:                              ;   in Loop: Header=BB623_215 Depth=1
	v_cmp_ne_u16_sdwa s[16:17], v40, s9 src0_sel:BYTE_0 src1_sel:DWORD
	v_bfrev_b32_e32 v46, 1
	s_and_saveexec_b64 s[14:15], s[16:17]
	s_cbranch_execz .LBB623_556
; %bb.553:                              ;   in Loop: Header=BB623_215 Depth=1
	v_and_b32_e32 v42, 0x7f, v40
	v_cmp_ne_u32_e32 vcc, s19, v42
	v_mov_b32_e32 v46, 0x7f800001
	s_and_saveexec_b64 s[16:17], vcc
	s_cbranch_execz .LBB623_555
; %bb.554:                              ;   in Loop: Header=BB623_215 Depth=1
	v_and_b32_e32 v44, 7, v40
	v_ffbh_u32_e32 v51, v44
	v_min_u32_e32 v51, 32, v51
	v_subrev_u32_e32 v52, 28, v51
	v_lshlrev_b64 v[58:59], v52, v[40:41]
	v_lshrrev_b32_e32 v46, 3, v42
	v_sub_u32_e32 v51, 29, v51
	v_and_b32_e32 v52, 7, v58
	v_cmp_gt_u32_e32 vcc, 8, v42
	v_cndmask_b32_e32 v42, v46, v51, vcc
	v_cndmask_b32_e32 v44, v44, v52, vcc
	v_lshlrev_b32_e32 v46, 24, v40
	v_lshlrev_b32_e32 v44, 20, v44
	v_and_b32_e32 v46, 0x80000000, v46
	v_lshl_add_u32 v42, v42, 23, v56
	v_or3_b32 v46, v46, v42, v44
.LBB623_555:                            ;   in Loop: Header=BB623_215 Depth=1
	s_or_b64 exec, exec, s[16:17]
.LBB623_556:                            ;   in Loop: Header=BB623_215 Depth=1
	s_or_b64 exec, exec, s[14:15]
.LBB623_557:                            ;   in Loop: Header=BB623_215 Depth=1
	s_or_b64 exec, exec, s[12:13]
	v_lshrrev_b16_e32 v42, 8, v40
	v_cmp_ne_u16_e32 vcc, 0, v42
	v_mov_b32_e32 v44, 0
	v_mov_b32_e32 v51, 0
	s_and_saveexec_b64 s[12:13], vcc
	s_cbranch_execz .LBB623_563
; %bb.558:                              ;   in Loop: Header=BB623_215 Depth=1
	v_cmp_ne_u16_e32 vcc, s9, v42
	v_bfrev_b32_e32 v51, 1
	s_and_saveexec_b64 s[14:15], vcc
	s_cbranch_execz .LBB623_562
; %bb.559:                              ;   in Loop: Header=BB623_215 Depth=1
	v_and_b32_e32 v52, 0x7f, v42
	v_cmp_ne_u32_e32 vcc, s19, v52
	v_mov_b32_e32 v51, 0x7f800001
	s_and_saveexec_b64 s[16:17], vcc
	s_cbranch_execz .LBB623_561
; %bb.560:                              ;   in Loop: Header=BB623_215 Depth=1
	v_and_b32_e32 v51, 7, v42
	v_ffbh_u32_e32 v58, v51
	v_min_u32_e32 v60, 32, v58
	v_subrev_u32_e32 v58, 28, v60
	v_lshlrev_b64 v[58:59], v58, v[42:43]
	v_lshrrev_b32_e32 v57, 3, v52
	v_sub_u32_e32 v42, 29, v60
	v_and_b32_e32 v58, 7, v58
	v_cmp_gt_u32_e32 vcc, 8, v52
	v_cndmask_b32_e32 v42, v57, v42, vcc
	v_cndmask_b32_e32 v51, v51, v58, vcc
	v_lshlrev_b32_e32 v52, 16, v40
	v_lshlrev_b32_e32 v51, 20, v51
	v_and_b32_e32 v52, 0x80000000, v52
	v_lshl_add_u32 v42, v42, 23, v56
	v_or3_b32 v51, v52, v42, v51
.LBB623_561:                            ;   in Loop: Header=BB623_215 Depth=1
	s_or_b64 exec, exec, s[16:17]
.LBB623_562:                            ;   in Loop: Header=BB623_215 Depth=1
	s_or_b64 exec, exec, s[14:15]
.LBB623_563:                            ;   in Loop: Header=BB623_215 Depth=1
	s_or_b64 exec, exec, s[12:13]
	v_lshrrev_b32_e32 v42, 16, v40
	v_cmp_ne_u16_sdwa s[14:15], v42, v55 src0_sel:BYTE_0 src1_sel:DWORD
	s_and_saveexec_b64 s[12:13], s[14:15]
	s_cbranch_execz .LBB623_569
; %bb.564:                              ;   in Loop: Header=BB623_215 Depth=1
	v_cmp_ne_u16_sdwa s[16:17], v42, s9 src0_sel:BYTE_0 src1_sel:DWORD
	v_bfrev_b32_e32 v44, 1
	s_and_saveexec_b64 s[14:15], s[16:17]
	s_cbranch_execz .LBB623_568
; %bb.565:                              ;   in Loop: Header=BB623_215 Depth=1
	v_bfe_u32 v52, v40, 16, 7
	v_cmp_ne_u32_e32 vcc, s19, v52
	v_mov_b32_e32 v44, 0x7f800001
	s_and_saveexec_b64 s[16:17], vcc
	s_cbranch_execz .LBB623_567
; %bb.566:                              ;   in Loop: Header=BB623_215 Depth=1
	v_and_b32_e32 v44, 7, v42
	v_ffbh_u32_e32 v58, v44
	v_min_u32_e32 v60, 32, v58
	v_subrev_u32_e32 v58, 28, v60
	v_lshlrev_b64 v[58:59], v58, v[42:43]
	v_lshrrev_b32_e32 v57, 3, v52
	v_sub_u32_e32 v59, 29, v60
	v_and_b32_e32 v58, 7, v58
	v_cmp_gt_u32_e32 vcc, 8, v52
	v_cndmask_b32_e32 v52, v57, v59, vcc
	v_cndmask_b32_e32 v44, v44, v58, vcc
	v_lshlrev_b32_e32 v42, 24, v42
	v_lshlrev_b32_e32 v44, 20, v44
	v_and_b32_e32 v42, 0x80000000, v42
	v_lshl_add_u32 v52, v52, 23, v56
	v_or3_b32 v44, v42, v52, v44
.LBB623_567:                            ;   in Loop: Header=BB623_215 Depth=1
	s_or_b64 exec, exec, s[16:17]
.LBB623_568:                            ;   in Loop: Header=BB623_215 Depth=1
	s_or_b64 exec, exec, s[14:15]
.LBB623_569:                            ;   in Loop: Header=BB623_215 Depth=1
	s_or_b64 exec, exec, s[12:13]
	v_cmp_lt_u32_e32 vcc, s20, v40
	v_mov_b32_e32 v52, 0
	v_mov_b32_e32 v57, 0
	s_and_saveexec_b64 s[12:13], vcc
	s_cbranch_execz .LBB623_575
; %bb.570:                              ;   in Loop: Header=BB623_215 Depth=1
	v_lshrrev_b32_e32 v42, 24, v40
	v_cmp_ne_u32_e32 vcc, s9, v42
	v_bfrev_b32_e32 v57, 1
	s_and_saveexec_b64 s[14:15], vcc
	s_cbranch_execz .LBB623_574
; %bb.571:                              ;   in Loop: Header=BB623_215 Depth=1
	v_bfe_u32 v40, v40, 24, 7
	v_cmp_ne_u32_e32 vcc, s19, v40
	v_mov_b32_e32 v57, 0x7f800001
	s_and_saveexec_b64 s[16:17], vcc
	s_cbranch_execz .LBB623_573
; %bb.572:                              ;   in Loop: Header=BB623_215 Depth=1
	v_and_b32_e32 v57, 7, v42
	v_ffbh_u32_e32 v58, v57
	v_min_u32_e32 v61, 32, v58
	v_subrev_u32_e32 v58, 28, v61
	v_lshlrev_b64 v[58:59], v58, v[42:43]
	v_lshrrev_b32_e32 v60, 3, v40
	v_sub_u32_e32 v59, 29, v61
	v_and_b32_e32 v58, 7, v58
	v_cmp_gt_u32_e32 vcc, 8, v40
	v_cndmask_b32_e32 v40, v60, v59, vcc
	v_cndmask_b32_e32 v57, v57, v58, vcc
	v_lshlrev_b32_e32 v42, 24, v42
	v_lshlrev_b32_e32 v57, 20, v57
	v_and_b32_e32 v42, 0x80000000, v42
	v_lshl_add_u32 v40, v40, 23, v56
	v_or3_b32 v57, v42, v40, v57
.LBB623_573:                            ;   in Loop: Header=BB623_215 Depth=1
	s_or_b64 exec, exec, s[16:17]
.LBB623_574:                            ;   in Loop: Header=BB623_215 Depth=1
	s_or_b64 exec, exec, s[14:15]
.LBB623_575:                            ;   in Loop: Header=BB623_215 Depth=1
	s_or_b64 exec, exec, s[12:13]
	s_waitcnt vmcnt(0)
	v_cmp_ne_u16_sdwa s[14:15], v38, v55 src0_sel:BYTE_0 src1_sel:DWORD
	s_and_saveexec_b64 s[12:13], s[14:15]
	s_cbranch_execz .LBB623_581
; %bb.576:                              ;   in Loop: Header=BB623_215 Depth=1
	v_cmp_ne_u16_sdwa s[16:17], v38, s9 src0_sel:BYTE_0 src1_sel:DWORD
	v_bfrev_b32_e32 v52, 1
	s_and_saveexec_b64 s[14:15], s[16:17]
	s_cbranch_execz .LBB623_580
; %bb.577:                              ;   in Loop: Header=BB623_215 Depth=1
	v_and_b32_e32 v40, 0x7f, v38
	v_cmp_ne_u32_e32 vcc, s19, v40
	v_mov_b32_e32 v52, 0x7f800001
	s_and_saveexec_b64 s[16:17], vcc
	s_cbranch_execz .LBB623_579
; %bb.578:                              ;   in Loop: Header=BB623_215 Depth=1
	v_and_b32_e32 v42, 7, v38
	v_ffbh_u32_e32 v58, v42
	v_min_u32_e32 v60, 32, v58
	v_subrev_u32_e32 v58, 28, v60
	v_lshlrev_b64 v[58:59], v58, v[38:39]
	v_lshrrev_b32_e32 v52, 3, v40
	v_sub_u32_e32 v59, 29, v60
	v_and_b32_e32 v58, 7, v58
	v_cmp_gt_u32_e32 vcc, 8, v40
	v_cndmask_b32_e32 v40, v52, v59, vcc
	v_cndmask_b32_e32 v42, v42, v58, vcc
	v_lshlrev_b32_e32 v52, 24, v38
	v_lshlrev_b32_e32 v42, 20, v42
	v_and_b32_e32 v52, 0x80000000, v52
	v_lshl_add_u32 v40, v40, 23, v56
	v_or3_b32 v52, v52, v40, v42
.LBB623_579:                            ;   in Loop: Header=BB623_215 Depth=1
	s_or_b64 exec, exec, s[16:17]
.LBB623_580:                            ;   in Loop: Header=BB623_215 Depth=1
	s_or_b64 exec, exec, s[14:15]
.LBB623_581:                            ;   in Loop: Header=BB623_215 Depth=1
	s_or_b64 exec, exec, s[12:13]
	v_lshrrev_b16_e32 v40, 8, v38
	v_cmp_ne_u16_e32 vcc, 0, v40
	v_mov_b32_e32 v42, 0
	v_mov_b32_e32 v58, 0
	s_and_saveexec_b64 s[12:13], vcc
	s_cbranch_execz .LBB623_587
; %bb.582:                              ;   in Loop: Header=BB623_215 Depth=1
	v_cmp_ne_u16_e32 vcc, s9, v40
	v_bfrev_b32_e32 v58, 1
	s_and_saveexec_b64 s[14:15], vcc
	s_cbranch_execz .LBB623_586
; %bb.583:                              ;   in Loop: Header=BB623_215 Depth=1
	v_and_b32_e32 v59, 0x7f, v40
	v_cmp_ne_u32_e32 vcc, s19, v59
	v_mov_b32_e32 v58, 0x7f800001
	s_and_saveexec_b64 s[16:17], vcc
	s_cbranch_execz .LBB623_585
; %bb.584:                              ;   in Loop: Header=BB623_215 Depth=1
	v_and_b32_e32 v58, 7, v40
	v_ffbh_u32_e32 v60, v58
	v_min_u32_e32 v63, 32, v60
	v_subrev_u32_e32 v60, 28, v63
	v_lshlrev_b64 v[60:61], v60, v[40:41]
	v_lshrrev_b32_e32 v62, 3, v59
	v_sub_u32_e32 v40, 29, v63
	v_and_b32_e32 v60, 7, v60
	v_cmp_gt_u32_e32 vcc, 8, v59
	v_cndmask_b32_e32 v40, v62, v40, vcc
	v_cndmask_b32_e32 v58, v58, v60, vcc
	v_lshlrev_b32_e32 v59, 16, v38
	v_lshlrev_b32_e32 v58, 20, v58
	v_and_b32_e32 v59, 0x80000000, v59
	v_lshl_add_u32 v40, v40, 23, v56
	v_or3_b32 v58, v59, v40, v58
.LBB623_585:                            ;   in Loop: Header=BB623_215 Depth=1
	s_or_b64 exec, exec, s[16:17]
.LBB623_586:                            ;   in Loop: Header=BB623_215 Depth=1
	s_or_b64 exec, exec, s[14:15]
.LBB623_587:                            ;   in Loop: Header=BB623_215 Depth=1
	s_or_b64 exec, exec, s[12:13]
	v_lshrrev_b32_e32 v40, 16, v38
	v_cmp_ne_u16_sdwa s[14:15], v40, v55 src0_sel:BYTE_0 src1_sel:DWORD
	s_and_saveexec_b64 s[12:13], s[14:15]
	s_cbranch_execz .LBB623_593
; %bb.588:                              ;   in Loop: Header=BB623_215 Depth=1
	v_cmp_ne_u16_sdwa s[16:17], v40, s9 src0_sel:BYTE_0 src1_sel:DWORD
	v_bfrev_b32_e32 v42, 1
	s_and_saveexec_b64 s[14:15], s[16:17]
	s_cbranch_execz .LBB623_592
; %bb.589:                              ;   in Loop: Header=BB623_215 Depth=1
	v_bfe_u32 v59, v38, 16, 7
	v_cmp_ne_u32_e32 vcc, s19, v59
	v_mov_b32_e32 v42, 0x7f800001
	s_and_saveexec_b64 s[16:17], vcc
	s_cbranch_execz .LBB623_591
; %bb.590:                              ;   in Loop: Header=BB623_215 Depth=1
	v_and_b32_e32 v42, 7, v40
	v_ffbh_u32_e32 v60, v42
	v_min_u32_e32 v63, 32, v60
	v_subrev_u32_e32 v60, 28, v63
	v_lshlrev_b64 v[60:61], v60, v[40:41]
	v_lshrrev_b32_e32 v62, 3, v59
	v_sub_u32_e32 v61, 29, v63
	v_and_b32_e32 v60, 7, v60
	v_cmp_gt_u32_e32 vcc, 8, v59
	v_cndmask_b32_e32 v59, v62, v61, vcc
	v_cndmask_b32_e32 v42, v42, v60, vcc
	v_lshlrev_b32_e32 v40, 24, v40
	v_lshlrev_b32_e32 v42, 20, v42
	v_and_b32_e32 v40, 0x80000000, v40
	v_lshl_add_u32 v59, v59, 23, v56
	v_or3_b32 v42, v40, v59, v42
.LBB623_591:                            ;   in Loop: Header=BB623_215 Depth=1
	s_or_b64 exec, exec, s[16:17]
.LBB623_592:                            ;   in Loop: Header=BB623_215 Depth=1
	s_or_b64 exec, exec, s[14:15]
.LBB623_593:                            ;   in Loop: Header=BB623_215 Depth=1
	s_or_b64 exec, exec, s[12:13]
	v_cmp_lt_u32_e32 vcc, s20, v38
	v_mov_b32_e32 v59, 0
	s_and_saveexec_b64 s[12:13], vcc
	s_cbranch_execz .LBB623_214
; %bb.594:                              ;   in Loop: Header=BB623_215 Depth=1
	v_lshrrev_b32_e32 v40, 24, v38
	v_cmp_ne_u32_e32 vcc, s9, v40
	v_bfrev_b32_e32 v59, 1
	s_and_saveexec_b64 s[14:15], vcc
	s_cbranch_execz .LBB623_213
; %bb.595:                              ;   in Loop: Header=BB623_215 Depth=1
	v_bfe_u32 v38, v38, 24, 7
	v_cmp_ne_u32_e32 vcc, s19, v38
	v_mov_b32_e32 v59, 0x7f800001
	s_and_saveexec_b64 s[16:17], vcc
	s_cbranch_execz .LBB623_212
; %bb.596:                              ;   in Loop: Header=BB623_215 Depth=1
	v_and_b32_e32 v59, 7, v40
	v_ffbh_u32_e32 v60, v59
	v_min_u32_e32 v63, 32, v60
	v_subrev_u32_e32 v60, 28, v63
	v_lshlrev_b64 v[60:61], v60, v[40:41]
	v_lshrrev_b32_e32 v62, 3, v38
	v_sub_u32_e32 v61, 29, v63
	v_and_b32_e32 v60, 7, v60
	v_cmp_gt_u32_e32 vcc, 8, v38
	v_cndmask_b32_e32 v38, v62, v61, vcc
	v_cndmask_b32_e32 v59, v59, v60, vcc
	v_lshlrev_b32_e32 v40, 24, v40
	v_lshlrev_b32_e32 v59, 20, v59
	v_and_b32_e32 v40, 0x80000000, v40
	v_lshl_add_u32 v38, v38, 23, v56
	v_or3_b32 v59, v40, v38, v59
	s_branch .LBB623_212
.LBB623_597:
	s_barrier
	buffer_load_dword v2, off, s[0:3], 0 offset:320
	buffer_load_dword v5, off, s[0:3], 0 offset:332
	;; [unrolled: 1-line block ×4, first 2 shown]
	v_cmp_gt_u32_e32 vcc, 64, v0
	v_cmp_gt_u32_e64 s[4:5], 32, v45
	s_and_b64 s[4:5], vcc, s[4:5]
	s_waitcnt vmcnt(0)
	ds_write2st64_b64 v53, v[2:3], v[4:5] offset1:1
	s_waitcnt lgkmcnt(0)
	s_barrier
	s_and_saveexec_b64 s[6:7], s[4:5]
	s_cbranch_execz .LBB623_599
; %bb.598:
	s_mul_i32 s4, s18, s8
	s_lshl_b32 s6, s48, 7
	s_mul_hi_u32 s5, s4, s6
	s_mul_i32 s4, s4, s6
	v_lshlrev_b32_e32 v4, 6, v41
	s_lshl_b64 s[4:5], s[4:5], 1
	v_lshl_or_b32 v0, v0, 10, v4
	s_add_u32 s7, s50, s4
	v_lshlrev_b32_e32 v2, 5, v39
	v_and_b32_e32 v3, 16, v43
	v_and_b32_e32 v0, 0x1a00, v0
	s_addc_u32 s8, s51, s5
	s_lshl_b32 s4, s26, 7
	s_mov_b32 s5, 0
	v_or3_b32 v0, v0, v2, v3
	s_lshl_b64 s[4:5], s[4:5], 1
	ds_read_b128 v[2:5], v0
	s_add_u32 s7, s7, s4
	v_or_b32_e32 v0, s27, v39
	s_addc_u32 s8, s8, s5
	v_mad_u64_u32 v[6:7], s[4:5], s6, v0, 0
	v_lshlrev_b64 v[6:7], 1, v[6:7]
	v_mov_b32_e32 v0, s8
	v_add_co_u32_e32 v6, vcc, s7, v6
	v_addc_co_u32_e32 v7, vcc, v0, v7, vcc
	v_add_co_u32_e32 v0, vcc, v6, v1
	v_addc_co_u32_e32 v1, vcc, 0, v7, vcc
	s_waitcnt lgkmcnt(0)
	global_store_dwordx4 v[0:1], v[2:5], off
.LBB623_599:
	s_endpgm
	.section	.rodata,"a",@progbits
	.p2align	6, 0x0
	.amdhsa_kernel _Z39paged_attention_ll4mi_QKV_mfma16_kernelIDF16_hLN4vllm18Fp8KVCacheDataTypeE1EDF16_Li16ELi128ELi256ELb1ELi2EL8MFMAType0EEvPKT_PKT0_S8_ifPKiSA_SA_iPKfiiiPfSD_PS3_PT2_iSC_SC_
		.amdhsa_group_segment_fixed_size 8192
		.amdhsa_private_segment_fixed_size 352
		.amdhsa_kernarg_size 400
		.amdhsa_user_sgpr_count 8
		.amdhsa_user_sgpr_private_segment_buffer 1
		.amdhsa_user_sgpr_dispatch_ptr 0
		.amdhsa_user_sgpr_queue_ptr 0
		.amdhsa_user_sgpr_kernarg_segment_ptr 1
		.amdhsa_user_sgpr_dispatch_id 0
		.amdhsa_user_sgpr_flat_scratch_init 1
		.amdhsa_user_sgpr_kernarg_preload_length 0
		.amdhsa_user_sgpr_kernarg_preload_offset 0
		.amdhsa_user_sgpr_private_segment_size 0
		.amdhsa_uses_dynamic_stack 0
		.amdhsa_system_sgpr_private_segment_wavefront_offset 1
		.amdhsa_system_sgpr_workgroup_id_x 1
		.amdhsa_system_sgpr_workgroup_id_y 1
		.amdhsa_system_sgpr_workgroup_id_z 1
		.amdhsa_system_sgpr_workgroup_info 0
		.amdhsa_system_vgpr_workitem_id 0
		.amdhsa_next_free_vgpr 82
		.amdhsa_next_free_sgpr 53
		.amdhsa_accum_offset 84
		.amdhsa_reserve_vcc 1
		.amdhsa_reserve_flat_scratch 0
		.amdhsa_float_round_mode_32 0
		.amdhsa_float_round_mode_16_64 0
		.amdhsa_float_denorm_mode_32 3
		.amdhsa_float_denorm_mode_16_64 3
		.amdhsa_dx10_clamp 1
		.amdhsa_ieee_mode 1
		.amdhsa_fp16_overflow 0
		.amdhsa_tg_split 0
		.amdhsa_exception_fp_ieee_invalid_op 0
		.amdhsa_exception_fp_denorm_src 0
		.amdhsa_exception_fp_ieee_div_zero 0
		.amdhsa_exception_fp_ieee_overflow 0
		.amdhsa_exception_fp_ieee_underflow 0
		.amdhsa_exception_fp_ieee_inexact 0
		.amdhsa_exception_int_div_zero 0
	.end_amdhsa_kernel
	.section	.text._Z39paged_attention_ll4mi_QKV_mfma16_kernelIDF16_hLN4vllm18Fp8KVCacheDataTypeE1EDF16_Li16ELi128ELi256ELb1ELi2EL8MFMAType0EEvPKT_PKT0_S8_ifPKiSA_SA_iPKfiiiPfSD_PS3_PT2_iSC_SC_,"axG",@progbits,_Z39paged_attention_ll4mi_QKV_mfma16_kernelIDF16_hLN4vllm18Fp8KVCacheDataTypeE1EDF16_Li16ELi128ELi256ELb1ELi2EL8MFMAType0EEvPKT_PKT0_S8_ifPKiSA_SA_iPKfiiiPfSD_PS3_PT2_iSC_SC_,comdat
.Lfunc_end623:
	.size	_Z39paged_attention_ll4mi_QKV_mfma16_kernelIDF16_hLN4vllm18Fp8KVCacheDataTypeE1EDF16_Li16ELi128ELi256ELb1ELi2EL8MFMAType0EEvPKT_PKT0_S8_ifPKiSA_SA_iPKfiiiPfSD_PS3_PT2_iSC_SC_, .Lfunc_end623-_Z39paged_attention_ll4mi_QKV_mfma16_kernelIDF16_hLN4vllm18Fp8KVCacheDataTypeE1EDF16_Li16ELi128ELi256ELb1ELi2EL8MFMAType0EEvPKT_PKT0_S8_ifPKiSA_SA_iPKfiiiPfSD_PS3_PT2_iSC_SC_
                                        ; -- End function
	.section	.AMDGPU.csdata,"",@progbits
; Kernel info:
; codeLenInByte = 21336
; NumSgprs: 57
; NumVgprs: 82
; NumAgprs: 0
; TotalNumVgprs: 82
; ScratchSize: 352
; MemoryBound: 0
; FloatMode: 240
; IeeeMode: 1
; LDSByteSize: 8192 bytes/workgroup (compile time only)
; SGPRBlocks: 7
; VGPRBlocks: 10
; NumSGPRsForWavesPerEU: 57
; NumVGPRsForWavesPerEU: 82
; AccumOffset: 84
; Occupancy: 5
; WaveLimiterHint : 1
; COMPUTE_PGM_RSRC2:SCRATCH_EN: 1
; COMPUTE_PGM_RSRC2:USER_SGPR: 8
; COMPUTE_PGM_RSRC2:TRAP_HANDLER: 0
; COMPUTE_PGM_RSRC2:TGID_X_EN: 1
; COMPUTE_PGM_RSRC2:TGID_Y_EN: 1
; COMPUTE_PGM_RSRC2:TGID_Z_EN: 1
; COMPUTE_PGM_RSRC2:TIDIG_COMP_CNT: 0
; COMPUTE_PGM_RSRC3_GFX90A:ACCUM_OFFSET: 20
; COMPUTE_PGM_RSRC3_GFX90A:TG_SPLIT: 0
	.section	.text._Z39paged_attention_ll4mi_QKV_mfma16_kernelIDF16_hLN4vllm18Fp8KVCacheDataTypeE1EDF16_Li16ELi128ELi256ELb1ELi3EL8MFMAType0EEvPKT_PKT0_S8_ifPKiSA_SA_iPKfiiiPfSD_PS3_PT2_iSC_SC_,"axG",@progbits,_Z39paged_attention_ll4mi_QKV_mfma16_kernelIDF16_hLN4vllm18Fp8KVCacheDataTypeE1EDF16_Li16ELi128ELi256ELb1ELi3EL8MFMAType0EEvPKT_PKT0_S8_ifPKiSA_SA_iPKfiiiPfSD_PS3_PT2_iSC_SC_,comdat
	.protected	_Z39paged_attention_ll4mi_QKV_mfma16_kernelIDF16_hLN4vllm18Fp8KVCacheDataTypeE1EDF16_Li16ELi128ELi256ELb1ELi3EL8MFMAType0EEvPKT_PKT0_S8_ifPKiSA_SA_iPKfiiiPfSD_PS3_PT2_iSC_SC_ ; -- Begin function _Z39paged_attention_ll4mi_QKV_mfma16_kernelIDF16_hLN4vllm18Fp8KVCacheDataTypeE1EDF16_Li16ELi128ELi256ELb1ELi3EL8MFMAType0EEvPKT_PKT0_S8_ifPKiSA_SA_iPKfiiiPfSD_PS3_PT2_iSC_SC_
	.globl	_Z39paged_attention_ll4mi_QKV_mfma16_kernelIDF16_hLN4vllm18Fp8KVCacheDataTypeE1EDF16_Li16ELi128ELi256ELb1ELi3EL8MFMAType0EEvPKT_PKT0_S8_ifPKiSA_SA_iPKfiiiPfSD_PS3_PT2_iSC_SC_
	.p2align	8
	.type	_Z39paged_attention_ll4mi_QKV_mfma16_kernelIDF16_hLN4vllm18Fp8KVCacheDataTypeE1EDF16_Li16ELi128ELi256ELb1ELi3EL8MFMAType0EEvPKT_PKT0_S8_ifPKiSA_SA_iPKfiiiPfSD_PS3_PT2_iSC_SC_,@function
_Z39paged_attention_ll4mi_QKV_mfma16_kernelIDF16_hLN4vllm18Fp8KVCacheDataTypeE1EDF16_Li16ELi128ELi256ELb1ELi3EL8MFMAType0EEvPKT_PKT0_S8_ifPKiSA_SA_iPKfiiiPfSD_PS3_PT2_iSC_SC_: ; @_Z39paged_attention_ll4mi_QKV_mfma16_kernelIDF16_hLN4vllm18Fp8KVCacheDataTypeE1EDF16_Li16ELi128ELi256ELb1ELi3EL8MFMAType0EEvPKT_PKT0_S8_ifPKiSA_SA_iPKfiiiPfSD_PS3_PT2_iSC_SC_
; %bb.0:
	s_load_dwordx2 s[6:7], s[4:5], 0x30
	s_add_u32 s0, s0, s11
	s_addc_u32 s1, s1, 0
	s_mov_b32 s26, s9
	s_mov_b64 s[14:15], 0
	s_waitcnt lgkmcnt(0)
	s_cmp_lg_u64 s[6:7], 0
	s_cselect_b64 s[12:13], -1, 0
	s_and_b64 vcc, exec, s[12:13]
	s_cbranch_vccz .LBB624_7
; %bb.1:
	s_add_i32 s16, s8, 1
	s_mov_b32 s17, 0
	s_lshl_b64 s[18:19], s[16:17], 2
	s_add_u32 s18, s6, s18
	s_mov_b32 s9, s17
	s_addc_u32 s19, s7, s19
	s_lshl_b64 s[16:17], s[8:9], 2
	s_add_u32 s16, s6, s16
	s_addc_u32 s17, s7, s17
	s_load_dword s11, s[18:19], 0x0
	s_load_dword s20, s[16:17], 0x0
	s_waitcnt lgkmcnt(0)
	s_sub_i32 s11, s11, s20
	s_cmp_eq_u32 s11, 1
	s_cselect_b64 s[16:17], -1, 0
	s_andn2_b64 vcc, exec, s[14:15]
	s_cbranch_vccnz .LBB624_3
.LBB624_2:
	s_mov_b32 s9, 0
	s_mov_b64 s[16:17], -1
.LBB624_3:
	s_andn2_b64 vcc, exec, s[16:17]
	s_cbranch_vccnz .LBB624_599
; %bb.4:
	s_load_dwordx2 s[16:17], s[4:5], 0x28
	s_lshl_b64 s[14:15], s[8:9], 2
	s_waitcnt lgkmcnt(0)
	s_add_u32 s16, s16, s14
	s_addc_u32 s17, s17, s15
	s_load_dword s33, s[16:17], 0x0
	s_lshl_b32 s20, s26, 8
	s_waitcnt lgkmcnt(0)
	s_cmp_ge_i32 s20, s33
	s_cbranch_scc1 .LBB624_599
; %bb.5:
	s_add_i32 s18, s33, 15
	s_load_dwordx2 s[16:17], s[4:5], 0x20
	s_load_dword s11, s[4:5], 0x38
	s_ashr_i32 s19, s18, 31
	v_and_b32_e32 v1, 0xcf, v0
	s_lshr_b32 s19, s19, 28
	v_add_u32_e32 v1, s20, v1
	s_add_i32 s18, s18, s19
	v_ashrrev_i32_e32 v2, 31, v1
	s_ashr_i32 s23, s18, 4
	v_lshrrev_b32_e32 v4, 28, v2
	s_add_i32 s23, s23, -1
	v_add_u32_e32 v2, v1, v4
	s_waitcnt lgkmcnt(0)
	s_mul_i32 s18, s8, s11
	s_mov_b32 s19, 0
	v_ashrrev_i32_e32 v2, 4, v2
	v_mov_b32_e32 v5, s23
	v_cmp_gt_i32_e32 vcc, s33, v1
	s_lshl_b64 s[18:19], s[18:19], 2
	v_cndmask_b32_e32 v2, v5, v2, vcc
	s_add_u32 s21, s16, s18
	v_ashrrev_i32_e32 v3, 31, v2
	s_addc_u32 s22, s17, s19
	v_lshlrev_b64 v[2:3], 2, v[2:3]
	v_mov_b32_e32 v7, s22
	v_add_co_u32_e32 v6, vcc, s21, v2
	v_or_b32_e32 v2, 16, v1
	v_addc_co_u32_e32 v7, vcc, v7, v3, vcc
	v_add_u32_e32 v3, v2, v4
	v_ashrrev_i32_e32 v3, 4, v3
	v_cmp_gt_i32_e32 vcc, s33, v2
	v_cndmask_b32_e32 v2, v5, v3, vcc
	v_ashrrev_i32_e32 v3, 31, v2
	v_lshlrev_b64 v[2:3], 2, v[2:3]
	v_mov_b32_e32 v9, s22
	v_add_co_u32_e32 v8, vcc, s21, v2
	v_or_b32_e32 v2, 32, v1
	v_addc_co_u32_e32 v9, vcc, v9, v3, vcc
	v_add_u32_e32 v3, v2, v4
	v_ashrrev_i32_e32 v3, 4, v3
	v_cmp_gt_i32_e32 vcc, s33, v2
	v_cndmask_b32_e32 v2, v5, v3, vcc
	v_ashrrev_i32_e32 v3, 31, v2
	;; [unrolled: 10-line block ×3, first 2 shown]
	v_lshlrev_b64 v[2:3], 2, v[2:3]
	v_mov_b32_e32 v1, s22
	v_add_co_u32_e32 v12, vcc, s21, v2
	v_addc_co_u32_e32 v13, vcc, v1, v3, vcc
	global_load_dword v5, v[6:7], off
	global_load_dword v4, v[8:9], off
	;; [unrolled: 1-line block ×4, first 2 shown]
	s_load_dwordx2 s[16:17], s[4:5], 0x8
	s_andn2_b64 vcc, exec, s[12:13]
	s_cbranch_vccnz .LBB624_8
; %bb.6:
	s_add_u32 s6, s6, s14
	s_addc_u32 s7, s7, s15
	s_load_dword s11, s[6:7], 0x0
	s_branch .LBB624_9
.LBB624_7:
	s_mov_b64 s[16:17], 0
	s_branch .LBB624_2
.LBB624_8:
	s_mov_b32 s11, s8
.LBB624_9:
	s_load_dwordx2 s[6:7], s[4:5], 0x10
	s_load_dwordx4 s[12:15], s[4:5], 0x48
	v_lshrrev_b32_e32 v27, 6, v0
	v_bfe_u32 v41, v0, 4, 2
	v_and_b32_e32 v43, 15, v0
	s_mul_i32 s27, s10, 3
	v_lshl_or_b32 v6, v27, 2, v41
	v_lshlrev_b32_e32 v1, 3, v43
	v_add_u32_e32 v39, s27, v41
	v_cmp_gt_u32_e32 vcc, 3, v6
	v_lshlrev_b32_e32 v1, 1, v1
	v_lshlrev_b32_e32 v45, 4, v0
	s_and_saveexec_b64 s[18:19], vcc
	s_cbranch_execz .LBB624_11
; %bb.10:
	s_load_dwordx2 s[24:25], s[4:5], 0x0
	s_waitcnt lgkmcnt(0)
	s_ashr_i32 s15, s12, 31
	s_mul_hi_u32 s28, s11, s12
	s_mul_i32 s15, s11, s15
	s_add_i32 s29, s28, s15
	s_mul_i32 s28, s11, s12
	s_lshl_b64 s[28:29], s[28:29], 1
	v_lshlrev_b32_e32 v8, 7, v39
	s_add_u32 s11, s24, s28
	v_ashrrev_i32_e32 v9, 31, v8
	s_addc_u32 s12, s25, s29
	v_lshlrev_b64 v[8:9], 1, v[8:9]
	v_mov_b32_e32 v7, s12
	v_add_co_u32_e32 v8, vcc, s11, v8
	v_addc_co_u32_e32 v7, vcc, v7, v9, vcc
	v_add_co_u32_e32 v8, vcc, v8, v1
	v_addc_co_u32_e32 v9, vcc, 0, v7, vcc
	global_load_dwordx4 v[8:11], v[8:9], off
	v_lshlrev_b32_e32 v12, 8, v0
	v_lshlrev_b32_e32 v7, 8, v43
	v_and_b32_e32 v12, 0x600, v12
	s_movk_i32 s11, 0x800
	v_and_or_b32 v7, v7, s11, v12
	v_lshlrev_b32_e32 v6, 5, v6
	v_and_b32_e32 v12, 16, v45
	v_or3_b32 v6, v7, v6, v12
	s_waitcnt vmcnt(0)
	ds_write_b128 v6, v[8:11]
.LBB624_11:
	s_or_b64 exec, exec, s[18:19]
	s_waitcnt lgkmcnt(0)
	s_mul_i32 s14, s10, s14
	s_add_u32 s10, s16, s14
	s_addc_u32 s11, s17, 0
	v_and_b32_e32 v6, 0xf0, v45
	v_mov_b32_e32 v7, s11
	v_add_co_u32_e32 v6, vcc, s10, v6
	v_and_b32_e32 v18, 48, v0
	v_addc_co_u32_e32 v7, vcc, 0, v7, vcc
	v_lshlrev_b32_e32 v10, 4, v18
	s_waitcnt vmcnt(3)
	v_mad_i64_i32 v[8:9], s[10:11], v5, s13, v[6:7]
	v_add_co_u32_e32 v8, vcc, v8, v10
	v_addc_co_u32_e32 v9, vcc, 0, v9, vcc
	s_waitcnt vmcnt(2)
	v_mad_i64_i32 v[4:5], s[10:11], v4, s13, v[6:7]
	v_add_co_u32_e32 v4, vcc, v4, v10
	v_addc_co_u32_e32 v5, vcc, 0, v5, vcc
	s_load_dwordx2 s[48:49], s[4:5], 0x94
	s_waitcnt lgkmcnt(0)
	s_barrier
	global_load_dwordx4 v[20:23], v[8:9], off
	global_load_dwordx4 v[28:31], v[8:9], off offset:1024
	global_load_dwordx4 v[32:35], v[4:5], off
	global_load_dwordx4 v[46:49], v[4:5], off offset:1024
	s_waitcnt vmcnt(5)
	v_mad_i64_i32 v[4:5], s[10:11], v3, s13, v[6:7]
	v_add_co_u32_e32 v4, vcc, v4, v10
	v_addc_co_u32_e32 v5, vcc, 0, v5, vcc
	s_waitcnt vmcnt(4)
	v_mad_i64_i32 v[2:3], s[10:11], v2, s13, v[6:7]
	v_add_co_u32_e32 v2, vcc, v2, v10
	v_addc_co_u32_e32 v3, vcc, 0, v3, vcc
	global_load_dwordx4 v[50:53], v[4:5], off
	global_load_dwordx4 v[54:57], v[4:5], off offset:1024
	global_load_dwordx4 v[58:61], v[2:3], off
	global_load_dwordx4 v[62:65], v[2:3], off offset:1024
	v_mul_lo_u16_e32 v2, 0x56, v43
	v_mov_b32_e32 v3, 3
	v_mul_lo_u16_sdwa v2, v2, v3 dst_sel:DWORD dst_unused:UNUSED_PAD src0_sel:BYTE_1 src1_sel:DWORD
	v_mov_b32_e32 v4, 5
	v_sub_u16_e32 v2, v43, v2
	v_lshlrev_b32_sdwa v2, v4, v2 dst_sel:DWORD dst_unused:UNUSED_PAD src0_sel:DWORD src1_sel:BYTE_0
	v_lshl_add_u32 v14, v41, 9, v2
	s_load_dwordx2 s[50:51], s[4:5], 0x68
	s_load_dwordx4 s[44:47], s[4:5], 0x58
	ds_read_b128 v[2:5], v14
	ds_read_b128 v[6:9], v14 offset:16
	ds_read_b128 v[10:13], v14 offset:2048
	;; [unrolled: 1-line block ×3, first 2 shown]
	s_mov_b32 s12, 0
	v_cmp_gt_u32_e32 vcc, 3, v43
	s_waitcnt vmcnt(7)
	buffer_store_dword v23, off, s[0:3], 0 offset:12
	buffer_store_dword v22, off, s[0:3], 0 offset:8
	;; [unrolled: 1-line block ×3, first 2 shown]
	buffer_store_dword v20, off, s[0:3], 0
	s_waitcnt vmcnt(10)
	buffer_store_dword v31, off, s[0:3], 0 offset:28
	buffer_store_dword v30, off, s[0:3], 0 offset:24
	buffer_store_dword v29, off, s[0:3], 0 offset:20
	buffer_store_dword v28, off, s[0:3], 0 offset:16
	s_waitcnt vmcnt(13)
	buffer_store_dword v35, off, s[0:3], 0 offset:44
	buffer_store_dword v34, off, s[0:3], 0 offset:40
	buffer_store_dword v33, off, s[0:3], 0 offset:36
	buffer_store_dword v32, off, s[0:3], 0 offset:32
	;; [unrolled: 5-line block ×7, first 2 shown]
	v_mov_b32_e32 v35, 0
	v_mov_b32_e32 v31, 0
	s_and_saveexec_b64 s[10:11], vcc
	s_cbranch_execz .LBB624_13
; %bb.12:
	s_load_dwordx2 s[16:17], s[4:5], 0x40
	v_add_u32_e32 v20, s27, v43
	v_ashrrev_i32_e32 v21, 31, v20
	v_lshlrev_b64 v[20:21], 2, v[20:21]
	s_waitcnt lgkmcnt(0)
	v_mov_b32_e32 v19, s17
	v_add_co_u32_e32 v20, vcc, s16, v20
	v_addc_co_u32_e32 v21, vcc, v19, v21, vcc
	global_load_dword v31, v[20:21], off
.LBB624_13:
	s_or_b64 exec, exec, s[10:11]
	v_or_b32_e32 v22, s20, v18
	v_ashrrev_i32_e32 v18, 4, v22
	v_mov_b32_e32 v23, s23
	v_cmp_gt_i32_e32 vcc, s33, v22
	v_cndmask_b32_e32 v18, v23, v18, vcc
	v_ashrrev_i32_e32 v19, 31, v18
	v_lshlrev_b64 v[18:19], 2, v[18:19]
	v_mov_b32_e32 v20, s22
	v_add_co_u32_e32 v18, vcc, s21, v18
	v_addc_co_u32_e32 v19, vcc, v20, v19, vcc
	global_load_dword v26, v[18:19], off
	v_or_b32_e32 v18, 64, v22
	v_ashrrev_i32_e32 v19, 4, v18
	v_cmp_gt_i32_e32 vcc, s33, v18
	v_cndmask_b32_e32 v18, v23, v19, vcc
	v_ashrrev_i32_e32 v19, 31, v18
	v_lshlrev_b64 v[18:19], 2, v[18:19]
	v_add_co_u32_e32 v18, vcc, s21, v18
	v_addc_co_u32_e32 v19, vcc, v20, v19, vcc
	v_or_b32_e32 v20, 0x80, v22
	v_ashrrev_i32_e32 v21, 4, v20
	v_cmp_gt_i32_e32 vcc, s33, v20
	v_cndmask_b32_e32 v20, v23, v21, vcc
	v_ashrrev_i32_e32 v21, 31, v20
	v_lshlrev_b64 v[20:21], 2, v[20:21]
	v_mov_b32_e32 v24, s22
	v_add_co_u32_e32 v20, vcc, s21, v20
	v_addc_co_u32_e32 v21, vcc, v24, v21, vcc
	global_load_dword v28, v[18:19], off
	global_load_dword v30, v[20:21], off
	v_or_b32_e32 v18, 0xc0, v22
	v_ashrrev_i32_e32 v19, 4, v18
	v_cmp_gt_i32_e32 vcc, s33, v18
	v_cndmask_b32_e32 v18, v23, v19, vcc
	v_ashrrev_i32_e32 v19, 31, v18
	v_lshlrev_b64 v[18:19], 2, v[18:19]
	v_mov_b32_e32 v20, s22
	v_add_co_u32_e32 v18, vcc, s21, v18
	v_addc_co_u32_e32 v19, vcc, v20, v19, vcc
	global_load_dword v34, v[18:19], off
	s_add_u32 s10, s6, s14
	v_lshl_or_b32 v29, v27, 4, v43
	s_addc_u32 s6, s7, 0
	v_lshlrev_b32_e32 v18, 4, v29
	v_mov_b32_e32 v19, s6
	v_add_co_u32_e32 v22, vcc, s10, v18
	v_addc_co_u32_e32 v23, vcc, 0, v19, vcc
	v_or_b32_e32 v24, 0x400, v18
	v_mov_b32_e32 v25, s6
	v_add_co_u32_e32 v24, vcc, s10, v24
	v_addc_co_u32_e32 v25, vcc, 0, v25, vcc
	v_mov_b32_e32 v36, 0
	s_movk_i32 s14, 0x7f
	s_mov_b32 s15, 0xffffff
	v_mov_b32_e32 v37, 0x100
	v_bfrev_b32_e32 v38, 60
	s_waitcnt vmcnt(3)
	v_mad_i64_i32 v[18:19], s[6:7], v26, s13, v[22:23]
	global_load_dwordx4 v[18:21], v[18:19], off
	v_mad_i64_i32 v[32:33], s[6:7], v26, s13, v[24:25]
	global_load_dwordx4 v[54:57], v[32:33], off
	s_waitcnt vmcnt(4)
	v_mad_i64_i32 v[32:33], s[6:7], v28, s13, v[22:23]
	global_load_dwordx4 v[58:61], v[32:33], off
	s_waitcnt vmcnt(4)
	;; [unrolled: 3-line block ×3, first 2 shown]
	v_mad_i64_i32 v[22:23], s[6:7], v34, s13, v[22:23]
	global_load_dwordx4 v[66:69], v[22:23], off
	v_mad_i64_i32 v[22:23], s[6:7], v28, s13, v[24:25]
	global_load_dwordx4 v[70:73], v[22:23], off
	v_mad_i64_i32 v[22:23], s[6:7], v30, s13, v[24:25]
	global_load_dwordx4 v[74:77], v[22:23], off
	v_mad_i64_i32 v[22:23], s[6:7], v34, s13, v[24:25]
	global_load_dwordx4 v[78:81], v[22:23], off
	s_load_dword s6, s[4:5], 0x1c
	s_load_dwordx4 s[40:43], s[4:5], 0x80
	v_mov_b32_e32 v22, 0x80
	v_add_u32_e32 v47, 16, v22
	v_add_u32_e32 v46, 32, v22
	;; [unrolled: 1-line block ×3, first 2 shown]
	s_waitcnt lgkmcnt(0)
	s_load_dword s4, s[40:41], 0x0
	v_add_u32_e32 v52, 64, v22
	v_add_u32_e32 v49, 0x50, v22
	;; [unrolled: 1-line block ×4, first 2 shown]
	v_mov_b32_e32 v22, s6
	s_waitcnt lgkmcnt(0)
	v_mul_f32_e32 v22, s4, v22
	v_and_b32_e32 v33, 63, v0
	s_movk_i32 s13, 0x80
	v_mov_b32_e32 v24, v22
	v_mov_b32_e32 v25, v22
	s_waitcnt vmcnt(7)
	buffer_store_dword v21, off, s[0:3], 0 offset:140
	buffer_store_dword v20, off, s[0:3], 0 offset:136
	buffer_store_dword v19, off, s[0:3], 0 offset:132
	buffer_store_dword v18, off, s[0:3], 0 offset:128
	s_waitcnt vmcnt(10)
	buffer_store_dword v57, off, s[0:3], 0 offset:156
	buffer_store_dword v56, off, s[0:3], 0 offset:152
	buffer_store_dword v55, off, s[0:3], 0 offset:148
	buffer_store_dword v54, off, s[0:3], 0 offset:144
	;; [unrolled: 5-line block ×8, first 2 shown]
	s_branch .LBB624_17
.LBB624_14:                             ;   in Loop: Header=BB624_17 Depth=1
	s_or_b64 exec, exec, s[10:11]
.LBB624_15:                             ;   in Loop: Header=BB624_17 Depth=1
	s_or_b64 exec, exec, s[6:7]
.LBB624_16:                             ;   in Loop: Header=BB624_17 Depth=1
	s_or_b64 exec, exec, s[4:5]
	v_cvt_pkrtz_f16_f32 v54, v34, v32
	v_cvt_pkrtz_f16_f32 v55, v23, v42
	v_add_u32_e32 v26, s12, v37
	s_add_i32 s12, s12, 16
	v_mov_b32_e32 v23, v22
	v_mfma_f32_16x16x16f16 v[18:21], v[54:55], v[14:15], v[18:21]
	v_cvt_pkrtz_f16_f32 v54, v40, v44
	v_cvt_pkrtz_f16_f32 v55, v30, v53
	s_cmp_eq_u32 s12, 64
	v_add_u32_e32 v36, 32, v36
	v_mfma_f32_16x16x16f16 v[18:21], v[54:55], v[16:17], v[18:21]
	s_nop 7
	s_nop 2
	v_pk_mul_f32 v[18:19], v[24:25], v[18:19]
	v_pk_mul_f32 v[20:21], v[22:23], v[20:21]
	buffer_store_dword v19, v26, s[0:3], 0 offen offset:4
	buffer_store_dword v18, v26, s[0:3], 0 offen
	buffer_store_dword v21, v26, s[0:3], 0 offen offset:12
	buffer_store_dword v20, v26, s[0:3], 0 offen offset:8
	s_cbranch_scc1 .LBB624_207
.LBB624_17:                             ; =>This Inner Loop Header: Depth=1
	buffer_load_dword v20, v36, s[0:3], 0 offen
	buffer_load_dword v18, v36, s[0:3], 0 offen offset:4
	buffer_load_dword v28, v36, s[0:3], 0 offen offset:8
	;; [unrolled: 1-line block ×3, first 2 shown]
	v_mov_b32_e32 v19, 0
	v_mov_b32_e32 v21, 0
	s_waitcnt vmcnt(3)
	v_cmp_ne_u16_sdwa s[6:7], v20, v35 src0_sel:BYTE_0 src1_sel:DWORD
	s_and_saveexec_b64 s[4:5], s[6:7]
	s_cbranch_execz .LBB624_23
; %bb.18:                               ;   in Loop: Header=BB624_17 Depth=1
	v_cmp_ne_u16_sdwa s[10:11], v20, s13 src0_sel:BYTE_0 src1_sel:DWORD
	v_bfrev_b32_e32 v21, 1
	s_and_saveexec_b64 s[6:7], s[10:11]
	s_cbranch_execz .LBB624_22
; %bb.19:                               ;   in Loop: Header=BB624_17 Depth=1
	v_and_b32_e32 v23, 0x7f, v20
	v_cmp_ne_u32_e32 vcc, s14, v23
	v_mov_b32_e32 v21, 0x7f800001
	s_and_saveexec_b64 s[10:11], vcc
	s_cbranch_execz .LBB624_21
; %bb.20:                               ;   in Loop: Header=BB624_17 Depth=1
	v_and_b32_e32 v21, 7, v20
	v_ffbh_u32_e32 v32, v21
	v_min_u32_e32 v32, 32, v32
	v_subrev_u32_e32 v34, 28, v32
	v_lshlrev_b64 v[54:55], v34, v[20:21]
	v_lshrrev_b32_e32 v30, 3, v23
	v_sub_u32_e32 v32, 29, v32
	v_and_b32_e32 v34, 7, v54
	v_cmp_gt_u32_e32 vcc, 8, v23
	v_cndmask_b32_e32 v23, v30, v32, vcc
	v_cndmask_b32_e32 v21, v21, v34, vcc
	v_lshlrev_b32_e32 v30, 24, v20
	v_lshlrev_b32_e32 v21, 20, v21
	v_and_b32_e32 v30, 0x80000000, v30
	v_lshl_add_u32 v23, v23, 23, v38
	v_or3_b32 v21, v30, v23, v21
.LBB624_21:                             ;   in Loop: Header=BB624_17 Depth=1
	s_or_b64 exec, exec, s[10:11]
.LBB624_22:                             ;   in Loop: Header=BB624_17 Depth=1
	s_or_b64 exec, exec, s[6:7]
.LBB624_23:                             ;   in Loop: Header=BB624_17 Depth=1
	s_or_b64 exec, exec, s[4:5]
	v_lshrrev_b16_e32 v30, 8, v20
	v_cmp_ne_u16_e32 vcc, 0, v30
	s_and_saveexec_b64 s[4:5], vcc
	s_cbranch_execz .LBB624_29
; %bb.24:                               ;   in Loop: Header=BB624_17 Depth=1
	v_cmp_ne_u16_e32 vcc, s13, v30
	v_bfrev_b32_e32 v19, 1
	s_and_saveexec_b64 s[6:7], vcc
	s_cbranch_execz .LBB624_28
; %bb.25:                               ;   in Loop: Header=BB624_17 Depth=1
	v_and_b32_e32 v23, 0x7f, v30
	v_cmp_ne_u32_e32 vcc, s14, v23
	v_mov_b32_e32 v19, 0x7f800001
	s_and_saveexec_b64 s[10:11], vcc
	s_cbranch_execz .LBB624_27
; %bb.26:                               ;   in Loop: Header=BB624_17 Depth=1
	v_and_b32_e32 v19, 7, v30
	v_ffbh_u32_e32 v34, v19
	v_min_u32_e32 v34, 32, v34
	v_subrev_u32_e32 v40, 28, v34
	v_lshlrev_b64 v[54:55], v40, v[30:31]
	v_lshrrev_b32_e32 v32, 3, v23
	v_sub_u32_e32 v30, 29, v34
	v_and_b32_e32 v34, 7, v54
	v_cmp_gt_u32_e32 vcc, 8, v23
	v_cndmask_b32_e32 v23, v32, v30, vcc
	v_cndmask_b32_e32 v19, v19, v34, vcc
	v_lshlrev_b32_e32 v30, 16, v20
	v_lshlrev_b32_e32 v19, 20, v19
	v_and_b32_e32 v30, 0x80000000, v30
	v_lshl_add_u32 v23, v23, 23, v38
	v_or3_b32 v19, v30, v23, v19
.LBB624_27:                             ;   in Loop: Header=BB624_17 Depth=1
	s_or_b64 exec, exec, s[10:11]
.LBB624_28:                             ;   in Loop: Header=BB624_17 Depth=1
	s_or_b64 exec, exec, s[6:7]
.LBB624_29:                             ;   in Loop: Header=BB624_17 Depth=1
	s_or_b64 exec, exec, s[4:5]
	v_lshrrev_b32_e32 v30, 16, v20
	v_cmp_ne_u16_sdwa s[6:7], v30, v35 src0_sel:BYTE_0 src1_sel:DWORD
	v_mov_b32_e32 v32, 0
	v_mov_b32_e32 v23, 0
	s_and_saveexec_b64 s[4:5], s[6:7]
	s_cbranch_execz .LBB624_35
; %bb.30:                               ;   in Loop: Header=BB624_17 Depth=1
	v_cmp_ne_u16_sdwa s[10:11], v30, s13 src0_sel:BYTE_0 src1_sel:DWORD
	v_bfrev_b32_e32 v23, 1
	s_and_saveexec_b64 s[6:7], s[10:11]
	s_cbranch_execz .LBB624_34
; %bb.31:                               ;   in Loop: Header=BB624_17 Depth=1
	v_bfe_u32 v34, v20, 16, 7
	v_cmp_ne_u32_e32 vcc, s14, v34
	v_mov_b32_e32 v23, 0x7f800001
	s_and_saveexec_b64 s[10:11], vcc
	s_cbranch_execz .LBB624_33
; %bb.32:                               ;   in Loop: Header=BB624_17 Depth=1
	v_and_b32_e32 v23, 7, v30
	v_ffbh_u32_e32 v42, v23
	v_min_u32_e32 v42, 32, v42
	v_subrev_u32_e32 v44, 28, v42
	v_lshlrev_b64 v[54:55], v44, v[30:31]
	v_lshrrev_b32_e32 v40, 3, v34
	v_sub_u32_e32 v42, 29, v42
	v_and_b32_e32 v44, 7, v54
	v_cmp_gt_u32_e32 vcc, 8, v34
	v_cndmask_b32_e32 v34, v40, v42, vcc
	v_cndmask_b32_e32 v23, v23, v44, vcc
	v_lshlrev_b32_e32 v30, 24, v30
	v_lshlrev_b32_e32 v23, 20, v23
	v_and_b32_e32 v30, 0x80000000, v30
	v_lshl_add_u32 v34, v34, 23, v38
	v_or3_b32 v23, v30, v34, v23
.LBB624_33:                             ;   in Loop: Header=BB624_17 Depth=1
	s_or_b64 exec, exec, s[10:11]
.LBB624_34:                             ;   in Loop: Header=BB624_17 Depth=1
	s_or_b64 exec, exec, s[6:7]
.LBB624_35:                             ;   in Loop: Header=BB624_17 Depth=1
	s_or_b64 exec, exec, s[4:5]
	v_cmp_lt_u32_e32 vcc, s15, v20
	s_and_saveexec_b64 s[4:5], vcc
	s_cbranch_execz .LBB624_41
; %bb.36:                               ;   in Loop: Header=BB624_17 Depth=1
	v_lshrrev_b32_e32 v30, 24, v20
	v_cmp_ne_u32_e32 vcc, s13, v30
	v_bfrev_b32_e32 v32, 1
	s_and_saveexec_b64 s[6:7], vcc
	s_cbranch_execz .LBB624_40
; %bb.37:                               ;   in Loop: Header=BB624_17 Depth=1
	v_bfe_u32 v20, v20, 24, 7
	v_cmp_ne_u32_e32 vcc, s14, v20
	v_mov_b32_e32 v32, 0x7f800001
	s_and_saveexec_b64 s[10:11], vcc
	s_cbranch_execz .LBB624_39
; %bb.38:                               ;   in Loop: Header=BB624_17 Depth=1
	v_and_b32_e32 v32, 7, v30
	v_ffbh_u32_e32 v40, v32
	v_min_u32_e32 v40, 32, v40
	v_subrev_u32_e32 v42, 28, v40
	v_lshlrev_b64 v[54:55], v42, v[30:31]
	v_lshrrev_b32_e32 v34, 3, v20
	v_sub_u32_e32 v40, 29, v40
	v_and_b32_e32 v42, 7, v54
	v_cmp_gt_u32_e32 vcc, 8, v20
	v_cndmask_b32_e32 v20, v34, v40, vcc
	v_cndmask_b32_e32 v32, v32, v42, vcc
	v_lshlrev_b32_e32 v30, 24, v30
	v_lshlrev_b32_e32 v32, 20, v32
	v_and_b32_e32 v30, 0x80000000, v30
	v_lshl_add_u32 v20, v20, 23, v38
	v_or3_b32 v32, v30, v20, v32
.LBB624_39:                             ;   in Loop: Header=BB624_17 Depth=1
	s_or_b64 exec, exec, s[10:11]
.LBB624_40:                             ;   in Loop: Header=BB624_17 Depth=1
	s_or_b64 exec, exec, s[6:7]
.LBB624_41:                             ;   in Loop: Header=BB624_17 Depth=1
	s_or_b64 exec, exec, s[4:5]
	s_waitcnt vmcnt(2)
	v_cmp_ne_u16_sdwa s[6:7], v18, v35 src0_sel:BYTE_0 src1_sel:DWORD
	v_mov_b32_e32 v30, 0
	v_mov_b32_e32 v34, 0
	s_and_saveexec_b64 s[4:5], s[6:7]
	s_cbranch_execz .LBB624_47
; %bb.42:                               ;   in Loop: Header=BB624_17 Depth=1
	v_cmp_ne_u16_sdwa s[10:11], v18, s13 src0_sel:BYTE_0 src1_sel:DWORD
	v_bfrev_b32_e32 v34, 1
	s_and_saveexec_b64 s[6:7], s[10:11]
	s_cbranch_execz .LBB624_46
; %bb.43:                               ;   in Loop: Header=BB624_17 Depth=1
	v_and_b32_e32 v20, 0x7f, v18
	v_cmp_ne_u32_e32 vcc, s14, v20
	v_mov_b32_e32 v34, 0x7f800001
	s_and_saveexec_b64 s[10:11], vcc
	s_cbranch_execz .LBB624_45
; %bb.44:                               ;   in Loop: Header=BB624_17 Depth=1
	v_and_b32_e32 v34, 7, v18
	v_ffbh_u32_e32 v42, v34
	v_min_u32_e32 v42, 32, v42
	v_subrev_u32_e32 v44, 28, v42
	v_lshlrev_b64 v[54:55], v44, v[18:19]
	v_lshrrev_b32_e32 v40, 3, v20
	v_sub_u32_e32 v42, 29, v42
	v_and_b32_e32 v44, 7, v54
	v_cmp_gt_u32_e32 vcc, 8, v20
	v_cndmask_b32_e32 v20, v40, v42, vcc
	v_cndmask_b32_e32 v34, v34, v44, vcc
	v_lshlrev_b32_e32 v40, 24, v18
	v_lshlrev_b32_e32 v34, 20, v34
	v_and_b32_e32 v40, 0x80000000, v40
	v_lshl_add_u32 v20, v20, 23, v38
	v_or3_b32 v34, v40, v20, v34
.LBB624_45:                             ;   in Loop: Header=BB624_17 Depth=1
	s_or_b64 exec, exec, s[10:11]
.LBB624_46:                             ;   in Loop: Header=BB624_17 Depth=1
	s_or_b64 exec, exec, s[6:7]
.LBB624_47:                             ;   in Loop: Header=BB624_17 Depth=1
	s_or_b64 exec, exec, s[4:5]
	v_lshrrev_b16_e32 v20, 8, v18
	v_cmp_ne_u16_e32 vcc, 0, v20
	s_and_saveexec_b64 s[4:5], vcc
	s_cbranch_execz .LBB624_53
; %bb.48:                               ;   in Loop: Header=BB624_17 Depth=1
	v_cmp_ne_u16_e32 vcc, s13, v20
	v_bfrev_b32_e32 v30, 1
	s_and_saveexec_b64 s[6:7], vcc
	s_cbranch_execz .LBB624_52
; %bb.49:                               ;   in Loop: Header=BB624_17 Depth=1
	v_and_b32_e32 v40, 0x7f, v20
	v_cmp_ne_u32_e32 vcc, s14, v40
	v_mov_b32_e32 v30, 0x7f800001
	s_and_saveexec_b64 s[10:11], vcc
	s_cbranch_execz .LBB624_51
; %bb.50:                               ;   in Loop: Header=BB624_17 Depth=1
	v_and_b32_e32 v30, 7, v20
	v_ffbh_u32_e32 v44, v30
	v_min_u32_e32 v44, 32, v44
	v_subrev_u32_e32 v53, 28, v44
	v_lshlrev_b64 v[54:55], v53, v[20:21]
	v_lshrrev_b32_e32 v42, 3, v40
	v_sub_u32_e32 v20, 29, v44
	v_and_b32_e32 v44, 7, v54
	v_cmp_gt_u32_e32 vcc, 8, v40
	v_cndmask_b32_e32 v20, v42, v20, vcc
	v_cndmask_b32_e32 v30, v30, v44, vcc
	v_lshlrev_b32_e32 v40, 16, v18
	v_lshlrev_b32_e32 v30, 20, v30
	v_and_b32_e32 v40, 0x80000000, v40
	v_lshl_add_u32 v20, v20, 23, v38
	v_or3_b32 v30, v40, v20, v30
.LBB624_51:                             ;   in Loop: Header=BB624_17 Depth=1
	s_or_b64 exec, exec, s[10:11]
.LBB624_52:                             ;   in Loop: Header=BB624_17 Depth=1
	s_or_b64 exec, exec, s[6:7]
.LBB624_53:                             ;   in Loop: Header=BB624_17 Depth=1
	s_or_b64 exec, exec, s[4:5]
	v_lshrrev_b32_e32 v20, 16, v18
	v_cmp_ne_u16_sdwa s[6:7], v20, v35 src0_sel:BYTE_0 src1_sel:DWORD
	v_mov_b32_e32 v42, 0
	v_mov_b32_e32 v40, 0
	s_and_saveexec_b64 s[4:5], s[6:7]
	s_cbranch_execz .LBB624_59
; %bb.54:                               ;   in Loop: Header=BB624_17 Depth=1
	v_cmp_ne_u16_sdwa s[10:11], v20, s13 src0_sel:BYTE_0 src1_sel:DWORD
	v_bfrev_b32_e32 v40, 1
	s_and_saveexec_b64 s[6:7], s[10:11]
	s_cbranch_execz .LBB624_58
; %bb.55:                               ;   in Loop: Header=BB624_17 Depth=1
	v_bfe_u32 v44, v18, 16, 7
	v_cmp_ne_u32_e32 vcc, s14, v44
	v_mov_b32_e32 v40, 0x7f800001
	s_and_saveexec_b64 s[10:11], vcc
	s_cbranch_execz .LBB624_57
; %bb.56:                               ;   in Loop: Header=BB624_17 Depth=1
	v_and_b32_e32 v40, 7, v20
	v_ffbh_u32_e32 v54, v40
	v_min_u32_e32 v56, 32, v54
	v_subrev_u32_e32 v54, 28, v56
	v_lshlrev_b64 v[54:55], v54, v[20:21]
	v_lshrrev_b32_e32 v53, 3, v44
	v_sub_u32_e32 v55, 29, v56
	v_and_b32_e32 v54, 7, v54
	v_cmp_gt_u32_e32 vcc, 8, v44
	v_cndmask_b32_e32 v44, v53, v55, vcc
	v_cndmask_b32_e32 v40, v40, v54, vcc
	v_lshlrev_b32_e32 v20, 24, v20
	v_lshlrev_b32_e32 v40, 20, v40
	v_and_b32_e32 v20, 0x80000000, v20
	v_lshl_add_u32 v44, v44, 23, v38
	v_or3_b32 v40, v20, v44, v40
.LBB624_57:                             ;   in Loop: Header=BB624_17 Depth=1
	s_or_b64 exec, exec, s[10:11]
.LBB624_58:                             ;   in Loop: Header=BB624_17 Depth=1
	s_or_b64 exec, exec, s[6:7]
.LBB624_59:                             ;   in Loop: Header=BB624_17 Depth=1
	s_or_b64 exec, exec, s[4:5]
	v_cmp_lt_u32_e32 vcc, s15, v18
	s_and_saveexec_b64 s[4:5], vcc
	s_cbranch_execz .LBB624_65
; %bb.60:                               ;   in Loop: Header=BB624_17 Depth=1
	v_lshrrev_b32_e32 v20, 24, v18
	v_cmp_ne_u32_e32 vcc, s13, v20
	v_bfrev_b32_e32 v42, 1
	s_and_saveexec_b64 s[6:7], vcc
	s_cbranch_execz .LBB624_64
; %bb.61:                               ;   in Loop: Header=BB624_17 Depth=1
	v_bfe_u32 v18, v18, 24, 7
	v_cmp_ne_u32_e32 vcc, s14, v18
	v_mov_b32_e32 v42, 0x7f800001
	s_and_saveexec_b64 s[10:11], vcc
	s_cbranch_execz .LBB624_63
; %bb.62:                               ;   in Loop: Header=BB624_17 Depth=1
	v_and_b32_e32 v42, 7, v20
	v_ffbh_u32_e32 v53, v42
	v_min_u32_e32 v53, 32, v53
	v_subrev_u32_e32 v54, 28, v53
	v_lshlrev_b64 v[54:55], v54, v[20:21]
	v_lshrrev_b32_e32 v44, 3, v18
	v_sub_u32_e32 v53, 29, v53
	v_and_b32_e32 v54, 7, v54
	v_cmp_gt_u32_e32 vcc, 8, v18
	v_cndmask_b32_e32 v18, v44, v53, vcc
	v_cndmask_b32_e32 v42, v42, v54, vcc
	v_lshlrev_b32_e32 v20, 24, v20
	v_lshlrev_b32_e32 v42, 20, v42
	v_and_b32_e32 v20, 0x80000000, v20
	v_lshl_add_u32 v18, v18, 23, v38
	v_or3_b32 v42, v20, v18, v42
.LBB624_63:                             ;   in Loop: Header=BB624_17 Depth=1
	s_or_b64 exec, exec, s[10:11]
.LBB624_64:                             ;   in Loop: Header=BB624_17 Depth=1
	s_or_b64 exec, exec, s[6:7]
.LBB624_65:                             ;   in Loop: Header=BB624_17 Depth=1
	s_or_b64 exec, exec, s[4:5]
	v_cvt_pkrtz_f16_f32 v18, v21, v19
	v_cvt_pkrtz_f16_f32 v19, v23, v32
	;; [unrolled: 1-line block ×4, first 2 shown]
	v_mov_b32_e32 v32, 0
	v_mfma_f32_16x16x16f16 v[18:21], v[18:19], v[2:3], 0
	s_waitcnt vmcnt(1)
	v_cmp_ne_u16_sdwa s[6:7], v28, v35 src0_sel:BYTE_0 src1_sel:DWORD
	v_mov_b32_e32 v34, 0
	v_mfma_f32_16x16x16f16 v[18:21], v[54:55], v[4:5], v[18:21]
	s_and_saveexec_b64 s[4:5], s[6:7]
	s_cbranch_execz .LBB624_71
; %bb.66:                               ;   in Loop: Header=BB624_17 Depth=1
	v_cmp_ne_u16_sdwa s[10:11], v28, s13 src0_sel:BYTE_0 src1_sel:DWORD
	v_bfrev_b32_e32 v34, 1
	s_and_saveexec_b64 s[6:7], s[10:11]
	s_cbranch_execz .LBB624_70
; %bb.67:                               ;   in Loop: Header=BB624_17 Depth=1
	v_and_b32_e32 v23, 0x7f, v28
	v_cmp_ne_u32_e32 vcc, s14, v23
	v_mov_b32_e32 v34, 0x7f800001
	s_and_saveexec_b64 s[10:11], vcc
	s_cbranch_execz .LBB624_69
; %bb.68:                               ;   in Loop: Header=BB624_17 Depth=1
	v_and_b32_e32 v30, 7, v28
	v_ffbh_u32_e32 v40, v30
	v_min_u32_e32 v40, 32, v40
	v_subrev_u32_e32 v42, 28, v40
	v_lshlrev_b64 v[54:55], v42, v[28:29]
	v_lshrrev_b32_e32 v34, 3, v23
	v_sub_u32_e32 v40, 29, v40
	v_and_b32_e32 v42, 7, v54
	v_cmp_gt_u32_e32 vcc, 8, v23
	v_cndmask_b32_e32 v23, v34, v40, vcc
	v_cndmask_b32_e32 v30, v30, v42, vcc
	v_lshlrev_b32_e32 v34, 24, v28
	v_lshlrev_b32_e32 v30, 20, v30
	v_and_b32_e32 v34, 0x80000000, v34
	v_lshl_add_u32 v23, v23, 23, v38
	v_or3_b32 v34, v34, v23, v30
.LBB624_69:                             ;   in Loop: Header=BB624_17 Depth=1
	s_or_b64 exec, exec, s[10:11]
.LBB624_70:                             ;   in Loop: Header=BB624_17 Depth=1
	s_or_b64 exec, exec, s[6:7]
.LBB624_71:                             ;   in Loop: Header=BB624_17 Depth=1
	s_or_b64 exec, exec, s[4:5]
	v_lshrrev_b16_e32 v30, 8, v28
	v_cmp_ne_u16_e32 vcc, 0, v30
	v_mov_b32_e32 v40, 0
	s_and_saveexec_b64 s[4:5], vcc
	s_cbranch_execz .LBB624_77
; %bb.72:                               ;   in Loop: Header=BB624_17 Depth=1
	v_cmp_ne_u16_e32 vcc, s13, v30
	v_bfrev_b32_e32 v40, 1
	s_and_saveexec_b64 s[6:7], vcc
	s_cbranch_execz .LBB624_76
; %bb.73:                               ;   in Loop: Header=BB624_17 Depth=1
	v_and_b32_e32 v23, 0x7f, v30
	v_cmp_ne_u32_e32 vcc, s14, v23
	v_mov_b32_e32 v40, 0x7f800001
	s_and_saveexec_b64 s[10:11], vcc
	s_cbranch_execz .LBB624_75
; %bb.74:                               ;   in Loop: Header=BB624_17 Depth=1
	v_and_b32_e32 v40, 7, v30
	v_ffbh_u32_e32 v44, v40
	v_min_u32_e32 v44, 32, v44
	v_subrev_u32_e32 v53, 28, v44
	v_lshlrev_b64 v[54:55], v53, v[30:31]
	v_lshrrev_b32_e32 v42, 3, v23
	v_sub_u32_e32 v30, 29, v44
	v_and_b32_e32 v44, 7, v54
	v_cmp_gt_u32_e32 vcc, 8, v23
	v_cndmask_b32_e32 v23, v42, v30, vcc
	v_cndmask_b32_e32 v30, v40, v44, vcc
	v_lshlrev_b32_e32 v40, 16, v28
	v_lshlrev_b32_e32 v30, 20, v30
	v_and_b32_e32 v40, 0x80000000, v40
	v_lshl_add_u32 v23, v23, 23, v38
	v_or3_b32 v40, v40, v23, v30
.LBB624_75:                             ;   in Loop: Header=BB624_17 Depth=1
	s_or_b64 exec, exec, s[10:11]
.LBB624_76:                             ;   in Loop: Header=BB624_17 Depth=1
	s_or_b64 exec, exec, s[6:7]
.LBB624_77:                             ;   in Loop: Header=BB624_17 Depth=1
	s_or_b64 exec, exec, s[4:5]
	v_lshrrev_b32_e32 v30, 16, v28
	v_cmp_ne_u16_sdwa s[6:7], v30, v35 src0_sel:BYTE_0 src1_sel:DWORD
	s_and_saveexec_b64 s[4:5], s[6:7]
	s_cbranch_execz .LBB624_83
; %bb.78:                               ;   in Loop: Header=BB624_17 Depth=1
	v_cmp_ne_u16_sdwa s[10:11], v30, s13 src0_sel:BYTE_0 src1_sel:DWORD
	v_bfrev_b32_e32 v32, 1
	s_and_saveexec_b64 s[6:7], s[10:11]
	s_cbranch_execz .LBB624_82
; %bb.79:                               ;   in Loop: Header=BB624_17 Depth=1
	v_bfe_u32 v23, v28, 16, 7
	v_cmp_ne_u32_e32 vcc, s14, v23
	v_mov_b32_e32 v32, 0x7f800001
	s_and_saveexec_b64 s[10:11], vcc
	s_cbranch_execz .LBB624_81
; %bb.80:                               ;   in Loop: Header=BB624_17 Depth=1
	v_and_b32_e32 v32, 7, v30
	v_ffbh_u32_e32 v44, v32
	v_min_u32_e32 v44, 32, v44
	v_subrev_u32_e32 v53, 28, v44
	v_lshlrev_b64 v[54:55], v53, v[30:31]
	v_lshrrev_b32_e32 v42, 3, v23
	v_sub_u32_e32 v44, 29, v44
	v_and_b32_e32 v53, 7, v54
	v_cmp_gt_u32_e32 vcc, 8, v23
	v_cndmask_b32_e32 v23, v42, v44, vcc
	v_cndmask_b32_e32 v32, v32, v53, vcc
	v_lshlrev_b32_e32 v30, 24, v30
	v_lshlrev_b32_e32 v32, 20, v32
	v_and_b32_e32 v30, 0x80000000, v30
	v_lshl_add_u32 v23, v23, 23, v38
	v_or3_b32 v32, v30, v23, v32
.LBB624_81:                             ;   in Loop: Header=BB624_17 Depth=1
	s_or_b64 exec, exec, s[10:11]
.LBB624_82:                             ;   in Loop: Header=BB624_17 Depth=1
	s_or_b64 exec, exec, s[6:7]
.LBB624_83:                             ;   in Loop: Header=BB624_17 Depth=1
	s_or_b64 exec, exec, s[4:5]
	v_cmp_lt_u32_e32 vcc, s15, v28
	v_mov_b32_e32 v42, 0
	v_mov_b32_e32 v44, 0
	s_and_saveexec_b64 s[4:5], vcc
	s_cbranch_execz .LBB624_89
; %bb.84:                               ;   in Loop: Header=BB624_17 Depth=1
	v_lshrrev_b32_e32 v30, 24, v28
	v_cmp_ne_u32_e32 vcc, s13, v30
	v_bfrev_b32_e32 v44, 1
	s_and_saveexec_b64 s[6:7], vcc
	s_cbranch_execz .LBB624_88
; %bb.85:                               ;   in Loop: Header=BB624_17 Depth=1
	v_bfe_u32 v23, v28, 24, 7
	v_cmp_ne_u32_e32 vcc, s14, v23
	v_mov_b32_e32 v44, 0x7f800001
	s_and_saveexec_b64 s[10:11], vcc
	s_cbranch_execz .LBB624_87
; %bb.86:                               ;   in Loop: Header=BB624_17 Depth=1
	v_and_b32_e32 v28, 7, v30
	v_ffbh_u32_e32 v53, v28
	v_min_u32_e32 v53, 32, v53
	v_subrev_u32_e32 v54, 28, v53
	v_lshlrev_b64 v[54:55], v54, v[30:31]
	v_lshrrev_b32_e32 v44, 3, v23
	v_sub_u32_e32 v53, 29, v53
	v_and_b32_e32 v54, 7, v54
	v_cmp_gt_u32_e32 vcc, 8, v23
	v_cndmask_b32_e32 v23, v44, v53, vcc
	v_cndmask_b32_e32 v28, v28, v54, vcc
	v_lshlrev_b32_e32 v30, 24, v30
	v_lshlrev_b32_e32 v28, 20, v28
	v_and_b32_e32 v30, 0x80000000, v30
	v_lshl_add_u32 v23, v23, 23, v38
	v_or3_b32 v44, v30, v23, v28
.LBB624_87:                             ;   in Loop: Header=BB624_17 Depth=1
	s_or_b64 exec, exec, s[10:11]
.LBB624_88:                             ;   in Loop: Header=BB624_17 Depth=1
	s_or_b64 exec, exec, s[6:7]
.LBB624_89:                             ;   in Loop: Header=BB624_17 Depth=1
	s_or_b64 exec, exec, s[4:5]
	s_waitcnt vmcnt(0)
	v_cmp_ne_u16_sdwa s[6:7], v26, v35 src0_sel:BYTE_0 src1_sel:DWORD
	s_and_saveexec_b64 s[4:5], s[6:7]
	s_cbranch_execz .LBB624_95
; %bb.90:                               ;   in Loop: Header=BB624_17 Depth=1
	v_cmp_ne_u16_sdwa s[10:11], v26, s13 src0_sel:BYTE_0 src1_sel:DWORD
	v_bfrev_b32_e32 v42, 1
	s_and_saveexec_b64 s[6:7], s[10:11]
	s_cbranch_execz .LBB624_94
; %bb.91:                               ;   in Loop: Header=BB624_17 Depth=1
	v_and_b32_e32 v23, 0x7f, v26
	v_cmp_ne_u32_e32 vcc, s14, v23
	v_mov_b32_e32 v42, 0x7f800001
	s_and_saveexec_b64 s[10:11], vcc
	s_cbranch_execz .LBB624_93
; %bb.92:                               ;   in Loop: Header=BB624_17 Depth=1
	v_and_b32_e32 v28, 7, v26
	v_ffbh_u32_e32 v42, v28
	v_min_u32_e32 v42, 32, v42
	v_subrev_u32_e32 v53, 28, v42
	v_lshlrev_b64 v[54:55], v53, v[26:27]
	v_lshrrev_b32_e32 v30, 3, v23
	v_sub_u32_e32 v42, 29, v42
	v_and_b32_e32 v53, 7, v54
	v_cmp_gt_u32_e32 vcc, 8, v23
	v_cndmask_b32_e32 v23, v30, v42, vcc
	v_cndmask_b32_e32 v28, v28, v53, vcc
	v_lshlrev_b32_e32 v30, 24, v26
	v_lshlrev_b32_e32 v28, 20, v28
	v_and_b32_e32 v30, 0x80000000, v30
	v_lshl_add_u32 v23, v23, 23, v38
	v_or3_b32 v42, v30, v23, v28
.LBB624_93:                             ;   in Loop: Header=BB624_17 Depth=1
	s_or_b64 exec, exec, s[10:11]
.LBB624_94:                             ;   in Loop: Header=BB624_17 Depth=1
	s_or_b64 exec, exec, s[6:7]
.LBB624_95:                             ;   in Loop: Header=BB624_17 Depth=1
	s_or_b64 exec, exec, s[4:5]
	v_lshrrev_b16_e32 v28, 8, v26
	v_cmp_ne_u16_e32 vcc, 0, v28
	v_mov_b32_e32 v53, 0
	v_mov_b32_e32 v54, 0
	s_and_saveexec_b64 s[4:5], vcc
	s_cbranch_execz .LBB624_101
; %bb.96:                               ;   in Loop: Header=BB624_17 Depth=1
	v_cmp_ne_u16_e32 vcc, s13, v28
	v_bfrev_b32_e32 v54, 1
	s_and_saveexec_b64 s[6:7], vcc
	s_cbranch_execz .LBB624_100
; %bb.97:                               ;   in Loop: Header=BB624_17 Depth=1
	v_and_b32_e32 v23, 0x7f, v28
	v_cmp_ne_u32_e32 vcc, s14, v23
	v_mov_b32_e32 v54, 0x7f800001
	s_and_saveexec_b64 s[10:11], vcc
	s_cbranch_execz .LBB624_99
; %bb.98:                               ;   in Loop: Header=BB624_17 Depth=1
	v_and_b32_e32 v30, 7, v28
	v_ffbh_u32_e32 v54, v30
	v_min_u32_e32 v57, 32, v54
	v_subrev_u32_e32 v54, 28, v57
	v_lshlrev_b64 v[54:55], v54, v[28:29]
	v_lshrrev_b32_e32 v56, 3, v23
	v_sub_u32_e32 v28, 29, v57
	v_and_b32_e32 v54, 7, v54
	v_cmp_gt_u32_e32 vcc, 8, v23
	v_cndmask_b32_e32 v23, v56, v28, vcc
	v_cndmask_b32_e32 v28, v30, v54, vcc
	v_lshlrev_b32_e32 v30, 16, v26
	v_lshlrev_b32_e32 v28, 20, v28
	v_and_b32_e32 v30, 0x80000000, v30
	v_lshl_add_u32 v23, v23, 23, v38
	v_or3_b32 v54, v30, v23, v28
.LBB624_99:                             ;   in Loop: Header=BB624_17 Depth=1
	s_or_b64 exec, exec, s[10:11]
.LBB624_100:                            ;   in Loop: Header=BB624_17 Depth=1
	s_or_b64 exec, exec, s[6:7]
.LBB624_101:                            ;   in Loop: Header=BB624_17 Depth=1
	s_or_b64 exec, exec, s[4:5]
	v_lshrrev_b32_e32 v28, 16, v26
	v_cmp_ne_u16_sdwa s[6:7], v28, v35 src0_sel:BYTE_0 src1_sel:DWORD
	s_and_saveexec_b64 s[4:5], s[6:7]
	s_cbranch_execz .LBB624_107
; %bb.102:                              ;   in Loop: Header=BB624_17 Depth=1
	v_cmp_ne_u16_sdwa s[10:11], v28, s13 src0_sel:BYTE_0 src1_sel:DWORD
	v_bfrev_b32_e32 v53, 1
	s_and_saveexec_b64 s[6:7], s[10:11]
	s_cbranch_execz .LBB624_106
; %bb.103:                              ;   in Loop: Header=BB624_17 Depth=1
	v_bfe_u32 v23, v26, 16, 7
	v_cmp_ne_u32_e32 vcc, s14, v23
	v_mov_b32_e32 v53, 0x7f800001
	s_and_saveexec_b64 s[10:11], vcc
	s_cbranch_execz .LBB624_105
; %bb.104:                              ;   in Loop: Header=BB624_17 Depth=1
	v_and_b32_e32 v30, 7, v28
	v_ffbh_u32_e32 v55, v30
	v_min_u32_e32 v55, 32, v55
	v_subrev_u32_e32 v56, 28, v55
	v_lshlrev_b64 v[56:57], v56, v[28:29]
	v_lshrrev_b32_e32 v53, 3, v23
	v_sub_u32_e32 v55, 29, v55
	v_and_b32_e32 v56, 7, v56
	v_cmp_gt_u32_e32 vcc, 8, v23
	v_cndmask_b32_e32 v23, v53, v55, vcc
	v_cndmask_b32_e32 v30, v30, v56, vcc
	v_lshlrev_b32_e32 v28, 24, v28
	v_lshlrev_b32_e32 v30, 20, v30
	v_and_b32_e32 v28, 0x80000000, v28
	v_lshl_add_u32 v23, v23, 23, v38
	v_or3_b32 v53, v28, v23, v30
.LBB624_105:                            ;   in Loop: Header=BB624_17 Depth=1
	s_or_b64 exec, exec, s[10:11]
.LBB624_106:                            ;   in Loop: Header=BB624_17 Depth=1
	s_or_b64 exec, exec, s[6:7]
.LBB624_107:                            ;   in Loop: Header=BB624_17 Depth=1
	s_or_b64 exec, exec, s[4:5]
	v_cmp_lt_u32_e32 vcc, s15, v26
	v_mov_b32_e32 v23, 0
	v_mov_b32_e32 v55, 0
	s_and_saveexec_b64 s[4:5], vcc
	s_cbranch_execz .LBB624_113
; %bb.108:                              ;   in Loop: Header=BB624_17 Depth=1
	v_lshrrev_b32_e32 v28, 24, v26
	v_cmp_ne_u32_e32 vcc, s13, v28
	v_bfrev_b32_e32 v55, 1
	s_and_saveexec_b64 s[6:7], vcc
	s_cbranch_execz .LBB624_112
; %bb.109:                              ;   in Loop: Header=BB624_17 Depth=1
	v_bfe_u32 v26, v26, 24, 7
	v_cmp_ne_u32_e32 vcc, s14, v26
	v_mov_b32_e32 v55, 0x7f800001
	s_and_saveexec_b64 s[10:11], vcc
	s_cbranch_execz .LBB624_111
; %bb.110:                              ;   in Loop: Header=BB624_17 Depth=1
	v_and_b32_e32 v30, 7, v28
	v_ffbh_u32_e32 v56, v30
	v_min_u32_e32 v58, 32, v56
	v_subrev_u32_e32 v56, 28, v58
	v_lshlrev_b64 v[56:57], v56, v[28:29]
	v_lshrrev_b32_e32 v55, 3, v26
	v_sub_u32_e32 v57, 29, v58
	v_and_b32_e32 v56, 7, v56
	v_cmp_gt_u32_e32 vcc, 8, v26
	v_cndmask_b32_e32 v26, v55, v57, vcc
	v_cndmask_b32_e32 v30, v30, v56, vcc
	v_lshlrev_b32_e32 v28, 24, v28
	v_lshlrev_b32_e32 v30, 20, v30
	v_and_b32_e32 v28, 0x80000000, v28
	v_lshl_add_u32 v26, v26, 23, v38
	v_or3_b32 v55, v28, v26, v30
.LBB624_111:                            ;   in Loop: Header=BB624_17 Depth=1
	s_or_b64 exec, exec, s[10:11]
.LBB624_112:                            ;   in Loop: Header=BB624_17 Depth=1
	s_or_b64 exec, exec, s[6:7]
.LBB624_113:                            ;   in Loop: Header=BB624_17 Depth=1
	s_or_b64 exec, exec, s[4:5]
	v_cvt_pkrtz_f16_f32 v57, v32, v44
	buffer_load_dword v32, v36, s[0:3], 0 offen offset:16
	buffer_load_dword v30, v36, s[0:3], 0 offen offset:20
	;; [unrolled: 1-line block ×4, first 2 shown]
	v_cvt_pkrtz_f16_f32 v56, v34, v40
	v_cvt_pkrtz_f16_f32 v54, v42, v54
	;; [unrolled: 1-line block ×3, first 2 shown]
	v_mfma_f32_16x16x16f16 v[18:21], v[56:57], v[6:7], v[18:21]
	s_waitcnt vmcnt(3)
	v_cmp_ne_u16_sdwa s[6:7], v32, v35 src0_sel:BYTE_0 src1_sel:DWORD
	v_mfma_f32_16x16x16f16 v[18:21], v[54:55], v[8:9], v[18:21]
	s_and_saveexec_b64 s[4:5], s[6:7]
	s_cbranch_execz .LBB624_119
; %bb.114:                              ;   in Loop: Header=BB624_17 Depth=1
	v_cmp_ne_u16_sdwa s[10:11], v32, s13 src0_sel:BYTE_0 src1_sel:DWORD
	v_bfrev_b32_e32 v23, 1
	s_and_saveexec_b64 s[6:7], s[10:11]
	s_cbranch_execz .LBB624_118
; %bb.115:                              ;   in Loop: Header=BB624_17 Depth=1
	v_and_b32_e32 v34, 0x7f, v32
	v_cmp_ne_u32_e32 vcc, s14, v34
	v_mov_b32_e32 v23, 0x7f800001
	s_and_saveexec_b64 s[10:11], vcc
	s_cbranch_execz .LBB624_117
; %bb.116:                              ;   in Loop: Header=BB624_17 Depth=1
	v_and_b32_e32 v23, 7, v32
	v_ffbh_u32_e32 v42, v23
	v_min_u32_e32 v42, 32, v42
	v_subrev_u32_e32 v44, 28, v42
	v_lshlrev_b64 v[54:55], v44, v[32:33]
	v_lshrrev_b32_e32 v40, 3, v34
	v_sub_u32_e32 v42, 29, v42
	v_and_b32_e32 v44, 7, v54
	v_cmp_gt_u32_e32 vcc, 8, v34
	v_cndmask_b32_e32 v34, v40, v42, vcc
	v_cndmask_b32_e32 v23, v23, v44, vcc
	v_lshlrev_b32_e32 v40, 24, v32
	v_lshlrev_b32_e32 v23, 20, v23
	v_and_b32_e32 v40, 0x80000000, v40
	v_lshl_add_u32 v34, v34, 23, v38
	v_or3_b32 v23, v40, v34, v23
.LBB624_117:                            ;   in Loop: Header=BB624_17 Depth=1
	s_or_b64 exec, exec, s[10:11]
.LBB624_118:                            ;   in Loop: Header=BB624_17 Depth=1
	s_or_b64 exec, exec, s[6:7]
.LBB624_119:                            ;   in Loop: Header=BB624_17 Depth=1
	s_or_b64 exec, exec, s[4:5]
	v_lshrrev_b16_e32 v34, 8, v32
	v_cmp_ne_u16_e32 vcc, 0, v34
	v_mov_b32_e32 v40, 0
	v_mov_b32_e32 v42, 0
	s_and_saveexec_b64 s[4:5], vcc
	s_cbranch_execz .LBB624_125
; %bb.120:                              ;   in Loop: Header=BB624_17 Depth=1
	v_cmp_ne_u16_e32 vcc, s13, v34
	v_bfrev_b32_e32 v42, 1
	s_and_saveexec_b64 s[6:7], vcc
	s_cbranch_execz .LBB624_124
; %bb.121:                              ;   in Loop: Header=BB624_17 Depth=1
	v_and_b32_e32 v44, 0x7f, v34
	v_cmp_ne_u32_e32 vcc, s14, v44
	v_mov_b32_e32 v42, 0x7f800001
	s_and_saveexec_b64 s[10:11], vcc
	s_cbranch_execz .LBB624_123
; %bb.122:                              ;   in Loop: Header=BB624_17 Depth=1
	v_and_b32_e32 v42, 7, v34
	v_ffbh_u32_e32 v54, v42
	v_min_u32_e32 v56, 32, v54
	v_subrev_u32_e32 v54, 28, v56
	v_lshlrev_b64 v[54:55], v54, v[34:35]
	v_lshrrev_b32_e32 v53, 3, v44
	v_sub_u32_e32 v34, 29, v56
	v_and_b32_e32 v54, 7, v54
	v_cmp_gt_u32_e32 vcc, 8, v44
	v_cndmask_b32_e32 v34, v53, v34, vcc
	v_cndmask_b32_e32 v42, v42, v54, vcc
	v_lshlrev_b32_e32 v44, 16, v32
	v_lshlrev_b32_e32 v42, 20, v42
	v_and_b32_e32 v44, 0x80000000, v44
	v_lshl_add_u32 v34, v34, 23, v38
	v_or3_b32 v42, v44, v34, v42
.LBB624_123:                            ;   in Loop: Header=BB624_17 Depth=1
	s_or_b64 exec, exec, s[10:11]
.LBB624_124:                            ;   in Loop: Header=BB624_17 Depth=1
	s_or_b64 exec, exec, s[6:7]
.LBB624_125:                            ;   in Loop: Header=BB624_17 Depth=1
	s_or_b64 exec, exec, s[4:5]
	v_lshrrev_b32_e32 v34, 16, v32
	v_cmp_ne_u16_sdwa s[6:7], v34, v35 src0_sel:BYTE_0 src1_sel:DWORD
	s_and_saveexec_b64 s[4:5], s[6:7]
	s_cbranch_execz .LBB624_131
; %bb.126:                              ;   in Loop: Header=BB624_17 Depth=1
	v_cmp_ne_u16_sdwa s[10:11], v34, s13 src0_sel:BYTE_0 src1_sel:DWORD
	v_bfrev_b32_e32 v40, 1
	s_and_saveexec_b64 s[6:7], s[10:11]
	s_cbranch_execz .LBB624_130
; %bb.127:                              ;   in Loop: Header=BB624_17 Depth=1
	v_bfe_u32 v44, v32, 16, 7
	v_cmp_ne_u32_e32 vcc, s14, v44
	v_mov_b32_e32 v40, 0x7f800001
	s_and_saveexec_b64 s[10:11], vcc
	s_cbranch_execz .LBB624_129
; %bb.128:                              ;   in Loop: Header=BB624_17 Depth=1
	v_and_b32_e32 v40, 7, v34
	v_ffbh_u32_e32 v54, v40
	v_min_u32_e32 v56, 32, v54
	v_subrev_u32_e32 v54, 28, v56
	v_lshlrev_b64 v[54:55], v54, v[34:35]
	v_lshrrev_b32_e32 v53, 3, v44
	v_sub_u32_e32 v55, 29, v56
	v_and_b32_e32 v54, 7, v54
	v_cmp_gt_u32_e32 vcc, 8, v44
	v_cndmask_b32_e32 v44, v53, v55, vcc
	v_cndmask_b32_e32 v40, v40, v54, vcc
	v_lshlrev_b32_e32 v34, 24, v34
	v_lshlrev_b32_e32 v40, 20, v40
	v_and_b32_e32 v34, 0x80000000, v34
	v_lshl_add_u32 v44, v44, 23, v38
	v_or3_b32 v40, v34, v44, v40
.LBB624_129:                            ;   in Loop: Header=BB624_17 Depth=1
	s_or_b64 exec, exec, s[10:11]
.LBB624_130:                            ;   in Loop: Header=BB624_17 Depth=1
	s_or_b64 exec, exec, s[6:7]
.LBB624_131:                            ;   in Loop: Header=BB624_17 Depth=1
	s_or_b64 exec, exec, s[4:5]
	v_cmp_lt_u32_e32 vcc, s15, v32
	v_mov_b32_e32 v44, 0
	v_mov_b32_e32 v53, 0
	s_and_saveexec_b64 s[4:5], vcc
	s_cbranch_execz .LBB624_137
; %bb.132:                              ;   in Loop: Header=BB624_17 Depth=1
	v_lshrrev_b32_e32 v34, 24, v32
	v_cmp_ne_u32_e32 vcc, s13, v34
	v_bfrev_b32_e32 v53, 1
	s_and_saveexec_b64 s[6:7], vcc
	s_cbranch_execz .LBB624_136
; %bb.133:                              ;   in Loop: Header=BB624_17 Depth=1
	v_bfe_u32 v32, v32, 24, 7
	v_cmp_ne_u32_e32 vcc, s14, v32
	v_mov_b32_e32 v53, 0x7f800001
	s_and_saveexec_b64 s[10:11], vcc
	s_cbranch_execz .LBB624_135
; %bb.134:                              ;   in Loop: Header=BB624_17 Depth=1
	v_and_b32_e32 v53, 7, v34
	v_ffbh_u32_e32 v54, v53
	v_min_u32_e32 v57, 32, v54
	v_subrev_u32_e32 v54, 28, v57
	v_lshlrev_b64 v[54:55], v54, v[34:35]
	v_lshrrev_b32_e32 v56, 3, v32
	v_sub_u32_e32 v55, 29, v57
	v_and_b32_e32 v54, 7, v54
	v_cmp_gt_u32_e32 vcc, 8, v32
	v_cndmask_b32_e32 v32, v56, v55, vcc
	v_cndmask_b32_e32 v53, v53, v54, vcc
	v_lshlrev_b32_e32 v34, 24, v34
	v_lshlrev_b32_e32 v53, 20, v53
	v_and_b32_e32 v34, 0x80000000, v34
	v_lshl_add_u32 v32, v32, 23, v38
	v_or3_b32 v53, v34, v32, v53
.LBB624_135:                            ;   in Loop: Header=BB624_17 Depth=1
	s_or_b64 exec, exec, s[10:11]
.LBB624_136:                            ;   in Loop: Header=BB624_17 Depth=1
	s_or_b64 exec, exec, s[6:7]
.LBB624_137:                            ;   in Loop: Header=BB624_17 Depth=1
	s_or_b64 exec, exec, s[4:5]
	s_waitcnt vmcnt(2)
	v_cmp_ne_u16_sdwa s[6:7], v30, v35 src0_sel:BYTE_0 src1_sel:DWORD
	s_and_saveexec_b64 s[4:5], s[6:7]
	s_cbranch_execz .LBB624_143
; %bb.138:                              ;   in Loop: Header=BB624_17 Depth=1
	v_cmp_ne_u16_sdwa s[10:11], v30, s13 src0_sel:BYTE_0 src1_sel:DWORD
	v_bfrev_b32_e32 v44, 1
	s_and_saveexec_b64 s[6:7], s[10:11]
	s_cbranch_execz .LBB624_142
; %bb.139:                              ;   in Loop: Header=BB624_17 Depth=1
	v_and_b32_e32 v32, 0x7f, v30
	v_cmp_ne_u32_e32 vcc, s14, v32
	v_mov_b32_e32 v44, 0x7f800001
	s_and_saveexec_b64 s[10:11], vcc
	s_cbranch_execz .LBB624_141
; %bb.140:                              ;   in Loop: Header=BB624_17 Depth=1
	v_and_b32_e32 v34, 7, v30
	v_ffbh_u32_e32 v54, v34
	v_min_u32_e32 v56, 32, v54
	v_subrev_u32_e32 v54, 28, v56
	v_lshlrev_b64 v[54:55], v54, v[30:31]
	v_lshrrev_b32_e32 v44, 3, v32
	v_sub_u32_e32 v55, 29, v56
	v_and_b32_e32 v54, 7, v54
	v_cmp_gt_u32_e32 vcc, 8, v32
	v_cndmask_b32_e32 v32, v44, v55, vcc
	v_cndmask_b32_e32 v34, v34, v54, vcc
	v_lshlrev_b32_e32 v44, 24, v30
	v_lshlrev_b32_e32 v34, 20, v34
	v_and_b32_e32 v44, 0x80000000, v44
	v_lshl_add_u32 v32, v32, 23, v38
	v_or3_b32 v44, v44, v32, v34
.LBB624_141:                            ;   in Loop: Header=BB624_17 Depth=1
	s_or_b64 exec, exec, s[10:11]
.LBB624_142:                            ;   in Loop: Header=BB624_17 Depth=1
	s_or_b64 exec, exec, s[6:7]
.LBB624_143:                            ;   in Loop: Header=BB624_17 Depth=1
	s_or_b64 exec, exec, s[4:5]
	v_lshrrev_b16_e32 v32, 8, v30
	v_cmp_ne_u16_e32 vcc, 0, v32
	v_mov_b32_e32 v54, 0
	v_mov_b32_e32 v55, 0
	s_and_saveexec_b64 s[4:5], vcc
	s_cbranch_execz .LBB624_149
; %bb.144:                              ;   in Loop: Header=BB624_17 Depth=1
	v_cmp_ne_u16_e32 vcc, s13, v32
	v_bfrev_b32_e32 v55, 1
	s_and_saveexec_b64 s[6:7], vcc
	s_cbranch_execz .LBB624_148
; %bb.145:                              ;   in Loop: Header=BB624_17 Depth=1
	v_and_b32_e32 v34, 0x7f, v32
	v_cmp_ne_u32_e32 vcc, s14, v34
	v_mov_b32_e32 v55, 0x7f800001
	s_and_saveexec_b64 s[10:11], vcc
	s_cbranch_execz .LBB624_147
; %bb.146:                              ;   in Loop: Header=BB624_17 Depth=1
	v_and_b32_e32 v55, 7, v32
	v_ffbh_u32_e32 v56, v55
	v_min_u32_e32 v59, 32, v56
	v_subrev_u32_e32 v56, 28, v59
	v_lshlrev_b64 v[56:57], v56, v[32:33]
	v_lshrrev_b32_e32 v58, 3, v34
	v_sub_u32_e32 v32, 29, v59
	v_and_b32_e32 v56, 7, v56
	v_cmp_gt_u32_e32 vcc, 8, v34
	v_cndmask_b32_e32 v32, v58, v32, vcc
	v_cndmask_b32_e32 v34, v55, v56, vcc
	v_lshlrev_b32_e32 v55, 16, v30
	v_lshlrev_b32_e32 v34, 20, v34
	v_and_b32_e32 v55, 0x80000000, v55
	v_lshl_add_u32 v32, v32, 23, v38
	v_or3_b32 v55, v55, v32, v34
.LBB624_147:                            ;   in Loop: Header=BB624_17 Depth=1
	s_or_b64 exec, exec, s[10:11]
.LBB624_148:                            ;   in Loop: Header=BB624_17 Depth=1
	s_or_b64 exec, exec, s[6:7]
.LBB624_149:                            ;   in Loop: Header=BB624_17 Depth=1
	s_or_b64 exec, exec, s[4:5]
	v_lshrrev_b32_e32 v32, 16, v30
	v_cmp_ne_u16_sdwa s[6:7], v32, v35 src0_sel:BYTE_0 src1_sel:DWORD
	s_and_saveexec_b64 s[4:5], s[6:7]
	s_cbranch_execz .LBB624_155
; %bb.150:                              ;   in Loop: Header=BB624_17 Depth=1
	v_cmp_ne_u16_sdwa s[10:11], v32, s13 src0_sel:BYTE_0 src1_sel:DWORD
	v_bfrev_b32_e32 v54, 1
	s_and_saveexec_b64 s[6:7], s[10:11]
	s_cbranch_execz .LBB624_154
; %bb.151:                              ;   in Loop: Header=BB624_17 Depth=1
	v_bfe_u32 v34, v30, 16, 7
	v_cmp_ne_u32_e32 vcc, s14, v34
	v_mov_b32_e32 v54, 0x7f800001
	s_and_saveexec_b64 s[10:11], vcc
	s_cbranch_execz .LBB624_153
; %bb.152:                              ;   in Loop: Header=BB624_17 Depth=1
	v_and_b32_e32 v54, 7, v32
	v_ffbh_u32_e32 v56, v54
	v_min_u32_e32 v59, 32, v56
	v_subrev_u32_e32 v56, 28, v59
	v_lshlrev_b64 v[56:57], v56, v[32:33]
	v_lshrrev_b32_e32 v58, 3, v34
	v_sub_u32_e32 v57, 29, v59
	v_and_b32_e32 v56, 7, v56
	v_cmp_gt_u32_e32 vcc, 8, v34
	v_cndmask_b32_e32 v34, v58, v57, vcc
	v_cndmask_b32_e32 v54, v54, v56, vcc
	v_lshlrev_b32_e32 v32, 24, v32
	v_lshlrev_b32_e32 v54, 20, v54
	v_and_b32_e32 v32, 0x80000000, v32
	v_lshl_add_u32 v34, v34, 23, v38
	v_or3_b32 v54, v32, v34, v54
.LBB624_153:                            ;   in Loop: Header=BB624_17 Depth=1
	s_or_b64 exec, exec, s[10:11]
.LBB624_154:                            ;   in Loop: Header=BB624_17 Depth=1
	s_or_b64 exec, exec, s[6:7]
.LBB624_155:                            ;   in Loop: Header=BB624_17 Depth=1
	s_or_b64 exec, exec, s[4:5]
	v_cmp_lt_u32_e32 vcc, s15, v30
	v_mov_b32_e32 v34, 0
	v_mov_b32_e32 v56, 0
	s_and_saveexec_b64 s[4:5], vcc
	s_cbranch_execz .LBB624_161
; %bb.156:                              ;   in Loop: Header=BB624_17 Depth=1
	v_lshrrev_b32_e32 v32, 24, v30
	v_cmp_ne_u32_e32 vcc, s13, v32
	v_bfrev_b32_e32 v56, 1
	s_and_saveexec_b64 s[6:7], vcc
	s_cbranch_execz .LBB624_160
; %bb.157:                              ;   in Loop: Header=BB624_17 Depth=1
	v_bfe_u32 v30, v30, 24, 7
	v_cmp_ne_u32_e32 vcc, s14, v30
	v_mov_b32_e32 v56, 0x7f800001
	s_and_saveexec_b64 s[10:11], vcc
	s_cbranch_execz .LBB624_159
; %bb.158:                              ;   in Loop: Header=BB624_17 Depth=1
	v_and_b32_e32 v58, 7, v32
	v_ffbh_u32_e32 v56, v58
	v_min_u32_e32 v60, 32, v56
	v_subrev_u32_e32 v56, 28, v60
	v_lshlrev_b64 v[56:57], v56, v[32:33]
	v_lshrrev_b32_e32 v59, 3, v30
	v_sub_u32_e32 v57, 29, v60
	v_and_b32_e32 v56, 7, v56
	v_cmp_gt_u32_e32 vcc, 8, v30
	v_cndmask_b32_e32 v30, v59, v57, vcc
	v_cndmask_b32_e32 v56, v58, v56, vcc
	v_lshlrev_b32_e32 v32, 24, v32
	v_lshlrev_b32_e32 v56, 20, v56
	v_and_b32_e32 v32, 0x80000000, v32
	v_lshl_add_u32 v30, v30, 23, v38
	v_or3_b32 v56, v32, v30, v56
.LBB624_159:                            ;   in Loop: Header=BB624_17 Depth=1
	s_or_b64 exec, exec, s[10:11]
.LBB624_160:                            ;   in Loop: Header=BB624_17 Depth=1
	s_or_b64 exec, exec, s[6:7]
.LBB624_161:                            ;   in Loop: Header=BB624_17 Depth=1
	s_or_b64 exec, exec, s[4:5]
	v_cvt_pkrtz_f16_f32 v58, v23, v42
	v_cvt_pkrtz_f16_f32 v59, v40, v53
	s_waitcnt vmcnt(1)
	v_cmp_ne_u16_sdwa s[6:7], v28, v35 src0_sel:BYTE_0 src1_sel:DWORD
	v_mfma_f32_16x16x16f16 v[18:21], v[58:59], v[10:11], v[18:21]
	v_cvt_pkrtz_f16_f32 v58, v44, v55
	v_cvt_pkrtz_f16_f32 v59, v54, v56
	s_nop 1
	v_mfma_f32_16x16x16f16 v[18:21], v[58:59], v[12:13], v[18:21]
	s_and_saveexec_b64 s[4:5], s[6:7]
	s_cbranch_execz .LBB624_167
; %bb.162:                              ;   in Loop: Header=BB624_17 Depth=1
	v_cmp_ne_u16_sdwa s[10:11], v28, s13 src0_sel:BYTE_0 src1_sel:DWORD
	v_bfrev_b32_e32 v34, 1
	s_and_saveexec_b64 s[6:7], s[10:11]
	s_cbranch_execz .LBB624_166
; %bb.163:                              ;   in Loop: Header=BB624_17 Depth=1
	v_and_b32_e32 v23, 0x7f, v28
	v_cmp_ne_u32_e32 vcc, s14, v23
	v_mov_b32_e32 v34, 0x7f800001
	s_and_saveexec_b64 s[10:11], vcc
	s_cbranch_execz .LBB624_165
; %bb.164:                              ;   in Loop: Header=BB624_17 Depth=1
	v_and_b32_e32 v30, 7, v28
	v_ffbh_u32_e32 v34, v30
	v_min_u32_e32 v34, 32, v34
	v_subrev_u32_e32 v40, 28, v34
	v_lshlrev_b64 v[54:55], v40, v[28:29]
	v_lshrrev_b32_e32 v32, 3, v23
	v_sub_u32_e32 v34, 29, v34
	v_and_b32_e32 v40, 7, v54
	v_cmp_gt_u32_e32 vcc, 8, v23
	v_cndmask_b32_e32 v23, v32, v34, vcc
	v_cndmask_b32_e32 v30, v30, v40, vcc
	v_lshlrev_b32_e32 v32, 24, v28
	v_lshlrev_b32_e32 v30, 20, v30
	v_and_b32_e32 v32, 0x80000000, v32
	v_lshl_add_u32 v23, v23, 23, v38
	v_or3_b32 v34, v32, v23, v30
.LBB624_165:                            ;   in Loop: Header=BB624_17 Depth=1
	s_or_b64 exec, exec, s[10:11]
.LBB624_166:                            ;   in Loop: Header=BB624_17 Depth=1
	s_or_b64 exec, exec, s[6:7]
.LBB624_167:                            ;   in Loop: Header=BB624_17 Depth=1
	s_or_b64 exec, exec, s[4:5]
	v_lshrrev_b16_e32 v30, 8, v28
	v_cmp_ne_u16_e32 vcc, 0, v30
	v_mov_b32_e32 v23, 0
	v_mov_b32_e32 v32, 0
	s_and_saveexec_b64 s[4:5], vcc
	s_cbranch_execz .LBB624_173
; %bb.168:                              ;   in Loop: Header=BB624_17 Depth=1
	v_cmp_ne_u16_e32 vcc, s13, v30
	v_bfrev_b32_e32 v32, 1
	s_and_saveexec_b64 s[6:7], vcc
	s_cbranch_execz .LBB624_172
; %bb.169:                              ;   in Loop: Header=BB624_17 Depth=1
	v_and_b32_e32 v40, 0x7f, v30
	v_cmp_ne_u32_e32 vcc, s14, v40
	v_mov_b32_e32 v32, 0x7f800001
	s_and_saveexec_b64 s[10:11], vcc
	s_cbranch_execz .LBB624_171
; %bb.170:                              ;   in Loop: Header=BB624_17 Depth=1
	v_and_b32_e32 v32, 7, v30
	v_ffbh_u32_e32 v44, v32
	v_min_u32_e32 v44, 32, v44
	v_subrev_u32_e32 v53, 28, v44
	v_lshlrev_b64 v[54:55], v53, v[30:31]
	v_lshrrev_b32_e32 v42, 3, v40
	v_sub_u32_e32 v30, 29, v44
	v_and_b32_e32 v44, 7, v54
	v_cmp_gt_u32_e32 vcc, 8, v40
	v_cndmask_b32_e32 v30, v42, v30, vcc
	v_cndmask_b32_e32 v32, v32, v44, vcc
	v_lshlrev_b32_e32 v40, 16, v28
	v_lshlrev_b32_e32 v32, 20, v32
	v_and_b32_e32 v40, 0x80000000, v40
	v_lshl_add_u32 v30, v30, 23, v38
	v_or3_b32 v32, v40, v30, v32
.LBB624_171:                            ;   in Loop: Header=BB624_17 Depth=1
	s_or_b64 exec, exec, s[10:11]
.LBB624_172:                            ;   in Loop: Header=BB624_17 Depth=1
	s_or_b64 exec, exec, s[6:7]
.LBB624_173:                            ;   in Loop: Header=BB624_17 Depth=1
	s_or_b64 exec, exec, s[4:5]
	v_lshrrev_b32_e32 v30, 16, v28
	v_cmp_ne_u16_sdwa s[6:7], v30, v35 src0_sel:BYTE_0 src1_sel:DWORD
	s_and_saveexec_b64 s[4:5], s[6:7]
	s_cbranch_execz .LBB624_179
; %bb.174:                              ;   in Loop: Header=BB624_17 Depth=1
	v_cmp_ne_u16_sdwa s[10:11], v30, s13 src0_sel:BYTE_0 src1_sel:DWORD
	v_bfrev_b32_e32 v23, 1
	s_and_saveexec_b64 s[6:7], s[10:11]
	s_cbranch_execz .LBB624_178
; %bb.175:                              ;   in Loop: Header=BB624_17 Depth=1
	v_bfe_u32 v40, v28, 16, 7
	v_cmp_ne_u32_e32 vcc, s14, v40
	v_mov_b32_e32 v23, 0x7f800001
	s_and_saveexec_b64 s[10:11], vcc
	s_cbranch_execz .LBB624_177
; %bb.176:                              ;   in Loop: Header=BB624_17 Depth=1
	v_and_b32_e32 v23, 7, v30
	v_ffbh_u32_e32 v44, v23
	v_min_u32_e32 v44, 32, v44
	v_subrev_u32_e32 v53, 28, v44
	v_lshlrev_b64 v[54:55], v53, v[30:31]
	v_lshrrev_b32_e32 v42, 3, v40
	v_sub_u32_e32 v44, 29, v44
	v_and_b32_e32 v53, 7, v54
	v_cmp_gt_u32_e32 vcc, 8, v40
	v_cndmask_b32_e32 v40, v42, v44, vcc
	v_cndmask_b32_e32 v23, v23, v53, vcc
	v_lshlrev_b32_e32 v30, 24, v30
	v_lshlrev_b32_e32 v23, 20, v23
	v_and_b32_e32 v30, 0x80000000, v30
	v_lshl_add_u32 v40, v40, 23, v38
	v_or3_b32 v23, v30, v40, v23
.LBB624_177:                            ;   in Loop: Header=BB624_17 Depth=1
	s_or_b64 exec, exec, s[10:11]
.LBB624_178:                            ;   in Loop: Header=BB624_17 Depth=1
	s_or_b64 exec, exec, s[6:7]
.LBB624_179:                            ;   in Loop: Header=BB624_17 Depth=1
	s_or_b64 exec, exec, s[4:5]
	v_cmp_lt_u32_e32 vcc, s15, v28
	v_mov_b32_e32 v40, 0
	v_mov_b32_e32 v42, 0
	s_and_saveexec_b64 s[4:5], vcc
	s_cbranch_execz .LBB624_185
; %bb.180:                              ;   in Loop: Header=BB624_17 Depth=1
	v_lshrrev_b32_e32 v30, 24, v28
	v_cmp_ne_u32_e32 vcc, s13, v30
	v_bfrev_b32_e32 v42, 1
	s_and_saveexec_b64 s[6:7], vcc
	s_cbranch_execz .LBB624_184
; %bb.181:                              ;   in Loop: Header=BB624_17 Depth=1
	v_bfe_u32 v28, v28, 24, 7
	v_cmp_ne_u32_e32 vcc, s14, v28
	v_mov_b32_e32 v42, 0x7f800001
	s_and_saveexec_b64 s[10:11], vcc
	s_cbranch_execz .LBB624_183
; %bb.182:                              ;   in Loop: Header=BB624_17 Depth=1
	v_and_b32_e32 v42, 7, v30
	v_ffbh_u32_e32 v53, v42
	v_min_u32_e32 v53, 32, v53
	v_subrev_u32_e32 v54, 28, v53
	v_lshlrev_b64 v[54:55], v54, v[30:31]
	v_lshrrev_b32_e32 v44, 3, v28
	v_sub_u32_e32 v53, 29, v53
	v_and_b32_e32 v54, 7, v54
	v_cmp_gt_u32_e32 vcc, 8, v28
	v_cndmask_b32_e32 v28, v44, v53, vcc
	v_cndmask_b32_e32 v42, v42, v54, vcc
	v_lshlrev_b32_e32 v30, 24, v30
	v_lshlrev_b32_e32 v42, 20, v42
	v_and_b32_e32 v30, 0x80000000, v30
	v_lshl_add_u32 v28, v28, 23, v38
	v_or3_b32 v42, v30, v28, v42
.LBB624_183:                            ;   in Loop: Header=BB624_17 Depth=1
	s_or_b64 exec, exec, s[10:11]
.LBB624_184:                            ;   in Loop: Header=BB624_17 Depth=1
	s_or_b64 exec, exec, s[6:7]
.LBB624_185:                            ;   in Loop: Header=BB624_17 Depth=1
	s_or_b64 exec, exec, s[4:5]
	s_waitcnt vmcnt(0)
	v_cmp_ne_u16_sdwa s[6:7], v26, v35 src0_sel:BYTE_0 src1_sel:DWORD
	s_and_saveexec_b64 s[4:5], s[6:7]
	s_cbranch_execz .LBB624_191
; %bb.186:                              ;   in Loop: Header=BB624_17 Depth=1
	v_cmp_ne_u16_sdwa s[10:11], v26, s13 src0_sel:BYTE_0 src1_sel:DWORD
	v_bfrev_b32_e32 v40, 1
	s_and_saveexec_b64 s[6:7], s[10:11]
	s_cbranch_execz .LBB624_190
; %bb.187:                              ;   in Loop: Header=BB624_17 Depth=1
	v_and_b32_e32 v28, 0x7f, v26
	v_cmp_ne_u32_e32 vcc, s14, v28
	v_mov_b32_e32 v40, 0x7f800001
	s_and_saveexec_b64 s[10:11], vcc
	s_cbranch_execz .LBB624_189
; %bb.188:                              ;   in Loop: Header=BB624_17 Depth=1
	v_and_b32_e32 v30, 7, v26
	v_ffbh_u32_e32 v44, v30
	v_min_u32_e32 v44, 32, v44
	v_subrev_u32_e32 v53, 28, v44
	v_lshlrev_b64 v[54:55], v53, v[26:27]
	v_lshrrev_b32_e32 v40, 3, v28
	v_sub_u32_e32 v44, 29, v44
	v_and_b32_e32 v53, 7, v54
	v_cmp_gt_u32_e32 vcc, 8, v28
	v_cndmask_b32_e32 v28, v40, v44, vcc
	v_cndmask_b32_e32 v30, v30, v53, vcc
	v_lshlrev_b32_e32 v40, 24, v26
	v_lshlrev_b32_e32 v30, 20, v30
	v_and_b32_e32 v40, 0x80000000, v40
	v_lshl_add_u32 v28, v28, 23, v38
	v_or3_b32 v40, v40, v28, v30
.LBB624_189:                            ;   in Loop: Header=BB624_17 Depth=1
	s_or_b64 exec, exec, s[10:11]
.LBB624_190:                            ;   in Loop: Header=BB624_17 Depth=1
	s_or_b64 exec, exec, s[6:7]
.LBB624_191:                            ;   in Loop: Header=BB624_17 Depth=1
	s_or_b64 exec, exec, s[4:5]
	v_lshrrev_b16_e32 v28, 8, v26
	v_cmp_ne_u16_e32 vcc, 0, v28
	v_mov_b32_e32 v30, 0
	v_mov_b32_e32 v44, 0
	s_and_saveexec_b64 s[4:5], vcc
	s_cbranch_execz .LBB624_197
; %bb.192:                              ;   in Loop: Header=BB624_17 Depth=1
	v_cmp_ne_u16_e32 vcc, s13, v28
	v_bfrev_b32_e32 v44, 1
	s_and_saveexec_b64 s[6:7], vcc
	s_cbranch_execz .LBB624_196
; %bb.193:                              ;   in Loop: Header=BB624_17 Depth=1
	v_and_b32_e32 v53, 0x7f, v28
	v_cmp_ne_u32_e32 vcc, s14, v53
	v_mov_b32_e32 v44, 0x7f800001
	s_and_saveexec_b64 s[10:11], vcc
	s_cbranch_execz .LBB624_195
; %bb.194:                              ;   in Loop: Header=BB624_17 Depth=1
	v_and_b32_e32 v44, 7, v28
	v_ffbh_u32_e32 v54, v44
	v_min_u32_e32 v57, 32, v54
	v_subrev_u32_e32 v54, 28, v57
	v_lshlrev_b64 v[54:55], v54, v[28:29]
	v_lshrrev_b32_e32 v56, 3, v53
	v_sub_u32_e32 v28, 29, v57
	v_and_b32_e32 v54, 7, v54
	v_cmp_gt_u32_e32 vcc, 8, v53
	v_cndmask_b32_e32 v28, v56, v28, vcc
	v_cndmask_b32_e32 v44, v44, v54, vcc
	v_lshlrev_b32_e32 v53, 16, v26
	v_lshlrev_b32_e32 v44, 20, v44
	v_and_b32_e32 v53, 0x80000000, v53
	v_lshl_add_u32 v28, v28, 23, v38
	v_or3_b32 v44, v53, v28, v44
.LBB624_195:                            ;   in Loop: Header=BB624_17 Depth=1
	s_or_b64 exec, exec, s[10:11]
.LBB624_196:                            ;   in Loop: Header=BB624_17 Depth=1
	s_or_b64 exec, exec, s[6:7]
.LBB624_197:                            ;   in Loop: Header=BB624_17 Depth=1
	s_or_b64 exec, exec, s[4:5]
	v_lshrrev_b32_e32 v28, 16, v26
	v_cmp_ne_u16_sdwa s[6:7], v28, v35 src0_sel:BYTE_0 src1_sel:DWORD
	s_and_saveexec_b64 s[4:5], s[6:7]
	s_cbranch_execz .LBB624_203
; %bb.198:                              ;   in Loop: Header=BB624_17 Depth=1
	v_cmp_ne_u16_sdwa s[10:11], v28, s13 src0_sel:BYTE_0 src1_sel:DWORD
	v_bfrev_b32_e32 v30, 1
	s_and_saveexec_b64 s[6:7], s[10:11]
	s_cbranch_execz .LBB624_202
; %bb.199:                              ;   in Loop: Header=BB624_17 Depth=1
	v_bfe_u32 v53, v26, 16, 7
	v_cmp_ne_u32_e32 vcc, s14, v53
	v_mov_b32_e32 v30, 0x7f800001
	s_and_saveexec_b64 s[10:11], vcc
	s_cbranch_execz .LBB624_201
; %bb.200:                              ;   in Loop: Header=BB624_17 Depth=1
	v_and_b32_e32 v30, 7, v28
	v_ffbh_u32_e32 v54, v30
	v_min_u32_e32 v57, 32, v54
	v_subrev_u32_e32 v54, 28, v57
	v_lshlrev_b64 v[54:55], v54, v[28:29]
	v_lshrrev_b32_e32 v56, 3, v53
	v_sub_u32_e32 v55, 29, v57
	v_and_b32_e32 v54, 7, v54
	v_cmp_gt_u32_e32 vcc, 8, v53
	v_cndmask_b32_e32 v53, v56, v55, vcc
	v_cndmask_b32_e32 v30, v30, v54, vcc
	v_lshlrev_b32_e32 v28, 24, v28
	v_lshlrev_b32_e32 v30, 20, v30
	v_and_b32_e32 v28, 0x80000000, v28
	v_lshl_add_u32 v53, v53, 23, v38
	v_or3_b32 v30, v28, v53, v30
.LBB624_201:                            ;   in Loop: Header=BB624_17 Depth=1
	s_or_b64 exec, exec, s[10:11]
.LBB624_202:                            ;   in Loop: Header=BB624_17 Depth=1
	s_or_b64 exec, exec, s[6:7]
.LBB624_203:                            ;   in Loop: Header=BB624_17 Depth=1
	s_or_b64 exec, exec, s[4:5]
	v_cmp_lt_u32_e32 vcc, s15, v26
	v_mov_b32_e32 v53, 0
	s_and_saveexec_b64 s[4:5], vcc
	s_cbranch_execz .LBB624_16
; %bb.204:                              ;   in Loop: Header=BB624_17 Depth=1
	v_lshrrev_b32_e32 v28, 24, v26
	v_cmp_ne_u32_e32 vcc, s13, v28
	v_bfrev_b32_e32 v53, 1
	s_and_saveexec_b64 s[6:7], vcc
	s_cbranch_execz .LBB624_15
; %bb.205:                              ;   in Loop: Header=BB624_17 Depth=1
	v_bfe_u32 v26, v26, 24, 7
	v_cmp_ne_u32_e32 vcc, s14, v26
	v_mov_b32_e32 v53, 0x7f800001
	s_and_saveexec_b64 s[10:11], vcc
	s_cbranch_execz .LBB624_14
; %bb.206:                              ;   in Loop: Header=BB624_17 Depth=1
	v_and_b32_e32 v53, 7, v28
	v_ffbh_u32_e32 v54, v53
	v_min_u32_e32 v57, 32, v54
	v_subrev_u32_e32 v54, 28, v57
	v_lshlrev_b64 v[54:55], v54, v[28:29]
	v_lshrrev_b32_e32 v56, 3, v26
	v_sub_u32_e32 v55, 29, v57
	v_and_b32_e32 v54, 7, v54
	v_cmp_gt_u32_e32 vcc, 8, v26
	v_cndmask_b32_e32 v26, v56, v55, vcc
	v_cndmask_b32_e32 v53, v53, v54, vcc
	v_lshlrev_b32_e32 v28, 24, v28
	v_lshlrev_b32_e32 v53, 20, v53
	v_and_b32_e32 v28, 0x80000000, v28
	v_lshl_add_u32 v26, v26, 23, v38
	v_or3_b32 v53, v28, v26, v53
	s_branch .LBB624_14
.LBB624_207:
	buffer_load_dword v17, off, s[0:3], 0 offset:256
	buffer_load_dword v16, off, s[0:3], 0 offset:260
	;; [unrolled: 1-line block ×16, first 2 shown]
	v_and_b32_e32 v18, 0xc0, v0
	v_add_u32_e32 v18, s20, v18
	v_lshl_or_b32 v18, v41, 2, v18
	v_or_b32_e32 v20, 1, v18
	v_subrev_u32_e32 v24, s33, v20
	v_add_u32_e32 v26, 1, v24
	v_cvt_f32_i32_e32 v25, v24
	v_add_u32_e32 v28, 2, v24
	v_add_u32_e32 v30, 3, v24
	v_add_u32_e32 v32, 16, v24
	v_add_u32_e32 v34, 17, v24
	v_add_u32_e32 v35, 18, v24
	v_add_u32_e32 v36, 19, v24
	v_add_u32_e32 v37, 32, v24
	v_add_u32_e32 v38, 33, v24
	v_add_u32_e32 v40, 34, v24
	v_add_u32_e32 v42, 35, v24
	v_add_u32_e32 v44, 48, v24
	v_add_u32_e32 v53, 49, v24
	v_add_u32_e32 v54, 50, v24
	v_add_u32_e32 v24, 51, v24
	v_cvt_f32_i32_e32 v26, v26
	v_cvt_f32_i32_e32 v28, v28
	;; [unrolled: 1-line block ×4, first 2 shown]
	v_mov_b32_e32 v19, 0xff7fffff
	v_or_b32_e32 v21, 2, v18
	v_or_b32_e32 v22, 3, v18
	v_cvt_f32_i32_e32 v32, v32
	v_cvt_f32_i32_e32 v34, v34
	v_cmp_gt_i32_e64 s[28:29], s33, v18
	v_cmp_gt_i32_e64 s[30:31], s33, v20
	s_mov_b32 s52, 0xff7fffff
	v_cmp_gt_i32_e64 s[34:35], s33, v21
	v_cmp_gt_i32_e64 s[36:37], s33, v22
	v_or_b32_e32 v23, 16, v18
	v_cvt_f32_i32_e32 v35, v35
	v_cvt_f32_i32_e32 v36, v36
	v_cmp_gt_i32_e64 s[24:25], s33, v23
	v_cvt_f32_i32_e32 v37, v37
	v_cvt_f32_i32_e32 v38, v38
	;; [unrolled: 1-line block ×7, first 2 shown]
	s_waitcnt vmcnt(15)
	v_fmac_f32_e32 v17, v31, v25
	s_waitcnt vmcnt(14)
	v_fmac_f32_e32 v16, v31, v26
	;; [unrolled: 2-line block ×4, first 2 shown]
	v_cndmask_b32_e64 v20, v19, v16, s[30:31]
	v_cndmask_b32_e64 v21, v19, v15, s[34:35]
	;; [unrolled: 1-line block ×3, first 2 shown]
	s_waitcnt vmcnt(11)
	v_fmac_f32_e32 v13, v31, v32
	s_waitcnt vmcnt(10)
	v_fmac_f32_e32 v12, v31, v34
	;; [unrolled: 2-line block ×9, first 2 shown]
	v_cndmask_b32_e64 v24, v19, v17, s[28:29]
	v_max3_f32 v20, v24, s52, v20
	v_max3_f32 v20, v20, v21, v22
	v_or_b32_e32 v22, 17, v18
	v_cmp_gt_i32_e64 s[38:39], s33, v22
	v_cndmask_b32_e64 v21, v19, v13, s[24:25]
	v_cndmask_b32_e64 v22, v19, v12, s[38:39]
	v_max3_f32 v20, v20, v21, v22
	v_or_b32_e32 v21, 18, v18
	v_or_b32_e32 v22, 19, v18
	v_cmp_gt_i32_e64 s[20:21], s33, v21
	v_cmp_gt_i32_e64 s[22:23], s33, v22
	v_cndmask_b32_e64 v21, v19, v11, s[20:21]
	v_cndmask_b32_e64 v22, v19, v10, s[22:23]
	v_max3_f32 v20, v20, v21, v22
	v_or_b32_e32 v21, 32, v18
	v_or_b32_e32 v22, 33, v18
	v_cmp_gt_i32_e64 s[16:17], s33, v21
	;; [unrolled: 7-line block ×3, first 2 shown]
	v_cmp_gt_i32_e64 s[14:15], s33, v22
	v_cndmask_b32_e64 v21, v19, v7, s[12:13]
	v_cndmask_b32_e64 v22, v19, v6, s[14:15]
	v_max3_f32 v20, v20, v21, v22
	v_or_b32_e32 v21, 48, v18
	v_or_b32_e32 v22, 49, v18
	v_fmac_f32_e32 v5, v31, v44
	v_fmac_f32_e32 v4, v31, v53
	v_cmp_gt_i32_e64 s[6:7], s33, v21
	v_cmp_gt_i32_e64 s[10:11], s33, v22
	v_cndmask_b32_e64 v21, v19, v5, s[6:7]
	v_cndmask_b32_e64 v22, v19, v4, s[10:11]
	v_max3_f32 v20, v20, v21, v22
	v_or_b32_e32 v21, 50, v18
	v_or_b32_e32 v18, 51, v18
	v_fmac_f32_e32 v3, v31, v54
	v_cmp_gt_i32_e32 vcc, s33, v21
	v_cmp_gt_i32_e64 s[4:5], s33, v18
	v_cndmask_b32_e32 v21, v19, v3, vcc
	v_cndmask_b32_e64 v18, v19, v2, s[4:5]
	v_mbcnt_lo_u32_b32 v19, -1, 0
	v_mbcnt_hi_u32_b32 v19, -1, v19
	v_max3_f32 v18, v20, v21, v18
	v_and_b32_e32 v20, 64, v19
	v_add_u32_e32 v20, 64, v20
	v_xor_b32_e32 v21, 32, v19
	v_cmp_lt_i32_e64 s[40:41], v21, v20
	v_cndmask_b32_e64 v21, v19, v21, s[40:41]
	v_lshlrev_b32_e32 v21, 2, v21
	ds_bpermute_b32 v22, v21, v18
	s_waitcnt lgkmcnt(0)
	v_max_f32_e32 v22, v22, v22
	v_max_f32_e32 v18, v18, v22
	v_xor_b32_e32 v22, 16, v19
	v_cmp_lt_i32_e64 s[40:41], v22, v20
	v_cndmask_b32_e64 v19, v19, v22, s[40:41]
	v_lshlrev_b32_e32 v19, 2, v19
	ds_bpermute_b32 v20, v19, v18
	s_waitcnt lgkmcnt(0)
	v_max_f32_e32 v20, v20, v20
	v_max_f32_e32 v18, v18, v20
	v_sub_f32_e32 v17, v17, v18
	v_mul_f32_e32 v17, 0x3fb8aa3b, v17
	v_sub_f32_e32 v16, v16, v18
	v_exp_f32_e32 v17, v17
	v_mul_f32_e32 v16, 0x3fb8aa3b, v16
	v_sub_f32_e32 v15, v15, v18
	v_exp_f32_e32 v16, v16
	;; [unrolled: 3-line block ×4, first 2 shown]
	v_mul_f32_e32 v13, 0x3fb8aa3b, v13
	v_sub_f32_e32 v12, v12, v18
	v_cndmask_b32_e64 v17, 0, v17, s[28:29]
	v_exp_f32_e32 v13, v13
	v_mul_f32_e32 v12, 0x3fb8aa3b, v12
	v_sub_f32_e32 v11, v11, v18
	v_add_f32_e32 v20, 0, v17
	v_cndmask_b32_e64 v16, 0, v16, s[30:31]
	v_exp_f32_e32 v12, v12
	v_mul_f32_e32 v11, 0x3fb8aa3b, v11
	v_sub_f32_e32 v10, v10, v18
	v_add_f32_e32 v20, v20, v16
	;; [unrolled: 5-line block ×4, first 2 shown]
	v_cndmask_b32_e64 v13, 0, v13, s[24:25]
	v_exp_f32_e32 v9, v9
	v_mul_f32_e32 v8, 0x3fb8aa3b, v8
	v_sub_f32_e32 v7, v7, v18
	buffer_store_dword v17, off, s[0:3], 0 offset:256
	buffer_store_dword v16, off, s[0:3], 0 offset:260
	;; [unrolled: 1-line block ×4, first 2 shown]
	v_add_f32_e32 v14, v20, v13
	v_cndmask_b32_e64 v12, 0, v12, s[38:39]
	v_exp_f32_e32 v8, v8
	v_mul_f32_e32 v7, 0x3fb8aa3b, v7
	v_sub_f32_e32 v6, v6, v18
	v_add_f32_e32 v14, v14, v12
	v_cndmask_b32_e64 v11, 0, v11, s[20:21]
	v_exp_f32_e32 v7, v7
	v_mul_f32_e32 v6, 0x3fb8aa3b, v6
	v_sub_f32_e32 v5, v5, v18
	;; [unrolled: 5-line block ×4, first 2 shown]
	buffer_store_dword v13, off, s[0:3], 0 offset:272
	buffer_store_dword v12, off, s[0:3], 0 offset:276
	;; [unrolled: 1-line block ×4, first 2 shown]
	v_add_f32_e32 v10, v14, v9
	v_cndmask_b32_e64 v8, 0, v8, s[18:19]
	v_exp_f32_e32 v4, v4
	v_mul_f32_e32 v3, 0x3fb8aa3b, v3
	v_sub_f32_e32 v2, v2, v18
	v_add_f32_e32 v10, v10, v8
	v_cndmask_b32_e64 v7, 0, v7, s[12:13]
	v_exp_f32_e32 v3, v3
	v_mul_f32_e32 v2, 0x3fb8aa3b, v2
	v_add_f32_e32 v10, v10, v7
	v_cndmask_b32_e64 v6, 0, v6, s[14:15]
	v_exp_f32_e32 v2, v2
	v_add_f32_e32 v10, v10, v6
	v_cndmask_b32_e64 v5, 0, v5, s[6:7]
	buffer_store_dword v9, off, s[0:3], 0 offset:288
	buffer_store_dword v8, off, s[0:3], 0 offset:292
	;; [unrolled: 1-line block ×4, first 2 shown]
	v_add_f32_e32 v6, v10, v5
	v_cndmask_b32_e64 v4, 0, v4, s[10:11]
	v_add_f32_e32 v6, v6, v4
	v_cndmask_b32_e32 v3, 0, v3, vcc
	v_add_f32_e32 v6, v6, v3
	v_cndmask_b32_e64 v2, 0, v2, s[4:5]
	v_add_f32_e32 v6, v6, v2
	ds_bpermute_b32 v7, v21, v6
	buffer_store_dword v5, off, s[0:3], 0 offset:304
	buffer_store_dword v4, off, s[0:3], 0 offset:308
	;; [unrolled: 1-line block ×4, first 2 shown]
	v_cmp_gt_u32_e32 vcc, 16, v33
	s_waitcnt lgkmcnt(0)
	s_barrier
	v_add_f32_e32 v2, v6, v7
	ds_bpermute_b32 v3, v19, v2
	s_waitcnt lgkmcnt(0)
	s_and_saveexec_b64 s[4:5], vcc
	s_cbranch_execz .LBB624_209
; %bb.208:
	v_add_f32_e32 v2, v2, v3
	v_lshlrev_b32_e32 v3, 2, v29
	ds_write2st64_b32 v3, v18, v2 offset1:1
.LBB624_209:
	s_or_b64 exec, exec, s[4:5]
	v_lshlrev_b32_e32 v2, 2, v43
	s_waitcnt lgkmcnt(0)
	s_barrier
	ds_read2_b32 v[12:13], v2 offset1:16
	ds_read2_b32 v[14:15], v2 offset0:32 offset1:48
	ds_read2_b32 v[6:7], v2 offset0:64 offset1:80
	;; [unrolled: 1-line block ×3, first 2 shown]
	s_waitcnt lgkmcnt(0)
	s_barrier
	buffer_load_dword v20, off, s[0:3], 0 offset:256
	buffer_load_dword v21, off, s[0:3], 0 offset:260
	;; [unrolled: 1-line block ×16, first 2 shown]
	v_lshlrev_b32_e32 v19, 3, v41
	v_lshlrev_b32_e32 v18, 5, v43
	;; [unrolled: 1-line block ×3, first 2 shown]
	v_or3_b32 v53, v26, v18, v19
	v_max3_f32 v19, v12, s52, v13
	v_max3_f32 v19, v19, v14, v15
	v_sub_f32_e32 v12, v12, v19
	v_sub_f32_e32 v13, v13, v19
	v_mul_f32_e32 v12, 0x3fb8aa3b, v12
	v_sub_f32_e32 v14, v14, v19
	v_mul_f32_e32 v13, 0x3fb8aa3b, v13
	v_exp_f32_e32 v12, v12
	v_sub_f32_e32 v15, v15, v19
	v_mul_f32_e32 v14, 0x3fb8aa3b, v14
	v_exp_f32_e32 v13, v13
	v_mul_f32_e32 v15, 0x3fb8aa3b, v15
	v_exp_f32_e32 v14, v14
	v_exp_f32_e32 v15, v15
	v_fma_f32 v6, v12, v6, 0
	v_fmac_f32_e32 v6, v13, v7
	v_fmac_f32_e32 v6, v14, v10
	v_fmac_f32_e32 v6, v15, v11
	v_cmp_eq_u32_e32 vcc, 1, v27
	v_add_f32_e32 v10, 0x358637bd, v6
	v_cndmask_b32_e32 v12, v12, v13, vcc
	v_cmp_eq_u32_e32 vcc, 2, v27
	v_div_scale_f32 v11, s[4:5], v10, v10, 1.0
	v_cndmask_b32_e32 v7, v12, v14, vcc
	v_rcp_f32_e32 v12, v11
	v_cmp_eq_u32_e32 vcc, 3, v27
	v_cndmask_b32_e32 v7, v7, v15, vcc
	v_div_scale_f32 v13, vcc, 1.0, v10, 1.0
	v_fma_f32 v14, -v11, v12, 1.0
	v_fmac_f32_e32 v12, v14, v12
	v_mul_f32_e32 v14, v13, v12
	v_fma_f32 v15, -v11, v14, v13
	v_fmac_f32_e32 v14, v15, v12
	v_fma_f32 v11, -v11, v14, v13
	v_div_fmas_f32 v11, v11, v12, v14
	v_div_fixup_f32 v10, v11, v10, 1.0
	v_mul_f32_e32 v10, v7, v10
	s_mul_i32 s18, s49, 3
	v_cmp_gt_u32_e32 vcc, 3, v0
	s_waitcnt vmcnt(14)
	v_pk_mul_f32 v[14:15], v[10:11], v[20:21] op_sel_hi:[0,1]
	v_cvt_f16_f32_e32 v7, v14
	s_waitcnt vmcnt(12)
	v_pk_mul_f32 v[12:13], v[10:11], v[22:23] op_sel_hi:[0,1]
	buffer_store_dword v14, off, s[0:3], 0 offset:256
	buffer_store_dword v15, off, s[0:3], 0 offset:260
	;; [unrolled: 1-line block ×3, first 2 shown]
	s_waitcnt vmcnt(13)
	v_pk_mul_f32 v[20:21], v[10:11], v[24:25] op_sel_hi:[0,1]
	v_cvt_f16_f32_e32 v14, v12
	s_waitcnt vmcnt(11)
	v_pk_mul_f32 v[22:23], v[10:11], v[28:29] op_sel_hi:[0,1]
	v_cvt_f16_f32_e32 v11, v15
	v_cvt_f16_f32_e32 v15, v13
	buffer_store_dword v13, off, s[0:3], 0 offset:268
	buffer_store_dword v22, off, s[0:3], 0 offset:272
	;; [unrolled: 1-line block ×3, first 2 shown]
	v_pack_b32_f16 v12, v7, v11
	v_cvt_f16_f32_e32 v11, v23
	v_pack_b32_f16 v13, v14, v15
	v_cvt_f16_f32_e32 v7, v22
	v_cvt_f16_f32_e32 v15, v20
	;; [unrolled: 1-line block ×3, first 2 shown]
	s_waitcnt vmcnt(12)
	v_pk_mul_f32 v[4:5], v[10:11], v[4:5] op_sel_hi:[0,1]
	v_pack_b32_f16 v14, v7, v11
	s_waitcnt vmcnt(10)
	v_pk_mul_f32 v[2:3], v[10:11], v[2:3] op_sel_hi:[0,1]
	v_pack_b32_f16 v15, v15, v22
	v_cvt_f16_f32_e32 v11, v5
	buffer_store_dword v20, off, s[0:3], 0 offset:280
	buffer_store_dword v21, off, s[0:3], 0 offset:284
	ds_write2st64_b64 v53, v[12:13], v[14:15] offset1:1
	buffer_store_dword v2, off, s[0:3], 0 offset:288
	buffer_store_dword v3, off, s[0:3], 0 offset:292
	v_cvt_f16_f32_e32 v2, v2
	v_cvt_f16_f32_e32 v3, v3
	;; [unrolled: 1-line block ×3, first 2 shown]
	buffer_store_dword v4, off, s[0:3], 0 offset:296
	buffer_store_dword v5, off, s[0:3], 0 offset:300
	s_waitcnt vmcnt(12)
	v_pk_mul_f32 v[4:5], v[10:11], v[16:17] op_sel_hi:[0,1]
	v_pk_mul_f32 v[8:9], v[10:11], v[8:9] op_sel_hi:[0,1]
	v_pack_b32_f16 v2, v2, v3
	v_pack_b32_f16 v3, v7, v11
	buffer_store_dword v8, off, s[0:3], 0 offset:304
	buffer_store_dword v9, off, s[0:3], 0 offset:308
	v_cvt_f16_f32_e32 v7, v8
	v_cvt_f16_f32_e32 v8, v9
	;; [unrolled: 1-line block ×4, first 2 shown]
	buffer_store_dword v4, off, s[0:3], 0 offset:312
	buffer_store_dword v5, off, s[0:3], 0 offset:316
	v_pack_b32_f16 v4, v7, v8
	v_pack_b32_f16 v5, v9, v10
	ds_write2st64_b64 v53, v[2:3], v[4:5] offset0:2 offset1:3
	s_and_saveexec_b64 s[4:5], vcc
	s_cbranch_execz .LBB624_211
; %bb.210:
	v_add_co_u32_e32 v4, vcc, s27, v43
	v_addc_co_u32_e64 v5, s[6:7], 0, 0, vcc
	v_mov_b32_e32 v2, s18
	v_mad_u64_u32 v[4:5], s[6:7], s8, v2, v[4:5]
	v_mov_b32_e32 v3, 0
	s_mul_i32 s6, s9, s18
	v_mov_b32_e32 v2, s26
	v_add_u32_e32 v5, s6, v5
	v_mad_u64_u32 v[2:3], s[6:7], v4, s48, v[2:3]
	v_mov_b32_e32 v4, v3
	v_mad_u64_u32 v[4:5], s[6:7], v5, s48, v[4:5]
	v_mov_b32_e32 v3, v4
	v_lshlrev_b64 v[2:3], 2, v[2:3]
	v_mov_b32_e32 v5, s47
	v_add_co_u32_e32 v4, vcc, s46, v2
	v_addc_co_u32_e32 v5, vcc, v5, v3, vcc
	global_store_dword v[4:5], v19, off
	v_mov_b32_e32 v4, s45
	v_add_co_u32_e32 v2, vcc, s44, v2
	v_addc_co_u32_e32 v3, vcc, v4, v3, vcc
	global_store_dword v[2:3], v6, off
.LBB624_211:
	s_or_b64 exec, exec, s[4:5]
	v_lshl_or_b32 v30, v41, 9, v18
	s_waitcnt lgkmcnt(0)
	s_barrier
	s_load_dword s4, s[42:43], 0x0
	ds_read_b128 v[2:5], v30
	ds_read_b128 v[6:9], v30 offset:16
	ds_read_b128 v[10:13], v30 offset:2048
	;; [unrolled: 1-line block ×7, first 2 shown]
	v_mov_b32_e32 v35, 0x80
	v_mov_b32_e32 v54, 0x140
	s_mov_b64 s[10:11], -1
	s_waitcnt lgkmcnt(0)
	s_mov_b32 s5, s4
	s_mov_b32 s6, s4
	;; [unrolled: 1-line block ×3, first 2 shown]
	s_movk_i32 s9, 0x80
	s_movk_i32 s19, 0x7f
	s_mov_b32 s20, 0xffffff
	v_mov_b32_e32 v55, 0
	v_bfrev_b32_e32 v56, 60
	s_branch .LBB624_215
.LBB624_212:                            ;   in Loop: Header=BB624_215 Depth=1
	s_or_b64 exec, exec, s[16:17]
.LBB624_213:                            ;   in Loop: Header=BB624_215 Depth=1
	s_or_b64 exec, exec, s[14:15]
.LBB624_214:                            ;   in Loop: Header=BB624_215 Depth=1
	s_or_b64 exec, exec, s[12:13]
	v_cvt_pkrtz_f16_f32 v60, v46, v51
	v_cvt_pkrtz_f16_f32 v61, v44, v57
	s_xor_b64 s[12:13], s[10:11], -1
	s_mov_b64 s[10:11], 0
	v_mov_b32_e32 v46, v48
	v_mfma_f32_16x16x16f16 v[60:63], v[60:61], v[30:31], v[34:37]
	v_mov_b32_e32 v51, v50
	s_and_b64 vcc, exec, s[12:13]
	s_nop 4
	v_cvt_pkrtz_f16_f32 v36, v52, v58
	v_cvt_pkrtz_f16_f32 v37, v42, v59
	v_mov_b32_e32 v35, v47
	v_mov_b32_e32 v52, v49
	v_mfma_f32_16x16x16f16 v[58:61], v[36:37], v[32:33], v[60:63]
	s_nop 7
	s_nop 2
	v_pk_mul_f32 v[58:59], v[58:59], s[4:5]
	v_pk_mul_f32 v[36:37], v[60:61], s[6:7]
	v_cvt_f16_f32_e32 v34, v58
	v_cvt_f16_f32_e32 v38, v59
	;; [unrolled: 1-line block ×4, first 2 shown]
	v_pack_b32_f16 v34, v34, v38
	v_pack_b32_f16 v36, v36, v37
	buffer_store_dword v34, v54, s[0:3], 0 offen
	buffer_store_dword v36, v54, s[0:3], 0 offen offset:4
	v_mov_b32_e32 v54, 0x148
	s_cbranch_vccnz .LBB624_597
.LBB624_215:                            ; =>This Inner Loop Header: Depth=1
	buffer_load_dword v36, v35, s[0:3], 0 offen
	buffer_load_dword v34, v35, s[0:3], 0 offen offset:4
	buffer_load_dword v40, v35, s[0:3], 0 offen offset:8
	;; [unrolled: 1-line block ×3, first 2 shown]
	v_mov_b32_e32 v35, 0
	s_waitcnt vmcnt(3)
	v_cmp_ne_u16_sdwa s[14:15], v36, v55 src0_sel:BYTE_0 src1_sel:DWORD
	s_and_saveexec_b64 s[12:13], s[14:15]
	s_cbranch_execz .LBB624_221
; %bb.216:                              ;   in Loop: Header=BB624_215 Depth=1
	v_cmp_ne_u16_sdwa s[16:17], v36, s9 src0_sel:BYTE_0 src1_sel:DWORD
	v_bfrev_b32_e32 v35, 1
	s_and_saveexec_b64 s[14:15], s[16:17]
	s_cbranch_execz .LBB624_220
; %bb.217:                              ;   in Loop: Header=BB624_215 Depth=1
	v_and_b32_e32 v37, 0x7f, v36
	v_cmp_ne_u32_e32 vcc, s19, v37
	v_mov_b32_e32 v35, 0x7f800001
	s_and_saveexec_b64 s[16:17], vcc
	s_cbranch_execz .LBB624_219
; %bb.218:                              ;   in Loop: Header=BB624_215 Depth=1
	v_and_b32_e32 v35, 7, v36
	v_ffbh_u32_e32 v44, v35
	v_min_u32_e32 v44, 32, v44
	v_subrev_u32_e32 v57, 28, v44
	v_lshlrev_b64 v[58:59], v57, v[36:37]
	v_lshrrev_b32_e32 v42, 3, v37
	v_sub_u32_e32 v44, 29, v44
	v_and_b32_e32 v57, 7, v58
	v_cmp_gt_u32_e32 vcc, 8, v37
	v_cndmask_b32_e32 v37, v42, v44, vcc
	v_cndmask_b32_e32 v35, v35, v57, vcc
	v_lshlrev_b32_e32 v42, 24, v36
	v_lshlrev_b32_e32 v35, 20, v35
	v_and_b32_e32 v42, 0x80000000, v42
	v_lshl_add_u32 v37, v37, 23, v56
	v_or3_b32 v35, v42, v37, v35
.LBB624_219:                            ;   in Loop: Header=BB624_215 Depth=1
	s_or_b64 exec, exec, s[16:17]
.LBB624_220:                            ;   in Loop: Header=BB624_215 Depth=1
	s_or_b64 exec, exec, s[14:15]
.LBB624_221:                            ;   in Loop: Header=BB624_215 Depth=1
	s_or_b64 exec, exec, s[12:13]
	v_lshrrev_b16_e32 v42, 8, v36
	v_cmp_ne_u16_e32 vcc, 0, v42
	v_mov_b32_e32 v37, 0
	s_and_saveexec_b64 s[12:13], vcc
	s_cbranch_execz .LBB624_227
; %bb.222:                              ;   in Loop: Header=BB624_215 Depth=1
	v_cmp_ne_u16_e32 vcc, s9, v42
	v_bfrev_b32_e32 v37, 1
	s_and_saveexec_b64 s[14:15], vcc
	s_cbranch_execz .LBB624_226
; %bb.223:                              ;   in Loop: Header=BB624_215 Depth=1
	v_and_b32_e32 v44, 0x7f, v42
	v_cmp_ne_u32_e32 vcc, s19, v44
	v_mov_b32_e32 v37, 0x7f800001
	s_and_saveexec_b64 s[16:17], vcc
	s_cbranch_execz .LBB624_225
; %bb.224:                              ;   in Loop: Header=BB624_215 Depth=1
	v_and_b32_e32 v37, 7, v42
	v_ffbh_u32_e32 v58, v37
	v_min_u32_e32 v60, 32, v58
	v_subrev_u32_e32 v58, 28, v60
	v_lshlrev_b64 v[58:59], v58, v[42:43]
	v_lshrrev_b32_e32 v57, 3, v44
	v_sub_u32_e32 v42, 29, v60
	v_and_b32_e32 v58, 7, v58
	v_cmp_gt_u32_e32 vcc, 8, v44
	v_cndmask_b32_e32 v42, v57, v42, vcc
	v_cndmask_b32_e32 v37, v37, v58, vcc
	v_lshlrev_b32_e32 v44, 16, v36
	v_lshlrev_b32_e32 v37, 20, v37
	v_and_b32_e32 v44, 0x80000000, v44
	v_lshl_add_u32 v42, v42, 23, v56
	v_or3_b32 v37, v44, v42, v37
.LBB624_225:                            ;   in Loop: Header=BB624_215 Depth=1
	s_or_b64 exec, exec, s[16:17]
.LBB624_226:                            ;   in Loop: Header=BB624_215 Depth=1
	s_or_b64 exec, exec, s[14:15]
.LBB624_227:                            ;   in Loop: Header=BB624_215 Depth=1
	s_or_b64 exec, exec, s[12:13]
	v_lshrrev_b32_e32 v42, 16, v36
	v_cmp_ne_u16_sdwa s[14:15], v42, v55 src0_sel:BYTE_0 src1_sel:DWORD
	v_mov_b32_e32 v57, 0
	v_mov_b32_e32 v44, 0
	s_and_saveexec_b64 s[12:13], s[14:15]
	s_cbranch_execz .LBB624_233
; %bb.228:                              ;   in Loop: Header=BB624_215 Depth=1
	v_cmp_ne_u16_sdwa s[16:17], v42, s9 src0_sel:BYTE_0 src1_sel:DWORD
	v_bfrev_b32_e32 v44, 1
	s_and_saveexec_b64 s[14:15], s[16:17]
	s_cbranch_execz .LBB624_232
; %bb.229:                              ;   in Loop: Header=BB624_215 Depth=1
	v_bfe_u32 v58, v36, 16, 7
	v_cmp_ne_u32_e32 vcc, s19, v58
	v_mov_b32_e32 v44, 0x7f800001
	s_and_saveexec_b64 s[16:17], vcc
	s_cbranch_execz .LBB624_231
; %bb.230:                              ;   in Loop: Header=BB624_215 Depth=1
	v_and_b32_e32 v44, 7, v42
	v_ffbh_u32_e32 v60, v44
	v_min_u32_e32 v62, 32, v60
	v_subrev_u32_e32 v60, 28, v62
	v_lshlrev_b64 v[60:61], v60, v[42:43]
	v_lshrrev_b32_e32 v59, 3, v58
	v_sub_u32_e32 v61, 29, v62
	v_and_b32_e32 v60, 7, v60
	v_cmp_gt_u32_e32 vcc, 8, v58
	v_cndmask_b32_e32 v58, v59, v61, vcc
	v_cndmask_b32_e32 v44, v44, v60, vcc
	v_lshlrev_b32_e32 v42, 24, v42
	v_lshlrev_b32_e32 v44, 20, v44
	v_and_b32_e32 v42, 0x80000000, v42
	v_lshl_add_u32 v58, v58, 23, v56
	v_or3_b32 v44, v42, v58, v44
.LBB624_231:                            ;   in Loop: Header=BB624_215 Depth=1
	s_or_b64 exec, exec, s[16:17]
.LBB624_232:                            ;   in Loop: Header=BB624_215 Depth=1
	s_or_b64 exec, exec, s[14:15]
.LBB624_233:                            ;   in Loop: Header=BB624_215 Depth=1
	s_or_b64 exec, exec, s[12:13]
	v_cmp_lt_u32_e32 vcc, s20, v36
	s_and_saveexec_b64 s[12:13], vcc
	s_cbranch_execz .LBB624_239
; %bb.234:                              ;   in Loop: Header=BB624_215 Depth=1
	v_lshrrev_b32_e32 v42, 24, v36
	v_cmp_ne_u32_e32 vcc, s9, v42
	v_bfrev_b32_e32 v57, 1
	s_and_saveexec_b64 s[14:15], vcc
	s_cbranch_execz .LBB624_238
; %bb.235:                              ;   in Loop: Header=BB624_215 Depth=1
	v_bfe_u32 v36, v36, 24, 7
	v_cmp_ne_u32_e32 vcc, s19, v36
	v_mov_b32_e32 v57, 0x7f800001
	s_and_saveexec_b64 s[16:17], vcc
	s_cbranch_execz .LBB624_237
; %bb.236:                              ;   in Loop: Header=BB624_215 Depth=1
	v_and_b32_e32 v57, 7, v42
	v_ffbh_u32_e32 v58, v57
	v_min_u32_e32 v61, 32, v58
	v_subrev_u32_e32 v58, 28, v61
	v_lshlrev_b64 v[58:59], v58, v[42:43]
	v_lshrrev_b32_e32 v60, 3, v36
	v_sub_u32_e32 v59, 29, v61
	v_and_b32_e32 v58, 7, v58
	v_cmp_gt_u32_e32 vcc, 8, v36
	v_cndmask_b32_e32 v36, v60, v59, vcc
	v_cndmask_b32_e32 v57, v57, v58, vcc
	v_lshlrev_b32_e32 v42, 24, v42
	v_lshlrev_b32_e32 v57, 20, v57
	v_and_b32_e32 v42, 0x80000000, v42
	v_lshl_add_u32 v36, v36, 23, v56
	v_or3_b32 v57, v42, v36, v57
.LBB624_237:                            ;   in Loop: Header=BB624_215 Depth=1
	s_or_b64 exec, exec, s[16:17]
.LBB624_238:                            ;   in Loop: Header=BB624_215 Depth=1
	s_or_b64 exec, exec, s[14:15]
.LBB624_239:                            ;   in Loop: Header=BB624_215 Depth=1
	s_or_b64 exec, exec, s[12:13]
	s_waitcnt vmcnt(2)
	v_cmp_ne_u16_sdwa s[14:15], v34, v55 src0_sel:BYTE_0 src1_sel:DWORD
	v_mov_b32_e32 v42, 0
	v_mov_b32_e32 v58, 0
	s_and_saveexec_b64 s[12:13], s[14:15]
	s_cbranch_execz .LBB624_245
; %bb.240:                              ;   in Loop: Header=BB624_215 Depth=1
	v_cmp_ne_u16_sdwa s[16:17], v34, s9 src0_sel:BYTE_0 src1_sel:DWORD
	v_bfrev_b32_e32 v58, 1
	s_and_saveexec_b64 s[14:15], s[16:17]
	s_cbranch_execz .LBB624_244
; %bb.241:                              ;   in Loop: Header=BB624_215 Depth=1
	v_and_b32_e32 v36, 0x7f, v34
	v_cmp_ne_u32_e32 vcc, s19, v36
	v_mov_b32_e32 v58, 0x7f800001
	s_and_saveexec_b64 s[16:17], vcc
	s_cbranch_execz .LBB624_243
; %bb.242:                              ;   in Loop: Header=BB624_215 Depth=1
	v_and_b32_e32 v60, 7, v34
	v_ffbh_u32_e32 v58, v60
	v_min_u32_e32 v62, 32, v58
	v_subrev_u32_e32 v58, 28, v62
	v_lshlrev_b64 v[58:59], v58, v[34:35]
	v_lshrrev_b32_e32 v61, 3, v36
	v_sub_u32_e32 v59, 29, v62
	v_and_b32_e32 v58, 7, v58
	v_cmp_gt_u32_e32 vcc, 8, v36
	v_cndmask_b32_e32 v36, v61, v59, vcc
	v_cndmask_b32_e32 v58, v60, v58, vcc
	v_lshlrev_b32_e32 v59, 24, v34
	v_lshlrev_b32_e32 v58, 20, v58
	v_and_b32_e32 v59, 0x80000000, v59
	v_lshl_add_u32 v36, v36, 23, v56
	v_or3_b32 v58, v59, v36, v58
.LBB624_243:                            ;   in Loop: Header=BB624_215 Depth=1
	s_or_b64 exec, exec, s[16:17]
.LBB624_244:                            ;   in Loop: Header=BB624_215 Depth=1
	s_or_b64 exec, exec, s[14:15]
.LBB624_245:                            ;   in Loop: Header=BB624_215 Depth=1
	s_or_b64 exec, exec, s[12:13]
	v_lshrrev_b16_e32 v36, 8, v34
	v_cmp_ne_u16_e32 vcc, 0, v36
	s_and_saveexec_b64 s[12:13], vcc
	s_cbranch_execz .LBB624_251
; %bb.246:                              ;   in Loop: Header=BB624_215 Depth=1
	v_cmp_ne_u16_e32 vcc, s9, v36
	v_bfrev_b32_e32 v42, 1
	s_and_saveexec_b64 s[14:15], vcc
	s_cbranch_execz .LBB624_250
; %bb.247:                              ;   in Loop: Header=BB624_215 Depth=1
	v_and_b32_e32 v59, 0x7f, v36
	v_cmp_ne_u32_e32 vcc, s19, v59
	v_mov_b32_e32 v42, 0x7f800001
	s_and_saveexec_b64 s[16:17], vcc
	s_cbranch_execz .LBB624_249
; %bb.248:                              ;   in Loop: Header=BB624_215 Depth=1
	v_and_b32_e32 v42, 7, v36
	v_ffbh_u32_e32 v60, v42
	v_min_u32_e32 v63, 32, v60
	v_subrev_u32_e32 v60, 28, v63
	v_lshlrev_b64 v[60:61], v60, v[36:37]
	v_lshrrev_b32_e32 v62, 3, v59
	v_sub_u32_e32 v36, 29, v63
	v_and_b32_e32 v60, 7, v60
	v_cmp_gt_u32_e32 vcc, 8, v59
	v_cndmask_b32_e32 v36, v62, v36, vcc
	v_cndmask_b32_e32 v42, v42, v60, vcc
	v_lshlrev_b32_e32 v59, 16, v34
	v_lshlrev_b32_e32 v42, 20, v42
	v_and_b32_e32 v59, 0x80000000, v59
	v_lshl_add_u32 v36, v36, 23, v56
	v_or3_b32 v42, v59, v36, v42
.LBB624_249:                            ;   in Loop: Header=BB624_215 Depth=1
	s_or_b64 exec, exec, s[16:17]
.LBB624_250:                            ;   in Loop: Header=BB624_215 Depth=1
	s_or_b64 exec, exec, s[14:15]
.LBB624_251:                            ;   in Loop: Header=BB624_215 Depth=1
	s_or_b64 exec, exec, s[12:13]
	v_lshrrev_b32_e32 v36, 16, v34
	v_cmp_ne_u16_sdwa s[14:15], v36, v55 src0_sel:BYTE_0 src1_sel:DWORD
	v_mov_b32_e32 v60, 0
	v_mov_b32_e32 v59, 0
	s_and_saveexec_b64 s[12:13], s[14:15]
	s_cbranch_execz .LBB624_257
; %bb.252:                              ;   in Loop: Header=BB624_215 Depth=1
	v_cmp_ne_u16_sdwa s[16:17], v36, s9 src0_sel:BYTE_0 src1_sel:DWORD
	v_bfrev_b32_e32 v59, 1
	s_and_saveexec_b64 s[14:15], s[16:17]
	s_cbranch_execz .LBB624_256
; %bb.253:                              ;   in Loop: Header=BB624_215 Depth=1
	v_bfe_u32 v61, v34, 16, 7
	v_cmp_ne_u32_e32 vcc, s19, v61
	v_mov_b32_e32 v59, 0x7f800001
	s_and_saveexec_b64 s[16:17], vcc
	s_cbranch_execz .LBB624_255
; %bb.254:                              ;   in Loop: Header=BB624_215 Depth=1
	v_and_b32_e32 v59, 7, v36
	v_ffbh_u32_e32 v62, v59
	v_min_u32_e32 v65, 32, v62
	v_subrev_u32_e32 v62, 28, v65
	v_lshlrev_b64 v[62:63], v62, v[36:37]
	v_lshrrev_b32_e32 v64, 3, v61
	v_sub_u32_e32 v63, 29, v65
	v_and_b32_e32 v62, 7, v62
	v_cmp_gt_u32_e32 vcc, 8, v61
	v_cndmask_b32_e32 v61, v64, v63, vcc
	v_cndmask_b32_e32 v59, v59, v62, vcc
	v_lshlrev_b32_e32 v36, 24, v36
	v_lshlrev_b32_e32 v59, 20, v59
	v_and_b32_e32 v36, 0x80000000, v36
	v_lshl_add_u32 v61, v61, 23, v56
	v_or3_b32 v59, v36, v61, v59
.LBB624_255:                            ;   in Loop: Header=BB624_215 Depth=1
	s_or_b64 exec, exec, s[16:17]
.LBB624_256:                            ;   in Loop: Header=BB624_215 Depth=1
	s_or_b64 exec, exec, s[14:15]
.LBB624_257:                            ;   in Loop: Header=BB624_215 Depth=1
	s_or_b64 exec, exec, s[12:13]
	v_cmp_lt_u32_e32 vcc, s20, v34
	s_and_saveexec_b64 s[12:13], vcc
	s_cbranch_execz .LBB624_263
; %bb.258:                              ;   in Loop: Header=BB624_215 Depth=1
	v_lshrrev_b32_e32 v36, 24, v34
	v_cmp_ne_u32_e32 vcc, s9, v36
	v_bfrev_b32_e32 v60, 1
	s_and_saveexec_b64 s[14:15], vcc
	s_cbranch_execz .LBB624_262
; %bb.259:                              ;   in Loop: Header=BB624_215 Depth=1
	v_bfe_u32 v34, v34, 24, 7
	v_cmp_ne_u32_e32 vcc, s19, v34
	v_mov_b32_e32 v60, 0x7f800001
	s_and_saveexec_b64 s[16:17], vcc
	s_cbranch_execz .LBB624_261
; %bb.260:                              ;   in Loop: Header=BB624_215 Depth=1
	v_and_b32_e32 v62, 7, v36
	v_ffbh_u32_e32 v60, v62
	v_min_u32_e32 v64, 32, v60
	v_subrev_u32_e32 v60, 28, v64
	v_lshlrev_b64 v[60:61], v60, v[36:37]
	v_lshrrev_b32_e32 v63, 3, v34
	v_sub_u32_e32 v61, 29, v64
	v_and_b32_e32 v60, 7, v60
	v_cmp_gt_u32_e32 vcc, 8, v34
	v_cndmask_b32_e32 v34, v63, v61, vcc
	v_cndmask_b32_e32 v60, v62, v60, vcc
	v_lshlrev_b32_e32 v36, 24, v36
	v_lshlrev_b32_e32 v60, 20, v60
	v_and_b32_e32 v36, 0x80000000, v36
	v_lshl_add_u32 v34, v34, 23, v56
	v_or3_b32 v60, v36, v34, v60
.LBB624_261:                            ;   in Loop: Header=BB624_215 Depth=1
	s_or_b64 exec, exec, s[16:17]
.LBB624_262:                            ;   in Loop: Header=BB624_215 Depth=1
	s_or_b64 exec, exec, s[14:15]
.LBB624_263:                            ;   in Loop: Header=BB624_215 Depth=1
	s_or_b64 exec, exec, s[12:13]
	v_cvt_pkrtz_f16_f32 v34, v35, v37
	v_cvt_pkrtz_f16_f32 v35, v44, v57
	;; [unrolled: 1-line block ×4, first 2 shown]
	v_mov_b32_e32 v44, 0
	v_mfma_f32_16x16x16f16 v[34:37], v[34:35], v[2:3], 0
	s_waitcnt vmcnt(1)
	v_cmp_ne_u16_sdwa s[14:15], v40, v55 src0_sel:BYTE_0 src1_sel:DWORD
	v_mov_b32_e32 v58, 0
	v_mfma_f32_16x16x16f16 v[34:37], v[62:63], v[4:5], v[34:37]
	s_and_saveexec_b64 s[12:13], s[14:15]
	s_cbranch_execz .LBB624_269
; %bb.264:                              ;   in Loop: Header=BB624_215 Depth=1
	v_cmp_ne_u16_sdwa s[16:17], v40, s9 src0_sel:BYTE_0 src1_sel:DWORD
	v_bfrev_b32_e32 v58, 1
	s_and_saveexec_b64 s[14:15], s[16:17]
	s_cbranch_execz .LBB624_268
; %bb.265:                              ;   in Loop: Header=BB624_215 Depth=1
	v_and_b32_e32 v42, 0x7f, v40
	v_cmp_ne_u32_e32 vcc, s19, v42
	v_mov_b32_e32 v58, 0x7f800001
	s_and_saveexec_b64 s[16:17], vcc
	s_cbranch_execz .LBB624_267
; %bb.266:                              ;   in Loop: Header=BB624_215 Depth=1
	v_and_b32_e32 v57, 7, v40
	v_ffbh_u32_e32 v58, v57
	v_min_u32_e32 v61, 32, v58
	v_subrev_u32_e32 v58, 28, v61
	v_lshlrev_b64 v[58:59], v58, v[40:41]
	v_lshrrev_b32_e32 v60, 3, v42
	v_sub_u32_e32 v59, 29, v61
	v_and_b32_e32 v58, 7, v58
	v_cmp_gt_u32_e32 vcc, 8, v42
	v_cndmask_b32_e32 v42, v60, v59, vcc
	v_cndmask_b32_e32 v57, v57, v58, vcc
	v_lshlrev_b32_e32 v58, 24, v40
	v_lshlrev_b32_e32 v57, 20, v57
	v_and_b32_e32 v58, 0x80000000, v58
	v_lshl_add_u32 v42, v42, 23, v56
	v_or3_b32 v58, v58, v42, v57
.LBB624_267:                            ;   in Loop: Header=BB624_215 Depth=1
	s_or_b64 exec, exec, s[16:17]
.LBB624_268:                            ;   in Loop: Header=BB624_215 Depth=1
	s_or_b64 exec, exec, s[14:15]
.LBB624_269:                            ;   in Loop: Header=BB624_215 Depth=1
	s_or_b64 exec, exec, s[12:13]
	v_lshrrev_b16_e32 v42, 8, v40
	v_cmp_ne_u16_e32 vcc, 0, v42
	v_mov_b32_e32 v59, 0
	s_and_saveexec_b64 s[12:13], vcc
	s_cbranch_execz .LBB624_275
; %bb.270:                              ;   in Loop: Header=BB624_215 Depth=1
	v_cmp_ne_u16_e32 vcc, s9, v42
	v_bfrev_b32_e32 v59, 1
	s_and_saveexec_b64 s[14:15], vcc
	s_cbranch_execz .LBB624_274
; %bb.271:                              ;   in Loop: Header=BB624_215 Depth=1
	v_and_b32_e32 v57, 0x7f, v42
	v_cmp_ne_u32_e32 vcc, s19, v57
	v_mov_b32_e32 v59, 0x7f800001
	s_and_saveexec_b64 s[16:17], vcc
	s_cbranch_execz .LBB624_273
; %bb.272:                              ;   in Loop: Header=BB624_215 Depth=1
	v_and_b32_e32 v59, 7, v42
	v_ffbh_u32_e32 v60, v59
	v_min_u32_e32 v63, 32, v60
	v_subrev_u32_e32 v60, 28, v63
	v_lshlrev_b64 v[60:61], v60, v[42:43]
	v_lshrrev_b32_e32 v62, 3, v57
	v_sub_u32_e32 v42, 29, v63
	v_and_b32_e32 v60, 7, v60
	v_cmp_gt_u32_e32 vcc, 8, v57
	v_cndmask_b32_e32 v42, v62, v42, vcc
	v_cndmask_b32_e32 v57, v59, v60, vcc
	v_lshlrev_b32_e32 v59, 16, v40
	v_lshlrev_b32_e32 v57, 20, v57
	v_and_b32_e32 v59, 0x80000000, v59
	v_lshl_add_u32 v42, v42, 23, v56
	v_or3_b32 v59, v59, v42, v57
.LBB624_273:                            ;   in Loop: Header=BB624_215 Depth=1
	s_or_b64 exec, exec, s[16:17]
.LBB624_274:                            ;   in Loop: Header=BB624_215 Depth=1
	s_or_b64 exec, exec, s[14:15]
.LBB624_275:                            ;   in Loop: Header=BB624_215 Depth=1
	s_or_b64 exec, exec, s[12:13]
	v_lshrrev_b32_e32 v42, 16, v40
	v_cmp_ne_u16_sdwa s[14:15], v42, v55 src0_sel:BYTE_0 src1_sel:DWORD
	s_and_saveexec_b64 s[12:13], s[14:15]
	s_cbranch_execz .LBB624_281
; %bb.276:                              ;   in Loop: Header=BB624_215 Depth=1
	v_cmp_ne_u16_sdwa s[16:17], v42, s9 src0_sel:BYTE_0 src1_sel:DWORD
	v_bfrev_b32_e32 v44, 1
	s_and_saveexec_b64 s[14:15], s[16:17]
	s_cbranch_execz .LBB624_280
; %bb.277:                              ;   in Loop: Header=BB624_215 Depth=1
	v_bfe_u32 v57, v40, 16, 7
	v_cmp_ne_u32_e32 vcc, s19, v57
	v_mov_b32_e32 v44, 0x7f800001
	s_and_saveexec_b64 s[16:17], vcc
	s_cbranch_execz .LBB624_279
; %bb.278:                              ;   in Loop: Header=BB624_215 Depth=1
	v_and_b32_e32 v44, 7, v42
	v_ffbh_u32_e32 v60, v44
	v_min_u32_e32 v63, 32, v60
	v_subrev_u32_e32 v60, 28, v63
	v_lshlrev_b64 v[60:61], v60, v[42:43]
	v_lshrrev_b32_e32 v62, 3, v57
	v_sub_u32_e32 v61, 29, v63
	v_and_b32_e32 v60, 7, v60
	v_cmp_gt_u32_e32 vcc, 8, v57
	v_cndmask_b32_e32 v57, v62, v61, vcc
	v_cndmask_b32_e32 v44, v44, v60, vcc
	v_lshlrev_b32_e32 v42, 24, v42
	v_lshlrev_b32_e32 v44, 20, v44
	v_and_b32_e32 v42, 0x80000000, v42
	v_lshl_add_u32 v57, v57, 23, v56
	v_or3_b32 v44, v42, v57, v44
.LBB624_279:                            ;   in Loop: Header=BB624_215 Depth=1
	s_or_b64 exec, exec, s[16:17]
.LBB624_280:                            ;   in Loop: Header=BB624_215 Depth=1
	s_or_b64 exec, exec, s[14:15]
.LBB624_281:                            ;   in Loop: Header=BB624_215 Depth=1
	s_or_b64 exec, exec, s[12:13]
	v_cmp_lt_u32_e32 vcc, s20, v40
	v_mov_b32_e32 v60, 0
	v_mov_b32_e32 v61, 0
	s_and_saveexec_b64 s[12:13], vcc
	s_cbranch_execz .LBB624_287
; %bb.282:                              ;   in Loop: Header=BB624_215 Depth=1
	v_lshrrev_b32_e32 v42, 24, v40
	v_cmp_ne_u32_e32 vcc, s9, v42
	v_bfrev_b32_e32 v61, 1
	s_and_saveexec_b64 s[14:15], vcc
	s_cbranch_execz .LBB624_286
; %bb.283:                              ;   in Loop: Header=BB624_215 Depth=1
	v_bfe_u32 v40, v40, 24, 7
	v_cmp_ne_u32_e32 vcc, s19, v40
	v_mov_b32_e32 v61, 0x7f800001
	s_and_saveexec_b64 s[16:17], vcc
	s_cbranch_execz .LBB624_285
; %bb.284:                              ;   in Loop: Header=BB624_215 Depth=1
	v_and_b32_e32 v57, 7, v42
	v_ffbh_u32_e32 v62, v57
	v_min_u32_e32 v64, 32, v62
	v_subrev_u32_e32 v62, 28, v64
	v_lshlrev_b64 v[62:63], v62, v[42:43]
	v_lshrrev_b32_e32 v61, 3, v40
	v_sub_u32_e32 v63, 29, v64
	v_and_b32_e32 v62, 7, v62
	v_cmp_gt_u32_e32 vcc, 8, v40
	v_cndmask_b32_e32 v40, v61, v63, vcc
	v_cndmask_b32_e32 v57, v57, v62, vcc
	v_lshlrev_b32_e32 v42, 24, v42
	v_lshlrev_b32_e32 v57, 20, v57
	v_and_b32_e32 v42, 0x80000000, v42
	v_lshl_add_u32 v40, v40, 23, v56
	v_or3_b32 v61, v42, v40, v57
.LBB624_285:                            ;   in Loop: Header=BB624_215 Depth=1
	s_or_b64 exec, exec, s[16:17]
.LBB624_286:                            ;   in Loop: Header=BB624_215 Depth=1
	s_or_b64 exec, exec, s[14:15]
.LBB624_287:                            ;   in Loop: Header=BB624_215 Depth=1
	s_or_b64 exec, exec, s[12:13]
	s_waitcnt vmcnt(0)
	v_cmp_ne_u16_sdwa s[14:15], v38, v55 src0_sel:BYTE_0 src1_sel:DWORD
	s_and_saveexec_b64 s[12:13], s[14:15]
	s_cbranch_execz .LBB624_293
; %bb.288:                              ;   in Loop: Header=BB624_215 Depth=1
	v_cmp_ne_u16_sdwa s[16:17], v38, s9 src0_sel:BYTE_0 src1_sel:DWORD
	v_bfrev_b32_e32 v60, 1
	s_and_saveexec_b64 s[14:15], s[16:17]
	s_cbranch_execz .LBB624_292
; %bb.289:                              ;   in Loop: Header=BB624_215 Depth=1
	v_and_b32_e32 v40, 0x7f, v38
	v_cmp_ne_u32_e32 vcc, s19, v40
	v_mov_b32_e32 v60, 0x7f800001
	s_and_saveexec_b64 s[16:17], vcc
	s_cbranch_execz .LBB624_291
; %bb.290:                              ;   in Loop: Header=BB624_215 Depth=1
	v_and_b32_e32 v42, 7, v38
	v_ffbh_u32_e32 v60, v42
	v_min_u32_e32 v60, 32, v60
	v_subrev_u32_e32 v62, 28, v60
	v_lshlrev_b64 v[62:63], v62, v[38:39]
	v_lshrrev_b32_e32 v57, 3, v40
	v_sub_u32_e32 v60, 29, v60
	v_and_b32_e32 v62, 7, v62
	v_cmp_gt_u32_e32 vcc, 8, v40
	v_cndmask_b32_e32 v40, v57, v60, vcc
	v_cndmask_b32_e32 v42, v42, v62, vcc
	v_lshlrev_b32_e32 v57, 24, v38
	v_lshlrev_b32_e32 v42, 20, v42
	v_and_b32_e32 v57, 0x80000000, v57
	v_lshl_add_u32 v40, v40, 23, v56
	v_or3_b32 v60, v57, v40, v42
.LBB624_291:                            ;   in Loop: Header=BB624_215 Depth=1
	s_or_b64 exec, exec, s[16:17]
.LBB624_292:                            ;   in Loop: Header=BB624_215 Depth=1
	s_or_b64 exec, exec, s[14:15]
.LBB624_293:                            ;   in Loop: Header=BB624_215 Depth=1
	s_or_b64 exec, exec, s[12:13]
	v_lshrrev_b16_e32 v40, 8, v38
	v_cmp_ne_u16_e32 vcc, 0, v40
	v_mov_b32_e32 v62, 0
	v_mov_b32_e32 v63, 0
	s_and_saveexec_b64 s[12:13], vcc
	s_cbranch_execz .LBB624_299
; %bb.294:                              ;   in Loop: Header=BB624_215 Depth=1
	v_cmp_ne_u16_e32 vcc, s9, v40
	v_bfrev_b32_e32 v63, 1
	s_and_saveexec_b64 s[14:15], vcc
	s_cbranch_execz .LBB624_298
; %bb.295:                              ;   in Loop: Header=BB624_215 Depth=1
	v_and_b32_e32 v42, 0x7f, v40
	v_cmp_ne_u32_e32 vcc, s19, v42
	v_mov_b32_e32 v63, 0x7f800001
	s_and_saveexec_b64 s[16:17], vcc
	s_cbranch_execz .LBB624_297
; %bb.296:                              ;   in Loop: Header=BB624_215 Depth=1
	v_and_b32_e32 v57, 7, v40
	v_ffbh_u32_e32 v64, v57
	v_min_u32_e32 v66, 32, v64
	v_subrev_u32_e32 v64, 28, v66
	v_lshlrev_b64 v[64:65], v64, v[40:41]
	v_lshrrev_b32_e32 v63, 3, v42
	v_sub_u32_e32 v40, 29, v66
	v_and_b32_e32 v64, 7, v64
	v_cmp_gt_u32_e32 vcc, 8, v42
	v_cndmask_b32_e32 v40, v63, v40, vcc
	v_cndmask_b32_e32 v42, v57, v64, vcc
	v_lshlrev_b32_e32 v57, 16, v38
	v_lshlrev_b32_e32 v42, 20, v42
	v_and_b32_e32 v57, 0x80000000, v57
	v_lshl_add_u32 v40, v40, 23, v56
	v_or3_b32 v63, v57, v40, v42
.LBB624_297:                            ;   in Loop: Header=BB624_215 Depth=1
	s_or_b64 exec, exec, s[16:17]
.LBB624_298:                            ;   in Loop: Header=BB624_215 Depth=1
	s_or_b64 exec, exec, s[14:15]
.LBB624_299:                            ;   in Loop: Header=BB624_215 Depth=1
	s_or_b64 exec, exec, s[12:13]
	v_lshrrev_b32_e32 v40, 16, v38
	v_cmp_ne_u16_sdwa s[14:15], v40, v55 src0_sel:BYTE_0 src1_sel:DWORD
	s_and_saveexec_b64 s[12:13], s[14:15]
	s_cbranch_execz .LBB624_305
; %bb.300:                              ;   in Loop: Header=BB624_215 Depth=1
	v_cmp_ne_u16_sdwa s[16:17], v40, s9 src0_sel:BYTE_0 src1_sel:DWORD
	v_bfrev_b32_e32 v62, 1
	s_and_saveexec_b64 s[14:15], s[16:17]
	s_cbranch_execz .LBB624_304
; %bb.301:                              ;   in Loop: Header=BB624_215 Depth=1
	v_bfe_u32 v42, v38, 16, 7
	v_cmp_ne_u32_e32 vcc, s19, v42
	v_mov_b32_e32 v62, 0x7f800001
	s_and_saveexec_b64 s[16:17], vcc
	s_cbranch_execz .LBB624_303
; %bb.302:                              ;   in Loop: Header=BB624_215 Depth=1
	v_and_b32_e32 v57, 7, v40
	v_ffbh_u32_e32 v64, v57
	v_min_u32_e32 v66, 32, v64
	v_subrev_u32_e32 v64, 28, v66
	v_lshlrev_b64 v[64:65], v64, v[40:41]
	v_lshrrev_b32_e32 v62, 3, v42
	v_sub_u32_e32 v65, 29, v66
	v_and_b32_e32 v64, 7, v64
	v_cmp_gt_u32_e32 vcc, 8, v42
	v_cndmask_b32_e32 v42, v62, v65, vcc
	v_cndmask_b32_e32 v57, v57, v64, vcc
	v_lshlrev_b32_e32 v40, 24, v40
	v_lshlrev_b32_e32 v57, 20, v57
	v_and_b32_e32 v40, 0x80000000, v40
	v_lshl_add_u32 v42, v42, 23, v56
	v_or3_b32 v62, v40, v42, v57
.LBB624_303:                            ;   in Loop: Header=BB624_215 Depth=1
	s_or_b64 exec, exec, s[16:17]
.LBB624_304:                            ;   in Loop: Header=BB624_215 Depth=1
	s_or_b64 exec, exec, s[14:15]
.LBB624_305:                            ;   in Loop: Header=BB624_215 Depth=1
	s_or_b64 exec, exec, s[12:13]
	v_cmp_lt_u32_e32 vcc, s20, v38
	v_mov_b32_e32 v57, 0
	v_mov_b32_e32 v64, 0
	s_and_saveexec_b64 s[12:13], vcc
	s_cbranch_execz .LBB624_311
; %bb.306:                              ;   in Loop: Header=BB624_215 Depth=1
	v_lshrrev_b32_e32 v40, 24, v38
	v_cmp_ne_u32_e32 vcc, s9, v40
	v_bfrev_b32_e32 v64, 1
	s_and_saveexec_b64 s[14:15], vcc
	s_cbranch_execz .LBB624_310
; %bb.307:                              ;   in Loop: Header=BB624_215 Depth=1
	v_bfe_u32 v38, v38, 24, 7
	v_cmp_ne_u32_e32 vcc, s19, v38
	v_mov_b32_e32 v64, 0x7f800001
	s_and_saveexec_b64 s[16:17], vcc
	s_cbranch_execz .LBB624_309
; %bb.308:                              ;   in Loop: Header=BB624_215 Depth=1
	v_and_b32_e32 v42, 7, v40
	v_ffbh_u32_e32 v64, v42
	v_min_u32_e32 v67, 32, v64
	v_subrev_u32_e32 v64, 28, v67
	v_lshlrev_b64 v[64:65], v64, v[40:41]
	v_lshrrev_b32_e32 v66, 3, v38
	v_sub_u32_e32 v65, 29, v67
	v_and_b32_e32 v64, 7, v64
	v_cmp_gt_u32_e32 vcc, 8, v38
	v_cndmask_b32_e32 v38, v66, v65, vcc
	v_cndmask_b32_e32 v42, v42, v64, vcc
	v_lshlrev_b32_e32 v40, 24, v40
	v_lshlrev_b32_e32 v42, 20, v42
	v_and_b32_e32 v40, 0x80000000, v40
	v_lshl_add_u32 v38, v38, 23, v56
	v_or3_b32 v64, v40, v38, v42
.LBB624_309:                            ;   in Loop: Header=BB624_215 Depth=1
	s_or_b64 exec, exec, s[16:17]
.LBB624_310:                            ;   in Loop: Header=BB624_215 Depth=1
	s_or_b64 exec, exec, s[14:15]
.LBB624_311:                            ;   in Loop: Header=BB624_215 Depth=1
	s_or_b64 exec, exec, s[12:13]
	v_cvt_pkrtz_f16_f32 v58, v58, v59
	v_cvt_pkrtz_f16_f32 v59, v44, v61
	buffer_load_dword v44, v46, s[0:3], 0 offen
	buffer_load_dword v42, v46, s[0:3], 0 offen offset:4
	buffer_load_dword v40, v46, s[0:3], 0 offen offset:8
	;; [unrolled: 1-line block ×3, first 2 shown]
	v_mfma_f32_16x16x16f16 v[34:37], v[58:59], v[6:7], v[34:37]
	v_cvt_pkrtz_f16_f32 v58, v60, v63
	v_cvt_pkrtz_f16_f32 v59, v62, v64
	s_waitcnt vmcnt(3)
	v_cmp_ne_u16_sdwa s[14:15], v44, v55 src0_sel:BYTE_0 src1_sel:DWORD
	v_mfma_f32_16x16x16f16 v[34:37], v[58:59], v[8:9], v[34:37]
	s_and_saveexec_b64 s[12:13], s[14:15]
	s_cbranch_execz .LBB624_317
; %bb.312:                              ;   in Loop: Header=BB624_215 Depth=1
	v_cmp_ne_u16_sdwa s[16:17], v44, s9 src0_sel:BYTE_0 src1_sel:DWORD
	v_bfrev_b32_e32 v57, 1
	s_and_saveexec_b64 s[14:15], s[16:17]
	s_cbranch_execz .LBB624_316
; %bb.313:                              ;   in Loop: Header=BB624_215 Depth=1
	v_and_b32_e32 v46, 0x7f, v44
	v_cmp_ne_u32_e32 vcc, s19, v46
	v_mov_b32_e32 v57, 0x7f800001
	s_and_saveexec_b64 s[16:17], vcc
	s_cbranch_execz .LBB624_315
; %bb.314:                              ;   in Loop: Header=BB624_215 Depth=1
	v_and_b32_e32 v57, 7, v44
	v_ffbh_u32_e32 v58, v57
	v_min_u32_e32 v61, 32, v58
	v_subrev_u32_e32 v58, 28, v61
	v_lshlrev_b64 v[58:59], v58, v[44:45]
	v_lshrrev_b32_e32 v60, 3, v46
	v_sub_u32_e32 v59, 29, v61
	v_and_b32_e32 v58, 7, v58
	v_cmp_gt_u32_e32 vcc, 8, v46
	v_cndmask_b32_e32 v46, v60, v59, vcc
	v_cndmask_b32_e32 v57, v57, v58, vcc
	v_lshlrev_b32_e32 v58, 24, v44
	v_lshlrev_b32_e32 v57, 20, v57
	v_and_b32_e32 v58, 0x80000000, v58
	v_lshl_add_u32 v46, v46, 23, v56
	v_or3_b32 v57, v58, v46, v57
.LBB624_315:                            ;   in Loop: Header=BB624_215 Depth=1
	s_or_b64 exec, exec, s[16:17]
.LBB624_316:                            ;   in Loop: Header=BB624_215 Depth=1
	s_or_b64 exec, exec, s[14:15]
.LBB624_317:                            ;   in Loop: Header=BB624_215 Depth=1
	s_or_b64 exec, exec, s[12:13]
	v_lshrrev_b16_e32 v46, 8, v44
	v_cmp_ne_u16_e32 vcc, 0, v46
	v_mov_b32_e32 v58, 0
	v_mov_b32_e32 v59, 0
	s_and_saveexec_b64 s[12:13], vcc
	s_cbranch_execz .LBB624_323
; %bb.318:                              ;   in Loop: Header=BB624_215 Depth=1
	v_cmp_ne_u16_e32 vcc, s9, v46
	v_bfrev_b32_e32 v59, 1
	s_and_saveexec_b64 s[14:15], vcc
	s_cbranch_execz .LBB624_322
; %bb.319:                              ;   in Loop: Header=BB624_215 Depth=1
	v_and_b32_e32 v60, 0x7f, v46
	v_cmp_ne_u32_e32 vcc, s19, v60
	v_mov_b32_e32 v59, 0x7f800001
	s_and_saveexec_b64 s[16:17], vcc
	s_cbranch_execz .LBB624_321
; %bb.320:                              ;   in Loop: Header=BB624_215 Depth=1
	v_and_b32_e32 v59, 7, v46
	v_ffbh_u32_e32 v62, v59
	v_min_u32_e32 v64, 32, v62
	v_subrev_u32_e32 v62, 28, v64
	v_lshlrev_b64 v[62:63], v62, v[46:47]
	v_lshrrev_b32_e32 v61, 3, v60
	v_sub_u32_e32 v46, 29, v64
	v_and_b32_e32 v62, 7, v62
	v_cmp_gt_u32_e32 vcc, 8, v60
	v_cndmask_b32_e32 v46, v61, v46, vcc
	v_cndmask_b32_e32 v59, v59, v62, vcc
	v_lshlrev_b32_e32 v60, 16, v44
	v_lshlrev_b32_e32 v59, 20, v59
	v_and_b32_e32 v60, 0x80000000, v60
	v_lshl_add_u32 v46, v46, 23, v56
	v_or3_b32 v59, v60, v46, v59
.LBB624_321:                            ;   in Loop: Header=BB624_215 Depth=1
	s_or_b64 exec, exec, s[16:17]
.LBB624_322:                            ;   in Loop: Header=BB624_215 Depth=1
	s_or_b64 exec, exec, s[14:15]
.LBB624_323:                            ;   in Loop: Header=BB624_215 Depth=1
	s_or_b64 exec, exec, s[12:13]
	v_lshrrev_b32_e32 v46, 16, v44
	v_cmp_ne_u16_sdwa s[14:15], v46, v55 src0_sel:BYTE_0 src1_sel:DWORD
	s_and_saveexec_b64 s[12:13], s[14:15]
	s_cbranch_execz .LBB624_329
; %bb.324:                              ;   in Loop: Header=BB624_215 Depth=1
	v_cmp_ne_u16_sdwa s[16:17], v46, s9 src0_sel:BYTE_0 src1_sel:DWORD
	v_bfrev_b32_e32 v58, 1
	s_and_saveexec_b64 s[14:15], s[16:17]
	s_cbranch_execz .LBB624_328
; %bb.325:                              ;   in Loop: Header=BB624_215 Depth=1
	v_bfe_u32 v60, v44, 16, 7
	v_cmp_ne_u32_e32 vcc, s19, v60
	v_mov_b32_e32 v58, 0x7f800001
	s_and_saveexec_b64 s[16:17], vcc
	s_cbranch_execz .LBB624_327
; %bb.326:                              ;   in Loop: Header=BB624_215 Depth=1
	v_and_b32_e32 v58, 7, v46
	v_ffbh_u32_e32 v62, v58
	v_min_u32_e32 v64, 32, v62
	v_subrev_u32_e32 v62, 28, v64
	v_lshlrev_b64 v[62:63], v62, v[46:47]
	v_lshrrev_b32_e32 v61, 3, v60
	v_sub_u32_e32 v63, 29, v64
	v_and_b32_e32 v62, 7, v62
	v_cmp_gt_u32_e32 vcc, 8, v60
	v_cndmask_b32_e32 v60, v61, v63, vcc
	v_cndmask_b32_e32 v58, v58, v62, vcc
	v_lshlrev_b32_e32 v46, 24, v46
	v_lshlrev_b32_e32 v58, 20, v58
	v_and_b32_e32 v46, 0x80000000, v46
	v_lshl_add_u32 v60, v60, 23, v56
	v_or3_b32 v58, v46, v60, v58
.LBB624_327:                            ;   in Loop: Header=BB624_215 Depth=1
	s_or_b64 exec, exec, s[16:17]
.LBB624_328:                            ;   in Loop: Header=BB624_215 Depth=1
	s_or_b64 exec, exec, s[14:15]
.LBB624_329:                            ;   in Loop: Header=BB624_215 Depth=1
	s_or_b64 exec, exec, s[12:13]
	v_cmp_lt_u32_e32 vcc, s20, v44
	v_mov_b32_e32 v60, 0
	v_mov_b32_e32 v61, 0
	s_and_saveexec_b64 s[12:13], vcc
	s_cbranch_execz .LBB624_335
; %bb.330:                              ;   in Loop: Header=BB624_215 Depth=1
	v_lshrrev_b32_e32 v46, 24, v44
	v_cmp_ne_u32_e32 vcc, s9, v46
	v_bfrev_b32_e32 v61, 1
	s_and_saveexec_b64 s[14:15], vcc
	s_cbranch_execz .LBB624_334
; %bb.331:                              ;   in Loop: Header=BB624_215 Depth=1
	v_bfe_u32 v44, v44, 24, 7
	v_cmp_ne_u32_e32 vcc, s19, v44
	v_mov_b32_e32 v61, 0x7f800001
	s_and_saveexec_b64 s[16:17], vcc
	s_cbranch_execz .LBB624_333
; %bb.332:                              ;   in Loop: Header=BB624_215 Depth=1
	v_and_b32_e32 v61, 7, v46
	v_ffbh_u32_e32 v62, v61
	v_min_u32_e32 v65, 32, v62
	v_subrev_u32_e32 v62, 28, v65
	v_lshlrev_b64 v[62:63], v62, v[46:47]
	v_lshrrev_b32_e32 v64, 3, v44
	v_sub_u32_e32 v63, 29, v65
	v_and_b32_e32 v62, 7, v62
	v_cmp_gt_u32_e32 vcc, 8, v44
	v_cndmask_b32_e32 v44, v64, v63, vcc
	v_cndmask_b32_e32 v61, v61, v62, vcc
	v_lshlrev_b32_e32 v46, 24, v46
	v_lshlrev_b32_e32 v61, 20, v61
	v_and_b32_e32 v46, 0x80000000, v46
	v_lshl_add_u32 v44, v44, 23, v56
	v_or3_b32 v61, v46, v44, v61
.LBB624_333:                            ;   in Loop: Header=BB624_215 Depth=1
	s_or_b64 exec, exec, s[16:17]
.LBB624_334:                            ;   in Loop: Header=BB624_215 Depth=1
	s_or_b64 exec, exec, s[14:15]
.LBB624_335:                            ;   in Loop: Header=BB624_215 Depth=1
	s_or_b64 exec, exec, s[12:13]
	s_waitcnt vmcnt(2)
	v_cmp_ne_u16_sdwa s[14:15], v42, v55 src0_sel:BYTE_0 src1_sel:DWORD
	s_and_saveexec_b64 s[12:13], s[14:15]
	s_cbranch_execz .LBB624_341
; %bb.336:                              ;   in Loop: Header=BB624_215 Depth=1
	v_cmp_ne_u16_sdwa s[16:17], v42, s9 src0_sel:BYTE_0 src1_sel:DWORD
	v_bfrev_b32_e32 v60, 1
	s_and_saveexec_b64 s[14:15], s[16:17]
	s_cbranch_execz .LBB624_340
; %bb.337:                              ;   in Loop: Header=BB624_215 Depth=1
	v_and_b32_e32 v44, 0x7f, v42
	v_cmp_ne_u32_e32 vcc, s19, v44
	v_mov_b32_e32 v60, 0x7f800001
	s_and_saveexec_b64 s[16:17], vcc
	s_cbranch_execz .LBB624_339
; %bb.338:                              ;   in Loop: Header=BB624_215 Depth=1
	v_and_b32_e32 v46, 7, v42
	v_ffbh_u32_e32 v62, v46
	v_min_u32_e32 v64, 32, v62
	v_subrev_u32_e32 v62, 28, v64
	v_lshlrev_b64 v[62:63], v62, v[42:43]
	v_lshrrev_b32_e32 v60, 3, v44
	v_sub_u32_e32 v63, 29, v64
	v_and_b32_e32 v62, 7, v62
	v_cmp_gt_u32_e32 vcc, 8, v44
	v_cndmask_b32_e32 v44, v60, v63, vcc
	v_cndmask_b32_e32 v46, v46, v62, vcc
	v_lshlrev_b32_e32 v60, 24, v42
	v_lshlrev_b32_e32 v46, 20, v46
	v_and_b32_e32 v60, 0x80000000, v60
	v_lshl_add_u32 v44, v44, 23, v56
	v_or3_b32 v60, v60, v44, v46
.LBB624_339:                            ;   in Loop: Header=BB624_215 Depth=1
	s_or_b64 exec, exec, s[16:17]
.LBB624_340:                            ;   in Loop: Header=BB624_215 Depth=1
	s_or_b64 exec, exec, s[14:15]
.LBB624_341:                            ;   in Loop: Header=BB624_215 Depth=1
	s_or_b64 exec, exec, s[12:13]
	v_lshrrev_b16_e32 v44, 8, v42
	v_cmp_ne_u16_e32 vcc, 0, v44
	v_mov_b32_e32 v62, 0
	v_mov_b32_e32 v63, 0
	s_and_saveexec_b64 s[12:13], vcc
	s_cbranch_execz .LBB624_347
; %bb.342:                              ;   in Loop: Header=BB624_215 Depth=1
	v_cmp_ne_u16_e32 vcc, s9, v44
	v_bfrev_b32_e32 v63, 1
	s_and_saveexec_b64 s[14:15], vcc
	s_cbranch_execz .LBB624_346
; %bb.343:                              ;   in Loop: Header=BB624_215 Depth=1
	v_and_b32_e32 v46, 0x7f, v44
	v_cmp_ne_u32_e32 vcc, s19, v46
	v_mov_b32_e32 v63, 0x7f800001
	s_and_saveexec_b64 s[16:17], vcc
	s_cbranch_execz .LBB624_345
; %bb.344:                              ;   in Loop: Header=BB624_215 Depth=1
	v_and_b32_e32 v63, 7, v44
	v_ffbh_u32_e32 v64, v63
	v_min_u32_e32 v67, 32, v64
	v_subrev_u32_e32 v64, 28, v67
	v_lshlrev_b64 v[64:65], v64, v[44:45]
	v_lshrrev_b32_e32 v66, 3, v46
	v_sub_u32_e32 v44, 29, v67
	v_and_b32_e32 v64, 7, v64
	v_cmp_gt_u32_e32 vcc, 8, v46
	v_cndmask_b32_e32 v44, v66, v44, vcc
	v_cndmask_b32_e32 v46, v63, v64, vcc
	v_lshlrev_b32_e32 v63, 16, v42
	v_lshlrev_b32_e32 v46, 20, v46
	v_and_b32_e32 v63, 0x80000000, v63
	v_lshl_add_u32 v44, v44, 23, v56
	v_or3_b32 v63, v63, v44, v46
.LBB624_345:                            ;   in Loop: Header=BB624_215 Depth=1
	s_or_b64 exec, exec, s[16:17]
.LBB624_346:                            ;   in Loop: Header=BB624_215 Depth=1
	s_or_b64 exec, exec, s[14:15]
.LBB624_347:                            ;   in Loop: Header=BB624_215 Depth=1
	s_or_b64 exec, exec, s[12:13]
	v_lshrrev_b32_e32 v44, 16, v42
	v_cmp_ne_u16_sdwa s[14:15], v44, v55 src0_sel:BYTE_0 src1_sel:DWORD
	s_and_saveexec_b64 s[12:13], s[14:15]
	s_cbranch_execz .LBB624_353
; %bb.348:                              ;   in Loop: Header=BB624_215 Depth=1
	v_cmp_ne_u16_sdwa s[16:17], v44, s9 src0_sel:BYTE_0 src1_sel:DWORD
	v_bfrev_b32_e32 v62, 1
	s_and_saveexec_b64 s[14:15], s[16:17]
	s_cbranch_execz .LBB624_352
; %bb.349:                              ;   in Loop: Header=BB624_215 Depth=1
	v_bfe_u32 v46, v42, 16, 7
	v_cmp_ne_u32_e32 vcc, s19, v46
	v_mov_b32_e32 v62, 0x7f800001
	s_and_saveexec_b64 s[16:17], vcc
	s_cbranch_execz .LBB624_351
; %bb.350:                              ;   in Loop: Header=BB624_215 Depth=1
	v_and_b32_e32 v62, 7, v44
	v_ffbh_u32_e32 v64, v62
	v_min_u32_e32 v67, 32, v64
	v_subrev_u32_e32 v64, 28, v67
	v_lshlrev_b64 v[64:65], v64, v[44:45]
	v_lshrrev_b32_e32 v66, 3, v46
	v_sub_u32_e32 v65, 29, v67
	v_and_b32_e32 v64, 7, v64
	v_cmp_gt_u32_e32 vcc, 8, v46
	v_cndmask_b32_e32 v46, v66, v65, vcc
	v_cndmask_b32_e32 v62, v62, v64, vcc
	v_lshlrev_b32_e32 v44, 24, v44
	v_lshlrev_b32_e32 v62, 20, v62
	v_and_b32_e32 v44, 0x80000000, v44
	v_lshl_add_u32 v46, v46, 23, v56
	v_or3_b32 v62, v44, v46, v62
.LBB624_351:                            ;   in Loop: Header=BB624_215 Depth=1
	s_or_b64 exec, exec, s[16:17]
.LBB624_352:                            ;   in Loop: Header=BB624_215 Depth=1
	s_or_b64 exec, exec, s[14:15]
.LBB624_353:                            ;   in Loop: Header=BB624_215 Depth=1
	s_or_b64 exec, exec, s[12:13]
	v_cmp_lt_u32_e32 vcc, s20, v42
	v_mov_b32_e32 v46, 0
	v_mov_b32_e32 v64, 0
	s_and_saveexec_b64 s[12:13], vcc
	s_cbranch_execz .LBB624_359
; %bb.354:                              ;   in Loop: Header=BB624_215 Depth=1
	v_lshrrev_b32_e32 v44, 24, v42
	v_cmp_ne_u32_e32 vcc, s9, v44
	v_bfrev_b32_e32 v64, 1
	s_and_saveexec_b64 s[14:15], vcc
	s_cbranch_execz .LBB624_358
; %bb.355:                              ;   in Loop: Header=BB624_215 Depth=1
	v_bfe_u32 v42, v42, 24, 7
	v_cmp_ne_u32_e32 vcc, s19, v42
	v_mov_b32_e32 v64, 0x7f800001
	s_and_saveexec_b64 s[16:17], vcc
	s_cbranch_execz .LBB624_357
; %bb.356:                              ;   in Loop: Header=BB624_215 Depth=1
	v_and_b32_e32 v66, 7, v44
	v_ffbh_u32_e32 v64, v66
	v_min_u32_e32 v68, 32, v64
	v_subrev_u32_e32 v64, 28, v68
	v_lshlrev_b64 v[64:65], v64, v[44:45]
	v_lshrrev_b32_e32 v67, 3, v42
	v_sub_u32_e32 v65, 29, v68
	v_and_b32_e32 v64, 7, v64
	v_cmp_gt_u32_e32 vcc, 8, v42
	v_cndmask_b32_e32 v42, v67, v65, vcc
	v_cndmask_b32_e32 v64, v66, v64, vcc
	v_lshlrev_b32_e32 v44, 24, v44
	v_lshlrev_b32_e32 v64, 20, v64
	v_and_b32_e32 v44, 0x80000000, v44
	v_lshl_add_u32 v42, v42, 23, v56
	v_or3_b32 v64, v44, v42, v64
.LBB624_357:                            ;   in Loop: Header=BB624_215 Depth=1
	s_or_b64 exec, exec, s[16:17]
.LBB624_358:                            ;   in Loop: Header=BB624_215 Depth=1
	s_or_b64 exec, exec, s[14:15]
.LBB624_359:                            ;   in Loop: Header=BB624_215 Depth=1
	s_or_b64 exec, exec, s[12:13]
	v_cvt_pkrtz_f16_f32 v66, v57, v59
	v_cvt_pkrtz_f16_f32 v67, v58, v61
	;; [unrolled: 1-line block ×4, first 2 shown]
	s_waitcnt vmcnt(1)
	v_cmp_ne_u16_sdwa s[14:15], v40, v55 src0_sel:BYTE_0 src1_sel:DWORD
	v_mfma_f32_16x16x16f16 v[34:37], v[66:67], v[10:11], v[34:37]
	v_mfma_f32_16x16x16f16 v[34:37], v[58:59], v[12:13], v[34:37]
	s_and_saveexec_b64 s[12:13], s[14:15]
	s_cbranch_execz .LBB624_365
; %bb.360:                              ;   in Loop: Header=BB624_215 Depth=1
	v_cmp_ne_u16_sdwa s[16:17], v40, s9 src0_sel:BYTE_0 src1_sel:DWORD
	v_bfrev_b32_e32 v46, 1
	s_and_saveexec_b64 s[14:15], s[16:17]
	s_cbranch_execz .LBB624_364
; %bb.361:                              ;   in Loop: Header=BB624_215 Depth=1
	v_and_b32_e32 v42, 0x7f, v40
	v_cmp_ne_u32_e32 vcc, s19, v42
	v_mov_b32_e32 v46, 0x7f800001
	s_and_saveexec_b64 s[16:17], vcc
	s_cbranch_execz .LBB624_363
; %bb.362:                              ;   in Loop: Header=BB624_215 Depth=1
	v_and_b32_e32 v44, 7, v40
	v_ffbh_u32_e32 v57, v44
	v_min_u32_e32 v57, 32, v57
	v_subrev_u32_e32 v58, 28, v57
	v_lshlrev_b64 v[58:59], v58, v[40:41]
	v_lshrrev_b32_e32 v46, 3, v42
	v_sub_u32_e32 v57, 29, v57
	v_and_b32_e32 v58, 7, v58
	v_cmp_gt_u32_e32 vcc, 8, v42
	v_cndmask_b32_e32 v42, v46, v57, vcc
	v_cndmask_b32_e32 v44, v44, v58, vcc
	v_lshlrev_b32_e32 v46, 24, v40
	v_lshlrev_b32_e32 v44, 20, v44
	v_and_b32_e32 v46, 0x80000000, v46
	v_lshl_add_u32 v42, v42, 23, v56
	v_or3_b32 v46, v46, v42, v44
.LBB624_363:                            ;   in Loop: Header=BB624_215 Depth=1
	s_or_b64 exec, exec, s[16:17]
.LBB624_364:                            ;   in Loop: Header=BB624_215 Depth=1
	s_or_b64 exec, exec, s[14:15]
.LBB624_365:                            ;   in Loop: Header=BB624_215 Depth=1
	s_or_b64 exec, exec, s[12:13]
	v_lshrrev_b16_e32 v42, 8, v40
	v_cmp_ne_u16_e32 vcc, 0, v42
	v_mov_b32_e32 v44, 0
	v_mov_b32_e32 v58, 0
	s_and_saveexec_b64 s[12:13], vcc
	s_cbranch_execz .LBB624_371
; %bb.366:                              ;   in Loop: Header=BB624_215 Depth=1
	v_cmp_ne_u16_e32 vcc, s9, v42
	v_bfrev_b32_e32 v58, 1
	s_and_saveexec_b64 s[14:15], vcc
	s_cbranch_execz .LBB624_370
; %bb.367:                              ;   in Loop: Header=BB624_215 Depth=1
	v_and_b32_e32 v57, 0x7f, v42
	v_cmp_ne_u32_e32 vcc, s19, v57
	v_mov_b32_e32 v58, 0x7f800001
	s_and_saveexec_b64 s[16:17], vcc
	s_cbranch_execz .LBB624_369
; %bb.368:                              ;   in Loop: Header=BB624_215 Depth=1
	v_and_b32_e32 v60, 7, v42
	v_ffbh_u32_e32 v58, v60
	v_min_u32_e32 v62, 32, v58
	v_subrev_u32_e32 v58, 28, v62
	v_lshlrev_b64 v[58:59], v58, v[42:43]
	v_lshrrev_b32_e32 v61, 3, v57
	v_sub_u32_e32 v42, 29, v62
	v_and_b32_e32 v58, 7, v58
	v_cmp_gt_u32_e32 vcc, 8, v57
	v_cndmask_b32_e32 v42, v61, v42, vcc
	v_cndmask_b32_e32 v57, v60, v58, vcc
	v_lshlrev_b32_e32 v58, 16, v40
	v_lshlrev_b32_e32 v57, 20, v57
	v_and_b32_e32 v58, 0x80000000, v58
	v_lshl_add_u32 v42, v42, 23, v56
	v_or3_b32 v58, v58, v42, v57
.LBB624_369:                            ;   in Loop: Header=BB624_215 Depth=1
	s_or_b64 exec, exec, s[16:17]
.LBB624_370:                            ;   in Loop: Header=BB624_215 Depth=1
	s_or_b64 exec, exec, s[14:15]
.LBB624_371:                            ;   in Loop: Header=BB624_215 Depth=1
	s_or_b64 exec, exec, s[12:13]
	v_lshrrev_b32_e32 v42, 16, v40
	v_cmp_ne_u16_sdwa s[14:15], v42, v55 src0_sel:BYTE_0 src1_sel:DWORD
	s_and_saveexec_b64 s[12:13], s[14:15]
	s_cbranch_execz .LBB624_377
; %bb.372:                              ;   in Loop: Header=BB624_215 Depth=1
	v_cmp_ne_u16_sdwa s[16:17], v42, s9 src0_sel:BYTE_0 src1_sel:DWORD
	v_bfrev_b32_e32 v44, 1
	s_and_saveexec_b64 s[14:15], s[16:17]
	s_cbranch_execz .LBB624_376
; %bb.373:                              ;   in Loop: Header=BB624_215 Depth=1
	v_bfe_u32 v57, v40, 16, 7
	v_cmp_ne_u32_e32 vcc, s19, v57
	v_mov_b32_e32 v44, 0x7f800001
	s_and_saveexec_b64 s[16:17], vcc
	s_cbranch_execz .LBB624_375
; %bb.374:                              ;   in Loop: Header=BB624_215 Depth=1
	v_and_b32_e32 v44, 7, v42
	v_ffbh_u32_e32 v60, v44
	v_min_u32_e32 v62, 32, v60
	v_subrev_u32_e32 v60, 28, v62
	v_lshlrev_b64 v[60:61], v60, v[42:43]
	v_lshrrev_b32_e32 v59, 3, v57
	v_sub_u32_e32 v61, 29, v62
	v_and_b32_e32 v60, 7, v60
	v_cmp_gt_u32_e32 vcc, 8, v57
	v_cndmask_b32_e32 v57, v59, v61, vcc
	v_cndmask_b32_e32 v44, v44, v60, vcc
	v_lshlrev_b32_e32 v42, 24, v42
	v_lshlrev_b32_e32 v44, 20, v44
	v_and_b32_e32 v42, 0x80000000, v42
	v_lshl_add_u32 v57, v57, 23, v56
	v_or3_b32 v44, v42, v57, v44
.LBB624_375:                            ;   in Loop: Header=BB624_215 Depth=1
	s_or_b64 exec, exec, s[16:17]
.LBB624_376:                            ;   in Loop: Header=BB624_215 Depth=1
	s_or_b64 exec, exec, s[14:15]
.LBB624_377:                            ;   in Loop: Header=BB624_215 Depth=1
	s_or_b64 exec, exec, s[12:13]
	v_cmp_lt_u32_e32 vcc, s20, v40
	v_mov_b32_e32 v59, 0
	v_mov_b32_e32 v60, 0
	s_and_saveexec_b64 s[12:13], vcc
	s_cbranch_execz .LBB624_383
; %bb.378:                              ;   in Loop: Header=BB624_215 Depth=1
	v_lshrrev_b32_e32 v42, 24, v40
	v_cmp_ne_u32_e32 vcc, s9, v42
	v_bfrev_b32_e32 v60, 1
	s_and_saveexec_b64 s[14:15], vcc
	s_cbranch_execz .LBB624_382
; %bb.379:                              ;   in Loop: Header=BB624_215 Depth=1
	v_bfe_u32 v40, v40, 24, 7
	v_cmp_ne_u32_e32 vcc, s19, v40
	v_mov_b32_e32 v60, 0x7f800001
	s_and_saveexec_b64 s[16:17], vcc
	s_cbranch_execz .LBB624_381
; %bb.380:                              ;   in Loop: Header=BB624_215 Depth=1
	v_and_b32_e32 v57, 7, v42
	v_ffbh_u32_e32 v60, v57
	v_min_u32_e32 v63, 32, v60
	v_subrev_u32_e32 v60, 28, v63
	v_lshlrev_b64 v[60:61], v60, v[42:43]
	v_lshrrev_b32_e32 v62, 3, v40
	v_sub_u32_e32 v61, 29, v63
	v_and_b32_e32 v60, 7, v60
	v_cmp_gt_u32_e32 vcc, 8, v40
	v_cndmask_b32_e32 v40, v62, v61, vcc
	v_cndmask_b32_e32 v57, v57, v60, vcc
	v_lshlrev_b32_e32 v42, 24, v42
	v_lshlrev_b32_e32 v57, 20, v57
	v_and_b32_e32 v42, 0x80000000, v42
	v_lshl_add_u32 v40, v40, 23, v56
	v_or3_b32 v60, v42, v40, v57
.LBB624_381:                            ;   in Loop: Header=BB624_215 Depth=1
	s_or_b64 exec, exec, s[16:17]
.LBB624_382:                            ;   in Loop: Header=BB624_215 Depth=1
	s_or_b64 exec, exec, s[14:15]
.LBB624_383:                            ;   in Loop: Header=BB624_215 Depth=1
	s_or_b64 exec, exec, s[12:13]
	s_waitcnt vmcnt(0)
	v_cmp_ne_u16_sdwa s[14:15], v38, v55 src0_sel:BYTE_0 src1_sel:DWORD
	s_and_saveexec_b64 s[12:13], s[14:15]
	s_cbranch_execz .LBB624_389
; %bb.384:                              ;   in Loop: Header=BB624_215 Depth=1
	v_cmp_ne_u16_sdwa s[16:17], v38, s9 src0_sel:BYTE_0 src1_sel:DWORD
	v_bfrev_b32_e32 v59, 1
	s_and_saveexec_b64 s[14:15], s[16:17]
	s_cbranch_execz .LBB624_388
; %bb.385:                              ;   in Loop: Header=BB624_215 Depth=1
	v_and_b32_e32 v40, 0x7f, v38
	v_cmp_ne_u32_e32 vcc, s19, v40
	v_mov_b32_e32 v59, 0x7f800001
	s_and_saveexec_b64 s[16:17], vcc
	s_cbranch_execz .LBB624_387
; %bb.386:                              ;   in Loop: Header=BB624_215 Depth=1
	v_and_b32_e32 v42, 7, v38
	v_ffbh_u32_e32 v59, v42
	v_min_u32_e32 v59, 32, v59
	v_subrev_u32_e32 v61, 28, v59
	v_lshlrev_b64 v[62:63], v61, v[38:39]
	v_lshrrev_b32_e32 v57, 3, v40
	v_sub_u32_e32 v59, 29, v59
	v_and_b32_e32 v61, 7, v62
	v_cmp_gt_u32_e32 vcc, 8, v40
	v_cndmask_b32_e32 v40, v57, v59, vcc
	v_cndmask_b32_e32 v42, v42, v61, vcc
	v_lshlrev_b32_e32 v57, 24, v38
	v_lshlrev_b32_e32 v42, 20, v42
	v_and_b32_e32 v57, 0x80000000, v57
	v_lshl_add_u32 v40, v40, 23, v56
	v_or3_b32 v59, v57, v40, v42
.LBB624_387:                            ;   in Loop: Header=BB624_215 Depth=1
	s_or_b64 exec, exec, s[16:17]
.LBB624_388:                            ;   in Loop: Header=BB624_215 Depth=1
	s_or_b64 exec, exec, s[14:15]
.LBB624_389:                            ;   in Loop: Header=BB624_215 Depth=1
	s_or_b64 exec, exec, s[12:13]
	v_lshrrev_b16_e32 v40, 8, v38
	v_cmp_ne_u16_e32 vcc, 0, v40
	v_mov_b32_e32 v61, 0
	v_mov_b32_e32 v62, 0
	s_and_saveexec_b64 s[12:13], vcc
	s_cbranch_execz .LBB624_395
; %bb.390:                              ;   in Loop: Header=BB624_215 Depth=1
	v_cmp_ne_u16_e32 vcc, s9, v40
	v_bfrev_b32_e32 v62, 1
	s_and_saveexec_b64 s[14:15], vcc
	s_cbranch_execz .LBB624_394
; %bb.391:                              ;   in Loop: Header=BB624_215 Depth=1
	v_and_b32_e32 v42, 0x7f, v40
	v_cmp_ne_u32_e32 vcc, s19, v42
	v_mov_b32_e32 v62, 0x7f800001
	s_and_saveexec_b64 s[16:17], vcc
	s_cbranch_execz .LBB624_393
; %bb.392:                              ;   in Loop: Header=BB624_215 Depth=1
	v_and_b32_e32 v57, 7, v40
	v_ffbh_u32_e32 v62, v57
	v_min_u32_e32 v65, 32, v62
	v_subrev_u32_e32 v62, 28, v65
	v_lshlrev_b64 v[62:63], v62, v[40:41]
	v_lshrrev_b32_e32 v64, 3, v42
	v_sub_u32_e32 v40, 29, v65
	v_and_b32_e32 v62, 7, v62
	v_cmp_gt_u32_e32 vcc, 8, v42
	v_cndmask_b32_e32 v40, v64, v40, vcc
	v_cndmask_b32_e32 v42, v57, v62, vcc
	v_lshlrev_b32_e32 v57, 16, v38
	v_lshlrev_b32_e32 v42, 20, v42
	v_and_b32_e32 v57, 0x80000000, v57
	v_lshl_add_u32 v40, v40, 23, v56
	v_or3_b32 v62, v57, v40, v42
.LBB624_393:                            ;   in Loop: Header=BB624_215 Depth=1
	s_or_b64 exec, exec, s[16:17]
.LBB624_394:                            ;   in Loop: Header=BB624_215 Depth=1
	s_or_b64 exec, exec, s[14:15]
.LBB624_395:                            ;   in Loop: Header=BB624_215 Depth=1
	s_or_b64 exec, exec, s[12:13]
	v_lshrrev_b32_e32 v40, 16, v38
	v_cmp_ne_u16_sdwa s[14:15], v40, v55 src0_sel:BYTE_0 src1_sel:DWORD
	s_and_saveexec_b64 s[12:13], s[14:15]
	s_cbranch_execz .LBB624_401
; %bb.396:                              ;   in Loop: Header=BB624_215 Depth=1
	v_cmp_ne_u16_sdwa s[16:17], v40, s9 src0_sel:BYTE_0 src1_sel:DWORD
	v_bfrev_b32_e32 v61, 1
	s_and_saveexec_b64 s[14:15], s[16:17]
	s_cbranch_execz .LBB624_400
; %bb.397:                              ;   in Loop: Header=BB624_215 Depth=1
	v_bfe_u32 v42, v38, 16, 7
	v_cmp_ne_u32_e32 vcc, s19, v42
	v_mov_b32_e32 v61, 0x7f800001
	s_and_saveexec_b64 s[16:17], vcc
	s_cbranch_execz .LBB624_399
; %bb.398:                              ;   in Loop: Header=BB624_215 Depth=1
	v_and_b32_e32 v57, 7, v40
	v_ffbh_u32_e32 v63, v57
	v_min_u32_e32 v63, 32, v63
	v_subrev_u32_e32 v64, 28, v63
	v_lshlrev_b64 v[64:65], v64, v[40:41]
	v_lshrrev_b32_e32 v61, 3, v42
	v_sub_u32_e32 v63, 29, v63
	v_and_b32_e32 v64, 7, v64
	v_cmp_gt_u32_e32 vcc, 8, v42
	v_cndmask_b32_e32 v42, v61, v63, vcc
	v_cndmask_b32_e32 v57, v57, v64, vcc
	v_lshlrev_b32_e32 v40, 24, v40
	v_lshlrev_b32_e32 v57, 20, v57
	v_and_b32_e32 v40, 0x80000000, v40
	v_lshl_add_u32 v42, v42, 23, v56
	v_or3_b32 v61, v40, v42, v57
.LBB624_399:                            ;   in Loop: Header=BB624_215 Depth=1
	s_or_b64 exec, exec, s[16:17]
.LBB624_400:                            ;   in Loop: Header=BB624_215 Depth=1
	s_or_b64 exec, exec, s[14:15]
.LBB624_401:                            ;   in Loop: Header=BB624_215 Depth=1
	s_or_b64 exec, exec, s[12:13]
	v_cmp_lt_u32_e32 vcc, s20, v38
	v_mov_b32_e32 v57, 0
	v_mov_b32_e32 v63, 0
	s_and_saveexec_b64 s[12:13], vcc
	s_cbranch_execz .LBB624_407
; %bb.402:                              ;   in Loop: Header=BB624_215 Depth=1
	v_lshrrev_b32_e32 v40, 24, v38
	v_cmp_ne_u32_e32 vcc, s9, v40
	v_bfrev_b32_e32 v63, 1
	s_and_saveexec_b64 s[14:15], vcc
	s_cbranch_execz .LBB624_406
; %bb.403:                              ;   in Loop: Header=BB624_215 Depth=1
	v_bfe_u32 v38, v38, 24, 7
	v_cmp_ne_u32_e32 vcc, s19, v38
	v_mov_b32_e32 v63, 0x7f800001
	s_and_saveexec_b64 s[16:17], vcc
	s_cbranch_execz .LBB624_405
; %bb.404:                              ;   in Loop: Header=BB624_215 Depth=1
	v_and_b32_e32 v42, 7, v40
	v_ffbh_u32_e32 v64, v42
	v_min_u32_e32 v66, 32, v64
	v_subrev_u32_e32 v64, 28, v66
	v_lshlrev_b64 v[64:65], v64, v[40:41]
	v_lshrrev_b32_e32 v63, 3, v38
	v_sub_u32_e32 v65, 29, v66
	v_and_b32_e32 v64, 7, v64
	v_cmp_gt_u32_e32 vcc, 8, v38
	v_cndmask_b32_e32 v38, v63, v65, vcc
	v_cndmask_b32_e32 v42, v42, v64, vcc
	v_lshlrev_b32_e32 v40, 24, v40
	v_lshlrev_b32_e32 v42, 20, v42
	v_and_b32_e32 v40, 0x80000000, v40
	v_lshl_add_u32 v38, v38, 23, v56
	v_or3_b32 v63, v40, v38, v42
.LBB624_405:                            ;   in Loop: Header=BB624_215 Depth=1
	s_or_b64 exec, exec, s[16:17]
.LBB624_406:                            ;   in Loop: Header=BB624_215 Depth=1
	s_or_b64 exec, exec, s[14:15]
.LBB624_407:                            ;   in Loop: Header=BB624_215 Depth=1
	s_or_b64 exec, exec, s[12:13]
	v_cvt_pkrtz_f16_f32 v65, v44, v60
	buffer_load_dword v44, v52, s[0:3], 0 offen
	buffer_load_dword v42, v52, s[0:3], 0 offen offset:4
	buffer_load_dword v40, v52, s[0:3], 0 offen offset:8
	;; [unrolled: 1-line block ×3, first 2 shown]
	v_cvt_pkrtz_f16_f32 v64, v46, v58
	v_cvt_pkrtz_f16_f32 v58, v59, v62
	v_cvt_pkrtz_f16_f32 v59, v61, v63
	v_mfma_f32_16x16x16f16 v[34:37], v[64:65], v[14:15], v[34:37]
	s_waitcnt vmcnt(3)
	v_cmp_ne_u16_sdwa s[14:15], v44, v55 src0_sel:BYTE_0 src1_sel:DWORD
	v_mfma_f32_16x16x16f16 v[34:37], v[58:59], v[16:17], v[34:37]
	s_and_saveexec_b64 s[12:13], s[14:15]
	s_cbranch_execz .LBB624_413
; %bb.408:                              ;   in Loop: Header=BB624_215 Depth=1
	v_cmp_ne_u16_sdwa s[16:17], v44, s9 src0_sel:BYTE_0 src1_sel:DWORD
	v_bfrev_b32_e32 v57, 1
	s_and_saveexec_b64 s[14:15], s[16:17]
	s_cbranch_execz .LBB624_412
; %bb.409:                              ;   in Loop: Header=BB624_215 Depth=1
	v_and_b32_e32 v46, 0x7f, v44
	v_cmp_ne_u32_e32 vcc, s19, v46
	v_mov_b32_e32 v57, 0x7f800001
	s_and_saveexec_b64 s[16:17], vcc
	s_cbranch_execz .LBB624_411
; %bb.410:                              ;   in Loop: Header=BB624_215 Depth=1
	v_and_b32_e32 v52, 7, v44
	v_ffbh_u32_e32 v58, v52
	v_min_u32_e32 v60, 32, v58
	v_subrev_u32_e32 v58, 28, v60
	v_lshlrev_b64 v[58:59], v58, v[44:45]
	v_lshrrev_b32_e32 v57, 3, v46
	v_sub_u32_e32 v59, 29, v60
	v_and_b32_e32 v58, 7, v58
	v_cmp_gt_u32_e32 vcc, 8, v46
	v_cndmask_b32_e32 v46, v57, v59, vcc
	v_cndmask_b32_e32 v52, v52, v58, vcc
	v_lshlrev_b32_e32 v57, 24, v44
	v_lshlrev_b32_e32 v52, 20, v52
	v_and_b32_e32 v57, 0x80000000, v57
	v_lshl_add_u32 v46, v46, 23, v56
	v_or3_b32 v57, v57, v46, v52
.LBB624_411:                            ;   in Loop: Header=BB624_215 Depth=1
	s_or_b64 exec, exec, s[16:17]
.LBB624_412:                            ;   in Loop: Header=BB624_215 Depth=1
	s_or_b64 exec, exec, s[14:15]
.LBB624_413:                            ;   in Loop: Header=BB624_215 Depth=1
	s_or_b64 exec, exec, s[12:13]
	v_lshrrev_b16_e32 v46, 8, v44
	v_cmp_ne_u16_e32 vcc, 0, v46
	v_mov_b32_e32 v52, 0
	v_mov_b32_e32 v58, 0
	s_and_saveexec_b64 s[12:13], vcc
	s_cbranch_execz .LBB624_419
; %bb.414:                              ;   in Loop: Header=BB624_215 Depth=1
	v_cmp_ne_u16_e32 vcc, s9, v46
	v_bfrev_b32_e32 v58, 1
	s_and_saveexec_b64 s[14:15], vcc
	s_cbranch_execz .LBB624_418
; %bb.415:                              ;   in Loop: Header=BB624_215 Depth=1
	v_and_b32_e32 v59, 0x7f, v46
	v_cmp_ne_u32_e32 vcc, s19, v59
	v_mov_b32_e32 v58, 0x7f800001
	s_and_saveexec_b64 s[16:17], vcc
	s_cbranch_execz .LBB624_417
; %bb.416:                              ;   in Loop: Header=BB624_215 Depth=1
	v_and_b32_e32 v58, 7, v46
	v_ffbh_u32_e32 v60, v58
	v_min_u32_e32 v63, 32, v60
	v_subrev_u32_e32 v60, 28, v63
	v_lshlrev_b64 v[60:61], v60, v[46:47]
	v_lshrrev_b32_e32 v62, 3, v59
	v_sub_u32_e32 v46, 29, v63
	v_and_b32_e32 v60, 7, v60
	v_cmp_gt_u32_e32 vcc, 8, v59
	v_cndmask_b32_e32 v46, v62, v46, vcc
	v_cndmask_b32_e32 v58, v58, v60, vcc
	v_lshlrev_b32_e32 v59, 16, v44
	v_lshlrev_b32_e32 v58, 20, v58
	v_and_b32_e32 v59, 0x80000000, v59
	v_lshl_add_u32 v46, v46, 23, v56
	v_or3_b32 v58, v59, v46, v58
.LBB624_417:                            ;   in Loop: Header=BB624_215 Depth=1
	s_or_b64 exec, exec, s[16:17]
.LBB624_418:                            ;   in Loop: Header=BB624_215 Depth=1
	s_or_b64 exec, exec, s[14:15]
.LBB624_419:                            ;   in Loop: Header=BB624_215 Depth=1
	s_or_b64 exec, exec, s[12:13]
	v_lshrrev_b32_e32 v46, 16, v44
	v_cmp_ne_u16_sdwa s[14:15], v46, v55 src0_sel:BYTE_0 src1_sel:DWORD
	s_and_saveexec_b64 s[12:13], s[14:15]
	s_cbranch_execz .LBB624_425
; %bb.420:                              ;   in Loop: Header=BB624_215 Depth=1
	v_cmp_ne_u16_sdwa s[16:17], v46, s9 src0_sel:BYTE_0 src1_sel:DWORD
	v_bfrev_b32_e32 v52, 1
	s_and_saveexec_b64 s[14:15], s[16:17]
	s_cbranch_execz .LBB624_424
; %bb.421:                              ;   in Loop: Header=BB624_215 Depth=1
	v_bfe_u32 v59, v44, 16, 7
	v_cmp_ne_u32_e32 vcc, s19, v59
	v_mov_b32_e32 v52, 0x7f800001
	s_and_saveexec_b64 s[16:17], vcc
	s_cbranch_execz .LBB624_423
; %bb.422:                              ;   in Loop: Header=BB624_215 Depth=1
	v_and_b32_e32 v52, 7, v46
	v_ffbh_u32_e32 v60, v52
	v_min_u32_e32 v63, 32, v60
	v_subrev_u32_e32 v60, 28, v63
	v_lshlrev_b64 v[60:61], v60, v[46:47]
	v_lshrrev_b32_e32 v62, 3, v59
	v_sub_u32_e32 v61, 29, v63
	v_and_b32_e32 v60, 7, v60
	v_cmp_gt_u32_e32 vcc, 8, v59
	v_cndmask_b32_e32 v59, v62, v61, vcc
	v_cndmask_b32_e32 v52, v52, v60, vcc
	v_lshlrev_b32_e32 v46, 24, v46
	v_lshlrev_b32_e32 v52, 20, v52
	v_and_b32_e32 v46, 0x80000000, v46
	v_lshl_add_u32 v59, v59, 23, v56
	v_or3_b32 v52, v46, v59, v52
.LBB624_423:                            ;   in Loop: Header=BB624_215 Depth=1
	s_or_b64 exec, exec, s[16:17]
.LBB624_424:                            ;   in Loop: Header=BB624_215 Depth=1
	s_or_b64 exec, exec, s[14:15]
.LBB624_425:                            ;   in Loop: Header=BB624_215 Depth=1
	s_or_b64 exec, exec, s[12:13]
	v_cmp_lt_u32_e32 vcc, s20, v44
	v_mov_b32_e32 v59, 0
	v_mov_b32_e32 v60, 0
	s_and_saveexec_b64 s[12:13], vcc
	s_cbranch_execz .LBB624_431
; %bb.426:                              ;   in Loop: Header=BB624_215 Depth=1
	v_lshrrev_b32_e32 v46, 24, v44
	v_cmp_ne_u32_e32 vcc, s9, v46
	v_bfrev_b32_e32 v60, 1
	s_and_saveexec_b64 s[14:15], vcc
	s_cbranch_execz .LBB624_430
; %bb.427:                              ;   in Loop: Header=BB624_215 Depth=1
	v_bfe_u32 v44, v44, 24, 7
	v_cmp_ne_u32_e32 vcc, s19, v44
	v_mov_b32_e32 v60, 0x7f800001
	s_and_saveexec_b64 s[16:17], vcc
	s_cbranch_execz .LBB624_429
; %bb.428:                              ;   in Loop: Header=BB624_215 Depth=1
	v_and_b32_e32 v62, 7, v46
	v_ffbh_u32_e32 v60, v62
	v_min_u32_e32 v64, 32, v60
	v_subrev_u32_e32 v60, 28, v64
	v_lshlrev_b64 v[60:61], v60, v[46:47]
	v_lshrrev_b32_e32 v63, 3, v44
	v_sub_u32_e32 v61, 29, v64
	v_and_b32_e32 v60, 7, v60
	v_cmp_gt_u32_e32 vcc, 8, v44
	v_cndmask_b32_e32 v44, v63, v61, vcc
	v_cndmask_b32_e32 v60, v62, v60, vcc
	v_lshlrev_b32_e32 v46, 24, v46
	v_lshlrev_b32_e32 v60, 20, v60
	v_and_b32_e32 v46, 0x80000000, v46
	v_lshl_add_u32 v44, v44, 23, v56
	v_or3_b32 v60, v46, v44, v60
.LBB624_429:                            ;   in Loop: Header=BB624_215 Depth=1
	s_or_b64 exec, exec, s[16:17]
.LBB624_430:                            ;   in Loop: Header=BB624_215 Depth=1
	s_or_b64 exec, exec, s[14:15]
.LBB624_431:                            ;   in Loop: Header=BB624_215 Depth=1
	s_or_b64 exec, exec, s[12:13]
	s_waitcnt vmcnt(2)
	v_cmp_ne_u16_sdwa s[14:15], v42, v55 src0_sel:BYTE_0 src1_sel:DWORD
	s_and_saveexec_b64 s[12:13], s[14:15]
	s_cbranch_execz .LBB624_437
; %bb.432:                              ;   in Loop: Header=BB624_215 Depth=1
	v_cmp_ne_u16_sdwa s[16:17], v42, s9 src0_sel:BYTE_0 src1_sel:DWORD
	v_bfrev_b32_e32 v59, 1
	s_and_saveexec_b64 s[14:15], s[16:17]
	s_cbranch_execz .LBB624_436
; %bb.433:                              ;   in Loop: Header=BB624_215 Depth=1
	v_and_b32_e32 v44, 0x7f, v42
	v_cmp_ne_u32_e32 vcc, s19, v44
	v_mov_b32_e32 v59, 0x7f800001
	s_and_saveexec_b64 s[16:17], vcc
	s_cbranch_execz .LBB624_435
; %bb.434:                              ;   in Loop: Header=BB624_215 Depth=1
	v_and_b32_e32 v46, 7, v42
	v_ffbh_u32_e32 v61, v46
	v_min_u32_e32 v61, 32, v61
	v_subrev_u32_e32 v62, 28, v61
	v_lshlrev_b64 v[62:63], v62, v[42:43]
	v_lshrrev_b32_e32 v59, 3, v44
	v_sub_u32_e32 v61, 29, v61
	v_and_b32_e32 v62, 7, v62
	v_cmp_gt_u32_e32 vcc, 8, v44
	v_cndmask_b32_e32 v44, v59, v61, vcc
	v_cndmask_b32_e32 v46, v46, v62, vcc
	v_lshlrev_b32_e32 v59, 24, v42
	v_lshlrev_b32_e32 v46, 20, v46
	v_and_b32_e32 v59, 0x80000000, v59
	v_lshl_add_u32 v44, v44, 23, v56
	v_or3_b32 v59, v59, v44, v46
.LBB624_435:                            ;   in Loop: Header=BB624_215 Depth=1
	s_or_b64 exec, exec, s[16:17]
.LBB624_436:                            ;   in Loop: Header=BB624_215 Depth=1
	s_or_b64 exec, exec, s[14:15]
.LBB624_437:                            ;   in Loop: Header=BB624_215 Depth=1
	s_or_b64 exec, exec, s[12:13]
	v_lshrrev_b16_e32 v44, 8, v42
	v_cmp_ne_u16_e32 vcc, 0, v44
	v_mov_b32_e32 v61, 0
	v_mov_b32_e32 v62, 0
	s_and_saveexec_b64 s[12:13], vcc
	s_cbranch_execz .LBB624_443
; %bb.438:                              ;   in Loop: Header=BB624_215 Depth=1
	v_cmp_ne_u16_e32 vcc, s9, v44
	v_bfrev_b32_e32 v62, 1
	s_and_saveexec_b64 s[14:15], vcc
	s_cbranch_execz .LBB624_442
; %bb.439:                              ;   in Loop: Header=BB624_215 Depth=1
	v_and_b32_e32 v46, 0x7f, v44
	v_cmp_ne_u32_e32 vcc, s19, v46
	v_mov_b32_e32 v62, 0x7f800001
	s_and_saveexec_b64 s[16:17], vcc
	s_cbranch_execz .LBB624_441
; %bb.440:                              ;   in Loop: Header=BB624_215 Depth=1
	v_and_b32_e32 v64, 7, v44
	v_ffbh_u32_e32 v62, v64
	v_min_u32_e32 v66, 32, v62
	v_subrev_u32_e32 v62, 28, v66
	v_lshlrev_b64 v[62:63], v62, v[44:45]
	v_lshrrev_b32_e32 v65, 3, v46
	v_sub_u32_e32 v44, 29, v66
	v_and_b32_e32 v62, 7, v62
	v_cmp_gt_u32_e32 vcc, 8, v46
	v_cndmask_b32_e32 v44, v65, v44, vcc
	v_cndmask_b32_e32 v46, v64, v62, vcc
	v_lshlrev_b32_e32 v62, 16, v42
	v_lshlrev_b32_e32 v46, 20, v46
	v_and_b32_e32 v62, 0x80000000, v62
	v_lshl_add_u32 v44, v44, 23, v56
	v_or3_b32 v62, v62, v44, v46
.LBB624_441:                            ;   in Loop: Header=BB624_215 Depth=1
	s_or_b64 exec, exec, s[16:17]
.LBB624_442:                            ;   in Loop: Header=BB624_215 Depth=1
	s_or_b64 exec, exec, s[14:15]
.LBB624_443:                            ;   in Loop: Header=BB624_215 Depth=1
	s_or_b64 exec, exec, s[12:13]
	v_lshrrev_b32_e32 v44, 16, v42
	v_cmp_ne_u16_sdwa s[14:15], v44, v55 src0_sel:BYTE_0 src1_sel:DWORD
	s_and_saveexec_b64 s[12:13], s[14:15]
	s_cbranch_execz .LBB624_449
; %bb.444:                              ;   in Loop: Header=BB624_215 Depth=1
	v_cmp_ne_u16_sdwa s[16:17], v44, s9 src0_sel:BYTE_0 src1_sel:DWORD
	v_bfrev_b32_e32 v61, 1
	s_and_saveexec_b64 s[14:15], s[16:17]
	s_cbranch_execz .LBB624_448
; %bb.445:                              ;   in Loop: Header=BB624_215 Depth=1
	v_bfe_u32 v46, v42, 16, 7
	v_cmp_ne_u32_e32 vcc, s19, v46
	v_mov_b32_e32 v61, 0x7f800001
	s_and_saveexec_b64 s[16:17], vcc
	s_cbranch_execz .LBB624_447
; %bb.446:                              ;   in Loop: Header=BB624_215 Depth=1
	v_and_b32_e32 v61, 7, v44
	v_ffbh_u32_e32 v64, v61
	v_min_u32_e32 v66, 32, v64
	v_subrev_u32_e32 v64, 28, v66
	v_lshlrev_b64 v[64:65], v64, v[44:45]
	v_lshrrev_b32_e32 v63, 3, v46
	v_sub_u32_e32 v65, 29, v66
	v_and_b32_e32 v64, 7, v64
	v_cmp_gt_u32_e32 vcc, 8, v46
	v_cndmask_b32_e32 v46, v63, v65, vcc
	v_cndmask_b32_e32 v61, v61, v64, vcc
	v_lshlrev_b32_e32 v44, 24, v44
	v_lshlrev_b32_e32 v61, 20, v61
	v_and_b32_e32 v44, 0x80000000, v44
	v_lshl_add_u32 v46, v46, 23, v56
	v_or3_b32 v61, v44, v46, v61
.LBB624_447:                            ;   in Loop: Header=BB624_215 Depth=1
	s_or_b64 exec, exec, s[16:17]
.LBB624_448:                            ;   in Loop: Header=BB624_215 Depth=1
	s_or_b64 exec, exec, s[14:15]
.LBB624_449:                            ;   in Loop: Header=BB624_215 Depth=1
	s_or_b64 exec, exec, s[12:13]
	v_cmp_lt_u32_e32 vcc, s20, v42
	v_mov_b32_e32 v46, 0
	v_mov_b32_e32 v63, 0
	s_and_saveexec_b64 s[12:13], vcc
	s_cbranch_execz .LBB624_455
; %bb.450:                              ;   in Loop: Header=BB624_215 Depth=1
	v_lshrrev_b32_e32 v44, 24, v42
	v_cmp_ne_u32_e32 vcc, s9, v44
	v_bfrev_b32_e32 v63, 1
	s_and_saveexec_b64 s[14:15], vcc
	s_cbranch_execz .LBB624_454
; %bb.451:                              ;   in Loop: Header=BB624_215 Depth=1
	v_bfe_u32 v42, v42, 24, 7
	v_cmp_ne_u32_e32 vcc, s19, v42
	v_mov_b32_e32 v63, 0x7f800001
	s_and_saveexec_b64 s[16:17], vcc
	s_cbranch_execz .LBB624_453
; %bb.452:                              ;   in Loop: Header=BB624_215 Depth=1
	v_and_b32_e32 v63, 7, v44
	v_ffbh_u32_e32 v64, v63
	v_min_u32_e32 v67, 32, v64
	v_subrev_u32_e32 v64, 28, v67
	v_lshlrev_b64 v[64:65], v64, v[44:45]
	v_lshrrev_b32_e32 v66, 3, v42
	v_sub_u32_e32 v65, 29, v67
	v_and_b32_e32 v64, 7, v64
	v_cmp_gt_u32_e32 vcc, 8, v42
	v_cndmask_b32_e32 v42, v66, v65, vcc
	v_cndmask_b32_e32 v63, v63, v64, vcc
	v_lshlrev_b32_e32 v44, 24, v44
	v_lshlrev_b32_e32 v63, 20, v63
	v_and_b32_e32 v44, 0x80000000, v44
	v_lshl_add_u32 v42, v42, 23, v56
	v_or3_b32 v63, v44, v42, v63
.LBB624_453:                            ;   in Loop: Header=BB624_215 Depth=1
	s_or_b64 exec, exec, s[16:17]
.LBB624_454:                            ;   in Loop: Header=BB624_215 Depth=1
	s_or_b64 exec, exec, s[14:15]
.LBB624_455:                            ;   in Loop: Header=BB624_215 Depth=1
	s_or_b64 exec, exec, s[12:13]
	v_cvt_pkrtz_f16_f32 v64, v57, v58
	v_cvt_pkrtz_f16_f32 v65, v52, v60
	;; [unrolled: 1-line block ×4, first 2 shown]
	s_waitcnt vmcnt(1)
	v_cmp_ne_u16_sdwa s[14:15], v40, v55 src0_sel:BYTE_0 src1_sel:DWORD
	v_mfma_f32_16x16x16f16 v[34:37], v[64:65], v[18:19], v[34:37]
	v_mfma_f32_16x16x16f16 v[34:37], v[58:59], v[20:21], v[34:37]
	s_and_saveexec_b64 s[12:13], s[14:15]
	s_cbranch_execz .LBB624_461
; %bb.456:                              ;   in Loop: Header=BB624_215 Depth=1
	v_cmp_ne_u16_sdwa s[16:17], v40, s9 src0_sel:BYTE_0 src1_sel:DWORD
	v_bfrev_b32_e32 v46, 1
	s_and_saveexec_b64 s[14:15], s[16:17]
	s_cbranch_execz .LBB624_460
; %bb.457:                              ;   in Loop: Header=BB624_215 Depth=1
	v_and_b32_e32 v42, 0x7f, v40
	v_cmp_ne_u32_e32 vcc, s19, v42
	v_mov_b32_e32 v46, 0x7f800001
	s_and_saveexec_b64 s[16:17], vcc
	s_cbranch_execz .LBB624_459
; %bb.458:                              ;   in Loop: Header=BB624_215 Depth=1
	v_and_b32_e32 v44, 7, v40
	v_ffbh_u32_e32 v52, v44
	v_min_u32_e32 v52, 32, v52
	v_subrev_u32_e32 v57, 28, v52
	v_lshlrev_b64 v[58:59], v57, v[40:41]
	v_lshrrev_b32_e32 v46, 3, v42
	v_sub_u32_e32 v52, 29, v52
	v_and_b32_e32 v57, 7, v58
	v_cmp_gt_u32_e32 vcc, 8, v42
	v_cndmask_b32_e32 v42, v46, v52, vcc
	v_cndmask_b32_e32 v44, v44, v57, vcc
	v_lshlrev_b32_e32 v46, 24, v40
	v_lshlrev_b32_e32 v44, 20, v44
	v_and_b32_e32 v46, 0x80000000, v46
	v_lshl_add_u32 v42, v42, 23, v56
	v_or3_b32 v46, v46, v42, v44
.LBB624_459:                            ;   in Loop: Header=BB624_215 Depth=1
	s_or_b64 exec, exec, s[16:17]
.LBB624_460:                            ;   in Loop: Header=BB624_215 Depth=1
	s_or_b64 exec, exec, s[14:15]
.LBB624_461:                            ;   in Loop: Header=BB624_215 Depth=1
	s_or_b64 exec, exec, s[12:13]
	v_lshrrev_b16_e32 v42, 8, v40
	v_cmp_ne_u16_e32 vcc, 0, v42
	v_mov_b32_e32 v44, 0
	v_mov_b32_e32 v57, 0
	s_and_saveexec_b64 s[12:13], vcc
	s_cbranch_execz .LBB624_467
; %bb.462:                              ;   in Loop: Header=BB624_215 Depth=1
	v_cmp_ne_u16_e32 vcc, s9, v42
	v_bfrev_b32_e32 v57, 1
	s_and_saveexec_b64 s[14:15], vcc
	s_cbranch_execz .LBB624_466
; %bb.463:                              ;   in Loop: Header=BB624_215 Depth=1
	v_and_b32_e32 v52, 0x7f, v42
	v_cmp_ne_u32_e32 vcc, s19, v52
	v_mov_b32_e32 v57, 0x7f800001
	s_and_saveexec_b64 s[16:17], vcc
	s_cbranch_execz .LBB624_465
; %bb.464:                              ;   in Loop: Header=BB624_215 Depth=1
	v_and_b32_e32 v57, 7, v42
	v_ffbh_u32_e32 v58, v57
	v_min_u32_e32 v61, 32, v58
	v_subrev_u32_e32 v58, 28, v61
	v_lshlrev_b64 v[58:59], v58, v[42:43]
	v_lshrrev_b32_e32 v60, 3, v52
	v_sub_u32_e32 v42, 29, v61
	v_and_b32_e32 v58, 7, v58
	v_cmp_gt_u32_e32 vcc, 8, v52
	v_cndmask_b32_e32 v42, v60, v42, vcc
	v_cndmask_b32_e32 v52, v57, v58, vcc
	v_lshlrev_b32_e32 v57, 16, v40
	v_lshlrev_b32_e32 v52, 20, v52
	v_and_b32_e32 v57, 0x80000000, v57
	v_lshl_add_u32 v42, v42, 23, v56
	v_or3_b32 v57, v57, v42, v52
.LBB624_465:                            ;   in Loop: Header=BB624_215 Depth=1
	s_or_b64 exec, exec, s[16:17]
.LBB624_466:                            ;   in Loop: Header=BB624_215 Depth=1
	s_or_b64 exec, exec, s[14:15]
.LBB624_467:                            ;   in Loop: Header=BB624_215 Depth=1
	s_or_b64 exec, exec, s[12:13]
	v_lshrrev_b32_e32 v42, 16, v40
	v_cmp_ne_u16_sdwa s[14:15], v42, v55 src0_sel:BYTE_0 src1_sel:DWORD
	s_and_saveexec_b64 s[12:13], s[14:15]
	s_cbranch_execz .LBB624_473
; %bb.468:                              ;   in Loop: Header=BB624_215 Depth=1
	v_cmp_ne_u16_sdwa s[16:17], v42, s9 src0_sel:BYTE_0 src1_sel:DWORD
	v_bfrev_b32_e32 v44, 1
	s_and_saveexec_b64 s[14:15], s[16:17]
	s_cbranch_execz .LBB624_472
; %bb.469:                              ;   in Loop: Header=BB624_215 Depth=1
	v_bfe_u32 v52, v40, 16, 7
	v_cmp_ne_u32_e32 vcc, s19, v52
	v_mov_b32_e32 v44, 0x7f800001
	s_and_saveexec_b64 s[16:17], vcc
	s_cbranch_execz .LBB624_471
; %bb.470:                              ;   in Loop: Header=BB624_215 Depth=1
	v_and_b32_e32 v44, 7, v42
	v_ffbh_u32_e32 v58, v44
	v_min_u32_e32 v61, 32, v58
	v_subrev_u32_e32 v58, 28, v61
	v_lshlrev_b64 v[58:59], v58, v[42:43]
	v_lshrrev_b32_e32 v60, 3, v52
	v_sub_u32_e32 v59, 29, v61
	v_and_b32_e32 v58, 7, v58
	v_cmp_gt_u32_e32 vcc, 8, v52
	v_cndmask_b32_e32 v52, v60, v59, vcc
	v_cndmask_b32_e32 v44, v44, v58, vcc
	v_lshlrev_b32_e32 v42, 24, v42
	v_lshlrev_b32_e32 v44, 20, v44
	v_and_b32_e32 v42, 0x80000000, v42
	v_lshl_add_u32 v52, v52, 23, v56
	v_or3_b32 v44, v42, v52, v44
.LBB624_471:                            ;   in Loop: Header=BB624_215 Depth=1
	s_or_b64 exec, exec, s[16:17]
.LBB624_472:                            ;   in Loop: Header=BB624_215 Depth=1
	s_or_b64 exec, exec, s[14:15]
.LBB624_473:                            ;   in Loop: Header=BB624_215 Depth=1
	s_or_b64 exec, exec, s[12:13]
	v_cmp_lt_u32_e32 vcc, s20, v40
	v_mov_b32_e32 v58, 0
	v_mov_b32_e32 v59, 0
	s_and_saveexec_b64 s[12:13], vcc
	s_cbranch_execz .LBB624_479
; %bb.474:                              ;   in Loop: Header=BB624_215 Depth=1
	v_lshrrev_b32_e32 v42, 24, v40
	v_cmp_ne_u32_e32 vcc, s9, v42
	v_bfrev_b32_e32 v59, 1
	s_and_saveexec_b64 s[14:15], vcc
	s_cbranch_execz .LBB624_478
; %bb.475:                              ;   in Loop: Header=BB624_215 Depth=1
	v_bfe_u32 v40, v40, 24, 7
	v_cmp_ne_u32_e32 vcc, s19, v40
	v_mov_b32_e32 v59, 0x7f800001
	s_and_saveexec_b64 s[16:17], vcc
	s_cbranch_execz .LBB624_477
; %bb.476:                              ;   in Loop: Header=BB624_215 Depth=1
	v_and_b32_e32 v52, 7, v42
	v_ffbh_u32_e32 v60, v52
	v_min_u32_e32 v62, 32, v60
	v_subrev_u32_e32 v60, 28, v62
	v_lshlrev_b64 v[60:61], v60, v[42:43]
	v_lshrrev_b32_e32 v59, 3, v40
	v_sub_u32_e32 v61, 29, v62
	v_and_b32_e32 v60, 7, v60
	v_cmp_gt_u32_e32 vcc, 8, v40
	v_cndmask_b32_e32 v40, v59, v61, vcc
	v_cndmask_b32_e32 v52, v52, v60, vcc
	v_lshlrev_b32_e32 v42, 24, v42
	v_lshlrev_b32_e32 v52, 20, v52
	v_and_b32_e32 v42, 0x80000000, v42
	v_lshl_add_u32 v40, v40, 23, v56
	v_or3_b32 v59, v42, v40, v52
.LBB624_477:                            ;   in Loop: Header=BB624_215 Depth=1
	s_or_b64 exec, exec, s[16:17]
.LBB624_478:                            ;   in Loop: Header=BB624_215 Depth=1
	s_or_b64 exec, exec, s[14:15]
.LBB624_479:                            ;   in Loop: Header=BB624_215 Depth=1
	s_or_b64 exec, exec, s[12:13]
	s_waitcnt vmcnt(0)
	v_cmp_ne_u16_sdwa s[14:15], v38, v55 src0_sel:BYTE_0 src1_sel:DWORD
	s_and_saveexec_b64 s[12:13], s[14:15]
	s_cbranch_execz .LBB624_485
; %bb.480:                              ;   in Loop: Header=BB624_215 Depth=1
	v_cmp_ne_u16_sdwa s[16:17], v38, s9 src0_sel:BYTE_0 src1_sel:DWORD
	v_bfrev_b32_e32 v58, 1
	s_and_saveexec_b64 s[14:15], s[16:17]
	s_cbranch_execz .LBB624_484
; %bb.481:                              ;   in Loop: Header=BB624_215 Depth=1
	v_and_b32_e32 v40, 0x7f, v38
	v_cmp_ne_u32_e32 vcc, s19, v40
	v_mov_b32_e32 v58, 0x7f800001
	s_and_saveexec_b64 s[16:17], vcc
	s_cbranch_execz .LBB624_483
; %bb.482:                              ;   in Loop: Header=BB624_215 Depth=1
	v_and_b32_e32 v42, 7, v38
	v_ffbh_u32_e32 v58, v42
	v_min_u32_e32 v58, 32, v58
	v_subrev_u32_e32 v60, 28, v58
	v_lshlrev_b64 v[60:61], v60, v[38:39]
	v_lshrrev_b32_e32 v52, 3, v40
	v_sub_u32_e32 v58, 29, v58
	v_and_b32_e32 v60, 7, v60
	v_cmp_gt_u32_e32 vcc, 8, v40
	v_cndmask_b32_e32 v40, v52, v58, vcc
	v_cndmask_b32_e32 v42, v42, v60, vcc
	v_lshlrev_b32_e32 v52, 24, v38
	v_lshlrev_b32_e32 v42, 20, v42
	v_and_b32_e32 v52, 0x80000000, v52
	v_lshl_add_u32 v40, v40, 23, v56
	v_or3_b32 v58, v52, v40, v42
.LBB624_483:                            ;   in Loop: Header=BB624_215 Depth=1
	s_or_b64 exec, exec, s[16:17]
.LBB624_484:                            ;   in Loop: Header=BB624_215 Depth=1
	s_or_b64 exec, exec, s[14:15]
.LBB624_485:                            ;   in Loop: Header=BB624_215 Depth=1
	s_or_b64 exec, exec, s[12:13]
	v_lshrrev_b16_e32 v40, 8, v38
	v_cmp_ne_u16_e32 vcc, 0, v40
	v_mov_b32_e32 v60, 0
	v_mov_b32_e32 v61, 0
	s_and_saveexec_b64 s[12:13], vcc
	s_cbranch_execz .LBB624_491
; %bb.486:                              ;   in Loop: Header=BB624_215 Depth=1
	v_cmp_ne_u16_e32 vcc, s9, v40
	v_bfrev_b32_e32 v61, 1
	s_and_saveexec_b64 s[14:15], vcc
	s_cbranch_execz .LBB624_490
; %bb.487:                              ;   in Loop: Header=BB624_215 Depth=1
	v_and_b32_e32 v42, 0x7f, v40
	v_cmp_ne_u32_e32 vcc, s19, v42
	v_mov_b32_e32 v61, 0x7f800001
	s_and_saveexec_b64 s[16:17], vcc
	s_cbranch_execz .LBB624_489
; %bb.488:                              ;   in Loop: Header=BB624_215 Depth=1
	v_and_b32_e32 v52, 7, v40
	v_ffbh_u32_e32 v62, v52
	v_min_u32_e32 v64, 32, v62
	v_subrev_u32_e32 v62, 28, v64
	v_lshlrev_b64 v[62:63], v62, v[40:41]
	v_lshrrev_b32_e32 v61, 3, v42
	v_sub_u32_e32 v40, 29, v64
	v_and_b32_e32 v62, 7, v62
	v_cmp_gt_u32_e32 vcc, 8, v42
	v_cndmask_b32_e32 v40, v61, v40, vcc
	v_cndmask_b32_e32 v42, v52, v62, vcc
	v_lshlrev_b32_e32 v52, 16, v38
	v_lshlrev_b32_e32 v42, 20, v42
	v_and_b32_e32 v52, 0x80000000, v52
	v_lshl_add_u32 v40, v40, 23, v56
	v_or3_b32 v61, v52, v40, v42
.LBB624_489:                            ;   in Loop: Header=BB624_215 Depth=1
	s_or_b64 exec, exec, s[16:17]
.LBB624_490:                            ;   in Loop: Header=BB624_215 Depth=1
	s_or_b64 exec, exec, s[14:15]
.LBB624_491:                            ;   in Loop: Header=BB624_215 Depth=1
	s_or_b64 exec, exec, s[12:13]
	v_lshrrev_b32_e32 v40, 16, v38
	v_cmp_ne_u16_sdwa s[14:15], v40, v55 src0_sel:BYTE_0 src1_sel:DWORD
	s_and_saveexec_b64 s[12:13], s[14:15]
	s_cbranch_execz .LBB624_497
; %bb.492:                              ;   in Loop: Header=BB624_215 Depth=1
	v_cmp_ne_u16_sdwa s[16:17], v40, s9 src0_sel:BYTE_0 src1_sel:DWORD
	v_bfrev_b32_e32 v60, 1
	s_and_saveexec_b64 s[14:15], s[16:17]
	s_cbranch_execz .LBB624_496
; %bb.493:                              ;   in Loop: Header=BB624_215 Depth=1
	v_bfe_u32 v42, v38, 16, 7
	v_cmp_ne_u32_e32 vcc, s19, v42
	v_mov_b32_e32 v60, 0x7f800001
	s_and_saveexec_b64 s[16:17], vcc
	s_cbranch_execz .LBB624_495
; %bb.494:                              ;   in Loop: Header=BB624_215 Depth=1
	v_and_b32_e32 v52, 7, v40
	v_ffbh_u32_e32 v62, v52
	v_min_u32_e32 v64, 32, v62
	v_subrev_u32_e32 v62, 28, v64
	v_lshlrev_b64 v[62:63], v62, v[40:41]
	v_lshrrev_b32_e32 v60, 3, v42
	v_sub_u32_e32 v63, 29, v64
	v_and_b32_e32 v62, 7, v62
	v_cmp_gt_u32_e32 vcc, 8, v42
	v_cndmask_b32_e32 v42, v60, v63, vcc
	v_cndmask_b32_e32 v52, v52, v62, vcc
	v_lshlrev_b32_e32 v40, 24, v40
	v_lshlrev_b32_e32 v52, 20, v52
	v_and_b32_e32 v40, 0x80000000, v40
	v_lshl_add_u32 v42, v42, 23, v56
	v_or3_b32 v60, v40, v42, v52
.LBB624_495:                            ;   in Loop: Header=BB624_215 Depth=1
	s_or_b64 exec, exec, s[16:17]
.LBB624_496:                            ;   in Loop: Header=BB624_215 Depth=1
	s_or_b64 exec, exec, s[14:15]
.LBB624_497:                            ;   in Loop: Header=BB624_215 Depth=1
	s_or_b64 exec, exec, s[12:13]
	v_cmp_lt_u32_e32 vcc, s20, v38
	v_mov_b32_e32 v52, 0
	v_mov_b32_e32 v62, 0
	s_and_saveexec_b64 s[12:13], vcc
	s_cbranch_execz .LBB624_503
; %bb.498:                              ;   in Loop: Header=BB624_215 Depth=1
	v_lshrrev_b32_e32 v40, 24, v38
	v_cmp_ne_u32_e32 vcc, s9, v40
	v_bfrev_b32_e32 v62, 1
	s_and_saveexec_b64 s[14:15], vcc
	s_cbranch_execz .LBB624_502
; %bb.499:                              ;   in Loop: Header=BB624_215 Depth=1
	v_bfe_u32 v38, v38, 24, 7
	v_cmp_ne_u32_e32 vcc, s19, v38
	v_mov_b32_e32 v62, 0x7f800001
	s_and_saveexec_b64 s[16:17], vcc
	s_cbranch_execz .LBB624_501
; %bb.500:                              ;   in Loop: Header=BB624_215 Depth=1
	v_and_b32_e32 v42, 7, v40
	v_ffbh_u32_e32 v62, v42
	v_min_u32_e32 v65, 32, v62
	v_subrev_u32_e32 v62, 28, v65
	v_lshlrev_b64 v[62:63], v62, v[40:41]
	v_lshrrev_b32_e32 v64, 3, v38
	v_sub_u32_e32 v63, 29, v65
	v_and_b32_e32 v62, 7, v62
	v_cmp_gt_u32_e32 vcc, 8, v38
	v_cndmask_b32_e32 v38, v64, v63, vcc
	v_cndmask_b32_e32 v42, v42, v62, vcc
	v_lshlrev_b32_e32 v40, 24, v40
	v_lshlrev_b32_e32 v42, 20, v42
	v_and_b32_e32 v40, 0x80000000, v40
	v_lshl_add_u32 v38, v38, 23, v56
	v_or3_b32 v62, v40, v38, v42
.LBB624_501:                            ;   in Loop: Header=BB624_215 Depth=1
	s_or_b64 exec, exec, s[16:17]
.LBB624_502:                            ;   in Loop: Header=BB624_215 Depth=1
	s_or_b64 exec, exec, s[14:15]
.LBB624_503:                            ;   in Loop: Header=BB624_215 Depth=1
	s_or_b64 exec, exec, s[12:13]
	v_cvt_pkrtz_f16_f32 v65, v44, v59
	buffer_load_dword v44, v51, s[0:3], 0 offen
	buffer_load_dword v42, v51, s[0:3], 0 offen offset:4
	buffer_load_dword v40, v51, s[0:3], 0 offen offset:8
	buffer_load_dword v38, v51, s[0:3], 0 offen offset:12
	v_cvt_pkrtz_f16_f32 v64, v46, v57
	v_cvt_pkrtz_f16_f32 v58, v58, v61
	;; [unrolled: 1-line block ×3, first 2 shown]
	v_mfma_f32_16x16x16f16 v[34:37], v[64:65], v[22:23], v[34:37]
	s_waitcnt vmcnt(3)
	v_cmp_ne_u16_sdwa s[14:15], v44, v55 src0_sel:BYTE_0 src1_sel:DWORD
	v_mfma_f32_16x16x16f16 v[34:37], v[58:59], v[24:25], v[34:37]
	s_and_saveexec_b64 s[12:13], s[14:15]
	s_cbranch_execz .LBB624_509
; %bb.504:                              ;   in Loop: Header=BB624_215 Depth=1
	v_cmp_ne_u16_sdwa s[16:17], v44, s9 src0_sel:BYTE_0 src1_sel:DWORD
	v_bfrev_b32_e32 v52, 1
	s_and_saveexec_b64 s[14:15], s[16:17]
	s_cbranch_execz .LBB624_508
; %bb.505:                              ;   in Loop: Header=BB624_215 Depth=1
	v_and_b32_e32 v46, 0x7f, v44
	v_cmp_ne_u32_e32 vcc, s19, v46
	v_mov_b32_e32 v52, 0x7f800001
	s_and_saveexec_b64 s[16:17], vcc
	s_cbranch_execz .LBB624_507
; %bb.506:                              ;   in Loop: Header=BB624_215 Depth=1
	v_and_b32_e32 v51, 7, v44
	v_ffbh_u32_e32 v57, v51
	v_min_u32_e32 v57, 32, v57
	v_subrev_u32_e32 v58, 28, v57
	v_lshlrev_b64 v[58:59], v58, v[44:45]
	v_lshrrev_b32_e32 v52, 3, v46
	v_sub_u32_e32 v57, 29, v57
	v_and_b32_e32 v58, 7, v58
	v_cmp_gt_u32_e32 vcc, 8, v46
	v_cndmask_b32_e32 v46, v52, v57, vcc
	v_cndmask_b32_e32 v51, v51, v58, vcc
	v_lshlrev_b32_e32 v52, 24, v44
	v_lshlrev_b32_e32 v51, 20, v51
	v_and_b32_e32 v52, 0x80000000, v52
	v_lshl_add_u32 v46, v46, 23, v56
	v_or3_b32 v52, v52, v46, v51
.LBB624_507:                            ;   in Loop: Header=BB624_215 Depth=1
	s_or_b64 exec, exec, s[16:17]
.LBB624_508:                            ;   in Loop: Header=BB624_215 Depth=1
	s_or_b64 exec, exec, s[14:15]
.LBB624_509:                            ;   in Loop: Header=BB624_215 Depth=1
	s_or_b64 exec, exec, s[12:13]
	v_lshrrev_b16_e32 v46, 8, v44
	v_cmp_ne_u16_e32 vcc, 0, v46
	v_mov_b32_e32 v51, 0
	v_mov_b32_e32 v57, 0
	s_and_saveexec_b64 s[12:13], vcc
	s_cbranch_execz .LBB624_515
; %bb.510:                              ;   in Loop: Header=BB624_215 Depth=1
	v_cmp_ne_u16_e32 vcc, s9, v46
	v_bfrev_b32_e32 v57, 1
	s_and_saveexec_b64 s[14:15], vcc
	s_cbranch_execz .LBB624_514
; %bb.511:                              ;   in Loop: Header=BB624_215 Depth=1
	v_and_b32_e32 v58, 0x7f, v46
	v_cmp_ne_u32_e32 vcc, s19, v58
	v_mov_b32_e32 v57, 0x7f800001
	s_and_saveexec_b64 s[16:17], vcc
	s_cbranch_execz .LBB624_513
; %bb.512:                              ;   in Loop: Header=BB624_215 Depth=1
	v_and_b32_e32 v57, 7, v46
	v_ffbh_u32_e32 v60, v57
	v_min_u32_e32 v62, 32, v60
	v_subrev_u32_e32 v60, 28, v62
	v_lshlrev_b64 v[60:61], v60, v[46:47]
	v_lshrrev_b32_e32 v59, 3, v58
	v_sub_u32_e32 v46, 29, v62
	v_and_b32_e32 v60, 7, v60
	v_cmp_gt_u32_e32 vcc, 8, v58
	v_cndmask_b32_e32 v46, v59, v46, vcc
	v_cndmask_b32_e32 v57, v57, v60, vcc
	v_lshlrev_b32_e32 v58, 16, v44
	v_lshlrev_b32_e32 v57, 20, v57
	v_and_b32_e32 v58, 0x80000000, v58
	v_lshl_add_u32 v46, v46, 23, v56
	v_or3_b32 v57, v58, v46, v57
.LBB624_513:                            ;   in Loop: Header=BB624_215 Depth=1
	s_or_b64 exec, exec, s[16:17]
.LBB624_514:                            ;   in Loop: Header=BB624_215 Depth=1
	s_or_b64 exec, exec, s[14:15]
.LBB624_515:                            ;   in Loop: Header=BB624_215 Depth=1
	s_or_b64 exec, exec, s[12:13]
	v_lshrrev_b32_e32 v46, 16, v44
	v_cmp_ne_u16_sdwa s[14:15], v46, v55 src0_sel:BYTE_0 src1_sel:DWORD
	s_and_saveexec_b64 s[12:13], s[14:15]
	s_cbranch_execz .LBB624_521
; %bb.516:                              ;   in Loop: Header=BB624_215 Depth=1
	v_cmp_ne_u16_sdwa s[16:17], v46, s9 src0_sel:BYTE_0 src1_sel:DWORD
	v_bfrev_b32_e32 v51, 1
	s_and_saveexec_b64 s[14:15], s[16:17]
	s_cbranch_execz .LBB624_520
; %bb.517:                              ;   in Loop: Header=BB624_215 Depth=1
	v_bfe_u32 v58, v44, 16, 7
	v_cmp_ne_u32_e32 vcc, s19, v58
	v_mov_b32_e32 v51, 0x7f800001
	s_and_saveexec_b64 s[16:17], vcc
	s_cbranch_execz .LBB624_519
; %bb.518:                              ;   in Loop: Header=BB624_215 Depth=1
	v_and_b32_e32 v51, 7, v46
	v_ffbh_u32_e32 v60, v51
	v_min_u32_e32 v62, 32, v60
	v_subrev_u32_e32 v60, 28, v62
	v_lshlrev_b64 v[60:61], v60, v[46:47]
	v_lshrrev_b32_e32 v59, 3, v58
	v_sub_u32_e32 v61, 29, v62
	v_and_b32_e32 v60, 7, v60
	v_cmp_gt_u32_e32 vcc, 8, v58
	v_cndmask_b32_e32 v58, v59, v61, vcc
	v_cndmask_b32_e32 v51, v51, v60, vcc
	v_lshlrev_b32_e32 v46, 24, v46
	v_lshlrev_b32_e32 v51, 20, v51
	v_and_b32_e32 v46, 0x80000000, v46
	v_lshl_add_u32 v58, v58, 23, v56
	v_or3_b32 v51, v46, v58, v51
.LBB624_519:                            ;   in Loop: Header=BB624_215 Depth=1
	s_or_b64 exec, exec, s[16:17]
.LBB624_520:                            ;   in Loop: Header=BB624_215 Depth=1
	s_or_b64 exec, exec, s[14:15]
.LBB624_521:                            ;   in Loop: Header=BB624_215 Depth=1
	s_or_b64 exec, exec, s[12:13]
	v_cmp_lt_u32_e32 vcc, s20, v44
	v_mov_b32_e32 v58, 0
	v_mov_b32_e32 v59, 0
	s_and_saveexec_b64 s[12:13], vcc
	s_cbranch_execz .LBB624_527
; %bb.522:                              ;   in Loop: Header=BB624_215 Depth=1
	v_lshrrev_b32_e32 v46, 24, v44
	v_cmp_ne_u32_e32 vcc, s9, v46
	v_bfrev_b32_e32 v59, 1
	s_and_saveexec_b64 s[14:15], vcc
	s_cbranch_execz .LBB624_526
; %bb.523:                              ;   in Loop: Header=BB624_215 Depth=1
	v_bfe_u32 v44, v44, 24, 7
	v_cmp_ne_u32_e32 vcc, s19, v44
	v_mov_b32_e32 v59, 0x7f800001
	s_and_saveexec_b64 s[16:17], vcc
	s_cbranch_execz .LBB624_525
; %bb.524:                              ;   in Loop: Header=BB624_215 Depth=1
	v_and_b32_e32 v59, 7, v46
	v_ffbh_u32_e32 v60, v59
	v_min_u32_e32 v63, 32, v60
	v_subrev_u32_e32 v60, 28, v63
	v_lshlrev_b64 v[60:61], v60, v[46:47]
	v_lshrrev_b32_e32 v62, 3, v44
	v_sub_u32_e32 v61, 29, v63
	v_and_b32_e32 v60, 7, v60
	v_cmp_gt_u32_e32 vcc, 8, v44
	v_cndmask_b32_e32 v44, v62, v61, vcc
	v_cndmask_b32_e32 v59, v59, v60, vcc
	v_lshlrev_b32_e32 v46, 24, v46
	v_lshlrev_b32_e32 v59, 20, v59
	v_and_b32_e32 v46, 0x80000000, v46
	v_lshl_add_u32 v44, v44, 23, v56
	v_or3_b32 v59, v46, v44, v59
.LBB624_525:                            ;   in Loop: Header=BB624_215 Depth=1
	s_or_b64 exec, exec, s[16:17]
.LBB624_526:                            ;   in Loop: Header=BB624_215 Depth=1
	s_or_b64 exec, exec, s[14:15]
.LBB624_527:                            ;   in Loop: Header=BB624_215 Depth=1
	s_or_b64 exec, exec, s[12:13]
	s_waitcnt vmcnt(2)
	v_cmp_ne_u16_sdwa s[14:15], v42, v55 src0_sel:BYTE_0 src1_sel:DWORD
	s_and_saveexec_b64 s[12:13], s[14:15]
	s_cbranch_execz .LBB624_533
; %bb.528:                              ;   in Loop: Header=BB624_215 Depth=1
	v_cmp_ne_u16_sdwa s[16:17], v42, s9 src0_sel:BYTE_0 src1_sel:DWORD
	v_bfrev_b32_e32 v58, 1
	s_and_saveexec_b64 s[14:15], s[16:17]
	s_cbranch_execz .LBB624_532
; %bb.529:                              ;   in Loop: Header=BB624_215 Depth=1
	v_and_b32_e32 v44, 0x7f, v42
	v_cmp_ne_u32_e32 vcc, s19, v44
	v_mov_b32_e32 v58, 0x7f800001
	s_and_saveexec_b64 s[16:17], vcc
	s_cbranch_execz .LBB624_531
; %bb.530:                              ;   in Loop: Header=BB624_215 Depth=1
	v_and_b32_e32 v46, 7, v42
	v_ffbh_u32_e32 v60, v46
	v_min_u32_e32 v62, 32, v60
	v_subrev_u32_e32 v60, 28, v62
	v_lshlrev_b64 v[60:61], v60, v[42:43]
	v_lshrrev_b32_e32 v58, 3, v44
	v_sub_u32_e32 v61, 29, v62
	v_and_b32_e32 v60, 7, v60
	v_cmp_gt_u32_e32 vcc, 8, v44
	v_cndmask_b32_e32 v44, v58, v61, vcc
	v_cndmask_b32_e32 v46, v46, v60, vcc
	v_lshlrev_b32_e32 v58, 24, v42
	v_lshlrev_b32_e32 v46, 20, v46
	v_and_b32_e32 v58, 0x80000000, v58
	v_lshl_add_u32 v44, v44, 23, v56
	v_or3_b32 v58, v58, v44, v46
.LBB624_531:                            ;   in Loop: Header=BB624_215 Depth=1
	s_or_b64 exec, exec, s[16:17]
.LBB624_532:                            ;   in Loop: Header=BB624_215 Depth=1
	s_or_b64 exec, exec, s[14:15]
.LBB624_533:                            ;   in Loop: Header=BB624_215 Depth=1
	s_or_b64 exec, exec, s[12:13]
	v_lshrrev_b16_e32 v44, 8, v42
	v_cmp_ne_u16_e32 vcc, 0, v44
	v_mov_b32_e32 v60, 0
	v_mov_b32_e32 v61, 0
	s_and_saveexec_b64 s[12:13], vcc
	s_cbranch_execz .LBB624_539
; %bb.534:                              ;   in Loop: Header=BB624_215 Depth=1
	v_cmp_ne_u16_e32 vcc, s9, v44
	v_bfrev_b32_e32 v61, 1
	s_and_saveexec_b64 s[14:15], vcc
	s_cbranch_execz .LBB624_538
; %bb.535:                              ;   in Loop: Header=BB624_215 Depth=1
	v_and_b32_e32 v46, 0x7f, v44
	v_cmp_ne_u32_e32 vcc, s19, v46
	v_mov_b32_e32 v61, 0x7f800001
	s_and_saveexec_b64 s[16:17], vcc
	s_cbranch_execz .LBB624_537
; %bb.536:                              ;   in Loop: Header=BB624_215 Depth=1
	v_and_b32_e32 v61, 7, v44
	v_ffbh_u32_e32 v62, v61
	v_min_u32_e32 v65, 32, v62
	v_subrev_u32_e32 v62, 28, v65
	v_lshlrev_b64 v[62:63], v62, v[44:45]
	v_lshrrev_b32_e32 v64, 3, v46
	v_sub_u32_e32 v44, 29, v65
	v_and_b32_e32 v62, 7, v62
	v_cmp_gt_u32_e32 vcc, 8, v46
	v_cndmask_b32_e32 v44, v64, v44, vcc
	v_cndmask_b32_e32 v46, v61, v62, vcc
	v_lshlrev_b32_e32 v61, 16, v42
	v_lshlrev_b32_e32 v46, 20, v46
	v_and_b32_e32 v61, 0x80000000, v61
	v_lshl_add_u32 v44, v44, 23, v56
	v_or3_b32 v61, v61, v44, v46
.LBB624_537:                            ;   in Loop: Header=BB624_215 Depth=1
	s_or_b64 exec, exec, s[16:17]
.LBB624_538:                            ;   in Loop: Header=BB624_215 Depth=1
	s_or_b64 exec, exec, s[14:15]
.LBB624_539:                            ;   in Loop: Header=BB624_215 Depth=1
	s_or_b64 exec, exec, s[12:13]
	v_lshrrev_b32_e32 v44, 16, v42
	v_cmp_ne_u16_sdwa s[14:15], v44, v55 src0_sel:BYTE_0 src1_sel:DWORD
	s_and_saveexec_b64 s[12:13], s[14:15]
	s_cbranch_execz .LBB624_545
; %bb.540:                              ;   in Loop: Header=BB624_215 Depth=1
	v_cmp_ne_u16_sdwa s[16:17], v44, s9 src0_sel:BYTE_0 src1_sel:DWORD
	v_bfrev_b32_e32 v60, 1
	s_and_saveexec_b64 s[14:15], s[16:17]
	s_cbranch_execz .LBB624_544
; %bb.541:                              ;   in Loop: Header=BB624_215 Depth=1
	v_bfe_u32 v46, v42, 16, 7
	v_cmp_ne_u32_e32 vcc, s19, v46
	v_mov_b32_e32 v60, 0x7f800001
	s_and_saveexec_b64 s[16:17], vcc
	s_cbranch_execz .LBB624_543
; %bb.542:                              ;   in Loop: Header=BB624_215 Depth=1
	v_and_b32_e32 v60, 7, v44
	v_ffbh_u32_e32 v62, v60
	v_min_u32_e32 v65, 32, v62
	v_subrev_u32_e32 v62, 28, v65
	v_lshlrev_b64 v[62:63], v62, v[44:45]
	v_lshrrev_b32_e32 v64, 3, v46
	v_sub_u32_e32 v63, 29, v65
	v_and_b32_e32 v62, 7, v62
	v_cmp_gt_u32_e32 vcc, 8, v46
	v_cndmask_b32_e32 v46, v64, v63, vcc
	v_cndmask_b32_e32 v60, v60, v62, vcc
	v_lshlrev_b32_e32 v44, 24, v44
	v_lshlrev_b32_e32 v60, 20, v60
	v_and_b32_e32 v44, 0x80000000, v44
	v_lshl_add_u32 v46, v46, 23, v56
	v_or3_b32 v60, v44, v46, v60
.LBB624_543:                            ;   in Loop: Header=BB624_215 Depth=1
	s_or_b64 exec, exec, s[16:17]
.LBB624_544:                            ;   in Loop: Header=BB624_215 Depth=1
	s_or_b64 exec, exec, s[14:15]
.LBB624_545:                            ;   in Loop: Header=BB624_215 Depth=1
	s_or_b64 exec, exec, s[12:13]
	v_cmp_lt_u32_e32 vcc, s20, v42
	v_mov_b32_e32 v46, 0
	v_mov_b32_e32 v62, 0
	s_and_saveexec_b64 s[12:13], vcc
	s_cbranch_execz .LBB624_551
; %bb.546:                              ;   in Loop: Header=BB624_215 Depth=1
	v_lshrrev_b32_e32 v44, 24, v42
	v_cmp_ne_u32_e32 vcc, s9, v44
	v_bfrev_b32_e32 v62, 1
	s_and_saveexec_b64 s[14:15], vcc
	s_cbranch_execz .LBB624_550
; %bb.547:                              ;   in Loop: Header=BB624_215 Depth=1
	v_bfe_u32 v42, v42, 24, 7
	v_cmp_ne_u32_e32 vcc, s19, v42
	v_mov_b32_e32 v62, 0x7f800001
	s_and_saveexec_b64 s[16:17], vcc
	s_cbranch_execz .LBB624_549
; %bb.548:                              ;   in Loop: Header=BB624_215 Depth=1
	v_and_b32_e32 v64, 7, v44
	v_ffbh_u32_e32 v62, v64
	v_min_u32_e32 v66, 32, v62
	v_subrev_u32_e32 v62, 28, v66
	v_lshlrev_b64 v[62:63], v62, v[44:45]
	v_lshrrev_b32_e32 v65, 3, v42
	v_sub_u32_e32 v63, 29, v66
	v_and_b32_e32 v62, 7, v62
	v_cmp_gt_u32_e32 vcc, 8, v42
	v_cndmask_b32_e32 v42, v65, v63, vcc
	v_cndmask_b32_e32 v62, v64, v62, vcc
	v_lshlrev_b32_e32 v44, 24, v44
	v_lshlrev_b32_e32 v62, 20, v62
	v_and_b32_e32 v44, 0x80000000, v44
	v_lshl_add_u32 v42, v42, 23, v56
	v_or3_b32 v62, v44, v42, v62
.LBB624_549:                            ;   in Loop: Header=BB624_215 Depth=1
	s_or_b64 exec, exec, s[16:17]
.LBB624_550:                            ;   in Loop: Header=BB624_215 Depth=1
	s_or_b64 exec, exec, s[14:15]
.LBB624_551:                            ;   in Loop: Header=BB624_215 Depth=1
	s_or_b64 exec, exec, s[12:13]
	v_cvt_pkrtz_f16_f32 v64, v52, v57
	v_cvt_pkrtz_f16_f32 v65, v51, v59
	;; [unrolled: 1-line block ×4, first 2 shown]
	s_waitcnt vmcnt(1)
	v_cmp_ne_u16_sdwa s[14:15], v40, v55 src0_sel:BYTE_0 src1_sel:DWORD
	v_mfma_f32_16x16x16f16 v[34:37], v[64:65], v[26:27], v[34:37]
	v_mfma_f32_16x16x16f16 v[34:37], v[58:59], v[28:29], v[34:37]
	s_and_saveexec_b64 s[12:13], s[14:15]
	s_cbranch_execz .LBB624_557
; %bb.552:                              ;   in Loop: Header=BB624_215 Depth=1
	v_cmp_ne_u16_sdwa s[16:17], v40, s9 src0_sel:BYTE_0 src1_sel:DWORD
	v_bfrev_b32_e32 v46, 1
	s_and_saveexec_b64 s[14:15], s[16:17]
	s_cbranch_execz .LBB624_556
; %bb.553:                              ;   in Loop: Header=BB624_215 Depth=1
	v_and_b32_e32 v42, 0x7f, v40
	v_cmp_ne_u32_e32 vcc, s19, v42
	v_mov_b32_e32 v46, 0x7f800001
	s_and_saveexec_b64 s[16:17], vcc
	s_cbranch_execz .LBB624_555
; %bb.554:                              ;   in Loop: Header=BB624_215 Depth=1
	v_and_b32_e32 v44, 7, v40
	v_ffbh_u32_e32 v51, v44
	v_min_u32_e32 v51, 32, v51
	v_subrev_u32_e32 v52, 28, v51
	v_lshlrev_b64 v[58:59], v52, v[40:41]
	v_lshrrev_b32_e32 v46, 3, v42
	v_sub_u32_e32 v51, 29, v51
	v_and_b32_e32 v52, 7, v58
	v_cmp_gt_u32_e32 vcc, 8, v42
	v_cndmask_b32_e32 v42, v46, v51, vcc
	v_cndmask_b32_e32 v44, v44, v52, vcc
	v_lshlrev_b32_e32 v46, 24, v40
	v_lshlrev_b32_e32 v44, 20, v44
	v_and_b32_e32 v46, 0x80000000, v46
	v_lshl_add_u32 v42, v42, 23, v56
	v_or3_b32 v46, v46, v42, v44
.LBB624_555:                            ;   in Loop: Header=BB624_215 Depth=1
	s_or_b64 exec, exec, s[16:17]
.LBB624_556:                            ;   in Loop: Header=BB624_215 Depth=1
	s_or_b64 exec, exec, s[14:15]
.LBB624_557:                            ;   in Loop: Header=BB624_215 Depth=1
	s_or_b64 exec, exec, s[12:13]
	v_lshrrev_b16_e32 v42, 8, v40
	v_cmp_ne_u16_e32 vcc, 0, v42
	v_mov_b32_e32 v44, 0
	v_mov_b32_e32 v51, 0
	s_and_saveexec_b64 s[12:13], vcc
	s_cbranch_execz .LBB624_563
; %bb.558:                              ;   in Loop: Header=BB624_215 Depth=1
	v_cmp_ne_u16_e32 vcc, s9, v42
	v_bfrev_b32_e32 v51, 1
	s_and_saveexec_b64 s[14:15], vcc
	s_cbranch_execz .LBB624_562
; %bb.559:                              ;   in Loop: Header=BB624_215 Depth=1
	v_and_b32_e32 v52, 0x7f, v42
	v_cmp_ne_u32_e32 vcc, s19, v52
	v_mov_b32_e32 v51, 0x7f800001
	s_and_saveexec_b64 s[16:17], vcc
	s_cbranch_execz .LBB624_561
; %bb.560:                              ;   in Loop: Header=BB624_215 Depth=1
	v_and_b32_e32 v51, 7, v42
	v_ffbh_u32_e32 v58, v51
	v_min_u32_e32 v60, 32, v58
	v_subrev_u32_e32 v58, 28, v60
	v_lshlrev_b64 v[58:59], v58, v[42:43]
	v_lshrrev_b32_e32 v57, 3, v52
	v_sub_u32_e32 v42, 29, v60
	v_and_b32_e32 v58, 7, v58
	v_cmp_gt_u32_e32 vcc, 8, v52
	v_cndmask_b32_e32 v42, v57, v42, vcc
	v_cndmask_b32_e32 v51, v51, v58, vcc
	v_lshlrev_b32_e32 v52, 16, v40
	v_lshlrev_b32_e32 v51, 20, v51
	v_and_b32_e32 v52, 0x80000000, v52
	v_lshl_add_u32 v42, v42, 23, v56
	v_or3_b32 v51, v52, v42, v51
.LBB624_561:                            ;   in Loop: Header=BB624_215 Depth=1
	s_or_b64 exec, exec, s[16:17]
.LBB624_562:                            ;   in Loop: Header=BB624_215 Depth=1
	s_or_b64 exec, exec, s[14:15]
.LBB624_563:                            ;   in Loop: Header=BB624_215 Depth=1
	s_or_b64 exec, exec, s[12:13]
	v_lshrrev_b32_e32 v42, 16, v40
	v_cmp_ne_u16_sdwa s[14:15], v42, v55 src0_sel:BYTE_0 src1_sel:DWORD
	s_and_saveexec_b64 s[12:13], s[14:15]
	s_cbranch_execz .LBB624_569
; %bb.564:                              ;   in Loop: Header=BB624_215 Depth=1
	v_cmp_ne_u16_sdwa s[16:17], v42, s9 src0_sel:BYTE_0 src1_sel:DWORD
	v_bfrev_b32_e32 v44, 1
	s_and_saveexec_b64 s[14:15], s[16:17]
	s_cbranch_execz .LBB624_568
; %bb.565:                              ;   in Loop: Header=BB624_215 Depth=1
	v_bfe_u32 v52, v40, 16, 7
	v_cmp_ne_u32_e32 vcc, s19, v52
	v_mov_b32_e32 v44, 0x7f800001
	s_and_saveexec_b64 s[16:17], vcc
	s_cbranch_execz .LBB624_567
; %bb.566:                              ;   in Loop: Header=BB624_215 Depth=1
	v_and_b32_e32 v44, 7, v42
	v_ffbh_u32_e32 v58, v44
	v_min_u32_e32 v60, 32, v58
	v_subrev_u32_e32 v58, 28, v60
	v_lshlrev_b64 v[58:59], v58, v[42:43]
	v_lshrrev_b32_e32 v57, 3, v52
	v_sub_u32_e32 v59, 29, v60
	v_and_b32_e32 v58, 7, v58
	v_cmp_gt_u32_e32 vcc, 8, v52
	v_cndmask_b32_e32 v52, v57, v59, vcc
	v_cndmask_b32_e32 v44, v44, v58, vcc
	v_lshlrev_b32_e32 v42, 24, v42
	v_lshlrev_b32_e32 v44, 20, v44
	v_and_b32_e32 v42, 0x80000000, v42
	v_lshl_add_u32 v52, v52, 23, v56
	v_or3_b32 v44, v42, v52, v44
.LBB624_567:                            ;   in Loop: Header=BB624_215 Depth=1
	s_or_b64 exec, exec, s[16:17]
.LBB624_568:                            ;   in Loop: Header=BB624_215 Depth=1
	s_or_b64 exec, exec, s[14:15]
.LBB624_569:                            ;   in Loop: Header=BB624_215 Depth=1
	s_or_b64 exec, exec, s[12:13]
	v_cmp_lt_u32_e32 vcc, s20, v40
	v_mov_b32_e32 v52, 0
	v_mov_b32_e32 v57, 0
	s_and_saveexec_b64 s[12:13], vcc
	s_cbranch_execz .LBB624_575
; %bb.570:                              ;   in Loop: Header=BB624_215 Depth=1
	v_lshrrev_b32_e32 v42, 24, v40
	v_cmp_ne_u32_e32 vcc, s9, v42
	v_bfrev_b32_e32 v57, 1
	s_and_saveexec_b64 s[14:15], vcc
	s_cbranch_execz .LBB624_574
; %bb.571:                              ;   in Loop: Header=BB624_215 Depth=1
	v_bfe_u32 v40, v40, 24, 7
	v_cmp_ne_u32_e32 vcc, s19, v40
	v_mov_b32_e32 v57, 0x7f800001
	s_and_saveexec_b64 s[16:17], vcc
	s_cbranch_execz .LBB624_573
; %bb.572:                              ;   in Loop: Header=BB624_215 Depth=1
	v_and_b32_e32 v57, 7, v42
	v_ffbh_u32_e32 v58, v57
	v_min_u32_e32 v61, 32, v58
	v_subrev_u32_e32 v58, 28, v61
	v_lshlrev_b64 v[58:59], v58, v[42:43]
	v_lshrrev_b32_e32 v60, 3, v40
	v_sub_u32_e32 v59, 29, v61
	v_and_b32_e32 v58, 7, v58
	v_cmp_gt_u32_e32 vcc, 8, v40
	v_cndmask_b32_e32 v40, v60, v59, vcc
	v_cndmask_b32_e32 v57, v57, v58, vcc
	v_lshlrev_b32_e32 v42, 24, v42
	v_lshlrev_b32_e32 v57, 20, v57
	v_and_b32_e32 v42, 0x80000000, v42
	v_lshl_add_u32 v40, v40, 23, v56
	v_or3_b32 v57, v42, v40, v57
.LBB624_573:                            ;   in Loop: Header=BB624_215 Depth=1
	s_or_b64 exec, exec, s[16:17]
.LBB624_574:                            ;   in Loop: Header=BB624_215 Depth=1
	s_or_b64 exec, exec, s[14:15]
.LBB624_575:                            ;   in Loop: Header=BB624_215 Depth=1
	s_or_b64 exec, exec, s[12:13]
	s_waitcnt vmcnt(0)
	v_cmp_ne_u16_sdwa s[14:15], v38, v55 src0_sel:BYTE_0 src1_sel:DWORD
	s_and_saveexec_b64 s[12:13], s[14:15]
	s_cbranch_execz .LBB624_581
; %bb.576:                              ;   in Loop: Header=BB624_215 Depth=1
	v_cmp_ne_u16_sdwa s[16:17], v38, s9 src0_sel:BYTE_0 src1_sel:DWORD
	v_bfrev_b32_e32 v52, 1
	s_and_saveexec_b64 s[14:15], s[16:17]
	s_cbranch_execz .LBB624_580
; %bb.577:                              ;   in Loop: Header=BB624_215 Depth=1
	v_and_b32_e32 v40, 0x7f, v38
	v_cmp_ne_u32_e32 vcc, s19, v40
	v_mov_b32_e32 v52, 0x7f800001
	s_and_saveexec_b64 s[16:17], vcc
	s_cbranch_execz .LBB624_579
; %bb.578:                              ;   in Loop: Header=BB624_215 Depth=1
	v_and_b32_e32 v42, 7, v38
	v_ffbh_u32_e32 v58, v42
	v_min_u32_e32 v60, 32, v58
	v_subrev_u32_e32 v58, 28, v60
	v_lshlrev_b64 v[58:59], v58, v[38:39]
	v_lshrrev_b32_e32 v52, 3, v40
	v_sub_u32_e32 v59, 29, v60
	v_and_b32_e32 v58, 7, v58
	v_cmp_gt_u32_e32 vcc, 8, v40
	v_cndmask_b32_e32 v40, v52, v59, vcc
	v_cndmask_b32_e32 v42, v42, v58, vcc
	v_lshlrev_b32_e32 v52, 24, v38
	v_lshlrev_b32_e32 v42, 20, v42
	v_and_b32_e32 v52, 0x80000000, v52
	v_lshl_add_u32 v40, v40, 23, v56
	v_or3_b32 v52, v52, v40, v42
.LBB624_579:                            ;   in Loop: Header=BB624_215 Depth=1
	s_or_b64 exec, exec, s[16:17]
.LBB624_580:                            ;   in Loop: Header=BB624_215 Depth=1
	s_or_b64 exec, exec, s[14:15]
.LBB624_581:                            ;   in Loop: Header=BB624_215 Depth=1
	s_or_b64 exec, exec, s[12:13]
	v_lshrrev_b16_e32 v40, 8, v38
	v_cmp_ne_u16_e32 vcc, 0, v40
	v_mov_b32_e32 v42, 0
	v_mov_b32_e32 v58, 0
	s_and_saveexec_b64 s[12:13], vcc
	s_cbranch_execz .LBB624_587
; %bb.582:                              ;   in Loop: Header=BB624_215 Depth=1
	v_cmp_ne_u16_e32 vcc, s9, v40
	v_bfrev_b32_e32 v58, 1
	s_and_saveexec_b64 s[14:15], vcc
	s_cbranch_execz .LBB624_586
; %bb.583:                              ;   in Loop: Header=BB624_215 Depth=1
	v_and_b32_e32 v59, 0x7f, v40
	v_cmp_ne_u32_e32 vcc, s19, v59
	v_mov_b32_e32 v58, 0x7f800001
	s_and_saveexec_b64 s[16:17], vcc
	s_cbranch_execz .LBB624_585
; %bb.584:                              ;   in Loop: Header=BB624_215 Depth=1
	v_and_b32_e32 v58, 7, v40
	v_ffbh_u32_e32 v60, v58
	v_min_u32_e32 v63, 32, v60
	v_subrev_u32_e32 v60, 28, v63
	v_lshlrev_b64 v[60:61], v60, v[40:41]
	v_lshrrev_b32_e32 v62, 3, v59
	v_sub_u32_e32 v40, 29, v63
	v_and_b32_e32 v60, 7, v60
	v_cmp_gt_u32_e32 vcc, 8, v59
	v_cndmask_b32_e32 v40, v62, v40, vcc
	v_cndmask_b32_e32 v58, v58, v60, vcc
	v_lshlrev_b32_e32 v59, 16, v38
	v_lshlrev_b32_e32 v58, 20, v58
	v_and_b32_e32 v59, 0x80000000, v59
	v_lshl_add_u32 v40, v40, 23, v56
	v_or3_b32 v58, v59, v40, v58
.LBB624_585:                            ;   in Loop: Header=BB624_215 Depth=1
	s_or_b64 exec, exec, s[16:17]
.LBB624_586:                            ;   in Loop: Header=BB624_215 Depth=1
	s_or_b64 exec, exec, s[14:15]
.LBB624_587:                            ;   in Loop: Header=BB624_215 Depth=1
	s_or_b64 exec, exec, s[12:13]
	v_lshrrev_b32_e32 v40, 16, v38
	v_cmp_ne_u16_sdwa s[14:15], v40, v55 src0_sel:BYTE_0 src1_sel:DWORD
	s_and_saveexec_b64 s[12:13], s[14:15]
	s_cbranch_execz .LBB624_593
; %bb.588:                              ;   in Loop: Header=BB624_215 Depth=1
	v_cmp_ne_u16_sdwa s[16:17], v40, s9 src0_sel:BYTE_0 src1_sel:DWORD
	v_bfrev_b32_e32 v42, 1
	s_and_saveexec_b64 s[14:15], s[16:17]
	s_cbranch_execz .LBB624_592
; %bb.589:                              ;   in Loop: Header=BB624_215 Depth=1
	v_bfe_u32 v59, v38, 16, 7
	v_cmp_ne_u32_e32 vcc, s19, v59
	v_mov_b32_e32 v42, 0x7f800001
	s_and_saveexec_b64 s[16:17], vcc
	s_cbranch_execz .LBB624_591
; %bb.590:                              ;   in Loop: Header=BB624_215 Depth=1
	v_and_b32_e32 v42, 7, v40
	v_ffbh_u32_e32 v60, v42
	v_min_u32_e32 v63, 32, v60
	v_subrev_u32_e32 v60, 28, v63
	v_lshlrev_b64 v[60:61], v60, v[40:41]
	v_lshrrev_b32_e32 v62, 3, v59
	v_sub_u32_e32 v61, 29, v63
	v_and_b32_e32 v60, 7, v60
	v_cmp_gt_u32_e32 vcc, 8, v59
	v_cndmask_b32_e32 v59, v62, v61, vcc
	v_cndmask_b32_e32 v42, v42, v60, vcc
	v_lshlrev_b32_e32 v40, 24, v40
	v_lshlrev_b32_e32 v42, 20, v42
	v_and_b32_e32 v40, 0x80000000, v40
	v_lshl_add_u32 v59, v59, 23, v56
	v_or3_b32 v42, v40, v59, v42
.LBB624_591:                            ;   in Loop: Header=BB624_215 Depth=1
	s_or_b64 exec, exec, s[16:17]
.LBB624_592:                            ;   in Loop: Header=BB624_215 Depth=1
	s_or_b64 exec, exec, s[14:15]
.LBB624_593:                            ;   in Loop: Header=BB624_215 Depth=1
	s_or_b64 exec, exec, s[12:13]
	v_cmp_lt_u32_e32 vcc, s20, v38
	v_mov_b32_e32 v59, 0
	s_and_saveexec_b64 s[12:13], vcc
	s_cbranch_execz .LBB624_214
; %bb.594:                              ;   in Loop: Header=BB624_215 Depth=1
	v_lshrrev_b32_e32 v40, 24, v38
	v_cmp_ne_u32_e32 vcc, s9, v40
	v_bfrev_b32_e32 v59, 1
	s_and_saveexec_b64 s[14:15], vcc
	s_cbranch_execz .LBB624_213
; %bb.595:                              ;   in Loop: Header=BB624_215 Depth=1
	v_bfe_u32 v38, v38, 24, 7
	v_cmp_ne_u32_e32 vcc, s19, v38
	v_mov_b32_e32 v59, 0x7f800001
	s_and_saveexec_b64 s[16:17], vcc
	s_cbranch_execz .LBB624_212
; %bb.596:                              ;   in Loop: Header=BB624_215 Depth=1
	v_and_b32_e32 v59, 7, v40
	v_ffbh_u32_e32 v60, v59
	v_min_u32_e32 v63, 32, v60
	v_subrev_u32_e32 v60, 28, v63
	v_lshlrev_b64 v[60:61], v60, v[40:41]
	v_lshrrev_b32_e32 v62, 3, v38
	v_sub_u32_e32 v61, 29, v63
	v_and_b32_e32 v60, 7, v60
	v_cmp_gt_u32_e32 vcc, 8, v38
	v_cndmask_b32_e32 v38, v62, v61, vcc
	v_cndmask_b32_e32 v59, v59, v60, vcc
	v_lshlrev_b32_e32 v40, 24, v40
	v_lshlrev_b32_e32 v59, 20, v59
	v_and_b32_e32 v40, 0x80000000, v40
	v_lshl_add_u32 v38, v38, 23, v56
	v_or3_b32 v59, v40, v38, v59
	s_branch .LBB624_212
.LBB624_597:
	s_barrier
	buffer_load_dword v2, off, s[0:3], 0 offset:320
	buffer_load_dword v5, off, s[0:3], 0 offset:332
	;; [unrolled: 1-line block ×4, first 2 shown]
	v_cmp_gt_u32_e32 vcc, 64, v0
	v_cmp_ne_u32_e64 s[4:5], 3, v41
	s_and_b64 s[4:5], vcc, s[4:5]
	s_waitcnt vmcnt(0)
	ds_write2st64_b64 v53, v[2:3], v[4:5] offset1:1
	s_waitcnt lgkmcnt(0)
	s_barrier
	s_and_saveexec_b64 s[6:7], s[4:5]
	s_cbranch_execz .LBB624_599
; %bb.598:
	s_mul_i32 s4, s18, s8
	s_lshl_b32 s6, s48, 7
	s_mul_hi_u32 s5, s4, s6
	s_mul_i32 s4, s4, s6
	s_lshl_b64 s[4:5], s[4:5], 1
	s_add_u32 s7, s50, s4
	v_lshlrev_b32_e32 v4, 6, v43
	s_addc_u32 s8, s51, s5
	s_lshl_b32 s4, s26, 7
	s_mov_b32 s5, 0
	v_lshl_or_b32 v0, v0, 10, v4
	s_lshl_b64 s[4:5], s[4:5], 1
	v_lshlrev_b32_e32 v2, 5, v41
	v_and_b32_e32 v3, 16, v45
	v_and_b32_e32 v0, 0x1a00, v0
	s_add_u32 s7, s7, s4
	v_or3_b32 v0, v0, v2, v3
	s_addc_u32 s8, s8, s5
	v_mad_u64_u32 v[6:7], s[4:5], s6, v39, 0
	ds_read_b128 v[2:5], v0
	v_lshlrev_b64 v[6:7], 1, v[6:7]
	v_mov_b32_e32 v0, s8
	v_add_co_u32_e32 v6, vcc, s7, v6
	v_addc_co_u32_e32 v7, vcc, v0, v7, vcc
	v_add_co_u32_e32 v0, vcc, v6, v1
	v_addc_co_u32_e32 v1, vcc, 0, v7, vcc
	s_waitcnt lgkmcnt(0)
	global_store_dwordx4 v[0:1], v[2:5], off
.LBB624_599:
	s_endpgm
	.section	.rodata,"a",@progbits
	.p2align	6, 0x0
	.amdhsa_kernel _Z39paged_attention_ll4mi_QKV_mfma16_kernelIDF16_hLN4vllm18Fp8KVCacheDataTypeE1EDF16_Li16ELi128ELi256ELb1ELi3EL8MFMAType0EEvPKT_PKT0_S8_ifPKiSA_SA_iPKfiiiPfSD_PS3_PT2_iSC_SC_
		.amdhsa_group_segment_fixed_size 8192
		.amdhsa_private_segment_fixed_size 352
		.amdhsa_kernarg_size 400
		.amdhsa_user_sgpr_count 8
		.amdhsa_user_sgpr_private_segment_buffer 1
		.amdhsa_user_sgpr_dispatch_ptr 0
		.amdhsa_user_sgpr_queue_ptr 0
		.amdhsa_user_sgpr_kernarg_segment_ptr 1
		.amdhsa_user_sgpr_dispatch_id 0
		.amdhsa_user_sgpr_flat_scratch_init 1
		.amdhsa_user_sgpr_kernarg_preload_length 0
		.amdhsa_user_sgpr_kernarg_preload_offset 0
		.amdhsa_user_sgpr_private_segment_size 0
		.amdhsa_uses_dynamic_stack 0
		.amdhsa_system_sgpr_private_segment_wavefront_offset 1
		.amdhsa_system_sgpr_workgroup_id_x 1
		.amdhsa_system_sgpr_workgroup_id_y 1
		.amdhsa_system_sgpr_workgroup_id_z 1
		.amdhsa_system_sgpr_workgroup_info 0
		.amdhsa_system_vgpr_workitem_id 0
		.amdhsa_next_free_vgpr 82
		.amdhsa_next_free_sgpr 53
		.amdhsa_accum_offset 84
		.amdhsa_reserve_vcc 1
		.amdhsa_reserve_flat_scratch 0
		.amdhsa_float_round_mode_32 0
		.amdhsa_float_round_mode_16_64 0
		.amdhsa_float_denorm_mode_32 3
		.amdhsa_float_denorm_mode_16_64 3
		.amdhsa_dx10_clamp 1
		.amdhsa_ieee_mode 1
		.amdhsa_fp16_overflow 0
		.amdhsa_tg_split 0
		.amdhsa_exception_fp_ieee_invalid_op 0
		.amdhsa_exception_fp_denorm_src 0
		.amdhsa_exception_fp_ieee_div_zero 0
		.amdhsa_exception_fp_ieee_overflow 0
		.amdhsa_exception_fp_ieee_underflow 0
		.amdhsa_exception_fp_ieee_inexact 0
		.amdhsa_exception_int_div_zero 0
	.end_amdhsa_kernel
	.section	.text._Z39paged_attention_ll4mi_QKV_mfma16_kernelIDF16_hLN4vllm18Fp8KVCacheDataTypeE1EDF16_Li16ELi128ELi256ELb1ELi3EL8MFMAType0EEvPKT_PKT0_S8_ifPKiSA_SA_iPKfiiiPfSD_PS3_PT2_iSC_SC_,"axG",@progbits,_Z39paged_attention_ll4mi_QKV_mfma16_kernelIDF16_hLN4vllm18Fp8KVCacheDataTypeE1EDF16_Li16ELi128ELi256ELb1ELi3EL8MFMAType0EEvPKT_PKT0_S8_ifPKiSA_SA_iPKfiiiPfSD_PS3_PT2_iSC_SC_,comdat
.Lfunc_end624:
	.size	_Z39paged_attention_ll4mi_QKV_mfma16_kernelIDF16_hLN4vllm18Fp8KVCacheDataTypeE1EDF16_Li16ELi128ELi256ELb1ELi3EL8MFMAType0EEvPKT_PKT0_S8_ifPKiSA_SA_iPKfiiiPfSD_PS3_PT2_iSC_SC_, .Lfunc_end624-_Z39paged_attention_ll4mi_QKV_mfma16_kernelIDF16_hLN4vllm18Fp8KVCacheDataTypeE1EDF16_Li16ELi128ELi256ELb1ELi3EL8MFMAType0EEvPKT_PKT0_S8_ifPKiSA_SA_iPKfiiiPfSD_PS3_PT2_iSC_SC_
                                        ; -- End function
	.section	.AMDGPU.csdata,"",@progbits
; Kernel info:
; codeLenInByte = 21368
; NumSgprs: 57
; NumVgprs: 82
; NumAgprs: 0
; TotalNumVgprs: 82
; ScratchSize: 352
; MemoryBound: 0
; FloatMode: 240
; IeeeMode: 1
; LDSByteSize: 8192 bytes/workgroup (compile time only)
; SGPRBlocks: 7
; VGPRBlocks: 10
; NumSGPRsForWavesPerEU: 57
; NumVGPRsForWavesPerEU: 82
; AccumOffset: 84
; Occupancy: 5
; WaveLimiterHint : 1
; COMPUTE_PGM_RSRC2:SCRATCH_EN: 1
; COMPUTE_PGM_RSRC2:USER_SGPR: 8
; COMPUTE_PGM_RSRC2:TRAP_HANDLER: 0
; COMPUTE_PGM_RSRC2:TGID_X_EN: 1
; COMPUTE_PGM_RSRC2:TGID_Y_EN: 1
; COMPUTE_PGM_RSRC2:TGID_Z_EN: 1
; COMPUTE_PGM_RSRC2:TIDIG_COMP_CNT: 0
; COMPUTE_PGM_RSRC3_GFX90A:ACCUM_OFFSET: 20
; COMPUTE_PGM_RSRC3_GFX90A:TG_SPLIT: 0
	.section	.text._Z39paged_attention_ll4mi_QKV_mfma16_kernelIDF16_hLN4vllm18Fp8KVCacheDataTypeE1EDF16_Li16ELi128ELi256ELb1ELi4EL8MFMAType0EEvPKT_PKT0_S8_ifPKiSA_SA_iPKfiiiPfSD_PS3_PT2_iSC_SC_,"axG",@progbits,_Z39paged_attention_ll4mi_QKV_mfma16_kernelIDF16_hLN4vllm18Fp8KVCacheDataTypeE1EDF16_Li16ELi128ELi256ELb1ELi4EL8MFMAType0EEvPKT_PKT0_S8_ifPKiSA_SA_iPKfiiiPfSD_PS3_PT2_iSC_SC_,comdat
	.protected	_Z39paged_attention_ll4mi_QKV_mfma16_kernelIDF16_hLN4vllm18Fp8KVCacheDataTypeE1EDF16_Li16ELi128ELi256ELb1ELi4EL8MFMAType0EEvPKT_PKT0_S8_ifPKiSA_SA_iPKfiiiPfSD_PS3_PT2_iSC_SC_ ; -- Begin function _Z39paged_attention_ll4mi_QKV_mfma16_kernelIDF16_hLN4vllm18Fp8KVCacheDataTypeE1EDF16_Li16ELi128ELi256ELb1ELi4EL8MFMAType0EEvPKT_PKT0_S8_ifPKiSA_SA_iPKfiiiPfSD_PS3_PT2_iSC_SC_
	.globl	_Z39paged_attention_ll4mi_QKV_mfma16_kernelIDF16_hLN4vllm18Fp8KVCacheDataTypeE1EDF16_Li16ELi128ELi256ELb1ELi4EL8MFMAType0EEvPKT_PKT0_S8_ifPKiSA_SA_iPKfiiiPfSD_PS3_PT2_iSC_SC_
	.p2align	8
	.type	_Z39paged_attention_ll4mi_QKV_mfma16_kernelIDF16_hLN4vllm18Fp8KVCacheDataTypeE1EDF16_Li16ELi128ELi256ELb1ELi4EL8MFMAType0EEvPKT_PKT0_S8_ifPKiSA_SA_iPKfiiiPfSD_PS3_PT2_iSC_SC_,@function
_Z39paged_attention_ll4mi_QKV_mfma16_kernelIDF16_hLN4vllm18Fp8KVCacheDataTypeE1EDF16_Li16ELi128ELi256ELb1ELi4EL8MFMAType0EEvPKT_PKT0_S8_ifPKiSA_SA_iPKfiiiPfSD_PS3_PT2_iSC_SC_: ; @_Z39paged_attention_ll4mi_QKV_mfma16_kernelIDF16_hLN4vllm18Fp8KVCacheDataTypeE1EDF16_Li16ELi128ELi256ELb1ELi4EL8MFMAType0EEvPKT_PKT0_S8_ifPKiSA_SA_iPKfiiiPfSD_PS3_PT2_iSC_SC_
; %bb.0:
	s_load_dwordx2 s[6:7], s[4:5], 0x30
	s_add_u32 s0, s0, s11
	s_addc_u32 s1, s1, 0
	s_mov_b32 s28, s9
	s_mov_b64 s[14:15], 0
	s_waitcnt lgkmcnt(0)
	s_cmp_lg_u64 s[6:7], 0
	s_cselect_b64 s[12:13], -1, 0
	s_and_b64 vcc, exec, s[12:13]
	s_cbranch_vccz .LBB625_7
; %bb.1:
	s_add_i32 s16, s8, 1
	s_mov_b32 s17, 0
	s_lshl_b64 s[18:19], s[16:17], 2
	s_add_u32 s18, s6, s18
	s_mov_b32 s9, s17
	s_addc_u32 s19, s7, s19
	s_lshl_b64 s[16:17], s[8:9], 2
	s_add_u32 s16, s6, s16
	s_addc_u32 s17, s7, s17
	s_load_dword s11, s[18:19], 0x0
	s_load_dword s20, s[16:17], 0x0
	s_waitcnt lgkmcnt(0)
	s_sub_i32 s11, s11, s20
	s_cmp_eq_u32 s11, 1
	s_cselect_b64 s[16:17], -1, 0
	s_andn2_b64 vcc, exec, s[14:15]
	s_cbranch_vccnz .LBB625_3
.LBB625_2:
	s_mov_b32 s9, 0
	s_mov_b64 s[16:17], -1
.LBB625_3:
	s_andn2_b64 vcc, exec, s[16:17]
	s_cbranch_vccnz .LBB625_599
; %bb.4:
	s_load_dwordx2 s[16:17], s[4:5], 0x28
	s_lshl_b64 s[14:15], s[8:9], 2
	s_waitcnt lgkmcnt(0)
	s_add_u32 s16, s16, s14
	s_addc_u32 s17, s17, s15
	s_load_dword s33, s[16:17], 0x0
	s_lshl_b32 s22, s28, 8
	s_waitcnt lgkmcnt(0)
	s_cmp_ge_i32 s22, s33
	s_cbranch_scc1 .LBB625_599
; %bb.5:
	s_add_i32 s18, s33, 15
	s_load_dwordx2 s[16:17], s[4:5], 0x20
	s_load_dword s11, s[4:5], 0x38
	s_ashr_i32 s19, s18, 31
	v_and_b32_e32 v1, 0xcf, v0
	s_lshr_b32 s19, s19, 28
	v_add_u32_e32 v1, s22, v1
	s_add_i32 s18, s18, s19
	v_ashrrev_i32_e32 v2, 31, v1
	s_ashr_i32 s25, s18, 4
	v_lshrrev_b32_e32 v4, 28, v2
	s_add_i32 s25, s25, -1
	v_add_u32_e32 v2, v1, v4
	s_waitcnt lgkmcnt(0)
	s_mul_i32 s18, s8, s11
	s_mov_b32 s19, 0
	v_ashrrev_i32_e32 v2, 4, v2
	v_mov_b32_e32 v5, s25
	v_cmp_gt_i32_e32 vcc, s33, v1
	s_lshl_b64 s[18:19], s[18:19], 2
	v_cndmask_b32_e32 v2, v5, v2, vcc
	s_add_u32 s23, s16, s18
	v_ashrrev_i32_e32 v3, 31, v2
	s_addc_u32 s24, s17, s19
	v_lshlrev_b64 v[2:3], 2, v[2:3]
	v_mov_b32_e32 v7, s24
	v_add_co_u32_e32 v6, vcc, s23, v2
	v_or_b32_e32 v2, 16, v1
	v_addc_co_u32_e32 v7, vcc, v7, v3, vcc
	v_add_u32_e32 v3, v2, v4
	v_ashrrev_i32_e32 v3, 4, v3
	v_cmp_gt_i32_e32 vcc, s33, v2
	v_cndmask_b32_e32 v2, v5, v3, vcc
	v_ashrrev_i32_e32 v3, 31, v2
	v_lshlrev_b64 v[2:3], 2, v[2:3]
	v_mov_b32_e32 v9, s24
	v_add_co_u32_e32 v8, vcc, s23, v2
	v_or_b32_e32 v2, 32, v1
	v_addc_co_u32_e32 v9, vcc, v9, v3, vcc
	v_add_u32_e32 v3, v2, v4
	v_ashrrev_i32_e32 v3, 4, v3
	v_cmp_gt_i32_e32 vcc, s33, v2
	v_cndmask_b32_e32 v2, v5, v3, vcc
	v_ashrrev_i32_e32 v3, 31, v2
	;; [unrolled: 10-line block ×3, first 2 shown]
	v_lshlrev_b64 v[2:3], 2, v[2:3]
	v_mov_b32_e32 v1, s24
	v_add_co_u32_e32 v12, vcc, s23, v2
	v_addc_co_u32_e32 v13, vcc, v1, v3, vcc
	global_load_dword v5, v[6:7], off
	global_load_dword v4, v[8:9], off
	;; [unrolled: 1-line block ×4, first 2 shown]
	s_load_dwordx2 s[18:19], s[4:5], 0x8
	s_andn2_b64 vcc, exec, s[12:13]
	s_cbranch_vccnz .LBB625_8
; %bb.6:
	s_add_u32 s6, s6, s14
	s_addc_u32 s7, s7, s15
	s_load_dword s11, s[6:7], 0x0
	s_branch .LBB625_9
.LBB625_7:
	s_mov_b64 s[16:17], 0
	s_branch .LBB625_2
.LBB625_8:
	s_mov_b32 s11, s8
.LBB625_9:
	s_load_dwordx2 s[16:17], s[4:5], 0x10
	s_load_dwordx4 s[12:15], s[4:5], 0x48
	v_and_b32_e32 v41, 15, v0
	v_bfe_u32 v27, v0, 4, 2
	s_lshl_b32 s29, s10, 2
	v_lshlrev_b32_e32 v1, 3, v41
	v_lshrrev_b32_e32 v29, 6, v0
	v_or_b32_e32 v39, s29, v27
	v_cmp_gt_u32_e64 s[6:7], 64, v0
	v_lshlrev_b32_e32 v1, 1, v1
	v_lshlrev_b32_e32 v43, 5, v27
	v_lshlrev_b32_e32 v45, 4, v0
	s_and_saveexec_b64 s[20:21], s[6:7]
	s_cbranch_execz .LBB625_11
; %bb.10:
	s_load_dwordx2 s[26:27], s[4:5], 0x0
	s_waitcnt lgkmcnt(0)
	s_ashr_i32 s15, s12, 31
	s_mul_hi_u32 s30, s11, s12
	s_mul_i32 s15, s11, s15
	s_add_i32 s31, s30, s15
	s_mul_i32 s30, s11, s12
	s_lshl_b64 s[30:31], s[30:31], 1
	v_lshlrev_b32_e32 v6, 7, v39
	s_add_u32 s11, s26, s30
	v_ashrrev_i32_e32 v7, 31, v6
	s_addc_u32 s12, s27, s31
	v_lshlrev_b64 v[6:7], 1, v[6:7]
	v_mov_b32_e32 v8, s12
	v_add_co_u32_e32 v6, vcc, s11, v6
	v_addc_co_u32_e32 v7, vcc, v8, v7, vcc
	v_add_co_u32_e32 v6, vcc, v6, v1
	v_addc_co_u32_e32 v7, vcc, 0, v7, vcc
	global_load_dwordx4 v[6:9], v[6:7], off
	v_lshlrev_b32_e32 v11, 8, v0
	v_lshlrev_b32_e32 v10, 8, v41
	v_and_b32_e32 v11, 0x600, v11
	s_movk_i32 s11, 0x800
	v_and_or_b32 v10, v10, s11, v11
	v_lshl_or_b32 v11, v29, 7, v43
	v_and_b32_e32 v12, 16, v45
	v_or3_b32 v10, v10, v11, v12
	s_waitcnt vmcnt(0)
	ds_write_b128 v10, v[6:9]
.LBB625_11:
	s_or_b64 exec, exec, s[20:21]
	s_waitcnt lgkmcnt(0)
	s_mul_i32 s12, s10, s14
	s_add_u32 s10, s18, s12
	s_addc_u32 s11, s19, 0
	v_and_b32_e32 v6, 0xf0, v45
	v_mov_b32_e32 v7, s11
	v_add_co_u32_e32 v6, vcc, s10, v6
	v_and_b32_e32 v18, 48, v0
	v_addc_co_u32_e32 v7, vcc, 0, v7, vcc
	v_lshlrev_b32_e32 v10, 4, v18
	s_waitcnt vmcnt(3)
	v_mad_i64_i32 v[8:9], s[10:11], v5, s13, v[6:7]
	v_add_co_u32_e32 v8, vcc, v8, v10
	v_addc_co_u32_e32 v9, vcc, 0, v9, vcc
	s_waitcnt vmcnt(2)
	v_mad_i64_i32 v[4:5], s[10:11], v4, s13, v[6:7]
	v_add_co_u32_e32 v4, vcc, v4, v10
	v_addc_co_u32_e32 v5, vcc, 0, v5, vcc
	s_load_dwordx2 s[52:53], s[4:5], 0x94
	s_waitcnt lgkmcnt(0)
	s_barrier
	global_load_dwordx4 v[20:23], v[8:9], off
	global_load_dwordx4 v[30:33], v[8:9], off offset:1024
	global_load_dwordx4 v[34:37], v[4:5], off
	global_load_dwordx4 v[46:49], v[4:5], off offset:1024
	s_waitcnt vmcnt(5)
	v_mad_i64_i32 v[4:5], s[10:11], v3, s13, v[6:7]
	v_add_co_u32_e32 v4, vcc, v4, v10
	v_addc_co_u32_e32 v5, vcc, 0, v5, vcc
	s_waitcnt vmcnt(4)
	v_mad_i64_i32 v[2:3], s[10:11], v2, s13, v[6:7]
	v_add_co_u32_e32 v2, vcc, v2, v10
	v_addc_co_u32_e32 v3, vcc, 0, v3, vcc
	global_load_dwordx4 v[50:53], v[4:5], off
	global_load_dwordx4 v[54:57], v[4:5], off offset:1024
	global_load_dwordx4 v[58:61], v[2:3], off
	global_load_dwordx4 v[62:65], v[2:3], off offset:1024
	v_and_b32_e32 v2, 3, v0
	v_lshlrev_b32_e32 v2, 5, v2
	v_lshl_or_b32 v14, v27, 9, v2
	s_load_dwordx2 s[54:55], s[4:5], 0x68
	s_load_dwordx4 s[44:47], s[4:5], 0x58
	ds_read_b128 v[2:5], v14
	ds_read_b128 v[6:9], v14 offset:16
	ds_read_b128 v[10:13], v14 offset:2048
	;; [unrolled: 1-line block ×3, first 2 shown]
	s_mov_b32 s14, 0
	v_cmp_gt_u32_e32 vcc, 4, v41
	s_waitcnt vmcnt(7)
	buffer_store_dword v23, off, s[0:3], 0 offset:12
	buffer_store_dword v22, off, s[0:3], 0 offset:8
	;; [unrolled: 1-line block ×3, first 2 shown]
	buffer_store_dword v20, off, s[0:3], 0
	s_waitcnt vmcnt(10)
	buffer_store_dword v33, off, s[0:3], 0 offset:28
	buffer_store_dword v32, off, s[0:3], 0 offset:24
	buffer_store_dword v31, off, s[0:3], 0 offset:20
	buffer_store_dword v30, off, s[0:3], 0 offset:16
	s_waitcnt vmcnt(13)
	buffer_store_dword v37, off, s[0:3], 0 offset:44
	buffer_store_dword v36, off, s[0:3], 0 offset:40
	buffer_store_dword v35, off, s[0:3], 0 offset:36
	buffer_store_dword v34, off, s[0:3], 0 offset:32
	;; [unrolled: 5-line block ×7, first 2 shown]
	v_mov_b32_e32 v36, 0
	v_mov_b32_e32 v33, 0
	s_and_saveexec_b64 s[10:11], vcc
	s_cbranch_execz .LBB625_13
; %bb.12:
	s_load_dwordx2 s[18:19], s[4:5], 0x40
	v_or_b32_e32 v20, s29, v41
	v_ashrrev_i32_e32 v21, 31, v20
	v_lshlrev_b64 v[20:21], 2, v[20:21]
	s_waitcnt lgkmcnt(0)
	v_mov_b32_e32 v19, s19
	v_add_co_u32_e32 v20, vcc, s18, v20
	v_addc_co_u32_e32 v21, vcc, v19, v21, vcc
	global_load_dword v33, v[20:21], off
.LBB625_13:
	s_or_b64 exec, exec, s[10:11]
	v_or_b32_e32 v22, s22, v18
	v_ashrrev_i32_e32 v18, 4, v22
	v_mov_b32_e32 v23, s25
	v_cmp_gt_i32_e32 vcc, s33, v22
	v_cndmask_b32_e32 v18, v23, v18, vcc
	v_ashrrev_i32_e32 v19, 31, v18
	v_lshlrev_b64 v[18:19], 2, v[18:19]
	v_mov_b32_e32 v20, s24
	v_add_co_u32_e32 v18, vcc, s23, v18
	v_addc_co_u32_e32 v19, vcc, v20, v19, vcc
	global_load_dword v26, v[18:19], off
	v_or_b32_e32 v18, 64, v22
	v_ashrrev_i32_e32 v19, 4, v18
	v_cmp_gt_i32_e32 vcc, s33, v18
	v_cndmask_b32_e32 v18, v23, v19, vcc
	v_ashrrev_i32_e32 v19, 31, v18
	v_lshlrev_b64 v[18:19], 2, v[18:19]
	v_add_co_u32_e32 v18, vcc, s23, v18
	v_addc_co_u32_e32 v19, vcc, v20, v19, vcc
	v_or_b32_e32 v20, 0x80, v22
	v_ashrrev_i32_e32 v21, 4, v20
	v_cmp_gt_i32_e32 vcc, s33, v20
	v_cndmask_b32_e32 v20, v23, v21, vcc
	v_ashrrev_i32_e32 v21, 31, v20
	v_lshlrev_b64 v[20:21], 2, v[20:21]
	v_mov_b32_e32 v24, s24
	v_add_co_u32_e32 v20, vcc, s23, v20
	v_addc_co_u32_e32 v21, vcc, v24, v21, vcc
	global_load_dword v28, v[18:19], off
	global_load_dword v30, v[20:21], off
	v_or_b32_e32 v18, 0xc0, v22
	v_ashrrev_i32_e32 v19, 4, v18
	v_cmp_gt_i32_e32 vcc, s33, v18
	v_cndmask_b32_e32 v18, v23, v19, vcc
	v_ashrrev_i32_e32 v19, 31, v18
	v_lshlrev_b64 v[18:19], 2, v[18:19]
	v_mov_b32_e32 v20, s24
	v_add_co_u32_e32 v18, vcc, s23, v18
	v_addc_co_u32_e32 v19, vcc, v20, v19, vcc
	global_load_dword v32, v[18:19], off
	s_add_u32 s12, s16, s12
	v_lshl_or_b32 v31, v29, 4, v41
	s_addc_u32 s10, s17, 0
	v_lshlrev_b32_e32 v18, 4, v31
	v_mov_b32_e32 v19, s10
	v_add_co_u32_e32 v22, vcc, s12, v18
	v_addc_co_u32_e32 v23, vcc, 0, v19, vcc
	v_or_b32_e32 v24, 0x400, v18
	v_mov_b32_e32 v25, s10
	v_add_co_u32_e32 v24, vcc, s12, v24
	v_addc_co_u32_e32 v25, vcc, 0, v25, vcc
	s_movk_i32 s15, 0x80
	v_mov_b32_e32 v37, 0
	s_movk_i32 s16, 0x7f
	s_mov_b32 s17, 0xffffff
	v_mov_b32_e32 v38, 0x100
	v_bfrev_b32_e32 v40, 60
	s_waitcnt vmcnt(3)
	v_mad_i64_i32 v[18:19], s[10:11], v26, s13, v[22:23]
	global_load_dwordx4 v[18:21], v[18:19], off
	v_mad_i64_i32 v[34:35], s[10:11], v26, s13, v[24:25]
	global_load_dwordx4 v[54:57], v[34:35], off
	s_waitcnt vmcnt(4)
	v_mad_i64_i32 v[34:35], s[10:11], v28, s13, v[22:23]
	global_load_dwordx4 v[58:61], v[34:35], off
	s_waitcnt vmcnt(4)
	;; [unrolled: 3-line block ×3, first 2 shown]
	v_mad_i64_i32 v[22:23], s[10:11], v32, s13, v[22:23]
	global_load_dwordx4 v[66:69], v[22:23], off
	v_mad_i64_i32 v[22:23], s[10:11], v28, s13, v[24:25]
	global_load_dwordx4 v[70:73], v[22:23], off
	v_mad_i64_i32 v[22:23], s[10:11], v30, s13, v[24:25]
	global_load_dwordx4 v[74:77], v[22:23], off
	v_mad_i64_i32 v[22:23], s[10:11], v32, s13, v[24:25]
	global_load_dwordx4 v[78:81], v[22:23], off
	s_load_dword s10, s[4:5], 0x1c
	s_load_dwordx4 s[48:51], s[4:5], 0x80
	v_mov_b32_e32 v22, 0x80
	v_add_u32_e32 v47, 16, v22
	v_add_u32_e32 v46, 32, v22
	v_add_u32_e32 v48, 48, v22
	s_waitcnt lgkmcnt(0)
	s_load_dword s4, s[48:49], 0x0
	v_add_u32_e32 v52, 64, v22
	v_add_u32_e32 v49, 0x50, v22
	v_add_u32_e32 v51, 0x60, v22
	v_add_u32_e32 v50, 0x70, v22
	v_mov_b32_e32 v22, s10
	s_waitcnt lgkmcnt(0)
	v_mul_f32_e32 v22, s4, v22
	v_and_b32_e32 v35, 63, v0
	v_mov_b32_e32 v24, v22
	v_mov_b32_e32 v25, v22
	s_waitcnt vmcnt(7)
	buffer_store_dword v21, off, s[0:3], 0 offset:140
	buffer_store_dword v20, off, s[0:3], 0 offset:136
	buffer_store_dword v19, off, s[0:3], 0 offset:132
	buffer_store_dword v18, off, s[0:3], 0 offset:128
	s_waitcnt vmcnt(10)
	buffer_store_dword v57, off, s[0:3], 0 offset:156
	buffer_store_dword v56, off, s[0:3], 0 offset:152
	buffer_store_dword v55, off, s[0:3], 0 offset:148
	buffer_store_dword v54, off, s[0:3], 0 offset:144
	;; [unrolled: 5-line block ×8, first 2 shown]
	s_branch .LBB625_17
.LBB625_14:                             ;   in Loop: Header=BB625_17 Depth=1
	s_or_b64 exec, exec, s[12:13]
.LBB625_15:                             ;   in Loop: Header=BB625_17 Depth=1
	s_or_b64 exec, exec, s[10:11]
.LBB625_16:                             ;   in Loop: Header=BB625_17 Depth=1
	s_or_b64 exec, exec, s[4:5]
	v_cvt_pkrtz_f16_f32 v56, v34, v32
	v_cvt_pkrtz_f16_f32 v57, v23, v44
	v_add_u32_e32 v26, s14, v38
	s_add_i32 s14, s14, 16
	v_mov_b32_e32 v23, v22
	v_mfma_f32_16x16x16f16 v[18:21], v[56:57], v[14:15], v[18:21]
	v_cvt_pkrtz_f16_f32 v56, v42, v53
	v_cvt_pkrtz_f16_f32 v57, v30, v54
	s_cmp_eq_u32 s14, 64
	v_add_u32_e32 v37, 32, v37
	v_mfma_f32_16x16x16f16 v[18:21], v[56:57], v[16:17], v[18:21]
	s_nop 7
	s_nop 2
	v_pk_mul_f32 v[18:19], v[24:25], v[18:19]
	v_pk_mul_f32 v[20:21], v[22:23], v[20:21]
	buffer_store_dword v19, v26, s[0:3], 0 offen offset:4
	buffer_store_dword v18, v26, s[0:3], 0 offen
	buffer_store_dword v21, v26, s[0:3], 0 offen offset:12
	buffer_store_dword v20, v26, s[0:3], 0 offen offset:8
	s_cbranch_scc1 .LBB625_207
.LBB625_17:                             ; =>This Inner Loop Header: Depth=1
	buffer_load_dword v20, v37, s[0:3], 0 offen
	buffer_load_dword v18, v37, s[0:3], 0 offen offset:4
	buffer_load_dword v28, v37, s[0:3], 0 offen offset:8
	;; [unrolled: 1-line block ×3, first 2 shown]
	v_mov_b32_e32 v19, 0
	v_mov_b32_e32 v21, 0
	s_waitcnt vmcnt(3)
	v_cmp_ne_u16_sdwa s[10:11], v20, v36 src0_sel:BYTE_0 src1_sel:DWORD
	s_and_saveexec_b64 s[4:5], s[10:11]
	s_cbranch_execz .LBB625_23
; %bb.18:                               ;   in Loop: Header=BB625_17 Depth=1
	v_cmp_ne_u16_sdwa s[12:13], v20, s15 src0_sel:BYTE_0 src1_sel:DWORD
	v_bfrev_b32_e32 v21, 1
	s_and_saveexec_b64 s[10:11], s[12:13]
	s_cbranch_execz .LBB625_22
; %bb.19:                               ;   in Loop: Header=BB625_17 Depth=1
	v_and_b32_e32 v23, 0x7f, v20
	v_cmp_ne_u32_e32 vcc, s16, v23
	v_mov_b32_e32 v21, 0x7f800001
	s_and_saveexec_b64 s[12:13], vcc
	s_cbranch_execz .LBB625_21
; %bb.20:                               ;   in Loop: Header=BB625_17 Depth=1
	v_and_b32_e32 v21, 7, v20
	v_ffbh_u32_e32 v32, v21
	v_min_u32_e32 v32, 32, v32
	v_subrev_u32_e32 v34, 28, v32
	v_lshlrev_b64 v[54:55], v34, v[20:21]
	v_lshrrev_b32_e32 v30, 3, v23
	v_sub_u32_e32 v32, 29, v32
	v_and_b32_e32 v34, 7, v54
	v_cmp_gt_u32_e32 vcc, 8, v23
	v_cndmask_b32_e32 v23, v30, v32, vcc
	v_cndmask_b32_e32 v21, v21, v34, vcc
	v_lshlrev_b32_e32 v30, 24, v20
	v_lshlrev_b32_e32 v21, 20, v21
	v_and_b32_e32 v30, 0x80000000, v30
	v_lshl_add_u32 v23, v23, 23, v40
	v_or3_b32 v21, v30, v23, v21
.LBB625_21:                             ;   in Loop: Header=BB625_17 Depth=1
	s_or_b64 exec, exec, s[12:13]
.LBB625_22:                             ;   in Loop: Header=BB625_17 Depth=1
	s_or_b64 exec, exec, s[10:11]
.LBB625_23:                             ;   in Loop: Header=BB625_17 Depth=1
	s_or_b64 exec, exec, s[4:5]
	v_lshrrev_b16_e32 v30, 8, v20
	v_cmp_ne_u16_e32 vcc, 0, v30
	s_and_saveexec_b64 s[4:5], vcc
	s_cbranch_execz .LBB625_29
; %bb.24:                               ;   in Loop: Header=BB625_17 Depth=1
	v_cmp_ne_u16_e32 vcc, s15, v30
	v_bfrev_b32_e32 v19, 1
	s_and_saveexec_b64 s[10:11], vcc
	s_cbranch_execz .LBB625_28
; %bb.25:                               ;   in Loop: Header=BB625_17 Depth=1
	v_and_b32_e32 v23, 0x7f, v30
	v_cmp_ne_u32_e32 vcc, s16, v23
	v_mov_b32_e32 v19, 0x7f800001
	s_and_saveexec_b64 s[12:13], vcc
	s_cbranch_execz .LBB625_27
; %bb.26:                               ;   in Loop: Header=BB625_17 Depth=1
	v_and_b32_e32 v19, 7, v30
	v_ffbh_u32_e32 v34, v19
	v_min_u32_e32 v34, 32, v34
	v_subrev_u32_e32 v42, 28, v34
	v_lshlrev_b64 v[54:55], v42, v[30:31]
	v_lshrrev_b32_e32 v32, 3, v23
	v_sub_u32_e32 v30, 29, v34
	v_and_b32_e32 v34, 7, v54
	v_cmp_gt_u32_e32 vcc, 8, v23
	v_cndmask_b32_e32 v23, v32, v30, vcc
	v_cndmask_b32_e32 v19, v19, v34, vcc
	v_lshlrev_b32_e32 v30, 16, v20
	v_lshlrev_b32_e32 v19, 20, v19
	v_and_b32_e32 v30, 0x80000000, v30
	v_lshl_add_u32 v23, v23, 23, v40
	v_or3_b32 v19, v30, v23, v19
.LBB625_27:                             ;   in Loop: Header=BB625_17 Depth=1
	s_or_b64 exec, exec, s[12:13]
.LBB625_28:                             ;   in Loop: Header=BB625_17 Depth=1
	s_or_b64 exec, exec, s[10:11]
.LBB625_29:                             ;   in Loop: Header=BB625_17 Depth=1
	s_or_b64 exec, exec, s[4:5]
	v_lshrrev_b32_e32 v30, 16, v20
	v_cmp_ne_u16_sdwa s[10:11], v30, v36 src0_sel:BYTE_0 src1_sel:DWORD
	v_mov_b32_e32 v32, 0
	v_mov_b32_e32 v23, 0
	s_and_saveexec_b64 s[4:5], s[10:11]
	s_cbranch_execz .LBB625_35
; %bb.30:                               ;   in Loop: Header=BB625_17 Depth=1
	v_cmp_ne_u16_sdwa s[12:13], v30, s15 src0_sel:BYTE_0 src1_sel:DWORD
	v_bfrev_b32_e32 v23, 1
	s_and_saveexec_b64 s[10:11], s[12:13]
	s_cbranch_execz .LBB625_34
; %bb.31:                               ;   in Loop: Header=BB625_17 Depth=1
	v_bfe_u32 v34, v20, 16, 7
	v_cmp_ne_u32_e32 vcc, s16, v34
	v_mov_b32_e32 v23, 0x7f800001
	s_and_saveexec_b64 s[12:13], vcc
	s_cbranch_execz .LBB625_33
; %bb.32:                               ;   in Loop: Header=BB625_17 Depth=1
	v_and_b32_e32 v23, 7, v30
	v_ffbh_u32_e32 v44, v23
	v_min_u32_e32 v44, 32, v44
	v_subrev_u32_e32 v53, 28, v44
	v_lshlrev_b64 v[54:55], v53, v[30:31]
	v_lshrrev_b32_e32 v42, 3, v34
	v_sub_u32_e32 v44, 29, v44
	v_and_b32_e32 v53, 7, v54
	v_cmp_gt_u32_e32 vcc, 8, v34
	v_cndmask_b32_e32 v34, v42, v44, vcc
	v_cndmask_b32_e32 v23, v23, v53, vcc
	v_lshlrev_b32_e32 v30, 24, v30
	v_lshlrev_b32_e32 v23, 20, v23
	v_and_b32_e32 v30, 0x80000000, v30
	v_lshl_add_u32 v34, v34, 23, v40
	v_or3_b32 v23, v30, v34, v23
.LBB625_33:                             ;   in Loop: Header=BB625_17 Depth=1
	s_or_b64 exec, exec, s[12:13]
.LBB625_34:                             ;   in Loop: Header=BB625_17 Depth=1
	s_or_b64 exec, exec, s[10:11]
.LBB625_35:                             ;   in Loop: Header=BB625_17 Depth=1
	s_or_b64 exec, exec, s[4:5]
	v_cmp_lt_u32_e32 vcc, s17, v20
	s_and_saveexec_b64 s[4:5], vcc
	s_cbranch_execz .LBB625_41
; %bb.36:                               ;   in Loop: Header=BB625_17 Depth=1
	v_lshrrev_b32_e32 v30, 24, v20
	v_cmp_ne_u32_e32 vcc, s15, v30
	v_bfrev_b32_e32 v32, 1
	s_and_saveexec_b64 s[10:11], vcc
	s_cbranch_execz .LBB625_40
; %bb.37:                               ;   in Loop: Header=BB625_17 Depth=1
	v_bfe_u32 v20, v20, 24, 7
	v_cmp_ne_u32_e32 vcc, s16, v20
	v_mov_b32_e32 v32, 0x7f800001
	s_and_saveexec_b64 s[12:13], vcc
	s_cbranch_execz .LBB625_39
; %bb.38:                               ;   in Loop: Header=BB625_17 Depth=1
	v_and_b32_e32 v32, 7, v30
	v_ffbh_u32_e32 v42, v32
	v_min_u32_e32 v42, 32, v42
	v_subrev_u32_e32 v44, 28, v42
	v_lshlrev_b64 v[54:55], v44, v[30:31]
	v_lshrrev_b32_e32 v34, 3, v20
	v_sub_u32_e32 v42, 29, v42
	v_and_b32_e32 v44, 7, v54
	v_cmp_gt_u32_e32 vcc, 8, v20
	v_cndmask_b32_e32 v20, v34, v42, vcc
	v_cndmask_b32_e32 v32, v32, v44, vcc
	v_lshlrev_b32_e32 v30, 24, v30
	v_lshlrev_b32_e32 v32, 20, v32
	v_and_b32_e32 v30, 0x80000000, v30
	v_lshl_add_u32 v20, v20, 23, v40
	v_or3_b32 v32, v30, v20, v32
.LBB625_39:                             ;   in Loop: Header=BB625_17 Depth=1
	s_or_b64 exec, exec, s[12:13]
.LBB625_40:                             ;   in Loop: Header=BB625_17 Depth=1
	s_or_b64 exec, exec, s[10:11]
.LBB625_41:                             ;   in Loop: Header=BB625_17 Depth=1
	s_or_b64 exec, exec, s[4:5]
	s_waitcnt vmcnt(2)
	v_cmp_ne_u16_sdwa s[10:11], v18, v36 src0_sel:BYTE_0 src1_sel:DWORD
	v_mov_b32_e32 v30, 0
	v_mov_b32_e32 v34, 0
	s_and_saveexec_b64 s[4:5], s[10:11]
	s_cbranch_execz .LBB625_47
; %bb.42:                               ;   in Loop: Header=BB625_17 Depth=1
	v_cmp_ne_u16_sdwa s[12:13], v18, s15 src0_sel:BYTE_0 src1_sel:DWORD
	v_bfrev_b32_e32 v34, 1
	s_and_saveexec_b64 s[10:11], s[12:13]
	s_cbranch_execz .LBB625_46
; %bb.43:                               ;   in Loop: Header=BB625_17 Depth=1
	v_and_b32_e32 v20, 0x7f, v18
	v_cmp_ne_u32_e32 vcc, s16, v20
	v_mov_b32_e32 v34, 0x7f800001
	s_and_saveexec_b64 s[12:13], vcc
	s_cbranch_execz .LBB625_45
; %bb.44:                               ;   in Loop: Header=BB625_17 Depth=1
	v_and_b32_e32 v34, 7, v18
	v_ffbh_u32_e32 v44, v34
	v_min_u32_e32 v44, 32, v44
	v_subrev_u32_e32 v53, 28, v44
	v_lshlrev_b64 v[54:55], v53, v[18:19]
	v_lshrrev_b32_e32 v42, 3, v20
	v_sub_u32_e32 v44, 29, v44
	v_and_b32_e32 v53, 7, v54
	v_cmp_gt_u32_e32 vcc, 8, v20
	v_cndmask_b32_e32 v20, v42, v44, vcc
	v_cndmask_b32_e32 v34, v34, v53, vcc
	v_lshlrev_b32_e32 v42, 24, v18
	v_lshlrev_b32_e32 v34, 20, v34
	v_and_b32_e32 v42, 0x80000000, v42
	v_lshl_add_u32 v20, v20, 23, v40
	v_or3_b32 v34, v42, v20, v34
.LBB625_45:                             ;   in Loop: Header=BB625_17 Depth=1
	s_or_b64 exec, exec, s[12:13]
.LBB625_46:                             ;   in Loop: Header=BB625_17 Depth=1
	s_or_b64 exec, exec, s[10:11]
.LBB625_47:                             ;   in Loop: Header=BB625_17 Depth=1
	s_or_b64 exec, exec, s[4:5]
	v_lshrrev_b16_e32 v20, 8, v18
	v_cmp_ne_u16_e32 vcc, 0, v20
	s_and_saveexec_b64 s[4:5], vcc
	s_cbranch_execz .LBB625_53
; %bb.48:                               ;   in Loop: Header=BB625_17 Depth=1
	v_cmp_ne_u16_e32 vcc, s15, v20
	v_bfrev_b32_e32 v30, 1
	s_and_saveexec_b64 s[10:11], vcc
	s_cbranch_execz .LBB625_52
; %bb.49:                               ;   in Loop: Header=BB625_17 Depth=1
	v_and_b32_e32 v42, 0x7f, v20
	v_cmp_ne_u32_e32 vcc, s16, v42
	v_mov_b32_e32 v30, 0x7f800001
	s_and_saveexec_b64 s[12:13], vcc
	s_cbranch_execz .LBB625_51
; %bb.50:                               ;   in Loop: Header=BB625_17 Depth=1
	v_and_b32_e32 v30, 7, v20
	v_ffbh_u32_e32 v53, v30
	v_min_u32_e32 v53, 32, v53
	v_subrev_u32_e32 v54, 28, v53
	v_lshlrev_b64 v[54:55], v54, v[20:21]
	v_lshrrev_b32_e32 v44, 3, v42
	v_sub_u32_e32 v20, 29, v53
	v_and_b32_e32 v53, 7, v54
	v_cmp_gt_u32_e32 vcc, 8, v42
	v_cndmask_b32_e32 v20, v44, v20, vcc
	v_cndmask_b32_e32 v30, v30, v53, vcc
	v_lshlrev_b32_e32 v42, 16, v18
	v_lshlrev_b32_e32 v30, 20, v30
	v_and_b32_e32 v42, 0x80000000, v42
	v_lshl_add_u32 v20, v20, 23, v40
	v_or3_b32 v30, v42, v20, v30
.LBB625_51:                             ;   in Loop: Header=BB625_17 Depth=1
	s_or_b64 exec, exec, s[12:13]
.LBB625_52:                             ;   in Loop: Header=BB625_17 Depth=1
	s_or_b64 exec, exec, s[10:11]
.LBB625_53:                             ;   in Loop: Header=BB625_17 Depth=1
	s_or_b64 exec, exec, s[4:5]
	v_lshrrev_b32_e32 v20, 16, v18
	v_cmp_ne_u16_sdwa s[10:11], v20, v36 src0_sel:BYTE_0 src1_sel:DWORD
	v_mov_b32_e32 v44, 0
	v_mov_b32_e32 v42, 0
	s_and_saveexec_b64 s[4:5], s[10:11]
	s_cbranch_execz .LBB625_59
; %bb.54:                               ;   in Loop: Header=BB625_17 Depth=1
	v_cmp_ne_u16_sdwa s[12:13], v20, s15 src0_sel:BYTE_0 src1_sel:DWORD
	v_bfrev_b32_e32 v42, 1
	s_and_saveexec_b64 s[10:11], s[12:13]
	s_cbranch_execz .LBB625_58
; %bb.55:                               ;   in Loop: Header=BB625_17 Depth=1
	v_bfe_u32 v53, v18, 16, 7
	v_cmp_ne_u32_e32 vcc, s16, v53
	v_mov_b32_e32 v42, 0x7f800001
	s_and_saveexec_b64 s[12:13], vcc
	s_cbranch_execz .LBB625_57
; %bb.56:                               ;   in Loop: Header=BB625_17 Depth=1
	v_and_b32_e32 v42, 7, v20
	v_ffbh_u32_e32 v54, v42
	v_min_u32_e32 v57, 32, v54
	v_subrev_u32_e32 v54, 28, v57
	v_lshlrev_b64 v[54:55], v54, v[20:21]
	v_lshrrev_b32_e32 v56, 3, v53
	v_sub_u32_e32 v55, 29, v57
	v_and_b32_e32 v54, 7, v54
	v_cmp_gt_u32_e32 vcc, 8, v53
	v_cndmask_b32_e32 v53, v56, v55, vcc
	v_cndmask_b32_e32 v42, v42, v54, vcc
	v_lshlrev_b32_e32 v20, 24, v20
	v_lshlrev_b32_e32 v42, 20, v42
	v_and_b32_e32 v20, 0x80000000, v20
	v_lshl_add_u32 v53, v53, 23, v40
	v_or3_b32 v42, v20, v53, v42
.LBB625_57:                             ;   in Loop: Header=BB625_17 Depth=1
	s_or_b64 exec, exec, s[12:13]
.LBB625_58:                             ;   in Loop: Header=BB625_17 Depth=1
	s_or_b64 exec, exec, s[10:11]
.LBB625_59:                             ;   in Loop: Header=BB625_17 Depth=1
	s_or_b64 exec, exec, s[4:5]
	v_cmp_lt_u32_e32 vcc, s17, v18
	s_and_saveexec_b64 s[4:5], vcc
	s_cbranch_execz .LBB625_65
; %bb.60:                               ;   in Loop: Header=BB625_17 Depth=1
	v_lshrrev_b32_e32 v20, 24, v18
	v_cmp_ne_u32_e32 vcc, s15, v20
	v_bfrev_b32_e32 v44, 1
	s_and_saveexec_b64 s[10:11], vcc
	s_cbranch_execz .LBB625_64
; %bb.61:                               ;   in Loop: Header=BB625_17 Depth=1
	v_bfe_u32 v18, v18, 24, 7
	v_cmp_ne_u32_e32 vcc, s16, v18
	v_mov_b32_e32 v44, 0x7f800001
	s_and_saveexec_b64 s[12:13], vcc
	s_cbranch_execz .LBB625_63
; %bb.62:                               ;   in Loop: Header=BB625_17 Depth=1
	v_and_b32_e32 v44, 7, v20
	v_ffbh_u32_e32 v54, v44
	v_min_u32_e32 v56, 32, v54
	v_subrev_u32_e32 v54, 28, v56
	v_lshlrev_b64 v[54:55], v54, v[20:21]
	v_lshrrev_b32_e32 v53, 3, v18
	v_sub_u32_e32 v55, 29, v56
	v_and_b32_e32 v54, 7, v54
	v_cmp_gt_u32_e32 vcc, 8, v18
	v_cndmask_b32_e32 v18, v53, v55, vcc
	v_cndmask_b32_e32 v44, v44, v54, vcc
	v_lshlrev_b32_e32 v20, 24, v20
	v_lshlrev_b32_e32 v44, 20, v44
	v_and_b32_e32 v20, 0x80000000, v20
	v_lshl_add_u32 v18, v18, 23, v40
	v_or3_b32 v44, v20, v18, v44
.LBB625_63:                             ;   in Loop: Header=BB625_17 Depth=1
	s_or_b64 exec, exec, s[12:13]
.LBB625_64:                             ;   in Loop: Header=BB625_17 Depth=1
	s_or_b64 exec, exec, s[10:11]
.LBB625_65:                             ;   in Loop: Header=BB625_17 Depth=1
	s_or_b64 exec, exec, s[4:5]
	v_cvt_pkrtz_f16_f32 v18, v21, v19
	v_cvt_pkrtz_f16_f32 v19, v23, v32
	;; [unrolled: 1-line block ×4, first 2 shown]
	v_mov_b32_e32 v32, 0
	v_mfma_f32_16x16x16f16 v[18:21], v[18:19], v[2:3], 0
	s_waitcnt vmcnt(1)
	v_cmp_ne_u16_sdwa s[10:11], v28, v36 src0_sel:BYTE_0 src1_sel:DWORD
	v_mov_b32_e32 v34, 0
	v_mfma_f32_16x16x16f16 v[18:21], v[54:55], v[4:5], v[18:21]
	s_and_saveexec_b64 s[4:5], s[10:11]
	s_cbranch_execz .LBB625_71
; %bb.66:                               ;   in Loop: Header=BB625_17 Depth=1
	v_cmp_ne_u16_sdwa s[12:13], v28, s15 src0_sel:BYTE_0 src1_sel:DWORD
	v_bfrev_b32_e32 v34, 1
	s_and_saveexec_b64 s[10:11], s[12:13]
	s_cbranch_execz .LBB625_70
; %bb.67:                               ;   in Loop: Header=BB625_17 Depth=1
	v_and_b32_e32 v23, 0x7f, v28
	v_cmp_ne_u32_e32 vcc, s16, v23
	v_mov_b32_e32 v34, 0x7f800001
	s_and_saveexec_b64 s[12:13], vcc
	s_cbranch_execz .LBB625_69
; %bb.68:                               ;   in Loop: Header=BB625_17 Depth=1
	v_and_b32_e32 v30, 7, v28
	v_ffbh_u32_e32 v42, v30
	v_min_u32_e32 v42, 32, v42
	v_subrev_u32_e32 v44, 28, v42
	v_lshlrev_b64 v[54:55], v44, v[28:29]
	v_lshrrev_b32_e32 v34, 3, v23
	v_sub_u32_e32 v42, 29, v42
	v_and_b32_e32 v44, 7, v54
	v_cmp_gt_u32_e32 vcc, 8, v23
	v_cndmask_b32_e32 v23, v34, v42, vcc
	v_cndmask_b32_e32 v30, v30, v44, vcc
	v_lshlrev_b32_e32 v34, 24, v28
	v_lshlrev_b32_e32 v30, 20, v30
	v_and_b32_e32 v34, 0x80000000, v34
	v_lshl_add_u32 v23, v23, 23, v40
	v_or3_b32 v34, v34, v23, v30
.LBB625_69:                             ;   in Loop: Header=BB625_17 Depth=1
	s_or_b64 exec, exec, s[12:13]
.LBB625_70:                             ;   in Loop: Header=BB625_17 Depth=1
	s_or_b64 exec, exec, s[10:11]
.LBB625_71:                             ;   in Loop: Header=BB625_17 Depth=1
	s_or_b64 exec, exec, s[4:5]
	v_lshrrev_b16_e32 v30, 8, v28
	v_cmp_ne_u16_e32 vcc, 0, v30
	v_mov_b32_e32 v42, 0
	s_and_saveexec_b64 s[4:5], vcc
	s_cbranch_execz .LBB625_77
; %bb.72:                               ;   in Loop: Header=BB625_17 Depth=1
	v_cmp_ne_u16_e32 vcc, s15, v30
	v_bfrev_b32_e32 v42, 1
	s_and_saveexec_b64 s[10:11], vcc
	s_cbranch_execz .LBB625_76
; %bb.73:                               ;   in Loop: Header=BB625_17 Depth=1
	v_and_b32_e32 v23, 0x7f, v30
	v_cmp_ne_u32_e32 vcc, s16, v23
	v_mov_b32_e32 v42, 0x7f800001
	s_and_saveexec_b64 s[12:13], vcc
	s_cbranch_execz .LBB625_75
; %bb.74:                               ;   in Loop: Header=BB625_17 Depth=1
	v_and_b32_e32 v42, 7, v30
	v_ffbh_u32_e32 v53, v42
	v_min_u32_e32 v53, 32, v53
	v_subrev_u32_e32 v54, 28, v53
	v_lshlrev_b64 v[54:55], v54, v[30:31]
	v_lshrrev_b32_e32 v44, 3, v23
	v_sub_u32_e32 v30, 29, v53
	v_and_b32_e32 v53, 7, v54
	v_cmp_gt_u32_e32 vcc, 8, v23
	v_cndmask_b32_e32 v23, v44, v30, vcc
	v_cndmask_b32_e32 v30, v42, v53, vcc
	v_lshlrev_b32_e32 v42, 16, v28
	v_lshlrev_b32_e32 v30, 20, v30
	v_and_b32_e32 v42, 0x80000000, v42
	v_lshl_add_u32 v23, v23, 23, v40
	v_or3_b32 v42, v42, v23, v30
.LBB625_75:                             ;   in Loop: Header=BB625_17 Depth=1
	s_or_b64 exec, exec, s[12:13]
.LBB625_76:                             ;   in Loop: Header=BB625_17 Depth=1
	s_or_b64 exec, exec, s[10:11]
.LBB625_77:                             ;   in Loop: Header=BB625_17 Depth=1
	s_or_b64 exec, exec, s[4:5]
	v_lshrrev_b32_e32 v30, 16, v28
	v_cmp_ne_u16_sdwa s[10:11], v30, v36 src0_sel:BYTE_0 src1_sel:DWORD
	s_and_saveexec_b64 s[4:5], s[10:11]
	s_cbranch_execz .LBB625_83
; %bb.78:                               ;   in Loop: Header=BB625_17 Depth=1
	v_cmp_ne_u16_sdwa s[12:13], v30, s15 src0_sel:BYTE_0 src1_sel:DWORD
	v_bfrev_b32_e32 v32, 1
	s_and_saveexec_b64 s[10:11], s[12:13]
	s_cbranch_execz .LBB625_82
; %bb.79:                               ;   in Loop: Header=BB625_17 Depth=1
	v_bfe_u32 v23, v28, 16, 7
	v_cmp_ne_u32_e32 vcc, s16, v23
	v_mov_b32_e32 v32, 0x7f800001
	s_and_saveexec_b64 s[12:13], vcc
	s_cbranch_execz .LBB625_81
; %bb.80:                               ;   in Loop: Header=BB625_17 Depth=1
	v_and_b32_e32 v32, 7, v30
	v_ffbh_u32_e32 v53, v32
	v_min_u32_e32 v53, 32, v53
	v_subrev_u32_e32 v54, 28, v53
	v_lshlrev_b64 v[54:55], v54, v[30:31]
	v_lshrrev_b32_e32 v44, 3, v23
	v_sub_u32_e32 v53, 29, v53
	v_and_b32_e32 v54, 7, v54
	v_cmp_gt_u32_e32 vcc, 8, v23
	v_cndmask_b32_e32 v23, v44, v53, vcc
	v_cndmask_b32_e32 v32, v32, v54, vcc
	v_lshlrev_b32_e32 v30, 24, v30
	v_lshlrev_b32_e32 v32, 20, v32
	v_and_b32_e32 v30, 0x80000000, v30
	v_lshl_add_u32 v23, v23, 23, v40
	v_or3_b32 v32, v30, v23, v32
.LBB625_81:                             ;   in Loop: Header=BB625_17 Depth=1
	s_or_b64 exec, exec, s[12:13]
.LBB625_82:                             ;   in Loop: Header=BB625_17 Depth=1
	s_or_b64 exec, exec, s[10:11]
.LBB625_83:                             ;   in Loop: Header=BB625_17 Depth=1
	s_or_b64 exec, exec, s[4:5]
	v_cmp_lt_u32_e32 vcc, s17, v28
	v_mov_b32_e32 v44, 0
	v_mov_b32_e32 v53, 0
	s_and_saveexec_b64 s[4:5], vcc
	s_cbranch_execz .LBB625_89
; %bb.84:                               ;   in Loop: Header=BB625_17 Depth=1
	v_lshrrev_b32_e32 v30, 24, v28
	v_cmp_ne_u32_e32 vcc, s15, v30
	v_bfrev_b32_e32 v53, 1
	s_and_saveexec_b64 s[10:11], vcc
	s_cbranch_execz .LBB625_88
; %bb.85:                               ;   in Loop: Header=BB625_17 Depth=1
	v_bfe_u32 v23, v28, 24, 7
	v_cmp_ne_u32_e32 vcc, s16, v23
	v_mov_b32_e32 v53, 0x7f800001
	s_and_saveexec_b64 s[12:13], vcc
	s_cbranch_execz .LBB625_87
; %bb.86:                               ;   in Loop: Header=BB625_17 Depth=1
	v_and_b32_e32 v28, 7, v30
	v_ffbh_u32_e32 v54, v28
	v_min_u32_e32 v56, 32, v54
	v_subrev_u32_e32 v54, 28, v56
	v_lshlrev_b64 v[54:55], v54, v[30:31]
	v_lshrrev_b32_e32 v53, 3, v23
	v_sub_u32_e32 v55, 29, v56
	v_and_b32_e32 v54, 7, v54
	v_cmp_gt_u32_e32 vcc, 8, v23
	v_cndmask_b32_e32 v23, v53, v55, vcc
	v_cndmask_b32_e32 v28, v28, v54, vcc
	v_lshlrev_b32_e32 v30, 24, v30
	v_lshlrev_b32_e32 v28, 20, v28
	v_and_b32_e32 v30, 0x80000000, v30
	v_lshl_add_u32 v23, v23, 23, v40
	v_or3_b32 v53, v30, v23, v28
.LBB625_87:                             ;   in Loop: Header=BB625_17 Depth=1
	s_or_b64 exec, exec, s[12:13]
.LBB625_88:                             ;   in Loop: Header=BB625_17 Depth=1
	s_or_b64 exec, exec, s[10:11]
.LBB625_89:                             ;   in Loop: Header=BB625_17 Depth=1
	s_or_b64 exec, exec, s[4:5]
	s_waitcnt vmcnt(0)
	v_cmp_ne_u16_sdwa s[10:11], v26, v36 src0_sel:BYTE_0 src1_sel:DWORD
	s_and_saveexec_b64 s[4:5], s[10:11]
	s_cbranch_execz .LBB625_95
; %bb.90:                               ;   in Loop: Header=BB625_17 Depth=1
	v_cmp_ne_u16_sdwa s[12:13], v26, s15 src0_sel:BYTE_0 src1_sel:DWORD
	v_bfrev_b32_e32 v44, 1
	s_and_saveexec_b64 s[10:11], s[12:13]
	s_cbranch_execz .LBB625_94
; %bb.91:                               ;   in Loop: Header=BB625_17 Depth=1
	v_and_b32_e32 v23, 0x7f, v26
	v_cmp_ne_u32_e32 vcc, s16, v23
	v_mov_b32_e32 v44, 0x7f800001
	s_and_saveexec_b64 s[12:13], vcc
	s_cbranch_execz .LBB625_93
; %bb.92:                               ;   in Loop: Header=BB625_17 Depth=1
	v_and_b32_e32 v28, 7, v26
	v_ffbh_u32_e32 v44, v28
	v_min_u32_e32 v44, 32, v44
	v_subrev_u32_e32 v54, 28, v44
	v_lshlrev_b64 v[54:55], v54, v[26:27]
	v_lshrrev_b32_e32 v30, 3, v23
	v_sub_u32_e32 v44, 29, v44
	v_and_b32_e32 v54, 7, v54
	v_cmp_gt_u32_e32 vcc, 8, v23
	v_cndmask_b32_e32 v23, v30, v44, vcc
	v_cndmask_b32_e32 v28, v28, v54, vcc
	v_lshlrev_b32_e32 v30, 24, v26
	v_lshlrev_b32_e32 v28, 20, v28
	v_and_b32_e32 v30, 0x80000000, v30
	v_lshl_add_u32 v23, v23, 23, v40
	v_or3_b32 v44, v30, v23, v28
.LBB625_93:                             ;   in Loop: Header=BB625_17 Depth=1
	s_or_b64 exec, exec, s[12:13]
.LBB625_94:                             ;   in Loop: Header=BB625_17 Depth=1
	s_or_b64 exec, exec, s[10:11]
.LBB625_95:                             ;   in Loop: Header=BB625_17 Depth=1
	s_or_b64 exec, exec, s[4:5]
	v_lshrrev_b16_e32 v28, 8, v26
	v_cmp_ne_u16_e32 vcc, 0, v28
	v_mov_b32_e32 v54, 0
	v_mov_b32_e32 v55, 0
	s_and_saveexec_b64 s[4:5], vcc
	s_cbranch_execz .LBB625_101
; %bb.96:                               ;   in Loop: Header=BB625_17 Depth=1
	v_cmp_ne_u16_e32 vcc, s15, v28
	v_bfrev_b32_e32 v55, 1
	s_and_saveexec_b64 s[10:11], vcc
	s_cbranch_execz .LBB625_100
; %bb.97:                               ;   in Loop: Header=BB625_17 Depth=1
	v_and_b32_e32 v23, 0x7f, v28
	v_cmp_ne_u32_e32 vcc, s16, v23
	v_mov_b32_e32 v55, 0x7f800001
	s_and_saveexec_b64 s[12:13], vcc
	s_cbranch_execz .LBB625_99
; %bb.98:                               ;   in Loop: Header=BB625_17 Depth=1
	v_and_b32_e32 v30, 7, v28
	v_ffbh_u32_e32 v56, v30
	v_min_u32_e32 v58, 32, v56
	v_subrev_u32_e32 v56, 28, v58
	v_lshlrev_b64 v[56:57], v56, v[28:29]
	v_lshrrev_b32_e32 v55, 3, v23
	v_sub_u32_e32 v28, 29, v58
	v_and_b32_e32 v56, 7, v56
	v_cmp_gt_u32_e32 vcc, 8, v23
	v_cndmask_b32_e32 v23, v55, v28, vcc
	v_cndmask_b32_e32 v28, v30, v56, vcc
	v_lshlrev_b32_e32 v30, 16, v26
	v_lshlrev_b32_e32 v28, 20, v28
	v_and_b32_e32 v30, 0x80000000, v30
	v_lshl_add_u32 v23, v23, 23, v40
	v_or3_b32 v55, v30, v23, v28
.LBB625_99:                             ;   in Loop: Header=BB625_17 Depth=1
	s_or_b64 exec, exec, s[12:13]
.LBB625_100:                            ;   in Loop: Header=BB625_17 Depth=1
	s_or_b64 exec, exec, s[10:11]
.LBB625_101:                            ;   in Loop: Header=BB625_17 Depth=1
	s_or_b64 exec, exec, s[4:5]
	v_lshrrev_b32_e32 v28, 16, v26
	v_cmp_ne_u16_sdwa s[10:11], v28, v36 src0_sel:BYTE_0 src1_sel:DWORD
	s_and_saveexec_b64 s[4:5], s[10:11]
	s_cbranch_execz .LBB625_107
; %bb.102:                              ;   in Loop: Header=BB625_17 Depth=1
	v_cmp_ne_u16_sdwa s[12:13], v28, s15 src0_sel:BYTE_0 src1_sel:DWORD
	v_bfrev_b32_e32 v54, 1
	s_and_saveexec_b64 s[10:11], s[12:13]
	s_cbranch_execz .LBB625_106
; %bb.103:                              ;   in Loop: Header=BB625_17 Depth=1
	v_bfe_u32 v23, v26, 16, 7
	v_cmp_ne_u32_e32 vcc, s16, v23
	v_mov_b32_e32 v54, 0x7f800001
	s_and_saveexec_b64 s[12:13], vcc
	s_cbranch_execz .LBB625_105
; %bb.104:                              ;   in Loop: Header=BB625_17 Depth=1
	v_and_b32_e32 v30, 7, v28
	v_ffbh_u32_e32 v56, v30
	v_min_u32_e32 v58, 32, v56
	v_subrev_u32_e32 v56, 28, v58
	v_lshlrev_b64 v[56:57], v56, v[28:29]
	v_lshrrev_b32_e32 v54, 3, v23
	v_sub_u32_e32 v57, 29, v58
	v_and_b32_e32 v56, 7, v56
	v_cmp_gt_u32_e32 vcc, 8, v23
	v_cndmask_b32_e32 v23, v54, v57, vcc
	v_cndmask_b32_e32 v30, v30, v56, vcc
	v_lshlrev_b32_e32 v28, 24, v28
	v_lshlrev_b32_e32 v30, 20, v30
	v_and_b32_e32 v28, 0x80000000, v28
	v_lshl_add_u32 v23, v23, 23, v40
	v_or3_b32 v54, v28, v23, v30
.LBB625_105:                            ;   in Loop: Header=BB625_17 Depth=1
	s_or_b64 exec, exec, s[12:13]
.LBB625_106:                            ;   in Loop: Header=BB625_17 Depth=1
	s_or_b64 exec, exec, s[10:11]
.LBB625_107:                            ;   in Loop: Header=BB625_17 Depth=1
	s_or_b64 exec, exec, s[4:5]
	v_cmp_lt_u32_e32 vcc, s17, v26
	v_mov_b32_e32 v23, 0
	v_mov_b32_e32 v56, 0
	s_and_saveexec_b64 s[4:5], vcc
	s_cbranch_execz .LBB625_113
; %bb.108:                              ;   in Loop: Header=BB625_17 Depth=1
	v_lshrrev_b32_e32 v28, 24, v26
	v_cmp_ne_u32_e32 vcc, s15, v28
	v_bfrev_b32_e32 v56, 1
	s_and_saveexec_b64 s[10:11], vcc
	s_cbranch_execz .LBB625_112
; %bb.109:                              ;   in Loop: Header=BB625_17 Depth=1
	v_bfe_u32 v26, v26, 24, 7
	v_cmp_ne_u32_e32 vcc, s16, v26
	v_mov_b32_e32 v56, 0x7f800001
	s_and_saveexec_b64 s[12:13], vcc
	s_cbranch_execz .LBB625_111
; %bb.110:                              ;   in Loop: Header=BB625_17 Depth=1
	v_and_b32_e32 v30, 7, v28
	v_ffbh_u32_e32 v56, v30
	v_min_u32_e32 v59, 32, v56
	v_subrev_u32_e32 v56, 28, v59
	v_lshlrev_b64 v[56:57], v56, v[28:29]
	v_lshrrev_b32_e32 v58, 3, v26
	v_sub_u32_e32 v57, 29, v59
	v_and_b32_e32 v56, 7, v56
	v_cmp_gt_u32_e32 vcc, 8, v26
	v_cndmask_b32_e32 v26, v58, v57, vcc
	v_cndmask_b32_e32 v30, v30, v56, vcc
	v_lshlrev_b32_e32 v28, 24, v28
	v_lshlrev_b32_e32 v30, 20, v30
	v_and_b32_e32 v28, 0x80000000, v28
	v_lshl_add_u32 v26, v26, 23, v40
	v_or3_b32 v56, v28, v26, v30
.LBB625_111:                            ;   in Loop: Header=BB625_17 Depth=1
	s_or_b64 exec, exec, s[12:13]
.LBB625_112:                            ;   in Loop: Header=BB625_17 Depth=1
	s_or_b64 exec, exec, s[10:11]
.LBB625_113:                            ;   in Loop: Header=BB625_17 Depth=1
	s_or_b64 exec, exec, s[4:5]
	v_cvt_pkrtz_f16_f32 v59, v32, v53
	buffer_load_dword v32, v37, s[0:3], 0 offen offset:16
	buffer_load_dword v30, v37, s[0:3], 0 offen offset:20
	;; [unrolled: 1-line block ×4, first 2 shown]
	v_cvt_pkrtz_f16_f32 v58, v34, v42
	s_waitcnt vmcnt(3)
	v_cmp_ne_u16_sdwa s[10:11], v32, v36 src0_sel:BYTE_0 src1_sel:DWORD
	v_mfma_f32_16x16x16f16 v[18:21], v[58:59], v[6:7], v[18:21]
	v_cvt_pkrtz_f16_f32 v58, v44, v55
	v_cvt_pkrtz_f16_f32 v59, v54, v56
	s_nop 1
	v_mfma_f32_16x16x16f16 v[18:21], v[58:59], v[8:9], v[18:21]
	s_and_saveexec_b64 s[4:5], s[10:11]
	s_cbranch_execz .LBB625_119
; %bb.114:                              ;   in Loop: Header=BB625_17 Depth=1
	v_cmp_ne_u16_sdwa s[12:13], v32, s15 src0_sel:BYTE_0 src1_sel:DWORD
	v_bfrev_b32_e32 v23, 1
	s_and_saveexec_b64 s[10:11], s[12:13]
	s_cbranch_execz .LBB625_118
; %bb.115:                              ;   in Loop: Header=BB625_17 Depth=1
	v_and_b32_e32 v34, 0x7f, v32
	v_cmp_ne_u32_e32 vcc, s16, v34
	v_mov_b32_e32 v23, 0x7f800001
	s_and_saveexec_b64 s[12:13], vcc
	s_cbranch_execz .LBB625_117
; %bb.116:                              ;   in Loop: Header=BB625_17 Depth=1
	v_and_b32_e32 v23, 7, v32
	v_ffbh_u32_e32 v44, v23
	v_min_u32_e32 v44, 32, v44
	v_subrev_u32_e32 v53, 28, v44
	v_lshlrev_b64 v[54:55], v53, v[32:33]
	v_lshrrev_b32_e32 v42, 3, v34
	v_sub_u32_e32 v44, 29, v44
	v_and_b32_e32 v53, 7, v54
	v_cmp_gt_u32_e32 vcc, 8, v34
	v_cndmask_b32_e32 v34, v42, v44, vcc
	v_cndmask_b32_e32 v23, v23, v53, vcc
	v_lshlrev_b32_e32 v42, 24, v32
	v_lshlrev_b32_e32 v23, 20, v23
	v_and_b32_e32 v42, 0x80000000, v42
	v_lshl_add_u32 v34, v34, 23, v40
	v_or3_b32 v23, v42, v34, v23
.LBB625_117:                            ;   in Loop: Header=BB625_17 Depth=1
	s_or_b64 exec, exec, s[12:13]
.LBB625_118:                            ;   in Loop: Header=BB625_17 Depth=1
	s_or_b64 exec, exec, s[10:11]
.LBB625_119:                            ;   in Loop: Header=BB625_17 Depth=1
	s_or_b64 exec, exec, s[4:5]
	v_lshrrev_b16_e32 v34, 8, v32
	v_cmp_ne_u16_e32 vcc, 0, v34
	v_mov_b32_e32 v42, 0
	v_mov_b32_e32 v44, 0
	s_and_saveexec_b64 s[4:5], vcc
	s_cbranch_execz .LBB625_125
; %bb.120:                              ;   in Loop: Header=BB625_17 Depth=1
	v_cmp_ne_u16_e32 vcc, s15, v34
	v_bfrev_b32_e32 v44, 1
	s_and_saveexec_b64 s[10:11], vcc
	s_cbranch_execz .LBB625_124
; %bb.121:                              ;   in Loop: Header=BB625_17 Depth=1
	v_and_b32_e32 v53, 0x7f, v34
	v_cmp_ne_u32_e32 vcc, s16, v53
	v_mov_b32_e32 v44, 0x7f800001
	s_and_saveexec_b64 s[12:13], vcc
	s_cbranch_execz .LBB625_123
; %bb.122:                              ;   in Loop: Header=BB625_17 Depth=1
	v_and_b32_e32 v44, 7, v34
	v_ffbh_u32_e32 v54, v44
	v_min_u32_e32 v57, 32, v54
	v_subrev_u32_e32 v54, 28, v57
	v_lshlrev_b64 v[54:55], v54, v[34:35]
	v_lshrrev_b32_e32 v56, 3, v53
	v_sub_u32_e32 v34, 29, v57
	v_and_b32_e32 v54, 7, v54
	v_cmp_gt_u32_e32 vcc, 8, v53
	v_cndmask_b32_e32 v34, v56, v34, vcc
	v_cndmask_b32_e32 v44, v44, v54, vcc
	v_lshlrev_b32_e32 v53, 16, v32
	v_lshlrev_b32_e32 v44, 20, v44
	v_and_b32_e32 v53, 0x80000000, v53
	v_lshl_add_u32 v34, v34, 23, v40
	v_or3_b32 v44, v53, v34, v44
.LBB625_123:                            ;   in Loop: Header=BB625_17 Depth=1
	s_or_b64 exec, exec, s[12:13]
.LBB625_124:                            ;   in Loop: Header=BB625_17 Depth=1
	s_or_b64 exec, exec, s[10:11]
.LBB625_125:                            ;   in Loop: Header=BB625_17 Depth=1
	s_or_b64 exec, exec, s[4:5]
	v_lshrrev_b32_e32 v34, 16, v32
	v_cmp_ne_u16_sdwa s[10:11], v34, v36 src0_sel:BYTE_0 src1_sel:DWORD
	s_and_saveexec_b64 s[4:5], s[10:11]
	s_cbranch_execz .LBB625_131
; %bb.126:                              ;   in Loop: Header=BB625_17 Depth=1
	v_cmp_ne_u16_sdwa s[12:13], v34, s15 src0_sel:BYTE_0 src1_sel:DWORD
	v_bfrev_b32_e32 v42, 1
	s_and_saveexec_b64 s[10:11], s[12:13]
	s_cbranch_execz .LBB625_130
; %bb.127:                              ;   in Loop: Header=BB625_17 Depth=1
	v_bfe_u32 v53, v32, 16, 7
	v_cmp_ne_u32_e32 vcc, s16, v53
	v_mov_b32_e32 v42, 0x7f800001
	s_and_saveexec_b64 s[12:13], vcc
	s_cbranch_execz .LBB625_129
; %bb.128:                              ;   in Loop: Header=BB625_17 Depth=1
	v_and_b32_e32 v42, 7, v34
	v_ffbh_u32_e32 v54, v42
	v_min_u32_e32 v57, 32, v54
	v_subrev_u32_e32 v54, 28, v57
	v_lshlrev_b64 v[54:55], v54, v[34:35]
	v_lshrrev_b32_e32 v56, 3, v53
	v_sub_u32_e32 v55, 29, v57
	v_and_b32_e32 v54, 7, v54
	v_cmp_gt_u32_e32 vcc, 8, v53
	v_cndmask_b32_e32 v53, v56, v55, vcc
	v_cndmask_b32_e32 v42, v42, v54, vcc
	v_lshlrev_b32_e32 v34, 24, v34
	v_lshlrev_b32_e32 v42, 20, v42
	v_and_b32_e32 v34, 0x80000000, v34
	v_lshl_add_u32 v53, v53, 23, v40
	v_or3_b32 v42, v34, v53, v42
.LBB625_129:                            ;   in Loop: Header=BB625_17 Depth=1
	s_or_b64 exec, exec, s[12:13]
.LBB625_130:                            ;   in Loop: Header=BB625_17 Depth=1
	s_or_b64 exec, exec, s[10:11]
.LBB625_131:                            ;   in Loop: Header=BB625_17 Depth=1
	s_or_b64 exec, exec, s[4:5]
	v_cmp_lt_u32_e32 vcc, s17, v32
	v_mov_b32_e32 v53, 0
	v_mov_b32_e32 v54, 0
	s_and_saveexec_b64 s[4:5], vcc
	s_cbranch_execz .LBB625_137
; %bb.132:                              ;   in Loop: Header=BB625_17 Depth=1
	v_lshrrev_b32_e32 v34, 24, v32
	v_cmp_ne_u32_e32 vcc, s15, v34
	v_bfrev_b32_e32 v54, 1
	s_and_saveexec_b64 s[10:11], vcc
	s_cbranch_execz .LBB625_136
; %bb.133:                              ;   in Loop: Header=BB625_17 Depth=1
	v_bfe_u32 v32, v32, 24, 7
	v_cmp_ne_u32_e32 vcc, s16, v32
	v_mov_b32_e32 v54, 0x7f800001
	s_and_saveexec_b64 s[12:13], vcc
	s_cbranch_execz .LBB625_135
; %bb.134:                              ;   in Loop: Header=BB625_17 Depth=1
	v_and_b32_e32 v56, 7, v34
	v_ffbh_u32_e32 v54, v56
	v_min_u32_e32 v58, 32, v54
	v_subrev_u32_e32 v54, 28, v58
	v_lshlrev_b64 v[54:55], v54, v[34:35]
	v_lshrrev_b32_e32 v57, 3, v32
	v_sub_u32_e32 v55, 29, v58
	v_and_b32_e32 v54, 7, v54
	v_cmp_gt_u32_e32 vcc, 8, v32
	v_cndmask_b32_e32 v32, v57, v55, vcc
	v_cndmask_b32_e32 v54, v56, v54, vcc
	v_lshlrev_b32_e32 v34, 24, v34
	v_lshlrev_b32_e32 v54, 20, v54
	v_and_b32_e32 v34, 0x80000000, v34
	v_lshl_add_u32 v32, v32, 23, v40
	v_or3_b32 v54, v34, v32, v54
.LBB625_135:                            ;   in Loop: Header=BB625_17 Depth=1
	s_or_b64 exec, exec, s[12:13]
.LBB625_136:                            ;   in Loop: Header=BB625_17 Depth=1
	s_or_b64 exec, exec, s[10:11]
.LBB625_137:                            ;   in Loop: Header=BB625_17 Depth=1
	s_or_b64 exec, exec, s[4:5]
	s_waitcnt vmcnt(2)
	v_cmp_ne_u16_sdwa s[10:11], v30, v36 src0_sel:BYTE_0 src1_sel:DWORD
	s_and_saveexec_b64 s[4:5], s[10:11]
	s_cbranch_execz .LBB625_143
; %bb.138:                              ;   in Loop: Header=BB625_17 Depth=1
	v_cmp_ne_u16_sdwa s[12:13], v30, s15 src0_sel:BYTE_0 src1_sel:DWORD
	v_bfrev_b32_e32 v53, 1
	s_and_saveexec_b64 s[10:11], s[12:13]
	s_cbranch_execz .LBB625_142
; %bb.139:                              ;   in Loop: Header=BB625_17 Depth=1
	v_and_b32_e32 v32, 0x7f, v30
	v_cmp_ne_u32_e32 vcc, s16, v32
	v_mov_b32_e32 v53, 0x7f800001
	s_and_saveexec_b64 s[12:13], vcc
	s_cbranch_execz .LBB625_141
; %bb.140:                              ;   in Loop: Header=BB625_17 Depth=1
	v_and_b32_e32 v34, 7, v30
	v_ffbh_u32_e32 v55, v34
	v_min_u32_e32 v55, 32, v55
	v_subrev_u32_e32 v56, 28, v55
	v_lshlrev_b64 v[56:57], v56, v[30:31]
	v_lshrrev_b32_e32 v53, 3, v32
	v_sub_u32_e32 v55, 29, v55
	v_and_b32_e32 v56, 7, v56
	v_cmp_gt_u32_e32 vcc, 8, v32
	v_cndmask_b32_e32 v32, v53, v55, vcc
	v_cndmask_b32_e32 v34, v34, v56, vcc
	v_lshlrev_b32_e32 v53, 24, v30
	v_lshlrev_b32_e32 v34, 20, v34
	v_and_b32_e32 v53, 0x80000000, v53
	v_lshl_add_u32 v32, v32, 23, v40
	v_or3_b32 v53, v53, v32, v34
.LBB625_141:                            ;   in Loop: Header=BB625_17 Depth=1
	s_or_b64 exec, exec, s[12:13]
.LBB625_142:                            ;   in Loop: Header=BB625_17 Depth=1
	s_or_b64 exec, exec, s[10:11]
.LBB625_143:                            ;   in Loop: Header=BB625_17 Depth=1
	s_or_b64 exec, exec, s[4:5]
	v_lshrrev_b16_e32 v32, 8, v30
	v_cmp_ne_u16_e32 vcc, 0, v32
	v_mov_b32_e32 v55, 0
	v_mov_b32_e32 v56, 0
	s_and_saveexec_b64 s[4:5], vcc
	s_cbranch_execz .LBB625_149
; %bb.144:                              ;   in Loop: Header=BB625_17 Depth=1
	v_cmp_ne_u16_e32 vcc, s15, v32
	v_bfrev_b32_e32 v56, 1
	s_and_saveexec_b64 s[10:11], vcc
	s_cbranch_execz .LBB625_148
; %bb.145:                              ;   in Loop: Header=BB625_17 Depth=1
	v_and_b32_e32 v34, 0x7f, v32
	v_cmp_ne_u32_e32 vcc, s16, v34
	v_mov_b32_e32 v56, 0x7f800001
	s_and_saveexec_b64 s[12:13], vcc
	s_cbranch_execz .LBB625_147
; %bb.146:                              ;   in Loop: Header=BB625_17 Depth=1
	v_and_b32_e32 v58, 7, v32
	v_ffbh_u32_e32 v56, v58
	v_min_u32_e32 v60, 32, v56
	v_subrev_u32_e32 v56, 28, v60
	v_lshlrev_b64 v[56:57], v56, v[32:33]
	v_lshrrev_b32_e32 v59, 3, v34
	v_sub_u32_e32 v32, 29, v60
	v_and_b32_e32 v56, 7, v56
	v_cmp_gt_u32_e32 vcc, 8, v34
	v_cndmask_b32_e32 v32, v59, v32, vcc
	v_cndmask_b32_e32 v34, v58, v56, vcc
	v_lshlrev_b32_e32 v56, 16, v30
	v_lshlrev_b32_e32 v34, 20, v34
	v_and_b32_e32 v56, 0x80000000, v56
	v_lshl_add_u32 v32, v32, 23, v40
	v_or3_b32 v56, v56, v32, v34
.LBB625_147:                            ;   in Loop: Header=BB625_17 Depth=1
	s_or_b64 exec, exec, s[12:13]
.LBB625_148:                            ;   in Loop: Header=BB625_17 Depth=1
	s_or_b64 exec, exec, s[10:11]
.LBB625_149:                            ;   in Loop: Header=BB625_17 Depth=1
	s_or_b64 exec, exec, s[4:5]
	v_lshrrev_b32_e32 v32, 16, v30
	v_cmp_ne_u16_sdwa s[10:11], v32, v36 src0_sel:BYTE_0 src1_sel:DWORD
	s_and_saveexec_b64 s[4:5], s[10:11]
	s_cbranch_execz .LBB625_155
; %bb.150:                              ;   in Loop: Header=BB625_17 Depth=1
	v_cmp_ne_u16_sdwa s[12:13], v32, s15 src0_sel:BYTE_0 src1_sel:DWORD
	v_bfrev_b32_e32 v55, 1
	s_and_saveexec_b64 s[10:11], s[12:13]
	s_cbranch_execz .LBB625_154
; %bb.151:                              ;   in Loop: Header=BB625_17 Depth=1
	v_bfe_u32 v34, v30, 16, 7
	v_cmp_ne_u32_e32 vcc, s16, v34
	v_mov_b32_e32 v55, 0x7f800001
	s_and_saveexec_b64 s[12:13], vcc
	s_cbranch_execz .LBB625_153
; %bb.152:                              ;   in Loop: Header=BB625_17 Depth=1
	v_and_b32_e32 v55, 7, v32
	v_ffbh_u32_e32 v58, v55
	v_min_u32_e32 v60, 32, v58
	v_subrev_u32_e32 v58, 28, v60
	v_lshlrev_b64 v[58:59], v58, v[32:33]
	v_lshrrev_b32_e32 v57, 3, v34
	v_sub_u32_e32 v59, 29, v60
	v_and_b32_e32 v58, 7, v58
	v_cmp_gt_u32_e32 vcc, 8, v34
	v_cndmask_b32_e32 v34, v57, v59, vcc
	v_cndmask_b32_e32 v55, v55, v58, vcc
	v_lshlrev_b32_e32 v32, 24, v32
	v_lshlrev_b32_e32 v55, 20, v55
	v_and_b32_e32 v32, 0x80000000, v32
	v_lshl_add_u32 v34, v34, 23, v40
	v_or3_b32 v55, v32, v34, v55
.LBB625_153:                            ;   in Loop: Header=BB625_17 Depth=1
	s_or_b64 exec, exec, s[12:13]
.LBB625_154:                            ;   in Loop: Header=BB625_17 Depth=1
	s_or_b64 exec, exec, s[10:11]
.LBB625_155:                            ;   in Loop: Header=BB625_17 Depth=1
	s_or_b64 exec, exec, s[4:5]
	v_cmp_lt_u32_e32 vcc, s17, v30
	v_mov_b32_e32 v34, 0
	v_mov_b32_e32 v57, 0
	s_and_saveexec_b64 s[4:5], vcc
	s_cbranch_execz .LBB625_161
; %bb.156:                              ;   in Loop: Header=BB625_17 Depth=1
	v_lshrrev_b32_e32 v32, 24, v30
	v_cmp_ne_u32_e32 vcc, s15, v32
	v_bfrev_b32_e32 v57, 1
	s_and_saveexec_b64 s[10:11], vcc
	s_cbranch_execz .LBB625_160
; %bb.157:                              ;   in Loop: Header=BB625_17 Depth=1
	v_bfe_u32 v30, v30, 24, 7
	v_cmp_ne_u32_e32 vcc, s16, v30
	v_mov_b32_e32 v57, 0x7f800001
	s_and_saveexec_b64 s[12:13], vcc
	s_cbranch_execz .LBB625_159
; %bb.158:                              ;   in Loop: Header=BB625_17 Depth=1
	v_and_b32_e32 v57, 7, v32
	v_ffbh_u32_e32 v58, v57
	v_min_u32_e32 v61, 32, v58
	v_subrev_u32_e32 v58, 28, v61
	v_lshlrev_b64 v[58:59], v58, v[32:33]
	v_lshrrev_b32_e32 v60, 3, v30
	v_sub_u32_e32 v59, 29, v61
	v_and_b32_e32 v58, 7, v58
	v_cmp_gt_u32_e32 vcc, 8, v30
	v_cndmask_b32_e32 v30, v60, v59, vcc
	v_cndmask_b32_e32 v57, v57, v58, vcc
	v_lshlrev_b32_e32 v32, 24, v32
	v_lshlrev_b32_e32 v57, 20, v57
	v_and_b32_e32 v32, 0x80000000, v32
	v_lshl_add_u32 v30, v30, 23, v40
	v_or3_b32 v57, v32, v30, v57
.LBB625_159:                            ;   in Loop: Header=BB625_17 Depth=1
	s_or_b64 exec, exec, s[12:13]
.LBB625_160:                            ;   in Loop: Header=BB625_17 Depth=1
	s_or_b64 exec, exec, s[10:11]
.LBB625_161:                            ;   in Loop: Header=BB625_17 Depth=1
	s_or_b64 exec, exec, s[4:5]
	v_cvt_pkrtz_f16_f32 v58, v23, v44
	v_cvt_pkrtz_f16_f32 v59, v42, v54
	;; [unrolled: 1-line block ×4, first 2 shown]
	s_waitcnt vmcnt(1)
	v_cmp_ne_u16_sdwa s[10:11], v28, v36 src0_sel:BYTE_0 src1_sel:DWORD
	v_mfma_f32_16x16x16f16 v[18:21], v[58:59], v[10:11], v[18:21]
	v_mfma_f32_16x16x16f16 v[18:21], v[54:55], v[12:13], v[18:21]
	s_and_saveexec_b64 s[4:5], s[10:11]
	s_cbranch_execz .LBB625_167
; %bb.162:                              ;   in Loop: Header=BB625_17 Depth=1
	v_cmp_ne_u16_sdwa s[12:13], v28, s15 src0_sel:BYTE_0 src1_sel:DWORD
	v_bfrev_b32_e32 v34, 1
	s_and_saveexec_b64 s[10:11], s[12:13]
	s_cbranch_execz .LBB625_166
; %bb.163:                              ;   in Loop: Header=BB625_17 Depth=1
	v_and_b32_e32 v23, 0x7f, v28
	v_cmp_ne_u32_e32 vcc, s16, v23
	v_mov_b32_e32 v34, 0x7f800001
	s_and_saveexec_b64 s[12:13], vcc
	s_cbranch_execz .LBB625_165
; %bb.164:                              ;   in Loop: Header=BB625_17 Depth=1
	v_and_b32_e32 v30, 7, v28
	v_ffbh_u32_e32 v34, v30
	v_min_u32_e32 v34, 32, v34
	v_subrev_u32_e32 v42, 28, v34
	v_lshlrev_b64 v[54:55], v42, v[28:29]
	v_lshrrev_b32_e32 v32, 3, v23
	v_sub_u32_e32 v34, 29, v34
	v_and_b32_e32 v42, 7, v54
	v_cmp_gt_u32_e32 vcc, 8, v23
	v_cndmask_b32_e32 v23, v32, v34, vcc
	v_cndmask_b32_e32 v30, v30, v42, vcc
	v_lshlrev_b32_e32 v32, 24, v28
	v_lshlrev_b32_e32 v30, 20, v30
	v_and_b32_e32 v32, 0x80000000, v32
	v_lshl_add_u32 v23, v23, 23, v40
	v_or3_b32 v34, v32, v23, v30
.LBB625_165:                            ;   in Loop: Header=BB625_17 Depth=1
	s_or_b64 exec, exec, s[12:13]
.LBB625_166:                            ;   in Loop: Header=BB625_17 Depth=1
	s_or_b64 exec, exec, s[10:11]
.LBB625_167:                            ;   in Loop: Header=BB625_17 Depth=1
	s_or_b64 exec, exec, s[4:5]
	v_lshrrev_b16_e32 v30, 8, v28
	v_cmp_ne_u16_e32 vcc, 0, v30
	v_mov_b32_e32 v23, 0
	v_mov_b32_e32 v32, 0
	s_and_saveexec_b64 s[4:5], vcc
	s_cbranch_execz .LBB625_173
; %bb.168:                              ;   in Loop: Header=BB625_17 Depth=1
	v_cmp_ne_u16_e32 vcc, s15, v30
	v_bfrev_b32_e32 v32, 1
	s_and_saveexec_b64 s[10:11], vcc
	s_cbranch_execz .LBB625_172
; %bb.169:                              ;   in Loop: Header=BB625_17 Depth=1
	v_and_b32_e32 v42, 0x7f, v30
	v_cmp_ne_u32_e32 vcc, s16, v42
	v_mov_b32_e32 v32, 0x7f800001
	s_and_saveexec_b64 s[12:13], vcc
	s_cbranch_execz .LBB625_171
; %bb.170:                              ;   in Loop: Header=BB625_17 Depth=1
	v_and_b32_e32 v32, 7, v30
	v_ffbh_u32_e32 v53, v32
	v_min_u32_e32 v53, 32, v53
	v_subrev_u32_e32 v54, 28, v53
	v_lshlrev_b64 v[54:55], v54, v[30:31]
	v_lshrrev_b32_e32 v44, 3, v42
	v_sub_u32_e32 v30, 29, v53
	v_and_b32_e32 v53, 7, v54
	v_cmp_gt_u32_e32 vcc, 8, v42
	v_cndmask_b32_e32 v30, v44, v30, vcc
	v_cndmask_b32_e32 v32, v32, v53, vcc
	v_lshlrev_b32_e32 v42, 16, v28
	v_lshlrev_b32_e32 v32, 20, v32
	v_and_b32_e32 v42, 0x80000000, v42
	v_lshl_add_u32 v30, v30, 23, v40
	v_or3_b32 v32, v42, v30, v32
.LBB625_171:                            ;   in Loop: Header=BB625_17 Depth=1
	s_or_b64 exec, exec, s[12:13]
.LBB625_172:                            ;   in Loop: Header=BB625_17 Depth=1
	s_or_b64 exec, exec, s[10:11]
.LBB625_173:                            ;   in Loop: Header=BB625_17 Depth=1
	s_or_b64 exec, exec, s[4:5]
	v_lshrrev_b32_e32 v30, 16, v28
	v_cmp_ne_u16_sdwa s[10:11], v30, v36 src0_sel:BYTE_0 src1_sel:DWORD
	s_and_saveexec_b64 s[4:5], s[10:11]
	s_cbranch_execz .LBB625_179
; %bb.174:                              ;   in Loop: Header=BB625_17 Depth=1
	v_cmp_ne_u16_sdwa s[12:13], v30, s15 src0_sel:BYTE_0 src1_sel:DWORD
	v_bfrev_b32_e32 v23, 1
	s_and_saveexec_b64 s[10:11], s[12:13]
	s_cbranch_execz .LBB625_178
; %bb.175:                              ;   in Loop: Header=BB625_17 Depth=1
	v_bfe_u32 v42, v28, 16, 7
	v_cmp_ne_u32_e32 vcc, s16, v42
	v_mov_b32_e32 v23, 0x7f800001
	s_and_saveexec_b64 s[12:13], vcc
	s_cbranch_execz .LBB625_177
; %bb.176:                              ;   in Loop: Header=BB625_17 Depth=1
	v_and_b32_e32 v23, 7, v30
	v_ffbh_u32_e32 v53, v23
	v_min_u32_e32 v53, 32, v53
	v_subrev_u32_e32 v54, 28, v53
	v_lshlrev_b64 v[54:55], v54, v[30:31]
	v_lshrrev_b32_e32 v44, 3, v42
	v_sub_u32_e32 v53, 29, v53
	v_and_b32_e32 v54, 7, v54
	v_cmp_gt_u32_e32 vcc, 8, v42
	v_cndmask_b32_e32 v42, v44, v53, vcc
	v_cndmask_b32_e32 v23, v23, v54, vcc
	v_lshlrev_b32_e32 v30, 24, v30
	v_lshlrev_b32_e32 v23, 20, v23
	v_and_b32_e32 v30, 0x80000000, v30
	v_lshl_add_u32 v42, v42, 23, v40
	v_or3_b32 v23, v30, v42, v23
.LBB625_177:                            ;   in Loop: Header=BB625_17 Depth=1
	s_or_b64 exec, exec, s[12:13]
.LBB625_178:                            ;   in Loop: Header=BB625_17 Depth=1
	s_or_b64 exec, exec, s[10:11]
.LBB625_179:                            ;   in Loop: Header=BB625_17 Depth=1
	s_or_b64 exec, exec, s[4:5]
	v_cmp_lt_u32_e32 vcc, s17, v28
	v_mov_b32_e32 v42, 0
	v_mov_b32_e32 v44, 0
	s_and_saveexec_b64 s[4:5], vcc
	s_cbranch_execz .LBB625_185
; %bb.180:                              ;   in Loop: Header=BB625_17 Depth=1
	v_lshrrev_b32_e32 v30, 24, v28
	v_cmp_ne_u32_e32 vcc, s15, v30
	v_bfrev_b32_e32 v44, 1
	s_and_saveexec_b64 s[10:11], vcc
	s_cbranch_execz .LBB625_184
; %bb.181:                              ;   in Loop: Header=BB625_17 Depth=1
	v_bfe_u32 v28, v28, 24, 7
	v_cmp_ne_u32_e32 vcc, s16, v28
	v_mov_b32_e32 v44, 0x7f800001
	s_and_saveexec_b64 s[12:13], vcc
	s_cbranch_execz .LBB625_183
; %bb.182:                              ;   in Loop: Header=BB625_17 Depth=1
	v_and_b32_e32 v44, 7, v30
	v_ffbh_u32_e32 v54, v44
	v_min_u32_e32 v56, 32, v54
	v_subrev_u32_e32 v54, 28, v56
	v_lshlrev_b64 v[54:55], v54, v[30:31]
	v_lshrrev_b32_e32 v53, 3, v28
	v_sub_u32_e32 v55, 29, v56
	v_and_b32_e32 v54, 7, v54
	v_cmp_gt_u32_e32 vcc, 8, v28
	v_cndmask_b32_e32 v28, v53, v55, vcc
	v_cndmask_b32_e32 v44, v44, v54, vcc
	v_lshlrev_b32_e32 v30, 24, v30
	v_lshlrev_b32_e32 v44, 20, v44
	v_and_b32_e32 v30, 0x80000000, v30
	v_lshl_add_u32 v28, v28, 23, v40
	v_or3_b32 v44, v30, v28, v44
.LBB625_183:                            ;   in Loop: Header=BB625_17 Depth=1
	s_or_b64 exec, exec, s[12:13]
.LBB625_184:                            ;   in Loop: Header=BB625_17 Depth=1
	s_or_b64 exec, exec, s[10:11]
.LBB625_185:                            ;   in Loop: Header=BB625_17 Depth=1
	s_or_b64 exec, exec, s[4:5]
	s_waitcnt vmcnt(0)
	v_cmp_ne_u16_sdwa s[10:11], v26, v36 src0_sel:BYTE_0 src1_sel:DWORD
	s_and_saveexec_b64 s[4:5], s[10:11]
	s_cbranch_execz .LBB625_191
; %bb.186:                              ;   in Loop: Header=BB625_17 Depth=1
	v_cmp_ne_u16_sdwa s[12:13], v26, s15 src0_sel:BYTE_0 src1_sel:DWORD
	v_bfrev_b32_e32 v42, 1
	s_and_saveexec_b64 s[10:11], s[12:13]
	s_cbranch_execz .LBB625_190
; %bb.187:                              ;   in Loop: Header=BB625_17 Depth=1
	v_and_b32_e32 v28, 0x7f, v26
	v_cmp_ne_u32_e32 vcc, s16, v28
	v_mov_b32_e32 v42, 0x7f800001
	s_and_saveexec_b64 s[12:13], vcc
	s_cbranch_execz .LBB625_189
; %bb.188:                              ;   in Loop: Header=BB625_17 Depth=1
	v_and_b32_e32 v30, 7, v26
	v_ffbh_u32_e32 v53, v30
	v_min_u32_e32 v53, 32, v53
	v_subrev_u32_e32 v54, 28, v53
	v_lshlrev_b64 v[54:55], v54, v[26:27]
	v_lshrrev_b32_e32 v42, 3, v28
	v_sub_u32_e32 v53, 29, v53
	v_and_b32_e32 v54, 7, v54
	v_cmp_gt_u32_e32 vcc, 8, v28
	v_cndmask_b32_e32 v28, v42, v53, vcc
	v_cndmask_b32_e32 v30, v30, v54, vcc
	v_lshlrev_b32_e32 v42, 24, v26
	v_lshlrev_b32_e32 v30, 20, v30
	v_and_b32_e32 v42, 0x80000000, v42
	v_lshl_add_u32 v28, v28, 23, v40
	v_or3_b32 v42, v42, v28, v30
.LBB625_189:                            ;   in Loop: Header=BB625_17 Depth=1
	s_or_b64 exec, exec, s[12:13]
.LBB625_190:                            ;   in Loop: Header=BB625_17 Depth=1
	s_or_b64 exec, exec, s[10:11]
.LBB625_191:                            ;   in Loop: Header=BB625_17 Depth=1
	s_or_b64 exec, exec, s[4:5]
	v_lshrrev_b16_e32 v28, 8, v26
	v_cmp_ne_u16_e32 vcc, 0, v28
	v_mov_b32_e32 v30, 0
	v_mov_b32_e32 v53, 0
	s_and_saveexec_b64 s[4:5], vcc
	s_cbranch_execz .LBB625_197
; %bb.192:                              ;   in Loop: Header=BB625_17 Depth=1
	v_cmp_ne_u16_e32 vcc, s15, v28
	v_bfrev_b32_e32 v53, 1
	s_and_saveexec_b64 s[10:11], vcc
	s_cbranch_execz .LBB625_196
; %bb.193:                              ;   in Loop: Header=BB625_17 Depth=1
	v_and_b32_e32 v54, 0x7f, v28
	v_cmp_ne_u32_e32 vcc, s16, v54
	v_mov_b32_e32 v53, 0x7f800001
	s_and_saveexec_b64 s[12:13], vcc
	s_cbranch_execz .LBB625_195
; %bb.194:                              ;   in Loop: Header=BB625_17 Depth=1
	v_and_b32_e32 v53, 7, v28
	v_ffbh_u32_e32 v56, v53
	v_min_u32_e32 v58, 32, v56
	v_subrev_u32_e32 v56, 28, v58
	v_lshlrev_b64 v[56:57], v56, v[28:29]
	v_lshrrev_b32_e32 v55, 3, v54
	v_sub_u32_e32 v28, 29, v58
	v_and_b32_e32 v56, 7, v56
	v_cmp_gt_u32_e32 vcc, 8, v54
	v_cndmask_b32_e32 v28, v55, v28, vcc
	v_cndmask_b32_e32 v53, v53, v56, vcc
	v_lshlrev_b32_e32 v54, 16, v26
	v_lshlrev_b32_e32 v53, 20, v53
	v_and_b32_e32 v54, 0x80000000, v54
	v_lshl_add_u32 v28, v28, 23, v40
	v_or3_b32 v53, v54, v28, v53
.LBB625_195:                            ;   in Loop: Header=BB625_17 Depth=1
	s_or_b64 exec, exec, s[12:13]
.LBB625_196:                            ;   in Loop: Header=BB625_17 Depth=1
	s_or_b64 exec, exec, s[10:11]
.LBB625_197:                            ;   in Loop: Header=BB625_17 Depth=1
	s_or_b64 exec, exec, s[4:5]
	v_lshrrev_b32_e32 v28, 16, v26
	v_cmp_ne_u16_sdwa s[10:11], v28, v36 src0_sel:BYTE_0 src1_sel:DWORD
	s_and_saveexec_b64 s[4:5], s[10:11]
	s_cbranch_execz .LBB625_203
; %bb.198:                              ;   in Loop: Header=BB625_17 Depth=1
	v_cmp_ne_u16_sdwa s[12:13], v28, s15 src0_sel:BYTE_0 src1_sel:DWORD
	v_bfrev_b32_e32 v30, 1
	s_and_saveexec_b64 s[10:11], s[12:13]
	s_cbranch_execz .LBB625_202
; %bb.199:                              ;   in Loop: Header=BB625_17 Depth=1
	v_bfe_u32 v54, v26, 16, 7
	v_cmp_ne_u32_e32 vcc, s16, v54
	v_mov_b32_e32 v30, 0x7f800001
	s_and_saveexec_b64 s[12:13], vcc
	s_cbranch_execz .LBB625_201
; %bb.200:                              ;   in Loop: Header=BB625_17 Depth=1
	v_and_b32_e32 v30, 7, v28
	v_ffbh_u32_e32 v56, v30
	v_min_u32_e32 v58, 32, v56
	v_subrev_u32_e32 v56, 28, v58
	v_lshlrev_b64 v[56:57], v56, v[28:29]
	v_lshrrev_b32_e32 v55, 3, v54
	v_sub_u32_e32 v57, 29, v58
	v_and_b32_e32 v56, 7, v56
	v_cmp_gt_u32_e32 vcc, 8, v54
	v_cndmask_b32_e32 v54, v55, v57, vcc
	v_cndmask_b32_e32 v30, v30, v56, vcc
	v_lshlrev_b32_e32 v28, 24, v28
	v_lshlrev_b32_e32 v30, 20, v30
	v_and_b32_e32 v28, 0x80000000, v28
	v_lshl_add_u32 v54, v54, 23, v40
	v_or3_b32 v30, v28, v54, v30
.LBB625_201:                            ;   in Loop: Header=BB625_17 Depth=1
	s_or_b64 exec, exec, s[12:13]
.LBB625_202:                            ;   in Loop: Header=BB625_17 Depth=1
	s_or_b64 exec, exec, s[10:11]
.LBB625_203:                            ;   in Loop: Header=BB625_17 Depth=1
	s_or_b64 exec, exec, s[4:5]
	v_cmp_lt_u32_e32 vcc, s17, v26
	v_mov_b32_e32 v54, 0
	s_and_saveexec_b64 s[4:5], vcc
	s_cbranch_execz .LBB625_16
; %bb.204:                              ;   in Loop: Header=BB625_17 Depth=1
	v_lshrrev_b32_e32 v28, 24, v26
	v_cmp_ne_u32_e32 vcc, s15, v28
	v_bfrev_b32_e32 v54, 1
	s_and_saveexec_b64 s[10:11], vcc
	s_cbranch_execz .LBB625_15
; %bb.205:                              ;   in Loop: Header=BB625_17 Depth=1
	v_bfe_u32 v26, v26, 24, 7
	v_cmp_ne_u32_e32 vcc, s16, v26
	v_mov_b32_e32 v54, 0x7f800001
	s_and_saveexec_b64 s[12:13], vcc
	s_cbranch_execz .LBB625_14
; %bb.206:                              ;   in Loop: Header=BB625_17 Depth=1
	v_and_b32_e32 v56, 7, v28
	v_ffbh_u32_e32 v54, v56
	v_min_u32_e32 v58, 32, v54
	v_subrev_u32_e32 v54, 28, v58
	v_lshlrev_b64 v[54:55], v54, v[28:29]
	v_lshrrev_b32_e32 v57, 3, v26
	v_sub_u32_e32 v55, 29, v58
	v_and_b32_e32 v54, 7, v54
	v_cmp_gt_u32_e32 vcc, 8, v26
	v_cndmask_b32_e32 v26, v57, v55, vcc
	v_cndmask_b32_e32 v54, v56, v54, vcc
	v_lshlrev_b32_e32 v28, 24, v28
	v_lshlrev_b32_e32 v54, 20, v54
	v_and_b32_e32 v28, 0x80000000, v28
	v_lshl_add_u32 v26, v26, 23, v40
	v_or3_b32 v54, v28, v26, v54
	s_branch .LBB625_14
.LBB625_207:
	buffer_load_dword v17, off, s[0:3], 0 offset:256
	buffer_load_dword v16, off, s[0:3], 0 offset:260
	;; [unrolled: 1-line block ×16, first 2 shown]
	v_and_b32_e32 v18, 0xc0, v0
	v_add_u32_e32 v18, s22, v18
	v_lshl_or_b32 v18, v27, 2, v18
	v_or_b32_e32 v20, 1, v18
	v_subrev_u32_e32 v24, s33, v20
	v_add_u32_e32 v26, 1, v24
	v_cvt_f32_i32_e32 v25, v24
	v_add_u32_e32 v28, 2, v24
	v_add_u32_e32 v30, 3, v24
	;; [unrolled: 1-line block ×14, first 2 shown]
	v_cvt_f32_i32_e32 v26, v26
	v_cvt_f32_i32_e32 v28, v28
	;; [unrolled: 1-line block ×4, first 2 shown]
	v_mov_b32_e32 v19, 0xff7fffff
	v_or_b32_e32 v21, 2, v18
	v_or_b32_e32 v22, 3, v18
	v_cvt_f32_i32_e32 v32, v32
	v_cvt_f32_i32_e32 v34, v34
	v_cmp_gt_i32_e64 s[30:31], s33, v18
	v_cmp_gt_i32_e64 s[34:35], s33, v20
	s_mov_b32 s48, 0xff7fffff
	v_cmp_gt_i32_e64 s[36:37], s33, v21
	v_cmp_gt_i32_e64 s[38:39], s33, v22
	v_or_b32_e32 v23, 16, v18
	v_cvt_f32_i32_e32 v36, v36
	v_cvt_f32_i32_e32 v37, v37
	v_cmp_gt_i32_e64 s[26:27], s33, v23
	v_cvt_f32_i32_e32 v38, v38
	v_cvt_f32_i32_e32 v40, v40
	;; [unrolled: 1-line block ×7, first 2 shown]
	s_waitcnt vmcnt(15)
	v_fmac_f32_e32 v17, v33, v25
	s_waitcnt vmcnt(14)
	v_fmac_f32_e32 v16, v33, v26
	;; [unrolled: 2-line block ×4, first 2 shown]
	v_cndmask_b32_e64 v20, v19, v16, s[34:35]
	v_cndmask_b32_e64 v21, v19, v15, s[36:37]
	;; [unrolled: 1-line block ×3, first 2 shown]
	s_waitcnt vmcnt(11)
	v_fmac_f32_e32 v13, v33, v32
	s_waitcnt vmcnt(10)
	v_fmac_f32_e32 v12, v33, v34
	;; [unrolled: 2-line block ×9, first 2 shown]
	v_cndmask_b32_e64 v24, v19, v17, s[30:31]
	v_max3_f32 v20, v24, s48, v20
	v_max3_f32 v20, v20, v21, v22
	v_or_b32_e32 v22, 17, v18
	v_cmp_gt_i32_e64 s[40:41], s33, v22
	v_cndmask_b32_e64 v21, v19, v13, s[26:27]
	v_cndmask_b32_e64 v22, v19, v12, s[40:41]
	v_max3_f32 v20, v20, v21, v22
	v_or_b32_e32 v21, 18, v18
	v_or_b32_e32 v22, 19, v18
	v_cmp_gt_i32_e64 s[22:23], s33, v21
	v_cmp_gt_i32_e64 s[24:25], s33, v22
	v_cndmask_b32_e64 v21, v19, v11, s[22:23]
	v_cndmask_b32_e64 v22, v19, v10, s[24:25]
	v_max3_f32 v20, v20, v21, v22
	v_or_b32_e32 v21, 32, v18
	v_or_b32_e32 v22, 33, v18
	v_cmp_gt_i32_e64 s[18:19], s33, v21
	;; [unrolled: 7-line block ×3, first 2 shown]
	v_cmp_gt_i32_e64 s[16:17], s33, v22
	v_cndmask_b32_e64 v21, v19, v7, s[14:15]
	v_cndmask_b32_e64 v22, v19, v6, s[16:17]
	v_max3_f32 v20, v20, v21, v22
	v_or_b32_e32 v21, 48, v18
	v_or_b32_e32 v22, 49, v18
	v_fmac_f32_e32 v5, v33, v53
	v_fmac_f32_e32 v4, v33, v54
	v_cmp_gt_i32_e64 s[10:11], s33, v21
	v_cmp_gt_i32_e64 s[12:13], s33, v22
	v_cndmask_b32_e64 v21, v19, v5, s[10:11]
	v_cndmask_b32_e64 v22, v19, v4, s[12:13]
	v_max3_f32 v20, v20, v21, v22
	v_or_b32_e32 v21, 50, v18
	v_or_b32_e32 v18, 51, v18
	v_fmac_f32_e32 v3, v33, v55
	v_cmp_gt_i32_e32 vcc, s33, v21
	v_cmp_gt_i32_e64 s[4:5], s33, v18
	v_cndmask_b32_e32 v21, v19, v3, vcc
	v_cndmask_b32_e64 v18, v19, v2, s[4:5]
	v_mbcnt_lo_u32_b32 v19, -1, 0
	v_mbcnt_hi_u32_b32 v19, -1, v19
	v_max3_f32 v18, v20, v21, v18
	v_and_b32_e32 v20, 64, v19
	v_add_u32_e32 v20, 64, v20
	v_xor_b32_e32 v21, 32, v19
	v_cmp_lt_i32_e64 s[42:43], v21, v20
	v_cndmask_b32_e64 v21, v19, v21, s[42:43]
	v_lshlrev_b32_e32 v21, 2, v21
	ds_bpermute_b32 v22, v21, v18
	s_waitcnt lgkmcnt(0)
	v_max_f32_e32 v22, v22, v22
	v_max_f32_e32 v18, v18, v22
	v_xor_b32_e32 v22, 16, v19
	v_cmp_lt_i32_e64 s[42:43], v22, v20
	v_cndmask_b32_e64 v19, v19, v22, s[42:43]
	v_lshlrev_b32_e32 v19, 2, v19
	ds_bpermute_b32 v20, v19, v18
	s_waitcnt lgkmcnt(0)
	v_max_f32_e32 v20, v20, v20
	v_max_f32_e32 v18, v18, v20
	v_sub_f32_e32 v17, v17, v18
	v_mul_f32_e32 v17, 0x3fb8aa3b, v17
	v_sub_f32_e32 v16, v16, v18
	v_exp_f32_e32 v17, v17
	v_mul_f32_e32 v16, 0x3fb8aa3b, v16
	v_sub_f32_e32 v15, v15, v18
	v_exp_f32_e32 v16, v16
	;; [unrolled: 3-line block ×4, first 2 shown]
	v_mul_f32_e32 v13, 0x3fb8aa3b, v13
	v_sub_f32_e32 v12, v12, v18
	v_cndmask_b32_e64 v17, 0, v17, s[30:31]
	v_exp_f32_e32 v13, v13
	v_mul_f32_e32 v12, 0x3fb8aa3b, v12
	v_sub_f32_e32 v11, v11, v18
	v_add_f32_e32 v20, 0, v17
	v_cndmask_b32_e64 v16, 0, v16, s[34:35]
	v_exp_f32_e32 v12, v12
	v_mul_f32_e32 v11, 0x3fb8aa3b, v11
	v_sub_f32_e32 v10, v10, v18
	v_add_f32_e32 v20, v20, v16
	;; [unrolled: 5-line block ×4, first 2 shown]
	v_cndmask_b32_e64 v13, 0, v13, s[26:27]
	v_exp_f32_e32 v9, v9
	v_mul_f32_e32 v8, 0x3fb8aa3b, v8
	v_sub_f32_e32 v7, v7, v18
	buffer_store_dword v17, off, s[0:3], 0 offset:256
	buffer_store_dword v16, off, s[0:3], 0 offset:260
	;; [unrolled: 1-line block ×4, first 2 shown]
	v_add_f32_e32 v14, v20, v13
	v_cndmask_b32_e64 v12, 0, v12, s[40:41]
	v_exp_f32_e32 v8, v8
	v_mul_f32_e32 v7, 0x3fb8aa3b, v7
	v_sub_f32_e32 v6, v6, v18
	v_add_f32_e32 v14, v14, v12
	v_cndmask_b32_e64 v11, 0, v11, s[22:23]
	v_exp_f32_e32 v7, v7
	v_mul_f32_e32 v6, 0x3fb8aa3b, v6
	v_sub_f32_e32 v5, v5, v18
	;; [unrolled: 5-line block ×4, first 2 shown]
	buffer_store_dword v13, off, s[0:3], 0 offset:272
	buffer_store_dword v12, off, s[0:3], 0 offset:276
	;; [unrolled: 1-line block ×4, first 2 shown]
	v_add_f32_e32 v10, v14, v9
	v_cndmask_b32_e64 v8, 0, v8, s[20:21]
	v_exp_f32_e32 v4, v4
	v_mul_f32_e32 v3, 0x3fb8aa3b, v3
	v_sub_f32_e32 v2, v2, v18
	v_add_f32_e32 v10, v10, v8
	v_cndmask_b32_e64 v7, 0, v7, s[14:15]
	v_exp_f32_e32 v3, v3
	v_mul_f32_e32 v2, 0x3fb8aa3b, v2
	v_add_f32_e32 v10, v10, v7
	v_cndmask_b32_e64 v6, 0, v6, s[16:17]
	v_exp_f32_e32 v2, v2
	v_add_f32_e32 v10, v10, v6
	v_cndmask_b32_e64 v5, 0, v5, s[10:11]
	buffer_store_dword v9, off, s[0:3], 0 offset:288
	buffer_store_dword v8, off, s[0:3], 0 offset:292
	;; [unrolled: 1-line block ×4, first 2 shown]
	v_add_f32_e32 v6, v10, v5
	v_cndmask_b32_e64 v4, 0, v4, s[12:13]
	v_add_f32_e32 v6, v6, v4
	v_cndmask_b32_e32 v3, 0, v3, vcc
	v_add_f32_e32 v6, v6, v3
	v_cndmask_b32_e64 v2, 0, v2, s[4:5]
	v_add_f32_e32 v6, v6, v2
	ds_bpermute_b32 v7, v21, v6
	buffer_store_dword v5, off, s[0:3], 0 offset:304
	buffer_store_dword v4, off, s[0:3], 0 offset:308
	;; [unrolled: 1-line block ×4, first 2 shown]
	v_cmp_gt_u32_e32 vcc, 16, v35
	s_waitcnt lgkmcnt(0)
	s_barrier
	v_add_f32_e32 v2, v6, v7
	ds_bpermute_b32 v3, v19, v2
	s_waitcnt lgkmcnt(0)
	s_and_saveexec_b64 s[4:5], vcc
	s_cbranch_execz .LBB625_209
; %bb.208:
	v_add_f32_e32 v2, v2, v3
	v_lshlrev_b32_e32 v3, 2, v31
	ds_write2st64_b32 v3, v18, v2 offset1:1
.LBB625_209:
	s_or_b64 exec, exec, s[4:5]
	v_lshlrev_b32_e32 v2, 2, v41
	s_waitcnt lgkmcnt(0)
	s_barrier
	ds_read2_b32 v[12:13], v2 offset1:16
	ds_read2_b32 v[14:15], v2 offset0:32 offset1:48
	ds_read2_b32 v[6:7], v2 offset0:64 offset1:80
	ds_read2_b32 v[10:11], v2 offset0:96 offset1:112
	s_waitcnt lgkmcnt(0)
	s_barrier
	buffer_load_dword v20, off, s[0:3], 0 offset:256
	buffer_load_dword v21, off, s[0:3], 0 offset:260
	;; [unrolled: 1-line block ×16, first 2 shown]
	v_lshlrev_b32_e32 v19, 3, v27
	v_lshlrev_b32_e32 v18, 5, v41
	;; [unrolled: 1-line block ×3, first 2 shown]
	v_or3_b32 v53, v26, v18, v19
	v_max3_f32 v19, v12, s48, v13
	v_max3_f32 v19, v19, v14, v15
	v_sub_f32_e32 v12, v12, v19
	v_sub_f32_e32 v13, v13, v19
	v_mul_f32_e32 v12, 0x3fb8aa3b, v12
	v_sub_f32_e32 v14, v14, v19
	v_mul_f32_e32 v13, 0x3fb8aa3b, v13
	v_exp_f32_e32 v12, v12
	v_sub_f32_e32 v15, v15, v19
	v_mul_f32_e32 v14, 0x3fb8aa3b, v14
	v_exp_f32_e32 v13, v13
	v_mul_f32_e32 v15, 0x3fb8aa3b, v15
	v_exp_f32_e32 v14, v14
	v_exp_f32_e32 v15, v15
	v_fma_f32 v6, v12, v6, 0
	v_fmac_f32_e32 v6, v13, v7
	v_fmac_f32_e32 v6, v14, v10
	;; [unrolled: 1-line block ×3, first 2 shown]
	v_cmp_eq_u32_e32 vcc, 1, v29
	v_add_f32_e32 v10, 0x358637bd, v6
	v_cndmask_b32_e32 v12, v12, v13, vcc
	v_cmp_eq_u32_e32 vcc, 2, v29
	v_div_scale_f32 v11, s[4:5], v10, v10, 1.0
	v_cndmask_b32_e32 v7, v12, v14, vcc
	v_rcp_f32_e32 v12, v11
	v_cmp_eq_u32_e32 vcc, 3, v29
	v_cndmask_b32_e32 v7, v7, v15, vcc
	v_div_scale_f32 v13, vcc, 1.0, v10, 1.0
	v_fma_f32 v14, -v11, v12, 1.0
	v_fmac_f32_e32 v12, v14, v12
	v_mul_f32_e32 v14, v13, v12
	v_fma_f32 v15, -v11, v14, v13
	v_fmac_f32_e32 v14, v15, v12
	v_fma_f32 v11, -v11, v14, v13
	v_div_fmas_f32 v11, v11, v12, v14
	v_div_fixup_f32 v10, v11, v10, 1.0
	v_mul_f32_e32 v10, v7, v10
	s_lshl_b32 s20, s53, 2
	v_cmp_gt_u32_e32 vcc, 4, v0
	s_waitcnt vmcnt(14)
	v_pk_mul_f32 v[14:15], v[10:11], v[20:21] op_sel_hi:[0,1]
	v_cvt_f16_f32_e32 v7, v14
	s_waitcnt vmcnt(12)
	v_pk_mul_f32 v[12:13], v[10:11], v[22:23] op_sel_hi:[0,1]
	buffer_store_dword v14, off, s[0:3], 0 offset:256
	buffer_store_dword v15, off, s[0:3], 0 offset:260
	;; [unrolled: 1-line block ×3, first 2 shown]
	s_waitcnt vmcnt(13)
	v_pk_mul_f32 v[20:21], v[10:11], v[24:25] op_sel_hi:[0,1]
	v_cvt_f16_f32_e32 v14, v12
	s_waitcnt vmcnt(11)
	v_pk_mul_f32 v[22:23], v[10:11], v[30:31] op_sel_hi:[0,1]
	v_cvt_f16_f32_e32 v11, v15
	v_cvt_f16_f32_e32 v15, v13
	buffer_store_dword v13, off, s[0:3], 0 offset:268
	buffer_store_dword v22, off, s[0:3], 0 offset:272
	;; [unrolled: 1-line block ×3, first 2 shown]
	v_pack_b32_f16 v12, v7, v11
	v_cvt_f16_f32_e32 v11, v23
	v_pack_b32_f16 v13, v14, v15
	v_cvt_f16_f32_e32 v7, v22
	v_cvt_f16_f32_e32 v15, v20
	;; [unrolled: 1-line block ×3, first 2 shown]
	s_waitcnt vmcnt(12)
	v_pk_mul_f32 v[4:5], v[10:11], v[4:5] op_sel_hi:[0,1]
	v_pack_b32_f16 v14, v7, v11
	s_waitcnt vmcnt(10)
	v_pk_mul_f32 v[2:3], v[10:11], v[2:3] op_sel_hi:[0,1]
	v_pack_b32_f16 v15, v15, v22
	v_cvt_f16_f32_e32 v11, v5
	buffer_store_dword v20, off, s[0:3], 0 offset:280
	buffer_store_dword v21, off, s[0:3], 0 offset:284
	ds_write2st64_b64 v53, v[12:13], v[14:15] offset1:1
	buffer_store_dword v2, off, s[0:3], 0 offset:288
	buffer_store_dword v3, off, s[0:3], 0 offset:292
	v_cvt_f16_f32_e32 v2, v2
	v_cvt_f16_f32_e32 v3, v3
	;; [unrolled: 1-line block ×3, first 2 shown]
	buffer_store_dword v4, off, s[0:3], 0 offset:296
	buffer_store_dword v5, off, s[0:3], 0 offset:300
	s_waitcnt vmcnt(12)
	v_pk_mul_f32 v[4:5], v[10:11], v[16:17] op_sel_hi:[0,1]
	v_pk_mul_f32 v[8:9], v[10:11], v[8:9] op_sel_hi:[0,1]
	v_pack_b32_f16 v2, v2, v3
	v_pack_b32_f16 v3, v7, v11
	buffer_store_dword v8, off, s[0:3], 0 offset:304
	buffer_store_dword v9, off, s[0:3], 0 offset:308
	v_cvt_f16_f32_e32 v7, v8
	v_cvt_f16_f32_e32 v8, v9
	;; [unrolled: 1-line block ×4, first 2 shown]
	buffer_store_dword v4, off, s[0:3], 0 offset:312
	buffer_store_dword v5, off, s[0:3], 0 offset:316
	v_pack_b32_f16 v4, v7, v8
	v_pack_b32_f16 v5, v9, v10
	ds_write2st64_b64 v53, v[2:3], v[4:5] offset0:2 offset1:3
	s_and_saveexec_b64 s[4:5], vcc
	s_cbranch_execz .LBB625_211
; %bb.210:
	v_or_b32_e32 v2, s29, v0
	v_mov_b32_e32 v3, 0
	v_mov_b32_e32 v4, s20
	v_mad_u64_u32 v[4:5], s[10:11], s8, v4, v[2:3]
	v_mov_b32_e32 v2, s28
	s_mul_i32 s9, s9, s20
	v_mad_u64_u32 v[2:3], s[10:11], v4, s52, v[2:3]
	v_add_u32_e32 v5, s9, v5
	v_mov_b32_e32 v4, v3
	v_mad_u64_u32 v[4:5], s[10:11], v5, s52, v[4:5]
	v_mov_b32_e32 v3, v4
	v_lshlrev_b64 v[2:3], 2, v[2:3]
	v_mov_b32_e32 v5, s47
	v_add_co_u32_e32 v4, vcc, s46, v2
	v_addc_co_u32_e32 v5, vcc, v5, v3, vcc
	global_store_dword v[4:5], v19, off
	v_mov_b32_e32 v4, s45
	v_add_co_u32_e32 v2, vcc, s44, v2
	v_addc_co_u32_e32 v3, vcc, v4, v3, vcc
	global_store_dword v[2:3], v6, off
.LBB625_211:
	s_or_b64 exec, exec, s[4:5]
	v_lshl_or_b32 v30, v27, 9, v18
	s_waitcnt lgkmcnt(0)
	s_barrier
	s_load_dword s4, s[50:51], 0x0
	ds_read_b128 v[2:5], v30
	ds_read_b128 v[6:9], v30 offset:16
	ds_read_b128 v[10:13], v30 offset:2048
	;; [unrolled: 1-line block ×7, first 2 shown]
	v_mov_b32_e32 v35, 0x80
	v_mov_b32_e32 v54, 0x140
	s_mov_b64 s[12:13], -1
	s_waitcnt lgkmcnt(0)
	s_mov_b32 s5, s4
	s_mov_b32 s10, s4
	;; [unrolled: 1-line block ×3, first 2 shown]
	s_movk_i32 s9, 0x80
	s_movk_i32 s21, 0x7f
	s_mov_b32 s22, 0xffffff
	v_mov_b32_e32 v55, 0
	v_bfrev_b32_e32 v56, 60
	s_branch .LBB625_215
.LBB625_212:                            ;   in Loop: Header=BB625_215 Depth=1
	s_or_b64 exec, exec, s[18:19]
.LBB625_213:                            ;   in Loop: Header=BB625_215 Depth=1
	s_or_b64 exec, exec, s[16:17]
.LBB625_214:                            ;   in Loop: Header=BB625_215 Depth=1
	s_or_b64 exec, exec, s[14:15]
	v_cvt_pkrtz_f16_f32 v60, v46, v51
	v_cvt_pkrtz_f16_f32 v61, v44, v57
	s_xor_b64 s[14:15], s[12:13], -1
	s_mov_b64 s[12:13], 0
	v_mov_b32_e32 v46, v48
	v_mfma_f32_16x16x16f16 v[60:63], v[60:61], v[30:31], v[34:37]
	v_mov_b32_e32 v51, v50
	s_and_b64 vcc, exec, s[14:15]
	s_nop 4
	v_cvt_pkrtz_f16_f32 v36, v52, v58
	v_cvt_pkrtz_f16_f32 v37, v42, v59
	v_mov_b32_e32 v35, v47
	v_mov_b32_e32 v52, v49
	v_mfma_f32_16x16x16f16 v[58:61], v[36:37], v[32:33], v[60:63]
	s_nop 7
	s_nop 2
	v_pk_mul_f32 v[58:59], v[58:59], s[4:5]
	v_pk_mul_f32 v[36:37], v[60:61], s[10:11]
	v_cvt_f16_f32_e32 v34, v58
	v_cvt_f16_f32_e32 v38, v59
	;; [unrolled: 1-line block ×4, first 2 shown]
	v_pack_b32_f16 v34, v34, v38
	v_pack_b32_f16 v36, v36, v37
	buffer_store_dword v34, v54, s[0:3], 0 offen
	buffer_store_dword v36, v54, s[0:3], 0 offen offset:4
	v_mov_b32_e32 v54, 0x148
	s_cbranch_vccnz .LBB625_597
.LBB625_215:                            ; =>This Inner Loop Header: Depth=1
	buffer_load_dword v36, v35, s[0:3], 0 offen
	buffer_load_dword v34, v35, s[0:3], 0 offen offset:4
	buffer_load_dword v40, v35, s[0:3], 0 offen offset:8
	;; [unrolled: 1-line block ×3, first 2 shown]
	v_mov_b32_e32 v35, 0
	s_waitcnt vmcnt(3)
	v_cmp_ne_u16_sdwa s[16:17], v36, v55 src0_sel:BYTE_0 src1_sel:DWORD
	s_and_saveexec_b64 s[14:15], s[16:17]
	s_cbranch_execz .LBB625_221
; %bb.216:                              ;   in Loop: Header=BB625_215 Depth=1
	v_cmp_ne_u16_sdwa s[18:19], v36, s9 src0_sel:BYTE_0 src1_sel:DWORD
	v_bfrev_b32_e32 v35, 1
	s_and_saveexec_b64 s[16:17], s[18:19]
	s_cbranch_execz .LBB625_220
; %bb.217:                              ;   in Loop: Header=BB625_215 Depth=1
	v_and_b32_e32 v37, 0x7f, v36
	v_cmp_ne_u32_e32 vcc, s21, v37
	v_mov_b32_e32 v35, 0x7f800001
	s_and_saveexec_b64 s[18:19], vcc
	s_cbranch_execz .LBB625_219
; %bb.218:                              ;   in Loop: Header=BB625_215 Depth=1
	v_and_b32_e32 v35, 7, v36
	v_ffbh_u32_e32 v44, v35
	v_min_u32_e32 v44, 32, v44
	v_subrev_u32_e32 v57, 28, v44
	v_lshlrev_b64 v[58:59], v57, v[36:37]
	v_lshrrev_b32_e32 v42, 3, v37
	v_sub_u32_e32 v44, 29, v44
	v_and_b32_e32 v57, 7, v58
	v_cmp_gt_u32_e32 vcc, 8, v37
	v_cndmask_b32_e32 v37, v42, v44, vcc
	v_cndmask_b32_e32 v35, v35, v57, vcc
	v_lshlrev_b32_e32 v42, 24, v36
	v_lshlrev_b32_e32 v35, 20, v35
	v_and_b32_e32 v42, 0x80000000, v42
	v_lshl_add_u32 v37, v37, 23, v56
	v_or3_b32 v35, v42, v37, v35
.LBB625_219:                            ;   in Loop: Header=BB625_215 Depth=1
	s_or_b64 exec, exec, s[18:19]
.LBB625_220:                            ;   in Loop: Header=BB625_215 Depth=1
	s_or_b64 exec, exec, s[16:17]
.LBB625_221:                            ;   in Loop: Header=BB625_215 Depth=1
	s_or_b64 exec, exec, s[14:15]
	v_lshrrev_b16_e32 v42, 8, v36
	v_cmp_ne_u16_e32 vcc, 0, v42
	v_mov_b32_e32 v37, 0
	s_and_saveexec_b64 s[14:15], vcc
	s_cbranch_execz .LBB625_227
; %bb.222:                              ;   in Loop: Header=BB625_215 Depth=1
	v_cmp_ne_u16_e32 vcc, s9, v42
	v_bfrev_b32_e32 v37, 1
	s_and_saveexec_b64 s[16:17], vcc
	s_cbranch_execz .LBB625_226
; %bb.223:                              ;   in Loop: Header=BB625_215 Depth=1
	v_and_b32_e32 v44, 0x7f, v42
	v_cmp_ne_u32_e32 vcc, s21, v44
	v_mov_b32_e32 v37, 0x7f800001
	s_and_saveexec_b64 s[18:19], vcc
	s_cbranch_execz .LBB625_225
; %bb.224:                              ;   in Loop: Header=BB625_215 Depth=1
	v_and_b32_e32 v37, 7, v42
	v_ffbh_u32_e32 v58, v37
	v_min_u32_e32 v60, 32, v58
	v_subrev_u32_e32 v58, 28, v60
	v_lshlrev_b64 v[58:59], v58, v[42:43]
	v_lshrrev_b32_e32 v57, 3, v44
	v_sub_u32_e32 v42, 29, v60
	v_and_b32_e32 v58, 7, v58
	v_cmp_gt_u32_e32 vcc, 8, v44
	v_cndmask_b32_e32 v42, v57, v42, vcc
	v_cndmask_b32_e32 v37, v37, v58, vcc
	v_lshlrev_b32_e32 v44, 16, v36
	v_lshlrev_b32_e32 v37, 20, v37
	v_and_b32_e32 v44, 0x80000000, v44
	v_lshl_add_u32 v42, v42, 23, v56
	v_or3_b32 v37, v44, v42, v37
.LBB625_225:                            ;   in Loop: Header=BB625_215 Depth=1
	s_or_b64 exec, exec, s[18:19]
.LBB625_226:                            ;   in Loop: Header=BB625_215 Depth=1
	s_or_b64 exec, exec, s[16:17]
.LBB625_227:                            ;   in Loop: Header=BB625_215 Depth=1
	s_or_b64 exec, exec, s[14:15]
	v_lshrrev_b32_e32 v42, 16, v36
	v_cmp_ne_u16_sdwa s[16:17], v42, v55 src0_sel:BYTE_0 src1_sel:DWORD
	v_mov_b32_e32 v57, 0
	v_mov_b32_e32 v44, 0
	s_and_saveexec_b64 s[14:15], s[16:17]
	s_cbranch_execz .LBB625_233
; %bb.228:                              ;   in Loop: Header=BB625_215 Depth=1
	v_cmp_ne_u16_sdwa s[18:19], v42, s9 src0_sel:BYTE_0 src1_sel:DWORD
	v_bfrev_b32_e32 v44, 1
	s_and_saveexec_b64 s[16:17], s[18:19]
	s_cbranch_execz .LBB625_232
; %bb.229:                              ;   in Loop: Header=BB625_215 Depth=1
	v_bfe_u32 v58, v36, 16, 7
	v_cmp_ne_u32_e32 vcc, s21, v58
	v_mov_b32_e32 v44, 0x7f800001
	s_and_saveexec_b64 s[18:19], vcc
	s_cbranch_execz .LBB625_231
; %bb.230:                              ;   in Loop: Header=BB625_215 Depth=1
	v_and_b32_e32 v44, 7, v42
	v_ffbh_u32_e32 v60, v44
	v_min_u32_e32 v62, 32, v60
	v_subrev_u32_e32 v60, 28, v62
	v_lshlrev_b64 v[60:61], v60, v[42:43]
	v_lshrrev_b32_e32 v59, 3, v58
	v_sub_u32_e32 v61, 29, v62
	v_and_b32_e32 v60, 7, v60
	v_cmp_gt_u32_e32 vcc, 8, v58
	v_cndmask_b32_e32 v58, v59, v61, vcc
	v_cndmask_b32_e32 v44, v44, v60, vcc
	v_lshlrev_b32_e32 v42, 24, v42
	v_lshlrev_b32_e32 v44, 20, v44
	v_and_b32_e32 v42, 0x80000000, v42
	v_lshl_add_u32 v58, v58, 23, v56
	v_or3_b32 v44, v42, v58, v44
.LBB625_231:                            ;   in Loop: Header=BB625_215 Depth=1
	s_or_b64 exec, exec, s[18:19]
.LBB625_232:                            ;   in Loop: Header=BB625_215 Depth=1
	s_or_b64 exec, exec, s[16:17]
.LBB625_233:                            ;   in Loop: Header=BB625_215 Depth=1
	s_or_b64 exec, exec, s[14:15]
	v_cmp_lt_u32_e32 vcc, s22, v36
	s_and_saveexec_b64 s[14:15], vcc
	s_cbranch_execz .LBB625_239
; %bb.234:                              ;   in Loop: Header=BB625_215 Depth=1
	v_lshrrev_b32_e32 v42, 24, v36
	v_cmp_ne_u32_e32 vcc, s9, v42
	v_bfrev_b32_e32 v57, 1
	s_and_saveexec_b64 s[16:17], vcc
	s_cbranch_execz .LBB625_238
; %bb.235:                              ;   in Loop: Header=BB625_215 Depth=1
	v_bfe_u32 v36, v36, 24, 7
	v_cmp_ne_u32_e32 vcc, s21, v36
	v_mov_b32_e32 v57, 0x7f800001
	s_and_saveexec_b64 s[18:19], vcc
	s_cbranch_execz .LBB625_237
; %bb.236:                              ;   in Loop: Header=BB625_215 Depth=1
	v_and_b32_e32 v57, 7, v42
	v_ffbh_u32_e32 v58, v57
	v_min_u32_e32 v61, 32, v58
	v_subrev_u32_e32 v58, 28, v61
	v_lshlrev_b64 v[58:59], v58, v[42:43]
	v_lshrrev_b32_e32 v60, 3, v36
	v_sub_u32_e32 v59, 29, v61
	v_and_b32_e32 v58, 7, v58
	v_cmp_gt_u32_e32 vcc, 8, v36
	v_cndmask_b32_e32 v36, v60, v59, vcc
	v_cndmask_b32_e32 v57, v57, v58, vcc
	v_lshlrev_b32_e32 v42, 24, v42
	v_lshlrev_b32_e32 v57, 20, v57
	v_and_b32_e32 v42, 0x80000000, v42
	v_lshl_add_u32 v36, v36, 23, v56
	v_or3_b32 v57, v42, v36, v57
.LBB625_237:                            ;   in Loop: Header=BB625_215 Depth=1
	s_or_b64 exec, exec, s[18:19]
.LBB625_238:                            ;   in Loop: Header=BB625_215 Depth=1
	s_or_b64 exec, exec, s[16:17]
.LBB625_239:                            ;   in Loop: Header=BB625_215 Depth=1
	s_or_b64 exec, exec, s[14:15]
	s_waitcnt vmcnt(2)
	v_cmp_ne_u16_sdwa s[16:17], v34, v55 src0_sel:BYTE_0 src1_sel:DWORD
	v_mov_b32_e32 v42, 0
	v_mov_b32_e32 v58, 0
	s_and_saveexec_b64 s[14:15], s[16:17]
	s_cbranch_execz .LBB625_245
; %bb.240:                              ;   in Loop: Header=BB625_215 Depth=1
	v_cmp_ne_u16_sdwa s[18:19], v34, s9 src0_sel:BYTE_0 src1_sel:DWORD
	v_bfrev_b32_e32 v58, 1
	s_and_saveexec_b64 s[16:17], s[18:19]
	s_cbranch_execz .LBB625_244
; %bb.241:                              ;   in Loop: Header=BB625_215 Depth=1
	v_and_b32_e32 v36, 0x7f, v34
	v_cmp_ne_u32_e32 vcc, s21, v36
	v_mov_b32_e32 v58, 0x7f800001
	s_and_saveexec_b64 s[18:19], vcc
	s_cbranch_execz .LBB625_243
; %bb.242:                              ;   in Loop: Header=BB625_215 Depth=1
	v_and_b32_e32 v60, 7, v34
	v_ffbh_u32_e32 v58, v60
	v_min_u32_e32 v62, 32, v58
	v_subrev_u32_e32 v58, 28, v62
	v_lshlrev_b64 v[58:59], v58, v[34:35]
	v_lshrrev_b32_e32 v61, 3, v36
	v_sub_u32_e32 v59, 29, v62
	v_and_b32_e32 v58, 7, v58
	v_cmp_gt_u32_e32 vcc, 8, v36
	v_cndmask_b32_e32 v36, v61, v59, vcc
	v_cndmask_b32_e32 v58, v60, v58, vcc
	v_lshlrev_b32_e32 v59, 24, v34
	v_lshlrev_b32_e32 v58, 20, v58
	v_and_b32_e32 v59, 0x80000000, v59
	v_lshl_add_u32 v36, v36, 23, v56
	v_or3_b32 v58, v59, v36, v58
.LBB625_243:                            ;   in Loop: Header=BB625_215 Depth=1
	s_or_b64 exec, exec, s[18:19]
.LBB625_244:                            ;   in Loop: Header=BB625_215 Depth=1
	s_or_b64 exec, exec, s[16:17]
.LBB625_245:                            ;   in Loop: Header=BB625_215 Depth=1
	s_or_b64 exec, exec, s[14:15]
	v_lshrrev_b16_e32 v36, 8, v34
	v_cmp_ne_u16_e32 vcc, 0, v36
	s_and_saveexec_b64 s[14:15], vcc
	s_cbranch_execz .LBB625_251
; %bb.246:                              ;   in Loop: Header=BB625_215 Depth=1
	v_cmp_ne_u16_e32 vcc, s9, v36
	v_bfrev_b32_e32 v42, 1
	s_and_saveexec_b64 s[16:17], vcc
	s_cbranch_execz .LBB625_250
; %bb.247:                              ;   in Loop: Header=BB625_215 Depth=1
	v_and_b32_e32 v59, 0x7f, v36
	v_cmp_ne_u32_e32 vcc, s21, v59
	v_mov_b32_e32 v42, 0x7f800001
	s_and_saveexec_b64 s[18:19], vcc
	s_cbranch_execz .LBB625_249
; %bb.248:                              ;   in Loop: Header=BB625_215 Depth=1
	v_and_b32_e32 v42, 7, v36
	v_ffbh_u32_e32 v60, v42
	v_min_u32_e32 v63, 32, v60
	v_subrev_u32_e32 v60, 28, v63
	v_lshlrev_b64 v[60:61], v60, v[36:37]
	v_lshrrev_b32_e32 v62, 3, v59
	v_sub_u32_e32 v36, 29, v63
	v_and_b32_e32 v60, 7, v60
	v_cmp_gt_u32_e32 vcc, 8, v59
	v_cndmask_b32_e32 v36, v62, v36, vcc
	v_cndmask_b32_e32 v42, v42, v60, vcc
	v_lshlrev_b32_e32 v59, 16, v34
	v_lshlrev_b32_e32 v42, 20, v42
	v_and_b32_e32 v59, 0x80000000, v59
	v_lshl_add_u32 v36, v36, 23, v56
	v_or3_b32 v42, v59, v36, v42
.LBB625_249:                            ;   in Loop: Header=BB625_215 Depth=1
	s_or_b64 exec, exec, s[18:19]
.LBB625_250:                            ;   in Loop: Header=BB625_215 Depth=1
	s_or_b64 exec, exec, s[16:17]
.LBB625_251:                            ;   in Loop: Header=BB625_215 Depth=1
	s_or_b64 exec, exec, s[14:15]
	v_lshrrev_b32_e32 v36, 16, v34
	v_cmp_ne_u16_sdwa s[16:17], v36, v55 src0_sel:BYTE_0 src1_sel:DWORD
	v_mov_b32_e32 v60, 0
	v_mov_b32_e32 v59, 0
	s_and_saveexec_b64 s[14:15], s[16:17]
	s_cbranch_execz .LBB625_257
; %bb.252:                              ;   in Loop: Header=BB625_215 Depth=1
	v_cmp_ne_u16_sdwa s[18:19], v36, s9 src0_sel:BYTE_0 src1_sel:DWORD
	v_bfrev_b32_e32 v59, 1
	s_and_saveexec_b64 s[16:17], s[18:19]
	s_cbranch_execz .LBB625_256
; %bb.253:                              ;   in Loop: Header=BB625_215 Depth=1
	v_bfe_u32 v61, v34, 16, 7
	v_cmp_ne_u32_e32 vcc, s21, v61
	v_mov_b32_e32 v59, 0x7f800001
	s_and_saveexec_b64 s[18:19], vcc
	s_cbranch_execz .LBB625_255
; %bb.254:                              ;   in Loop: Header=BB625_215 Depth=1
	v_and_b32_e32 v59, 7, v36
	v_ffbh_u32_e32 v62, v59
	v_min_u32_e32 v65, 32, v62
	v_subrev_u32_e32 v62, 28, v65
	v_lshlrev_b64 v[62:63], v62, v[36:37]
	v_lshrrev_b32_e32 v64, 3, v61
	v_sub_u32_e32 v63, 29, v65
	v_and_b32_e32 v62, 7, v62
	v_cmp_gt_u32_e32 vcc, 8, v61
	v_cndmask_b32_e32 v61, v64, v63, vcc
	v_cndmask_b32_e32 v59, v59, v62, vcc
	v_lshlrev_b32_e32 v36, 24, v36
	v_lshlrev_b32_e32 v59, 20, v59
	v_and_b32_e32 v36, 0x80000000, v36
	v_lshl_add_u32 v61, v61, 23, v56
	v_or3_b32 v59, v36, v61, v59
.LBB625_255:                            ;   in Loop: Header=BB625_215 Depth=1
	s_or_b64 exec, exec, s[18:19]
.LBB625_256:                            ;   in Loop: Header=BB625_215 Depth=1
	s_or_b64 exec, exec, s[16:17]
.LBB625_257:                            ;   in Loop: Header=BB625_215 Depth=1
	s_or_b64 exec, exec, s[14:15]
	v_cmp_lt_u32_e32 vcc, s22, v34
	s_and_saveexec_b64 s[14:15], vcc
	s_cbranch_execz .LBB625_263
; %bb.258:                              ;   in Loop: Header=BB625_215 Depth=1
	v_lshrrev_b32_e32 v36, 24, v34
	v_cmp_ne_u32_e32 vcc, s9, v36
	v_bfrev_b32_e32 v60, 1
	s_and_saveexec_b64 s[16:17], vcc
	s_cbranch_execz .LBB625_262
; %bb.259:                              ;   in Loop: Header=BB625_215 Depth=1
	v_bfe_u32 v34, v34, 24, 7
	v_cmp_ne_u32_e32 vcc, s21, v34
	v_mov_b32_e32 v60, 0x7f800001
	s_and_saveexec_b64 s[18:19], vcc
	s_cbranch_execz .LBB625_261
; %bb.260:                              ;   in Loop: Header=BB625_215 Depth=1
	v_and_b32_e32 v62, 7, v36
	v_ffbh_u32_e32 v60, v62
	v_min_u32_e32 v64, 32, v60
	v_subrev_u32_e32 v60, 28, v64
	v_lshlrev_b64 v[60:61], v60, v[36:37]
	v_lshrrev_b32_e32 v63, 3, v34
	v_sub_u32_e32 v61, 29, v64
	v_and_b32_e32 v60, 7, v60
	v_cmp_gt_u32_e32 vcc, 8, v34
	v_cndmask_b32_e32 v34, v63, v61, vcc
	v_cndmask_b32_e32 v60, v62, v60, vcc
	v_lshlrev_b32_e32 v36, 24, v36
	v_lshlrev_b32_e32 v60, 20, v60
	v_and_b32_e32 v36, 0x80000000, v36
	v_lshl_add_u32 v34, v34, 23, v56
	v_or3_b32 v60, v36, v34, v60
.LBB625_261:                            ;   in Loop: Header=BB625_215 Depth=1
	s_or_b64 exec, exec, s[18:19]
.LBB625_262:                            ;   in Loop: Header=BB625_215 Depth=1
	s_or_b64 exec, exec, s[16:17]
.LBB625_263:                            ;   in Loop: Header=BB625_215 Depth=1
	s_or_b64 exec, exec, s[14:15]
	v_cvt_pkrtz_f16_f32 v34, v35, v37
	v_cvt_pkrtz_f16_f32 v35, v44, v57
	;; [unrolled: 1-line block ×4, first 2 shown]
	v_mov_b32_e32 v44, 0
	v_mfma_f32_16x16x16f16 v[34:37], v[34:35], v[2:3], 0
	s_waitcnt vmcnt(1)
	v_cmp_ne_u16_sdwa s[16:17], v40, v55 src0_sel:BYTE_0 src1_sel:DWORD
	v_mov_b32_e32 v58, 0
	v_mfma_f32_16x16x16f16 v[34:37], v[62:63], v[4:5], v[34:37]
	s_and_saveexec_b64 s[14:15], s[16:17]
	s_cbranch_execz .LBB625_269
; %bb.264:                              ;   in Loop: Header=BB625_215 Depth=1
	v_cmp_ne_u16_sdwa s[18:19], v40, s9 src0_sel:BYTE_0 src1_sel:DWORD
	v_bfrev_b32_e32 v58, 1
	s_and_saveexec_b64 s[16:17], s[18:19]
	s_cbranch_execz .LBB625_268
; %bb.265:                              ;   in Loop: Header=BB625_215 Depth=1
	v_and_b32_e32 v42, 0x7f, v40
	v_cmp_ne_u32_e32 vcc, s21, v42
	v_mov_b32_e32 v58, 0x7f800001
	s_and_saveexec_b64 s[18:19], vcc
	s_cbranch_execz .LBB625_267
; %bb.266:                              ;   in Loop: Header=BB625_215 Depth=1
	v_and_b32_e32 v57, 7, v40
	v_ffbh_u32_e32 v58, v57
	v_min_u32_e32 v61, 32, v58
	v_subrev_u32_e32 v58, 28, v61
	v_lshlrev_b64 v[58:59], v58, v[40:41]
	v_lshrrev_b32_e32 v60, 3, v42
	v_sub_u32_e32 v59, 29, v61
	v_and_b32_e32 v58, 7, v58
	v_cmp_gt_u32_e32 vcc, 8, v42
	v_cndmask_b32_e32 v42, v60, v59, vcc
	v_cndmask_b32_e32 v57, v57, v58, vcc
	v_lshlrev_b32_e32 v58, 24, v40
	v_lshlrev_b32_e32 v57, 20, v57
	v_and_b32_e32 v58, 0x80000000, v58
	v_lshl_add_u32 v42, v42, 23, v56
	v_or3_b32 v58, v58, v42, v57
.LBB625_267:                            ;   in Loop: Header=BB625_215 Depth=1
	s_or_b64 exec, exec, s[18:19]
.LBB625_268:                            ;   in Loop: Header=BB625_215 Depth=1
	s_or_b64 exec, exec, s[16:17]
.LBB625_269:                            ;   in Loop: Header=BB625_215 Depth=1
	s_or_b64 exec, exec, s[14:15]
	v_lshrrev_b16_e32 v42, 8, v40
	v_cmp_ne_u16_e32 vcc, 0, v42
	v_mov_b32_e32 v59, 0
	s_and_saveexec_b64 s[14:15], vcc
	s_cbranch_execz .LBB625_275
; %bb.270:                              ;   in Loop: Header=BB625_215 Depth=1
	v_cmp_ne_u16_e32 vcc, s9, v42
	v_bfrev_b32_e32 v59, 1
	s_and_saveexec_b64 s[16:17], vcc
	s_cbranch_execz .LBB625_274
; %bb.271:                              ;   in Loop: Header=BB625_215 Depth=1
	v_and_b32_e32 v57, 0x7f, v42
	v_cmp_ne_u32_e32 vcc, s21, v57
	v_mov_b32_e32 v59, 0x7f800001
	s_and_saveexec_b64 s[18:19], vcc
	s_cbranch_execz .LBB625_273
; %bb.272:                              ;   in Loop: Header=BB625_215 Depth=1
	v_and_b32_e32 v59, 7, v42
	v_ffbh_u32_e32 v60, v59
	v_min_u32_e32 v63, 32, v60
	v_subrev_u32_e32 v60, 28, v63
	v_lshlrev_b64 v[60:61], v60, v[42:43]
	v_lshrrev_b32_e32 v62, 3, v57
	v_sub_u32_e32 v42, 29, v63
	v_and_b32_e32 v60, 7, v60
	v_cmp_gt_u32_e32 vcc, 8, v57
	v_cndmask_b32_e32 v42, v62, v42, vcc
	v_cndmask_b32_e32 v57, v59, v60, vcc
	v_lshlrev_b32_e32 v59, 16, v40
	v_lshlrev_b32_e32 v57, 20, v57
	v_and_b32_e32 v59, 0x80000000, v59
	v_lshl_add_u32 v42, v42, 23, v56
	v_or3_b32 v59, v59, v42, v57
.LBB625_273:                            ;   in Loop: Header=BB625_215 Depth=1
	s_or_b64 exec, exec, s[18:19]
.LBB625_274:                            ;   in Loop: Header=BB625_215 Depth=1
	s_or_b64 exec, exec, s[16:17]
.LBB625_275:                            ;   in Loop: Header=BB625_215 Depth=1
	s_or_b64 exec, exec, s[14:15]
	v_lshrrev_b32_e32 v42, 16, v40
	v_cmp_ne_u16_sdwa s[16:17], v42, v55 src0_sel:BYTE_0 src1_sel:DWORD
	s_and_saveexec_b64 s[14:15], s[16:17]
	s_cbranch_execz .LBB625_281
; %bb.276:                              ;   in Loop: Header=BB625_215 Depth=1
	v_cmp_ne_u16_sdwa s[18:19], v42, s9 src0_sel:BYTE_0 src1_sel:DWORD
	v_bfrev_b32_e32 v44, 1
	s_and_saveexec_b64 s[16:17], s[18:19]
	s_cbranch_execz .LBB625_280
; %bb.277:                              ;   in Loop: Header=BB625_215 Depth=1
	v_bfe_u32 v57, v40, 16, 7
	v_cmp_ne_u32_e32 vcc, s21, v57
	v_mov_b32_e32 v44, 0x7f800001
	s_and_saveexec_b64 s[18:19], vcc
	s_cbranch_execz .LBB625_279
; %bb.278:                              ;   in Loop: Header=BB625_215 Depth=1
	v_and_b32_e32 v44, 7, v42
	v_ffbh_u32_e32 v60, v44
	v_min_u32_e32 v63, 32, v60
	v_subrev_u32_e32 v60, 28, v63
	v_lshlrev_b64 v[60:61], v60, v[42:43]
	v_lshrrev_b32_e32 v62, 3, v57
	v_sub_u32_e32 v61, 29, v63
	v_and_b32_e32 v60, 7, v60
	v_cmp_gt_u32_e32 vcc, 8, v57
	v_cndmask_b32_e32 v57, v62, v61, vcc
	v_cndmask_b32_e32 v44, v44, v60, vcc
	v_lshlrev_b32_e32 v42, 24, v42
	v_lshlrev_b32_e32 v44, 20, v44
	v_and_b32_e32 v42, 0x80000000, v42
	v_lshl_add_u32 v57, v57, 23, v56
	v_or3_b32 v44, v42, v57, v44
.LBB625_279:                            ;   in Loop: Header=BB625_215 Depth=1
	s_or_b64 exec, exec, s[18:19]
.LBB625_280:                            ;   in Loop: Header=BB625_215 Depth=1
	s_or_b64 exec, exec, s[16:17]
.LBB625_281:                            ;   in Loop: Header=BB625_215 Depth=1
	s_or_b64 exec, exec, s[14:15]
	v_cmp_lt_u32_e32 vcc, s22, v40
	v_mov_b32_e32 v60, 0
	v_mov_b32_e32 v61, 0
	s_and_saveexec_b64 s[14:15], vcc
	s_cbranch_execz .LBB625_287
; %bb.282:                              ;   in Loop: Header=BB625_215 Depth=1
	v_lshrrev_b32_e32 v42, 24, v40
	v_cmp_ne_u32_e32 vcc, s9, v42
	v_bfrev_b32_e32 v61, 1
	s_and_saveexec_b64 s[16:17], vcc
	s_cbranch_execz .LBB625_286
; %bb.283:                              ;   in Loop: Header=BB625_215 Depth=1
	v_bfe_u32 v40, v40, 24, 7
	v_cmp_ne_u32_e32 vcc, s21, v40
	v_mov_b32_e32 v61, 0x7f800001
	s_and_saveexec_b64 s[18:19], vcc
	s_cbranch_execz .LBB625_285
; %bb.284:                              ;   in Loop: Header=BB625_215 Depth=1
	v_and_b32_e32 v57, 7, v42
	v_ffbh_u32_e32 v62, v57
	v_min_u32_e32 v64, 32, v62
	v_subrev_u32_e32 v62, 28, v64
	v_lshlrev_b64 v[62:63], v62, v[42:43]
	v_lshrrev_b32_e32 v61, 3, v40
	v_sub_u32_e32 v63, 29, v64
	v_and_b32_e32 v62, 7, v62
	v_cmp_gt_u32_e32 vcc, 8, v40
	v_cndmask_b32_e32 v40, v61, v63, vcc
	v_cndmask_b32_e32 v57, v57, v62, vcc
	v_lshlrev_b32_e32 v42, 24, v42
	v_lshlrev_b32_e32 v57, 20, v57
	v_and_b32_e32 v42, 0x80000000, v42
	v_lshl_add_u32 v40, v40, 23, v56
	v_or3_b32 v61, v42, v40, v57
.LBB625_285:                            ;   in Loop: Header=BB625_215 Depth=1
	s_or_b64 exec, exec, s[18:19]
.LBB625_286:                            ;   in Loop: Header=BB625_215 Depth=1
	s_or_b64 exec, exec, s[16:17]
.LBB625_287:                            ;   in Loop: Header=BB625_215 Depth=1
	s_or_b64 exec, exec, s[14:15]
	s_waitcnt vmcnt(0)
	v_cmp_ne_u16_sdwa s[16:17], v38, v55 src0_sel:BYTE_0 src1_sel:DWORD
	s_and_saveexec_b64 s[14:15], s[16:17]
	s_cbranch_execz .LBB625_293
; %bb.288:                              ;   in Loop: Header=BB625_215 Depth=1
	v_cmp_ne_u16_sdwa s[18:19], v38, s9 src0_sel:BYTE_0 src1_sel:DWORD
	v_bfrev_b32_e32 v60, 1
	s_and_saveexec_b64 s[16:17], s[18:19]
	s_cbranch_execz .LBB625_292
; %bb.289:                              ;   in Loop: Header=BB625_215 Depth=1
	v_and_b32_e32 v40, 0x7f, v38
	v_cmp_ne_u32_e32 vcc, s21, v40
	v_mov_b32_e32 v60, 0x7f800001
	s_and_saveexec_b64 s[18:19], vcc
	s_cbranch_execz .LBB625_291
; %bb.290:                              ;   in Loop: Header=BB625_215 Depth=1
	v_and_b32_e32 v42, 7, v38
	v_ffbh_u32_e32 v60, v42
	v_min_u32_e32 v60, 32, v60
	v_subrev_u32_e32 v62, 28, v60
	v_lshlrev_b64 v[62:63], v62, v[38:39]
	v_lshrrev_b32_e32 v57, 3, v40
	v_sub_u32_e32 v60, 29, v60
	v_and_b32_e32 v62, 7, v62
	v_cmp_gt_u32_e32 vcc, 8, v40
	v_cndmask_b32_e32 v40, v57, v60, vcc
	v_cndmask_b32_e32 v42, v42, v62, vcc
	v_lshlrev_b32_e32 v57, 24, v38
	v_lshlrev_b32_e32 v42, 20, v42
	v_and_b32_e32 v57, 0x80000000, v57
	v_lshl_add_u32 v40, v40, 23, v56
	v_or3_b32 v60, v57, v40, v42
.LBB625_291:                            ;   in Loop: Header=BB625_215 Depth=1
	s_or_b64 exec, exec, s[18:19]
.LBB625_292:                            ;   in Loop: Header=BB625_215 Depth=1
	s_or_b64 exec, exec, s[16:17]
.LBB625_293:                            ;   in Loop: Header=BB625_215 Depth=1
	s_or_b64 exec, exec, s[14:15]
	v_lshrrev_b16_e32 v40, 8, v38
	v_cmp_ne_u16_e32 vcc, 0, v40
	v_mov_b32_e32 v62, 0
	v_mov_b32_e32 v63, 0
	s_and_saveexec_b64 s[14:15], vcc
	s_cbranch_execz .LBB625_299
; %bb.294:                              ;   in Loop: Header=BB625_215 Depth=1
	v_cmp_ne_u16_e32 vcc, s9, v40
	v_bfrev_b32_e32 v63, 1
	s_and_saveexec_b64 s[16:17], vcc
	s_cbranch_execz .LBB625_298
; %bb.295:                              ;   in Loop: Header=BB625_215 Depth=1
	v_and_b32_e32 v42, 0x7f, v40
	v_cmp_ne_u32_e32 vcc, s21, v42
	v_mov_b32_e32 v63, 0x7f800001
	s_and_saveexec_b64 s[18:19], vcc
	s_cbranch_execz .LBB625_297
; %bb.296:                              ;   in Loop: Header=BB625_215 Depth=1
	v_and_b32_e32 v57, 7, v40
	v_ffbh_u32_e32 v64, v57
	v_min_u32_e32 v66, 32, v64
	v_subrev_u32_e32 v64, 28, v66
	v_lshlrev_b64 v[64:65], v64, v[40:41]
	v_lshrrev_b32_e32 v63, 3, v42
	v_sub_u32_e32 v40, 29, v66
	v_and_b32_e32 v64, 7, v64
	v_cmp_gt_u32_e32 vcc, 8, v42
	v_cndmask_b32_e32 v40, v63, v40, vcc
	v_cndmask_b32_e32 v42, v57, v64, vcc
	v_lshlrev_b32_e32 v57, 16, v38
	v_lshlrev_b32_e32 v42, 20, v42
	v_and_b32_e32 v57, 0x80000000, v57
	v_lshl_add_u32 v40, v40, 23, v56
	v_or3_b32 v63, v57, v40, v42
.LBB625_297:                            ;   in Loop: Header=BB625_215 Depth=1
	s_or_b64 exec, exec, s[18:19]
.LBB625_298:                            ;   in Loop: Header=BB625_215 Depth=1
	s_or_b64 exec, exec, s[16:17]
.LBB625_299:                            ;   in Loop: Header=BB625_215 Depth=1
	s_or_b64 exec, exec, s[14:15]
	v_lshrrev_b32_e32 v40, 16, v38
	v_cmp_ne_u16_sdwa s[16:17], v40, v55 src0_sel:BYTE_0 src1_sel:DWORD
	s_and_saveexec_b64 s[14:15], s[16:17]
	s_cbranch_execz .LBB625_305
; %bb.300:                              ;   in Loop: Header=BB625_215 Depth=1
	v_cmp_ne_u16_sdwa s[18:19], v40, s9 src0_sel:BYTE_0 src1_sel:DWORD
	v_bfrev_b32_e32 v62, 1
	s_and_saveexec_b64 s[16:17], s[18:19]
	s_cbranch_execz .LBB625_304
; %bb.301:                              ;   in Loop: Header=BB625_215 Depth=1
	v_bfe_u32 v42, v38, 16, 7
	v_cmp_ne_u32_e32 vcc, s21, v42
	v_mov_b32_e32 v62, 0x7f800001
	s_and_saveexec_b64 s[18:19], vcc
	s_cbranch_execz .LBB625_303
; %bb.302:                              ;   in Loop: Header=BB625_215 Depth=1
	v_and_b32_e32 v57, 7, v40
	v_ffbh_u32_e32 v64, v57
	v_min_u32_e32 v66, 32, v64
	v_subrev_u32_e32 v64, 28, v66
	v_lshlrev_b64 v[64:65], v64, v[40:41]
	v_lshrrev_b32_e32 v62, 3, v42
	v_sub_u32_e32 v65, 29, v66
	v_and_b32_e32 v64, 7, v64
	v_cmp_gt_u32_e32 vcc, 8, v42
	v_cndmask_b32_e32 v42, v62, v65, vcc
	v_cndmask_b32_e32 v57, v57, v64, vcc
	v_lshlrev_b32_e32 v40, 24, v40
	v_lshlrev_b32_e32 v57, 20, v57
	v_and_b32_e32 v40, 0x80000000, v40
	v_lshl_add_u32 v42, v42, 23, v56
	v_or3_b32 v62, v40, v42, v57
.LBB625_303:                            ;   in Loop: Header=BB625_215 Depth=1
	s_or_b64 exec, exec, s[18:19]
.LBB625_304:                            ;   in Loop: Header=BB625_215 Depth=1
	s_or_b64 exec, exec, s[16:17]
.LBB625_305:                            ;   in Loop: Header=BB625_215 Depth=1
	s_or_b64 exec, exec, s[14:15]
	v_cmp_lt_u32_e32 vcc, s22, v38
	v_mov_b32_e32 v57, 0
	v_mov_b32_e32 v64, 0
	s_and_saveexec_b64 s[14:15], vcc
	s_cbranch_execz .LBB625_311
; %bb.306:                              ;   in Loop: Header=BB625_215 Depth=1
	v_lshrrev_b32_e32 v40, 24, v38
	v_cmp_ne_u32_e32 vcc, s9, v40
	v_bfrev_b32_e32 v64, 1
	s_and_saveexec_b64 s[16:17], vcc
	s_cbranch_execz .LBB625_310
; %bb.307:                              ;   in Loop: Header=BB625_215 Depth=1
	v_bfe_u32 v38, v38, 24, 7
	v_cmp_ne_u32_e32 vcc, s21, v38
	v_mov_b32_e32 v64, 0x7f800001
	s_and_saveexec_b64 s[18:19], vcc
	s_cbranch_execz .LBB625_309
; %bb.308:                              ;   in Loop: Header=BB625_215 Depth=1
	v_and_b32_e32 v42, 7, v40
	v_ffbh_u32_e32 v64, v42
	v_min_u32_e32 v67, 32, v64
	v_subrev_u32_e32 v64, 28, v67
	v_lshlrev_b64 v[64:65], v64, v[40:41]
	v_lshrrev_b32_e32 v66, 3, v38
	v_sub_u32_e32 v65, 29, v67
	v_and_b32_e32 v64, 7, v64
	v_cmp_gt_u32_e32 vcc, 8, v38
	v_cndmask_b32_e32 v38, v66, v65, vcc
	v_cndmask_b32_e32 v42, v42, v64, vcc
	v_lshlrev_b32_e32 v40, 24, v40
	v_lshlrev_b32_e32 v42, 20, v42
	v_and_b32_e32 v40, 0x80000000, v40
	v_lshl_add_u32 v38, v38, 23, v56
	v_or3_b32 v64, v40, v38, v42
.LBB625_309:                            ;   in Loop: Header=BB625_215 Depth=1
	s_or_b64 exec, exec, s[18:19]
.LBB625_310:                            ;   in Loop: Header=BB625_215 Depth=1
	s_or_b64 exec, exec, s[16:17]
.LBB625_311:                            ;   in Loop: Header=BB625_215 Depth=1
	s_or_b64 exec, exec, s[14:15]
	v_cvt_pkrtz_f16_f32 v58, v58, v59
	v_cvt_pkrtz_f16_f32 v59, v44, v61
	buffer_load_dword v44, v46, s[0:3], 0 offen
	buffer_load_dword v42, v46, s[0:3], 0 offen offset:4
	buffer_load_dword v40, v46, s[0:3], 0 offen offset:8
	;; [unrolled: 1-line block ×3, first 2 shown]
	v_mfma_f32_16x16x16f16 v[34:37], v[58:59], v[6:7], v[34:37]
	v_cvt_pkrtz_f16_f32 v58, v60, v63
	v_cvt_pkrtz_f16_f32 v59, v62, v64
	s_waitcnt vmcnt(3)
	v_cmp_ne_u16_sdwa s[16:17], v44, v55 src0_sel:BYTE_0 src1_sel:DWORD
	v_mfma_f32_16x16x16f16 v[34:37], v[58:59], v[8:9], v[34:37]
	s_and_saveexec_b64 s[14:15], s[16:17]
	s_cbranch_execz .LBB625_317
; %bb.312:                              ;   in Loop: Header=BB625_215 Depth=1
	v_cmp_ne_u16_sdwa s[18:19], v44, s9 src0_sel:BYTE_0 src1_sel:DWORD
	v_bfrev_b32_e32 v57, 1
	s_and_saveexec_b64 s[16:17], s[18:19]
	s_cbranch_execz .LBB625_316
; %bb.313:                              ;   in Loop: Header=BB625_215 Depth=1
	v_and_b32_e32 v46, 0x7f, v44
	v_cmp_ne_u32_e32 vcc, s21, v46
	v_mov_b32_e32 v57, 0x7f800001
	s_and_saveexec_b64 s[18:19], vcc
	s_cbranch_execz .LBB625_315
; %bb.314:                              ;   in Loop: Header=BB625_215 Depth=1
	v_and_b32_e32 v57, 7, v44
	v_ffbh_u32_e32 v58, v57
	v_min_u32_e32 v61, 32, v58
	v_subrev_u32_e32 v58, 28, v61
	v_lshlrev_b64 v[58:59], v58, v[44:45]
	v_lshrrev_b32_e32 v60, 3, v46
	v_sub_u32_e32 v59, 29, v61
	v_and_b32_e32 v58, 7, v58
	v_cmp_gt_u32_e32 vcc, 8, v46
	v_cndmask_b32_e32 v46, v60, v59, vcc
	v_cndmask_b32_e32 v57, v57, v58, vcc
	v_lshlrev_b32_e32 v58, 24, v44
	v_lshlrev_b32_e32 v57, 20, v57
	v_and_b32_e32 v58, 0x80000000, v58
	v_lshl_add_u32 v46, v46, 23, v56
	v_or3_b32 v57, v58, v46, v57
.LBB625_315:                            ;   in Loop: Header=BB625_215 Depth=1
	s_or_b64 exec, exec, s[18:19]
.LBB625_316:                            ;   in Loop: Header=BB625_215 Depth=1
	s_or_b64 exec, exec, s[16:17]
.LBB625_317:                            ;   in Loop: Header=BB625_215 Depth=1
	s_or_b64 exec, exec, s[14:15]
	v_lshrrev_b16_e32 v46, 8, v44
	v_cmp_ne_u16_e32 vcc, 0, v46
	v_mov_b32_e32 v58, 0
	v_mov_b32_e32 v59, 0
	s_and_saveexec_b64 s[14:15], vcc
	s_cbranch_execz .LBB625_323
; %bb.318:                              ;   in Loop: Header=BB625_215 Depth=1
	v_cmp_ne_u16_e32 vcc, s9, v46
	v_bfrev_b32_e32 v59, 1
	s_and_saveexec_b64 s[16:17], vcc
	s_cbranch_execz .LBB625_322
; %bb.319:                              ;   in Loop: Header=BB625_215 Depth=1
	v_and_b32_e32 v60, 0x7f, v46
	v_cmp_ne_u32_e32 vcc, s21, v60
	v_mov_b32_e32 v59, 0x7f800001
	s_and_saveexec_b64 s[18:19], vcc
	s_cbranch_execz .LBB625_321
; %bb.320:                              ;   in Loop: Header=BB625_215 Depth=1
	v_and_b32_e32 v59, 7, v46
	v_ffbh_u32_e32 v62, v59
	v_min_u32_e32 v64, 32, v62
	v_subrev_u32_e32 v62, 28, v64
	v_lshlrev_b64 v[62:63], v62, v[46:47]
	v_lshrrev_b32_e32 v61, 3, v60
	v_sub_u32_e32 v46, 29, v64
	v_and_b32_e32 v62, 7, v62
	v_cmp_gt_u32_e32 vcc, 8, v60
	v_cndmask_b32_e32 v46, v61, v46, vcc
	v_cndmask_b32_e32 v59, v59, v62, vcc
	v_lshlrev_b32_e32 v60, 16, v44
	v_lshlrev_b32_e32 v59, 20, v59
	v_and_b32_e32 v60, 0x80000000, v60
	v_lshl_add_u32 v46, v46, 23, v56
	v_or3_b32 v59, v60, v46, v59
.LBB625_321:                            ;   in Loop: Header=BB625_215 Depth=1
	s_or_b64 exec, exec, s[18:19]
.LBB625_322:                            ;   in Loop: Header=BB625_215 Depth=1
	s_or_b64 exec, exec, s[16:17]
.LBB625_323:                            ;   in Loop: Header=BB625_215 Depth=1
	s_or_b64 exec, exec, s[14:15]
	v_lshrrev_b32_e32 v46, 16, v44
	v_cmp_ne_u16_sdwa s[16:17], v46, v55 src0_sel:BYTE_0 src1_sel:DWORD
	s_and_saveexec_b64 s[14:15], s[16:17]
	s_cbranch_execz .LBB625_329
; %bb.324:                              ;   in Loop: Header=BB625_215 Depth=1
	v_cmp_ne_u16_sdwa s[18:19], v46, s9 src0_sel:BYTE_0 src1_sel:DWORD
	v_bfrev_b32_e32 v58, 1
	s_and_saveexec_b64 s[16:17], s[18:19]
	s_cbranch_execz .LBB625_328
; %bb.325:                              ;   in Loop: Header=BB625_215 Depth=1
	v_bfe_u32 v60, v44, 16, 7
	v_cmp_ne_u32_e32 vcc, s21, v60
	v_mov_b32_e32 v58, 0x7f800001
	s_and_saveexec_b64 s[18:19], vcc
	s_cbranch_execz .LBB625_327
; %bb.326:                              ;   in Loop: Header=BB625_215 Depth=1
	v_and_b32_e32 v58, 7, v46
	v_ffbh_u32_e32 v62, v58
	v_min_u32_e32 v64, 32, v62
	v_subrev_u32_e32 v62, 28, v64
	v_lshlrev_b64 v[62:63], v62, v[46:47]
	v_lshrrev_b32_e32 v61, 3, v60
	v_sub_u32_e32 v63, 29, v64
	v_and_b32_e32 v62, 7, v62
	v_cmp_gt_u32_e32 vcc, 8, v60
	v_cndmask_b32_e32 v60, v61, v63, vcc
	v_cndmask_b32_e32 v58, v58, v62, vcc
	v_lshlrev_b32_e32 v46, 24, v46
	v_lshlrev_b32_e32 v58, 20, v58
	v_and_b32_e32 v46, 0x80000000, v46
	v_lshl_add_u32 v60, v60, 23, v56
	v_or3_b32 v58, v46, v60, v58
.LBB625_327:                            ;   in Loop: Header=BB625_215 Depth=1
	s_or_b64 exec, exec, s[18:19]
.LBB625_328:                            ;   in Loop: Header=BB625_215 Depth=1
	s_or_b64 exec, exec, s[16:17]
.LBB625_329:                            ;   in Loop: Header=BB625_215 Depth=1
	s_or_b64 exec, exec, s[14:15]
	v_cmp_lt_u32_e32 vcc, s22, v44
	v_mov_b32_e32 v60, 0
	v_mov_b32_e32 v61, 0
	s_and_saveexec_b64 s[14:15], vcc
	s_cbranch_execz .LBB625_335
; %bb.330:                              ;   in Loop: Header=BB625_215 Depth=1
	v_lshrrev_b32_e32 v46, 24, v44
	v_cmp_ne_u32_e32 vcc, s9, v46
	v_bfrev_b32_e32 v61, 1
	s_and_saveexec_b64 s[16:17], vcc
	s_cbranch_execz .LBB625_334
; %bb.331:                              ;   in Loop: Header=BB625_215 Depth=1
	v_bfe_u32 v44, v44, 24, 7
	v_cmp_ne_u32_e32 vcc, s21, v44
	v_mov_b32_e32 v61, 0x7f800001
	s_and_saveexec_b64 s[18:19], vcc
	s_cbranch_execz .LBB625_333
; %bb.332:                              ;   in Loop: Header=BB625_215 Depth=1
	v_and_b32_e32 v61, 7, v46
	v_ffbh_u32_e32 v62, v61
	v_min_u32_e32 v65, 32, v62
	v_subrev_u32_e32 v62, 28, v65
	v_lshlrev_b64 v[62:63], v62, v[46:47]
	v_lshrrev_b32_e32 v64, 3, v44
	v_sub_u32_e32 v63, 29, v65
	v_and_b32_e32 v62, 7, v62
	v_cmp_gt_u32_e32 vcc, 8, v44
	v_cndmask_b32_e32 v44, v64, v63, vcc
	v_cndmask_b32_e32 v61, v61, v62, vcc
	v_lshlrev_b32_e32 v46, 24, v46
	v_lshlrev_b32_e32 v61, 20, v61
	v_and_b32_e32 v46, 0x80000000, v46
	v_lshl_add_u32 v44, v44, 23, v56
	v_or3_b32 v61, v46, v44, v61
.LBB625_333:                            ;   in Loop: Header=BB625_215 Depth=1
	s_or_b64 exec, exec, s[18:19]
.LBB625_334:                            ;   in Loop: Header=BB625_215 Depth=1
	s_or_b64 exec, exec, s[16:17]
.LBB625_335:                            ;   in Loop: Header=BB625_215 Depth=1
	s_or_b64 exec, exec, s[14:15]
	s_waitcnt vmcnt(2)
	v_cmp_ne_u16_sdwa s[16:17], v42, v55 src0_sel:BYTE_0 src1_sel:DWORD
	s_and_saveexec_b64 s[14:15], s[16:17]
	s_cbranch_execz .LBB625_341
; %bb.336:                              ;   in Loop: Header=BB625_215 Depth=1
	v_cmp_ne_u16_sdwa s[18:19], v42, s9 src0_sel:BYTE_0 src1_sel:DWORD
	v_bfrev_b32_e32 v60, 1
	s_and_saveexec_b64 s[16:17], s[18:19]
	s_cbranch_execz .LBB625_340
; %bb.337:                              ;   in Loop: Header=BB625_215 Depth=1
	v_and_b32_e32 v44, 0x7f, v42
	v_cmp_ne_u32_e32 vcc, s21, v44
	v_mov_b32_e32 v60, 0x7f800001
	s_and_saveexec_b64 s[18:19], vcc
	s_cbranch_execz .LBB625_339
; %bb.338:                              ;   in Loop: Header=BB625_215 Depth=1
	v_and_b32_e32 v46, 7, v42
	v_ffbh_u32_e32 v62, v46
	v_min_u32_e32 v64, 32, v62
	v_subrev_u32_e32 v62, 28, v64
	v_lshlrev_b64 v[62:63], v62, v[42:43]
	v_lshrrev_b32_e32 v60, 3, v44
	v_sub_u32_e32 v63, 29, v64
	v_and_b32_e32 v62, 7, v62
	v_cmp_gt_u32_e32 vcc, 8, v44
	v_cndmask_b32_e32 v44, v60, v63, vcc
	v_cndmask_b32_e32 v46, v46, v62, vcc
	v_lshlrev_b32_e32 v60, 24, v42
	v_lshlrev_b32_e32 v46, 20, v46
	v_and_b32_e32 v60, 0x80000000, v60
	v_lshl_add_u32 v44, v44, 23, v56
	v_or3_b32 v60, v60, v44, v46
.LBB625_339:                            ;   in Loop: Header=BB625_215 Depth=1
	s_or_b64 exec, exec, s[18:19]
.LBB625_340:                            ;   in Loop: Header=BB625_215 Depth=1
	s_or_b64 exec, exec, s[16:17]
.LBB625_341:                            ;   in Loop: Header=BB625_215 Depth=1
	s_or_b64 exec, exec, s[14:15]
	v_lshrrev_b16_e32 v44, 8, v42
	v_cmp_ne_u16_e32 vcc, 0, v44
	v_mov_b32_e32 v62, 0
	v_mov_b32_e32 v63, 0
	s_and_saveexec_b64 s[14:15], vcc
	s_cbranch_execz .LBB625_347
; %bb.342:                              ;   in Loop: Header=BB625_215 Depth=1
	v_cmp_ne_u16_e32 vcc, s9, v44
	v_bfrev_b32_e32 v63, 1
	s_and_saveexec_b64 s[16:17], vcc
	s_cbranch_execz .LBB625_346
; %bb.343:                              ;   in Loop: Header=BB625_215 Depth=1
	v_and_b32_e32 v46, 0x7f, v44
	v_cmp_ne_u32_e32 vcc, s21, v46
	v_mov_b32_e32 v63, 0x7f800001
	s_and_saveexec_b64 s[18:19], vcc
	s_cbranch_execz .LBB625_345
; %bb.344:                              ;   in Loop: Header=BB625_215 Depth=1
	v_and_b32_e32 v63, 7, v44
	v_ffbh_u32_e32 v64, v63
	v_min_u32_e32 v67, 32, v64
	v_subrev_u32_e32 v64, 28, v67
	v_lshlrev_b64 v[64:65], v64, v[44:45]
	v_lshrrev_b32_e32 v66, 3, v46
	v_sub_u32_e32 v44, 29, v67
	v_and_b32_e32 v64, 7, v64
	v_cmp_gt_u32_e32 vcc, 8, v46
	v_cndmask_b32_e32 v44, v66, v44, vcc
	v_cndmask_b32_e32 v46, v63, v64, vcc
	v_lshlrev_b32_e32 v63, 16, v42
	v_lshlrev_b32_e32 v46, 20, v46
	v_and_b32_e32 v63, 0x80000000, v63
	v_lshl_add_u32 v44, v44, 23, v56
	v_or3_b32 v63, v63, v44, v46
.LBB625_345:                            ;   in Loop: Header=BB625_215 Depth=1
	s_or_b64 exec, exec, s[18:19]
.LBB625_346:                            ;   in Loop: Header=BB625_215 Depth=1
	s_or_b64 exec, exec, s[16:17]
.LBB625_347:                            ;   in Loop: Header=BB625_215 Depth=1
	s_or_b64 exec, exec, s[14:15]
	v_lshrrev_b32_e32 v44, 16, v42
	v_cmp_ne_u16_sdwa s[16:17], v44, v55 src0_sel:BYTE_0 src1_sel:DWORD
	s_and_saveexec_b64 s[14:15], s[16:17]
	s_cbranch_execz .LBB625_353
; %bb.348:                              ;   in Loop: Header=BB625_215 Depth=1
	v_cmp_ne_u16_sdwa s[18:19], v44, s9 src0_sel:BYTE_0 src1_sel:DWORD
	v_bfrev_b32_e32 v62, 1
	s_and_saveexec_b64 s[16:17], s[18:19]
	s_cbranch_execz .LBB625_352
; %bb.349:                              ;   in Loop: Header=BB625_215 Depth=1
	v_bfe_u32 v46, v42, 16, 7
	v_cmp_ne_u32_e32 vcc, s21, v46
	v_mov_b32_e32 v62, 0x7f800001
	s_and_saveexec_b64 s[18:19], vcc
	s_cbranch_execz .LBB625_351
; %bb.350:                              ;   in Loop: Header=BB625_215 Depth=1
	v_and_b32_e32 v62, 7, v44
	v_ffbh_u32_e32 v64, v62
	v_min_u32_e32 v67, 32, v64
	v_subrev_u32_e32 v64, 28, v67
	v_lshlrev_b64 v[64:65], v64, v[44:45]
	v_lshrrev_b32_e32 v66, 3, v46
	v_sub_u32_e32 v65, 29, v67
	v_and_b32_e32 v64, 7, v64
	v_cmp_gt_u32_e32 vcc, 8, v46
	v_cndmask_b32_e32 v46, v66, v65, vcc
	v_cndmask_b32_e32 v62, v62, v64, vcc
	v_lshlrev_b32_e32 v44, 24, v44
	v_lshlrev_b32_e32 v62, 20, v62
	v_and_b32_e32 v44, 0x80000000, v44
	v_lshl_add_u32 v46, v46, 23, v56
	v_or3_b32 v62, v44, v46, v62
.LBB625_351:                            ;   in Loop: Header=BB625_215 Depth=1
	s_or_b64 exec, exec, s[18:19]
.LBB625_352:                            ;   in Loop: Header=BB625_215 Depth=1
	s_or_b64 exec, exec, s[16:17]
.LBB625_353:                            ;   in Loop: Header=BB625_215 Depth=1
	s_or_b64 exec, exec, s[14:15]
	v_cmp_lt_u32_e32 vcc, s22, v42
	v_mov_b32_e32 v46, 0
	v_mov_b32_e32 v64, 0
	s_and_saveexec_b64 s[14:15], vcc
	s_cbranch_execz .LBB625_359
; %bb.354:                              ;   in Loop: Header=BB625_215 Depth=1
	v_lshrrev_b32_e32 v44, 24, v42
	v_cmp_ne_u32_e32 vcc, s9, v44
	v_bfrev_b32_e32 v64, 1
	s_and_saveexec_b64 s[16:17], vcc
	s_cbranch_execz .LBB625_358
; %bb.355:                              ;   in Loop: Header=BB625_215 Depth=1
	v_bfe_u32 v42, v42, 24, 7
	v_cmp_ne_u32_e32 vcc, s21, v42
	v_mov_b32_e32 v64, 0x7f800001
	s_and_saveexec_b64 s[18:19], vcc
	s_cbranch_execz .LBB625_357
; %bb.356:                              ;   in Loop: Header=BB625_215 Depth=1
	v_and_b32_e32 v66, 7, v44
	v_ffbh_u32_e32 v64, v66
	v_min_u32_e32 v68, 32, v64
	v_subrev_u32_e32 v64, 28, v68
	v_lshlrev_b64 v[64:65], v64, v[44:45]
	v_lshrrev_b32_e32 v67, 3, v42
	v_sub_u32_e32 v65, 29, v68
	v_and_b32_e32 v64, 7, v64
	v_cmp_gt_u32_e32 vcc, 8, v42
	v_cndmask_b32_e32 v42, v67, v65, vcc
	v_cndmask_b32_e32 v64, v66, v64, vcc
	v_lshlrev_b32_e32 v44, 24, v44
	v_lshlrev_b32_e32 v64, 20, v64
	v_and_b32_e32 v44, 0x80000000, v44
	v_lshl_add_u32 v42, v42, 23, v56
	v_or3_b32 v64, v44, v42, v64
.LBB625_357:                            ;   in Loop: Header=BB625_215 Depth=1
	s_or_b64 exec, exec, s[18:19]
.LBB625_358:                            ;   in Loop: Header=BB625_215 Depth=1
	s_or_b64 exec, exec, s[16:17]
.LBB625_359:                            ;   in Loop: Header=BB625_215 Depth=1
	s_or_b64 exec, exec, s[14:15]
	v_cvt_pkrtz_f16_f32 v66, v57, v59
	v_cvt_pkrtz_f16_f32 v67, v58, v61
	;; [unrolled: 1-line block ×4, first 2 shown]
	s_waitcnt vmcnt(1)
	v_cmp_ne_u16_sdwa s[16:17], v40, v55 src0_sel:BYTE_0 src1_sel:DWORD
	v_mfma_f32_16x16x16f16 v[34:37], v[66:67], v[10:11], v[34:37]
	v_mfma_f32_16x16x16f16 v[34:37], v[58:59], v[12:13], v[34:37]
	s_and_saveexec_b64 s[14:15], s[16:17]
	s_cbranch_execz .LBB625_365
; %bb.360:                              ;   in Loop: Header=BB625_215 Depth=1
	v_cmp_ne_u16_sdwa s[18:19], v40, s9 src0_sel:BYTE_0 src1_sel:DWORD
	v_bfrev_b32_e32 v46, 1
	s_and_saveexec_b64 s[16:17], s[18:19]
	s_cbranch_execz .LBB625_364
; %bb.361:                              ;   in Loop: Header=BB625_215 Depth=1
	v_and_b32_e32 v42, 0x7f, v40
	v_cmp_ne_u32_e32 vcc, s21, v42
	v_mov_b32_e32 v46, 0x7f800001
	s_and_saveexec_b64 s[18:19], vcc
	s_cbranch_execz .LBB625_363
; %bb.362:                              ;   in Loop: Header=BB625_215 Depth=1
	v_and_b32_e32 v44, 7, v40
	v_ffbh_u32_e32 v57, v44
	v_min_u32_e32 v57, 32, v57
	v_subrev_u32_e32 v58, 28, v57
	v_lshlrev_b64 v[58:59], v58, v[40:41]
	v_lshrrev_b32_e32 v46, 3, v42
	v_sub_u32_e32 v57, 29, v57
	v_and_b32_e32 v58, 7, v58
	v_cmp_gt_u32_e32 vcc, 8, v42
	v_cndmask_b32_e32 v42, v46, v57, vcc
	v_cndmask_b32_e32 v44, v44, v58, vcc
	v_lshlrev_b32_e32 v46, 24, v40
	v_lshlrev_b32_e32 v44, 20, v44
	v_and_b32_e32 v46, 0x80000000, v46
	v_lshl_add_u32 v42, v42, 23, v56
	v_or3_b32 v46, v46, v42, v44
.LBB625_363:                            ;   in Loop: Header=BB625_215 Depth=1
	s_or_b64 exec, exec, s[18:19]
.LBB625_364:                            ;   in Loop: Header=BB625_215 Depth=1
	s_or_b64 exec, exec, s[16:17]
.LBB625_365:                            ;   in Loop: Header=BB625_215 Depth=1
	s_or_b64 exec, exec, s[14:15]
	v_lshrrev_b16_e32 v42, 8, v40
	v_cmp_ne_u16_e32 vcc, 0, v42
	v_mov_b32_e32 v44, 0
	v_mov_b32_e32 v58, 0
	s_and_saveexec_b64 s[14:15], vcc
	s_cbranch_execz .LBB625_371
; %bb.366:                              ;   in Loop: Header=BB625_215 Depth=1
	v_cmp_ne_u16_e32 vcc, s9, v42
	v_bfrev_b32_e32 v58, 1
	s_and_saveexec_b64 s[16:17], vcc
	s_cbranch_execz .LBB625_370
; %bb.367:                              ;   in Loop: Header=BB625_215 Depth=1
	v_and_b32_e32 v57, 0x7f, v42
	v_cmp_ne_u32_e32 vcc, s21, v57
	v_mov_b32_e32 v58, 0x7f800001
	s_and_saveexec_b64 s[18:19], vcc
	s_cbranch_execz .LBB625_369
; %bb.368:                              ;   in Loop: Header=BB625_215 Depth=1
	v_and_b32_e32 v60, 7, v42
	v_ffbh_u32_e32 v58, v60
	v_min_u32_e32 v62, 32, v58
	v_subrev_u32_e32 v58, 28, v62
	v_lshlrev_b64 v[58:59], v58, v[42:43]
	v_lshrrev_b32_e32 v61, 3, v57
	v_sub_u32_e32 v42, 29, v62
	v_and_b32_e32 v58, 7, v58
	v_cmp_gt_u32_e32 vcc, 8, v57
	v_cndmask_b32_e32 v42, v61, v42, vcc
	v_cndmask_b32_e32 v57, v60, v58, vcc
	v_lshlrev_b32_e32 v58, 16, v40
	v_lshlrev_b32_e32 v57, 20, v57
	v_and_b32_e32 v58, 0x80000000, v58
	v_lshl_add_u32 v42, v42, 23, v56
	v_or3_b32 v58, v58, v42, v57
.LBB625_369:                            ;   in Loop: Header=BB625_215 Depth=1
	s_or_b64 exec, exec, s[18:19]
.LBB625_370:                            ;   in Loop: Header=BB625_215 Depth=1
	s_or_b64 exec, exec, s[16:17]
.LBB625_371:                            ;   in Loop: Header=BB625_215 Depth=1
	s_or_b64 exec, exec, s[14:15]
	v_lshrrev_b32_e32 v42, 16, v40
	v_cmp_ne_u16_sdwa s[16:17], v42, v55 src0_sel:BYTE_0 src1_sel:DWORD
	s_and_saveexec_b64 s[14:15], s[16:17]
	s_cbranch_execz .LBB625_377
; %bb.372:                              ;   in Loop: Header=BB625_215 Depth=1
	v_cmp_ne_u16_sdwa s[18:19], v42, s9 src0_sel:BYTE_0 src1_sel:DWORD
	v_bfrev_b32_e32 v44, 1
	s_and_saveexec_b64 s[16:17], s[18:19]
	s_cbranch_execz .LBB625_376
; %bb.373:                              ;   in Loop: Header=BB625_215 Depth=1
	v_bfe_u32 v57, v40, 16, 7
	v_cmp_ne_u32_e32 vcc, s21, v57
	v_mov_b32_e32 v44, 0x7f800001
	s_and_saveexec_b64 s[18:19], vcc
	s_cbranch_execz .LBB625_375
; %bb.374:                              ;   in Loop: Header=BB625_215 Depth=1
	v_and_b32_e32 v44, 7, v42
	v_ffbh_u32_e32 v60, v44
	v_min_u32_e32 v62, 32, v60
	v_subrev_u32_e32 v60, 28, v62
	v_lshlrev_b64 v[60:61], v60, v[42:43]
	v_lshrrev_b32_e32 v59, 3, v57
	v_sub_u32_e32 v61, 29, v62
	v_and_b32_e32 v60, 7, v60
	v_cmp_gt_u32_e32 vcc, 8, v57
	v_cndmask_b32_e32 v57, v59, v61, vcc
	v_cndmask_b32_e32 v44, v44, v60, vcc
	v_lshlrev_b32_e32 v42, 24, v42
	v_lshlrev_b32_e32 v44, 20, v44
	v_and_b32_e32 v42, 0x80000000, v42
	v_lshl_add_u32 v57, v57, 23, v56
	v_or3_b32 v44, v42, v57, v44
.LBB625_375:                            ;   in Loop: Header=BB625_215 Depth=1
	s_or_b64 exec, exec, s[18:19]
.LBB625_376:                            ;   in Loop: Header=BB625_215 Depth=1
	s_or_b64 exec, exec, s[16:17]
.LBB625_377:                            ;   in Loop: Header=BB625_215 Depth=1
	s_or_b64 exec, exec, s[14:15]
	v_cmp_lt_u32_e32 vcc, s22, v40
	v_mov_b32_e32 v59, 0
	v_mov_b32_e32 v60, 0
	s_and_saveexec_b64 s[14:15], vcc
	s_cbranch_execz .LBB625_383
; %bb.378:                              ;   in Loop: Header=BB625_215 Depth=1
	v_lshrrev_b32_e32 v42, 24, v40
	v_cmp_ne_u32_e32 vcc, s9, v42
	v_bfrev_b32_e32 v60, 1
	s_and_saveexec_b64 s[16:17], vcc
	s_cbranch_execz .LBB625_382
; %bb.379:                              ;   in Loop: Header=BB625_215 Depth=1
	v_bfe_u32 v40, v40, 24, 7
	v_cmp_ne_u32_e32 vcc, s21, v40
	v_mov_b32_e32 v60, 0x7f800001
	s_and_saveexec_b64 s[18:19], vcc
	s_cbranch_execz .LBB625_381
; %bb.380:                              ;   in Loop: Header=BB625_215 Depth=1
	v_and_b32_e32 v57, 7, v42
	v_ffbh_u32_e32 v60, v57
	v_min_u32_e32 v63, 32, v60
	v_subrev_u32_e32 v60, 28, v63
	v_lshlrev_b64 v[60:61], v60, v[42:43]
	v_lshrrev_b32_e32 v62, 3, v40
	v_sub_u32_e32 v61, 29, v63
	v_and_b32_e32 v60, 7, v60
	v_cmp_gt_u32_e32 vcc, 8, v40
	v_cndmask_b32_e32 v40, v62, v61, vcc
	v_cndmask_b32_e32 v57, v57, v60, vcc
	v_lshlrev_b32_e32 v42, 24, v42
	v_lshlrev_b32_e32 v57, 20, v57
	v_and_b32_e32 v42, 0x80000000, v42
	v_lshl_add_u32 v40, v40, 23, v56
	v_or3_b32 v60, v42, v40, v57
.LBB625_381:                            ;   in Loop: Header=BB625_215 Depth=1
	s_or_b64 exec, exec, s[18:19]
.LBB625_382:                            ;   in Loop: Header=BB625_215 Depth=1
	s_or_b64 exec, exec, s[16:17]
.LBB625_383:                            ;   in Loop: Header=BB625_215 Depth=1
	s_or_b64 exec, exec, s[14:15]
	s_waitcnt vmcnt(0)
	v_cmp_ne_u16_sdwa s[16:17], v38, v55 src0_sel:BYTE_0 src1_sel:DWORD
	s_and_saveexec_b64 s[14:15], s[16:17]
	s_cbranch_execz .LBB625_389
; %bb.384:                              ;   in Loop: Header=BB625_215 Depth=1
	v_cmp_ne_u16_sdwa s[18:19], v38, s9 src0_sel:BYTE_0 src1_sel:DWORD
	v_bfrev_b32_e32 v59, 1
	s_and_saveexec_b64 s[16:17], s[18:19]
	s_cbranch_execz .LBB625_388
; %bb.385:                              ;   in Loop: Header=BB625_215 Depth=1
	v_and_b32_e32 v40, 0x7f, v38
	v_cmp_ne_u32_e32 vcc, s21, v40
	v_mov_b32_e32 v59, 0x7f800001
	s_and_saveexec_b64 s[18:19], vcc
	s_cbranch_execz .LBB625_387
; %bb.386:                              ;   in Loop: Header=BB625_215 Depth=1
	v_and_b32_e32 v42, 7, v38
	v_ffbh_u32_e32 v59, v42
	v_min_u32_e32 v59, 32, v59
	v_subrev_u32_e32 v61, 28, v59
	v_lshlrev_b64 v[62:63], v61, v[38:39]
	v_lshrrev_b32_e32 v57, 3, v40
	v_sub_u32_e32 v59, 29, v59
	v_and_b32_e32 v61, 7, v62
	v_cmp_gt_u32_e32 vcc, 8, v40
	v_cndmask_b32_e32 v40, v57, v59, vcc
	v_cndmask_b32_e32 v42, v42, v61, vcc
	v_lshlrev_b32_e32 v57, 24, v38
	v_lshlrev_b32_e32 v42, 20, v42
	v_and_b32_e32 v57, 0x80000000, v57
	v_lshl_add_u32 v40, v40, 23, v56
	v_or3_b32 v59, v57, v40, v42
.LBB625_387:                            ;   in Loop: Header=BB625_215 Depth=1
	s_or_b64 exec, exec, s[18:19]
.LBB625_388:                            ;   in Loop: Header=BB625_215 Depth=1
	s_or_b64 exec, exec, s[16:17]
.LBB625_389:                            ;   in Loop: Header=BB625_215 Depth=1
	s_or_b64 exec, exec, s[14:15]
	v_lshrrev_b16_e32 v40, 8, v38
	v_cmp_ne_u16_e32 vcc, 0, v40
	v_mov_b32_e32 v61, 0
	v_mov_b32_e32 v62, 0
	s_and_saveexec_b64 s[14:15], vcc
	s_cbranch_execz .LBB625_395
; %bb.390:                              ;   in Loop: Header=BB625_215 Depth=1
	v_cmp_ne_u16_e32 vcc, s9, v40
	v_bfrev_b32_e32 v62, 1
	s_and_saveexec_b64 s[16:17], vcc
	s_cbranch_execz .LBB625_394
; %bb.391:                              ;   in Loop: Header=BB625_215 Depth=1
	v_and_b32_e32 v42, 0x7f, v40
	v_cmp_ne_u32_e32 vcc, s21, v42
	v_mov_b32_e32 v62, 0x7f800001
	s_and_saveexec_b64 s[18:19], vcc
	s_cbranch_execz .LBB625_393
; %bb.392:                              ;   in Loop: Header=BB625_215 Depth=1
	v_and_b32_e32 v57, 7, v40
	v_ffbh_u32_e32 v62, v57
	v_min_u32_e32 v65, 32, v62
	v_subrev_u32_e32 v62, 28, v65
	v_lshlrev_b64 v[62:63], v62, v[40:41]
	v_lshrrev_b32_e32 v64, 3, v42
	v_sub_u32_e32 v40, 29, v65
	v_and_b32_e32 v62, 7, v62
	v_cmp_gt_u32_e32 vcc, 8, v42
	v_cndmask_b32_e32 v40, v64, v40, vcc
	v_cndmask_b32_e32 v42, v57, v62, vcc
	v_lshlrev_b32_e32 v57, 16, v38
	v_lshlrev_b32_e32 v42, 20, v42
	v_and_b32_e32 v57, 0x80000000, v57
	v_lshl_add_u32 v40, v40, 23, v56
	v_or3_b32 v62, v57, v40, v42
.LBB625_393:                            ;   in Loop: Header=BB625_215 Depth=1
	s_or_b64 exec, exec, s[18:19]
.LBB625_394:                            ;   in Loop: Header=BB625_215 Depth=1
	s_or_b64 exec, exec, s[16:17]
.LBB625_395:                            ;   in Loop: Header=BB625_215 Depth=1
	s_or_b64 exec, exec, s[14:15]
	v_lshrrev_b32_e32 v40, 16, v38
	v_cmp_ne_u16_sdwa s[16:17], v40, v55 src0_sel:BYTE_0 src1_sel:DWORD
	s_and_saveexec_b64 s[14:15], s[16:17]
	s_cbranch_execz .LBB625_401
; %bb.396:                              ;   in Loop: Header=BB625_215 Depth=1
	v_cmp_ne_u16_sdwa s[18:19], v40, s9 src0_sel:BYTE_0 src1_sel:DWORD
	v_bfrev_b32_e32 v61, 1
	s_and_saveexec_b64 s[16:17], s[18:19]
	s_cbranch_execz .LBB625_400
; %bb.397:                              ;   in Loop: Header=BB625_215 Depth=1
	v_bfe_u32 v42, v38, 16, 7
	v_cmp_ne_u32_e32 vcc, s21, v42
	v_mov_b32_e32 v61, 0x7f800001
	s_and_saveexec_b64 s[18:19], vcc
	s_cbranch_execz .LBB625_399
; %bb.398:                              ;   in Loop: Header=BB625_215 Depth=1
	v_and_b32_e32 v57, 7, v40
	v_ffbh_u32_e32 v63, v57
	v_min_u32_e32 v63, 32, v63
	v_subrev_u32_e32 v64, 28, v63
	v_lshlrev_b64 v[64:65], v64, v[40:41]
	v_lshrrev_b32_e32 v61, 3, v42
	v_sub_u32_e32 v63, 29, v63
	v_and_b32_e32 v64, 7, v64
	v_cmp_gt_u32_e32 vcc, 8, v42
	v_cndmask_b32_e32 v42, v61, v63, vcc
	v_cndmask_b32_e32 v57, v57, v64, vcc
	v_lshlrev_b32_e32 v40, 24, v40
	v_lshlrev_b32_e32 v57, 20, v57
	v_and_b32_e32 v40, 0x80000000, v40
	v_lshl_add_u32 v42, v42, 23, v56
	v_or3_b32 v61, v40, v42, v57
.LBB625_399:                            ;   in Loop: Header=BB625_215 Depth=1
	s_or_b64 exec, exec, s[18:19]
.LBB625_400:                            ;   in Loop: Header=BB625_215 Depth=1
	s_or_b64 exec, exec, s[16:17]
.LBB625_401:                            ;   in Loop: Header=BB625_215 Depth=1
	s_or_b64 exec, exec, s[14:15]
	v_cmp_lt_u32_e32 vcc, s22, v38
	v_mov_b32_e32 v57, 0
	v_mov_b32_e32 v63, 0
	s_and_saveexec_b64 s[14:15], vcc
	s_cbranch_execz .LBB625_407
; %bb.402:                              ;   in Loop: Header=BB625_215 Depth=1
	v_lshrrev_b32_e32 v40, 24, v38
	v_cmp_ne_u32_e32 vcc, s9, v40
	v_bfrev_b32_e32 v63, 1
	s_and_saveexec_b64 s[16:17], vcc
	s_cbranch_execz .LBB625_406
; %bb.403:                              ;   in Loop: Header=BB625_215 Depth=1
	v_bfe_u32 v38, v38, 24, 7
	v_cmp_ne_u32_e32 vcc, s21, v38
	v_mov_b32_e32 v63, 0x7f800001
	s_and_saveexec_b64 s[18:19], vcc
	s_cbranch_execz .LBB625_405
; %bb.404:                              ;   in Loop: Header=BB625_215 Depth=1
	v_and_b32_e32 v42, 7, v40
	v_ffbh_u32_e32 v64, v42
	v_min_u32_e32 v66, 32, v64
	v_subrev_u32_e32 v64, 28, v66
	v_lshlrev_b64 v[64:65], v64, v[40:41]
	v_lshrrev_b32_e32 v63, 3, v38
	v_sub_u32_e32 v65, 29, v66
	v_and_b32_e32 v64, 7, v64
	v_cmp_gt_u32_e32 vcc, 8, v38
	v_cndmask_b32_e32 v38, v63, v65, vcc
	v_cndmask_b32_e32 v42, v42, v64, vcc
	v_lshlrev_b32_e32 v40, 24, v40
	v_lshlrev_b32_e32 v42, 20, v42
	v_and_b32_e32 v40, 0x80000000, v40
	v_lshl_add_u32 v38, v38, 23, v56
	v_or3_b32 v63, v40, v38, v42
.LBB625_405:                            ;   in Loop: Header=BB625_215 Depth=1
	s_or_b64 exec, exec, s[18:19]
.LBB625_406:                            ;   in Loop: Header=BB625_215 Depth=1
	s_or_b64 exec, exec, s[16:17]
.LBB625_407:                            ;   in Loop: Header=BB625_215 Depth=1
	s_or_b64 exec, exec, s[14:15]
	v_cvt_pkrtz_f16_f32 v65, v44, v60
	buffer_load_dword v44, v52, s[0:3], 0 offen
	buffer_load_dword v42, v52, s[0:3], 0 offen offset:4
	buffer_load_dword v40, v52, s[0:3], 0 offen offset:8
	;; [unrolled: 1-line block ×3, first 2 shown]
	v_cvt_pkrtz_f16_f32 v64, v46, v58
	v_cvt_pkrtz_f16_f32 v58, v59, v62
	;; [unrolled: 1-line block ×3, first 2 shown]
	v_mfma_f32_16x16x16f16 v[34:37], v[64:65], v[14:15], v[34:37]
	s_waitcnt vmcnt(3)
	v_cmp_ne_u16_sdwa s[16:17], v44, v55 src0_sel:BYTE_0 src1_sel:DWORD
	v_mfma_f32_16x16x16f16 v[34:37], v[58:59], v[16:17], v[34:37]
	s_and_saveexec_b64 s[14:15], s[16:17]
	s_cbranch_execz .LBB625_413
; %bb.408:                              ;   in Loop: Header=BB625_215 Depth=1
	v_cmp_ne_u16_sdwa s[18:19], v44, s9 src0_sel:BYTE_0 src1_sel:DWORD
	v_bfrev_b32_e32 v57, 1
	s_and_saveexec_b64 s[16:17], s[18:19]
	s_cbranch_execz .LBB625_412
; %bb.409:                              ;   in Loop: Header=BB625_215 Depth=1
	v_and_b32_e32 v46, 0x7f, v44
	v_cmp_ne_u32_e32 vcc, s21, v46
	v_mov_b32_e32 v57, 0x7f800001
	s_and_saveexec_b64 s[18:19], vcc
	s_cbranch_execz .LBB625_411
; %bb.410:                              ;   in Loop: Header=BB625_215 Depth=1
	v_and_b32_e32 v52, 7, v44
	v_ffbh_u32_e32 v58, v52
	v_min_u32_e32 v60, 32, v58
	v_subrev_u32_e32 v58, 28, v60
	v_lshlrev_b64 v[58:59], v58, v[44:45]
	v_lshrrev_b32_e32 v57, 3, v46
	v_sub_u32_e32 v59, 29, v60
	v_and_b32_e32 v58, 7, v58
	v_cmp_gt_u32_e32 vcc, 8, v46
	v_cndmask_b32_e32 v46, v57, v59, vcc
	v_cndmask_b32_e32 v52, v52, v58, vcc
	v_lshlrev_b32_e32 v57, 24, v44
	v_lshlrev_b32_e32 v52, 20, v52
	v_and_b32_e32 v57, 0x80000000, v57
	v_lshl_add_u32 v46, v46, 23, v56
	v_or3_b32 v57, v57, v46, v52
.LBB625_411:                            ;   in Loop: Header=BB625_215 Depth=1
	s_or_b64 exec, exec, s[18:19]
.LBB625_412:                            ;   in Loop: Header=BB625_215 Depth=1
	s_or_b64 exec, exec, s[16:17]
.LBB625_413:                            ;   in Loop: Header=BB625_215 Depth=1
	s_or_b64 exec, exec, s[14:15]
	v_lshrrev_b16_e32 v46, 8, v44
	v_cmp_ne_u16_e32 vcc, 0, v46
	v_mov_b32_e32 v52, 0
	v_mov_b32_e32 v58, 0
	s_and_saveexec_b64 s[14:15], vcc
	s_cbranch_execz .LBB625_419
; %bb.414:                              ;   in Loop: Header=BB625_215 Depth=1
	v_cmp_ne_u16_e32 vcc, s9, v46
	v_bfrev_b32_e32 v58, 1
	s_and_saveexec_b64 s[16:17], vcc
	s_cbranch_execz .LBB625_418
; %bb.415:                              ;   in Loop: Header=BB625_215 Depth=1
	v_and_b32_e32 v59, 0x7f, v46
	v_cmp_ne_u32_e32 vcc, s21, v59
	v_mov_b32_e32 v58, 0x7f800001
	s_and_saveexec_b64 s[18:19], vcc
	s_cbranch_execz .LBB625_417
; %bb.416:                              ;   in Loop: Header=BB625_215 Depth=1
	v_and_b32_e32 v58, 7, v46
	v_ffbh_u32_e32 v60, v58
	v_min_u32_e32 v63, 32, v60
	v_subrev_u32_e32 v60, 28, v63
	v_lshlrev_b64 v[60:61], v60, v[46:47]
	v_lshrrev_b32_e32 v62, 3, v59
	v_sub_u32_e32 v46, 29, v63
	v_and_b32_e32 v60, 7, v60
	v_cmp_gt_u32_e32 vcc, 8, v59
	v_cndmask_b32_e32 v46, v62, v46, vcc
	v_cndmask_b32_e32 v58, v58, v60, vcc
	v_lshlrev_b32_e32 v59, 16, v44
	v_lshlrev_b32_e32 v58, 20, v58
	v_and_b32_e32 v59, 0x80000000, v59
	v_lshl_add_u32 v46, v46, 23, v56
	v_or3_b32 v58, v59, v46, v58
.LBB625_417:                            ;   in Loop: Header=BB625_215 Depth=1
	s_or_b64 exec, exec, s[18:19]
.LBB625_418:                            ;   in Loop: Header=BB625_215 Depth=1
	s_or_b64 exec, exec, s[16:17]
.LBB625_419:                            ;   in Loop: Header=BB625_215 Depth=1
	s_or_b64 exec, exec, s[14:15]
	v_lshrrev_b32_e32 v46, 16, v44
	v_cmp_ne_u16_sdwa s[16:17], v46, v55 src0_sel:BYTE_0 src1_sel:DWORD
	s_and_saveexec_b64 s[14:15], s[16:17]
	s_cbranch_execz .LBB625_425
; %bb.420:                              ;   in Loop: Header=BB625_215 Depth=1
	v_cmp_ne_u16_sdwa s[18:19], v46, s9 src0_sel:BYTE_0 src1_sel:DWORD
	v_bfrev_b32_e32 v52, 1
	s_and_saveexec_b64 s[16:17], s[18:19]
	s_cbranch_execz .LBB625_424
; %bb.421:                              ;   in Loop: Header=BB625_215 Depth=1
	v_bfe_u32 v59, v44, 16, 7
	v_cmp_ne_u32_e32 vcc, s21, v59
	v_mov_b32_e32 v52, 0x7f800001
	s_and_saveexec_b64 s[18:19], vcc
	s_cbranch_execz .LBB625_423
; %bb.422:                              ;   in Loop: Header=BB625_215 Depth=1
	v_and_b32_e32 v52, 7, v46
	v_ffbh_u32_e32 v60, v52
	v_min_u32_e32 v63, 32, v60
	v_subrev_u32_e32 v60, 28, v63
	v_lshlrev_b64 v[60:61], v60, v[46:47]
	v_lshrrev_b32_e32 v62, 3, v59
	v_sub_u32_e32 v61, 29, v63
	v_and_b32_e32 v60, 7, v60
	v_cmp_gt_u32_e32 vcc, 8, v59
	v_cndmask_b32_e32 v59, v62, v61, vcc
	v_cndmask_b32_e32 v52, v52, v60, vcc
	v_lshlrev_b32_e32 v46, 24, v46
	v_lshlrev_b32_e32 v52, 20, v52
	v_and_b32_e32 v46, 0x80000000, v46
	v_lshl_add_u32 v59, v59, 23, v56
	v_or3_b32 v52, v46, v59, v52
.LBB625_423:                            ;   in Loop: Header=BB625_215 Depth=1
	s_or_b64 exec, exec, s[18:19]
.LBB625_424:                            ;   in Loop: Header=BB625_215 Depth=1
	s_or_b64 exec, exec, s[16:17]
.LBB625_425:                            ;   in Loop: Header=BB625_215 Depth=1
	s_or_b64 exec, exec, s[14:15]
	v_cmp_lt_u32_e32 vcc, s22, v44
	v_mov_b32_e32 v59, 0
	v_mov_b32_e32 v60, 0
	s_and_saveexec_b64 s[14:15], vcc
	s_cbranch_execz .LBB625_431
; %bb.426:                              ;   in Loop: Header=BB625_215 Depth=1
	v_lshrrev_b32_e32 v46, 24, v44
	v_cmp_ne_u32_e32 vcc, s9, v46
	v_bfrev_b32_e32 v60, 1
	s_and_saveexec_b64 s[16:17], vcc
	s_cbranch_execz .LBB625_430
; %bb.427:                              ;   in Loop: Header=BB625_215 Depth=1
	v_bfe_u32 v44, v44, 24, 7
	v_cmp_ne_u32_e32 vcc, s21, v44
	v_mov_b32_e32 v60, 0x7f800001
	s_and_saveexec_b64 s[18:19], vcc
	s_cbranch_execz .LBB625_429
; %bb.428:                              ;   in Loop: Header=BB625_215 Depth=1
	v_and_b32_e32 v62, 7, v46
	v_ffbh_u32_e32 v60, v62
	v_min_u32_e32 v64, 32, v60
	v_subrev_u32_e32 v60, 28, v64
	v_lshlrev_b64 v[60:61], v60, v[46:47]
	v_lshrrev_b32_e32 v63, 3, v44
	v_sub_u32_e32 v61, 29, v64
	v_and_b32_e32 v60, 7, v60
	v_cmp_gt_u32_e32 vcc, 8, v44
	v_cndmask_b32_e32 v44, v63, v61, vcc
	v_cndmask_b32_e32 v60, v62, v60, vcc
	v_lshlrev_b32_e32 v46, 24, v46
	v_lshlrev_b32_e32 v60, 20, v60
	v_and_b32_e32 v46, 0x80000000, v46
	v_lshl_add_u32 v44, v44, 23, v56
	v_or3_b32 v60, v46, v44, v60
.LBB625_429:                            ;   in Loop: Header=BB625_215 Depth=1
	s_or_b64 exec, exec, s[18:19]
.LBB625_430:                            ;   in Loop: Header=BB625_215 Depth=1
	s_or_b64 exec, exec, s[16:17]
.LBB625_431:                            ;   in Loop: Header=BB625_215 Depth=1
	s_or_b64 exec, exec, s[14:15]
	s_waitcnt vmcnt(2)
	v_cmp_ne_u16_sdwa s[16:17], v42, v55 src0_sel:BYTE_0 src1_sel:DWORD
	s_and_saveexec_b64 s[14:15], s[16:17]
	s_cbranch_execz .LBB625_437
; %bb.432:                              ;   in Loop: Header=BB625_215 Depth=1
	v_cmp_ne_u16_sdwa s[18:19], v42, s9 src0_sel:BYTE_0 src1_sel:DWORD
	v_bfrev_b32_e32 v59, 1
	s_and_saveexec_b64 s[16:17], s[18:19]
	s_cbranch_execz .LBB625_436
; %bb.433:                              ;   in Loop: Header=BB625_215 Depth=1
	v_and_b32_e32 v44, 0x7f, v42
	v_cmp_ne_u32_e32 vcc, s21, v44
	v_mov_b32_e32 v59, 0x7f800001
	s_and_saveexec_b64 s[18:19], vcc
	s_cbranch_execz .LBB625_435
; %bb.434:                              ;   in Loop: Header=BB625_215 Depth=1
	v_and_b32_e32 v46, 7, v42
	v_ffbh_u32_e32 v61, v46
	v_min_u32_e32 v61, 32, v61
	v_subrev_u32_e32 v62, 28, v61
	v_lshlrev_b64 v[62:63], v62, v[42:43]
	v_lshrrev_b32_e32 v59, 3, v44
	v_sub_u32_e32 v61, 29, v61
	v_and_b32_e32 v62, 7, v62
	v_cmp_gt_u32_e32 vcc, 8, v44
	v_cndmask_b32_e32 v44, v59, v61, vcc
	v_cndmask_b32_e32 v46, v46, v62, vcc
	v_lshlrev_b32_e32 v59, 24, v42
	v_lshlrev_b32_e32 v46, 20, v46
	v_and_b32_e32 v59, 0x80000000, v59
	v_lshl_add_u32 v44, v44, 23, v56
	v_or3_b32 v59, v59, v44, v46
.LBB625_435:                            ;   in Loop: Header=BB625_215 Depth=1
	s_or_b64 exec, exec, s[18:19]
.LBB625_436:                            ;   in Loop: Header=BB625_215 Depth=1
	s_or_b64 exec, exec, s[16:17]
.LBB625_437:                            ;   in Loop: Header=BB625_215 Depth=1
	s_or_b64 exec, exec, s[14:15]
	v_lshrrev_b16_e32 v44, 8, v42
	v_cmp_ne_u16_e32 vcc, 0, v44
	v_mov_b32_e32 v61, 0
	v_mov_b32_e32 v62, 0
	s_and_saveexec_b64 s[14:15], vcc
	s_cbranch_execz .LBB625_443
; %bb.438:                              ;   in Loop: Header=BB625_215 Depth=1
	v_cmp_ne_u16_e32 vcc, s9, v44
	v_bfrev_b32_e32 v62, 1
	s_and_saveexec_b64 s[16:17], vcc
	s_cbranch_execz .LBB625_442
; %bb.439:                              ;   in Loop: Header=BB625_215 Depth=1
	v_and_b32_e32 v46, 0x7f, v44
	v_cmp_ne_u32_e32 vcc, s21, v46
	v_mov_b32_e32 v62, 0x7f800001
	s_and_saveexec_b64 s[18:19], vcc
	s_cbranch_execz .LBB625_441
; %bb.440:                              ;   in Loop: Header=BB625_215 Depth=1
	v_and_b32_e32 v64, 7, v44
	v_ffbh_u32_e32 v62, v64
	v_min_u32_e32 v66, 32, v62
	v_subrev_u32_e32 v62, 28, v66
	v_lshlrev_b64 v[62:63], v62, v[44:45]
	v_lshrrev_b32_e32 v65, 3, v46
	v_sub_u32_e32 v44, 29, v66
	v_and_b32_e32 v62, 7, v62
	v_cmp_gt_u32_e32 vcc, 8, v46
	v_cndmask_b32_e32 v44, v65, v44, vcc
	v_cndmask_b32_e32 v46, v64, v62, vcc
	v_lshlrev_b32_e32 v62, 16, v42
	v_lshlrev_b32_e32 v46, 20, v46
	v_and_b32_e32 v62, 0x80000000, v62
	v_lshl_add_u32 v44, v44, 23, v56
	v_or3_b32 v62, v62, v44, v46
.LBB625_441:                            ;   in Loop: Header=BB625_215 Depth=1
	s_or_b64 exec, exec, s[18:19]
.LBB625_442:                            ;   in Loop: Header=BB625_215 Depth=1
	s_or_b64 exec, exec, s[16:17]
.LBB625_443:                            ;   in Loop: Header=BB625_215 Depth=1
	s_or_b64 exec, exec, s[14:15]
	v_lshrrev_b32_e32 v44, 16, v42
	v_cmp_ne_u16_sdwa s[16:17], v44, v55 src0_sel:BYTE_0 src1_sel:DWORD
	s_and_saveexec_b64 s[14:15], s[16:17]
	s_cbranch_execz .LBB625_449
; %bb.444:                              ;   in Loop: Header=BB625_215 Depth=1
	v_cmp_ne_u16_sdwa s[18:19], v44, s9 src0_sel:BYTE_0 src1_sel:DWORD
	v_bfrev_b32_e32 v61, 1
	s_and_saveexec_b64 s[16:17], s[18:19]
	s_cbranch_execz .LBB625_448
; %bb.445:                              ;   in Loop: Header=BB625_215 Depth=1
	v_bfe_u32 v46, v42, 16, 7
	v_cmp_ne_u32_e32 vcc, s21, v46
	v_mov_b32_e32 v61, 0x7f800001
	s_and_saveexec_b64 s[18:19], vcc
	s_cbranch_execz .LBB625_447
; %bb.446:                              ;   in Loop: Header=BB625_215 Depth=1
	v_and_b32_e32 v61, 7, v44
	v_ffbh_u32_e32 v64, v61
	v_min_u32_e32 v66, 32, v64
	v_subrev_u32_e32 v64, 28, v66
	v_lshlrev_b64 v[64:65], v64, v[44:45]
	v_lshrrev_b32_e32 v63, 3, v46
	v_sub_u32_e32 v65, 29, v66
	v_and_b32_e32 v64, 7, v64
	v_cmp_gt_u32_e32 vcc, 8, v46
	v_cndmask_b32_e32 v46, v63, v65, vcc
	v_cndmask_b32_e32 v61, v61, v64, vcc
	v_lshlrev_b32_e32 v44, 24, v44
	v_lshlrev_b32_e32 v61, 20, v61
	v_and_b32_e32 v44, 0x80000000, v44
	v_lshl_add_u32 v46, v46, 23, v56
	v_or3_b32 v61, v44, v46, v61
.LBB625_447:                            ;   in Loop: Header=BB625_215 Depth=1
	s_or_b64 exec, exec, s[18:19]
.LBB625_448:                            ;   in Loop: Header=BB625_215 Depth=1
	s_or_b64 exec, exec, s[16:17]
.LBB625_449:                            ;   in Loop: Header=BB625_215 Depth=1
	s_or_b64 exec, exec, s[14:15]
	v_cmp_lt_u32_e32 vcc, s22, v42
	v_mov_b32_e32 v46, 0
	v_mov_b32_e32 v63, 0
	s_and_saveexec_b64 s[14:15], vcc
	s_cbranch_execz .LBB625_455
; %bb.450:                              ;   in Loop: Header=BB625_215 Depth=1
	v_lshrrev_b32_e32 v44, 24, v42
	v_cmp_ne_u32_e32 vcc, s9, v44
	v_bfrev_b32_e32 v63, 1
	s_and_saveexec_b64 s[16:17], vcc
	s_cbranch_execz .LBB625_454
; %bb.451:                              ;   in Loop: Header=BB625_215 Depth=1
	v_bfe_u32 v42, v42, 24, 7
	v_cmp_ne_u32_e32 vcc, s21, v42
	v_mov_b32_e32 v63, 0x7f800001
	s_and_saveexec_b64 s[18:19], vcc
	s_cbranch_execz .LBB625_453
; %bb.452:                              ;   in Loop: Header=BB625_215 Depth=1
	v_and_b32_e32 v63, 7, v44
	v_ffbh_u32_e32 v64, v63
	v_min_u32_e32 v67, 32, v64
	v_subrev_u32_e32 v64, 28, v67
	v_lshlrev_b64 v[64:65], v64, v[44:45]
	v_lshrrev_b32_e32 v66, 3, v42
	v_sub_u32_e32 v65, 29, v67
	v_and_b32_e32 v64, 7, v64
	v_cmp_gt_u32_e32 vcc, 8, v42
	v_cndmask_b32_e32 v42, v66, v65, vcc
	v_cndmask_b32_e32 v63, v63, v64, vcc
	v_lshlrev_b32_e32 v44, 24, v44
	v_lshlrev_b32_e32 v63, 20, v63
	v_and_b32_e32 v44, 0x80000000, v44
	v_lshl_add_u32 v42, v42, 23, v56
	v_or3_b32 v63, v44, v42, v63
.LBB625_453:                            ;   in Loop: Header=BB625_215 Depth=1
	s_or_b64 exec, exec, s[18:19]
.LBB625_454:                            ;   in Loop: Header=BB625_215 Depth=1
	s_or_b64 exec, exec, s[16:17]
.LBB625_455:                            ;   in Loop: Header=BB625_215 Depth=1
	s_or_b64 exec, exec, s[14:15]
	v_cvt_pkrtz_f16_f32 v64, v57, v58
	v_cvt_pkrtz_f16_f32 v65, v52, v60
	;; [unrolled: 1-line block ×4, first 2 shown]
	s_waitcnt vmcnt(1)
	v_cmp_ne_u16_sdwa s[16:17], v40, v55 src0_sel:BYTE_0 src1_sel:DWORD
	v_mfma_f32_16x16x16f16 v[34:37], v[64:65], v[18:19], v[34:37]
	v_mfma_f32_16x16x16f16 v[34:37], v[58:59], v[20:21], v[34:37]
	s_and_saveexec_b64 s[14:15], s[16:17]
	s_cbranch_execz .LBB625_461
; %bb.456:                              ;   in Loop: Header=BB625_215 Depth=1
	v_cmp_ne_u16_sdwa s[18:19], v40, s9 src0_sel:BYTE_0 src1_sel:DWORD
	v_bfrev_b32_e32 v46, 1
	s_and_saveexec_b64 s[16:17], s[18:19]
	s_cbranch_execz .LBB625_460
; %bb.457:                              ;   in Loop: Header=BB625_215 Depth=1
	v_and_b32_e32 v42, 0x7f, v40
	v_cmp_ne_u32_e32 vcc, s21, v42
	v_mov_b32_e32 v46, 0x7f800001
	s_and_saveexec_b64 s[18:19], vcc
	s_cbranch_execz .LBB625_459
; %bb.458:                              ;   in Loop: Header=BB625_215 Depth=1
	v_and_b32_e32 v44, 7, v40
	v_ffbh_u32_e32 v52, v44
	v_min_u32_e32 v52, 32, v52
	v_subrev_u32_e32 v57, 28, v52
	v_lshlrev_b64 v[58:59], v57, v[40:41]
	v_lshrrev_b32_e32 v46, 3, v42
	v_sub_u32_e32 v52, 29, v52
	v_and_b32_e32 v57, 7, v58
	v_cmp_gt_u32_e32 vcc, 8, v42
	v_cndmask_b32_e32 v42, v46, v52, vcc
	v_cndmask_b32_e32 v44, v44, v57, vcc
	v_lshlrev_b32_e32 v46, 24, v40
	v_lshlrev_b32_e32 v44, 20, v44
	v_and_b32_e32 v46, 0x80000000, v46
	v_lshl_add_u32 v42, v42, 23, v56
	v_or3_b32 v46, v46, v42, v44
.LBB625_459:                            ;   in Loop: Header=BB625_215 Depth=1
	s_or_b64 exec, exec, s[18:19]
.LBB625_460:                            ;   in Loop: Header=BB625_215 Depth=1
	s_or_b64 exec, exec, s[16:17]
.LBB625_461:                            ;   in Loop: Header=BB625_215 Depth=1
	s_or_b64 exec, exec, s[14:15]
	v_lshrrev_b16_e32 v42, 8, v40
	v_cmp_ne_u16_e32 vcc, 0, v42
	v_mov_b32_e32 v44, 0
	v_mov_b32_e32 v57, 0
	s_and_saveexec_b64 s[14:15], vcc
	s_cbranch_execz .LBB625_467
; %bb.462:                              ;   in Loop: Header=BB625_215 Depth=1
	v_cmp_ne_u16_e32 vcc, s9, v42
	v_bfrev_b32_e32 v57, 1
	s_and_saveexec_b64 s[16:17], vcc
	s_cbranch_execz .LBB625_466
; %bb.463:                              ;   in Loop: Header=BB625_215 Depth=1
	v_and_b32_e32 v52, 0x7f, v42
	v_cmp_ne_u32_e32 vcc, s21, v52
	v_mov_b32_e32 v57, 0x7f800001
	s_and_saveexec_b64 s[18:19], vcc
	s_cbranch_execz .LBB625_465
; %bb.464:                              ;   in Loop: Header=BB625_215 Depth=1
	v_and_b32_e32 v57, 7, v42
	v_ffbh_u32_e32 v58, v57
	v_min_u32_e32 v61, 32, v58
	v_subrev_u32_e32 v58, 28, v61
	v_lshlrev_b64 v[58:59], v58, v[42:43]
	v_lshrrev_b32_e32 v60, 3, v52
	v_sub_u32_e32 v42, 29, v61
	v_and_b32_e32 v58, 7, v58
	v_cmp_gt_u32_e32 vcc, 8, v52
	v_cndmask_b32_e32 v42, v60, v42, vcc
	v_cndmask_b32_e32 v52, v57, v58, vcc
	v_lshlrev_b32_e32 v57, 16, v40
	v_lshlrev_b32_e32 v52, 20, v52
	v_and_b32_e32 v57, 0x80000000, v57
	v_lshl_add_u32 v42, v42, 23, v56
	v_or3_b32 v57, v57, v42, v52
.LBB625_465:                            ;   in Loop: Header=BB625_215 Depth=1
	s_or_b64 exec, exec, s[18:19]
.LBB625_466:                            ;   in Loop: Header=BB625_215 Depth=1
	s_or_b64 exec, exec, s[16:17]
.LBB625_467:                            ;   in Loop: Header=BB625_215 Depth=1
	s_or_b64 exec, exec, s[14:15]
	v_lshrrev_b32_e32 v42, 16, v40
	v_cmp_ne_u16_sdwa s[16:17], v42, v55 src0_sel:BYTE_0 src1_sel:DWORD
	s_and_saveexec_b64 s[14:15], s[16:17]
	s_cbranch_execz .LBB625_473
; %bb.468:                              ;   in Loop: Header=BB625_215 Depth=1
	v_cmp_ne_u16_sdwa s[18:19], v42, s9 src0_sel:BYTE_0 src1_sel:DWORD
	v_bfrev_b32_e32 v44, 1
	s_and_saveexec_b64 s[16:17], s[18:19]
	s_cbranch_execz .LBB625_472
; %bb.469:                              ;   in Loop: Header=BB625_215 Depth=1
	v_bfe_u32 v52, v40, 16, 7
	v_cmp_ne_u32_e32 vcc, s21, v52
	v_mov_b32_e32 v44, 0x7f800001
	s_and_saveexec_b64 s[18:19], vcc
	s_cbranch_execz .LBB625_471
; %bb.470:                              ;   in Loop: Header=BB625_215 Depth=1
	v_and_b32_e32 v44, 7, v42
	v_ffbh_u32_e32 v58, v44
	v_min_u32_e32 v61, 32, v58
	v_subrev_u32_e32 v58, 28, v61
	v_lshlrev_b64 v[58:59], v58, v[42:43]
	v_lshrrev_b32_e32 v60, 3, v52
	v_sub_u32_e32 v59, 29, v61
	v_and_b32_e32 v58, 7, v58
	v_cmp_gt_u32_e32 vcc, 8, v52
	v_cndmask_b32_e32 v52, v60, v59, vcc
	v_cndmask_b32_e32 v44, v44, v58, vcc
	v_lshlrev_b32_e32 v42, 24, v42
	v_lshlrev_b32_e32 v44, 20, v44
	v_and_b32_e32 v42, 0x80000000, v42
	v_lshl_add_u32 v52, v52, 23, v56
	v_or3_b32 v44, v42, v52, v44
.LBB625_471:                            ;   in Loop: Header=BB625_215 Depth=1
	s_or_b64 exec, exec, s[18:19]
.LBB625_472:                            ;   in Loop: Header=BB625_215 Depth=1
	s_or_b64 exec, exec, s[16:17]
.LBB625_473:                            ;   in Loop: Header=BB625_215 Depth=1
	s_or_b64 exec, exec, s[14:15]
	v_cmp_lt_u32_e32 vcc, s22, v40
	v_mov_b32_e32 v58, 0
	v_mov_b32_e32 v59, 0
	s_and_saveexec_b64 s[14:15], vcc
	s_cbranch_execz .LBB625_479
; %bb.474:                              ;   in Loop: Header=BB625_215 Depth=1
	v_lshrrev_b32_e32 v42, 24, v40
	v_cmp_ne_u32_e32 vcc, s9, v42
	v_bfrev_b32_e32 v59, 1
	s_and_saveexec_b64 s[16:17], vcc
	s_cbranch_execz .LBB625_478
; %bb.475:                              ;   in Loop: Header=BB625_215 Depth=1
	v_bfe_u32 v40, v40, 24, 7
	v_cmp_ne_u32_e32 vcc, s21, v40
	v_mov_b32_e32 v59, 0x7f800001
	s_and_saveexec_b64 s[18:19], vcc
	s_cbranch_execz .LBB625_477
; %bb.476:                              ;   in Loop: Header=BB625_215 Depth=1
	v_and_b32_e32 v52, 7, v42
	v_ffbh_u32_e32 v60, v52
	v_min_u32_e32 v62, 32, v60
	v_subrev_u32_e32 v60, 28, v62
	v_lshlrev_b64 v[60:61], v60, v[42:43]
	v_lshrrev_b32_e32 v59, 3, v40
	v_sub_u32_e32 v61, 29, v62
	v_and_b32_e32 v60, 7, v60
	v_cmp_gt_u32_e32 vcc, 8, v40
	v_cndmask_b32_e32 v40, v59, v61, vcc
	v_cndmask_b32_e32 v52, v52, v60, vcc
	v_lshlrev_b32_e32 v42, 24, v42
	v_lshlrev_b32_e32 v52, 20, v52
	v_and_b32_e32 v42, 0x80000000, v42
	v_lshl_add_u32 v40, v40, 23, v56
	v_or3_b32 v59, v42, v40, v52
.LBB625_477:                            ;   in Loop: Header=BB625_215 Depth=1
	s_or_b64 exec, exec, s[18:19]
.LBB625_478:                            ;   in Loop: Header=BB625_215 Depth=1
	s_or_b64 exec, exec, s[16:17]
.LBB625_479:                            ;   in Loop: Header=BB625_215 Depth=1
	s_or_b64 exec, exec, s[14:15]
	s_waitcnt vmcnt(0)
	v_cmp_ne_u16_sdwa s[16:17], v38, v55 src0_sel:BYTE_0 src1_sel:DWORD
	s_and_saveexec_b64 s[14:15], s[16:17]
	s_cbranch_execz .LBB625_485
; %bb.480:                              ;   in Loop: Header=BB625_215 Depth=1
	v_cmp_ne_u16_sdwa s[18:19], v38, s9 src0_sel:BYTE_0 src1_sel:DWORD
	v_bfrev_b32_e32 v58, 1
	s_and_saveexec_b64 s[16:17], s[18:19]
	s_cbranch_execz .LBB625_484
; %bb.481:                              ;   in Loop: Header=BB625_215 Depth=1
	v_and_b32_e32 v40, 0x7f, v38
	v_cmp_ne_u32_e32 vcc, s21, v40
	v_mov_b32_e32 v58, 0x7f800001
	s_and_saveexec_b64 s[18:19], vcc
	s_cbranch_execz .LBB625_483
; %bb.482:                              ;   in Loop: Header=BB625_215 Depth=1
	v_and_b32_e32 v42, 7, v38
	v_ffbh_u32_e32 v58, v42
	v_min_u32_e32 v58, 32, v58
	v_subrev_u32_e32 v60, 28, v58
	v_lshlrev_b64 v[60:61], v60, v[38:39]
	v_lshrrev_b32_e32 v52, 3, v40
	v_sub_u32_e32 v58, 29, v58
	v_and_b32_e32 v60, 7, v60
	v_cmp_gt_u32_e32 vcc, 8, v40
	v_cndmask_b32_e32 v40, v52, v58, vcc
	v_cndmask_b32_e32 v42, v42, v60, vcc
	v_lshlrev_b32_e32 v52, 24, v38
	v_lshlrev_b32_e32 v42, 20, v42
	v_and_b32_e32 v52, 0x80000000, v52
	v_lshl_add_u32 v40, v40, 23, v56
	v_or3_b32 v58, v52, v40, v42
.LBB625_483:                            ;   in Loop: Header=BB625_215 Depth=1
	s_or_b64 exec, exec, s[18:19]
.LBB625_484:                            ;   in Loop: Header=BB625_215 Depth=1
	s_or_b64 exec, exec, s[16:17]
.LBB625_485:                            ;   in Loop: Header=BB625_215 Depth=1
	s_or_b64 exec, exec, s[14:15]
	v_lshrrev_b16_e32 v40, 8, v38
	v_cmp_ne_u16_e32 vcc, 0, v40
	v_mov_b32_e32 v60, 0
	v_mov_b32_e32 v61, 0
	s_and_saveexec_b64 s[14:15], vcc
	s_cbranch_execz .LBB625_491
; %bb.486:                              ;   in Loop: Header=BB625_215 Depth=1
	v_cmp_ne_u16_e32 vcc, s9, v40
	v_bfrev_b32_e32 v61, 1
	s_and_saveexec_b64 s[16:17], vcc
	s_cbranch_execz .LBB625_490
; %bb.487:                              ;   in Loop: Header=BB625_215 Depth=1
	v_and_b32_e32 v42, 0x7f, v40
	v_cmp_ne_u32_e32 vcc, s21, v42
	v_mov_b32_e32 v61, 0x7f800001
	s_and_saveexec_b64 s[18:19], vcc
	s_cbranch_execz .LBB625_489
; %bb.488:                              ;   in Loop: Header=BB625_215 Depth=1
	v_and_b32_e32 v52, 7, v40
	v_ffbh_u32_e32 v62, v52
	v_min_u32_e32 v64, 32, v62
	v_subrev_u32_e32 v62, 28, v64
	v_lshlrev_b64 v[62:63], v62, v[40:41]
	v_lshrrev_b32_e32 v61, 3, v42
	v_sub_u32_e32 v40, 29, v64
	v_and_b32_e32 v62, 7, v62
	v_cmp_gt_u32_e32 vcc, 8, v42
	v_cndmask_b32_e32 v40, v61, v40, vcc
	v_cndmask_b32_e32 v42, v52, v62, vcc
	v_lshlrev_b32_e32 v52, 16, v38
	v_lshlrev_b32_e32 v42, 20, v42
	v_and_b32_e32 v52, 0x80000000, v52
	v_lshl_add_u32 v40, v40, 23, v56
	v_or3_b32 v61, v52, v40, v42
.LBB625_489:                            ;   in Loop: Header=BB625_215 Depth=1
	s_or_b64 exec, exec, s[18:19]
.LBB625_490:                            ;   in Loop: Header=BB625_215 Depth=1
	s_or_b64 exec, exec, s[16:17]
.LBB625_491:                            ;   in Loop: Header=BB625_215 Depth=1
	s_or_b64 exec, exec, s[14:15]
	v_lshrrev_b32_e32 v40, 16, v38
	v_cmp_ne_u16_sdwa s[16:17], v40, v55 src0_sel:BYTE_0 src1_sel:DWORD
	s_and_saveexec_b64 s[14:15], s[16:17]
	s_cbranch_execz .LBB625_497
; %bb.492:                              ;   in Loop: Header=BB625_215 Depth=1
	v_cmp_ne_u16_sdwa s[18:19], v40, s9 src0_sel:BYTE_0 src1_sel:DWORD
	v_bfrev_b32_e32 v60, 1
	s_and_saveexec_b64 s[16:17], s[18:19]
	s_cbranch_execz .LBB625_496
; %bb.493:                              ;   in Loop: Header=BB625_215 Depth=1
	v_bfe_u32 v42, v38, 16, 7
	v_cmp_ne_u32_e32 vcc, s21, v42
	v_mov_b32_e32 v60, 0x7f800001
	s_and_saveexec_b64 s[18:19], vcc
	s_cbranch_execz .LBB625_495
; %bb.494:                              ;   in Loop: Header=BB625_215 Depth=1
	v_and_b32_e32 v52, 7, v40
	v_ffbh_u32_e32 v62, v52
	v_min_u32_e32 v64, 32, v62
	v_subrev_u32_e32 v62, 28, v64
	v_lshlrev_b64 v[62:63], v62, v[40:41]
	v_lshrrev_b32_e32 v60, 3, v42
	v_sub_u32_e32 v63, 29, v64
	v_and_b32_e32 v62, 7, v62
	v_cmp_gt_u32_e32 vcc, 8, v42
	v_cndmask_b32_e32 v42, v60, v63, vcc
	v_cndmask_b32_e32 v52, v52, v62, vcc
	v_lshlrev_b32_e32 v40, 24, v40
	v_lshlrev_b32_e32 v52, 20, v52
	v_and_b32_e32 v40, 0x80000000, v40
	v_lshl_add_u32 v42, v42, 23, v56
	v_or3_b32 v60, v40, v42, v52
.LBB625_495:                            ;   in Loop: Header=BB625_215 Depth=1
	s_or_b64 exec, exec, s[18:19]
.LBB625_496:                            ;   in Loop: Header=BB625_215 Depth=1
	s_or_b64 exec, exec, s[16:17]
.LBB625_497:                            ;   in Loop: Header=BB625_215 Depth=1
	s_or_b64 exec, exec, s[14:15]
	v_cmp_lt_u32_e32 vcc, s22, v38
	v_mov_b32_e32 v52, 0
	v_mov_b32_e32 v62, 0
	s_and_saveexec_b64 s[14:15], vcc
	s_cbranch_execz .LBB625_503
; %bb.498:                              ;   in Loop: Header=BB625_215 Depth=1
	v_lshrrev_b32_e32 v40, 24, v38
	v_cmp_ne_u32_e32 vcc, s9, v40
	v_bfrev_b32_e32 v62, 1
	s_and_saveexec_b64 s[16:17], vcc
	s_cbranch_execz .LBB625_502
; %bb.499:                              ;   in Loop: Header=BB625_215 Depth=1
	v_bfe_u32 v38, v38, 24, 7
	v_cmp_ne_u32_e32 vcc, s21, v38
	v_mov_b32_e32 v62, 0x7f800001
	s_and_saveexec_b64 s[18:19], vcc
	s_cbranch_execz .LBB625_501
; %bb.500:                              ;   in Loop: Header=BB625_215 Depth=1
	v_and_b32_e32 v42, 7, v40
	v_ffbh_u32_e32 v62, v42
	v_min_u32_e32 v65, 32, v62
	v_subrev_u32_e32 v62, 28, v65
	v_lshlrev_b64 v[62:63], v62, v[40:41]
	v_lshrrev_b32_e32 v64, 3, v38
	v_sub_u32_e32 v63, 29, v65
	v_and_b32_e32 v62, 7, v62
	v_cmp_gt_u32_e32 vcc, 8, v38
	v_cndmask_b32_e32 v38, v64, v63, vcc
	v_cndmask_b32_e32 v42, v42, v62, vcc
	v_lshlrev_b32_e32 v40, 24, v40
	v_lshlrev_b32_e32 v42, 20, v42
	v_and_b32_e32 v40, 0x80000000, v40
	v_lshl_add_u32 v38, v38, 23, v56
	v_or3_b32 v62, v40, v38, v42
.LBB625_501:                            ;   in Loop: Header=BB625_215 Depth=1
	s_or_b64 exec, exec, s[18:19]
.LBB625_502:                            ;   in Loop: Header=BB625_215 Depth=1
	s_or_b64 exec, exec, s[16:17]
.LBB625_503:                            ;   in Loop: Header=BB625_215 Depth=1
	s_or_b64 exec, exec, s[14:15]
	v_cvt_pkrtz_f16_f32 v65, v44, v59
	buffer_load_dword v44, v51, s[0:3], 0 offen
	buffer_load_dword v42, v51, s[0:3], 0 offen offset:4
	buffer_load_dword v40, v51, s[0:3], 0 offen offset:8
	;; [unrolled: 1-line block ×3, first 2 shown]
	v_cvt_pkrtz_f16_f32 v64, v46, v57
	v_cvt_pkrtz_f16_f32 v58, v58, v61
	;; [unrolled: 1-line block ×3, first 2 shown]
	v_mfma_f32_16x16x16f16 v[34:37], v[64:65], v[22:23], v[34:37]
	s_waitcnt vmcnt(3)
	v_cmp_ne_u16_sdwa s[16:17], v44, v55 src0_sel:BYTE_0 src1_sel:DWORD
	v_mfma_f32_16x16x16f16 v[34:37], v[58:59], v[24:25], v[34:37]
	s_and_saveexec_b64 s[14:15], s[16:17]
	s_cbranch_execz .LBB625_509
; %bb.504:                              ;   in Loop: Header=BB625_215 Depth=1
	v_cmp_ne_u16_sdwa s[18:19], v44, s9 src0_sel:BYTE_0 src1_sel:DWORD
	v_bfrev_b32_e32 v52, 1
	s_and_saveexec_b64 s[16:17], s[18:19]
	s_cbranch_execz .LBB625_508
; %bb.505:                              ;   in Loop: Header=BB625_215 Depth=1
	v_and_b32_e32 v46, 0x7f, v44
	v_cmp_ne_u32_e32 vcc, s21, v46
	v_mov_b32_e32 v52, 0x7f800001
	s_and_saveexec_b64 s[18:19], vcc
	s_cbranch_execz .LBB625_507
; %bb.506:                              ;   in Loop: Header=BB625_215 Depth=1
	v_and_b32_e32 v51, 7, v44
	v_ffbh_u32_e32 v57, v51
	v_min_u32_e32 v57, 32, v57
	v_subrev_u32_e32 v58, 28, v57
	v_lshlrev_b64 v[58:59], v58, v[44:45]
	v_lshrrev_b32_e32 v52, 3, v46
	v_sub_u32_e32 v57, 29, v57
	v_and_b32_e32 v58, 7, v58
	v_cmp_gt_u32_e32 vcc, 8, v46
	v_cndmask_b32_e32 v46, v52, v57, vcc
	v_cndmask_b32_e32 v51, v51, v58, vcc
	v_lshlrev_b32_e32 v52, 24, v44
	v_lshlrev_b32_e32 v51, 20, v51
	v_and_b32_e32 v52, 0x80000000, v52
	v_lshl_add_u32 v46, v46, 23, v56
	v_or3_b32 v52, v52, v46, v51
.LBB625_507:                            ;   in Loop: Header=BB625_215 Depth=1
	s_or_b64 exec, exec, s[18:19]
.LBB625_508:                            ;   in Loop: Header=BB625_215 Depth=1
	s_or_b64 exec, exec, s[16:17]
.LBB625_509:                            ;   in Loop: Header=BB625_215 Depth=1
	s_or_b64 exec, exec, s[14:15]
	v_lshrrev_b16_e32 v46, 8, v44
	v_cmp_ne_u16_e32 vcc, 0, v46
	v_mov_b32_e32 v51, 0
	v_mov_b32_e32 v57, 0
	s_and_saveexec_b64 s[14:15], vcc
	s_cbranch_execz .LBB625_515
; %bb.510:                              ;   in Loop: Header=BB625_215 Depth=1
	v_cmp_ne_u16_e32 vcc, s9, v46
	v_bfrev_b32_e32 v57, 1
	s_and_saveexec_b64 s[16:17], vcc
	s_cbranch_execz .LBB625_514
; %bb.511:                              ;   in Loop: Header=BB625_215 Depth=1
	v_and_b32_e32 v58, 0x7f, v46
	v_cmp_ne_u32_e32 vcc, s21, v58
	v_mov_b32_e32 v57, 0x7f800001
	s_and_saveexec_b64 s[18:19], vcc
	s_cbranch_execz .LBB625_513
; %bb.512:                              ;   in Loop: Header=BB625_215 Depth=1
	v_and_b32_e32 v57, 7, v46
	v_ffbh_u32_e32 v60, v57
	v_min_u32_e32 v62, 32, v60
	v_subrev_u32_e32 v60, 28, v62
	v_lshlrev_b64 v[60:61], v60, v[46:47]
	v_lshrrev_b32_e32 v59, 3, v58
	v_sub_u32_e32 v46, 29, v62
	v_and_b32_e32 v60, 7, v60
	v_cmp_gt_u32_e32 vcc, 8, v58
	v_cndmask_b32_e32 v46, v59, v46, vcc
	v_cndmask_b32_e32 v57, v57, v60, vcc
	v_lshlrev_b32_e32 v58, 16, v44
	v_lshlrev_b32_e32 v57, 20, v57
	v_and_b32_e32 v58, 0x80000000, v58
	v_lshl_add_u32 v46, v46, 23, v56
	v_or3_b32 v57, v58, v46, v57
.LBB625_513:                            ;   in Loop: Header=BB625_215 Depth=1
	s_or_b64 exec, exec, s[18:19]
.LBB625_514:                            ;   in Loop: Header=BB625_215 Depth=1
	s_or_b64 exec, exec, s[16:17]
.LBB625_515:                            ;   in Loop: Header=BB625_215 Depth=1
	s_or_b64 exec, exec, s[14:15]
	v_lshrrev_b32_e32 v46, 16, v44
	v_cmp_ne_u16_sdwa s[16:17], v46, v55 src0_sel:BYTE_0 src1_sel:DWORD
	s_and_saveexec_b64 s[14:15], s[16:17]
	s_cbranch_execz .LBB625_521
; %bb.516:                              ;   in Loop: Header=BB625_215 Depth=1
	v_cmp_ne_u16_sdwa s[18:19], v46, s9 src0_sel:BYTE_0 src1_sel:DWORD
	v_bfrev_b32_e32 v51, 1
	s_and_saveexec_b64 s[16:17], s[18:19]
	s_cbranch_execz .LBB625_520
; %bb.517:                              ;   in Loop: Header=BB625_215 Depth=1
	v_bfe_u32 v58, v44, 16, 7
	v_cmp_ne_u32_e32 vcc, s21, v58
	v_mov_b32_e32 v51, 0x7f800001
	s_and_saveexec_b64 s[18:19], vcc
	s_cbranch_execz .LBB625_519
; %bb.518:                              ;   in Loop: Header=BB625_215 Depth=1
	v_and_b32_e32 v51, 7, v46
	v_ffbh_u32_e32 v60, v51
	v_min_u32_e32 v62, 32, v60
	v_subrev_u32_e32 v60, 28, v62
	v_lshlrev_b64 v[60:61], v60, v[46:47]
	v_lshrrev_b32_e32 v59, 3, v58
	v_sub_u32_e32 v61, 29, v62
	v_and_b32_e32 v60, 7, v60
	v_cmp_gt_u32_e32 vcc, 8, v58
	v_cndmask_b32_e32 v58, v59, v61, vcc
	v_cndmask_b32_e32 v51, v51, v60, vcc
	v_lshlrev_b32_e32 v46, 24, v46
	v_lshlrev_b32_e32 v51, 20, v51
	v_and_b32_e32 v46, 0x80000000, v46
	v_lshl_add_u32 v58, v58, 23, v56
	v_or3_b32 v51, v46, v58, v51
.LBB625_519:                            ;   in Loop: Header=BB625_215 Depth=1
	s_or_b64 exec, exec, s[18:19]
.LBB625_520:                            ;   in Loop: Header=BB625_215 Depth=1
	s_or_b64 exec, exec, s[16:17]
.LBB625_521:                            ;   in Loop: Header=BB625_215 Depth=1
	s_or_b64 exec, exec, s[14:15]
	v_cmp_lt_u32_e32 vcc, s22, v44
	v_mov_b32_e32 v58, 0
	v_mov_b32_e32 v59, 0
	s_and_saveexec_b64 s[14:15], vcc
	s_cbranch_execz .LBB625_527
; %bb.522:                              ;   in Loop: Header=BB625_215 Depth=1
	v_lshrrev_b32_e32 v46, 24, v44
	v_cmp_ne_u32_e32 vcc, s9, v46
	v_bfrev_b32_e32 v59, 1
	s_and_saveexec_b64 s[16:17], vcc
	s_cbranch_execz .LBB625_526
; %bb.523:                              ;   in Loop: Header=BB625_215 Depth=1
	v_bfe_u32 v44, v44, 24, 7
	v_cmp_ne_u32_e32 vcc, s21, v44
	v_mov_b32_e32 v59, 0x7f800001
	s_and_saveexec_b64 s[18:19], vcc
	s_cbranch_execz .LBB625_525
; %bb.524:                              ;   in Loop: Header=BB625_215 Depth=1
	v_and_b32_e32 v59, 7, v46
	v_ffbh_u32_e32 v60, v59
	v_min_u32_e32 v63, 32, v60
	v_subrev_u32_e32 v60, 28, v63
	v_lshlrev_b64 v[60:61], v60, v[46:47]
	v_lshrrev_b32_e32 v62, 3, v44
	v_sub_u32_e32 v61, 29, v63
	v_and_b32_e32 v60, 7, v60
	v_cmp_gt_u32_e32 vcc, 8, v44
	v_cndmask_b32_e32 v44, v62, v61, vcc
	v_cndmask_b32_e32 v59, v59, v60, vcc
	v_lshlrev_b32_e32 v46, 24, v46
	v_lshlrev_b32_e32 v59, 20, v59
	v_and_b32_e32 v46, 0x80000000, v46
	v_lshl_add_u32 v44, v44, 23, v56
	v_or3_b32 v59, v46, v44, v59
.LBB625_525:                            ;   in Loop: Header=BB625_215 Depth=1
	s_or_b64 exec, exec, s[18:19]
.LBB625_526:                            ;   in Loop: Header=BB625_215 Depth=1
	s_or_b64 exec, exec, s[16:17]
.LBB625_527:                            ;   in Loop: Header=BB625_215 Depth=1
	s_or_b64 exec, exec, s[14:15]
	s_waitcnt vmcnt(2)
	v_cmp_ne_u16_sdwa s[16:17], v42, v55 src0_sel:BYTE_0 src1_sel:DWORD
	s_and_saveexec_b64 s[14:15], s[16:17]
	s_cbranch_execz .LBB625_533
; %bb.528:                              ;   in Loop: Header=BB625_215 Depth=1
	v_cmp_ne_u16_sdwa s[18:19], v42, s9 src0_sel:BYTE_0 src1_sel:DWORD
	v_bfrev_b32_e32 v58, 1
	s_and_saveexec_b64 s[16:17], s[18:19]
	s_cbranch_execz .LBB625_532
; %bb.529:                              ;   in Loop: Header=BB625_215 Depth=1
	v_and_b32_e32 v44, 0x7f, v42
	v_cmp_ne_u32_e32 vcc, s21, v44
	v_mov_b32_e32 v58, 0x7f800001
	s_and_saveexec_b64 s[18:19], vcc
	s_cbranch_execz .LBB625_531
; %bb.530:                              ;   in Loop: Header=BB625_215 Depth=1
	v_and_b32_e32 v46, 7, v42
	v_ffbh_u32_e32 v60, v46
	v_min_u32_e32 v62, 32, v60
	v_subrev_u32_e32 v60, 28, v62
	v_lshlrev_b64 v[60:61], v60, v[42:43]
	v_lshrrev_b32_e32 v58, 3, v44
	v_sub_u32_e32 v61, 29, v62
	v_and_b32_e32 v60, 7, v60
	v_cmp_gt_u32_e32 vcc, 8, v44
	v_cndmask_b32_e32 v44, v58, v61, vcc
	v_cndmask_b32_e32 v46, v46, v60, vcc
	v_lshlrev_b32_e32 v58, 24, v42
	v_lshlrev_b32_e32 v46, 20, v46
	v_and_b32_e32 v58, 0x80000000, v58
	v_lshl_add_u32 v44, v44, 23, v56
	v_or3_b32 v58, v58, v44, v46
.LBB625_531:                            ;   in Loop: Header=BB625_215 Depth=1
	s_or_b64 exec, exec, s[18:19]
.LBB625_532:                            ;   in Loop: Header=BB625_215 Depth=1
	s_or_b64 exec, exec, s[16:17]
.LBB625_533:                            ;   in Loop: Header=BB625_215 Depth=1
	s_or_b64 exec, exec, s[14:15]
	v_lshrrev_b16_e32 v44, 8, v42
	v_cmp_ne_u16_e32 vcc, 0, v44
	v_mov_b32_e32 v60, 0
	v_mov_b32_e32 v61, 0
	s_and_saveexec_b64 s[14:15], vcc
	s_cbranch_execz .LBB625_539
; %bb.534:                              ;   in Loop: Header=BB625_215 Depth=1
	v_cmp_ne_u16_e32 vcc, s9, v44
	v_bfrev_b32_e32 v61, 1
	s_and_saveexec_b64 s[16:17], vcc
	s_cbranch_execz .LBB625_538
; %bb.535:                              ;   in Loop: Header=BB625_215 Depth=1
	v_and_b32_e32 v46, 0x7f, v44
	v_cmp_ne_u32_e32 vcc, s21, v46
	v_mov_b32_e32 v61, 0x7f800001
	s_and_saveexec_b64 s[18:19], vcc
	s_cbranch_execz .LBB625_537
; %bb.536:                              ;   in Loop: Header=BB625_215 Depth=1
	v_and_b32_e32 v61, 7, v44
	v_ffbh_u32_e32 v62, v61
	v_min_u32_e32 v65, 32, v62
	v_subrev_u32_e32 v62, 28, v65
	v_lshlrev_b64 v[62:63], v62, v[44:45]
	v_lshrrev_b32_e32 v64, 3, v46
	v_sub_u32_e32 v44, 29, v65
	v_and_b32_e32 v62, 7, v62
	v_cmp_gt_u32_e32 vcc, 8, v46
	v_cndmask_b32_e32 v44, v64, v44, vcc
	v_cndmask_b32_e32 v46, v61, v62, vcc
	v_lshlrev_b32_e32 v61, 16, v42
	v_lshlrev_b32_e32 v46, 20, v46
	v_and_b32_e32 v61, 0x80000000, v61
	v_lshl_add_u32 v44, v44, 23, v56
	v_or3_b32 v61, v61, v44, v46
.LBB625_537:                            ;   in Loop: Header=BB625_215 Depth=1
	s_or_b64 exec, exec, s[18:19]
.LBB625_538:                            ;   in Loop: Header=BB625_215 Depth=1
	s_or_b64 exec, exec, s[16:17]
.LBB625_539:                            ;   in Loop: Header=BB625_215 Depth=1
	s_or_b64 exec, exec, s[14:15]
	v_lshrrev_b32_e32 v44, 16, v42
	v_cmp_ne_u16_sdwa s[16:17], v44, v55 src0_sel:BYTE_0 src1_sel:DWORD
	s_and_saveexec_b64 s[14:15], s[16:17]
	s_cbranch_execz .LBB625_545
; %bb.540:                              ;   in Loop: Header=BB625_215 Depth=1
	v_cmp_ne_u16_sdwa s[18:19], v44, s9 src0_sel:BYTE_0 src1_sel:DWORD
	v_bfrev_b32_e32 v60, 1
	s_and_saveexec_b64 s[16:17], s[18:19]
	s_cbranch_execz .LBB625_544
; %bb.541:                              ;   in Loop: Header=BB625_215 Depth=1
	v_bfe_u32 v46, v42, 16, 7
	v_cmp_ne_u32_e32 vcc, s21, v46
	v_mov_b32_e32 v60, 0x7f800001
	s_and_saveexec_b64 s[18:19], vcc
	s_cbranch_execz .LBB625_543
; %bb.542:                              ;   in Loop: Header=BB625_215 Depth=1
	v_and_b32_e32 v60, 7, v44
	v_ffbh_u32_e32 v62, v60
	v_min_u32_e32 v65, 32, v62
	v_subrev_u32_e32 v62, 28, v65
	v_lshlrev_b64 v[62:63], v62, v[44:45]
	v_lshrrev_b32_e32 v64, 3, v46
	v_sub_u32_e32 v63, 29, v65
	v_and_b32_e32 v62, 7, v62
	v_cmp_gt_u32_e32 vcc, 8, v46
	v_cndmask_b32_e32 v46, v64, v63, vcc
	v_cndmask_b32_e32 v60, v60, v62, vcc
	v_lshlrev_b32_e32 v44, 24, v44
	v_lshlrev_b32_e32 v60, 20, v60
	v_and_b32_e32 v44, 0x80000000, v44
	v_lshl_add_u32 v46, v46, 23, v56
	v_or3_b32 v60, v44, v46, v60
.LBB625_543:                            ;   in Loop: Header=BB625_215 Depth=1
	s_or_b64 exec, exec, s[18:19]
.LBB625_544:                            ;   in Loop: Header=BB625_215 Depth=1
	s_or_b64 exec, exec, s[16:17]
.LBB625_545:                            ;   in Loop: Header=BB625_215 Depth=1
	s_or_b64 exec, exec, s[14:15]
	v_cmp_lt_u32_e32 vcc, s22, v42
	v_mov_b32_e32 v46, 0
	v_mov_b32_e32 v62, 0
	s_and_saveexec_b64 s[14:15], vcc
	s_cbranch_execz .LBB625_551
; %bb.546:                              ;   in Loop: Header=BB625_215 Depth=1
	v_lshrrev_b32_e32 v44, 24, v42
	v_cmp_ne_u32_e32 vcc, s9, v44
	v_bfrev_b32_e32 v62, 1
	s_and_saveexec_b64 s[16:17], vcc
	s_cbranch_execz .LBB625_550
; %bb.547:                              ;   in Loop: Header=BB625_215 Depth=1
	v_bfe_u32 v42, v42, 24, 7
	v_cmp_ne_u32_e32 vcc, s21, v42
	v_mov_b32_e32 v62, 0x7f800001
	s_and_saveexec_b64 s[18:19], vcc
	s_cbranch_execz .LBB625_549
; %bb.548:                              ;   in Loop: Header=BB625_215 Depth=1
	v_and_b32_e32 v64, 7, v44
	v_ffbh_u32_e32 v62, v64
	v_min_u32_e32 v66, 32, v62
	v_subrev_u32_e32 v62, 28, v66
	v_lshlrev_b64 v[62:63], v62, v[44:45]
	v_lshrrev_b32_e32 v65, 3, v42
	v_sub_u32_e32 v63, 29, v66
	v_and_b32_e32 v62, 7, v62
	v_cmp_gt_u32_e32 vcc, 8, v42
	v_cndmask_b32_e32 v42, v65, v63, vcc
	v_cndmask_b32_e32 v62, v64, v62, vcc
	v_lshlrev_b32_e32 v44, 24, v44
	v_lshlrev_b32_e32 v62, 20, v62
	v_and_b32_e32 v44, 0x80000000, v44
	v_lshl_add_u32 v42, v42, 23, v56
	v_or3_b32 v62, v44, v42, v62
.LBB625_549:                            ;   in Loop: Header=BB625_215 Depth=1
	s_or_b64 exec, exec, s[18:19]
.LBB625_550:                            ;   in Loop: Header=BB625_215 Depth=1
	s_or_b64 exec, exec, s[16:17]
.LBB625_551:                            ;   in Loop: Header=BB625_215 Depth=1
	s_or_b64 exec, exec, s[14:15]
	v_cvt_pkrtz_f16_f32 v64, v52, v57
	v_cvt_pkrtz_f16_f32 v65, v51, v59
	;; [unrolled: 1-line block ×4, first 2 shown]
	s_waitcnt vmcnt(1)
	v_cmp_ne_u16_sdwa s[16:17], v40, v55 src0_sel:BYTE_0 src1_sel:DWORD
	v_mfma_f32_16x16x16f16 v[34:37], v[64:65], v[26:27], v[34:37]
	v_mfma_f32_16x16x16f16 v[34:37], v[58:59], v[28:29], v[34:37]
	s_and_saveexec_b64 s[14:15], s[16:17]
	s_cbranch_execz .LBB625_557
; %bb.552:                              ;   in Loop: Header=BB625_215 Depth=1
	v_cmp_ne_u16_sdwa s[18:19], v40, s9 src0_sel:BYTE_0 src1_sel:DWORD
	v_bfrev_b32_e32 v46, 1
	s_and_saveexec_b64 s[16:17], s[18:19]
	s_cbranch_execz .LBB625_556
; %bb.553:                              ;   in Loop: Header=BB625_215 Depth=1
	v_and_b32_e32 v42, 0x7f, v40
	v_cmp_ne_u32_e32 vcc, s21, v42
	v_mov_b32_e32 v46, 0x7f800001
	s_and_saveexec_b64 s[18:19], vcc
	s_cbranch_execz .LBB625_555
; %bb.554:                              ;   in Loop: Header=BB625_215 Depth=1
	v_and_b32_e32 v44, 7, v40
	v_ffbh_u32_e32 v51, v44
	v_min_u32_e32 v51, 32, v51
	v_subrev_u32_e32 v52, 28, v51
	v_lshlrev_b64 v[58:59], v52, v[40:41]
	v_lshrrev_b32_e32 v46, 3, v42
	v_sub_u32_e32 v51, 29, v51
	v_and_b32_e32 v52, 7, v58
	v_cmp_gt_u32_e32 vcc, 8, v42
	v_cndmask_b32_e32 v42, v46, v51, vcc
	v_cndmask_b32_e32 v44, v44, v52, vcc
	v_lshlrev_b32_e32 v46, 24, v40
	v_lshlrev_b32_e32 v44, 20, v44
	v_and_b32_e32 v46, 0x80000000, v46
	v_lshl_add_u32 v42, v42, 23, v56
	v_or3_b32 v46, v46, v42, v44
.LBB625_555:                            ;   in Loop: Header=BB625_215 Depth=1
	s_or_b64 exec, exec, s[18:19]
.LBB625_556:                            ;   in Loop: Header=BB625_215 Depth=1
	s_or_b64 exec, exec, s[16:17]
.LBB625_557:                            ;   in Loop: Header=BB625_215 Depth=1
	s_or_b64 exec, exec, s[14:15]
	v_lshrrev_b16_e32 v42, 8, v40
	v_cmp_ne_u16_e32 vcc, 0, v42
	v_mov_b32_e32 v44, 0
	v_mov_b32_e32 v51, 0
	s_and_saveexec_b64 s[14:15], vcc
	s_cbranch_execz .LBB625_563
; %bb.558:                              ;   in Loop: Header=BB625_215 Depth=1
	v_cmp_ne_u16_e32 vcc, s9, v42
	v_bfrev_b32_e32 v51, 1
	s_and_saveexec_b64 s[16:17], vcc
	s_cbranch_execz .LBB625_562
; %bb.559:                              ;   in Loop: Header=BB625_215 Depth=1
	v_and_b32_e32 v52, 0x7f, v42
	v_cmp_ne_u32_e32 vcc, s21, v52
	v_mov_b32_e32 v51, 0x7f800001
	s_and_saveexec_b64 s[18:19], vcc
	s_cbranch_execz .LBB625_561
; %bb.560:                              ;   in Loop: Header=BB625_215 Depth=1
	v_and_b32_e32 v51, 7, v42
	v_ffbh_u32_e32 v58, v51
	v_min_u32_e32 v60, 32, v58
	v_subrev_u32_e32 v58, 28, v60
	v_lshlrev_b64 v[58:59], v58, v[42:43]
	v_lshrrev_b32_e32 v57, 3, v52
	v_sub_u32_e32 v42, 29, v60
	v_and_b32_e32 v58, 7, v58
	v_cmp_gt_u32_e32 vcc, 8, v52
	v_cndmask_b32_e32 v42, v57, v42, vcc
	v_cndmask_b32_e32 v51, v51, v58, vcc
	v_lshlrev_b32_e32 v52, 16, v40
	v_lshlrev_b32_e32 v51, 20, v51
	v_and_b32_e32 v52, 0x80000000, v52
	v_lshl_add_u32 v42, v42, 23, v56
	v_or3_b32 v51, v52, v42, v51
.LBB625_561:                            ;   in Loop: Header=BB625_215 Depth=1
	s_or_b64 exec, exec, s[18:19]
.LBB625_562:                            ;   in Loop: Header=BB625_215 Depth=1
	s_or_b64 exec, exec, s[16:17]
.LBB625_563:                            ;   in Loop: Header=BB625_215 Depth=1
	s_or_b64 exec, exec, s[14:15]
	v_lshrrev_b32_e32 v42, 16, v40
	v_cmp_ne_u16_sdwa s[16:17], v42, v55 src0_sel:BYTE_0 src1_sel:DWORD
	s_and_saveexec_b64 s[14:15], s[16:17]
	s_cbranch_execz .LBB625_569
; %bb.564:                              ;   in Loop: Header=BB625_215 Depth=1
	v_cmp_ne_u16_sdwa s[18:19], v42, s9 src0_sel:BYTE_0 src1_sel:DWORD
	v_bfrev_b32_e32 v44, 1
	s_and_saveexec_b64 s[16:17], s[18:19]
	s_cbranch_execz .LBB625_568
; %bb.565:                              ;   in Loop: Header=BB625_215 Depth=1
	v_bfe_u32 v52, v40, 16, 7
	v_cmp_ne_u32_e32 vcc, s21, v52
	v_mov_b32_e32 v44, 0x7f800001
	s_and_saveexec_b64 s[18:19], vcc
	s_cbranch_execz .LBB625_567
; %bb.566:                              ;   in Loop: Header=BB625_215 Depth=1
	v_and_b32_e32 v44, 7, v42
	v_ffbh_u32_e32 v58, v44
	v_min_u32_e32 v60, 32, v58
	v_subrev_u32_e32 v58, 28, v60
	v_lshlrev_b64 v[58:59], v58, v[42:43]
	v_lshrrev_b32_e32 v57, 3, v52
	v_sub_u32_e32 v59, 29, v60
	v_and_b32_e32 v58, 7, v58
	v_cmp_gt_u32_e32 vcc, 8, v52
	v_cndmask_b32_e32 v52, v57, v59, vcc
	v_cndmask_b32_e32 v44, v44, v58, vcc
	v_lshlrev_b32_e32 v42, 24, v42
	v_lshlrev_b32_e32 v44, 20, v44
	v_and_b32_e32 v42, 0x80000000, v42
	v_lshl_add_u32 v52, v52, 23, v56
	v_or3_b32 v44, v42, v52, v44
.LBB625_567:                            ;   in Loop: Header=BB625_215 Depth=1
	s_or_b64 exec, exec, s[18:19]
.LBB625_568:                            ;   in Loop: Header=BB625_215 Depth=1
	s_or_b64 exec, exec, s[16:17]
.LBB625_569:                            ;   in Loop: Header=BB625_215 Depth=1
	s_or_b64 exec, exec, s[14:15]
	v_cmp_lt_u32_e32 vcc, s22, v40
	v_mov_b32_e32 v52, 0
	v_mov_b32_e32 v57, 0
	s_and_saveexec_b64 s[14:15], vcc
	s_cbranch_execz .LBB625_575
; %bb.570:                              ;   in Loop: Header=BB625_215 Depth=1
	v_lshrrev_b32_e32 v42, 24, v40
	v_cmp_ne_u32_e32 vcc, s9, v42
	v_bfrev_b32_e32 v57, 1
	s_and_saveexec_b64 s[16:17], vcc
	s_cbranch_execz .LBB625_574
; %bb.571:                              ;   in Loop: Header=BB625_215 Depth=1
	v_bfe_u32 v40, v40, 24, 7
	v_cmp_ne_u32_e32 vcc, s21, v40
	v_mov_b32_e32 v57, 0x7f800001
	s_and_saveexec_b64 s[18:19], vcc
	s_cbranch_execz .LBB625_573
; %bb.572:                              ;   in Loop: Header=BB625_215 Depth=1
	v_and_b32_e32 v57, 7, v42
	v_ffbh_u32_e32 v58, v57
	v_min_u32_e32 v61, 32, v58
	v_subrev_u32_e32 v58, 28, v61
	v_lshlrev_b64 v[58:59], v58, v[42:43]
	v_lshrrev_b32_e32 v60, 3, v40
	v_sub_u32_e32 v59, 29, v61
	v_and_b32_e32 v58, 7, v58
	v_cmp_gt_u32_e32 vcc, 8, v40
	v_cndmask_b32_e32 v40, v60, v59, vcc
	v_cndmask_b32_e32 v57, v57, v58, vcc
	v_lshlrev_b32_e32 v42, 24, v42
	v_lshlrev_b32_e32 v57, 20, v57
	v_and_b32_e32 v42, 0x80000000, v42
	v_lshl_add_u32 v40, v40, 23, v56
	v_or3_b32 v57, v42, v40, v57
.LBB625_573:                            ;   in Loop: Header=BB625_215 Depth=1
	s_or_b64 exec, exec, s[18:19]
.LBB625_574:                            ;   in Loop: Header=BB625_215 Depth=1
	s_or_b64 exec, exec, s[16:17]
.LBB625_575:                            ;   in Loop: Header=BB625_215 Depth=1
	s_or_b64 exec, exec, s[14:15]
	s_waitcnt vmcnt(0)
	v_cmp_ne_u16_sdwa s[16:17], v38, v55 src0_sel:BYTE_0 src1_sel:DWORD
	s_and_saveexec_b64 s[14:15], s[16:17]
	s_cbranch_execz .LBB625_581
; %bb.576:                              ;   in Loop: Header=BB625_215 Depth=1
	v_cmp_ne_u16_sdwa s[18:19], v38, s9 src0_sel:BYTE_0 src1_sel:DWORD
	v_bfrev_b32_e32 v52, 1
	s_and_saveexec_b64 s[16:17], s[18:19]
	s_cbranch_execz .LBB625_580
; %bb.577:                              ;   in Loop: Header=BB625_215 Depth=1
	v_and_b32_e32 v40, 0x7f, v38
	v_cmp_ne_u32_e32 vcc, s21, v40
	v_mov_b32_e32 v52, 0x7f800001
	s_and_saveexec_b64 s[18:19], vcc
	s_cbranch_execz .LBB625_579
; %bb.578:                              ;   in Loop: Header=BB625_215 Depth=1
	v_and_b32_e32 v42, 7, v38
	v_ffbh_u32_e32 v58, v42
	v_min_u32_e32 v60, 32, v58
	v_subrev_u32_e32 v58, 28, v60
	v_lshlrev_b64 v[58:59], v58, v[38:39]
	v_lshrrev_b32_e32 v52, 3, v40
	v_sub_u32_e32 v59, 29, v60
	v_and_b32_e32 v58, 7, v58
	v_cmp_gt_u32_e32 vcc, 8, v40
	v_cndmask_b32_e32 v40, v52, v59, vcc
	v_cndmask_b32_e32 v42, v42, v58, vcc
	v_lshlrev_b32_e32 v52, 24, v38
	v_lshlrev_b32_e32 v42, 20, v42
	v_and_b32_e32 v52, 0x80000000, v52
	v_lshl_add_u32 v40, v40, 23, v56
	v_or3_b32 v52, v52, v40, v42
.LBB625_579:                            ;   in Loop: Header=BB625_215 Depth=1
	s_or_b64 exec, exec, s[18:19]
.LBB625_580:                            ;   in Loop: Header=BB625_215 Depth=1
	s_or_b64 exec, exec, s[16:17]
.LBB625_581:                            ;   in Loop: Header=BB625_215 Depth=1
	s_or_b64 exec, exec, s[14:15]
	v_lshrrev_b16_e32 v40, 8, v38
	v_cmp_ne_u16_e32 vcc, 0, v40
	v_mov_b32_e32 v42, 0
	v_mov_b32_e32 v58, 0
	s_and_saveexec_b64 s[14:15], vcc
	s_cbranch_execz .LBB625_587
; %bb.582:                              ;   in Loop: Header=BB625_215 Depth=1
	v_cmp_ne_u16_e32 vcc, s9, v40
	v_bfrev_b32_e32 v58, 1
	s_and_saveexec_b64 s[16:17], vcc
	s_cbranch_execz .LBB625_586
; %bb.583:                              ;   in Loop: Header=BB625_215 Depth=1
	v_and_b32_e32 v59, 0x7f, v40
	v_cmp_ne_u32_e32 vcc, s21, v59
	v_mov_b32_e32 v58, 0x7f800001
	s_and_saveexec_b64 s[18:19], vcc
	s_cbranch_execz .LBB625_585
; %bb.584:                              ;   in Loop: Header=BB625_215 Depth=1
	v_and_b32_e32 v58, 7, v40
	v_ffbh_u32_e32 v60, v58
	v_min_u32_e32 v63, 32, v60
	v_subrev_u32_e32 v60, 28, v63
	v_lshlrev_b64 v[60:61], v60, v[40:41]
	v_lshrrev_b32_e32 v62, 3, v59
	v_sub_u32_e32 v40, 29, v63
	v_and_b32_e32 v60, 7, v60
	v_cmp_gt_u32_e32 vcc, 8, v59
	v_cndmask_b32_e32 v40, v62, v40, vcc
	v_cndmask_b32_e32 v58, v58, v60, vcc
	v_lshlrev_b32_e32 v59, 16, v38
	v_lshlrev_b32_e32 v58, 20, v58
	v_and_b32_e32 v59, 0x80000000, v59
	v_lshl_add_u32 v40, v40, 23, v56
	v_or3_b32 v58, v59, v40, v58
.LBB625_585:                            ;   in Loop: Header=BB625_215 Depth=1
	s_or_b64 exec, exec, s[18:19]
.LBB625_586:                            ;   in Loop: Header=BB625_215 Depth=1
	s_or_b64 exec, exec, s[16:17]
.LBB625_587:                            ;   in Loop: Header=BB625_215 Depth=1
	s_or_b64 exec, exec, s[14:15]
	v_lshrrev_b32_e32 v40, 16, v38
	v_cmp_ne_u16_sdwa s[16:17], v40, v55 src0_sel:BYTE_0 src1_sel:DWORD
	s_and_saveexec_b64 s[14:15], s[16:17]
	s_cbranch_execz .LBB625_593
; %bb.588:                              ;   in Loop: Header=BB625_215 Depth=1
	v_cmp_ne_u16_sdwa s[18:19], v40, s9 src0_sel:BYTE_0 src1_sel:DWORD
	v_bfrev_b32_e32 v42, 1
	s_and_saveexec_b64 s[16:17], s[18:19]
	s_cbranch_execz .LBB625_592
; %bb.589:                              ;   in Loop: Header=BB625_215 Depth=1
	v_bfe_u32 v59, v38, 16, 7
	v_cmp_ne_u32_e32 vcc, s21, v59
	v_mov_b32_e32 v42, 0x7f800001
	s_and_saveexec_b64 s[18:19], vcc
	s_cbranch_execz .LBB625_591
; %bb.590:                              ;   in Loop: Header=BB625_215 Depth=1
	v_and_b32_e32 v42, 7, v40
	v_ffbh_u32_e32 v60, v42
	v_min_u32_e32 v63, 32, v60
	v_subrev_u32_e32 v60, 28, v63
	v_lshlrev_b64 v[60:61], v60, v[40:41]
	v_lshrrev_b32_e32 v62, 3, v59
	v_sub_u32_e32 v61, 29, v63
	v_and_b32_e32 v60, 7, v60
	v_cmp_gt_u32_e32 vcc, 8, v59
	v_cndmask_b32_e32 v59, v62, v61, vcc
	v_cndmask_b32_e32 v42, v42, v60, vcc
	v_lshlrev_b32_e32 v40, 24, v40
	v_lshlrev_b32_e32 v42, 20, v42
	v_and_b32_e32 v40, 0x80000000, v40
	v_lshl_add_u32 v59, v59, 23, v56
	v_or3_b32 v42, v40, v59, v42
.LBB625_591:                            ;   in Loop: Header=BB625_215 Depth=1
	s_or_b64 exec, exec, s[18:19]
.LBB625_592:                            ;   in Loop: Header=BB625_215 Depth=1
	s_or_b64 exec, exec, s[16:17]
.LBB625_593:                            ;   in Loop: Header=BB625_215 Depth=1
	s_or_b64 exec, exec, s[14:15]
	v_cmp_lt_u32_e32 vcc, s22, v38
	v_mov_b32_e32 v59, 0
	s_and_saveexec_b64 s[14:15], vcc
	s_cbranch_execz .LBB625_214
; %bb.594:                              ;   in Loop: Header=BB625_215 Depth=1
	v_lshrrev_b32_e32 v40, 24, v38
	v_cmp_ne_u32_e32 vcc, s9, v40
	v_bfrev_b32_e32 v59, 1
	s_and_saveexec_b64 s[16:17], vcc
	s_cbranch_execz .LBB625_213
; %bb.595:                              ;   in Loop: Header=BB625_215 Depth=1
	v_bfe_u32 v38, v38, 24, 7
	v_cmp_ne_u32_e32 vcc, s21, v38
	v_mov_b32_e32 v59, 0x7f800001
	s_and_saveexec_b64 s[18:19], vcc
	s_cbranch_execz .LBB625_212
; %bb.596:                              ;   in Loop: Header=BB625_215 Depth=1
	v_and_b32_e32 v59, 7, v40
	v_ffbh_u32_e32 v60, v59
	v_min_u32_e32 v63, 32, v60
	v_subrev_u32_e32 v60, 28, v63
	v_lshlrev_b64 v[60:61], v60, v[40:41]
	v_lshrrev_b32_e32 v62, 3, v38
	v_sub_u32_e32 v61, 29, v63
	v_and_b32_e32 v60, 7, v60
	v_cmp_gt_u32_e32 vcc, 8, v38
	v_cndmask_b32_e32 v38, v62, v61, vcc
	v_cndmask_b32_e32 v59, v59, v60, vcc
	v_lshlrev_b32_e32 v40, 24, v40
	v_lshlrev_b32_e32 v59, 20, v59
	v_and_b32_e32 v40, 0x80000000, v40
	v_lshl_add_u32 v38, v38, 23, v56
	v_or3_b32 v59, v40, v38, v59
	s_branch .LBB625_212
.LBB625_597:
	s_barrier
	buffer_load_dword v2, off, s[0:3], 0 offset:320
	buffer_load_dword v5, off, s[0:3], 0 offset:332
	;; [unrolled: 1-line block ×4, first 2 shown]
	s_waitcnt vmcnt(0)
	ds_write2st64_b64 v53, v[2:3], v[4:5] offset1:1
	s_waitcnt lgkmcnt(0)
	s_barrier
	s_and_saveexec_b64 s[4:5], s[6:7]
	s_cbranch_execz .LBB625_599
; %bb.598:
	s_lshl_b32 s6, s52, 7
	s_mul_i32 s4, s20, s8
	s_mul_hi_u32 s5, s4, s6
	s_mul_i32 s4, s4, s6
	s_lshl_b64 s[4:5], s[4:5], 1
	s_add_u32 s7, s54, s4
	v_lshlrev_b32_e32 v3, 6, v41
	s_addc_u32 s8, s55, s5
	s_lshl_b32 s4, s28, 7
	s_mov_b32 s5, 0
	v_lshl_or_b32 v0, v0, 10, v3
	s_lshl_b64 s[4:5], s[4:5], 1
	v_and_b32_e32 v2, 16, v45
	v_and_b32_e32 v0, 0x1a00, v0
	s_add_u32 s7, s7, s4
	v_or3_b32 v0, v0, v43, v2
	s_addc_u32 s8, s8, s5
	v_mad_u64_u32 v[6:7], s[4:5], s6, v39, 0
	ds_read_b128 v[2:5], v0
	v_lshlrev_b64 v[6:7], 1, v[6:7]
	v_mov_b32_e32 v0, s8
	v_add_co_u32_e32 v6, vcc, s7, v6
	v_addc_co_u32_e32 v7, vcc, v0, v7, vcc
	v_add_co_u32_e32 v0, vcc, v6, v1
	v_addc_co_u32_e32 v1, vcc, 0, v7, vcc
	s_waitcnt lgkmcnt(0)
	global_store_dwordx4 v[0:1], v[2:5], off
.LBB625_599:
	s_endpgm
	.section	.rodata,"a",@progbits
	.p2align	6, 0x0
	.amdhsa_kernel _Z39paged_attention_ll4mi_QKV_mfma16_kernelIDF16_hLN4vllm18Fp8KVCacheDataTypeE1EDF16_Li16ELi128ELi256ELb1ELi4EL8MFMAType0EEvPKT_PKT0_S8_ifPKiSA_SA_iPKfiiiPfSD_PS3_PT2_iSC_SC_
		.amdhsa_group_segment_fixed_size 8192
		.amdhsa_private_segment_fixed_size 352
		.amdhsa_kernarg_size 400
		.amdhsa_user_sgpr_count 8
		.amdhsa_user_sgpr_private_segment_buffer 1
		.amdhsa_user_sgpr_dispatch_ptr 0
		.amdhsa_user_sgpr_queue_ptr 0
		.amdhsa_user_sgpr_kernarg_segment_ptr 1
		.amdhsa_user_sgpr_dispatch_id 0
		.amdhsa_user_sgpr_flat_scratch_init 1
		.amdhsa_user_sgpr_kernarg_preload_length 0
		.amdhsa_user_sgpr_kernarg_preload_offset 0
		.amdhsa_user_sgpr_private_segment_size 0
		.amdhsa_uses_dynamic_stack 0
		.amdhsa_system_sgpr_private_segment_wavefront_offset 1
		.amdhsa_system_sgpr_workgroup_id_x 1
		.amdhsa_system_sgpr_workgroup_id_y 1
		.amdhsa_system_sgpr_workgroup_id_z 1
		.amdhsa_system_sgpr_workgroup_info 0
		.amdhsa_system_vgpr_workitem_id 0
		.amdhsa_next_free_vgpr 82
		.amdhsa_next_free_sgpr 56
		.amdhsa_accum_offset 84
		.amdhsa_reserve_vcc 1
		.amdhsa_reserve_flat_scratch 0
		.amdhsa_float_round_mode_32 0
		.amdhsa_float_round_mode_16_64 0
		.amdhsa_float_denorm_mode_32 3
		.amdhsa_float_denorm_mode_16_64 3
		.amdhsa_dx10_clamp 1
		.amdhsa_ieee_mode 1
		.amdhsa_fp16_overflow 0
		.amdhsa_tg_split 0
		.amdhsa_exception_fp_ieee_invalid_op 0
		.amdhsa_exception_fp_denorm_src 0
		.amdhsa_exception_fp_ieee_div_zero 0
		.amdhsa_exception_fp_ieee_overflow 0
		.amdhsa_exception_fp_ieee_underflow 0
		.amdhsa_exception_fp_ieee_inexact 0
		.amdhsa_exception_int_div_zero 0
	.end_amdhsa_kernel
	.section	.text._Z39paged_attention_ll4mi_QKV_mfma16_kernelIDF16_hLN4vllm18Fp8KVCacheDataTypeE1EDF16_Li16ELi128ELi256ELb1ELi4EL8MFMAType0EEvPKT_PKT0_S8_ifPKiSA_SA_iPKfiiiPfSD_PS3_PT2_iSC_SC_,"axG",@progbits,_Z39paged_attention_ll4mi_QKV_mfma16_kernelIDF16_hLN4vllm18Fp8KVCacheDataTypeE1EDF16_Li16ELi128ELi256ELb1ELi4EL8MFMAType0EEvPKT_PKT0_S8_ifPKiSA_SA_iPKfiiiPfSD_PS3_PT2_iSC_SC_,comdat
.Lfunc_end625:
	.size	_Z39paged_attention_ll4mi_QKV_mfma16_kernelIDF16_hLN4vllm18Fp8KVCacheDataTypeE1EDF16_Li16ELi128ELi256ELb1ELi4EL8MFMAType0EEvPKT_PKT0_S8_ifPKiSA_SA_iPKfiiiPfSD_PS3_PT2_iSC_SC_, .Lfunc_end625-_Z39paged_attention_ll4mi_QKV_mfma16_kernelIDF16_hLN4vllm18Fp8KVCacheDataTypeE1EDF16_Li16ELi128ELi256ELb1ELi4EL8MFMAType0EEvPKT_PKT0_S8_ifPKiSA_SA_iPKfiiiPfSD_PS3_PT2_iSC_SC_
                                        ; -- End function
	.section	.AMDGPU.csdata,"",@progbits
; Kernel info:
; codeLenInByte = 21316
; NumSgprs: 60
; NumVgprs: 82
; NumAgprs: 0
; TotalNumVgprs: 82
; ScratchSize: 352
; MemoryBound: 0
; FloatMode: 240
; IeeeMode: 1
; LDSByteSize: 8192 bytes/workgroup (compile time only)
; SGPRBlocks: 7
; VGPRBlocks: 10
; NumSGPRsForWavesPerEU: 60
; NumVGPRsForWavesPerEU: 82
; AccumOffset: 84
; Occupancy: 5
; WaveLimiterHint : 1
; COMPUTE_PGM_RSRC2:SCRATCH_EN: 1
; COMPUTE_PGM_RSRC2:USER_SGPR: 8
; COMPUTE_PGM_RSRC2:TRAP_HANDLER: 0
; COMPUTE_PGM_RSRC2:TGID_X_EN: 1
; COMPUTE_PGM_RSRC2:TGID_Y_EN: 1
; COMPUTE_PGM_RSRC2:TGID_Z_EN: 1
; COMPUTE_PGM_RSRC2:TIDIG_COMP_CNT: 0
; COMPUTE_PGM_RSRC3_GFX90A:ACCUM_OFFSET: 20
; COMPUTE_PGM_RSRC3_GFX90A:TG_SPLIT: 0
	.section	.text._Z39paged_attention_ll4mi_QKV_mfma16_kernelIDF16_hLN4vllm18Fp8KVCacheDataTypeE1EDF16_Li16ELi128ELi256ELb0ELi5EL8MFMAType0EEvPKT_PKT0_S8_ifPKiSA_SA_iPKfiiiPfSD_PS3_PT2_iSC_SC_,"axG",@progbits,_Z39paged_attention_ll4mi_QKV_mfma16_kernelIDF16_hLN4vllm18Fp8KVCacheDataTypeE1EDF16_Li16ELi128ELi256ELb0ELi5EL8MFMAType0EEvPKT_PKT0_S8_ifPKiSA_SA_iPKfiiiPfSD_PS3_PT2_iSC_SC_,comdat
	.protected	_Z39paged_attention_ll4mi_QKV_mfma16_kernelIDF16_hLN4vllm18Fp8KVCacheDataTypeE1EDF16_Li16ELi128ELi256ELb0ELi5EL8MFMAType0EEvPKT_PKT0_S8_ifPKiSA_SA_iPKfiiiPfSD_PS3_PT2_iSC_SC_ ; -- Begin function _Z39paged_attention_ll4mi_QKV_mfma16_kernelIDF16_hLN4vllm18Fp8KVCacheDataTypeE1EDF16_Li16ELi128ELi256ELb0ELi5EL8MFMAType0EEvPKT_PKT0_S8_ifPKiSA_SA_iPKfiiiPfSD_PS3_PT2_iSC_SC_
	.globl	_Z39paged_attention_ll4mi_QKV_mfma16_kernelIDF16_hLN4vllm18Fp8KVCacheDataTypeE1EDF16_Li16ELi128ELi256ELb0ELi5EL8MFMAType0EEvPKT_PKT0_S8_ifPKiSA_SA_iPKfiiiPfSD_PS3_PT2_iSC_SC_
	.p2align	8
	.type	_Z39paged_attention_ll4mi_QKV_mfma16_kernelIDF16_hLN4vllm18Fp8KVCacheDataTypeE1EDF16_Li16ELi128ELi256ELb0ELi5EL8MFMAType0EEvPKT_PKT0_S8_ifPKiSA_SA_iPKfiiiPfSD_PS3_PT2_iSC_SC_,@function
_Z39paged_attention_ll4mi_QKV_mfma16_kernelIDF16_hLN4vllm18Fp8KVCacheDataTypeE1EDF16_Li16ELi128ELi256ELb0ELi5EL8MFMAType0EEvPKT_PKT0_S8_ifPKiSA_SA_iPKfiiiPfSD_PS3_PT2_iSC_SC_: ; @_Z39paged_attention_ll4mi_QKV_mfma16_kernelIDF16_hLN4vllm18Fp8KVCacheDataTypeE1EDF16_Li16ELi128ELi256ELb0ELi5EL8MFMAType0EEvPKT_PKT0_S8_ifPKiSA_SA_iPKfiiiPfSD_PS3_PT2_iSC_SC_
; %bb.0:
	s_load_dwordx2 s[6:7], s[4:5], 0x30
	s_add_u32 s0, s0, s11
	s_addc_u32 s1, s1, 0
	s_mov_b32 s24, s9
	s_mov_b64 s[12:13], 0
	s_waitcnt lgkmcnt(0)
	s_cmp_lg_u64 s[6:7], 0
	s_cselect_b64 s[16:17], -1, 0
	s_and_b64 vcc, exec, s[16:17]
	s_cbranch_vccz .LBB626_7
; %bb.1:
	s_add_i32 s14, s8, 1
	s_mov_b32 s15, 0
	s_lshl_b64 s[18:19], s[14:15], 2
	s_add_u32 s18, s6, s18
	s_mov_b32 s9, s15
	s_addc_u32 s19, s7, s19
	s_lshl_b64 s[14:15], s[8:9], 2
	s_add_u32 s14, s6, s14
	s_addc_u32 s15, s7, s15
	s_load_dword s11, s[18:19], 0x0
	s_load_dword s20, s[14:15], 0x0
	s_waitcnt lgkmcnt(0)
	s_sub_i32 s11, s11, s20
	s_cmp_eq_u32 s11, 1
	s_cselect_b64 s[14:15], -1, 0
	s_andn2_b64 vcc, exec, s[12:13]
	s_cbranch_vccnz .LBB626_3
.LBB626_2:
	s_mov_b32 s9, 0
	s_mov_b64 s[14:15], -1
.LBB626_3:
	s_andn2_b64 vcc, exec, s[14:15]
	s_cbranch_vccnz .LBB626_598
; %bb.4:
	s_load_dwordx2 s[12:13], s[4:5], 0x28
	s_lshl_b64 s[18:19], s[8:9], 2
	s_waitcnt lgkmcnt(0)
	s_add_u32 s12, s12, s18
	s_addc_u32 s13, s13, s19
	s_load_dword s33, s[12:13], 0x0
	s_lshl_b32 s20, s24, 8
	s_waitcnt lgkmcnt(0)
	s_cmp_ge_i32 s20, s33
	s_cbranch_scc1 .LBB626_598
; %bb.5:
	s_add_i32 s14, s33, 15
	s_load_dwordx2 s[12:13], s[4:5], 0x20
	s_load_dword s11, s[4:5], 0x38
	s_ashr_i32 s15, s14, 31
	v_and_b32_e32 v1, 0xcf, v0
	s_lshr_b32 s15, s15, 28
	v_add_u32_e32 v1, s20, v1
	s_add_i32 s14, s14, s15
	v_ashrrev_i32_e32 v2, 31, v1
	s_ashr_i32 s22, s14, 4
	v_lshrrev_b32_e32 v8, 28, v2
	s_add_i32 s22, s22, -1
	v_add_u32_e32 v2, v1, v8
	s_waitcnt lgkmcnt(0)
	s_mul_i32 s14, s8, s11
	s_mov_b32 s15, 0
	v_ashrrev_i32_e32 v2, 4, v2
	v_mov_b32_e32 v9, s22
	v_cmp_gt_i32_e32 vcc, s33, v1
	s_lshl_b64 s[14:15], s[14:15], 2
	v_cndmask_b32_e32 v2, v9, v2, vcc
	s_add_u32 s11, s12, s14
	v_ashrrev_i32_e32 v3, 31, v2
	s_addc_u32 s21, s13, s15
	v_lshlrev_b64 v[2:3], 2, v[2:3]
	v_mov_b32_e32 v5, s21
	v_add_co_u32_e32 v4, vcc, s11, v2
	v_or_b32_e32 v2, 16, v1
	v_addc_co_u32_e32 v5, vcc, v5, v3, vcc
	v_add_u32_e32 v3, v2, v8
	v_ashrrev_i32_e32 v3, 4, v3
	v_cmp_gt_i32_e32 vcc, s33, v2
	v_cndmask_b32_e32 v2, v9, v3, vcc
	v_ashrrev_i32_e32 v3, 31, v2
	v_lshlrev_b64 v[2:3], 2, v[2:3]
	v_mov_b32_e32 v7, s21
	v_add_co_u32_e32 v6, vcc, s11, v2
	v_or_b32_e32 v2, 32, v1
	v_addc_co_u32_e32 v7, vcc, v7, v3, vcc
	v_add_u32_e32 v3, v2, v8
	v_ashrrev_i32_e32 v3, 4, v3
	v_cmp_gt_i32_e32 vcc, s33, v2
	v_cndmask_b32_e32 v2, v9, v3, vcc
	v_ashrrev_i32_e32 v3, 31, v2
	;; [unrolled: 10-line block ×3, first 2 shown]
	v_lshlrev_b64 v[2:3], 2, v[2:3]
	v_mov_b32_e32 v1, s21
	v_add_co_u32_e32 v12, vcc, s11, v2
	v_addc_co_u32_e32 v13, vcc, v1, v3, vcc
	global_load_dword v2, v[4:5], off
	global_load_dword v9, v[6:7], off
	;; [unrolled: 1-line block ×4, first 2 shown]
	s_load_dwordx4 s[12:15], s[4:5], 0x8
	s_andn2_b64 vcc, exec, s[16:17]
	s_cbranch_vccnz .LBB626_8
; %bb.6:
	s_add_u32 s6, s6, s18
	s_addc_u32 s7, s7, s19
	s_load_dword s16, s[6:7], 0x0
	s_branch .LBB626_9
.LBB626_7:
	s_mov_b64 s[14:15], 0
	s_branch .LBB626_2
.LBB626_8:
	s_mov_b32 s16, s8
.LBB626_9:
	s_load_dwordx2 s[48:49], s[4:5], 0x68
	s_load_dwordx8 s[40:47], s[4:5], 0x48
	v_lshrrev_b32_e32 v62, 6, v0
	v_bfe_u32 v1, v0, 4, 2
	v_and_b32_e32 v55, 15, v0
	v_lshl_or_b32 v3, v62, 2, v1
	v_lshlrev_b32_e32 v4, 3, v55
	s_mul_i32 s25, s10, 5
	v_cmp_gt_u32_e32 vcc, 5, v3
	v_lshlrev_b32_e32 v54, 1, v4
	v_lshlrev_b32_e32 v56, 4, v0
	s_and_saveexec_b64 s[6:7], vcc
	s_cbranch_execz .LBB626_11
; %bb.10:
	s_load_dwordx2 s[18:19], s[4:5], 0x0
	s_waitcnt lgkmcnt(0)
	s_ashr_i32 s17, s40, 31
	s_mul_hi_u32 s23, s16, s40
	s_mul_i32 s17, s16, s17
	s_add_i32 s17, s23, s17
	s_mul_i32 s16, s16, s40
	s_lshl_b64 s[16:17], s[16:17], 1
	v_add_lshl_u32 v4, v3, s25, 7
	s_add_u32 s16, s18, s16
	v_ashrrev_i32_e32 v5, 31, v4
	s_addc_u32 s17, s19, s17
	v_lshlrev_b64 v[4:5], 1, v[4:5]
	v_mov_b32_e32 v6, s17
	v_add_co_u32_e32 v4, vcc, s16, v4
	v_addc_co_u32_e32 v5, vcc, v6, v5, vcc
	v_add_co_u32_e32 v4, vcc, v4, v54
	v_addc_co_u32_e32 v5, vcc, 0, v5, vcc
	global_load_dwordx4 v[4:7], v[4:5], off
	v_lshlrev_b32_e32 v11, 8, v0
	v_lshlrev_b32_e32 v10, 8, v55
	v_and_b32_e32 v11, 0x600, v11
	s_movk_i32 s16, 0x800
	v_and_or_b32 v10, v10, s16, v11
	v_lshlrev_b32_e32 v3, 5, v3
	v_and_b32_e32 v11, 16, v56
	v_or3_b32 v3, v10, v3, v11
	s_waitcnt vmcnt(0)
	ds_write_b128 v3, v[4:7]
.LBB626_11:
	s_or_b64 exec, exec, s[6:7]
	s_waitcnt lgkmcnt(0)
	s_mul_i32 s10, s10, s42
	s_add_u32 s6, s12, s10
	s_addc_u32 s7, s13, 0
	v_and_b32_e32 v3, 0xf0, v56
	v_mov_b32_e32 v4, s7
	v_add_co_u32_e32 v18, vcc, s6, v3
	v_and_b32_e32 v10, 48, v0
	v_addc_co_u32_e32 v19, vcc, 0, v4, vcc
	v_lshlrev_b32_e32 v21, 4, v10
	s_waitcnt vmcnt(3)
	v_mad_i64_i32 v[2:3], s[6:7], v2, s41, v[18:19]
	v_add_co_u32_e32 v6, vcc, v2, v21
	v_addc_co_u32_e32 v7, vcc, 0, v3, vcc
	v_or_b32_e32 v16, s20, v10
	v_ashrrev_i32_e32 v10, 4, v16
	v_mov_b32_e32 v17, s22
	v_cmp_gt_i32_e32 vcc, s33, v16
	v_cndmask_b32_e32 v10, v17, v10, vcc
	v_ashrrev_i32_e32 v11, 31, v10
	v_lshlrev_b64 v[10:11], 2, v[10:11]
	v_mov_b32_e32 v12, s21
	v_add_co_u32_e32 v10, vcc, s11, v10
	v_addc_co_u32_e32 v11, vcc, v12, v11, vcc
	v_or_b32_e32 v12, 64, v16
	v_ashrrev_i32_e32 v13, 4, v12
	v_cmp_gt_i32_e32 vcc, s33, v12
	v_cndmask_b32_e32 v12, v17, v13, vcc
	v_ashrrev_i32_e32 v13, 31, v12
	v_lshlrev_b64 v[12:13], 2, v[12:13]
	v_mov_b32_e32 v14, s21
	v_add_co_u32_e32 v12, vcc, s11, v12
	v_addc_co_u32_e32 v13, vcc, v14, v13, vcc
	v_or_b32_e32 v14, 0x80, v16
	v_ashrrev_i32_e32 v15, 4, v14
	v_cmp_gt_i32_e32 vcc, s33, v14
	v_cndmask_b32_e32 v14, v17, v15, vcc
	v_ashrrev_i32_e32 v15, 31, v14
	v_lshlrev_b64 v[14:15], 2, v[14:15]
	v_mov_b32_e32 v22, s21
	v_add_co_u32_e32 v14, vcc, s11, v14
	s_load_dwordx2 s[50:51], s[4:5], 0x94
	s_waitcnt lgkmcnt(0)
	s_barrier
	global_load_dwordx4 v[2:5], v[6:7], off
	v_addc_co_u32_e32 v15, vcc, v22, v15, vcc
	global_load_dword v50, v[10:11], off
	global_load_dword v57, v[12:13], off
	;; [unrolled: 1-line block ×3, first 2 shown]
	v_or_b32_e32 v10, 0xc0, v16
	v_ashrrev_i32_e32 v11, 4, v10
	v_cmp_gt_i32_e32 vcc, s33, v10
	v_cndmask_b32_e32 v10, v17, v11, vcc
	v_ashrrev_i32_e32 v11, 31, v10
	v_lshlrev_b64 v[10:11], 2, v[10:11]
	v_mov_b32_e32 v12, s21
	v_add_co_u32_e32 v10, vcc, s11, v10
	v_addc_co_u32_e32 v11, vcc, v12, v11, vcc
	global_load_dword v61, v[10:11], off
	global_load_dwordx4 v[14:17], v[6:7], off offset:1024
	s_waitcnt vmcnt(8)
	v_mad_i64_i32 v[6:7], s[6:7], v9, s41, v[18:19]
	v_add_co_u32_e32 v6, vcc, v6, v21
	v_addc_co_u32_e32 v7, vcc, 0, v7, vcc
	global_load_dwordx4 v[42:45], v[6:7], off
	global_load_dwordx4 v[10:13], v[6:7], off offset:1024
	s_waitcnt vmcnt(9)
	v_mad_i64_i32 v[6:7], s[6:7], v8, s41, v[18:19]
	v_add_co_u32_e32 v22, vcc, v6, v21
	v_addc_co_u32_e32 v23, vcc, 0, v7, vcc
	s_waitcnt vmcnt(8)
	v_mad_i64_i32 v[18:19], s[6:7], v20, s41, v[18:19]
	v_add_co_u32_e32 v30, vcc, v18, v21
	s_add_u32 s10, s14, s10
	v_lshl_or_b32 v63, v62, 4, v55
	v_addc_co_u32_e32 v31, vcc, 0, v19, vcc
	s_addc_u32 s11, s15, 0
	global_load_dwordx4 v[6:9], v[22:23], off
	v_mov_b32_e32 v51, s11
	global_load_dwordx4 v[22:25], v[22:23], off offset:1024
	s_mov_b32 s12, 0
	s_movk_i32 s13, 0x80
	s_movk_i32 s14, 0x7f
	s_mov_b32 s15, 0xffffff
	s_waitcnt vmcnt(9)
	buffer_store_dword v5, off, s[0:3], 0 offset:12
	v_lshlrev_b32_e32 v5, 4, v63
	global_load_dwordx4 v[26:29], v[30:31], off
	global_load_dwordx4 v[18:21], v[30:31], off offset:1024
	v_mov_b32_e32 v30, s11
	v_add_co_u32_e32 v38, vcc, s10, v5
	v_addc_co_u32_e32 v39, vcc, 0, v30, vcc
	s_waitcnt vmcnt(11)
	v_mad_i64_i32 v[30:31], s[6:7], v50, s41, v[38:39]
	s_waitcnt vmcnt(10)
	v_mad_i64_i32 v[32:33], s[6:7], v57, s41, v[38:39]
	;; [unrolled: 2-line block ×4, first 2 shown]
	global_load_dwordx4 v[34:37], v[30:31], off
	s_nop 0
	global_load_dwordx4 v[30:33], v[32:33], off
	s_nop 0
	;; [unrolled: 2-line block ×3, first 2 shown]
	global_load_dwordx4 v[38:41], v[38:39], off
	v_or_b32_e32 v5, 0x400, v5
	v_add_co_u32_e32 v58, vcc, s10, v5
	v_addc_co_u32_e32 v59, vcc, 0, v51, vcc
	buffer_store_dword v4, off, s[0:3], 0 offset:8
	v_mad_i64_i32 v[4:5], s[6:7], v57, s41, v[58:59]
	buffer_store_dword v3, off, s[0:3], 0 offset:4
	buffer_store_dword v2, off, s[0:3], 0
	v_mad_i64_i32 v[2:3], s[6:7], v61, s41, v[58:59]
	global_load_dwordx4 v[64:67], v[4:5], off
	global_load_dwordx4 v[72:75], v[2:3], off
	v_mad_i64_i32 v[50:51], s[6:7], v50, s41, v[58:59]
	global_load_dwordx4 v[50:53], v[50:51], off
	v_mad_i64_i32 v[4:5], s[6:7], v60, s41, v[58:59]
	global_load_dwordx4 v[68:71], v[4:5], off
	v_mov_b32_e32 v2, 0x80
	s_waitcnt vmcnt(18)
	buffer_store_dword v17, off, s[0:3], 0 offset:28
	buffer_store_dword v16, off, s[0:3], 0 offset:24
	;; [unrolled: 1-line block ×4, first 2 shown]
	s_waitcnt vmcnt(21)
	buffer_store_dword v45, off, s[0:3], 0 offset:44
	buffer_store_dword v44, off, s[0:3], 0 offset:40
	;; [unrolled: 1-line block ×4, first 2 shown]
	v_add_u32_e32 v43, 16, v2
	v_add_u32_e32 v61, 32, v2
	;; [unrolled: 1-line block ×7, first 2 shown]
	v_mul_lo_u16_e32 v2, 52, v55
	v_mov_b32_e32 v3, 5
	s_load_dword s6, s[4:5], 0x1c
	s_load_dwordx4 s[40:43], s[4:5], 0x80
	v_mul_lo_u16_sdwa v2, v2, v3 dst_sel:DWORD dst_unused:UNUSED_PAD src0_sel:BYTE_1 src1_sel:DWORD
	v_sub_u16_e32 v2, v55, v2
	v_lshlrev_b32_sdwa v2, v3, v2 dst_sel:DWORD dst_unused:UNUSED_PAD src0_sel:DWORD src1_sel:BYTE_0
	s_waitcnt vmcnt(24)
	buffer_store_dword v13, off, s[0:3], 0 offset:60
	buffer_store_dword v12, off, s[0:3], 0 offset:56
	;; [unrolled: 1-line block ×4, first 2 shown]
	s_waitcnt vmcnt(27)
	buffer_store_dword v9, off, s[0:3], 0 offset:76
	buffer_store_dword v8, off, s[0:3], 0 offset:72
	;; [unrolled: 1-line block ×4, first 2 shown]
	v_lshl_add_u32 v14, v1, 9, v2
	ds_read_b128 v[2:5], v14
	ds_read_b128 v[6:9], v14 offset:16
	ds_read_b128 v[10:13], v14 offset:2048
	;; [unrolled: 1-line block ×3, first 2 shown]
	s_waitcnt vmcnt(30)
	buffer_store_dword v25, off, s[0:3], 0 offset:92
	buffer_store_dword v24, off, s[0:3], 0 offset:88
	buffer_store_dword v23, off, s[0:3], 0 offset:84
	buffer_store_dword v22, off, s[0:3], 0 offset:80
	s_waitcnt vmcnt(32)
	buffer_store_dword v29, off, s[0:3], 0 offset:108
	buffer_store_dword v28, off, s[0:3], 0 offset:104
	buffer_store_dword v27, off, s[0:3], 0 offset:100
	buffer_store_dword v26, off, s[0:3], 0 offset:96
	;; [unrolled: 5-line block ×8, first 2 shown]
	buffer_store_dword v67, off, s[0:3], 0 offset:188
	buffer_store_dword v66, off, s[0:3], 0 offset:184
	;; [unrolled: 1-line block ×4, first 2 shown]
	s_waitcnt vmcnt(52)
	buffer_store_dword v71, off, s[0:3], 0 offset:220
	buffer_store_dword v70, off, s[0:3], 0 offset:216
	buffer_store_dword v69, off, s[0:3], 0 offset:212
	buffer_store_dword v68, off, s[0:3], 0 offset:208
	buffer_store_dword v75, off, s[0:3], 0 offset:252
	s_waitcnt lgkmcnt(0)
	s_load_dword s4, s[40:41], 0x0
	v_mov_b32_e32 v18, s6
	v_and_b32_e32 v42, 63, v0
	v_mov_b32_e32 v27, 0
	v_mov_b32_e32 v29, 0
	s_waitcnt lgkmcnt(0)
	v_mul_f32_e32 v22, s4, v18
	v_mov_b32_e32 v24, v22
	v_mov_b32_e32 v25, v22
	;; [unrolled: 1-line block ×3, first 2 shown]
	v_bfrev_b32_e32 v33, 60
	buffer_store_dword v74, off, s[0:3], 0 offset:248
	buffer_store_dword v73, off, s[0:3], 0 offset:244
	;; [unrolled: 1-line block ×3, first 2 shown]
	s_branch .LBB626_15
.LBB626_12:                             ;   in Loop: Header=BB626_15 Depth=1
	s_or_b64 exec, exec, s[10:11]
.LBB626_13:                             ;   in Loop: Header=BB626_15 Depth=1
	s_or_b64 exec, exec, s[6:7]
.LBB626_14:                             ;   in Loop: Header=BB626_15 Depth=1
	s_or_b64 exec, exec, s[4:5]
	v_cvt_pkrtz_f16_f32 v40, v34, v32
	v_cvt_pkrtz_f16_f32 v41, v23, v36
	;; [unrolled: 1-line block ×4, first 2 shown]
	v_add_u32_e32 v26, s12, v31
	v_mfma_f32_16x16x16f16 v[18:21], v[40:41], v[14:15], v[18:21]
	s_add_i32 s12, s12, 16
	v_mov_b32_e32 v23, v22
	s_cmp_eq_u32 s12, 64
	v_add_u32_e32 v27, 32, v27
	v_mfma_f32_16x16x16f16 v[18:21], v[34:35], v[16:17], v[18:21]
	s_nop 7
	s_nop 2
	v_pk_mul_f32 v[18:19], v[24:25], v[18:19]
	v_pk_mul_f32 v[20:21], v[22:23], v[20:21]
	buffer_store_dword v19, v26, s[0:3], 0 offen offset:4
	buffer_store_dword v18, v26, s[0:3], 0 offen
	buffer_store_dword v21, v26, s[0:3], 0 offen offset:12
	buffer_store_dword v20, v26, s[0:3], 0 offen offset:8
	s_cbranch_scc1 .LBB626_205
.LBB626_15:                             ; =>This Inner Loop Header: Depth=1
	buffer_load_dword v20, v27, s[0:3], 0 offen
	buffer_load_dword v18, v27, s[0:3], 0 offen offset:4
	buffer_load_dword v28, v27, s[0:3], 0 offen offset:8
	;; [unrolled: 1-line block ×3, first 2 shown]
	v_mov_b32_e32 v19, 0
	s_waitcnt vmcnt(3)
	v_cmp_ne_u16_sdwa s[6:7], v20, v29 src0_sel:BYTE_0 src1_sel:DWORD
	s_and_saveexec_b64 s[4:5], s[6:7]
	s_cbranch_execz .LBB626_21
; %bb.16:                               ;   in Loop: Header=BB626_15 Depth=1
	v_cmp_ne_u16_sdwa s[10:11], v20, s13 src0_sel:BYTE_0 src1_sel:DWORD
	v_bfrev_b32_e32 v19, 1
	s_and_saveexec_b64 s[6:7], s[10:11]
	s_cbranch_execz .LBB626_20
; %bb.17:                               ;   in Loop: Header=BB626_15 Depth=1
	v_and_b32_e32 v21, 0x7f, v20
	v_cmp_ne_u32_e32 vcc, s14, v21
	v_mov_b32_e32 v19, 0x7f800001
	s_and_saveexec_b64 s[10:11], vcc
	s_cbranch_execz .LBB626_19
; %bb.18:                               ;   in Loop: Header=BB626_15 Depth=1
	v_and_b32_e32 v19, 7, v20
	v_ffbh_u32_e32 v30, v19
	v_min_u32_e32 v30, 32, v30
	v_subrev_u32_e32 v32, 28, v30
	v_lshlrev_b64 v[34:35], v32, v[20:21]
	v_lshrrev_b32_e32 v23, 3, v21
	v_sub_u32_e32 v30, 29, v30
	v_and_b32_e32 v32, 7, v34
	v_cmp_gt_u32_e32 vcc, 8, v21
	v_cndmask_b32_e32 v21, v23, v30, vcc
	v_cndmask_b32_e32 v19, v19, v32, vcc
	v_lshlrev_b32_e32 v23, 24, v20
	v_lshlrev_b32_e32 v19, 20, v19
	v_and_b32_e32 v23, 0x80000000, v23
	v_lshl_add_u32 v21, v21, 23, v33
	v_or3_b32 v19, v23, v21, v19
.LBB626_19:                             ;   in Loop: Header=BB626_15 Depth=1
	s_or_b64 exec, exec, s[10:11]
.LBB626_20:                             ;   in Loop: Header=BB626_15 Depth=1
	s_or_b64 exec, exec, s[6:7]
.LBB626_21:                             ;   in Loop: Header=BB626_15 Depth=1
	s_or_b64 exec, exec, s[4:5]
	v_lshrrev_b16_e32 v30, 8, v20
	v_cmp_ne_u16_e32 vcc, 0, v30
	v_mov_b32_e32 v21, 0
	v_mov_b32_e32 v23, 0
	s_and_saveexec_b64 s[4:5], vcc
	s_cbranch_execz .LBB626_27
; %bb.22:                               ;   in Loop: Header=BB626_15 Depth=1
	v_cmp_ne_u16_e32 vcc, s13, v30
	v_bfrev_b32_e32 v23, 1
	s_and_saveexec_b64 s[6:7], vcc
	s_cbranch_execz .LBB626_26
; %bb.23:                               ;   in Loop: Header=BB626_15 Depth=1
	v_and_b32_e32 v32, 0x7f, v30
	v_cmp_ne_u32_e32 vcc, s14, v32
	v_mov_b32_e32 v23, 0x7f800001
	s_and_saveexec_b64 s[10:11], vcc
	s_cbranch_execz .LBB626_25
; %bb.24:                               ;   in Loop: Header=BB626_15 Depth=1
	v_and_b32_e32 v23, 7, v30
	v_ffbh_u32_e32 v34, v23
	v_min_u32_e32 v37, 32, v34
	v_subrev_u32_e32 v34, 28, v37
	v_lshlrev_b64 v[34:35], v34, v[30:31]
	v_lshrrev_b32_e32 v36, 3, v32
	v_sub_u32_e32 v30, 29, v37
	v_and_b32_e32 v34, 7, v34
	v_cmp_gt_u32_e32 vcc, 8, v32
	v_cndmask_b32_e32 v30, v36, v30, vcc
	v_cndmask_b32_e32 v23, v23, v34, vcc
	v_lshlrev_b32_e32 v32, 16, v20
	v_lshlrev_b32_e32 v23, 20, v23
	v_and_b32_e32 v32, 0x80000000, v32
	v_lshl_add_u32 v30, v30, 23, v33
	v_or3_b32 v23, v32, v30, v23
.LBB626_25:                             ;   in Loop: Header=BB626_15 Depth=1
	s_or_b64 exec, exec, s[10:11]
.LBB626_26:                             ;   in Loop: Header=BB626_15 Depth=1
	s_or_b64 exec, exec, s[6:7]
.LBB626_27:                             ;   in Loop: Header=BB626_15 Depth=1
	s_or_b64 exec, exec, s[4:5]
	v_lshrrev_b32_e32 v30, 16, v20
	v_cmp_ne_u16_sdwa s[6:7], v30, v29 src0_sel:BYTE_0 src1_sel:DWORD
	s_and_saveexec_b64 s[4:5], s[6:7]
	s_cbranch_execz .LBB626_33
; %bb.28:                               ;   in Loop: Header=BB626_15 Depth=1
	v_cmp_ne_u16_sdwa s[10:11], v30, s13 src0_sel:BYTE_0 src1_sel:DWORD
	v_bfrev_b32_e32 v21, 1
	s_and_saveexec_b64 s[6:7], s[10:11]
	s_cbranch_execz .LBB626_32
; %bb.29:                               ;   in Loop: Header=BB626_15 Depth=1
	v_bfe_u32 v32, v20, 16, 7
	v_cmp_ne_u32_e32 vcc, s14, v32
	v_mov_b32_e32 v21, 0x7f800001
	s_and_saveexec_b64 s[10:11], vcc
	s_cbranch_execz .LBB626_31
; %bb.30:                               ;   in Loop: Header=BB626_15 Depth=1
	v_and_b32_e32 v21, 7, v30
	v_ffbh_u32_e32 v34, v21
	v_min_u32_e32 v37, 32, v34
	v_subrev_u32_e32 v34, 28, v37
	v_lshlrev_b64 v[34:35], v34, v[30:31]
	v_lshrrev_b32_e32 v36, 3, v32
	v_sub_u32_e32 v35, 29, v37
	v_and_b32_e32 v34, 7, v34
	v_cmp_gt_u32_e32 vcc, 8, v32
	v_cndmask_b32_e32 v32, v36, v35, vcc
	v_cndmask_b32_e32 v21, v21, v34, vcc
	v_lshlrev_b32_e32 v30, 24, v30
	v_lshlrev_b32_e32 v21, 20, v21
	v_and_b32_e32 v30, 0x80000000, v30
	v_lshl_add_u32 v32, v32, 23, v33
	v_or3_b32 v21, v30, v32, v21
.LBB626_31:                             ;   in Loop: Header=BB626_15 Depth=1
	s_or_b64 exec, exec, s[10:11]
.LBB626_32:                             ;   in Loop: Header=BB626_15 Depth=1
	s_or_b64 exec, exec, s[6:7]
.LBB626_33:                             ;   in Loop: Header=BB626_15 Depth=1
	s_or_b64 exec, exec, s[4:5]
	v_cmp_lt_u32_e32 vcc, s15, v20
	v_mov_b32_e32 v34, 0
	v_mov_b32_e32 v35, 0
	s_and_saveexec_b64 s[4:5], vcc
	s_cbranch_execz .LBB626_39
; %bb.34:                               ;   in Loop: Header=BB626_15 Depth=1
	v_lshrrev_b32_e32 v30, 24, v20
	v_cmp_ne_u32_e32 vcc, s13, v30
	v_bfrev_b32_e32 v35, 1
	s_and_saveexec_b64 s[6:7], vcc
	s_cbranch_execz .LBB626_38
; %bb.35:                               ;   in Loop: Header=BB626_15 Depth=1
	v_bfe_u32 v20, v20, 24, 7
	v_cmp_ne_u32_e32 vcc, s14, v20
	v_mov_b32_e32 v35, 0x7f800001
	s_and_saveexec_b64 s[10:11], vcc
	s_cbranch_execz .LBB626_37
; %bb.36:                               ;   in Loop: Header=BB626_15 Depth=1
	v_and_b32_e32 v32, 7, v30
	v_ffbh_u32_e32 v36, v32
	v_min_u32_e32 v38, 32, v36
	v_subrev_u32_e32 v36, 28, v38
	v_lshlrev_b64 v[36:37], v36, v[30:31]
	v_lshrrev_b32_e32 v35, 3, v20
	v_sub_u32_e32 v37, 29, v38
	v_and_b32_e32 v36, 7, v36
	v_cmp_gt_u32_e32 vcc, 8, v20
	v_cndmask_b32_e32 v20, v35, v37, vcc
	v_cndmask_b32_e32 v32, v32, v36, vcc
	v_lshlrev_b32_e32 v30, 24, v30
	v_lshlrev_b32_e32 v32, 20, v32
	v_and_b32_e32 v30, 0x80000000, v30
	v_lshl_add_u32 v20, v20, 23, v33
	v_or3_b32 v35, v30, v20, v32
.LBB626_37:                             ;   in Loop: Header=BB626_15 Depth=1
	s_or_b64 exec, exec, s[10:11]
.LBB626_38:                             ;   in Loop: Header=BB626_15 Depth=1
	s_or_b64 exec, exec, s[6:7]
.LBB626_39:                             ;   in Loop: Header=BB626_15 Depth=1
	s_or_b64 exec, exec, s[4:5]
	s_waitcnt vmcnt(2)
	v_cmp_ne_u16_sdwa s[6:7], v18, v29 src0_sel:BYTE_0 src1_sel:DWORD
	s_and_saveexec_b64 s[4:5], s[6:7]
	s_cbranch_execz .LBB626_45
; %bb.40:                               ;   in Loop: Header=BB626_15 Depth=1
	v_cmp_ne_u16_sdwa s[10:11], v18, s13 src0_sel:BYTE_0 src1_sel:DWORD
	v_bfrev_b32_e32 v34, 1
	s_and_saveexec_b64 s[6:7], s[10:11]
	s_cbranch_execz .LBB626_44
; %bb.41:                               ;   in Loop: Header=BB626_15 Depth=1
	v_and_b32_e32 v20, 0x7f, v18
	v_cmp_ne_u32_e32 vcc, s14, v20
	v_mov_b32_e32 v34, 0x7f800001
	s_and_saveexec_b64 s[10:11], vcc
	s_cbranch_execz .LBB626_43
; %bb.42:                               ;   in Loop: Header=BB626_15 Depth=1
	v_and_b32_e32 v30, 7, v18
	v_ffbh_u32_e32 v34, v30
	v_min_u32_e32 v34, 32, v34
	v_subrev_u32_e32 v36, 28, v34
	v_lshlrev_b64 v[36:37], v36, v[18:19]
	v_lshrrev_b32_e32 v32, 3, v20
	v_sub_u32_e32 v34, 29, v34
	v_and_b32_e32 v36, 7, v36
	v_cmp_gt_u32_e32 vcc, 8, v20
	v_cndmask_b32_e32 v20, v32, v34, vcc
	v_cndmask_b32_e32 v30, v30, v36, vcc
	v_lshlrev_b32_e32 v32, 24, v18
	v_lshlrev_b32_e32 v30, 20, v30
	v_and_b32_e32 v32, 0x80000000, v32
	v_lshl_add_u32 v20, v20, 23, v33
	v_or3_b32 v34, v32, v20, v30
.LBB626_43:                             ;   in Loop: Header=BB626_15 Depth=1
	s_or_b64 exec, exec, s[10:11]
.LBB626_44:                             ;   in Loop: Header=BB626_15 Depth=1
	s_or_b64 exec, exec, s[6:7]
.LBB626_45:                             ;   in Loop: Header=BB626_15 Depth=1
	s_or_b64 exec, exec, s[4:5]
	v_lshrrev_b16_e32 v20, 8, v18
	v_cmp_ne_u16_e32 vcc, 0, v20
	v_mov_b32_e32 v30, 0
	v_mov_b32_e32 v36, 0
	s_and_saveexec_b64 s[4:5], vcc
	s_cbranch_execz .LBB626_51
; %bb.46:                               ;   in Loop: Header=BB626_15 Depth=1
	v_cmp_ne_u16_e32 vcc, s13, v20
	v_bfrev_b32_e32 v36, 1
	s_and_saveexec_b64 s[6:7], vcc
	s_cbranch_execz .LBB626_50
; %bb.47:                               ;   in Loop: Header=BB626_15 Depth=1
	v_and_b32_e32 v32, 0x7f, v20
	v_cmp_ne_u32_e32 vcc, s14, v32
	v_mov_b32_e32 v36, 0x7f800001
	s_and_saveexec_b64 s[10:11], vcc
	s_cbranch_execz .LBB626_49
; %bb.48:                               ;   in Loop: Header=BB626_15 Depth=1
	v_and_b32_e32 v38, 7, v20
	v_ffbh_u32_e32 v36, v38
	v_min_u32_e32 v40, 32, v36
	v_subrev_u32_e32 v36, 28, v40
	v_lshlrev_b64 v[36:37], v36, v[20:21]
	v_lshrrev_b32_e32 v39, 3, v32
	v_sub_u32_e32 v20, 29, v40
	v_and_b32_e32 v36, 7, v36
	v_cmp_gt_u32_e32 vcc, 8, v32
	v_cndmask_b32_e32 v20, v39, v20, vcc
	v_cndmask_b32_e32 v32, v38, v36, vcc
	v_lshlrev_b32_e32 v36, 16, v18
	v_lshlrev_b32_e32 v32, 20, v32
	v_and_b32_e32 v36, 0x80000000, v36
	v_lshl_add_u32 v20, v20, 23, v33
	v_or3_b32 v36, v36, v20, v32
.LBB626_49:                             ;   in Loop: Header=BB626_15 Depth=1
	s_or_b64 exec, exec, s[10:11]
.LBB626_50:                             ;   in Loop: Header=BB626_15 Depth=1
	s_or_b64 exec, exec, s[6:7]
.LBB626_51:                             ;   in Loop: Header=BB626_15 Depth=1
	s_or_b64 exec, exec, s[4:5]
	v_lshrrev_b32_e32 v20, 16, v18
	v_cmp_ne_u16_sdwa s[6:7], v20, v29 src0_sel:BYTE_0 src1_sel:DWORD
	s_and_saveexec_b64 s[4:5], s[6:7]
	s_cbranch_execz .LBB626_57
; %bb.52:                               ;   in Loop: Header=BB626_15 Depth=1
	v_cmp_ne_u16_sdwa s[10:11], v20, s13 src0_sel:BYTE_0 src1_sel:DWORD
	v_bfrev_b32_e32 v30, 1
	s_and_saveexec_b64 s[6:7], s[10:11]
	s_cbranch_execz .LBB626_56
; %bb.53:                               ;   in Loop: Header=BB626_15 Depth=1
	v_bfe_u32 v32, v18, 16, 7
	v_cmp_ne_u32_e32 vcc, s14, v32
	v_mov_b32_e32 v30, 0x7f800001
	s_and_saveexec_b64 s[10:11], vcc
	s_cbranch_execz .LBB626_55
; %bb.54:                               ;   in Loop: Header=BB626_15 Depth=1
	v_and_b32_e32 v30, 7, v20
	v_ffbh_u32_e32 v38, v30
	v_min_u32_e32 v40, 32, v38
	v_subrev_u32_e32 v38, 28, v40
	v_lshlrev_b64 v[38:39], v38, v[20:21]
	v_lshrrev_b32_e32 v37, 3, v32
	v_sub_u32_e32 v39, 29, v40
	v_and_b32_e32 v38, 7, v38
	v_cmp_gt_u32_e32 vcc, 8, v32
	v_cndmask_b32_e32 v32, v37, v39, vcc
	v_cndmask_b32_e32 v30, v30, v38, vcc
	v_lshlrev_b32_e32 v20, 24, v20
	v_lshlrev_b32_e32 v30, 20, v30
	v_and_b32_e32 v20, 0x80000000, v20
	v_lshl_add_u32 v32, v32, 23, v33
	v_or3_b32 v30, v20, v32, v30
.LBB626_55:                             ;   in Loop: Header=BB626_15 Depth=1
	s_or_b64 exec, exec, s[10:11]
.LBB626_56:                             ;   in Loop: Header=BB626_15 Depth=1
	s_or_b64 exec, exec, s[6:7]
.LBB626_57:                             ;   in Loop: Header=BB626_15 Depth=1
	s_or_b64 exec, exec, s[4:5]
	v_cmp_lt_u32_e32 vcc, s15, v18
	v_mov_b32_e32 v32, 0
	v_mov_b32_e32 v37, 0
	s_and_saveexec_b64 s[4:5], vcc
	s_cbranch_execz .LBB626_63
; %bb.58:                               ;   in Loop: Header=BB626_15 Depth=1
	v_lshrrev_b32_e32 v20, 24, v18
	v_cmp_ne_u32_e32 vcc, s13, v20
	v_bfrev_b32_e32 v37, 1
	s_and_saveexec_b64 s[6:7], vcc
	s_cbranch_execz .LBB626_62
; %bb.59:                               ;   in Loop: Header=BB626_15 Depth=1
	v_bfe_u32 v18, v18, 24, 7
	v_cmp_ne_u32_e32 vcc, s14, v18
	v_mov_b32_e32 v37, 0x7f800001
	s_and_saveexec_b64 s[10:11], vcc
	s_cbranch_execz .LBB626_61
; %bb.60:                               ;   in Loop: Header=BB626_15 Depth=1
	v_and_b32_e32 v37, 7, v20
	v_ffbh_u32_e32 v38, v37
	v_min_u32_e32 v41, 32, v38
	v_subrev_u32_e32 v38, 28, v41
	v_lshlrev_b64 v[38:39], v38, v[20:21]
	v_lshrrev_b32_e32 v40, 3, v18
	v_sub_u32_e32 v39, 29, v41
	v_and_b32_e32 v38, 7, v38
	v_cmp_gt_u32_e32 vcc, 8, v18
	v_cndmask_b32_e32 v18, v40, v39, vcc
	v_cndmask_b32_e32 v37, v37, v38, vcc
	v_lshlrev_b32_e32 v20, 24, v20
	v_lshlrev_b32_e32 v37, 20, v37
	v_and_b32_e32 v20, 0x80000000, v20
	v_lshl_add_u32 v18, v18, 23, v33
	v_or3_b32 v37, v20, v18, v37
.LBB626_61:                             ;   in Loop: Header=BB626_15 Depth=1
	s_or_b64 exec, exec, s[10:11]
.LBB626_62:                             ;   in Loop: Header=BB626_15 Depth=1
	s_or_b64 exec, exec, s[6:7]
.LBB626_63:                             ;   in Loop: Header=BB626_15 Depth=1
	s_or_b64 exec, exec, s[4:5]
	v_cvt_pkrtz_f16_f32 v18, v19, v23
	v_cvt_pkrtz_f16_f32 v19, v21, v35
	;; [unrolled: 1-line block ×4, first 2 shown]
	s_waitcnt vmcnt(1)
	v_cmp_ne_u16_sdwa s[6:7], v28, v29 src0_sel:BYTE_0 src1_sel:DWORD
	v_mfma_f32_16x16x16f16 v[18:21], v[18:19], v[2:3], 0
	v_mfma_f32_16x16x16f16 v[18:21], v[34:35], v[4:5], v[18:21]
	s_and_saveexec_b64 s[4:5], s[6:7]
	s_cbranch_execz .LBB626_69
; %bb.64:                               ;   in Loop: Header=BB626_15 Depth=1
	v_cmp_ne_u16_sdwa s[10:11], v28, s13 src0_sel:BYTE_0 src1_sel:DWORD
	v_bfrev_b32_e32 v32, 1
	s_and_saveexec_b64 s[6:7], s[10:11]
	s_cbranch_execz .LBB626_68
; %bb.65:                               ;   in Loop: Header=BB626_15 Depth=1
	v_and_b32_e32 v23, 0x7f, v28
	v_cmp_ne_u32_e32 vcc, s14, v23
	v_mov_b32_e32 v32, 0x7f800001
	s_and_saveexec_b64 s[10:11], vcc
	s_cbranch_execz .LBB626_67
; %bb.66:                               ;   in Loop: Header=BB626_15 Depth=1
	v_and_b32_e32 v30, 7, v28
	v_ffbh_u32_e32 v34, v30
	v_min_u32_e32 v36, 32, v34
	v_subrev_u32_e32 v34, 28, v36
	v_lshlrev_b64 v[34:35], v34, v[28:29]
	v_lshrrev_b32_e32 v32, 3, v23
	v_sub_u32_e32 v35, 29, v36
	v_and_b32_e32 v34, 7, v34
	v_cmp_gt_u32_e32 vcc, 8, v23
	v_cndmask_b32_e32 v23, v32, v35, vcc
	v_cndmask_b32_e32 v30, v30, v34, vcc
	v_lshlrev_b32_e32 v32, 24, v28
	v_lshlrev_b32_e32 v30, 20, v30
	v_and_b32_e32 v32, 0x80000000, v32
	v_lshl_add_u32 v23, v23, 23, v33
	v_or3_b32 v32, v32, v23, v30
.LBB626_67:                             ;   in Loop: Header=BB626_15 Depth=1
	s_or_b64 exec, exec, s[10:11]
.LBB626_68:                             ;   in Loop: Header=BB626_15 Depth=1
	s_or_b64 exec, exec, s[6:7]
.LBB626_69:                             ;   in Loop: Header=BB626_15 Depth=1
	s_or_b64 exec, exec, s[4:5]
	v_lshrrev_b16_e32 v30, 8, v28
	v_cmp_ne_u16_e32 vcc, 0, v30
	v_mov_b32_e32 v34, 0
	v_mov_b32_e32 v35, 0
	s_and_saveexec_b64 s[4:5], vcc
	s_cbranch_execz .LBB626_75
; %bb.70:                               ;   in Loop: Header=BB626_15 Depth=1
	v_cmp_ne_u16_e32 vcc, s13, v30
	v_bfrev_b32_e32 v35, 1
	s_and_saveexec_b64 s[6:7], vcc
	s_cbranch_execz .LBB626_74
; %bb.71:                               ;   in Loop: Header=BB626_15 Depth=1
	v_and_b32_e32 v23, 0x7f, v30
	v_cmp_ne_u32_e32 vcc, s14, v23
	v_mov_b32_e32 v35, 0x7f800001
	s_and_saveexec_b64 s[10:11], vcc
	s_cbranch_execz .LBB626_73
; %bb.72:                               ;   in Loop: Header=BB626_15 Depth=1
	v_and_b32_e32 v35, 7, v30
	v_ffbh_u32_e32 v36, v35
	v_min_u32_e32 v39, 32, v36
	v_subrev_u32_e32 v36, 28, v39
	v_lshlrev_b64 v[36:37], v36, v[30:31]
	v_lshrrev_b32_e32 v38, 3, v23
	v_sub_u32_e32 v30, 29, v39
	v_and_b32_e32 v36, 7, v36
	v_cmp_gt_u32_e32 vcc, 8, v23
	v_cndmask_b32_e32 v23, v38, v30, vcc
	v_cndmask_b32_e32 v30, v35, v36, vcc
	v_lshlrev_b32_e32 v35, 16, v28
	v_lshlrev_b32_e32 v30, 20, v30
	v_and_b32_e32 v35, 0x80000000, v35
	v_lshl_add_u32 v23, v23, 23, v33
	v_or3_b32 v35, v35, v23, v30
.LBB626_73:                             ;   in Loop: Header=BB626_15 Depth=1
	s_or_b64 exec, exec, s[10:11]
.LBB626_74:                             ;   in Loop: Header=BB626_15 Depth=1
	s_or_b64 exec, exec, s[6:7]
.LBB626_75:                             ;   in Loop: Header=BB626_15 Depth=1
	s_or_b64 exec, exec, s[4:5]
	v_lshrrev_b32_e32 v30, 16, v28
	v_cmp_ne_u16_sdwa s[6:7], v30, v29 src0_sel:BYTE_0 src1_sel:DWORD
	s_and_saveexec_b64 s[4:5], s[6:7]
	s_cbranch_execz .LBB626_81
; %bb.76:                               ;   in Loop: Header=BB626_15 Depth=1
	v_cmp_ne_u16_sdwa s[10:11], v30, s13 src0_sel:BYTE_0 src1_sel:DWORD
	v_bfrev_b32_e32 v34, 1
	s_and_saveexec_b64 s[6:7], s[10:11]
	s_cbranch_execz .LBB626_80
; %bb.77:                               ;   in Loop: Header=BB626_15 Depth=1
	v_bfe_u32 v23, v28, 16, 7
	v_cmp_ne_u32_e32 vcc, s14, v23
	v_mov_b32_e32 v34, 0x7f800001
	s_and_saveexec_b64 s[10:11], vcc
	s_cbranch_execz .LBB626_79
; %bb.78:                               ;   in Loop: Header=BB626_15 Depth=1
	v_and_b32_e32 v34, 7, v30
	v_ffbh_u32_e32 v36, v34
	v_min_u32_e32 v39, 32, v36
	v_subrev_u32_e32 v36, 28, v39
	v_lshlrev_b64 v[36:37], v36, v[30:31]
	v_lshrrev_b32_e32 v38, 3, v23
	v_sub_u32_e32 v37, 29, v39
	v_and_b32_e32 v36, 7, v36
	v_cmp_gt_u32_e32 vcc, 8, v23
	v_cndmask_b32_e32 v23, v38, v37, vcc
	v_cndmask_b32_e32 v34, v34, v36, vcc
	v_lshlrev_b32_e32 v30, 24, v30
	v_lshlrev_b32_e32 v34, 20, v34
	v_and_b32_e32 v30, 0x80000000, v30
	v_lshl_add_u32 v23, v23, 23, v33
	v_or3_b32 v34, v30, v23, v34
.LBB626_79:                             ;   in Loop: Header=BB626_15 Depth=1
	s_or_b64 exec, exec, s[10:11]
.LBB626_80:                             ;   in Loop: Header=BB626_15 Depth=1
	s_or_b64 exec, exec, s[6:7]
.LBB626_81:                             ;   in Loop: Header=BB626_15 Depth=1
	s_or_b64 exec, exec, s[4:5]
	v_cmp_lt_u32_e32 vcc, s15, v28
	v_mov_b32_e32 v36, 0
	v_mov_b32_e32 v37, 0
	s_and_saveexec_b64 s[4:5], vcc
	s_cbranch_execz .LBB626_87
; %bb.82:                               ;   in Loop: Header=BB626_15 Depth=1
	v_lshrrev_b32_e32 v30, 24, v28
	v_cmp_ne_u32_e32 vcc, s13, v30
	v_bfrev_b32_e32 v37, 1
	s_and_saveexec_b64 s[6:7], vcc
	s_cbranch_execz .LBB626_86
; %bb.83:                               ;   in Loop: Header=BB626_15 Depth=1
	v_bfe_u32 v23, v28, 24, 7
	v_cmp_ne_u32_e32 vcc, s14, v23
	v_mov_b32_e32 v37, 0x7f800001
	s_and_saveexec_b64 s[10:11], vcc
	s_cbranch_execz .LBB626_85
; %bb.84:                               ;   in Loop: Header=BB626_15 Depth=1
	v_and_b32_e32 v28, 7, v30
	v_ffbh_u32_e32 v38, v28
	v_min_u32_e32 v40, 32, v38
	v_subrev_u32_e32 v38, 28, v40
	v_lshlrev_b64 v[38:39], v38, v[30:31]
	v_lshrrev_b32_e32 v37, 3, v23
	v_sub_u32_e32 v39, 29, v40
	v_and_b32_e32 v38, 7, v38
	v_cmp_gt_u32_e32 vcc, 8, v23
	v_cndmask_b32_e32 v23, v37, v39, vcc
	v_cndmask_b32_e32 v28, v28, v38, vcc
	v_lshlrev_b32_e32 v30, 24, v30
	v_lshlrev_b32_e32 v28, 20, v28
	v_and_b32_e32 v30, 0x80000000, v30
	v_lshl_add_u32 v23, v23, 23, v33
	v_or3_b32 v37, v30, v23, v28
.LBB626_85:                             ;   in Loop: Header=BB626_15 Depth=1
	s_or_b64 exec, exec, s[10:11]
.LBB626_86:                             ;   in Loop: Header=BB626_15 Depth=1
	s_or_b64 exec, exec, s[6:7]
.LBB626_87:                             ;   in Loop: Header=BB626_15 Depth=1
	s_or_b64 exec, exec, s[4:5]
	s_waitcnt vmcnt(0)
	v_cmp_ne_u16_sdwa s[6:7], v26, v29 src0_sel:BYTE_0 src1_sel:DWORD
	s_and_saveexec_b64 s[4:5], s[6:7]
	s_cbranch_execz .LBB626_93
; %bb.88:                               ;   in Loop: Header=BB626_15 Depth=1
	v_cmp_ne_u16_sdwa s[10:11], v26, s13 src0_sel:BYTE_0 src1_sel:DWORD
	v_bfrev_b32_e32 v36, 1
	s_and_saveexec_b64 s[6:7], s[10:11]
	s_cbranch_execz .LBB626_92
; %bb.89:                               ;   in Loop: Header=BB626_15 Depth=1
	v_and_b32_e32 v23, 0x7f, v26
	v_cmp_ne_u32_e32 vcc, s14, v23
	v_mov_b32_e32 v36, 0x7f800001
	s_and_saveexec_b64 s[10:11], vcc
	s_cbranch_execz .LBB626_91
; %bb.90:                               ;   in Loop: Header=BB626_15 Depth=1
	v_and_b32_e32 v28, 7, v26
	v_ffbh_u32_e32 v36, v28
	v_min_u32_e32 v36, 32, v36
	v_subrev_u32_e32 v38, 28, v36
	v_lshlrev_b64 v[38:39], v38, v[26:27]
	v_lshrrev_b32_e32 v30, 3, v23
	v_sub_u32_e32 v36, 29, v36
	v_and_b32_e32 v38, 7, v38
	v_cmp_gt_u32_e32 vcc, 8, v23
	v_cndmask_b32_e32 v23, v30, v36, vcc
	v_cndmask_b32_e32 v28, v28, v38, vcc
	v_lshlrev_b32_e32 v30, 24, v26
	v_lshlrev_b32_e32 v28, 20, v28
	v_and_b32_e32 v30, 0x80000000, v30
	v_lshl_add_u32 v23, v23, 23, v33
	v_or3_b32 v36, v30, v23, v28
.LBB626_91:                             ;   in Loop: Header=BB626_15 Depth=1
	s_or_b64 exec, exec, s[10:11]
.LBB626_92:                             ;   in Loop: Header=BB626_15 Depth=1
	s_or_b64 exec, exec, s[6:7]
.LBB626_93:                             ;   in Loop: Header=BB626_15 Depth=1
	s_or_b64 exec, exec, s[4:5]
	v_lshrrev_b16_e32 v28, 8, v26
	v_cmp_ne_u16_e32 vcc, 0, v28
	v_mov_b32_e32 v38, 0
	v_mov_b32_e32 v39, 0
	s_and_saveexec_b64 s[4:5], vcc
	s_cbranch_execz .LBB626_99
; %bb.94:                               ;   in Loop: Header=BB626_15 Depth=1
	v_cmp_ne_u16_e32 vcc, s13, v28
	v_bfrev_b32_e32 v39, 1
	s_and_saveexec_b64 s[6:7], vcc
	s_cbranch_execz .LBB626_98
; %bb.95:                               ;   in Loop: Header=BB626_15 Depth=1
	v_and_b32_e32 v23, 0x7f, v28
	v_cmp_ne_u32_e32 vcc, s14, v23
	v_mov_b32_e32 v39, 0x7f800001
	s_and_saveexec_b64 s[10:11], vcc
	s_cbranch_execz .LBB626_97
; %bb.96:                               ;   in Loop: Header=BB626_15 Depth=1
	v_and_b32_e32 v30, 7, v28
	v_ffbh_u32_e32 v40, v30
	v_min_u32_e32 v44, 32, v40
	v_subrev_u32_e32 v40, 28, v44
	v_lshlrev_b64 v[40:41], v40, v[28:29]
	v_lshrrev_b32_e32 v39, 3, v23
	v_sub_u32_e32 v28, 29, v44
	v_and_b32_e32 v40, 7, v40
	v_cmp_gt_u32_e32 vcc, 8, v23
	v_cndmask_b32_e32 v23, v39, v28, vcc
	v_cndmask_b32_e32 v28, v30, v40, vcc
	v_lshlrev_b32_e32 v30, 16, v26
	v_lshlrev_b32_e32 v28, 20, v28
	v_and_b32_e32 v30, 0x80000000, v30
	v_lshl_add_u32 v23, v23, 23, v33
	v_or3_b32 v39, v30, v23, v28
.LBB626_97:                             ;   in Loop: Header=BB626_15 Depth=1
	s_or_b64 exec, exec, s[10:11]
.LBB626_98:                             ;   in Loop: Header=BB626_15 Depth=1
	s_or_b64 exec, exec, s[6:7]
.LBB626_99:                             ;   in Loop: Header=BB626_15 Depth=1
	s_or_b64 exec, exec, s[4:5]
	v_lshrrev_b32_e32 v28, 16, v26
	v_cmp_ne_u16_sdwa s[6:7], v28, v29 src0_sel:BYTE_0 src1_sel:DWORD
	s_and_saveexec_b64 s[4:5], s[6:7]
	s_cbranch_execz .LBB626_105
; %bb.100:                              ;   in Loop: Header=BB626_15 Depth=1
	v_cmp_ne_u16_sdwa s[10:11], v28, s13 src0_sel:BYTE_0 src1_sel:DWORD
	v_bfrev_b32_e32 v38, 1
	s_and_saveexec_b64 s[6:7], s[10:11]
	s_cbranch_execz .LBB626_104
; %bb.101:                              ;   in Loop: Header=BB626_15 Depth=1
	v_bfe_u32 v23, v26, 16, 7
	v_cmp_ne_u32_e32 vcc, s14, v23
	v_mov_b32_e32 v38, 0x7f800001
	s_and_saveexec_b64 s[10:11], vcc
	s_cbranch_execz .LBB626_103
; %bb.102:                              ;   in Loop: Header=BB626_15 Depth=1
	v_and_b32_e32 v30, 7, v28
	v_ffbh_u32_e32 v40, v30
	v_min_u32_e32 v44, 32, v40
	v_subrev_u32_e32 v40, 28, v44
	v_lshlrev_b64 v[40:41], v40, v[28:29]
	v_lshrrev_b32_e32 v38, 3, v23
	v_sub_u32_e32 v41, 29, v44
	v_and_b32_e32 v40, 7, v40
	v_cmp_gt_u32_e32 vcc, 8, v23
	v_cndmask_b32_e32 v23, v38, v41, vcc
	v_cndmask_b32_e32 v30, v30, v40, vcc
	v_lshlrev_b32_e32 v28, 24, v28
	v_lshlrev_b32_e32 v30, 20, v30
	v_and_b32_e32 v28, 0x80000000, v28
	v_lshl_add_u32 v23, v23, 23, v33
	v_or3_b32 v38, v28, v23, v30
.LBB626_103:                            ;   in Loop: Header=BB626_15 Depth=1
	s_or_b64 exec, exec, s[10:11]
.LBB626_104:                            ;   in Loop: Header=BB626_15 Depth=1
	s_or_b64 exec, exec, s[6:7]
.LBB626_105:                            ;   in Loop: Header=BB626_15 Depth=1
	s_or_b64 exec, exec, s[4:5]
	v_cmp_lt_u32_e32 vcc, s15, v26
	v_mov_b32_e32 v23, 0
	v_mov_b32_e32 v40, 0
	s_and_saveexec_b64 s[4:5], vcc
	s_cbranch_execz .LBB626_111
; %bb.106:                              ;   in Loop: Header=BB626_15 Depth=1
	v_lshrrev_b32_e32 v28, 24, v26
	v_cmp_ne_u32_e32 vcc, s13, v28
	v_bfrev_b32_e32 v40, 1
	s_and_saveexec_b64 s[6:7], vcc
	s_cbranch_execz .LBB626_110
; %bb.107:                              ;   in Loop: Header=BB626_15 Depth=1
	v_bfe_u32 v26, v26, 24, 7
	v_cmp_ne_u32_e32 vcc, s14, v26
	v_mov_b32_e32 v40, 0x7f800001
	s_and_saveexec_b64 s[10:11], vcc
	s_cbranch_execz .LBB626_109
; %bb.108:                              ;   in Loop: Header=BB626_15 Depth=1
	v_and_b32_e32 v30, 7, v28
	v_ffbh_u32_e32 v40, v30
	v_min_u32_e32 v46, 32, v40
	v_subrev_u32_e32 v40, 28, v46
	v_lshlrev_b64 v[40:41], v40, v[28:29]
	v_lshrrev_b32_e32 v44, 3, v26
	v_sub_u32_e32 v41, 29, v46
	v_and_b32_e32 v40, 7, v40
	v_cmp_gt_u32_e32 vcc, 8, v26
	v_cndmask_b32_e32 v26, v44, v41, vcc
	v_cndmask_b32_e32 v30, v30, v40, vcc
	v_lshlrev_b32_e32 v28, 24, v28
	v_lshlrev_b32_e32 v30, 20, v30
	v_and_b32_e32 v28, 0x80000000, v28
	v_lshl_add_u32 v26, v26, 23, v33
	v_or3_b32 v40, v28, v26, v30
.LBB626_109:                            ;   in Loop: Header=BB626_15 Depth=1
	s_or_b64 exec, exec, s[10:11]
.LBB626_110:                            ;   in Loop: Header=BB626_15 Depth=1
	s_or_b64 exec, exec, s[6:7]
.LBB626_111:                            ;   in Loop: Header=BB626_15 Depth=1
	s_or_b64 exec, exec, s[4:5]
	v_cvt_pkrtz_f16_f32 v46, v32, v35
	buffer_load_dword v32, v27, s[0:3], 0 offen offset:16
	buffer_load_dword v30, v27, s[0:3], 0 offen offset:20
	;; [unrolled: 1-line block ×4, first 2 shown]
	v_cvt_pkrtz_f16_f32 v47, v34, v37
	v_cvt_pkrtz_f16_f32 v34, v36, v39
	;; [unrolled: 1-line block ×3, first 2 shown]
	v_mfma_f32_16x16x16f16 v[18:21], v[46:47], v[6:7], v[18:21]
	s_waitcnt vmcnt(3)
	v_cmp_ne_u16_sdwa s[6:7], v32, v29 src0_sel:BYTE_0 src1_sel:DWORD
	v_mfma_f32_16x16x16f16 v[18:21], v[34:35], v[8:9], v[18:21]
	s_and_saveexec_b64 s[4:5], s[6:7]
	s_cbranch_execz .LBB626_117
; %bb.112:                              ;   in Loop: Header=BB626_15 Depth=1
	v_cmp_ne_u16_sdwa s[10:11], v32, s13 src0_sel:BYTE_0 src1_sel:DWORD
	v_bfrev_b32_e32 v23, 1
	s_and_saveexec_b64 s[6:7], s[10:11]
	s_cbranch_execz .LBB626_116
; %bb.113:                              ;   in Loop: Header=BB626_15 Depth=1
	v_and_b32_e32 v34, 0x7f, v32
	v_cmp_ne_u32_e32 vcc, s14, v34
	v_mov_b32_e32 v23, 0x7f800001
	s_and_saveexec_b64 s[10:11], vcc
	s_cbranch_execz .LBB626_115
; %bb.114:                              ;   in Loop: Header=BB626_15 Depth=1
	v_and_b32_e32 v23, 7, v32
	v_ffbh_u32_e32 v36, v23
	v_min_u32_e32 v38, 32, v36
	v_subrev_u32_e32 v36, 28, v38
	v_lshlrev_b64 v[36:37], v36, v[32:33]
	v_lshrrev_b32_e32 v35, 3, v34
	v_sub_u32_e32 v37, 29, v38
	v_and_b32_e32 v36, 7, v36
	v_cmp_gt_u32_e32 vcc, 8, v34
	v_cndmask_b32_e32 v34, v35, v37, vcc
	v_cndmask_b32_e32 v23, v23, v36, vcc
	v_lshlrev_b32_e32 v35, 24, v32
	v_lshlrev_b32_e32 v23, 20, v23
	v_and_b32_e32 v35, 0x80000000, v35
	v_lshl_add_u32 v34, v34, 23, v33
	v_or3_b32 v23, v35, v34, v23
.LBB626_115:                            ;   in Loop: Header=BB626_15 Depth=1
	s_or_b64 exec, exec, s[10:11]
.LBB626_116:                            ;   in Loop: Header=BB626_15 Depth=1
	s_or_b64 exec, exec, s[6:7]
.LBB626_117:                            ;   in Loop: Header=BB626_15 Depth=1
	s_or_b64 exec, exec, s[4:5]
	v_lshrrev_b16_e32 v34, 8, v32
	v_cmp_ne_u16_e32 vcc, 0, v34
	v_mov_b32_e32 v35, 0
	v_mov_b32_e32 v36, 0
	s_and_saveexec_b64 s[4:5], vcc
	s_cbranch_execz .LBB626_123
; %bb.118:                              ;   in Loop: Header=BB626_15 Depth=1
	v_cmp_ne_u16_e32 vcc, s13, v34
	v_bfrev_b32_e32 v36, 1
	s_and_saveexec_b64 s[6:7], vcc
	s_cbranch_execz .LBB626_122
; %bb.119:                              ;   in Loop: Header=BB626_15 Depth=1
	v_and_b32_e32 v37, 0x7f, v34
	v_cmp_ne_u32_e32 vcc, s14, v37
	v_mov_b32_e32 v36, 0x7f800001
	s_and_saveexec_b64 s[10:11], vcc
	s_cbranch_execz .LBB626_121
; %bb.120:                              ;   in Loop: Header=BB626_15 Depth=1
	v_and_b32_e32 v36, 7, v34
	v_ffbh_u32_e32 v38, v36
	v_min_u32_e32 v41, 32, v38
	v_subrev_u32_e32 v38, 28, v41
	v_lshlrev_b64 v[38:39], v38, v[34:35]
	v_lshrrev_b32_e32 v40, 3, v37
	v_sub_u32_e32 v34, 29, v41
	v_and_b32_e32 v38, 7, v38
	v_cmp_gt_u32_e32 vcc, 8, v37
	v_cndmask_b32_e32 v34, v40, v34, vcc
	v_cndmask_b32_e32 v36, v36, v38, vcc
	v_lshlrev_b32_e32 v37, 16, v32
	v_lshlrev_b32_e32 v36, 20, v36
	v_and_b32_e32 v37, 0x80000000, v37
	v_lshl_add_u32 v34, v34, 23, v33
	v_or3_b32 v36, v37, v34, v36
.LBB626_121:                            ;   in Loop: Header=BB626_15 Depth=1
	s_or_b64 exec, exec, s[10:11]
.LBB626_122:                            ;   in Loop: Header=BB626_15 Depth=1
	s_or_b64 exec, exec, s[6:7]
.LBB626_123:                            ;   in Loop: Header=BB626_15 Depth=1
	s_or_b64 exec, exec, s[4:5]
	v_lshrrev_b32_e32 v34, 16, v32
	v_cmp_ne_u16_sdwa s[6:7], v34, v29 src0_sel:BYTE_0 src1_sel:DWORD
	s_and_saveexec_b64 s[4:5], s[6:7]
	s_cbranch_execz .LBB626_129
; %bb.124:                              ;   in Loop: Header=BB626_15 Depth=1
	v_cmp_ne_u16_sdwa s[10:11], v34, s13 src0_sel:BYTE_0 src1_sel:DWORD
	v_bfrev_b32_e32 v35, 1
	s_and_saveexec_b64 s[6:7], s[10:11]
	s_cbranch_execz .LBB626_128
; %bb.125:                              ;   in Loop: Header=BB626_15 Depth=1
	v_bfe_u32 v37, v32, 16, 7
	v_cmp_ne_u32_e32 vcc, s14, v37
	v_mov_b32_e32 v35, 0x7f800001
	s_and_saveexec_b64 s[10:11], vcc
	s_cbranch_execz .LBB626_127
; %bb.126:                              ;   in Loop: Header=BB626_15 Depth=1
	v_and_b32_e32 v35, 7, v34
	v_ffbh_u32_e32 v38, v35
	v_min_u32_e32 v41, 32, v38
	v_subrev_u32_e32 v38, 28, v41
	v_lshlrev_b64 v[38:39], v38, v[34:35]
	v_lshrrev_b32_e32 v40, 3, v37
	v_sub_u32_e32 v39, 29, v41
	v_and_b32_e32 v38, 7, v38
	v_cmp_gt_u32_e32 vcc, 8, v37
	v_cndmask_b32_e32 v37, v40, v39, vcc
	v_cndmask_b32_e32 v35, v35, v38, vcc
	v_lshlrev_b32_e32 v34, 24, v34
	v_lshlrev_b32_e32 v35, 20, v35
	v_and_b32_e32 v34, 0x80000000, v34
	v_lshl_add_u32 v37, v37, 23, v33
	v_or3_b32 v35, v34, v37, v35
.LBB626_127:                            ;   in Loop: Header=BB626_15 Depth=1
	s_or_b64 exec, exec, s[10:11]
.LBB626_128:                            ;   in Loop: Header=BB626_15 Depth=1
	s_or_b64 exec, exec, s[6:7]
.LBB626_129:                            ;   in Loop: Header=BB626_15 Depth=1
	s_or_b64 exec, exec, s[4:5]
	v_cmp_lt_u32_e32 vcc, s15, v32
	v_mov_b32_e32 v37, 0
	v_mov_b32_e32 v38, 0
	s_and_saveexec_b64 s[4:5], vcc
	s_cbranch_execz .LBB626_135
; %bb.130:                              ;   in Loop: Header=BB626_15 Depth=1
	v_lshrrev_b32_e32 v34, 24, v32
	v_cmp_ne_u32_e32 vcc, s13, v34
	v_bfrev_b32_e32 v38, 1
	s_and_saveexec_b64 s[6:7], vcc
	s_cbranch_execz .LBB626_134
; %bb.131:                              ;   in Loop: Header=BB626_15 Depth=1
	v_bfe_u32 v32, v32, 24, 7
	v_cmp_ne_u32_e32 vcc, s14, v32
	v_mov_b32_e32 v38, 0x7f800001
	s_and_saveexec_b64 s[10:11], vcc
	s_cbranch_execz .LBB626_133
; %bb.132:                              ;   in Loop: Header=BB626_15 Depth=1
	v_and_b32_e32 v40, 7, v34
	v_ffbh_u32_e32 v38, v40
	v_min_u32_e32 v44, 32, v38
	v_subrev_u32_e32 v38, 28, v44
	v_lshlrev_b64 v[38:39], v38, v[34:35]
	v_lshrrev_b32_e32 v41, 3, v32
	v_sub_u32_e32 v39, 29, v44
	v_and_b32_e32 v38, 7, v38
	v_cmp_gt_u32_e32 vcc, 8, v32
	v_cndmask_b32_e32 v32, v41, v39, vcc
	v_cndmask_b32_e32 v38, v40, v38, vcc
	v_lshlrev_b32_e32 v34, 24, v34
	v_lshlrev_b32_e32 v38, 20, v38
	v_and_b32_e32 v34, 0x80000000, v34
	v_lshl_add_u32 v32, v32, 23, v33
	v_or3_b32 v38, v34, v32, v38
.LBB626_133:                            ;   in Loop: Header=BB626_15 Depth=1
	s_or_b64 exec, exec, s[10:11]
.LBB626_134:                            ;   in Loop: Header=BB626_15 Depth=1
	s_or_b64 exec, exec, s[6:7]
.LBB626_135:                            ;   in Loop: Header=BB626_15 Depth=1
	s_or_b64 exec, exec, s[4:5]
	s_waitcnt vmcnt(2)
	v_cmp_ne_u16_sdwa s[6:7], v30, v29 src0_sel:BYTE_0 src1_sel:DWORD
	s_and_saveexec_b64 s[4:5], s[6:7]
	s_cbranch_execz .LBB626_141
; %bb.136:                              ;   in Loop: Header=BB626_15 Depth=1
	v_cmp_ne_u16_sdwa s[10:11], v30, s13 src0_sel:BYTE_0 src1_sel:DWORD
	v_bfrev_b32_e32 v37, 1
	s_and_saveexec_b64 s[6:7], s[10:11]
	s_cbranch_execz .LBB626_140
; %bb.137:                              ;   in Loop: Header=BB626_15 Depth=1
	v_and_b32_e32 v32, 0x7f, v30
	v_cmp_ne_u32_e32 vcc, s14, v32
	v_mov_b32_e32 v37, 0x7f800001
	s_and_saveexec_b64 s[10:11], vcc
	s_cbranch_execz .LBB626_139
; %bb.138:                              ;   in Loop: Header=BB626_15 Depth=1
	v_and_b32_e32 v34, 7, v30
	v_ffbh_u32_e32 v39, v34
	v_min_u32_e32 v39, 32, v39
	v_subrev_u32_e32 v40, 28, v39
	v_lshlrev_b64 v[40:41], v40, v[30:31]
	v_lshrrev_b32_e32 v37, 3, v32
	v_sub_u32_e32 v39, 29, v39
	v_and_b32_e32 v40, 7, v40
	v_cmp_gt_u32_e32 vcc, 8, v32
	v_cndmask_b32_e32 v32, v37, v39, vcc
	v_cndmask_b32_e32 v34, v34, v40, vcc
	v_lshlrev_b32_e32 v37, 24, v30
	v_lshlrev_b32_e32 v34, 20, v34
	v_and_b32_e32 v37, 0x80000000, v37
	v_lshl_add_u32 v32, v32, 23, v33
	v_or3_b32 v37, v37, v32, v34
.LBB626_139:                            ;   in Loop: Header=BB626_15 Depth=1
	s_or_b64 exec, exec, s[10:11]
.LBB626_140:                            ;   in Loop: Header=BB626_15 Depth=1
	s_or_b64 exec, exec, s[6:7]
.LBB626_141:                            ;   in Loop: Header=BB626_15 Depth=1
	s_or_b64 exec, exec, s[4:5]
	v_lshrrev_b16_e32 v32, 8, v30
	v_cmp_ne_u16_e32 vcc, 0, v32
	v_mov_b32_e32 v39, 0
	v_mov_b32_e32 v40, 0
	s_and_saveexec_b64 s[4:5], vcc
	s_cbranch_execz .LBB626_147
; %bb.142:                              ;   in Loop: Header=BB626_15 Depth=1
	v_cmp_ne_u16_e32 vcc, s13, v32
	v_bfrev_b32_e32 v40, 1
	s_and_saveexec_b64 s[6:7], vcc
	s_cbranch_execz .LBB626_146
; %bb.143:                              ;   in Loop: Header=BB626_15 Depth=1
	v_and_b32_e32 v34, 0x7f, v32
	v_cmp_ne_u32_e32 vcc, s14, v34
	v_mov_b32_e32 v40, 0x7f800001
	s_and_saveexec_b64 s[10:11], vcc
	s_cbranch_execz .LBB626_145
; %bb.144:                              ;   in Loop: Header=BB626_15 Depth=1
	v_and_b32_e32 v44, 7, v32
	v_ffbh_u32_e32 v40, v44
	v_min_u32_e32 v47, 32, v40
	v_subrev_u32_e32 v40, 28, v47
	v_lshlrev_b64 v[40:41], v40, v[32:33]
	v_lshrrev_b32_e32 v46, 3, v34
	v_sub_u32_e32 v32, 29, v47
	v_and_b32_e32 v40, 7, v40
	v_cmp_gt_u32_e32 vcc, 8, v34
	v_cndmask_b32_e32 v32, v46, v32, vcc
	v_cndmask_b32_e32 v34, v44, v40, vcc
	v_lshlrev_b32_e32 v40, 16, v30
	v_lshlrev_b32_e32 v34, 20, v34
	v_and_b32_e32 v40, 0x80000000, v40
	v_lshl_add_u32 v32, v32, 23, v33
	v_or3_b32 v40, v40, v32, v34
.LBB626_145:                            ;   in Loop: Header=BB626_15 Depth=1
	s_or_b64 exec, exec, s[10:11]
.LBB626_146:                            ;   in Loop: Header=BB626_15 Depth=1
	s_or_b64 exec, exec, s[6:7]
.LBB626_147:                            ;   in Loop: Header=BB626_15 Depth=1
	s_or_b64 exec, exec, s[4:5]
	v_lshrrev_b32_e32 v32, 16, v30
	v_cmp_ne_u16_sdwa s[6:7], v32, v29 src0_sel:BYTE_0 src1_sel:DWORD
	s_and_saveexec_b64 s[4:5], s[6:7]
	s_cbranch_execz .LBB626_153
; %bb.148:                              ;   in Loop: Header=BB626_15 Depth=1
	v_cmp_ne_u16_sdwa s[10:11], v32, s13 src0_sel:BYTE_0 src1_sel:DWORD
	v_bfrev_b32_e32 v39, 1
	s_and_saveexec_b64 s[6:7], s[10:11]
	s_cbranch_execz .LBB626_152
; %bb.149:                              ;   in Loop: Header=BB626_15 Depth=1
	v_bfe_u32 v34, v30, 16, 7
	v_cmp_ne_u32_e32 vcc, s14, v34
	v_mov_b32_e32 v39, 0x7f800001
	s_and_saveexec_b64 s[10:11], vcc
	s_cbranch_execz .LBB626_151
; %bb.150:                              ;   in Loop: Header=BB626_15 Depth=1
	v_and_b32_e32 v39, 7, v32
	v_ffbh_u32_e32 v44, v39
	v_min_u32_e32 v44, 32, v44
	v_subrev_u32_e32 v46, 28, v44
	v_lshlrev_b64 v[46:47], v46, v[32:33]
	v_lshrrev_b32_e32 v41, 3, v34
	v_sub_u32_e32 v44, 29, v44
	v_and_b32_e32 v46, 7, v46
	v_cmp_gt_u32_e32 vcc, 8, v34
	v_cndmask_b32_e32 v34, v41, v44, vcc
	v_cndmask_b32_e32 v39, v39, v46, vcc
	v_lshlrev_b32_e32 v32, 24, v32
	v_lshlrev_b32_e32 v39, 20, v39
	v_and_b32_e32 v32, 0x80000000, v32
	v_lshl_add_u32 v34, v34, 23, v33
	v_or3_b32 v39, v32, v34, v39
.LBB626_151:                            ;   in Loop: Header=BB626_15 Depth=1
	s_or_b64 exec, exec, s[10:11]
.LBB626_152:                            ;   in Loop: Header=BB626_15 Depth=1
	s_or_b64 exec, exec, s[6:7]
.LBB626_153:                            ;   in Loop: Header=BB626_15 Depth=1
	s_or_b64 exec, exec, s[4:5]
	v_cmp_lt_u32_e32 vcc, s15, v30
	v_mov_b32_e32 v34, 0
	v_mov_b32_e32 v41, 0
	s_and_saveexec_b64 s[4:5], vcc
	s_cbranch_execz .LBB626_159
; %bb.154:                              ;   in Loop: Header=BB626_15 Depth=1
	v_lshrrev_b32_e32 v32, 24, v30
	v_cmp_ne_u32_e32 vcc, s13, v32
	v_bfrev_b32_e32 v41, 1
	s_and_saveexec_b64 s[6:7], vcc
	s_cbranch_execz .LBB626_158
; %bb.155:                              ;   in Loop: Header=BB626_15 Depth=1
	v_bfe_u32 v30, v30, 24, 7
	v_cmp_ne_u32_e32 vcc, s14, v30
	v_mov_b32_e32 v41, 0x7f800001
	s_and_saveexec_b64 s[10:11], vcc
	s_cbranch_execz .LBB626_157
; %bb.156:                              ;   in Loop: Header=BB626_15 Depth=1
	v_and_b32_e32 v41, 7, v32
	v_ffbh_u32_e32 v46, v41
	v_min_u32_e32 v48, 32, v46
	v_subrev_u32_e32 v46, 28, v48
	v_lshlrev_b64 v[46:47], v46, v[32:33]
	v_lshrrev_b32_e32 v44, 3, v30
	v_sub_u32_e32 v47, 29, v48
	v_and_b32_e32 v46, 7, v46
	v_cmp_gt_u32_e32 vcc, 8, v30
	v_cndmask_b32_e32 v30, v44, v47, vcc
	v_cndmask_b32_e32 v41, v41, v46, vcc
	v_lshlrev_b32_e32 v32, 24, v32
	v_lshlrev_b32_e32 v41, 20, v41
	v_and_b32_e32 v32, 0x80000000, v32
	v_lshl_add_u32 v30, v30, 23, v33
	v_or3_b32 v41, v32, v30, v41
.LBB626_157:                            ;   in Loop: Header=BB626_15 Depth=1
	s_or_b64 exec, exec, s[10:11]
.LBB626_158:                            ;   in Loop: Header=BB626_15 Depth=1
	s_or_b64 exec, exec, s[6:7]
.LBB626_159:                            ;   in Loop: Header=BB626_15 Depth=1
	s_or_b64 exec, exec, s[4:5]
	v_cvt_pkrtz_f16_f32 v46, v23, v36
	v_cvt_pkrtz_f16_f32 v47, v35, v38
	;; [unrolled: 1-line block ×4, first 2 shown]
	s_waitcnt vmcnt(1)
	v_cmp_ne_u16_sdwa s[6:7], v28, v29 src0_sel:BYTE_0 src1_sel:DWORD
	v_mfma_f32_16x16x16f16 v[18:21], v[46:47], v[10:11], v[18:21]
	v_mfma_f32_16x16x16f16 v[18:21], v[36:37], v[12:13], v[18:21]
	s_and_saveexec_b64 s[4:5], s[6:7]
	s_cbranch_execz .LBB626_165
; %bb.160:                              ;   in Loop: Header=BB626_15 Depth=1
	v_cmp_ne_u16_sdwa s[10:11], v28, s13 src0_sel:BYTE_0 src1_sel:DWORD
	v_bfrev_b32_e32 v34, 1
	s_and_saveexec_b64 s[6:7], s[10:11]
	s_cbranch_execz .LBB626_164
; %bb.161:                              ;   in Loop: Header=BB626_15 Depth=1
	v_and_b32_e32 v23, 0x7f, v28
	v_cmp_ne_u32_e32 vcc, s14, v23
	v_mov_b32_e32 v34, 0x7f800001
	s_and_saveexec_b64 s[10:11], vcc
	s_cbranch_execz .LBB626_163
; %bb.162:                              ;   in Loop: Header=BB626_15 Depth=1
	v_and_b32_e32 v30, 7, v28
	v_ffbh_u32_e32 v34, v30
	v_min_u32_e32 v36, 32, v34
	v_subrev_u32_e32 v34, 28, v36
	v_lshlrev_b64 v[34:35], v34, v[28:29]
	v_lshrrev_b32_e32 v32, 3, v23
	v_sub_u32_e32 v35, 29, v36
	v_and_b32_e32 v34, 7, v34
	v_cmp_gt_u32_e32 vcc, 8, v23
	v_cndmask_b32_e32 v23, v32, v35, vcc
	v_cndmask_b32_e32 v30, v30, v34, vcc
	v_lshlrev_b32_e32 v32, 24, v28
	v_lshlrev_b32_e32 v30, 20, v30
	v_and_b32_e32 v32, 0x80000000, v32
	v_lshl_add_u32 v23, v23, 23, v33
	v_or3_b32 v34, v32, v23, v30
.LBB626_163:                            ;   in Loop: Header=BB626_15 Depth=1
	s_or_b64 exec, exec, s[10:11]
.LBB626_164:                            ;   in Loop: Header=BB626_15 Depth=1
	s_or_b64 exec, exec, s[6:7]
.LBB626_165:                            ;   in Loop: Header=BB626_15 Depth=1
	s_or_b64 exec, exec, s[4:5]
	v_lshrrev_b16_e32 v30, 8, v28
	v_cmp_ne_u16_e32 vcc, 0, v30
	v_mov_b32_e32 v23, 0
	v_mov_b32_e32 v32, 0
	s_and_saveexec_b64 s[4:5], vcc
	s_cbranch_execz .LBB626_171
; %bb.166:                              ;   in Loop: Header=BB626_15 Depth=1
	v_cmp_ne_u16_e32 vcc, s13, v30
	v_bfrev_b32_e32 v32, 1
	s_and_saveexec_b64 s[6:7], vcc
	s_cbranch_execz .LBB626_170
; %bb.167:                              ;   in Loop: Header=BB626_15 Depth=1
	v_and_b32_e32 v35, 0x7f, v30
	v_cmp_ne_u32_e32 vcc, s14, v35
	v_mov_b32_e32 v32, 0x7f800001
	s_and_saveexec_b64 s[10:11], vcc
	s_cbranch_execz .LBB626_169
; %bb.168:                              ;   in Loop: Header=BB626_15 Depth=1
	v_and_b32_e32 v32, 7, v30
	v_ffbh_u32_e32 v36, v32
	v_min_u32_e32 v39, 32, v36
	v_subrev_u32_e32 v36, 28, v39
	v_lshlrev_b64 v[36:37], v36, v[30:31]
	v_lshrrev_b32_e32 v38, 3, v35
	v_sub_u32_e32 v30, 29, v39
	v_and_b32_e32 v36, 7, v36
	v_cmp_gt_u32_e32 vcc, 8, v35
	v_cndmask_b32_e32 v30, v38, v30, vcc
	v_cndmask_b32_e32 v32, v32, v36, vcc
	v_lshlrev_b32_e32 v35, 16, v28
	v_lshlrev_b32_e32 v32, 20, v32
	v_and_b32_e32 v35, 0x80000000, v35
	v_lshl_add_u32 v30, v30, 23, v33
	v_or3_b32 v32, v35, v30, v32
.LBB626_169:                            ;   in Loop: Header=BB626_15 Depth=1
	s_or_b64 exec, exec, s[10:11]
.LBB626_170:                            ;   in Loop: Header=BB626_15 Depth=1
	s_or_b64 exec, exec, s[6:7]
.LBB626_171:                            ;   in Loop: Header=BB626_15 Depth=1
	s_or_b64 exec, exec, s[4:5]
	v_lshrrev_b32_e32 v30, 16, v28
	v_cmp_ne_u16_sdwa s[6:7], v30, v29 src0_sel:BYTE_0 src1_sel:DWORD
	s_and_saveexec_b64 s[4:5], s[6:7]
	s_cbranch_execz .LBB626_177
; %bb.172:                              ;   in Loop: Header=BB626_15 Depth=1
	v_cmp_ne_u16_sdwa s[10:11], v30, s13 src0_sel:BYTE_0 src1_sel:DWORD
	v_bfrev_b32_e32 v23, 1
	s_and_saveexec_b64 s[6:7], s[10:11]
	s_cbranch_execz .LBB626_176
; %bb.173:                              ;   in Loop: Header=BB626_15 Depth=1
	v_bfe_u32 v35, v28, 16, 7
	v_cmp_ne_u32_e32 vcc, s14, v35
	v_mov_b32_e32 v23, 0x7f800001
	s_and_saveexec_b64 s[10:11], vcc
	s_cbranch_execz .LBB626_175
; %bb.174:                              ;   in Loop: Header=BB626_15 Depth=1
	v_and_b32_e32 v23, 7, v30
	v_ffbh_u32_e32 v36, v23
	v_min_u32_e32 v39, 32, v36
	v_subrev_u32_e32 v36, 28, v39
	v_lshlrev_b64 v[36:37], v36, v[30:31]
	v_lshrrev_b32_e32 v38, 3, v35
	v_sub_u32_e32 v37, 29, v39
	v_and_b32_e32 v36, 7, v36
	v_cmp_gt_u32_e32 vcc, 8, v35
	v_cndmask_b32_e32 v35, v38, v37, vcc
	v_cndmask_b32_e32 v23, v23, v36, vcc
	v_lshlrev_b32_e32 v30, 24, v30
	v_lshlrev_b32_e32 v23, 20, v23
	v_and_b32_e32 v30, 0x80000000, v30
	v_lshl_add_u32 v35, v35, 23, v33
	v_or3_b32 v23, v30, v35, v23
.LBB626_175:                            ;   in Loop: Header=BB626_15 Depth=1
	s_or_b64 exec, exec, s[10:11]
.LBB626_176:                            ;   in Loop: Header=BB626_15 Depth=1
	s_or_b64 exec, exec, s[6:7]
.LBB626_177:                            ;   in Loop: Header=BB626_15 Depth=1
	s_or_b64 exec, exec, s[4:5]
	v_cmp_lt_u32_e32 vcc, s15, v28
	v_mov_b32_e32 v35, 0
	v_mov_b32_e32 v36, 0
	s_and_saveexec_b64 s[4:5], vcc
	s_cbranch_execz .LBB626_183
; %bb.178:                              ;   in Loop: Header=BB626_15 Depth=1
	v_lshrrev_b32_e32 v30, 24, v28
	v_cmp_ne_u32_e32 vcc, s13, v30
	v_bfrev_b32_e32 v36, 1
	s_and_saveexec_b64 s[6:7], vcc
	s_cbranch_execz .LBB626_182
; %bb.179:                              ;   in Loop: Header=BB626_15 Depth=1
	v_bfe_u32 v28, v28, 24, 7
	v_cmp_ne_u32_e32 vcc, s14, v28
	v_mov_b32_e32 v36, 0x7f800001
	s_and_saveexec_b64 s[10:11], vcc
	s_cbranch_execz .LBB626_181
; %bb.180:                              ;   in Loop: Header=BB626_15 Depth=1
	v_and_b32_e32 v38, 7, v30
	v_ffbh_u32_e32 v36, v38
	v_min_u32_e32 v40, 32, v36
	v_subrev_u32_e32 v36, 28, v40
	v_lshlrev_b64 v[36:37], v36, v[30:31]
	v_lshrrev_b32_e32 v39, 3, v28
	v_sub_u32_e32 v37, 29, v40
	v_and_b32_e32 v36, 7, v36
	v_cmp_gt_u32_e32 vcc, 8, v28
	v_cndmask_b32_e32 v28, v39, v37, vcc
	v_cndmask_b32_e32 v36, v38, v36, vcc
	v_lshlrev_b32_e32 v30, 24, v30
	v_lshlrev_b32_e32 v36, 20, v36
	v_and_b32_e32 v30, 0x80000000, v30
	v_lshl_add_u32 v28, v28, 23, v33
	v_or3_b32 v36, v30, v28, v36
.LBB626_181:                            ;   in Loop: Header=BB626_15 Depth=1
	s_or_b64 exec, exec, s[10:11]
.LBB626_182:                            ;   in Loop: Header=BB626_15 Depth=1
	s_or_b64 exec, exec, s[6:7]
.LBB626_183:                            ;   in Loop: Header=BB626_15 Depth=1
	s_or_b64 exec, exec, s[4:5]
	s_waitcnt vmcnt(0)
	v_cmp_ne_u16_sdwa s[6:7], v26, v29 src0_sel:BYTE_0 src1_sel:DWORD
	s_and_saveexec_b64 s[4:5], s[6:7]
	s_cbranch_execz .LBB626_189
; %bb.184:                              ;   in Loop: Header=BB626_15 Depth=1
	v_cmp_ne_u16_sdwa s[10:11], v26, s13 src0_sel:BYTE_0 src1_sel:DWORD
	v_bfrev_b32_e32 v35, 1
	s_and_saveexec_b64 s[6:7], s[10:11]
	s_cbranch_execz .LBB626_188
; %bb.185:                              ;   in Loop: Header=BB626_15 Depth=1
	v_and_b32_e32 v28, 0x7f, v26
	v_cmp_ne_u32_e32 vcc, s14, v28
	v_mov_b32_e32 v35, 0x7f800001
	s_and_saveexec_b64 s[10:11], vcc
	s_cbranch_execz .LBB626_187
; %bb.186:                              ;   in Loop: Header=BB626_15 Depth=1
	v_and_b32_e32 v30, 7, v26
	v_ffbh_u32_e32 v37, v30
	v_min_u32_e32 v37, 32, v37
	v_subrev_u32_e32 v38, 28, v37
	v_lshlrev_b64 v[38:39], v38, v[26:27]
	v_lshrrev_b32_e32 v35, 3, v28
	v_sub_u32_e32 v37, 29, v37
	v_and_b32_e32 v38, 7, v38
	v_cmp_gt_u32_e32 vcc, 8, v28
	v_cndmask_b32_e32 v28, v35, v37, vcc
	v_cndmask_b32_e32 v30, v30, v38, vcc
	v_lshlrev_b32_e32 v35, 24, v26
	v_lshlrev_b32_e32 v30, 20, v30
	v_and_b32_e32 v35, 0x80000000, v35
	v_lshl_add_u32 v28, v28, 23, v33
	v_or3_b32 v35, v35, v28, v30
.LBB626_187:                            ;   in Loop: Header=BB626_15 Depth=1
	s_or_b64 exec, exec, s[10:11]
.LBB626_188:                            ;   in Loop: Header=BB626_15 Depth=1
	s_or_b64 exec, exec, s[6:7]
.LBB626_189:                            ;   in Loop: Header=BB626_15 Depth=1
	s_or_b64 exec, exec, s[4:5]
	v_lshrrev_b16_e32 v28, 8, v26
	v_cmp_ne_u16_e32 vcc, 0, v28
	v_mov_b32_e32 v30, 0
	v_mov_b32_e32 v37, 0
	s_and_saveexec_b64 s[4:5], vcc
	s_cbranch_execz .LBB626_195
; %bb.190:                              ;   in Loop: Header=BB626_15 Depth=1
	v_cmp_ne_u16_e32 vcc, s13, v28
	v_bfrev_b32_e32 v37, 1
	s_and_saveexec_b64 s[6:7], vcc
	s_cbranch_execz .LBB626_194
; %bb.191:                              ;   in Loop: Header=BB626_15 Depth=1
	v_and_b32_e32 v38, 0x7f, v28
	v_cmp_ne_u32_e32 vcc, s14, v38
	v_mov_b32_e32 v37, 0x7f800001
	s_and_saveexec_b64 s[10:11], vcc
	s_cbranch_execz .LBB626_193
; %bb.192:                              ;   in Loop: Header=BB626_15 Depth=1
	v_and_b32_e32 v37, 7, v28
	v_ffbh_u32_e32 v40, v37
	v_min_u32_e32 v44, 32, v40
	v_subrev_u32_e32 v40, 28, v44
	v_lshlrev_b64 v[40:41], v40, v[28:29]
	v_lshrrev_b32_e32 v39, 3, v38
	v_sub_u32_e32 v28, 29, v44
	v_and_b32_e32 v40, 7, v40
	v_cmp_gt_u32_e32 vcc, 8, v38
	v_cndmask_b32_e32 v28, v39, v28, vcc
	v_cndmask_b32_e32 v37, v37, v40, vcc
	v_lshlrev_b32_e32 v38, 16, v26
	v_lshlrev_b32_e32 v37, 20, v37
	v_and_b32_e32 v38, 0x80000000, v38
	v_lshl_add_u32 v28, v28, 23, v33
	v_or3_b32 v37, v38, v28, v37
.LBB626_193:                            ;   in Loop: Header=BB626_15 Depth=1
	s_or_b64 exec, exec, s[10:11]
.LBB626_194:                            ;   in Loop: Header=BB626_15 Depth=1
	s_or_b64 exec, exec, s[6:7]
.LBB626_195:                            ;   in Loop: Header=BB626_15 Depth=1
	s_or_b64 exec, exec, s[4:5]
	v_lshrrev_b32_e32 v28, 16, v26
	v_cmp_ne_u16_sdwa s[6:7], v28, v29 src0_sel:BYTE_0 src1_sel:DWORD
	s_and_saveexec_b64 s[4:5], s[6:7]
	s_cbranch_execz .LBB626_201
; %bb.196:                              ;   in Loop: Header=BB626_15 Depth=1
	v_cmp_ne_u16_sdwa s[10:11], v28, s13 src0_sel:BYTE_0 src1_sel:DWORD
	v_bfrev_b32_e32 v30, 1
	s_and_saveexec_b64 s[6:7], s[10:11]
	s_cbranch_execz .LBB626_200
; %bb.197:                              ;   in Loop: Header=BB626_15 Depth=1
	v_bfe_u32 v38, v26, 16, 7
	v_cmp_ne_u32_e32 vcc, s14, v38
	v_mov_b32_e32 v30, 0x7f800001
	s_and_saveexec_b64 s[10:11], vcc
	s_cbranch_execz .LBB626_199
; %bb.198:                              ;   in Loop: Header=BB626_15 Depth=1
	v_and_b32_e32 v30, 7, v28
	v_ffbh_u32_e32 v40, v30
	v_min_u32_e32 v44, 32, v40
	v_subrev_u32_e32 v40, 28, v44
	v_lshlrev_b64 v[40:41], v40, v[28:29]
	v_lshrrev_b32_e32 v39, 3, v38
	v_sub_u32_e32 v41, 29, v44
	v_and_b32_e32 v40, 7, v40
	v_cmp_gt_u32_e32 vcc, 8, v38
	v_cndmask_b32_e32 v38, v39, v41, vcc
	v_cndmask_b32_e32 v30, v30, v40, vcc
	v_lshlrev_b32_e32 v28, 24, v28
	v_lshlrev_b32_e32 v30, 20, v30
	v_and_b32_e32 v28, 0x80000000, v28
	v_lshl_add_u32 v38, v38, 23, v33
	v_or3_b32 v30, v28, v38, v30
.LBB626_199:                            ;   in Loop: Header=BB626_15 Depth=1
	s_or_b64 exec, exec, s[10:11]
.LBB626_200:                            ;   in Loop: Header=BB626_15 Depth=1
	s_or_b64 exec, exec, s[6:7]
.LBB626_201:                            ;   in Loop: Header=BB626_15 Depth=1
	s_or_b64 exec, exec, s[4:5]
	v_cmp_lt_u32_e32 vcc, s15, v26
	v_mov_b32_e32 v38, 0
	s_and_saveexec_b64 s[4:5], vcc
	s_cbranch_execz .LBB626_14
; %bb.202:                              ;   in Loop: Header=BB626_15 Depth=1
	v_lshrrev_b32_e32 v28, 24, v26
	v_cmp_ne_u32_e32 vcc, s13, v28
	v_bfrev_b32_e32 v38, 1
	s_and_saveexec_b64 s[6:7], vcc
	s_cbranch_execz .LBB626_13
; %bb.203:                              ;   in Loop: Header=BB626_15 Depth=1
	v_bfe_u32 v26, v26, 24, 7
	v_cmp_ne_u32_e32 vcc, s14, v26
	v_mov_b32_e32 v38, 0x7f800001
	s_and_saveexec_b64 s[10:11], vcc
	s_cbranch_execz .LBB626_12
; %bb.204:                              ;   in Loop: Header=BB626_15 Depth=1
	v_and_b32_e32 v40, 7, v28
	v_ffbh_u32_e32 v38, v40
	v_min_u32_e32 v44, 32, v38
	v_subrev_u32_e32 v38, 28, v44
	v_lshlrev_b64 v[38:39], v38, v[28:29]
	v_lshrrev_b32_e32 v41, 3, v26
	v_sub_u32_e32 v39, 29, v44
	v_and_b32_e32 v38, 7, v38
	v_cmp_gt_u32_e32 vcc, 8, v26
	v_cndmask_b32_e32 v26, v41, v39, vcc
	v_cndmask_b32_e32 v38, v40, v38, vcc
	v_lshlrev_b32_e32 v28, 24, v28
	v_lshlrev_b32_e32 v38, 20, v38
	v_and_b32_e32 v28, 0x80000000, v28
	v_lshl_add_u32 v26, v26, 23, v33
	v_or3_b32 v38, v28, v26, v38
	s_branch .LBB626_12
.LBB626_205:
	buffer_load_dword v13, off, s[0:3], 0 offset:256
	buffer_load_dword v14, off, s[0:3], 0 offset:260
	;; [unrolled: 1-line block ×16, first 2 shown]
	v_and_b32_e32 v12, 0xc0, v0
	v_add_u32_e32 v12, s20, v12
	v_lshl_or_b32 v12, v1, 2, v12
	v_or_b32_e32 v23, 1, v12
	v_mov_b32_e32 v19, 0xff7fffff
	v_or_b32_e32 v24, 2, v12
	v_or_b32_e32 v25, 3, v12
	v_cmp_gt_i32_e64 s[26:27], s33, v12
	v_cmp_gt_i32_e64 s[28:29], s33, v23
	s_mov_b32 s52, 0xff7fffff
	v_or_b32_e32 v26, 16, v12
	v_or_b32_e32 v27, 17, v12
	;; [unrolled: 1-line block ×12, first 2 shown]
	v_cmp_gt_i32_e64 s[30:31], s33, v24
	v_cmp_gt_i32_e64 s[34:35], s33, v25
	v_mbcnt_lo_u32_b32 v20, -1, 0
	v_cmp_gt_i32_e64 s[36:37], s33, v26
	v_cmp_gt_i32_e64 s[38:39], s33, v27
	v_mbcnt_hi_u32_b32 v20, -1, v20
	v_cmp_gt_i32_e64 s[20:21], s33, v28
	v_cmp_gt_i32_e64 s[22:23], s33, v29
	v_and_b32_e32 v21, 64, v20
	v_cmp_gt_i32_e64 s[16:17], s33, v30
	v_cmp_gt_i32_e64 s[18:19], s33, v31
	v_xor_b32_e32 v22, 32, v20
	v_add_u32_e32 v21, 64, v21
	v_cmp_gt_i32_e64 s[12:13], s33, v32
	v_cmp_gt_i32_e64 s[14:15], s33, v33
	v_cmp_lt_i32_e32 vcc, v22, v21
	v_cmp_gt_i32_e64 s[6:7], s33, v34
	v_cmp_gt_i32_e64 s[10:11], s33, v35
	v_cndmask_b32_e32 v22, v20, v22, vcc
	v_cmp_gt_i32_e32 vcc, s33, v36
	v_cmp_gt_i32_e64 s[4:5], s33, v37
	v_lshlrev_b32_e32 v22, 2, v22
	s_waitcnt vmcnt(15)
	v_cndmask_b32_e64 v12, v19, v13, s[26:27]
	s_waitcnt vmcnt(14)
	v_cndmask_b32_e64 v23, v19, v14, s[28:29]
	;; [unrolled: 2-line block ×4, first 2 shown]
	v_max3_f32 v12, v12, s52, v23
	s_waitcnt vmcnt(11)
	v_cndmask_b32_e64 v26, v19, v17, s[36:37]
	s_waitcnt vmcnt(10)
	v_cndmask_b32_e64 v27, v19, v18, s[38:39]
	v_max3_f32 v12, v12, v24, v25
	s_waitcnt vmcnt(9)
	v_cndmask_b32_e64 v28, v19, v11, s[20:21]
	s_waitcnt vmcnt(8)
	v_cndmask_b32_e64 v29, v19, v10, s[22:23]
	v_max3_f32 v12, v12, v26, v27
	s_waitcnt vmcnt(7)
	v_cndmask_b32_e64 v30, v19, v9, s[16:17]
	s_waitcnt vmcnt(6)
	v_cndmask_b32_e64 v31, v19, v8, s[18:19]
	v_max3_f32 v12, v12, v28, v29
	s_waitcnt vmcnt(5)
	v_cndmask_b32_e64 v32, v19, v7, s[12:13]
	s_waitcnt vmcnt(4)
	v_cndmask_b32_e64 v33, v19, v6, s[14:15]
	v_max3_f32 v12, v12, v30, v31
	s_waitcnt vmcnt(3)
	v_cndmask_b32_e64 v34, v19, v5, s[6:7]
	s_waitcnt vmcnt(2)
	v_cndmask_b32_e64 v35, v19, v4, s[10:11]
	v_max3_f32 v12, v12, v32, v33
	s_waitcnt vmcnt(1)
	v_cndmask_b32_e32 v36, v19, v3, vcc
	s_waitcnt vmcnt(0)
	v_cndmask_b32_e64 v19, v19, v2, s[4:5]
	v_max3_f32 v12, v12, v34, v35
	v_max3_f32 v12, v12, v36, v19
	ds_bpermute_b32 v19, v22, v12
	v_xor_b32_e32 v23, 16, v20
	v_cmp_lt_i32_e64 s[40:41], v23, v21
	v_cndmask_b32_e64 v20, v20, v23, s[40:41]
	v_lshlrev_b32_e32 v20, 2, v20
	s_waitcnt lgkmcnt(0)
	v_max_f32_e32 v19, v19, v19
	v_max_f32_e32 v12, v12, v19
	ds_bpermute_b32 v19, v20, v12
	s_waitcnt lgkmcnt(0)
	v_max_f32_e32 v19, v19, v19
	v_max_f32_e32 v12, v12, v19
	v_sub_f32_e32 v13, v13, v12
	v_sub_f32_e32 v14, v14, v12
	;; [unrolled: 1-line block ×3, first 2 shown]
	v_mul_f32_e32 v13, 0x3fb8aa3b, v13
	v_mul_f32_e32 v14, 0x3fb8aa3b, v14
	;; [unrolled: 1-line block ×3, first 2 shown]
	v_exp_f32_e32 v13, v13
	v_exp_f32_e32 v14, v14
	;; [unrolled: 1-line block ×3, first 2 shown]
	v_sub_f32_e32 v16, v16, v12
	v_cndmask_b32_e64 v13, 0, v13, s[26:27]
	v_mul_f32_e32 v16, 0x3fb8aa3b, v16
	v_cndmask_b32_e64 v14, 0, v14, s[28:29]
	v_cndmask_b32_e64 v15, 0, v15, s[30:31]
	v_add_f32_e32 v19, 0, v13
	buffer_store_dword v13, off, s[0:3], 0 offset:256
	buffer_store_dword v14, off, s[0:3], 0 offset:260
	;; [unrolled: 1-line block ×3, first 2 shown]
	v_sub_f32_e32 v13, v17, v12
	v_exp_f32_e32 v16, v16
	v_add_f32_e32 v19, v19, v14
	v_mul_f32_e32 v13, 0x3fb8aa3b, v13
	v_sub_f32_e32 v14, v18, v12
	v_exp_f32_e32 v13, v13
	v_mul_f32_e32 v14, 0x3fb8aa3b, v14
	v_sub_f32_e32 v11, v11, v12
	v_exp_f32_e32 v14, v14
	;; [unrolled: 3-line block ×3, first 2 shown]
	v_mul_f32_e32 v10, 0x3fb8aa3b, v10
	v_sub_f32_e32 v9, v9, v12
	v_cndmask_b32_e64 v16, 0, v16, s[34:35]
	v_add_f32_e32 v19, v19, v15
	v_exp_f32_e32 v10, v10
	v_mul_f32_e32 v9, 0x3fb8aa3b, v9
	v_sub_f32_e32 v8, v8, v12
	v_add_f32_e32 v19, v19, v16
	v_cndmask_b32_e64 v13, 0, v13, s[36:37]
	v_exp_f32_e32 v9, v9
	v_mul_f32_e32 v8, 0x3fb8aa3b, v8
	v_sub_f32_e32 v7, v7, v12
	v_add_f32_e32 v15, v19, v13
	v_cndmask_b32_e64 v14, 0, v14, s[38:39]
	;; [unrolled: 5-line block ×5, first 2 shown]
	v_exp_f32_e32 v5, v5
	v_mul_f32_e32 v4, 0x3fb8aa3b, v4
	v_sub_f32_e32 v3, v3, v12
	buffer_store_dword v16, off, s[0:3], 0 offset:268
	buffer_store_dword v13, off, s[0:3], 0 offset:272
	;; [unrolled: 1-line block ×5, first 2 shown]
	v_add_f32_e32 v10, v15, v9
	v_cndmask_b32_e64 v8, 0, v8, s[18:19]
	v_exp_f32_e32 v4, v4
	v_mul_f32_e32 v3, 0x3fb8aa3b, v3
	v_sub_f32_e32 v2, v2, v12
	v_add_f32_e32 v10, v10, v8
	v_cndmask_b32_e64 v7, 0, v7, s[12:13]
	v_exp_f32_e32 v3, v3
	v_mul_f32_e32 v2, 0x3fb8aa3b, v2
	v_add_f32_e32 v10, v10, v7
	v_cndmask_b32_e64 v6, 0, v6, s[14:15]
	v_exp_f32_e32 v2, v2
	v_add_f32_e32 v10, v10, v6
	v_cndmask_b32_e64 v5, 0, v5, s[6:7]
	buffer_store_dword v9, off, s[0:3], 0 offset:288
	buffer_store_dword v8, off, s[0:3], 0 offset:292
	;; [unrolled: 1-line block ×4, first 2 shown]
	v_add_f32_e32 v6, v10, v5
	v_cndmask_b32_e64 v4, 0, v4, s[10:11]
	v_add_f32_e32 v6, v6, v4
	v_cndmask_b32_e32 v3, 0, v3, vcc
	v_add_f32_e32 v6, v6, v3
	v_cndmask_b32_e64 v2, 0, v2, s[4:5]
	v_add_f32_e32 v6, v6, v2
	ds_bpermute_b32 v7, v22, v6
	buffer_store_dword v5, off, s[0:3], 0 offset:304
	buffer_store_dword v4, off, s[0:3], 0 offset:308
	;; [unrolled: 1-line block ×4, first 2 shown]
	v_cmp_gt_u32_e64 s[4:5], 16, v42
	s_waitcnt lgkmcnt(0)
	s_barrier
	v_add_f32_e32 v2, v6, v7
	ds_bpermute_b32 v3, v20, v2
	s_waitcnt lgkmcnt(0)
	s_and_saveexec_b64 s[6:7], s[4:5]
	s_cbranch_execz .LBB626_207
; %bb.206:
	v_add_f32_e32 v2, v2, v3
	v_lshlrev_b32_e32 v3, 2, v63
	ds_write2st64_b32 v3, v12, v2 offset1:1
.LBB626_207:
	s_or_b64 exec, exec, s[6:7]
	v_lshlrev_b32_e32 v2, 2, v55
	s_waitcnt lgkmcnt(0)
	s_barrier
	ds_read2_b32 v[12:13], v2 offset1:16
	ds_read2_b32 v[14:15], v2 offset0:32 offset1:48
	ds_read2_b32 v[6:7], v2 offset0:64 offset1:80
	;; [unrolled: 1-line block ×3, first 2 shown]
	s_waitcnt lgkmcnt(0)
	s_barrier
	buffer_load_dword v20, off, s[0:3], 0 offset:256
	buffer_load_dword v21, off, s[0:3], 0 offset:260
	;; [unrolled: 1-line block ×16, first 2 shown]
	v_lshlrev_b32_e32 v19, 3, v1
	v_lshlrev_b32_e32 v18, 5, v55
	;; [unrolled: 1-line block ×3, first 2 shown]
	v_or3_b32 v39, v28, v18, v19
	v_max3_f32 v19, v12, s52, v13
	v_max3_f32 v19, v19, v14, v15
	v_sub_f32_e32 v12, v12, v19
	v_sub_f32_e32 v13, v13, v19
	v_mul_f32_e32 v12, 0x3fb8aa3b, v12
	v_sub_f32_e32 v14, v14, v19
	v_mul_f32_e32 v13, 0x3fb8aa3b, v13
	v_exp_f32_e32 v12, v12
	v_sub_f32_e32 v15, v15, v19
	v_mul_f32_e32 v14, 0x3fb8aa3b, v14
	v_exp_f32_e32 v13, v13
	v_mul_f32_e32 v15, 0x3fb8aa3b, v15
	v_exp_f32_e32 v14, v14
	v_exp_f32_e32 v15, v15
	v_fma_f32 v6, v12, v6, 0
	v_fmac_f32_e32 v6, v13, v7
	v_fmac_f32_e32 v6, v14, v10
	;; [unrolled: 1-line block ×3, first 2 shown]
	v_cmp_eq_u32_e32 vcc, 1, v62
	v_add_f32_e32 v10, 0x358637bd, v6
	v_cndmask_b32_e32 v12, v12, v13, vcc
	v_cmp_eq_u32_e32 vcc, 2, v62
	v_div_scale_f32 v11, s[6:7], v10, v10, 1.0
	v_cndmask_b32_e32 v7, v12, v14, vcc
	v_rcp_f32_e32 v12, v11
	v_cmp_eq_u32_e32 vcc, 3, v62
	v_cndmask_b32_e32 v7, v7, v15, vcc
	v_div_scale_f32 v13, vcc, 1.0, v10, 1.0
	v_fma_f32 v14, -v11, v12, 1.0
	v_fmac_f32_e32 v12, v14, v12
	v_mul_f32_e32 v14, v13, v12
	v_fma_f32 v15, -v11, v14, v13
	v_fmac_f32_e32 v14, v15, v12
	v_fma_f32 v11, -v11, v14, v13
	v_div_fmas_f32 v11, v11, v12, v14
	v_div_fixup_f32 v10, v11, v10, 1.0
	v_mul_f32_e32 v10, v7, v10
	s_mul_i32 s20, s51, 5
	v_cmp_gt_u32_e32 vcc, 5, v0
	s_waitcnt vmcnt(14)
	v_pk_mul_f32 v[14:15], v[10:11], v[20:21] op_sel_hi:[0,1]
	v_cvt_f16_f32_e32 v7, v14
	s_waitcnt vmcnt(12)
	v_pk_mul_f32 v[12:13], v[10:11], v[22:23] op_sel_hi:[0,1]
	buffer_store_dword v14, off, s[0:3], 0 offset:256
	buffer_store_dword v15, off, s[0:3], 0 offset:260
	;; [unrolled: 1-line block ×3, first 2 shown]
	s_waitcnt vmcnt(13)
	v_pk_mul_f32 v[20:21], v[10:11], v[24:25] op_sel_hi:[0,1]
	v_cvt_f16_f32_e32 v14, v12
	s_waitcnt vmcnt(11)
	v_pk_mul_f32 v[22:23], v[10:11], v[26:27] op_sel_hi:[0,1]
	v_cvt_f16_f32_e32 v11, v15
	v_cvt_f16_f32_e32 v15, v13
	buffer_store_dword v13, off, s[0:3], 0 offset:268
	buffer_store_dword v22, off, s[0:3], 0 offset:272
	;; [unrolled: 1-line block ×3, first 2 shown]
	v_pack_b32_f16 v12, v7, v11
	v_cvt_f16_f32_e32 v11, v23
	v_pack_b32_f16 v13, v14, v15
	v_cvt_f16_f32_e32 v7, v22
	v_cvt_f16_f32_e32 v15, v20
	;; [unrolled: 1-line block ×3, first 2 shown]
	s_waitcnt vmcnt(12)
	v_pk_mul_f32 v[4:5], v[10:11], v[4:5] op_sel_hi:[0,1]
	v_pack_b32_f16 v14, v7, v11
	s_waitcnt vmcnt(10)
	v_pk_mul_f32 v[2:3], v[10:11], v[2:3] op_sel_hi:[0,1]
	v_pack_b32_f16 v15, v15, v22
	v_cvt_f16_f32_e32 v11, v5
	buffer_store_dword v20, off, s[0:3], 0 offset:280
	buffer_store_dword v21, off, s[0:3], 0 offset:284
	ds_write2st64_b64 v39, v[12:13], v[14:15] offset1:1
	buffer_store_dword v2, off, s[0:3], 0 offset:288
	buffer_store_dword v3, off, s[0:3], 0 offset:292
	v_cvt_f16_f32_e32 v2, v2
	v_cvt_f16_f32_e32 v3, v3
	;; [unrolled: 1-line block ×3, first 2 shown]
	buffer_store_dword v4, off, s[0:3], 0 offset:296
	buffer_store_dword v5, off, s[0:3], 0 offset:300
	s_waitcnt vmcnt(12)
	v_pk_mul_f32 v[4:5], v[10:11], v[16:17] op_sel_hi:[0,1]
	v_pk_mul_f32 v[8:9], v[10:11], v[8:9] op_sel_hi:[0,1]
	v_pack_b32_f16 v2, v2, v3
	v_pack_b32_f16 v3, v7, v11
	buffer_store_dword v8, off, s[0:3], 0 offset:304
	buffer_store_dword v9, off, s[0:3], 0 offset:308
	v_cvt_f16_f32_e32 v7, v8
	v_cvt_f16_f32_e32 v8, v9
	;; [unrolled: 1-line block ×4, first 2 shown]
	buffer_store_dword v4, off, s[0:3], 0 offset:312
	buffer_store_dword v5, off, s[0:3], 0 offset:316
	v_pack_b32_f16 v4, v7, v8
	v_pack_b32_f16 v5, v9, v10
	ds_write2st64_b64 v39, v[2:3], v[4:5] offset0:2 offset1:3
	s_and_saveexec_b64 s[6:7], vcc
	s_cbranch_execz .LBB626_209
; %bb.208:
	v_add_co_u32_e32 v4, vcc, s25, v55
	v_addc_co_u32_e64 v5, s[10:11], 0, 0, vcc
	v_mov_b32_e32 v2, s20
	v_mov_b32_e32 v3, 0
	v_mad_u64_u32 v[4:5], s[10:11], s8, v2, v[4:5]
	v_mov_b32_e32 v2, s24
	s_mul_i32 s9, s9, s20
	v_mad_u64_u32 v[2:3], s[10:11], v4, s50, v[2:3]
	v_add_u32_e32 v5, s9, v5
	v_mov_b32_e32 v4, v3
	v_mad_u64_u32 v[4:5], s[10:11], v5, s50, v[4:5]
	v_mov_b32_e32 v3, v4
	v_lshlrev_b64 v[2:3], 2, v[2:3]
	v_mov_b32_e32 v5, s47
	v_add_co_u32_e32 v4, vcc, s46, v2
	v_addc_co_u32_e32 v5, vcc, v5, v3, vcc
	global_store_dword v[4:5], v19, off
	v_mov_b32_e32 v4, s45
	v_add_co_u32_e32 v2, vcc, s44, v2
	v_addc_co_u32_e32 v3, vcc, v4, v3, vcc
	global_store_dword v[2:3], v6, off
.LBB626_209:
	s_or_b64 exec, exec, s[6:7]
	v_lshl_or_b32 v30, v1, 9, v18
	s_waitcnt lgkmcnt(0)
	s_barrier
	s_load_dword s6, s[42:43], 0x0
	ds_read_b128 v[2:5], v30
	ds_read_b128 v[6:9], v30 offset:16
	ds_read_b128 v[10:13], v30 offset:2048
	;; [unrolled: 1-line block ×7, first 2 shown]
	v_mov_b32_e32 v35, 0x80
	v_mov_b32_e32 v41, 0x140
	s_mov_b64 s[12:13], -1
	s_waitcnt lgkmcnt(0)
	s_mov_b32 s7, s6
	s_mov_b32 s10, s6
	;; [unrolled: 1-line block ×3, first 2 shown]
	s_movk_i32 s9, 0x80
	s_movk_i32 s21, 0x7f
	s_mov_b32 s22, 0xffffff
	v_mov_b32_e32 v47, 0
	v_bfrev_b32_e32 v48, 60
	s_branch .LBB626_213
.LBB626_210:                            ;   in Loop: Header=BB626_213 Depth=1
	s_or_b64 exec, exec, s[18:19]
.LBB626_211:                            ;   in Loop: Header=BB626_213 Depth=1
	s_or_b64 exec, exec, s[16:17]
.LBB626_212:                            ;   in Loop: Header=BB626_213 Depth=1
	s_or_b64 exec, exec, s[14:15]
	v_cvt_pkrtz_f16_f32 v60, v46, v49
	v_cvt_pkrtz_f16_f32 v61, v44, v51
	s_xor_b64 s[14:15], s[12:13], -1
	s_mov_b64 s[12:13], 0
	v_mov_b32_e32 v59, v58
	v_mfma_f32_16x16x16f16 v[62:65], v[60:61], v[30:31], v[34:37]
	v_mov_b32_e32 v61, v45
	v_mov_b32_e32 v60, v57
	s_and_b64 vcc, exec, s[14:15]
	s_nop 3
	v_cvt_pkrtz_f16_f32 v36, v50, v52
	v_cvt_pkrtz_f16_f32 v37, v42, v53
	v_mov_b32_e32 v35, v43
	s_nop 0
	v_mfma_f32_16x16x16f16 v[50:53], v[36:37], v[32:33], v[62:65]
	s_nop 7
	s_nop 2
	v_pk_mul_f32 v[50:51], v[50:51], s[6:7]
	v_pk_mul_f32 v[36:37], v[52:53], s[10:11]
	v_cvt_f16_f32_e32 v34, v50
	v_cvt_f16_f32_e32 v38, v51
	;; [unrolled: 1-line block ×4, first 2 shown]
	v_pack_b32_f16 v34, v34, v38
	v_pack_b32_f16 v36, v36, v37
	buffer_store_dword v34, v41, s[0:3], 0 offen
	buffer_store_dword v36, v41, s[0:3], 0 offen offset:4
	v_mov_b32_e32 v41, 0x148
	s_cbranch_vccnz .LBB626_595
.LBB626_213:                            ; =>This Inner Loop Header: Depth=1
	buffer_load_dword v36, v35, s[0:3], 0 offen
	buffer_load_dword v34, v35, s[0:3], 0 offen offset:4
	buffer_load_dword v40, v35, s[0:3], 0 offen offset:8
	;; [unrolled: 1-line block ×3, first 2 shown]
	v_mov_b32_e32 v35, 0
	s_waitcnt vmcnt(3)
	v_cmp_ne_u16_sdwa s[16:17], v36, v47 src0_sel:BYTE_0 src1_sel:DWORD
	s_and_saveexec_b64 s[14:15], s[16:17]
	s_cbranch_execz .LBB626_219
; %bb.214:                              ;   in Loop: Header=BB626_213 Depth=1
	v_cmp_ne_u16_sdwa s[18:19], v36, s9 src0_sel:BYTE_0 src1_sel:DWORD
	v_bfrev_b32_e32 v35, 1
	s_and_saveexec_b64 s[16:17], s[18:19]
	s_cbranch_execz .LBB626_218
; %bb.215:                              ;   in Loop: Header=BB626_213 Depth=1
	v_and_b32_e32 v37, 0x7f, v36
	v_cmp_ne_u32_e32 vcc, s21, v37
	v_mov_b32_e32 v35, 0x7f800001
	s_and_saveexec_b64 s[18:19], vcc
	s_cbranch_execz .LBB626_217
; %bb.216:                              ;   in Loop: Header=BB626_213 Depth=1
	v_and_b32_e32 v35, 7, v36
	v_ffbh_u32_e32 v44, v35
	v_min_u32_e32 v44, 32, v44
	v_subrev_u32_e32 v46, 28, v44
	v_lshlrev_b64 v[50:51], v46, v[36:37]
	v_lshrrev_b32_e32 v42, 3, v37
	v_sub_u32_e32 v44, 29, v44
	v_and_b32_e32 v46, 7, v50
	v_cmp_gt_u32_e32 vcc, 8, v37
	v_cndmask_b32_e32 v37, v42, v44, vcc
	v_cndmask_b32_e32 v35, v35, v46, vcc
	v_lshlrev_b32_e32 v42, 24, v36
	v_lshlrev_b32_e32 v35, 20, v35
	v_and_b32_e32 v42, 0x80000000, v42
	v_lshl_add_u32 v37, v37, 23, v48
	v_or3_b32 v35, v42, v37, v35
.LBB626_217:                            ;   in Loop: Header=BB626_213 Depth=1
	s_or_b64 exec, exec, s[18:19]
.LBB626_218:                            ;   in Loop: Header=BB626_213 Depth=1
	s_or_b64 exec, exec, s[16:17]
.LBB626_219:                            ;   in Loop: Header=BB626_213 Depth=1
	s_or_b64 exec, exec, s[14:15]
	v_lshrrev_b16_e32 v42, 8, v36
	v_cmp_ne_u16_e32 vcc, 0, v42
	v_mov_b32_e32 v37, 0
	s_and_saveexec_b64 s[14:15], vcc
	s_cbranch_execz .LBB626_225
; %bb.220:                              ;   in Loop: Header=BB626_213 Depth=1
	v_cmp_ne_u16_e32 vcc, s9, v42
	v_bfrev_b32_e32 v37, 1
	s_and_saveexec_b64 s[16:17], vcc
	s_cbranch_execz .LBB626_224
; %bb.221:                              ;   in Loop: Header=BB626_213 Depth=1
	v_and_b32_e32 v44, 0x7f, v42
	v_cmp_ne_u32_e32 vcc, s21, v44
	v_mov_b32_e32 v37, 0x7f800001
	s_and_saveexec_b64 s[18:19], vcc
	s_cbranch_execz .LBB626_223
; %bb.222:                              ;   in Loop: Header=BB626_213 Depth=1
	v_and_b32_e32 v37, 7, v42
	v_ffbh_u32_e32 v49, v37
	v_min_u32_e32 v49, 32, v49
	v_subrev_u32_e32 v50, 28, v49
	v_lshlrev_b64 v[50:51], v50, v[42:43]
	v_lshrrev_b32_e32 v46, 3, v44
	v_sub_u32_e32 v42, 29, v49
	v_and_b32_e32 v49, 7, v50
	v_cmp_gt_u32_e32 vcc, 8, v44
	v_cndmask_b32_e32 v42, v46, v42, vcc
	v_cndmask_b32_e32 v37, v37, v49, vcc
	v_lshlrev_b32_e32 v44, 16, v36
	v_lshlrev_b32_e32 v37, 20, v37
	v_and_b32_e32 v44, 0x80000000, v44
	v_lshl_add_u32 v42, v42, 23, v48
	v_or3_b32 v37, v44, v42, v37
.LBB626_223:                            ;   in Loop: Header=BB626_213 Depth=1
	s_or_b64 exec, exec, s[18:19]
.LBB626_224:                            ;   in Loop: Header=BB626_213 Depth=1
	s_or_b64 exec, exec, s[16:17]
.LBB626_225:                            ;   in Loop: Header=BB626_213 Depth=1
	s_or_b64 exec, exec, s[14:15]
	v_lshrrev_b32_e32 v42, 16, v36
	v_cmp_ne_u16_sdwa s[16:17], v42, v47 src0_sel:BYTE_0 src1_sel:DWORD
	v_mov_b32_e32 v46, 0
	v_mov_b32_e32 v44, 0
	s_and_saveexec_b64 s[14:15], s[16:17]
	s_cbranch_execz .LBB626_231
; %bb.226:                              ;   in Loop: Header=BB626_213 Depth=1
	v_cmp_ne_u16_sdwa s[18:19], v42, s9 src0_sel:BYTE_0 src1_sel:DWORD
	v_bfrev_b32_e32 v44, 1
	s_and_saveexec_b64 s[16:17], s[18:19]
	s_cbranch_execz .LBB626_230
; %bb.227:                              ;   in Loop: Header=BB626_213 Depth=1
	v_bfe_u32 v49, v36, 16, 7
	v_cmp_ne_u32_e32 vcc, s21, v49
	v_mov_b32_e32 v44, 0x7f800001
	s_and_saveexec_b64 s[18:19], vcc
	s_cbranch_execz .LBB626_229
; %bb.228:                              ;   in Loop: Header=BB626_213 Depth=1
	v_and_b32_e32 v44, 7, v42
	v_ffbh_u32_e32 v50, v44
	v_min_u32_e32 v53, 32, v50
	v_subrev_u32_e32 v50, 28, v53
	v_lshlrev_b64 v[50:51], v50, v[42:43]
	v_lshrrev_b32_e32 v52, 3, v49
	v_sub_u32_e32 v51, 29, v53
	v_and_b32_e32 v50, 7, v50
	v_cmp_gt_u32_e32 vcc, 8, v49
	v_cndmask_b32_e32 v49, v52, v51, vcc
	v_cndmask_b32_e32 v44, v44, v50, vcc
	v_lshlrev_b32_e32 v42, 24, v42
	v_lshlrev_b32_e32 v44, 20, v44
	v_and_b32_e32 v42, 0x80000000, v42
	v_lshl_add_u32 v49, v49, 23, v48
	v_or3_b32 v44, v42, v49, v44
.LBB626_229:                            ;   in Loop: Header=BB626_213 Depth=1
	s_or_b64 exec, exec, s[18:19]
.LBB626_230:                            ;   in Loop: Header=BB626_213 Depth=1
	s_or_b64 exec, exec, s[16:17]
.LBB626_231:                            ;   in Loop: Header=BB626_213 Depth=1
	s_or_b64 exec, exec, s[14:15]
	v_cmp_lt_u32_e32 vcc, s22, v36
	s_and_saveexec_b64 s[14:15], vcc
	s_cbranch_execz .LBB626_237
; %bb.232:                              ;   in Loop: Header=BB626_213 Depth=1
	v_lshrrev_b32_e32 v42, 24, v36
	v_cmp_ne_u32_e32 vcc, s9, v42
	v_bfrev_b32_e32 v46, 1
	s_and_saveexec_b64 s[16:17], vcc
	s_cbranch_execz .LBB626_236
; %bb.233:                              ;   in Loop: Header=BB626_213 Depth=1
	v_bfe_u32 v36, v36, 24, 7
	v_cmp_ne_u32_e32 vcc, s21, v36
	v_mov_b32_e32 v46, 0x7f800001
	s_and_saveexec_b64 s[18:19], vcc
	s_cbranch_execz .LBB626_235
; %bb.234:                              ;   in Loop: Header=BB626_213 Depth=1
	v_and_b32_e32 v46, 7, v42
	v_ffbh_u32_e32 v50, v46
	v_min_u32_e32 v52, 32, v50
	v_subrev_u32_e32 v50, 28, v52
	v_lshlrev_b64 v[50:51], v50, v[42:43]
	v_lshrrev_b32_e32 v49, 3, v36
	v_sub_u32_e32 v51, 29, v52
	v_and_b32_e32 v50, 7, v50
	v_cmp_gt_u32_e32 vcc, 8, v36
	v_cndmask_b32_e32 v36, v49, v51, vcc
	v_cndmask_b32_e32 v46, v46, v50, vcc
	v_lshlrev_b32_e32 v42, 24, v42
	v_lshlrev_b32_e32 v46, 20, v46
	v_and_b32_e32 v42, 0x80000000, v42
	v_lshl_add_u32 v36, v36, 23, v48
	v_or3_b32 v46, v42, v36, v46
.LBB626_235:                            ;   in Loop: Header=BB626_213 Depth=1
	s_or_b64 exec, exec, s[18:19]
.LBB626_236:                            ;   in Loop: Header=BB626_213 Depth=1
	s_or_b64 exec, exec, s[16:17]
.LBB626_237:                            ;   in Loop: Header=BB626_213 Depth=1
	s_or_b64 exec, exec, s[14:15]
	s_waitcnt vmcnt(2)
	v_cmp_ne_u16_sdwa s[16:17], v34, v47 src0_sel:BYTE_0 src1_sel:DWORD
	v_mov_b32_e32 v42, 0
	v_mov_b32_e32 v49, 0
	s_and_saveexec_b64 s[14:15], s[16:17]
	s_cbranch_execz .LBB626_243
; %bb.238:                              ;   in Loop: Header=BB626_213 Depth=1
	v_cmp_ne_u16_sdwa s[18:19], v34, s9 src0_sel:BYTE_0 src1_sel:DWORD
	v_bfrev_b32_e32 v49, 1
	s_and_saveexec_b64 s[16:17], s[18:19]
	s_cbranch_execz .LBB626_242
; %bb.239:                              ;   in Loop: Header=BB626_213 Depth=1
	v_and_b32_e32 v36, 0x7f, v34
	v_cmp_ne_u32_e32 vcc, s21, v36
	v_mov_b32_e32 v49, 0x7f800001
	s_and_saveexec_b64 s[18:19], vcc
	s_cbranch_execz .LBB626_241
; %bb.240:                              ;   in Loop: Header=BB626_213 Depth=1
	v_and_b32_e32 v49, 7, v34
	v_ffbh_u32_e32 v50, v49
	v_min_u32_e32 v53, 32, v50
	v_subrev_u32_e32 v50, 28, v53
	v_lshlrev_b64 v[50:51], v50, v[34:35]
	v_lshrrev_b32_e32 v52, 3, v36
	v_sub_u32_e32 v51, 29, v53
	v_and_b32_e32 v50, 7, v50
	v_cmp_gt_u32_e32 vcc, 8, v36
	v_cndmask_b32_e32 v36, v52, v51, vcc
	v_cndmask_b32_e32 v49, v49, v50, vcc
	v_lshlrev_b32_e32 v50, 24, v34
	v_lshlrev_b32_e32 v49, 20, v49
	v_and_b32_e32 v50, 0x80000000, v50
	v_lshl_add_u32 v36, v36, 23, v48
	v_or3_b32 v49, v50, v36, v49
.LBB626_241:                            ;   in Loop: Header=BB626_213 Depth=1
	s_or_b64 exec, exec, s[18:19]
.LBB626_242:                            ;   in Loop: Header=BB626_213 Depth=1
	s_or_b64 exec, exec, s[16:17]
.LBB626_243:                            ;   in Loop: Header=BB626_213 Depth=1
	s_or_b64 exec, exec, s[14:15]
	v_lshrrev_b16_e32 v36, 8, v34
	v_cmp_ne_u16_e32 vcc, 0, v36
	s_and_saveexec_b64 s[14:15], vcc
	s_cbranch_execz .LBB626_249
; %bb.244:                              ;   in Loop: Header=BB626_213 Depth=1
	v_cmp_ne_u16_e32 vcc, s9, v36
	v_bfrev_b32_e32 v42, 1
	s_and_saveexec_b64 s[16:17], vcc
	s_cbranch_execz .LBB626_248
; %bb.245:                              ;   in Loop: Header=BB626_213 Depth=1
	v_and_b32_e32 v50, 0x7f, v36
	v_cmp_ne_u32_e32 vcc, s21, v50
	v_mov_b32_e32 v42, 0x7f800001
	s_and_saveexec_b64 s[18:19], vcc
	s_cbranch_execz .LBB626_247
; %bb.246:                              ;   in Loop: Header=BB626_213 Depth=1
	v_and_b32_e32 v42, 7, v36
	v_ffbh_u32_e32 v52, v42
	v_min_u32_e32 v62, 32, v52
	v_subrev_u32_e32 v52, 28, v62
	v_lshlrev_b64 v[52:53], v52, v[36:37]
	v_lshrrev_b32_e32 v51, 3, v50
	v_sub_u32_e32 v36, 29, v62
	v_and_b32_e32 v52, 7, v52
	v_cmp_gt_u32_e32 vcc, 8, v50
	v_cndmask_b32_e32 v36, v51, v36, vcc
	v_cndmask_b32_e32 v42, v42, v52, vcc
	v_lshlrev_b32_e32 v50, 16, v34
	v_lshlrev_b32_e32 v42, 20, v42
	v_and_b32_e32 v50, 0x80000000, v50
	v_lshl_add_u32 v36, v36, 23, v48
	v_or3_b32 v42, v50, v36, v42
.LBB626_247:                            ;   in Loop: Header=BB626_213 Depth=1
	s_or_b64 exec, exec, s[18:19]
.LBB626_248:                            ;   in Loop: Header=BB626_213 Depth=1
	s_or_b64 exec, exec, s[16:17]
.LBB626_249:                            ;   in Loop: Header=BB626_213 Depth=1
	s_or_b64 exec, exec, s[14:15]
	v_lshrrev_b32_e32 v36, 16, v34
	v_cmp_ne_u16_sdwa s[16:17], v36, v47 src0_sel:BYTE_0 src1_sel:DWORD
	v_mov_b32_e32 v51, 0
	v_mov_b32_e32 v50, 0
	s_and_saveexec_b64 s[14:15], s[16:17]
	s_cbranch_execz .LBB626_255
; %bb.250:                              ;   in Loop: Header=BB626_213 Depth=1
	v_cmp_ne_u16_sdwa s[18:19], v36, s9 src0_sel:BYTE_0 src1_sel:DWORD
	v_bfrev_b32_e32 v50, 1
	s_and_saveexec_b64 s[16:17], s[18:19]
	s_cbranch_execz .LBB626_254
; %bb.251:                              ;   in Loop: Header=BB626_213 Depth=1
	v_bfe_u32 v52, v34, 16, 7
	v_cmp_ne_u32_e32 vcc, s21, v52
	v_mov_b32_e32 v50, 0x7f800001
	s_and_saveexec_b64 s[18:19], vcc
	s_cbranch_execz .LBB626_253
; %bb.252:                              ;   in Loop: Header=BB626_213 Depth=1
	v_and_b32_e32 v50, 7, v36
	v_ffbh_u32_e32 v62, v50
	v_min_u32_e32 v64, 32, v62
	v_subrev_u32_e32 v62, 28, v64
	v_lshlrev_b64 v[62:63], v62, v[36:37]
	v_lshrrev_b32_e32 v53, 3, v52
	v_sub_u32_e32 v63, 29, v64
	v_and_b32_e32 v62, 7, v62
	v_cmp_gt_u32_e32 vcc, 8, v52
	v_cndmask_b32_e32 v52, v53, v63, vcc
	v_cndmask_b32_e32 v50, v50, v62, vcc
	v_lshlrev_b32_e32 v36, 24, v36
	v_lshlrev_b32_e32 v50, 20, v50
	v_and_b32_e32 v36, 0x80000000, v36
	v_lshl_add_u32 v52, v52, 23, v48
	v_or3_b32 v50, v36, v52, v50
.LBB626_253:                            ;   in Loop: Header=BB626_213 Depth=1
	s_or_b64 exec, exec, s[18:19]
.LBB626_254:                            ;   in Loop: Header=BB626_213 Depth=1
	s_or_b64 exec, exec, s[16:17]
.LBB626_255:                            ;   in Loop: Header=BB626_213 Depth=1
	s_or_b64 exec, exec, s[14:15]
	v_cmp_lt_u32_e32 vcc, s22, v34
	s_and_saveexec_b64 s[14:15], vcc
	s_cbranch_execz .LBB626_261
; %bb.256:                              ;   in Loop: Header=BB626_213 Depth=1
	v_lshrrev_b32_e32 v36, 24, v34
	v_cmp_ne_u32_e32 vcc, s9, v36
	v_bfrev_b32_e32 v51, 1
	s_and_saveexec_b64 s[16:17], vcc
	s_cbranch_execz .LBB626_260
; %bb.257:                              ;   in Loop: Header=BB626_213 Depth=1
	v_bfe_u32 v34, v34, 24, 7
	v_cmp_ne_u32_e32 vcc, s21, v34
	v_mov_b32_e32 v51, 0x7f800001
	s_and_saveexec_b64 s[18:19], vcc
	s_cbranch_execz .LBB626_259
; %bb.258:                              ;   in Loop: Header=BB626_213 Depth=1
	v_and_b32_e32 v51, 7, v36
	v_ffbh_u32_e32 v52, v51
	v_min_u32_e32 v63, 32, v52
	v_subrev_u32_e32 v52, 28, v63
	v_lshlrev_b64 v[52:53], v52, v[36:37]
	v_lshrrev_b32_e32 v62, 3, v34
	v_sub_u32_e32 v53, 29, v63
	v_and_b32_e32 v52, 7, v52
	v_cmp_gt_u32_e32 vcc, 8, v34
	v_cndmask_b32_e32 v34, v62, v53, vcc
	v_cndmask_b32_e32 v51, v51, v52, vcc
	v_lshlrev_b32_e32 v36, 24, v36
	v_lshlrev_b32_e32 v51, 20, v51
	v_and_b32_e32 v36, 0x80000000, v36
	v_lshl_add_u32 v34, v34, 23, v48
	v_or3_b32 v51, v36, v34, v51
.LBB626_259:                            ;   in Loop: Header=BB626_213 Depth=1
	s_or_b64 exec, exec, s[18:19]
.LBB626_260:                            ;   in Loop: Header=BB626_213 Depth=1
	s_or_b64 exec, exec, s[16:17]
.LBB626_261:                            ;   in Loop: Header=BB626_213 Depth=1
	s_or_b64 exec, exec, s[14:15]
	v_cvt_pkrtz_f16_f32 v34, v35, v37
	v_cvt_pkrtz_f16_f32 v35, v44, v46
	;; [unrolled: 1-line block ×4, first 2 shown]
	v_mov_b32_e32 v44, 0
	v_mfma_f32_16x16x16f16 v[34:37], v[34:35], v[2:3], 0
	s_waitcnt vmcnt(1)
	v_cmp_ne_u16_sdwa s[16:17], v40, v47 src0_sel:BYTE_0 src1_sel:DWORD
	v_mov_b32_e32 v46, 0
	v_mfma_f32_16x16x16f16 v[34:37], v[52:53], v[4:5], v[34:37]
	s_and_saveexec_b64 s[14:15], s[16:17]
	s_cbranch_execz .LBB626_267
; %bb.262:                              ;   in Loop: Header=BB626_213 Depth=1
	v_cmp_ne_u16_sdwa s[18:19], v40, s9 src0_sel:BYTE_0 src1_sel:DWORD
	v_bfrev_b32_e32 v46, 1
	s_and_saveexec_b64 s[16:17], s[18:19]
	s_cbranch_execz .LBB626_266
; %bb.263:                              ;   in Loop: Header=BB626_213 Depth=1
	v_and_b32_e32 v42, 0x7f, v40
	v_cmp_ne_u32_e32 vcc, s21, v42
	v_mov_b32_e32 v46, 0x7f800001
	s_and_saveexec_b64 s[18:19], vcc
	s_cbranch_execz .LBB626_265
; %bb.264:                              ;   in Loop: Header=BB626_213 Depth=1
	v_and_b32_e32 v46, 7, v40
	v_ffbh_u32_e32 v50, v46
	v_min_u32_e32 v52, 32, v50
	v_subrev_u32_e32 v50, 28, v52
	v_lshlrev_b64 v[50:51], v50, v[40:41]
	v_lshrrev_b32_e32 v49, 3, v42
	v_sub_u32_e32 v51, 29, v52
	v_and_b32_e32 v50, 7, v50
	v_cmp_gt_u32_e32 vcc, 8, v42
	v_cndmask_b32_e32 v42, v49, v51, vcc
	v_cndmask_b32_e32 v46, v46, v50, vcc
	v_lshlrev_b32_e32 v49, 24, v40
	v_lshlrev_b32_e32 v46, 20, v46
	v_and_b32_e32 v49, 0x80000000, v49
	v_lshl_add_u32 v42, v42, 23, v48
	v_or3_b32 v46, v49, v42, v46
.LBB626_265:                            ;   in Loop: Header=BB626_213 Depth=1
	s_or_b64 exec, exec, s[18:19]
.LBB626_266:                            ;   in Loop: Header=BB626_213 Depth=1
	s_or_b64 exec, exec, s[16:17]
.LBB626_267:                            ;   in Loop: Header=BB626_213 Depth=1
	s_or_b64 exec, exec, s[14:15]
	v_lshrrev_b16_e32 v42, 8, v40
	v_cmp_ne_u16_e32 vcc, 0, v42
	v_mov_b32_e32 v50, 0
	s_and_saveexec_b64 s[14:15], vcc
	s_cbranch_execz .LBB626_273
; %bb.268:                              ;   in Loop: Header=BB626_213 Depth=1
	v_cmp_ne_u16_e32 vcc, s9, v42
	v_bfrev_b32_e32 v50, 1
	s_and_saveexec_b64 s[16:17], vcc
	s_cbranch_execz .LBB626_272
; %bb.269:                              ;   in Loop: Header=BB626_213 Depth=1
	v_and_b32_e32 v49, 0x7f, v42
	v_cmp_ne_u32_e32 vcc, s21, v49
	v_mov_b32_e32 v50, 0x7f800001
	s_and_saveexec_b64 s[18:19], vcc
	s_cbranch_execz .LBB626_271
; %bb.270:                              ;   in Loop: Header=BB626_213 Depth=1
	v_and_b32_e32 v52, 7, v42
	v_ffbh_u32_e32 v50, v52
	v_min_u32_e32 v62, 32, v50
	v_subrev_u32_e32 v50, 28, v62
	v_lshlrev_b64 v[50:51], v50, v[42:43]
	v_lshrrev_b32_e32 v53, 3, v49
	v_sub_u32_e32 v42, 29, v62
	v_and_b32_e32 v50, 7, v50
	v_cmp_gt_u32_e32 vcc, 8, v49
	v_cndmask_b32_e32 v42, v53, v42, vcc
	v_cndmask_b32_e32 v49, v52, v50, vcc
	v_lshlrev_b32_e32 v50, 16, v40
	v_lshlrev_b32_e32 v49, 20, v49
	v_and_b32_e32 v50, 0x80000000, v50
	v_lshl_add_u32 v42, v42, 23, v48
	v_or3_b32 v50, v50, v42, v49
.LBB626_271:                            ;   in Loop: Header=BB626_213 Depth=1
	s_or_b64 exec, exec, s[18:19]
.LBB626_272:                            ;   in Loop: Header=BB626_213 Depth=1
	s_or_b64 exec, exec, s[16:17]
.LBB626_273:                            ;   in Loop: Header=BB626_213 Depth=1
	s_or_b64 exec, exec, s[14:15]
	v_lshrrev_b32_e32 v42, 16, v40
	v_cmp_ne_u16_sdwa s[16:17], v42, v47 src0_sel:BYTE_0 src1_sel:DWORD
	s_and_saveexec_b64 s[14:15], s[16:17]
	s_cbranch_execz .LBB626_279
; %bb.274:                              ;   in Loop: Header=BB626_213 Depth=1
	v_cmp_ne_u16_sdwa s[18:19], v42, s9 src0_sel:BYTE_0 src1_sel:DWORD
	v_bfrev_b32_e32 v44, 1
	s_and_saveexec_b64 s[16:17], s[18:19]
	s_cbranch_execz .LBB626_278
; %bb.275:                              ;   in Loop: Header=BB626_213 Depth=1
	v_bfe_u32 v49, v40, 16, 7
	v_cmp_ne_u32_e32 vcc, s21, v49
	v_mov_b32_e32 v44, 0x7f800001
	s_and_saveexec_b64 s[18:19], vcc
	s_cbranch_execz .LBB626_277
; %bb.276:                              ;   in Loop: Header=BB626_213 Depth=1
	v_and_b32_e32 v44, 7, v42
	v_ffbh_u32_e32 v52, v44
	v_min_u32_e32 v62, 32, v52
	v_subrev_u32_e32 v52, 28, v62
	v_lshlrev_b64 v[52:53], v52, v[42:43]
	v_lshrrev_b32_e32 v51, 3, v49
	v_sub_u32_e32 v53, 29, v62
	v_and_b32_e32 v52, 7, v52
	v_cmp_gt_u32_e32 vcc, 8, v49
	v_cndmask_b32_e32 v49, v51, v53, vcc
	v_cndmask_b32_e32 v44, v44, v52, vcc
	v_lshlrev_b32_e32 v42, 24, v42
	v_lshlrev_b32_e32 v44, 20, v44
	v_and_b32_e32 v42, 0x80000000, v42
	v_lshl_add_u32 v49, v49, 23, v48
	v_or3_b32 v44, v42, v49, v44
.LBB626_277:                            ;   in Loop: Header=BB626_213 Depth=1
	s_or_b64 exec, exec, s[18:19]
.LBB626_278:                            ;   in Loop: Header=BB626_213 Depth=1
	s_or_b64 exec, exec, s[16:17]
.LBB626_279:                            ;   in Loop: Header=BB626_213 Depth=1
	s_or_b64 exec, exec, s[14:15]
	v_cmp_lt_u32_e32 vcc, s22, v40
	v_mov_b32_e32 v51, 0
	v_mov_b32_e32 v52, 0
	s_and_saveexec_b64 s[14:15], vcc
	s_cbranch_execz .LBB626_285
; %bb.280:                              ;   in Loop: Header=BB626_213 Depth=1
	v_lshrrev_b32_e32 v42, 24, v40
	v_cmp_ne_u32_e32 vcc, s9, v42
	v_bfrev_b32_e32 v52, 1
	s_and_saveexec_b64 s[16:17], vcc
	s_cbranch_execz .LBB626_284
; %bb.281:                              ;   in Loop: Header=BB626_213 Depth=1
	v_bfe_u32 v40, v40, 24, 7
	v_cmp_ne_u32_e32 vcc, s21, v40
	v_mov_b32_e32 v52, 0x7f800001
	s_and_saveexec_b64 s[18:19], vcc
	s_cbranch_execz .LBB626_283
; %bb.282:                              ;   in Loop: Header=BB626_213 Depth=1
	v_and_b32_e32 v49, 7, v42
	v_ffbh_u32_e32 v52, v49
	v_min_u32_e32 v63, 32, v52
	v_subrev_u32_e32 v52, 28, v63
	v_lshlrev_b64 v[52:53], v52, v[42:43]
	v_lshrrev_b32_e32 v62, 3, v40
	v_sub_u32_e32 v53, 29, v63
	v_and_b32_e32 v52, 7, v52
	v_cmp_gt_u32_e32 vcc, 8, v40
	v_cndmask_b32_e32 v40, v62, v53, vcc
	v_cndmask_b32_e32 v49, v49, v52, vcc
	v_lshlrev_b32_e32 v42, 24, v42
	v_lshlrev_b32_e32 v49, 20, v49
	v_and_b32_e32 v42, 0x80000000, v42
	v_lshl_add_u32 v40, v40, 23, v48
	v_or3_b32 v52, v42, v40, v49
.LBB626_283:                            ;   in Loop: Header=BB626_213 Depth=1
	s_or_b64 exec, exec, s[18:19]
.LBB626_284:                            ;   in Loop: Header=BB626_213 Depth=1
	s_or_b64 exec, exec, s[16:17]
.LBB626_285:                            ;   in Loop: Header=BB626_213 Depth=1
	s_or_b64 exec, exec, s[14:15]
	s_waitcnt vmcnt(0)
	v_cmp_ne_u16_sdwa s[16:17], v38, v47 src0_sel:BYTE_0 src1_sel:DWORD
	s_and_saveexec_b64 s[14:15], s[16:17]
	s_cbranch_execz .LBB626_291
; %bb.286:                              ;   in Loop: Header=BB626_213 Depth=1
	v_cmp_ne_u16_sdwa s[18:19], v38, s9 src0_sel:BYTE_0 src1_sel:DWORD
	v_bfrev_b32_e32 v51, 1
	s_and_saveexec_b64 s[16:17], s[18:19]
	s_cbranch_execz .LBB626_290
; %bb.287:                              ;   in Loop: Header=BB626_213 Depth=1
	v_and_b32_e32 v40, 0x7f, v38
	v_cmp_ne_u32_e32 vcc, s21, v40
	v_mov_b32_e32 v51, 0x7f800001
	s_and_saveexec_b64 s[18:19], vcc
	s_cbranch_execz .LBB626_289
; %bb.288:                              ;   in Loop: Header=BB626_213 Depth=1
	v_and_b32_e32 v42, 7, v38
	v_ffbh_u32_e32 v51, v42
	v_min_u32_e32 v51, 32, v51
	v_subrev_u32_e32 v53, 28, v51
	v_lshlrev_b64 v[62:63], v53, v[38:39]
	v_lshrrev_b32_e32 v49, 3, v40
	v_sub_u32_e32 v51, 29, v51
	v_and_b32_e32 v53, 7, v62
	v_cmp_gt_u32_e32 vcc, 8, v40
	v_cndmask_b32_e32 v40, v49, v51, vcc
	v_cndmask_b32_e32 v42, v42, v53, vcc
	v_lshlrev_b32_e32 v49, 24, v38
	v_lshlrev_b32_e32 v42, 20, v42
	v_and_b32_e32 v49, 0x80000000, v49
	v_lshl_add_u32 v40, v40, 23, v48
	v_or3_b32 v51, v49, v40, v42
.LBB626_289:                            ;   in Loop: Header=BB626_213 Depth=1
	s_or_b64 exec, exec, s[18:19]
.LBB626_290:                            ;   in Loop: Header=BB626_213 Depth=1
	s_or_b64 exec, exec, s[16:17]
.LBB626_291:                            ;   in Loop: Header=BB626_213 Depth=1
	s_or_b64 exec, exec, s[14:15]
	v_lshrrev_b16_e32 v40, 8, v38
	v_cmp_ne_u16_e32 vcc, 0, v40
	v_mov_b32_e32 v53, 0
	v_mov_b32_e32 v62, 0
	s_and_saveexec_b64 s[14:15], vcc
	s_cbranch_execz .LBB626_297
; %bb.292:                              ;   in Loop: Header=BB626_213 Depth=1
	v_cmp_ne_u16_e32 vcc, s9, v40
	v_bfrev_b32_e32 v62, 1
	s_and_saveexec_b64 s[16:17], vcc
	s_cbranch_execz .LBB626_296
; %bb.293:                              ;   in Loop: Header=BB626_213 Depth=1
	v_and_b32_e32 v42, 0x7f, v40
	v_cmp_ne_u32_e32 vcc, s21, v42
	v_mov_b32_e32 v62, 0x7f800001
	s_and_saveexec_b64 s[18:19], vcc
	s_cbranch_execz .LBB626_295
; %bb.294:                              ;   in Loop: Header=BB626_213 Depth=1
	v_and_b32_e32 v49, 7, v40
	v_ffbh_u32_e32 v62, v49
	v_min_u32_e32 v65, 32, v62
	v_subrev_u32_e32 v62, 28, v65
	v_lshlrev_b64 v[62:63], v62, v[40:41]
	v_lshrrev_b32_e32 v64, 3, v42
	v_sub_u32_e32 v40, 29, v65
	v_and_b32_e32 v62, 7, v62
	v_cmp_gt_u32_e32 vcc, 8, v42
	v_cndmask_b32_e32 v40, v64, v40, vcc
	v_cndmask_b32_e32 v42, v49, v62, vcc
	v_lshlrev_b32_e32 v49, 16, v38
	v_lshlrev_b32_e32 v42, 20, v42
	v_and_b32_e32 v49, 0x80000000, v49
	v_lshl_add_u32 v40, v40, 23, v48
	v_or3_b32 v62, v49, v40, v42
.LBB626_295:                            ;   in Loop: Header=BB626_213 Depth=1
	s_or_b64 exec, exec, s[18:19]
.LBB626_296:                            ;   in Loop: Header=BB626_213 Depth=1
	s_or_b64 exec, exec, s[16:17]
.LBB626_297:                            ;   in Loop: Header=BB626_213 Depth=1
	s_or_b64 exec, exec, s[14:15]
	v_lshrrev_b32_e32 v40, 16, v38
	v_cmp_ne_u16_sdwa s[16:17], v40, v47 src0_sel:BYTE_0 src1_sel:DWORD
	s_and_saveexec_b64 s[14:15], s[16:17]
	s_cbranch_execz .LBB626_303
; %bb.298:                              ;   in Loop: Header=BB626_213 Depth=1
	v_cmp_ne_u16_sdwa s[18:19], v40, s9 src0_sel:BYTE_0 src1_sel:DWORD
	v_bfrev_b32_e32 v53, 1
	s_and_saveexec_b64 s[16:17], s[18:19]
	s_cbranch_execz .LBB626_302
; %bb.299:                              ;   in Loop: Header=BB626_213 Depth=1
	v_bfe_u32 v42, v38, 16, 7
	v_cmp_ne_u32_e32 vcc, s21, v42
	v_mov_b32_e32 v53, 0x7f800001
	s_and_saveexec_b64 s[18:19], vcc
	s_cbranch_execz .LBB626_301
; %bb.300:                              ;   in Loop: Header=BB626_213 Depth=1
	v_and_b32_e32 v49, 7, v40
	v_ffbh_u32_e32 v63, v49
	v_min_u32_e32 v63, 32, v63
	v_subrev_u32_e32 v64, 28, v63
	v_lshlrev_b64 v[64:65], v64, v[40:41]
	v_lshrrev_b32_e32 v53, 3, v42
	v_sub_u32_e32 v63, 29, v63
	v_and_b32_e32 v64, 7, v64
	v_cmp_gt_u32_e32 vcc, 8, v42
	v_cndmask_b32_e32 v42, v53, v63, vcc
	v_cndmask_b32_e32 v49, v49, v64, vcc
	v_lshlrev_b32_e32 v40, 24, v40
	v_lshlrev_b32_e32 v49, 20, v49
	v_and_b32_e32 v40, 0x80000000, v40
	v_lshl_add_u32 v42, v42, 23, v48
	v_or3_b32 v53, v40, v42, v49
.LBB626_301:                            ;   in Loop: Header=BB626_213 Depth=1
	s_or_b64 exec, exec, s[18:19]
.LBB626_302:                            ;   in Loop: Header=BB626_213 Depth=1
	s_or_b64 exec, exec, s[16:17]
.LBB626_303:                            ;   in Loop: Header=BB626_213 Depth=1
	s_or_b64 exec, exec, s[14:15]
	v_cmp_lt_u32_e32 vcc, s22, v38
	v_mov_b32_e32 v49, 0
	v_mov_b32_e32 v63, 0
	s_and_saveexec_b64 s[14:15], vcc
	s_cbranch_execz .LBB626_309
; %bb.304:                              ;   in Loop: Header=BB626_213 Depth=1
	v_lshrrev_b32_e32 v40, 24, v38
	v_cmp_ne_u32_e32 vcc, s9, v40
	v_bfrev_b32_e32 v63, 1
	s_and_saveexec_b64 s[16:17], vcc
	s_cbranch_execz .LBB626_308
; %bb.305:                              ;   in Loop: Header=BB626_213 Depth=1
	v_bfe_u32 v38, v38, 24, 7
	v_cmp_ne_u32_e32 vcc, s21, v38
	v_mov_b32_e32 v63, 0x7f800001
	s_and_saveexec_b64 s[18:19], vcc
	s_cbranch_execz .LBB626_307
; %bb.306:                              ;   in Loop: Header=BB626_213 Depth=1
	v_and_b32_e32 v42, 7, v40
	v_ffbh_u32_e32 v64, v42
	v_min_u32_e32 v66, 32, v64
	v_subrev_u32_e32 v64, 28, v66
	v_lshlrev_b64 v[64:65], v64, v[40:41]
	v_lshrrev_b32_e32 v63, 3, v38
	v_sub_u32_e32 v65, 29, v66
	v_and_b32_e32 v64, 7, v64
	v_cmp_gt_u32_e32 vcc, 8, v38
	v_cndmask_b32_e32 v38, v63, v65, vcc
	v_cndmask_b32_e32 v42, v42, v64, vcc
	v_lshlrev_b32_e32 v40, 24, v40
	v_lshlrev_b32_e32 v42, 20, v42
	v_and_b32_e32 v40, 0x80000000, v40
	v_lshl_add_u32 v38, v38, 23, v48
	v_or3_b32 v63, v40, v38, v42
.LBB626_307:                            ;   in Loop: Header=BB626_213 Depth=1
	s_or_b64 exec, exec, s[18:19]
.LBB626_308:                            ;   in Loop: Header=BB626_213 Depth=1
	s_or_b64 exec, exec, s[16:17]
.LBB626_309:                            ;   in Loop: Header=BB626_213 Depth=1
	s_or_b64 exec, exec, s[14:15]
	v_cvt_pkrtz_f16_f32 v65, v44, v52
	buffer_load_dword v44, v61, s[0:3], 0 offen
	buffer_load_dword v42, v61, s[0:3], 0 offen offset:4
	buffer_load_dword v40, v61, s[0:3], 0 offen offset:8
	buffer_load_dword v38, v61, s[0:3], 0 offen offset:12
	v_cvt_pkrtz_f16_f32 v64, v46, v50
	v_cvt_pkrtz_f16_f32 v50, v51, v62
	;; [unrolled: 1-line block ×3, first 2 shown]
	v_mfma_f32_16x16x16f16 v[34:37], v[64:65], v[6:7], v[34:37]
	s_waitcnt vmcnt(3)
	v_cmp_ne_u16_sdwa s[16:17], v44, v47 src0_sel:BYTE_0 src1_sel:DWORD
	v_mfma_f32_16x16x16f16 v[34:37], v[50:51], v[8:9], v[34:37]
	s_and_saveexec_b64 s[14:15], s[16:17]
	s_cbranch_execz .LBB626_315
; %bb.310:                              ;   in Loop: Header=BB626_213 Depth=1
	v_cmp_ne_u16_sdwa s[18:19], v44, s9 src0_sel:BYTE_0 src1_sel:DWORD
	v_bfrev_b32_e32 v49, 1
	s_and_saveexec_b64 s[16:17], s[18:19]
	s_cbranch_execz .LBB626_314
; %bb.311:                              ;   in Loop: Header=BB626_213 Depth=1
	v_and_b32_e32 v46, 0x7f, v44
	v_cmp_ne_u32_e32 vcc, s21, v46
	v_mov_b32_e32 v49, 0x7f800001
	s_and_saveexec_b64 s[18:19], vcc
	s_cbranch_execz .LBB626_313
; %bb.312:                              ;   in Loop: Header=BB626_213 Depth=1
	v_and_b32_e32 v49, 7, v44
	v_ffbh_u32_e32 v50, v49
	v_min_u32_e32 v53, 32, v50
	v_subrev_u32_e32 v50, 28, v53
	v_lshlrev_b64 v[50:51], v50, v[44:45]
	v_lshrrev_b32_e32 v52, 3, v46
	v_sub_u32_e32 v51, 29, v53
	v_and_b32_e32 v50, 7, v50
	v_cmp_gt_u32_e32 vcc, 8, v46
	v_cndmask_b32_e32 v46, v52, v51, vcc
	v_cndmask_b32_e32 v49, v49, v50, vcc
	v_lshlrev_b32_e32 v50, 24, v44
	v_lshlrev_b32_e32 v49, 20, v49
	v_and_b32_e32 v50, 0x80000000, v50
	v_lshl_add_u32 v46, v46, 23, v48
	v_or3_b32 v49, v50, v46, v49
.LBB626_313:                            ;   in Loop: Header=BB626_213 Depth=1
	s_or_b64 exec, exec, s[18:19]
.LBB626_314:                            ;   in Loop: Header=BB626_213 Depth=1
	s_or_b64 exec, exec, s[16:17]
.LBB626_315:                            ;   in Loop: Header=BB626_213 Depth=1
	s_or_b64 exec, exec, s[14:15]
	v_lshrrev_b16_e32 v46, 8, v44
	v_cmp_ne_u16_e32 vcc, 0, v46
	v_mov_b32_e32 v50, 0
	v_mov_b32_e32 v51, 0
	s_and_saveexec_b64 s[14:15], vcc
	s_cbranch_execz .LBB626_321
; %bb.316:                              ;   in Loop: Header=BB626_213 Depth=1
	v_cmp_ne_u16_e32 vcc, s9, v46
	v_bfrev_b32_e32 v51, 1
	s_and_saveexec_b64 s[16:17], vcc
	s_cbranch_execz .LBB626_320
; %bb.317:                              ;   in Loop: Header=BB626_213 Depth=1
	v_and_b32_e32 v52, 0x7f, v46
	v_cmp_ne_u32_e32 vcc, s21, v52
	v_mov_b32_e32 v51, 0x7f800001
	s_and_saveexec_b64 s[18:19], vcc
	s_cbranch_execz .LBB626_319
; %bb.318:                              ;   in Loop: Header=BB626_213 Depth=1
	v_and_b32_e32 v51, 7, v46
	v_ffbh_u32_e32 v61, v51
	v_min_u32_e32 v61, 32, v61
	v_subrev_u32_e32 v62, 28, v61
	v_lshlrev_b64 v[62:63], v62, v[46:47]
	v_lshrrev_b32_e32 v53, 3, v52
	v_sub_u32_e32 v46, 29, v61
	v_and_b32_e32 v61, 7, v62
	v_cmp_gt_u32_e32 vcc, 8, v52
	v_cndmask_b32_e32 v46, v53, v46, vcc
	v_cndmask_b32_e32 v51, v51, v61, vcc
	v_lshlrev_b32_e32 v52, 16, v44
	v_lshlrev_b32_e32 v51, 20, v51
	v_and_b32_e32 v52, 0x80000000, v52
	v_lshl_add_u32 v46, v46, 23, v48
	v_or3_b32 v51, v52, v46, v51
.LBB626_319:                            ;   in Loop: Header=BB626_213 Depth=1
	s_or_b64 exec, exec, s[18:19]
.LBB626_320:                            ;   in Loop: Header=BB626_213 Depth=1
	s_or_b64 exec, exec, s[16:17]
.LBB626_321:                            ;   in Loop: Header=BB626_213 Depth=1
	s_or_b64 exec, exec, s[14:15]
	v_lshrrev_b32_e32 v46, 16, v44
	v_cmp_ne_u16_sdwa s[16:17], v46, v47 src0_sel:BYTE_0 src1_sel:DWORD
	s_and_saveexec_b64 s[14:15], s[16:17]
	s_cbranch_execz .LBB626_327
; %bb.322:                              ;   in Loop: Header=BB626_213 Depth=1
	v_cmp_ne_u16_sdwa s[18:19], v46, s9 src0_sel:BYTE_0 src1_sel:DWORD
	v_bfrev_b32_e32 v50, 1
	s_and_saveexec_b64 s[16:17], s[18:19]
	s_cbranch_execz .LBB626_326
; %bb.323:                              ;   in Loop: Header=BB626_213 Depth=1
	v_bfe_u32 v52, v44, 16, 7
	v_cmp_ne_u32_e32 vcc, s21, v52
	v_mov_b32_e32 v50, 0x7f800001
	s_and_saveexec_b64 s[18:19], vcc
	s_cbranch_execz .LBB626_325
; %bb.324:                              ;   in Loop: Header=BB626_213 Depth=1
	v_and_b32_e32 v50, 7, v46
	v_ffbh_u32_e32 v61, v50
	v_min_u32_e32 v61, 32, v61
	v_subrev_u32_e32 v62, 28, v61
	v_lshlrev_b64 v[62:63], v62, v[46:47]
	v_lshrrev_b32_e32 v53, 3, v52
	v_sub_u32_e32 v61, 29, v61
	v_and_b32_e32 v62, 7, v62
	v_cmp_gt_u32_e32 vcc, 8, v52
	v_cndmask_b32_e32 v52, v53, v61, vcc
	v_cndmask_b32_e32 v50, v50, v62, vcc
	v_lshlrev_b32_e32 v46, 24, v46
	v_lshlrev_b32_e32 v50, 20, v50
	v_and_b32_e32 v46, 0x80000000, v46
	v_lshl_add_u32 v52, v52, 23, v48
	v_or3_b32 v50, v46, v52, v50
.LBB626_325:                            ;   in Loop: Header=BB626_213 Depth=1
	s_or_b64 exec, exec, s[18:19]
.LBB626_326:                            ;   in Loop: Header=BB626_213 Depth=1
	s_or_b64 exec, exec, s[16:17]
.LBB626_327:                            ;   in Loop: Header=BB626_213 Depth=1
	s_or_b64 exec, exec, s[14:15]
	v_cmp_lt_u32_e32 vcc, s22, v44
	v_mov_b32_e32 v52, 0
	v_mov_b32_e32 v53, 0
	s_and_saveexec_b64 s[14:15], vcc
	s_cbranch_execz .LBB626_333
; %bb.328:                              ;   in Loop: Header=BB626_213 Depth=1
	v_lshrrev_b32_e32 v46, 24, v44
	v_cmp_ne_u32_e32 vcc, s9, v46
	v_bfrev_b32_e32 v53, 1
	s_and_saveexec_b64 s[16:17], vcc
	s_cbranch_execz .LBB626_332
; %bb.329:                              ;   in Loop: Header=BB626_213 Depth=1
	v_bfe_u32 v44, v44, 24, 7
	v_cmp_ne_u32_e32 vcc, s21, v44
	v_mov_b32_e32 v53, 0x7f800001
	s_and_saveexec_b64 s[18:19], vcc
	s_cbranch_execz .LBB626_331
; %bb.330:                              ;   in Loop: Header=BB626_213 Depth=1
	v_and_b32_e32 v53, 7, v46
	v_ffbh_u32_e32 v62, v53
	v_min_u32_e32 v64, 32, v62
	v_subrev_u32_e32 v62, 28, v64
	v_lshlrev_b64 v[62:63], v62, v[46:47]
	v_lshrrev_b32_e32 v61, 3, v44
	v_sub_u32_e32 v63, 29, v64
	v_and_b32_e32 v62, 7, v62
	v_cmp_gt_u32_e32 vcc, 8, v44
	v_cndmask_b32_e32 v44, v61, v63, vcc
	v_cndmask_b32_e32 v53, v53, v62, vcc
	v_lshlrev_b32_e32 v46, 24, v46
	v_lshlrev_b32_e32 v53, 20, v53
	v_and_b32_e32 v46, 0x80000000, v46
	v_lshl_add_u32 v44, v44, 23, v48
	v_or3_b32 v53, v46, v44, v53
.LBB626_331:                            ;   in Loop: Header=BB626_213 Depth=1
	s_or_b64 exec, exec, s[18:19]
.LBB626_332:                            ;   in Loop: Header=BB626_213 Depth=1
	s_or_b64 exec, exec, s[16:17]
.LBB626_333:                            ;   in Loop: Header=BB626_213 Depth=1
	s_or_b64 exec, exec, s[14:15]
	s_waitcnt vmcnt(2)
	v_cmp_ne_u16_sdwa s[16:17], v42, v47 src0_sel:BYTE_0 src1_sel:DWORD
	s_and_saveexec_b64 s[14:15], s[16:17]
	s_cbranch_execz .LBB626_339
; %bb.334:                              ;   in Loop: Header=BB626_213 Depth=1
	v_cmp_ne_u16_sdwa s[18:19], v42, s9 src0_sel:BYTE_0 src1_sel:DWORD
	v_bfrev_b32_e32 v52, 1
	s_and_saveexec_b64 s[16:17], s[18:19]
	s_cbranch_execz .LBB626_338
; %bb.335:                              ;   in Loop: Header=BB626_213 Depth=1
	v_and_b32_e32 v44, 0x7f, v42
	v_cmp_ne_u32_e32 vcc, s21, v44
	v_mov_b32_e32 v52, 0x7f800001
	s_and_saveexec_b64 s[18:19], vcc
	s_cbranch_execz .LBB626_337
; %bb.336:                              ;   in Loop: Header=BB626_213 Depth=1
	v_and_b32_e32 v46, 7, v42
	v_ffbh_u32_e32 v61, v46
	v_min_u32_e32 v61, 32, v61
	v_subrev_u32_e32 v62, 28, v61
	v_lshlrev_b64 v[62:63], v62, v[42:43]
	v_lshrrev_b32_e32 v52, 3, v44
	v_sub_u32_e32 v61, 29, v61
	v_and_b32_e32 v62, 7, v62
	v_cmp_gt_u32_e32 vcc, 8, v44
	v_cndmask_b32_e32 v44, v52, v61, vcc
	v_cndmask_b32_e32 v46, v46, v62, vcc
	v_lshlrev_b32_e32 v52, 24, v42
	v_lshlrev_b32_e32 v46, 20, v46
	v_and_b32_e32 v52, 0x80000000, v52
	v_lshl_add_u32 v44, v44, 23, v48
	v_or3_b32 v52, v52, v44, v46
.LBB626_337:                            ;   in Loop: Header=BB626_213 Depth=1
	s_or_b64 exec, exec, s[18:19]
.LBB626_338:                            ;   in Loop: Header=BB626_213 Depth=1
	s_or_b64 exec, exec, s[16:17]
.LBB626_339:                            ;   in Loop: Header=BB626_213 Depth=1
	s_or_b64 exec, exec, s[14:15]
	v_lshrrev_b16_e32 v44, 8, v42
	v_cmp_ne_u16_e32 vcc, 0, v44
	v_mov_b32_e32 v61, 0
	v_mov_b32_e32 v62, 0
	s_and_saveexec_b64 s[14:15], vcc
	s_cbranch_execz .LBB626_345
; %bb.340:                              ;   in Loop: Header=BB626_213 Depth=1
	v_cmp_ne_u16_e32 vcc, s9, v44
	v_bfrev_b32_e32 v62, 1
	s_and_saveexec_b64 s[16:17], vcc
	s_cbranch_execz .LBB626_344
; %bb.341:                              ;   in Loop: Header=BB626_213 Depth=1
	v_and_b32_e32 v46, 0x7f, v44
	v_cmp_ne_u32_e32 vcc, s21, v46
	v_mov_b32_e32 v62, 0x7f800001
	s_and_saveexec_b64 s[18:19], vcc
	s_cbranch_execz .LBB626_343
; %bb.342:                              ;   in Loop: Header=BB626_213 Depth=1
	v_and_b32_e32 v64, 7, v44
	v_ffbh_u32_e32 v62, v64
	v_min_u32_e32 v66, 32, v62
	v_subrev_u32_e32 v62, 28, v66
	v_lshlrev_b64 v[62:63], v62, v[44:45]
	v_lshrrev_b32_e32 v65, 3, v46
	v_sub_u32_e32 v44, 29, v66
	v_and_b32_e32 v62, 7, v62
	v_cmp_gt_u32_e32 vcc, 8, v46
	v_cndmask_b32_e32 v44, v65, v44, vcc
	v_cndmask_b32_e32 v46, v64, v62, vcc
	v_lshlrev_b32_e32 v62, 16, v42
	v_lshlrev_b32_e32 v46, 20, v46
	v_and_b32_e32 v62, 0x80000000, v62
	v_lshl_add_u32 v44, v44, 23, v48
	v_or3_b32 v62, v62, v44, v46
.LBB626_343:                            ;   in Loop: Header=BB626_213 Depth=1
	s_or_b64 exec, exec, s[18:19]
.LBB626_344:                            ;   in Loop: Header=BB626_213 Depth=1
	s_or_b64 exec, exec, s[16:17]
.LBB626_345:                            ;   in Loop: Header=BB626_213 Depth=1
	s_or_b64 exec, exec, s[14:15]
	v_lshrrev_b32_e32 v44, 16, v42
	v_cmp_ne_u16_sdwa s[16:17], v44, v47 src0_sel:BYTE_0 src1_sel:DWORD
	s_and_saveexec_b64 s[14:15], s[16:17]
	s_cbranch_execz .LBB626_351
; %bb.346:                              ;   in Loop: Header=BB626_213 Depth=1
	v_cmp_ne_u16_sdwa s[18:19], v44, s9 src0_sel:BYTE_0 src1_sel:DWORD
	v_bfrev_b32_e32 v61, 1
	s_and_saveexec_b64 s[16:17], s[18:19]
	s_cbranch_execz .LBB626_350
; %bb.347:                              ;   in Loop: Header=BB626_213 Depth=1
	v_bfe_u32 v46, v42, 16, 7
	v_cmp_ne_u32_e32 vcc, s21, v46
	v_mov_b32_e32 v61, 0x7f800001
	s_and_saveexec_b64 s[18:19], vcc
	s_cbranch_execz .LBB626_349
; %bb.348:                              ;   in Loop: Header=BB626_213 Depth=1
	v_and_b32_e32 v61, 7, v44
	v_ffbh_u32_e32 v64, v61
	v_min_u32_e32 v66, 32, v64
	v_subrev_u32_e32 v64, 28, v66
	v_lshlrev_b64 v[64:65], v64, v[44:45]
	v_lshrrev_b32_e32 v63, 3, v46
	v_sub_u32_e32 v65, 29, v66
	v_and_b32_e32 v64, 7, v64
	v_cmp_gt_u32_e32 vcc, 8, v46
	v_cndmask_b32_e32 v46, v63, v65, vcc
	v_cndmask_b32_e32 v61, v61, v64, vcc
	v_lshlrev_b32_e32 v44, 24, v44
	v_lshlrev_b32_e32 v61, 20, v61
	v_and_b32_e32 v44, 0x80000000, v44
	v_lshl_add_u32 v46, v46, 23, v48
	v_or3_b32 v61, v44, v46, v61
.LBB626_349:                            ;   in Loop: Header=BB626_213 Depth=1
	s_or_b64 exec, exec, s[18:19]
.LBB626_350:                            ;   in Loop: Header=BB626_213 Depth=1
	s_or_b64 exec, exec, s[16:17]
.LBB626_351:                            ;   in Loop: Header=BB626_213 Depth=1
	s_or_b64 exec, exec, s[14:15]
	v_cmp_lt_u32_e32 vcc, s22, v42
	v_mov_b32_e32 v46, 0
	v_mov_b32_e32 v63, 0
	s_and_saveexec_b64 s[14:15], vcc
	s_cbranch_execz .LBB626_357
; %bb.352:                              ;   in Loop: Header=BB626_213 Depth=1
	v_lshrrev_b32_e32 v44, 24, v42
	v_cmp_ne_u32_e32 vcc, s9, v44
	v_bfrev_b32_e32 v63, 1
	s_and_saveexec_b64 s[16:17], vcc
	s_cbranch_execz .LBB626_356
; %bb.353:                              ;   in Loop: Header=BB626_213 Depth=1
	v_bfe_u32 v42, v42, 24, 7
	v_cmp_ne_u32_e32 vcc, s21, v42
	v_mov_b32_e32 v63, 0x7f800001
	s_and_saveexec_b64 s[18:19], vcc
	s_cbranch_execz .LBB626_355
; %bb.354:                              ;   in Loop: Header=BB626_213 Depth=1
	v_and_b32_e32 v63, 7, v44
	v_ffbh_u32_e32 v64, v63
	v_min_u32_e32 v67, 32, v64
	v_subrev_u32_e32 v64, 28, v67
	v_lshlrev_b64 v[64:65], v64, v[44:45]
	v_lshrrev_b32_e32 v66, 3, v42
	v_sub_u32_e32 v65, 29, v67
	v_and_b32_e32 v64, 7, v64
	v_cmp_gt_u32_e32 vcc, 8, v42
	v_cndmask_b32_e32 v42, v66, v65, vcc
	v_cndmask_b32_e32 v63, v63, v64, vcc
	v_lshlrev_b32_e32 v44, 24, v44
	v_lshlrev_b32_e32 v63, 20, v63
	v_and_b32_e32 v44, 0x80000000, v44
	v_lshl_add_u32 v42, v42, 23, v48
	v_or3_b32 v63, v44, v42, v63
.LBB626_355:                            ;   in Loop: Header=BB626_213 Depth=1
	s_or_b64 exec, exec, s[18:19]
.LBB626_356:                            ;   in Loop: Header=BB626_213 Depth=1
	s_or_b64 exec, exec, s[16:17]
.LBB626_357:                            ;   in Loop: Header=BB626_213 Depth=1
	s_or_b64 exec, exec, s[14:15]
	v_cvt_pkrtz_f16_f32 v64, v49, v51
	v_cvt_pkrtz_f16_f32 v65, v50, v53
	;; [unrolled: 1-line block ×4, first 2 shown]
	s_waitcnt vmcnt(1)
	v_cmp_ne_u16_sdwa s[16:17], v40, v47 src0_sel:BYTE_0 src1_sel:DWORD
	v_mfma_f32_16x16x16f16 v[34:37], v[64:65], v[10:11], v[34:37]
	v_mfma_f32_16x16x16f16 v[34:37], v[50:51], v[12:13], v[34:37]
	s_and_saveexec_b64 s[14:15], s[16:17]
	s_cbranch_execz .LBB626_363
; %bb.358:                              ;   in Loop: Header=BB626_213 Depth=1
	v_cmp_ne_u16_sdwa s[18:19], v40, s9 src0_sel:BYTE_0 src1_sel:DWORD
	v_bfrev_b32_e32 v46, 1
	s_and_saveexec_b64 s[16:17], s[18:19]
	s_cbranch_execz .LBB626_362
; %bb.359:                              ;   in Loop: Header=BB626_213 Depth=1
	v_and_b32_e32 v42, 0x7f, v40
	v_cmp_ne_u32_e32 vcc, s21, v42
	v_mov_b32_e32 v46, 0x7f800001
	s_and_saveexec_b64 s[18:19], vcc
	s_cbranch_execz .LBB626_361
; %bb.360:                              ;   in Loop: Header=BB626_213 Depth=1
	v_and_b32_e32 v44, 7, v40
	v_ffbh_u32_e32 v49, v44
	v_min_u32_e32 v49, 32, v49
	v_subrev_u32_e32 v50, 28, v49
	v_lshlrev_b64 v[50:51], v50, v[40:41]
	v_lshrrev_b32_e32 v46, 3, v42
	v_sub_u32_e32 v49, 29, v49
	v_and_b32_e32 v50, 7, v50
	v_cmp_gt_u32_e32 vcc, 8, v42
	v_cndmask_b32_e32 v42, v46, v49, vcc
	v_cndmask_b32_e32 v44, v44, v50, vcc
	v_lshlrev_b32_e32 v46, 24, v40
	v_lshlrev_b32_e32 v44, 20, v44
	v_and_b32_e32 v46, 0x80000000, v46
	v_lshl_add_u32 v42, v42, 23, v48
	v_or3_b32 v46, v46, v42, v44
.LBB626_361:                            ;   in Loop: Header=BB626_213 Depth=1
	s_or_b64 exec, exec, s[18:19]
.LBB626_362:                            ;   in Loop: Header=BB626_213 Depth=1
	s_or_b64 exec, exec, s[16:17]
.LBB626_363:                            ;   in Loop: Header=BB626_213 Depth=1
	s_or_b64 exec, exec, s[14:15]
	v_lshrrev_b16_e32 v42, 8, v40
	v_cmp_ne_u16_e32 vcc, 0, v42
	v_mov_b32_e32 v44, 0
	v_mov_b32_e32 v50, 0
	s_and_saveexec_b64 s[14:15], vcc
	s_cbranch_execz .LBB626_369
; %bb.364:                              ;   in Loop: Header=BB626_213 Depth=1
	v_cmp_ne_u16_e32 vcc, s9, v42
	v_bfrev_b32_e32 v50, 1
	s_and_saveexec_b64 s[16:17], vcc
	s_cbranch_execz .LBB626_368
; %bb.365:                              ;   in Loop: Header=BB626_213 Depth=1
	v_and_b32_e32 v49, 0x7f, v42
	v_cmp_ne_u32_e32 vcc, s21, v49
	v_mov_b32_e32 v50, 0x7f800001
	s_and_saveexec_b64 s[18:19], vcc
	s_cbranch_execz .LBB626_367
; %bb.366:                              ;   in Loop: Header=BB626_213 Depth=1
	v_and_b32_e32 v52, 7, v42
	v_ffbh_u32_e32 v50, v52
	v_min_u32_e32 v61, 32, v50
	v_subrev_u32_e32 v50, 28, v61
	v_lshlrev_b64 v[50:51], v50, v[42:43]
	v_lshrrev_b32_e32 v53, 3, v49
	v_sub_u32_e32 v42, 29, v61
	v_and_b32_e32 v50, 7, v50
	v_cmp_gt_u32_e32 vcc, 8, v49
	v_cndmask_b32_e32 v42, v53, v42, vcc
	v_cndmask_b32_e32 v49, v52, v50, vcc
	v_lshlrev_b32_e32 v50, 16, v40
	v_lshlrev_b32_e32 v49, 20, v49
	v_and_b32_e32 v50, 0x80000000, v50
	v_lshl_add_u32 v42, v42, 23, v48
	v_or3_b32 v50, v50, v42, v49
.LBB626_367:                            ;   in Loop: Header=BB626_213 Depth=1
	s_or_b64 exec, exec, s[18:19]
.LBB626_368:                            ;   in Loop: Header=BB626_213 Depth=1
	s_or_b64 exec, exec, s[16:17]
.LBB626_369:                            ;   in Loop: Header=BB626_213 Depth=1
	s_or_b64 exec, exec, s[14:15]
	v_lshrrev_b32_e32 v42, 16, v40
	v_cmp_ne_u16_sdwa s[16:17], v42, v47 src0_sel:BYTE_0 src1_sel:DWORD
	s_and_saveexec_b64 s[14:15], s[16:17]
	s_cbranch_execz .LBB626_375
; %bb.370:                              ;   in Loop: Header=BB626_213 Depth=1
	v_cmp_ne_u16_sdwa s[18:19], v42, s9 src0_sel:BYTE_0 src1_sel:DWORD
	v_bfrev_b32_e32 v44, 1
	s_and_saveexec_b64 s[16:17], s[18:19]
	s_cbranch_execz .LBB626_374
; %bb.371:                              ;   in Loop: Header=BB626_213 Depth=1
	v_bfe_u32 v49, v40, 16, 7
	v_cmp_ne_u32_e32 vcc, s21, v49
	v_mov_b32_e32 v44, 0x7f800001
	s_and_saveexec_b64 s[18:19], vcc
	s_cbranch_execz .LBB626_373
; %bb.372:                              ;   in Loop: Header=BB626_213 Depth=1
	v_and_b32_e32 v44, 7, v42
	v_ffbh_u32_e32 v52, v44
	v_min_u32_e32 v61, 32, v52
	v_subrev_u32_e32 v52, 28, v61
	v_lshlrev_b64 v[52:53], v52, v[42:43]
	v_lshrrev_b32_e32 v51, 3, v49
	v_sub_u32_e32 v53, 29, v61
	v_and_b32_e32 v52, 7, v52
	v_cmp_gt_u32_e32 vcc, 8, v49
	v_cndmask_b32_e32 v49, v51, v53, vcc
	v_cndmask_b32_e32 v44, v44, v52, vcc
	v_lshlrev_b32_e32 v42, 24, v42
	v_lshlrev_b32_e32 v44, 20, v44
	v_and_b32_e32 v42, 0x80000000, v42
	v_lshl_add_u32 v49, v49, 23, v48
	v_or3_b32 v44, v42, v49, v44
.LBB626_373:                            ;   in Loop: Header=BB626_213 Depth=1
	s_or_b64 exec, exec, s[18:19]
.LBB626_374:                            ;   in Loop: Header=BB626_213 Depth=1
	s_or_b64 exec, exec, s[16:17]
.LBB626_375:                            ;   in Loop: Header=BB626_213 Depth=1
	s_or_b64 exec, exec, s[14:15]
	v_cmp_lt_u32_e32 vcc, s22, v40
	v_mov_b32_e32 v51, 0
	v_mov_b32_e32 v52, 0
	s_and_saveexec_b64 s[14:15], vcc
	s_cbranch_execz .LBB626_381
; %bb.376:                              ;   in Loop: Header=BB626_213 Depth=1
	v_lshrrev_b32_e32 v42, 24, v40
	v_cmp_ne_u32_e32 vcc, s9, v42
	v_bfrev_b32_e32 v52, 1
	s_and_saveexec_b64 s[16:17], vcc
	s_cbranch_execz .LBB626_380
; %bb.377:                              ;   in Loop: Header=BB626_213 Depth=1
	v_bfe_u32 v40, v40, 24, 7
	v_cmp_ne_u32_e32 vcc, s21, v40
	v_mov_b32_e32 v52, 0x7f800001
	s_and_saveexec_b64 s[18:19], vcc
	s_cbranch_execz .LBB626_379
; %bb.378:                              ;   in Loop: Header=BB626_213 Depth=1
	v_and_b32_e32 v49, 7, v42
	v_ffbh_u32_e32 v52, v49
	v_min_u32_e32 v62, 32, v52
	v_subrev_u32_e32 v52, 28, v62
	v_lshlrev_b64 v[52:53], v52, v[42:43]
	v_lshrrev_b32_e32 v61, 3, v40
	v_sub_u32_e32 v53, 29, v62
	v_and_b32_e32 v52, 7, v52
	v_cmp_gt_u32_e32 vcc, 8, v40
	v_cndmask_b32_e32 v40, v61, v53, vcc
	v_cndmask_b32_e32 v49, v49, v52, vcc
	v_lshlrev_b32_e32 v42, 24, v42
	v_lshlrev_b32_e32 v49, 20, v49
	v_and_b32_e32 v42, 0x80000000, v42
	v_lshl_add_u32 v40, v40, 23, v48
	v_or3_b32 v52, v42, v40, v49
.LBB626_379:                            ;   in Loop: Header=BB626_213 Depth=1
	s_or_b64 exec, exec, s[18:19]
.LBB626_380:                            ;   in Loop: Header=BB626_213 Depth=1
	s_or_b64 exec, exec, s[16:17]
.LBB626_381:                            ;   in Loop: Header=BB626_213 Depth=1
	s_or_b64 exec, exec, s[14:15]
	s_waitcnt vmcnt(0)
	v_cmp_ne_u16_sdwa s[16:17], v38, v47 src0_sel:BYTE_0 src1_sel:DWORD
	s_and_saveexec_b64 s[14:15], s[16:17]
	s_cbranch_execz .LBB626_387
; %bb.382:                              ;   in Loop: Header=BB626_213 Depth=1
	v_cmp_ne_u16_sdwa s[18:19], v38, s9 src0_sel:BYTE_0 src1_sel:DWORD
	v_bfrev_b32_e32 v51, 1
	s_and_saveexec_b64 s[16:17], s[18:19]
	s_cbranch_execz .LBB626_386
; %bb.383:                              ;   in Loop: Header=BB626_213 Depth=1
	v_and_b32_e32 v40, 0x7f, v38
	v_cmp_ne_u32_e32 vcc, s21, v40
	v_mov_b32_e32 v51, 0x7f800001
	s_and_saveexec_b64 s[18:19], vcc
	s_cbranch_execz .LBB626_385
; %bb.384:                              ;   in Loop: Header=BB626_213 Depth=1
	v_and_b32_e32 v42, 7, v38
	v_ffbh_u32_e32 v51, v42
	v_min_u32_e32 v51, 32, v51
	v_subrev_u32_e32 v53, 28, v51
	v_lshlrev_b64 v[62:63], v53, v[38:39]
	v_lshrrev_b32_e32 v49, 3, v40
	v_sub_u32_e32 v51, 29, v51
	v_and_b32_e32 v53, 7, v62
	v_cmp_gt_u32_e32 vcc, 8, v40
	v_cndmask_b32_e32 v40, v49, v51, vcc
	v_cndmask_b32_e32 v42, v42, v53, vcc
	v_lshlrev_b32_e32 v49, 24, v38
	v_lshlrev_b32_e32 v42, 20, v42
	v_and_b32_e32 v49, 0x80000000, v49
	v_lshl_add_u32 v40, v40, 23, v48
	v_or3_b32 v51, v49, v40, v42
.LBB626_385:                            ;   in Loop: Header=BB626_213 Depth=1
	s_or_b64 exec, exec, s[18:19]
.LBB626_386:                            ;   in Loop: Header=BB626_213 Depth=1
	s_or_b64 exec, exec, s[16:17]
.LBB626_387:                            ;   in Loop: Header=BB626_213 Depth=1
	s_or_b64 exec, exec, s[14:15]
	v_lshrrev_b16_e32 v40, 8, v38
	v_cmp_ne_u16_e32 vcc, 0, v40
	v_mov_b32_e32 v53, 0
	v_mov_b32_e32 v61, 0
	s_and_saveexec_b64 s[14:15], vcc
	s_cbranch_execz .LBB626_393
; %bb.388:                              ;   in Loop: Header=BB626_213 Depth=1
	v_cmp_ne_u16_e32 vcc, s9, v40
	v_bfrev_b32_e32 v61, 1
	s_and_saveexec_b64 s[16:17], vcc
	s_cbranch_execz .LBB626_392
; %bb.389:                              ;   in Loop: Header=BB626_213 Depth=1
	v_and_b32_e32 v42, 0x7f, v40
	v_cmp_ne_u32_e32 vcc, s21, v42
	v_mov_b32_e32 v61, 0x7f800001
	s_and_saveexec_b64 s[18:19], vcc
	s_cbranch_execz .LBB626_391
; %bb.390:                              ;   in Loop: Header=BB626_213 Depth=1
	v_and_b32_e32 v49, 7, v40
	v_ffbh_u32_e32 v62, v49
	v_min_u32_e32 v64, 32, v62
	v_subrev_u32_e32 v62, 28, v64
	v_lshlrev_b64 v[62:63], v62, v[40:41]
	v_lshrrev_b32_e32 v61, 3, v42
	v_sub_u32_e32 v40, 29, v64
	v_and_b32_e32 v62, 7, v62
	v_cmp_gt_u32_e32 vcc, 8, v42
	v_cndmask_b32_e32 v40, v61, v40, vcc
	v_cndmask_b32_e32 v42, v49, v62, vcc
	v_lshlrev_b32_e32 v49, 16, v38
	v_lshlrev_b32_e32 v42, 20, v42
	v_and_b32_e32 v49, 0x80000000, v49
	v_lshl_add_u32 v40, v40, 23, v48
	v_or3_b32 v61, v49, v40, v42
.LBB626_391:                            ;   in Loop: Header=BB626_213 Depth=1
	s_or_b64 exec, exec, s[18:19]
.LBB626_392:                            ;   in Loop: Header=BB626_213 Depth=1
	s_or_b64 exec, exec, s[16:17]
.LBB626_393:                            ;   in Loop: Header=BB626_213 Depth=1
	s_or_b64 exec, exec, s[14:15]
	v_lshrrev_b32_e32 v40, 16, v38
	v_cmp_ne_u16_sdwa s[16:17], v40, v47 src0_sel:BYTE_0 src1_sel:DWORD
	s_and_saveexec_b64 s[14:15], s[16:17]
	s_cbranch_execz .LBB626_399
; %bb.394:                              ;   in Loop: Header=BB626_213 Depth=1
	v_cmp_ne_u16_sdwa s[18:19], v40, s9 src0_sel:BYTE_0 src1_sel:DWORD
	v_bfrev_b32_e32 v53, 1
	s_and_saveexec_b64 s[16:17], s[18:19]
	s_cbranch_execz .LBB626_398
; %bb.395:                              ;   in Loop: Header=BB626_213 Depth=1
	v_bfe_u32 v42, v38, 16, 7
	v_cmp_ne_u32_e32 vcc, s21, v42
	v_mov_b32_e32 v53, 0x7f800001
	s_and_saveexec_b64 s[18:19], vcc
	s_cbranch_execz .LBB626_397
; %bb.396:                              ;   in Loop: Header=BB626_213 Depth=1
	v_and_b32_e32 v49, 7, v40
	v_ffbh_u32_e32 v62, v49
	v_min_u32_e32 v64, 32, v62
	v_subrev_u32_e32 v62, 28, v64
	v_lshlrev_b64 v[62:63], v62, v[40:41]
	v_lshrrev_b32_e32 v53, 3, v42
	v_sub_u32_e32 v63, 29, v64
	v_and_b32_e32 v62, 7, v62
	v_cmp_gt_u32_e32 vcc, 8, v42
	v_cndmask_b32_e32 v42, v53, v63, vcc
	v_cndmask_b32_e32 v49, v49, v62, vcc
	v_lshlrev_b32_e32 v40, 24, v40
	v_lshlrev_b32_e32 v49, 20, v49
	v_and_b32_e32 v40, 0x80000000, v40
	v_lshl_add_u32 v42, v42, 23, v48
	v_or3_b32 v53, v40, v42, v49
.LBB626_397:                            ;   in Loop: Header=BB626_213 Depth=1
	s_or_b64 exec, exec, s[18:19]
.LBB626_398:                            ;   in Loop: Header=BB626_213 Depth=1
	s_or_b64 exec, exec, s[16:17]
.LBB626_399:                            ;   in Loop: Header=BB626_213 Depth=1
	s_or_b64 exec, exec, s[14:15]
	v_cmp_lt_u32_e32 vcc, s22, v38
	v_mov_b32_e32 v49, 0
	v_mov_b32_e32 v62, 0
	s_and_saveexec_b64 s[14:15], vcc
	s_cbranch_execz .LBB626_405
; %bb.400:                              ;   in Loop: Header=BB626_213 Depth=1
	v_lshrrev_b32_e32 v40, 24, v38
	v_cmp_ne_u32_e32 vcc, s9, v40
	v_bfrev_b32_e32 v62, 1
	s_and_saveexec_b64 s[16:17], vcc
	s_cbranch_execz .LBB626_404
; %bb.401:                              ;   in Loop: Header=BB626_213 Depth=1
	v_bfe_u32 v38, v38, 24, 7
	v_cmp_ne_u32_e32 vcc, s21, v38
	v_mov_b32_e32 v62, 0x7f800001
	s_and_saveexec_b64 s[18:19], vcc
	s_cbranch_execz .LBB626_403
; %bb.402:                              ;   in Loop: Header=BB626_213 Depth=1
	v_and_b32_e32 v42, 7, v40
	v_ffbh_u32_e32 v62, v42
	v_min_u32_e32 v65, 32, v62
	v_subrev_u32_e32 v62, 28, v65
	v_lshlrev_b64 v[62:63], v62, v[40:41]
	v_lshrrev_b32_e32 v64, 3, v38
	v_sub_u32_e32 v63, 29, v65
	v_and_b32_e32 v62, 7, v62
	v_cmp_gt_u32_e32 vcc, 8, v38
	v_cndmask_b32_e32 v38, v64, v63, vcc
	v_cndmask_b32_e32 v42, v42, v62, vcc
	v_lshlrev_b32_e32 v40, 24, v40
	v_lshlrev_b32_e32 v42, 20, v42
	v_and_b32_e32 v40, 0x80000000, v40
	v_lshl_add_u32 v38, v38, 23, v48
	v_or3_b32 v62, v40, v38, v42
.LBB626_403:                            ;   in Loop: Header=BB626_213 Depth=1
	s_or_b64 exec, exec, s[18:19]
.LBB626_404:                            ;   in Loop: Header=BB626_213 Depth=1
	s_or_b64 exec, exec, s[16:17]
.LBB626_405:                            ;   in Loop: Header=BB626_213 Depth=1
	s_or_b64 exec, exec, s[14:15]
	v_cvt_pkrtz_f16_f32 v65, v44, v52
	buffer_load_dword v44, v60, s[0:3], 0 offen
	buffer_load_dword v42, v60, s[0:3], 0 offen offset:4
	buffer_load_dword v40, v60, s[0:3], 0 offen offset:8
	;; [unrolled: 1-line block ×3, first 2 shown]
	v_cvt_pkrtz_f16_f32 v64, v46, v50
	v_cvt_pkrtz_f16_f32 v50, v51, v61
	;; [unrolled: 1-line block ×3, first 2 shown]
	v_mfma_f32_16x16x16f16 v[34:37], v[64:65], v[14:15], v[34:37]
	s_waitcnt vmcnt(3)
	v_cmp_ne_u16_sdwa s[16:17], v44, v47 src0_sel:BYTE_0 src1_sel:DWORD
	v_mfma_f32_16x16x16f16 v[34:37], v[50:51], v[16:17], v[34:37]
	s_and_saveexec_b64 s[14:15], s[16:17]
	s_cbranch_execz .LBB626_411
; %bb.406:                              ;   in Loop: Header=BB626_213 Depth=1
	v_cmp_ne_u16_sdwa s[18:19], v44, s9 src0_sel:BYTE_0 src1_sel:DWORD
	v_bfrev_b32_e32 v49, 1
	s_and_saveexec_b64 s[16:17], s[18:19]
	s_cbranch_execz .LBB626_410
; %bb.407:                              ;   in Loop: Header=BB626_213 Depth=1
	v_and_b32_e32 v46, 0x7f, v44
	v_cmp_ne_u32_e32 vcc, s21, v46
	v_mov_b32_e32 v49, 0x7f800001
	s_and_saveexec_b64 s[18:19], vcc
	s_cbranch_execz .LBB626_409
; %bb.408:                              ;   in Loop: Header=BB626_213 Depth=1
	v_and_b32_e32 v49, 7, v44
	v_ffbh_u32_e32 v50, v49
	v_min_u32_e32 v53, 32, v50
	v_subrev_u32_e32 v50, 28, v53
	v_lshlrev_b64 v[50:51], v50, v[44:45]
	v_lshrrev_b32_e32 v52, 3, v46
	v_sub_u32_e32 v51, 29, v53
	v_and_b32_e32 v50, 7, v50
	v_cmp_gt_u32_e32 vcc, 8, v46
	v_cndmask_b32_e32 v46, v52, v51, vcc
	v_cndmask_b32_e32 v49, v49, v50, vcc
	v_lshlrev_b32_e32 v50, 24, v44
	v_lshlrev_b32_e32 v49, 20, v49
	v_and_b32_e32 v50, 0x80000000, v50
	v_lshl_add_u32 v46, v46, 23, v48
	v_or3_b32 v49, v50, v46, v49
.LBB626_409:                            ;   in Loop: Header=BB626_213 Depth=1
	s_or_b64 exec, exec, s[18:19]
.LBB626_410:                            ;   in Loop: Header=BB626_213 Depth=1
	s_or_b64 exec, exec, s[16:17]
.LBB626_411:                            ;   in Loop: Header=BB626_213 Depth=1
	s_or_b64 exec, exec, s[14:15]
	v_lshrrev_b16_e32 v46, 8, v44
	v_cmp_ne_u16_e32 vcc, 0, v46
	v_mov_b32_e32 v50, 0
	v_mov_b32_e32 v51, 0
	s_and_saveexec_b64 s[14:15], vcc
	s_cbranch_execz .LBB626_417
; %bb.412:                              ;   in Loop: Header=BB626_213 Depth=1
	v_cmp_ne_u16_e32 vcc, s9, v46
	v_bfrev_b32_e32 v51, 1
	s_and_saveexec_b64 s[16:17], vcc
	s_cbranch_execz .LBB626_416
; %bb.413:                              ;   in Loop: Header=BB626_213 Depth=1
	v_and_b32_e32 v52, 0x7f, v46
	v_cmp_ne_u32_e32 vcc, s21, v52
	v_mov_b32_e32 v51, 0x7f800001
	s_and_saveexec_b64 s[18:19], vcc
	s_cbranch_execz .LBB626_415
; %bb.414:                              ;   in Loop: Header=BB626_213 Depth=1
	v_and_b32_e32 v51, 7, v46
	v_ffbh_u32_e32 v60, v51
	v_min_u32_e32 v62, 32, v60
	v_subrev_u32_e32 v60, 28, v62
	v_lshlrev_b64 v[60:61], v60, v[46:47]
	v_lshrrev_b32_e32 v53, 3, v52
	v_sub_u32_e32 v46, 29, v62
	v_and_b32_e32 v60, 7, v60
	v_cmp_gt_u32_e32 vcc, 8, v52
	v_cndmask_b32_e32 v46, v53, v46, vcc
	v_cndmask_b32_e32 v51, v51, v60, vcc
	v_lshlrev_b32_e32 v52, 16, v44
	v_lshlrev_b32_e32 v51, 20, v51
	v_and_b32_e32 v52, 0x80000000, v52
	v_lshl_add_u32 v46, v46, 23, v48
	v_or3_b32 v51, v52, v46, v51
.LBB626_415:                            ;   in Loop: Header=BB626_213 Depth=1
	s_or_b64 exec, exec, s[18:19]
.LBB626_416:                            ;   in Loop: Header=BB626_213 Depth=1
	s_or_b64 exec, exec, s[16:17]
.LBB626_417:                            ;   in Loop: Header=BB626_213 Depth=1
	s_or_b64 exec, exec, s[14:15]
	v_lshrrev_b32_e32 v46, 16, v44
	v_cmp_ne_u16_sdwa s[16:17], v46, v47 src0_sel:BYTE_0 src1_sel:DWORD
	s_and_saveexec_b64 s[14:15], s[16:17]
	s_cbranch_execz .LBB626_423
; %bb.418:                              ;   in Loop: Header=BB626_213 Depth=1
	v_cmp_ne_u16_sdwa s[18:19], v46, s9 src0_sel:BYTE_0 src1_sel:DWORD
	v_bfrev_b32_e32 v50, 1
	s_and_saveexec_b64 s[16:17], s[18:19]
	s_cbranch_execz .LBB626_422
; %bb.419:                              ;   in Loop: Header=BB626_213 Depth=1
	v_bfe_u32 v52, v44, 16, 7
	v_cmp_ne_u32_e32 vcc, s21, v52
	v_mov_b32_e32 v50, 0x7f800001
	s_and_saveexec_b64 s[18:19], vcc
	s_cbranch_execz .LBB626_421
; %bb.420:                              ;   in Loop: Header=BB626_213 Depth=1
	v_and_b32_e32 v50, 7, v46
	v_ffbh_u32_e32 v60, v50
	v_min_u32_e32 v62, 32, v60
	v_subrev_u32_e32 v60, 28, v62
	v_lshlrev_b64 v[60:61], v60, v[46:47]
	v_lshrrev_b32_e32 v53, 3, v52
	v_sub_u32_e32 v61, 29, v62
	v_and_b32_e32 v60, 7, v60
	v_cmp_gt_u32_e32 vcc, 8, v52
	v_cndmask_b32_e32 v52, v53, v61, vcc
	v_cndmask_b32_e32 v50, v50, v60, vcc
	v_lshlrev_b32_e32 v46, 24, v46
	v_lshlrev_b32_e32 v50, 20, v50
	v_and_b32_e32 v46, 0x80000000, v46
	v_lshl_add_u32 v52, v52, 23, v48
	v_or3_b32 v50, v46, v52, v50
.LBB626_421:                            ;   in Loop: Header=BB626_213 Depth=1
	s_or_b64 exec, exec, s[18:19]
.LBB626_422:                            ;   in Loop: Header=BB626_213 Depth=1
	s_or_b64 exec, exec, s[16:17]
.LBB626_423:                            ;   in Loop: Header=BB626_213 Depth=1
	s_or_b64 exec, exec, s[14:15]
	v_cmp_lt_u32_e32 vcc, s22, v44
	v_mov_b32_e32 v52, 0
	v_mov_b32_e32 v53, 0
	s_and_saveexec_b64 s[14:15], vcc
	s_cbranch_execz .LBB626_429
; %bb.424:                              ;   in Loop: Header=BB626_213 Depth=1
	v_lshrrev_b32_e32 v46, 24, v44
	v_cmp_ne_u32_e32 vcc, s9, v46
	v_bfrev_b32_e32 v53, 1
	s_and_saveexec_b64 s[16:17], vcc
	s_cbranch_execz .LBB626_428
; %bb.425:                              ;   in Loop: Header=BB626_213 Depth=1
	v_bfe_u32 v44, v44, 24, 7
	v_cmp_ne_u32_e32 vcc, s21, v44
	v_mov_b32_e32 v53, 0x7f800001
	s_and_saveexec_b64 s[18:19], vcc
	s_cbranch_execz .LBB626_427
; %bb.426:                              ;   in Loop: Header=BB626_213 Depth=1
	v_and_b32_e32 v53, 7, v46
	v_ffbh_u32_e32 v60, v53
	v_min_u32_e32 v63, 32, v60
	v_subrev_u32_e32 v60, 28, v63
	v_lshlrev_b64 v[60:61], v60, v[46:47]
	v_lshrrev_b32_e32 v62, 3, v44
	v_sub_u32_e32 v61, 29, v63
	v_and_b32_e32 v60, 7, v60
	v_cmp_gt_u32_e32 vcc, 8, v44
	v_cndmask_b32_e32 v44, v62, v61, vcc
	v_cndmask_b32_e32 v53, v53, v60, vcc
	v_lshlrev_b32_e32 v46, 24, v46
	v_lshlrev_b32_e32 v53, 20, v53
	v_and_b32_e32 v46, 0x80000000, v46
	v_lshl_add_u32 v44, v44, 23, v48
	v_or3_b32 v53, v46, v44, v53
.LBB626_427:                            ;   in Loop: Header=BB626_213 Depth=1
	s_or_b64 exec, exec, s[18:19]
.LBB626_428:                            ;   in Loop: Header=BB626_213 Depth=1
	s_or_b64 exec, exec, s[16:17]
.LBB626_429:                            ;   in Loop: Header=BB626_213 Depth=1
	s_or_b64 exec, exec, s[14:15]
	s_waitcnt vmcnt(2)
	v_cmp_ne_u16_sdwa s[16:17], v42, v47 src0_sel:BYTE_0 src1_sel:DWORD
	s_and_saveexec_b64 s[14:15], s[16:17]
	s_cbranch_execz .LBB626_435
; %bb.430:                              ;   in Loop: Header=BB626_213 Depth=1
	v_cmp_ne_u16_sdwa s[18:19], v42, s9 src0_sel:BYTE_0 src1_sel:DWORD
	v_bfrev_b32_e32 v52, 1
	s_and_saveexec_b64 s[16:17], s[18:19]
	s_cbranch_execz .LBB626_434
; %bb.431:                              ;   in Loop: Header=BB626_213 Depth=1
	v_and_b32_e32 v44, 0x7f, v42
	v_cmp_ne_u32_e32 vcc, s21, v44
	v_mov_b32_e32 v52, 0x7f800001
	s_and_saveexec_b64 s[18:19], vcc
	s_cbranch_execz .LBB626_433
; %bb.432:                              ;   in Loop: Header=BB626_213 Depth=1
	v_and_b32_e32 v46, 7, v42
	v_ffbh_u32_e32 v60, v46
	v_min_u32_e32 v62, 32, v60
	v_subrev_u32_e32 v60, 28, v62
	v_lshlrev_b64 v[60:61], v60, v[42:43]
	v_lshrrev_b32_e32 v52, 3, v44
	v_sub_u32_e32 v61, 29, v62
	v_and_b32_e32 v60, 7, v60
	v_cmp_gt_u32_e32 vcc, 8, v44
	v_cndmask_b32_e32 v44, v52, v61, vcc
	v_cndmask_b32_e32 v46, v46, v60, vcc
	v_lshlrev_b32_e32 v52, 24, v42
	v_lshlrev_b32_e32 v46, 20, v46
	v_and_b32_e32 v52, 0x80000000, v52
	v_lshl_add_u32 v44, v44, 23, v48
	v_or3_b32 v52, v52, v44, v46
.LBB626_433:                            ;   in Loop: Header=BB626_213 Depth=1
	s_or_b64 exec, exec, s[18:19]
.LBB626_434:                            ;   in Loop: Header=BB626_213 Depth=1
	s_or_b64 exec, exec, s[16:17]
.LBB626_435:                            ;   in Loop: Header=BB626_213 Depth=1
	s_or_b64 exec, exec, s[14:15]
	v_lshrrev_b16_e32 v44, 8, v42
	v_cmp_ne_u16_e32 vcc, 0, v44
	v_mov_b32_e32 v60, 0
	v_mov_b32_e32 v61, 0
	s_and_saveexec_b64 s[14:15], vcc
	s_cbranch_execz .LBB626_441
; %bb.436:                              ;   in Loop: Header=BB626_213 Depth=1
	v_cmp_ne_u16_e32 vcc, s9, v44
	v_bfrev_b32_e32 v61, 1
	s_and_saveexec_b64 s[16:17], vcc
	s_cbranch_execz .LBB626_440
; %bb.437:                              ;   in Loop: Header=BB626_213 Depth=1
	v_and_b32_e32 v46, 0x7f, v44
	v_cmp_ne_u32_e32 vcc, s21, v46
	v_mov_b32_e32 v61, 0x7f800001
	s_and_saveexec_b64 s[18:19], vcc
	s_cbranch_execz .LBB626_439
; %bb.438:                              ;   in Loop: Header=BB626_213 Depth=1
	v_and_b32_e32 v61, 7, v44
	v_ffbh_u32_e32 v62, v61
	v_min_u32_e32 v65, 32, v62
	v_subrev_u32_e32 v62, 28, v65
	v_lshlrev_b64 v[62:63], v62, v[44:45]
	v_lshrrev_b32_e32 v64, 3, v46
	v_sub_u32_e32 v44, 29, v65
	v_and_b32_e32 v62, 7, v62
	v_cmp_gt_u32_e32 vcc, 8, v46
	v_cndmask_b32_e32 v44, v64, v44, vcc
	v_cndmask_b32_e32 v46, v61, v62, vcc
	v_lshlrev_b32_e32 v61, 16, v42
	v_lshlrev_b32_e32 v46, 20, v46
	v_and_b32_e32 v61, 0x80000000, v61
	v_lshl_add_u32 v44, v44, 23, v48
	v_or3_b32 v61, v61, v44, v46
.LBB626_439:                            ;   in Loop: Header=BB626_213 Depth=1
	s_or_b64 exec, exec, s[18:19]
.LBB626_440:                            ;   in Loop: Header=BB626_213 Depth=1
	s_or_b64 exec, exec, s[16:17]
.LBB626_441:                            ;   in Loop: Header=BB626_213 Depth=1
	s_or_b64 exec, exec, s[14:15]
	v_lshrrev_b32_e32 v44, 16, v42
	v_cmp_ne_u16_sdwa s[16:17], v44, v47 src0_sel:BYTE_0 src1_sel:DWORD
	s_and_saveexec_b64 s[14:15], s[16:17]
	s_cbranch_execz .LBB626_447
; %bb.442:                              ;   in Loop: Header=BB626_213 Depth=1
	v_cmp_ne_u16_sdwa s[18:19], v44, s9 src0_sel:BYTE_0 src1_sel:DWORD
	v_bfrev_b32_e32 v60, 1
	s_and_saveexec_b64 s[16:17], s[18:19]
	s_cbranch_execz .LBB626_446
; %bb.443:                              ;   in Loop: Header=BB626_213 Depth=1
	v_bfe_u32 v46, v42, 16, 7
	v_cmp_ne_u32_e32 vcc, s21, v46
	v_mov_b32_e32 v60, 0x7f800001
	s_and_saveexec_b64 s[18:19], vcc
	s_cbranch_execz .LBB626_445
; %bb.444:                              ;   in Loop: Header=BB626_213 Depth=1
	v_and_b32_e32 v60, 7, v44
	v_ffbh_u32_e32 v62, v60
	v_min_u32_e32 v65, 32, v62
	v_subrev_u32_e32 v62, 28, v65
	v_lshlrev_b64 v[62:63], v62, v[44:45]
	v_lshrrev_b32_e32 v64, 3, v46
	v_sub_u32_e32 v63, 29, v65
	v_and_b32_e32 v62, 7, v62
	v_cmp_gt_u32_e32 vcc, 8, v46
	v_cndmask_b32_e32 v46, v64, v63, vcc
	v_cndmask_b32_e32 v60, v60, v62, vcc
	v_lshlrev_b32_e32 v44, 24, v44
	v_lshlrev_b32_e32 v60, 20, v60
	v_and_b32_e32 v44, 0x80000000, v44
	v_lshl_add_u32 v46, v46, 23, v48
	v_or3_b32 v60, v44, v46, v60
.LBB626_445:                            ;   in Loop: Header=BB626_213 Depth=1
	s_or_b64 exec, exec, s[18:19]
.LBB626_446:                            ;   in Loop: Header=BB626_213 Depth=1
	s_or_b64 exec, exec, s[16:17]
.LBB626_447:                            ;   in Loop: Header=BB626_213 Depth=1
	s_or_b64 exec, exec, s[14:15]
	v_cmp_lt_u32_e32 vcc, s22, v42
	v_mov_b32_e32 v46, 0
	v_mov_b32_e32 v62, 0
	s_and_saveexec_b64 s[14:15], vcc
	s_cbranch_execz .LBB626_453
; %bb.448:                              ;   in Loop: Header=BB626_213 Depth=1
	v_lshrrev_b32_e32 v44, 24, v42
	v_cmp_ne_u32_e32 vcc, s9, v44
	v_bfrev_b32_e32 v62, 1
	s_and_saveexec_b64 s[16:17], vcc
	s_cbranch_execz .LBB626_452
; %bb.449:                              ;   in Loop: Header=BB626_213 Depth=1
	v_bfe_u32 v42, v42, 24, 7
	v_cmp_ne_u32_e32 vcc, s21, v42
	v_mov_b32_e32 v62, 0x7f800001
	s_and_saveexec_b64 s[18:19], vcc
	s_cbranch_execz .LBB626_451
; %bb.450:                              ;   in Loop: Header=BB626_213 Depth=1
	v_and_b32_e32 v64, 7, v44
	v_ffbh_u32_e32 v62, v64
	v_min_u32_e32 v66, 32, v62
	v_subrev_u32_e32 v62, 28, v66
	v_lshlrev_b64 v[62:63], v62, v[44:45]
	v_lshrrev_b32_e32 v65, 3, v42
	v_sub_u32_e32 v63, 29, v66
	v_and_b32_e32 v62, 7, v62
	v_cmp_gt_u32_e32 vcc, 8, v42
	v_cndmask_b32_e32 v42, v65, v63, vcc
	v_cndmask_b32_e32 v62, v64, v62, vcc
	v_lshlrev_b32_e32 v44, 24, v44
	v_lshlrev_b32_e32 v62, 20, v62
	v_and_b32_e32 v44, 0x80000000, v44
	v_lshl_add_u32 v42, v42, 23, v48
	v_or3_b32 v62, v44, v42, v62
.LBB626_451:                            ;   in Loop: Header=BB626_213 Depth=1
	s_or_b64 exec, exec, s[18:19]
.LBB626_452:                            ;   in Loop: Header=BB626_213 Depth=1
	s_or_b64 exec, exec, s[16:17]
.LBB626_453:                            ;   in Loop: Header=BB626_213 Depth=1
	s_or_b64 exec, exec, s[14:15]
	v_cvt_pkrtz_f16_f32 v64, v49, v51
	v_cvt_pkrtz_f16_f32 v65, v50, v53
	;; [unrolled: 1-line block ×4, first 2 shown]
	s_waitcnt vmcnt(1)
	v_cmp_ne_u16_sdwa s[16:17], v40, v47 src0_sel:BYTE_0 src1_sel:DWORD
	v_mfma_f32_16x16x16f16 v[34:37], v[64:65], v[18:19], v[34:37]
	v_mfma_f32_16x16x16f16 v[34:37], v[50:51], v[20:21], v[34:37]
	s_and_saveexec_b64 s[14:15], s[16:17]
	s_cbranch_execz .LBB626_459
; %bb.454:                              ;   in Loop: Header=BB626_213 Depth=1
	v_cmp_ne_u16_sdwa s[18:19], v40, s9 src0_sel:BYTE_0 src1_sel:DWORD
	v_bfrev_b32_e32 v46, 1
	s_and_saveexec_b64 s[16:17], s[18:19]
	s_cbranch_execz .LBB626_458
; %bb.455:                              ;   in Loop: Header=BB626_213 Depth=1
	v_and_b32_e32 v42, 0x7f, v40
	v_cmp_ne_u32_e32 vcc, s21, v42
	v_mov_b32_e32 v46, 0x7f800001
	s_and_saveexec_b64 s[18:19], vcc
	s_cbranch_execz .LBB626_457
; %bb.456:                              ;   in Loop: Header=BB626_213 Depth=1
	v_and_b32_e32 v44, 7, v40
	v_ffbh_u32_e32 v49, v44
	v_min_u32_e32 v49, 32, v49
	v_subrev_u32_e32 v50, 28, v49
	v_lshlrev_b64 v[50:51], v50, v[40:41]
	v_lshrrev_b32_e32 v46, 3, v42
	v_sub_u32_e32 v49, 29, v49
	v_and_b32_e32 v50, 7, v50
	v_cmp_gt_u32_e32 vcc, 8, v42
	v_cndmask_b32_e32 v42, v46, v49, vcc
	v_cndmask_b32_e32 v44, v44, v50, vcc
	v_lshlrev_b32_e32 v46, 24, v40
	v_lshlrev_b32_e32 v44, 20, v44
	v_and_b32_e32 v46, 0x80000000, v46
	v_lshl_add_u32 v42, v42, 23, v48
	v_or3_b32 v46, v46, v42, v44
.LBB626_457:                            ;   in Loop: Header=BB626_213 Depth=1
	s_or_b64 exec, exec, s[18:19]
.LBB626_458:                            ;   in Loop: Header=BB626_213 Depth=1
	s_or_b64 exec, exec, s[16:17]
.LBB626_459:                            ;   in Loop: Header=BB626_213 Depth=1
	s_or_b64 exec, exec, s[14:15]
	v_lshrrev_b16_e32 v42, 8, v40
	v_cmp_ne_u16_e32 vcc, 0, v42
	v_mov_b32_e32 v44, 0
	v_mov_b32_e32 v50, 0
	s_and_saveexec_b64 s[14:15], vcc
	s_cbranch_execz .LBB626_465
; %bb.460:                              ;   in Loop: Header=BB626_213 Depth=1
	v_cmp_ne_u16_e32 vcc, s9, v42
	v_bfrev_b32_e32 v50, 1
	s_and_saveexec_b64 s[16:17], vcc
	s_cbranch_execz .LBB626_464
; %bb.461:                              ;   in Loop: Header=BB626_213 Depth=1
	v_and_b32_e32 v49, 0x7f, v42
	v_cmp_ne_u32_e32 vcc, s21, v49
	v_mov_b32_e32 v50, 0x7f800001
	s_and_saveexec_b64 s[18:19], vcc
	s_cbranch_execz .LBB626_463
; %bb.462:                              ;   in Loop: Header=BB626_213 Depth=1
	v_and_b32_e32 v52, 7, v42
	v_ffbh_u32_e32 v50, v52
	v_min_u32_e32 v60, 32, v50
	v_subrev_u32_e32 v50, 28, v60
	v_lshlrev_b64 v[50:51], v50, v[42:43]
	v_lshrrev_b32_e32 v53, 3, v49
	v_sub_u32_e32 v42, 29, v60
	v_and_b32_e32 v50, 7, v50
	v_cmp_gt_u32_e32 vcc, 8, v49
	v_cndmask_b32_e32 v42, v53, v42, vcc
	v_cndmask_b32_e32 v49, v52, v50, vcc
	v_lshlrev_b32_e32 v50, 16, v40
	v_lshlrev_b32_e32 v49, 20, v49
	v_and_b32_e32 v50, 0x80000000, v50
	v_lshl_add_u32 v42, v42, 23, v48
	v_or3_b32 v50, v50, v42, v49
.LBB626_463:                            ;   in Loop: Header=BB626_213 Depth=1
	s_or_b64 exec, exec, s[18:19]
.LBB626_464:                            ;   in Loop: Header=BB626_213 Depth=1
	s_or_b64 exec, exec, s[16:17]
.LBB626_465:                            ;   in Loop: Header=BB626_213 Depth=1
	s_or_b64 exec, exec, s[14:15]
	v_lshrrev_b32_e32 v42, 16, v40
	v_cmp_ne_u16_sdwa s[16:17], v42, v47 src0_sel:BYTE_0 src1_sel:DWORD
	s_and_saveexec_b64 s[14:15], s[16:17]
	s_cbranch_execz .LBB626_471
; %bb.466:                              ;   in Loop: Header=BB626_213 Depth=1
	v_cmp_ne_u16_sdwa s[18:19], v42, s9 src0_sel:BYTE_0 src1_sel:DWORD
	v_bfrev_b32_e32 v44, 1
	s_and_saveexec_b64 s[16:17], s[18:19]
	s_cbranch_execz .LBB626_470
; %bb.467:                              ;   in Loop: Header=BB626_213 Depth=1
	v_bfe_u32 v49, v40, 16, 7
	v_cmp_ne_u32_e32 vcc, s21, v49
	v_mov_b32_e32 v44, 0x7f800001
	s_and_saveexec_b64 s[18:19], vcc
	s_cbranch_execz .LBB626_469
; %bb.468:                              ;   in Loop: Header=BB626_213 Depth=1
	v_and_b32_e32 v44, 7, v42
	v_ffbh_u32_e32 v52, v44
	v_min_u32_e32 v60, 32, v52
	v_subrev_u32_e32 v52, 28, v60
	v_lshlrev_b64 v[52:53], v52, v[42:43]
	v_lshrrev_b32_e32 v51, 3, v49
	v_sub_u32_e32 v53, 29, v60
	v_and_b32_e32 v52, 7, v52
	v_cmp_gt_u32_e32 vcc, 8, v49
	v_cndmask_b32_e32 v49, v51, v53, vcc
	v_cndmask_b32_e32 v44, v44, v52, vcc
	v_lshlrev_b32_e32 v42, 24, v42
	v_lshlrev_b32_e32 v44, 20, v44
	v_and_b32_e32 v42, 0x80000000, v42
	v_lshl_add_u32 v49, v49, 23, v48
	v_or3_b32 v44, v42, v49, v44
.LBB626_469:                            ;   in Loop: Header=BB626_213 Depth=1
	s_or_b64 exec, exec, s[18:19]
.LBB626_470:                            ;   in Loop: Header=BB626_213 Depth=1
	s_or_b64 exec, exec, s[16:17]
.LBB626_471:                            ;   in Loop: Header=BB626_213 Depth=1
	s_or_b64 exec, exec, s[14:15]
	v_cmp_lt_u32_e32 vcc, s22, v40
	v_mov_b32_e32 v51, 0
	v_mov_b32_e32 v52, 0
	s_and_saveexec_b64 s[14:15], vcc
	s_cbranch_execz .LBB626_477
; %bb.472:                              ;   in Loop: Header=BB626_213 Depth=1
	v_lshrrev_b32_e32 v42, 24, v40
	v_cmp_ne_u32_e32 vcc, s9, v42
	v_bfrev_b32_e32 v52, 1
	s_and_saveexec_b64 s[16:17], vcc
	s_cbranch_execz .LBB626_476
; %bb.473:                              ;   in Loop: Header=BB626_213 Depth=1
	v_bfe_u32 v40, v40, 24, 7
	v_cmp_ne_u32_e32 vcc, s21, v40
	v_mov_b32_e32 v52, 0x7f800001
	s_and_saveexec_b64 s[18:19], vcc
	s_cbranch_execz .LBB626_475
; %bb.474:                              ;   in Loop: Header=BB626_213 Depth=1
	v_and_b32_e32 v49, 7, v42
	v_ffbh_u32_e32 v52, v49
	v_min_u32_e32 v61, 32, v52
	v_subrev_u32_e32 v52, 28, v61
	v_lshlrev_b64 v[52:53], v52, v[42:43]
	v_lshrrev_b32_e32 v60, 3, v40
	v_sub_u32_e32 v53, 29, v61
	v_and_b32_e32 v52, 7, v52
	v_cmp_gt_u32_e32 vcc, 8, v40
	v_cndmask_b32_e32 v40, v60, v53, vcc
	v_cndmask_b32_e32 v49, v49, v52, vcc
	v_lshlrev_b32_e32 v42, 24, v42
	v_lshlrev_b32_e32 v49, 20, v49
	v_and_b32_e32 v42, 0x80000000, v42
	v_lshl_add_u32 v40, v40, 23, v48
	v_or3_b32 v52, v42, v40, v49
.LBB626_475:                            ;   in Loop: Header=BB626_213 Depth=1
	s_or_b64 exec, exec, s[18:19]
.LBB626_476:                            ;   in Loop: Header=BB626_213 Depth=1
	s_or_b64 exec, exec, s[16:17]
.LBB626_477:                            ;   in Loop: Header=BB626_213 Depth=1
	s_or_b64 exec, exec, s[14:15]
	s_waitcnt vmcnt(0)
	v_cmp_ne_u16_sdwa s[16:17], v38, v47 src0_sel:BYTE_0 src1_sel:DWORD
	s_and_saveexec_b64 s[14:15], s[16:17]
	s_cbranch_execz .LBB626_483
; %bb.478:                              ;   in Loop: Header=BB626_213 Depth=1
	v_cmp_ne_u16_sdwa s[18:19], v38, s9 src0_sel:BYTE_0 src1_sel:DWORD
	v_bfrev_b32_e32 v51, 1
	s_and_saveexec_b64 s[16:17], s[18:19]
	s_cbranch_execz .LBB626_482
; %bb.479:                              ;   in Loop: Header=BB626_213 Depth=1
	v_and_b32_e32 v40, 0x7f, v38
	v_cmp_ne_u32_e32 vcc, s21, v40
	v_mov_b32_e32 v51, 0x7f800001
	s_and_saveexec_b64 s[18:19], vcc
	s_cbranch_execz .LBB626_481
; %bb.480:                              ;   in Loop: Header=BB626_213 Depth=1
	v_and_b32_e32 v42, 7, v38
	v_ffbh_u32_e32 v51, v42
	v_min_u32_e32 v51, 32, v51
	v_subrev_u32_e32 v53, 28, v51
	v_lshlrev_b64 v[60:61], v53, v[38:39]
	v_lshrrev_b32_e32 v49, 3, v40
	v_sub_u32_e32 v51, 29, v51
	v_and_b32_e32 v53, 7, v60
	v_cmp_gt_u32_e32 vcc, 8, v40
	v_cndmask_b32_e32 v40, v49, v51, vcc
	v_cndmask_b32_e32 v42, v42, v53, vcc
	v_lshlrev_b32_e32 v49, 24, v38
	v_lshlrev_b32_e32 v42, 20, v42
	v_and_b32_e32 v49, 0x80000000, v49
	v_lshl_add_u32 v40, v40, 23, v48
	v_or3_b32 v51, v49, v40, v42
.LBB626_481:                            ;   in Loop: Header=BB626_213 Depth=1
	s_or_b64 exec, exec, s[18:19]
.LBB626_482:                            ;   in Loop: Header=BB626_213 Depth=1
	s_or_b64 exec, exec, s[16:17]
.LBB626_483:                            ;   in Loop: Header=BB626_213 Depth=1
	s_or_b64 exec, exec, s[14:15]
	v_lshrrev_b16_e32 v40, 8, v38
	v_cmp_ne_u16_e32 vcc, 0, v40
	v_mov_b32_e32 v53, 0
	v_mov_b32_e32 v60, 0
	s_and_saveexec_b64 s[14:15], vcc
	s_cbranch_execz .LBB626_489
; %bb.484:                              ;   in Loop: Header=BB626_213 Depth=1
	v_cmp_ne_u16_e32 vcc, s9, v40
	v_bfrev_b32_e32 v60, 1
	s_and_saveexec_b64 s[16:17], vcc
	s_cbranch_execz .LBB626_488
; %bb.485:                              ;   in Loop: Header=BB626_213 Depth=1
	v_and_b32_e32 v42, 0x7f, v40
	v_cmp_ne_u32_e32 vcc, s21, v42
	v_mov_b32_e32 v60, 0x7f800001
	s_and_saveexec_b64 s[18:19], vcc
	s_cbranch_execz .LBB626_487
; %bb.486:                              ;   in Loop: Header=BB626_213 Depth=1
	v_and_b32_e32 v49, 7, v40
	v_ffbh_u32_e32 v60, v49
	v_min_u32_e32 v63, 32, v60
	v_subrev_u32_e32 v60, 28, v63
	v_lshlrev_b64 v[60:61], v60, v[40:41]
	v_lshrrev_b32_e32 v62, 3, v42
	v_sub_u32_e32 v40, 29, v63
	v_and_b32_e32 v60, 7, v60
	v_cmp_gt_u32_e32 vcc, 8, v42
	v_cndmask_b32_e32 v40, v62, v40, vcc
	v_cndmask_b32_e32 v42, v49, v60, vcc
	v_lshlrev_b32_e32 v49, 16, v38
	v_lshlrev_b32_e32 v42, 20, v42
	v_and_b32_e32 v49, 0x80000000, v49
	v_lshl_add_u32 v40, v40, 23, v48
	v_or3_b32 v60, v49, v40, v42
.LBB626_487:                            ;   in Loop: Header=BB626_213 Depth=1
	s_or_b64 exec, exec, s[18:19]
.LBB626_488:                            ;   in Loop: Header=BB626_213 Depth=1
	s_or_b64 exec, exec, s[16:17]
.LBB626_489:                            ;   in Loop: Header=BB626_213 Depth=1
	s_or_b64 exec, exec, s[14:15]
	v_lshrrev_b32_e32 v40, 16, v38
	v_cmp_ne_u16_sdwa s[16:17], v40, v47 src0_sel:BYTE_0 src1_sel:DWORD
	s_and_saveexec_b64 s[14:15], s[16:17]
	s_cbranch_execz .LBB626_495
; %bb.490:                              ;   in Loop: Header=BB626_213 Depth=1
	v_cmp_ne_u16_sdwa s[18:19], v40, s9 src0_sel:BYTE_0 src1_sel:DWORD
	v_bfrev_b32_e32 v53, 1
	s_and_saveexec_b64 s[16:17], s[18:19]
	s_cbranch_execz .LBB626_494
; %bb.491:                              ;   in Loop: Header=BB626_213 Depth=1
	v_bfe_u32 v42, v38, 16, 7
	v_cmp_ne_u32_e32 vcc, s21, v42
	v_mov_b32_e32 v53, 0x7f800001
	s_and_saveexec_b64 s[18:19], vcc
	s_cbranch_execz .LBB626_493
; %bb.492:                              ;   in Loop: Header=BB626_213 Depth=1
	v_and_b32_e32 v49, 7, v40
	v_ffbh_u32_e32 v61, v49
	v_min_u32_e32 v61, 32, v61
	v_subrev_u32_e32 v62, 28, v61
	v_lshlrev_b64 v[62:63], v62, v[40:41]
	v_lshrrev_b32_e32 v53, 3, v42
	v_sub_u32_e32 v61, 29, v61
	v_and_b32_e32 v62, 7, v62
	v_cmp_gt_u32_e32 vcc, 8, v42
	v_cndmask_b32_e32 v42, v53, v61, vcc
	v_cndmask_b32_e32 v49, v49, v62, vcc
	v_lshlrev_b32_e32 v40, 24, v40
	v_lshlrev_b32_e32 v49, 20, v49
	v_and_b32_e32 v40, 0x80000000, v40
	v_lshl_add_u32 v42, v42, 23, v48
	v_or3_b32 v53, v40, v42, v49
.LBB626_493:                            ;   in Loop: Header=BB626_213 Depth=1
	s_or_b64 exec, exec, s[18:19]
.LBB626_494:                            ;   in Loop: Header=BB626_213 Depth=1
	s_or_b64 exec, exec, s[16:17]
.LBB626_495:                            ;   in Loop: Header=BB626_213 Depth=1
	s_or_b64 exec, exec, s[14:15]
	v_cmp_lt_u32_e32 vcc, s22, v38
	v_mov_b32_e32 v49, 0
	v_mov_b32_e32 v61, 0
	s_and_saveexec_b64 s[14:15], vcc
	s_cbranch_execz .LBB626_501
; %bb.496:                              ;   in Loop: Header=BB626_213 Depth=1
	v_lshrrev_b32_e32 v40, 24, v38
	v_cmp_ne_u32_e32 vcc, s9, v40
	v_bfrev_b32_e32 v61, 1
	s_and_saveexec_b64 s[16:17], vcc
	s_cbranch_execz .LBB626_500
; %bb.497:                              ;   in Loop: Header=BB626_213 Depth=1
	v_bfe_u32 v38, v38, 24, 7
	v_cmp_ne_u32_e32 vcc, s21, v38
	v_mov_b32_e32 v61, 0x7f800001
	s_and_saveexec_b64 s[18:19], vcc
	s_cbranch_execz .LBB626_499
; %bb.498:                              ;   in Loop: Header=BB626_213 Depth=1
	v_and_b32_e32 v42, 7, v40
	v_ffbh_u32_e32 v62, v42
	v_min_u32_e32 v64, 32, v62
	v_subrev_u32_e32 v62, 28, v64
	v_lshlrev_b64 v[62:63], v62, v[40:41]
	v_lshrrev_b32_e32 v61, 3, v38
	v_sub_u32_e32 v63, 29, v64
	v_and_b32_e32 v62, 7, v62
	v_cmp_gt_u32_e32 vcc, 8, v38
	v_cndmask_b32_e32 v38, v61, v63, vcc
	v_cndmask_b32_e32 v42, v42, v62, vcc
	v_lshlrev_b32_e32 v40, 24, v40
	v_lshlrev_b32_e32 v42, 20, v42
	v_and_b32_e32 v40, 0x80000000, v40
	v_lshl_add_u32 v38, v38, 23, v48
	v_or3_b32 v61, v40, v38, v42
.LBB626_499:                            ;   in Loop: Header=BB626_213 Depth=1
	s_or_b64 exec, exec, s[18:19]
.LBB626_500:                            ;   in Loop: Header=BB626_213 Depth=1
	s_or_b64 exec, exec, s[16:17]
.LBB626_501:                            ;   in Loop: Header=BB626_213 Depth=1
	s_or_b64 exec, exec, s[14:15]
	v_cvt_pkrtz_f16_f32 v63, v44, v52
	buffer_load_dword v44, v59, s[0:3], 0 offen
	buffer_load_dword v42, v59, s[0:3], 0 offen offset:4
	buffer_load_dword v40, v59, s[0:3], 0 offen offset:8
	;; [unrolled: 1-line block ×3, first 2 shown]
	v_cvt_pkrtz_f16_f32 v62, v46, v50
	v_cvt_pkrtz_f16_f32 v50, v51, v60
	;; [unrolled: 1-line block ×3, first 2 shown]
	v_mfma_f32_16x16x16f16 v[34:37], v[62:63], v[22:23], v[34:37]
	s_waitcnt vmcnt(3)
	v_cmp_ne_u16_sdwa s[16:17], v44, v47 src0_sel:BYTE_0 src1_sel:DWORD
	v_mfma_f32_16x16x16f16 v[34:37], v[50:51], v[24:25], v[34:37]
	s_and_saveexec_b64 s[14:15], s[16:17]
	s_cbranch_execz .LBB626_507
; %bb.502:                              ;   in Loop: Header=BB626_213 Depth=1
	v_cmp_ne_u16_sdwa s[18:19], v44, s9 src0_sel:BYTE_0 src1_sel:DWORD
	v_bfrev_b32_e32 v49, 1
	s_and_saveexec_b64 s[16:17], s[18:19]
	s_cbranch_execz .LBB626_506
; %bb.503:                              ;   in Loop: Header=BB626_213 Depth=1
	v_and_b32_e32 v46, 0x7f, v44
	v_cmp_ne_u32_e32 vcc, s21, v46
	v_mov_b32_e32 v49, 0x7f800001
	s_and_saveexec_b64 s[18:19], vcc
	s_cbranch_execz .LBB626_505
; %bb.504:                              ;   in Loop: Header=BB626_213 Depth=1
	v_and_b32_e32 v49, 7, v44
	v_ffbh_u32_e32 v50, v49
	v_min_u32_e32 v53, 32, v50
	v_subrev_u32_e32 v50, 28, v53
	v_lshlrev_b64 v[50:51], v50, v[44:45]
	v_lshrrev_b32_e32 v52, 3, v46
	v_sub_u32_e32 v51, 29, v53
	v_and_b32_e32 v50, 7, v50
	v_cmp_gt_u32_e32 vcc, 8, v46
	v_cndmask_b32_e32 v46, v52, v51, vcc
	v_cndmask_b32_e32 v49, v49, v50, vcc
	v_lshlrev_b32_e32 v50, 24, v44
	v_lshlrev_b32_e32 v49, 20, v49
	v_and_b32_e32 v50, 0x80000000, v50
	v_lshl_add_u32 v46, v46, 23, v48
	v_or3_b32 v49, v50, v46, v49
.LBB626_505:                            ;   in Loop: Header=BB626_213 Depth=1
	s_or_b64 exec, exec, s[18:19]
.LBB626_506:                            ;   in Loop: Header=BB626_213 Depth=1
	s_or_b64 exec, exec, s[16:17]
.LBB626_507:                            ;   in Loop: Header=BB626_213 Depth=1
	s_or_b64 exec, exec, s[14:15]
	v_lshrrev_b16_e32 v46, 8, v44
	v_cmp_ne_u16_e32 vcc, 0, v46
	v_mov_b32_e32 v50, 0
	v_mov_b32_e32 v51, 0
	s_and_saveexec_b64 s[14:15], vcc
	s_cbranch_execz .LBB626_513
; %bb.508:                              ;   in Loop: Header=BB626_213 Depth=1
	v_cmp_ne_u16_e32 vcc, s9, v46
	v_bfrev_b32_e32 v51, 1
	s_and_saveexec_b64 s[16:17], vcc
	s_cbranch_execz .LBB626_512
; %bb.509:                              ;   in Loop: Header=BB626_213 Depth=1
	v_and_b32_e32 v52, 0x7f, v46
	v_cmp_ne_u32_e32 vcc, s21, v52
	v_mov_b32_e32 v51, 0x7f800001
	s_and_saveexec_b64 s[18:19], vcc
	s_cbranch_execz .LBB626_511
; %bb.510:                              ;   in Loop: Header=BB626_213 Depth=1
	v_and_b32_e32 v51, 7, v46
	v_ffbh_u32_e32 v59, v51
	v_min_u32_e32 v59, 32, v59
	v_subrev_u32_e32 v60, 28, v59
	v_lshlrev_b64 v[60:61], v60, v[46:47]
	v_lshrrev_b32_e32 v53, 3, v52
	v_sub_u32_e32 v46, 29, v59
	v_and_b32_e32 v59, 7, v60
	v_cmp_gt_u32_e32 vcc, 8, v52
	v_cndmask_b32_e32 v46, v53, v46, vcc
	v_cndmask_b32_e32 v51, v51, v59, vcc
	v_lshlrev_b32_e32 v52, 16, v44
	v_lshlrev_b32_e32 v51, 20, v51
	v_and_b32_e32 v52, 0x80000000, v52
	v_lshl_add_u32 v46, v46, 23, v48
	v_or3_b32 v51, v52, v46, v51
.LBB626_511:                            ;   in Loop: Header=BB626_213 Depth=1
	s_or_b64 exec, exec, s[18:19]
.LBB626_512:                            ;   in Loop: Header=BB626_213 Depth=1
	s_or_b64 exec, exec, s[16:17]
.LBB626_513:                            ;   in Loop: Header=BB626_213 Depth=1
	s_or_b64 exec, exec, s[14:15]
	v_lshrrev_b32_e32 v46, 16, v44
	v_cmp_ne_u16_sdwa s[16:17], v46, v47 src0_sel:BYTE_0 src1_sel:DWORD
	s_and_saveexec_b64 s[14:15], s[16:17]
	s_cbranch_execz .LBB626_519
; %bb.514:                              ;   in Loop: Header=BB626_213 Depth=1
	v_cmp_ne_u16_sdwa s[18:19], v46, s9 src0_sel:BYTE_0 src1_sel:DWORD
	v_bfrev_b32_e32 v50, 1
	s_and_saveexec_b64 s[16:17], s[18:19]
	s_cbranch_execz .LBB626_518
; %bb.515:                              ;   in Loop: Header=BB626_213 Depth=1
	v_bfe_u32 v52, v44, 16, 7
	v_cmp_ne_u32_e32 vcc, s21, v52
	v_mov_b32_e32 v50, 0x7f800001
	s_and_saveexec_b64 s[18:19], vcc
	s_cbranch_execz .LBB626_517
; %bb.516:                              ;   in Loop: Header=BB626_213 Depth=1
	v_and_b32_e32 v50, 7, v46
	v_ffbh_u32_e32 v59, v50
	v_min_u32_e32 v59, 32, v59
	v_subrev_u32_e32 v60, 28, v59
	v_lshlrev_b64 v[60:61], v60, v[46:47]
	v_lshrrev_b32_e32 v53, 3, v52
	v_sub_u32_e32 v59, 29, v59
	v_and_b32_e32 v60, 7, v60
	v_cmp_gt_u32_e32 vcc, 8, v52
	v_cndmask_b32_e32 v52, v53, v59, vcc
	v_cndmask_b32_e32 v50, v50, v60, vcc
	v_lshlrev_b32_e32 v46, 24, v46
	v_lshlrev_b32_e32 v50, 20, v50
	v_and_b32_e32 v46, 0x80000000, v46
	v_lshl_add_u32 v52, v52, 23, v48
	v_or3_b32 v50, v46, v52, v50
.LBB626_517:                            ;   in Loop: Header=BB626_213 Depth=1
	s_or_b64 exec, exec, s[18:19]
.LBB626_518:                            ;   in Loop: Header=BB626_213 Depth=1
	s_or_b64 exec, exec, s[16:17]
.LBB626_519:                            ;   in Loop: Header=BB626_213 Depth=1
	s_or_b64 exec, exec, s[14:15]
	v_cmp_lt_u32_e32 vcc, s22, v44
	v_mov_b32_e32 v52, 0
	v_mov_b32_e32 v53, 0
	s_and_saveexec_b64 s[14:15], vcc
	s_cbranch_execz .LBB626_525
; %bb.520:                              ;   in Loop: Header=BB626_213 Depth=1
	v_lshrrev_b32_e32 v46, 24, v44
	v_cmp_ne_u32_e32 vcc, s9, v46
	v_bfrev_b32_e32 v53, 1
	s_and_saveexec_b64 s[16:17], vcc
	s_cbranch_execz .LBB626_524
; %bb.521:                              ;   in Loop: Header=BB626_213 Depth=1
	v_bfe_u32 v44, v44, 24, 7
	v_cmp_ne_u32_e32 vcc, s21, v44
	v_mov_b32_e32 v53, 0x7f800001
	s_and_saveexec_b64 s[18:19], vcc
	s_cbranch_execz .LBB626_523
; %bb.522:                              ;   in Loop: Header=BB626_213 Depth=1
	v_and_b32_e32 v53, 7, v46
	v_ffbh_u32_e32 v60, v53
	v_min_u32_e32 v62, 32, v60
	v_subrev_u32_e32 v60, 28, v62
	v_lshlrev_b64 v[60:61], v60, v[46:47]
	v_lshrrev_b32_e32 v59, 3, v44
	v_sub_u32_e32 v61, 29, v62
	v_and_b32_e32 v60, 7, v60
	v_cmp_gt_u32_e32 vcc, 8, v44
	v_cndmask_b32_e32 v44, v59, v61, vcc
	v_cndmask_b32_e32 v53, v53, v60, vcc
	v_lshlrev_b32_e32 v46, 24, v46
	v_lshlrev_b32_e32 v53, 20, v53
	v_and_b32_e32 v46, 0x80000000, v46
	v_lshl_add_u32 v44, v44, 23, v48
	v_or3_b32 v53, v46, v44, v53
.LBB626_523:                            ;   in Loop: Header=BB626_213 Depth=1
	s_or_b64 exec, exec, s[18:19]
.LBB626_524:                            ;   in Loop: Header=BB626_213 Depth=1
	s_or_b64 exec, exec, s[16:17]
.LBB626_525:                            ;   in Loop: Header=BB626_213 Depth=1
	s_or_b64 exec, exec, s[14:15]
	s_waitcnt vmcnt(2)
	v_cmp_ne_u16_sdwa s[16:17], v42, v47 src0_sel:BYTE_0 src1_sel:DWORD
	s_and_saveexec_b64 s[14:15], s[16:17]
	s_cbranch_execz .LBB626_531
; %bb.526:                              ;   in Loop: Header=BB626_213 Depth=1
	v_cmp_ne_u16_sdwa s[18:19], v42, s9 src0_sel:BYTE_0 src1_sel:DWORD
	v_bfrev_b32_e32 v52, 1
	s_and_saveexec_b64 s[16:17], s[18:19]
	s_cbranch_execz .LBB626_530
; %bb.527:                              ;   in Loop: Header=BB626_213 Depth=1
	v_and_b32_e32 v44, 0x7f, v42
	v_cmp_ne_u32_e32 vcc, s21, v44
	v_mov_b32_e32 v52, 0x7f800001
	s_and_saveexec_b64 s[18:19], vcc
	s_cbranch_execz .LBB626_529
; %bb.528:                              ;   in Loop: Header=BB626_213 Depth=1
	v_and_b32_e32 v46, 7, v42
	v_ffbh_u32_e32 v59, v46
	v_min_u32_e32 v59, 32, v59
	v_subrev_u32_e32 v60, 28, v59
	v_lshlrev_b64 v[60:61], v60, v[42:43]
	v_lshrrev_b32_e32 v52, 3, v44
	v_sub_u32_e32 v59, 29, v59
	v_and_b32_e32 v60, 7, v60
	v_cmp_gt_u32_e32 vcc, 8, v44
	v_cndmask_b32_e32 v44, v52, v59, vcc
	v_cndmask_b32_e32 v46, v46, v60, vcc
	v_lshlrev_b32_e32 v52, 24, v42
	v_lshlrev_b32_e32 v46, 20, v46
	v_and_b32_e32 v52, 0x80000000, v52
	v_lshl_add_u32 v44, v44, 23, v48
	v_or3_b32 v52, v52, v44, v46
.LBB626_529:                            ;   in Loop: Header=BB626_213 Depth=1
	s_or_b64 exec, exec, s[18:19]
.LBB626_530:                            ;   in Loop: Header=BB626_213 Depth=1
	s_or_b64 exec, exec, s[16:17]
.LBB626_531:                            ;   in Loop: Header=BB626_213 Depth=1
	s_or_b64 exec, exec, s[14:15]
	v_lshrrev_b16_e32 v44, 8, v42
	v_cmp_ne_u16_e32 vcc, 0, v44
	v_mov_b32_e32 v59, 0
	v_mov_b32_e32 v60, 0
	s_and_saveexec_b64 s[14:15], vcc
	s_cbranch_execz .LBB626_537
; %bb.532:                              ;   in Loop: Header=BB626_213 Depth=1
	v_cmp_ne_u16_e32 vcc, s9, v44
	v_bfrev_b32_e32 v60, 1
	s_and_saveexec_b64 s[16:17], vcc
	s_cbranch_execz .LBB626_536
; %bb.533:                              ;   in Loop: Header=BB626_213 Depth=1
	v_and_b32_e32 v46, 0x7f, v44
	v_cmp_ne_u32_e32 vcc, s21, v46
	v_mov_b32_e32 v60, 0x7f800001
	s_and_saveexec_b64 s[18:19], vcc
	s_cbranch_execz .LBB626_535
; %bb.534:                              ;   in Loop: Header=BB626_213 Depth=1
	v_and_b32_e32 v62, 7, v44
	v_ffbh_u32_e32 v60, v62
	v_min_u32_e32 v64, 32, v60
	v_subrev_u32_e32 v60, 28, v64
	v_lshlrev_b64 v[60:61], v60, v[44:45]
	v_lshrrev_b32_e32 v63, 3, v46
	v_sub_u32_e32 v44, 29, v64
	v_and_b32_e32 v60, 7, v60
	v_cmp_gt_u32_e32 vcc, 8, v46
	v_cndmask_b32_e32 v44, v63, v44, vcc
	v_cndmask_b32_e32 v46, v62, v60, vcc
	v_lshlrev_b32_e32 v60, 16, v42
	v_lshlrev_b32_e32 v46, 20, v46
	v_and_b32_e32 v60, 0x80000000, v60
	v_lshl_add_u32 v44, v44, 23, v48
	v_or3_b32 v60, v60, v44, v46
.LBB626_535:                            ;   in Loop: Header=BB626_213 Depth=1
	s_or_b64 exec, exec, s[18:19]
.LBB626_536:                            ;   in Loop: Header=BB626_213 Depth=1
	s_or_b64 exec, exec, s[16:17]
.LBB626_537:                            ;   in Loop: Header=BB626_213 Depth=1
	s_or_b64 exec, exec, s[14:15]
	v_lshrrev_b32_e32 v44, 16, v42
	v_cmp_ne_u16_sdwa s[16:17], v44, v47 src0_sel:BYTE_0 src1_sel:DWORD
	s_and_saveexec_b64 s[14:15], s[16:17]
	s_cbranch_execz .LBB626_543
; %bb.538:                              ;   in Loop: Header=BB626_213 Depth=1
	v_cmp_ne_u16_sdwa s[18:19], v44, s9 src0_sel:BYTE_0 src1_sel:DWORD
	v_bfrev_b32_e32 v59, 1
	s_and_saveexec_b64 s[16:17], s[18:19]
	s_cbranch_execz .LBB626_542
; %bb.539:                              ;   in Loop: Header=BB626_213 Depth=1
	v_bfe_u32 v46, v42, 16, 7
	v_cmp_ne_u32_e32 vcc, s21, v46
	v_mov_b32_e32 v59, 0x7f800001
	s_and_saveexec_b64 s[18:19], vcc
	s_cbranch_execz .LBB626_541
; %bb.540:                              ;   in Loop: Header=BB626_213 Depth=1
	v_and_b32_e32 v59, 7, v44
	v_ffbh_u32_e32 v62, v59
	v_min_u32_e32 v64, 32, v62
	v_subrev_u32_e32 v62, 28, v64
	v_lshlrev_b64 v[62:63], v62, v[44:45]
	v_lshrrev_b32_e32 v61, 3, v46
	v_sub_u32_e32 v63, 29, v64
	v_and_b32_e32 v62, 7, v62
	v_cmp_gt_u32_e32 vcc, 8, v46
	v_cndmask_b32_e32 v46, v61, v63, vcc
	v_cndmask_b32_e32 v59, v59, v62, vcc
	v_lshlrev_b32_e32 v44, 24, v44
	v_lshlrev_b32_e32 v59, 20, v59
	v_and_b32_e32 v44, 0x80000000, v44
	v_lshl_add_u32 v46, v46, 23, v48
	v_or3_b32 v59, v44, v46, v59
.LBB626_541:                            ;   in Loop: Header=BB626_213 Depth=1
	s_or_b64 exec, exec, s[18:19]
.LBB626_542:                            ;   in Loop: Header=BB626_213 Depth=1
	s_or_b64 exec, exec, s[16:17]
.LBB626_543:                            ;   in Loop: Header=BB626_213 Depth=1
	s_or_b64 exec, exec, s[14:15]
	v_cmp_lt_u32_e32 vcc, s22, v42
	v_mov_b32_e32 v46, 0
	v_mov_b32_e32 v61, 0
	s_and_saveexec_b64 s[14:15], vcc
	s_cbranch_execz .LBB626_549
; %bb.544:                              ;   in Loop: Header=BB626_213 Depth=1
	v_lshrrev_b32_e32 v44, 24, v42
	v_cmp_ne_u32_e32 vcc, s9, v44
	v_bfrev_b32_e32 v61, 1
	s_and_saveexec_b64 s[16:17], vcc
	s_cbranch_execz .LBB626_548
; %bb.545:                              ;   in Loop: Header=BB626_213 Depth=1
	v_bfe_u32 v42, v42, 24, 7
	v_cmp_ne_u32_e32 vcc, s21, v42
	v_mov_b32_e32 v61, 0x7f800001
	s_and_saveexec_b64 s[18:19], vcc
	s_cbranch_execz .LBB626_547
; %bb.546:                              ;   in Loop: Header=BB626_213 Depth=1
	v_and_b32_e32 v61, 7, v44
	v_ffbh_u32_e32 v62, v61
	v_min_u32_e32 v65, 32, v62
	v_subrev_u32_e32 v62, 28, v65
	v_lshlrev_b64 v[62:63], v62, v[44:45]
	v_lshrrev_b32_e32 v64, 3, v42
	v_sub_u32_e32 v63, 29, v65
	v_and_b32_e32 v62, 7, v62
	v_cmp_gt_u32_e32 vcc, 8, v42
	v_cndmask_b32_e32 v42, v64, v63, vcc
	v_cndmask_b32_e32 v61, v61, v62, vcc
	v_lshlrev_b32_e32 v44, 24, v44
	v_lshlrev_b32_e32 v61, 20, v61
	v_and_b32_e32 v44, 0x80000000, v44
	v_lshl_add_u32 v42, v42, 23, v48
	v_or3_b32 v61, v44, v42, v61
.LBB626_547:                            ;   in Loop: Header=BB626_213 Depth=1
	s_or_b64 exec, exec, s[18:19]
.LBB626_548:                            ;   in Loop: Header=BB626_213 Depth=1
	s_or_b64 exec, exec, s[16:17]
.LBB626_549:                            ;   in Loop: Header=BB626_213 Depth=1
	s_or_b64 exec, exec, s[14:15]
	v_cvt_pkrtz_f16_f32 v62, v49, v51
	v_cvt_pkrtz_f16_f32 v63, v50, v53
	;; [unrolled: 1-line block ×4, first 2 shown]
	s_waitcnt vmcnt(1)
	v_cmp_ne_u16_sdwa s[16:17], v40, v47 src0_sel:BYTE_0 src1_sel:DWORD
	v_mfma_f32_16x16x16f16 v[34:37], v[62:63], v[26:27], v[34:37]
	v_mfma_f32_16x16x16f16 v[34:37], v[50:51], v[28:29], v[34:37]
	s_and_saveexec_b64 s[14:15], s[16:17]
	s_cbranch_execz .LBB626_555
; %bb.550:                              ;   in Loop: Header=BB626_213 Depth=1
	v_cmp_ne_u16_sdwa s[18:19], v40, s9 src0_sel:BYTE_0 src1_sel:DWORD
	v_bfrev_b32_e32 v46, 1
	s_and_saveexec_b64 s[16:17], s[18:19]
	s_cbranch_execz .LBB626_554
; %bb.551:                              ;   in Loop: Header=BB626_213 Depth=1
	v_and_b32_e32 v42, 0x7f, v40
	v_cmp_ne_u32_e32 vcc, s21, v42
	v_mov_b32_e32 v46, 0x7f800001
	s_and_saveexec_b64 s[18:19], vcc
	s_cbranch_execz .LBB626_553
; %bb.552:                              ;   in Loop: Header=BB626_213 Depth=1
	v_and_b32_e32 v44, 7, v40
	v_ffbh_u32_e32 v49, v44
	v_min_u32_e32 v49, 32, v49
	v_subrev_u32_e32 v50, 28, v49
	v_lshlrev_b64 v[50:51], v50, v[40:41]
	v_lshrrev_b32_e32 v46, 3, v42
	v_sub_u32_e32 v49, 29, v49
	v_and_b32_e32 v50, 7, v50
	v_cmp_gt_u32_e32 vcc, 8, v42
	v_cndmask_b32_e32 v42, v46, v49, vcc
	v_cndmask_b32_e32 v44, v44, v50, vcc
	v_lshlrev_b32_e32 v46, 24, v40
	v_lshlrev_b32_e32 v44, 20, v44
	v_and_b32_e32 v46, 0x80000000, v46
	v_lshl_add_u32 v42, v42, 23, v48
	v_or3_b32 v46, v46, v42, v44
.LBB626_553:                            ;   in Loop: Header=BB626_213 Depth=1
	s_or_b64 exec, exec, s[18:19]
.LBB626_554:                            ;   in Loop: Header=BB626_213 Depth=1
	s_or_b64 exec, exec, s[16:17]
.LBB626_555:                            ;   in Loop: Header=BB626_213 Depth=1
	s_or_b64 exec, exec, s[14:15]
	v_lshrrev_b16_e32 v42, 8, v40
	v_cmp_ne_u16_e32 vcc, 0, v42
	v_mov_b32_e32 v44, 0
	v_mov_b32_e32 v49, 0
	s_and_saveexec_b64 s[14:15], vcc
	s_cbranch_execz .LBB626_561
; %bb.556:                              ;   in Loop: Header=BB626_213 Depth=1
	v_cmp_ne_u16_e32 vcc, s9, v42
	v_bfrev_b32_e32 v49, 1
	s_and_saveexec_b64 s[16:17], vcc
	s_cbranch_execz .LBB626_560
; %bb.557:                              ;   in Loop: Header=BB626_213 Depth=1
	v_and_b32_e32 v50, 0x7f, v42
	v_cmp_ne_u32_e32 vcc, s21, v50
	v_mov_b32_e32 v49, 0x7f800001
	s_and_saveexec_b64 s[18:19], vcc
	s_cbranch_execz .LBB626_559
; %bb.558:                              ;   in Loop: Header=BB626_213 Depth=1
	v_and_b32_e32 v49, 7, v42
	v_ffbh_u32_e32 v52, v49
	v_min_u32_e32 v59, 32, v52
	v_subrev_u32_e32 v52, 28, v59
	v_lshlrev_b64 v[52:53], v52, v[42:43]
	v_lshrrev_b32_e32 v51, 3, v50
	v_sub_u32_e32 v42, 29, v59
	v_and_b32_e32 v52, 7, v52
	v_cmp_gt_u32_e32 vcc, 8, v50
	v_cndmask_b32_e32 v42, v51, v42, vcc
	v_cndmask_b32_e32 v49, v49, v52, vcc
	v_lshlrev_b32_e32 v50, 16, v40
	v_lshlrev_b32_e32 v49, 20, v49
	v_and_b32_e32 v50, 0x80000000, v50
	v_lshl_add_u32 v42, v42, 23, v48
	v_or3_b32 v49, v50, v42, v49
.LBB626_559:                            ;   in Loop: Header=BB626_213 Depth=1
	s_or_b64 exec, exec, s[18:19]
.LBB626_560:                            ;   in Loop: Header=BB626_213 Depth=1
	s_or_b64 exec, exec, s[16:17]
.LBB626_561:                            ;   in Loop: Header=BB626_213 Depth=1
	s_or_b64 exec, exec, s[14:15]
	v_lshrrev_b32_e32 v42, 16, v40
	v_cmp_ne_u16_sdwa s[16:17], v42, v47 src0_sel:BYTE_0 src1_sel:DWORD
	s_and_saveexec_b64 s[14:15], s[16:17]
	s_cbranch_execz .LBB626_567
; %bb.562:                              ;   in Loop: Header=BB626_213 Depth=1
	v_cmp_ne_u16_sdwa s[18:19], v42, s9 src0_sel:BYTE_0 src1_sel:DWORD
	v_bfrev_b32_e32 v44, 1
	s_and_saveexec_b64 s[16:17], s[18:19]
	s_cbranch_execz .LBB626_566
; %bb.563:                              ;   in Loop: Header=BB626_213 Depth=1
	v_bfe_u32 v50, v40, 16, 7
	v_cmp_ne_u32_e32 vcc, s21, v50
	v_mov_b32_e32 v44, 0x7f800001
	s_and_saveexec_b64 s[18:19], vcc
	s_cbranch_execz .LBB626_565
; %bb.564:                              ;   in Loop: Header=BB626_213 Depth=1
	v_and_b32_e32 v44, 7, v42
	v_ffbh_u32_e32 v52, v44
	v_min_u32_e32 v59, 32, v52
	v_subrev_u32_e32 v52, 28, v59
	v_lshlrev_b64 v[52:53], v52, v[42:43]
	v_lshrrev_b32_e32 v51, 3, v50
	v_sub_u32_e32 v53, 29, v59
	v_and_b32_e32 v52, 7, v52
	v_cmp_gt_u32_e32 vcc, 8, v50
	v_cndmask_b32_e32 v50, v51, v53, vcc
	v_cndmask_b32_e32 v44, v44, v52, vcc
	v_lshlrev_b32_e32 v42, 24, v42
	v_lshlrev_b32_e32 v44, 20, v44
	v_and_b32_e32 v42, 0x80000000, v42
	v_lshl_add_u32 v50, v50, 23, v48
	v_or3_b32 v44, v42, v50, v44
.LBB626_565:                            ;   in Loop: Header=BB626_213 Depth=1
	s_or_b64 exec, exec, s[18:19]
.LBB626_566:                            ;   in Loop: Header=BB626_213 Depth=1
	s_or_b64 exec, exec, s[16:17]
.LBB626_567:                            ;   in Loop: Header=BB626_213 Depth=1
	s_or_b64 exec, exec, s[14:15]
	v_cmp_lt_u32_e32 vcc, s22, v40
	v_mov_b32_e32 v50, 0
	v_mov_b32_e32 v51, 0
	s_and_saveexec_b64 s[14:15], vcc
	s_cbranch_execz .LBB626_573
; %bb.568:                              ;   in Loop: Header=BB626_213 Depth=1
	v_lshrrev_b32_e32 v42, 24, v40
	v_cmp_ne_u32_e32 vcc, s9, v42
	v_bfrev_b32_e32 v51, 1
	s_and_saveexec_b64 s[16:17], vcc
	s_cbranch_execz .LBB626_572
; %bb.569:                              ;   in Loop: Header=BB626_213 Depth=1
	v_bfe_u32 v40, v40, 24, 7
	v_cmp_ne_u32_e32 vcc, s21, v40
	v_mov_b32_e32 v51, 0x7f800001
	s_and_saveexec_b64 s[18:19], vcc
	s_cbranch_execz .LBB626_571
; %bb.570:                              ;   in Loop: Header=BB626_213 Depth=1
	v_and_b32_e32 v51, 7, v42
	v_ffbh_u32_e32 v52, v51
	v_min_u32_e32 v60, 32, v52
	v_subrev_u32_e32 v52, 28, v60
	v_lshlrev_b64 v[52:53], v52, v[42:43]
	v_lshrrev_b32_e32 v59, 3, v40
	v_sub_u32_e32 v53, 29, v60
	v_and_b32_e32 v52, 7, v52
	v_cmp_gt_u32_e32 vcc, 8, v40
	v_cndmask_b32_e32 v40, v59, v53, vcc
	v_cndmask_b32_e32 v51, v51, v52, vcc
	v_lshlrev_b32_e32 v42, 24, v42
	v_lshlrev_b32_e32 v51, 20, v51
	v_and_b32_e32 v42, 0x80000000, v42
	v_lshl_add_u32 v40, v40, 23, v48
	v_or3_b32 v51, v42, v40, v51
.LBB626_571:                            ;   in Loop: Header=BB626_213 Depth=1
	s_or_b64 exec, exec, s[18:19]
.LBB626_572:                            ;   in Loop: Header=BB626_213 Depth=1
	s_or_b64 exec, exec, s[16:17]
.LBB626_573:                            ;   in Loop: Header=BB626_213 Depth=1
	s_or_b64 exec, exec, s[14:15]
	s_waitcnt vmcnt(0)
	v_cmp_ne_u16_sdwa s[16:17], v38, v47 src0_sel:BYTE_0 src1_sel:DWORD
	s_and_saveexec_b64 s[14:15], s[16:17]
	s_cbranch_execz .LBB626_579
; %bb.574:                              ;   in Loop: Header=BB626_213 Depth=1
	v_cmp_ne_u16_sdwa s[18:19], v38, s9 src0_sel:BYTE_0 src1_sel:DWORD
	v_bfrev_b32_e32 v50, 1
	s_and_saveexec_b64 s[16:17], s[18:19]
	s_cbranch_execz .LBB626_578
; %bb.575:                              ;   in Loop: Header=BB626_213 Depth=1
	v_and_b32_e32 v40, 0x7f, v38
	v_cmp_ne_u32_e32 vcc, s21, v40
	v_mov_b32_e32 v50, 0x7f800001
	s_and_saveexec_b64 s[18:19], vcc
	s_cbranch_execz .LBB626_577
; %bb.576:                              ;   in Loop: Header=BB626_213 Depth=1
	v_and_b32_e32 v42, 7, v38
	v_ffbh_u32_e32 v52, v42
	v_min_u32_e32 v59, 32, v52
	v_subrev_u32_e32 v52, 28, v59
	v_lshlrev_b64 v[52:53], v52, v[38:39]
	v_lshrrev_b32_e32 v50, 3, v40
	v_sub_u32_e32 v53, 29, v59
	v_and_b32_e32 v52, 7, v52
	v_cmp_gt_u32_e32 vcc, 8, v40
	v_cndmask_b32_e32 v40, v50, v53, vcc
	v_cndmask_b32_e32 v42, v42, v52, vcc
	v_lshlrev_b32_e32 v50, 24, v38
	v_lshlrev_b32_e32 v42, 20, v42
	v_and_b32_e32 v50, 0x80000000, v50
	v_lshl_add_u32 v40, v40, 23, v48
	v_or3_b32 v50, v50, v40, v42
.LBB626_577:                            ;   in Loop: Header=BB626_213 Depth=1
	s_or_b64 exec, exec, s[18:19]
.LBB626_578:                            ;   in Loop: Header=BB626_213 Depth=1
	s_or_b64 exec, exec, s[16:17]
.LBB626_579:                            ;   in Loop: Header=BB626_213 Depth=1
	s_or_b64 exec, exec, s[14:15]
	v_lshrrev_b16_e32 v40, 8, v38
	v_cmp_ne_u16_e32 vcc, 0, v40
	v_mov_b32_e32 v42, 0
	v_mov_b32_e32 v52, 0
	s_and_saveexec_b64 s[14:15], vcc
	s_cbranch_execz .LBB626_585
; %bb.580:                              ;   in Loop: Header=BB626_213 Depth=1
	v_cmp_ne_u16_e32 vcc, s9, v40
	v_bfrev_b32_e32 v52, 1
	s_and_saveexec_b64 s[16:17], vcc
	s_cbranch_execz .LBB626_584
; %bb.581:                              ;   in Loop: Header=BB626_213 Depth=1
	v_and_b32_e32 v53, 0x7f, v40
	v_cmp_ne_u32_e32 vcc, s21, v53
	v_mov_b32_e32 v52, 0x7f800001
	s_and_saveexec_b64 s[18:19], vcc
	s_cbranch_execz .LBB626_583
; %bb.582:                              ;   in Loop: Header=BB626_213 Depth=1
	v_and_b32_e32 v52, 7, v40
	v_ffbh_u32_e32 v60, v52
	v_min_u32_e32 v62, 32, v60
	v_subrev_u32_e32 v60, 28, v62
	v_lshlrev_b64 v[60:61], v60, v[40:41]
	v_lshrrev_b32_e32 v59, 3, v53
	v_sub_u32_e32 v40, 29, v62
	v_and_b32_e32 v60, 7, v60
	v_cmp_gt_u32_e32 vcc, 8, v53
	v_cndmask_b32_e32 v40, v59, v40, vcc
	v_cndmask_b32_e32 v52, v52, v60, vcc
	v_lshlrev_b32_e32 v53, 16, v38
	v_lshlrev_b32_e32 v52, 20, v52
	v_and_b32_e32 v53, 0x80000000, v53
	v_lshl_add_u32 v40, v40, 23, v48
	v_or3_b32 v52, v53, v40, v52
.LBB626_583:                            ;   in Loop: Header=BB626_213 Depth=1
	s_or_b64 exec, exec, s[18:19]
.LBB626_584:                            ;   in Loop: Header=BB626_213 Depth=1
	s_or_b64 exec, exec, s[16:17]
.LBB626_585:                            ;   in Loop: Header=BB626_213 Depth=1
	s_or_b64 exec, exec, s[14:15]
	v_lshrrev_b32_e32 v40, 16, v38
	v_cmp_ne_u16_sdwa s[16:17], v40, v47 src0_sel:BYTE_0 src1_sel:DWORD
	s_and_saveexec_b64 s[14:15], s[16:17]
	s_cbranch_execz .LBB626_591
; %bb.586:                              ;   in Loop: Header=BB626_213 Depth=1
	v_cmp_ne_u16_sdwa s[18:19], v40, s9 src0_sel:BYTE_0 src1_sel:DWORD
	v_bfrev_b32_e32 v42, 1
	s_and_saveexec_b64 s[16:17], s[18:19]
	s_cbranch_execz .LBB626_590
; %bb.587:                              ;   in Loop: Header=BB626_213 Depth=1
	v_bfe_u32 v53, v38, 16, 7
	v_cmp_ne_u32_e32 vcc, s21, v53
	v_mov_b32_e32 v42, 0x7f800001
	s_and_saveexec_b64 s[18:19], vcc
	s_cbranch_execz .LBB626_589
; %bb.588:                              ;   in Loop: Header=BB626_213 Depth=1
	v_and_b32_e32 v42, 7, v40
	v_ffbh_u32_e32 v60, v42
	v_min_u32_e32 v62, 32, v60
	v_subrev_u32_e32 v60, 28, v62
	v_lshlrev_b64 v[60:61], v60, v[40:41]
	v_lshrrev_b32_e32 v59, 3, v53
	v_sub_u32_e32 v61, 29, v62
	v_and_b32_e32 v60, 7, v60
	v_cmp_gt_u32_e32 vcc, 8, v53
	v_cndmask_b32_e32 v53, v59, v61, vcc
	v_cndmask_b32_e32 v42, v42, v60, vcc
	v_lshlrev_b32_e32 v40, 24, v40
	v_lshlrev_b32_e32 v42, 20, v42
	v_and_b32_e32 v40, 0x80000000, v40
	v_lshl_add_u32 v53, v53, 23, v48
	v_or3_b32 v42, v40, v53, v42
.LBB626_589:                            ;   in Loop: Header=BB626_213 Depth=1
	s_or_b64 exec, exec, s[18:19]
.LBB626_590:                            ;   in Loop: Header=BB626_213 Depth=1
	s_or_b64 exec, exec, s[16:17]
.LBB626_591:                            ;   in Loop: Header=BB626_213 Depth=1
	s_or_b64 exec, exec, s[14:15]
	v_cmp_lt_u32_e32 vcc, s22, v38
	v_mov_b32_e32 v53, 0
	s_and_saveexec_b64 s[14:15], vcc
	s_cbranch_execz .LBB626_212
; %bb.592:                              ;   in Loop: Header=BB626_213 Depth=1
	v_lshrrev_b32_e32 v40, 24, v38
	v_cmp_ne_u32_e32 vcc, s9, v40
	v_bfrev_b32_e32 v53, 1
	s_and_saveexec_b64 s[16:17], vcc
	s_cbranch_execz .LBB626_211
; %bb.593:                              ;   in Loop: Header=BB626_213 Depth=1
	v_bfe_u32 v38, v38, 24, 7
	v_cmp_ne_u32_e32 vcc, s21, v38
	v_mov_b32_e32 v53, 0x7f800001
	s_and_saveexec_b64 s[18:19], vcc
	s_cbranch_execz .LBB626_210
; %bb.594:                              ;   in Loop: Header=BB626_213 Depth=1
	v_and_b32_e32 v53, 7, v40
	v_ffbh_u32_e32 v60, v53
	v_min_u32_e32 v62, 32, v60
	v_subrev_u32_e32 v60, 28, v62
	v_lshlrev_b64 v[60:61], v60, v[40:41]
	v_lshrrev_b32_e32 v59, 3, v38
	v_sub_u32_e32 v61, 29, v62
	v_and_b32_e32 v60, 7, v60
	v_cmp_gt_u32_e32 vcc, 8, v38
	v_cndmask_b32_e32 v38, v59, v61, vcc
	v_cndmask_b32_e32 v53, v53, v60, vcc
	v_lshlrev_b32_e32 v40, 24, v40
	v_lshlrev_b32_e32 v53, 20, v53
	v_and_b32_e32 v40, 0x80000000, v40
	v_lshl_add_u32 v38, v38, 23, v48
	v_or3_b32 v53, v40, v38, v53
	s_branch .LBB626_210
.LBB626_595:
	s_barrier
	buffer_load_dword v2, off, s[0:3], 0 offset:320
	buffer_load_dword v5, off, s[0:3], 0 offset:332
	;; [unrolled: 1-line block ×4, first 2 shown]
	v_cmp_gt_u32_e32 vcc, 64, v0
	s_waitcnt vmcnt(0)
	ds_write2st64_b64 v39, v[2:3], v[4:5] offset1:1
	s_waitcnt lgkmcnt(0)
	s_barrier
	s_and_saveexec_b64 s[6:7], vcc
	s_cbranch_execz .LBB626_598
; %bb.596:
	s_lshl_b32 s6, s50, 7
	s_mul_i32 s7, s20, s8
	s_mul_hi_u32 s11, s7, s6
	s_mul_i32 s10, s7, s6
	s_lshl_b64 s[10:11], s[10:11], 1
	v_lshlrev_b32_e32 v4, 6, v55
	s_add_u32 s7, s48, s10
	v_lshl_or_b32 v0, v0, 10, v4
	s_mov_b32 s9, 0
	s_addc_u32 s10, s49, s11
	s_lshl_b32 s8, s24, 7
	v_lshlrev_b32_e32 v2, 5, v1
	v_and_b32_e32 v3, 16, v56
	v_and_b32_e32 v0, 0x1a00, v0
	s_lshl_b64 s[8:9], s[8:9], 1
	v_or3_b32 v0, v0, v2, v3
	s_add_u32 s7, s7, s8
	s_addc_u32 s8, s10, s9
	ds_read_b128 v[4:7], v0
	v_add_u32_e32 v8, s25, v1
	v_mov_b32_e32 v3, s8
	v_add_co_u32_e32 v2, vcc, s7, v54
	v_mad_u64_u32 v[8:9], s[8:9], v8, s6, 0
	v_addc_co_u32_e32 v3, vcc, 0, v3, vcc
	v_lshlrev_b64 v[8:9], 1, v[8:9]
	v_add_co_u32_e32 v8, vcc, v2, v8
	v_addc_co_u32_e32 v9, vcc, v3, v9, vcc
	s_waitcnt lgkmcnt(0)
	global_store_dwordx4 v[8:9], v[4:7], off
	s_and_b64 exec, exec, s[4:5]
	s_cbranch_execz .LBB626_598
; %bb.597:
	ds_read_b128 v[4:7], v0 offset:128
	v_add3_u32 v0, s25, v1, 4
	v_mad_u64_u32 v[0:1], s[4:5], v0, s6, 0
	v_lshlrev_b64 v[0:1], 1, v[0:1]
	v_add_co_u32_e32 v0, vcc, v2, v0
	v_addc_co_u32_e32 v1, vcc, v3, v1, vcc
	s_waitcnt lgkmcnt(0)
	global_store_dwordx4 v[0:1], v[4:7], off
.LBB626_598:
	s_endpgm
	.section	.rodata,"a",@progbits
	.p2align	6, 0x0
	.amdhsa_kernel _Z39paged_attention_ll4mi_QKV_mfma16_kernelIDF16_hLN4vllm18Fp8KVCacheDataTypeE1EDF16_Li16ELi128ELi256ELb0ELi5EL8MFMAType0EEvPKT_PKT0_S8_ifPKiSA_SA_iPKfiiiPfSD_PS3_PT2_iSC_SC_
		.amdhsa_group_segment_fixed_size 8192
		.amdhsa_private_segment_fixed_size 352
		.amdhsa_kernarg_size 400
		.amdhsa_user_sgpr_count 8
		.amdhsa_user_sgpr_private_segment_buffer 1
		.amdhsa_user_sgpr_dispatch_ptr 0
		.amdhsa_user_sgpr_queue_ptr 0
		.amdhsa_user_sgpr_kernarg_segment_ptr 1
		.amdhsa_user_sgpr_dispatch_id 0
		.amdhsa_user_sgpr_flat_scratch_init 1
		.amdhsa_user_sgpr_kernarg_preload_length 0
		.amdhsa_user_sgpr_kernarg_preload_offset 0
		.amdhsa_user_sgpr_private_segment_size 0
		.amdhsa_uses_dynamic_stack 0
		.amdhsa_system_sgpr_private_segment_wavefront_offset 1
		.amdhsa_system_sgpr_workgroup_id_x 1
		.amdhsa_system_sgpr_workgroup_id_y 1
		.amdhsa_system_sgpr_workgroup_id_z 1
		.amdhsa_system_sgpr_workgroup_info 0
		.amdhsa_system_vgpr_workitem_id 0
		.amdhsa_next_free_vgpr 76
		.amdhsa_next_free_sgpr 53
		.amdhsa_accum_offset 76
		.amdhsa_reserve_vcc 1
		.amdhsa_reserve_flat_scratch 0
		.amdhsa_float_round_mode_32 0
		.amdhsa_float_round_mode_16_64 0
		.amdhsa_float_denorm_mode_32 3
		.amdhsa_float_denorm_mode_16_64 3
		.amdhsa_dx10_clamp 1
		.amdhsa_ieee_mode 1
		.amdhsa_fp16_overflow 0
		.amdhsa_tg_split 0
		.amdhsa_exception_fp_ieee_invalid_op 0
		.amdhsa_exception_fp_denorm_src 0
		.amdhsa_exception_fp_ieee_div_zero 0
		.amdhsa_exception_fp_ieee_overflow 0
		.amdhsa_exception_fp_ieee_underflow 0
		.amdhsa_exception_fp_ieee_inexact 0
		.amdhsa_exception_int_div_zero 0
	.end_amdhsa_kernel
	.section	.text._Z39paged_attention_ll4mi_QKV_mfma16_kernelIDF16_hLN4vllm18Fp8KVCacheDataTypeE1EDF16_Li16ELi128ELi256ELb0ELi5EL8MFMAType0EEvPKT_PKT0_S8_ifPKiSA_SA_iPKfiiiPfSD_PS3_PT2_iSC_SC_,"axG",@progbits,_Z39paged_attention_ll4mi_QKV_mfma16_kernelIDF16_hLN4vllm18Fp8KVCacheDataTypeE1EDF16_Li16ELi128ELi256ELb0ELi5EL8MFMAType0EEvPKT_PKT0_S8_ifPKiSA_SA_iPKfiiiPfSD_PS3_PT2_iSC_SC_,comdat
.Lfunc_end626:
	.size	_Z39paged_attention_ll4mi_QKV_mfma16_kernelIDF16_hLN4vllm18Fp8KVCacheDataTypeE1EDF16_Li16ELi128ELi256ELb0ELi5EL8MFMAType0EEvPKT_PKT0_S8_ifPKiSA_SA_iPKfiiiPfSD_PS3_PT2_iSC_SC_, .Lfunc_end626-_Z39paged_attention_ll4mi_QKV_mfma16_kernelIDF16_hLN4vllm18Fp8KVCacheDataTypeE1EDF16_Li16ELi128ELi256ELb0ELi5EL8MFMAType0EEvPKT_PKT0_S8_ifPKiSA_SA_iPKfiiiPfSD_PS3_PT2_iSC_SC_
                                        ; -- End function
	.section	.AMDGPU.csdata,"",@progbits
; Kernel info:
; codeLenInByte = 21152
; NumSgprs: 57
; NumVgprs: 76
; NumAgprs: 0
; TotalNumVgprs: 76
; ScratchSize: 352
; MemoryBound: 0
; FloatMode: 240
; IeeeMode: 1
; LDSByteSize: 8192 bytes/workgroup (compile time only)
; SGPRBlocks: 7
; VGPRBlocks: 9
; NumSGPRsForWavesPerEU: 57
; NumVGPRsForWavesPerEU: 76
; AccumOffset: 76
; Occupancy: 6
; WaveLimiterHint : 1
; COMPUTE_PGM_RSRC2:SCRATCH_EN: 1
; COMPUTE_PGM_RSRC2:USER_SGPR: 8
; COMPUTE_PGM_RSRC2:TRAP_HANDLER: 0
; COMPUTE_PGM_RSRC2:TGID_X_EN: 1
; COMPUTE_PGM_RSRC2:TGID_Y_EN: 1
; COMPUTE_PGM_RSRC2:TGID_Z_EN: 1
; COMPUTE_PGM_RSRC2:TIDIG_COMP_CNT: 0
; COMPUTE_PGM_RSRC3_GFX90A:ACCUM_OFFSET: 18
; COMPUTE_PGM_RSRC3_GFX90A:TG_SPLIT: 0
	.section	.text._Z39paged_attention_ll4mi_QKV_mfma16_kernelIDF16_hLN4vllm18Fp8KVCacheDataTypeE1EDF16_Li16ELi128ELi256ELb0ELi6EL8MFMAType0EEvPKT_PKT0_S8_ifPKiSA_SA_iPKfiiiPfSD_PS3_PT2_iSC_SC_,"axG",@progbits,_Z39paged_attention_ll4mi_QKV_mfma16_kernelIDF16_hLN4vllm18Fp8KVCacheDataTypeE1EDF16_Li16ELi128ELi256ELb0ELi6EL8MFMAType0EEvPKT_PKT0_S8_ifPKiSA_SA_iPKfiiiPfSD_PS3_PT2_iSC_SC_,comdat
	.protected	_Z39paged_attention_ll4mi_QKV_mfma16_kernelIDF16_hLN4vllm18Fp8KVCacheDataTypeE1EDF16_Li16ELi128ELi256ELb0ELi6EL8MFMAType0EEvPKT_PKT0_S8_ifPKiSA_SA_iPKfiiiPfSD_PS3_PT2_iSC_SC_ ; -- Begin function _Z39paged_attention_ll4mi_QKV_mfma16_kernelIDF16_hLN4vllm18Fp8KVCacheDataTypeE1EDF16_Li16ELi128ELi256ELb0ELi6EL8MFMAType0EEvPKT_PKT0_S8_ifPKiSA_SA_iPKfiiiPfSD_PS3_PT2_iSC_SC_
	.globl	_Z39paged_attention_ll4mi_QKV_mfma16_kernelIDF16_hLN4vllm18Fp8KVCacheDataTypeE1EDF16_Li16ELi128ELi256ELb0ELi6EL8MFMAType0EEvPKT_PKT0_S8_ifPKiSA_SA_iPKfiiiPfSD_PS3_PT2_iSC_SC_
	.p2align	8
	.type	_Z39paged_attention_ll4mi_QKV_mfma16_kernelIDF16_hLN4vllm18Fp8KVCacheDataTypeE1EDF16_Li16ELi128ELi256ELb0ELi6EL8MFMAType0EEvPKT_PKT0_S8_ifPKiSA_SA_iPKfiiiPfSD_PS3_PT2_iSC_SC_,@function
_Z39paged_attention_ll4mi_QKV_mfma16_kernelIDF16_hLN4vllm18Fp8KVCacheDataTypeE1EDF16_Li16ELi128ELi256ELb0ELi6EL8MFMAType0EEvPKT_PKT0_S8_ifPKiSA_SA_iPKfiiiPfSD_PS3_PT2_iSC_SC_: ; @_Z39paged_attention_ll4mi_QKV_mfma16_kernelIDF16_hLN4vllm18Fp8KVCacheDataTypeE1EDF16_Li16ELi128ELi256ELb0ELi6EL8MFMAType0EEvPKT_PKT0_S8_ifPKiSA_SA_iPKfiiiPfSD_PS3_PT2_iSC_SC_
; %bb.0:
	s_load_dwordx2 s[6:7], s[4:5], 0x30
	s_add_u32 s0, s0, s11
	s_addc_u32 s1, s1, 0
	s_mov_b32 s24, s9
	s_mov_b64 s[12:13], 0
	s_waitcnt lgkmcnt(0)
	s_cmp_lg_u64 s[6:7], 0
	s_cselect_b64 s[16:17], -1, 0
	s_and_b64 vcc, exec, s[16:17]
	s_cbranch_vccz .LBB627_7
; %bb.1:
	s_add_i32 s14, s8, 1
	s_mov_b32 s15, 0
	s_lshl_b64 s[18:19], s[14:15], 2
	s_add_u32 s18, s6, s18
	s_mov_b32 s9, s15
	s_addc_u32 s19, s7, s19
	s_lshl_b64 s[14:15], s[8:9], 2
	s_add_u32 s14, s6, s14
	s_addc_u32 s15, s7, s15
	s_load_dword s11, s[18:19], 0x0
	s_load_dword s20, s[14:15], 0x0
	s_waitcnt lgkmcnt(0)
	s_sub_i32 s11, s11, s20
	s_cmp_eq_u32 s11, 1
	s_cselect_b64 s[14:15], -1, 0
	s_andn2_b64 vcc, exec, s[12:13]
	s_cbranch_vccnz .LBB627_3
.LBB627_2:
	s_mov_b32 s9, 0
	s_mov_b64 s[14:15], -1
.LBB627_3:
	s_andn2_b64 vcc, exec, s[14:15]
	s_cbranch_vccnz .LBB627_598
; %bb.4:
	s_load_dwordx2 s[12:13], s[4:5], 0x28
	s_lshl_b64 s[18:19], s[8:9], 2
	s_waitcnt lgkmcnt(0)
	s_add_u32 s12, s12, s18
	s_addc_u32 s13, s13, s19
	s_load_dword s33, s[12:13], 0x0
	s_lshl_b32 s20, s24, 8
	s_waitcnt lgkmcnt(0)
	s_cmp_ge_i32 s20, s33
	s_cbranch_scc1 .LBB627_598
; %bb.5:
	s_add_i32 s14, s33, 15
	s_load_dwordx2 s[12:13], s[4:5], 0x20
	s_load_dword s11, s[4:5], 0x38
	s_ashr_i32 s15, s14, 31
	v_and_b32_e32 v1, 0xcf, v0
	s_lshr_b32 s15, s15, 28
	v_add_u32_e32 v1, s20, v1
	s_add_i32 s14, s14, s15
	v_ashrrev_i32_e32 v2, 31, v1
	s_ashr_i32 s22, s14, 4
	v_lshrrev_b32_e32 v8, 28, v2
	s_add_i32 s22, s22, -1
	v_add_u32_e32 v2, v1, v8
	s_waitcnt lgkmcnt(0)
	s_mul_i32 s14, s8, s11
	s_mov_b32 s15, 0
	v_ashrrev_i32_e32 v2, 4, v2
	v_mov_b32_e32 v9, s22
	v_cmp_gt_i32_e32 vcc, s33, v1
	s_lshl_b64 s[14:15], s[14:15], 2
	v_cndmask_b32_e32 v2, v9, v2, vcc
	s_add_u32 s11, s12, s14
	v_ashrrev_i32_e32 v3, 31, v2
	s_addc_u32 s21, s13, s15
	v_lshlrev_b64 v[2:3], 2, v[2:3]
	v_mov_b32_e32 v5, s21
	v_add_co_u32_e32 v4, vcc, s11, v2
	v_or_b32_e32 v2, 16, v1
	v_addc_co_u32_e32 v5, vcc, v5, v3, vcc
	v_add_u32_e32 v3, v2, v8
	v_ashrrev_i32_e32 v3, 4, v3
	v_cmp_gt_i32_e32 vcc, s33, v2
	v_cndmask_b32_e32 v2, v9, v3, vcc
	v_ashrrev_i32_e32 v3, 31, v2
	v_lshlrev_b64 v[2:3], 2, v[2:3]
	v_mov_b32_e32 v7, s21
	v_add_co_u32_e32 v6, vcc, s11, v2
	v_or_b32_e32 v2, 32, v1
	v_addc_co_u32_e32 v7, vcc, v7, v3, vcc
	v_add_u32_e32 v3, v2, v8
	v_ashrrev_i32_e32 v3, 4, v3
	v_cmp_gt_i32_e32 vcc, s33, v2
	v_cndmask_b32_e32 v2, v9, v3, vcc
	v_ashrrev_i32_e32 v3, 31, v2
	;; [unrolled: 10-line block ×3, first 2 shown]
	v_lshlrev_b64 v[2:3], 2, v[2:3]
	v_mov_b32_e32 v1, s21
	v_add_co_u32_e32 v12, vcc, s11, v2
	v_addc_co_u32_e32 v13, vcc, v1, v3, vcc
	global_load_dword v2, v[4:5], off
	global_load_dword v9, v[6:7], off
	;; [unrolled: 1-line block ×4, first 2 shown]
	s_load_dwordx4 s[12:15], s[4:5], 0x8
	s_andn2_b64 vcc, exec, s[16:17]
	s_cbranch_vccnz .LBB627_8
; %bb.6:
	s_add_u32 s6, s6, s18
	s_addc_u32 s7, s7, s19
	s_load_dword s16, s[6:7], 0x0
	s_branch .LBB627_9
.LBB627_7:
	s_mov_b64 s[14:15], 0
	s_branch .LBB627_2
.LBB627_8:
	s_mov_b32 s16, s8
.LBB627_9:
	s_load_dwordx2 s[48:49], s[4:5], 0x68
	s_load_dwordx8 s[40:47], s[4:5], 0x48
	v_lshrrev_b32_e32 v60, 6, v0
	v_bfe_u32 v1, v0, 4, 2
	v_and_b32_e32 v55, 15, v0
	v_lshl_or_b32 v3, v60, 2, v1
	v_lshlrev_b32_e32 v4, 3, v55
	s_mul_i32 s25, s10, 6
	v_cmp_gt_u32_e32 vcc, 6, v3
	v_lshlrev_b32_e32 v54, 1, v4
	v_lshlrev_b32_e32 v56, 4, v0
	s_and_saveexec_b64 s[6:7], vcc
	s_cbranch_execz .LBB627_11
; %bb.10:
	s_load_dwordx2 s[18:19], s[4:5], 0x0
	s_waitcnt lgkmcnt(0)
	s_ashr_i32 s17, s40, 31
	s_mul_hi_u32 s23, s16, s40
	s_mul_i32 s17, s16, s17
	s_add_i32 s17, s23, s17
	s_mul_i32 s16, s16, s40
	s_lshl_b64 s[16:17], s[16:17], 1
	v_add_lshl_u32 v4, v3, s25, 7
	s_add_u32 s16, s18, s16
	v_ashrrev_i32_e32 v5, 31, v4
	s_addc_u32 s17, s19, s17
	v_lshlrev_b64 v[4:5], 1, v[4:5]
	v_mov_b32_e32 v6, s17
	v_add_co_u32_e32 v4, vcc, s16, v4
	v_addc_co_u32_e32 v5, vcc, v6, v5, vcc
	v_add_co_u32_e32 v4, vcc, v4, v54
	v_addc_co_u32_e32 v5, vcc, 0, v5, vcc
	global_load_dwordx4 v[4:7], v[4:5], off
	v_lshlrev_b32_e32 v11, 8, v0
	v_lshlrev_b32_e32 v10, 8, v55
	v_and_b32_e32 v11, 0x600, v11
	s_movk_i32 s16, 0x800
	v_and_or_b32 v10, v10, s16, v11
	v_lshlrev_b32_e32 v3, 5, v3
	v_and_b32_e32 v11, 16, v56
	v_or3_b32 v3, v10, v3, v11
	s_waitcnt vmcnt(0)
	ds_write_b128 v3, v[4:7]
.LBB627_11:
	s_or_b64 exec, exec, s[6:7]
	s_waitcnt lgkmcnt(0)
	s_mul_i32 s10, s10, s42
	s_add_u32 s6, s12, s10
	s_addc_u32 s7, s13, 0
	v_and_b32_e32 v3, 0xf0, v56
	v_mov_b32_e32 v4, s7
	v_add_co_u32_e32 v18, vcc, s6, v3
	v_and_b32_e32 v10, 48, v0
	v_addc_co_u32_e32 v19, vcc, 0, v4, vcc
	v_lshlrev_b32_e32 v21, 4, v10
	s_waitcnt vmcnt(3)
	v_mad_i64_i32 v[2:3], s[6:7], v2, s41, v[18:19]
	v_add_co_u32_e32 v6, vcc, v2, v21
	v_addc_co_u32_e32 v7, vcc, 0, v3, vcc
	v_or_b32_e32 v16, s20, v10
	v_ashrrev_i32_e32 v10, 4, v16
	v_mov_b32_e32 v17, s22
	v_cmp_gt_i32_e32 vcc, s33, v16
	v_cndmask_b32_e32 v10, v17, v10, vcc
	v_ashrrev_i32_e32 v11, 31, v10
	v_lshlrev_b64 v[10:11], 2, v[10:11]
	v_mov_b32_e32 v12, s21
	v_add_co_u32_e32 v10, vcc, s11, v10
	v_addc_co_u32_e32 v11, vcc, v12, v11, vcc
	v_or_b32_e32 v12, 64, v16
	v_ashrrev_i32_e32 v13, 4, v12
	v_cmp_gt_i32_e32 vcc, s33, v12
	v_cndmask_b32_e32 v12, v17, v13, vcc
	v_ashrrev_i32_e32 v13, 31, v12
	v_lshlrev_b64 v[12:13], 2, v[12:13]
	v_mov_b32_e32 v14, s21
	v_add_co_u32_e32 v12, vcc, s11, v12
	v_addc_co_u32_e32 v13, vcc, v14, v13, vcc
	v_or_b32_e32 v14, 0x80, v16
	v_ashrrev_i32_e32 v15, 4, v14
	v_cmp_gt_i32_e32 vcc, s33, v14
	v_cndmask_b32_e32 v14, v17, v15, vcc
	v_ashrrev_i32_e32 v15, 31, v14
	v_lshlrev_b64 v[14:15], 2, v[14:15]
	v_mov_b32_e32 v22, s21
	v_add_co_u32_e32 v14, vcc, s11, v14
	s_load_dwordx2 s[50:51], s[4:5], 0x94
	s_waitcnt lgkmcnt(0)
	s_barrier
	global_load_dwordx4 v[2:5], v[6:7], off
	v_addc_co_u32_e32 v15, vcc, v22, v15, vcc
	global_load_dword v50, v[10:11], off
	global_load_dword v57, v[12:13], off
	;; [unrolled: 1-line block ×3, first 2 shown]
	v_or_b32_e32 v10, 0xc0, v16
	v_ashrrev_i32_e32 v11, 4, v10
	v_cmp_gt_i32_e32 vcc, s33, v10
	v_cndmask_b32_e32 v10, v17, v11, vcc
	v_ashrrev_i32_e32 v11, 31, v10
	v_lshlrev_b64 v[10:11], 2, v[10:11]
	v_mov_b32_e32 v12, s21
	v_add_co_u32_e32 v10, vcc, s11, v10
	v_addc_co_u32_e32 v11, vcc, v12, v11, vcc
	global_load_dword v63, v[10:11], off
	global_load_dwordx4 v[14:17], v[6:7], off offset:1024
	s_waitcnt vmcnt(8)
	v_mad_i64_i32 v[6:7], s[6:7], v9, s41, v[18:19]
	v_add_co_u32_e32 v6, vcc, v6, v21
	v_addc_co_u32_e32 v7, vcc, 0, v7, vcc
	global_load_dwordx4 v[46:49], v[6:7], off
	global_load_dwordx4 v[10:13], v[6:7], off offset:1024
	s_waitcnt vmcnt(9)
	v_mad_i64_i32 v[6:7], s[6:7], v8, s41, v[18:19]
	v_add_co_u32_e32 v22, vcc, v6, v21
	v_addc_co_u32_e32 v23, vcc, 0, v7, vcc
	global_load_dwordx4 v[6:9], v[22:23], off
	s_add_u32 s10, s14, s10
	v_lshl_or_b32 v61, v60, 4, v55
	s_addc_u32 s11, s15, 0
	v_lshlrev_b32_e32 v51, 4, v61
	s_mov_b32 s12, 0
	s_waitcnt vmcnt(8)
	buffer_store_dword v5, off, s[0:3], 0 offset:12
	buffer_store_dword v4, off, s[0:3], 0 offset:8
	v_mad_i64_i32 v[4:5], s[6:7], v20, s41, v[18:19]
	v_add_co_u32_e32 v4, vcc, v4, v21
	v_addc_co_u32_e32 v5, vcc, 0, v5, vcc
	global_load_dwordx4 v[22:25], v[22:23], off offset:1024
	s_nop 0
	global_load_dwordx4 v[26:29], v[4:5], off
	global_load_dwordx4 v[18:21], v[4:5], off offset:1024
	v_mov_b32_e32 v5, s11
	v_add_co_u32_e32 v4, vcc, s10, v51
	v_addc_co_u32_e32 v5, vcc, 0, v5, vcc
	s_waitcnt vmcnt(12)
	v_mad_i64_i32 v[30:31], s[6:7], v50, s41, v[4:5]
	s_waitcnt vmcnt(11)
	v_mad_i64_i32 v[32:33], s[6:7], v57, s41, v[4:5]
	;; [unrolled: 2-line block ×3, first 2 shown]
	global_load_dwordx4 v[34:37], v[30:31], off
	s_nop 0
	global_load_dwordx4 v[30:33], v[32:33], off
	s_waitcnt vmcnt(11)
	v_mad_i64_i32 v[4:5], s[6:7], v63, s41, v[4:5]
	global_load_dwordx4 v[42:45], v[38:39], off
	s_nop 0
	global_load_dwordx4 v[38:41], v[4:5], off
	v_or_b32_e32 v4, 0x400, v51
	v_mov_b32_e32 v5, s11
	v_add_co_u32_e32 v4, vcc, s10, v4
	v_addc_co_u32_e32 v5, vcc, 0, v5, vcc
	v_mad_i64_i32 v[50:51], s[6:7], v50, s41, v[4:5]
	buffer_store_dword v3, off, s[0:3], 0 offset:4
	buffer_store_dword v2, off, s[0:3], 0
	v_mad_i64_i32 v[2:3], s[6:7], v62, s41, v[4:5]
	global_load_dwordx4 v[50:53], v[50:51], off
	v_mad_i64_i32 v[58:59], s[6:7], v57, s41, v[4:5]
	global_load_dwordx4 v[68:71], v[2:3], off
	;; [unrolled: 2-line block ×3, first 2 shown]
	global_load_dwordx4 v[72:75], v[2:3], off
	v_mov_b32_e32 v2, 0x80
	s_waitcnt vmcnt(18)
	buffer_store_dword v17, off, s[0:3], 0 offset:28
	buffer_store_dword v16, off, s[0:3], 0 offset:24
	;; [unrolled: 1-line block ×4, first 2 shown]
	s_waitcnt vmcnt(21)
	buffer_store_dword v49, off, s[0:3], 0 offset:44
	buffer_store_dword v48, off, s[0:3], 0 offset:40
	;; [unrolled: 1-line block ×4, first 2 shown]
	v_add_u32_e32 v47, 16, v2
	v_add_u32_e32 v46, 32, v2
	v_add_u32_e32 v48, 48, v2
	v_add_u32_e32 v59, 64, v2
	v_add_u32_e32 v49, 0x50, v2
	v_add_u32_e32 v58, 0x60, v2
	v_add_u32_e32 v57, 0x70, v2
	v_mul_lo_u16_e32 v2, 43, v55
	v_mov_b32_e32 v3, 6
	s_load_dword s6, s[4:5], 0x1c
	s_load_dwordx4 s[40:43], s[4:5], 0x80
	v_mul_lo_u16_sdwa v2, v2, v3 dst_sel:DWORD dst_unused:UNUSED_PAD src0_sel:BYTE_1 src1_sel:DWORD
	v_sub_u16_e32 v2, v55, v2
	v_mov_b32_e32 v3, 5
	v_lshlrev_b32_sdwa v2, v3, v2 dst_sel:DWORD dst_unused:UNUSED_PAD src0_sel:DWORD src1_sel:BYTE_0
	s_waitcnt vmcnt(24)
	buffer_store_dword v13, off, s[0:3], 0 offset:60
	buffer_store_dword v12, off, s[0:3], 0 offset:56
	;; [unrolled: 1-line block ×4, first 2 shown]
	s_waitcnt vmcnt(27)
	buffer_store_dword v9, off, s[0:3], 0 offset:76
	buffer_store_dword v8, off, s[0:3], 0 offset:72
	;; [unrolled: 1-line block ×4, first 2 shown]
	v_lshl_add_u32 v14, v1, 9, v2
	ds_read_b128 v[2:5], v14
	ds_read_b128 v[6:9], v14 offset:16
	ds_read_b128 v[10:13], v14 offset:2048
	;; [unrolled: 1-line block ×3, first 2 shown]
	s_waitcnt vmcnt(28)
	buffer_store_dword v25, off, s[0:3], 0 offset:92
	buffer_store_dword v24, off, s[0:3], 0 offset:88
	buffer_store_dword v23, off, s[0:3], 0 offset:84
	buffer_store_dword v22, off, s[0:3], 0 offset:80
	s_waitcnt vmcnt(31)
	buffer_store_dword v29, off, s[0:3], 0 offset:108
	buffer_store_dword v28, off, s[0:3], 0 offset:104
	buffer_store_dword v27, off, s[0:3], 0 offset:100
	buffer_store_dword v26, off, s[0:3], 0 offset:96
	;; [unrolled: 5-line block ×9, first 2 shown]
	buffer_store_dword v71, off, s[0:3], 0 offset:220
	buffer_store_dword v70, off, s[0:3], 0 offset:216
	buffer_store_dword v69, off, s[0:3], 0 offset:212
	buffer_store_dword v68, off, s[0:3], 0 offset:208
	s_waitcnt vmcnt(56)
	buffer_store_dword v75, off, s[0:3], 0 offset:252
	s_waitcnt lgkmcnt(0)
	s_load_dword s4, s[40:41], 0x0
	v_mov_b32_e32 v18, s6
	v_and_b32_e32 v62, 63, v0
	s_movk_i32 s13, 0x80
	v_mov_b32_e32 v27, 0
	s_waitcnt lgkmcnt(0)
	v_mul_f32_e32 v22, s4, v18
	v_mov_b32_e32 v24, v22
	v_mov_b32_e32 v25, v22
	s_movk_i32 s14, 0x7f
	s_mov_b32 s15, 0xffffff
	v_mov_b32_e32 v29, 0
	v_mov_b32_e32 v31, 0x100
	v_bfrev_b32_e32 v33, 60
	buffer_store_dword v74, off, s[0:3], 0 offset:248
	buffer_store_dword v73, off, s[0:3], 0 offset:244
	;; [unrolled: 1-line block ×3, first 2 shown]
	s_branch .LBB627_15
.LBB627_12:                             ;   in Loop: Header=BB627_15 Depth=1
	s_or_b64 exec, exec, s[10:11]
.LBB627_13:                             ;   in Loop: Header=BB627_15 Depth=1
	s_or_b64 exec, exec, s[6:7]
.LBB627_14:                             ;   in Loop: Header=BB627_15 Depth=1
	s_or_b64 exec, exec, s[4:5]
	v_cvt_pkrtz_f16_f32 v40, v34, v32
	v_cvt_pkrtz_f16_f32 v41, v23, v36
	;; [unrolled: 1-line block ×4, first 2 shown]
	v_add_u32_e32 v26, s12, v31
	v_mfma_f32_16x16x16f16 v[18:21], v[40:41], v[14:15], v[18:21]
	s_add_i32 s12, s12, 16
	v_mov_b32_e32 v23, v22
	s_cmp_eq_u32 s12, 64
	v_add_u32_e32 v27, 32, v27
	v_mfma_f32_16x16x16f16 v[18:21], v[34:35], v[16:17], v[18:21]
	s_nop 7
	s_nop 2
	v_pk_mul_f32 v[18:19], v[24:25], v[18:19]
	v_pk_mul_f32 v[20:21], v[22:23], v[20:21]
	buffer_store_dword v19, v26, s[0:3], 0 offen offset:4
	buffer_store_dword v18, v26, s[0:3], 0 offen
	buffer_store_dword v21, v26, s[0:3], 0 offen offset:12
	buffer_store_dword v20, v26, s[0:3], 0 offen offset:8
	s_cbranch_scc1 .LBB627_205
.LBB627_15:                             ; =>This Inner Loop Header: Depth=1
	buffer_load_dword v20, v27, s[0:3], 0 offen
	buffer_load_dword v18, v27, s[0:3], 0 offen offset:4
	buffer_load_dword v28, v27, s[0:3], 0 offen offset:8
	;; [unrolled: 1-line block ×3, first 2 shown]
	v_mov_b32_e32 v19, 0
	s_waitcnt vmcnt(3)
	v_cmp_ne_u16_sdwa s[6:7], v20, v29 src0_sel:BYTE_0 src1_sel:DWORD
	s_and_saveexec_b64 s[4:5], s[6:7]
	s_cbranch_execz .LBB627_21
; %bb.16:                               ;   in Loop: Header=BB627_15 Depth=1
	v_cmp_ne_u16_sdwa s[10:11], v20, s13 src0_sel:BYTE_0 src1_sel:DWORD
	v_bfrev_b32_e32 v19, 1
	s_and_saveexec_b64 s[6:7], s[10:11]
	s_cbranch_execz .LBB627_20
; %bb.17:                               ;   in Loop: Header=BB627_15 Depth=1
	v_and_b32_e32 v21, 0x7f, v20
	v_cmp_ne_u32_e32 vcc, s14, v21
	v_mov_b32_e32 v19, 0x7f800001
	s_and_saveexec_b64 s[10:11], vcc
	s_cbranch_execz .LBB627_19
; %bb.18:                               ;   in Loop: Header=BB627_15 Depth=1
	v_and_b32_e32 v19, 7, v20
	v_ffbh_u32_e32 v30, v19
	v_min_u32_e32 v30, 32, v30
	v_subrev_u32_e32 v32, 28, v30
	v_lshlrev_b64 v[34:35], v32, v[20:21]
	v_lshrrev_b32_e32 v23, 3, v21
	v_sub_u32_e32 v30, 29, v30
	v_and_b32_e32 v32, 7, v34
	v_cmp_gt_u32_e32 vcc, 8, v21
	v_cndmask_b32_e32 v21, v23, v30, vcc
	v_cndmask_b32_e32 v19, v19, v32, vcc
	v_lshlrev_b32_e32 v23, 24, v20
	v_lshlrev_b32_e32 v19, 20, v19
	v_and_b32_e32 v23, 0x80000000, v23
	v_lshl_add_u32 v21, v21, 23, v33
	v_or3_b32 v19, v23, v21, v19
.LBB627_19:                             ;   in Loop: Header=BB627_15 Depth=1
	s_or_b64 exec, exec, s[10:11]
.LBB627_20:                             ;   in Loop: Header=BB627_15 Depth=1
	s_or_b64 exec, exec, s[6:7]
.LBB627_21:                             ;   in Loop: Header=BB627_15 Depth=1
	s_or_b64 exec, exec, s[4:5]
	v_lshrrev_b16_e32 v30, 8, v20
	v_cmp_ne_u16_e32 vcc, 0, v30
	v_mov_b32_e32 v21, 0
	v_mov_b32_e32 v23, 0
	s_and_saveexec_b64 s[4:5], vcc
	s_cbranch_execz .LBB627_27
; %bb.22:                               ;   in Loop: Header=BB627_15 Depth=1
	v_cmp_ne_u16_e32 vcc, s13, v30
	v_bfrev_b32_e32 v23, 1
	s_and_saveexec_b64 s[6:7], vcc
	s_cbranch_execz .LBB627_26
; %bb.23:                               ;   in Loop: Header=BB627_15 Depth=1
	v_and_b32_e32 v32, 0x7f, v30
	v_cmp_ne_u32_e32 vcc, s14, v32
	v_mov_b32_e32 v23, 0x7f800001
	s_and_saveexec_b64 s[10:11], vcc
	s_cbranch_execz .LBB627_25
; %bb.24:                               ;   in Loop: Header=BB627_15 Depth=1
	v_and_b32_e32 v23, 7, v30
	v_ffbh_u32_e32 v34, v23
	v_min_u32_e32 v37, 32, v34
	v_subrev_u32_e32 v34, 28, v37
	v_lshlrev_b64 v[34:35], v34, v[30:31]
	v_lshrrev_b32_e32 v36, 3, v32
	v_sub_u32_e32 v30, 29, v37
	v_and_b32_e32 v34, 7, v34
	v_cmp_gt_u32_e32 vcc, 8, v32
	v_cndmask_b32_e32 v30, v36, v30, vcc
	v_cndmask_b32_e32 v23, v23, v34, vcc
	v_lshlrev_b32_e32 v32, 16, v20
	v_lshlrev_b32_e32 v23, 20, v23
	v_and_b32_e32 v32, 0x80000000, v32
	v_lshl_add_u32 v30, v30, 23, v33
	v_or3_b32 v23, v32, v30, v23
.LBB627_25:                             ;   in Loop: Header=BB627_15 Depth=1
	s_or_b64 exec, exec, s[10:11]
.LBB627_26:                             ;   in Loop: Header=BB627_15 Depth=1
	s_or_b64 exec, exec, s[6:7]
.LBB627_27:                             ;   in Loop: Header=BB627_15 Depth=1
	s_or_b64 exec, exec, s[4:5]
	v_lshrrev_b32_e32 v30, 16, v20
	v_cmp_ne_u16_sdwa s[6:7], v30, v29 src0_sel:BYTE_0 src1_sel:DWORD
	s_and_saveexec_b64 s[4:5], s[6:7]
	s_cbranch_execz .LBB627_33
; %bb.28:                               ;   in Loop: Header=BB627_15 Depth=1
	v_cmp_ne_u16_sdwa s[10:11], v30, s13 src0_sel:BYTE_0 src1_sel:DWORD
	v_bfrev_b32_e32 v21, 1
	s_and_saveexec_b64 s[6:7], s[10:11]
	s_cbranch_execz .LBB627_32
; %bb.29:                               ;   in Loop: Header=BB627_15 Depth=1
	v_bfe_u32 v32, v20, 16, 7
	v_cmp_ne_u32_e32 vcc, s14, v32
	v_mov_b32_e32 v21, 0x7f800001
	s_and_saveexec_b64 s[10:11], vcc
	s_cbranch_execz .LBB627_31
; %bb.30:                               ;   in Loop: Header=BB627_15 Depth=1
	v_and_b32_e32 v21, 7, v30
	v_ffbh_u32_e32 v34, v21
	v_min_u32_e32 v37, 32, v34
	v_subrev_u32_e32 v34, 28, v37
	v_lshlrev_b64 v[34:35], v34, v[30:31]
	v_lshrrev_b32_e32 v36, 3, v32
	v_sub_u32_e32 v35, 29, v37
	v_and_b32_e32 v34, 7, v34
	v_cmp_gt_u32_e32 vcc, 8, v32
	v_cndmask_b32_e32 v32, v36, v35, vcc
	v_cndmask_b32_e32 v21, v21, v34, vcc
	v_lshlrev_b32_e32 v30, 24, v30
	v_lshlrev_b32_e32 v21, 20, v21
	v_and_b32_e32 v30, 0x80000000, v30
	v_lshl_add_u32 v32, v32, 23, v33
	v_or3_b32 v21, v30, v32, v21
.LBB627_31:                             ;   in Loop: Header=BB627_15 Depth=1
	s_or_b64 exec, exec, s[10:11]
.LBB627_32:                             ;   in Loop: Header=BB627_15 Depth=1
	s_or_b64 exec, exec, s[6:7]
.LBB627_33:                             ;   in Loop: Header=BB627_15 Depth=1
	s_or_b64 exec, exec, s[4:5]
	v_cmp_lt_u32_e32 vcc, s15, v20
	v_mov_b32_e32 v34, 0
	v_mov_b32_e32 v35, 0
	s_and_saveexec_b64 s[4:5], vcc
	s_cbranch_execz .LBB627_39
; %bb.34:                               ;   in Loop: Header=BB627_15 Depth=1
	v_lshrrev_b32_e32 v30, 24, v20
	v_cmp_ne_u32_e32 vcc, s13, v30
	v_bfrev_b32_e32 v35, 1
	s_and_saveexec_b64 s[6:7], vcc
	s_cbranch_execz .LBB627_38
; %bb.35:                               ;   in Loop: Header=BB627_15 Depth=1
	v_bfe_u32 v20, v20, 24, 7
	v_cmp_ne_u32_e32 vcc, s14, v20
	v_mov_b32_e32 v35, 0x7f800001
	s_and_saveexec_b64 s[10:11], vcc
	s_cbranch_execz .LBB627_37
; %bb.36:                               ;   in Loop: Header=BB627_15 Depth=1
	v_and_b32_e32 v32, 7, v30
	v_ffbh_u32_e32 v36, v32
	v_min_u32_e32 v38, 32, v36
	v_subrev_u32_e32 v36, 28, v38
	v_lshlrev_b64 v[36:37], v36, v[30:31]
	v_lshrrev_b32_e32 v35, 3, v20
	v_sub_u32_e32 v37, 29, v38
	v_and_b32_e32 v36, 7, v36
	v_cmp_gt_u32_e32 vcc, 8, v20
	v_cndmask_b32_e32 v20, v35, v37, vcc
	v_cndmask_b32_e32 v32, v32, v36, vcc
	v_lshlrev_b32_e32 v30, 24, v30
	v_lshlrev_b32_e32 v32, 20, v32
	v_and_b32_e32 v30, 0x80000000, v30
	v_lshl_add_u32 v20, v20, 23, v33
	v_or3_b32 v35, v30, v20, v32
.LBB627_37:                             ;   in Loop: Header=BB627_15 Depth=1
	s_or_b64 exec, exec, s[10:11]
.LBB627_38:                             ;   in Loop: Header=BB627_15 Depth=1
	s_or_b64 exec, exec, s[6:7]
.LBB627_39:                             ;   in Loop: Header=BB627_15 Depth=1
	s_or_b64 exec, exec, s[4:5]
	s_waitcnt vmcnt(2)
	v_cmp_ne_u16_sdwa s[6:7], v18, v29 src0_sel:BYTE_0 src1_sel:DWORD
	s_and_saveexec_b64 s[4:5], s[6:7]
	s_cbranch_execz .LBB627_45
; %bb.40:                               ;   in Loop: Header=BB627_15 Depth=1
	v_cmp_ne_u16_sdwa s[10:11], v18, s13 src0_sel:BYTE_0 src1_sel:DWORD
	v_bfrev_b32_e32 v34, 1
	s_and_saveexec_b64 s[6:7], s[10:11]
	s_cbranch_execz .LBB627_44
; %bb.41:                               ;   in Loop: Header=BB627_15 Depth=1
	v_and_b32_e32 v20, 0x7f, v18
	v_cmp_ne_u32_e32 vcc, s14, v20
	v_mov_b32_e32 v34, 0x7f800001
	s_and_saveexec_b64 s[10:11], vcc
	s_cbranch_execz .LBB627_43
; %bb.42:                               ;   in Loop: Header=BB627_15 Depth=1
	v_and_b32_e32 v30, 7, v18
	v_ffbh_u32_e32 v34, v30
	v_min_u32_e32 v34, 32, v34
	v_subrev_u32_e32 v36, 28, v34
	v_lshlrev_b64 v[36:37], v36, v[18:19]
	v_lshrrev_b32_e32 v32, 3, v20
	v_sub_u32_e32 v34, 29, v34
	v_and_b32_e32 v36, 7, v36
	v_cmp_gt_u32_e32 vcc, 8, v20
	v_cndmask_b32_e32 v20, v32, v34, vcc
	v_cndmask_b32_e32 v30, v30, v36, vcc
	v_lshlrev_b32_e32 v32, 24, v18
	v_lshlrev_b32_e32 v30, 20, v30
	v_and_b32_e32 v32, 0x80000000, v32
	v_lshl_add_u32 v20, v20, 23, v33
	v_or3_b32 v34, v32, v20, v30
.LBB627_43:                             ;   in Loop: Header=BB627_15 Depth=1
	s_or_b64 exec, exec, s[10:11]
.LBB627_44:                             ;   in Loop: Header=BB627_15 Depth=1
	s_or_b64 exec, exec, s[6:7]
.LBB627_45:                             ;   in Loop: Header=BB627_15 Depth=1
	s_or_b64 exec, exec, s[4:5]
	v_lshrrev_b16_e32 v20, 8, v18
	v_cmp_ne_u16_e32 vcc, 0, v20
	v_mov_b32_e32 v30, 0
	v_mov_b32_e32 v36, 0
	s_and_saveexec_b64 s[4:5], vcc
	s_cbranch_execz .LBB627_51
; %bb.46:                               ;   in Loop: Header=BB627_15 Depth=1
	v_cmp_ne_u16_e32 vcc, s13, v20
	v_bfrev_b32_e32 v36, 1
	s_and_saveexec_b64 s[6:7], vcc
	s_cbranch_execz .LBB627_50
; %bb.47:                               ;   in Loop: Header=BB627_15 Depth=1
	v_and_b32_e32 v32, 0x7f, v20
	v_cmp_ne_u32_e32 vcc, s14, v32
	v_mov_b32_e32 v36, 0x7f800001
	s_and_saveexec_b64 s[10:11], vcc
	s_cbranch_execz .LBB627_49
; %bb.48:                               ;   in Loop: Header=BB627_15 Depth=1
	v_and_b32_e32 v38, 7, v20
	v_ffbh_u32_e32 v36, v38
	v_min_u32_e32 v40, 32, v36
	v_subrev_u32_e32 v36, 28, v40
	v_lshlrev_b64 v[36:37], v36, v[20:21]
	v_lshrrev_b32_e32 v39, 3, v32
	v_sub_u32_e32 v20, 29, v40
	v_and_b32_e32 v36, 7, v36
	v_cmp_gt_u32_e32 vcc, 8, v32
	v_cndmask_b32_e32 v20, v39, v20, vcc
	v_cndmask_b32_e32 v32, v38, v36, vcc
	v_lshlrev_b32_e32 v36, 16, v18
	v_lshlrev_b32_e32 v32, 20, v32
	v_and_b32_e32 v36, 0x80000000, v36
	v_lshl_add_u32 v20, v20, 23, v33
	v_or3_b32 v36, v36, v20, v32
.LBB627_49:                             ;   in Loop: Header=BB627_15 Depth=1
	s_or_b64 exec, exec, s[10:11]
.LBB627_50:                             ;   in Loop: Header=BB627_15 Depth=1
	s_or_b64 exec, exec, s[6:7]
.LBB627_51:                             ;   in Loop: Header=BB627_15 Depth=1
	s_or_b64 exec, exec, s[4:5]
	v_lshrrev_b32_e32 v20, 16, v18
	v_cmp_ne_u16_sdwa s[6:7], v20, v29 src0_sel:BYTE_0 src1_sel:DWORD
	s_and_saveexec_b64 s[4:5], s[6:7]
	s_cbranch_execz .LBB627_57
; %bb.52:                               ;   in Loop: Header=BB627_15 Depth=1
	v_cmp_ne_u16_sdwa s[10:11], v20, s13 src0_sel:BYTE_0 src1_sel:DWORD
	v_bfrev_b32_e32 v30, 1
	s_and_saveexec_b64 s[6:7], s[10:11]
	s_cbranch_execz .LBB627_56
; %bb.53:                               ;   in Loop: Header=BB627_15 Depth=1
	v_bfe_u32 v32, v18, 16, 7
	v_cmp_ne_u32_e32 vcc, s14, v32
	v_mov_b32_e32 v30, 0x7f800001
	s_and_saveexec_b64 s[10:11], vcc
	s_cbranch_execz .LBB627_55
; %bb.54:                               ;   in Loop: Header=BB627_15 Depth=1
	v_and_b32_e32 v30, 7, v20
	v_ffbh_u32_e32 v38, v30
	v_min_u32_e32 v40, 32, v38
	v_subrev_u32_e32 v38, 28, v40
	v_lshlrev_b64 v[38:39], v38, v[20:21]
	v_lshrrev_b32_e32 v37, 3, v32
	v_sub_u32_e32 v39, 29, v40
	v_and_b32_e32 v38, 7, v38
	v_cmp_gt_u32_e32 vcc, 8, v32
	v_cndmask_b32_e32 v32, v37, v39, vcc
	v_cndmask_b32_e32 v30, v30, v38, vcc
	v_lshlrev_b32_e32 v20, 24, v20
	v_lshlrev_b32_e32 v30, 20, v30
	v_and_b32_e32 v20, 0x80000000, v20
	v_lshl_add_u32 v32, v32, 23, v33
	v_or3_b32 v30, v20, v32, v30
.LBB627_55:                             ;   in Loop: Header=BB627_15 Depth=1
	s_or_b64 exec, exec, s[10:11]
.LBB627_56:                             ;   in Loop: Header=BB627_15 Depth=1
	s_or_b64 exec, exec, s[6:7]
.LBB627_57:                             ;   in Loop: Header=BB627_15 Depth=1
	s_or_b64 exec, exec, s[4:5]
	v_cmp_lt_u32_e32 vcc, s15, v18
	v_mov_b32_e32 v32, 0
	v_mov_b32_e32 v37, 0
	s_and_saveexec_b64 s[4:5], vcc
	s_cbranch_execz .LBB627_63
; %bb.58:                               ;   in Loop: Header=BB627_15 Depth=1
	v_lshrrev_b32_e32 v20, 24, v18
	v_cmp_ne_u32_e32 vcc, s13, v20
	v_bfrev_b32_e32 v37, 1
	s_and_saveexec_b64 s[6:7], vcc
	s_cbranch_execz .LBB627_62
; %bb.59:                               ;   in Loop: Header=BB627_15 Depth=1
	v_bfe_u32 v18, v18, 24, 7
	v_cmp_ne_u32_e32 vcc, s14, v18
	v_mov_b32_e32 v37, 0x7f800001
	s_and_saveexec_b64 s[10:11], vcc
	s_cbranch_execz .LBB627_61
; %bb.60:                               ;   in Loop: Header=BB627_15 Depth=1
	v_and_b32_e32 v37, 7, v20
	v_ffbh_u32_e32 v38, v37
	v_min_u32_e32 v41, 32, v38
	v_subrev_u32_e32 v38, 28, v41
	v_lshlrev_b64 v[38:39], v38, v[20:21]
	v_lshrrev_b32_e32 v40, 3, v18
	v_sub_u32_e32 v39, 29, v41
	v_and_b32_e32 v38, 7, v38
	v_cmp_gt_u32_e32 vcc, 8, v18
	v_cndmask_b32_e32 v18, v40, v39, vcc
	v_cndmask_b32_e32 v37, v37, v38, vcc
	v_lshlrev_b32_e32 v20, 24, v20
	v_lshlrev_b32_e32 v37, 20, v37
	v_and_b32_e32 v20, 0x80000000, v20
	v_lshl_add_u32 v18, v18, 23, v33
	v_or3_b32 v37, v20, v18, v37
.LBB627_61:                             ;   in Loop: Header=BB627_15 Depth=1
	s_or_b64 exec, exec, s[10:11]
.LBB627_62:                             ;   in Loop: Header=BB627_15 Depth=1
	s_or_b64 exec, exec, s[6:7]
.LBB627_63:                             ;   in Loop: Header=BB627_15 Depth=1
	s_or_b64 exec, exec, s[4:5]
	v_cvt_pkrtz_f16_f32 v18, v19, v23
	v_cvt_pkrtz_f16_f32 v19, v21, v35
	;; [unrolled: 1-line block ×4, first 2 shown]
	s_waitcnt vmcnt(1)
	v_cmp_ne_u16_sdwa s[6:7], v28, v29 src0_sel:BYTE_0 src1_sel:DWORD
	v_mfma_f32_16x16x16f16 v[18:21], v[18:19], v[2:3], 0
	v_mfma_f32_16x16x16f16 v[18:21], v[34:35], v[4:5], v[18:21]
	s_and_saveexec_b64 s[4:5], s[6:7]
	s_cbranch_execz .LBB627_69
; %bb.64:                               ;   in Loop: Header=BB627_15 Depth=1
	v_cmp_ne_u16_sdwa s[10:11], v28, s13 src0_sel:BYTE_0 src1_sel:DWORD
	v_bfrev_b32_e32 v32, 1
	s_and_saveexec_b64 s[6:7], s[10:11]
	s_cbranch_execz .LBB627_68
; %bb.65:                               ;   in Loop: Header=BB627_15 Depth=1
	v_and_b32_e32 v23, 0x7f, v28
	v_cmp_ne_u32_e32 vcc, s14, v23
	v_mov_b32_e32 v32, 0x7f800001
	s_and_saveexec_b64 s[10:11], vcc
	s_cbranch_execz .LBB627_67
; %bb.66:                               ;   in Loop: Header=BB627_15 Depth=1
	v_and_b32_e32 v30, 7, v28
	v_ffbh_u32_e32 v34, v30
	v_min_u32_e32 v36, 32, v34
	v_subrev_u32_e32 v34, 28, v36
	v_lshlrev_b64 v[34:35], v34, v[28:29]
	v_lshrrev_b32_e32 v32, 3, v23
	v_sub_u32_e32 v35, 29, v36
	v_and_b32_e32 v34, 7, v34
	v_cmp_gt_u32_e32 vcc, 8, v23
	v_cndmask_b32_e32 v23, v32, v35, vcc
	v_cndmask_b32_e32 v30, v30, v34, vcc
	v_lshlrev_b32_e32 v32, 24, v28
	v_lshlrev_b32_e32 v30, 20, v30
	v_and_b32_e32 v32, 0x80000000, v32
	v_lshl_add_u32 v23, v23, 23, v33
	v_or3_b32 v32, v32, v23, v30
.LBB627_67:                             ;   in Loop: Header=BB627_15 Depth=1
	s_or_b64 exec, exec, s[10:11]
.LBB627_68:                             ;   in Loop: Header=BB627_15 Depth=1
	s_or_b64 exec, exec, s[6:7]
.LBB627_69:                             ;   in Loop: Header=BB627_15 Depth=1
	s_or_b64 exec, exec, s[4:5]
	v_lshrrev_b16_e32 v30, 8, v28
	v_cmp_ne_u16_e32 vcc, 0, v30
	v_mov_b32_e32 v34, 0
	v_mov_b32_e32 v35, 0
	s_and_saveexec_b64 s[4:5], vcc
	s_cbranch_execz .LBB627_75
; %bb.70:                               ;   in Loop: Header=BB627_15 Depth=1
	v_cmp_ne_u16_e32 vcc, s13, v30
	v_bfrev_b32_e32 v35, 1
	s_and_saveexec_b64 s[6:7], vcc
	s_cbranch_execz .LBB627_74
; %bb.71:                               ;   in Loop: Header=BB627_15 Depth=1
	v_and_b32_e32 v23, 0x7f, v30
	v_cmp_ne_u32_e32 vcc, s14, v23
	v_mov_b32_e32 v35, 0x7f800001
	s_and_saveexec_b64 s[10:11], vcc
	s_cbranch_execz .LBB627_73
; %bb.72:                               ;   in Loop: Header=BB627_15 Depth=1
	v_and_b32_e32 v35, 7, v30
	v_ffbh_u32_e32 v36, v35
	v_min_u32_e32 v39, 32, v36
	v_subrev_u32_e32 v36, 28, v39
	v_lshlrev_b64 v[36:37], v36, v[30:31]
	v_lshrrev_b32_e32 v38, 3, v23
	v_sub_u32_e32 v30, 29, v39
	v_and_b32_e32 v36, 7, v36
	v_cmp_gt_u32_e32 vcc, 8, v23
	v_cndmask_b32_e32 v23, v38, v30, vcc
	v_cndmask_b32_e32 v30, v35, v36, vcc
	v_lshlrev_b32_e32 v35, 16, v28
	v_lshlrev_b32_e32 v30, 20, v30
	v_and_b32_e32 v35, 0x80000000, v35
	v_lshl_add_u32 v23, v23, 23, v33
	v_or3_b32 v35, v35, v23, v30
.LBB627_73:                             ;   in Loop: Header=BB627_15 Depth=1
	s_or_b64 exec, exec, s[10:11]
.LBB627_74:                             ;   in Loop: Header=BB627_15 Depth=1
	s_or_b64 exec, exec, s[6:7]
.LBB627_75:                             ;   in Loop: Header=BB627_15 Depth=1
	s_or_b64 exec, exec, s[4:5]
	v_lshrrev_b32_e32 v30, 16, v28
	v_cmp_ne_u16_sdwa s[6:7], v30, v29 src0_sel:BYTE_0 src1_sel:DWORD
	s_and_saveexec_b64 s[4:5], s[6:7]
	s_cbranch_execz .LBB627_81
; %bb.76:                               ;   in Loop: Header=BB627_15 Depth=1
	v_cmp_ne_u16_sdwa s[10:11], v30, s13 src0_sel:BYTE_0 src1_sel:DWORD
	v_bfrev_b32_e32 v34, 1
	s_and_saveexec_b64 s[6:7], s[10:11]
	s_cbranch_execz .LBB627_80
; %bb.77:                               ;   in Loop: Header=BB627_15 Depth=1
	v_bfe_u32 v23, v28, 16, 7
	v_cmp_ne_u32_e32 vcc, s14, v23
	v_mov_b32_e32 v34, 0x7f800001
	s_and_saveexec_b64 s[10:11], vcc
	s_cbranch_execz .LBB627_79
; %bb.78:                               ;   in Loop: Header=BB627_15 Depth=1
	v_and_b32_e32 v34, 7, v30
	v_ffbh_u32_e32 v36, v34
	v_min_u32_e32 v39, 32, v36
	v_subrev_u32_e32 v36, 28, v39
	v_lshlrev_b64 v[36:37], v36, v[30:31]
	v_lshrrev_b32_e32 v38, 3, v23
	v_sub_u32_e32 v37, 29, v39
	v_and_b32_e32 v36, 7, v36
	v_cmp_gt_u32_e32 vcc, 8, v23
	v_cndmask_b32_e32 v23, v38, v37, vcc
	v_cndmask_b32_e32 v34, v34, v36, vcc
	v_lshlrev_b32_e32 v30, 24, v30
	v_lshlrev_b32_e32 v34, 20, v34
	v_and_b32_e32 v30, 0x80000000, v30
	v_lshl_add_u32 v23, v23, 23, v33
	v_or3_b32 v34, v30, v23, v34
.LBB627_79:                             ;   in Loop: Header=BB627_15 Depth=1
	s_or_b64 exec, exec, s[10:11]
.LBB627_80:                             ;   in Loop: Header=BB627_15 Depth=1
	s_or_b64 exec, exec, s[6:7]
.LBB627_81:                             ;   in Loop: Header=BB627_15 Depth=1
	s_or_b64 exec, exec, s[4:5]
	v_cmp_lt_u32_e32 vcc, s15, v28
	v_mov_b32_e32 v36, 0
	v_mov_b32_e32 v37, 0
	s_and_saveexec_b64 s[4:5], vcc
	s_cbranch_execz .LBB627_87
; %bb.82:                               ;   in Loop: Header=BB627_15 Depth=1
	v_lshrrev_b32_e32 v30, 24, v28
	v_cmp_ne_u32_e32 vcc, s13, v30
	v_bfrev_b32_e32 v37, 1
	s_and_saveexec_b64 s[6:7], vcc
	s_cbranch_execz .LBB627_86
; %bb.83:                               ;   in Loop: Header=BB627_15 Depth=1
	v_bfe_u32 v23, v28, 24, 7
	v_cmp_ne_u32_e32 vcc, s14, v23
	v_mov_b32_e32 v37, 0x7f800001
	s_and_saveexec_b64 s[10:11], vcc
	s_cbranch_execz .LBB627_85
; %bb.84:                               ;   in Loop: Header=BB627_15 Depth=1
	v_and_b32_e32 v28, 7, v30
	v_ffbh_u32_e32 v38, v28
	v_min_u32_e32 v40, 32, v38
	v_subrev_u32_e32 v38, 28, v40
	v_lshlrev_b64 v[38:39], v38, v[30:31]
	v_lshrrev_b32_e32 v37, 3, v23
	v_sub_u32_e32 v39, 29, v40
	v_and_b32_e32 v38, 7, v38
	v_cmp_gt_u32_e32 vcc, 8, v23
	v_cndmask_b32_e32 v23, v37, v39, vcc
	v_cndmask_b32_e32 v28, v28, v38, vcc
	v_lshlrev_b32_e32 v30, 24, v30
	v_lshlrev_b32_e32 v28, 20, v28
	v_and_b32_e32 v30, 0x80000000, v30
	v_lshl_add_u32 v23, v23, 23, v33
	v_or3_b32 v37, v30, v23, v28
.LBB627_85:                             ;   in Loop: Header=BB627_15 Depth=1
	s_or_b64 exec, exec, s[10:11]
.LBB627_86:                             ;   in Loop: Header=BB627_15 Depth=1
	s_or_b64 exec, exec, s[6:7]
.LBB627_87:                             ;   in Loop: Header=BB627_15 Depth=1
	s_or_b64 exec, exec, s[4:5]
	s_waitcnt vmcnt(0)
	v_cmp_ne_u16_sdwa s[6:7], v26, v29 src0_sel:BYTE_0 src1_sel:DWORD
	s_and_saveexec_b64 s[4:5], s[6:7]
	s_cbranch_execz .LBB627_93
; %bb.88:                               ;   in Loop: Header=BB627_15 Depth=1
	v_cmp_ne_u16_sdwa s[10:11], v26, s13 src0_sel:BYTE_0 src1_sel:DWORD
	v_bfrev_b32_e32 v36, 1
	s_and_saveexec_b64 s[6:7], s[10:11]
	s_cbranch_execz .LBB627_92
; %bb.89:                               ;   in Loop: Header=BB627_15 Depth=1
	v_and_b32_e32 v23, 0x7f, v26
	v_cmp_ne_u32_e32 vcc, s14, v23
	v_mov_b32_e32 v36, 0x7f800001
	s_and_saveexec_b64 s[10:11], vcc
	s_cbranch_execz .LBB627_91
; %bb.90:                               ;   in Loop: Header=BB627_15 Depth=1
	v_and_b32_e32 v28, 7, v26
	v_ffbh_u32_e32 v36, v28
	v_min_u32_e32 v36, 32, v36
	v_subrev_u32_e32 v38, 28, v36
	v_lshlrev_b64 v[38:39], v38, v[26:27]
	v_lshrrev_b32_e32 v30, 3, v23
	v_sub_u32_e32 v36, 29, v36
	v_and_b32_e32 v38, 7, v38
	v_cmp_gt_u32_e32 vcc, 8, v23
	v_cndmask_b32_e32 v23, v30, v36, vcc
	v_cndmask_b32_e32 v28, v28, v38, vcc
	v_lshlrev_b32_e32 v30, 24, v26
	v_lshlrev_b32_e32 v28, 20, v28
	v_and_b32_e32 v30, 0x80000000, v30
	v_lshl_add_u32 v23, v23, 23, v33
	v_or3_b32 v36, v30, v23, v28
.LBB627_91:                             ;   in Loop: Header=BB627_15 Depth=1
	s_or_b64 exec, exec, s[10:11]
.LBB627_92:                             ;   in Loop: Header=BB627_15 Depth=1
	s_or_b64 exec, exec, s[6:7]
.LBB627_93:                             ;   in Loop: Header=BB627_15 Depth=1
	s_or_b64 exec, exec, s[4:5]
	v_lshrrev_b16_e32 v28, 8, v26
	v_cmp_ne_u16_e32 vcc, 0, v28
	v_mov_b32_e32 v38, 0
	v_mov_b32_e32 v39, 0
	s_and_saveexec_b64 s[4:5], vcc
	s_cbranch_execz .LBB627_99
; %bb.94:                               ;   in Loop: Header=BB627_15 Depth=1
	v_cmp_ne_u16_e32 vcc, s13, v28
	v_bfrev_b32_e32 v39, 1
	s_and_saveexec_b64 s[6:7], vcc
	s_cbranch_execz .LBB627_98
; %bb.95:                               ;   in Loop: Header=BB627_15 Depth=1
	v_and_b32_e32 v23, 0x7f, v28
	v_cmp_ne_u32_e32 vcc, s14, v23
	v_mov_b32_e32 v39, 0x7f800001
	s_and_saveexec_b64 s[10:11], vcc
	s_cbranch_execz .LBB627_97
; %bb.96:                               ;   in Loop: Header=BB627_15 Depth=1
	v_and_b32_e32 v30, 7, v28
	v_ffbh_u32_e32 v40, v30
	v_min_u32_e32 v42, 32, v40
	v_subrev_u32_e32 v40, 28, v42
	v_lshlrev_b64 v[40:41], v40, v[28:29]
	v_lshrrev_b32_e32 v39, 3, v23
	v_sub_u32_e32 v28, 29, v42
	v_and_b32_e32 v40, 7, v40
	v_cmp_gt_u32_e32 vcc, 8, v23
	v_cndmask_b32_e32 v23, v39, v28, vcc
	v_cndmask_b32_e32 v28, v30, v40, vcc
	v_lshlrev_b32_e32 v30, 16, v26
	v_lshlrev_b32_e32 v28, 20, v28
	v_and_b32_e32 v30, 0x80000000, v30
	v_lshl_add_u32 v23, v23, 23, v33
	v_or3_b32 v39, v30, v23, v28
.LBB627_97:                             ;   in Loop: Header=BB627_15 Depth=1
	s_or_b64 exec, exec, s[10:11]
.LBB627_98:                             ;   in Loop: Header=BB627_15 Depth=1
	s_or_b64 exec, exec, s[6:7]
.LBB627_99:                             ;   in Loop: Header=BB627_15 Depth=1
	s_or_b64 exec, exec, s[4:5]
	v_lshrrev_b32_e32 v28, 16, v26
	v_cmp_ne_u16_sdwa s[6:7], v28, v29 src0_sel:BYTE_0 src1_sel:DWORD
	s_and_saveexec_b64 s[4:5], s[6:7]
	s_cbranch_execz .LBB627_105
; %bb.100:                              ;   in Loop: Header=BB627_15 Depth=1
	v_cmp_ne_u16_sdwa s[10:11], v28, s13 src0_sel:BYTE_0 src1_sel:DWORD
	v_bfrev_b32_e32 v38, 1
	s_and_saveexec_b64 s[6:7], s[10:11]
	s_cbranch_execz .LBB627_104
; %bb.101:                              ;   in Loop: Header=BB627_15 Depth=1
	v_bfe_u32 v23, v26, 16, 7
	v_cmp_ne_u32_e32 vcc, s14, v23
	v_mov_b32_e32 v38, 0x7f800001
	s_and_saveexec_b64 s[10:11], vcc
	s_cbranch_execz .LBB627_103
; %bb.102:                              ;   in Loop: Header=BB627_15 Depth=1
	v_and_b32_e32 v30, 7, v28
	v_ffbh_u32_e32 v40, v30
	v_min_u32_e32 v42, 32, v40
	v_subrev_u32_e32 v40, 28, v42
	v_lshlrev_b64 v[40:41], v40, v[28:29]
	v_lshrrev_b32_e32 v38, 3, v23
	v_sub_u32_e32 v41, 29, v42
	v_and_b32_e32 v40, 7, v40
	v_cmp_gt_u32_e32 vcc, 8, v23
	v_cndmask_b32_e32 v23, v38, v41, vcc
	v_cndmask_b32_e32 v30, v30, v40, vcc
	v_lshlrev_b32_e32 v28, 24, v28
	v_lshlrev_b32_e32 v30, 20, v30
	v_and_b32_e32 v28, 0x80000000, v28
	v_lshl_add_u32 v23, v23, 23, v33
	v_or3_b32 v38, v28, v23, v30
.LBB627_103:                            ;   in Loop: Header=BB627_15 Depth=1
	s_or_b64 exec, exec, s[10:11]
.LBB627_104:                            ;   in Loop: Header=BB627_15 Depth=1
	s_or_b64 exec, exec, s[6:7]
.LBB627_105:                            ;   in Loop: Header=BB627_15 Depth=1
	s_or_b64 exec, exec, s[4:5]
	v_cmp_lt_u32_e32 vcc, s15, v26
	v_mov_b32_e32 v23, 0
	v_mov_b32_e32 v40, 0
	s_and_saveexec_b64 s[4:5], vcc
	s_cbranch_execz .LBB627_111
; %bb.106:                              ;   in Loop: Header=BB627_15 Depth=1
	v_lshrrev_b32_e32 v28, 24, v26
	v_cmp_ne_u32_e32 vcc, s13, v28
	v_bfrev_b32_e32 v40, 1
	s_and_saveexec_b64 s[6:7], vcc
	s_cbranch_execz .LBB627_110
; %bb.107:                              ;   in Loop: Header=BB627_15 Depth=1
	v_bfe_u32 v26, v26, 24, 7
	v_cmp_ne_u32_e32 vcc, s14, v26
	v_mov_b32_e32 v40, 0x7f800001
	s_and_saveexec_b64 s[10:11], vcc
	s_cbranch_execz .LBB627_109
; %bb.108:                              ;   in Loop: Header=BB627_15 Depth=1
	v_and_b32_e32 v30, 7, v28
	v_ffbh_u32_e32 v40, v30
	v_min_u32_e32 v43, 32, v40
	v_subrev_u32_e32 v40, 28, v43
	v_lshlrev_b64 v[40:41], v40, v[28:29]
	v_lshrrev_b32_e32 v42, 3, v26
	v_sub_u32_e32 v41, 29, v43
	v_and_b32_e32 v40, 7, v40
	v_cmp_gt_u32_e32 vcc, 8, v26
	v_cndmask_b32_e32 v26, v42, v41, vcc
	v_cndmask_b32_e32 v30, v30, v40, vcc
	v_lshlrev_b32_e32 v28, 24, v28
	v_lshlrev_b32_e32 v30, 20, v30
	v_and_b32_e32 v28, 0x80000000, v28
	v_lshl_add_u32 v26, v26, 23, v33
	v_or3_b32 v40, v28, v26, v30
.LBB627_109:                            ;   in Loop: Header=BB627_15 Depth=1
	s_or_b64 exec, exec, s[10:11]
.LBB627_110:                            ;   in Loop: Header=BB627_15 Depth=1
	s_or_b64 exec, exec, s[6:7]
.LBB627_111:                            ;   in Loop: Header=BB627_15 Depth=1
	s_or_b64 exec, exec, s[4:5]
	v_cvt_pkrtz_f16_f32 v42, v32, v35
	buffer_load_dword v32, v27, s[0:3], 0 offen offset:16
	buffer_load_dword v30, v27, s[0:3], 0 offen offset:20
	;; [unrolled: 1-line block ×4, first 2 shown]
	v_cvt_pkrtz_f16_f32 v43, v34, v37
	v_cvt_pkrtz_f16_f32 v34, v36, v39
	;; [unrolled: 1-line block ×3, first 2 shown]
	v_mfma_f32_16x16x16f16 v[18:21], v[42:43], v[6:7], v[18:21]
	s_waitcnt vmcnt(3)
	v_cmp_ne_u16_sdwa s[6:7], v32, v29 src0_sel:BYTE_0 src1_sel:DWORD
	v_mfma_f32_16x16x16f16 v[18:21], v[34:35], v[8:9], v[18:21]
	s_and_saveexec_b64 s[4:5], s[6:7]
	s_cbranch_execz .LBB627_117
; %bb.112:                              ;   in Loop: Header=BB627_15 Depth=1
	v_cmp_ne_u16_sdwa s[10:11], v32, s13 src0_sel:BYTE_0 src1_sel:DWORD
	v_bfrev_b32_e32 v23, 1
	s_and_saveexec_b64 s[6:7], s[10:11]
	s_cbranch_execz .LBB627_116
; %bb.113:                              ;   in Loop: Header=BB627_15 Depth=1
	v_and_b32_e32 v34, 0x7f, v32
	v_cmp_ne_u32_e32 vcc, s14, v34
	v_mov_b32_e32 v23, 0x7f800001
	s_and_saveexec_b64 s[10:11], vcc
	s_cbranch_execz .LBB627_115
; %bb.114:                              ;   in Loop: Header=BB627_15 Depth=1
	v_and_b32_e32 v23, 7, v32
	v_ffbh_u32_e32 v36, v23
	v_min_u32_e32 v38, 32, v36
	v_subrev_u32_e32 v36, 28, v38
	v_lshlrev_b64 v[36:37], v36, v[32:33]
	v_lshrrev_b32_e32 v35, 3, v34
	v_sub_u32_e32 v37, 29, v38
	v_and_b32_e32 v36, 7, v36
	v_cmp_gt_u32_e32 vcc, 8, v34
	v_cndmask_b32_e32 v34, v35, v37, vcc
	v_cndmask_b32_e32 v23, v23, v36, vcc
	v_lshlrev_b32_e32 v35, 24, v32
	v_lshlrev_b32_e32 v23, 20, v23
	v_and_b32_e32 v35, 0x80000000, v35
	v_lshl_add_u32 v34, v34, 23, v33
	v_or3_b32 v23, v35, v34, v23
.LBB627_115:                            ;   in Loop: Header=BB627_15 Depth=1
	s_or_b64 exec, exec, s[10:11]
.LBB627_116:                            ;   in Loop: Header=BB627_15 Depth=1
	s_or_b64 exec, exec, s[6:7]
.LBB627_117:                            ;   in Loop: Header=BB627_15 Depth=1
	s_or_b64 exec, exec, s[4:5]
	v_lshrrev_b16_e32 v34, 8, v32
	v_cmp_ne_u16_e32 vcc, 0, v34
	v_mov_b32_e32 v35, 0
	v_mov_b32_e32 v36, 0
	s_and_saveexec_b64 s[4:5], vcc
	s_cbranch_execz .LBB627_123
; %bb.118:                              ;   in Loop: Header=BB627_15 Depth=1
	v_cmp_ne_u16_e32 vcc, s13, v34
	v_bfrev_b32_e32 v36, 1
	s_and_saveexec_b64 s[6:7], vcc
	s_cbranch_execz .LBB627_122
; %bb.119:                              ;   in Loop: Header=BB627_15 Depth=1
	v_and_b32_e32 v37, 0x7f, v34
	v_cmp_ne_u32_e32 vcc, s14, v37
	v_mov_b32_e32 v36, 0x7f800001
	s_and_saveexec_b64 s[10:11], vcc
	s_cbranch_execz .LBB627_121
; %bb.120:                              ;   in Loop: Header=BB627_15 Depth=1
	v_and_b32_e32 v36, 7, v34
	v_ffbh_u32_e32 v38, v36
	v_min_u32_e32 v41, 32, v38
	v_subrev_u32_e32 v38, 28, v41
	v_lshlrev_b64 v[38:39], v38, v[34:35]
	v_lshrrev_b32_e32 v40, 3, v37
	v_sub_u32_e32 v34, 29, v41
	v_and_b32_e32 v38, 7, v38
	v_cmp_gt_u32_e32 vcc, 8, v37
	v_cndmask_b32_e32 v34, v40, v34, vcc
	v_cndmask_b32_e32 v36, v36, v38, vcc
	v_lshlrev_b32_e32 v37, 16, v32
	v_lshlrev_b32_e32 v36, 20, v36
	v_and_b32_e32 v37, 0x80000000, v37
	v_lshl_add_u32 v34, v34, 23, v33
	v_or3_b32 v36, v37, v34, v36
.LBB627_121:                            ;   in Loop: Header=BB627_15 Depth=1
	s_or_b64 exec, exec, s[10:11]
.LBB627_122:                            ;   in Loop: Header=BB627_15 Depth=1
	s_or_b64 exec, exec, s[6:7]
.LBB627_123:                            ;   in Loop: Header=BB627_15 Depth=1
	s_or_b64 exec, exec, s[4:5]
	v_lshrrev_b32_e32 v34, 16, v32
	v_cmp_ne_u16_sdwa s[6:7], v34, v29 src0_sel:BYTE_0 src1_sel:DWORD
	s_and_saveexec_b64 s[4:5], s[6:7]
	s_cbranch_execz .LBB627_129
; %bb.124:                              ;   in Loop: Header=BB627_15 Depth=1
	v_cmp_ne_u16_sdwa s[10:11], v34, s13 src0_sel:BYTE_0 src1_sel:DWORD
	v_bfrev_b32_e32 v35, 1
	s_and_saveexec_b64 s[6:7], s[10:11]
	s_cbranch_execz .LBB627_128
; %bb.125:                              ;   in Loop: Header=BB627_15 Depth=1
	v_bfe_u32 v37, v32, 16, 7
	v_cmp_ne_u32_e32 vcc, s14, v37
	v_mov_b32_e32 v35, 0x7f800001
	s_and_saveexec_b64 s[10:11], vcc
	s_cbranch_execz .LBB627_127
; %bb.126:                              ;   in Loop: Header=BB627_15 Depth=1
	v_and_b32_e32 v35, 7, v34
	v_ffbh_u32_e32 v38, v35
	v_min_u32_e32 v41, 32, v38
	v_subrev_u32_e32 v38, 28, v41
	v_lshlrev_b64 v[38:39], v38, v[34:35]
	v_lshrrev_b32_e32 v40, 3, v37
	v_sub_u32_e32 v39, 29, v41
	v_and_b32_e32 v38, 7, v38
	v_cmp_gt_u32_e32 vcc, 8, v37
	v_cndmask_b32_e32 v37, v40, v39, vcc
	v_cndmask_b32_e32 v35, v35, v38, vcc
	v_lshlrev_b32_e32 v34, 24, v34
	v_lshlrev_b32_e32 v35, 20, v35
	v_and_b32_e32 v34, 0x80000000, v34
	v_lshl_add_u32 v37, v37, 23, v33
	v_or3_b32 v35, v34, v37, v35
.LBB627_127:                            ;   in Loop: Header=BB627_15 Depth=1
	s_or_b64 exec, exec, s[10:11]
.LBB627_128:                            ;   in Loop: Header=BB627_15 Depth=1
	s_or_b64 exec, exec, s[6:7]
.LBB627_129:                            ;   in Loop: Header=BB627_15 Depth=1
	s_or_b64 exec, exec, s[4:5]
	v_cmp_lt_u32_e32 vcc, s15, v32
	v_mov_b32_e32 v37, 0
	v_mov_b32_e32 v38, 0
	s_and_saveexec_b64 s[4:5], vcc
	s_cbranch_execz .LBB627_135
; %bb.130:                              ;   in Loop: Header=BB627_15 Depth=1
	v_lshrrev_b32_e32 v34, 24, v32
	v_cmp_ne_u32_e32 vcc, s13, v34
	v_bfrev_b32_e32 v38, 1
	s_and_saveexec_b64 s[6:7], vcc
	s_cbranch_execz .LBB627_134
; %bb.131:                              ;   in Loop: Header=BB627_15 Depth=1
	v_bfe_u32 v32, v32, 24, 7
	v_cmp_ne_u32_e32 vcc, s14, v32
	v_mov_b32_e32 v38, 0x7f800001
	s_and_saveexec_b64 s[10:11], vcc
	s_cbranch_execz .LBB627_133
; %bb.132:                              ;   in Loop: Header=BB627_15 Depth=1
	v_and_b32_e32 v40, 7, v34
	v_ffbh_u32_e32 v38, v40
	v_min_u32_e32 v42, 32, v38
	v_subrev_u32_e32 v38, 28, v42
	v_lshlrev_b64 v[38:39], v38, v[34:35]
	v_lshrrev_b32_e32 v41, 3, v32
	v_sub_u32_e32 v39, 29, v42
	v_and_b32_e32 v38, 7, v38
	v_cmp_gt_u32_e32 vcc, 8, v32
	v_cndmask_b32_e32 v32, v41, v39, vcc
	v_cndmask_b32_e32 v38, v40, v38, vcc
	v_lshlrev_b32_e32 v34, 24, v34
	v_lshlrev_b32_e32 v38, 20, v38
	v_and_b32_e32 v34, 0x80000000, v34
	v_lshl_add_u32 v32, v32, 23, v33
	v_or3_b32 v38, v34, v32, v38
.LBB627_133:                            ;   in Loop: Header=BB627_15 Depth=1
	s_or_b64 exec, exec, s[10:11]
.LBB627_134:                            ;   in Loop: Header=BB627_15 Depth=1
	s_or_b64 exec, exec, s[6:7]
.LBB627_135:                            ;   in Loop: Header=BB627_15 Depth=1
	s_or_b64 exec, exec, s[4:5]
	s_waitcnt vmcnt(2)
	v_cmp_ne_u16_sdwa s[6:7], v30, v29 src0_sel:BYTE_0 src1_sel:DWORD
	s_and_saveexec_b64 s[4:5], s[6:7]
	s_cbranch_execz .LBB627_141
; %bb.136:                              ;   in Loop: Header=BB627_15 Depth=1
	v_cmp_ne_u16_sdwa s[10:11], v30, s13 src0_sel:BYTE_0 src1_sel:DWORD
	v_bfrev_b32_e32 v37, 1
	s_and_saveexec_b64 s[6:7], s[10:11]
	s_cbranch_execz .LBB627_140
; %bb.137:                              ;   in Loop: Header=BB627_15 Depth=1
	v_and_b32_e32 v32, 0x7f, v30
	v_cmp_ne_u32_e32 vcc, s14, v32
	v_mov_b32_e32 v37, 0x7f800001
	s_and_saveexec_b64 s[10:11], vcc
	s_cbranch_execz .LBB627_139
; %bb.138:                              ;   in Loop: Header=BB627_15 Depth=1
	v_and_b32_e32 v34, 7, v30
	v_ffbh_u32_e32 v39, v34
	v_min_u32_e32 v39, 32, v39
	v_subrev_u32_e32 v40, 28, v39
	v_lshlrev_b64 v[40:41], v40, v[30:31]
	v_lshrrev_b32_e32 v37, 3, v32
	v_sub_u32_e32 v39, 29, v39
	v_and_b32_e32 v40, 7, v40
	v_cmp_gt_u32_e32 vcc, 8, v32
	v_cndmask_b32_e32 v32, v37, v39, vcc
	v_cndmask_b32_e32 v34, v34, v40, vcc
	v_lshlrev_b32_e32 v37, 24, v30
	v_lshlrev_b32_e32 v34, 20, v34
	v_and_b32_e32 v37, 0x80000000, v37
	v_lshl_add_u32 v32, v32, 23, v33
	v_or3_b32 v37, v37, v32, v34
.LBB627_139:                            ;   in Loop: Header=BB627_15 Depth=1
	s_or_b64 exec, exec, s[10:11]
.LBB627_140:                            ;   in Loop: Header=BB627_15 Depth=1
	s_or_b64 exec, exec, s[6:7]
.LBB627_141:                            ;   in Loop: Header=BB627_15 Depth=1
	s_or_b64 exec, exec, s[4:5]
	v_lshrrev_b16_e32 v32, 8, v30
	v_cmp_ne_u16_e32 vcc, 0, v32
	v_mov_b32_e32 v39, 0
	v_mov_b32_e32 v40, 0
	s_and_saveexec_b64 s[4:5], vcc
	s_cbranch_execz .LBB627_147
; %bb.142:                              ;   in Loop: Header=BB627_15 Depth=1
	v_cmp_ne_u16_e32 vcc, s13, v32
	v_bfrev_b32_e32 v40, 1
	s_and_saveexec_b64 s[6:7], vcc
	s_cbranch_execz .LBB627_146
; %bb.143:                              ;   in Loop: Header=BB627_15 Depth=1
	v_and_b32_e32 v34, 0x7f, v32
	v_cmp_ne_u32_e32 vcc, s14, v34
	v_mov_b32_e32 v40, 0x7f800001
	s_and_saveexec_b64 s[10:11], vcc
	s_cbranch_execz .LBB627_145
; %bb.144:                              ;   in Loop: Header=BB627_15 Depth=1
	v_and_b32_e32 v42, 7, v32
	v_ffbh_u32_e32 v40, v42
	v_min_u32_e32 v44, 32, v40
	v_subrev_u32_e32 v40, 28, v44
	v_lshlrev_b64 v[40:41], v40, v[32:33]
	v_lshrrev_b32_e32 v43, 3, v34
	v_sub_u32_e32 v32, 29, v44
	v_and_b32_e32 v40, 7, v40
	v_cmp_gt_u32_e32 vcc, 8, v34
	v_cndmask_b32_e32 v32, v43, v32, vcc
	v_cndmask_b32_e32 v34, v42, v40, vcc
	v_lshlrev_b32_e32 v40, 16, v30
	v_lshlrev_b32_e32 v34, 20, v34
	v_and_b32_e32 v40, 0x80000000, v40
	v_lshl_add_u32 v32, v32, 23, v33
	v_or3_b32 v40, v40, v32, v34
.LBB627_145:                            ;   in Loop: Header=BB627_15 Depth=1
	s_or_b64 exec, exec, s[10:11]
.LBB627_146:                            ;   in Loop: Header=BB627_15 Depth=1
	s_or_b64 exec, exec, s[6:7]
.LBB627_147:                            ;   in Loop: Header=BB627_15 Depth=1
	s_or_b64 exec, exec, s[4:5]
	v_lshrrev_b32_e32 v32, 16, v30
	v_cmp_ne_u16_sdwa s[6:7], v32, v29 src0_sel:BYTE_0 src1_sel:DWORD
	s_and_saveexec_b64 s[4:5], s[6:7]
	s_cbranch_execz .LBB627_153
; %bb.148:                              ;   in Loop: Header=BB627_15 Depth=1
	v_cmp_ne_u16_sdwa s[10:11], v32, s13 src0_sel:BYTE_0 src1_sel:DWORD
	v_bfrev_b32_e32 v39, 1
	s_and_saveexec_b64 s[6:7], s[10:11]
	s_cbranch_execz .LBB627_152
; %bb.149:                              ;   in Loop: Header=BB627_15 Depth=1
	v_bfe_u32 v34, v30, 16, 7
	v_cmp_ne_u32_e32 vcc, s14, v34
	v_mov_b32_e32 v39, 0x7f800001
	s_and_saveexec_b64 s[10:11], vcc
	s_cbranch_execz .LBB627_151
; %bb.150:                              ;   in Loop: Header=BB627_15 Depth=1
	v_and_b32_e32 v39, 7, v32
	v_ffbh_u32_e32 v42, v39
	v_min_u32_e32 v44, 32, v42
	v_subrev_u32_e32 v42, 28, v44
	v_lshlrev_b64 v[42:43], v42, v[32:33]
	v_lshrrev_b32_e32 v41, 3, v34
	v_sub_u32_e32 v43, 29, v44
	v_and_b32_e32 v42, 7, v42
	v_cmp_gt_u32_e32 vcc, 8, v34
	v_cndmask_b32_e32 v34, v41, v43, vcc
	v_cndmask_b32_e32 v39, v39, v42, vcc
	v_lshlrev_b32_e32 v32, 24, v32
	v_lshlrev_b32_e32 v39, 20, v39
	v_and_b32_e32 v32, 0x80000000, v32
	v_lshl_add_u32 v34, v34, 23, v33
	v_or3_b32 v39, v32, v34, v39
.LBB627_151:                            ;   in Loop: Header=BB627_15 Depth=1
	s_or_b64 exec, exec, s[10:11]
.LBB627_152:                            ;   in Loop: Header=BB627_15 Depth=1
	s_or_b64 exec, exec, s[6:7]
.LBB627_153:                            ;   in Loop: Header=BB627_15 Depth=1
	s_or_b64 exec, exec, s[4:5]
	v_cmp_lt_u32_e32 vcc, s15, v30
	v_mov_b32_e32 v34, 0
	v_mov_b32_e32 v41, 0
	s_and_saveexec_b64 s[4:5], vcc
	s_cbranch_execz .LBB627_159
; %bb.154:                              ;   in Loop: Header=BB627_15 Depth=1
	v_lshrrev_b32_e32 v32, 24, v30
	v_cmp_ne_u32_e32 vcc, s13, v32
	v_bfrev_b32_e32 v41, 1
	s_and_saveexec_b64 s[6:7], vcc
	s_cbranch_execz .LBB627_158
; %bb.155:                              ;   in Loop: Header=BB627_15 Depth=1
	v_bfe_u32 v30, v30, 24, 7
	v_cmp_ne_u32_e32 vcc, s14, v30
	v_mov_b32_e32 v41, 0x7f800001
	s_and_saveexec_b64 s[10:11], vcc
	s_cbranch_execz .LBB627_157
; %bb.156:                              ;   in Loop: Header=BB627_15 Depth=1
	v_and_b32_e32 v41, 7, v32
	v_ffbh_u32_e32 v42, v41
	v_min_u32_e32 v45, 32, v42
	v_subrev_u32_e32 v42, 28, v45
	v_lshlrev_b64 v[42:43], v42, v[32:33]
	v_lshrrev_b32_e32 v44, 3, v30
	v_sub_u32_e32 v43, 29, v45
	v_and_b32_e32 v42, 7, v42
	v_cmp_gt_u32_e32 vcc, 8, v30
	v_cndmask_b32_e32 v30, v44, v43, vcc
	v_cndmask_b32_e32 v41, v41, v42, vcc
	v_lshlrev_b32_e32 v32, 24, v32
	v_lshlrev_b32_e32 v41, 20, v41
	v_and_b32_e32 v32, 0x80000000, v32
	v_lshl_add_u32 v30, v30, 23, v33
	v_or3_b32 v41, v32, v30, v41
.LBB627_157:                            ;   in Loop: Header=BB627_15 Depth=1
	s_or_b64 exec, exec, s[10:11]
.LBB627_158:                            ;   in Loop: Header=BB627_15 Depth=1
	s_or_b64 exec, exec, s[6:7]
.LBB627_159:                            ;   in Loop: Header=BB627_15 Depth=1
	s_or_b64 exec, exec, s[4:5]
	v_cvt_pkrtz_f16_f32 v42, v23, v36
	v_cvt_pkrtz_f16_f32 v43, v35, v38
	;; [unrolled: 1-line block ×4, first 2 shown]
	s_waitcnt vmcnt(1)
	v_cmp_ne_u16_sdwa s[6:7], v28, v29 src0_sel:BYTE_0 src1_sel:DWORD
	v_mfma_f32_16x16x16f16 v[18:21], v[42:43], v[10:11], v[18:21]
	v_mfma_f32_16x16x16f16 v[18:21], v[36:37], v[12:13], v[18:21]
	s_and_saveexec_b64 s[4:5], s[6:7]
	s_cbranch_execz .LBB627_165
; %bb.160:                              ;   in Loop: Header=BB627_15 Depth=1
	v_cmp_ne_u16_sdwa s[10:11], v28, s13 src0_sel:BYTE_0 src1_sel:DWORD
	v_bfrev_b32_e32 v34, 1
	s_and_saveexec_b64 s[6:7], s[10:11]
	s_cbranch_execz .LBB627_164
; %bb.161:                              ;   in Loop: Header=BB627_15 Depth=1
	v_and_b32_e32 v23, 0x7f, v28
	v_cmp_ne_u32_e32 vcc, s14, v23
	v_mov_b32_e32 v34, 0x7f800001
	s_and_saveexec_b64 s[10:11], vcc
	s_cbranch_execz .LBB627_163
; %bb.162:                              ;   in Loop: Header=BB627_15 Depth=1
	v_and_b32_e32 v30, 7, v28
	v_ffbh_u32_e32 v34, v30
	v_min_u32_e32 v36, 32, v34
	v_subrev_u32_e32 v34, 28, v36
	v_lshlrev_b64 v[34:35], v34, v[28:29]
	v_lshrrev_b32_e32 v32, 3, v23
	v_sub_u32_e32 v35, 29, v36
	v_and_b32_e32 v34, 7, v34
	v_cmp_gt_u32_e32 vcc, 8, v23
	v_cndmask_b32_e32 v23, v32, v35, vcc
	v_cndmask_b32_e32 v30, v30, v34, vcc
	v_lshlrev_b32_e32 v32, 24, v28
	v_lshlrev_b32_e32 v30, 20, v30
	v_and_b32_e32 v32, 0x80000000, v32
	v_lshl_add_u32 v23, v23, 23, v33
	v_or3_b32 v34, v32, v23, v30
.LBB627_163:                            ;   in Loop: Header=BB627_15 Depth=1
	s_or_b64 exec, exec, s[10:11]
.LBB627_164:                            ;   in Loop: Header=BB627_15 Depth=1
	s_or_b64 exec, exec, s[6:7]
.LBB627_165:                            ;   in Loop: Header=BB627_15 Depth=1
	s_or_b64 exec, exec, s[4:5]
	v_lshrrev_b16_e32 v30, 8, v28
	v_cmp_ne_u16_e32 vcc, 0, v30
	v_mov_b32_e32 v23, 0
	v_mov_b32_e32 v32, 0
	s_and_saveexec_b64 s[4:5], vcc
	s_cbranch_execz .LBB627_171
; %bb.166:                              ;   in Loop: Header=BB627_15 Depth=1
	v_cmp_ne_u16_e32 vcc, s13, v30
	v_bfrev_b32_e32 v32, 1
	s_and_saveexec_b64 s[6:7], vcc
	s_cbranch_execz .LBB627_170
; %bb.167:                              ;   in Loop: Header=BB627_15 Depth=1
	v_and_b32_e32 v35, 0x7f, v30
	v_cmp_ne_u32_e32 vcc, s14, v35
	v_mov_b32_e32 v32, 0x7f800001
	s_and_saveexec_b64 s[10:11], vcc
	s_cbranch_execz .LBB627_169
; %bb.168:                              ;   in Loop: Header=BB627_15 Depth=1
	v_and_b32_e32 v32, 7, v30
	v_ffbh_u32_e32 v36, v32
	v_min_u32_e32 v39, 32, v36
	v_subrev_u32_e32 v36, 28, v39
	v_lshlrev_b64 v[36:37], v36, v[30:31]
	v_lshrrev_b32_e32 v38, 3, v35
	v_sub_u32_e32 v30, 29, v39
	v_and_b32_e32 v36, 7, v36
	v_cmp_gt_u32_e32 vcc, 8, v35
	v_cndmask_b32_e32 v30, v38, v30, vcc
	v_cndmask_b32_e32 v32, v32, v36, vcc
	v_lshlrev_b32_e32 v35, 16, v28
	v_lshlrev_b32_e32 v32, 20, v32
	v_and_b32_e32 v35, 0x80000000, v35
	v_lshl_add_u32 v30, v30, 23, v33
	v_or3_b32 v32, v35, v30, v32
.LBB627_169:                            ;   in Loop: Header=BB627_15 Depth=1
	s_or_b64 exec, exec, s[10:11]
.LBB627_170:                            ;   in Loop: Header=BB627_15 Depth=1
	s_or_b64 exec, exec, s[6:7]
.LBB627_171:                            ;   in Loop: Header=BB627_15 Depth=1
	s_or_b64 exec, exec, s[4:5]
	v_lshrrev_b32_e32 v30, 16, v28
	v_cmp_ne_u16_sdwa s[6:7], v30, v29 src0_sel:BYTE_0 src1_sel:DWORD
	s_and_saveexec_b64 s[4:5], s[6:7]
	s_cbranch_execz .LBB627_177
; %bb.172:                              ;   in Loop: Header=BB627_15 Depth=1
	v_cmp_ne_u16_sdwa s[10:11], v30, s13 src0_sel:BYTE_0 src1_sel:DWORD
	v_bfrev_b32_e32 v23, 1
	s_and_saveexec_b64 s[6:7], s[10:11]
	s_cbranch_execz .LBB627_176
; %bb.173:                              ;   in Loop: Header=BB627_15 Depth=1
	v_bfe_u32 v35, v28, 16, 7
	v_cmp_ne_u32_e32 vcc, s14, v35
	v_mov_b32_e32 v23, 0x7f800001
	s_and_saveexec_b64 s[10:11], vcc
	s_cbranch_execz .LBB627_175
; %bb.174:                              ;   in Loop: Header=BB627_15 Depth=1
	v_and_b32_e32 v23, 7, v30
	v_ffbh_u32_e32 v36, v23
	v_min_u32_e32 v39, 32, v36
	v_subrev_u32_e32 v36, 28, v39
	v_lshlrev_b64 v[36:37], v36, v[30:31]
	v_lshrrev_b32_e32 v38, 3, v35
	v_sub_u32_e32 v37, 29, v39
	v_and_b32_e32 v36, 7, v36
	v_cmp_gt_u32_e32 vcc, 8, v35
	v_cndmask_b32_e32 v35, v38, v37, vcc
	v_cndmask_b32_e32 v23, v23, v36, vcc
	v_lshlrev_b32_e32 v30, 24, v30
	v_lshlrev_b32_e32 v23, 20, v23
	v_and_b32_e32 v30, 0x80000000, v30
	v_lshl_add_u32 v35, v35, 23, v33
	v_or3_b32 v23, v30, v35, v23
.LBB627_175:                            ;   in Loop: Header=BB627_15 Depth=1
	s_or_b64 exec, exec, s[10:11]
.LBB627_176:                            ;   in Loop: Header=BB627_15 Depth=1
	s_or_b64 exec, exec, s[6:7]
.LBB627_177:                            ;   in Loop: Header=BB627_15 Depth=1
	s_or_b64 exec, exec, s[4:5]
	v_cmp_lt_u32_e32 vcc, s15, v28
	v_mov_b32_e32 v35, 0
	v_mov_b32_e32 v36, 0
	s_and_saveexec_b64 s[4:5], vcc
	s_cbranch_execz .LBB627_183
; %bb.178:                              ;   in Loop: Header=BB627_15 Depth=1
	v_lshrrev_b32_e32 v30, 24, v28
	v_cmp_ne_u32_e32 vcc, s13, v30
	v_bfrev_b32_e32 v36, 1
	s_and_saveexec_b64 s[6:7], vcc
	s_cbranch_execz .LBB627_182
; %bb.179:                              ;   in Loop: Header=BB627_15 Depth=1
	v_bfe_u32 v28, v28, 24, 7
	v_cmp_ne_u32_e32 vcc, s14, v28
	v_mov_b32_e32 v36, 0x7f800001
	s_and_saveexec_b64 s[10:11], vcc
	s_cbranch_execz .LBB627_181
; %bb.180:                              ;   in Loop: Header=BB627_15 Depth=1
	v_and_b32_e32 v38, 7, v30
	v_ffbh_u32_e32 v36, v38
	v_min_u32_e32 v40, 32, v36
	v_subrev_u32_e32 v36, 28, v40
	v_lshlrev_b64 v[36:37], v36, v[30:31]
	v_lshrrev_b32_e32 v39, 3, v28
	v_sub_u32_e32 v37, 29, v40
	v_and_b32_e32 v36, 7, v36
	v_cmp_gt_u32_e32 vcc, 8, v28
	v_cndmask_b32_e32 v28, v39, v37, vcc
	v_cndmask_b32_e32 v36, v38, v36, vcc
	v_lshlrev_b32_e32 v30, 24, v30
	v_lshlrev_b32_e32 v36, 20, v36
	v_and_b32_e32 v30, 0x80000000, v30
	v_lshl_add_u32 v28, v28, 23, v33
	v_or3_b32 v36, v30, v28, v36
.LBB627_181:                            ;   in Loop: Header=BB627_15 Depth=1
	s_or_b64 exec, exec, s[10:11]
.LBB627_182:                            ;   in Loop: Header=BB627_15 Depth=1
	s_or_b64 exec, exec, s[6:7]
.LBB627_183:                            ;   in Loop: Header=BB627_15 Depth=1
	s_or_b64 exec, exec, s[4:5]
	s_waitcnt vmcnt(0)
	v_cmp_ne_u16_sdwa s[6:7], v26, v29 src0_sel:BYTE_0 src1_sel:DWORD
	s_and_saveexec_b64 s[4:5], s[6:7]
	s_cbranch_execz .LBB627_189
; %bb.184:                              ;   in Loop: Header=BB627_15 Depth=1
	v_cmp_ne_u16_sdwa s[10:11], v26, s13 src0_sel:BYTE_0 src1_sel:DWORD
	v_bfrev_b32_e32 v35, 1
	s_and_saveexec_b64 s[6:7], s[10:11]
	s_cbranch_execz .LBB627_188
; %bb.185:                              ;   in Loop: Header=BB627_15 Depth=1
	v_and_b32_e32 v28, 0x7f, v26
	v_cmp_ne_u32_e32 vcc, s14, v28
	v_mov_b32_e32 v35, 0x7f800001
	s_and_saveexec_b64 s[10:11], vcc
	s_cbranch_execz .LBB627_187
; %bb.186:                              ;   in Loop: Header=BB627_15 Depth=1
	v_and_b32_e32 v30, 7, v26
	v_ffbh_u32_e32 v37, v30
	v_min_u32_e32 v37, 32, v37
	v_subrev_u32_e32 v38, 28, v37
	v_lshlrev_b64 v[38:39], v38, v[26:27]
	v_lshrrev_b32_e32 v35, 3, v28
	v_sub_u32_e32 v37, 29, v37
	v_and_b32_e32 v38, 7, v38
	v_cmp_gt_u32_e32 vcc, 8, v28
	v_cndmask_b32_e32 v28, v35, v37, vcc
	v_cndmask_b32_e32 v30, v30, v38, vcc
	v_lshlrev_b32_e32 v35, 24, v26
	v_lshlrev_b32_e32 v30, 20, v30
	v_and_b32_e32 v35, 0x80000000, v35
	v_lshl_add_u32 v28, v28, 23, v33
	v_or3_b32 v35, v35, v28, v30
.LBB627_187:                            ;   in Loop: Header=BB627_15 Depth=1
	s_or_b64 exec, exec, s[10:11]
.LBB627_188:                            ;   in Loop: Header=BB627_15 Depth=1
	s_or_b64 exec, exec, s[6:7]
.LBB627_189:                            ;   in Loop: Header=BB627_15 Depth=1
	s_or_b64 exec, exec, s[4:5]
	v_lshrrev_b16_e32 v28, 8, v26
	v_cmp_ne_u16_e32 vcc, 0, v28
	v_mov_b32_e32 v30, 0
	v_mov_b32_e32 v37, 0
	s_and_saveexec_b64 s[4:5], vcc
	s_cbranch_execz .LBB627_195
; %bb.190:                              ;   in Loop: Header=BB627_15 Depth=1
	v_cmp_ne_u16_e32 vcc, s13, v28
	v_bfrev_b32_e32 v37, 1
	s_and_saveexec_b64 s[6:7], vcc
	s_cbranch_execz .LBB627_194
; %bb.191:                              ;   in Loop: Header=BB627_15 Depth=1
	v_and_b32_e32 v38, 0x7f, v28
	v_cmp_ne_u32_e32 vcc, s14, v38
	v_mov_b32_e32 v37, 0x7f800001
	s_and_saveexec_b64 s[10:11], vcc
	s_cbranch_execz .LBB627_193
; %bb.192:                              ;   in Loop: Header=BB627_15 Depth=1
	v_and_b32_e32 v37, 7, v28
	v_ffbh_u32_e32 v40, v37
	v_min_u32_e32 v42, 32, v40
	v_subrev_u32_e32 v40, 28, v42
	v_lshlrev_b64 v[40:41], v40, v[28:29]
	v_lshrrev_b32_e32 v39, 3, v38
	v_sub_u32_e32 v28, 29, v42
	v_and_b32_e32 v40, 7, v40
	v_cmp_gt_u32_e32 vcc, 8, v38
	v_cndmask_b32_e32 v28, v39, v28, vcc
	v_cndmask_b32_e32 v37, v37, v40, vcc
	v_lshlrev_b32_e32 v38, 16, v26
	v_lshlrev_b32_e32 v37, 20, v37
	v_and_b32_e32 v38, 0x80000000, v38
	v_lshl_add_u32 v28, v28, 23, v33
	v_or3_b32 v37, v38, v28, v37
.LBB627_193:                            ;   in Loop: Header=BB627_15 Depth=1
	s_or_b64 exec, exec, s[10:11]
.LBB627_194:                            ;   in Loop: Header=BB627_15 Depth=1
	s_or_b64 exec, exec, s[6:7]
.LBB627_195:                            ;   in Loop: Header=BB627_15 Depth=1
	s_or_b64 exec, exec, s[4:5]
	v_lshrrev_b32_e32 v28, 16, v26
	v_cmp_ne_u16_sdwa s[6:7], v28, v29 src0_sel:BYTE_0 src1_sel:DWORD
	s_and_saveexec_b64 s[4:5], s[6:7]
	s_cbranch_execz .LBB627_201
; %bb.196:                              ;   in Loop: Header=BB627_15 Depth=1
	v_cmp_ne_u16_sdwa s[10:11], v28, s13 src0_sel:BYTE_0 src1_sel:DWORD
	v_bfrev_b32_e32 v30, 1
	s_and_saveexec_b64 s[6:7], s[10:11]
	s_cbranch_execz .LBB627_200
; %bb.197:                              ;   in Loop: Header=BB627_15 Depth=1
	v_bfe_u32 v38, v26, 16, 7
	v_cmp_ne_u32_e32 vcc, s14, v38
	v_mov_b32_e32 v30, 0x7f800001
	s_and_saveexec_b64 s[10:11], vcc
	s_cbranch_execz .LBB627_199
; %bb.198:                              ;   in Loop: Header=BB627_15 Depth=1
	v_and_b32_e32 v30, 7, v28
	v_ffbh_u32_e32 v40, v30
	v_min_u32_e32 v42, 32, v40
	v_subrev_u32_e32 v40, 28, v42
	v_lshlrev_b64 v[40:41], v40, v[28:29]
	v_lshrrev_b32_e32 v39, 3, v38
	v_sub_u32_e32 v41, 29, v42
	v_and_b32_e32 v40, 7, v40
	v_cmp_gt_u32_e32 vcc, 8, v38
	v_cndmask_b32_e32 v38, v39, v41, vcc
	v_cndmask_b32_e32 v30, v30, v40, vcc
	v_lshlrev_b32_e32 v28, 24, v28
	v_lshlrev_b32_e32 v30, 20, v30
	v_and_b32_e32 v28, 0x80000000, v28
	v_lshl_add_u32 v38, v38, 23, v33
	v_or3_b32 v30, v28, v38, v30
.LBB627_199:                            ;   in Loop: Header=BB627_15 Depth=1
	s_or_b64 exec, exec, s[10:11]
.LBB627_200:                            ;   in Loop: Header=BB627_15 Depth=1
	s_or_b64 exec, exec, s[6:7]
.LBB627_201:                            ;   in Loop: Header=BB627_15 Depth=1
	s_or_b64 exec, exec, s[4:5]
	v_cmp_lt_u32_e32 vcc, s15, v26
	v_mov_b32_e32 v38, 0
	s_and_saveexec_b64 s[4:5], vcc
	s_cbranch_execz .LBB627_14
; %bb.202:                              ;   in Loop: Header=BB627_15 Depth=1
	v_lshrrev_b32_e32 v28, 24, v26
	v_cmp_ne_u32_e32 vcc, s13, v28
	v_bfrev_b32_e32 v38, 1
	s_and_saveexec_b64 s[6:7], vcc
	s_cbranch_execz .LBB627_13
; %bb.203:                              ;   in Loop: Header=BB627_15 Depth=1
	v_bfe_u32 v26, v26, 24, 7
	v_cmp_ne_u32_e32 vcc, s14, v26
	v_mov_b32_e32 v38, 0x7f800001
	s_and_saveexec_b64 s[10:11], vcc
	s_cbranch_execz .LBB627_12
; %bb.204:                              ;   in Loop: Header=BB627_15 Depth=1
	v_and_b32_e32 v40, 7, v28
	v_ffbh_u32_e32 v38, v40
	v_min_u32_e32 v42, 32, v38
	v_subrev_u32_e32 v38, 28, v42
	v_lshlrev_b64 v[38:39], v38, v[28:29]
	v_lshrrev_b32_e32 v41, 3, v26
	v_sub_u32_e32 v39, 29, v42
	v_and_b32_e32 v38, 7, v38
	v_cmp_gt_u32_e32 vcc, 8, v26
	v_cndmask_b32_e32 v26, v41, v39, vcc
	v_cndmask_b32_e32 v38, v40, v38, vcc
	v_lshlrev_b32_e32 v28, 24, v28
	v_lshlrev_b32_e32 v38, 20, v38
	v_and_b32_e32 v28, 0x80000000, v28
	v_lshl_add_u32 v26, v26, 23, v33
	v_or3_b32 v38, v28, v26, v38
	s_branch .LBB627_12
.LBB627_205:
	buffer_load_dword v13, off, s[0:3], 0 offset:256
	buffer_load_dword v14, off, s[0:3], 0 offset:260
	;; [unrolled: 1-line block ×16, first 2 shown]
	v_and_b32_e32 v12, 0xc0, v0
	v_add_u32_e32 v12, s20, v12
	v_lshl_or_b32 v12, v1, 2, v12
	v_or_b32_e32 v23, 1, v12
	v_mov_b32_e32 v19, 0xff7fffff
	v_or_b32_e32 v24, 2, v12
	v_or_b32_e32 v25, 3, v12
	v_cmp_gt_i32_e64 s[26:27], s33, v12
	v_cmp_gt_i32_e64 s[28:29], s33, v23
	s_mov_b32 s52, 0xff7fffff
	v_or_b32_e32 v26, 16, v12
	v_or_b32_e32 v27, 17, v12
	;; [unrolled: 1-line block ×12, first 2 shown]
	v_cmp_gt_i32_e64 s[30:31], s33, v24
	v_cmp_gt_i32_e64 s[34:35], s33, v25
	v_mbcnt_lo_u32_b32 v20, -1, 0
	v_cmp_gt_i32_e64 s[36:37], s33, v26
	v_cmp_gt_i32_e64 s[38:39], s33, v27
	v_mbcnt_hi_u32_b32 v20, -1, v20
	v_cmp_gt_i32_e64 s[20:21], s33, v28
	v_cmp_gt_i32_e64 s[22:23], s33, v29
	v_and_b32_e32 v21, 64, v20
	v_cmp_gt_i32_e64 s[16:17], s33, v30
	v_cmp_gt_i32_e64 s[18:19], s33, v31
	v_xor_b32_e32 v22, 32, v20
	v_add_u32_e32 v21, 64, v21
	v_cmp_gt_i32_e64 s[12:13], s33, v32
	v_cmp_gt_i32_e64 s[14:15], s33, v33
	v_cmp_lt_i32_e32 vcc, v22, v21
	v_cmp_gt_i32_e64 s[6:7], s33, v34
	v_cmp_gt_i32_e64 s[10:11], s33, v35
	v_cndmask_b32_e32 v22, v20, v22, vcc
	v_cmp_gt_i32_e32 vcc, s33, v36
	v_cmp_gt_i32_e64 s[4:5], s33, v37
	v_lshlrev_b32_e32 v22, 2, v22
	s_waitcnt vmcnt(15)
	v_cndmask_b32_e64 v12, v19, v13, s[26:27]
	s_waitcnt vmcnt(14)
	v_cndmask_b32_e64 v23, v19, v14, s[28:29]
	;; [unrolled: 2-line block ×4, first 2 shown]
	v_max3_f32 v12, v12, s52, v23
	s_waitcnt vmcnt(11)
	v_cndmask_b32_e64 v26, v19, v17, s[36:37]
	s_waitcnt vmcnt(10)
	v_cndmask_b32_e64 v27, v19, v18, s[38:39]
	v_max3_f32 v12, v12, v24, v25
	s_waitcnt vmcnt(9)
	v_cndmask_b32_e64 v28, v19, v11, s[20:21]
	s_waitcnt vmcnt(8)
	v_cndmask_b32_e64 v29, v19, v10, s[22:23]
	;; [unrolled: 5-line block ×5, first 2 shown]
	v_max3_f32 v12, v12, v32, v33
	s_waitcnt vmcnt(1)
	v_cndmask_b32_e32 v36, v19, v3, vcc
	s_waitcnt vmcnt(0)
	v_cndmask_b32_e64 v19, v19, v2, s[4:5]
	v_max3_f32 v12, v12, v34, v35
	v_max3_f32 v12, v12, v36, v19
	ds_bpermute_b32 v19, v22, v12
	v_xor_b32_e32 v23, 16, v20
	v_cmp_lt_i32_e64 s[40:41], v23, v21
	v_cndmask_b32_e64 v20, v20, v23, s[40:41]
	v_lshlrev_b32_e32 v20, 2, v20
	s_waitcnt lgkmcnt(0)
	v_max_f32_e32 v19, v19, v19
	v_max_f32_e32 v12, v12, v19
	ds_bpermute_b32 v19, v20, v12
	s_waitcnt lgkmcnt(0)
	v_max_f32_e32 v19, v19, v19
	v_max_f32_e32 v12, v12, v19
	v_sub_f32_e32 v13, v13, v12
	v_sub_f32_e32 v14, v14, v12
	v_sub_f32_e32 v15, v15, v12
	v_mul_f32_e32 v13, 0x3fb8aa3b, v13
	v_mul_f32_e32 v14, 0x3fb8aa3b, v14
	;; [unrolled: 1-line block ×3, first 2 shown]
	v_exp_f32_e32 v13, v13
	v_exp_f32_e32 v14, v14
	v_exp_f32_e32 v15, v15
	v_sub_f32_e32 v16, v16, v12
	v_cndmask_b32_e64 v13, 0, v13, s[26:27]
	v_mul_f32_e32 v16, 0x3fb8aa3b, v16
	v_cndmask_b32_e64 v14, 0, v14, s[28:29]
	v_cndmask_b32_e64 v15, 0, v15, s[30:31]
	v_add_f32_e32 v19, 0, v13
	buffer_store_dword v13, off, s[0:3], 0 offset:256
	buffer_store_dword v14, off, s[0:3], 0 offset:260
	;; [unrolled: 1-line block ×3, first 2 shown]
	v_sub_f32_e32 v13, v17, v12
	v_exp_f32_e32 v16, v16
	v_add_f32_e32 v19, v19, v14
	v_mul_f32_e32 v13, 0x3fb8aa3b, v13
	v_sub_f32_e32 v14, v18, v12
	v_exp_f32_e32 v13, v13
	v_mul_f32_e32 v14, 0x3fb8aa3b, v14
	v_sub_f32_e32 v11, v11, v12
	v_exp_f32_e32 v14, v14
	;; [unrolled: 3-line block ×3, first 2 shown]
	v_mul_f32_e32 v10, 0x3fb8aa3b, v10
	v_sub_f32_e32 v9, v9, v12
	v_cndmask_b32_e64 v16, 0, v16, s[34:35]
	v_add_f32_e32 v19, v19, v15
	v_exp_f32_e32 v10, v10
	v_mul_f32_e32 v9, 0x3fb8aa3b, v9
	v_sub_f32_e32 v8, v8, v12
	v_add_f32_e32 v19, v19, v16
	v_cndmask_b32_e64 v13, 0, v13, s[36:37]
	v_exp_f32_e32 v9, v9
	v_mul_f32_e32 v8, 0x3fb8aa3b, v8
	v_sub_f32_e32 v7, v7, v12
	v_add_f32_e32 v15, v19, v13
	v_cndmask_b32_e64 v14, 0, v14, s[38:39]
	;; [unrolled: 5-line block ×5, first 2 shown]
	v_exp_f32_e32 v5, v5
	v_mul_f32_e32 v4, 0x3fb8aa3b, v4
	v_sub_f32_e32 v3, v3, v12
	buffer_store_dword v16, off, s[0:3], 0 offset:268
	buffer_store_dword v13, off, s[0:3], 0 offset:272
	;; [unrolled: 1-line block ×5, first 2 shown]
	v_add_f32_e32 v10, v15, v9
	v_cndmask_b32_e64 v8, 0, v8, s[18:19]
	v_exp_f32_e32 v4, v4
	v_mul_f32_e32 v3, 0x3fb8aa3b, v3
	v_sub_f32_e32 v2, v2, v12
	v_add_f32_e32 v10, v10, v8
	v_cndmask_b32_e64 v7, 0, v7, s[12:13]
	v_exp_f32_e32 v3, v3
	v_mul_f32_e32 v2, 0x3fb8aa3b, v2
	v_add_f32_e32 v10, v10, v7
	v_cndmask_b32_e64 v6, 0, v6, s[14:15]
	v_exp_f32_e32 v2, v2
	v_add_f32_e32 v10, v10, v6
	v_cndmask_b32_e64 v5, 0, v5, s[6:7]
	buffer_store_dword v9, off, s[0:3], 0 offset:288
	buffer_store_dword v8, off, s[0:3], 0 offset:292
	;; [unrolled: 1-line block ×4, first 2 shown]
	v_add_f32_e32 v6, v10, v5
	v_cndmask_b32_e64 v4, 0, v4, s[10:11]
	v_add_f32_e32 v6, v6, v4
	v_cndmask_b32_e32 v3, 0, v3, vcc
	v_add_f32_e32 v6, v6, v3
	v_cndmask_b32_e64 v2, 0, v2, s[4:5]
	v_add_f32_e32 v6, v6, v2
	ds_bpermute_b32 v7, v22, v6
	buffer_store_dword v5, off, s[0:3], 0 offset:304
	buffer_store_dword v4, off, s[0:3], 0 offset:308
	;; [unrolled: 1-line block ×4, first 2 shown]
	v_cmp_gt_u32_e32 vcc, 16, v62
	s_waitcnt lgkmcnt(0)
	s_barrier
	v_add_f32_e32 v2, v6, v7
	ds_bpermute_b32 v3, v20, v2
	s_waitcnt lgkmcnt(0)
	s_and_saveexec_b64 s[4:5], vcc
	s_cbranch_execz .LBB627_207
; %bb.206:
	v_add_f32_e32 v2, v2, v3
	v_lshlrev_b32_e32 v3, 2, v61
	ds_write2st64_b32 v3, v12, v2 offset1:1
.LBB627_207:
	s_or_b64 exec, exec, s[4:5]
	v_lshlrev_b32_e32 v2, 2, v55
	s_waitcnt lgkmcnt(0)
	s_barrier
	ds_read2_b32 v[12:13], v2 offset1:16
	ds_read2_b32 v[14:15], v2 offset0:32 offset1:48
	ds_read2_b32 v[6:7], v2 offset0:64 offset1:80
	;; [unrolled: 1-line block ×3, first 2 shown]
	s_waitcnt lgkmcnt(0)
	s_barrier
	buffer_load_dword v20, off, s[0:3], 0 offset:256
	buffer_load_dword v21, off, s[0:3], 0 offset:260
	;; [unrolled: 1-line block ×16, first 2 shown]
	v_lshlrev_b32_e32 v19, 3, v1
	v_lshlrev_b32_e32 v18, 5, v55
	;; [unrolled: 1-line block ×3, first 2 shown]
	v_or3_b32 v39, v28, v18, v19
	v_max3_f32 v19, v12, s52, v13
	v_max3_f32 v19, v19, v14, v15
	v_sub_f32_e32 v12, v12, v19
	v_sub_f32_e32 v13, v13, v19
	v_mul_f32_e32 v12, 0x3fb8aa3b, v12
	v_sub_f32_e32 v14, v14, v19
	v_mul_f32_e32 v13, 0x3fb8aa3b, v13
	v_exp_f32_e32 v12, v12
	v_sub_f32_e32 v15, v15, v19
	v_mul_f32_e32 v14, 0x3fb8aa3b, v14
	v_exp_f32_e32 v13, v13
	v_mul_f32_e32 v15, 0x3fb8aa3b, v15
	v_exp_f32_e32 v14, v14
	v_exp_f32_e32 v15, v15
	v_fma_f32 v6, v12, v6, 0
	v_fmac_f32_e32 v6, v13, v7
	v_fmac_f32_e32 v6, v14, v10
	;; [unrolled: 1-line block ×3, first 2 shown]
	v_cmp_eq_u32_e32 vcc, 1, v60
	v_add_f32_e32 v10, 0x358637bd, v6
	v_cndmask_b32_e32 v12, v12, v13, vcc
	v_cmp_eq_u32_e32 vcc, 2, v60
	v_div_scale_f32 v11, s[4:5], v10, v10, 1.0
	v_cndmask_b32_e32 v7, v12, v14, vcc
	v_rcp_f32_e32 v12, v11
	v_cmp_eq_u32_e32 vcc, 3, v60
	v_cndmask_b32_e32 v7, v7, v15, vcc
	v_div_scale_f32 v13, vcc, 1.0, v10, 1.0
	v_fma_f32 v14, -v11, v12, 1.0
	v_fmac_f32_e32 v12, v14, v12
	v_mul_f32_e32 v14, v13, v12
	v_fma_f32 v15, -v11, v14, v13
	v_fmac_f32_e32 v14, v15, v12
	v_fma_f32 v11, -v11, v14, v13
	v_div_fmas_f32 v11, v11, v12, v14
	v_div_fixup_f32 v10, v11, v10, 1.0
	v_mul_f32_e32 v10, v7, v10
	s_mul_i32 s18, s51, 6
	v_cmp_gt_u32_e32 vcc, 6, v0
	s_waitcnt vmcnt(14)
	v_pk_mul_f32 v[14:15], v[10:11], v[20:21] op_sel_hi:[0,1]
	v_cvt_f16_f32_e32 v7, v14
	s_waitcnt vmcnt(12)
	v_pk_mul_f32 v[12:13], v[10:11], v[22:23] op_sel_hi:[0,1]
	buffer_store_dword v14, off, s[0:3], 0 offset:256
	buffer_store_dword v15, off, s[0:3], 0 offset:260
	;; [unrolled: 1-line block ×3, first 2 shown]
	s_waitcnt vmcnt(13)
	v_pk_mul_f32 v[20:21], v[10:11], v[24:25] op_sel_hi:[0,1]
	v_cvt_f16_f32_e32 v14, v12
	s_waitcnt vmcnt(11)
	v_pk_mul_f32 v[22:23], v[10:11], v[26:27] op_sel_hi:[0,1]
	v_cvt_f16_f32_e32 v11, v15
	v_cvt_f16_f32_e32 v15, v13
	buffer_store_dword v13, off, s[0:3], 0 offset:268
	buffer_store_dword v22, off, s[0:3], 0 offset:272
	;; [unrolled: 1-line block ×3, first 2 shown]
	v_pack_b32_f16 v12, v7, v11
	v_cvt_f16_f32_e32 v11, v23
	v_pack_b32_f16 v13, v14, v15
	v_cvt_f16_f32_e32 v7, v22
	v_cvt_f16_f32_e32 v15, v20
	;; [unrolled: 1-line block ×3, first 2 shown]
	s_waitcnt vmcnt(12)
	v_pk_mul_f32 v[4:5], v[10:11], v[4:5] op_sel_hi:[0,1]
	v_pack_b32_f16 v14, v7, v11
	s_waitcnt vmcnt(10)
	v_pk_mul_f32 v[2:3], v[10:11], v[2:3] op_sel_hi:[0,1]
	v_pack_b32_f16 v15, v15, v22
	v_cvt_f16_f32_e32 v11, v5
	buffer_store_dword v20, off, s[0:3], 0 offset:280
	buffer_store_dword v21, off, s[0:3], 0 offset:284
	ds_write2st64_b64 v39, v[12:13], v[14:15] offset1:1
	buffer_store_dword v2, off, s[0:3], 0 offset:288
	buffer_store_dword v3, off, s[0:3], 0 offset:292
	v_cvt_f16_f32_e32 v2, v2
	v_cvt_f16_f32_e32 v3, v3
	;; [unrolled: 1-line block ×3, first 2 shown]
	buffer_store_dword v4, off, s[0:3], 0 offset:296
	buffer_store_dword v5, off, s[0:3], 0 offset:300
	s_waitcnt vmcnt(12)
	v_pk_mul_f32 v[4:5], v[10:11], v[16:17] op_sel_hi:[0,1]
	v_pk_mul_f32 v[8:9], v[10:11], v[8:9] op_sel_hi:[0,1]
	v_pack_b32_f16 v2, v2, v3
	v_pack_b32_f16 v3, v7, v11
	buffer_store_dword v8, off, s[0:3], 0 offset:304
	buffer_store_dword v9, off, s[0:3], 0 offset:308
	v_cvt_f16_f32_e32 v7, v8
	v_cvt_f16_f32_e32 v8, v9
	;; [unrolled: 1-line block ×4, first 2 shown]
	buffer_store_dword v4, off, s[0:3], 0 offset:312
	buffer_store_dword v5, off, s[0:3], 0 offset:316
	v_pack_b32_f16 v4, v7, v8
	v_pack_b32_f16 v5, v9, v10
	ds_write2st64_b64 v39, v[2:3], v[4:5] offset0:2 offset1:3
	s_and_saveexec_b64 s[4:5], vcc
	s_cbranch_execz .LBB627_209
; %bb.208:
	v_add_co_u32_e32 v4, vcc, s25, v55
	v_addc_co_u32_e64 v5, s[6:7], 0, 0, vcc
	v_mov_b32_e32 v2, s18
	v_mad_u64_u32 v[4:5], s[6:7], s8, v2, v[4:5]
	v_mov_b32_e32 v3, 0
	s_mul_i32 s6, s9, s18
	v_mov_b32_e32 v2, s24
	v_add_u32_e32 v5, s6, v5
	v_mad_u64_u32 v[2:3], s[6:7], v4, s50, v[2:3]
	v_mov_b32_e32 v4, v3
	v_mad_u64_u32 v[4:5], s[6:7], v5, s50, v[4:5]
	v_mov_b32_e32 v3, v4
	v_lshlrev_b64 v[2:3], 2, v[2:3]
	v_mov_b32_e32 v5, s47
	v_add_co_u32_e32 v4, vcc, s46, v2
	v_addc_co_u32_e32 v5, vcc, v5, v3, vcc
	global_store_dword v[4:5], v19, off
	v_mov_b32_e32 v4, s45
	v_add_co_u32_e32 v2, vcc, s44, v2
	v_addc_co_u32_e32 v3, vcc, v4, v3, vcc
	global_store_dword v[2:3], v6, off
.LBB627_209:
	s_or_b64 exec, exec, s[4:5]
	v_lshl_or_b32 v30, v1, 9, v18
	s_waitcnt lgkmcnt(0)
	s_barrier
	s_load_dword s4, s[42:43], 0x0
	ds_read_b128 v[2:5], v30
	ds_read_b128 v[6:9], v30 offset:16
	ds_read_b128 v[10:13], v30 offset:2048
	;; [unrolled: 1-line block ×7, first 2 shown]
	v_mov_b32_e32 v35, 0x80
	v_mov_b32_e32 v41, 0x140
	s_mov_b64 s[10:11], -1
	s_waitcnt lgkmcnt(0)
	s_mov_b32 s5, s4
	s_mov_b32 s6, s4
	;; [unrolled: 1-line block ×3, first 2 shown]
	s_movk_i32 s9, 0x80
	s_movk_i32 s19, 0x7f
	s_mov_b32 s20, 0xffffff
	v_mov_b32_e32 v43, 0
	v_bfrev_b32_e32 v45, 60
	s_branch .LBB627_213
.LBB627_210:                            ;   in Loop: Header=BB627_213 Depth=1
	s_or_b64 exec, exec, s[16:17]
.LBB627_211:                            ;   in Loop: Header=BB627_213 Depth=1
	s_or_b64 exec, exec, s[14:15]
.LBB627_212:                            ;   in Loop: Header=BB627_213 Depth=1
	s_or_b64 exec, exec, s[12:13]
	v_cvt_pkrtz_f16_f32 v60, v46, v50
	v_cvt_pkrtz_f16_f32 v61, v44, v52
	s_xor_b64 s[12:13], s[10:11], -1
	s_mov_b64 s[10:11], 0
	v_mov_b32_e32 v46, v48
	v_mfma_f32_16x16x16f16 v[60:63], v[60:61], v[30:31], v[34:37]
	v_mov_b32_e32 v59, v49
	s_and_b64 vcc, exec, s[12:13]
	s_nop 4
	v_cvt_pkrtz_f16_f32 v36, v51, v53
	v_cvt_pkrtz_f16_f32 v37, v42, v58
	v_mov_b32_e32 v35, v47
	v_mov_b32_e32 v58, v57
	v_mfma_f32_16x16x16f16 v[50:53], v[36:37], v[32:33], v[60:63]
	s_nop 7
	s_nop 2
	v_pk_mul_f32 v[50:51], v[50:51], s[4:5]
	v_pk_mul_f32 v[36:37], v[52:53], s[6:7]
	v_cvt_f16_f32_e32 v34, v50
	v_cvt_f16_f32_e32 v38, v51
	;; [unrolled: 1-line block ×4, first 2 shown]
	v_pack_b32_f16 v34, v34, v38
	v_pack_b32_f16 v36, v36, v37
	buffer_store_dword v34, v41, s[0:3], 0 offen
	buffer_store_dword v36, v41, s[0:3], 0 offen offset:4
	v_mov_b32_e32 v41, 0x148
	s_cbranch_vccnz .LBB627_595
.LBB627_213:                            ; =>This Inner Loop Header: Depth=1
	buffer_load_dword v36, v35, s[0:3], 0 offen
	buffer_load_dword v34, v35, s[0:3], 0 offen offset:4
	buffer_load_dword v40, v35, s[0:3], 0 offen offset:8
	;; [unrolled: 1-line block ×3, first 2 shown]
	v_mov_b32_e32 v35, 0
	s_waitcnt vmcnt(3)
	v_cmp_ne_u16_sdwa s[14:15], v36, v43 src0_sel:BYTE_0 src1_sel:DWORD
	s_and_saveexec_b64 s[12:13], s[14:15]
	s_cbranch_execz .LBB627_219
; %bb.214:                              ;   in Loop: Header=BB627_213 Depth=1
	v_cmp_ne_u16_sdwa s[16:17], v36, s9 src0_sel:BYTE_0 src1_sel:DWORD
	v_bfrev_b32_e32 v35, 1
	s_and_saveexec_b64 s[14:15], s[16:17]
	s_cbranch_execz .LBB627_218
; %bb.215:                              ;   in Loop: Header=BB627_213 Depth=1
	v_and_b32_e32 v37, 0x7f, v36
	v_cmp_ne_u32_e32 vcc, s19, v37
	v_mov_b32_e32 v35, 0x7f800001
	s_and_saveexec_b64 s[16:17], vcc
	s_cbranch_execz .LBB627_217
; %bb.216:                              ;   in Loop: Header=BB627_213 Depth=1
	v_and_b32_e32 v35, 7, v36
	v_ffbh_u32_e32 v44, v35
	v_min_u32_e32 v44, 32, v44
	v_subrev_u32_e32 v50, 28, v44
	v_lshlrev_b64 v[50:51], v50, v[36:37]
	v_lshrrev_b32_e32 v42, 3, v37
	v_sub_u32_e32 v44, 29, v44
	v_and_b32_e32 v50, 7, v50
	v_cmp_gt_u32_e32 vcc, 8, v37
	v_cndmask_b32_e32 v37, v42, v44, vcc
	v_cndmask_b32_e32 v35, v35, v50, vcc
	v_lshlrev_b32_e32 v42, 24, v36
	v_lshlrev_b32_e32 v35, 20, v35
	v_and_b32_e32 v42, 0x80000000, v42
	v_lshl_add_u32 v37, v37, 23, v45
	v_or3_b32 v35, v42, v37, v35
.LBB627_217:                            ;   in Loop: Header=BB627_213 Depth=1
	s_or_b64 exec, exec, s[16:17]
.LBB627_218:                            ;   in Loop: Header=BB627_213 Depth=1
	s_or_b64 exec, exec, s[14:15]
.LBB627_219:                            ;   in Loop: Header=BB627_213 Depth=1
	s_or_b64 exec, exec, s[12:13]
	v_lshrrev_b16_e32 v42, 8, v36
	v_cmp_ne_u16_e32 vcc, 0, v42
	v_mov_b32_e32 v37, 0
	s_and_saveexec_b64 s[12:13], vcc
	s_cbranch_execz .LBB627_225
; %bb.220:                              ;   in Loop: Header=BB627_213 Depth=1
	v_cmp_ne_u16_e32 vcc, s9, v42
	v_bfrev_b32_e32 v37, 1
	s_and_saveexec_b64 s[14:15], vcc
	s_cbranch_execz .LBB627_224
; %bb.221:                              ;   in Loop: Header=BB627_213 Depth=1
	v_and_b32_e32 v44, 0x7f, v42
	v_cmp_ne_u32_e32 vcc, s19, v44
	v_mov_b32_e32 v37, 0x7f800001
	s_and_saveexec_b64 s[16:17], vcc
	s_cbranch_execz .LBB627_223
; %bb.222:                              ;   in Loop: Header=BB627_213 Depth=1
	v_and_b32_e32 v37, 7, v42
	v_ffbh_u32_e32 v50, v37
	v_min_u32_e32 v53, 32, v50
	v_subrev_u32_e32 v50, 28, v53
	v_lshlrev_b64 v[50:51], v50, v[42:43]
	v_lshrrev_b32_e32 v52, 3, v44
	v_sub_u32_e32 v42, 29, v53
	v_and_b32_e32 v50, 7, v50
	v_cmp_gt_u32_e32 vcc, 8, v44
	v_cndmask_b32_e32 v42, v52, v42, vcc
	v_cndmask_b32_e32 v37, v37, v50, vcc
	v_lshlrev_b32_e32 v44, 16, v36
	v_lshlrev_b32_e32 v37, 20, v37
	v_and_b32_e32 v44, 0x80000000, v44
	v_lshl_add_u32 v42, v42, 23, v45
	v_or3_b32 v37, v44, v42, v37
.LBB627_223:                            ;   in Loop: Header=BB627_213 Depth=1
	s_or_b64 exec, exec, s[16:17]
.LBB627_224:                            ;   in Loop: Header=BB627_213 Depth=1
	s_or_b64 exec, exec, s[14:15]
.LBB627_225:                            ;   in Loop: Header=BB627_213 Depth=1
	s_or_b64 exec, exec, s[12:13]
	v_lshrrev_b32_e32 v42, 16, v36
	v_cmp_ne_u16_sdwa s[14:15], v42, v43 src0_sel:BYTE_0 src1_sel:DWORD
	v_mov_b32_e32 v50, 0
	v_mov_b32_e32 v44, 0
	s_and_saveexec_b64 s[12:13], s[14:15]
	s_cbranch_execz .LBB627_231
; %bb.226:                              ;   in Loop: Header=BB627_213 Depth=1
	v_cmp_ne_u16_sdwa s[16:17], v42, s9 src0_sel:BYTE_0 src1_sel:DWORD
	v_bfrev_b32_e32 v44, 1
	s_and_saveexec_b64 s[14:15], s[16:17]
	s_cbranch_execz .LBB627_230
; %bb.227:                              ;   in Loop: Header=BB627_213 Depth=1
	v_bfe_u32 v51, v36, 16, 7
	v_cmp_ne_u32_e32 vcc, s19, v51
	v_mov_b32_e32 v44, 0x7f800001
	s_and_saveexec_b64 s[16:17], vcc
	s_cbranch_execz .LBB627_229
; %bb.228:                              ;   in Loop: Header=BB627_213 Depth=1
	v_and_b32_e32 v44, 7, v42
	v_ffbh_u32_e32 v52, v44
	v_min_u32_e32 v61, 32, v52
	v_subrev_u32_e32 v52, 28, v61
	v_lshlrev_b64 v[52:53], v52, v[42:43]
	v_lshrrev_b32_e32 v60, 3, v51
	v_sub_u32_e32 v53, 29, v61
	v_and_b32_e32 v52, 7, v52
	v_cmp_gt_u32_e32 vcc, 8, v51
	v_cndmask_b32_e32 v51, v60, v53, vcc
	v_cndmask_b32_e32 v44, v44, v52, vcc
	v_lshlrev_b32_e32 v42, 24, v42
	v_lshlrev_b32_e32 v44, 20, v44
	v_and_b32_e32 v42, 0x80000000, v42
	v_lshl_add_u32 v51, v51, 23, v45
	v_or3_b32 v44, v42, v51, v44
.LBB627_229:                            ;   in Loop: Header=BB627_213 Depth=1
	s_or_b64 exec, exec, s[16:17]
.LBB627_230:                            ;   in Loop: Header=BB627_213 Depth=1
	s_or_b64 exec, exec, s[14:15]
.LBB627_231:                            ;   in Loop: Header=BB627_213 Depth=1
	s_or_b64 exec, exec, s[12:13]
	v_cmp_lt_u32_e32 vcc, s20, v36
	s_and_saveexec_b64 s[12:13], vcc
	s_cbranch_execz .LBB627_237
; %bb.232:                              ;   in Loop: Header=BB627_213 Depth=1
	v_lshrrev_b32_e32 v42, 24, v36
	v_cmp_ne_u32_e32 vcc, s9, v42
	v_bfrev_b32_e32 v50, 1
	s_and_saveexec_b64 s[14:15], vcc
	s_cbranch_execz .LBB627_236
; %bb.233:                              ;   in Loop: Header=BB627_213 Depth=1
	v_bfe_u32 v36, v36, 24, 7
	v_cmp_ne_u32_e32 vcc, s19, v36
	v_mov_b32_e32 v50, 0x7f800001
	s_and_saveexec_b64 s[16:17], vcc
	s_cbranch_execz .LBB627_235
; %bb.234:                              ;   in Loop: Header=BB627_213 Depth=1
	v_and_b32_e32 v52, 7, v42
	v_ffbh_u32_e32 v50, v52
	v_min_u32_e32 v60, 32, v50
	v_subrev_u32_e32 v50, 28, v60
	v_lshlrev_b64 v[50:51], v50, v[42:43]
	v_lshrrev_b32_e32 v53, 3, v36
	v_sub_u32_e32 v51, 29, v60
	v_and_b32_e32 v50, 7, v50
	v_cmp_gt_u32_e32 vcc, 8, v36
	v_cndmask_b32_e32 v36, v53, v51, vcc
	v_cndmask_b32_e32 v50, v52, v50, vcc
	v_lshlrev_b32_e32 v42, 24, v42
	v_lshlrev_b32_e32 v50, 20, v50
	v_and_b32_e32 v42, 0x80000000, v42
	v_lshl_add_u32 v36, v36, 23, v45
	v_or3_b32 v50, v42, v36, v50
.LBB627_235:                            ;   in Loop: Header=BB627_213 Depth=1
	s_or_b64 exec, exec, s[16:17]
.LBB627_236:                            ;   in Loop: Header=BB627_213 Depth=1
	s_or_b64 exec, exec, s[14:15]
.LBB627_237:                            ;   in Loop: Header=BB627_213 Depth=1
	s_or_b64 exec, exec, s[12:13]
	s_waitcnt vmcnt(2)
	v_cmp_ne_u16_sdwa s[14:15], v34, v43 src0_sel:BYTE_0 src1_sel:DWORD
	v_mov_b32_e32 v42, 0
	v_mov_b32_e32 v51, 0
	s_and_saveexec_b64 s[12:13], s[14:15]
	s_cbranch_execz .LBB627_243
; %bb.238:                              ;   in Loop: Header=BB627_213 Depth=1
	v_cmp_ne_u16_sdwa s[16:17], v34, s9 src0_sel:BYTE_0 src1_sel:DWORD
	v_bfrev_b32_e32 v51, 1
	s_and_saveexec_b64 s[14:15], s[16:17]
	s_cbranch_execz .LBB627_242
; %bb.239:                              ;   in Loop: Header=BB627_213 Depth=1
	v_and_b32_e32 v36, 0x7f, v34
	v_cmp_ne_u32_e32 vcc, s19, v36
	v_mov_b32_e32 v51, 0x7f800001
	s_and_saveexec_b64 s[16:17], vcc
	s_cbranch_execz .LBB627_241
; %bb.240:                              ;   in Loop: Header=BB627_213 Depth=1
	v_and_b32_e32 v51, 7, v34
	v_ffbh_u32_e32 v52, v51
	v_min_u32_e32 v61, 32, v52
	v_subrev_u32_e32 v52, 28, v61
	v_lshlrev_b64 v[52:53], v52, v[34:35]
	v_lshrrev_b32_e32 v60, 3, v36
	v_sub_u32_e32 v53, 29, v61
	v_and_b32_e32 v52, 7, v52
	v_cmp_gt_u32_e32 vcc, 8, v36
	v_cndmask_b32_e32 v36, v60, v53, vcc
	v_cndmask_b32_e32 v51, v51, v52, vcc
	v_lshlrev_b32_e32 v52, 24, v34
	v_lshlrev_b32_e32 v51, 20, v51
	v_and_b32_e32 v52, 0x80000000, v52
	v_lshl_add_u32 v36, v36, 23, v45
	v_or3_b32 v51, v52, v36, v51
.LBB627_241:                            ;   in Loop: Header=BB627_213 Depth=1
	s_or_b64 exec, exec, s[16:17]
.LBB627_242:                            ;   in Loop: Header=BB627_213 Depth=1
	s_or_b64 exec, exec, s[14:15]
.LBB627_243:                            ;   in Loop: Header=BB627_213 Depth=1
	s_or_b64 exec, exec, s[12:13]
	v_lshrrev_b16_e32 v36, 8, v34
	v_cmp_ne_u16_e32 vcc, 0, v36
	s_and_saveexec_b64 s[12:13], vcc
	s_cbranch_execz .LBB627_249
; %bb.244:                              ;   in Loop: Header=BB627_213 Depth=1
	v_cmp_ne_u16_e32 vcc, s9, v36
	v_bfrev_b32_e32 v42, 1
	s_and_saveexec_b64 s[14:15], vcc
	s_cbranch_execz .LBB627_248
; %bb.245:                              ;   in Loop: Header=BB627_213 Depth=1
	v_and_b32_e32 v52, 0x7f, v36
	v_cmp_ne_u32_e32 vcc, s19, v52
	v_mov_b32_e32 v42, 0x7f800001
	s_and_saveexec_b64 s[16:17], vcc
	s_cbranch_execz .LBB627_247
; %bb.246:                              ;   in Loop: Header=BB627_213 Depth=1
	v_and_b32_e32 v42, 7, v36
	v_ffbh_u32_e32 v60, v42
	v_min_u32_e32 v62, 32, v60
	v_subrev_u32_e32 v60, 28, v62
	v_lshlrev_b64 v[60:61], v60, v[36:37]
	v_lshrrev_b32_e32 v53, 3, v52
	v_sub_u32_e32 v36, 29, v62
	v_and_b32_e32 v60, 7, v60
	v_cmp_gt_u32_e32 vcc, 8, v52
	v_cndmask_b32_e32 v36, v53, v36, vcc
	v_cndmask_b32_e32 v42, v42, v60, vcc
	v_lshlrev_b32_e32 v52, 16, v34
	v_lshlrev_b32_e32 v42, 20, v42
	v_and_b32_e32 v52, 0x80000000, v52
	v_lshl_add_u32 v36, v36, 23, v45
	v_or3_b32 v42, v52, v36, v42
.LBB627_247:                            ;   in Loop: Header=BB627_213 Depth=1
	s_or_b64 exec, exec, s[16:17]
.LBB627_248:                            ;   in Loop: Header=BB627_213 Depth=1
	s_or_b64 exec, exec, s[14:15]
.LBB627_249:                            ;   in Loop: Header=BB627_213 Depth=1
	s_or_b64 exec, exec, s[12:13]
	v_lshrrev_b32_e32 v36, 16, v34
	v_cmp_ne_u16_sdwa s[14:15], v36, v43 src0_sel:BYTE_0 src1_sel:DWORD
	v_mov_b32_e32 v53, 0
	v_mov_b32_e32 v52, 0
	s_and_saveexec_b64 s[12:13], s[14:15]
	s_cbranch_execz .LBB627_255
; %bb.250:                              ;   in Loop: Header=BB627_213 Depth=1
	v_cmp_ne_u16_sdwa s[16:17], v36, s9 src0_sel:BYTE_0 src1_sel:DWORD
	v_bfrev_b32_e32 v52, 1
	s_and_saveexec_b64 s[14:15], s[16:17]
	s_cbranch_execz .LBB627_254
; %bb.251:                              ;   in Loop: Header=BB627_213 Depth=1
	v_bfe_u32 v60, v34, 16, 7
	v_cmp_ne_u32_e32 vcc, s19, v60
	v_mov_b32_e32 v52, 0x7f800001
	s_and_saveexec_b64 s[16:17], vcc
	s_cbranch_execz .LBB627_253
; %bb.252:                              ;   in Loop: Header=BB627_213 Depth=1
	v_and_b32_e32 v52, 7, v36
	v_ffbh_u32_e32 v62, v52
	v_min_u32_e32 v64, 32, v62
	v_subrev_u32_e32 v62, 28, v64
	v_lshlrev_b64 v[62:63], v62, v[36:37]
	v_lshrrev_b32_e32 v61, 3, v60
	v_sub_u32_e32 v63, 29, v64
	v_and_b32_e32 v62, 7, v62
	v_cmp_gt_u32_e32 vcc, 8, v60
	v_cndmask_b32_e32 v60, v61, v63, vcc
	v_cndmask_b32_e32 v52, v52, v62, vcc
	v_lshlrev_b32_e32 v36, 24, v36
	v_lshlrev_b32_e32 v52, 20, v52
	v_and_b32_e32 v36, 0x80000000, v36
	v_lshl_add_u32 v60, v60, 23, v45
	v_or3_b32 v52, v36, v60, v52
.LBB627_253:                            ;   in Loop: Header=BB627_213 Depth=1
	s_or_b64 exec, exec, s[16:17]
.LBB627_254:                            ;   in Loop: Header=BB627_213 Depth=1
	s_or_b64 exec, exec, s[14:15]
.LBB627_255:                            ;   in Loop: Header=BB627_213 Depth=1
	s_or_b64 exec, exec, s[12:13]
	v_cmp_lt_u32_e32 vcc, s20, v34
	s_and_saveexec_b64 s[12:13], vcc
	s_cbranch_execz .LBB627_261
; %bb.256:                              ;   in Loop: Header=BB627_213 Depth=1
	v_lshrrev_b32_e32 v36, 24, v34
	v_cmp_ne_u32_e32 vcc, s9, v36
	v_bfrev_b32_e32 v53, 1
	s_and_saveexec_b64 s[14:15], vcc
	s_cbranch_execz .LBB627_260
; %bb.257:                              ;   in Loop: Header=BB627_213 Depth=1
	v_bfe_u32 v34, v34, 24, 7
	v_cmp_ne_u32_e32 vcc, s19, v34
	v_mov_b32_e32 v53, 0x7f800001
	s_and_saveexec_b64 s[16:17], vcc
	s_cbranch_execz .LBB627_259
; %bb.258:                              ;   in Loop: Header=BB627_213 Depth=1
	v_and_b32_e32 v53, 7, v36
	v_ffbh_u32_e32 v60, v53
	v_min_u32_e32 v63, 32, v60
	v_subrev_u32_e32 v60, 28, v63
	v_lshlrev_b64 v[60:61], v60, v[36:37]
	v_lshrrev_b32_e32 v62, 3, v34
	v_sub_u32_e32 v61, 29, v63
	v_and_b32_e32 v60, 7, v60
	v_cmp_gt_u32_e32 vcc, 8, v34
	v_cndmask_b32_e32 v34, v62, v61, vcc
	v_cndmask_b32_e32 v53, v53, v60, vcc
	v_lshlrev_b32_e32 v36, 24, v36
	v_lshlrev_b32_e32 v53, 20, v53
	v_and_b32_e32 v36, 0x80000000, v36
	v_lshl_add_u32 v34, v34, 23, v45
	v_or3_b32 v53, v36, v34, v53
.LBB627_259:                            ;   in Loop: Header=BB627_213 Depth=1
	s_or_b64 exec, exec, s[16:17]
.LBB627_260:                            ;   in Loop: Header=BB627_213 Depth=1
	s_or_b64 exec, exec, s[14:15]
.LBB627_261:                            ;   in Loop: Header=BB627_213 Depth=1
	s_or_b64 exec, exec, s[12:13]
	v_cvt_pkrtz_f16_f32 v34, v35, v37
	v_cvt_pkrtz_f16_f32 v35, v44, v50
	;; [unrolled: 1-line block ×4, first 2 shown]
	v_mov_b32_e32 v44, 0
	v_mfma_f32_16x16x16f16 v[34:37], v[34:35], v[2:3], 0
	s_waitcnt vmcnt(1)
	v_cmp_ne_u16_sdwa s[14:15], v40, v43 src0_sel:BYTE_0 src1_sel:DWORD
	v_mov_b32_e32 v51, 0
	v_mfma_f32_16x16x16f16 v[34:37], v[60:61], v[4:5], v[34:37]
	s_and_saveexec_b64 s[12:13], s[14:15]
	s_cbranch_execz .LBB627_267
; %bb.262:                              ;   in Loop: Header=BB627_213 Depth=1
	v_cmp_ne_u16_sdwa s[16:17], v40, s9 src0_sel:BYTE_0 src1_sel:DWORD
	v_bfrev_b32_e32 v51, 1
	s_and_saveexec_b64 s[14:15], s[16:17]
	s_cbranch_execz .LBB627_266
; %bb.263:                              ;   in Loop: Header=BB627_213 Depth=1
	v_and_b32_e32 v42, 0x7f, v40
	v_cmp_ne_u32_e32 vcc, s19, v42
	v_mov_b32_e32 v51, 0x7f800001
	s_and_saveexec_b64 s[16:17], vcc
	s_cbranch_execz .LBB627_265
; %bb.264:                              ;   in Loop: Header=BB627_213 Depth=1
	v_and_b32_e32 v52, 7, v40
	v_ffbh_u32_e32 v50, v52
	v_min_u32_e32 v60, 32, v50
	v_subrev_u32_e32 v50, 28, v60
	v_lshlrev_b64 v[50:51], v50, v[40:41]
	v_lshrrev_b32_e32 v53, 3, v42
	v_sub_u32_e32 v51, 29, v60
	v_and_b32_e32 v50, 7, v50
	v_cmp_gt_u32_e32 vcc, 8, v42
	v_cndmask_b32_e32 v42, v53, v51, vcc
	v_cndmask_b32_e32 v50, v52, v50, vcc
	v_lshlrev_b32_e32 v51, 24, v40
	v_lshlrev_b32_e32 v50, 20, v50
	v_and_b32_e32 v51, 0x80000000, v51
	v_lshl_add_u32 v42, v42, 23, v45
	v_or3_b32 v51, v51, v42, v50
.LBB627_265:                            ;   in Loop: Header=BB627_213 Depth=1
	s_or_b64 exec, exec, s[16:17]
.LBB627_266:                            ;   in Loop: Header=BB627_213 Depth=1
	s_or_b64 exec, exec, s[14:15]
.LBB627_267:                            ;   in Loop: Header=BB627_213 Depth=1
	s_or_b64 exec, exec, s[12:13]
	v_lshrrev_b16_e32 v42, 8, v40
	v_cmp_ne_u16_e32 vcc, 0, v42
	v_mov_b32_e32 v52, 0
	s_and_saveexec_b64 s[12:13], vcc
	s_cbranch_execz .LBB627_273
; %bb.268:                              ;   in Loop: Header=BB627_213 Depth=1
	v_cmp_ne_u16_e32 vcc, s9, v42
	v_bfrev_b32_e32 v52, 1
	s_and_saveexec_b64 s[14:15], vcc
	s_cbranch_execz .LBB627_272
; %bb.269:                              ;   in Loop: Header=BB627_213 Depth=1
	v_and_b32_e32 v50, 0x7f, v42
	v_cmp_ne_u32_e32 vcc, s19, v50
	v_mov_b32_e32 v52, 0x7f800001
	s_and_saveexec_b64 s[16:17], vcc
	s_cbranch_execz .LBB627_271
; %bb.270:                              ;   in Loop: Header=BB627_213 Depth=1
	v_and_b32_e32 v60, 7, v42
	v_ffbh_u32_e32 v52, v60
	v_min_u32_e32 v62, 32, v52
	v_subrev_u32_e32 v52, 28, v62
	v_lshlrev_b64 v[52:53], v52, v[42:43]
	v_lshrrev_b32_e32 v61, 3, v50
	v_sub_u32_e32 v42, 29, v62
	v_and_b32_e32 v52, 7, v52
	v_cmp_gt_u32_e32 vcc, 8, v50
	v_cndmask_b32_e32 v42, v61, v42, vcc
	v_cndmask_b32_e32 v50, v60, v52, vcc
	v_lshlrev_b32_e32 v52, 16, v40
	v_lshlrev_b32_e32 v50, 20, v50
	v_and_b32_e32 v52, 0x80000000, v52
	v_lshl_add_u32 v42, v42, 23, v45
	v_or3_b32 v52, v52, v42, v50
.LBB627_271:                            ;   in Loop: Header=BB627_213 Depth=1
	s_or_b64 exec, exec, s[16:17]
.LBB627_272:                            ;   in Loop: Header=BB627_213 Depth=1
	s_or_b64 exec, exec, s[14:15]
.LBB627_273:                            ;   in Loop: Header=BB627_213 Depth=1
	s_or_b64 exec, exec, s[12:13]
	v_lshrrev_b32_e32 v42, 16, v40
	v_cmp_ne_u16_sdwa s[14:15], v42, v43 src0_sel:BYTE_0 src1_sel:DWORD
	s_and_saveexec_b64 s[12:13], s[14:15]
	s_cbranch_execz .LBB627_279
; %bb.274:                              ;   in Loop: Header=BB627_213 Depth=1
	v_cmp_ne_u16_sdwa s[16:17], v42, s9 src0_sel:BYTE_0 src1_sel:DWORD
	v_bfrev_b32_e32 v44, 1
	s_and_saveexec_b64 s[14:15], s[16:17]
	s_cbranch_execz .LBB627_278
; %bb.275:                              ;   in Loop: Header=BB627_213 Depth=1
	v_bfe_u32 v50, v40, 16, 7
	v_cmp_ne_u32_e32 vcc, s19, v50
	v_mov_b32_e32 v44, 0x7f800001
	s_and_saveexec_b64 s[16:17], vcc
	s_cbranch_execz .LBB627_277
; %bb.276:                              ;   in Loop: Header=BB627_213 Depth=1
	v_and_b32_e32 v44, 7, v42
	v_ffbh_u32_e32 v60, v44
	v_min_u32_e32 v62, 32, v60
	v_subrev_u32_e32 v60, 28, v62
	v_lshlrev_b64 v[60:61], v60, v[42:43]
	v_lshrrev_b32_e32 v53, 3, v50
	v_sub_u32_e32 v61, 29, v62
	v_and_b32_e32 v60, 7, v60
	v_cmp_gt_u32_e32 vcc, 8, v50
	v_cndmask_b32_e32 v50, v53, v61, vcc
	v_cndmask_b32_e32 v44, v44, v60, vcc
	v_lshlrev_b32_e32 v42, 24, v42
	v_lshlrev_b32_e32 v44, 20, v44
	v_and_b32_e32 v42, 0x80000000, v42
	v_lshl_add_u32 v50, v50, 23, v45
	v_or3_b32 v44, v42, v50, v44
.LBB627_277:                            ;   in Loop: Header=BB627_213 Depth=1
	s_or_b64 exec, exec, s[16:17]
.LBB627_278:                            ;   in Loop: Header=BB627_213 Depth=1
	s_or_b64 exec, exec, s[14:15]
.LBB627_279:                            ;   in Loop: Header=BB627_213 Depth=1
	s_or_b64 exec, exec, s[12:13]
	v_cmp_lt_u32_e32 vcc, s20, v40
	v_mov_b32_e32 v53, 0
	v_mov_b32_e32 v60, 0
	s_and_saveexec_b64 s[12:13], vcc
	s_cbranch_execz .LBB627_285
; %bb.280:                              ;   in Loop: Header=BB627_213 Depth=1
	v_lshrrev_b32_e32 v42, 24, v40
	v_cmp_ne_u32_e32 vcc, s9, v42
	v_bfrev_b32_e32 v60, 1
	s_and_saveexec_b64 s[14:15], vcc
	s_cbranch_execz .LBB627_284
; %bb.281:                              ;   in Loop: Header=BB627_213 Depth=1
	v_bfe_u32 v40, v40, 24, 7
	v_cmp_ne_u32_e32 vcc, s19, v40
	v_mov_b32_e32 v60, 0x7f800001
	s_and_saveexec_b64 s[16:17], vcc
	s_cbranch_execz .LBB627_283
; %bb.282:                              ;   in Loop: Header=BB627_213 Depth=1
	v_and_b32_e32 v50, 7, v42
	v_ffbh_u32_e32 v60, v50
	v_min_u32_e32 v63, 32, v60
	v_subrev_u32_e32 v60, 28, v63
	v_lshlrev_b64 v[60:61], v60, v[42:43]
	v_lshrrev_b32_e32 v62, 3, v40
	v_sub_u32_e32 v61, 29, v63
	v_and_b32_e32 v60, 7, v60
	v_cmp_gt_u32_e32 vcc, 8, v40
	v_cndmask_b32_e32 v40, v62, v61, vcc
	v_cndmask_b32_e32 v50, v50, v60, vcc
	v_lshlrev_b32_e32 v42, 24, v42
	v_lshlrev_b32_e32 v50, 20, v50
	v_and_b32_e32 v42, 0x80000000, v42
	v_lshl_add_u32 v40, v40, 23, v45
	v_or3_b32 v60, v42, v40, v50
.LBB627_283:                            ;   in Loop: Header=BB627_213 Depth=1
	s_or_b64 exec, exec, s[16:17]
.LBB627_284:                            ;   in Loop: Header=BB627_213 Depth=1
	s_or_b64 exec, exec, s[14:15]
.LBB627_285:                            ;   in Loop: Header=BB627_213 Depth=1
	s_or_b64 exec, exec, s[12:13]
	s_waitcnt vmcnt(0)
	v_cmp_ne_u16_sdwa s[14:15], v38, v43 src0_sel:BYTE_0 src1_sel:DWORD
	s_and_saveexec_b64 s[12:13], s[14:15]
	s_cbranch_execz .LBB627_291
; %bb.286:                              ;   in Loop: Header=BB627_213 Depth=1
	v_cmp_ne_u16_sdwa s[16:17], v38, s9 src0_sel:BYTE_0 src1_sel:DWORD
	v_bfrev_b32_e32 v53, 1
	s_and_saveexec_b64 s[14:15], s[16:17]
	s_cbranch_execz .LBB627_290
; %bb.287:                              ;   in Loop: Header=BB627_213 Depth=1
	v_and_b32_e32 v40, 0x7f, v38
	v_cmp_ne_u32_e32 vcc, s19, v40
	v_mov_b32_e32 v53, 0x7f800001
	s_and_saveexec_b64 s[16:17], vcc
	s_cbranch_execz .LBB627_289
; %bb.288:                              ;   in Loop: Header=BB627_213 Depth=1
	v_and_b32_e32 v42, 7, v38
	v_ffbh_u32_e32 v53, v42
	v_min_u32_e32 v53, 32, v53
	v_subrev_u32_e32 v61, 28, v53
	v_lshlrev_b64 v[62:63], v61, v[38:39]
	v_lshrrev_b32_e32 v50, 3, v40
	v_sub_u32_e32 v53, 29, v53
	v_and_b32_e32 v61, 7, v62
	v_cmp_gt_u32_e32 vcc, 8, v40
	v_cndmask_b32_e32 v40, v50, v53, vcc
	v_cndmask_b32_e32 v42, v42, v61, vcc
	v_lshlrev_b32_e32 v50, 24, v38
	v_lshlrev_b32_e32 v42, 20, v42
	v_and_b32_e32 v50, 0x80000000, v50
	v_lshl_add_u32 v40, v40, 23, v45
	v_or3_b32 v53, v50, v40, v42
.LBB627_289:                            ;   in Loop: Header=BB627_213 Depth=1
	s_or_b64 exec, exec, s[16:17]
.LBB627_290:                            ;   in Loop: Header=BB627_213 Depth=1
	s_or_b64 exec, exec, s[14:15]
.LBB627_291:                            ;   in Loop: Header=BB627_213 Depth=1
	s_or_b64 exec, exec, s[12:13]
	v_lshrrev_b16_e32 v40, 8, v38
	v_cmp_ne_u16_e32 vcc, 0, v40
	v_mov_b32_e32 v61, 0
	v_mov_b32_e32 v62, 0
	s_and_saveexec_b64 s[12:13], vcc
	s_cbranch_execz .LBB627_297
; %bb.292:                              ;   in Loop: Header=BB627_213 Depth=1
	v_cmp_ne_u16_e32 vcc, s9, v40
	v_bfrev_b32_e32 v62, 1
	s_and_saveexec_b64 s[14:15], vcc
	s_cbranch_execz .LBB627_296
; %bb.293:                              ;   in Loop: Header=BB627_213 Depth=1
	v_and_b32_e32 v42, 0x7f, v40
	v_cmp_ne_u32_e32 vcc, s19, v42
	v_mov_b32_e32 v62, 0x7f800001
	s_and_saveexec_b64 s[16:17], vcc
	s_cbranch_execz .LBB627_295
; %bb.294:                              ;   in Loop: Header=BB627_213 Depth=1
	v_and_b32_e32 v50, 7, v40
	v_ffbh_u32_e32 v62, v50
	v_min_u32_e32 v65, 32, v62
	v_subrev_u32_e32 v62, 28, v65
	v_lshlrev_b64 v[62:63], v62, v[40:41]
	v_lshrrev_b32_e32 v64, 3, v42
	v_sub_u32_e32 v40, 29, v65
	v_and_b32_e32 v62, 7, v62
	v_cmp_gt_u32_e32 vcc, 8, v42
	v_cndmask_b32_e32 v40, v64, v40, vcc
	v_cndmask_b32_e32 v42, v50, v62, vcc
	v_lshlrev_b32_e32 v50, 16, v38
	v_lshlrev_b32_e32 v42, 20, v42
	v_and_b32_e32 v50, 0x80000000, v50
	v_lshl_add_u32 v40, v40, 23, v45
	v_or3_b32 v62, v50, v40, v42
.LBB627_295:                            ;   in Loop: Header=BB627_213 Depth=1
	s_or_b64 exec, exec, s[16:17]
.LBB627_296:                            ;   in Loop: Header=BB627_213 Depth=1
	s_or_b64 exec, exec, s[14:15]
.LBB627_297:                            ;   in Loop: Header=BB627_213 Depth=1
	s_or_b64 exec, exec, s[12:13]
	v_lshrrev_b32_e32 v40, 16, v38
	v_cmp_ne_u16_sdwa s[14:15], v40, v43 src0_sel:BYTE_0 src1_sel:DWORD
	s_and_saveexec_b64 s[12:13], s[14:15]
	s_cbranch_execz .LBB627_303
; %bb.298:                              ;   in Loop: Header=BB627_213 Depth=1
	v_cmp_ne_u16_sdwa s[16:17], v40, s9 src0_sel:BYTE_0 src1_sel:DWORD
	v_bfrev_b32_e32 v61, 1
	s_and_saveexec_b64 s[14:15], s[16:17]
	s_cbranch_execz .LBB627_302
; %bb.299:                              ;   in Loop: Header=BB627_213 Depth=1
	v_bfe_u32 v42, v38, 16, 7
	v_cmp_ne_u32_e32 vcc, s19, v42
	v_mov_b32_e32 v61, 0x7f800001
	s_and_saveexec_b64 s[16:17], vcc
	s_cbranch_execz .LBB627_301
; %bb.300:                              ;   in Loop: Header=BB627_213 Depth=1
	v_and_b32_e32 v50, 7, v40
	v_ffbh_u32_e32 v63, v50
	v_min_u32_e32 v63, 32, v63
	v_subrev_u32_e32 v64, 28, v63
	v_lshlrev_b64 v[64:65], v64, v[40:41]
	v_lshrrev_b32_e32 v61, 3, v42
	v_sub_u32_e32 v63, 29, v63
	v_and_b32_e32 v64, 7, v64
	v_cmp_gt_u32_e32 vcc, 8, v42
	v_cndmask_b32_e32 v42, v61, v63, vcc
	v_cndmask_b32_e32 v50, v50, v64, vcc
	v_lshlrev_b32_e32 v40, 24, v40
	v_lshlrev_b32_e32 v50, 20, v50
	v_and_b32_e32 v40, 0x80000000, v40
	v_lshl_add_u32 v42, v42, 23, v45
	v_or3_b32 v61, v40, v42, v50
.LBB627_301:                            ;   in Loop: Header=BB627_213 Depth=1
	s_or_b64 exec, exec, s[16:17]
.LBB627_302:                            ;   in Loop: Header=BB627_213 Depth=1
	s_or_b64 exec, exec, s[14:15]
.LBB627_303:                            ;   in Loop: Header=BB627_213 Depth=1
	s_or_b64 exec, exec, s[12:13]
	v_cmp_lt_u32_e32 vcc, s20, v38
	v_mov_b32_e32 v50, 0
	v_mov_b32_e32 v63, 0
	s_and_saveexec_b64 s[12:13], vcc
	s_cbranch_execz .LBB627_309
; %bb.304:                              ;   in Loop: Header=BB627_213 Depth=1
	v_lshrrev_b32_e32 v40, 24, v38
	v_cmp_ne_u32_e32 vcc, s9, v40
	v_bfrev_b32_e32 v63, 1
	s_and_saveexec_b64 s[14:15], vcc
	s_cbranch_execz .LBB627_308
; %bb.305:                              ;   in Loop: Header=BB627_213 Depth=1
	v_bfe_u32 v38, v38, 24, 7
	v_cmp_ne_u32_e32 vcc, s19, v38
	v_mov_b32_e32 v63, 0x7f800001
	s_and_saveexec_b64 s[16:17], vcc
	s_cbranch_execz .LBB627_307
; %bb.306:                              ;   in Loop: Header=BB627_213 Depth=1
	v_and_b32_e32 v42, 7, v40
	v_ffbh_u32_e32 v64, v42
	v_min_u32_e32 v66, 32, v64
	v_subrev_u32_e32 v64, 28, v66
	v_lshlrev_b64 v[64:65], v64, v[40:41]
	v_lshrrev_b32_e32 v63, 3, v38
	v_sub_u32_e32 v65, 29, v66
	v_and_b32_e32 v64, 7, v64
	v_cmp_gt_u32_e32 vcc, 8, v38
	v_cndmask_b32_e32 v38, v63, v65, vcc
	v_cndmask_b32_e32 v42, v42, v64, vcc
	v_lshlrev_b32_e32 v40, 24, v40
	v_lshlrev_b32_e32 v42, 20, v42
	v_and_b32_e32 v40, 0x80000000, v40
	v_lshl_add_u32 v38, v38, 23, v45
	v_or3_b32 v63, v40, v38, v42
.LBB627_307:                            ;   in Loop: Header=BB627_213 Depth=1
	s_or_b64 exec, exec, s[16:17]
.LBB627_308:                            ;   in Loop: Header=BB627_213 Depth=1
	s_or_b64 exec, exec, s[14:15]
.LBB627_309:                            ;   in Loop: Header=BB627_213 Depth=1
	s_or_b64 exec, exec, s[12:13]
	v_cvt_pkrtz_f16_f32 v65, v44, v60
	buffer_load_dword v44, v46, s[0:3], 0 offen
	buffer_load_dword v42, v46, s[0:3], 0 offen offset:4
	buffer_load_dword v40, v46, s[0:3], 0 offen offset:8
	;; [unrolled: 1-line block ×3, first 2 shown]
	v_cvt_pkrtz_f16_f32 v64, v51, v52
	v_cvt_pkrtz_f16_f32 v52, v53, v62
	;; [unrolled: 1-line block ×3, first 2 shown]
	v_mfma_f32_16x16x16f16 v[34:37], v[64:65], v[6:7], v[34:37]
	s_waitcnt vmcnt(3)
	v_cmp_ne_u16_sdwa s[14:15], v44, v43 src0_sel:BYTE_0 src1_sel:DWORD
	v_mfma_f32_16x16x16f16 v[34:37], v[52:53], v[8:9], v[34:37]
	s_and_saveexec_b64 s[12:13], s[14:15]
	s_cbranch_execz .LBB627_315
; %bb.310:                              ;   in Loop: Header=BB627_213 Depth=1
	v_cmp_ne_u16_sdwa s[16:17], v44, s9 src0_sel:BYTE_0 src1_sel:DWORD
	v_bfrev_b32_e32 v50, 1
	s_and_saveexec_b64 s[14:15], s[16:17]
	s_cbranch_execz .LBB627_314
; %bb.311:                              ;   in Loop: Header=BB627_213 Depth=1
	v_and_b32_e32 v46, 0x7f, v44
	v_cmp_ne_u32_e32 vcc, s19, v46
	v_mov_b32_e32 v50, 0x7f800001
	s_and_saveexec_b64 s[16:17], vcc
	s_cbranch_execz .LBB627_313
; %bb.312:                              ;   in Loop: Header=BB627_213 Depth=1
	v_and_b32_e32 v52, 7, v44
	v_ffbh_u32_e32 v50, v52
	v_min_u32_e32 v60, 32, v50
	v_subrev_u32_e32 v50, 28, v60
	v_lshlrev_b64 v[50:51], v50, v[44:45]
	v_lshrrev_b32_e32 v53, 3, v46
	v_sub_u32_e32 v51, 29, v60
	v_and_b32_e32 v50, 7, v50
	v_cmp_gt_u32_e32 vcc, 8, v46
	v_cndmask_b32_e32 v46, v53, v51, vcc
	v_cndmask_b32_e32 v50, v52, v50, vcc
	v_lshlrev_b32_e32 v51, 24, v44
	v_lshlrev_b32_e32 v50, 20, v50
	v_and_b32_e32 v51, 0x80000000, v51
	v_lshl_add_u32 v46, v46, 23, v45
	v_or3_b32 v50, v51, v46, v50
.LBB627_313:                            ;   in Loop: Header=BB627_213 Depth=1
	s_or_b64 exec, exec, s[16:17]
.LBB627_314:                            ;   in Loop: Header=BB627_213 Depth=1
	s_or_b64 exec, exec, s[14:15]
.LBB627_315:                            ;   in Loop: Header=BB627_213 Depth=1
	s_or_b64 exec, exec, s[12:13]
	v_lshrrev_b16_e32 v46, 8, v44
	v_cmp_ne_u16_e32 vcc, 0, v46
	v_mov_b32_e32 v51, 0
	v_mov_b32_e32 v52, 0
	s_and_saveexec_b64 s[12:13], vcc
	s_cbranch_execz .LBB627_321
; %bb.316:                              ;   in Loop: Header=BB627_213 Depth=1
	v_cmp_ne_u16_e32 vcc, s9, v46
	v_bfrev_b32_e32 v52, 1
	s_and_saveexec_b64 s[14:15], vcc
	s_cbranch_execz .LBB627_320
; %bb.317:                              ;   in Loop: Header=BB627_213 Depth=1
	v_and_b32_e32 v53, 0x7f, v46
	v_cmp_ne_u32_e32 vcc, s19, v53
	v_mov_b32_e32 v52, 0x7f800001
	s_and_saveexec_b64 s[16:17], vcc
	s_cbranch_execz .LBB627_319
; %bb.318:                              ;   in Loop: Header=BB627_213 Depth=1
	v_and_b32_e32 v52, 7, v46
	v_ffbh_u32_e32 v60, v52
	v_min_u32_e32 v63, 32, v60
	v_subrev_u32_e32 v60, 28, v63
	v_lshlrev_b64 v[60:61], v60, v[46:47]
	v_lshrrev_b32_e32 v62, 3, v53
	v_sub_u32_e32 v46, 29, v63
	v_and_b32_e32 v60, 7, v60
	v_cmp_gt_u32_e32 vcc, 8, v53
	v_cndmask_b32_e32 v46, v62, v46, vcc
	v_cndmask_b32_e32 v52, v52, v60, vcc
	v_lshlrev_b32_e32 v53, 16, v44
	v_lshlrev_b32_e32 v52, 20, v52
	v_and_b32_e32 v53, 0x80000000, v53
	v_lshl_add_u32 v46, v46, 23, v45
	v_or3_b32 v52, v53, v46, v52
.LBB627_319:                            ;   in Loop: Header=BB627_213 Depth=1
	s_or_b64 exec, exec, s[16:17]
.LBB627_320:                            ;   in Loop: Header=BB627_213 Depth=1
	s_or_b64 exec, exec, s[14:15]
.LBB627_321:                            ;   in Loop: Header=BB627_213 Depth=1
	s_or_b64 exec, exec, s[12:13]
	v_lshrrev_b32_e32 v46, 16, v44
	v_cmp_ne_u16_sdwa s[14:15], v46, v43 src0_sel:BYTE_0 src1_sel:DWORD
	s_and_saveexec_b64 s[12:13], s[14:15]
	s_cbranch_execz .LBB627_327
; %bb.322:                              ;   in Loop: Header=BB627_213 Depth=1
	v_cmp_ne_u16_sdwa s[16:17], v46, s9 src0_sel:BYTE_0 src1_sel:DWORD
	v_bfrev_b32_e32 v51, 1
	s_and_saveexec_b64 s[14:15], s[16:17]
	s_cbranch_execz .LBB627_326
; %bb.323:                              ;   in Loop: Header=BB627_213 Depth=1
	v_bfe_u32 v53, v44, 16, 7
	v_cmp_ne_u32_e32 vcc, s19, v53
	v_mov_b32_e32 v51, 0x7f800001
	s_and_saveexec_b64 s[16:17], vcc
	s_cbranch_execz .LBB627_325
; %bb.324:                              ;   in Loop: Header=BB627_213 Depth=1
	v_and_b32_e32 v51, 7, v46
	v_ffbh_u32_e32 v60, v51
	v_min_u32_e32 v63, 32, v60
	v_subrev_u32_e32 v60, 28, v63
	v_lshlrev_b64 v[60:61], v60, v[46:47]
	v_lshrrev_b32_e32 v62, 3, v53
	v_sub_u32_e32 v61, 29, v63
	v_and_b32_e32 v60, 7, v60
	v_cmp_gt_u32_e32 vcc, 8, v53
	v_cndmask_b32_e32 v53, v62, v61, vcc
	v_cndmask_b32_e32 v51, v51, v60, vcc
	v_lshlrev_b32_e32 v46, 24, v46
	v_lshlrev_b32_e32 v51, 20, v51
	v_and_b32_e32 v46, 0x80000000, v46
	v_lshl_add_u32 v53, v53, 23, v45
	v_or3_b32 v51, v46, v53, v51
.LBB627_325:                            ;   in Loop: Header=BB627_213 Depth=1
	s_or_b64 exec, exec, s[16:17]
.LBB627_326:                            ;   in Loop: Header=BB627_213 Depth=1
	s_or_b64 exec, exec, s[14:15]
.LBB627_327:                            ;   in Loop: Header=BB627_213 Depth=1
	s_or_b64 exec, exec, s[12:13]
	v_cmp_lt_u32_e32 vcc, s20, v44
	v_mov_b32_e32 v53, 0
	v_mov_b32_e32 v60, 0
	s_and_saveexec_b64 s[12:13], vcc
	s_cbranch_execz .LBB627_333
; %bb.328:                              ;   in Loop: Header=BB627_213 Depth=1
	v_lshrrev_b32_e32 v46, 24, v44
	v_cmp_ne_u32_e32 vcc, s9, v46
	v_bfrev_b32_e32 v60, 1
	s_and_saveexec_b64 s[14:15], vcc
	s_cbranch_execz .LBB627_332
; %bb.329:                              ;   in Loop: Header=BB627_213 Depth=1
	v_bfe_u32 v44, v44, 24, 7
	v_cmp_ne_u32_e32 vcc, s19, v44
	v_mov_b32_e32 v60, 0x7f800001
	s_and_saveexec_b64 s[16:17], vcc
	s_cbranch_execz .LBB627_331
; %bb.330:                              ;   in Loop: Header=BB627_213 Depth=1
	v_and_b32_e32 v62, 7, v46
	v_ffbh_u32_e32 v60, v62
	v_min_u32_e32 v64, 32, v60
	v_subrev_u32_e32 v60, 28, v64
	v_lshlrev_b64 v[60:61], v60, v[46:47]
	v_lshrrev_b32_e32 v63, 3, v44
	v_sub_u32_e32 v61, 29, v64
	v_and_b32_e32 v60, 7, v60
	v_cmp_gt_u32_e32 vcc, 8, v44
	v_cndmask_b32_e32 v44, v63, v61, vcc
	v_cndmask_b32_e32 v60, v62, v60, vcc
	v_lshlrev_b32_e32 v46, 24, v46
	v_lshlrev_b32_e32 v60, 20, v60
	v_and_b32_e32 v46, 0x80000000, v46
	v_lshl_add_u32 v44, v44, 23, v45
	v_or3_b32 v60, v46, v44, v60
.LBB627_331:                            ;   in Loop: Header=BB627_213 Depth=1
	s_or_b64 exec, exec, s[16:17]
.LBB627_332:                            ;   in Loop: Header=BB627_213 Depth=1
	s_or_b64 exec, exec, s[14:15]
.LBB627_333:                            ;   in Loop: Header=BB627_213 Depth=1
	s_or_b64 exec, exec, s[12:13]
	s_waitcnt vmcnt(2)
	v_cmp_ne_u16_sdwa s[14:15], v42, v43 src0_sel:BYTE_0 src1_sel:DWORD
	s_and_saveexec_b64 s[12:13], s[14:15]
	s_cbranch_execz .LBB627_339
; %bb.334:                              ;   in Loop: Header=BB627_213 Depth=1
	v_cmp_ne_u16_sdwa s[16:17], v42, s9 src0_sel:BYTE_0 src1_sel:DWORD
	v_bfrev_b32_e32 v53, 1
	s_and_saveexec_b64 s[14:15], s[16:17]
	s_cbranch_execz .LBB627_338
; %bb.335:                              ;   in Loop: Header=BB627_213 Depth=1
	v_and_b32_e32 v44, 0x7f, v42
	v_cmp_ne_u32_e32 vcc, s19, v44
	v_mov_b32_e32 v53, 0x7f800001
	s_and_saveexec_b64 s[16:17], vcc
	s_cbranch_execz .LBB627_337
; %bb.336:                              ;   in Loop: Header=BB627_213 Depth=1
	v_and_b32_e32 v46, 7, v42
	v_ffbh_u32_e32 v61, v46
	v_min_u32_e32 v61, 32, v61
	v_subrev_u32_e32 v62, 28, v61
	v_lshlrev_b64 v[62:63], v62, v[42:43]
	v_lshrrev_b32_e32 v53, 3, v44
	v_sub_u32_e32 v61, 29, v61
	v_and_b32_e32 v62, 7, v62
	v_cmp_gt_u32_e32 vcc, 8, v44
	v_cndmask_b32_e32 v44, v53, v61, vcc
	v_cndmask_b32_e32 v46, v46, v62, vcc
	v_lshlrev_b32_e32 v53, 24, v42
	v_lshlrev_b32_e32 v46, 20, v46
	v_and_b32_e32 v53, 0x80000000, v53
	v_lshl_add_u32 v44, v44, 23, v45
	v_or3_b32 v53, v53, v44, v46
.LBB627_337:                            ;   in Loop: Header=BB627_213 Depth=1
	s_or_b64 exec, exec, s[16:17]
.LBB627_338:                            ;   in Loop: Header=BB627_213 Depth=1
	s_or_b64 exec, exec, s[14:15]
.LBB627_339:                            ;   in Loop: Header=BB627_213 Depth=1
	s_or_b64 exec, exec, s[12:13]
	v_lshrrev_b16_e32 v44, 8, v42
	v_cmp_ne_u16_e32 vcc, 0, v44
	v_mov_b32_e32 v61, 0
	v_mov_b32_e32 v62, 0
	s_and_saveexec_b64 s[12:13], vcc
	s_cbranch_execz .LBB627_345
; %bb.340:                              ;   in Loop: Header=BB627_213 Depth=1
	v_cmp_ne_u16_e32 vcc, s9, v44
	v_bfrev_b32_e32 v62, 1
	s_and_saveexec_b64 s[14:15], vcc
	s_cbranch_execz .LBB627_344
; %bb.341:                              ;   in Loop: Header=BB627_213 Depth=1
	v_and_b32_e32 v46, 0x7f, v44
	v_cmp_ne_u32_e32 vcc, s19, v46
	v_mov_b32_e32 v62, 0x7f800001
	s_and_saveexec_b64 s[16:17], vcc
	s_cbranch_execz .LBB627_343
; %bb.342:                              ;   in Loop: Header=BB627_213 Depth=1
	v_and_b32_e32 v64, 7, v44
	v_ffbh_u32_e32 v62, v64
	v_min_u32_e32 v66, 32, v62
	v_subrev_u32_e32 v62, 28, v66
	v_lshlrev_b64 v[62:63], v62, v[44:45]
	v_lshrrev_b32_e32 v65, 3, v46
	v_sub_u32_e32 v44, 29, v66
	v_and_b32_e32 v62, 7, v62
	v_cmp_gt_u32_e32 vcc, 8, v46
	v_cndmask_b32_e32 v44, v65, v44, vcc
	v_cndmask_b32_e32 v46, v64, v62, vcc
	v_lshlrev_b32_e32 v62, 16, v42
	v_lshlrev_b32_e32 v46, 20, v46
	v_and_b32_e32 v62, 0x80000000, v62
	v_lshl_add_u32 v44, v44, 23, v45
	v_or3_b32 v62, v62, v44, v46
.LBB627_343:                            ;   in Loop: Header=BB627_213 Depth=1
	s_or_b64 exec, exec, s[16:17]
.LBB627_344:                            ;   in Loop: Header=BB627_213 Depth=1
	s_or_b64 exec, exec, s[14:15]
.LBB627_345:                            ;   in Loop: Header=BB627_213 Depth=1
	s_or_b64 exec, exec, s[12:13]
	v_lshrrev_b32_e32 v44, 16, v42
	v_cmp_ne_u16_sdwa s[14:15], v44, v43 src0_sel:BYTE_0 src1_sel:DWORD
	s_and_saveexec_b64 s[12:13], s[14:15]
	s_cbranch_execz .LBB627_351
; %bb.346:                              ;   in Loop: Header=BB627_213 Depth=1
	v_cmp_ne_u16_sdwa s[16:17], v44, s9 src0_sel:BYTE_0 src1_sel:DWORD
	v_bfrev_b32_e32 v61, 1
	s_and_saveexec_b64 s[14:15], s[16:17]
	s_cbranch_execz .LBB627_350
; %bb.347:                              ;   in Loop: Header=BB627_213 Depth=1
	v_bfe_u32 v46, v42, 16, 7
	v_cmp_ne_u32_e32 vcc, s19, v46
	v_mov_b32_e32 v61, 0x7f800001
	s_and_saveexec_b64 s[16:17], vcc
	s_cbranch_execz .LBB627_349
; %bb.348:                              ;   in Loop: Header=BB627_213 Depth=1
	v_and_b32_e32 v61, 7, v44
	v_ffbh_u32_e32 v64, v61
	v_min_u32_e32 v66, 32, v64
	v_subrev_u32_e32 v64, 28, v66
	v_lshlrev_b64 v[64:65], v64, v[44:45]
	v_lshrrev_b32_e32 v63, 3, v46
	v_sub_u32_e32 v65, 29, v66
	v_and_b32_e32 v64, 7, v64
	v_cmp_gt_u32_e32 vcc, 8, v46
	v_cndmask_b32_e32 v46, v63, v65, vcc
	v_cndmask_b32_e32 v61, v61, v64, vcc
	v_lshlrev_b32_e32 v44, 24, v44
	v_lshlrev_b32_e32 v61, 20, v61
	v_and_b32_e32 v44, 0x80000000, v44
	v_lshl_add_u32 v46, v46, 23, v45
	v_or3_b32 v61, v44, v46, v61
.LBB627_349:                            ;   in Loop: Header=BB627_213 Depth=1
	s_or_b64 exec, exec, s[16:17]
.LBB627_350:                            ;   in Loop: Header=BB627_213 Depth=1
	s_or_b64 exec, exec, s[14:15]
.LBB627_351:                            ;   in Loop: Header=BB627_213 Depth=1
	s_or_b64 exec, exec, s[12:13]
	v_cmp_lt_u32_e32 vcc, s20, v42
	v_mov_b32_e32 v46, 0
	v_mov_b32_e32 v63, 0
	s_and_saveexec_b64 s[12:13], vcc
	s_cbranch_execz .LBB627_357
; %bb.352:                              ;   in Loop: Header=BB627_213 Depth=1
	v_lshrrev_b32_e32 v44, 24, v42
	v_cmp_ne_u32_e32 vcc, s9, v44
	v_bfrev_b32_e32 v63, 1
	s_and_saveexec_b64 s[14:15], vcc
	s_cbranch_execz .LBB627_356
; %bb.353:                              ;   in Loop: Header=BB627_213 Depth=1
	v_bfe_u32 v42, v42, 24, 7
	v_cmp_ne_u32_e32 vcc, s19, v42
	v_mov_b32_e32 v63, 0x7f800001
	s_and_saveexec_b64 s[16:17], vcc
	s_cbranch_execz .LBB627_355
; %bb.354:                              ;   in Loop: Header=BB627_213 Depth=1
	v_and_b32_e32 v63, 7, v44
	v_ffbh_u32_e32 v64, v63
	v_min_u32_e32 v67, 32, v64
	v_subrev_u32_e32 v64, 28, v67
	v_lshlrev_b64 v[64:65], v64, v[44:45]
	v_lshrrev_b32_e32 v66, 3, v42
	v_sub_u32_e32 v65, 29, v67
	v_and_b32_e32 v64, 7, v64
	v_cmp_gt_u32_e32 vcc, 8, v42
	v_cndmask_b32_e32 v42, v66, v65, vcc
	v_cndmask_b32_e32 v63, v63, v64, vcc
	v_lshlrev_b32_e32 v44, 24, v44
	v_lshlrev_b32_e32 v63, 20, v63
	v_and_b32_e32 v44, 0x80000000, v44
	v_lshl_add_u32 v42, v42, 23, v45
	v_or3_b32 v63, v44, v42, v63
.LBB627_355:                            ;   in Loop: Header=BB627_213 Depth=1
	s_or_b64 exec, exec, s[16:17]
.LBB627_356:                            ;   in Loop: Header=BB627_213 Depth=1
	s_or_b64 exec, exec, s[14:15]
.LBB627_357:                            ;   in Loop: Header=BB627_213 Depth=1
	s_or_b64 exec, exec, s[12:13]
	v_cvt_pkrtz_f16_f32 v50, v50, v52
	v_cvt_pkrtz_f16_f32 v51, v51, v60
	s_waitcnt vmcnt(1)
	v_cmp_ne_u16_sdwa s[14:15], v40, v43 src0_sel:BYTE_0 src1_sel:DWORD
	v_mfma_f32_16x16x16f16 v[34:37], v[50:51], v[10:11], v[34:37]
	v_cvt_pkrtz_f16_f32 v50, v53, v62
	v_cvt_pkrtz_f16_f32 v51, v61, v63
	s_nop 1
	v_mfma_f32_16x16x16f16 v[34:37], v[50:51], v[12:13], v[34:37]
	s_and_saveexec_b64 s[12:13], s[14:15]
	s_cbranch_execz .LBB627_363
; %bb.358:                              ;   in Loop: Header=BB627_213 Depth=1
	v_cmp_ne_u16_sdwa s[16:17], v40, s9 src0_sel:BYTE_0 src1_sel:DWORD
	v_bfrev_b32_e32 v46, 1
	s_and_saveexec_b64 s[14:15], s[16:17]
	s_cbranch_execz .LBB627_362
; %bb.359:                              ;   in Loop: Header=BB627_213 Depth=1
	v_and_b32_e32 v42, 0x7f, v40
	v_cmp_ne_u32_e32 vcc, s19, v42
	v_mov_b32_e32 v46, 0x7f800001
	s_and_saveexec_b64 s[16:17], vcc
	s_cbranch_execz .LBB627_361
; %bb.360:                              ;   in Loop: Header=BB627_213 Depth=1
	v_and_b32_e32 v44, 7, v40
	v_ffbh_u32_e32 v50, v44
	v_min_u32_e32 v52, 32, v50
	v_subrev_u32_e32 v50, 28, v52
	v_lshlrev_b64 v[50:51], v50, v[40:41]
	v_lshrrev_b32_e32 v46, 3, v42
	v_sub_u32_e32 v51, 29, v52
	v_and_b32_e32 v50, 7, v50
	v_cmp_gt_u32_e32 vcc, 8, v42
	v_cndmask_b32_e32 v42, v46, v51, vcc
	v_cndmask_b32_e32 v44, v44, v50, vcc
	v_lshlrev_b32_e32 v46, 24, v40
	v_lshlrev_b32_e32 v44, 20, v44
	v_and_b32_e32 v46, 0x80000000, v46
	v_lshl_add_u32 v42, v42, 23, v45
	v_or3_b32 v46, v46, v42, v44
.LBB627_361:                            ;   in Loop: Header=BB627_213 Depth=1
	s_or_b64 exec, exec, s[16:17]
.LBB627_362:                            ;   in Loop: Header=BB627_213 Depth=1
	s_or_b64 exec, exec, s[14:15]
.LBB627_363:                            ;   in Loop: Header=BB627_213 Depth=1
	s_or_b64 exec, exec, s[12:13]
	v_lshrrev_b16_e32 v42, 8, v40
	v_cmp_ne_u16_e32 vcc, 0, v42
	v_mov_b32_e32 v44, 0
	v_mov_b32_e32 v51, 0
	s_and_saveexec_b64 s[12:13], vcc
	s_cbranch_execz .LBB627_369
; %bb.364:                              ;   in Loop: Header=BB627_213 Depth=1
	v_cmp_ne_u16_e32 vcc, s9, v42
	v_bfrev_b32_e32 v51, 1
	s_and_saveexec_b64 s[14:15], vcc
	s_cbranch_execz .LBB627_368
; %bb.365:                              ;   in Loop: Header=BB627_213 Depth=1
	v_and_b32_e32 v50, 0x7f, v42
	v_cmp_ne_u32_e32 vcc, s19, v50
	v_mov_b32_e32 v51, 0x7f800001
	s_and_saveexec_b64 s[16:17], vcc
	s_cbranch_execz .LBB627_367
; %bb.366:                              ;   in Loop: Header=BB627_213 Depth=1
	v_and_b32_e32 v51, 7, v42
	v_ffbh_u32_e32 v52, v51
	v_min_u32_e32 v61, 32, v52
	v_subrev_u32_e32 v52, 28, v61
	v_lshlrev_b64 v[52:53], v52, v[42:43]
	v_lshrrev_b32_e32 v60, 3, v50
	v_sub_u32_e32 v42, 29, v61
	v_and_b32_e32 v52, 7, v52
	v_cmp_gt_u32_e32 vcc, 8, v50
	v_cndmask_b32_e32 v42, v60, v42, vcc
	v_cndmask_b32_e32 v50, v51, v52, vcc
	v_lshlrev_b32_e32 v51, 16, v40
	v_lshlrev_b32_e32 v50, 20, v50
	v_and_b32_e32 v51, 0x80000000, v51
	v_lshl_add_u32 v42, v42, 23, v45
	v_or3_b32 v51, v51, v42, v50
.LBB627_367:                            ;   in Loop: Header=BB627_213 Depth=1
	s_or_b64 exec, exec, s[16:17]
.LBB627_368:                            ;   in Loop: Header=BB627_213 Depth=1
	s_or_b64 exec, exec, s[14:15]
.LBB627_369:                            ;   in Loop: Header=BB627_213 Depth=1
	s_or_b64 exec, exec, s[12:13]
	v_lshrrev_b32_e32 v42, 16, v40
	v_cmp_ne_u16_sdwa s[14:15], v42, v43 src0_sel:BYTE_0 src1_sel:DWORD
	s_and_saveexec_b64 s[12:13], s[14:15]
	s_cbranch_execz .LBB627_375
; %bb.370:                              ;   in Loop: Header=BB627_213 Depth=1
	v_cmp_ne_u16_sdwa s[16:17], v42, s9 src0_sel:BYTE_0 src1_sel:DWORD
	v_bfrev_b32_e32 v44, 1
	s_and_saveexec_b64 s[14:15], s[16:17]
	s_cbranch_execz .LBB627_374
; %bb.371:                              ;   in Loop: Header=BB627_213 Depth=1
	v_bfe_u32 v50, v40, 16, 7
	v_cmp_ne_u32_e32 vcc, s19, v50
	v_mov_b32_e32 v44, 0x7f800001
	s_and_saveexec_b64 s[16:17], vcc
	s_cbranch_execz .LBB627_373
; %bb.372:                              ;   in Loop: Header=BB627_213 Depth=1
	v_and_b32_e32 v44, 7, v42
	v_ffbh_u32_e32 v52, v44
	v_min_u32_e32 v61, 32, v52
	v_subrev_u32_e32 v52, 28, v61
	v_lshlrev_b64 v[52:53], v52, v[42:43]
	v_lshrrev_b32_e32 v60, 3, v50
	v_sub_u32_e32 v53, 29, v61
	v_and_b32_e32 v52, 7, v52
	v_cmp_gt_u32_e32 vcc, 8, v50
	v_cndmask_b32_e32 v50, v60, v53, vcc
	v_cndmask_b32_e32 v44, v44, v52, vcc
	v_lshlrev_b32_e32 v42, 24, v42
	v_lshlrev_b32_e32 v44, 20, v44
	v_and_b32_e32 v42, 0x80000000, v42
	v_lshl_add_u32 v50, v50, 23, v45
	v_or3_b32 v44, v42, v50, v44
.LBB627_373:                            ;   in Loop: Header=BB627_213 Depth=1
	s_or_b64 exec, exec, s[16:17]
.LBB627_374:                            ;   in Loop: Header=BB627_213 Depth=1
	s_or_b64 exec, exec, s[14:15]
.LBB627_375:                            ;   in Loop: Header=BB627_213 Depth=1
	s_or_b64 exec, exec, s[12:13]
	v_cmp_lt_u32_e32 vcc, s20, v40
	v_mov_b32_e32 v52, 0
	v_mov_b32_e32 v53, 0
	s_and_saveexec_b64 s[12:13], vcc
	s_cbranch_execz .LBB627_381
; %bb.376:                              ;   in Loop: Header=BB627_213 Depth=1
	v_lshrrev_b32_e32 v42, 24, v40
	v_cmp_ne_u32_e32 vcc, s9, v42
	v_bfrev_b32_e32 v53, 1
	s_and_saveexec_b64 s[14:15], vcc
	s_cbranch_execz .LBB627_380
; %bb.377:                              ;   in Loop: Header=BB627_213 Depth=1
	v_bfe_u32 v40, v40, 24, 7
	v_cmp_ne_u32_e32 vcc, s19, v40
	v_mov_b32_e32 v53, 0x7f800001
	s_and_saveexec_b64 s[16:17], vcc
	s_cbranch_execz .LBB627_379
; %bb.378:                              ;   in Loop: Header=BB627_213 Depth=1
	v_and_b32_e32 v50, 7, v42
	v_ffbh_u32_e32 v60, v50
	v_min_u32_e32 v62, 32, v60
	v_subrev_u32_e32 v60, 28, v62
	v_lshlrev_b64 v[60:61], v60, v[42:43]
	v_lshrrev_b32_e32 v53, 3, v40
	v_sub_u32_e32 v61, 29, v62
	v_and_b32_e32 v60, 7, v60
	v_cmp_gt_u32_e32 vcc, 8, v40
	v_cndmask_b32_e32 v40, v53, v61, vcc
	v_cndmask_b32_e32 v50, v50, v60, vcc
	v_lshlrev_b32_e32 v42, 24, v42
	v_lshlrev_b32_e32 v50, 20, v50
	v_and_b32_e32 v42, 0x80000000, v42
	v_lshl_add_u32 v40, v40, 23, v45
	v_or3_b32 v53, v42, v40, v50
.LBB627_379:                            ;   in Loop: Header=BB627_213 Depth=1
	s_or_b64 exec, exec, s[16:17]
.LBB627_380:                            ;   in Loop: Header=BB627_213 Depth=1
	s_or_b64 exec, exec, s[14:15]
.LBB627_381:                            ;   in Loop: Header=BB627_213 Depth=1
	s_or_b64 exec, exec, s[12:13]
	s_waitcnt vmcnt(0)
	v_cmp_ne_u16_sdwa s[14:15], v38, v43 src0_sel:BYTE_0 src1_sel:DWORD
	s_and_saveexec_b64 s[12:13], s[14:15]
	s_cbranch_execz .LBB627_387
; %bb.382:                              ;   in Loop: Header=BB627_213 Depth=1
	v_cmp_ne_u16_sdwa s[16:17], v38, s9 src0_sel:BYTE_0 src1_sel:DWORD
	v_bfrev_b32_e32 v52, 1
	s_and_saveexec_b64 s[14:15], s[16:17]
	s_cbranch_execz .LBB627_386
; %bb.383:                              ;   in Loop: Header=BB627_213 Depth=1
	v_and_b32_e32 v40, 0x7f, v38
	v_cmp_ne_u32_e32 vcc, s19, v40
	v_mov_b32_e32 v52, 0x7f800001
	s_and_saveexec_b64 s[16:17], vcc
	s_cbranch_execz .LBB627_385
; %bb.384:                              ;   in Loop: Header=BB627_213 Depth=1
	v_and_b32_e32 v42, 7, v38
	v_ffbh_u32_e32 v52, v42
	v_min_u32_e32 v52, 32, v52
	v_subrev_u32_e32 v60, 28, v52
	v_lshlrev_b64 v[60:61], v60, v[38:39]
	v_lshrrev_b32_e32 v50, 3, v40
	v_sub_u32_e32 v52, 29, v52
	v_and_b32_e32 v60, 7, v60
	v_cmp_gt_u32_e32 vcc, 8, v40
	v_cndmask_b32_e32 v40, v50, v52, vcc
	v_cndmask_b32_e32 v42, v42, v60, vcc
	v_lshlrev_b32_e32 v50, 24, v38
	v_lshlrev_b32_e32 v42, 20, v42
	v_and_b32_e32 v50, 0x80000000, v50
	v_lshl_add_u32 v40, v40, 23, v45
	v_or3_b32 v52, v50, v40, v42
.LBB627_385:                            ;   in Loop: Header=BB627_213 Depth=1
	s_or_b64 exec, exec, s[16:17]
.LBB627_386:                            ;   in Loop: Header=BB627_213 Depth=1
	s_or_b64 exec, exec, s[14:15]
.LBB627_387:                            ;   in Loop: Header=BB627_213 Depth=1
	s_or_b64 exec, exec, s[12:13]
	v_lshrrev_b16_e32 v40, 8, v38
	v_cmp_ne_u16_e32 vcc, 0, v40
	v_mov_b32_e32 v60, 0
	v_mov_b32_e32 v61, 0
	s_and_saveexec_b64 s[12:13], vcc
	s_cbranch_execz .LBB627_393
; %bb.388:                              ;   in Loop: Header=BB627_213 Depth=1
	v_cmp_ne_u16_e32 vcc, s9, v40
	v_bfrev_b32_e32 v61, 1
	s_and_saveexec_b64 s[14:15], vcc
	s_cbranch_execz .LBB627_392
; %bb.389:                              ;   in Loop: Header=BB627_213 Depth=1
	v_and_b32_e32 v42, 0x7f, v40
	v_cmp_ne_u32_e32 vcc, s19, v42
	v_mov_b32_e32 v61, 0x7f800001
	s_and_saveexec_b64 s[16:17], vcc
	s_cbranch_execz .LBB627_391
; %bb.390:                              ;   in Loop: Header=BB627_213 Depth=1
	v_and_b32_e32 v50, 7, v40
	v_ffbh_u32_e32 v62, v50
	v_min_u32_e32 v64, 32, v62
	v_subrev_u32_e32 v62, 28, v64
	v_lshlrev_b64 v[62:63], v62, v[40:41]
	v_lshrrev_b32_e32 v61, 3, v42
	v_sub_u32_e32 v40, 29, v64
	v_and_b32_e32 v62, 7, v62
	v_cmp_gt_u32_e32 vcc, 8, v42
	v_cndmask_b32_e32 v40, v61, v40, vcc
	v_cndmask_b32_e32 v42, v50, v62, vcc
	v_lshlrev_b32_e32 v50, 16, v38
	v_lshlrev_b32_e32 v42, 20, v42
	v_and_b32_e32 v50, 0x80000000, v50
	v_lshl_add_u32 v40, v40, 23, v45
	v_or3_b32 v61, v50, v40, v42
.LBB627_391:                            ;   in Loop: Header=BB627_213 Depth=1
	s_or_b64 exec, exec, s[16:17]
.LBB627_392:                            ;   in Loop: Header=BB627_213 Depth=1
	s_or_b64 exec, exec, s[14:15]
.LBB627_393:                            ;   in Loop: Header=BB627_213 Depth=1
	s_or_b64 exec, exec, s[12:13]
	v_lshrrev_b32_e32 v40, 16, v38
	v_cmp_ne_u16_sdwa s[14:15], v40, v43 src0_sel:BYTE_0 src1_sel:DWORD
	s_and_saveexec_b64 s[12:13], s[14:15]
	s_cbranch_execz .LBB627_399
; %bb.394:                              ;   in Loop: Header=BB627_213 Depth=1
	v_cmp_ne_u16_sdwa s[16:17], v40, s9 src0_sel:BYTE_0 src1_sel:DWORD
	v_bfrev_b32_e32 v60, 1
	s_and_saveexec_b64 s[14:15], s[16:17]
	s_cbranch_execz .LBB627_398
; %bb.395:                              ;   in Loop: Header=BB627_213 Depth=1
	v_bfe_u32 v42, v38, 16, 7
	v_cmp_ne_u32_e32 vcc, s19, v42
	v_mov_b32_e32 v60, 0x7f800001
	s_and_saveexec_b64 s[16:17], vcc
	s_cbranch_execz .LBB627_397
; %bb.396:                              ;   in Loop: Header=BB627_213 Depth=1
	v_and_b32_e32 v50, 7, v40
	v_ffbh_u32_e32 v62, v50
	v_min_u32_e32 v64, 32, v62
	v_subrev_u32_e32 v62, 28, v64
	v_lshlrev_b64 v[62:63], v62, v[40:41]
	v_lshrrev_b32_e32 v60, 3, v42
	v_sub_u32_e32 v63, 29, v64
	v_and_b32_e32 v62, 7, v62
	v_cmp_gt_u32_e32 vcc, 8, v42
	v_cndmask_b32_e32 v42, v60, v63, vcc
	v_cndmask_b32_e32 v50, v50, v62, vcc
	v_lshlrev_b32_e32 v40, 24, v40
	v_lshlrev_b32_e32 v50, 20, v50
	v_and_b32_e32 v40, 0x80000000, v40
	v_lshl_add_u32 v42, v42, 23, v45
	v_or3_b32 v60, v40, v42, v50
.LBB627_397:                            ;   in Loop: Header=BB627_213 Depth=1
	s_or_b64 exec, exec, s[16:17]
.LBB627_398:                            ;   in Loop: Header=BB627_213 Depth=1
	s_or_b64 exec, exec, s[14:15]
.LBB627_399:                            ;   in Loop: Header=BB627_213 Depth=1
	s_or_b64 exec, exec, s[12:13]
	v_cmp_lt_u32_e32 vcc, s20, v38
	v_mov_b32_e32 v50, 0
	v_mov_b32_e32 v62, 0
	s_and_saveexec_b64 s[12:13], vcc
	s_cbranch_execz .LBB627_405
; %bb.400:                              ;   in Loop: Header=BB627_213 Depth=1
	v_lshrrev_b32_e32 v40, 24, v38
	v_cmp_ne_u32_e32 vcc, s9, v40
	v_bfrev_b32_e32 v62, 1
	s_and_saveexec_b64 s[14:15], vcc
	s_cbranch_execz .LBB627_404
; %bb.401:                              ;   in Loop: Header=BB627_213 Depth=1
	v_bfe_u32 v38, v38, 24, 7
	v_cmp_ne_u32_e32 vcc, s19, v38
	v_mov_b32_e32 v62, 0x7f800001
	s_and_saveexec_b64 s[16:17], vcc
	s_cbranch_execz .LBB627_403
; %bb.402:                              ;   in Loop: Header=BB627_213 Depth=1
	v_and_b32_e32 v42, 7, v40
	v_ffbh_u32_e32 v62, v42
	v_min_u32_e32 v65, 32, v62
	v_subrev_u32_e32 v62, 28, v65
	v_lshlrev_b64 v[62:63], v62, v[40:41]
	v_lshrrev_b32_e32 v64, 3, v38
	v_sub_u32_e32 v63, 29, v65
	v_and_b32_e32 v62, 7, v62
	v_cmp_gt_u32_e32 vcc, 8, v38
	v_cndmask_b32_e32 v38, v64, v63, vcc
	v_cndmask_b32_e32 v42, v42, v62, vcc
	v_lshlrev_b32_e32 v40, 24, v40
	v_lshlrev_b32_e32 v42, 20, v42
	v_and_b32_e32 v40, 0x80000000, v40
	v_lshl_add_u32 v38, v38, 23, v45
	v_or3_b32 v62, v40, v38, v42
.LBB627_403:                            ;   in Loop: Header=BB627_213 Depth=1
	s_or_b64 exec, exec, s[16:17]
.LBB627_404:                            ;   in Loop: Header=BB627_213 Depth=1
	s_or_b64 exec, exec, s[14:15]
.LBB627_405:                            ;   in Loop: Header=BB627_213 Depth=1
	s_or_b64 exec, exec, s[12:13]
	v_cvt_pkrtz_f16_f32 v65, v44, v53
	buffer_load_dword v44, v59, s[0:3], 0 offen
	buffer_load_dword v42, v59, s[0:3], 0 offen offset:4
	buffer_load_dword v40, v59, s[0:3], 0 offen offset:8
	;; [unrolled: 1-line block ×3, first 2 shown]
	v_cvt_pkrtz_f16_f32 v64, v46, v51
	v_cvt_pkrtz_f16_f32 v52, v52, v61
	;; [unrolled: 1-line block ×3, first 2 shown]
	v_mfma_f32_16x16x16f16 v[34:37], v[64:65], v[14:15], v[34:37]
	s_waitcnt vmcnt(3)
	v_cmp_ne_u16_sdwa s[14:15], v44, v43 src0_sel:BYTE_0 src1_sel:DWORD
	v_mfma_f32_16x16x16f16 v[34:37], v[52:53], v[16:17], v[34:37]
	s_and_saveexec_b64 s[12:13], s[14:15]
	s_cbranch_execz .LBB627_411
; %bb.406:                              ;   in Loop: Header=BB627_213 Depth=1
	v_cmp_ne_u16_sdwa s[16:17], v44, s9 src0_sel:BYTE_0 src1_sel:DWORD
	v_bfrev_b32_e32 v50, 1
	s_and_saveexec_b64 s[14:15], s[16:17]
	s_cbranch_execz .LBB627_410
; %bb.407:                              ;   in Loop: Header=BB627_213 Depth=1
	v_and_b32_e32 v46, 0x7f, v44
	v_cmp_ne_u32_e32 vcc, s19, v46
	v_mov_b32_e32 v50, 0x7f800001
	s_and_saveexec_b64 s[16:17], vcc
	s_cbranch_execz .LBB627_409
; %bb.408:                              ;   in Loop: Header=BB627_213 Depth=1
	v_and_b32_e32 v52, 7, v44
	v_ffbh_u32_e32 v50, v52
	v_min_u32_e32 v59, 32, v50
	v_subrev_u32_e32 v50, 28, v59
	v_lshlrev_b64 v[50:51], v50, v[44:45]
	v_lshrrev_b32_e32 v53, 3, v46
	v_sub_u32_e32 v51, 29, v59
	v_and_b32_e32 v50, 7, v50
	v_cmp_gt_u32_e32 vcc, 8, v46
	v_cndmask_b32_e32 v46, v53, v51, vcc
	v_cndmask_b32_e32 v50, v52, v50, vcc
	v_lshlrev_b32_e32 v51, 24, v44
	v_lshlrev_b32_e32 v50, 20, v50
	v_and_b32_e32 v51, 0x80000000, v51
	v_lshl_add_u32 v46, v46, 23, v45
	v_or3_b32 v50, v51, v46, v50
.LBB627_409:                            ;   in Loop: Header=BB627_213 Depth=1
	s_or_b64 exec, exec, s[16:17]
.LBB627_410:                            ;   in Loop: Header=BB627_213 Depth=1
	s_or_b64 exec, exec, s[14:15]
.LBB627_411:                            ;   in Loop: Header=BB627_213 Depth=1
	s_or_b64 exec, exec, s[12:13]
	v_lshrrev_b16_e32 v46, 8, v44
	v_cmp_ne_u16_e32 vcc, 0, v46
	v_mov_b32_e32 v51, 0
	v_mov_b32_e32 v52, 0
	s_and_saveexec_b64 s[12:13], vcc
	s_cbranch_execz .LBB627_417
; %bb.412:                              ;   in Loop: Header=BB627_213 Depth=1
	v_cmp_ne_u16_e32 vcc, s9, v46
	v_bfrev_b32_e32 v52, 1
	s_and_saveexec_b64 s[14:15], vcc
	s_cbranch_execz .LBB627_416
; %bb.413:                              ;   in Loop: Header=BB627_213 Depth=1
	v_and_b32_e32 v53, 0x7f, v46
	v_cmp_ne_u32_e32 vcc, s19, v53
	v_mov_b32_e32 v52, 0x7f800001
	s_and_saveexec_b64 s[16:17], vcc
	s_cbranch_execz .LBB627_415
; %bb.414:                              ;   in Loop: Header=BB627_213 Depth=1
	v_and_b32_e32 v52, 7, v46
	v_ffbh_u32_e32 v60, v52
	v_min_u32_e32 v62, 32, v60
	v_subrev_u32_e32 v60, 28, v62
	v_lshlrev_b64 v[60:61], v60, v[46:47]
	v_lshrrev_b32_e32 v59, 3, v53
	v_sub_u32_e32 v46, 29, v62
	v_and_b32_e32 v60, 7, v60
	v_cmp_gt_u32_e32 vcc, 8, v53
	v_cndmask_b32_e32 v46, v59, v46, vcc
	v_cndmask_b32_e32 v52, v52, v60, vcc
	v_lshlrev_b32_e32 v53, 16, v44
	v_lshlrev_b32_e32 v52, 20, v52
	v_and_b32_e32 v53, 0x80000000, v53
	v_lshl_add_u32 v46, v46, 23, v45
	v_or3_b32 v52, v53, v46, v52
.LBB627_415:                            ;   in Loop: Header=BB627_213 Depth=1
	s_or_b64 exec, exec, s[16:17]
.LBB627_416:                            ;   in Loop: Header=BB627_213 Depth=1
	s_or_b64 exec, exec, s[14:15]
.LBB627_417:                            ;   in Loop: Header=BB627_213 Depth=1
	s_or_b64 exec, exec, s[12:13]
	v_lshrrev_b32_e32 v46, 16, v44
	v_cmp_ne_u16_sdwa s[14:15], v46, v43 src0_sel:BYTE_0 src1_sel:DWORD
	s_and_saveexec_b64 s[12:13], s[14:15]
	s_cbranch_execz .LBB627_423
; %bb.418:                              ;   in Loop: Header=BB627_213 Depth=1
	v_cmp_ne_u16_sdwa s[16:17], v46, s9 src0_sel:BYTE_0 src1_sel:DWORD
	v_bfrev_b32_e32 v51, 1
	s_and_saveexec_b64 s[14:15], s[16:17]
	s_cbranch_execz .LBB627_422
; %bb.419:                              ;   in Loop: Header=BB627_213 Depth=1
	v_bfe_u32 v53, v44, 16, 7
	v_cmp_ne_u32_e32 vcc, s19, v53
	v_mov_b32_e32 v51, 0x7f800001
	s_and_saveexec_b64 s[16:17], vcc
	s_cbranch_execz .LBB627_421
; %bb.420:                              ;   in Loop: Header=BB627_213 Depth=1
	v_and_b32_e32 v51, 7, v46
	v_ffbh_u32_e32 v60, v51
	v_min_u32_e32 v62, 32, v60
	v_subrev_u32_e32 v60, 28, v62
	v_lshlrev_b64 v[60:61], v60, v[46:47]
	v_lshrrev_b32_e32 v59, 3, v53
	v_sub_u32_e32 v61, 29, v62
	v_and_b32_e32 v60, 7, v60
	v_cmp_gt_u32_e32 vcc, 8, v53
	v_cndmask_b32_e32 v53, v59, v61, vcc
	v_cndmask_b32_e32 v51, v51, v60, vcc
	v_lshlrev_b32_e32 v46, 24, v46
	v_lshlrev_b32_e32 v51, 20, v51
	v_and_b32_e32 v46, 0x80000000, v46
	v_lshl_add_u32 v53, v53, 23, v45
	v_or3_b32 v51, v46, v53, v51
.LBB627_421:                            ;   in Loop: Header=BB627_213 Depth=1
	s_or_b64 exec, exec, s[16:17]
.LBB627_422:                            ;   in Loop: Header=BB627_213 Depth=1
	s_or_b64 exec, exec, s[14:15]
.LBB627_423:                            ;   in Loop: Header=BB627_213 Depth=1
	s_or_b64 exec, exec, s[12:13]
	v_cmp_lt_u32_e32 vcc, s20, v44
	v_mov_b32_e32 v53, 0
	v_mov_b32_e32 v59, 0
	s_and_saveexec_b64 s[12:13], vcc
	s_cbranch_execz .LBB627_429
; %bb.424:                              ;   in Loop: Header=BB627_213 Depth=1
	v_lshrrev_b32_e32 v46, 24, v44
	v_cmp_ne_u32_e32 vcc, s9, v46
	v_bfrev_b32_e32 v59, 1
	s_and_saveexec_b64 s[14:15], vcc
	s_cbranch_execz .LBB627_428
; %bb.425:                              ;   in Loop: Header=BB627_213 Depth=1
	v_bfe_u32 v44, v44, 24, 7
	v_cmp_ne_u32_e32 vcc, s19, v44
	v_mov_b32_e32 v59, 0x7f800001
	s_and_saveexec_b64 s[16:17], vcc
	s_cbranch_execz .LBB627_427
; %bb.426:                              ;   in Loop: Header=BB627_213 Depth=1
	v_and_b32_e32 v59, 7, v46
	v_ffbh_u32_e32 v60, v59
	v_min_u32_e32 v63, 32, v60
	v_subrev_u32_e32 v60, 28, v63
	v_lshlrev_b64 v[60:61], v60, v[46:47]
	v_lshrrev_b32_e32 v62, 3, v44
	v_sub_u32_e32 v61, 29, v63
	v_and_b32_e32 v60, 7, v60
	v_cmp_gt_u32_e32 vcc, 8, v44
	v_cndmask_b32_e32 v44, v62, v61, vcc
	v_cndmask_b32_e32 v59, v59, v60, vcc
	v_lshlrev_b32_e32 v46, 24, v46
	v_lshlrev_b32_e32 v59, 20, v59
	v_and_b32_e32 v46, 0x80000000, v46
	v_lshl_add_u32 v44, v44, 23, v45
	v_or3_b32 v59, v46, v44, v59
.LBB627_427:                            ;   in Loop: Header=BB627_213 Depth=1
	s_or_b64 exec, exec, s[16:17]
.LBB627_428:                            ;   in Loop: Header=BB627_213 Depth=1
	s_or_b64 exec, exec, s[14:15]
.LBB627_429:                            ;   in Loop: Header=BB627_213 Depth=1
	s_or_b64 exec, exec, s[12:13]
	s_waitcnt vmcnt(2)
	v_cmp_ne_u16_sdwa s[14:15], v42, v43 src0_sel:BYTE_0 src1_sel:DWORD
	s_and_saveexec_b64 s[12:13], s[14:15]
	s_cbranch_execz .LBB627_435
; %bb.430:                              ;   in Loop: Header=BB627_213 Depth=1
	v_cmp_ne_u16_sdwa s[16:17], v42, s9 src0_sel:BYTE_0 src1_sel:DWORD
	v_bfrev_b32_e32 v53, 1
	s_and_saveexec_b64 s[14:15], s[16:17]
	s_cbranch_execz .LBB627_434
; %bb.431:                              ;   in Loop: Header=BB627_213 Depth=1
	v_and_b32_e32 v44, 0x7f, v42
	v_cmp_ne_u32_e32 vcc, s19, v44
	v_mov_b32_e32 v53, 0x7f800001
	s_and_saveexec_b64 s[16:17], vcc
	s_cbranch_execz .LBB627_433
; %bb.432:                              ;   in Loop: Header=BB627_213 Depth=1
	v_and_b32_e32 v46, 7, v42
	v_ffbh_u32_e32 v60, v46
	v_min_u32_e32 v62, 32, v60
	v_subrev_u32_e32 v60, 28, v62
	v_lshlrev_b64 v[60:61], v60, v[42:43]
	v_lshrrev_b32_e32 v53, 3, v44
	v_sub_u32_e32 v61, 29, v62
	v_and_b32_e32 v60, 7, v60
	v_cmp_gt_u32_e32 vcc, 8, v44
	v_cndmask_b32_e32 v44, v53, v61, vcc
	v_cndmask_b32_e32 v46, v46, v60, vcc
	v_lshlrev_b32_e32 v53, 24, v42
	v_lshlrev_b32_e32 v46, 20, v46
	v_and_b32_e32 v53, 0x80000000, v53
	v_lshl_add_u32 v44, v44, 23, v45
	v_or3_b32 v53, v53, v44, v46
.LBB627_433:                            ;   in Loop: Header=BB627_213 Depth=1
	s_or_b64 exec, exec, s[16:17]
.LBB627_434:                            ;   in Loop: Header=BB627_213 Depth=1
	s_or_b64 exec, exec, s[14:15]
.LBB627_435:                            ;   in Loop: Header=BB627_213 Depth=1
	s_or_b64 exec, exec, s[12:13]
	v_lshrrev_b16_e32 v44, 8, v42
	v_cmp_ne_u16_e32 vcc, 0, v44
	v_mov_b32_e32 v60, 0
	v_mov_b32_e32 v61, 0
	s_and_saveexec_b64 s[12:13], vcc
	s_cbranch_execz .LBB627_441
; %bb.436:                              ;   in Loop: Header=BB627_213 Depth=1
	v_cmp_ne_u16_e32 vcc, s9, v44
	v_bfrev_b32_e32 v61, 1
	s_and_saveexec_b64 s[14:15], vcc
	s_cbranch_execz .LBB627_440
; %bb.437:                              ;   in Loop: Header=BB627_213 Depth=1
	v_and_b32_e32 v46, 0x7f, v44
	v_cmp_ne_u32_e32 vcc, s19, v46
	v_mov_b32_e32 v61, 0x7f800001
	s_and_saveexec_b64 s[16:17], vcc
	s_cbranch_execz .LBB627_439
; %bb.438:                              ;   in Loop: Header=BB627_213 Depth=1
	v_and_b32_e32 v61, 7, v44
	v_ffbh_u32_e32 v62, v61
	v_min_u32_e32 v65, 32, v62
	v_subrev_u32_e32 v62, 28, v65
	v_lshlrev_b64 v[62:63], v62, v[44:45]
	v_lshrrev_b32_e32 v64, 3, v46
	v_sub_u32_e32 v44, 29, v65
	v_and_b32_e32 v62, 7, v62
	v_cmp_gt_u32_e32 vcc, 8, v46
	v_cndmask_b32_e32 v44, v64, v44, vcc
	v_cndmask_b32_e32 v46, v61, v62, vcc
	v_lshlrev_b32_e32 v61, 16, v42
	v_lshlrev_b32_e32 v46, 20, v46
	v_and_b32_e32 v61, 0x80000000, v61
	v_lshl_add_u32 v44, v44, 23, v45
	v_or3_b32 v61, v61, v44, v46
.LBB627_439:                            ;   in Loop: Header=BB627_213 Depth=1
	s_or_b64 exec, exec, s[16:17]
.LBB627_440:                            ;   in Loop: Header=BB627_213 Depth=1
	s_or_b64 exec, exec, s[14:15]
.LBB627_441:                            ;   in Loop: Header=BB627_213 Depth=1
	s_or_b64 exec, exec, s[12:13]
	v_lshrrev_b32_e32 v44, 16, v42
	v_cmp_ne_u16_sdwa s[14:15], v44, v43 src0_sel:BYTE_0 src1_sel:DWORD
	s_and_saveexec_b64 s[12:13], s[14:15]
	s_cbranch_execz .LBB627_447
; %bb.442:                              ;   in Loop: Header=BB627_213 Depth=1
	v_cmp_ne_u16_sdwa s[16:17], v44, s9 src0_sel:BYTE_0 src1_sel:DWORD
	v_bfrev_b32_e32 v60, 1
	s_and_saveexec_b64 s[14:15], s[16:17]
	s_cbranch_execz .LBB627_446
; %bb.443:                              ;   in Loop: Header=BB627_213 Depth=1
	v_bfe_u32 v46, v42, 16, 7
	v_cmp_ne_u32_e32 vcc, s19, v46
	v_mov_b32_e32 v60, 0x7f800001
	s_and_saveexec_b64 s[16:17], vcc
	s_cbranch_execz .LBB627_445
; %bb.444:                              ;   in Loop: Header=BB627_213 Depth=1
	v_and_b32_e32 v60, 7, v44
	v_ffbh_u32_e32 v62, v60
	v_min_u32_e32 v65, 32, v62
	v_subrev_u32_e32 v62, 28, v65
	v_lshlrev_b64 v[62:63], v62, v[44:45]
	v_lshrrev_b32_e32 v64, 3, v46
	v_sub_u32_e32 v63, 29, v65
	v_and_b32_e32 v62, 7, v62
	v_cmp_gt_u32_e32 vcc, 8, v46
	v_cndmask_b32_e32 v46, v64, v63, vcc
	v_cndmask_b32_e32 v60, v60, v62, vcc
	v_lshlrev_b32_e32 v44, 24, v44
	v_lshlrev_b32_e32 v60, 20, v60
	v_and_b32_e32 v44, 0x80000000, v44
	v_lshl_add_u32 v46, v46, 23, v45
	v_or3_b32 v60, v44, v46, v60
.LBB627_445:                            ;   in Loop: Header=BB627_213 Depth=1
	s_or_b64 exec, exec, s[16:17]
.LBB627_446:                            ;   in Loop: Header=BB627_213 Depth=1
	s_or_b64 exec, exec, s[14:15]
.LBB627_447:                            ;   in Loop: Header=BB627_213 Depth=1
	s_or_b64 exec, exec, s[12:13]
	v_cmp_lt_u32_e32 vcc, s20, v42
	v_mov_b32_e32 v46, 0
	v_mov_b32_e32 v62, 0
	s_and_saveexec_b64 s[12:13], vcc
	s_cbranch_execz .LBB627_453
; %bb.448:                              ;   in Loop: Header=BB627_213 Depth=1
	v_lshrrev_b32_e32 v44, 24, v42
	v_cmp_ne_u32_e32 vcc, s9, v44
	v_bfrev_b32_e32 v62, 1
	s_and_saveexec_b64 s[14:15], vcc
	s_cbranch_execz .LBB627_452
; %bb.449:                              ;   in Loop: Header=BB627_213 Depth=1
	v_bfe_u32 v42, v42, 24, 7
	v_cmp_ne_u32_e32 vcc, s19, v42
	v_mov_b32_e32 v62, 0x7f800001
	s_and_saveexec_b64 s[16:17], vcc
	s_cbranch_execz .LBB627_451
; %bb.450:                              ;   in Loop: Header=BB627_213 Depth=1
	v_and_b32_e32 v64, 7, v44
	v_ffbh_u32_e32 v62, v64
	v_min_u32_e32 v66, 32, v62
	v_subrev_u32_e32 v62, 28, v66
	v_lshlrev_b64 v[62:63], v62, v[44:45]
	v_lshrrev_b32_e32 v65, 3, v42
	v_sub_u32_e32 v63, 29, v66
	v_and_b32_e32 v62, 7, v62
	v_cmp_gt_u32_e32 vcc, 8, v42
	v_cndmask_b32_e32 v42, v65, v63, vcc
	v_cndmask_b32_e32 v62, v64, v62, vcc
	v_lshlrev_b32_e32 v44, 24, v44
	v_lshlrev_b32_e32 v62, 20, v62
	v_and_b32_e32 v44, 0x80000000, v44
	v_lshl_add_u32 v42, v42, 23, v45
	v_or3_b32 v62, v44, v42, v62
.LBB627_451:                            ;   in Loop: Header=BB627_213 Depth=1
	s_or_b64 exec, exec, s[16:17]
.LBB627_452:                            ;   in Loop: Header=BB627_213 Depth=1
	s_or_b64 exec, exec, s[14:15]
.LBB627_453:                            ;   in Loop: Header=BB627_213 Depth=1
	s_or_b64 exec, exec, s[12:13]
	v_cvt_pkrtz_f16_f32 v50, v50, v52
	v_cvt_pkrtz_f16_f32 v51, v51, v59
	s_waitcnt vmcnt(1)
	v_cmp_ne_u16_sdwa s[14:15], v40, v43 src0_sel:BYTE_0 src1_sel:DWORD
	v_mfma_f32_16x16x16f16 v[34:37], v[50:51], v[18:19], v[34:37]
	v_cvt_pkrtz_f16_f32 v50, v53, v61
	v_cvt_pkrtz_f16_f32 v51, v60, v62
	s_nop 1
	v_mfma_f32_16x16x16f16 v[34:37], v[50:51], v[20:21], v[34:37]
	s_and_saveexec_b64 s[12:13], s[14:15]
	s_cbranch_execz .LBB627_459
; %bb.454:                              ;   in Loop: Header=BB627_213 Depth=1
	v_cmp_ne_u16_sdwa s[16:17], v40, s9 src0_sel:BYTE_0 src1_sel:DWORD
	v_bfrev_b32_e32 v46, 1
	s_and_saveexec_b64 s[14:15], s[16:17]
	s_cbranch_execz .LBB627_458
; %bb.455:                              ;   in Loop: Header=BB627_213 Depth=1
	v_and_b32_e32 v42, 0x7f, v40
	v_cmp_ne_u32_e32 vcc, s19, v42
	v_mov_b32_e32 v46, 0x7f800001
	s_and_saveexec_b64 s[16:17], vcc
	s_cbranch_execz .LBB627_457
; %bb.456:                              ;   in Loop: Header=BB627_213 Depth=1
	v_and_b32_e32 v44, 7, v40
	v_ffbh_u32_e32 v50, v44
	v_min_u32_e32 v52, 32, v50
	v_subrev_u32_e32 v50, 28, v52
	v_lshlrev_b64 v[50:51], v50, v[40:41]
	v_lshrrev_b32_e32 v46, 3, v42
	v_sub_u32_e32 v51, 29, v52
	v_and_b32_e32 v50, 7, v50
	v_cmp_gt_u32_e32 vcc, 8, v42
	v_cndmask_b32_e32 v42, v46, v51, vcc
	v_cndmask_b32_e32 v44, v44, v50, vcc
	v_lshlrev_b32_e32 v46, 24, v40
	v_lshlrev_b32_e32 v44, 20, v44
	v_and_b32_e32 v46, 0x80000000, v46
	v_lshl_add_u32 v42, v42, 23, v45
	v_or3_b32 v46, v46, v42, v44
.LBB627_457:                            ;   in Loop: Header=BB627_213 Depth=1
	s_or_b64 exec, exec, s[16:17]
.LBB627_458:                            ;   in Loop: Header=BB627_213 Depth=1
	s_or_b64 exec, exec, s[14:15]
.LBB627_459:                            ;   in Loop: Header=BB627_213 Depth=1
	s_or_b64 exec, exec, s[12:13]
	v_lshrrev_b16_e32 v42, 8, v40
	v_cmp_ne_u16_e32 vcc, 0, v42
	v_mov_b32_e32 v44, 0
	v_mov_b32_e32 v51, 0
	s_and_saveexec_b64 s[12:13], vcc
	s_cbranch_execz .LBB627_465
; %bb.460:                              ;   in Loop: Header=BB627_213 Depth=1
	v_cmp_ne_u16_e32 vcc, s9, v42
	v_bfrev_b32_e32 v51, 1
	s_and_saveexec_b64 s[14:15], vcc
	s_cbranch_execz .LBB627_464
; %bb.461:                              ;   in Loop: Header=BB627_213 Depth=1
	v_and_b32_e32 v50, 0x7f, v42
	v_cmp_ne_u32_e32 vcc, s19, v50
	v_mov_b32_e32 v51, 0x7f800001
	s_and_saveexec_b64 s[16:17], vcc
	s_cbranch_execz .LBB627_463
; %bb.462:                              ;   in Loop: Header=BB627_213 Depth=1
	v_and_b32_e32 v51, 7, v42
	v_ffbh_u32_e32 v52, v51
	v_min_u32_e32 v60, 32, v52
	v_subrev_u32_e32 v52, 28, v60
	v_lshlrev_b64 v[52:53], v52, v[42:43]
	v_lshrrev_b32_e32 v59, 3, v50
	v_sub_u32_e32 v42, 29, v60
	v_and_b32_e32 v52, 7, v52
	v_cmp_gt_u32_e32 vcc, 8, v50
	v_cndmask_b32_e32 v42, v59, v42, vcc
	v_cndmask_b32_e32 v50, v51, v52, vcc
	v_lshlrev_b32_e32 v51, 16, v40
	v_lshlrev_b32_e32 v50, 20, v50
	v_and_b32_e32 v51, 0x80000000, v51
	v_lshl_add_u32 v42, v42, 23, v45
	v_or3_b32 v51, v51, v42, v50
.LBB627_463:                            ;   in Loop: Header=BB627_213 Depth=1
	s_or_b64 exec, exec, s[16:17]
.LBB627_464:                            ;   in Loop: Header=BB627_213 Depth=1
	s_or_b64 exec, exec, s[14:15]
.LBB627_465:                            ;   in Loop: Header=BB627_213 Depth=1
	s_or_b64 exec, exec, s[12:13]
	v_lshrrev_b32_e32 v42, 16, v40
	v_cmp_ne_u16_sdwa s[14:15], v42, v43 src0_sel:BYTE_0 src1_sel:DWORD
	s_and_saveexec_b64 s[12:13], s[14:15]
	s_cbranch_execz .LBB627_471
; %bb.466:                              ;   in Loop: Header=BB627_213 Depth=1
	v_cmp_ne_u16_sdwa s[16:17], v42, s9 src0_sel:BYTE_0 src1_sel:DWORD
	v_bfrev_b32_e32 v44, 1
	s_and_saveexec_b64 s[14:15], s[16:17]
	s_cbranch_execz .LBB627_470
; %bb.467:                              ;   in Loop: Header=BB627_213 Depth=1
	v_bfe_u32 v50, v40, 16, 7
	v_cmp_ne_u32_e32 vcc, s19, v50
	v_mov_b32_e32 v44, 0x7f800001
	s_and_saveexec_b64 s[16:17], vcc
	s_cbranch_execz .LBB627_469
; %bb.468:                              ;   in Loop: Header=BB627_213 Depth=1
	v_and_b32_e32 v44, 7, v42
	v_ffbh_u32_e32 v52, v44
	v_min_u32_e32 v60, 32, v52
	v_subrev_u32_e32 v52, 28, v60
	v_lshlrev_b64 v[52:53], v52, v[42:43]
	v_lshrrev_b32_e32 v59, 3, v50
	v_sub_u32_e32 v53, 29, v60
	v_and_b32_e32 v52, 7, v52
	v_cmp_gt_u32_e32 vcc, 8, v50
	v_cndmask_b32_e32 v50, v59, v53, vcc
	v_cndmask_b32_e32 v44, v44, v52, vcc
	v_lshlrev_b32_e32 v42, 24, v42
	v_lshlrev_b32_e32 v44, 20, v44
	v_and_b32_e32 v42, 0x80000000, v42
	v_lshl_add_u32 v50, v50, 23, v45
	v_or3_b32 v44, v42, v50, v44
.LBB627_469:                            ;   in Loop: Header=BB627_213 Depth=1
	s_or_b64 exec, exec, s[16:17]
.LBB627_470:                            ;   in Loop: Header=BB627_213 Depth=1
	s_or_b64 exec, exec, s[14:15]
.LBB627_471:                            ;   in Loop: Header=BB627_213 Depth=1
	s_or_b64 exec, exec, s[12:13]
	v_cmp_lt_u32_e32 vcc, s20, v40
	v_mov_b32_e32 v52, 0
	v_mov_b32_e32 v53, 0
	s_and_saveexec_b64 s[12:13], vcc
	s_cbranch_execz .LBB627_477
; %bb.472:                              ;   in Loop: Header=BB627_213 Depth=1
	v_lshrrev_b32_e32 v42, 24, v40
	v_cmp_ne_u32_e32 vcc, s9, v42
	v_bfrev_b32_e32 v53, 1
	s_and_saveexec_b64 s[14:15], vcc
	s_cbranch_execz .LBB627_476
; %bb.473:                              ;   in Loop: Header=BB627_213 Depth=1
	v_bfe_u32 v40, v40, 24, 7
	v_cmp_ne_u32_e32 vcc, s19, v40
	v_mov_b32_e32 v53, 0x7f800001
	s_and_saveexec_b64 s[16:17], vcc
	s_cbranch_execz .LBB627_475
; %bb.474:                              ;   in Loop: Header=BB627_213 Depth=1
	v_and_b32_e32 v50, 7, v42
	v_ffbh_u32_e32 v59, v50
	v_min_u32_e32 v59, 32, v59
	v_subrev_u32_e32 v60, 28, v59
	v_lshlrev_b64 v[60:61], v60, v[42:43]
	v_lshrrev_b32_e32 v53, 3, v40
	v_sub_u32_e32 v59, 29, v59
	v_and_b32_e32 v60, 7, v60
	v_cmp_gt_u32_e32 vcc, 8, v40
	v_cndmask_b32_e32 v40, v53, v59, vcc
	v_cndmask_b32_e32 v50, v50, v60, vcc
	v_lshlrev_b32_e32 v42, 24, v42
	v_lshlrev_b32_e32 v50, 20, v50
	v_and_b32_e32 v42, 0x80000000, v42
	v_lshl_add_u32 v40, v40, 23, v45
	v_or3_b32 v53, v42, v40, v50
.LBB627_475:                            ;   in Loop: Header=BB627_213 Depth=1
	s_or_b64 exec, exec, s[16:17]
.LBB627_476:                            ;   in Loop: Header=BB627_213 Depth=1
	s_or_b64 exec, exec, s[14:15]
.LBB627_477:                            ;   in Loop: Header=BB627_213 Depth=1
	s_or_b64 exec, exec, s[12:13]
	s_waitcnt vmcnt(0)
	v_cmp_ne_u16_sdwa s[14:15], v38, v43 src0_sel:BYTE_0 src1_sel:DWORD
	s_and_saveexec_b64 s[12:13], s[14:15]
	s_cbranch_execz .LBB627_483
; %bb.478:                              ;   in Loop: Header=BB627_213 Depth=1
	v_cmp_ne_u16_sdwa s[16:17], v38, s9 src0_sel:BYTE_0 src1_sel:DWORD
	v_bfrev_b32_e32 v52, 1
	s_and_saveexec_b64 s[14:15], s[16:17]
	s_cbranch_execz .LBB627_482
; %bb.479:                              ;   in Loop: Header=BB627_213 Depth=1
	v_and_b32_e32 v40, 0x7f, v38
	v_cmp_ne_u32_e32 vcc, s19, v40
	v_mov_b32_e32 v52, 0x7f800001
	s_and_saveexec_b64 s[16:17], vcc
	s_cbranch_execz .LBB627_481
; %bb.480:                              ;   in Loop: Header=BB627_213 Depth=1
	v_and_b32_e32 v42, 7, v38
	v_ffbh_u32_e32 v52, v42
	v_min_u32_e32 v52, 32, v52
	v_subrev_u32_e32 v59, 28, v52
	v_lshlrev_b64 v[60:61], v59, v[38:39]
	v_lshrrev_b32_e32 v50, 3, v40
	v_sub_u32_e32 v52, 29, v52
	v_and_b32_e32 v59, 7, v60
	v_cmp_gt_u32_e32 vcc, 8, v40
	v_cndmask_b32_e32 v40, v50, v52, vcc
	v_cndmask_b32_e32 v42, v42, v59, vcc
	v_lshlrev_b32_e32 v50, 24, v38
	v_lshlrev_b32_e32 v42, 20, v42
	v_and_b32_e32 v50, 0x80000000, v50
	v_lshl_add_u32 v40, v40, 23, v45
	v_or3_b32 v52, v50, v40, v42
.LBB627_481:                            ;   in Loop: Header=BB627_213 Depth=1
	s_or_b64 exec, exec, s[16:17]
.LBB627_482:                            ;   in Loop: Header=BB627_213 Depth=1
	s_or_b64 exec, exec, s[14:15]
.LBB627_483:                            ;   in Loop: Header=BB627_213 Depth=1
	s_or_b64 exec, exec, s[12:13]
	v_lshrrev_b16_e32 v40, 8, v38
	v_cmp_ne_u16_e32 vcc, 0, v40
	v_mov_b32_e32 v59, 0
	v_mov_b32_e32 v60, 0
	s_and_saveexec_b64 s[12:13], vcc
	s_cbranch_execz .LBB627_489
; %bb.484:                              ;   in Loop: Header=BB627_213 Depth=1
	v_cmp_ne_u16_e32 vcc, s9, v40
	v_bfrev_b32_e32 v60, 1
	s_and_saveexec_b64 s[14:15], vcc
	s_cbranch_execz .LBB627_488
; %bb.485:                              ;   in Loop: Header=BB627_213 Depth=1
	v_and_b32_e32 v42, 0x7f, v40
	v_cmp_ne_u32_e32 vcc, s19, v42
	v_mov_b32_e32 v60, 0x7f800001
	s_and_saveexec_b64 s[16:17], vcc
	s_cbranch_execz .LBB627_487
; %bb.486:                              ;   in Loop: Header=BB627_213 Depth=1
	v_and_b32_e32 v50, 7, v40
	v_ffbh_u32_e32 v60, v50
	v_min_u32_e32 v63, 32, v60
	v_subrev_u32_e32 v60, 28, v63
	v_lshlrev_b64 v[60:61], v60, v[40:41]
	v_lshrrev_b32_e32 v62, 3, v42
	v_sub_u32_e32 v40, 29, v63
	v_and_b32_e32 v60, 7, v60
	v_cmp_gt_u32_e32 vcc, 8, v42
	v_cndmask_b32_e32 v40, v62, v40, vcc
	v_cndmask_b32_e32 v42, v50, v60, vcc
	v_lshlrev_b32_e32 v50, 16, v38
	v_lshlrev_b32_e32 v42, 20, v42
	v_and_b32_e32 v50, 0x80000000, v50
	v_lshl_add_u32 v40, v40, 23, v45
	v_or3_b32 v60, v50, v40, v42
.LBB627_487:                            ;   in Loop: Header=BB627_213 Depth=1
	s_or_b64 exec, exec, s[16:17]
.LBB627_488:                            ;   in Loop: Header=BB627_213 Depth=1
	s_or_b64 exec, exec, s[14:15]
.LBB627_489:                            ;   in Loop: Header=BB627_213 Depth=1
	s_or_b64 exec, exec, s[12:13]
	v_lshrrev_b32_e32 v40, 16, v38
	v_cmp_ne_u16_sdwa s[14:15], v40, v43 src0_sel:BYTE_0 src1_sel:DWORD
	s_and_saveexec_b64 s[12:13], s[14:15]
	s_cbranch_execz .LBB627_495
; %bb.490:                              ;   in Loop: Header=BB627_213 Depth=1
	v_cmp_ne_u16_sdwa s[16:17], v40, s9 src0_sel:BYTE_0 src1_sel:DWORD
	v_bfrev_b32_e32 v59, 1
	s_and_saveexec_b64 s[14:15], s[16:17]
	s_cbranch_execz .LBB627_494
; %bb.491:                              ;   in Loop: Header=BB627_213 Depth=1
	v_bfe_u32 v42, v38, 16, 7
	v_cmp_ne_u32_e32 vcc, s19, v42
	v_mov_b32_e32 v59, 0x7f800001
	s_and_saveexec_b64 s[16:17], vcc
	s_cbranch_execz .LBB627_493
; %bb.492:                              ;   in Loop: Header=BB627_213 Depth=1
	v_and_b32_e32 v50, 7, v40
	v_ffbh_u32_e32 v61, v50
	v_min_u32_e32 v61, 32, v61
	v_subrev_u32_e32 v62, 28, v61
	v_lshlrev_b64 v[62:63], v62, v[40:41]
	v_lshrrev_b32_e32 v59, 3, v42
	v_sub_u32_e32 v61, 29, v61
	v_and_b32_e32 v62, 7, v62
	v_cmp_gt_u32_e32 vcc, 8, v42
	v_cndmask_b32_e32 v42, v59, v61, vcc
	v_cndmask_b32_e32 v50, v50, v62, vcc
	v_lshlrev_b32_e32 v40, 24, v40
	v_lshlrev_b32_e32 v50, 20, v50
	v_and_b32_e32 v40, 0x80000000, v40
	v_lshl_add_u32 v42, v42, 23, v45
	v_or3_b32 v59, v40, v42, v50
.LBB627_493:                            ;   in Loop: Header=BB627_213 Depth=1
	s_or_b64 exec, exec, s[16:17]
.LBB627_494:                            ;   in Loop: Header=BB627_213 Depth=1
	s_or_b64 exec, exec, s[14:15]
.LBB627_495:                            ;   in Loop: Header=BB627_213 Depth=1
	s_or_b64 exec, exec, s[12:13]
	v_cmp_lt_u32_e32 vcc, s20, v38
	v_mov_b32_e32 v50, 0
	v_mov_b32_e32 v61, 0
	s_and_saveexec_b64 s[12:13], vcc
	s_cbranch_execz .LBB627_501
; %bb.496:                              ;   in Loop: Header=BB627_213 Depth=1
	v_lshrrev_b32_e32 v40, 24, v38
	v_cmp_ne_u32_e32 vcc, s9, v40
	v_bfrev_b32_e32 v61, 1
	s_and_saveexec_b64 s[14:15], vcc
	s_cbranch_execz .LBB627_500
; %bb.497:                              ;   in Loop: Header=BB627_213 Depth=1
	v_bfe_u32 v38, v38, 24, 7
	v_cmp_ne_u32_e32 vcc, s19, v38
	v_mov_b32_e32 v61, 0x7f800001
	s_and_saveexec_b64 s[16:17], vcc
	s_cbranch_execz .LBB627_499
; %bb.498:                              ;   in Loop: Header=BB627_213 Depth=1
	v_and_b32_e32 v42, 7, v40
	v_ffbh_u32_e32 v62, v42
	v_min_u32_e32 v64, 32, v62
	v_subrev_u32_e32 v62, 28, v64
	v_lshlrev_b64 v[62:63], v62, v[40:41]
	v_lshrrev_b32_e32 v61, 3, v38
	v_sub_u32_e32 v63, 29, v64
	v_and_b32_e32 v62, 7, v62
	v_cmp_gt_u32_e32 vcc, 8, v38
	v_cndmask_b32_e32 v38, v61, v63, vcc
	v_cndmask_b32_e32 v42, v42, v62, vcc
	v_lshlrev_b32_e32 v40, 24, v40
	v_lshlrev_b32_e32 v42, 20, v42
	v_and_b32_e32 v40, 0x80000000, v40
	v_lshl_add_u32 v38, v38, 23, v45
	v_or3_b32 v61, v40, v38, v42
.LBB627_499:                            ;   in Loop: Header=BB627_213 Depth=1
	s_or_b64 exec, exec, s[16:17]
.LBB627_500:                            ;   in Loop: Header=BB627_213 Depth=1
	s_or_b64 exec, exec, s[14:15]
.LBB627_501:                            ;   in Loop: Header=BB627_213 Depth=1
	s_or_b64 exec, exec, s[12:13]
	v_cvt_pkrtz_f16_f32 v63, v44, v53
	buffer_load_dword v44, v58, s[0:3], 0 offen
	buffer_load_dword v42, v58, s[0:3], 0 offen offset:4
	buffer_load_dword v40, v58, s[0:3], 0 offen offset:8
	;; [unrolled: 1-line block ×3, first 2 shown]
	v_cvt_pkrtz_f16_f32 v62, v46, v51
	v_cvt_pkrtz_f16_f32 v52, v52, v60
	;; [unrolled: 1-line block ×3, first 2 shown]
	v_mfma_f32_16x16x16f16 v[34:37], v[62:63], v[22:23], v[34:37]
	s_waitcnt vmcnt(3)
	v_cmp_ne_u16_sdwa s[14:15], v44, v43 src0_sel:BYTE_0 src1_sel:DWORD
	v_mfma_f32_16x16x16f16 v[34:37], v[52:53], v[24:25], v[34:37]
	s_and_saveexec_b64 s[12:13], s[14:15]
	s_cbranch_execz .LBB627_507
; %bb.502:                              ;   in Loop: Header=BB627_213 Depth=1
	v_cmp_ne_u16_sdwa s[16:17], v44, s9 src0_sel:BYTE_0 src1_sel:DWORD
	v_bfrev_b32_e32 v50, 1
	s_and_saveexec_b64 s[14:15], s[16:17]
	s_cbranch_execz .LBB627_506
; %bb.503:                              ;   in Loop: Header=BB627_213 Depth=1
	v_and_b32_e32 v46, 0x7f, v44
	v_cmp_ne_u32_e32 vcc, s19, v46
	v_mov_b32_e32 v50, 0x7f800001
	s_and_saveexec_b64 s[16:17], vcc
	s_cbranch_execz .LBB627_505
; %bb.504:                              ;   in Loop: Header=BB627_213 Depth=1
	v_and_b32_e32 v52, 7, v44
	v_ffbh_u32_e32 v50, v52
	v_min_u32_e32 v58, 32, v50
	v_subrev_u32_e32 v50, 28, v58
	v_lshlrev_b64 v[50:51], v50, v[44:45]
	v_lshrrev_b32_e32 v53, 3, v46
	v_sub_u32_e32 v51, 29, v58
	v_and_b32_e32 v50, 7, v50
	v_cmp_gt_u32_e32 vcc, 8, v46
	v_cndmask_b32_e32 v46, v53, v51, vcc
	v_cndmask_b32_e32 v50, v52, v50, vcc
	v_lshlrev_b32_e32 v51, 24, v44
	v_lshlrev_b32_e32 v50, 20, v50
	v_and_b32_e32 v51, 0x80000000, v51
	v_lshl_add_u32 v46, v46, 23, v45
	v_or3_b32 v50, v51, v46, v50
.LBB627_505:                            ;   in Loop: Header=BB627_213 Depth=1
	s_or_b64 exec, exec, s[16:17]
.LBB627_506:                            ;   in Loop: Header=BB627_213 Depth=1
	s_or_b64 exec, exec, s[14:15]
.LBB627_507:                            ;   in Loop: Header=BB627_213 Depth=1
	s_or_b64 exec, exec, s[12:13]
	v_lshrrev_b16_e32 v46, 8, v44
	v_cmp_ne_u16_e32 vcc, 0, v46
	v_mov_b32_e32 v51, 0
	v_mov_b32_e32 v52, 0
	s_and_saveexec_b64 s[12:13], vcc
	s_cbranch_execz .LBB627_513
; %bb.508:                              ;   in Loop: Header=BB627_213 Depth=1
	v_cmp_ne_u16_e32 vcc, s9, v46
	v_bfrev_b32_e32 v52, 1
	s_and_saveexec_b64 s[14:15], vcc
	s_cbranch_execz .LBB627_512
; %bb.509:                              ;   in Loop: Header=BB627_213 Depth=1
	v_and_b32_e32 v53, 0x7f, v46
	v_cmp_ne_u32_e32 vcc, s19, v53
	v_mov_b32_e32 v52, 0x7f800001
	s_and_saveexec_b64 s[16:17], vcc
	s_cbranch_execz .LBB627_511
; %bb.510:                              ;   in Loop: Header=BB627_213 Depth=1
	v_and_b32_e32 v52, 7, v46
	v_ffbh_u32_e32 v58, v52
	v_min_u32_e32 v61, 32, v58
	v_subrev_u32_e32 v58, 28, v61
	v_lshlrev_b64 v[58:59], v58, v[46:47]
	v_lshrrev_b32_e32 v60, 3, v53
	v_sub_u32_e32 v46, 29, v61
	v_and_b32_e32 v58, 7, v58
	v_cmp_gt_u32_e32 vcc, 8, v53
	v_cndmask_b32_e32 v46, v60, v46, vcc
	v_cndmask_b32_e32 v52, v52, v58, vcc
	v_lshlrev_b32_e32 v53, 16, v44
	v_lshlrev_b32_e32 v52, 20, v52
	v_and_b32_e32 v53, 0x80000000, v53
	v_lshl_add_u32 v46, v46, 23, v45
	v_or3_b32 v52, v53, v46, v52
.LBB627_511:                            ;   in Loop: Header=BB627_213 Depth=1
	s_or_b64 exec, exec, s[16:17]
.LBB627_512:                            ;   in Loop: Header=BB627_213 Depth=1
	s_or_b64 exec, exec, s[14:15]
.LBB627_513:                            ;   in Loop: Header=BB627_213 Depth=1
	s_or_b64 exec, exec, s[12:13]
	v_lshrrev_b32_e32 v46, 16, v44
	v_cmp_ne_u16_sdwa s[14:15], v46, v43 src0_sel:BYTE_0 src1_sel:DWORD
	s_and_saveexec_b64 s[12:13], s[14:15]
	s_cbranch_execz .LBB627_519
; %bb.514:                              ;   in Loop: Header=BB627_213 Depth=1
	v_cmp_ne_u16_sdwa s[16:17], v46, s9 src0_sel:BYTE_0 src1_sel:DWORD
	v_bfrev_b32_e32 v51, 1
	s_and_saveexec_b64 s[14:15], s[16:17]
	s_cbranch_execz .LBB627_518
; %bb.515:                              ;   in Loop: Header=BB627_213 Depth=1
	v_bfe_u32 v53, v44, 16, 7
	v_cmp_ne_u32_e32 vcc, s19, v53
	v_mov_b32_e32 v51, 0x7f800001
	s_and_saveexec_b64 s[16:17], vcc
	s_cbranch_execz .LBB627_517
; %bb.516:                              ;   in Loop: Header=BB627_213 Depth=1
	v_and_b32_e32 v51, 7, v46
	v_ffbh_u32_e32 v58, v51
	v_min_u32_e32 v61, 32, v58
	v_subrev_u32_e32 v58, 28, v61
	v_lshlrev_b64 v[58:59], v58, v[46:47]
	v_lshrrev_b32_e32 v60, 3, v53
	v_sub_u32_e32 v59, 29, v61
	v_and_b32_e32 v58, 7, v58
	v_cmp_gt_u32_e32 vcc, 8, v53
	v_cndmask_b32_e32 v53, v60, v59, vcc
	v_cndmask_b32_e32 v51, v51, v58, vcc
	v_lshlrev_b32_e32 v46, 24, v46
	v_lshlrev_b32_e32 v51, 20, v51
	v_and_b32_e32 v46, 0x80000000, v46
	v_lshl_add_u32 v53, v53, 23, v45
	v_or3_b32 v51, v46, v53, v51
.LBB627_517:                            ;   in Loop: Header=BB627_213 Depth=1
	s_or_b64 exec, exec, s[16:17]
.LBB627_518:                            ;   in Loop: Header=BB627_213 Depth=1
	s_or_b64 exec, exec, s[14:15]
.LBB627_519:                            ;   in Loop: Header=BB627_213 Depth=1
	s_or_b64 exec, exec, s[12:13]
	v_cmp_lt_u32_e32 vcc, s20, v44
	v_mov_b32_e32 v53, 0
	v_mov_b32_e32 v58, 0
	s_and_saveexec_b64 s[12:13], vcc
	s_cbranch_execz .LBB627_525
; %bb.520:                              ;   in Loop: Header=BB627_213 Depth=1
	v_lshrrev_b32_e32 v46, 24, v44
	v_cmp_ne_u32_e32 vcc, s9, v46
	v_bfrev_b32_e32 v58, 1
	s_and_saveexec_b64 s[14:15], vcc
	s_cbranch_execz .LBB627_524
; %bb.521:                              ;   in Loop: Header=BB627_213 Depth=1
	v_bfe_u32 v44, v44, 24, 7
	v_cmp_ne_u32_e32 vcc, s19, v44
	v_mov_b32_e32 v58, 0x7f800001
	s_and_saveexec_b64 s[16:17], vcc
	s_cbranch_execz .LBB627_523
; %bb.522:                              ;   in Loop: Header=BB627_213 Depth=1
	v_and_b32_e32 v60, 7, v46
	v_ffbh_u32_e32 v58, v60
	v_min_u32_e32 v62, 32, v58
	v_subrev_u32_e32 v58, 28, v62
	v_lshlrev_b64 v[58:59], v58, v[46:47]
	v_lshrrev_b32_e32 v61, 3, v44
	v_sub_u32_e32 v59, 29, v62
	v_and_b32_e32 v58, 7, v58
	v_cmp_gt_u32_e32 vcc, 8, v44
	v_cndmask_b32_e32 v44, v61, v59, vcc
	v_cndmask_b32_e32 v58, v60, v58, vcc
	v_lshlrev_b32_e32 v46, 24, v46
	v_lshlrev_b32_e32 v58, 20, v58
	v_and_b32_e32 v46, 0x80000000, v46
	v_lshl_add_u32 v44, v44, 23, v45
	v_or3_b32 v58, v46, v44, v58
.LBB627_523:                            ;   in Loop: Header=BB627_213 Depth=1
	s_or_b64 exec, exec, s[16:17]
.LBB627_524:                            ;   in Loop: Header=BB627_213 Depth=1
	s_or_b64 exec, exec, s[14:15]
.LBB627_525:                            ;   in Loop: Header=BB627_213 Depth=1
	s_or_b64 exec, exec, s[12:13]
	s_waitcnt vmcnt(2)
	v_cmp_ne_u16_sdwa s[14:15], v42, v43 src0_sel:BYTE_0 src1_sel:DWORD
	s_and_saveexec_b64 s[12:13], s[14:15]
	s_cbranch_execz .LBB627_531
; %bb.526:                              ;   in Loop: Header=BB627_213 Depth=1
	v_cmp_ne_u16_sdwa s[16:17], v42, s9 src0_sel:BYTE_0 src1_sel:DWORD
	v_bfrev_b32_e32 v53, 1
	s_and_saveexec_b64 s[14:15], s[16:17]
	s_cbranch_execz .LBB627_530
; %bb.527:                              ;   in Loop: Header=BB627_213 Depth=1
	v_and_b32_e32 v44, 0x7f, v42
	v_cmp_ne_u32_e32 vcc, s19, v44
	v_mov_b32_e32 v53, 0x7f800001
	s_and_saveexec_b64 s[16:17], vcc
	s_cbranch_execz .LBB627_529
; %bb.528:                              ;   in Loop: Header=BB627_213 Depth=1
	v_and_b32_e32 v46, 7, v42
	v_ffbh_u32_e32 v59, v46
	v_min_u32_e32 v59, 32, v59
	v_subrev_u32_e32 v60, 28, v59
	v_lshlrev_b64 v[60:61], v60, v[42:43]
	v_lshrrev_b32_e32 v53, 3, v44
	v_sub_u32_e32 v59, 29, v59
	v_and_b32_e32 v60, 7, v60
	v_cmp_gt_u32_e32 vcc, 8, v44
	v_cndmask_b32_e32 v44, v53, v59, vcc
	v_cndmask_b32_e32 v46, v46, v60, vcc
	v_lshlrev_b32_e32 v53, 24, v42
	v_lshlrev_b32_e32 v46, 20, v46
	v_and_b32_e32 v53, 0x80000000, v53
	v_lshl_add_u32 v44, v44, 23, v45
	v_or3_b32 v53, v53, v44, v46
.LBB627_529:                            ;   in Loop: Header=BB627_213 Depth=1
	s_or_b64 exec, exec, s[16:17]
.LBB627_530:                            ;   in Loop: Header=BB627_213 Depth=1
	s_or_b64 exec, exec, s[14:15]
.LBB627_531:                            ;   in Loop: Header=BB627_213 Depth=1
	s_or_b64 exec, exec, s[12:13]
	v_lshrrev_b16_e32 v44, 8, v42
	v_cmp_ne_u16_e32 vcc, 0, v44
	v_mov_b32_e32 v59, 0
	v_mov_b32_e32 v60, 0
	s_and_saveexec_b64 s[12:13], vcc
	s_cbranch_execz .LBB627_537
; %bb.532:                              ;   in Loop: Header=BB627_213 Depth=1
	v_cmp_ne_u16_e32 vcc, s9, v44
	v_bfrev_b32_e32 v60, 1
	s_and_saveexec_b64 s[14:15], vcc
	s_cbranch_execz .LBB627_536
; %bb.533:                              ;   in Loop: Header=BB627_213 Depth=1
	v_and_b32_e32 v46, 0x7f, v44
	v_cmp_ne_u32_e32 vcc, s19, v46
	v_mov_b32_e32 v60, 0x7f800001
	s_and_saveexec_b64 s[16:17], vcc
	s_cbranch_execz .LBB627_535
; %bb.534:                              ;   in Loop: Header=BB627_213 Depth=1
	v_and_b32_e32 v62, 7, v44
	v_ffbh_u32_e32 v60, v62
	v_min_u32_e32 v64, 32, v60
	v_subrev_u32_e32 v60, 28, v64
	v_lshlrev_b64 v[60:61], v60, v[44:45]
	v_lshrrev_b32_e32 v63, 3, v46
	v_sub_u32_e32 v44, 29, v64
	v_and_b32_e32 v60, 7, v60
	v_cmp_gt_u32_e32 vcc, 8, v46
	v_cndmask_b32_e32 v44, v63, v44, vcc
	v_cndmask_b32_e32 v46, v62, v60, vcc
	v_lshlrev_b32_e32 v60, 16, v42
	v_lshlrev_b32_e32 v46, 20, v46
	v_and_b32_e32 v60, 0x80000000, v60
	v_lshl_add_u32 v44, v44, 23, v45
	v_or3_b32 v60, v60, v44, v46
.LBB627_535:                            ;   in Loop: Header=BB627_213 Depth=1
	s_or_b64 exec, exec, s[16:17]
.LBB627_536:                            ;   in Loop: Header=BB627_213 Depth=1
	s_or_b64 exec, exec, s[14:15]
.LBB627_537:                            ;   in Loop: Header=BB627_213 Depth=1
	s_or_b64 exec, exec, s[12:13]
	v_lshrrev_b32_e32 v44, 16, v42
	v_cmp_ne_u16_sdwa s[14:15], v44, v43 src0_sel:BYTE_0 src1_sel:DWORD
	s_and_saveexec_b64 s[12:13], s[14:15]
	s_cbranch_execz .LBB627_543
; %bb.538:                              ;   in Loop: Header=BB627_213 Depth=1
	v_cmp_ne_u16_sdwa s[16:17], v44, s9 src0_sel:BYTE_0 src1_sel:DWORD
	v_bfrev_b32_e32 v59, 1
	s_and_saveexec_b64 s[14:15], s[16:17]
	s_cbranch_execz .LBB627_542
; %bb.539:                              ;   in Loop: Header=BB627_213 Depth=1
	v_bfe_u32 v46, v42, 16, 7
	v_cmp_ne_u32_e32 vcc, s19, v46
	v_mov_b32_e32 v59, 0x7f800001
	s_and_saveexec_b64 s[16:17], vcc
	s_cbranch_execz .LBB627_541
; %bb.540:                              ;   in Loop: Header=BB627_213 Depth=1
	v_and_b32_e32 v59, 7, v44
	v_ffbh_u32_e32 v62, v59
	v_min_u32_e32 v64, 32, v62
	v_subrev_u32_e32 v62, 28, v64
	v_lshlrev_b64 v[62:63], v62, v[44:45]
	v_lshrrev_b32_e32 v61, 3, v46
	v_sub_u32_e32 v63, 29, v64
	v_and_b32_e32 v62, 7, v62
	v_cmp_gt_u32_e32 vcc, 8, v46
	v_cndmask_b32_e32 v46, v61, v63, vcc
	v_cndmask_b32_e32 v59, v59, v62, vcc
	v_lshlrev_b32_e32 v44, 24, v44
	v_lshlrev_b32_e32 v59, 20, v59
	v_and_b32_e32 v44, 0x80000000, v44
	v_lshl_add_u32 v46, v46, 23, v45
	v_or3_b32 v59, v44, v46, v59
.LBB627_541:                            ;   in Loop: Header=BB627_213 Depth=1
	s_or_b64 exec, exec, s[16:17]
.LBB627_542:                            ;   in Loop: Header=BB627_213 Depth=1
	s_or_b64 exec, exec, s[14:15]
.LBB627_543:                            ;   in Loop: Header=BB627_213 Depth=1
	s_or_b64 exec, exec, s[12:13]
	v_cmp_lt_u32_e32 vcc, s20, v42
	v_mov_b32_e32 v46, 0
	v_mov_b32_e32 v61, 0
	s_and_saveexec_b64 s[12:13], vcc
	s_cbranch_execz .LBB627_549
; %bb.544:                              ;   in Loop: Header=BB627_213 Depth=1
	v_lshrrev_b32_e32 v44, 24, v42
	v_cmp_ne_u32_e32 vcc, s9, v44
	v_bfrev_b32_e32 v61, 1
	s_and_saveexec_b64 s[14:15], vcc
	s_cbranch_execz .LBB627_548
; %bb.545:                              ;   in Loop: Header=BB627_213 Depth=1
	v_bfe_u32 v42, v42, 24, 7
	v_cmp_ne_u32_e32 vcc, s19, v42
	v_mov_b32_e32 v61, 0x7f800001
	s_and_saveexec_b64 s[16:17], vcc
	s_cbranch_execz .LBB627_547
; %bb.546:                              ;   in Loop: Header=BB627_213 Depth=1
	v_and_b32_e32 v61, 7, v44
	v_ffbh_u32_e32 v62, v61
	v_min_u32_e32 v65, 32, v62
	v_subrev_u32_e32 v62, 28, v65
	v_lshlrev_b64 v[62:63], v62, v[44:45]
	v_lshrrev_b32_e32 v64, 3, v42
	v_sub_u32_e32 v63, 29, v65
	v_and_b32_e32 v62, 7, v62
	v_cmp_gt_u32_e32 vcc, 8, v42
	v_cndmask_b32_e32 v42, v64, v63, vcc
	v_cndmask_b32_e32 v61, v61, v62, vcc
	v_lshlrev_b32_e32 v44, 24, v44
	v_lshlrev_b32_e32 v61, 20, v61
	v_and_b32_e32 v44, 0x80000000, v44
	v_lshl_add_u32 v42, v42, 23, v45
	v_or3_b32 v61, v44, v42, v61
.LBB627_547:                            ;   in Loop: Header=BB627_213 Depth=1
	s_or_b64 exec, exec, s[16:17]
.LBB627_548:                            ;   in Loop: Header=BB627_213 Depth=1
	s_or_b64 exec, exec, s[14:15]
.LBB627_549:                            ;   in Loop: Header=BB627_213 Depth=1
	s_or_b64 exec, exec, s[12:13]
	v_cvt_pkrtz_f16_f32 v50, v50, v52
	v_cvt_pkrtz_f16_f32 v51, v51, v58
	s_waitcnt vmcnt(1)
	v_cmp_ne_u16_sdwa s[14:15], v40, v43 src0_sel:BYTE_0 src1_sel:DWORD
	v_mfma_f32_16x16x16f16 v[34:37], v[50:51], v[26:27], v[34:37]
	v_cvt_pkrtz_f16_f32 v50, v53, v60
	v_cvt_pkrtz_f16_f32 v51, v59, v61
	s_nop 1
	v_mfma_f32_16x16x16f16 v[34:37], v[50:51], v[28:29], v[34:37]
	s_and_saveexec_b64 s[12:13], s[14:15]
	s_cbranch_execz .LBB627_555
; %bb.550:                              ;   in Loop: Header=BB627_213 Depth=1
	v_cmp_ne_u16_sdwa s[16:17], v40, s9 src0_sel:BYTE_0 src1_sel:DWORD
	v_bfrev_b32_e32 v46, 1
	s_and_saveexec_b64 s[14:15], s[16:17]
	s_cbranch_execz .LBB627_554
; %bb.551:                              ;   in Loop: Header=BB627_213 Depth=1
	v_and_b32_e32 v42, 0x7f, v40
	v_cmp_ne_u32_e32 vcc, s19, v42
	v_mov_b32_e32 v46, 0x7f800001
	s_and_saveexec_b64 s[16:17], vcc
	s_cbranch_execz .LBB627_553
; %bb.552:                              ;   in Loop: Header=BB627_213 Depth=1
	v_and_b32_e32 v44, 7, v40
	v_ffbh_u32_e32 v50, v44
	v_min_u32_e32 v52, 32, v50
	v_subrev_u32_e32 v50, 28, v52
	v_lshlrev_b64 v[50:51], v50, v[40:41]
	v_lshrrev_b32_e32 v46, 3, v42
	v_sub_u32_e32 v51, 29, v52
	v_and_b32_e32 v50, 7, v50
	v_cmp_gt_u32_e32 vcc, 8, v42
	v_cndmask_b32_e32 v42, v46, v51, vcc
	v_cndmask_b32_e32 v44, v44, v50, vcc
	v_lshlrev_b32_e32 v46, 24, v40
	v_lshlrev_b32_e32 v44, 20, v44
	v_and_b32_e32 v46, 0x80000000, v46
	v_lshl_add_u32 v42, v42, 23, v45
	v_or3_b32 v46, v46, v42, v44
.LBB627_553:                            ;   in Loop: Header=BB627_213 Depth=1
	s_or_b64 exec, exec, s[16:17]
.LBB627_554:                            ;   in Loop: Header=BB627_213 Depth=1
	s_or_b64 exec, exec, s[14:15]
.LBB627_555:                            ;   in Loop: Header=BB627_213 Depth=1
	s_or_b64 exec, exec, s[12:13]
	v_lshrrev_b16_e32 v42, 8, v40
	v_cmp_ne_u16_e32 vcc, 0, v42
	v_mov_b32_e32 v44, 0
	v_mov_b32_e32 v50, 0
	s_and_saveexec_b64 s[12:13], vcc
	s_cbranch_execz .LBB627_561
; %bb.556:                              ;   in Loop: Header=BB627_213 Depth=1
	v_cmp_ne_u16_e32 vcc, s9, v42
	v_bfrev_b32_e32 v50, 1
	s_and_saveexec_b64 s[14:15], vcc
	s_cbranch_execz .LBB627_560
; %bb.557:                              ;   in Loop: Header=BB627_213 Depth=1
	v_and_b32_e32 v51, 0x7f, v42
	v_cmp_ne_u32_e32 vcc, s19, v51
	v_mov_b32_e32 v50, 0x7f800001
	s_and_saveexec_b64 s[16:17], vcc
	s_cbranch_execz .LBB627_559
; %bb.558:                              ;   in Loop: Header=BB627_213 Depth=1
	v_and_b32_e32 v50, 7, v42
	v_ffbh_u32_e32 v52, v50
	v_min_u32_e32 v59, 32, v52
	v_subrev_u32_e32 v52, 28, v59
	v_lshlrev_b64 v[52:53], v52, v[42:43]
	v_lshrrev_b32_e32 v58, 3, v51
	v_sub_u32_e32 v42, 29, v59
	v_and_b32_e32 v52, 7, v52
	v_cmp_gt_u32_e32 vcc, 8, v51
	v_cndmask_b32_e32 v42, v58, v42, vcc
	v_cndmask_b32_e32 v50, v50, v52, vcc
	v_lshlrev_b32_e32 v51, 16, v40
	v_lshlrev_b32_e32 v50, 20, v50
	v_and_b32_e32 v51, 0x80000000, v51
	v_lshl_add_u32 v42, v42, 23, v45
	v_or3_b32 v50, v51, v42, v50
.LBB627_559:                            ;   in Loop: Header=BB627_213 Depth=1
	s_or_b64 exec, exec, s[16:17]
.LBB627_560:                            ;   in Loop: Header=BB627_213 Depth=1
	s_or_b64 exec, exec, s[14:15]
.LBB627_561:                            ;   in Loop: Header=BB627_213 Depth=1
	s_or_b64 exec, exec, s[12:13]
	v_lshrrev_b32_e32 v42, 16, v40
	v_cmp_ne_u16_sdwa s[14:15], v42, v43 src0_sel:BYTE_0 src1_sel:DWORD
	s_and_saveexec_b64 s[12:13], s[14:15]
	s_cbranch_execz .LBB627_567
; %bb.562:                              ;   in Loop: Header=BB627_213 Depth=1
	v_cmp_ne_u16_sdwa s[16:17], v42, s9 src0_sel:BYTE_0 src1_sel:DWORD
	v_bfrev_b32_e32 v44, 1
	s_and_saveexec_b64 s[14:15], s[16:17]
	s_cbranch_execz .LBB627_566
; %bb.563:                              ;   in Loop: Header=BB627_213 Depth=1
	v_bfe_u32 v51, v40, 16, 7
	v_cmp_ne_u32_e32 vcc, s19, v51
	v_mov_b32_e32 v44, 0x7f800001
	s_and_saveexec_b64 s[16:17], vcc
	s_cbranch_execz .LBB627_565
; %bb.564:                              ;   in Loop: Header=BB627_213 Depth=1
	v_and_b32_e32 v44, 7, v42
	v_ffbh_u32_e32 v52, v44
	v_min_u32_e32 v59, 32, v52
	v_subrev_u32_e32 v52, 28, v59
	v_lshlrev_b64 v[52:53], v52, v[42:43]
	v_lshrrev_b32_e32 v58, 3, v51
	v_sub_u32_e32 v53, 29, v59
	v_and_b32_e32 v52, 7, v52
	v_cmp_gt_u32_e32 vcc, 8, v51
	v_cndmask_b32_e32 v51, v58, v53, vcc
	v_cndmask_b32_e32 v44, v44, v52, vcc
	v_lshlrev_b32_e32 v42, 24, v42
	v_lshlrev_b32_e32 v44, 20, v44
	v_and_b32_e32 v42, 0x80000000, v42
	v_lshl_add_u32 v51, v51, 23, v45
	v_or3_b32 v44, v42, v51, v44
.LBB627_565:                            ;   in Loop: Header=BB627_213 Depth=1
	s_or_b64 exec, exec, s[16:17]
.LBB627_566:                            ;   in Loop: Header=BB627_213 Depth=1
	s_or_b64 exec, exec, s[14:15]
.LBB627_567:                            ;   in Loop: Header=BB627_213 Depth=1
	s_or_b64 exec, exec, s[12:13]
	v_cmp_lt_u32_e32 vcc, s20, v40
	v_mov_b32_e32 v51, 0
	v_mov_b32_e32 v52, 0
	s_and_saveexec_b64 s[12:13], vcc
	s_cbranch_execz .LBB627_573
; %bb.568:                              ;   in Loop: Header=BB627_213 Depth=1
	v_lshrrev_b32_e32 v42, 24, v40
	v_cmp_ne_u32_e32 vcc, s9, v42
	v_bfrev_b32_e32 v52, 1
	s_and_saveexec_b64 s[14:15], vcc
	s_cbranch_execz .LBB627_572
; %bb.569:                              ;   in Loop: Header=BB627_213 Depth=1
	v_bfe_u32 v40, v40, 24, 7
	v_cmp_ne_u32_e32 vcc, s19, v40
	v_mov_b32_e32 v52, 0x7f800001
	s_and_saveexec_b64 s[16:17], vcc
	s_cbranch_execz .LBB627_571
; %bb.570:                              ;   in Loop: Header=BB627_213 Depth=1
	v_and_b32_e32 v58, 7, v42
	v_ffbh_u32_e32 v52, v58
	v_min_u32_e32 v60, 32, v52
	v_subrev_u32_e32 v52, 28, v60
	v_lshlrev_b64 v[52:53], v52, v[42:43]
	v_lshrrev_b32_e32 v59, 3, v40
	v_sub_u32_e32 v53, 29, v60
	v_and_b32_e32 v52, 7, v52
	v_cmp_gt_u32_e32 vcc, 8, v40
	v_cndmask_b32_e32 v40, v59, v53, vcc
	v_cndmask_b32_e32 v52, v58, v52, vcc
	v_lshlrev_b32_e32 v42, 24, v42
	v_lshlrev_b32_e32 v52, 20, v52
	v_and_b32_e32 v42, 0x80000000, v42
	v_lshl_add_u32 v40, v40, 23, v45
	v_or3_b32 v52, v42, v40, v52
.LBB627_571:                            ;   in Loop: Header=BB627_213 Depth=1
	s_or_b64 exec, exec, s[16:17]
.LBB627_572:                            ;   in Loop: Header=BB627_213 Depth=1
	s_or_b64 exec, exec, s[14:15]
.LBB627_573:                            ;   in Loop: Header=BB627_213 Depth=1
	s_or_b64 exec, exec, s[12:13]
	s_waitcnt vmcnt(0)
	v_cmp_ne_u16_sdwa s[14:15], v38, v43 src0_sel:BYTE_0 src1_sel:DWORD
	s_and_saveexec_b64 s[12:13], s[14:15]
	s_cbranch_execz .LBB627_579
; %bb.574:                              ;   in Loop: Header=BB627_213 Depth=1
	v_cmp_ne_u16_sdwa s[16:17], v38, s9 src0_sel:BYTE_0 src1_sel:DWORD
	v_bfrev_b32_e32 v51, 1
	s_and_saveexec_b64 s[14:15], s[16:17]
	s_cbranch_execz .LBB627_578
; %bb.575:                              ;   in Loop: Header=BB627_213 Depth=1
	v_and_b32_e32 v40, 0x7f, v38
	v_cmp_ne_u32_e32 vcc, s19, v40
	v_mov_b32_e32 v51, 0x7f800001
	s_and_saveexec_b64 s[16:17], vcc
	s_cbranch_execz .LBB627_577
; %bb.576:                              ;   in Loop: Header=BB627_213 Depth=1
	v_and_b32_e32 v42, 7, v38
	v_ffbh_u32_e32 v53, v42
	v_min_u32_e32 v53, 32, v53
	v_subrev_u32_e32 v58, 28, v53
	v_lshlrev_b64 v[58:59], v58, v[38:39]
	v_lshrrev_b32_e32 v51, 3, v40
	v_sub_u32_e32 v53, 29, v53
	v_and_b32_e32 v58, 7, v58
	v_cmp_gt_u32_e32 vcc, 8, v40
	v_cndmask_b32_e32 v40, v51, v53, vcc
	v_cndmask_b32_e32 v42, v42, v58, vcc
	v_lshlrev_b32_e32 v51, 24, v38
	v_lshlrev_b32_e32 v42, 20, v42
	v_and_b32_e32 v51, 0x80000000, v51
	v_lshl_add_u32 v40, v40, 23, v45
	v_or3_b32 v51, v51, v40, v42
.LBB627_577:                            ;   in Loop: Header=BB627_213 Depth=1
	s_or_b64 exec, exec, s[16:17]
.LBB627_578:                            ;   in Loop: Header=BB627_213 Depth=1
	s_or_b64 exec, exec, s[14:15]
.LBB627_579:                            ;   in Loop: Header=BB627_213 Depth=1
	s_or_b64 exec, exec, s[12:13]
	v_lshrrev_b16_e32 v40, 8, v38
	v_cmp_ne_u16_e32 vcc, 0, v40
	v_mov_b32_e32 v42, 0
	v_mov_b32_e32 v53, 0
	s_and_saveexec_b64 s[12:13], vcc
	s_cbranch_execz .LBB627_585
; %bb.580:                              ;   in Loop: Header=BB627_213 Depth=1
	v_cmp_ne_u16_e32 vcc, s9, v40
	v_bfrev_b32_e32 v53, 1
	s_and_saveexec_b64 s[14:15], vcc
	s_cbranch_execz .LBB627_584
; %bb.581:                              ;   in Loop: Header=BB627_213 Depth=1
	v_and_b32_e32 v58, 0x7f, v40
	v_cmp_ne_u32_e32 vcc, s19, v58
	v_mov_b32_e32 v53, 0x7f800001
	s_and_saveexec_b64 s[16:17], vcc
	s_cbranch_execz .LBB627_583
; %bb.582:                              ;   in Loop: Header=BB627_213 Depth=1
	v_and_b32_e32 v53, 7, v40
	v_ffbh_u32_e32 v60, v53
	v_min_u32_e32 v62, 32, v60
	v_subrev_u32_e32 v60, 28, v62
	v_lshlrev_b64 v[60:61], v60, v[40:41]
	v_lshrrev_b32_e32 v59, 3, v58
	v_sub_u32_e32 v40, 29, v62
	v_and_b32_e32 v60, 7, v60
	v_cmp_gt_u32_e32 vcc, 8, v58
	v_cndmask_b32_e32 v40, v59, v40, vcc
	v_cndmask_b32_e32 v53, v53, v60, vcc
	v_lshlrev_b32_e32 v58, 16, v38
	v_lshlrev_b32_e32 v53, 20, v53
	v_and_b32_e32 v58, 0x80000000, v58
	v_lshl_add_u32 v40, v40, 23, v45
	v_or3_b32 v53, v58, v40, v53
.LBB627_583:                            ;   in Loop: Header=BB627_213 Depth=1
	s_or_b64 exec, exec, s[16:17]
.LBB627_584:                            ;   in Loop: Header=BB627_213 Depth=1
	s_or_b64 exec, exec, s[14:15]
.LBB627_585:                            ;   in Loop: Header=BB627_213 Depth=1
	s_or_b64 exec, exec, s[12:13]
	v_lshrrev_b32_e32 v40, 16, v38
	v_cmp_ne_u16_sdwa s[14:15], v40, v43 src0_sel:BYTE_0 src1_sel:DWORD
	s_and_saveexec_b64 s[12:13], s[14:15]
	s_cbranch_execz .LBB627_591
; %bb.586:                              ;   in Loop: Header=BB627_213 Depth=1
	v_cmp_ne_u16_sdwa s[16:17], v40, s9 src0_sel:BYTE_0 src1_sel:DWORD
	v_bfrev_b32_e32 v42, 1
	s_and_saveexec_b64 s[14:15], s[16:17]
	s_cbranch_execz .LBB627_590
; %bb.587:                              ;   in Loop: Header=BB627_213 Depth=1
	v_bfe_u32 v58, v38, 16, 7
	v_cmp_ne_u32_e32 vcc, s19, v58
	v_mov_b32_e32 v42, 0x7f800001
	s_and_saveexec_b64 s[16:17], vcc
	s_cbranch_execz .LBB627_589
; %bb.588:                              ;   in Loop: Header=BB627_213 Depth=1
	v_and_b32_e32 v42, 7, v40
	v_ffbh_u32_e32 v60, v42
	v_min_u32_e32 v62, 32, v60
	v_subrev_u32_e32 v60, 28, v62
	v_lshlrev_b64 v[60:61], v60, v[40:41]
	v_lshrrev_b32_e32 v59, 3, v58
	v_sub_u32_e32 v61, 29, v62
	v_and_b32_e32 v60, 7, v60
	v_cmp_gt_u32_e32 vcc, 8, v58
	v_cndmask_b32_e32 v58, v59, v61, vcc
	v_cndmask_b32_e32 v42, v42, v60, vcc
	v_lshlrev_b32_e32 v40, 24, v40
	v_lshlrev_b32_e32 v42, 20, v42
	v_and_b32_e32 v40, 0x80000000, v40
	v_lshl_add_u32 v58, v58, 23, v45
	v_or3_b32 v42, v40, v58, v42
.LBB627_589:                            ;   in Loop: Header=BB627_213 Depth=1
	s_or_b64 exec, exec, s[16:17]
.LBB627_590:                            ;   in Loop: Header=BB627_213 Depth=1
	s_or_b64 exec, exec, s[14:15]
.LBB627_591:                            ;   in Loop: Header=BB627_213 Depth=1
	s_or_b64 exec, exec, s[12:13]
	v_cmp_lt_u32_e32 vcc, s20, v38
	v_mov_b32_e32 v58, 0
	s_and_saveexec_b64 s[12:13], vcc
	s_cbranch_execz .LBB627_212
; %bb.592:                              ;   in Loop: Header=BB627_213 Depth=1
	v_lshrrev_b32_e32 v40, 24, v38
	v_cmp_ne_u32_e32 vcc, s9, v40
	v_bfrev_b32_e32 v58, 1
	s_and_saveexec_b64 s[14:15], vcc
	s_cbranch_execz .LBB627_211
; %bb.593:                              ;   in Loop: Header=BB627_213 Depth=1
	v_bfe_u32 v38, v38, 24, 7
	v_cmp_ne_u32_e32 vcc, s19, v38
	v_mov_b32_e32 v58, 0x7f800001
	s_and_saveexec_b64 s[16:17], vcc
	s_cbranch_execz .LBB627_210
; %bb.594:                              ;   in Loop: Header=BB627_213 Depth=1
	v_and_b32_e32 v60, 7, v40
	v_ffbh_u32_e32 v58, v60
	v_min_u32_e32 v62, 32, v58
	v_subrev_u32_e32 v58, 28, v62
	v_lshlrev_b64 v[58:59], v58, v[40:41]
	v_lshrrev_b32_e32 v61, 3, v38
	v_sub_u32_e32 v59, 29, v62
	v_and_b32_e32 v58, 7, v58
	v_cmp_gt_u32_e32 vcc, 8, v38
	v_cndmask_b32_e32 v38, v61, v59, vcc
	v_cndmask_b32_e32 v58, v60, v58, vcc
	v_lshlrev_b32_e32 v40, 24, v40
	v_lshlrev_b32_e32 v58, 20, v58
	v_and_b32_e32 v40, 0x80000000, v40
	v_lshl_add_u32 v38, v38, 23, v45
	v_or3_b32 v58, v40, v38, v58
	s_branch .LBB627_210
.LBB627_595:
	s_barrier
	buffer_load_dword v2, off, s[0:3], 0 offset:320
	buffer_load_dword v5, off, s[0:3], 0 offset:332
	;; [unrolled: 1-line block ×4, first 2 shown]
	v_cmp_gt_u32_e32 vcc, 64, v0
	s_waitcnt vmcnt(0)
	ds_write2st64_b64 v39, v[2:3], v[4:5] offset1:1
	s_waitcnt lgkmcnt(0)
	s_barrier
	s_and_saveexec_b64 s[4:5], vcc
	s_cbranch_execz .LBB627_598
; %bb.596:
	s_lshl_b32 s4, s50, 7
	s_mul_i32 s5, s18, s8
	s_mul_hi_u32 s9, s5, s4
	s_mul_i32 s8, s5, s4
	s_lshl_b64 s[8:9], s[8:9], 1
	s_add_u32 s5, s48, s8
	v_lshlrev_b32_e32 v5, 6, v55
	s_mov_b32 s7, 0
	s_addc_u32 s8, s49, s9
	s_lshl_b32 s6, s24, 7
	v_lshl_or_b32 v0, v0, 10, v5
	s_lshl_b64 s[6:7], s[6:7], 1
	v_lshlrev_b32_e32 v3, 5, v1
	v_and_b32_e32 v4, 16, v56
	v_and_b32_e32 v0, 0x1a00, v0
	s_add_u32 s5, s5, s6
	v_or_b32_e32 v2, 4, v1
	v_or3_b32 v0, v0, v3, v4
	s_addc_u32 s6, s8, s7
	v_add_u32_e32 v1, s25, v1
	v_mov_b32_e32 v4, s6
	v_add_co_u32_e32 v3, vcc, s5, v54
	ds_read_b128 v[6:9], v0
	v_mad_u64_u32 v[10:11], s[6:7], v1, s4, 0
	v_addc_co_u32_e32 v4, vcc, 0, v4, vcc
	v_lshlrev_b64 v[10:11], 1, v[10:11]
	v_add_co_u32_e32 v10, vcc, v3, v10
	v_addc_co_u32_e32 v11, vcc, v4, v11, vcc
	v_cmp_gt_u32_e32 vcc, 6, v2
	s_waitcnt lgkmcnt(0)
	global_store_dwordx4 v[10:11], v[6:9], off
	s_and_b64 exec, exec, vcc
	s_cbranch_execz .LBB627_598
; %bb.597:
	ds_read_b128 v[6:9], v0 offset:128
	v_add_u32_e32 v0, s25, v2
	v_mad_u64_u32 v[0:1], s[4:5], v0, s4, 0
	v_lshlrev_b64 v[0:1], 1, v[0:1]
	v_add_co_u32_e32 v0, vcc, v3, v0
	v_addc_co_u32_e32 v1, vcc, v4, v1, vcc
	s_waitcnt lgkmcnt(0)
	global_store_dwordx4 v[0:1], v[6:9], off
.LBB627_598:
	s_endpgm
	.section	.rodata,"a",@progbits
	.p2align	6, 0x0
	.amdhsa_kernel _Z39paged_attention_ll4mi_QKV_mfma16_kernelIDF16_hLN4vllm18Fp8KVCacheDataTypeE1EDF16_Li16ELi128ELi256ELb0ELi6EL8MFMAType0EEvPKT_PKT0_S8_ifPKiSA_SA_iPKfiiiPfSD_PS3_PT2_iSC_SC_
		.amdhsa_group_segment_fixed_size 8192
		.amdhsa_private_segment_fixed_size 352
		.amdhsa_kernarg_size 400
		.amdhsa_user_sgpr_count 8
		.amdhsa_user_sgpr_private_segment_buffer 1
		.amdhsa_user_sgpr_dispatch_ptr 0
		.amdhsa_user_sgpr_queue_ptr 0
		.amdhsa_user_sgpr_kernarg_segment_ptr 1
		.amdhsa_user_sgpr_dispatch_id 0
		.amdhsa_user_sgpr_flat_scratch_init 1
		.amdhsa_user_sgpr_kernarg_preload_length 0
		.amdhsa_user_sgpr_kernarg_preload_offset 0
		.amdhsa_user_sgpr_private_segment_size 0
		.amdhsa_uses_dynamic_stack 0
		.amdhsa_system_sgpr_private_segment_wavefront_offset 1
		.amdhsa_system_sgpr_workgroup_id_x 1
		.amdhsa_system_sgpr_workgroup_id_y 1
		.amdhsa_system_sgpr_workgroup_id_z 1
		.amdhsa_system_sgpr_workgroup_info 0
		.amdhsa_system_vgpr_workitem_id 0
		.amdhsa_next_free_vgpr 76
		.amdhsa_next_free_sgpr 53
		.amdhsa_accum_offset 76
		.amdhsa_reserve_vcc 1
		.amdhsa_reserve_flat_scratch 0
		.amdhsa_float_round_mode_32 0
		.amdhsa_float_round_mode_16_64 0
		.amdhsa_float_denorm_mode_32 3
		.amdhsa_float_denorm_mode_16_64 3
		.amdhsa_dx10_clamp 1
		.amdhsa_ieee_mode 1
		.amdhsa_fp16_overflow 0
		.amdhsa_tg_split 0
		.amdhsa_exception_fp_ieee_invalid_op 0
		.amdhsa_exception_fp_denorm_src 0
		.amdhsa_exception_fp_ieee_div_zero 0
		.amdhsa_exception_fp_ieee_overflow 0
		.amdhsa_exception_fp_ieee_underflow 0
		.amdhsa_exception_fp_ieee_inexact 0
		.amdhsa_exception_int_div_zero 0
	.end_amdhsa_kernel
	.section	.text._Z39paged_attention_ll4mi_QKV_mfma16_kernelIDF16_hLN4vllm18Fp8KVCacheDataTypeE1EDF16_Li16ELi128ELi256ELb0ELi6EL8MFMAType0EEvPKT_PKT0_S8_ifPKiSA_SA_iPKfiiiPfSD_PS3_PT2_iSC_SC_,"axG",@progbits,_Z39paged_attention_ll4mi_QKV_mfma16_kernelIDF16_hLN4vllm18Fp8KVCacheDataTypeE1EDF16_Li16ELi128ELi256ELb0ELi6EL8MFMAType0EEvPKT_PKT0_S8_ifPKiSA_SA_iPKfiiiPfSD_PS3_PT2_iSC_SC_,comdat
.Lfunc_end627:
	.size	_Z39paged_attention_ll4mi_QKV_mfma16_kernelIDF16_hLN4vllm18Fp8KVCacheDataTypeE1EDF16_Li16ELi128ELi256ELb0ELi6EL8MFMAType0EEvPKT_PKT0_S8_ifPKiSA_SA_iPKfiiiPfSD_PS3_PT2_iSC_SC_, .Lfunc_end627-_Z39paged_attention_ll4mi_QKV_mfma16_kernelIDF16_hLN4vllm18Fp8KVCacheDataTypeE1EDF16_Li16ELi128ELi256ELb0ELi6EL8MFMAType0EEvPKT_PKT0_S8_ifPKiSA_SA_iPKfiiiPfSD_PS3_PT2_iSC_SC_
                                        ; -- End function
	.section	.AMDGPU.csdata,"",@progbits
; Kernel info:
; codeLenInByte = 21164
; NumSgprs: 57
; NumVgprs: 76
; NumAgprs: 0
; TotalNumVgprs: 76
; ScratchSize: 352
; MemoryBound: 0
; FloatMode: 240
; IeeeMode: 1
; LDSByteSize: 8192 bytes/workgroup (compile time only)
; SGPRBlocks: 7
; VGPRBlocks: 9
; NumSGPRsForWavesPerEU: 57
; NumVGPRsForWavesPerEU: 76
; AccumOffset: 76
; Occupancy: 6
; WaveLimiterHint : 1
; COMPUTE_PGM_RSRC2:SCRATCH_EN: 1
; COMPUTE_PGM_RSRC2:USER_SGPR: 8
; COMPUTE_PGM_RSRC2:TRAP_HANDLER: 0
; COMPUTE_PGM_RSRC2:TGID_X_EN: 1
; COMPUTE_PGM_RSRC2:TGID_Y_EN: 1
; COMPUTE_PGM_RSRC2:TGID_Z_EN: 1
; COMPUTE_PGM_RSRC2:TIDIG_COMP_CNT: 0
; COMPUTE_PGM_RSRC3_GFX90A:ACCUM_OFFSET: 18
; COMPUTE_PGM_RSRC3_GFX90A:TG_SPLIT: 0
	.section	.text._Z39paged_attention_ll4mi_QKV_mfma16_kernelIDF16_hLN4vllm18Fp8KVCacheDataTypeE1EDF16_Li16ELi128ELi256ELb0ELi7EL8MFMAType0EEvPKT_PKT0_S8_ifPKiSA_SA_iPKfiiiPfSD_PS3_PT2_iSC_SC_,"axG",@progbits,_Z39paged_attention_ll4mi_QKV_mfma16_kernelIDF16_hLN4vllm18Fp8KVCacheDataTypeE1EDF16_Li16ELi128ELi256ELb0ELi7EL8MFMAType0EEvPKT_PKT0_S8_ifPKiSA_SA_iPKfiiiPfSD_PS3_PT2_iSC_SC_,comdat
	.protected	_Z39paged_attention_ll4mi_QKV_mfma16_kernelIDF16_hLN4vllm18Fp8KVCacheDataTypeE1EDF16_Li16ELi128ELi256ELb0ELi7EL8MFMAType0EEvPKT_PKT0_S8_ifPKiSA_SA_iPKfiiiPfSD_PS3_PT2_iSC_SC_ ; -- Begin function _Z39paged_attention_ll4mi_QKV_mfma16_kernelIDF16_hLN4vllm18Fp8KVCacheDataTypeE1EDF16_Li16ELi128ELi256ELb0ELi7EL8MFMAType0EEvPKT_PKT0_S8_ifPKiSA_SA_iPKfiiiPfSD_PS3_PT2_iSC_SC_
	.globl	_Z39paged_attention_ll4mi_QKV_mfma16_kernelIDF16_hLN4vllm18Fp8KVCacheDataTypeE1EDF16_Li16ELi128ELi256ELb0ELi7EL8MFMAType0EEvPKT_PKT0_S8_ifPKiSA_SA_iPKfiiiPfSD_PS3_PT2_iSC_SC_
	.p2align	8
	.type	_Z39paged_attention_ll4mi_QKV_mfma16_kernelIDF16_hLN4vllm18Fp8KVCacheDataTypeE1EDF16_Li16ELi128ELi256ELb0ELi7EL8MFMAType0EEvPKT_PKT0_S8_ifPKiSA_SA_iPKfiiiPfSD_PS3_PT2_iSC_SC_,@function
_Z39paged_attention_ll4mi_QKV_mfma16_kernelIDF16_hLN4vllm18Fp8KVCacheDataTypeE1EDF16_Li16ELi128ELi256ELb0ELi7EL8MFMAType0EEvPKT_PKT0_S8_ifPKiSA_SA_iPKfiiiPfSD_PS3_PT2_iSC_SC_: ; @_Z39paged_attention_ll4mi_QKV_mfma16_kernelIDF16_hLN4vllm18Fp8KVCacheDataTypeE1EDF16_Li16ELi128ELi256ELb0ELi7EL8MFMAType0EEvPKT_PKT0_S8_ifPKiSA_SA_iPKfiiiPfSD_PS3_PT2_iSC_SC_
; %bb.0:
	s_load_dwordx2 s[6:7], s[4:5], 0x30
	s_add_u32 s0, s0, s11
	s_addc_u32 s1, s1, 0
	s_mov_b32 s24, s9
	s_mov_b64 s[12:13], 0
	s_waitcnt lgkmcnt(0)
	s_cmp_lg_u64 s[6:7], 0
	s_cselect_b64 s[16:17], -1, 0
	s_and_b64 vcc, exec, s[16:17]
	s_cbranch_vccz .LBB628_7
; %bb.1:
	s_add_i32 s14, s8, 1
	s_mov_b32 s15, 0
	s_lshl_b64 s[18:19], s[14:15], 2
	s_add_u32 s18, s6, s18
	s_mov_b32 s9, s15
	s_addc_u32 s19, s7, s19
	s_lshl_b64 s[14:15], s[8:9], 2
	s_add_u32 s14, s6, s14
	s_addc_u32 s15, s7, s15
	s_load_dword s11, s[18:19], 0x0
	s_load_dword s20, s[14:15], 0x0
	s_waitcnt lgkmcnt(0)
	s_sub_i32 s11, s11, s20
	s_cmp_eq_u32 s11, 1
	s_cselect_b64 s[14:15], -1, 0
	s_andn2_b64 vcc, exec, s[12:13]
	s_cbranch_vccnz .LBB628_3
.LBB628_2:
	s_mov_b32 s9, 0
	s_mov_b64 s[14:15], -1
.LBB628_3:
	s_andn2_b64 vcc, exec, s[14:15]
	s_cbranch_vccnz .LBB628_598
; %bb.4:
	s_load_dwordx2 s[12:13], s[4:5], 0x28
	s_lshl_b64 s[18:19], s[8:9], 2
	s_waitcnt lgkmcnt(0)
	s_add_u32 s12, s12, s18
	s_addc_u32 s13, s13, s19
	s_load_dword s33, s[12:13], 0x0
	s_lshl_b32 s20, s24, 8
	s_waitcnt lgkmcnt(0)
	s_cmp_ge_i32 s20, s33
	s_cbranch_scc1 .LBB628_598
; %bb.5:
	s_add_i32 s14, s33, 15
	s_load_dwordx2 s[12:13], s[4:5], 0x20
	s_load_dword s11, s[4:5], 0x38
	s_ashr_i32 s15, s14, 31
	v_and_b32_e32 v1, 0xcf, v0
	s_lshr_b32 s15, s15, 28
	v_add_u32_e32 v1, s20, v1
	s_add_i32 s14, s14, s15
	v_ashrrev_i32_e32 v2, 31, v1
	s_ashr_i32 s22, s14, 4
	v_lshrrev_b32_e32 v8, 28, v2
	s_add_i32 s22, s22, -1
	v_add_u32_e32 v2, v1, v8
	s_waitcnt lgkmcnt(0)
	s_mul_i32 s14, s8, s11
	s_mov_b32 s15, 0
	v_ashrrev_i32_e32 v2, 4, v2
	v_mov_b32_e32 v9, s22
	v_cmp_gt_i32_e32 vcc, s33, v1
	s_lshl_b64 s[14:15], s[14:15], 2
	v_cndmask_b32_e32 v2, v9, v2, vcc
	s_add_u32 s11, s12, s14
	v_ashrrev_i32_e32 v3, 31, v2
	s_addc_u32 s21, s13, s15
	v_lshlrev_b64 v[2:3], 2, v[2:3]
	v_mov_b32_e32 v5, s21
	v_add_co_u32_e32 v4, vcc, s11, v2
	v_or_b32_e32 v2, 16, v1
	v_addc_co_u32_e32 v5, vcc, v5, v3, vcc
	v_add_u32_e32 v3, v2, v8
	v_ashrrev_i32_e32 v3, 4, v3
	v_cmp_gt_i32_e32 vcc, s33, v2
	v_cndmask_b32_e32 v2, v9, v3, vcc
	v_ashrrev_i32_e32 v3, 31, v2
	v_lshlrev_b64 v[2:3], 2, v[2:3]
	v_mov_b32_e32 v7, s21
	v_add_co_u32_e32 v6, vcc, s11, v2
	v_or_b32_e32 v2, 32, v1
	v_addc_co_u32_e32 v7, vcc, v7, v3, vcc
	v_add_u32_e32 v3, v2, v8
	v_ashrrev_i32_e32 v3, 4, v3
	v_cmp_gt_i32_e32 vcc, s33, v2
	v_cndmask_b32_e32 v2, v9, v3, vcc
	v_ashrrev_i32_e32 v3, 31, v2
	;; [unrolled: 10-line block ×3, first 2 shown]
	v_lshlrev_b64 v[2:3], 2, v[2:3]
	v_mov_b32_e32 v1, s21
	v_add_co_u32_e32 v12, vcc, s11, v2
	v_addc_co_u32_e32 v13, vcc, v1, v3, vcc
	global_load_dword v2, v[4:5], off
	global_load_dword v9, v[6:7], off
	;; [unrolled: 1-line block ×4, first 2 shown]
	s_load_dwordx4 s[12:15], s[4:5], 0x8
	s_andn2_b64 vcc, exec, s[16:17]
	s_cbranch_vccnz .LBB628_8
; %bb.6:
	s_add_u32 s6, s6, s18
	s_addc_u32 s7, s7, s19
	s_load_dword s16, s[6:7], 0x0
	s_branch .LBB628_9
.LBB628_7:
	s_mov_b64 s[14:15], 0
	s_branch .LBB628_2
.LBB628_8:
	s_mov_b32 s16, s8
.LBB628_9:
	s_load_dwordx2 s[48:49], s[4:5], 0x68
	s_load_dwordx8 s[40:47], s[4:5], 0x48
	v_lshrrev_b32_e32 v60, 6, v0
	v_bfe_u32 v1, v0, 4, 2
	v_and_b32_e32 v55, 15, v0
	v_lshl_or_b32 v3, v60, 2, v1
	v_lshlrev_b32_e32 v4, 3, v55
	s_mul_i32 s25, s10, 7
	v_cmp_gt_u32_e32 vcc, 7, v3
	v_lshlrev_b32_e32 v54, 1, v4
	v_lshlrev_b32_e32 v56, 4, v0
	s_and_saveexec_b64 s[6:7], vcc
	s_cbranch_execz .LBB628_11
; %bb.10:
	s_load_dwordx2 s[18:19], s[4:5], 0x0
	s_waitcnt lgkmcnt(0)
	s_ashr_i32 s17, s40, 31
	s_mul_hi_u32 s23, s16, s40
	s_mul_i32 s17, s16, s17
	s_add_i32 s17, s23, s17
	s_mul_i32 s16, s16, s40
	s_lshl_b64 s[16:17], s[16:17], 1
	v_add_lshl_u32 v4, v3, s25, 7
	s_add_u32 s16, s18, s16
	v_ashrrev_i32_e32 v5, 31, v4
	s_addc_u32 s17, s19, s17
	v_lshlrev_b64 v[4:5], 1, v[4:5]
	v_mov_b32_e32 v6, s17
	v_add_co_u32_e32 v4, vcc, s16, v4
	v_addc_co_u32_e32 v5, vcc, v6, v5, vcc
	v_add_co_u32_e32 v4, vcc, v4, v54
	v_addc_co_u32_e32 v5, vcc, 0, v5, vcc
	global_load_dwordx4 v[4:7], v[4:5], off
	v_lshlrev_b32_e32 v11, 8, v0
	v_lshlrev_b32_e32 v10, 8, v55
	v_and_b32_e32 v11, 0x600, v11
	s_movk_i32 s16, 0x800
	v_and_or_b32 v10, v10, s16, v11
	v_lshlrev_b32_e32 v3, 5, v3
	v_and_b32_e32 v11, 16, v56
	v_or3_b32 v3, v10, v3, v11
	s_waitcnt vmcnt(0)
	ds_write_b128 v3, v[4:7]
.LBB628_11:
	s_or_b64 exec, exec, s[6:7]
	s_waitcnt lgkmcnt(0)
	s_mul_i32 s10, s10, s42
	s_add_u32 s6, s12, s10
	s_addc_u32 s7, s13, 0
	v_and_b32_e32 v3, 0xf0, v56
	v_mov_b32_e32 v4, s7
	v_add_co_u32_e32 v18, vcc, s6, v3
	v_and_b32_e32 v10, 48, v0
	v_addc_co_u32_e32 v19, vcc, 0, v4, vcc
	v_lshlrev_b32_e32 v21, 4, v10
	s_waitcnt vmcnt(3)
	v_mad_i64_i32 v[2:3], s[6:7], v2, s41, v[18:19]
	v_add_co_u32_e32 v6, vcc, v2, v21
	v_addc_co_u32_e32 v7, vcc, 0, v3, vcc
	v_or_b32_e32 v16, s20, v10
	v_ashrrev_i32_e32 v10, 4, v16
	v_mov_b32_e32 v17, s22
	v_cmp_gt_i32_e32 vcc, s33, v16
	v_cndmask_b32_e32 v10, v17, v10, vcc
	v_ashrrev_i32_e32 v11, 31, v10
	v_lshlrev_b64 v[10:11], 2, v[10:11]
	v_mov_b32_e32 v12, s21
	v_add_co_u32_e32 v10, vcc, s11, v10
	v_addc_co_u32_e32 v11, vcc, v12, v11, vcc
	v_or_b32_e32 v12, 64, v16
	v_ashrrev_i32_e32 v13, 4, v12
	v_cmp_gt_i32_e32 vcc, s33, v12
	v_cndmask_b32_e32 v12, v17, v13, vcc
	v_ashrrev_i32_e32 v13, 31, v12
	v_lshlrev_b64 v[12:13], 2, v[12:13]
	v_mov_b32_e32 v14, s21
	v_add_co_u32_e32 v12, vcc, s11, v12
	v_addc_co_u32_e32 v13, vcc, v14, v13, vcc
	v_or_b32_e32 v14, 0x80, v16
	v_ashrrev_i32_e32 v15, 4, v14
	v_cmp_gt_i32_e32 vcc, s33, v14
	v_cndmask_b32_e32 v14, v17, v15, vcc
	v_ashrrev_i32_e32 v15, 31, v14
	v_lshlrev_b64 v[14:15], 2, v[14:15]
	v_mov_b32_e32 v22, s21
	v_add_co_u32_e32 v14, vcc, s11, v14
	s_load_dwordx2 s[50:51], s[4:5], 0x94
	s_waitcnt lgkmcnt(0)
	s_barrier
	global_load_dwordx4 v[2:5], v[6:7], off
	v_addc_co_u32_e32 v15, vcc, v22, v15, vcc
	global_load_dword v50, v[10:11], off
	global_load_dword v57, v[12:13], off
	;; [unrolled: 1-line block ×3, first 2 shown]
	v_or_b32_e32 v10, 0xc0, v16
	v_ashrrev_i32_e32 v11, 4, v10
	v_cmp_gt_i32_e32 vcc, s33, v10
	v_cndmask_b32_e32 v10, v17, v11, vcc
	v_ashrrev_i32_e32 v11, 31, v10
	v_lshlrev_b64 v[10:11], 2, v[10:11]
	v_mov_b32_e32 v12, s21
	v_add_co_u32_e32 v10, vcc, s11, v10
	v_addc_co_u32_e32 v11, vcc, v12, v11, vcc
	global_load_dword v63, v[10:11], off
	global_load_dwordx4 v[14:17], v[6:7], off offset:1024
	s_waitcnt vmcnt(8)
	v_mad_i64_i32 v[6:7], s[6:7], v9, s41, v[18:19]
	v_add_co_u32_e32 v6, vcc, v6, v21
	v_addc_co_u32_e32 v7, vcc, 0, v7, vcc
	global_load_dwordx4 v[46:49], v[6:7], off
	global_load_dwordx4 v[10:13], v[6:7], off offset:1024
	s_waitcnt vmcnt(9)
	v_mad_i64_i32 v[6:7], s[6:7], v8, s41, v[18:19]
	v_add_co_u32_e32 v22, vcc, v6, v21
	v_addc_co_u32_e32 v23, vcc, 0, v7, vcc
	global_load_dwordx4 v[6:9], v[22:23], off
	s_add_u32 s10, s14, s10
	v_lshl_or_b32 v61, v60, 4, v55
	s_addc_u32 s11, s15, 0
	v_lshlrev_b32_e32 v51, 4, v61
	s_mov_b32 s12, 0
	s_waitcnt vmcnt(8)
	buffer_store_dword v5, off, s[0:3], 0 offset:12
	buffer_store_dword v4, off, s[0:3], 0 offset:8
	v_mad_i64_i32 v[4:5], s[6:7], v20, s41, v[18:19]
	v_add_co_u32_e32 v4, vcc, v4, v21
	v_addc_co_u32_e32 v5, vcc, 0, v5, vcc
	global_load_dwordx4 v[22:25], v[22:23], off offset:1024
	s_nop 0
	global_load_dwordx4 v[26:29], v[4:5], off
	global_load_dwordx4 v[18:21], v[4:5], off offset:1024
	v_mov_b32_e32 v5, s11
	v_add_co_u32_e32 v4, vcc, s10, v51
	v_addc_co_u32_e32 v5, vcc, 0, v5, vcc
	s_waitcnt vmcnt(12)
	v_mad_i64_i32 v[30:31], s[6:7], v50, s41, v[4:5]
	s_waitcnt vmcnt(11)
	v_mad_i64_i32 v[32:33], s[6:7], v57, s41, v[4:5]
	;; [unrolled: 2-line block ×3, first 2 shown]
	global_load_dwordx4 v[34:37], v[30:31], off
	s_nop 0
	global_load_dwordx4 v[30:33], v[32:33], off
	s_waitcnt vmcnt(11)
	v_mad_i64_i32 v[4:5], s[6:7], v63, s41, v[4:5]
	global_load_dwordx4 v[42:45], v[38:39], off
	s_nop 0
	global_load_dwordx4 v[38:41], v[4:5], off
	v_or_b32_e32 v4, 0x400, v51
	v_mov_b32_e32 v5, s11
	v_add_co_u32_e32 v4, vcc, s10, v4
	v_addc_co_u32_e32 v5, vcc, 0, v5, vcc
	v_mad_i64_i32 v[50:51], s[6:7], v50, s41, v[4:5]
	buffer_store_dword v3, off, s[0:3], 0 offset:4
	buffer_store_dword v2, off, s[0:3], 0
	v_mad_i64_i32 v[2:3], s[6:7], v62, s41, v[4:5]
	global_load_dwordx4 v[50:53], v[50:51], off
	v_mad_i64_i32 v[58:59], s[6:7], v57, s41, v[4:5]
	global_load_dwordx4 v[68:71], v[2:3], off
	;; [unrolled: 2-line block ×3, first 2 shown]
	global_load_dwordx4 v[72:75], v[2:3], off
	v_mov_b32_e32 v2, 0x80
	s_waitcnt vmcnt(18)
	buffer_store_dword v17, off, s[0:3], 0 offset:28
	buffer_store_dword v16, off, s[0:3], 0 offset:24
	;; [unrolled: 1-line block ×4, first 2 shown]
	s_waitcnt vmcnt(21)
	buffer_store_dword v49, off, s[0:3], 0 offset:44
	buffer_store_dword v48, off, s[0:3], 0 offset:40
	;; [unrolled: 1-line block ×4, first 2 shown]
	v_add_u32_e32 v47, 16, v2
	v_add_u32_e32 v46, 32, v2
	;; [unrolled: 1-line block ×7, first 2 shown]
	v_mul_lo_u16_e32 v2, 37, v55
	v_mov_b32_e32 v3, 7
	s_load_dword s6, s[4:5], 0x1c
	s_load_dwordx4 s[40:43], s[4:5], 0x80
	v_mul_lo_u16_sdwa v2, v2, v3 dst_sel:DWORD dst_unused:UNUSED_PAD src0_sel:BYTE_1 src1_sel:DWORD
	v_sub_u16_e32 v2, v55, v2
	v_mov_b32_e32 v3, 5
	v_lshlrev_b32_sdwa v2, v3, v2 dst_sel:DWORD dst_unused:UNUSED_PAD src0_sel:DWORD src1_sel:BYTE_0
	s_waitcnt vmcnt(24)
	buffer_store_dword v13, off, s[0:3], 0 offset:60
	buffer_store_dword v12, off, s[0:3], 0 offset:56
	;; [unrolled: 1-line block ×4, first 2 shown]
	s_waitcnt vmcnt(27)
	buffer_store_dword v9, off, s[0:3], 0 offset:76
	buffer_store_dword v8, off, s[0:3], 0 offset:72
	;; [unrolled: 1-line block ×4, first 2 shown]
	v_lshl_add_u32 v14, v1, 9, v2
	ds_read_b128 v[2:5], v14
	ds_read_b128 v[6:9], v14 offset:16
	ds_read_b128 v[10:13], v14 offset:2048
	;; [unrolled: 1-line block ×3, first 2 shown]
	s_waitcnt vmcnt(28)
	buffer_store_dword v25, off, s[0:3], 0 offset:92
	buffer_store_dword v24, off, s[0:3], 0 offset:88
	buffer_store_dword v23, off, s[0:3], 0 offset:84
	buffer_store_dword v22, off, s[0:3], 0 offset:80
	s_waitcnt vmcnt(31)
	buffer_store_dword v29, off, s[0:3], 0 offset:108
	buffer_store_dword v28, off, s[0:3], 0 offset:104
	buffer_store_dword v27, off, s[0:3], 0 offset:100
	buffer_store_dword v26, off, s[0:3], 0 offset:96
	;; [unrolled: 5-line block ×9, first 2 shown]
	buffer_store_dword v71, off, s[0:3], 0 offset:220
	buffer_store_dword v70, off, s[0:3], 0 offset:216
	;; [unrolled: 1-line block ×4, first 2 shown]
	s_waitcnt vmcnt(56)
	buffer_store_dword v75, off, s[0:3], 0 offset:252
	s_waitcnt lgkmcnt(0)
	s_load_dword s4, s[40:41], 0x0
	v_mov_b32_e32 v18, s6
	v_and_b32_e32 v62, 63, v0
	s_movk_i32 s13, 0x80
	v_mov_b32_e32 v27, 0
	s_waitcnt lgkmcnt(0)
	v_mul_f32_e32 v22, s4, v18
	v_mov_b32_e32 v24, v22
	v_mov_b32_e32 v25, v22
	s_movk_i32 s14, 0x7f
	s_mov_b32 s15, 0xffffff
	v_mov_b32_e32 v29, 0
	v_mov_b32_e32 v31, 0x100
	v_bfrev_b32_e32 v33, 60
	buffer_store_dword v74, off, s[0:3], 0 offset:248
	buffer_store_dword v73, off, s[0:3], 0 offset:244
	;; [unrolled: 1-line block ×3, first 2 shown]
	s_branch .LBB628_15
.LBB628_12:                             ;   in Loop: Header=BB628_15 Depth=1
	s_or_b64 exec, exec, s[10:11]
.LBB628_13:                             ;   in Loop: Header=BB628_15 Depth=1
	s_or_b64 exec, exec, s[6:7]
.LBB628_14:                             ;   in Loop: Header=BB628_15 Depth=1
	s_or_b64 exec, exec, s[4:5]
	v_cvt_pkrtz_f16_f32 v40, v34, v32
	v_cvt_pkrtz_f16_f32 v41, v23, v36
	;; [unrolled: 1-line block ×4, first 2 shown]
	v_add_u32_e32 v26, s12, v31
	v_mfma_f32_16x16x16f16 v[18:21], v[40:41], v[14:15], v[18:21]
	s_add_i32 s12, s12, 16
	v_mov_b32_e32 v23, v22
	s_cmp_eq_u32 s12, 64
	v_add_u32_e32 v27, 32, v27
	v_mfma_f32_16x16x16f16 v[18:21], v[34:35], v[16:17], v[18:21]
	s_nop 7
	s_nop 2
	v_pk_mul_f32 v[18:19], v[24:25], v[18:19]
	v_pk_mul_f32 v[20:21], v[22:23], v[20:21]
	buffer_store_dword v19, v26, s[0:3], 0 offen offset:4
	buffer_store_dword v18, v26, s[0:3], 0 offen
	buffer_store_dword v21, v26, s[0:3], 0 offen offset:12
	buffer_store_dword v20, v26, s[0:3], 0 offen offset:8
	s_cbranch_scc1 .LBB628_205
.LBB628_15:                             ; =>This Inner Loop Header: Depth=1
	buffer_load_dword v20, v27, s[0:3], 0 offen
	buffer_load_dword v18, v27, s[0:3], 0 offen offset:4
	buffer_load_dword v28, v27, s[0:3], 0 offen offset:8
	;; [unrolled: 1-line block ×3, first 2 shown]
	v_mov_b32_e32 v19, 0
	s_waitcnt vmcnt(3)
	v_cmp_ne_u16_sdwa s[6:7], v20, v29 src0_sel:BYTE_0 src1_sel:DWORD
	s_and_saveexec_b64 s[4:5], s[6:7]
	s_cbranch_execz .LBB628_21
; %bb.16:                               ;   in Loop: Header=BB628_15 Depth=1
	v_cmp_ne_u16_sdwa s[10:11], v20, s13 src0_sel:BYTE_0 src1_sel:DWORD
	v_bfrev_b32_e32 v19, 1
	s_and_saveexec_b64 s[6:7], s[10:11]
	s_cbranch_execz .LBB628_20
; %bb.17:                               ;   in Loop: Header=BB628_15 Depth=1
	v_and_b32_e32 v21, 0x7f, v20
	v_cmp_ne_u32_e32 vcc, s14, v21
	v_mov_b32_e32 v19, 0x7f800001
	s_and_saveexec_b64 s[10:11], vcc
	s_cbranch_execz .LBB628_19
; %bb.18:                               ;   in Loop: Header=BB628_15 Depth=1
	v_and_b32_e32 v19, 7, v20
	v_ffbh_u32_e32 v30, v19
	v_min_u32_e32 v30, 32, v30
	v_subrev_u32_e32 v32, 28, v30
	v_lshlrev_b64 v[34:35], v32, v[20:21]
	v_lshrrev_b32_e32 v23, 3, v21
	v_sub_u32_e32 v30, 29, v30
	v_and_b32_e32 v32, 7, v34
	v_cmp_gt_u32_e32 vcc, 8, v21
	v_cndmask_b32_e32 v21, v23, v30, vcc
	v_cndmask_b32_e32 v19, v19, v32, vcc
	v_lshlrev_b32_e32 v23, 24, v20
	v_lshlrev_b32_e32 v19, 20, v19
	v_and_b32_e32 v23, 0x80000000, v23
	v_lshl_add_u32 v21, v21, 23, v33
	v_or3_b32 v19, v23, v21, v19
.LBB628_19:                             ;   in Loop: Header=BB628_15 Depth=1
	s_or_b64 exec, exec, s[10:11]
.LBB628_20:                             ;   in Loop: Header=BB628_15 Depth=1
	s_or_b64 exec, exec, s[6:7]
.LBB628_21:                             ;   in Loop: Header=BB628_15 Depth=1
	s_or_b64 exec, exec, s[4:5]
	v_lshrrev_b16_e32 v30, 8, v20
	v_cmp_ne_u16_e32 vcc, 0, v30
	v_mov_b32_e32 v21, 0
	v_mov_b32_e32 v23, 0
	s_and_saveexec_b64 s[4:5], vcc
	s_cbranch_execz .LBB628_27
; %bb.22:                               ;   in Loop: Header=BB628_15 Depth=1
	v_cmp_ne_u16_e32 vcc, s13, v30
	v_bfrev_b32_e32 v23, 1
	s_and_saveexec_b64 s[6:7], vcc
	s_cbranch_execz .LBB628_26
; %bb.23:                               ;   in Loop: Header=BB628_15 Depth=1
	v_and_b32_e32 v32, 0x7f, v30
	v_cmp_ne_u32_e32 vcc, s14, v32
	v_mov_b32_e32 v23, 0x7f800001
	s_and_saveexec_b64 s[10:11], vcc
	s_cbranch_execz .LBB628_25
; %bb.24:                               ;   in Loop: Header=BB628_15 Depth=1
	v_and_b32_e32 v23, 7, v30
	v_ffbh_u32_e32 v34, v23
	v_min_u32_e32 v37, 32, v34
	v_subrev_u32_e32 v34, 28, v37
	v_lshlrev_b64 v[34:35], v34, v[30:31]
	v_lshrrev_b32_e32 v36, 3, v32
	v_sub_u32_e32 v30, 29, v37
	v_and_b32_e32 v34, 7, v34
	v_cmp_gt_u32_e32 vcc, 8, v32
	v_cndmask_b32_e32 v30, v36, v30, vcc
	v_cndmask_b32_e32 v23, v23, v34, vcc
	v_lshlrev_b32_e32 v32, 16, v20
	v_lshlrev_b32_e32 v23, 20, v23
	v_and_b32_e32 v32, 0x80000000, v32
	v_lshl_add_u32 v30, v30, 23, v33
	v_or3_b32 v23, v32, v30, v23
.LBB628_25:                             ;   in Loop: Header=BB628_15 Depth=1
	s_or_b64 exec, exec, s[10:11]
.LBB628_26:                             ;   in Loop: Header=BB628_15 Depth=1
	s_or_b64 exec, exec, s[6:7]
.LBB628_27:                             ;   in Loop: Header=BB628_15 Depth=1
	s_or_b64 exec, exec, s[4:5]
	v_lshrrev_b32_e32 v30, 16, v20
	v_cmp_ne_u16_sdwa s[6:7], v30, v29 src0_sel:BYTE_0 src1_sel:DWORD
	s_and_saveexec_b64 s[4:5], s[6:7]
	s_cbranch_execz .LBB628_33
; %bb.28:                               ;   in Loop: Header=BB628_15 Depth=1
	v_cmp_ne_u16_sdwa s[10:11], v30, s13 src0_sel:BYTE_0 src1_sel:DWORD
	v_bfrev_b32_e32 v21, 1
	s_and_saveexec_b64 s[6:7], s[10:11]
	s_cbranch_execz .LBB628_32
; %bb.29:                               ;   in Loop: Header=BB628_15 Depth=1
	v_bfe_u32 v32, v20, 16, 7
	v_cmp_ne_u32_e32 vcc, s14, v32
	v_mov_b32_e32 v21, 0x7f800001
	s_and_saveexec_b64 s[10:11], vcc
	s_cbranch_execz .LBB628_31
; %bb.30:                               ;   in Loop: Header=BB628_15 Depth=1
	v_and_b32_e32 v21, 7, v30
	v_ffbh_u32_e32 v34, v21
	v_min_u32_e32 v37, 32, v34
	v_subrev_u32_e32 v34, 28, v37
	v_lshlrev_b64 v[34:35], v34, v[30:31]
	v_lshrrev_b32_e32 v36, 3, v32
	v_sub_u32_e32 v35, 29, v37
	v_and_b32_e32 v34, 7, v34
	v_cmp_gt_u32_e32 vcc, 8, v32
	v_cndmask_b32_e32 v32, v36, v35, vcc
	v_cndmask_b32_e32 v21, v21, v34, vcc
	v_lshlrev_b32_e32 v30, 24, v30
	v_lshlrev_b32_e32 v21, 20, v21
	v_and_b32_e32 v30, 0x80000000, v30
	v_lshl_add_u32 v32, v32, 23, v33
	v_or3_b32 v21, v30, v32, v21
.LBB628_31:                             ;   in Loop: Header=BB628_15 Depth=1
	s_or_b64 exec, exec, s[10:11]
.LBB628_32:                             ;   in Loop: Header=BB628_15 Depth=1
	s_or_b64 exec, exec, s[6:7]
.LBB628_33:                             ;   in Loop: Header=BB628_15 Depth=1
	s_or_b64 exec, exec, s[4:5]
	v_cmp_lt_u32_e32 vcc, s15, v20
	v_mov_b32_e32 v34, 0
	v_mov_b32_e32 v35, 0
	s_and_saveexec_b64 s[4:5], vcc
	s_cbranch_execz .LBB628_39
; %bb.34:                               ;   in Loop: Header=BB628_15 Depth=1
	v_lshrrev_b32_e32 v30, 24, v20
	v_cmp_ne_u32_e32 vcc, s13, v30
	v_bfrev_b32_e32 v35, 1
	s_and_saveexec_b64 s[6:7], vcc
	s_cbranch_execz .LBB628_38
; %bb.35:                               ;   in Loop: Header=BB628_15 Depth=1
	v_bfe_u32 v20, v20, 24, 7
	v_cmp_ne_u32_e32 vcc, s14, v20
	v_mov_b32_e32 v35, 0x7f800001
	s_and_saveexec_b64 s[10:11], vcc
	s_cbranch_execz .LBB628_37
; %bb.36:                               ;   in Loop: Header=BB628_15 Depth=1
	v_and_b32_e32 v32, 7, v30
	v_ffbh_u32_e32 v36, v32
	v_min_u32_e32 v38, 32, v36
	v_subrev_u32_e32 v36, 28, v38
	v_lshlrev_b64 v[36:37], v36, v[30:31]
	v_lshrrev_b32_e32 v35, 3, v20
	v_sub_u32_e32 v37, 29, v38
	v_and_b32_e32 v36, 7, v36
	v_cmp_gt_u32_e32 vcc, 8, v20
	v_cndmask_b32_e32 v20, v35, v37, vcc
	v_cndmask_b32_e32 v32, v32, v36, vcc
	v_lshlrev_b32_e32 v30, 24, v30
	v_lshlrev_b32_e32 v32, 20, v32
	v_and_b32_e32 v30, 0x80000000, v30
	v_lshl_add_u32 v20, v20, 23, v33
	v_or3_b32 v35, v30, v20, v32
.LBB628_37:                             ;   in Loop: Header=BB628_15 Depth=1
	s_or_b64 exec, exec, s[10:11]
.LBB628_38:                             ;   in Loop: Header=BB628_15 Depth=1
	s_or_b64 exec, exec, s[6:7]
.LBB628_39:                             ;   in Loop: Header=BB628_15 Depth=1
	s_or_b64 exec, exec, s[4:5]
	s_waitcnt vmcnt(2)
	v_cmp_ne_u16_sdwa s[6:7], v18, v29 src0_sel:BYTE_0 src1_sel:DWORD
	s_and_saveexec_b64 s[4:5], s[6:7]
	s_cbranch_execz .LBB628_45
; %bb.40:                               ;   in Loop: Header=BB628_15 Depth=1
	v_cmp_ne_u16_sdwa s[10:11], v18, s13 src0_sel:BYTE_0 src1_sel:DWORD
	v_bfrev_b32_e32 v34, 1
	s_and_saveexec_b64 s[6:7], s[10:11]
	s_cbranch_execz .LBB628_44
; %bb.41:                               ;   in Loop: Header=BB628_15 Depth=1
	v_and_b32_e32 v20, 0x7f, v18
	v_cmp_ne_u32_e32 vcc, s14, v20
	v_mov_b32_e32 v34, 0x7f800001
	s_and_saveexec_b64 s[10:11], vcc
	s_cbranch_execz .LBB628_43
; %bb.42:                               ;   in Loop: Header=BB628_15 Depth=1
	v_and_b32_e32 v30, 7, v18
	v_ffbh_u32_e32 v34, v30
	v_min_u32_e32 v34, 32, v34
	v_subrev_u32_e32 v36, 28, v34
	v_lshlrev_b64 v[36:37], v36, v[18:19]
	v_lshrrev_b32_e32 v32, 3, v20
	v_sub_u32_e32 v34, 29, v34
	v_and_b32_e32 v36, 7, v36
	v_cmp_gt_u32_e32 vcc, 8, v20
	v_cndmask_b32_e32 v20, v32, v34, vcc
	v_cndmask_b32_e32 v30, v30, v36, vcc
	v_lshlrev_b32_e32 v32, 24, v18
	v_lshlrev_b32_e32 v30, 20, v30
	v_and_b32_e32 v32, 0x80000000, v32
	v_lshl_add_u32 v20, v20, 23, v33
	v_or3_b32 v34, v32, v20, v30
.LBB628_43:                             ;   in Loop: Header=BB628_15 Depth=1
	s_or_b64 exec, exec, s[10:11]
.LBB628_44:                             ;   in Loop: Header=BB628_15 Depth=1
	s_or_b64 exec, exec, s[6:7]
.LBB628_45:                             ;   in Loop: Header=BB628_15 Depth=1
	s_or_b64 exec, exec, s[4:5]
	v_lshrrev_b16_e32 v20, 8, v18
	v_cmp_ne_u16_e32 vcc, 0, v20
	v_mov_b32_e32 v30, 0
	v_mov_b32_e32 v36, 0
	s_and_saveexec_b64 s[4:5], vcc
	s_cbranch_execz .LBB628_51
; %bb.46:                               ;   in Loop: Header=BB628_15 Depth=1
	v_cmp_ne_u16_e32 vcc, s13, v20
	v_bfrev_b32_e32 v36, 1
	s_and_saveexec_b64 s[6:7], vcc
	s_cbranch_execz .LBB628_50
; %bb.47:                               ;   in Loop: Header=BB628_15 Depth=1
	v_and_b32_e32 v32, 0x7f, v20
	v_cmp_ne_u32_e32 vcc, s14, v32
	v_mov_b32_e32 v36, 0x7f800001
	s_and_saveexec_b64 s[10:11], vcc
	s_cbranch_execz .LBB628_49
; %bb.48:                               ;   in Loop: Header=BB628_15 Depth=1
	v_and_b32_e32 v38, 7, v20
	v_ffbh_u32_e32 v36, v38
	v_min_u32_e32 v40, 32, v36
	v_subrev_u32_e32 v36, 28, v40
	v_lshlrev_b64 v[36:37], v36, v[20:21]
	v_lshrrev_b32_e32 v39, 3, v32
	v_sub_u32_e32 v20, 29, v40
	v_and_b32_e32 v36, 7, v36
	v_cmp_gt_u32_e32 vcc, 8, v32
	v_cndmask_b32_e32 v20, v39, v20, vcc
	v_cndmask_b32_e32 v32, v38, v36, vcc
	v_lshlrev_b32_e32 v36, 16, v18
	v_lshlrev_b32_e32 v32, 20, v32
	v_and_b32_e32 v36, 0x80000000, v36
	v_lshl_add_u32 v20, v20, 23, v33
	v_or3_b32 v36, v36, v20, v32
.LBB628_49:                             ;   in Loop: Header=BB628_15 Depth=1
	s_or_b64 exec, exec, s[10:11]
.LBB628_50:                             ;   in Loop: Header=BB628_15 Depth=1
	s_or_b64 exec, exec, s[6:7]
.LBB628_51:                             ;   in Loop: Header=BB628_15 Depth=1
	s_or_b64 exec, exec, s[4:5]
	v_lshrrev_b32_e32 v20, 16, v18
	v_cmp_ne_u16_sdwa s[6:7], v20, v29 src0_sel:BYTE_0 src1_sel:DWORD
	s_and_saveexec_b64 s[4:5], s[6:7]
	s_cbranch_execz .LBB628_57
; %bb.52:                               ;   in Loop: Header=BB628_15 Depth=1
	v_cmp_ne_u16_sdwa s[10:11], v20, s13 src0_sel:BYTE_0 src1_sel:DWORD
	v_bfrev_b32_e32 v30, 1
	s_and_saveexec_b64 s[6:7], s[10:11]
	s_cbranch_execz .LBB628_56
; %bb.53:                               ;   in Loop: Header=BB628_15 Depth=1
	v_bfe_u32 v32, v18, 16, 7
	v_cmp_ne_u32_e32 vcc, s14, v32
	v_mov_b32_e32 v30, 0x7f800001
	s_and_saveexec_b64 s[10:11], vcc
	s_cbranch_execz .LBB628_55
; %bb.54:                               ;   in Loop: Header=BB628_15 Depth=1
	v_and_b32_e32 v30, 7, v20
	v_ffbh_u32_e32 v38, v30
	v_min_u32_e32 v40, 32, v38
	v_subrev_u32_e32 v38, 28, v40
	v_lshlrev_b64 v[38:39], v38, v[20:21]
	v_lshrrev_b32_e32 v37, 3, v32
	v_sub_u32_e32 v39, 29, v40
	v_and_b32_e32 v38, 7, v38
	v_cmp_gt_u32_e32 vcc, 8, v32
	v_cndmask_b32_e32 v32, v37, v39, vcc
	v_cndmask_b32_e32 v30, v30, v38, vcc
	v_lshlrev_b32_e32 v20, 24, v20
	v_lshlrev_b32_e32 v30, 20, v30
	v_and_b32_e32 v20, 0x80000000, v20
	v_lshl_add_u32 v32, v32, 23, v33
	v_or3_b32 v30, v20, v32, v30
.LBB628_55:                             ;   in Loop: Header=BB628_15 Depth=1
	s_or_b64 exec, exec, s[10:11]
.LBB628_56:                             ;   in Loop: Header=BB628_15 Depth=1
	s_or_b64 exec, exec, s[6:7]
.LBB628_57:                             ;   in Loop: Header=BB628_15 Depth=1
	s_or_b64 exec, exec, s[4:5]
	v_cmp_lt_u32_e32 vcc, s15, v18
	v_mov_b32_e32 v32, 0
	v_mov_b32_e32 v37, 0
	s_and_saveexec_b64 s[4:5], vcc
	s_cbranch_execz .LBB628_63
; %bb.58:                               ;   in Loop: Header=BB628_15 Depth=1
	v_lshrrev_b32_e32 v20, 24, v18
	v_cmp_ne_u32_e32 vcc, s13, v20
	v_bfrev_b32_e32 v37, 1
	s_and_saveexec_b64 s[6:7], vcc
	s_cbranch_execz .LBB628_62
; %bb.59:                               ;   in Loop: Header=BB628_15 Depth=1
	v_bfe_u32 v18, v18, 24, 7
	v_cmp_ne_u32_e32 vcc, s14, v18
	v_mov_b32_e32 v37, 0x7f800001
	s_and_saveexec_b64 s[10:11], vcc
	s_cbranch_execz .LBB628_61
; %bb.60:                               ;   in Loop: Header=BB628_15 Depth=1
	v_and_b32_e32 v37, 7, v20
	v_ffbh_u32_e32 v38, v37
	v_min_u32_e32 v41, 32, v38
	v_subrev_u32_e32 v38, 28, v41
	v_lshlrev_b64 v[38:39], v38, v[20:21]
	v_lshrrev_b32_e32 v40, 3, v18
	v_sub_u32_e32 v39, 29, v41
	v_and_b32_e32 v38, 7, v38
	v_cmp_gt_u32_e32 vcc, 8, v18
	v_cndmask_b32_e32 v18, v40, v39, vcc
	v_cndmask_b32_e32 v37, v37, v38, vcc
	v_lshlrev_b32_e32 v20, 24, v20
	v_lshlrev_b32_e32 v37, 20, v37
	v_and_b32_e32 v20, 0x80000000, v20
	v_lshl_add_u32 v18, v18, 23, v33
	v_or3_b32 v37, v20, v18, v37
.LBB628_61:                             ;   in Loop: Header=BB628_15 Depth=1
	s_or_b64 exec, exec, s[10:11]
.LBB628_62:                             ;   in Loop: Header=BB628_15 Depth=1
	s_or_b64 exec, exec, s[6:7]
.LBB628_63:                             ;   in Loop: Header=BB628_15 Depth=1
	s_or_b64 exec, exec, s[4:5]
	v_cvt_pkrtz_f16_f32 v18, v19, v23
	v_cvt_pkrtz_f16_f32 v19, v21, v35
	;; [unrolled: 1-line block ×4, first 2 shown]
	s_waitcnt vmcnt(1)
	v_cmp_ne_u16_sdwa s[6:7], v28, v29 src0_sel:BYTE_0 src1_sel:DWORD
	v_mfma_f32_16x16x16f16 v[18:21], v[18:19], v[2:3], 0
	v_mfma_f32_16x16x16f16 v[18:21], v[34:35], v[4:5], v[18:21]
	s_and_saveexec_b64 s[4:5], s[6:7]
	s_cbranch_execz .LBB628_69
; %bb.64:                               ;   in Loop: Header=BB628_15 Depth=1
	v_cmp_ne_u16_sdwa s[10:11], v28, s13 src0_sel:BYTE_0 src1_sel:DWORD
	v_bfrev_b32_e32 v32, 1
	s_and_saveexec_b64 s[6:7], s[10:11]
	s_cbranch_execz .LBB628_68
; %bb.65:                               ;   in Loop: Header=BB628_15 Depth=1
	v_and_b32_e32 v23, 0x7f, v28
	v_cmp_ne_u32_e32 vcc, s14, v23
	v_mov_b32_e32 v32, 0x7f800001
	s_and_saveexec_b64 s[10:11], vcc
	s_cbranch_execz .LBB628_67
; %bb.66:                               ;   in Loop: Header=BB628_15 Depth=1
	v_and_b32_e32 v30, 7, v28
	v_ffbh_u32_e32 v34, v30
	v_min_u32_e32 v36, 32, v34
	v_subrev_u32_e32 v34, 28, v36
	v_lshlrev_b64 v[34:35], v34, v[28:29]
	v_lshrrev_b32_e32 v32, 3, v23
	v_sub_u32_e32 v35, 29, v36
	v_and_b32_e32 v34, 7, v34
	v_cmp_gt_u32_e32 vcc, 8, v23
	v_cndmask_b32_e32 v23, v32, v35, vcc
	v_cndmask_b32_e32 v30, v30, v34, vcc
	v_lshlrev_b32_e32 v32, 24, v28
	v_lshlrev_b32_e32 v30, 20, v30
	v_and_b32_e32 v32, 0x80000000, v32
	v_lshl_add_u32 v23, v23, 23, v33
	v_or3_b32 v32, v32, v23, v30
.LBB628_67:                             ;   in Loop: Header=BB628_15 Depth=1
	s_or_b64 exec, exec, s[10:11]
.LBB628_68:                             ;   in Loop: Header=BB628_15 Depth=1
	s_or_b64 exec, exec, s[6:7]
.LBB628_69:                             ;   in Loop: Header=BB628_15 Depth=1
	s_or_b64 exec, exec, s[4:5]
	v_lshrrev_b16_e32 v30, 8, v28
	v_cmp_ne_u16_e32 vcc, 0, v30
	v_mov_b32_e32 v34, 0
	v_mov_b32_e32 v35, 0
	s_and_saveexec_b64 s[4:5], vcc
	s_cbranch_execz .LBB628_75
; %bb.70:                               ;   in Loop: Header=BB628_15 Depth=1
	v_cmp_ne_u16_e32 vcc, s13, v30
	v_bfrev_b32_e32 v35, 1
	s_and_saveexec_b64 s[6:7], vcc
	s_cbranch_execz .LBB628_74
; %bb.71:                               ;   in Loop: Header=BB628_15 Depth=1
	v_and_b32_e32 v23, 0x7f, v30
	v_cmp_ne_u32_e32 vcc, s14, v23
	v_mov_b32_e32 v35, 0x7f800001
	s_and_saveexec_b64 s[10:11], vcc
	s_cbranch_execz .LBB628_73
; %bb.72:                               ;   in Loop: Header=BB628_15 Depth=1
	v_and_b32_e32 v35, 7, v30
	v_ffbh_u32_e32 v36, v35
	v_min_u32_e32 v39, 32, v36
	v_subrev_u32_e32 v36, 28, v39
	v_lshlrev_b64 v[36:37], v36, v[30:31]
	v_lshrrev_b32_e32 v38, 3, v23
	v_sub_u32_e32 v30, 29, v39
	v_and_b32_e32 v36, 7, v36
	v_cmp_gt_u32_e32 vcc, 8, v23
	v_cndmask_b32_e32 v23, v38, v30, vcc
	v_cndmask_b32_e32 v30, v35, v36, vcc
	v_lshlrev_b32_e32 v35, 16, v28
	v_lshlrev_b32_e32 v30, 20, v30
	v_and_b32_e32 v35, 0x80000000, v35
	v_lshl_add_u32 v23, v23, 23, v33
	v_or3_b32 v35, v35, v23, v30
.LBB628_73:                             ;   in Loop: Header=BB628_15 Depth=1
	s_or_b64 exec, exec, s[10:11]
.LBB628_74:                             ;   in Loop: Header=BB628_15 Depth=1
	s_or_b64 exec, exec, s[6:7]
.LBB628_75:                             ;   in Loop: Header=BB628_15 Depth=1
	s_or_b64 exec, exec, s[4:5]
	v_lshrrev_b32_e32 v30, 16, v28
	v_cmp_ne_u16_sdwa s[6:7], v30, v29 src0_sel:BYTE_0 src1_sel:DWORD
	s_and_saveexec_b64 s[4:5], s[6:7]
	s_cbranch_execz .LBB628_81
; %bb.76:                               ;   in Loop: Header=BB628_15 Depth=1
	v_cmp_ne_u16_sdwa s[10:11], v30, s13 src0_sel:BYTE_0 src1_sel:DWORD
	v_bfrev_b32_e32 v34, 1
	s_and_saveexec_b64 s[6:7], s[10:11]
	s_cbranch_execz .LBB628_80
; %bb.77:                               ;   in Loop: Header=BB628_15 Depth=1
	v_bfe_u32 v23, v28, 16, 7
	v_cmp_ne_u32_e32 vcc, s14, v23
	v_mov_b32_e32 v34, 0x7f800001
	s_and_saveexec_b64 s[10:11], vcc
	s_cbranch_execz .LBB628_79
; %bb.78:                               ;   in Loop: Header=BB628_15 Depth=1
	v_and_b32_e32 v34, 7, v30
	v_ffbh_u32_e32 v36, v34
	v_min_u32_e32 v39, 32, v36
	v_subrev_u32_e32 v36, 28, v39
	v_lshlrev_b64 v[36:37], v36, v[30:31]
	v_lshrrev_b32_e32 v38, 3, v23
	v_sub_u32_e32 v37, 29, v39
	v_and_b32_e32 v36, 7, v36
	v_cmp_gt_u32_e32 vcc, 8, v23
	v_cndmask_b32_e32 v23, v38, v37, vcc
	v_cndmask_b32_e32 v34, v34, v36, vcc
	v_lshlrev_b32_e32 v30, 24, v30
	v_lshlrev_b32_e32 v34, 20, v34
	v_and_b32_e32 v30, 0x80000000, v30
	v_lshl_add_u32 v23, v23, 23, v33
	v_or3_b32 v34, v30, v23, v34
.LBB628_79:                             ;   in Loop: Header=BB628_15 Depth=1
	s_or_b64 exec, exec, s[10:11]
.LBB628_80:                             ;   in Loop: Header=BB628_15 Depth=1
	s_or_b64 exec, exec, s[6:7]
.LBB628_81:                             ;   in Loop: Header=BB628_15 Depth=1
	s_or_b64 exec, exec, s[4:5]
	v_cmp_lt_u32_e32 vcc, s15, v28
	v_mov_b32_e32 v36, 0
	v_mov_b32_e32 v37, 0
	s_and_saveexec_b64 s[4:5], vcc
	s_cbranch_execz .LBB628_87
; %bb.82:                               ;   in Loop: Header=BB628_15 Depth=1
	v_lshrrev_b32_e32 v30, 24, v28
	v_cmp_ne_u32_e32 vcc, s13, v30
	v_bfrev_b32_e32 v37, 1
	s_and_saveexec_b64 s[6:7], vcc
	s_cbranch_execz .LBB628_86
; %bb.83:                               ;   in Loop: Header=BB628_15 Depth=1
	v_bfe_u32 v23, v28, 24, 7
	v_cmp_ne_u32_e32 vcc, s14, v23
	v_mov_b32_e32 v37, 0x7f800001
	s_and_saveexec_b64 s[10:11], vcc
	s_cbranch_execz .LBB628_85
; %bb.84:                               ;   in Loop: Header=BB628_15 Depth=1
	v_and_b32_e32 v28, 7, v30
	v_ffbh_u32_e32 v38, v28
	v_min_u32_e32 v40, 32, v38
	v_subrev_u32_e32 v38, 28, v40
	v_lshlrev_b64 v[38:39], v38, v[30:31]
	v_lshrrev_b32_e32 v37, 3, v23
	v_sub_u32_e32 v39, 29, v40
	v_and_b32_e32 v38, 7, v38
	v_cmp_gt_u32_e32 vcc, 8, v23
	v_cndmask_b32_e32 v23, v37, v39, vcc
	v_cndmask_b32_e32 v28, v28, v38, vcc
	v_lshlrev_b32_e32 v30, 24, v30
	v_lshlrev_b32_e32 v28, 20, v28
	v_and_b32_e32 v30, 0x80000000, v30
	v_lshl_add_u32 v23, v23, 23, v33
	v_or3_b32 v37, v30, v23, v28
.LBB628_85:                             ;   in Loop: Header=BB628_15 Depth=1
	s_or_b64 exec, exec, s[10:11]
.LBB628_86:                             ;   in Loop: Header=BB628_15 Depth=1
	s_or_b64 exec, exec, s[6:7]
.LBB628_87:                             ;   in Loop: Header=BB628_15 Depth=1
	s_or_b64 exec, exec, s[4:5]
	s_waitcnt vmcnt(0)
	v_cmp_ne_u16_sdwa s[6:7], v26, v29 src0_sel:BYTE_0 src1_sel:DWORD
	s_and_saveexec_b64 s[4:5], s[6:7]
	s_cbranch_execz .LBB628_93
; %bb.88:                               ;   in Loop: Header=BB628_15 Depth=1
	v_cmp_ne_u16_sdwa s[10:11], v26, s13 src0_sel:BYTE_0 src1_sel:DWORD
	v_bfrev_b32_e32 v36, 1
	s_and_saveexec_b64 s[6:7], s[10:11]
	s_cbranch_execz .LBB628_92
; %bb.89:                               ;   in Loop: Header=BB628_15 Depth=1
	v_and_b32_e32 v23, 0x7f, v26
	v_cmp_ne_u32_e32 vcc, s14, v23
	v_mov_b32_e32 v36, 0x7f800001
	s_and_saveexec_b64 s[10:11], vcc
	s_cbranch_execz .LBB628_91
; %bb.90:                               ;   in Loop: Header=BB628_15 Depth=1
	v_and_b32_e32 v28, 7, v26
	v_ffbh_u32_e32 v36, v28
	v_min_u32_e32 v36, 32, v36
	v_subrev_u32_e32 v38, 28, v36
	v_lshlrev_b64 v[38:39], v38, v[26:27]
	v_lshrrev_b32_e32 v30, 3, v23
	v_sub_u32_e32 v36, 29, v36
	v_and_b32_e32 v38, 7, v38
	v_cmp_gt_u32_e32 vcc, 8, v23
	v_cndmask_b32_e32 v23, v30, v36, vcc
	v_cndmask_b32_e32 v28, v28, v38, vcc
	v_lshlrev_b32_e32 v30, 24, v26
	v_lshlrev_b32_e32 v28, 20, v28
	v_and_b32_e32 v30, 0x80000000, v30
	v_lshl_add_u32 v23, v23, 23, v33
	v_or3_b32 v36, v30, v23, v28
.LBB628_91:                             ;   in Loop: Header=BB628_15 Depth=1
	s_or_b64 exec, exec, s[10:11]
.LBB628_92:                             ;   in Loop: Header=BB628_15 Depth=1
	s_or_b64 exec, exec, s[6:7]
.LBB628_93:                             ;   in Loop: Header=BB628_15 Depth=1
	s_or_b64 exec, exec, s[4:5]
	v_lshrrev_b16_e32 v28, 8, v26
	v_cmp_ne_u16_e32 vcc, 0, v28
	v_mov_b32_e32 v38, 0
	v_mov_b32_e32 v39, 0
	s_and_saveexec_b64 s[4:5], vcc
	s_cbranch_execz .LBB628_99
; %bb.94:                               ;   in Loop: Header=BB628_15 Depth=1
	v_cmp_ne_u16_e32 vcc, s13, v28
	v_bfrev_b32_e32 v39, 1
	s_and_saveexec_b64 s[6:7], vcc
	s_cbranch_execz .LBB628_98
; %bb.95:                               ;   in Loop: Header=BB628_15 Depth=1
	v_and_b32_e32 v23, 0x7f, v28
	v_cmp_ne_u32_e32 vcc, s14, v23
	v_mov_b32_e32 v39, 0x7f800001
	s_and_saveexec_b64 s[10:11], vcc
	s_cbranch_execz .LBB628_97
; %bb.96:                               ;   in Loop: Header=BB628_15 Depth=1
	v_and_b32_e32 v30, 7, v28
	v_ffbh_u32_e32 v40, v30
	v_min_u32_e32 v42, 32, v40
	v_subrev_u32_e32 v40, 28, v42
	v_lshlrev_b64 v[40:41], v40, v[28:29]
	v_lshrrev_b32_e32 v39, 3, v23
	v_sub_u32_e32 v28, 29, v42
	v_and_b32_e32 v40, 7, v40
	v_cmp_gt_u32_e32 vcc, 8, v23
	v_cndmask_b32_e32 v23, v39, v28, vcc
	v_cndmask_b32_e32 v28, v30, v40, vcc
	v_lshlrev_b32_e32 v30, 16, v26
	v_lshlrev_b32_e32 v28, 20, v28
	v_and_b32_e32 v30, 0x80000000, v30
	v_lshl_add_u32 v23, v23, 23, v33
	v_or3_b32 v39, v30, v23, v28
.LBB628_97:                             ;   in Loop: Header=BB628_15 Depth=1
	s_or_b64 exec, exec, s[10:11]
.LBB628_98:                             ;   in Loop: Header=BB628_15 Depth=1
	s_or_b64 exec, exec, s[6:7]
.LBB628_99:                             ;   in Loop: Header=BB628_15 Depth=1
	s_or_b64 exec, exec, s[4:5]
	v_lshrrev_b32_e32 v28, 16, v26
	v_cmp_ne_u16_sdwa s[6:7], v28, v29 src0_sel:BYTE_0 src1_sel:DWORD
	s_and_saveexec_b64 s[4:5], s[6:7]
	s_cbranch_execz .LBB628_105
; %bb.100:                              ;   in Loop: Header=BB628_15 Depth=1
	v_cmp_ne_u16_sdwa s[10:11], v28, s13 src0_sel:BYTE_0 src1_sel:DWORD
	v_bfrev_b32_e32 v38, 1
	s_and_saveexec_b64 s[6:7], s[10:11]
	s_cbranch_execz .LBB628_104
; %bb.101:                              ;   in Loop: Header=BB628_15 Depth=1
	v_bfe_u32 v23, v26, 16, 7
	v_cmp_ne_u32_e32 vcc, s14, v23
	v_mov_b32_e32 v38, 0x7f800001
	s_and_saveexec_b64 s[10:11], vcc
	s_cbranch_execz .LBB628_103
; %bb.102:                              ;   in Loop: Header=BB628_15 Depth=1
	v_and_b32_e32 v30, 7, v28
	v_ffbh_u32_e32 v40, v30
	v_min_u32_e32 v42, 32, v40
	v_subrev_u32_e32 v40, 28, v42
	v_lshlrev_b64 v[40:41], v40, v[28:29]
	v_lshrrev_b32_e32 v38, 3, v23
	v_sub_u32_e32 v41, 29, v42
	v_and_b32_e32 v40, 7, v40
	v_cmp_gt_u32_e32 vcc, 8, v23
	v_cndmask_b32_e32 v23, v38, v41, vcc
	v_cndmask_b32_e32 v30, v30, v40, vcc
	v_lshlrev_b32_e32 v28, 24, v28
	v_lshlrev_b32_e32 v30, 20, v30
	v_and_b32_e32 v28, 0x80000000, v28
	v_lshl_add_u32 v23, v23, 23, v33
	v_or3_b32 v38, v28, v23, v30
.LBB628_103:                            ;   in Loop: Header=BB628_15 Depth=1
	s_or_b64 exec, exec, s[10:11]
.LBB628_104:                            ;   in Loop: Header=BB628_15 Depth=1
	s_or_b64 exec, exec, s[6:7]
.LBB628_105:                            ;   in Loop: Header=BB628_15 Depth=1
	s_or_b64 exec, exec, s[4:5]
	v_cmp_lt_u32_e32 vcc, s15, v26
	v_mov_b32_e32 v23, 0
	v_mov_b32_e32 v40, 0
	s_and_saveexec_b64 s[4:5], vcc
	s_cbranch_execz .LBB628_111
; %bb.106:                              ;   in Loop: Header=BB628_15 Depth=1
	v_lshrrev_b32_e32 v28, 24, v26
	v_cmp_ne_u32_e32 vcc, s13, v28
	v_bfrev_b32_e32 v40, 1
	s_and_saveexec_b64 s[6:7], vcc
	s_cbranch_execz .LBB628_110
; %bb.107:                              ;   in Loop: Header=BB628_15 Depth=1
	v_bfe_u32 v26, v26, 24, 7
	v_cmp_ne_u32_e32 vcc, s14, v26
	v_mov_b32_e32 v40, 0x7f800001
	s_and_saveexec_b64 s[10:11], vcc
	s_cbranch_execz .LBB628_109
; %bb.108:                              ;   in Loop: Header=BB628_15 Depth=1
	v_and_b32_e32 v30, 7, v28
	v_ffbh_u32_e32 v40, v30
	v_min_u32_e32 v43, 32, v40
	v_subrev_u32_e32 v40, 28, v43
	v_lshlrev_b64 v[40:41], v40, v[28:29]
	v_lshrrev_b32_e32 v42, 3, v26
	v_sub_u32_e32 v41, 29, v43
	v_and_b32_e32 v40, 7, v40
	v_cmp_gt_u32_e32 vcc, 8, v26
	v_cndmask_b32_e32 v26, v42, v41, vcc
	v_cndmask_b32_e32 v30, v30, v40, vcc
	v_lshlrev_b32_e32 v28, 24, v28
	v_lshlrev_b32_e32 v30, 20, v30
	v_and_b32_e32 v28, 0x80000000, v28
	v_lshl_add_u32 v26, v26, 23, v33
	v_or3_b32 v40, v28, v26, v30
.LBB628_109:                            ;   in Loop: Header=BB628_15 Depth=1
	s_or_b64 exec, exec, s[10:11]
.LBB628_110:                            ;   in Loop: Header=BB628_15 Depth=1
	s_or_b64 exec, exec, s[6:7]
.LBB628_111:                            ;   in Loop: Header=BB628_15 Depth=1
	s_or_b64 exec, exec, s[4:5]
	v_cvt_pkrtz_f16_f32 v42, v32, v35
	buffer_load_dword v32, v27, s[0:3], 0 offen offset:16
	buffer_load_dword v30, v27, s[0:3], 0 offen offset:20
	buffer_load_dword v28, v27, s[0:3], 0 offen offset:24
	buffer_load_dword v26, v27, s[0:3], 0 offen offset:28
	v_cvt_pkrtz_f16_f32 v43, v34, v37
	v_cvt_pkrtz_f16_f32 v34, v36, v39
	v_cvt_pkrtz_f16_f32 v35, v38, v40
	v_mfma_f32_16x16x16f16 v[18:21], v[42:43], v[6:7], v[18:21]
	s_waitcnt vmcnt(3)
	v_cmp_ne_u16_sdwa s[6:7], v32, v29 src0_sel:BYTE_0 src1_sel:DWORD
	v_mfma_f32_16x16x16f16 v[18:21], v[34:35], v[8:9], v[18:21]
	s_and_saveexec_b64 s[4:5], s[6:7]
	s_cbranch_execz .LBB628_117
; %bb.112:                              ;   in Loop: Header=BB628_15 Depth=1
	v_cmp_ne_u16_sdwa s[10:11], v32, s13 src0_sel:BYTE_0 src1_sel:DWORD
	v_bfrev_b32_e32 v23, 1
	s_and_saveexec_b64 s[6:7], s[10:11]
	s_cbranch_execz .LBB628_116
; %bb.113:                              ;   in Loop: Header=BB628_15 Depth=1
	v_and_b32_e32 v34, 0x7f, v32
	v_cmp_ne_u32_e32 vcc, s14, v34
	v_mov_b32_e32 v23, 0x7f800001
	s_and_saveexec_b64 s[10:11], vcc
	s_cbranch_execz .LBB628_115
; %bb.114:                              ;   in Loop: Header=BB628_15 Depth=1
	v_and_b32_e32 v23, 7, v32
	v_ffbh_u32_e32 v36, v23
	v_min_u32_e32 v38, 32, v36
	v_subrev_u32_e32 v36, 28, v38
	v_lshlrev_b64 v[36:37], v36, v[32:33]
	v_lshrrev_b32_e32 v35, 3, v34
	v_sub_u32_e32 v37, 29, v38
	v_and_b32_e32 v36, 7, v36
	v_cmp_gt_u32_e32 vcc, 8, v34
	v_cndmask_b32_e32 v34, v35, v37, vcc
	v_cndmask_b32_e32 v23, v23, v36, vcc
	v_lshlrev_b32_e32 v35, 24, v32
	v_lshlrev_b32_e32 v23, 20, v23
	v_and_b32_e32 v35, 0x80000000, v35
	v_lshl_add_u32 v34, v34, 23, v33
	v_or3_b32 v23, v35, v34, v23
.LBB628_115:                            ;   in Loop: Header=BB628_15 Depth=1
	s_or_b64 exec, exec, s[10:11]
.LBB628_116:                            ;   in Loop: Header=BB628_15 Depth=1
	s_or_b64 exec, exec, s[6:7]
.LBB628_117:                            ;   in Loop: Header=BB628_15 Depth=1
	s_or_b64 exec, exec, s[4:5]
	v_lshrrev_b16_e32 v34, 8, v32
	v_cmp_ne_u16_e32 vcc, 0, v34
	v_mov_b32_e32 v35, 0
	v_mov_b32_e32 v36, 0
	s_and_saveexec_b64 s[4:5], vcc
	s_cbranch_execz .LBB628_123
; %bb.118:                              ;   in Loop: Header=BB628_15 Depth=1
	v_cmp_ne_u16_e32 vcc, s13, v34
	v_bfrev_b32_e32 v36, 1
	s_and_saveexec_b64 s[6:7], vcc
	s_cbranch_execz .LBB628_122
; %bb.119:                              ;   in Loop: Header=BB628_15 Depth=1
	v_and_b32_e32 v37, 0x7f, v34
	v_cmp_ne_u32_e32 vcc, s14, v37
	v_mov_b32_e32 v36, 0x7f800001
	s_and_saveexec_b64 s[10:11], vcc
	s_cbranch_execz .LBB628_121
; %bb.120:                              ;   in Loop: Header=BB628_15 Depth=1
	v_and_b32_e32 v36, 7, v34
	v_ffbh_u32_e32 v38, v36
	v_min_u32_e32 v41, 32, v38
	v_subrev_u32_e32 v38, 28, v41
	v_lshlrev_b64 v[38:39], v38, v[34:35]
	v_lshrrev_b32_e32 v40, 3, v37
	v_sub_u32_e32 v34, 29, v41
	v_and_b32_e32 v38, 7, v38
	v_cmp_gt_u32_e32 vcc, 8, v37
	v_cndmask_b32_e32 v34, v40, v34, vcc
	v_cndmask_b32_e32 v36, v36, v38, vcc
	v_lshlrev_b32_e32 v37, 16, v32
	v_lshlrev_b32_e32 v36, 20, v36
	v_and_b32_e32 v37, 0x80000000, v37
	v_lshl_add_u32 v34, v34, 23, v33
	v_or3_b32 v36, v37, v34, v36
.LBB628_121:                            ;   in Loop: Header=BB628_15 Depth=1
	s_or_b64 exec, exec, s[10:11]
.LBB628_122:                            ;   in Loop: Header=BB628_15 Depth=1
	s_or_b64 exec, exec, s[6:7]
.LBB628_123:                            ;   in Loop: Header=BB628_15 Depth=1
	s_or_b64 exec, exec, s[4:5]
	v_lshrrev_b32_e32 v34, 16, v32
	v_cmp_ne_u16_sdwa s[6:7], v34, v29 src0_sel:BYTE_0 src1_sel:DWORD
	s_and_saveexec_b64 s[4:5], s[6:7]
	s_cbranch_execz .LBB628_129
; %bb.124:                              ;   in Loop: Header=BB628_15 Depth=1
	v_cmp_ne_u16_sdwa s[10:11], v34, s13 src0_sel:BYTE_0 src1_sel:DWORD
	v_bfrev_b32_e32 v35, 1
	s_and_saveexec_b64 s[6:7], s[10:11]
	s_cbranch_execz .LBB628_128
; %bb.125:                              ;   in Loop: Header=BB628_15 Depth=1
	v_bfe_u32 v37, v32, 16, 7
	v_cmp_ne_u32_e32 vcc, s14, v37
	v_mov_b32_e32 v35, 0x7f800001
	s_and_saveexec_b64 s[10:11], vcc
	s_cbranch_execz .LBB628_127
; %bb.126:                              ;   in Loop: Header=BB628_15 Depth=1
	v_and_b32_e32 v35, 7, v34
	v_ffbh_u32_e32 v38, v35
	v_min_u32_e32 v41, 32, v38
	v_subrev_u32_e32 v38, 28, v41
	v_lshlrev_b64 v[38:39], v38, v[34:35]
	v_lshrrev_b32_e32 v40, 3, v37
	v_sub_u32_e32 v39, 29, v41
	v_and_b32_e32 v38, 7, v38
	v_cmp_gt_u32_e32 vcc, 8, v37
	v_cndmask_b32_e32 v37, v40, v39, vcc
	v_cndmask_b32_e32 v35, v35, v38, vcc
	v_lshlrev_b32_e32 v34, 24, v34
	v_lshlrev_b32_e32 v35, 20, v35
	v_and_b32_e32 v34, 0x80000000, v34
	v_lshl_add_u32 v37, v37, 23, v33
	v_or3_b32 v35, v34, v37, v35
.LBB628_127:                            ;   in Loop: Header=BB628_15 Depth=1
	s_or_b64 exec, exec, s[10:11]
.LBB628_128:                            ;   in Loop: Header=BB628_15 Depth=1
	s_or_b64 exec, exec, s[6:7]
.LBB628_129:                            ;   in Loop: Header=BB628_15 Depth=1
	s_or_b64 exec, exec, s[4:5]
	v_cmp_lt_u32_e32 vcc, s15, v32
	v_mov_b32_e32 v37, 0
	v_mov_b32_e32 v38, 0
	s_and_saveexec_b64 s[4:5], vcc
	s_cbranch_execz .LBB628_135
; %bb.130:                              ;   in Loop: Header=BB628_15 Depth=1
	v_lshrrev_b32_e32 v34, 24, v32
	v_cmp_ne_u32_e32 vcc, s13, v34
	v_bfrev_b32_e32 v38, 1
	s_and_saveexec_b64 s[6:7], vcc
	s_cbranch_execz .LBB628_134
; %bb.131:                              ;   in Loop: Header=BB628_15 Depth=1
	v_bfe_u32 v32, v32, 24, 7
	v_cmp_ne_u32_e32 vcc, s14, v32
	v_mov_b32_e32 v38, 0x7f800001
	s_and_saveexec_b64 s[10:11], vcc
	s_cbranch_execz .LBB628_133
; %bb.132:                              ;   in Loop: Header=BB628_15 Depth=1
	v_and_b32_e32 v40, 7, v34
	v_ffbh_u32_e32 v38, v40
	v_min_u32_e32 v42, 32, v38
	v_subrev_u32_e32 v38, 28, v42
	v_lshlrev_b64 v[38:39], v38, v[34:35]
	v_lshrrev_b32_e32 v41, 3, v32
	v_sub_u32_e32 v39, 29, v42
	v_and_b32_e32 v38, 7, v38
	v_cmp_gt_u32_e32 vcc, 8, v32
	v_cndmask_b32_e32 v32, v41, v39, vcc
	v_cndmask_b32_e32 v38, v40, v38, vcc
	v_lshlrev_b32_e32 v34, 24, v34
	v_lshlrev_b32_e32 v38, 20, v38
	v_and_b32_e32 v34, 0x80000000, v34
	v_lshl_add_u32 v32, v32, 23, v33
	v_or3_b32 v38, v34, v32, v38
.LBB628_133:                            ;   in Loop: Header=BB628_15 Depth=1
	s_or_b64 exec, exec, s[10:11]
.LBB628_134:                            ;   in Loop: Header=BB628_15 Depth=1
	s_or_b64 exec, exec, s[6:7]
.LBB628_135:                            ;   in Loop: Header=BB628_15 Depth=1
	s_or_b64 exec, exec, s[4:5]
	s_waitcnt vmcnt(2)
	v_cmp_ne_u16_sdwa s[6:7], v30, v29 src0_sel:BYTE_0 src1_sel:DWORD
	s_and_saveexec_b64 s[4:5], s[6:7]
	s_cbranch_execz .LBB628_141
; %bb.136:                              ;   in Loop: Header=BB628_15 Depth=1
	v_cmp_ne_u16_sdwa s[10:11], v30, s13 src0_sel:BYTE_0 src1_sel:DWORD
	v_bfrev_b32_e32 v37, 1
	s_and_saveexec_b64 s[6:7], s[10:11]
	s_cbranch_execz .LBB628_140
; %bb.137:                              ;   in Loop: Header=BB628_15 Depth=1
	v_and_b32_e32 v32, 0x7f, v30
	v_cmp_ne_u32_e32 vcc, s14, v32
	v_mov_b32_e32 v37, 0x7f800001
	s_and_saveexec_b64 s[10:11], vcc
	s_cbranch_execz .LBB628_139
; %bb.138:                              ;   in Loop: Header=BB628_15 Depth=1
	v_and_b32_e32 v34, 7, v30
	v_ffbh_u32_e32 v39, v34
	v_min_u32_e32 v39, 32, v39
	v_subrev_u32_e32 v40, 28, v39
	v_lshlrev_b64 v[40:41], v40, v[30:31]
	v_lshrrev_b32_e32 v37, 3, v32
	v_sub_u32_e32 v39, 29, v39
	v_and_b32_e32 v40, 7, v40
	v_cmp_gt_u32_e32 vcc, 8, v32
	v_cndmask_b32_e32 v32, v37, v39, vcc
	v_cndmask_b32_e32 v34, v34, v40, vcc
	v_lshlrev_b32_e32 v37, 24, v30
	v_lshlrev_b32_e32 v34, 20, v34
	v_and_b32_e32 v37, 0x80000000, v37
	v_lshl_add_u32 v32, v32, 23, v33
	v_or3_b32 v37, v37, v32, v34
.LBB628_139:                            ;   in Loop: Header=BB628_15 Depth=1
	s_or_b64 exec, exec, s[10:11]
.LBB628_140:                            ;   in Loop: Header=BB628_15 Depth=1
	s_or_b64 exec, exec, s[6:7]
.LBB628_141:                            ;   in Loop: Header=BB628_15 Depth=1
	s_or_b64 exec, exec, s[4:5]
	v_lshrrev_b16_e32 v32, 8, v30
	v_cmp_ne_u16_e32 vcc, 0, v32
	v_mov_b32_e32 v39, 0
	v_mov_b32_e32 v40, 0
	s_and_saveexec_b64 s[4:5], vcc
	s_cbranch_execz .LBB628_147
; %bb.142:                              ;   in Loop: Header=BB628_15 Depth=1
	v_cmp_ne_u16_e32 vcc, s13, v32
	v_bfrev_b32_e32 v40, 1
	s_and_saveexec_b64 s[6:7], vcc
	s_cbranch_execz .LBB628_146
; %bb.143:                              ;   in Loop: Header=BB628_15 Depth=1
	v_and_b32_e32 v34, 0x7f, v32
	v_cmp_ne_u32_e32 vcc, s14, v34
	v_mov_b32_e32 v40, 0x7f800001
	s_and_saveexec_b64 s[10:11], vcc
	s_cbranch_execz .LBB628_145
; %bb.144:                              ;   in Loop: Header=BB628_15 Depth=1
	v_and_b32_e32 v42, 7, v32
	v_ffbh_u32_e32 v40, v42
	v_min_u32_e32 v44, 32, v40
	v_subrev_u32_e32 v40, 28, v44
	v_lshlrev_b64 v[40:41], v40, v[32:33]
	v_lshrrev_b32_e32 v43, 3, v34
	v_sub_u32_e32 v32, 29, v44
	v_and_b32_e32 v40, 7, v40
	v_cmp_gt_u32_e32 vcc, 8, v34
	v_cndmask_b32_e32 v32, v43, v32, vcc
	v_cndmask_b32_e32 v34, v42, v40, vcc
	v_lshlrev_b32_e32 v40, 16, v30
	v_lshlrev_b32_e32 v34, 20, v34
	v_and_b32_e32 v40, 0x80000000, v40
	v_lshl_add_u32 v32, v32, 23, v33
	v_or3_b32 v40, v40, v32, v34
.LBB628_145:                            ;   in Loop: Header=BB628_15 Depth=1
	s_or_b64 exec, exec, s[10:11]
.LBB628_146:                            ;   in Loop: Header=BB628_15 Depth=1
	s_or_b64 exec, exec, s[6:7]
.LBB628_147:                            ;   in Loop: Header=BB628_15 Depth=1
	s_or_b64 exec, exec, s[4:5]
	v_lshrrev_b32_e32 v32, 16, v30
	v_cmp_ne_u16_sdwa s[6:7], v32, v29 src0_sel:BYTE_0 src1_sel:DWORD
	s_and_saveexec_b64 s[4:5], s[6:7]
	s_cbranch_execz .LBB628_153
; %bb.148:                              ;   in Loop: Header=BB628_15 Depth=1
	v_cmp_ne_u16_sdwa s[10:11], v32, s13 src0_sel:BYTE_0 src1_sel:DWORD
	v_bfrev_b32_e32 v39, 1
	s_and_saveexec_b64 s[6:7], s[10:11]
	s_cbranch_execz .LBB628_152
; %bb.149:                              ;   in Loop: Header=BB628_15 Depth=1
	v_bfe_u32 v34, v30, 16, 7
	v_cmp_ne_u32_e32 vcc, s14, v34
	v_mov_b32_e32 v39, 0x7f800001
	s_and_saveexec_b64 s[10:11], vcc
	s_cbranch_execz .LBB628_151
; %bb.150:                              ;   in Loop: Header=BB628_15 Depth=1
	v_and_b32_e32 v39, 7, v32
	v_ffbh_u32_e32 v42, v39
	v_min_u32_e32 v44, 32, v42
	v_subrev_u32_e32 v42, 28, v44
	v_lshlrev_b64 v[42:43], v42, v[32:33]
	v_lshrrev_b32_e32 v41, 3, v34
	v_sub_u32_e32 v43, 29, v44
	v_and_b32_e32 v42, 7, v42
	v_cmp_gt_u32_e32 vcc, 8, v34
	v_cndmask_b32_e32 v34, v41, v43, vcc
	v_cndmask_b32_e32 v39, v39, v42, vcc
	v_lshlrev_b32_e32 v32, 24, v32
	v_lshlrev_b32_e32 v39, 20, v39
	v_and_b32_e32 v32, 0x80000000, v32
	v_lshl_add_u32 v34, v34, 23, v33
	v_or3_b32 v39, v32, v34, v39
.LBB628_151:                            ;   in Loop: Header=BB628_15 Depth=1
	s_or_b64 exec, exec, s[10:11]
.LBB628_152:                            ;   in Loop: Header=BB628_15 Depth=1
	s_or_b64 exec, exec, s[6:7]
.LBB628_153:                            ;   in Loop: Header=BB628_15 Depth=1
	s_or_b64 exec, exec, s[4:5]
	v_cmp_lt_u32_e32 vcc, s15, v30
	v_mov_b32_e32 v34, 0
	v_mov_b32_e32 v41, 0
	s_and_saveexec_b64 s[4:5], vcc
	s_cbranch_execz .LBB628_159
; %bb.154:                              ;   in Loop: Header=BB628_15 Depth=1
	v_lshrrev_b32_e32 v32, 24, v30
	v_cmp_ne_u32_e32 vcc, s13, v32
	v_bfrev_b32_e32 v41, 1
	s_and_saveexec_b64 s[6:7], vcc
	s_cbranch_execz .LBB628_158
; %bb.155:                              ;   in Loop: Header=BB628_15 Depth=1
	v_bfe_u32 v30, v30, 24, 7
	v_cmp_ne_u32_e32 vcc, s14, v30
	v_mov_b32_e32 v41, 0x7f800001
	s_and_saveexec_b64 s[10:11], vcc
	s_cbranch_execz .LBB628_157
; %bb.156:                              ;   in Loop: Header=BB628_15 Depth=1
	v_and_b32_e32 v41, 7, v32
	v_ffbh_u32_e32 v42, v41
	v_min_u32_e32 v45, 32, v42
	v_subrev_u32_e32 v42, 28, v45
	v_lshlrev_b64 v[42:43], v42, v[32:33]
	v_lshrrev_b32_e32 v44, 3, v30
	v_sub_u32_e32 v43, 29, v45
	v_and_b32_e32 v42, 7, v42
	v_cmp_gt_u32_e32 vcc, 8, v30
	v_cndmask_b32_e32 v30, v44, v43, vcc
	v_cndmask_b32_e32 v41, v41, v42, vcc
	v_lshlrev_b32_e32 v32, 24, v32
	v_lshlrev_b32_e32 v41, 20, v41
	v_and_b32_e32 v32, 0x80000000, v32
	v_lshl_add_u32 v30, v30, 23, v33
	v_or3_b32 v41, v32, v30, v41
.LBB628_157:                            ;   in Loop: Header=BB628_15 Depth=1
	s_or_b64 exec, exec, s[10:11]
.LBB628_158:                            ;   in Loop: Header=BB628_15 Depth=1
	s_or_b64 exec, exec, s[6:7]
.LBB628_159:                            ;   in Loop: Header=BB628_15 Depth=1
	s_or_b64 exec, exec, s[4:5]
	v_cvt_pkrtz_f16_f32 v42, v23, v36
	v_cvt_pkrtz_f16_f32 v43, v35, v38
	;; [unrolled: 1-line block ×4, first 2 shown]
	s_waitcnt vmcnt(1)
	v_cmp_ne_u16_sdwa s[6:7], v28, v29 src0_sel:BYTE_0 src1_sel:DWORD
	v_mfma_f32_16x16x16f16 v[18:21], v[42:43], v[10:11], v[18:21]
	v_mfma_f32_16x16x16f16 v[18:21], v[36:37], v[12:13], v[18:21]
	s_and_saveexec_b64 s[4:5], s[6:7]
	s_cbranch_execz .LBB628_165
; %bb.160:                              ;   in Loop: Header=BB628_15 Depth=1
	v_cmp_ne_u16_sdwa s[10:11], v28, s13 src0_sel:BYTE_0 src1_sel:DWORD
	v_bfrev_b32_e32 v34, 1
	s_and_saveexec_b64 s[6:7], s[10:11]
	s_cbranch_execz .LBB628_164
; %bb.161:                              ;   in Loop: Header=BB628_15 Depth=1
	v_and_b32_e32 v23, 0x7f, v28
	v_cmp_ne_u32_e32 vcc, s14, v23
	v_mov_b32_e32 v34, 0x7f800001
	s_and_saveexec_b64 s[10:11], vcc
	s_cbranch_execz .LBB628_163
; %bb.162:                              ;   in Loop: Header=BB628_15 Depth=1
	v_and_b32_e32 v30, 7, v28
	v_ffbh_u32_e32 v34, v30
	v_min_u32_e32 v36, 32, v34
	v_subrev_u32_e32 v34, 28, v36
	v_lshlrev_b64 v[34:35], v34, v[28:29]
	v_lshrrev_b32_e32 v32, 3, v23
	v_sub_u32_e32 v35, 29, v36
	v_and_b32_e32 v34, 7, v34
	v_cmp_gt_u32_e32 vcc, 8, v23
	v_cndmask_b32_e32 v23, v32, v35, vcc
	v_cndmask_b32_e32 v30, v30, v34, vcc
	v_lshlrev_b32_e32 v32, 24, v28
	v_lshlrev_b32_e32 v30, 20, v30
	v_and_b32_e32 v32, 0x80000000, v32
	v_lshl_add_u32 v23, v23, 23, v33
	v_or3_b32 v34, v32, v23, v30
.LBB628_163:                            ;   in Loop: Header=BB628_15 Depth=1
	s_or_b64 exec, exec, s[10:11]
.LBB628_164:                            ;   in Loop: Header=BB628_15 Depth=1
	s_or_b64 exec, exec, s[6:7]
.LBB628_165:                            ;   in Loop: Header=BB628_15 Depth=1
	s_or_b64 exec, exec, s[4:5]
	v_lshrrev_b16_e32 v30, 8, v28
	v_cmp_ne_u16_e32 vcc, 0, v30
	v_mov_b32_e32 v23, 0
	v_mov_b32_e32 v32, 0
	s_and_saveexec_b64 s[4:5], vcc
	s_cbranch_execz .LBB628_171
; %bb.166:                              ;   in Loop: Header=BB628_15 Depth=1
	v_cmp_ne_u16_e32 vcc, s13, v30
	v_bfrev_b32_e32 v32, 1
	s_and_saveexec_b64 s[6:7], vcc
	s_cbranch_execz .LBB628_170
; %bb.167:                              ;   in Loop: Header=BB628_15 Depth=1
	v_and_b32_e32 v35, 0x7f, v30
	v_cmp_ne_u32_e32 vcc, s14, v35
	v_mov_b32_e32 v32, 0x7f800001
	s_and_saveexec_b64 s[10:11], vcc
	s_cbranch_execz .LBB628_169
; %bb.168:                              ;   in Loop: Header=BB628_15 Depth=1
	v_and_b32_e32 v32, 7, v30
	v_ffbh_u32_e32 v36, v32
	v_min_u32_e32 v39, 32, v36
	v_subrev_u32_e32 v36, 28, v39
	v_lshlrev_b64 v[36:37], v36, v[30:31]
	v_lshrrev_b32_e32 v38, 3, v35
	v_sub_u32_e32 v30, 29, v39
	v_and_b32_e32 v36, 7, v36
	v_cmp_gt_u32_e32 vcc, 8, v35
	v_cndmask_b32_e32 v30, v38, v30, vcc
	v_cndmask_b32_e32 v32, v32, v36, vcc
	v_lshlrev_b32_e32 v35, 16, v28
	v_lshlrev_b32_e32 v32, 20, v32
	v_and_b32_e32 v35, 0x80000000, v35
	v_lshl_add_u32 v30, v30, 23, v33
	v_or3_b32 v32, v35, v30, v32
.LBB628_169:                            ;   in Loop: Header=BB628_15 Depth=1
	s_or_b64 exec, exec, s[10:11]
.LBB628_170:                            ;   in Loop: Header=BB628_15 Depth=1
	s_or_b64 exec, exec, s[6:7]
.LBB628_171:                            ;   in Loop: Header=BB628_15 Depth=1
	s_or_b64 exec, exec, s[4:5]
	v_lshrrev_b32_e32 v30, 16, v28
	v_cmp_ne_u16_sdwa s[6:7], v30, v29 src0_sel:BYTE_0 src1_sel:DWORD
	s_and_saveexec_b64 s[4:5], s[6:7]
	s_cbranch_execz .LBB628_177
; %bb.172:                              ;   in Loop: Header=BB628_15 Depth=1
	v_cmp_ne_u16_sdwa s[10:11], v30, s13 src0_sel:BYTE_0 src1_sel:DWORD
	v_bfrev_b32_e32 v23, 1
	s_and_saveexec_b64 s[6:7], s[10:11]
	s_cbranch_execz .LBB628_176
; %bb.173:                              ;   in Loop: Header=BB628_15 Depth=1
	v_bfe_u32 v35, v28, 16, 7
	v_cmp_ne_u32_e32 vcc, s14, v35
	v_mov_b32_e32 v23, 0x7f800001
	s_and_saveexec_b64 s[10:11], vcc
	s_cbranch_execz .LBB628_175
; %bb.174:                              ;   in Loop: Header=BB628_15 Depth=1
	v_and_b32_e32 v23, 7, v30
	v_ffbh_u32_e32 v36, v23
	v_min_u32_e32 v39, 32, v36
	v_subrev_u32_e32 v36, 28, v39
	v_lshlrev_b64 v[36:37], v36, v[30:31]
	v_lshrrev_b32_e32 v38, 3, v35
	v_sub_u32_e32 v37, 29, v39
	v_and_b32_e32 v36, 7, v36
	v_cmp_gt_u32_e32 vcc, 8, v35
	v_cndmask_b32_e32 v35, v38, v37, vcc
	v_cndmask_b32_e32 v23, v23, v36, vcc
	v_lshlrev_b32_e32 v30, 24, v30
	v_lshlrev_b32_e32 v23, 20, v23
	v_and_b32_e32 v30, 0x80000000, v30
	v_lshl_add_u32 v35, v35, 23, v33
	v_or3_b32 v23, v30, v35, v23
.LBB628_175:                            ;   in Loop: Header=BB628_15 Depth=1
	s_or_b64 exec, exec, s[10:11]
.LBB628_176:                            ;   in Loop: Header=BB628_15 Depth=1
	s_or_b64 exec, exec, s[6:7]
.LBB628_177:                            ;   in Loop: Header=BB628_15 Depth=1
	s_or_b64 exec, exec, s[4:5]
	v_cmp_lt_u32_e32 vcc, s15, v28
	v_mov_b32_e32 v35, 0
	v_mov_b32_e32 v36, 0
	s_and_saveexec_b64 s[4:5], vcc
	s_cbranch_execz .LBB628_183
; %bb.178:                              ;   in Loop: Header=BB628_15 Depth=1
	v_lshrrev_b32_e32 v30, 24, v28
	v_cmp_ne_u32_e32 vcc, s13, v30
	v_bfrev_b32_e32 v36, 1
	s_and_saveexec_b64 s[6:7], vcc
	s_cbranch_execz .LBB628_182
; %bb.179:                              ;   in Loop: Header=BB628_15 Depth=1
	v_bfe_u32 v28, v28, 24, 7
	v_cmp_ne_u32_e32 vcc, s14, v28
	v_mov_b32_e32 v36, 0x7f800001
	s_and_saveexec_b64 s[10:11], vcc
	s_cbranch_execz .LBB628_181
; %bb.180:                              ;   in Loop: Header=BB628_15 Depth=1
	v_and_b32_e32 v38, 7, v30
	v_ffbh_u32_e32 v36, v38
	v_min_u32_e32 v40, 32, v36
	v_subrev_u32_e32 v36, 28, v40
	v_lshlrev_b64 v[36:37], v36, v[30:31]
	v_lshrrev_b32_e32 v39, 3, v28
	v_sub_u32_e32 v37, 29, v40
	v_and_b32_e32 v36, 7, v36
	v_cmp_gt_u32_e32 vcc, 8, v28
	v_cndmask_b32_e32 v28, v39, v37, vcc
	v_cndmask_b32_e32 v36, v38, v36, vcc
	v_lshlrev_b32_e32 v30, 24, v30
	v_lshlrev_b32_e32 v36, 20, v36
	v_and_b32_e32 v30, 0x80000000, v30
	v_lshl_add_u32 v28, v28, 23, v33
	v_or3_b32 v36, v30, v28, v36
.LBB628_181:                            ;   in Loop: Header=BB628_15 Depth=1
	s_or_b64 exec, exec, s[10:11]
.LBB628_182:                            ;   in Loop: Header=BB628_15 Depth=1
	s_or_b64 exec, exec, s[6:7]
.LBB628_183:                            ;   in Loop: Header=BB628_15 Depth=1
	s_or_b64 exec, exec, s[4:5]
	s_waitcnt vmcnt(0)
	v_cmp_ne_u16_sdwa s[6:7], v26, v29 src0_sel:BYTE_0 src1_sel:DWORD
	s_and_saveexec_b64 s[4:5], s[6:7]
	s_cbranch_execz .LBB628_189
; %bb.184:                              ;   in Loop: Header=BB628_15 Depth=1
	v_cmp_ne_u16_sdwa s[10:11], v26, s13 src0_sel:BYTE_0 src1_sel:DWORD
	v_bfrev_b32_e32 v35, 1
	s_and_saveexec_b64 s[6:7], s[10:11]
	s_cbranch_execz .LBB628_188
; %bb.185:                              ;   in Loop: Header=BB628_15 Depth=1
	v_and_b32_e32 v28, 0x7f, v26
	v_cmp_ne_u32_e32 vcc, s14, v28
	v_mov_b32_e32 v35, 0x7f800001
	s_and_saveexec_b64 s[10:11], vcc
	s_cbranch_execz .LBB628_187
; %bb.186:                              ;   in Loop: Header=BB628_15 Depth=1
	v_and_b32_e32 v30, 7, v26
	v_ffbh_u32_e32 v37, v30
	v_min_u32_e32 v37, 32, v37
	v_subrev_u32_e32 v38, 28, v37
	v_lshlrev_b64 v[38:39], v38, v[26:27]
	v_lshrrev_b32_e32 v35, 3, v28
	v_sub_u32_e32 v37, 29, v37
	v_and_b32_e32 v38, 7, v38
	v_cmp_gt_u32_e32 vcc, 8, v28
	v_cndmask_b32_e32 v28, v35, v37, vcc
	v_cndmask_b32_e32 v30, v30, v38, vcc
	v_lshlrev_b32_e32 v35, 24, v26
	v_lshlrev_b32_e32 v30, 20, v30
	v_and_b32_e32 v35, 0x80000000, v35
	v_lshl_add_u32 v28, v28, 23, v33
	v_or3_b32 v35, v35, v28, v30
.LBB628_187:                            ;   in Loop: Header=BB628_15 Depth=1
	s_or_b64 exec, exec, s[10:11]
.LBB628_188:                            ;   in Loop: Header=BB628_15 Depth=1
	s_or_b64 exec, exec, s[6:7]
.LBB628_189:                            ;   in Loop: Header=BB628_15 Depth=1
	s_or_b64 exec, exec, s[4:5]
	v_lshrrev_b16_e32 v28, 8, v26
	v_cmp_ne_u16_e32 vcc, 0, v28
	v_mov_b32_e32 v30, 0
	v_mov_b32_e32 v37, 0
	s_and_saveexec_b64 s[4:5], vcc
	s_cbranch_execz .LBB628_195
; %bb.190:                              ;   in Loop: Header=BB628_15 Depth=1
	v_cmp_ne_u16_e32 vcc, s13, v28
	v_bfrev_b32_e32 v37, 1
	s_and_saveexec_b64 s[6:7], vcc
	s_cbranch_execz .LBB628_194
; %bb.191:                              ;   in Loop: Header=BB628_15 Depth=1
	v_and_b32_e32 v38, 0x7f, v28
	v_cmp_ne_u32_e32 vcc, s14, v38
	v_mov_b32_e32 v37, 0x7f800001
	s_and_saveexec_b64 s[10:11], vcc
	s_cbranch_execz .LBB628_193
; %bb.192:                              ;   in Loop: Header=BB628_15 Depth=1
	v_and_b32_e32 v37, 7, v28
	v_ffbh_u32_e32 v40, v37
	v_min_u32_e32 v42, 32, v40
	v_subrev_u32_e32 v40, 28, v42
	v_lshlrev_b64 v[40:41], v40, v[28:29]
	v_lshrrev_b32_e32 v39, 3, v38
	v_sub_u32_e32 v28, 29, v42
	v_and_b32_e32 v40, 7, v40
	v_cmp_gt_u32_e32 vcc, 8, v38
	v_cndmask_b32_e32 v28, v39, v28, vcc
	v_cndmask_b32_e32 v37, v37, v40, vcc
	v_lshlrev_b32_e32 v38, 16, v26
	v_lshlrev_b32_e32 v37, 20, v37
	v_and_b32_e32 v38, 0x80000000, v38
	v_lshl_add_u32 v28, v28, 23, v33
	v_or3_b32 v37, v38, v28, v37
.LBB628_193:                            ;   in Loop: Header=BB628_15 Depth=1
	s_or_b64 exec, exec, s[10:11]
.LBB628_194:                            ;   in Loop: Header=BB628_15 Depth=1
	s_or_b64 exec, exec, s[6:7]
.LBB628_195:                            ;   in Loop: Header=BB628_15 Depth=1
	s_or_b64 exec, exec, s[4:5]
	v_lshrrev_b32_e32 v28, 16, v26
	v_cmp_ne_u16_sdwa s[6:7], v28, v29 src0_sel:BYTE_0 src1_sel:DWORD
	s_and_saveexec_b64 s[4:5], s[6:7]
	s_cbranch_execz .LBB628_201
; %bb.196:                              ;   in Loop: Header=BB628_15 Depth=1
	v_cmp_ne_u16_sdwa s[10:11], v28, s13 src0_sel:BYTE_0 src1_sel:DWORD
	v_bfrev_b32_e32 v30, 1
	s_and_saveexec_b64 s[6:7], s[10:11]
	s_cbranch_execz .LBB628_200
; %bb.197:                              ;   in Loop: Header=BB628_15 Depth=1
	v_bfe_u32 v38, v26, 16, 7
	v_cmp_ne_u32_e32 vcc, s14, v38
	v_mov_b32_e32 v30, 0x7f800001
	s_and_saveexec_b64 s[10:11], vcc
	s_cbranch_execz .LBB628_199
; %bb.198:                              ;   in Loop: Header=BB628_15 Depth=1
	v_and_b32_e32 v30, 7, v28
	v_ffbh_u32_e32 v40, v30
	v_min_u32_e32 v42, 32, v40
	v_subrev_u32_e32 v40, 28, v42
	v_lshlrev_b64 v[40:41], v40, v[28:29]
	v_lshrrev_b32_e32 v39, 3, v38
	v_sub_u32_e32 v41, 29, v42
	v_and_b32_e32 v40, 7, v40
	v_cmp_gt_u32_e32 vcc, 8, v38
	v_cndmask_b32_e32 v38, v39, v41, vcc
	v_cndmask_b32_e32 v30, v30, v40, vcc
	v_lshlrev_b32_e32 v28, 24, v28
	v_lshlrev_b32_e32 v30, 20, v30
	v_and_b32_e32 v28, 0x80000000, v28
	v_lshl_add_u32 v38, v38, 23, v33
	v_or3_b32 v30, v28, v38, v30
.LBB628_199:                            ;   in Loop: Header=BB628_15 Depth=1
	s_or_b64 exec, exec, s[10:11]
.LBB628_200:                            ;   in Loop: Header=BB628_15 Depth=1
	s_or_b64 exec, exec, s[6:7]
.LBB628_201:                            ;   in Loop: Header=BB628_15 Depth=1
	s_or_b64 exec, exec, s[4:5]
	v_cmp_lt_u32_e32 vcc, s15, v26
	v_mov_b32_e32 v38, 0
	s_and_saveexec_b64 s[4:5], vcc
	s_cbranch_execz .LBB628_14
; %bb.202:                              ;   in Loop: Header=BB628_15 Depth=1
	v_lshrrev_b32_e32 v28, 24, v26
	v_cmp_ne_u32_e32 vcc, s13, v28
	v_bfrev_b32_e32 v38, 1
	s_and_saveexec_b64 s[6:7], vcc
	s_cbranch_execz .LBB628_13
; %bb.203:                              ;   in Loop: Header=BB628_15 Depth=1
	v_bfe_u32 v26, v26, 24, 7
	v_cmp_ne_u32_e32 vcc, s14, v26
	v_mov_b32_e32 v38, 0x7f800001
	s_and_saveexec_b64 s[10:11], vcc
	s_cbranch_execz .LBB628_12
; %bb.204:                              ;   in Loop: Header=BB628_15 Depth=1
	v_and_b32_e32 v40, 7, v28
	v_ffbh_u32_e32 v38, v40
	v_min_u32_e32 v42, 32, v38
	v_subrev_u32_e32 v38, 28, v42
	v_lshlrev_b64 v[38:39], v38, v[28:29]
	v_lshrrev_b32_e32 v41, 3, v26
	v_sub_u32_e32 v39, 29, v42
	v_and_b32_e32 v38, 7, v38
	v_cmp_gt_u32_e32 vcc, 8, v26
	v_cndmask_b32_e32 v26, v41, v39, vcc
	v_cndmask_b32_e32 v38, v40, v38, vcc
	v_lshlrev_b32_e32 v28, 24, v28
	v_lshlrev_b32_e32 v38, 20, v38
	v_and_b32_e32 v28, 0x80000000, v28
	v_lshl_add_u32 v26, v26, 23, v33
	v_or3_b32 v38, v28, v26, v38
	s_branch .LBB628_12
.LBB628_205:
	buffer_load_dword v13, off, s[0:3], 0 offset:256
	buffer_load_dword v14, off, s[0:3], 0 offset:260
	;; [unrolled: 1-line block ×16, first 2 shown]
	v_and_b32_e32 v12, 0xc0, v0
	v_add_u32_e32 v12, s20, v12
	v_lshl_or_b32 v12, v1, 2, v12
	v_or_b32_e32 v23, 1, v12
	v_mov_b32_e32 v19, 0xff7fffff
	v_or_b32_e32 v24, 2, v12
	v_or_b32_e32 v25, 3, v12
	v_cmp_gt_i32_e64 s[26:27], s33, v12
	v_cmp_gt_i32_e64 s[28:29], s33, v23
	s_mov_b32 s52, 0xff7fffff
	v_or_b32_e32 v26, 16, v12
	v_or_b32_e32 v27, 17, v12
	;; [unrolled: 1-line block ×12, first 2 shown]
	v_cmp_gt_i32_e64 s[30:31], s33, v24
	v_cmp_gt_i32_e64 s[34:35], s33, v25
	v_mbcnt_lo_u32_b32 v20, -1, 0
	v_cmp_gt_i32_e64 s[36:37], s33, v26
	v_cmp_gt_i32_e64 s[38:39], s33, v27
	v_mbcnt_hi_u32_b32 v20, -1, v20
	v_cmp_gt_i32_e64 s[20:21], s33, v28
	v_cmp_gt_i32_e64 s[22:23], s33, v29
	v_and_b32_e32 v21, 64, v20
	v_cmp_gt_i32_e64 s[16:17], s33, v30
	v_cmp_gt_i32_e64 s[18:19], s33, v31
	v_xor_b32_e32 v22, 32, v20
	v_add_u32_e32 v21, 64, v21
	v_cmp_gt_i32_e64 s[12:13], s33, v32
	v_cmp_gt_i32_e64 s[14:15], s33, v33
	v_cmp_lt_i32_e32 vcc, v22, v21
	v_cmp_gt_i32_e64 s[6:7], s33, v34
	v_cmp_gt_i32_e64 s[10:11], s33, v35
	v_cndmask_b32_e32 v22, v20, v22, vcc
	v_cmp_gt_i32_e32 vcc, s33, v36
	v_cmp_gt_i32_e64 s[4:5], s33, v37
	v_lshlrev_b32_e32 v22, 2, v22
	s_waitcnt vmcnt(15)
	v_cndmask_b32_e64 v12, v19, v13, s[26:27]
	s_waitcnt vmcnt(14)
	v_cndmask_b32_e64 v23, v19, v14, s[28:29]
	;; [unrolled: 2-line block ×4, first 2 shown]
	v_max3_f32 v12, v12, s52, v23
	s_waitcnt vmcnt(11)
	v_cndmask_b32_e64 v26, v19, v17, s[36:37]
	s_waitcnt vmcnt(10)
	v_cndmask_b32_e64 v27, v19, v18, s[38:39]
	v_max3_f32 v12, v12, v24, v25
	s_waitcnt vmcnt(9)
	v_cndmask_b32_e64 v28, v19, v11, s[20:21]
	s_waitcnt vmcnt(8)
	v_cndmask_b32_e64 v29, v19, v10, s[22:23]
	;; [unrolled: 5-line block ×5, first 2 shown]
	v_max3_f32 v12, v12, v32, v33
	s_waitcnt vmcnt(1)
	v_cndmask_b32_e32 v36, v19, v3, vcc
	s_waitcnt vmcnt(0)
	v_cndmask_b32_e64 v19, v19, v2, s[4:5]
	v_max3_f32 v12, v12, v34, v35
	v_max3_f32 v12, v12, v36, v19
	ds_bpermute_b32 v19, v22, v12
	v_xor_b32_e32 v23, 16, v20
	v_cmp_lt_i32_e64 s[40:41], v23, v21
	v_cndmask_b32_e64 v20, v20, v23, s[40:41]
	v_lshlrev_b32_e32 v20, 2, v20
	s_waitcnt lgkmcnt(0)
	v_max_f32_e32 v19, v19, v19
	v_max_f32_e32 v12, v12, v19
	ds_bpermute_b32 v19, v20, v12
	s_waitcnt lgkmcnt(0)
	v_max_f32_e32 v19, v19, v19
	v_max_f32_e32 v12, v12, v19
	v_sub_f32_e32 v13, v13, v12
	v_sub_f32_e32 v14, v14, v12
	;; [unrolled: 1-line block ×3, first 2 shown]
	v_mul_f32_e32 v13, 0x3fb8aa3b, v13
	v_mul_f32_e32 v14, 0x3fb8aa3b, v14
	;; [unrolled: 1-line block ×3, first 2 shown]
	v_exp_f32_e32 v13, v13
	v_exp_f32_e32 v14, v14
	;; [unrolled: 1-line block ×3, first 2 shown]
	v_sub_f32_e32 v16, v16, v12
	v_cndmask_b32_e64 v13, 0, v13, s[26:27]
	v_mul_f32_e32 v16, 0x3fb8aa3b, v16
	v_cndmask_b32_e64 v14, 0, v14, s[28:29]
	v_cndmask_b32_e64 v15, 0, v15, s[30:31]
	v_add_f32_e32 v19, 0, v13
	buffer_store_dword v13, off, s[0:3], 0 offset:256
	buffer_store_dword v14, off, s[0:3], 0 offset:260
	;; [unrolled: 1-line block ×3, first 2 shown]
	v_sub_f32_e32 v13, v17, v12
	v_exp_f32_e32 v16, v16
	v_add_f32_e32 v19, v19, v14
	v_mul_f32_e32 v13, 0x3fb8aa3b, v13
	v_sub_f32_e32 v14, v18, v12
	v_exp_f32_e32 v13, v13
	v_mul_f32_e32 v14, 0x3fb8aa3b, v14
	v_sub_f32_e32 v11, v11, v12
	v_exp_f32_e32 v14, v14
	;; [unrolled: 3-line block ×3, first 2 shown]
	v_mul_f32_e32 v10, 0x3fb8aa3b, v10
	v_sub_f32_e32 v9, v9, v12
	v_cndmask_b32_e64 v16, 0, v16, s[34:35]
	v_add_f32_e32 v19, v19, v15
	v_exp_f32_e32 v10, v10
	v_mul_f32_e32 v9, 0x3fb8aa3b, v9
	v_sub_f32_e32 v8, v8, v12
	v_add_f32_e32 v19, v19, v16
	v_cndmask_b32_e64 v13, 0, v13, s[36:37]
	v_exp_f32_e32 v9, v9
	v_mul_f32_e32 v8, 0x3fb8aa3b, v8
	v_sub_f32_e32 v7, v7, v12
	v_add_f32_e32 v15, v19, v13
	v_cndmask_b32_e64 v14, 0, v14, s[38:39]
	;; [unrolled: 5-line block ×5, first 2 shown]
	v_exp_f32_e32 v5, v5
	v_mul_f32_e32 v4, 0x3fb8aa3b, v4
	v_sub_f32_e32 v3, v3, v12
	buffer_store_dword v16, off, s[0:3], 0 offset:268
	buffer_store_dword v13, off, s[0:3], 0 offset:272
	;; [unrolled: 1-line block ×5, first 2 shown]
	v_add_f32_e32 v10, v15, v9
	v_cndmask_b32_e64 v8, 0, v8, s[18:19]
	v_exp_f32_e32 v4, v4
	v_mul_f32_e32 v3, 0x3fb8aa3b, v3
	v_sub_f32_e32 v2, v2, v12
	v_add_f32_e32 v10, v10, v8
	v_cndmask_b32_e64 v7, 0, v7, s[12:13]
	v_exp_f32_e32 v3, v3
	v_mul_f32_e32 v2, 0x3fb8aa3b, v2
	v_add_f32_e32 v10, v10, v7
	v_cndmask_b32_e64 v6, 0, v6, s[14:15]
	v_exp_f32_e32 v2, v2
	v_add_f32_e32 v10, v10, v6
	v_cndmask_b32_e64 v5, 0, v5, s[6:7]
	buffer_store_dword v9, off, s[0:3], 0 offset:288
	buffer_store_dword v8, off, s[0:3], 0 offset:292
	;; [unrolled: 1-line block ×4, first 2 shown]
	v_add_f32_e32 v6, v10, v5
	v_cndmask_b32_e64 v4, 0, v4, s[10:11]
	v_add_f32_e32 v6, v6, v4
	v_cndmask_b32_e32 v3, 0, v3, vcc
	v_add_f32_e32 v6, v6, v3
	v_cndmask_b32_e64 v2, 0, v2, s[4:5]
	v_add_f32_e32 v6, v6, v2
	ds_bpermute_b32 v7, v22, v6
	buffer_store_dword v5, off, s[0:3], 0 offset:304
	buffer_store_dword v4, off, s[0:3], 0 offset:308
	;; [unrolled: 1-line block ×4, first 2 shown]
	v_cmp_gt_u32_e32 vcc, 16, v62
	s_waitcnt lgkmcnt(0)
	s_barrier
	v_add_f32_e32 v2, v6, v7
	ds_bpermute_b32 v3, v20, v2
	s_waitcnt lgkmcnt(0)
	s_and_saveexec_b64 s[4:5], vcc
	s_cbranch_execz .LBB628_207
; %bb.206:
	v_add_f32_e32 v2, v2, v3
	v_lshlrev_b32_e32 v3, 2, v61
	ds_write2st64_b32 v3, v12, v2 offset1:1
.LBB628_207:
	s_or_b64 exec, exec, s[4:5]
	v_lshlrev_b32_e32 v2, 2, v55
	s_waitcnt lgkmcnt(0)
	s_barrier
	ds_read2_b32 v[12:13], v2 offset1:16
	ds_read2_b32 v[14:15], v2 offset0:32 offset1:48
	ds_read2_b32 v[6:7], v2 offset0:64 offset1:80
	;; [unrolled: 1-line block ×3, first 2 shown]
	s_waitcnt lgkmcnt(0)
	s_barrier
	buffer_load_dword v20, off, s[0:3], 0 offset:256
	buffer_load_dword v21, off, s[0:3], 0 offset:260
	;; [unrolled: 1-line block ×16, first 2 shown]
	v_lshlrev_b32_e32 v19, 3, v1
	v_lshlrev_b32_e32 v18, 5, v55
	;; [unrolled: 1-line block ×3, first 2 shown]
	v_or3_b32 v39, v28, v18, v19
	v_max3_f32 v19, v12, s52, v13
	v_max3_f32 v19, v19, v14, v15
	v_sub_f32_e32 v12, v12, v19
	v_sub_f32_e32 v13, v13, v19
	v_mul_f32_e32 v12, 0x3fb8aa3b, v12
	v_sub_f32_e32 v14, v14, v19
	v_mul_f32_e32 v13, 0x3fb8aa3b, v13
	v_exp_f32_e32 v12, v12
	v_sub_f32_e32 v15, v15, v19
	v_mul_f32_e32 v14, 0x3fb8aa3b, v14
	v_exp_f32_e32 v13, v13
	v_mul_f32_e32 v15, 0x3fb8aa3b, v15
	v_exp_f32_e32 v14, v14
	v_exp_f32_e32 v15, v15
	v_fma_f32 v6, v12, v6, 0
	v_fmac_f32_e32 v6, v13, v7
	v_fmac_f32_e32 v6, v14, v10
	;; [unrolled: 1-line block ×3, first 2 shown]
	v_cmp_eq_u32_e32 vcc, 1, v60
	v_add_f32_e32 v10, 0x358637bd, v6
	v_cndmask_b32_e32 v12, v12, v13, vcc
	v_cmp_eq_u32_e32 vcc, 2, v60
	v_div_scale_f32 v11, s[4:5], v10, v10, 1.0
	v_cndmask_b32_e32 v7, v12, v14, vcc
	v_rcp_f32_e32 v12, v11
	v_cmp_eq_u32_e32 vcc, 3, v60
	v_cndmask_b32_e32 v7, v7, v15, vcc
	v_div_scale_f32 v13, vcc, 1.0, v10, 1.0
	v_fma_f32 v14, -v11, v12, 1.0
	v_fmac_f32_e32 v12, v14, v12
	v_mul_f32_e32 v14, v13, v12
	v_fma_f32 v15, -v11, v14, v13
	v_fmac_f32_e32 v14, v15, v12
	v_fma_f32 v11, -v11, v14, v13
	v_div_fmas_f32 v11, v11, v12, v14
	v_div_fixup_f32 v10, v11, v10, 1.0
	v_mul_f32_e32 v10, v7, v10
	s_mul_i32 s18, s51, 7
	v_cmp_gt_u32_e32 vcc, 7, v0
	s_waitcnt vmcnt(14)
	v_pk_mul_f32 v[14:15], v[10:11], v[20:21] op_sel_hi:[0,1]
	v_cvt_f16_f32_e32 v7, v14
	s_waitcnt vmcnt(12)
	v_pk_mul_f32 v[12:13], v[10:11], v[22:23] op_sel_hi:[0,1]
	buffer_store_dword v14, off, s[0:3], 0 offset:256
	buffer_store_dword v15, off, s[0:3], 0 offset:260
	;; [unrolled: 1-line block ×3, first 2 shown]
	s_waitcnt vmcnt(13)
	v_pk_mul_f32 v[20:21], v[10:11], v[24:25] op_sel_hi:[0,1]
	v_cvt_f16_f32_e32 v14, v12
	s_waitcnt vmcnt(11)
	v_pk_mul_f32 v[22:23], v[10:11], v[26:27] op_sel_hi:[0,1]
	v_cvt_f16_f32_e32 v11, v15
	v_cvt_f16_f32_e32 v15, v13
	buffer_store_dword v13, off, s[0:3], 0 offset:268
	buffer_store_dword v22, off, s[0:3], 0 offset:272
	;; [unrolled: 1-line block ×3, first 2 shown]
	v_pack_b32_f16 v12, v7, v11
	v_cvt_f16_f32_e32 v11, v23
	v_pack_b32_f16 v13, v14, v15
	v_cvt_f16_f32_e32 v7, v22
	v_cvt_f16_f32_e32 v15, v20
	;; [unrolled: 1-line block ×3, first 2 shown]
	s_waitcnt vmcnt(12)
	v_pk_mul_f32 v[4:5], v[10:11], v[4:5] op_sel_hi:[0,1]
	v_pack_b32_f16 v14, v7, v11
	s_waitcnt vmcnt(10)
	v_pk_mul_f32 v[2:3], v[10:11], v[2:3] op_sel_hi:[0,1]
	v_pack_b32_f16 v15, v15, v22
	v_cvt_f16_f32_e32 v11, v5
	buffer_store_dword v20, off, s[0:3], 0 offset:280
	buffer_store_dword v21, off, s[0:3], 0 offset:284
	ds_write2st64_b64 v39, v[12:13], v[14:15] offset1:1
	buffer_store_dword v2, off, s[0:3], 0 offset:288
	buffer_store_dword v3, off, s[0:3], 0 offset:292
	v_cvt_f16_f32_e32 v2, v2
	v_cvt_f16_f32_e32 v3, v3
	;; [unrolled: 1-line block ×3, first 2 shown]
	buffer_store_dword v4, off, s[0:3], 0 offset:296
	buffer_store_dword v5, off, s[0:3], 0 offset:300
	s_waitcnt vmcnt(12)
	v_pk_mul_f32 v[4:5], v[10:11], v[16:17] op_sel_hi:[0,1]
	v_pk_mul_f32 v[8:9], v[10:11], v[8:9] op_sel_hi:[0,1]
	v_pack_b32_f16 v2, v2, v3
	v_pack_b32_f16 v3, v7, v11
	buffer_store_dword v8, off, s[0:3], 0 offset:304
	buffer_store_dword v9, off, s[0:3], 0 offset:308
	v_cvt_f16_f32_e32 v7, v8
	v_cvt_f16_f32_e32 v8, v9
	;; [unrolled: 1-line block ×4, first 2 shown]
	buffer_store_dword v4, off, s[0:3], 0 offset:312
	buffer_store_dword v5, off, s[0:3], 0 offset:316
	v_pack_b32_f16 v4, v7, v8
	v_pack_b32_f16 v5, v9, v10
	ds_write2st64_b64 v39, v[2:3], v[4:5] offset0:2 offset1:3
	s_and_saveexec_b64 s[4:5], vcc
	s_cbranch_execz .LBB628_209
; %bb.208:
	v_add_co_u32_e32 v4, vcc, s25, v55
	v_addc_co_u32_e64 v5, s[6:7], 0, 0, vcc
	v_mov_b32_e32 v2, s18
	v_mad_u64_u32 v[4:5], s[6:7], s8, v2, v[4:5]
	v_mov_b32_e32 v3, 0
	s_mul_i32 s6, s9, s18
	v_mov_b32_e32 v2, s24
	v_add_u32_e32 v5, s6, v5
	v_mad_u64_u32 v[2:3], s[6:7], v4, s50, v[2:3]
	v_mov_b32_e32 v4, v3
	v_mad_u64_u32 v[4:5], s[6:7], v5, s50, v[4:5]
	v_mov_b32_e32 v3, v4
	v_lshlrev_b64 v[2:3], 2, v[2:3]
	v_mov_b32_e32 v5, s47
	v_add_co_u32_e32 v4, vcc, s46, v2
	v_addc_co_u32_e32 v5, vcc, v5, v3, vcc
	global_store_dword v[4:5], v19, off
	v_mov_b32_e32 v4, s45
	v_add_co_u32_e32 v2, vcc, s44, v2
	v_addc_co_u32_e32 v3, vcc, v4, v3, vcc
	global_store_dword v[2:3], v6, off
.LBB628_209:
	s_or_b64 exec, exec, s[4:5]
	v_lshl_or_b32 v30, v1, 9, v18
	s_waitcnt lgkmcnt(0)
	s_barrier
	s_load_dword s4, s[42:43], 0x0
	ds_read_b128 v[2:5], v30
	ds_read_b128 v[6:9], v30 offset:16
	ds_read_b128 v[10:13], v30 offset:2048
	;; [unrolled: 1-line block ×7, first 2 shown]
	v_mov_b32_e32 v35, 0x80
	v_mov_b32_e32 v41, 0x140
	s_mov_b64 s[10:11], -1
	s_waitcnt lgkmcnt(0)
	s_mov_b32 s5, s4
	s_mov_b32 s6, s4
	;; [unrolled: 1-line block ×3, first 2 shown]
	s_movk_i32 s9, 0x80
	s_movk_i32 s19, 0x7f
	s_mov_b32 s20, 0xffffff
	v_mov_b32_e32 v43, 0
	v_bfrev_b32_e32 v45, 60
	s_branch .LBB628_213
.LBB628_210:                            ;   in Loop: Header=BB628_213 Depth=1
	s_or_b64 exec, exec, s[16:17]
.LBB628_211:                            ;   in Loop: Header=BB628_213 Depth=1
	s_or_b64 exec, exec, s[14:15]
.LBB628_212:                            ;   in Loop: Header=BB628_213 Depth=1
	s_or_b64 exec, exec, s[12:13]
	v_cvt_pkrtz_f16_f32 v60, v46, v50
	v_cvt_pkrtz_f16_f32 v61, v44, v52
	s_xor_b64 s[12:13], s[10:11], -1
	s_mov_b64 s[10:11], 0
	v_mov_b32_e32 v46, v48
	v_mfma_f32_16x16x16f16 v[60:63], v[60:61], v[30:31], v[34:37]
	v_mov_b32_e32 v59, v49
	s_and_b64 vcc, exec, s[12:13]
	s_nop 4
	v_cvt_pkrtz_f16_f32 v36, v51, v53
	v_cvt_pkrtz_f16_f32 v37, v42, v58
	v_mov_b32_e32 v35, v47
	v_mov_b32_e32 v58, v57
	v_mfma_f32_16x16x16f16 v[50:53], v[36:37], v[32:33], v[60:63]
	s_nop 7
	s_nop 2
	v_pk_mul_f32 v[50:51], v[50:51], s[4:5]
	v_pk_mul_f32 v[36:37], v[52:53], s[6:7]
	v_cvt_f16_f32_e32 v34, v50
	v_cvt_f16_f32_e32 v38, v51
	v_cvt_f16_f32_e32 v36, v36
	v_cvt_f16_f32_e32 v37, v37
	v_pack_b32_f16 v34, v34, v38
	v_pack_b32_f16 v36, v36, v37
	buffer_store_dword v34, v41, s[0:3], 0 offen
	buffer_store_dword v36, v41, s[0:3], 0 offen offset:4
	v_mov_b32_e32 v41, 0x148
	s_cbranch_vccnz .LBB628_595
.LBB628_213:                            ; =>This Inner Loop Header: Depth=1
	buffer_load_dword v36, v35, s[0:3], 0 offen
	buffer_load_dword v34, v35, s[0:3], 0 offen offset:4
	buffer_load_dword v40, v35, s[0:3], 0 offen offset:8
	;; [unrolled: 1-line block ×3, first 2 shown]
	v_mov_b32_e32 v35, 0
	s_waitcnt vmcnt(3)
	v_cmp_ne_u16_sdwa s[14:15], v36, v43 src0_sel:BYTE_0 src1_sel:DWORD
	s_and_saveexec_b64 s[12:13], s[14:15]
	s_cbranch_execz .LBB628_219
; %bb.214:                              ;   in Loop: Header=BB628_213 Depth=1
	v_cmp_ne_u16_sdwa s[16:17], v36, s9 src0_sel:BYTE_0 src1_sel:DWORD
	v_bfrev_b32_e32 v35, 1
	s_and_saveexec_b64 s[14:15], s[16:17]
	s_cbranch_execz .LBB628_218
; %bb.215:                              ;   in Loop: Header=BB628_213 Depth=1
	v_and_b32_e32 v37, 0x7f, v36
	v_cmp_ne_u32_e32 vcc, s19, v37
	v_mov_b32_e32 v35, 0x7f800001
	s_and_saveexec_b64 s[16:17], vcc
	s_cbranch_execz .LBB628_217
; %bb.216:                              ;   in Loop: Header=BB628_213 Depth=1
	v_and_b32_e32 v35, 7, v36
	v_ffbh_u32_e32 v44, v35
	v_min_u32_e32 v44, 32, v44
	v_subrev_u32_e32 v50, 28, v44
	v_lshlrev_b64 v[50:51], v50, v[36:37]
	v_lshrrev_b32_e32 v42, 3, v37
	v_sub_u32_e32 v44, 29, v44
	v_and_b32_e32 v50, 7, v50
	v_cmp_gt_u32_e32 vcc, 8, v37
	v_cndmask_b32_e32 v37, v42, v44, vcc
	v_cndmask_b32_e32 v35, v35, v50, vcc
	v_lshlrev_b32_e32 v42, 24, v36
	v_lshlrev_b32_e32 v35, 20, v35
	v_and_b32_e32 v42, 0x80000000, v42
	v_lshl_add_u32 v37, v37, 23, v45
	v_or3_b32 v35, v42, v37, v35
.LBB628_217:                            ;   in Loop: Header=BB628_213 Depth=1
	s_or_b64 exec, exec, s[16:17]
.LBB628_218:                            ;   in Loop: Header=BB628_213 Depth=1
	s_or_b64 exec, exec, s[14:15]
.LBB628_219:                            ;   in Loop: Header=BB628_213 Depth=1
	s_or_b64 exec, exec, s[12:13]
	v_lshrrev_b16_e32 v42, 8, v36
	v_cmp_ne_u16_e32 vcc, 0, v42
	v_mov_b32_e32 v37, 0
	s_and_saveexec_b64 s[12:13], vcc
	s_cbranch_execz .LBB628_225
; %bb.220:                              ;   in Loop: Header=BB628_213 Depth=1
	v_cmp_ne_u16_e32 vcc, s9, v42
	v_bfrev_b32_e32 v37, 1
	s_and_saveexec_b64 s[14:15], vcc
	s_cbranch_execz .LBB628_224
; %bb.221:                              ;   in Loop: Header=BB628_213 Depth=1
	v_and_b32_e32 v44, 0x7f, v42
	v_cmp_ne_u32_e32 vcc, s19, v44
	v_mov_b32_e32 v37, 0x7f800001
	s_and_saveexec_b64 s[16:17], vcc
	s_cbranch_execz .LBB628_223
; %bb.222:                              ;   in Loop: Header=BB628_213 Depth=1
	v_and_b32_e32 v37, 7, v42
	v_ffbh_u32_e32 v50, v37
	v_min_u32_e32 v53, 32, v50
	v_subrev_u32_e32 v50, 28, v53
	v_lshlrev_b64 v[50:51], v50, v[42:43]
	v_lshrrev_b32_e32 v52, 3, v44
	v_sub_u32_e32 v42, 29, v53
	v_and_b32_e32 v50, 7, v50
	v_cmp_gt_u32_e32 vcc, 8, v44
	v_cndmask_b32_e32 v42, v52, v42, vcc
	v_cndmask_b32_e32 v37, v37, v50, vcc
	v_lshlrev_b32_e32 v44, 16, v36
	v_lshlrev_b32_e32 v37, 20, v37
	v_and_b32_e32 v44, 0x80000000, v44
	v_lshl_add_u32 v42, v42, 23, v45
	v_or3_b32 v37, v44, v42, v37
.LBB628_223:                            ;   in Loop: Header=BB628_213 Depth=1
	s_or_b64 exec, exec, s[16:17]
.LBB628_224:                            ;   in Loop: Header=BB628_213 Depth=1
	s_or_b64 exec, exec, s[14:15]
.LBB628_225:                            ;   in Loop: Header=BB628_213 Depth=1
	s_or_b64 exec, exec, s[12:13]
	v_lshrrev_b32_e32 v42, 16, v36
	v_cmp_ne_u16_sdwa s[14:15], v42, v43 src0_sel:BYTE_0 src1_sel:DWORD
	v_mov_b32_e32 v50, 0
	v_mov_b32_e32 v44, 0
	s_and_saveexec_b64 s[12:13], s[14:15]
	s_cbranch_execz .LBB628_231
; %bb.226:                              ;   in Loop: Header=BB628_213 Depth=1
	v_cmp_ne_u16_sdwa s[16:17], v42, s9 src0_sel:BYTE_0 src1_sel:DWORD
	v_bfrev_b32_e32 v44, 1
	s_and_saveexec_b64 s[14:15], s[16:17]
	s_cbranch_execz .LBB628_230
; %bb.227:                              ;   in Loop: Header=BB628_213 Depth=1
	v_bfe_u32 v51, v36, 16, 7
	v_cmp_ne_u32_e32 vcc, s19, v51
	v_mov_b32_e32 v44, 0x7f800001
	s_and_saveexec_b64 s[16:17], vcc
	s_cbranch_execz .LBB628_229
; %bb.228:                              ;   in Loop: Header=BB628_213 Depth=1
	v_and_b32_e32 v44, 7, v42
	v_ffbh_u32_e32 v52, v44
	v_min_u32_e32 v61, 32, v52
	v_subrev_u32_e32 v52, 28, v61
	v_lshlrev_b64 v[52:53], v52, v[42:43]
	v_lshrrev_b32_e32 v60, 3, v51
	v_sub_u32_e32 v53, 29, v61
	v_and_b32_e32 v52, 7, v52
	v_cmp_gt_u32_e32 vcc, 8, v51
	v_cndmask_b32_e32 v51, v60, v53, vcc
	v_cndmask_b32_e32 v44, v44, v52, vcc
	v_lshlrev_b32_e32 v42, 24, v42
	v_lshlrev_b32_e32 v44, 20, v44
	v_and_b32_e32 v42, 0x80000000, v42
	v_lshl_add_u32 v51, v51, 23, v45
	v_or3_b32 v44, v42, v51, v44
.LBB628_229:                            ;   in Loop: Header=BB628_213 Depth=1
	s_or_b64 exec, exec, s[16:17]
.LBB628_230:                            ;   in Loop: Header=BB628_213 Depth=1
	s_or_b64 exec, exec, s[14:15]
.LBB628_231:                            ;   in Loop: Header=BB628_213 Depth=1
	s_or_b64 exec, exec, s[12:13]
	v_cmp_lt_u32_e32 vcc, s20, v36
	s_and_saveexec_b64 s[12:13], vcc
	s_cbranch_execz .LBB628_237
; %bb.232:                              ;   in Loop: Header=BB628_213 Depth=1
	v_lshrrev_b32_e32 v42, 24, v36
	v_cmp_ne_u32_e32 vcc, s9, v42
	v_bfrev_b32_e32 v50, 1
	s_and_saveexec_b64 s[14:15], vcc
	s_cbranch_execz .LBB628_236
; %bb.233:                              ;   in Loop: Header=BB628_213 Depth=1
	v_bfe_u32 v36, v36, 24, 7
	v_cmp_ne_u32_e32 vcc, s19, v36
	v_mov_b32_e32 v50, 0x7f800001
	s_and_saveexec_b64 s[16:17], vcc
	s_cbranch_execz .LBB628_235
; %bb.234:                              ;   in Loop: Header=BB628_213 Depth=1
	v_and_b32_e32 v52, 7, v42
	v_ffbh_u32_e32 v50, v52
	v_min_u32_e32 v60, 32, v50
	v_subrev_u32_e32 v50, 28, v60
	v_lshlrev_b64 v[50:51], v50, v[42:43]
	v_lshrrev_b32_e32 v53, 3, v36
	v_sub_u32_e32 v51, 29, v60
	v_and_b32_e32 v50, 7, v50
	v_cmp_gt_u32_e32 vcc, 8, v36
	v_cndmask_b32_e32 v36, v53, v51, vcc
	v_cndmask_b32_e32 v50, v52, v50, vcc
	v_lshlrev_b32_e32 v42, 24, v42
	v_lshlrev_b32_e32 v50, 20, v50
	v_and_b32_e32 v42, 0x80000000, v42
	v_lshl_add_u32 v36, v36, 23, v45
	v_or3_b32 v50, v42, v36, v50
.LBB628_235:                            ;   in Loop: Header=BB628_213 Depth=1
	s_or_b64 exec, exec, s[16:17]
.LBB628_236:                            ;   in Loop: Header=BB628_213 Depth=1
	s_or_b64 exec, exec, s[14:15]
.LBB628_237:                            ;   in Loop: Header=BB628_213 Depth=1
	s_or_b64 exec, exec, s[12:13]
	s_waitcnt vmcnt(2)
	v_cmp_ne_u16_sdwa s[14:15], v34, v43 src0_sel:BYTE_0 src1_sel:DWORD
	v_mov_b32_e32 v42, 0
	v_mov_b32_e32 v51, 0
	s_and_saveexec_b64 s[12:13], s[14:15]
	s_cbranch_execz .LBB628_243
; %bb.238:                              ;   in Loop: Header=BB628_213 Depth=1
	v_cmp_ne_u16_sdwa s[16:17], v34, s9 src0_sel:BYTE_0 src1_sel:DWORD
	v_bfrev_b32_e32 v51, 1
	s_and_saveexec_b64 s[14:15], s[16:17]
	s_cbranch_execz .LBB628_242
; %bb.239:                              ;   in Loop: Header=BB628_213 Depth=1
	v_and_b32_e32 v36, 0x7f, v34
	v_cmp_ne_u32_e32 vcc, s19, v36
	v_mov_b32_e32 v51, 0x7f800001
	s_and_saveexec_b64 s[16:17], vcc
	s_cbranch_execz .LBB628_241
; %bb.240:                              ;   in Loop: Header=BB628_213 Depth=1
	v_and_b32_e32 v51, 7, v34
	v_ffbh_u32_e32 v52, v51
	v_min_u32_e32 v61, 32, v52
	v_subrev_u32_e32 v52, 28, v61
	v_lshlrev_b64 v[52:53], v52, v[34:35]
	v_lshrrev_b32_e32 v60, 3, v36
	v_sub_u32_e32 v53, 29, v61
	v_and_b32_e32 v52, 7, v52
	v_cmp_gt_u32_e32 vcc, 8, v36
	v_cndmask_b32_e32 v36, v60, v53, vcc
	v_cndmask_b32_e32 v51, v51, v52, vcc
	v_lshlrev_b32_e32 v52, 24, v34
	v_lshlrev_b32_e32 v51, 20, v51
	v_and_b32_e32 v52, 0x80000000, v52
	v_lshl_add_u32 v36, v36, 23, v45
	v_or3_b32 v51, v52, v36, v51
.LBB628_241:                            ;   in Loop: Header=BB628_213 Depth=1
	s_or_b64 exec, exec, s[16:17]
.LBB628_242:                            ;   in Loop: Header=BB628_213 Depth=1
	s_or_b64 exec, exec, s[14:15]
.LBB628_243:                            ;   in Loop: Header=BB628_213 Depth=1
	s_or_b64 exec, exec, s[12:13]
	v_lshrrev_b16_e32 v36, 8, v34
	v_cmp_ne_u16_e32 vcc, 0, v36
	s_and_saveexec_b64 s[12:13], vcc
	s_cbranch_execz .LBB628_249
; %bb.244:                              ;   in Loop: Header=BB628_213 Depth=1
	v_cmp_ne_u16_e32 vcc, s9, v36
	v_bfrev_b32_e32 v42, 1
	s_and_saveexec_b64 s[14:15], vcc
	s_cbranch_execz .LBB628_248
; %bb.245:                              ;   in Loop: Header=BB628_213 Depth=1
	v_and_b32_e32 v52, 0x7f, v36
	v_cmp_ne_u32_e32 vcc, s19, v52
	v_mov_b32_e32 v42, 0x7f800001
	s_and_saveexec_b64 s[16:17], vcc
	s_cbranch_execz .LBB628_247
; %bb.246:                              ;   in Loop: Header=BB628_213 Depth=1
	v_and_b32_e32 v42, 7, v36
	v_ffbh_u32_e32 v60, v42
	v_min_u32_e32 v62, 32, v60
	v_subrev_u32_e32 v60, 28, v62
	v_lshlrev_b64 v[60:61], v60, v[36:37]
	v_lshrrev_b32_e32 v53, 3, v52
	v_sub_u32_e32 v36, 29, v62
	v_and_b32_e32 v60, 7, v60
	v_cmp_gt_u32_e32 vcc, 8, v52
	v_cndmask_b32_e32 v36, v53, v36, vcc
	v_cndmask_b32_e32 v42, v42, v60, vcc
	v_lshlrev_b32_e32 v52, 16, v34
	v_lshlrev_b32_e32 v42, 20, v42
	v_and_b32_e32 v52, 0x80000000, v52
	v_lshl_add_u32 v36, v36, 23, v45
	v_or3_b32 v42, v52, v36, v42
.LBB628_247:                            ;   in Loop: Header=BB628_213 Depth=1
	s_or_b64 exec, exec, s[16:17]
.LBB628_248:                            ;   in Loop: Header=BB628_213 Depth=1
	s_or_b64 exec, exec, s[14:15]
.LBB628_249:                            ;   in Loop: Header=BB628_213 Depth=1
	s_or_b64 exec, exec, s[12:13]
	v_lshrrev_b32_e32 v36, 16, v34
	v_cmp_ne_u16_sdwa s[14:15], v36, v43 src0_sel:BYTE_0 src1_sel:DWORD
	v_mov_b32_e32 v53, 0
	v_mov_b32_e32 v52, 0
	s_and_saveexec_b64 s[12:13], s[14:15]
	s_cbranch_execz .LBB628_255
; %bb.250:                              ;   in Loop: Header=BB628_213 Depth=1
	v_cmp_ne_u16_sdwa s[16:17], v36, s9 src0_sel:BYTE_0 src1_sel:DWORD
	v_bfrev_b32_e32 v52, 1
	s_and_saveexec_b64 s[14:15], s[16:17]
	s_cbranch_execz .LBB628_254
; %bb.251:                              ;   in Loop: Header=BB628_213 Depth=1
	v_bfe_u32 v60, v34, 16, 7
	v_cmp_ne_u32_e32 vcc, s19, v60
	v_mov_b32_e32 v52, 0x7f800001
	s_and_saveexec_b64 s[16:17], vcc
	s_cbranch_execz .LBB628_253
; %bb.252:                              ;   in Loop: Header=BB628_213 Depth=1
	v_and_b32_e32 v52, 7, v36
	v_ffbh_u32_e32 v62, v52
	v_min_u32_e32 v64, 32, v62
	v_subrev_u32_e32 v62, 28, v64
	v_lshlrev_b64 v[62:63], v62, v[36:37]
	v_lshrrev_b32_e32 v61, 3, v60
	v_sub_u32_e32 v63, 29, v64
	v_and_b32_e32 v62, 7, v62
	v_cmp_gt_u32_e32 vcc, 8, v60
	v_cndmask_b32_e32 v60, v61, v63, vcc
	v_cndmask_b32_e32 v52, v52, v62, vcc
	v_lshlrev_b32_e32 v36, 24, v36
	v_lshlrev_b32_e32 v52, 20, v52
	v_and_b32_e32 v36, 0x80000000, v36
	v_lshl_add_u32 v60, v60, 23, v45
	v_or3_b32 v52, v36, v60, v52
.LBB628_253:                            ;   in Loop: Header=BB628_213 Depth=1
	s_or_b64 exec, exec, s[16:17]
.LBB628_254:                            ;   in Loop: Header=BB628_213 Depth=1
	s_or_b64 exec, exec, s[14:15]
.LBB628_255:                            ;   in Loop: Header=BB628_213 Depth=1
	s_or_b64 exec, exec, s[12:13]
	v_cmp_lt_u32_e32 vcc, s20, v34
	s_and_saveexec_b64 s[12:13], vcc
	s_cbranch_execz .LBB628_261
; %bb.256:                              ;   in Loop: Header=BB628_213 Depth=1
	v_lshrrev_b32_e32 v36, 24, v34
	v_cmp_ne_u32_e32 vcc, s9, v36
	v_bfrev_b32_e32 v53, 1
	s_and_saveexec_b64 s[14:15], vcc
	s_cbranch_execz .LBB628_260
; %bb.257:                              ;   in Loop: Header=BB628_213 Depth=1
	v_bfe_u32 v34, v34, 24, 7
	v_cmp_ne_u32_e32 vcc, s19, v34
	v_mov_b32_e32 v53, 0x7f800001
	s_and_saveexec_b64 s[16:17], vcc
	s_cbranch_execz .LBB628_259
; %bb.258:                              ;   in Loop: Header=BB628_213 Depth=1
	v_and_b32_e32 v53, 7, v36
	v_ffbh_u32_e32 v60, v53
	v_min_u32_e32 v63, 32, v60
	v_subrev_u32_e32 v60, 28, v63
	v_lshlrev_b64 v[60:61], v60, v[36:37]
	v_lshrrev_b32_e32 v62, 3, v34
	v_sub_u32_e32 v61, 29, v63
	v_and_b32_e32 v60, 7, v60
	v_cmp_gt_u32_e32 vcc, 8, v34
	v_cndmask_b32_e32 v34, v62, v61, vcc
	v_cndmask_b32_e32 v53, v53, v60, vcc
	v_lshlrev_b32_e32 v36, 24, v36
	v_lshlrev_b32_e32 v53, 20, v53
	v_and_b32_e32 v36, 0x80000000, v36
	v_lshl_add_u32 v34, v34, 23, v45
	v_or3_b32 v53, v36, v34, v53
.LBB628_259:                            ;   in Loop: Header=BB628_213 Depth=1
	s_or_b64 exec, exec, s[16:17]
.LBB628_260:                            ;   in Loop: Header=BB628_213 Depth=1
	s_or_b64 exec, exec, s[14:15]
.LBB628_261:                            ;   in Loop: Header=BB628_213 Depth=1
	s_or_b64 exec, exec, s[12:13]
	v_cvt_pkrtz_f16_f32 v34, v35, v37
	v_cvt_pkrtz_f16_f32 v35, v44, v50
	v_cvt_pkrtz_f16_f32 v60, v51, v42
	v_cvt_pkrtz_f16_f32 v61, v52, v53
	v_mov_b32_e32 v44, 0
	v_mfma_f32_16x16x16f16 v[34:37], v[34:35], v[2:3], 0
	s_waitcnt vmcnt(1)
	v_cmp_ne_u16_sdwa s[14:15], v40, v43 src0_sel:BYTE_0 src1_sel:DWORD
	v_mov_b32_e32 v51, 0
	v_mfma_f32_16x16x16f16 v[34:37], v[60:61], v[4:5], v[34:37]
	s_and_saveexec_b64 s[12:13], s[14:15]
	s_cbranch_execz .LBB628_267
; %bb.262:                              ;   in Loop: Header=BB628_213 Depth=1
	v_cmp_ne_u16_sdwa s[16:17], v40, s9 src0_sel:BYTE_0 src1_sel:DWORD
	v_bfrev_b32_e32 v51, 1
	s_and_saveexec_b64 s[14:15], s[16:17]
	s_cbranch_execz .LBB628_266
; %bb.263:                              ;   in Loop: Header=BB628_213 Depth=1
	v_and_b32_e32 v42, 0x7f, v40
	v_cmp_ne_u32_e32 vcc, s19, v42
	v_mov_b32_e32 v51, 0x7f800001
	s_and_saveexec_b64 s[16:17], vcc
	s_cbranch_execz .LBB628_265
; %bb.264:                              ;   in Loop: Header=BB628_213 Depth=1
	v_and_b32_e32 v52, 7, v40
	v_ffbh_u32_e32 v50, v52
	v_min_u32_e32 v60, 32, v50
	v_subrev_u32_e32 v50, 28, v60
	v_lshlrev_b64 v[50:51], v50, v[40:41]
	v_lshrrev_b32_e32 v53, 3, v42
	v_sub_u32_e32 v51, 29, v60
	v_and_b32_e32 v50, 7, v50
	v_cmp_gt_u32_e32 vcc, 8, v42
	v_cndmask_b32_e32 v42, v53, v51, vcc
	v_cndmask_b32_e32 v50, v52, v50, vcc
	v_lshlrev_b32_e32 v51, 24, v40
	v_lshlrev_b32_e32 v50, 20, v50
	v_and_b32_e32 v51, 0x80000000, v51
	v_lshl_add_u32 v42, v42, 23, v45
	v_or3_b32 v51, v51, v42, v50
.LBB628_265:                            ;   in Loop: Header=BB628_213 Depth=1
	s_or_b64 exec, exec, s[16:17]
.LBB628_266:                            ;   in Loop: Header=BB628_213 Depth=1
	s_or_b64 exec, exec, s[14:15]
.LBB628_267:                            ;   in Loop: Header=BB628_213 Depth=1
	s_or_b64 exec, exec, s[12:13]
	v_lshrrev_b16_e32 v42, 8, v40
	v_cmp_ne_u16_e32 vcc, 0, v42
	v_mov_b32_e32 v52, 0
	s_and_saveexec_b64 s[12:13], vcc
	s_cbranch_execz .LBB628_273
; %bb.268:                              ;   in Loop: Header=BB628_213 Depth=1
	v_cmp_ne_u16_e32 vcc, s9, v42
	v_bfrev_b32_e32 v52, 1
	s_and_saveexec_b64 s[14:15], vcc
	s_cbranch_execz .LBB628_272
; %bb.269:                              ;   in Loop: Header=BB628_213 Depth=1
	v_and_b32_e32 v50, 0x7f, v42
	v_cmp_ne_u32_e32 vcc, s19, v50
	v_mov_b32_e32 v52, 0x7f800001
	s_and_saveexec_b64 s[16:17], vcc
	s_cbranch_execz .LBB628_271
; %bb.270:                              ;   in Loop: Header=BB628_213 Depth=1
	v_and_b32_e32 v60, 7, v42
	v_ffbh_u32_e32 v52, v60
	v_min_u32_e32 v62, 32, v52
	v_subrev_u32_e32 v52, 28, v62
	v_lshlrev_b64 v[52:53], v52, v[42:43]
	v_lshrrev_b32_e32 v61, 3, v50
	v_sub_u32_e32 v42, 29, v62
	v_and_b32_e32 v52, 7, v52
	v_cmp_gt_u32_e32 vcc, 8, v50
	v_cndmask_b32_e32 v42, v61, v42, vcc
	v_cndmask_b32_e32 v50, v60, v52, vcc
	v_lshlrev_b32_e32 v52, 16, v40
	v_lshlrev_b32_e32 v50, 20, v50
	v_and_b32_e32 v52, 0x80000000, v52
	v_lshl_add_u32 v42, v42, 23, v45
	v_or3_b32 v52, v52, v42, v50
.LBB628_271:                            ;   in Loop: Header=BB628_213 Depth=1
	s_or_b64 exec, exec, s[16:17]
.LBB628_272:                            ;   in Loop: Header=BB628_213 Depth=1
	s_or_b64 exec, exec, s[14:15]
.LBB628_273:                            ;   in Loop: Header=BB628_213 Depth=1
	s_or_b64 exec, exec, s[12:13]
	v_lshrrev_b32_e32 v42, 16, v40
	v_cmp_ne_u16_sdwa s[14:15], v42, v43 src0_sel:BYTE_0 src1_sel:DWORD
	s_and_saveexec_b64 s[12:13], s[14:15]
	s_cbranch_execz .LBB628_279
; %bb.274:                              ;   in Loop: Header=BB628_213 Depth=1
	v_cmp_ne_u16_sdwa s[16:17], v42, s9 src0_sel:BYTE_0 src1_sel:DWORD
	v_bfrev_b32_e32 v44, 1
	s_and_saveexec_b64 s[14:15], s[16:17]
	s_cbranch_execz .LBB628_278
; %bb.275:                              ;   in Loop: Header=BB628_213 Depth=1
	v_bfe_u32 v50, v40, 16, 7
	v_cmp_ne_u32_e32 vcc, s19, v50
	v_mov_b32_e32 v44, 0x7f800001
	s_and_saveexec_b64 s[16:17], vcc
	s_cbranch_execz .LBB628_277
; %bb.276:                              ;   in Loop: Header=BB628_213 Depth=1
	v_and_b32_e32 v44, 7, v42
	v_ffbh_u32_e32 v60, v44
	v_min_u32_e32 v62, 32, v60
	v_subrev_u32_e32 v60, 28, v62
	v_lshlrev_b64 v[60:61], v60, v[42:43]
	v_lshrrev_b32_e32 v53, 3, v50
	v_sub_u32_e32 v61, 29, v62
	v_and_b32_e32 v60, 7, v60
	v_cmp_gt_u32_e32 vcc, 8, v50
	v_cndmask_b32_e32 v50, v53, v61, vcc
	v_cndmask_b32_e32 v44, v44, v60, vcc
	v_lshlrev_b32_e32 v42, 24, v42
	v_lshlrev_b32_e32 v44, 20, v44
	v_and_b32_e32 v42, 0x80000000, v42
	v_lshl_add_u32 v50, v50, 23, v45
	v_or3_b32 v44, v42, v50, v44
.LBB628_277:                            ;   in Loop: Header=BB628_213 Depth=1
	s_or_b64 exec, exec, s[16:17]
.LBB628_278:                            ;   in Loop: Header=BB628_213 Depth=1
	s_or_b64 exec, exec, s[14:15]
.LBB628_279:                            ;   in Loop: Header=BB628_213 Depth=1
	s_or_b64 exec, exec, s[12:13]
	v_cmp_lt_u32_e32 vcc, s20, v40
	v_mov_b32_e32 v53, 0
	v_mov_b32_e32 v60, 0
	s_and_saveexec_b64 s[12:13], vcc
	s_cbranch_execz .LBB628_285
; %bb.280:                              ;   in Loop: Header=BB628_213 Depth=1
	v_lshrrev_b32_e32 v42, 24, v40
	v_cmp_ne_u32_e32 vcc, s9, v42
	v_bfrev_b32_e32 v60, 1
	s_and_saveexec_b64 s[14:15], vcc
	s_cbranch_execz .LBB628_284
; %bb.281:                              ;   in Loop: Header=BB628_213 Depth=1
	v_bfe_u32 v40, v40, 24, 7
	v_cmp_ne_u32_e32 vcc, s19, v40
	v_mov_b32_e32 v60, 0x7f800001
	s_and_saveexec_b64 s[16:17], vcc
	s_cbranch_execz .LBB628_283
; %bb.282:                              ;   in Loop: Header=BB628_213 Depth=1
	v_and_b32_e32 v50, 7, v42
	v_ffbh_u32_e32 v60, v50
	v_min_u32_e32 v63, 32, v60
	v_subrev_u32_e32 v60, 28, v63
	v_lshlrev_b64 v[60:61], v60, v[42:43]
	v_lshrrev_b32_e32 v62, 3, v40
	v_sub_u32_e32 v61, 29, v63
	v_and_b32_e32 v60, 7, v60
	v_cmp_gt_u32_e32 vcc, 8, v40
	v_cndmask_b32_e32 v40, v62, v61, vcc
	v_cndmask_b32_e32 v50, v50, v60, vcc
	v_lshlrev_b32_e32 v42, 24, v42
	v_lshlrev_b32_e32 v50, 20, v50
	v_and_b32_e32 v42, 0x80000000, v42
	v_lshl_add_u32 v40, v40, 23, v45
	v_or3_b32 v60, v42, v40, v50
.LBB628_283:                            ;   in Loop: Header=BB628_213 Depth=1
	s_or_b64 exec, exec, s[16:17]
.LBB628_284:                            ;   in Loop: Header=BB628_213 Depth=1
	s_or_b64 exec, exec, s[14:15]
.LBB628_285:                            ;   in Loop: Header=BB628_213 Depth=1
	s_or_b64 exec, exec, s[12:13]
	s_waitcnt vmcnt(0)
	v_cmp_ne_u16_sdwa s[14:15], v38, v43 src0_sel:BYTE_0 src1_sel:DWORD
	s_and_saveexec_b64 s[12:13], s[14:15]
	s_cbranch_execz .LBB628_291
; %bb.286:                              ;   in Loop: Header=BB628_213 Depth=1
	v_cmp_ne_u16_sdwa s[16:17], v38, s9 src0_sel:BYTE_0 src1_sel:DWORD
	v_bfrev_b32_e32 v53, 1
	s_and_saveexec_b64 s[14:15], s[16:17]
	s_cbranch_execz .LBB628_290
; %bb.287:                              ;   in Loop: Header=BB628_213 Depth=1
	v_and_b32_e32 v40, 0x7f, v38
	v_cmp_ne_u32_e32 vcc, s19, v40
	v_mov_b32_e32 v53, 0x7f800001
	s_and_saveexec_b64 s[16:17], vcc
	s_cbranch_execz .LBB628_289
; %bb.288:                              ;   in Loop: Header=BB628_213 Depth=1
	v_and_b32_e32 v42, 7, v38
	v_ffbh_u32_e32 v53, v42
	v_min_u32_e32 v53, 32, v53
	v_subrev_u32_e32 v61, 28, v53
	v_lshlrev_b64 v[62:63], v61, v[38:39]
	v_lshrrev_b32_e32 v50, 3, v40
	v_sub_u32_e32 v53, 29, v53
	v_and_b32_e32 v61, 7, v62
	v_cmp_gt_u32_e32 vcc, 8, v40
	v_cndmask_b32_e32 v40, v50, v53, vcc
	v_cndmask_b32_e32 v42, v42, v61, vcc
	v_lshlrev_b32_e32 v50, 24, v38
	v_lshlrev_b32_e32 v42, 20, v42
	v_and_b32_e32 v50, 0x80000000, v50
	v_lshl_add_u32 v40, v40, 23, v45
	v_or3_b32 v53, v50, v40, v42
.LBB628_289:                            ;   in Loop: Header=BB628_213 Depth=1
	s_or_b64 exec, exec, s[16:17]
.LBB628_290:                            ;   in Loop: Header=BB628_213 Depth=1
	s_or_b64 exec, exec, s[14:15]
.LBB628_291:                            ;   in Loop: Header=BB628_213 Depth=1
	s_or_b64 exec, exec, s[12:13]
	v_lshrrev_b16_e32 v40, 8, v38
	v_cmp_ne_u16_e32 vcc, 0, v40
	v_mov_b32_e32 v61, 0
	v_mov_b32_e32 v62, 0
	s_and_saveexec_b64 s[12:13], vcc
	s_cbranch_execz .LBB628_297
; %bb.292:                              ;   in Loop: Header=BB628_213 Depth=1
	v_cmp_ne_u16_e32 vcc, s9, v40
	v_bfrev_b32_e32 v62, 1
	s_and_saveexec_b64 s[14:15], vcc
	s_cbranch_execz .LBB628_296
; %bb.293:                              ;   in Loop: Header=BB628_213 Depth=1
	v_and_b32_e32 v42, 0x7f, v40
	v_cmp_ne_u32_e32 vcc, s19, v42
	v_mov_b32_e32 v62, 0x7f800001
	s_and_saveexec_b64 s[16:17], vcc
	s_cbranch_execz .LBB628_295
; %bb.294:                              ;   in Loop: Header=BB628_213 Depth=1
	v_and_b32_e32 v50, 7, v40
	v_ffbh_u32_e32 v62, v50
	v_min_u32_e32 v65, 32, v62
	v_subrev_u32_e32 v62, 28, v65
	v_lshlrev_b64 v[62:63], v62, v[40:41]
	v_lshrrev_b32_e32 v64, 3, v42
	v_sub_u32_e32 v40, 29, v65
	v_and_b32_e32 v62, 7, v62
	v_cmp_gt_u32_e32 vcc, 8, v42
	v_cndmask_b32_e32 v40, v64, v40, vcc
	v_cndmask_b32_e32 v42, v50, v62, vcc
	v_lshlrev_b32_e32 v50, 16, v38
	v_lshlrev_b32_e32 v42, 20, v42
	v_and_b32_e32 v50, 0x80000000, v50
	v_lshl_add_u32 v40, v40, 23, v45
	v_or3_b32 v62, v50, v40, v42
.LBB628_295:                            ;   in Loop: Header=BB628_213 Depth=1
	s_or_b64 exec, exec, s[16:17]
.LBB628_296:                            ;   in Loop: Header=BB628_213 Depth=1
	s_or_b64 exec, exec, s[14:15]
.LBB628_297:                            ;   in Loop: Header=BB628_213 Depth=1
	s_or_b64 exec, exec, s[12:13]
	v_lshrrev_b32_e32 v40, 16, v38
	v_cmp_ne_u16_sdwa s[14:15], v40, v43 src0_sel:BYTE_0 src1_sel:DWORD
	s_and_saveexec_b64 s[12:13], s[14:15]
	s_cbranch_execz .LBB628_303
; %bb.298:                              ;   in Loop: Header=BB628_213 Depth=1
	v_cmp_ne_u16_sdwa s[16:17], v40, s9 src0_sel:BYTE_0 src1_sel:DWORD
	v_bfrev_b32_e32 v61, 1
	s_and_saveexec_b64 s[14:15], s[16:17]
	s_cbranch_execz .LBB628_302
; %bb.299:                              ;   in Loop: Header=BB628_213 Depth=1
	v_bfe_u32 v42, v38, 16, 7
	v_cmp_ne_u32_e32 vcc, s19, v42
	v_mov_b32_e32 v61, 0x7f800001
	s_and_saveexec_b64 s[16:17], vcc
	s_cbranch_execz .LBB628_301
; %bb.300:                              ;   in Loop: Header=BB628_213 Depth=1
	v_and_b32_e32 v50, 7, v40
	v_ffbh_u32_e32 v63, v50
	v_min_u32_e32 v63, 32, v63
	v_subrev_u32_e32 v64, 28, v63
	v_lshlrev_b64 v[64:65], v64, v[40:41]
	v_lshrrev_b32_e32 v61, 3, v42
	v_sub_u32_e32 v63, 29, v63
	v_and_b32_e32 v64, 7, v64
	v_cmp_gt_u32_e32 vcc, 8, v42
	v_cndmask_b32_e32 v42, v61, v63, vcc
	v_cndmask_b32_e32 v50, v50, v64, vcc
	v_lshlrev_b32_e32 v40, 24, v40
	v_lshlrev_b32_e32 v50, 20, v50
	v_and_b32_e32 v40, 0x80000000, v40
	v_lshl_add_u32 v42, v42, 23, v45
	v_or3_b32 v61, v40, v42, v50
.LBB628_301:                            ;   in Loop: Header=BB628_213 Depth=1
	s_or_b64 exec, exec, s[16:17]
.LBB628_302:                            ;   in Loop: Header=BB628_213 Depth=1
	s_or_b64 exec, exec, s[14:15]
.LBB628_303:                            ;   in Loop: Header=BB628_213 Depth=1
	s_or_b64 exec, exec, s[12:13]
	v_cmp_lt_u32_e32 vcc, s20, v38
	v_mov_b32_e32 v50, 0
	v_mov_b32_e32 v63, 0
	s_and_saveexec_b64 s[12:13], vcc
	s_cbranch_execz .LBB628_309
; %bb.304:                              ;   in Loop: Header=BB628_213 Depth=1
	v_lshrrev_b32_e32 v40, 24, v38
	v_cmp_ne_u32_e32 vcc, s9, v40
	v_bfrev_b32_e32 v63, 1
	s_and_saveexec_b64 s[14:15], vcc
	s_cbranch_execz .LBB628_308
; %bb.305:                              ;   in Loop: Header=BB628_213 Depth=1
	v_bfe_u32 v38, v38, 24, 7
	v_cmp_ne_u32_e32 vcc, s19, v38
	v_mov_b32_e32 v63, 0x7f800001
	s_and_saveexec_b64 s[16:17], vcc
	s_cbranch_execz .LBB628_307
; %bb.306:                              ;   in Loop: Header=BB628_213 Depth=1
	v_and_b32_e32 v42, 7, v40
	v_ffbh_u32_e32 v64, v42
	v_min_u32_e32 v66, 32, v64
	v_subrev_u32_e32 v64, 28, v66
	v_lshlrev_b64 v[64:65], v64, v[40:41]
	v_lshrrev_b32_e32 v63, 3, v38
	v_sub_u32_e32 v65, 29, v66
	v_and_b32_e32 v64, 7, v64
	v_cmp_gt_u32_e32 vcc, 8, v38
	v_cndmask_b32_e32 v38, v63, v65, vcc
	v_cndmask_b32_e32 v42, v42, v64, vcc
	v_lshlrev_b32_e32 v40, 24, v40
	v_lshlrev_b32_e32 v42, 20, v42
	v_and_b32_e32 v40, 0x80000000, v40
	v_lshl_add_u32 v38, v38, 23, v45
	v_or3_b32 v63, v40, v38, v42
.LBB628_307:                            ;   in Loop: Header=BB628_213 Depth=1
	s_or_b64 exec, exec, s[16:17]
.LBB628_308:                            ;   in Loop: Header=BB628_213 Depth=1
	s_or_b64 exec, exec, s[14:15]
.LBB628_309:                            ;   in Loop: Header=BB628_213 Depth=1
	s_or_b64 exec, exec, s[12:13]
	v_cvt_pkrtz_f16_f32 v65, v44, v60
	buffer_load_dword v44, v46, s[0:3], 0 offen
	buffer_load_dword v42, v46, s[0:3], 0 offen offset:4
	buffer_load_dword v40, v46, s[0:3], 0 offen offset:8
	buffer_load_dword v38, v46, s[0:3], 0 offen offset:12
	v_cvt_pkrtz_f16_f32 v64, v51, v52
	v_cvt_pkrtz_f16_f32 v52, v53, v62
	;; [unrolled: 1-line block ×3, first 2 shown]
	v_mfma_f32_16x16x16f16 v[34:37], v[64:65], v[6:7], v[34:37]
	s_waitcnt vmcnt(3)
	v_cmp_ne_u16_sdwa s[14:15], v44, v43 src0_sel:BYTE_0 src1_sel:DWORD
	v_mfma_f32_16x16x16f16 v[34:37], v[52:53], v[8:9], v[34:37]
	s_and_saveexec_b64 s[12:13], s[14:15]
	s_cbranch_execz .LBB628_315
; %bb.310:                              ;   in Loop: Header=BB628_213 Depth=1
	v_cmp_ne_u16_sdwa s[16:17], v44, s9 src0_sel:BYTE_0 src1_sel:DWORD
	v_bfrev_b32_e32 v50, 1
	s_and_saveexec_b64 s[14:15], s[16:17]
	s_cbranch_execz .LBB628_314
; %bb.311:                              ;   in Loop: Header=BB628_213 Depth=1
	v_and_b32_e32 v46, 0x7f, v44
	v_cmp_ne_u32_e32 vcc, s19, v46
	v_mov_b32_e32 v50, 0x7f800001
	s_and_saveexec_b64 s[16:17], vcc
	s_cbranch_execz .LBB628_313
; %bb.312:                              ;   in Loop: Header=BB628_213 Depth=1
	v_and_b32_e32 v52, 7, v44
	v_ffbh_u32_e32 v50, v52
	v_min_u32_e32 v60, 32, v50
	v_subrev_u32_e32 v50, 28, v60
	v_lshlrev_b64 v[50:51], v50, v[44:45]
	v_lshrrev_b32_e32 v53, 3, v46
	v_sub_u32_e32 v51, 29, v60
	v_and_b32_e32 v50, 7, v50
	v_cmp_gt_u32_e32 vcc, 8, v46
	v_cndmask_b32_e32 v46, v53, v51, vcc
	v_cndmask_b32_e32 v50, v52, v50, vcc
	v_lshlrev_b32_e32 v51, 24, v44
	v_lshlrev_b32_e32 v50, 20, v50
	v_and_b32_e32 v51, 0x80000000, v51
	v_lshl_add_u32 v46, v46, 23, v45
	v_or3_b32 v50, v51, v46, v50
.LBB628_313:                            ;   in Loop: Header=BB628_213 Depth=1
	s_or_b64 exec, exec, s[16:17]
.LBB628_314:                            ;   in Loop: Header=BB628_213 Depth=1
	s_or_b64 exec, exec, s[14:15]
.LBB628_315:                            ;   in Loop: Header=BB628_213 Depth=1
	s_or_b64 exec, exec, s[12:13]
	v_lshrrev_b16_e32 v46, 8, v44
	v_cmp_ne_u16_e32 vcc, 0, v46
	v_mov_b32_e32 v51, 0
	v_mov_b32_e32 v52, 0
	s_and_saveexec_b64 s[12:13], vcc
	s_cbranch_execz .LBB628_321
; %bb.316:                              ;   in Loop: Header=BB628_213 Depth=1
	v_cmp_ne_u16_e32 vcc, s9, v46
	v_bfrev_b32_e32 v52, 1
	s_and_saveexec_b64 s[14:15], vcc
	s_cbranch_execz .LBB628_320
; %bb.317:                              ;   in Loop: Header=BB628_213 Depth=1
	v_and_b32_e32 v53, 0x7f, v46
	v_cmp_ne_u32_e32 vcc, s19, v53
	v_mov_b32_e32 v52, 0x7f800001
	s_and_saveexec_b64 s[16:17], vcc
	s_cbranch_execz .LBB628_319
; %bb.318:                              ;   in Loop: Header=BB628_213 Depth=1
	v_and_b32_e32 v52, 7, v46
	v_ffbh_u32_e32 v60, v52
	v_min_u32_e32 v63, 32, v60
	v_subrev_u32_e32 v60, 28, v63
	v_lshlrev_b64 v[60:61], v60, v[46:47]
	v_lshrrev_b32_e32 v62, 3, v53
	v_sub_u32_e32 v46, 29, v63
	v_and_b32_e32 v60, 7, v60
	v_cmp_gt_u32_e32 vcc, 8, v53
	v_cndmask_b32_e32 v46, v62, v46, vcc
	v_cndmask_b32_e32 v52, v52, v60, vcc
	v_lshlrev_b32_e32 v53, 16, v44
	v_lshlrev_b32_e32 v52, 20, v52
	v_and_b32_e32 v53, 0x80000000, v53
	v_lshl_add_u32 v46, v46, 23, v45
	v_or3_b32 v52, v53, v46, v52
.LBB628_319:                            ;   in Loop: Header=BB628_213 Depth=1
	s_or_b64 exec, exec, s[16:17]
.LBB628_320:                            ;   in Loop: Header=BB628_213 Depth=1
	s_or_b64 exec, exec, s[14:15]
.LBB628_321:                            ;   in Loop: Header=BB628_213 Depth=1
	s_or_b64 exec, exec, s[12:13]
	v_lshrrev_b32_e32 v46, 16, v44
	v_cmp_ne_u16_sdwa s[14:15], v46, v43 src0_sel:BYTE_0 src1_sel:DWORD
	s_and_saveexec_b64 s[12:13], s[14:15]
	s_cbranch_execz .LBB628_327
; %bb.322:                              ;   in Loop: Header=BB628_213 Depth=1
	v_cmp_ne_u16_sdwa s[16:17], v46, s9 src0_sel:BYTE_0 src1_sel:DWORD
	v_bfrev_b32_e32 v51, 1
	s_and_saveexec_b64 s[14:15], s[16:17]
	s_cbranch_execz .LBB628_326
; %bb.323:                              ;   in Loop: Header=BB628_213 Depth=1
	v_bfe_u32 v53, v44, 16, 7
	v_cmp_ne_u32_e32 vcc, s19, v53
	v_mov_b32_e32 v51, 0x7f800001
	s_and_saveexec_b64 s[16:17], vcc
	s_cbranch_execz .LBB628_325
; %bb.324:                              ;   in Loop: Header=BB628_213 Depth=1
	v_and_b32_e32 v51, 7, v46
	v_ffbh_u32_e32 v60, v51
	v_min_u32_e32 v63, 32, v60
	v_subrev_u32_e32 v60, 28, v63
	v_lshlrev_b64 v[60:61], v60, v[46:47]
	v_lshrrev_b32_e32 v62, 3, v53
	v_sub_u32_e32 v61, 29, v63
	v_and_b32_e32 v60, 7, v60
	v_cmp_gt_u32_e32 vcc, 8, v53
	v_cndmask_b32_e32 v53, v62, v61, vcc
	v_cndmask_b32_e32 v51, v51, v60, vcc
	v_lshlrev_b32_e32 v46, 24, v46
	v_lshlrev_b32_e32 v51, 20, v51
	v_and_b32_e32 v46, 0x80000000, v46
	v_lshl_add_u32 v53, v53, 23, v45
	v_or3_b32 v51, v46, v53, v51
.LBB628_325:                            ;   in Loop: Header=BB628_213 Depth=1
	s_or_b64 exec, exec, s[16:17]
.LBB628_326:                            ;   in Loop: Header=BB628_213 Depth=1
	s_or_b64 exec, exec, s[14:15]
.LBB628_327:                            ;   in Loop: Header=BB628_213 Depth=1
	s_or_b64 exec, exec, s[12:13]
	v_cmp_lt_u32_e32 vcc, s20, v44
	v_mov_b32_e32 v53, 0
	v_mov_b32_e32 v60, 0
	s_and_saveexec_b64 s[12:13], vcc
	s_cbranch_execz .LBB628_333
; %bb.328:                              ;   in Loop: Header=BB628_213 Depth=1
	v_lshrrev_b32_e32 v46, 24, v44
	v_cmp_ne_u32_e32 vcc, s9, v46
	v_bfrev_b32_e32 v60, 1
	s_and_saveexec_b64 s[14:15], vcc
	s_cbranch_execz .LBB628_332
; %bb.329:                              ;   in Loop: Header=BB628_213 Depth=1
	v_bfe_u32 v44, v44, 24, 7
	v_cmp_ne_u32_e32 vcc, s19, v44
	v_mov_b32_e32 v60, 0x7f800001
	s_and_saveexec_b64 s[16:17], vcc
	s_cbranch_execz .LBB628_331
; %bb.330:                              ;   in Loop: Header=BB628_213 Depth=1
	v_and_b32_e32 v62, 7, v46
	v_ffbh_u32_e32 v60, v62
	v_min_u32_e32 v64, 32, v60
	v_subrev_u32_e32 v60, 28, v64
	v_lshlrev_b64 v[60:61], v60, v[46:47]
	v_lshrrev_b32_e32 v63, 3, v44
	v_sub_u32_e32 v61, 29, v64
	v_and_b32_e32 v60, 7, v60
	v_cmp_gt_u32_e32 vcc, 8, v44
	v_cndmask_b32_e32 v44, v63, v61, vcc
	v_cndmask_b32_e32 v60, v62, v60, vcc
	v_lshlrev_b32_e32 v46, 24, v46
	v_lshlrev_b32_e32 v60, 20, v60
	v_and_b32_e32 v46, 0x80000000, v46
	v_lshl_add_u32 v44, v44, 23, v45
	v_or3_b32 v60, v46, v44, v60
.LBB628_331:                            ;   in Loop: Header=BB628_213 Depth=1
	s_or_b64 exec, exec, s[16:17]
.LBB628_332:                            ;   in Loop: Header=BB628_213 Depth=1
	s_or_b64 exec, exec, s[14:15]
.LBB628_333:                            ;   in Loop: Header=BB628_213 Depth=1
	s_or_b64 exec, exec, s[12:13]
	s_waitcnt vmcnt(2)
	v_cmp_ne_u16_sdwa s[14:15], v42, v43 src0_sel:BYTE_0 src1_sel:DWORD
	s_and_saveexec_b64 s[12:13], s[14:15]
	s_cbranch_execz .LBB628_339
; %bb.334:                              ;   in Loop: Header=BB628_213 Depth=1
	v_cmp_ne_u16_sdwa s[16:17], v42, s9 src0_sel:BYTE_0 src1_sel:DWORD
	v_bfrev_b32_e32 v53, 1
	s_and_saveexec_b64 s[14:15], s[16:17]
	s_cbranch_execz .LBB628_338
; %bb.335:                              ;   in Loop: Header=BB628_213 Depth=1
	v_and_b32_e32 v44, 0x7f, v42
	v_cmp_ne_u32_e32 vcc, s19, v44
	v_mov_b32_e32 v53, 0x7f800001
	s_and_saveexec_b64 s[16:17], vcc
	s_cbranch_execz .LBB628_337
; %bb.336:                              ;   in Loop: Header=BB628_213 Depth=1
	v_and_b32_e32 v46, 7, v42
	v_ffbh_u32_e32 v61, v46
	v_min_u32_e32 v61, 32, v61
	v_subrev_u32_e32 v62, 28, v61
	v_lshlrev_b64 v[62:63], v62, v[42:43]
	v_lshrrev_b32_e32 v53, 3, v44
	v_sub_u32_e32 v61, 29, v61
	v_and_b32_e32 v62, 7, v62
	v_cmp_gt_u32_e32 vcc, 8, v44
	v_cndmask_b32_e32 v44, v53, v61, vcc
	v_cndmask_b32_e32 v46, v46, v62, vcc
	v_lshlrev_b32_e32 v53, 24, v42
	v_lshlrev_b32_e32 v46, 20, v46
	v_and_b32_e32 v53, 0x80000000, v53
	v_lshl_add_u32 v44, v44, 23, v45
	v_or3_b32 v53, v53, v44, v46
.LBB628_337:                            ;   in Loop: Header=BB628_213 Depth=1
	s_or_b64 exec, exec, s[16:17]
.LBB628_338:                            ;   in Loop: Header=BB628_213 Depth=1
	s_or_b64 exec, exec, s[14:15]
.LBB628_339:                            ;   in Loop: Header=BB628_213 Depth=1
	s_or_b64 exec, exec, s[12:13]
	v_lshrrev_b16_e32 v44, 8, v42
	v_cmp_ne_u16_e32 vcc, 0, v44
	v_mov_b32_e32 v61, 0
	v_mov_b32_e32 v62, 0
	s_and_saveexec_b64 s[12:13], vcc
	s_cbranch_execz .LBB628_345
; %bb.340:                              ;   in Loop: Header=BB628_213 Depth=1
	v_cmp_ne_u16_e32 vcc, s9, v44
	v_bfrev_b32_e32 v62, 1
	s_and_saveexec_b64 s[14:15], vcc
	s_cbranch_execz .LBB628_344
; %bb.341:                              ;   in Loop: Header=BB628_213 Depth=1
	v_and_b32_e32 v46, 0x7f, v44
	v_cmp_ne_u32_e32 vcc, s19, v46
	v_mov_b32_e32 v62, 0x7f800001
	s_and_saveexec_b64 s[16:17], vcc
	s_cbranch_execz .LBB628_343
; %bb.342:                              ;   in Loop: Header=BB628_213 Depth=1
	v_and_b32_e32 v64, 7, v44
	v_ffbh_u32_e32 v62, v64
	v_min_u32_e32 v66, 32, v62
	v_subrev_u32_e32 v62, 28, v66
	v_lshlrev_b64 v[62:63], v62, v[44:45]
	v_lshrrev_b32_e32 v65, 3, v46
	v_sub_u32_e32 v44, 29, v66
	v_and_b32_e32 v62, 7, v62
	v_cmp_gt_u32_e32 vcc, 8, v46
	v_cndmask_b32_e32 v44, v65, v44, vcc
	v_cndmask_b32_e32 v46, v64, v62, vcc
	v_lshlrev_b32_e32 v62, 16, v42
	v_lshlrev_b32_e32 v46, 20, v46
	v_and_b32_e32 v62, 0x80000000, v62
	v_lshl_add_u32 v44, v44, 23, v45
	v_or3_b32 v62, v62, v44, v46
.LBB628_343:                            ;   in Loop: Header=BB628_213 Depth=1
	s_or_b64 exec, exec, s[16:17]
.LBB628_344:                            ;   in Loop: Header=BB628_213 Depth=1
	s_or_b64 exec, exec, s[14:15]
.LBB628_345:                            ;   in Loop: Header=BB628_213 Depth=1
	s_or_b64 exec, exec, s[12:13]
	v_lshrrev_b32_e32 v44, 16, v42
	v_cmp_ne_u16_sdwa s[14:15], v44, v43 src0_sel:BYTE_0 src1_sel:DWORD
	s_and_saveexec_b64 s[12:13], s[14:15]
	s_cbranch_execz .LBB628_351
; %bb.346:                              ;   in Loop: Header=BB628_213 Depth=1
	v_cmp_ne_u16_sdwa s[16:17], v44, s9 src0_sel:BYTE_0 src1_sel:DWORD
	v_bfrev_b32_e32 v61, 1
	s_and_saveexec_b64 s[14:15], s[16:17]
	s_cbranch_execz .LBB628_350
; %bb.347:                              ;   in Loop: Header=BB628_213 Depth=1
	v_bfe_u32 v46, v42, 16, 7
	v_cmp_ne_u32_e32 vcc, s19, v46
	v_mov_b32_e32 v61, 0x7f800001
	s_and_saveexec_b64 s[16:17], vcc
	s_cbranch_execz .LBB628_349
; %bb.348:                              ;   in Loop: Header=BB628_213 Depth=1
	v_and_b32_e32 v61, 7, v44
	v_ffbh_u32_e32 v64, v61
	v_min_u32_e32 v66, 32, v64
	v_subrev_u32_e32 v64, 28, v66
	v_lshlrev_b64 v[64:65], v64, v[44:45]
	v_lshrrev_b32_e32 v63, 3, v46
	v_sub_u32_e32 v65, 29, v66
	v_and_b32_e32 v64, 7, v64
	v_cmp_gt_u32_e32 vcc, 8, v46
	v_cndmask_b32_e32 v46, v63, v65, vcc
	v_cndmask_b32_e32 v61, v61, v64, vcc
	v_lshlrev_b32_e32 v44, 24, v44
	v_lshlrev_b32_e32 v61, 20, v61
	v_and_b32_e32 v44, 0x80000000, v44
	v_lshl_add_u32 v46, v46, 23, v45
	v_or3_b32 v61, v44, v46, v61
.LBB628_349:                            ;   in Loop: Header=BB628_213 Depth=1
	s_or_b64 exec, exec, s[16:17]
.LBB628_350:                            ;   in Loop: Header=BB628_213 Depth=1
	s_or_b64 exec, exec, s[14:15]
.LBB628_351:                            ;   in Loop: Header=BB628_213 Depth=1
	s_or_b64 exec, exec, s[12:13]
	v_cmp_lt_u32_e32 vcc, s20, v42
	v_mov_b32_e32 v46, 0
	v_mov_b32_e32 v63, 0
	s_and_saveexec_b64 s[12:13], vcc
	s_cbranch_execz .LBB628_357
; %bb.352:                              ;   in Loop: Header=BB628_213 Depth=1
	v_lshrrev_b32_e32 v44, 24, v42
	v_cmp_ne_u32_e32 vcc, s9, v44
	v_bfrev_b32_e32 v63, 1
	s_and_saveexec_b64 s[14:15], vcc
	s_cbranch_execz .LBB628_356
; %bb.353:                              ;   in Loop: Header=BB628_213 Depth=1
	v_bfe_u32 v42, v42, 24, 7
	v_cmp_ne_u32_e32 vcc, s19, v42
	v_mov_b32_e32 v63, 0x7f800001
	s_and_saveexec_b64 s[16:17], vcc
	s_cbranch_execz .LBB628_355
; %bb.354:                              ;   in Loop: Header=BB628_213 Depth=1
	v_and_b32_e32 v63, 7, v44
	v_ffbh_u32_e32 v64, v63
	v_min_u32_e32 v67, 32, v64
	v_subrev_u32_e32 v64, 28, v67
	v_lshlrev_b64 v[64:65], v64, v[44:45]
	v_lshrrev_b32_e32 v66, 3, v42
	v_sub_u32_e32 v65, 29, v67
	v_and_b32_e32 v64, 7, v64
	v_cmp_gt_u32_e32 vcc, 8, v42
	v_cndmask_b32_e32 v42, v66, v65, vcc
	v_cndmask_b32_e32 v63, v63, v64, vcc
	v_lshlrev_b32_e32 v44, 24, v44
	v_lshlrev_b32_e32 v63, 20, v63
	v_and_b32_e32 v44, 0x80000000, v44
	v_lshl_add_u32 v42, v42, 23, v45
	v_or3_b32 v63, v44, v42, v63
.LBB628_355:                            ;   in Loop: Header=BB628_213 Depth=1
	s_or_b64 exec, exec, s[16:17]
.LBB628_356:                            ;   in Loop: Header=BB628_213 Depth=1
	s_or_b64 exec, exec, s[14:15]
.LBB628_357:                            ;   in Loop: Header=BB628_213 Depth=1
	s_or_b64 exec, exec, s[12:13]
	v_cvt_pkrtz_f16_f32 v50, v50, v52
	v_cvt_pkrtz_f16_f32 v51, v51, v60
	s_waitcnt vmcnt(1)
	v_cmp_ne_u16_sdwa s[14:15], v40, v43 src0_sel:BYTE_0 src1_sel:DWORD
	v_mfma_f32_16x16x16f16 v[34:37], v[50:51], v[10:11], v[34:37]
	v_cvt_pkrtz_f16_f32 v50, v53, v62
	v_cvt_pkrtz_f16_f32 v51, v61, v63
	s_nop 1
	v_mfma_f32_16x16x16f16 v[34:37], v[50:51], v[12:13], v[34:37]
	s_and_saveexec_b64 s[12:13], s[14:15]
	s_cbranch_execz .LBB628_363
; %bb.358:                              ;   in Loop: Header=BB628_213 Depth=1
	v_cmp_ne_u16_sdwa s[16:17], v40, s9 src0_sel:BYTE_0 src1_sel:DWORD
	v_bfrev_b32_e32 v46, 1
	s_and_saveexec_b64 s[14:15], s[16:17]
	s_cbranch_execz .LBB628_362
; %bb.359:                              ;   in Loop: Header=BB628_213 Depth=1
	v_and_b32_e32 v42, 0x7f, v40
	v_cmp_ne_u32_e32 vcc, s19, v42
	v_mov_b32_e32 v46, 0x7f800001
	s_and_saveexec_b64 s[16:17], vcc
	s_cbranch_execz .LBB628_361
; %bb.360:                              ;   in Loop: Header=BB628_213 Depth=1
	v_and_b32_e32 v44, 7, v40
	v_ffbh_u32_e32 v50, v44
	v_min_u32_e32 v52, 32, v50
	v_subrev_u32_e32 v50, 28, v52
	v_lshlrev_b64 v[50:51], v50, v[40:41]
	v_lshrrev_b32_e32 v46, 3, v42
	v_sub_u32_e32 v51, 29, v52
	v_and_b32_e32 v50, 7, v50
	v_cmp_gt_u32_e32 vcc, 8, v42
	v_cndmask_b32_e32 v42, v46, v51, vcc
	v_cndmask_b32_e32 v44, v44, v50, vcc
	v_lshlrev_b32_e32 v46, 24, v40
	v_lshlrev_b32_e32 v44, 20, v44
	v_and_b32_e32 v46, 0x80000000, v46
	v_lshl_add_u32 v42, v42, 23, v45
	v_or3_b32 v46, v46, v42, v44
.LBB628_361:                            ;   in Loop: Header=BB628_213 Depth=1
	s_or_b64 exec, exec, s[16:17]
.LBB628_362:                            ;   in Loop: Header=BB628_213 Depth=1
	s_or_b64 exec, exec, s[14:15]
.LBB628_363:                            ;   in Loop: Header=BB628_213 Depth=1
	s_or_b64 exec, exec, s[12:13]
	v_lshrrev_b16_e32 v42, 8, v40
	v_cmp_ne_u16_e32 vcc, 0, v42
	v_mov_b32_e32 v44, 0
	v_mov_b32_e32 v51, 0
	s_and_saveexec_b64 s[12:13], vcc
	s_cbranch_execz .LBB628_369
; %bb.364:                              ;   in Loop: Header=BB628_213 Depth=1
	v_cmp_ne_u16_e32 vcc, s9, v42
	v_bfrev_b32_e32 v51, 1
	s_and_saveexec_b64 s[14:15], vcc
	s_cbranch_execz .LBB628_368
; %bb.365:                              ;   in Loop: Header=BB628_213 Depth=1
	v_and_b32_e32 v50, 0x7f, v42
	v_cmp_ne_u32_e32 vcc, s19, v50
	v_mov_b32_e32 v51, 0x7f800001
	s_and_saveexec_b64 s[16:17], vcc
	s_cbranch_execz .LBB628_367
; %bb.366:                              ;   in Loop: Header=BB628_213 Depth=1
	v_and_b32_e32 v51, 7, v42
	v_ffbh_u32_e32 v52, v51
	v_min_u32_e32 v61, 32, v52
	v_subrev_u32_e32 v52, 28, v61
	v_lshlrev_b64 v[52:53], v52, v[42:43]
	v_lshrrev_b32_e32 v60, 3, v50
	v_sub_u32_e32 v42, 29, v61
	v_and_b32_e32 v52, 7, v52
	v_cmp_gt_u32_e32 vcc, 8, v50
	v_cndmask_b32_e32 v42, v60, v42, vcc
	v_cndmask_b32_e32 v50, v51, v52, vcc
	v_lshlrev_b32_e32 v51, 16, v40
	v_lshlrev_b32_e32 v50, 20, v50
	v_and_b32_e32 v51, 0x80000000, v51
	v_lshl_add_u32 v42, v42, 23, v45
	v_or3_b32 v51, v51, v42, v50
.LBB628_367:                            ;   in Loop: Header=BB628_213 Depth=1
	s_or_b64 exec, exec, s[16:17]
.LBB628_368:                            ;   in Loop: Header=BB628_213 Depth=1
	s_or_b64 exec, exec, s[14:15]
.LBB628_369:                            ;   in Loop: Header=BB628_213 Depth=1
	s_or_b64 exec, exec, s[12:13]
	v_lshrrev_b32_e32 v42, 16, v40
	v_cmp_ne_u16_sdwa s[14:15], v42, v43 src0_sel:BYTE_0 src1_sel:DWORD
	s_and_saveexec_b64 s[12:13], s[14:15]
	s_cbranch_execz .LBB628_375
; %bb.370:                              ;   in Loop: Header=BB628_213 Depth=1
	v_cmp_ne_u16_sdwa s[16:17], v42, s9 src0_sel:BYTE_0 src1_sel:DWORD
	v_bfrev_b32_e32 v44, 1
	s_and_saveexec_b64 s[14:15], s[16:17]
	s_cbranch_execz .LBB628_374
; %bb.371:                              ;   in Loop: Header=BB628_213 Depth=1
	v_bfe_u32 v50, v40, 16, 7
	v_cmp_ne_u32_e32 vcc, s19, v50
	v_mov_b32_e32 v44, 0x7f800001
	s_and_saveexec_b64 s[16:17], vcc
	s_cbranch_execz .LBB628_373
; %bb.372:                              ;   in Loop: Header=BB628_213 Depth=1
	v_and_b32_e32 v44, 7, v42
	v_ffbh_u32_e32 v52, v44
	v_min_u32_e32 v61, 32, v52
	v_subrev_u32_e32 v52, 28, v61
	v_lshlrev_b64 v[52:53], v52, v[42:43]
	v_lshrrev_b32_e32 v60, 3, v50
	v_sub_u32_e32 v53, 29, v61
	v_and_b32_e32 v52, 7, v52
	v_cmp_gt_u32_e32 vcc, 8, v50
	v_cndmask_b32_e32 v50, v60, v53, vcc
	v_cndmask_b32_e32 v44, v44, v52, vcc
	v_lshlrev_b32_e32 v42, 24, v42
	v_lshlrev_b32_e32 v44, 20, v44
	v_and_b32_e32 v42, 0x80000000, v42
	v_lshl_add_u32 v50, v50, 23, v45
	v_or3_b32 v44, v42, v50, v44
.LBB628_373:                            ;   in Loop: Header=BB628_213 Depth=1
	s_or_b64 exec, exec, s[16:17]
.LBB628_374:                            ;   in Loop: Header=BB628_213 Depth=1
	s_or_b64 exec, exec, s[14:15]
.LBB628_375:                            ;   in Loop: Header=BB628_213 Depth=1
	s_or_b64 exec, exec, s[12:13]
	v_cmp_lt_u32_e32 vcc, s20, v40
	v_mov_b32_e32 v52, 0
	v_mov_b32_e32 v53, 0
	s_and_saveexec_b64 s[12:13], vcc
	s_cbranch_execz .LBB628_381
; %bb.376:                              ;   in Loop: Header=BB628_213 Depth=1
	v_lshrrev_b32_e32 v42, 24, v40
	v_cmp_ne_u32_e32 vcc, s9, v42
	v_bfrev_b32_e32 v53, 1
	s_and_saveexec_b64 s[14:15], vcc
	s_cbranch_execz .LBB628_380
; %bb.377:                              ;   in Loop: Header=BB628_213 Depth=1
	v_bfe_u32 v40, v40, 24, 7
	v_cmp_ne_u32_e32 vcc, s19, v40
	v_mov_b32_e32 v53, 0x7f800001
	s_and_saveexec_b64 s[16:17], vcc
	s_cbranch_execz .LBB628_379
; %bb.378:                              ;   in Loop: Header=BB628_213 Depth=1
	v_and_b32_e32 v50, 7, v42
	v_ffbh_u32_e32 v60, v50
	v_min_u32_e32 v62, 32, v60
	v_subrev_u32_e32 v60, 28, v62
	v_lshlrev_b64 v[60:61], v60, v[42:43]
	v_lshrrev_b32_e32 v53, 3, v40
	v_sub_u32_e32 v61, 29, v62
	v_and_b32_e32 v60, 7, v60
	v_cmp_gt_u32_e32 vcc, 8, v40
	v_cndmask_b32_e32 v40, v53, v61, vcc
	v_cndmask_b32_e32 v50, v50, v60, vcc
	v_lshlrev_b32_e32 v42, 24, v42
	v_lshlrev_b32_e32 v50, 20, v50
	v_and_b32_e32 v42, 0x80000000, v42
	v_lshl_add_u32 v40, v40, 23, v45
	v_or3_b32 v53, v42, v40, v50
.LBB628_379:                            ;   in Loop: Header=BB628_213 Depth=1
	s_or_b64 exec, exec, s[16:17]
.LBB628_380:                            ;   in Loop: Header=BB628_213 Depth=1
	s_or_b64 exec, exec, s[14:15]
.LBB628_381:                            ;   in Loop: Header=BB628_213 Depth=1
	s_or_b64 exec, exec, s[12:13]
	s_waitcnt vmcnt(0)
	v_cmp_ne_u16_sdwa s[14:15], v38, v43 src0_sel:BYTE_0 src1_sel:DWORD
	s_and_saveexec_b64 s[12:13], s[14:15]
	s_cbranch_execz .LBB628_387
; %bb.382:                              ;   in Loop: Header=BB628_213 Depth=1
	v_cmp_ne_u16_sdwa s[16:17], v38, s9 src0_sel:BYTE_0 src1_sel:DWORD
	v_bfrev_b32_e32 v52, 1
	s_and_saveexec_b64 s[14:15], s[16:17]
	s_cbranch_execz .LBB628_386
; %bb.383:                              ;   in Loop: Header=BB628_213 Depth=1
	v_and_b32_e32 v40, 0x7f, v38
	v_cmp_ne_u32_e32 vcc, s19, v40
	v_mov_b32_e32 v52, 0x7f800001
	s_and_saveexec_b64 s[16:17], vcc
	s_cbranch_execz .LBB628_385
; %bb.384:                              ;   in Loop: Header=BB628_213 Depth=1
	v_and_b32_e32 v42, 7, v38
	v_ffbh_u32_e32 v52, v42
	v_min_u32_e32 v52, 32, v52
	v_subrev_u32_e32 v60, 28, v52
	v_lshlrev_b64 v[60:61], v60, v[38:39]
	v_lshrrev_b32_e32 v50, 3, v40
	v_sub_u32_e32 v52, 29, v52
	v_and_b32_e32 v60, 7, v60
	v_cmp_gt_u32_e32 vcc, 8, v40
	v_cndmask_b32_e32 v40, v50, v52, vcc
	v_cndmask_b32_e32 v42, v42, v60, vcc
	v_lshlrev_b32_e32 v50, 24, v38
	v_lshlrev_b32_e32 v42, 20, v42
	v_and_b32_e32 v50, 0x80000000, v50
	v_lshl_add_u32 v40, v40, 23, v45
	v_or3_b32 v52, v50, v40, v42
.LBB628_385:                            ;   in Loop: Header=BB628_213 Depth=1
	s_or_b64 exec, exec, s[16:17]
.LBB628_386:                            ;   in Loop: Header=BB628_213 Depth=1
	s_or_b64 exec, exec, s[14:15]
.LBB628_387:                            ;   in Loop: Header=BB628_213 Depth=1
	s_or_b64 exec, exec, s[12:13]
	v_lshrrev_b16_e32 v40, 8, v38
	v_cmp_ne_u16_e32 vcc, 0, v40
	v_mov_b32_e32 v60, 0
	v_mov_b32_e32 v61, 0
	s_and_saveexec_b64 s[12:13], vcc
	s_cbranch_execz .LBB628_393
; %bb.388:                              ;   in Loop: Header=BB628_213 Depth=1
	v_cmp_ne_u16_e32 vcc, s9, v40
	v_bfrev_b32_e32 v61, 1
	s_and_saveexec_b64 s[14:15], vcc
	s_cbranch_execz .LBB628_392
; %bb.389:                              ;   in Loop: Header=BB628_213 Depth=1
	v_and_b32_e32 v42, 0x7f, v40
	v_cmp_ne_u32_e32 vcc, s19, v42
	v_mov_b32_e32 v61, 0x7f800001
	s_and_saveexec_b64 s[16:17], vcc
	s_cbranch_execz .LBB628_391
; %bb.390:                              ;   in Loop: Header=BB628_213 Depth=1
	v_and_b32_e32 v50, 7, v40
	v_ffbh_u32_e32 v62, v50
	v_min_u32_e32 v64, 32, v62
	v_subrev_u32_e32 v62, 28, v64
	v_lshlrev_b64 v[62:63], v62, v[40:41]
	v_lshrrev_b32_e32 v61, 3, v42
	v_sub_u32_e32 v40, 29, v64
	v_and_b32_e32 v62, 7, v62
	v_cmp_gt_u32_e32 vcc, 8, v42
	v_cndmask_b32_e32 v40, v61, v40, vcc
	v_cndmask_b32_e32 v42, v50, v62, vcc
	v_lshlrev_b32_e32 v50, 16, v38
	v_lshlrev_b32_e32 v42, 20, v42
	v_and_b32_e32 v50, 0x80000000, v50
	v_lshl_add_u32 v40, v40, 23, v45
	v_or3_b32 v61, v50, v40, v42
.LBB628_391:                            ;   in Loop: Header=BB628_213 Depth=1
	s_or_b64 exec, exec, s[16:17]
.LBB628_392:                            ;   in Loop: Header=BB628_213 Depth=1
	s_or_b64 exec, exec, s[14:15]
.LBB628_393:                            ;   in Loop: Header=BB628_213 Depth=1
	s_or_b64 exec, exec, s[12:13]
	v_lshrrev_b32_e32 v40, 16, v38
	v_cmp_ne_u16_sdwa s[14:15], v40, v43 src0_sel:BYTE_0 src1_sel:DWORD
	s_and_saveexec_b64 s[12:13], s[14:15]
	s_cbranch_execz .LBB628_399
; %bb.394:                              ;   in Loop: Header=BB628_213 Depth=1
	v_cmp_ne_u16_sdwa s[16:17], v40, s9 src0_sel:BYTE_0 src1_sel:DWORD
	v_bfrev_b32_e32 v60, 1
	s_and_saveexec_b64 s[14:15], s[16:17]
	s_cbranch_execz .LBB628_398
; %bb.395:                              ;   in Loop: Header=BB628_213 Depth=1
	v_bfe_u32 v42, v38, 16, 7
	v_cmp_ne_u32_e32 vcc, s19, v42
	v_mov_b32_e32 v60, 0x7f800001
	s_and_saveexec_b64 s[16:17], vcc
	s_cbranch_execz .LBB628_397
; %bb.396:                              ;   in Loop: Header=BB628_213 Depth=1
	v_and_b32_e32 v50, 7, v40
	v_ffbh_u32_e32 v62, v50
	v_min_u32_e32 v64, 32, v62
	v_subrev_u32_e32 v62, 28, v64
	v_lshlrev_b64 v[62:63], v62, v[40:41]
	v_lshrrev_b32_e32 v60, 3, v42
	v_sub_u32_e32 v63, 29, v64
	v_and_b32_e32 v62, 7, v62
	v_cmp_gt_u32_e32 vcc, 8, v42
	v_cndmask_b32_e32 v42, v60, v63, vcc
	v_cndmask_b32_e32 v50, v50, v62, vcc
	v_lshlrev_b32_e32 v40, 24, v40
	v_lshlrev_b32_e32 v50, 20, v50
	v_and_b32_e32 v40, 0x80000000, v40
	v_lshl_add_u32 v42, v42, 23, v45
	v_or3_b32 v60, v40, v42, v50
.LBB628_397:                            ;   in Loop: Header=BB628_213 Depth=1
	s_or_b64 exec, exec, s[16:17]
.LBB628_398:                            ;   in Loop: Header=BB628_213 Depth=1
	s_or_b64 exec, exec, s[14:15]
.LBB628_399:                            ;   in Loop: Header=BB628_213 Depth=1
	s_or_b64 exec, exec, s[12:13]
	v_cmp_lt_u32_e32 vcc, s20, v38
	v_mov_b32_e32 v50, 0
	v_mov_b32_e32 v62, 0
	s_and_saveexec_b64 s[12:13], vcc
	s_cbranch_execz .LBB628_405
; %bb.400:                              ;   in Loop: Header=BB628_213 Depth=1
	v_lshrrev_b32_e32 v40, 24, v38
	v_cmp_ne_u32_e32 vcc, s9, v40
	v_bfrev_b32_e32 v62, 1
	s_and_saveexec_b64 s[14:15], vcc
	s_cbranch_execz .LBB628_404
; %bb.401:                              ;   in Loop: Header=BB628_213 Depth=1
	v_bfe_u32 v38, v38, 24, 7
	v_cmp_ne_u32_e32 vcc, s19, v38
	v_mov_b32_e32 v62, 0x7f800001
	s_and_saveexec_b64 s[16:17], vcc
	s_cbranch_execz .LBB628_403
; %bb.402:                              ;   in Loop: Header=BB628_213 Depth=1
	v_and_b32_e32 v42, 7, v40
	v_ffbh_u32_e32 v62, v42
	v_min_u32_e32 v65, 32, v62
	v_subrev_u32_e32 v62, 28, v65
	v_lshlrev_b64 v[62:63], v62, v[40:41]
	v_lshrrev_b32_e32 v64, 3, v38
	v_sub_u32_e32 v63, 29, v65
	v_and_b32_e32 v62, 7, v62
	v_cmp_gt_u32_e32 vcc, 8, v38
	v_cndmask_b32_e32 v38, v64, v63, vcc
	v_cndmask_b32_e32 v42, v42, v62, vcc
	v_lshlrev_b32_e32 v40, 24, v40
	v_lshlrev_b32_e32 v42, 20, v42
	v_and_b32_e32 v40, 0x80000000, v40
	v_lshl_add_u32 v38, v38, 23, v45
	v_or3_b32 v62, v40, v38, v42
.LBB628_403:                            ;   in Loop: Header=BB628_213 Depth=1
	s_or_b64 exec, exec, s[16:17]
.LBB628_404:                            ;   in Loop: Header=BB628_213 Depth=1
	s_or_b64 exec, exec, s[14:15]
.LBB628_405:                            ;   in Loop: Header=BB628_213 Depth=1
	s_or_b64 exec, exec, s[12:13]
	v_cvt_pkrtz_f16_f32 v65, v44, v53
	buffer_load_dword v44, v59, s[0:3], 0 offen
	buffer_load_dword v42, v59, s[0:3], 0 offen offset:4
	buffer_load_dword v40, v59, s[0:3], 0 offen offset:8
	;; [unrolled: 1-line block ×3, first 2 shown]
	v_cvt_pkrtz_f16_f32 v64, v46, v51
	v_cvt_pkrtz_f16_f32 v52, v52, v61
	;; [unrolled: 1-line block ×3, first 2 shown]
	v_mfma_f32_16x16x16f16 v[34:37], v[64:65], v[14:15], v[34:37]
	s_waitcnt vmcnt(3)
	v_cmp_ne_u16_sdwa s[14:15], v44, v43 src0_sel:BYTE_0 src1_sel:DWORD
	v_mfma_f32_16x16x16f16 v[34:37], v[52:53], v[16:17], v[34:37]
	s_and_saveexec_b64 s[12:13], s[14:15]
	s_cbranch_execz .LBB628_411
; %bb.406:                              ;   in Loop: Header=BB628_213 Depth=1
	v_cmp_ne_u16_sdwa s[16:17], v44, s9 src0_sel:BYTE_0 src1_sel:DWORD
	v_bfrev_b32_e32 v50, 1
	s_and_saveexec_b64 s[14:15], s[16:17]
	s_cbranch_execz .LBB628_410
; %bb.407:                              ;   in Loop: Header=BB628_213 Depth=1
	v_and_b32_e32 v46, 0x7f, v44
	v_cmp_ne_u32_e32 vcc, s19, v46
	v_mov_b32_e32 v50, 0x7f800001
	s_and_saveexec_b64 s[16:17], vcc
	s_cbranch_execz .LBB628_409
; %bb.408:                              ;   in Loop: Header=BB628_213 Depth=1
	v_and_b32_e32 v52, 7, v44
	v_ffbh_u32_e32 v50, v52
	v_min_u32_e32 v59, 32, v50
	v_subrev_u32_e32 v50, 28, v59
	v_lshlrev_b64 v[50:51], v50, v[44:45]
	v_lshrrev_b32_e32 v53, 3, v46
	v_sub_u32_e32 v51, 29, v59
	v_and_b32_e32 v50, 7, v50
	v_cmp_gt_u32_e32 vcc, 8, v46
	v_cndmask_b32_e32 v46, v53, v51, vcc
	v_cndmask_b32_e32 v50, v52, v50, vcc
	v_lshlrev_b32_e32 v51, 24, v44
	v_lshlrev_b32_e32 v50, 20, v50
	v_and_b32_e32 v51, 0x80000000, v51
	v_lshl_add_u32 v46, v46, 23, v45
	v_or3_b32 v50, v51, v46, v50
.LBB628_409:                            ;   in Loop: Header=BB628_213 Depth=1
	s_or_b64 exec, exec, s[16:17]
.LBB628_410:                            ;   in Loop: Header=BB628_213 Depth=1
	s_or_b64 exec, exec, s[14:15]
.LBB628_411:                            ;   in Loop: Header=BB628_213 Depth=1
	s_or_b64 exec, exec, s[12:13]
	v_lshrrev_b16_e32 v46, 8, v44
	v_cmp_ne_u16_e32 vcc, 0, v46
	v_mov_b32_e32 v51, 0
	v_mov_b32_e32 v52, 0
	s_and_saveexec_b64 s[12:13], vcc
	s_cbranch_execz .LBB628_417
; %bb.412:                              ;   in Loop: Header=BB628_213 Depth=1
	v_cmp_ne_u16_e32 vcc, s9, v46
	v_bfrev_b32_e32 v52, 1
	s_and_saveexec_b64 s[14:15], vcc
	s_cbranch_execz .LBB628_416
; %bb.413:                              ;   in Loop: Header=BB628_213 Depth=1
	v_and_b32_e32 v53, 0x7f, v46
	v_cmp_ne_u32_e32 vcc, s19, v53
	v_mov_b32_e32 v52, 0x7f800001
	s_and_saveexec_b64 s[16:17], vcc
	s_cbranch_execz .LBB628_415
; %bb.414:                              ;   in Loop: Header=BB628_213 Depth=1
	v_and_b32_e32 v52, 7, v46
	v_ffbh_u32_e32 v60, v52
	v_min_u32_e32 v62, 32, v60
	v_subrev_u32_e32 v60, 28, v62
	v_lshlrev_b64 v[60:61], v60, v[46:47]
	v_lshrrev_b32_e32 v59, 3, v53
	v_sub_u32_e32 v46, 29, v62
	v_and_b32_e32 v60, 7, v60
	v_cmp_gt_u32_e32 vcc, 8, v53
	v_cndmask_b32_e32 v46, v59, v46, vcc
	v_cndmask_b32_e32 v52, v52, v60, vcc
	v_lshlrev_b32_e32 v53, 16, v44
	v_lshlrev_b32_e32 v52, 20, v52
	v_and_b32_e32 v53, 0x80000000, v53
	v_lshl_add_u32 v46, v46, 23, v45
	v_or3_b32 v52, v53, v46, v52
.LBB628_415:                            ;   in Loop: Header=BB628_213 Depth=1
	s_or_b64 exec, exec, s[16:17]
.LBB628_416:                            ;   in Loop: Header=BB628_213 Depth=1
	s_or_b64 exec, exec, s[14:15]
.LBB628_417:                            ;   in Loop: Header=BB628_213 Depth=1
	s_or_b64 exec, exec, s[12:13]
	v_lshrrev_b32_e32 v46, 16, v44
	v_cmp_ne_u16_sdwa s[14:15], v46, v43 src0_sel:BYTE_0 src1_sel:DWORD
	s_and_saveexec_b64 s[12:13], s[14:15]
	s_cbranch_execz .LBB628_423
; %bb.418:                              ;   in Loop: Header=BB628_213 Depth=1
	v_cmp_ne_u16_sdwa s[16:17], v46, s9 src0_sel:BYTE_0 src1_sel:DWORD
	v_bfrev_b32_e32 v51, 1
	s_and_saveexec_b64 s[14:15], s[16:17]
	s_cbranch_execz .LBB628_422
; %bb.419:                              ;   in Loop: Header=BB628_213 Depth=1
	v_bfe_u32 v53, v44, 16, 7
	v_cmp_ne_u32_e32 vcc, s19, v53
	v_mov_b32_e32 v51, 0x7f800001
	s_and_saveexec_b64 s[16:17], vcc
	s_cbranch_execz .LBB628_421
; %bb.420:                              ;   in Loop: Header=BB628_213 Depth=1
	v_and_b32_e32 v51, 7, v46
	v_ffbh_u32_e32 v60, v51
	v_min_u32_e32 v62, 32, v60
	v_subrev_u32_e32 v60, 28, v62
	v_lshlrev_b64 v[60:61], v60, v[46:47]
	v_lshrrev_b32_e32 v59, 3, v53
	v_sub_u32_e32 v61, 29, v62
	v_and_b32_e32 v60, 7, v60
	v_cmp_gt_u32_e32 vcc, 8, v53
	v_cndmask_b32_e32 v53, v59, v61, vcc
	v_cndmask_b32_e32 v51, v51, v60, vcc
	v_lshlrev_b32_e32 v46, 24, v46
	v_lshlrev_b32_e32 v51, 20, v51
	v_and_b32_e32 v46, 0x80000000, v46
	v_lshl_add_u32 v53, v53, 23, v45
	v_or3_b32 v51, v46, v53, v51
.LBB628_421:                            ;   in Loop: Header=BB628_213 Depth=1
	s_or_b64 exec, exec, s[16:17]
.LBB628_422:                            ;   in Loop: Header=BB628_213 Depth=1
	s_or_b64 exec, exec, s[14:15]
.LBB628_423:                            ;   in Loop: Header=BB628_213 Depth=1
	s_or_b64 exec, exec, s[12:13]
	v_cmp_lt_u32_e32 vcc, s20, v44
	v_mov_b32_e32 v53, 0
	v_mov_b32_e32 v59, 0
	s_and_saveexec_b64 s[12:13], vcc
	s_cbranch_execz .LBB628_429
; %bb.424:                              ;   in Loop: Header=BB628_213 Depth=1
	v_lshrrev_b32_e32 v46, 24, v44
	v_cmp_ne_u32_e32 vcc, s9, v46
	v_bfrev_b32_e32 v59, 1
	s_and_saveexec_b64 s[14:15], vcc
	s_cbranch_execz .LBB628_428
; %bb.425:                              ;   in Loop: Header=BB628_213 Depth=1
	v_bfe_u32 v44, v44, 24, 7
	v_cmp_ne_u32_e32 vcc, s19, v44
	v_mov_b32_e32 v59, 0x7f800001
	s_and_saveexec_b64 s[16:17], vcc
	s_cbranch_execz .LBB628_427
; %bb.426:                              ;   in Loop: Header=BB628_213 Depth=1
	v_and_b32_e32 v59, 7, v46
	v_ffbh_u32_e32 v60, v59
	v_min_u32_e32 v63, 32, v60
	v_subrev_u32_e32 v60, 28, v63
	v_lshlrev_b64 v[60:61], v60, v[46:47]
	v_lshrrev_b32_e32 v62, 3, v44
	v_sub_u32_e32 v61, 29, v63
	v_and_b32_e32 v60, 7, v60
	v_cmp_gt_u32_e32 vcc, 8, v44
	v_cndmask_b32_e32 v44, v62, v61, vcc
	v_cndmask_b32_e32 v59, v59, v60, vcc
	v_lshlrev_b32_e32 v46, 24, v46
	v_lshlrev_b32_e32 v59, 20, v59
	v_and_b32_e32 v46, 0x80000000, v46
	v_lshl_add_u32 v44, v44, 23, v45
	v_or3_b32 v59, v46, v44, v59
.LBB628_427:                            ;   in Loop: Header=BB628_213 Depth=1
	s_or_b64 exec, exec, s[16:17]
.LBB628_428:                            ;   in Loop: Header=BB628_213 Depth=1
	s_or_b64 exec, exec, s[14:15]
.LBB628_429:                            ;   in Loop: Header=BB628_213 Depth=1
	s_or_b64 exec, exec, s[12:13]
	s_waitcnt vmcnt(2)
	v_cmp_ne_u16_sdwa s[14:15], v42, v43 src0_sel:BYTE_0 src1_sel:DWORD
	s_and_saveexec_b64 s[12:13], s[14:15]
	s_cbranch_execz .LBB628_435
; %bb.430:                              ;   in Loop: Header=BB628_213 Depth=1
	v_cmp_ne_u16_sdwa s[16:17], v42, s9 src0_sel:BYTE_0 src1_sel:DWORD
	v_bfrev_b32_e32 v53, 1
	s_and_saveexec_b64 s[14:15], s[16:17]
	s_cbranch_execz .LBB628_434
; %bb.431:                              ;   in Loop: Header=BB628_213 Depth=1
	v_and_b32_e32 v44, 0x7f, v42
	v_cmp_ne_u32_e32 vcc, s19, v44
	v_mov_b32_e32 v53, 0x7f800001
	s_and_saveexec_b64 s[16:17], vcc
	s_cbranch_execz .LBB628_433
; %bb.432:                              ;   in Loop: Header=BB628_213 Depth=1
	v_and_b32_e32 v46, 7, v42
	v_ffbh_u32_e32 v60, v46
	v_min_u32_e32 v62, 32, v60
	v_subrev_u32_e32 v60, 28, v62
	v_lshlrev_b64 v[60:61], v60, v[42:43]
	v_lshrrev_b32_e32 v53, 3, v44
	v_sub_u32_e32 v61, 29, v62
	v_and_b32_e32 v60, 7, v60
	v_cmp_gt_u32_e32 vcc, 8, v44
	v_cndmask_b32_e32 v44, v53, v61, vcc
	v_cndmask_b32_e32 v46, v46, v60, vcc
	v_lshlrev_b32_e32 v53, 24, v42
	v_lshlrev_b32_e32 v46, 20, v46
	v_and_b32_e32 v53, 0x80000000, v53
	v_lshl_add_u32 v44, v44, 23, v45
	v_or3_b32 v53, v53, v44, v46
.LBB628_433:                            ;   in Loop: Header=BB628_213 Depth=1
	s_or_b64 exec, exec, s[16:17]
.LBB628_434:                            ;   in Loop: Header=BB628_213 Depth=1
	s_or_b64 exec, exec, s[14:15]
.LBB628_435:                            ;   in Loop: Header=BB628_213 Depth=1
	s_or_b64 exec, exec, s[12:13]
	v_lshrrev_b16_e32 v44, 8, v42
	v_cmp_ne_u16_e32 vcc, 0, v44
	v_mov_b32_e32 v60, 0
	v_mov_b32_e32 v61, 0
	s_and_saveexec_b64 s[12:13], vcc
	s_cbranch_execz .LBB628_441
; %bb.436:                              ;   in Loop: Header=BB628_213 Depth=1
	v_cmp_ne_u16_e32 vcc, s9, v44
	v_bfrev_b32_e32 v61, 1
	s_and_saveexec_b64 s[14:15], vcc
	s_cbranch_execz .LBB628_440
; %bb.437:                              ;   in Loop: Header=BB628_213 Depth=1
	v_and_b32_e32 v46, 0x7f, v44
	v_cmp_ne_u32_e32 vcc, s19, v46
	v_mov_b32_e32 v61, 0x7f800001
	s_and_saveexec_b64 s[16:17], vcc
	s_cbranch_execz .LBB628_439
; %bb.438:                              ;   in Loop: Header=BB628_213 Depth=1
	v_and_b32_e32 v61, 7, v44
	v_ffbh_u32_e32 v62, v61
	v_min_u32_e32 v65, 32, v62
	v_subrev_u32_e32 v62, 28, v65
	v_lshlrev_b64 v[62:63], v62, v[44:45]
	v_lshrrev_b32_e32 v64, 3, v46
	v_sub_u32_e32 v44, 29, v65
	v_and_b32_e32 v62, 7, v62
	v_cmp_gt_u32_e32 vcc, 8, v46
	v_cndmask_b32_e32 v44, v64, v44, vcc
	v_cndmask_b32_e32 v46, v61, v62, vcc
	v_lshlrev_b32_e32 v61, 16, v42
	v_lshlrev_b32_e32 v46, 20, v46
	v_and_b32_e32 v61, 0x80000000, v61
	v_lshl_add_u32 v44, v44, 23, v45
	v_or3_b32 v61, v61, v44, v46
.LBB628_439:                            ;   in Loop: Header=BB628_213 Depth=1
	s_or_b64 exec, exec, s[16:17]
.LBB628_440:                            ;   in Loop: Header=BB628_213 Depth=1
	s_or_b64 exec, exec, s[14:15]
.LBB628_441:                            ;   in Loop: Header=BB628_213 Depth=1
	s_or_b64 exec, exec, s[12:13]
	v_lshrrev_b32_e32 v44, 16, v42
	v_cmp_ne_u16_sdwa s[14:15], v44, v43 src0_sel:BYTE_0 src1_sel:DWORD
	s_and_saveexec_b64 s[12:13], s[14:15]
	s_cbranch_execz .LBB628_447
; %bb.442:                              ;   in Loop: Header=BB628_213 Depth=1
	v_cmp_ne_u16_sdwa s[16:17], v44, s9 src0_sel:BYTE_0 src1_sel:DWORD
	v_bfrev_b32_e32 v60, 1
	s_and_saveexec_b64 s[14:15], s[16:17]
	s_cbranch_execz .LBB628_446
; %bb.443:                              ;   in Loop: Header=BB628_213 Depth=1
	v_bfe_u32 v46, v42, 16, 7
	v_cmp_ne_u32_e32 vcc, s19, v46
	v_mov_b32_e32 v60, 0x7f800001
	s_and_saveexec_b64 s[16:17], vcc
	s_cbranch_execz .LBB628_445
; %bb.444:                              ;   in Loop: Header=BB628_213 Depth=1
	v_and_b32_e32 v60, 7, v44
	v_ffbh_u32_e32 v62, v60
	v_min_u32_e32 v65, 32, v62
	v_subrev_u32_e32 v62, 28, v65
	v_lshlrev_b64 v[62:63], v62, v[44:45]
	v_lshrrev_b32_e32 v64, 3, v46
	v_sub_u32_e32 v63, 29, v65
	v_and_b32_e32 v62, 7, v62
	v_cmp_gt_u32_e32 vcc, 8, v46
	v_cndmask_b32_e32 v46, v64, v63, vcc
	v_cndmask_b32_e32 v60, v60, v62, vcc
	v_lshlrev_b32_e32 v44, 24, v44
	v_lshlrev_b32_e32 v60, 20, v60
	v_and_b32_e32 v44, 0x80000000, v44
	v_lshl_add_u32 v46, v46, 23, v45
	v_or3_b32 v60, v44, v46, v60
.LBB628_445:                            ;   in Loop: Header=BB628_213 Depth=1
	s_or_b64 exec, exec, s[16:17]
.LBB628_446:                            ;   in Loop: Header=BB628_213 Depth=1
	s_or_b64 exec, exec, s[14:15]
.LBB628_447:                            ;   in Loop: Header=BB628_213 Depth=1
	s_or_b64 exec, exec, s[12:13]
	v_cmp_lt_u32_e32 vcc, s20, v42
	v_mov_b32_e32 v46, 0
	v_mov_b32_e32 v62, 0
	s_and_saveexec_b64 s[12:13], vcc
	s_cbranch_execz .LBB628_453
; %bb.448:                              ;   in Loop: Header=BB628_213 Depth=1
	v_lshrrev_b32_e32 v44, 24, v42
	v_cmp_ne_u32_e32 vcc, s9, v44
	v_bfrev_b32_e32 v62, 1
	s_and_saveexec_b64 s[14:15], vcc
	s_cbranch_execz .LBB628_452
; %bb.449:                              ;   in Loop: Header=BB628_213 Depth=1
	v_bfe_u32 v42, v42, 24, 7
	v_cmp_ne_u32_e32 vcc, s19, v42
	v_mov_b32_e32 v62, 0x7f800001
	s_and_saveexec_b64 s[16:17], vcc
	s_cbranch_execz .LBB628_451
; %bb.450:                              ;   in Loop: Header=BB628_213 Depth=1
	v_and_b32_e32 v64, 7, v44
	v_ffbh_u32_e32 v62, v64
	v_min_u32_e32 v66, 32, v62
	v_subrev_u32_e32 v62, 28, v66
	v_lshlrev_b64 v[62:63], v62, v[44:45]
	v_lshrrev_b32_e32 v65, 3, v42
	v_sub_u32_e32 v63, 29, v66
	v_and_b32_e32 v62, 7, v62
	v_cmp_gt_u32_e32 vcc, 8, v42
	v_cndmask_b32_e32 v42, v65, v63, vcc
	v_cndmask_b32_e32 v62, v64, v62, vcc
	v_lshlrev_b32_e32 v44, 24, v44
	v_lshlrev_b32_e32 v62, 20, v62
	v_and_b32_e32 v44, 0x80000000, v44
	v_lshl_add_u32 v42, v42, 23, v45
	v_or3_b32 v62, v44, v42, v62
.LBB628_451:                            ;   in Loop: Header=BB628_213 Depth=1
	s_or_b64 exec, exec, s[16:17]
.LBB628_452:                            ;   in Loop: Header=BB628_213 Depth=1
	s_or_b64 exec, exec, s[14:15]
.LBB628_453:                            ;   in Loop: Header=BB628_213 Depth=1
	s_or_b64 exec, exec, s[12:13]
	v_cvt_pkrtz_f16_f32 v50, v50, v52
	v_cvt_pkrtz_f16_f32 v51, v51, v59
	s_waitcnt vmcnt(1)
	v_cmp_ne_u16_sdwa s[14:15], v40, v43 src0_sel:BYTE_0 src1_sel:DWORD
	v_mfma_f32_16x16x16f16 v[34:37], v[50:51], v[18:19], v[34:37]
	v_cvt_pkrtz_f16_f32 v50, v53, v61
	v_cvt_pkrtz_f16_f32 v51, v60, v62
	s_nop 1
	v_mfma_f32_16x16x16f16 v[34:37], v[50:51], v[20:21], v[34:37]
	s_and_saveexec_b64 s[12:13], s[14:15]
	s_cbranch_execz .LBB628_459
; %bb.454:                              ;   in Loop: Header=BB628_213 Depth=1
	v_cmp_ne_u16_sdwa s[16:17], v40, s9 src0_sel:BYTE_0 src1_sel:DWORD
	v_bfrev_b32_e32 v46, 1
	s_and_saveexec_b64 s[14:15], s[16:17]
	s_cbranch_execz .LBB628_458
; %bb.455:                              ;   in Loop: Header=BB628_213 Depth=1
	v_and_b32_e32 v42, 0x7f, v40
	v_cmp_ne_u32_e32 vcc, s19, v42
	v_mov_b32_e32 v46, 0x7f800001
	s_and_saveexec_b64 s[16:17], vcc
	s_cbranch_execz .LBB628_457
; %bb.456:                              ;   in Loop: Header=BB628_213 Depth=1
	v_and_b32_e32 v44, 7, v40
	v_ffbh_u32_e32 v50, v44
	v_min_u32_e32 v52, 32, v50
	v_subrev_u32_e32 v50, 28, v52
	v_lshlrev_b64 v[50:51], v50, v[40:41]
	v_lshrrev_b32_e32 v46, 3, v42
	v_sub_u32_e32 v51, 29, v52
	v_and_b32_e32 v50, 7, v50
	v_cmp_gt_u32_e32 vcc, 8, v42
	v_cndmask_b32_e32 v42, v46, v51, vcc
	v_cndmask_b32_e32 v44, v44, v50, vcc
	v_lshlrev_b32_e32 v46, 24, v40
	v_lshlrev_b32_e32 v44, 20, v44
	v_and_b32_e32 v46, 0x80000000, v46
	v_lshl_add_u32 v42, v42, 23, v45
	v_or3_b32 v46, v46, v42, v44
.LBB628_457:                            ;   in Loop: Header=BB628_213 Depth=1
	s_or_b64 exec, exec, s[16:17]
.LBB628_458:                            ;   in Loop: Header=BB628_213 Depth=1
	s_or_b64 exec, exec, s[14:15]
.LBB628_459:                            ;   in Loop: Header=BB628_213 Depth=1
	s_or_b64 exec, exec, s[12:13]
	v_lshrrev_b16_e32 v42, 8, v40
	v_cmp_ne_u16_e32 vcc, 0, v42
	v_mov_b32_e32 v44, 0
	v_mov_b32_e32 v51, 0
	s_and_saveexec_b64 s[12:13], vcc
	s_cbranch_execz .LBB628_465
; %bb.460:                              ;   in Loop: Header=BB628_213 Depth=1
	v_cmp_ne_u16_e32 vcc, s9, v42
	v_bfrev_b32_e32 v51, 1
	s_and_saveexec_b64 s[14:15], vcc
	s_cbranch_execz .LBB628_464
; %bb.461:                              ;   in Loop: Header=BB628_213 Depth=1
	v_and_b32_e32 v50, 0x7f, v42
	v_cmp_ne_u32_e32 vcc, s19, v50
	v_mov_b32_e32 v51, 0x7f800001
	s_and_saveexec_b64 s[16:17], vcc
	s_cbranch_execz .LBB628_463
; %bb.462:                              ;   in Loop: Header=BB628_213 Depth=1
	v_and_b32_e32 v51, 7, v42
	v_ffbh_u32_e32 v52, v51
	v_min_u32_e32 v60, 32, v52
	v_subrev_u32_e32 v52, 28, v60
	v_lshlrev_b64 v[52:53], v52, v[42:43]
	v_lshrrev_b32_e32 v59, 3, v50
	v_sub_u32_e32 v42, 29, v60
	v_and_b32_e32 v52, 7, v52
	v_cmp_gt_u32_e32 vcc, 8, v50
	v_cndmask_b32_e32 v42, v59, v42, vcc
	v_cndmask_b32_e32 v50, v51, v52, vcc
	v_lshlrev_b32_e32 v51, 16, v40
	v_lshlrev_b32_e32 v50, 20, v50
	v_and_b32_e32 v51, 0x80000000, v51
	v_lshl_add_u32 v42, v42, 23, v45
	v_or3_b32 v51, v51, v42, v50
.LBB628_463:                            ;   in Loop: Header=BB628_213 Depth=1
	s_or_b64 exec, exec, s[16:17]
.LBB628_464:                            ;   in Loop: Header=BB628_213 Depth=1
	s_or_b64 exec, exec, s[14:15]
.LBB628_465:                            ;   in Loop: Header=BB628_213 Depth=1
	s_or_b64 exec, exec, s[12:13]
	v_lshrrev_b32_e32 v42, 16, v40
	v_cmp_ne_u16_sdwa s[14:15], v42, v43 src0_sel:BYTE_0 src1_sel:DWORD
	s_and_saveexec_b64 s[12:13], s[14:15]
	s_cbranch_execz .LBB628_471
; %bb.466:                              ;   in Loop: Header=BB628_213 Depth=1
	v_cmp_ne_u16_sdwa s[16:17], v42, s9 src0_sel:BYTE_0 src1_sel:DWORD
	v_bfrev_b32_e32 v44, 1
	s_and_saveexec_b64 s[14:15], s[16:17]
	s_cbranch_execz .LBB628_470
; %bb.467:                              ;   in Loop: Header=BB628_213 Depth=1
	v_bfe_u32 v50, v40, 16, 7
	v_cmp_ne_u32_e32 vcc, s19, v50
	v_mov_b32_e32 v44, 0x7f800001
	s_and_saveexec_b64 s[16:17], vcc
	s_cbranch_execz .LBB628_469
; %bb.468:                              ;   in Loop: Header=BB628_213 Depth=1
	v_and_b32_e32 v44, 7, v42
	v_ffbh_u32_e32 v52, v44
	v_min_u32_e32 v60, 32, v52
	v_subrev_u32_e32 v52, 28, v60
	v_lshlrev_b64 v[52:53], v52, v[42:43]
	v_lshrrev_b32_e32 v59, 3, v50
	v_sub_u32_e32 v53, 29, v60
	v_and_b32_e32 v52, 7, v52
	v_cmp_gt_u32_e32 vcc, 8, v50
	v_cndmask_b32_e32 v50, v59, v53, vcc
	v_cndmask_b32_e32 v44, v44, v52, vcc
	v_lshlrev_b32_e32 v42, 24, v42
	v_lshlrev_b32_e32 v44, 20, v44
	v_and_b32_e32 v42, 0x80000000, v42
	v_lshl_add_u32 v50, v50, 23, v45
	v_or3_b32 v44, v42, v50, v44
.LBB628_469:                            ;   in Loop: Header=BB628_213 Depth=1
	s_or_b64 exec, exec, s[16:17]
.LBB628_470:                            ;   in Loop: Header=BB628_213 Depth=1
	s_or_b64 exec, exec, s[14:15]
.LBB628_471:                            ;   in Loop: Header=BB628_213 Depth=1
	s_or_b64 exec, exec, s[12:13]
	v_cmp_lt_u32_e32 vcc, s20, v40
	v_mov_b32_e32 v52, 0
	v_mov_b32_e32 v53, 0
	s_and_saveexec_b64 s[12:13], vcc
	s_cbranch_execz .LBB628_477
; %bb.472:                              ;   in Loop: Header=BB628_213 Depth=1
	v_lshrrev_b32_e32 v42, 24, v40
	v_cmp_ne_u32_e32 vcc, s9, v42
	v_bfrev_b32_e32 v53, 1
	s_and_saveexec_b64 s[14:15], vcc
	s_cbranch_execz .LBB628_476
; %bb.473:                              ;   in Loop: Header=BB628_213 Depth=1
	v_bfe_u32 v40, v40, 24, 7
	v_cmp_ne_u32_e32 vcc, s19, v40
	v_mov_b32_e32 v53, 0x7f800001
	s_and_saveexec_b64 s[16:17], vcc
	s_cbranch_execz .LBB628_475
; %bb.474:                              ;   in Loop: Header=BB628_213 Depth=1
	v_and_b32_e32 v50, 7, v42
	v_ffbh_u32_e32 v59, v50
	v_min_u32_e32 v59, 32, v59
	v_subrev_u32_e32 v60, 28, v59
	v_lshlrev_b64 v[60:61], v60, v[42:43]
	v_lshrrev_b32_e32 v53, 3, v40
	v_sub_u32_e32 v59, 29, v59
	v_and_b32_e32 v60, 7, v60
	v_cmp_gt_u32_e32 vcc, 8, v40
	v_cndmask_b32_e32 v40, v53, v59, vcc
	v_cndmask_b32_e32 v50, v50, v60, vcc
	v_lshlrev_b32_e32 v42, 24, v42
	v_lshlrev_b32_e32 v50, 20, v50
	v_and_b32_e32 v42, 0x80000000, v42
	v_lshl_add_u32 v40, v40, 23, v45
	v_or3_b32 v53, v42, v40, v50
.LBB628_475:                            ;   in Loop: Header=BB628_213 Depth=1
	s_or_b64 exec, exec, s[16:17]
.LBB628_476:                            ;   in Loop: Header=BB628_213 Depth=1
	s_or_b64 exec, exec, s[14:15]
.LBB628_477:                            ;   in Loop: Header=BB628_213 Depth=1
	s_or_b64 exec, exec, s[12:13]
	s_waitcnt vmcnt(0)
	v_cmp_ne_u16_sdwa s[14:15], v38, v43 src0_sel:BYTE_0 src1_sel:DWORD
	s_and_saveexec_b64 s[12:13], s[14:15]
	s_cbranch_execz .LBB628_483
; %bb.478:                              ;   in Loop: Header=BB628_213 Depth=1
	v_cmp_ne_u16_sdwa s[16:17], v38, s9 src0_sel:BYTE_0 src1_sel:DWORD
	v_bfrev_b32_e32 v52, 1
	s_and_saveexec_b64 s[14:15], s[16:17]
	s_cbranch_execz .LBB628_482
; %bb.479:                              ;   in Loop: Header=BB628_213 Depth=1
	v_and_b32_e32 v40, 0x7f, v38
	v_cmp_ne_u32_e32 vcc, s19, v40
	v_mov_b32_e32 v52, 0x7f800001
	s_and_saveexec_b64 s[16:17], vcc
	s_cbranch_execz .LBB628_481
; %bb.480:                              ;   in Loop: Header=BB628_213 Depth=1
	v_and_b32_e32 v42, 7, v38
	v_ffbh_u32_e32 v52, v42
	v_min_u32_e32 v52, 32, v52
	v_subrev_u32_e32 v59, 28, v52
	v_lshlrev_b64 v[60:61], v59, v[38:39]
	v_lshrrev_b32_e32 v50, 3, v40
	v_sub_u32_e32 v52, 29, v52
	v_and_b32_e32 v59, 7, v60
	v_cmp_gt_u32_e32 vcc, 8, v40
	v_cndmask_b32_e32 v40, v50, v52, vcc
	v_cndmask_b32_e32 v42, v42, v59, vcc
	v_lshlrev_b32_e32 v50, 24, v38
	v_lshlrev_b32_e32 v42, 20, v42
	v_and_b32_e32 v50, 0x80000000, v50
	v_lshl_add_u32 v40, v40, 23, v45
	v_or3_b32 v52, v50, v40, v42
.LBB628_481:                            ;   in Loop: Header=BB628_213 Depth=1
	s_or_b64 exec, exec, s[16:17]
.LBB628_482:                            ;   in Loop: Header=BB628_213 Depth=1
	s_or_b64 exec, exec, s[14:15]
.LBB628_483:                            ;   in Loop: Header=BB628_213 Depth=1
	s_or_b64 exec, exec, s[12:13]
	v_lshrrev_b16_e32 v40, 8, v38
	v_cmp_ne_u16_e32 vcc, 0, v40
	v_mov_b32_e32 v59, 0
	v_mov_b32_e32 v60, 0
	s_and_saveexec_b64 s[12:13], vcc
	s_cbranch_execz .LBB628_489
; %bb.484:                              ;   in Loop: Header=BB628_213 Depth=1
	v_cmp_ne_u16_e32 vcc, s9, v40
	v_bfrev_b32_e32 v60, 1
	s_and_saveexec_b64 s[14:15], vcc
	s_cbranch_execz .LBB628_488
; %bb.485:                              ;   in Loop: Header=BB628_213 Depth=1
	v_and_b32_e32 v42, 0x7f, v40
	v_cmp_ne_u32_e32 vcc, s19, v42
	v_mov_b32_e32 v60, 0x7f800001
	s_and_saveexec_b64 s[16:17], vcc
	s_cbranch_execz .LBB628_487
; %bb.486:                              ;   in Loop: Header=BB628_213 Depth=1
	v_and_b32_e32 v50, 7, v40
	v_ffbh_u32_e32 v60, v50
	v_min_u32_e32 v63, 32, v60
	v_subrev_u32_e32 v60, 28, v63
	v_lshlrev_b64 v[60:61], v60, v[40:41]
	v_lshrrev_b32_e32 v62, 3, v42
	v_sub_u32_e32 v40, 29, v63
	v_and_b32_e32 v60, 7, v60
	v_cmp_gt_u32_e32 vcc, 8, v42
	v_cndmask_b32_e32 v40, v62, v40, vcc
	v_cndmask_b32_e32 v42, v50, v60, vcc
	v_lshlrev_b32_e32 v50, 16, v38
	v_lshlrev_b32_e32 v42, 20, v42
	v_and_b32_e32 v50, 0x80000000, v50
	v_lshl_add_u32 v40, v40, 23, v45
	v_or3_b32 v60, v50, v40, v42
.LBB628_487:                            ;   in Loop: Header=BB628_213 Depth=1
	s_or_b64 exec, exec, s[16:17]
.LBB628_488:                            ;   in Loop: Header=BB628_213 Depth=1
	s_or_b64 exec, exec, s[14:15]
.LBB628_489:                            ;   in Loop: Header=BB628_213 Depth=1
	s_or_b64 exec, exec, s[12:13]
	v_lshrrev_b32_e32 v40, 16, v38
	v_cmp_ne_u16_sdwa s[14:15], v40, v43 src0_sel:BYTE_0 src1_sel:DWORD
	s_and_saveexec_b64 s[12:13], s[14:15]
	s_cbranch_execz .LBB628_495
; %bb.490:                              ;   in Loop: Header=BB628_213 Depth=1
	v_cmp_ne_u16_sdwa s[16:17], v40, s9 src0_sel:BYTE_0 src1_sel:DWORD
	v_bfrev_b32_e32 v59, 1
	s_and_saveexec_b64 s[14:15], s[16:17]
	s_cbranch_execz .LBB628_494
; %bb.491:                              ;   in Loop: Header=BB628_213 Depth=1
	v_bfe_u32 v42, v38, 16, 7
	v_cmp_ne_u32_e32 vcc, s19, v42
	v_mov_b32_e32 v59, 0x7f800001
	s_and_saveexec_b64 s[16:17], vcc
	s_cbranch_execz .LBB628_493
; %bb.492:                              ;   in Loop: Header=BB628_213 Depth=1
	v_and_b32_e32 v50, 7, v40
	v_ffbh_u32_e32 v61, v50
	v_min_u32_e32 v61, 32, v61
	v_subrev_u32_e32 v62, 28, v61
	v_lshlrev_b64 v[62:63], v62, v[40:41]
	v_lshrrev_b32_e32 v59, 3, v42
	v_sub_u32_e32 v61, 29, v61
	v_and_b32_e32 v62, 7, v62
	v_cmp_gt_u32_e32 vcc, 8, v42
	v_cndmask_b32_e32 v42, v59, v61, vcc
	v_cndmask_b32_e32 v50, v50, v62, vcc
	v_lshlrev_b32_e32 v40, 24, v40
	v_lshlrev_b32_e32 v50, 20, v50
	v_and_b32_e32 v40, 0x80000000, v40
	v_lshl_add_u32 v42, v42, 23, v45
	v_or3_b32 v59, v40, v42, v50
.LBB628_493:                            ;   in Loop: Header=BB628_213 Depth=1
	s_or_b64 exec, exec, s[16:17]
.LBB628_494:                            ;   in Loop: Header=BB628_213 Depth=1
	s_or_b64 exec, exec, s[14:15]
.LBB628_495:                            ;   in Loop: Header=BB628_213 Depth=1
	s_or_b64 exec, exec, s[12:13]
	v_cmp_lt_u32_e32 vcc, s20, v38
	v_mov_b32_e32 v50, 0
	v_mov_b32_e32 v61, 0
	s_and_saveexec_b64 s[12:13], vcc
	s_cbranch_execz .LBB628_501
; %bb.496:                              ;   in Loop: Header=BB628_213 Depth=1
	v_lshrrev_b32_e32 v40, 24, v38
	v_cmp_ne_u32_e32 vcc, s9, v40
	v_bfrev_b32_e32 v61, 1
	s_and_saveexec_b64 s[14:15], vcc
	s_cbranch_execz .LBB628_500
; %bb.497:                              ;   in Loop: Header=BB628_213 Depth=1
	v_bfe_u32 v38, v38, 24, 7
	v_cmp_ne_u32_e32 vcc, s19, v38
	v_mov_b32_e32 v61, 0x7f800001
	s_and_saveexec_b64 s[16:17], vcc
	s_cbranch_execz .LBB628_499
; %bb.498:                              ;   in Loop: Header=BB628_213 Depth=1
	v_and_b32_e32 v42, 7, v40
	v_ffbh_u32_e32 v62, v42
	v_min_u32_e32 v64, 32, v62
	v_subrev_u32_e32 v62, 28, v64
	v_lshlrev_b64 v[62:63], v62, v[40:41]
	v_lshrrev_b32_e32 v61, 3, v38
	v_sub_u32_e32 v63, 29, v64
	v_and_b32_e32 v62, 7, v62
	v_cmp_gt_u32_e32 vcc, 8, v38
	v_cndmask_b32_e32 v38, v61, v63, vcc
	v_cndmask_b32_e32 v42, v42, v62, vcc
	v_lshlrev_b32_e32 v40, 24, v40
	v_lshlrev_b32_e32 v42, 20, v42
	v_and_b32_e32 v40, 0x80000000, v40
	v_lshl_add_u32 v38, v38, 23, v45
	v_or3_b32 v61, v40, v38, v42
.LBB628_499:                            ;   in Loop: Header=BB628_213 Depth=1
	s_or_b64 exec, exec, s[16:17]
.LBB628_500:                            ;   in Loop: Header=BB628_213 Depth=1
	s_or_b64 exec, exec, s[14:15]
.LBB628_501:                            ;   in Loop: Header=BB628_213 Depth=1
	s_or_b64 exec, exec, s[12:13]
	v_cvt_pkrtz_f16_f32 v63, v44, v53
	buffer_load_dword v44, v58, s[0:3], 0 offen
	buffer_load_dword v42, v58, s[0:3], 0 offen offset:4
	buffer_load_dword v40, v58, s[0:3], 0 offen offset:8
	;; [unrolled: 1-line block ×3, first 2 shown]
	v_cvt_pkrtz_f16_f32 v62, v46, v51
	v_cvt_pkrtz_f16_f32 v52, v52, v60
	;; [unrolled: 1-line block ×3, first 2 shown]
	v_mfma_f32_16x16x16f16 v[34:37], v[62:63], v[22:23], v[34:37]
	s_waitcnt vmcnt(3)
	v_cmp_ne_u16_sdwa s[14:15], v44, v43 src0_sel:BYTE_0 src1_sel:DWORD
	v_mfma_f32_16x16x16f16 v[34:37], v[52:53], v[24:25], v[34:37]
	s_and_saveexec_b64 s[12:13], s[14:15]
	s_cbranch_execz .LBB628_507
; %bb.502:                              ;   in Loop: Header=BB628_213 Depth=1
	v_cmp_ne_u16_sdwa s[16:17], v44, s9 src0_sel:BYTE_0 src1_sel:DWORD
	v_bfrev_b32_e32 v50, 1
	s_and_saveexec_b64 s[14:15], s[16:17]
	s_cbranch_execz .LBB628_506
; %bb.503:                              ;   in Loop: Header=BB628_213 Depth=1
	v_and_b32_e32 v46, 0x7f, v44
	v_cmp_ne_u32_e32 vcc, s19, v46
	v_mov_b32_e32 v50, 0x7f800001
	s_and_saveexec_b64 s[16:17], vcc
	s_cbranch_execz .LBB628_505
; %bb.504:                              ;   in Loop: Header=BB628_213 Depth=1
	v_and_b32_e32 v52, 7, v44
	v_ffbh_u32_e32 v50, v52
	v_min_u32_e32 v58, 32, v50
	v_subrev_u32_e32 v50, 28, v58
	v_lshlrev_b64 v[50:51], v50, v[44:45]
	v_lshrrev_b32_e32 v53, 3, v46
	v_sub_u32_e32 v51, 29, v58
	v_and_b32_e32 v50, 7, v50
	v_cmp_gt_u32_e32 vcc, 8, v46
	v_cndmask_b32_e32 v46, v53, v51, vcc
	v_cndmask_b32_e32 v50, v52, v50, vcc
	v_lshlrev_b32_e32 v51, 24, v44
	v_lshlrev_b32_e32 v50, 20, v50
	v_and_b32_e32 v51, 0x80000000, v51
	v_lshl_add_u32 v46, v46, 23, v45
	v_or3_b32 v50, v51, v46, v50
.LBB628_505:                            ;   in Loop: Header=BB628_213 Depth=1
	s_or_b64 exec, exec, s[16:17]
.LBB628_506:                            ;   in Loop: Header=BB628_213 Depth=1
	s_or_b64 exec, exec, s[14:15]
.LBB628_507:                            ;   in Loop: Header=BB628_213 Depth=1
	s_or_b64 exec, exec, s[12:13]
	v_lshrrev_b16_e32 v46, 8, v44
	v_cmp_ne_u16_e32 vcc, 0, v46
	v_mov_b32_e32 v51, 0
	v_mov_b32_e32 v52, 0
	s_and_saveexec_b64 s[12:13], vcc
	s_cbranch_execz .LBB628_513
; %bb.508:                              ;   in Loop: Header=BB628_213 Depth=1
	v_cmp_ne_u16_e32 vcc, s9, v46
	v_bfrev_b32_e32 v52, 1
	s_and_saveexec_b64 s[14:15], vcc
	s_cbranch_execz .LBB628_512
; %bb.509:                              ;   in Loop: Header=BB628_213 Depth=1
	v_and_b32_e32 v53, 0x7f, v46
	v_cmp_ne_u32_e32 vcc, s19, v53
	v_mov_b32_e32 v52, 0x7f800001
	s_and_saveexec_b64 s[16:17], vcc
	s_cbranch_execz .LBB628_511
; %bb.510:                              ;   in Loop: Header=BB628_213 Depth=1
	v_and_b32_e32 v52, 7, v46
	v_ffbh_u32_e32 v58, v52
	v_min_u32_e32 v61, 32, v58
	v_subrev_u32_e32 v58, 28, v61
	v_lshlrev_b64 v[58:59], v58, v[46:47]
	v_lshrrev_b32_e32 v60, 3, v53
	v_sub_u32_e32 v46, 29, v61
	v_and_b32_e32 v58, 7, v58
	v_cmp_gt_u32_e32 vcc, 8, v53
	v_cndmask_b32_e32 v46, v60, v46, vcc
	v_cndmask_b32_e32 v52, v52, v58, vcc
	v_lshlrev_b32_e32 v53, 16, v44
	v_lshlrev_b32_e32 v52, 20, v52
	v_and_b32_e32 v53, 0x80000000, v53
	v_lshl_add_u32 v46, v46, 23, v45
	v_or3_b32 v52, v53, v46, v52
.LBB628_511:                            ;   in Loop: Header=BB628_213 Depth=1
	s_or_b64 exec, exec, s[16:17]
.LBB628_512:                            ;   in Loop: Header=BB628_213 Depth=1
	s_or_b64 exec, exec, s[14:15]
.LBB628_513:                            ;   in Loop: Header=BB628_213 Depth=1
	s_or_b64 exec, exec, s[12:13]
	v_lshrrev_b32_e32 v46, 16, v44
	v_cmp_ne_u16_sdwa s[14:15], v46, v43 src0_sel:BYTE_0 src1_sel:DWORD
	s_and_saveexec_b64 s[12:13], s[14:15]
	s_cbranch_execz .LBB628_519
; %bb.514:                              ;   in Loop: Header=BB628_213 Depth=1
	v_cmp_ne_u16_sdwa s[16:17], v46, s9 src0_sel:BYTE_0 src1_sel:DWORD
	v_bfrev_b32_e32 v51, 1
	s_and_saveexec_b64 s[14:15], s[16:17]
	s_cbranch_execz .LBB628_518
; %bb.515:                              ;   in Loop: Header=BB628_213 Depth=1
	v_bfe_u32 v53, v44, 16, 7
	v_cmp_ne_u32_e32 vcc, s19, v53
	v_mov_b32_e32 v51, 0x7f800001
	s_and_saveexec_b64 s[16:17], vcc
	s_cbranch_execz .LBB628_517
; %bb.516:                              ;   in Loop: Header=BB628_213 Depth=1
	v_and_b32_e32 v51, 7, v46
	v_ffbh_u32_e32 v58, v51
	v_min_u32_e32 v61, 32, v58
	v_subrev_u32_e32 v58, 28, v61
	v_lshlrev_b64 v[58:59], v58, v[46:47]
	v_lshrrev_b32_e32 v60, 3, v53
	v_sub_u32_e32 v59, 29, v61
	v_and_b32_e32 v58, 7, v58
	v_cmp_gt_u32_e32 vcc, 8, v53
	v_cndmask_b32_e32 v53, v60, v59, vcc
	v_cndmask_b32_e32 v51, v51, v58, vcc
	v_lshlrev_b32_e32 v46, 24, v46
	v_lshlrev_b32_e32 v51, 20, v51
	v_and_b32_e32 v46, 0x80000000, v46
	v_lshl_add_u32 v53, v53, 23, v45
	v_or3_b32 v51, v46, v53, v51
.LBB628_517:                            ;   in Loop: Header=BB628_213 Depth=1
	s_or_b64 exec, exec, s[16:17]
.LBB628_518:                            ;   in Loop: Header=BB628_213 Depth=1
	s_or_b64 exec, exec, s[14:15]
.LBB628_519:                            ;   in Loop: Header=BB628_213 Depth=1
	s_or_b64 exec, exec, s[12:13]
	v_cmp_lt_u32_e32 vcc, s20, v44
	v_mov_b32_e32 v53, 0
	v_mov_b32_e32 v58, 0
	s_and_saveexec_b64 s[12:13], vcc
	s_cbranch_execz .LBB628_525
; %bb.520:                              ;   in Loop: Header=BB628_213 Depth=1
	v_lshrrev_b32_e32 v46, 24, v44
	v_cmp_ne_u32_e32 vcc, s9, v46
	v_bfrev_b32_e32 v58, 1
	s_and_saveexec_b64 s[14:15], vcc
	s_cbranch_execz .LBB628_524
; %bb.521:                              ;   in Loop: Header=BB628_213 Depth=1
	v_bfe_u32 v44, v44, 24, 7
	v_cmp_ne_u32_e32 vcc, s19, v44
	v_mov_b32_e32 v58, 0x7f800001
	s_and_saveexec_b64 s[16:17], vcc
	s_cbranch_execz .LBB628_523
; %bb.522:                              ;   in Loop: Header=BB628_213 Depth=1
	v_and_b32_e32 v60, 7, v46
	v_ffbh_u32_e32 v58, v60
	v_min_u32_e32 v62, 32, v58
	v_subrev_u32_e32 v58, 28, v62
	v_lshlrev_b64 v[58:59], v58, v[46:47]
	v_lshrrev_b32_e32 v61, 3, v44
	v_sub_u32_e32 v59, 29, v62
	v_and_b32_e32 v58, 7, v58
	v_cmp_gt_u32_e32 vcc, 8, v44
	v_cndmask_b32_e32 v44, v61, v59, vcc
	v_cndmask_b32_e32 v58, v60, v58, vcc
	v_lshlrev_b32_e32 v46, 24, v46
	v_lshlrev_b32_e32 v58, 20, v58
	v_and_b32_e32 v46, 0x80000000, v46
	v_lshl_add_u32 v44, v44, 23, v45
	v_or3_b32 v58, v46, v44, v58
.LBB628_523:                            ;   in Loop: Header=BB628_213 Depth=1
	s_or_b64 exec, exec, s[16:17]
.LBB628_524:                            ;   in Loop: Header=BB628_213 Depth=1
	s_or_b64 exec, exec, s[14:15]
.LBB628_525:                            ;   in Loop: Header=BB628_213 Depth=1
	s_or_b64 exec, exec, s[12:13]
	s_waitcnt vmcnt(2)
	v_cmp_ne_u16_sdwa s[14:15], v42, v43 src0_sel:BYTE_0 src1_sel:DWORD
	s_and_saveexec_b64 s[12:13], s[14:15]
	s_cbranch_execz .LBB628_531
; %bb.526:                              ;   in Loop: Header=BB628_213 Depth=1
	v_cmp_ne_u16_sdwa s[16:17], v42, s9 src0_sel:BYTE_0 src1_sel:DWORD
	v_bfrev_b32_e32 v53, 1
	s_and_saveexec_b64 s[14:15], s[16:17]
	s_cbranch_execz .LBB628_530
; %bb.527:                              ;   in Loop: Header=BB628_213 Depth=1
	v_and_b32_e32 v44, 0x7f, v42
	v_cmp_ne_u32_e32 vcc, s19, v44
	v_mov_b32_e32 v53, 0x7f800001
	s_and_saveexec_b64 s[16:17], vcc
	s_cbranch_execz .LBB628_529
; %bb.528:                              ;   in Loop: Header=BB628_213 Depth=1
	v_and_b32_e32 v46, 7, v42
	v_ffbh_u32_e32 v59, v46
	v_min_u32_e32 v59, 32, v59
	v_subrev_u32_e32 v60, 28, v59
	v_lshlrev_b64 v[60:61], v60, v[42:43]
	v_lshrrev_b32_e32 v53, 3, v44
	v_sub_u32_e32 v59, 29, v59
	v_and_b32_e32 v60, 7, v60
	v_cmp_gt_u32_e32 vcc, 8, v44
	v_cndmask_b32_e32 v44, v53, v59, vcc
	v_cndmask_b32_e32 v46, v46, v60, vcc
	v_lshlrev_b32_e32 v53, 24, v42
	v_lshlrev_b32_e32 v46, 20, v46
	v_and_b32_e32 v53, 0x80000000, v53
	v_lshl_add_u32 v44, v44, 23, v45
	v_or3_b32 v53, v53, v44, v46
.LBB628_529:                            ;   in Loop: Header=BB628_213 Depth=1
	s_or_b64 exec, exec, s[16:17]
.LBB628_530:                            ;   in Loop: Header=BB628_213 Depth=1
	s_or_b64 exec, exec, s[14:15]
.LBB628_531:                            ;   in Loop: Header=BB628_213 Depth=1
	s_or_b64 exec, exec, s[12:13]
	v_lshrrev_b16_e32 v44, 8, v42
	v_cmp_ne_u16_e32 vcc, 0, v44
	v_mov_b32_e32 v59, 0
	v_mov_b32_e32 v60, 0
	s_and_saveexec_b64 s[12:13], vcc
	s_cbranch_execz .LBB628_537
; %bb.532:                              ;   in Loop: Header=BB628_213 Depth=1
	v_cmp_ne_u16_e32 vcc, s9, v44
	v_bfrev_b32_e32 v60, 1
	s_and_saveexec_b64 s[14:15], vcc
	s_cbranch_execz .LBB628_536
; %bb.533:                              ;   in Loop: Header=BB628_213 Depth=1
	v_and_b32_e32 v46, 0x7f, v44
	v_cmp_ne_u32_e32 vcc, s19, v46
	v_mov_b32_e32 v60, 0x7f800001
	s_and_saveexec_b64 s[16:17], vcc
	s_cbranch_execz .LBB628_535
; %bb.534:                              ;   in Loop: Header=BB628_213 Depth=1
	v_and_b32_e32 v62, 7, v44
	v_ffbh_u32_e32 v60, v62
	v_min_u32_e32 v64, 32, v60
	v_subrev_u32_e32 v60, 28, v64
	v_lshlrev_b64 v[60:61], v60, v[44:45]
	v_lshrrev_b32_e32 v63, 3, v46
	v_sub_u32_e32 v44, 29, v64
	v_and_b32_e32 v60, 7, v60
	v_cmp_gt_u32_e32 vcc, 8, v46
	v_cndmask_b32_e32 v44, v63, v44, vcc
	v_cndmask_b32_e32 v46, v62, v60, vcc
	v_lshlrev_b32_e32 v60, 16, v42
	v_lshlrev_b32_e32 v46, 20, v46
	v_and_b32_e32 v60, 0x80000000, v60
	v_lshl_add_u32 v44, v44, 23, v45
	v_or3_b32 v60, v60, v44, v46
.LBB628_535:                            ;   in Loop: Header=BB628_213 Depth=1
	s_or_b64 exec, exec, s[16:17]
.LBB628_536:                            ;   in Loop: Header=BB628_213 Depth=1
	s_or_b64 exec, exec, s[14:15]
.LBB628_537:                            ;   in Loop: Header=BB628_213 Depth=1
	s_or_b64 exec, exec, s[12:13]
	v_lshrrev_b32_e32 v44, 16, v42
	v_cmp_ne_u16_sdwa s[14:15], v44, v43 src0_sel:BYTE_0 src1_sel:DWORD
	s_and_saveexec_b64 s[12:13], s[14:15]
	s_cbranch_execz .LBB628_543
; %bb.538:                              ;   in Loop: Header=BB628_213 Depth=1
	v_cmp_ne_u16_sdwa s[16:17], v44, s9 src0_sel:BYTE_0 src1_sel:DWORD
	v_bfrev_b32_e32 v59, 1
	s_and_saveexec_b64 s[14:15], s[16:17]
	s_cbranch_execz .LBB628_542
; %bb.539:                              ;   in Loop: Header=BB628_213 Depth=1
	v_bfe_u32 v46, v42, 16, 7
	v_cmp_ne_u32_e32 vcc, s19, v46
	v_mov_b32_e32 v59, 0x7f800001
	s_and_saveexec_b64 s[16:17], vcc
	s_cbranch_execz .LBB628_541
; %bb.540:                              ;   in Loop: Header=BB628_213 Depth=1
	v_and_b32_e32 v59, 7, v44
	v_ffbh_u32_e32 v62, v59
	v_min_u32_e32 v64, 32, v62
	v_subrev_u32_e32 v62, 28, v64
	v_lshlrev_b64 v[62:63], v62, v[44:45]
	v_lshrrev_b32_e32 v61, 3, v46
	v_sub_u32_e32 v63, 29, v64
	v_and_b32_e32 v62, 7, v62
	v_cmp_gt_u32_e32 vcc, 8, v46
	v_cndmask_b32_e32 v46, v61, v63, vcc
	v_cndmask_b32_e32 v59, v59, v62, vcc
	v_lshlrev_b32_e32 v44, 24, v44
	v_lshlrev_b32_e32 v59, 20, v59
	v_and_b32_e32 v44, 0x80000000, v44
	v_lshl_add_u32 v46, v46, 23, v45
	v_or3_b32 v59, v44, v46, v59
.LBB628_541:                            ;   in Loop: Header=BB628_213 Depth=1
	s_or_b64 exec, exec, s[16:17]
.LBB628_542:                            ;   in Loop: Header=BB628_213 Depth=1
	s_or_b64 exec, exec, s[14:15]
.LBB628_543:                            ;   in Loop: Header=BB628_213 Depth=1
	s_or_b64 exec, exec, s[12:13]
	v_cmp_lt_u32_e32 vcc, s20, v42
	v_mov_b32_e32 v46, 0
	v_mov_b32_e32 v61, 0
	s_and_saveexec_b64 s[12:13], vcc
	s_cbranch_execz .LBB628_549
; %bb.544:                              ;   in Loop: Header=BB628_213 Depth=1
	v_lshrrev_b32_e32 v44, 24, v42
	v_cmp_ne_u32_e32 vcc, s9, v44
	v_bfrev_b32_e32 v61, 1
	s_and_saveexec_b64 s[14:15], vcc
	s_cbranch_execz .LBB628_548
; %bb.545:                              ;   in Loop: Header=BB628_213 Depth=1
	v_bfe_u32 v42, v42, 24, 7
	v_cmp_ne_u32_e32 vcc, s19, v42
	v_mov_b32_e32 v61, 0x7f800001
	s_and_saveexec_b64 s[16:17], vcc
	s_cbranch_execz .LBB628_547
; %bb.546:                              ;   in Loop: Header=BB628_213 Depth=1
	v_and_b32_e32 v61, 7, v44
	v_ffbh_u32_e32 v62, v61
	v_min_u32_e32 v65, 32, v62
	v_subrev_u32_e32 v62, 28, v65
	v_lshlrev_b64 v[62:63], v62, v[44:45]
	v_lshrrev_b32_e32 v64, 3, v42
	v_sub_u32_e32 v63, 29, v65
	v_and_b32_e32 v62, 7, v62
	v_cmp_gt_u32_e32 vcc, 8, v42
	v_cndmask_b32_e32 v42, v64, v63, vcc
	v_cndmask_b32_e32 v61, v61, v62, vcc
	v_lshlrev_b32_e32 v44, 24, v44
	v_lshlrev_b32_e32 v61, 20, v61
	v_and_b32_e32 v44, 0x80000000, v44
	v_lshl_add_u32 v42, v42, 23, v45
	v_or3_b32 v61, v44, v42, v61
.LBB628_547:                            ;   in Loop: Header=BB628_213 Depth=1
	s_or_b64 exec, exec, s[16:17]
.LBB628_548:                            ;   in Loop: Header=BB628_213 Depth=1
	s_or_b64 exec, exec, s[14:15]
.LBB628_549:                            ;   in Loop: Header=BB628_213 Depth=1
	s_or_b64 exec, exec, s[12:13]
	v_cvt_pkrtz_f16_f32 v50, v50, v52
	v_cvt_pkrtz_f16_f32 v51, v51, v58
	s_waitcnt vmcnt(1)
	v_cmp_ne_u16_sdwa s[14:15], v40, v43 src0_sel:BYTE_0 src1_sel:DWORD
	v_mfma_f32_16x16x16f16 v[34:37], v[50:51], v[26:27], v[34:37]
	v_cvt_pkrtz_f16_f32 v50, v53, v60
	v_cvt_pkrtz_f16_f32 v51, v59, v61
	s_nop 1
	v_mfma_f32_16x16x16f16 v[34:37], v[50:51], v[28:29], v[34:37]
	s_and_saveexec_b64 s[12:13], s[14:15]
	s_cbranch_execz .LBB628_555
; %bb.550:                              ;   in Loop: Header=BB628_213 Depth=1
	v_cmp_ne_u16_sdwa s[16:17], v40, s9 src0_sel:BYTE_0 src1_sel:DWORD
	v_bfrev_b32_e32 v46, 1
	s_and_saveexec_b64 s[14:15], s[16:17]
	s_cbranch_execz .LBB628_554
; %bb.551:                              ;   in Loop: Header=BB628_213 Depth=1
	v_and_b32_e32 v42, 0x7f, v40
	v_cmp_ne_u32_e32 vcc, s19, v42
	v_mov_b32_e32 v46, 0x7f800001
	s_and_saveexec_b64 s[16:17], vcc
	s_cbranch_execz .LBB628_553
; %bb.552:                              ;   in Loop: Header=BB628_213 Depth=1
	v_and_b32_e32 v44, 7, v40
	v_ffbh_u32_e32 v50, v44
	v_min_u32_e32 v52, 32, v50
	v_subrev_u32_e32 v50, 28, v52
	v_lshlrev_b64 v[50:51], v50, v[40:41]
	v_lshrrev_b32_e32 v46, 3, v42
	v_sub_u32_e32 v51, 29, v52
	v_and_b32_e32 v50, 7, v50
	v_cmp_gt_u32_e32 vcc, 8, v42
	v_cndmask_b32_e32 v42, v46, v51, vcc
	v_cndmask_b32_e32 v44, v44, v50, vcc
	v_lshlrev_b32_e32 v46, 24, v40
	v_lshlrev_b32_e32 v44, 20, v44
	v_and_b32_e32 v46, 0x80000000, v46
	v_lshl_add_u32 v42, v42, 23, v45
	v_or3_b32 v46, v46, v42, v44
.LBB628_553:                            ;   in Loop: Header=BB628_213 Depth=1
	s_or_b64 exec, exec, s[16:17]
.LBB628_554:                            ;   in Loop: Header=BB628_213 Depth=1
	s_or_b64 exec, exec, s[14:15]
.LBB628_555:                            ;   in Loop: Header=BB628_213 Depth=1
	s_or_b64 exec, exec, s[12:13]
	v_lshrrev_b16_e32 v42, 8, v40
	v_cmp_ne_u16_e32 vcc, 0, v42
	v_mov_b32_e32 v44, 0
	v_mov_b32_e32 v50, 0
	s_and_saveexec_b64 s[12:13], vcc
	s_cbranch_execz .LBB628_561
; %bb.556:                              ;   in Loop: Header=BB628_213 Depth=1
	v_cmp_ne_u16_e32 vcc, s9, v42
	v_bfrev_b32_e32 v50, 1
	s_and_saveexec_b64 s[14:15], vcc
	s_cbranch_execz .LBB628_560
; %bb.557:                              ;   in Loop: Header=BB628_213 Depth=1
	v_and_b32_e32 v51, 0x7f, v42
	v_cmp_ne_u32_e32 vcc, s19, v51
	v_mov_b32_e32 v50, 0x7f800001
	s_and_saveexec_b64 s[16:17], vcc
	s_cbranch_execz .LBB628_559
; %bb.558:                              ;   in Loop: Header=BB628_213 Depth=1
	v_and_b32_e32 v50, 7, v42
	v_ffbh_u32_e32 v52, v50
	v_min_u32_e32 v59, 32, v52
	v_subrev_u32_e32 v52, 28, v59
	v_lshlrev_b64 v[52:53], v52, v[42:43]
	v_lshrrev_b32_e32 v58, 3, v51
	v_sub_u32_e32 v42, 29, v59
	v_and_b32_e32 v52, 7, v52
	v_cmp_gt_u32_e32 vcc, 8, v51
	v_cndmask_b32_e32 v42, v58, v42, vcc
	v_cndmask_b32_e32 v50, v50, v52, vcc
	v_lshlrev_b32_e32 v51, 16, v40
	v_lshlrev_b32_e32 v50, 20, v50
	v_and_b32_e32 v51, 0x80000000, v51
	v_lshl_add_u32 v42, v42, 23, v45
	v_or3_b32 v50, v51, v42, v50
.LBB628_559:                            ;   in Loop: Header=BB628_213 Depth=1
	s_or_b64 exec, exec, s[16:17]
.LBB628_560:                            ;   in Loop: Header=BB628_213 Depth=1
	s_or_b64 exec, exec, s[14:15]
.LBB628_561:                            ;   in Loop: Header=BB628_213 Depth=1
	s_or_b64 exec, exec, s[12:13]
	v_lshrrev_b32_e32 v42, 16, v40
	v_cmp_ne_u16_sdwa s[14:15], v42, v43 src0_sel:BYTE_0 src1_sel:DWORD
	s_and_saveexec_b64 s[12:13], s[14:15]
	s_cbranch_execz .LBB628_567
; %bb.562:                              ;   in Loop: Header=BB628_213 Depth=1
	v_cmp_ne_u16_sdwa s[16:17], v42, s9 src0_sel:BYTE_0 src1_sel:DWORD
	v_bfrev_b32_e32 v44, 1
	s_and_saveexec_b64 s[14:15], s[16:17]
	s_cbranch_execz .LBB628_566
; %bb.563:                              ;   in Loop: Header=BB628_213 Depth=1
	v_bfe_u32 v51, v40, 16, 7
	v_cmp_ne_u32_e32 vcc, s19, v51
	v_mov_b32_e32 v44, 0x7f800001
	s_and_saveexec_b64 s[16:17], vcc
	s_cbranch_execz .LBB628_565
; %bb.564:                              ;   in Loop: Header=BB628_213 Depth=1
	v_and_b32_e32 v44, 7, v42
	v_ffbh_u32_e32 v52, v44
	v_min_u32_e32 v59, 32, v52
	v_subrev_u32_e32 v52, 28, v59
	v_lshlrev_b64 v[52:53], v52, v[42:43]
	v_lshrrev_b32_e32 v58, 3, v51
	v_sub_u32_e32 v53, 29, v59
	v_and_b32_e32 v52, 7, v52
	v_cmp_gt_u32_e32 vcc, 8, v51
	v_cndmask_b32_e32 v51, v58, v53, vcc
	v_cndmask_b32_e32 v44, v44, v52, vcc
	v_lshlrev_b32_e32 v42, 24, v42
	v_lshlrev_b32_e32 v44, 20, v44
	v_and_b32_e32 v42, 0x80000000, v42
	v_lshl_add_u32 v51, v51, 23, v45
	v_or3_b32 v44, v42, v51, v44
.LBB628_565:                            ;   in Loop: Header=BB628_213 Depth=1
	s_or_b64 exec, exec, s[16:17]
.LBB628_566:                            ;   in Loop: Header=BB628_213 Depth=1
	s_or_b64 exec, exec, s[14:15]
.LBB628_567:                            ;   in Loop: Header=BB628_213 Depth=1
	s_or_b64 exec, exec, s[12:13]
	v_cmp_lt_u32_e32 vcc, s20, v40
	v_mov_b32_e32 v51, 0
	v_mov_b32_e32 v52, 0
	s_and_saveexec_b64 s[12:13], vcc
	s_cbranch_execz .LBB628_573
; %bb.568:                              ;   in Loop: Header=BB628_213 Depth=1
	v_lshrrev_b32_e32 v42, 24, v40
	v_cmp_ne_u32_e32 vcc, s9, v42
	v_bfrev_b32_e32 v52, 1
	s_and_saveexec_b64 s[14:15], vcc
	s_cbranch_execz .LBB628_572
; %bb.569:                              ;   in Loop: Header=BB628_213 Depth=1
	v_bfe_u32 v40, v40, 24, 7
	v_cmp_ne_u32_e32 vcc, s19, v40
	v_mov_b32_e32 v52, 0x7f800001
	s_and_saveexec_b64 s[16:17], vcc
	s_cbranch_execz .LBB628_571
; %bb.570:                              ;   in Loop: Header=BB628_213 Depth=1
	v_and_b32_e32 v58, 7, v42
	v_ffbh_u32_e32 v52, v58
	v_min_u32_e32 v60, 32, v52
	v_subrev_u32_e32 v52, 28, v60
	v_lshlrev_b64 v[52:53], v52, v[42:43]
	v_lshrrev_b32_e32 v59, 3, v40
	v_sub_u32_e32 v53, 29, v60
	v_and_b32_e32 v52, 7, v52
	v_cmp_gt_u32_e32 vcc, 8, v40
	v_cndmask_b32_e32 v40, v59, v53, vcc
	v_cndmask_b32_e32 v52, v58, v52, vcc
	v_lshlrev_b32_e32 v42, 24, v42
	v_lshlrev_b32_e32 v52, 20, v52
	v_and_b32_e32 v42, 0x80000000, v42
	v_lshl_add_u32 v40, v40, 23, v45
	v_or3_b32 v52, v42, v40, v52
.LBB628_571:                            ;   in Loop: Header=BB628_213 Depth=1
	s_or_b64 exec, exec, s[16:17]
.LBB628_572:                            ;   in Loop: Header=BB628_213 Depth=1
	s_or_b64 exec, exec, s[14:15]
.LBB628_573:                            ;   in Loop: Header=BB628_213 Depth=1
	s_or_b64 exec, exec, s[12:13]
	s_waitcnt vmcnt(0)
	v_cmp_ne_u16_sdwa s[14:15], v38, v43 src0_sel:BYTE_0 src1_sel:DWORD
	s_and_saveexec_b64 s[12:13], s[14:15]
	s_cbranch_execz .LBB628_579
; %bb.574:                              ;   in Loop: Header=BB628_213 Depth=1
	v_cmp_ne_u16_sdwa s[16:17], v38, s9 src0_sel:BYTE_0 src1_sel:DWORD
	v_bfrev_b32_e32 v51, 1
	s_and_saveexec_b64 s[14:15], s[16:17]
	s_cbranch_execz .LBB628_578
; %bb.575:                              ;   in Loop: Header=BB628_213 Depth=1
	v_and_b32_e32 v40, 0x7f, v38
	v_cmp_ne_u32_e32 vcc, s19, v40
	v_mov_b32_e32 v51, 0x7f800001
	s_and_saveexec_b64 s[16:17], vcc
	s_cbranch_execz .LBB628_577
; %bb.576:                              ;   in Loop: Header=BB628_213 Depth=1
	v_and_b32_e32 v42, 7, v38
	v_ffbh_u32_e32 v53, v42
	v_min_u32_e32 v53, 32, v53
	v_subrev_u32_e32 v58, 28, v53
	v_lshlrev_b64 v[58:59], v58, v[38:39]
	v_lshrrev_b32_e32 v51, 3, v40
	v_sub_u32_e32 v53, 29, v53
	v_and_b32_e32 v58, 7, v58
	v_cmp_gt_u32_e32 vcc, 8, v40
	v_cndmask_b32_e32 v40, v51, v53, vcc
	v_cndmask_b32_e32 v42, v42, v58, vcc
	v_lshlrev_b32_e32 v51, 24, v38
	v_lshlrev_b32_e32 v42, 20, v42
	v_and_b32_e32 v51, 0x80000000, v51
	v_lshl_add_u32 v40, v40, 23, v45
	v_or3_b32 v51, v51, v40, v42
.LBB628_577:                            ;   in Loop: Header=BB628_213 Depth=1
	s_or_b64 exec, exec, s[16:17]
.LBB628_578:                            ;   in Loop: Header=BB628_213 Depth=1
	s_or_b64 exec, exec, s[14:15]
.LBB628_579:                            ;   in Loop: Header=BB628_213 Depth=1
	s_or_b64 exec, exec, s[12:13]
	v_lshrrev_b16_e32 v40, 8, v38
	v_cmp_ne_u16_e32 vcc, 0, v40
	v_mov_b32_e32 v42, 0
	v_mov_b32_e32 v53, 0
	s_and_saveexec_b64 s[12:13], vcc
	s_cbranch_execz .LBB628_585
; %bb.580:                              ;   in Loop: Header=BB628_213 Depth=1
	v_cmp_ne_u16_e32 vcc, s9, v40
	v_bfrev_b32_e32 v53, 1
	s_and_saveexec_b64 s[14:15], vcc
	s_cbranch_execz .LBB628_584
; %bb.581:                              ;   in Loop: Header=BB628_213 Depth=1
	v_and_b32_e32 v58, 0x7f, v40
	v_cmp_ne_u32_e32 vcc, s19, v58
	v_mov_b32_e32 v53, 0x7f800001
	s_and_saveexec_b64 s[16:17], vcc
	s_cbranch_execz .LBB628_583
; %bb.582:                              ;   in Loop: Header=BB628_213 Depth=1
	v_and_b32_e32 v53, 7, v40
	v_ffbh_u32_e32 v60, v53
	v_min_u32_e32 v62, 32, v60
	v_subrev_u32_e32 v60, 28, v62
	v_lshlrev_b64 v[60:61], v60, v[40:41]
	v_lshrrev_b32_e32 v59, 3, v58
	v_sub_u32_e32 v40, 29, v62
	v_and_b32_e32 v60, 7, v60
	v_cmp_gt_u32_e32 vcc, 8, v58
	v_cndmask_b32_e32 v40, v59, v40, vcc
	v_cndmask_b32_e32 v53, v53, v60, vcc
	v_lshlrev_b32_e32 v58, 16, v38
	v_lshlrev_b32_e32 v53, 20, v53
	v_and_b32_e32 v58, 0x80000000, v58
	v_lshl_add_u32 v40, v40, 23, v45
	v_or3_b32 v53, v58, v40, v53
.LBB628_583:                            ;   in Loop: Header=BB628_213 Depth=1
	s_or_b64 exec, exec, s[16:17]
.LBB628_584:                            ;   in Loop: Header=BB628_213 Depth=1
	s_or_b64 exec, exec, s[14:15]
.LBB628_585:                            ;   in Loop: Header=BB628_213 Depth=1
	s_or_b64 exec, exec, s[12:13]
	v_lshrrev_b32_e32 v40, 16, v38
	v_cmp_ne_u16_sdwa s[14:15], v40, v43 src0_sel:BYTE_0 src1_sel:DWORD
	s_and_saveexec_b64 s[12:13], s[14:15]
	s_cbranch_execz .LBB628_591
; %bb.586:                              ;   in Loop: Header=BB628_213 Depth=1
	v_cmp_ne_u16_sdwa s[16:17], v40, s9 src0_sel:BYTE_0 src1_sel:DWORD
	v_bfrev_b32_e32 v42, 1
	s_and_saveexec_b64 s[14:15], s[16:17]
	s_cbranch_execz .LBB628_590
; %bb.587:                              ;   in Loop: Header=BB628_213 Depth=1
	v_bfe_u32 v58, v38, 16, 7
	v_cmp_ne_u32_e32 vcc, s19, v58
	v_mov_b32_e32 v42, 0x7f800001
	s_and_saveexec_b64 s[16:17], vcc
	s_cbranch_execz .LBB628_589
; %bb.588:                              ;   in Loop: Header=BB628_213 Depth=1
	v_and_b32_e32 v42, 7, v40
	v_ffbh_u32_e32 v60, v42
	v_min_u32_e32 v62, 32, v60
	v_subrev_u32_e32 v60, 28, v62
	v_lshlrev_b64 v[60:61], v60, v[40:41]
	v_lshrrev_b32_e32 v59, 3, v58
	v_sub_u32_e32 v61, 29, v62
	v_and_b32_e32 v60, 7, v60
	v_cmp_gt_u32_e32 vcc, 8, v58
	v_cndmask_b32_e32 v58, v59, v61, vcc
	v_cndmask_b32_e32 v42, v42, v60, vcc
	v_lshlrev_b32_e32 v40, 24, v40
	v_lshlrev_b32_e32 v42, 20, v42
	v_and_b32_e32 v40, 0x80000000, v40
	v_lshl_add_u32 v58, v58, 23, v45
	v_or3_b32 v42, v40, v58, v42
.LBB628_589:                            ;   in Loop: Header=BB628_213 Depth=1
	s_or_b64 exec, exec, s[16:17]
.LBB628_590:                            ;   in Loop: Header=BB628_213 Depth=1
	s_or_b64 exec, exec, s[14:15]
.LBB628_591:                            ;   in Loop: Header=BB628_213 Depth=1
	s_or_b64 exec, exec, s[12:13]
	v_cmp_lt_u32_e32 vcc, s20, v38
	v_mov_b32_e32 v58, 0
	s_and_saveexec_b64 s[12:13], vcc
	s_cbranch_execz .LBB628_212
; %bb.592:                              ;   in Loop: Header=BB628_213 Depth=1
	v_lshrrev_b32_e32 v40, 24, v38
	v_cmp_ne_u32_e32 vcc, s9, v40
	v_bfrev_b32_e32 v58, 1
	s_and_saveexec_b64 s[14:15], vcc
	s_cbranch_execz .LBB628_211
; %bb.593:                              ;   in Loop: Header=BB628_213 Depth=1
	v_bfe_u32 v38, v38, 24, 7
	v_cmp_ne_u32_e32 vcc, s19, v38
	v_mov_b32_e32 v58, 0x7f800001
	s_and_saveexec_b64 s[16:17], vcc
	s_cbranch_execz .LBB628_210
; %bb.594:                              ;   in Loop: Header=BB628_213 Depth=1
	v_and_b32_e32 v60, 7, v40
	v_ffbh_u32_e32 v58, v60
	v_min_u32_e32 v62, 32, v58
	v_subrev_u32_e32 v58, 28, v62
	v_lshlrev_b64 v[58:59], v58, v[40:41]
	v_lshrrev_b32_e32 v61, 3, v38
	v_sub_u32_e32 v59, 29, v62
	v_and_b32_e32 v58, 7, v58
	v_cmp_gt_u32_e32 vcc, 8, v38
	v_cndmask_b32_e32 v38, v61, v59, vcc
	v_cndmask_b32_e32 v58, v60, v58, vcc
	v_lshlrev_b32_e32 v40, 24, v40
	v_lshlrev_b32_e32 v58, 20, v58
	v_and_b32_e32 v40, 0x80000000, v40
	v_lshl_add_u32 v38, v38, 23, v45
	v_or3_b32 v58, v40, v38, v58
	s_branch .LBB628_210
.LBB628_595:
	s_barrier
	buffer_load_dword v2, off, s[0:3], 0 offset:320
	buffer_load_dword v5, off, s[0:3], 0 offset:332
	;; [unrolled: 1-line block ×4, first 2 shown]
	v_cmp_gt_u32_e32 vcc, 64, v0
	s_waitcnt vmcnt(0)
	ds_write2st64_b64 v39, v[2:3], v[4:5] offset1:1
	s_waitcnt lgkmcnt(0)
	s_barrier
	s_and_saveexec_b64 s[4:5], vcc
	s_cbranch_execz .LBB628_598
; %bb.596:
	s_lshl_b32 s4, s50, 7
	s_mul_i32 s5, s18, s8
	s_mul_hi_u32 s9, s5, s4
	s_mul_i32 s8, s5, s4
	s_lshl_b64 s[8:9], s[8:9], 1
	s_add_u32 s5, s48, s8
	v_lshlrev_b32_e32 v4, 6, v55
	s_mov_b32 s7, 0
	s_addc_u32 s8, s49, s9
	s_lshl_b32 s6, s24, 7
	v_lshl_or_b32 v0, v0, 10, v4
	s_lshl_b64 s[6:7], s[6:7], 1
	v_lshlrev_b32_e32 v2, 5, v1
	v_and_b32_e32 v3, 16, v56
	v_and_b32_e32 v0, 0x1a00, v0
	s_add_u32 s5, s5, s6
	v_or3_b32 v0, v0, v2, v3
	s_addc_u32 s6, s8, s7
	v_add_u32_e32 v8, s25, v1
	v_mov_b32_e32 v3, s6
	v_add_co_u32_e32 v2, vcc, s5, v54
	ds_read_b128 v[4:7], v0
	v_mad_u64_u32 v[8:9], s[6:7], v8, s4, 0
	v_addc_co_u32_e32 v3, vcc, 0, v3, vcc
	v_lshlrev_b64 v[8:9], 1, v[8:9]
	v_add_co_u32_e32 v8, vcc, v2, v8
	v_addc_co_u32_e32 v9, vcc, v3, v9, vcc
	v_cmp_ne_u32_e32 vcc, 3, v1
	s_waitcnt lgkmcnt(0)
	global_store_dwordx4 v[8:9], v[4:7], off
	s_and_b64 exec, exec, vcc
	s_cbranch_execz .LBB628_598
; %bb.597:
	ds_read_b128 v[4:7], v0 offset:128
	v_add3_u32 v0, s25, v1, 4
	v_mad_u64_u32 v[0:1], s[4:5], v0, s4, 0
	v_lshlrev_b64 v[0:1], 1, v[0:1]
	v_add_co_u32_e32 v0, vcc, v2, v0
	v_addc_co_u32_e32 v1, vcc, v3, v1, vcc
	s_waitcnt lgkmcnt(0)
	global_store_dwordx4 v[0:1], v[4:7], off
.LBB628_598:
	s_endpgm
	.section	.rodata,"a",@progbits
	.p2align	6, 0x0
	.amdhsa_kernel _Z39paged_attention_ll4mi_QKV_mfma16_kernelIDF16_hLN4vllm18Fp8KVCacheDataTypeE1EDF16_Li16ELi128ELi256ELb0ELi7EL8MFMAType0EEvPKT_PKT0_S8_ifPKiSA_SA_iPKfiiiPfSD_PS3_PT2_iSC_SC_
		.amdhsa_group_segment_fixed_size 8192
		.amdhsa_private_segment_fixed_size 352
		.amdhsa_kernarg_size 400
		.amdhsa_user_sgpr_count 8
		.amdhsa_user_sgpr_private_segment_buffer 1
		.amdhsa_user_sgpr_dispatch_ptr 0
		.amdhsa_user_sgpr_queue_ptr 0
		.amdhsa_user_sgpr_kernarg_segment_ptr 1
		.amdhsa_user_sgpr_dispatch_id 0
		.amdhsa_user_sgpr_flat_scratch_init 1
		.amdhsa_user_sgpr_kernarg_preload_length 0
		.amdhsa_user_sgpr_kernarg_preload_offset 0
		.amdhsa_user_sgpr_private_segment_size 0
		.amdhsa_uses_dynamic_stack 0
		.amdhsa_system_sgpr_private_segment_wavefront_offset 1
		.amdhsa_system_sgpr_workgroup_id_x 1
		.amdhsa_system_sgpr_workgroup_id_y 1
		.amdhsa_system_sgpr_workgroup_id_z 1
		.amdhsa_system_sgpr_workgroup_info 0
		.amdhsa_system_vgpr_workitem_id 0
		.amdhsa_next_free_vgpr 76
		.amdhsa_next_free_sgpr 53
		.amdhsa_accum_offset 76
		.amdhsa_reserve_vcc 1
		.amdhsa_reserve_flat_scratch 0
		.amdhsa_float_round_mode_32 0
		.amdhsa_float_round_mode_16_64 0
		.amdhsa_float_denorm_mode_32 3
		.amdhsa_float_denorm_mode_16_64 3
		.amdhsa_dx10_clamp 1
		.amdhsa_ieee_mode 1
		.amdhsa_fp16_overflow 0
		.amdhsa_tg_split 0
		.amdhsa_exception_fp_ieee_invalid_op 0
		.amdhsa_exception_fp_denorm_src 0
		.amdhsa_exception_fp_ieee_div_zero 0
		.amdhsa_exception_fp_ieee_overflow 0
		.amdhsa_exception_fp_ieee_underflow 0
		.amdhsa_exception_fp_ieee_inexact 0
		.amdhsa_exception_int_div_zero 0
	.end_amdhsa_kernel
	.section	.text._Z39paged_attention_ll4mi_QKV_mfma16_kernelIDF16_hLN4vllm18Fp8KVCacheDataTypeE1EDF16_Li16ELi128ELi256ELb0ELi7EL8MFMAType0EEvPKT_PKT0_S8_ifPKiSA_SA_iPKfiiiPfSD_PS3_PT2_iSC_SC_,"axG",@progbits,_Z39paged_attention_ll4mi_QKV_mfma16_kernelIDF16_hLN4vllm18Fp8KVCacheDataTypeE1EDF16_Li16ELi128ELi256ELb0ELi7EL8MFMAType0EEvPKT_PKT0_S8_ifPKiSA_SA_iPKfiiiPfSD_PS3_PT2_iSC_SC_,comdat
.Lfunc_end628:
	.size	_Z39paged_attention_ll4mi_QKV_mfma16_kernelIDF16_hLN4vllm18Fp8KVCacheDataTypeE1EDF16_Li16ELi128ELi256ELb0ELi7EL8MFMAType0EEvPKT_PKT0_S8_ifPKiSA_SA_iPKfiiiPfSD_PS3_PT2_iSC_SC_, .Lfunc_end628-_Z39paged_attention_ll4mi_QKV_mfma16_kernelIDF16_hLN4vllm18Fp8KVCacheDataTypeE1EDF16_Li16ELi128ELi256ELb0ELi7EL8MFMAType0EEvPKT_PKT0_S8_ifPKiSA_SA_iPKfiiiPfSD_PS3_PT2_iSC_SC_
                                        ; -- End function
	.section	.AMDGPU.csdata,"",@progbits
; Kernel info:
; codeLenInByte = 21164
; NumSgprs: 57
; NumVgprs: 76
; NumAgprs: 0
; TotalNumVgprs: 76
; ScratchSize: 352
; MemoryBound: 0
; FloatMode: 240
; IeeeMode: 1
; LDSByteSize: 8192 bytes/workgroup (compile time only)
; SGPRBlocks: 7
; VGPRBlocks: 9
; NumSGPRsForWavesPerEU: 57
; NumVGPRsForWavesPerEU: 76
; AccumOffset: 76
; Occupancy: 6
; WaveLimiterHint : 1
; COMPUTE_PGM_RSRC2:SCRATCH_EN: 1
; COMPUTE_PGM_RSRC2:USER_SGPR: 8
; COMPUTE_PGM_RSRC2:TRAP_HANDLER: 0
; COMPUTE_PGM_RSRC2:TGID_X_EN: 1
; COMPUTE_PGM_RSRC2:TGID_Y_EN: 1
; COMPUTE_PGM_RSRC2:TGID_Z_EN: 1
; COMPUTE_PGM_RSRC2:TIDIG_COMP_CNT: 0
; COMPUTE_PGM_RSRC3_GFX90A:ACCUM_OFFSET: 18
; COMPUTE_PGM_RSRC3_GFX90A:TG_SPLIT: 0
	.section	.text._Z39paged_attention_ll4mi_QKV_mfma16_kernelIDF16_hLN4vllm18Fp8KVCacheDataTypeE1EDF16_Li16ELi128ELi256ELb0ELi8EL8MFMAType0EEvPKT_PKT0_S8_ifPKiSA_SA_iPKfiiiPfSD_PS3_PT2_iSC_SC_,"axG",@progbits,_Z39paged_attention_ll4mi_QKV_mfma16_kernelIDF16_hLN4vllm18Fp8KVCacheDataTypeE1EDF16_Li16ELi128ELi256ELb0ELi8EL8MFMAType0EEvPKT_PKT0_S8_ifPKiSA_SA_iPKfiiiPfSD_PS3_PT2_iSC_SC_,comdat
	.protected	_Z39paged_attention_ll4mi_QKV_mfma16_kernelIDF16_hLN4vllm18Fp8KVCacheDataTypeE1EDF16_Li16ELi128ELi256ELb0ELi8EL8MFMAType0EEvPKT_PKT0_S8_ifPKiSA_SA_iPKfiiiPfSD_PS3_PT2_iSC_SC_ ; -- Begin function _Z39paged_attention_ll4mi_QKV_mfma16_kernelIDF16_hLN4vllm18Fp8KVCacheDataTypeE1EDF16_Li16ELi128ELi256ELb0ELi8EL8MFMAType0EEvPKT_PKT0_S8_ifPKiSA_SA_iPKfiiiPfSD_PS3_PT2_iSC_SC_
	.globl	_Z39paged_attention_ll4mi_QKV_mfma16_kernelIDF16_hLN4vllm18Fp8KVCacheDataTypeE1EDF16_Li16ELi128ELi256ELb0ELi8EL8MFMAType0EEvPKT_PKT0_S8_ifPKiSA_SA_iPKfiiiPfSD_PS3_PT2_iSC_SC_
	.p2align	8
	.type	_Z39paged_attention_ll4mi_QKV_mfma16_kernelIDF16_hLN4vllm18Fp8KVCacheDataTypeE1EDF16_Li16ELi128ELi256ELb0ELi8EL8MFMAType0EEvPKT_PKT0_S8_ifPKiSA_SA_iPKfiiiPfSD_PS3_PT2_iSC_SC_,@function
_Z39paged_attention_ll4mi_QKV_mfma16_kernelIDF16_hLN4vllm18Fp8KVCacheDataTypeE1EDF16_Li16ELi128ELi256ELb0ELi8EL8MFMAType0EEvPKT_PKT0_S8_ifPKiSA_SA_iPKfiiiPfSD_PS3_PT2_iSC_SC_: ; @_Z39paged_attention_ll4mi_QKV_mfma16_kernelIDF16_hLN4vllm18Fp8KVCacheDataTypeE1EDF16_Li16ELi128ELi256ELb0ELi8EL8MFMAType0EEvPKT_PKT0_S8_ifPKiSA_SA_iPKfiiiPfSD_PS3_PT2_iSC_SC_
; %bb.0:
	s_load_dwordx2 s[6:7], s[4:5], 0x30
	s_add_u32 s0, s0, s11
	s_addc_u32 s1, s1, 0
	s_mov_b32 s24, s9
	s_mov_b64 s[12:13], 0
	s_waitcnt lgkmcnt(0)
	s_cmp_lg_u64 s[6:7], 0
	s_cselect_b64 s[16:17], -1, 0
	s_and_b64 vcc, exec, s[16:17]
	s_cbranch_vccz .LBB629_7
; %bb.1:
	s_add_i32 s14, s8, 1
	s_mov_b32 s15, 0
	s_lshl_b64 s[18:19], s[14:15], 2
	s_add_u32 s18, s6, s18
	s_mov_b32 s9, s15
	s_addc_u32 s19, s7, s19
	s_lshl_b64 s[14:15], s[8:9], 2
	s_add_u32 s14, s6, s14
	s_addc_u32 s15, s7, s15
	s_load_dword s11, s[18:19], 0x0
	s_load_dword s20, s[14:15], 0x0
	s_waitcnt lgkmcnt(0)
	s_sub_i32 s11, s11, s20
	s_cmp_eq_u32 s11, 1
	s_cselect_b64 s[14:15], -1, 0
	s_andn2_b64 vcc, exec, s[12:13]
	s_cbranch_vccnz .LBB629_3
.LBB629_2:
	s_mov_b32 s9, 0
	s_mov_b64 s[14:15], -1
.LBB629_3:
	s_andn2_b64 vcc, exec, s[14:15]
	s_cbranch_vccnz .LBB629_597
; %bb.4:
	s_load_dwordx2 s[12:13], s[4:5], 0x28
	s_lshl_b64 s[18:19], s[8:9], 2
	s_waitcnt lgkmcnt(0)
	s_add_u32 s12, s12, s18
	s_addc_u32 s13, s13, s19
	s_load_dword s33, s[12:13], 0x0
	s_lshl_b32 s20, s24, 8
	s_waitcnt lgkmcnt(0)
	s_cmp_ge_i32 s20, s33
	s_cbranch_scc1 .LBB629_597
; %bb.5:
	s_add_i32 s14, s33, 15
	s_load_dwordx2 s[12:13], s[4:5], 0x20
	s_load_dword s11, s[4:5], 0x38
	s_ashr_i32 s15, s14, 31
	v_and_b32_e32 v1, 0xcf, v0
	s_lshr_b32 s15, s15, 28
	v_add_u32_e32 v1, s20, v1
	s_add_i32 s14, s14, s15
	v_ashrrev_i32_e32 v2, 31, v1
	s_ashr_i32 s22, s14, 4
	v_lshrrev_b32_e32 v6, 28, v2
	s_add_i32 s22, s22, -1
	v_add_u32_e32 v2, v1, v6
	s_waitcnt lgkmcnt(0)
	s_mul_i32 s14, s8, s11
	s_mov_b32 s15, 0
	v_ashrrev_i32_e32 v2, 4, v2
	v_mov_b32_e32 v7, s22
	v_cmp_gt_i32_e32 vcc, s33, v1
	s_lshl_b64 s[14:15], s[14:15], 2
	v_cndmask_b32_e32 v2, v7, v2, vcc
	s_add_u32 s11, s12, s14
	v_ashrrev_i32_e32 v3, 31, v2
	s_addc_u32 s21, s13, s15
	v_lshlrev_b64 v[2:3], 2, v[2:3]
	v_mov_b32_e32 v5, s21
	v_add_co_u32_e32 v4, vcc, s11, v2
	v_or_b32_e32 v2, 16, v1
	v_addc_co_u32_e32 v5, vcc, v5, v3, vcc
	v_add_u32_e32 v3, v2, v6
	v_ashrrev_i32_e32 v3, 4, v3
	v_cmp_gt_i32_e32 vcc, s33, v2
	v_cndmask_b32_e32 v2, v7, v3, vcc
	v_ashrrev_i32_e32 v3, 31, v2
	v_lshlrev_b64 v[2:3], 2, v[2:3]
	v_mov_b32_e32 v9, s21
	v_add_co_u32_e32 v8, vcc, s11, v2
	v_or_b32_e32 v2, 32, v1
	v_addc_co_u32_e32 v9, vcc, v9, v3, vcc
	v_add_u32_e32 v3, v2, v6
	v_ashrrev_i32_e32 v3, 4, v3
	v_cmp_gt_i32_e32 vcc, s33, v2
	v_cndmask_b32_e32 v2, v7, v3, vcc
	v_ashrrev_i32_e32 v3, 31, v2
	;; [unrolled: 10-line block ×3, first 2 shown]
	v_lshlrev_b64 v[2:3], 2, v[2:3]
	v_mov_b32_e32 v1, s21
	v_add_co_u32_e32 v12, vcc, s11, v2
	v_addc_co_u32_e32 v13, vcc, v1, v3, vcc
	global_load_dword v2, v[4:5], off
	global_load_dword v6, v[8:9], off
	;; [unrolled: 1-line block ×4, first 2 shown]
	s_load_dwordx4 s[12:15], s[4:5], 0x8
	s_andn2_b64 vcc, exec, s[16:17]
	s_cbranch_vccnz .LBB629_8
; %bb.6:
	s_add_u32 s6, s6, s18
	s_addc_u32 s7, s7, s19
	s_load_dword s17, s[6:7], 0x0
	s_branch .LBB629_9
.LBB629_7:
	s_mov_b64 s[14:15], 0
	s_branch .LBB629_2
.LBB629_8:
	s_mov_b32 s17, s8
.LBB629_9:
	s_load_dwordx2 s[48:49], s[4:5], 0x68
	s_load_dwordx8 s[40:47], s[4:5], 0x48
	v_and_b32_e32 v51, 15, v0
	v_lshlrev_b32_e32 v3, 3, v51
	s_movk_i32 s16, 0x80
	v_lshrrev_b32_e32 v60, 6, v0
	v_bfe_u32 v1, v0, 4, 2
	s_lshl_b32 s25, s10, 3
	v_cmp_gt_u32_e32 vcc, s16, v0
	v_lshlrev_b32_e32 v50, 1, v3
	v_lshlrev_b32_e32 v52, 4, v0
	s_and_saveexec_b64 s[6:7], vcc
	s_cbranch_execz .LBB629_11
; %bb.10:
	s_load_dwordx2 s[18:19], s[4:5], 0x0
	s_waitcnt lgkmcnt(0)
	s_ashr_i32 s23, s40, 31
	s_mul_hi_u32 s26, s17, s40
	s_mul_i32 s23, s17, s23
	v_lshl_or_b32 v3, v60, 2, v1
	s_add_i32 s27, s26, s23
	s_mul_i32 s26, s17, s40
	s_lshl_b64 s[26:27], s[26:27], 1
	v_add_lshl_u32 v4, v3, s25, 7
	s_add_u32 s17, s18, s26
	v_ashrrev_i32_e32 v5, 31, v4
	s_addc_u32 s18, s19, s27
	v_lshlrev_b64 v[4:5], 1, v[4:5]
	v_mov_b32_e32 v7, s18
	v_add_co_u32_e32 v4, vcc, s17, v4
	v_addc_co_u32_e32 v5, vcc, v7, v5, vcc
	v_add_co_u32_e32 v4, vcc, v4, v50
	v_addc_co_u32_e32 v5, vcc, 0, v5, vcc
	global_load_dwordx4 v[8:11], v[4:5], off
	v_lshlrev_b32_e32 v5, 8, v0
	v_lshlrev_b32_e32 v4, 8, v51
	v_and_b32_e32 v5, 0x600, v5
	s_movk_i32 s17, 0x800
	v_and_or_b32 v4, v4, s17, v5
	v_lshlrev_b32_e32 v3, 5, v3
	v_and_b32_e32 v5, 16, v52
	v_or3_b32 v3, v4, v3, v5
	s_waitcnt vmcnt(0)
	ds_write_b128 v3, v[8:11]
.LBB629_11:
	s_or_b64 exec, exec, s[6:7]
	v_and_b32_e32 v3, 48, v0
	v_or_b32_e32 v7, s20, v3
	v_ashrrev_i32_e32 v4, 4, v7
	v_mov_b32_e32 v12, s22
	v_cmp_gt_i32_e32 vcc, s33, v7
	v_cndmask_b32_e32 v4, v12, v4, vcc
	v_ashrrev_i32_e32 v5, 31, v4
	v_lshlrev_b64 v[4:5], 2, v[4:5]
	v_mov_b32_e32 v8, s21
	v_add_co_u32_e32 v4, vcc, s11, v4
	v_addc_co_u32_e32 v5, vcc, v8, v5, vcc
	v_or_b32_e32 v8, 64, v7
	v_ashrrev_i32_e32 v9, 4, v8
	v_cmp_gt_i32_e32 vcc, s33, v8
	v_cndmask_b32_e32 v8, v12, v9, vcc
	v_ashrrev_i32_e32 v9, 31, v8
	v_lshlrev_b64 v[8:9], 2, v[8:9]
	v_mov_b32_e32 v10, s21
	v_add_co_u32_e32 v8, vcc, s11, v8
	v_addc_co_u32_e32 v9, vcc, v10, v9, vcc
	v_or_b32_e32 v10, 0x80, v7
	v_ashrrev_i32_e32 v11, 4, v10
	v_cmp_gt_i32_e32 vcc, s33, v10
	v_cndmask_b32_e32 v10, v12, v11, vcc
	v_ashrrev_i32_e32 v11, 31, v10
	v_lshlrev_b64 v[10:11], 2, v[10:11]
	v_mov_b32_e32 v13, s21
	v_add_co_u32_e32 v10, vcc, s11, v10
	s_load_dwordx2 s[50:51], s[4:5], 0x94
	s_waitcnt lgkmcnt(0)
	s_barrier
	v_addc_co_u32_e32 v11, vcc, v13, v11, vcc
	global_load_dword v53, v[4:5], off
	global_load_dword v58, v[8:9], off
	;; [unrolled: 1-line block ×3, first 2 shown]
	v_or_b32_e32 v4, 0xc0, v7
	v_ashrrev_i32_e32 v5, 4, v4
	v_cmp_gt_i32_e32 vcc, s33, v4
	v_cndmask_b32_e32 v4, v12, v5, vcc
	v_ashrrev_i32_e32 v5, 31, v4
	v_lshlrev_b64 v[4:5], 2, v[4:5]
	v_mov_b32_e32 v7, s21
	v_add_co_u32_e32 v4, vcc, s11, v4
	v_addc_co_u32_e32 v5, vcc, v7, v5, vcc
	global_load_dword v62, v[4:5], off
	s_mul_i32 s10, s10, s42
	s_add_u32 s6, s12, s10
	s_addc_u32 s7, s13, 0
	v_and_b32_e32 v4, 0xf0, v52
	v_mov_b32_e32 v5, s7
	v_add_co_u32_e32 v20, vcc, s6, v4
	v_addc_co_u32_e32 v21, vcc, 0, v5, vcc
	v_lshlrev_b32_e32 v28, 4, v3
	s_waitcnt vmcnt(7)
	v_mad_i64_i32 v[2:3], s[6:7], v2, s41, v[20:21]
	v_add_co_u32_e32 v8, vcc, v2, v28
	v_addc_co_u32_e32 v9, vcc, 0, v3, vcc
	s_waitcnt vmcnt(6)
	v_mad_i64_i32 v[6:7], s[6:7], v6, s41, v[20:21]
	v_add_co_u32_e32 v22, vcc, v6, v28
	v_addc_co_u32_e32 v23, vcc, 0, v7, vcc
	global_load_dwordx4 v[10:13], v[8:9], off
	global_load_dwordx4 v[2:5], v[8:9], off offset:1024
	s_nop 0
	global_load_dwordx4 v[6:9], v[22:23], off
	global_load_dwordx4 v[14:17], v[22:23], off offset:1024
	s_waitcnt vmcnt(9)
	v_mad_i64_i32 v[22:23], s[6:7], v19, s41, v[20:21]
	v_add_co_u32_e32 v26, vcc, v22, v28
	v_addc_co_u32_e32 v27, vcc, 0, v23, vcc
	s_waitcnt vmcnt(8)
	v_mad_i64_i32 v[18:19], s[6:7], v18, s41, v[20:21]
	v_add_co_u32_e32 v34, vcc, v18, v28
	s_add_u32 s10, s14, s10
	v_lshl_or_b32 v61, v60, 4, v51
	v_addc_co_u32_e32 v35, vcc, 0, v19, vcc
	s_addc_u32 s11, s15, 0
	v_lshlrev_b32_e32 v54, 4, v61
	global_load_dwordx4 v[30:33], v[26:27], off
	global_load_dwordx4 v[22:25], v[26:27], off offset:1024
	s_nop 0
	global_load_dwordx4 v[26:29], v[34:35], off
	global_load_dwordx4 v[18:21], v[34:35], off offset:1024
	v_mov_b32_e32 v34, s11
	v_add_co_u32_e32 v42, vcc, s10, v54
	v_addc_co_u32_e32 v43, vcc, 0, v34, vcc
	v_or_b32_e32 v54, 0x400, v54
	v_mov_b32_e32 v55, s11
	v_add_co_u32_e32 v54, vcc, s10, v54
	v_addc_co_u32_e32 v55, vcc, 0, v55, vcc
	s_mov_b32 s12, 0
	s_movk_i32 s13, 0x7f
	s_mov_b32 s14, 0xffffff
	s_waitcnt vmcnt(11)
	v_mad_i64_i32 v[34:35], s[6:7], v53, s41, v[42:43]
	s_waitcnt vmcnt(10)
	v_mad_i64_i32 v[36:37], s[6:7], v58, s41, v[42:43]
	;; [unrolled: 2-line block ×3, first 2 shown]
	global_load_dwordx4 v[38:41], v[34:35], off
	s_nop 0
	global_load_dwordx4 v[34:37], v[36:37], off
	v_mad_i64_i32 v[56:57], s[6:7], v53, s41, v[54:55]
	s_waitcnt vmcnt(10)
	v_mad_i64_i32 v[42:43], s[6:7], v62, s41, v[42:43]
	global_load_dwordx4 v[46:49], v[44:45], off
	s_nop 0
	global_load_dwordx4 v[42:45], v[42:43], off
	s_nop 0
	global_load_dwordx4 v[64:67], v[56:57], off
	v_mad_i64_i32 v[56:57], s[6:7], v58, s41, v[54:55]
	global_load_dwordx4 v[68:71], v[56:57], off
	v_mad_i64_i32 v[56:57], s[6:7], v59, s41, v[54:55]
	v_mad_i64_i32 v[54:55], s[6:7], v62, s41, v[54:55]
	global_load_dwordx4 v[72:75], v[56:57], off
	global_load_dwordx4 v[76:79], v[54:55], off
	s_waitcnt vmcnt(15)
	buffer_store_dword v13, off, s[0:3], 0 offset:12
	buffer_store_dword v12, off, s[0:3], 0 offset:8
	;; [unrolled: 1-line block ×3, first 2 shown]
	buffer_store_dword v10, off, s[0:3], 0
	s_waitcnt vmcnt(18)
	buffer_store_dword v5, off, s[0:3], 0 offset:28
	buffer_store_dword v4, off, s[0:3], 0 offset:24
	;; [unrolled: 1-line block ×4, first 2 shown]
	s_waitcnt vmcnt(21)
	buffer_store_dword v9, off, s[0:3], 0 offset:44
	buffer_store_dword v8, off, s[0:3], 0 offset:40
	;; [unrolled: 1-line block ×4, first 2 shown]
	s_load_dword s6, s[4:5], 0x1c
	s_load_dwordx4 s[40:43], s[4:5], 0x80
	v_mov_b32_e32 v2, 0x80
	v_add_u32_e32 v53, 16, v2
	v_add_u32_e32 v59, 32, v2
	;; [unrolled: 1-line block ×7, first 2 shown]
	v_and_b32_e32 v2, 7, v0
	v_lshlrev_b32_e32 v2, 5, v2
	s_waitcnt vmcnt(24)
	buffer_store_dword v17, off, s[0:3], 0 offset:60
	buffer_store_dword v16, off, s[0:3], 0 offset:56
	;; [unrolled: 1-line block ×4, first 2 shown]
	s_waitcnt vmcnt(27)
	buffer_store_dword v33, off, s[0:3], 0 offset:76
	buffer_store_dword v32, off, s[0:3], 0 offset:72
	buffer_store_dword v31, off, s[0:3], 0 offset:68
	buffer_store_dword v30, off, s[0:3], 0 offset:64
	v_lshl_or_b32 v14, v1, 9, v2
	ds_read_b128 v[2:5], v14
	ds_read_b128 v[6:9], v14 offset:16
	ds_read_b128 v[10:13], v14 offset:2048
	;; [unrolled: 1-line block ×3, first 2 shown]
	v_and_b32_e32 v62, 63, v0
	v_mov_b32_e32 v31, 0x100
	v_bfrev_b32_e32 v33, 60
	s_waitcnt vmcnt(30)
	buffer_store_dword v25, off, s[0:3], 0 offset:92
	buffer_store_dword v24, off, s[0:3], 0 offset:88
	buffer_store_dword v23, off, s[0:3], 0 offset:84
	buffer_store_dword v22, off, s[0:3], 0 offset:80
	s_waitcnt vmcnt(33)
	buffer_store_dword v29, off, s[0:3], 0 offset:108
	buffer_store_dword v28, off, s[0:3], 0 offset:104
	buffer_store_dword v27, off, s[0:3], 0 offset:100
	buffer_store_dword v26, off, s[0:3], 0 offset:96
	;; [unrolled: 5-line block ×10, first 2 shown]
	s_waitcnt vmcnt(60)
	buffer_store_dword v79, off, s[0:3], 0 offset:252
	s_waitcnt lgkmcnt(0)
	s_load_dword s4, s[40:41], 0x0
	v_mov_b32_e32 v18, s6
	v_mov_b32_e32 v27, 0
	;; [unrolled: 1-line block ×3, first 2 shown]
	buffer_store_dword v78, off, s[0:3], 0 offset:248
	buffer_store_dword v77, off, s[0:3], 0 offset:244
	;; [unrolled: 1-line block ×3, first 2 shown]
	s_waitcnt lgkmcnt(0)
	v_mul_f32_e32 v22, s4, v18
	v_mov_b32_e32 v24, v22
	v_mov_b32_e32 v25, v22
	s_branch .LBB629_15
.LBB629_12:                             ;   in Loop: Header=BB629_15 Depth=1
	s_or_b64 exec, exec, s[10:11]
.LBB629_13:                             ;   in Loop: Header=BB629_15 Depth=1
	s_or_b64 exec, exec, s[6:7]
.LBB629_14:                             ;   in Loop: Header=BB629_15 Depth=1
	s_or_b64 exec, exec, s[4:5]
	v_cvt_pkrtz_f16_f32 v40, v34, v32
	v_cvt_pkrtz_f16_f32 v41, v23, v36
	;; [unrolled: 1-line block ×4, first 2 shown]
	v_add_u32_e32 v26, s12, v31
	v_mfma_f32_16x16x16f16 v[18:21], v[40:41], v[14:15], v[18:21]
	s_add_i32 s12, s12, 16
	v_mov_b32_e32 v23, v22
	s_cmp_eq_u32 s12, 64
	v_add_u32_e32 v27, 32, v27
	v_mfma_f32_16x16x16f16 v[18:21], v[34:35], v[16:17], v[18:21]
	s_nop 7
	s_nop 2
	v_pk_mul_f32 v[18:19], v[24:25], v[18:19]
	v_pk_mul_f32 v[20:21], v[22:23], v[20:21]
	buffer_store_dword v19, v26, s[0:3], 0 offen offset:4
	buffer_store_dword v18, v26, s[0:3], 0 offen
	buffer_store_dword v21, v26, s[0:3], 0 offen offset:12
	buffer_store_dword v20, v26, s[0:3], 0 offen offset:8
	s_cbranch_scc1 .LBB629_205
.LBB629_15:                             ; =>This Inner Loop Header: Depth=1
	buffer_load_dword v20, v27, s[0:3], 0 offen
	buffer_load_dword v18, v27, s[0:3], 0 offen offset:4
	buffer_load_dword v28, v27, s[0:3], 0 offen offset:8
	;; [unrolled: 1-line block ×3, first 2 shown]
	v_mov_b32_e32 v19, 0
	s_waitcnt vmcnt(3)
	v_cmp_ne_u16_sdwa s[6:7], v20, v29 src0_sel:BYTE_0 src1_sel:DWORD
	s_and_saveexec_b64 s[4:5], s[6:7]
	s_cbranch_execz .LBB629_21
; %bb.16:                               ;   in Loop: Header=BB629_15 Depth=1
	v_cmp_ne_u16_sdwa s[10:11], v20, s16 src0_sel:BYTE_0 src1_sel:DWORD
	v_bfrev_b32_e32 v19, 1
	s_and_saveexec_b64 s[6:7], s[10:11]
	s_cbranch_execz .LBB629_20
; %bb.17:                               ;   in Loop: Header=BB629_15 Depth=1
	v_and_b32_e32 v21, 0x7f, v20
	v_cmp_ne_u32_e32 vcc, s13, v21
	v_mov_b32_e32 v19, 0x7f800001
	s_and_saveexec_b64 s[10:11], vcc
	s_cbranch_execz .LBB629_19
; %bb.18:                               ;   in Loop: Header=BB629_15 Depth=1
	v_and_b32_e32 v19, 7, v20
	v_ffbh_u32_e32 v30, v19
	v_min_u32_e32 v30, 32, v30
	v_subrev_u32_e32 v32, 28, v30
	v_lshlrev_b64 v[34:35], v32, v[20:21]
	v_lshrrev_b32_e32 v23, 3, v21
	v_sub_u32_e32 v30, 29, v30
	v_and_b32_e32 v32, 7, v34
	v_cmp_gt_u32_e32 vcc, 8, v21
	v_cndmask_b32_e32 v21, v23, v30, vcc
	v_cndmask_b32_e32 v19, v19, v32, vcc
	v_lshlrev_b32_e32 v23, 24, v20
	v_lshlrev_b32_e32 v19, 20, v19
	v_and_b32_e32 v23, 0x80000000, v23
	v_lshl_add_u32 v21, v21, 23, v33
	v_or3_b32 v19, v23, v21, v19
.LBB629_19:                             ;   in Loop: Header=BB629_15 Depth=1
	s_or_b64 exec, exec, s[10:11]
.LBB629_20:                             ;   in Loop: Header=BB629_15 Depth=1
	s_or_b64 exec, exec, s[6:7]
.LBB629_21:                             ;   in Loop: Header=BB629_15 Depth=1
	s_or_b64 exec, exec, s[4:5]
	v_lshrrev_b16_e32 v30, 8, v20
	v_cmp_ne_u16_e32 vcc, 0, v30
	v_mov_b32_e32 v21, 0
	v_mov_b32_e32 v23, 0
	s_and_saveexec_b64 s[4:5], vcc
	s_cbranch_execz .LBB629_27
; %bb.22:                               ;   in Loop: Header=BB629_15 Depth=1
	v_cmp_ne_u16_e32 vcc, s16, v30
	v_bfrev_b32_e32 v23, 1
	s_and_saveexec_b64 s[6:7], vcc
	s_cbranch_execz .LBB629_26
; %bb.23:                               ;   in Loop: Header=BB629_15 Depth=1
	v_and_b32_e32 v32, 0x7f, v30
	v_cmp_ne_u32_e32 vcc, s13, v32
	v_mov_b32_e32 v23, 0x7f800001
	s_and_saveexec_b64 s[10:11], vcc
	s_cbranch_execz .LBB629_25
; %bb.24:                               ;   in Loop: Header=BB629_15 Depth=1
	v_and_b32_e32 v23, 7, v30
	v_ffbh_u32_e32 v34, v23
	v_min_u32_e32 v37, 32, v34
	v_subrev_u32_e32 v34, 28, v37
	v_lshlrev_b64 v[34:35], v34, v[30:31]
	v_lshrrev_b32_e32 v36, 3, v32
	v_sub_u32_e32 v30, 29, v37
	v_and_b32_e32 v34, 7, v34
	v_cmp_gt_u32_e32 vcc, 8, v32
	v_cndmask_b32_e32 v30, v36, v30, vcc
	v_cndmask_b32_e32 v23, v23, v34, vcc
	v_lshlrev_b32_e32 v32, 16, v20
	v_lshlrev_b32_e32 v23, 20, v23
	v_and_b32_e32 v32, 0x80000000, v32
	v_lshl_add_u32 v30, v30, 23, v33
	v_or3_b32 v23, v32, v30, v23
.LBB629_25:                             ;   in Loop: Header=BB629_15 Depth=1
	s_or_b64 exec, exec, s[10:11]
.LBB629_26:                             ;   in Loop: Header=BB629_15 Depth=1
	s_or_b64 exec, exec, s[6:7]
.LBB629_27:                             ;   in Loop: Header=BB629_15 Depth=1
	s_or_b64 exec, exec, s[4:5]
	v_lshrrev_b32_e32 v30, 16, v20
	v_cmp_ne_u16_sdwa s[6:7], v30, v29 src0_sel:BYTE_0 src1_sel:DWORD
	s_and_saveexec_b64 s[4:5], s[6:7]
	s_cbranch_execz .LBB629_33
; %bb.28:                               ;   in Loop: Header=BB629_15 Depth=1
	v_cmp_ne_u16_sdwa s[10:11], v30, s16 src0_sel:BYTE_0 src1_sel:DWORD
	v_bfrev_b32_e32 v21, 1
	s_and_saveexec_b64 s[6:7], s[10:11]
	s_cbranch_execz .LBB629_32
; %bb.29:                               ;   in Loop: Header=BB629_15 Depth=1
	v_bfe_u32 v32, v20, 16, 7
	v_cmp_ne_u32_e32 vcc, s13, v32
	v_mov_b32_e32 v21, 0x7f800001
	s_and_saveexec_b64 s[10:11], vcc
	s_cbranch_execz .LBB629_31
; %bb.30:                               ;   in Loop: Header=BB629_15 Depth=1
	v_and_b32_e32 v21, 7, v30
	v_ffbh_u32_e32 v34, v21
	v_min_u32_e32 v37, 32, v34
	v_subrev_u32_e32 v34, 28, v37
	v_lshlrev_b64 v[34:35], v34, v[30:31]
	v_lshrrev_b32_e32 v36, 3, v32
	v_sub_u32_e32 v35, 29, v37
	v_and_b32_e32 v34, 7, v34
	v_cmp_gt_u32_e32 vcc, 8, v32
	v_cndmask_b32_e32 v32, v36, v35, vcc
	v_cndmask_b32_e32 v21, v21, v34, vcc
	v_lshlrev_b32_e32 v30, 24, v30
	v_lshlrev_b32_e32 v21, 20, v21
	v_and_b32_e32 v30, 0x80000000, v30
	v_lshl_add_u32 v32, v32, 23, v33
	v_or3_b32 v21, v30, v32, v21
.LBB629_31:                             ;   in Loop: Header=BB629_15 Depth=1
	s_or_b64 exec, exec, s[10:11]
.LBB629_32:                             ;   in Loop: Header=BB629_15 Depth=1
	s_or_b64 exec, exec, s[6:7]
.LBB629_33:                             ;   in Loop: Header=BB629_15 Depth=1
	s_or_b64 exec, exec, s[4:5]
	v_cmp_lt_u32_e32 vcc, s14, v20
	v_mov_b32_e32 v34, 0
	v_mov_b32_e32 v35, 0
	s_and_saveexec_b64 s[4:5], vcc
	s_cbranch_execz .LBB629_39
; %bb.34:                               ;   in Loop: Header=BB629_15 Depth=1
	v_lshrrev_b32_e32 v30, 24, v20
	v_cmp_ne_u32_e32 vcc, s16, v30
	v_bfrev_b32_e32 v35, 1
	s_and_saveexec_b64 s[6:7], vcc
	s_cbranch_execz .LBB629_38
; %bb.35:                               ;   in Loop: Header=BB629_15 Depth=1
	v_bfe_u32 v20, v20, 24, 7
	v_cmp_ne_u32_e32 vcc, s13, v20
	v_mov_b32_e32 v35, 0x7f800001
	s_and_saveexec_b64 s[10:11], vcc
	s_cbranch_execz .LBB629_37
; %bb.36:                               ;   in Loop: Header=BB629_15 Depth=1
	v_and_b32_e32 v32, 7, v30
	v_ffbh_u32_e32 v36, v32
	v_min_u32_e32 v38, 32, v36
	v_subrev_u32_e32 v36, 28, v38
	v_lshlrev_b64 v[36:37], v36, v[30:31]
	v_lshrrev_b32_e32 v35, 3, v20
	v_sub_u32_e32 v37, 29, v38
	v_and_b32_e32 v36, 7, v36
	v_cmp_gt_u32_e32 vcc, 8, v20
	v_cndmask_b32_e32 v20, v35, v37, vcc
	v_cndmask_b32_e32 v32, v32, v36, vcc
	v_lshlrev_b32_e32 v30, 24, v30
	v_lshlrev_b32_e32 v32, 20, v32
	v_and_b32_e32 v30, 0x80000000, v30
	v_lshl_add_u32 v20, v20, 23, v33
	v_or3_b32 v35, v30, v20, v32
.LBB629_37:                             ;   in Loop: Header=BB629_15 Depth=1
	s_or_b64 exec, exec, s[10:11]
.LBB629_38:                             ;   in Loop: Header=BB629_15 Depth=1
	s_or_b64 exec, exec, s[6:7]
.LBB629_39:                             ;   in Loop: Header=BB629_15 Depth=1
	s_or_b64 exec, exec, s[4:5]
	s_waitcnt vmcnt(2)
	v_cmp_ne_u16_sdwa s[6:7], v18, v29 src0_sel:BYTE_0 src1_sel:DWORD
	s_and_saveexec_b64 s[4:5], s[6:7]
	s_cbranch_execz .LBB629_45
; %bb.40:                               ;   in Loop: Header=BB629_15 Depth=1
	v_cmp_ne_u16_sdwa s[10:11], v18, s16 src0_sel:BYTE_0 src1_sel:DWORD
	v_bfrev_b32_e32 v34, 1
	s_and_saveexec_b64 s[6:7], s[10:11]
	s_cbranch_execz .LBB629_44
; %bb.41:                               ;   in Loop: Header=BB629_15 Depth=1
	v_and_b32_e32 v20, 0x7f, v18
	v_cmp_ne_u32_e32 vcc, s13, v20
	v_mov_b32_e32 v34, 0x7f800001
	s_and_saveexec_b64 s[10:11], vcc
	s_cbranch_execz .LBB629_43
; %bb.42:                               ;   in Loop: Header=BB629_15 Depth=1
	v_and_b32_e32 v30, 7, v18
	v_ffbh_u32_e32 v34, v30
	v_min_u32_e32 v34, 32, v34
	v_subrev_u32_e32 v36, 28, v34
	v_lshlrev_b64 v[36:37], v36, v[18:19]
	v_lshrrev_b32_e32 v32, 3, v20
	v_sub_u32_e32 v34, 29, v34
	v_and_b32_e32 v36, 7, v36
	v_cmp_gt_u32_e32 vcc, 8, v20
	v_cndmask_b32_e32 v20, v32, v34, vcc
	v_cndmask_b32_e32 v30, v30, v36, vcc
	v_lshlrev_b32_e32 v32, 24, v18
	v_lshlrev_b32_e32 v30, 20, v30
	v_and_b32_e32 v32, 0x80000000, v32
	v_lshl_add_u32 v20, v20, 23, v33
	v_or3_b32 v34, v32, v20, v30
.LBB629_43:                             ;   in Loop: Header=BB629_15 Depth=1
	s_or_b64 exec, exec, s[10:11]
.LBB629_44:                             ;   in Loop: Header=BB629_15 Depth=1
	s_or_b64 exec, exec, s[6:7]
.LBB629_45:                             ;   in Loop: Header=BB629_15 Depth=1
	s_or_b64 exec, exec, s[4:5]
	v_lshrrev_b16_e32 v20, 8, v18
	v_cmp_ne_u16_e32 vcc, 0, v20
	v_mov_b32_e32 v30, 0
	v_mov_b32_e32 v36, 0
	s_and_saveexec_b64 s[4:5], vcc
	s_cbranch_execz .LBB629_51
; %bb.46:                               ;   in Loop: Header=BB629_15 Depth=1
	v_cmp_ne_u16_e32 vcc, s16, v20
	v_bfrev_b32_e32 v36, 1
	s_and_saveexec_b64 s[6:7], vcc
	s_cbranch_execz .LBB629_50
; %bb.47:                               ;   in Loop: Header=BB629_15 Depth=1
	v_and_b32_e32 v32, 0x7f, v20
	v_cmp_ne_u32_e32 vcc, s13, v32
	v_mov_b32_e32 v36, 0x7f800001
	s_and_saveexec_b64 s[10:11], vcc
	s_cbranch_execz .LBB629_49
; %bb.48:                               ;   in Loop: Header=BB629_15 Depth=1
	v_and_b32_e32 v38, 7, v20
	v_ffbh_u32_e32 v36, v38
	v_min_u32_e32 v40, 32, v36
	v_subrev_u32_e32 v36, 28, v40
	v_lshlrev_b64 v[36:37], v36, v[20:21]
	v_lshrrev_b32_e32 v39, 3, v32
	v_sub_u32_e32 v20, 29, v40
	v_and_b32_e32 v36, 7, v36
	v_cmp_gt_u32_e32 vcc, 8, v32
	v_cndmask_b32_e32 v20, v39, v20, vcc
	v_cndmask_b32_e32 v32, v38, v36, vcc
	v_lshlrev_b32_e32 v36, 16, v18
	v_lshlrev_b32_e32 v32, 20, v32
	v_and_b32_e32 v36, 0x80000000, v36
	v_lshl_add_u32 v20, v20, 23, v33
	v_or3_b32 v36, v36, v20, v32
.LBB629_49:                             ;   in Loop: Header=BB629_15 Depth=1
	s_or_b64 exec, exec, s[10:11]
.LBB629_50:                             ;   in Loop: Header=BB629_15 Depth=1
	s_or_b64 exec, exec, s[6:7]
.LBB629_51:                             ;   in Loop: Header=BB629_15 Depth=1
	s_or_b64 exec, exec, s[4:5]
	v_lshrrev_b32_e32 v20, 16, v18
	v_cmp_ne_u16_sdwa s[6:7], v20, v29 src0_sel:BYTE_0 src1_sel:DWORD
	s_and_saveexec_b64 s[4:5], s[6:7]
	s_cbranch_execz .LBB629_57
; %bb.52:                               ;   in Loop: Header=BB629_15 Depth=1
	v_cmp_ne_u16_sdwa s[10:11], v20, s16 src0_sel:BYTE_0 src1_sel:DWORD
	v_bfrev_b32_e32 v30, 1
	s_and_saveexec_b64 s[6:7], s[10:11]
	s_cbranch_execz .LBB629_56
; %bb.53:                               ;   in Loop: Header=BB629_15 Depth=1
	v_bfe_u32 v32, v18, 16, 7
	v_cmp_ne_u32_e32 vcc, s13, v32
	v_mov_b32_e32 v30, 0x7f800001
	s_and_saveexec_b64 s[10:11], vcc
	s_cbranch_execz .LBB629_55
; %bb.54:                               ;   in Loop: Header=BB629_15 Depth=1
	v_and_b32_e32 v30, 7, v20
	v_ffbh_u32_e32 v38, v30
	v_min_u32_e32 v40, 32, v38
	v_subrev_u32_e32 v38, 28, v40
	v_lshlrev_b64 v[38:39], v38, v[20:21]
	v_lshrrev_b32_e32 v37, 3, v32
	v_sub_u32_e32 v39, 29, v40
	v_and_b32_e32 v38, 7, v38
	v_cmp_gt_u32_e32 vcc, 8, v32
	v_cndmask_b32_e32 v32, v37, v39, vcc
	v_cndmask_b32_e32 v30, v30, v38, vcc
	v_lshlrev_b32_e32 v20, 24, v20
	v_lshlrev_b32_e32 v30, 20, v30
	v_and_b32_e32 v20, 0x80000000, v20
	v_lshl_add_u32 v32, v32, 23, v33
	v_or3_b32 v30, v20, v32, v30
.LBB629_55:                             ;   in Loop: Header=BB629_15 Depth=1
	s_or_b64 exec, exec, s[10:11]
.LBB629_56:                             ;   in Loop: Header=BB629_15 Depth=1
	s_or_b64 exec, exec, s[6:7]
.LBB629_57:                             ;   in Loop: Header=BB629_15 Depth=1
	s_or_b64 exec, exec, s[4:5]
	v_cmp_lt_u32_e32 vcc, s14, v18
	v_mov_b32_e32 v32, 0
	v_mov_b32_e32 v37, 0
	s_and_saveexec_b64 s[4:5], vcc
	s_cbranch_execz .LBB629_63
; %bb.58:                               ;   in Loop: Header=BB629_15 Depth=1
	v_lshrrev_b32_e32 v20, 24, v18
	v_cmp_ne_u32_e32 vcc, s16, v20
	v_bfrev_b32_e32 v37, 1
	s_and_saveexec_b64 s[6:7], vcc
	s_cbranch_execz .LBB629_62
; %bb.59:                               ;   in Loop: Header=BB629_15 Depth=1
	v_bfe_u32 v18, v18, 24, 7
	v_cmp_ne_u32_e32 vcc, s13, v18
	v_mov_b32_e32 v37, 0x7f800001
	s_and_saveexec_b64 s[10:11], vcc
	s_cbranch_execz .LBB629_61
; %bb.60:                               ;   in Loop: Header=BB629_15 Depth=1
	v_and_b32_e32 v37, 7, v20
	v_ffbh_u32_e32 v38, v37
	v_min_u32_e32 v41, 32, v38
	v_subrev_u32_e32 v38, 28, v41
	v_lshlrev_b64 v[38:39], v38, v[20:21]
	v_lshrrev_b32_e32 v40, 3, v18
	v_sub_u32_e32 v39, 29, v41
	v_and_b32_e32 v38, 7, v38
	v_cmp_gt_u32_e32 vcc, 8, v18
	v_cndmask_b32_e32 v18, v40, v39, vcc
	v_cndmask_b32_e32 v37, v37, v38, vcc
	v_lshlrev_b32_e32 v20, 24, v20
	v_lshlrev_b32_e32 v37, 20, v37
	v_and_b32_e32 v20, 0x80000000, v20
	v_lshl_add_u32 v18, v18, 23, v33
	v_or3_b32 v37, v20, v18, v37
.LBB629_61:                             ;   in Loop: Header=BB629_15 Depth=1
	s_or_b64 exec, exec, s[10:11]
.LBB629_62:                             ;   in Loop: Header=BB629_15 Depth=1
	s_or_b64 exec, exec, s[6:7]
.LBB629_63:                             ;   in Loop: Header=BB629_15 Depth=1
	s_or_b64 exec, exec, s[4:5]
	v_cvt_pkrtz_f16_f32 v18, v19, v23
	v_cvt_pkrtz_f16_f32 v19, v21, v35
	;; [unrolled: 1-line block ×4, first 2 shown]
	s_waitcnt vmcnt(1)
	v_cmp_ne_u16_sdwa s[6:7], v28, v29 src0_sel:BYTE_0 src1_sel:DWORD
	v_mfma_f32_16x16x16f16 v[18:21], v[18:19], v[2:3], 0
	v_mfma_f32_16x16x16f16 v[18:21], v[34:35], v[4:5], v[18:21]
	s_and_saveexec_b64 s[4:5], s[6:7]
	s_cbranch_execz .LBB629_69
; %bb.64:                               ;   in Loop: Header=BB629_15 Depth=1
	v_cmp_ne_u16_sdwa s[10:11], v28, s16 src0_sel:BYTE_0 src1_sel:DWORD
	v_bfrev_b32_e32 v32, 1
	s_and_saveexec_b64 s[6:7], s[10:11]
	s_cbranch_execz .LBB629_68
; %bb.65:                               ;   in Loop: Header=BB629_15 Depth=1
	v_and_b32_e32 v23, 0x7f, v28
	v_cmp_ne_u32_e32 vcc, s13, v23
	v_mov_b32_e32 v32, 0x7f800001
	s_and_saveexec_b64 s[10:11], vcc
	s_cbranch_execz .LBB629_67
; %bb.66:                               ;   in Loop: Header=BB629_15 Depth=1
	v_and_b32_e32 v30, 7, v28
	v_ffbh_u32_e32 v34, v30
	v_min_u32_e32 v36, 32, v34
	v_subrev_u32_e32 v34, 28, v36
	v_lshlrev_b64 v[34:35], v34, v[28:29]
	v_lshrrev_b32_e32 v32, 3, v23
	v_sub_u32_e32 v35, 29, v36
	v_and_b32_e32 v34, 7, v34
	v_cmp_gt_u32_e32 vcc, 8, v23
	v_cndmask_b32_e32 v23, v32, v35, vcc
	v_cndmask_b32_e32 v30, v30, v34, vcc
	v_lshlrev_b32_e32 v32, 24, v28
	v_lshlrev_b32_e32 v30, 20, v30
	v_and_b32_e32 v32, 0x80000000, v32
	v_lshl_add_u32 v23, v23, 23, v33
	v_or3_b32 v32, v32, v23, v30
.LBB629_67:                             ;   in Loop: Header=BB629_15 Depth=1
	s_or_b64 exec, exec, s[10:11]
.LBB629_68:                             ;   in Loop: Header=BB629_15 Depth=1
	s_or_b64 exec, exec, s[6:7]
.LBB629_69:                             ;   in Loop: Header=BB629_15 Depth=1
	s_or_b64 exec, exec, s[4:5]
	v_lshrrev_b16_e32 v30, 8, v28
	v_cmp_ne_u16_e32 vcc, 0, v30
	v_mov_b32_e32 v34, 0
	v_mov_b32_e32 v35, 0
	s_and_saveexec_b64 s[4:5], vcc
	s_cbranch_execz .LBB629_75
; %bb.70:                               ;   in Loop: Header=BB629_15 Depth=1
	v_cmp_ne_u16_e32 vcc, s16, v30
	v_bfrev_b32_e32 v35, 1
	s_and_saveexec_b64 s[6:7], vcc
	s_cbranch_execz .LBB629_74
; %bb.71:                               ;   in Loop: Header=BB629_15 Depth=1
	v_and_b32_e32 v23, 0x7f, v30
	v_cmp_ne_u32_e32 vcc, s13, v23
	v_mov_b32_e32 v35, 0x7f800001
	s_and_saveexec_b64 s[10:11], vcc
	s_cbranch_execz .LBB629_73
; %bb.72:                               ;   in Loop: Header=BB629_15 Depth=1
	v_and_b32_e32 v35, 7, v30
	v_ffbh_u32_e32 v36, v35
	v_min_u32_e32 v39, 32, v36
	v_subrev_u32_e32 v36, 28, v39
	v_lshlrev_b64 v[36:37], v36, v[30:31]
	v_lshrrev_b32_e32 v38, 3, v23
	v_sub_u32_e32 v30, 29, v39
	v_and_b32_e32 v36, 7, v36
	v_cmp_gt_u32_e32 vcc, 8, v23
	v_cndmask_b32_e32 v23, v38, v30, vcc
	v_cndmask_b32_e32 v30, v35, v36, vcc
	v_lshlrev_b32_e32 v35, 16, v28
	v_lshlrev_b32_e32 v30, 20, v30
	v_and_b32_e32 v35, 0x80000000, v35
	v_lshl_add_u32 v23, v23, 23, v33
	v_or3_b32 v35, v35, v23, v30
.LBB629_73:                             ;   in Loop: Header=BB629_15 Depth=1
	s_or_b64 exec, exec, s[10:11]
.LBB629_74:                             ;   in Loop: Header=BB629_15 Depth=1
	s_or_b64 exec, exec, s[6:7]
.LBB629_75:                             ;   in Loop: Header=BB629_15 Depth=1
	s_or_b64 exec, exec, s[4:5]
	v_lshrrev_b32_e32 v30, 16, v28
	v_cmp_ne_u16_sdwa s[6:7], v30, v29 src0_sel:BYTE_0 src1_sel:DWORD
	s_and_saveexec_b64 s[4:5], s[6:7]
	s_cbranch_execz .LBB629_81
; %bb.76:                               ;   in Loop: Header=BB629_15 Depth=1
	v_cmp_ne_u16_sdwa s[10:11], v30, s16 src0_sel:BYTE_0 src1_sel:DWORD
	v_bfrev_b32_e32 v34, 1
	s_and_saveexec_b64 s[6:7], s[10:11]
	s_cbranch_execz .LBB629_80
; %bb.77:                               ;   in Loop: Header=BB629_15 Depth=1
	v_bfe_u32 v23, v28, 16, 7
	v_cmp_ne_u32_e32 vcc, s13, v23
	v_mov_b32_e32 v34, 0x7f800001
	s_and_saveexec_b64 s[10:11], vcc
	s_cbranch_execz .LBB629_79
; %bb.78:                               ;   in Loop: Header=BB629_15 Depth=1
	v_and_b32_e32 v34, 7, v30
	v_ffbh_u32_e32 v36, v34
	v_min_u32_e32 v39, 32, v36
	v_subrev_u32_e32 v36, 28, v39
	v_lshlrev_b64 v[36:37], v36, v[30:31]
	v_lshrrev_b32_e32 v38, 3, v23
	v_sub_u32_e32 v37, 29, v39
	v_and_b32_e32 v36, 7, v36
	v_cmp_gt_u32_e32 vcc, 8, v23
	v_cndmask_b32_e32 v23, v38, v37, vcc
	v_cndmask_b32_e32 v34, v34, v36, vcc
	v_lshlrev_b32_e32 v30, 24, v30
	v_lshlrev_b32_e32 v34, 20, v34
	v_and_b32_e32 v30, 0x80000000, v30
	v_lshl_add_u32 v23, v23, 23, v33
	v_or3_b32 v34, v30, v23, v34
.LBB629_79:                             ;   in Loop: Header=BB629_15 Depth=1
	s_or_b64 exec, exec, s[10:11]
.LBB629_80:                             ;   in Loop: Header=BB629_15 Depth=1
	s_or_b64 exec, exec, s[6:7]
.LBB629_81:                             ;   in Loop: Header=BB629_15 Depth=1
	s_or_b64 exec, exec, s[4:5]
	v_cmp_lt_u32_e32 vcc, s14, v28
	v_mov_b32_e32 v36, 0
	v_mov_b32_e32 v37, 0
	s_and_saveexec_b64 s[4:5], vcc
	s_cbranch_execz .LBB629_87
; %bb.82:                               ;   in Loop: Header=BB629_15 Depth=1
	v_lshrrev_b32_e32 v30, 24, v28
	v_cmp_ne_u32_e32 vcc, s16, v30
	v_bfrev_b32_e32 v37, 1
	s_and_saveexec_b64 s[6:7], vcc
	s_cbranch_execz .LBB629_86
; %bb.83:                               ;   in Loop: Header=BB629_15 Depth=1
	v_bfe_u32 v23, v28, 24, 7
	v_cmp_ne_u32_e32 vcc, s13, v23
	v_mov_b32_e32 v37, 0x7f800001
	s_and_saveexec_b64 s[10:11], vcc
	s_cbranch_execz .LBB629_85
; %bb.84:                               ;   in Loop: Header=BB629_15 Depth=1
	v_and_b32_e32 v28, 7, v30
	v_ffbh_u32_e32 v38, v28
	v_min_u32_e32 v40, 32, v38
	v_subrev_u32_e32 v38, 28, v40
	v_lshlrev_b64 v[38:39], v38, v[30:31]
	v_lshrrev_b32_e32 v37, 3, v23
	v_sub_u32_e32 v39, 29, v40
	v_and_b32_e32 v38, 7, v38
	v_cmp_gt_u32_e32 vcc, 8, v23
	v_cndmask_b32_e32 v23, v37, v39, vcc
	v_cndmask_b32_e32 v28, v28, v38, vcc
	v_lshlrev_b32_e32 v30, 24, v30
	v_lshlrev_b32_e32 v28, 20, v28
	v_and_b32_e32 v30, 0x80000000, v30
	v_lshl_add_u32 v23, v23, 23, v33
	v_or3_b32 v37, v30, v23, v28
.LBB629_85:                             ;   in Loop: Header=BB629_15 Depth=1
	s_or_b64 exec, exec, s[10:11]
.LBB629_86:                             ;   in Loop: Header=BB629_15 Depth=1
	s_or_b64 exec, exec, s[6:7]
.LBB629_87:                             ;   in Loop: Header=BB629_15 Depth=1
	s_or_b64 exec, exec, s[4:5]
	s_waitcnt vmcnt(0)
	v_cmp_ne_u16_sdwa s[6:7], v26, v29 src0_sel:BYTE_0 src1_sel:DWORD
	s_and_saveexec_b64 s[4:5], s[6:7]
	s_cbranch_execz .LBB629_93
; %bb.88:                               ;   in Loop: Header=BB629_15 Depth=1
	v_cmp_ne_u16_sdwa s[10:11], v26, s16 src0_sel:BYTE_0 src1_sel:DWORD
	v_bfrev_b32_e32 v36, 1
	s_and_saveexec_b64 s[6:7], s[10:11]
	s_cbranch_execz .LBB629_92
; %bb.89:                               ;   in Loop: Header=BB629_15 Depth=1
	v_and_b32_e32 v23, 0x7f, v26
	v_cmp_ne_u32_e32 vcc, s13, v23
	v_mov_b32_e32 v36, 0x7f800001
	s_and_saveexec_b64 s[10:11], vcc
	s_cbranch_execz .LBB629_91
; %bb.90:                               ;   in Loop: Header=BB629_15 Depth=1
	v_and_b32_e32 v28, 7, v26
	v_ffbh_u32_e32 v36, v28
	v_min_u32_e32 v36, 32, v36
	v_subrev_u32_e32 v38, 28, v36
	v_lshlrev_b64 v[38:39], v38, v[26:27]
	v_lshrrev_b32_e32 v30, 3, v23
	v_sub_u32_e32 v36, 29, v36
	v_and_b32_e32 v38, 7, v38
	v_cmp_gt_u32_e32 vcc, 8, v23
	v_cndmask_b32_e32 v23, v30, v36, vcc
	v_cndmask_b32_e32 v28, v28, v38, vcc
	v_lshlrev_b32_e32 v30, 24, v26
	v_lshlrev_b32_e32 v28, 20, v28
	v_and_b32_e32 v30, 0x80000000, v30
	v_lshl_add_u32 v23, v23, 23, v33
	v_or3_b32 v36, v30, v23, v28
.LBB629_91:                             ;   in Loop: Header=BB629_15 Depth=1
	s_or_b64 exec, exec, s[10:11]
.LBB629_92:                             ;   in Loop: Header=BB629_15 Depth=1
	s_or_b64 exec, exec, s[6:7]
.LBB629_93:                             ;   in Loop: Header=BB629_15 Depth=1
	s_or_b64 exec, exec, s[4:5]
	v_lshrrev_b16_e32 v28, 8, v26
	v_cmp_ne_u16_e32 vcc, 0, v28
	v_mov_b32_e32 v38, 0
	v_mov_b32_e32 v39, 0
	s_and_saveexec_b64 s[4:5], vcc
	s_cbranch_execz .LBB629_99
; %bb.94:                               ;   in Loop: Header=BB629_15 Depth=1
	v_cmp_ne_u16_e32 vcc, s16, v28
	v_bfrev_b32_e32 v39, 1
	s_and_saveexec_b64 s[6:7], vcc
	s_cbranch_execz .LBB629_98
; %bb.95:                               ;   in Loop: Header=BB629_15 Depth=1
	v_and_b32_e32 v23, 0x7f, v28
	v_cmp_ne_u32_e32 vcc, s13, v23
	v_mov_b32_e32 v39, 0x7f800001
	s_and_saveexec_b64 s[10:11], vcc
	s_cbranch_execz .LBB629_97
; %bb.96:                               ;   in Loop: Header=BB629_15 Depth=1
	v_and_b32_e32 v30, 7, v28
	v_ffbh_u32_e32 v40, v30
	v_min_u32_e32 v42, 32, v40
	v_subrev_u32_e32 v40, 28, v42
	v_lshlrev_b64 v[40:41], v40, v[28:29]
	v_lshrrev_b32_e32 v39, 3, v23
	v_sub_u32_e32 v28, 29, v42
	v_and_b32_e32 v40, 7, v40
	v_cmp_gt_u32_e32 vcc, 8, v23
	v_cndmask_b32_e32 v23, v39, v28, vcc
	v_cndmask_b32_e32 v28, v30, v40, vcc
	v_lshlrev_b32_e32 v30, 16, v26
	v_lshlrev_b32_e32 v28, 20, v28
	v_and_b32_e32 v30, 0x80000000, v30
	v_lshl_add_u32 v23, v23, 23, v33
	v_or3_b32 v39, v30, v23, v28
.LBB629_97:                             ;   in Loop: Header=BB629_15 Depth=1
	s_or_b64 exec, exec, s[10:11]
.LBB629_98:                             ;   in Loop: Header=BB629_15 Depth=1
	s_or_b64 exec, exec, s[6:7]
.LBB629_99:                             ;   in Loop: Header=BB629_15 Depth=1
	s_or_b64 exec, exec, s[4:5]
	v_lshrrev_b32_e32 v28, 16, v26
	v_cmp_ne_u16_sdwa s[6:7], v28, v29 src0_sel:BYTE_0 src1_sel:DWORD
	s_and_saveexec_b64 s[4:5], s[6:7]
	s_cbranch_execz .LBB629_105
; %bb.100:                              ;   in Loop: Header=BB629_15 Depth=1
	v_cmp_ne_u16_sdwa s[10:11], v28, s16 src0_sel:BYTE_0 src1_sel:DWORD
	v_bfrev_b32_e32 v38, 1
	s_and_saveexec_b64 s[6:7], s[10:11]
	s_cbranch_execz .LBB629_104
; %bb.101:                              ;   in Loop: Header=BB629_15 Depth=1
	v_bfe_u32 v23, v26, 16, 7
	v_cmp_ne_u32_e32 vcc, s13, v23
	v_mov_b32_e32 v38, 0x7f800001
	s_and_saveexec_b64 s[10:11], vcc
	s_cbranch_execz .LBB629_103
; %bb.102:                              ;   in Loop: Header=BB629_15 Depth=1
	v_and_b32_e32 v30, 7, v28
	v_ffbh_u32_e32 v40, v30
	v_min_u32_e32 v42, 32, v40
	v_subrev_u32_e32 v40, 28, v42
	v_lshlrev_b64 v[40:41], v40, v[28:29]
	v_lshrrev_b32_e32 v38, 3, v23
	v_sub_u32_e32 v41, 29, v42
	v_and_b32_e32 v40, 7, v40
	v_cmp_gt_u32_e32 vcc, 8, v23
	v_cndmask_b32_e32 v23, v38, v41, vcc
	v_cndmask_b32_e32 v30, v30, v40, vcc
	v_lshlrev_b32_e32 v28, 24, v28
	v_lshlrev_b32_e32 v30, 20, v30
	v_and_b32_e32 v28, 0x80000000, v28
	v_lshl_add_u32 v23, v23, 23, v33
	v_or3_b32 v38, v28, v23, v30
.LBB629_103:                            ;   in Loop: Header=BB629_15 Depth=1
	s_or_b64 exec, exec, s[10:11]
.LBB629_104:                            ;   in Loop: Header=BB629_15 Depth=1
	s_or_b64 exec, exec, s[6:7]
.LBB629_105:                            ;   in Loop: Header=BB629_15 Depth=1
	s_or_b64 exec, exec, s[4:5]
	v_cmp_lt_u32_e32 vcc, s14, v26
	v_mov_b32_e32 v23, 0
	v_mov_b32_e32 v40, 0
	s_and_saveexec_b64 s[4:5], vcc
	s_cbranch_execz .LBB629_111
; %bb.106:                              ;   in Loop: Header=BB629_15 Depth=1
	v_lshrrev_b32_e32 v28, 24, v26
	v_cmp_ne_u32_e32 vcc, s16, v28
	v_bfrev_b32_e32 v40, 1
	s_and_saveexec_b64 s[6:7], vcc
	s_cbranch_execz .LBB629_110
; %bb.107:                              ;   in Loop: Header=BB629_15 Depth=1
	v_bfe_u32 v26, v26, 24, 7
	v_cmp_ne_u32_e32 vcc, s13, v26
	v_mov_b32_e32 v40, 0x7f800001
	s_and_saveexec_b64 s[10:11], vcc
	s_cbranch_execz .LBB629_109
; %bb.108:                              ;   in Loop: Header=BB629_15 Depth=1
	v_and_b32_e32 v30, 7, v28
	v_ffbh_u32_e32 v40, v30
	v_min_u32_e32 v43, 32, v40
	v_subrev_u32_e32 v40, 28, v43
	v_lshlrev_b64 v[40:41], v40, v[28:29]
	v_lshrrev_b32_e32 v42, 3, v26
	v_sub_u32_e32 v41, 29, v43
	v_and_b32_e32 v40, 7, v40
	v_cmp_gt_u32_e32 vcc, 8, v26
	v_cndmask_b32_e32 v26, v42, v41, vcc
	v_cndmask_b32_e32 v30, v30, v40, vcc
	v_lshlrev_b32_e32 v28, 24, v28
	v_lshlrev_b32_e32 v30, 20, v30
	v_and_b32_e32 v28, 0x80000000, v28
	v_lshl_add_u32 v26, v26, 23, v33
	v_or3_b32 v40, v28, v26, v30
.LBB629_109:                            ;   in Loop: Header=BB629_15 Depth=1
	s_or_b64 exec, exec, s[10:11]
.LBB629_110:                            ;   in Loop: Header=BB629_15 Depth=1
	s_or_b64 exec, exec, s[6:7]
.LBB629_111:                            ;   in Loop: Header=BB629_15 Depth=1
	s_or_b64 exec, exec, s[4:5]
	v_cvt_pkrtz_f16_f32 v42, v32, v35
	buffer_load_dword v32, v27, s[0:3], 0 offen offset:16
	buffer_load_dword v30, v27, s[0:3], 0 offen offset:20
	;; [unrolled: 1-line block ×4, first 2 shown]
	v_cvt_pkrtz_f16_f32 v43, v34, v37
	v_cvt_pkrtz_f16_f32 v34, v36, v39
	;; [unrolled: 1-line block ×3, first 2 shown]
	v_mfma_f32_16x16x16f16 v[18:21], v[42:43], v[6:7], v[18:21]
	s_waitcnt vmcnt(3)
	v_cmp_ne_u16_sdwa s[6:7], v32, v29 src0_sel:BYTE_0 src1_sel:DWORD
	v_mfma_f32_16x16x16f16 v[18:21], v[34:35], v[8:9], v[18:21]
	s_and_saveexec_b64 s[4:5], s[6:7]
	s_cbranch_execz .LBB629_117
; %bb.112:                              ;   in Loop: Header=BB629_15 Depth=1
	v_cmp_ne_u16_sdwa s[10:11], v32, s16 src0_sel:BYTE_0 src1_sel:DWORD
	v_bfrev_b32_e32 v23, 1
	s_and_saveexec_b64 s[6:7], s[10:11]
	s_cbranch_execz .LBB629_116
; %bb.113:                              ;   in Loop: Header=BB629_15 Depth=1
	v_and_b32_e32 v34, 0x7f, v32
	v_cmp_ne_u32_e32 vcc, s13, v34
	v_mov_b32_e32 v23, 0x7f800001
	s_and_saveexec_b64 s[10:11], vcc
	s_cbranch_execz .LBB629_115
; %bb.114:                              ;   in Loop: Header=BB629_15 Depth=1
	v_and_b32_e32 v23, 7, v32
	v_ffbh_u32_e32 v36, v23
	v_min_u32_e32 v38, 32, v36
	v_subrev_u32_e32 v36, 28, v38
	v_lshlrev_b64 v[36:37], v36, v[32:33]
	v_lshrrev_b32_e32 v35, 3, v34
	v_sub_u32_e32 v37, 29, v38
	v_and_b32_e32 v36, 7, v36
	v_cmp_gt_u32_e32 vcc, 8, v34
	v_cndmask_b32_e32 v34, v35, v37, vcc
	v_cndmask_b32_e32 v23, v23, v36, vcc
	v_lshlrev_b32_e32 v35, 24, v32
	v_lshlrev_b32_e32 v23, 20, v23
	v_and_b32_e32 v35, 0x80000000, v35
	v_lshl_add_u32 v34, v34, 23, v33
	v_or3_b32 v23, v35, v34, v23
.LBB629_115:                            ;   in Loop: Header=BB629_15 Depth=1
	s_or_b64 exec, exec, s[10:11]
.LBB629_116:                            ;   in Loop: Header=BB629_15 Depth=1
	s_or_b64 exec, exec, s[6:7]
.LBB629_117:                            ;   in Loop: Header=BB629_15 Depth=1
	s_or_b64 exec, exec, s[4:5]
	v_lshrrev_b16_e32 v34, 8, v32
	v_cmp_ne_u16_e32 vcc, 0, v34
	v_mov_b32_e32 v35, 0
	v_mov_b32_e32 v36, 0
	s_and_saveexec_b64 s[4:5], vcc
	s_cbranch_execz .LBB629_123
; %bb.118:                              ;   in Loop: Header=BB629_15 Depth=1
	v_cmp_ne_u16_e32 vcc, s16, v34
	v_bfrev_b32_e32 v36, 1
	s_and_saveexec_b64 s[6:7], vcc
	s_cbranch_execz .LBB629_122
; %bb.119:                              ;   in Loop: Header=BB629_15 Depth=1
	v_and_b32_e32 v37, 0x7f, v34
	v_cmp_ne_u32_e32 vcc, s13, v37
	v_mov_b32_e32 v36, 0x7f800001
	s_and_saveexec_b64 s[10:11], vcc
	s_cbranch_execz .LBB629_121
; %bb.120:                              ;   in Loop: Header=BB629_15 Depth=1
	v_and_b32_e32 v36, 7, v34
	v_ffbh_u32_e32 v38, v36
	v_min_u32_e32 v41, 32, v38
	v_subrev_u32_e32 v38, 28, v41
	v_lshlrev_b64 v[38:39], v38, v[34:35]
	v_lshrrev_b32_e32 v40, 3, v37
	v_sub_u32_e32 v34, 29, v41
	v_and_b32_e32 v38, 7, v38
	v_cmp_gt_u32_e32 vcc, 8, v37
	v_cndmask_b32_e32 v34, v40, v34, vcc
	v_cndmask_b32_e32 v36, v36, v38, vcc
	v_lshlrev_b32_e32 v37, 16, v32
	v_lshlrev_b32_e32 v36, 20, v36
	v_and_b32_e32 v37, 0x80000000, v37
	v_lshl_add_u32 v34, v34, 23, v33
	v_or3_b32 v36, v37, v34, v36
.LBB629_121:                            ;   in Loop: Header=BB629_15 Depth=1
	s_or_b64 exec, exec, s[10:11]
.LBB629_122:                            ;   in Loop: Header=BB629_15 Depth=1
	s_or_b64 exec, exec, s[6:7]
.LBB629_123:                            ;   in Loop: Header=BB629_15 Depth=1
	s_or_b64 exec, exec, s[4:5]
	v_lshrrev_b32_e32 v34, 16, v32
	v_cmp_ne_u16_sdwa s[6:7], v34, v29 src0_sel:BYTE_0 src1_sel:DWORD
	s_and_saveexec_b64 s[4:5], s[6:7]
	s_cbranch_execz .LBB629_129
; %bb.124:                              ;   in Loop: Header=BB629_15 Depth=1
	v_cmp_ne_u16_sdwa s[10:11], v34, s16 src0_sel:BYTE_0 src1_sel:DWORD
	v_bfrev_b32_e32 v35, 1
	s_and_saveexec_b64 s[6:7], s[10:11]
	s_cbranch_execz .LBB629_128
; %bb.125:                              ;   in Loop: Header=BB629_15 Depth=1
	v_bfe_u32 v37, v32, 16, 7
	v_cmp_ne_u32_e32 vcc, s13, v37
	v_mov_b32_e32 v35, 0x7f800001
	s_and_saveexec_b64 s[10:11], vcc
	s_cbranch_execz .LBB629_127
; %bb.126:                              ;   in Loop: Header=BB629_15 Depth=1
	v_and_b32_e32 v35, 7, v34
	v_ffbh_u32_e32 v38, v35
	v_min_u32_e32 v41, 32, v38
	v_subrev_u32_e32 v38, 28, v41
	v_lshlrev_b64 v[38:39], v38, v[34:35]
	v_lshrrev_b32_e32 v40, 3, v37
	v_sub_u32_e32 v39, 29, v41
	v_and_b32_e32 v38, 7, v38
	v_cmp_gt_u32_e32 vcc, 8, v37
	v_cndmask_b32_e32 v37, v40, v39, vcc
	v_cndmask_b32_e32 v35, v35, v38, vcc
	v_lshlrev_b32_e32 v34, 24, v34
	v_lshlrev_b32_e32 v35, 20, v35
	v_and_b32_e32 v34, 0x80000000, v34
	v_lshl_add_u32 v37, v37, 23, v33
	v_or3_b32 v35, v34, v37, v35
.LBB629_127:                            ;   in Loop: Header=BB629_15 Depth=1
	s_or_b64 exec, exec, s[10:11]
.LBB629_128:                            ;   in Loop: Header=BB629_15 Depth=1
	s_or_b64 exec, exec, s[6:7]
.LBB629_129:                            ;   in Loop: Header=BB629_15 Depth=1
	s_or_b64 exec, exec, s[4:5]
	v_cmp_lt_u32_e32 vcc, s14, v32
	v_mov_b32_e32 v37, 0
	v_mov_b32_e32 v38, 0
	s_and_saveexec_b64 s[4:5], vcc
	s_cbranch_execz .LBB629_135
; %bb.130:                              ;   in Loop: Header=BB629_15 Depth=1
	v_lshrrev_b32_e32 v34, 24, v32
	v_cmp_ne_u32_e32 vcc, s16, v34
	v_bfrev_b32_e32 v38, 1
	s_and_saveexec_b64 s[6:7], vcc
	s_cbranch_execz .LBB629_134
; %bb.131:                              ;   in Loop: Header=BB629_15 Depth=1
	v_bfe_u32 v32, v32, 24, 7
	v_cmp_ne_u32_e32 vcc, s13, v32
	v_mov_b32_e32 v38, 0x7f800001
	s_and_saveexec_b64 s[10:11], vcc
	s_cbranch_execz .LBB629_133
; %bb.132:                              ;   in Loop: Header=BB629_15 Depth=1
	v_and_b32_e32 v40, 7, v34
	v_ffbh_u32_e32 v38, v40
	v_min_u32_e32 v42, 32, v38
	v_subrev_u32_e32 v38, 28, v42
	v_lshlrev_b64 v[38:39], v38, v[34:35]
	v_lshrrev_b32_e32 v41, 3, v32
	v_sub_u32_e32 v39, 29, v42
	v_and_b32_e32 v38, 7, v38
	v_cmp_gt_u32_e32 vcc, 8, v32
	v_cndmask_b32_e32 v32, v41, v39, vcc
	v_cndmask_b32_e32 v38, v40, v38, vcc
	v_lshlrev_b32_e32 v34, 24, v34
	v_lshlrev_b32_e32 v38, 20, v38
	v_and_b32_e32 v34, 0x80000000, v34
	v_lshl_add_u32 v32, v32, 23, v33
	v_or3_b32 v38, v34, v32, v38
.LBB629_133:                            ;   in Loop: Header=BB629_15 Depth=1
	s_or_b64 exec, exec, s[10:11]
.LBB629_134:                            ;   in Loop: Header=BB629_15 Depth=1
	s_or_b64 exec, exec, s[6:7]
.LBB629_135:                            ;   in Loop: Header=BB629_15 Depth=1
	s_or_b64 exec, exec, s[4:5]
	s_waitcnt vmcnt(2)
	v_cmp_ne_u16_sdwa s[6:7], v30, v29 src0_sel:BYTE_0 src1_sel:DWORD
	s_and_saveexec_b64 s[4:5], s[6:7]
	s_cbranch_execz .LBB629_141
; %bb.136:                              ;   in Loop: Header=BB629_15 Depth=1
	v_cmp_ne_u16_sdwa s[10:11], v30, s16 src0_sel:BYTE_0 src1_sel:DWORD
	v_bfrev_b32_e32 v37, 1
	s_and_saveexec_b64 s[6:7], s[10:11]
	s_cbranch_execz .LBB629_140
; %bb.137:                              ;   in Loop: Header=BB629_15 Depth=1
	v_and_b32_e32 v32, 0x7f, v30
	v_cmp_ne_u32_e32 vcc, s13, v32
	v_mov_b32_e32 v37, 0x7f800001
	s_and_saveexec_b64 s[10:11], vcc
	s_cbranch_execz .LBB629_139
; %bb.138:                              ;   in Loop: Header=BB629_15 Depth=1
	v_and_b32_e32 v34, 7, v30
	v_ffbh_u32_e32 v39, v34
	v_min_u32_e32 v39, 32, v39
	v_subrev_u32_e32 v40, 28, v39
	v_lshlrev_b64 v[40:41], v40, v[30:31]
	v_lshrrev_b32_e32 v37, 3, v32
	v_sub_u32_e32 v39, 29, v39
	v_and_b32_e32 v40, 7, v40
	v_cmp_gt_u32_e32 vcc, 8, v32
	v_cndmask_b32_e32 v32, v37, v39, vcc
	v_cndmask_b32_e32 v34, v34, v40, vcc
	v_lshlrev_b32_e32 v37, 24, v30
	v_lshlrev_b32_e32 v34, 20, v34
	v_and_b32_e32 v37, 0x80000000, v37
	v_lshl_add_u32 v32, v32, 23, v33
	v_or3_b32 v37, v37, v32, v34
.LBB629_139:                            ;   in Loop: Header=BB629_15 Depth=1
	s_or_b64 exec, exec, s[10:11]
.LBB629_140:                            ;   in Loop: Header=BB629_15 Depth=1
	s_or_b64 exec, exec, s[6:7]
.LBB629_141:                            ;   in Loop: Header=BB629_15 Depth=1
	s_or_b64 exec, exec, s[4:5]
	v_lshrrev_b16_e32 v32, 8, v30
	v_cmp_ne_u16_e32 vcc, 0, v32
	v_mov_b32_e32 v39, 0
	v_mov_b32_e32 v40, 0
	s_and_saveexec_b64 s[4:5], vcc
	s_cbranch_execz .LBB629_147
; %bb.142:                              ;   in Loop: Header=BB629_15 Depth=1
	v_cmp_ne_u16_e32 vcc, s16, v32
	v_bfrev_b32_e32 v40, 1
	s_and_saveexec_b64 s[6:7], vcc
	s_cbranch_execz .LBB629_146
; %bb.143:                              ;   in Loop: Header=BB629_15 Depth=1
	v_and_b32_e32 v34, 0x7f, v32
	v_cmp_ne_u32_e32 vcc, s13, v34
	v_mov_b32_e32 v40, 0x7f800001
	s_and_saveexec_b64 s[10:11], vcc
	s_cbranch_execz .LBB629_145
; %bb.144:                              ;   in Loop: Header=BB629_15 Depth=1
	v_and_b32_e32 v42, 7, v32
	v_ffbh_u32_e32 v40, v42
	v_min_u32_e32 v44, 32, v40
	v_subrev_u32_e32 v40, 28, v44
	v_lshlrev_b64 v[40:41], v40, v[32:33]
	v_lshrrev_b32_e32 v43, 3, v34
	v_sub_u32_e32 v32, 29, v44
	v_and_b32_e32 v40, 7, v40
	v_cmp_gt_u32_e32 vcc, 8, v34
	v_cndmask_b32_e32 v32, v43, v32, vcc
	v_cndmask_b32_e32 v34, v42, v40, vcc
	v_lshlrev_b32_e32 v40, 16, v30
	v_lshlrev_b32_e32 v34, 20, v34
	v_and_b32_e32 v40, 0x80000000, v40
	v_lshl_add_u32 v32, v32, 23, v33
	v_or3_b32 v40, v40, v32, v34
.LBB629_145:                            ;   in Loop: Header=BB629_15 Depth=1
	s_or_b64 exec, exec, s[10:11]
.LBB629_146:                            ;   in Loop: Header=BB629_15 Depth=1
	s_or_b64 exec, exec, s[6:7]
.LBB629_147:                            ;   in Loop: Header=BB629_15 Depth=1
	s_or_b64 exec, exec, s[4:5]
	v_lshrrev_b32_e32 v32, 16, v30
	v_cmp_ne_u16_sdwa s[6:7], v32, v29 src0_sel:BYTE_0 src1_sel:DWORD
	s_and_saveexec_b64 s[4:5], s[6:7]
	s_cbranch_execz .LBB629_153
; %bb.148:                              ;   in Loop: Header=BB629_15 Depth=1
	v_cmp_ne_u16_sdwa s[10:11], v32, s16 src0_sel:BYTE_0 src1_sel:DWORD
	v_bfrev_b32_e32 v39, 1
	s_and_saveexec_b64 s[6:7], s[10:11]
	s_cbranch_execz .LBB629_152
; %bb.149:                              ;   in Loop: Header=BB629_15 Depth=1
	v_bfe_u32 v34, v30, 16, 7
	v_cmp_ne_u32_e32 vcc, s13, v34
	v_mov_b32_e32 v39, 0x7f800001
	s_and_saveexec_b64 s[10:11], vcc
	s_cbranch_execz .LBB629_151
; %bb.150:                              ;   in Loop: Header=BB629_15 Depth=1
	v_and_b32_e32 v39, 7, v32
	v_ffbh_u32_e32 v42, v39
	v_min_u32_e32 v44, 32, v42
	v_subrev_u32_e32 v42, 28, v44
	v_lshlrev_b64 v[42:43], v42, v[32:33]
	v_lshrrev_b32_e32 v41, 3, v34
	v_sub_u32_e32 v43, 29, v44
	v_and_b32_e32 v42, 7, v42
	v_cmp_gt_u32_e32 vcc, 8, v34
	v_cndmask_b32_e32 v34, v41, v43, vcc
	v_cndmask_b32_e32 v39, v39, v42, vcc
	v_lshlrev_b32_e32 v32, 24, v32
	v_lshlrev_b32_e32 v39, 20, v39
	v_and_b32_e32 v32, 0x80000000, v32
	v_lshl_add_u32 v34, v34, 23, v33
	v_or3_b32 v39, v32, v34, v39
.LBB629_151:                            ;   in Loop: Header=BB629_15 Depth=1
	s_or_b64 exec, exec, s[10:11]
.LBB629_152:                            ;   in Loop: Header=BB629_15 Depth=1
	s_or_b64 exec, exec, s[6:7]
.LBB629_153:                            ;   in Loop: Header=BB629_15 Depth=1
	s_or_b64 exec, exec, s[4:5]
	v_cmp_lt_u32_e32 vcc, s14, v30
	v_mov_b32_e32 v34, 0
	v_mov_b32_e32 v41, 0
	s_and_saveexec_b64 s[4:5], vcc
	s_cbranch_execz .LBB629_159
; %bb.154:                              ;   in Loop: Header=BB629_15 Depth=1
	v_lshrrev_b32_e32 v32, 24, v30
	v_cmp_ne_u32_e32 vcc, s16, v32
	v_bfrev_b32_e32 v41, 1
	s_and_saveexec_b64 s[6:7], vcc
	s_cbranch_execz .LBB629_158
; %bb.155:                              ;   in Loop: Header=BB629_15 Depth=1
	v_bfe_u32 v30, v30, 24, 7
	v_cmp_ne_u32_e32 vcc, s13, v30
	v_mov_b32_e32 v41, 0x7f800001
	s_and_saveexec_b64 s[10:11], vcc
	s_cbranch_execz .LBB629_157
; %bb.156:                              ;   in Loop: Header=BB629_15 Depth=1
	v_and_b32_e32 v41, 7, v32
	v_ffbh_u32_e32 v42, v41
	v_min_u32_e32 v45, 32, v42
	v_subrev_u32_e32 v42, 28, v45
	v_lshlrev_b64 v[42:43], v42, v[32:33]
	v_lshrrev_b32_e32 v44, 3, v30
	v_sub_u32_e32 v43, 29, v45
	v_and_b32_e32 v42, 7, v42
	v_cmp_gt_u32_e32 vcc, 8, v30
	v_cndmask_b32_e32 v30, v44, v43, vcc
	v_cndmask_b32_e32 v41, v41, v42, vcc
	v_lshlrev_b32_e32 v32, 24, v32
	v_lshlrev_b32_e32 v41, 20, v41
	v_and_b32_e32 v32, 0x80000000, v32
	v_lshl_add_u32 v30, v30, 23, v33
	v_or3_b32 v41, v32, v30, v41
.LBB629_157:                            ;   in Loop: Header=BB629_15 Depth=1
	s_or_b64 exec, exec, s[10:11]
.LBB629_158:                            ;   in Loop: Header=BB629_15 Depth=1
	s_or_b64 exec, exec, s[6:7]
.LBB629_159:                            ;   in Loop: Header=BB629_15 Depth=1
	s_or_b64 exec, exec, s[4:5]
	v_cvt_pkrtz_f16_f32 v42, v23, v36
	v_cvt_pkrtz_f16_f32 v43, v35, v38
	;; [unrolled: 1-line block ×4, first 2 shown]
	s_waitcnt vmcnt(1)
	v_cmp_ne_u16_sdwa s[6:7], v28, v29 src0_sel:BYTE_0 src1_sel:DWORD
	v_mfma_f32_16x16x16f16 v[18:21], v[42:43], v[10:11], v[18:21]
	v_mfma_f32_16x16x16f16 v[18:21], v[36:37], v[12:13], v[18:21]
	s_and_saveexec_b64 s[4:5], s[6:7]
	s_cbranch_execz .LBB629_165
; %bb.160:                              ;   in Loop: Header=BB629_15 Depth=1
	v_cmp_ne_u16_sdwa s[10:11], v28, s16 src0_sel:BYTE_0 src1_sel:DWORD
	v_bfrev_b32_e32 v34, 1
	s_and_saveexec_b64 s[6:7], s[10:11]
	s_cbranch_execz .LBB629_164
; %bb.161:                              ;   in Loop: Header=BB629_15 Depth=1
	v_and_b32_e32 v23, 0x7f, v28
	v_cmp_ne_u32_e32 vcc, s13, v23
	v_mov_b32_e32 v34, 0x7f800001
	s_and_saveexec_b64 s[10:11], vcc
	s_cbranch_execz .LBB629_163
; %bb.162:                              ;   in Loop: Header=BB629_15 Depth=1
	v_and_b32_e32 v30, 7, v28
	v_ffbh_u32_e32 v34, v30
	v_min_u32_e32 v36, 32, v34
	v_subrev_u32_e32 v34, 28, v36
	v_lshlrev_b64 v[34:35], v34, v[28:29]
	v_lshrrev_b32_e32 v32, 3, v23
	v_sub_u32_e32 v35, 29, v36
	v_and_b32_e32 v34, 7, v34
	v_cmp_gt_u32_e32 vcc, 8, v23
	v_cndmask_b32_e32 v23, v32, v35, vcc
	v_cndmask_b32_e32 v30, v30, v34, vcc
	v_lshlrev_b32_e32 v32, 24, v28
	v_lshlrev_b32_e32 v30, 20, v30
	v_and_b32_e32 v32, 0x80000000, v32
	v_lshl_add_u32 v23, v23, 23, v33
	v_or3_b32 v34, v32, v23, v30
.LBB629_163:                            ;   in Loop: Header=BB629_15 Depth=1
	s_or_b64 exec, exec, s[10:11]
.LBB629_164:                            ;   in Loop: Header=BB629_15 Depth=1
	s_or_b64 exec, exec, s[6:7]
.LBB629_165:                            ;   in Loop: Header=BB629_15 Depth=1
	s_or_b64 exec, exec, s[4:5]
	v_lshrrev_b16_e32 v30, 8, v28
	v_cmp_ne_u16_e32 vcc, 0, v30
	v_mov_b32_e32 v23, 0
	v_mov_b32_e32 v32, 0
	s_and_saveexec_b64 s[4:5], vcc
	s_cbranch_execz .LBB629_171
; %bb.166:                              ;   in Loop: Header=BB629_15 Depth=1
	v_cmp_ne_u16_e32 vcc, s16, v30
	v_bfrev_b32_e32 v32, 1
	s_and_saveexec_b64 s[6:7], vcc
	s_cbranch_execz .LBB629_170
; %bb.167:                              ;   in Loop: Header=BB629_15 Depth=1
	v_and_b32_e32 v35, 0x7f, v30
	v_cmp_ne_u32_e32 vcc, s13, v35
	v_mov_b32_e32 v32, 0x7f800001
	s_and_saveexec_b64 s[10:11], vcc
	s_cbranch_execz .LBB629_169
; %bb.168:                              ;   in Loop: Header=BB629_15 Depth=1
	v_and_b32_e32 v32, 7, v30
	v_ffbh_u32_e32 v36, v32
	v_min_u32_e32 v39, 32, v36
	v_subrev_u32_e32 v36, 28, v39
	v_lshlrev_b64 v[36:37], v36, v[30:31]
	v_lshrrev_b32_e32 v38, 3, v35
	v_sub_u32_e32 v30, 29, v39
	v_and_b32_e32 v36, 7, v36
	v_cmp_gt_u32_e32 vcc, 8, v35
	v_cndmask_b32_e32 v30, v38, v30, vcc
	v_cndmask_b32_e32 v32, v32, v36, vcc
	v_lshlrev_b32_e32 v35, 16, v28
	v_lshlrev_b32_e32 v32, 20, v32
	v_and_b32_e32 v35, 0x80000000, v35
	v_lshl_add_u32 v30, v30, 23, v33
	v_or3_b32 v32, v35, v30, v32
.LBB629_169:                            ;   in Loop: Header=BB629_15 Depth=1
	s_or_b64 exec, exec, s[10:11]
.LBB629_170:                            ;   in Loop: Header=BB629_15 Depth=1
	s_or_b64 exec, exec, s[6:7]
.LBB629_171:                            ;   in Loop: Header=BB629_15 Depth=1
	s_or_b64 exec, exec, s[4:5]
	v_lshrrev_b32_e32 v30, 16, v28
	v_cmp_ne_u16_sdwa s[6:7], v30, v29 src0_sel:BYTE_0 src1_sel:DWORD
	s_and_saveexec_b64 s[4:5], s[6:7]
	s_cbranch_execz .LBB629_177
; %bb.172:                              ;   in Loop: Header=BB629_15 Depth=1
	v_cmp_ne_u16_sdwa s[10:11], v30, s16 src0_sel:BYTE_0 src1_sel:DWORD
	v_bfrev_b32_e32 v23, 1
	s_and_saveexec_b64 s[6:7], s[10:11]
	s_cbranch_execz .LBB629_176
; %bb.173:                              ;   in Loop: Header=BB629_15 Depth=1
	v_bfe_u32 v35, v28, 16, 7
	v_cmp_ne_u32_e32 vcc, s13, v35
	v_mov_b32_e32 v23, 0x7f800001
	s_and_saveexec_b64 s[10:11], vcc
	s_cbranch_execz .LBB629_175
; %bb.174:                              ;   in Loop: Header=BB629_15 Depth=1
	v_and_b32_e32 v23, 7, v30
	v_ffbh_u32_e32 v36, v23
	v_min_u32_e32 v39, 32, v36
	v_subrev_u32_e32 v36, 28, v39
	v_lshlrev_b64 v[36:37], v36, v[30:31]
	v_lshrrev_b32_e32 v38, 3, v35
	v_sub_u32_e32 v37, 29, v39
	v_and_b32_e32 v36, 7, v36
	v_cmp_gt_u32_e32 vcc, 8, v35
	v_cndmask_b32_e32 v35, v38, v37, vcc
	v_cndmask_b32_e32 v23, v23, v36, vcc
	v_lshlrev_b32_e32 v30, 24, v30
	v_lshlrev_b32_e32 v23, 20, v23
	v_and_b32_e32 v30, 0x80000000, v30
	v_lshl_add_u32 v35, v35, 23, v33
	v_or3_b32 v23, v30, v35, v23
.LBB629_175:                            ;   in Loop: Header=BB629_15 Depth=1
	s_or_b64 exec, exec, s[10:11]
.LBB629_176:                            ;   in Loop: Header=BB629_15 Depth=1
	s_or_b64 exec, exec, s[6:7]
.LBB629_177:                            ;   in Loop: Header=BB629_15 Depth=1
	s_or_b64 exec, exec, s[4:5]
	v_cmp_lt_u32_e32 vcc, s14, v28
	v_mov_b32_e32 v35, 0
	v_mov_b32_e32 v36, 0
	s_and_saveexec_b64 s[4:5], vcc
	s_cbranch_execz .LBB629_183
; %bb.178:                              ;   in Loop: Header=BB629_15 Depth=1
	v_lshrrev_b32_e32 v30, 24, v28
	v_cmp_ne_u32_e32 vcc, s16, v30
	v_bfrev_b32_e32 v36, 1
	s_and_saveexec_b64 s[6:7], vcc
	s_cbranch_execz .LBB629_182
; %bb.179:                              ;   in Loop: Header=BB629_15 Depth=1
	v_bfe_u32 v28, v28, 24, 7
	v_cmp_ne_u32_e32 vcc, s13, v28
	v_mov_b32_e32 v36, 0x7f800001
	s_and_saveexec_b64 s[10:11], vcc
	s_cbranch_execz .LBB629_181
; %bb.180:                              ;   in Loop: Header=BB629_15 Depth=1
	v_and_b32_e32 v38, 7, v30
	v_ffbh_u32_e32 v36, v38
	v_min_u32_e32 v40, 32, v36
	v_subrev_u32_e32 v36, 28, v40
	v_lshlrev_b64 v[36:37], v36, v[30:31]
	v_lshrrev_b32_e32 v39, 3, v28
	v_sub_u32_e32 v37, 29, v40
	v_and_b32_e32 v36, 7, v36
	v_cmp_gt_u32_e32 vcc, 8, v28
	v_cndmask_b32_e32 v28, v39, v37, vcc
	v_cndmask_b32_e32 v36, v38, v36, vcc
	v_lshlrev_b32_e32 v30, 24, v30
	v_lshlrev_b32_e32 v36, 20, v36
	v_and_b32_e32 v30, 0x80000000, v30
	v_lshl_add_u32 v28, v28, 23, v33
	v_or3_b32 v36, v30, v28, v36
.LBB629_181:                            ;   in Loop: Header=BB629_15 Depth=1
	s_or_b64 exec, exec, s[10:11]
.LBB629_182:                            ;   in Loop: Header=BB629_15 Depth=1
	s_or_b64 exec, exec, s[6:7]
.LBB629_183:                            ;   in Loop: Header=BB629_15 Depth=1
	s_or_b64 exec, exec, s[4:5]
	s_waitcnt vmcnt(0)
	v_cmp_ne_u16_sdwa s[6:7], v26, v29 src0_sel:BYTE_0 src1_sel:DWORD
	s_and_saveexec_b64 s[4:5], s[6:7]
	s_cbranch_execz .LBB629_189
; %bb.184:                              ;   in Loop: Header=BB629_15 Depth=1
	v_cmp_ne_u16_sdwa s[10:11], v26, s16 src0_sel:BYTE_0 src1_sel:DWORD
	v_bfrev_b32_e32 v35, 1
	s_and_saveexec_b64 s[6:7], s[10:11]
	s_cbranch_execz .LBB629_188
; %bb.185:                              ;   in Loop: Header=BB629_15 Depth=1
	v_and_b32_e32 v28, 0x7f, v26
	v_cmp_ne_u32_e32 vcc, s13, v28
	v_mov_b32_e32 v35, 0x7f800001
	s_and_saveexec_b64 s[10:11], vcc
	s_cbranch_execz .LBB629_187
; %bb.186:                              ;   in Loop: Header=BB629_15 Depth=1
	v_and_b32_e32 v30, 7, v26
	v_ffbh_u32_e32 v37, v30
	v_min_u32_e32 v37, 32, v37
	v_subrev_u32_e32 v38, 28, v37
	v_lshlrev_b64 v[38:39], v38, v[26:27]
	v_lshrrev_b32_e32 v35, 3, v28
	v_sub_u32_e32 v37, 29, v37
	v_and_b32_e32 v38, 7, v38
	v_cmp_gt_u32_e32 vcc, 8, v28
	v_cndmask_b32_e32 v28, v35, v37, vcc
	v_cndmask_b32_e32 v30, v30, v38, vcc
	v_lshlrev_b32_e32 v35, 24, v26
	v_lshlrev_b32_e32 v30, 20, v30
	v_and_b32_e32 v35, 0x80000000, v35
	v_lshl_add_u32 v28, v28, 23, v33
	v_or3_b32 v35, v35, v28, v30
.LBB629_187:                            ;   in Loop: Header=BB629_15 Depth=1
	s_or_b64 exec, exec, s[10:11]
.LBB629_188:                            ;   in Loop: Header=BB629_15 Depth=1
	s_or_b64 exec, exec, s[6:7]
.LBB629_189:                            ;   in Loop: Header=BB629_15 Depth=1
	s_or_b64 exec, exec, s[4:5]
	v_lshrrev_b16_e32 v28, 8, v26
	v_cmp_ne_u16_e32 vcc, 0, v28
	v_mov_b32_e32 v30, 0
	v_mov_b32_e32 v37, 0
	s_and_saveexec_b64 s[4:5], vcc
	s_cbranch_execz .LBB629_195
; %bb.190:                              ;   in Loop: Header=BB629_15 Depth=1
	v_cmp_ne_u16_e32 vcc, s16, v28
	v_bfrev_b32_e32 v37, 1
	s_and_saveexec_b64 s[6:7], vcc
	s_cbranch_execz .LBB629_194
; %bb.191:                              ;   in Loop: Header=BB629_15 Depth=1
	v_and_b32_e32 v38, 0x7f, v28
	v_cmp_ne_u32_e32 vcc, s13, v38
	v_mov_b32_e32 v37, 0x7f800001
	s_and_saveexec_b64 s[10:11], vcc
	s_cbranch_execz .LBB629_193
; %bb.192:                              ;   in Loop: Header=BB629_15 Depth=1
	v_and_b32_e32 v37, 7, v28
	v_ffbh_u32_e32 v40, v37
	v_min_u32_e32 v42, 32, v40
	v_subrev_u32_e32 v40, 28, v42
	v_lshlrev_b64 v[40:41], v40, v[28:29]
	v_lshrrev_b32_e32 v39, 3, v38
	v_sub_u32_e32 v28, 29, v42
	v_and_b32_e32 v40, 7, v40
	v_cmp_gt_u32_e32 vcc, 8, v38
	v_cndmask_b32_e32 v28, v39, v28, vcc
	v_cndmask_b32_e32 v37, v37, v40, vcc
	v_lshlrev_b32_e32 v38, 16, v26
	v_lshlrev_b32_e32 v37, 20, v37
	v_and_b32_e32 v38, 0x80000000, v38
	v_lshl_add_u32 v28, v28, 23, v33
	v_or3_b32 v37, v38, v28, v37
.LBB629_193:                            ;   in Loop: Header=BB629_15 Depth=1
	s_or_b64 exec, exec, s[10:11]
.LBB629_194:                            ;   in Loop: Header=BB629_15 Depth=1
	s_or_b64 exec, exec, s[6:7]
.LBB629_195:                            ;   in Loop: Header=BB629_15 Depth=1
	s_or_b64 exec, exec, s[4:5]
	v_lshrrev_b32_e32 v28, 16, v26
	v_cmp_ne_u16_sdwa s[6:7], v28, v29 src0_sel:BYTE_0 src1_sel:DWORD
	s_and_saveexec_b64 s[4:5], s[6:7]
	s_cbranch_execz .LBB629_201
; %bb.196:                              ;   in Loop: Header=BB629_15 Depth=1
	v_cmp_ne_u16_sdwa s[10:11], v28, s16 src0_sel:BYTE_0 src1_sel:DWORD
	v_bfrev_b32_e32 v30, 1
	s_and_saveexec_b64 s[6:7], s[10:11]
	s_cbranch_execz .LBB629_200
; %bb.197:                              ;   in Loop: Header=BB629_15 Depth=1
	v_bfe_u32 v38, v26, 16, 7
	v_cmp_ne_u32_e32 vcc, s13, v38
	v_mov_b32_e32 v30, 0x7f800001
	s_and_saveexec_b64 s[10:11], vcc
	s_cbranch_execz .LBB629_199
; %bb.198:                              ;   in Loop: Header=BB629_15 Depth=1
	v_and_b32_e32 v30, 7, v28
	v_ffbh_u32_e32 v40, v30
	v_min_u32_e32 v42, 32, v40
	v_subrev_u32_e32 v40, 28, v42
	v_lshlrev_b64 v[40:41], v40, v[28:29]
	v_lshrrev_b32_e32 v39, 3, v38
	v_sub_u32_e32 v41, 29, v42
	v_and_b32_e32 v40, 7, v40
	v_cmp_gt_u32_e32 vcc, 8, v38
	v_cndmask_b32_e32 v38, v39, v41, vcc
	v_cndmask_b32_e32 v30, v30, v40, vcc
	v_lshlrev_b32_e32 v28, 24, v28
	v_lshlrev_b32_e32 v30, 20, v30
	v_and_b32_e32 v28, 0x80000000, v28
	v_lshl_add_u32 v38, v38, 23, v33
	v_or3_b32 v30, v28, v38, v30
.LBB629_199:                            ;   in Loop: Header=BB629_15 Depth=1
	s_or_b64 exec, exec, s[10:11]
.LBB629_200:                            ;   in Loop: Header=BB629_15 Depth=1
	s_or_b64 exec, exec, s[6:7]
.LBB629_201:                            ;   in Loop: Header=BB629_15 Depth=1
	s_or_b64 exec, exec, s[4:5]
	v_cmp_lt_u32_e32 vcc, s14, v26
	v_mov_b32_e32 v38, 0
	s_and_saveexec_b64 s[4:5], vcc
	s_cbranch_execz .LBB629_14
; %bb.202:                              ;   in Loop: Header=BB629_15 Depth=1
	v_lshrrev_b32_e32 v28, 24, v26
	v_cmp_ne_u32_e32 vcc, s16, v28
	v_bfrev_b32_e32 v38, 1
	s_and_saveexec_b64 s[6:7], vcc
	s_cbranch_execz .LBB629_13
; %bb.203:                              ;   in Loop: Header=BB629_15 Depth=1
	v_bfe_u32 v26, v26, 24, 7
	v_cmp_ne_u32_e32 vcc, s13, v26
	v_mov_b32_e32 v38, 0x7f800001
	s_and_saveexec_b64 s[10:11], vcc
	s_cbranch_execz .LBB629_12
; %bb.204:                              ;   in Loop: Header=BB629_15 Depth=1
	v_and_b32_e32 v40, 7, v28
	v_ffbh_u32_e32 v38, v40
	v_min_u32_e32 v42, 32, v38
	v_subrev_u32_e32 v38, 28, v42
	v_lshlrev_b64 v[38:39], v38, v[28:29]
	v_lshrrev_b32_e32 v41, 3, v26
	v_sub_u32_e32 v39, 29, v42
	v_and_b32_e32 v38, 7, v38
	v_cmp_gt_u32_e32 vcc, 8, v26
	v_cndmask_b32_e32 v26, v41, v39, vcc
	v_cndmask_b32_e32 v38, v40, v38, vcc
	v_lshlrev_b32_e32 v28, 24, v28
	v_lshlrev_b32_e32 v38, 20, v38
	v_and_b32_e32 v28, 0x80000000, v28
	v_lshl_add_u32 v26, v26, 23, v33
	v_or3_b32 v38, v28, v26, v38
	s_branch .LBB629_12
.LBB629_205:
	buffer_load_dword v13, off, s[0:3], 0 offset:256
	buffer_load_dword v14, off, s[0:3], 0 offset:260
	;; [unrolled: 1-line block ×16, first 2 shown]
	v_and_b32_e32 v12, 0xc0, v0
	v_add_u32_e32 v12, s20, v12
	v_lshl_or_b32 v12, v1, 2, v12
	v_or_b32_e32 v23, 1, v12
	v_mov_b32_e32 v19, 0xff7fffff
	v_or_b32_e32 v24, 2, v12
	v_or_b32_e32 v25, 3, v12
	v_cmp_gt_i32_e64 s[26:27], s33, v12
	v_cmp_gt_i32_e64 s[28:29], s33, v23
	s_mov_b32 s52, 0xff7fffff
	v_or_b32_e32 v26, 16, v12
	v_or_b32_e32 v27, 17, v12
	;; [unrolled: 1-line block ×12, first 2 shown]
	v_cmp_gt_i32_e64 s[30:31], s33, v24
	v_cmp_gt_i32_e64 s[34:35], s33, v25
	v_mbcnt_lo_u32_b32 v20, -1, 0
	v_cmp_gt_i32_e64 s[36:37], s33, v26
	v_cmp_gt_i32_e64 s[38:39], s33, v27
	v_mbcnt_hi_u32_b32 v20, -1, v20
	v_cmp_gt_i32_e64 s[20:21], s33, v28
	v_cmp_gt_i32_e64 s[22:23], s33, v29
	v_and_b32_e32 v21, 64, v20
	v_cmp_gt_i32_e64 s[16:17], s33, v30
	v_cmp_gt_i32_e64 s[18:19], s33, v31
	v_xor_b32_e32 v22, 32, v20
	v_add_u32_e32 v21, 64, v21
	v_cmp_gt_i32_e64 s[12:13], s33, v32
	v_cmp_gt_i32_e64 s[14:15], s33, v33
	v_cmp_lt_i32_e32 vcc, v22, v21
	v_cmp_gt_i32_e64 s[6:7], s33, v34
	v_cmp_gt_i32_e64 s[10:11], s33, v35
	v_cndmask_b32_e32 v22, v20, v22, vcc
	v_cmp_gt_i32_e32 vcc, s33, v36
	v_cmp_gt_i32_e64 s[4:5], s33, v37
	v_lshlrev_b32_e32 v22, 2, v22
	s_waitcnt vmcnt(15)
	v_cndmask_b32_e64 v12, v19, v13, s[26:27]
	s_waitcnt vmcnt(14)
	v_cndmask_b32_e64 v23, v19, v14, s[28:29]
	;; [unrolled: 2-line block ×4, first 2 shown]
	v_max3_f32 v12, v12, s52, v23
	s_waitcnt vmcnt(11)
	v_cndmask_b32_e64 v26, v19, v17, s[36:37]
	s_waitcnt vmcnt(10)
	v_cndmask_b32_e64 v27, v19, v18, s[38:39]
	v_max3_f32 v12, v12, v24, v25
	s_waitcnt vmcnt(9)
	v_cndmask_b32_e64 v28, v19, v11, s[20:21]
	s_waitcnt vmcnt(8)
	v_cndmask_b32_e64 v29, v19, v10, s[22:23]
	;; [unrolled: 5-line block ×5, first 2 shown]
	v_max3_f32 v12, v12, v32, v33
	s_waitcnt vmcnt(1)
	v_cndmask_b32_e32 v36, v19, v3, vcc
	s_waitcnt vmcnt(0)
	v_cndmask_b32_e64 v19, v19, v2, s[4:5]
	v_max3_f32 v12, v12, v34, v35
	v_max3_f32 v12, v12, v36, v19
	ds_bpermute_b32 v19, v22, v12
	v_xor_b32_e32 v23, 16, v20
	v_cmp_lt_i32_e64 s[40:41], v23, v21
	v_cndmask_b32_e64 v20, v20, v23, s[40:41]
	v_lshlrev_b32_e32 v20, 2, v20
	s_waitcnt lgkmcnt(0)
	v_max_f32_e32 v19, v19, v19
	v_max_f32_e32 v12, v12, v19
	ds_bpermute_b32 v19, v20, v12
	s_waitcnt lgkmcnt(0)
	v_max_f32_e32 v19, v19, v19
	v_max_f32_e32 v12, v12, v19
	v_sub_f32_e32 v13, v13, v12
	v_sub_f32_e32 v14, v14, v12
	;; [unrolled: 1-line block ×3, first 2 shown]
	v_mul_f32_e32 v13, 0x3fb8aa3b, v13
	v_mul_f32_e32 v14, 0x3fb8aa3b, v14
	;; [unrolled: 1-line block ×3, first 2 shown]
	v_exp_f32_e32 v13, v13
	v_exp_f32_e32 v14, v14
	;; [unrolled: 1-line block ×3, first 2 shown]
	v_sub_f32_e32 v16, v16, v12
	v_cndmask_b32_e64 v13, 0, v13, s[26:27]
	v_mul_f32_e32 v16, 0x3fb8aa3b, v16
	v_cndmask_b32_e64 v14, 0, v14, s[28:29]
	v_cndmask_b32_e64 v15, 0, v15, s[30:31]
	v_add_f32_e32 v19, 0, v13
	buffer_store_dword v13, off, s[0:3], 0 offset:256
	buffer_store_dword v14, off, s[0:3], 0 offset:260
	;; [unrolled: 1-line block ×3, first 2 shown]
	v_sub_f32_e32 v13, v17, v12
	v_exp_f32_e32 v16, v16
	v_add_f32_e32 v19, v19, v14
	v_mul_f32_e32 v13, 0x3fb8aa3b, v13
	v_sub_f32_e32 v14, v18, v12
	v_exp_f32_e32 v13, v13
	v_mul_f32_e32 v14, 0x3fb8aa3b, v14
	v_sub_f32_e32 v11, v11, v12
	v_exp_f32_e32 v14, v14
	;; [unrolled: 3-line block ×3, first 2 shown]
	v_mul_f32_e32 v10, 0x3fb8aa3b, v10
	v_sub_f32_e32 v9, v9, v12
	v_cndmask_b32_e64 v16, 0, v16, s[34:35]
	v_add_f32_e32 v19, v19, v15
	v_exp_f32_e32 v10, v10
	v_mul_f32_e32 v9, 0x3fb8aa3b, v9
	v_sub_f32_e32 v8, v8, v12
	v_add_f32_e32 v19, v19, v16
	v_cndmask_b32_e64 v13, 0, v13, s[36:37]
	v_exp_f32_e32 v9, v9
	v_mul_f32_e32 v8, 0x3fb8aa3b, v8
	v_sub_f32_e32 v7, v7, v12
	v_add_f32_e32 v15, v19, v13
	v_cndmask_b32_e64 v14, 0, v14, s[38:39]
	;; [unrolled: 5-line block ×5, first 2 shown]
	v_exp_f32_e32 v5, v5
	v_mul_f32_e32 v4, 0x3fb8aa3b, v4
	v_sub_f32_e32 v3, v3, v12
	buffer_store_dword v16, off, s[0:3], 0 offset:268
	buffer_store_dword v13, off, s[0:3], 0 offset:272
	;; [unrolled: 1-line block ×5, first 2 shown]
	v_add_f32_e32 v10, v15, v9
	v_cndmask_b32_e64 v8, 0, v8, s[18:19]
	v_exp_f32_e32 v4, v4
	v_mul_f32_e32 v3, 0x3fb8aa3b, v3
	v_sub_f32_e32 v2, v2, v12
	v_add_f32_e32 v10, v10, v8
	v_cndmask_b32_e64 v7, 0, v7, s[12:13]
	v_exp_f32_e32 v3, v3
	v_mul_f32_e32 v2, 0x3fb8aa3b, v2
	v_add_f32_e32 v10, v10, v7
	v_cndmask_b32_e64 v6, 0, v6, s[14:15]
	v_exp_f32_e32 v2, v2
	v_add_f32_e32 v10, v10, v6
	v_cndmask_b32_e64 v5, 0, v5, s[6:7]
	buffer_store_dword v9, off, s[0:3], 0 offset:288
	buffer_store_dword v8, off, s[0:3], 0 offset:292
	;; [unrolled: 1-line block ×4, first 2 shown]
	v_add_f32_e32 v6, v10, v5
	v_cndmask_b32_e64 v4, 0, v4, s[10:11]
	v_add_f32_e32 v6, v6, v4
	v_cndmask_b32_e32 v3, 0, v3, vcc
	v_add_f32_e32 v6, v6, v3
	v_cndmask_b32_e64 v2, 0, v2, s[4:5]
	v_add_f32_e32 v6, v6, v2
	ds_bpermute_b32 v7, v22, v6
	buffer_store_dword v5, off, s[0:3], 0 offset:304
	buffer_store_dword v4, off, s[0:3], 0 offset:308
	;; [unrolled: 1-line block ×4, first 2 shown]
	v_cmp_gt_u32_e32 vcc, 16, v62
	s_waitcnt lgkmcnt(0)
	s_barrier
	v_add_f32_e32 v2, v6, v7
	ds_bpermute_b32 v3, v20, v2
	s_waitcnt lgkmcnt(0)
	s_and_saveexec_b64 s[4:5], vcc
	s_cbranch_execz .LBB629_207
; %bb.206:
	v_add_f32_e32 v2, v2, v3
	v_lshlrev_b32_e32 v3, 2, v61
	ds_write2st64_b32 v3, v12, v2 offset1:1
.LBB629_207:
	s_or_b64 exec, exec, s[4:5]
	v_lshlrev_b32_e32 v2, 2, v51
	s_waitcnt lgkmcnt(0)
	s_barrier
	ds_read2_b32 v[12:13], v2 offset1:16
	ds_read2_b32 v[14:15], v2 offset0:32 offset1:48
	ds_read2_b32 v[6:7], v2 offset0:64 offset1:80
	;; [unrolled: 1-line block ×3, first 2 shown]
	s_waitcnt lgkmcnt(0)
	s_barrier
	buffer_load_dword v20, off, s[0:3], 0 offset:256
	buffer_load_dword v21, off, s[0:3], 0 offset:260
	;; [unrolled: 1-line block ×16, first 2 shown]
	v_lshlrev_b32_e32 v19, 3, v1
	v_lshlrev_b32_e32 v18, 5, v51
	v_lshlrev_b32_e32 v28, 11, v60
	v_or3_b32 v39, v28, v18, v19
	v_max3_f32 v19, v12, s52, v13
	v_max3_f32 v19, v19, v14, v15
	v_sub_f32_e32 v12, v12, v19
	v_sub_f32_e32 v13, v13, v19
	v_mul_f32_e32 v12, 0x3fb8aa3b, v12
	v_sub_f32_e32 v14, v14, v19
	v_mul_f32_e32 v13, 0x3fb8aa3b, v13
	v_exp_f32_e32 v12, v12
	v_sub_f32_e32 v15, v15, v19
	v_mul_f32_e32 v14, 0x3fb8aa3b, v14
	v_exp_f32_e32 v13, v13
	v_mul_f32_e32 v15, 0x3fb8aa3b, v15
	v_exp_f32_e32 v14, v14
	v_exp_f32_e32 v15, v15
	v_fma_f32 v6, v12, v6, 0
	v_fmac_f32_e32 v6, v13, v7
	v_fmac_f32_e32 v6, v14, v10
	;; [unrolled: 1-line block ×3, first 2 shown]
	v_cmp_eq_u32_e32 vcc, 1, v60
	v_add_f32_e32 v10, 0x358637bd, v6
	v_cndmask_b32_e32 v12, v12, v13, vcc
	v_cmp_eq_u32_e32 vcc, 2, v60
	v_div_scale_f32 v11, s[4:5], v10, v10, 1.0
	v_cndmask_b32_e32 v7, v12, v14, vcc
	v_rcp_f32_e32 v12, v11
	v_cmp_eq_u32_e32 vcc, 3, v60
	v_cndmask_b32_e32 v7, v7, v15, vcc
	v_div_scale_f32 v13, vcc, 1.0, v10, 1.0
	v_fma_f32 v14, -v11, v12, 1.0
	v_fmac_f32_e32 v12, v14, v12
	v_mul_f32_e32 v14, v13, v12
	v_fma_f32 v15, -v11, v14, v13
	v_fmac_f32_e32 v14, v15, v12
	v_fma_f32 v11, -v11, v14, v13
	v_div_fmas_f32 v11, v11, v12, v14
	v_div_fixup_f32 v10, v11, v10, 1.0
	v_mul_f32_e32 v10, v7, v10
	s_lshl_b32 s18, s51, 3
	v_cmp_gt_u32_e32 vcc, 8, v0
	s_waitcnt vmcnt(14)
	v_pk_mul_f32 v[14:15], v[10:11], v[20:21] op_sel_hi:[0,1]
	v_cvt_f16_f32_e32 v7, v14
	s_waitcnt vmcnt(12)
	v_pk_mul_f32 v[12:13], v[10:11], v[22:23] op_sel_hi:[0,1]
	buffer_store_dword v14, off, s[0:3], 0 offset:256
	buffer_store_dword v15, off, s[0:3], 0 offset:260
	;; [unrolled: 1-line block ×3, first 2 shown]
	s_waitcnt vmcnt(13)
	v_pk_mul_f32 v[20:21], v[10:11], v[24:25] op_sel_hi:[0,1]
	v_cvt_f16_f32_e32 v14, v12
	s_waitcnt vmcnt(11)
	v_pk_mul_f32 v[22:23], v[10:11], v[26:27] op_sel_hi:[0,1]
	v_cvt_f16_f32_e32 v11, v15
	v_cvt_f16_f32_e32 v15, v13
	buffer_store_dword v13, off, s[0:3], 0 offset:268
	buffer_store_dword v22, off, s[0:3], 0 offset:272
	;; [unrolled: 1-line block ×3, first 2 shown]
	v_pack_b32_f16 v12, v7, v11
	v_cvt_f16_f32_e32 v11, v23
	v_pack_b32_f16 v13, v14, v15
	v_cvt_f16_f32_e32 v7, v22
	v_cvt_f16_f32_e32 v15, v20
	;; [unrolled: 1-line block ×3, first 2 shown]
	s_waitcnt vmcnt(12)
	v_pk_mul_f32 v[4:5], v[10:11], v[4:5] op_sel_hi:[0,1]
	v_pack_b32_f16 v14, v7, v11
	s_waitcnt vmcnt(10)
	v_pk_mul_f32 v[2:3], v[10:11], v[2:3] op_sel_hi:[0,1]
	v_pack_b32_f16 v15, v15, v22
	v_cvt_f16_f32_e32 v11, v5
	buffer_store_dword v20, off, s[0:3], 0 offset:280
	buffer_store_dword v21, off, s[0:3], 0 offset:284
	ds_write2st64_b64 v39, v[12:13], v[14:15] offset1:1
	buffer_store_dword v2, off, s[0:3], 0 offset:288
	buffer_store_dword v3, off, s[0:3], 0 offset:292
	v_cvt_f16_f32_e32 v2, v2
	v_cvt_f16_f32_e32 v3, v3
	v_cvt_f16_f32_e32 v7, v4
	buffer_store_dword v4, off, s[0:3], 0 offset:296
	buffer_store_dword v5, off, s[0:3], 0 offset:300
	s_waitcnt vmcnt(12)
	v_pk_mul_f32 v[4:5], v[10:11], v[16:17] op_sel_hi:[0,1]
	v_pk_mul_f32 v[8:9], v[10:11], v[8:9] op_sel_hi:[0,1]
	v_pack_b32_f16 v2, v2, v3
	v_pack_b32_f16 v3, v7, v11
	buffer_store_dword v8, off, s[0:3], 0 offset:304
	buffer_store_dword v9, off, s[0:3], 0 offset:308
	v_cvt_f16_f32_e32 v7, v8
	v_cvt_f16_f32_e32 v8, v9
	v_cvt_f16_f32_e32 v9, v4
	v_cvt_f16_f32_e32 v10, v5
	buffer_store_dword v4, off, s[0:3], 0 offset:312
	buffer_store_dword v5, off, s[0:3], 0 offset:316
	v_pack_b32_f16 v4, v7, v8
	v_pack_b32_f16 v5, v9, v10
	ds_write2st64_b64 v39, v[2:3], v[4:5] offset0:2 offset1:3
	s_and_saveexec_b64 s[4:5], vcc
	s_cbranch_execz .LBB629_209
; %bb.208:
	v_or_b32_e32 v2, s25, v0
	v_mov_b32_e32 v3, 0
	v_mov_b32_e32 v4, s18
	v_mad_u64_u32 v[4:5], s[6:7], s8, v4, v[2:3]
	v_mov_b32_e32 v2, s24
	s_mul_i32 s9, s9, s18
	v_mad_u64_u32 v[2:3], s[6:7], v4, s50, v[2:3]
	v_add_u32_e32 v5, s9, v5
	v_mov_b32_e32 v4, v3
	v_mad_u64_u32 v[4:5], s[6:7], v5, s50, v[4:5]
	v_mov_b32_e32 v3, v4
	v_lshlrev_b64 v[2:3], 2, v[2:3]
	v_mov_b32_e32 v5, s47
	v_add_co_u32_e32 v4, vcc, s46, v2
	v_addc_co_u32_e32 v5, vcc, v5, v3, vcc
	global_store_dword v[4:5], v19, off
	v_mov_b32_e32 v4, s45
	v_add_co_u32_e32 v2, vcc, s44, v2
	v_addc_co_u32_e32 v3, vcc, v4, v3, vcc
	global_store_dword v[2:3], v6, off
.LBB629_209:
	s_or_b64 exec, exec, s[4:5]
	v_lshl_or_b32 v30, v1, 9, v18
	s_waitcnt lgkmcnt(0)
	s_barrier
	s_load_dword s4, s[42:43], 0x0
	ds_read_b128 v[2:5], v30
	ds_read_b128 v[6:9], v30 offset:16
	ds_read_b128 v[10:13], v30 offset:2048
	;; [unrolled: 1-line block ×7, first 2 shown]
	v_mov_b32_e32 v35, 0x80
	v_mov_b32_e32 v41, 0x140
	s_mov_b64 s[10:11], -1
	s_waitcnt lgkmcnt(0)
	s_mov_b32 s5, s4
	s_mov_b32 s6, s4
	;; [unrolled: 1-line block ×3, first 2 shown]
	s_movk_i32 s9, 0x80
	s_movk_i32 s19, 0x7f
	s_mov_b32 s20, 0xffffff
	v_mov_b32_e32 v43, 0
	v_bfrev_b32_e32 v45, 60
	s_branch .LBB629_213
.LBB629_210:                            ;   in Loop: Header=BB629_213 Depth=1
	s_or_b64 exec, exec, s[16:17]
.LBB629_211:                            ;   in Loop: Header=BB629_213 Depth=1
	s_or_b64 exec, exec, s[14:15]
.LBB629_212:                            ;   in Loop: Header=BB629_213 Depth=1
	s_or_b64 exec, exec, s[12:13]
	v_cvt_pkrtz_f16_f32 v46, v46, v47
	v_cvt_pkrtz_f16_f32 v47, v44, v49
	s_xor_b64 s[12:13], s[10:11], -1
	s_mov_b64 s[10:11], 0
	v_mov_b32_e32 v59, v54
	v_mfma_f32_16x16x16f16 v[60:63], v[46:47], v[30:31], v[34:37]
	s_and_b64 vcc, exec, s[12:13]
	s_nop 5
	v_cvt_pkrtz_f16_f32 v36, v48, v57
	v_cvt_pkrtz_f16_f32 v37, v42, v58
	v_mov_b32_e32 v35, v53
	v_mov_b32_e32 v58, v55
	v_mfma_f32_16x16x16f16 v[46:49], v[36:37], v[32:33], v[60:63]
	v_mov_b32_e32 v57, v56
	s_nop 7
	s_nop 1
	v_pk_mul_f32 v[46:47], v[46:47], s[4:5]
	v_pk_mul_f32 v[36:37], v[48:49], s[6:7]
	v_cvt_f16_f32_e32 v34, v46
	v_cvt_f16_f32_e32 v38, v47
	;; [unrolled: 1-line block ×4, first 2 shown]
	v_pack_b32_f16 v34, v34, v38
	v_pack_b32_f16 v36, v36, v37
	buffer_store_dword v34, v41, s[0:3], 0 offen
	buffer_store_dword v36, v41, s[0:3], 0 offen offset:4
	v_mov_b32_e32 v41, 0x148
	s_cbranch_vccnz .LBB629_595
.LBB629_213:                            ; =>This Inner Loop Header: Depth=1
	buffer_load_dword v36, v35, s[0:3], 0 offen
	buffer_load_dword v34, v35, s[0:3], 0 offen offset:4
	buffer_load_dword v40, v35, s[0:3], 0 offen offset:8
	;; [unrolled: 1-line block ×3, first 2 shown]
	v_mov_b32_e32 v35, 0
	s_waitcnt vmcnt(3)
	v_cmp_ne_u16_sdwa s[14:15], v36, v43 src0_sel:BYTE_0 src1_sel:DWORD
	s_and_saveexec_b64 s[12:13], s[14:15]
	s_cbranch_execz .LBB629_219
; %bb.214:                              ;   in Loop: Header=BB629_213 Depth=1
	v_cmp_ne_u16_sdwa s[16:17], v36, s9 src0_sel:BYTE_0 src1_sel:DWORD
	v_bfrev_b32_e32 v35, 1
	s_and_saveexec_b64 s[14:15], s[16:17]
	s_cbranch_execz .LBB629_218
; %bb.215:                              ;   in Loop: Header=BB629_213 Depth=1
	v_and_b32_e32 v37, 0x7f, v36
	v_cmp_ne_u32_e32 vcc, s19, v37
	v_mov_b32_e32 v35, 0x7f800001
	s_and_saveexec_b64 s[16:17], vcc
	s_cbranch_execz .LBB629_217
; %bb.216:                              ;   in Loop: Header=BB629_213 Depth=1
	v_and_b32_e32 v35, 7, v36
	v_ffbh_u32_e32 v44, v35
	v_min_u32_e32 v44, 32, v44
	v_subrev_u32_e32 v46, 28, v44
	v_lshlrev_b64 v[46:47], v46, v[36:37]
	v_lshrrev_b32_e32 v42, 3, v37
	v_sub_u32_e32 v44, 29, v44
	v_and_b32_e32 v46, 7, v46
	v_cmp_gt_u32_e32 vcc, 8, v37
	v_cndmask_b32_e32 v37, v42, v44, vcc
	v_cndmask_b32_e32 v35, v35, v46, vcc
	v_lshlrev_b32_e32 v42, 24, v36
	v_lshlrev_b32_e32 v35, 20, v35
	v_and_b32_e32 v42, 0x80000000, v42
	v_lshl_add_u32 v37, v37, 23, v45
	v_or3_b32 v35, v42, v37, v35
.LBB629_217:                            ;   in Loop: Header=BB629_213 Depth=1
	s_or_b64 exec, exec, s[16:17]
.LBB629_218:                            ;   in Loop: Header=BB629_213 Depth=1
	s_or_b64 exec, exec, s[14:15]
.LBB629_219:                            ;   in Loop: Header=BB629_213 Depth=1
	s_or_b64 exec, exec, s[12:13]
	v_lshrrev_b16_e32 v42, 8, v36
	v_cmp_ne_u16_e32 vcc, 0, v42
	v_mov_b32_e32 v37, 0
	s_and_saveexec_b64 s[12:13], vcc
	s_cbranch_execz .LBB629_225
; %bb.220:                              ;   in Loop: Header=BB629_213 Depth=1
	v_cmp_ne_u16_e32 vcc, s9, v42
	v_bfrev_b32_e32 v37, 1
	s_and_saveexec_b64 s[14:15], vcc
	s_cbranch_execz .LBB629_224
; %bb.221:                              ;   in Loop: Header=BB629_213 Depth=1
	v_and_b32_e32 v44, 0x7f, v42
	v_cmp_ne_u32_e32 vcc, s19, v44
	v_mov_b32_e32 v37, 0x7f800001
	s_and_saveexec_b64 s[16:17], vcc
	s_cbranch_execz .LBB629_223
; %bb.222:                              ;   in Loop: Header=BB629_213 Depth=1
	v_and_b32_e32 v37, 7, v42
	v_ffbh_u32_e32 v46, v37
	v_min_u32_e32 v49, 32, v46
	v_subrev_u32_e32 v46, 28, v49
	v_lshlrev_b64 v[46:47], v46, v[42:43]
	v_lshrrev_b32_e32 v48, 3, v44
	v_sub_u32_e32 v42, 29, v49
	v_and_b32_e32 v46, 7, v46
	v_cmp_gt_u32_e32 vcc, 8, v44
	v_cndmask_b32_e32 v42, v48, v42, vcc
	v_cndmask_b32_e32 v37, v37, v46, vcc
	v_lshlrev_b32_e32 v44, 16, v36
	v_lshlrev_b32_e32 v37, 20, v37
	v_and_b32_e32 v44, 0x80000000, v44
	v_lshl_add_u32 v42, v42, 23, v45
	v_or3_b32 v37, v44, v42, v37
.LBB629_223:                            ;   in Loop: Header=BB629_213 Depth=1
	s_or_b64 exec, exec, s[16:17]
.LBB629_224:                            ;   in Loop: Header=BB629_213 Depth=1
	s_or_b64 exec, exec, s[14:15]
.LBB629_225:                            ;   in Loop: Header=BB629_213 Depth=1
	s_or_b64 exec, exec, s[12:13]
	v_lshrrev_b32_e32 v42, 16, v36
	v_cmp_ne_u16_sdwa s[14:15], v42, v43 src0_sel:BYTE_0 src1_sel:DWORD
	v_mov_b32_e32 v46, 0
	v_mov_b32_e32 v44, 0
	s_and_saveexec_b64 s[12:13], s[14:15]
	s_cbranch_execz .LBB629_231
; %bb.226:                              ;   in Loop: Header=BB629_213 Depth=1
	v_cmp_ne_u16_sdwa s[16:17], v42, s9 src0_sel:BYTE_0 src1_sel:DWORD
	v_bfrev_b32_e32 v44, 1
	s_and_saveexec_b64 s[14:15], s[16:17]
	s_cbranch_execz .LBB629_230
; %bb.227:                              ;   in Loop: Header=BB629_213 Depth=1
	v_bfe_u32 v47, v36, 16, 7
	v_cmp_ne_u32_e32 vcc, s19, v47
	v_mov_b32_e32 v44, 0x7f800001
	s_and_saveexec_b64 s[16:17], vcc
	s_cbranch_execz .LBB629_229
; %bb.228:                              ;   in Loop: Header=BB629_213 Depth=1
	v_and_b32_e32 v44, 7, v42
	v_ffbh_u32_e32 v48, v44
	v_min_u32_e32 v61, 32, v48
	v_subrev_u32_e32 v48, 28, v61
	v_lshlrev_b64 v[48:49], v48, v[42:43]
	v_lshrrev_b32_e32 v60, 3, v47
	v_sub_u32_e32 v49, 29, v61
	v_and_b32_e32 v48, 7, v48
	v_cmp_gt_u32_e32 vcc, 8, v47
	v_cndmask_b32_e32 v47, v60, v49, vcc
	v_cndmask_b32_e32 v44, v44, v48, vcc
	v_lshlrev_b32_e32 v42, 24, v42
	v_lshlrev_b32_e32 v44, 20, v44
	v_and_b32_e32 v42, 0x80000000, v42
	v_lshl_add_u32 v47, v47, 23, v45
	v_or3_b32 v44, v42, v47, v44
.LBB629_229:                            ;   in Loop: Header=BB629_213 Depth=1
	s_or_b64 exec, exec, s[16:17]
.LBB629_230:                            ;   in Loop: Header=BB629_213 Depth=1
	s_or_b64 exec, exec, s[14:15]
.LBB629_231:                            ;   in Loop: Header=BB629_213 Depth=1
	s_or_b64 exec, exec, s[12:13]
	v_cmp_lt_u32_e32 vcc, s20, v36
	s_and_saveexec_b64 s[12:13], vcc
	s_cbranch_execz .LBB629_237
; %bb.232:                              ;   in Loop: Header=BB629_213 Depth=1
	v_lshrrev_b32_e32 v42, 24, v36
	v_cmp_ne_u32_e32 vcc, s9, v42
	v_bfrev_b32_e32 v46, 1
	s_and_saveexec_b64 s[14:15], vcc
	s_cbranch_execz .LBB629_236
; %bb.233:                              ;   in Loop: Header=BB629_213 Depth=1
	v_bfe_u32 v36, v36, 24, 7
	v_cmp_ne_u32_e32 vcc, s19, v36
	v_mov_b32_e32 v46, 0x7f800001
	s_and_saveexec_b64 s[16:17], vcc
	s_cbranch_execz .LBB629_235
; %bb.234:                              ;   in Loop: Header=BB629_213 Depth=1
	v_and_b32_e32 v48, 7, v42
	v_ffbh_u32_e32 v46, v48
	v_min_u32_e32 v60, 32, v46
	v_subrev_u32_e32 v46, 28, v60
	v_lshlrev_b64 v[46:47], v46, v[42:43]
	v_lshrrev_b32_e32 v49, 3, v36
	v_sub_u32_e32 v47, 29, v60
	v_and_b32_e32 v46, 7, v46
	v_cmp_gt_u32_e32 vcc, 8, v36
	v_cndmask_b32_e32 v36, v49, v47, vcc
	v_cndmask_b32_e32 v46, v48, v46, vcc
	v_lshlrev_b32_e32 v42, 24, v42
	v_lshlrev_b32_e32 v46, 20, v46
	v_and_b32_e32 v42, 0x80000000, v42
	v_lshl_add_u32 v36, v36, 23, v45
	v_or3_b32 v46, v42, v36, v46
.LBB629_235:                            ;   in Loop: Header=BB629_213 Depth=1
	s_or_b64 exec, exec, s[16:17]
.LBB629_236:                            ;   in Loop: Header=BB629_213 Depth=1
	s_or_b64 exec, exec, s[14:15]
.LBB629_237:                            ;   in Loop: Header=BB629_213 Depth=1
	s_or_b64 exec, exec, s[12:13]
	s_waitcnt vmcnt(2)
	v_cmp_ne_u16_sdwa s[14:15], v34, v43 src0_sel:BYTE_0 src1_sel:DWORD
	v_mov_b32_e32 v42, 0
	v_mov_b32_e32 v47, 0
	s_and_saveexec_b64 s[12:13], s[14:15]
	s_cbranch_execz .LBB629_243
; %bb.238:                              ;   in Loop: Header=BB629_213 Depth=1
	v_cmp_ne_u16_sdwa s[16:17], v34, s9 src0_sel:BYTE_0 src1_sel:DWORD
	v_bfrev_b32_e32 v47, 1
	s_and_saveexec_b64 s[14:15], s[16:17]
	s_cbranch_execz .LBB629_242
; %bb.239:                              ;   in Loop: Header=BB629_213 Depth=1
	v_and_b32_e32 v36, 0x7f, v34
	v_cmp_ne_u32_e32 vcc, s19, v36
	v_mov_b32_e32 v47, 0x7f800001
	s_and_saveexec_b64 s[16:17], vcc
	s_cbranch_execz .LBB629_241
; %bb.240:                              ;   in Loop: Header=BB629_213 Depth=1
	v_and_b32_e32 v47, 7, v34
	v_ffbh_u32_e32 v48, v47
	v_min_u32_e32 v61, 32, v48
	v_subrev_u32_e32 v48, 28, v61
	v_lshlrev_b64 v[48:49], v48, v[34:35]
	v_lshrrev_b32_e32 v60, 3, v36
	v_sub_u32_e32 v49, 29, v61
	v_and_b32_e32 v48, 7, v48
	v_cmp_gt_u32_e32 vcc, 8, v36
	v_cndmask_b32_e32 v36, v60, v49, vcc
	v_cndmask_b32_e32 v47, v47, v48, vcc
	v_lshlrev_b32_e32 v48, 24, v34
	v_lshlrev_b32_e32 v47, 20, v47
	v_and_b32_e32 v48, 0x80000000, v48
	v_lshl_add_u32 v36, v36, 23, v45
	v_or3_b32 v47, v48, v36, v47
.LBB629_241:                            ;   in Loop: Header=BB629_213 Depth=1
	s_or_b64 exec, exec, s[16:17]
.LBB629_242:                            ;   in Loop: Header=BB629_213 Depth=1
	s_or_b64 exec, exec, s[14:15]
.LBB629_243:                            ;   in Loop: Header=BB629_213 Depth=1
	s_or_b64 exec, exec, s[12:13]
	v_lshrrev_b16_e32 v36, 8, v34
	v_cmp_ne_u16_e32 vcc, 0, v36
	s_and_saveexec_b64 s[12:13], vcc
	s_cbranch_execz .LBB629_249
; %bb.244:                              ;   in Loop: Header=BB629_213 Depth=1
	v_cmp_ne_u16_e32 vcc, s9, v36
	v_bfrev_b32_e32 v42, 1
	s_and_saveexec_b64 s[14:15], vcc
	s_cbranch_execz .LBB629_248
; %bb.245:                              ;   in Loop: Header=BB629_213 Depth=1
	v_and_b32_e32 v48, 0x7f, v36
	v_cmp_ne_u32_e32 vcc, s19, v48
	v_mov_b32_e32 v42, 0x7f800001
	s_and_saveexec_b64 s[16:17], vcc
	s_cbranch_execz .LBB629_247
; %bb.246:                              ;   in Loop: Header=BB629_213 Depth=1
	v_and_b32_e32 v42, 7, v36
	v_ffbh_u32_e32 v60, v42
	v_min_u32_e32 v62, 32, v60
	v_subrev_u32_e32 v60, 28, v62
	v_lshlrev_b64 v[60:61], v60, v[36:37]
	v_lshrrev_b32_e32 v49, 3, v48
	v_sub_u32_e32 v36, 29, v62
	v_and_b32_e32 v60, 7, v60
	v_cmp_gt_u32_e32 vcc, 8, v48
	v_cndmask_b32_e32 v36, v49, v36, vcc
	v_cndmask_b32_e32 v42, v42, v60, vcc
	v_lshlrev_b32_e32 v48, 16, v34
	v_lshlrev_b32_e32 v42, 20, v42
	v_and_b32_e32 v48, 0x80000000, v48
	v_lshl_add_u32 v36, v36, 23, v45
	v_or3_b32 v42, v48, v36, v42
.LBB629_247:                            ;   in Loop: Header=BB629_213 Depth=1
	s_or_b64 exec, exec, s[16:17]
.LBB629_248:                            ;   in Loop: Header=BB629_213 Depth=1
	s_or_b64 exec, exec, s[14:15]
.LBB629_249:                            ;   in Loop: Header=BB629_213 Depth=1
	s_or_b64 exec, exec, s[12:13]
	v_lshrrev_b32_e32 v36, 16, v34
	v_cmp_ne_u16_sdwa s[14:15], v36, v43 src0_sel:BYTE_0 src1_sel:DWORD
	v_mov_b32_e32 v49, 0
	v_mov_b32_e32 v48, 0
	s_and_saveexec_b64 s[12:13], s[14:15]
	s_cbranch_execz .LBB629_255
; %bb.250:                              ;   in Loop: Header=BB629_213 Depth=1
	v_cmp_ne_u16_sdwa s[16:17], v36, s9 src0_sel:BYTE_0 src1_sel:DWORD
	v_bfrev_b32_e32 v48, 1
	s_and_saveexec_b64 s[14:15], s[16:17]
	s_cbranch_execz .LBB629_254
; %bb.251:                              ;   in Loop: Header=BB629_213 Depth=1
	v_bfe_u32 v60, v34, 16, 7
	v_cmp_ne_u32_e32 vcc, s19, v60
	v_mov_b32_e32 v48, 0x7f800001
	s_and_saveexec_b64 s[16:17], vcc
	s_cbranch_execz .LBB629_253
; %bb.252:                              ;   in Loop: Header=BB629_213 Depth=1
	v_and_b32_e32 v48, 7, v36
	v_ffbh_u32_e32 v62, v48
	v_min_u32_e32 v64, 32, v62
	v_subrev_u32_e32 v62, 28, v64
	v_lshlrev_b64 v[62:63], v62, v[36:37]
	v_lshrrev_b32_e32 v61, 3, v60
	v_sub_u32_e32 v63, 29, v64
	v_and_b32_e32 v62, 7, v62
	v_cmp_gt_u32_e32 vcc, 8, v60
	v_cndmask_b32_e32 v60, v61, v63, vcc
	v_cndmask_b32_e32 v48, v48, v62, vcc
	v_lshlrev_b32_e32 v36, 24, v36
	v_lshlrev_b32_e32 v48, 20, v48
	v_and_b32_e32 v36, 0x80000000, v36
	v_lshl_add_u32 v60, v60, 23, v45
	v_or3_b32 v48, v36, v60, v48
.LBB629_253:                            ;   in Loop: Header=BB629_213 Depth=1
	s_or_b64 exec, exec, s[16:17]
.LBB629_254:                            ;   in Loop: Header=BB629_213 Depth=1
	s_or_b64 exec, exec, s[14:15]
.LBB629_255:                            ;   in Loop: Header=BB629_213 Depth=1
	s_or_b64 exec, exec, s[12:13]
	v_cmp_lt_u32_e32 vcc, s20, v34
	s_and_saveexec_b64 s[12:13], vcc
	s_cbranch_execz .LBB629_261
; %bb.256:                              ;   in Loop: Header=BB629_213 Depth=1
	v_lshrrev_b32_e32 v36, 24, v34
	v_cmp_ne_u32_e32 vcc, s9, v36
	v_bfrev_b32_e32 v49, 1
	s_and_saveexec_b64 s[14:15], vcc
	s_cbranch_execz .LBB629_260
; %bb.257:                              ;   in Loop: Header=BB629_213 Depth=1
	v_bfe_u32 v34, v34, 24, 7
	v_cmp_ne_u32_e32 vcc, s19, v34
	v_mov_b32_e32 v49, 0x7f800001
	s_and_saveexec_b64 s[16:17], vcc
	s_cbranch_execz .LBB629_259
; %bb.258:                              ;   in Loop: Header=BB629_213 Depth=1
	v_and_b32_e32 v49, 7, v36
	v_ffbh_u32_e32 v60, v49
	v_min_u32_e32 v63, 32, v60
	v_subrev_u32_e32 v60, 28, v63
	v_lshlrev_b64 v[60:61], v60, v[36:37]
	v_lshrrev_b32_e32 v62, 3, v34
	v_sub_u32_e32 v61, 29, v63
	v_and_b32_e32 v60, 7, v60
	v_cmp_gt_u32_e32 vcc, 8, v34
	v_cndmask_b32_e32 v34, v62, v61, vcc
	v_cndmask_b32_e32 v49, v49, v60, vcc
	v_lshlrev_b32_e32 v36, 24, v36
	v_lshlrev_b32_e32 v49, 20, v49
	v_and_b32_e32 v36, 0x80000000, v36
	v_lshl_add_u32 v34, v34, 23, v45
	v_or3_b32 v49, v36, v34, v49
.LBB629_259:                            ;   in Loop: Header=BB629_213 Depth=1
	s_or_b64 exec, exec, s[16:17]
.LBB629_260:                            ;   in Loop: Header=BB629_213 Depth=1
	s_or_b64 exec, exec, s[14:15]
.LBB629_261:                            ;   in Loop: Header=BB629_213 Depth=1
	s_or_b64 exec, exec, s[12:13]
	v_cvt_pkrtz_f16_f32 v34, v35, v37
	v_cvt_pkrtz_f16_f32 v35, v44, v46
	;; [unrolled: 1-line block ×4, first 2 shown]
	v_mov_b32_e32 v44, 0
	v_mfma_f32_16x16x16f16 v[34:37], v[34:35], v[2:3], 0
	s_waitcnt vmcnt(1)
	v_cmp_ne_u16_sdwa s[14:15], v40, v43 src0_sel:BYTE_0 src1_sel:DWORD
	v_mov_b32_e32 v46, 0
	v_mfma_f32_16x16x16f16 v[34:37], v[60:61], v[4:5], v[34:37]
	s_and_saveexec_b64 s[12:13], s[14:15]
	s_cbranch_execz .LBB629_267
; %bb.262:                              ;   in Loop: Header=BB629_213 Depth=1
	v_cmp_ne_u16_sdwa s[16:17], v40, s9 src0_sel:BYTE_0 src1_sel:DWORD
	v_bfrev_b32_e32 v46, 1
	s_and_saveexec_b64 s[14:15], s[16:17]
	s_cbranch_execz .LBB629_266
; %bb.263:                              ;   in Loop: Header=BB629_213 Depth=1
	v_and_b32_e32 v42, 0x7f, v40
	v_cmp_ne_u32_e32 vcc, s19, v42
	v_mov_b32_e32 v46, 0x7f800001
	s_and_saveexec_b64 s[16:17], vcc
	s_cbranch_execz .LBB629_265
; %bb.264:                              ;   in Loop: Header=BB629_213 Depth=1
	v_and_b32_e32 v48, 7, v40
	v_ffbh_u32_e32 v46, v48
	v_min_u32_e32 v60, 32, v46
	v_subrev_u32_e32 v46, 28, v60
	v_lshlrev_b64 v[46:47], v46, v[40:41]
	v_lshrrev_b32_e32 v49, 3, v42
	v_sub_u32_e32 v47, 29, v60
	v_and_b32_e32 v46, 7, v46
	v_cmp_gt_u32_e32 vcc, 8, v42
	v_cndmask_b32_e32 v42, v49, v47, vcc
	v_cndmask_b32_e32 v46, v48, v46, vcc
	v_lshlrev_b32_e32 v47, 24, v40
	v_lshlrev_b32_e32 v46, 20, v46
	v_and_b32_e32 v47, 0x80000000, v47
	v_lshl_add_u32 v42, v42, 23, v45
	v_or3_b32 v46, v47, v42, v46
.LBB629_265:                            ;   in Loop: Header=BB629_213 Depth=1
	s_or_b64 exec, exec, s[16:17]
.LBB629_266:                            ;   in Loop: Header=BB629_213 Depth=1
	s_or_b64 exec, exec, s[14:15]
.LBB629_267:                            ;   in Loop: Header=BB629_213 Depth=1
	s_or_b64 exec, exec, s[12:13]
	v_lshrrev_b16_e32 v42, 8, v40
	v_cmp_ne_u16_e32 vcc, 0, v42
	v_mov_b32_e32 v48, 0
	s_and_saveexec_b64 s[12:13], vcc
	s_cbranch_execz .LBB629_273
; %bb.268:                              ;   in Loop: Header=BB629_213 Depth=1
	v_cmp_ne_u16_e32 vcc, s9, v42
	v_bfrev_b32_e32 v48, 1
	s_and_saveexec_b64 s[14:15], vcc
	s_cbranch_execz .LBB629_272
; %bb.269:                              ;   in Loop: Header=BB629_213 Depth=1
	v_and_b32_e32 v47, 0x7f, v42
	v_cmp_ne_u32_e32 vcc, s19, v47
	v_mov_b32_e32 v48, 0x7f800001
	s_and_saveexec_b64 s[16:17], vcc
	s_cbranch_execz .LBB629_271
; %bb.270:                              ;   in Loop: Header=BB629_213 Depth=1
	v_and_b32_e32 v60, 7, v42
	v_ffbh_u32_e32 v48, v60
	v_min_u32_e32 v62, 32, v48
	v_subrev_u32_e32 v48, 28, v62
	v_lshlrev_b64 v[48:49], v48, v[42:43]
	v_lshrrev_b32_e32 v61, 3, v47
	v_sub_u32_e32 v42, 29, v62
	v_and_b32_e32 v48, 7, v48
	v_cmp_gt_u32_e32 vcc, 8, v47
	v_cndmask_b32_e32 v42, v61, v42, vcc
	v_cndmask_b32_e32 v47, v60, v48, vcc
	v_lshlrev_b32_e32 v48, 16, v40
	v_lshlrev_b32_e32 v47, 20, v47
	v_and_b32_e32 v48, 0x80000000, v48
	v_lshl_add_u32 v42, v42, 23, v45
	v_or3_b32 v48, v48, v42, v47
.LBB629_271:                            ;   in Loop: Header=BB629_213 Depth=1
	s_or_b64 exec, exec, s[16:17]
.LBB629_272:                            ;   in Loop: Header=BB629_213 Depth=1
	s_or_b64 exec, exec, s[14:15]
.LBB629_273:                            ;   in Loop: Header=BB629_213 Depth=1
	s_or_b64 exec, exec, s[12:13]
	v_lshrrev_b32_e32 v42, 16, v40
	v_cmp_ne_u16_sdwa s[14:15], v42, v43 src0_sel:BYTE_0 src1_sel:DWORD
	s_and_saveexec_b64 s[12:13], s[14:15]
	s_cbranch_execz .LBB629_279
; %bb.274:                              ;   in Loop: Header=BB629_213 Depth=1
	v_cmp_ne_u16_sdwa s[16:17], v42, s9 src0_sel:BYTE_0 src1_sel:DWORD
	v_bfrev_b32_e32 v44, 1
	s_and_saveexec_b64 s[14:15], s[16:17]
	s_cbranch_execz .LBB629_278
; %bb.275:                              ;   in Loop: Header=BB629_213 Depth=1
	v_bfe_u32 v47, v40, 16, 7
	v_cmp_ne_u32_e32 vcc, s19, v47
	v_mov_b32_e32 v44, 0x7f800001
	s_and_saveexec_b64 s[16:17], vcc
	s_cbranch_execz .LBB629_277
; %bb.276:                              ;   in Loop: Header=BB629_213 Depth=1
	v_and_b32_e32 v44, 7, v42
	v_ffbh_u32_e32 v60, v44
	v_min_u32_e32 v62, 32, v60
	v_subrev_u32_e32 v60, 28, v62
	v_lshlrev_b64 v[60:61], v60, v[42:43]
	v_lshrrev_b32_e32 v49, 3, v47
	v_sub_u32_e32 v61, 29, v62
	v_and_b32_e32 v60, 7, v60
	v_cmp_gt_u32_e32 vcc, 8, v47
	v_cndmask_b32_e32 v47, v49, v61, vcc
	v_cndmask_b32_e32 v44, v44, v60, vcc
	v_lshlrev_b32_e32 v42, 24, v42
	v_lshlrev_b32_e32 v44, 20, v44
	v_and_b32_e32 v42, 0x80000000, v42
	v_lshl_add_u32 v47, v47, 23, v45
	v_or3_b32 v44, v42, v47, v44
.LBB629_277:                            ;   in Loop: Header=BB629_213 Depth=1
	s_or_b64 exec, exec, s[16:17]
.LBB629_278:                            ;   in Loop: Header=BB629_213 Depth=1
	s_or_b64 exec, exec, s[14:15]
.LBB629_279:                            ;   in Loop: Header=BB629_213 Depth=1
	s_or_b64 exec, exec, s[12:13]
	v_cmp_lt_u32_e32 vcc, s20, v40
	v_mov_b32_e32 v49, 0
	v_mov_b32_e32 v60, 0
	s_and_saveexec_b64 s[12:13], vcc
	s_cbranch_execz .LBB629_285
; %bb.280:                              ;   in Loop: Header=BB629_213 Depth=1
	v_lshrrev_b32_e32 v42, 24, v40
	v_cmp_ne_u32_e32 vcc, s9, v42
	v_bfrev_b32_e32 v60, 1
	s_and_saveexec_b64 s[14:15], vcc
	s_cbranch_execz .LBB629_284
; %bb.281:                              ;   in Loop: Header=BB629_213 Depth=1
	v_bfe_u32 v40, v40, 24, 7
	v_cmp_ne_u32_e32 vcc, s19, v40
	v_mov_b32_e32 v60, 0x7f800001
	s_and_saveexec_b64 s[16:17], vcc
	s_cbranch_execz .LBB629_283
; %bb.282:                              ;   in Loop: Header=BB629_213 Depth=1
	v_and_b32_e32 v47, 7, v42
	v_ffbh_u32_e32 v60, v47
	v_min_u32_e32 v63, 32, v60
	v_subrev_u32_e32 v60, 28, v63
	v_lshlrev_b64 v[60:61], v60, v[42:43]
	v_lshrrev_b32_e32 v62, 3, v40
	v_sub_u32_e32 v61, 29, v63
	v_and_b32_e32 v60, 7, v60
	v_cmp_gt_u32_e32 vcc, 8, v40
	v_cndmask_b32_e32 v40, v62, v61, vcc
	v_cndmask_b32_e32 v47, v47, v60, vcc
	v_lshlrev_b32_e32 v42, 24, v42
	v_lshlrev_b32_e32 v47, 20, v47
	v_and_b32_e32 v42, 0x80000000, v42
	v_lshl_add_u32 v40, v40, 23, v45
	v_or3_b32 v60, v42, v40, v47
.LBB629_283:                            ;   in Loop: Header=BB629_213 Depth=1
	s_or_b64 exec, exec, s[16:17]
.LBB629_284:                            ;   in Loop: Header=BB629_213 Depth=1
	s_or_b64 exec, exec, s[14:15]
.LBB629_285:                            ;   in Loop: Header=BB629_213 Depth=1
	s_or_b64 exec, exec, s[12:13]
	s_waitcnt vmcnt(0)
	v_cmp_ne_u16_sdwa s[14:15], v38, v43 src0_sel:BYTE_0 src1_sel:DWORD
	s_and_saveexec_b64 s[12:13], s[14:15]
	s_cbranch_execz .LBB629_291
; %bb.286:                              ;   in Loop: Header=BB629_213 Depth=1
	v_cmp_ne_u16_sdwa s[16:17], v38, s9 src0_sel:BYTE_0 src1_sel:DWORD
	v_bfrev_b32_e32 v49, 1
	s_and_saveexec_b64 s[14:15], s[16:17]
	s_cbranch_execz .LBB629_290
; %bb.287:                              ;   in Loop: Header=BB629_213 Depth=1
	v_and_b32_e32 v40, 0x7f, v38
	v_cmp_ne_u32_e32 vcc, s19, v40
	v_mov_b32_e32 v49, 0x7f800001
	s_and_saveexec_b64 s[16:17], vcc
	s_cbranch_execz .LBB629_289
; %bb.288:                              ;   in Loop: Header=BB629_213 Depth=1
	v_and_b32_e32 v42, 7, v38
	v_ffbh_u32_e32 v49, v42
	v_min_u32_e32 v49, 32, v49
	v_subrev_u32_e32 v61, 28, v49
	v_lshlrev_b64 v[62:63], v61, v[38:39]
	v_lshrrev_b32_e32 v47, 3, v40
	v_sub_u32_e32 v49, 29, v49
	v_and_b32_e32 v61, 7, v62
	v_cmp_gt_u32_e32 vcc, 8, v40
	v_cndmask_b32_e32 v40, v47, v49, vcc
	v_cndmask_b32_e32 v42, v42, v61, vcc
	v_lshlrev_b32_e32 v47, 24, v38
	v_lshlrev_b32_e32 v42, 20, v42
	v_and_b32_e32 v47, 0x80000000, v47
	v_lshl_add_u32 v40, v40, 23, v45
	v_or3_b32 v49, v47, v40, v42
.LBB629_289:                            ;   in Loop: Header=BB629_213 Depth=1
	s_or_b64 exec, exec, s[16:17]
.LBB629_290:                            ;   in Loop: Header=BB629_213 Depth=1
	s_or_b64 exec, exec, s[14:15]
.LBB629_291:                            ;   in Loop: Header=BB629_213 Depth=1
	s_or_b64 exec, exec, s[12:13]
	v_lshrrev_b16_e32 v40, 8, v38
	v_cmp_ne_u16_e32 vcc, 0, v40
	v_mov_b32_e32 v61, 0
	v_mov_b32_e32 v62, 0
	s_and_saveexec_b64 s[12:13], vcc
	s_cbranch_execz .LBB629_297
; %bb.292:                              ;   in Loop: Header=BB629_213 Depth=1
	v_cmp_ne_u16_e32 vcc, s9, v40
	v_bfrev_b32_e32 v62, 1
	s_and_saveexec_b64 s[14:15], vcc
	s_cbranch_execz .LBB629_296
; %bb.293:                              ;   in Loop: Header=BB629_213 Depth=1
	v_and_b32_e32 v42, 0x7f, v40
	v_cmp_ne_u32_e32 vcc, s19, v42
	v_mov_b32_e32 v62, 0x7f800001
	s_and_saveexec_b64 s[16:17], vcc
	s_cbranch_execz .LBB629_295
; %bb.294:                              ;   in Loop: Header=BB629_213 Depth=1
	v_and_b32_e32 v47, 7, v40
	v_ffbh_u32_e32 v62, v47
	v_min_u32_e32 v65, 32, v62
	v_subrev_u32_e32 v62, 28, v65
	v_lshlrev_b64 v[62:63], v62, v[40:41]
	v_lshrrev_b32_e32 v64, 3, v42
	v_sub_u32_e32 v40, 29, v65
	v_and_b32_e32 v62, 7, v62
	v_cmp_gt_u32_e32 vcc, 8, v42
	v_cndmask_b32_e32 v40, v64, v40, vcc
	v_cndmask_b32_e32 v42, v47, v62, vcc
	v_lshlrev_b32_e32 v47, 16, v38
	v_lshlrev_b32_e32 v42, 20, v42
	v_and_b32_e32 v47, 0x80000000, v47
	v_lshl_add_u32 v40, v40, 23, v45
	v_or3_b32 v62, v47, v40, v42
.LBB629_295:                            ;   in Loop: Header=BB629_213 Depth=1
	s_or_b64 exec, exec, s[16:17]
.LBB629_296:                            ;   in Loop: Header=BB629_213 Depth=1
	s_or_b64 exec, exec, s[14:15]
.LBB629_297:                            ;   in Loop: Header=BB629_213 Depth=1
	s_or_b64 exec, exec, s[12:13]
	v_lshrrev_b32_e32 v40, 16, v38
	v_cmp_ne_u16_sdwa s[14:15], v40, v43 src0_sel:BYTE_0 src1_sel:DWORD
	s_and_saveexec_b64 s[12:13], s[14:15]
	s_cbranch_execz .LBB629_303
; %bb.298:                              ;   in Loop: Header=BB629_213 Depth=1
	v_cmp_ne_u16_sdwa s[16:17], v40, s9 src0_sel:BYTE_0 src1_sel:DWORD
	v_bfrev_b32_e32 v61, 1
	s_and_saveexec_b64 s[14:15], s[16:17]
	s_cbranch_execz .LBB629_302
; %bb.299:                              ;   in Loop: Header=BB629_213 Depth=1
	v_bfe_u32 v42, v38, 16, 7
	v_cmp_ne_u32_e32 vcc, s19, v42
	v_mov_b32_e32 v61, 0x7f800001
	s_and_saveexec_b64 s[16:17], vcc
	s_cbranch_execz .LBB629_301
; %bb.300:                              ;   in Loop: Header=BB629_213 Depth=1
	v_and_b32_e32 v47, 7, v40
	v_ffbh_u32_e32 v63, v47
	v_min_u32_e32 v63, 32, v63
	v_subrev_u32_e32 v64, 28, v63
	v_lshlrev_b64 v[64:65], v64, v[40:41]
	v_lshrrev_b32_e32 v61, 3, v42
	v_sub_u32_e32 v63, 29, v63
	v_and_b32_e32 v64, 7, v64
	v_cmp_gt_u32_e32 vcc, 8, v42
	v_cndmask_b32_e32 v42, v61, v63, vcc
	v_cndmask_b32_e32 v47, v47, v64, vcc
	v_lshlrev_b32_e32 v40, 24, v40
	v_lshlrev_b32_e32 v47, 20, v47
	v_and_b32_e32 v40, 0x80000000, v40
	v_lshl_add_u32 v42, v42, 23, v45
	v_or3_b32 v61, v40, v42, v47
.LBB629_301:                            ;   in Loop: Header=BB629_213 Depth=1
	s_or_b64 exec, exec, s[16:17]
.LBB629_302:                            ;   in Loop: Header=BB629_213 Depth=1
	s_or_b64 exec, exec, s[14:15]
.LBB629_303:                            ;   in Loop: Header=BB629_213 Depth=1
	s_or_b64 exec, exec, s[12:13]
	v_cmp_lt_u32_e32 vcc, s20, v38
	v_mov_b32_e32 v47, 0
	v_mov_b32_e32 v63, 0
	s_and_saveexec_b64 s[12:13], vcc
	s_cbranch_execz .LBB629_309
; %bb.304:                              ;   in Loop: Header=BB629_213 Depth=1
	v_lshrrev_b32_e32 v40, 24, v38
	v_cmp_ne_u32_e32 vcc, s9, v40
	v_bfrev_b32_e32 v63, 1
	s_and_saveexec_b64 s[14:15], vcc
	s_cbranch_execz .LBB629_308
; %bb.305:                              ;   in Loop: Header=BB629_213 Depth=1
	v_bfe_u32 v38, v38, 24, 7
	v_cmp_ne_u32_e32 vcc, s19, v38
	v_mov_b32_e32 v63, 0x7f800001
	s_and_saveexec_b64 s[16:17], vcc
	s_cbranch_execz .LBB629_307
; %bb.306:                              ;   in Loop: Header=BB629_213 Depth=1
	v_and_b32_e32 v42, 7, v40
	v_ffbh_u32_e32 v64, v42
	v_min_u32_e32 v66, 32, v64
	v_subrev_u32_e32 v64, 28, v66
	v_lshlrev_b64 v[64:65], v64, v[40:41]
	v_lshrrev_b32_e32 v63, 3, v38
	v_sub_u32_e32 v65, 29, v66
	v_and_b32_e32 v64, 7, v64
	v_cmp_gt_u32_e32 vcc, 8, v38
	v_cndmask_b32_e32 v38, v63, v65, vcc
	v_cndmask_b32_e32 v42, v42, v64, vcc
	v_lshlrev_b32_e32 v40, 24, v40
	v_lshlrev_b32_e32 v42, 20, v42
	v_and_b32_e32 v40, 0x80000000, v40
	v_lshl_add_u32 v38, v38, 23, v45
	v_or3_b32 v63, v40, v38, v42
.LBB629_307:                            ;   in Loop: Header=BB629_213 Depth=1
	s_or_b64 exec, exec, s[16:17]
.LBB629_308:                            ;   in Loop: Header=BB629_213 Depth=1
	s_or_b64 exec, exec, s[14:15]
.LBB629_309:                            ;   in Loop: Header=BB629_213 Depth=1
	s_or_b64 exec, exec, s[12:13]
	v_cvt_pkrtz_f16_f32 v65, v44, v60
	buffer_load_dword v44, v59, s[0:3], 0 offen
	buffer_load_dword v42, v59, s[0:3], 0 offen offset:4
	buffer_load_dword v40, v59, s[0:3], 0 offen offset:8
	;; [unrolled: 1-line block ×3, first 2 shown]
	v_cvt_pkrtz_f16_f32 v64, v46, v48
	v_cvt_pkrtz_f16_f32 v48, v49, v62
	;; [unrolled: 1-line block ×3, first 2 shown]
	v_mfma_f32_16x16x16f16 v[34:37], v[64:65], v[6:7], v[34:37]
	s_waitcnt vmcnt(3)
	v_cmp_ne_u16_sdwa s[14:15], v44, v43 src0_sel:BYTE_0 src1_sel:DWORD
	v_mfma_f32_16x16x16f16 v[34:37], v[48:49], v[8:9], v[34:37]
	s_and_saveexec_b64 s[12:13], s[14:15]
	s_cbranch_execz .LBB629_315
; %bb.310:                              ;   in Loop: Header=BB629_213 Depth=1
	v_cmp_ne_u16_sdwa s[16:17], v44, s9 src0_sel:BYTE_0 src1_sel:DWORD
	v_bfrev_b32_e32 v47, 1
	s_and_saveexec_b64 s[14:15], s[16:17]
	s_cbranch_execz .LBB629_314
; %bb.311:                              ;   in Loop: Header=BB629_213 Depth=1
	v_and_b32_e32 v46, 0x7f, v44
	v_cmp_ne_u32_e32 vcc, s19, v46
	v_mov_b32_e32 v47, 0x7f800001
	s_and_saveexec_b64 s[16:17], vcc
	s_cbranch_execz .LBB629_313
; %bb.312:                              ;   in Loop: Header=BB629_213 Depth=1
	v_and_b32_e32 v47, 7, v44
	v_ffbh_u32_e32 v48, v47
	v_min_u32_e32 v60, 32, v48
	v_subrev_u32_e32 v48, 28, v60
	v_lshlrev_b64 v[48:49], v48, v[44:45]
	v_lshrrev_b32_e32 v59, 3, v46
	v_sub_u32_e32 v49, 29, v60
	v_and_b32_e32 v48, 7, v48
	v_cmp_gt_u32_e32 vcc, 8, v46
	v_cndmask_b32_e32 v46, v59, v49, vcc
	v_cndmask_b32_e32 v47, v47, v48, vcc
	v_lshlrev_b32_e32 v48, 24, v44
	v_lshlrev_b32_e32 v47, 20, v47
	v_and_b32_e32 v48, 0x80000000, v48
	v_lshl_add_u32 v46, v46, 23, v45
	v_or3_b32 v47, v48, v46, v47
.LBB629_313:                            ;   in Loop: Header=BB629_213 Depth=1
	s_or_b64 exec, exec, s[16:17]
.LBB629_314:                            ;   in Loop: Header=BB629_213 Depth=1
	s_or_b64 exec, exec, s[14:15]
.LBB629_315:                            ;   in Loop: Header=BB629_213 Depth=1
	s_or_b64 exec, exec, s[12:13]
	v_lshrrev_b16_e32 v46, 8, v44
	v_cmp_ne_u16_e32 vcc, 0, v46
	v_mov_b32_e32 v48, 0
	v_mov_b32_e32 v49, 0
	s_and_saveexec_b64 s[12:13], vcc
	s_cbranch_execz .LBB629_321
; %bb.316:                              ;   in Loop: Header=BB629_213 Depth=1
	v_cmp_ne_u16_e32 vcc, s9, v46
	v_bfrev_b32_e32 v49, 1
	s_and_saveexec_b64 s[14:15], vcc
	s_cbranch_execz .LBB629_320
; %bb.317:                              ;   in Loop: Header=BB629_213 Depth=1
	v_and_b32_e32 v59, 0x7f, v46
	v_cmp_ne_u32_e32 vcc, s19, v59
	v_mov_b32_e32 v49, 0x7f800001
	s_and_saveexec_b64 s[16:17], vcc
	s_cbranch_execz .LBB629_319
; %bb.318:                              ;   in Loop: Header=BB629_213 Depth=1
	v_and_b32_e32 v49, 7, v46
	v_ffbh_u32_e32 v60, v49
	v_min_u32_e32 v63, 32, v60
	v_subrev_u32_e32 v60, 28, v63
	v_lshlrev_b64 v[60:61], v60, v[46:47]
	v_lshrrev_b32_e32 v62, 3, v59
	v_sub_u32_e32 v46, 29, v63
	v_and_b32_e32 v60, 7, v60
	v_cmp_gt_u32_e32 vcc, 8, v59
	v_cndmask_b32_e32 v46, v62, v46, vcc
	v_cndmask_b32_e32 v49, v49, v60, vcc
	v_lshlrev_b32_e32 v59, 16, v44
	v_lshlrev_b32_e32 v49, 20, v49
	v_and_b32_e32 v59, 0x80000000, v59
	v_lshl_add_u32 v46, v46, 23, v45
	v_or3_b32 v49, v59, v46, v49
.LBB629_319:                            ;   in Loop: Header=BB629_213 Depth=1
	s_or_b64 exec, exec, s[16:17]
.LBB629_320:                            ;   in Loop: Header=BB629_213 Depth=1
	s_or_b64 exec, exec, s[14:15]
.LBB629_321:                            ;   in Loop: Header=BB629_213 Depth=1
	s_or_b64 exec, exec, s[12:13]
	v_lshrrev_b32_e32 v46, 16, v44
	v_cmp_ne_u16_sdwa s[14:15], v46, v43 src0_sel:BYTE_0 src1_sel:DWORD
	s_and_saveexec_b64 s[12:13], s[14:15]
	s_cbranch_execz .LBB629_327
; %bb.322:                              ;   in Loop: Header=BB629_213 Depth=1
	v_cmp_ne_u16_sdwa s[16:17], v46, s9 src0_sel:BYTE_0 src1_sel:DWORD
	v_bfrev_b32_e32 v48, 1
	s_and_saveexec_b64 s[14:15], s[16:17]
	s_cbranch_execz .LBB629_326
; %bb.323:                              ;   in Loop: Header=BB629_213 Depth=1
	v_bfe_u32 v59, v44, 16, 7
	v_cmp_ne_u32_e32 vcc, s19, v59
	v_mov_b32_e32 v48, 0x7f800001
	s_and_saveexec_b64 s[16:17], vcc
	s_cbranch_execz .LBB629_325
; %bb.324:                              ;   in Loop: Header=BB629_213 Depth=1
	v_and_b32_e32 v48, 7, v46
	v_ffbh_u32_e32 v60, v48
	v_min_u32_e32 v63, 32, v60
	v_subrev_u32_e32 v60, 28, v63
	v_lshlrev_b64 v[60:61], v60, v[46:47]
	v_lshrrev_b32_e32 v62, 3, v59
	v_sub_u32_e32 v61, 29, v63
	v_and_b32_e32 v60, 7, v60
	v_cmp_gt_u32_e32 vcc, 8, v59
	v_cndmask_b32_e32 v59, v62, v61, vcc
	v_cndmask_b32_e32 v48, v48, v60, vcc
	v_lshlrev_b32_e32 v46, 24, v46
	v_lshlrev_b32_e32 v48, 20, v48
	v_and_b32_e32 v46, 0x80000000, v46
	v_lshl_add_u32 v59, v59, 23, v45
	v_or3_b32 v48, v46, v59, v48
.LBB629_325:                            ;   in Loop: Header=BB629_213 Depth=1
	s_or_b64 exec, exec, s[16:17]
.LBB629_326:                            ;   in Loop: Header=BB629_213 Depth=1
	s_or_b64 exec, exec, s[14:15]
.LBB629_327:                            ;   in Loop: Header=BB629_213 Depth=1
	s_or_b64 exec, exec, s[12:13]
	v_cmp_lt_u32_e32 vcc, s20, v44
	v_mov_b32_e32 v59, 0
	v_mov_b32_e32 v60, 0
	s_and_saveexec_b64 s[12:13], vcc
	s_cbranch_execz .LBB629_333
; %bb.328:                              ;   in Loop: Header=BB629_213 Depth=1
	v_lshrrev_b32_e32 v46, 24, v44
	v_cmp_ne_u32_e32 vcc, s9, v46
	v_bfrev_b32_e32 v60, 1
	s_and_saveexec_b64 s[14:15], vcc
	s_cbranch_execz .LBB629_332
; %bb.329:                              ;   in Loop: Header=BB629_213 Depth=1
	v_bfe_u32 v44, v44, 24, 7
	v_cmp_ne_u32_e32 vcc, s19, v44
	v_mov_b32_e32 v60, 0x7f800001
	s_and_saveexec_b64 s[16:17], vcc
	s_cbranch_execz .LBB629_331
; %bb.330:                              ;   in Loop: Header=BB629_213 Depth=1
	v_and_b32_e32 v62, 7, v46
	v_ffbh_u32_e32 v60, v62
	v_min_u32_e32 v64, 32, v60
	v_subrev_u32_e32 v60, 28, v64
	v_lshlrev_b64 v[60:61], v60, v[46:47]
	v_lshrrev_b32_e32 v63, 3, v44
	v_sub_u32_e32 v61, 29, v64
	v_and_b32_e32 v60, 7, v60
	v_cmp_gt_u32_e32 vcc, 8, v44
	v_cndmask_b32_e32 v44, v63, v61, vcc
	v_cndmask_b32_e32 v60, v62, v60, vcc
	v_lshlrev_b32_e32 v46, 24, v46
	v_lshlrev_b32_e32 v60, 20, v60
	v_and_b32_e32 v46, 0x80000000, v46
	v_lshl_add_u32 v44, v44, 23, v45
	v_or3_b32 v60, v46, v44, v60
.LBB629_331:                            ;   in Loop: Header=BB629_213 Depth=1
	s_or_b64 exec, exec, s[16:17]
.LBB629_332:                            ;   in Loop: Header=BB629_213 Depth=1
	s_or_b64 exec, exec, s[14:15]
.LBB629_333:                            ;   in Loop: Header=BB629_213 Depth=1
	s_or_b64 exec, exec, s[12:13]
	s_waitcnt vmcnt(2)
	v_cmp_ne_u16_sdwa s[14:15], v42, v43 src0_sel:BYTE_0 src1_sel:DWORD
	s_and_saveexec_b64 s[12:13], s[14:15]
	s_cbranch_execz .LBB629_339
; %bb.334:                              ;   in Loop: Header=BB629_213 Depth=1
	v_cmp_ne_u16_sdwa s[16:17], v42, s9 src0_sel:BYTE_0 src1_sel:DWORD
	v_bfrev_b32_e32 v59, 1
	s_and_saveexec_b64 s[14:15], s[16:17]
	s_cbranch_execz .LBB629_338
; %bb.335:                              ;   in Loop: Header=BB629_213 Depth=1
	v_and_b32_e32 v44, 0x7f, v42
	v_cmp_ne_u32_e32 vcc, s19, v44
	v_mov_b32_e32 v59, 0x7f800001
	s_and_saveexec_b64 s[16:17], vcc
	s_cbranch_execz .LBB629_337
; %bb.336:                              ;   in Loop: Header=BB629_213 Depth=1
	v_and_b32_e32 v46, 7, v42
	v_ffbh_u32_e32 v61, v46
	v_min_u32_e32 v61, 32, v61
	v_subrev_u32_e32 v62, 28, v61
	v_lshlrev_b64 v[62:63], v62, v[42:43]
	v_lshrrev_b32_e32 v59, 3, v44
	v_sub_u32_e32 v61, 29, v61
	v_and_b32_e32 v62, 7, v62
	v_cmp_gt_u32_e32 vcc, 8, v44
	v_cndmask_b32_e32 v44, v59, v61, vcc
	v_cndmask_b32_e32 v46, v46, v62, vcc
	v_lshlrev_b32_e32 v59, 24, v42
	v_lshlrev_b32_e32 v46, 20, v46
	v_and_b32_e32 v59, 0x80000000, v59
	v_lshl_add_u32 v44, v44, 23, v45
	v_or3_b32 v59, v59, v44, v46
.LBB629_337:                            ;   in Loop: Header=BB629_213 Depth=1
	s_or_b64 exec, exec, s[16:17]
.LBB629_338:                            ;   in Loop: Header=BB629_213 Depth=1
	s_or_b64 exec, exec, s[14:15]
.LBB629_339:                            ;   in Loop: Header=BB629_213 Depth=1
	s_or_b64 exec, exec, s[12:13]
	v_lshrrev_b16_e32 v44, 8, v42
	v_cmp_ne_u16_e32 vcc, 0, v44
	v_mov_b32_e32 v61, 0
	v_mov_b32_e32 v62, 0
	s_and_saveexec_b64 s[12:13], vcc
	s_cbranch_execz .LBB629_345
; %bb.340:                              ;   in Loop: Header=BB629_213 Depth=1
	v_cmp_ne_u16_e32 vcc, s9, v44
	v_bfrev_b32_e32 v62, 1
	s_and_saveexec_b64 s[14:15], vcc
	s_cbranch_execz .LBB629_344
; %bb.341:                              ;   in Loop: Header=BB629_213 Depth=1
	v_and_b32_e32 v46, 0x7f, v44
	v_cmp_ne_u32_e32 vcc, s19, v46
	v_mov_b32_e32 v62, 0x7f800001
	s_and_saveexec_b64 s[16:17], vcc
	s_cbranch_execz .LBB629_343
; %bb.342:                              ;   in Loop: Header=BB629_213 Depth=1
	v_and_b32_e32 v64, 7, v44
	v_ffbh_u32_e32 v62, v64
	v_min_u32_e32 v66, 32, v62
	v_subrev_u32_e32 v62, 28, v66
	v_lshlrev_b64 v[62:63], v62, v[44:45]
	v_lshrrev_b32_e32 v65, 3, v46
	v_sub_u32_e32 v44, 29, v66
	v_and_b32_e32 v62, 7, v62
	v_cmp_gt_u32_e32 vcc, 8, v46
	v_cndmask_b32_e32 v44, v65, v44, vcc
	v_cndmask_b32_e32 v46, v64, v62, vcc
	v_lshlrev_b32_e32 v62, 16, v42
	v_lshlrev_b32_e32 v46, 20, v46
	v_and_b32_e32 v62, 0x80000000, v62
	v_lshl_add_u32 v44, v44, 23, v45
	v_or3_b32 v62, v62, v44, v46
.LBB629_343:                            ;   in Loop: Header=BB629_213 Depth=1
	s_or_b64 exec, exec, s[16:17]
.LBB629_344:                            ;   in Loop: Header=BB629_213 Depth=1
	s_or_b64 exec, exec, s[14:15]
.LBB629_345:                            ;   in Loop: Header=BB629_213 Depth=1
	s_or_b64 exec, exec, s[12:13]
	v_lshrrev_b32_e32 v44, 16, v42
	v_cmp_ne_u16_sdwa s[14:15], v44, v43 src0_sel:BYTE_0 src1_sel:DWORD
	s_and_saveexec_b64 s[12:13], s[14:15]
	s_cbranch_execz .LBB629_351
; %bb.346:                              ;   in Loop: Header=BB629_213 Depth=1
	v_cmp_ne_u16_sdwa s[16:17], v44, s9 src0_sel:BYTE_0 src1_sel:DWORD
	v_bfrev_b32_e32 v61, 1
	s_and_saveexec_b64 s[14:15], s[16:17]
	s_cbranch_execz .LBB629_350
; %bb.347:                              ;   in Loop: Header=BB629_213 Depth=1
	v_bfe_u32 v46, v42, 16, 7
	v_cmp_ne_u32_e32 vcc, s19, v46
	v_mov_b32_e32 v61, 0x7f800001
	s_and_saveexec_b64 s[16:17], vcc
	s_cbranch_execz .LBB629_349
; %bb.348:                              ;   in Loop: Header=BB629_213 Depth=1
	v_and_b32_e32 v61, 7, v44
	v_ffbh_u32_e32 v64, v61
	v_min_u32_e32 v66, 32, v64
	v_subrev_u32_e32 v64, 28, v66
	v_lshlrev_b64 v[64:65], v64, v[44:45]
	v_lshrrev_b32_e32 v63, 3, v46
	v_sub_u32_e32 v65, 29, v66
	v_and_b32_e32 v64, 7, v64
	v_cmp_gt_u32_e32 vcc, 8, v46
	v_cndmask_b32_e32 v46, v63, v65, vcc
	v_cndmask_b32_e32 v61, v61, v64, vcc
	v_lshlrev_b32_e32 v44, 24, v44
	v_lshlrev_b32_e32 v61, 20, v61
	v_and_b32_e32 v44, 0x80000000, v44
	v_lshl_add_u32 v46, v46, 23, v45
	v_or3_b32 v61, v44, v46, v61
.LBB629_349:                            ;   in Loop: Header=BB629_213 Depth=1
	s_or_b64 exec, exec, s[16:17]
.LBB629_350:                            ;   in Loop: Header=BB629_213 Depth=1
	s_or_b64 exec, exec, s[14:15]
.LBB629_351:                            ;   in Loop: Header=BB629_213 Depth=1
	s_or_b64 exec, exec, s[12:13]
	v_cmp_lt_u32_e32 vcc, s20, v42
	v_mov_b32_e32 v46, 0
	v_mov_b32_e32 v63, 0
	s_and_saveexec_b64 s[12:13], vcc
	s_cbranch_execz .LBB629_357
; %bb.352:                              ;   in Loop: Header=BB629_213 Depth=1
	v_lshrrev_b32_e32 v44, 24, v42
	v_cmp_ne_u32_e32 vcc, s9, v44
	v_bfrev_b32_e32 v63, 1
	s_and_saveexec_b64 s[14:15], vcc
	s_cbranch_execz .LBB629_356
; %bb.353:                              ;   in Loop: Header=BB629_213 Depth=1
	v_bfe_u32 v42, v42, 24, 7
	v_cmp_ne_u32_e32 vcc, s19, v42
	v_mov_b32_e32 v63, 0x7f800001
	s_and_saveexec_b64 s[16:17], vcc
	s_cbranch_execz .LBB629_355
; %bb.354:                              ;   in Loop: Header=BB629_213 Depth=1
	v_and_b32_e32 v63, 7, v44
	v_ffbh_u32_e32 v64, v63
	v_min_u32_e32 v67, 32, v64
	v_subrev_u32_e32 v64, 28, v67
	v_lshlrev_b64 v[64:65], v64, v[44:45]
	v_lshrrev_b32_e32 v66, 3, v42
	v_sub_u32_e32 v65, 29, v67
	v_and_b32_e32 v64, 7, v64
	v_cmp_gt_u32_e32 vcc, 8, v42
	v_cndmask_b32_e32 v42, v66, v65, vcc
	v_cndmask_b32_e32 v63, v63, v64, vcc
	v_lshlrev_b32_e32 v44, 24, v44
	v_lshlrev_b32_e32 v63, 20, v63
	v_and_b32_e32 v44, 0x80000000, v44
	v_lshl_add_u32 v42, v42, 23, v45
	v_or3_b32 v63, v44, v42, v63
.LBB629_355:                            ;   in Loop: Header=BB629_213 Depth=1
	s_or_b64 exec, exec, s[16:17]
.LBB629_356:                            ;   in Loop: Header=BB629_213 Depth=1
	s_or_b64 exec, exec, s[14:15]
.LBB629_357:                            ;   in Loop: Header=BB629_213 Depth=1
	s_or_b64 exec, exec, s[12:13]
	v_cvt_pkrtz_f16_f32 v64, v47, v49
	v_cvt_pkrtz_f16_f32 v65, v48, v60
	;; [unrolled: 1-line block ×4, first 2 shown]
	s_waitcnt vmcnt(1)
	v_cmp_ne_u16_sdwa s[14:15], v40, v43 src0_sel:BYTE_0 src1_sel:DWORD
	v_mfma_f32_16x16x16f16 v[34:37], v[64:65], v[10:11], v[34:37]
	v_mfma_f32_16x16x16f16 v[34:37], v[48:49], v[12:13], v[34:37]
	s_and_saveexec_b64 s[12:13], s[14:15]
	s_cbranch_execz .LBB629_363
; %bb.358:                              ;   in Loop: Header=BB629_213 Depth=1
	v_cmp_ne_u16_sdwa s[16:17], v40, s9 src0_sel:BYTE_0 src1_sel:DWORD
	v_bfrev_b32_e32 v46, 1
	s_and_saveexec_b64 s[14:15], s[16:17]
	s_cbranch_execz .LBB629_362
; %bb.359:                              ;   in Loop: Header=BB629_213 Depth=1
	v_and_b32_e32 v42, 0x7f, v40
	v_cmp_ne_u32_e32 vcc, s19, v42
	v_mov_b32_e32 v46, 0x7f800001
	s_and_saveexec_b64 s[16:17], vcc
	s_cbranch_execz .LBB629_361
; %bb.360:                              ;   in Loop: Header=BB629_213 Depth=1
	v_and_b32_e32 v44, 7, v40
	v_ffbh_u32_e32 v46, v44
	v_min_u32_e32 v49, 32, v46
	v_subrev_u32_e32 v46, 28, v49
	v_lshlrev_b64 v[46:47], v46, v[40:41]
	v_lshrrev_b32_e32 v48, 3, v42
	v_sub_u32_e32 v47, 29, v49
	v_and_b32_e32 v46, 7, v46
	v_cmp_gt_u32_e32 vcc, 8, v42
	v_cndmask_b32_e32 v42, v48, v47, vcc
	v_cndmask_b32_e32 v44, v44, v46, vcc
	v_lshlrev_b32_e32 v46, 24, v40
	v_lshlrev_b32_e32 v44, 20, v44
	v_and_b32_e32 v46, 0x80000000, v46
	v_lshl_add_u32 v42, v42, 23, v45
	v_or3_b32 v46, v46, v42, v44
.LBB629_361:                            ;   in Loop: Header=BB629_213 Depth=1
	s_or_b64 exec, exec, s[16:17]
.LBB629_362:                            ;   in Loop: Header=BB629_213 Depth=1
	s_or_b64 exec, exec, s[14:15]
.LBB629_363:                            ;   in Loop: Header=BB629_213 Depth=1
	s_or_b64 exec, exec, s[12:13]
	v_lshrrev_b16_e32 v42, 8, v40
	v_cmp_ne_u16_e32 vcc, 0, v42
	v_mov_b32_e32 v44, 0
	v_mov_b32_e32 v48, 0
	s_and_saveexec_b64 s[12:13], vcc
	s_cbranch_execz .LBB629_369
; %bb.364:                              ;   in Loop: Header=BB629_213 Depth=1
	v_cmp_ne_u16_e32 vcc, s9, v42
	v_bfrev_b32_e32 v48, 1
	s_and_saveexec_b64 s[14:15], vcc
	s_cbranch_execz .LBB629_368
; %bb.365:                              ;   in Loop: Header=BB629_213 Depth=1
	v_and_b32_e32 v47, 0x7f, v42
	v_cmp_ne_u32_e32 vcc, s19, v47
	v_mov_b32_e32 v48, 0x7f800001
	s_and_saveexec_b64 s[16:17], vcc
	s_cbranch_execz .LBB629_367
; %bb.366:                              ;   in Loop: Header=BB629_213 Depth=1
	v_and_b32_e32 v59, 7, v42
	v_ffbh_u32_e32 v48, v59
	v_min_u32_e32 v61, 32, v48
	v_subrev_u32_e32 v48, 28, v61
	v_lshlrev_b64 v[48:49], v48, v[42:43]
	v_lshrrev_b32_e32 v60, 3, v47
	v_sub_u32_e32 v42, 29, v61
	v_and_b32_e32 v48, 7, v48
	v_cmp_gt_u32_e32 vcc, 8, v47
	v_cndmask_b32_e32 v42, v60, v42, vcc
	v_cndmask_b32_e32 v47, v59, v48, vcc
	v_lshlrev_b32_e32 v48, 16, v40
	v_lshlrev_b32_e32 v47, 20, v47
	v_and_b32_e32 v48, 0x80000000, v48
	v_lshl_add_u32 v42, v42, 23, v45
	v_or3_b32 v48, v48, v42, v47
.LBB629_367:                            ;   in Loop: Header=BB629_213 Depth=1
	s_or_b64 exec, exec, s[16:17]
.LBB629_368:                            ;   in Loop: Header=BB629_213 Depth=1
	s_or_b64 exec, exec, s[14:15]
.LBB629_369:                            ;   in Loop: Header=BB629_213 Depth=1
	s_or_b64 exec, exec, s[12:13]
	v_lshrrev_b32_e32 v42, 16, v40
	v_cmp_ne_u16_sdwa s[14:15], v42, v43 src0_sel:BYTE_0 src1_sel:DWORD
	s_and_saveexec_b64 s[12:13], s[14:15]
	s_cbranch_execz .LBB629_375
; %bb.370:                              ;   in Loop: Header=BB629_213 Depth=1
	v_cmp_ne_u16_sdwa s[16:17], v42, s9 src0_sel:BYTE_0 src1_sel:DWORD
	v_bfrev_b32_e32 v44, 1
	s_and_saveexec_b64 s[14:15], s[16:17]
	s_cbranch_execz .LBB629_374
; %bb.371:                              ;   in Loop: Header=BB629_213 Depth=1
	v_bfe_u32 v47, v40, 16, 7
	v_cmp_ne_u32_e32 vcc, s19, v47
	v_mov_b32_e32 v44, 0x7f800001
	s_and_saveexec_b64 s[16:17], vcc
	s_cbranch_execz .LBB629_373
; %bb.372:                              ;   in Loop: Header=BB629_213 Depth=1
	v_and_b32_e32 v44, 7, v42
	v_ffbh_u32_e32 v59, v44
	v_min_u32_e32 v59, 32, v59
	v_subrev_u32_e32 v60, 28, v59
	v_lshlrev_b64 v[60:61], v60, v[42:43]
	v_lshrrev_b32_e32 v49, 3, v47
	v_sub_u32_e32 v59, 29, v59
	v_and_b32_e32 v60, 7, v60
	v_cmp_gt_u32_e32 vcc, 8, v47
	v_cndmask_b32_e32 v47, v49, v59, vcc
	v_cndmask_b32_e32 v44, v44, v60, vcc
	v_lshlrev_b32_e32 v42, 24, v42
	v_lshlrev_b32_e32 v44, 20, v44
	v_and_b32_e32 v42, 0x80000000, v42
	v_lshl_add_u32 v47, v47, 23, v45
	v_or3_b32 v44, v42, v47, v44
.LBB629_373:                            ;   in Loop: Header=BB629_213 Depth=1
	s_or_b64 exec, exec, s[16:17]
.LBB629_374:                            ;   in Loop: Header=BB629_213 Depth=1
	s_or_b64 exec, exec, s[14:15]
.LBB629_375:                            ;   in Loop: Header=BB629_213 Depth=1
	s_or_b64 exec, exec, s[12:13]
	v_cmp_lt_u32_e32 vcc, s20, v40
	v_mov_b32_e32 v49, 0
	v_mov_b32_e32 v59, 0
	s_and_saveexec_b64 s[12:13], vcc
	s_cbranch_execz .LBB629_381
; %bb.376:                              ;   in Loop: Header=BB629_213 Depth=1
	v_lshrrev_b32_e32 v42, 24, v40
	v_cmp_ne_u32_e32 vcc, s9, v42
	v_bfrev_b32_e32 v59, 1
	s_and_saveexec_b64 s[14:15], vcc
	s_cbranch_execz .LBB629_380
; %bb.377:                              ;   in Loop: Header=BB629_213 Depth=1
	v_bfe_u32 v40, v40, 24, 7
	v_cmp_ne_u32_e32 vcc, s19, v40
	v_mov_b32_e32 v59, 0x7f800001
	s_and_saveexec_b64 s[16:17], vcc
	s_cbranch_execz .LBB629_379
; %bb.378:                              ;   in Loop: Header=BB629_213 Depth=1
	v_and_b32_e32 v47, 7, v42
	v_ffbh_u32_e32 v60, v47
	v_min_u32_e32 v62, 32, v60
	v_subrev_u32_e32 v60, 28, v62
	v_lshlrev_b64 v[60:61], v60, v[42:43]
	v_lshrrev_b32_e32 v59, 3, v40
	v_sub_u32_e32 v61, 29, v62
	v_and_b32_e32 v60, 7, v60
	v_cmp_gt_u32_e32 vcc, 8, v40
	v_cndmask_b32_e32 v40, v59, v61, vcc
	v_cndmask_b32_e32 v47, v47, v60, vcc
	v_lshlrev_b32_e32 v42, 24, v42
	v_lshlrev_b32_e32 v47, 20, v47
	v_and_b32_e32 v42, 0x80000000, v42
	v_lshl_add_u32 v40, v40, 23, v45
	v_or3_b32 v59, v42, v40, v47
.LBB629_379:                            ;   in Loop: Header=BB629_213 Depth=1
	s_or_b64 exec, exec, s[16:17]
.LBB629_380:                            ;   in Loop: Header=BB629_213 Depth=1
	s_or_b64 exec, exec, s[14:15]
.LBB629_381:                            ;   in Loop: Header=BB629_213 Depth=1
	s_or_b64 exec, exec, s[12:13]
	s_waitcnt vmcnt(0)
	v_cmp_ne_u16_sdwa s[14:15], v38, v43 src0_sel:BYTE_0 src1_sel:DWORD
	s_and_saveexec_b64 s[12:13], s[14:15]
	s_cbranch_execz .LBB629_387
; %bb.382:                              ;   in Loop: Header=BB629_213 Depth=1
	v_cmp_ne_u16_sdwa s[16:17], v38, s9 src0_sel:BYTE_0 src1_sel:DWORD
	v_bfrev_b32_e32 v49, 1
	s_and_saveexec_b64 s[14:15], s[16:17]
	s_cbranch_execz .LBB629_386
; %bb.383:                              ;   in Loop: Header=BB629_213 Depth=1
	v_and_b32_e32 v40, 0x7f, v38
	v_cmp_ne_u32_e32 vcc, s19, v40
	v_mov_b32_e32 v49, 0x7f800001
	s_and_saveexec_b64 s[16:17], vcc
	s_cbranch_execz .LBB629_385
; %bb.384:                              ;   in Loop: Header=BB629_213 Depth=1
	v_and_b32_e32 v42, 7, v38
	v_ffbh_u32_e32 v49, v42
	v_min_u32_e32 v49, 32, v49
	v_subrev_u32_e32 v60, 28, v49
	v_lshlrev_b64 v[60:61], v60, v[38:39]
	v_lshrrev_b32_e32 v47, 3, v40
	v_sub_u32_e32 v49, 29, v49
	v_and_b32_e32 v60, 7, v60
	v_cmp_gt_u32_e32 vcc, 8, v40
	v_cndmask_b32_e32 v40, v47, v49, vcc
	v_cndmask_b32_e32 v42, v42, v60, vcc
	v_lshlrev_b32_e32 v47, 24, v38
	v_lshlrev_b32_e32 v42, 20, v42
	v_and_b32_e32 v47, 0x80000000, v47
	v_lshl_add_u32 v40, v40, 23, v45
	v_or3_b32 v49, v47, v40, v42
.LBB629_385:                            ;   in Loop: Header=BB629_213 Depth=1
	s_or_b64 exec, exec, s[16:17]
.LBB629_386:                            ;   in Loop: Header=BB629_213 Depth=1
	s_or_b64 exec, exec, s[14:15]
.LBB629_387:                            ;   in Loop: Header=BB629_213 Depth=1
	s_or_b64 exec, exec, s[12:13]
	v_lshrrev_b16_e32 v40, 8, v38
	v_cmp_ne_u16_e32 vcc, 0, v40
	v_mov_b32_e32 v60, 0
	v_mov_b32_e32 v61, 0
	s_and_saveexec_b64 s[12:13], vcc
	s_cbranch_execz .LBB629_393
; %bb.388:                              ;   in Loop: Header=BB629_213 Depth=1
	v_cmp_ne_u16_e32 vcc, s9, v40
	v_bfrev_b32_e32 v61, 1
	s_and_saveexec_b64 s[14:15], vcc
	s_cbranch_execz .LBB629_392
; %bb.389:                              ;   in Loop: Header=BB629_213 Depth=1
	v_and_b32_e32 v42, 0x7f, v40
	v_cmp_ne_u32_e32 vcc, s19, v42
	v_mov_b32_e32 v61, 0x7f800001
	s_and_saveexec_b64 s[16:17], vcc
	s_cbranch_execz .LBB629_391
; %bb.390:                              ;   in Loop: Header=BB629_213 Depth=1
	v_and_b32_e32 v47, 7, v40
	v_ffbh_u32_e32 v62, v47
	v_min_u32_e32 v64, 32, v62
	v_subrev_u32_e32 v62, 28, v64
	v_lshlrev_b64 v[62:63], v62, v[40:41]
	v_lshrrev_b32_e32 v61, 3, v42
	v_sub_u32_e32 v40, 29, v64
	v_and_b32_e32 v62, 7, v62
	v_cmp_gt_u32_e32 vcc, 8, v42
	v_cndmask_b32_e32 v40, v61, v40, vcc
	v_cndmask_b32_e32 v42, v47, v62, vcc
	v_lshlrev_b32_e32 v47, 16, v38
	v_lshlrev_b32_e32 v42, 20, v42
	v_and_b32_e32 v47, 0x80000000, v47
	v_lshl_add_u32 v40, v40, 23, v45
	v_or3_b32 v61, v47, v40, v42
.LBB629_391:                            ;   in Loop: Header=BB629_213 Depth=1
	s_or_b64 exec, exec, s[16:17]
.LBB629_392:                            ;   in Loop: Header=BB629_213 Depth=1
	s_or_b64 exec, exec, s[14:15]
.LBB629_393:                            ;   in Loop: Header=BB629_213 Depth=1
	s_or_b64 exec, exec, s[12:13]
	v_lshrrev_b32_e32 v40, 16, v38
	v_cmp_ne_u16_sdwa s[14:15], v40, v43 src0_sel:BYTE_0 src1_sel:DWORD
	s_and_saveexec_b64 s[12:13], s[14:15]
	s_cbranch_execz .LBB629_399
; %bb.394:                              ;   in Loop: Header=BB629_213 Depth=1
	v_cmp_ne_u16_sdwa s[16:17], v40, s9 src0_sel:BYTE_0 src1_sel:DWORD
	v_bfrev_b32_e32 v60, 1
	s_and_saveexec_b64 s[14:15], s[16:17]
	s_cbranch_execz .LBB629_398
; %bb.395:                              ;   in Loop: Header=BB629_213 Depth=1
	v_bfe_u32 v42, v38, 16, 7
	v_cmp_ne_u32_e32 vcc, s19, v42
	v_mov_b32_e32 v60, 0x7f800001
	s_and_saveexec_b64 s[16:17], vcc
	s_cbranch_execz .LBB629_397
; %bb.396:                              ;   in Loop: Header=BB629_213 Depth=1
	v_and_b32_e32 v47, 7, v40
	v_ffbh_u32_e32 v62, v47
	v_min_u32_e32 v64, 32, v62
	v_subrev_u32_e32 v62, 28, v64
	v_lshlrev_b64 v[62:63], v62, v[40:41]
	v_lshrrev_b32_e32 v60, 3, v42
	v_sub_u32_e32 v63, 29, v64
	v_and_b32_e32 v62, 7, v62
	v_cmp_gt_u32_e32 vcc, 8, v42
	v_cndmask_b32_e32 v42, v60, v63, vcc
	v_cndmask_b32_e32 v47, v47, v62, vcc
	v_lshlrev_b32_e32 v40, 24, v40
	v_lshlrev_b32_e32 v47, 20, v47
	v_and_b32_e32 v40, 0x80000000, v40
	v_lshl_add_u32 v42, v42, 23, v45
	v_or3_b32 v60, v40, v42, v47
.LBB629_397:                            ;   in Loop: Header=BB629_213 Depth=1
	s_or_b64 exec, exec, s[16:17]
.LBB629_398:                            ;   in Loop: Header=BB629_213 Depth=1
	s_or_b64 exec, exec, s[14:15]
.LBB629_399:                            ;   in Loop: Header=BB629_213 Depth=1
	s_or_b64 exec, exec, s[12:13]
	v_cmp_lt_u32_e32 vcc, s20, v38
	v_mov_b32_e32 v47, 0
	v_mov_b32_e32 v62, 0
	s_and_saveexec_b64 s[12:13], vcc
	s_cbranch_execz .LBB629_405
; %bb.400:                              ;   in Loop: Header=BB629_213 Depth=1
	v_lshrrev_b32_e32 v40, 24, v38
	v_cmp_ne_u32_e32 vcc, s9, v40
	v_bfrev_b32_e32 v62, 1
	s_and_saveexec_b64 s[14:15], vcc
	s_cbranch_execz .LBB629_404
; %bb.401:                              ;   in Loop: Header=BB629_213 Depth=1
	v_bfe_u32 v38, v38, 24, 7
	v_cmp_ne_u32_e32 vcc, s19, v38
	v_mov_b32_e32 v62, 0x7f800001
	s_and_saveexec_b64 s[16:17], vcc
	s_cbranch_execz .LBB629_403
; %bb.402:                              ;   in Loop: Header=BB629_213 Depth=1
	v_and_b32_e32 v42, 7, v40
	v_ffbh_u32_e32 v62, v42
	v_min_u32_e32 v65, 32, v62
	v_subrev_u32_e32 v62, 28, v65
	v_lshlrev_b64 v[62:63], v62, v[40:41]
	v_lshrrev_b32_e32 v64, 3, v38
	v_sub_u32_e32 v63, 29, v65
	v_and_b32_e32 v62, 7, v62
	v_cmp_gt_u32_e32 vcc, 8, v38
	v_cndmask_b32_e32 v38, v64, v63, vcc
	v_cndmask_b32_e32 v42, v42, v62, vcc
	v_lshlrev_b32_e32 v40, 24, v40
	v_lshlrev_b32_e32 v42, 20, v42
	v_and_b32_e32 v40, 0x80000000, v40
	v_lshl_add_u32 v38, v38, 23, v45
	v_or3_b32 v62, v40, v38, v42
.LBB629_403:                            ;   in Loop: Header=BB629_213 Depth=1
	s_or_b64 exec, exec, s[16:17]
.LBB629_404:                            ;   in Loop: Header=BB629_213 Depth=1
	s_or_b64 exec, exec, s[14:15]
.LBB629_405:                            ;   in Loop: Header=BB629_213 Depth=1
	s_or_b64 exec, exec, s[12:13]
	v_cvt_pkrtz_f16_f32 v65, v44, v59
	buffer_load_dword v44, v58, s[0:3], 0 offen
	buffer_load_dword v42, v58, s[0:3], 0 offen offset:4
	buffer_load_dword v40, v58, s[0:3], 0 offen offset:8
	;; [unrolled: 1-line block ×3, first 2 shown]
	v_cvt_pkrtz_f16_f32 v64, v46, v48
	v_cvt_pkrtz_f16_f32 v48, v49, v61
	;; [unrolled: 1-line block ×3, first 2 shown]
	v_mfma_f32_16x16x16f16 v[34:37], v[64:65], v[14:15], v[34:37]
	s_waitcnt vmcnt(3)
	v_cmp_ne_u16_sdwa s[14:15], v44, v43 src0_sel:BYTE_0 src1_sel:DWORD
	v_mfma_f32_16x16x16f16 v[34:37], v[48:49], v[16:17], v[34:37]
	s_and_saveexec_b64 s[12:13], s[14:15]
	s_cbranch_execz .LBB629_411
; %bb.406:                              ;   in Loop: Header=BB629_213 Depth=1
	v_cmp_ne_u16_sdwa s[16:17], v44, s9 src0_sel:BYTE_0 src1_sel:DWORD
	v_bfrev_b32_e32 v47, 1
	s_and_saveexec_b64 s[14:15], s[16:17]
	s_cbranch_execz .LBB629_410
; %bb.407:                              ;   in Loop: Header=BB629_213 Depth=1
	v_and_b32_e32 v46, 0x7f, v44
	v_cmp_ne_u32_e32 vcc, s19, v46
	v_mov_b32_e32 v47, 0x7f800001
	s_and_saveexec_b64 s[16:17], vcc
	s_cbranch_execz .LBB629_409
; %bb.408:                              ;   in Loop: Header=BB629_213 Depth=1
	v_and_b32_e32 v47, 7, v44
	v_ffbh_u32_e32 v48, v47
	v_min_u32_e32 v59, 32, v48
	v_subrev_u32_e32 v48, 28, v59
	v_lshlrev_b64 v[48:49], v48, v[44:45]
	v_lshrrev_b32_e32 v58, 3, v46
	v_sub_u32_e32 v49, 29, v59
	v_and_b32_e32 v48, 7, v48
	v_cmp_gt_u32_e32 vcc, 8, v46
	v_cndmask_b32_e32 v46, v58, v49, vcc
	v_cndmask_b32_e32 v47, v47, v48, vcc
	v_lshlrev_b32_e32 v48, 24, v44
	v_lshlrev_b32_e32 v47, 20, v47
	v_and_b32_e32 v48, 0x80000000, v48
	v_lshl_add_u32 v46, v46, 23, v45
	v_or3_b32 v47, v48, v46, v47
.LBB629_409:                            ;   in Loop: Header=BB629_213 Depth=1
	s_or_b64 exec, exec, s[16:17]
.LBB629_410:                            ;   in Loop: Header=BB629_213 Depth=1
	s_or_b64 exec, exec, s[14:15]
.LBB629_411:                            ;   in Loop: Header=BB629_213 Depth=1
	s_or_b64 exec, exec, s[12:13]
	v_lshrrev_b16_e32 v46, 8, v44
	v_cmp_ne_u16_e32 vcc, 0, v46
	v_mov_b32_e32 v48, 0
	v_mov_b32_e32 v49, 0
	s_and_saveexec_b64 s[12:13], vcc
	s_cbranch_execz .LBB629_417
; %bb.412:                              ;   in Loop: Header=BB629_213 Depth=1
	v_cmp_ne_u16_e32 vcc, s9, v46
	v_bfrev_b32_e32 v49, 1
	s_and_saveexec_b64 s[14:15], vcc
	s_cbranch_execz .LBB629_416
; %bb.413:                              ;   in Loop: Header=BB629_213 Depth=1
	v_and_b32_e32 v58, 0x7f, v46
	v_cmp_ne_u32_e32 vcc, s19, v58
	v_mov_b32_e32 v49, 0x7f800001
	s_and_saveexec_b64 s[16:17], vcc
	s_cbranch_execz .LBB629_415
; %bb.414:                              ;   in Loop: Header=BB629_213 Depth=1
	v_and_b32_e32 v49, 7, v46
	v_ffbh_u32_e32 v60, v49
	v_min_u32_e32 v62, 32, v60
	v_subrev_u32_e32 v60, 28, v62
	v_lshlrev_b64 v[60:61], v60, v[46:47]
	v_lshrrev_b32_e32 v59, 3, v58
	v_sub_u32_e32 v46, 29, v62
	v_and_b32_e32 v60, 7, v60
	v_cmp_gt_u32_e32 vcc, 8, v58
	v_cndmask_b32_e32 v46, v59, v46, vcc
	v_cndmask_b32_e32 v49, v49, v60, vcc
	v_lshlrev_b32_e32 v58, 16, v44
	v_lshlrev_b32_e32 v49, 20, v49
	v_and_b32_e32 v58, 0x80000000, v58
	v_lshl_add_u32 v46, v46, 23, v45
	v_or3_b32 v49, v58, v46, v49
.LBB629_415:                            ;   in Loop: Header=BB629_213 Depth=1
	s_or_b64 exec, exec, s[16:17]
.LBB629_416:                            ;   in Loop: Header=BB629_213 Depth=1
	s_or_b64 exec, exec, s[14:15]
.LBB629_417:                            ;   in Loop: Header=BB629_213 Depth=1
	s_or_b64 exec, exec, s[12:13]
	v_lshrrev_b32_e32 v46, 16, v44
	v_cmp_ne_u16_sdwa s[14:15], v46, v43 src0_sel:BYTE_0 src1_sel:DWORD
	s_and_saveexec_b64 s[12:13], s[14:15]
	s_cbranch_execz .LBB629_423
; %bb.418:                              ;   in Loop: Header=BB629_213 Depth=1
	v_cmp_ne_u16_sdwa s[16:17], v46, s9 src0_sel:BYTE_0 src1_sel:DWORD
	v_bfrev_b32_e32 v48, 1
	s_and_saveexec_b64 s[14:15], s[16:17]
	s_cbranch_execz .LBB629_422
; %bb.419:                              ;   in Loop: Header=BB629_213 Depth=1
	v_bfe_u32 v58, v44, 16, 7
	v_cmp_ne_u32_e32 vcc, s19, v58
	v_mov_b32_e32 v48, 0x7f800001
	s_and_saveexec_b64 s[16:17], vcc
	s_cbranch_execz .LBB629_421
; %bb.420:                              ;   in Loop: Header=BB629_213 Depth=1
	v_and_b32_e32 v48, 7, v46
	v_ffbh_u32_e32 v60, v48
	v_min_u32_e32 v62, 32, v60
	v_subrev_u32_e32 v60, 28, v62
	v_lshlrev_b64 v[60:61], v60, v[46:47]
	v_lshrrev_b32_e32 v59, 3, v58
	v_sub_u32_e32 v61, 29, v62
	v_and_b32_e32 v60, 7, v60
	v_cmp_gt_u32_e32 vcc, 8, v58
	v_cndmask_b32_e32 v58, v59, v61, vcc
	v_cndmask_b32_e32 v48, v48, v60, vcc
	v_lshlrev_b32_e32 v46, 24, v46
	v_lshlrev_b32_e32 v48, 20, v48
	v_and_b32_e32 v46, 0x80000000, v46
	v_lshl_add_u32 v58, v58, 23, v45
	v_or3_b32 v48, v46, v58, v48
.LBB629_421:                            ;   in Loop: Header=BB629_213 Depth=1
	s_or_b64 exec, exec, s[16:17]
.LBB629_422:                            ;   in Loop: Header=BB629_213 Depth=1
	s_or_b64 exec, exec, s[14:15]
.LBB629_423:                            ;   in Loop: Header=BB629_213 Depth=1
	s_or_b64 exec, exec, s[12:13]
	v_cmp_lt_u32_e32 vcc, s20, v44
	v_mov_b32_e32 v58, 0
	v_mov_b32_e32 v59, 0
	s_and_saveexec_b64 s[12:13], vcc
	s_cbranch_execz .LBB629_429
; %bb.424:                              ;   in Loop: Header=BB629_213 Depth=1
	v_lshrrev_b32_e32 v46, 24, v44
	v_cmp_ne_u32_e32 vcc, s9, v46
	v_bfrev_b32_e32 v59, 1
	s_and_saveexec_b64 s[14:15], vcc
	s_cbranch_execz .LBB629_428
; %bb.425:                              ;   in Loop: Header=BB629_213 Depth=1
	v_bfe_u32 v44, v44, 24, 7
	v_cmp_ne_u32_e32 vcc, s19, v44
	v_mov_b32_e32 v59, 0x7f800001
	s_and_saveexec_b64 s[16:17], vcc
	s_cbranch_execz .LBB629_427
; %bb.426:                              ;   in Loop: Header=BB629_213 Depth=1
	v_and_b32_e32 v59, 7, v46
	v_ffbh_u32_e32 v60, v59
	v_min_u32_e32 v63, 32, v60
	v_subrev_u32_e32 v60, 28, v63
	v_lshlrev_b64 v[60:61], v60, v[46:47]
	v_lshrrev_b32_e32 v62, 3, v44
	v_sub_u32_e32 v61, 29, v63
	v_and_b32_e32 v60, 7, v60
	v_cmp_gt_u32_e32 vcc, 8, v44
	v_cndmask_b32_e32 v44, v62, v61, vcc
	v_cndmask_b32_e32 v59, v59, v60, vcc
	v_lshlrev_b32_e32 v46, 24, v46
	v_lshlrev_b32_e32 v59, 20, v59
	v_and_b32_e32 v46, 0x80000000, v46
	v_lshl_add_u32 v44, v44, 23, v45
	v_or3_b32 v59, v46, v44, v59
.LBB629_427:                            ;   in Loop: Header=BB629_213 Depth=1
	s_or_b64 exec, exec, s[16:17]
.LBB629_428:                            ;   in Loop: Header=BB629_213 Depth=1
	s_or_b64 exec, exec, s[14:15]
.LBB629_429:                            ;   in Loop: Header=BB629_213 Depth=1
	s_or_b64 exec, exec, s[12:13]
	s_waitcnt vmcnt(2)
	v_cmp_ne_u16_sdwa s[14:15], v42, v43 src0_sel:BYTE_0 src1_sel:DWORD
	s_and_saveexec_b64 s[12:13], s[14:15]
	s_cbranch_execz .LBB629_435
; %bb.430:                              ;   in Loop: Header=BB629_213 Depth=1
	v_cmp_ne_u16_sdwa s[16:17], v42, s9 src0_sel:BYTE_0 src1_sel:DWORD
	v_bfrev_b32_e32 v58, 1
	s_and_saveexec_b64 s[14:15], s[16:17]
	s_cbranch_execz .LBB629_434
; %bb.431:                              ;   in Loop: Header=BB629_213 Depth=1
	v_and_b32_e32 v44, 0x7f, v42
	v_cmp_ne_u32_e32 vcc, s19, v44
	v_mov_b32_e32 v58, 0x7f800001
	s_and_saveexec_b64 s[16:17], vcc
	s_cbranch_execz .LBB629_433
; %bb.432:                              ;   in Loop: Header=BB629_213 Depth=1
	v_and_b32_e32 v46, 7, v42
	v_ffbh_u32_e32 v60, v46
	v_min_u32_e32 v62, 32, v60
	v_subrev_u32_e32 v60, 28, v62
	v_lshlrev_b64 v[60:61], v60, v[42:43]
	v_lshrrev_b32_e32 v58, 3, v44
	v_sub_u32_e32 v61, 29, v62
	v_and_b32_e32 v60, 7, v60
	v_cmp_gt_u32_e32 vcc, 8, v44
	v_cndmask_b32_e32 v44, v58, v61, vcc
	v_cndmask_b32_e32 v46, v46, v60, vcc
	v_lshlrev_b32_e32 v58, 24, v42
	v_lshlrev_b32_e32 v46, 20, v46
	v_and_b32_e32 v58, 0x80000000, v58
	v_lshl_add_u32 v44, v44, 23, v45
	v_or3_b32 v58, v58, v44, v46
.LBB629_433:                            ;   in Loop: Header=BB629_213 Depth=1
	s_or_b64 exec, exec, s[16:17]
.LBB629_434:                            ;   in Loop: Header=BB629_213 Depth=1
	s_or_b64 exec, exec, s[14:15]
.LBB629_435:                            ;   in Loop: Header=BB629_213 Depth=1
	s_or_b64 exec, exec, s[12:13]
	v_lshrrev_b16_e32 v44, 8, v42
	v_cmp_ne_u16_e32 vcc, 0, v44
	v_mov_b32_e32 v60, 0
	v_mov_b32_e32 v61, 0
	s_and_saveexec_b64 s[12:13], vcc
	s_cbranch_execz .LBB629_441
; %bb.436:                              ;   in Loop: Header=BB629_213 Depth=1
	v_cmp_ne_u16_e32 vcc, s9, v44
	v_bfrev_b32_e32 v61, 1
	s_and_saveexec_b64 s[14:15], vcc
	s_cbranch_execz .LBB629_440
; %bb.437:                              ;   in Loop: Header=BB629_213 Depth=1
	v_and_b32_e32 v46, 0x7f, v44
	v_cmp_ne_u32_e32 vcc, s19, v46
	v_mov_b32_e32 v61, 0x7f800001
	s_and_saveexec_b64 s[16:17], vcc
	s_cbranch_execz .LBB629_439
; %bb.438:                              ;   in Loop: Header=BB629_213 Depth=1
	v_and_b32_e32 v61, 7, v44
	v_ffbh_u32_e32 v62, v61
	v_min_u32_e32 v65, 32, v62
	v_subrev_u32_e32 v62, 28, v65
	v_lshlrev_b64 v[62:63], v62, v[44:45]
	v_lshrrev_b32_e32 v64, 3, v46
	v_sub_u32_e32 v44, 29, v65
	v_and_b32_e32 v62, 7, v62
	v_cmp_gt_u32_e32 vcc, 8, v46
	v_cndmask_b32_e32 v44, v64, v44, vcc
	v_cndmask_b32_e32 v46, v61, v62, vcc
	v_lshlrev_b32_e32 v61, 16, v42
	v_lshlrev_b32_e32 v46, 20, v46
	v_and_b32_e32 v61, 0x80000000, v61
	v_lshl_add_u32 v44, v44, 23, v45
	v_or3_b32 v61, v61, v44, v46
.LBB629_439:                            ;   in Loop: Header=BB629_213 Depth=1
	s_or_b64 exec, exec, s[16:17]
.LBB629_440:                            ;   in Loop: Header=BB629_213 Depth=1
	s_or_b64 exec, exec, s[14:15]
.LBB629_441:                            ;   in Loop: Header=BB629_213 Depth=1
	s_or_b64 exec, exec, s[12:13]
	v_lshrrev_b32_e32 v44, 16, v42
	v_cmp_ne_u16_sdwa s[14:15], v44, v43 src0_sel:BYTE_0 src1_sel:DWORD
	s_and_saveexec_b64 s[12:13], s[14:15]
	s_cbranch_execz .LBB629_447
; %bb.442:                              ;   in Loop: Header=BB629_213 Depth=1
	v_cmp_ne_u16_sdwa s[16:17], v44, s9 src0_sel:BYTE_0 src1_sel:DWORD
	v_bfrev_b32_e32 v60, 1
	s_and_saveexec_b64 s[14:15], s[16:17]
	s_cbranch_execz .LBB629_446
; %bb.443:                              ;   in Loop: Header=BB629_213 Depth=1
	v_bfe_u32 v46, v42, 16, 7
	v_cmp_ne_u32_e32 vcc, s19, v46
	v_mov_b32_e32 v60, 0x7f800001
	s_and_saveexec_b64 s[16:17], vcc
	s_cbranch_execz .LBB629_445
; %bb.444:                              ;   in Loop: Header=BB629_213 Depth=1
	v_and_b32_e32 v60, 7, v44
	v_ffbh_u32_e32 v62, v60
	v_min_u32_e32 v65, 32, v62
	v_subrev_u32_e32 v62, 28, v65
	v_lshlrev_b64 v[62:63], v62, v[44:45]
	v_lshrrev_b32_e32 v64, 3, v46
	v_sub_u32_e32 v63, 29, v65
	v_and_b32_e32 v62, 7, v62
	v_cmp_gt_u32_e32 vcc, 8, v46
	v_cndmask_b32_e32 v46, v64, v63, vcc
	v_cndmask_b32_e32 v60, v60, v62, vcc
	v_lshlrev_b32_e32 v44, 24, v44
	v_lshlrev_b32_e32 v60, 20, v60
	v_and_b32_e32 v44, 0x80000000, v44
	v_lshl_add_u32 v46, v46, 23, v45
	v_or3_b32 v60, v44, v46, v60
.LBB629_445:                            ;   in Loop: Header=BB629_213 Depth=1
	s_or_b64 exec, exec, s[16:17]
.LBB629_446:                            ;   in Loop: Header=BB629_213 Depth=1
	s_or_b64 exec, exec, s[14:15]
.LBB629_447:                            ;   in Loop: Header=BB629_213 Depth=1
	s_or_b64 exec, exec, s[12:13]
	v_cmp_lt_u32_e32 vcc, s20, v42
	v_mov_b32_e32 v46, 0
	v_mov_b32_e32 v62, 0
	s_and_saveexec_b64 s[12:13], vcc
	s_cbranch_execz .LBB629_453
; %bb.448:                              ;   in Loop: Header=BB629_213 Depth=1
	v_lshrrev_b32_e32 v44, 24, v42
	v_cmp_ne_u32_e32 vcc, s9, v44
	v_bfrev_b32_e32 v62, 1
	s_and_saveexec_b64 s[14:15], vcc
	s_cbranch_execz .LBB629_452
; %bb.449:                              ;   in Loop: Header=BB629_213 Depth=1
	v_bfe_u32 v42, v42, 24, 7
	v_cmp_ne_u32_e32 vcc, s19, v42
	v_mov_b32_e32 v62, 0x7f800001
	s_and_saveexec_b64 s[16:17], vcc
	s_cbranch_execz .LBB629_451
; %bb.450:                              ;   in Loop: Header=BB629_213 Depth=1
	v_and_b32_e32 v64, 7, v44
	v_ffbh_u32_e32 v62, v64
	v_min_u32_e32 v66, 32, v62
	v_subrev_u32_e32 v62, 28, v66
	v_lshlrev_b64 v[62:63], v62, v[44:45]
	v_lshrrev_b32_e32 v65, 3, v42
	v_sub_u32_e32 v63, 29, v66
	v_and_b32_e32 v62, 7, v62
	v_cmp_gt_u32_e32 vcc, 8, v42
	v_cndmask_b32_e32 v42, v65, v63, vcc
	v_cndmask_b32_e32 v62, v64, v62, vcc
	v_lshlrev_b32_e32 v44, 24, v44
	v_lshlrev_b32_e32 v62, 20, v62
	v_and_b32_e32 v44, 0x80000000, v44
	v_lshl_add_u32 v42, v42, 23, v45
	v_or3_b32 v62, v44, v42, v62
.LBB629_451:                            ;   in Loop: Header=BB629_213 Depth=1
	s_or_b64 exec, exec, s[16:17]
.LBB629_452:                            ;   in Loop: Header=BB629_213 Depth=1
	s_or_b64 exec, exec, s[14:15]
.LBB629_453:                            ;   in Loop: Header=BB629_213 Depth=1
	s_or_b64 exec, exec, s[12:13]
	v_cvt_pkrtz_f16_f32 v64, v47, v49
	v_cvt_pkrtz_f16_f32 v65, v48, v59
	;; [unrolled: 1-line block ×4, first 2 shown]
	s_waitcnt vmcnt(1)
	v_cmp_ne_u16_sdwa s[14:15], v40, v43 src0_sel:BYTE_0 src1_sel:DWORD
	v_mfma_f32_16x16x16f16 v[34:37], v[64:65], v[18:19], v[34:37]
	v_mfma_f32_16x16x16f16 v[34:37], v[48:49], v[20:21], v[34:37]
	s_and_saveexec_b64 s[12:13], s[14:15]
	s_cbranch_execz .LBB629_459
; %bb.454:                              ;   in Loop: Header=BB629_213 Depth=1
	v_cmp_ne_u16_sdwa s[16:17], v40, s9 src0_sel:BYTE_0 src1_sel:DWORD
	v_bfrev_b32_e32 v46, 1
	s_and_saveexec_b64 s[14:15], s[16:17]
	s_cbranch_execz .LBB629_458
; %bb.455:                              ;   in Loop: Header=BB629_213 Depth=1
	v_and_b32_e32 v42, 0x7f, v40
	v_cmp_ne_u32_e32 vcc, s19, v42
	v_mov_b32_e32 v46, 0x7f800001
	s_and_saveexec_b64 s[16:17], vcc
	s_cbranch_execz .LBB629_457
; %bb.456:                              ;   in Loop: Header=BB629_213 Depth=1
	v_and_b32_e32 v44, 7, v40
	v_ffbh_u32_e32 v46, v44
	v_min_u32_e32 v49, 32, v46
	v_subrev_u32_e32 v46, 28, v49
	v_lshlrev_b64 v[46:47], v46, v[40:41]
	v_lshrrev_b32_e32 v48, 3, v42
	v_sub_u32_e32 v47, 29, v49
	v_and_b32_e32 v46, 7, v46
	v_cmp_gt_u32_e32 vcc, 8, v42
	v_cndmask_b32_e32 v42, v48, v47, vcc
	v_cndmask_b32_e32 v44, v44, v46, vcc
	v_lshlrev_b32_e32 v46, 24, v40
	v_lshlrev_b32_e32 v44, 20, v44
	v_and_b32_e32 v46, 0x80000000, v46
	v_lshl_add_u32 v42, v42, 23, v45
	v_or3_b32 v46, v46, v42, v44
.LBB629_457:                            ;   in Loop: Header=BB629_213 Depth=1
	s_or_b64 exec, exec, s[16:17]
.LBB629_458:                            ;   in Loop: Header=BB629_213 Depth=1
	s_or_b64 exec, exec, s[14:15]
.LBB629_459:                            ;   in Loop: Header=BB629_213 Depth=1
	s_or_b64 exec, exec, s[12:13]
	v_lshrrev_b16_e32 v42, 8, v40
	v_cmp_ne_u16_e32 vcc, 0, v42
	v_mov_b32_e32 v44, 0
	v_mov_b32_e32 v48, 0
	s_and_saveexec_b64 s[12:13], vcc
	s_cbranch_execz .LBB629_465
; %bb.460:                              ;   in Loop: Header=BB629_213 Depth=1
	v_cmp_ne_u16_e32 vcc, s9, v42
	v_bfrev_b32_e32 v48, 1
	s_and_saveexec_b64 s[14:15], vcc
	s_cbranch_execz .LBB629_464
; %bb.461:                              ;   in Loop: Header=BB629_213 Depth=1
	v_and_b32_e32 v47, 0x7f, v42
	v_cmp_ne_u32_e32 vcc, s19, v47
	v_mov_b32_e32 v48, 0x7f800001
	s_and_saveexec_b64 s[16:17], vcc
	s_cbranch_execz .LBB629_463
; %bb.462:                              ;   in Loop: Header=BB629_213 Depth=1
	v_and_b32_e32 v58, 7, v42
	v_ffbh_u32_e32 v48, v58
	v_min_u32_e32 v60, 32, v48
	v_subrev_u32_e32 v48, 28, v60
	v_lshlrev_b64 v[48:49], v48, v[42:43]
	v_lshrrev_b32_e32 v59, 3, v47
	v_sub_u32_e32 v42, 29, v60
	v_and_b32_e32 v48, 7, v48
	v_cmp_gt_u32_e32 vcc, 8, v47
	v_cndmask_b32_e32 v42, v59, v42, vcc
	v_cndmask_b32_e32 v47, v58, v48, vcc
	v_lshlrev_b32_e32 v48, 16, v40
	v_lshlrev_b32_e32 v47, 20, v47
	v_and_b32_e32 v48, 0x80000000, v48
	v_lshl_add_u32 v42, v42, 23, v45
	v_or3_b32 v48, v48, v42, v47
.LBB629_463:                            ;   in Loop: Header=BB629_213 Depth=1
	s_or_b64 exec, exec, s[16:17]
.LBB629_464:                            ;   in Loop: Header=BB629_213 Depth=1
	s_or_b64 exec, exec, s[14:15]
.LBB629_465:                            ;   in Loop: Header=BB629_213 Depth=1
	s_or_b64 exec, exec, s[12:13]
	v_lshrrev_b32_e32 v42, 16, v40
	v_cmp_ne_u16_sdwa s[14:15], v42, v43 src0_sel:BYTE_0 src1_sel:DWORD
	s_and_saveexec_b64 s[12:13], s[14:15]
	s_cbranch_execz .LBB629_471
; %bb.466:                              ;   in Loop: Header=BB629_213 Depth=1
	v_cmp_ne_u16_sdwa s[16:17], v42, s9 src0_sel:BYTE_0 src1_sel:DWORD
	v_bfrev_b32_e32 v44, 1
	s_and_saveexec_b64 s[14:15], s[16:17]
	s_cbranch_execz .LBB629_470
; %bb.467:                              ;   in Loop: Header=BB629_213 Depth=1
	v_bfe_u32 v47, v40, 16, 7
	v_cmp_ne_u32_e32 vcc, s19, v47
	v_mov_b32_e32 v44, 0x7f800001
	s_and_saveexec_b64 s[16:17], vcc
	s_cbranch_execz .LBB629_469
; %bb.468:                              ;   in Loop: Header=BB629_213 Depth=1
	v_and_b32_e32 v44, 7, v42
	v_ffbh_u32_e32 v58, v44
	v_min_u32_e32 v60, 32, v58
	v_subrev_u32_e32 v58, 28, v60
	v_lshlrev_b64 v[58:59], v58, v[42:43]
	v_lshrrev_b32_e32 v49, 3, v47
	v_sub_u32_e32 v59, 29, v60
	v_and_b32_e32 v58, 7, v58
	v_cmp_gt_u32_e32 vcc, 8, v47
	v_cndmask_b32_e32 v47, v49, v59, vcc
	v_cndmask_b32_e32 v44, v44, v58, vcc
	v_lshlrev_b32_e32 v42, 24, v42
	v_lshlrev_b32_e32 v44, 20, v44
	v_and_b32_e32 v42, 0x80000000, v42
	v_lshl_add_u32 v47, v47, 23, v45
	v_or3_b32 v44, v42, v47, v44
.LBB629_469:                            ;   in Loop: Header=BB629_213 Depth=1
	s_or_b64 exec, exec, s[16:17]
.LBB629_470:                            ;   in Loop: Header=BB629_213 Depth=1
	s_or_b64 exec, exec, s[14:15]
.LBB629_471:                            ;   in Loop: Header=BB629_213 Depth=1
	s_or_b64 exec, exec, s[12:13]
	v_cmp_lt_u32_e32 vcc, s20, v40
	v_mov_b32_e32 v49, 0
	v_mov_b32_e32 v58, 0
	s_and_saveexec_b64 s[12:13], vcc
	s_cbranch_execz .LBB629_477
; %bb.472:                              ;   in Loop: Header=BB629_213 Depth=1
	v_lshrrev_b32_e32 v42, 24, v40
	v_cmp_ne_u32_e32 vcc, s9, v42
	v_bfrev_b32_e32 v58, 1
	s_and_saveexec_b64 s[14:15], vcc
	s_cbranch_execz .LBB629_476
; %bb.473:                              ;   in Loop: Header=BB629_213 Depth=1
	v_bfe_u32 v40, v40, 24, 7
	v_cmp_ne_u32_e32 vcc, s19, v40
	v_mov_b32_e32 v58, 0x7f800001
	s_and_saveexec_b64 s[16:17], vcc
	s_cbranch_execz .LBB629_475
; %bb.474:                              ;   in Loop: Header=BB629_213 Depth=1
	v_and_b32_e32 v47, 7, v42
	v_ffbh_u32_e32 v58, v47
	v_min_u32_e32 v61, 32, v58
	v_subrev_u32_e32 v58, 28, v61
	v_lshlrev_b64 v[58:59], v58, v[42:43]
	v_lshrrev_b32_e32 v60, 3, v40
	v_sub_u32_e32 v59, 29, v61
	v_and_b32_e32 v58, 7, v58
	v_cmp_gt_u32_e32 vcc, 8, v40
	v_cndmask_b32_e32 v40, v60, v59, vcc
	v_cndmask_b32_e32 v47, v47, v58, vcc
	v_lshlrev_b32_e32 v42, 24, v42
	v_lshlrev_b32_e32 v47, 20, v47
	v_and_b32_e32 v42, 0x80000000, v42
	v_lshl_add_u32 v40, v40, 23, v45
	v_or3_b32 v58, v42, v40, v47
.LBB629_475:                            ;   in Loop: Header=BB629_213 Depth=1
	s_or_b64 exec, exec, s[16:17]
.LBB629_476:                            ;   in Loop: Header=BB629_213 Depth=1
	s_or_b64 exec, exec, s[14:15]
.LBB629_477:                            ;   in Loop: Header=BB629_213 Depth=1
	s_or_b64 exec, exec, s[12:13]
	s_waitcnt vmcnt(0)
	v_cmp_ne_u16_sdwa s[14:15], v38, v43 src0_sel:BYTE_0 src1_sel:DWORD
	s_and_saveexec_b64 s[12:13], s[14:15]
	s_cbranch_execz .LBB629_483
; %bb.478:                              ;   in Loop: Header=BB629_213 Depth=1
	v_cmp_ne_u16_sdwa s[16:17], v38, s9 src0_sel:BYTE_0 src1_sel:DWORD
	v_bfrev_b32_e32 v49, 1
	s_and_saveexec_b64 s[14:15], s[16:17]
	s_cbranch_execz .LBB629_482
; %bb.479:                              ;   in Loop: Header=BB629_213 Depth=1
	v_and_b32_e32 v40, 0x7f, v38
	v_cmp_ne_u32_e32 vcc, s19, v40
	v_mov_b32_e32 v49, 0x7f800001
	s_and_saveexec_b64 s[16:17], vcc
	s_cbranch_execz .LBB629_481
; %bb.480:                              ;   in Loop: Header=BB629_213 Depth=1
	v_and_b32_e32 v42, 7, v38
	v_ffbh_u32_e32 v49, v42
	v_min_u32_e32 v49, 32, v49
	v_subrev_u32_e32 v59, 28, v49
	v_lshlrev_b64 v[60:61], v59, v[38:39]
	v_lshrrev_b32_e32 v47, 3, v40
	v_sub_u32_e32 v49, 29, v49
	v_and_b32_e32 v59, 7, v60
	v_cmp_gt_u32_e32 vcc, 8, v40
	v_cndmask_b32_e32 v40, v47, v49, vcc
	v_cndmask_b32_e32 v42, v42, v59, vcc
	v_lshlrev_b32_e32 v47, 24, v38
	v_lshlrev_b32_e32 v42, 20, v42
	v_and_b32_e32 v47, 0x80000000, v47
	v_lshl_add_u32 v40, v40, 23, v45
	v_or3_b32 v49, v47, v40, v42
.LBB629_481:                            ;   in Loop: Header=BB629_213 Depth=1
	s_or_b64 exec, exec, s[16:17]
.LBB629_482:                            ;   in Loop: Header=BB629_213 Depth=1
	s_or_b64 exec, exec, s[14:15]
.LBB629_483:                            ;   in Loop: Header=BB629_213 Depth=1
	s_or_b64 exec, exec, s[12:13]
	v_lshrrev_b16_e32 v40, 8, v38
	v_cmp_ne_u16_e32 vcc, 0, v40
	v_mov_b32_e32 v59, 0
	v_mov_b32_e32 v60, 0
	s_and_saveexec_b64 s[12:13], vcc
	s_cbranch_execz .LBB629_489
; %bb.484:                              ;   in Loop: Header=BB629_213 Depth=1
	v_cmp_ne_u16_e32 vcc, s9, v40
	v_bfrev_b32_e32 v60, 1
	s_and_saveexec_b64 s[14:15], vcc
	s_cbranch_execz .LBB629_488
; %bb.485:                              ;   in Loop: Header=BB629_213 Depth=1
	v_and_b32_e32 v42, 0x7f, v40
	v_cmp_ne_u32_e32 vcc, s19, v42
	v_mov_b32_e32 v60, 0x7f800001
	s_and_saveexec_b64 s[16:17], vcc
	s_cbranch_execz .LBB629_487
; %bb.486:                              ;   in Loop: Header=BB629_213 Depth=1
	v_and_b32_e32 v47, 7, v40
	v_ffbh_u32_e32 v60, v47
	v_min_u32_e32 v63, 32, v60
	v_subrev_u32_e32 v60, 28, v63
	v_lshlrev_b64 v[60:61], v60, v[40:41]
	v_lshrrev_b32_e32 v62, 3, v42
	v_sub_u32_e32 v40, 29, v63
	v_and_b32_e32 v60, 7, v60
	v_cmp_gt_u32_e32 vcc, 8, v42
	v_cndmask_b32_e32 v40, v62, v40, vcc
	v_cndmask_b32_e32 v42, v47, v60, vcc
	v_lshlrev_b32_e32 v47, 16, v38
	v_lshlrev_b32_e32 v42, 20, v42
	v_and_b32_e32 v47, 0x80000000, v47
	v_lshl_add_u32 v40, v40, 23, v45
	v_or3_b32 v60, v47, v40, v42
.LBB629_487:                            ;   in Loop: Header=BB629_213 Depth=1
	s_or_b64 exec, exec, s[16:17]
.LBB629_488:                            ;   in Loop: Header=BB629_213 Depth=1
	s_or_b64 exec, exec, s[14:15]
.LBB629_489:                            ;   in Loop: Header=BB629_213 Depth=1
	s_or_b64 exec, exec, s[12:13]
	v_lshrrev_b32_e32 v40, 16, v38
	v_cmp_ne_u16_sdwa s[14:15], v40, v43 src0_sel:BYTE_0 src1_sel:DWORD
	s_and_saveexec_b64 s[12:13], s[14:15]
	s_cbranch_execz .LBB629_495
; %bb.490:                              ;   in Loop: Header=BB629_213 Depth=1
	v_cmp_ne_u16_sdwa s[16:17], v40, s9 src0_sel:BYTE_0 src1_sel:DWORD
	v_bfrev_b32_e32 v59, 1
	s_and_saveexec_b64 s[14:15], s[16:17]
	s_cbranch_execz .LBB629_494
; %bb.491:                              ;   in Loop: Header=BB629_213 Depth=1
	v_bfe_u32 v42, v38, 16, 7
	v_cmp_ne_u32_e32 vcc, s19, v42
	v_mov_b32_e32 v59, 0x7f800001
	s_and_saveexec_b64 s[16:17], vcc
	s_cbranch_execz .LBB629_493
; %bb.492:                              ;   in Loop: Header=BB629_213 Depth=1
	v_and_b32_e32 v47, 7, v40
	v_ffbh_u32_e32 v61, v47
	v_min_u32_e32 v61, 32, v61
	v_subrev_u32_e32 v62, 28, v61
	v_lshlrev_b64 v[62:63], v62, v[40:41]
	v_lshrrev_b32_e32 v59, 3, v42
	v_sub_u32_e32 v61, 29, v61
	v_and_b32_e32 v62, 7, v62
	v_cmp_gt_u32_e32 vcc, 8, v42
	v_cndmask_b32_e32 v42, v59, v61, vcc
	v_cndmask_b32_e32 v47, v47, v62, vcc
	v_lshlrev_b32_e32 v40, 24, v40
	v_lshlrev_b32_e32 v47, 20, v47
	v_and_b32_e32 v40, 0x80000000, v40
	v_lshl_add_u32 v42, v42, 23, v45
	v_or3_b32 v59, v40, v42, v47
.LBB629_493:                            ;   in Loop: Header=BB629_213 Depth=1
	s_or_b64 exec, exec, s[16:17]
.LBB629_494:                            ;   in Loop: Header=BB629_213 Depth=1
	s_or_b64 exec, exec, s[14:15]
.LBB629_495:                            ;   in Loop: Header=BB629_213 Depth=1
	s_or_b64 exec, exec, s[12:13]
	v_cmp_lt_u32_e32 vcc, s20, v38
	v_mov_b32_e32 v47, 0
	v_mov_b32_e32 v61, 0
	s_and_saveexec_b64 s[12:13], vcc
	s_cbranch_execz .LBB629_501
; %bb.496:                              ;   in Loop: Header=BB629_213 Depth=1
	v_lshrrev_b32_e32 v40, 24, v38
	v_cmp_ne_u32_e32 vcc, s9, v40
	v_bfrev_b32_e32 v61, 1
	s_and_saveexec_b64 s[14:15], vcc
	s_cbranch_execz .LBB629_500
; %bb.497:                              ;   in Loop: Header=BB629_213 Depth=1
	v_bfe_u32 v38, v38, 24, 7
	v_cmp_ne_u32_e32 vcc, s19, v38
	v_mov_b32_e32 v61, 0x7f800001
	s_and_saveexec_b64 s[16:17], vcc
	s_cbranch_execz .LBB629_499
; %bb.498:                              ;   in Loop: Header=BB629_213 Depth=1
	v_and_b32_e32 v42, 7, v40
	v_ffbh_u32_e32 v62, v42
	v_min_u32_e32 v64, 32, v62
	v_subrev_u32_e32 v62, 28, v64
	v_lshlrev_b64 v[62:63], v62, v[40:41]
	v_lshrrev_b32_e32 v61, 3, v38
	v_sub_u32_e32 v63, 29, v64
	v_and_b32_e32 v62, 7, v62
	v_cmp_gt_u32_e32 vcc, 8, v38
	v_cndmask_b32_e32 v38, v61, v63, vcc
	v_cndmask_b32_e32 v42, v42, v62, vcc
	v_lshlrev_b32_e32 v40, 24, v40
	v_lshlrev_b32_e32 v42, 20, v42
	v_and_b32_e32 v40, 0x80000000, v40
	v_lshl_add_u32 v38, v38, 23, v45
	v_or3_b32 v61, v40, v38, v42
.LBB629_499:                            ;   in Loop: Header=BB629_213 Depth=1
	s_or_b64 exec, exec, s[16:17]
.LBB629_500:                            ;   in Loop: Header=BB629_213 Depth=1
	s_or_b64 exec, exec, s[14:15]
.LBB629_501:                            ;   in Loop: Header=BB629_213 Depth=1
	s_or_b64 exec, exec, s[12:13]
	v_cvt_pkrtz_f16_f32 v63, v44, v58
	buffer_load_dword v44, v57, s[0:3], 0 offen
	buffer_load_dword v42, v57, s[0:3], 0 offen offset:4
	buffer_load_dword v40, v57, s[0:3], 0 offen offset:8
	;; [unrolled: 1-line block ×3, first 2 shown]
	v_cvt_pkrtz_f16_f32 v62, v46, v48
	v_cvt_pkrtz_f16_f32 v48, v49, v60
	;; [unrolled: 1-line block ×3, first 2 shown]
	v_mfma_f32_16x16x16f16 v[34:37], v[62:63], v[22:23], v[34:37]
	s_waitcnt vmcnt(3)
	v_cmp_ne_u16_sdwa s[14:15], v44, v43 src0_sel:BYTE_0 src1_sel:DWORD
	v_mfma_f32_16x16x16f16 v[34:37], v[48:49], v[24:25], v[34:37]
	s_and_saveexec_b64 s[12:13], s[14:15]
	s_cbranch_execz .LBB629_507
; %bb.502:                              ;   in Loop: Header=BB629_213 Depth=1
	v_cmp_ne_u16_sdwa s[16:17], v44, s9 src0_sel:BYTE_0 src1_sel:DWORD
	v_bfrev_b32_e32 v47, 1
	s_and_saveexec_b64 s[14:15], s[16:17]
	s_cbranch_execz .LBB629_506
; %bb.503:                              ;   in Loop: Header=BB629_213 Depth=1
	v_and_b32_e32 v46, 0x7f, v44
	v_cmp_ne_u32_e32 vcc, s19, v46
	v_mov_b32_e32 v47, 0x7f800001
	s_and_saveexec_b64 s[16:17], vcc
	s_cbranch_execz .LBB629_505
; %bb.504:                              ;   in Loop: Header=BB629_213 Depth=1
	v_and_b32_e32 v47, 7, v44
	v_ffbh_u32_e32 v48, v47
	v_min_u32_e32 v58, 32, v48
	v_subrev_u32_e32 v48, 28, v58
	v_lshlrev_b64 v[48:49], v48, v[44:45]
	v_lshrrev_b32_e32 v57, 3, v46
	v_sub_u32_e32 v49, 29, v58
	v_and_b32_e32 v48, 7, v48
	v_cmp_gt_u32_e32 vcc, 8, v46
	v_cndmask_b32_e32 v46, v57, v49, vcc
	v_cndmask_b32_e32 v47, v47, v48, vcc
	v_lshlrev_b32_e32 v48, 24, v44
	v_lshlrev_b32_e32 v47, 20, v47
	v_and_b32_e32 v48, 0x80000000, v48
	v_lshl_add_u32 v46, v46, 23, v45
	v_or3_b32 v47, v48, v46, v47
.LBB629_505:                            ;   in Loop: Header=BB629_213 Depth=1
	s_or_b64 exec, exec, s[16:17]
.LBB629_506:                            ;   in Loop: Header=BB629_213 Depth=1
	s_or_b64 exec, exec, s[14:15]
.LBB629_507:                            ;   in Loop: Header=BB629_213 Depth=1
	s_or_b64 exec, exec, s[12:13]
	v_lshrrev_b16_e32 v46, 8, v44
	v_cmp_ne_u16_e32 vcc, 0, v46
	v_mov_b32_e32 v48, 0
	v_mov_b32_e32 v49, 0
	s_and_saveexec_b64 s[12:13], vcc
	s_cbranch_execz .LBB629_513
; %bb.508:                              ;   in Loop: Header=BB629_213 Depth=1
	v_cmp_ne_u16_e32 vcc, s9, v46
	v_bfrev_b32_e32 v49, 1
	s_and_saveexec_b64 s[14:15], vcc
	s_cbranch_execz .LBB629_512
; %bb.509:                              ;   in Loop: Header=BB629_213 Depth=1
	v_and_b32_e32 v57, 0x7f, v46
	v_cmp_ne_u32_e32 vcc, s19, v57
	v_mov_b32_e32 v49, 0x7f800001
	s_and_saveexec_b64 s[16:17], vcc
	s_cbranch_execz .LBB629_511
; %bb.510:                              ;   in Loop: Header=BB629_213 Depth=1
	v_and_b32_e32 v49, 7, v46
	v_ffbh_u32_e32 v58, v49
	v_min_u32_e32 v61, 32, v58
	v_subrev_u32_e32 v58, 28, v61
	v_lshlrev_b64 v[58:59], v58, v[46:47]
	v_lshrrev_b32_e32 v60, 3, v57
	v_sub_u32_e32 v46, 29, v61
	v_and_b32_e32 v58, 7, v58
	v_cmp_gt_u32_e32 vcc, 8, v57
	v_cndmask_b32_e32 v46, v60, v46, vcc
	v_cndmask_b32_e32 v49, v49, v58, vcc
	v_lshlrev_b32_e32 v57, 16, v44
	v_lshlrev_b32_e32 v49, 20, v49
	v_and_b32_e32 v57, 0x80000000, v57
	v_lshl_add_u32 v46, v46, 23, v45
	v_or3_b32 v49, v57, v46, v49
.LBB629_511:                            ;   in Loop: Header=BB629_213 Depth=1
	s_or_b64 exec, exec, s[16:17]
.LBB629_512:                            ;   in Loop: Header=BB629_213 Depth=1
	s_or_b64 exec, exec, s[14:15]
.LBB629_513:                            ;   in Loop: Header=BB629_213 Depth=1
	s_or_b64 exec, exec, s[12:13]
	v_lshrrev_b32_e32 v46, 16, v44
	v_cmp_ne_u16_sdwa s[14:15], v46, v43 src0_sel:BYTE_0 src1_sel:DWORD
	s_and_saveexec_b64 s[12:13], s[14:15]
	s_cbranch_execz .LBB629_519
; %bb.514:                              ;   in Loop: Header=BB629_213 Depth=1
	v_cmp_ne_u16_sdwa s[16:17], v46, s9 src0_sel:BYTE_0 src1_sel:DWORD
	v_bfrev_b32_e32 v48, 1
	s_and_saveexec_b64 s[14:15], s[16:17]
	s_cbranch_execz .LBB629_518
; %bb.515:                              ;   in Loop: Header=BB629_213 Depth=1
	v_bfe_u32 v57, v44, 16, 7
	v_cmp_ne_u32_e32 vcc, s19, v57
	v_mov_b32_e32 v48, 0x7f800001
	s_and_saveexec_b64 s[16:17], vcc
	s_cbranch_execz .LBB629_517
; %bb.516:                              ;   in Loop: Header=BB629_213 Depth=1
	v_and_b32_e32 v48, 7, v46
	v_ffbh_u32_e32 v58, v48
	v_min_u32_e32 v61, 32, v58
	v_subrev_u32_e32 v58, 28, v61
	v_lshlrev_b64 v[58:59], v58, v[46:47]
	v_lshrrev_b32_e32 v60, 3, v57
	v_sub_u32_e32 v59, 29, v61
	v_and_b32_e32 v58, 7, v58
	v_cmp_gt_u32_e32 vcc, 8, v57
	v_cndmask_b32_e32 v57, v60, v59, vcc
	v_cndmask_b32_e32 v48, v48, v58, vcc
	v_lshlrev_b32_e32 v46, 24, v46
	v_lshlrev_b32_e32 v48, 20, v48
	v_and_b32_e32 v46, 0x80000000, v46
	v_lshl_add_u32 v57, v57, 23, v45
	v_or3_b32 v48, v46, v57, v48
.LBB629_517:                            ;   in Loop: Header=BB629_213 Depth=1
	s_or_b64 exec, exec, s[16:17]
.LBB629_518:                            ;   in Loop: Header=BB629_213 Depth=1
	s_or_b64 exec, exec, s[14:15]
.LBB629_519:                            ;   in Loop: Header=BB629_213 Depth=1
	s_or_b64 exec, exec, s[12:13]
	v_cmp_lt_u32_e32 vcc, s20, v44
	v_mov_b32_e32 v57, 0
	v_mov_b32_e32 v58, 0
	s_and_saveexec_b64 s[12:13], vcc
	s_cbranch_execz .LBB629_525
; %bb.520:                              ;   in Loop: Header=BB629_213 Depth=1
	v_lshrrev_b32_e32 v46, 24, v44
	v_cmp_ne_u32_e32 vcc, s9, v46
	v_bfrev_b32_e32 v58, 1
	s_and_saveexec_b64 s[14:15], vcc
	s_cbranch_execz .LBB629_524
; %bb.521:                              ;   in Loop: Header=BB629_213 Depth=1
	v_bfe_u32 v44, v44, 24, 7
	v_cmp_ne_u32_e32 vcc, s19, v44
	v_mov_b32_e32 v58, 0x7f800001
	s_and_saveexec_b64 s[16:17], vcc
	s_cbranch_execz .LBB629_523
; %bb.522:                              ;   in Loop: Header=BB629_213 Depth=1
	v_and_b32_e32 v60, 7, v46
	v_ffbh_u32_e32 v58, v60
	v_min_u32_e32 v62, 32, v58
	v_subrev_u32_e32 v58, 28, v62
	v_lshlrev_b64 v[58:59], v58, v[46:47]
	v_lshrrev_b32_e32 v61, 3, v44
	v_sub_u32_e32 v59, 29, v62
	v_and_b32_e32 v58, 7, v58
	v_cmp_gt_u32_e32 vcc, 8, v44
	v_cndmask_b32_e32 v44, v61, v59, vcc
	v_cndmask_b32_e32 v58, v60, v58, vcc
	v_lshlrev_b32_e32 v46, 24, v46
	v_lshlrev_b32_e32 v58, 20, v58
	v_and_b32_e32 v46, 0x80000000, v46
	v_lshl_add_u32 v44, v44, 23, v45
	v_or3_b32 v58, v46, v44, v58
.LBB629_523:                            ;   in Loop: Header=BB629_213 Depth=1
	s_or_b64 exec, exec, s[16:17]
.LBB629_524:                            ;   in Loop: Header=BB629_213 Depth=1
	s_or_b64 exec, exec, s[14:15]
.LBB629_525:                            ;   in Loop: Header=BB629_213 Depth=1
	s_or_b64 exec, exec, s[12:13]
	s_waitcnt vmcnt(2)
	v_cmp_ne_u16_sdwa s[14:15], v42, v43 src0_sel:BYTE_0 src1_sel:DWORD
	s_and_saveexec_b64 s[12:13], s[14:15]
	s_cbranch_execz .LBB629_531
; %bb.526:                              ;   in Loop: Header=BB629_213 Depth=1
	v_cmp_ne_u16_sdwa s[16:17], v42, s9 src0_sel:BYTE_0 src1_sel:DWORD
	v_bfrev_b32_e32 v57, 1
	s_and_saveexec_b64 s[14:15], s[16:17]
	s_cbranch_execz .LBB629_530
; %bb.527:                              ;   in Loop: Header=BB629_213 Depth=1
	v_and_b32_e32 v44, 0x7f, v42
	v_cmp_ne_u32_e32 vcc, s19, v44
	v_mov_b32_e32 v57, 0x7f800001
	s_and_saveexec_b64 s[16:17], vcc
	s_cbranch_execz .LBB629_529
; %bb.528:                              ;   in Loop: Header=BB629_213 Depth=1
	v_and_b32_e32 v46, 7, v42
	v_ffbh_u32_e32 v59, v46
	v_min_u32_e32 v59, 32, v59
	v_subrev_u32_e32 v60, 28, v59
	v_lshlrev_b64 v[60:61], v60, v[42:43]
	v_lshrrev_b32_e32 v57, 3, v44
	v_sub_u32_e32 v59, 29, v59
	v_and_b32_e32 v60, 7, v60
	v_cmp_gt_u32_e32 vcc, 8, v44
	v_cndmask_b32_e32 v44, v57, v59, vcc
	v_cndmask_b32_e32 v46, v46, v60, vcc
	v_lshlrev_b32_e32 v57, 24, v42
	v_lshlrev_b32_e32 v46, 20, v46
	v_and_b32_e32 v57, 0x80000000, v57
	v_lshl_add_u32 v44, v44, 23, v45
	v_or3_b32 v57, v57, v44, v46
.LBB629_529:                            ;   in Loop: Header=BB629_213 Depth=1
	s_or_b64 exec, exec, s[16:17]
.LBB629_530:                            ;   in Loop: Header=BB629_213 Depth=1
	s_or_b64 exec, exec, s[14:15]
.LBB629_531:                            ;   in Loop: Header=BB629_213 Depth=1
	s_or_b64 exec, exec, s[12:13]
	v_lshrrev_b16_e32 v44, 8, v42
	v_cmp_ne_u16_e32 vcc, 0, v44
	v_mov_b32_e32 v59, 0
	v_mov_b32_e32 v60, 0
	s_and_saveexec_b64 s[12:13], vcc
	s_cbranch_execz .LBB629_537
; %bb.532:                              ;   in Loop: Header=BB629_213 Depth=1
	v_cmp_ne_u16_e32 vcc, s9, v44
	v_bfrev_b32_e32 v60, 1
	s_and_saveexec_b64 s[14:15], vcc
	s_cbranch_execz .LBB629_536
; %bb.533:                              ;   in Loop: Header=BB629_213 Depth=1
	v_and_b32_e32 v46, 0x7f, v44
	v_cmp_ne_u32_e32 vcc, s19, v46
	v_mov_b32_e32 v60, 0x7f800001
	s_and_saveexec_b64 s[16:17], vcc
	s_cbranch_execz .LBB629_535
; %bb.534:                              ;   in Loop: Header=BB629_213 Depth=1
	v_and_b32_e32 v62, 7, v44
	v_ffbh_u32_e32 v60, v62
	v_min_u32_e32 v64, 32, v60
	v_subrev_u32_e32 v60, 28, v64
	v_lshlrev_b64 v[60:61], v60, v[44:45]
	v_lshrrev_b32_e32 v63, 3, v46
	v_sub_u32_e32 v44, 29, v64
	v_and_b32_e32 v60, 7, v60
	v_cmp_gt_u32_e32 vcc, 8, v46
	v_cndmask_b32_e32 v44, v63, v44, vcc
	v_cndmask_b32_e32 v46, v62, v60, vcc
	v_lshlrev_b32_e32 v60, 16, v42
	v_lshlrev_b32_e32 v46, 20, v46
	v_and_b32_e32 v60, 0x80000000, v60
	v_lshl_add_u32 v44, v44, 23, v45
	v_or3_b32 v60, v60, v44, v46
.LBB629_535:                            ;   in Loop: Header=BB629_213 Depth=1
	s_or_b64 exec, exec, s[16:17]
.LBB629_536:                            ;   in Loop: Header=BB629_213 Depth=1
	s_or_b64 exec, exec, s[14:15]
.LBB629_537:                            ;   in Loop: Header=BB629_213 Depth=1
	s_or_b64 exec, exec, s[12:13]
	v_lshrrev_b32_e32 v44, 16, v42
	v_cmp_ne_u16_sdwa s[14:15], v44, v43 src0_sel:BYTE_0 src1_sel:DWORD
	s_and_saveexec_b64 s[12:13], s[14:15]
	s_cbranch_execz .LBB629_543
; %bb.538:                              ;   in Loop: Header=BB629_213 Depth=1
	v_cmp_ne_u16_sdwa s[16:17], v44, s9 src0_sel:BYTE_0 src1_sel:DWORD
	v_bfrev_b32_e32 v59, 1
	s_and_saveexec_b64 s[14:15], s[16:17]
	s_cbranch_execz .LBB629_542
; %bb.539:                              ;   in Loop: Header=BB629_213 Depth=1
	v_bfe_u32 v46, v42, 16, 7
	v_cmp_ne_u32_e32 vcc, s19, v46
	v_mov_b32_e32 v59, 0x7f800001
	s_and_saveexec_b64 s[16:17], vcc
	s_cbranch_execz .LBB629_541
; %bb.540:                              ;   in Loop: Header=BB629_213 Depth=1
	v_and_b32_e32 v59, 7, v44
	v_ffbh_u32_e32 v62, v59
	v_min_u32_e32 v64, 32, v62
	v_subrev_u32_e32 v62, 28, v64
	v_lshlrev_b64 v[62:63], v62, v[44:45]
	v_lshrrev_b32_e32 v61, 3, v46
	v_sub_u32_e32 v63, 29, v64
	v_and_b32_e32 v62, 7, v62
	v_cmp_gt_u32_e32 vcc, 8, v46
	v_cndmask_b32_e32 v46, v61, v63, vcc
	v_cndmask_b32_e32 v59, v59, v62, vcc
	v_lshlrev_b32_e32 v44, 24, v44
	v_lshlrev_b32_e32 v59, 20, v59
	v_and_b32_e32 v44, 0x80000000, v44
	v_lshl_add_u32 v46, v46, 23, v45
	v_or3_b32 v59, v44, v46, v59
.LBB629_541:                            ;   in Loop: Header=BB629_213 Depth=1
	s_or_b64 exec, exec, s[16:17]
.LBB629_542:                            ;   in Loop: Header=BB629_213 Depth=1
	s_or_b64 exec, exec, s[14:15]
.LBB629_543:                            ;   in Loop: Header=BB629_213 Depth=1
	s_or_b64 exec, exec, s[12:13]
	v_cmp_lt_u32_e32 vcc, s20, v42
	v_mov_b32_e32 v46, 0
	v_mov_b32_e32 v61, 0
	s_and_saveexec_b64 s[12:13], vcc
	s_cbranch_execz .LBB629_549
; %bb.544:                              ;   in Loop: Header=BB629_213 Depth=1
	v_lshrrev_b32_e32 v44, 24, v42
	v_cmp_ne_u32_e32 vcc, s9, v44
	v_bfrev_b32_e32 v61, 1
	s_and_saveexec_b64 s[14:15], vcc
	s_cbranch_execz .LBB629_548
; %bb.545:                              ;   in Loop: Header=BB629_213 Depth=1
	v_bfe_u32 v42, v42, 24, 7
	v_cmp_ne_u32_e32 vcc, s19, v42
	v_mov_b32_e32 v61, 0x7f800001
	s_and_saveexec_b64 s[16:17], vcc
	s_cbranch_execz .LBB629_547
; %bb.546:                              ;   in Loop: Header=BB629_213 Depth=1
	v_and_b32_e32 v61, 7, v44
	v_ffbh_u32_e32 v62, v61
	v_min_u32_e32 v65, 32, v62
	v_subrev_u32_e32 v62, 28, v65
	v_lshlrev_b64 v[62:63], v62, v[44:45]
	v_lshrrev_b32_e32 v64, 3, v42
	v_sub_u32_e32 v63, 29, v65
	v_and_b32_e32 v62, 7, v62
	v_cmp_gt_u32_e32 vcc, 8, v42
	v_cndmask_b32_e32 v42, v64, v63, vcc
	v_cndmask_b32_e32 v61, v61, v62, vcc
	v_lshlrev_b32_e32 v44, 24, v44
	v_lshlrev_b32_e32 v61, 20, v61
	v_and_b32_e32 v44, 0x80000000, v44
	v_lshl_add_u32 v42, v42, 23, v45
	v_or3_b32 v61, v44, v42, v61
.LBB629_547:                            ;   in Loop: Header=BB629_213 Depth=1
	s_or_b64 exec, exec, s[16:17]
.LBB629_548:                            ;   in Loop: Header=BB629_213 Depth=1
	s_or_b64 exec, exec, s[14:15]
.LBB629_549:                            ;   in Loop: Header=BB629_213 Depth=1
	s_or_b64 exec, exec, s[12:13]
	v_cvt_pkrtz_f16_f32 v62, v47, v49
	v_cvt_pkrtz_f16_f32 v63, v48, v58
	;; [unrolled: 1-line block ×4, first 2 shown]
	s_waitcnt vmcnt(1)
	v_cmp_ne_u16_sdwa s[14:15], v40, v43 src0_sel:BYTE_0 src1_sel:DWORD
	v_mfma_f32_16x16x16f16 v[34:37], v[62:63], v[26:27], v[34:37]
	v_mfma_f32_16x16x16f16 v[34:37], v[48:49], v[28:29], v[34:37]
	s_and_saveexec_b64 s[12:13], s[14:15]
	s_cbranch_execz .LBB629_555
; %bb.550:                              ;   in Loop: Header=BB629_213 Depth=1
	v_cmp_ne_u16_sdwa s[16:17], v40, s9 src0_sel:BYTE_0 src1_sel:DWORD
	v_bfrev_b32_e32 v46, 1
	s_and_saveexec_b64 s[14:15], s[16:17]
	s_cbranch_execz .LBB629_554
; %bb.551:                              ;   in Loop: Header=BB629_213 Depth=1
	v_and_b32_e32 v42, 0x7f, v40
	v_cmp_ne_u32_e32 vcc, s19, v42
	v_mov_b32_e32 v46, 0x7f800001
	s_and_saveexec_b64 s[16:17], vcc
	s_cbranch_execz .LBB629_553
; %bb.552:                              ;   in Loop: Header=BB629_213 Depth=1
	v_and_b32_e32 v44, 7, v40
	v_ffbh_u32_e32 v46, v44
	v_min_u32_e32 v49, 32, v46
	v_subrev_u32_e32 v46, 28, v49
	v_lshlrev_b64 v[46:47], v46, v[40:41]
	v_lshrrev_b32_e32 v48, 3, v42
	v_sub_u32_e32 v47, 29, v49
	v_and_b32_e32 v46, 7, v46
	v_cmp_gt_u32_e32 vcc, 8, v42
	v_cndmask_b32_e32 v42, v48, v47, vcc
	v_cndmask_b32_e32 v44, v44, v46, vcc
	v_lshlrev_b32_e32 v46, 24, v40
	v_lshlrev_b32_e32 v44, 20, v44
	v_and_b32_e32 v46, 0x80000000, v46
	v_lshl_add_u32 v42, v42, 23, v45
	v_or3_b32 v46, v46, v42, v44
.LBB629_553:                            ;   in Loop: Header=BB629_213 Depth=1
	s_or_b64 exec, exec, s[16:17]
.LBB629_554:                            ;   in Loop: Header=BB629_213 Depth=1
	s_or_b64 exec, exec, s[14:15]
.LBB629_555:                            ;   in Loop: Header=BB629_213 Depth=1
	s_or_b64 exec, exec, s[12:13]
	v_lshrrev_b16_e32 v42, 8, v40
	v_cmp_ne_u16_e32 vcc, 0, v42
	v_mov_b32_e32 v44, 0
	v_mov_b32_e32 v47, 0
	s_and_saveexec_b64 s[12:13], vcc
	s_cbranch_execz .LBB629_561
; %bb.556:                              ;   in Loop: Header=BB629_213 Depth=1
	v_cmp_ne_u16_e32 vcc, s9, v42
	v_bfrev_b32_e32 v47, 1
	s_and_saveexec_b64 s[14:15], vcc
	s_cbranch_execz .LBB629_560
; %bb.557:                              ;   in Loop: Header=BB629_213 Depth=1
	v_and_b32_e32 v48, 0x7f, v42
	v_cmp_ne_u32_e32 vcc, s19, v48
	v_mov_b32_e32 v47, 0x7f800001
	s_and_saveexec_b64 s[16:17], vcc
	s_cbranch_execz .LBB629_559
; %bb.558:                              ;   in Loop: Header=BB629_213 Depth=1
	v_and_b32_e32 v47, 7, v42
	v_ffbh_u32_e32 v57, v47
	v_min_u32_e32 v57, 32, v57
	v_subrev_u32_e32 v58, 28, v57
	v_lshlrev_b64 v[58:59], v58, v[42:43]
	v_lshrrev_b32_e32 v49, 3, v48
	v_sub_u32_e32 v42, 29, v57
	v_and_b32_e32 v57, 7, v58
	v_cmp_gt_u32_e32 vcc, 8, v48
	v_cndmask_b32_e32 v42, v49, v42, vcc
	v_cndmask_b32_e32 v47, v47, v57, vcc
	v_lshlrev_b32_e32 v48, 16, v40
	v_lshlrev_b32_e32 v47, 20, v47
	v_and_b32_e32 v48, 0x80000000, v48
	v_lshl_add_u32 v42, v42, 23, v45
	v_or3_b32 v47, v48, v42, v47
.LBB629_559:                            ;   in Loop: Header=BB629_213 Depth=1
	s_or_b64 exec, exec, s[16:17]
.LBB629_560:                            ;   in Loop: Header=BB629_213 Depth=1
	s_or_b64 exec, exec, s[14:15]
.LBB629_561:                            ;   in Loop: Header=BB629_213 Depth=1
	s_or_b64 exec, exec, s[12:13]
	v_lshrrev_b32_e32 v42, 16, v40
	v_cmp_ne_u16_sdwa s[14:15], v42, v43 src0_sel:BYTE_0 src1_sel:DWORD
	s_and_saveexec_b64 s[12:13], s[14:15]
	s_cbranch_execz .LBB629_567
; %bb.562:                              ;   in Loop: Header=BB629_213 Depth=1
	v_cmp_ne_u16_sdwa s[16:17], v42, s9 src0_sel:BYTE_0 src1_sel:DWORD
	v_bfrev_b32_e32 v44, 1
	s_and_saveexec_b64 s[14:15], s[16:17]
	s_cbranch_execz .LBB629_566
; %bb.563:                              ;   in Loop: Header=BB629_213 Depth=1
	v_bfe_u32 v48, v40, 16, 7
	v_cmp_ne_u32_e32 vcc, s19, v48
	v_mov_b32_e32 v44, 0x7f800001
	s_and_saveexec_b64 s[16:17], vcc
	s_cbranch_execz .LBB629_565
; %bb.564:                              ;   in Loop: Header=BB629_213 Depth=1
	v_and_b32_e32 v44, 7, v42
	v_ffbh_u32_e32 v57, v44
	v_min_u32_e32 v57, 32, v57
	v_subrev_u32_e32 v58, 28, v57
	v_lshlrev_b64 v[58:59], v58, v[42:43]
	v_lshrrev_b32_e32 v49, 3, v48
	v_sub_u32_e32 v57, 29, v57
	v_and_b32_e32 v58, 7, v58
	v_cmp_gt_u32_e32 vcc, 8, v48
	v_cndmask_b32_e32 v48, v49, v57, vcc
	v_cndmask_b32_e32 v44, v44, v58, vcc
	v_lshlrev_b32_e32 v42, 24, v42
	v_lshlrev_b32_e32 v44, 20, v44
	v_and_b32_e32 v42, 0x80000000, v42
	v_lshl_add_u32 v48, v48, 23, v45
	v_or3_b32 v44, v42, v48, v44
.LBB629_565:                            ;   in Loop: Header=BB629_213 Depth=1
	s_or_b64 exec, exec, s[16:17]
.LBB629_566:                            ;   in Loop: Header=BB629_213 Depth=1
	s_or_b64 exec, exec, s[14:15]
.LBB629_567:                            ;   in Loop: Header=BB629_213 Depth=1
	s_or_b64 exec, exec, s[12:13]
	v_cmp_lt_u32_e32 vcc, s20, v40
	v_mov_b32_e32 v48, 0
	v_mov_b32_e32 v49, 0
	s_and_saveexec_b64 s[12:13], vcc
	s_cbranch_execz .LBB629_573
; %bb.568:                              ;   in Loop: Header=BB629_213 Depth=1
	v_lshrrev_b32_e32 v42, 24, v40
	v_cmp_ne_u32_e32 vcc, s9, v42
	v_bfrev_b32_e32 v49, 1
	s_and_saveexec_b64 s[14:15], vcc
	s_cbranch_execz .LBB629_572
; %bb.569:                              ;   in Loop: Header=BB629_213 Depth=1
	v_bfe_u32 v40, v40, 24, 7
	v_cmp_ne_u32_e32 vcc, s19, v40
	v_mov_b32_e32 v49, 0x7f800001
	s_and_saveexec_b64 s[16:17], vcc
	s_cbranch_execz .LBB629_571
; %bb.570:                              ;   in Loop: Header=BB629_213 Depth=1
	v_and_b32_e32 v49, 7, v42
	v_ffbh_u32_e32 v58, v49
	v_min_u32_e32 v60, 32, v58
	v_subrev_u32_e32 v58, 28, v60
	v_lshlrev_b64 v[58:59], v58, v[42:43]
	v_lshrrev_b32_e32 v57, 3, v40
	v_sub_u32_e32 v59, 29, v60
	v_and_b32_e32 v58, 7, v58
	v_cmp_gt_u32_e32 vcc, 8, v40
	v_cndmask_b32_e32 v40, v57, v59, vcc
	v_cndmask_b32_e32 v49, v49, v58, vcc
	v_lshlrev_b32_e32 v42, 24, v42
	v_lshlrev_b32_e32 v49, 20, v49
	v_and_b32_e32 v42, 0x80000000, v42
	v_lshl_add_u32 v40, v40, 23, v45
	v_or3_b32 v49, v42, v40, v49
.LBB629_571:                            ;   in Loop: Header=BB629_213 Depth=1
	s_or_b64 exec, exec, s[16:17]
.LBB629_572:                            ;   in Loop: Header=BB629_213 Depth=1
	s_or_b64 exec, exec, s[14:15]
.LBB629_573:                            ;   in Loop: Header=BB629_213 Depth=1
	s_or_b64 exec, exec, s[12:13]
	s_waitcnt vmcnt(0)
	v_cmp_ne_u16_sdwa s[14:15], v38, v43 src0_sel:BYTE_0 src1_sel:DWORD
	s_and_saveexec_b64 s[12:13], s[14:15]
	s_cbranch_execz .LBB629_579
; %bb.574:                              ;   in Loop: Header=BB629_213 Depth=1
	v_cmp_ne_u16_sdwa s[16:17], v38, s9 src0_sel:BYTE_0 src1_sel:DWORD
	v_bfrev_b32_e32 v48, 1
	s_and_saveexec_b64 s[14:15], s[16:17]
	s_cbranch_execz .LBB629_578
; %bb.575:                              ;   in Loop: Header=BB629_213 Depth=1
	v_and_b32_e32 v40, 0x7f, v38
	v_cmp_ne_u32_e32 vcc, s19, v40
	v_mov_b32_e32 v48, 0x7f800001
	s_and_saveexec_b64 s[16:17], vcc
	s_cbranch_execz .LBB629_577
; %bb.576:                              ;   in Loop: Header=BB629_213 Depth=1
	v_and_b32_e32 v42, 7, v38
	v_ffbh_u32_e32 v57, v42
	v_min_u32_e32 v57, 32, v57
	v_subrev_u32_e32 v58, 28, v57
	v_lshlrev_b64 v[58:59], v58, v[38:39]
	v_lshrrev_b32_e32 v48, 3, v40
	v_sub_u32_e32 v57, 29, v57
	v_and_b32_e32 v58, 7, v58
	v_cmp_gt_u32_e32 vcc, 8, v40
	v_cndmask_b32_e32 v40, v48, v57, vcc
	v_cndmask_b32_e32 v42, v42, v58, vcc
	v_lshlrev_b32_e32 v48, 24, v38
	v_lshlrev_b32_e32 v42, 20, v42
	v_and_b32_e32 v48, 0x80000000, v48
	v_lshl_add_u32 v40, v40, 23, v45
	v_or3_b32 v48, v48, v40, v42
.LBB629_577:                            ;   in Loop: Header=BB629_213 Depth=1
	s_or_b64 exec, exec, s[16:17]
.LBB629_578:                            ;   in Loop: Header=BB629_213 Depth=1
	s_or_b64 exec, exec, s[14:15]
.LBB629_579:                            ;   in Loop: Header=BB629_213 Depth=1
	s_or_b64 exec, exec, s[12:13]
	v_lshrrev_b16_e32 v40, 8, v38
	v_cmp_ne_u16_e32 vcc, 0, v40
	v_mov_b32_e32 v42, 0
	v_mov_b32_e32 v57, 0
	s_and_saveexec_b64 s[12:13], vcc
	s_cbranch_execz .LBB629_585
; %bb.580:                              ;   in Loop: Header=BB629_213 Depth=1
	v_cmp_ne_u16_e32 vcc, s9, v40
	v_bfrev_b32_e32 v57, 1
	s_and_saveexec_b64 s[14:15], vcc
	s_cbranch_execz .LBB629_584
; %bb.581:                              ;   in Loop: Header=BB629_213 Depth=1
	v_and_b32_e32 v58, 0x7f, v40
	v_cmp_ne_u32_e32 vcc, s19, v58
	v_mov_b32_e32 v57, 0x7f800001
	s_and_saveexec_b64 s[16:17], vcc
	s_cbranch_execz .LBB629_583
; %bb.582:                              ;   in Loop: Header=BB629_213 Depth=1
	v_and_b32_e32 v57, 7, v40
	v_ffbh_u32_e32 v60, v57
	v_min_u32_e32 v62, 32, v60
	v_subrev_u32_e32 v60, 28, v62
	v_lshlrev_b64 v[60:61], v60, v[40:41]
	v_lshrrev_b32_e32 v59, 3, v58
	v_sub_u32_e32 v40, 29, v62
	v_and_b32_e32 v60, 7, v60
	v_cmp_gt_u32_e32 vcc, 8, v58
	v_cndmask_b32_e32 v40, v59, v40, vcc
	v_cndmask_b32_e32 v57, v57, v60, vcc
	v_lshlrev_b32_e32 v58, 16, v38
	v_lshlrev_b32_e32 v57, 20, v57
	v_and_b32_e32 v58, 0x80000000, v58
	v_lshl_add_u32 v40, v40, 23, v45
	v_or3_b32 v57, v58, v40, v57
.LBB629_583:                            ;   in Loop: Header=BB629_213 Depth=1
	s_or_b64 exec, exec, s[16:17]
.LBB629_584:                            ;   in Loop: Header=BB629_213 Depth=1
	s_or_b64 exec, exec, s[14:15]
.LBB629_585:                            ;   in Loop: Header=BB629_213 Depth=1
	s_or_b64 exec, exec, s[12:13]
	v_lshrrev_b32_e32 v40, 16, v38
	v_cmp_ne_u16_sdwa s[14:15], v40, v43 src0_sel:BYTE_0 src1_sel:DWORD
	s_and_saveexec_b64 s[12:13], s[14:15]
	s_cbranch_execz .LBB629_591
; %bb.586:                              ;   in Loop: Header=BB629_213 Depth=1
	v_cmp_ne_u16_sdwa s[16:17], v40, s9 src0_sel:BYTE_0 src1_sel:DWORD
	v_bfrev_b32_e32 v42, 1
	s_and_saveexec_b64 s[14:15], s[16:17]
	s_cbranch_execz .LBB629_590
; %bb.587:                              ;   in Loop: Header=BB629_213 Depth=1
	v_bfe_u32 v58, v38, 16, 7
	v_cmp_ne_u32_e32 vcc, s19, v58
	v_mov_b32_e32 v42, 0x7f800001
	s_and_saveexec_b64 s[16:17], vcc
	s_cbranch_execz .LBB629_589
; %bb.588:                              ;   in Loop: Header=BB629_213 Depth=1
	v_and_b32_e32 v42, 7, v40
	v_ffbh_u32_e32 v60, v42
	v_min_u32_e32 v62, 32, v60
	v_subrev_u32_e32 v60, 28, v62
	v_lshlrev_b64 v[60:61], v60, v[40:41]
	v_lshrrev_b32_e32 v59, 3, v58
	v_sub_u32_e32 v61, 29, v62
	v_and_b32_e32 v60, 7, v60
	v_cmp_gt_u32_e32 vcc, 8, v58
	v_cndmask_b32_e32 v58, v59, v61, vcc
	v_cndmask_b32_e32 v42, v42, v60, vcc
	v_lshlrev_b32_e32 v40, 24, v40
	v_lshlrev_b32_e32 v42, 20, v42
	v_and_b32_e32 v40, 0x80000000, v40
	v_lshl_add_u32 v58, v58, 23, v45
	v_or3_b32 v42, v40, v58, v42
.LBB629_589:                            ;   in Loop: Header=BB629_213 Depth=1
	s_or_b64 exec, exec, s[16:17]
.LBB629_590:                            ;   in Loop: Header=BB629_213 Depth=1
	s_or_b64 exec, exec, s[14:15]
.LBB629_591:                            ;   in Loop: Header=BB629_213 Depth=1
	s_or_b64 exec, exec, s[12:13]
	v_cmp_lt_u32_e32 vcc, s20, v38
	v_mov_b32_e32 v58, 0
	s_and_saveexec_b64 s[12:13], vcc
	s_cbranch_execz .LBB629_212
; %bb.592:                              ;   in Loop: Header=BB629_213 Depth=1
	v_lshrrev_b32_e32 v40, 24, v38
	v_cmp_ne_u32_e32 vcc, s9, v40
	v_bfrev_b32_e32 v58, 1
	s_and_saveexec_b64 s[14:15], vcc
	s_cbranch_execz .LBB629_211
; %bb.593:                              ;   in Loop: Header=BB629_213 Depth=1
	v_bfe_u32 v38, v38, 24, 7
	v_cmp_ne_u32_e32 vcc, s19, v38
	v_mov_b32_e32 v58, 0x7f800001
	s_and_saveexec_b64 s[16:17], vcc
	s_cbranch_execz .LBB629_210
; %bb.594:                              ;   in Loop: Header=BB629_213 Depth=1
	v_and_b32_e32 v60, 7, v40
	v_ffbh_u32_e32 v58, v60
	v_min_u32_e32 v62, 32, v58
	v_subrev_u32_e32 v58, 28, v62
	v_lshlrev_b64 v[58:59], v58, v[40:41]
	v_lshrrev_b32_e32 v61, 3, v38
	v_sub_u32_e32 v59, 29, v62
	v_and_b32_e32 v58, 7, v58
	v_cmp_gt_u32_e32 vcc, 8, v38
	v_cndmask_b32_e32 v38, v61, v59, vcc
	v_cndmask_b32_e32 v58, v60, v58, vcc
	v_lshlrev_b32_e32 v40, 24, v40
	v_lshlrev_b32_e32 v58, 20, v58
	v_and_b32_e32 v40, 0x80000000, v40
	v_lshl_add_u32 v38, v38, 23, v45
	v_or3_b32 v58, v40, v38, v58
	s_branch .LBB629_210
.LBB629_595:
	s_barrier
	buffer_load_dword v2, off, s[0:3], 0 offset:320
	buffer_load_dword v5, off, s[0:3], 0 offset:332
	;; [unrolled: 1-line block ×4, first 2 shown]
	v_cmp_gt_u32_e32 vcc, 64, v0
	s_waitcnt vmcnt(0)
	ds_write2st64_b64 v39, v[2:3], v[4:5] offset1:1
	s_waitcnt lgkmcnt(0)
	s_barrier
	s_and_saveexec_b64 s[4:5], vcc
	s_cbranch_execz .LBB629_597
; %bb.596:
	s_lshl_b32 s6, s50, 7
	s_mul_i32 s4, s18, s8
	s_mul_hi_u32 s5, s4, s6
	s_mul_i32 s4, s4, s6
	s_lshl_b64 s[4:5], s[4:5], 1
	s_add_u32 s7, s48, s4
	v_lshlrev_b32_e32 v4, 6, v51
	s_addc_u32 s8, s49, s5
	s_lshl_b32 s4, s24, 7
	s_mov_b32 s5, 0
	v_lshl_or_b32 v0, v0, 10, v4
	s_lshl_b64 s[4:5], s[4:5], 1
	v_lshlrev_b32_e32 v2, 5, v1
	v_and_b32_e32 v3, 16, v52
	v_and_b32_e32 v0, 0x1a00, v0
	s_add_u32 s4, s7, s4
	v_or3_b32 v0, v0, v2, v3
	s_addc_u32 s5, s8, s5
	ds_read_b128 v[2:5], v0
	ds_read_b128 v[6:9], v0 offset:128
	v_mov_b32_e32 v0, s5
	v_add_co_u32_e32 v10, vcc, s4, v50
	v_or_b32_e32 v12, s25, v1
	v_addc_co_u32_e32 v11, vcc, 0, v0, vcc
	v_mad_u64_u32 v[0:1], s[4:5], v12, s6, 0
	v_lshlrev_b64 v[0:1], 1, v[0:1]
	v_add_co_u32_e32 v0, vcc, v10, v0
	v_addc_co_u32_e32 v1, vcc, v11, v1, vcc
	s_waitcnt lgkmcnt(1)
	global_store_dwordx4 v[0:1], v[2:5], off
	v_or_b32_e32 v0, 4, v12
	v_mad_u64_u32 v[0:1], s[4:5], v0, s6, 0
	v_lshlrev_b64 v[0:1], 1, v[0:1]
	v_add_co_u32_e32 v0, vcc, v10, v0
	v_addc_co_u32_e32 v1, vcc, v11, v1, vcc
	s_waitcnt lgkmcnt(0)
	global_store_dwordx4 v[0:1], v[6:9], off
.LBB629_597:
	s_endpgm
	.section	.rodata,"a",@progbits
	.p2align	6, 0x0
	.amdhsa_kernel _Z39paged_attention_ll4mi_QKV_mfma16_kernelIDF16_hLN4vllm18Fp8KVCacheDataTypeE1EDF16_Li16ELi128ELi256ELb0ELi8EL8MFMAType0EEvPKT_PKT0_S8_ifPKiSA_SA_iPKfiiiPfSD_PS3_PT2_iSC_SC_
		.amdhsa_group_segment_fixed_size 8192
		.amdhsa_private_segment_fixed_size 352
		.amdhsa_kernarg_size 400
		.amdhsa_user_sgpr_count 8
		.amdhsa_user_sgpr_private_segment_buffer 1
		.amdhsa_user_sgpr_dispatch_ptr 0
		.amdhsa_user_sgpr_queue_ptr 0
		.amdhsa_user_sgpr_kernarg_segment_ptr 1
		.amdhsa_user_sgpr_dispatch_id 0
		.amdhsa_user_sgpr_flat_scratch_init 1
		.amdhsa_user_sgpr_kernarg_preload_length 0
		.amdhsa_user_sgpr_kernarg_preload_offset 0
		.amdhsa_user_sgpr_private_segment_size 0
		.amdhsa_uses_dynamic_stack 0
		.amdhsa_system_sgpr_private_segment_wavefront_offset 1
		.amdhsa_system_sgpr_workgroup_id_x 1
		.amdhsa_system_sgpr_workgroup_id_y 1
		.amdhsa_system_sgpr_workgroup_id_z 1
		.amdhsa_system_sgpr_workgroup_info 0
		.amdhsa_system_vgpr_workitem_id 0
		.amdhsa_next_free_vgpr 80
		.amdhsa_next_free_sgpr 53
		.amdhsa_accum_offset 80
		.amdhsa_reserve_vcc 1
		.amdhsa_reserve_flat_scratch 0
		.amdhsa_float_round_mode_32 0
		.amdhsa_float_round_mode_16_64 0
		.amdhsa_float_denorm_mode_32 3
		.amdhsa_float_denorm_mode_16_64 3
		.amdhsa_dx10_clamp 1
		.amdhsa_ieee_mode 1
		.amdhsa_fp16_overflow 0
		.amdhsa_tg_split 0
		.amdhsa_exception_fp_ieee_invalid_op 0
		.amdhsa_exception_fp_denorm_src 0
		.amdhsa_exception_fp_ieee_div_zero 0
		.amdhsa_exception_fp_ieee_overflow 0
		.amdhsa_exception_fp_ieee_underflow 0
		.amdhsa_exception_fp_ieee_inexact 0
		.amdhsa_exception_int_div_zero 0
	.end_amdhsa_kernel
	.section	.text._Z39paged_attention_ll4mi_QKV_mfma16_kernelIDF16_hLN4vllm18Fp8KVCacheDataTypeE1EDF16_Li16ELi128ELi256ELb0ELi8EL8MFMAType0EEvPKT_PKT0_S8_ifPKiSA_SA_iPKfiiiPfSD_PS3_PT2_iSC_SC_,"axG",@progbits,_Z39paged_attention_ll4mi_QKV_mfma16_kernelIDF16_hLN4vllm18Fp8KVCacheDataTypeE1EDF16_Li16ELi128ELi256ELb0ELi8EL8MFMAType0EEvPKT_PKT0_S8_ifPKiSA_SA_iPKfiiiPfSD_PS3_PT2_iSC_SC_,comdat
.Lfunc_end629:
	.size	_Z39paged_attention_ll4mi_QKV_mfma16_kernelIDF16_hLN4vllm18Fp8KVCacheDataTypeE1EDF16_Li16ELi128ELi256ELb0ELi8EL8MFMAType0EEvPKT_PKT0_S8_ifPKiSA_SA_iPKfiiiPfSD_PS3_PT2_iSC_SC_, .Lfunc_end629-_Z39paged_attention_ll4mi_QKV_mfma16_kernelIDF16_hLN4vllm18Fp8KVCacheDataTypeE1EDF16_Li16ELi128ELi256ELb0ELi8EL8MFMAType0EEvPKT_PKT0_S8_ifPKiSA_SA_iPKfiiiPfSD_PS3_PT2_iSC_SC_
                                        ; -- End function
	.section	.AMDGPU.csdata,"",@progbits
; Kernel info:
; codeLenInByte = 21116
; NumSgprs: 57
; NumVgprs: 80
; NumAgprs: 0
; TotalNumVgprs: 80
; ScratchSize: 352
; MemoryBound: 0
; FloatMode: 240
; IeeeMode: 1
; LDSByteSize: 8192 bytes/workgroup (compile time only)
; SGPRBlocks: 7
; VGPRBlocks: 9
; NumSGPRsForWavesPerEU: 57
; NumVGPRsForWavesPerEU: 80
; AccumOffset: 80
; Occupancy: 6
; WaveLimiterHint : 1
; COMPUTE_PGM_RSRC2:SCRATCH_EN: 1
; COMPUTE_PGM_RSRC2:USER_SGPR: 8
; COMPUTE_PGM_RSRC2:TRAP_HANDLER: 0
; COMPUTE_PGM_RSRC2:TGID_X_EN: 1
; COMPUTE_PGM_RSRC2:TGID_Y_EN: 1
; COMPUTE_PGM_RSRC2:TGID_Z_EN: 1
; COMPUTE_PGM_RSRC2:TIDIG_COMP_CNT: 0
; COMPUTE_PGM_RSRC3_GFX90A:ACCUM_OFFSET: 19
; COMPUTE_PGM_RSRC3_GFX90A:TG_SPLIT: 0
	.section	.text._Z39paged_attention_ll4mi_QKV_mfma16_kernelIDF16_hLN4vllm18Fp8KVCacheDataTypeE1EDF16_Li16ELi128ELi256ELb0ELi9EL8MFMAType0EEvPKT_PKT0_S8_ifPKiSA_SA_iPKfiiiPfSD_PS3_PT2_iSC_SC_,"axG",@progbits,_Z39paged_attention_ll4mi_QKV_mfma16_kernelIDF16_hLN4vllm18Fp8KVCacheDataTypeE1EDF16_Li16ELi128ELi256ELb0ELi9EL8MFMAType0EEvPKT_PKT0_S8_ifPKiSA_SA_iPKfiiiPfSD_PS3_PT2_iSC_SC_,comdat
	.protected	_Z39paged_attention_ll4mi_QKV_mfma16_kernelIDF16_hLN4vllm18Fp8KVCacheDataTypeE1EDF16_Li16ELi128ELi256ELb0ELi9EL8MFMAType0EEvPKT_PKT0_S8_ifPKiSA_SA_iPKfiiiPfSD_PS3_PT2_iSC_SC_ ; -- Begin function _Z39paged_attention_ll4mi_QKV_mfma16_kernelIDF16_hLN4vllm18Fp8KVCacheDataTypeE1EDF16_Li16ELi128ELi256ELb0ELi9EL8MFMAType0EEvPKT_PKT0_S8_ifPKiSA_SA_iPKfiiiPfSD_PS3_PT2_iSC_SC_
	.globl	_Z39paged_attention_ll4mi_QKV_mfma16_kernelIDF16_hLN4vllm18Fp8KVCacheDataTypeE1EDF16_Li16ELi128ELi256ELb0ELi9EL8MFMAType0EEvPKT_PKT0_S8_ifPKiSA_SA_iPKfiiiPfSD_PS3_PT2_iSC_SC_
	.p2align	8
	.type	_Z39paged_attention_ll4mi_QKV_mfma16_kernelIDF16_hLN4vllm18Fp8KVCacheDataTypeE1EDF16_Li16ELi128ELi256ELb0ELi9EL8MFMAType0EEvPKT_PKT0_S8_ifPKiSA_SA_iPKfiiiPfSD_PS3_PT2_iSC_SC_,@function
_Z39paged_attention_ll4mi_QKV_mfma16_kernelIDF16_hLN4vllm18Fp8KVCacheDataTypeE1EDF16_Li16ELi128ELi256ELb0ELi9EL8MFMAType0EEvPKT_PKT0_S8_ifPKiSA_SA_iPKfiiiPfSD_PS3_PT2_iSC_SC_: ; @_Z39paged_attention_ll4mi_QKV_mfma16_kernelIDF16_hLN4vllm18Fp8KVCacheDataTypeE1EDF16_Li16ELi128ELi256ELb0ELi9EL8MFMAType0EEvPKT_PKT0_S8_ifPKiSA_SA_iPKfiiiPfSD_PS3_PT2_iSC_SC_
; %bb.0:
	s_load_dwordx2 s[6:7], s[4:5], 0x30
	s_add_u32 s0, s0, s11
	s_addc_u32 s1, s1, 0
	s_mov_b32 s24, s9
	s_mov_b64 s[12:13], 0
	s_waitcnt lgkmcnt(0)
	s_cmp_lg_u64 s[6:7], 0
	s_cselect_b64 s[16:17], -1, 0
	s_and_b64 vcc, exec, s[16:17]
	s_cbranch_vccz .LBB630_7
; %bb.1:
	s_add_i32 s14, s8, 1
	s_mov_b32 s15, 0
	s_lshl_b64 s[18:19], s[14:15], 2
	s_add_u32 s18, s6, s18
	s_mov_b32 s9, s15
	s_addc_u32 s19, s7, s19
	s_lshl_b64 s[14:15], s[8:9], 2
	s_add_u32 s14, s6, s14
	s_addc_u32 s15, s7, s15
	s_load_dword s11, s[18:19], 0x0
	s_load_dword s20, s[14:15], 0x0
	s_waitcnt lgkmcnt(0)
	s_sub_i32 s11, s11, s20
	s_cmp_eq_u32 s11, 1
	s_cselect_b64 s[14:15], -1, 0
	s_andn2_b64 vcc, exec, s[12:13]
	s_cbranch_vccnz .LBB630_3
.LBB630_2:
	s_mov_b32 s9, 0
	s_mov_b64 s[14:15], -1
.LBB630_3:
	s_andn2_b64 vcc, exec, s[14:15]
	s_cbranch_vccnz .LBB630_598
; %bb.4:
	s_load_dwordx2 s[12:13], s[4:5], 0x28
	s_lshl_b64 s[18:19], s[8:9], 2
	s_waitcnt lgkmcnt(0)
	s_add_u32 s12, s12, s18
	s_addc_u32 s13, s13, s19
	s_load_dword s33, s[12:13], 0x0
	s_lshl_b32 s20, s24, 8
	s_waitcnt lgkmcnt(0)
	s_cmp_ge_i32 s20, s33
	s_cbranch_scc1 .LBB630_598
; %bb.5:
	s_add_i32 s14, s33, 15
	s_load_dwordx2 s[12:13], s[4:5], 0x20
	s_load_dword s11, s[4:5], 0x38
	s_ashr_i32 s15, s14, 31
	v_and_b32_e32 v1, 0xcf, v0
	s_lshr_b32 s15, s15, 28
	v_add_u32_e32 v1, s20, v1
	s_add_i32 s14, s14, s15
	v_ashrrev_i32_e32 v2, 31, v1
	s_ashr_i32 s22, s14, 4
	v_lshrrev_b32_e32 v6, 28, v2
	s_add_i32 s22, s22, -1
	v_add_u32_e32 v2, v1, v6
	s_waitcnt lgkmcnt(0)
	s_mul_i32 s14, s8, s11
	s_mov_b32 s15, 0
	v_ashrrev_i32_e32 v2, 4, v2
	v_mov_b32_e32 v7, s22
	v_cmp_gt_i32_e32 vcc, s33, v1
	s_lshl_b64 s[14:15], s[14:15], 2
	v_cndmask_b32_e32 v2, v7, v2, vcc
	s_add_u32 s11, s12, s14
	v_ashrrev_i32_e32 v3, 31, v2
	s_addc_u32 s21, s13, s15
	v_lshlrev_b64 v[2:3], 2, v[2:3]
	v_mov_b32_e32 v5, s21
	v_add_co_u32_e32 v4, vcc, s11, v2
	v_or_b32_e32 v2, 16, v1
	v_addc_co_u32_e32 v5, vcc, v5, v3, vcc
	v_add_u32_e32 v3, v2, v6
	v_ashrrev_i32_e32 v3, 4, v3
	v_cmp_gt_i32_e32 vcc, s33, v2
	v_cndmask_b32_e32 v2, v7, v3, vcc
	v_ashrrev_i32_e32 v3, 31, v2
	v_lshlrev_b64 v[2:3], 2, v[2:3]
	v_mov_b32_e32 v9, s21
	v_add_co_u32_e32 v8, vcc, s11, v2
	v_or_b32_e32 v2, 32, v1
	v_addc_co_u32_e32 v9, vcc, v9, v3, vcc
	v_add_u32_e32 v3, v2, v6
	v_ashrrev_i32_e32 v3, 4, v3
	v_cmp_gt_i32_e32 vcc, s33, v2
	v_cndmask_b32_e32 v2, v7, v3, vcc
	v_ashrrev_i32_e32 v3, 31, v2
	;; [unrolled: 10-line block ×3, first 2 shown]
	v_lshlrev_b64 v[2:3], 2, v[2:3]
	v_mov_b32_e32 v1, s21
	v_add_co_u32_e32 v12, vcc, s11, v2
	v_addc_co_u32_e32 v13, vcc, v1, v3, vcc
	global_load_dword v3, v[4:5], off
	global_load_dword v2, v[8:9], off
	;; [unrolled: 1-line block ×4, first 2 shown]
	s_load_dwordx4 s[12:15], s[4:5], 0x8
	s_andn2_b64 vcc, exec, s[16:17]
	s_cbranch_vccnz .LBB630_8
; %bb.6:
	s_add_u32 s6, s6, s18
	s_addc_u32 s7, s7, s19
	s_load_dword s16, s[6:7], 0x0
	s_branch .LBB630_9
.LBB630_7:
	s_mov_b64 s[14:15], 0
	s_branch .LBB630_2
.LBB630_8:
	s_mov_b32 s16, s8
.LBB630_9:
	s_load_dwordx2 s[48:49], s[4:5], 0x68
	s_load_dwordx8 s[40:47], s[4:5], 0x48
	v_lshrrev_b32_e32 v62, 6, v0
	v_bfe_u32 v1, v0, 4, 2
	v_and_b32_e32 v55, 15, v0
	v_lshl_or_b32 v4, v62, 2, v1
	v_lshlrev_b32_e32 v5, 3, v55
	s_mul_i32 s25, s10, 9
	v_cmp_gt_u32_e32 vcc, 9, v4
	v_lshlrev_b32_e32 v54, 1, v5
	v_lshlrev_b32_e32 v56, 4, v0
	s_and_saveexec_b64 s[6:7], vcc
	s_cbranch_execz .LBB630_11
; %bb.10:
	s_load_dwordx2 s[18:19], s[4:5], 0x0
	s_waitcnt lgkmcnt(0)
	s_ashr_i32 s17, s40, 31
	s_mul_hi_u32 s23, s16, s40
	s_mul_i32 s17, s16, s17
	s_add_i32 s17, s23, s17
	s_mul_i32 s16, s16, s40
	s_lshl_b64 s[16:17], s[16:17], 1
	v_add_lshl_u32 v8, v4, s25, 7
	s_add_u32 s16, s18, s16
	v_ashrrev_i32_e32 v9, 31, v8
	s_addc_u32 s17, s19, s17
	v_lshlrev_b64 v[8:9], 1, v[8:9]
	v_mov_b32_e32 v5, s17
	v_add_co_u32_e32 v7, vcc, s16, v8
	v_addc_co_u32_e32 v5, vcc, v5, v9, vcc
	v_add_co_u32_e32 v8, vcc, v7, v54
	v_addc_co_u32_e32 v9, vcc, 0, v5, vcc
	global_load_dwordx4 v[8:11], v[8:9], off
	v_lshlrev_b32_e32 v7, 8, v0
	v_lshlrev_b32_e32 v5, 8, v55
	v_and_b32_e32 v7, 0x600, v7
	s_movk_i32 s16, 0x800
	v_and_or_b32 v5, v5, s16, v7
	v_lshlrev_b32_e32 v4, 5, v4
	v_and_b32_e32 v7, 16, v56
	v_or3_b32 v4, v5, v4, v7
	s_waitcnt vmcnt(0)
	ds_write_b128 v4, v[8:11]
.LBB630_11:
	s_or_b64 exec, exec, s[6:7]
	v_and_b32_e32 v7, 48, v0
	v_or_b32_e32 v14, s20, v7
	v_ashrrev_i32_e32 v4, 4, v14
	v_mov_b32_e32 v15, s22
	v_cmp_gt_i32_e32 vcc, s33, v14
	v_cndmask_b32_e32 v4, v15, v4, vcc
	v_ashrrev_i32_e32 v5, 31, v4
	v_lshlrev_b64 v[4:5], 2, v[4:5]
	v_mov_b32_e32 v8, s21
	v_add_co_u32_e32 v4, vcc, s11, v4
	v_addc_co_u32_e32 v5, vcc, v8, v5, vcc
	v_or_b32_e32 v8, 64, v14
	v_ashrrev_i32_e32 v9, 4, v8
	v_cmp_gt_i32_e32 vcc, s33, v8
	v_cndmask_b32_e32 v8, v15, v9, vcc
	v_ashrrev_i32_e32 v9, 31, v8
	v_lshlrev_b64 v[8:9], 2, v[8:9]
	v_mov_b32_e32 v10, s21
	v_add_co_u32_e32 v8, vcc, s11, v8
	v_addc_co_u32_e32 v9, vcc, v10, v9, vcc
	v_or_b32_e32 v10, 0x80, v14
	v_ashrrev_i32_e32 v11, 4, v10
	v_cmp_gt_i32_e32 vcc, s33, v10
	v_cndmask_b32_e32 v10, v15, v11, vcc
	v_ashrrev_i32_e32 v11, 31, v10
	v_lshlrev_b64 v[10:11], 2, v[10:11]
	v_mov_b32_e32 v16, s21
	v_add_co_u32_e32 v10, vcc, s11, v10
	s_load_dwordx2 s[50:51], s[4:5], 0x94
	s_waitcnt lgkmcnt(0)
	s_barrier
	v_addc_co_u32_e32 v11, vcc, v16, v11, vcc
	global_load_dword v50, v[4:5], off
	global_load_dword v57, v[8:9], off
	;; [unrolled: 1-line block ×3, first 2 shown]
	v_or_b32_e32 v4, 0xc0, v14
	v_ashrrev_i32_e32 v5, 4, v4
	v_cmp_gt_i32_e32 vcc, s33, v4
	v_cndmask_b32_e32 v4, v15, v5, vcc
	v_ashrrev_i32_e32 v5, 31, v4
	v_lshlrev_b64 v[4:5], 2, v[4:5]
	v_mov_b32_e32 v8, s21
	v_add_co_u32_e32 v4, vcc, s11, v4
	v_addc_co_u32_e32 v5, vcc, v8, v5, vcc
	s_mul_i32 s10, s10, s42
	global_load_dword v72, v[4:5], off
	s_add_u32 s6, s12, s10
	s_addc_u32 s7, s13, 0
	v_and_b32_e32 v12, 0xf0, v56
	v_mov_b32_e32 v13, s7
	v_add_co_u32_e32 v20, vcc, s6, v12
	v_addc_co_u32_e32 v21, vcc, 0, v13, vcc
	v_lshlrev_b32_e32 v28, 4, v7
	s_waitcnt vmcnt(7)
	v_mad_i64_i32 v[4:5], s[6:7], v3, s41, v[20:21]
	v_add_co_u32_e32 v4, vcc, v4, v28
	v_addc_co_u32_e32 v5, vcc, 0, v5, vcc
	global_load_dwordx4 v[38:41], v[4:5], off
	global_load_dwordx4 v[10:13], v[4:5], off offset:1024
	s_waitcnt vmcnt(8)
	v_mad_i64_i32 v[2:3], s[6:7], v2, s41, v[20:21]
	v_add_co_u32_e32 v8, vcc, v2, v28
	v_addc_co_u32_e32 v9, vcc, 0, v3, vcc
	s_waitcnt vmcnt(7)
	v_mad_i64_i32 v[6:7], s[6:7], v6, s41, v[20:21]
	v_add_co_u32_e32 v26, vcc, v6, v28
	v_addc_co_u32_e32 v27, vcc, 0, v7, vcc
	s_waitcnt vmcnt(6)
	v_mad_i64_i32 v[18:19], s[6:7], v18, s41, v[20:21]
	v_add_co_u32_e32 v30, vcc, v18, v28
	s_add_u32 s10, s14, s10
	v_lshl_or_b32 v63, v62, 4, v55
	global_load_dwordx4 v[14:17], v[8:9], off
	global_load_dwordx4 v[2:5], v[8:9], off offset:1024
	v_addc_co_u32_e32 v31, vcc, 0, v19, vcc
	s_addc_u32 s11, s15, 0
	v_lshlrev_b32_e32 v51, 4, v63
	global_load_dwordx4 v[6:9], v[26:27], off
	global_load_dwordx4 v[22:25], v[26:27], off offset:1024
	s_nop 0
	global_load_dwordx4 v[26:29], v[30:31], off
	global_load_dwordx4 v[18:21], v[30:31], off offset:1024
	v_mov_b32_e32 v30, s11
	v_add_co_u32_e32 v42, vcc, s10, v51
	v_addc_co_u32_e32 v43, vcc, 0, v30, vcc
	v_or_b32_e32 v51, 0x400, v51
	v_mov_b32_e32 v52, s11
	v_add_co_u32_e32 v58, vcc, s10, v51
	v_addc_co_u32_e32 v59, vcc, 0, v52, vcc
	v_cmp_gt_u32_e32 vcc, 9, v55
	s_mov_b32 s12, 0
	s_movk_i32 s13, 0x80
	s_movk_i32 s14, 0x7f
	s_mov_b32 s15, 0xffffff
	s_waitcnt vmcnt(11)
	v_mad_i64_i32 v[30:31], s[6:7], v50, s41, v[42:43]
	s_waitcnt vmcnt(10)
	v_mad_i64_i32 v[32:33], s[6:7], v57, s41, v[42:43]
	;; [unrolled: 2-line block ×3, first 2 shown]
	global_load_dwordx4 v[34:37], v[30:31], off
	s_nop 0
	global_load_dwordx4 v[30:33], v[32:33], off
	v_mad_i64_i32 v[50:51], s[6:7], v50, s41, v[58:59]
	v_mad_i64_i32 v[60:61], s[6:7], v57, s41, v[58:59]
	s_waitcnt vmcnt(10)
	v_mad_i64_i32 v[42:43], s[6:7], v72, s41, v[42:43]
	global_load_dwordx4 v[46:49], v[44:45], off
	s_nop 0
	global_load_dwordx4 v[42:45], v[42:43], off
	s_nop 0
	;; [unrolled: 2-line block ×3, first 2 shown]
	global_load_dwordx4 v[64:67], v[60:61], off
	s_waitcnt vmcnt(13)
	buffer_store_dword v41, off, s[0:3], 0 offset:12
	buffer_store_dword v40, off, s[0:3], 0 offset:8
	v_mad_i64_i32 v[40:41], s[6:7], v68, s41, v[58:59]
	global_load_dwordx4 v[68:71], v[40:41], off
	v_mad_i64_i32 v[40:41], s[6:7], v72, s41, v[58:59]
	global_load_dwordx4 v[72:75], v[40:41], off
	s_nop 0
	buffer_store_dword v39, off, s[0:3], 0 offset:4
	buffer_store_dword v38, off, s[0:3], 0
	s_waitcnt vmcnt(18)
	buffer_store_dword v13, off, s[0:3], 0 offset:28
	buffer_store_dword v12, off, s[0:3], 0 offset:24
	;; [unrolled: 1-line block ×4, first 2 shown]
	s_waitcnt vmcnt(21)
	buffer_store_dword v17, off, s[0:3], 0 offset:44
	buffer_store_dword v16, off, s[0:3], 0 offset:40
	buffer_store_dword v15, off, s[0:3], 0 offset:36
	buffer_store_dword v14, off, s[0:3], 0 offset:32
	s_load_dword s6, s[4:5], 0x1c
	s_load_dwordx4 s[40:43], s[4:5], 0x80
	s_waitcnt vmcnt(24)
	buffer_store_dword v5, off, s[0:3], 0 offset:60
	buffer_store_dword v4, off, s[0:3], 0 offset:56
	;; [unrolled: 1-line block ×4, first 2 shown]
	v_add_u32_e32 v2, -9, v55
	v_cndmask_b32_e32 v2, v2, v55, vcc
	v_lshlrev_b32_e32 v2, 5, v2
	v_mov_b32_e32 v10, 0x80
	s_waitcnt vmcnt(27)
	buffer_store_dword v9, off, s[0:3], 0 offset:76
	buffer_store_dword v8, off, s[0:3], 0 offset:72
	buffer_store_dword v7, off, s[0:3], 0 offset:68
	buffer_store_dword v6, off, s[0:3], 0 offset:64
	v_lshl_add_u32 v14, v1, 9, v2
	v_add_u32_e32 v39, 16, v10
	v_add_u32_e32 v61, 32, v10
	;; [unrolled: 1-line block ×7, first 2 shown]
	ds_read_b128 v[2:5], v14
	ds_read_b128 v[6:9], v14 offset:16
	ds_read_b128 v[10:13], v14 offset:2048
	;; [unrolled: 1-line block ×3, first 2 shown]
	s_waitcnt vmcnt(30)
	buffer_store_dword v25, off, s[0:3], 0 offset:92
	buffer_store_dword v24, off, s[0:3], 0 offset:88
	buffer_store_dword v23, off, s[0:3], 0 offset:84
	buffer_store_dword v22, off, s[0:3], 0 offset:80
	s_waitcnt vmcnt(33)
	buffer_store_dword v29, off, s[0:3], 0 offset:108
	buffer_store_dword v28, off, s[0:3], 0 offset:104
	buffer_store_dword v27, off, s[0:3], 0 offset:100
	buffer_store_dword v26, off, s[0:3], 0 offset:96
	;; [unrolled: 5-line block ×3, first 2 shown]
	s_waitcnt lgkmcnt(0)
	v_mov_b32_e32 v18, s6
	v_and_b32_e32 v38, 63, v0
	v_mov_b32_e32 v27, 0
	s_waitcnt vmcnt(39)
	buffer_store_dword v37, off, s[0:3], 0 offset:140
	buffer_store_dword v36, off, s[0:3], 0 offset:136
	buffer_store_dword v35, off, s[0:3], 0 offset:132
	buffer_store_dword v34, off, s[0:3], 0 offset:128
	s_waitcnt vmcnt(42)
	buffer_store_dword v33, off, s[0:3], 0 offset:172
	buffer_store_dword v32, off, s[0:3], 0 offset:168
	buffer_store_dword v31, off, s[0:3], 0 offset:164
	buffer_store_dword v30, off, s[0:3], 0 offset:160
	;; [unrolled: 5-line block ×7, first 2 shown]
	s_waitcnt vmcnt(58)
	buffer_store_dword v75, off, s[0:3], 0 offset:252
	s_load_dword s4, s[40:41], 0x0
	v_mov_b32_e32 v29, 0
	v_mov_b32_e32 v31, 0x100
	v_bfrev_b32_e32 v33, 60
	buffer_store_dword v74, off, s[0:3], 0 offset:248
	buffer_store_dword v73, off, s[0:3], 0 offset:244
	;; [unrolled: 1-line block ×3, first 2 shown]
	s_waitcnt lgkmcnt(0)
	v_mul_f32_e32 v22, s4, v18
	v_mov_b32_e32 v24, v22
	v_mov_b32_e32 v25, v22
	s_branch .LBB630_15
.LBB630_12:                             ;   in Loop: Header=BB630_15 Depth=1
	s_or_b64 exec, exec, s[10:11]
.LBB630_13:                             ;   in Loop: Header=BB630_15 Depth=1
	s_or_b64 exec, exec, s[6:7]
.LBB630_14:                             ;   in Loop: Header=BB630_15 Depth=1
	s_or_b64 exec, exec, s[4:5]
	v_cvt_pkrtz_f16_f32 v42, v34, v32
	v_cvt_pkrtz_f16_f32 v43, v23, v36
	;; [unrolled: 1-line block ×4, first 2 shown]
	v_add_u32_e32 v26, s12, v31
	v_mfma_f32_16x16x16f16 v[18:21], v[42:43], v[14:15], v[18:21]
	s_add_i32 s12, s12, 16
	v_mov_b32_e32 v23, v22
	s_cmp_eq_u32 s12, 64
	v_add_u32_e32 v27, 32, v27
	v_mfma_f32_16x16x16f16 v[18:21], v[34:35], v[16:17], v[18:21]
	s_nop 7
	s_nop 2
	v_pk_mul_f32 v[18:19], v[24:25], v[18:19]
	v_pk_mul_f32 v[20:21], v[22:23], v[20:21]
	buffer_store_dword v19, v26, s[0:3], 0 offen offset:4
	buffer_store_dword v18, v26, s[0:3], 0 offen
	buffer_store_dword v21, v26, s[0:3], 0 offen offset:12
	buffer_store_dword v20, v26, s[0:3], 0 offen offset:8
	s_cbranch_scc1 .LBB630_205
.LBB630_15:                             ; =>This Inner Loop Header: Depth=1
	buffer_load_dword v20, v27, s[0:3], 0 offen
	buffer_load_dword v18, v27, s[0:3], 0 offen offset:4
	buffer_load_dword v28, v27, s[0:3], 0 offen offset:8
	;; [unrolled: 1-line block ×3, first 2 shown]
	v_mov_b32_e32 v19, 0
	s_waitcnt vmcnt(3)
	v_cmp_ne_u16_sdwa s[6:7], v20, v29 src0_sel:BYTE_0 src1_sel:DWORD
	s_and_saveexec_b64 s[4:5], s[6:7]
	s_cbranch_execz .LBB630_21
; %bb.16:                               ;   in Loop: Header=BB630_15 Depth=1
	v_cmp_ne_u16_sdwa s[10:11], v20, s13 src0_sel:BYTE_0 src1_sel:DWORD
	v_bfrev_b32_e32 v19, 1
	s_and_saveexec_b64 s[6:7], s[10:11]
	s_cbranch_execz .LBB630_20
; %bb.17:                               ;   in Loop: Header=BB630_15 Depth=1
	v_and_b32_e32 v21, 0x7f, v20
	v_cmp_ne_u32_e32 vcc, s14, v21
	v_mov_b32_e32 v19, 0x7f800001
	s_and_saveexec_b64 s[10:11], vcc
	s_cbranch_execz .LBB630_19
; %bb.18:                               ;   in Loop: Header=BB630_15 Depth=1
	v_and_b32_e32 v19, 7, v20
	v_ffbh_u32_e32 v30, v19
	v_min_u32_e32 v30, 32, v30
	v_subrev_u32_e32 v32, 28, v30
	v_lshlrev_b64 v[34:35], v32, v[20:21]
	v_lshrrev_b32_e32 v23, 3, v21
	v_sub_u32_e32 v30, 29, v30
	v_and_b32_e32 v32, 7, v34
	v_cmp_gt_u32_e32 vcc, 8, v21
	v_cndmask_b32_e32 v21, v23, v30, vcc
	v_cndmask_b32_e32 v19, v19, v32, vcc
	v_lshlrev_b32_e32 v23, 24, v20
	v_lshlrev_b32_e32 v19, 20, v19
	v_and_b32_e32 v23, 0x80000000, v23
	v_lshl_add_u32 v21, v21, 23, v33
	v_or3_b32 v19, v23, v21, v19
.LBB630_19:                             ;   in Loop: Header=BB630_15 Depth=1
	s_or_b64 exec, exec, s[10:11]
.LBB630_20:                             ;   in Loop: Header=BB630_15 Depth=1
	s_or_b64 exec, exec, s[6:7]
.LBB630_21:                             ;   in Loop: Header=BB630_15 Depth=1
	s_or_b64 exec, exec, s[4:5]
	v_lshrrev_b16_e32 v30, 8, v20
	v_cmp_ne_u16_e32 vcc, 0, v30
	v_mov_b32_e32 v21, 0
	v_mov_b32_e32 v23, 0
	s_and_saveexec_b64 s[4:5], vcc
	s_cbranch_execz .LBB630_27
; %bb.22:                               ;   in Loop: Header=BB630_15 Depth=1
	v_cmp_ne_u16_e32 vcc, s13, v30
	v_bfrev_b32_e32 v23, 1
	s_and_saveexec_b64 s[6:7], vcc
	s_cbranch_execz .LBB630_26
; %bb.23:                               ;   in Loop: Header=BB630_15 Depth=1
	v_and_b32_e32 v32, 0x7f, v30
	v_cmp_ne_u32_e32 vcc, s14, v32
	v_mov_b32_e32 v23, 0x7f800001
	s_and_saveexec_b64 s[10:11], vcc
	s_cbranch_execz .LBB630_25
; %bb.24:                               ;   in Loop: Header=BB630_15 Depth=1
	v_and_b32_e32 v23, 7, v30
	v_ffbh_u32_e32 v34, v23
	v_min_u32_e32 v37, 32, v34
	v_subrev_u32_e32 v34, 28, v37
	v_lshlrev_b64 v[34:35], v34, v[30:31]
	v_lshrrev_b32_e32 v36, 3, v32
	v_sub_u32_e32 v30, 29, v37
	v_and_b32_e32 v34, 7, v34
	v_cmp_gt_u32_e32 vcc, 8, v32
	v_cndmask_b32_e32 v30, v36, v30, vcc
	v_cndmask_b32_e32 v23, v23, v34, vcc
	v_lshlrev_b32_e32 v32, 16, v20
	v_lshlrev_b32_e32 v23, 20, v23
	v_and_b32_e32 v32, 0x80000000, v32
	v_lshl_add_u32 v30, v30, 23, v33
	v_or3_b32 v23, v32, v30, v23
.LBB630_25:                             ;   in Loop: Header=BB630_15 Depth=1
	s_or_b64 exec, exec, s[10:11]
.LBB630_26:                             ;   in Loop: Header=BB630_15 Depth=1
	s_or_b64 exec, exec, s[6:7]
.LBB630_27:                             ;   in Loop: Header=BB630_15 Depth=1
	s_or_b64 exec, exec, s[4:5]
	v_lshrrev_b32_e32 v30, 16, v20
	v_cmp_ne_u16_sdwa s[6:7], v30, v29 src0_sel:BYTE_0 src1_sel:DWORD
	s_and_saveexec_b64 s[4:5], s[6:7]
	s_cbranch_execz .LBB630_33
; %bb.28:                               ;   in Loop: Header=BB630_15 Depth=1
	v_cmp_ne_u16_sdwa s[10:11], v30, s13 src0_sel:BYTE_0 src1_sel:DWORD
	v_bfrev_b32_e32 v21, 1
	s_and_saveexec_b64 s[6:7], s[10:11]
	s_cbranch_execz .LBB630_32
; %bb.29:                               ;   in Loop: Header=BB630_15 Depth=1
	v_bfe_u32 v32, v20, 16, 7
	v_cmp_ne_u32_e32 vcc, s14, v32
	v_mov_b32_e32 v21, 0x7f800001
	s_and_saveexec_b64 s[10:11], vcc
	s_cbranch_execz .LBB630_31
; %bb.30:                               ;   in Loop: Header=BB630_15 Depth=1
	v_and_b32_e32 v21, 7, v30
	v_ffbh_u32_e32 v34, v21
	v_min_u32_e32 v37, 32, v34
	v_subrev_u32_e32 v34, 28, v37
	v_lshlrev_b64 v[34:35], v34, v[30:31]
	v_lshrrev_b32_e32 v36, 3, v32
	v_sub_u32_e32 v35, 29, v37
	v_and_b32_e32 v34, 7, v34
	v_cmp_gt_u32_e32 vcc, 8, v32
	v_cndmask_b32_e32 v32, v36, v35, vcc
	v_cndmask_b32_e32 v21, v21, v34, vcc
	v_lshlrev_b32_e32 v30, 24, v30
	v_lshlrev_b32_e32 v21, 20, v21
	v_and_b32_e32 v30, 0x80000000, v30
	v_lshl_add_u32 v32, v32, 23, v33
	v_or3_b32 v21, v30, v32, v21
.LBB630_31:                             ;   in Loop: Header=BB630_15 Depth=1
	s_or_b64 exec, exec, s[10:11]
.LBB630_32:                             ;   in Loop: Header=BB630_15 Depth=1
	s_or_b64 exec, exec, s[6:7]
.LBB630_33:                             ;   in Loop: Header=BB630_15 Depth=1
	s_or_b64 exec, exec, s[4:5]
	v_cmp_lt_u32_e32 vcc, s15, v20
	v_mov_b32_e32 v34, 0
	v_mov_b32_e32 v35, 0
	s_and_saveexec_b64 s[4:5], vcc
	s_cbranch_execz .LBB630_39
; %bb.34:                               ;   in Loop: Header=BB630_15 Depth=1
	v_lshrrev_b32_e32 v30, 24, v20
	v_cmp_ne_u32_e32 vcc, s13, v30
	v_bfrev_b32_e32 v35, 1
	s_and_saveexec_b64 s[6:7], vcc
	s_cbranch_execz .LBB630_38
; %bb.35:                               ;   in Loop: Header=BB630_15 Depth=1
	v_bfe_u32 v20, v20, 24, 7
	v_cmp_ne_u32_e32 vcc, s14, v20
	v_mov_b32_e32 v35, 0x7f800001
	s_and_saveexec_b64 s[10:11], vcc
	s_cbranch_execz .LBB630_37
; %bb.36:                               ;   in Loop: Header=BB630_15 Depth=1
	v_and_b32_e32 v32, 7, v30
	v_ffbh_u32_e32 v36, v32
	v_min_u32_e32 v40, 32, v36
	v_subrev_u32_e32 v36, 28, v40
	v_lshlrev_b64 v[36:37], v36, v[30:31]
	v_lshrrev_b32_e32 v35, 3, v20
	v_sub_u32_e32 v37, 29, v40
	v_and_b32_e32 v36, 7, v36
	v_cmp_gt_u32_e32 vcc, 8, v20
	v_cndmask_b32_e32 v20, v35, v37, vcc
	v_cndmask_b32_e32 v32, v32, v36, vcc
	v_lshlrev_b32_e32 v30, 24, v30
	v_lshlrev_b32_e32 v32, 20, v32
	v_and_b32_e32 v30, 0x80000000, v30
	v_lshl_add_u32 v20, v20, 23, v33
	v_or3_b32 v35, v30, v20, v32
.LBB630_37:                             ;   in Loop: Header=BB630_15 Depth=1
	s_or_b64 exec, exec, s[10:11]
.LBB630_38:                             ;   in Loop: Header=BB630_15 Depth=1
	s_or_b64 exec, exec, s[6:7]
.LBB630_39:                             ;   in Loop: Header=BB630_15 Depth=1
	s_or_b64 exec, exec, s[4:5]
	s_waitcnt vmcnt(2)
	v_cmp_ne_u16_sdwa s[6:7], v18, v29 src0_sel:BYTE_0 src1_sel:DWORD
	s_and_saveexec_b64 s[4:5], s[6:7]
	s_cbranch_execz .LBB630_45
; %bb.40:                               ;   in Loop: Header=BB630_15 Depth=1
	v_cmp_ne_u16_sdwa s[10:11], v18, s13 src0_sel:BYTE_0 src1_sel:DWORD
	v_bfrev_b32_e32 v34, 1
	s_and_saveexec_b64 s[6:7], s[10:11]
	s_cbranch_execz .LBB630_44
; %bb.41:                               ;   in Loop: Header=BB630_15 Depth=1
	v_and_b32_e32 v20, 0x7f, v18
	v_cmp_ne_u32_e32 vcc, s14, v20
	v_mov_b32_e32 v34, 0x7f800001
	s_and_saveexec_b64 s[10:11], vcc
	s_cbranch_execz .LBB630_43
; %bb.42:                               ;   in Loop: Header=BB630_15 Depth=1
	v_and_b32_e32 v30, 7, v18
	v_ffbh_u32_e32 v34, v30
	v_min_u32_e32 v34, 32, v34
	v_subrev_u32_e32 v36, 28, v34
	v_lshlrev_b64 v[36:37], v36, v[18:19]
	v_lshrrev_b32_e32 v32, 3, v20
	v_sub_u32_e32 v34, 29, v34
	v_and_b32_e32 v36, 7, v36
	v_cmp_gt_u32_e32 vcc, 8, v20
	v_cndmask_b32_e32 v20, v32, v34, vcc
	v_cndmask_b32_e32 v30, v30, v36, vcc
	v_lshlrev_b32_e32 v32, 24, v18
	v_lshlrev_b32_e32 v30, 20, v30
	v_and_b32_e32 v32, 0x80000000, v32
	v_lshl_add_u32 v20, v20, 23, v33
	v_or3_b32 v34, v32, v20, v30
.LBB630_43:                             ;   in Loop: Header=BB630_15 Depth=1
	s_or_b64 exec, exec, s[10:11]
.LBB630_44:                             ;   in Loop: Header=BB630_15 Depth=1
	s_or_b64 exec, exec, s[6:7]
.LBB630_45:                             ;   in Loop: Header=BB630_15 Depth=1
	s_or_b64 exec, exec, s[4:5]
	v_lshrrev_b16_e32 v20, 8, v18
	v_cmp_ne_u16_e32 vcc, 0, v20
	v_mov_b32_e32 v30, 0
	v_mov_b32_e32 v36, 0
	s_and_saveexec_b64 s[4:5], vcc
	s_cbranch_execz .LBB630_51
; %bb.46:                               ;   in Loop: Header=BB630_15 Depth=1
	v_cmp_ne_u16_e32 vcc, s13, v20
	v_bfrev_b32_e32 v36, 1
	s_and_saveexec_b64 s[6:7], vcc
	s_cbranch_execz .LBB630_50
; %bb.47:                               ;   in Loop: Header=BB630_15 Depth=1
	v_and_b32_e32 v32, 0x7f, v20
	v_cmp_ne_u32_e32 vcc, s14, v32
	v_mov_b32_e32 v36, 0x7f800001
	s_and_saveexec_b64 s[10:11], vcc
	s_cbranch_execz .LBB630_49
; %bb.48:                               ;   in Loop: Header=BB630_15 Depth=1
	v_and_b32_e32 v40, 7, v20
	v_ffbh_u32_e32 v36, v40
	v_min_u32_e32 v43, 32, v36
	v_subrev_u32_e32 v36, 28, v43
	v_lshlrev_b64 v[36:37], v36, v[20:21]
	v_lshrrev_b32_e32 v42, 3, v32
	v_sub_u32_e32 v20, 29, v43
	v_and_b32_e32 v36, 7, v36
	v_cmp_gt_u32_e32 vcc, 8, v32
	v_cndmask_b32_e32 v20, v42, v20, vcc
	v_cndmask_b32_e32 v32, v40, v36, vcc
	v_lshlrev_b32_e32 v36, 16, v18
	v_lshlrev_b32_e32 v32, 20, v32
	v_and_b32_e32 v36, 0x80000000, v36
	v_lshl_add_u32 v20, v20, 23, v33
	v_or3_b32 v36, v36, v20, v32
.LBB630_49:                             ;   in Loop: Header=BB630_15 Depth=1
	s_or_b64 exec, exec, s[10:11]
.LBB630_50:                             ;   in Loop: Header=BB630_15 Depth=1
	s_or_b64 exec, exec, s[6:7]
.LBB630_51:                             ;   in Loop: Header=BB630_15 Depth=1
	s_or_b64 exec, exec, s[4:5]
	v_lshrrev_b32_e32 v20, 16, v18
	v_cmp_ne_u16_sdwa s[6:7], v20, v29 src0_sel:BYTE_0 src1_sel:DWORD
	s_and_saveexec_b64 s[4:5], s[6:7]
	s_cbranch_execz .LBB630_57
; %bb.52:                               ;   in Loop: Header=BB630_15 Depth=1
	v_cmp_ne_u16_sdwa s[10:11], v20, s13 src0_sel:BYTE_0 src1_sel:DWORD
	v_bfrev_b32_e32 v30, 1
	s_and_saveexec_b64 s[6:7], s[10:11]
	s_cbranch_execz .LBB630_56
; %bb.53:                               ;   in Loop: Header=BB630_15 Depth=1
	v_bfe_u32 v32, v18, 16, 7
	v_cmp_ne_u32_e32 vcc, s14, v32
	v_mov_b32_e32 v30, 0x7f800001
	s_and_saveexec_b64 s[10:11], vcc
	s_cbranch_execz .LBB630_55
; %bb.54:                               ;   in Loop: Header=BB630_15 Depth=1
	v_and_b32_e32 v30, 7, v20
	v_ffbh_u32_e32 v40, v30
	v_min_u32_e32 v40, 32, v40
	v_subrev_u32_e32 v42, 28, v40
	v_lshlrev_b64 v[42:43], v42, v[20:21]
	v_lshrrev_b32_e32 v37, 3, v32
	v_sub_u32_e32 v40, 29, v40
	v_and_b32_e32 v42, 7, v42
	v_cmp_gt_u32_e32 vcc, 8, v32
	v_cndmask_b32_e32 v32, v37, v40, vcc
	v_cndmask_b32_e32 v30, v30, v42, vcc
	v_lshlrev_b32_e32 v20, 24, v20
	v_lshlrev_b32_e32 v30, 20, v30
	v_and_b32_e32 v20, 0x80000000, v20
	v_lshl_add_u32 v32, v32, 23, v33
	v_or3_b32 v30, v20, v32, v30
.LBB630_55:                             ;   in Loop: Header=BB630_15 Depth=1
	s_or_b64 exec, exec, s[10:11]
.LBB630_56:                             ;   in Loop: Header=BB630_15 Depth=1
	s_or_b64 exec, exec, s[6:7]
.LBB630_57:                             ;   in Loop: Header=BB630_15 Depth=1
	s_or_b64 exec, exec, s[4:5]
	v_cmp_lt_u32_e32 vcc, s15, v18
	v_mov_b32_e32 v32, 0
	v_mov_b32_e32 v37, 0
	s_and_saveexec_b64 s[4:5], vcc
	s_cbranch_execz .LBB630_63
; %bb.58:                               ;   in Loop: Header=BB630_15 Depth=1
	v_lshrrev_b32_e32 v20, 24, v18
	v_cmp_ne_u32_e32 vcc, s13, v20
	v_bfrev_b32_e32 v37, 1
	s_and_saveexec_b64 s[6:7], vcc
	s_cbranch_execz .LBB630_62
; %bb.59:                               ;   in Loop: Header=BB630_15 Depth=1
	v_bfe_u32 v18, v18, 24, 7
	v_cmp_ne_u32_e32 vcc, s14, v18
	v_mov_b32_e32 v37, 0x7f800001
	s_and_saveexec_b64 s[10:11], vcc
	s_cbranch_execz .LBB630_61
; %bb.60:                               ;   in Loop: Header=BB630_15 Depth=1
	v_and_b32_e32 v37, 7, v20
	v_ffbh_u32_e32 v42, v37
	v_min_u32_e32 v44, 32, v42
	v_subrev_u32_e32 v42, 28, v44
	v_lshlrev_b64 v[42:43], v42, v[20:21]
	v_lshrrev_b32_e32 v40, 3, v18
	v_sub_u32_e32 v43, 29, v44
	v_and_b32_e32 v42, 7, v42
	v_cmp_gt_u32_e32 vcc, 8, v18
	v_cndmask_b32_e32 v18, v40, v43, vcc
	v_cndmask_b32_e32 v37, v37, v42, vcc
	v_lshlrev_b32_e32 v20, 24, v20
	v_lshlrev_b32_e32 v37, 20, v37
	v_and_b32_e32 v20, 0x80000000, v20
	v_lshl_add_u32 v18, v18, 23, v33
	v_or3_b32 v37, v20, v18, v37
.LBB630_61:                             ;   in Loop: Header=BB630_15 Depth=1
	s_or_b64 exec, exec, s[10:11]
.LBB630_62:                             ;   in Loop: Header=BB630_15 Depth=1
	s_or_b64 exec, exec, s[6:7]
.LBB630_63:                             ;   in Loop: Header=BB630_15 Depth=1
	s_or_b64 exec, exec, s[4:5]
	v_cvt_pkrtz_f16_f32 v18, v19, v23
	v_cvt_pkrtz_f16_f32 v19, v21, v35
	;; [unrolled: 1-line block ×4, first 2 shown]
	s_waitcnt vmcnt(1)
	v_cmp_ne_u16_sdwa s[6:7], v28, v29 src0_sel:BYTE_0 src1_sel:DWORD
	v_mfma_f32_16x16x16f16 v[18:21], v[18:19], v[2:3], 0
	v_mfma_f32_16x16x16f16 v[18:21], v[34:35], v[4:5], v[18:21]
	s_and_saveexec_b64 s[4:5], s[6:7]
	s_cbranch_execz .LBB630_69
; %bb.64:                               ;   in Loop: Header=BB630_15 Depth=1
	v_cmp_ne_u16_sdwa s[10:11], v28, s13 src0_sel:BYTE_0 src1_sel:DWORD
	v_bfrev_b32_e32 v32, 1
	s_and_saveexec_b64 s[6:7], s[10:11]
	s_cbranch_execz .LBB630_68
; %bb.65:                               ;   in Loop: Header=BB630_15 Depth=1
	v_and_b32_e32 v23, 0x7f, v28
	v_cmp_ne_u32_e32 vcc, s14, v23
	v_mov_b32_e32 v32, 0x7f800001
	s_and_saveexec_b64 s[10:11], vcc
	s_cbranch_execz .LBB630_67
; %bb.66:                               ;   in Loop: Header=BB630_15 Depth=1
	v_and_b32_e32 v30, 7, v28
	v_ffbh_u32_e32 v34, v30
	v_min_u32_e32 v36, 32, v34
	v_subrev_u32_e32 v34, 28, v36
	v_lshlrev_b64 v[34:35], v34, v[28:29]
	v_lshrrev_b32_e32 v32, 3, v23
	v_sub_u32_e32 v35, 29, v36
	v_and_b32_e32 v34, 7, v34
	v_cmp_gt_u32_e32 vcc, 8, v23
	v_cndmask_b32_e32 v23, v32, v35, vcc
	v_cndmask_b32_e32 v30, v30, v34, vcc
	v_lshlrev_b32_e32 v32, 24, v28
	v_lshlrev_b32_e32 v30, 20, v30
	v_and_b32_e32 v32, 0x80000000, v32
	v_lshl_add_u32 v23, v23, 23, v33
	v_or3_b32 v32, v32, v23, v30
.LBB630_67:                             ;   in Loop: Header=BB630_15 Depth=1
	s_or_b64 exec, exec, s[10:11]
.LBB630_68:                             ;   in Loop: Header=BB630_15 Depth=1
	s_or_b64 exec, exec, s[6:7]
.LBB630_69:                             ;   in Loop: Header=BB630_15 Depth=1
	s_or_b64 exec, exec, s[4:5]
	v_lshrrev_b16_e32 v30, 8, v28
	v_cmp_ne_u16_e32 vcc, 0, v30
	v_mov_b32_e32 v34, 0
	v_mov_b32_e32 v35, 0
	s_and_saveexec_b64 s[4:5], vcc
	s_cbranch_execz .LBB630_75
; %bb.70:                               ;   in Loop: Header=BB630_15 Depth=1
	v_cmp_ne_u16_e32 vcc, s13, v30
	v_bfrev_b32_e32 v35, 1
	s_and_saveexec_b64 s[6:7], vcc
	s_cbranch_execz .LBB630_74
; %bb.71:                               ;   in Loop: Header=BB630_15 Depth=1
	v_and_b32_e32 v23, 0x7f, v30
	v_cmp_ne_u32_e32 vcc, s14, v23
	v_mov_b32_e32 v35, 0x7f800001
	s_and_saveexec_b64 s[10:11], vcc
	s_cbranch_execz .LBB630_73
; %bb.72:                               ;   in Loop: Header=BB630_15 Depth=1
	v_and_b32_e32 v35, 7, v30
	v_ffbh_u32_e32 v36, v35
	v_min_u32_e32 v42, 32, v36
	v_subrev_u32_e32 v36, 28, v42
	v_lshlrev_b64 v[36:37], v36, v[30:31]
	v_lshrrev_b32_e32 v40, 3, v23
	v_sub_u32_e32 v30, 29, v42
	v_and_b32_e32 v36, 7, v36
	v_cmp_gt_u32_e32 vcc, 8, v23
	v_cndmask_b32_e32 v23, v40, v30, vcc
	v_cndmask_b32_e32 v30, v35, v36, vcc
	v_lshlrev_b32_e32 v35, 16, v28
	v_lshlrev_b32_e32 v30, 20, v30
	v_and_b32_e32 v35, 0x80000000, v35
	v_lshl_add_u32 v23, v23, 23, v33
	v_or3_b32 v35, v35, v23, v30
.LBB630_73:                             ;   in Loop: Header=BB630_15 Depth=1
	s_or_b64 exec, exec, s[10:11]
.LBB630_74:                             ;   in Loop: Header=BB630_15 Depth=1
	s_or_b64 exec, exec, s[6:7]
.LBB630_75:                             ;   in Loop: Header=BB630_15 Depth=1
	s_or_b64 exec, exec, s[4:5]
	v_lshrrev_b32_e32 v30, 16, v28
	v_cmp_ne_u16_sdwa s[6:7], v30, v29 src0_sel:BYTE_0 src1_sel:DWORD
	s_and_saveexec_b64 s[4:5], s[6:7]
	s_cbranch_execz .LBB630_81
; %bb.76:                               ;   in Loop: Header=BB630_15 Depth=1
	v_cmp_ne_u16_sdwa s[10:11], v30, s13 src0_sel:BYTE_0 src1_sel:DWORD
	v_bfrev_b32_e32 v34, 1
	s_and_saveexec_b64 s[6:7], s[10:11]
	s_cbranch_execz .LBB630_80
; %bb.77:                               ;   in Loop: Header=BB630_15 Depth=1
	v_bfe_u32 v23, v28, 16, 7
	v_cmp_ne_u32_e32 vcc, s14, v23
	v_mov_b32_e32 v34, 0x7f800001
	s_and_saveexec_b64 s[10:11], vcc
	s_cbranch_execz .LBB630_79
; %bb.78:                               ;   in Loop: Header=BB630_15 Depth=1
	v_and_b32_e32 v34, 7, v30
	v_ffbh_u32_e32 v36, v34
	v_min_u32_e32 v42, 32, v36
	v_subrev_u32_e32 v36, 28, v42
	v_lshlrev_b64 v[36:37], v36, v[30:31]
	v_lshrrev_b32_e32 v40, 3, v23
	v_sub_u32_e32 v37, 29, v42
	v_and_b32_e32 v36, 7, v36
	v_cmp_gt_u32_e32 vcc, 8, v23
	v_cndmask_b32_e32 v23, v40, v37, vcc
	v_cndmask_b32_e32 v34, v34, v36, vcc
	v_lshlrev_b32_e32 v30, 24, v30
	v_lshlrev_b32_e32 v34, 20, v34
	v_and_b32_e32 v30, 0x80000000, v30
	v_lshl_add_u32 v23, v23, 23, v33
	v_or3_b32 v34, v30, v23, v34
.LBB630_79:                             ;   in Loop: Header=BB630_15 Depth=1
	s_or_b64 exec, exec, s[10:11]
.LBB630_80:                             ;   in Loop: Header=BB630_15 Depth=1
	s_or_b64 exec, exec, s[6:7]
.LBB630_81:                             ;   in Loop: Header=BB630_15 Depth=1
	s_or_b64 exec, exec, s[4:5]
	v_cmp_lt_u32_e32 vcc, s15, v28
	v_mov_b32_e32 v36, 0
	v_mov_b32_e32 v37, 0
	s_and_saveexec_b64 s[4:5], vcc
	s_cbranch_execz .LBB630_87
; %bb.82:                               ;   in Loop: Header=BB630_15 Depth=1
	v_lshrrev_b32_e32 v30, 24, v28
	v_cmp_ne_u32_e32 vcc, s13, v30
	v_bfrev_b32_e32 v37, 1
	s_and_saveexec_b64 s[6:7], vcc
	s_cbranch_execz .LBB630_86
; %bb.83:                               ;   in Loop: Header=BB630_15 Depth=1
	v_bfe_u32 v23, v28, 24, 7
	v_cmp_ne_u32_e32 vcc, s14, v23
	v_mov_b32_e32 v37, 0x7f800001
	s_and_saveexec_b64 s[10:11], vcc
	s_cbranch_execz .LBB630_85
; %bb.84:                               ;   in Loop: Header=BB630_15 Depth=1
	v_and_b32_e32 v28, 7, v30
	v_ffbh_u32_e32 v40, v28
	v_min_u32_e32 v40, 32, v40
	v_subrev_u32_e32 v42, 28, v40
	v_lshlrev_b64 v[42:43], v42, v[30:31]
	v_lshrrev_b32_e32 v37, 3, v23
	v_sub_u32_e32 v40, 29, v40
	v_and_b32_e32 v42, 7, v42
	v_cmp_gt_u32_e32 vcc, 8, v23
	v_cndmask_b32_e32 v23, v37, v40, vcc
	v_cndmask_b32_e32 v28, v28, v42, vcc
	v_lshlrev_b32_e32 v30, 24, v30
	v_lshlrev_b32_e32 v28, 20, v28
	v_and_b32_e32 v30, 0x80000000, v30
	v_lshl_add_u32 v23, v23, 23, v33
	v_or3_b32 v37, v30, v23, v28
.LBB630_85:                             ;   in Loop: Header=BB630_15 Depth=1
	s_or_b64 exec, exec, s[10:11]
.LBB630_86:                             ;   in Loop: Header=BB630_15 Depth=1
	s_or_b64 exec, exec, s[6:7]
.LBB630_87:                             ;   in Loop: Header=BB630_15 Depth=1
	s_or_b64 exec, exec, s[4:5]
	s_waitcnt vmcnt(0)
	v_cmp_ne_u16_sdwa s[6:7], v26, v29 src0_sel:BYTE_0 src1_sel:DWORD
	s_and_saveexec_b64 s[4:5], s[6:7]
	s_cbranch_execz .LBB630_93
; %bb.88:                               ;   in Loop: Header=BB630_15 Depth=1
	v_cmp_ne_u16_sdwa s[10:11], v26, s13 src0_sel:BYTE_0 src1_sel:DWORD
	v_bfrev_b32_e32 v36, 1
	s_and_saveexec_b64 s[6:7], s[10:11]
	s_cbranch_execz .LBB630_92
; %bb.89:                               ;   in Loop: Header=BB630_15 Depth=1
	v_and_b32_e32 v23, 0x7f, v26
	v_cmp_ne_u32_e32 vcc, s14, v23
	v_mov_b32_e32 v36, 0x7f800001
	s_and_saveexec_b64 s[10:11], vcc
	s_cbranch_execz .LBB630_91
; %bb.90:                               ;   in Loop: Header=BB630_15 Depth=1
	v_and_b32_e32 v28, 7, v26
	v_ffbh_u32_e32 v36, v28
	v_min_u32_e32 v36, 32, v36
	v_subrev_u32_e32 v40, 28, v36
	v_lshlrev_b64 v[42:43], v40, v[26:27]
	v_lshrrev_b32_e32 v30, 3, v23
	v_sub_u32_e32 v36, 29, v36
	v_and_b32_e32 v40, 7, v42
	v_cmp_gt_u32_e32 vcc, 8, v23
	v_cndmask_b32_e32 v23, v30, v36, vcc
	v_cndmask_b32_e32 v28, v28, v40, vcc
	v_lshlrev_b32_e32 v30, 24, v26
	v_lshlrev_b32_e32 v28, 20, v28
	v_and_b32_e32 v30, 0x80000000, v30
	v_lshl_add_u32 v23, v23, 23, v33
	v_or3_b32 v36, v30, v23, v28
.LBB630_91:                             ;   in Loop: Header=BB630_15 Depth=1
	s_or_b64 exec, exec, s[10:11]
.LBB630_92:                             ;   in Loop: Header=BB630_15 Depth=1
	s_or_b64 exec, exec, s[6:7]
.LBB630_93:                             ;   in Loop: Header=BB630_15 Depth=1
	s_or_b64 exec, exec, s[4:5]
	v_lshrrev_b16_e32 v28, 8, v26
	v_cmp_ne_u16_e32 vcc, 0, v28
	v_mov_b32_e32 v40, 0
	v_mov_b32_e32 v42, 0
	s_and_saveexec_b64 s[4:5], vcc
	s_cbranch_execz .LBB630_99
; %bb.94:                               ;   in Loop: Header=BB630_15 Depth=1
	v_cmp_ne_u16_e32 vcc, s13, v28
	v_bfrev_b32_e32 v42, 1
	s_and_saveexec_b64 s[6:7], vcc
	s_cbranch_execz .LBB630_98
; %bb.95:                               ;   in Loop: Header=BB630_15 Depth=1
	v_and_b32_e32 v23, 0x7f, v28
	v_cmp_ne_u32_e32 vcc, s14, v23
	v_mov_b32_e32 v42, 0x7f800001
	s_and_saveexec_b64 s[10:11], vcc
	s_cbranch_execz .LBB630_97
; %bb.96:                               ;   in Loop: Header=BB630_15 Depth=1
	v_and_b32_e32 v30, 7, v28
	v_ffbh_u32_e32 v42, v30
	v_min_u32_e32 v45, 32, v42
	v_subrev_u32_e32 v42, 28, v45
	v_lshlrev_b64 v[42:43], v42, v[28:29]
	v_lshrrev_b32_e32 v44, 3, v23
	v_sub_u32_e32 v28, 29, v45
	v_and_b32_e32 v42, 7, v42
	v_cmp_gt_u32_e32 vcc, 8, v23
	v_cndmask_b32_e32 v23, v44, v28, vcc
	v_cndmask_b32_e32 v28, v30, v42, vcc
	v_lshlrev_b32_e32 v30, 16, v26
	v_lshlrev_b32_e32 v28, 20, v28
	v_and_b32_e32 v30, 0x80000000, v30
	v_lshl_add_u32 v23, v23, 23, v33
	v_or3_b32 v42, v30, v23, v28
.LBB630_97:                             ;   in Loop: Header=BB630_15 Depth=1
	s_or_b64 exec, exec, s[10:11]
.LBB630_98:                             ;   in Loop: Header=BB630_15 Depth=1
	s_or_b64 exec, exec, s[6:7]
.LBB630_99:                             ;   in Loop: Header=BB630_15 Depth=1
	s_or_b64 exec, exec, s[4:5]
	v_lshrrev_b32_e32 v28, 16, v26
	v_cmp_ne_u16_sdwa s[6:7], v28, v29 src0_sel:BYTE_0 src1_sel:DWORD
	s_and_saveexec_b64 s[4:5], s[6:7]
	s_cbranch_execz .LBB630_105
; %bb.100:                              ;   in Loop: Header=BB630_15 Depth=1
	v_cmp_ne_u16_sdwa s[10:11], v28, s13 src0_sel:BYTE_0 src1_sel:DWORD
	v_bfrev_b32_e32 v40, 1
	s_and_saveexec_b64 s[6:7], s[10:11]
	s_cbranch_execz .LBB630_104
; %bb.101:                              ;   in Loop: Header=BB630_15 Depth=1
	v_bfe_u32 v23, v26, 16, 7
	v_cmp_ne_u32_e32 vcc, s14, v23
	v_mov_b32_e32 v40, 0x7f800001
	s_and_saveexec_b64 s[10:11], vcc
	s_cbranch_execz .LBB630_103
; %bb.102:                              ;   in Loop: Header=BB630_15 Depth=1
	v_and_b32_e32 v30, 7, v28
	v_ffbh_u32_e32 v43, v30
	v_min_u32_e32 v43, 32, v43
	v_subrev_u32_e32 v44, 28, v43
	v_lshlrev_b64 v[44:45], v44, v[28:29]
	v_lshrrev_b32_e32 v40, 3, v23
	v_sub_u32_e32 v43, 29, v43
	v_and_b32_e32 v44, 7, v44
	v_cmp_gt_u32_e32 vcc, 8, v23
	v_cndmask_b32_e32 v23, v40, v43, vcc
	v_cndmask_b32_e32 v30, v30, v44, vcc
	v_lshlrev_b32_e32 v28, 24, v28
	v_lshlrev_b32_e32 v30, 20, v30
	v_and_b32_e32 v28, 0x80000000, v28
	v_lshl_add_u32 v23, v23, 23, v33
	v_or3_b32 v40, v28, v23, v30
.LBB630_103:                            ;   in Loop: Header=BB630_15 Depth=1
	s_or_b64 exec, exec, s[10:11]
.LBB630_104:                            ;   in Loop: Header=BB630_15 Depth=1
	s_or_b64 exec, exec, s[6:7]
.LBB630_105:                            ;   in Loop: Header=BB630_15 Depth=1
	s_or_b64 exec, exec, s[4:5]
	v_cmp_lt_u32_e32 vcc, s15, v26
	v_mov_b32_e32 v23, 0
	v_mov_b32_e32 v43, 0
	s_and_saveexec_b64 s[4:5], vcc
	s_cbranch_execz .LBB630_111
; %bb.106:                              ;   in Loop: Header=BB630_15 Depth=1
	v_lshrrev_b32_e32 v28, 24, v26
	v_cmp_ne_u32_e32 vcc, s13, v28
	v_bfrev_b32_e32 v43, 1
	s_and_saveexec_b64 s[6:7], vcc
	s_cbranch_execz .LBB630_110
; %bb.107:                              ;   in Loop: Header=BB630_15 Depth=1
	v_bfe_u32 v26, v26, 24, 7
	v_cmp_ne_u32_e32 vcc, s14, v26
	v_mov_b32_e32 v43, 0x7f800001
	s_and_saveexec_b64 s[10:11], vcc
	s_cbranch_execz .LBB630_109
; %bb.108:                              ;   in Loop: Header=BB630_15 Depth=1
	v_and_b32_e32 v30, 7, v28
	v_ffbh_u32_e32 v44, v30
	v_min_u32_e32 v46, 32, v44
	v_subrev_u32_e32 v44, 28, v46
	v_lshlrev_b64 v[44:45], v44, v[28:29]
	v_lshrrev_b32_e32 v43, 3, v26
	v_sub_u32_e32 v45, 29, v46
	v_and_b32_e32 v44, 7, v44
	v_cmp_gt_u32_e32 vcc, 8, v26
	v_cndmask_b32_e32 v26, v43, v45, vcc
	v_cndmask_b32_e32 v30, v30, v44, vcc
	v_lshlrev_b32_e32 v28, 24, v28
	v_lshlrev_b32_e32 v30, 20, v30
	v_and_b32_e32 v28, 0x80000000, v28
	v_lshl_add_u32 v26, v26, 23, v33
	v_or3_b32 v43, v28, v26, v30
.LBB630_109:                            ;   in Loop: Header=BB630_15 Depth=1
	s_or_b64 exec, exec, s[10:11]
.LBB630_110:                            ;   in Loop: Header=BB630_15 Depth=1
	s_or_b64 exec, exec, s[6:7]
.LBB630_111:                            ;   in Loop: Header=BB630_15 Depth=1
	s_or_b64 exec, exec, s[4:5]
	v_cvt_pkrtz_f16_f32 v44, v32, v35
	buffer_load_dword v32, v27, s[0:3], 0 offen offset:16
	buffer_load_dword v30, v27, s[0:3], 0 offen offset:20
	;; [unrolled: 1-line block ×4, first 2 shown]
	v_cvt_pkrtz_f16_f32 v45, v34, v37
	v_cvt_pkrtz_f16_f32 v34, v36, v42
	;; [unrolled: 1-line block ×3, first 2 shown]
	v_mfma_f32_16x16x16f16 v[18:21], v[44:45], v[6:7], v[18:21]
	s_waitcnt vmcnt(3)
	v_cmp_ne_u16_sdwa s[6:7], v32, v29 src0_sel:BYTE_0 src1_sel:DWORD
	v_mfma_f32_16x16x16f16 v[18:21], v[34:35], v[8:9], v[18:21]
	s_and_saveexec_b64 s[4:5], s[6:7]
	s_cbranch_execz .LBB630_117
; %bb.112:                              ;   in Loop: Header=BB630_15 Depth=1
	v_cmp_ne_u16_sdwa s[10:11], v32, s13 src0_sel:BYTE_0 src1_sel:DWORD
	v_bfrev_b32_e32 v23, 1
	s_and_saveexec_b64 s[6:7], s[10:11]
	s_cbranch_execz .LBB630_116
; %bb.113:                              ;   in Loop: Header=BB630_15 Depth=1
	v_and_b32_e32 v34, 0x7f, v32
	v_cmp_ne_u32_e32 vcc, s14, v34
	v_mov_b32_e32 v23, 0x7f800001
	s_and_saveexec_b64 s[10:11], vcc
	s_cbranch_execz .LBB630_115
; %bb.114:                              ;   in Loop: Header=BB630_15 Depth=1
	v_and_b32_e32 v23, 7, v32
	v_ffbh_u32_e32 v36, v23
	v_min_u32_e32 v40, 32, v36
	v_subrev_u32_e32 v36, 28, v40
	v_lshlrev_b64 v[36:37], v36, v[32:33]
	v_lshrrev_b32_e32 v35, 3, v34
	v_sub_u32_e32 v37, 29, v40
	v_and_b32_e32 v36, 7, v36
	v_cmp_gt_u32_e32 vcc, 8, v34
	v_cndmask_b32_e32 v34, v35, v37, vcc
	v_cndmask_b32_e32 v23, v23, v36, vcc
	v_lshlrev_b32_e32 v35, 24, v32
	v_lshlrev_b32_e32 v23, 20, v23
	v_and_b32_e32 v35, 0x80000000, v35
	v_lshl_add_u32 v34, v34, 23, v33
	v_or3_b32 v23, v35, v34, v23
.LBB630_115:                            ;   in Loop: Header=BB630_15 Depth=1
	s_or_b64 exec, exec, s[10:11]
.LBB630_116:                            ;   in Loop: Header=BB630_15 Depth=1
	s_or_b64 exec, exec, s[6:7]
.LBB630_117:                            ;   in Loop: Header=BB630_15 Depth=1
	s_or_b64 exec, exec, s[4:5]
	v_lshrrev_b16_e32 v34, 8, v32
	v_cmp_ne_u16_e32 vcc, 0, v34
	v_mov_b32_e32 v35, 0
	v_mov_b32_e32 v36, 0
	s_and_saveexec_b64 s[4:5], vcc
	s_cbranch_execz .LBB630_123
; %bb.118:                              ;   in Loop: Header=BB630_15 Depth=1
	v_cmp_ne_u16_e32 vcc, s13, v34
	v_bfrev_b32_e32 v36, 1
	s_and_saveexec_b64 s[6:7], vcc
	s_cbranch_execz .LBB630_122
; %bb.119:                              ;   in Loop: Header=BB630_15 Depth=1
	v_and_b32_e32 v37, 0x7f, v34
	v_cmp_ne_u32_e32 vcc, s14, v37
	v_mov_b32_e32 v36, 0x7f800001
	s_and_saveexec_b64 s[10:11], vcc
	s_cbranch_execz .LBB630_121
; %bb.120:                              ;   in Loop: Header=BB630_15 Depth=1
	v_and_b32_e32 v36, 7, v34
	v_ffbh_u32_e32 v42, v36
	v_min_u32_e32 v44, 32, v42
	v_subrev_u32_e32 v42, 28, v44
	v_lshlrev_b64 v[42:43], v42, v[34:35]
	v_lshrrev_b32_e32 v40, 3, v37
	v_sub_u32_e32 v34, 29, v44
	v_and_b32_e32 v42, 7, v42
	v_cmp_gt_u32_e32 vcc, 8, v37
	v_cndmask_b32_e32 v34, v40, v34, vcc
	v_cndmask_b32_e32 v36, v36, v42, vcc
	v_lshlrev_b32_e32 v37, 16, v32
	v_lshlrev_b32_e32 v36, 20, v36
	v_and_b32_e32 v37, 0x80000000, v37
	v_lshl_add_u32 v34, v34, 23, v33
	v_or3_b32 v36, v37, v34, v36
.LBB630_121:                            ;   in Loop: Header=BB630_15 Depth=1
	s_or_b64 exec, exec, s[10:11]
.LBB630_122:                            ;   in Loop: Header=BB630_15 Depth=1
	s_or_b64 exec, exec, s[6:7]
.LBB630_123:                            ;   in Loop: Header=BB630_15 Depth=1
	s_or_b64 exec, exec, s[4:5]
	v_lshrrev_b32_e32 v34, 16, v32
	v_cmp_ne_u16_sdwa s[6:7], v34, v29 src0_sel:BYTE_0 src1_sel:DWORD
	s_and_saveexec_b64 s[4:5], s[6:7]
	s_cbranch_execz .LBB630_129
; %bb.124:                              ;   in Loop: Header=BB630_15 Depth=1
	v_cmp_ne_u16_sdwa s[10:11], v34, s13 src0_sel:BYTE_0 src1_sel:DWORD
	v_bfrev_b32_e32 v35, 1
	s_and_saveexec_b64 s[6:7], s[10:11]
	s_cbranch_execz .LBB630_128
; %bb.125:                              ;   in Loop: Header=BB630_15 Depth=1
	v_bfe_u32 v37, v32, 16, 7
	v_cmp_ne_u32_e32 vcc, s14, v37
	v_mov_b32_e32 v35, 0x7f800001
	s_and_saveexec_b64 s[10:11], vcc
	s_cbranch_execz .LBB630_127
; %bb.126:                              ;   in Loop: Header=BB630_15 Depth=1
	v_and_b32_e32 v35, 7, v34
	v_ffbh_u32_e32 v42, v35
	v_min_u32_e32 v44, 32, v42
	v_subrev_u32_e32 v42, 28, v44
	v_lshlrev_b64 v[42:43], v42, v[34:35]
	v_lshrrev_b32_e32 v40, 3, v37
	v_sub_u32_e32 v43, 29, v44
	v_and_b32_e32 v42, 7, v42
	v_cmp_gt_u32_e32 vcc, 8, v37
	v_cndmask_b32_e32 v37, v40, v43, vcc
	v_cndmask_b32_e32 v35, v35, v42, vcc
	v_lshlrev_b32_e32 v34, 24, v34
	v_lshlrev_b32_e32 v35, 20, v35
	v_and_b32_e32 v34, 0x80000000, v34
	v_lshl_add_u32 v37, v37, 23, v33
	v_or3_b32 v35, v34, v37, v35
.LBB630_127:                            ;   in Loop: Header=BB630_15 Depth=1
	s_or_b64 exec, exec, s[10:11]
.LBB630_128:                            ;   in Loop: Header=BB630_15 Depth=1
	s_or_b64 exec, exec, s[6:7]
.LBB630_129:                            ;   in Loop: Header=BB630_15 Depth=1
	s_or_b64 exec, exec, s[4:5]
	v_cmp_lt_u32_e32 vcc, s15, v32
	v_mov_b32_e32 v37, 0
	v_mov_b32_e32 v40, 0
	s_and_saveexec_b64 s[4:5], vcc
	s_cbranch_execz .LBB630_135
; %bb.130:                              ;   in Loop: Header=BB630_15 Depth=1
	v_lshrrev_b32_e32 v34, 24, v32
	v_cmp_ne_u32_e32 vcc, s13, v34
	v_bfrev_b32_e32 v40, 1
	s_and_saveexec_b64 s[6:7], vcc
	s_cbranch_execz .LBB630_134
; %bb.131:                              ;   in Loop: Header=BB630_15 Depth=1
	v_bfe_u32 v32, v32, 24, 7
	v_cmp_ne_u32_e32 vcc, s14, v32
	v_mov_b32_e32 v40, 0x7f800001
	s_and_saveexec_b64 s[10:11], vcc
	s_cbranch_execz .LBB630_133
; %bb.132:                              ;   in Loop: Header=BB630_15 Depth=1
	v_and_b32_e32 v40, 7, v34
	v_ffbh_u32_e32 v42, v40
	v_min_u32_e32 v45, 32, v42
	v_subrev_u32_e32 v42, 28, v45
	v_lshlrev_b64 v[42:43], v42, v[34:35]
	v_lshrrev_b32_e32 v44, 3, v32
	v_sub_u32_e32 v43, 29, v45
	v_and_b32_e32 v42, 7, v42
	v_cmp_gt_u32_e32 vcc, 8, v32
	v_cndmask_b32_e32 v32, v44, v43, vcc
	v_cndmask_b32_e32 v40, v40, v42, vcc
	v_lshlrev_b32_e32 v34, 24, v34
	v_lshlrev_b32_e32 v40, 20, v40
	v_and_b32_e32 v34, 0x80000000, v34
	v_lshl_add_u32 v32, v32, 23, v33
	v_or3_b32 v40, v34, v32, v40
.LBB630_133:                            ;   in Loop: Header=BB630_15 Depth=1
	s_or_b64 exec, exec, s[10:11]
.LBB630_134:                            ;   in Loop: Header=BB630_15 Depth=1
	s_or_b64 exec, exec, s[6:7]
.LBB630_135:                            ;   in Loop: Header=BB630_15 Depth=1
	s_or_b64 exec, exec, s[4:5]
	s_waitcnt vmcnt(2)
	v_cmp_ne_u16_sdwa s[6:7], v30, v29 src0_sel:BYTE_0 src1_sel:DWORD
	s_and_saveexec_b64 s[4:5], s[6:7]
	s_cbranch_execz .LBB630_141
; %bb.136:                              ;   in Loop: Header=BB630_15 Depth=1
	v_cmp_ne_u16_sdwa s[10:11], v30, s13 src0_sel:BYTE_0 src1_sel:DWORD
	v_bfrev_b32_e32 v37, 1
	s_and_saveexec_b64 s[6:7], s[10:11]
	s_cbranch_execz .LBB630_140
; %bb.137:                              ;   in Loop: Header=BB630_15 Depth=1
	v_and_b32_e32 v32, 0x7f, v30
	v_cmp_ne_u32_e32 vcc, s14, v32
	v_mov_b32_e32 v37, 0x7f800001
	s_and_saveexec_b64 s[10:11], vcc
	s_cbranch_execz .LBB630_139
; %bb.138:                              ;   in Loop: Header=BB630_15 Depth=1
	v_and_b32_e32 v34, 7, v30
	v_ffbh_u32_e32 v42, v34
	v_min_u32_e32 v44, 32, v42
	v_subrev_u32_e32 v42, 28, v44
	v_lshlrev_b64 v[42:43], v42, v[30:31]
	v_lshrrev_b32_e32 v37, 3, v32
	v_sub_u32_e32 v43, 29, v44
	v_and_b32_e32 v42, 7, v42
	v_cmp_gt_u32_e32 vcc, 8, v32
	v_cndmask_b32_e32 v32, v37, v43, vcc
	v_cndmask_b32_e32 v34, v34, v42, vcc
	v_lshlrev_b32_e32 v37, 24, v30
	v_lshlrev_b32_e32 v34, 20, v34
	v_and_b32_e32 v37, 0x80000000, v37
	v_lshl_add_u32 v32, v32, 23, v33
	v_or3_b32 v37, v37, v32, v34
.LBB630_139:                            ;   in Loop: Header=BB630_15 Depth=1
	s_or_b64 exec, exec, s[10:11]
.LBB630_140:                            ;   in Loop: Header=BB630_15 Depth=1
	s_or_b64 exec, exec, s[6:7]
.LBB630_141:                            ;   in Loop: Header=BB630_15 Depth=1
	s_or_b64 exec, exec, s[4:5]
	v_lshrrev_b16_e32 v32, 8, v30
	v_cmp_ne_u16_e32 vcc, 0, v32
	v_mov_b32_e32 v42, 0
	v_mov_b32_e32 v43, 0
	s_and_saveexec_b64 s[4:5], vcc
	s_cbranch_execz .LBB630_147
; %bb.142:                              ;   in Loop: Header=BB630_15 Depth=1
	v_cmp_ne_u16_e32 vcc, s13, v32
	v_bfrev_b32_e32 v43, 1
	s_and_saveexec_b64 s[6:7], vcc
	s_cbranch_execz .LBB630_146
; %bb.143:                              ;   in Loop: Header=BB630_15 Depth=1
	v_and_b32_e32 v34, 0x7f, v32
	v_cmp_ne_u32_e32 vcc, s14, v34
	v_mov_b32_e32 v43, 0x7f800001
	s_and_saveexec_b64 s[10:11], vcc
	s_cbranch_execz .LBB630_145
; %bb.144:                              ;   in Loop: Header=BB630_15 Depth=1
	v_and_b32_e32 v43, 7, v32
	v_ffbh_u32_e32 v44, v43
	v_min_u32_e32 v47, 32, v44
	v_subrev_u32_e32 v44, 28, v47
	v_lshlrev_b64 v[44:45], v44, v[32:33]
	v_lshrrev_b32_e32 v46, 3, v34
	v_sub_u32_e32 v32, 29, v47
	v_and_b32_e32 v44, 7, v44
	v_cmp_gt_u32_e32 vcc, 8, v34
	v_cndmask_b32_e32 v32, v46, v32, vcc
	v_cndmask_b32_e32 v34, v43, v44, vcc
	v_lshlrev_b32_e32 v43, 16, v30
	v_lshlrev_b32_e32 v34, 20, v34
	v_and_b32_e32 v43, 0x80000000, v43
	v_lshl_add_u32 v32, v32, 23, v33
	v_or3_b32 v43, v43, v32, v34
.LBB630_145:                            ;   in Loop: Header=BB630_15 Depth=1
	s_or_b64 exec, exec, s[10:11]
.LBB630_146:                            ;   in Loop: Header=BB630_15 Depth=1
	s_or_b64 exec, exec, s[6:7]
.LBB630_147:                            ;   in Loop: Header=BB630_15 Depth=1
	s_or_b64 exec, exec, s[4:5]
	v_lshrrev_b32_e32 v32, 16, v30
	v_cmp_ne_u16_sdwa s[6:7], v32, v29 src0_sel:BYTE_0 src1_sel:DWORD
	s_and_saveexec_b64 s[4:5], s[6:7]
	s_cbranch_execz .LBB630_153
; %bb.148:                              ;   in Loop: Header=BB630_15 Depth=1
	v_cmp_ne_u16_sdwa s[10:11], v32, s13 src0_sel:BYTE_0 src1_sel:DWORD
	v_bfrev_b32_e32 v42, 1
	s_and_saveexec_b64 s[6:7], s[10:11]
	s_cbranch_execz .LBB630_152
; %bb.149:                              ;   in Loop: Header=BB630_15 Depth=1
	v_bfe_u32 v34, v30, 16, 7
	v_cmp_ne_u32_e32 vcc, s14, v34
	v_mov_b32_e32 v42, 0x7f800001
	s_and_saveexec_b64 s[10:11], vcc
	s_cbranch_execz .LBB630_151
; %bb.150:                              ;   in Loop: Header=BB630_15 Depth=1
	v_and_b32_e32 v42, 7, v32
	v_ffbh_u32_e32 v44, v42
	v_min_u32_e32 v47, 32, v44
	v_subrev_u32_e32 v44, 28, v47
	v_lshlrev_b64 v[44:45], v44, v[32:33]
	v_lshrrev_b32_e32 v46, 3, v34
	v_sub_u32_e32 v45, 29, v47
	v_and_b32_e32 v44, 7, v44
	v_cmp_gt_u32_e32 vcc, 8, v34
	v_cndmask_b32_e32 v34, v46, v45, vcc
	v_cndmask_b32_e32 v42, v42, v44, vcc
	v_lshlrev_b32_e32 v32, 24, v32
	v_lshlrev_b32_e32 v42, 20, v42
	v_and_b32_e32 v32, 0x80000000, v32
	v_lshl_add_u32 v34, v34, 23, v33
	v_or3_b32 v42, v32, v34, v42
.LBB630_151:                            ;   in Loop: Header=BB630_15 Depth=1
	s_or_b64 exec, exec, s[10:11]
.LBB630_152:                            ;   in Loop: Header=BB630_15 Depth=1
	s_or_b64 exec, exec, s[6:7]
.LBB630_153:                            ;   in Loop: Header=BB630_15 Depth=1
	s_or_b64 exec, exec, s[4:5]
	v_cmp_lt_u32_e32 vcc, s15, v30
	v_mov_b32_e32 v34, 0
	v_mov_b32_e32 v44, 0
	s_and_saveexec_b64 s[4:5], vcc
	s_cbranch_execz .LBB630_159
; %bb.154:                              ;   in Loop: Header=BB630_15 Depth=1
	v_lshrrev_b32_e32 v32, 24, v30
	v_cmp_ne_u32_e32 vcc, s13, v32
	v_bfrev_b32_e32 v44, 1
	s_and_saveexec_b64 s[6:7], vcc
	s_cbranch_execz .LBB630_158
; %bb.155:                              ;   in Loop: Header=BB630_15 Depth=1
	v_bfe_u32 v30, v30, 24, 7
	v_cmp_ne_u32_e32 vcc, s14, v30
	v_mov_b32_e32 v44, 0x7f800001
	s_and_saveexec_b64 s[10:11], vcc
	s_cbranch_execz .LBB630_157
; %bb.156:                              ;   in Loop: Header=BB630_15 Depth=1
	v_and_b32_e32 v46, 7, v32
	v_ffbh_u32_e32 v44, v46
	v_min_u32_e32 v48, 32, v44
	v_subrev_u32_e32 v44, 28, v48
	v_lshlrev_b64 v[44:45], v44, v[32:33]
	v_lshrrev_b32_e32 v47, 3, v30
	v_sub_u32_e32 v45, 29, v48
	v_and_b32_e32 v44, 7, v44
	v_cmp_gt_u32_e32 vcc, 8, v30
	v_cndmask_b32_e32 v30, v47, v45, vcc
	v_cndmask_b32_e32 v44, v46, v44, vcc
	v_lshlrev_b32_e32 v32, 24, v32
	v_lshlrev_b32_e32 v44, 20, v44
	v_and_b32_e32 v32, 0x80000000, v32
	v_lshl_add_u32 v30, v30, 23, v33
	v_or3_b32 v44, v32, v30, v44
.LBB630_157:                            ;   in Loop: Header=BB630_15 Depth=1
	s_or_b64 exec, exec, s[10:11]
.LBB630_158:                            ;   in Loop: Header=BB630_15 Depth=1
	s_or_b64 exec, exec, s[6:7]
.LBB630_159:                            ;   in Loop: Header=BB630_15 Depth=1
	s_or_b64 exec, exec, s[4:5]
	v_cvt_pkrtz_f16_f32 v46, v23, v36
	v_cvt_pkrtz_f16_f32 v47, v35, v40
	;; [unrolled: 1-line block ×4, first 2 shown]
	s_waitcnt vmcnt(1)
	v_cmp_ne_u16_sdwa s[6:7], v28, v29 src0_sel:BYTE_0 src1_sel:DWORD
	v_mfma_f32_16x16x16f16 v[18:21], v[46:47], v[10:11], v[18:21]
	v_mfma_f32_16x16x16f16 v[18:21], v[36:37], v[12:13], v[18:21]
	s_and_saveexec_b64 s[4:5], s[6:7]
	s_cbranch_execz .LBB630_165
; %bb.160:                              ;   in Loop: Header=BB630_15 Depth=1
	v_cmp_ne_u16_sdwa s[10:11], v28, s13 src0_sel:BYTE_0 src1_sel:DWORD
	v_bfrev_b32_e32 v34, 1
	s_and_saveexec_b64 s[6:7], s[10:11]
	s_cbranch_execz .LBB630_164
; %bb.161:                              ;   in Loop: Header=BB630_15 Depth=1
	v_and_b32_e32 v23, 0x7f, v28
	v_cmp_ne_u32_e32 vcc, s14, v23
	v_mov_b32_e32 v34, 0x7f800001
	s_and_saveexec_b64 s[10:11], vcc
	s_cbranch_execz .LBB630_163
; %bb.162:                              ;   in Loop: Header=BB630_15 Depth=1
	v_and_b32_e32 v30, 7, v28
	v_ffbh_u32_e32 v34, v30
	v_min_u32_e32 v36, 32, v34
	v_subrev_u32_e32 v34, 28, v36
	v_lshlrev_b64 v[34:35], v34, v[28:29]
	v_lshrrev_b32_e32 v32, 3, v23
	v_sub_u32_e32 v35, 29, v36
	v_and_b32_e32 v34, 7, v34
	v_cmp_gt_u32_e32 vcc, 8, v23
	v_cndmask_b32_e32 v23, v32, v35, vcc
	v_cndmask_b32_e32 v30, v30, v34, vcc
	v_lshlrev_b32_e32 v32, 24, v28
	v_lshlrev_b32_e32 v30, 20, v30
	v_and_b32_e32 v32, 0x80000000, v32
	v_lshl_add_u32 v23, v23, 23, v33
	v_or3_b32 v34, v32, v23, v30
.LBB630_163:                            ;   in Loop: Header=BB630_15 Depth=1
	s_or_b64 exec, exec, s[10:11]
.LBB630_164:                            ;   in Loop: Header=BB630_15 Depth=1
	s_or_b64 exec, exec, s[6:7]
.LBB630_165:                            ;   in Loop: Header=BB630_15 Depth=1
	s_or_b64 exec, exec, s[4:5]
	v_lshrrev_b16_e32 v30, 8, v28
	v_cmp_ne_u16_e32 vcc, 0, v30
	v_mov_b32_e32 v23, 0
	v_mov_b32_e32 v32, 0
	s_and_saveexec_b64 s[4:5], vcc
	s_cbranch_execz .LBB630_171
; %bb.166:                              ;   in Loop: Header=BB630_15 Depth=1
	v_cmp_ne_u16_e32 vcc, s13, v30
	v_bfrev_b32_e32 v32, 1
	s_and_saveexec_b64 s[6:7], vcc
	s_cbranch_execz .LBB630_170
; %bb.167:                              ;   in Loop: Header=BB630_15 Depth=1
	v_and_b32_e32 v35, 0x7f, v30
	v_cmp_ne_u32_e32 vcc, s14, v35
	v_mov_b32_e32 v32, 0x7f800001
	s_and_saveexec_b64 s[10:11], vcc
	s_cbranch_execz .LBB630_169
; %bb.168:                              ;   in Loop: Header=BB630_15 Depth=1
	v_and_b32_e32 v32, 7, v30
	v_ffbh_u32_e32 v36, v32
	v_min_u32_e32 v42, 32, v36
	v_subrev_u32_e32 v36, 28, v42
	v_lshlrev_b64 v[36:37], v36, v[30:31]
	v_lshrrev_b32_e32 v40, 3, v35
	v_sub_u32_e32 v30, 29, v42
	v_and_b32_e32 v36, 7, v36
	v_cmp_gt_u32_e32 vcc, 8, v35
	v_cndmask_b32_e32 v30, v40, v30, vcc
	v_cndmask_b32_e32 v32, v32, v36, vcc
	v_lshlrev_b32_e32 v35, 16, v28
	v_lshlrev_b32_e32 v32, 20, v32
	v_and_b32_e32 v35, 0x80000000, v35
	v_lshl_add_u32 v30, v30, 23, v33
	v_or3_b32 v32, v35, v30, v32
.LBB630_169:                            ;   in Loop: Header=BB630_15 Depth=1
	s_or_b64 exec, exec, s[10:11]
.LBB630_170:                            ;   in Loop: Header=BB630_15 Depth=1
	s_or_b64 exec, exec, s[6:7]
.LBB630_171:                            ;   in Loop: Header=BB630_15 Depth=1
	s_or_b64 exec, exec, s[4:5]
	v_lshrrev_b32_e32 v30, 16, v28
	v_cmp_ne_u16_sdwa s[6:7], v30, v29 src0_sel:BYTE_0 src1_sel:DWORD
	s_and_saveexec_b64 s[4:5], s[6:7]
	s_cbranch_execz .LBB630_177
; %bb.172:                              ;   in Loop: Header=BB630_15 Depth=1
	v_cmp_ne_u16_sdwa s[10:11], v30, s13 src0_sel:BYTE_0 src1_sel:DWORD
	v_bfrev_b32_e32 v23, 1
	s_and_saveexec_b64 s[6:7], s[10:11]
	s_cbranch_execz .LBB630_176
; %bb.173:                              ;   in Loop: Header=BB630_15 Depth=1
	v_bfe_u32 v35, v28, 16, 7
	v_cmp_ne_u32_e32 vcc, s14, v35
	v_mov_b32_e32 v23, 0x7f800001
	s_and_saveexec_b64 s[10:11], vcc
	s_cbranch_execz .LBB630_175
; %bb.174:                              ;   in Loop: Header=BB630_15 Depth=1
	v_and_b32_e32 v23, 7, v30
	v_ffbh_u32_e32 v36, v23
	v_min_u32_e32 v42, 32, v36
	v_subrev_u32_e32 v36, 28, v42
	v_lshlrev_b64 v[36:37], v36, v[30:31]
	v_lshrrev_b32_e32 v40, 3, v35
	v_sub_u32_e32 v37, 29, v42
	v_and_b32_e32 v36, 7, v36
	v_cmp_gt_u32_e32 vcc, 8, v35
	v_cndmask_b32_e32 v35, v40, v37, vcc
	v_cndmask_b32_e32 v23, v23, v36, vcc
	v_lshlrev_b32_e32 v30, 24, v30
	v_lshlrev_b32_e32 v23, 20, v23
	v_and_b32_e32 v30, 0x80000000, v30
	v_lshl_add_u32 v35, v35, 23, v33
	v_or3_b32 v23, v30, v35, v23
.LBB630_175:                            ;   in Loop: Header=BB630_15 Depth=1
	s_or_b64 exec, exec, s[10:11]
.LBB630_176:                            ;   in Loop: Header=BB630_15 Depth=1
	s_or_b64 exec, exec, s[6:7]
.LBB630_177:                            ;   in Loop: Header=BB630_15 Depth=1
	s_or_b64 exec, exec, s[4:5]
	v_cmp_lt_u32_e32 vcc, s15, v28
	v_mov_b32_e32 v35, 0
	v_mov_b32_e32 v36, 0
	s_and_saveexec_b64 s[4:5], vcc
	s_cbranch_execz .LBB630_183
; %bb.178:                              ;   in Loop: Header=BB630_15 Depth=1
	v_lshrrev_b32_e32 v30, 24, v28
	v_cmp_ne_u32_e32 vcc, s13, v30
	v_bfrev_b32_e32 v36, 1
	s_and_saveexec_b64 s[6:7], vcc
	s_cbranch_execz .LBB630_182
; %bb.179:                              ;   in Loop: Header=BB630_15 Depth=1
	v_bfe_u32 v28, v28, 24, 7
	v_cmp_ne_u32_e32 vcc, s14, v28
	v_mov_b32_e32 v36, 0x7f800001
	s_and_saveexec_b64 s[10:11], vcc
	s_cbranch_execz .LBB630_181
; %bb.180:                              ;   in Loop: Header=BB630_15 Depth=1
	v_and_b32_e32 v40, 7, v30
	v_ffbh_u32_e32 v36, v40
	v_min_u32_e32 v43, 32, v36
	v_subrev_u32_e32 v36, 28, v43
	v_lshlrev_b64 v[36:37], v36, v[30:31]
	v_lshrrev_b32_e32 v42, 3, v28
	v_sub_u32_e32 v37, 29, v43
	v_and_b32_e32 v36, 7, v36
	v_cmp_gt_u32_e32 vcc, 8, v28
	v_cndmask_b32_e32 v28, v42, v37, vcc
	v_cndmask_b32_e32 v36, v40, v36, vcc
	v_lshlrev_b32_e32 v30, 24, v30
	v_lshlrev_b32_e32 v36, 20, v36
	v_and_b32_e32 v30, 0x80000000, v30
	v_lshl_add_u32 v28, v28, 23, v33
	v_or3_b32 v36, v30, v28, v36
.LBB630_181:                            ;   in Loop: Header=BB630_15 Depth=1
	s_or_b64 exec, exec, s[10:11]
.LBB630_182:                            ;   in Loop: Header=BB630_15 Depth=1
	s_or_b64 exec, exec, s[6:7]
.LBB630_183:                            ;   in Loop: Header=BB630_15 Depth=1
	s_or_b64 exec, exec, s[4:5]
	s_waitcnt vmcnt(0)
	v_cmp_ne_u16_sdwa s[6:7], v26, v29 src0_sel:BYTE_0 src1_sel:DWORD
	s_and_saveexec_b64 s[4:5], s[6:7]
	s_cbranch_execz .LBB630_189
; %bb.184:                              ;   in Loop: Header=BB630_15 Depth=1
	v_cmp_ne_u16_sdwa s[10:11], v26, s13 src0_sel:BYTE_0 src1_sel:DWORD
	v_bfrev_b32_e32 v35, 1
	s_and_saveexec_b64 s[6:7], s[10:11]
	s_cbranch_execz .LBB630_188
; %bb.185:                              ;   in Loop: Header=BB630_15 Depth=1
	v_and_b32_e32 v28, 0x7f, v26
	v_cmp_ne_u32_e32 vcc, s14, v28
	v_mov_b32_e32 v35, 0x7f800001
	s_and_saveexec_b64 s[10:11], vcc
	s_cbranch_execz .LBB630_187
; %bb.186:                              ;   in Loop: Header=BB630_15 Depth=1
	v_and_b32_e32 v30, 7, v26
	v_ffbh_u32_e32 v37, v30
	v_min_u32_e32 v37, 32, v37
	v_subrev_u32_e32 v40, 28, v37
	v_lshlrev_b64 v[42:43], v40, v[26:27]
	v_lshrrev_b32_e32 v35, 3, v28
	v_sub_u32_e32 v37, 29, v37
	v_and_b32_e32 v40, 7, v42
	v_cmp_gt_u32_e32 vcc, 8, v28
	v_cndmask_b32_e32 v28, v35, v37, vcc
	v_cndmask_b32_e32 v30, v30, v40, vcc
	v_lshlrev_b32_e32 v35, 24, v26
	v_lshlrev_b32_e32 v30, 20, v30
	v_and_b32_e32 v35, 0x80000000, v35
	v_lshl_add_u32 v28, v28, 23, v33
	v_or3_b32 v35, v35, v28, v30
.LBB630_187:                            ;   in Loop: Header=BB630_15 Depth=1
	s_or_b64 exec, exec, s[10:11]
.LBB630_188:                            ;   in Loop: Header=BB630_15 Depth=1
	s_or_b64 exec, exec, s[6:7]
.LBB630_189:                            ;   in Loop: Header=BB630_15 Depth=1
	s_or_b64 exec, exec, s[4:5]
	v_lshrrev_b16_e32 v28, 8, v26
	v_cmp_ne_u16_e32 vcc, 0, v28
	v_mov_b32_e32 v30, 0
	v_mov_b32_e32 v37, 0
	s_and_saveexec_b64 s[4:5], vcc
	s_cbranch_execz .LBB630_195
; %bb.190:                              ;   in Loop: Header=BB630_15 Depth=1
	v_cmp_ne_u16_e32 vcc, s13, v28
	v_bfrev_b32_e32 v37, 1
	s_and_saveexec_b64 s[6:7], vcc
	s_cbranch_execz .LBB630_194
; %bb.191:                              ;   in Loop: Header=BB630_15 Depth=1
	v_and_b32_e32 v40, 0x7f, v28
	v_cmp_ne_u32_e32 vcc, s14, v40
	v_mov_b32_e32 v37, 0x7f800001
	s_and_saveexec_b64 s[10:11], vcc
	s_cbranch_execz .LBB630_193
; %bb.192:                              ;   in Loop: Header=BB630_15 Depth=1
	v_and_b32_e32 v37, 7, v28
	v_ffbh_u32_e32 v42, v37
	v_min_u32_e32 v45, 32, v42
	v_subrev_u32_e32 v42, 28, v45
	v_lshlrev_b64 v[42:43], v42, v[28:29]
	v_lshrrev_b32_e32 v44, 3, v40
	v_sub_u32_e32 v28, 29, v45
	v_and_b32_e32 v42, 7, v42
	v_cmp_gt_u32_e32 vcc, 8, v40
	v_cndmask_b32_e32 v28, v44, v28, vcc
	v_cndmask_b32_e32 v37, v37, v42, vcc
	v_lshlrev_b32_e32 v40, 16, v26
	v_lshlrev_b32_e32 v37, 20, v37
	v_and_b32_e32 v40, 0x80000000, v40
	v_lshl_add_u32 v28, v28, 23, v33
	v_or3_b32 v37, v40, v28, v37
.LBB630_193:                            ;   in Loop: Header=BB630_15 Depth=1
	s_or_b64 exec, exec, s[10:11]
.LBB630_194:                            ;   in Loop: Header=BB630_15 Depth=1
	s_or_b64 exec, exec, s[6:7]
.LBB630_195:                            ;   in Loop: Header=BB630_15 Depth=1
	s_or_b64 exec, exec, s[4:5]
	v_lshrrev_b32_e32 v28, 16, v26
	v_cmp_ne_u16_sdwa s[6:7], v28, v29 src0_sel:BYTE_0 src1_sel:DWORD
	s_and_saveexec_b64 s[4:5], s[6:7]
	s_cbranch_execz .LBB630_201
; %bb.196:                              ;   in Loop: Header=BB630_15 Depth=1
	v_cmp_ne_u16_sdwa s[10:11], v28, s13 src0_sel:BYTE_0 src1_sel:DWORD
	v_bfrev_b32_e32 v30, 1
	s_and_saveexec_b64 s[6:7], s[10:11]
	s_cbranch_execz .LBB630_200
; %bb.197:                              ;   in Loop: Header=BB630_15 Depth=1
	v_bfe_u32 v40, v26, 16, 7
	v_cmp_ne_u32_e32 vcc, s14, v40
	v_mov_b32_e32 v30, 0x7f800001
	s_and_saveexec_b64 s[10:11], vcc
	s_cbranch_execz .LBB630_199
; %bb.198:                              ;   in Loop: Header=BB630_15 Depth=1
	v_and_b32_e32 v30, 7, v28
	v_ffbh_u32_e32 v42, v30
	v_min_u32_e32 v45, 32, v42
	v_subrev_u32_e32 v42, 28, v45
	v_lshlrev_b64 v[42:43], v42, v[28:29]
	v_lshrrev_b32_e32 v44, 3, v40
	v_sub_u32_e32 v43, 29, v45
	v_and_b32_e32 v42, 7, v42
	v_cmp_gt_u32_e32 vcc, 8, v40
	v_cndmask_b32_e32 v40, v44, v43, vcc
	v_cndmask_b32_e32 v30, v30, v42, vcc
	v_lshlrev_b32_e32 v28, 24, v28
	v_lshlrev_b32_e32 v30, 20, v30
	v_and_b32_e32 v28, 0x80000000, v28
	v_lshl_add_u32 v40, v40, 23, v33
	v_or3_b32 v30, v28, v40, v30
.LBB630_199:                            ;   in Loop: Header=BB630_15 Depth=1
	s_or_b64 exec, exec, s[10:11]
.LBB630_200:                            ;   in Loop: Header=BB630_15 Depth=1
	s_or_b64 exec, exec, s[6:7]
.LBB630_201:                            ;   in Loop: Header=BB630_15 Depth=1
	s_or_b64 exec, exec, s[4:5]
	v_cmp_lt_u32_e32 vcc, s15, v26
	v_mov_b32_e32 v40, 0
	s_and_saveexec_b64 s[4:5], vcc
	s_cbranch_execz .LBB630_14
; %bb.202:                              ;   in Loop: Header=BB630_15 Depth=1
	v_lshrrev_b32_e32 v28, 24, v26
	v_cmp_ne_u32_e32 vcc, s13, v28
	v_bfrev_b32_e32 v40, 1
	s_and_saveexec_b64 s[6:7], vcc
	s_cbranch_execz .LBB630_13
; %bb.203:                              ;   in Loop: Header=BB630_15 Depth=1
	v_bfe_u32 v26, v26, 24, 7
	v_cmp_ne_u32_e32 vcc, s14, v26
	v_mov_b32_e32 v40, 0x7f800001
	s_and_saveexec_b64 s[10:11], vcc
	s_cbranch_execz .LBB630_12
; %bb.204:                              ;   in Loop: Header=BB630_15 Depth=1
	v_and_b32_e32 v40, 7, v28
	v_ffbh_u32_e32 v42, v40
	v_min_u32_e32 v45, 32, v42
	v_subrev_u32_e32 v42, 28, v45
	v_lshlrev_b64 v[42:43], v42, v[28:29]
	v_lshrrev_b32_e32 v44, 3, v26
	v_sub_u32_e32 v43, 29, v45
	v_and_b32_e32 v42, 7, v42
	v_cmp_gt_u32_e32 vcc, 8, v26
	v_cndmask_b32_e32 v26, v44, v43, vcc
	v_cndmask_b32_e32 v40, v40, v42, vcc
	v_lshlrev_b32_e32 v28, 24, v28
	v_lshlrev_b32_e32 v40, 20, v40
	v_and_b32_e32 v28, 0x80000000, v28
	v_lshl_add_u32 v26, v26, 23, v33
	v_or3_b32 v40, v28, v26, v40
	s_branch .LBB630_12
.LBB630_205:
	buffer_load_dword v13, off, s[0:3], 0 offset:256
	buffer_load_dword v14, off, s[0:3], 0 offset:260
	;; [unrolled: 1-line block ×16, first 2 shown]
	v_and_b32_e32 v12, 0xc0, v0
	v_add_u32_e32 v12, s20, v12
	v_lshl_or_b32 v12, v1, 2, v12
	v_or_b32_e32 v23, 1, v12
	v_mov_b32_e32 v19, 0xff7fffff
	v_or_b32_e32 v24, 2, v12
	v_or_b32_e32 v25, 3, v12
	v_cmp_gt_i32_e64 s[26:27], s33, v12
	v_cmp_gt_i32_e64 s[28:29], s33, v23
	s_mov_b32 s52, 0xff7fffff
	v_or_b32_e32 v26, 16, v12
	v_or_b32_e32 v27, 17, v12
	;; [unrolled: 1-line block ×12, first 2 shown]
	v_cmp_gt_i32_e64 s[30:31], s33, v24
	v_cmp_gt_i32_e64 s[34:35], s33, v25
	v_mbcnt_lo_u32_b32 v20, -1, 0
	v_cmp_gt_i32_e64 s[36:37], s33, v26
	v_cmp_gt_i32_e64 s[38:39], s33, v27
	v_mbcnt_hi_u32_b32 v20, -1, v20
	v_cmp_gt_i32_e64 s[20:21], s33, v28
	v_cmp_gt_i32_e64 s[22:23], s33, v29
	v_and_b32_e32 v21, 64, v20
	v_cmp_gt_i32_e64 s[16:17], s33, v30
	v_cmp_gt_i32_e64 s[18:19], s33, v31
	v_xor_b32_e32 v22, 32, v20
	v_add_u32_e32 v21, 64, v21
	v_cmp_gt_i32_e64 s[12:13], s33, v32
	v_cmp_gt_i32_e64 s[14:15], s33, v33
	v_cmp_lt_i32_e32 vcc, v22, v21
	v_cmp_gt_i32_e64 s[6:7], s33, v34
	v_cmp_gt_i32_e64 s[10:11], s33, v35
	v_cndmask_b32_e32 v22, v20, v22, vcc
	v_cmp_gt_i32_e32 vcc, s33, v36
	v_cmp_gt_i32_e64 s[4:5], s33, v37
	v_lshlrev_b32_e32 v22, 2, v22
	s_waitcnt vmcnt(15)
	v_cndmask_b32_e64 v12, v19, v13, s[26:27]
	s_waitcnt vmcnt(14)
	v_cndmask_b32_e64 v23, v19, v14, s[28:29]
	;; [unrolled: 2-line block ×4, first 2 shown]
	v_max3_f32 v12, v12, s52, v23
	s_waitcnt vmcnt(11)
	v_cndmask_b32_e64 v26, v19, v17, s[36:37]
	s_waitcnt vmcnt(10)
	v_cndmask_b32_e64 v27, v19, v18, s[38:39]
	v_max3_f32 v12, v12, v24, v25
	s_waitcnt vmcnt(9)
	v_cndmask_b32_e64 v28, v19, v11, s[20:21]
	s_waitcnt vmcnt(8)
	v_cndmask_b32_e64 v29, v19, v10, s[22:23]
	;; [unrolled: 5-line block ×5, first 2 shown]
	v_max3_f32 v12, v12, v32, v33
	s_waitcnt vmcnt(1)
	v_cndmask_b32_e32 v36, v19, v3, vcc
	s_waitcnt vmcnt(0)
	v_cndmask_b32_e64 v19, v19, v2, s[4:5]
	v_max3_f32 v12, v12, v34, v35
	v_max3_f32 v12, v12, v36, v19
	ds_bpermute_b32 v19, v22, v12
	v_xor_b32_e32 v23, 16, v20
	v_cmp_lt_i32_e64 s[40:41], v23, v21
	v_cndmask_b32_e64 v20, v20, v23, s[40:41]
	v_lshlrev_b32_e32 v20, 2, v20
	s_waitcnt lgkmcnt(0)
	v_max_f32_e32 v19, v19, v19
	v_max_f32_e32 v12, v12, v19
	ds_bpermute_b32 v19, v20, v12
	s_waitcnt lgkmcnt(0)
	v_max_f32_e32 v19, v19, v19
	v_max_f32_e32 v12, v12, v19
	v_sub_f32_e32 v13, v13, v12
	v_sub_f32_e32 v14, v14, v12
	;; [unrolled: 1-line block ×3, first 2 shown]
	v_mul_f32_e32 v13, 0x3fb8aa3b, v13
	v_mul_f32_e32 v14, 0x3fb8aa3b, v14
	;; [unrolled: 1-line block ×3, first 2 shown]
	v_exp_f32_e32 v13, v13
	v_exp_f32_e32 v14, v14
	;; [unrolled: 1-line block ×3, first 2 shown]
	v_sub_f32_e32 v16, v16, v12
	v_cndmask_b32_e64 v13, 0, v13, s[26:27]
	v_mul_f32_e32 v16, 0x3fb8aa3b, v16
	v_cndmask_b32_e64 v14, 0, v14, s[28:29]
	v_cndmask_b32_e64 v15, 0, v15, s[30:31]
	v_add_f32_e32 v19, 0, v13
	buffer_store_dword v13, off, s[0:3], 0 offset:256
	buffer_store_dword v14, off, s[0:3], 0 offset:260
	;; [unrolled: 1-line block ×3, first 2 shown]
	v_sub_f32_e32 v13, v17, v12
	v_exp_f32_e32 v16, v16
	v_add_f32_e32 v19, v19, v14
	v_mul_f32_e32 v13, 0x3fb8aa3b, v13
	v_sub_f32_e32 v14, v18, v12
	v_exp_f32_e32 v13, v13
	v_mul_f32_e32 v14, 0x3fb8aa3b, v14
	v_sub_f32_e32 v11, v11, v12
	v_exp_f32_e32 v14, v14
	;; [unrolled: 3-line block ×3, first 2 shown]
	v_mul_f32_e32 v10, 0x3fb8aa3b, v10
	v_sub_f32_e32 v9, v9, v12
	v_cndmask_b32_e64 v16, 0, v16, s[34:35]
	v_add_f32_e32 v19, v19, v15
	v_exp_f32_e32 v10, v10
	v_mul_f32_e32 v9, 0x3fb8aa3b, v9
	v_sub_f32_e32 v8, v8, v12
	v_add_f32_e32 v19, v19, v16
	v_cndmask_b32_e64 v13, 0, v13, s[36:37]
	v_exp_f32_e32 v9, v9
	v_mul_f32_e32 v8, 0x3fb8aa3b, v8
	v_sub_f32_e32 v7, v7, v12
	v_add_f32_e32 v15, v19, v13
	v_cndmask_b32_e64 v14, 0, v14, s[38:39]
	;; [unrolled: 5-line block ×5, first 2 shown]
	v_exp_f32_e32 v5, v5
	v_mul_f32_e32 v4, 0x3fb8aa3b, v4
	v_sub_f32_e32 v3, v3, v12
	buffer_store_dword v16, off, s[0:3], 0 offset:268
	buffer_store_dword v13, off, s[0:3], 0 offset:272
	;; [unrolled: 1-line block ×5, first 2 shown]
	v_add_f32_e32 v10, v15, v9
	v_cndmask_b32_e64 v8, 0, v8, s[18:19]
	v_exp_f32_e32 v4, v4
	v_mul_f32_e32 v3, 0x3fb8aa3b, v3
	v_sub_f32_e32 v2, v2, v12
	v_add_f32_e32 v10, v10, v8
	v_cndmask_b32_e64 v7, 0, v7, s[12:13]
	v_exp_f32_e32 v3, v3
	v_mul_f32_e32 v2, 0x3fb8aa3b, v2
	v_add_f32_e32 v10, v10, v7
	v_cndmask_b32_e64 v6, 0, v6, s[14:15]
	v_exp_f32_e32 v2, v2
	v_add_f32_e32 v10, v10, v6
	v_cndmask_b32_e64 v5, 0, v5, s[6:7]
	buffer_store_dword v9, off, s[0:3], 0 offset:288
	buffer_store_dword v8, off, s[0:3], 0 offset:292
	;; [unrolled: 1-line block ×4, first 2 shown]
	v_add_f32_e32 v6, v10, v5
	v_cndmask_b32_e64 v4, 0, v4, s[10:11]
	v_add_f32_e32 v6, v6, v4
	v_cndmask_b32_e32 v3, 0, v3, vcc
	v_add_f32_e32 v6, v6, v3
	v_cndmask_b32_e64 v2, 0, v2, s[4:5]
	v_add_f32_e32 v6, v6, v2
	ds_bpermute_b32 v7, v22, v6
	buffer_store_dword v5, off, s[0:3], 0 offset:304
	buffer_store_dword v4, off, s[0:3], 0 offset:308
	;; [unrolled: 1-line block ×4, first 2 shown]
	v_cmp_gt_u32_e64 s[4:5], 16, v38
	s_waitcnt lgkmcnt(0)
	s_barrier
	v_add_f32_e32 v2, v6, v7
	ds_bpermute_b32 v3, v20, v2
	s_waitcnt lgkmcnt(0)
	s_and_saveexec_b64 s[6:7], s[4:5]
	s_cbranch_execz .LBB630_207
; %bb.206:
	v_add_f32_e32 v2, v2, v3
	v_lshlrev_b32_e32 v3, 2, v63
	ds_write2st64_b32 v3, v12, v2 offset1:1
.LBB630_207:
	s_or_b64 exec, exec, s[6:7]
	v_lshlrev_b32_e32 v2, 2, v55
	s_waitcnt lgkmcnt(0)
	s_barrier
	ds_read2_b32 v[12:13], v2 offset1:16
	ds_read2_b32 v[14:15], v2 offset0:32 offset1:48
	ds_read2_b32 v[6:7], v2 offset0:64 offset1:80
	;; [unrolled: 1-line block ×3, first 2 shown]
	s_waitcnt lgkmcnt(0)
	s_barrier
	buffer_load_dword v20, off, s[0:3], 0 offset:256
	buffer_load_dword v21, off, s[0:3], 0 offset:260
	;; [unrolled: 1-line block ×16, first 2 shown]
	v_lshlrev_b32_e32 v19, 3, v1
	v_lshlrev_b32_e32 v18, 5, v55
	;; [unrolled: 1-line block ×3, first 2 shown]
	v_or3_b32 v43, v28, v18, v19
	v_max3_f32 v19, v12, s52, v13
	v_max3_f32 v19, v19, v14, v15
	v_sub_f32_e32 v12, v12, v19
	v_sub_f32_e32 v13, v13, v19
	v_mul_f32_e32 v12, 0x3fb8aa3b, v12
	v_sub_f32_e32 v14, v14, v19
	v_mul_f32_e32 v13, 0x3fb8aa3b, v13
	v_exp_f32_e32 v12, v12
	v_sub_f32_e32 v15, v15, v19
	v_mul_f32_e32 v14, 0x3fb8aa3b, v14
	v_exp_f32_e32 v13, v13
	v_mul_f32_e32 v15, 0x3fb8aa3b, v15
	v_exp_f32_e32 v14, v14
	v_exp_f32_e32 v15, v15
	v_fma_f32 v6, v12, v6, 0
	v_fmac_f32_e32 v6, v13, v7
	v_fmac_f32_e32 v6, v14, v10
	;; [unrolled: 1-line block ×3, first 2 shown]
	v_cmp_eq_u32_e32 vcc, 1, v62
	v_add_f32_e32 v10, 0x358637bd, v6
	v_cndmask_b32_e32 v12, v12, v13, vcc
	v_cmp_eq_u32_e32 vcc, 2, v62
	v_div_scale_f32 v11, s[6:7], v10, v10, 1.0
	v_cndmask_b32_e32 v7, v12, v14, vcc
	v_rcp_f32_e32 v12, v11
	v_cmp_eq_u32_e32 vcc, 3, v62
	v_cndmask_b32_e32 v7, v7, v15, vcc
	v_div_scale_f32 v13, vcc, 1.0, v10, 1.0
	v_fma_f32 v14, -v11, v12, 1.0
	v_fmac_f32_e32 v12, v14, v12
	v_mul_f32_e32 v14, v13, v12
	v_fma_f32 v15, -v11, v14, v13
	v_fmac_f32_e32 v14, v15, v12
	v_fma_f32 v11, -v11, v14, v13
	v_div_fmas_f32 v11, v11, v12, v14
	v_div_fixup_f32 v10, v11, v10, 1.0
	v_mul_f32_e32 v10, v7, v10
	s_mul_i32 s20, s51, 9
	v_cmp_gt_u32_e32 vcc, 9, v0
	s_waitcnt vmcnt(14)
	v_pk_mul_f32 v[14:15], v[10:11], v[20:21] op_sel_hi:[0,1]
	v_cvt_f16_f32_e32 v7, v14
	s_waitcnt vmcnt(12)
	v_pk_mul_f32 v[12:13], v[10:11], v[22:23] op_sel_hi:[0,1]
	buffer_store_dword v14, off, s[0:3], 0 offset:256
	buffer_store_dword v15, off, s[0:3], 0 offset:260
	;; [unrolled: 1-line block ×3, first 2 shown]
	s_waitcnt vmcnt(13)
	v_pk_mul_f32 v[20:21], v[10:11], v[24:25] op_sel_hi:[0,1]
	v_cvt_f16_f32_e32 v14, v12
	s_waitcnt vmcnt(11)
	v_pk_mul_f32 v[22:23], v[10:11], v[26:27] op_sel_hi:[0,1]
	v_cvt_f16_f32_e32 v11, v15
	v_cvt_f16_f32_e32 v15, v13
	buffer_store_dword v13, off, s[0:3], 0 offset:268
	buffer_store_dword v22, off, s[0:3], 0 offset:272
	;; [unrolled: 1-line block ×3, first 2 shown]
	v_pack_b32_f16 v12, v7, v11
	v_cvt_f16_f32_e32 v11, v23
	v_pack_b32_f16 v13, v14, v15
	v_cvt_f16_f32_e32 v7, v22
	v_cvt_f16_f32_e32 v15, v20
	v_cvt_f16_f32_e32 v22, v21
	s_waitcnt vmcnt(12)
	v_pk_mul_f32 v[4:5], v[10:11], v[4:5] op_sel_hi:[0,1]
	v_pack_b32_f16 v14, v7, v11
	s_waitcnt vmcnt(10)
	v_pk_mul_f32 v[2:3], v[10:11], v[2:3] op_sel_hi:[0,1]
	v_pack_b32_f16 v15, v15, v22
	v_cvt_f16_f32_e32 v11, v5
	buffer_store_dword v20, off, s[0:3], 0 offset:280
	buffer_store_dword v21, off, s[0:3], 0 offset:284
	ds_write2st64_b64 v43, v[12:13], v[14:15] offset1:1
	buffer_store_dword v2, off, s[0:3], 0 offset:288
	buffer_store_dword v3, off, s[0:3], 0 offset:292
	v_cvt_f16_f32_e32 v2, v2
	v_cvt_f16_f32_e32 v3, v3
	;; [unrolled: 1-line block ×3, first 2 shown]
	buffer_store_dword v4, off, s[0:3], 0 offset:296
	buffer_store_dword v5, off, s[0:3], 0 offset:300
	s_waitcnt vmcnt(12)
	v_pk_mul_f32 v[4:5], v[10:11], v[16:17] op_sel_hi:[0,1]
	v_pk_mul_f32 v[8:9], v[10:11], v[8:9] op_sel_hi:[0,1]
	v_pack_b32_f16 v2, v2, v3
	v_pack_b32_f16 v3, v7, v11
	buffer_store_dword v8, off, s[0:3], 0 offset:304
	buffer_store_dword v9, off, s[0:3], 0 offset:308
	v_cvt_f16_f32_e32 v7, v8
	v_cvt_f16_f32_e32 v8, v9
	;; [unrolled: 1-line block ×4, first 2 shown]
	buffer_store_dword v4, off, s[0:3], 0 offset:312
	buffer_store_dword v5, off, s[0:3], 0 offset:316
	v_pack_b32_f16 v4, v7, v8
	v_pack_b32_f16 v5, v9, v10
	ds_write2st64_b64 v43, v[2:3], v[4:5] offset0:2 offset1:3
	s_and_saveexec_b64 s[6:7], vcc
	s_cbranch_execz .LBB630_209
; %bb.208:
	v_add_co_u32_e32 v4, vcc, s25, v55
	v_addc_co_u32_e64 v5, s[10:11], 0, 0, vcc
	v_mov_b32_e32 v2, s20
	v_mov_b32_e32 v3, 0
	v_mad_u64_u32 v[4:5], s[10:11], s8, v2, v[4:5]
	v_mov_b32_e32 v2, s24
	s_mul_i32 s9, s9, s20
	v_mad_u64_u32 v[2:3], s[10:11], v4, s50, v[2:3]
	v_add_u32_e32 v5, s9, v5
	v_mov_b32_e32 v4, v3
	v_mad_u64_u32 v[4:5], s[10:11], v5, s50, v[4:5]
	v_mov_b32_e32 v3, v4
	v_lshlrev_b64 v[2:3], 2, v[2:3]
	v_mov_b32_e32 v5, s47
	v_add_co_u32_e32 v4, vcc, s46, v2
	v_addc_co_u32_e32 v5, vcc, v5, v3, vcc
	global_store_dword v[4:5], v19, off
	v_mov_b32_e32 v4, s45
	v_add_co_u32_e32 v2, vcc, s44, v2
	v_addc_co_u32_e32 v3, vcc, v4, v3, vcc
	global_store_dword v[2:3], v6, off
.LBB630_209:
	s_or_b64 exec, exec, s[6:7]
	v_lshl_or_b32 v30, v1, 9, v18
	s_waitcnt lgkmcnt(0)
	s_barrier
	s_load_dword s6, s[42:43], 0x0
	ds_read_b128 v[2:5], v30
	ds_read_b128 v[6:9], v30 offset:16
	ds_read_b128 v[10:13], v30 offset:2048
	;; [unrolled: 1-line block ×7, first 2 shown]
	v_mov_b32_e32 v35, 0x80
	v_mov_b32_e32 v45, 0x140
	s_mov_b64 s[12:13], -1
	s_waitcnt lgkmcnt(0)
	s_mov_b32 s7, s6
	s_mov_b32 s10, s6
	s_mov_b32 s11, s6
	s_movk_i32 s9, 0x80
	s_movk_i32 s21, 0x7f
	s_mov_b32 s22, 0xffffff
	v_mov_b32_e32 v47, 0
	v_bfrev_b32_e32 v48, 60
	s_branch .LBB630_213
.LBB630_210:                            ;   in Loop: Header=BB630_213 Depth=1
	s_or_b64 exec, exec, s[18:19]
.LBB630_211:                            ;   in Loop: Header=BB630_213 Depth=1
	s_or_b64 exec, exec, s[16:17]
.LBB630_212:                            ;   in Loop: Header=BB630_213 Depth=1
	s_or_b64 exec, exec, s[14:15]
	v_cvt_pkrtz_f16_f32 v60, v46, v49
	v_cvt_pkrtz_f16_f32 v61, v44, v51
	s_xor_b64 s[14:15], s[12:13], -1
	s_mov_b64 s[12:13], 0
	v_mov_b32_e32 v59, v58
	v_mfma_f32_16x16x16f16 v[62:65], v[60:61], v[30:31], v[34:37]
	v_mov_b32_e32 v61, v41
	v_mov_b32_e32 v60, v57
	s_and_b64 vcc, exec, s[14:15]
	s_nop 3
	v_cvt_pkrtz_f16_f32 v36, v50, v52
	v_cvt_pkrtz_f16_f32 v37, v42, v53
	v_mov_b32_e32 v35, v39
	s_nop 0
	v_mfma_f32_16x16x16f16 v[50:53], v[36:37], v[32:33], v[62:65]
	s_nop 7
	s_nop 2
	v_pk_mul_f32 v[50:51], v[50:51], s[6:7]
	v_pk_mul_f32 v[36:37], v[52:53], s[10:11]
	v_cvt_f16_f32_e32 v34, v50
	v_cvt_f16_f32_e32 v38, v51
	;; [unrolled: 1-line block ×4, first 2 shown]
	v_pack_b32_f16 v34, v34, v38
	v_pack_b32_f16 v36, v36, v37
	buffer_store_dword v34, v45, s[0:3], 0 offen
	buffer_store_dword v36, v45, s[0:3], 0 offen offset:4
	v_mov_b32_e32 v45, 0x148
	s_cbranch_vccnz .LBB630_595
.LBB630_213:                            ; =>This Inner Loop Header: Depth=1
	buffer_load_dword v36, v35, s[0:3], 0 offen
	buffer_load_dword v34, v35, s[0:3], 0 offen offset:4
	buffer_load_dword v40, v35, s[0:3], 0 offen offset:8
	;; [unrolled: 1-line block ×3, first 2 shown]
	v_mov_b32_e32 v35, 0
	s_waitcnt vmcnt(3)
	v_cmp_ne_u16_sdwa s[16:17], v36, v47 src0_sel:BYTE_0 src1_sel:DWORD
	s_and_saveexec_b64 s[14:15], s[16:17]
	s_cbranch_execz .LBB630_219
; %bb.214:                              ;   in Loop: Header=BB630_213 Depth=1
	v_cmp_ne_u16_sdwa s[18:19], v36, s9 src0_sel:BYTE_0 src1_sel:DWORD
	v_bfrev_b32_e32 v35, 1
	s_and_saveexec_b64 s[16:17], s[18:19]
	s_cbranch_execz .LBB630_218
; %bb.215:                              ;   in Loop: Header=BB630_213 Depth=1
	v_and_b32_e32 v37, 0x7f, v36
	v_cmp_ne_u32_e32 vcc, s21, v37
	v_mov_b32_e32 v35, 0x7f800001
	s_and_saveexec_b64 s[18:19], vcc
	s_cbranch_execz .LBB630_217
; %bb.216:                              ;   in Loop: Header=BB630_213 Depth=1
	v_and_b32_e32 v35, 7, v36
	v_ffbh_u32_e32 v44, v35
	v_min_u32_e32 v44, 32, v44
	v_subrev_u32_e32 v46, 28, v44
	v_lshlrev_b64 v[50:51], v46, v[36:37]
	v_lshrrev_b32_e32 v42, 3, v37
	v_sub_u32_e32 v44, 29, v44
	v_and_b32_e32 v46, 7, v50
	v_cmp_gt_u32_e32 vcc, 8, v37
	v_cndmask_b32_e32 v37, v42, v44, vcc
	v_cndmask_b32_e32 v35, v35, v46, vcc
	v_lshlrev_b32_e32 v42, 24, v36
	v_lshlrev_b32_e32 v35, 20, v35
	v_and_b32_e32 v42, 0x80000000, v42
	v_lshl_add_u32 v37, v37, 23, v48
	v_or3_b32 v35, v42, v37, v35
.LBB630_217:                            ;   in Loop: Header=BB630_213 Depth=1
	s_or_b64 exec, exec, s[18:19]
.LBB630_218:                            ;   in Loop: Header=BB630_213 Depth=1
	s_or_b64 exec, exec, s[16:17]
.LBB630_219:                            ;   in Loop: Header=BB630_213 Depth=1
	s_or_b64 exec, exec, s[14:15]
	v_lshrrev_b16_e32 v42, 8, v36
	v_cmp_ne_u16_e32 vcc, 0, v42
	v_mov_b32_e32 v37, 0
	s_and_saveexec_b64 s[14:15], vcc
	s_cbranch_execz .LBB630_225
; %bb.220:                              ;   in Loop: Header=BB630_213 Depth=1
	v_cmp_ne_u16_e32 vcc, s9, v42
	v_bfrev_b32_e32 v37, 1
	s_and_saveexec_b64 s[16:17], vcc
	s_cbranch_execz .LBB630_224
; %bb.221:                              ;   in Loop: Header=BB630_213 Depth=1
	v_and_b32_e32 v44, 0x7f, v42
	v_cmp_ne_u32_e32 vcc, s21, v44
	v_mov_b32_e32 v37, 0x7f800001
	s_and_saveexec_b64 s[18:19], vcc
	s_cbranch_execz .LBB630_223
; %bb.222:                              ;   in Loop: Header=BB630_213 Depth=1
	v_and_b32_e32 v37, 7, v42
	v_ffbh_u32_e32 v49, v37
	v_min_u32_e32 v49, 32, v49
	v_subrev_u32_e32 v50, 28, v49
	v_lshlrev_b64 v[50:51], v50, v[42:43]
	v_lshrrev_b32_e32 v46, 3, v44
	v_sub_u32_e32 v42, 29, v49
	v_and_b32_e32 v49, 7, v50
	v_cmp_gt_u32_e32 vcc, 8, v44
	v_cndmask_b32_e32 v42, v46, v42, vcc
	v_cndmask_b32_e32 v37, v37, v49, vcc
	v_lshlrev_b32_e32 v44, 16, v36
	v_lshlrev_b32_e32 v37, 20, v37
	v_and_b32_e32 v44, 0x80000000, v44
	v_lshl_add_u32 v42, v42, 23, v48
	v_or3_b32 v37, v44, v42, v37
.LBB630_223:                            ;   in Loop: Header=BB630_213 Depth=1
	s_or_b64 exec, exec, s[18:19]
.LBB630_224:                            ;   in Loop: Header=BB630_213 Depth=1
	s_or_b64 exec, exec, s[16:17]
.LBB630_225:                            ;   in Loop: Header=BB630_213 Depth=1
	s_or_b64 exec, exec, s[14:15]
	v_lshrrev_b32_e32 v42, 16, v36
	v_cmp_ne_u16_sdwa s[16:17], v42, v47 src0_sel:BYTE_0 src1_sel:DWORD
	v_mov_b32_e32 v46, 0
	v_mov_b32_e32 v44, 0
	s_and_saveexec_b64 s[14:15], s[16:17]
	s_cbranch_execz .LBB630_231
; %bb.226:                              ;   in Loop: Header=BB630_213 Depth=1
	v_cmp_ne_u16_sdwa s[18:19], v42, s9 src0_sel:BYTE_0 src1_sel:DWORD
	v_bfrev_b32_e32 v44, 1
	s_and_saveexec_b64 s[16:17], s[18:19]
	s_cbranch_execz .LBB630_230
; %bb.227:                              ;   in Loop: Header=BB630_213 Depth=1
	v_bfe_u32 v49, v36, 16, 7
	v_cmp_ne_u32_e32 vcc, s21, v49
	v_mov_b32_e32 v44, 0x7f800001
	s_and_saveexec_b64 s[18:19], vcc
	s_cbranch_execz .LBB630_229
; %bb.228:                              ;   in Loop: Header=BB630_213 Depth=1
	v_and_b32_e32 v44, 7, v42
	v_ffbh_u32_e32 v50, v44
	v_min_u32_e32 v53, 32, v50
	v_subrev_u32_e32 v50, 28, v53
	v_lshlrev_b64 v[50:51], v50, v[42:43]
	v_lshrrev_b32_e32 v52, 3, v49
	v_sub_u32_e32 v51, 29, v53
	v_and_b32_e32 v50, 7, v50
	v_cmp_gt_u32_e32 vcc, 8, v49
	v_cndmask_b32_e32 v49, v52, v51, vcc
	v_cndmask_b32_e32 v44, v44, v50, vcc
	v_lshlrev_b32_e32 v42, 24, v42
	v_lshlrev_b32_e32 v44, 20, v44
	v_and_b32_e32 v42, 0x80000000, v42
	v_lshl_add_u32 v49, v49, 23, v48
	v_or3_b32 v44, v42, v49, v44
.LBB630_229:                            ;   in Loop: Header=BB630_213 Depth=1
	s_or_b64 exec, exec, s[18:19]
.LBB630_230:                            ;   in Loop: Header=BB630_213 Depth=1
	s_or_b64 exec, exec, s[16:17]
.LBB630_231:                            ;   in Loop: Header=BB630_213 Depth=1
	s_or_b64 exec, exec, s[14:15]
	v_cmp_lt_u32_e32 vcc, s22, v36
	s_and_saveexec_b64 s[14:15], vcc
	s_cbranch_execz .LBB630_237
; %bb.232:                              ;   in Loop: Header=BB630_213 Depth=1
	v_lshrrev_b32_e32 v42, 24, v36
	v_cmp_ne_u32_e32 vcc, s9, v42
	v_bfrev_b32_e32 v46, 1
	s_and_saveexec_b64 s[16:17], vcc
	s_cbranch_execz .LBB630_236
; %bb.233:                              ;   in Loop: Header=BB630_213 Depth=1
	v_bfe_u32 v36, v36, 24, 7
	v_cmp_ne_u32_e32 vcc, s21, v36
	v_mov_b32_e32 v46, 0x7f800001
	s_and_saveexec_b64 s[18:19], vcc
	s_cbranch_execz .LBB630_235
; %bb.234:                              ;   in Loop: Header=BB630_213 Depth=1
	v_and_b32_e32 v46, 7, v42
	v_ffbh_u32_e32 v50, v46
	v_min_u32_e32 v52, 32, v50
	v_subrev_u32_e32 v50, 28, v52
	v_lshlrev_b64 v[50:51], v50, v[42:43]
	v_lshrrev_b32_e32 v49, 3, v36
	v_sub_u32_e32 v51, 29, v52
	v_and_b32_e32 v50, 7, v50
	v_cmp_gt_u32_e32 vcc, 8, v36
	v_cndmask_b32_e32 v36, v49, v51, vcc
	v_cndmask_b32_e32 v46, v46, v50, vcc
	v_lshlrev_b32_e32 v42, 24, v42
	v_lshlrev_b32_e32 v46, 20, v46
	v_and_b32_e32 v42, 0x80000000, v42
	v_lshl_add_u32 v36, v36, 23, v48
	v_or3_b32 v46, v42, v36, v46
.LBB630_235:                            ;   in Loop: Header=BB630_213 Depth=1
	s_or_b64 exec, exec, s[18:19]
.LBB630_236:                            ;   in Loop: Header=BB630_213 Depth=1
	s_or_b64 exec, exec, s[16:17]
.LBB630_237:                            ;   in Loop: Header=BB630_213 Depth=1
	s_or_b64 exec, exec, s[14:15]
	s_waitcnt vmcnt(2)
	v_cmp_ne_u16_sdwa s[16:17], v34, v47 src0_sel:BYTE_0 src1_sel:DWORD
	v_mov_b32_e32 v42, 0
	v_mov_b32_e32 v49, 0
	s_and_saveexec_b64 s[14:15], s[16:17]
	s_cbranch_execz .LBB630_243
; %bb.238:                              ;   in Loop: Header=BB630_213 Depth=1
	v_cmp_ne_u16_sdwa s[18:19], v34, s9 src0_sel:BYTE_0 src1_sel:DWORD
	v_bfrev_b32_e32 v49, 1
	s_and_saveexec_b64 s[16:17], s[18:19]
	s_cbranch_execz .LBB630_242
; %bb.239:                              ;   in Loop: Header=BB630_213 Depth=1
	v_and_b32_e32 v36, 0x7f, v34
	v_cmp_ne_u32_e32 vcc, s21, v36
	v_mov_b32_e32 v49, 0x7f800001
	s_and_saveexec_b64 s[18:19], vcc
	s_cbranch_execz .LBB630_241
; %bb.240:                              ;   in Loop: Header=BB630_213 Depth=1
	v_and_b32_e32 v49, 7, v34
	v_ffbh_u32_e32 v50, v49
	v_min_u32_e32 v53, 32, v50
	v_subrev_u32_e32 v50, 28, v53
	v_lshlrev_b64 v[50:51], v50, v[34:35]
	v_lshrrev_b32_e32 v52, 3, v36
	v_sub_u32_e32 v51, 29, v53
	v_and_b32_e32 v50, 7, v50
	v_cmp_gt_u32_e32 vcc, 8, v36
	v_cndmask_b32_e32 v36, v52, v51, vcc
	v_cndmask_b32_e32 v49, v49, v50, vcc
	v_lshlrev_b32_e32 v50, 24, v34
	v_lshlrev_b32_e32 v49, 20, v49
	v_and_b32_e32 v50, 0x80000000, v50
	v_lshl_add_u32 v36, v36, 23, v48
	v_or3_b32 v49, v50, v36, v49
.LBB630_241:                            ;   in Loop: Header=BB630_213 Depth=1
	s_or_b64 exec, exec, s[18:19]
.LBB630_242:                            ;   in Loop: Header=BB630_213 Depth=1
	s_or_b64 exec, exec, s[16:17]
.LBB630_243:                            ;   in Loop: Header=BB630_213 Depth=1
	s_or_b64 exec, exec, s[14:15]
	v_lshrrev_b16_e32 v36, 8, v34
	v_cmp_ne_u16_e32 vcc, 0, v36
	s_and_saveexec_b64 s[14:15], vcc
	s_cbranch_execz .LBB630_249
; %bb.244:                              ;   in Loop: Header=BB630_213 Depth=1
	v_cmp_ne_u16_e32 vcc, s9, v36
	v_bfrev_b32_e32 v42, 1
	s_and_saveexec_b64 s[16:17], vcc
	s_cbranch_execz .LBB630_248
; %bb.245:                              ;   in Loop: Header=BB630_213 Depth=1
	v_and_b32_e32 v50, 0x7f, v36
	v_cmp_ne_u32_e32 vcc, s21, v50
	v_mov_b32_e32 v42, 0x7f800001
	s_and_saveexec_b64 s[18:19], vcc
	s_cbranch_execz .LBB630_247
; %bb.246:                              ;   in Loop: Header=BB630_213 Depth=1
	v_and_b32_e32 v42, 7, v36
	v_ffbh_u32_e32 v52, v42
	v_min_u32_e32 v62, 32, v52
	v_subrev_u32_e32 v52, 28, v62
	v_lshlrev_b64 v[52:53], v52, v[36:37]
	v_lshrrev_b32_e32 v51, 3, v50
	v_sub_u32_e32 v36, 29, v62
	v_and_b32_e32 v52, 7, v52
	v_cmp_gt_u32_e32 vcc, 8, v50
	v_cndmask_b32_e32 v36, v51, v36, vcc
	v_cndmask_b32_e32 v42, v42, v52, vcc
	v_lshlrev_b32_e32 v50, 16, v34
	v_lshlrev_b32_e32 v42, 20, v42
	v_and_b32_e32 v50, 0x80000000, v50
	v_lshl_add_u32 v36, v36, 23, v48
	v_or3_b32 v42, v50, v36, v42
.LBB630_247:                            ;   in Loop: Header=BB630_213 Depth=1
	s_or_b64 exec, exec, s[18:19]
.LBB630_248:                            ;   in Loop: Header=BB630_213 Depth=1
	s_or_b64 exec, exec, s[16:17]
.LBB630_249:                            ;   in Loop: Header=BB630_213 Depth=1
	s_or_b64 exec, exec, s[14:15]
	v_lshrrev_b32_e32 v36, 16, v34
	v_cmp_ne_u16_sdwa s[16:17], v36, v47 src0_sel:BYTE_0 src1_sel:DWORD
	v_mov_b32_e32 v51, 0
	v_mov_b32_e32 v50, 0
	s_and_saveexec_b64 s[14:15], s[16:17]
	s_cbranch_execz .LBB630_255
; %bb.250:                              ;   in Loop: Header=BB630_213 Depth=1
	v_cmp_ne_u16_sdwa s[18:19], v36, s9 src0_sel:BYTE_0 src1_sel:DWORD
	v_bfrev_b32_e32 v50, 1
	s_and_saveexec_b64 s[16:17], s[18:19]
	s_cbranch_execz .LBB630_254
; %bb.251:                              ;   in Loop: Header=BB630_213 Depth=1
	v_bfe_u32 v52, v34, 16, 7
	v_cmp_ne_u32_e32 vcc, s21, v52
	v_mov_b32_e32 v50, 0x7f800001
	s_and_saveexec_b64 s[18:19], vcc
	s_cbranch_execz .LBB630_253
; %bb.252:                              ;   in Loop: Header=BB630_213 Depth=1
	v_and_b32_e32 v50, 7, v36
	v_ffbh_u32_e32 v62, v50
	v_min_u32_e32 v64, 32, v62
	v_subrev_u32_e32 v62, 28, v64
	v_lshlrev_b64 v[62:63], v62, v[36:37]
	v_lshrrev_b32_e32 v53, 3, v52
	v_sub_u32_e32 v63, 29, v64
	v_and_b32_e32 v62, 7, v62
	v_cmp_gt_u32_e32 vcc, 8, v52
	v_cndmask_b32_e32 v52, v53, v63, vcc
	v_cndmask_b32_e32 v50, v50, v62, vcc
	v_lshlrev_b32_e32 v36, 24, v36
	v_lshlrev_b32_e32 v50, 20, v50
	v_and_b32_e32 v36, 0x80000000, v36
	v_lshl_add_u32 v52, v52, 23, v48
	v_or3_b32 v50, v36, v52, v50
.LBB630_253:                            ;   in Loop: Header=BB630_213 Depth=1
	s_or_b64 exec, exec, s[18:19]
.LBB630_254:                            ;   in Loop: Header=BB630_213 Depth=1
	s_or_b64 exec, exec, s[16:17]
.LBB630_255:                            ;   in Loop: Header=BB630_213 Depth=1
	s_or_b64 exec, exec, s[14:15]
	v_cmp_lt_u32_e32 vcc, s22, v34
	s_and_saveexec_b64 s[14:15], vcc
	s_cbranch_execz .LBB630_261
; %bb.256:                              ;   in Loop: Header=BB630_213 Depth=1
	v_lshrrev_b32_e32 v36, 24, v34
	v_cmp_ne_u32_e32 vcc, s9, v36
	v_bfrev_b32_e32 v51, 1
	s_and_saveexec_b64 s[16:17], vcc
	s_cbranch_execz .LBB630_260
; %bb.257:                              ;   in Loop: Header=BB630_213 Depth=1
	v_bfe_u32 v34, v34, 24, 7
	v_cmp_ne_u32_e32 vcc, s21, v34
	v_mov_b32_e32 v51, 0x7f800001
	s_and_saveexec_b64 s[18:19], vcc
	s_cbranch_execz .LBB630_259
; %bb.258:                              ;   in Loop: Header=BB630_213 Depth=1
	v_and_b32_e32 v51, 7, v36
	v_ffbh_u32_e32 v52, v51
	v_min_u32_e32 v63, 32, v52
	v_subrev_u32_e32 v52, 28, v63
	v_lshlrev_b64 v[52:53], v52, v[36:37]
	v_lshrrev_b32_e32 v62, 3, v34
	v_sub_u32_e32 v53, 29, v63
	v_and_b32_e32 v52, 7, v52
	v_cmp_gt_u32_e32 vcc, 8, v34
	v_cndmask_b32_e32 v34, v62, v53, vcc
	v_cndmask_b32_e32 v51, v51, v52, vcc
	v_lshlrev_b32_e32 v36, 24, v36
	v_lshlrev_b32_e32 v51, 20, v51
	v_and_b32_e32 v36, 0x80000000, v36
	v_lshl_add_u32 v34, v34, 23, v48
	v_or3_b32 v51, v36, v34, v51
.LBB630_259:                            ;   in Loop: Header=BB630_213 Depth=1
	s_or_b64 exec, exec, s[18:19]
.LBB630_260:                            ;   in Loop: Header=BB630_213 Depth=1
	s_or_b64 exec, exec, s[16:17]
.LBB630_261:                            ;   in Loop: Header=BB630_213 Depth=1
	s_or_b64 exec, exec, s[14:15]
	v_cvt_pkrtz_f16_f32 v34, v35, v37
	v_cvt_pkrtz_f16_f32 v35, v44, v46
	;; [unrolled: 1-line block ×4, first 2 shown]
	v_mov_b32_e32 v44, 0
	v_mfma_f32_16x16x16f16 v[34:37], v[34:35], v[2:3], 0
	s_waitcnt vmcnt(1)
	v_cmp_ne_u16_sdwa s[16:17], v40, v47 src0_sel:BYTE_0 src1_sel:DWORD
	v_mov_b32_e32 v46, 0
	v_mfma_f32_16x16x16f16 v[34:37], v[52:53], v[4:5], v[34:37]
	s_and_saveexec_b64 s[14:15], s[16:17]
	s_cbranch_execz .LBB630_267
; %bb.262:                              ;   in Loop: Header=BB630_213 Depth=1
	v_cmp_ne_u16_sdwa s[18:19], v40, s9 src0_sel:BYTE_0 src1_sel:DWORD
	v_bfrev_b32_e32 v46, 1
	s_and_saveexec_b64 s[16:17], s[18:19]
	s_cbranch_execz .LBB630_266
; %bb.263:                              ;   in Loop: Header=BB630_213 Depth=1
	v_and_b32_e32 v42, 0x7f, v40
	v_cmp_ne_u32_e32 vcc, s21, v42
	v_mov_b32_e32 v46, 0x7f800001
	s_and_saveexec_b64 s[18:19], vcc
	s_cbranch_execz .LBB630_265
; %bb.264:                              ;   in Loop: Header=BB630_213 Depth=1
	v_and_b32_e32 v46, 7, v40
	v_ffbh_u32_e32 v50, v46
	v_min_u32_e32 v52, 32, v50
	v_subrev_u32_e32 v50, 28, v52
	v_lshlrev_b64 v[50:51], v50, v[40:41]
	v_lshrrev_b32_e32 v49, 3, v42
	v_sub_u32_e32 v51, 29, v52
	v_and_b32_e32 v50, 7, v50
	v_cmp_gt_u32_e32 vcc, 8, v42
	v_cndmask_b32_e32 v42, v49, v51, vcc
	v_cndmask_b32_e32 v46, v46, v50, vcc
	v_lshlrev_b32_e32 v49, 24, v40
	v_lshlrev_b32_e32 v46, 20, v46
	v_and_b32_e32 v49, 0x80000000, v49
	v_lshl_add_u32 v42, v42, 23, v48
	v_or3_b32 v46, v49, v42, v46
.LBB630_265:                            ;   in Loop: Header=BB630_213 Depth=1
	s_or_b64 exec, exec, s[18:19]
.LBB630_266:                            ;   in Loop: Header=BB630_213 Depth=1
	s_or_b64 exec, exec, s[16:17]
.LBB630_267:                            ;   in Loop: Header=BB630_213 Depth=1
	s_or_b64 exec, exec, s[14:15]
	v_lshrrev_b16_e32 v42, 8, v40
	v_cmp_ne_u16_e32 vcc, 0, v42
	v_mov_b32_e32 v50, 0
	s_and_saveexec_b64 s[14:15], vcc
	s_cbranch_execz .LBB630_273
; %bb.268:                              ;   in Loop: Header=BB630_213 Depth=1
	v_cmp_ne_u16_e32 vcc, s9, v42
	v_bfrev_b32_e32 v50, 1
	s_and_saveexec_b64 s[16:17], vcc
	s_cbranch_execz .LBB630_272
; %bb.269:                              ;   in Loop: Header=BB630_213 Depth=1
	v_and_b32_e32 v49, 0x7f, v42
	v_cmp_ne_u32_e32 vcc, s21, v49
	v_mov_b32_e32 v50, 0x7f800001
	s_and_saveexec_b64 s[18:19], vcc
	s_cbranch_execz .LBB630_271
; %bb.270:                              ;   in Loop: Header=BB630_213 Depth=1
	v_and_b32_e32 v52, 7, v42
	v_ffbh_u32_e32 v50, v52
	v_min_u32_e32 v62, 32, v50
	v_subrev_u32_e32 v50, 28, v62
	v_lshlrev_b64 v[50:51], v50, v[42:43]
	v_lshrrev_b32_e32 v53, 3, v49
	v_sub_u32_e32 v42, 29, v62
	v_and_b32_e32 v50, 7, v50
	v_cmp_gt_u32_e32 vcc, 8, v49
	v_cndmask_b32_e32 v42, v53, v42, vcc
	v_cndmask_b32_e32 v49, v52, v50, vcc
	v_lshlrev_b32_e32 v50, 16, v40
	v_lshlrev_b32_e32 v49, 20, v49
	v_and_b32_e32 v50, 0x80000000, v50
	v_lshl_add_u32 v42, v42, 23, v48
	v_or3_b32 v50, v50, v42, v49
.LBB630_271:                            ;   in Loop: Header=BB630_213 Depth=1
	s_or_b64 exec, exec, s[18:19]
.LBB630_272:                            ;   in Loop: Header=BB630_213 Depth=1
	s_or_b64 exec, exec, s[16:17]
.LBB630_273:                            ;   in Loop: Header=BB630_213 Depth=1
	s_or_b64 exec, exec, s[14:15]
	v_lshrrev_b32_e32 v42, 16, v40
	v_cmp_ne_u16_sdwa s[16:17], v42, v47 src0_sel:BYTE_0 src1_sel:DWORD
	s_and_saveexec_b64 s[14:15], s[16:17]
	s_cbranch_execz .LBB630_279
; %bb.274:                              ;   in Loop: Header=BB630_213 Depth=1
	v_cmp_ne_u16_sdwa s[18:19], v42, s9 src0_sel:BYTE_0 src1_sel:DWORD
	v_bfrev_b32_e32 v44, 1
	s_and_saveexec_b64 s[16:17], s[18:19]
	s_cbranch_execz .LBB630_278
; %bb.275:                              ;   in Loop: Header=BB630_213 Depth=1
	v_bfe_u32 v49, v40, 16, 7
	v_cmp_ne_u32_e32 vcc, s21, v49
	v_mov_b32_e32 v44, 0x7f800001
	s_and_saveexec_b64 s[18:19], vcc
	s_cbranch_execz .LBB630_277
; %bb.276:                              ;   in Loop: Header=BB630_213 Depth=1
	v_and_b32_e32 v44, 7, v42
	v_ffbh_u32_e32 v52, v44
	v_min_u32_e32 v62, 32, v52
	v_subrev_u32_e32 v52, 28, v62
	v_lshlrev_b64 v[52:53], v52, v[42:43]
	v_lshrrev_b32_e32 v51, 3, v49
	v_sub_u32_e32 v53, 29, v62
	v_and_b32_e32 v52, 7, v52
	v_cmp_gt_u32_e32 vcc, 8, v49
	v_cndmask_b32_e32 v49, v51, v53, vcc
	v_cndmask_b32_e32 v44, v44, v52, vcc
	v_lshlrev_b32_e32 v42, 24, v42
	v_lshlrev_b32_e32 v44, 20, v44
	v_and_b32_e32 v42, 0x80000000, v42
	v_lshl_add_u32 v49, v49, 23, v48
	v_or3_b32 v44, v42, v49, v44
.LBB630_277:                            ;   in Loop: Header=BB630_213 Depth=1
	s_or_b64 exec, exec, s[18:19]
.LBB630_278:                            ;   in Loop: Header=BB630_213 Depth=1
	s_or_b64 exec, exec, s[16:17]
.LBB630_279:                            ;   in Loop: Header=BB630_213 Depth=1
	s_or_b64 exec, exec, s[14:15]
	v_cmp_lt_u32_e32 vcc, s22, v40
	v_mov_b32_e32 v51, 0
	v_mov_b32_e32 v52, 0
	s_and_saveexec_b64 s[14:15], vcc
	s_cbranch_execz .LBB630_285
; %bb.280:                              ;   in Loop: Header=BB630_213 Depth=1
	v_lshrrev_b32_e32 v42, 24, v40
	v_cmp_ne_u32_e32 vcc, s9, v42
	v_bfrev_b32_e32 v52, 1
	s_and_saveexec_b64 s[16:17], vcc
	s_cbranch_execz .LBB630_284
; %bb.281:                              ;   in Loop: Header=BB630_213 Depth=1
	v_bfe_u32 v40, v40, 24, 7
	v_cmp_ne_u32_e32 vcc, s21, v40
	v_mov_b32_e32 v52, 0x7f800001
	s_and_saveexec_b64 s[18:19], vcc
	s_cbranch_execz .LBB630_283
; %bb.282:                              ;   in Loop: Header=BB630_213 Depth=1
	v_and_b32_e32 v49, 7, v42
	v_ffbh_u32_e32 v52, v49
	v_min_u32_e32 v63, 32, v52
	v_subrev_u32_e32 v52, 28, v63
	v_lshlrev_b64 v[52:53], v52, v[42:43]
	v_lshrrev_b32_e32 v62, 3, v40
	v_sub_u32_e32 v53, 29, v63
	v_and_b32_e32 v52, 7, v52
	v_cmp_gt_u32_e32 vcc, 8, v40
	v_cndmask_b32_e32 v40, v62, v53, vcc
	v_cndmask_b32_e32 v49, v49, v52, vcc
	v_lshlrev_b32_e32 v42, 24, v42
	v_lshlrev_b32_e32 v49, 20, v49
	v_and_b32_e32 v42, 0x80000000, v42
	v_lshl_add_u32 v40, v40, 23, v48
	v_or3_b32 v52, v42, v40, v49
.LBB630_283:                            ;   in Loop: Header=BB630_213 Depth=1
	s_or_b64 exec, exec, s[18:19]
.LBB630_284:                            ;   in Loop: Header=BB630_213 Depth=1
	s_or_b64 exec, exec, s[16:17]
.LBB630_285:                            ;   in Loop: Header=BB630_213 Depth=1
	s_or_b64 exec, exec, s[14:15]
	s_waitcnt vmcnt(0)
	v_cmp_ne_u16_sdwa s[16:17], v38, v47 src0_sel:BYTE_0 src1_sel:DWORD
	s_and_saveexec_b64 s[14:15], s[16:17]
	s_cbranch_execz .LBB630_291
; %bb.286:                              ;   in Loop: Header=BB630_213 Depth=1
	v_cmp_ne_u16_sdwa s[18:19], v38, s9 src0_sel:BYTE_0 src1_sel:DWORD
	v_bfrev_b32_e32 v51, 1
	s_and_saveexec_b64 s[16:17], s[18:19]
	s_cbranch_execz .LBB630_290
; %bb.287:                              ;   in Loop: Header=BB630_213 Depth=1
	v_and_b32_e32 v40, 0x7f, v38
	v_cmp_ne_u32_e32 vcc, s21, v40
	v_mov_b32_e32 v51, 0x7f800001
	s_and_saveexec_b64 s[18:19], vcc
	s_cbranch_execz .LBB630_289
; %bb.288:                              ;   in Loop: Header=BB630_213 Depth=1
	v_and_b32_e32 v42, 7, v38
	v_ffbh_u32_e32 v51, v42
	v_min_u32_e32 v51, 32, v51
	v_subrev_u32_e32 v53, 28, v51
	v_lshlrev_b64 v[62:63], v53, v[38:39]
	v_lshrrev_b32_e32 v49, 3, v40
	v_sub_u32_e32 v51, 29, v51
	v_and_b32_e32 v53, 7, v62
	v_cmp_gt_u32_e32 vcc, 8, v40
	v_cndmask_b32_e32 v40, v49, v51, vcc
	v_cndmask_b32_e32 v42, v42, v53, vcc
	v_lshlrev_b32_e32 v49, 24, v38
	v_lshlrev_b32_e32 v42, 20, v42
	v_and_b32_e32 v49, 0x80000000, v49
	v_lshl_add_u32 v40, v40, 23, v48
	v_or3_b32 v51, v49, v40, v42
.LBB630_289:                            ;   in Loop: Header=BB630_213 Depth=1
	s_or_b64 exec, exec, s[18:19]
.LBB630_290:                            ;   in Loop: Header=BB630_213 Depth=1
	s_or_b64 exec, exec, s[16:17]
.LBB630_291:                            ;   in Loop: Header=BB630_213 Depth=1
	s_or_b64 exec, exec, s[14:15]
	v_lshrrev_b16_e32 v40, 8, v38
	v_cmp_ne_u16_e32 vcc, 0, v40
	v_mov_b32_e32 v53, 0
	v_mov_b32_e32 v62, 0
	s_and_saveexec_b64 s[14:15], vcc
	s_cbranch_execz .LBB630_297
; %bb.292:                              ;   in Loop: Header=BB630_213 Depth=1
	v_cmp_ne_u16_e32 vcc, s9, v40
	v_bfrev_b32_e32 v62, 1
	s_and_saveexec_b64 s[16:17], vcc
	s_cbranch_execz .LBB630_296
; %bb.293:                              ;   in Loop: Header=BB630_213 Depth=1
	v_and_b32_e32 v42, 0x7f, v40
	v_cmp_ne_u32_e32 vcc, s21, v42
	v_mov_b32_e32 v62, 0x7f800001
	s_and_saveexec_b64 s[18:19], vcc
	s_cbranch_execz .LBB630_295
; %bb.294:                              ;   in Loop: Header=BB630_213 Depth=1
	v_and_b32_e32 v49, 7, v40
	v_ffbh_u32_e32 v62, v49
	v_min_u32_e32 v65, 32, v62
	v_subrev_u32_e32 v62, 28, v65
	v_lshlrev_b64 v[62:63], v62, v[40:41]
	v_lshrrev_b32_e32 v64, 3, v42
	v_sub_u32_e32 v40, 29, v65
	v_and_b32_e32 v62, 7, v62
	v_cmp_gt_u32_e32 vcc, 8, v42
	v_cndmask_b32_e32 v40, v64, v40, vcc
	v_cndmask_b32_e32 v42, v49, v62, vcc
	v_lshlrev_b32_e32 v49, 16, v38
	v_lshlrev_b32_e32 v42, 20, v42
	v_and_b32_e32 v49, 0x80000000, v49
	v_lshl_add_u32 v40, v40, 23, v48
	v_or3_b32 v62, v49, v40, v42
.LBB630_295:                            ;   in Loop: Header=BB630_213 Depth=1
	s_or_b64 exec, exec, s[18:19]
.LBB630_296:                            ;   in Loop: Header=BB630_213 Depth=1
	s_or_b64 exec, exec, s[16:17]
.LBB630_297:                            ;   in Loop: Header=BB630_213 Depth=1
	s_or_b64 exec, exec, s[14:15]
	v_lshrrev_b32_e32 v40, 16, v38
	v_cmp_ne_u16_sdwa s[16:17], v40, v47 src0_sel:BYTE_0 src1_sel:DWORD
	s_and_saveexec_b64 s[14:15], s[16:17]
	s_cbranch_execz .LBB630_303
; %bb.298:                              ;   in Loop: Header=BB630_213 Depth=1
	v_cmp_ne_u16_sdwa s[18:19], v40, s9 src0_sel:BYTE_0 src1_sel:DWORD
	v_bfrev_b32_e32 v53, 1
	s_and_saveexec_b64 s[16:17], s[18:19]
	s_cbranch_execz .LBB630_302
; %bb.299:                              ;   in Loop: Header=BB630_213 Depth=1
	v_bfe_u32 v42, v38, 16, 7
	v_cmp_ne_u32_e32 vcc, s21, v42
	v_mov_b32_e32 v53, 0x7f800001
	s_and_saveexec_b64 s[18:19], vcc
	s_cbranch_execz .LBB630_301
; %bb.300:                              ;   in Loop: Header=BB630_213 Depth=1
	v_and_b32_e32 v49, 7, v40
	v_ffbh_u32_e32 v63, v49
	v_min_u32_e32 v63, 32, v63
	v_subrev_u32_e32 v64, 28, v63
	v_lshlrev_b64 v[64:65], v64, v[40:41]
	v_lshrrev_b32_e32 v53, 3, v42
	v_sub_u32_e32 v63, 29, v63
	v_and_b32_e32 v64, 7, v64
	v_cmp_gt_u32_e32 vcc, 8, v42
	v_cndmask_b32_e32 v42, v53, v63, vcc
	v_cndmask_b32_e32 v49, v49, v64, vcc
	v_lshlrev_b32_e32 v40, 24, v40
	v_lshlrev_b32_e32 v49, 20, v49
	v_and_b32_e32 v40, 0x80000000, v40
	v_lshl_add_u32 v42, v42, 23, v48
	v_or3_b32 v53, v40, v42, v49
.LBB630_301:                            ;   in Loop: Header=BB630_213 Depth=1
	s_or_b64 exec, exec, s[18:19]
.LBB630_302:                            ;   in Loop: Header=BB630_213 Depth=1
	s_or_b64 exec, exec, s[16:17]
.LBB630_303:                            ;   in Loop: Header=BB630_213 Depth=1
	s_or_b64 exec, exec, s[14:15]
	v_cmp_lt_u32_e32 vcc, s22, v38
	v_mov_b32_e32 v49, 0
	v_mov_b32_e32 v63, 0
	s_and_saveexec_b64 s[14:15], vcc
	s_cbranch_execz .LBB630_309
; %bb.304:                              ;   in Loop: Header=BB630_213 Depth=1
	v_lshrrev_b32_e32 v40, 24, v38
	v_cmp_ne_u32_e32 vcc, s9, v40
	v_bfrev_b32_e32 v63, 1
	s_and_saveexec_b64 s[16:17], vcc
	s_cbranch_execz .LBB630_308
; %bb.305:                              ;   in Loop: Header=BB630_213 Depth=1
	v_bfe_u32 v38, v38, 24, 7
	v_cmp_ne_u32_e32 vcc, s21, v38
	v_mov_b32_e32 v63, 0x7f800001
	s_and_saveexec_b64 s[18:19], vcc
	s_cbranch_execz .LBB630_307
; %bb.306:                              ;   in Loop: Header=BB630_213 Depth=1
	v_and_b32_e32 v42, 7, v40
	v_ffbh_u32_e32 v64, v42
	v_min_u32_e32 v66, 32, v64
	v_subrev_u32_e32 v64, 28, v66
	v_lshlrev_b64 v[64:65], v64, v[40:41]
	v_lshrrev_b32_e32 v63, 3, v38
	v_sub_u32_e32 v65, 29, v66
	v_and_b32_e32 v64, 7, v64
	v_cmp_gt_u32_e32 vcc, 8, v38
	v_cndmask_b32_e32 v38, v63, v65, vcc
	v_cndmask_b32_e32 v42, v42, v64, vcc
	v_lshlrev_b32_e32 v40, 24, v40
	v_lshlrev_b32_e32 v42, 20, v42
	v_and_b32_e32 v40, 0x80000000, v40
	v_lshl_add_u32 v38, v38, 23, v48
	v_or3_b32 v63, v40, v38, v42
.LBB630_307:                            ;   in Loop: Header=BB630_213 Depth=1
	s_or_b64 exec, exec, s[18:19]
.LBB630_308:                            ;   in Loop: Header=BB630_213 Depth=1
	s_or_b64 exec, exec, s[16:17]
.LBB630_309:                            ;   in Loop: Header=BB630_213 Depth=1
	s_or_b64 exec, exec, s[14:15]
	v_cvt_pkrtz_f16_f32 v65, v44, v52
	buffer_load_dword v44, v61, s[0:3], 0 offen
	buffer_load_dword v42, v61, s[0:3], 0 offen offset:4
	buffer_load_dword v40, v61, s[0:3], 0 offen offset:8
	;; [unrolled: 1-line block ×3, first 2 shown]
	v_cvt_pkrtz_f16_f32 v64, v46, v50
	v_cvt_pkrtz_f16_f32 v50, v51, v62
	;; [unrolled: 1-line block ×3, first 2 shown]
	v_mfma_f32_16x16x16f16 v[34:37], v[64:65], v[6:7], v[34:37]
	s_waitcnt vmcnt(3)
	v_cmp_ne_u16_sdwa s[16:17], v44, v47 src0_sel:BYTE_0 src1_sel:DWORD
	v_mfma_f32_16x16x16f16 v[34:37], v[50:51], v[8:9], v[34:37]
	s_and_saveexec_b64 s[14:15], s[16:17]
	s_cbranch_execz .LBB630_315
; %bb.310:                              ;   in Loop: Header=BB630_213 Depth=1
	v_cmp_ne_u16_sdwa s[18:19], v44, s9 src0_sel:BYTE_0 src1_sel:DWORD
	v_bfrev_b32_e32 v49, 1
	s_and_saveexec_b64 s[16:17], s[18:19]
	s_cbranch_execz .LBB630_314
; %bb.311:                              ;   in Loop: Header=BB630_213 Depth=1
	v_and_b32_e32 v46, 0x7f, v44
	v_cmp_ne_u32_e32 vcc, s21, v46
	v_mov_b32_e32 v49, 0x7f800001
	s_and_saveexec_b64 s[18:19], vcc
	s_cbranch_execz .LBB630_313
; %bb.312:                              ;   in Loop: Header=BB630_213 Depth=1
	v_and_b32_e32 v49, 7, v44
	v_ffbh_u32_e32 v50, v49
	v_min_u32_e32 v53, 32, v50
	v_subrev_u32_e32 v50, 28, v53
	v_lshlrev_b64 v[50:51], v50, v[44:45]
	v_lshrrev_b32_e32 v52, 3, v46
	v_sub_u32_e32 v51, 29, v53
	v_and_b32_e32 v50, 7, v50
	v_cmp_gt_u32_e32 vcc, 8, v46
	v_cndmask_b32_e32 v46, v52, v51, vcc
	v_cndmask_b32_e32 v49, v49, v50, vcc
	v_lshlrev_b32_e32 v50, 24, v44
	v_lshlrev_b32_e32 v49, 20, v49
	v_and_b32_e32 v50, 0x80000000, v50
	v_lshl_add_u32 v46, v46, 23, v48
	v_or3_b32 v49, v50, v46, v49
.LBB630_313:                            ;   in Loop: Header=BB630_213 Depth=1
	s_or_b64 exec, exec, s[18:19]
.LBB630_314:                            ;   in Loop: Header=BB630_213 Depth=1
	s_or_b64 exec, exec, s[16:17]
.LBB630_315:                            ;   in Loop: Header=BB630_213 Depth=1
	s_or_b64 exec, exec, s[14:15]
	v_lshrrev_b16_e32 v46, 8, v44
	v_cmp_ne_u16_e32 vcc, 0, v46
	v_mov_b32_e32 v50, 0
	v_mov_b32_e32 v51, 0
	s_and_saveexec_b64 s[14:15], vcc
	s_cbranch_execz .LBB630_321
; %bb.316:                              ;   in Loop: Header=BB630_213 Depth=1
	v_cmp_ne_u16_e32 vcc, s9, v46
	v_bfrev_b32_e32 v51, 1
	s_and_saveexec_b64 s[16:17], vcc
	s_cbranch_execz .LBB630_320
; %bb.317:                              ;   in Loop: Header=BB630_213 Depth=1
	v_and_b32_e32 v52, 0x7f, v46
	v_cmp_ne_u32_e32 vcc, s21, v52
	v_mov_b32_e32 v51, 0x7f800001
	s_and_saveexec_b64 s[18:19], vcc
	s_cbranch_execz .LBB630_319
; %bb.318:                              ;   in Loop: Header=BB630_213 Depth=1
	v_and_b32_e32 v51, 7, v46
	v_ffbh_u32_e32 v61, v51
	v_min_u32_e32 v61, 32, v61
	v_subrev_u32_e32 v62, 28, v61
	v_lshlrev_b64 v[62:63], v62, v[46:47]
	v_lshrrev_b32_e32 v53, 3, v52
	v_sub_u32_e32 v46, 29, v61
	v_and_b32_e32 v61, 7, v62
	v_cmp_gt_u32_e32 vcc, 8, v52
	v_cndmask_b32_e32 v46, v53, v46, vcc
	v_cndmask_b32_e32 v51, v51, v61, vcc
	v_lshlrev_b32_e32 v52, 16, v44
	v_lshlrev_b32_e32 v51, 20, v51
	v_and_b32_e32 v52, 0x80000000, v52
	v_lshl_add_u32 v46, v46, 23, v48
	v_or3_b32 v51, v52, v46, v51
.LBB630_319:                            ;   in Loop: Header=BB630_213 Depth=1
	s_or_b64 exec, exec, s[18:19]
.LBB630_320:                            ;   in Loop: Header=BB630_213 Depth=1
	s_or_b64 exec, exec, s[16:17]
.LBB630_321:                            ;   in Loop: Header=BB630_213 Depth=1
	s_or_b64 exec, exec, s[14:15]
	v_lshrrev_b32_e32 v46, 16, v44
	v_cmp_ne_u16_sdwa s[16:17], v46, v47 src0_sel:BYTE_0 src1_sel:DWORD
	s_and_saveexec_b64 s[14:15], s[16:17]
	s_cbranch_execz .LBB630_327
; %bb.322:                              ;   in Loop: Header=BB630_213 Depth=1
	v_cmp_ne_u16_sdwa s[18:19], v46, s9 src0_sel:BYTE_0 src1_sel:DWORD
	v_bfrev_b32_e32 v50, 1
	s_and_saveexec_b64 s[16:17], s[18:19]
	s_cbranch_execz .LBB630_326
; %bb.323:                              ;   in Loop: Header=BB630_213 Depth=1
	v_bfe_u32 v52, v44, 16, 7
	v_cmp_ne_u32_e32 vcc, s21, v52
	v_mov_b32_e32 v50, 0x7f800001
	s_and_saveexec_b64 s[18:19], vcc
	s_cbranch_execz .LBB630_325
; %bb.324:                              ;   in Loop: Header=BB630_213 Depth=1
	v_and_b32_e32 v50, 7, v46
	v_ffbh_u32_e32 v61, v50
	v_min_u32_e32 v61, 32, v61
	v_subrev_u32_e32 v62, 28, v61
	v_lshlrev_b64 v[62:63], v62, v[46:47]
	v_lshrrev_b32_e32 v53, 3, v52
	v_sub_u32_e32 v61, 29, v61
	v_and_b32_e32 v62, 7, v62
	v_cmp_gt_u32_e32 vcc, 8, v52
	v_cndmask_b32_e32 v52, v53, v61, vcc
	v_cndmask_b32_e32 v50, v50, v62, vcc
	v_lshlrev_b32_e32 v46, 24, v46
	v_lshlrev_b32_e32 v50, 20, v50
	v_and_b32_e32 v46, 0x80000000, v46
	v_lshl_add_u32 v52, v52, 23, v48
	v_or3_b32 v50, v46, v52, v50
.LBB630_325:                            ;   in Loop: Header=BB630_213 Depth=1
	s_or_b64 exec, exec, s[18:19]
.LBB630_326:                            ;   in Loop: Header=BB630_213 Depth=1
	s_or_b64 exec, exec, s[16:17]
.LBB630_327:                            ;   in Loop: Header=BB630_213 Depth=1
	s_or_b64 exec, exec, s[14:15]
	v_cmp_lt_u32_e32 vcc, s22, v44
	v_mov_b32_e32 v52, 0
	v_mov_b32_e32 v53, 0
	s_and_saveexec_b64 s[14:15], vcc
	s_cbranch_execz .LBB630_333
; %bb.328:                              ;   in Loop: Header=BB630_213 Depth=1
	v_lshrrev_b32_e32 v46, 24, v44
	v_cmp_ne_u32_e32 vcc, s9, v46
	v_bfrev_b32_e32 v53, 1
	s_and_saveexec_b64 s[16:17], vcc
	s_cbranch_execz .LBB630_332
; %bb.329:                              ;   in Loop: Header=BB630_213 Depth=1
	v_bfe_u32 v44, v44, 24, 7
	v_cmp_ne_u32_e32 vcc, s21, v44
	v_mov_b32_e32 v53, 0x7f800001
	s_and_saveexec_b64 s[18:19], vcc
	s_cbranch_execz .LBB630_331
; %bb.330:                              ;   in Loop: Header=BB630_213 Depth=1
	v_and_b32_e32 v53, 7, v46
	v_ffbh_u32_e32 v62, v53
	v_min_u32_e32 v64, 32, v62
	v_subrev_u32_e32 v62, 28, v64
	v_lshlrev_b64 v[62:63], v62, v[46:47]
	v_lshrrev_b32_e32 v61, 3, v44
	v_sub_u32_e32 v63, 29, v64
	v_and_b32_e32 v62, 7, v62
	v_cmp_gt_u32_e32 vcc, 8, v44
	v_cndmask_b32_e32 v44, v61, v63, vcc
	v_cndmask_b32_e32 v53, v53, v62, vcc
	v_lshlrev_b32_e32 v46, 24, v46
	v_lshlrev_b32_e32 v53, 20, v53
	v_and_b32_e32 v46, 0x80000000, v46
	v_lshl_add_u32 v44, v44, 23, v48
	v_or3_b32 v53, v46, v44, v53
.LBB630_331:                            ;   in Loop: Header=BB630_213 Depth=1
	s_or_b64 exec, exec, s[18:19]
.LBB630_332:                            ;   in Loop: Header=BB630_213 Depth=1
	s_or_b64 exec, exec, s[16:17]
.LBB630_333:                            ;   in Loop: Header=BB630_213 Depth=1
	s_or_b64 exec, exec, s[14:15]
	s_waitcnt vmcnt(2)
	v_cmp_ne_u16_sdwa s[16:17], v42, v47 src0_sel:BYTE_0 src1_sel:DWORD
	s_and_saveexec_b64 s[14:15], s[16:17]
	s_cbranch_execz .LBB630_339
; %bb.334:                              ;   in Loop: Header=BB630_213 Depth=1
	v_cmp_ne_u16_sdwa s[18:19], v42, s9 src0_sel:BYTE_0 src1_sel:DWORD
	v_bfrev_b32_e32 v52, 1
	s_and_saveexec_b64 s[16:17], s[18:19]
	s_cbranch_execz .LBB630_338
; %bb.335:                              ;   in Loop: Header=BB630_213 Depth=1
	v_and_b32_e32 v44, 0x7f, v42
	v_cmp_ne_u32_e32 vcc, s21, v44
	v_mov_b32_e32 v52, 0x7f800001
	s_and_saveexec_b64 s[18:19], vcc
	s_cbranch_execz .LBB630_337
; %bb.336:                              ;   in Loop: Header=BB630_213 Depth=1
	v_and_b32_e32 v46, 7, v42
	v_ffbh_u32_e32 v61, v46
	v_min_u32_e32 v61, 32, v61
	v_subrev_u32_e32 v62, 28, v61
	v_lshlrev_b64 v[62:63], v62, v[42:43]
	v_lshrrev_b32_e32 v52, 3, v44
	v_sub_u32_e32 v61, 29, v61
	v_and_b32_e32 v62, 7, v62
	v_cmp_gt_u32_e32 vcc, 8, v44
	v_cndmask_b32_e32 v44, v52, v61, vcc
	v_cndmask_b32_e32 v46, v46, v62, vcc
	v_lshlrev_b32_e32 v52, 24, v42
	v_lshlrev_b32_e32 v46, 20, v46
	v_and_b32_e32 v52, 0x80000000, v52
	v_lshl_add_u32 v44, v44, 23, v48
	v_or3_b32 v52, v52, v44, v46
.LBB630_337:                            ;   in Loop: Header=BB630_213 Depth=1
	s_or_b64 exec, exec, s[18:19]
.LBB630_338:                            ;   in Loop: Header=BB630_213 Depth=1
	s_or_b64 exec, exec, s[16:17]
.LBB630_339:                            ;   in Loop: Header=BB630_213 Depth=1
	s_or_b64 exec, exec, s[14:15]
	v_lshrrev_b16_e32 v44, 8, v42
	v_cmp_ne_u16_e32 vcc, 0, v44
	v_mov_b32_e32 v61, 0
	v_mov_b32_e32 v62, 0
	s_and_saveexec_b64 s[14:15], vcc
	s_cbranch_execz .LBB630_345
; %bb.340:                              ;   in Loop: Header=BB630_213 Depth=1
	v_cmp_ne_u16_e32 vcc, s9, v44
	v_bfrev_b32_e32 v62, 1
	s_and_saveexec_b64 s[16:17], vcc
	s_cbranch_execz .LBB630_344
; %bb.341:                              ;   in Loop: Header=BB630_213 Depth=1
	v_and_b32_e32 v46, 0x7f, v44
	v_cmp_ne_u32_e32 vcc, s21, v46
	v_mov_b32_e32 v62, 0x7f800001
	s_and_saveexec_b64 s[18:19], vcc
	s_cbranch_execz .LBB630_343
; %bb.342:                              ;   in Loop: Header=BB630_213 Depth=1
	v_and_b32_e32 v64, 7, v44
	v_ffbh_u32_e32 v62, v64
	v_min_u32_e32 v66, 32, v62
	v_subrev_u32_e32 v62, 28, v66
	v_lshlrev_b64 v[62:63], v62, v[44:45]
	v_lshrrev_b32_e32 v65, 3, v46
	v_sub_u32_e32 v44, 29, v66
	v_and_b32_e32 v62, 7, v62
	v_cmp_gt_u32_e32 vcc, 8, v46
	v_cndmask_b32_e32 v44, v65, v44, vcc
	v_cndmask_b32_e32 v46, v64, v62, vcc
	v_lshlrev_b32_e32 v62, 16, v42
	v_lshlrev_b32_e32 v46, 20, v46
	v_and_b32_e32 v62, 0x80000000, v62
	v_lshl_add_u32 v44, v44, 23, v48
	v_or3_b32 v62, v62, v44, v46
.LBB630_343:                            ;   in Loop: Header=BB630_213 Depth=1
	s_or_b64 exec, exec, s[18:19]
.LBB630_344:                            ;   in Loop: Header=BB630_213 Depth=1
	s_or_b64 exec, exec, s[16:17]
.LBB630_345:                            ;   in Loop: Header=BB630_213 Depth=1
	s_or_b64 exec, exec, s[14:15]
	v_lshrrev_b32_e32 v44, 16, v42
	v_cmp_ne_u16_sdwa s[16:17], v44, v47 src0_sel:BYTE_0 src1_sel:DWORD
	s_and_saveexec_b64 s[14:15], s[16:17]
	s_cbranch_execz .LBB630_351
; %bb.346:                              ;   in Loop: Header=BB630_213 Depth=1
	v_cmp_ne_u16_sdwa s[18:19], v44, s9 src0_sel:BYTE_0 src1_sel:DWORD
	v_bfrev_b32_e32 v61, 1
	s_and_saveexec_b64 s[16:17], s[18:19]
	s_cbranch_execz .LBB630_350
; %bb.347:                              ;   in Loop: Header=BB630_213 Depth=1
	v_bfe_u32 v46, v42, 16, 7
	v_cmp_ne_u32_e32 vcc, s21, v46
	v_mov_b32_e32 v61, 0x7f800001
	s_and_saveexec_b64 s[18:19], vcc
	s_cbranch_execz .LBB630_349
; %bb.348:                              ;   in Loop: Header=BB630_213 Depth=1
	v_and_b32_e32 v61, 7, v44
	v_ffbh_u32_e32 v64, v61
	v_min_u32_e32 v66, 32, v64
	v_subrev_u32_e32 v64, 28, v66
	v_lshlrev_b64 v[64:65], v64, v[44:45]
	v_lshrrev_b32_e32 v63, 3, v46
	v_sub_u32_e32 v65, 29, v66
	v_and_b32_e32 v64, 7, v64
	v_cmp_gt_u32_e32 vcc, 8, v46
	v_cndmask_b32_e32 v46, v63, v65, vcc
	v_cndmask_b32_e32 v61, v61, v64, vcc
	v_lshlrev_b32_e32 v44, 24, v44
	v_lshlrev_b32_e32 v61, 20, v61
	v_and_b32_e32 v44, 0x80000000, v44
	v_lshl_add_u32 v46, v46, 23, v48
	v_or3_b32 v61, v44, v46, v61
.LBB630_349:                            ;   in Loop: Header=BB630_213 Depth=1
	s_or_b64 exec, exec, s[18:19]
.LBB630_350:                            ;   in Loop: Header=BB630_213 Depth=1
	s_or_b64 exec, exec, s[16:17]
.LBB630_351:                            ;   in Loop: Header=BB630_213 Depth=1
	s_or_b64 exec, exec, s[14:15]
	v_cmp_lt_u32_e32 vcc, s22, v42
	v_mov_b32_e32 v46, 0
	v_mov_b32_e32 v63, 0
	s_and_saveexec_b64 s[14:15], vcc
	s_cbranch_execz .LBB630_357
; %bb.352:                              ;   in Loop: Header=BB630_213 Depth=1
	v_lshrrev_b32_e32 v44, 24, v42
	v_cmp_ne_u32_e32 vcc, s9, v44
	v_bfrev_b32_e32 v63, 1
	s_and_saveexec_b64 s[16:17], vcc
	s_cbranch_execz .LBB630_356
; %bb.353:                              ;   in Loop: Header=BB630_213 Depth=1
	v_bfe_u32 v42, v42, 24, 7
	v_cmp_ne_u32_e32 vcc, s21, v42
	v_mov_b32_e32 v63, 0x7f800001
	s_and_saveexec_b64 s[18:19], vcc
	s_cbranch_execz .LBB630_355
; %bb.354:                              ;   in Loop: Header=BB630_213 Depth=1
	v_and_b32_e32 v63, 7, v44
	v_ffbh_u32_e32 v64, v63
	v_min_u32_e32 v67, 32, v64
	v_subrev_u32_e32 v64, 28, v67
	v_lshlrev_b64 v[64:65], v64, v[44:45]
	v_lshrrev_b32_e32 v66, 3, v42
	v_sub_u32_e32 v65, 29, v67
	v_and_b32_e32 v64, 7, v64
	v_cmp_gt_u32_e32 vcc, 8, v42
	v_cndmask_b32_e32 v42, v66, v65, vcc
	v_cndmask_b32_e32 v63, v63, v64, vcc
	v_lshlrev_b32_e32 v44, 24, v44
	v_lshlrev_b32_e32 v63, 20, v63
	v_and_b32_e32 v44, 0x80000000, v44
	v_lshl_add_u32 v42, v42, 23, v48
	v_or3_b32 v63, v44, v42, v63
.LBB630_355:                            ;   in Loop: Header=BB630_213 Depth=1
	s_or_b64 exec, exec, s[18:19]
.LBB630_356:                            ;   in Loop: Header=BB630_213 Depth=1
	s_or_b64 exec, exec, s[16:17]
.LBB630_357:                            ;   in Loop: Header=BB630_213 Depth=1
	s_or_b64 exec, exec, s[14:15]
	v_cvt_pkrtz_f16_f32 v64, v49, v51
	v_cvt_pkrtz_f16_f32 v65, v50, v53
	v_cvt_pkrtz_f16_f32 v50, v52, v62
	v_cvt_pkrtz_f16_f32 v51, v61, v63
	s_waitcnt vmcnt(1)
	v_cmp_ne_u16_sdwa s[16:17], v40, v47 src0_sel:BYTE_0 src1_sel:DWORD
	v_mfma_f32_16x16x16f16 v[34:37], v[64:65], v[10:11], v[34:37]
	v_mfma_f32_16x16x16f16 v[34:37], v[50:51], v[12:13], v[34:37]
	s_and_saveexec_b64 s[14:15], s[16:17]
	s_cbranch_execz .LBB630_363
; %bb.358:                              ;   in Loop: Header=BB630_213 Depth=1
	v_cmp_ne_u16_sdwa s[18:19], v40, s9 src0_sel:BYTE_0 src1_sel:DWORD
	v_bfrev_b32_e32 v46, 1
	s_and_saveexec_b64 s[16:17], s[18:19]
	s_cbranch_execz .LBB630_362
; %bb.359:                              ;   in Loop: Header=BB630_213 Depth=1
	v_and_b32_e32 v42, 0x7f, v40
	v_cmp_ne_u32_e32 vcc, s21, v42
	v_mov_b32_e32 v46, 0x7f800001
	s_and_saveexec_b64 s[18:19], vcc
	s_cbranch_execz .LBB630_361
; %bb.360:                              ;   in Loop: Header=BB630_213 Depth=1
	v_and_b32_e32 v44, 7, v40
	v_ffbh_u32_e32 v49, v44
	v_min_u32_e32 v49, 32, v49
	v_subrev_u32_e32 v50, 28, v49
	v_lshlrev_b64 v[50:51], v50, v[40:41]
	v_lshrrev_b32_e32 v46, 3, v42
	v_sub_u32_e32 v49, 29, v49
	v_and_b32_e32 v50, 7, v50
	v_cmp_gt_u32_e32 vcc, 8, v42
	v_cndmask_b32_e32 v42, v46, v49, vcc
	v_cndmask_b32_e32 v44, v44, v50, vcc
	v_lshlrev_b32_e32 v46, 24, v40
	v_lshlrev_b32_e32 v44, 20, v44
	v_and_b32_e32 v46, 0x80000000, v46
	v_lshl_add_u32 v42, v42, 23, v48
	v_or3_b32 v46, v46, v42, v44
.LBB630_361:                            ;   in Loop: Header=BB630_213 Depth=1
	s_or_b64 exec, exec, s[18:19]
.LBB630_362:                            ;   in Loop: Header=BB630_213 Depth=1
	s_or_b64 exec, exec, s[16:17]
.LBB630_363:                            ;   in Loop: Header=BB630_213 Depth=1
	s_or_b64 exec, exec, s[14:15]
	v_lshrrev_b16_e32 v42, 8, v40
	v_cmp_ne_u16_e32 vcc, 0, v42
	v_mov_b32_e32 v44, 0
	v_mov_b32_e32 v50, 0
	s_and_saveexec_b64 s[14:15], vcc
	s_cbranch_execz .LBB630_369
; %bb.364:                              ;   in Loop: Header=BB630_213 Depth=1
	v_cmp_ne_u16_e32 vcc, s9, v42
	v_bfrev_b32_e32 v50, 1
	s_and_saveexec_b64 s[16:17], vcc
	s_cbranch_execz .LBB630_368
; %bb.365:                              ;   in Loop: Header=BB630_213 Depth=1
	v_and_b32_e32 v49, 0x7f, v42
	v_cmp_ne_u32_e32 vcc, s21, v49
	v_mov_b32_e32 v50, 0x7f800001
	s_and_saveexec_b64 s[18:19], vcc
	s_cbranch_execz .LBB630_367
; %bb.366:                              ;   in Loop: Header=BB630_213 Depth=1
	v_and_b32_e32 v52, 7, v42
	v_ffbh_u32_e32 v50, v52
	v_min_u32_e32 v61, 32, v50
	v_subrev_u32_e32 v50, 28, v61
	v_lshlrev_b64 v[50:51], v50, v[42:43]
	v_lshrrev_b32_e32 v53, 3, v49
	v_sub_u32_e32 v42, 29, v61
	v_and_b32_e32 v50, 7, v50
	v_cmp_gt_u32_e32 vcc, 8, v49
	v_cndmask_b32_e32 v42, v53, v42, vcc
	v_cndmask_b32_e32 v49, v52, v50, vcc
	v_lshlrev_b32_e32 v50, 16, v40
	v_lshlrev_b32_e32 v49, 20, v49
	v_and_b32_e32 v50, 0x80000000, v50
	v_lshl_add_u32 v42, v42, 23, v48
	v_or3_b32 v50, v50, v42, v49
.LBB630_367:                            ;   in Loop: Header=BB630_213 Depth=1
	s_or_b64 exec, exec, s[18:19]
.LBB630_368:                            ;   in Loop: Header=BB630_213 Depth=1
	s_or_b64 exec, exec, s[16:17]
.LBB630_369:                            ;   in Loop: Header=BB630_213 Depth=1
	s_or_b64 exec, exec, s[14:15]
	v_lshrrev_b32_e32 v42, 16, v40
	v_cmp_ne_u16_sdwa s[16:17], v42, v47 src0_sel:BYTE_0 src1_sel:DWORD
	s_and_saveexec_b64 s[14:15], s[16:17]
	s_cbranch_execz .LBB630_375
; %bb.370:                              ;   in Loop: Header=BB630_213 Depth=1
	v_cmp_ne_u16_sdwa s[18:19], v42, s9 src0_sel:BYTE_0 src1_sel:DWORD
	v_bfrev_b32_e32 v44, 1
	s_and_saveexec_b64 s[16:17], s[18:19]
	s_cbranch_execz .LBB630_374
; %bb.371:                              ;   in Loop: Header=BB630_213 Depth=1
	v_bfe_u32 v49, v40, 16, 7
	v_cmp_ne_u32_e32 vcc, s21, v49
	v_mov_b32_e32 v44, 0x7f800001
	s_and_saveexec_b64 s[18:19], vcc
	s_cbranch_execz .LBB630_373
; %bb.372:                              ;   in Loop: Header=BB630_213 Depth=1
	v_and_b32_e32 v44, 7, v42
	v_ffbh_u32_e32 v52, v44
	v_min_u32_e32 v61, 32, v52
	v_subrev_u32_e32 v52, 28, v61
	v_lshlrev_b64 v[52:53], v52, v[42:43]
	v_lshrrev_b32_e32 v51, 3, v49
	v_sub_u32_e32 v53, 29, v61
	v_and_b32_e32 v52, 7, v52
	v_cmp_gt_u32_e32 vcc, 8, v49
	v_cndmask_b32_e32 v49, v51, v53, vcc
	v_cndmask_b32_e32 v44, v44, v52, vcc
	v_lshlrev_b32_e32 v42, 24, v42
	v_lshlrev_b32_e32 v44, 20, v44
	v_and_b32_e32 v42, 0x80000000, v42
	v_lshl_add_u32 v49, v49, 23, v48
	v_or3_b32 v44, v42, v49, v44
.LBB630_373:                            ;   in Loop: Header=BB630_213 Depth=1
	s_or_b64 exec, exec, s[18:19]
.LBB630_374:                            ;   in Loop: Header=BB630_213 Depth=1
	s_or_b64 exec, exec, s[16:17]
.LBB630_375:                            ;   in Loop: Header=BB630_213 Depth=1
	s_or_b64 exec, exec, s[14:15]
	v_cmp_lt_u32_e32 vcc, s22, v40
	v_mov_b32_e32 v51, 0
	v_mov_b32_e32 v52, 0
	s_and_saveexec_b64 s[14:15], vcc
	s_cbranch_execz .LBB630_381
; %bb.376:                              ;   in Loop: Header=BB630_213 Depth=1
	v_lshrrev_b32_e32 v42, 24, v40
	v_cmp_ne_u32_e32 vcc, s9, v42
	v_bfrev_b32_e32 v52, 1
	s_and_saveexec_b64 s[16:17], vcc
	s_cbranch_execz .LBB630_380
; %bb.377:                              ;   in Loop: Header=BB630_213 Depth=1
	v_bfe_u32 v40, v40, 24, 7
	v_cmp_ne_u32_e32 vcc, s21, v40
	v_mov_b32_e32 v52, 0x7f800001
	s_and_saveexec_b64 s[18:19], vcc
	s_cbranch_execz .LBB630_379
; %bb.378:                              ;   in Loop: Header=BB630_213 Depth=1
	v_and_b32_e32 v49, 7, v42
	v_ffbh_u32_e32 v52, v49
	v_min_u32_e32 v62, 32, v52
	v_subrev_u32_e32 v52, 28, v62
	v_lshlrev_b64 v[52:53], v52, v[42:43]
	v_lshrrev_b32_e32 v61, 3, v40
	v_sub_u32_e32 v53, 29, v62
	v_and_b32_e32 v52, 7, v52
	v_cmp_gt_u32_e32 vcc, 8, v40
	v_cndmask_b32_e32 v40, v61, v53, vcc
	v_cndmask_b32_e32 v49, v49, v52, vcc
	v_lshlrev_b32_e32 v42, 24, v42
	v_lshlrev_b32_e32 v49, 20, v49
	v_and_b32_e32 v42, 0x80000000, v42
	v_lshl_add_u32 v40, v40, 23, v48
	v_or3_b32 v52, v42, v40, v49
.LBB630_379:                            ;   in Loop: Header=BB630_213 Depth=1
	s_or_b64 exec, exec, s[18:19]
.LBB630_380:                            ;   in Loop: Header=BB630_213 Depth=1
	s_or_b64 exec, exec, s[16:17]
.LBB630_381:                            ;   in Loop: Header=BB630_213 Depth=1
	s_or_b64 exec, exec, s[14:15]
	s_waitcnt vmcnt(0)
	v_cmp_ne_u16_sdwa s[16:17], v38, v47 src0_sel:BYTE_0 src1_sel:DWORD
	s_and_saveexec_b64 s[14:15], s[16:17]
	s_cbranch_execz .LBB630_387
; %bb.382:                              ;   in Loop: Header=BB630_213 Depth=1
	v_cmp_ne_u16_sdwa s[18:19], v38, s9 src0_sel:BYTE_0 src1_sel:DWORD
	v_bfrev_b32_e32 v51, 1
	s_and_saveexec_b64 s[16:17], s[18:19]
	s_cbranch_execz .LBB630_386
; %bb.383:                              ;   in Loop: Header=BB630_213 Depth=1
	v_and_b32_e32 v40, 0x7f, v38
	v_cmp_ne_u32_e32 vcc, s21, v40
	v_mov_b32_e32 v51, 0x7f800001
	s_and_saveexec_b64 s[18:19], vcc
	s_cbranch_execz .LBB630_385
; %bb.384:                              ;   in Loop: Header=BB630_213 Depth=1
	v_and_b32_e32 v42, 7, v38
	v_ffbh_u32_e32 v51, v42
	v_min_u32_e32 v51, 32, v51
	v_subrev_u32_e32 v53, 28, v51
	v_lshlrev_b64 v[62:63], v53, v[38:39]
	v_lshrrev_b32_e32 v49, 3, v40
	v_sub_u32_e32 v51, 29, v51
	v_and_b32_e32 v53, 7, v62
	v_cmp_gt_u32_e32 vcc, 8, v40
	v_cndmask_b32_e32 v40, v49, v51, vcc
	v_cndmask_b32_e32 v42, v42, v53, vcc
	v_lshlrev_b32_e32 v49, 24, v38
	v_lshlrev_b32_e32 v42, 20, v42
	v_and_b32_e32 v49, 0x80000000, v49
	v_lshl_add_u32 v40, v40, 23, v48
	v_or3_b32 v51, v49, v40, v42
.LBB630_385:                            ;   in Loop: Header=BB630_213 Depth=1
	s_or_b64 exec, exec, s[18:19]
.LBB630_386:                            ;   in Loop: Header=BB630_213 Depth=1
	s_or_b64 exec, exec, s[16:17]
.LBB630_387:                            ;   in Loop: Header=BB630_213 Depth=1
	s_or_b64 exec, exec, s[14:15]
	v_lshrrev_b16_e32 v40, 8, v38
	v_cmp_ne_u16_e32 vcc, 0, v40
	v_mov_b32_e32 v53, 0
	v_mov_b32_e32 v61, 0
	s_and_saveexec_b64 s[14:15], vcc
	s_cbranch_execz .LBB630_393
; %bb.388:                              ;   in Loop: Header=BB630_213 Depth=1
	v_cmp_ne_u16_e32 vcc, s9, v40
	v_bfrev_b32_e32 v61, 1
	s_and_saveexec_b64 s[16:17], vcc
	s_cbranch_execz .LBB630_392
; %bb.389:                              ;   in Loop: Header=BB630_213 Depth=1
	v_and_b32_e32 v42, 0x7f, v40
	v_cmp_ne_u32_e32 vcc, s21, v42
	v_mov_b32_e32 v61, 0x7f800001
	s_and_saveexec_b64 s[18:19], vcc
	s_cbranch_execz .LBB630_391
; %bb.390:                              ;   in Loop: Header=BB630_213 Depth=1
	v_and_b32_e32 v49, 7, v40
	v_ffbh_u32_e32 v62, v49
	v_min_u32_e32 v64, 32, v62
	v_subrev_u32_e32 v62, 28, v64
	v_lshlrev_b64 v[62:63], v62, v[40:41]
	v_lshrrev_b32_e32 v61, 3, v42
	v_sub_u32_e32 v40, 29, v64
	v_and_b32_e32 v62, 7, v62
	v_cmp_gt_u32_e32 vcc, 8, v42
	v_cndmask_b32_e32 v40, v61, v40, vcc
	v_cndmask_b32_e32 v42, v49, v62, vcc
	v_lshlrev_b32_e32 v49, 16, v38
	v_lshlrev_b32_e32 v42, 20, v42
	v_and_b32_e32 v49, 0x80000000, v49
	v_lshl_add_u32 v40, v40, 23, v48
	v_or3_b32 v61, v49, v40, v42
.LBB630_391:                            ;   in Loop: Header=BB630_213 Depth=1
	s_or_b64 exec, exec, s[18:19]
.LBB630_392:                            ;   in Loop: Header=BB630_213 Depth=1
	s_or_b64 exec, exec, s[16:17]
.LBB630_393:                            ;   in Loop: Header=BB630_213 Depth=1
	s_or_b64 exec, exec, s[14:15]
	v_lshrrev_b32_e32 v40, 16, v38
	v_cmp_ne_u16_sdwa s[16:17], v40, v47 src0_sel:BYTE_0 src1_sel:DWORD
	s_and_saveexec_b64 s[14:15], s[16:17]
	s_cbranch_execz .LBB630_399
; %bb.394:                              ;   in Loop: Header=BB630_213 Depth=1
	v_cmp_ne_u16_sdwa s[18:19], v40, s9 src0_sel:BYTE_0 src1_sel:DWORD
	v_bfrev_b32_e32 v53, 1
	s_and_saveexec_b64 s[16:17], s[18:19]
	s_cbranch_execz .LBB630_398
; %bb.395:                              ;   in Loop: Header=BB630_213 Depth=1
	v_bfe_u32 v42, v38, 16, 7
	v_cmp_ne_u32_e32 vcc, s21, v42
	v_mov_b32_e32 v53, 0x7f800001
	s_and_saveexec_b64 s[18:19], vcc
	s_cbranch_execz .LBB630_397
; %bb.396:                              ;   in Loop: Header=BB630_213 Depth=1
	v_and_b32_e32 v49, 7, v40
	v_ffbh_u32_e32 v62, v49
	v_min_u32_e32 v64, 32, v62
	v_subrev_u32_e32 v62, 28, v64
	v_lshlrev_b64 v[62:63], v62, v[40:41]
	v_lshrrev_b32_e32 v53, 3, v42
	v_sub_u32_e32 v63, 29, v64
	v_and_b32_e32 v62, 7, v62
	v_cmp_gt_u32_e32 vcc, 8, v42
	v_cndmask_b32_e32 v42, v53, v63, vcc
	v_cndmask_b32_e32 v49, v49, v62, vcc
	v_lshlrev_b32_e32 v40, 24, v40
	v_lshlrev_b32_e32 v49, 20, v49
	v_and_b32_e32 v40, 0x80000000, v40
	v_lshl_add_u32 v42, v42, 23, v48
	v_or3_b32 v53, v40, v42, v49
.LBB630_397:                            ;   in Loop: Header=BB630_213 Depth=1
	s_or_b64 exec, exec, s[18:19]
.LBB630_398:                            ;   in Loop: Header=BB630_213 Depth=1
	s_or_b64 exec, exec, s[16:17]
.LBB630_399:                            ;   in Loop: Header=BB630_213 Depth=1
	s_or_b64 exec, exec, s[14:15]
	v_cmp_lt_u32_e32 vcc, s22, v38
	v_mov_b32_e32 v49, 0
	v_mov_b32_e32 v62, 0
	s_and_saveexec_b64 s[14:15], vcc
	s_cbranch_execz .LBB630_405
; %bb.400:                              ;   in Loop: Header=BB630_213 Depth=1
	v_lshrrev_b32_e32 v40, 24, v38
	v_cmp_ne_u32_e32 vcc, s9, v40
	v_bfrev_b32_e32 v62, 1
	s_and_saveexec_b64 s[16:17], vcc
	s_cbranch_execz .LBB630_404
; %bb.401:                              ;   in Loop: Header=BB630_213 Depth=1
	v_bfe_u32 v38, v38, 24, 7
	v_cmp_ne_u32_e32 vcc, s21, v38
	v_mov_b32_e32 v62, 0x7f800001
	s_and_saveexec_b64 s[18:19], vcc
	s_cbranch_execz .LBB630_403
; %bb.402:                              ;   in Loop: Header=BB630_213 Depth=1
	v_and_b32_e32 v42, 7, v40
	v_ffbh_u32_e32 v62, v42
	v_min_u32_e32 v65, 32, v62
	v_subrev_u32_e32 v62, 28, v65
	v_lshlrev_b64 v[62:63], v62, v[40:41]
	v_lshrrev_b32_e32 v64, 3, v38
	v_sub_u32_e32 v63, 29, v65
	v_and_b32_e32 v62, 7, v62
	v_cmp_gt_u32_e32 vcc, 8, v38
	v_cndmask_b32_e32 v38, v64, v63, vcc
	v_cndmask_b32_e32 v42, v42, v62, vcc
	v_lshlrev_b32_e32 v40, 24, v40
	v_lshlrev_b32_e32 v42, 20, v42
	v_and_b32_e32 v40, 0x80000000, v40
	v_lshl_add_u32 v38, v38, 23, v48
	v_or3_b32 v62, v40, v38, v42
.LBB630_403:                            ;   in Loop: Header=BB630_213 Depth=1
	s_or_b64 exec, exec, s[18:19]
.LBB630_404:                            ;   in Loop: Header=BB630_213 Depth=1
	s_or_b64 exec, exec, s[16:17]
.LBB630_405:                            ;   in Loop: Header=BB630_213 Depth=1
	s_or_b64 exec, exec, s[14:15]
	v_cvt_pkrtz_f16_f32 v65, v44, v52
	buffer_load_dword v44, v60, s[0:3], 0 offen
	buffer_load_dword v42, v60, s[0:3], 0 offen offset:4
	buffer_load_dword v40, v60, s[0:3], 0 offen offset:8
	;; [unrolled: 1-line block ×3, first 2 shown]
	v_cvt_pkrtz_f16_f32 v64, v46, v50
	v_cvt_pkrtz_f16_f32 v50, v51, v61
	;; [unrolled: 1-line block ×3, first 2 shown]
	v_mfma_f32_16x16x16f16 v[34:37], v[64:65], v[14:15], v[34:37]
	s_waitcnt vmcnt(3)
	v_cmp_ne_u16_sdwa s[16:17], v44, v47 src0_sel:BYTE_0 src1_sel:DWORD
	v_mfma_f32_16x16x16f16 v[34:37], v[50:51], v[16:17], v[34:37]
	s_and_saveexec_b64 s[14:15], s[16:17]
	s_cbranch_execz .LBB630_411
; %bb.406:                              ;   in Loop: Header=BB630_213 Depth=1
	v_cmp_ne_u16_sdwa s[18:19], v44, s9 src0_sel:BYTE_0 src1_sel:DWORD
	v_bfrev_b32_e32 v49, 1
	s_and_saveexec_b64 s[16:17], s[18:19]
	s_cbranch_execz .LBB630_410
; %bb.407:                              ;   in Loop: Header=BB630_213 Depth=1
	v_and_b32_e32 v46, 0x7f, v44
	v_cmp_ne_u32_e32 vcc, s21, v46
	v_mov_b32_e32 v49, 0x7f800001
	s_and_saveexec_b64 s[18:19], vcc
	s_cbranch_execz .LBB630_409
; %bb.408:                              ;   in Loop: Header=BB630_213 Depth=1
	v_and_b32_e32 v49, 7, v44
	v_ffbh_u32_e32 v50, v49
	v_min_u32_e32 v53, 32, v50
	v_subrev_u32_e32 v50, 28, v53
	v_lshlrev_b64 v[50:51], v50, v[44:45]
	v_lshrrev_b32_e32 v52, 3, v46
	v_sub_u32_e32 v51, 29, v53
	v_and_b32_e32 v50, 7, v50
	v_cmp_gt_u32_e32 vcc, 8, v46
	v_cndmask_b32_e32 v46, v52, v51, vcc
	v_cndmask_b32_e32 v49, v49, v50, vcc
	v_lshlrev_b32_e32 v50, 24, v44
	v_lshlrev_b32_e32 v49, 20, v49
	v_and_b32_e32 v50, 0x80000000, v50
	v_lshl_add_u32 v46, v46, 23, v48
	v_or3_b32 v49, v50, v46, v49
.LBB630_409:                            ;   in Loop: Header=BB630_213 Depth=1
	s_or_b64 exec, exec, s[18:19]
.LBB630_410:                            ;   in Loop: Header=BB630_213 Depth=1
	s_or_b64 exec, exec, s[16:17]
.LBB630_411:                            ;   in Loop: Header=BB630_213 Depth=1
	s_or_b64 exec, exec, s[14:15]
	v_lshrrev_b16_e32 v46, 8, v44
	v_cmp_ne_u16_e32 vcc, 0, v46
	v_mov_b32_e32 v50, 0
	v_mov_b32_e32 v51, 0
	s_and_saveexec_b64 s[14:15], vcc
	s_cbranch_execz .LBB630_417
; %bb.412:                              ;   in Loop: Header=BB630_213 Depth=1
	v_cmp_ne_u16_e32 vcc, s9, v46
	v_bfrev_b32_e32 v51, 1
	s_and_saveexec_b64 s[16:17], vcc
	s_cbranch_execz .LBB630_416
; %bb.413:                              ;   in Loop: Header=BB630_213 Depth=1
	v_and_b32_e32 v52, 0x7f, v46
	v_cmp_ne_u32_e32 vcc, s21, v52
	v_mov_b32_e32 v51, 0x7f800001
	s_and_saveexec_b64 s[18:19], vcc
	s_cbranch_execz .LBB630_415
; %bb.414:                              ;   in Loop: Header=BB630_213 Depth=1
	v_and_b32_e32 v51, 7, v46
	v_ffbh_u32_e32 v60, v51
	v_min_u32_e32 v62, 32, v60
	v_subrev_u32_e32 v60, 28, v62
	v_lshlrev_b64 v[60:61], v60, v[46:47]
	v_lshrrev_b32_e32 v53, 3, v52
	v_sub_u32_e32 v46, 29, v62
	v_and_b32_e32 v60, 7, v60
	v_cmp_gt_u32_e32 vcc, 8, v52
	v_cndmask_b32_e32 v46, v53, v46, vcc
	v_cndmask_b32_e32 v51, v51, v60, vcc
	v_lshlrev_b32_e32 v52, 16, v44
	v_lshlrev_b32_e32 v51, 20, v51
	v_and_b32_e32 v52, 0x80000000, v52
	v_lshl_add_u32 v46, v46, 23, v48
	v_or3_b32 v51, v52, v46, v51
.LBB630_415:                            ;   in Loop: Header=BB630_213 Depth=1
	s_or_b64 exec, exec, s[18:19]
.LBB630_416:                            ;   in Loop: Header=BB630_213 Depth=1
	s_or_b64 exec, exec, s[16:17]
.LBB630_417:                            ;   in Loop: Header=BB630_213 Depth=1
	s_or_b64 exec, exec, s[14:15]
	v_lshrrev_b32_e32 v46, 16, v44
	v_cmp_ne_u16_sdwa s[16:17], v46, v47 src0_sel:BYTE_0 src1_sel:DWORD
	s_and_saveexec_b64 s[14:15], s[16:17]
	s_cbranch_execz .LBB630_423
; %bb.418:                              ;   in Loop: Header=BB630_213 Depth=1
	v_cmp_ne_u16_sdwa s[18:19], v46, s9 src0_sel:BYTE_0 src1_sel:DWORD
	v_bfrev_b32_e32 v50, 1
	s_and_saveexec_b64 s[16:17], s[18:19]
	s_cbranch_execz .LBB630_422
; %bb.419:                              ;   in Loop: Header=BB630_213 Depth=1
	v_bfe_u32 v52, v44, 16, 7
	v_cmp_ne_u32_e32 vcc, s21, v52
	v_mov_b32_e32 v50, 0x7f800001
	s_and_saveexec_b64 s[18:19], vcc
	s_cbranch_execz .LBB630_421
; %bb.420:                              ;   in Loop: Header=BB630_213 Depth=1
	v_and_b32_e32 v50, 7, v46
	v_ffbh_u32_e32 v60, v50
	v_min_u32_e32 v62, 32, v60
	v_subrev_u32_e32 v60, 28, v62
	v_lshlrev_b64 v[60:61], v60, v[46:47]
	v_lshrrev_b32_e32 v53, 3, v52
	v_sub_u32_e32 v61, 29, v62
	v_and_b32_e32 v60, 7, v60
	v_cmp_gt_u32_e32 vcc, 8, v52
	v_cndmask_b32_e32 v52, v53, v61, vcc
	v_cndmask_b32_e32 v50, v50, v60, vcc
	v_lshlrev_b32_e32 v46, 24, v46
	v_lshlrev_b32_e32 v50, 20, v50
	v_and_b32_e32 v46, 0x80000000, v46
	v_lshl_add_u32 v52, v52, 23, v48
	v_or3_b32 v50, v46, v52, v50
.LBB630_421:                            ;   in Loop: Header=BB630_213 Depth=1
	s_or_b64 exec, exec, s[18:19]
.LBB630_422:                            ;   in Loop: Header=BB630_213 Depth=1
	s_or_b64 exec, exec, s[16:17]
.LBB630_423:                            ;   in Loop: Header=BB630_213 Depth=1
	s_or_b64 exec, exec, s[14:15]
	v_cmp_lt_u32_e32 vcc, s22, v44
	v_mov_b32_e32 v52, 0
	v_mov_b32_e32 v53, 0
	s_and_saveexec_b64 s[14:15], vcc
	s_cbranch_execz .LBB630_429
; %bb.424:                              ;   in Loop: Header=BB630_213 Depth=1
	v_lshrrev_b32_e32 v46, 24, v44
	v_cmp_ne_u32_e32 vcc, s9, v46
	v_bfrev_b32_e32 v53, 1
	s_and_saveexec_b64 s[16:17], vcc
	s_cbranch_execz .LBB630_428
; %bb.425:                              ;   in Loop: Header=BB630_213 Depth=1
	v_bfe_u32 v44, v44, 24, 7
	v_cmp_ne_u32_e32 vcc, s21, v44
	v_mov_b32_e32 v53, 0x7f800001
	s_and_saveexec_b64 s[18:19], vcc
	s_cbranch_execz .LBB630_427
; %bb.426:                              ;   in Loop: Header=BB630_213 Depth=1
	v_and_b32_e32 v53, 7, v46
	v_ffbh_u32_e32 v60, v53
	v_min_u32_e32 v63, 32, v60
	v_subrev_u32_e32 v60, 28, v63
	v_lshlrev_b64 v[60:61], v60, v[46:47]
	v_lshrrev_b32_e32 v62, 3, v44
	v_sub_u32_e32 v61, 29, v63
	v_and_b32_e32 v60, 7, v60
	v_cmp_gt_u32_e32 vcc, 8, v44
	v_cndmask_b32_e32 v44, v62, v61, vcc
	v_cndmask_b32_e32 v53, v53, v60, vcc
	v_lshlrev_b32_e32 v46, 24, v46
	v_lshlrev_b32_e32 v53, 20, v53
	v_and_b32_e32 v46, 0x80000000, v46
	v_lshl_add_u32 v44, v44, 23, v48
	v_or3_b32 v53, v46, v44, v53
.LBB630_427:                            ;   in Loop: Header=BB630_213 Depth=1
	s_or_b64 exec, exec, s[18:19]
.LBB630_428:                            ;   in Loop: Header=BB630_213 Depth=1
	s_or_b64 exec, exec, s[16:17]
.LBB630_429:                            ;   in Loop: Header=BB630_213 Depth=1
	s_or_b64 exec, exec, s[14:15]
	s_waitcnt vmcnt(2)
	v_cmp_ne_u16_sdwa s[16:17], v42, v47 src0_sel:BYTE_0 src1_sel:DWORD
	s_and_saveexec_b64 s[14:15], s[16:17]
	s_cbranch_execz .LBB630_435
; %bb.430:                              ;   in Loop: Header=BB630_213 Depth=1
	v_cmp_ne_u16_sdwa s[18:19], v42, s9 src0_sel:BYTE_0 src1_sel:DWORD
	v_bfrev_b32_e32 v52, 1
	s_and_saveexec_b64 s[16:17], s[18:19]
	s_cbranch_execz .LBB630_434
; %bb.431:                              ;   in Loop: Header=BB630_213 Depth=1
	v_and_b32_e32 v44, 0x7f, v42
	v_cmp_ne_u32_e32 vcc, s21, v44
	v_mov_b32_e32 v52, 0x7f800001
	s_and_saveexec_b64 s[18:19], vcc
	s_cbranch_execz .LBB630_433
; %bb.432:                              ;   in Loop: Header=BB630_213 Depth=1
	v_and_b32_e32 v46, 7, v42
	v_ffbh_u32_e32 v60, v46
	v_min_u32_e32 v62, 32, v60
	v_subrev_u32_e32 v60, 28, v62
	v_lshlrev_b64 v[60:61], v60, v[42:43]
	v_lshrrev_b32_e32 v52, 3, v44
	v_sub_u32_e32 v61, 29, v62
	v_and_b32_e32 v60, 7, v60
	v_cmp_gt_u32_e32 vcc, 8, v44
	v_cndmask_b32_e32 v44, v52, v61, vcc
	v_cndmask_b32_e32 v46, v46, v60, vcc
	v_lshlrev_b32_e32 v52, 24, v42
	v_lshlrev_b32_e32 v46, 20, v46
	v_and_b32_e32 v52, 0x80000000, v52
	v_lshl_add_u32 v44, v44, 23, v48
	v_or3_b32 v52, v52, v44, v46
.LBB630_433:                            ;   in Loop: Header=BB630_213 Depth=1
	s_or_b64 exec, exec, s[18:19]
.LBB630_434:                            ;   in Loop: Header=BB630_213 Depth=1
	s_or_b64 exec, exec, s[16:17]
.LBB630_435:                            ;   in Loop: Header=BB630_213 Depth=1
	s_or_b64 exec, exec, s[14:15]
	v_lshrrev_b16_e32 v44, 8, v42
	v_cmp_ne_u16_e32 vcc, 0, v44
	v_mov_b32_e32 v60, 0
	v_mov_b32_e32 v61, 0
	s_and_saveexec_b64 s[14:15], vcc
	s_cbranch_execz .LBB630_441
; %bb.436:                              ;   in Loop: Header=BB630_213 Depth=1
	v_cmp_ne_u16_e32 vcc, s9, v44
	v_bfrev_b32_e32 v61, 1
	s_and_saveexec_b64 s[16:17], vcc
	s_cbranch_execz .LBB630_440
; %bb.437:                              ;   in Loop: Header=BB630_213 Depth=1
	v_and_b32_e32 v46, 0x7f, v44
	v_cmp_ne_u32_e32 vcc, s21, v46
	v_mov_b32_e32 v61, 0x7f800001
	s_and_saveexec_b64 s[18:19], vcc
	s_cbranch_execz .LBB630_439
; %bb.438:                              ;   in Loop: Header=BB630_213 Depth=1
	v_and_b32_e32 v61, 7, v44
	v_ffbh_u32_e32 v62, v61
	v_min_u32_e32 v65, 32, v62
	v_subrev_u32_e32 v62, 28, v65
	v_lshlrev_b64 v[62:63], v62, v[44:45]
	v_lshrrev_b32_e32 v64, 3, v46
	v_sub_u32_e32 v44, 29, v65
	v_and_b32_e32 v62, 7, v62
	v_cmp_gt_u32_e32 vcc, 8, v46
	v_cndmask_b32_e32 v44, v64, v44, vcc
	v_cndmask_b32_e32 v46, v61, v62, vcc
	v_lshlrev_b32_e32 v61, 16, v42
	v_lshlrev_b32_e32 v46, 20, v46
	v_and_b32_e32 v61, 0x80000000, v61
	v_lshl_add_u32 v44, v44, 23, v48
	v_or3_b32 v61, v61, v44, v46
.LBB630_439:                            ;   in Loop: Header=BB630_213 Depth=1
	s_or_b64 exec, exec, s[18:19]
.LBB630_440:                            ;   in Loop: Header=BB630_213 Depth=1
	s_or_b64 exec, exec, s[16:17]
.LBB630_441:                            ;   in Loop: Header=BB630_213 Depth=1
	s_or_b64 exec, exec, s[14:15]
	v_lshrrev_b32_e32 v44, 16, v42
	v_cmp_ne_u16_sdwa s[16:17], v44, v47 src0_sel:BYTE_0 src1_sel:DWORD
	s_and_saveexec_b64 s[14:15], s[16:17]
	s_cbranch_execz .LBB630_447
; %bb.442:                              ;   in Loop: Header=BB630_213 Depth=1
	v_cmp_ne_u16_sdwa s[18:19], v44, s9 src0_sel:BYTE_0 src1_sel:DWORD
	v_bfrev_b32_e32 v60, 1
	s_and_saveexec_b64 s[16:17], s[18:19]
	s_cbranch_execz .LBB630_446
; %bb.443:                              ;   in Loop: Header=BB630_213 Depth=1
	v_bfe_u32 v46, v42, 16, 7
	v_cmp_ne_u32_e32 vcc, s21, v46
	v_mov_b32_e32 v60, 0x7f800001
	s_and_saveexec_b64 s[18:19], vcc
	s_cbranch_execz .LBB630_445
; %bb.444:                              ;   in Loop: Header=BB630_213 Depth=1
	v_and_b32_e32 v60, 7, v44
	v_ffbh_u32_e32 v62, v60
	v_min_u32_e32 v65, 32, v62
	v_subrev_u32_e32 v62, 28, v65
	v_lshlrev_b64 v[62:63], v62, v[44:45]
	v_lshrrev_b32_e32 v64, 3, v46
	v_sub_u32_e32 v63, 29, v65
	v_and_b32_e32 v62, 7, v62
	v_cmp_gt_u32_e32 vcc, 8, v46
	v_cndmask_b32_e32 v46, v64, v63, vcc
	v_cndmask_b32_e32 v60, v60, v62, vcc
	v_lshlrev_b32_e32 v44, 24, v44
	v_lshlrev_b32_e32 v60, 20, v60
	v_and_b32_e32 v44, 0x80000000, v44
	v_lshl_add_u32 v46, v46, 23, v48
	v_or3_b32 v60, v44, v46, v60
.LBB630_445:                            ;   in Loop: Header=BB630_213 Depth=1
	s_or_b64 exec, exec, s[18:19]
.LBB630_446:                            ;   in Loop: Header=BB630_213 Depth=1
	s_or_b64 exec, exec, s[16:17]
.LBB630_447:                            ;   in Loop: Header=BB630_213 Depth=1
	s_or_b64 exec, exec, s[14:15]
	v_cmp_lt_u32_e32 vcc, s22, v42
	v_mov_b32_e32 v46, 0
	v_mov_b32_e32 v62, 0
	s_and_saveexec_b64 s[14:15], vcc
	s_cbranch_execz .LBB630_453
; %bb.448:                              ;   in Loop: Header=BB630_213 Depth=1
	v_lshrrev_b32_e32 v44, 24, v42
	v_cmp_ne_u32_e32 vcc, s9, v44
	v_bfrev_b32_e32 v62, 1
	s_and_saveexec_b64 s[16:17], vcc
	s_cbranch_execz .LBB630_452
; %bb.449:                              ;   in Loop: Header=BB630_213 Depth=1
	v_bfe_u32 v42, v42, 24, 7
	v_cmp_ne_u32_e32 vcc, s21, v42
	v_mov_b32_e32 v62, 0x7f800001
	s_and_saveexec_b64 s[18:19], vcc
	s_cbranch_execz .LBB630_451
; %bb.450:                              ;   in Loop: Header=BB630_213 Depth=1
	v_and_b32_e32 v64, 7, v44
	v_ffbh_u32_e32 v62, v64
	v_min_u32_e32 v66, 32, v62
	v_subrev_u32_e32 v62, 28, v66
	v_lshlrev_b64 v[62:63], v62, v[44:45]
	v_lshrrev_b32_e32 v65, 3, v42
	v_sub_u32_e32 v63, 29, v66
	v_and_b32_e32 v62, 7, v62
	v_cmp_gt_u32_e32 vcc, 8, v42
	v_cndmask_b32_e32 v42, v65, v63, vcc
	v_cndmask_b32_e32 v62, v64, v62, vcc
	v_lshlrev_b32_e32 v44, 24, v44
	v_lshlrev_b32_e32 v62, 20, v62
	v_and_b32_e32 v44, 0x80000000, v44
	v_lshl_add_u32 v42, v42, 23, v48
	v_or3_b32 v62, v44, v42, v62
.LBB630_451:                            ;   in Loop: Header=BB630_213 Depth=1
	s_or_b64 exec, exec, s[18:19]
.LBB630_452:                            ;   in Loop: Header=BB630_213 Depth=1
	s_or_b64 exec, exec, s[16:17]
.LBB630_453:                            ;   in Loop: Header=BB630_213 Depth=1
	s_or_b64 exec, exec, s[14:15]
	v_cvt_pkrtz_f16_f32 v64, v49, v51
	v_cvt_pkrtz_f16_f32 v65, v50, v53
	;; [unrolled: 1-line block ×4, first 2 shown]
	s_waitcnt vmcnt(1)
	v_cmp_ne_u16_sdwa s[16:17], v40, v47 src0_sel:BYTE_0 src1_sel:DWORD
	v_mfma_f32_16x16x16f16 v[34:37], v[64:65], v[18:19], v[34:37]
	v_mfma_f32_16x16x16f16 v[34:37], v[50:51], v[20:21], v[34:37]
	s_and_saveexec_b64 s[14:15], s[16:17]
	s_cbranch_execz .LBB630_459
; %bb.454:                              ;   in Loop: Header=BB630_213 Depth=1
	v_cmp_ne_u16_sdwa s[18:19], v40, s9 src0_sel:BYTE_0 src1_sel:DWORD
	v_bfrev_b32_e32 v46, 1
	s_and_saveexec_b64 s[16:17], s[18:19]
	s_cbranch_execz .LBB630_458
; %bb.455:                              ;   in Loop: Header=BB630_213 Depth=1
	v_and_b32_e32 v42, 0x7f, v40
	v_cmp_ne_u32_e32 vcc, s21, v42
	v_mov_b32_e32 v46, 0x7f800001
	s_and_saveexec_b64 s[18:19], vcc
	s_cbranch_execz .LBB630_457
; %bb.456:                              ;   in Loop: Header=BB630_213 Depth=1
	v_and_b32_e32 v44, 7, v40
	v_ffbh_u32_e32 v49, v44
	v_min_u32_e32 v49, 32, v49
	v_subrev_u32_e32 v50, 28, v49
	v_lshlrev_b64 v[50:51], v50, v[40:41]
	v_lshrrev_b32_e32 v46, 3, v42
	v_sub_u32_e32 v49, 29, v49
	v_and_b32_e32 v50, 7, v50
	v_cmp_gt_u32_e32 vcc, 8, v42
	v_cndmask_b32_e32 v42, v46, v49, vcc
	v_cndmask_b32_e32 v44, v44, v50, vcc
	v_lshlrev_b32_e32 v46, 24, v40
	v_lshlrev_b32_e32 v44, 20, v44
	v_and_b32_e32 v46, 0x80000000, v46
	v_lshl_add_u32 v42, v42, 23, v48
	v_or3_b32 v46, v46, v42, v44
.LBB630_457:                            ;   in Loop: Header=BB630_213 Depth=1
	s_or_b64 exec, exec, s[18:19]
.LBB630_458:                            ;   in Loop: Header=BB630_213 Depth=1
	s_or_b64 exec, exec, s[16:17]
.LBB630_459:                            ;   in Loop: Header=BB630_213 Depth=1
	s_or_b64 exec, exec, s[14:15]
	v_lshrrev_b16_e32 v42, 8, v40
	v_cmp_ne_u16_e32 vcc, 0, v42
	v_mov_b32_e32 v44, 0
	v_mov_b32_e32 v50, 0
	s_and_saveexec_b64 s[14:15], vcc
	s_cbranch_execz .LBB630_465
; %bb.460:                              ;   in Loop: Header=BB630_213 Depth=1
	v_cmp_ne_u16_e32 vcc, s9, v42
	v_bfrev_b32_e32 v50, 1
	s_and_saveexec_b64 s[16:17], vcc
	s_cbranch_execz .LBB630_464
; %bb.461:                              ;   in Loop: Header=BB630_213 Depth=1
	v_and_b32_e32 v49, 0x7f, v42
	v_cmp_ne_u32_e32 vcc, s21, v49
	v_mov_b32_e32 v50, 0x7f800001
	s_and_saveexec_b64 s[18:19], vcc
	s_cbranch_execz .LBB630_463
; %bb.462:                              ;   in Loop: Header=BB630_213 Depth=1
	v_and_b32_e32 v52, 7, v42
	v_ffbh_u32_e32 v50, v52
	v_min_u32_e32 v60, 32, v50
	v_subrev_u32_e32 v50, 28, v60
	v_lshlrev_b64 v[50:51], v50, v[42:43]
	v_lshrrev_b32_e32 v53, 3, v49
	v_sub_u32_e32 v42, 29, v60
	v_and_b32_e32 v50, 7, v50
	v_cmp_gt_u32_e32 vcc, 8, v49
	v_cndmask_b32_e32 v42, v53, v42, vcc
	v_cndmask_b32_e32 v49, v52, v50, vcc
	v_lshlrev_b32_e32 v50, 16, v40
	v_lshlrev_b32_e32 v49, 20, v49
	v_and_b32_e32 v50, 0x80000000, v50
	v_lshl_add_u32 v42, v42, 23, v48
	v_or3_b32 v50, v50, v42, v49
.LBB630_463:                            ;   in Loop: Header=BB630_213 Depth=1
	s_or_b64 exec, exec, s[18:19]
.LBB630_464:                            ;   in Loop: Header=BB630_213 Depth=1
	s_or_b64 exec, exec, s[16:17]
.LBB630_465:                            ;   in Loop: Header=BB630_213 Depth=1
	s_or_b64 exec, exec, s[14:15]
	v_lshrrev_b32_e32 v42, 16, v40
	v_cmp_ne_u16_sdwa s[16:17], v42, v47 src0_sel:BYTE_0 src1_sel:DWORD
	s_and_saveexec_b64 s[14:15], s[16:17]
	s_cbranch_execz .LBB630_471
; %bb.466:                              ;   in Loop: Header=BB630_213 Depth=1
	v_cmp_ne_u16_sdwa s[18:19], v42, s9 src0_sel:BYTE_0 src1_sel:DWORD
	v_bfrev_b32_e32 v44, 1
	s_and_saveexec_b64 s[16:17], s[18:19]
	s_cbranch_execz .LBB630_470
; %bb.467:                              ;   in Loop: Header=BB630_213 Depth=1
	v_bfe_u32 v49, v40, 16, 7
	v_cmp_ne_u32_e32 vcc, s21, v49
	v_mov_b32_e32 v44, 0x7f800001
	s_and_saveexec_b64 s[18:19], vcc
	s_cbranch_execz .LBB630_469
; %bb.468:                              ;   in Loop: Header=BB630_213 Depth=1
	v_and_b32_e32 v44, 7, v42
	v_ffbh_u32_e32 v52, v44
	v_min_u32_e32 v60, 32, v52
	v_subrev_u32_e32 v52, 28, v60
	v_lshlrev_b64 v[52:53], v52, v[42:43]
	v_lshrrev_b32_e32 v51, 3, v49
	v_sub_u32_e32 v53, 29, v60
	v_and_b32_e32 v52, 7, v52
	v_cmp_gt_u32_e32 vcc, 8, v49
	v_cndmask_b32_e32 v49, v51, v53, vcc
	v_cndmask_b32_e32 v44, v44, v52, vcc
	v_lshlrev_b32_e32 v42, 24, v42
	v_lshlrev_b32_e32 v44, 20, v44
	v_and_b32_e32 v42, 0x80000000, v42
	v_lshl_add_u32 v49, v49, 23, v48
	v_or3_b32 v44, v42, v49, v44
.LBB630_469:                            ;   in Loop: Header=BB630_213 Depth=1
	s_or_b64 exec, exec, s[18:19]
.LBB630_470:                            ;   in Loop: Header=BB630_213 Depth=1
	s_or_b64 exec, exec, s[16:17]
.LBB630_471:                            ;   in Loop: Header=BB630_213 Depth=1
	s_or_b64 exec, exec, s[14:15]
	v_cmp_lt_u32_e32 vcc, s22, v40
	v_mov_b32_e32 v51, 0
	v_mov_b32_e32 v52, 0
	s_and_saveexec_b64 s[14:15], vcc
	s_cbranch_execz .LBB630_477
; %bb.472:                              ;   in Loop: Header=BB630_213 Depth=1
	v_lshrrev_b32_e32 v42, 24, v40
	v_cmp_ne_u32_e32 vcc, s9, v42
	v_bfrev_b32_e32 v52, 1
	s_and_saveexec_b64 s[16:17], vcc
	s_cbranch_execz .LBB630_476
; %bb.473:                              ;   in Loop: Header=BB630_213 Depth=1
	v_bfe_u32 v40, v40, 24, 7
	v_cmp_ne_u32_e32 vcc, s21, v40
	v_mov_b32_e32 v52, 0x7f800001
	s_and_saveexec_b64 s[18:19], vcc
	s_cbranch_execz .LBB630_475
; %bb.474:                              ;   in Loop: Header=BB630_213 Depth=1
	v_and_b32_e32 v49, 7, v42
	v_ffbh_u32_e32 v52, v49
	v_min_u32_e32 v61, 32, v52
	v_subrev_u32_e32 v52, 28, v61
	v_lshlrev_b64 v[52:53], v52, v[42:43]
	v_lshrrev_b32_e32 v60, 3, v40
	v_sub_u32_e32 v53, 29, v61
	v_and_b32_e32 v52, 7, v52
	v_cmp_gt_u32_e32 vcc, 8, v40
	v_cndmask_b32_e32 v40, v60, v53, vcc
	v_cndmask_b32_e32 v49, v49, v52, vcc
	v_lshlrev_b32_e32 v42, 24, v42
	v_lshlrev_b32_e32 v49, 20, v49
	v_and_b32_e32 v42, 0x80000000, v42
	v_lshl_add_u32 v40, v40, 23, v48
	v_or3_b32 v52, v42, v40, v49
.LBB630_475:                            ;   in Loop: Header=BB630_213 Depth=1
	s_or_b64 exec, exec, s[18:19]
.LBB630_476:                            ;   in Loop: Header=BB630_213 Depth=1
	s_or_b64 exec, exec, s[16:17]
.LBB630_477:                            ;   in Loop: Header=BB630_213 Depth=1
	s_or_b64 exec, exec, s[14:15]
	s_waitcnt vmcnt(0)
	v_cmp_ne_u16_sdwa s[16:17], v38, v47 src0_sel:BYTE_0 src1_sel:DWORD
	s_and_saveexec_b64 s[14:15], s[16:17]
	s_cbranch_execz .LBB630_483
; %bb.478:                              ;   in Loop: Header=BB630_213 Depth=1
	v_cmp_ne_u16_sdwa s[18:19], v38, s9 src0_sel:BYTE_0 src1_sel:DWORD
	v_bfrev_b32_e32 v51, 1
	s_and_saveexec_b64 s[16:17], s[18:19]
	s_cbranch_execz .LBB630_482
; %bb.479:                              ;   in Loop: Header=BB630_213 Depth=1
	v_and_b32_e32 v40, 0x7f, v38
	v_cmp_ne_u32_e32 vcc, s21, v40
	v_mov_b32_e32 v51, 0x7f800001
	s_and_saveexec_b64 s[18:19], vcc
	s_cbranch_execz .LBB630_481
; %bb.480:                              ;   in Loop: Header=BB630_213 Depth=1
	v_and_b32_e32 v42, 7, v38
	v_ffbh_u32_e32 v51, v42
	v_min_u32_e32 v51, 32, v51
	v_subrev_u32_e32 v53, 28, v51
	v_lshlrev_b64 v[60:61], v53, v[38:39]
	v_lshrrev_b32_e32 v49, 3, v40
	v_sub_u32_e32 v51, 29, v51
	v_and_b32_e32 v53, 7, v60
	v_cmp_gt_u32_e32 vcc, 8, v40
	v_cndmask_b32_e32 v40, v49, v51, vcc
	v_cndmask_b32_e32 v42, v42, v53, vcc
	v_lshlrev_b32_e32 v49, 24, v38
	v_lshlrev_b32_e32 v42, 20, v42
	v_and_b32_e32 v49, 0x80000000, v49
	v_lshl_add_u32 v40, v40, 23, v48
	v_or3_b32 v51, v49, v40, v42
.LBB630_481:                            ;   in Loop: Header=BB630_213 Depth=1
	s_or_b64 exec, exec, s[18:19]
.LBB630_482:                            ;   in Loop: Header=BB630_213 Depth=1
	s_or_b64 exec, exec, s[16:17]
.LBB630_483:                            ;   in Loop: Header=BB630_213 Depth=1
	s_or_b64 exec, exec, s[14:15]
	v_lshrrev_b16_e32 v40, 8, v38
	v_cmp_ne_u16_e32 vcc, 0, v40
	v_mov_b32_e32 v53, 0
	v_mov_b32_e32 v60, 0
	s_and_saveexec_b64 s[14:15], vcc
	s_cbranch_execz .LBB630_489
; %bb.484:                              ;   in Loop: Header=BB630_213 Depth=1
	v_cmp_ne_u16_e32 vcc, s9, v40
	v_bfrev_b32_e32 v60, 1
	s_and_saveexec_b64 s[16:17], vcc
	s_cbranch_execz .LBB630_488
; %bb.485:                              ;   in Loop: Header=BB630_213 Depth=1
	v_and_b32_e32 v42, 0x7f, v40
	v_cmp_ne_u32_e32 vcc, s21, v42
	v_mov_b32_e32 v60, 0x7f800001
	s_and_saveexec_b64 s[18:19], vcc
	s_cbranch_execz .LBB630_487
; %bb.486:                              ;   in Loop: Header=BB630_213 Depth=1
	v_and_b32_e32 v49, 7, v40
	v_ffbh_u32_e32 v60, v49
	v_min_u32_e32 v63, 32, v60
	v_subrev_u32_e32 v60, 28, v63
	v_lshlrev_b64 v[60:61], v60, v[40:41]
	v_lshrrev_b32_e32 v62, 3, v42
	v_sub_u32_e32 v40, 29, v63
	v_and_b32_e32 v60, 7, v60
	v_cmp_gt_u32_e32 vcc, 8, v42
	v_cndmask_b32_e32 v40, v62, v40, vcc
	v_cndmask_b32_e32 v42, v49, v60, vcc
	v_lshlrev_b32_e32 v49, 16, v38
	v_lshlrev_b32_e32 v42, 20, v42
	v_and_b32_e32 v49, 0x80000000, v49
	v_lshl_add_u32 v40, v40, 23, v48
	v_or3_b32 v60, v49, v40, v42
.LBB630_487:                            ;   in Loop: Header=BB630_213 Depth=1
	s_or_b64 exec, exec, s[18:19]
.LBB630_488:                            ;   in Loop: Header=BB630_213 Depth=1
	s_or_b64 exec, exec, s[16:17]
.LBB630_489:                            ;   in Loop: Header=BB630_213 Depth=1
	s_or_b64 exec, exec, s[14:15]
	v_lshrrev_b32_e32 v40, 16, v38
	v_cmp_ne_u16_sdwa s[16:17], v40, v47 src0_sel:BYTE_0 src1_sel:DWORD
	s_and_saveexec_b64 s[14:15], s[16:17]
	s_cbranch_execz .LBB630_495
; %bb.490:                              ;   in Loop: Header=BB630_213 Depth=1
	v_cmp_ne_u16_sdwa s[18:19], v40, s9 src0_sel:BYTE_0 src1_sel:DWORD
	v_bfrev_b32_e32 v53, 1
	s_and_saveexec_b64 s[16:17], s[18:19]
	s_cbranch_execz .LBB630_494
; %bb.491:                              ;   in Loop: Header=BB630_213 Depth=1
	v_bfe_u32 v42, v38, 16, 7
	v_cmp_ne_u32_e32 vcc, s21, v42
	v_mov_b32_e32 v53, 0x7f800001
	s_and_saveexec_b64 s[18:19], vcc
	s_cbranch_execz .LBB630_493
; %bb.492:                              ;   in Loop: Header=BB630_213 Depth=1
	v_and_b32_e32 v49, 7, v40
	v_ffbh_u32_e32 v61, v49
	v_min_u32_e32 v61, 32, v61
	v_subrev_u32_e32 v62, 28, v61
	v_lshlrev_b64 v[62:63], v62, v[40:41]
	v_lshrrev_b32_e32 v53, 3, v42
	v_sub_u32_e32 v61, 29, v61
	v_and_b32_e32 v62, 7, v62
	v_cmp_gt_u32_e32 vcc, 8, v42
	v_cndmask_b32_e32 v42, v53, v61, vcc
	v_cndmask_b32_e32 v49, v49, v62, vcc
	v_lshlrev_b32_e32 v40, 24, v40
	v_lshlrev_b32_e32 v49, 20, v49
	v_and_b32_e32 v40, 0x80000000, v40
	v_lshl_add_u32 v42, v42, 23, v48
	v_or3_b32 v53, v40, v42, v49
.LBB630_493:                            ;   in Loop: Header=BB630_213 Depth=1
	s_or_b64 exec, exec, s[18:19]
.LBB630_494:                            ;   in Loop: Header=BB630_213 Depth=1
	s_or_b64 exec, exec, s[16:17]
.LBB630_495:                            ;   in Loop: Header=BB630_213 Depth=1
	s_or_b64 exec, exec, s[14:15]
	v_cmp_lt_u32_e32 vcc, s22, v38
	v_mov_b32_e32 v49, 0
	v_mov_b32_e32 v61, 0
	s_and_saveexec_b64 s[14:15], vcc
	s_cbranch_execz .LBB630_501
; %bb.496:                              ;   in Loop: Header=BB630_213 Depth=1
	v_lshrrev_b32_e32 v40, 24, v38
	v_cmp_ne_u32_e32 vcc, s9, v40
	v_bfrev_b32_e32 v61, 1
	s_and_saveexec_b64 s[16:17], vcc
	s_cbranch_execz .LBB630_500
; %bb.497:                              ;   in Loop: Header=BB630_213 Depth=1
	v_bfe_u32 v38, v38, 24, 7
	v_cmp_ne_u32_e32 vcc, s21, v38
	v_mov_b32_e32 v61, 0x7f800001
	s_and_saveexec_b64 s[18:19], vcc
	s_cbranch_execz .LBB630_499
; %bb.498:                              ;   in Loop: Header=BB630_213 Depth=1
	v_and_b32_e32 v42, 7, v40
	v_ffbh_u32_e32 v62, v42
	v_min_u32_e32 v64, 32, v62
	v_subrev_u32_e32 v62, 28, v64
	v_lshlrev_b64 v[62:63], v62, v[40:41]
	v_lshrrev_b32_e32 v61, 3, v38
	v_sub_u32_e32 v63, 29, v64
	v_and_b32_e32 v62, 7, v62
	v_cmp_gt_u32_e32 vcc, 8, v38
	v_cndmask_b32_e32 v38, v61, v63, vcc
	v_cndmask_b32_e32 v42, v42, v62, vcc
	v_lshlrev_b32_e32 v40, 24, v40
	v_lshlrev_b32_e32 v42, 20, v42
	v_and_b32_e32 v40, 0x80000000, v40
	v_lshl_add_u32 v38, v38, 23, v48
	v_or3_b32 v61, v40, v38, v42
.LBB630_499:                            ;   in Loop: Header=BB630_213 Depth=1
	s_or_b64 exec, exec, s[18:19]
.LBB630_500:                            ;   in Loop: Header=BB630_213 Depth=1
	s_or_b64 exec, exec, s[16:17]
.LBB630_501:                            ;   in Loop: Header=BB630_213 Depth=1
	s_or_b64 exec, exec, s[14:15]
	v_cvt_pkrtz_f16_f32 v63, v44, v52
	buffer_load_dword v44, v59, s[0:3], 0 offen
	buffer_load_dword v42, v59, s[0:3], 0 offen offset:4
	buffer_load_dword v40, v59, s[0:3], 0 offen offset:8
	;; [unrolled: 1-line block ×3, first 2 shown]
	v_cvt_pkrtz_f16_f32 v62, v46, v50
	v_cvt_pkrtz_f16_f32 v50, v51, v60
	;; [unrolled: 1-line block ×3, first 2 shown]
	v_mfma_f32_16x16x16f16 v[34:37], v[62:63], v[22:23], v[34:37]
	s_waitcnt vmcnt(3)
	v_cmp_ne_u16_sdwa s[16:17], v44, v47 src0_sel:BYTE_0 src1_sel:DWORD
	v_mfma_f32_16x16x16f16 v[34:37], v[50:51], v[24:25], v[34:37]
	s_and_saveexec_b64 s[14:15], s[16:17]
	s_cbranch_execz .LBB630_507
; %bb.502:                              ;   in Loop: Header=BB630_213 Depth=1
	v_cmp_ne_u16_sdwa s[18:19], v44, s9 src0_sel:BYTE_0 src1_sel:DWORD
	v_bfrev_b32_e32 v49, 1
	s_and_saveexec_b64 s[16:17], s[18:19]
	s_cbranch_execz .LBB630_506
; %bb.503:                              ;   in Loop: Header=BB630_213 Depth=1
	v_and_b32_e32 v46, 0x7f, v44
	v_cmp_ne_u32_e32 vcc, s21, v46
	v_mov_b32_e32 v49, 0x7f800001
	s_and_saveexec_b64 s[18:19], vcc
	s_cbranch_execz .LBB630_505
; %bb.504:                              ;   in Loop: Header=BB630_213 Depth=1
	v_and_b32_e32 v49, 7, v44
	v_ffbh_u32_e32 v50, v49
	v_min_u32_e32 v53, 32, v50
	v_subrev_u32_e32 v50, 28, v53
	v_lshlrev_b64 v[50:51], v50, v[44:45]
	v_lshrrev_b32_e32 v52, 3, v46
	v_sub_u32_e32 v51, 29, v53
	v_and_b32_e32 v50, 7, v50
	v_cmp_gt_u32_e32 vcc, 8, v46
	v_cndmask_b32_e32 v46, v52, v51, vcc
	v_cndmask_b32_e32 v49, v49, v50, vcc
	v_lshlrev_b32_e32 v50, 24, v44
	v_lshlrev_b32_e32 v49, 20, v49
	v_and_b32_e32 v50, 0x80000000, v50
	v_lshl_add_u32 v46, v46, 23, v48
	v_or3_b32 v49, v50, v46, v49
.LBB630_505:                            ;   in Loop: Header=BB630_213 Depth=1
	s_or_b64 exec, exec, s[18:19]
.LBB630_506:                            ;   in Loop: Header=BB630_213 Depth=1
	s_or_b64 exec, exec, s[16:17]
.LBB630_507:                            ;   in Loop: Header=BB630_213 Depth=1
	s_or_b64 exec, exec, s[14:15]
	v_lshrrev_b16_e32 v46, 8, v44
	v_cmp_ne_u16_e32 vcc, 0, v46
	v_mov_b32_e32 v50, 0
	v_mov_b32_e32 v51, 0
	s_and_saveexec_b64 s[14:15], vcc
	s_cbranch_execz .LBB630_513
; %bb.508:                              ;   in Loop: Header=BB630_213 Depth=1
	v_cmp_ne_u16_e32 vcc, s9, v46
	v_bfrev_b32_e32 v51, 1
	s_and_saveexec_b64 s[16:17], vcc
	s_cbranch_execz .LBB630_512
; %bb.509:                              ;   in Loop: Header=BB630_213 Depth=1
	v_and_b32_e32 v52, 0x7f, v46
	v_cmp_ne_u32_e32 vcc, s21, v52
	v_mov_b32_e32 v51, 0x7f800001
	s_and_saveexec_b64 s[18:19], vcc
	s_cbranch_execz .LBB630_511
; %bb.510:                              ;   in Loop: Header=BB630_213 Depth=1
	v_and_b32_e32 v51, 7, v46
	v_ffbh_u32_e32 v59, v51
	v_min_u32_e32 v59, 32, v59
	v_subrev_u32_e32 v60, 28, v59
	v_lshlrev_b64 v[60:61], v60, v[46:47]
	v_lshrrev_b32_e32 v53, 3, v52
	v_sub_u32_e32 v46, 29, v59
	v_and_b32_e32 v59, 7, v60
	v_cmp_gt_u32_e32 vcc, 8, v52
	v_cndmask_b32_e32 v46, v53, v46, vcc
	v_cndmask_b32_e32 v51, v51, v59, vcc
	v_lshlrev_b32_e32 v52, 16, v44
	v_lshlrev_b32_e32 v51, 20, v51
	v_and_b32_e32 v52, 0x80000000, v52
	v_lshl_add_u32 v46, v46, 23, v48
	v_or3_b32 v51, v52, v46, v51
.LBB630_511:                            ;   in Loop: Header=BB630_213 Depth=1
	s_or_b64 exec, exec, s[18:19]
.LBB630_512:                            ;   in Loop: Header=BB630_213 Depth=1
	s_or_b64 exec, exec, s[16:17]
.LBB630_513:                            ;   in Loop: Header=BB630_213 Depth=1
	s_or_b64 exec, exec, s[14:15]
	v_lshrrev_b32_e32 v46, 16, v44
	v_cmp_ne_u16_sdwa s[16:17], v46, v47 src0_sel:BYTE_0 src1_sel:DWORD
	s_and_saveexec_b64 s[14:15], s[16:17]
	s_cbranch_execz .LBB630_519
; %bb.514:                              ;   in Loop: Header=BB630_213 Depth=1
	v_cmp_ne_u16_sdwa s[18:19], v46, s9 src0_sel:BYTE_0 src1_sel:DWORD
	v_bfrev_b32_e32 v50, 1
	s_and_saveexec_b64 s[16:17], s[18:19]
	s_cbranch_execz .LBB630_518
; %bb.515:                              ;   in Loop: Header=BB630_213 Depth=1
	v_bfe_u32 v52, v44, 16, 7
	v_cmp_ne_u32_e32 vcc, s21, v52
	v_mov_b32_e32 v50, 0x7f800001
	s_and_saveexec_b64 s[18:19], vcc
	s_cbranch_execz .LBB630_517
; %bb.516:                              ;   in Loop: Header=BB630_213 Depth=1
	v_and_b32_e32 v50, 7, v46
	v_ffbh_u32_e32 v59, v50
	v_min_u32_e32 v59, 32, v59
	v_subrev_u32_e32 v60, 28, v59
	v_lshlrev_b64 v[60:61], v60, v[46:47]
	v_lshrrev_b32_e32 v53, 3, v52
	v_sub_u32_e32 v59, 29, v59
	v_and_b32_e32 v60, 7, v60
	v_cmp_gt_u32_e32 vcc, 8, v52
	v_cndmask_b32_e32 v52, v53, v59, vcc
	v_cndmask_b32_e32 v50, v50, v60, vcc
	v_lshlrev_b32_e32 v46, 24, v46
	v_lshlrev_b32_e32 v50, 20, v50
	v_and_b32_e32 v46, 0x80000000, v46
	v_lshl_add_u32 v52, v52, 23, v48
	v_or3_b32 v50, v46, v52, v50
.LBB630_517:                            ;   in Loop: Header=BB630_213 Depth=1
	s_or_b64 exec, exec, s[18:19]
.LBB630_518:                            ;   in Loop: Header=BB630_213 Depth=1
	s_or_b64 exec, exec, s[16:17]
.LBB630_519:                            ;   in Loop: Header=BB630_213 Depth=1
	s_or_b64 exec, exec, s[14:15]
	v_cmp_lt_u32_e32 vcc, s22, v44
	v_mov_b32_e32 v52, 0
	v_mov_b32_e32 v53, 0
	s_and_saveexec_b64 s[14:15], vcc
	s_cbranch_execz .LBB630_525
; %bb.520:                              ;   in Loop: Header=BB630_213 Depth=1
	v_lshrrev_b32_e32 v46, 24, v44
	v_cmp_ne_u32_e32 vcc, s9, v46
	v_bfrev_b32_e32 v53, 1
	s_and_saveexec_b64 s[16:17], vcc
	s_cbranch_execz .LBB630_524
; %bb.521:                              ;   in Loop: Header=BB630_213 Depth=1
	v_bfe_u32 v44, v44, 24, 7
	v_cmp_ne_u32_e32 vcc, s21, v44
	v_mov_b32_e32 v53, 0x7f800001
	s_and_saveexec_b64 s[18:19], vcc
	s_cbranch_execz .LBB630_523
; %bb.522:                              ;   in Loop: Header=BB630_213 Depth=1
	v_and_b32_e32 v53, 7, v46
	v_ffbh_u32_e32 v60, v53
	v_min_u32_e32 v62, 32, v60
	v_subrev_u32_e32 v60, 28, v62
	v_lshlrev_b64 v[60:61], v60, v[46:47]
	v_lshrrev_b32_e32 v59, 3, v44
	v_sub_u32_e32 v61, 29, v62
	v_and_b32_e32 v60, 7, v60
	v_cmp_gt_u32_e32 vcc, 8, v44
	v_cndmask_b32_e32 v44, v59, v61, vcc
	v_cndmask_b32_e32 v53, v53, v60, vcc
	v_lshlrev_b32_e32 v46, 24, v46
	v_lshlrev_b32_e32 v53, 20, v53
	v_and_b32_e32 v46, 0x80000000, v46
	v_lshl_add_u32 v44, v44, 23, v48
	v_or3_b32 v53, v46, v44, v53
.LBB630_523:                            ;   in Loop: Header=BB630_213 Depth=1
	s_or_b64 exec, exec, s[18:19]
.LBB630_524:                            ;   in Loop: Header=BB630_213 Depth=1
	s_or_b64 exec, exec, s[16:17]
.LBB630_525:                            ;   in Loop: Header=BB630_213 Depth=1
	s_or_b64 exec, exec, s[14:15]
	s_waitcnt vmcnt(2)
	v_cmp_ne_u16_sdwa s[16:17], v42, v47 src0_sel:BYTE_0 src1_sel:DWORD
	s_and_saveexec_b64 s[14:15], s[16:17]
	s_cbranch_execz .LBB630_531
; %bb.526:                              ;   in Loop: Header=BB630_213 Depth=1
	v_cmp_ne_u16_sdwa s[18:19], v42, s9 src0_sel:BYTE_0 src1_sel:DWORD
	v_bfrev_b32_e32 v52, 1
	s_and_saveexec_b64 s[16:17], s[18:19]
	s_cbranch_execz .LBB630_530
; %bb.527:                              ;   in Loop: Header=BB630_213 Depth=1
	v_and_b32_e32 v44, 0x7f, v42
	v_cmp_ne_u32_e32 vcc, s21, v44
	v_mov_b32_e32 v52, 0x7f800001
	s_and_saveexec_b64 s[18:19], vcc
	s_cbranch_execz .LBB630_529
; %bb.528:                              ;   in Loop: Header=BB630_213 Depth=1
	v_and_b32_e32 v46, 7, v42
	v_ffbh_u32_e32 v59, v46
	v_min_u32_e32 v59, 32, v59
	v_subrev_u32_e32 v60, 28, v59
	v_lshlrev_b64 v[60:61], v60, v[42:43]
	v_lshrrev_b32_e32 v52, 3, v44
	v_sub_u32_e32 v59, 29, v59
	v_and_b32_e32 v60, 7, v60
	v_cmp_gt_u32_e32 vcc, 8, v44
	v_cndmask_b32_e32 v44, v52, v59, vcc
	v_cndmask_b32_e32 v46, v46, v60, vcc
	v_lshlrev_b32_e32 v52, 24, v42
	v_lshlrev_b32_e32 v46, 20, v46
	v_and_b32_e32 v52, 0x80000000, v52
	v_lshl_add_u32 v44, v44, 23, v48
	v_or3_b32 v52, v52, v44, v46
.LBB630_529:                            ;   in Loop: Header=BB630_213 Depth=1
	s_or_b64 exec, exec, s[18:19]
.LBB630_530:                            ;   in Loop: Header=BB630_213 Depth=1
	s_or_b64 exec, exec, s[16:17]
.LBB630_531:                            ;   in Loop: Header=BB630_213 Depth=1
	s_or_b64 exec, exec, s[14:15]
	v_lshrrev_b16_e32 v44, 8, v42
	v_cmp_ne_u16_e32 vcc, 0, v44
	v_mov_b32_e32 v59, 0
	v_mov_b32_e32 v60, 0
	s_and_saveexec_b64 s[14:15], vcc
	s_cbranch_execz .LBB630_537
; %bb.532:                              ;   in Loop: Header=BB630_213 Depth=1
	v_cmp_ne_u16_e32 vcc, s9, v44
	v_bfrev_b32_e32 v60, 1
	s_and_saveexec_b64 s[16:17], vcc
	s_cbranch_execz .LBB630_536
; %bb.533:                              ;   in Loop: Header=BB630_213 Depth=1
	v_and_b32_e32 v46, 0x7f, v44
	v_cmp_ne_u32_e32 vcc, s21, v46
	v_mov_b32_e32 v60, 0x7f800001
	s_and_saveexec_b64 s[18:19], vcc
	s_cbranch_execz .LBB630_535
; %bb.534:                              ;   in Loop: Header=BB630_213 Depth=1
	v_and_b32_e32 v62, 7, v44
	v_ffbh_u32_e32 v60, v62
	v_min_u32_e32 v64, 32, v60
	v_subrev_u32_e32 v60, 28, v64
	v_lshlrev_b64 v[60:61], v60, v[44:45]
	v_lshrrev_b32_e32 v63, 3, v46
	v_sub_u32_e32 v44, 29, v64
	v_and_b32_e32 v60, 7, v60
	v_cmp_gt_u32_e32 vcc, 8, v46
	v_cndmask_b32_e32 v44, v63, v44, vcc
	v_cndmask_b32_e32 v46, v62, v60, vcc
	v_lshlrev_b32_e32 v60, 16, v42
	v_lshlrev_b32_e32 v46, 20, v46
	v_and_b32_e32 v60, 0x80000000, v60
	v_lshl_add_u32 v44, v44, 23, v48
	v_or3_b32 v60, v60, v44, v46
.LBB630_535:                            ;   in Loop: Header=BB630_213 Depth=1
	s_or_b64 exec, exec, s[18:19]
.LBB630_536:                            ;   in Loop: Header=BB630_213 Depth=1
	s_or_b64 exec, exec, s[16:17]
.LBB630_537:                            ;   in Loop: Header=BB630_213 Depth=1
	s_or_b64 exec, exec, s[14:15]
	v_lshrrev_b32_e32 v44, 16, v42
	v_cmp_ne_u16_sdwa s[16:17], v44, v47 src0_sel:BYTE_0 src1_sel:DWORD
	s_and_saveexec_b64 s[14:15], s[16:17]
	s_cbranch_execz .LBB630_543
; %bb.538:                              ;   in Loop: Header=BB630_213 Depth=1
	v_cmp_ne_u16_sdwa s[18:19], v44, s9 src0_sel:BYTE_0 src1_sel:DWORD
	v_bfrev_b32_e32 v59, 1
	s_and_saveexec_b64 s[16:17], s[18:19]
	s_cbranch_execz .LBB630_542
; %bb.539:                              ;   in Loop: Header=BB630_213 Depth=1
	v_bfe_u32 v46, v42, 16, 7
	v_cmp_ne_u32_e32 vcc, s21, v46
	v_mov_b32_e32 v59, 0x7f800001
	s_and_saveexec_b64 s[18:19], vcc
	s_cbranch_execz .LBB630_541
; %bb.540:                              ;   in Loop: Header=BB630_213 Depth=1
	v_and_b32_e32 v59, 7, v44
	v_ffbh_u32_e32 v62, v59
	v_min_u32_e32 v64, 32, v62
	v_subrev_u32_e32 v62, 28, v64
	v_lshlrev_b64 v[62:63], v62, v[44:45]
	v_lshrrev_b32_e32 v61, 3, v46
	v_sub_u32_e32 v63, 29, v64
	v_and_b32_e32 v62, 7, v62
	v_cmp_gt_u32_e32 vcc, 8, v46
	v_cndmask_b32_e32 v46, v61, v63, vcc
	v_cndmask_b32_e32 v59, v59, v62, vcc
	v_lshlrev_b32_e32 v44, 24, v44
	v_lshlrev_b32_e32 v59, 20, v59
	v_and_b32_e32 v44, 0x80000000, v44
	v_lshl_add_u32 v46, v46, 23, v48
	v_or3_b32 v59, v44, v46, v59
.LBB630_541:                            ;   in Loop: Header=BB630_213 Depth=1
	s_or_b64 exec, exec, s[18:19]
.LBB630_542:                            ;   in Loop: Header=BB630_213 Depth=1
	s_or_b64 exec, exec, s[16:17]
.LBB630_543:                            ;   in Loop: Header=BB630_213 Depth=1
	s_or_b64 exec, exec, s[14:15]
	v_cmp_lt_u32_e32 vcc, s22, v42
	v_mov_b32_e32 v46, 0
	v_mov_b32_e32 v61, 0
	s_and_saveexec_b64 s[14:15], vcc
	s_cbranch_execz .LBB630_549
; %bb.544:                              ;   in Loop: Header=BB630_213 Depth=1
	v_lshrrev_b32_e32 v44, 24, v42
	v_cmp_ne_u32_e32 vcc, s9, v44
	v_bfrev_b32_e32 v61, 1
	s_and_saveexec_b64 s[16:17], vcc
	s_cbranch_execz .LBB630_548
; %bb.545:                              ;   in Loop: Header=BB630_213 Depth=1
	v_bfe_u32 v42, v42, 24, 7
	v_cmp_ne_u32_e32 vcc, s21, v42
	v_mov_b32_e32 v61, 0x7f800001
	s_and_saveexec_b64 s[18:19], vcc
	s_cbranch_execz .LBB630_547
; %bb.546:                              ;   in Loop: Header=BB630_213 Depth=1
	v_and_b32_e32 v61, 7, v44
	v_ffbh_u32_e32 v62, v61
	v_min_u32_e32 v65, 32, v62
	v_subrev_u32_e32 v62, 28, v65
	v_lshlrev_b64 v[62:63], v62, v[44:45]
	v_lshrrev_b32_e32 v64, 3, v42
	v_sub_u32_e32 v63, 29, v65
	v_and_b32_e32 v62, 7, v62
	v_cmp_gt_u32_e32 vcc, 8, v42
	v_cndmask_b32_e32 v42, v64, v63, vcc
	v_cndmask_b32_e32 v61, v61, v62, vcc
	v_lshlrev_b32_e32 v44, 24, v44
	v_lshlrev_b32_e32 v61, 20, v61
	v_and_b32_e32 v44, 0x80000000, v44
	v_lshl_add_u32 v42, v42, 23, v48
	v_or3_b32 v61, v44, v42, v61
.LBB630_547:                            ;   in Loop: Header=BB630_213 Depth=1
	s_or_b64 exec, exec, s[18:19]
.LBB630_548:                            ;   in Loop: Header=BB630_213 Depth=1
	s_or_b64 exec, exec, s[16:17]
.LBB630_549:                            ;   in Loop: Header=BB630_213 Depth=1
	s_or_b64 exec, exec, s[14:15]
	v_cvt_pkrtz_f16_f32 v62, v49, v51
	v_cvt_pkrtz_f16_f32 v63, v50, v53
	;; [unrolled: 1-line block ×4, first 2 shown]
	s_waitcnt vmcnt(1)
	v_cmp_ne_u16_sdwa s[16:17], v40, v47 src0_sel:BYTE_0 src1_sel:DWORD
	v_mfma_f32_16x16x16f16 v[34:37], v[62:63], v[26:27], v[34:37]
	v_mfma_f32_16x16x16f16 v[34:37], v[50:51], v[28:29], v[34:37]
	s_and_saveexec_b64 s[14:15], s[16:17]
	s_cbranch_execz .LBB630_555
; %bb.550:                              ;   in Loop: Header=BB630_213 Depth=1
	v_cmp_ne_u16_sdwa s[18:19], v40, s9 src0_sel:BYTE_0 src1_sel:DWORD
	v_bfrev_b32_e32 v46, 1
	s_and_saveexec_b64 s[16:17], s[18:19]
	s_cbranch_execz .LBB630_554
; %bb.551:                              ;   in Loop: Header=BB630_213 Depth=1
	v_and_b32_e32 v42, 0x7f, v40
	v_cmp_ne_u32_e32 vcc, s21, v42
	v_mov_b32_e32 v46, 0x7f800001
	s_and_saveexec_b64 s[18:19], vcc
	s_cbranch_execz .LBB630_553
; %bb.552:                              ;   in Loop: Header=BB630_213 Depth=1
	v_and_b32_e32 v44, 7, v40
	v_ffbh_u32_e32 v49, v44
	v_min_u32_e32 v49, 32, v49
	v_subrev_u32_e32 v50, 28, v49
	v_lshlrev_b64 v[50:51], v50, v[40:41]
	v_lshrrev_b32_e32 v46, 3, v42
	v_sub_u32_e32 v49, 29, v49
	v_and_b32_e32 v50, 7, v50
	v_cmp_gt_u32_e32 vcc, 8, v42
	v_cndmask_b32_e32 v42, v46, v49, vcc
	v_cndmask_b32_e32 v44, v44, v50, vcc
	v_lshlrev_b32_e32 v46, 24, v40
	v_lshlrev_b32_e32 v44, 20, v44
	v_and_b32_e32 v46, 0x80000000, v46
	v_lshl_add_u32 v42, v42, 23, v48
	v_or3_b32 v46, v46, v42, v44
.LBB630_553:                            ;   in Loop: Header=BB630_213 Depth=1
	s_or_b64 exec, exec, s[18:19]
.LBB630_554:                            ;   in Loop: Header=BB630_213 Depth=1
	s_or_b64 exec, exec, s[16:17]
.LBB630_555:                            ;   in Loop: Header=BB630_213 Depth=1
	s_or_b64 exec, exec, s[14:15]
	v_lshrrev_b16_e32 v42, 8, v40
	v_cmp_ne_u16_e32 vcc, 0, v42
	v_mov_b32_e32 v44, 0
	v_mov_b32_e32 v49, 0
	s_and_saveexec_b64 s[14:15], vcc
	s_cbranch_execz .LBB630_561
; %bb.556:                              ;   in Loop: Header=BB630_213 Depth=1
	v_cmp_ne_u16_e32 vcc, s9, v42
	v_bfrev_b32_e32 v49, 1
	s_and_saveexec_b64 s[16:17], vcc
	s_cbranch_execz .LBB630_560
; %bb.557:                              ;   in Loop: Header=BB630_213 Depth=1
	v_and_b32_e32 v50, 0x7f, v42
	v_cmp_ne_u32_e32 vcc, s21, v50
	v_mov_b32_e32 v49, 0x7f800001
	s_and_saveexec_b64 s[18:19], vcc
	s_cbranch_execz .LBB630_559
; %bb.558:                              ;   in Loop: Header=BB630_213 Depth=1
	v_and_b32_e32 v49, 7, v42
	v_ffbh_u32_e32 v52, v49
	v_min_u32_e32 v59, 32, v52
	v_subrev_u32_e32 v52, 28, v59
	v_lshlrev_b64 v[52:53], v52, v[42:43]
	v_lshrrev_b32_e32 v51, 3, v50
	v_sub_u32_e32 v42, 29, v59
	v_and_b32_e32 v52, 7, v52
	v_cmp_gt_u32_e32 vcc, 8, v50
	v_cndmask_b32_e32 v42, v51, v42, vcc
	v_cndmask_b32_e32 v49, v49, v52, vcc
	v_lshlrev_b32_e32 v50, 16, v40
	v_lshlrev_b32_e32 v49, 20, v49
	v_and_b32_e32 v50, 0x80000000, v50
	v_lshl_add_u32 v42, v42, 23, v48
	v_or3_b32 v49, v50, v42, v49
.LBB630_559:                            ;   in Loop: Header=BB630_213 Depth=1
	s_or_b64 exec, exec, s[18:19]
.LBB630_560:                            ;   in Loop: Header=BB630_213 Depth=1
	s_or_b64 exec, exec, s[16:17]
.LBB630_561:                            ;   in Loop: Header=BB630_213 Depth=1
	s_or_b64 exec, exec, s[14:15]
	v_lshrrev_b32_e32 v42, 16, v40
	v_cmp_ne_u16_sdwa s[16:17], v42, v47 src0_sel:BYTE_0 src1_sel:DWORD
	s_and_saveexec_b64 s[14:15], s[16:17]
	s_cbranch_execz .LBB630_567
; %bb.562:                              ;   in Loop: Header=BB630_213 Depth=1
	v_cmp_ne_u16_sdwa s[18:19], v42, s9 src0_sel:BYTE_0 src1_sel:DWORD
	v_bfrev_b32_e32 v44, 1
	s_and_saveexec_b64 s[16:17], s[18:19]
	s_cbranch_execz .LBB630_566
; %bb.563:                              ;   in Loop: Header=BB630_213 Depth=1
	v_bfe_u32 v50, v40, 16, 7
	v_cmp_ne_u32_e32 vcc, s21, v50
	v_mov_b32_e32 v44, 0x7f800001
	s_and_saveexec_b64 s[18:19], vcc
	s_cbranch_execz .LBB630_565
; %bb.564:                              ;   in Loop: Header=BB630_213 Depth=1
	v_and_b32_e32 v44, 7, v42
	v_ffbh_u32_e32 v52, v44
	v_min_u32_e32 v59, 32, v52
	v_subrev_u32_e32 v52, 28, v59
	v_lshlrev_b64 v[52:53], v52, v[42:43]
	v_lshrrev_b32_e32 v51, 3, v50
	v_sub_u32_e32 v53, 29, v59
	v_and_b32_e32 v52, 7, v52
	v_cmp_gt_u32_e32 vcc, 8, v50
	v_cndmask_b32_e32 v50, v51, v53, vcc
	v_cndmask_b32_e32 v44, v44, v52, vcc
	v_lshlrev_b32_e32 v42, 24, v42
	v_lshlrev_b32_e32 v44, 20, v44
	v_and_b32_e32 v42, 0x80000000, v42
	v_lshl_add_u32 v50, v50, 23, v48
	v_or3_b32 v44, v42, v50, v44
.LBB630_565:                            ;   in Loop: Header=BB630_213 Depth=1
	s_or_b64 exec, exec, s[18:19]
.LBB630_566:                            ;   in Loop: Header=BB630_213 Depth=1
	s_or_b64 exec, exec, s[16:17]
.LBB630_567:                            ;   in Loop: Header=BB630_213 Depth=1
	s_or_b64 exec, exec, s[14:15]
	v_cmp_lt_u32_e32 vcc, s22, v40
	v_mov_b32_e32 v50, 0
	v_mov_b32_e32 v51, 0
	s_and_saveexec_b64 s[14:15], vcc
	s_cbranch_execz .LBB630_573
; %bb.568:                              ;   in Loop: Header=BB630_213 Depth=1
	v_lshrrev_b32_e32 v42, 24, v40
	v_cmp_ne_u32_e32 vcc, s9, v42
	v_bfrev_b32_e32 v51, 1
	s_and_saveexec_b64 s[16:17], vcc
	s_cbranch_execz .LBB630_572
; %bb.569:                              ;   in Loop: Header=BB630_213 Depth=1
	v_bfe_u32 v40, v40, 24, 7
	v_cmp_ne_u32_e32 vcc, s21, v40
	v_mov_b32_e32 v51, 0x7f800001
	s_and_saveexec_b64 s[18:19], vcc
	s_cbranch_execz .LBB630_571
; %bb.570:                              ;   in Loop: Header=BB630_213 Depth=1
	v_and_b32_e32 v51, 7, v42
	v_ffbh_u32_e32 v52, v51
	v_min_u32_e32 v60, 32, v52
	v_subrev_u32_e32 v52, 28, v60
	v_lshlrev_b64 v[52:53], v52, v[42:43]
	v_lshrrev_b32_e32 v59, 3, v40
	v_sub_u32_e32 v53, 29, v60
	v_and_b32_e32 v52, 7, v52
	v_cmp_gt_u32_e32 vcc, 8, v40
	v_cndmask_b32_e32 v40, v59, v53, vcc
	v_cndmask_b32_e32 v51, v51, v52, vcc
	v_lshlrev_b32_e32 v42, 24, v42
	v_lshlrev_b32_e32 v51, 20, v51
	v_and_b32_e32 v42, 0x80000000, v42
	v_lshl_add_u32 v40, v40, 23, v48
	v_or3_b32 v51, v42, v40, v51
.LBB630_571:                            ;   in Loop: Header=BB630_213 Depth=1
	s_or_b64 exec, exec, s[18:19]
.LBB630_572:                            ;   in Loop: Header=BB630_213 Depth=1
	s_or_b64 exec, exec, s[16:17]
.LBB630_573:                            ;   in Loop: Header=BB630_213 Depth=1
	s_or_b64 exec, exec, s[14:15]
	s_waitcnt vmcnt(0)
	v_cmp_ne_u16_sdwa s[16:17], v38, v47 src0_sel:BYTE_0 src1_sel:DWORD
	s_and_saveexec_b64 s[14:15], s[16:17]
	s_cbranch_execz .LBB630_579
; %bb.574:                              ;   in Loop: Header=BB630_213 Depth=1
	v_cmp_ne_u16_sdwa s[18:19], v38, s9 src0_sel:BYTE_0 src1_sel:DWORD
	v_bfrev_b32_e32 v50, 1
	s_and_saveexec_b64 s[16:17], s[18:19]
	s_cbranch_execz .LBB630_578
; %bb.575:                              ;   in Loop: Header=BB630_213 Depth=1
	v_and_b32_e32 v40, 0x7f, v38
	v_cmp_ne_u32_e32 vcc, s21, v40
	v_mov_b32_e32 v50, 0x7f800001
	s_and_saveexec_b64 s[18:19], vcc
	s_cbranch_execz .LBB630_577
; %bb.576:                              ;   in Loop: Header=BB630_213 Depth=1
	v_and_b32_e32 v42, 7, v38
	v_ffbh_u32_e32 v52, v42
	v_min_u32_e32 v59, 32, v52
	v_subrev_u32_e32 v52, 28, v59
	v_lshlrev_b64 v[52:53], v52, v[38:39]
	v_lshrrev_b32_e32 v50, 3, v40
	v_sub_u32_e32 v53, 29, v59
	v_and_b32_e32 v52, 7, v52
	v_cmp_gt_u32_e32 vcc, 8, v40
	v_cndmask_b32_e32 v40, v50, v53, vcc
	v_cndmask_b32_e32 v42, v42, v52, vcc
	v_lshlrev_b32_e32 v50, 24, v38
	v_lshlrev_b32_e32 v42, 20, v42
	v_and_b32_e32 v50, 0x80000000, v50
	v_lshl_add_u32 v40, v40, 23, v48
	v_or3_b32 v50, v50, v40, v42
.LBB630_577:                            ;   in Loop: Header=BB630_213 Depth=1
	s_or_b64 exec, exec, s[18:19]
.LBB630_578:                            ;   in Loop: Header=BB630_213 Depth=1
	s_or_b64 exec, exec, s[16:17]
.LBB630_579:                            ;   in Loop: Header=BB630_213 Depth=1
	s_or_b64 exec, exec, s[14:15]
	v_lshrrev_b16_e32 v40, 8, v38
	v_cmp_ne_u16_e32 vcc, 0, v40
	v_mov_b32_e32 v42, 0
	v_mov_b32_e32 v52, 0
	s_and_saveexec_b64 s[14:15], vcc
	s_cbranch_execz .LBB630_585
; %bb.580:                              ;   in Loop: Header=BB630_213 Depth=1
	v_cmp_ne_u16_e32 vcc, s9, v40
	v_bfrev_b32_e32 v52, 1
	s_and_saveexec_b64 s[16:17], vcc
	s_cbranch_execz .LBB630_584
; %bb.581:                              ;   in Loop: Header=BB630_213 Depth=1
	v_and_b32_e32 v53, 0x7f, v40
	v_cmp_ne_u32_e32 vcc, s21, v53
	v_mov_b32_e32 v52, 0x7f800001
	s_and_saveexec_b64 s[18:19], vcc
	s_cbranch_execz .LBB630_583
; %bb.582:                              ;   in Loop: Header=BB630_213 Depth=1
	v_and_b32_e32 v52, 7, v40
	v_ffbh_u32_e32 v60, v52
	v_min_u32_e32 v62, 32, v60
	v_subrev_u32_e32 v60, 28, v62
	v_lshlrev_b64 v[60:61], v60, v[40:41]
	v_lshrrev_b32_e32 v59, 3, v53
	v_sub_u32_e32 v40, 29, v62
	v_and_b32_e32 v60, 7, v60
	v_cmp_gt_u32_e32 vcc, 8, v53
	v_cndmask_b32_e32 v40, v59, v40, vcc
	v_cndmask_b32_e32 v52, v52, v60, vcc
	v_lshlrev_b32_e32 v53, 16, v38
	v_lshlrev_b32_e32 v52, 20, v52
	v_and_b32_e32 v53, 0x80000000, v53
	v_lshl_add_u32 v40, v40, 23, v48
	v_or3_b32 v52, v53, v40, v52
.LBB630_583:                            ;   in Loop: Header=BB630_213 Depth=1
	s_or_b64 exec, exec, s[18:19]
.LBB630_584:                            ;   in Loop: Header=BB630_213 Depth=1
	s_or_b64 exec, exec, s[16:17]
.LBB630_585:                            ;   in Loop: Header=BB630_213 Depth=1
	s_or_b64 exec, exec, s[14:15]
	v_lshrrev_b32_e32 v40, 16, v38
	v_cmp_ne_u16_sdwa s[16:17], v40, v47 src0_sel:BYTE_0 src1_sel:DWORD
	s_and_saveexec_b64 s[14:15], s[16:17]
	s_cbranch_execz .LBB630_591
; %bb.586:                              ;   in Loop: Header=BB630_213 Depth=1
	v_cmp_ne_u16_sdwa s[18:19], v40, s9 src0_sel:BYTE_0 src1_sel:DWORD
	v_bfrev_b32_e32 v42, 1
	s_and_saveexec_b64 s[16:17], s[18:19]
	s_cbranch_execz .LBB630_590
; %bb.587:                              ;   in Loop: Header=BB630_213 Depth=1
	v_bfe_u32 v53, v38, 16, 7
	v_cmp_ne_u32_e32 vcc, s21, v53
	v_mov_b32_e32 v42, 0x7f800001
	s_and_saveexec_b64 s[18:19], vcc
	s_cbranch_execz .LBB630_589
; %bb.588:                              ;   in Loop: Header=BB630_213 Depth=1
	v_and_b32_e32 v42, 7, v40
	v_ffbh_u32_e32 v60, v42
	v_min_u32_e32 v62, 32, v60
	v_subrev_u32_e32 v60, 28, v62
	v_lshlrev_b64 v[60:61], v60, v[40:41]
	v_lshrrev_b32_e32 v59, 3, v53
	v_sub_u32_e32 v61, 29, v62
	v_and_b32_e32 v60, 7, v60
	v_cmp_gt_u32_e32 vcc, 8, v53
	v_cndmask_b32_e32 v53, v59, v61, vcc
	v_cndmask_b32_e32 v42, v42, v60, vcc
	v_lshlrev_b32_e32 v40, 24, v40
	v_lshlrev_b32_e32 v42, 20, v42
	v_and_b32_e32 v40, 0x80000000, v40
	v_lshl_add_u32 v53, v53, 23, v48
	v_or3_b32 v42, v40, v53, v42
.LBB630_589:                            ;   in Loop: Header=BB630_213 Depth=1
	s_or_b64 exec, exec, s[18:19]
.LBB630_590:                            ;   in Loop: Header=BB630_213 Depth=1
	s_or_b64 exec, exec, s[16:17]
.LBB630_591:                            ;   in Loop: Header=BB630_213 Depth=1
	s_or_b64 exec, exec, s[14:15]
	v_cmp_lt_u32_e32 vcc, s22, v38
	v_mov_b32_e32 v53, 0
	s_and_saveexec_b64 s[14:15], vcc
	s_cbranch_execz .LBB630_212
; %bb.592:                              ;   in Loop: Header=BB630_213 Depth=1
	v_lshrrev_b32_e32 v40, 24, v38
	v_cmp_ne_u32_e32 vcc, s9, v40
	v_bfrev_b32_e32 v53, 1
	s_and_saveexec_b64 s[16:17], vcc
	s_cbranch_execz .LBB630_211
; %bb.593:                              ;   in Loop: Header=BB630_213 Depth=1
	v_bfe_u32 v38, v38, 24, 7
	v_cmp_ne_u32_e32 vcc, s21, v38
	v_mov_b32_e32 v53, 0x7f800001
	s_and_saveexec_b64 s[18:19], vcc
	s_cbranch_execz .LBB630_210
; %bb.594:                              ;   in Loop: Header=BB630_213 Depth=1
	v_and_b32_e32 v53, 7, v40
	v_ffbh_u32_e32 v60, v53
	v_min_u32_e32 v62, 32, v60
	v_subrev_u32_e32 v60, 28, v62
	v_lshlrev_b64 v[60:61], v60, v[40:41]
	v_lshrrev_b32_e32 v59, 3, v38
	v_sub_u32_e32 v61, 29, v62
	v_and_b32_e32 v60, 7, v60
	v_cmp_gt_u32_e32 vcc, 8, v38
	v_cndmask_b32_e32 v38, v59, v61, vcc
	v_cndmask_b32_e32 v53, v53, v60, vcc
	v_lshlrev_b32_e32 v40, 24, v40
	v_lshlrev_b32_e32 v53, 20, v53
	v_and_b32_e32 v40, 0x80000000, v40
	v_lshl_add_u32 v38, v38, 23, v48
	v_or3_b32 v53, v40, v38, v53
	s_branch .LBB630_210
.LBB630_595:
	s_barrier
	buffer_load_dword v2, off, s[0:3], 0 offset:320
	buffer_load_dword v5, off, s[0:3], 0 offset:332
	;; [unrolled: 1-line block ×4, first 2 shown]
	v_cmp_gt_u32_e32 vcc, 64, v0
	s_waitcnt vmcnt(0)
	ds_write2st64_b64 v43, v[2:3], v[4:5] offset1:1
	s_waitcnt lgkmcnt(0)
	s_barrier
	s_and_saveexec_b64 s[6:7], vcc
	s_cbranch_execz .LBB630_598
; %bb.596:
	s_lshl_b32 s6, s50, 7
	s_mul_i32 s7, s20, s8
	s_mul_hi_u32 s11, s7, s6
	s_mul_i32 s10, s7, s6
	s_lshl_b64 s[10:11], s[10:11], 1
	v_lshlrev_b32_e32 v4, 6, v55
	s_add_u32 s7, s48, s10
	v_lshl_or_b32 v0, v0, 10, v4
	s_mov_b32 s9, 0
	s_addc_u32 s10, s49, s11
	s_lshl_b32 s8, s24, 7
	v_lshlrev_b32_e32 v2, 5, v1
	v_and_b32_e32 v3, 16, v56
	v_and_b32_e32 v0, 0x1a00, v0
	s_lshl_b64 s[8:9], s[8:9], 1
	v_or3_b32 v0, v0, v2, v3
	s_add_u32 s7, s7, s8
	s_addc_u32 s8, s10, s9
	ds_read_b128 v[4:7], v0 offset:128
	ds_read_b128 v[8:11], v0
	v_add_u32_e32 v14, s25, v1
	v_mov_b32_e32 v3, s8
	v_add_co_u32_e32 v2, vcc, s7, v54
	v_mad_u64_u32 v[12:13], s[8:9], v14, s6, 0
	v_addc_co_u32_e32 v3, vcc, 0, v3, vcc
	v_lshlrev_b64 v[12:13], 1, v[12:13]
	v_add_co_u32_e32 v12, vcc, v2, v12
	v_addc_co_u32_e32 v13, vcc, v3, v13, vcc
	s_waitcnt lgkmcnt(0)
	global_store_dwordx4 v[12:13], v[8:11], off
	s_nop 0
	v_add_u32_e32 v8, 4, v14
	v_mad_u64_u32 v[8:9], s[8:9], v8, s6, 0
	v_lshlrev_b64 v[8:9], 1, v[8:9]
	v_add_co_u32_e32 v8, vcc, v2, v8
	v_addc_co_u32_e32 v9, vcc, v3, v9, vcc
	global_store_dwordx4 v[8:9], v[4:7], off
	s_and_b64 exec, exec, s[4:5]
	s_cbranch_execz .LBB630_598
; %bb.597:
	ds_read_b128 v[4:7], v0 offset:256
	v_add3_u32 v0, s25, v1, 8
	v_mad_u64_u32 v[0:1], s[4:5], v0, s6, 0
	v_lshlrev_b64 v[0:1], 1, v[0:1]
	v_add_co_u32_e32 v0, vcc, v2, v0
	v_addc_co_u32_e32 v1, vcc, v3, v1, vcc
	s_waitcnt lgkmcnt(0)
	global_store_dwordx4 v[0:1], v[4:7], off
.LBB630_598:
	s_endpgm
	.section	.rodata,"a",@progbits
	.p2align	6, 0x0
	.amdhsa_kernel _Z39paged_attention_ll4mi_QKV_mfma16_kernelIDF16_hLN4vllm18Fp8KVCacheDataTypeE1EDF16_Li16ELi128ELi256ELb0ELi9EL8MFMAType0EEvPKT_PKT0_S8_ifPKiSA_SA_iPKfiiiPfSD_PS3_PT2_iSC_SC_
		.amdhsa_group_segment_fixed_size 8192
		.amdhsa_private_segment_fixed_size 352
		.amdhsa_kernarg_size 400
		.amdhsa_user_sgpr_count 8
		.amdhsa_user_sgpr_private_segment_buffer 1
		.amdhsa_user_sgpr_dispatch_ptr 0
		.amdhsa_user_sgpr_queue_ptr 0
		.amdhsa_user_sgpr_kernarg_segment_ptr 1
		.amdhsa_user_sgpr_dispatch_id 0
		.amdhsa_user_sgpr_flat_scratch_init 1
		.amdhsa_user_sgpr_kernarg_preload_length 0
		.amdhsa_user_sgpr_kernarg_preload_offset 0
		.amdhsa_user_sgpr_private_segment_size 0
		.amdhsa_uses_dynamic_stack 0
		.amdhsa_system_sgpr_private_segment_wavefront_offset 1
		.amdhsa_system_sgpr_workgroup_id_x 1
		.amdhsa_system_sgpr_workgroup_id_y 1
		.amdhsa_system_sgpr_workgroup_id_z 1
		.amdhsa_system_sgpr_workgroup_info 0
		.amdhsa_system_vgpr_workitem_id 0
		.amdhsa_next_free_vgpr 76
		.amdhsa_next_free_sgpr 53
		.amdhsa_accum_offset 76
		.amdhsa_reserve_vcc 1
		.amdhsa_reserve_flat_scratch 0
		.amdhsa_float_round_mode_32 0
		.amdhsa_float_round_mode_16_64 0
		.amdhsa_float_denorm_mode_32 3
		.amdhsa_float_denorm_mode_16_64 3
		.amdhsa_dx10_clamp 1
		.amdhsa_ieee_mode 1
		.amdhsa_fp16_overflow 0
		.amdhsa_tg_split 0
		.amdhsa_exception_fp_ieee_invalid_op 0
		.amdhsa_exception_fp_denorm_src 0
		.amdhsa_exception_fp_ieee_div_zero 0
		.amdhsa_exception_fp_ieee_overflow 0
		.amdhsa_exception_fp_ieee_underflow 0
		.amdhsa_exception_fp_ieee_inexact 0
		.amdhsa_exception_int_div_zero 0
	.end_amdhsa_kernel
	.section	.text._Z39paged_attention_ll4mi_QKV_mfma16_kernelIDF16_hLN4vllm18Fp8KVCacheDataTypeE1EDF16_Li16ELi128ELi256ELb0ELi9EL8MFMAType0EEvPKT_PKT0_S8_ifPKiSA_SA_iPKfiiiPfSD_PS3_PT2_iSC_SC_,"axG",@progbits,_Z39paged_attention_ll4mi_QKV_mfma16_kernelIDF16_hLN4vllm18Fp8KVCacheDataTypeE1EDF16_Li16ELi128ELi256ELb0ELi9EL8MFMAType0EEvPKT_PKT0_S8_ifPKiSA_SA_iPKfiiiPfSD_PS3_PT2_iSC_SC_,comdat
.Lfunc_end630:
	.size	_Z39paged_attention_ll4mi_QKV_mfma16_kernelIDF16_hLN4vllm18Fp8KVCacheDataTypeE1EDF16_Li16ELi128ELi256ELb0ELi9EL8MFMAType0EEvPKT_PKT0_S8_ifPKiSA_SA_iPKfiiiPfSD_PS3_PT2_iSC_SC_, .Lfunc_end630-_Z39paged_attention_ll4mi_QKV_mfma16_kernelIDF16_hLN4vllm18Fp8KVCacheDataTypeE1EDF16_Li16ELi128ELi256ELb0ELi9EL8MFMAType0EEvPKT_PKT0_S8_ifPKiSA_SA_iPKfiiiPfSD_PS3_PT2_iSC_SC_
                                        ; -- End function
	.section	.AMDGPU.csdata,"",@progbits
; Kernel info:
; codeLenInByte = 21204
; NumSgprs: 57
; NumVgprs: 76
; NumAgprs: 0
; TotalNumVgprs: 76
; ScratchSize: 352
; MemoryBound: 0
; FloatMode: 240
; IeeeMode: 1
; LDSByteSize: 8192 bytes/workgroup (compile time only)
; SGPRBlocks: 7
; VGPRBlocks: 9
; NumSGPRsForWavesPerEU: 57
; NumVGPRsForWavesPerEU: 76
; AccumOffset: 76
; Occupancy: 6
; WaveLimiterHint : 1
; COMPUTE_PGM_RSRC2:SCRATCH_EN: 1
; COMPUTE_PGM_RSRC2:USER_SGPR: 8
; COMPUTE_PGM_RSRC2:TRAP_HANDLER: 0
; COMPUTE_PGM_RSRC2:TGID_X_EN: 1
; COMPUTE_PGM_RSRC2:TGID_Y_EN: 1
; COMPUTE_PGM_RSRC2:TGID_Z_EN: 1
; COMPUTE_PGM_RSRC2:TIDIG_COMP_CNT: 0
; COMPUTE_PGM_RSRC3_GFX90A:ACCUM_OFFSET: 18
; COMPUTE_PGM_RSRC3_GFX90A:TG_SPLIT: 0
	.section	.text._Z39paged_attention_ll4mi_QKV_mfma16_kernelIDF16_hLN4vllm18Fp8KVCacheDataTypeE1EDF16_Li16ELi128ELi256ELb0ELi10EL8MFMAType0EEvPKT_PKT0_S8_ifPKiSA_SA_iPKfiiiPfSD_PS3_PT2_iSC_SC_,"axG",@progbits,_Z39paged_attention_ll4mi_QKV_mfma16_kernelIDF16_hLN4vllm18Fp8KVCacheDataTypeE1EDF16_Li16ELi128ELi256ELb0ELi10EL8MFMAType0EEvPKT_PKT0_S8_ifPKiSA_SA_iPKfiiiPfSD_PS3_PT2_iSC_SC_,comdat
	.protected	_Z39paged_attention_ll4mi_QKV_mfma16_kernelIDF16_hLN4vllm18Fp8KVCacheDataTypeE1EDF16_Li16ELi128ELi256ELb0ELi10EL8MFMAType0EEvPKT_PKT0_S8_ifPKiSA_SA_iPKfiiiPfSD_PS3_PT2_iSC_SC_ ; -- Begin function _Z39paged_attention_ll4mi_QKV_mfma16_kernelIDF16_hLN4vllm18Fp8KVCacheDataTypeE1EDF16_Li16ELi128ELi256ELb0ELi10EL8MFMAType0EEvPKT_PKT0_S8_ifPKiSA_SA_iPKfiiiPfSD_PS3_PT2_iSC_SC_
	.globl	_Z39paged_attention_ll4mi_QKV_mfma16_kernelIDF16_hLN4vllm18Fp8KVCacheDataTypeE1EDF16_Li16ELi128ELi256ELb0ELi10EL8MFMAType0EEvPKT_PKT0_S8_ifPKiSA_SA_iPKfiiiPfSD_PS3_PT2_iSC_SC_
	.p2align	8
	.type	_Z39paged_attention_ll4mi_QKV_mfma16_kernelIDF16_hLN4vllm18Fp8KVCacheDataTypeE1EDF16_Li16ELi128ELi256ELb0ELi10EL8MFMAType0EEvPKT_PKT0_S8_ifPKiSA_SA_iPKfiiiPfSD_PS3_PT2_iSC_SC_,@function
_Z39paged_attention_ll4mi_QKV_mfma16_kernelIDF16_hLN4vllm18Fp8KVCacheDataTypeE1EDF16_Li16ELi128ELi256ELb0ELi10EL8MFMAType0EEvPKT_PKT0_S8_ifPKiSA_SA_iPKfiiiPfSD_PS3_PT2_iSC_SC_: ; @_Z39paged_attention_ll4mi_QKV_mfma16_kernelIDF16_hLN4vllm18Fp8KVCacheDataTypeE1EDF16_Li16ELi128ELi256ELb0ELi10EL8MFMAType0EEvPKT_PKT0_S8_ifPKiSA_SA_iPKfiiiPfSD_PS3_PT2_iSC_SC_
; %bb.0:
	s_load_dwordx2 s[6:7], s[4:5], 0x30
	s_add_u32 s0, s0, s11
	s_addc_u32 s1, s1, 0
	s_mov_b32 s24, s9
	s_mov_b64 s[12:13], 0
	s_waitcnt lgkmcnt(0)
	s_cmp_lg_u64 s[6:7], 0
	s_cselect_b64 s[16:17], -1, 0
	s_and_b64 vcc, exec, s[16:17]
	s_cbranch_vccz .LBB631_7
; %bb.1:
	s_add_i32 s14, s8, 1
	s_mov_b32 s15, 0
	s_lshl_b64 s[18:19], s[14:15], 2
	s_add_u32 s18, s6, s18
	s_mov_b32 s9, s15
	s_addc_u32 s19, s7, s19
	s_lshl_b64 s[14:15], s[8:9], 2
	s_add_u32 s14, s6, s14
	s_addc_u32 s15, s7, s15
	s_load_dword s11, s[18:19], 0x0
	s_load_dword s20, s[14:15], 0x0
	s_waitcnt lgkmcnt(0)
	s_sub_i32 s11, s11, s20
	s_cmp_eq_u32 s11, 1
	s_cselect_b64 s[14:15], -1, 0
	s_andn2_b64 vcc, exec, s[12:13]
	s_cbranch_vccnz .LBB631_3
.LBB631_2:
	s_mov_b32 s9, 0
	s_mov_b64 s[14:15], -1
.LBB631_3:
	s_andn2_b64 vcc, exec, s[14:15]
	s_cbranch_vccnz .LBB631_598
; %bb.4:
	s_load_dwordx2 s[12:13], s[4:5], 0x28
	s_lshl_b64 s[18:19], s[8:9], 2
	s_waitcnt lgkmcnt(0)
	s_add_u32 s12, s12, s18
	s_addc_u32 s13, s13, s19
	s_load_dword s33, s[12:13], 0x0
	s_lshl_b32 s20, s24, 8
	s_waitcnt lgkmcnt(0)
	s_cmp_ge_i32 s20, s33
	s_cbranch_scc1 .LBB631_598
; %bb.5:
	s_add_i32 s14, s33, 15
	s_load_dwordx2 s[12:13], s[4:5], 0x20
	s_load_dword s11, s[4:5], 0x38
	s_ashr_i32 s15, s14, 31
	v_and_b32_e32 v1, 0xcf, v0
	s_lshr_b32 s15, s15, 28
	v_add_u32_e32 v1, s20, v1
	s_add_i32 s14, s14, s15
	v_ashrrev_i32_e32 v2, 31, v1
	s_ashr_i32 s22, s14, 4
	v_lshrrev_b32_e32 v6, 28, v2
	s_add_i32 s22, s22, -1
	v_add_u32_e32 v2, v1, v6
	s_waitcnt lgkmcnt(0)
	s_mul_i32 s14, s8, s11
	s_mov_b32 s15, 0
	v_ashrrev_i32_e32 v2, 4, v2
	v_mov_b32_e32 v7, s22
	v_cmp_gt_i32_e32 vcc, s33, v1
	s_lshl_b64 s[14:15], s[14:15], 2
	v_cndmask_b32_e32 v2, v7, v2, vcc
	s_add_u32 s11, s12, s14
	v_ashrrev_i32_e32 v3, 31, v2
	s_addc_u32 s21, s13, s15
	v_lshlrev_b64 v[2:3], 2, v[2:3]
	v_mov_b32_e32 v5, s21
	v_add_co_u32_e32 v4, vcc, s11, v2
	v_or_b32_e32 v2, 16, v1
	v_addc_co_u32_e32 v5, vcc, v5, v3, vcc
	v_add_u32_e32 v3, v2, v6
	v_ashrrev_i32_e32 v3, 4, v3
	v_cmp_gt_i32_e32 vcc, s33, v2
	v_cndmask_b32_e32 v2, v7, v3, vcc
	v_ashrrev_i32_e32 v3, 31, v2
	v_lshlrev_b64 v[2:3], 2, v[2:3]
	v_mov_b32_e32 v9, s21
	v_add_co_u32_e32 v8, vcc, s11, v2
	v_or_b32_e32 v2, 32, v1
	v_addc_co_u32_e32 v9, vcc, v9, v3, vcc
	v_add_u32_e32 v3, v2, v6
	v_ashrrev_i32_e32 v3, 4, v3
	v_cmp_gt_i32_e32 vcc, s33, v2
	v_cndmask_b32_e32 v2, v7, v3, vcc
	v_ashrrev_i32_e32 v3, 31, v2
	;; [unrolled: 10-line block ×3, first 2 shown]
	v_lshlrev_b64 v[2:3], 2, v[2:3]
	v_mov_b32_e32 v1, s21
	v_add_co_u32_e32 v12, vcc, s11, v2
	v_addc_co_u32_e32 v13, vcc, v1, v3, vcc
	global_load_dword v3, v[4:5], off
	global_load_dword v2, v[8:9], off
	;; [unrolled: 1-line block ×4, first 2 shown]
	s_load_dwordx4 s[12:15], s[4:5], 0x8
	s_andn2_b64 vcc, exec, s[16:17]
	s_cbranch_vccnz .LBB631_8
; %bb.6:
	s_add_u32 s6, s6, s18
	s_addc_u32 s7, s7, s19
	s_load_dword s16, s[6:7], 0x0
	s_branch .LBB631_9
.LBB631_7:
	s_mov_b64 s[14:15], 0
	s_branch .LBB631_2
.LBB631_8:
	s_mov_b32 s16, s8
.LBB631_9:
	s_load_dwordx2 s[48:49], s[4:5], 0x68
	s_load_dwordx8 s[40:47], s[4:5], 0x48
	v_lshrrev_b32_e32 v62, 6, v0
	v_bfe_u32 v1, v0, 4, 2
	v_and_b32_e32 v55, 15, v0
	v_lshl_or_b32 v4, v62, 2, v1
	v_lshlrev_b32_e32 v5, 3, v55
	s_mul_i32 s25, s10, 10
	v_cmp_gt_u32_e32 vcc, 10, v4
	v_lshlrev_b32_e32 v54, 1, v5
	v_lshlrev_b32_e32 v56, 4, v0
	s_and_saveexec_b64 s[6:7], vcc
	s_cbranch_execz .LBB631_11
; %bb.10:
	s_load_dwordx2 s[18:19], s[4:5], 0x0
	s_waitcnt lgkmcnt(0)
	s_ashr_i32 s17, s40, 31
	s_mul_hi_u32 s23, s16, s40
	s_mul_i32 s17, s16, s17
	s_add_i32 s17, s23, s17
	s_mul_i32 s16, s16, s40
	s_lshl_b64 s[16:17], s[16:17], 1
	v_add_lshl_u32 v8, v4, s25, 7
	s_add_u32 s16, s18, s16
	v_ashrrev_i32_e32 v9, 31, v8
	s_addc_u32 s17, s19, s17
	v_lshlrev_b64 v[8:9], 1, v[8:9]
	v_mov_b32_e32 v5, s17
	v_add_co_u32_e32 v7, vcc, s16, v8
	v_addc_co_u32_e32 v5, vcc, v5, v9, vcc
	v_add_co_u32_e32 v8, vcc, v7, v54
	v_addc_co_u32_e32 v9, vcc, 0, v5, vcc
	global_load_dwordx4 v[8:11], v[8:9], off
	v_lshlrev_b32_e32 v7, 8, v0
	v_lshlrev_b32_e32 v5, 8, v55
	v_and_b32_e32 v7, 0x600, v7
	s_movk_i32 s16, 0x800
	v_and_or_b32 v5, v5, s16, v7
	v_lshlrev_b32_e32 v4, 5, v4
	v_and_b32_e32 v7, 16, v56
	v_or3_b32 v4, v5, v4, v7
	s_waitcnt vmcnt(0)
	ds_write_b128 v4, v[8:11]
.LBB631_11:
	s_or_b64 exec, exec, s[6:7]
	v_and_b32_e32 v7, 48, v0
	v_or_b32_e32 v14, s20, v7
	v_ashrrev_i32_e32 v4, 4, v14
	v_mov_b32_e32 v15, s22
	v_cmp_gt_i32_e32 vcc, s33, v14
	v_cndmask_b32_e32 v4, v15, v4, vcc
	v_ashrrev_i32_e32 v5, 31, v4
	v_lshlrev_b64 v[4:5], 2, v[4:5]
	v_mov_b32_e32 v8, s21
	v_add_co_u32_e32 v4, vcc, s11, v4
	v_addc_co_u32_e32 v5, vcc, v8, v5, vcc
	v_or_b32_e32 v8, 64, v14
	v_ashrrev_i32_e32 v9, 4, v8
	v_cmp_gt_i32_e32 vcc, s33, v8
	v_cndmask_b32_e32 v8, v15, v9, vcc
	v_ashrrev_i32_e32 v9, 31, v8
	v_lshlrev_b64 v[8:9], 2, v[8:9]
	v_mov_b32_e32 v10, s21
	v_add_co_u32_e32 v8, vcc, s11, v8
	v_addc_co_u32_e32 v9, vcc, v10, v9, vcc
	v_or_b32_e32 v10, 0x80, v14
	v_ashrrev_i32_e32 v11, 4, v10
	v_cmp_gt_i32_e32 vcc, s33, v10
	v_cndmask_b32_e32 v10, v15, v11, vcc
	v_ashrrev_i32_e32 v11, 31, v10
	v_lshlrev_b64 v[10:11], 2, v[10:11]
	v_mov_b32_e32 v16, s21
	v_add_co_u32_e32 v10, vcc, s11, v10
	s_load_dwordx2 s[50:51], s[4:5], 0x94
	s_waitcnt lgkmcnt(0)
	s_barrier
	v_addc_co_u32_e32 v11, vcc, v16, v11, vcc
	global_load_dword v50, v[4:5], off
	global_load_dword v57, v[8:9], off
	;; [unrolled: 1-line block ×3, first 2 shown]
	v_or_b32_e32 v4, 0xc0, v14
	v_ashrrev_i32_e32 v5, 4, v4
	v_cmp_gt_i32_e32 vcc, s33, v4
	v_cndmask_b32_e32 v4, v15, v5, vcc
	v_ashrrev_i32_e32 v5, 31, v4
	v_lshlrev_b64 v[4:5], 2, v[4:5]
	v_mov_b32_e32 v8, s21
	v_add_co_u32_e32 v4, vcc, s11, v4
	v_addc_co_u32_e32 v5, vcc, v8, v5, vcc
	s_mul_i32 s10, s10, s42
	global_load_dword v72, v[4:5], off
	s_add_u32 s6, s12, s10
	s_addc_u32 s7, s13, 0
	v_and_b32_e32 v12, 0xf0, v56
	v_mov_b32_e32 v13, s7
	v_add_co_u32_e32 v20, vcc, s6, v12
	v_addc_co_u32_e32 v21, vcc, 0, v13, vcc
	v_lshlrev_b32_e32 v28, 4, v7
	s_waitcnt vmcnt(7)
	v_mad_i64_i32 v[4:5], s[6:7], v3, s41, v[20:21]
	v_add_co_u32_e32 v4, vcc, v4, v28
	v_addc_co_u32_e32 v5, vcc, 0, v5, vcc
	global_load_dwordx4 v[38:41], v[4:5], off
	global_load_dwordx4 v[10:13], v[4:5], off offset:1024
	s_waitcnt vmcnt(8)
	v_mad_i64_i32 v[2:3], s[6:7], v2, s41, v[20:21]
	v_add_co_u32_e32 v8, vcc, v2, v28
	v_addc_co_u32_e32 v9, vcc, 0, v3, vcc
	s_waitcnt vmcnt(7)
	v_mad_i64_i32 v[6:7], s[6:7], v6, s41, v[20:21]
	v_add_co_u32_e32 v26, vcc, v6, v28
	v_addc_co_u32_e32 v27, vcc, 0, v7, vcc
	s_waitcnt vmcnt(6)
	v_mad_i64_i32 v[18:19], s[6:7], v18, s41, v[20:21]
	v_add_co_u32_e32 v30, vcc, v18, v28
	s_add_u32 s10, s14, s10
	v_lshl_or_b32 v63, v62, 4, v55
	global_load_dwordx4 v[14:17], v[8:9], off
	global_load_dwordx4 v[2:5], v[8:9], off offset:1024
	v_addc_co_u32_e32 v31, vcc, 0, v19, vcc
	s_addc_u32 s11, s15, 0
	v_lshlrev_b32_e32 v51, 4, v63
	global_load_dwordx4 v[6:9], v[26:27], off
	global_load_dwordx4 v[22:25], v[26:27], off offset:1024
	s_nop 0
	global_load_dwordx4 v[26:29], v[30:31], off
	global_load_dwordx4 v[18:21], v[30:31], off offset:1024
	v_mov_b32_e32 v30, s11
	v_add_co_u32_e32 v42, vcc, s10, v51
	v_addc_co_u32_e32 v43, vcc, 0, v30, vcc
	v_or_b32_e32 v51, 0x400, v51
	v_mov_b32_e32 v52, s11
	v_add_co_u32_e32 v58, vcc, s10, v51
	v_addc_co_u32_e32 v59, vcc, 0, v52, vcc
	v_cmp_gt_u32_e32 vcc, 10, v55
	s_mov_b32 s12, 0
	s_movk_i32 s13, 0x80
	s_movk_i32 s14, 0x7f
	s_mov_b32 s15, 0xffffff
	s_waitcnt vmcnt(11)
	v_mad_i64_i32 v[30:31], s[6:7], v50, s41, v[42:43]
	s_waitcnt vmcnt(10)
	v_mad_i64_i32 v[32:33], s[6:7], v57, s41, v[42:43]
	;; [unrolled: 2-line block ×3, first 2 shown]
	global_load_dwordx4 v[34:37], v[30:31], off
	s_nop 0
	global_load_dwordx4 v[30:33], v[32:33], off
	v_mad_i64_i32 v[50:51], s[6:7], v50, s41, v[58:59]
	v_mad_i64_i32 v[60:61], s[6:7], v57, s41, v[58:59]
	s_waitcnt vmcnt(10)
	v_mad_i64_i32 v[42:43], s[6:7], v72, s41, v[42:43]
	global_load_dwordx4 v[46:49], v[44:45], off
	s_nop 0
	global_load_dwordx4 v[42:45], v[42:43], off
	s_nop 0
	;; [unrolled: 2-line block ×3, first 2 shown]
	global_load_dwordx4 v[64:67], v[60:61], off
	s_waitcnt vmcnt(13)
	buffer_store_dword v41, off, s[0:3], 0 offset:12
	buffer_store_dword v40, off, s[0:3], 0 offset:8
	v_mad_i64_i32 v[40:41], s[6:7], v68, s41, v[58:59]
	global_load_dwordx4 v[68:71], v[40:41], off
	v_mad_i64_i32 v[40:41], s[6:7], v72, s41, v[58:59]
	global_load_dwordx4 v[72:75], v[40:41], off
	s_nop 0
	buffer_store_dword v39, off, s[0:3], 0 offset:4
	buffer_store_dword v38, off, s[0:3], 0
	s_waitcnt vmcnt(18)
	buffer_store_dword v13, off, s[0:3], 0 offset:28
	buffer_store_dword v12, off, s[0:3], 0 offset:24
	;; [unrolled: 1-line block ×4, first 2 shown]
	s_waitcnt vmcnt(21)
	buffer_store_dword v17, off, s[0:3], 0 offset:44
	buffer_store_dword v16, off, s[0:3], 0 offset:40
	;; [unrolled: 1-line block ×4, first 2 shown]
	s_load_dword s6, s[4:5], 0x1c
	s_load_dwordx4 s[40:43], s[4:5], 0x80
	s_waitcnt vmcnt(24)
	buffer_store_dword v5, off, s[0:3], 0 offset:60
	buffer_store_dword v4, off, s[0:3], 0 offset:56
	buffer_store_dword v3, off, s[0:3], 0 offset:52
	buffer_store_dword v2, off, s[0:3], 0 offset:48
	v_add_u32_e32 v2, -10, v55
	v_cndmask_b32_e32 v2, v2, v55, vcc
	v_lshlrev_b32_e32 v2, 5, v2
	v_mov_b32_e32 v10, 0x80
	s_waitcnt vmcnt(27)
	buffer_store_dword v9, off, s[0:3], 0 offset:76
	buffer_store_dword v8, off, s[0:3], 0 offset:72
	;; [unrolled: 1-line block ×4, first 2 shown]
	v_lshl_add_u32 v14, v1, 9, v2
	v_add_u32_e32 v39, 16, v10
	v_add_u32_e32 v61, 32, v10
	;; [unrolled: 1-line block ×7, first 2 shown]
	ds_read_b128 v[2:5], v14
	ds_read_b128 v[6:9], v14 offset:16
	ds_read_b128 v[10:13], v14 offset:2048
	;; [unrolled: 1-line block ×3, first 2 shown]
	s_waitcnt vmcnt(30)
	buffer_store_dword v25, off, s[0:3], 0 offset:92
	buffer_store_dword v24, off, s[0:3], 0 offset:88
	buffer_store_dword v23, off, s[0:3], 0 offset:84
	buffer_store_dword v22, off, s[0:3], 0 offset:80
	s_waitcnt vmcnt(33)
	buffer_store_dword v29, off, s[0:3], 0 offset:108
	buffer_store_dword v28, off, s[0:3], 0 offset:104
	buffer_store_dword v27, off, s[0:3], 0 offset:100
	buffer_store_dword v26, off, s[0:3], 0 offset:96
	;; [unrolled: 5-line block ×3, first 2 shown]
	s_waitcnt lgkmcnt(0)
	v_mov_b32_e32 v18, s6
	v_and_b32_e32 v38, 63, v0
	v_mov_b32_e32 v27, 0
	s_waitcnt vmcnt(39)
	buffer_store_dword v37, off, s[0:3], 0 offset:140
	buffer_store_dword v36, off, s[0:3], 0 offset:136
	buffer_store_dword v35, off, s[0:3], 0 offset:132
	buffer_store_dword v34, off, s[0:3], 0 offset:128
	s_waitcnt vmcnt(42)
	buffer_store_dword v33, off, s[0:3], 0 offset:172
	buffer_store_dword v32, off, s[0:3], 0 offset:168
	buffer_store_dword v31, off, s[0:3], 0 offset:164
	buffer_store_dword v30, off, s[0:3], 0 offset:160
	;; [unrolled: 5-line block ×7, first 2 shown]
	s_waitcnt vmcnt(58)
	buffer_store_dword v75, off, s[0:3], 0 offset:252
	s_load_dword s4, s[40:41], 0x0
	v_mov_b32_e32 v29, 0
	v_mov_b32_e32 v31, 0x100
	v_bfrev_b32_e32 v33, 60
	buffer_store_dword v74, off, s[0:3], 0 offset:248
	buffer_store_dword v73, off, s[0:3], 0 offset:244
	;; [unrolled: 1-line block ×3, first 2 shown]
	s_waitcnt lgkmcnt(0)
	v_mul_f32_e32 v22, s4, v18
	v_mov_b32_e32 v24, v22
	v_mov_b32_e32 v25, v22
	s_branch .LBB631_15
.LBB631_12:                             ;   in Loop: Header=BB631_15 Depth=1
	s_or_b64 exec, exec, s[10:11]
.LBB631_13:                             ;   in Loop: Header=BB631_15 Depth=1
	s_or_b64 exec, exec, s[6:7]
.LBB631_14:                             ;   in Loop: Header=BB631_15 Depth=1
	s_or_b64 exec, exec, s[4:5]
	v_cvt_pkrtz_f16_f32 v42, v34, v32
	v_cvt_pkrtz_f16_f32 v43, v23, v36
	;; [unrolled: 1-line block ×4, first 2 shown]
	v_add_u32_e32 v26, s12, v31
	v_mfma_f32_16x16x16f16 v[18:21], v[42:43], v[14:15], v[18:21]
	s_add_i32 s12, s12, 16
	v_mov_b32_e32 v23, v22
	s_cmp_eq_u32 s12, 64
	v_add_u32_e32 v27, 32, v27
	v_mfma_f32_16x16x16f16 v[18:21], v[34:35], v[16:17], v[18:21]
	s_nop 7
	s_nop 2
	v_pk_mul_f32 v[18:19], v[24:25], v[18:19]
	v_pk_mul_f32 v[20:21], v[22:23], v[20:21]
	buffer_store_dword v19, v26, s[0:3], 0 offen offset:4
	buffer_store_dword v18, v26, s[0:3], 0 offen
	buffer_store_dword v21, v26, s[0:3], 0 offen offset:12
	buffer_store_dword v20, v26, s[0:3], 0 offen offset:8
	s_cbranch_scc1 .LBB631_205
.LBB631_15:                             ; =>This Inner Loop Header: Depth=1
	buffer_load_dword v20, v27, s[0:3], 0 offen
	buffer_load_dword v18, v27, s[0:3], 0 offen offset:4
	buffer_load_dword v28, v27, s[0:3], 0 offen offset:8
	;; [unrolled: 1-line block ×3, first 2 shown]
	v_mov_b32_e32 v19, 0
	s_waitcnt vmcnt(3)
	v_cmp_ne_u16_sdwa s[6:7], v20, v29 src0_sel:BYTE_0 src1_sel:DWORD
	s_and_saveexec_b64 s[4:5], s[6:7]
	s_cbranch_execz .LBB631_21
; %bb.16:                               ;   in Loop: Header=BB631_15 Depth=1
	v_cmp_ne_u16_sdwa s[10:11], v20, s13 src0_sel:BYTE_0 src1_sel:DWORD
	v_bfrev_b32_e32 v19, 1
	s_and_saveexec_b64 s[6:7], s[10:11]
	s_cbranch_execz .LBB631_20
; %bb.17:                               ;   in Loop: Header=BB631_15 Depth=1
	v_and_b32_e32 v21, 0x7f, v20
	v_cmp_ne_u32_e32 vcc, s14, v21
	v_mov_b32_e32 v19, 0x7f800001
	s_and_saveexec_b64 s[10:11], vcc
	s_cbranch_execz .LBB631_19
; %bb.18:                               ;   in Loop: Header=BB631_15 Depth=1
	v_and_b32_e32 v19, 7, v20
	v_ffbh_u32_e32 v30, v19
	v_min_u32_e32 v30, 32, v30
	v_subrev_u32_e32 v32, 28, v30
	v_lshlrev_b64 v[34:35], v32, v[20:21]
	v_lshrrev_b32_e32 v23, 3, v21
	v_sub_u32_e32 v30, 29, v30
	v_and_b32_e32 v32, 7, v34
	v_cmp_gt_u32_e32 vcc, 8, v21
	v_cndmask_b32_e32 v21, v23, v30, vcc
	v_cndmask_b32_e32 v19, v19, v32, vcc
	v_lshlrev_b32_e32 v23, 24, v20
	v_lshlrev_b32_e32 v19, 20, v19
	v_and_b32_e32 v23, 0x80000000, v23
	v_lshl_add_u32 v21, v21, 23, v33
	v_or3_b32 v19, v23, v21, v19
.LBB631_19:                             ;   in Loop: Header=BB631_15 Depth=1
	s_or_b64 exec, exec, s[10:11]
.LBB631_20:                             ;   in Loop: Header=BB631_15 Depth=1
	s_or_b64 exec, exec, s[6:7]
.LBB631_21:                             ;   in Loop: Header=BB631_15 Depth=1
	s_or_b64 exec, exec, s[4:5]
	v_lshrrev_b16_e32 v30, 8, v20
	v_cmp_ne_u16_e32 vcc, 0, v30
	v_mov_b32_e32 v21, 0
	v_mov_b32_e32 v23, 0
	s_and_saveexec_b64 s[4:5], vcc
	s_cbranch_execz .LBB631_27
; %bb.22:                               ;   in Loop: Header=BB631_15 Depth=1
	v_cmp_ne_u16_e32 vcc, s13, v30
	v_bfrev_b32_e32 v23, 1
	s_and_saveexec_b64 s[6:7], vcc
	s_cbranch_execz .LBB631_26
; %bb.23:                               ;   in Loop: Header=BB631_15 Depth=1
	v_and_b32_e32 v32, 0x7f, v30
	v_cmp_ne_u32_e32 vcc, s14, v32
	v_mov_b32_e32 v23, 0x7f800001
	s_and_saveexec_b64 s[10:11], vcc
	s_cbranch_execz .LBB631_25
; %bb.24:                               ;   in Loop: Header=BB631_15 Depth=1
	v_and_b32_e32 v23, 7, v30
	v_ffbh_u32_e32 v34, v23
	v_min_u32_e32 v37, 32, v34
	v_subrev_u32_e32 v34, 28, v37
	v_lshlrev_b64 v[34:35], v34, v[30:31]
	v_lshrrev_b32_e32 v36, 3, v32
	v_sub_u32_e32 v30, 29, v37
	v_and_b32_e32 v34, 7, v34
	v_cmp_gt_u32_e32 vcc, 8, v32
	v_cndmask_b32_e32 v30, v36, v30, vcc
	v_cndmask_b32_e32 v23, v23, v34, vcc
	v_lshlrev_b32_e32 v32, 16, v20
	v_lshlrev_b32_e32 v23, 20, v23
	v_and_b32_e32 v32, 0x80000000, v32
	v_lshl_add_u32 v30, v30, 23, v33
	v_or3_b32 v23, v32, v30, v23
.LBB631_25:                             ;   in Loop: Header=BB631_15 Depth=1
	s_or_b64 exec, exec, s[10:11]
.LBB631_26:                             ;   in Loop: Header=BB631_15 Depth=1
	s_or_b64 exec, exec, s[6:7]
.LBB631_27:                             ;   in Loop: Header=BB631_15 Depth=1
	s_or_b64 exec, exec, s[4:5]
	v_lshrrev_b32_e32 v30, 16, v20
	v_cmp_ne_u16_sdwa s[6:7], v30, v29 src0_sel:BYTE_0 src1_sel:DWORD
	s_and_saveexec_b64 s[4:5], s[6:7]
	s_cbranch_execz .LBB631_33
; %bb.28:                               ;   in Loop: Header=BB631_15 Depth=1
	v_cmp_ne_u16_sdwa s[10:11], v30, s13 src0_sel:BYTE_0 src1_sel:DWORD
	v_bfrev_b32_e32 v21, 1
	s_and_saveexec_b64 s[6:7], s[10:11]
	s_cbranch_execz .LBB631_32
; %bb.29:                               ;   in Loop: Header=BB631_15 Depth=1
	v_bfe_u32 v32, v20, 16, 7
	v_cmp_ne_u32_e32 vcc, s14, v32
	v_mov_b32_e32 v21, 0x7f800001
	s_and_saveexec_b64 s[10:11], vcc
	s_cbranch_execz .LBB631_31
; %bb.30:                               ;   in Loop: Header=BB631_15 Depth=1
	v_and_b32_e32 v21, 7, v30
	v_ffbh_u32_e32 v34, v21
	v_min_u32_e32 v37, 32, v34
	v_subrev_u32_e32 v34, 28, v37
	v_lshlrev_b64 v[34:35], v34, v[30:31]
	v_lshrrev_b32_e32 v36, 3, v32
	v_sub_u32_e32 v35, 29, v37
	v_and_b32_e32 v34, 7, v34
	v_cmp_gt_u32_e32 vcc, 8, v32
	v_cndmask_b32_e32 v32, v36, v35, vcc
	v_cndmask_b32_e32 v21, v21, v34, vcc
	v_lshlrev_b32_e32 v30, 24, v30
	v_lshlrev_b32_e32 v21, 20, v21
	v_and_b32_e32 v30, 0x80000000, v30
	v_lshl_add_u32 v32, v32, 23, v33
	v_or3_b32 v21, v30, v32, v21
.LBB631_31:                             ;   in Loop: Header=BB631_15 Depth=1
	s_or_b64 exec, exec, s[10:11]
.LBB631_32:                             ;   in Loop: Header=BB631_15 Depth=1
	s_or_b64 exec, exec, s[6:7]
.LBB631_33:                             ;   in Loop: Header=BB631_15 Depth=1
	s_or_b64 exec, exec, s[4:5]
	v_cmp_lt_u32_e32 vcc, s15, v20
	v_mov_b32_e32 v34, 0
	v_mov_b32_e32 v35, 0
	s_and_saveexec_b64 s[4:5], vcc
	s_cbranch_execz .LBB631_39
; %bb.34:                               ;   in Loop: Header=BB631_15 Depth=1
	v_lshrrev_b32_e32 v30, 24, v20
	v_cmp_ne_u32_e32 vcc, s13, v30
	v_bfrev_b32_e32 v35, 1
	s_and_saveexec_b64 s[6:7], vcc
	s_cbranch_execz .LBB631_38
; %bb.35:                               ;   in Loop: Header=BB631_15 Depth=1
	v_bfe_u32 v20, v20, 24, 7
	v_cmp_ne_u32_e32 vcc, s14, v20
	v_mov_b32_e32 v35, 0x7f800001
	s_and_saveexec_b64 s[10:11], vcc
	s_cbranch_execz .LBB631_37
; %bb.36:                               ;   in Loop: Header=BB631_15 Depth=1
	v_and_b32_e32 v32, 7, v30
	v_ffbh_u32_e32 v36, v32
	v_min_u32_e32 v40, 32, v36
	v_subrev_u32_e32 v36, 28, v40
	v_lshlrev_b64 v[36:37], v36, v[30:31]
	v_lshrrev_b32_e32 v35, 3, v20
	v_sub_u32_e32 v37, 29, v40
	v_and_b32_e32 v36, 7, v36
	v_cmp_gt_u32_e32 vcc, 8, v20
	v_cndmask_b32_e32 v20, v35, v37, vcc
	v_cndmask_b32_e32 v32, v32, v36, vcc
	v_lshlrev_b32_e32 v30, 24, v30
	v_lshlrev_b32_e32 v32, 20, v32
	v_and_b32_e32 v30, 0x80000000, v30
	v_lshl_add_u32 v20, v20, 23, v33
	v_or3_b32 v35, v30, v20, v32
.LBB631_37:                             ;   in Loop: Header=BB631_15 Depth=1
	s_or_b64 exec, exec, s[10:11]
.LBB631_38:                             ;   in Loop: Header=BB631_15 Depth=1
	s_or_b64 exec, exec, s[6:7]
.LBB631_39:                             ;   in Loop: Header=BB631_15 Depth=1
	s_or_b64 exec, exec, s[4:5]
	s_waitcnt vmcnt(2)
	v_cmp_ne_u16_sdwa s[6:7], v18, v29 src0_sel:BYTE_0 src1_sel:DWORD
	s_and_saveexec_b64 s[4:5], s[6:7]
	s_cbranch_execz .LBB631_45
; %bb.40:                               ;   in Loop: Header=BB631_15 Depth=1
	v_cmp_ne_u16_sdwa s[10:11], v18, s13 src0_sel:BYTE_0 src1_sel:DWORD
	v_bfrev_b32_e32 v34, 1
	s_and_saveexec_b64 s[6:7], s[10:11]
	s_cbranch_execz .LBB631_44
; %bb.41:                               ;   in Loop: Header=BB631_15 Depth=1
	v_and_b32_e32 v20, 0x7f, v18
	v_cmp_ne_u32_e32 vcc, s14, v20
	v_mov_b32_e32 v34, 0x7f800001
	s_and_saveexec_b64 s[10:11], vcc
	s_cbranch_execz .LBB631_43
; %bb.42:                               ;   in Loop: Header=BB631_15 Depth=1
	v_and_b32_e32 v30, 7, v18
	v_ffbh_u32_e32 v34, v30
	v_min_u32_e32 v34, 32, v34
	v_subrev_u32_e32 v36, 28, v34
	v_lshlrev_b64 v[36:37], v36, v[18:19]
	v_lshrrev_b32_e32 v32, 3, v20
	v_sub_u32_e32 v34, 29, v34
	v_and_b32_e32 v36, 7, v36
	v_cmp_gt_u32_e32 vcc, 8, v20
	v_cndmask_b32_e32 v20, v32, v34, vcc
	v_cndmask_b32_e32 v30, v30, v36, vcc
	v_lshlrev_b32_e32 v32, 24, v18
	v_lshlrev_b32_e32 v30, 20, v30
	v_and_b32_e32 v32, 0x80000000, v32
	v_lshl_add_u32 v20, v20, 23, v33
	v_or3_b32 v34, v32, v20, v30
.LBB631_43:                             ;   in Loop: Header=BB631_15 Depth=1
	s_or_b64 exec, exec, s[10:11]
.LBB631_44:                             ;   in Loop: Header=BB631_15 Depth=1
	s_or_b64 exec, exec, s[6:7]
.LBB631_45:                             ;   in Loop: Header=BB631_15 Depth=1
	s_or_b64 exec, exec, s[4:5]
	v_lshrrev_b16_e32 v20, 8, v18
	v_cmp_ne_u16_e32 vcc, 0, v20
	v_mov_b32_e32 v30, 0
	v_mov_b32_e32 v36, 0
	s_and_saveexec_b64 s[4:5], vcc
	s_cbranch_execz .LBB631_51
; %bb.46:                               ;   in Loop: Header=BB631_15 Depth=1
	v_cmp_ne_u16_e32 vcc, s13, v20
	v_bfrev_b32_e32 v36, 1
	s_and_saveexec_b64 s[6:7], vcc
	s_cbranch_execz .LBB631_50
; %bb.47:                               ;   in Loop: Header=BB631_15 Depth=1
	v_and_b32_e32 v32, 0x7f, v20
	v_cmp_ne_u32_e32 vcc, s14, v32
	v_mov_b32_e32 v36, 0x7f800001
	s_and_saveexec_b64 s[10:11], vcc
	s_cbranch_execz .LBB631_49
; %bb.48:                               ;   in Loop: Header=BB631_15 Depth=1
	v_and_b32_e32 v40, 7, v20
	v_ffbh_u32_e32 v36, v40
	v_min_u32_e32 v43, 32, v36
	v_subrev_u32_e32 v36, 28, v43
	v_lshlrev_b64 v[36:37], v36, v[20:21]
	v_lshrrev_b32_e32 v42, 3, v32
	v_sub_u32_e32 v20, 29, v43
	v_and_b32_e32 v36, 7, v36
	v_cmp_gt_u32_e32 vcc, 8, v32
	v_cndmask_b32_e32 v20, v42, v20, vcc
	v_cndmask_b32_e32 v32, v40, v36, vcc
	v_lshlrev_b32_e32 v36, 16, v18
	v_lshlrev_b32_e32 v32, 20, v32
	v_and_b32_e32 v36, 0x80000000, v36
	v_lshl_add_u32 v20, v20, 23, v33
	v_or3_b32 v36, v36, v20, v32
.LBB631_49:                             ;   in Loop: Header=BB631_15 Depth=1
	s_or_b64 exec, exec, s[10:11]
.LBB631_50:                             ;   in Loop: Header=BB631_15 Depth=1
	s_or_b64 exec, exec, s[6:7]
.LBB631_51:                             ;   in Loop: Header=BB631_15 Depth=1
	s_or_b64 exec, exec, s[4:5]
	v_lshrrev_b32_e32 v20, 16, v18
	v_cmp_ne_u16_sdwa s[6:7], v20, v29 src0_sel:BYTE_0 src1_sel:DWORD
	s_and_saveexec_b64 s[4:5], s[6:7]
	s_cbranch_execz .LBB631_57
; %bb.52:                               ;   in Loop: Header=BB631_15 Depth=1
	v_cmp_ne_u16_sdwa s[10:11], v20, s13 src0_sel:BYTE_0 src1_sel:DWORD
	v_bfrev_b32_e32 v30, 1
	s_and_saveexec_b64 s[6:7], s[10:11]
	s_cbranch_execz .LBB631_56
; %bb.53:                               ;   in Loop: Header=BB631_15 Depth=1
	v_bfe_u32 v32, v18, 16, 7
	v_cmp_ne_u32_e32 vcc, s14, v32
	v_mov_b32_e32 v30, 0x7f800001
	s_and_saveexec_b64 s[10:11], vcc
	s_cbranch_execz .LBB631_55
; %bb.54:                               ;   in Loop: Header=BB631_15 Depth=1
	v_and_b32_e32 v30, 7, v20
	v_ffbh_u32_e32 v40, v30
	v_min_u32_e32 v40, 32, v40
	v_subrev_u32_e32 v42, 28, v40
	v_lshlrev_b64 v[42:43], v42, v[20:21]
	v_lshrrev_b32_e32 v37, 3, v32
	v_sub_u32_e32 v40, 29, v40
	v_and_b32_e32 v42, 7, v42
	v_cmp_gt_u32_e32 vcc, 8, v32
	v_cndmask_b32_e32 v32, v37, v40, vcc
	v_cndmask_b32_e32 v30, v30, v42, vcc
	v_lshlrev_b32_e32 v20, 24, v20
	v_lshlrev_b32_e32 v30, 20, v30
	v_and_b32_e32 v20, 0x80000000, v20
	v_lshl_add_u32 v32, v32, 23, v33
	v_or3_b32 v30, v20, v32, v30
.LBB631_55:                             ;   in Loop: Header=BB631_15 Depth=1
	s_or_b64 exec, exec, s[10:11]
.LBB631_56:                             ;   in Loop: Header=BB631_15 Depth=1
	s_or_b64 exec, exec, s[6:7]
.LBB631_57:                             ;   in Loop: Header=BB631_15 Depth=1
	s_or_b64 exec, exec, s[4:5]
	v_cmp_lt_u32_e32 vcc, s15, v18
	v_mov_b32_e32 v32, 0
	v_mov_b32_e32 v37, 0
	s_and_saveexec_b64 s[4:5], vcc
	s_cbranch_execz .LBB631_63
; %bb.58:                               ;   in Loop: Header=BB631_15 Depth=1
	v_lshrrev_b32_e32 v20, 24, v18
	v_cmp_ne_u32_e32 vcc, s13, v20
	v_bfrev_b32_e32 v37, 1
	s_and_saveexec_b64 s[6:7], vcc
	s_cbranch_execz .LBB631_62
; %bb.59:                               ;   in Loop: Header=BB631_15 Depth=1
	v_bfe_u32 v18, v18, 24, 7
	v_cmp_ne_u32_e32 vcc, s14, v18
	v_mov_b32_e32 v37, 0x7f800001
	s_and_saveexec_b64 s[10:11], vcc
	s_cbranch_execz .LBB631_61
; %bb.60:                               ;   in Loop: Header=BB631_15 Depth=1
	v_and_b32_e32 v37, 7, v20
	v_ffbh_u32_e32 v42, v37
	v_min_u32_e32 v44, 32, v42
	v_subrev_u32_e32 v42, 28, v44
	v_lshlrev_b64 v[42:43], v42, v[20:21]
	v_lshrrev_b32_e32 v40, 3, v18
	v_sub_u32_e32 v43, 29, v44
	v_and_b32_e32 v42, 7, v42
	v_cmp_gt_u32_e32 vcc, 8, v18
	v_cndmask_b32_e32 v18, v40, v43, vcc
	v_cndmask_b32_e32 v37, v37, v42, vcc
	v_lshlrev_b32_e32 v20, 24, v20
	v_lshlrev_b32_e32 v37, 20, v37
	v_and_b32_e32 v20, 0x80000000, v20
	v_lshl_add_u32 v18, v18, 23, v33
	v_or3_b32 v37, v20, v18, v37
.LBB631_61:                             ;   in Loop: Header=BB631_15 Depth=1
	s_or_b64 exec, exec, s[10:11]
.LBB631_62:                             ;   in Loop: Header=BB631_15 Depth=1
	s_or_b64 exec, exec, s[6:7]
.LBB631_63:                             ;   in Loop: Header=BB631_15 Depth=1
	s_or_b64 exec, exec, s[4:5]
	v_cvt_pkrtz_f16_f32 v18, v19, v23
	v_cvt_pkrtz_f16_f32 v19, v21, v35
	;; [unrolled: 1-line block ×4, first 2 shown]
	s_waitcnt vmcnt(1)
	v_cmp_ne_u16_sdwa s[6:7], v28, v29 src0_sel:BYTE_0 src1_sel:DWORD
	v_mfma_f32_16x16x16f16 v[18:21], v[18:19], v[2:3], 0
	v_mfma_f32_16x16x16f16 v[18:21], v[34:35], v[4:5], v[18:21]
	s_and_saveexec_b64 s[4:5], s[6:7]
	s_cbranch_execz .LBB631_69
; %bb.64:                               ;   in Loop: Header=BB631_15 Depth=1
	v_cmp_ne_u16_sdwa s[10:11], v28, s13 src0_sel:BYTE_0 src1_sel:DWORD
	v_bfrev_b32_e32 v32, 1
	s_and_saveexec_b64 s[6:7], s[10:11]
	s_cbranch_execz .LBB631_68
; %bb.65:                               ;   in Loop: Header=BB631_15 Depth=1
	v_and_b32_e32 v23, 0x7f, v28
	v_cmp_ne_u32_e32 vcc, s14, v23
	v_mov_b32_e32 v32, 0x7f800001
	s_and_saveexec_b64 s[10:11], vcc
	s_cbranch_execz .LBB631_67
; %bb.66:                               ;   in Loop: Header=BB631_15 Depth=1
	v_and_b32_e32 v30, 7, v28
	v_ffbh_u32_e32 v34, v30
	v_min_u32_e32 v36, 32, v34
	v_subrev_u32_e32 v34, 28, v36
	v_lshlrev_b64 v[34:35], v34, v[28:29]
	v_lshrrev_b32_e32 v32, 3, v23
	v_sub_u32_e32 v35, 29, v36
	v_and_b32_e32 v34, 7, v34
	v_cmp_gt_u32_e32 vcc, 8, v23
	v_cndmask_b32_e32 v23, v32, v35, vcc
	v_cndmask_b32_e32 v30, v30, v34, vcc
	v_lshlrev_b32_e32 v32, 24, v28
	v_lshlrev_b32_e32 v30, 20, v30
	v_and_b32_e32 v32, 0x80000000, v32
	v_lshl_add_u32 v23, v23, 23, v33
	v_or3_b32 v32, v32, v23, v30
.LBB631_67:                             ;   in Loop: Header=BB631_15 Depth=1
	s_or_b64 exec, exec, s[10:11]
.LBB631_68:                             ;   in Loop: Header=BB631_15 Depth=1
	s_or_b64 exec, exec, s[6:7]
.LBB631_69:                             ;   in Loop: Header=BB631_15 Depth=1
	s_or_b64 exec, exec, s[4:5]
	v_lshrrev_b16_e32 v30, 8, v28
	v_cmp_ne_u16_e32 vcc, 0, v30
	v_mov_b32_e32 v34, 0
	v_mov_b32_e32 v35, 0
	s_and_saveexec_b64 s[4:5], vcc
	s_cbranch_execz .LBB631_75
; %bb.70:                               ;   in Loop: Header=BB631_15 Depth=1
	v_cmp_ne_u16_e32 vcc, s13, v30
	v_bfrev_b32_e32 v35, 1
	s_and_saveexec_b64 s[6:7], vcc
	s_cbranch_execz .LBB631_74
; %bb.71:                               ;   in Loop: Header=BB631_15 Depth=1
	v_and_b32_e32 v23, 0x7f, v30
	v_cmp_ne_u32_e32 vcc, s14, v23
	v_mov_b32_e32 v35, 0x7f800001
	s_and_saveexec_b64 s[10:11], vcc
	s_cbranch_execz .LBB631_73
; %bb.72:                               ;   in Loop: Header=BB631_15 Depth=1
	v_and_b32_e32 v35, 7, v30
	v_ffbh_u32_e32 v36, v35
	v_min_u32_e32 v42, 32, v36
	v_subrev_u32_e32 v36, 28, v42
	v_lshlrev_b64 v[36:37], v36, v[30:31]
	v_lshrrev_b32_e32 v40, 3, v23
	v_sub_u32_e32 v30, 29, v42
	v_and_b32_e32 v36, 7, v36
	v_cmp_gt_u32_e32 vcc, 8, v23
	v_cndmask_b32_e32 v23, v40, v30, vcc
	v_cndmask_b32_e32 v30, v35, v36, vcc
	v_lshlrev_b32_e32 v35, 16, v28
	v_lshlrev_b32_e32 v30, 20, v30
	v_and_b32_e32 v35, 0x80000000, v35
	v_lshl_add_u32 v23, v23, 23, v33
	v_or3_b32 v35, v35, v23, v30
.LBB631_73:                             ;   in Loop: Header=BB631_15 Depth=1
	s_or_b64 exec, exec, s[10:11]
.LBB631_74:                             ;   in Loop: Header=BB631_15 Depth=1
	s_or_b64 exec, exec, s[6:7]
.LBB631_75:                             ;   in Loop: Header=BB631_15 Depth=1
	s_or_b64 exec, exec, s[4:5]
	v_lshrrev_b32_e32 v30, 16, v28
	v_cmp_ne_u16_sdwa s[6:7], v30, v29 src0_sel:BYTE_0 src1_sel:DWORD
	s_and_saveexec_b64 s[4:5], s[6:7]
	s_cbranch_execz .LBB631_81
; %bb.76:                               ;   in Loop: Header=BB631_15 Depth=1
	v_cmp_ne_u16_sdwa s[10:11], v30, s13 src0_sel:BYTE_0 src1_sel:DWORD
	v_bfrev_b32_e32 v34, 1
	s_and_saveexec_b64 s[6:7], s[10:11]
	s_cbranch_execz .LBB631_80
; %bb.77:                               ;   in Loop: Header=BB631_15 Depth=1
	v_bfe_u32 v23, v28, 16, 7
	v_cmp_ne_u32_e32 vcc, s14, v23
	v_mov_b32_e32 v34, 0x7f800001
	s_and_saveexec_b64 s[10:11], vcc
	s_cbranch_execz .LBB631_79
; %bb.78:                               ;   in Loop: Header=BB631_15 Depth=1
	v_and_b32_e32 v34, 7, v30
	v_ffbh_u32_e32 v36, v34
	v_min_u32_e32 v42, 32, v36
	v_subrev_u32_e32 v36, 28, v42
	v_lshlrev_b64 v[36:37], v36, v[30:31]
	v_lshrrev_b32_e32 v40, 3, v23
	v_sub_u32_e32 v37, 29, v42
	v_and_b32_e32 v36, 7, v36
	v_cmp_gt_u32_e32 vcc, 8, v23
	v_cndmask_b32_e32 v23, v40, v37, vcc
	v_cndmask_b32_e32 v34, v34, v36, vcc
	v_lshlrev_b32_e32 v30, 24, v30
	v_lshlrev_b32_e32 v34, 20, v34
	v_and_b32_e32 v30, 0x80000000, v30
	v_lshl_add_u32 v23, v23, 23, v33
	v_or3_b32 v34, v30, v23, v34
.LBB631_79:                             ;   in Loop: Header=BB631_15 Depth=1
	s_or_b64 exec, exec, s[10:11]
.LBB631_80:                             ;   in Loop: Header=BB631_15 Depth=1
	s_or_b64 exec, exec, s[6:7]
.LBB631_81:                             ;   in Loop: Header=BB631_15 Depth=1
	s_or_b64 exec, exec, s[4:5]
	v_cmp_lt_u32_e32 vcc, s15, v28
	v_mov_b32_e32 v36, 0
	v_mov_b32_e32 v37, 0
	s_and_saveexec_b64 s[4:5], vcc
	s_cbranch_execz .LBB631_87
; %bb.82:                               ;   in Loop: Header=BB631_15 Depth=1
	v_lshrrev_b32_e32 v30, 24, v28
	v_cmp_ne_u32_e32 vcc, s13, v30
	v_bfrev_b32_e32 v37, 1
	s_and_saveexec_b64 s[6:7], vcc
	s_cbranch_execz .LBB631_86
; %bb.83:                               ;   in Loop: Header=BB631_15 Depth=1
	v_bfe_u32 v23, v28, 24, 7
	v_cmp_ne_u32_e32 vcc, s14, v23
	v_mov_b32_e32 v37, 0x7f800001
	s_and_saveexec_b64 s[10:11], vcc
	s_cbranch_execz .LBB631_85
; %bb.84:                               ;   in Loop: Header=BB631_15 Depth=1
	v_and_b32_e32 v28, 7, v30
	v_ffbh_u32_e32 v40, v28
	v_min_u32_e32 v40, 32, v40
	v_subrev_u32_e32 v42, 28, v40
	v_lshlrev_b64 v[42:43], v42, v[30:31]
	v_lshrrev_b32_e32 v37, 3, v23
	v_sub_u32_e32 v40, 29, v40
	v_and_b32_e32 v42, 7, v42
	v_cmp_gt_u32_e32 vcc, 8, v23
	v_cndmask_b32_e32 v23, v37, v40, vcc
	v_cndmask_b32_e32 v28, v28, v42, vcc
	v_lshlrev_b32_e32 v30, 24, v30
	v_lshlrev_b32_e32 v28, 20, v28
	v_and_b32_e32 v30, 0x80000000, v30
	v_lshl_add_u32 v23, v23, 23, v33
	v_or3_b32 v37, v30, v23, v28
.LBB631_85:                             ;   in Loop: Header=BB631_15 Depth=1
	s_or_b64 exec, exec, s[10:11]
.LBB631_86:                             ;   in Loop: Header=BB631_15 Depth=1
	s_or_b64 exec, exec, s[6:7]
.LBB631_87:                             ;   in Loop: Header=BB631_15 Depth=1
	s_or_b64 exec, exec, s[4:5]
	s_waitcnt vmcnt(0)
	v_cmp_ne_u16_sdwa s[6:7], v26, v29 src0_sel:BYTE_0 src1_sel:DWORD
	s_and_saveexec_b64 s[4:5], s[6:7]
	s_cbranch_execz .LBB631_93
; %bb.88:                               ;   in Loop: Header=BB631_15 Depth=1
	v_cmp_ne_u16_sdwa s[10:11], v26, s13 src0_sel:BYTE_0 src1_sel:DWORD
	v_bfrev_b32_e32 v36, 1
	s_and_saveexec_b64 s[6:7], s[10:11]
	s_cbranch_execz .LBB631_92
; %bb.89:                               ;   in Loop: Header=BB631_15 Depth=1
	v_and_b32_e32 v23, 0x7f, v26
	v_cmp_ne_u32_e32 vcc, s14, v23
	v_mov_b32_e32 v36, 0x7f800001
	s_and_saveexec_b64 s[10:11], vcc
	s_cbranch_execz .LBB631_91
; %bb.90:                               ;   in Loop: Header=BB631_15 Depth=1
	v_and_b32_e32 v28, 7, v26
	v_ffbh_u32_e32 v36, v28
	v_min_u32_e32 v36, 32, v36
	v_subrev_u32_e32 v40, 28, v36
	v_lshlrev_b64 v[42:43], v40, v[26:27]
	v_lshrrev_b32_e32 v30, 3, v23
	v_sub_u32_e32 v36, 29, v36
	v_and_b32_e32 v40, 7, v42
	v_cmp_gt_u32_e32 vcc, 8, v23
	v_cndmask_b32_e32 v23, v30, v36, vcc
	v_cndmask_b32_e32 v28, v28, v40, vcc
	v_lshlrev_b32_e32 v30, 24, v26
	v_lshlrev_b32_e32 v28, 20, v28
	v_and_b32_e32 v30, 0x80000000, v30
	v_lshl_add_u32 v23, v23, 23, v33
	v_or3_b32 v36, v30, v23, v28
.LBB631_91:                             ;   in Loop: Header=BB631_15 Depth=1
	s_or_b64 exec, exec, s[10:11]
.LBB631_92:                             ;   in Loop: Header=BB631_15 Depth=1
	s_or_b64 exec, exec, s[6:7]
.LBB631_93:                             ;   in Loop: Header=BB631_15 Depth=1
	s_or_b64 exec, exec, s[4:5]
	v_lshrrev_b16_e32 v28, 8, v26
	v_cmp_ne_u16_e32 vcc, 0, v28
	v_mov_b32_e32 v40, 0
	v_mov_b32_e32 v42, 0
	s_and_saveexec_b64 s[4:5], vcc
	s_cbranch_execz .LBB631_99
; %bb.94:                               ;   in Loop: Header=BB631_15 Depth=1
	v_cmp_ne_u16_e32 vcc, s13, v28
	v_bfrev_b32_e32 v42, 1
	s_and_saveexec_b64 s[6:7], vcc
	s_cbranch_execz .LBB631_98
; %bb.95:                               ;   in Loop: Header=BB631_15 Depth=1
	v_and_b32_e32 v23, 0x7f, v28
	v_cmp_ne_u32_e32 vcc, s14, v23
	v_mov_b32_e32 v42, 0x7f800001
	s_and_saveexec_b64 s[10:11], vcc
	s_cbranch_execz .LBB631_97
; %bb.96:                               ;   in Loop: Header=BB631_15 Depth=1
	v_and_b32_e32 v30, 7, v28
	v_ffbh_u32_e32 v42, v30
	v_min_u32_e32 v45, 32, v42
	v_subrev_u32_e32 v42, 28, v45
	v_lshlrev_b64 v[42:43], v42, v[28:29]
	v_lshrrev_b32_e32 v44, 3, v23
	v_sub_u32_e32 v28, 29, v45
	v_and_b32_e32 v42, 7, v42
	v_cmp_gt_u32_e32 vcc, 8, v23
	v_cndmask_b32_e32 v23, v44, v28, vcc
	v_cndmask_b32_e32 v28, v30, v42, vcc
	v_lshlrev_b32_e32 v30, 16, v26
	v_lshlrev_b32_e32 v28, 20, v28
	v_and_b32_e32 v30, 0x80000000, v30
	v_lshl_add_u32 v23, v23, 23, v33
	v_or3_b32 v42, v30, v23, v28
.LBB631_97:                             ;   in Loop: Header=BB631_15 Depth=1
	s_or_b64 exec, exec, s[10:11]
.LBB631_98:                             ;   in Loop: Header=BB631_15 Depth=1
	s_or_b64 exec, exec, s[6:7]
.LBB631_99:                             ;   in Loop: Header=BB631_15 Depth=1
	s_or_b64 exec, exec, s[4:5]
	v_lshrrev_b32_e32 v28, 16, v26
	v_cmp_ne_u16_sdwa s[6:7], v28, v29 src0_sel:BYTE_0 src1_sel:DWORD
	s_and_saveexec_b64 s[4:5], s[6:7]
	s_cbranch_execz .LBB631_105
; %bb.100:                              ;   in Loop: Header=BB631_15 Depth=1
	v_cmp_ne_u16_sdwa s[10:11], v28, s13 src0_sel:BYTE_0 src1_sel:DWORD
	v_bfrev_b32_e32 v40, 1
	s_and_saveexec_b64 s[6:7], s[10:11]
	s_cbranch_execz .LBB631_104
; %bb.101:                              ;   in Loop: Header=BB631_15 Depth=1
	v_bfe_u32 v23, v26, 16, 7
	v_cmp_ne_u32_e32 vcc, s14, v23
	v_mov_b32_e32 v40, 0x7f800001
	s_and_saveexec_b64 s[10:11], vcc
	s_cbranch_execz .LBB631_103
; %bb.102:                              ;   in Loop: Header=BB631_15 Depth=1
	v_and_b32_e32 v30, 7, v28
	v_ffbh_u32_e32 v43, v30
	v_min_u32_e32 v43, 32, v43
	v_subrev_u32_e32 v44, 28, v43
	v_lshlrev_b64 v[44:45], v44, v[28:29]
	v_lshrrev_b32_e32 v40, 3, v23
	v_sub_u32_e32 v43, 29, v43
	v_and_b32_e32 v44, 7, v44
	v_cmp_gt_u32_e32 vcc, 8, v23
	v_cndmask_b32_e32 v23, v40, v43, vcc
	v_cndmask_b32_e32 v30, v30, v44, vcc
	v_lshlrev_b32_e32 v28, 24, v28
	v_lshlrev_b32_e32 v30, 20, v30
	v_and_b32_e32 v28, 0x80000000, v28
	v_lshl_add_u32 v23, v23, 23, v33
	v_or3_b32 v40, v28, v23, v30
.LBB631_103:                            ;   in Loop: Header=BB631_15 Depth=1
	s_or_b64 exec, exec, s[10:11]
.LBB631_104:                            ;   in Loop: Header=BB631_15 Depth=1
	s_or_b64 exec, exec, s[6:7]
.LBB631_105:                            ;   in Loop: Header=BB631_15 Depth=1
	s_or_b64 exec, exec, s[4:5]
	v_cmp_lt_u32_e32 vcc, s15, v26
	v_mov_b32_e32 v23, 0
	v_mov_b32_e32 v43, 0
	s_and_saveexec_b64 s[4:5], vcc
	s_cbranch_execz .LBB631_111
; %bb.106:                              ;   in Loop: Header=BB631_15 Depth=1
	v_lshrrev_b32_e32 v28, 24, v26
	v_cmp_ne_u32_e32 vcc, s13, v28
	v_bfrev_b32_e32 v43, 1
	s_and_saveexec_b64 s[6:7], vcc
	s_cbranch_execz .LBB631_110
; %bb.107:                              ;   in Loop: Header=BB631_15 Depth=1
	v_bfe_u32 v26, v26, 24, 7
	v_cmp_ne_u32_e32 vcc, s14, v26
	v_mov_b32_e32 v43, 0x7f800001
	s_and_saveexec_b64 s[10:11], vcc
	s_cbranch_execz .LBB631_109
; %bb.108:                              ;   in Loop: Header=BB631_15 Depth=1
	v_and_b32_e32 v30, 7, v28
	v_ffbh_u32_e32 v44, v30
	v_min_u32_e32 v46, 32, v44
	v_subrev_u32_e32 v44, 28, v46
	v_lshlrev_b64 v[44:45], v44, v[28:29]
	v_lshrrev_b32_e32 v43, 3, v26
	v_sub_u32_e32 v45, 29, v46
	v_and_b32_e32 v44, 7, v44
	v_cmp_gt_u32_e32 vcc, 8, v26
	v_cndmask_b32_e32 v26, v43, v45, vcc
	v_cndmask_b32_e32 v30, v30, v44, vcc
	v_lshlrev_b32_e32 v28, 24, v28
	v_lshlrev_b32_e32 v30, 20, v30
	v_and_b32_e32 v28, 0x80000000, v28
	v_lshl_add_u32 v26, v26, 23, v33
	v_or3_b32 v43, v28, v26, v30
.LBB631_109:                            ;   in Loop: Header=BB631_15 Depth=1
	s_or_b64 exec, exec, s[10:11]
.LBB631_110:                            ;   in Loop: Header=BB631_15 Depth=1
	s_or_b64 exec, exec, s[6:7]
.LBB631_111:                            ;   in Loop: Header=BB631_15 Depth=1
	s_or_b64 exec, exec, s[4:5]
	v_cvt_pkrtz_f16_f32 v44, v32, v35
	buffer_load_dword v32, v27, s[0:3], 0 offen offset:16
	buffer_load_dword v30, v27, s[0:3], 0 offen offset:20
	;; [unrolled: 1-line block ×4, first 2 shown]
	v_cvt_pkrtz_f16_f32 v45, v34, v37
	v_cvt_pkrtz_f16_f32 v34, v36, v42
	;; [unrolled: 1-line block ×3, first 2 shown]
	v_mfma_f32_16x16x16f16 v[18:21], v[44:45], v[6:7], v[18:21]
	s_waitcnt vmcnt(3)
	v_cmp_ne_u16_sdwa s[6:7], v32, v29 src0_sel:BYTE_0 src1_sel:DWORD
	v_mfma_f32_16x16x16f16 v[18:21], v[34:35], v[8:9], v[18:21]
	s_and_saveexec_b64 s[4:5], s[6:7]
	s_cbranch_execz .LBB631_117
; %bb.112:                              ;   in Loop: Header=BB631_15 Depth=1
	v_cmp_ne_u16_sdwa s[10:11], v32, s13 src0_sel:BYTE_0 src1_sel:DWORD
	v_bfrev_b32_e32 v23, 1
	s_and_saveexec_b64 s[6:7], s[10:11]
	s_cbranch_execz .LBB631_116
; %bb.113:                              ;   in Loop: Header=BB631_15 Depth=1
	v_and_b32_e32 v34, 0x7f, v32
	v_cmp_ne_u32_e32 vcc, s14, v34
	v_mov_b32_e32 v23, 0x7f800001
	s_and_saveexec_b64 s[10:11], vcc
	s_cbranch_execz .LBB631_115
; %bb.114:                              ;   in Loop: Header=BB631_15 Depth=1
	v_and_b32_e32 v23, 7, v32
	v_ffbh_u32_e32 v36, v23
	v_min_u32_e32 v40, 32, v36
	v_subrev_u32_e32 v36, 28, v40
	v_lshlrev_b64 v[36:37], v36, v[32:33]
	v_lshrrev_b32_e32 v35, 3, v34
	v_sub_u32_e32 v37, 29, v40
	v_and_b32_e32 v36, 7, v36
	v_cmp_gt_u32_e32 vcc, 8, v34
	v_cndmask_b32_e32 v34, v35, v37, vcc
	v_cndmask_b32_e32 v23, v23, v36, vcc
	v_lshlrev_b32_e32 v35, 24, v32
	v_lshlrev_b32_e32 v23, 20, v23
	v_and_b32_e32 v35, 0x80000000, v35
	v_lshl_add_u32 v34, v34, 23, v33
	v_or3_b32 v23, v35, v34, v23
.LBB631_115:                            ;   in Loop: Header=BB631_15 Depth=1
	s_or_b64 exec, exec, s[10:11]
.LBB631_116:                            ;   in Loop: Header=BB631_15 Depth=1
	s_or_b64 exec, exec, s[6:7]
.LBB631_117:                            ;   in Loop: Header=BB631_15 Depth=1
	s_or_b64 exec, exec, s[4:5]
	v_lshrrev_b16_e32 v34, 8, v32
	v_cmp_ne_u16_e32 vcc, 0, v34
	v_mov_b32_e32 v35, 0
	v_mov_b32_e32 v36, 0
	s_and_saveexec_b64 s[4:5], vcc
	s_cbranch_execz .LBB631_123
; %bb.118:                              ;   in Loop: Header=BB631_15 Depth=1
	v_cmp_ne_u16_e32 vcc, s13, v34
	v_bfrev_b32_e32 v36, 1
	s_and_saveexec_b64 s[6:7], vcc
	s_cbranch_execz .LBB631_122
; %bb.119:                              ;   in Loop: Header=BB631_15 Depth=1
	v_and_b32_e32 v37, 0x7f, v34
	v_cmp_ne_u32_e32 vcc, s14, v37
	v_mov_b32_e32 v36, 0x7f800001
	s_and_saveexec_b64 s[10:11], vcc
	s_cbranch_execz .LBB631_121
; %bb.120:                              ;   in Loop: Header=BB631_15 Depth=1
	v_and_b32_e32 v36, 7, v34
	v_ffbh_u32_e32 v42, v36
	v_min_u32_e32 v44, 32, v42
	v_subrev_u32_e32 v42, 28, v44
	v_lshlrev_b64 v[42:43], v42, v[34:35]
	v_lshrrev_b32_e32 v40, 3, v37
	v_sub_u32_e32 v34, 29, v44
	v_and_b32_e32 v42, 7, v42
	v_cmp_gt_u32_e32 vcc, 8, v37
	v_cndmask_b32_e32 v34, v40, v34, vcc
	v_cndmask_b32_e32 v36, v36, v42, vcc
	v_lshlrev_b32_e32 v37, 16, v32
	v_lshlrev_b32_e32 v36, 20, v36
	v_and_b32_e32 v37, 0x80000000, v37
	v_lshl_add_u32 v34, v34, 23, v33
	v_or3_b32 v36, v37, v34, v36
.LBB631_121:                            ;   in Loop: Header=BB631_15 Depth=1
	s_or_b64 exec, exec, s[10:11]
.LBB631_122:                            ;   in Loop: Header=BB631_15 Depth=1
	s_or_b64 exec, exec, s[6:7]
.LBB631_123:                            ;   in Loop: Header=BB631_15 Depth=1
	s_or_b64 exec, exec, s[4:5]
	v_lshrrev_b32_e32 v34, 16, v32
	v_cmp_ne_u16_sdwa s[6:7], v34, v29 src0_sel:BYTE_0 src1_sel:DWORD
	s_and_saveexec_b64 s[4:5], s[6:7]
	s_cbranch_execz .LBB631_129
; %bb.124:                              ;   in Loop: Header=BB631_15 Depth=1
	v_cmp_ne_u16_sdwa s[10:11], v34, s13 src0_sel:BYTE_0 src1_sel:DWORD
	v_bfrev_b32_e32 v35, 1
	s_and_saveexec_b64 s[6:7], s[10:11]
	s_cbranch_execz .LBB631_128
; %bb.125:                              ;   in Loop: Header=BB631_15 Depth=1
	v_bfe_u32 v37, v32, 16, 7
	v_cmp_ne_u32_e32 vcc, s14, v37
	v_mov_b32_e32 v35, 0x7f800001
	s_and_saveexec_b64 s[10:11], vcc
	s_cbranch_execz .LBB631_127
; %bb.126:                              ;   in Loop: Header=BB631_15 Depth=1
	v_and_b32_e32 v35, 7, v34
	v_ffbh_u32_e32 v42, v35
	v_min_u32_e32 v44, 32, v42
	v_subrev_u32_e32 v42, 28, v44
	v_lshlrev_b64 v[42:43], v42, v[34:35]
	v_lshrrev_b32_e32 v40, 3, v37
	v_sub_u32_e32 v43, 29, v44
	v_and_b32_e32 v42, 7, v42
	v_cmp_gt_u32_e32 vcc, 8, v37
	v_cndmask_b32_e32 v37, v40, v43, vcc
	v_cndmask_b32_e32 v35, v35, v42, vcc
	v_lshlrev_b32_e32 v34, 24, v34
	v_lshlrev_b32_e32 v35, 20, v35
	v_and_b32_e32 v34, 0x80000000, v34
	v_lshl_add_u32 v37, v37, 23, v33
	v_or3_b32 v35, v34, v37, v35
.LBB631_127:                            ;   in Loop: Header=BB631_15 Depth=1
	s_or_b64 exec, exec, s[10:11]
.LBB631_128:                            ;   in Loop: Header=BB631_15 Depth=1
	s_or_b64 exec, exec, s[6:7]
.LBB631_129:                            ;   in Loop: Header=BB631_15 Depth=1
	s_or_b64 exec, exec, s[4:5]
	v_cmp_lt_u32_e32 vcc, s15, v32
	v_mov_b32_e32 v37, 0
	v_mov_b32_e32 v40, 0
	s_and_saveexec_b64 s[4:5], vcc
	s_cbranch_execz .LBB631_135
; %bb.130:                              ;   in Loop: Header=BB631_15 Depth=1
	v_lshrrev_b32_e32 v34, 24, v32
	v_cmp_ne_u32_e32 vcc, s13, v34
	v_bfrev_b32_e32 v40, 1
	s_and_saveexec_b64 s[6:7], vcc
	s_cbranch_execz .LBB631_134
; %bb.131:                              ;   in Loop: Header=BB631_15 Depth=1
	v_bfe_u32 v32, v32, 24, 7
	v_cmp_ne_u32_e32 vcc, s14, v32
	v_mov_b32_e32 v40, 0x7f800001
	s_and_saveexec_b64 s[10:11], vcc
	s_cbranch_execz .LBB631_133
; %bb.132:                              ;   in Loop: Header=BB631_15 Depth=1
	v_and_b32_e32 v40, 7, v34
	v_ffbh_u32_e32 v42, v40
	v_min_u32_e32 v45, 32, v42
	v_subrev_u32_e32 v42, 28, v45
	v_lshlrev_b64 v[42:43], v42, v[34:35]
	v_lshrrev_b32_e32 v44, 3, v32
	v_sub_u32_e32 v43, 29, v45
	v_and_b32_e32 v42, 7, v42
	v_cmp_gt_u32_e32 vcc, 8, v32
	v_cndmask_b32_e32 v32, v44, v43, vcc
	v_cndmask_b32_e32 v40, v40, v42, vcc
	v_lshlrev_b32_e32 v34, 24, v34
	v_lshlrev_b32_e32 v40, 20, v40
	v_and_b32_e32 v34, 0x80000000, v34
	v_lshl_add_u32 v32, v32, 23, v33
	v_or3_b32 v40, v34, v32, v40
.LBB631_133:                            ;   in Loop: Header=BB631_15 Depth=1
	s_or_b64 exec, exec, s[10:11]
.LBB631_134:                            ;   in Loop: Header=BB631_15 Depth=1
	s_or_b64 exec, exec, s[6:7]
.LBB631_135:                            ;   in Loop: Header=BB631_15 Depth=1
	s_or_b64 exec, exec, s[4:5]
	s_waitcnt vmcnt(2)
	v_cmp_ne_u16_sdwa s[6:7], v30, v29 src0_sel:BYTE_0 src1_sel:DWORD
	s_and_saveexec_b64 s[4:5], s[6:7]
	s_cbranch_execz .LBB631_141
; %bb.136:                              ;   in Loop: Header=BB631_15 Depth=1
	v_cmp_ne_u16_sdwa s[10:11], v30, s13 src0_sel:BYTE_0 src1_sel:DWORD
	v_bfrev_b32_e32 v37, 1
	s_and_saveexec_b64 s[6:7], s[10:11]
	s_cbranch_execz .LBB631_140
; %bb.137:                              ;   in Loop: Header=BB631_15 Depth=1
	v_and_b32_e32 v32, 0x7f, v30
	v_cmp_ne_u32_e32 vcc, s14, v32
	v_mov_b32_e32 v37, 0x7f800001
	s_and_saveexec_b64 s[10:11], vcc
	s_cbranch_execz .LBB631_139
; %bb.138:                              ;   in Loop: Header=BB631_15 Depth=1
	v_and_b32_e32 v34, 7, v30
	v_ffbh_u32_e32 v42, v34
	v_min_u32_e32 v44, 32, v42
	v_subrev_u32_e32 v42, 28, v44
	v_lshlrev_b64 v[42:43], v42, v[30:31]
	v_lshrrev_b32_e32 v37, 3, v32
	v_sub_u32_e32 v43, 29, v44
	v_and_b32_e32 v42, 7, v42
	v_cmp_gt_u32_e32 vcc, 8, v32
	v_cndmask_b32_e32 v32, v37, v43, vcc
	v_cndmask_b32_e32 v34, v34, v42, vcc
	v_lshlrev_b32_e32 v37, 24, v30
	v_lshlrev_b32_e32 v34, 20, v34
	v_and_b32_e32 v37, 0x80000000, v37
	v_lshl_add_u32 v32, v32, 23, v33
	v_or3_b32 v37, v37, v32, v34
.LBB631_139:                            ;   in Loop: Header=BB631_15 Depth=1
	s_or_b64 exec, exec, s[10:11]
.LBB631_140:                            ;   in Loop: Header=BB631_15 Depth=1
	s_or_b64 exec, exec, s[6:7]
.LBB631_141:                            ;   in Loop: Header=BB631_15 Depth=1
	s_or_b64 exec, exec, s[4:5]
	v_lshrrev_b16_e32 v32, 8, v30
	v_cmp_ne_u16_e32 vcc, 0, v32
	v_mov_b32_e32 v42, 0
	v_mov_b32_e32 v43, 0
	s_and_saveexec_b64 s[4:5], vcc
	s_cbranch_execz .LBB631_147
; %bb.142:                              ;   in Loop: Header=BB631_15 Depth=1
	v_cmp_ne_u16_e32 vcc, s13, v32
	v_bfrev_b32_e32 v43, 1
	s_and_saveexec_b64 s[6:7], vcc
	s_cbranch_execz .LBB631_146
; %bb.143:                              ;   in Loop: Header=BB631_15 Depth=1
	v_and_b32_e32 v34, 0x7f, v32
	v_cmp_ne_u32_e32 vcc, s14, v34
	v_mov_b32_e32 v43, 0x7f800001
	s_and_saveexec_b64 s[10:11], vcc
	s_cbranch_execz .LBB631_145
; %bb.144:                              ;   in Loop: Header=BB631_15 Depth=1
	v_and_b32_e32 v43, 7, v32
	v_ffbh_u32_e32 v44, v43
	v_min_u32_e32 v47, 32, v44
	v_subrev_u32_e32 v44, 28, v47
	v_lshlrev_b64 v[44:45], v44, v[32:33]
	v_lshrrev_b32_e32 v46, 3, v34
	v_sub_u32_e32 v32, 29, v47
	v_and_b32_e32 v44, 7, v44
	v_cmp_gt_u32_e32 vcc, 8, v34
	v_cndmask_b32_e32 v32, v46, v32, vcc
	v_cndmask_b32_e32 v34, v43, v44, vcc
	v_lshlrev_b32_e32 v43, 16, v30
	v_lshlrev_b32_e32 v34, 20, v34
	v_and_b32_e32 v43, 0x80000000, v43
	v_lshl_add_u32 v32, v32, 23, v33
	v_or3_b32 v43, v43, v32, v34
.LBB631_145:                            ;   in Loop: Header=BB631_15 Depth=1
	s_or_b64 exec, exec, s[10:11]
.LBB631_146:                            ;   in Loop: Header=BB631_15 Depth=1
	s_or_b64 exec, exec, s[6:7]
.LBB631_147:                            ;   in Loop: Header=BB631_15 Depth=1
	s_or_b64 exec, exec, s[4:5]
	v_lshrrev_b32_e32 v32, 16, v30
	v_cmp_ne_u16_sdwa s[6:7], v32, v29 src0_sel:BYTE_0 src1_sel:DWORD
	s_and_saveexec_b64 s[4:5], s[6:7]
	s_cbranch_execz .LBB631_153
; %bb.148:                              ;   in Loop: Header=BB631_15 Depth=1
	v_cmp_ne_u16_sdwa s[10:11], v32, s13 src0_sel:BYTE_0 src1_sel:DWORD
	v_bfrev_b32_e32 v42, 1
	s_and_saveexec_b64 s[6:7], s[10:11]
	s_cbranch_execz .LBB631_152
; %bb.149:                              ;   in Loop: Header=BB631_15 Depth=1
	v_bfe_u32 v34, v30, 16, 7
	v_cmp_ne_u32_e32 vcc, s14, v34
	v_mov_b32_e32 v42, 0x7f800001
	s_and_saveexec_b64 s[10:11], vcc
	s_cbranch_execz .LBB631_151
; %bb.150:                              ;   in Loop: Header=BB631_15 Depth=1
	v_and_b32_e32 v42, 7, v32
	v_ffbh_u32_e32 v44, v42
	v_min_u32_e32 v47, 32, v44
	v_subrev_u32_e32 v44, 28, v47
	v_lshlrev_b64 v[44:45], v44, v[32:33]
	v_lshrrev_b32_e32 v46, 3, v34
	v_sub_u32_e32 v45, 29, v47
	v_and_b32_e32 v44, 7, v44
	v_cmp_gt_u32_e32 vcc, 8, v34
	v_cndmask_b32_e32 v34, v46, v45, vcc
	v_cndmask_b32_e32 v42, v42, v44, vcc
	v_lshlrev_b32_e32 v32, 24, v32
	v_lshlrev_b32_e32 v42, 20, v42
	v_and_b32_e32 v32, 0x80000000, v32
	v_lshl_add_u32 v34, v34, 23, v33
	v_or3_b32 v42, v32, v34, v42
.LBB631_151:                            ;   in Loop: Header=BB631_15 Depth=1
	s_or_b64 exec, exec, s[10:11]
.LBB631_152:                            ;   in Loop: Header=BB631_15 Depth=1
	s_or_b64 exec, exec, s[6:7]
.LBB631_153:                            ;   in Loop: Header=BB631_15 Depth=1
	s_or_b64 exec, exec, s[4:5]
	v_cmp_lt_u32_e32 vcc, s15, v30
	v_mov_b32_e32 v34, 0
	v_mov_b32_e32 v44, 0
	s_and_saveexec_b64 s[4:5], vcc
	s_cbranch_execz .LBB631_159
; %bb.154:                              ;   in Loop: Header=BB631_15 Depth=1
	v_lshrrev_b32_e32 v32, 24, v30
	v_cmp_ne_u32_e32 vcc, s13, v32
	v_bfrev_b32_e32 v44, 1
	s_and_saveexec_b64 s[6:7], vcc
	s_cbranch_execz .LBB631_158
; %bb.155:                              ;   in Loop: Header=BB631_15 Depth=1
	v_bfe_u32 v30, v30, 24, 7
	v_cmp_ne_u32_e32 vcc, s14, v30
	v_mov_b32_e32 v44, 0x7f800001
	s_and_saveexec_b64 s[10:11], vcc
	s_cbranch_execz .LBB631_157
; %bb.156:                              ;   in Loop: Header=BB631_15 Depth=1
	v_and_b32_e32 v46, 7, v32
	v_ffbh_u32_e32 v44, v46
	v_min_u32_e32 v48, 32, v44
	v_subrev_u32_e32 v44, 28, v48
	v_lshlrev_b64 v[44:45], v44, v[32:33]
	v_lshrrev_b32_e32 v47, 3, v30
	v_sub_u32_e32 v45, 29, v48
	v_and_b32_e32 v44, 7, v44
	v_cmp_gt_u32_e32 vcc, 8, v30
	v_cndmask_b32_e32 v30, v47, v45, vcc
	v_cndmask_b32_e32 v44, v46, v44, vcc
	v_lshlrev_b32_e32 v32, 24, v32
	v_lshlrev_b32_e32 v44, 20, v44
	v_and_b32_e32 v32, 0x80000000, v32
	v_lshl_add_u32 v30, v30, 23, v33
	v_or3_b32 v44, v32, v30, v44
.LBB631_157:                            ;   in Loop: Header=BB631_15 Depth=1
	s_or_b64 exec, exec, s[10:11]
.LBB631_158:                            ;   in Loop: Header=BB631_15 Depth=1
	s_or_b64 exec, exec, s[6:7]
.LBB631_159:                            ;   in Loop: Header=BB631_15 Depth=1
	s_or_b64 exec, exec, s[4:5]
	v_cvt_pkrtz_f16_f32 v46, v23, v36
	v_cvt_pkrtz_f16_f32 v47, v35, v40
	;; [unrolled: 1-line block ×4, first 2 shown]
	s_waitcnt vmcnt(1)
	v_cmp_ne_u16_sdwa s[6:7], v28, v29 src0_sel:BYTE_0 src1_sel:DWORD
	v_mfma_f32_16x16x16f16 v[18:21], v[46:47], v[10:11], v[18:21]
	v_mfma_f32_16x16x16f16 v[18:21], v[36:37], v[12:13], v[18:21]
	s_and_saveexec_b64 s[4:5], s[6:7]
	s_cbranch_execz .LBB631_165
; %bb.160:                              ;   in Loop: Header=BB631_15 Depth=1
	v_cmp_ne_u16_sdwa s[10:11], v28, s13 src0_sel:BYTE_0 src1_sel:DWORD
	v_bfrev_b32_e32 v34, 1
	s_and_saveexec_b64 s[6:7], s[10:11]
	s_cbranch_execz .LBB631_164
; %bb.161:                              ;   in Loop: Header=BB631_15 Depth=1
	v_and_b32_e32 v23, 0x7f, v28
	v_cmp_ne_u32_e32 vcc, s14, v23
	v_mov_b32_e32 v34, 0x7f800001
	s_and_saveexec_b64 s[10:11], vcc
	s_cbranch_execz .LBB631_163
; %bb.162:                              ;   in Loop: Header=BB631_15 Depth=1
	v_and_b32_e32 v30, 7, v28
	v_ffbh_u32_e32 v34, v30
	v_min_u32_e32 v36, 32, v34
	v_subrev_u32_e32 v34, 28, v36
	v_lshlrev_b64 v[34:35], v34, v[28:29]
	v_lshrrev_b32_e32 v32, 3, v23
	v_sub_u32_e32 v35, 29, v36
	v_and_b32_e32 v34, 7, v34
	v_cmp_gt_u32_e32 vcc, 8, v23
	v_cndmask_b32_e32 v23, v32, v35, vcc
	v_cndmask_b32_e32 v30, v30, v34, vcc
	v_lshlrev_b32_e32 v32, 24, v28
	v_lshlrev_b32_e32 v30, 20, v30
	v_and_b32_e32 v32, 0x80000000, v32
	v_lshl_add_u32 v23, v23, 23, v33
	v_or3_b32 v34, v32, v23, v30
.LBB631_163:                            ;   in Loop: Header=BB631_15 Depth=1
	s_or_b64 exec, exec, s[10:11]
.LBB631_164:                            ;   in Loop: Header=BB631_15 Depth=1
	s_or_b64 exec, exec, s[6:7]
.LBB631_165:                            ;   in Loop: Header=BB631_15 Depth=1
	s_or_b64 exec, exec, s[4:5]
	v_lshrrev_b16_e32 v30, 8, v28
	v_cmp_ne_u16_e32 vcc, 0, v30
	v_mov_b32_e32 v23, 0
	v_mov_b32_e32 v32, 0
	s_and_saveexec_b64 s[4:5], vcc
	s_cbranch_execz .LBB631_171
; %bb.166:                              ;   in Loop: Header=BB631_15 Depth=1
	v_cmp_ne_u16_e32 vcc, s13, v30
	v_bfrev_b32_e32 v32, 1
	s_and_saveexec_b64 s[6:7], vcc
	s_cbranch_execz .LBB631_170
; %bb.167:                              ;   in Loop: Header=BB631_15 Depth=1
	v_and_b32_e32 v35, 0x7f, v30
	v_cmp_ne_u32_e32 vcc, s14, v35
	v_mov_b32_e32 v32, 0x7f800001
	s_and_saveexec_b64 s[10:11], vcc
	s_cbranch_execz .LBB631_169
; %bb.168:                              ;   in Loop: Header=BB631_15 Depth=1
	v_and_b32_e32 v32, 7, v30
	v_ffbh_u32_e32 v36, v32
	v_min_u32_e32 v42, 32, v36
	v_subrev_u32_e32 v36, 28, v42
	v_lshlrev_b64 v[36:37], v36, v[30:31]
	v_lshrrev_b32_e32 v40, 3, v35
	v_sub_u32_e32 v30, 29, v42
	v_and_b32_e32 v36, 7, v36
	v_cmp_gt_u32_e32 vcc, 8, v35
	v_cndmask_b32_e32 v30, v40, v30, vcc
	v_cndmask_b32_e32 v32, v32, v36, vcc
	v_lshlrev_b32_e32 v35, 16, v28
	v_lshlrev_b32_e32 v32, 20, v32
	v_and_b32_e32 v35, 0x80000000, v35
	v_lshl_add_u32 v30, v30, 23, v33
	v_or3_b32 v32, v35, v30, v32
.LBB631_169:                            ;   in Loop: Header=BB631_15 Depth=1
	s_or_b64 exec, exec, s[10:11]
.LBB631_170:                            ;   in Loop: Header=BB631_15 Depth=1
	s_or_b64 exec, exec, s[6:7]
.LBB631_171:                            ;   in Loop: Header=BB631_15 Depth=1
	s_or_b64 exec, exec, s[4:5]
	v_lshrrev_b32_e32 v30, 16, v28
	v_cmp_ne_u16_sdwa s[6:7], v30, v29 src0_sel:BYTE_0 src1_sel:DWORD
	s_and_saveexec_b64 s[4:5], s[6:7]
	s_cbranch_execz .LBB631_177
; %bb.172:                              ;   in Loop: Header=BB631_15 Depth=1
	v_cmp_ne_u16_sdwa s[10:11], v30, s13 src0_sel:BYTE_0 src1_sel:DWORD
	v_bfrev_b32_e32 v23, 1
	s_and_saveexec_b64 s[6:7], s[10:11]
	s_cbranch_execz .LBB631_176
; %bb.173:                              ;   in Loop: Header=BB631_15 Depth=1
	v_bfe_u32 v35, v28, 16, 7
	v_cmp_ne_u32_e32 vcc, s14, v35
	v_mov_b32_e32 v23, 0x7f800001
	s_and_saveexec_b64 s[10:11], vcc
	s_cbranch_execz .LBB631_175
; %bb.174:                              ;   in Loop: Header=BB631_15 Depth=1
	v_and_b32_e32 v23, 7, v30
	v_ffbh_u32_e32 v36, v23
	v_min_u32_e32 v42, 32, v36
	v_subrev_u32_e32 v36, 28, v42
	v_lshlrev_b64 v[36:37], v36, v[30:31]
	v_lshrrev_b32_e32 v40, 3, v35
	v_sub_u32_e32 v37, 29, v42
	v_and_b32_e32 v36, 7, v36
	v_cmp_gt_u32_e32 vcc, 8, v35
	v_cndmask_b32_e32 v35, v40, v37, vcc
	v_cndmask_b32_e32 v23, v23, v36, vcc
	v_lshlrev_b32_e32 v30, 24, v30
	v_lshlrev_b32_e32 v23, 20, v23
	v_and_b32_e32 v30, 0x80000000, v30
	v_lshl_add_u32 v35, v35, 23, v33
	v_or3_b32 v23, v30, v35, v23
.LBB631_175:                            ;   in Loop: Header=BB631_15 Depth=1
	s_or_b64 exec, exec, s[10:11]
.LBB631_176:                            ;   in Loop: Header=BB631_15 Depth=1
	s_or_b64 exec, exec, s[6:7]
.LBB631_177:                            ;   in Loop: Header=BB631_15 Depth=1
	s_or_b64 exec, exec, s[4:5]
	v_cmp_lt_u32_e32 vcc, s15, v28
	v_mov_b32_e32 v35, 0
	v_mov_b32_e32 v36, 0
	s_and_saveexec_b64 s[4:5], vcc
	s_cbranch_execz .LBB631_183
; %bb.178:                              ;   in Loop: Header=BB631_15 Depth=1
	v_lshrrev_b32_e32 v30, 24, v28
	v_cmp_ne_u32_e32 vcc, s13, v30
	v_bfrev_b32_e32 v36, 1
	s_and_saveexec_b64 s[6:7], vcc
	s_cbranch_execz .LBB631_182
; %bb.179:                              ;   in Loop: Header=BB631_15 Depth=1
	v_bfe_u32 v28, v28, 24, 7
	v_cmp_ne_u32_e32 vcc, s14, v28
	v_mov_b32_e32 v36, 0x7f800001
	s_and_saveexec_b64 s[10:11], vcc
	s_cbranch_execz .LBB631_181
; %bb.180:                              ;   in Loop: Header=BB631_15 Depth=1
	v_and_b32_e32 v40, 7, v30
	v_ffbh_u32_e32 v36, v40
	v_min_u32_e32 v43, 32, v36
	v_subrev_u32_e32 v36, 28, v43
	v_lshlrev_b64 v[36:37], v36, v[30:31]
	v_lshrrev_b32_e32 v42, 3, v28
	v_sub_u32_e32 v37, 29, v43
	v_and_b32_e32 v36, 7, v36
	v_cmp_gt_u32_e32 vcc, 8, v28
	v_cndmask_b32_e32 v28, v42, v37, vcc
	v_cndmask_b32_e32 v36, v40, v36, vcc
	v_lshlrev_b32_e32 v30, 24, v30
	v_lshlrev_b32_e32 v36, 20, v36
	v_and_b32_e32 v30, 0x80000000, v30
	v_lshl_add_u32 v28, v28, 23, v33
	v_or3_b32 v36, v30, v28, v36
.LBB631_181:                            ;   in Loop: Header=BB631_15 Depth=1
	s_or_b64 exec, exec, s[10:11]
.LBB631_182:                            ;   in Loop: Header=BB631_15 Depth=1
	s_or_b64 exec, exec, s[6:7]
.LBB631_183:                            ;   in Loop: Header=BB631_15 Depth=1
	s_or_b64 exec, exec, s[4:5]
	s_waitcnt vmcnt(0)
	v_cmp_ne_u16_sdwa s[6:7], v26, v29 src0_sel:BYTE_0 src1_sel:DWORD
	s_and_saveexec_b64 s[4:5], s[6:7]
	s_cbranch_execz .LBB631_189
; %bb.184:                              ;   in Loop: Header=BB631_15 Depth=1
	v_cmp_ne_u16_sdwa s[10:11], v26, s13 src0_sel:BYTE_0 src1_sel:DWORD
	v_bfrev_b32_e32 v35, 1
	s_and_saveexec_b64 s[6:7], s[10:11]
	s_cbranch_execz .LBB631_188
; %bb.185:                              ;   in Loop: Header=BB631_15 Depth=1
	v_and_b32_e32 v28, 0x7f, v26
	v_cmp_ne_u32_e32 vcc, s14, v28
	v_mov_b32_e32 v35, 0x7f800001
	s_and_saveexec_b64 s[10:11], vcc
	s_cbranch_execz .LBB631_187
; %bb.186:                              ;   in Loop: Header=BB631_15 Depth=1
	v_and_b32_e32 v30, 7, v26
	v_ffbh_u32_e32 v37, v30
	v_min_u32_e32 v37, 32, v37
	v_subrev_u32_e32 v40, 28, v37
	v_lshlrev_b64 v[42:43], v40, v[26:27]
	v_lshrrev_b32_e32 v35, 3, v28
	v_sub_u32_e32 v37, 29, v37
	v_and_b32_e32 v40, 7, v42
	v_cmp_gt_u32_e32 vcc, 8, v28
	v_cndmask_b32_e32 v28, v35, v37, vcc
	v_cndmask_b32_e32 v30, v30, v40, vcc
	v_lshlrev_b32_e32 v35, 24, v26
	v_lshlrev_b32_e32 v30, 20, v30
	v_and_b32_e32 v35, 0x80000000, v35
	v_lshl_add_u32 v28, v28, 23, v33
	v_or3_b32 v35, v35, v28, v30
.LBB631_187:                            ;   in Loop: Header=BB631_15 Depth=1
	s_or_b64 exec, exec, s[10:11]
.LBB631_188:                            ;   in Loop: Header=BB631_15 Depth=1
	s_or_b64 exec, exec, s[6:7]
.LBB631_189:                            ;   in Loop: Header=BB631_15 Depth=1
	s_or_b64 exec, exec, s[4:5]
	v_lshrrev_b16_e32 v28, 8, v26
	v_cmp_ne_u16_e32 vcc, 0, v28
	v_mov_b32_e32 v30, 0
	v_mov_b32_e32 v37, 0
	s_and_saveexec_b64 s[4:5], vcc
	s_cbranch_execz .LBB631_195
; %bb.190:                              ;   in Loop: Header=BB631_15 Depth=1
	v_cmp_ne_u16_e32 vcc, s13, v28
	v_bfrev_b32_e32 v37, 1
	s_and_saveexec_b64 s[6:7], vcc
	s_cbranch_execz .LBB631_194
; %bb.191:                              ;   in Loop: Header=BB631_15 Depth=1
	v_and_b32_e32 v40, 0x7f, v28
	v_cmp_ne_u32_e32 vcc, s14, v40
	v_mov_b32_e32 v37, 0x7f800001
	s_and_saveexec_b64 s[10:11], vcc
	s_cbranch_execz .LBB631_193
; %bb.192:                              ;   in Loop: Header=BB631_15 Depth=1
	v_and_b32_e32 v37, 7, v28
	v_ffbh_u32_e32 v42, v37
	v_min_u32_e32 v45, 32, v42
	v_subrev_u32_e32 v42, 28, v45
	v_lshlrev_b64 v[42:43], v42, v[28:29]
	v_lshrrev_b32_e32 v44, 3, v40
	v_sub_u32_e32 v28, 29, v45
	v_and_b32_e32 v42, 7, v42
	v_cmp_gt_u32_e32 vcc, 8, v40
	v_cndmask_b32_e32 v28, v44, v28, vcc
	v_cndmask_b32_e32 v37, v37, v42, vcc
	v_lshlrev_b32_e32 v40, 16, v26
	v_lshlrev_b32_e32 v37, 20, v37
	v_and_b32_e32 v40, 0x80000000, v40
	v_lshl_add_u32 v28, v28, 23, v33
	v_or3_b32 v37, v40, v28, v37
.LBB631_193:                            ;   in Loop: Header=BB631_15 Depth=1
	s_or_b64 exec, exec, s[10:11]
.LBB631_194:                            ;   in Loop: Header=BB631_15 Depth=1
	s_or_b64 exec, exec, s[6:7]
.LBB631_195:                            ;   in Loop: Header=BB631_15 Depth=1
	s_or_b64 exec, exec, s[4:5]
	v_lshrrev_b32_e32 v28, 16, v26
	v_cmp_ne_u16_sdwa s[6:7], v28, v29 src0_sel:BYTE_0 src1_sel:DWORD
	s_and_saveexec_b64 s[4:5], s[6:7]
	s_cbranch_execz .LBB631_201
; %bb.196:                              ;   in Loop: Header=BB631_15 Depth=1
	v_cmp_ne_u16_sdwa s[10:11], v28, s13 src0_sel:BYTE_0 src1_sel:DWORD
	v_bfrev_b32_e32 v30, 1
	s_and_saveexec_b64 s[6:7], s[10:11]
	s_cbranch_execz .LBB631_200
; %bb.197:                              ;   in Loop: Header=BB631_15 Depth=1
	v_bfe_u32 v40, v26, 16, 7
	v_cmp_ne_u32_e32 vcc, s14, v40
	v_mov_b32_e32 v30, 0x7f800001
	s_and_saveexec_b64 s[10:11], vcc
	s_cbranch_execz .LBB631_199
; %bb.198:                              ;   in Loop: Header=BB631_15 Depth=1
	v_and_b32_e32 v30, 7, v28
	v_ffbh_u32_e32 v42, v30
	v_min_u32_e32 v45, 32, v42
	v_subrev_u32_e32 v42, 28, v45
	v_lshlrev_b64 v[42:43], v42, v[28:29]
	v_lshrrev_b32_e32 v44, 3, v40
	v_sub_u32_e32 v43, 29, v45
	v_and_b32_e32 v42, 7, v42
	v_cmp_gt_u32_e32 vcc, 8, v40
	v_cndmask_b32_e32 v40, v44, v43, vcc
	v_cndmask_b32_e32 v30, v30, v42, vcc
	v_lshlrev_b32_e32 v28, 24, v28
	v_lshlrev_b32_e32 v30, 20, v30
	v_and_b32_e32 v28, 0x80000000, v28
	v_lshl_add_u32 v40, v40, 23, v33
	v_or3_b32 v30, v28, v40, v30
.LBB631_199:                            ;   in Loop: Header=BB631_15 Depth=1
	s_or_b64 exec, exec, s[10:11]
.LBB631_200:                            ;   in Loop: Header=BB631_15 Depth=1
	s_or_b64 exec, exec, s[6:7]
.LBB631_201:                            ;   in Loop: Header=BB631_15 Depth=1
	s_or_b64 exec, exec, s[4:5]
	v_cmp_lt_u32_e32 vcc, s15, v26
	v_mov_b32_e32 v40, 0
	s_and_saveexec_b64 s[4:5], vcc
	s_cbranch_execz .LBB631_14
; %bb.202:                              ;   in Loop: Header=BB631_15 Depth=1
	v_lshrrev_b32_e32 v28, 24, v26
	v_cmp_ne_u32_e32 vcc, s13, v28
	v_bfrev_b32_e32 v40, 1
	s_and_saveexec_b64 s[6:7], vcc
	s_cbranch_execz .LBB631_13
; %bb.203:                              ;   in Loop: Header=BB631_15 Depth=1
	v_bfe_u32 v26, v26, 24, 7
	v_cmp_ne_u32_e32 vcc, s14, v26
	v_mov_b32_e32 v40, 0x7f800001
	s_and_saveexec_b64 s[10:11], vcc
	s_cbranch_execz .LBB631_12
; %bb.204:                              ;   in Loop: Header=BB631_15 Depth=1
	v_and_b32_e32 v40, 7, v28
	v_ffbh_u32_e32 v42, v40
	v_min_u32_e32 v45, 32, v42
	v_subrev_u32_e32 v42, 28, v45
	v_lshlrev_b64 v[42:43], v42, v[28:29]
	v_lshrrev_b32_e32 v44, 3, v26
	v_sub_u32_e32 v43, 29, v45
	v_and_b32_e32 v42, 7, v42
	v_cmp_gt_u32_e32 vcc, 8, v26
	v_cndmask_b32_e32 v26, v44, v43, vcc
	v_cndmask_b32_e32 v40, v40, v42, vcc
	v_lshlrev_b32_e32 v28, 24, v28
	v_lshlrev_b32_e32 v40, 20, v40
	v_and_b32_e32 v28, 0x80000000, v28
	v_lshl_add_u32 v26, v26, 23, v33
	v_or3_b32 v40, v28, v26, v40
	s_branch .LBB631_12
.LBB631_205:
	buffer_load_dword v13, off, s[0:3], 0 offset:256
	buffer_load_dword v14, off, s[0:3], 0 offset:260
	;; [unrolled: 1-line block ×16, first 2 shown]
	v_and_b32_e32 v12, 0xc0, v0
	v_add_u32_e32 v12, s20, v12
	v_lshl_or_b32 v12, v1, 2, v12
	v_or_b32_e32 v23, 1, v12
	v_mov_b32_e32 v19, 0xff7fffff
	v_or_b32_e32 v24, 2, v12
	v_or_b32_e32 v25, 3, v12
	v_cmp_gt_i32_e64 s[26:27], s33, v12
	v_cmp_gt_i32_e64 s[28:29], s33, v23
	s_mov_b32 s52, 0xff7fffff
	v_or_b32_e32 v26, 16, v12
	v_or_b32_e32 v27, 17, v12
	;; [unrolled: 1-line block ×12, first 2 shown]
	v_cmp_gt_i32_e64 s[30:31], s33, v24
	v_cmp_gt_i32_e64 s[34:35], s33, v25
	v_mbcnt_lo_u32_b32 v20, -1, 0
	v_cmp_gt_i32_e64 s[36:37], s33, v26
	v_cmp_gt_i32_e64 s[38:39], s33, v27
	v_mbcnt_hi_u32_b32 v20, -1, v20
	v_cmp_gt_i32_e64 s[20:21], s33, v28
	v_cmp_gt_i32_e64 s[22:23], s33, v29
	v_and_b32_e32 v21, 64, v20
	v_cmp_gt_i32_e64 s[16:17], s33, v30
	v_cmp_gt_i32_e64 s[18:19], s33, v31
	v_xor_b32_e32 v22, 32, v20
	v_add_u32_e32 v21, 64, v21
	v_cmp_gt_i32_e64 s[12:13], s33, v32
	v_cmp_gt_i32_e64 s[14:15], s33, v33
	v_cmp_lt_i32_e32 vcc, v22, v21
	v_cmp_gt_i32_e64 s[6:7], s33, v34
	v_cmp_gt_i32_e64 s[10:11], s33, v35
	v_cndmask_b32_e32 v22, v20, v22, vcc
	v_cmp_gt_i32_e32 vcc, s33, v36
	v_cmp_gt_i32_e64 s[4:5], s33, v37
	v_lshlrev_b32_e32 v22, 2, v22
	s_waitcnt vmcnt(15)
	v_cndmask_b32_e64 v12, v19, v13, s[26:27]
	s_waitcnt vmcnt(14)
	v_cndmask_b32_e64 v23, v19, v14, s[28:29]
	;; [unrolled: 2-line block ×4, first 2 shown]
	v_max3_f32 v12, v12, s52, v23
	s_waitcnt vmcnt(11)
	v_cndmask_b32_e64 v26, v19, v17, s[36:37]
	s_waitcnt vmcnt(10)
	v_cndmask_b32_e64 v27, v19, v18, s[38:39]
	v_max3_f32 v12, v12, v24, v25
	s_waitcnt vmcnt(9)
	v_cndmask_b32_e64 v28, v19, v11, s[20:21]
	s_waitcnt vmcnt(8)
	v_cndmask_b32_e64 v29, v19, v10, s[22:23]
	;; [unrolled: 5-line block ×5, first 2 shown]
	v_max3_f32 v12, v12, v32, v33
	s_waitcnt vmcnt(1)
	v_cndmask_b32_e32 v36, v19, v3, vcc
	s_waitcnt vmcnt(0)
	v_cndmask_b32_e64 v19, v19, v2, s[4:5]
	v_max3_f32 v12, v12, v34, v35
	v_max3_f32 v12, v12, v36, v19
	ds_bpermute_b32 v19, v22, v12
	v_xor_b32_e32 v23, 16, v20
	v_cmp_lt_i32_e64 s[40:41], v23, v21
	v_cndmask_b32_e64 v20, v20, v23, s[40:41]
	v_lshlrev_b32_e32 v20, 2, v20
	s_waitcnt lgkmcnt(0)
	v_max_f32_e32 v19, v19, v19
	v_max_f32_e32 v12, v12, v19
	ds_bpermute_b32 v19, v20, v12
	s_waitcnt lgkmcnt(0)
	v_max_f32_e32 v19, v19, v19
	v_max_f32_e32 v12, v12, v19
	v_sub_f32_e32 v13, v13, v12
	v_sub_f32_e32 v14, v14, v12
	;; [unrolled: 1-line block ×3, first 2 shown]
	v_mul_f32_e32 v13, 0x3fb8aa3b, v13
	v_mul_f32_e32 v14, 0x3fb8aa3b, v14
	;; [unrolled: 1-line block ×3, first 2 shown]
	v_exp_f32_e32 v13, v13
	v_exp_f32_e32 v14, v14
	;; [unrolled: 1-line block ×3, first 2 shown]
	v_sub_f32_e32 v16, v16, v12
	v_cndmask_b32_e64 v13, 0, v13, s[26:27]
	v_mul_f32_e32 v16, 0x3fb8aa3b, v16
	v_cndmask_b32_e64 v14, 0, v14, s[28:29]
	v_cndmask_b32_e64 v15, 0, v15, s[30:31]
	v_add_f32_e32 v19, 0, v13
	buffer_store_dword v13, off, s[0:3], 0 offset:256
	buffer_store_dword v14, off, s[0:3], 0 offset:260
	;; [unrolled: 1-line block ×3, first 2 shown]
	v_sub_f32_e32 v13, v17, v12
	v_exp_f32_e32 v16, v16
	v_add_f32_e32 v19, v19, v14
	v_mul_f32_e32 v13, 0x3fb8aa3b, v13
	v_sub_f32_e32 v14, v18, v12
	v_exp_f32_e32 v13, v13
	v_mul_f32_e32 v14, 0x3fb8aa3b, v14
	v_sub_f32_e32 v11, v11, v12
	v_exp_f32_e32 v14, v14
	;; [unrolled: 3-line block ×3, first 2 shown]
	v_mul_f32_e32 v10, 0x3fb8aa3b, v10
	v_sub_f32_e32 v9, v9, v12
	v_cndmask_b32_e64 v16, 0, v16, s[34:35]
	v_add_f32_e32 v19, v19, v15
	v_exp_f32_e32 v10, v10
	v_mul_f32_e32 v9, 0x3fb8aa3b, v9
	v_sub_f32_e32 v8, v8, v12
	v_add_f32_e32 v19, v19, v16
	v_cndmask_b32_e64 v13, 0, v13, s[36:37]
	v_exp_f32_e32 v9, v9
	v_mul_f32_e32 v8, 0x3fb8aa3b, v8
	v_sub_f32_e32 v7, v7, v12
	v_add_f32_e32 v15, v19, v13
	v_cndmask_b32_e64 v14, 0, v14, s[38:39]
	;; [unrolled: 5-line block ×5, first 2 shown]
	v_exp_f32_e32 v5, v5
	v_mul_f32_e32 v4, 0x3fb8aa3b, v4
	v_sub_f32_e32 v3, v3, v12
	buffer_store_dword v16, off, s[0:3], 0 offset:268
	buffer_store_dword v13, off, s[0:3], 0 offset:272
	;; [unrolled: 1-line block ×5, first 2 shown]
	v_add_f32_e32 v10, v15, v9
	v_cndmask_b32_e64 v8, 0, v8, s[18:19]
	v_exp_f32_e32 v4, v4
	v_mul_f32_e32 v3, 0x3fb8aa3b, v3
	v_sub_f32_e32 v2, v2, v12
	v_add_f32_e32 v10, v10, v8
	v_cndmask_b32_e64 v7, 0, v7, s[12:13]
	v_exp_f32_e32 v3, v3
	v_mul_f32_e32 v2, 0x3fb8aa3b, v2
	v_add_f32_e32 v10, v10, v7
	v_cndmask_b32_e64 v6, 0, v6, s[14:15]
	v_exp_f32_e32 v2, v2
	v_add_f32_e32 v10, v10, v6
	v_cndmask_b32_e64 v5, 0, v5, s[6:7]
	buffer_store_dword v9, off, s[0:3], 0 offset:288
	buffer_store_dword v8, off, s[0:3], 0 offset:292
	;; [unrolled: 1-line block ×4, first 2 shown]
	v_add_f32_e32 v6, v10, v5
	v_cndmask_b32_e64 v4, 0, v4, s[10:11]
	v_add_f32_e32 v6, v6, v4
	v_cndmask_b32_e32 v3, 0, v3, vcc
	v_add_f32_e32 v6, v6, v3
	v_cndmask_b32_e64 v2, 0, v2, s[4:5]
	v_add_f32_e32 v6, v6, v2
	ds_bpermute_b32 v7, v22, v6
	buffer_store_dword v5, off, s[0:3], 0 offset:304
	buffer_store_dword v4, off, s[0:3], 0 offset:308
	;; [unrolled: 1-line block ×4, first 2 shown]
	v_cmp_gt_u32_e32 vcc, 16, v38
	s_waitcnt lgkmcnt(0)
	s_barrier
	v_add_f32_e32 v2, v6, v7
	ds_bpermute_b32 v3, v20, v2
	s_waitcnt lgkmcnt(0)
	s_and_saveexec_b64 s[4:5], vcc
	s_cbranch_execz .LBB631_207
; %bb.206:
	v_add_f32_e32 v2, v2, v3
	v_lshlrev_b32_e32 v3, 2, v63
	ds_write2st64_b32 v3, v12, v2 offset1:1
.LBB631_207:
	s_or_b64 exec, exec, s[4:5]
	v_lshlrev_b32_e32 v2, 2, v55
	s_waitcnt lgkmcnt(0)
	s_barrier
	ds_read2_b32 v[12:13], v2 offset1:16
	ds_read2_b32 v[14:15], v2 offset0:32 offset1:48
	ds_read2_b32 v[6:7], v2 offset0:64 offset1:80
	;; [unrolled: 1-line block ×3, first 2 shown]
	s_waitcnt lgkmcnt(0)
	s_barrier
	buffer_load_dword v20, off, s[0:3], 0 offset:256
	buffer_load_dword v21, off, s[0:3], 0 offset:260
	;; [unrolled: 1-line block ×16, first 2 shown]
	v_lshlrev_b32_e32 v19, 3, v1
	v_lshlrev_b32_e32 v18, 5, v55
	;; [unrolled: 1-line block ×3, first 2 shown]
	v_or3_b32 v43, v28, v18, v19
	v_max3_f32 v19, v12, s52, v13
	v_max3_f32 v19, v19, v14, v15
	v_sub_f32_e32 v12, v12, v19
	v_sub_f32_e32 v13, v13, v19
	v_mul_f32_e32 v12, 0x3fb8aa3b, v12
	v_sub_f32_e32 v14, v14, v19
	v_mul_f32_e32 v13, 0x3fb8aa3b, v13
	v_exp_f32_e32 v12, v12
	v_sub_f32_e32 v15, v15, v19
	v_mul_f32_e32 v14, 0x3fb8aa3b, v14
	v_exp_f32_e32 v13, v13
	v_mul_f32_e32 v15, 0x3fb8aa3b, v15
	v_exp_f32_e32 v14, v14
	v_exp_f32_e32 v15, v15
	v_fma_f32 v6, v12, v6, 0
	v_fmac_f32_e32 v6, v13, v7
	v_fmac_f32_e32 v6, v14, v10
	;; [unrolled: 1-line block ×3, first 2 shown]
	v_cmp_eq_u32_e32 vcc, 1, v62
	v_add_f32_e32 v10, 0x358637bd, v6
	v_cndmask_b32_e32 v12, v12, v13, vcc
	v_cmp_eq_u32_e32 vcc, 2, v62
	v_div_scale_f32 v11, s[4:5], v10, v10, 1.0
	v_cndmask_b32_e32 v7, v12, v14, vcc
	v_rcp_f32_e32 v12, v11
	v_cmp_eq_u32_e32 vcc, 3, v62
	v_cndmask_b32_e32 v7, v7, v15, vcc
	v_div_scale_f32 v13, vcc, 1.0, v10, 1.0
	v_fma_f32 v14, -v11, v12, 1.0
	v_fmac_f32_e32 v12, v14, v12
	v_mul_f32_e32 v14, v13, v12
	v_fma_f32 v15, -v11, v14, v13
	v_fmac_f32_e32 v14, v15, v12
	v_fma_f32 v11, -v11, v14, v13
	v_div_fmas_f32 v11, v11, v12, v14
	v_div_fixup_f32 v10, v11, v10, 1.0
	v_mul_f32_e32 v10, v7, v10
	s_mul_i32 s18, s51, 10
	v_cmp_gt_u32_e32 vcc, 10, v0
	s_waitcnt vmcnt(14)
	v_pk_mul_f32 v[14:15], v[10:11], v[20:21] op_sel_hi:[0,1]
	v_cvt_f16_f32_e32 v7, v14
	s_waitcnt vmcnt(12)
	v_pk_mul_f32 v[12:13], v[10:11], v[22:23] op_sel_hi:[0,1]
	buffer_store_dword v14, off, s[0:3], 0 offset:256
	buffer_store_dword v15, off, s[0:3], 0 offset:260
	;; [unrolled: 1-line block ×3, first 2 shown]
	s_waitcnt vmcnt(13)
	v_pk_mul_f32 v[20:21], v[10:11], v[24:25] op_sel_hi:[0,1]
	v_cvt_f16_f32_e32 v14, v12
	s_waitcnt vmcnt(11)
	v_pk_mul_f32 v[22:23], v[10:11], v[26:27] op_sel_hi:[0,1]
	v_cvt_f16_f32_e32 v11, v15
	v_cvt_f16_f32_e32 v15, v13
	buffer_store_dword v13, off, s[0:3], 0 offset:268
	buffer_store_dword v22, off, s[0:3], 0 offset:272
	;; [unrolled: 1-line block ×3, first 2 shown]
	v_pack_b32_f16 v12, v7, v11
	v_cvt_f16_f32_e32 v11, v23
	v_pack_b32_f16 v13, v14, v15
	v_cvt_f16_f32_e32 v7, v22
	v_cvt_f16_f32_e32 v15, v20
	;; [unrolled: 1-line block ×3, first 2 shown]
	s_waitcnt vmcnt(12)
	v_pk_mul_f32 v[4:5], v[10:11], v[4:5] op_sel_hi:[0,1]
	v_pack_b32_f16 v14, v7, v11
	s_waitcnt vmcnt(10)
	v_pk_mul_f32 v[2:3], v[10:11], v[2:3] op_sel_hi:[0,1]
	v_pack_b32_f16 v15, v15, v22
	v_cvt_f16_f32_e32 v11, v5
	buffer_store_dword v20, off, s[0:3], 0 offset:280
	buffer_store_dword v21, off, s[0:3], 0 offset:284
	ds_write2st64_b64 v43, v[12:13], v[14:15] offset1:1
	buffer_store_dword v2, off, s[0:3], 0 offset:288
	buffer_store_dword v3, off, s[0:3], 0 offset:292
	v_cvt_f16_f32_e32 v2, v2
	v_cvt_f16_f32_e32 v3, v3
	;; [unrolled: 1-line block ×3, first 2 shown]
	buffer_store_dword v4, off, s[0:3], 0 offset:296
	buffer_store_dword v5, off, s[0:3], 0 offset:300
	s_waitcnt vmcnt(12)
	v_pk_mul_f32 v[4:5], v[10:11], v[16:17] op_sel_hi:[0,1]
	v_pk_mul_f32 v[8:9], v[10:11], v[8:9] op_sel_hi:[0,1]
	v_pack_b32_f16 v2, v2, v3
	v_pack_b32_f16 v3, v7, v11
	buffer_store_dword v8, off, s[0:3], 0 offset:304
	buffer_store_dword v9, off, s[0:3], 0 offset:308
	v_cvt_f16_f32_e32 v7, v8
	v_cvt_f16_f32_e32 v8, v9
	;; [unrolled: 1-line block ×4, first 2 shown]
	buffer_store_dword v4, off, s[0:3], 0 offset:312
	buffer_store_dword v5, off, s[0:3], 0 offset:316
	v_pack_b32_f16 v4, v7, v8
	v_pack_b32_f16 v5, v9, v10
	ds_write2st64_b64 v43, v[2:3], v[4:5] offset0:2 offset1:3
	s_and_saveexec_b64 s[4:5], vcc
	s_cbranch_execz .LBB631_209
; %bb.208:
	v_add_co_u32_e32 v4, vcc, s25, v55
	v_addc_co_u32_e64 v5, s[6:7], 0, 0, vcc
	v_mov_b32_e32 v2, s18
	v_mad_u64_u32 v[4:5], s[6:7], s8, v2, v[4:5]
	v_mov_b32_e32 v3, 0
	s_mul_i32 s6, s9, s18
	v_mov_b32_e32 v2, s24
	v_add_u32_e32 v5, s6, v5
	v_mad_u64_u32 v[2:3], s[6:7], v4, s50, v[2:3]
	v_mov_b32_e32 v4, v3
	v_mad_u64_u32 v[4:5], s[6:7], v5, s50, v[4:5]
	v_mov_b32_e32 v3, v4
	v_lshlrev_b64 v[2:3], 2, v[2:3]
	v_mov_b32_e32 v5, s47
	v_add_co_u32_e32 v4, vcc, s46, v2
	v_addc_co_u32_e32 v5, vcc, v5, v3, vcc
	global_store_dword v[4:5], v19, off
	v_mov_b32_e32 v4, s45
	v_add_co_u32_e32 v2, vcc, s44, v2
	v_addc_co_u32_e32 v3, vcc, v4, v3, vcc
	global_store_dword v[2:3], v6, off
.LBB631_209:
	s_or_b64 exec, exec, s[4:5]
	v_lshl_or_b32 v30, v1, 9, v18
	s_waitcnt lgkmcnt(0)
	s_barrier
	s_load_dword s4, s[42:43], 0x0
	ds_read_b128 v[2:5], v30
	ds_read_b128 v[6:9], v30 offset:16
	ds_read_b128 v[10:13], v30 offset:2048
	;; [unrolled: 1-line block ×7, first 2 shown]
	v_mov_b32_e32 v35, 0x80
	v_mov_b32_e32 v45, 0x140
	s_mov_b64 s[10:11], -1
	s_waitcnt lgkmcnt(0)
	s_mov_b32 s5, s4
	s_mov_b32 s6, s4
	;; [unrolled: 1-line block ×3, first 2 shown]
	s_movk_i32 s9, 0x80
	s_movk_i32 s19, 0x7f
	s_mov_b32 s20, 0xffffff
	v_mov_b32_e32 v47, 0
	v_bfrev_b32_e32 v48, 60
	s_branch .LBB631_213
.LBB631_210:                            ;   in Loop: Header=BB631_213 Depth=1
	s_or_b64 exec, exec, s[16:17]
.LBB631_211:                            ;   in Loop: Header=BB631_213 Depth=1
	s_or_b64 exec, exec, s[14:15]
.LBB631_212:                            ;   in Loop: Header=BB631_213 Depth=1
	s_or_b64 exec, exec, s[12:13]
	v_cvt_pkrtz_f16_f32 v60, v46, v49
	v_cvt_pkrtz_f16_f32 v61, v44, v51
	s_xor_b64 s[12:13], s[10:11], -1
	s_mov_b64 s[10:11], 0
	v_mov_b32_e32 v59, v58
	v_mfma_f32_16x16x16f16 v[62:65], v[60:61], v[30:31], v[34:37]
	v_mov_b32_e32 v61, v41
	v_mov_b32_e32 v60, v57
	s_and_b64 vcc, exec, s[12:13]
	s_nop 3
	v_cvt_pkrtz_f16_f32 v36, v50, v52
	v_cvt_pkrtz_f16_f32 v37, v42, v53
	v_mov_b32_e32 v35, v39
	s_nop 0
	v_mfma_f32_16x16x16f16 v[50:53], v[36:37], v[32:33], v[62:65]
	s_nop 7
	s_nop 2
	v_pk_mul_f32 v[50:51], v[50:51], s[4:5]
	v_pk_mul_f32 v[36:37], v[52:53], s[6:7]
	v_cvt_f16_f32_e32 v34, v50
	v_cvt_f16_f32_e32 v38, v51
	;; [unrolled: 1-line block ×4, first 2 shown]
	v_pack_b32_f16 v34, v34, v38
	v_pack_b32_f16 v36, v36, v37
	buffer_store_dword v34, v45, s[0:3], 0 offen
	buffer_store_dword v36, v45, s[0:3], 0 offen offset:4
	v_mov_b32_e32 v45, 0x148
	s_cbranch_vccnz .LBB631_595
.LBB631_213:                            ; =>This Inner Loop Header: Depth=1
	buffer_load_dword v36, v35, s[0:3], 0 offen
	buffer_load_dword v34, v35, s[0:3], 0 offen offset:4
	buffer_load_dword v40, v35, s[0:3], 0 offen offset:8
	;; [unrolled: 1-line block ×3, first 2 shown]
	v_mov_b32_e32 v35, 0
	s_waitcnt vmcnt(3)
	v_cmp_ne_u16_sdwa s[14:15], v36, v47 src0_sel:BYTE_0 src1_sel:DWORD
	s_and_saveexec_b64 s[12:13], s[14:15]
	s_cbranch_execz .LBB631_219
; %bb.214:                              ;   in Loop: Header=BB631_213 Depth=1
	v_cmp_ne_u16_sdwa s[16:17], v36, s9 src0_sel:BYTE_0 src1_sel:DWORD
	v_bfrev_b32_e32 v35, 1
	s_and_saveexec_b64 s[14:15], s[16:17]
	s_cbranch_execz .LBB631_218
; %bb.215:                              ;   in Loop: Header=BB631_213 Depth=1
	v_and_b32_e32 v37, 0x7f, v36
	v_cmp_ne_u32_e32 vcc, s19, v37
	v_mov_b32_e32 v35, 0x7f800001
	s_and_saveexec_b64 s[16:17], vcc
	s_cbranch_execz .LBB631_217
; %bb.216:                              ;   in Loop: Header=BB631_213 Depth=1
	v_and_b32_e32 v35, 7, v36
	v_ffbh_u32_e32 v44, v35
	v_min_u32_e32 v44, 32, v44
	v_subrev_u32_e32 v46, 28, v44
	v_lshlrev_b64 v[50:51], v46, v[36:37]
	v_lshrrev_b32_e32 v42, 3, v37
	v_sub_u32_e32 v44, 29, v44
	v_and_b32_e32 v46, 7, v50
	v_cmp_gt_u32_e32 vcc, 8, v37
	v_cndmask_b32_e32 v37, v42, v44, vcc
	v_cndmask_b32_e32 v35, v35, v46, vcc
	v_lshlrev_b32_e32 v42, 24, v36
	v_lshlrev_b32_e32 v35, 20, v35
	v_and_b32_e32 v42, 0x80000000, v42
	v_lshl_add_u32 v37, v37, 23, v48
	v_or3_b32 v35, v42, v37, v35
.LBB631_217:                            ;   in Loop: Header=BB631_213 Depth=1
	s_or_b64 exec, exec, s[16:17]
.LBB631_218:                            ;   in Loop: Header=BB631_213 Depth=1
	s_or_b64 exec, exec, s[14:15]
.LBB631_219:                            ;   in Loop: Header=BB631_213 Depth=1
	s_or_b64 exec, exec, s[12:13]
	v_lshrrev_b16_e32 v42, 8, v36
	v_cmp_ne_u16_e32 vcc, 0, v42
	v_mov_b32_e32 v37, 0
	s_and_saveexec_b64 s[12:13], vcc
	s_cbranch_execz .LBB631_225
; %bb.220:                              ;   in Loop: Header=BB631_213 Depth=1
	v_cmp_ne_u16_e32 vcc, s9, v42
	v_bfrev_b32_e32 v37, 1
	s_and_saveexec_b64 s[14:15], vcc
	s_cbranch_execz .LBB631_224
; %bb.221:                              ;   in Loop: Header=BB631_213 Depth=1
	v_and_b32_e32 v44, 0x7f, v42
	v_cmp_ne_u32_e32 vcc, s19, v44
	v_mov_b32_e32 v37, 0x7f800001
	s_and_saveexec_b64 s[16:17], vcc
	s_cbranch_execz .LBB631_223
; %bb.222:                              ;   in Loop: Header=BB631_213 Depth=1
	v_and_b32_e32 v37, 7, v42
	v_ffbh_u32_e32 v49, v37
	v_min_u32_e32 v49, 32, v49
	v_subrev_u32_e32 v50, 28, v49
	v_lshlrev_b64 v[50:51], v50, v[42:43]
	v_lshrrev_b32_e32 v46, 3, v44
	v_sub_u32_e32 v42, 29, v49
	v_and_b32_e32 v49, 7, v50
	v_cmp_gt_u32_e32 vcc, 8, v44
	v_cndmask_b32_e32 v42, v46, v42, vcc
	v_cndmask_b32_e32 v37, v37, v49, vcc
	v_lshlrev_b32_e32 v44, 16, v36
	v_lshlrev_b32_e32 v37, 20, v37
	v_and_b32_e32 v44, 0x80000000, v44
	v_lshl_add_u32 v42, v42, 23, v48
	v_or3_b32 v37, v44, v42, v37
.LBB631_223:                            ;   in Loop: Header=BB631_213 Depth=1
	s_or_b64 exec, exec, s[16:17]
.LBB631_224:                            ;   in Loop: Header=BB631_213 Depth=1
	s_or_b64 exec, exec, s[14:15]
.LBB631_225:                            ;   in Loop: Header=BB631_213 Depth=1
	s_or_b64 exec, exec, s[12:13]
	v_lshrrev_b32_e32 v42, 16, v36
	v_cmp_ne_u16_sdwa s[14:15], v42, v47 src0_sel:BYTE_0 src1_sel:DWORD
	v_mov_b32_e32 v46, 0
	v_mov_b32_e32 v44, 0
	s_and_saveexec_b64 s[12:13], s[14:15]
	s_cbranch_execz .LBB631_231
; %bb.226:                              ;   in Loop: Header=BB631_213 Depth=1
	v_cmp_ne_u16_sdwa s[16:17], v42, s9 src0_sel:BYTE_0 src1_sel:DWORD
	v_bfrev_b32_e32 v44, 1
	s_and_saveexec_b64 s[14:15], s[16:17]
	s_cbranch_execz .LBB631_230
; %bb.227:                              ;   in Loop: Header=BB631_213 Depth=1
	v_bfe_u32 v49, v36, 16, 7
	v_cmp_ne_u32_e32 vcc, s19, v49
	v_mov_b32_e32 v44, 0x7f800001
	s_and_saveexec_b64 s[16:17], vcc
	s_cbranch_execz .LBB631_229
; %bb.228:                              ;   in Loop: Header=BB631_213 Depth=1
	v_and_b32_e32 v44, 7, v42
	v_ffbh_u32_e32 v50, v44
	v_min_u32_e32 v53, 32, v50
	v_subrev_u32_e32 v50, 28, v53
	v_lshlrev_b64 v[50:51], v50, v[42:43]
	v_lshrrev_b32_e32 v52, 3, v49
	v_sub_u32_e32 v51, 29, v53
	v_and_b32_e32 v50, 7, v50
	v_cmp_gt_u32_e32 vcc, 8, v49
	v_cndmask_b32_e32 v49, v52, v51, vcc
	v_cndmask_b32_e32 v44, v44, v50, vcc
	v_lshlrev_b32_e32 v42, 24, v42
	v_lshlrev_b32_e32 v44, 20, v44
	v_and_b32_e32 v42, 0x80000000, v42
	v_lshl_add_u32 v49, v49, 23, v48
	v_or3_b32 v44, v42, v49, v44
.LBB631_229:                            ;   in Loop: Header=BB631_213 Depth=1
	s_or_b64 exec, exec, s[16:17]
.LBB631_230:                            ;   in Loop: Header=BB631_213 Depth=1
	s_or_b64 exec, exec, s[14:15]
.LBB631_231:                            ;   in Loop: Header=BB631_213 Depth=1
	s_or_b64 exec, exec, s[12:13]
	v_cmp_lt_u32_e32 vcc, s20, v36
	s_and_saveexec_b64 s[12:13], vcc
	s_cbranch_execz .LBB631_237
; %bb.232:                              ;   in Loop: Header=BB631_213 Depth=1
	v_lshrrev_b32_e32 v42, 24, v36
	v_cmp_ne_u32_e32 vcc, s9, v42
	v_bfrev_b32_e32 v46, 1
	s_and_saveexec_b64 s[14:15], vcc
	s_cbranch_execz .LBB631_236
; %bb.233:                              ;   in Loop: Header=BB631_213 Depth=1
	v_bfe_u32 v36, v36, 24, 7
	v_cmp_ne_u32_e32 vcc, s19, v36
	v_mov_b32_e32 v46, 0x7f800001
	s_and_saveexec_b64 s[16:17], vcc
	s_cbranch_execz .LBB631_235
; %bb.234:                              ;   in Loop: Header=BB631_213 Depth=1
	v_and_b32_e32 v46, 7, v42
	v_ffbh_u32_e32 v50, v46
	v_min_u32_e32 v52, 32, v50
	v_subrev_u32_e32 v50, 28, v52
	v_lshlrev_b64 v[50:51], v50, v[42:43]
	v_lshrrev_b32_e32 v49, 3, v36
	v_sub_u32_e32 v51, 29, v52
	v_and_b32_e32 v50, 7, v50
	v_cmp_gt_u32_e32 vcc, 8, v36
	v_cndmask_b32_e32 v36, v49, v51, vcc
	v_cndmask_b32_e32 v46, v46, v50, vcc
	v_lshlrev_b32_e32 v42, 24, v42
	v_lshlrev_b32_e32 v46, 20, v46
	v_and_b32_e32 v42, 0x80000000, v42
	v_lshl_add_u32 v36, v36, 23, v48
	v_or3_b32 v46, v42, v36, v46
.LBB631_235:                            ;   in Loop: Header=BB631_213 Depth=1
	s_or_b64 exec, exec, s[16:17]
.LBB631_236:                            ;   in Loop: Header=BB631_213 Depth=1
	s_or_b64 exec, exec, s[14:15]
.LBB631_237:                            ;   in Loop: Header=BB631_213 Depth=1
	s_or_b64 exec, exec, s[12:13]
	s_waitcnt vmcnt(2)
	v_cmp_ne_u16_sdwa s[14:15], v34, v47 src0_sel:BYTE_0 src1_sel:DWORD
	v_mov_b32_e32 v42, 0
	v_mov_b32_e32 v49, 0
	s_and_saveexec_b64 s[12:13], s[14:15]
	s_cbranch_execz .LBB631_243
; %bb.238:                              ;   in Loop: Header=BB631_213 Depth=1
	v_cmp_ne_u16_sdwa s[16:17], v34, s9 src0_sel:BYTE_0 src1_sel:DWORD
	v_bfrev_b32_e32 v49, 1
	s_and_saveexec_b64 s[14:15], s[16:17]
	s_cbranch_execz .LBB631_242
; %bb.239:                              ;   in Loop: Header=BB631_213 Depth=1
	v_and_b32_e32 v36, 0x7f, v34
	v_cmp_ne_u32_e32 vcc, s19, v36
	v_mov_b32_e32 v49, 0x7f800001
	s_and_saveexec_b64 s[16:17], vcc
	s_cbranch_execz .LBB631_241
; %bb.240:                              ;   in Loop: Header=BB631_213 Depth=1
	v_and_b32_e32 v49, 7, v34
	v_ffbh_u32_e32 v50, v49
	v_min_u32_e32 v53, 32, v50
	v_subrev_u32_e32 v50, 28, v53
	v_lshlrev_b64 v[50:51], v50, v[34:35]
	v_lshrrev_b32_e32 v52, 3, v36
	v_sub_u32_e32 v51, 29, v53
	v_and_b32_e32 v50, 7, v50
	v_cmp_gt_u32_e32 vcc, 8, v36
	v_cndmask_b32_e32 v36, v52, v51, vcc
	v_cndmask_b32_e32 v49, v49, v50, vcc
	v_lshlrev_b32_e32 v50, 24, v34
	v_lshlrev_b32_e32 v49, 20, v49
	v_and_b32_e32 v50, 0x80000000, v50
	v_lshl_add_u32 v36, v36, 23, v48
	v_or3_b32 v49, v50, v36, v49
.LBB631_241:                            ;   in Loop: Header=BB631_213 Depth=1
	s_or_b64 exec, exec, s[16:17]
.LBB631_242:                            ;   in Loop: Header=BB631_213 Depth=1
	s_or_b64 exec, exec, s[14:15]
.LBB631_243:                            ;   in Loop: Header=BB631_213 Depth=1
	s_or_b64 exec, exec, s[12:13]
	v_lshrrev_b16_e32 v36, 8, v34
	v_cmp_ne_u16_e32 vcc, 0, v36
	s_and_saveexec_b64 s[12:13], vcc
	s_cbranch_execz .LBB631_249
; %bb.244:                              ;   in Loop: Header=BB631_213 Depth=1
	v_cmp_ne_u16_e32 vcc, s9, v36
	v_bfrev_b32_e32 v42, 1
	s_and_saveexec_b64 s[14:15], vcc
	s_cbranch_execz .LBB631_248
; %bb.245:                              ;   in Loop: Header=BB631_213 Depth=1
	v_and_b32_e32 v50, 0x7f, v36
	v_cmp_ne_u32_e32 vcc, s19, v50
	v_mov_b32_e32 v42, 0x7f800001
	s_and_saveexec_b64 s[16:17], vcc
	s_cbranch_execz .LBB631_247
; %bb.246:                              ;   in Loop: Header=BB631_213 Depth=1
	v_and_b32_e32 v42, 7, v36
	v_ffbh_u32_e32 v52, v42
	v_min_u32_e32 v62, 32, v52
	v_subrev_u32_e32 v52, 28, v62
	v_lshlrev_b64 v[52:53], v52, v[36:37]
	v_lshrrev_b32_e32 v51, 3, v50
	v_sub_u32_e32 v36, 29, v62
	v_and_b32_e32 v52, 7, v52
	v_cmp_gt_u32_e32 vcc, 8, v50
	v_cndmask_b32_e32 v36, v51, v36, vcc
	v_cndmask_b32_e32 v42, v42, v52, vcc
	v_lshlrev_b32_e32 v50, 16, v34
	v_lshlrev_b32_e32 v42, 20, v42
	v_and_b32_e32 v50, 0x80000000, v50
	v_lshl_add_u32 v36, v36, 23, v48
	v_or3_b32 v42, v50, v36, v42
.LBB631_247:                            ;   in Loop: Header=BB631_213 Depth=1
	s_or_b64 exec, exec, s[16:17]
.LBB631_248:                            ;   in Loop: Header=BB631_213 Depth=1
	s_or_b64 exec, exec, s[14:15]
.LBB631_249:                            ;   in Loop: Header=BB631_213 Depth=1
	s_or_b64 exec, exec, s[12:13]
	v_lshrrev_b32_e32 v36, 16, v34
	v_cmp_ne_u16_sdwa s[14:15], v36, v47 src0_sel:BYTE_0 src1_sel:DWORD
	v_mov_b32_e32 v51, 0
	v_mov_b32_e32 v50, 0
	s_and_saveexec_b64 s[12:13], s[14:15]
	s_cbranch_execz .LBB631_255
; %bb.250:                              ;   in Loop: Header=BB631_213 Depth=1
	v_cmp_ne_u16_sdwa s[16:17], v36, s9 src0_sel:BYTE_0 src1_sel:DWORD
	v_bfrev_b32_e32 v50, 1
	s_and_saveexec_b64 s[14:15], s[16:17]
	s_cbranch_execz .LBB631_254
; %bb.251:                              ;   in Loop: Header=BB631_213 Depth=1
	v_bfe_u32 v52, v34, 16, 7
	v_cmp_ne_u32_e32 vcc, s19, v52
	v_mov_b32_e32 v50, 0x7f800001
	s_and_saveexec_b64 s[16:17], vcc
	s_cbranch_execz .LBB631_253
; %bb.252:                              ;   in Loop: Header=BB631_213 Depth=1
	v_and_b32_e32 v50, 7, v36
	v_ffbh_u32_e32 v62, v50
	v_min_u32_e32 v64, 32, v62
	v_subrev_u32_e32 v62, 28, v64
	v_lshlrev_b64 v[62:63], v62, v[36:37]
	v_lshrrev_b32_e32 v53, 3, v52
	v_sub_u32_e32 v63, 29, v64
	v_and_b32_e32 v62, 7, v62
	v_cmp_gt_u32_e32 vcc, 8, v52
	v_cndmask_b32_e32 v52, v53, v63, vcc
	v_cndmask_b32_e32 v50, v50, v62, vcc
	v_lshlrev_b32_e32 v36, 24, v36
	v_lshlrev_b32_e32 v50, 20, v50
	v_and_b32_e32 v36, 0x80000000, v36
	v_lshl_add_u32 v52, v52, 23, v48
	v_or3_b32 v50, v36, v52, v50
.LBB631_253:                            ;   in Loop: Header=BB631_213 Depth=1
	s_or_b64 exec, exec, s[16:17]
.LBB631_254:                            ;   in Loop: Header=BB631_213 Depth=1
	s_or_b64 exec, exec, s[14:15]
.LBB631_255:                            ;   in Loop: Header=BB631_213 Depth=1
	s_or_b64 exec, exec, s[12:13]
	v_cmp_lt_u32_e32 vcc, s20, v34
	s_and_saveexec_b64 s[12:13], vcc
	s_cbranch_execz .LBB631_261
; %bb.256:                              ;   in Loop: Header=BB631_213 Depth=1
	v_lshrrev_b32_e32 v36, 24, v34
	v_cmp_ne_u32_e32 vcc, s9, v36
	v_bfrev_b32_e32 v51, 1
	s_and_saveexec_b64 s[14:15], vcc
	s_cbranch_execz .LBB631_260
; %bb.257:                              ;   in Loop: Header=BB631_213 Depth=1
	v_bfe_u32 v34, v34, 24, 7
	v_cmp_ne_u32_e32 vcc, s19, v34
	v_mov_b32_e32 v51, 0x7f800001
	s_and_saveexec_b64 s[16:17], vcc
	s_cbranch_execz .LBB631_259
; %bb.258:                              ;   in Loop: Header=BB631_213 Depth=1
	v_and_b32_e32 v51, 7, v36
	v_ffbh_u32_e32 v52, v51
	v_min_u32_e32 v63, 32, v52
	v_subrev_u32_e32 v52, 28, v63
	v_lshlrev_b64 v[52:53], v52, v[36:37]
	v_lshrrev_b32_e32 v62, 3, v34
	v_sub_u32_e32 v53, 29, v63
	v_and_b32_e32 v52, 7, v52
	v_cmp_gt_u32_e32 vcc, 8, v34
	v_cndmask_b32_e32 v34, v62, v53, vcc
	v_cndmask_b32_e32 v51, v51, v52, vcc
	v_lshlrev_b32_e32 v36, 24, v36
	v_lshlrev_b32_e32 v51, 20, v51
	v_and_b32_e32 v36, 0x80000000, v36
	v_lshl_add_u32 v34, v34, 23, v48
	v_or3_b32 v51, v36, v34, v51
.LBB631_259:                            ;   in Loop: Header=BB631_213 Depth=1
	s_or_b64 exec, exec, s[16:17]
.LBB631_260:                            ;   in Loop: Header=BB631_213 Depth=1
	s_or_b64 exec, exec, s[14:15]
.LBB631_261:                            ;   in Loop: Header=BB631_213 Depth=1
	s_or_b64 exec, exec, s[12:13]
	v_cvt_pkrtz_f16_f32 v34, v35, v37
	v_cvt_pkrtz_f16_f32 v35, v44, v46
	;; [unrolled: 1-line block ×4, first 2 shown]
	v_mov_b32_e32 v44, 0
	v_mfma_f32_16x16x16f16 v[34:37], v[34:35], v[2:3], 0
	s_waitcnt vmcnt(1)
	v_cmp_ne_u16_sdwa s[14:15], v40, v47 src0_sel:BYTE_0 src1_sel:DWORD
	v_mov_b32_e32 v46, 0
	v_mfma_f32_16x16x16f16 v[34:37], v[52:53], v[4:5], v[34:37]
	s_and_saveexec_b64 s[12:13], s[14:15]
	s_cbranch_execz .LBB631_267
; %bb.262:                              ;   in Loop: Header=BB631_213 Depth=1
	v_cmp_ne_u16_sdwa s[16:17], v40, s9 src0_sel:BYTE_0 src1_sel:DWORD
	v_bfrev_b32_e32 v46, 1
	s_and_saveexec_b64 s[14:15], s[16:17]
	s_cbranch_execz .LBB631_266
; %bb.263:                              ;   in Loop: Header=BB631_213 Depth=1
	v_and_b32_e32 v42, 0x7f, v40
	v_cmp_ne_u32_e32 vcc, s19, v42
	v_mov_b32_e32 v46, 0x7f800001
	s_and_saveexec_b64 s[16:17], vcc
	s_cbranch_execz .LBB631_265
; %bb.264:                              ;   in Loop: Header=BB631_213 Depth=1
	v_and_b32_e32 v46, 7, v40
	v_ffbh_u32_e32 v50, v46
	v_min_u32_e32 v52, 32, v50
	v_subrev_u32_e32 v50, 28, v52
	v_lshlrev_b64 v[50:51], v50, v[40:41]
	v_lshrrev_b32_e32 v49, 3, v42
	v_sub_u32_e32 v51, 29, v52
	v_and_b32_e32 v50, 7, v50
	v_cmp_gt_u32_e32 vcc, 8, v42
	v_cndmask_b32_e32 v42, v49, v51, vcc
	v_cndmask_b32_e32 v46, v46, v50, vcc
	v_lshlrev_b32_e32 v49, 24, v40
	v_lshlrev_b32_e32 v46, 20, v46
	v_and_b32_e32 v49, 0x80000000, v49
	v_lshl_add_u32 v42, v42, 23, v48
	v_or3_b32 v46, v49, v42, v46
.LBB631_265:                            ;   in Loop: Header=BB631_213 Depth=1
	s_or_b64 exec, exec, s[16:17]
.LBB631_266:                            ;   in Loop: Header=BB631_213 Depth=1
	s_or_b64 exec, exec, s[14:15]
.LBB631_267:                            ;   in Loop: Header=BB631_213 Depth=1
	s_or_b64 exec, exec, s[12:13]
	v_lshrrev_b16_e32 v42, 8, v40
	v_cmp_ne_u16_e32 vcc, 0, v42
	v_mov_b32_e32 v50, 0
	s_and_saveexec_b64 s[12:13], vcc
	s_cbranch_execz .LBB631_273
; %bb.268:                              ;   in Loop: Header=BB631_213 Depth=1
	v_cmp_ne_u16_e32 vcc, s9, v42
	v_bfrev_b32_e32 v50, 1
	s_and_saveexec_b64 s[14:15], vcc
	s_cbranch_execz .LBB631_272
; %bb.269:                              ;   in Loop: Header=BB631_213 Depth=1
	v_and_b32_e32 v49, 0x7f, v42
	v_cmp_ne_u32_e32 vcc, s19, v49
	v_mov_b32_e32 v50, 0x7f800001
	s_and_saveexec_b64 s[16:17], vcc
	s_cbranch_execz .LBB631_271
; %bb.270:                              ;   in Loop: Header=BB631_213 Depth=1
	v_and_b32_e32 v52, 7, v42
	v_ffbh_u32_e32 v50, v52
	v_min_u32_e32 v62, 32, v50
	v_subrev_u32_e32 v50, 28, v62
	v_lshlrev_b64 v[50:51], v50, v[42:43]
	v_lshrrev_b32_e32 v53, 3, v49
	v_sub_u32_e32 v42, 29, v62
	v_and_b32_e32 v50, 7, v50
	v_cmp_gt_u32_e32 vcc, 8, v49
	v_cndmask_b32_e32 v42, v53, v42, vcc
	v_cndmask_b32_e32 v49, v52, v50, vcc
	v_lshlrev_b32_e32 v50, 16, v40
	v_lshlrev_b32_e32 v49, 20, v49
	v_and_b32_e32 v50, 0x80000000, v50
	v_lshl_add_u32 v42, v42, 23, v48
	v_or3_b32 v50, v50, v42, v49
.LBB631_271:                            ;   in Loop: Header=BB631_213 Depth=1
	s_or_b64 exec, exec, s[16:17]
.LBB631_272:                            ;   in Loop: Header=BB631_213 Depth=1
	s_or_b64 exec, exec, s[14:15]
.LBB631_273:                            ;   in Loop: Header=BB631_213 Depth=1
	s_or_b64 exec, exec, s[12:13]
	v_lshrrev_b32_e32 v42, 16, v40
	v_cmp_ne_u16_sdwa s[14:15], v42, v47 src0_sel:BYTE_0 src1_sel:DWORD
	s_and_saveexec_b64 s[12:13], s[14:15]
	s_cbranch_execz .LBB631_279
; %bb.274:                              ;   in Loop: Header=BB631_213 Depth=1
	v_cmp_ne_u16_sdwa s[16:17], v42, s9 src0_sel:BYTE_0 src1_sel:DWORD
	v_bfrev_b32_e32 v44, 1
	s_and_saveexec_b64 s[14:15], s[16:17]
	s_cbranch_execz .LBB631_278
; %bb.275:                              ;   in Loop: Header=BB631_213 Depth=1
	v_bfe_u32 v49, v40, 16, 7
	v_cmp_ne_u32_e32 vcc, s19, v49
	v_mov_b32_e32 v44, 0x7f800001
	s_and_saveexec_b64 s[16:17], vcc
	s_cbranch_execz .LBB631_277
; %bb.276:                              ;   in Loop: Header=BB631_213 Depth=1
	v_and_b32_e32 v44, 7, v42
	v_ffbh_u32_e32 v52, v44
	v_min_u32_e32 v62, 32, v52
	v_subrev_u32_e32 v52, 28, v62
	v_lshlrev_b64 v[52:53], v52, v[42:43]
	v_lshrrev_b32_e32 v51, 3, v49
	v_sub_u32_e32 v53, 29, v62
	v_and_b32_e32 v52, 7, v52
	v_cmp_gt_u32_e32 vcc, 8, v49
	v_cndmask_b32_e32 v49, v51, v53, vcc
	v_cndmask_b32_e32 v44, v44, v52, vcc
	v_lshlrev_b32_e32 v42, 24, v42
	v_lshlrev_b32_e32 v44, 20, v44
	v_and_b32_e32 v42, 0x80000000, v42
	v_lshl_add_u32 v49, v49, 23, v48
	v_or3_b32 v44, v42, v49, v44
.LBB631_277:                            ;   in Loop: Header=BB631_213 Depth=1
	s_or_b64 exec, exec, s[16:17]
.LBB631_278:                            ;   in Loop: Header=BB631_213 Depth=1
	s_or_b64 exec, exec, s[14:15]
.LBB631_279:                            ;   in Loop: Header=BB631_213 Depth=1
	s_or_b64 exec, exec, s[12:13]
	v_cmp_lt_u32_e32 vcc, s20, v40
	v_mov_b32_e32 v51, 0
	v_mov_b32_e32 v52, 0
	s_and_saveexec_b64 s[12:13], vcc
	s_cbranch_execz .LBB631_285
; %bb.280:                              ;   in Loop: Header=BB631_213 Depth=1
	v_lshrrev_b32_e32 v42, 24, v40
	v_cmp_ne_u32_e32 vcc, s9, v42
	v_bfrev_b32_e32 v52, 1
	s_and_saveexec_b64 s[14:15], vcc
	s_cbranch_execz .LBB631_284
; %bb.281:                              ;   in Loop: Header=BB631_213 Depth=1
	v_bfe_u32 v40, v40, 24, 7
	v_cmp_ne_u32_e32 vcc, s19, v40
	v_mov_b32_e32 v52, 0x7f800001
	s_and_saveexec_b64 s[16:17], vcc
	s_cbranch_execz .LBB631_283
; %bb.282:                              ;   in Loop: Header=BB631_213 Depth=1
	v_and_b32_e32 v49, 7, v42
	v_ffbh_u32_e32 v52, v49
	v_min_u32_e32 v63, 32, v52
	v_subrev_u32_e32 v52, 28, v63
	v_lshlrev_b64 v[52:53], v52, v[42:43]
	v_lshrrev_b32_e32 v62, 3, v40
	v_sub_u32_e32 v53, 29, v63
	v_and_b32_e32 v52, 7, v52
	v_cmp_gt_u32_e32 vcc, 8, v40
	v_cndmask_b32_e32 v40, v62, v53, vcc
	v_cndmask_b32_e32 v49, v49, v52, vcc
	v_lshlrev_b32_e32 v42, 24, v42
	v_lshlrev_b32_e32 v49, 20, v49
	v_and_b32_e32 v42, 0x80000000, v42
	v_lshl_add_u32 v40, v40, 23, v48
	v_or3_b32 v52, v42, v40, v49
.LBB631_283:                            ;   in Loop: Header=BB631_213 Depth=1
	s_or_b64 exec, exec, s[16:17]
.LBB631_284:                            ;   in Loop: Header=BB631_213 Depth=1
	s_or_b64 exec, exec, s[14:15]
.LBB631_285:                            ;   in Loop: Header=BB631_213 Depth=1
	s_or_b64 exec, exec, s[12:13]
	s_waitcnt vmcnt(0)
	v_cmp_ne_u16_sdwa s[14:15], v38, v47 src0_sel:BYTE_0 src1_sel:DWORD
	s_and_saveexec_b64 s[12:13], s[14:15]
	s_cbranch_execz .LBB631_291
; %bb.286:                              ;   in Loop: Header=BB631_213 Depth=1
	v_cmp_ne_u16_sdwa s[16:17], v38, s9 src0_sel:BYTE_0 src1_sel:DWORD
	v_bfrev_b32_e32 v51, 1
	s_and_saveexec_b64 s[14:15], s[16:17]
	s_cbranch_execz .LBB631_290
; %bb.287:                              ;   in Loop: Header=BB631_213 Depth=1
	v_and_b32_e32 v40, 0x7f, v38
	v_cmp_ne_u32_e32 vcc, s19, v40
	v_mov_b32_e32 v51, 0x7f800001
	s_and_saveexec_b64 s[16:17], vcc
	s_cbranch_execz .LBB631_289
; %bb.288:                              ;   in Loop: Header=BB631_213 Depth=1
	v_and_b32_e32 v42, 7, v38
	v_ffbh_u32_e32 v51, v42
	v_min_u32_e32 v51, 32, v51
	v_subrev_u32_e32 v53, 28, v51
	v_lshlrev_b64 v[62:63], v53, v[38:39]
	v_lshrrev_b32_e32 v49, 3, v40
	v_sub_u32_e32 v51, 29, v51
	v_and_b32_e32 v53, 7, v62
	v_cmp_gt_u32_e32 vcc, 8, v40
	v_cndmask_b32_e32 v40, v49, v51, vcc
	v_cndmask_b32_e32 v42, v42, v53, vcc
	v_lshlrev_b32_e32 v49, 24, v38
	v_lshlrev_b32_e32 v42, 20, v42
	v_and_b32_e32 v49, 0x80000000, v49
	v_lshl_add_u32 v40, v40, 23, v48
	v_or3_b32 v51, v49, v40, v42
.LBB631_289:                            ;   in Loop: Header=BB631_213 Depth=1
	s_or_b64 exec, exec, s[16:17]
.LBB631_290:                            ;   in Loop: Header=BB631_213 Depth=1
	s_or_b64 exec, exec, s[14:15]
.LBB631_291:                            ;   in Loop: Header=BB631_213 Depth=1
	s_or_b64 exec, exec, s[12:13]
	v_lshrrev_b16_e32 v40, 8, v38
	v_cmp_ne_u16_e32 vcc, 0, v40
	v_mov_b32_e32 v53, 0
	v_mov_b32_e32 v62, 0
	s_and_saveexec_b64 s[12:13], vcc
	s_cbranch_execz .LBB631_297
; %bb.292:                              ;   in Loop: Header=BB631_213 Depth=1
	v_cmp_ne_u16_e32 vcc, s9, v40
	v_bfrev_b32_e32 v62, 1
	s_and_saveexec_b64 s[14:15], vcc
	s_cbranch_execz .LBB631_296
; %bb.293:                              ;   in Loop: Header=BB631_213 Depth=1
	v_and_b32_e32 v42, 0x7f, v40
	v_cmp_ne_u32_e32 vcc, s19, v42
	v_mov_b32_e32 v62, 0x7f800001
	s_and_saveexec_b64 s[16:17], vcc
	s_cbranch_execz .LBB631_295
; %bb.294:                              ;   in Loop: Header=BB631_213 Depth=1
	v_and_b32_e32 v49, 7, v40
	v_ffbh_u32_e32 v62, v49
	v_min_u32_e32 v65, 32, v62
	v_subrev_u32_e32 v62, 28, v65
	v_lshlrev_b64 v[62:63], v62, v[40:41]
	v_lshrrev_b32_e32 v64, 3, v42
	v_sub_u32_e32 v40, 29, v65
	v_and_b32_e32 v62, 7, v62
	v_cmp_gt_u32_e32 vcc, 8, v42
	v_cndmask_b32_e32 v40, v64, v40, vcc
	v_cndmask_b32_e32 v42, v49, v62, vcc
	v_lshlrev_b32_e32 v49, 16, v38
	v_lshlrev_b32_e32 v42, 20, v42
	v_and_b32_e32 v49, 0x80000000, v49
	v_lshl_add_u32 v40, v40, 23, v48
	v_or3_b32 v62, v49, v40, v42
.LBB631_295:                            ;   in Loop: Header=BB631_213 Depth=1
	s_or_b64 exec, exec, s[16:17]
.LBB631_296:                            ;   in Loop: Header=BB631_213 Depth=1
	s_or_b64 exec, exec, s[14:15]
.LBB631_297:                            ;   in Loop: Header=BB631_213 Depth=1
	s_or_b64 exec, exec, s[12:13]
	v_lshrrev_b32_e32 v40, 16, v38
	v_cmp_ne_u16_sdwa s[14:15], v40, v47 src0_sel:BYTE_0 src1_sel:DWORD
	s_and_saveexec_b64 s[12:13], s[14:15]
	s_cbranch_execz .LBB631_303
; %bb.298:                              ;   in Loop: Header=BB631_213 Depth=1
	v_cmp_ne_u16_sdwa s[16:17], v40, s9 src0_sel:BYTE_0 src1_sel:DWORD
	v_bfrev_b32_e32 v53, 1
	s_and_saveexec_b64 s[14:15], s[16:17]
	s_cbranch_execz .LBB631_302
; %bb.299:                              ;   in Loop: Header=BB631_213 Depth=1
	v_bfe_u32 v42, v38, 16, 7
	v_cmp_ne_u32_e32 vcc, s19, v42
	v_mov_b32_e32 v53, 0x7f800001
	s_and_saveexec_b64 s[16:17], vcc
	s_cbranch_execz .LBB631_301
; %bb.300:                              ;   in Loop: Header=BB631_213 Depth=1
	v_and_b32_e32 v49, 7, v40
	v_ffbh_u32_e32 v63, v49
	v_min_u32_e32 v63, 32, v63
	v_subrev_u32_e32 v64, 28, v63
	v_lshlrev_b64 v[64:65], v64, v[40:41]
	v_lshrrev_b32_e32 v53, 3, v42
	v_sub_u32_e32 v63, 29, v63
	v_and_b32_e32 v64, 7, v64
	v_cmp_gt_u32_e32 vcc, 8, v42
	v_cndmask_b32_e32 v42, v53, v63, vcc
	v_cndmask_b32_e32 v49, v49, v64, vcc
	v_lshlrev_b32_e32 v40, 24, v40
	v_lshlrev_b32_e32 v49, 20, v49
	v_and_b32_e32 v40, 0x80000000, v40
	v_lshl_add_u32 v42, v42, 23, v48
	v_or3_b32 v53, v40, v42, v49
.LBB631_301:                            ;   in Loop: Header=BB631_213 Depth=1
	s_or_b64 exec, exec, s[16:17]
.LBB631_302:                            ;   in Loop: Header=BB631_213 Depth=1
	s_or_b64 exec, exec, s[14:15]
.LBB631_303:                            ;   in Loop: Header=BB631_213 Depth=1
	s_or_b64 exec, exec, s[12:13]
	v_cmp_lt_u32_e32 vcc, s20, v38
	v_mov_b32_e32 v49, 0
	v_mov_b32_e32 v63, 0
	s_and_saveexec_b64 s[12:13], vcc
	s_cbranch_execz .LBB631_309
; %bb.304:                              ;   in Loop: Header=BB631_213 Depth=1
	v_lshrrev_b32_e32 v40, 24, v38
	v_cmp_ne_u32_e32 vcc, s9, v40
	v_bfrev_b32_e32 v63, 1
	s_and_saveexec_b64 s[14:15], vcc
	s_cbranch_execz .LBB631_308
; %bb.305:                              ;   in Loop: Header=BB631_213 Depth=1
	v_bfe_u32 v38, v38, 24, 7
	v_cmp_ne_u32_e32 vcc, s19, v38
	v_mov_b32_e32 v63, 0x7f800001
	s_and_saveexec_b64 s[16:17], vcc
	s_cbranch_execz .LBB631_307
; %bb.306:                              ;   in Loop: Header=BB631_213 Depth=1
	v_and_b32_e32 v42, 7, v40
	v_ffbh_u32_e32 v64, v42
	v_min_u32_e32 v66, 32, v64
	v_subrev_u32_e32 v64, 28, v66
	v_lshlrev_b64 v[64:65], v64, v[40:41]
	v_lshrrev_b32_e32 v63, 3, v38
	v_sub_u32_e32 v65, 29, v66
	v_and_b32_e32 v64, 7, v64
	v_cmp_gt_u32_e32 vcc, 8, v38
	v_cndmask_b32_e32 v38, v63, v65, vcc
	v_cndmask_b32_e32 v42, v42, v64, vcc
	v_lshlrev_b32_e32 v40, 24, v40
	v_lshlrev_b32_e32 v42, 20, v42
	v_and_b32_e32 v40, 0x80000000, v40
	v_lshl_add_u32 v38, v38, 23, v48
	v_or3_b32 v63, v40, v38, v42
.LBB631_307:                            ;   in Loop: Header=BB631_213 Depth=1
	s_or_b64 exec, exec, s[16:17]
.LBB631_308:                            ;   in Loop: Header=BB631_213 Depth=1
	s_or_b64 exec, exec, s[14:15]
.LBB631_309:                            ;   in Loop: Header=BB631_213 Depth=1
	s_or_b64 exec, exec, s[12:13]
	v_cvt_pkrtz_f16_f32 v65, v44, v52
	buffer_load_dword v44, v61, s[0:3], 0 offen
	buffer_load_dword v42, v61, s[0:3], 0 offen offset:4
	buffer_load_dword v40, v61, s[0:3], 0 offen offset:8
	;; [unrolled: 1-line block ×3, first 2 shown]
	v_cvt_pkrtz_f16_f32 v64, v46, v50
	v_cvt_pkrtz_f16_f32 v50, v51, v62
	;; [unrolled: 1-line block ×3, first 2 shown]
	v_mfma_f32_16x16x16f16 v[34:37], v[64:65], v[6:7], v[34:37]
	s_waitcnt vmcnt(3)
	v_cmp_ne_u16_sdwa s[14:15], v44, v47 src0_sel:BYTE_0 src1_sel:DWORD
	v_mfma_f32_16x16x16f16 v[34:37], v[50:51], v[8:9], v[34:37]
	s_and_saveexec_b64 s[12:13], s[14:15]
	s_cbranch_execz .LBB631_315
; %bb.310:                              ;   in Loop: Header=BB631_213 Depth=1
	v_cmp_ne_u16_sdwa s[16:17], v44, s9 src0_sel:BYTE_0 src1_sel:DWORD
	v_bfrev_b32_e32 v49, 1
	s_and_saveexec_b64 s[14:15], s[16:17]
	s_cbranch_execz .LBB631_314
; %bb.311:                              ;   in Loop: Header=BB631_213 Depth=1
	v_and_b32_e32 v46, 0x7f, v44
	v_cmp_ne_u32_e32 vcc, s19, v46
	v_mov_b32_e32 v49, 0x7f800001
	s_and_saveexec_b64 s[16:17], vcc
	s_cbranch_execz .LBB631_313
; %bb.312:                              ;   in Loop: Header=BB631_213 Depth=1
	v_and_b32_e32 v49, 7, v44
	v_ffbh_u32_e32 v50, v49
	v_min_u32_e32 v53, 32, v50
	v_subrev_u32_e32 v50, 28, v53
	v_lshlrev_b64 v[50:51], v50, v[44:45]
	v_lshrrev_b32_e32 v52, 3, v46
	v_sub_u32_e32 v51, 29, v53
	v_and_b32_e32 v50, 7, v50
	v_cmp_gt_u32_e32 vcc, 8, v46
	v_cndmask_b32_e32 v46, v52, v51, vcc
	v_cndmask_b32_e32 v49, v49, v50, vcc
	v_lshlrev_b32_e32 v50, 24, v44
	v_lshlrev_b32_e32 v49, 20, v49
	v_and_b32_e32 v50, 0x80000000, v50
	v_lshl_add_u32 v46, v46, 23, v48
	v_or3_b32 v49, v50, v46, v49
.LBB631_313:                            ;   in Loop: Header=BB631_213 Depth=1
	s_or_b64 exec, exec, s[16:17]
.LBB631_314:                            ;   in Loop: Header=BB631_213 Depth=1
	s_or_b64 exec, exec, s[14:15]
.LBB631_315:                            ;   in Loop: Header=BB631_213 Depth=1
	s_or_b64 exec, exec, s[12:13]
	v_lshrrev_b16_e32 v46, 8, v44
	v_cmp_ne_u16_e32 vcc, 0, v46
	v_mov_b32_e32 v50, 0
	v_mov_b32_e32 v51, 0
	s_and_saveexec_b64 s[12:13], vcc
	s_cbranch_execz .LBB631_321
; %bb.316:                              ;   in Loop: Header=BB631_213 Depth=1
	v_cmp_ne_u16_e32 vcc, s9, v46
	v_bfrev_b32_e32 v51, 1
	s_and_saveexec_b64 s[14:15], vcc
	s_cbranch_execz .LBB631_320
; %bb.317:                              ;   in Loop: Header=BB631_213 Depth=1
	v_and_b32_e32 v52, 0x7f, v46
	v_cmp_ne_u32_e32 vcc, s19, v52
	v_mov_b32_e32 v51, 0x7f800001
	s_and_saveexec_b64 s[16:17], vcc
	s_cbranch_execz .LBB631_319
; %bb.318:                              ;   in Loop: Header=BB631_213 Depth=1
	v_and_b32_e32 v51, 7, v46
	v_ffbh_u32_e32 v61, v51
	v_min_u32_e32 v61, 32, v61
	v_subrev_u32_e32 v62, 28, v61
	v_lshlrev_b64 v[62:63], v62, v[46:47]
	v_lshrrev_b32_e32 v53, 3, v52
	v_sub_u32_e32 v46, 29, v61
	v_and_b32_e32 v61, 7, v62
	v_cmp_gt_u32_e32 vcc, 8, v52
	v_cndmask_b32_e32 v46, v53, v46, vcc
	v_cndmask_b32_e32 v51, v51, v61, vcc
	v_lshlrev_b32_e32 v52, 16, v44
	v_lshlrev_b32_e32 v51, 20, v51
	v_and_b32_e32 v52, 0x80000000, v52
	v_lshl_add_u32 v46, v46, 23, v48
	v_or3_b32 v51, v52, v46, v51
.LBB631_319:                            ;   in Loop: Header=BB631_213 Depth=1
	s_or_b64 exec, exec, s[16:17]
.LBB631_320:                            ;   in Loop: Header=BB631_213 Depth=1
	s_or_b64 exec, exec, s[14:15]
.LBB631_321:                            ;   in Loop: Header=BB631_213 Depth=1
	s_or_b64 exec, exec, s[12:13]
	v_lshrrev_b32_e32 v46, 16, v44
	v_cmp_ne_u16_sdwa s[14:15], v46, v47 src0_sel:BYTE_0 src1_sel:DWORD
	s_and_saveexec_b64 s[12:13], s[14:15]
	s_cbranch_execz .LBB631_327
; %bb.322:                              ;   in Loop: Header=BB631_213 Depth=1
	v_cmp_ne_u16_sdwa s[16:17], v46, s9 src0_sel:BYTE_0 src1_sel:DWORD
	v_bfrev_b32_e32 v50, 1
	s_and_saveexec_b64 s[14:15], s[16:17]
	s_cbranch_execz .LBB631_326
; %bb.323:                              ;   in Loop: Header=BB631_213 Depth=1
	v_bfe_u32 v52, v44, 16, 7
	v_cmp_ne_u32_e32 vcc, s19, v52
	v_mov_b32_e32 v50, 0x7f800001
	s_and_saveexec_b64 s[16:17], vcc
	s_cbranch_execz .LBB631_325
; %bb.324:                              ;   in Loop: Header=BB631_213 Depth=1
	v_and_b32_e32 v50, 7, v46
	v_ffbh_u32_e32 v61, v50
	v_min_u32_e32 v61, 32, v61
	v_subrev_u32_e32 v62, 28, v61
	v_lshlrev_b64 v[62:63], v62, v[46:47]
	v_lshrrev_b32_e32 v53, 3, v52
	v_sub_u32_e32 v61, 29, v61
	v_and_b32_e32 v62, 7, v62
	v_cmp_gt_u32_e32 vcc, 8, v52
	v_cndmask_b32_e32 v52, v53, v61, vcc
	v_cndmask_b32_e32 v50, v50, v62, vcc
	v_lshlrev_b32_e32 v46, 24, v46
	v_lshlrev_b32_e32 v50, 20, v50
	v_and_b32_e32 v46, 0x80000000, v46
	v_lshl_add_u32 v52, v52, 23, v48
	v_or3_b32 v50, v46, v52, v50
.LBB631_325:                            ;   in Loop: Header=BB631_213 Depth=1
	s_or_b64 exec, exec, s[16:17]
.LBB631_326:                            ;   in Loop: Header=BB631_213 Depth=1
	s_or_b64 exec, exec, s[14:15]
.LBB631_327:                            ;   in Loop: Header=BB631_213 Depth=1
	s_or_b64 exec, exec, s[12:13]
	v_cmp_lt_u32_e32 vcc, s20, v44
	v_mov_b32_e32 v52, 0
	v_mov_b32_e32 v53, 0
	s_and_saveexec_b64 s[12:13], vcc
	s_cbranch_execz .LBB631_333
; %bb.328:                              ;   in Loop: Header=BB631_213 Depth=1
	v_lshrrev_b32_e32 v46, 24, v44
	v_cmp_ne_u32_e32 vcc, s9, v46
	v_bfrev_b32_e32 v53, 1
	s_and_saveexec_b64 s[14:15], vcc
	s_cbranch_execz .LBB631_332
; %bb.329:                              ;   in Loop: Header=BB631_213 Depth=1
	v_bfe_u32 v44, v44, 24, 7
	v_cmp_ne_u32_e32 vcc, s19, v44
	v_mov_b32_e32 v53, 0x7f800001
	s_and_saveexec_b64 s[16:17], vcc
	s_cbranch_execz .LBB631_331
; %bb.330:                              ;   in Loop: Header=BB631_213 Depth=1
	v_and_b32_e32 v53, 7, v46
	v_ffbh_u32_e32 v62, v53
	v_min_u32_e32 v64, 32, v62
	v_subrev_u32_e32 v62, 28, v64
	v_lshlrev_b64 v[62:63], v62, v[46:47]
	v_lshrrev_b32_e32 v61, 3, v44
	v_sub_u32_e32 v63, 29, v64
	v_and_b32_e32 v62, 7, v62
	v_cmp_gt_u32_e32 vcc, 8, v44
	v_cndmask_b32_e32 v44, v61, v63, vcc
	v_cndmask_b32_e32 v53, v53, v62, vcc
	v_lshlrev_b32_e32 v46, 24, v46
	v_lshlrev_b32_e32 v53, 20, v53
	v_and_b32_e32 v46, 0x80000000, v46
	v_lshl_add_u32 v44, v44, 23, v48
	v_or3_b32 v53, v46, v44, v53
.LBB631_331:                            ;   in Loop: Header=BB631_213 Depth=1
	s_or_b64 exec, exec, s[16:17]
.LBB631_332:                            ;   in Loop: Header=BB631_213 Depth=1
	s_or_b64 exec, exec, s[14:15]
.LBB631_333:                            ;   in Loop: Header=BB631_213 Depth=1
	s_or_b64 exec, exec, s[12:13]
	s_waitcnt vmcnt(2)
	v_cmp_ne_u16_sdwa s[14:15], v42, v47 src0_sel:BYTE_0 src1_sel:DWORD
	s_and_saveexec_b64 s[12:13], s[14:15]
	s_cbranch_execz .LBB631_339
; %bb.334:                              ;   in Loop: Header=BB631_213 Depth=1
	v_cmp_ne_u16_sdwa s[16:17], v42, s9 src0_sel:BYTE_0 src1_sel:DWORD
	v_bfrev_b32_e32 v52, 1
	s_and_saveexec_b64 s[14:15], s[16:17]
	s_cbranch_execz .LBB631_338
; %bb.335:                              ;   in Loop: Header=BB631_213 Depth=1
	v_and_b32_e32 v44, 0x7f, v42
	v_cmp_ne_u32_e32 vcc, s19, v44
	v_mov_b32_e32 v52, 0x7f800001
	s_and_saveexec_b64 s[16:17], vcc
	s_cbranch_execz .LBB631_337
; %bb.336:                              ;   in Loop: Header=BB631_213 Depth=1
	v_and_b32_e32 v46, 7, v42
	v_ffbh_u32_e32 v61, v46
	v_min_u32_e32 v61, 32, v61
	v_subrev_u32_e32 v62, 28, v61
	v_lshlrev_b64 v[62:63], v62, v[42:43]
	v_lshrrev_b32_e32 v52, 3, v44
	v_sub_u32_e32 v61, 29, v61
	v_and_b32_e32 v62, 7, v62
	v_cmp_gt_u32_e32 vcc, 8, v44
	v_cndmask_b32_e32 v44, v52, v61, vcc
	v_cndmask_b32_e32 v46, v46, v62, vcc
	v_lshlrev_b32_e32 v52, 24, v42
	v_lshlrev_b32_e32 v46, 20, v46
	v_and_b32_e32 v52, 0x80000000, v52
	v_lshl_add_u32 v44, v44, 23, v48
	v_or3_b32 v52, v52, v44, v46
.LBB631_337:                            ;   in Loop: Header=BB631_213 Depth=1
	s_or_b64 exec, exec, s[16:17]
.LBB631_338:                            ;   in Loop: Header=BB631_213 Depth=1
	s_or_b64 exec, exec, s[14:15]
.LBB631_339:                            ;   in Loop: Header=BB631_213 Depth=1
	s_or_b64 exec, exec, s[12:13]
	v_lshrrev_b16_e32 v44, 8, v42
	v_cmp_ne_u16_e32 vcc, 0, v44
	v_mov_b32_e32 v61, 0
	v_mov_b32_e32 v62, 0
	s_and_saveexec_b64 s[12:13], vcc
	s_cbranch_execz .LBB631_345
; %bb.340:                              ;   in Loop: Header=BB631_213 Depth=1
	v_cmp_ne_u16_e32 vcc, s9, v44
	v_bfrev_b32_e32 v62, 1
	s_and_saveexec_b64 s[14:15], vcc
	s_cbranch_execz .LBB631_344
; %bb.341:                              ;   in Loop: Header=BB631_213 Depth=1
	v_and_b32_e32 v46, 0x7f, v44
	v_cmp_ne_u32_e32 vcc, s19, v46
	v_mov_b32_e32 v62, 0x7f800001
	s_and_saveexec_b64 s[16:17], vcc
	s_cbranch_execz .LBB631_343
; %bb.342:                              ;   in Loop: Header=BB631_213 Depth=1
	v_and_b32_e32 v64, 7, v44
	v_ffbh_u32_e32 v62, v64
	v_min_u32_e32 v66, 32, v62
	v_subrev_u32_e32 v62, 28, v66
	v_lshlrev_b64 v[62:63], v62, v[44:45]
	v_lshrrev_b32_e32 v65, 3, v46
	v_sub_u32_e32 v44, 29, v66
	v_and_b32_e32 v62, 7, v62
	v_cmp_gt_u32_e32 vcc, 8, v46
	v_cndmask_b32_e32 v44, v65, v44, vcc
	v_cndmask_b32_e32 v46, v64, v62, vcc
	v_lshlrev_b32_e32 v62, 16, v42
	v_lshlrev_b32_e32 v46, 20, v46
	v_and_b32_e32 v62, 0x80000000, v62
	v_lshl_add_u32 v44, v44, 23, v48
	v_or3_b32 v62, v62, v44, v46
.LBB631_343:                            ;   in Loop: Header=BB631_213 Depth=1
	s_or_b64 exec, exec, s[16:17]
.LBB631_344:                            ;   in Loop: Header=BB631_213 Depth=1
	s_or_b64 exec, exec, s[14:15]
.LBB631_345:                            ;   in Loop: Header=BB631_213 Depth=1
	s_or_b64 exec, exec, s[12:13]
	v_lshrrev_b32_e32 v44, 16, v42
	v_cmp_ne_u16_sdwa s[14:15], v44, v47 src0_sel:BYTE_0 src1_sel:DWORD
	s_and_saveexec_b64 s[12:13], s[14:15]
	s_cbranch_execz .LBB631_351
; %bb.346:                              ;   in Loop: Header=BB631_213 Depth=1
	v_cmp_ne_u16_sdwa s[16:17], v44, s9 src0_sel:BYTE_0 src1_sel:DWORD
	v_bfrev_b32_e32 v61, 1
	s_and_saveexec_b64 s[14:15], s[16:17]
	s_cbranch_execz .LBB631_350
; %bb.347:                              ;   in Loop: Header=BB631_213 Depth=1
	v_bfe_u32 v46, v42, 16, 7
	v_cmp_ne_u32_e32 vcc, s19, v46
	v_mov_b32_e32 v61, 0x7f800001
	s_and_saveexec_b64 s[16:17], vcc
	s_cbranch_execz .LBB631_349
; %bb.348:                              ;   in Loop: Header=BB631_213 Depth=1
	v_and_b32_e32 v61, 7, v44
	v_ffbh_u32_e32 v64, v61
	v_min_u32_e32 v66, 32, v64
	v_subrev_u32_e32 v64, 28, v66
	v_lshlrev_b64 v[64:65], v64, v[44:45]
	v_lshrrev_b32_e32 v63, 3, v46
	v_sub_u32_e32 v65, 29, v66
	v_and_b32_e32 v64, 7, v64
	v_cmp_gt_u32_e32 vcc, 8, v46
	v_cndmask_b32_e32 v46, v63, v65, vcc
	v_cndmask_b32_e32 v61, v61, v64, vcc
	v_lshlrev_b32_e32 v44, 24, v44
	v_lshlrev_b32_e32 v61, 20, v61
	v_and_b32_e32 v44, 0x80000000, v44
	v_lshl_add_u32 v46, v46, 23, v48
	v_or3_b32 v61, v44, v46, v61
.LBB631_349:                            ;   in Loop: Header=BB631_213 Depth=1
	s_or_b64 exec, exec, s[16:17]
.LBB631_350:                            ;   in Loop: Header=BB631_213 Depth=1
	s_or_b64 exec, exec, s[14:15]
.LBB631_351:                            ;   in Loop: Header=BB631_213 Depth=1
	s_or_b64 exec, exec, s[12:13]
	v_cmp_lt_u32_e32 vcc, s20, v42
	v_mov_b32_e32 v46, 0
	v_mov_b32_e32 v63, 0
	s_and_saveexec_b64 s[12:13], vcc
	s_cbranch_execz .LBB631_357
; %bb.352:                              ;   in Loop: Header=BB631_213 Depth=1
	v_lshrrev_b32_e32 v44, 24, v42
	v_cmp_ne_u32_e32 vcc, s9, v44
	v_bfrev_b32_e32 v63, 1
	s_and_saveexec_b64 s[14:15], vcc
	s_cbranch_execz .LBB631_356
; %bb.353:                              ;   in Loop: Header=BB631_213 Depth=1
	v_bfe_u32 v42, v42, 24, 7
	v_cmp_ne_u32_e32 vcc, s19, v42
	v_mov_b32_e32 v63, 0x7f800001
	s_and_saveexec_b64 s[16:17], vcc
	s_cbranch_execz .LBB631_355
; %bb.354:                              ;   in Loop: Header=BB631_213 Depth=1
	v_and_b32_e32 v63, 7, v44
	v_ffbh_u32_e32 v64, v63
	v_min_u32_e32 v67, 32, v64
	v_subrev_u32_e32 v64, 28, v67
	v_lshlrev_b64 v[64:65], v64, v[44:45]
	v_lshrrev_b32_e32 v66, 3, v42
	v_sub_u32_e32 v65, 29, v67
	v_and_b32_e32 v64, 7, v64
	v_cmp_gt_u32_e32 vcc, 8, v42
	v_cndmask_b32_e32 v42, v66, v65, vcc
	v_cndmask_b32_e32 v63, v63, v64, vcc
	v_lshlrev_b32_e32 v44, 24, v44
	v_lshlrev_b32_e32 v63, 20, v63
	v_and_b32_e32 v44, 0x80000000, v44
	v_lshl_add_u32 v42, v42, 23, v48
	v_or3_b32 v63, v44, v42, v63
.LBB631_355:                            ;   in Loop: Header=BB631_213 Depth=1
	s_or_b64 exec, exec, s[16:17]
.LBB631_356:                            ;   in Loop: Header=BB631_213 Depth=1
	s_or_b64 exec, exec, s[14:15]
.LBB631_357:                            ;   in Loop: Header=BB631_213 Depth=1
	s_or_b64 exec, exec, s[12:13]
	v_cvt_pkrtz_f16_f32 v64, v49, v51
	v_cvt_pkrtz_f16_f32 v65, v50, v53
	;; [unrolled: 1-line block ×4, first 2 shown]
	s_waitcnt vmcnt(1)
	v_cmp_ne_u16_sdwa s[14:15], v40, v47 src0_sel:BYTE_0 src1_sel:DWORD
	v_mfma_f32_16x16x16f16 v[34:37], v[64:65], v[10:11], v[34:37]
	v_mfma_f32_16x16x16f16 v[34:37], v[50:51], v[12:13], v[34:37]
	s_and_saveexec_b64 s[12:13], s[14:15]
	s_cbranch_execz .LBB631_363
; %bb.358:                              ;   in Loop: Header=BB631_213 Depth=1
	v_cmp_ne_u16_sdwa s[16:17], v40, s9 src0_sel:BYTE_0 src1_sel:DWORD
	v_bfrev_b32_e32 v46, 1
	s_and_saveexec_b64 s[14:15], s[16:17]
	s_cbranch_execz .LBB631_362
; %bb.359:                              ;   in Loop: Header=BB631_213 Depth=1
	v_and_b32_e32 v42, 0x7f, v40
	v_cmp_ne_u32_e32 vcc, s19, v42
	v_mov_b32_e32 v46, 0x7f800001
	s_and_saveexec_b64 s[16:17], vcc
	s_cbranch_execz .LBB631_361
; %bb.360:                              ;   in Loop: Header=BB631_213 Depth=1
	v_and_b32_e32 v44, 7, v40
	v_ffbh_u32_e32 v49, v44
	v_min_u32_e32 v49, 32, v49
	v_subrev_u32_e32 v50, 28, v49
	v_lshlrev_b64 v[50:51], v50, v[40:41]
	v_lshrrev_b32_e32 v46, 3, v42
	v_sub_u32_e32 v49, 29, v49
	v_and_b32_e32 v50, 7, v50
	v_cmp_gt_u32_e32 vcc, 8, v42
	v_cndmask_b32_e32 v42, v46, v49, vcc
	v_cndmask_b32_e32 v44, v44, v50, vcc
	v_lshlrev_b32_e32 v46, 24, v40
	v_lshlrev_b32_e32 v44, 20, v44
	v_and_b32_e32 v46, 0x80000000, v46
	v_lshl_add_u32 v42, v42, 23, v48
	v_or3_b32 v46, v46, v42, v44
.LBB631_361:                            ;   in Loop: Header=BB631_213 Depth=1
	s_or_b64 exec, exec, s[16:17]
.LBB631_362:                            ;   in Loop: Header=BB631_213 Depth=1
	s_or_b64 exec, exec, s[14:15]
.LBB631_363:                            ;   in Loop: Header=BB631_213 Depth=1
	s_or_b64 exec, exec, s[12:13]
	v_lshrrev_b16_e32 v42, 8, v40
	v_cmp_ne_u16_e32 vcc, 0, v42
	v_mov_b32_e32 v44, 0
	v_mov_b32_e32 v50, 0
	s_and_saveexec_b64 s[12:13], vcc
	s_cbranch_execz .LBB631_369
; %bb.364:                              ;   in Loop: Header=BB631_213 Depth=1
	v_cmp_ne_u16_e32 vcc, s9, v42
	v_bfrev_b32_e32 v50, 1
	s_and_saveexec_b64 s[14:15], vcc
	s_cbranch_execz .LBB631_368
; %bb.365:                              ;   in Loop: Header=BB631_213 Depth=1
	v_and_b32_e32 v49, 0x7f, v42
	v_cmp_ne_u32_e32 vcc, s19, v49
	v_mov_b32_e32 v50, 0x7f800001
	s_and_saveexec_b64 s[16:17], vcc
	s_cbranch_execz .LBB631_367
; %bb.366:                              ;   in Loop: Header=BB631_213 Depth=1
	v_and_b32_e32 v52, 7, v42
	v_ffbh_u32_e32 v50, v52
	v_min_u32_e32 v61, 32, v50
	v_subrev_u32_e32 v50, 28, v61
	v_lshlrev_b64 v[50:51], v50, v[42:43]
	v_lshrrev_b32_e32 v53, 3, v49
	v_sub_u32_e32 v42, 29, v61
	v_and_b32_e32 v50, 7, v50
	v_cmp_gt_u32_e32 vcc, 8, v49
	v_cndmask_b32_e32 v42, v53, v42, vcc
	v_cndmask_b32_e32 v49, v52, v50, vcc
	v_lshlrev_b32_e32 v50, 16, v40
	v_lshlrev_b32_e32 v49, 20, v49
	v_and_b32_e32 v50, 0x80000000, v50
	v_lshl_add_u32 v42, v42, 23, v48
	v_or3_b32 v50, v50, v42, v49
.LBB631_367:                            ;   in Loop: Header=BB631_213 Depth=1
	s_or_b64 exec, exec, s[16:17]
.LBB631_368:                            ;   in Loop: Header=BB631_213 Depth=1
	s_or_b64 exec, exec, s[14:15]
.LBB631_369:                            ;   in Loop: Header=BB631_213 Depth=1
	s_or_b64 exec, exec, s[12:13]
	v_lshrrev_b32_e32 v42, 16, v40
	v_cmp_ne_u16_sdwa s[14:15], v42, v47 src0_sel:BYTE_0 src1_sel:DWORD
	s_and_saveexec_b64 s[12:13], s[14:15]
	s_cbranch_execz .LBB631_375
; %bb.370:                              ;   in Loop: Header=BB631_213 Depth=1
	v_cmp_ne_u16_sdwa s[16:17], v42, s9 src0_sel:BYTE_0 src1_sel:DWORD
	v_bfrev_b32_e32 v44, 1
	s_and_saveexec_b64 s[14:15], s[16:17]
	s_cbranch_execz .LBB631_374
; %bb.371:                              ;   in Loop: Header=BB631_213 Depth=1
	v_bfe_u32 v49, v40, 16, 7
	v_cmp_ne_u32_e32 vcc, s19, v49
	v_mov_b32_e32 v44, 0x7f800001
	s_and_saveexec_b64 s[16:17], vcc
	s_cbranch_execz .LBB631_373
; %bb.372:                              ;   in Loop: Header=BB631_213 Depth=1
	v_and_b32_e32 v44, 7, v42
	v_ffbh_u32_e32 v52, v44
	v_min_u32_e32 v61, 32, v52
	v_subrev_u32_e32 v52, 28, v61
	v_lshlrev_b64 v[52:53], v52, v[42:43]
	v_lshrrev_b32_e32 v51, 3, v49
	v_sub_u32_e32 v53, 29, v61
	v_and_b32_e32 v52, 7, v52
	v_cmp_gt_u32_e32 vcc, 8, v49
	v_cndmask_b32_e32 v49, v51, v53, vcc
	v_cndmask_b32_e32 v44, v44, v52, vcc
	v_lshlrev_b32_e32 v42, 24, v42
	v_lshlrev_b32_e32 v44, 20, v44
	v_and_b32_e32 v42, 0x80000000, v42
	v_lshl_add_u32 v49, v49, 23, v48
	v_or3_b32 v44, v42, v49, v44
.LBB631_373:                            ;   in Loop: Header=BB631_213 Depth=1
	s_or_b64 exec, exec, s[16:17]
.LBB631_374:                            ;   in Loop: Header=BB631_213 Depth=1
	s_or_b64 exec, exec, s[14:15]
.LBB631_375:                            ;   in Loop: Header=BB631_213 Depth=1
	s_or_b64 exec, exec, s[12:13]
	v_cmp_lt_u32_e32 vcc, s20, v40
	v_mov_b32_e32 v51, 0
	v_mov_b32_e32 v52, 0
	s_and_saveexec_b64 s[12:13], vcc
	s_cbranch_execz .LBB631_381
; %bb.376:                              ;   in Loop: Header=BB631_213 Depth=1
	v_lshrrev_b32_e32 v42, 24, v40
	v_cmp_ne_u32_e32 vcc, s9, v42
	v_bfrev_b32_e32 v52, 1
	s_and_saveexec_b64 s[14:15], vcc
	s_cbranch_execz .LBB631_380
; %bb.377:                              ;   in Loop: Header=BB631_213 Depth=1
	v_bfe_u32 v40, v40, 24, 7
	v_cmp_ne_u32_e32 vcc, s19, v40
	v_mov_b32_e32 v52, 0x7f800001
	s_and_saveexec_b64 s[16:17], vcc
	s_cbranch_execz .LBB631_379
; %bb.378:                              ;   in Loop: Header=BB631_213 Depth=1
	v_and_b32_e32 v49, 7, v42
	v_ffbh_u32_e32 v52, v49
	v_min_u32_e32 v62, 32, v52
	v_subrev_u32_e32 v52, 28, v62
	v_lshlrev_b64 v[52:53], v52, v[42:43]
	v_lshrrev_b32_e32 v61, 3, v40
	v_sub_u32_e32 v53, 29, v62
	v_and_b32_e32 v52, 7, v52
	v_cmp_gt_u32_e32 vcc, 8, v40
	v_cndmask_b32_e32 v40, v61, v53, vcc
	v_cndmask_b32_e32 v49, v49, v52, vcc
	v_lshlrev_b32_e32 v42, 24, v42
	v_lshlrev_b32_e32 v49, 20, v49
	v_and_b32_e32 v42, 0x80000000, v42
	v_lshl_add_u32 v40, v40, 23, v48
	v_or3_b32 v52, v42, v40, v49
.LBB631_379:                            ;   in Loop: Header=BB631_213 Depth=1
	s_or_b64 exec, exec, s[16:17]
.LBB631_380:                            ;   in Loop: Header=BB631_213 Depth=1
	s_or_b64 exec, exec, s[14:15]
.LBB631_381:                            ;   in Loop: Header=BB631_213 Depth=1
	s_or_b64 exec, exec, s[12:13]
	s_waitcnt vmcnt(0)
	v_cmp_ne_u16_sdwa s[14:15], v38, v47 src0_sel:BYTE_0 src1_sel:DWORD
	s_and_saveexec_b64 s[12:13], s[14:15]
	s_cbranch_execz .LBB631_387
; %bb.382:                              ;   in Loop: Header=BB631_213 Depth=1
	v_cmp_ne_u16_sdwa s[16:17], v38, s9 src0_sel:BYTE_0 src1_sel:DWORD
	v_bfrev_b32_e32 v51, 1
	s_and_saveexec_b64 s[14:15], s[16:17]
	s_cbranch_execz .LBB631_386
; %bb.383:                              ;   in Loop: Header=BB631_213 Depth=1
	v_and_b32_e32 v40, 0x7f, v38
	v_cmp_ne_u32_e32 vcc, s19, v40
	v_mov_b32_e32 v51, 0x7f800001
	s_and_saveexec_b64 s[16:17], vcc
	s_cbranch_execz .LBB631_385
; %bb.384:                              ;   in Loop: Header=BB631_213 Depth=1
	v_and_b32_e32 v42, 7, v38
	v_ffbh_u32_e32 v51, v42
	v_min_u32_e32 v51, 32, v51
	v_subrev_u32_e32 v53, 28, v51
	v_lshlrev_b64 v[62:63], v53, v[38:39]
	v_lshrrev_b32_e32 v49, 3, v40
	v_sub_u32_e32 v51, 29, v51
	v_and_b32_e32 v53, 7, v62
	v_cmp_gt_u32_e32 vcc, 8, v40
	v_cndmask_b32_e32 v40, v49, v51, vcc
	v_cndmask_b32_e32 v42, v42, v53, vcc
	v_lshlrev_b32_e32 v49, 24, v38
	v_lshlrev_b32_e32 v42, 20, v42
	v_and_b32_e32 v49, 0x80000000, v49
	v_lshl_add_u32 v40, v40, 23, v48
	v_or3_b32 v51, v49, v40, v42
.LBB631_385:                            ;   in Loop: Header=BB631_213 Depth=1
	s_or_b64 exec, exec, s[16:17]
.LBB631_386:                            ;   in Loop: Header=BB631_213 Depth=1
	s_or_b64 exec, exec, s[14:15]
.LBB631_387:                            ;   in Loop: Header=BB631_213 Depth=1
	s_or_b64 exec, exec, s[12:13]
	v_lshrrev_b16_e32 v40, 8, v38
	v_cmp_ne_u16_e32 vcc, 0, v40
	v_mov_b32_e32 v53, 0
	v_mov_b32_e32 v61, 0
	s_and_saveexec_b64 s[12:13], vcc
	s_cbranch_execz .LBB631_393
; %bb.388:                              ;   in Loop: Header=BB631_213 Depth=1
	v_cmp_ne_u16_e32 vcc, s9, v40
	v_bfrev_b32_e32 v61, 1
	s_and_saveexec_b64 s[14:15], vcc
	s_cbranch_execz .LBB631_392
; %bb.389:                              ;   in Loop: Header=BB631_213 Depth=1
	v_and_b32_e32 v42, 0x7f, v40
	v_cmp_ne_u32_e32 vcc, s19, v42
	v_mov_b32_e32 v61, 0x7f800001
	s_and_saveexec_b64 s[16:17], vcc
	s_cbranch_execz .LBB631_391
; %bb.390:                              ;   in Loop: Header=BB631_213 Depth=1
	v_and_b32_e32 v49, 7, v40
	v_ffbh_u32_e32 v62, v49
	v_min_u32_e32 v64, 32, v62
	v_subrev_u32_e32 v62, 28, v64
	v_lshlrev_b64 v[62:63], v62, v[40:41]
	v_lshrrev_b32_e32 v61, 3, v42
	v_sub_u32_e32 v40, 29, v64
	v_and_b32_e32 v62, 7, v62
	v_cmp_gt_u32_e32 vcc, 8, v42
	v_cndmask_b32_e32 v40, v61, v40, vcc
	v_cndmask_b32_e32 v42, v49, v62, vcc
	v_lshlrev_b32_e32 v49, 16, v38
	v_lshlrev_b32_e32 v42, 20, v42
	v_and_b32_e32 v49, 0x80000000, v49
	v_lshl_add_u32 v40, v40, 23, v48
	v_or3_b32 v61, v49, v40, v42
.LBB631_391:                            ;   in Loop: Header=BB631_213 Depth=1
	s_or_b64 exec, exec, s[16:17]
.LBB631_392:                            ;   in Loop: Header=BB631_213 Depth=1
	s_or_b64 exec, exec, s[14:15]
.LBB631_393:                            ;   in Loop: Header=BB631_213 Depth=1
	s_or_b64 exec, exec, s[12:13]
	v_lshrrev_b32_e32 v40, 16, v38
	v_cmp_ne_u16_sdwa s[14:15], v40, v47 src0_sel:BYTE_0 src1_sel:DWORD
	s_and_saveexec_b64 s[12:13], s[14:15]
	s_cbranch_execz .LBB631_399
; %bb.394:                              ;   in Loop: Header=BB631_213 Depth=1
	v_cmp_ne_u16_sdwa s[16:17], v40, s9 src0_sel:BYTE_0 src1_sel:DWORD
	v_bfrev_b32_e32 v53, 1
	s_and_saveexec_b64 s[14:15], s[16:17]
	s_cbranch_execz .LBB631_398
; %bb.395:                              ;   in Loop: Header=BB631_213 Depth=1
	v_bfe_u32 v42, v38, 16, 7
	v_cmp_ne_u32_e32 vcc, s19, v42
	v_mov_b32_e32 v53, 0x7f800001
	s_and_saveexec_b64 s[16:17], vcc
	s_cbranch_execz .LBB631_397
; %bb.396:                              ;   in Loop: Header=BB631_213 Depth=1
	v_and_b32_e32 v49, 7, v40
	v_ffbh_u32_e32 v62, v49
	v_min_u32_e32 v64, 32, v62
	v_subrev_u32_e32 v62, 28, v64
	v_lshlrev_b64 v[62:63], v62, v[40:41]
	v_lshrrev_b32_e32 v53, 3, v42
	v_sub_u32_e32 v63, 29, v64
	v_and_b32_e32 v62, 7, v62
	v_cmp_gt_u32_e32 vcc, 8, v42
	v_cndmask_b32_e32 v42, v53, v63, vcc
	v_cndmask_b32_e32 v49, v49, v62, vcc
	v_lshlrev_b32_e32 v40, 24, v40
	v_lshlrev_b32_e32 v49, 20, v49
	v_and_b32_e32 v40, 0x80000000, v40
	v_lshl_add_u32 v42, v42, 23, v48
	v_or3_b32 v53, v40, v42, v49
.LBB631_397:                            ;   in Loop: Header=BB631_213 Depth=1
	s_or_b64 exec, exec, s[16:17]
.LBB631_398:                            ;   in Loop: Header=BB631_213 Depth=1
	s_or_b64 exec, exec, s[14:15]
.LBB631_399:                            ;   in Loop: Header=BB631_213 Depth=1
	s_or_b64 exec, exec, s[12:13]
	v_cmp_lt_u32_e32 vcc, s20, v38
	v_mov_b32_e32 v49, 0
	v_mov_b32_e32 v62, 0
	s_and_saveexec_b64 s[12:13], vcc
	s_cbranch_execz .LBB631_405
; %bb.400:                              ;   in Loop: Header=BB631_213 Depth=1
	v_lshrrev_b32_e32 v40, 24, v38
	v_cmp_ne_u32_e32 vcc, s9, v40
	v_bfrev_b32_e32 v62, 1
	s_and_saveexec_b64 s[14:15], vcc
	s_cbranch_execz .LBB631_404
; %bb.401:                              ;   in Loop: Header=BB631_213 Depth=1
	v_bfe_u32 v38, v38, 24, 7
	v_cmp_ne_u32_e32 vcc, s19, v38
	v_mov_b32_e32 v62, 0x7f800001
	s_and_saveexec_b64 s[16:17], vcc
	s_cbranch_execz .LBB631_403
; %bb.402:                              ;   in Loop: Header=BB631_213 Depth=1
	v_and_b32_e32 v42, 7, v40
	v_ffbh_u32_e32 v62, v42
	v_min_u32_e32 v65, 32, v62
	v_subrev_u32_e32 v62, 28, v65
	v_lshlrev_b64 v[62:63], v62, v[40:41]
	v_lshrrev_b32_e32 v64, 3, v38
	v_sub_u32_e32 v63, 29, v65
	v_and_b32_e32 v62, 7, v62
	v_cmp_gt_u32_e32 vcc, 8, v38
	v_cndmask_b32_e32 v38, v64, v63, vcc
	v_cndmask_b32_e32 v42, v42, v62, vcc
	v_lshlrev_b32_e32 v40, 24, v40
	v_lshlrev_b32_e32 v42, 20, v42
	v_and_b32_e32 v40, 0x80000000, v40
	v_lshl_add_u32 v38, v38, 23, v48
	v_or3_b32 v62, v40, v38, v42
.LBB631_403:                            ;   in Loop: Header=BB631_213 Depth=1
	s_or_b64 exec, exec, s[16:17]
.LBB631_404:                            ;   in Loop: Header=BB631_213 Depth=1
	s_or_b64 exec, exec, s[14:15]
.LBB631_405:                            ;   in Loop: Header=BB631_213 Depth=1
	s_or_b64 exec, exec, s[12:13]
	v_cvt_pkrtz_f16_f32 v65, v44, v52
	buffer_load_dword v44, v60, s[0:3], 0 offen
	buffer_load_dword v42, v60, s[0:3], 0 offen offset:4
	buffer_load_dword v40, v60, s[0:3], 0 offen offset:8
	;; [unrolled: 1-line block ×3, first 2 shown]
	v_cvt_pkrtz_f16_f32 v64, v46, v50
	v_cvt_pkrtz_f16_f32 v50, v51, v61
	;; [unrolled: 1-line block ×3, first 2 shown]
	v_mfma_f32_16x16x16f16 v[34:37], v[64:65], v[14:15], v[34:37]
	s_waitcnt vmcnt(3)
	v_cmp_ne_u16_sdwa s[14:15], v44, v47 src0_sel:BYTE_0 src1_sel:DWORD
	v_mfma_f32_16x16x16f16 v[34:37], v[50:51], v[16:17], v[34:37]
	s_and_saveexec_b64 s[12:13], s[14:15]
	s_cbranch_execz .LBB631_411
; %bb.406:                              ;   in Loop: Header=BB631_213 Depth=1
	v_cmp_ne_u16_sdwa s[16:17], v44, s9 src0_sel:BYTE_0 src1_sel:DWORD
	v_bfrev_b32_e32 v49, 1
	s_and_saveexec_b64 s[14:15], s[16:17]
	s_cbranch_execz .LBB631_410
; %bb.407:                              ;   in Loop: Header=BB631_213 Depth=1
	v_and_b32_e32 v46, 0x7f, v44
	v_cmp_ne_u32_e32 vcc, s19, v46
	v_mov_b32_e32 v49, 0x7f800001
	s_and_saveexec_b64 s[16:17], vcc
	s_cbranch_execz .LBB631_409
; %bb.408:                              ;   in Loop: Header=BB631_213 Depth=1
	v_and_b32_e32 v49, 7, v44
	v_ffbh_u32_e32 v50, v49
	v_min_u32_e32 v53, 32, v50
	v_subrev_u32_e32 v50, 28, v53
	v_lshlrev_b64 v[50:51], v50, v[44:45]
	v_lshrrev_b32_e32 v52, 3, v46
	v_sub_u32_e32 v51, 29, v53
	v_and_b32_e32 v50, 7, v50
	v_cmp_gt_u32_e32 vcc, 8, v46
	v_cndmask_b32_e32 v46, v52, v51, vcc
	v_cndmask_b32_e32 v49, v49, v50, vcc
	v_lshlrev_b32_e32 v50, 24, v44
	v_lshlrev_b32_e32 v49, 20, v49
	v_and_b32_e32 v50, 0x80000000, v50
	v_lshl_add_u32 v46, v46, 23, v48
	v_or3_b32 v49, v50, v46, v49
.LBB631_409:                            ;   in Loop: Header=BB631_213 Depth=1
	s_or_b64 exec, exec, s[16:17]
.LBB631_410:                            ;   in Loop: Header=BB631_213 Depth=1
	s_or_b64 exec, exec, s[14:15]
.LBB631_411:                            ;   in Loop: Header=BB631_213 Depth=1
	s_or_b64 exec, exec, s[12:13]
	v_lshrrev_b16_e32 v46, 8, v44
	v_cmp_ne_u16_e32 vcc, 0, v46
	v_mov_b32_e32 v50, 0
	v_mov_b32_e32 v51, 0
	s_and_saveexec_b64 s[12:13], vcc
	s_cbranch_execz .LBB631_417
; %bb.412:                              ;   in Loop: Header=BB631_213 Depth=1
	v_cmp_ne_u16_e32 vcc, s9, v46
	v_bfrev_b32_e32 v51, 1
	s_and_saveexec_b64 s[14:15], vcc
	s_cbranch_execz .LBB631_416
; %bb.413:                              ;   in Loop: Header=BB631_213 Depth=1
	v_and_b32_e32 v52, 0x7f, v46
	v_cmp_ne_u32_e32 vcc, s19, v52
	v_mov_b32_e32 v51, 0x7f800001
	s_and_saveexec_b64 s[16:17], vcc
	s_cbranch_execz .LBB631_415
; %bb.414:                              ;   in Loop: Header=BB631_213 Depth=1
	v_and_b32_e32 v51, 7, v46
	v_ffbh_u32_e32 v60, v51
	v_min_u32_e32 v62, 32, v60
	v_subrev_u32_e32 v60, 28, v62
	v_lshlrev_b64 v[60:61], v60, v[46:47]
	v_lshrrev_b32_e32 v53, 3, v52
	v_sub_u32_e32 v46, 29, v62
	v_and_b32_e32 v60, 7, v60
	v_cmp_gt_u32_e32 vcc, 8, v52
	v_cndmask_b32_e32 v46, v53, v46, vcc
	v_cndmask_b32_e32 v51, v51, v60, vcc
	v_lshlrev_b32_e32 v52, 16, v44
	v_lshlrev_b32_e32 v51, 20, v51
	v_and_b32_e32 v52, 0x80000000, v52
	v_lshl_add_u32 v46, v46, 23, v48
	v_or3_b32 v51, v52, v46, v51
.LBB631_415:                            ;   in Loop: Header=BB631_213 Depth=1
	s_or_b64 exec, exec, s[16:17]
.LBB631_416:                            ;   in Loop: Header=BB631_213 Depth=1
	s_or_b64 exec, exec, s[14:15]
.LBB631_417:                            ;   in Loop: Header=BB631_213 Depth=1
	s_or_b64 exec, exec, s[12:13]
	v_lshrrev_b32_e32 v46, 16, v44
	v_cmp_ne_u16_sdwa s[14:15], v46, v47 src0_sel:BYTE_0 src1_sel:DWORD
	s_and_saveexec_b64 s[12:13], s[14:15]
	s_cbranch_execz .LBB631_423
; %bb.418:                              ;   in Loop: Header=BB631_213 Depth=1
	v_cmp_ne_u16_sdwa s[16:17], v46, s9 src0_sel:BYTE_0 src1_sel:DWORD
	v_bfrev_b32_e32 v50, 1
	s_and_saveexec_b64 s[14:15], s[16:17]
	s_cbranch_execz .LBB631_422
; %bb.419:                              ;   in Loop: Header=BB631_213 Depth=1
	v_bfe_u32 v52, v44, 16, 7
	v_cmp_ne_u32_e32 vcc, s19, v52
	v_mov_b32_e32 v50, 0x7f800001
	s_and_saveexec_b64 s[16:17], vcc
	s_cbranch_execz .LBB631_421
; %bb.420:                              ;   in Loop: Header=BB631_213 Depth=1
	v_and_b32_e32 v50, 7, v46
	v_ffbh_u32_e32 v60, v50
	v_min_u32_e32 v62, 32, v60
	v_subrev_u32_e32 v60, 28, v62
	v_lshlrev_b64 v[60:61], v60, v[46:47]
	v_lshrrev_b32_e32 v53, 3, v52
	v_sub_u32_e32 v61, 29, v62
	v_and_b32_e32 v60, 7, v60
	v_cmp_gt_u32_e32 vcc, 8, v52
	v_cndmask_b32_e32 v52, v53, v61, vcc
	v_cndmask_b32_e32 v50, v50, v60, vcc
	v_lshlrev_b32_e32 v46, 24, v46
	v_lshlrev_b32_e32 v50, 20, v50
	v_and_b32_e32 v46, 0x80000000, v46
	v_lshl_add_u32 v52, v52, 23, v48
	v_or3_b32 v50, v46, v52, v50
.LBB631_421:                            ;   in Loop: Header=BB631_213 Depth=1
	s_or_b64 exec, exec, s[16:17]
.LBB631_422:                            ;   in Loop: Header=BB631_213 Depth=1
	s_or_b64 exec, exec, s[14:15]
.LBB631_423:                            ;   in Loop: Header=BB631_213 Depth=1
	s_or_b64 exec, exec, s[12:13]
	v_cmp_lt_u32_e32 vcc, s20, v44
	v_mov_b32_e32 v52, 0
	v_mov_b32_e32 v53, 0
	s_and_saveexec_b64 s[12:13], vcc
	s_cbranch_execz .LBB631_429
; %bb.424:                              ;   in Loop: Header=BB631_213 Depth=1
	v_lshrrev_b32_e32 v46, 24, v44
	v_cmp_ne_u32_e32 vcc, s9, v46
	v_bfrev_b32_e32 v53, 1
	s_and_saveexec_b64 s[14:15], vcc
	s_cbranch_execz .LBB631_428
; %bb.425:                              ;   in Loop: Header=BB631_213 Depth=1
	v_bfe_u32 v44, v44, 24, 7
	v_cmp_ne_u32_e32 vcc, s19, v44
	v_mov_b32_e32 v53, 0x7f800001
	s_and_saveexec_b64 s[16:17], vcc
	s_cbranch_execz .LBB631_427
; %bb.426:                              ;   in Loop: Header=BB631_213 Depth=1
	v_and_b32_e32 v53, 7, v46
	v_ffbh_u32_e32 v60, v53
	v_min_u32_e32 v63, 32, v60
	v_subrev_u32_e32 v60, 28, v63
	v_lshlrev_b64 v[60:61], v60, v[46:47]
	v_lshrrev_b32_e32 v62, 3, v44
	v_sub_u32_e32 v61, 29, v63
	v_and_b32_e32 v60, 7, v60
	v_cmp_gt_u32_e32 vcc, 8, v44
	v_cndmask_b32_e32 v44, v62, v61, vcc
	v_cndmask_b32_e32 v53, v53, v60, vcc
	v_lshlrev_b32_e32 v46, 24, v46
	v_lshlrev_b32_e32 v53, 20, v53
	v_and_b32_e32 v46, 0x80000000, v46
	v_lshl_add_u32 v44, v44, 23, v48
	v_or3_b32 v53, v46, v44, v53
.LBB631_427:                            ;   in Loop: Header=BB631_213 Depth=1
	s_or_b64 exec, exec, s[16:17]
.LBB631_428:                            ;   in Loop: Header=BB631_213 Depth=1
	s_or_b64 exec, exec, s[14:15]
.LBB631_429:                            ;   in Loop: Header=BB631_213 Depth=1
	s_or_b64 exec, exec, s[12:13]
	s_waitcnt vmcnt(2)
	v_cmp_ne_u16_sdwa s[14:15], v42, v47 src0_sel:BYTE_0 src1_sel:DWORD
	s_and_saveexec_b64 s[12:13], s[14:15]
	s_cbranch_execz .LBB631_435
; %bb.430:                              ;   in Loop: Header=BB631_213 Depth=1
	v_cmp_ne_u16_sdwa s[16:17], v42, s9 src0_sel:BYTE_0 src1_sel:DWORD
	v_bfrev_b32_e32 v52, 1
	s_and_saveexec_b64 s[14:15], s[16:17]
	s_cbranch_execz .LBB631_434
; %bb.431:                              ;   in Loop: Header=BB631_213 Depth=1
	v_and_b32_e32 v44, 0x7f, v42
	v_cmp_ne_u32_e32 vcc, s19, v44
	v_mov_b32_e32 v52, 0x7f800001
	s_and_saveexec_b64 s[16:17], vcc
	s_cbranch_execz .LBB631_433
; %bb.432:                              ;   in Loop: Header=BB631_213 Depth=1
	v_and_b32_e32 v46, 7, v42
	v_ffbh_u32_e32 v60, v46
	v_min_u32_e32 v62, 32, v60
	v_subrev_u32_e32 v60, 28, v62
	v_lshlrev_b64 v[60:61], v60, v[42:43]
	v_lshrrev_b32_e32 v52, 3, v44
	v_sub_u32_e32 v61, 29, v62
	v_and_b32_e32 v60, 7, v60
	v_cmp_gt_u32_e32 vcc, 8, v44
	v_cndmask_b32_e32 v44, v52, v61, vcc
	v_cndmask_b32_e32 v46, v46, v60, vcc
	v_lshlrev_b32_e32 v52, 24, v42
	v_lshlrev_b32_e32 v46, 20, v46
	v_and_b32_e32 v52, 0x80000000, v52
	v_lshl_add_u32 v44, v44, 23, v48
	v_or3_b32 v52, v52, v44, v46
.LBB631_433:                            ;   in Loop: Header=BB631_213 Depth=1
	s_or_b64 exec, exec, s[16:17]
.LBB631_434:                            ;   in Loop: Header=BB631_213 Depth=1
	s_or_b64 exec, exec, s[14:15]
.LBB631_435:                            ;   in Loop: Header=BB631_213 Depth=1
	s_or_b64 exec, exec, s[12:13]
	v_lshrrev_b16_e32 v44, 8, v42
	v_cmp_ne_u16_e32 vcc, 0, v44
	v_mov_b32_e32 v60, 0
	v_mov_b32_e32 v61, 0
	s_and_saveexec_b64 s[12:13], vcc
	s_cbranch_execz .LBB631_441
; %bb.436:                              ;   in Loop: Header=BB631_213 Depth=1
	v_cmp_ne_u16_e32 vcc, s9, v44
	v_bfrev_b32_e32 v61, 1
	s_and_saveexec_b64 s[14:15], vcc
	s_cbranch_execz .LBB631_440
; %bb.437:                              ;   in Loop: Header=BB631_213 Depth=1
	v_and_b32_e32 v46, 0x7f, v44
	v_cmp_ne_u32_e32 vcc, s19, v46
	v_mov_b32_e32 v61, 0x7f800001
	s_and_saveexec_b64 s[16:17], vcc
	s_cbranch_execz .LBB631_439
; %bb.438:                              ;   in Loop: Header=BB631_213 Depth=1
	v_and_b32_e32 v61, 7, v44
	v_ffbh_u32_e32 v62, v61
	v_min_u32_e32 v65, 32, v62
	v_subrev_u32_e32 v62, 28, v65
	v_lshlrev_b64 v[62:63], v62, v[44:45]
	v_lshrrev_b32_e32 v64, 3, v46
	v_sub_u32_e32 v44, 29, v65
	v_and_b32_e32 v62, 7, v62
	v_cmp_gt_u32_e32 vcc, 8, v46
	v_cndmask_b32_e32 v44, v64, v44, vcc
	v_cndmask_b32_e32 v46, v61, v62, vcc
	v_lshlrev_b32_e32 v61, 16, v42
	v_lshlrev_b32_e32 v46, 20, v46
	v_and_b32_e32 v61, 0x80000000, v61
	v_lshl_add_u32 v44, v44, 23, v48
	v_or3_b32 v61, v61, v44, v46
.LBB631_439:                            ;   in Loop: Header=BB631_213 Depth=1
	s_or_b64 exec, exec, s[16:17]
.LBB631_440:                            ;   in Loop: Header=BB631_213 Depth=1
	s_or_b64 exec, exec, s[14:15]
.LBB631_441:                            ;   in Loop: Header=BB631_213 Depth=1
	s_or_b64 exec, exec, s[12:13]
	v_lshrrev_b32_e32 v44, 16, v42
	v_cmp_ne_u16_sdwa s[14:15], v44, v47 src0_sel:BYTE_0 src1_sel:DWORD
	s_and_saveexec_b64 s[12:13], s[14:15]
	s_cbranch_execz .LBB631_447
; %bb.442:                              ;   in Loop: Header=BB631_213 Depth=1
	v_cmp_ne_u16_sdwa s[16:17], v44, s9 src0_sel:BYTE_0 src1_sel:DWORD
	v_bfrev_b32_e32 v60, 1
	s_and_saveexec_b64 s[14:15], s[16:17]
	s_cbranch_execz .LBB631_446
; %bb.443:                              ;   in Loop: Header=BB631_213 Depth=1
	v_bfe_u32 v46, v42, 16, 7
	v_cmp_ne_u32_e32 vcc, s19, v46
	v_mov_b32_e32 v60, 0x7f800001
	s_and_saveexec_b64 s[16:17], vcc
	s_cbranch_execz .LBB631_445
; %bb.444:                              ;   in Loop: Header=BB631_213 Depth=1
	v_and_b32_e32 v60, 7, v44
	v_ffbh_u32_e32 v62, v60
	v_min_u32_e32 v65, 32, v62
	v_subrev_u32_e32 v62, 28, v65
	v_lshlrev_b64 v[62:63], v62, v[44:45]
	v_lshrrev_b32_e32 v64, 3, v46
	v_sub_u32_e32 v63, 29, v65
	v_and_b32_e32 v62, 7, v62
	v_cmp_gt_u32_e32 vcc, 8, v46
	v_cndmask_b32_e32 v46, v64, v63, vcc
	v_cndmask_b32_e32 v60, v60, v62, vcc
	v_lshlrev_b32_e32 v44, 24, v44
	v_lshlrev_b32_e32 v60, 20, v60
	v_and_b32_e32 v44, 0x80000000, v44
	v_lshl_add_u32 v46, v46, 23, v48
	v_or3_b32 v60, v44, v46, v60
.LBB631_445:                            ;   in Loop: Header=BB631_213 Depth=1
	s_or_b64 exec, exec, s[16:17]
.LBB631_446:                            ;   in Loop: Header=BB631_213 Depth=1
	s_or_b64 exec, exec, s[14:15]
.LBB631_447:                            ;   in Loop: Header=BB631_213 Depth=1
	s_or_b64 exec, exec, s[12:13]
	v_cmp_lt_u32_e32 vcc, s20, v42
	v_mov_b32_e32 v46, 0
	v_mov_b32_e32 v62, 0
	s_and_saveexec_b64 s[12:13], vcc
	s_cbranch_execz .LBB631_453
; %bb.448:                              ;   in Loop: Header=BB631_213 Depth=1
	v_lshrrev_b32_e32 v44, 24, v42
	v_cmp_ne_u32_e32 vcc, s9, v44
	v_bfrev_b32_e32 v62, 1
	s_and_saveexec_b64 s[14:15], vcc
	s_cbranch_execz .LBB631_452
; %bb.449:                              ;   in Loop: Header=BB631_213 Depth=1
	v_bfe_u32 v42, v42, 24, 7
	v_cmp_ne_u32_e32 vcc, s19, v42
	v_mov_b32_e32 v62, 0x7f800001
	s_and_saveexec_b64 s[16:17], vcc
	s_cbranch_execz .LBB631_451
; %bb.450:                              ;   in Loop: Header=BB631_213 Depth=1
	v_and_b32_e32 v64, 7, v44
	v_ffbh_u32_e32 v62, v64
	v_min_u32_e32 v66, 32, v62
	v_subrev_u32_e32 v62, 28, v66
	v_lshlrev_b64 v[62:63], v62, v[44:45]
	v_lshrrev_b32_e32 v65, 3, v42
	v_sub_u32_e32 v63, 29, v66
	v_and_b32_e32 v62, 7, v62
	v_cmp_gt_u32_e32 vcc, 8, v42
	v_cndmask_b32_e32 v42, v65, v63, vcc
	v_cndmask_b32_e32 v62, v64, v62, vcc
	v_lshlrev_b32_e32 v44, 24, v44
	v_lshlrev_b32_e32 v62, 20, v62
	v_and_b32_e32 v44, 0x80000000, v44
	v_lshl_add_u32 v42, v42, 23, v48
	v_or3_b32 v62, v44, v42, v62
.LBB631_451:                            ;   in Loop: Header=BB631_213 Depth=1
	s_or_b64 exec, exec, s[16:17]
.LBB631_452:                            ;   in Loop: Header=BB631_213 Depth=1
	s_or_b64 exec, exec, s[14:15]
.LBB631_453:                            ;   in Loop: Header=BB631_213 Depth=1
	s_or_b64 exec, exec, s[12:13]
	v_cvt_pkrtz_f16_f32 v64, v49, v51
	v_cvt_pkrtz_f16_f32 v65, v50, v53
	;; [unrolled: 1-line block ×4, first 2 shown]
	s_waitcnt vmcnt(1)
	v_cmp_ne_u16_sdwa s[14:15], v40, v47 src0_sel:BYTE_0 src1_sel:DWORD
	v_mfma_f32_16x16x16f16 v[34:37], v[64:65], v[18:19], v[34:37]
	v_mfma_f32_16x16x16f16 v[34:37], v[50:51], v[20:21], v[34:37]
	s_and_saveexec_b64 s[12:13], s[14:15]
	s_cbranch_execz .LBB631_459
; %bb.454:                              ;   in Loop: Header=BB631_213 Depth=1
	v_cmp_ne_u16_sdwa s[16:17], v40, s9 src0_sel:BYTE_0 src1_sel:DWORD
	v_bfrev_b32_e32 v46, 1
	s_and_saveexec_b64 s[14:15], s[16:17]
	s_cbranch_execz .LBB631_458
; %bb.455:                              ;   in Loop: Header=BB631_213 Depth=1
	v_and_b32_e32 v42, 0x7f, v40
	v_cmp_ne_u32_e32 vcc, s19, v42
	v_mov_b32_e32 v46, 0x7f800001
	s_and_saveexec_b64 s[16:17], vcc
	s_cbranch_execz .LBB631_457
; %bb.456:                              ;   in Loop: Header=BB631_213 Depth=1
	v_and_b32_e32 v44, 7, v40
	v_ffbh_u32_e32 v49, v44
	v_min_u32_e32 v49, 32, v49
	v_subrev_u32_e32 v50, 28, v49
	v_lshlrev_b64 v[50:51], v50, v[40:41]
	v_lshrrev_b32_e32 v46, 3, v42
	v_sub_u32_e32 v49, 29, v49
	v_and_b32_e32 v50, 7, v50
	v_cmp_gt_u32_e32 vcc, 8, v42
	v_cndmask_b32_e32 v42, v46, v49, vcc
	v_cndmask_b32_e32 v44, v44, v50, vcc
	v_lshlrev_b32_e32 v46, 24, v40
	v_lshlrev_b32_e32 v44, 20, v44
	v_and_b32_e32 v46, 0x80000000, v46
	v_lshl_add_u32 v42, v42, 23, v48
	v_or3_b32 v46, v46, v42, v44
.LBB631_457:                            ;   in Loop: Header=BB631_213 Depth=1
	s_or_b64 exec, exec, s[16:17]
.LBB631_458:                            ;   in Loop: Header=BB631_213 Depth=1
	s_or_b64 exec, exec, s[14:15]
.LBB631_459:                            ;   in Loop: Header=BB631_213 Depth=1
	s_or_b64 exec, exec, s[12:13]
	v_lshrrev_b16_e32 v42, 8, v40
	v_cmp_ne_u16_e32 vcc, 0, v42
	v_mov_b32_e32 v44, 0
	v_mov_b32_e32 v50, 0
	s_and_saveexec_b64 s[12:13], vcc
	s_cbranch_execz .LBB631_465
; %bb.460:                              ;   in Loop: Header=BB631_213 Depth=1
	v_cmp_ne_u16_e32 vcc, s9, v42
	v_bfrev_b32_e32 v50, 1
	s_and_saveexec_b64 s[14:15], vcc
	s_cbranch_execz .LBB631_464
; %bb.461:                              ;   in Loop: Header=BB631_213 Depth=1
	v_and_b32_e32 v49, 0x7f, v42
	v_cmp_ne_u32_e32 vcc, s19, v49
	v_mov_b32_e32 v50, 0x7f800001
	s_and_saveexec_b64 s[16:17], vcc
	s_cbranch_execz .LBB631_463
; %bb.462:                              ;   in Loop: Header=BB631_213 Depth=1
	v_and_b32_e32 v52, 7, v42
	v_ffbh_u32_e32 v50, v52
	v_min_u32_e32 v60, 32, v50
	v_subrev_u32_e32 v50, 28, v60
	v_lshlrev_b64 v[50:51], v50, v[42:43]
	v_lshrrev_b32_e32 v53, 3, v49
	v_sub_u32_e32 v42, 29, v60
	v_and_b32_e32 v50, 7, v50
	v_cmp_gt_u32_e32 vcc, 8, v49
	v_cndmask_b32_e32 v42, v53, v42, vcc
	v_cndmask_b32_e32 v49, v52, v50, vcc
	v_lshlrev_b32_e32 v50, 16, v40
	v_lshlrev_b32_e32 v49, 20, v49
	v_and_b32_e32 v50, 0x80000000, v50
	v_lshl_add_u32 v42, v42, 23, v48
	v_or3_b32 v50, v50, v42, v49
.LBB631_463:                            ;   in Loop: Header=BB631_213 Depth=1
	s_or_b64 exec, exec, s[16:17]
.LBB631_464:                            ;   in Loop: Header=BB631_213 Depth=1
	s_or_b64 exec, exec, s[14:15]
.LBB631_465:                            ;   in Loop: Header=BB631_213 Depth=1
	s_or_b64 exec, exec, s[12:13]
	v_lshrrev_b32_e32 v42, 16, v40
	v_cmp_ne_u16_sdwa s[14:15], v42, v47 src0_sel:BYTE_0 src1_sel:DWORD
	s_and_saveexec_b64 s[12:13], s[14:15]
	s_cbranch_execz .LBB631_471
; %bb.466:                              ;   in Loop: Header=BB631_213 Depth=1
	v_cmp_ne_u16_sdwa s[16:17], v42, s9 src0_sel:BYTE_0 src1_sel:DWORD
	v_bfrev_b32_e32 v44, 1
	s_and_saveexec_b64 s[14:15], s[16:17]
	s_cbranch_execz .LBB631_470
; %bb.467:                              ;   in Loop: Header=BB631_213 Depth=1
	v_bfe_u32 v49, v40, 16, 7
	v_cmp_ne_u32_e32 vcc, s19, v49
	v_mov_b32_e32 v44, 0x7f800001
	s_and_saveexec_b64 s[16:17], vcc
	s_cbranch_execz .LBB631_469
; %bb.468:                              ;   in Loop: Header=BB631_213 Depth=1
	v_and_b32_e32 v44, 7, v42
	v_ffbh_u32_e32 v52, v44
	v_min_u32_e32 v60, 32, v52
	v_subrev_u32_e32 v52, 28, v60
	v_lshlrev_b64 v[52:53], v52, v[42:43]
	v_lshrrev_b32_e32 v51, 3, v49
	v_sub_u32_e32 v53, 29, v60
	v_and_b32_e32 v52, 7, v52
	v_cmp_gt_u32_e32 vcc, 8, v49
	v_cndmask_b32_e32 v49, v51, v53, vcc
	v_cndmask_b32_e32 v44, v44, v52, vcc
	v_lshlrev_b32_e32 v42, 24, v42
	v_lshlrev_b32_e32 v44, 20, v44
	v_and_b32_e32 v42, 0x80000000, v42
	v_lshl_add_u32 v49, v49, 23, v48
	v_or3_b32 v44, v42, v49, v44
.LBB631_469:                            ;   in Loop: Header=BB631_213 Depth=1
	s_or_b64 exec, exec, s[16:17]
.LBB631_470:                            ;   in Loop: Header=BB631_213 Depth=1
	s_or_b64 exec, exec, s[14:15]
.LBB631_471:                            ;   in Loop: Header=BB631_213 Depth=1
	s_or_b64 exec, exec, s[12:13]
	v_cmp_lt_u32_e32 vcc, s20, v40
	v_mov_b32_e32 v51, 0
	v_mov_b32_e32 v52, 0
	s_and_saveexec_b64 s[12:13], vcc
	s_cbranch_execz .LBB631_477
; %bb.472:                              ;   in Loop: Header=BB631_213 Depth=1
	v_lshrrev_b32_e32 v42, 24, v40
	v_cmp_ne_u32_e32 vcc, s9, v42
	v_bfrev_b32_e32 v52, 1
	s_and_saveexec_b64 s[14:15], vcc
	s_cbranch_execz .LBB631_476
; %bb.473:                              ;   in Loop: Header=BB631_213 Depth=1
	v_bfe_u32 v40, v40, 24, 7
	v_cmp_ne_u32_e32 vcc, s19, v40
	v_mov_b32_e32 v52, 0x7f800001
	s_and_saveexec_b64 s[16:17], vcc
	s_cbranch_execz .LBB631_475
; %bb.474:                              ;   in Loop: Header=BB631_213 Depth=1
	v_and_b32_e32 v49, 7, v42
	v_ffbh_u32_e32 v52, v49
	v_min_u32_e32 v61, 32, v52
	v_subrev_u32_e32 v52, 28, v61
	v_lshlrev_b64 v[52:53], v52, v[42:43]
	v_lshrrev_b32_e32 v60, 3, v40
	v_sub_u32_e32 v53, 29, v61
	v_and_b32_e32 v52, 7, v52
	v_cmp_gt_u32_e32 vcc, 8, v40
	v_cndmask_b32_e32 v40, v60, v53, vcc
	v_cndmask_b32_e32 v49, v49, v52, vcc
	v_lshlrev_b32_e32 v42, 24, v42
	v_lshlrev_b32_e32 v49, 20, v49
	v_and_b32_e32 v42, 0x80000000, v42
	v_lshl_add_u32 v40, v40, 23, v48
	v_or3_b32 v52, v42, v40, v49
.LBB631_475:                            ;   in Loop: Header=BB631_213 Depth=1
	s_or_b64 exec, exec, s[16:17]
.LBB631_476:                            ;   in Loop: Header=BB631_213 Depth=1
	s_or_b64 exec, exec, s[14:15]
.LBB631_477:                            ;   in Loop: Header=BB631_213 Depth=1
	s_or_b64 exec, exec, s[12:13]
	s_waitcnt vmcnt(0)
	v_cmp_ne_u16_sdwa s[14:15], v38, v47 src0_sel:BYTE_0 src1_sel:DWORD
	s_and_saveexec_b64 s[12:13], s[14:15]
	s_cbranch_execz .LBB631_483
; %bb.478:                              ;   in Loop: Header=BB631_213 Depth=1
	v_cmp_ne_u16_sdwa s[16:17], v38, s9 src0_sel:BYTE_0 src1_sel:DWORD
	v_bfrev_b32_e32 v51, 1
	s_and_saveexec_b64 s[14:15], s[16:17]
	s_cbranch_execz .LBB631_482
; %bb.479:                              ;   in Loop: Header=BB631_213 Depth=1
	v_and_b32_e32 v40, 0x7f, v38
	v_cmp_ne_u32_e32 vcc, s19, v40
	v_mov_b32_e32 v51, 0x7f800001
	s_and_saveexec_b64 s[16:17], vcc
	s_cbranch_execz .LBB631_481
; %bb.480:                              ;   in Loop: Header=BB631_213 Depth=1
	v_and_b32_e32 v42, 7, v38
	v_ffbh_u32_e32 v51, v42
	v_min_u32_e32 v51, 32, v51
	v_subrev_u32_e32 v53, 28, v51
	v_lshlrev_b64 v[60:61], v53, v[38:39]
	v_lshrrev_b32_e32 v49, 3, v40
	v_sub_u32_e32 v51, 29, v51
	v_and_b32_e32 v53, 7, v60
	v_cmp_gt_u32_e32 vcc, 8, v40
	v_cndmask_b32_e32 v40, v49, v51, vcc
	v_cndmask_b32_e32 v42, v42, v53, vcc
	v_lshlrev_b32_e32 v49, 24, v38
	v_lshlrev_b32_e32 v42, 20, v42
	v_and_b32_e32 v49, 0x80000000, v49
	v_lshl_add_u32 v40, v40, 23, v48
	v_or3_b32 v51, v49, v40, v42
.LBB631_481:                            ;   in Loop: Header=BB631_213 Depth=1
	s_or_b64 exec, exec, s[16:17]
.LBB631_482:                            ;   in Loop: Header=BB631_213 Depth=1
	s_or_b64 exec, exec, s[14:15]
.LBB631_483:                            ;   in Loop: Header=BB631_213 Depth=1
	s_or_b64 exec, exec, s[12:13]
	v_lshrrev_b16_e32 v40, 8, v38
	v_cmp_ne_u16_e32 vcc, 0, v40
	v_mov_b32_e32 v53, 0
	v_mov_b32_e32 v60, 0
	s_and_saveexec_b64 s[12:13], vcc
	s_cbranch_execz .LBB631_489
; %bb.484:                              ;   in Loop: Header=BB631_213 Depth=1
	v_cmp_ne_u16_e32 vcc, s9, v40
	v_bfrev_b32_e32 v60, 1
	s_and_saveexec_b64 s[14:15], vcc
	s_cbranch_execz .LBB631_488
; %bb.485:                              ;   in Loop: Header=BB631_213 Depth=1
	v_and_b32_e32 v42, 0x7f, v40
	v_cmp_ne_u32_e32 vcc, s19, v42
	v_mov_b32_e32 v60, 0x7f800001
	s_and_saveexec_b64 s[16:17], vcc
	s_cbranch_execz .LBB631_487
; %bb.486:                              ;   in Loop: Header=BB631_213 Depth=1
	v_and_b32_e32 v49, 7, v40
	v_ffbh_u32_e32 v60, v49
	v_min_u32_e32 v63, 32, v60
	v_subrev_u32_e32 v60, 28, v63
	v_lshlrev_b64 v[60:61], v60, v[40:41]
	v_lshrrev_b32_e32 v62, 3, v42
	v_sub_u32_e32 v40, 29, v63
	v_and_b32_e32 v60, 7, v60
	v_cmp_gt_u32_e32 vcc, 8, v42
	v_cndmask_b32_e32 v40, v62, v40, vcc
	v_cndmask_b32_e32 v42, v49, v60, vcc
	v_lshlrev_b32_e32 v49, 16, v38
	v_lshlrev_b32_e32 v42, 20, v42
	v_and_b32_e32 v49, 0x80000000, v49
	v_lshl_add_u32 v40, v40, 23, v48
	v_or3_b32 v60, v49, v40, v42
.LBB631_487:                            ;   in Loop: Header=BB631_213 Depth=1
	s_or_b64 exec, exec, s[16:17]
.LBB631_488:                            ;   in Loop: Header=BB631_213 Depth=1
	s_or_b64 exec, exec, s[14:15]
.LBB631_489:                            ;   in Loop: Header=BB631_213 Depth=1
	s_or_b64 exec, exec, s[12:13]
	v_lshrrev_b32_e32 v40, 16, v38
	v_cmp_ne_u16_sdwa s[14:15], v40, v47 src0_sel:BYTE_0 src1_sel:DWORD
	s_and_saveexec_b64 s[12:13], s[14:15]
	s_cbranch_execz .LBB631_495
; %bb.490:                              ;   in Loop: Header=BB631_213 Depth=1
	v_cmp_ne_u16_sdwa s[16:17], v40, s9 src0_sel:BYTE_0 src1_sel:DWORD
	v_bfrev_b32_e32 v53, 1
	s_and_saveexec_b64 s[14:15], s[16:17]
	s_cbranch_execz .LBB631_494
; %bb.491:                              ;   in Loop: Header=BB631_213 Depth=1
	v_bfe_u32 v42, v38, 16, 7
	v_cmp_ne_u32_e32 vcc, s19, v42
	v_mov_b32_e32 v53, 0x7f800001
	s_and_saveexec_b64 s[16:17], vcc
	s_cbranch_execz .LBB631_493
; %bb.492:                              ;   in Loop: Header=BB631_213 Depth=1
	v_and_b32_e32 v49, 7, v40
	v_ffbh_u32_e32 v61, v49
	v_min_u32_e32 v61, 32, v61
	v_subrev_u32_e32 v62, 28, v61
	v_lshlrev_b64 v[62:63], v62, v[40:41]
	v_lshrrev_b32_e32 v53, 3, v42
	v_sub_u32_e32 v61, 29, v61
	v_and_b32_e32 v62, 7, v62
	v_cmp_gt_u32_e32 vcc, 8, v42
	v_cndmask_b32_e32 v42, v53, v61, vcc
	v_cndmask_b32_e32 v49, v49, v62, vcc
	v_lshlrev_b32_e32 v40, 24, v40
	v_lshlrev_b32_e32 v49, 20, v49
	v_and_b32_e32 v40, 0x80000000, v40
	v_lshl_add_u32 v42, v42, 23, v48
	v_or3_b32 v53, v40, v42, v49
.LBB631_493:                            ;   in Loop: Header=BB631_213 Depth=1
	s_or_b64 exec, exec, s[16:17]
.LBB631_494:                            ;   in Loop: Header=BB631_213 Depth=1
	s_or_b64 exec, exec, s[14:15]
.LBB631_495:                            ;   in Loop: Header=BB631_213 Depth=1
	s_or_b64 exec, exec, s[12:13]
	v_cmp_lt_u32_e32 vcc, s20, v38
	v_mov_b32_e32 v49, 0
	v_mov_b32_e32 v61, 0
	s_and_saveexec_b64 s[12:13], vcc
	s_cbranch_execz .LBB631_501
; %bb.496:                              ;   in Loop: Header=BB631_213 Depth=1
	v_lshrrev_b32_e32 v40, 24, v38
	v_cmp_ne_u32_e32 vcc, s9, v40
	v_bfrev_b32_e32 v61, 1
	s_and_saveexec_b64 s[14:15], vcc
	s_cbranch_execz .LBB631_500
; %bb.497:                              ;   in Loop: Header=BB631_213 Depth=1
	v_bfe_u32 v38, v38, 24, 7
	v_cmp_ne_u32_e32 vcc, s19, v38
	v_mov_b32_e32 v61, 0x7f800001
	s_and_saveexec_b64 s[16:17], vcc
	s_cbranch_execz .LBB631_499
; %bb.498:                              ;   in Loop: Header=BB631_213 Depth=1
	v_and_b32_e32 v42, 7, v40
	v_ffbh_u32_e32 v62, v42
	v_min_u32_e32 v64, 32, v62
	v_subrev_u32_e32 v62, 28, v64
	v_lshlrev_b64 v[62:63], v62, v[40:41]
	v_lshrrev_b32_e32 v61, 3, v38
	v_sub_u32_e32 v63, 29, v64
	v_and_b32_e32 v62, 7, v62
	v_cmp_gt_u32_e32 vcc, 8, v38
	v_cndmask_b32_e32 v38, v61, v63, vcc
	v_cndmask_b32_e32 v42, v42, v62, vcc
	v_lshlrev_b32_e32 v40, 24, v40
	v_lshlrev_b32_e32 v42, 20, v42
	v_and_b32_e32 v40, 0x80000000, v40
	v_lshl_add_u32 v38, v38, 23, v48
	v_or3_b32 v61, v40, v38, v42
.LBB631_499:                            ;   in Loop: Header=BB631_213 Depth=1
	s_or_b64 exec, exec, s[16:17]
.LBB631_500:                            ;   in Loop: Header=BB631_213 Depth=1
	s_or_b64 exec, exec, s[14:15]
.LBB631_501:                            ;   in Loop: Header=BB631_213 Depth=1
	s_or_b64 exec, exec, s[12:13]
	v_cvt_pkrtz_f16_f32 v63, v44, v52
	buffer_load_dword v44, v59, s[0:3], 0 offen
	buffer_load_dword v42, v59, s[0:3], 0 offen offset:4
	buffer_load_dword v40, v59, s[0:3], 0 offen offset:8
	;; [unrolled: 1-line block ×3, first 2 shown]
	v_cvt_pkrtz_f16_f32 v62, v46, v50
	v_cvt_pkrtz_f16_f32 v50, v51, v60
	;; [unrolled: 1-line block ×3, first 2 shown]
	v_mfma_f32_16x16x16f16 v[34:37], v[62:63], v[22:23], v[34:37]
	s_waitcnt vmcnt(3)
	v_cmp_ne_u16_sdwa s[14:15], v44, v47 src0_sel:BYTE_0 src1_sel:DWORD
	v_mfma_f32_16x16x16f16 v[34:37], v[50:51], v[24:25], v[34:37]
	s_and_saveexec_b64 s[12:13], s[14:15]
	s_cbranch_execz .LBB631_507
; %bb.502:                              ;   in Loop: Header=BB631_213 Depth=1
	v_cmp_ne_u16_sdwa s[16:17], v44, s9 src0_sel:BYTE_0 src1_sel:DWORD
	v_bfrev_b32_e32 v49, 1
	s_and_saveexec_b64 s[14:15], s[16:17]
	s_cbranch_execz .LBB631_506
; %bb.503:                              ;   in Loop: Header=BB631_213 Depth=1
	v_and_b32_e32 v46, 0x7f, v44
	v_cmp_ne_u32_e32 vcc, s19, v46
	v_mov_b32_e32 v49, 0x7f800001
	s_and_saveexec_b64 s[16:17], vcc
	s_cbranch_execz .LBB631_505
; %bb.504:                              ;   in Loop: Header=BB631_213 Depth=1
	v_and_b32_e32 v49, 7, v44
	v_ffbh_u32_e32 v50, v49
	v_min_u32_e32 v53, 32, v50
	v_subrev_u32_e32 v50, 28, v53
	v_lshlrev_b64 v[50:51], v50, v[44:45]
	v_lshrrev_b32_e32 v52, 3, v46
	v_sub_u32_e32 v51, 29, v53
	v_and_b32_e32 v50, 7, v50
	v_cmp_gt_u32_e32 vcc, 8, v46
	v_cndmask_b32_e32 v46, v52, v51, vcc
	v_cndmask_b32_e32 v49, v49, v50, vcc
	v_lshlrev_b32_e32 v50, 24, v44
	v_lshlrev_b32_e32 v49, 20, v49
	v_and_b32_e32 v50, 0x80000000, v50
	v_lshl_add_u32 v46, v46, 23, v48
	v_or3_b32 v49, v50, v46, v49
.LBB631_505:                            ;   in Loop: Header=BB631_213 Depth=1
	s_or_b64 exec, exec, s[16:17]
.LBB631_506:                            ;   in Loop: Header=BB631_213 Depth=1
	s_or_b64 exec, exec, s[14:15]
.LBB631_507:                            ;   in Loop: Header=BB631_213 Depth=1
	s_or_b64 exec, exec, s[12:13]
	v_lshrrev_b16_e32 v46, 8, v44
	v_cmp_ne_u16_e32 vcc, 0, v46
	v_mov_b32_e32 v50, 0
	v_mov_b32_e32 v51, 0
	s_and_saveexec_b64 s[12:13], vcc
	s_cbranch_execz .LBB631_513
; %bb.508:                              ;   in Loop: Header=BB631_213 Depth=1
	v_cmp_ne_u16_e32 vcc, s9, v46
	v_bfrev_b32_e32 v51, 1
	s_and_saveexec_b64 s[14:15], vcc
	s_cbranch_execz .LBB631_512
; %bb.509:                              ;   in Loop: Header=BB631_213 Depth=1
	v_and_b32_e32 v52, 0x7f, v46
	v_cmp_ne_u32_e32 vcc, s19, v52
	v_mov_b32_e32 v51, 0x7f800001
	s_and_saveexec_b64 s[16:17], vcc
	s_cbranch_execz .LBB631_511
; %bb.510:                              ;   in Loop: Header=BB631_213 Depth=1
	v_and_b32_e32 v51, 7, v46
	v_ffbh_u32_e32 v59, v51
	v_min_u32_e32 v59, 32, v59
	v_subrev_u32_e32 v60, 28, v59
	v_lshlrev_b64 v[60:61], v60, v[46:47]
	v_lshrrev_b32_e32 v53, 3, v52
	v_sub_u32_e32 v46, 29, v59
	v_and_b32_e32 v59, 7, v60
	v_cmp_gt_u32_e32 vcc, 8, v52
	v_cndmask_b32_e32 v46, v53, v46, vcc
	v_cndmask_b32_e32 v51, v51, v59, vcc
	v_lshlrev_b32_e32 v52, 16, v44
	v_lshlrev_b32_e32 v51, 20, v51
	v_and_b32_e32 v52, 0x80000000, v52
	v_lshl_add_u32 v46, v46, 23, v48
	v_or3_b32 v51, v52, v46, v51
.LBB631_511:                            ;   in Loop: Header=BB631_213 Depth=1
	s_or_b64 exec, exec, s[16:17]
.LBB631_512:                            ;   in Loop: Header=BB631_213 Depth=1
	s_or_b64 exec, exec, s[14:15]
.LBB631_513:                            ;   in Loop: Header=BB631_213 Depth=1
	s_or_b64 exec, exec, s[12:13]
	v_lshrrev_b32_e32 v46, 16, v44
	v_cmp_ne_u16_sdwa s[14:15], v46, v47 src0_sel:BYTE_0 src1_sel:DWORD
	s_and_saveexec_b64 s[12:13], s[14:15]
	s_cbranch_execz .LBB631_519
; %bb.514:                              ;   in Loop: Header=BB631_213 Depth=1
	v_cmp_ne_u16_sdwa s[16:17], v46, s9 src0_sel:BYTE_0 src1_sel:DWORD
	v_bfrev_b32_e32 v50, 1
	s_and_saveexec_b64 s[14:15], s[16:17]
	s_cbranch_execz .LBB631_518
; %bb.515:                              ;   in Loop: Header=BB631_213 Depth=1
	v_bfe_u32 v52, v44, 16, 7
	v_cmp_ne_u32_e32 vcc, s19, v52
	v_mov_b32_e32 v50, 0x7f800001
	s_and_saveexec_b64 s[16:17], vcc
	s_cbranch_execz .LBB631_517
; %bb.516:                              ;   in Loop: Header=BB631_213 Depth=1
	v_and_b32_e32 v50, 7, v46
	v_ffbh_u32_e32 v59, v50
	v_min_u32_e32 v59, 32, v59
	v_subrev_u32_e32 v60, 28, v59
	v_lshlrev_b64 v[60:61], v60, v[46:47]
	v_lshrrev_b32_e32 v53, 3, v52
	v_sub_u32_e32 v59, 29, v59
	v_and_b32_e32 v60, 7, v60
	v_cmp_gt_u32_e32 vcc, 8, v52
	v_cndmask_b32_e32 v52, v53, v59, vcc
	v_cndmask_b32_e32 v50, v50, v60, vcc
	v_lshlrev_b32_e32 v46, 24, v46
	v_lshlrev_b32_e32 v50, 20, v50
	v_and_b32_e32 v46, 0x80000000, v46
	v_lshl_add_u32 v52, v52, 23, v48
	v_or3_b32 v50, v46, v52, v50
.LBB631_517:                            ;   in Loop: Header=BB631_213 Depth=1
	s_or_b64 exec, exec, s[16:17]
.LBB631_518:                            ;   in Loop: Header=BB631_213 Depth=1
	s_or_b64 exec, exec, s[14:15]
.LBB631_519:                            ;   in Loop: Header=BB631_213 Depth=1
	s_or_b64 exec, exec, s[12:13]
	v_cmp_lt_u32_e32 vcc, s20, v44
	v_mov_b32_e32 v52, 0
	v_mov_b32_e32 v53, 0
	s_and_saveexec_b64 s[12:13], vcc
	s_cbranch_execz .LBB631_525
; %bb.520:                              ;   in Loop: Header=BB631_213 Depth=1
	v_lshrrev_b32_e32 v46, 24, v44
	v_cmp_ne_u32_e32 vcc, s9, v46
	v_bfrev_b32_e32 v53, 1
	s_and_saveexec_b64 s[14:15], vcc
	s_cbranch_execz .LBB631_524
; %bb.521:                              ;   in Loop: Header=BB631_213 Depth=1
	v_bfe_u32 v44, v44, 24, 7
	v_cmp_ne_u32_e32 vcc, s19, v44
	v_mov_b32_e32 v53, 0x7f800001
	s_and_saveexec_b64 s[16:17], vcc
	s_cbranch_execz .LBB631_523
; %bb.522:                              ;   in Loop: Header=BB631_213 Depth=1
	v_and_b32_e32 v53, 7, v46
	v_ffbh_u32_e32 v60, v53
	v_min_u32_e32 v62, 32, v60
	v_subrev_u32_e32 v60, 28, v62
	v_lshlrev_b64 v[60:61], v60, v[46:47]
	v_lshrrev_b32_e32 v59, 3, v44
	v_sub_u32_e32 v61, 29, v62
	v_and_b32_e32 v60, 7, v60
	v_cmp_gt_u32_e32 vcc, 8, v44
	v_cndmask_b32_e32 v44, v59, v61, vcc
	v_cndmask_b32_e32 v53, v53, v60, vcc
	v_lshlrev_b32_e32 v46, 24, v46
	v_lshlrev_b32_e32 v53, 20, v53
	v_and_b32_e32 v46, 0x80000000, v46
	v_lshl_add_u32 v44, v44, 23, v48
	v_or3_b32 v53, v46, v44, v53
.LBB631_523:                            ;   in Loop: Header=BB631_213 Depth=1
	s_or_b64 exec, exec, s[16:17]
.LBB631_524:                            ;   in Loop: Header=BB631_213 Depth=1
	s_or_b64 exec, exec, s[14:15]
.LBB631_525:                            ;   in Loop: Header=BB631_213 Depth=1
	s_or_b64 exec, exec, s[12:13]
	s_waitcnt vmcnt(2)
	v_cmp_ne_u16_sdwa s[14:15], v42, v47 src0_sel:BYTE_0 src1_sel:DWORD
	s_and_saveexec_b64 s[12:13], s[14:15]
	s_cbranch_execz .LBB631_531
; %bb.526:                              ;   in Loop: Header=BB631_213 Depth=1
	v_cmp_ne_u16_sdwa s[16:17], v42, s9 src0_sel:BYTE_0 src1_sel:DWORD
	v_bfrev_b32_e32 v52, 1
	s_and_saveexec_b64 s[14:15], s[16:17]
	s_cbranch_execz .LBB631_530
; %bb.527:                              ;   in Loop: Header=BB631_213 Depth=1
	v_and_b32_e32 v44, 0x7f, v42
	v_cmp_ne_u32_e32 vcc, s19, v44
	v_mov_b32_e32 v52, 0x7f800001
	s_and_saveexec_b64 s[16:17], vcc
	s_cbranch_execz .LBB631_529
; %bb.528:                              ;   in Loop: Header=BB631_213 Depth=1
	v_and_b32_e32 v46, 7, v42
	v_ffbh_u32_e32 v59, v46
	v_min_u32_e32 v59, 32, v59
	v_subrev_u32_e32 v60, 28, v59
	v_lshlrev_b64 v[60:61], v60, v[42:43]
	v_lshrrev_b32_e32 v52, 3, v44
	v_sub_u32_e32 v59, 29, v59
	v_and_b32_e32 v60, 7, v60
	v_cmp_gt_u32_e32 vcc, 8, v44
	v_cndmask_b32_e32 v44, v52, v59, vcc
	v_cndmask_b32_e32 v46, v46, v60, vcc
	v_lshlrev_b32_e32 v52, 24, v42
	v_lshlrev_b32_e32 v46, 20, v46
	v_and_b32_e32 v52, 0x80000000, v52
	v_lshl_add_u32 v44, v44, 23, v48
	v_or3_b32 v52, v52, v44, v46
.LBB631_529:                            ;   in Loop: Header=BB631_213 Depth=1
	s_or_b64 exec, exec, s[16:17]
.LBB631_530:                            ;   in Loop: Header=BB631_213 Depth=1
	s_or_b64 exec, exec, s[14:15]
.LBB631_531:                            ;   in Loop: Header=BB631_213 Depth=1
	s_or_b64 exec, exec, s[12:13]
	v_lshrrev_b16_e32 v44, 8, v42
	v_cmp_ne_u16_e32 vcc, 0, v44
	v_mov_b32_e32 v59, 0
	v_mov_b32_e32 v60, 0
	s_and_saveexec_b64 s[12:13], vcc
	s_cbranch_execz .LBB631_537
; %bb.532:                              ;   in Loop: Header=BB631_213 Depth=1
	v_cmp_ne_u16_e32 vcc, s9, v44
	v_bfrev_b32_e32 v60, 1
	s_and_saveexec_b64 s[14:15], vcc
	s_cbranch_execz .LBB631_536
; %bb.533:                              ;   in Loop: Header=BB631_213 Depth=1
	v_and_b32_e32 v46, 0x7f, v44
	v_cmp_ne_u32_e32 vcc, s19, v46
	v_mov_b32_e32 v60, 0x7f800001
	s_and_saveexec_b64 s[16:17], vcc
	s_cbranch_execz .LBB631_535
; %bb.534:                              ;   in Loop: Header=BB631_213 Depth=1
	v_and_b32_e32 v62, 7, v44
	v_ffbh_u32_e32 v60, v62
	v_min_u32_e32 v64, 32, v60
	v_subrev_u32_e32 v60, 28, v64
	v_lshlrev_b64 v[60:61], v60, v[44:45]
	v_lshrrev_b32_e32 v63, 3, v46
	v_sub_u32_e32 v44, 29, v64
	v_and_b32_e32 v60, 7, v60
	v_cmp_gt_u32_e32 vcc, 8, v46
	v_cndmask_b32_e32 v44, v63, v44, vcc
	v_cndmask_b32_e32 v46, v62, v60, vcc
	v_lshlrev_b32_e32 v60, 16, v42
	v_lshlrev_b32_e32 v46, 20, v46
	v_and_b32_e32 v60, 0x80000000, v60
	v_lshl_add_u32 v44, v44, 23, v48
	v_or3_b32 v60, v60, v44, v46
.LBB631_535:                            ;   in Loop: Header=BB631_213 Depth=1
	s_or_b64 exec, exec, s[16:17]
.LBB631_536:                            ;   in Loop: Header=BB631_213 Depth=1
	s_or_b64 exec, exec, s[14:15]
.LBB631_537:                            ;   in Loop: Header=BB631_213 Depth=1
	s_or_b64 exec, exec, s[12:13]
	v_lshrrev_b32_e32 v44, 16, v42
	v_cmp_ne_u16_sdwa s[14:15], v44, v47 src0_sel:BYTE_0 src1_sel:DWORD
	s_and_saveexec_b64 s[12:13], s[14:15]
	s_cbranch_execz .LBB631_543
; %bb.538:                              ;   in Loop: Header=BB631_213 Depth=1
	v_cmp_ne_u16_sdwa s[16:17], v44, s9 src0_sel:BYTE_0 src1_sel:DWORD
	v_bfrev_b32_e32 v59, 1
	s_and_saveexec_b64 s[14:15], s[16:17]
	s_cbranch_execz .LBB631_542
; %bb.539:                              ;   in Loop: Header=BB631_213 Depth=1
	v_bfe_u32 v46, v42, 16, 7
	v_cmp_ne_u32_e32 vcc, s19, v46
	v_mov_b32_e32 v59, 0x7f800001
	s_and_saveexec_b64 s[16:17], vcc
	s_cbranch_execz .LBB631_541
; %bb.540:                              ;   in Loop: Header=BB631_213 Depth=1
	v_and_b32_e32 v59, 7, v44
	v_ffbh_u32_e32 v62, v59
	v_min_u32_e32 v64, 32, v62
	v_subrev_u32_e32 v62, 28, v64
	v_lshlrev_b64 v[62:63], v62, v[44:45]
	v_lshrrev_b32_e32 v61, 3, v46
	v_sub_u32_e32 v63, 29, v64
	v_and_b32_e32 v62, 7, v62
	v_cmp_gt_u32_e32 vcc, 8, v46
	v_cndmask_b32_e32 v46, v61, v63, vcc
	v_cndmask_b32_e32 v59, v59, v62, vcc
	v_lshlrev_b32_e32 v44, 24, v44
	v_lshlrev_b32_e32 v59, 20, v59
	v_and_b32_e32 v44, 0x80000000, v44
	v_lshl_add_u32 v46, v46, 23, v48
	v_or3_b32 v59, v44, v46, v59
.LBB631_541:                            ;   in Loop: Header=BB631_213 Depth=1
	s_or_b64 exec, exec, s[16:17]
.LBB631_542:                            ;   in Loop: Header=BB631_213 Depth=1
	s_or_b64 exec, exec, s[14:15]
.LBB631_543:                            ;   in Loop: Header=BB631_213 Depth=1
	s_or_b64 exec, exec, s[12:13]
	v_cmp_lt_u32_e32 vcc, s20, v42
	v_mov_b32_e32 v46, 0
	v_mov_b32_e32 v61, 0
	s_and_saveexec_b64 s[12:13], vcc
	s_cbranch_execz .LBB631_549
; %bb.544:                              ;   in Loop: Header=BB631_213 Depth=1
	v_lshrrev_b32_e32 v44, 24, v42
	v_cmp_ne_u32_e32 vcc, s9, v44
	v_bfrev_b32_e32 v61, 1
	s_and_saveexec_b64 s[14:15], vcc
	s_cbranch_execz .LBB631_548
; %bb.545:                              ;   in Loop: Header=BB631_213 Depth=1
	v_bfe_u32 v42, v42, 24, 7
	v_cmp_ne_u32_e32 vcc, s19, v42
	v_mov_b32_e32 v61, 0x7f800001
	s_and_saveexec_b64 s[16:17], vcc
	s_cbranch_execz .LBB631_547
; %bb.546:                              ;   in Loop: Header=BB631_213 Depth=1
	v_and_b32_e32 v61, 7, v44
	v_ffbh_u32_e32 v62, v61
	v_min_u32_e32 v65, 32, v62
	v_subrev_u32_e32 v62, 28, v65
	v_lshlrev_b64 v[62:63], v62, v[44:45]
	v_lshrrev_b32_e32 v64, 3, v42
	v_sub_u32_e32 v63, 29, v65
	v_and_b32_e32 v62, 7, v62
	v_cmp_gt_u32_e32 vcc, 8, v42
	v_cndmask_b32_e32 v42, v64, v63, vcc
	v_cndmask_b32_e32 v61, v61, v62, vcc
	v_lshlrev_b32_e32 v44, 24, v44
	v_lshlrev_b32_e32 v61, 20, v61
	v_and_b32_e32 v44, 0x80000000, v44
	v_lshl_add_u32 v42, v42, 23, v48
	v_or3_b32 v61, v44, v42, v61
.LBB631_547:                            ;   in Loop: Header=BB631_213 Depth=1
	s_or_b64 exec, exec, s[16:17]
.LBB631_548:                            ;   in Loop: Header=BB631_213 Depth=1
	s_or_b64 exec, exec, s[14:15]
.LBB631_549:                            ;   in Loop: Header=BB631_213 Depth=1
	s_or_b64 exec, exec, s[12:13]
	v_cvt_pkrtz_f16_f32 v62, v49, v51
	v_cvt_pkrtz_f16_f32 v63, v50, v53
	;; [unrolled: 1-line block ×4, first 2 shown]
	s_waitcnt vmcnt(1)
	v_cmp_ne_u16_sdwa s[14:15], v40, v47 src0_sel:BYTE_0 src1_sel:DWORD
	v_mfma_f32_16x16x16f16 v[34:37], v[62:63], v[26:27], v[34:37]
	v_mfma_f32_16x16x16f16 v[34:37], v[50:51], v[28:29], v[34:37]
	s_and_saveexec_b64 s[12:13], s[14:15]
	s_cbranch_execz .LBB631_555
; %bb.550:                              ;   in Loop: Header=BB631_213 Depth=1
	v_cmp_ne_u16_sdwa s[16:17], v40, s9 src0_sel:BYTE_0 src1_sel:DWORD
	v_bfrev_b32_e32 v46, 1
	s_and_saveexec_b64 s[14:15], s[16:17]
	s_cbranch_execz .LBB631_554
; %bb.551:                              ;   in Loop: Header=BB631_213 Depth=1
	v_and_b32_e32 v42, 0x7f, v40
	v_cmp_ne_u32_e32 vcc, s19, v42
	v_mov_b32_e32 v46, 0x7f800001
	s_and_saveexec_b64 s[16:17], vcc
	s_cbranch_execz .LBB631_553
; %bb.552:                              ;   in Loop: Header=BB631_213 Depth=1
	v_and_b32_e32 v44, 7, v40
	v_ffbh_u32_e32 v49, v44
	v_min_u32_e32 v49, 32, v49
	v_subrev_u32_e32 v50, 28, v49
	v_lshlrev_b64 v[50:51], v50, v[40:41]
	v_lshrrev_b32_e32 v46, 3, v42
	v_sub_u32_e32 v49, 29, v49
	v_and_b32_e32 v50, 7, v50
	v_cmp_gt_u32_e32 vcc, 8, v42
	v_cndmask_b32_e32 v42, v46, v49, vcc
	v_cndmask_b32_e32 v44, v44, v50, vcc
	v_lshlrev_b32_e32 v46, 24, v40
	v_lshlrev_b32_e32 v44, 20, v44
	v_and_b32_e32 v46, 0x80000000, v46
	v_lshl_add_u32 v42, v42, 23, v48
	v_or3_b32 v46, v46, v42, v44
.LBB631_553:                            ;   in Loop: Header=BB631_213 Depth=1
	s_or_b64 exec, exec, s[16:17]
.LBB631_554:                            ;   in Loop: Header=BB631_213 Depth=1
	s_or_b64 exec, exec, s[14:15]
.LBB631_555:                            ;   in Loop: Header=BB631_213 Depth=1
	s_or_b64 exec, exec, s[12:13]
	v_lshrrev_b16_e32 v42, 8, v40
	v_cmp_ne_u16_e32 vcc, 0, v42
	v_mov_b32_e32 v44, 0
	v_mov_b32_e32 v49, 0
	s_and_saveexec_b64 s[12:13], vcc
	s_cbranch_execz .LBB631_561
; %bb.556:                              ;   in Loop: Header=BB631_213 Depth=1
	v_cmp_ne_u16_e32 vcc, s9, v42
	v_bfrev_b32_e32 v49, 1
	s_and_saveexec_b64 s[14:15], vcc
	s_cbranch_execz .LBB631_560
; %bb.557:                              ;   in Loop: Header=BB631_213 Depth=1
	v_and_b32_e32 v50, 0x7f, v42
	v_cmp_ne_u32_e32 vcc, s19, v50
	v_mov_b32_e32 v49, 0x7f800001
	s_and_saveexec_b64 s[16:17], vcc
	s_cbranch_execz .LBB631_559
; %bb.558:                              ;   in Loop: Header=BB631_213 Depth=1
	v_and_b32_e32 v49, 7, v42
	v_ffbh_u32_e32 v52, v49
	v_min_u32_e32 v59, 32, v52
	v_subrev_u32_e32 v52, 28, v59
	v_lshlrev_b64 v[52:53], v52, v[42:43]
	v_lshrrev_b32_e32 v51, 3, v50
	v_sub_u32_e32 v42, 29, v59
	v_and_b32_e32 v52, 7, v52
	v_cmp_gt_u32_e32 vcc, 8, v50
	v_cndmask_b32_e32 v42, v51, v42, vcc
	v_cndmask_b32_e32 v49, v49, v52, vcc
	v_lshlrev_b32_e32 v50, 16, v40
	v_lshlrev_b32_e32 v49, 20, v49
	v_and_b32_e32 v50, 0x80000000, v50
	v_lshl_add_u32 v42, v42, 23, v48
	v_or3_b32 v49, v50, v42, v49
.LBB631_559:                            ;   in Loop: Header=BB631_213 Depth=1
	s_or_b64 exec, exec, s[16:17]
.LBB631_560:                            ;   in Loop: Header=BB631_213 Depth=1
	s_or_b64 exec, exec, s[14:15]
.LBB631_561:                            ;   in Loop: Header=BB631_213 Depth=1
	s_or_b64 exec, exec, s[12:13]
	v_lshrrev_b32_e32 v42, 16, v40
	v_cmp_ne_u16_sdwa s[14:15], v42, v47 src0_sel:BYTE_0 src1_sel:DWORD
	s_and_saveexec_b64 s[12:13], s[14:15]
	s_cbranch_execz .LBB631_567
; %bb.562:                              ;   in Loop: Header=BB631_213 Depth=1
	v_cmp_ne_u16_sdwa s[16:17], v42, s9 src0_sel:BYTE_0 src1_sel:DWORD
	v_bfrev_b32_e32 v44, 1
	s_and_saveexec_b64 s[14:15], s[16:17]
	s_cbranch_execz .LBB631_566
; %bb.563:                              ;   in Loop: Header=BB631_213 Depth=1
	v_bfe_u32 v50, v40, 16, 7
	v_cmp_ne_u32_e32 vcc, s19, v50
	v_mov_b32_e32 v44, 0x7f800001
	s_and_saveexec_b64 s[16:17], vcc
	s_cbranch_execz .LBB631_565
; %bb.564:                              ;   in Loop: Header=BB631_213 Depth=1
	v_and_b32_e32 v44, 7, v42
	v_ffbh_u32_e32 v52, v44
	v_min_u32_e32 v59, 32, v52
	v_subrev_u32_e32 v52, 28, v59
	v_lshlrev_b64 v[52:53], v52, v[42:43]
	v_lshrrev_b32_e32 v51, 3, v50
	v_sub_u32_e32 v53, 29, v59
	v_and_b32_e32 v52, 7, v52
	v_cmp_gt_u32_e32 vcc, 8, v50
	v_cndmask_b32_e32 v50, v51, v53, vcc
	v_cndmask_b32_e32 v44, v44, v52, vcc
	v_lshlrev_b32_e32 v42, 24, v42
	v_lshlrev_b32_e32 v44, 20, v44
	v_and_b32_e32 v42, 0x80000000, v42
	v_lshl_add_u32 v50, v50, 23, v48
	v_or3_b32 v44, v42, v50, v44
.LBB631_565:                            ;   in Loop: Header=BB631_213 Depth=1
	s_or_b64 exec, exec, s[16:17]
.LBB631_566:                            ;   in Loop: Header=BB631_213 Depth=1
	s_or_b64 exec, exec, s[14:15]
.LBB631_567:                            ;   in Loop: Header=BB631_213 Depth=1
	s_or_b64 exec, exec, s[12:13]
	v_cmp_lt_u32_e32 vcc, s20, v40
	v_mov_b32_e32 v50, 0
	v_mov_b32_e32 v51, 0
	s_and_saveexec_b64 s[12:13], vcc
	s_cbranch_execz .LBB631_573
; %bb.568:                              ;   in Loop: Header=BB631_213 Depth=1
	v_lshrrev_b32_e32 v42, 24, v40
	v_cmp_ne_u32_e32 vcc, s9, v42
	v_bfrev_b32_e32 v51, 1
	s_and_saveexec_b64 s[14:15], vcc
	s_cbranch_execz .LBB631_572
; %bb.569:                              ;   in Loop: Header=BB631_213 Depth=1
	v_bfe_u32 v40, v40, 24, 7
	v_cmp_ne_u32_e32 vcc, s19, v40
	v_mov_b32_e32 v51, 0x7f800001
	s_and_saveexec_b64 s[16:17], vcc
	s_cbranch_execz .LBB631_571
; %bb.570:                              ;   in Loop: Header=BB631_213 Depth=1
	v_and_b32_e32 v51, 7, v42
	v_ffbh_u32_e32 v52, v51
	v_min_u32_e32 v60, 32, v52
	v_subrev_u32_e32 v52, 28, v60
	v_lshlrev_b64 v[52:53], v52, v[42:43]
	v_lshrrev_b32_e32 v59, 3, v40
	v_sub_u32_e32 v53, 29, v60
	v_and_b32_e32 v52, 7, v52
	v_cmp_gt_u32_e32 vcc, 8, v40
	v_cndmask_b32_e32 v40, v59, v53, vcc
	v_cndmask_b32_e32 v51, v51, v52, vcc
	v_lshlrev_b32_e32 v42, 24, v42
	v_lshlrev_b32_e32 v51, 20, v51
	v_and_b32_e32 v42, 0x80000000, v42
	v_lshl_add_u32 v40, v40, 23, v48
	v_or3_b32 v51, v42, v40, v51
.LBB631_571:                            ;   in Loop: Header=BB631_213 Depth=1
	s_or_b64 exec, exec, s[16:17]
.LBB631_572:                            ;   in Loop: Header=BB631_213 Depth=1
	s_or_b64 exec, exec, s[14:15]
.LBB631_573:                            ;   in Loop: Header=BB631_213 Depth=1
	s_or_b64 exec, exec, s[12:13]
	s_waitcnt vmcnt(0)
	v_cmp_ne_u16_sdwa s[14:15], v38, v47 src0_sel:BYTE_0 src1_sel:DWORD
	s_and_saveexec_b64 s[12:13], s[14:15]
	s_cbranch_execz .LBB631_579
; %bb.574:                              ;   in Loop: Header=BB631_213 Depth=1
	v_cmp_ne_u16_sdwa s[16:17], v38, s9 src0_sel:BYTE_0 src1_sel:DWORD
	v_bfrev_b32_e32 v50, 1
	s_and_saveexec_b64 s[14:15], s[16:17]
	s_cbranch_execz .LBB631_578
; %bb.575:                              ;   in Loop: Header=BB631_213 Depth=1
	v_and_b32_e32 v40, 0x7f, v38
	v_cmp_ne_u32_e32 vcc, s19, v40
	v_mov_b32_e32 v50, 0x7f800001
	s_and_saveexec_b64 s[16:17], vcc
	s_cbranch_execz .LBB631_577
; %bb.576:                              ;   in Loop: Header=BB631_213 Depth=1
	v_and_b32_e32 v42, 7, v38
	v_ffbh_u32_e32 v52, v42
	v_min_u32_e32 v59, 32, v52
	v_subrev_u32_e32 v52, 28, v59
	v_lshlrev_b64 v[52:53], v52, v[38:39]
	v_lshrrev_b32_e32 v50, 3, v40
	v_sub_u32_e32 v53, 29, v59
	v_and_b32_e32 v52, 7, v52
	v_cmp_gt_u32_e32 vcc, 8, v40
	v_cndmask_b32_e32 v40, v50, v53, vcc
	v_cndmask_b32_e32 v42, v42, v52, vcc
	v_lshlrev_b32_e32 v50, 24, v38
	v_lshlrev_b32_e32 v42, 20, v42
	v_and_b32_e32 v50, 0x80000000, v50
	v_lshl_add_u32 v40, v40, 23, v48
	v_or3_b32 v50, v50, v40, v42
.LBB631_577:                            ;   in Loop: Header=BB631_213 Depth=1
	s_or_b64 exec, exec, s[16:17]
.LBB631_578:                            ;   in Loop: Header=BB631_213 Depth=1
	s_or_b64 exec, exec, s[14:15]
.LBB631_579:                            ;   in Loop: Header=BB631_213 Depth=1
	s_or_b64 exec, exec, s[12:13]
	v_lshrrev_b16_e32 v40, 8, v38
	v_cmp_ne_u16_e32 vcc, 0, v40
	v_mov_b32_e32 v42, 0
	v_mov_b32_e32 v52, 0
	s_and_saveexec_b64 s[12:13], vcc
	s_cbranch_execz .LBB631_585
; %bb.580:                              ;   in Loop: Header=BB631_213 Depth=1
	v_cmp_ne_u16_e32 vcc, s9, v40
	v_bfrev_b32_e32 v52, 1
	s_and_saveexec_b64 s[14:15], vcc
	s_cbranch_execz .LBB631_584
; %bb.581:                              ;   in Loop: Header=BB631_213 Depth=1
	v_and_b32_e32 v53, 0x7f, v40
	v_cmp_ne_u32_e32 vcc, s19, v53
	v_mov_b32_e32 v52, 0x7f800001
	s_and_saveexec_b64 s[16:17], vcc
	s_cbranch_execz .LBB631_583
; %bb.582:                              ;   in Loop: Header=BB631_213 Depth=1
	v_and_b32_e32 v52, 7, v40
	v_ffbh_u32_e32 v60, v52
	v_min_u32_e32 v62, 32, v60
	v_subrev_u32_e32 v60, 28, v62
	v_lshlrev_b64 v[60:61], v60, v[40:41]
	v_lshrrev_b32_e32 v59, 3, v53
	v_sub_u32_e32 v40, 29, v62
	v_and_b32_e32 v60, 7, v60
	v_cmp_gt_u32_e32 vcc, 8, v53
	v_cndmask_b32_e32 v40, v59, v40, vcc
	v_cndmask_b32_e32 v52, v52, v60, vcc
	v_lshlrev_b32_e32 v53, 16, v38
	v_lshlrev_b32_e32 v52, 20, v52
	v_and_b32_e32 v53, 0x80000000, v53
	v_lshl_add_u32 v40, v40, 23, v48
	v_or3_b32 v52, v53, v40, v52
.LBB631_583:                            ;   in Loop: Header=BB631_213 Depth=1
	s_or_b64 exec, exec, s[16:17]
.LBB631_584:                            ;   in Loop: Header=BB631_213 Depth=1
	s_or_b64 exec, exec, s[14:15]
.LBB631_585:                            ;   in Loop: Header=BB631_213 Depth=1
	s_or_b64 exec, exec, s[12:13]
	v_lshrrev_b32_e32 v40, 16, v38
	v_cmp_ne_u16_sdwa s[14:15], v40, v47 src0_sel:BYTE_0 src1_sel:DWORD
	s_and_saveexec_b64 s[12:13], s[14:15]
	s_cbranch_execz .LBB631_591
; %bb.586:                              ;   in Loop: Header=BB631_213 Depth=1
	v_cmp_ne_u16_sdwa s[16:17], v40, s9 src0_sel:BYTE_0 src1_sel:DWORD
	v_bfrev_b32_e32 v42, 1
	s_and_saveexec_b64 s[14:15], s[16:17]
	s_cbranch_execz .LBB631_590
; %bb.587:                              ;   in Loop: Header=BB631_213 Depth=1
	v_bfe_u32 v53, v38, 16, 7
	v_cmp_ne_u32_e32 vcc, s19, v53
	v_mov_b32_e32 v42, 0x7f800001
	s_and_saveexec_b64 s[16:17], vcc
	s_cbranch_execz .LBB631_589
; %bb.588:                              ;   in Loop: Header=BB631_213 Depth=1
	v_and_b32_e32 v42, 7, v40
	v_ffbh_u32_e32 v60, v42
	v_min_u32_e32 v62, 32, v60
	v_subrev_u32_e32 v60, 28, v62
	v_lshlrev_b64 v[60:61], v60, v[40:41]
	v_lshrrev_b32_e32 v59, 3, v53
	v_sub_u32_e32 v61, 29, v62
	v_and_b32_e32 v60, 7, v60
	v_cmp_gt_u32_e32 vcc, 8, v53
	v_cndmask_b32_e32 v53, v59, v61, vcc
	v_cndmask_b32_e32 v42, v42, v60, vcc
	v_lshlrev_b32_e32 v40, 24, v40
	v_lshlrev_b32_e32 v42, 20, v42
	v_and_b32_e32 v40, 0x80000000, v40
	v_lshl_add_u32 v53, v53, 23, v48
	v_or3_b32 v42, v40, v53, v42
.LBB631_589:                            ;   in Loop: Header=BB631_213 Depth=1
	s_or_b64 exec, exec, s[16:17]
.LBB631_590:                            ;   in Loop: Header=BB631_213 Depth=1
	s_or_b64 exec, exec, s[14:15]
.LBB631_591:                            ;   in Loop: Header=BB631_213 Depth=1
	s_or_b64 exec, exec, s[12:13]
	v_cmp_lt_u32_e32 vcc, s20, v38
	v_mov_b32_e32 v53, 0
	s_and_saveexec_b64 s[12:13], vcc
	s_cbranch_execz .LBB631_212
; %bb.592:                              ;   in Loop: Header=BB631_213 Depth=1
	v_lshrrev_b32_e32 v40, 24, v38
	v_cmp_ne_u32_e32 vcc, s9, v40
	v_bfrev_b32_e32 v53, 1
	s_and_saveexec_b64 s[14:15], vcc
	s_cbranch_execz .LBB631_211
; %bb.593:                              ;   in Loop: Header=BB631_213 Depth=1
	v_bfe_u32 v38, v38, 24, 7
	v_cmp_ne_u32_e32 vcc, s19, v38
	v_mov_b32_e32 v53, 0x7f800001
	s_and_saveexec_b64 s[16:17], vcc
	s_cbranch_execz .LBB631_210
; %bb.594:                              ;   in Loop: Header=BB631_213 Depth=1
	v_and_b32_e32 v53, 7, v40
	v_ffbh_u32_e32 v60, v53
	v_min_u32_e32 v62, 32, v60
	v_subrev_u32_e32 v60, 28, v62
	v_lshlrev_b64 v[60:61], v60, v[40:41]
	v_lshrrev_b32_e32 v59, 3, v38
	v_sub_u32_e32 v61, 29, v62
	v_and_b32_e32 v60, 7, v60
	v_cmp_gt_u32_e32 vcc, 8, v38
	v_cndmask_b32_e32 v38, v59, v61, vcc
	v_cndmask_b32_e32 v53, v53, v60, vcc
	v_lshlrev_b32_e32 v40, 24, v40
	v_lshlrev_b32_e32 v53, 20, v53
	v_and_b32_e32 v40, 0x80000000, v40
	v_lshl_add_u32 v38, v38, 23, v48
	v_or3_b32 v53, v40, v38, v53
	s_branch .LBB631_210
.LBB631_595:
	s_barrier
	buffer_load_dword v2, off, s[0:3], 0 offset:320
	buffer_load_dword v5, off, s[0:3], 0 offset:332
	;; [unrolled: 1-line block ×4, first 2 shown]
	v_cmp_gt_u32_e32 vcc, 64, v0
	s_waitcnt vmcnt(0)
	ds_write2st64_b64 v43, v[2:3], v[4:5] offset1:1
	s_waitcnt lgkmcnt(0)
	s_barrier
	s_and_saveexec_b64 s[4:5], vcc
	s_cbranch_execz .LBB631_598
; %bb.596:
	s_lshl_b32 s4, s50, 7
	s_mul_i32 s5, s18, s8
	s_mul_hi_u32 s9, s5, s4
	s_mul_i32 s8, s5, s4
	s_lshl_b64 s[8:9], s[8:9], 1
	v_lshlrev_b32_e32 v4, 6, v55
	s_add_u32 s5, s48, s8
	v_lshl_or_b32 v0, v0, 10, v4
	s_mov_b32 s7, 0
	s_addc_u32 s8, s49, s9
	s_lshl_b32 s6, s24, 7
	v_lshlrev_b32_e32 v2, 5, v1
	v_and_b32_e32 v3, 16, v56
	v_and_b32_e32 v0, 0x1a00, v0
	s_lshl_b64 s[6:7], s[6:7], 1
	v_or3_b32 v0, v0, v2, v3
	s_add_u32 s5, s5, s6
	v_or_b32_e32 v2, 8, v1
	s_addc_u32 s6, s8, s7
	ds_read_b128 v[6:9], v0 offset:128
	ds_read_b128 v[10:13], v0
	v_add_u32_e32 v1, s25, v1
	v_mov_b32_e32 v4, s6
	v_add_co_u32_e32 v3, vcc, s5, v54
	v_mad_u64_u32 v[14:15], s[6:7], v1, s4, 0
	v_addc_co_u32_e32 v4, vcc, 0, v4, vcc
	v_lshlrev_b64 v[14:15], 1, v[14:15]
	v_add_co_u32_e32 v14, vcc, v3, v14
	v_addc_co_u32_e32 v15, vcc, v4, v15, vcc
	v_add_u32_e32 v1, 4, v1
	s_waitcnt lgkmcnt(0)
	global_store_dwordx4 v[14:15], v[10:13], off
	s_nop 0
	v_mad_u64_u32 v[10:11], s[6:7], v1, s4, 0
	v_lshlrev_b64 v[10:11], 1, v[10:11]
	v_add_co_u32_e32 v10, vcc, v3, v10
	v_addc_co_u32_e32 v11, vcc, v4, v11, vcc
	v_cmp_gt_u32_e32 vcc, 10, v2
	global_store_dwordx4 v[10:11], v[6:9], off
	s_and_b64 exec, exec, vcc
	s_cbranch_execz .LBB631_598
; %bb.597:
	ds_read_b128 v[6:9], v0 offset:256
	v_add_u32_e32 v0, s25, v2
	v_mad_u64_u32 v[0:1], s[4:5], v0, s4, 0
	v_lshlrev_b64 v[0:1], 1, v[0:1]
	v_add_co_u32_e32 v0, vcc, v3, v0
	v_addc_co_u32_e32 v1, vcc, v4, v1, vcc
	s_waitcnt lgkmcnt(0)
	global_store_dwordx4 v[0:1], v[6:9], off
.LBB631_598:
	s_endpgm
	.section	.rodata,"a",@progbits
	.p2align	6, 0x0
	.amdhsa_kernel _Z39paged_attention_ll4mi_QKV_mfma16_kernelIDF16_hLN4vllm18Fp8KVCacheDataTypeE1EDF16_Li16ELi128ELi256ELb0ELi10EL8MFMAType0EEvPKT_PKT0_S8_ifPKiSA_SA_iPKfiiiPfSD_PS3_PT2_iSC_SC_
		.amdhsa_group_segment_fixed_size 8192
		.amdhsa_private_segment_fixed_size 352
		.amdhsa_kernarg_size 400
		.amdhsa_user_sgpr_count 8
		.amdhsa_user_sgpr_private_segment_buffer 1
		.amdhsa_user_sgpr_dispatch_ptr 0
		.amdhsa_user_sgpr_queue_ptr 0
		.amdhsa_user_sgpr_kernarg_segment_ptr 1
		.amdhsa_user_sgpr_dispatch_id 0
		.amdhsa_user_sgpr_flat_scratch_init 1
		.amdhsa_user_sgpr_kernarg_preload_length 0
		.amdhsa_user_sgpr_kernarg_preload_offset 0
		.amdhsa_user_sgpr_private_segment_size 0
		.amdhsa_uses_dynamic_stack 0
		.amdhsa_system_sgpr_private_segment_wavefront_offset 1
		.amdhsa_system_sgpr_workgroup_id_x 1
		.amdhsa_system_sgpr_workgroup_id_y 1
		.amdhsa_system_sgpr_workgroup_id_z 1
		.amdhsa_system_sgpr_workgroup_info 0
		.amdhsa_system_vgpr_workitem_id 0
		.amdhsa_next_free_vgpr 76
		.amdhsa_next_free_sgpr 53
		.amdhsa_accum_offset 76
		.amdhsa_reserve_vcc 1
		.amdhsa_reserve_flat_scratch 0
		.amdhsa_float_round_mode_32 0
		.amdhsa_float_round_mode_16_64 0
		.amdhsa_float_denorm_mode_32 3
		.amdhsa_float_denorm_mode_16_64 3
		.amdhsa_dx10_clamp 1
		.amdhsa_ieee_mode 1
		.amdhsa_fp16_overflow 0
		.amdhsa_tg_split 0
		.amdhsa_exception_fp_ieee_invalid_op 0
		.amdhsa_exception_fp_denorm_src 0
		.amdhsa_exception_fp_ieee_div_zero 0
		.amdhsa_exception_fp_ieee_overflow 0
		.amdhsa_exception_fp_ieee_underflow 0
		.amdhsa_exception_fp_ieee_inexact 0
		.amdhsa_exception_int_div_zero 0
	.end_amdhsa_kernel
	.section	.text._Z39paged_attention_ll4mi_QKV_mfma16_kernelIDF16_hLN4vllm18Fp8KVCacheDataTypeE1EDF16_Li16ELi128ELi256ELb0ELi10EL8MFMAType0EEvPKT_PKT0_S8_ifPKiSA_SA_iPKfiiiPfSD_PS3_PT2_iSC_SC_,"axG",@progbits,_Z39paged_attention_ll4mi_QKV_mfma16_kernelIDF16_hLN4vllm18Fp8KVCacheDataTypeE1EDF16_Li16ELi128ELi256ELb0ELi10EL8MFMAType0EEvPKT_PKT0_S8_ifPKiSA_SA_iPKfiiiPfSD_PS3_PT2_iSC_SC_,comdat
.Lfunc_end631:
	.size	_Z39paged_attention_ll4mi_QKV_mfma16_kernelIDF16_hLN4vllm18Fp8KVCacheDataTypeE1EDF16_Li16ELi128ELi256ELb0ELi10EL8MFMAType0EEvPKT_PKT0_S8_ifPKiSA_SA_iPKfiiiPfSD_PS3_PT2_iSC_SC_, .Lfunc_end631-_Z39paged_attention_ll4mi_QKV_mfma16_kernelIDF16_hLN4vllm18Fp8KVCacheDataTypeE1EDF16_Li16ELi128ELi256ELb0ELi10EL8MFMAType0EEvPKT_PKT0_S8_ifPKiSA_SA_iPKfiiiPfSD_PS3_PT2_iSC_SC_
                                        ; -- End function
	.section	.AMDGPU.csdata,"",@progbits
; Kernel info:
; codeLenInByte = 21204
; NumSgprs: 57
; NumVgprs: 76
; NumAgprs: 0
; TotalNumVgprs: 76
; ScratchSize: 352
; MemoryBound: 0
; FloatMode: 240
; IeeeMode: 1
; LDSByteSize: 8192 bytes/workgroup (compile time only)
; SGPRBlocks: 7
; VGPRBlocks: 9
; NumSGPRsForWavesPerEU: 57
; NumVGPRsForWavesPerEU: 76
; AccumOffset: 76
; Occupancy: 6
; WaveLimiterHint : 1
; COMPUTE_PGM_RSRC2:SCRATCH_EN: 1
; COMPUTE_PGM_RSRC2:USER_SGPR: 8
; COMPUTE_PGM_RSRC2:TRAP_HANDLER: 0
; COMPUTE_PGM_RSRC2:TGID_X_EN: 1
; COMPUTE_PGM_RSRC2:TGID_Y_EN: 1
; COMPUTE_PGM_RSRC2:TGID_Z_EN: 1
; COMPUTE_PGM_RSRC2:TIDIG_COMP_CNT: 0
; COMPUTE_PGM_RSRC3_GFX90A:ACCUM_OFFSET: 18
; COMPUTE_PGM_RSRC3_GFX90A:TG_SPLIT: 0
	.section	.text._Z39paged_attention_ll4mi_QKV_mfma16_kernelIDF16_hLN4vllm18Fp8KVCacheDataTypeE1EDF16_Li16ELi128ELi256ELb0ELi11EL8MFMAType0EEvPKT_PKT0_S8_ifPKiSA_SA_iPKfiiiPfSD_PS3_PT2_iSC_SC_,"axG",@progbits,_Z39paged_attention_ll4mi_QKV_mfma16_kernelIDF16_hLN4vllm18Fp8KVCacheDataTypeE1EDF16_Li16ELi128ELi256ELb0ELi11EL8MFMAType0EEvPKT_PKT0_S8_ifPKiSA_SA_iPKfiiiPfSD_PS3_PT2_iSC_SC_,comdat
	.protected	_Z39paged_attention_ll4mi_QKV_mfma16_kernelIDF16_hLN4vllm18Fp8KVCacheDataTypeE1EDF16_Li16ELi128ELi256ELb0ELi11EL8MFMAType0EEvPKT_PKT0_S8_ifPKiSA_SA_iPKfiiiPfSD_PS3_PT2_iSC_SC_ ; -- Begin function _Z39paged_attention_ll4mi_QKV_mfma16_kernelIDF16_hLN4vllm18Fp8KVCacheDataTypeE1EDF16_Li16ELi128ELi256ELb0ELi11EL8MFMAType0EEvPKT_PKT0_S8_ifPKiSA_SA_iPKfiiiPfSD_PS3_PT2_iSC_SC_
	.globl	_Z39paged_attention_ll4mi_QKV_mfma16_kernelIDF16_hLN4vllm18Fp8KVCacheDataTypeE1EDF16_Li16ELi128ELi256ELb0ELi11EL8MFMAType0EEvPKT_PKT0_S8_ifPKiSA_SA_iPKfiiiPfSD_PS3_PT2_iSC_SC_
	.p2align	8
	.type	_Z39paged_attention_ll4mi_QKV_mfma16_kernelIDF16_hLN4vllm18Fp8KVCacheDataTypeE1EDF16_Li16ELi128ELi256ELb0ELi11EL8MFMAType0EEvPKT_PKT0_S8_ifPKiSA_SA_iPKfiiiPfSD_PS3_PT2_iSC_SC_,@function
_Z39paged_attention_ll4mi_QKV_mfma16_kernelIDF16_hLN4vllm18Fp8KVCacheDataTypeE1EDF16_Li16ELi128ELi256ELb0ELi11EL8MFMAType0EEvPKT_PKT0_S8_ifPKiSA_SA_iPKfiiiPfSD_PS3_PT2_iSC_SC_: ; @_Z39paged_attention_ll4mi_QKV_mfma16_kernelIDF16_hLN4vllm18Fp8KVCacheDataTypeE1EDF16_Li16ELi128ELi256ELb0ELi11EL8MFMAType0EEvPKT_PKT0_S8_ifPKiSA_SA_iPKfiiiPfSD_PS3_PT2_iSC_SC_
; %bb.0:
	s_load_dwordx2 s[6:7], s[4:5], 0x30
	s_add_u32 s0, s0, s11
	s_addc_u32 s1, s1, 0
	s_mov_b32 s24, s9
	s_mov_b64 s[12:13], 0
	s_waitcnt lgkmcnt(0)
	s_cmp_lg_u64 s[6:7], 0
	s_cselect_b64 s[16:17], -1, 0
	s_and_b64 vcc, exec, s[16:17]
	s_cbranch_vccz .LBB632_7
; %bb.1:
	s_add_i32 s14, s8, 1
	s_mov_b32 s15, 0
	s_lshl_b64 s[18:19], s[14:15], 2
	s_add_u32 s18, s6, s18
	s_mov_b32 s9, s15
	s_addc_u32 s19, s7, s19
	s_lshl_b64 s[14:15], s[8:9], 2
	s_add_u32 s14, s6, s14
	s_addc_u32 s15, s7, s15
	s_load_dword s11, s[18:19], 0x0
	s_load_dword s20, s[14:15], 0x0
	s_waitcnt lgkmcnt(0)
	s_sub_i32 s11, s11, s20
	s_cmp_eq_u32 s11, 1
	s_cselect_b64 s[14:15], -1, 0
	s_andn2_b64 vcc, exec, s[12:13]
	s_cbranch_vccnz .LBB632_3
.LBB632_2:
	s_mov_b32 s9, 0
	s_mov_b64 s[14:15], -1
.LBB632_3:
	s_andn2_b64 vcc, exec, s[14:15]
	s_cbranch_vccnz .LBB632_598
; %bb.4:
	s_load_dwordx2 s[12:13], s[4:5], 0x28
	s_lshl_b64 s[18:19], s[8:9], 2
	s_waitcnt lgkmcnt(0)
	s_add_u32 s12, s12, s18
	s_addc_u32 s13, s13, s19
	s_load_dword s33, s[12:13], 0x0
	s_lshl_b32 s20, s24, 8
	s_waitcnt lgkmcnt(0)
	s_cmp_ge_i32 s20, s33
	s_cbranch_scc1 .LBB632_598
; %bb.5:
	s_add_i32 s14, s33, 15
	s_load_dwordx2 s[12:13], s[4:5], 0x20
	s_load_dword s11, s[4:5], 0x38
	s_ashr_i32 s15, s14, 31
	v_and_b32_e32 v1, 0xcf, v0
	s_lshr_b32 s15, s15, 28
	v_add_u32_e32 v1, s20, v1
	s_add_i32 s14, s14, s15
	v_ashrrev_i32_e32 v2, 31, v1
	s_ashr_i32 s22, s14, 4
	v_lshrrev_b32_e32 v6, 28, v2
	s_add_i32 s22, s22, -1
	v_add_u32_e32 v2, v1, v6
	s_waitcnt lgkmcnt(0)
	s_mul_i32 s14, s8, s11
	s_mov_b32 s15, 0
	v_ashrrev_i32_e32 v2, 4, v2
	v_mov_b32_e32 v7, s22
	v_cmp_gt_i32_e32 vcc, s33, v1
	s_lshl_b64 s[14:15], s[14:15], 2
	v_cndmask_b32_e32 v2, v7, v2, vcc
	s_add_u32 s11, s12, s14
	v_ashrrev_i32_e32 v3, 31, v2
	s_addc_u32 s21, s13, s15
	v_lshlrev_b64 v[2:3], 2, v[2:3]
	v_mov_b32_e32 v5, s21
	v_add_co_u32_e32 v4, vcc, s11, v2
	v_or_b32_e32 v2, 16, v1
	v_addc_co_u32_e32 v5, vcc, v5, v3, vcc
	v_add_u32_e32 v3, v2, v6
	v_ashrrev_i32_e32 v3, 4, v3
	v_cmp_gt_i32_e32 vcc, s33, v2
	v_cndmask_b32_e32 v2, v7, v3, vcc
	v_ashrrev_i32_e32 v3, 31, v2
	v_lshlrev_b64 v[2:3], 2, v[2:3]
	v_mov_b32_e32 v9, s21
	v_add_co_u32_e32 v8, vcc, s11, v2
	v_or_b32_e32 v2, 32, v1
	v_addc_co_u32_e32 v9, vcc, v9, v3, vcc
	v_add_u32_e32 v3, v2, v6
	v_ashrrev_i32_e32 v3, 4, v3
	v_cmp_gt_i32_e32 vcc, s33, v2
	v_cndmask_b32_e32 v2, v7, v3, vcc
	v_ashrrev_i32_e32 v3, 31, v2
	v_lshlrev_b64 v[2:3], 2, v[2:3]
	v_mov_b32_e32 v11, s21
	v_add_co_u32_e32 v10, vcc, s11, v2
	v_or_b32_e32 v1, 48, v1
	v_addc_co_u32_e32 v11, vcc, v11, v3, vcc
	v_add_u32_e32 v2, v1, v6
	v_ashrrev_i32_e32 v2, 4, v2
	v_cmp_gt_i32_e32 vcc, s33, v1
	v_cndmask_b32_e32 v2, v7, v2, vcc
	v_ashrrev_i32_e32 v3, 31, v2
	v_lshlrev_b64 v[2:3], 2, v[2:3]
	v_mov_b32_e32 v1, s21
	v_add_co_u32_e32 v12, vcc, s11, v2
	v_addc_co_u32_e32 v13, vcc, v1, v3, vcc
	global_load_dword v3, v[4:5], off
	global_load_dword v2, v[8:9], off
	;; [unrolled: 1-line block ×4, first 2 shown]
	s_load_dwordx4 s[12:15], s[4:5], 0x8
	s_andn2_b64 vcc, exec, s[16:17]
	s_cbranch_vccnz .LBB632_8
; %bb.6:
	s_add_u32 s6, s6, s18
	s_addc_u32 s7, s7, s19
	s_load_dword s16, s[6:7], 0x0
	s_branch .LBB632_9
.LBB632_7:
	s_mov_b64 s[14:15], 0
	s_branch .LBB632_2
.LBB632_8:
	s_mov_b32 s16, s8
.LBB632_9:
	s_load_dwordx2 s[48:49], s[4:5], 0x68
	s_load_dwordx8 s[40:47], s[4:5], 0x48
	v_lshrrev_b32_e32 v62, 6, v0
	v_bfe_u32 v1, v0, 4, 2
	v_and_b32_e32 v55, 15, v0
	v_lshl_or_b32 v4, v62, 2, v1
	v_lshlrev_b32_e32 v5, 3, v55
	s_mul_i32 s25, s10, 11
	v_cmp_gt_u32_e32 vcc, 11, v4
	v_lshlrev_b32_e32 v54, 1, v5
	v_lshlrev_b32_e32 v56, 4, v0
	s_and_saveexec_b64 s[6:7], vcc
	s_cbranch_execz .LBB632_11
; %bb.10:
	s_load_dwordx2 s[18:19], s[4:5], 0x0
	s_waitcnt lgkmcnt(0)
	s_ashr_i32 s17, s40, 31
	s_mul_hi_u32 s23, s16, s40
	s_mul_i32 s17, s16, s17
	s_add_i32 s17, s23, s17
	s_mul_i32 s16, s16, s40
	s_lshl_b64 s[16:17], s[16:17], 1
	v_add_lshl_u32 v8, v4, s25, 7
	s_add_u32 s16, s18, s16
	v_ashrrev_i32_e32 v9, 31, v8
	s_addc_u32 s17, s19, s17
	v_lshlrev_b64 v[8:9], 1, v[8:9]
	v_mov_b32_e32 v5, s17
	v_add_co_u32_e32 v7, vcc, s16, v8
	v_addc_co_u32_e32 v5, vcc, v5, v9, vcc
	v_add_co_u32_e32 v8, vcc, v7, v54
	v_addc_co_u32_e32 v9, vcc, 0, v5, vcc
	global_load_dwordx4 v[8:11], v[8:9], off
	v_lshlrev_b32_e32 v7, 8, v0
	v_lshlrev_b32_e32 v5, 8, v55
	v_and_b32_e32 v7, 0x600, v7
	s_movk_i32 s16, 0x800
	v_and_or_b32 v5, v5, s16, v7
	v_lshlrev_b32_e32 v4, 5, v4
	v_and_b32_e32 v7, 16, v56
	v_or3_b32 v4, v5, v4, v7
	s_waitcnt vmcnt(0)
	ds_write_b128 v4, v[8:11]
.LBB632_11:
	s_or_b64 exec, exec, s[6:7]
	v_and_b32_e32 v7, 48, v0
	v_or_b32_e32 v14, s20, v7
	v_ashrrev_i32_e32 v4, 4, v14
	v_mov_b32_e32 v15, s22
	v_cmp_gt_i32_e32 vcc, s33, v14
	v_cndmask_b32_e32 v4, v15, v4, vcc
	v_ashrrev_i32_e32 v5, 31, v4
	v_lshlrev_b64 v[4:5], 2, v[4:5]
	v_mov_b32_e32 v8, s21
	v_add_co_u32_e32 v4, vcc, s11, v4
	v_addc_co_u32_e32 v5, vcc, v8, v5, vcc
	v_or_b32_e32 v8, 64, v14
	v_ashrrev_i32_e32 v9, 4, v8
	v_cmp_gt_i32_e32 vcc, s33, v8
	v_cndmask_b32_e32 v8, v15, v9, vcc
	v_ashrrev_i32_e32 v9, 31, v8
	v_lshlrev_b64 v[8:9], 2, v[8:9]
	v_mov_b32_e32 v10, s21
	v_add_co_u32_e32 v8, vcc, s11, v8
	v_addc_co_u32_e32 v9, vcc, v10, v9, vcc
	v_or_b32_e32 v10, 0x80, v14
	v_ashrrev_i32_e32 v11, 4, v10
	v_cmp_gt_i32_e32 vcc, s33, v10
	v_cndmask_b32_e32 v10, v15, v11, vcc
	v_ashrrev_i32_e32 v11, 31, v10
	v_lshlrev_b64 v[10:11], 2, v[10:11]
	v_mov_b32_e32 v16, s21
	v_add_co_u32_e32 v10, vcc, s11, v10
	s_load_dwordx2 s[50:51], s[4:5], 0x94
	s_waitcnt lgkmcnt(0)
	s_barrier
	v_addc_co_u32_e32 v11, vcc, v16, v11, vcc
	global_load_dword v50, v[4:5], off
	global_load_dword v57, v[8:9], off
	;; [unrolled: 1-line block ×3, first 2 shown]
	v_or_b32_e32 v4, 0xc0, v14
	v_ashrrev_i32_e32 v5, 4, v4
	v_cmp_gt_i32_e32 vcc, s33, v4
	v_cndmask_b32_e32 v4, v15, v5, vcc
	v_ashrrev_i32_e32 v5, 31, v4
	v_lshlrev_b64 v[4:5], 2, v[4:5]
	v_mov_b32_e32 v8, s21
	v_add_co_u32_e32 v4, vcc, s11, v4
	v_addc_co_u32_e32 v5, vcc, v8, v5, vcc
	s_mul_i32 s10, s10, s42
	global_load_dword v72, v[4:5], off
	s_add_u32 s6, s12, s10
	s_addc_u32 s7, s13, 0
	v_and_b32_e32 v12, 0xf0, v56
	v_mov_b32_e32 v13, s7
	v_add_co_u32_e32 v20, vcc, s6, v12
	v_addc_co_u32_e32 v21, vcc, 0, v13, vcc
	v_lshlrev_b32_e32 v28, 4, v7
	s_waitcnt vmcnt(7)
	v_mad_i64_i32 v[4:5], s[6:7], v3, s41, v[20:21]
	v_add_co_u32_e32 v4, vcc, v4, v28
	v_addc_co_u32_e32 v5, vcc, 0, v5, vcc
	global_load_dwordx4 v[38:41], v[4:5], off
	global_load_dwordx4 v[10:13], v[4:5], off offset:1024
	s_waitcnt vmcnt(8)
	v_mad_i64_i32 v[2:3], s[6:7], v2, s41, v[20:21]
	v_add_co_u32_e32 v8, vcc, v2, v28
	v_addc_co_u32_e32 v9, vcc, 0, v3, vcc
	s_waitcnt vmcnt(7)
	v_mad_i64_i32 v[6:7], s[6:7], v6, s41, v[20:21]
	v_add_co_u32_e32 v26, vcc, v6, v28
	v_addc_co_u32_e32 v27, vcc, 0, v7, vcc
	s_waitcnt vmcnt(6)
	v_mad_i64_i32 v[18:19], s[6:7], v18, s41, v[20:21]
	v_add_co_u32_e32 v30, vcc, v18, v28
	s_add_u32 s10, s14, s10
	v_lshl_or_b32 v63, v62, 4, v55
	global_load_dwordx4 v[14:17], v[8:9], off
	global_load_dwordx4 v[2:5], v[8:9], off offset:1024
	v_addc_co_u32_e32 v31, vcc, 0, v19, vcc
	s_addc_u32 s11, s15, 0
	v_lshlrev_b32_e32 v51, 4, v63
	global_load_dwordx4 v[6:9], v[26:27], off
	global_load_dwordx4 v[22:25], v[26:27], off offset:1024
	s_nop 0
	global_load_dwordx4 v[26:29], v[30:31], off
	global_load_dwordx4 v[18:21], v[30:31], off offset:1024
	v_mov_b32_e32 v30, s11
	v_add_co_u32_e32 v42, vcc, s10, v51
	v_addc_co_u32_e32 v43, vcc, 0, v30, vcc
	v_or_b32_e32 v51, 0x400, v51
	v_mov_b32_e32 v52, s11
	v_add_co_u32_e32 v58, vcc, s10, v51
	v_addc_co_u32_e32 v59, vcc, 0, v52, vcc
	v_cmp_gt_u32_e32 vcc, 11, v55
	s_mov_b32 s12, 0
	s_movk_i32 s13, 0x80
	s_movk_i32 s14, 0x7f
	s_mov_b32 s15, 0xffffff
	s_waitcnt vmcnt(11)
	v_mad_i64_i32 v[30:31], s[6:7], v50, s41, v[42:43]
	s_waitcnt vmcnt(10)
	v_mad_i64_i32 v[32:33], s[6:7], v57, s41, v[42:43]
	;; [unrolled: 2-line block ×3, first 2 shown]
	global_load_dwordx4 v[34:37], v[30:31], off
	s_nop 0
	global_load_dwordx4 v[30:33], v[32:33], off
	v_mad_i64_i32 v[50:51], s[6:7], v50, s41, v[58:59]
	v_mad_i64_i32 v[60:61], s[6:7], v57, s41, v[58:59]
	s_waitcnt vmcnt(10)
	v_mad_i64_i32 v[42:43], s[6:7], v72, s41, v[42:43]
	global_load_dwordx4 v[46:49], v[44:45], off
	s_nop 0
	global_load_dwordx4 v[42:45], v[42:43], off
	s_nop 0
	global_load_dwordx4 v[50:53], v[50:51], off
	s_nop 0
	global_load_dwordx4 v[64:67], v[60:61], off
	s_waitcnt vmcnt(13)
	buffer_store_dword v41, off, s[0:3], 0 offset:12
	buffer_store_dword v40, off, s[0:3], 0 offset:8
	v_mad_i64_i32 v[40:41], s[6:7], v68, s41, v[58:59]
	global_load_dwordx4 v[68:71], v[40:41], off
	v_mad_i64_i32 v[40:41], s[6:7], v72, s41, v[58:59]
	global_load_dwordx4 v[72:75], v[40:41], off
	s_nop 0
	buffer_store_dword v39, off, s[0:3], 0 offset:4
	buffer_store_dword v38, off, s[0:3], 0
	s_waitcnt vmcnt(18)
	buffer_store_dword v13, off, s[0:3], 0 offset:28
	buffer_store_dword v12, off, s[0:3], 0 offset:24
	;; [unrolled: 1-line block ×4, first 2 shown]
	s_waitcnt vmcnt(21)
	buffer_store_dword v17, off, s[0:3], 0 offset:44
	buffer_store_dword v16, off, s[0:3], 0 offset:40
	;; [unrolled: 1-line block ×4, first 2 shown]
	s_load_dword s6, s[4:5], 0x1c
	s_load_dwordx4 s[40:43], s[4:5], 0x80
	s_waitcnt vmcnt(24)
	buffer_store_dword v5, off, s[0:3], 0 offset:60
	buffer_store_dword v4, off, s[0:3], 0 offset:56
	;; [unrolled: 1-line block ×4, first 2 shown]
	v_add_u32_e32 v2, -11, v55
	v_cndmask_b32_e32 v2, v2, v55, vcc
	v_lshlrev_b32_e32 v2, 5, v2
	v_mov_b32_e32 v10, 0x80
	s_waitcnt vmcnt(27)
	buffer_store_dword v9, off, s[0:3], 0 offset:76
	buffer_store_dword v8, off, s[0:3], 0 offset:72
	;; [unrolled: 1-line block ×4, first 2 shown]
	v_lshl_add_u32 v14, v1, 9, v2
	v_add_u32_e32 v39, 16, v10
	v_add_u32_e32 v61, 32, v10
	;; [unrolled: 1-line block ×7, first 2 shown]
	ds_read_b128 v[2:5], v14
	ds_read_b128 v[6:9], v14 offset:16
	ds_read_b128 v[10:13], v14 offset:2048
	;; [unrolled: 1-line block ×3, first 2 shown]
	s_waitcnt vmcnt(30)
	buffer_store_dword v25, off, s[0:3], 0 offset:92
	buffer_store_dword v24, off, s[0:3], 0 offset:88
	buffer_store_dword v23, off, s[0:3], 0 offset:84
	buffer_store_dword v22, off, s[0:3], 0 offset:80
	s_waitcnt vmcnt(33)
	buffer_store_dword v29, off, s[0:3], 0 offset:108
	buffer_store_dword v28, off, s[0:3], 0 offset:104
	buffer_store_dword v27, off, s[0:3], 0 offset:100
	buffer_store_dword v26, off, s[0:3], 0 offset:96
	;; [unrolled: 5-line block ×3, first 2 shown]
	s_waitcnt lgkmcnt(0)
	v_mov_b32_e32 v18, s6
	v_and_b32_e32 v38, 63, v0
	v_mov_b32_e32 v27, 0
	s_waitcnt vmcnt(39)
	buffer_store_dword v37, off, s[0:3], 0 offset:140
	buffer_store_dword v36, off, s[0:3], 0 offset:136
	buffer_store_dword v35, off, s[0:3], 0 offset:132
	buffer_store_dword v34, off, s[0:3], 0 offset:128
	s_waitcnt vmcnt(42)
	buffer_store_dword v33, off, s[0:3], 0 offset:172
	buffer_store_dword v32, off, s[0:3], 0 offset:168
	buffer_store_dword v31, off, s[0:3], 0 offset:164
	buffer_store_dword v30, off, s[0:3], 0 offset:160
	;; [unrolled: 5-line block ×7, first 2 shown]
	s_waitcnt vmcnt(58)
	buffer_store_dword v75, off, s[0:3], 0 offset:252
	s_load_dword s4, s[40:41], 0x0
	v_mov_b32_e32 v29, 0
	v_mov_b32_e32 v31, 0x100
	v_bfrev_b32_e32 v33, 60
	buffer_store_dword v74, off, s[0:3], 0 offset:248
	buffer_store_dword v73, off, s[0:3], 0 offset:244
	;; [unrolled: 1-line block ×3, first 2 shown]
	s_waitcnt lgkmcnt(0)
	v_mul_f32_e32 v22, s4, v18
	v_mov_b32_e32 v24, v22
	v_mov_b32_e32 v25, v22
	s_branch .LBB632_15
.LBB632_12:                             ;   in Loop: Header=BB632_15 Depth=1
	s_or_b64 exec, exec, s[10:11]
.LBB632_13:                             ;   in Loop: Header=BB632_15 Depth=1
	s_or_b64 exec, exec, s[6:7]
.LBB632_14:                             ;   in Loop: Header=BB632_15 Depth=1
	s_or_b64 exec, exec, s[4:5]
	v_cvt_pkrtz_f16_f32 v42, v34, v32
	v_cvt_pkrtz_f16_f32 v43, v23, v36
	;; [unrolled: 1-line block ×4, first 2 shown]
	v_add_u32_e32 v26, s12, v31
	v_mfma_f32_16x16x16f16 v[18:21], v[42:43], v[14:15], v[18:21]
	s_add_i32 s12, s12, 16
	v_mov_b32_e32 v23, v22
	s_cmp_eq_u32 s12, 64
	v_add_u32_e32 v27, 32, v27
	v_mfma_f32_16x16x16f16 v[18:21], v[34:35], v[16:17], v[18:21]
	s_nop 7
	s_nop 2
	v_pk_mul_f32 v[18:19], v[24:25], v[18:19]
	v_pk_mul_f32 v[20:21], v[22:23], v[20:21]
	buffer_store_dword v19, v26, s[0:3], 0 offen offset:4
	buffer_store_dword v18, v26, s[0:3], 0 offen
	buffer_store_dword v21, v26, s[0:3], 0 offen offset:12
	buffer_store_dword v20, v26, s[0:3], 0 offen offset:8
	s_cbranch_scc1 .LBB632_205
.LBB632_15:                             ; =>This Inner Loop Header: Depth=1
	buffer_load_dword v20, v27, s[0:3], 0 offen
	buffer_load_dword v18, v27, s[0:3], 0 offen offset:4
	buffer_load_dword v28, v27, s[0:3], 0 offen offset:8
	;; [unrolled: 1-line block ×3, first 2 shown]
	v_mov_b32_e32 v19, 0
	s_waitcnt vmcnt(3)
	v_cmp_ne_u16_sdwa s[6:7], v20, v29 src0_sel:BYTE_0 src1_sel:DWORD
	s_and_saveexec_b64 s[4:5], s[6:7]
	s_cbranch_execz .LBB632_21
; %bb.16:                               ;   in Loop: Header=BB632_15 Depth=1
	v_cmp_ne_u16_sdwa s[10:11], v20, s13 src0_sel:BYTE_0 src1_sel:DWORD
	v_bfrev_b32_e32 v19, 1
	s_and_saveexec_b64 s[6:7], s[10:11]
	s_cbranch_execz .LBB632_20
; %bb.17:                               ;   in Loop: Header=BB632_15 Depth=1
	v_and_b32_e32 v21, 0x7f, v20
	v_cmp_ne_u32_e32 vcc, s14, v21
	v_mov_b32_e32 v19, 0x7f800001
	s_and_saveexec_b64 s[10:11], vcc
	s_cbranch_execz .LBB632_19
; %bb.18:                               ;   in Loop: Header=BB632_15 Depth=1
	v_and_b32_e32 v19, 7, v20
	v_ffbh_u32_e32 v30, v19
	v_min_u32_e32 v30, 32, v30
	v_subrev_u32_e32 v32, 28, v30
	v_lshlrev_b64 v[34:35], v32, v[20:21]
	v_lshrrev_b32_e32 v23, 3, v21
	v_sub_u32_e32 v30, 29, v30
	v_and_b32_e32 v32, 7, v34
	v_cmp_gt_u32_e32 vcc, 8, v21
	v_cndmask_b32_e32 v21, v23, v30, vcc
	v_cndmask_b32_e32 v19, v19, v32, vcc
	v_lshlrev_b32_e32 v23, 24, v20
	v_lshlrev_b32_e32 v19, 20, v19
	v_and_b32_e32 v23, 0x80000000, v23
	v_lshl_add_u32 v21, v21, 23, v33
	v_or3_b32 v19, v23, v21, v19
.LBB632_19:                             ;   in Loop: Header=BB632_15 Depth=1
	s_or_b64 exec, exec, s[10:11]
.LBB632_20:                             ;   in Loop: Header=BB632_15 Depth=1
	s_or_b64 exec, exec, s[6:7]
.LBB632_21:                             ;   in Loop: Header=BB632_15 Depth=1
	s_or_b64 exec, exec, s[4:5]
	v_lshrrev_b16_e32 v30, 8, v20
	v_cmp_ne_u16_e32 vcc, 0, v30
	v_mov_b32_e32 v21, 0
	v_mov_b32_e32 v23, 0
	s_and_saveexec_b64 s[4:5], vcc
	s_cbranch_execz .LBB632_27
; %bb.22:                               ;   in Loop: Header=BB632_15 Depth=1
	v_cmp_ne_u16_e32 vcc, s13, v30
	v_bfrev_b32_e32 v23, 1
	s_and_saveexec_b64 s[6:7], vcc
	s_cbranch_execz .LBB632_26
; %bb.23:                               ;   in Loop: Header=BB632_15 Depth=1
	v_and_b32_e32 v32, 0x7f, v30
	v_cmp_ne_u32_e32 vcc, s14, v32
	v_mov_b32_e32 v23, 0x7f800001
	s_and_saveexec_b64 s[10:11], vcc
	s_cbranch_execz .LBB632_25
; %bb.24:                               ;   in Loop: Header=BB632_15 Depth=1
	v_and_b32_e32 v23, 7, v30
	v_ffbh_u32_e32 v34, v23
	v_min_u32_e32 v37, 32, v34
	v_subrev_u32_e32 v34, 28, v37
	v_lshlrev_b64 v[34:35], v34, v[30:31]
	v_lshrrev_b32_e32 v36, 3, v32
	v_sub_u32_e32 v30, 29, v37
	v_and_b32_e32 v34, 7, v34
	v_cmp_gt_u32_e32 vcc, 8, v32
	v_cndmask_b32_e32 v30, v36, v30, vcc
	v_cndmask_b32_e32 v23, v23, v34, vcc
	v_lshlrev_b32_e32 v32, 16, v20
	v_lshlrev_b32_e32 v23, 20, v23
	v_and_b32_e32 v32, 0x80000000, v32
	v_lshl_add_u32 v30, v30, 23, v33
	v_or3_b32 v23, v32, v30, v23
.LBB632_25:                             ;   in Loop: Header=BB632_15 Depth=1
	s_or_b64 exec, exec, s[10:11]
.LBB632_26:                             ;   in Loop: Header=BB632_15 Depth=1
	s_or_b64 exec, exec, s[6:7]
.LBB632_27:                             ;   in Loop: Header=BB632_15 Depth=1
	s_or_b64 exec, exec, s[4:5]
	v_lshrrev_b32_e32 v30, 16, v20
	v_cmp_ne_u16_sdwa s[6:7], v30, v29 src0_sel:BYTE_0 src1_sel:DWORD
	s_and_saveexec_b64 s[4:5], s[6:7]
	s_cbranch_execz .LBB632_33
; %bb.28:                               ;   in Loop: Header=BB632_15 Depth=1
	v_cmp_ne_u16_sdwa s[10:11], v30, s13 src0_sel:BYTE_0 src1_sel:DWORD
	v_bfrev_b32_e32 v21, 1
	s_and_saveexec_b64 s[6:7], s[10:11]
	s_cbranch_execz .LBB632_32
; %bb.29:                               ;   in Loop: Header=BB632_15 Depth=1
	v_bfe_u32 v32, v20, 16, 7
	v_cmp_ne_u32_e32 vcc, s14, v32
	v_mov_b32_e32 v21, 0x7f800001
	s_and_saveexec_b64 s[10:11], vcc
	s_cbranch_execz .LBB632_31
; %bb.30:                               ;   in Loop: Header=BB632_15 Depth=1
	v_and_b32_e32 v21, 7, v30
	v_ffbh_u32_e32 v34, v21
	v_min_u32_e32 v37, 32, v34
	v_subrev_u32_e32 v34, 28, v37
	v_lshlrev_b64 v[34:35], v34, v[30:31]
	v_lshrrev_b32_e32 v36, 3, v32
	v_sub_u32_e32 v35, 29, v37
	v_and_b32_e32 v34, 7, v34
	v_cmp_gt_u32_e32 vcc, 8, v32
	v_cndmask_b32_e32 v32, v36, v35, vcc
	v_cndmask_b32_e32 v21, v21, v34, vcc
	v_lshlrev_b32_e32 v30, 24, v30
	v_lshlrev_b32_e32 v21, 20, v21
	v_and_b32_e32 v30, 0x80000000, v30
	v_lshl_add_u32 v32, v32, 23, v33
	v_or3_b32 v21, v30, v32, v21
.LBB632_31:                             ;   in Loop: Header=BB632_15 Depth=1
	s_or_b64 exec, exec, s[10:11]
.LBB632_32:                             ;   in Loop: Header=BB632_15 Depth=1
	s_or_b64 exec, exec, s[6:7]
.LBB632_33:                             ;   in Loop: Header=BB632_15 Depth=1
	s_or_b64 exec, exec, s[4:5]
	v_cmp_lt_u32_e32 vcc, s15, v20
	v_mov_b32_e32 v34, 0
	v_mov_b32_e32 v35, 0
	s_and_saveexec_b64 s[4:5], vcc
	s_cbranch_execz .LBB632_39
; %bb.34:                               ;   in Loop: Header=BB632_15 Depth=1
	v_lshrrev_b32_e32 v30, 24, v20
	v_cmp_ne_u32_e32 vcc, s13, v30
	v_bfrev_b32_e32 v35, 1
	s_and_saveexec_b64 s[6:7], vcc
	s_cbranch_execz .LBB632_38
; %bb.35:                               ;   in Loop: Header=BB632_15 Depth=1
	v_bfe_u32 v20, v20, 24, 7
	v_cmp_ne_u32_e32 vcc, s14, v20
	v_mov_b32_e32 v35, 0x7f800001
	s_and_saveexec_b64 s[10:11], vcc
	s_cbranch_execz .LBB632_37
; %bb.36:                               ;   in Loop: Header=BB632_15 Depth=1
	v_and_b32_e32 v32, 7, v30
	v_ffbh_u32_e32 v36, v32
	v_min_u32_e32 v40, 32, v36
	v_subrev_u32_e32 v36, 28, v40
	v_lshlrev_b64 v[36:37], v36, v[30:31]
	v_lshrrev_b32_e32 v35, 3, v20
	v_sub_u32_e32 v37, 29, v40
	v_and_b32_e32 v36, 7, v36
	v_cmp_gt_u32_e32 vcc, 8, v20
	v_cndmask_b32_e32 v20, v35, v37, vcc
	v_cndmask_b32_e32 v32, v32, v36, vcc
	v_lshlrev_b32_e32 v30, 24, v30
	v_lshlrev_b32_e32 v32, 20, v32
	v_and_b32_e32 v30, 0x80000000, v30
	v_lshl_add_u32 v20, v20, 23, v33
	v_or3_b32 v35, v30, v20, v32
.LBB632_37:                             ;   in Loop: Header=BB632_15 Depth=1
	s_or_b64 exec, exec, s[10:11]
.LBB632_38:                             ;   in Loop: Header=BB632_15 Depth=1
	s_or_b64 exec, exec, s[6:7]
.LBB632_39:                             ;   in Loop: Header=BB632_15 Depth=1
	s_or_b64 exec, exec, s[4:5]
	s_waitcnt vmcnt(2)
	v_cmp_ne_u16_sdwa s[6:7], v18, v29 src0_sel:BYTE_0 src1_sel:DWORD
	s_and_saveexec_b64 s[4:5], s[6:7]
	s_cbranch_execz .LBB632_45
; %bb.40:                               ;   in Loop: Header=BB632_15 Depth=1
	v_cmp_ne_u16_sdwa s[10:11], v18, s13 src0_sel:BYTE_0 src1_sel:DWORD
	v_bfrev_b32_e32 v34, 1
	s_and_saveexec_b64 s[6:7], s[10:11]
	s_cbranch_execz .LBB632_44
; %bb.41:                               ;   in Loop: Header=BB632_15 Depth=1
	v_and_b32_e32 v20, 0x7f, v18
	v_cmp_ne_u32_e32 vcc, s14, v20
	v_mov_b32_e32 v34, 0x7f800001
	s_and_saveexec_b64 s[10:11], vcc
	s_cbranch_execz .LBB632_43
; %bb.42:                               ;   in Loop: Header=BB632_15 Depth=1
	v_and_b32_e32 v30, 7, v18
	v_ffbh_u32_e32 v34, v30
	v_min_u32_e32 v34, 32, v34
	v_subrev_u32_e32 v36, 28, v34
	v_lshlrev_b64 v[36:37], v36, v[18:19]
	v_lshrrev_b32_e32 v32, 3, v20
	v_sub_u32_e32 v34, 29, v34
	v_and_b32_e32 v36, 7, v36
	v_cmp_gt_u32_e32 vcc, 8, v20
	v_cndmask_b32_e32 v20, v32, v34, vcc
	v_cndmask_b32_e32 v30, v30, v36, vcc
	v_lshlrev_b32_e32 v32, 24, v18
	v_lshlrev_b32_e32 v30, 20, v30
	v_and_b32_e32 v32, 0x80000000, v32
	v_lshl_add_u32 v20, v20, 23, v33
	v_or3_b32 v34, v32, v20, v30
.LBB632_43:                             ;   in Loop: Header=BB632_15 Depth=1
	s_or_b64 exec, exec, s[10:11]
.LBB632_44:                             ;   in Loop: Header=BB632_15 Depth=1
	s_or_b64 exec, exec, s[6:7]
.LBB632_45:                             ;   in Loop: Header=BB632_15 Depth=1
	s_or_b64 exec, exec, s[4:5]
	v_lshrrev_b16_e32 v20, 8, v18
	v_cmp_ne_u16_e32 vcc, 0, v20
	v_mov_b32_e32 v30, 0
	v_mov_b32_e32 v36, 0
	s_and_saveexec_b64 s[4:5], vcc
	s_cbranch_execz .LBB632_51
; %bb.46:                               ;   in Loop: Header=BB632_15 Depth=1
	v_cmp_ne_u16_e32 vcc, s13, v20
	v_bfrev_b32_e32 v36, 1
	s_and_saveexec_b64 s[6:7], vcc
	s_cbranch_execz .LBB632_50
; %bb.47:                               ;   in Loop: Header=BB632_15 Depth=1
	v_and_b32_e32 v32, 0x7f, v20
	v_cmp_ne_u32_e32 vcc, s14, v32
	v_mov_b32_e32 v36, 0x7f800001
	s_and_saveexec_b64 s[10:11], vcc
	s_cbranch_execz .LBB632_49
; %bb.48:                               ;   in Loop: Header=BB632_15 Depth=1
	v_and_b32_e32 v40, 7, v20
	v_ffbh_u32_e32 v36, v40
	v_min_u32_e32 v43, 32, v36
	v_subrev_u32_e32 v36, 28, v43
	v_lshlrev_b64 v[36:37], v36, v[20:21]
	v_lshrrev_b32_e32 v42, 3, v32
	v_sub_u32_e32 v20, 29, v43
	v_and_b32_e32 v36, 7, v36
	v_cmp_gt_u32_e32 vcc, 8, v32
	v_cndmask_b32_e32 v20, v42, v20, vcc
	v_cndmask_b32_e32 v32, v40, v36, vcc
	v_lshlrev_b32_e32 v36, 16, v18
	v_lshlrev_b32_e32 v32, 20, v32
	v_and_b32_e32 v36, 0x80000000, v36
	v_lshl_add_u32 v20, v20, 23, v33
	v_or3_b32 v36, v36, v20, v32
.LBB632_49:                             ;   in Loop: Header=BB632_15 Depth=1
	s_or_b64 exec, exec, s[10:11]
.LBB632_50:                             ;   in Loop: Header=BB632_15 Depth=1
	s_or_b64 exec, exec, s[6:7]
.LBB632_51:                             ;   in Loop: Header=BB632_15 Depth=1
	s_or_b64 exec, exec, s[4:5]
	v_lshrrev_b32_e32 v20, 16, v18
	v_cmp_ne_u16_sdwa s[6:7], v20, v29 src0_sel:BYTE_0 src1_sel:DWORD
	s_and_saveexec_b64 s[4:5], s[6:7]
	s_cbranch_execz .LBB632_57
; %bb.52:                               ;   in Loop: Header=BB632_15 Depth=1
	v_cmp_ne_u16_sdwa s[10:11], v20, s13 src0_sel:BYTE_0 src1_sel:DWORD
	v_bfrev_b32_e32 v30, 1
	s_and_saveexec_b64 s[6:7], s[10:11]
	s_cbranch_execz .LBB632_56
; %bb.53:                               ;   in Loop: Header=BB632_15 Depth=1
	v_bfe_u32 v32, v18, 16, 7
	v_cmp_ne_u32_e32 vcc, s14, v32
	v_mov_b32_e32 v30, 0x7f800001
	s_and_saveexec_b64 s[10:11], vcc
	s_cbranch_execz .LBB632_55
; %bb.54:                               ;   in Loop: Header=BB632_15 Depth=1
	v_and_b32_e32 v30, 7, v20
	v_ffbh_u32_e32 v40, v30
	v_min_u32_e32 v40, 32, v40
	v_subrev_u32_e32 v42, 28, v40
	v_lshlrev_b64 v[42:43], v42, v[20:21]
	v_lshrrev_b32_e32 v37, 3, v32
	v_sub_u32_e32 v40, 29, v40
	v_and_b32_e32 v42, 7, v42
	v_cmp_gt_u32_e32 vcc, 8, v32
	v_cndmask_b32_e32 v32, v37, v40, vcc
	v_cndmask_b32_e32 v30, v30, v42, vcc
	v_lshlrev_b32_e32 v20, 24, v20
	v_lshlrev_b32_e32 v30, 20, v30
	v_and_b32_e32 v20, 0x80000000, v20
	v_lshl_add_u32 v32, v32, 23, v33
	v_or3_b32 v30, v20, v32, v30
.LBB632_55:                             ;   in Loop: Header=BB632_15 Depth=1
	s_or_b64 exec, exec, s[10:11]
.LBB632_56:                             ;   in Loop: Header=BB632_15 Depth=1
	s_or_b64 exec, exec, s[6:7]
.LBB632_57:                             ;   in Loop: Header=BB632_15 Depth=1
	s_or_b64 exec, exec, s[4:5]
	v_cmp_lt_u32_e32 vcc, s15, v18
	v_mov_b32_e32 v32, 0
	v_mov_b32_e32 v37, 0
	s_and_saveexec_b64 s[4:5], vcc
	s_cbranch_execz .LBB632_63
; %bb.58:                               ;   in Loop: Header=BB632_15 Depth=1
	v_lshrrev_b32_e32 v20, 24, v18
	v_cmp_ne_u32_e32 vcc, s13, v20
	v_bfrev_b32_e32 v37, 1
	s_and_saveexec_b64 s[6:7], vcc
	s_cbranch_execz .LBB632_62
; %bb.59:                               ;   in Loop: Header=BB632_15 Depth=1
	v_bfe_u32 v18, v18, 24, 7
	v_cmp_ne_u32_e32 vcc, s14, v18
	v_mov_b32_e32 v37, 0x7f800001
	s_and_saveexec_b64 s[10:11], vcc
	s_cbranch_execz .LBB632_61
; %bb.60:                               ;   in Loop: Header=BB632_15 Depth=1
	v_and_b32_e32 v37, 7, v20
	v_ffbh_u32_e32 v42, v37
	v_min_u32_e32 v44, 32, v42
	v_subrev_u32_e32 v42, 28, v44
	v_lshlrev_b64 v[42:43], v42, v[20:21]
	v_lshrrev_b32_e32 v40, 3, v18
	v_sub_u32_e32 v43, 29, v44
	v_and_b32_e32 v42, 7, v42
	v_cmp_gt_u32_e32 vcc, 8, v18
	v_cndmask_b32_e32 v18, v40, v43, vcc
	v_cndmask_b32_e32 v37, v37, v42, vcc
	v_lshlrev_b32_e32 v20, 24, v20
	v_lshlrev_b32_e32 v37, 20, v37
	v_and_b32_e32 v20, 0x80000000, v20
	v_lshl_add_u32 v18, v18, 23, v33
	v_or3_b32 v37, v20, v18, v37
.LBB632_61:                             ;   in Loop: Header=BB632_15 Depth=1
	s_or_b64 exec, exec, s[10:11]
.LBB632_62:                             ;   in Loop: Header=BB632_15 Depth=1
	s_or_b64 exec, exec, s[6:7]
.LBB632_63:                             ;   in Loop: Header=BB632_15 Depth=1
	s_or_b64 exec, exec, s[4:5]
	v_cvt_pkrtz_f16_f32 v18, v19, v23
	v_cvt_pkrtz_f16_f32 v19, v21, v35
	v_cvt_pkrtz_f16_f32 v34, v34, v36
	v_cvt_pkrtz_f16_f32 v35, v30, v37
	s_waitcnt vmcnt(1)
	v_cmp_ne_u16_sdwa s[6:7], v28, v29 src0_sel:BYTE_0 src1_sel:DWORD
	v_mfma_f32_16x16x16f16 v[18:21], v[18:19], v[2:3], 0
	v_mfma_f32_16x16x16f16 v[18:21], v[34:35], v[4:5], v[18:21]
	s_and_saveexec_b64 s[4:5], s[6:7]
	s_cbranch_execz .LBB632_69
; %bb.64:                               ;   in Loop: Header=BB632_15 Depth=1
	v_cmp_ne_u16_sdwa s[10:11], v28, s13 src0_sel:BYTE_0 src1_sel:DWORD
	v_bfrev_b32_e32 v32, 1
	s_and_saveexec_b64 s[6:7], s[10:11]
	s_cbranch_execz .LBB632_68
; %bb.65:                               ;   in Loop: Header=BB632_15 Depth=1
	v_and_b32_e32 v23, 0x7f, v28
	v_cmp_ne_u32_e32 vcc, s14, v23
	v_mov_b32_e32 v32, 0x7f800001
	s_and_saveexec_b64 s[10:11], vcc
	s_cbranch_execz .LBB632_67
; %bb.66:                               ;   in Loop: Header=BB632_15 Depth=1
	v_and_b32_e32 v30, 7, v28
	v_ffbh_u32_e32 v34, v30
	v_min_u32_e32 v36, 32, v34
	v_subrev_u32_e32 v34, 28, v36
	v_lshlrev_b64 v[34:35], v34, v[28:29]
	v_lshrrev_b32_e32 v32, 3, v23
	v_sub_u32_e32 v35, 29, v36
	v_and_b32_e32 v34, 7, v34
	v_cmp_gt_u32_e32 vcc, 8, v23
	v_cndmask_b32_e32 v23, v32, v35, vcc
	v_cndmask_b32_e32 v30, v30, v34, vcc
	v_lshlrev_b32_e32 v32, 24, v28
	v_lshlrev_b32_e32 v30, 20, v30
	v_and_b32_e32 v32, 0x80000000, v32
	v_lshl_add_u32 v23, v23, 23, v33
	v_or3_b32 v32, v32, v23, v30
.LBB632_67:                             ;   in Loop: Header=BB632_15 Depth=1
	s_or_b64 exec, exec, s[10:11]
.LBB632_68:                             ;   in Loop: Header=BB632_15 Depth=1
	s_or_b64 exec, exec, s[6:7]
.LBB632_69:                             ;   in Loop: Header=BB632_15 Depth=1
	s_or_b64 exec, exec, s[4:5]
	v_lshrrev_b16_e32 v30, 8, v28
	v_cmp_ne_u16_e32 vcc, 0, v30
	v_mov_b32_e32 v34, 0
	v_mov_b32_e32 v35, 0
	s_and_saveexec_b64 s[4:5], vcc
	s_cbranch_execz .LBB632_75
; %bb.70:                               ;   in Loop: Header=BB632_15 Depth=1
	v_cmp_ne_u16_e32 vcc, s13, v30
	v_bfrev_b32_e32 v35, 1
	s_and_saveexec_b64 s[6:7], vcc
	s_cbranch_execz .LBB632_74
; %bb.71:                               ;   in Loop: Header=BB632_15 Depth=1
	v_and_b32_e32 v23, 0x7f, v30
	v_cmp_ne_u32_e32 vcc, s14, v23
	v_mov_b32_e32 v35, 0x7f800001
	s_and_saveexec_b64 s[10:11], vcc
	s_cbranch_execz .LBB632_73
; %bb.72:                               ;   in Loop: Header=BB632_15 Depth=1
	v_and_b32_e32 v35, 7, v30
	v_ffbh_u32_e32 v36, v35
	v_min_u32_e32 v42, 32, v36
	v_subrev_u32_e32 v36, 28, v42
	v_lshlrev_b64 v[36:37], v36, v[30:31]
	v_lshrrev_b32_e32 v40, 3, v23
	v_sub_u32_e32 v30, 29, v42
	v_and_b32_e32 v36, 7, v36
	v_cmp_gt_u32_e32 vcc, 8, v23
	v_cndmask_b32_e32 v23, v40, v30, vcc
	v_cndmask_b32_e32 v30, v35, v36, vcc
	v_lshlrev_b32_e32 v35, 16, v28
	v_lshlrev_b32_e32 v30, 20, v30
	v_and_b32_e32 v35, 0x80000000, v35
	v_lshl_add_u32 v23, v23, 23, v33
	v_or3_b32 v35, v35, v23, v30
.LBB632_73:                             ;   in Loop: Header=BB632_15 Depth=1
	s_or_b64 exec, exec, s[10:11]
.LBB632_74:                             ;   in Loop: Header=BB632_15 Depth=1
	s_or_b64 exec, exec, s[6:7]
.LBB632_75:                             ;   in Loop: Header=BB632_15 Depth=1
	s_or_b64 exec, exec, s[4:5]
	v_lshrrev_b32_e32 v30, 16, v28
	v_cmp_ne_u16_sdwa s[6:7], v30, v29 src0_sel:BYTE_0 src1_sel:DWORD
	s_and_saveexec_b64 s[4:5], s[6:7]
	s_cbranch_execz .LBB632_81
; %bb.76:                               ;   in Loop: Header=BB632_15 Depth=1
	v_cmp_ne_u16_sdwa s[10:11], v30, s13 src0_sel:BYTE_0 src1_sel:DWORD
	v_bfrev_b32_e32 v34, 1
	s_and_saveexec_b64 s[6:7], s[10:11]
	s_cbranch_execz .LBB632_80
; %bb.77:                               ;   in Loop: Header=BB632_15 Depth=1
	v_bfe_u32 v23, v28, 16, 7
	v_cmp_ne_u32_e32 vcc, s14, v23
	v_mov_b32_e32 v34, 0x7f800001
	s_and_saveexec_b64 s[10:11], vcc
	s_cbranch_execz .LBB632_79
; %bb.78:                               ;   in Loop: Header=BB632_15 Depth=1
	v_and_b32_e32 v34, 7, v30
	v_ffbh_u32_e32 v36, v34
	v_min_u32_e32 v42, 32, v36
	v_subrev_u32_e32 v36, 28, v42
	v_lshlrev_b64 v[36:37], v36, v[30:31]
	v_lshrrev_b32_e32 v40, 3, v23
	v_sub_u32_e32 v37, 29, v42
	v_and_b32_e32 v36, 7, v36
	v_cmp_gt_u32_e32 vcc, 8, v23
	v_cndmask_b32_e32 v23, v40, v37, vcc
	v_cndmask_b32_e32 v34, v34, v36, vcc
	v_lshlrev_b32_e32 v30, 24, v30
	v_lshlrev_b32_e32 v34, 20, v34
	v_and_b32_e32 v30, 0x80000000, v30
	v_lshl_add_u32 v23, v23, 23, v33
	v_or3_b32 v34, v30, v23, v34
.LBB632_79:                             ;   in Loop: Header=BB632_15 Depth=1
	s_or_b64 exec, exec, s[10:11]
.LBB632_80:                             ;   in Loop: Header=BB632_15 Depth=1
	s_or_b64 exec, exec, s[6:7]
.LBB632_81:                             ;   in Loop: Header=BB632_15 Depth=1
	s_or_b64 exec, exec, s[4:5]
	v_cmp_lt_u32_e32 vcc, s15, v28
	v_mov_b32_e32 v36, 0
	v_mov_b32_e32 v37, 0
	s_and_saveexec_b64 s[4:5], vcc
	s_cbranch_execz .LBB632_87
; %bb.82:                               ;   in Loop: Header=BB632_15 Depth=1
	v_lshrrev_b32_e32 v30, 24, v28
	v_cmp_ne_u32_e32 vcc, s13, v30
	v_bfrev_b32_e32 v37, 1
	s_and_saveexec_b64 s[6:7], vcc
	s_cbranch_execz .LBB632_86
; %bb.83:                               ;   in Loop: Header=BB632_15 Depth=1
	v_bfe_u32 v23, v28, 24, 7
	v_cmp_ne_u32_e32 vcc, s14, v23
	v_mov_b32_e32 v37, 0x7f800001
	s_and_saveexec_b64 s[10:11], vcc
	s_cbranch_execz .LBB632_85
; %bb.84:                               ;   in Loop: Header=BB632_15 Depth=1
	v_and_b32_e32 v28, 7, v30
	v_ffbh_u32_e32 v40, v28
	v_min_u32_e32 v40, 32, v40
	v_subrev_u32_e32 v42, 28, v40
	v_lshlrev_b64 v[42:43], v42, v[30:31]
	v_lshrrev_b32_e32 v37, 3, v23
	v_sub_u32_e32 v40, 29, v40
	v_and_b32_e32 v42, 7, v42
	v_cmp_gt_u32_e32 vcc, 8, v23
	v_cndmask_b32_e32 v23, v37, v40, vcc
	v_cndmask_b32_e32 v28, v28, v42, vcc
	v_lshlrev_b32_e32 v30, 24, v30
	v_lshlrev_b32_e32 v28, 20, v28
	v_and_b32_e32 v30, 0x80000000, v30
	v_lshl_add_u32 v23, v23, 23, v33
	v_or3_b32 v37, v30, v23, v28
.LBB632_85:                             ;   in Loop: Header=BB632_15 Depth=1
	s_or_b64 exec, exec, s[10:11]
.LBB632_86:                             ;   in Loop: Header=BB632_15 Depth=1
	s_or_b64 exec, exec, s[6:7]
.LBB632_87:                             ;   in Loop: Header=BB632_15 Depth=1
	s_or_b64 exec, exec, s[4:5]
	s_waitcnt vmcnt(0)
	v_cmp_ne_u16_sdwa s[6:7], v26, v29 src0_sel:BYTE_0 src1_sel:DWORD
	s_and_saveexec_b64 s[4:5], s[6:7]
	s_cbranch_execz .LBB632_93
; %bb.88:                               ;   in Loop: Header=BB632_15 Depth=1
	v_cmp_ne_u16_sdwa s[10:11], v26, s13 src0_sel:BYTE_0 src1_sel:DWORD
	v_bfrev_b32_e32 v36, 1
	s_and_saveexec_b64 s[6:7], s[10:11]
	s_cbranch_execz .LBB632_92
; %bb.89:                               ;   in Loop: Header=BB632_15 Depth=1
	v_and_b32_e32 v23, 0x7f, v26
	v_cmp_ne_u32_e32 vcc, s14, v23
	v_mov_b32_e32 v36, 0x7f800001
	s_and_saveexec_b64 s[10:11], vcc
	s_cbranch_execz .LBB632_91
; %bb.90:                               ;   in Loop: Header=BB632_15 Depth=1
	v_and_b32_e32 v28, 7, v26
	v_ffbh_u32_e32 v36, v28
	v_min_u32_e32 v36, 32, v36
	v_subrev_u32_e32 v40, 28, v36
	v_lshlrev_b64 v[42:43], v40, v[26:27]
	v_lshrrev_b32_e32 v30, 3, v23
	v_sub_u32_e32 v36, 29, v36
	v_and_b32_e32 v40, 7, v42
	v_cmp_gt_u32_e32 vcc, 8, v23
	v_cndmask_b32_e32 v23, v30, v36, vcc
	v_cndmask_b32_e32 v28, v28, v40, vcc
	v_lshlrev_b32_e32 v30, 24, v26
	v_lshlrev_b32_e32 v28, 20, v28
	v_and_b32_e32 v30, 0x80000000, v30
	v_lshl_add_u32 v23, v23, 23, v33
	v_or3_b32 v36, v30, v23, v28
.LBB632_91:                             ;   in Loop: Header=BB632_15 Depth=1
	s_or_b64 exec, exec, s[10:11]
.LBB632_92:                             ;   in Loop: Header=BB632_15 Depth=1
	s_or_b64 exec, exec, s[6:7]
.LBB632_93:                             ;   in Loop: Header=BB632_15 Depth=1
	s_or_b64 exec, exec, s[4:5]
	v_lshrrev_b16_e32 v28, 8, v26
	v_cmp_ne_u16_e32 vcc, 0, v28
	v_mov_b32_e32 v40, 0
	v_mov_b32_e32 v42, 0
	s_and_saveexec_b64 s[4:5], vcc
	s_cbranch_execz .LBB632_99
; %bb.94:                               ;   in Loop: Header=BB632_15 Depth=1
	v_cmp_ne_u16_e32 vcc, s13, v28
	v_bfrev_b32_e32 v42, 1
	s_and_saveexec_b64 s[6:7], vcc
	s_cbranch_execz .LBB632_98
; %bb.95:                               ;   in Loop: Header=BB632_15 Depth=1
	v_and_b32_e32 v23, 0x7f, v28
	v_cmp_ne_u32_e32 vcc, s14, v23
	v_mov_b32_e32 v42, 0x7f800001
	s_and_saveexec_b64 s[10:11], vcc
	s_cbranch_execz .LBB632_97
; %bb.96:                               ;   in Loop: Header=BB632_15 Depth=1
	v_and_b32_e32 v30, 7, v28
	v_ffbh_u32_e32 v42, v30
	v_min_u32_e32 v45, 32, v42
	v_subrev_u32_e32 v42, 28, v45
	v_lshlrev_b64 v[42:43], v42, v[28:29]
	v_lshrrev_b32_e32 v44, 3, v23
	v_sub_u32_e32 v28, 29, v45
	v_and_b32_e32 v42, 7, v42
	v_cmp_gt_u32_e32 vcc, 8, v23
	v_cndmask_b32_e32 v23, v44, v28, vcc
	v_cndmask_b32_e32 v28, v30, v42, vcc
	v_lshlrev_b32_e32 v30, 16, v26
	v_lshlrev_b32_e32 v28, 20, v28
	v_and_b32_e32 v30, 0x80000000, v30
	v_lshl_add_u32 v23, v23, 23, v33
	v_or3_b32 v42, v30, v23, v28
.LBB632_97:                             ;   in Loop: Header=BB632_15 Depth=1
	s_or_b64 exec, exec, s[10:11]
.LBB632_98:                             ;   in Loop: Header=BB632_15 Depth=1
	s_or_b64 exec, exec, s[6:7]
.LBB632_99:                             ;   in Loop: Header=BB632_15 Depth=1
	s_or_b64 exec, exec, s[4:5]
	v_lshrrev_b32_e32 v28, 16, v26
	v_cmp_ne_u16_sdwa s[6:7], v28, v29 src0_sel:BYTE_0 src1_sel:DWORD
	s_and_saveexec_b64 s[4:5], s[6:7]
	s_cbranch_execz .LBB632_105
; %bb.100:                              ;   in Loop: Header=BB632_15 Depth=1
	v_cmp_ne_u16_sdwa s[10:11], v28, s13 src0_sel:BYTE_0 src1_sel:DWORD
	v_bfrev_b32_e32 v40, 1
	s_and_saveexec_b64 s[6:7], s[10:11]
	s_cbranch_execz .LBB632_104
; %bb.101:                              ;   in Loop: Header=BB632_15 Depth=1
	v_bfe_u32 v23, v26, 16, 7
	v_cmp_ne_u32_e32 vcc, s14, v23
	v_mov_b32_e32 v40, 0x7f800001
	s_and_saveexec_b64 s[10:11], vcc
	s_cbranch_execz .LBB632_103
; %bb.102:                              ;   in Loop: Header=BB632_15 Depth=1
	v_and_b32_e32 v30, 7, v28
	v_ffbh_u32_e32 v43, v30
	v_min_u32_e32 v43, 32, v43
	v_subrev_u32_e32 v44, 28, v43
	v_lshlrev_b64 v[44:45], v44, v[28:29]
	v_lshrrev_b32_e32 v40, 3, v23
	v_sub_u32_e32 v43, 29, v43
	v_and_b32_e32 v44, 7, v44
	v_cmp_gt_u32_e32 vcc, 8, v23
	v_cndmask_b32_e32 v23, v40, v43, vcc
	v_cndmask_b32_e32 v30, v30, v44, vcc
	v_lshlrev_b32_e32 v28, 24, v28
	v_lshlrev_b32_e32 v30, 20, v30
	v_and_b32_e32 v28, 0x80000000, v28
	v_lshl_add_u32 v23, v23, 23, v33
	v_or3_b32 v40, v28, v23, v30
.LBB632_103:                            ;   in Loop: Header=BB632_15 Depth=1
	s_or_b64 exec, exec, s[10:11]
.LBB632_104:                            ;   in Loop: Header=BB632_15 Depth=1
	s_or_b64 exec, exec, s[6:7]
.LBB632_105:                            ;   in Loop: Header=BB632_15 Depth=1
	s_or_b64 exec, exec, s[4:5]
	v_cmp_lt_u32_e32 vcc, s15, v26
	v_mov_b32_e32 v23, 0
	v_mov_b32_e32 v43, 0
	s_and_saveexec_b64 s[4:5], vcc
	s_cbranch_execz .LBB632_111
; %bb.106:                              ;   in Loop: Header=BB632_15 Depth=1
	v_lshrrev_b32_e32 v28, 24, v26
	v_cmp_ne_u32_e32 vcc, s13, v28
	v_bfrev_b32_e32 v43, 1
	s_and_saveexec_b64 s[6:7], vcc
	s_cbranch_execz .LBB632_110
; %bb.107:                              ;   in Loop: Header=BB632_15 Depth=1
	v_bfe_u32 v26, v26, 24, 7
	v_cmp_ne_u32_e32 vcc, s14, v26
	v_mov_b32_e32 v43, 0x7f800001
	s_and_saveexec_b64 s[10:11], vcc
	s_cbranch_execz .LBB632_109
; %bb.108:                              ;   in Loop: Header=BB632_15 Depth=1
	v_and_b32_e32 v30, 7, v28
	v_ffbh_u32_e32 v44, v30
	v_min_u32_e32 v46, 32, v44
	v_subrev_u32_e32 v44, 28, v46
	v_lshlrev_b64 v[44:45], v44, v[28:29]
	v_lshrrev_b32_e32 v43, 3, v26
	v_sub_u32_e32 v45, 29, v46
	v_and_b32_e32 v44, 7, v44
	v_cmp_gt_u32_e32 vcc, 8, v26
	v_cndmask_b32_e32 v26, v43, v45, vcc
	v_cndmask_b32_e32 v30, v30, v44, vcc
	v_lshlrev_b32_e32 v28, 24, v28
	v_lshlrev_b32_e32 v30, 20, v30
	v_and_b32_e32 v28, 0x80000000, v28
	v_lshl_add_u32 v26, v26, 23, v33
	v_or3_b32 v43, v28, v26, v30
.LBB632_109:                            ;   in Loop: Header=BB632_15 Depth=1
	s_or_b64 exec, exec, s[10:11]
.LBB632_110:                            ;   in Loop: Header=BB632_15 Depth=1
	s_or_b64 exec, exec, s[6:7]
.LBB632_111:                            ;   in Loop: Header=BB632_15 Depth=1
	s_or_b64 exec, exec, s[4:5]
	v_cvt_pkrtz_f16_f32 v44, v32, v35
	buffer_load_dword v32, v27, s[0:3], 0 offen offset:16
	buffer_load_dword v30, v27, s[0:3], 0 offen offset:20
	;; [unrolled: 1-line block ×4, first 2 shown]
	v_cvt_pkrtz_f16_f32 v45, v34, v37
	v_cvt_pkrtz_f16_f32 v34, v36, v42
	;; [unrolled: 1-line block ×3, first 2 shown]
	v_mfma_f32_16x16x16f16 v[18:21], v[44:45], v[6:7], v[18:21]
	s_waitcnt vmcnt(3)
	v_cmp_ne_u16_sdwa s[6:7], v32, v29 src0_sel:BYTE_0 src1_sel:DWORD
	v_mfma_f32_16x16x16f16 v[18:21], v[34:35], v[8:9], v[18:21]
	s_and_saveexec_b64 s[4:5], s[6:7]
	s_cbranch_execz .LBB632_117
; %bb.112:                              ;   in Loop: Header=BB632_15 Depth=1
	v_cmp_ne_u16_sdwa s[10:11], v32, s13 src0_sel:BYTE_0 src1_sel:DWORD
	v_bfrev_b32_e32 v23, 1
	s_and_saveexec_b64 s[6:7], s[10:11]
	s_cbranch_execz .LBB632_116
; %bb.113:                              ;   in Loop: Header=BB632_15 Depth=1
	v_and_b32_e32 v34, 0x7f, v32
	v_cmp_ne_u32_e32 vcc, s14, v34
	v_mov_b32_e32 v23, 0x7f800001
	s_and_saveexec_b64 s[10:11], vcc
	s_cbranch_execz .LBB632_115
; %bb.114:                              ;   in Loop: Header=BB632_15 Depth=1
	v_and_b32_e32 v23, 7, v32
	v_ffbh_u32_e32 v36, v23
	v_min_u32_e32 v40, 32, v36
	v_subrev_u32_e32 v36, 28, v40
	v_lshlrev_b64 v[36:37], v36, v[32:33]
	v_lshrrev_b32_e32 v35, 3, v34
	v_sub_u32_e32 v37, 29, v40
	v_and_b32_e32 v36, 7, v36
	v_cmp_gt_u32_e32 vcc, 8, v34
	v_cndmask_b32_e32 v34, v35, v37, vcc
	v_cndmask_b32_e32 v23, v23, v36, vcc
	v_lshlrev_b32_e32 v35, 24, v32
	v_lshlrev_b32_e32 v23, 20, v23
	v_and_b32_e32 v35, 0x80000000, v35
	v_lshl_add_u32 v34, v34, 23, v33
	v_or3_b32 v23, v35, v34, v23
.LBB632_115:                            ;   in Loop: Header=BB632_15 Depth=1
	s_or_b64 exec, exec, s[10:11]
.LBB632_116:                            ;   in Loop: Header=BB632_15 Depth=1
	s_or_b64 exec, exec, s[6:7]
.LBB632_117:                            ;   in Loop: Header=BB632_15 Depth=1
	s_or_b64 exec, exec, s[4:5]
	v_lshrrev_b16_e32 v34, 8, v32
	v_cmp_ne_u16_e32 vcc, 0, v34
	v_mov_b32_e32 v35, 0
	v_mov_b32_e32 v36, 0
	s_and_saveexec_b64 s[4:5], vcc
	s_cbranch_execz .LBB632_123
; %bb.118:                              ;   in Loop: Header=BB632_15 Depth=1
	v_cmp_ne_u16_e32 vcc, s13, v34
	v_bfrev_b32_e32 v36, 1
	s_and_saveexec_b64 s[6:7], vcc
	s_cbranch_execz .LBB632_122
; %bb.119:                              ;   in Loop: Header=BB632_15 Depth=1
	v_and_b32_e32 v37, 0x7f, v34
	v_cmp_ne_u32_e32 vcc, s14, v37
	v_mov_b32_e32 v36, 0x7f800001
	s_and_saveexec_b64 s[10:11], vcc
	s_cbranch_execz .LBB632_121
; %bb.120:                              ;   in Loop: Header=BB632_15 Depth=1
	v_and_b32_e32 v36, 7, v34
	v_ffbh_u32_e32 v42, v36
	v_min_u32_e32 v44, 32, v42
	v_subrev_u32_e32 v42, 28, v44
	v_lshlrev_b64 v[42:43], v42, v[34:35]
	v_lshrrev_b32_e32 v40, 3, v37
	v_sub_u32_e32 v34, 29, v44
	v_and_b32_e32 v42, 7, v42
	v_cmp_gt_u32_e32 vcc, 8, v37
	v_cndmask_b32_e32 v34, v40, v34, vcc
	v_cndmask_b32_e32 v36, v36, v42, vcc
	v_lshlrev_b32_e32 v37, 16, v32
	v_lshlrev_b32_e32 v36, 20, v36
	v_and_b32_e32 v37, 0x80000000, v37
	v_lshl_add_u32 v34, v34, 23, v33
	v_or3_b32 v36, v37, v34, v36
.LBB632_121:                            ;   in Loop: Header=BB632_15 Depth=1
	s_or_b64 exec, exec, s[10:11]
.LBB632_122:                            ;   in Loop: Header=BB632_15 Depth=1
	s_or_b64 exec, exec, s[6:7]
.LBB632_123:                            ;   in Loop: Header=BB632_15 Depth=1
	s_or_b64 exec, exec, s[4:5]
	v_lshrrev_b32_e32 v34, 16, v32
	v_cmp_ne_u16_sdwa s[6:7], v34, v29 src0_sel:BYTE_0 src1_sel:DWORD
	s_and_saveexec_b64 s[4:5], s[6:7]
	s_cbranch_execz .LBB632_129
; %bb.124:                              ;   in Loop: Header=BB632_15 Depth=1
	v_cmp_ne_u16_sdwa s[10:11], v34, s13 src0_sel:BYTE_0 src1_sel:DWORD
	v_bfrev_b32_e32 v35, 1
	s_and_saveexec_b64 s[6:7], s[10:11]
	s_cbranch_execz .LBB632_128
; %bb.125:                              ;   in Loop: Header=BB632_15 Depth=1
	v_bfe_u32 v37, v32, 16, 7
	v_cmp_ne_u32_e32 vcc, s14, v37
	v_mov_b32_e32 v35, 0x7f800001
	s_and_saveexec_b64 s[10:11], vcc
	s_cbranch_execz .LBB632_127
; %bb.126:                              ;   in Loop: Header=BB632_15 Depth=1
	v_and_b32_e32 v35, 7, v34
	v_ffbh_u32_e32 v42, v35
	v_min_u32_e32 v44, 32, v42
	v_subrev_u32_e32 v42, 28, v44
	v_lshlrev_b64 v[42:43], v42, v[34:35]
	v_lshrrev_b32_e32 v40, 3, v37
	v_sub_u32_e32 v43, 29, v44
	v_and_b32_e32 v42, 7, v42
	v_cmp_gt_u32_e32 vcc, 8, v37
	v_cndmask_b32_e32 v37, v40, v43, vcc
	v_cndmask_b32_e32 v35, v35, v42, vcc
	v_lshlrev_b32_e32 v34, 24, v34
	v_lshlrev_b32_e32 v35, 20, v35
	v_and_b32_e32 v34, 0x80000000, v34
	v_lshl_add_u32 v37, v37, 23, v33
	v_or3_b32 v35, v34, v37, v35
.LBB632_127:                            ;   in Loop: Header=BB632_15 Depth=1
	s_or_b64 exec, exec, s[10:11]
.LBB632_128:                            ;   in Loop: Header=BB632_15 Depth=1
	s_or_b64 exec, exec, s[6:7]
.LBB632_129:                            ;   in Loop: Header=BB632_15 Depth=1
	s_or_b64 exec, exec, s[4:5]
	v_cmp_lt_u32_e32 vcc, s15, v32
	v_mov_b32_e32 v37, 0
	v_mov_b32_e32 v40, 0
	s_and_saveexec_b64 s[4:5], vcc
	s_cbranch_execz .LBB632_135
; %bb.130:                              ;   in Loop: Header=BB632_15 Depth=1
	v_lshrrev_b32_e32 v34, 24, v32
	v_cmp_ne_u32_e32 vcc, s13, v34
	v_bfrev_b32_e32 v40, 1
	s_and_saveexec_b64 s[6:7], vcc
	s_cbranch_execz .LBB632_134
; %bb.131:                              ;   in Loop: Header=BB632_15 Depth=1
	v_bfe_u32 v32, v32, 24, 7
	v_cmp_ne_u32_e32 vcc, s14, v32
	v_mov_b32_e32 v40, 0x7f800001
	s_and_saveexec_b64 s[10:11], vcc
	s_cbranch_execz .LBB632_133
; %bb.132:                              ;   in Loop: Header=BB632_15 Depth=1
	v_and_b32_e32 v40, 7, v34
	v_ffbh_u32_e32 v42, v40
	v_min_u32_e32 v45, 32, v42
	v_subrev_u32_e32 v42, 28, v45
	v_lshlrev_b64 v[42:43], v42, v[34:35]
	v_lshrrev_b32_e32 v44, 3, v32
	v_sub_u32_e32 v43, 29, v45
	v_and_b32_e32 v42, 7, v42
	v_cmp_gt_u32_e32 vcc, 8, v32
	v_cndmask_b32_e32 v32, v44, v43, vcc
	v_cndmask_b32_e32 v40, v40, v42, vcc
	v_lshlrev_b32_e32 v34, 24, v34
	v_lshlrev_b32_e32 v40, 20, v40
	v_and_b32_e32 v34, 0x80000000, v34
	v_lshl_add_u32 v32, v32, 23, v33
	v_or3_b32 v40, v34, v32, v40
.LBB632_133:                            ;   in Loop: Header=BB632_15 Depth=1
	s_or_b64 exec, exec, s[10:11]
.LBB632_134:                            ;   in Loop: Header=BB632_15 Depth=1
	s_or_b64 exec, exec, s[6:7]
.LBB632_135:                            ;   in Loop: Header=BB632_15 Depth=1
	s_or_b64 exec, exec, s[4:5]
	s_waitcnt vmcnt(2)
	v_cmp_ne_u16_sdwa s[6:7], v30, v29 src0_sel:BYTE_0 src1_sel:DWORD
	s_and_saveexec_b64 s[4:5], s[6:7]
	s_cbranch_execz .LBB632_141
; %bb.136:                              ;   in Loop: Header=BB632_15 Depth=1
	v_cmp_ne_u16_sdwa s[10:11], v30, s13 src0_sel:BYTE_0 src1_sel:DWORD
	v_bfrev_b32_e32 v37, 1
	s_and_saveexec_b64 s[6:7], s[10:11]
	s_cbranch_execz .LBB632_140
; %bb.137:                              ;   in Loop: Header=BB632_15 Depth=1
	v_and_b32_e32 v32, 0x7f, v30
	v_cmp_ne_u32_e32 vcc, s14, v32
	v_mov_b32_e32 v37, 0x7f800001
	s_and_saveexec_b64 s[10:11], vcc
	s_cbranch_execz .LBB632_139
; %bb.138:                              ;   in Loop: Header=BB632_15 Depth=1
	v_and_b32_e32 v34, 7, v30
	v_ffbh_u32_e32 v42, v34
	v_min_u32_e32 v44, 32, v42
	v_subrev_u32_e32 v42, 28, v44
	v_lshlrev_b64 v[42:43], v42, v[30:31]
	v_lshrrev_b32_e32 v37, 3, v32
	v_sub_u32_e32 v43, 29, v44
	v_and_b32_e32 v42, 7, v42
	v_cmp_gt_u32_e32 vcc, 8, v32
	v_cndmask_b32_e32 v32, v37, v43, vcc
	v_cndmask_b32_e32 v34, v34, v42, vcc
	v_lshlrev_b32_e32 v37, 24, v30
	v_lshlrev_b32_e32 v34, 20, v34
	v_and_b32_e32 v37, 0x80000000, v37
	v_lshl_add_u32 v32, v32, 23, v33
	v_or3_b32 v37, v37, v32, v34
.LBB632_139:                            ;   in Loop: Header=BB632_15 Depth=1
	s_or_b64 exec, exec, s[10:11]
.LBB632_140:                            ;   in Loop: Header=BB632_15 Depth=1
	s_or_b64 exec, exec, s[6:7]
.LBB632_141:                            ;   in Loop: Header=BB632_15 Depth=1
	s_or_b64 exec, exec, s[4:5]
	v_lshrrev_b16_e32 v32, 8, v30
	v_cmp_ne_u16_e32 vcc, 0, v32
	v_mov_b32_e32 v42, 0
	v_mov_b32_e32 v43, 0
	s_and_saveexec_b64 s[4:5], vcc
	s_cbranch_execz .LBB632_147
; %bb.142:                              ;   in Loop: Header=BB632_15 Depth=1
	v_cmp_ne_u16_e32 vcc, s13, v32
	v_bfrev_b32_e32 v43, 1
	s_and_saveexec_b64 s[6:7], vcc
	s_cbranch_execz .LBB632_146
; %bb.143:                              ;   in Loop: Header=BB632_15 Depth=1
	v_and_b32_e32 v34, 0x7f, v32
	v_cmp_ne_u32_e32 vcc, s14, v34
	v_mov_b32_e32 v43, 0x7f800001
	s_and_saveexec_b64 s[10:11], vcc
	s_cbranch_execz .LBB632_145
; %bb.144:                              ;   in Loop: Header=BB632_15 Depth=1
	v_and_b32_e32 v43, 7, v32
	v_ffbh_u32_e32 v44, v43
	v_min_u32_e32 v47, 32, v44
	v_subrev_u32_e32 v44, 28, v47
	v_lshlrev_b64 v[44:45], v44, v[32:33]
	v_lshrrev_b32_e32 v46, 3, v34
	v_sub_u32_e32 v32, 29, v47
	v_and_b32_e32 v44, 7, v44
	v_cmp_gt_u32_e32 vcc, 8, v34
	v_cndmask_b32_e32 v32, v46, v32, vcc
	v_cndmask_b32_e32 v34, v43, v44, vcc
	v_lshlrev_b32_e32 v43, 16, v30
	v_lshlrev_b32_e32 v34, 20, v34
	v_and_b32_e32 v43, 0x80000000, v43
	v_lshl_add_u32 v32, v32, 23, v33
	v_or3_b32 v43, v43, v32, v34
.LBB632_145:                            ;   in Loop: Header=BB632_15 Depth=1
	s_or_b64 exec, exec, s[10:11]
.LBB632_146:                            ;   in Loop: Header=BB632_15 Depth=1
	s_or_b64 exec, exec, s[6:7]
.LBB632_147:                            ;   in Loop: Header=BB632_15 Depth=1
	s_or_b64 exec, exec, s[4:5]
	v_lshrrev_b32_e32 v32, 16, v30
	v_cmp_ne_u16_sdwa s[6:7], v32, v29 src0_sel:BYTE_0 src1_sel:DWORD
	s_and_saveexec_b64 s[4:5], s[6:7]
	s_cbranch_execz .LBB632_153
; %bb.148:                              ;   in Loop: Header=BB632_15 Depth=1
	v_cmp_ne_u16_sdwa s[10:11], v32, s13 src0_sel:BYTE_0 src1_sel:DWORD
	v_bfrev_b32_e32 v42, 1
	s_and_saveexec_b64 s[6:7], s[10:11]
	s_cbranch_execz .LBB632_152
; %bb.149:                              ;   in Loop: Header=BB632_15 Depth=1
	v_bfe_u32 v34, v30, 16, 7
	v_cmp_ne_u32_e32 vcc, s14, v34
	v_mov_b32_e32 v42, 0x7f800001
	s_and_saveexec_b64 s[10:11], vcc
	s_cbranch_execz .LBB632_151
; %bb.150:                              ;   in Loop: Header=BB632_15 Depth=1
	v_and_b32_e32 v42, 7, v32
	v_ffbh_u32_e32 v44, v42
	v_min_u32_e32 v47, 32, v44
	v_subrev_u32_e32 v44, 28, v47
	v_lshlrev_b64 v[44:45], v44, v[32:33]
	v_lshrrev_b32_e32 v46, 3, v34
	v_sub_u32_e32 v45, 29, v47
	v_and_b32_e32 v44, 7, v44
	v_cmp_gt_u32_e32 vcc, 8, v34
	v_cndmask_b32_e32 v34, v46, v45, vcc
	v_cndmask_b32_e32 v42, v42, v44, vcc
	v_lshlrev_b32_e32 v32, 24, v32
	v_lshlrev_b32_e32 v42, 20, v42
	v_and_b32_e32 v32, 0x80000000, v32
	v_lshl_add_u32 v34, v34, 23, v33
	v_or3_b32 v42, v32, v34, v42
.LBB632_151:                            ;   in Loop: Header=BB632_15 Depth=1
	s_or_b64 exec, exec, s[10:11]
.LBB632_152:                            ;   in Loop: Header=BB632_15 Depth=1
	s_or_b64 exec, exec, s[6:7]
.LBB632_153:                            ;   in Loop: Header=BB632_15 Depth=1
	s_or_b64 exec, exec, s[4:5]
	v_cmp_lt_u32_e32 vcc, s15, v30
	v_mov_b32_e32 v34, 0
	v_mov_b32_e32 v44, 0
	s_and_saveexec_b64 s[4:5], vcc
	s_cbranch_execz .LBB632_159
; %bb.154:                              ;   in Loop: Header=BB632_15 Depth=1
	v_lshrrev_b32_e32 v32, 24, v30
	v_cmp_ne_u32_e32 vcc, s13, v32
	v_bfrev_b32_e32 v44, 1
	s_and_saveexec_b64 s[6:7], vcc
	s_cbranch_execz .LBB632_158
; %bb.155:                              ;   in Loop: Header=BB632_15 Depth=1
	v_bfe_u32 v30, v30, 24, 7
	v_cmp_ne_u32_e32 vcc, s14, v30
	v_mov_b32_e32 v44, 0x7f800001
	s_and_saveexec_b64 s[10:11], vcc
	s_cbranch_execz .LBB632_157
; %bb.156:                              ;   in Loop: Header=BB632_15 Depth=1
	v_and_b32_e32 v46, 7, v32
	v_ffbh_u32_e32 v44, v46
	v_min_u32_e32 v48, 32, v44
	v_subrev_u32_e32 v44, 28, v48
	v_lshlrev_b64 v[44:45], v44, v[32:33]
	v_lshrrev_b32_e32 v47, 3, v30
	v_sub_u32_e32 v45, 29, v48
	v_and_b32_e32 v44, 7, v44
	v_cmp_gt_u32_e32 vcc, 8, v30
	v_cndmask_b32_e32 v30, v47, v45, vcc
	v_cndmask_b32_e32 v44, v46, v44, vcc
	v_lshlrev_b32_e32 v32, 24, v32
	v_lshlrev_b32_e32 v44, 20, v44
	v_and_b32_e32 v32, 0x80000000, v32
	v_lshl_add_u32 v30, v30, 23, v33
	v_or3_b32 v44, v32, v30, v44
.LBB632_157:                            ;   in Loop: Header=BB632_15 Depth=1
	s_or_b64 exec, exec, s[10:11]
.LBB632_158:                            ;   in Loop: Header=BB632_15 Depth=1
	s_or_b64 exec, exec, s[6:7]
.LBB632_159:                            ;   in Loop: Header=BB632_15 Depth=1
	s_or_b64 exec, exec, s[4:5]
	v_cvt_pkrtz_f16_f32 v46, v23, v36
	v_cvt_pkrtz_f16_f32 v47, v35, v40
	;; [unrolled: 1-line block ×4, first 2 shown]
	s_waitcnt vmcnt(1)
	v_cmp_ne_u16_sdwa s[6:7], v28, v29 src0_sel:BYTE_0 src1_sel:DWORD
	v_mfma_f32_16x16x16f16 v[18:21], v[46:47], v[10:11], v[18:21]
	v_mfma_f32_16x16x16f16 v[18:21], v[36:37], v[12:13], v[18:21]
	s_and_saveexec_b64 s[4:5], s[6:7]
	s_cbranch_execz .LBB632_165
; %bb.160:                              ;   in Loop: Header=BB632_15 Depth=1
	v_cmp_ne_u16_sdwa s[10:11], v28, s13 src0_sel:BYTE_0 src1_sel:DWORD
	v_bfrev_b32_e32 v34, 1
	s_and_saveexec_b64 s[6:7], s[10:11]
	s_cbranch_execz .LBB632_164
; %bb.161:                              ;   in Loop: Header=BB632_15 Depth=1
	v_and_b32_e32 v23, 0x7f, v28
	v_cmp_ne_u32_e32 vcc, s14, v23
	v_mov_b32_e32 v34, 0x7f800001
	s_and_saveexec_b64 s[10:11], vcc
	s_cbranch_execz .LBB632_163
; %bb.162:                              ;   in Loop: Header=BB632_15 Depth=1
	v_and_b32_e32 v30, 7, v28
	v_ffbh_u32_e32 v34, v30
	v_min_u32_e32 v36, 32, v34
	v_subrev_u32_e32 v34, 28, v36
	v_lshlrev_b64 v[34:35], v34, v[28:29]
	v_lshrrev_b32_e32 v32, 3, v23
	v_sub_u32_e32 v35, 29, v36
	v_and_b32_e32 v34, 7, v34
	v_cmp_gt_u32_e32 vcc, 8, v23
	v_cndmask_b32_e32 v23, v32, v35, vcc
	v_cndmask_b32_e32 v30, v30, v34, vcc
	v_lshlrev_b32_e32 v32, 24, v28
	v_lshlrev_b32_e32 v30, 20, v30
	v_and_b32_e32 v32, 0x80000000, v32
	v_lshl_add_u32 v23, v23, 23, v33
	v_or3_b32 v34, v32, v23, v30
.LBB632_163:                            ;   in Loop: Header=BB632_15 Depth=1
	s_or_b64 exec, exec, s[10:11]
.LBB632_164:                            ;   in Loop: Header=BB632_15 Depth=1
	s_or_b64 exec, exec, s[6:7]
.LBB632_165:                            ;   in Loop: Header=BB632_15 Depth=1
	s_or_b64 exec, exec, s[4:5]
	v_lshrrev_b16_e32 v30, 8, v28
	v_cmp_ne_u16_e32 vcc, 0, v30
	v_mov_b32_e32 v23, 0
	v_mov_b32_e32 v32, 0
	s_and_saveexec_b64 s[4:5], vcc
	s_cbranch_execz .LBB632_171
; %bb.166:                              ;   in Loop: Header=BB632_15 Depth=1
	v_cmp_ne_u16_e32 vcc, s13, v30
	v_bfrev_b32_e32 v32, 1
	s_and_saveexec_b64 s[6:7], vcc
	s_cbranch_execz .LBB632_170
; %bb.167:                              ;   in Loop: Header=BB632_15 Depth=1
	v_and_b32_e32 v35, 0x7f, v30
	v_cmp_ne_u32_e32 vcc, s14, v35
	v_mov_b32_e32 v32, 0x7f800001
	s_and_saveexec_b64 s[10:11], vcc
	s_cbranch_execz .LBB632_169
; %bb.168:                              ;   in Loop: Header=BB632_15 Depth=1
	v_and_b32_e32 v32, 7, v30
	v_ffbh_u32_e32 v36, v32
	v_min_u32_e32 v42, 32, v36
	v_subrev_u32_e32 v36, 28, v42
	v_lshlrev_b64 v[36:37], v36, v[30:31]
	v_lshrrev_b32_e32 v40, 3, v35
	v_sub_u32_e32 v30, 29, v42
	v_and_b32_e32 v36, 7, v36
	v_cmp_gt_u32_e32 vcc, 8, v35
	v_cndmask_b32_e32 v30, v40, v30, vcc
	v_cndmask_b32_e32 v32, v32, v36, vcc
	v_lshlrev_b32_e32 v35, 16, v28
	v_lshlrev_b32_e32 v32, 20, v32
	v_and_b32_e32 v35, 0x80000000, v35
	v_lshl_add_u32 v30, v30, 23, v33
	v_or3_b32 v32, v35, v30, v32
.LBB632_169:                            ;   in Loop: Header=BB632_15 Depth=1
	s_or_b64 exec, exec, s[10:11]
.LBB632_170:                            ;   in Loop: Header=BB632_15 Depth=1
	s_or_b64 exec, exec, s[6:7]
.LBB632_171:                            ;   in Loop: Header=BB632_15 Depth=1
	s_or_b64 exec, exec, s[4:5]
	v_lshrrev_b32_e32 v30, 16, v28
	v_cmp_ne_u16_sdwa s[6:7], v30, v29 src0_sel:BYTE_0 src1_sel:DWORD
	s_and_saveexec_b64 s[4:5], s[6:7]
	s_cbranch_execz .LBB632_177
; %bb.172:                              ;   in Loop: Header=BB632_15 Depth=1
	v_cmp_ne_u16_sdwa s[10:11], v30, s13 src0_sel:BYTE_0 src1_sel:DWORD
	v_bfrev_b32_e32 v23, 1
	s_and_saveexec_b64 s[6:7], s[10:11]
	s_cbranch_execz .LBB632_176
; %bb.173:                              ;   in Loop: Header=BB632_15 Depth=1
	v_bfe_u32 v35, v28, 16, 7
	v_cmp_ne_u32_e32 vcc, s14, v35
	v_mov_b32_e32 v23, 0x7f800001
	s_and_saveexec_b64 s[10:11], vcc
	s_cbranch_execz .LBB632_175
; %bb.174:                              ;   in Loop: Header=BB632_15 Depth=1
	v_and_b32_e32 v23, 7, v30
	v_ffbh_u32_e32 v36, v23
	v_min_u32_e32 v42, 32, v36
	v_subrev_u32_e32 v36, 28, v42
	v_lshlrev_b64 v[36:37], v36, v[30:31]
	v_lshrrev_b32_e32 v40, 3, v35
	v_sub_u32_e32 v37, 29, v42
	v_and_b32_e32 v36, 7, v36
	v_cmp_gt_u32_e32 vcc, 8, v35
	v_cndmask_b32_e32 v35, v40, v37, vcc
	v_cndmask_b32_e32 v23, v23, v36, vcc
	v_lshlrev_b32_e32 v30, 24, v30
	v_lshlrev_b32_e32 v23, 20, v23
	v_and_b32_e32 v30, 0x80000000, v30
	v_lshl_add_u32 v35, v35, 23, v33
	v_or3_b32 v23, v30, v35, v23
.LBB632_175:                            ;   in Loop: Header=BB632_15 Depth=1
	s_or_b64 exec, exec, s[10:11]
.LBB632_176:                            ;   in Loop: Header=BB632_15 Depth=1
	s_or_b64 exec, exec, s[6:7]
.LBB632_177:                            ;   in Loop: Header=BB632_15 Depth=1
	s_or_b64 exec, exec, s[4:5]
	v_cmp_lt_u32_e32 vcc, s15, v28
	v_mov_b32_e32 v35, 0
	v_mov_b32_e32 v36, 0
	s_and_saveexec_b64 s[4:5], vcc
	s_cbranch_execz .LBB632_183
; %bb.178:                              ;   in Loop: Header=BB632_15 Depth=1
	v_lshrrev_b32_e32 v30, 24, v28
	v_cmp_ne_u32_e32 vcc, s13, v30
	v_bfrev_b32_e32 v36, 1
	s_and_saveexec_b64 s[6:7], vcc
	s_cbranch_execz .LBB632_182
; %bb.179:                              ;   in Loop: Header=BB632_15 Depth=1
	v_bfe_u32 v28, v28, 24, 7
	v_cmp_ne_u32_e32 vcc, s14, v28
	v_mov_b32_e32 v36, 0x7f800001
	s_and_saveexec_b64 s[10:11], vcc
	s_cbranch_execz .LBB632_181
; %bb.180:                              ;   in Loop: Header=BB632_15 Depth=1
	v_and_b32_e32 v40, 7, v30
	v_ffbh_u32_e32 v36, v40
	v_min_u32_e32 v43, 32, v36
	v_subrev_u32_e32 v36, 28, v43
	v_lshlrev_b64 v[36:37], v36, v[30:31]
	v_lshrrev_b32_e32 v42, 3, v28
	v_sub_u32_e32 v37, 29, v43
	v_and_b32_e32 v36, 7, v36
	v_cmp_gt_u32_e32 vcc, 8, v28
	v_cndmask_b32_e32 v28, v42, v37, vcc
	v_cndmask_b32_e32 v36, v40, v36, vcc
	v_lshlrev_b32_e32 v30, 24, v30
	v_lshlrev_b32_e32 v36, 20, v36
	v_and_b32_e32 v30, 0x80000000, v30
	v_lshl_add_u32 v28, v28, 23, v33
	v_or3_b32 v36, v30, v28, v36
.LBB632_181:                            ;   in Loop: Header=BB632_15 Depth=1
	s_or_b64 exec, exec, s[10:11]
.LBB632_182:                            ;   in Loop: Header=BB632_15 Depth=1
	s_or_b64 exec, exec, s[6:7]
.LBB632_183:                            ;   in Loop: Header=BB632_15 Depth=1
	s_or_b64 exec, exec, s[4:5]
	s_waitcnt vmcnt(0)
	v_cmp_ne_u16_sdwa s[6:7], v26, v29 src0_sel:BYTE_0 src1_sel:DWORD
	s_and_saveexec_b64 s[4:5], s[6:7]
	s_cbranch_execz .LBB632_189
; %bb.184:                              ;   in Loop: Header=BB632_15 Depth=1
	v_cmp_ne_u16_sdwa s[10:11], v26, s13 src0_sel:BYTE_0 src1_sel:DWORD
	v_bfrev_b32_e32 v35, 1
	s_and_saveexec_b64 s[6:7], s[10:11]
	s_cbranch_execz .LBB632_188
; %bb.185:                              ;   in Loop: Header=BB632_15 Depth=1
	v_and_b32_e32 v28, 0x7f, v26
	v_cmp_ne_u32_e32 vcc, s14, v28
	v_mov_b32_e32 v35, 0x7f800001
	s_and_saveexec_b64 s[10:11], vcc
	s_cbranch_execz .LBB632_187
; %bb.186:                              ;   in Loop: Header=BB632_15 Depth=1
	v_and_b32_e32 v30, 7, v26
	v_ffbh_u32_e32 v37, v30
	v_min_u32_e32 v37, 32, v37
	v_subrev_u32_e32 v40, 28, v37
	v_lshlrev_b64 v[42:43], v40, v[26:27]
	v_lshrrev_b32_e32 v35, 3, v28
	v_sub_u32_e32 v37, 29, v37
	v_and_b32_e32 v40, 7, v42
	v_cmp_gt_u32_e32 vcc, 8, v28
	v_cndmask_b32_e32 v28, v35, v37, vcc
	v_cndmask_b32_e32 v30, v30, v40, vcc
	v_lshlrev_b32_e32 v35, 24, v26
	v_lshlrev_b32_e32 v30, 20, v30
	v_and_b32_e32 v35, 0x80000000, v35
	v_lshl_add_u32 v28, v28, 23, v33
	v_or3_b32 v35, v35, v28, v30
.LBB632_187:                            ;   in Loop: Header=BB632_15 Depth=1
	s_or_b64 exec, exec, s[10:11]
.LBB632_188:                            ;   in Loop: Header=BB632_15 Depth=1
	s_or_b64 exec, exec, s[6:7]
.LBB632_189:                            ;   in Loop: Header=BB632_15 Depth=1
	s_or_b64 exec, exec, s[4:5]
	v_lshrrev_b16_e32 v28, 8, v26
	v_cmp_ne_u16_e32 vcc, 0, v28
	v_mov_b32_e32 v30, 0
	v_mov_b32_e32 v37, 0
	s_and_saveexec_b64 s[4:5], vcc
	s_cbranch_execz .LBB632_195
; %bb.190:                              ;   in Loop: Header=BB632_15 Depth=1
	v_cmp_ne_u16_e32 vcc, s13, v28
	v_bfrev_b32_e32 v37, 1
	s_and_saveexec_b64 s[6:7], vcc
	s_cbranch_execz .LBB632_194
; %bb.191:                              ;   in Loop: Header=BB632_15 Depth=1
	v_and_b32_e32 v40, 0x7f, v28
	v_cmp_ne_u32_e32 vcc, s14, v40
	v_mov_b32_e32 v37, 0x7f800001
	s_and_saveexec_b64 s[10:11], vcc
	s_cbranch_execz .LBB632_193
; %bb.192:                              ;   in Loop: Header=BB632_15 Depth=1
	v_and_b32_e32 v37, 7, v28
	v_ffbh_u32_e32 v42, v37
	v_min_u32_e32 v45, 32, v42
	v_subrev_u32_e32 v42, 28, v45
	v_lshlrev_b64 v[42:43], v42, v[28:29]
	v_lshrrev_b32_e32 v44, 3, v40
	v_sub_u32_e32 v28, 29, v45
	v_and_b32_e32 v42, 7, v42
	v_cmp_gt_u32_e32 vcc, 8, v40
	v_cndmask_b32_e32 v28, v44, v28, vcc
	v_cndmask_b32_e32 v37, v37, v42, vcc
	v_lshlrev_b32_e32 v40, 16, v26
	v_lshlrev_b32_e32 v37, 20, v37
	v_and_b32_e32 v40, 0x80000000, v40
	v_lshl_add_u32 v28, v28, 23, v33
	v_or3_b32 v37, v40, v28, v37
.LBB632_193:                            ;   in Loop: Header=BB632_15 Depth=1
	s_or_b64 exec, exec, s[10:11]
.LBB632_194:                            ;   in Loop: Header=BB632_15 Depth=1
	s_or_b64 exec, exec, s[6:7]
.LBB632_195:                            ;   in Loop: Header=BB632_15 Depth=1
	s_or_b64 exec, exec, s[4:5]
	v_lshrrev_b32_e32 v28, 16, v26
	v_cmp_ne_u16_sdwa s[6:7], v28, v29 src0_sel:BYTE_0 src1_sel:DWORD
	s_and_saveexec_b64 s[4:5], s[6:7]
	s_cbranch_execz .LBB632_201
; %bb.196:                              ;   in Loop: Header=BB632_15 Depth=1
	v_cmp_ne_u16_sdwa s[10:11], v28, s13 src0_sel:BYTE_0 src1_sel:DWORD
	v_bfrev_b32_e32 v30, 1
	s_and_saveexec_b64 s[6:7], s[10:11]
	s_cbranch_execz .LBB632_200
; %bb.197:                              ;   in Loop: Header=BB632_15 Depth=1
	v_bfe_u32 v40, v26, 16, 7
	v_cmp_ne_u32_e32 vcc, s14, v40
	v_mov_b32_e32 v30, 0x7f800001
	s_and_saveexec_b64 s[10:11], vcc
	s_cbranch_execz .LBB632_199
; %bb.198:                              ;   in Loop: Header=BB632_15 Depth=1
	v_and_b32_e32 v30, 7, v28
	v_ffbh_u32_e32 v42, v30
	v_min_u32_e32 v45, 32, v42
	v_subrev_u32_e32 v42, 28, v45
	v_lshlrev_b64 v[42:43], v42, v[28:29]
	v_lshrrev_b32_e32 v44, 3, v40
	v_sub_u32_e32 v43, 29, v45
	v_and_b32_e32 v42, 7, v42
	v_cmp_gt_u32_e32 vcc, 8, v40
	v_cndmask_b32_e32 v40, v44, v43, vcc
	v_cndmask_b32_e32 v30, v30, v42, vcc
	v_lshlrev_b32_e32 v28, 24, v28
	v_lshlrev_b32_e32 v30, 20, v30
	v_and_b32_e32 v28, 0x80000000, v28
	v_lshl_add_u32 v40, v40, 23, v33
	v_or3_b32 v30, v28, v40, v30
.LBB632_199:                            ;   in Loop: Header=BB632_15 Depth=1
	s_or_b64 exec, exec, s[10:11]
.LBB632_200:                            ;   in Loop: Header=BB632_15 Depth=1
	s_or_b64 exec, exec, s[6:7]
.LBB632_201:                            ;   in Loop: Header=BB632_15 Depth=1
	s_or_b64 exec, exec, s[4:5]
	v_cmp_lt_u32_e32 vcc, s15, v26
	v_mov_b32_e32 v40, 0
	s_and_saveexec_b64 s[4:5], vcc
	s_cbranch_execz .LBB632_14
; %bb.202:                              ;   in Loop: Header=BB632_15 Depth=1
	v_lshrrev_b32_e32 v28, 24, v26
	v_cmp_ne_u32_e32 vcc, s13, v28
	v_bfrev_b32_e32 v40, 1
	s_and_saveexec_b64 s[6:7], vcc
	s_cbranch_execz .LBB632_13
; %bb.203:                              ;   in Loop: Header=BB632_15 Depth=1
	v_bfe_u32 v26, v26, 24, 7
	v_cmp_ne_u32_e32 vcc, s14, v26
	v_mov_b32_e32 v40, 0x7f800001
	s_and_saveexec_b64 s[10:11], vcc
	s_cbranch_execz .LBB632_12
; %bb.204:                              ;   in Loop: Header=BB632_15 Depth=1
	v_and_b32_e32 v40, 7, v28
	v_ffbh_u32_e32 v42, v40
	v_min_u32_e32 v45, 32, v42
	v_subrev_u32_e32 v42, 28, v45
	v_lshlrev_b64 v[42:43], v42, v[28:29]
	v_lshrrev_b32_e32 v44, 3, v26
	v_sub_u32_e32 v43, 29, v45
	v_and_b32_e32 v42, 7, v42
	v_cmp_gt_u32_e32 vcc, 8, v26
	v_cndmask_b32_e32 v26, v44, v43, vcc
	v_cndmask_b32_e32 v40, v40, v42, vcc
	v_lshlrev_b32_e32 v28, 24, v28
	v_lshlrev_b32_e32 v40, 20, v40
	v_and_b32_e32 v28, 0x80000000, v28
	v_lshl_add_u32 v26, v26, 23, v33
	v_or3_b32 v40, v28, v26, v40
	s_branch .LBB632_12
.LBB632_205:
	buffer_load_dword v13, off, s[0:3], 0 offset:256
	buffer_load_dword v14, off, s[0:3], 0 offset:260
	;; [unrolled: 1-line block ×16, first 2 shown]
	v_and_b32_e32 v12, 0xc0, v0
	v_add_u32_e32 v12, s20, v12
	v_lshl_or_b32 v12, v1, 2, v12
	v_or_b32_e32 v23, 1, v12
	v_mov_b32_e32 v19, 0xff7fffff
	v_or_b32_e32 v24, 2, v12
	v_or_b32_e32 v25, 3, v12
	v_cmp_gt_i32_e64 s[26:27], s33, v12
	v_cmp_gt_i32_e64 s[28:29], s33, v23
	s_mov_b32 s52, 0xff7fffff
	v_or_b32_e32 v26, 16, v12
	v_or_b32_e32 v27, 17, v12
	;; [unrolled: 1-line block ×12, first 2 shown]
	v_cmp_gt_i32_e64 s[30:31], s33, v24
	v_cmp_gt_i32_e64 s[34:35], s33, v25
	v_mbcnt_lo_u32_b32 v20, -1, 0
	v_cmp_gt_i32_e64 s[36:37], s33, v26
	v_cmp_gt_i32_e64 s[38:39], s33, v27
	v_mbcnt_hi_u32_b32 v20, -1, v20
	v_cmp_gt_i32_e64 s[20:21], s33, v28
	v_cmp_gt_i32_e64 s[22:23], s33, v29
	v_and_b32_e32 v21, 64, v20
	v_cmp_gt_i32_e64 s[16:17], s33, v30
	v_cmp_gt_i32_e64 s[18:19], s33, v31
	v_xor_b32_e32 v22, 32, v20
	v_add_u32_e32 v21, 64, v21
	v_cmp_gt_i32_e64 s[12:13], s33, v32
	v_cmp_gt_i32_e64 s[14:15], s33, v33
	v_cmp_lt_i32_e32 vcc, v22, v21
	v_cmp_gt_i32_e64 s[6:7], s33, v34
	v_cmp_gt_i32_e64 s[10:11], s33, v35
	v_cndmask_b32_e32 v22, v20, v22, vcc
	v_cmp_gt_i32_e32 vcc, s33, v36
	v_cmp_gt_i32_e64 s[4:5], s33, v37
	v_lshlrev_b32_e32 v22, 2, v22
	s_waitcnt vmcnt(15)
	v_cndmask_b32_e64 v12, v19, v13, s[26:27]
	s_waitcnt vmcnt(14)
	v_cndmask_b32_e64 v23, v19, v14, s[28:29]
	;; [unrolled: 2-line block ×4, first 2 shown]
	v_max3_f32 v12, v12, s52, v23
	s_waitcnt vmcnt(11)
	v_cndmask_b32_e64 v26, v19, v17, s[36:37]
	s_waitcnt vmcnt(10)
	v_cndmask_b32_e64 v27, v19, v18, s[38:39]
	v_max3_f32 v12, v12, v24, v25
	s_waitcnt vmcnt(9)
	v_cndmask_b32_e64 v28, v19, v11, s[20:21]
	s_waitcnt vmcnt(8)
	v_cndmask_b32_e64 v29, v19, v10, s[22:23]
	;; [unrolled: 5-line block ×5, first 2 shown]
	v_max3_f32 v12, v12, v32, v33
	s_waitcnt vmcnt(1)
	v_cndmask_b32_e32 v36, v19, v3, vcc
	s_waitcnt vmcnt(0)
	v_cndmask_b32_e64 v19, v19, v2, s[4:5]
	v_max3_f32 v12, v12, v34, v35
	v_max3_f32 v12, v12, v36, v19
	ds_bpermute_b32 v19, v22, v12
	v_xor_b32_e32 v23, 16, v20
	v_cmp_lt_i32_e64 s[40:41], v23, v21
	v_cndmask_b32_e64 v20, v20, v23, s[40:41]
	v_lshlrev_b32_e32 v20, 2, v20
	s_waitcnt lgkmcnt(0)
	v_max_f32_e32 v19, v19, v19
	v_max_f32_e32 v12, v12, v19
	ds_bpermute_b32 v19, v20, v12
	s_waitcnt lgkmcnt(0)
	v_max_f32_e32 v19, v19, v19
	v_max_f32_e32 v12, v12, v19
	v_sub_f32_e32 v13, v13, v12
	v_sub_f32_e32 v14, v14, v12
	;; [unrolled: 1-line block ×3, first 2 shown]
	v_mul_f32_e32 v13, 0x3fb8aa3b, v13
	v_mul_f32_e32 v14, 0x3fb8aa3b, v14
	;; [unrolled: 1-line block ×3, first 2 shown]
	v_exp_f32_e32 v13, v13
	v_exp_f32_e32 v14, v14
	;; [unrolled: 1-line block ×3, first 2 shown]
	v_sub_f32_e32 v16, v16, v12
	v_cndmask_b32_e64 v13, 0, v13, s[26:27]
	v_mul_f32_e32 v16, 0x3fb8aa3b, v16
	v_cndmask_b32_e64 v14, 0, v14, s[28:29]
	v_cndmask_b32_e64 v15, 0, v15, s[30:31]
	v_add_f32_e32 v19, 0, v13
	buffer_store_dword v13, off, s[0:3], 0 offset:256
	buffer_store_dword v14, off, s[0:3], 0 offset:260
	;; [unrolled: 1-line block ×3, first 2 shown]
	v_sub_f32_e32 v13, v17, v12
	v_exp_f32_e32 v16, v16
	v_add_f32_e32 v19, v19, v14
	v_mul_f32_e32 v13, 0x3fb8aa3b, v13
	v_sub_f32_e32 v14, v18, v12
	v_exp_f32_e32 v13, v13
	v_mul_f32_e32 v14, 0x3fb8aa3b, v14
	v_sub_f32_e32 v11, v11, v12
	v_exp_f32_e32 v14, v14
	;; [unrolled: 3-line block ×3, first 2 shown]
	v_mul_f32_e32 v10, 0x3fb8aa3b, v10
	v_sub_f32_e32 v9, v9, v12
	v_cndmask_b32_e64 v16, 0, v16, s[34:35]
	v_add_f32_e32 v19, v19, v15
	v_exp_f32_e32 v10, v10
	v_mul_f32_e32 v9, 0x3fb8aa3b, v9
	v_sub_f32_e32 v8, v8, v12
	v_add_f32_e32 v19, v19, v16
	v_cndmask_b32_e64 v13, 0, v13, s[36:37]
	v_exp_f32_e32 v9, v9
	v_mul_f32_e32 v8, 0x3fb8aa3b, v8
	v_sub_f32_e32 v7, v7, v12
	v_add_f32_e32 v15, v19, v13
	v_cndmask_b32_e64 v14, 0, v14, s[38:39]
	v_exp_f32_e32 v8, v8
	v_mul_f32_e32 v7, 0x3fb8aa3b, v7
	v_sub_f32_e32 v6, v6, v12
	v_add_f32_e32 v15, v15, v14
	v_cndmask_b32_e64 v11, 0, v11, s[20:21]
	v_exp_f32_e32 v7, v7
	v_mul_f32_e32 v6, 0x3fb8aa3b, v6
	v_sub_f32_e32 v5, v5, v12
	v_add_f32_e32 v15, v15, v11
	v_cndmask_b32_e64 v10, 0, v10, s[22:23]
	v_exp_f32_e32 v6, v6
	v_mul_f32_e32 v5, 0x3fb8aa3b, v5
	v_sub_f32_e32 v4, v4, v12
	v_add_f32_e32 v15, v15, v10
	v_cndmask_b32_e64 v9, 0, v9, s[16:17]
	v_exp_f32_e32 v5, v5
	v_mul_f32_e32 v4, 0x3fb8aa3b, v4
	v_sub_f32_e32 v3, v3, v12
	buffer_store_dword v16, off, s[0:3], 0 offset:268
	buffer_store_dword v13, off, s[0:3], 0 offset:272
	;; [unrolled: 1-line block ×5, first 2 shown]
	v_add_f32_e32 v10, v15, v9
	v_cndmask_b32_e64 v8, 0, v8, s[18:19]
	v_exp_f32_e32 v4, v4
	v_mul_f32_e32 v3, 0x3fb8aa3b, v3
	v_sub_f32_e32 v2, v2, v12
	v_add_f32_e32 v10, v10, v8
	v_cndmask_b32_e64 v7, 0, v7, s[12:13]
	v_exp_f32_e32 v3, v3
	v_mul_f32_e32 v2, 0x3fb8aa3b, v2
	v_add_f32_e32 v10, v10, v7
	v_cndmask_b32_e64 v6, 0, v6, s[14:15]
	v_exp_f32_e32 v2, v2
	v_add_f32_e32 v10, v10, v6
	v_cndmask_b32_e64 v5, 0, v5, s[6:7]
	buffer_store_dword v9, off, s[0:3], 0 offset:288
	buffer_store_dword v8, off, s[0:3], 0 offset:292
	;; [unrolled: 1-line block ×4, first 2 shown]
	v_add_f32_e32 v6, v10, v5
	v_cndmask_b32_e64 v4, 0, v4, s[10:11]
	v_add_f32_e32 v6, v6, v4
	v_cndmask_b32_e32 v3, 0, v3, vcc
	v_add_f32_e32 v6, v6, v3
	v_cndmask_b32_e64 v2, 0, v2, s[4:5]
	v_add_f32_e32 v6, v6, v2
	ds_bpermute_b32 v7, v22, v6
	buffer_store_dword v5, off, s[0:3], 0 offset:304
	buffer_store_dword v4, off, s[0:3], 0 offset:308
	;; [unrolled: 1-line block ×4, first 2 shown]
	v_cmp_gt_u32_e32 vcc, 16, v38
	s_waitcnt lgkmcnt(0)
	s_barrier
	v_add_f32_e32 v2, v6, v7
	ds_bpermute_b32 v3, v20, v2
	s_waitcnt lgkmcnt(0)
	s_and_saveexec_b64 s[4:5], vcc
	s_cbranch_execz .LBB632_207
; %bb.206:
	v_add_f32_e32 v2, v2, v3
	v_lshlrev_b32_e32 v3, 2, v63
	ds_write2st64_b32 v3, v12, v2 offset1:1
.LBB632_207:
	s_or_b64 exec, exec, s[4:5]
	v_lshlrev_b32_e32 v2, 2, v55
	s_waitcnt lgkmcnt(0)
	s_barrier
	ds_read2_b32 v[12:13], v2 offset1:16
	ds_read2_b32 v[14:15], v2 offset0:32 offset1:48
	ds_read2_b32 v[6:7], v2 offset0:64 offset1:80
	;; [unrolled: 1-line block ×3, first 2 shown]
	s_waitcnt lgkmcnt(0)
	s_barrier
	buffer_load_dword v20, off, s[0:3], 0 offset:256
	buffer_load_dword v21, off, s[0:3], 0 offset:260
	;; [unrolled: 1-line block ×16, first 2 shown]
	v_lshlrev_b32_e32 v19, 3, v1
	v_lshlrev_b32_e32 v18, 5, v55
	;; [unrolled: 1-line block ×3, first 2 shown]
	v_or3_b32 v43, v28, v18, v19
	v_max3_f32 v19, v12, s52, v13
	v_max3_f32 v19, v19, v14, v15
	v_sub_f32_e32 v12, v12, v19
	v_sub_f32_e32 v13, v13, v19
	v_mul_f32_e32 v12, 0x3fb8aa3b, v12
	v_sub_f32_e32 v14, v14, v19
	v_mul_f32_e32 v13, 0x3fb8aa3b, v13
	v_exp_f32_e32 v12, v12
	v_sub_f32_e32 v15, v15, v19
	v_mul_f32_e32 v14, 0x3fb8aa3b, v14
	v_exp_f32_e32 v13, v13
	v_mul_f32_e32 v15, 0x3fb8aa3b, v15
	v_exp_f32_e32 v14, v14
	v_exp_f32_e32 v15, v15
	v_fma_f32 v6, v12, v6, 0
	v_fmac_f32_e32 v6, v13, v7
	v_fmac_f32_e32 v6, v14, v10
	;; [unrolled: 1-line block ×3, first 2 shown]
	v_cmp_eq_u32_e32 vcc, 1, v62
	v_add_f32_e32 v10, 0x358637bd, v6
	v_cndmask_b32_e32 v12, v12, v13, vcc
	v_cmp_eq_u32_e32 vcc, 2, v62
	v_div_scale_f32 v11, s[4:5], v10, v10, 1.0
	v_cndmask_b32_e32 v7, v12, v14, vcc
	v_rcp_f32_e32 v12, v11
	v_cmp_eq_u32_e32 vcc, 3, v62
	v_cndmask_b32_e32 v7, v7, v15, vcc
	v_div_scale_f32 v13, vcc, 1.0, v10, 1.0
	v_fma_f32 v14, -v11, v12, 1.0
	v_fmac_f32_e32 v12, v14, v12
	v_mul_f32_e32 v14, v13, v12
	v_fma_f32 v15, -v11, v14, v13
	v_fmac_f32_e32 v14, v15, v12
	v_fma_f32 v11, -v11, v14, v13
	v_div_fmas_f32 v11, v11, v12, v14
	v_div_fixup_f32 v10, v11, v10, 1.0
	v_mul_f32_e32 v10, v7, v10
	s_mul_i32 s18, s51, 11
	v_cmp_gt_u32_e32 vcc, 11, v0
	s_waitcnt vmcnt(14)
	v_pk_mul_f32 v[14:15], v[10:11], v[20:21] op_sel_hi:[0,1]
	v_cvt_f16_f32_e32 v7, v14
	s_waitcnt vmcnt(12)
	v_pk_mul_f32 v[12:13], v[10:11], v[22:23] op_sel_hi:[0,1]
	buffer_store_dword v14, off, s[0:3], 0 offset:256
	buffer_store_dword v15, off, s[0:3], 0 offset:260
	;; [unrolled: 1-line block ×3, first 2 shown]
	s_waitcnt vmcnt(13)
	v_pk_mul_f32 v[20:21], v[10:11], v[24:25] op_sel_hi:[0,1]
	v_cvt_f16_f32_e32 v14, v12
	s_waitcnt vmcnt(11)
	v_pk_mul_f32 v[22:23], v[10:11], v[26:27] op_sel_hi:[0,1]
	v_cvt_f16_f32_e32 v11, v15
	v_cvt_f16_f32_e32 v15, v13
	buffer_store_dword v13, off, s[0:3], 0 offset:268
	buffer_store_dword v22, off, s[0:3], 0 offset:272
	;; [unrolled: 1-line block ×3, first 2 shown]
	v_pack_b32_f16 v12, v7, v11
	v_cvt_f16_f32_e32 v11, v23
	v_pack_b32_f16 v13, v14, v15
	v_cvt_f16_f32_e32 v7, v22
	v_cvt_f16_f32_e32 v15, v20
	;; [unrolled: 1-line block ×3, first 2 shown]
	s_waitcnt vmcnt(12)
	v_pk_mul_f32 v[4:5], v[10:11], v[4:5] op_sel_hi:[0,1]
	v_pack_b32_f16 v14, v7, v11
	s_waitcnt vmcnt(10)
	v_pk_mul_f32 v[2:3], v[10:11], v[2:3] op_sel_hi:[0,1]
	v_pack_b32_f16 v15, v15, v22
	v_cvt_f16_f32_e32 v11, v5
	buffer_store_dword v20, off, s[0:3], 0 offset:280
	buffer_store_dword v21, off, s[0:3], 0 offset:284
	ds_write2st64_b64 v43, v[12:13], v[14:15] offset1:1
	buffer_store_dword v2, off, s[0:3], 0 offset:288
	buffer_store_dword v3, off, s[0:3], 0 offset:292
	v_cvt_f16_f32_e32 v2, v2
	v_cvt_f16_f32_e32 v3, v3
	;; [unrolled: 1-line block ×3, first 2 shown]
	buffer_store_dword v4, off, s[0:3], 0 offset:296
	buffer_store_dword v5, off, s[0:3], 0 offset:300
	s_waitcnt vmcnt(12)
	v_pk_mul_f32 v[4:5], v[10:11], v[16:17] op_sel_hi:[0,1]
	v_pk_mul_f32 v[8:9], v[10:11], v[8:9] op_sel_hi:[0,1]
	v_pack_b32_f16 v2, v2, v3
	v_pack_b32_f16 v3, v7, v11
	buffer_store_dword v8, off, s[0:3], 0 offset:304
	buffer_store_dword v9, off, s[0:3], 0 offset:308
	v_cvt_f16_f32_e32 v7, v8
	v_cvt_f16_f32_e32 v8, v9
	;; [unrolled: 1-line block ×4, first 2 shown]
	buffer_store_dword v4, off, s[0:3], 0 offset:312
	buffer_store_dword v5, off, s[0:3], 0 offset:316
	v_pack_b32_f16 v4, v7, v8
	v_pack_b32_f16 v5, v9, v10
	ds_write2st64_b64 v43, v[2:3], v[4:5] offset0:2 offset1:3
	s_and_saveexec_b64 s[4:5], vcc
	s_cbranch_execz .LBB632_209
; %bb.208:
	v_add_co_u32_e32 v4, vcc, s25, v55
	v_addc_co_u32_e64 v5, s[6:7], 0, 0, vcc
	v_mov_b32_e32 v2, s18
	v_mad_u64_u32 v[4:5], s[6:7], s8, v2, v[4:5]
	v_mov_b32_e32 v3, 0
	s_mul_i32 s6, s9, s18
	v_mov_b32_e32 v2, s24
	v_add_u32_e32 v5, s6, v5
	v_mad_u64_u32 v[2:3], s[6:7], v4, s50, v[2:3]
	v_mov_b32_e32 v4, v3
	v_mad_u64_u32 v[4:5], s[6:7], v5, s50, v[4:5]
	v_mov_b32_e32 v3, v4
	v_lshlrev_b64 v[2:3], 2, v[2:3]
	v_mov_b32_e32 v5, s47
	v_add_co_u32_e32 v4, vcc, s46, v2
	v_addc_co_u32_e32 v5, vcc, v5, v3, vcc
	global_store_dword v[4:5], v19, off
	v_mov_b32_e32 v4, s45
	v_add_co_u32_e32 v2, vcc, s44, v2
	v_addc_co_u32_e32 v3, vcc, v4, v3, vcc
	global_store_dword v[2:3], v6, off
.LBB632_209:
	s_or_b64 exec, exec, s[4:5]
	v_lshl_or_b32 v30, v1, 9, v18
	s_waitcnt lgkmcnt(0)
	s_barrier
	s_load_dword s4, s[42:43], 0x0
	ds_read_b128 v[2:5], v30
	ds_read_b128 v[6:9], v30 offset:16
	ds_read_b128 v[10:13], v30 offset:2048
	;; [unrolled: 1-line block ×7, first 2 shown]
	v_mov_b32_e32 v35, 0x80
	v_mov_b32_e32 v45, 0x140
	s_mov_b64 s[10:11], -1
	s_waitcnt lgkmcnt(0)
	s_mov_b32 s5, s4
	s_mov_b32 s6, s4
	;; [unrolled: 1-line block ×3, first 2 shown]
	s_movk_i32 s9, 0x80
	s_movk_i32 s19, 0x7f
	s_mov_b32 s20, 0xffffff
	v_mov_b32_e32 v47, 0
	v_bfrev_b32_e32 v48, 60
	s_branch .LBB632_213
.LBB632_210:                            ;   in Loop: Header=BB632_213 Depth=1
	s_or_b64 exec, exec, s[16:17]
.LBB632_211:                            ;   in Loop: Header=BB632_213 Depth=1
	s_or_b64 exec, exec, s[14:15]
.LBB632_212:                            ;   in Loop: Header=BB632_213 Depth=1
	s_or_b64 exec, exec, s[12:13]
	v_cvt_pkrtz_f16_f32 v60, v46, v49
	v_cvt_pkrtz_f16_f32 v61, v44, v51
	s_xor_b64 s[12:13], s[10:11], -1
	s_mov_b64 s[10:11], 0
	v_mov_b32_e32 v59, v58
	v_mfma_f32_16x16x16f16 v[62:65], v[60:61], v[30:31], v[34:37]
	v_mov_b32_e32 v61, v41
	v_mov_b32_e32 v60, v57
	s_and_b64 vcc, exec, s[12:13]
	s_nop 3
	v_cvt_pkrtz_f16_f32 v36, v50, v52
	v_cvt_pkrtz_f16_f32 v37, v42, v53
	v_mov_b32_e32 v35, v39
	s_nop 0
	v_mfma_f32_16x16x16f16 v[50:53], v[36:37], v[32:33], v[62:65]
	s_nop 7
	s_nop 2
	v_pk_mul_f32 v[50:51], v[50:51], s[4:5]
	v_pk_mul_f32 v[36:37], v[52:53], s[6:7]
	v_cvt_f16_f32_e32 v34, v50
	v_cvt_f16_f32_e32 v38, v51
	;; [unrolled: 1-line block ×4, first 2 shown]
	v_pack_b32_f16 v34, v34, v38
	v_pack_b32_f16 v36, v36, v37
	buffer_store_dword v34, v45, s[0:3], 0 offen
	buffer_store_dword v36, v45, s[0:3], 0 offen offset:4
	v_mov_b32_e32 v45, 0x148
	s_cbranch_vccnz .LBB632_595
.LBB632_213:                            ; =>This Inner Loop Header: Depth=1
	buffer_load_dword v36, v35, s[0:3], 0 offen
	buffer_load_dword v34, v35, s[0:3], 0 offen offset:4
	buffer_load_dword v40, v35, s[0:3], 0 offen offset:8
	;; [unrolled: 1-line block ×3, first 2 shown]
	v_mov_b32_e32 v35, 0
	s_waitcnt vmcnt(3)
	v_cmp_ne_u16_sdwa s[14:15], v36, v47 src0_sel:BYTE_0 src1_sel:DWORD
	s_and_saveexec_b64 s[12:13], s[14:15]
	s_cbranch_execz .LBB632_219
; %bb.214:                              ;   in Loop: Header=BB632_213 Depth=1
	v_cmp_ne_u16_sdwa s[16:17], v36, s9 src0_sel:BYTE_0 src1_sel:DWORD
	v_bfrev_b32_e32 v35, 1
	s_and_saveexec_b64 s[14:15], s[16:17]
	s_cbranch_execz .LBB632_218
; %bb.215:                              ;   in Loop: Header=BB632_213 Depth=1
	v_and_b32_e32 v37, 0x7f, v36
	v_cmp_ne_u32_e32 vcc, s19, v37
	v_mov_b32_e32 v35, 0x7f800001
	s_and_saveexec_b64 s[16:17], vcc
	s_cbranch_execz .LBB632_217
; %bb.216:                              ;   in Loop: Header=BB632_213 Depth=1
	v_and_b32_e32 v35, 7, v36
	v_ffbh_u32_e32 v44, v35
	v_min_u32_e32 v44, 32, v44
	v_subrev_u32_e32 v46, 28, v44
	v_lshlrev_b64 v[50:51], v46, v[36:37]
	v_lshrrev_b32_e32 v42, 3, v37
	v_sub_u32_e32 v44, 29, v44
	v_and_b32_e32 v46, 7, v50
	v_cmp_gt_u32_e32 vcc, 8, v37
	v_cndmask_b32_e32 v37, v42, v44, vcc
	v_cndmask_b32_e32 v35, v35, v46, vcc
	v_lshlrev_b32_e32 v42, 24, v36
	v_lshlrev_b32_e32 v35, 20, v35
	v_and_b32_e32 v42, 0x80000000, v42
	v_lshl_add_u32 v37, v37, 23, v48
	v_or3_b32 v35, v42, v37, v35
.LBB632_217:                            ;   in Loop: Header=BB632_213 Depth=1
	s_or_b64 exec, exec, s[16:17]
.LBB632_218:                            ;   in Loop: Header=BB632_213 Depth=1
	s_or_b64 exec, exec, s[14:15]
.LBB632_219:                            ;   in Loop: Header=BB632_213 Depth=1
	s_or_b64 exec, exec, s[12:13]
	v_lshrrev_b16_e32 v42, 8, v36
	v_cmp_ne_u16_e32 vcc, 0, v42
	v_mov_b32_e32 v37, 0
	s_and_saveexec_b64 s[12:13], vcc
	s_cbranch_execz .LBB632_225
; %bb.220:                              ;   in Loop: Header=BB632_213 Depth=1
	v_cmp_ne_u16_e32 vcc, s9, v42
	v_bfrev_b32_e32 v37, 1
	s_and_saveexec_b64 s[14:15], vcc
	s_cbranch_execz .LBB632_224
; %bb.221:                              ;   in Loop: Header=BB632_213 Depth=1
	v_and_b32_e32 v44, 0x7f, v42
	v_cmp_ne_u32_e32 vcc, s19, v44
	v_mov_b32_e32 v37, 0x7f800001
	s_and_saveexec_b64 s[16:17], vcc
	s_cbranch_execz .LBB632_223
; %bb.222:                              ;   in Loop: Header=BB632_213 Depth=1
	v_and_b32_e32 v37, 7, v42
	v_ffbh_u32_e32 v49, v37
	v_min_u32_e32 v49, 32, v49
	v_subrev_u32_e32 v50, 28, v49
	v_lshlrev_b64 v[50:51], v50, v[42:43]
	v_lshrrev_b32_e32 v46, 3, v44
	v_sub_u32_e32 v42, 29, v49
	v_and_b32_e32 v49, 7, v50
	v_cmp_gt_u32_e32 vcc, 8, v44
	v_cndmask_b32_e32 v42, v46, v42, vcc
	v_cndmask_b32_e32 v37, v37, v49, vcc
	v_lshlrev_b32_e32 v44, 16, v36
	v_lshlrev_b32_e32 v37, 20, v37
	v_and_b32_e32 v44, 0x80000000, v44
	v_lshl_add_u32 v42, v42, 23, v48
	v_or3_b32 v37, v44, v42, v37
.LBB632_223:                            ;   in Loop: Header=BB632_213 Depth=1
	s_or_b64 exec, exec, s[16:17]
.LBB632_224:                            ;   in Loop: Header=BB632_213 Depth=1
	s_or_b64 exec, exec, s[14:15]
.LBB632_225:                            ;   in Loop: Header=BB632_213 Depth=1
	s_or_b64 exec, exec, s[12:13]
	v_lshrrev_b32_e32 v42, 16, v36
	v_cmp_ne_u16_sdwa s[14:15], v42, v47 src0_sel:BYTE_0 src1_sel:DWORD
	v_mov_b32_e32 v46, 0
	v_mov_b32_e32 v44, 0
	s_and_saveexec_b64 s[12:13], s[14:15]
	s_cbranch_execz .LBB632_231
; %bb.226:                              ;   in Loop: Header=BB632_213 Depth=1
	v_cmp_ne_u16_sdwa s[16:17], v42, s9 src0_sel:BYTE_0 src1_sel:DWORD
	v_bfrev_b32_e32 v44, 1
	s_and_saveexec_b64 s[14:15], s[16:17]
	s_cbranch_execz .LBB632_230
; %bb.227:                              ;   in Loop: Header=BB632_213 Depth=1
	v_bfe_u32 v49, v36, 16, 7
	v_cmp_ne_u32_e32 vcc, s19, v49
	v_mov_b32_e32 v44, 0x7f800001
	s_and_saveexec_b64 s[16:17], vcc
	s_cbranch_execz .LBB632_229
; %bb.228:                              ;   in Loop: Header=BB632_213 Depth=1
	v_and_b32_e32 v44, 7, v42
	v_ffbh_u32_e32 v50, v44
	v_min_u32_e32 v53, 32, v50
	v_subrev_u32_e32 v50, 28, v53
	v_lshlrev_b64 v[50:51], v50, v[42:43]
	v_lshrrev_b32_e32 v52, 3, v49
	v_sub_u32_e32 v51, 29, v53
	v_and_b32_e32 v50, 7, v50
	v_cmp_gt_u32_e32 vcc, 8, v49
	v_cndmask_b32_e32 v49, v52, v51, vcc
	v_cndmask_b32_e32 v44, v44, v50, vcc
	v_lshlrev_b32_e32 v42, 24, v42
	v_lshlrev_b32_e32 v44, 20, v44
	v_and_b32_e32 v42, 0x80000000, v42
	v_lshl_add_u32 v49, v49, 23, v48
	v_or3_b32 v44, v42, v49, v44
.LBB632_229:                            ;   in Loop: Header=BB632_213 Depth=1
	s_or_b64 exec, exec, s[16:17]
.LBB632_230:                            ;   in Loop: Header=BB632_213 Depth=1
	s_or_b64 exec, exec, s[14:15]
.LBB632_231:                            ;   in Loop: Header=BB632_213 Depth=1
	s_or_b64 exec, exec, s[12:13]
	v_cmp_lt_u32_e32 vcc, s20, v36
	s_and_saveexec_b64 s[12:13], vcc
	s_cbranch_execz .LBB632_237
; %bb.232:                              ;   in Loop: Header=BB632_213 Depth=1
	v_lshrrev_b32_e32 v42, 24, v36
	v_cmp_ne_u32_e32 vcc, s9, v42
	v_bfrev_b32_e32 v46, 1
	s_and_saveexec_b64 s[14:15], vcc
	s_cbranch_execz .LBB632_236
; %bb.233:                              ;   in Loop: Header=BB632_213 Depth=1
	v_bfe_u32 v36, v36, 24, 7
	v_cmp_ne_u32_e32 vcc, s19, v36
	v_mov_b32_e32 v46, 0x7f800001
	s_and_saveexec_b64 s[16:17], vcc
	s_cbranch_execz .LBB632_235
; %bb.234:                              ;   in Loop: Header=BB632_213 Depth=1
	v_and_b32_e32 v46, 7, v42
	v_ffbh_u32_e32 v50, v46
	v_min_u32_e32 v52, 32, v50
	v_subrev_u32_e32 v50, 28, v52
	v_lshlrev_b64 v[50:51], v50, v[42:43]
	v_lshrrev_b32_e32 v49, 3, v36
	v_sub_u32_e32 v51, 29, v52
	v_and_b32_e32 v50, 7, v50
	v_cmp_gt_u32_e32 vcc, 8, v36
	v_cndmask_b32_e32 v36, v49, v51, vcc
	v_cndmask_b32_e32 v46, v46, v50, vcc
	v_lshlrev_b32_e32 v42, 24, v42
	v_lshlrev_b32_e32 v46, 20, v46
	v_and_b32_e32 v42, 0x80000000, v42
	v_lshl_add_u32 v36, v36, 23, v48
	v_or3_b32 v46, v42, v36, v46
.LBB632_235:                            ;   in Loop: Header=BB632_213 Depth=1
	s_or_b64 exec, exec, s[16:17]
.LBB632_236:                            ;   in Loop: Header=BB632_213 Depth=1
	s_or_b64 exec, exec, s[14:15]
.LBB632_237:                            ;   in Loop: Header=BB632_213 Depth=1
	s_or_b64 exec, exec, s[12:13]
	s_waitcnt vmcnt(2)
	v_cmp_ne_u16_sdwa s[14:15], v34, v47 src0_sel:BYTE_0 src1_sel:DWORD
	v_mov_b32_e32 v42, 0
	v_mov_b32_e32 v49, 0
	s_and_saveexec_b64 s[12:13], s[14:15]
	s_cbranch_execz .LBB632_243
; %bb.238:                              ;   in Loop: Header=BB632_213 Depth=1
	v_cmp_ne_u16_sdwa s[16:17], v34, s9 src0_sel:BYTE_0 src1_sel:DWORD
	v_bfrev_b32_e32 v49, 1
	s_and_saveexec_b64 s[14:15], s[16:17]
	s_cbranch_execz .LBB632_242
; %bb.239:                              ;   in Loop: Header=BB632_213 Depth=1
	v_and_b32_e32 v36, 0x7f, v34
	v_cmp_ne_u32_e32 vcc, s19, v36
	v_mov_b32_e32 v49, 0x7f800001
	s_and_saveexec_b64 s[16:17], vcc
	s_cbranch_execz .LBB632_241
; %bb.240:                              ;   in Loop: Header=BB632_213 Depth=1
	v_and_b32_e32 v49, 7, v34
	v_ffbh_u32_e32 v50, v49
	v_min_u32_e32 v53, 32, v50
	v_subrev_u32_e32 v50, 28, v53
	v_lshlrev_b64 v[50:51], v50, v[34:35]
	v_lshrrev_b32_e32 v52, 3, v36
	v_sub_u32_e32 v51, 29, v53
	v_and_b32_e32 v50, 7, v50
	v_cmp_gt_u32_e32 vcc, 8, v36
	v_cndmask_b32_e32 v36, v52, v51, vcc
	v_cndmask_b32_e32 v49, v49, v50, vcc
	v_lshlrev_b32_e32 v50, 24, v34
	v_lshlrev_b32_e32 v49, 20, v49
	v_and_b32_e32 v50, 0x80000000, v50
	v_lshl_add_u32 v36, v36, 23, v48
	v_or3_b32 v49, v50, v36, v49
.LBB632_241:                            ;   in Loop: Header=BB632_213 Depth=1
	s_or_b64 exec, exec, s[16:17]
.LBB632_242:                            ;   in Loop: Header=BB632_213 Depth=1
	s_or_b64 exec, exec, s[14:15]
.LBB632_243:                            ;   in Loop: Header=BB632_213 Depth=1
	s_or_b64 exec, exec, s[12:13]
	v_lshrrev_b16_e32 v36, 8, v34
	v_cmp_ne_u16_e32 vcc, 0, v36
	s_and_saveexec_b64 s[12:13], vcc
	s_cbranch_execz .LBB632_249
; %bb.244:                              ;   in Loop: Header=BB632_213 Depth=1
	v_cmp_ne_u16_e32 vcc, s9, v36
	v_bfrev_b32_e32 v42, 1
	s_and_saveexec_b64 s[14:15], vcc
	s_cbranch_execz .LBB632_248
; %bb.245:                              ;   in Loop: Header=BB632_213 Depth=1
	v_and_b32_e32 v50, 0x7f, v36
	v_cmp_ne_u32_e32 vcc, s19, v50
	v_mov_b32_e32 v42, 0x7f800001
	s_and_saveexec_b64 s[16:17], vcc
	s_cbranch_execz .LBB632_247
; %bb.246:                              ;   in Loop: Header=BB632_213 Depth=1
	v_and_b32_e32 v42, 7, v36
	v_ffbh_u32_e32 v52, v42
	v_min_u32_e32 v62, 32, v52
	v_subrev_u32_e32 v52, 28, v62
	v_lshlrev_b64 v[52:53], v52, v[36:37]
	v_lshrrev_b32_e32 v51, 3, v50
	v_sub_u32_e32 v36, 29, v62
	v_and_b32_e32 v52, 7, v52
	v_cmp_gt_u32_e32 vcc, 8, v50
	v_cndmask_b32_e32 v36, v51, v36, vcc
	v_cndmask_b32_e32 v42, v42, v52, vcc
	v_lshlrev_b32_e32 v50, 16, v34
	v_lshlrev_b32_e32 v42, 20, v42
	v_and_b32_e32 v50, 0x80000000, v50
	v_lshl_add_u32 v36, v36, 23, v48
	v_or3_b32 v42, v50, v36, v42
.LBB632_247:                            ;   in Loop: Header=BB632_213 Depth=1
	s_or_b64 exec, exec, s[16:17]
.LBB632_248:                            ;   in Loop: Header=BB632_213 Depth=1
	s_or_b64 exec, exec, s[14:15]
.LBB632_249:                            ;   in Loop: Header=BB632_213 Depth=1
	s_or_b64 exec, exec, s[12:13]
	v_lshrrev_b32_e32 v36, 16, v34
	v_cmp_ne_u16_sdwa s[14:15], v36, v47 src0_sel:BYTE_0 src1_sel:DWORD
	v_mov_b32_e32 v51, 0
	v_mov_b32_e32 v50, 0
	s_and_saveexec_b64 s[12:13], s[14:15]
	s_cbranch_execz .LBB632_255
; %bb.250:                              ;   in Loop: Header=BB632_213 Depth=1
	v_cmp_ne_u16_sdwa s[16:17], v36, s9 src0_sel:BYTE_0 src1_sel:DWORD
	v_bfrev_b32_e32 v50, 1
	s_and_saveexec_b64 s[14:15], s[16:17]
	s_cbranch_execz .LBB632_254
; %bb.251:                              ;   in Loop: Header=BB632_213 Depth=1
	v_bfe_u32 v52, v34, 16, 7
	v_cmp_ne_u32_e32 vcc, s19, v52
	v_mov_b32_e32 v50, 0x7f800001
	s_and_saveexec_b64 s[16:17], vcc
	s_cbranch_execz .LBB632_253
; %bb.252:                              ;   in Loop: Header=BB632_213 Depth=1
	v_and_b32_e32 v50, 7, v36
	v_ffbh_u32_e32 v62, v50
	v_min_u32_e32 v64, 32, v62
	v_subrev_u32_e32 v62, 28, v64
	v_lshlrev_b64 v[62:63], v62, v[36:37]
	v_lshrrev_b32_e32 v53, 3, v52
	v_sub_u32_e32 v63, 29, v64
	v_and_b32_e32 v62, 7, v62
	v_cmp_gt_u32_e32 vcc, 8, v52
	v_cndmask_b32_e32 v52, v53, v63, vcc
	v_cndmask_b32_e32 v50, v50, v62, vcc
	v_lshlrev_b32_e32 v36, 24, v36
	v_lshlrev_b32_e32 v50, 20, v50
	v_and_b32_e32 v36, 0x80000000, v36
	v_lshl_add_u32 v52, v52, 23, v48
	v_or3_b32 v50, v36, v52, v50
.LBB632_253:                            ;   in Loop: Header=BB632_213 Depth=1
	s_or_b64 exec, exec, s[16:17]
.LBB632_254:                            ;   in Loop: Header=BB632_213 Depth=1
	s_or_b64 exec, exec, s[14:15]
.LBB632_255:                            ;   in Loop: Header=BB632_213 Depth=1
	s_or_b64 exec, exec, s[12:13]
	v_cmp_lt_u32_e32 vcc, s20, v34
	s_and_saveexec_b64 s[12:13], vcc
	s_cbranch_execz .LBB632_261
; %bb.256:                              ;   in Loop: Header=BB632_213 Depth=1
	v_lshrrev_b32_e32 v36, 24, v34
	v_cmp_ne_u32_e32 vcc, s9, v36
	v_bfrev_b32_e32 v51, 1
	s_and_saveexec_b64 s[14:15], vcc
	s_cbranch_execz .LBB632_260
; %bb.257:                              ;   in Loop: Header=BB632_213 Depth=1
	v_bfe_u32 v34, v34, 24, 7
	v_cmp_ne_u32_e32 vcc, s19, v34
	v_mov_b32_e32 v51, 0x7f800001
	s_and_saveexec_b64 s[16:17], vcc
	s_cbranch_execz .LBB632_259
; %bb.258:                              ;   in Loop: Header=BB632_213 Depth=1
	v_and_b32_e32 v51, 7, v36
	v_ffbh_u32_e32 v52, v51
	v_min_u32_e32 v63, 32, v52
	v_subrev_u32_e32 v52, 28, v63
	v_lshlrev_b64 v[52:53], v52, v[36:37]
	v_lshrrev_b32_e32 v62, 3, v34
	v_sub_u32_e32 v53, 29, v63
	v_and_b32_e32 v52, 7, v52
	v_cmp_gt_u32_e32 vcc, 8, v34
	v_cndmask_b32_e32 v34, v62, v53, vcc
	v_cndmask_b32_e32 v51, v51, v52, vcc
	v_lshlrev_b32_e32 v36, 24, v36
	v_lshlrev_b32_e32 v51, 20, v51
	v_and_b32_e32 v36, 0x80000000, v36
	v_lshl_add_u32 v34, v34, 23, v48
	v_or3_b32 v51, v36, v34, v51
.LBB632_259:                            ;   in Loop: Header=BB632_213 Depth=1
	s_or_b64 exec, exec, s[16:17]
.LBB632_260:                            ;   in Loop: Header=BB632_213 Depth=1
	s_or_b64 exec, exec, s[14:15]
.LBB632_261:                            ;   in Loop: Header=BB632_213 Depth=1
	s_or_b64 exec, exec, s[12:13]
	v_cvt_pkrtz_f16_f32 v34, v35, v37
	v_cvt_pkrtz_f16_f32 v35, v44, v46
	;; [unrolled: 1-line block ×4, first 2 shown]
	v_mov_b32_e32 v44, 0
	v_mfma_f32_16x16x16f16 v[34:37], v[34:35], v[2:3], 0
	s_waitcnt vmcnt(1)
	v_cmp_ne_u16_sdwa s[14:15], v40, v47 src0_sel:BYTE_0 src1_sel:DWORD
	v_mov_b32_e32 v46, 0
	v_mfma_f32_16x16x16f16 v[34:37], v[52:53], v[4:5], v[34:37]
	s_and_saveexec_b64 s[12:13], s[14:15]
	s_cbranch_execz .LBB632_267
; %bb.262:                              ;   in Loop: Header=BB632_213 Depth=1
	v_cmp_ne_u16_sdwa s[16:17], v40, s9 src0_sel:BYTE_0 src1_sel:DWORD
	v_bfrev_b32_e32 v46, 1
	s_and_saveexec_b64 s[14:15], s[16:17]
	s_cbranch_execz .LBB632_266
; %bb.263:                              ;   in Loop: Header=BB632_213 Depth=1
	v_and_b32_e32 v42, 0x7f, v40
	v_cmp_ne_u32_e32 vcc, s19, v42
	v_mov_b32_e32 v46, 0x7f800001
	s_and_saveexec_b64 s[16:17], vcc
	s_cbranch_execz .LBB632_265
; %bb.264:                              ;   in Loop: Header=BB632_213 Depth=1
	v_and_b32_e32 v46, 7, v40
	v_ffbh_u32_e32 v50, v46
	v_min_u32_e32 v52, 32, v50
	v_subrev_u32_e32 v50, 28, v52
	v_lshlrev_b64 v[50:51], v50, v[40:41]
	v_lshrrev_b32_e32 v49, 3, v42
	v_sub_u32_e32 v51, 29, v52
	v_and_b32_e32 v50, 7, v50
	v_cmp_gt_u32_e32 vcc, 8, v42
	v_cndmask_b32_e32 v42, v49, v51, vcc
	v_cndmask_b32_e32 v46, v46, v50, vcc
	v_lshlrev_b32_e32 v49, 24, v40
	v_lshlrev_b32_e32 v46, 20, v46
	v_and_b32_e32 v49, 0x80000000, v49
	v_lshl_add_u32 v42, v42, 23, v48
	v_or3_b32 v46, v49, v42, v46
.LBB632_265:                            ;   in Loop: Header=BB632_213 Depth=1
	s_or_b64 exec, exec, s[16:17]
.LBB632_266:                            ;   in Loop: Header=BB632_213 Depth=1
	s_or_b64 exec, exec, s[14:15]
.LBB632_267:                            ;   in Loop: Header=BB632_213 Depth=1
	s_or_b64 exec, exec, s[12:13]
	v_lshrrev_b16_e32 v42, 8, v40
	v_cmp_ne_u16_e32 vcc, 0, v42
	v_mov_b32_e32 v50, 0
	s_and_saveexec_b64 s[12:13], vcc
	s_cbranch_execz .LBB632_273
; %bb.268:                              ;   in Loop: Header=BB632_213 Depth=1
	v_cmp_ne_u16_e32 vcc, s9, v42
	v_bfrev_b32_e32 v50, 1
	s_and_saveexec_b64 s[14:15], vcc
	s_cbranch_execz .LBB632_272
; %bb.269:                              ;   in Loop: Header=BB632_213 Depth=1
	v_and_b32_e32 v49, 0x7f, v42
	v_cmp_ne_u32_e32 vcc, s19, v49
	v_mov_b32_e32 v50, 0x7f800001
	s_and_saveexec_b64 s[16:17], vcc
	s_cbranch_execz .LBB632_271
; %bb.270:                              ;   in Loop: Header=BB632_213 Depth=1
	v_and_b32_e32 v52, 7, v42
	v_ffbh_u32_e32 v50, v52
	v_min_u32_e32 v62, 32, v50
	v_subrev_u32_e32 v50, 28, v62
	v_lshlrev_b64 v[50:51], v50, v[42:43]
	v_lshrrev_b32_e32 v53, 3, v49
	v_sub_u32_e32 v42, 29, v62
	v_and_b32_e32 v50, 7, v50
	v_cmp_gt_u32_e32 vcc, 8, v49
	v_cndmask_b32_e32 v42, v53, v42, vcc
	v_cndmask_b32_e32 v49, v52, v50, vcc
	v_lshlrev_b32_e32 v50, 16, v40
	v_lshlrev_b32_e32 v49, 20, v49
	v_and_b32_e32 v50, 0x80000000, v50
	v_lshl_add_u32 v42, v42, 23, v48
	v_or3_b32 v50, v50, v42, v49
.LBB632_271:                            ;   in Loop: Header=BB632_213 Depth=1
	s_or_b64 exec, exec, s[16:17]
.LBB632_272:                            ;   in Loop: Header=BB632_213 Depth=1
	s_or_b64 exec, exec, s[14:15]
.LBB632_273:                            ;   in Loop: Header=BB632_213 Depth=1
	s_or_b64 exec, exec, s[12:13]
	v_lshrrev_b32_e32 v42, 16, v40
	v_cmp_ne_u16_sdwa s[14:15], v42, v47 src0_sel:BYTE_0 src1_sel:DWORD
	s_and_saveexec_b64 s[12:13], s[14:15]
	s_cbranch_execz .LBB632_279
; %bb.274:                              ;   in Loop: Header=BB632_213 Depth=1
	v_cmp_ne_u16_sdwa s[16:17], v42, s9 src0_sel:BYTE_0 src1_sel:DWORD
	v_bfrev_b32_e32 v44, 1
	s_and_saveexec_b64 s[14:15], s[16:17]
	s_cbranch_execz .LBB632_278
; %bb.275:                              ;   in Loop: Header=BB632_213 Depth=1
	v_bfe_u32 v49, v40, 16, 7
	v_cmp_ne_u32_e32 vcc, s19, v49
	v_mov_b32_e32 v44, 0x7f800001
	s_and_saveexec_b64 s[16:17], vcc
	s_cbranch_execz .LBB632_277
; %bb.276:                              ;   in Loop: Header=BB632_213 Depth=1
	v_and_b32_e32 v44, 7, v42
	v_ffbh_u32_e32 v52, v44
	v_min_u32_e32 v62, 32, v52
	v_subrev_u32_e32 v52, 28, v62
	v_lshlrev_b64 v[52:53], v52, v[42:43]
	v_lshrrev_b32_e32 v51, 3, v49
	v_sub_u32_e32 v53, 29, v62
	v_and_b32_e32 v52, 7, v52
	v_cmp_gt_u32_e32 vcc, 8, v49
	v_cndmask_b32_e32 v49, v51, v53, vcc
	v_cndmask_b32_e32 v44, v44, v52, vcc
	v_lshlrev_b32_e32 v42, 24, v42
	v_lshlrev_b32_e32 v44, 20, v44
	v_and_b32_e32 v42, 0x80000000, v42
	v_lshl_add_u32 v49, v49, 23, v48
	v_or3_b32 v44, v42, v49, v44
.LBB632_277:                            ;   in Loop: Header=BB632_213 Depth=1
	s_or_b64 exec, exec, s[16:17]
.LBB632_278:                            ;   in Loop: Header=BB632_213 Depth=1
	s_or_b64 exec, exec, s[14:15]
.LBB632_279:                            ;   in Loop: Header=BB632_213 Depth=1
	s_or_b64 exec, exec, s[12:13]
	v_cmp_lt_u32_e32 vcc, s20, v40
	v_mov_b32_e32 v51, 0
	v_mov_b32_e32 v52, 0
	s_and_saveexec_b64 s[12:13], vcc
	s_cbranch_execz .LBB632_285
; %bb.280:                              ;   in Loop: Header=BB632_213 Depth=1
	v_lshrrev_b32_e32 v42, 24, v40
	v_cmp_ne_u32_e32 vcc, s9, v42
	v_bfrev_b32_e32 v52, 1
	s_and_saveexec_b64 s[14:15], vcc
	s_cbranch_execz .LBB632_284
; %bb.281:                              ;   in Loop: Header=BB632_213 Depth=1
	v_bfe_u32 v40, v40, 24, 7
	v_cmp_ne_u32_e32 vcc, s19, v40
	v_mov_b32_e32 v52, 0x7f800001
	s_and_saveexec_b64 s[16:17], vcc
	s_cbranch_execz .LBB632_283
; %bb.282:                              ;   in Loop: Header=BB632_213 Depth=1
	v_and_b32_e32 v49, 7, v42
	v_ffbh_u32_e32 v52, v49
	v_min_u32_e32 v63, 32, v52
	v_subrev_u32_e32 v52, 28, v63
	v_lshlrev_b64 v[52:53], v52, v[42:43]
	v_lshrrev_b32_e32 v62, 3, v40
	v_sub_u32_e32 v53, 29, v63
	v_and_b32_e32 v52, 7, v52
	v_cmp_gt_u32_e32 vcc, 8, v40
	v_cndmask_b32_e32 v40, v62, v53, vcc
	v_cndmask_b32_e32 v49, v49, v52, vcc
	v_lshlrev_b32_e32 v42, 24, v42
	v_lshlrev_b32_e32 v49, 20, v49
	v_and_b32_e32 v42, 0x80000000, v42
	v_lshl_add_u32 v40, v40, 23, v48
	v_or3_b32 v52, v42, v40, v49
.LBB632_283:                            ;   in Loop: Header=BB632_213 Depth=1
	s_or_b64 exec, exec, s[16:17]
.LBB632_284:                            ;   in Loop: Header=BB632_213 Depth=1
	s_or_b64 exec, exec, s[14:15]
.LBB632_285:                            ;   in Loop: Header=BB632_213 Depth=1
	s_or_b64 exec, exec, s[12:13]
	s_waitcnt vmcnt(0)
	v_cmp_ne_u16_sdwa s[14:15], v38, v47 src0_sel:BYTE_0 src1_sel:DWORD
	s_and_saveexec_b64 s[12:13], s[14:15]
	s_cbranch_execz .LBB632_291
; %bb.286:                              ;   in Loop: Header=BB632_213 Depth=1
	v_cmp_ne_u16_sdwa s[16:17], v38, s9 src0_sel:BYTE_0 src1_sel:DWORD
	v_bfrev_b32_e32 v51, 1
	s_and_saveexec_b64 s[14:15], s[16:17]
	s_cbranch_execz .LBB632_290
; %bb.287:                              ;   in Loop: Header=BB632_213 Depth=1
	v_and_b32_e32 v40, 0x7f, v38
	v_cmp_ne_u32_e32 vcc, s19, v40
	v_mov_b32_e32 v51, 0x7f800001
	s_and_saveexec_b64 s[16:17], vcc
	s_cbranch_execz .LBB632_289
; %bb.288:                              ;   in Loop: Header=BB632_213 Depth=1
	v_and_b32_e32 v42, 7, v38
	v_ffbh_u32_e32 v51, v42
	v_min_u32_e32 v51, 32, v51
	v_subrev_u32_e32 v53, 28, v51
	v_lshlrev_b64 v[62:63], v53, v[38:39]
	v_lshrrev_b32_e32 v49, 3, v40
	v_sub_u32_e32 v51, 29, v51
	v_and_b32_e32 v53, 7, v62
	v_cmp_gt_u32_e32 vcc, 8, v40
	v_cndmask_b32_e32 v40, v49, v51, vcc
	v_cndmask_b32_e32 v42, v42, v53, vcc
	v_lshlrev_b32_e32 v49, 24, v38
	v_lshlrev_b32_e32 v42, 20, v42
	v_and_b32_e32 v49, 0x80000000, v49
	v_lshl_add_u32 v40, v40, 23, v48
	v_or3_b32 v51, v49, v40, v42
.LBB632_289:                            ;   in Loop: Header=BB632_213 Depth=1
	s_or_b64 exec, exec, s[16:17]
.LBB632_290:                            ;   in Loop: Header=BB632_213 Depth=1
	s_or_b64 exec, exec, s[14:15]
.LBB632_291:                            ;   in Loop: Header=BB632_213 Depth=1
	s_or_b64 exec, exec, s[12:13]
	v_lshrrev_b16_e32 v40, 8, v38
	v_cmp_ne_u16_e32 vcc, 0, v40
	v_mov_b32_e32 v53, 0
	v_mov_b32_e32 v62, 0
	s_and_saveexec_b64 s[12:13], vcc
	s_cbranch_execz .LBB632_297
; %bb.292:                              ;   in Loop: Header=BB632_213 Depth=1
	v_cmp_ne_u16_e32 vcc, s9, v40
	v_bfrev_b32_e32 v62, 1
	s_and_saveexec_b64 s[14:15], vcc
	s_cbranch_execz .LBB632_296
; %bb.293:                              ;   in Loop: Header=BB632_213 Depth=1
	v_and_b32_e32 v42, 0x7f, v40
	v_cmp_ne_u32_e32 vcc, s19, v42
	v_mov_b32_e32 v62, 0x7f800001
	s_and_saveexec_b64 s[16:17], vcc
	s_cbranch_execz .LBB632_295
; %bb.294:                              ;   in Loop: Header=BB632_213 Depth=1
	v_and_b32_e32 v49, 7, v40
	v_ffbh_u32_e32 v62, v49
	v_min_u32_e32 v65, 32, v62
	v_subrev_u32_e32 v62, 28, v65
	v_lshlrev_b64 v[62:63], v62, v[40:41]
	v_lshrrev_b32_e32 v64, 3, v42
	v_sub_u32_e32 v40, 29, v65
	v_and_b32_e32 v62, 7, v62
	v_cmp_gt_u32_e32 vcc, 8, v42
	v_cndmask_b32_e32 v40, v64, v40, vcc
	v_cndmask_b32_e32 v42, v49, v62, vcc
	v_lshlrev_b32_e32 v49, 16, v38
	v_lshlrev_b32_e32 v42, 20, v42
	v_and_b32_e32 v49, 0x80000000, v49
	v_lshl_add_u32 v40, v40, 23, v48
	v_or3_b32 v62, v49, v40, v42
.LBB632_295:                            ;   in Loop: Header=BB632_213 Depth=1
	s_or_b64 exec, exec, s[16:17]
.LBB632_296:                            ;   in Loop: Header=BB632_213 Depth=1
	s_or_b64 exec, exec, s[14:15]
.LBB632_297:                            ;   in Loop: Header=BB632_213 Depth=1
	s_or_b64 exec, exec, s[12:13]
	v_lshrrev_b32_e32 v40, 16, v38
	v_cmp_ne_u16_sdwa s[14:15], v40, v47 src0_sel:BYTE_0 src1_sel:DWORD
	s_and_saveexec_b64 s[12:13], s[14:15]
	s_cbranch_execz .LBB632_303
; %bb.298:                              ;   in Loop: Header=BB632_213 Depth=1
	v_cmp_ne_u16_sdwa s[16:17], v40, s9 src0_sel:BYTE_0 src1_sel:DWORD
	v_bfrev_b32_e32 v53, 1
	s_and_saveexec_b64 s[14:15], s[16:17]
	s_cbranch_execz .LBB632_302
; %bb.299:                              ;   in Loop: Header=BB632_213 Depth=1
	v_bfe_u32 v42, v38, 16, 7
	v_cmp_ne_u32_e32 vcc, s19, v42
	v_mov_b32_e32 v53, 0x7f800001
	s_and_saveexec_b64 s[16:17], vcc
	s_cbranch_execz .LBB632_301
; %bb.300:                              ;   in Loop: Header=BB632_213 Depth=1
	v_and_b32_e32 v49, 7, v40
	v_ffbh_u32_e32 v63, v49
	v_min_u32_e32 v63, 32, v63
	v_subrev_u32_e32 v64, 28, v63
	v_lshlrev_b64 v[64:65], v64, v[40:41]
	v_lshrrev_b32_e32 v53, 3, v42
	v_sub_u32_e32 v63, 29, v63
	v_and_b32_e32 v64, 7, v64
	v_cmp_gt_u32_e32 vcc, 8, v42
	v_cndmask_b32_e32 v42, v53, v63, vcc
	v_cndmask_b32_e32 v49, v49, v64, vcc
	v_lshlrev_b32_e32 v40, 24, v40
	v_lshlrev_b32_e32 v49, 20, v49
	v_and_b32_e32 v40, 0x80000000, v40
	v_lshl_add_u32 v42, v42, 23, v48
	v_or3_b32 v53, v40, v42, v49
.LBB632_301:                            ;   in Loop: Header=BB632_213 Depth=1
	s_or_b64 exec, exec, s[16:17]
.LBB632_302:                            ;   in Loop: Header=BB632_213 Depth=1
	s_or_b64 exec, exec, s[14:15]
.LBB632_303:                            ;   in Loop: Header=BB632_213 Depth=1
	s_or_b64 exec, exec, s[12:13]
	v_cmp_lt_u32_e32 vcc, s20, v38
	v_mov_b32_e32 v49, 0
	v_mov_b32_e32 v63, 0
	s_and_saveexec_b64 s[12:13], vcc
	s_cbranch_execz .LBB632_309
; %bb.304:                              ;   in Loop: Header=BB632_213 Depth=1
	v_lshrrev_b32_e32 v40, 24, v38
	v_cmp_ne_u32_e32 vcc, s9, v40
	v_bfrev_b32_e32 v63, 1
	s_and_saveexec_b64 s[14:15], vcc
	s_cbranch_execz .LBB632_308
; %bb.305:                              ;   in Loop: Header=BB632_213 Depth=1
	v_bfe_u32 v38, v38, 24, 7
	v_cmp_ne_u32_e32 vcc, s19, v38
	v_mov_b32_e32 v63, 0x7f800001
	s_and_saveexec_b64 s[16:17], vcc
	s_cbranch_execz .LBB632_307
; %bb.306:                              ;   in Loop: Header=BB632_213 Depth=1
	v_and_b32_e32 v42, 7, v40
	v_ffbh_u32_e32 v64, v42
	v_min_u32_e32 v66, 32, v64
	v_subrev_u32_e32 v64, 28, v66
	v_lshlrev_b64 v[64:65], v64, v[40:41]
	v_lshrrev_b32_e32 v63, 3, v38
	v_sub_u32_e32 v65, 29, v66
	v_and_b32_e32 v64, 7, v64
	v_cmp_gt_u32_e32 vcc, 8, v38
	v_cndmask_b32_e32 v38, v63, v65, vcc
	v_cndmask_b32_e32 v42, v42, v64, vcc
	v_lshlrev_b32_e32 v40, 24, v40
	v_lshlrev_b32_e32 v42, 20, v42
	v_and_b32_e32 v40, 0x80000000, v40
	v_lshl_add_u32 v38, v38, 23, v48
	v_or3_b32 v63, v40, v38, v42
.LBB632_307:                            ;   in Loop: Header=BB632_213 Depth=1
	s_or_b64 exec, exec, s[16:17]
.LBB632_308:                            ;   in Loop: Header=BB632_213 Depth=1
	s_or_b64 exec, exec, s[14:15]
.LBB632_309:                            ;   in Loop: Header=BB632_213 Depth=1
	s_or_b64 exec, exec, s[12:13]
	v_cvt_pkrtz_f16_f32 v65, v44, v52
	buffer_load_dword v44, v61, s[0:3], 0 offen
	buffer_load_dword v42, v61, s[0:3], 0 offen offset:4
	buffer_load_dword v40, v61, s[0:3], 0 offen offset:8
	buffer_load_dword v38, v61, s[0:3], 0 offen offset:12
	v_cvt_pkrtz_f16_f32 v64, v46, v50
	v_cvt_pkrtz_f16_f32 v50, v51, v62
	;; [unrolled: 1-line block ×3, first 2 shown]
	v_mfma_f32_16x16x16f16 v[34:37], v[64:65], v[6:7], v[34:37]
	s_waitcnt vmcnt(3)
	v_cmp_ne_u16_sdwa s[14:15], v44, v47 src0_sel:BYTE_0 src1_sel:DWORD
	v_mfma_f32_16x16x16f16 v[34:37], v[50:51], v[8:9], v[34:37]
	s_and_saveexec_b64 s[12:13], s[14:15]
	s_cbranch_execz .LBB632_315
; %bb.310:                              ;   in Loop: Header=BB632_213 Depth=1
	v_cmp_ne_u16_sdwa s[16:17], v44, s9 src0_sel:BYTE_0 src1_sel:DWORD
	v_bfrev_b32_e32 v49, 1
	s_and_saveexec_b64 s[14:15], s[16:17]
	s_cbranch_execz .LBB632_314
; %bb.311:                              ;   in Loop: Header=BB632_213 Depth=1
	v_and_b32_e32 v46, 0x7f, v44
	v_cmp_ne_u32_e32 vcc, s19, v46
	v_mov_b32_e32 v49, 0x7f800001
	s_and_saveexec_b64 s[16:17], vcc
	s_cbranch_execz .LBB632_313
; %bb.312:                              ;   in Loop: Header=BB632_213 Depth=1
	v_and_b32_e32 v49, 7, v44
	v_ffbh_u32_e32 v50, v49
	v_min_u32_e32 v53, 32, v50
	v_subrev_u32_e32 v50, 28, v53
	v_lshlrev_b64 v[50:51], v50, v[44:45]
	v_lshrrev_b32_e32 v52, 3, v46
	v_sub_u32_e32 v51, 29, v53
	v_and_b32_e32 v50, 7, v50
	v_cmp_gt_u32_e32 vcc, 8, v46
	v_cndmask_b32_e32 v46, v52, v51, vcc
	v_cndmask_b32_e32 v49, v49, v50, vcc
	v_lshlrev_b32_e32 v50, 24, v44
	v_lshlrev_b32_e32 v49, 20, v49
	v_and_b32_e32 v50, 0x80000000, v50
	v_lshl_add_u32 v46, v46, 23, v48
	v_or3_b32 v49, v50, v46, v49
.LBB632_313:                            ;   in Loop: Header=BB632_213 Depth=1
	s_or_b64 exec, exec, s[16:17]
.LBB632_314:                            ;   in Loop: Header=BB632_213 Depth=1
	s_or_b64 exec, exec, s[14:15]
.LBB632_315:                            ;   in Loop: Header=BB632_213 Depth=1
	s_or_b64 exec, exec, s[12:13]
	v_lshrrev_b16_e32 v46, 8, v44
	v_cmp_ne_u16_e32 vcc, 0, v46
	v_mov_b32_e32 v50, 0
	v_mov_b32_e32 v51, 0
	s_and_saveexec_b64 s[12:13], vcc
	s_cbranch_execz .LBB632_321
; %bb.316:                              ;   in Loop: Header=BB632_213 Depth=1
	v_cmp_ne_u16_e32 vcc, s9, v46
	v_bfrev_b32_e32 v51, 1
	s_and_saveexec_b64 s[14:15], vcc
	s_cbranch_execz .LBB632_320
; %bb.317:                              ;   in Loop: Header=BB632_213 Depth=1
	v_and_b32_e32 v52, 0x7f, v46
	v_cmp_ne_u32_e32 vcc, s19, v52
	v_mov_b32_e32 v51, 0x7f800001
	s_and_saveexec_b64 s[16:17], vcc
	s_cbranch_execz .LBB632_319
; %bb.318:                              ;   in Loop: Header=BB632_213 Depth=1
	v_and_b32_e32 v51, 7, v46
	v_ffbh_u32_e32 v61, v51
	v_min_u32_e32 v61, 32, v61
	v_subrev_u32_e32 v62, 28, v61
	v_lshlrev_b64 v[62:63], v62, v[46:47]
	v_lshrrev_b32_e32 v53, 3, v52
	v_sub_u32_e32 v46, 29, v61
	v_and_b32_e32 v61, 7, v62
	v_cmp_gt_u32_e32 vcc, 8, v52
	v_cndmask_b32_e32 v46, v53, v46, vcc
	v_cndmask_b32_e32 v51, v51, v61, vcc
	v_lshlrev_b32_e32 v52, 16, v44
	v_lshlrev_b32_e32 v51, 20, v51
	v_and_b32_e32 v52, 0x80000000, v52
	v_lshl_add_u32 v46, v46, 23, v48
	v_or3_b32 v51, v52, v46, v51
.LBB632_319:                            ;   in Loop: Header=BB632_213 Depth=1
	s_or_b64 exec, exec, s[16:17]
.LBB632_320:                            ;   in Loop: Header=BB632_213 Depth=1
	s_or_b64 exec, exec, s[14:15]
.LBB632_321:                            ;   in Loop: Header=BB632_213 Depth=1
	s_or_b64 exec, exec, s[12:13]
	v_lshrrev_b32_e32 v46, 16, v44
	v_cmp_ne_u16_sdwa s[14:15], v46, v47 src0_sel:BYTE_0 src1_sel:DWORD
	s_and_saveexec_b64 s[12:13], s[14:15]
	s_cbranch_execz .LBB632_327
; %bb.322:                              ;   in Loop: Header=BB632_213 Depth=1
	v_cmp_ne_u16_sdwa s[16:17], v46, s9 src0_sel:BYTE_0 src1_sel:DWORD
	v_bfrev_b32_e32 v50, 1
	s_and_saveexec_b64 s[14:15], s[16:17]
	s_cbranch_execz .LBB632_326
; %bb.323:                              ;   in Loop: Header=BB632_213 Depth=1
	v_bfe_u32 v52, v44, 16, 7
	v_cmp_ne_u32_e32 vcc, s19, v52
	v_mov_b32_e32 v50, 0x7f800001
	s_and_saveexec_b64 s[16:17], vcc
	s_cbranch_execz .LBB632_325
; %bb.324:                              ;   in Loop: Header=BB632_213 Depth=1
	v_and_b32_e32 v50, 7, v46
	v_ffbh_u32_e32 v61, v50
	v_min_u32_e32 v61, 32, v61
	v_subrev_u32_e32 v62, 28, v61
	v_lshlrev_b64 v[62:63], v62, v[46:47]
	v_lshrrev_b32_e32 v53, 3, v52
	v_sub_u32_e32 v61, 29, v61
	v_and_b32_e32 v62, 7, v62
	v_cmp_gt_u32_e32 vcc, 8, v52
	v_cndmask_b32_e32 v52, v53, v61, vcc
	v_cndmask_b32_e32 v50, v50, v62, vcc
	v_lshlrev_b32_e32 v46, 24, v46
	v_lshlrev_b32_e32 v50, 20, v50
	v_and_b32_e32 v46, 0x80000000, v46
	v_lshl_add_u32 v52, v52, 23, v48
	v_or3_b32 v50, v46, v52, v50
.LBB632_325:                            ;   in Loop: Header=BB632_213 Depth=1
	s_or_b64 exec, exec, s[16:17]
.LBB632_326:                            ;   in Loop: Header=BB632_213 Depth=1
	s_or_b64 exec, exec, s[14:15]
.LBB632_327:                            ;   in Loop: Header=BB632_213 Depth=1
	s_or_b64 exec, exec, s[12:13]
	v_cmp_lt_u32_e32 vcc, s20, v44
	v_mov_b32_e32 v52, 0
	v_mov_b32_e32 v53, 0
	s_and_saveexec_b64 s[12:13], vcc
	s_cbranch_execz .LBB632_333
; %bb.328:                              ;   in Loop: Header=BB632_213 Depth=1
	v_lshrrev_b32_e32 v46, 24, v44
	v_cmp_ne_u32_e32 vcc, s9, v46
	v_bfrev_b32_e32 v53, 1
	s_and_saveexec_b64 s[14:15], vcc
	s_cbranch_execz .LBB632_332
; %bb.329:                              ;   in Loop: Header=BB632_213 Depth=1
	v_bfe_u32 v44, v44, 24, 7
	v_cmp_ne_u32_e32 vcc, s19, v44
	v_mov_b32_e32 v53, 0x7f800001
	s_and_saveexec_b64 s[16:17], vcc
	s_cbranch_execz .LBB632_331
; %bb.330:                              ;   in Loop: Header=BB632_213 Depth=1
	v_and_b32_e32 v53, 7, v46
	v_ffbh_u32_e32 v62, v53
	v_min_u32_e32 v64, 32, v62
	v_subrev_u32_e32 v62, 28, v64
	v_lshlrev_b64 v[62:63], v62, v[46:47]
	v_lshrrev_b32_e32 v61, 3, v44
	v_sub_u32_e32 v63, 29, v64
	v_and_b32_e32 v62, 7, v62
	v_cmp_gt_u32_e32 vcc, 8, v44
	v_cndmask_b32_e32 v44, v61, v63, vcc
	v_cndmask_b32_e32 v53, v53, v62, vcc
	v_lshlrev_b32_e32 v46, 24, v46
	v_lshlrev_b32_e32 v53, 20, v53
	v_and_b32_e32 v46, 0x80000000, v46
	v_lshl_add_u32 v44, v44, 23, v48
	v_or3_b32 v53, v46, v44, v53
.LBB632_331:                            ;   in Loop: Header=BB632_213 Depth=1
	s_or_b64 exec, exec, s[16:17]
.LBB632_332:                            ;   in Loop: Header=BB632_213 Depth=1
	s_or_b64 exec, exec, s[14:15]
.LBB632_333:                            ;   in Loop: Header=BB632_213 Depth=1
	s_or_b64 exec, exec, s[12:13]
	s_waitcnt vmcnt(2)
	v_cmp_ne_u16_sdwa s[14:15], v42, v47 src0_sel:BYTE_0 src1_sel:DWORD
	s_and_saveexec_b64 s[12:13], s[14:15]
	s_cbranch_execz .LBB632_339
; %bb.334:                              ;   in Loop: Header=BB632_213 Depth=1
	v_cmp_ne_u16_sdwa s[16:17], v42, s9 src0_sel:BYTE_0 src1_sel:DWORD
	v_bfrev_b32_e32 v52, 1
	s_and_saveexec_b64 s[14:15], s[16:17]
	s_cbranch_execz .LBB632_338
; %bb.335:                              ;   in Loop: Header=BB632_213 Depth=1
	v_and_b32_e32 v44, 0x7f, v42
	v_cmp_ne_u32_e32 vcc, s19, v44
	v_mov_b32_e32 v52, 0x7f800001
	s_and_saveexec_b64 s[16:17], vcc
	s_cbranch_execz .LBB632_337
; %bb.336:                              ;   in Loop: Header=BB632_213 Depth=1
	v_and_b32_e32 v46, 7, v42
	v_ffbh_u32_e32 v61, v46
	v_min_u32_e32 v61, 32, v61
	v_subrev_u32_e32 v62, 28, v61
	v_lshlrev_b64 v[62:63], v62, v[42:43]
	v_lshrrev_b32_e32 v52, 3, v44
	v_sub_u32_e32 v61, 29, v61
	v_and_b32_e32 v62, 7, v62
	v_cmp_gt_u32_e32 vcc, 8, v44
	v_cndmask_b32_e32 v44, v52, v61, vcc
	v_cndmask_b32_e32 v46, v46, v62, vcc
	v_lshlrev_b32_e32 v52, 24, v42
	v_lshlrev_b32_e32 v46, 20, v46
	v_and_b32_e32 v52, 0x80000000, v52
	v_lshl_add_u32 v44, v44, 23, v48
	v_or3_b32 v52, v52, v44, v46
.LBB632_337:                            ;   in Loop: Header=BB632_213 Depth=1
	s_or_b64 exec, exec, s[16:17]
.LBB632_338:                            ;   in Loop: Header=BB632_213 Depth=1
	s_or_b64 exec, exec, s[14:15]
.LBB632_339:                            ;   in Loop: Header=BB632_213 Depth=1
	s_or_b64 exec, exec, s[12:13]
	v_lshrrev_b16_e32 v44, 8, v42
	v_cmp_ne_u16_e32 vcc, 0, v44
	v_mov_b32_e32 v61, 0
	v_mov_b32_e32 v62, 0
	s_and_saveexec_b64 s[12:13], vcc
	s_cbranch_execz .LBB632_345
; %bb.340:                              ;   in Loop: Header=BB632_213 Depth=1
	v_cmp_ne_u16_e32 vcc, s9, v44
	v_bfrev_b32_e32 v62, 1
	s_and_saveexec_b64 s[14:15], vcc
	s_cbranch_execz .LBB632_344
; %bb.341:                              ;   in Loop: Header=BB632_213 Depth=1
	v_and_b32_e32 v46, 0x7f, v44
	v_cmp_ne_u32_e32 vcc, s19, v46
	v_mov_b32_e32 v62, 0x7f800001
	s_and_saveexec_b64 s[16:17], vcc
	s_cbranch_execz .LBB632_343
; %bb.342:                              ;   in Loop: Header=BB632_213 Depth=1
	v_and_b32_e32 v64, 7, v44
	v_ffbh_u32_e32 v62, v64
	v_min_u32_e32 v66, 32, v62
	v_subrev_u32_e32 v62, 28, v66
	v_lshlrev_b64 v[62:63], v62, v[44:45]
	v_lshrrev_b32_e32 v65, 3, v46
	v_sub_u32_e32 v44, 29, v66
	v_and_b32_e32 v62, 7, v62
	v_cmp_gt_u32_e32 vcc, 8, v46
	v_cndmask_b32_e32 v44, v65, v44, vcc
	v_cndmask_b32_e32 v46, v64, v62, vcc
	v_lshlrev_b32_e32 v62, 16, v42
	v_lshlrev_b32_e32 v46, 20, v46
	v_and_b32_e32 v62, 0x80000000, v62
	v_lshl_add_u32 v44, v44, 23, v48
	v_or3_b32 v62, v62, v44, v46
.LBB632_343:                            ;   in Loop: Header=BB632_213 Depth=1
	s_or_b64 exec, exec, s[16:17]
.LBB632_344:                            ;   in Loop: Header=BB632_213 Depth=1
	s_or_b64 exec, exec, s[14:15]
.LBB632_345:                            ;   in Loop: Header=BB632_213 Depth=1
	s_or_b64 exec, exec, s[12:13]
	v_lshrrev_b32_e32 v44, 16, v42
	v_cmp_ne_u16_sdwa s[14:15], v44, v47 src0_sel:BYTE_0 src1_sel:DWORD
	s_and_saveexec_b64 s[12:13], s[14:15]
	s_cbranch_execz .LBB632_351
; %bb.346:                              ;   in Loop: Header=BB632_213 Depth=1
	v_cmp_ne_u16_sdwa s[16:17], v44, s9 src0_sel:BYTE_0 src1_sel:DWORD
	v_bfrev_b32_e32 v61, 1
	s_and_saveexec_b64 s[14:15], s[16:17]
	s_cbranch_execz .LBB632_350
; %bb.347:                              ;   in Loop: Header=BB632_213 Depth=1
	v_bfe_u32 v46, v42, 16, 7
	v_cmp_ne_u32_e32 vcc, s19, v46
	v_mov_b32_e32 v61, 0x7f800001
	s_and_saveexec_b64 s[16:17], vcc
	s_cbranch_execz .LBB632_349
; %bb.348:                              ;   in Loop: Header=BB632_213 Depth=1
	v_and_b32_e32 v61, 7, v44
	v_ffbh_u32_e32 v64, v61
	v_min_u32_e32 v66, 32, v64
	v_subrev_u32_e32 v64, 28, v66
	v_lshlrev_b64 v[64:65], v64, v[44:45]
	v_lshrrev_b32_e32 v63, 3, v46
	v_sub_u32_e32 v65, 29, v66
	v_and_b32_e32 v64, 7, v64
	v_cmp_gt_u32_e32 vcc, 8, v46
	v_cndmask_b32_e32 v46, v63, v65, vcc
	v_cndmask_b32_e32 v61, v61, v64, vcc
	v_lshlrev_b32_e32 v44, 24, v44
	v_lshlrev_b32_e32 v61, 20, v61
	v_and_b32_e32 v44, 0x80000000, v44
	v_lshl_add_u32 v46, v46, 23, v48
	v_or3_b32 v61, v44, v46, v61
.LBB632_349:                            ;   in Loop: Header=BB632_213 Depth=1
	s_or_b64 exec, exec, s[16:17]
.LBB632_350:                            ;   in Loop: Header=BB632_213 Depth=1
	s_or_b64 exec, exec, s[14:15]
.LBB632_351:                            ;   in Loop: Header=BB632_213 Depth=1
	s_or_b64 exec, exec, s[12:13]
	v_cmp_lt_u32_e32 vcc, s20, v42
	v_mov_b32_e32 v46, 0
	v_mov_b32_e32 v63, 0
	s_and_saveexec_b64 s[12:13], vcc
	s_cbranch_execz .LBB632_357
; %bb.352:                              ;   in Loop: Header=BB632_213 Depth=1
	v_lshrrev_b32_e32 v44, 24, v42
	v_cmp_ne_u32_e32 vcc, s9, v44
	v_bfrev_b32_e32 v63, 1
	s_and_saveexec_b64 s[14:15], vcc
	s_cbranch_execz .LBB632_356
; %bb.353:                              ;   in Loop: Header=BB632_213 Depth=1
	v_bfe_u32 v42, v42, 24, 7
	v_cmp_ne_u32_e32 vcc, s19, v42
	v_mov_b32_e32 v63, 0x7f800001
	s_and_saveexec_b64 s[16:17], vcc
	s_cbranch_execz .LBB632_355
; %bb.354:                              ;   in Loop: Header=BB632_213 Depth=1
	v_and_b32_e32 v63, 7, v44
	v_ffbh_u32_e32 v64, v63
	v_min_u32_e32 v67, 32, v64
	v_subrev_u32_e32 v64, 28, v67
	v_lshlrev_b64 v[64:65], v64, v[44:45]
	v_lshrrev_b32_e32 v66, 3, v42
	v_sub_u32_e32 v65, 29, v67
	v_and_b32_e32 v64, 7, v64
	v_cmp_gt_u32_e32 vcc, 8, v42
	v_cndmask_b32_e32 v42, v66, v65, vcc
	v_cndmask_b32_e32 v63, v63, v64, vcc
	v_lshlrev_b32_e32 v44, 24, v44
	v_lshlrev_b32_e32 v63, 20, v63
	v_and_b32_e32 v44, 0x80000000, v44
	v_lshl_add_u32 v42, v42, 23, v48
	v_or3_b32 v63, v44, v42, v63
.LBB632_355:                            ;   in Loop: Header=BB632_213 Depth=1
	s_or_b64 exec, exec, s[16:17]
.LBB632_356:                            ;   in Loop: Header=BB632_213 Depth=1
	s_or_b64 exec, exec, s[14:15]
.LBB632_357:                            ;   in Loop: Header=BB632_213 Depth=1
	s_or_b64 exec, exec, s[12:13]
	v_cvt_pkrtz_f16_f32 v64, v49, v51
	v_cvt_pkrtz_f16_f32 v65, v50, v53
	;; [unrolled: 1-line block ×4, first 2 shown]
	s_waitcnt vmcnt(1)
	v_cmp_ne_u16_sdwa s[14:15], v40, v47 src0_sel:BYTE_0 src1_sel:DWORD
	v_mfma_f32_16x16x16f16 v[34:37], v[64:65], v[10:11], v[34:37]
	v_mfma_f32_16x16x16f16 v[34:37], v[50:51], v[12:13], v[34:37]
	s_and_saveexec_b64 s[12:13], s[14:15]
	s_cbranch_execz .LBB632_363
; %bb.358:                              ;   in Loop: Header=BB632_213 Depth=1
	v_cmp_ne_u16_sdwa s[16:17], v40, s9 src0_sel:BYTE_0 src1_sel:DWORD
	v_bfrev_b32_e32 v46, 1
	s_and_saveexec_b64 s[14:15], s[16:17]
	s_cbranch_execz .LBB632_362
; %bb.359:                              ;   in Loop: Header=BB632_213 Depth=1
	v_and_b32_e32 v42, 0x7f, v40
	v_cmp_ne_u32_e32 vcc, s19, v42
	v_mov_b32_e32 v46, 0x7f800001
	s_and_saveexec_b64 s[16:17], vcc
	s_cbranch_execz .LBB632_361
; %bb.360:                              ;   in Loop: Header=BB632_213 Depth=1
	v_and_b32_e32 v44, 7, v40
	v_ffbh_u32_e32 v49, v44
	v_min_u32_e32 v49, 32, v49
	v_subrev_u32_e32 v50, 28, v49
	v_lshlrev_b64 v[50:51], v50, v[40:41]
	v_lshrrev_b32_e32 v46, 3, v42
	v_sub_u32_e32 v49, 29, v49
	v_and_b32_e32 v50, 7, v50
	v_cmp_gt_u32_e32 vcc, 8, v42
	v_cndmask_b32_e32 v42, v46, v49, vcc
	v_cndmask_b32_e32 v44, v44, v50, vcc
	v_lshlrev_b32_e32 v46, 24, v40
	v_lshlrev_b32_e32 v44, 20, v44
	v_and_b32_e32 v46, 0x80000000, v46
	v_lshl_add_u32 v42, v42, 23, v48
	v_or3_b32 v46, v46, v42, v44
.LBB632_361:                            ;   in Loop: Header=BB632_213 Depth=1
	s_or_b64 exec, exec, s[16:17]
.LBB632_362:                            ;   in Loop: Header=BB632_213 Depth=1
	s_or_b64 exec, exec, s[14:15]
.LBB632_363:                            ;   in Loop: Header=BB632_213 Depth=1
	s_or_b64 exec, exec, s[12:13]
	v_lshrrev_b16_e32 v42, 8, v40
	v_cmp_ne_u16_e32 vcc, 0, v42
	v_mov_b32_e32 v44, 0
	v_mov_b32_e32 v50, 0
	s_and_saveexec_b64 s[12:13], vcc
	s_cbranch_execz .LBB632_369
; %bb.364:                              ;   in Loop: Header=BB632_213 Depth=1
	v_cmp_ne_u16_e32 vcc, s9, v42
	v_bfrev_b32_e32 v50, 1
	s_and_saveexec_b64 s[14:15], vcc
	s_cbranch_execz .LBB632_368
; %bb.365:                              ;   in Loop: Header=BB632_213 Depth=1
	v_and_b32_e32 v49, 0x7f, v42
	v_cmp_ne_u32_e32 vcc, s19, v49
	v_mov_b32_e32 v50, 0x7f800001
	s_and_saveexec_b64 s[16:17], vcc
	s_cbranch_execz .LBB632_367
; %bb.366:                              ;   in Loop: Header=BB632_213 Depth=1
	v_and_b32_e32 v52, 7, v42
	v_ffbh_u32_e32 v50, v52
	v_min_u32_e32 v61, 32, v50
	v_subrev_u32_e32 v50, 28, v61
	v_lshlrev_b64 v[50:51], v50, v[42:43]
	v_lshrrev_b32_e32 v53, 3, v49
	v_sub_u32_e32 v42, 29, v61
	v_and_b32_e32 v50, 7, v50
	v_cmp_gt_u32_e32 vcc, 8, v49
	v_cndmask_b32_e32 v42, v53, v42, vcc
	v_cndmask_b32_e32 v49, v52, v50, vcc
	v_lshlrev_b32_e32 v50, 16, v40
	v_lshlrev_b32_e32 v49, 20, v49
	v_and_b32_e32 v50, 0x80000000, v50
	v_lshl_add_u32 v42, v42, 23, v48
	v_or3_b32 v50, v50, v42, v49
.LBB632_367:                            ;   in Loop: Header=BB632_213 Depth=1
	s_or_b64 exec, exec, s[16:17]
.LBB632_368:                            ;   in Loop: Header=BB632_213 Depth=1
	s_or_b64 exec, exec, s[14:15]
.LBB632_369:                            ;   in Loop: Header=BB632_213 Depth=1
	s_or_b64 exec, exec, s[12:13]
	v_lshrrev_b32_e32 v42, 16, v40
	v_cmp_ne_u16_sdwa s[14:15], v42, v47 src0_sel:BYTE_0 src1_sel:DWORD
	s_and_saveexec_b64 s[12:13], s[14:15]
	s_cbranch_execz .LBB632_375
; %bb.370:                              ;   in Loop: Header=BB632_213 Depth=1
	v_cmp_ne_u16_sdwa s[16:17], v42, s9 src0_sel:BYTE_0 src1_sel:DWORD
	v_bfrev_b32_e32 v44, 1
	s_and_saveexec_b64 s[14:15], s[16:17]
	s_cbranch_execz .LBB632_374
; %bb.371:                              ;   in Loop: Header=BB632_213 Depth=1
	v_bfe_u32 v49, v40, 16, 7
	v_cmp_ne_u32_e32 vcc, s19, v49
	v_mov_b32_e32 v44, 0x7f800001
	s_and_saveexec_b64 s[16:17], vcc
	s_cbranch_execz .LBB632_373
; %bb.372:                              ;   in Loop: Header=BB632_213 Depth=1
	v_and_b32_e32 v44, 7, v42
	v_ffbh_u32_e32 v52, v44
	v_min_u32_e32 v61, 32, v52
	v_subrev_u32_e32 v52, 28, v61
	v_lshlrev_b64 v[52:53], v52, v[42:43]
	v_lshrrev_b32_e32 v51, 3, v49
	v_sub_u32_e32 v53, 29, v61
	v_and_b32_e32 v52, 7, v52
	v_cmp_gt_u32_e32 vcc, 8, v49
	v_cndmask_b32_e32 v49, v51, v53, vcc
	v_cndmask_b32_e32 v44, v44, v52, vcc
	v_lshlrev_b32_e32 v42, 24, v42
	v_lshlrev_b32_e32 v44, 20, v44
	v_and_b32_e32 v42, 0x80000000, v42
	v_lshl_add_u32 v49, v49, 23, v48
	v_or3_b32 v44, v42, v49, v44
.LBB632_373:                            ;   in Loop: Header=BB632_213 Depth=1
	s_or_b64 exec, exec, s[16:17]
.LBB632_374:                            ;   in Loop: Header=BB632_213 Depth=1
	s_or_b64 exec, exec, s[14:15]
.LBB632_375:                            ;   in Loop: Header=BB632_213 Depth=1
	s_or_b64 exec, exec, s[12:13]
	v_cmp_lt_u32_e32 vcc, s20, v40
	v_mov_b32_e32 v51, 0
	v_mov_b32_e32 v52, 0
	s_and_saveexec_b64 s[12:13], vcc
	s_cbranch_execz .LBB632_381
; %bb.376:                              ;   in Loop: Header=BB632_213 Depth=1
	v_lshrrev_b32_e32 v42, 24, v40
	v_cmp_ne_u32_e32 vcc, s9, v42
	v_bfrev_b32_e32 v52, 1
	s_and_saveexec_b64 s[14:15], vcc
	s_cbranch_execz .LBB632_380
; %bb.377:                              ;   in Loop: Header=BB632_213 Depth=1
	v_bfe_u32 v40, v40, 24, 7
	v_cmp_ne_u32_e32 vcc, s19, v40
	v_mov_b32_e32 v52, 0x7f800001
	s_and_saveexec_b64 s[16:17], vcc
	s_cbranch_execz .LBB632_379
; %bb.378:                              ;   in Loop: Header=BB632_213 Depth=1
	v_and_b32_e32 v49, 7, v42
	v_ffbh_u32_e32 v52, v49
	v_min_u32_e32 v62, 32, v52
	v_subrev_u32_e32 v52, 28, v62
	v_lshlrev_b64 v[52:53], v52, v[42:43]
	v_lshrrev_b32_e32 v61, 3, v40
	v_sub_u32_e32 v53, 29, v62
	v_and_b32_e32 v52, 7, v52
	v_cmp_gt_u32_e32 vcc, 8, v40
	v_cndmask_b32_e32 v40, v61, v53, vcc
	v_cndmask_b32_e32 v49, v49, v52, vcc
	v_lshlrev_b32_e32 v42, 24, v42
	v_lshlrev_b32_e32 v49, 20, v49
	v_and_b32_e32 v42, 0x80000000, v42
	v_lshl_add_u32 v40, v40, 23, v48
	v_or3_b32 v52, v42, v40, v49
.LBB632_379:                            ;   in Loop: Header=BB632_213 Depth=1
	s_or_b64 exec, exec, s[16:17]
.LBB632_380:                            ;   in Loop: Header=BB632_213 Depth=1
	s_or_b64 exec, exec, s[14:15]
.LBB632_381:                            ;   in Loop: Header=BB632_213 Depth=1
	s_or_b64 exec, exec, s[12:13]
	s_waitcnt vmcnt(0)
	v_cmp_ne_u16_sdwa s[14:15], v38, v47 src0_sel:BYTE_0 src1_sel:DWORD
	s_and_saveexec_b64 s[12:13], s[14:15]
	s_cbranch_execz .LBB632_387
; %bb.382:                              ;   in Loop: Header=BB632_213 Depth=1
	v_cmp_ne_u16_sdwa s[16:17], v38, s9 src0_sel:BYTE_0 src1_sel:DWORD
	v_bfrev_b32_e32 v51, 1
	s_and_saveexec_b64 s[14:15], s[16:17]
	s_cbranch_execz .LBB632_386
; %bb.383:                              ;   in Loop: Header=BB632_213 Depth=1
	v_and_b32_e32 v40, 0x7f, v38
	v_cmp_ne_u32_e32 vcc, s19, v40
	v_mov_b32_e32 v51, 0x7f800001
	s_and_saveexec_b64 s[16:17], vcc
	s_cbranch_execz .LBB632_385
; %bb.384:                              ;   in Loop: Header=BB632_213 Depth=1
	v_and_b32_e32 v42, 7, v38
	v_ffbh_u32_e32 v51, v42
	v_min_u32_e32 v51, 32, v51
	v_subrev_u32_e32 v53, 28, v51
	v_lshlrev_b64 v[62:63], v53, v[38:39]
	v_lshrrev_b32_e32 v49, 3, v40
	v_sub_u32_e32 v51, 29, v51
	v_and_b32_e32 v53, 7, v62
	v_cmp_gt_u32_e32 vcc, 8, v40
	v_cndmask_b32_e32 v40, v49, v51, vcc
	v_cndmask_b32_e32 v42, v42, v53, vcc
	v_lshlrev_b32_e32 v49, 24, v38
	v_lshlrev_b32_e32 v42, 20, v42
	v_and_b32_e32 v49, 0x80000000, v49
	v_lshl_add_u32 v40, v40, 23, v48
	v_or3_b32 v51, v49, v40, v42
.LBB632_385:                            ;   in Loop: Header=BB632_213 Depth=1
	s_or_b64 exec, exec, s[16:17]
.LBB632_386:                            ;   in Loop: Header=BB632_213 Depth=1
	s_or_b64 exec, exec, s[14:15]
.LBB632_387:                            ;   in Loop: Header=BB632_213 Depth=1
	s_or_b64 exec, exec, s[12:13]
	v_lshrrev_b16_e32 v40, 8, v38
	v_cmp_ne_u16_e32 vcc, 0, v40
	v_mov_b32_e32 v53, 0
	v_mov_b32_e32 v61, 0
	s_and_saveexec_b64 s[12:13], vcc
	s_cbranch_execz .LBB632_393
; %bb.388:                              ;   in Loop: Header=BB632_213 Depth=1
	v_cmp_ne_u16_e32 vcc, s9, v40
	v_bfrev_b32_e32 v61, 1
	s_and_saveexec_b64 s[14:15], vcc
	s_cbranch_execz .LBB632_392
; %bb.389:                              ;   in Loop: Header=BB632_213 Depth=1
	v_and_b32_e32 v42, 0x7f, v40
	v_cmp_ne_u32_e32 vcc, s19, v42
	v_mov_b32_e32 v61, 0x7f800001
	s_and_saveexec_b64 s[16:17], vcc
	s_cbranch_execz .LBB632_391
; %bb.390:                              ;   in Loop: Header=BB632_213 Depth=1
	v_and_b32_e32 v49, 7, v40
	v_ffbh_u32_e32 v62, v49
	v_min_u32_e32 v64, 32, v62
	v_subrev_u32_e32 v62, 28, v64
	v_lshlrev_b64 v[62:63], v62, v[40:41]
	v_lshrrev_b32_e32 v61, 3, v42
	v_sub_u32_e32 v40, 29, v64
	v_and_b32_e32 v62, 7, v62
	v_cmp_gt_u32_e32 vcc, 8, v42
	v_cndmask_b32_e32 v40, v61, v40, vcc
	v_cndmask_b32_e32 v42, v49, v62, vcc
	v_lshlrev_b32_e32 v49, 16, v38
	v_lshlrev_b32_e32 v42, 20, v42
	v_and_b32_e32 v49, 0x80000000, v49
	v_lshl_add_u32 v40, v40, 23, v48
	v_or3_b32 v61, v49, v40, v42
.LBB632_391:                            ;   in Loop: Header=BB632_213 Depth=1
	s_or_b64 exec, exec, s[16:17]
.LBB632_392:                            ;   in Loop: Header=BB632_213 Depth=1
	s_or_b64 exec, exec, s[14:15]
.LBB632_393:                            ;   in Loop: Header=BB632_213 Depth=1
	s_or_b64 exec, exec, s[12:13]
	v_lshrrev_b32_e32 v40, 16, v38
	v_cmp_ne_u16_sdwa s[14:15], v40, v47 src0_sel:BYTE_0 src1_sel:DWORD
	s_and_saveexec_b64 s[12:13], s[14:15]
	s_cbranch_execz .LBB632_399
; %bb.394:                              ;   in Loop: Header=BB632_213 Depth=1
	v_cmp_ne_u16_sdwa s[16:17], v40, s9 src0_sel:BYTE_0 src1_sel:DWORD
	v_bfrev_b32_e32 v53, 1
	s_and_saveexec_b64 s[14:15], s[16:17]
	s_cbranch_execz .LBB632_398
; %bb.395:                              ;   in Loop: Header=BB632_213 Depth=1
	v_bfe_u32 v42, v38, 16, 7
	v_cmp_ne_u32_e32 vcc, s19, v42
	v_mov_b32_e32 v53, 0x7f800001
	s_and_saveexec_b64 s[16:17], vcc
	s_cbranch_execz .LBB632_397
; %bb.396:                              ;   in Loop: Header=BB632_213 Depth=1
	v_and_b32_e32 v49, 7, v40
	v_ffbh_u32_e32 v62, v49
	v_min_u32_e32 v64, 32, v62
	v_subrev_u32_e32 v62, 28, v64
	v_lshlrev_b64 v[62:63], v62, v[40:41]
	v_lshrrev_b32_e32 v53, 3, v42
	v_sub_u32_e32 v63, 29, v64
	v_and_b32_e32 v62, 7, v62
	v_cmp_gt_u32_e32 vcc, 8, v42
	v_cndmask_b32_e32 v42, v53, v63, vcc
	v_cndmask_b32_e32 v49, v49, v62, vcc
	v_lshlrev_b32_e32 v40, 24, v40
	v_lshlrev_b32_e32 v49, 20, v49
	v_and_b32_e32 v40, 0x80000000, v40
	v_lshl_add_u32 v42, v42, 23, v48
	v_or3_b32 v53, v40, v42, v49
.LBB632_397:                            ;   in Loop: Header=BB632_213 Depth=1
	s_or_b64 exec, exec, s[16:17]
.LBB632_398:                            ;   in Loop: Header=BB632_213 Depth=1
	s_or_b64 exec, exec, s[14:15]
.LBB632_399:                            ;   in Loop: Header=BB632_213 Depth=1
	s_or_b64 exec, exec, s[12:13]
	v_cmp_lt_u32_e32 vcc, s20, v38
	v_mov_b32_e32 v49, 0
	v_mov_b32_e32 v62, 0
	s_and_saveexec_b64 s[12:13], vcc
	s_cbranch_execz .LBB632_405
; %bb.400:                              ;   in Loop: Header=BB632_213 Depth=1
	v_lshrrev_b32_e32 v40, 24, v38
	v_cmp_ne_u32_e32 vcc, s9, v40
	v_bfrev_b32_e32 v62, 1
	s_and_saveexec_b64 s[14:15], vcc
	s_cbranch_execz .LBB632_404
; %bb.401:                              ;   in Loop: Header=BB632_213 Depth=1
	v_bfe_u32 v38, v38, 24, 7
	v_cmp_ne_u32_e32 vcc, s19, v38
	v_mov_b32_e32 v62, 0x7f800001
	s_and_saveexec_b64 s[16:17], vcc
	s_cbranch_execz .LBB632_403
; %bb.402:                              ;   in Loop: Header=BB632_213 Depth=1
	v_and_b32_e32 v42, 7, v40
	v_ffbh_u32_e32 v62, v42
	v_min_u32_e32 v65, 32, v62
	v_subrev_u32_e32 v62, 28, v65
	v_lshlrev_b64 v[62:63], v62, v[40:41]
	v_lshrrev_b32_e32 v64, 3, v38
	v_sub_u32_e32 v63, 29, v65
	v_and_b32_e32 v62, 7, v62
	v_cmp_gt_u32_e32 vcc, 8, v38
	v_cndmask_b32_e32 v38, v64, v63, vcc
	v_cndmask_b32_e32 v42, v42, v62, vcc
	v_lshlrev_b32_e32 v40, 24, v40
	v_lshlrev_b32_e32 v42, 20, v42
	v_and_b32_e32 v40, 0x80000000, v40
	v_lshl_add_u32 v38, v38, 23, v48
	v_or3_b32 v62, v40, v38, v42
.LBB632_403:                            ;   in Loop: Header=BB632_213 Depth=1
	s_or_b64 exec, exec, s[16:17]
.LBB632_404:                            ;   in Loop: Header=BB632_213 Depth=1
	s_or_b64 exec, exec, s[14:15]
.LBB632_405:                            ;   in Loop: Header=BB632_213 Depth=1
	s_or_b64 exec, exec, s[12:13]
	v_cvt_pkrtz_f16_f32 v65, v44, v52
	buffer_load_dword v44, v60, s[0:3], 0 offen
	buffer_load_dword v42, v60, s[0:3], 0 offen offset:4
	buffer_load_dword v40, v60, s[0:3], 0 offen offset:8
	;; [unrolled: 1-line block ×3, first 2 shown]
	v_cvt_pkrtz_f16_f32 v64, v46, v50
	v_cvt_pkrtz_f16_f32 v50, v51, v61
	;; [unrolled: 1-line block ×3, first 2 shown]
	v_mfma_f32_16x16x16f16 v[34:37], v[64:65], v[14:15], v[34:37]
	s_waitcnt vmcnt(3)
	v_cmp_ne_u16_sdwa s[14:15], v44, v47 src0_sel:BYTE_0 src1_sel:DWORD
	v_mfma_f32_16x16x16f16 v[34:37], v[50:51], v[16:17], v[34:37]
	s_and_saveexec_b64 s[12:13], s[14:15]
	s_cbranch_execz .LBB632_411
; %bb.406:                              ;   in Loop: Header=BB632_213 Depth=1
	v_cmp_ne_u16_sdwa s[16:17], v44, s9 src0_sel:BYTE_0 src1_sel:DWORD
	v_bfrev_b32_e32 v49, 1
	s_and_saveexec_b64 s[14:15], s[16:17]
	s_cbranch_execz .LBB632_410
; %bb.407:                              ;   in Loop: Header=BB632_213 Depth=1
	v_and_b32_e32 v46, 0x7f, v44
	v_cmp_ne_u32_e32 vcc, s19, v46
	v_mov_b32_e32 v49, 0x7f800001
	s_and_saveexec_b64 s[16:17], vcc
	s_cbranch_execz .LBB632_409
; %bb.408:                              ;   in Loop: Header=BB632_213 Depth=1
	v_and_b32_e32 v49, 7, v44
	v_ffbh_u32_e32 v50, v49
	v_min_u32_e32 v53, 32, v50
	v_subrev_u32_e32 v50, 28, v53
	v_lshlrev_b64 v[50:51], v50, v[44:45]
	v_lshrrev_b32_e32 v52, 3, v46
	v_sub_u32_e32 v51, 29, v53
	v_and_b32_e32 v50, 7, v50
	v_cmp_gt_u32_e32 vcc, 8, v46
	v_cndmask_b32_e32 v46, v52, v51, vcc
	v_cndmask_b32_e32 v49, v49, v50, vcc
	v_lshlrev_b32_e32 v50, 24, v44
	v_lshlrev_b32_e32 v49, 20, v49
	v_and_b32_e32 v50, 0x80000000, v50
	v_lshl_add_u32 v46, v46, 23, v48
	v_or3_b32 v49, v50, v46, v49
.LBB632_409:                            ;   in Loop: Header=BB632_213 Depth=1
	s_or_b64 exec, exec, s[16:17]
.LBB632_410:                            ;   in Loop: Header=BB632_213 Depth=1
	s_or_b64 exec, exec, s[14:15]
.LBB632_411:                            ;   in Loop: Header=BB632_213 Depth=1
	s_or_b64 exec, exec, s[12:13]
	v_lshrrev_b16_e32 v46, 8, v44
	v_cmp_ne_u16_e32 vcc, 0, v46
	v_mov_b32_e32 v50, 0
	v_mov_b32_e32 v51, 0
	s_and_saveexec_b64 s[12:13], vcc
	s_cbranch_execz .LBB632_417
; %bb.412:                              ;   in Loop: Header=BB632_213 Depth=1
	v_cmp_ne_u16_e32 vcc, s9, v46
	v_bfrev_b32_e32 v51, 1
	s_and_saveexec_b64 s[14:15], vcc
	s_cbranch_execz .LBB632_416
; %bb.413:                              ;   in Loop: Header=BB632_213 Depth=1
	v_and_b32_e32 v52, 0x7f, v46
	v_cmp_ne_u32_e32 vcc, s19, v52
	v_mov_b32_e32 v51, 0x7f800001
	s_and_saveexec_b64 s[16:17], vcc
	s_cbranch_execz .LBB632_415
; %bb.414:                              ;   in Loop: Header=BB632_213 Depth=1
	v_and_b32_e32 v51, 7, v46
	v_ffbh_u32_e32 v60, v51
	v_min_u32_e32 v62, 32, v60
	v_subrev_u32_e32 v60, 28, v62
	v_lshlrev_b64 v[60:61], v60, v[46:47]
	v_lshrrev_b32_e32 v53, 3, v52
	v_sub_u32_e32 v46, 29, v62
	v_and_b32_e32 v60, 7, v60
	v_cmp_gt_u32_e32 vcc, 8, v52
	v_cndmask_b32_e32 v46, v53, v46, vcc
	v_cndmask_b32_e32 v51, v51, v60, vcc
	v_lshlrev_b32_e32 v52, 16, v44
	v_lshlrev_b32_e32 v51, 20, v51
	v_and_b32_e32 v52, 0x80000000, v52
	v_lshl_add_u32 v46, v46, 23, v48
	v_or3_b32 v51, v52, v46, v51
.LBB632_415:                            ;   in Loop: Header=BB632_213 Depth=1
	s_or_b64 exec, exec, s[16:17]
.LBB632_416:                            ;   in Loop: Header=BB632_213 Depth=1
	s_or_b64 exec, exec, s[14:15]
.LBB632_417:                            ;   in Loop: Header=BB632_213 Depth=1
	s_or_b64 exec, exec, s[12:13]
	v_lshrrev_b32_e32 v46, 16, v44
	v_cmp_ne_u16_sdwa s[14:15], v46, v47 src0_sel:BYTE_0 src1_sel:DWORD
	s_and_saveexec_b64 s[12:13], s[14:15]
	s_cbranch_execz .LBB632_423
; %bb.418:                              ;   in Loop: Header=BB632_213 Depth=1
	v_cmp_ne_u16_sdwa s[16:17], v46, s9 src0_sel:BYTE_0 src1_sel:DWORD
	v_bfrev_b32_e32 v50, 1
	s_and_saveexec_b64 s[14:15], s[16:17]
	s_cbranch_execz .LBB632_422
; %bb.419:                              ;   in Loop: Header=BB632_213 Depth=1
	v_bfe_u32 v52, v44, 16, 7
	v_cmp_ne_u32_e32 vcc, s19, v52
	v_mov_b32_e32 v50, 0x7f800001
	s_and_saveexec_b64 s[16:17], vcc
	s_cbranch_execz .LBB632_421
; %bb.420:                              ;   in Loop: Header=BB632_213 Depth=1
	v_and_b32_e32 v50, 7, v46
	v_ffbh_u32_e32 v60, v50
	v_min_u32_e32 v62, 32, v60
	v_subrev_u32_e32 v60, 28, v62
	v_lshlrev_b64 v[60:61], v60, v[46:47]
	v_lshrrev_b32_e32 v53, 3, v52
	v_sub_u32_e32 v61, 29, v62
	v_and_b32_e32 v60, 7, v60
	v_cmp_gt_u32_e32 vcc, 8, v52
	v_cndmask_b32_e32 v52, v53, v61, vcc
	v_cndmask_b32_e32 v50, v50, v60, vcc
	v_lshlrev_b32_e32 v46, 24, v46
	v_lshlrev_b32_e32 v50, 20, v50
	v_and_b32_e32 v46, 0x80000000, v46
	v_lshl_add_u32 v52, v52, 23, v48
	v_or3_b32 v50, v46, v52, v50
.LBB632_421:                            ;   in Loop: Header=BB632_213 Depth=1
	s_or_b64 exec, exec, s[16:17]
.LBB632_422:                            ;   in Loop: Header=BB632_213 Depth=1
	s_or_b64 exec, exec, s[14:15]
.LBB632_423:                            ;   in Loop: Header=BB632_213 Depth=1
	s_or_b64 exec, exec, s[12:13]
	v_cmp_lt_u32_e32 vcc, s20, v44
	v_mov_b32_e32 v52, 0
	v_mov_b32_e32 v53, 0
	s_and_saveexec_b64 s[12:13], vcc
	s_cbranch_execz .LBB632_429
; %bb.424:                              ;   in Loop: Header=BB632_213 Depth=1
	v_lshrrev_b32_e32 v46, 24, v44
	v_cmp_ne_u32_e32 vcc, s9, v46
	v_bfrev_b32_e32 v53, 1
	s_and_saveexec_b64 s[14:15], vcc
	s_cbranch_execz .LBB632_428
; %bb.425:                              ;   in Loop: Header=BB632_213 Depth=1
	v_bfe_u32 v44, v44, 24, 7
	v_cmp_ne_u32_e32 vcc, s19, v44
	v_mov_b32_e32 v53, 0x7f800001
	s_and_saveexec_b64 s[16:17], vcc
	s_cbranch_execz .LBB632_427
; %bb.426:                              ;   in Loop: Header=BB632_213 Depth=1
	v_and_b32_e32 v53, 7, v46
	v_ffbh_u32_e32 v60, v53
	v_min_u32_e32 v63, 32, v60
	v_subrev_u32_e32 v60, 28, v63
	v_lshlrev_b64 v[60:61], v60, v[46:47]
	v_lshrrev_b32_e32 v62, 3, v44
	v_sub_u32_e32 v61, 29, v63
	v_and_b32_e32 v60, 7, v60
	v_cmp_gt_u32_e32 vcc, 8, v44
	v_cndmask_b32_e32 v44, v62, v61, vcc
	v_cndmask_b32_e32 v53, v53, v60, vcc
	v_lshlrev_b32_e32 v46, 24, v46
	v_lshlrev_b32_e32 v53, 20, v53
	v_and_b32_e32 v46, 0x80000000, v46
	v_lshl_add_u32 v44, v44, 23, v48
	v_or3_b32 v53, v46, v44, v53
.LBB632_427:                            ;   in Loop: Header=BB632_213 Depth=1
	s_or_b64 exec, exec, s[16:17]
.LBB632_428:                            ;   in Loop: Header=BB632_213 Depth=1
	s_or_b64 exec, exec, s[14:15]
.LBB632_429:                            ;   in Loop: Header=BB632_213 Depth=1
	s_or_b64 exec, exec, s[12:13]
	s_waitcnt vmcnt(2)
	v_cmp_ne_u16_sdwa s[14:15], v42, v47 src0_sel:BYTE_0 src1_sel:DWORD
	s_and_saveexec_b64 s[12:13], s[14:15]
	s_cbranch_execz .LBB632_435
; %bb.430:                              ;   in Loop: Header=BB632_213 Depth=1
	v_cmp_ne_u16_sdwa s[16:17], v42, s9 src0_sel:BYTE_0 src1_sel:DWORD
	v_bfrev_b32_e32 v52, 1
	s_and_saveexec_b64 s[14:15], s[16:17]
	s_cbranch_execz .LBB632_434
; %bb.431:                              ;   in Loop: Header=BB632_213 Depth=1
	v_and_b32_e32 v44, 0x7f, v42
	v_cmp_ne_u32_e32 vcc, s19, v44
	v_mov_b32_e32 v52, 0x7f800001
	s_and_saveexec_b64 s[16:17], vcc
	s_cbranch_execz .LBB632_433
; %bb.432:                              ;   in Loop: Header=BB632_213 Depth=1
	v_and_b32_e32 v46, 7, v42
	v_ffbh_u32_e32 v60, v46
	v_min_u32_e32 v62, 32, v60
	v_subrev_u32_e32 v60, 28, v62
	v_lshlrev_b64 v[60:61], v60, v[42:43]
	v_lshrrev_b32_e32 v52, 3, v44
	v_sub_u32_e32 v61, 29, v62
	v_and_b32_e32 v60, 7, v60
	v_cmp_gt_u32_e32 vcc, 8, v44
	v_cndmask_b32_e32 v44, v52, v61, vcc
	v_cndmask_b32_e32 v46, v46, v60, vcc
	v_lshlrev_b32_e32 v52, 24, v42
	v_lshlrev_b32_e32 v46, 20, v46
	v_and_b32_e32 v52, 0x80000000, v52
	v_lshl_add_u32 v44, v44, 23, v48
	v_or3_b32 v52, v52, v44, v46
.LBB632_433:                            ;   in Loop: Header=BB632_213 Depth=1
	s_or_b64 exec, exec, s[16:17]
.LBB632_434:                            ;   in Loop: Header=BB632_213 Depth=1
	s_or_b64 exec, exec, s[14:15]
.LBB632_435:                            ;   in Loop: Header=BB632_213 Depth=1
	s_or_b64 exec, exec, s[12:13]
	v_lshrrev_b16_e32 v44, 8, v42
	v_cmp_ne_u16_e32 vcc, 0, v44
	v_mov_b32_e32 v60, 0
	v_mov_b32_e32 v61, 0
	s_and_saveexec_b64 s[12:13], vcc
	s_cbranch_execz .LBB632_441
; %bb.436:                              ;   in Loop: Header=BB632_213 Depth=1
	v_cmp_ne_u16_e32 vcc, s9, v44
	v_bfrev_b32_e32 v61, 1
	s_and_saveexec_b64 s[14:15], vcc
	s_cbranch_execz .LBB632_440
; %bb.437:                              ;   in Loop: Header=BB632_213 Depth=1
	v_and_b32_e32 v46, 0x7f, v44
	v_cmp_ne_u32_e32 vcc, s19, v46
	v_mov_b32_e32 v61, 0x7f800001
	s_and_saveexec_b64 s[16:17], vcc
	s_cbranch_execz .LBB632_439
; %bb.438:                              ;   in Loop: Header=BB632_213 Depth=1
	v_and_b32_e32 v61, 7, v44
	v_ffbh_u32_e32 v62, v61
	v_min_u32_e32 v65, 32, v62
	v_subrev_u32_e32 v62, 28, v65
	v_lshlrev_b64 v[62:63], v62, v[44:45]
	v_lshrrev_b32_e32 v64, 3, v46
	v_sub_u32_e32 v44, 29, v65
	v_and_b32_e32 v62, 7, v62
	v_cmp_gt_u32_e32 vcc, 8, v46
	v_cndmask_b32_e32 v44, v64, v44, vcc
	v_cndmask_b32_e32 v46, v61, v62, vcc
	v_lshlrev_b32_e32 v61, 16, v42
	v_lshlrev_b32_e32 v46, 20, v46
	v_and_b32_e32 v61, 0x80000000, v61
	v_lshl_add_u32 v44, v44, 23, v48
	v_or3_b32 v61, v61, v44, v46
.LBB632_439:                            ;   in Loop: Header=BB632_213 Depth=1
	s_or_b64 exec, exec, s[16:17]
.LBB632_440:                            ;   in Loop: Header=BB632_213 Depth=1
	s_or_b64 exec, exec, s[14:15]
.LBB632_441:                            ;   in Loop: Header=BB632_213 Depth=1
	s_or_b64 exec, exec, s[12:13]
	v_lshrrev_b32_e32 v44, 16, v42
	v_cmp_ne_u16_sdwa s[14:15], v44, v47 src0_sel:BYTE_0 src1_sel:DWORD
	s_and_saveexec_b64 s[12:13], s[14:15]
	s_cbranch_execz .LBB632_447
; %bb.442:                              ;   in Loop: Header=BB632_213 Depth=1
	v_cmp_ne_u16_sdwa s[16:17], v44, s9 src0_sel:BYTE_0 src1_sel:DWORD
	v_bfrev_b32_e32 v60, 1
	s_and_saveexec_b64 s[14:15], s[16:17]
	s_cbranch_execz .LBB632_446
; %bb.443:                              ;   in Loop: Header=BB632_213 Depth=1
	v_bfe_u32 v46, v42, 16, 7
	v_cmp_ne_u32_e32 vcc, s19, v46
	v_mov_b32_e32 v60, 0x7f800001
	s_and_saveexec_b64 s[16:17], vcc
	s_cbranch_execz .LBB632_445
; %bb.444:                              ;   in Loop: Header=BB632_213 Depth=1
	v_and_b32_e32 v60, 7, v44
	v_ffbh_u32_e32 v62, v60
	v_min_u32_e32 v65, 32, v62
	v_subrev_u32_e32 v62, 28, v65
	v_lshlrev_b64 v[62:63], v62, v[44:45]
	v_lshrrev_b32_e32 v64, 3, v46
	v_sub_u32_e32 v63, 29, v65
	v_and_b32_e32 v62, 7, v62
	v_cmp_gt_u32_e32 vcc, 8, v46
	v_cndmask_b32_e32 v46, v64, v63, vcc
	v_cndmask_b32_e32 v60, v60, v62, vcc
	v_lshlrev_b32_e32 v44, 24, v44
	v_lshlrev_b32_e32 v60, 20, v60
	v_and_b32_e32 v44, 0x80000000, v44
	v_lshl_add_u32 v46, v46, 23, v48
	v_or3_b32 v60, v44, v46, v60
.LBB632_445:                            ;   in Loop: Header=BB632_213 Depth=1
	s_or_b64 exec, exec, s[16:17]
.LBB632_446:                            ;   in Loop: Header=BB632_213 Depth=1
	s_or_b64 exec, exec, s[14:15]
.LBB632_447:                            ;   in Loop: Header=BB632_213 Depth=1
	s_or_b64 exec, exec, s[12:13]
	v_cmp_lt_u32_e32 vcc, s20, v42
	v_mov_b32_e32 v46, 0
	v_mov_b32_e32 v62, 0
	s_and_saveexec_b64 s[12:13], vcc
	s_cbranch_execz .LBB632_453
; %bb.448:                              ;   in Loop: Header=BB632_213 Depth=1
	v_lshrrev_b32_e32 v44, 24, v42
	v_cmp_ne_u32_e32 vcc, s9, v44
	v_bfrev_b32_e32 v62, 1
	s_and_saveexec_b64 s[14:15], vcc
	s_cbranch_execz .LBB632_452
; %bb.449:                              ;   in Loop: Header=BB632_213 Depth=1
	v_bfe_u32 v42, v42, 24, 7
	v_cmp_ne_u32_e32 vcc, s19, v42
	v_mov_b32_e32 v62, 0x7f800001
	s_and_saveexec_b64 s[16:17], vcc
	s_cbranch_execz .LBB632_451
; %bb.450:                              ;   in Loop: Header=BB632_213 Depth=1
	v_and_b32_e32 v64, 7, v44
	v_ffbh_u32_e32 v62, v64
	v_min_u32_e32 v66, 32, v62
	v_subrev_u32_e32 v62, 28, v66
	v_lshlrev_b64 v[62:63], v62, v[44:45]
	v_lshrrev_b32_e32 v65, 3, v42
	v_sub_u32_e32 v63, 29, v66
	v_and_b32_e32 v62, 7, v62
	v_cmp_gt_u32_e32 vcc, 8, v42
	v_cndmask_b32_e32 v42, v65, v63, vcc
	v_cndmask_b32_e32 v62, v64, v62, vcc
	v_lshlrev_b32_e32 v44, 24, v44
	v_lshlrev_b32_e32 v62, 20, v62
	v_and_b32_e32 v44, 0x80000000, v44
	v_lshl_add_u32 v42, v42, 23, v48
	v_or3_b32 v62, v44, v42, v62
.LBB632_451:                            ;   in Loop: Header=BB632_213 Depth=1
	s_or_b64 exec, exec, s[16:17]
.LBB632_452:                            ;   in Loop: Header=BB632_213 Depth=1
	s_or_b64 exec, exec, s[14:15]
.LBB632_453:                            ;   in Loop: Header=BB632_213 Depth=1
	s_or_b64 exec, exec, s[12:13]
	v_cvt_pkrtz_f16_f32 v64, v49, v51
	v_cvt_pkrtz_f16_f32 v65, v50, v53
	;; [unrolled: 1-line block ×4, first 2 shown]
	s_waitcnt vmcnt(1)
	v_cmp_ne_u16_sdwa s[14:15], v40, v47 src0_sel:BYTE_0 src1_sel:DWORD
	v_mfma_f32_16x16x16f16 v[34:37], v[64:65], v[18:19], v[34:37]
	v_mfma_f32_16x16x16f16 v[34:37], v[50:51], v[20:21], v[34:37]
	s_and_saveexec_b64 s[12:13], s[14:15]
	s_cbranch_execz .LBB632_459
; %bb.454:                              ;   in Loop: Header=BB632_213 Depth=1
	v_cmp_ne_u16_sdwa s[16:17], v40, s9 src0_sel:BYTE_0 src1_sel:DWORD
	v_bfrev_b32_e32 v46, 1
	s_and_saveexec_b64 s[14:15], s[16:17]
	s_cbranch_execz .LBB632_458
; %bb.455:                              ;   in Loop: Header=BB632_213 Depth=1
	v_and_b32_e32 v42, 0x7f, v40
	v_cmp_ne_u32_e32 vcc, s19, v42
	v_mov_b32_e32 v46, 0x7f800001
	s_and_saveexec_b64 s[16:17], vcc
	s_cbranch_execz .LBB632_457
; %bb.456:                              ;   in Loop: Header=BB632_213 Depth=1
	v_and_b32_e32 v44, 7, v40
	v_ffbh_u32_e32 v49, v44
	v_min_u32_e32 v49, 32, v49
	v_subrev_u32_e32 v50, 28, v49
	v_lshlrev_b64 v[50:51], v50, v[40:41]
	v_lshrrev_b32_e32 v46, 3, v42
	v_sub_u32_e32 v49, 29, v49
	v_and_b32_e32 v50, 7, v50
	v_cmp_gt_u32_e32 vcc, 8, v42
	v_cndmask_b32_e32 v42, v46, v49, vcc
	v_cndmask_b32_e32 v44, v44, v50, vcc
	v_lshlrev_b32_e32 v46, 24, v40
	v_lshlrev_b32_e32 v44, 20, v44
	v_and_b32_e32 v46, 0x80000000, v46
	v_lshl_add_u32 v42, v42, 23, v48
	v_or3_b32 v46, v46, v42, v44
.LBB632_457:                            ;   in Loop: Header=BB632_213 Depth=1
	s_or_b64 exec, exec, s[16:17]
.LBB632_458:                            ;   in Loop: Header=BB632_213 Depth=1
	s_or_b64 exec, exec, s[14:15]
.LBB632_459:                            ;   in Loop: Header=BB632_213 Depth=1
	s_or_b64 exec, exec, s[12:13]
	v_lshrrev_b16_e32 v42, 8, v40
	v_cmp_ne_u16_e32 vcc, 0, v42
	v_mov_b32_e32 v44, 0
	v_mov_b32_e32 v50, 0
	s_and_saveexec_b64 s[12:13], vcc
	s_cbranch_execz .LBB632_465
; %bb.460:                              ;   in Loop: Header=BB632_213 Depth=1
	v_cmp_ne_u16_e32 vcc, s9, v42
	v_bfrev_b32_e32 v50, 1
	s_and_saveexec_b64 s[14:15], vcc
	s_cbranch_execz .LBB632_464
; %bb.461:                              ;   in Loop: Header=BB632_213 Depth=1
	v_and_b32_e32 v49, 0x7f, v42
	v_cmp_ne_u32_e32 vcc, s19, v49
	v_mov_b32_e32 v50, 0x7f800001
	s_and_saveexec_b64 s[16:17], vcc
	s_cbranch_execz .LBB632_463
; %bb.462:                              ;   in Loop: Header=BB632_213 Depth=1
	v_and_b32_e32 v52, 7, v42
	v_ffbh_u32_e32 v50, v52
	v_min_u32_e32 v60, 32, v50
	v_subrev_u32_e32 v50, 28, v60
	v_lshlrev_b64 v[50:51], v50, v[42:43]
	v_lshrrev_b32_e32 v53, 3, v49
	v_sub_u32_e32 v42, 29, v60
	v_and_b32_e32 v50, 7, v50
	v_cmp_gt_u32_e32 vcc, 8, v49
	v_cndmask_b32_e32 v42, v53, v42, vcc
	v_cndmask_b32_e32 v49, v52, v50, vcc
	v_lshlrev_b32_e32 v50, 16, v40
	v_lshlrev_b32_e32 v49, 20, v49
	v_and_b32_e32 v50, 0x80000000, v50
	v_lshl_add_u32 v42, v42, 23, v48
	v_or3_b32 v50, v50, v42, v49
.LBB632_463:                            ;   in Loop: Header=BB632_213 Depth=1
	s_or_b64 exec, exec, s[16:17]
.LBB632_464:                            ;   in Loop: Header=BB632_213 Depth=1
	s_or_b64 exec, exec, s[14:15]
.LBB632_465:                            ;   in Loop: Header=BB632_213 Depth=1
	s_or_b64 exec, exec, s[12:13]
	v_lshrrev_b32_e32 v42, 16, v40
	v_cmp_ne_u16_sdwa s[14:15], v42, v47 src0_sel:BYTE_0 src1_sel:DWORD
	s_and_saveexec_b64 s[12:13], s[14:15]
	s_cbranch_execz .LBB632_471
; %bb.466:                              ;   in Loop: Header=BB632_213 Depth=1
	v_cmp_ne_u16_sdwa s[16:17], v42, s9 src0_sel:BYTE_0 src1_sel:DWORD
	v_bfrev_b32_e32 v44, 1
	s_and_saveexec_b64 s[14:15], s[16:17]
	s_cbranch_execz .LBB632_470
; %bb.467:                              ;   in Loop: Header=BB632_213 Depth=1
	v_bfe_u32 v49, v40, 16, 7
	v_cmp_ne_u32_e32 vcc, s19, v49
	v_mov_b32_e32 v44, 0x7f800001
	s_and_saveexec_b64 s[16:17], vcc
	s_cbranch_execz .LBB632_469
; %bb.468:                              ;   in Loop: Header=BB632_213 Depth=1
	v_and_b32_e32 v44, 7, v42
	v_ffbh_u32_e32 v52, v44
	v_min_u32_e32 v60, 32, v52
	v_subrev_u32_e32 v52, 28, v60
	v_lshlrev_b64 v[52:53], v52, v[42:43]
	v_lshrrev_b32_e32 v51, 3, v49
	v_sub_u32_e32 v53, 29, v60
	v_and_b32_e32 v52, 7, v52
	v_cmp_gt_u32_e32 vcc, 8, v49
	v_cndmask_b32_e32 v49, v51, v53, vcc
	v_cndmask_b32_e32 v44, v44, v52, vcc
	v_lshlrev_b32_e32 v42, 24, v42
	v_lshlrev_b32_e32 v44, 20, v44
	v_and_b32_e32 v42, 0x80000000, v42
	v_lshl_add_u32 v49, v49, 23, v48
	v_or3_b32 v44, v42, v49, v44
.LBB632_469:                            ;   in Loop: Header=BB632_213 Depth=1
	s_or_b64 exec, exec, s[16:17]
.LBB632_470:                            ;   in Loop: Header=BB632_213 Depth=1
	s_or_b64 exec, exec, s[14:15]
.LBB632_471:                            ;   in Loop: Header=BB632_213 Depth=1
	s_or_b64 exec, exec, s[12:13]
	v_cmp_lt_u32_e32 vcc, s20, v40
	v_mov_b32_e32 v51, 0
	v_mov_b32_e32 v52, 0
	s_and_saveexec_b64 s[12:13], vcc
	s_cbranch_execz .LBB632_477
; %bb.472:                              ;   in Loop: Header=BB632_213 Depth=1
	v_lshrrev_b32_e32 v42, 24, v40
	v_cmp_ne_u32_e32 vcc, s9, v42
	v_bfrev_b32_e32 v52, 1
	s_and_saveexec_b64 s[14:15], vcc
	s_cbranch_execz .LBB632_476
; %bb.473:                              ;   in Loop: Header=BB632_213 Depth=1
	v_bfe_u32 v40, v40, 24, 7
	v_cmp_ne_u32_e32 vcc, s19, v40
	v_mov_b32_e32 v52, 0x7f800001
	s_and_saveexec_b64 s[16:17], vcc
	s_cbranch_execz .LBB632_475
; %bb.474:                              ;   in Loop: Header=BB632_213 Depth=1
	v_and_b32_e32 v49, 7, v42
	v_ffbh_u32_e32 v52, v49
	v_min_u32_e32 v61, 32, v52
	v_subrev_u32_e32 v52, 28, v61
	v_lshlrev_b64 v[52:53], v52, v[42:43]
	v_lshrrev_b32_e32 v60, 3, v40
	v_sub_u32_e32 v53, 29, v61
	v_and_b32_e32 v52, 7, v52
	v_cmp_gt_u32_e32 vcc, 8, v40
	v_cndmask_b32_e32 v40, v60, v53, vcc
	v_cndmask_b32_e32 v49, v49, v52, vcc
	v_lshlrev_b32_e32 v42, 24, v42
	v_lshlrev_b32_e32 v49, 20, v49
	v_and_b32_e32 v42, 0x80000000, v42
	v_lshl_add_u32 v40, v40, 23, v48
	v_or3_b32 v52, v42, v40, v49
.LBB632_475:                            ;   in Loop: Header=BB632_213 Depth=1
	s_or_b64 exec, exec, s[16:17]
.LBB632_476:                            ;   in Loop: Header=BB632_213 Depth=1
	s_or_b64 exec, exec, s[14:15]
.LBB632_477:                            ;   in Loop: Header=BB632_213 Depth=1
	s_or_b64 exec, exec, s[12:13]
	s_waitcnt vmcnt(0)
	v_cmp_ne_u16_sdwa s[14:15], v38, v47 src0_sel:BYTE_0 src1_sel:DWORD
	s_and_saveexec_b64 s[12:13], s[14:15]
	s_cbranch_execz .LBB632_483
; %bb.478:                              ;   in Loop: Header=BB632_213 Depth=1
	v_cmp_ne_u16_sdwa s[16:17], v38, s9 src0_sel:BYTE_0 src1_sel:DWORD
	v_bfrev_b32_e32 v51, 1
	s_and_saveexec_b64 s[14:15], s[16:17]
	s_cbranch_execz .LBB632_482
; %bb.479:                              ;   in Loop: Header=BB632_213 Depth=1
	v_and_b32_e32 v40, 0x7f, v38
	v_cmp_ne_u32_e32 vcc, s19, v40
	v_mov_b32_e32 v51, 0x7f800001
	s_and_saveexec_b64 s[16:17], vcc
	s_cbranch_execz .LBB632_481
; %bb.480:                              ;   in Loop: Header=BB632_213 Depth=1
	v_and_b32_e32 v42, 7, v38
	v_ffbh_u32_e32 v51, v42
	v_min_u32_e32 v51, 32, v51
	v_subrev_u32_e32 v53, 28, v51
	v_lshlrev_b64 v[60:61], v53, v[38:39]
	v_lshrrev_b32_e32 v49, 3, v40
	v_sub_u32_e32 v51, 29, v51
	v_and_b32_e32 v53, 7, v60
	v_cmp_gt_u32_e32 vcc, 8, v40
	v_cndmask_b32_e32 v40, v49, v51, vcc
	v_cndmask_b32_e32 v42, v42, v53, vcc
	v_lshlrev_b32_e32 v49, 24, v38
	v_lshlrev_b32_e32 v42, 20, v42
	v_and_b32_e32 v49, 0x80000000, v49
	v_lshl_add_u32 v40, v40, 23, v48
	v_or3_b32 v51, v49, v40, v42
.LBB632_481:                            ;   in Loop: Header=BB632_213 Depth=1
	s_or_b64 exec, exec, s[16:17]
.LBB632_482:                            ;   in Loop: Header=BB632_213 Depth=1
	s_or_b64 exec, exec, s[14:15]
.LBB632_483:                            ;   in Loop: Header=BB632_213 Depth=1
	s_or_b64 exec, exec, s[12:13]
	v_lshrrev_b16_e32 v40, 8, v38
	v_cmp_ne_u16_e32 vcc, 0, v40
	v_mov_b32_e32 v53, 0
	v_mov_b32_e32 v60, 0
	s_and_saveexec_b64 s[12:13], vcc
	s_cbranch_execz .LBB632_489
; %bb.484:                              ;   in Loop: Header=BB632_213 Depth=1
	v_cmp_ne_u16_e32 vcc, s9, v40
	v_bfrev_b32_e32 v60, 1
	s_and_saveexec_b64 s[14:15], vcc
	s_cbranch_execz .LBB632_488
; %bb.485:                              ;   in Loop: Header=BB632_213 Depth=1
	v_and_b32_e32 v42, 0x7f, v40
	v_cmp_ne_u32_e32 vcc, s19, v42
	v_mov_b32_e32 v60, 0x7f800001
	s_and_saveexec_b64 s[16:17], vcc
	s_cbranch_execz .LBB632_487
; %bb.486:                              ;   in Loop: Header=BB632_213 Depth=1
	v_and_b32_e32 v49, 7, v40
	v_ffbh_u32_e32 v60, v49
	v_min_u32_e32 v63, 32, v60
	v_subrev_u32_e32 v60, 28, v63
	v_lshlrev_b64 v[60:61], v60, v[40:41]
	v_lshrrev_b32_e32 v62, 3, v42
	v_sub_u32_e32 v40, 29, v63
	v_and_b32_e32 v60, 7, v60
	v_cmp_gt_u32_e32 vcc, 8, v42
	v_cndmask_b32_e32 v40, v62, v40, vcc
	v_cndmask_b32_e32 v42, v49, v60, vcc
	v_lshlrev_b32_e32 v49, 16, v38
	v_lshlrev_b32_e32 v42, 20, v42
	v_and_b32_e32 v49, 0x80000000, v49
	v_lshl_add_u32 v40, v40, 23, v48
	v_or3_b32 v60, v49, v40, v42
.LBB632_487:                            ;   in Loop: Header=BB632_213 Depth=1
	s_or_b64 exec, exec, s[16:17]
.LBB632_488:                            ;   in Loop: Header=BB632_213 Depth=1
	s_or_b64 exec, exec, s[14:15]
.LBB632_489:                            ;   in Loop: Header=BB632_213 Depth=1
	s_or_b64 exec, exec, s[12:13]
	v_lshrrev_b32_e32 v40, 16, v38
	v_cmp_ne_u16_sdwa s[14:15], v40, v47 src0_sel:BYTE_0 src1_sel:DWORD
	s_and_saveexec_b64 s[12:13], s[14:15]
	s_cbranch_execz .LBB632_495
; %bb.490:                              ;   in Loop: Header=BB632_213 Depth=1
	v_cmp_ne_u16_sdwa s[16:17], v40, s9 src0_sel:BYTE_0 src1_sel:DWORD
	v_bfrev_b32_e32 v53, 1
	s_and_saveexec_b64 s[14:15], s[16:17]
	s_cbranch_execz .LBB632_494
; %bb.491:                              ;   in Loop: Header=BB632_213 Depth=1
	v_bfe_u32 v42, v38, 16, 7
	v_cmp_ne_u32_e32 vcc, s19, v42
	v_mov_b32_e32 v53, 0x7f800001
	s_and_saveexec_b64 s[16:17], vcc
	s_cbranch_execz .LBB632_493
; %bb.492:                              ;   in Loop: Header=BB632_213 Depth=1
	v_and_b32_e32 v49, 7, v40
	v_ffbh_u32_e32 v61, v49
	v_min_u32_e32 v61, 32, v61
	v_subrev_u32_e32 v62, 28, v61
	v_lshlrev_b64 v[62:63], v62, v[40:41]
	v_lshrrev_b32_e32 v53, 3, v42
	v_sub_u32_e32 v61, 29, v61
	v_and_b32_e32 v62, 7, v62
	v_cmp_gt_u32_e32 vcc, 8, v42
	v_cndmask_b32_e32 v42, v53, v61, vcc
	v_cndmask_b32_e32 v49, v49, v62, vcc
	v_lshlrev_b32_e32 v40, 24, v40
	v_lshlrev_b32_e32 v49, 20, v49
	v_and_b32_e32 v40, 0x80000000, v40
	v_lshl_add_u32 v42, v42, 23, v48
	v_or3_b32 v53, v40, v42, v49
.LBB632_493:                            ;   in Loop: Header=BB632_213 Depth=1
	s_or_b64 exec, exec, s[16:17]
.LBB632_494:                            ;   in Loop: Header=BB632_213 Depth=1
	s_or_b64 exec, exec, s[14:15]
.LBB632_495:                            ;   in Loop: Header=BB632_213 Depth=1
	s_or_b64 exec, exec, s[12:13]
	v_cmp_lt_u32_e32 vcc, s20, v38
	v_mov_b32_e32 v49, 0
	v_mov_b32_e32 v61, 0
	s_and_saveexec_b64 s[12:13], vcc
	s_cbranch_execz .LBB632_501
; %bb.496:                              ;   in Loop: Header=BB632_213 Depth=1
	v_lshrrev_b32_e32 v40, 24, v38
	v_cmp_ne_u32_e32 vcc, s9, v40
	v_bfrev_b32_e32 v61, 1
	s_and_saveexec_b64 s[14:15], vcc
	s_cbranch_execz .LBB632_500
; %bb.497:                              ;   in Loop: Header=BB632_213 Depth=1
	v_bfe_u32 v38, v38, 24, 7
	v_cmp_ne_u32_e32 vcc, s19, v38
	v_mov_b32_e32 v61, 0x7f800001
	s_and_saveexec_b64 s[16:17], vcc
	s_cbranch_execz .LBB632_499
; %bb.498:                              ;   in Loop: Header=BB632_213 Depth=1
	v_and_b32_e32 v42, 7, v40
	v_ffbh_u32_e32 v62, v42
	v_min_u32_e32 v64, 32, v62
	v_subrev_u32_e32 v62, 28, v64
	v_lshlrev_b64 v[62:63], v62, v[40:41]
	v_lshrrev_b32_e32 v61, 3, v38
	v_sub_u32_e32 v63, 29, v64
	v_and_b32_e32 v62, 7, v62
	v_cmp_gt_u32_e32 vcc, 8, v38
	v_cndmask_b32_e32 v38, v61, v63, vcc
	v_cndmask_b32_e32 v42, v42, v62, vcc
	v_lshlrev_b32_e32 v40, 24, v40
	v_lshlrev_b32_e32 v42, 20, v42
	v_and_b32_e32 v40, 0x80000000, v40
	v_lshl_add_u32 v38, v38, 23, v48
	v_or3_b32 v61, v40, v38, v42
.LBB632_499:                            ;   in Loop: Header=BB632_213 Depth=1
	s_or_b64 exec, exec, s[16:17]
.LBB632_500:                            ;   in Loop: Header=BB632_213 Depth=1
	s_or_b64 exec, exec, s[14:15]
.LBB632_501:                            ;   in Loop: Header=BB632_213 Depth=1
	s_or_b64 exec, exec, s[12:13]
	v_cvt_pkrtz_f16_f32 v63, v44, v52
	buffer_load_dword v44, v59, s[0:3], 0 offen
	buffer_load_dword v42, v59, s[0:3], 0 offen offset:4
	buffer_load_dword v40, v59, s[0:3], 0 offen offset:8
	buffer_load_dword v38, v59, s[0:3], 0 offen offset:12
	v_cvt_pkrtz_f16_f32 v62, v46, v50
	v_cvt_pkrtz_f16_f32 v50, v51, v60
	;; [unrolled: 1-line block ×3, first 2 shown]
	v_mfma_f32_16x16x16f16 v[34:37], v[62:63], v[22:23], v[34:37]
	s_waitcnt vmcnt(3)
	v_cmp_ne_u16_sdwa s[14:15], v44, v47 src0_sel:BYTE_0 src1_sel:DWORD
	v_mfma_f32_16x16x16f16 v[34:37], v[50:51], v[24:25], v[34:37]
	s_and_saveexec_b64 s[12:13], s[14:15]
	s_cbranch_execz .LBB632_507
; %bb.502:                              ;   in Loop: Header=BB632_213 Depth=1
	v_cmp_ne_u16_sdwa s[16:17], v44, s9 src0_sel:BYTE_0 src1_sel:DWORD
	v_bfrev_b32_e32 v49, 1
	s_and_saveexec_b64 s[14:15], s[16:17]
	s_cbranch_execz .LBB632_506
; %bb.503:                              ;   in Loop: Header=BB632_213 Depth=1
	v_and_b32_e32 v46, 0x7f, v44
	v_cmp_ne_u32_e32 vcc, s19, v46
	v_mov_b32_e32 v49, 0x7f800001
	s_and_saveexec_b64 s[16:17], vcc
	s_cbranch_execz .LBB632_505
; %bb.504:                              ;   in Loop: Header=BB632_213 Depth=1
	v_and_b32_e32 v49, 7, v44
	v_ffbh_u32_e32 v50, v49
	v_min_u32_e32 v53, 32, v50
	v_subrev_u32_e32 v50, 28, v53
	v_lshlrev_b64 v[50:51], v50, v[44:45]
	v_lshrrev_b32_e32 v52, 3, v46
	v_sub_u32_e32 v51, 29, v53
	v_and_b32_e32 v50, 7, v50
	v_cmp_gt_u32_e32 vcc, 8, v46
	v_cndmask_b32_e32 v46, v52, v51, vcc
	v_cndmask_b32_e32 v49, v49, v50, vcc
	v_lshlrev_b32_e32 v50, 24, v44
	v_lshlrev_b32_e32 v49, 20, v49
	v_and_b32_e32 v50, 0x80000000, v50
	v_lshl_add_u32 v46, v46, 23, v48
	v_or3_b32 v49, v50, v46, v49
.LBB632_505:                            ;   in Loop: Header=BB632_213 Depth=1
	s_or_b64 exec, exec, s[16:17]
.LBB632_506:                            ;   in Loop: Header=BB632_213 Depth=1
	s_or_b64 exec, exec, s[14:15]
.LBB632_507:                            ;   in Loop: Header=BB632_213 Depth=1
	s_or_b64 exec, exec, s[12:13]
	v_lshrrev_b16_e32 v46, 8, v44
	v_cmp_ne_u16_e32 vcc, 0, v46
	v_mov_b32_e32 v50, 0
	v_mov_b32_e32 v51, 0
	s_and_saveexec_b64 s[12:13], vcc
	s_cbranch_execz .LBB632_513
; %bb.508:                              ;   in Loop: Header=BB632_213 Depth=1
	v_cmp_ne_u16_e32 vcc, s9, v46
	v_bfrev_b32_e32 v51, 1
	s_and_saveexec_b64 s[14:15], vcc
	s_cbranch_execz .LBB632_512
; %bb.509:                              ;   in Loop: Header=BB632_213 Depth=1
	v_and_b32_e32 v52, 0x7f, v46
	v_cmp_ne_u32_e32 vcc, s19, v52
	v_mov_b32_e32 v51, 0x7f800001
	s_and_saveexec_b64 s[16:17], vcc
	s_cbranch_execz .LBB632_511
; %bb.510:                              ;   in Loop: Header=BB632_213 Depth=1
	v_and_b32_e32 v51, 7, v46
	v_ffbh_u32_e32 v59, v51
	v_min_u32_e32 v59, 32, v59
	v_subrev_u32_e32 v60, 28, v59
	v_lshlrev_b64 v[60:61], v60, v[46:47]
	v_lshrrev_b32_e32 v53, 3, v52
	v_sub_u32_e32 v46, 29, v59
	v_and_b32_e32 v59, 7, v60
	v_cmp_gt_u32_e32 vcc, 8, v52
	v_cndmask_b32_e32 v46, v53, v46, vcc
	v_cndmask_b32_e32 v51, v51, v59, vcc
	v_lshlrev_b32_e32 v52, 16, v44
	v_lshlrev_b32_e32 v51, 20, v51
	v_and_b32_e32 v52, 0x80000000, v52
	v_lshl_add_u32 v46, v46, 23, v48
	v_or3_b32 v51, v52, v46, v51
.LBB632_511:                            ;   in Loop: Header=BB632_213 Depth=1
	s_or_b64 exec, exec, s[16:17]
.LBB632_512:                            ;   in Loop: Header=BB632_213 Depth=1
	s_or_b64 exec, exec, s[14:15]
.LBB632_513:                            ;   in Loop: Header=BB632_213 Depth=1
	s_or_b64 exec, exec, s[12:13]
	v_lshrrev_b32_e32 v46, 16, v44
	v_cmp_ne_u16_sdwa s[14:15], v46, v47 src0_sel:BYTE_0 src1_sel:DWORD
	s_and_saveexec_b64 s[12:13], s[14:15]
	s_cbranch_execz .LBB632_519
; %bb.514:                              ;   in Loop: Header=BB632_213 Depth=1
	v_cmp_ne_u16_sdwa s[16:17], v46, s9 src0_sel:BYTE_0 src1_sel:DWORD
	v_bfrev_b32_e32 v50, 1
	s_and_saveexec_b64 s[14:15], s[16:17]
	s_cbranch_execz .LBB632_518
; %bb.515:                              ;   in Loop: Header=BB632_213 Depth=1
	v_bfe_u32 v52, v44, 16, 7
	v_cmp_ne_u32_e32 vcc, s19, v52
	v_mov_b32_e32 v50, 0x7f800001
	s_and_saveexec_b64 s[16:17], vcc
	s_cbranch_execz .LBB632_517
; %bb.516:                              ;   in Loop: Header=BB632_213 Depth=1
	v_and_b32_e32 v50, 7, v46
	v_ffbh_u32_e32 v59, v50
	v_min_u32_e32 v59, 32, v59
	v_subrev_u32_e32 v60, 28, v59
	v_lshlrev_b64 v[60:61], v60, v[46:47]
	v_lshrrev_b32_e32 v53, 3, v52
	v_sub_u32_e32 v59, 29, v59
	v_and_b32_e32 v60, 7, v60
	v_cmp_gt_u32_e32 vcc, 8, v52
	v_cndmask_b32_e32 v52, v53, v59, vcc
	v_cndmask_b32_e32 v50, v50, v60, vcc
	v_lshlrev_b32_e32 v46, 24, v46
	v_lshlrev_b32_e32 v50, 20, v50
	v_and_b32_e32 v46, 0x80000000, v46
	v_lshl_add_u32 v52, v52, 23, v48
	v_or3_b32 v50, v46, v52, v50
.LBB632_517:                            ;   in Loop: Header=BB632_213 Depth=1
	s_or_b64 exec, exec, s[16:17]
.LBB632_518:                            ;   in Loop: Header=BB632_213 Depth=1
	s_or_b64 exec, exec, s[14:15]
.LBB632_519:                            ;   in Loop: Header=BB632_213 Depth=1
	s_or_b64 exec, exec, s[12:13]
	v_cmp_lt_u32_e32 vcc, s20, v44
	v_mov_b32_e32 v52, 0
	v_mov_b32_e32 v53, 0
	s_and_saveexec_b64 s[12:13], vcc
	s_cbranch_execz .LBB632_525
; %bb.520:                              ;   in Loop: Header=BB632_213 Depth=1
	v_lshrrev_b32_e32 v46, 24, v44
	v_cmp_ne_u32_e32 vcc, s9, v46
	v_bfrev_b32_e32 v53, 1
	s_and_saveexec_b64 s[14:15], vcc
	s_cbranch_execz .LBB632_524
; %bb.521:                              ;   in Loop: Header=BB632_213 Depth=1
	v_bfe_u32 v44, v44, 24, 7
	v_cmp_ne_u32_e32 vcc, s19, v44
	v_mov_b32_e32 v53, 0x7f800001
	s_and_saveexec_b64 s[16:17], vcc
	s_cbranch_execz .LBB632_523
; %bb.522:                              ;   in Loop: Header=BB632_213 Depth=1
	v_and_b32_e32 v53, 7, v46
	v_ffbh_u32_e32 v60, v53
	v_min_u32_e32 v62, 32, v60
	v_subrev_u32_e32 v60, 28, v62
	v_lshlrev_b64 v[60:61], v60, v[46:47]
	v_lshrrev_b32_e32 v59, 3, v44
	v_sub_u32_e32 v61, 29, v62
	v_and_b32_e32 v60, 7, v60
	v_cmp_gt_u32_e32 vcc, 8, v44
	v_cndmask_b32_e32 v44, v59, v61, vcc
	v_cndmask_b32_e32 v53, v53, v60, vcc
	v_lshlrev_b32_e32 v46, 24, v46
	v_lshlrev_b32_e32 v53, 20, v53
	v_and_b32_e32 v46, 0x80000000, v46
	v_lshl_add_u32 v44, v44, 23, v48
	v_or3_b32 v53, v46, v44, v53
.LBB632_523:                            ;   in Loop: Header=BB632_213 Depth=1
	s_or_b64 exec, exec, s[16:17]
.LBB632_524:                            ;   in Loop: Header=BB632_213 Depth=1
	s_or_b64 exec, exec, s[14:15]
.LBB632_525:                            ;   in Loop: Header=BB632_213 Depth=1
	s_or_b64 exec, exec, s[12:13]
	s_waitcnt vmcnt(2)
	v_cmp_ne_u16_sdwa s[14:15], v42, v47 src0_sel:BYTE_0 src1_sel:DWORD
	s_and_saveexec_b64 s[12:13], s[14:15]
	s_cbranch_execz .LBB632_531
; %bb.526:                              ;   in Loop: Header=BB632_213 Depth=1
	v_cmp_ne_u16_sdwa s[16:17], v42, s9 src0_sel:BYTE_0 src1_sel:DWORD
	v_bfrev_b32_e32 v52, 1
	s_and_saveexec_b64 s[14:15], s[16:17]
	s_cbranch_execz .LBB632_530
; %bb.527:                              ;   in Loop: Header=BB632_213 Depth=1
	v_and_b32_e32 v44, 0x7f, v42
	v_cmp_ne_u32_e32 vcc, s19, v44
	v_mov_b32_e32 v52, 0x7f800001
	s_and_saveexec_b64 s[16:17], vcc
	s_cbranch_execz .LBB632_529
; %bb.528:                              ;   in Loop: Header=BB632_213 Depth=1
	v_and_b32_e32 v46, 7, v42
	v_ffbh_u32_e32 v59, v46
	v_min_u32_e32 v59, 32, v59
	v_subrev_u32_e32 v60, 28, v59
	v_lshlrev_b64 v[60:61], v60, v[42:43]
	v_lshrrev_b32_e32 v52, 3, v44
	v_sub_u32_e32 v59, 29, v59
	v_and_b32_e32 v60, 7, v60
	v_cmp_gt_u32_e32 vcc, 8, v44
	v_cndmask_b32_e32 v44, v52, v59, vcc
	v_cndmask_b32_e32 v46, v46, v60, vcc
	v_lshlrev_b32_e32 v52, 24, v42
	v_lshlrev_b32_e32 v46, 20, v46
	v_and_b32_e32 v52, 0x80000000, v52
	v_lshl_add_u32 v44, v44, 23, v48
	v_or3_b32 v52, v52, v44, v46
.LBB632_529:                            ;   in Loop: Header=BB632_213 Depth=1
	s_or_b64 exec, exec, s[16:17]
.LBB632_530:                            ;   in Loop: Header=BB632_213 Depth=1
	s_or_b64 exec, exec, s[14:15]
.LBB632_531:                            ;   in Loop: Header=BB632_213 Depth=1
	s_or_b64 exec, exec, s[12:13]
	v_lshrrev_b16_e32 v44, 8, v42
	v_cmp_ne_u16_e32 vcc, 0, v44
	v_mov_b32_e32 v59, 0
	v_mov_b32_e32 v60, 0
	s_and_saveexec_b64 s[12:13], vcc
	s_cbranch_execz .LBB632_537
; %bb.532:                              ;   in Loop: Header=BB632_213 Depth=1
	v_cmp_ne_u16_e32 vcc, s9, v44
	v_bfrev_b32_e32 v60, 1
	s_and_saveexec_b64 s[14:15], vcc
	s_cbranch_execz .LBB632_536
; %bb.533:                              ;   in Loop: Header=BB632_213 Depth=1
	v_and_b32_e32 v46, 0x7f, v44
	v_cmp_ne_u32_e32 vcc, s19, v46
	v_mov_b32_e32 v60, 0x7f800001
	s_and_saveexec_b64 s[16:17], vcc
	s_cbranch_execz .LBB632_535
; %bb.534:                              ;   in Loop: Header=BB632_213 Depth=1
	v_and_b32_e32 v62, 7, v44
	v_ffbh_u32_e32 v60, v62
	v_min_u32_e32 v64, 32, v60
	v_subrev_u32_e32 v60, 28, v64
	v_lshlrev_b64 v[60:61], v60, v[44:45]
	v_lshrrev_b32_e32 v63, 3, v46
	v_sub_u32_e32 v44, 29, v64
	v_and_b32_e32 v60, 7, v60
	v_cmp_gt_u32_e32 vcc, 8, v46
	v_cndmask_b32_e32 v44, v63, v44, vcc
	v_cndmask_b32_e32 v46, v62, v60, vcc
	v_lshlrev_b32_e32 v60, 16, v42
	v_lshlrev_b32_e32 v46, 20, v46
	v_and_b32_e32 v60, 0x80000000, v60
	v_lshl_add_u32 v44, v44, 23, v48
	v_or3_b32 v60, v60, v44, v46
.LBB632_535:                            ;   in Loop: Header=BB632_213 Depth=1
	s_or_b64 exec, exec, s[16:17]
.LBB632_536:                            ;   in Loop: Header=BB632_213 Depth=1
	s_or_b64 exec, exec, s[14:15]
.LBB632_537:                            ;   in Loop: Header=BB632_213 Depth=1
	s_or_b64 exec, exec, s[12:13]
	v_lshrrev_b32_e32 v44, 16, v42
	v_cmp_ne_u16_sdwa s[14:15], v44, v47 src0_sel:BYTE_0 src1_sel:DWORD
	s_and_saveexec_b64 s[12:13], s[14:15]
	s_cbranch_execz .LBB632_543
; %bb.538:                              ;   in Loop: Header=BB632_213 Depth=1
	v_cmp_ne_u16_sdwa s[16:17], v44, s9 src0_sel:BYTE_0 src1_sel:DWORD
	v_bfrev_b32_e32 v59, 1
	s_and_saveexec_b64 s[14:15], s[16:17]
	s_cbranch_execz .LBB632_542
; %bb.539:                              ;   in Loop: Header=BB632_213 Depth=1
	v_bfe_u32 v46, v42, 16, 7
	v_cmp_ne_u32_e32 vcc, s19, v46
	v_mov_b32_e32 v59, 0x7f800001
	s_and_saveexec_b64 s[16:17], vcc
	s_cbranch_execz .LBB632_541
; %bb.540:                              ;   in Loop: Header=BB632_213 Depth=1
	v_and_b32_e32 v59, 7, v44
	v_ffbh_u32_e32 v62, v59
	v_min_u32_e32 v64, 32, v62
	v_subrev_u32_e32 v62, 28, v64
	v_lshlrev_b64 v[62:63], v62, v[44:45]
	v_lshrrev_b32_e32 v61, 3, v46
	v_sub_u32_e32 v63, 29, v64
	v_and_b32_e32 v62, 7, v62
	v_cmp_gt_u32_e32 vcc, 8, v46
	v_cndmask_b32_e32 v46, v61, v63, vcc
	v_cndmask_b32_e32 v59, v59, v62, vcc
	v_lshlrev_b32_e32 v44, 24, v44
	v_lshlrev_b32_e32 v59, 20, v59
	v_and_b32_e32 v44, 0x80000000, v44
	v_lshl_add_u32 v46, v46, 23, v48
	v_or3_b32 v59, v44, v46, v59
.LBB632_541:                            ;   in Loop: Header=BB632_213 Depth=1
	s_or_b64 exec, exec, s[16:17]
.LBB632_542:                            ;   in Loop: Header=BB632_213 Depth=1
	s_or_b64 exec, exec, s[14:15]
.LBB632_543:                            ;   in Loop: Header=BB632_213 Depth=1
	s_or_b64 exec, exec, s[12:13]
	v_cmp_lt_u32_e32 vcc, s20, v42
	v_mov_b32_e32 v46, 0
	v_mov_b32_e32 v61, 0
	s_and_saveexec_b64 s[12:13], vcc
	s_cbranch_execz .LBB632_549
; %bb.544:                              ;   in Loop: Header=BB632_213 Depth=1
	v_lshrrev_b32_e32 v44, 24, v42
	v_cmp_ne_u32_e32 vcc, s9, v44
	v_bfrev_b32_e32 v61, 1
	s_and_saveexec_b64 s[14:15], vcc
	s_cbranch_execz .LBB632_548
; %bb.545:                              ;   in Loop: Header=BB632_213 Depth=1
	v_bfe_u32 v42, v42, 24, 7
	v_cmp_ne_u32_e32 vcc, s19, v42
	v_mov_b32_e32 v61, 0x7f800001
	s_and_saveexec_b64 s[16:17], vcc
	s_cbranch_execz .LBB632_547
; %bb.546:                              ;   in Loop: Header=BB632_213 Depth=1
	v_and_b32_e32 v61, 7, v44
	v_ffbh_u32_e32 v62, v61
	v_min_u32_e32 v65, 32, v62
	v_subrev_u32_e32 v62, 28, v65
	v_lshlrev_b64 v[62:63], v62, v[44:45]
	v_lshrrev_b32_e32 v64, 3, v42
	v_sub_u32_e32 v63, 29, v65
	v_and_b32_e32 v62, 7, v62
	v_cmp_gt_u32_e32 vcc, 8, v42
	v_cndmask_b32_e32 v42, v64, v63, vcc
	v_cndmask_b32_e32 v61, v61, v62, vcc
	v_lshlrev_b32_e32 v44, 24, v44
	v_lshlrev_b32_e32 v61, 20, v61
	v_and_b32_e32 v44, 0x80000000, v44
	v_lshl_add_u32 v42, v42, 23, v48
	v_or3_b32 v61, v44, v42, v61
.LBB632_547:                            ;   in Loop: Header=BB632_213 Depth=1
	s_or_b64 exec, exec, s[16:17]
.LBB632_548:                            ;   in Loop: Header=BB632_213 Depth=1
	s_or_b64 exec, exec, s[14:15]
.LBB632_549:                            ;   in Loop: Header=BB632_213 Depth=1
	s_or_b64 exec, exec, s[12:13]
	v_cvt_pkrtz_f16_f32 v62, v49, v51
	v_cvt_pkrtz_f16_f32 v63, v50, v53
	;; [unrolled: 1-line block ×4, first 2 shown]
	s_waitcnt vmcnt(1)
	v_cmp_ne_u16_sdwa s[14:15], v40, v47 src0_sel:BYTE_0 src1_sel:DWORD
	v_mfma_f32_16x16x16f16 v[34:37], v[62:63], v[26:27], v[34:37]
	v_mfma_f32_16x16x16f16 v[34:37], v[50:51], v[28:29], v[34:37]
	s_and_saveexec_b64 s[12:13], s[14:15]
	s_cbranch_execz .LBB632_555
; %bb.550:                              ;   in Loop: Header=BB632_213 Depth=1
	v_cmp_ne_u16_sdwa s[16:17], v40, s9 src0_sel:BYTE_0 src1_sel:DWORD
	v_bfrev_b32_e32 v46, 1
	s_and_saveexec_b64 s[14:15], s[16:17]
	s_cbranch_execz .LBB632_554
; %bb.551:                              ;   in Loop: Header=BB632_213 Depth=1
	v_and_b32_e32 v42, 0x7f, v40
	v_cmp_ne_u32_e32 vcc, s19, v42
	v_mov_b32_e32 v46, 0x7f800001
	s_and_saveexec_b64 s[16:17], vcc
	s_cbranch_execz .LBB632_553
; %bb.552:                              ;   in Loop: Header=BB632_213 Depth=1
	v_and_b32_e32 v44, 7, v40
	v_ffbh_u32_e32 v49, v44
	v_min_u32_e32 v49, 32, v49
	v_subrev_u32_e32 v50, 28, v49
	v_lshlrev_b64 v[50:51], v50, v[40:41]
	v_lshrrev_b32_e32 v46, 3, v42
	v_sub_u32_e32 v49, 29, v49
	v_and_b32_e32 v50, 7, v50
	v_cmp_gt_u32_e32 vcc, 8, v42
	v_cndmask_b32_e32 v42, v46, v49, vcc
	v_cndmask_b32_e32 v44, v44, v50, vcc
	v_lshlrev_b32_e32 v46, 24, v40
	v_lshlrev_b32_e32 v44, 20, v44
	v_and_b32_e32 v46, 0x80000000, v46
	v_lshl_add_u32 v42, v42, 23, v48
	v_or3_b32 v46, v46, v42, v44
.LBB632_553:                            ;   in Loop: Header=BB632_213 Depth=1
	s_or_b64 exec, exec, s[16:17]
.LBB632_554:                            ;   in Loop: Header=BB632_213 Depth=1
	s_or_b64 exec, exec, s[14:15]
.LBB632_555:                            ;   in Loop: Header=BB632_213 Depth=1
	s_or_b64 exec, exec, s[12:13]
	v_lshrrev_b16_e32 v42, 8, v40
	v_cmp_ne_u16_e32 vcc, 0, v42
	v_mov_b32_e32 v44, 0
	v_mov_b32_e32 v49, 0
	s_and_saveexec_b64 s[12:13], vcc
	s_cbranch_execz .LBB632_561
; %bb.556:                              ;   in Loop: Header=BB632_213 Depth=1
	v_cmp_ne_u16_e32 vcc, s9, v42
	v_bfrev_b32_e32 v49, 1
	s_and_saveexec_b64 s[14:15], vcc
	s_cbranch_execz .LBB632_560
; %bb.557:                              ;   in Loop: Header=BB632_213 Depth=1
	v_and_b32_e32 v50, 0x7f, v42
	v_cmp_ne_u32_e32 vcc, s19, v50
	v_mov_b32_e32 v49, 0x7f800001
	s_and_saveexec_b64 s[16:17], vcc
	s_cbranch_execz .LBB632_559
; %bb.558:                              ;   in Loop: Header=BB632_213 Depth=1
	v_and_b32_e32 v49, 7, v42
	v_ffbh_u32_e32 v52, v49
	v_min_u32_e32 v59, 32, v52
	v_subrev_u32_e32 v52, 28, v59
	v_lshlrev_b64 v[52:53], v52, v[42:43]
	v_lshrrev_b32_e32 v51, 3, v50
	v_sub_u32_e32 v42, 29, v59
	v_and_b32_e32 v52, 7, v52
	v_cmp_gt_u32_e32 vcc, 8, v50
	v_cndmask_b32_e32 v42, v51, v42, vcc
	v_cndmask_b32_e32 v49, v49, v52, vcc
	v_lshlrev_b32_e32 v50, 16, v40
	v_lshlrev_b32_e32 v49, 20, v49
	v_and_b32_e32 v50, 0x80000000, v50
	v_lshl_add_u32 v42, v42, 23, v48
	v_or3_b32 v49, v50, v42, v49
.LBB632_559:                            ;   in Loop: Header=BB632_213 Depth=1
	s_or_b64 exec, exec, s[16:17]
.LBB632_560:                            ;   in Loop: Header=BB632_213 Depth=1
	s_or_b64 exec, exec, s[14:15]
.LBB632_561:                            ;   in Loop: Header=BB632_213 Depth=1
	s_or_b64 exec, exec, s[12:13]
	v_lshrrev_b32_e32 v42, 16, v40
	v_cmp_ne_u16_sdwa s[14:15], v42, v47 src0_sel:BYTE_0 src1_sel:DWORD
	s_and_saveexec_b64 s[12:13], s[14:15]
	s_cbranch_execz .LBB632_567
; %bb.562:                              ;   in Loop: Header=BB632_213 Depth=1
	v_cmp_ne_u16_sdwa s[16:17], v42, s9 src0_sel:BYTE_0 src1_sel:DWORD
	v_bfrev_b32_e32 v44, 1
	s_and_saveexec_b64 s[14:15], s[16:17]
	s_cbranch_execz .LBB632_566
; %bb.563:                              ;   in Loop: Header=BB632_213 Depth=1
	v_bfe_u32 v50, v40, 16, 7
	v_cmp_ne_u32_e32 vcc, s19, v50
	v_mov_b32_e32 v44, 0x7f800001
	s_and_saveexec_b64 s[16:17], vcc
	s_cbranch_execz .LBB632_565
; %bb.564:                              ;   in Loop: Header=BB632_213 Depth=1
	v_and_b32_e32 v44, 7, v42
	v_ffbh_u32_e32 v52, v44
	v_min_u32_e32 v59, 32, v52
	v_subrev_u32_e32 v52, 28, v59
	v_lshlrev_b64 v[52:53], v52, v[42:43]
	v_lshrrev_b32_e32 v51, 3, v50
	v_sub_u32_e32 v53, 29, v59
	v_and_b32_e32 v52, 7, v52
	v_cmp_gt_u32_e32 vcc, 8, v50
	v_cndmask_b32_e32 v50, v51, v53, vcc
	v_cndmask_b32_e32 v44, v44, v52, vcc
	v_lshlrev_b32_e32 v42, 24, v42
	v_lshlrev_b32_e32 v44, 20, v44
	v_and_b32_e32 v42, 0x80000000, v42
	v_lshl_add_u32 v50, v50, 23, v48
	v_or3_b32 v44, v42, v50, v44
.LBB632_565:                            ;   in Loop: Header=BB632_213 Depth=1
	s_or_b64 exec, exec, s[16:17]
.LBB632_566:                            ;   in Loop: Header=BB632_213 Depth=1
	s_or_b64 exec, exec, s[14:15]
.LBB632_567:                            ;   in Loop: Header=BB632_213 Depth=1
	s_or_b64 exec, exec, s[12:13]
	v_cmp_lt_u32_e32 vcc, s20, v40
	v_mov_b32_e32 v50, 0
	v_mov_b32_e32 v51, 0
	s_and_saveexec_b64 s[12:13], vcc
	s_cbranch_execz .LBB632_573
; %bb.568:                              ;   in Loop: Header=BB632_213 Depth=1
	v_lshrrev_b32_e32 v42, 24, v40
	v_cmp_ne_u32_e32 vcc, s9, v42
	v_bfrev_b32_e32 v51, 1
	s_and_saveexec_b64 s[14:15], vcc
	s_cbranch_execz .LBB632_572
; %bb.569:                              ;   in Loop: Header=BB632_213 Depth=1
	v_bfe_u32 v40, v40, 24, 7
	v_cmp_ne_u32_e32 vcc, s19, v40
	v_mov_b32_e32 v51, 0x7f800001
	s_and_saveexec_b64 s[16:17], vcc
	s_cbranch_execz .LBB632_571
; %bb.570:                              ;   in Loop: Header=BB632_213 Depth=1
	v_and_b32_e32 v51, 7, v42
	v_ffbh_u32_e32 v52, v51
	v_min_u32_e32 v60, 32, v52
	v_subrev_u32_e32 v52, 28, v60
	v_lshlrev_b64 v[52:53], v52, v[42:43]
	v_lshrrev_b32_e32 v59, 3, v40
	v_sub_u32_e32 v53, 29, v60
	v_and_b32_e32 v52, 7, v52
	v_cmp_gt_u32_e32 vcc, 8, v40
	v_cndmask_b32_e32 v40, v59, v53, vcc
	v_cndmask_b32_e32 v51, v51, v52, vcc
	v_lshlrev_b32_e32 v42, 24, v42
	v_lshlrev_b32_e32 v51, 20, v51
	v_and_b32_e32 v42, 0x80000000, v42
	v_lshl_add_u32 v40, v40, 23, v48
	v_or3_b32 v51, v42, v40, v51
.LBB632_571:                            ;   in Loop: Header=BB632_213 Depth=1
	s_or_b64 exec, exec, s[16:17]
.LBB632_572:                            ;   in Loop: Header=BB632_213 Depth=1
	s_or_b64 exec, exec, s[14:15]
.LBB632_573:                            ;   in Loop: Header=BB632_213 Depth=1
	s_or_b64 exec, exec, s[12:13]
	s_waitcnt vmcnt(0)
	v_cmp_ne_u16_sdwa s[14:15], v38, v47 src0_sel:BYTE_0 src1_sel:DWORD
	s_and_saveexec_b64 s[12:13], s[14:15]
	s_cbranch_execz .LBB632_579
; %bb.574:                              ;   in Loop: Header=BB632_213 Depth=1
	v_cmp_ne_u16_sdwa s[16:17], v38, s9 src0_sel:BYTE_0 src1_sel:DWORD
	v_bfrev_b32_e32 v50, 1
	s_and_saveexec_b64 s[14:15], s[16:17]
	s_cbranch_execz .LBB632_578
; %bb.575:                              ;   in Loop: Header=BB632_213 Depth=1
	v_and_b32_e32 v40, 0x7f, v38
	v_cmp_ne_u32_e32 vcc, s19, v40
	v_mov_b32_e32 v50, 0x7f800001
	s_and_saveexec_b64 s[16:17], vcc
	s_cbranch_execz .LBB632_577
; %bb.576:                              ;   in Loop: Header=BB632_213 Depth=1
	v_and_b32_e32 v42, 7, v38
	v_ffbh_u32_e32 v52, v42
	v_min_u32_e32 v59, 32, v52
	v_subrev_u32_e32 v52, 28, v59
	v_lshlrev_b64 v[52:53], v52, v[38:39]
	v_lshrrev_b32_e32 v50, 3, v40
	v_sub_u32_e32 v53, 29, v59
	v_and_b32_e32 v52, 7, v52
	v_cmp_gt_u32_e32 vcc, 8, v40
	v_cndmask_b32_e32 v40, v50, v53, vcc
	v_cndmask_b32_e32 v42, v42, v52, vcc
	v_lshlrev_b32_e32 v50, 24, v38
	v_lshlrev_b32_e32 v42, 20, v42
	v_and_b32_e32 v50, 0x80000000, v50
	v_lshl_add_u32 v40, v40, 23, v48
	v_or3_b32 v50, v50, v40, v42
.LBB632_577:                            ;   in Loop: Header=BB632_213 Depth=1
	s_or_b64 exec, exec, s[16:17]
.LBB632_578:                            ;   in Loop: Header=BB632_213 Depth=1
	s_or_b64 exec, exec, s[14:15]
.LBB632_579:                            ;   in Loop: Header=BB632_213 Depth=1
	s_or_b64 exec, exec, s[12:13]
	v_lshrrev_b16_e32 v40, 8, v38
	v_cmp_ne_u16_e32 vcc, 0, v40
	v_mov_b32_e32 v42, 0
	v_mov_b32_e32 v52, 0
	s_and_saveexec_b64 s[12:13], vcc
	s_cbranch_execz .LBB632_585
; %bb.580:                              ;   in Loop: Header=BB632_213 Depth=1
	v_cmp_ne_u16_e32 vcc, s9, v40
	v_bfrev_b32_e32 v52, 1
	s_and_saveexec_b64 s[14:15], vcc
	s_cbranch_execz .LBB632_584
; %bb.581:                              ;   in Loop: Header=BB632_213 Depth=1
	v_and_b32_e32 v53, 0x7f, v40
	v_cmp_ne_u32_e32 vcc, s19, v53
	v_mov_b32_e32 v52, 0x7f800001
	s_and_saveexec_b64 s[16:17], vcc
	s_cbranch_execz .LBB632_583
; %bb.582:                              ;   in Loop: Header=BB632_213 Depth=1
	v_and_b32_e32 v52, 7, v40
	v_ffbh_u32_e32 v60, v52
	v_min_u32_e32 v62, 32, v60
	v_subrev_u32_e32 v60, 28, v62
	v_lshlrev_b64 v[60:61], v60, v[40:41]
	v_lshrrev_b32_e32 v59, 3, v53
	v_sub_u32_e32 v40, 29, v62
	v_and_b32_e32 v60, 7, v60
	v_cmp_gt_u32_e32 vcc, 8, v53
	v_cndmask_b32_e32 v40, v59, v40, vcc
	v_cndmask_b32_e32 v52, v52, v60, vcc
	v_lshlrev_b32_e32 v53, 16, v38
	v_lshlrev_b32_e32 v52, 20, v52
	v_and_b32_e32 v53, 0x80000000, v53
	v_lshl_add_u32 v40, v40, 23, v48
	v_or3_b32 v52, v53, v40, v52
.LBB632_583:                            ;   in Loop: Header=BB632_213 Depth=1
	s_or_b64 exec, exec, s[16:17]
.LBB632_584:                            ;   in Loop: Header=BB632_213 Depth=1
	s_or_b64 exec, exec, s[14:15]
.LBB632_585:                            ;   in Loop: Header=BB632_213 Depth=1
	s_or_b64 exec, exec, s[12:13]
	v_lshrrev_b32_e32 v40, 16, v38
	v_cmp_ne_u16_sdwa s[14:15], v40, v47 src0_sel:BYTE_0 src1_sel:DWORD
	s_and_saveexec_b64 s[12:13], s[14:15]
	s_cbranch_execz .LBB632_591
; %bb.586:                              ;   in Loop: Header=BB632_213 Depth=1
	v_cmp_ne_u16_sdwa s[16:17], v40, s9 src0_sel:BYTE_0 src1_sel:DWORD
	v_bfrev_b32_e32 v42, 1
	s_and_saveexec_b64 s[14:15], s[16:17]
	s_cbranch_execz .LBB632_590
; %bb.587:                              ;   in Loop: Header=BB632_213 Depth=1
	v_bfe_u32 v53, v38, 16, 7
	v_cmp_ne_u32_e32 vcc, s19, v53
	v_mov_b32_e32 v42, 0x7f800001
	s_and_saveexec_b64 s[16:17], vcc
	s_cbranch_execz .LBB632_589
; %bb.588:                              ;   in Loop: Header=BB632_213 Depth=1
	v_and_b32_e32 v42, 7, v40
	v_ffbh_u32_e32 v60, v42
	v_min_u32_e32 v62, 32, v60
	v_subrev_u32_e32 v60, 28, v62
	v_lshlrev_b64 v[60:61], v60, v[40:41]
	v_lshrrev_b32_e32 v59, 3, v53
	v_sub_u32_e32 v61, 29, v62
	v_and_b32_e32 v60, 7, v60
	v_cmp_gt_u32_e32 vcc, 8, v53
	v_cndmask_b32_e32 v53, v59, v61, vcc
	v_cndmask_b32_e32 v42, v42, v60, vcc
	v_lshlrev_b32_e32 v40, 24, v40
	v_lshlrev_b32_e32 v42, 20, v42
	v_and_b32_e32 v40, 0x80000000, v40
	v_lshl_add_u32 v53, v53, 23, v48
	v_or3_b32 v42, v40, v53, v42
.LBB632_589:                            ;   in Loop: Header=BB632_213 Depth=1
	s_or_b64 exec, exec, s[16:17]
.LBB632_590:                            ;   in Loop: Header=BB632_213 Depth=1
	s_or_b64 exec, exec, s[14:15]
.LBB632_591:                            ;   in Loop: Header=BB632_213 Depth=1
	s_or_b64 exec, exec, s[12:13]
	v_cmp_lt_u32_e32 vcc, s20, v38
	v_mov_b32_e32 v53, 0
	s_and_saveexec_b64 s[12:13], vcc
	s_cbranch_execz .LBB632_212
; %bb.592:                              ;   in Loop: Header=BB632_213 Depth=1
	v_lshrrev_b32_e32 v40, 24, v38
	v_cmp_ne_u32_e32 vcc, s9, v40
	v_bfrev_b32_e32 v53, 1
	s_and_saveexec_b64 s[14:15], vcc
	s_cbranch_execz .LBB632_211
; %bb.593:                              ;   in Loop: Header=BB632_213 Depth=1
	v_bfe_u32 v38, v38, 24, 7
	v_cmp_ne_u32_e32 vcc, s19, v38
	v_mov_b32_e32 v53, 0x7f800001
	s_and_saveexec_b64 s[16:17], vcc
	s_cbranch_execz .LBB632_210
; %bb.594:                              ;   in Loop: Header=BB632_213 Depth=1
	v_and_b32_e32 v53, 7, v40
	v_ffbh_u32_e32 v60, v53
	v_min_u32_e32 v62, 32, v60
	v_subrev_u32_e32 v60, 28, v62
	v_lshlrev_b64 v[60:61], v60, v[40:41]
	v_lshrrev_b32_e32 v59, 3, v38
	v_sub_u32_e32 v61, 29, v62
	v_and_b32_e32 v60, 7, v60
	v_cmp_gt_u32_e32 vcc, 8, v38
	v_cndmask_b32_e32 v38, v59, v61, vcc
	v_cndmask_b32_e32 v53, v53, v60, vcc
	v_lshlrev_b32_e32 v40, 24, v40
	v_lshlrev_b32_e32 v53, 20, v53
	v_and_b32_e32 v40, 0x80000000, v40
	v_lshl_add_u32 v38, v38, 23, v48
	v_or3_b32 v53, v40, v38, v53
	s_branch .LBB632_210
.LBB632_595:
	s_barrier
	buffer_load_dword v2, off, s[0:3], 0 offset:320
	buffer_load_dword v5, off, s[0:3], 0 offset:332
	;; [unrolled: 1-line block ×4, first 2 shown]
	v_cmp_gt_u32_e32 vcc, 64, v0
	s_waitcnt vmcnt(0)
	ds_write2st64_b64 v43, v[2:3], v[4:5] offset1:1
	s_waitcnt lgkmcnt(0)
	s_barrier
	s_and_saveexec_b64 s[4:5], vcc
	s_cbranch_execz .LBB632_598
; %bb.596:
	s_lshl_b32 s4, s50, 7
	s_mul_i32 s5, s18, s8
	s_mul_hi_u32 s9, s5, s4
	s_mul_i32 s8, s5, s4
	s_lshl_b64 s[8:9], s[8:9], 1
	v_lshlrev_b32_e32 v4, 6, v55
	s_add_u32 s5, s48, s8
	v_lshl_or_b32 v0, v0, 10, v4
	s_mov_b32 s7, 0
	s_addc_u32 s8, s49, s9
	s_lshl_b32 s6, s24, 7
	v_lshlrev_b32_e32 v2, 5, v1
	v_and_b32_e32 v3, 16, v56
	v_and_b32_e32 v0, 0x1a00, v0
	s_lshl_b64 s[6:7], s[6:7], 1
	v_or3_b32 v0, v0, v2, v3
	s_add_u32 s5, s5, s6
	s_addc_u32 s6, s8, s7
	ds_read_b128 v[4:7], v0 offset:128
	ds_read_b128 v[8:11], v0
	v_add_u32_e32 v14, s25, v1
	v_mov_b32_e32 v3, s6
	v_add_co_u32_e32 v2, vcc, s5, v54
	v_mad_u64_u32 v[12:13], s[6:7], v14, s4, 0
	v_addc_co_u32_e32 v3, vcc, 0, v3, vcc
	v_lshlrev_b64 v[12:13], 1, v[12:13]
	v_add_co_u32_e32 v12, vcc, v2, v12
	v_addc_co_u32_e32 v13, vcc, v3, v13, vcc
	s_waitcnt lgkmcnt(0)
	global_store_dwordx4 v[12:13], v[8:11], off
	s_nop 0
	v_add_u32_e32 v8, 4, v14
	v_mad_u64_u32 v[8:9], s[6:7], v8, s4, 0
	v_lshlrev_b64 v[8:9], 1, v[8:9]
	v_add_co_u32_e32 v8, vcc, v2, v8
	v_addc_co_u32_e32 v9, vcc, v3, v9, vcc
	v_cmp_ne_u32_e32 vcc, 3, v1
	global_store_dwordx4 v[8:9], v[4:7], off
	s_and_b64 exec, exec, vcc
	s_cbranch_execz .LBB632_598
; %bb.597:
	ds_read_b128 v[4:7], v0 offset:256
	v_add3_u32 v0, s25, v1, 8
	v_mad_u64_u32 v[0:1], s[4:5], v0, s4, 0
	v_lshlrev_b64 v[0:1], 1, v[0:1]
	v_add_co_u32_e32 v0, vcc, v2, v0
	v_addc_co_u32_e32 v1, vcc, v3, v1, vcc
	s_waitcnt lgkmcnt(0)
	global_store_dwordx4 v[0:1], v[4:7], off
.LBB632_598:
	s_endpgm
	.section	.rodata,"a",@progbits
	.p2align	6, 0x0
	.amdhsa_kernel _Z39paged_attention_ll4mi_QKV_mfma16_kernelIDF16_hLN4vllm18Fp8KVCacheDataTypeE1EDF16_Li16ELi128ELi256ELb0ELi11EL8MFMAType0EEvPKT_PKT0_S8_ifPKiSA_SA_iPKfiiiPfSD_PS3_PT2_iSC_SC_
		.amdhsa_group_segment_fixed_size 8192
		.amdhsa_private_segment_fixed_size 352
		.amdhsa_kernarg_size 400
		.amdhsa_user_sgpr_count 8
		.amdhsa_user_sgpr_private_segment_buffer 1
		.amdhsa_user_sgpr_dispatch_ptr 0
		.amdhsa_user_sgpr_queue_ptr 0
		.amdhsa_user_sgpr_kernarg_segment_ptr 1
		.amdhsa_user_sgpr_dispatch_id 0
		.amdhsa_user_sgpr_flat_scratch_init 1
		.amdhsa_user_sgpr_kernarg_preload_length 0
		.amdhsa_user_sgpr_kernarg_preload_offset 0
		.amdhsa_user_sgpr_private_segment_size 0
		.amdhsa_uses_dynamic_stack 0
		.amdhsa_system_sgpr_private_segment_wavefront_offset 1
		.amdhsa_system_sgpr_workgroup_id_x 1
		.amdhsa_system_sgpr_workgroup_id_y 1
		.amdhsa_system_sgpr_workgroup_id_z 1
		.amdhsa_system_sgpr_workgroup_info 0
		.amdhsa_system_vgpr_workitem_id 0
		.amdhsa_next_free_vgpr 76
		.amdhsa_next_free_sgpr 53
		.amdhsa_accum_offset 76
		.amdhsa_reserve_vcc 1
		.amdhsa_reserve_flat_scratch 0
		.amdhsa_float_round_mode_32 0
		.amdhsa_float_round_mode_16_64 0
		.amdhsa_float_denorm_mode_32 3
		.amdhsa_float_denorm_mode_16_64 3
		.amdhsa_dx10_clamp 1
		.amdhsa_ieee_mode 1
		.amdhsa_fp16_overflow 0
		.amdhsa_tg_split 0
		.amdhsa_exception_fp_ieee_invalid_op 0
		.amdhsa_exception_fp_denorm_src 0
		.amdhsa_exception_fp_ieee_div_zero 0
		.amdhsa_exception_fp_ieee_overflow 0
		.amdhsa_exception_fp_ieee_underflow 0
		.amdhsa_exception_fp_ieee_inexact 0
		.amdhsa_exception_int_div_zero 0
	.end_amdhsa_kernel
	.section	.text._Z39paged_attention_ll4mi_QKV_mfma16_kernelIDF16_hLN4vllm18Fp8KVCacheDataTypeE1EDF16_Li16ELi128ELi256ELb0ELi11EL8MFMAType0EEvPKT_PKT0_S8_ifPKiSA_SA_iPKfiiiPfSD_PS3_PT2_iSC_SC_,"axG",@progbits,_Z39paged_attention_ll4mi_QKV_mfma16_kernelIDF16_hLN4vllm18Fp8KVCacheDataTypeE1EDF16_Li16ELi128ELi256ELb0ELi11EL8MFMAType0EEvPKT_PKT0_S8_ifPKiSA_SA_iPKfiiiPfSD_PS3_PT2_iSC_SC_,comdat
.Lfunc_end632:
	.size	_Z39paged_attention_ll4mi_QKV_mfma16_kernelIDF16_hLN4vllm18Fp8KVCacheDataTypeE1EDF16_Li16ELi128ELi256ELb0ELi11EL8MFMAType0EEvPKT_PKT0_S8_ifPKiSA_SA_iPKfiiiPfSD_PS3_PT2_iSC_SC_, .Lfunc_end632-_Z39paged_attention_ll4mi_QKV_mfma16_kernelIDF16_hLN4vllm18Fp8KVCacheDataTypeE1EDF16_Li16ELi128ELi256ELb0ELi11EL8MFMAType0EEvPKT_PKT0_S8_ifPKiSA_SA_iPKfiiiPfSD_PS3_PT2_iSC_SC_
                                        ; -- End function
	.section	.AMDGPU.csdata,"",@progbits
; Kernel info:
; codeLenInByte = 21204
; NumSgprs: 57
; NumVgprs: 76
; NumAgprs: 0
; TotalNumVgprs: 76
; ScratchSize: 352
; MemoryBound: 0
; FloatMode: 240
; IeeeMode: 1
; LDSByteSize: 8192 bytes/workgroup (compile time only)
; SGPRBlocks: 7
; VGPRBlocks: 9
; NumSGPRsForWavesPerEU: 57
; NumVGPRsForWavesPerEU: 76
; AccumOffset: 76
; Occupancy: 6
; WaveLimiterHint : 1
; COMPUTE_PGM_RSRC2:SCRATCH_EN: 1
; COMPUTE_PGM_RSRC2:USER_SGPR: 8
; COMPUTE_PGM_RSRC2:TRAP_HANDLER: 0
; COMPUTE_PGM_RSRC2:TGID_X_EN: 1
; COMPUTE_PGM_RSRC2:TGID_Y_EN: 1
; COMPUTE_PGM_RSRC2:TGID_Z_EN: 1
; COMPUTE_PGM_RSRC2:TIDIG_COMP_CNT: 0
; COMPUTE_PGM_RSRC3_GFX90A:ACCUM_OFFSET: 18
; COMPUTE_PGM_RSRC3_GFX90A:TG_SPLIT: 0
	.section	.text._Z39paged_attention_ll4mi_QKV_mfma16_kernelIDF16_hLN4vllm18Fp8KVCacheDataTypeE1EDF16_Li16ELi128ELi256ELb0ELi12EL8MFMAType0EEvPKT_PKT0_S8_ifPKiSA_SA_iPKfiiiPfSD_PS3_PT2_iSC_SC_,"axG",@progbits,_Z39paged_attention_ll4mi_QKV_mfma16_kernelIDF16_hLN4vllm18Fp8KVCacheDataTypeE1EDF16_Li16ELi128ELi256ELb0ELi12EL8MFMAType0EEvPKT_PKT0_S8_ifPKiSA_SA_iPKfiiiPfSD_PS3_PT2_iSC_SC_,comdat
	.protected	_Z39paged_attention_ll4mi_QKV_mfma16_kernelIDF16_hLN4vllm18Fp8KVCacheDataTypeE1EDF16_Li16ELi128ELi256ELb0ELi12EL8MFMAType0EEvPKT_PKT0_S8_ifPKiSA_SA_iPKfiiiPfSD_PS3_PT2_iSC_SC_ ; -- Begin function _Z39paged_attention_ll4mi_QKV_mfma16_kernelIDF16_hLN4vllm18Fp8KVCacheDataTypeE1EDF16_Li16ELi128ELi256ELb0ELi12EL8MFMAType0EEvPKT_PKT0_S8_ifPKiSA_SA_iPKfiiiPfSD_PS3_PT2_iSC_SC_
	.globl	_Z39paged_attention_ll4mi_QKV_mfma16_kernelIDF16_hLN4vllm18Fp8KVCacheDataTypeE1EDF16_Li16ELi128ELi256ELb0ELi12EL8MFMAType0EEvPKT_PKT0_S8_ifPKiSA_SA_iPKfiiiPfSD_PS3_PT2_iSC_SC_
	.p2align	8
	.type	_Z39paged_attention_ll4mi_QKV_mfma16_kernelIDF16_hLN4vllm18Fp8KVCacheDataTypeE1EDF16_Li16ELi128ELi256ELb0ELi12EL8MFMAType0EEvPKT_PKT0_S8_ifPKiSA_SA_iPKfiiiPfSD_PS3_PT2_iSC_SC_,@function
_Z39paged_attention_ll4mi_QKV_mfma16_kernelIDF16_hLN4vllm18Fp8KVCacheDataTypeE1EDF16_Li16ELi128ELi256ELb0ELi12EL8MFMAType0EEvPKT_PKT0_S8_ifPKiSA_SA_iPKfiiiPfSD_PS3_PT2_iSC_SC_: ; @_Z39paged_attention_ll4mi_QKV_mfma16_kernelIDF16_hLN4vllm18Fp8KVCacheDataTypeE1EDF16_Li16ELi128ELi256ELb0ELi12EL8MFMAType0EEvPKT_PKT0_S8_ifPKiSA_SA_iPKfiiiPfSD_PS3_PT2_iSC_SC_
; %bb.0:
	s_load_dwordx2 s[6:7], s[4:5], 0x30
	s_add_u32 s0, s0, s11
	s_addc_u32 s1, s1, 0
	s_mov_b32 s24, s9
	s_mov_b64 s[12:13], 0
	s_waitcnt lgkmcnt(0)
	s_cmp_lg_u64 s[6:7], 0
	s_cselect_b64 s[16:17], -1, 0
	s_and_b64 vcc, exec, s[16:17]
	s_cbranch_vccz .LBB633_7
; %bb.1:
	s_add_i32 s14, s8, 1
	s_mov_b32 s15, 0
	s_lshl_b64 s[18:19], s[14:15], 2
	s_add_u32 s18, s6, s18
	s_mov_b32 s9, s15
	s_addc_u32 s19, s7, s19
	s_lshl_b64 s[14:15], s[8:9], 2
	s_add_u32 s14, s6, s14
	s_addc_u32 s15, s7, s15
	s_load_dword s11, s[18:19], 0x0
	s_load_dword s20, s[14:15], 0x0
	s_waitcnt lgkmcnt(0)
	s_sub_i32 s11, s11, s20
	s_cmp_eq_u32 s11, 1
	s_cselect_b64 s[14:15], -1, 0
	s_andn2_b64 vcc, exec, s[12:13]
	s_cbranch_vccnz .LBB633_3
.LBB633_2:
	s_mov_b32 s9, 0
	s_mov_b64 s[14:15], -1
.LBB633_3:
	s_andn2_b64 vcc, exec, s[14:15]
	s_cbranch_vccnz .LBB633_597
; %bb.4:
	s_load_dwordx2 s[12:13], s[4:5], 0x28
	s_lshl_b64 s[18:19], s[8:9], 2
	s_waitcnt lgkmcnt(0)
	s_add_u32 s12, s12, s18
	s_addc_u32 s13, s13, s19
	s_load_dword s33, s[12:13], 0x0
	s_lshl_b32 s20, s24, 8
	s_waitcnt lgkmcnt(0)
	s_cmp_ge_i32 s20, s33
	s_cbranch_scc1 .LBB633_597
; %bb.5:
	s_add_i32 s14, s33, 15
	s_load_dwordx2 s[12:13], s[4:5], 0x20
	s_load_dword s11, s[4:5], 0x38
	s_ashr_i32 s15, s14, 31
	v_and_b32_e32 v1, 0xcf, v0
	s_lshr_b32 s15, s15, 28
	v_add_u32_e32 v1, s20, v1
	s_add_i32 s14, s14, s15
	v_ashrrev_i32_e32 v2, 31, v1
	s_ashr_i32 s22, s14, 4
	v_lshrrev_b32_e32 v6, 28, v2
	s_add_i32 s22, s22, -1
	v_add_u32_e32 v2, v1, v6
	s_waitcnt lgkmcnt(0)
	s_mul_i32 s14, s8, s11
	s_mov_b32 s15, 0
	v_ashrrev_i32_e32 v2, 4, v2
	v_mov_b32_e32 v7, s22
	v_cmp_gt_i32_e32 vcc, s33, v1
	s_lshl_b64 s[14:15], s[14:15], 2
	v_cndmask_b32_e32 v2, v7, v2, vcc
	s_add_u32 s11, s12, s14
	v_ashrrev_i32_e32 v3, 31, v2
	s_addc_u32 s21, s13, s15
	v_lshlrev_b64 v[2:3], 2, v[2:3]
	v_mov_b32_e32 v5, s21
	v_add_co_u32_e32 v4, vcc, s11, v2
	v_or_b32_e32 v2, 16, v1
	v_addc_co_u32_e32 v5, vcc, v5, v3, vcc
	v_add_u32_e32 v3, v2, v6
	v_ashrrev_i32_e32 v3, 4, v3
	v_cmp_gt_i32_e32 vcc, s33, v2
	v_cndmask_b32_e32 v2, v7, v3, vcc
	v_ashrrev_i32_e32 v3, 31, v2
	v_lshlrev_b64 v[2:3], 2, v[2:3]
	v_mov_b32_e32 v9, s21
	v_add_co_u32_e32 v8, vcc, s11, v2
	v_or_b32_e32 v2, 32, v1
	v_addc_co_u32_e32 v9, vcc, v9, v3, vcc
	v_add_u32_e32 v3, v2, v6
	v_ashrrev_i32_e32 v3, 4, v3
	v_cmp_gt_i32_e32 vcc, s33, v2
	v_cndmask_b32_e32 v2, v7, v3, vcc
	v_ashrrev_i32_e32 v3, 31, v2
	;; [unrolled: 10-line block ×3, first 2 shown]
	v_lshlrev_b64 v[2:3], 2, v[2:3]
	v_mov_b32_e32 v1, s21
	v_add_co_u32_e32 v12, vcc, s11, v2
	v_addc_co_u32_e32 v13, vcc, v1, v3, vcc
	global_load_dword v3, v[4:5], off
	global_load_dword v2, v[8:9], off
	;; [unrolled: 1-line block ×4, first 2 shown]
	s_load_dwordx4 s[12:15], s[4:5], 0x8
	s_andn2_b64 vcc, exec, s[16:17]
	s_cbranch_vccnz .LBB633_8
; %bb.6:
	s_add_u32 s6, s6, s18
	s_addc_u32 s7, s7, s19
	s_load_dword s16, s[6:7], 0x0
	s_branch .LBB633_9
.LBB633_7:
	s_mov_b64 s[14:15], 0
	s_branch .LBB633_2
.LBB633_8:
	s_mov_b32 s16, s8
.LBB633_9:
	s_load_dwordx2 s[48:49], s[4:5], 0x68
	s_load_dwordx8 s[40:47], s[4:5], 0x48
	v_and_b32_e32 v55, 15, v0
	v_lshlrev_b32_e32 v4, 3, v55
	s_movk_i32 s6, 0xc0
	v_lshrrev_b32_e32 v62, 6, v0
	v_bfe_u32 v1, v0, 4, 2
	s_mul_i32 s25, s10, 12
	v_cmp_gt_u32_e32 vcc, s6, v0
	v_lshlrev_b32_e32 v54, 1, v4
	v_lshlrev_b32_e32 v56, 4, v0
	s_and_saveexec_b64 s[6:7], vcc
	s_cbranch_execz .LBB633_11
; %bb.10:
	s_load_dwordx2 s[18:19], s[4:5], 0x0
	s_waitcnt lgkmcnt(0)
	s_ashr_i32 s17, s40, 31
	s_mul_hi_u32 s23, s16, s40
	s_mul_i32 s17, s16, s17
	v_lshl_or_b32 v7, v62, 2, v1
	s_add_i32 s17, s23, s17
	s_mul_i32 s16, s16, s40
	s_lshl_b64 s[16:17], s[16:17], 1
	v_add_lshl_u32 v4, v7, s25, 7
	s_add_u32 s16, s18, s16
	v_ashrrev_i32_e32 v5, 31, v4
	s_addc_u32 s17, s19, s17
	v_lshlrev_b64 v[4:5], 1, v[4:5]
	v_mov_b32_e32 v8, s17
	v_add_co_u32_e32 v4, vcc, s16, v4
	v_addc_co_u32_e32 v5, vcc, v8, v5, vcc
	v_add_co_u32_e32 v4, vcc, v4, v54
	v_addc_co_u32_e32 v5, vcc, 0, v5, vcc
	global_load_dwordx4 v[8:11], v[4:5], off
	v_lshlrev_b32_e32 v5, 8, v0
	v_lshlrev_b32_e32 v4, 8, v55
	v_and_b32_e32 v5, 0x600, v5
	s_movk_i32 s16, 0x800
	v_and_or_b32 v4, v4, s16, v5
	v_lshlrev_b32_e32 v5, 5, v7
	v_and_b32_e32 v7, 16, v56
	v_or3_b32 v4, v4, v5, v7
	s_waitcnt vmcnt(0)
	ds_write_b128 v4, v[8:11]
.LBB633_11:
	s_or_b64 exec, exec, s[6:7]
	v_and_b32_e32 v7, 48, v0
	v_or_b32_e32 v14, s20, v7
	v_ashrrev_i32_e32 v4, 4, v14
	v_mov_b32_e32 v15, s22
	v_cmp_gt_i32_e32 vcc, s33, v14
	v_cndmask_b32_e32 v4, v15, v4, vcc
	v_ashrrev_i32_e32 v5, 31, v4
	v_lshlrev_b64 v[4:5], 2, v[4:5]
	v_mov_b32_e32 v8, s21
	v_add_co_u32_e32 v4, vcc, s11, v4
	v_addc_co_u32_e32 v5, vcc, v8, v5, vcc
	v_or_b32_e32 v8, 64, v14
	v_ashrrev_i32_e32 v9, 4, v8
	v_cmp_gt_i32_e32 vcc, s33, v8
	v_cndmask_b32_e32 v8, v15, v9, vcc
	v_ashrrev_i32_e32 v9, 31, v8
	v_lshlrev_b64 v[8:9], 2, v[8:9]
	v_mov_b32_e32 v10, s21
	v_add_co_u32_e32 v8, vcc, s11, v8
	v_addc_co_u32_e32 v9, vcc, v10, v9, vcc
	v_or_b32_e32 v10, 0x80, v14
	v_ashrrev_i32_e32 v11, 4, v10
	v_cmp_gt_i32_e32 vcc, s33, v10
	v_cndmask_b32_e32 v10, v15, v11, vcc
	v_ashrrev_i32_e32 v11, 31, v10
	v_lshlrev_b64 v[10:11], 2, v[10:11]
	v_mov_b32_e32 v16, s21
	v_add_co_u32_e32 v10, vcc, s11, v10
	s_load_dwordx2 s[50:51], s[4:5], 0x94
	s_waitcnt lgkmcnt(0)
	s_barrier
	v_addc_co_u32_e32 v11, vcc, v16, v11, vcc
	global_load_dword v50, v[4:5], off
	global_load_dword v57, v[8:9], off
	;; [unrolled: 1-line block ×3, first 2 shown]
	v_or_b32_e32 v4, 0xc0, v14
	v_ashrrev_i32_e32 v5, 4, v4
	v_cmp_gt_i32_e32 vcc, s33, v4
	v_cndmask_b32_e32 v4, v15, v5, vcc
	v_ashrrev_i32_e32 v5, 31, v4
	v_lshlrev_b64 v[4:5], 2, v[4:5]
	v_mov_b32_e32 v8, s21
	v_add_co_u32_e32 v4, vcc, s11, v4
	v_addc_co_u32_e32 v5, vcc, v8, v5, vcc
	s_mul_i32 s10, s10, s42
	global_load_dword v72, v[4:5], off
	s_add_u32 s6, s12, s10
	s_addc_u32 s7, s13, 0
	v_and_b32_e32 v12, 0xf0, v56
	v_mov_b32_e32 v13, s7
	v_add_co_u32_e32 v20, vcc, s6, v12
	v_addc_co_u32_e32 v21, vcc, 0, v13, vcc
	v_lshlrev_b32_e32 v28, 4, v7
	s_waitcnt vmcnt(7)
	v_mad_i64_i32 v[4:5], s[6:7], v3, s41, v[20:21]
	v_add_co_u32_e32 v4, vcc, v4, v28
	v_addc_co_u32_e32 v5, vcc, 0, v5, vcc
	global_load_dwordx4 v[38:41], v[4:5], off
	global_load_dwordx4 v[10:13], v[4:5], off offset:1024
	s_waitcnt vmcnt(8)
	v_mad_i64_i32 v[2:3], s[6:7], v2, s41, v[20:21]
	v_add_co_u32_e32 v8, vcc, v2, v28
	v_addc_co_u32_e32 v9, vcc, 0, v3, vcc
	s_waitcnt vmcnt(7)
	v_mad_i64_i32 v[6:7], s[6:7], v6, s41, v[20:21]
	v_add_co_u32_e32 v26, vcc, v6, v28
	v_addc_co_u32_e32 v27, vcc, 0, v7, vcc
	s_waitcnt vmcnt(6)
	v_mad_i64_i32 v[18:19], s[6:7], v18, s41, v[20:21]
	v_add_co_u32_e32 v30, vcc, v18, v28
	s_add_u32 s10, s14, s10
	v_lshl_or_b32 v63, v62, 4, v55
	global_load_dwordx4 v[14:17], v[8:9], off
	global_load_dwordx4 v[2:5], v[8:9], off offset:1024
	v_addc_co_u32_e32 v31, vcc, 0, v19, vcc
	s_addc_u32 s11, s15, 0
	v_lshlrev_b32_e32 v51, 4, v63
	global_load_dwordx4 v[6:9], v[26:27], off
	global_load_dwordx4 v[22:25], v[26:27], off offset:1024
	s_nop 0
	global_load_dwordx4 v[26:29], v[30:31], off
	global_load_dwordx4 v[18:21], v[30:31], off offset:1024
	v_mov_b32_e32 v30, s11
	v_add_co_u32_e32 v42, vcc, s10, v51
	v_addc_co_u32_e32 v43, vcc, 0, v30, vcc
	v_or_b32_e32 v51, 0x400, v51
	v_mov_b32_e32 v52, s11
	v_add_co_u32_e32 v58, vcc, s10, v51
	v_addc_co_u32_e32 v59, vcc, 0, v52, vcc
	v_cmp_gt_u32_e32 vcc, 12, v55
	s_mov_b32 s12, 0
	s_movk_i32 s13, 0x80
	s_movk_i32 s14, 0x7f
	s_mov_b32 s15, 0xffffff
	s_waitcnt vmcnt(11)
	v_mad_i64_i32 v[30:31], s[6:7], v50, s41, v[42:43]
	s_waitcnt vmcnt(10)
	v_mad_i64_i32 v[32:33], s[6:7], v57, s41, v[42:43]
	s_waitcnt vmcnt(9)
	v_mad_i64_i32 v[44:45], s[6:7], v68, s41, v[42:43]
	global_load_dwordx4 v[34:37], v[30:31], off
	s_nop 0
	global_load_dwordx4 v[30:33], v[32:33], off
	v_mad_i64_i32 v[50:51], s[6:7], v50, s41, v[58:59]
	v_mad_i64_i32 v[60:61], s[6:7], v57, s41, v[58:59]
	s_waitcnt vmcnt(10)
	v_mad_i64_i32 v[42:43], s[6:7], v72, s41, v[42:43]
	global_load_dwordx4 v[46:49], v[44:45], off
	s_nop 0
	global_load_dwordx4 v[42:45], v[42:43], off
	s_nop 0
	;; [unrolled: 2-line block ×3, first 2 shown]
	global_load_dwordx4 v[64:67], v[60:61], off
	s_waitcnt vmcnt(13)
	buffer_store_dword v41, off, s[0:3], 0 offset:12
	buffer_store_dword v40, off, s[0:3], 0 offset:8
	v_mad_i64_i32 v[40:41], s[6:7], v68, s41, v[58:59]
	global_load_dwordx4 v[68:71], v[40:41], off
	v_mad_i64_i32 v[40:41], s[6:7], v72, s41, v[58:59]
	global_load_dwordx4 v[72:75], v[40:41], off
	s_nop 0
	buffer_store_dword v39, off, s[0:3], 0 offset:4
	buffer_store_dword v38, off, s[0:3], 0
	s_waitcnt vmcnt(18)
	buffer_store_dword v13, off, s[0:3], 0 offset:28
	buffer_store_dword v12, off, s[0:3], 0 offset:24
	;; [unrolled: 1-line block ×4, first 2 shown]
	s_waitcnt vmcnt(21)
	buffer_store_dword v17, off, s[0:3], 0 offset:44
	buffer_store_dword v16, off, s[0:3], 0 offset:40
	buffer_store_dword v15, off, s[0:3], 0 offset:36
	buffer_store_dword v14, off, s[0:3], 0 offset:32
	s_load_dword s6, s[4:5], 0x1c
	s_load_dwordx4 s[40:43], s[4:5], 0x80
	s_waitcnt vmcnt(24)
	buffer_store_dword v5, off, s[0:3], 0 offset:60
	buffer_store_dword v4, off, s[0:3], 0 offset:56
	;; [unrolled: 1-line block ×4, first 2 shown]
	v_add_u32_e32 v2, -12, v55
	v_cndmask_b32_e32 v2, v2, v55, vcc
	v_lshlrev_b32_e32 v2, 5, v2
	v_mov_b32_e32 v10, 0x80
	s_waitcnt vmcnt(27)
	buffer_store_dword v9, off, s[0:3], 0 offset:76
	buffer_store_dword v8, off, s[0:3], 0 offset:72
	;; [unrolled: 1-line block ×4, first 2 shown]
	v_lshl_add_u32 v14, v1, 9, v2
	v_add_u32_e32 v39, 16, v10
	v_add_u32_e32 v61, 32, v10
	;; [unrolled: 1-line block ×7, first 2 shown]
	ds_read_b128 v[2:5], v14
	ds_read_b128 v[6:9], v14 offset:16
	ds_read_b128 v[10:13], v14 offset:2048
	;; [unrolled: 1-line block ×3, first 2 shown]
	s_waitcnt vmcnt(30)
	buffer_store_dword v25, off, s[0:3], 0 offset:92
	buffer_store_dword v24, off, s[0:3], 0 offset:88
	buffer_store_dword v23, off, s[0:3], 0 offset:84
	buffer_store_dword v22, off, s[0:3], 0 offset:80
	s_waitcnt vmcnt(33)
	buffer_store_dword v29, off, s[0:3], 0 offset:108
	buffer_store_dword v28, off, s[0:3], 0 offset:104
	buffer_store_dword v27, off, s[0:3], 0 offset:100
	buffer_store_dword v26, off, s[0:3], 0 offset:96
	s_waitcnt vmcnt(36)
	buffer_store_dword v18, off, s[0:3], 0 offset:112
	buffer_store_dword v19, off, s[0:3], 0 offset:116
	buffer_store_dword v20, off, s[0:3], 0 offset:120
	buffer_store_dword v21, off, s[0:3], 0 offset:124
	s_waitcnt lgkmcnt(0)
	v_mov_b32_e32 v18, s6
	v_and_b32_e32 v38, 63, v0
	v_mov_b32_e32 v27, 0
	s_waitcnt vmcnt(39)
	buffer_store_dword v37, off, s[0:3], 0 offset:140
	buffer_store_dword v36, off, s[0:3], 0 offset:136
	buffer_store_dword v35, off, s[0:3], 0 offset:132
	buffer_store_dword v34, off, s[0:3], 0 offset:128
	s_waitcnt vmcnt(42)
	buffer_store_dword v33, off, s[0:3], 0 offset:172
	buffer_store_dword v32, off, s[0:3], 0 offset:168
	buffer_store_dword v31, off, s[0:3], 0 offset:164
	buffer_store_dword v30, off, s[0:3], 0 offset:160
	;; [unrolled: 5-line block ×7, first 2 shown]
	s_waitcnt vmcnt(58)
	buffer_store_dword v75, off, s[0:3], 0 offset:252
	s_load_dword s4, s[40:41], 0x0
	v_mov_b32_e32 v29, 0
	v_mov_b32_e32 v31, 0x100
	v_bfrev_b32_e32 v33, 60
	buffer_store_dword v74, off, s[0:3], 0 offset:248
	buffer_store_dword v73, off, s[0:3], 0 offset:244
	;; [unrolled: 1-line block ×3, first 2 shown]
	s_waitcnt lgkmcnt(0)
	v_mul_f32_e32 v22, s4, v18
	v_mov_b32_e32 v24, v22
	v_mov_b32_e32 v25, v22
	s_branch .LBB633_15
.LBB633_12:                             ;   in Loop: Header=BB633_15 Depth=1
	s_or_b64 exec, exec, s[10:11]
.LBB633_13:                             ;   in Loop: Header=BB633_15 Depth=1
	s_or_b64 exec, exec, s[6:7]
.LBB633_14:                             ;   in Loop: Header=BB633_15 Depth=1
	s_or_b64 exec, exec, s[4:5]
	v_cvt_pkrtz_f16_f32 v42, v34, v32
	v_cvt_pkrtz_f16_f32 v43, v23, v36
	v_cvt_pkrtz_f16_f32 v34, v35, v37
	v_cvt_pkrtz_f16_f32 v35, v30, v40
	v_add_u32_e32 v26, s12, v31
	v_mfma_f32_16x16x16f16 v[18:21], v[42:43], v[14:15], v[18:21]
	s_add_i32 s12, s12, 16
	v_mov_b32_e32 v23, v22
	s_cmp_eq_u32 s12, 64
	v_add_u32_e32 v27, 32, v27
	v_mfma_f32_16x16x16f16 v[18:21], v[34:35], v[16:17], v[18:21]
	s_nop 7
	s_nop 2
	v_pk_mul_f32 v[18:19], v[24:25], v[18:19]
	v_pk_mul_f32 v[20:21], v[22:23], v[20:21]
	buffer_store_dword v19, v26, s[0:3], 0 offen offset:4
	buffer_store_dword v18, v26, s[0:3], 0 offen
	buffer_store_dword v21, v26, s[0:3], 0 offen offset:12
	buffer_store_dword v20, v26, s[0:3], 0 offen offset:8
	s_cbranch_scc1 .LBB633_205
.LBB633_15:                             ; =>This Inner Loop Header: Depth=1
	buffer_load_dword v20, v27, s[0:3], 0 offen
	buffer_load_dword v18, v27, s[0:3], 0 offen offset:4
	buffer_load_dword v28, v27, s[0:3], 0 offen offset:8
	;; [unrolled: 1-line block ×3, first 2 shown]
	v_mov_b32_e32 v19, 0
	s_waitcnt vmcnt(3)
	v_cmp_ne_u16_sdwa s[6:7], v20, v29 src0_sel:BYTE_0 src1_sel:DWORD
	s_and_saveexec_b64 s[4:5], s[6:7]
	s_cbranch_execz .LBB633_21
; %bb.16:                               ;   in Loop: Header=BB633_15 Depth=1
	v_cmp_ne_u16_sdwa s[10:11], v20, s13 src0_sel:BYTE_0 src1_sel:DWORD
	v_bfrev_b32_e32 v19, 1
	s_and_saveexec_b64 s[6:7], s[10:11]
	s_cbranch_execz .LBB633_20
; %bb.17:                               ;   in Loop: Header=BB633_15 Depth=1
	v_and_b32_e32 v21, 0x7f, v20
	v_cmp_ne_u32_e32 vcc, s14, v21
	v_mov_b32_e32 v19, 0x7f800001
	s_and_saveexec_b64 s[10:11], vcc
	s_cbranch_execz .LBB633_19
; %bb.18:                               ;   in Loop: Header=BB633_15 Depth=1
	v_and_b32_e32 v19, 7, v20
	v_ffbh_u32_e32 v30, v19
	v_min_u32_e32 v30, 32, v30
	v_subrev_u32_e32 v32, 28, v30
	v_lshlrev_b64 v[34:35], v32, v[20:21]
	v_lshrrev_b32_e32 v23, 3, v21
	v_sub_u32_e32 v30, 29, v30
	v_and_b32_e32 v32, 7, v34
	v_cmp_gt_u32_e32 vcc, 8, v21
	v_cndmask_b32_e32 v21, v23, v30, vcc
	v_cndmask_b32_e32 v19, v19, v32, vcc
	v_lshlrev_b32_e32 v23, 24, v20
	v_lshlrev_b32_e32 v19, 20, v19
	v_and_b32_e32 v23, 0x80000000, v23
	v_lshl_add_u32 v21, v21, 23, v33
	v_or3_b32 v19, v23, v21, v19
.LBB633_19:                             ;   in Loop: Header=BB633_15 Depth=1
	s_or_b64 exec, exec, s[10:11]
.LBB633_20:                             ;   in Loop: Header=BB633_15 Depth=1
	s_or_b64 exec, exec, s[6:7]
.LBB633_21:                             ;   in Loop: Header=BB633_15 Depth=1
	s_or_b64 exec, exec, s[4:5]
	v_lshrrev_b16_e32 v30, 8, v20
	v_cmp_ne_u16_e32 vcc, 0, v30
	v_mov_b32_e32 v21, 0
	v_mov_b32_e32 v23, 0
	s_and_saveexec_b64 s[4:5], vcc
	s_cbranch_execz .LBB633_27
; %bb.22:                               ;   in Loop: Header=BB633_15 Depth=1
	v_cmp_ne_u16_e32 vcc, s13, v30
	v_bfrev_b32_e32 v23, 1
	s_and_saveexec_b64 s[6:7], vcc
	s_cbranch_execz .LBB633_26
; %bb.23:                               ;   in Loop: Header=BB633_15 Depth=1
	v_and_b32_e32 v32, 0x7f, v30
	v_cmp_ne_u32_e32 vcc, s14, v32
	v_mov_b32_e32 v23, 0x7f800001
	s_and_saveexec_b64 s[10:11], vcc
	s_cbranch_execz .LBB633_25
; %bb.24:                               ;   in Loop: Header=BB633_15 Depth=1
	v_and_b32_e32 v23, 7, v30
	v_ffbh_u32_e32 v34, v23
	v_min_u32_e32 v37, 32, v34
	v_subrev_u32_e32 v34, 28, v37
	v_lshlrev_b64 v[34:35], v34, v[30:31]
	v_lshrrev_b32_e32 v36, 3, v32
	v_sub_u32_e32 v30, 29, v37
	v_and_b32_e32 v34, 7, v34
	v_cmp_gt_u32_e32 vcc, 8, v32
	v_cndmask_b32_e32 v30, v36, v30, vcc
	v_cndmask_b32_e32 v23, v23, v34, vcc
	v_lshlrev_b32_e32 v32, 16, v20
	v_lshlrev_b32_e32 v23, 20, v23
	v_and_b32_e32 v32, 0x80000000, v32
	v_lshl_add_u32 v30, v30, 23, v33
	v_or3_b32 v23, v32, v30, v23
.LBB633_25:                             ;   in Loop: Header=BB633_15 Depth=1
	s_or_b64 exec, exec, s[10:11]
.LBB633_26:                             ;   in Loop: Header=BB633_15 Depth=1
	s_or_b64 exec, exec, s[6:7]
.LBB633_27:                             ;   in Loop: Header=BB633_15 Depth=1
	s_or_b64 exec, exec, s[4:5]
	v_lshrrev_b32_e32 v30, 16, v20
	v_cmp_ne_u16_sdwa s[6:7], v30, v29 src0_sel:BYTE_0 src1_sel:DWORD
	s_and_saveexec_b64 s[4:5], s[6:7]
	s_cbranch_execz .LBB633_33
; %bb.28:                               ;   in Loop: Header=BB633_15 Depth=1
	v_cmp_ne_u16_sdwa s[10:11], v30, s13 src0_sel:BYTE_0 src1_sel:DWORD
	v_bfrev_b32_e32 v21, 1
	s_and_saveexec_b64 s[6:7], s[10:11]
	s_cbranch_execz .LBB633_32
; %bb.29:                               ;   in Loop: Header=BB633_15 Depth=1
	v_bfe_u32 v32, v20, 16, 7
	v_cmp_ne_u32_e32 vcc, s14, v32
	v_mov_b32_e32 v21, 0x7f800001
	s_and_saveexec_b64 s[10:11], vcc
	s_cbranch_execz .LBB633_31
; %bb.30:                               ;   in Loop: Header=BB633_15 Depth=1
	v_and_b32_e32 v21, 7, v30
	v_ffbh_u32_e32 v34, v21
	v_min_u32_e32 v37, 32, v34
	v_subrev_u32_e32 v34, 28, v37
	v_lshlrev_b64 v[34:35], v34, v[30:31]
	v_lshrrev_b32_e32 v36, 3, v32
	v_sub_u32_e32 v35, 29, v37
	v_and_b32_e32 v34, 7, v34
	v_cmp_gt_u32_e32 vcc, 8, v32
	v_cndmask_b32_e32 v32, v36, v35, vcc
	v_cndmask_b32_e32 v21, v21, v34, vcc
	v_lshlrev_b32_e32 v30, 24, v30
	v_lshlrev_b32_e32 v21, 20, v21
	v_and_b32_e32 v30, 0x80000000, v30
	v_lshl_add_u32 v32, v32, 23, v33
	v_or3_b32 v21, v30, v32, v21
.LBB633_31:                             ;   in Loop: Header=BB633_15 Depth=1
	s_or_b64 exec, exec, s[10:11]
.LBB633_32:                             ;   in Loop: Header=BB633_15 Depth=1
	s_or_b64 exec, exec, s[6:7]
.LBB633_33:                             ;   in Loop: Header=BB633_15 Depth=1
	s_or_b64 exec, exec, s[4:5]
	v_cmp_lt_u32_e32 vcc, s15, v20
	v_mov_b32_e32 v34, 0
	v_mov_b32_e32 v35, 0
	s_and_saveexec_b64 s[4:5], vcc
	s_cbranch_execz .LBB633_39
; %bb.34:                               ;   in Loop: Header=BB633_15 Depth=1
	v_lshrrev_b32_e32 v30, 24, v20
	v_cmp_ne_u32_e32 vcc, s13, v30
	v_bfrev_b32_e32 v35, 1
	s_and_saveexec_b64 s[6:7], vcc
	s_cbranch_execz .LBB633_38
; %bb.35:                               ;   in Loop: Header=BB633_15 Depth=1
	v_bfe_u32 v20, v20, 24, 7
	v_cmp_ne_u32_e32 vcc, s14, v20
	v_mov_b32_e32 v35, 0x7f800001
	s_and_saveexec_b64 s[10:11], vcc
	s_cbranch_execz .LBB633_37
; %bb.36:                               ;   in Loop: Header=BB633_15 Depth=1
	v_and_b32_e32 v32, 7, v30
	v_ffbh_u32_e32 v36, v32
	v_min_u32_e32 v40, 32, v36
	v_subrev_u32_e32 v36, 28, v40
	v_lshlrev_b64 v[36:37], v36, v[30:31]
	v_lshrrev_b32_e32 v35, 3, v20
	v_sub_u32_e32 v37, 29, v40
	v_and_b32_e32 v36, 7, v36
	v_cmp_gt_u32_e32 vcc, 8, v20
	v_cndmask_b32_e32 v20, v35, v37, vcc
	v_cndmask_b32_e32 v32, v32, v36, vcc
	v_lshlrev_b32_e32 v30, 24, v30
	v_lshlrev_b32_e32 v32, 20, v32
	v_and_b32_e32 v30, 0x80000000, v30
	v_lshl_add_u32 v20, v20, 23, v33
	v_or3_b32 v35, v30, v20, v32
.LBB633_37:                             ;   in Loop: Header=BB633_15 Depth=1
	s_or_b64 exec, exec, s[10:11]
.LBB633_38:                             ;   in Loop: Header=BB633_15 Depth=1
	s_or_b64 exec, exec, s[6:7]
.LBB633_39:                             ;   in Loop: Header=BB633_15 Depth=1
	s_or_b64 exec, exec, s[4:5]
	s_waitcnt vmcnt(2)
	v_cmp_ne_u16_sdwa s[6:7], v18, v29 src0_sel:BYTE_0 src1_sel:DWORD
	s_and_saveexec_b64 s[4:5], s[6:7]
	s_cbranch_execz .LBB633_45
; %bb.40:                               ;   in Loop: Header=BB633_15 Depth=1
	v_cmp_ne_u16_sdwa s[10:11], v18, s13 src0_sel:BYTE_0 src1_sel:DWORD
	v_bfrev_b32_e32 v34, 1
	s_and_saveexec_b64 s[6:7], s[10:11]
	s_cbranch_execz .LBB633_44
; %bb.41:                               ;   in Loop: Header=BB633_15 Depth=1
	v_and_b32_e32 v20, 0x7f, v18
	v_cmp_ne_u32_e32 vcc, s14, v20
	v_mov_b32_e32 v34, 0x7f800001
	s_and_saveexec_b64 s[10:11], vcc
	s_cbranch_execz .LBB633_43
; %bb.42:                               ;   in Loop: Header=BB633_15 Depth=1
	v_and_b32_e32 v30, 7, v18
	v_ffbh_u32_e32 v34, v30
	v_min_u32_e32 v34, 32, v34
	v_subrev_u32_e32 v36, 28, v34
	v_lshlrev_b64 v[36:37], v36, v[18:19]
	v_lshrrev_b32_e32 v32, 3, v20
	v_sub_u32_e32 v34, 29, v34
	v_and_b32_e32 v36, 7, v36
	v_cmp_gt_u32_e32 vcc, 8, v20
	v_cndmask_b32_e32 v20, v32, v34, vcc
	v_cndmask_b32_e32 v30, v30, v36, vcc
	v_lshlrev_b32_e32 v32, 24, v18
	v_lshlrev_b32_e32 v30, 20, v30
	v_and_b32_e32 v32, 0x80000000, v32
	v_lshl_add_u32 v20, v20, 23, v33
	v_or3_b32 v34, v32, v20, v30
.LBB633_43:                             ;   in Loop: Header=BB633_15 Depth=1
	s_or_b64 exec, exec, s[10:11]
.LBB633_44:                             ;   in Loop: Header=BB633_15 Depth=1
	s_or_b64 exec, exec, s[6:7]
.LBB633_45:                             ;   in Loop: Header=BB633_15 Depth=1
	s_or_b64 exec, exec, s[4:5]
	v_lshrrev_b16_e32 v20, 8, v18
	v_cmp_ne_u16_e32 vcc, 0, v20
	v_mov_b32_e32 v30, 0
	v_mov_b32_e32 v36, 0
	s_and_saveexec_b64 s[4:5], vcc
	s_cbranch_execz .LBB633_51
; %bb.46:                               ;   in Loop: Header=BB633_15 Depth=1
	v_cmp_ne_u16_e32 vcc, s13, v20
	v_bfrev_b32_e32 v36, 1
	s_and_saveexec_b64 s[6:7], vcc
	s_cbranch_execz .LBB633_50
; %bb.47:                               ;   in Loop: Header=BB633_15 Depth=1
	v_and_b32_e32 v32, 0x7f, v20
	v_cmp_ne_u32_e32 vcc, s14, v32
	v_mov_b32_e32 v36, 0x7f800001
	s_and_saveexec_b64 s[10:11], vcc
	s_cbranch_execz .LBB633_49
; %bb.48:                               ;   in Loop: Header=BB633_15 Depth=1
	v_and_b32_e32 v40, 7, v20
	v_ffbh_u32_e32 v36, v40
	v_min_u32_e32 v43, 32, v36
	v_subrev_u32_e32 v36, 28, v43
	v_lshlrev_b64 v[36:37], v36, v[20:21]
	v_lshrrev_b32_e32 v42, 3, v32
	v_sub_u32_e32 v20, 29, v43
	v_and_b32_e32 v36, 7, v36
	v_cmp_gt_u32_e32 vcc, 8, v32
	v_cndmask_b32_e32 v20, v42, v20, vcc
	v_cndmask_b32_e32 v32, v40, v36, vcc
	v_lshlrev_b32_e32 v36, 16, v18
	v_lshlrev_b32_e32 v32, 20, v32
	v_and_b32_e32 v36, 0x80000000, v36
	v_lshl_add_u32 v20, v20, 23, v33
	v_or3_b32 v36, v36, v20, v32
.LBB633_49:                             ;   in Loop: Header=BB633_15 Depth=1
	s_or_b64 exec, exec, s[10:11]
.LBB633_50:                             ;   in Loop: Header=BB633_15 Depth=1
	s_or_b64 exec, exec, s[6:7]
.LBB633_51:                             ;   in Loop: Header=BB633_15 Depth=1
	s_or_b64 exec, exec, s[4:5]
	v_lshrrev_b32_e32 v20, 16, v18
	v_cmp_ne_u16_sdwa s[6:7], v20, v29 src0_sel:BYTE_0 src1_sel:DWORD
	s_and_saveexec_b64 s[4:5], s[6:7]
	s_cbranch_execz .LBB633_57
; %bb.52:                               ;   in Loop: Header=BB633_15 Depth=1
	v_cmp_ne_u16_sdwa s[10:11], v20, s13 src0_sel:BYTE_0 src1_sel:DWORD
	v_bfrev_b32_e32 v30, 1
	s_and_saveexec_b64 s[6:7], s[10:11]
	s_cbranch_execz .LBB633_56
; %bb.53:                               ;   in Loop: Header=BB633_15 Depth=1
	v_bfe_u32 v32, v18, 16, 7
	v_cmp_ne_u32_e32 vcc, s14, v32
	v_mov_b32_e32 v30, 0x7f800001
	s_and_saveexec_b64 s[10:11], vcc
	s_cbranch_execz .LBB633_55
; %bb.54:                               ;   in Loop: Header=BB633_15 Depth=1
	v_and_b32_e32 v30, 7, v20
	v_ffbh_u32_e32 v40, v30
	v_min_u32_e32 v40, 32, v40
	v_subrev_u32_e32 v42, 28, v40
	v_lshlrev_b64 v[42:43], v42, v[20:21]
	v_lshrrev_b32_e32 v37, 3, v32
	v_sub_u32_e32 v40, 29, v40
	v_and_b32_e32 v42, 7, v42
	v_cmp_gt_u32_e32 vcc, 8, v32
	v_cndmask_b32_e32 v32, v37, v40, vcc
	v_cndmask_b32_e32 v30, v30, v42, vcc
	v_lshlrev_b32_e32 v20, 24, v20
	v_lshlrev_b32_e32 v30, 20, v30
	v_and_b32_e32 v20, 0x80000000, v20
	v_lshl_add_u32 v32, v32, 23, v33
	v_or3_b32 v30, v20, v32, v30
.LBB633_55:                             ;   in Loop: Header=BB633_15 Depth=1
	s_or_b64 exec, exec, s[10:11]
.LBB633_56:                             ;   in Loop: Header=BB633_15 Depth=1
	s_or_b64 exec, exec, s[6:7]
.LBB633_57:                             ;   in Loop: Header=BB633_15 Depth=1
	s_or_b64 exec, exec, s[4:5]
	v_cmp_lt_u32_e32 vcc, s15, v18
	v_mov_b32_e32 v32, 0
	v_mov_b32_e32 v37, 0
	s_and_saveexec_b64 s[4:5], vcc
	s_cbranch_execz .LBB633_63
; %bb.58:                               ;   in Loop: Header=BB633_15 Depth=1
	v_lshrrev_b32_e32 v20, 24, v18
	v_cmp_ne_u32_e32 vcc, s13, v20
	v_bfrev_b32_e32 v37, 1
	s_and_saveexec_b64 s[6:7], vcc
	s_cbranch_execz .LBB633_62
; %bb.59:                               ;   in Loop: Header=BB633_15 Depth=1
	v_bfe_u32 v18, v18, 24, 7
	v_cmp_ne_u32_e32 vcc, s14, v18
	v_mov_b32_e32 v37, 0x7f800001
	s_and_saveexec_b64 s[10:11], vcc
	s_cbranch_execz .LBB633_61
; %bb.60:                               ;   in Loop: Header=BB633_15 Depth=1
	v_and_b32_e32 v37, 7, v20
	v_ffbh_u32_e32 v42, v37
	v_min_u32_e32 v44, 32, v42
	v_subrev_u32_e32 v42, 28, v44
	v_lshlrev_b64 v[42:43], v42, v[20:21]
	v_lshrrev_b32_e32 v40, 3, v18
	v_sub_u32_e32 v43, 29, v44
	v_and_b32_e32 v42, 7, v42
	v_cmp_gt_u32_e32 vcc, 8, v18
	v_cndmask_b32_e32 v18, v40, v43, vcc
	v_cndmask_b32_e32 v37, v37, v42, vcc
	v_lshlrev_b32_e32 v20, 24, v20
	v_lshlrev_b32_e32 v37, 20, v37
	v_and_b32_e32 v20, 0x80000000, v20
	v_lshl_add_u32 v18, v18, 23, v33
	v_or3_b32 v37, v20, v18, v37
.LBB633_61:                             ;   in Loop: Header=BB633_15 Depth=1
	s_or_b64 exec, exec, s[10:11]
.LBB633_62:                             ;   in Loop: Header=BB633_15 Depth=1
	s_or_b64 exec, exec, s[6:7]
.LBB633_63:                             ;   in Loop: Header=BB633_15 Depth=1
	s_or_b64 exec, exec, s[4:5]
	v_cvt_pkrtz_f16_f32 v18, v19, v23
	v_cvt_pkrtz_f16_f32 v19, v21, v35
	;; [unrolled: 1-line block ×4, first 2 shown]
	s_waitcnt vmcnt(1)
	v_cmp_ne_u16_sdwa s[6:7], v28, v29 src0_sel:BYTE_0 src1_sel:DWORD
	v_mfma_f32_16x16x16f16 v[18:21], v[18:19], v[2:3], 0
	v_mfma_f32_16x16x16f16 v[18:21], v[34:35], v[4:5], v[18:21]
	s_and_saveexec_b64 s[4:5], s[6:7]
	s_cbranch_execz .LBB633_69
; %bb.64:                               ;   in Loop: Header=BB633_15 Depth=1
	v_cmp_ne_u16_sdwa s[10:11], v28, s13 src0_sel:BYTE_0 src1_sel:DWORD
	v_bfrev_b32_e32 v32, 1
	s_and_saveexec_b64 s[6:7], s[10:11]
	s_cbranch_execz .LBB633_68
; %bb.65:                               ;   in Loop: Header=BB633_15 Depth=1
	v_and_b32_e32 v23, 0x7f, v28
	v_cmp_ne_u32_e32 vcc, s14, v23
	v_mov_b32_e32 v32, 0x7f800001
	s_and_saveexec_b64 s[10:11], vcc
	s_cbranch_execz .LBB633_67
; %bb.66:                               ;   in Loop: Header=BB633_15 Depth=1
	v_and_b32_e32 v30, 7, v28
	v_ffbh_u32_e32 v34, v30
	v_min_u32_e32 v36, 32, v34
	v_subrev_u32_e32 v34, 28, v36
	v_lshlrev_b64 v[34:35], v34, v[28:29]
	v_lshrrev_b32_e32 v32, 3, v23
	v_sub_u32_e32 v35, 29, v36
	v_and_b32_e32 v34, 7, v34
	v_cmp_gt_u32_e32 vcc, 8, v23
	v_cndmask_b32_e32 v23, v32, v35, vcc
	v_cndmask_b32_e32 v30, v30, v34, vcc
	v_lshlrev_b32_e32 v32, 24, v28
	v_lshlrev_b32_e32 v30, 20, v30
	v_and_b32_e32 v32, 0x80000000, v32
	v_lshl_add_u32 v23, v23, 23, v33
	v_or3_b32 v32, v32, v23, v30
.LBB633_67:                             ;   in Loop: Header=BB633_15 Depth=1
	s_or_b64 exec, exec, s[10:11]
.LBB633_68:                             ;   in Loop: Header=BB633_15 Depth=1
	s_or_b64 exec, exec, s[6:7]
.LBB633_69:                             ;   in Loop: Header=BB633_15 Depth=1
	s_or_b64 exec, exec, s[4:5]
	v_lshrrev_b16_e32 v30, 8, v28
	v_cmp_ne_u16_e32 vcc, 0, v30
	v_mov_b32_e32 v34, 0
	v_mov_b32_e32 v35, 0
	s_and_saveexec_b64 s[4:5], vcc
	s_cbranch_execz .LBB633_75
; %bb.70:                               ;   in Loop: Header=BB633_15 Depth=1
	v_cmp_ne_u16_e32 vcc, s13, v30
	v_bfrev_b32_e32 v35, 1
	s_and_saveexec_b64 s[6:7], vcc
	s_cbranch_execz .LBB633_74
; %bb.71:                               ;   in Loop: Header=BB633_15 Depth=1
	v_and_b32_e32 v23, 0x7f, v30
	v_cmp_ne_u32_e32 vcc, s14, v23
	v_mov_b32_e32 v35, 0x7f800001
	s_and_saveexec_b64 s[10:11], vcc
	s_cbranch_execz .LBB633_73
; %bb.72:                               ;   in Loop: Header=BB633_15 Depth=1
	v_and_b32_e32 v35, 7, v30
	v_ffbh_u32_e32 v36, v35
	v_min_u32_e32 v42, 32, v36
	v_subrev_u32_e32 v36, 28, v42
	v_lshlrev_b64 v[36:37], v36, v[30:31]
	v_lshrrev_b32_e32 v40, 3, v23
	v_sub_u32_e32 v30, 29, v42
	v_and_b32_e32 v36, 7, v36
	v_cmp_gt_u32_e32 vcc, 8, v23
	v_cndmask_b32_e32 v23, v40, v30, vcc
	v_cndmask_b32_e32 v30, v35, v36, vcc
	v_lshlrev_b32_e32 v35, 16, v28
	v_lshlrev_b32_e32 v30, 20, v30
	v_and_b32_e32 v35, 0x80000000, v35
	v_lshl_add_u32 v23, v23, 23, v33
	v_or3_b32 v35, v35, v23, v30
.LBB633_73:                             ;   in Loop: Header=BB633_15 Depth=1
	s_or_b64 exec, exec, s[10:11]
.LBB633_74:                             ;   in Loop: Header=BB633_15 Depth=1
	s_or_b64 exec, exec, s[6:7]
.LBB633_75:                             ;   in Loop: Header=BB633_15 Depth=1
	s_or_b64 exec, exec, s[4:5]
	v_lshrrev_b32_e32 v30, 16, v28
	v_cmp_ne_u16_sdwa s[6:7], v30, v29 src0_sel:BYTE_0 src1_sel:DWORD
	s_and_saveexec_b64 s[4:5], s[6:7]
	s_cbranch_execz .LBB633_81
; %bb.76:                               ;   in Loop: Header=BB633_15 Depth=1
	v_cmp_ne_u16_sdwa s[10:11], v30, s13 src0_sel:BYTE_0 src1_sel:DWORD
	v_bfrev_b32_e32 v34, 1
	s_and_saveexec_b64 s[6:7], s[10:11]
	s_cbranch_execz .LBB633_80
; %bb.77:                               ;   in Loop: Header=BB633_15 Depth=1
	v_bfe_u32 v23, v28, 16, 7
	v_cmp_ne_u32_e32 vcc, s14, v23
	v_mov_b32_e32 v34, 0x7f800001
	s_and_saveexec_b64 s[10:11], vcc
	s_cbranch_execz .LBB633_79
; %bb.78:                               ;   in Loop: Header=BB633_15 Depth=1
	v_and_b32_e32 v34, 7, v30
	v_ffbh_u32_e32 v36, v34
	v_min_u32_e32 v42, 32, v36
	v_subrev_u32_e32 v36, 28, v42
	v_lshlrev_b64 v[36:37], v36, v[30:31]
	v_lshrrev_b32_e32 v40, 3, v23
	v_sub_u32_e32 v37, 29, v42
	v_and_b32_e32 v36, 7, v36
	v_cmp_gt_u32_e32 vcc, 8, v23
	v_cndmask_b32_e32 v23, v40, v37, vcc
	v_cndmask_b32_e32 v34, v34, v36, vcc
	v_lshlrev_b32_e32 v30, 24, v30
	v_lshlrev_b32_e32 v34, 20, v34
	v_and_b32_e32 v30, 0x80000000, v30
	v_lshl_add_u32 v23, v23, 23, v33
	v_or3_b32 v34, v30, v23, v34
.LBB633_79:                             ;   in Loop: Header=BB633_15 Depth=1
	s_or_b64 exec, exec, s[10:11]
.LBB633_80:                             ;   in Loop: Header=BB633_15 Depth=1
	s_or_b64 exec, exec, s[6:7]
.LBB633_81:                             ;   in Loop: Header=BB633_15 Depth=1
	s_or_b64 exec, exec, s[4:5]
	v_cmp_lt_u32_e32 vcc, s15, v28
	v_mov_b32_e32 v36, 0
	v_mov_b32_e32 v37, 0
	s_and_saveexec_b64 s[4:5], vcc
	s_cbranch_execz .LBB633_87
; %bb.82:                               ;   in Loop: Header=BB633_15 Depth=1
	v_lshrrev_b32_e32 v30, 24, v28
	v_cmp_ne_u32_e32 vcc, s13, v30
	v_bfrev_b32_e32 v37, 1
	s_and_saveexec_b64 s[6:7], vcc
	s_cbranch_execz .LBB633_86
; %bb.83:                               ;   in Loop: Header=BB633_15 Depth=1
	v_bfe_u32 v23, v28, 24, 7
	v_cmp_ne_u32_e32 vcc, s14, v23
	v_mov_b32_e32 v37, 0x7f800001
	s_and_saveexec_b64 s[10:11], vcc
	s_cbranch_execz .LBB633_85
; %bb.84:                               ;   in Loop: Header=BB633_15 Depth=1
	v_and_b32_e32 v28, 7, v30
	v_ffbh_u32_e32 v40, v28
	v_min_u32_e32 v40, 32, v40
	v_subrev_u32_e32 v42, 28, v40
	v_lshlrev_b64 v[42:43], v42, v[30:31]
	v_lshrrev_b32_e32 v37, 3, v23
	v_sub_u32_e32 v40, 29, v40
	v_and_b32_e32 v42, 7, v42
	v_cmp_gt_u32_e32 vcc, 8, v23
	v_cndmask_b32_e32 v23, v37, v40, vcc
	v_cndmask_b32_e32 v28, v28, v42, vcc
	v_lshlrev_b32_e32 v30, 24, v30
	v_lshlrev_b32_e32 v28, 20, v28
	v_and_b32_e32 v30, 0x80000000, v30
	v_lshl_add_u32 v23, v23, 23, v33
	v_or3_b32 v37, v30, v23, v28
.LBB633_85:                             ;   in Loop: Header=BB633_15 Depth=1
	s_or_b64 exec, exec, s[10:11]
.LBB633_86:                             ;   in Loop: Header=BB633_15 Depth=1
	s_or_b64 exec, exec, s[6:7]
.LBB633_87:                             ;   in Loop: Header=BB633_15 Depth=1
	s_or_b64 exec, exec, s[4:5]
	s_waitcnt vmcnt(0)
	v_cmp_ne_u16_sdwa s[6:7], v26, v29 src0_sel:BYTE_0 src1_sel:DWORD
	s_and_saveexec_b64 s[4:5], s[6:7]
	s_cbranch_execz .LBB633_93
; %bb.88:                               ;   in Loop: Header=BB633_15 Depth=1
	v_cmp_ne_u16_sdwa s[10:11], v26, s13 src0_sel:BYTE_0 src1_sel:DWORD
	v_bfrev_b32_e32 v36, 1
	s_and_saveexec_b64 s[6:7], s[10:11]
	s_cbranch_execz .LBB633_92
; %bb.89:                               ;   in Loop: Header=BB633_15 Depth=1
	v_and_b32_e32 v23, 0x7f, v26
	v_cmp_ne_u32_e32 vcc, s14, v23
	v_mov_b32_e32 v36, 0x7f800001
	s_and_saveexec_b64 s[10:11], vcc
	s_cbranch_execz .LBB633_91
; %bb.90:                               ;   in Loop: Header=BB633_15 Depth=1
	v_and_b32_e32 v28, 7, v26
	v_ffbh_u32_e32 v36, v28
	v_min_u32_e32 v36, 32, v36
	v_subrev_u32_e32 v40, 28, v36
	v_lshlrev_b64 v[42:43], v40, v[26:27]
	v_lshrrev_b32_e32 v30, 3, v23
	v_sub_u32_e32 v36, 29, v36
	v_and_b32_e32 v40, 7, v42
	v_cmp_gt_u32_e32 vcc, 8, v23
	v_cndmask_b32_e32 v23, v30, v36, vcc
	v_cndmask_b32_e32 v28, v28, v40, vcc
	v_lshlrev_b32_e32 v30, 24, v26
	v_lshlrev_b32_e32 v28, 20, v28
	v_and_b32_e32 v30, 0x80000000, v30
	v_lshl_add_u32 v23, v23, 23, v33
	v_or3_b32 v36, v30, v23, v28
.LBB633_91:                             ;   in Loop: Header=BB633_15 Depth=1
	s_or_b64 exec, exec, s[10:11]
.LBB633_92:                             ;   in Loop: Header=BB633_15 Depth=1
	s_or_b64 exec, exec, s[6:7]
.LBB633_93:                             ;   in Loop: Header=BB633_15 Depth=1
	s_or_b64 exec, exec, s[4:5]
	v_lshrrev_b16_e32 v28, 8, v26
	v_cmp_ne_u16_e32 vcc, 0, v28
	v_mov_b32_e32 v40, 0
	v_mov_b32_e32 v42, 0
	s_and_saveexec_b64 s[4:5], vcc
	s_cbranch_execz .LBB633_99
; %bb.94:                               ;   in Loop: Header=BB633_15 Depth=1
	v_cmp_ne_u16_e32 vcc, s13, v28
	v_bfrev_b32_e32 v42, 1
	s_and_saveexec_b64 s[6:7], vcc
	s_cbranch_execz .LBB633_98
; %bb.95:                               ;   in Loop: Header=BB633_15 Depth=1
	v_and_b32_e32 v23, 0x7f, v28
	v_cmp_ne_u32_e32 vcc, s14, v23
	v_mov_b32_e32 v42, 0x7f800001
	s_and_saveexec_b64 s[10:11], vcc
	s_cbranch_execz .LBB633_97
; %bb.96:                               ;   in Loop: Header=BB633_15 Depth=1
	v_and_b32_e32 v30, 7, v28
	v_ffbh_u32_e32 v42, v30
	v_min_u32_e32 v45, 32, v42
	v_subrev_u32_e32 v42, 28, v45
	v_lshlrev_b64 v[42:43], v42, v[28:29]
	v_lshrrev_b32_e32 v44, 3, v23
	v_sub_u32_e32 v28, 29, v45
	v_and_b32_e32 v42, 7, v42
	v_cmp_gt_u32_e32 vcc, 8, v23
	v_cndmask_b32_e32 v23, v44, v28, vcc
	v_cndmask_b32_e32 v28, v30, v42, vcc
	v_lshlrev_b32_e32 v30, 16, v26
	v_lshlrev_b32_e32 v28, 20, v28
	v_and_b32_e32 v30, 0x80000000, v30
	v_lshl_add_u32 v23, v23, 23, v33
	v_or3_b32 v42, v30, v23, v28
.LBB633_97:                             ;   in Loop: Header=BB633_15 Depth=1
	s_or_b64 exec, exec, s[10:11]
.LBB633_98:                             ;   in Loop: Header=BB633_15 Depth=1
	s_or_b64 exec, exec, s[6:7]
.LBB633_99:                             ;   in Loop: Header=BB633_15 Depth=1
	s_or_b64 exec, exec, s[4:5]
	v_lshrrev_b32_e32 v28, 16, v26
	v_cmp_ne_u16_sdwa s[6:7], v28, v29 src0_sel:BYTE_0 src1_sel:DWORD
	s_and_saveexec_b64 s[4:5], s[6:7]
	s_cbranch_execz .LBB633_105
; %bb.100:                              ;   in Loop: Header=BB633_15 Depth=1
	v_cmp_ne_u16_sdwa s[10:11], v28, s13 src0_sel:BYTE_0 src1_sel:DWORD
	v_bfrev_b32_e32 v40, 1
	s_and_saveexec_b64 s[6:7], s[10:11]
	s_cbranch_execz .LBB633_104
; %bb.101:                              ;   in Loop: Header=BB633_15 Depth=1
	v_bfe_u32 v23, v26, 16, 7
	v_cmp_ne_u32_e32 vcc, s14, v23
	v_mov_b32_e32 v40, 0x7f800001
	s_and_saveexec_b64 s[10:11], vcc
	s_cbranch_execz .LBB633_103
; %bb.102:                              ;   in Loop: Header=BB633_15 Depth=1
	v_and_b32_e32 v30, 7, v28
	v_ffbh_u32_e32 v43, v30
	v_min_u32_e32 v43, 32, v43
	v_subrev_u32_e32 v44, 28, v43
	v_lshlrev_b64 v[44:45], v44, v[28:29]
	v_lshrrev_b32_e32 v40, 3, v23
	v_sub_u32_e32 v43, 29, v43
	v_and_b32_e32 v44, 7, v44
	v_cmp_gt_u32_e32 vcc, 8, v23
	v_cndmask_b32_e32 v23, v40, v43, vcc
	v_cndmask_b32_e32 v30, v30, v44, vcc
	v_lshlrev_b32_e32 v28, 24, v28
	v_lshlrev_b32_e32 v30, 20, v30
	v_and_b32_e32 v28, 0x80000000, v28
	v_lshl_add_u32 v23, v23, 23, v33
	v_or3_b32 v40, v28, v23, v30
.LBB633_103:                            ;   in Loop: Header=BB633_15 Depth=1
	s_or_b64 exec, exec, s[10:11]
.LBB633_104:                            ;   in Loop: Header=BB633_15 Depth=1
	s_or_b64 exec, exec, s[6:7]
.LBB633_105:                            ;   in Loop: Header=BB633_15 Depth=1
	s_or_b64 exec, exec, s[4:5]
	v_cmp_lt_u32_e32 vcc, s15, v26
	v_mov_b32_e32 v23, 0
	v_mov_b32_e32 v43, 0
	s_and_saveexec_b64 s[4:5], vcc
	s_cbranch_execz .LBB633_111
; %bb.106:                              ;   in Loop: Header=BB633_15 Depth=1
	v_lshrrev_b32_e32 v28, 24, v26
	v_cmp_ne_u32_e32 vcc, s13, v28
	v_bfrev_b32_e32 v43, 1
	s_and_saveexec_b64 s[6:7], vcc
	s_cbranch_execz .LBB633_110
; %bb.107:                              ;   in Loop: Header=BB633_15 Depth=1
	v_bfe_u32 v26, v26, 24, 7
	v_cmp_ne_u32_e32 vcc, s14, v26
	v_mov_b32_e32 v43, 0x7f800001
	s_and_saveexec_b64 s[10:11], vcc
	s_cbranch_execz .LBB633_109
; %bb.108:                              ;   in Loop: Header=BB633_15 Depth=1
	v_and_b32_e32 v30, 7, v28
	v_ffbh_u32_e32 v44, v30
	v_min_u32_e32 v46, 32, v44
	v_subrev_u32_e32 v44, 28, v46
	v_lshlrev_b64 v[44:45], v44, v[28:29]
	v_lshrrev_b32_e32 v43, 3, v26
	v_sub_u32_e32 v45, 29, v46
	v_and_b32_e32 v44, 7, v44
	v_cmp_gt_u32_e32 vcc, 8, v26
	v_cndmask_b32_e32 v26, v43, v45, vcc
	v_cndmask_b32_e32 v30, v30, v44, vcc
	v_lshlrev_b32_e32 v28, 24, v28
	v_lshlrev_b32_e32 v30, 20, v30
	v_and_b32_e32 v28, 0x80000000, v28
	v_lshl_add_u32 v26, v26, 23, v33
	v_or3_b32 v43, v28, v26, v30
.LBB633_109:                            ;   in Loop: Header=BB633_15 Depth=1
	s_or_b64 exec, exec, s[10:11]
.LBB633_110:                            ;   in Loop: Header=BB633_15 Depth=1
	s_or_b64 exec, exec, s[6:7]
.LBB633_111:                            ;   in Loop: Header=BB633_15 Depth=1
	s_or_b64 exec, exec, s[4:5]
	v_cvt_pkrtz_f16_f32 v44, v32, v35
	buffer_load_dword v32, v27, s[0:3], 0 offen offset:16
	buffer_load_dword v30, v27, s[0:3], 0 offen offset:20
	;; [unrolled: 1-line block ×4, first 2 shown]
	v_cvt_pkrtz_f16_f32 v45, v34, v37
	v_cvt_pkrtz_f16_f32 v34, v36, v42
	;; [unrolled: 1-line block ×3, first 2 shown]
	v_mfma_f32_16x16x16f16 v[18:21], v[44:45], v[6:7], v[18:21]
	s_waitcnt vmcnt(3)
	v_cmp_ne_u16_sdwa s[6:7], v32, v29 src0_sel:BYTE_0 src1_sel:DWORD
	v_mfma_f32_16x16x16f16 v[18:21], v[34:35], v[8:9], v[18:21]
	s_and_saveexec_b64 s[4:5], s[6:7]
	s_cbranch_execz .LBB633_117
; %bb.112:                              ;   in Loop: Header=BB633_15 Depth=1
	v_cmp_ne_u16_sdwa s[10:11], v32, s13 src0_sel:BYTE_0 src1_sel:DWORD
	v_bfrev_b32_e32 v23, 1
	s_and_saveexec_b64 s[6:7], s[10:11]
	s_cbranch_execz .LBB633_116
; %bb.113:                              ;   in Loop: Header=BB633_15 Depth=1
	v_and_b32_e32 v34, 0x7f, v32
	v_cmp_ne_u32_e32 vcc, s14, v34
	v_mov_b32_e32 v23, 0x7f800001
	s_and_saveexec_b64 s[10:11], vcc
	s_cbranch_execz .LBB633_115
; %bb.114:                              ;   in Loop: Header=BB633_15 Depth=1
	v_and_b32_e32 v23, 7, v32
	v_ffbh_u32_e32 v36, v23
	v_min_u32_e32 v40, 32, v36
	v_subrev_u32_e32 v36, 28, v40
	v_lshlrev_b64 v[36:37], v36, v[32:33]
	v_lshrrev_b32_e32 v35, 3, v34
	v_sub_u32_e32 v37, 29, v40
	v_and_b32_e32 v36, 7, v36
	v_cmp_gt_u32_e32 vcc, 8, v34
	v_cndmask_b32_e32 v34, v35, v37, vcc
	v_cndmask_b32_e32 v23, v23, v36, vcc
	v_lshlrev_b32_e32 v35, 24, v32
	v_lshlrev_b32_e32 v23, 20, v23
	v_and_b32_e32 v35, 0x80000000, v35
	v_lshl_add_u32 v34, v34, 23, v33
	v_or3_b32 v23, v35, v34, v23
.LBB633_115:                            ;   in Loop: Header=BB633_15 Depth=1
	s_or_b64 exec, exec, s[10:11]
.LBB633_116:                            ;   in Loop: Header=BB633_15 Depth=1
	s_or_b64 exec, exec, s[6:7]
.LBB633_117:                            ;   in Loop: Header=BB633_15 Depth=1
	s_or_b64 exec, exec, s[4:5]
	v_lshrrev_b16_e32 v34, 8, v32
	v_cmp_ne_u16_e32 vcc, 0, v34
	v_mov_b32_e32 v35, 0
	v_mov_b32_e32 v36, 0
	s_and_saveexec_b64 s[4:5], vcc
	s_cbranch_execz .LBB633_123
; %bb.118:                              ;   in Loop: Header=BB633_15 Depth=1
	v_cmp_ne_u16_e32 vcc, s13, v34
	v_bfrev_b32_e32 v36, 1
	s_and_saveexec_b64 s[6:7], vcc
	s_cbranch_execz .LBB633_122
; %bb.119:                              ;   in Loop: Header=BB633_15 Depth=1
	v_and_b32_e32 v37, 0x7f, v34
	v_cmp_ne_u32_e32 vcc, s14, v37
	v_mov_b32_e32 v36, 0x7f800001
	s_and_saveexec_b64 s[10:11], vcc
	s_cbranch_execz .LBB633_121
; %bb.120:                              ;   in Loop: Header=BB633_15 Depth=1
	v_and_b32_e32 v36, 7, v34
	v_ffbh_u32_e32 v42, v36
	v_min_u32_e32 v44, 32, v42
	v_subrev_u32_e32 v42, 28, v44
	v_lshlrev_b64 v[42:43], v42, v[34:35]
	v_lshrrev_b32_e32 v40, 3, v37
	v_sub_u32_e32 v34, 29, v44
	v_and_b32_e32 v42, 7, v42
	v_cmp_gt_u32_e32 vcc, 8, v37
	v_cndmask_b32_e32 v34, v40, v34, vcc
	v_cndmask_b32_e32 v36, v36, v42, vcc
	v_lshlrev_b32_e32 v37, 16, v32
	v_lshlrev_b32_e32 v36, 20, v36
	v_and_b32_e32 v37, 0x80000000, v37
	v_lshl_add_u32 v34, v34, 23, v33
	v_or3_b32 v36, v37, v34, v36
.LBB633_121:                            ;   in Loop: Header=BB633_15 Depth=1
	s_or_b64 exec, exec, s[10:11]
.LBB633_122:                            ;   in Loop: Header=BB633_15 Depth=1
	s_or_b64 exec, exec, s[6:7]
.LBB633_123:                            ;   in Loop: Header=BB633_15 Depth=1
	s_or_b64 exec, exec, s[4:5]
	v_lshrrev_b32_e32 v34, 16, v32
	v_cmp_ne_u16_sdwa s[6:7], v34, v29 src0_sel:BYTE_0 src1_sel:DWORD
	s_and_saveexec_b64 s[4:5], s[6:7]
	s_cbranch_execz .LBB633_129
; %bb.124:                              ;   in Loop: Header=BB633_15 Depth=1
	v_cmp_ne_u16_sdwa s[10:11], v34, s13 src0_sel:BYTE_0 src1_sel:DWORD
	v_bfrev_b32_e32 v35, 1
	s_and_saveexec_b64 s[6:7], s[10:11]
	s_cbranch_execz .LBB633_128
; %bb.125:                              ;   in Loop: Header=BB633_15 Depth=1
	v_bfe_u32 v37, v32, 16, 7
	v_cmp_ne_u32_e32 vcc, s14, v37
	v_mov_b32_e32 v35, 0x7f800001
	s_and_saveexec_b64 s[10:11], vcc
	s_cbranch_execz .LBB633_127
; %bb.126:                              ;   in Loop: Header=BB633_15 Depth=1
	v_and_b32_e32 v35, 7, v34
	v_ffbh_u32_e32 v42, v35
	v_min_u32_e32 v44, 32, v42
	v_subrev_u32_e32 v42, 28, v44
	v_lshlrev_b64 v[42:43], v42, v[34:35]
	v_lshrrev_b32_e32 v40, 3, v37
	v_sub_u32_e32 v43, 29, v44
	v_and_b32_e32 v42, 7, v42
	v_cmp_gt_u32_e32 vcc, 8, v37
	v_cndmask_b32_e32 v37, v40, v43, vcc
	v_cndmask_b32_e32 v35, v35, v42, vcc
	v_lshlrev_b32_e32 v34, 24, v34
	v_lshlrev_b32_e32 v35, 20, v35
	v_and_b32_e32 v34, 0x80000000, v34
	v_lshl_add_u32 v37, v37, 23, v33
	v_or3_b32 v35, v34, v37, v35
.LBB633_127:                            ;   in Loop: Header=BB633_15 Depth=1
	s_or_b64 exec, exec, s[10:11]
.LBB633_128:                            ;   in Loop: Header=BB633_15 Depth=1
	s_or_b64 exec, exec, s[6:7]
.LBB633_129:                            ;   in Loop: Header=BB633_15 Depth=1
	s_or_b64 exec, exec, s[4:5]
	v_cmp_lt_u32_e32 vcc, s15, v32
	v_mov_b32_e32 v37, 0
	v_mov_b32_e32 v40, 0
	s_and_saveexec_b64 s[4:5], vcc
	s_cbranch_execz .LBB633_135
; %bb.130:                              ;   in Loop: Header=BB633_15 Depth=1
	v_lshrrev_b32_e32 v34, 24, v32
	v_cmp_ne_u32_e32 vcc, s13, v34
	v_bfrev_b32_e32 v40, 1
	s_and_saveexec_b64 s[6:7], vcc
	s_cbranch_execz .LBB633_134
; %bb.131:                              ;   in Loop: Header=BB633_15 Depth=1
	v_bfe_u32 v32, v32, 24, 7
	v_cmp_ne_u32_e32 vcc, s14, v32
	v_mov_b32_e32 v40, 0x7f800001
	s_and_saveexec_b64 s[10:11], vcc
	s_cbranch_execz .LBB633_133
; %bb.132:                              ;   in Loop: Header=BB633_15 Depth=1
	v_and_b32_e32 v40, 7, v34
	v_ffbh_u32_e32 v42, v40
	v_min_u32_e32 v45, 32, v42
	v_subrev_u32_e32 v42, 28, v45
	v_lshlrev_b64 v[42:43], v42, v[34:35]
	v_lshrrev_b32_e32 v44, 3, v32
	v_sub_u32_e32 v43, 29, v45
	v_and_b32_e32 v42, 7, v42
	v_cmp_gt_u32_e32 vcc, 8, v32
	v_cndmask_b32_e32 v32, v44, v43, vcc
	v_cndmask_b32_e32 v40, v40, v42, vcc
	v_lshlrev_b32_e32 v34, 24, v34
	v_lshlrev_b32_e32 v40, 20, v40
	v_and_b32_e32 v34, 0x80000000, v34
	v_lshl_add_u32 v32, v32, 23, v33
	v_or3_b32 v40, v34, v32, v40
.LBB633_133:                            ;   in Loop: Header=BB633_15 Depth=1
	s_or_b64 exec, exec, s[10:11]
.LBB633_134:                            ;   in Loop: Header=BB633_15 Depth=1
	s_or_b64 exec, exec, s[6:7]
.LBB633_135:                            ;   in Loop: Header=BB633_15 Depth=1
	s_or_b64 exec, exec, s[4:5]
	s_waitcnt vmcnt(2)
	v_cmp_ne_u16_sdwa s[6:7], v30, v29 src0_sel:BYTE_0 src1_sel:DWORD
	s_and_saveexec_b64 s[4:5], s[6:7]
	s_cbranch_execz .LBB633_141
; %bb.136:                              ;   in Loop: Header=BB633_15 Depth=1
	v_cmp_ne_u16_sdwa s[10:11], v30, s13 src0_sel:BYTE_0 src1_sel:DWORD
	v_bfrev_b32_e32 v37, 1
	s_and_saveexec_b64 s[6:7], s[10:11]
	s_cbranch_execz .LBB633_140
; %bb.137:                              ;   in Loop: Header=BB633_15 Depth=1
	v_and_b32_e32 v32, 0x7f, v30
	v_cmp_ne_u32_e32 vcc, s14, v32
	v_mov_b32_e32 v37, 0x7f800001
	s_and_saveexec_b64 s[10:11], vcc
	s_cbranch_execz .LBB633_139
; %bb.138:                              ;   in Loop: Header=BB633_15 Depth=1
	v_and_b32_e32 v34, 7, v30
	v_ffbh_u32_e32 v42, v34
	v_min_u32_e32 v44, 32, v42
	v_subrev_u32_e32 v42, 28, v44
	v_lshlrev_b64 v[42:43], v42, v[30:31]
	v_lshrrev_b32_e32 v37, 3, v32
	v_sub_u32_e32 v43, 29, v44
	v_and_b32_e32 v42, 7, v42
	v_cmp_gt_u32_e32 vcc, 8, v32
	v_cndmask_b32_e32 v32, v37, v43, vcc
	v_cndmask_b32_e32 v34, v34, v42, vcc
	v_lshlrev_b32_e32 v37, 24, v30
	v_lshlrev_b32_e32 v34, 20, v34
	v_and_b32_e32 v37, 0x80000000, v37
	v_lshl_add_u32 v32, v32, 23, v33
	v_or3_b32 v37, v37, v32, v34
.LBB633_139:                            ;   in Loop: Header=BB633_15 Depth=1
	s_or_b64 exec, exec, s[10:11]
.LBB633_140:                            ;   in Loop: Header=BB633_15 Depth=1
	s_or_b64 exec, exec, s[6:7]
.LBB633_141:                            ;   in Loop: Header=BB633_15 Depth=1
	s_or_b64 exec, exec, s[4:5]
	v_lshrrev_b16_e32 v32, 8, v30
	v_cmp_ne_u16_e32 vcc, 0, v32
	v_mov_b32_e32 v42, 0
	v_mov_b32_e32 v43, 0
	s_and_saveexec_b64 s[4:5], vcc
	s_cbranch_execz .LBB633_147
; %bb.142:                              ;   in Loop: Header=BB633_15 Depth=1
	v_cmp_ne_u16_e32 vcc, s13, v32
	v_bfrev_b32_e32 v43, 1
	s_and_saveexec_b64 s[6:7], vcc
	s_cbranch_execz .LBB633_146
; %bb.143:                              ;   in Loop: Header=BB633_15 Depth=1
	v_and_b32_e32 v34, 0x7f, v32
	v_cmp_ne_u32_e32 vcc, s14, v34
	v_mov_b32_e32 v43, 0x7f800001
	s_and_saveexec_b64 s[10:11], vcc
	s_cbranch_execz .LBB633_145
; %bb.144:                              ;   in Loop: Header=BB633_15 Depth=1
	v_and_b32_e32 v43, 7, v32
	v_ffbh_u32_e32 v44, v43
	v_min_u32_e32 v47, 32, v44
	v_subrev_u32_e32 v44, 28, v47
	v_lshlrev_b64 v[44:45], v44, v[32:33]
	v_lshrrev_b32_e32 v46, 3, v34
	v_sub_u32_e32 v32, 29, v47
	v_and_b32_e32 v44, 7, v44
	v_cmp_gt_u32_e32 vcc, 8, v34
	v_cndmask_b32_e32 v32, v46, v32, vcc
	v_cndmask_b32_e32 v34, v43, v44, vcc
	v_lshlrev_b32_e32 v43, 16, v30
	v_lshlrev_b32_e32 v34, 20, v34
	v_and_b32_e32 v43, 0x80000000, v43
	v_lshl_add_u32 v32, v32, 23, v33
	v_or3_b32 v43, v43, v32, v34
.LBB633_145:                            ;   in Loop: Header=BB633_15 Depth=1
	s_or_b64 exec, exec, s[10:11]
.LBB633_146:                            ;   in Loop: Header=BB633_15 Depth=1
	s_or_b64 exec, exec, s[6:7]
.LBB633_147:                            ;   in Loop: Header=BB633_15 Depth=1
	s_or_b64 exec, exec, s[4:5]
	v_lshrrev_b32_e32 v32, 16, v30
	v_cmp_ne_u16_sdwa s[6:7], v32, v29 src0_sel:BYTE_0 src1_sel:DWORD
	s_and_saveexec_b64 s[4:5], s[6:7]
	s_cbranch_execz .LBB633_153
; %bb.148:                              ;   in Loop: Header=BB633_15 Depth=1
	v_cmp_ne_u16_sdwa s[10:11], v32, s13 src0_sel:BYTE_0 src1_sel:DWORD
	v_bfrev_b32_e32 v42, 1
	s_and_saveexec_b64 s[6:7], s[10:11]
	s_cbranch_execz .LBB633_152
; %bb.149:                              ;   in Loop: Header=BB633_15 Depth=1
	v_bfe_u32 v34, v30, 16, 7
	v_cmp_ne_u32_e32 vcc, s14, v34
	v_mov_b32_e32 v42, 0x7f800001
	s_and_saveexec_b64 s[10:11], vcc
	s_cbranch_execz .LBB633_151
; %bb.150:                              ;   in Loop: Header=BB633_15 Depth=1
	v_and_b32_e32 v42, 7, v32
	v_ffbh_u32_e32 v44, v42
	v_min_u32_e32 v47, 32, v44
	v_subrev_u32_e32 v44, 28, v47
	v_lshlrev_b64 v[44:45], v44, v[32:33]
	v_lshrrev_b32_e32 v46, 3, v34
	v_sub_u32_e32 v45, 29, v47
	v_and_b32_e32 v44, 7, v44
	v_cmp_gt_u32_e32 vcc, 8, v34
	v_cndmask_b32_e32 v34, v46, v45, vcc
	v_cndmask_b32_e32 v42, v42, v44, vcc
	v_lshlrev_b32_e32 v32, 24, v32
	v_lshlrev_b32_e32 v42, 20, v42
	v_and_b32_e32 v32, 0x80000000, v32
	v_lshl_add_u32 v34, v34, 23, v33
	v_or3_b32 v42, v32, v34, v42
.LBB633_151:                            ;   in Loop: Header=BB633_15 Depth=1
	s_or_b64 exec, exec, s[10:11]
.LBB633_152:                            ;   in Loop: Header=BB633_15 Depth=1
	s_or_b64 exec, exec, s[6:7]
.LBB633_153:                            ;   in Loop: Header=BB633_15 Depth=1
	s_or_b64 exec, exec, s[4:5]
	v_cmp_lt_u32_e32 vcc, s15, v30
	v_mov_b32_e32 v34, 0
	v_mov_b32_e32 v44, 0
	s_and_saveexec_b64 s[4:5], vcc
	s_cbranch_execz .LBB633_159
; %bb.154:                              ;   in Loop: Header=BB633_15 Depth=1
	v_lshrrev_b32_e32 v32, 24, v30
	v_cmp_ne_u32_e32 vcc, s13, v32
	v_bfrev_b32_e32 v44, 1
	s_and_saveexec_b64 s[6:7], vcc
	s_cbranch_execz .LBB633_158
; %bb.155:                              ;   in Loop: Header=BB633_15 Depth=1
	v_bfe_u32 v30, v30, 24, 7
	v_cmp_ne_u32_e32 vcc, s14, v30
	v_mov_b32_e32 v44, 0x7f800001
	s_and_saveexec_b64 s[10:11], vcc
	s_cbranch_execz .LBB633_157
; %bb.156:                              ;   in Loop: Header=BB633_15 Depth=1
	v_and_b32_e32 v46, 7, v32
	v_ffbh_u32_e32 v44, v46
	v_min_u32_e32 v48, 32, v44
	v_subrev_u32_e32 v44, 28, v48
	v_lshlrev_b64 v[44:45], v44, v[32:33]
	v_lshrrev_b32_e32 v47, 3, v30
	v_sub_u32_e32 v45, 29, v48
	v_and_b32_e32 v44, 7, v44
	v_cmp_gt_u32_e32 vcc, 8, v30
	v_cndmask_b32_e32 v30, v47, v45, vcc
	v_cndmask_b32_e32 v44, v46, v44, vcc
	v_lshlrev_b32_e32 v32, 24, v32
	v_lshlrev_b32_e32 v44, 20, v44
	v_and_b32_e32 v32, 0x80000000, v32
	v_lshl_add_u32 v30, v30, 23, v33
	v_or3_b32 v44, v32, v30, v44
.LBB633_157:                            ;   in Loop: Header=BB633_15 Depth=1
	s_or_b64 exec, exec, s[10:11]
.LBB633_158:                            ;   in Loop: Header=BB633_15 Depth=1
	s_or_b64 exec, exec, s[6:7]
.LBB633_159:                            ;   in Loop: Header=BB633_15 Depth=1
	s_or_b64 exec, exec, s[4:5]
	v_cvt_pkrtz_f16_f32 v46, v23, v36
	v_cvt_pkrtz_f16_f32 v47, v35, v40
	;; [unrolled: 1-line block ×4, first 2 shown]
	s_waitcnt vmcnt(1)
	v_cmp_ne_u16_sdwa s[6:7], v28, v29 src0_sel:BYTE_0 src1_sel:DWORD
	v_mfma_f32_16x16x16f16 v[18:21], v[46:47], v[10:11], v[18:21]
	v_mfma_f32_16x16x16f16 v[18:21], v[36:37], v[12:13], v[18:21]
	s_and_saveexec_b64 s[4:5], s[6:7]
	s_cbranch_execz .LBB633_165
; %bb.160:                              ;   in Loop: Header=BB633_15 Depth=1
	v_cmp_ne_u16_sdwa s[10:11], v28, s13 src0_sel:BYTE_0 src1_sel:DWORD
	v_bfrev_b32_e32 v34, 1
	s_and_saveexec_b64 s[6:7], s[10:11]
	s_cbranch_execz .LBB633_164
; %bb.161:                              ;   in Loop: Header=BB633_15 Depth=1
	v_and_b32_e32 v23, 0x7f, v28
	v_cmp_ne_u32_e32 vcc, s14, v23
	v_mov_b32_e32 v34, 0x7f800001
	s_and_saveexec_b64 s[10:11], vcc
	s_cbranch_execz .LBB633_163
; %bb.162:                              ;   in Loop: Header=BB633_15 Depth=1
	v_and_b32_e32 v30, 7, v28
	v_ffbh_u32_e32 v34, v30
	v_min_u32_e32 v36, 32, v34
	v_subrev_u32_e32 v34, 28, v36
	v_lshlrev_b64 v[34:35], v34, v[28:29]
	v_lshrrev_b32_e32 v32, 3, v23
	v_sub_u32_e32 v35, 29, v36
	v_and_b32_e32 v34, 7, v34
	v_cmp_gt_u32_e32 vcc, 8, v23
	v_cndmask_b32_e32 v23, v32, v35, vcc
	v_cndmask_b32_e32 v30, v30, v34, vcc
	v_lshlrev_b32_e32 v32, 24, v28
	v_lshlrev_b32_e32 v30, 20, v30
	v_and_b32_e32 v32, 0x80000000, v32
	v_lshl_add_u32 v23, v23, 23, v33
	v_or3_b32 v34, v32, v23, v30
.LBB633_163:                            ;   in Loop: Header=BB633_15 Depth=1
	s_or_b64 exec, exec, s[10:11]
.LBB633_164:                            ;   in Loop: Header=BB633_15 Depth=1
	s_or_b64 exec, exec, s[6:7]
.LBB633_165:                            ;   in Loop: Header=BB633_15 Depth=1
	s_or_b64 exec, exec, s[4:5]
	v_lshrrev_b16_e32 v30, 8, v28
	v_cmp_ne_u16_e32 vcc, 0, v30
	v_mov_b32_e32 v23, 0
	v_mov_b32_e32 v32, 0
	s_and_saveexec_b64 s[4:5], vcc
	s_cbranch_execz .LBB633_171
; %bb.166:                              ;   in Loop: Header=BB633_15 Depth=1
	v_cmp_ne_u16_e32 vcc, s13, v30
	v_bfrev_b32_e32 v32, 1
	s_and_saveexec_b64 s[6:7], vcc
	s_cbranch_execz .LBB633_170
; %bb.167:                              ;   in Loop: Header=BB633_15 Depth=1
	v_and_b32_e32 v35, 0x7f, v30
	v_cmp_ne_u32_e32 vcc, s14, v35
	v_mov_b32_e32 v32, 0x7f800001
	s_and_saveexec_b64 s[10:11], vcc
	s_cbranch_execz .LBB633_169
; %bb.168:                              ;   in Loop: Header=BB633_15 Depth=1
	v_and_b32_e32 v32, 7, v30
	v_ffbh_u32_e32 v36, v32
	v_min_u32_e32 v42, 32, v36
	v_subrev_u32_e32 v36, 28, v42
	v_lshlrev_b64 v[36:37], v36, v[30:31]
	v_lshrrev_b32_e32 v40, 3, v35
	v_sub_u32_e32 v30, 29, v42
	v_and_b32_e32 v36, 7, v36
	v_cmp_gt_u32_e32 vcc, 8, v35
	v_cndmask_b32_e32 v30, v40, v30, vcc
	v_cndmask_b32_e32 v32, v32, v36, vcc
	v_lshlrev_b32_e32 v35, 16, v28
	v_lshlrev_b32_e32 v32, 20, v32
	v_and_b32_e32 v35, 0x80000000, v35
	v_lshl_add_u32 v30, v30, 23, v33
	v_or3_b32 v32, v35, v30, v32
.LBB633_169:                            ;   in Loop: Header=BB633_15 Depth=1
	s_or_b64 exec, exec, s[10:11]
.LBB633_170:                            ;   in Loop: Header=BB633_15 Depth=1
	s_or_b64 exec, exec, s[6:7]
.LBB633_171:                            ;   in Loop: Header=BB633_15 Depth=1
	s_or_b64 exec, exec, s[4:5]
	v_lshrrev_b32_e32 v30, 16, v28
	v_cmp_ne_u16_sdwa s[6:7], v30, v29 src0_sel:BYTE_0 src1_sel:DWORD
	s_and_saveexec_b64 s[4:5], s[6:7]
	s_cbranch_execz .LBB633_177
; %bb.172:                              ;   in Loop: Header=BB633_15 Depth=1
	v_cmp_ne_u16_sdwa s[10:11], v30, s13 src0_sel:BYTE_0 src1_sel:DWORD
	v_bfrev_b32_e32 v23, 1
	s_and_saveexec_b64 s[6:7], s[10:11]
	s_cbranch_execz .LBB633_176
; %bb.173:                              ;   in Loop: Header=BB633_15 Depth=1
	v_bfe_u32 v35, v28, 16, 7
	v_cmp_ne_u32_e32 vcc, s14, v35
	v_mov_b32_e32 v23, 0x7f800001
	s_and_saveexec_b64 s[10:11], vcc
	s_cbranch_execz .LBB633_175
; %bb.174:                              ;   in Loop: Header=BB633_15 Depth=1
	v_and_b32_e32 v23, 7, v30
	v_ffbh_u32_e32 v36, v23
	v_min_u32_e32 v42, 32, v36
	v_subrev_u32_e32 v36, 28, v42
	v_lshlrev_b64 v[36:37], v36, v[30:31]
	v_lshrrev_b32_e32 v40, 3, v35
	v_sub_u32_e32 v37, 29, v42
	v_and_b32_e32 v36, 7, v36
	v_cmp_gt_u32_e32 vcc, 8, v35
	v_cndmask_b32_e32 v35, v40, v37, vcc
	v_cndmask_b32_e32 v23, v23, v36, vcc
	v_lshlrev_b32_e32 v30, 24, v30
	v_lshlrev_b32_e32 v23, 20, v23
	v_and_b32_e32 v30, 0x80000000, v30
	v_lshl_add_u32 v35, v35, 23, v33
	v_or3_b32 v23, v30, v35, v23
.LBB633_175:                            ;   in Loop: Header=BB633_15 Depth=1
	s_or_b64 exec, exec, s[10:11]
.LBB633_176:                            ;   in Loop: Header=BB633_15 Depth=1
	s_or_b64 exec, exec, s[6:7]
.LBB633_177:                            ;   in Loop: Header=BB633_15 Depth=1
	s_or_b64 exec, exec, s[4:5]
	v_cmp_lt_u32_e32 vcc, s15, v28
	v_mov_b32_e32 v35, 0
	v_mov_b32_e32 v36, 0
	s_and_saveexec_b64 s[4:5], vcc
	s_cbranch_execz .LBB633_183
; %bb.178:                              ;   in Loop: Header=BB633_15 Depth=1
	v_lshrrev_b32_e32 v30, 24, v28
	v_cmp_ne_u32_e32 vcc, s13, v30
	v_bfrev_b32_e32 v36, 1
	s_and_saveexec_b64 s[6:7], vcc
	s_cbranch_execz .LBB633_182
; %bb.179:                              ;   in Loop: Header=BB633_15 Depth=1
	v_bfe_u32 v28, v28, 24, 7
	v_cmp_ne_u32_e32 vcc, s14, v28
	v_mov_b32_e32 v36, 0x7f800001
	s_and_saveexec_b64 s[10:11], vcc
	s_cbranch_execz .LBB633_181
; %bb.180:                              ;   in Loop: Header=BB633_15 Depth=1
	v_and_b32_e32 v40, 7, v30
	v_ffbh_u32_e32 v36, v40
	v_min_u32_e32 v43, 32, v36
	v_subrev_u32_e32 v36, 28, v43
	v_lshlrev_b64 v[36:37], v36, v[30:31]
	v_lshrrev_b32_e32 v42, 3, v28
	v_sub_u32_e32 v37, 29, v43
	v_and_b32_e32 v36, 7, v36
	v_cmp_gt_u32_e32 vcc, 8, v28
	v_cndmask_b32_e32 v28, v42, v37, vcc
	v_cndmask_b32_e32 v36, v40, v36, vcc
	v_lshlrev_b32_e32 v30, 24, v30
	v_lshlrev_b32_e32 v36, 20, v36
	v_and_b32_e32 v30, 0x80000000, v30
	v_lshl_add_u32 v28, v28, 23, v33
	v_or3_b32 v36, v30, v28, v36
.LBB633_181:                            ;   in Loop: Header=BB633_15 Depth=1
	s_or_b64 exec, exec, s[10:11]
.LBB633_182:                            ;   in Loop: Header=BB633_15 Depth=1
	s_or_b64 exec, exec, s[6:7]
.LBB633_183:                            ;   in Loop: Header=BB633_15 Depth=1
	s_or_b64 exec, exec, s[4:5]
	s_waitcnt vmcnt(0)
	v_cmp_ne_u16_sdwa s[6:7], v26, v29 src0_sel:BYTE_0 src1_sel:DWORD
	s_and_saveexec_b64 s[4:5], s[6:7]
	s_cbranch_execz .LBB633_189
; %bb.184:                              ;   in Loop: Header=BB633_15 Depth=1
	v_cmp_ne_u16_sdwa s[10:11], v26, s13 src0_sel:BYTE_0 src1_sel:DWORD
	v_bfrev_b32_e32 v35, 1
	s_and_saveexec_b64 s[6:7], s[10:11]
	s_cbranch_execz .LBB633_188
; %bb.185:                              ;   in Loop: Header=BB633_15 Depth=1
	v_and_b32_e32 v28, 0x7f, v26
	v_cmp_ne_u32_e32 vcc, s14, v28
	v_mov_b32_e32 v35, 0x7f800001
	s_and_saveexec_b64 s[10:11], vcc
	s_cbranch_execz .LBB633_187
; %bb.186:                              ;   in Loop: Header=BB633_15 Depth=1
	v_and_b32_e32 v30, 7, v26
	v_ffbh_u32_e32 v37, v30
	v_min_u32_e32 v37, 32, v37
	v_subrev_u32_e32 v40, 28, v37
	v_lshlrev_b64 v[42:43], v40, v[26:27]
	v_lshrrev_b32_e32 v35, 3, v28
	v_sub_u32_e32 v37, 29, v37
	v_and_b32_e32 v40, 7, v42
	v_cmp_gt_u32_e32 vcc, 8, v28
	v_cndmask_b32_e32 v28, v35, v37, vcc
	v_cndmask_b32_e32 v30, v30, v40, vcc
	v_lshlrev_b32_e32 v35, 24, v26
	v_lshlrev_b32_e32 v30, 20, v30
	v_and_b32_e32 v35, 0x80000000, v35
	v_lshl_add_u32 v28, v28, 23, v33
	v_or3_b32 v35, v35, v28, v30
.LBB633_187:                            ;   in Loop: Header=BB633_15 Depth=1
	s_or_b64 exec, exec, s[10:11]
.LBB633_188:                            ;   in Loop: Header=BB633_15 Depth=1
	s_or_b64 exec, exec, s[6:7]
.LBB633_189:                            ;   in Loop: Header=BB633_15 Depth=1
	s_or_b64 exec, exec, s[4:5]
	v_lshrrev_b16_e32 v28, 8, v26
	v_cmp_ne_u16_e32 vcc, 0, v28
	v_mov_b32_e32 v30, 0
	v_mov_b32_e32 v37, 0
	s_and_saveexec_b64 s[4:5], vcc
	s_cbranch_execz .LBB633_195
; %bb.190:                              ;   in Loop: Header=BB633_15 Depth=1
	v_cmp_ne_u16_e32 vcc, s13, v28
	v_bfrev_b32_e32 v37, 1
	s_and_saveexec_b64 s[6:7], vcc
	s_cbranch_execz .LBB633_194
; %bb.191:                              ;   in Loop: Header=BB633_15 Depth=1
	v_and_b32_e32 v40, 0x7f, v28
	v_cmp_ne_u32_e32 vcc, s14, v40
	v_mov_b32_e32 v37, 0x7f800001
	s_and_saveexec_b64 s[10:11], vcc
	s_cbranch_execz .LBB633_193
; %bb.192:                              ;   in Loop: Header=BB633_15 Depth=1
	v_and_b32_e32 v37, 7, v28
	v_ffbh_u32_e32 v42, v37
	v_min_u32_e32 v45, 32, v42
	v_subrev_u32_e32 v42, 28, v45
	v_lshlrev_b64 v[42:43], v42, v[28:29]
	v_lshrrev_b32_e32 v44, 3, v40
	v_sub_u32_e32 v28, 29, v45
	v_and_b32_e32 v42, 7, v42
	v_cmp_gt_u32_e32 vcc, 8, v40
	v_cndmask_b32_e32 v28, v44, v28, vcc
	v_cndmask_b32_e32 v37, v37, v42, vcc
	v_lshlrev_b32_e32 v40, 16, v26
	v_lshlrev_b32_e32 v37, 20, v37
	v_and_b32_e32 v40, 0x80000000, v40
	v_lshl_add_u32 v28, v28, 23, v33
	v_or3_b32 v37, v40, v28, v37
.LBB633_193:                            ;   in Loop: Header=BB633_15 Depth=1
	s_or_b64 exec, exec, s[10:11]
.LBB633_194:                            ;   in Loop: Header=BB633_15 Depth=1
	s_or_b64 exec, exec, s[6:7]
.LBB633_195:                            ;   in Loop: Header=BB633_15 Depth=1
	s_or_b64 exec, exec, s[4:5]
	v_lshrrev_b32_e32 v28, 16, v26
	v_cmp_ne_u16_sdwa s[6:7], v28, v29 src0_sel:BYTE_0 src1_sel:DWORD
	s_and_saveexec_b64 s[4:5], s[6:7]
	s_cbranch_execz .LBB633_201
; %bb.196:                              ;   in Loop: Header=BB633_15 Depth=1
	v_cmp_ne_u16_sdwa s[10:11], v28, s13 src0_sel:BYTE_0 src1_sel:DWORD
	v_bfrev_b32_e32 v30, 1
	s_and_saveexec_b64 s[6:7], s[10:11]
	s_cbranch_execz .LBB633_200
; %bb.197:                              ;   in Loop: Header=BB633_15 Depth=1
	v_bfe_u32 v40, v26, 16, 7
	v_cmp_ne_u32_e32 vcc, s14, v40
	v_mov_b32_e32 v30, 0x7f800001
	s_and_saveexec_b64 s[10:11], vcc
	s_cbranch_execz .LBB633_199
; %bb.198:                              ;   in Loop: Header=BB633_15 Depth=1
	v_and_b32_e32 v30, 7, v28
	v_ffbh_u32_e32 v42, v30
	v_min_u32_e32 v45, 32, v42
	v_subrev_u32_e32 v42, 28, v45
	v_lshlrev_b64 v[42:43], v42, v[28:29]
	v_lshrrev_b32_e32 v44, 3, v40
	v_sub_u32_e32 v43, 29, v45
	v_and_b32_e32 v42, 7, v42
	v_cmp_gt_u32_e32 vcc, 8, v40
	v_cndmask_b32_e32 v40, v44, v43, vcc
	v_cndmask_b32_e32 v30, v30, v42, vcc
	v_lshlrev_b32_e32 v28, 24, v28
	v_lshlrev_b32_e32 v30, 20, v30
	v_and_b32_e32 v28, 0x80000000, v28
	v_lshl_add_u32 v40, v40, 23, v33
	v_or3_b32 v30, v28, v40, v30
.LBB633_199:                            ;   in Loop: Header=BB633_15 Depth=1
	s_or_b64 exec, exec, s[10:11]
.LBB633_200:                            ;   in Loop: Header=BB633_15 Depth=1
	s_or_b64 exec, exec, s[6:7]
.LBB633_201:                            ;   in Loop: Header=BB633_15 Depth=1
	s_or_b64 exec, exec, s[4:5]
	v_cmp_lt_u32_e32 vcc, s15, v26
	v_mov_b32_e32 v40, 0
	s_and_saveexec_b64 s[4:5], vcc
	s_cbranch_execz .LBB633_14
; %bb.202:                              ;   in Loop: Header=BB633_15 Depth=1
	v_lshrrev_b32_e32 v28, 24, v26
	v_cmp_ne_u32_e32 vcc, s13, v28
	v_bfrev_b32_e32 v40, 1
	s_and_saveexec_b64 s[6:7], vcc
	s_cbranch_execz .LBB633_13
; %bb.203:                              ;   in Loop: Header=BB633_15 Depth=1
	v_bfe_u32 v26, v26, 24, 7
	v_cmp_ne_u32_e32 vcc, s14, v26
	v_mov_b32_e32 v40, 0x7f800001
	s_and_saveexec_b64 s[10:11], vcc
	s_cbranch_execz .LBB633_12
; %bb.204:                              ;   in Loop: Header=BB633_15 Depth=1
	v_and_b32_e32 v40, 7, v28
	v_ffbh_u32_e32 v42, v40
	v_min_u32_e32 v45, 32, v42
	v_subrev_u32_e32 v42, 28, v45
	v_lshlrev_b64 v[42:43], v42, v[28:29]
	v_lshrrev_b32_e32 v44, 3, v26
	v_sub_u32_e32 v43, 29, v45
	v_and_b32_e32 v42, 7, v42
	v_cmp_gt_u32_e32 vcc, 8, v26
	v_cndmask_b32_e32 v26, v44, v43, vcc
	v_cndmask_b32_e32 v40, v40, v42, vcc
	v_lshlrev_b32_e32 v28, 24, v28
	v_lshlrev_b32_e32 v40, 20, v40
	v_and_b32_e32 v28, 0x80000000, v28
	v_lshl_add_u32 v26, v26, 23, v33
	v_or3_b32 v40, v28, v26, v40
	s_branch .LBB633_12
.LBB633_205:
	buffer_load_dword v13, off, s[0:3], 0 offset:256
	buffer_load_dword v14, off, s[0:3], 0 offset:260
	;; [unrolled: 1-line block ×16, first 2 shown]
	v_and_b32_e32 v12, 0xc0, v0
	v_add_u32_e32 v12, s20, v12
	v_lshl_or_b32 v12, v1, 2, v12
	v_or_b32_e32 v23, 1, v12
	v_mov_b32_e32 v19, 0xff7fffff
	v_or_b32_e32 v24, 2, v12
	v_or_b32_e32 v25, 3, v12
	v_cmp_gt_i32_e64 s[26:27], s33, v12
	v_cmp_gt_i32_e64 s[28:29], s33, v23
	s_mov_b32 s52, 0xff7fffff
	v_or_b32_e32 v26, 16, v12
	v_or_b32_e32 v27, 17, v12
	;; [unrolled: 1-line block ×12, first 2 shown]
	v_cmp_gt_i32_e64 s[30:31], s33, v24
	v_cmp_gt_i32_e64 s[34:35], s33, v25
	v_mbcnt_lo_u32_b32 v20, -1, 0
	v_cmp_gt_i32_e64 s[36:37], s33, v26
	v_cmp_gt_i32_e64 s[38:39], s33, v27
	v_mbcnt_hi_u32_b32 v20, -1, v20
	v_cmp_gt_i32_e64 s[20:21], s33, v28
	v_cmp_gt_i32_e64 s[22:23], s33, v29
	v_and_b32_e32 v21, 64, v20
	v_cmp_gt_i32_e64 s[16:17], s33, v30
	v_cmp_gt_i32_e64 s[18:19], s33, v31
	v_xor_b32_e32 v22, 32, v20
	v_add_u32_e32 v21, 64, v21
	v_cmp_gt_i32_e64 s[12:13], s33, v32
	v_cmp_gt_i32_e64 s[14:15], s33, v33
	v_cmp_lt_i32_e32 vcc, v22, v21
	v_cmp_gt_i32_e64 s[6:7], s33, v34
	v_cmp_gt_i32_e64 s[10:11], s33, v35
	v_cndmask_b32_e32 v22, v20, v22, vcc
	v_cmp_gt_i32_e32 vcc, s33, v36
	v_cmp_gt_i32_e64 s[4:5], s33, v37
	v_lshlrev_b32_e32 v22, 2, v22
	s_waitcnt vmcnt(15)
	v_cndmask_b32_e64 v12, v19, v13, s[26:27]
	s_waitcnt vmcnt(14)
	v_cndmask_b32_e64 v23, v19, v14, s[28:29]
	;; [unrolled: 2-line block ×4, first 2 shown]
	v_max3_f32 v12, v12, s52, v23
	s_waitcnt vmcnt(11)
	v_cndmask_b32_e64 v26, v19, v17, s[36:37]
	s_waitcnt vmcnt(10)
	v_cndmask_b32_e64 v27, v19, v18, s[38:39]
	v_max3_f32 v12, v12, v24, v25
	s_waitcnt vmcnt(9)
	v_cndmask_b32_e64 v28, v19, v11, s[20:21]
	s_waitcnt vmcnt(8)
	v_cndmask_b32_e64 v29, v19, v10, s[22:23]
	;; [unrolled: 5-line block ×5, first 2 shown]
	v_max3_f32 v12, v12, v32, v33
	s_waitcnt vmcnt(1)
	v_cndmask_b32_e32 v36, v19, v3, vcc
	s_waitcnt vmcnt(0)
	v_cndmask_b32_e64 v19, v19, v2, s[4:5]
	v_max3_f32 v12, v12, v34, v35
	v_max3_f32 v12, v12, v36, v19
	ds_bpermute_b32 v19, v22, v12
	v_xor_b32_e32 v23, 16, v20
	v_cmp_lt_i32_e64 s[40:41], v23, v21
	v_cndmask_b32_e64 v20, v20, v23, s[40:41]
	v_lshlrev_b32_e32 v20, 2, v20
	s_waitcnt lgkmcnt(0)
	v_max_f32_e32 v19, v19, v19
	v_max_f32_e32 v12, v12, v19
	ds_bpermute_b32 v19, v20, v12
	s_waitcnt lgkmcnt(0)
	v_max_f32_e32 v19, v19, v19
	v_max_f32_e32 v12, v12, v19
	v_sub_f32_e32 v13, v13, v12
	v_sub_f32_e32 v14, v14, v12
	v_sub_f32_e32 v15, v15, v12
	v_mul_f32_e32 v13, 0x3fb8aa3b, v13
	v_mul_f32_e32 v14, 0x3fb8aa3b, v14
	v_mul_f32_e32 v15, 0x3fb8aa3b, v15
	v_exp_f32_e32 v13, v13
	v_exp_f32_e32 v14, v14
	;; [unrolled: 1-line block ×3, first 2 shown]
	v_sub_f32_e32 v16, v16, v12
	v_cndmask_b32_e64 v13, 0, v13, s[26:27]
	v_mul_f32_e32 v16, 0x3fb8aa3b, v16
	v_cndmask_b32_e64 v14, 0, v14, s[28:29]
	v_cndmask_b32_e64 v15, 0, v15, s[30:31]
	v_add_f32_e32 v19, 0, v13
	buffer_store_dword v13, off, s[0:3], 0 offset:256
	buffer_store_dword v14, off, s[0:3], 0 offset:260
	;; [unrolled: 1-line block ×3, first 2 shown]
	v_sub_f32_e32 v13, v17, v12
	v_exp_f32_e32 v16, v16
	v_add_f32_e32 v19, v19, v14
	v_mul_f32_e32 v13, 0x3fb8aa3b, v13
	v_sub_f32_e32 v14, v18, v12
	v_exp_f32_e32 v13, v13
	v_mul_f32_e32 v14, 0x3fb8aa3b, v14
	v_sub_f32_e32 v11, v11, v12
	v_exp_f32_e32 v14, v14
	;; [unrolled: 3-line block ×3, first 2 shown]
	v_mul_f32_e32 v10, 0x3fb8aa3b, v10
	v_sub_f32_e32 v9, v9, v12
	v_cndmask_b32_e64 v16, 0, v16, s[34:35]
	v_add_f32_e32 v19, v19, v15
	v_exp_f32_e32 v10, v10
	v_mul_f32_e32 v9, 0x3fb8aa3b, v9
	v_sub_f32_e32 v8, v8, v12
	v_add_f32_e32 v19, v19, v16
	v_cndmask_b32_e64 v13, 0, v13, s[36:37]
	v_exp_f32_e32 v9, v9
	v_mul_f32_e32 v8, 0x3fb8aa3b, v8
	v_sub_f32_e32 v7, v7, v12
	v_add_f32_e32 v15, v19, v13
	v_cndmask_b32_e64 v14, 0, v14, s[38:39]
	;; [unrolled: 5-line block ×5, first 2 shown]
	v_exp_f32_e32 v5, v5
	v_mul_f32_e32 v4, 0x3fb8aa3b, v4
	v_sub_f32_e32 v3, v3, v12
	buffer_store_dword v16, off, s[0:3], 0 offset:268
	buffer_store_dword v13, off, s[0:3], 0 offset:272
	;; [unrolled: 1-line block ×5, first 2 shown]
	v_add_f32_e32 v10, v15, v9
	v_cndmask_b32_e64 v8, 0, v8, s[18:19]
	v_exp_f32_e32 v4, v4
	v_mul_f32_e32 v3, 0x3fb8aa3b, v3
	v_sub_f32_e32 v2, v2, v12
	v_add_f32_e32 v10, v10, v8
	v_cndmask_b32_e64 v7, 0, v7, s[12:13]
	v_exp_f32_e32 v3, v3
	v_mul_f32_e32 v2, 0x3fb8aa3b, v2
	v_add_f32_e32 v10, v10, v7
	v_cndmask_b32_e64 v6, 0, v6, s[14:15]
	v_exp_f32_e32 v2, v2
	v_add_f32_e32 v10, v10, v6
	v_cndmask_b32_e64 v5, 0, v5, s[6:7]
	buffer_store_dword v9, off, s[0:3], 0 offset:288
	buffer_store_dword v8, off, s[0:3], 0 offset:292
	;; [unrolled: 1-line block ×4, first 2 shown]
	v_add_f32_e32 v6, v10, v5
	v_cndmask_b32_e64 v4, 0, v4, s[10:11]
	v_add_f32_e32 v6, v6, v4
	v_cndmask_b32_e32 v3, 0, v3, vcc
	v_add_f32_e32 v6, v6, v3
	v_cndmask_b32_e64 v2, 0, v2, s[4:5]
	v_add_f32_e32 v6, v6, v2
	ds_bpermute_b32 v7, v22, v6
	buffer_store_dword v5, off, s[0:3], 0 offset:304
	buffer_store_dword v4, off, s[0:3], 0 offset:308
	;; [unrolled: 1-line block ×4, first 2 shown]
	v_cmp_gt_u32_e32 vcc, 16, v38
	s_waitcnt lgkmcnt(0)
	s_barrier
	v_add_f32_e32 v2, v6, v7
	ds_bpermute_b32 v3, v20, v2
	s_waitcnt lgkmcnt(0)
	s_and_saveexec_b64 s[4:5], vcc
	s_cbranch_execz .LBB633_207
; %bb.206:
	v_add_f32_e32 v2, v2, v3
	v_lshlrev_b32_e32 v3, 2, v63
	ds_write2st64_b32 v3, v12, v2 offset1:1
.LBB633_207:
	s_or_b64 exec, exec, s[4:5]
	v_lshlrev_b32_e32 v2, 2, v55
	s_waitcnt lgkmcnt(0)
	s_barrier
	ds_read2_b32 v[12:13], v2 offset1:16
	ds_read2_b32 v[14:15], v2 offset0:32 offset1:48
	ds_read2_b32 v[6:7], v2 offset0:64 offset1:80
	;; [unrolled: 1-line block ×3, first 2 shown]
	s_waitcnt lgkmcnt(0)
	s_barrier
	buffer_load_dword v20, off, s[0:3], 0 offset:256
	buffer_load_dword v21, off, s[0:3], 0 offset:260
	;; [unrolled: 1-line block ×16, first 2 shown]
	v_lshlrev_b32_e32 v19, 3, v1
	v_lshlrev_b32_e32 v18, 5, v55
	;; [unrolled: 1-line block ×3, first 2 shown]
	v_or3_b32 v43, v28, v18, v19
	v_max3_f32 v19, v12, s52, v13
	v_max3_f32 v19, v19, v14, v15
	v_sub_f32_e32 v12, v12, v19
	v_sub_f32_e32 v13, v13, v19
	v_mul_f32_e32 v12, 0x3fb8aa3b, v12
	v_sub_f32_e32 v14, v14, v19
	v_mul_f32_e32 v13, 0x3fb8aa3b, v13
	v_exp_f32_e32 v12, v12
	v_sub_f32_e32 v15, v15, v19
	v_mul_f32_e32 v14, 0x3fb8aa3b, v14
	v_exp_f32_e32 v13, v13
	v_mul_f32_e32 v15, 0x3fb8aa3b, v15
	v_exp_f32_e32 v14, v14
	v_exp_f32_e32 v15, v15
	v_fma_f32 v6, v12, v6, 0
	v_fmac_f32_e32 v6, v13, v7
	v_fmac_f32_e32 v6, v14, v10
	;; [unrolled: 1-line block ×3, first 2 shown]
	v_cmp_eq_u32_e32 vcc, 1, v62
	v_add_f32_e32 v10, 0x358637bd, v6
	v_cndmask_b32_e32 v12, v12, v13, vcc
	v_cmp_eq_u32_e32 vcc, 2, v62
	v_div_scale_f32 v11, s[4:5], v10, v10, 1.0
	v_cndmask_b32_e32 v7, v12, v14, vcc
	v_rcp_f32_e32 v12, v11
	v_cmp_eq_u32_e32 vcc, 3, v62
	v_cndmask_b32_e32 v7, v7, v15, vcc
	v_div_scale_f32 v13, vcc, 1.0, v10, 1.0
	v_fma_f32 v14, -v11, v12, 1.0
	v_fmac_f32_e32 v12, v14, v12
	v_mul_f32_e32 v14, v13, v12
	v_fma_f32 v15, -v11, v14, v13
	v_fmac_f32_e32 v14, v15, v12
	v_fma_f32 v11, -v11, v14, v13
	v_div_fmas_f32 v11, v11, v12, v14
	v_div_fixup_f32 v10, v11, v10, 1.0
	v_mul_f32_e32 v10, v7, v10
	s_mul_i32 s18, s51, 12
	v_cmp_gt_u32_e32 vcc, 12, v0
	s_waitcnt vmcnt(14)
	v_pk_mul_f32 v[14:15], v[10:11], v[20:21] op_sel_hi:[0,1]
	v_cvt_f16_f32_e32 v7, v14
	s_waitcnt vmcnt(12)
	v_pk_mul_f32 v[12:13], v[10:11], v[22:23] op_sel_hi:[0,1]
	buffer_store_dword v14, off, s[0:3], 0 offset:256
	buffer_store_dword v15, off, s[0:3], 0 offset:260
	;; [unrolled: 1-line block ×3, first 2 shown]
	s_waitcnt vmcnt(13)
	v_pk_mul_f32 v[20:21], v[10:11], v[24:25] op_sel_hi:[0,1]
	v_cvt_f16_f32_e32 v14, v12
	s_waitcnt vmcnt(11)
	v_pk_mul_f32 v[22:23], v[10:11], v[26:27] op_sel_hi:[0,1]
	v_cvt_f16_f32_e32 v11, v15
	v_cvt_f16_f32_e32 v15, v13
	buffer_store_dword v13, off, s[0:3], 0 offset:268
	buffer_store_dword v22, off, s[0:3], 0 offset:272
	;; [unrolled: 1-line block ×3, first 2 shown]
	v_pack_b32_f16 v12, v7, v11
	v_cvt_f16_f32_e32 v11, v23
	v_pack_b32_f16 v13, v14, v15
	v_cvt_f16_f32_e32 v7, v22
	v_cvt_f16_f32_e32 v15, v20
	;; [unrolled: 1-line block ×3, first 2 shown]
	s_waitcnt vmcnt(12)
	v_pk_mul_f32 v[4:5], v[10:11], v[4:5] op_sel_hi:[0,1]
	v_pack_b32_f16 v14, v7, v11
	s_waitcnt vmcnt(10)
	v_pk_mul_f32 v[2:3], v[10:11], v[2:3] op_sel_hi:[0,1]
	v_pack_b32_f16 v15, v15, v22
	v_cvt_f16_f32_e32 v11, v5
	buffer_store_dword v20, off, s[0:3], 0 offset:280
	buffer_store_dword v21, off, s[0:3], 0 offset:284
	ds_write2st64_b64 v43, v[12:13], v[14:15] offset1:1
	buffer_store_dword v2, off, s[0:3], 0 offset:288
	buffer_store_dword v3, off, s[0:3], 0 offset:292
	v_cvt_f16_f32_e32 v2, v2
	v_cvt_f16_f32_e32 v3, v3
	v_cvt_f16_f32_e32 v7, v4
	buffer_store_dword v4, off, s[0:3], 0 offset:296
	buffer_store_dword v5, off, s[0:3], 0 offset:300
	s_waitcnt vmcnt(12)
	v_pk_mul_f32 v[4:5], v[10:11], v[16:17] op_sel_hi:[0,1]
	v_pk_mul_f32 v[8:9], v[10:11], v[8:9] op_sel_hi:[0,1]
	v_pack_b32_f16 v2, v2, v3
	v_pack_b32_f16 v3, v7, v11
	buffer_store_dword v8, off, s[0:3], 0 offset:304
	buffer_store_dword v9, off, s[0:3], 0 offset:308
	v_cvt_f16_f32_e32 v7, v8
	v_cvt_f16_f32_e32 v8, v9
	;; [unrolled: 1-line block ×4, first 2 shown]
	buffer_store_dword v4, off, s[0:3], 0 offset:312
	buffer_store_dword v5, off, s[0:3], 0 offset:316
	v_pack_b32_f16 v4, v7, v8
	v_pack_b32_f16 v5, v9, v10
	ds_write2st64_b64 v43, v[2:3], v[4:5] offset0:2 offset1:3
	s_and_saveexec_b64 s[4:5], vcc
	s_cbranch_execz .LBB633_209
; %bb.208:
	v_add_co_u32_e32 v4, vcc, s25, v55
	v_addc_co_u32_e64 v5, s[6:7], 0, 0, vcc
	v_mov_b32_e32 v2, s18
	v_mad_u64_u32 v[4:5], s[6:7], s8, v2, v[4:5]
	v_mov_b32_e32 v3, 0
	s_mul_i32 s6, s9, s18
	v_mov_b32_e32 v2, s24
	v_add_u32_e32 v5, s6, v5
	v_mad_u64_u32 v[2:3], s[6:7], v4, s50, v[2:3]
	v_mov_b32_e32 v4, v3
	v_mad_u64_u32 v[4:5], s[6:7], v5, s50, v[4:5]
	v_mov_b32_e32 v3, v4
	v_lshlrev_b64 v[2:3], 2, v[2:3]
	v_mov_b32_e32 v5, s47
	v_add_co_u32_e32 v4, vcc, s46, v2
	v_addc_co_u32_e32 v5, vcc, v5, v3, vcc
	global_store_dword v[4:5], v19, off
	v_mov_b32_e32 v4, s45
	v_add_co_u32_e32 v2, vcc, s44, v2
	v_addc_co_u32_e32 v3, vcc, v4, v3, vcc
	global_store_dword v[2:3], v6, off
.LBB633_209:
	s_or_b64 exec, exec, s[4:5]
	v_lshl_or_b32 v30, v1, 9, v18
	s_waitcnt lgkmcnt(0)
	s_barrier
	s_load_dword s4, s[42:43], 0x0
	ds_read_b128 v[2:5], v30
	ds_read_b128 v[6:9], v30 offset:16
	ds_read_b128 v[10:13], v30 offset:2048
	;; [unrolled: 1-line block ×7, first 2 shown]
	v_mov_b32_e32 v35, 0x80
	v_mov_b32_e32 v45, 0x140
	s_mov_b64 s[10:11], -1
	s_waitcnt lgkmcnt(0)
	s_mov_b32 s5, s4
	s_mov_b32 s6, s4
	;; [unrolled: 1-line block ×3, first 2 shown]
	s_movk_i32 s9, 0x80
	s_movk_i32 s19, 0x7f
	s_mov_b32 s20, 0xffffff
	v_mov_b32_e32 v47, 0
	v_bfrev_b32_e32 v48, 60
	s_branch .LBB633_213
.LBB633_210:                            ;   in Loop: Header=BB633_213 Depth=1
	s_or_b64 exec, exec, s[16:17]
.LBB633_211:                            ;   in Loop: Header=BB633_213 Depth=1
	s_or_b64 exec, exec, s[14:15]
.LBB633_212:                            ;   in Loop: Header=BB633_213 Depth=1
	s_or_b64 exec, exec, s[12:13]
	v_cvt_pkrtz_f16_f32 v60, v46, v49
	v_cvt_pkrtz_f16_f32 v61, v44, v51
	s_xor_b64 s[12:13], s[10:11], -1
	s_mov_b64 s[10:11], 0
	v_mov_b32_e32 v59, v58
	v_mfma_f32_16x16x16f16 v[62:65], v[60:61], v[30:31], v[34:37]
	v_mov_b32_e32 v61, v41
	v_mov_b32_e32 v60, v57
	s_and_b64 vcc, exec, s[12:13]
	s_nop 3
	v_cvt_pkrtz_f16_f32 v36, v50, v52
	v_cvt_pkrtz_f16_f32 v37, v42, v53
	v_mov_b32_e32 v35, v39
	s_nop 0
	v_mfma_f32_16x16x16f16 v[50:53], v[36:37], v[32:33], v[62:65]
	s_nop 7
	s_nop 2
	v_pk_mul_f32 v[50:51], v[50:51], s[4:5]
	v_pk_mul_f32 v[36:37], v[52:53], s[6:7]
	v_cvt_f16_f32_e32 v34, v50
	v_cvt_f16_f32_e32 v38, v51
	;; [unrolled: 1-line block ×4, first 2 shown]
	v_pack_b32_f16 v34, v34, v38
	v_pack_b32_f16 v36, v36, v37
	buffer_store_dword v34, v45, s[0:3], 0 offen
	buffer_store_dword v36, v45, s[0:3], 0 offen offset:4
	v_mov_b32_e32 v45, 0x148
	s_cbranch_vccnz .LBB633_595
.LBB633_213:                            ; =>This Inner Loop Header: Depth=1
	buffer_load_dword v36, v35, s[0:3], 0 offen
	buffer_load_dword v34, v35, s[0:3], 0 offen offset:4
	buffer_load_dword v40, v35, s[0:3], 0 offen offset:8
	;; [unrolled: 1-line block ×3, first 2 shown]
	v_mov_b32_e32 v35, 0
	s_waitcnt vmcnt(3)
	v_cmp_ne_u16_sdwa s[14:15], v36, v47 src0_sel:BYTE_0 src1_sel:DWORD
	s_and_saveexec_b64 s[12:13], s[14:15]
	s_cbranch_execz .LBB633_219
; %bb.214:                              ;   in Loop: Header=BB633_213 Depth=1
	v_cmp_ne_u16_sdwa s[16:17], v36, s9 src0_sel:BYTE_0 src1_sel:DWORD
	v_bfrev_b32_e32 v35, 1
	s_and_saveexec_b64 s[14:15], s[16:17]
	s_cbranch_execz .LBB633_218
; %bb.215:                              ;   in Loop: Header=BB633_213 Depth=1
	v_and_b32_e32 v37, 0x7f, v36
	v_cmp_ne_u32_e32 vcc, s19, v37
	v_mov_b32_e32 v35, 0x7f800001
	s_and_saveexec_b64 s[16:17], vcc
	s_cbranch_execz .LBB633_217
; %bb.216:                              ;   in Loop: Header=BB633_213 Depth=1
	v_and_b32_e32 v35, 7, v36
	v_ffbh_u32_e32 v44, v35
	v_min_u32_e32 v44, 32, v44
	v_subrev_u32_e32 v46, 28, v44
	v_lshlrev_b64 v[50:51], v46, v[36:37]
	v_lshrrev_b32_e32 v42, 3, v37
	v_sub_u32_e32 v44, 29, v44
	v_and_b32_e32 v46, 7, v50
	v_cmp_gt_u32_e32 vcc, 8, v37
	v_cndmask_b32_e32 v37, v42, v44, vcc
	v_cndmask_b32_e32 v35, v35, v46, vcc
	v_lshlrev_b32_e32 v42, 24, v36
	v_lshlrev_b32_e32 v35, 20, v35
	v_and_b32_e32 v42, 0x80000000, v42
	v_lshl_add_u32 v37, v37, 23, v48
	v_or3_b32 v35, v42, v37, v35
.LBB633_217:                            ;   in Loop: Header=BB633_213 Depth=1
	s_or_b64 exec, exec, s[16:17]
.LBB633_218:                            ;   in Loop: Header=BB633_213 Depth=1
	s_or_b64 exec, exec, s[14:15]
.LBB633_219:                            ;   in Loop: Header=BB633_213 Depth=1
	s_or_b64 exec, exec, s[12:13]
	v_lshrrev_b16_e32 v42, 8, v36
	v_cmp_ne_u16_e32 vcc, 0, v42
	v_mov_b32_e32 v37, 0
	s_and_saveexec_b64 s[12:13], vcc
	s_cbranch_execz .LBB633_225
; %bb.220:                              ;   in Loop: Header=BB633_213 Depth=1
	v_cmp_ne_u16_e32 vcc, s9, v42
	v_bfrev_b32_e32 v37, 1
	s_and_saveexec_b64 s[14:15], vcc
	s_cbranch_execz .LBB633_224
; %bb.221:                              ;   in Loop: Header=BB633_213 Depth=1
	v_and_b32_e32 v44, 0x7f, v42
	v_cmp_ne_u32_e32 vcc, s19, v44
	v_mov_b32_e32 v37, 0x7f800001
	s_and_saveexec_b64 s[16:17], vcc
	s_cbranch_execz .LBB633_223
; %bb.222:                              ;   in Loop: Header=BB633_213 Depth=1
	v_and_b32_e32 v37, 7, v42
	v_ffbh_u32_e32 v49, v37
	v_min_u32_e32 v49, 32, v49
	v_subrev_u32_e32 v50, 28, v49
	v_lshlrev_b64 v[50:51], v50, v[42:43]
	v_lshrrev_b32_e32 v46, 3, v44
	v_sub_u32_e32 v42, 29, v49
	v_and_b32_e32 v49, 7, v50
	v_cmp_gt_u32_e32 vcc, 8, v44
	v_cndmask_b32_e32 v42, v46, v42, vcc
	v_cndmask_b32_e32 v37, v37, v49, vcc
	v_lshlrev_b32_e32 v44, 16, v36
	v_lshlrev_b32_e32 v37, 20, v37
	v_and_b32_e32 v44, 0x80000000, v44
	v_lshl_add_u32 v42, v42, 23, v48
	v_or3_b32 v37, v44, v42, v37
.LBB633_223:                            ;   in Loop: Header=BB633_213 Depth=1
	s_or_b64 exec, exec, s[16:17]
.LBB633_224:                            ;   in Loop: Header=BB633_213 Depth=1
	s_or_b64 exec, exec, s[14:15]
.LBB633_225:                            ;   in Loop: Header=BB633_213 Depth=1
	s_or_b64 exec, exec, s[12:13]
	v_lshrrev_b32_e32 v42, 16, v36
	v_cmp_ne_u16_sdwa s[14:15], v42, v47 src0_sel:BYTE_0 src1_sel:DWORD
	v_mov_b32_e32 v46, 0
	v_mov_b32_e32 v44, 0
	s_and_saveexec_b64 s[12:13], s[14:15]
	s_cbranch_execz .LBB633_231
; %bb.226:                              ;   in Loop: Header=BB633_213 Depth=1
	v_cmp_ne_u16_sdwa s[16:17], v42, s9 src0_sel:BYTE_0 src1_sel:DWORD
	v_bfrev_b32_e32 v44, 1
	s_and_saveexec_b64 s[14:15], s[16:17]
	s_cbranch_execz .LBB633_230
; %bb.227:                              ;   in Loop: Header=BB633_213 Depth=1
	v_bfe_u32 v49, v36, 16, 7
	v_cmp_ne_u32_e32 vcc, s19, v49
	v_mov_b32_e32 v44, 0x7f800001
	s_and_saveexec_b64 s[16:17], vcc
	s_cbranch_execz .LBB633_229
; %bb.228:                              ;   in Loop: Header=BB633_213 Depth=1
	v_and_b32_e32 v44, 7, v42
	v_ffbh_u32_e32 v50, v44
	v_min_u32_e32 v53, 32, v50
	v_subrev_u32_e32 v50, 28, v53
	v_lshlrev_b64 v[50:51], v50, v[42:43]
	v_lshrrev_b32_e32 v52, 3, v49
	v_sub_u32_e32 v51, 29, v53
	v_and_b32_e32 v50, 7, v50
	v_cmp_gt_u32_e32 vcc, 8, v49
	v_cndmask_b32_e32 v49, v52, v51, vcc
	v_cndmask_b32_e32 v44, v44, v50, vcc
	v_lshlrev_b32_e32 v42, 24, v42
	v_lshlrev_b32_e32 v44, 20, v44
	v_and_b32_e32 v42, 0x80000000, v42
	v_lshl_add_u32 v49, v49, 23, v48
	v_or3_b32 v44, v42, v49, v44
.LBB633_229:                            ;   in Loop: Header=BB633_213 Depth=1
	s_or_b64 exec, exec, s[16:17]
.LBB633_230:                            ;   in Loop: Header=BB633_213 Depth=1
	s_or_b64 exec, exec, s[14:15]
.LBB633_231:                            ;   in Loop: Header=BB633_213 Depth=1
	s_or_b64 exec, exec, s[12:13]
	v_cmp_lt_u32_e32 vcc, s20, v36
	s_and_saveexec_b64 s[12:13], vcc
	s_cbranch_execz .LBB633_237
; %bb.232:                              ;   in Loop: Header=BB633_213 Depth=1
	v_lshrrev_b32_e32 v42, 24, v36
	v_cmp_ne_u32_e32 vcc, s9, v42
	v_bfrev_b32_e32 v46, 1
	s_and_saveexec_b64 s[14:15], vcc
	s_cbranch_execz .LBB633_236
; %bb.233:                              ;   in Loop: Header=BB633_213 Depth=1
	v_bfe_u32 v36, v36, 24, 7
	v_cmp_ne_u32_e32 vcc, s19, v36
	v_mov_b32_e32 v46, 0x7f800001
	s_and_saveexec_b64 s[16:17], vcc
	s_cbranch_execz .LBB633_235
; %bb.234:                              ;   in Loop: Header=BB633_213 Depth=1
	v_and_b32_e32 v46, 7, v42
	v_ffbh_u32_e32 v50, v46
	v_min_u32_e32 v52, 32, v50
	v_subrev_u32_e32 v50, 28, v52
	v_lshlrev_b64 v[50:51], v50, v[42:43]
	v_lshrrev_b32_e32 v49, 3, v36
	v_sub_u32_e32 v51, 29, v52
	v_and_b32_e32 v50, 7, v50
	v_cmp_gt_u32_e32 vcc, 8, v36
	v_cndmask_b32_e32 v36, v49, v51, vcc
	v_cndmask_b32_e32 v46, v46, v50, vcc
	v_lshlrev_b32_e32 v42, 24, v42
	v_lshlrev_b32_e32 v46, 20, v46
	v_and_b32_e32 v42, 0x80000000, v42
	v_lshl_add_u32 v36, v36, 23, v48
	v_or3_b32 v46, v42, v36, v46
.LBB633_235:                            ;   in Loop: Header=BB633_213 Depth=1
	s_or_b64 exec, exec, s[16:17]
.LBB633_236:                            ;   in Loop: Header=BB633_213 Depth=1
	s_or_b64 exec, exec, s[14:15]
.LBB633_237:                            ;   in Loop: Header=BB633_213 Depth=1
	s_or_b64 exec, exec, s[12:13]
	s_waitcnt vmcnt(2)
	v_cmp_ne_u16_sdwa s[14:15], v34, v47 src0_sel:BYTE_0 src1_sel:DWORD
	v_mov_b32_e32 v42, 0
	v_mov_b32_e32 v49, 0
	s_and_saveexec_b64 s[12:13], s[14:15]
	s_cbranch_execz .LBB633_243
; %bb.238:                              ;   in Loop: Header=BB633_213 Depth=1
	v_cmp_ne_u16_sdwa s[16:17], v34, s9 src0_sel:BYTE_0 src1_sel:DWORD
	v_bfrev_b32_e32 v49, 1
	s_and_saveexec_b64 s[14:15], s[16:17]
	s_cbranch_execz .LBB633_242
; %bb.239:                              ;   in Loop: Header=BB633_213 Depth=1
	v_and_b32_e32 v36, 0x7f, v34
	v_cmp_ne_u32_e32 vcc, s19, v36
	v_mov_b32_e32 v49, 0x7f800001
	s_and_saveexec_b64 s[16:17], vcc
	s_cbranch_execz .LBB633_241
; %bb.240:                              ;   in Loop: Header=BB633_213 Depth=1
	v_and_b32_e32 v49, 7, v34
	v_ffbh_u32_e32 v50, v49
	v_min_u32_e32 v53, 32, v50
	v_subrev_u32_e32 v50, 28, v53
	v_lshlrev_b64 v[50:51], v50, v[34:35]
	v_lshrrev_b32_e32 v52, 3, v36
	v_sub_u32_e32 v51, 29, v53
	v_and_b32_e32 v50, 7, v50
	v_cmp_gt_u32_e32 vcc, 8, v36
	v_cndmask_b32_e32 v36, v52, v51, vcc
	v_cndmask_b32_e32 v49, v49, v50, vcc
	v_lshlrev_b32_e32 v50, 24, v34
	v_lshlrev_b32_e32 v49, 20, v49
	v_and_b32_e32 v50, 0x80000000, v50
	v_lshl_add_u32 v36, v36, 23, v48
	v_or3_b32 v49, v50, v36, v49
.LBB633_241:                            ;   in Loop: Header=BB633_213 Depth=1
	s_or_b64 exec, exec, s[16:17]
.LBB633_242:                            ;   in Loop: Header=BB633_213 Depth=1
	s_or_b64 exec, exec, s[14:15]
.LBB633_243:                            ;   in Loop: Header=BB633_213 Depth=1
	s_or_b64 exec, exec, s[12:13]
	v_lshrrev_b16_e32 v36, 8, v34
	v_cmp_ne_u16_e32 vcc, 0, v36
	s_and_saveexec_b64 s[12:13], vcc
	s_cbranch_execz .LBB633_249
; %bb.244:                              ;   in Loop: Header=BB633_213 Depth=1
	v_cmp_ne_u16_e32 vcc, s9, v36
	v_bfrev_b32_e32 v42, 1
	s_and_saveexec_b64 s[14:15], vcc
	s_cbranch_execz .LBB633_248
; %bb.245:                              ;   in Loop: Header=BB633_213 Depth=1
	v_and_b32_e32 v50, 0x7f, v36
	v_cmp_ne_u32_e32 vcc, s19, v50
	v_mov_b32_e32 v42, 0x7f800001
	s_and_saveexec_b64 s[16:17], vcc
	s_cbranch_execz .LBB633_247
; %bb.246:                              ;   in Loop: Header=BB633_213 Depth=1
	v_and_b32_e32 v42, 7, v36
	v_ffbh_u32_e32 v52, v42
	v_min_u32_e32 v62, 32, v52
	v_subrev_u32_e32 v52, 28, v62
	v_lshlrev_b64 v[52:53], v52, v[36:37]
	v_lshrrev_b32_e32 v51, 3, v50
	v_sub_u32_e32 v36, 29, v62
	v_and_b32_e32 v52, 7, v52
	v_cmp_gt_u32_e32 vcc, 8, v50
	v_cndmask_b32_e32 v36, v51, v36, vcc
	v_cndmask_b32_e32 v42, v42, v52, vcc
	v_lshlrev_b32_e32 v50, 16, v34
	v_lshlrev_b32_e32 v42, 20, v42
	v_and_b32_e32 v50, 0x80000000, v50
	v_lshl_add_u32 v36, v36, 23, v48
	v_or3_b32 v42, v50, v36, v42
.LBB633_247:                            ;   in Loop: Header=BB633_213 Depth=1
	s_or_b64 exec, exec, s[16:17]
.LBB633_248:                            ;   in Loop: Header=BB633_213 Depth=1
	s_or_b64 exec, exec, s[14:15]
.LBB633_249:                            ;   in Loop: Header=BB633_213 Depth=1
	s_or_b64 exec, exec, s[12:13]
	v_lshrrev_b32_e32 v36, 16, v34
	v_cmp_ne_u16_sdwa s[14:15], v36, v47 src0_sel:BYTE_0 src1_sel:DWORD
	v_mov_b32_e32 v51, 0
	v_mov_b32_e32 v50, 0
	s_and_saveexec_b64 s[12:13], s[14:15]
	s_cbranch_execz .LBB633_255
; %bb.250:                              ;   in Loop: Header=BB633_213 Depth=1
	v_cmp_ne_u16_sdwa s[16:17], v36, s9 src0_sel:BYTE_0 src1_sel:DWORD
	v_bfrev_b32_e32 v50, 1
	s_and_saveexec_b64 s[14:15], s[16:17]
	s_cbranch_execz .LBB633_254
; %bb.251:                              ;   in Loop: Header=BB633_213 Depth=1
	v_bfe_u32 v52, v34, 16, 7
	v_cmp_ne_u32_e32 vcc, s19, v52
	v_mov_b32_e32 v50, 0x7f800001
	s_and_saveexec_b64 s[16:17], vcc
	s_cbranch_execz .LBB633_253
; %bb.252:                              ;   in Loop: Header=BB633_213 Depth=1
	v_and_b32_e32 v50, 7, v36
	v_ffbh_u32_e32 v62, v50
	v_min_u32_e32 v64, 32, v62
	v_subrev_u32_e32 v62, 28, v64
	v_lshlrev_b64 v[62:63], v62, v[36:37]
	v_lshrrev_b32_e32 v53, 3, v52
	v_sub_u32_e32 v63, 29, v64
	v_and_b32_e32 v62, 7, v62
	v_cmp_gt_u32_e32 vcc, 8, v52
	v_cndmask_b32_e32 v52, v53, v63, vcc
	v_cndmask_b32_e32 v50, v50, v62, vcc
	v_lshlrev_b32_e32 v36, 24, v36
	v_lshlrev_b32_e32 v50, 20, v50
	v_and_b32_e32 v36, 0x80000000, v36
	v_lshl_add_u32 v52, v52, 23, v48
	v_or3_b32 v50, v36, v52, v50
.LBB633_253:                            ;   in Loop: Header=BB633_213 Depth=1
	s_or_b64 exec, exec, s[16:17]
.LBB633_254:                            ;   in Loop: Header=BB633_213 Depth=1
	s_or_b64 exec, exec, s[14:15]
.LBB633_255:                            ;   in Loop: Header=BB633_213 Depth=1
	s_or_b64 exec, exec, s[12:13]
	v_cmp_lt_u32_e32 vcc, s20, v34
	s_and_saveexec_b64 s[12:13], vcc
	s_cbranch_execz .LBB633_261
; %bb.256:                              ;   in Loop: Header=BB633_213 Depth=1
	v_lshrrev_b32_e32 v36, 24, v34
	v_cmp_ne_u32_e32 vcc, s9, v36
	v_bfrev_b32_e32 v51, 1
	s_and_saveexec_b64 s[14:15], vcc
	s_cbranch_execz .LBB633_260
; %bb.257:                              ;   in Loop: Header=BB633_213 Depth=1
	v_bfe_u32 v34, v34, 24, 7
	v_cmp_ne_u32_e32 vcc, s19, v34
	v_mov_b32_e32 v51, 0x7f800001
	s_and_saveexec_b64 s[16:17], vcc
	s_cbranch_execz .LBB633_259
; %bb.258:                              ;   in Loop: Header=BB633_213 Depth=1
	v_and_b32_e32 v51, 7, v36
	v_ffbh_u32_e32 v52, v51
	v_min_u32_e32 v63, 32, v52
	v_subrev_u32_e32 v52, 28, v63
	v_lshlrev_b64 v[52:53], v52, v[36:37]
	v_lshrrev_b32_e32 v62, 3, v34
	v_sub_u32_e32 v53, 29, v63
	v_and_b32_e32 v52, 7, v52
	v_cmp_gt_u32_e32 vcc, 8, v34
	v_cndmask_b32_e32 v34, v62, v53, vcc
	v_cndmask_b32_e32 v51, v51, v52, vcc
	v_lshlrev_b32_e32 v36, 24, v36
	v_lshlrev_b32_e32 v51, 20, v51
	v_and_b32_e32 v36, 0x80000000, v36
	v_lshl_add_u32 v34, v34, 23, v48
	v_or3_b32 v51, v36, v34, v51
.LBB633_259:                            ;   in Loop: Header=BB633_213 Depth=1
	s_or_b64 exec, exec, s[16:17]
.LBB633_260:                            ;   in Loop: Header=BB633_213 Depth=1
	s_or_b64 exec, exec, s[14:15]
.LBB633_261:                            ;   in Loop: Header=BB633_213 Depth=1
	s_or_b64 exec, exec, s[12:13]
	v_cvt_pkrtz_f16_f32 v34, v35, v37
	v_cvt_pkrtz_f16_f32 v35, v44, v46
	;; [unrolled: 1-line block ×4, first 2 shown]
	v_mov_b32_e32 v44, 0
	v_mfma_f32_16x16x16f16 v[34:37], v[34:35], v[2:3], 0
	s_waitcnt vmcnt(1)
	v_cmp_ne_u16_sdwa s[14:15], v40, v47 src0_sel:BYTE_0 src1_sel:DWORD
	v_mov_b32_e32 v46, 0
	v_mfma_f32_16x16x16f16 v[34:37], v[52:53], v[4:5], v[34:37]
	s_and_saveexec_b64 s[12:13], s[14:15]
	s_cbranch_execz .LBB633_267
; %bb.262:                              ;   in Loop: Header=BB633_213 Depth=1
	v_cmp_ne_u16_sdwa s[16:17], v40, s9 src0_sel:BYTE_0 src1_sel:DWORD
	v_bfrev_b32_e32 v46, 1
	s_and_saveexec_b64 s[14:15], s[16:17]
	s_cbranch_execz .LBB633_266
; %bb.263:                              ;   in Loop: Header=BB633_213 Depth=1
	v_and_b32_e32 v42, 0x7f, v40
	v_cmp_ne_u32_e32 vcc, s19, v42
	v_mov_b32_e32 v46, 0x7f800001
	s_and_saveexec_b64 s[16:17], vcc
	s_cbranch_execz .LBB633_265
; %bb.264:                              ;   in Loop: Header=BB633_213 Depth=1
	v_and_b32_e32 v46, 7, v40
	v_ffbh_u32_e32 v50, v46
	v_min_u32_e32 v52, 32, v50
	v_subrev_u32_e32 v50, 28, v52
	v_lshlrev_b64 v[50:51], v50, v[40:41]
	v_lshrrev_b32_e32 v49, 3, v42
	v_sub_u32_e32 v51, 29, v52
	v_and_b32_e32 v50, 7, v50
	v_cmp_gt_u32_e32 vcc, 8, v42
	v_cndmask_b32_e32 v42, v49, v51, vcc
	v_cndmask_b32_e32 v46, v46, v50, vcc
	v_lshlrev_b32_e32 v49, 24, v40
	v_lshlrev_b32_e32 v46, 20, v46
	v_and_b32_e32 v49, 0x80000000, v49
	v_lshl_add_u32 v42, v42, 23, v48
	v_or3_b32 v46, v49, v42, v46
.LBB633_265:                            ;   in Loop: Header=BB633_213 Depth=1
	s_or_b64 exec, exec, s[16:17]
.LBB633_266:                            ;   in Loop: Header=BB633_213 Depth=1
	s_or_b64 exec, exec, s[14:15]
.LBB633_267:                            ;   in Loop: Header=BB633_213 Depth=1
	s_or_b64 exec, exec, s[12:13]
	v_lshrrev_b16_e32 v42, 8, v40
	v_cmp_ne_u16_e32 vcc, 0, v42
	v_mov_b32_e32 v50, 0
	s_and_saveexec_b64 s[12:13], vcc
	s_cbranch_execz .LBB633_273
; %bb.268:                              ;   in Loop: Header=BB633_213 Depth=1
	v_cmp_ne_u16_e32 vcc, s9, v42
	v_bfrev_b32_e32 v50, 1
	s_and_saveexec_b64 s[14:15], vcc
	s_cbranch_execz .LBB633_272
; %bb.269:                              ;   in Loop: Header=BB633_213 Depth=1
	v_and_b32_e32 v49, 0x7f, v42
	v_cmp_ne_u32_e32 vcc, s19, v49
	v_mov_b32_e32 v50, 0x7f800001
	s_and_saveexec_b64 s[16:17], vcc
	s_cbranch_execz .LBB633_271
; %bb.270:                              ;   in Loop: Header=BB633_213 Depth=1
	v_and_b32_e32 v52, 7, v42
	v_ffbh_u32_e32 v50, v52
	v_min_u32_e32 v62, 32, v50
	v_subrev_u32_e32 v50, 28, v62
	v_lshlrev_b64 v[50:51], v50, v[42:43]
	v_lshrrev_b32_e32 v53, 3, v49
	v_sub_u32_e32 v42, 29, v62
	v_and_b32_e32 v50, 7, v50
	v_cmp_gt_u32_e32 vcc, 8, v49
	v_cndmask_b32_e32 v42, v53, v42, vcc
	v_cndmask_b32_e32 v49, v52, v50, vcc
	v_lshlrev_b32_e32 v50, 16, v40
	v_lshlrev_b32_e32 v49, 20, v49
	v_and_b32_e32 v50, 0x80000000, v50
	v_lshl_add_u32 v42, v42, 23, v48
	v_or3_b32 v50, v50, v42, v49
.LBB633_271:                            ;   in Loop: Header=BB633_213 Depth=1
	s_or_b64 exec, exec, s[16:17]
.LBB633_272:                            ;   in Loop: Header=BB633_213 Depth=1
	s_or_b64 exec, exec, s[14:15]
.LBB633_273:                            ;   in Loop: Header=BB633_213 Depth=1
	s_or_b64 exec, exec, s[12:13]
	v_lshrrev_b32_e32 v42, 16, v40
	v_cmp_ne_u16_sdwa s[14:15], v42, v47 src0_sel:BYTE_0 src1_sel:DWORD
	s_and_saveexec_b64 s[12:13], s[14:15]
	s_cbranch_execz .LBB633_279
; %bb.274:                              ;   in Loop: Header=BB633_213 Depth=1
	v_cmp_ne_u16_sdwa s[16:17], v42, s9 src0_sel:BYTE_0 src1_sel:DWORD
	v_bfrev_b32_e32 v44, 1
	s_and_saveexec_b64 s[14:15], s[16:17]
	s_cbranch_execz .LBB633_278
; %bb.275:                              ;   in Loop: Header=BB633_213 Depth=1
	v_bfe_u32 v49, v40, 16, 7
	v_cmp_ne_u32_e32 vcc, s19, v49
	v_mov_b32_e32 v44, 0x7f800001
	s_and_saveexec_b64 s[16:17], vcc
	s_cbranch_execz .LBB633_277
; %bb.276:                              ;   in Loop: Header=BB633_213 Depth=1
	v_and_b32_e32 v44, 7, v42
	v_ffbh_u32_e32 v52, v44
	v_min_u32_e32 v62, 32, v52
	v_subrev_u32_e32 v52, 28, v62
	v_lshlrev_b64 v[52:53], v52, v[42:43]
	v_lshrrev_b32_e32 v51, 3, v49
	v_sub_u32_e32 v53, 29, v62
	v_and_b32_e32 v52, 7, v52
	v_cmp_gt_u32_e32 vcc, 8, v49
	v_cndmask_b32_e32 v49, v51, v53, vcc
	v_cndmask_b32_e32 v44, v44, v52, vcc
	v_lshlrev_b32_e32 v42, 24, v42
	v_lshlrev_b32_e32 v44, 20, v44
	v_and_b32_e32 v42, 0x80000000, v42
	v_lshl_add_u32 v49, v49, 23, v48
	v_or3_b32 v44, v42, v49, v44
.LBB633_277:                            ;   in Loop: Header=BB633_213 Depth=1
	s_or_b64 exec, exec, s[16:17]
.LBB633_278:                            ;   in Loop: Header=BB633_213 Depth=1
	s_or_b64 exec, exec, s[14:15]
.LBB633_279:                            ;   in Loop: Header=BB633_213 Depth=1
	s_or_b64 exec, exec, s[12:13]
	v_cmp_lt_u32_e32 vcc, s20, v40
	v_mov_b32_e32 v51, 0
	v_mov_b32_e32 v52, 0
	s_and_saveexec_b64 s[12:13], vcc
	s_cbranch_execz .LBB633_285
; %bb.280:                              ;   in Loop: Header=BB633_213 Depth=1
	v_lshrrev_b32_e32 v42, 24, v40
	v_cmp_ne_u32_e32 vcc, s9, v42
	v_bfrev_b32_e32 v52, 1
	s_and_saveexec_b64 s[14:15], vcc
	s_cbranch_execz .LBB633_284
; %bb.281:                              ;   in Loop: Header=BB633_213 Depth=1
	v_bfe_u32 v40, v40, 24, 7
	v_cmp_ne_u32_e32 vcc, s19, v40
	v_mov_b32_e32 v52, 0x7f800001
	s_and_saveexec_b64 s[16:17], vcc
	s_cbranch_execz .LBB633_283
; %bb.282:                              ;   in Loop: Header=BB633_213 Depth=1
	v_and_b32_e32 v49, 7, v42
	v_ffbh_u32_e32 v52, v49
	v_min_u32_e32 v63, 32, v52
	v_subrev_u32_e32 v52, 28, v63
	v_lshlrev_b64 v[52:53], v52, v[42:43]
	v_lshrrev_b32_e32 v62, 3, v40
	v_sub_u32_e32 v53, 29, v63
	v_and_b32_e32 v52, 7, v52
	v_cmp_gt_u32_e32 vcc, 8, v40
	v_cndmask_b32_e32 v40, v62, v53, vcc
	v_cndmask_b32_e32 v49, v49, v52, vcc
	v_lshlrev_b32_e32 v42, 24, v42
	v_lshlrev_b32_e32 v49, 20, v49
	v_and_b32_e32 v42, 0x80000000, v42
	v_lshl_add_u32 v40, v40, 23, v48
	v_or3_b32 v52, v42, v40, v49
.LBB633_283:                            ;   in Loop: Header=BB633_213 Depth=1
	s_or_b64 exec, exec, s[16:17]
.LBB633_284:                            ;   in Loop: Header=BB633_213 Depth=1
	s_or_b64 exec, exec, s[14:15]
.LBB633_285:                            ;   in Loop: Header=BB633_213 Depth=1
	s_or_b64 exec, exec, s[12:13]
	s_waitcnt vmcnt(0)
	v_cmp_ne_u16_sdwa s[14:15], v38, v47 src0_sel:BYTE_0 src1_sel:DWORD
	s_and_saveexec_b64 s[12:13], s[14:15]
	s_cbranch_execz .LBB633_291
; %bb.286:                              ;   in Loop: Header=BB633_213 Depth=1
	v_cmp_ne_u16_sdwa s[16:17], v38, s9 src0_sel:BYTE_0 src1_sel:DWORD
	v_bfrev_b32_e32 v51, 1
	s_and_saveexec_b64 s[14:15], s[16:17]
	s_cbranch_execz .LBB633_290
; %bb.287:                              ;   in Loop: Header=BB633_213 Depth=1
	v_and_b32_e32 v40, 0x7f, v38
	v_cmp_ne_u32_e32 vcc, s19, v40
	v_mov_b32_e32 v51, 0x7f800001
	s_and_saveexec_b64 s[16:17], vcc
	s_cbranch_execz .LBB633_289
; %bb.288:                              ;   in Loop: Header=BB633_213 Depth=1
	v_and_b32_e32 v42, 7, v38
	v_ffbh_u32_e32 v51, v42
	v_min_u32_e32 v51, 32, v51
	v_subrev_u32_e32 v53, 28, v51
	v_lshlrev_b64 v[62:63], v53, v[38:39]
	v_lshrrev_b32_e32 v49, 3, v40
	v_sub_u32_e32 v51, 29, v51
	v_and_b32_e32 v53, 7, v62
	v_cmp_gt_u32_e32 vcc, 8, v40
	v_cndmask_b32_e32 v40, v49, v51, vcc
	v_cndmask_b32_e32 v42, v42, v53, vcc
	v_lshlrev_b32_e32 v49, 24, v38
	v_lshlrev_b32_e32 v42, 20, v42
	v_and_b32_e32 v49, 0x80000000, v49
	v_lshl_add_u32 v40, v40, 23, v48
	v_or3_b32 v51, v49, v40, v42
.LBB633_289:                            ;   in Loop: Header=BB633_213 Depth=1
	s_or_b64 exec, exec, s[16:17]
.LBB633_290:                            ;   in Loop: Header=BB633_213 Depth=1
	s_or_b64 exec, exec, s[14:15]
.LBB633_291:                            ;   in Loop: Header=BB633_213 Depth=1
	s_or_b64 exec, exec, s[12:13]
	v_lshrrev_b16_e32 v40, 8, v38
	v_cmp_ne_u16_e32 vcc, 0, v40
	v_mov_b32_e32 v53, 0
	v_mov_b32_e32 v62, 0
	s_and_saveexec_b64 s[12:13], vcc
	s_cbranch_execz .LBB633_297
; %bb.292:                              ;   in Loop: Header=BB633_213 Depth=1
	v_cmp_ne_u16_e32 vcc, s9, v40
	v_bfrev_b32_e32 v62, 1
	s_and_saveexec_b64 s[14:15], vcc
	s_cbranch_execz .LBB633_296
; %bb.293:                              ;   in Loop: Header=BB633_213 Depth=1
	v_and_b32_e32 v42, 0x7f, v40
	v_cmp_ne_u32_e32 vcc, s19, v42
	v_mov_b32_e32 v62, 0x7f800001
	s_and_saveexec_b64 s[16:17], vcc
	s_cbranch_execz .LBB633_295
; %bb.294:                              ;   in Loop: Header=BB633_213 Depth=1
	v_and_b32_e32 v49, 7, v40
	v_ffbh_u32_e32 v62, v49
	v_min_u32_e32 v65, 32, v62
	v_subrev_u32_e32 v62, 28, v65
	v_lshlrev_b64 v[62:63], v62, v[40:41]
	v_lshrrev_b32_e32 v64, 3, v42
	v_sub_u32_e32 v40, 29, v65
	v_and_b32_e32 v62, 7, v62
	v_cmp_gt_u32_e32 vcc, 8, v42
	v_cndmask_b32_e32 v40, v64, v40, vcc
	v_cndmask_b32_e32 v42, v49, v62, vcc
	v_lshlrev_b32_e32 v49, 16, v38
	v_lshlrev_b32_e32 v42, 20, v42
	v_and_b32_e32 v49, 0x80000000, v49
	v_lshl_add_u32 v40, v40, 23, v48
	v_or3_b32 v62, v49, v40, v42
.LBB633_295:                            ;   in Loop: Header=BB633_213 Depth=1
	s_or_b64 exec, exec, s[16:17]
.LBB633_296:                            ;   in Loop: Header=BB633_213 Depth=1
	s_or_b64 exec, exec, s[14:15]
.LBB633_297:                            ;   in Loop: Header=BB633_213 Depth=1
	s_or_b64 exec, exec, s[12:13]
	v_lshrrev_b32_e32 v40, 16, v38
	v_cmp_ne_u16_sdwa s[14:15], v40, v47 src0_sel:BYTE_0 src1_sel:DWORD
	s_and_saveexec_b64 s[12:13], s[14:15]
	s_cbranch_execz .LBB633_303
; %bb.298:                              ;   in Loop: Header=BB633_213 Depth=1
	v_cmp_ne_u16_sdwa s[16:17], v40, s9 src0_sel:BYTE_0 src1_sel:DWORD
	v_bfrev_b32_e32 v53, 1
	s_and_saveexec_b64 s[14:15], s[16:17]
	s_cbranch_execz .LBB633_302
; %bb.299:                              ;   in Loop: Header=BB633_213 Depth=1
	v_bfe_u32 v42, v38, 16, 7
	v_cmp_ne_u32_e32 vcc, s19, v42
	v_mov_b32_e32 v53, 0x7f800001
	s_and_saveexec_b64 s[16:17], vcc
	s_cbranch_execz .LBB633_301
; %bb.300:                              ;   in Loop: Header=BB633_213 Depth=1
	v_and_b32_e32 v49, 7, v40
	v_ffbh_u32_e32 v63, v49
	v_min_u32_e32 v63, 32, v63
	v_subrev_u32_e32 v64, 28, v63
	v_lshlrev_b64 v[64:65], v64, v[40:41]
	v_lshrrev_b32_e32 v53, 3, v42
	v_sub_u32_e32 v63, 29, v63
	v_and_b32_e32 v64, 7, v64
	v_cmp_gt_u32_e32 vcc, 8, v42
	v_cndmask_b32_e32 v42, v53, v63, vcc
	v_cndmask_b32_e32 v49, v49, v64, vcc
	v_lshlrev_b32_e32 v40, 24, v40
	v_lshlrev_b32_e32 v49, 20, v49
	v_and_b32_e32 v40, 0x80000000, v40
	v_lshl_add_u32 v42, v42, 23, v48
	v_or3_b32 v53, v40, v42, v49
.LBB633_301:                            ;   in Loop: Header=BB633_213 Depth=1
	s_or_b64 exec, exec, s[16:17]
.LBB633_302:                            ;   in Loop: Header=BB633_213 Depth=1
	s_or_b64 exec, exec, s[14:15]
.LBB633_303:                            ;   in Loop: Header=BB633_213 Depth=1
	s_or_b64 exec, exec, s[12:13]
	v_cmp_lt_u32_e32 vcc, s20, v38
	v_mov_b32_e32 v49, 0
	v_mov_b32_e32 v63, 0
	s_and_saveexec_b64 s[12:13], vcc
	s_cbranch_execz .LBB633_309
; %bb.304:                              ;   in Loop: Header=BB633_213 Depth=1
	v_lshrrev_b32_e32 v40, 24, v38
	v_cmp_ne_u32_e32 vcc, s9, v40
	v_bfrev_b32_e32 v63, 1
	s_and_saveexec_b64 s[14:15], vcc
	s_cbranch_execz .LBB633_308
; %bb.305:                              ;   in Loop: Header=BB633_213 Depth=1
	v_bfe_u32 v38, v38, 24, 7
	v_cmp_ne_u32_e32 vcc, s19, v38
	v_mov_b32_e32 v63, 0x7f800001
	s_and_saveexec_b64 s[16:17], vcc
	s_cbranch_execz .LBB633_307
; %bb.306:                              ;   in Loop: Header=BB633_213 Depth=1
	v_and_b32_e32 v42, 7, v40
	v_ffbh_u32_e32 v64, v42
	v_min_u32_e32 v66, 32, v64
	v_subrev_u32_e32 v64, 28, v66
	v_lshlrev_b64 v[64:65], v64, v[40:41]
	v_lshrrev_b32_e32 v63, 3, v38
	v_sub_u32_e32 v65, 29, v66
	v_and_b32_e32 v64, 7, v64
	v_cmp_gt_u32_e32 vcc, 8, v38
	v_cndmask_b32_e32 v38, v63, v65, vcc
	v_cndmask_b32_e32 v42, v42, v64, vcc
	v_lshlrev_b32_e32 v40, 24, v40
	v_lshlrev_b32_e32 v42, 20, v42
	v_and_b32_e32 v40, 0x80000000, v40
	v_lshl_add_u32 v38, v38, 23, v48
	v_or3_b32 v63, v40, v38, v42
.LBB633_307:                            ;   in Loop: Header=BB633_213 Depth=1
	s_or_b64 exec, exec, s[16:17]
.LBB633_308:                            ;   in Loop: Header=BB633_213 Depth=1
	s_or_b64 exec, exec, s[14:15]
.LBB633_309:                            ;   in Loop: Header=BB633_213 Depth=1
	s_or_b64 exec, exec, s[12:13]
	v_cvt_pkrtz_f16_f32 v65, v44, v52
	buffer_load_dword v44, v61, s[0:3], 0 offen
	buffer_load_dword v42, v61, s[0:3], 0 offen offset:4
	buffer_load_dword v40, v61, s[0:3], 0 offen offset:8
	;; [unrolled: 1-line block ×3, first 2 shown]
	v_cvt_pkrtz_f16_f32 v64, v46, v50
	v_cvt_pkrtz_f16_f32 v50, v51, v62
	;; [unrolled: 1-line block ×3, first 2 shown]
	v_mfma_f32_16x16x16f16 v[34:37], v[64:65], v[6:7], v[34:37]
	s_waitcnt vmcnt(3)
	v_cmp_ne_u16_sdwa s[14:15], v44, v47 src0_sel:BYTE_0 src1_sel:DWORD
	v_mfma_f32_16x16x16f16 v[34:37], v[50:51], v[8:9], v[34:37]
	s_and_saveexec_b64 s[12:13], s[14:15]
	s_cbranch_execz .LBB633_315
; %bb.310:                              ;   in Loop: Header=BB633_213 Depth=1
	v_cmp_ne_u16_sdwa s[16:17], v44, s9 src0_sel:BYTE_0 src1_sel:DWORD
	v_bfrev_b32_e32 v49, 1
	s_and_saveexec_b64 s[14:15], s[16:17]
	s_cbranch_execz .LBB633_314
; %bb.311:                              ;   in Loop: Header=BB633_213 Depth=1
	v_and_b32_e32 v46, 0x7f, v44
	v_cmp_ne_u32_e32 vcc, s19, v46
	v_mov_b32_e32 v49, 0x7f800001
	s_and_saveexec_b64 s[16:17], vcc
	s_cbranch_execz .LBB633_313
; %bb.312:                              ;   in Loop: Header=BB633_213 Depth=1
	v_and_b32_e32 v49, 7, v44
	v_ffbh_u32_e32 v50, v49
	v_min_u32_e32 v53, 32, v50
	v_subrev_u32_e32 v50, 28, v53
	v_lshlrev_b64 v[50:51], v50, v[44:45]
	v_lshrrev_b32_e32 v52, 3, v46
	v_sub_u32_e32 v51, 29, v53
	v_and_b32_e32 v50, 7, v50
	v_cmp_gt_u32_e32 vcc, 8, v46
	v_cndmask_b32_e32 v46, v52, v51, vcc
	v_cndmask_b32_e32 v49, v49, v50, vcc
	v_lshlrev_b32_e32 v50, 24, v44
	v_lshlrev_b32_e32 v49, 20, v49
	v_and_b32_e32 v50, 0x80000000, v50
	v_lshl_add_u32 v46, v46, 23, v48
	v_or3_b32 v49, v50, v46, v49
.LBB633_313:                            ;   in Loop: Header=BB633_213 Depth=1
	s_or_b64 exec, exec, s[16:17]
.LBB633_314:                            ;   in Loop: Header=BB633_213 Depth=1
	s_or_b64 exec, exec, s[14:15]
.LBB633_315:                            ;   in Loop: Header=BB633_213 Depth=1
	s_or_b64 exec, exec, s[12:13]
	v_lshrrev_b16_e32 v46, 8, v44
	v_cmp_ne_u16_e32 vcc, 0, v46
	v_mov_b32_e32 v50, 0
	v_mov_b32_e32 v51, 0
	s_and_saveexec_b64 s[12:13], vcc
	s_cbranch_execz .LBB633_321
; %bb.316:                              ;   in Loop: Header=BB633_213 Depth=1
	v_cmp_ne_u16_e32 vcc, s9, v46
	v_bfrev_b32_e32 v51, 1
	s_and_saveexec_b64 s[14:15], vcc
	s_cbranch_execz .LBB633_320
; %bb.317:                              ;   in Loop: Header=BB633_213 Depth=1
	v_and_b32_e32 v52, 0x7f, v46
	v_cmp_ne_u32_e32 vcc, s19, v52
	v_mov_b32_e32 v51, 0x7f800001
	s_and_saveexec_b64 s[16:17], vcc
	s_cbranch_execz .LBB633_319
; %bb.318:                              ;   in Loop: Header=BB633_213 Depth=1
	v_and_b32_e32 v51, 7, v46
	v_ffbh_u32_e32 v61, v51
	v_min_u32_e32 v61, 32, v61
	v_subrev_u32_e32 v62, 28, v61
	v_lshlrev_b64 v[62:63], v62, v[46:47]
	v_lshrrev_b32_e32 v53, 3, v52
	v_sub_u32_e32 v46, 29, v61
	v_and_b32_e32 v61, 7, v62
	v_cmp_gt_u32_e32 vcc, 8, v52
	v_cndmask_b32_e32 v46, v53, v46, vcc
	v_cndmask_b32_e32 v51, v51, v61, vcc
	v_lshlrev_b32_e32 v52, 16, v44
	v_lshlrev_b32_e32 v51, 20, v51
	v_and_b32_e32 v52, 0x80000000, v52
	v_lshl_add_u32 v46, v46, 23, v48
	v_or3_b32 v51, v52, v46, v51
.LBB633_319:                            ;   in Loop: Header=BB633_213 Depth=1
	s_or_b64 exec, exec, s[16:17]
.LBB633_320:                            ;   in Loop: Header=BB633_213 Depth=1
	s_or_b64 exec, exec, s[14:15]
.LBB633_321:                            ;   in Loop: Header=BB633_213 Depth=1
	s_or_b64 exec, exec, s[12:13]
	v_lshrrev_b32_e32 v46, 16, v44
	v_cmp_ne_u16_sdwa s[14:15], v46, v47 src0_sel:BYTE_0 src1_sel:DWORD
	s_and_saveexec_b64 s[12:13], s[14:15]
	s_cbranch_execz .LBB633_327
; %bb.322:                              ;   in Loop: Header=BB633_213 Depth=1
	v_cmp_ne_u16_sdwa s[16:17], v46, s9 src0_sel:BYTE_0 src1_sel:DWORD
	v_bfrev_b32_e32 v50, 1
	s_and_saveexec_b64 s[14:15], s[16:17]
	s_cbranch_execz .LBB633_326
; %bb.323:                              ;   in Loop: Header=BB633_213 Depth=1
	v_bfe_u32 v52, v44, 16, 7
	v_cmp_ne_u32_e32 vcc, s19, v52
	v_mov_b32_e32 v50, 0x7f800001
	s_and_saveexec_b64 s[16:17], vcc
	s_cbranch_execz .LBB633_325
; %bb.324:                              ;   in Loop: Header=BB633_213 Depth=1
	v_and_b32_e32 v50, 7, v46
	v_ffbh_u32_e32 v61, v50
	v_min_u32_e32 v61, 32, v61
	v_subrev_u32_e32 v62, 28, v61
	v_lshlrev_b64 v[62:63], v62, v[46:47]
	v_lshrrev_b32_e32 v53, 3, v52
	v_sub_u32_e32 v61, 29, v61
	v_and_b32_e32 v62, 7, v62
	v_cmp_gt_u32_e32 vcc, 8, v52
	v_cndmask_b32_e32 v52, v53, v61, vcc
	v_cndmask_b32_e32 v50, v50, v62, vcc
	v_lshlrev_b32_e32 v46, 24, v46
	v_lshlrev_b32_e32 v50, 20, v50
	v_and_b32_e32 v46, 0x80000000, v46
	v_lshl_add_u32 v52, v52, 23, v48
	v_or3_b32 v50, v46, v52, v50
.LBB633_325:                            ;   in Loop: Header=BB633_213 Depth=1
	s_or_b64 exec, exec, s[16:17]
.LBB633_326:                            ;   in Loop: Header=BB633_213 Depth=1
	s_or_b64 exec, exec, s[14:15]
.LBB633_327:                            ;   in Loop: Header=BB633_213 Depth=1
	s_or_b64 exec, exec, s[12:13]
	v_cmp_lt_u32_e32 vcc, s20, v44
	v_mov_b32_e32 v52, 0
	v_mov_b32_e32 v53, 0
	s_and_saveexec_b64 s[12:13], vcc
	s_cbranch_execz .LBB633_333
; %bb.328:                              ;   in Loop: Header=BB633_213 Depth=1
	v_lshrrev_b32_e32 v46, 24, v44
	v_cmp_ne_u32_e32 vcc, s9, v46
	v_bfrev_b32_e32 v53, 1
	s_and_saveexec_b64 s[14:15], vcc
	s_cbranch_execz .LBB633_332
; %bb.329:                              ;   in Loop: Header=BB633_213 Depth=1
	v_bfe_u32 v44, v44, 24, 7
	v_cmp_ne_u32_e32 vcc, s19, v44
	v_mov_b32_e32 v53, 0x7f800001
	s_and_saveexec_b64 s[16:17], vcc
	s_cbranch_execz .LBB633_331
; %bb.330:                              ;   in Loop: Header=BB633_213 Depth=1
	v_and_b32_e32 v53, 7, v46
	v_ffbh_u32_e32 v62, v53
	v_min_u32_e32 v64, 32, v62
	v_subrev_u32_e32 v62, 28, v64
	v_lshlrev_b64 v[62:63], v62, v[46:47]
	v_lshrrev_b32_e32 v61, 3, v44
	v_sub_u32_e32 v63, 29, v64
	v_and_b32_e32 v62, 7, v62
	v_cmp_gt_u32_e32 vcc, 8, v44
	v_cndmask_b32_e32 v44, v61, v63, vcc
	v_cndmask_b32_e32 v53, v53, v62, vcc
	v_lshlrev_b32_e32 v46, 24, v46
	v_lshlrev_b32_e32 v53, 20, v53
	v_and_b32_e32 v46, 0x80000000, v46
	v_lshl_add_u32 v44, v44, 23, v48
	v_or3_b32 v53, v46, v44, v53
.LBB633_331:                            ;   in Loop: Header=BB633_213 Depth=1
	s_or_b64 exec, exec, s[16:17]
.LBB633_332:                            ;   in Loop: Header=BB633_213 Depth=1
	s_or_b64 exec, exec, s[14:15]
.LBB633_333:                            ;   in Loop: Header=BB633_213 Depth=1
	s_or_b64 exec, exec, s[12:13]
	s_waitcnt vmcnt(2)
	v_cmp_ne_u16_sdwa s[14:15], v42, v47 src0_sel:BYTE_0 src1_sel:DWORD
	s_and_saveexec_b64 s[12:13], s[14:15]
	s_cbranch_execz .LBB633_339
; %bb.334:                              ;   in Loop: Header=BB633_213 Depth=1
	v_cmp_ne_u16_sdwa s[16:17], v42, s9 src0_sel:BYTE_0 src1_sel:DWORD
	v_bfrev_b32_e32 v52, 1
	s_and_saveexec_b64 s[14:15], s[16:17]
	s_cbranch_execz .LBB633_338
; %bb.335:                              ;   in Loop: Header=BB633_213 Depth=1
	v_and_b32_e32 v44, 0x7f, v42
	v_cmp_ne_u32_e32 vcc, s19, v44
	v_mov_b32_e32 v52, 0x7f800001
	s_and_saveexec_b64 s[16:17], vcc
	s_cbranch_execz .LBB633_337
; %bb.336:                              ;   in Loop: Header=BB633_213 Depth=1
	v_and_b32_e32 v46, 7, v42
	v_ffbh_u32_e32 v61, v46
	v_min_u32_e32 v61, 32, v61
	v_subrev_u32_e32 v62, 28, v61
	v_lshlrev_b64 v[62:63], v62, v[42:43]
	v_lshrrev_b32_e32 v52, 3, v44
	v_sub_u32_e32 v61, 29, v61
	v_and_b32_e32 v62, 7, v62
	v_cmp_gt_u32_e32 vcc, 8, v44
	v_cndmask_b32_e32 v44, v52, v61, vcc
	v_cndmask_b32_e32 v46, v46, v62, vcc
	v_lshlrev_b32_e32 v52, 24, v42
	v_lshlrev_b32_e32 v46, 20, v46
	v_and_b32_e32 v52, 0x80000000, v52
	v_lshl_add_u32 v44, v44, 23, v48
	v_or3_b32 v52, v52, v44, v46
.LBB633_337:                            ;   in Loop: Header=BB633_213 Depth=1
	s_or_b64 exec, exec, s[16:17]
.LBB633_338:                            ;   in Loop: Header=BB633_213 Depth=1
	s_or_b64 exec, exec, s[14:15]
.LBB633_339:                            ;   in Loop: Header=BB633_213 Depth=1
	s_or_b64 exec, exec, s[12:13]
	v_lshrrev_b16_e32 v44, 8, v42
	v_cmp_ne_u16_e32 vcc, 0, v44
	v_mov_b32_e32 v61, 0
	v_mov_b32_e32 v62, 0
	s_and_saveexec_b64 s[12:13], vcc
	s_cbranch_execz .LBB633_345
; %bb.340:                              ;   in Loop: Header=BB633_213 Depth=1
	v_cmp_ne_u16_e32 vcc, s9, v44
	v_bfrev_b32_e32 v62, 1
	s_and_saveexec_b64 s[14:15], vcc
	s_cbranch_execz .LBB633_344
; %bb.341:                              ;   in Loop: Header=BB633_213 Depth=1
	v_and_b32_e32 v46, 0x7f, v44
	v_cmp_ne_u32_e32 vcc, s19, v46
	v_mov_b32_e32 v62, 0x7f800001
	s_and_saveexec_b64 s[16:17], vcc
	s_cbranch_execz .LBB633_343
; %bb.342:                              ;   in Loop: Header=BB633_213 Depth=1
	v_and_b32_e32 v64, 7, v44
	v_ffbh_u32_e32 v62, v64
	v_min_u32_e32 v66, 32, v62
	v_subrev_u32_e32 v62, 28, v66
	v_lshlrev_b64 v[62:63], v62, v[44:45]
	v_lshrrev_b32_e32 v65, 3, v46
	v_sub_u32_e32 v44, 29, v66
	v_and_b32_e32 v62, 7, v62
	v_cmp_gt_u32_e32 vcc, 8, v46
	v_cndmask_b32_e32 v44, v65, v44, vcc
	v_cndmask_b32_e32 v46, v64, v62, vcc
	v_lshlrev_b32_e32 v62, 16, v42
	v_lshlrev_b32_e32 v46, 20, v46
	v_and_b32_e32 v62, 0x80000000, v62
	v_lshl_add_u32 v44, v44, 23, v48
	v_or3_b32 v62, v62, v44, v46
.LBB633_343:                            ;   in Loop: Header=BB633_213 Depth=1
	s_or_b64 exec, exec, s[16:17]
.LBB633_344:                            ;   in Loop: Header=BB633_213 Depth=1
	s_or_b64 exec, exec, s[14:15]
.LBB633_345:                            ;   in Loop: Header=BB633_213 Depth=1
	s_or_b64 exec, exec, s[12:13]
	v_lshrrev_b32_e32 v44, 16, v42
	v_cmp_ne_u16_sdwa s[14:15], v44, v47 src0_sel:BYTE_0 src1_sel:DWORD
	s_and_saveexec_b64 s[12:13], s[14:15]
	s_cbranch_execz .LBB633_351
; %bb.346:                              ;   in Loop: Header=BB633_213 Depth=1
	v_cmp_ne_u16_sdwa s[16:17], v44, s9 src0_sel:BYTE_0 src1_sel:DWORD
	v_bfrev_b32_e32 v61, 1
	s_and_saveexec_b64 s[14:15], s[16:17]
	s_cbranch_execz .LBB633_350
; %bb.347:                              ;   in Loop: Header=BB633_213 Depth=1
	v_bfe_u32 v46, v42, 16, 7
	v_cmp_ne_u32_e32 vcc, s19, v46
	v_mov_b32_e32 v61, 0x7f800001
	s_and_saveexec_b64 s[16:17], vcc
	s_cbranch_execz .LBB633_349
; %bb.348:                              ;   in Loop: Header=BB633_213 Depth=1
	v_and_b32_e32 v61, 7, v44
	v_ffbh_u32_e32 v64, v61
	v_min_u32_e32 v66, 32, v64
	v_subrev_u32_e32 v64, 28, v66
	v_lshlrev_b64 v[64:65], v64, v[44:45]
	v_lshrrev_b32_e32 v63, 3, v46
	v_sub_u32_e32 v65, 29, v66
	v_and_b32_e32 v64, 7, v64
	v_cmp_gt_u32_e32 vcc, 8, v46
	v_cndmask_b32_e32 v46, v63, v65, vcc
	v_cndmask_b32_e32 v61, v61, v64, vcc
	v_lshlrev_b32_e32 v44, 24, v44
	v_lshlrev_b32_e32 v61, 20, v61
	v_and_b32_e32 v44, 0x80000000, v44
	v_lshl_add_u32 v46, v46, 23, v48
	v_or3_b32 v61, v44, v46, v61
.LBB633_349:                            ;   in Loop: Header=BB633_213 Depth=1
	s_or_b64 exec, exec, s[16:17]
.LBB633_350:                            ;   in Loop: Header=BB633_213 Depth=1
	s_or_b64 exec, exec, s[14:15]
.LBB633_351:                            ;   in Loop: Header=BB633_213 Depth=1
	s_or_b64 exec, exec, s[12:13]
	v_cmp_lt_u32_e32 vcc, s20, v42
	v_mov_b32_e32 v46, 0
	v_mov_b32_e32 v63, 0
	s_and_saveexec_b64 s[12:13], vcc
	s_cbranch_execz .LBB633_357
; %bb.352:                              ;   in Loop: Header=BB633_213 Depth=1
	v_lshrrev_b32_e32 v44, 24, v42
	v_cmp_ne_u32_e32 vcc, s9, v44
	v_bfrev_b32_e32 v63, 1
	s_and_saveexec_b64 s[14:15], vcc
	s_cbranch_execz .LBB633_356
; %bb.353:                              ;   in Loop: Header=BB633_213 Depth=1
	v_bfe_u32 v42, v42, 24, 7
	v_cmp_ne_u32_e32 vcc, s19, v42
	v_mov_b32_e32 v63, 0x7f800001
	s_and_saveexec_b64 s[16:17], vcc
	s_cbranch_execz .LBB633_355
; %bb.354:                              ;   in Loop: Header=BB633_213 Depth=1
	v_and_b32_e32 v63, 7, v44
	v_ffbh_u32_e32 v64, v63
	v_min_u32_e32 v67, 32, v64
	v_subrev_u32_e32 v64, 28, v67
	v_lshlrev_b64 v[64:65], v64, v[44:45]
	v_lshrrev_b32_e32 v66, 3, v42
	v_sub_u32_e32 v65, 29, v67
	v_and_b32_e32 v64, 7, v64
	v_cmp_gt_u32_e32 vcc, 8, v42
	v_cndmask_b32_e32 v42, v66, v65, vcc
	v_cndmask_b32_e32 v63, v63, v64, vcc
	v_lshlrev_b32_e32 v44, 24, v44
	v_lshlrev_b32_e32 v63, 20, v63
	v_and_b32_e32 v44, 0x80000000, v44
	v_lshl_add_u32 v42, v42, 23, v48
	v_or3_b32 v63, v44, v42, v63
.LBB633_355:                            ;   in Loop: Header=BB633_213 Depth=1
	s_or_b64 exec, exec, s[16:17]
.LBB633_356:                            ;   in Loop: Header=BB633_213 Depth=1
	s_or_b64 exec, exec, s[14:15]
.LBB633_357:                            ;   in Loop: Header=BB633_213 Depth=1
	s_or_b64 exec, exec, s[12:13]
	v_cvt_pkrtz_f16_f32 v64, v49, v51
	v_cvt_pkrtz_f16_f32 v65, v50, v53
	;; [unrolled: 1-line block ×4, first 2 shown]
	s_waitcnt vmcnt(1)
	v_cmp_ne_u16_sdwa s[14:15], v40, v47 src0_sel:BYTE_0 src1_sel:DWORD
	v_mfma_f32_16x16x16f16 v[34:37], v[64:65], v[10:11], v[34:37]
	v_mfma_f32_16x16x16f16 v[34:37], v[50:51], v[12:13], v[34:37]
	s_and_saveexec_b64 s[12:13], s[14:15]
	s_cbranch_execz .LBB633_363
; %bb.358:                              ;   in Loop: Header=BB633_213 Depth=1
	v_cmp_ne_u16_sdwa s[16:17], v40, s9 src0_sel:BYTE_0 src1_sel:DWORD
	v_bfrev_b32_e32 v46, 1
	s_and_saveexec_b64 s[14:15], s[16:17]
	s_cbranch_execz .LBB633_362
; %bb.359:                              ;   in Loop: Header=BB633_213 Depth=1
	v_and_b32_e32 v42, 0x7f, v40
	v_cmp_ne_u32_e32 vcc, s19, v42
	v_mov_b32_e32 v46, 0x7f800001
	s_and_saveexec_b64 s[16:17], vcc
	s_cbranch_execz .LBB633_361
; %bb.360:                              ;   in Loop: Header=BB633_213 Depth=1
	v_and_b32_e32 v44, 7, v40
	v_ffbh_u32_e32 v49, v44
	v_min_u32_e32 v49, 32, v49
	v_subrev_u32_e32 v50, 28, v49
	v_lshlrev_b64 v[50:51], v50, v[40:41]
	v_lshrrev_b32_e32 v46, 3, v42
	v_sub_u32_e32 v49, 29, v49
	v_and_b32_e32 v50, 7, v50
	v_cmp_gt_u32_e32 vcc, 8, v42
	v_cndmask_b32_e32 v42, v46, v49, vcc
	v_cndmask_b32_e32 v44, v44, v50, vcc
	v_lshlrev_b32_e32 v46, 24, v40
	v_lshlrev_b32_e32 v44, 20, v44
	v_and_b32_e32 v46, 0x80000000, v46
	v_lshl_add_u32 v42, v42, 23, v48
	v_or3_b32 v46, v46, v42, v44
.LBB633_361:                            ;   in Loop: Header=BB633_213 Depth=1
	s_or_b64 exec, exec, s[16:17]
.LBB633_362:                            ;   in Loop: Header=BB633_213 Depth=1
	s_or_b64 exec, exec, s[14:15]
.LBB633_363:                            ;   in Loop: Header=BB633_213 Depth=1
	s_or_b64 exec, exec, s[12:13]
	v_lshrrev_b16_e32 v42, 8, v40
	v_cmp_ne_u16_e32 vcc, 0, v42
	v_mov_b32_e32 v44, 0
	v_mov_b32_e32 v50, 0
	s_and_saveexec_b64 s[12:13], vcc
	s_cbranch_execz .LBB633_369
; %bb.364:                              ;   in Loop: Header=BB633_213 Depth=1
	v_cmp_ne_u16_e32 vcc, s9, v42
	v_bfrev_b32_e32 v50, 1
	s_and_saveexec_b64 s[14:15], vcc
	s_cbranch_execz .LBB633_368
; %bb.365:                              ;   in Loop: Header=BB633_213 Depth=1
	v_and_b32_e32 v49, 0x7f, v42
	v_cmp_ne_u32_e32 vcc, s19, v49
	v_mov_b32_e32 v50, 0x7f800001
	s_and_saveexec_b64 s[16:17], vcc
	s_cbranch_execz .LBB633_367
; %bb.366:                              ;   in Loop: Header=BB633_213 Depth=1
	v_and_b32_e32 v52, 7, v42
	v_ffbh_u32_e32 v50, v52
	v_min_u32_e32 v61, 32, v50
	v_subrev_u32_e32 v50, 28, v61
	v_lshlrev_b64 v[50:51], v50, v[42:43]
	v_lshrrev_b32_e32 v53, 3, v49
	v_sub_u32_e32 v42, 29, v61
	v_and_b32_e32 v50, 7, v50
	v_cmp_gt_u32_e32 vcc, 8, v49
	v_cndmask_b32_e32 v42, v53, v42, vcc
	v_cndmask_b32_e32 v49, v52, v50, vcc
	v_lshlrev_b32_e32 v50, 16, v40
	v_lshlrev_b32_e32 v49, 20, v49
	v_and_b32_e32 v50, 0x80000000, v50
	v_lshl_add_u32 v42, v42, 23, v48
	v_or3_b32 v50, v50, v42, v49
.LBB633_367:                            ;   in Loop: Header=BB633_213 Depth=1
	s_or_b64 exec, exec, s[16:17]
.LBB633_368:                            ;   in Loop: Header=BB633_213 Depth=1
	s_or_b64 exec, exec, s[14:15]
.LBB633_369:                            ;   in Loop: Header=BB633_213 Depth=1
	s_or_b64 exec, exec, s[12:13]
	v_lshrrev_b32_e32 v42, 16, v40
	v_cmp_ne_u16_sdwa s[14:15], v42, v47 src0_sel:BYTE_0 src1_sel:DWORD
	s_and_saveexec_b64 s[12:13], s[14:15]
	s_cbranch_execz .LBB633_375
; %bb.370:                              ;   in Loop: Header=BB633_213 Depth=1
	v_cmp_ne_u16_sdwa s[16:17], v42, s9 src0_sel:BYTE_0 src1_sel:DWORD
	v_bfrev_b32_e32 v44, 1
	s_and_saveexec_b64 s[14:15], s[16:17]
	s_cbranch_execz .LBB633_374
; %bb.371:                              ;   in Loop: Header=BB633_213 Depth=1
	v_bfe_u32 v49, v40, 16, 7
	v_cmp_ne_u32_e32 vcc, s19, v49
	v_mov_b32_e32 v44, 0x7f800001
	s_and_saveexec_b64 s[16:17], vcc
	s_cbranch_execz .LBB633_373
; %bb.372:                              ;   in Loop: Header=BB633_213 Depth=1
	v_and_b32_e32 v44, 7, v42
	v_ffbh_u32_e32 v52, v44
	v_min_u32_e32 v61, 32, v52
	v_subrev_u32_e32 v52, 28, v61
	v_lshlrev_b64 v[52:53], v52, v[42:43]
	v_lshrrev_b32_e32 v51, 3, v49
	v_sub_u32_e32 v53, 29, v61
	v_and_b32_e32 v52, 7, v52
	v_cmp_gt_u32_e32 vcc, 8, v49
	v_cndmask_b32_e32 v49, v51, v53, vcc
	v_cndmask_b32_e32 v44, v44, v52, vcc
	v_lshlrev_b32_e32 v42, 24, v42
	v_lshlrev_b32_e32 v44, 20, v44
	v_and_b32_e32 v42, 0x80000000, v42
	v_lshl_add_u32 v49, v49, 23, v48
	v_or3_b32 v44, v42, v49, v44
.LBB633_373:                            ;   in Loop: Header=BB633_213 Depth=1
	s_or_b64 exec, exec, s[16:17]
.LBB633_374:                            ;   in Loop: Header=BB633_213 Depth=1
	s_or_b64 exec, exec, s[14:15]
.LBB633_375:                            ;   in Loop: Header=BB633_213 Depth=1
	s_or_b64 exec, exec, s[12:13]
	v_cmp_lt_u32_e32 vcc, s20, v40
	v_mov_b32_e32 v51, 0
	v_mov_b32_e32 v52, 0
	s_and_saveexec_b64 s[12:13], vcc
	s_cbranch_execz .LBB633_381
; %bb.376:                              ;   in Loop: Header=BB633_213 Depth=1
	v_lshrrev_b32_e32 v42, 24, v40
	v_cmp_ne_u32_e32 vcc, s9, v42
	v_bfrev_b32_e32 v52, 1
	s_and_saveexec_b64 s[14:15], vcc
	s_cbranch_execz .LBB633_380
; %bb.377:                              ;   in Loop: Header=BB633_213 Depth=1
	v_bfe_u32 v40, v40, 24, 7
	v_cmp_ne_u32_e32 vcc, s19, v40
	v_mov_b32_e32 v52, 0x7f800001
	s_and_saveexec_b64 s[16:17], vcc
	s_cbranch_execz .LBB633_379
; %bb.378:                              ;   in Loop: Header=BB633_213 Depth=1
	v_and_b32_e32 v49, 7, v42
	v_ffbh_u32_e32 v52, v49
	v_min_u32_e32 v62, 32, v52
	v_subrev_u32_e32 v52, 28, v62
	v_lshlrev_b64 v[52:53], v52, v[42:43]
	v_lshrrev_b32_e32 v61, 3, v40
	v_sub_u32_e32 v53, 29, v62
	v_and_b32_e32 v52, 7, v52
	v_cmp_gt_u32_e32 vcc, 8, v40
	v_cndmask_b32_e32 v40, v61, v53, vcc
	v_cndmask_b32_e32 v49, v49, v52, vcc
	v_lshlrev_b32_e32 v42, 24, v42
	v_lshlrev_b32_e32 v49, 20, v49
	v_and_b32_e32 v42, 0x80000000, v42
	v_lshl_add_u32 v40, v40, 23, v48
	v_or3_b32 v52, v42, v40, v49
.LBB633_379:                            ;   in Loop: Header=BB633_213 Depth=1
	s_or_b64 exec, exec, s[16:17]
.LBB633_380:                            ;   in Loop: Header=BB633_213 Depth=1
	s_or_b64 exec, exec, s[14:15]
.LBB633_381:                            ;   in Loop: Header=BB633_213 Depth=1
	s_or_b64 exec, exec, s[12:13]
	s_waitcnt vmcnt(0)
	v_cmp_ne_u16_sdwa s[14:15], v38, v47 src0_sel:BYTE_0 src1_sel:DWORD
	s_and_saveexec_b64 s[12:13], s[14:15]
	s_cbranch_execz .LBB633_387
; %bb.382:                              ;   in Loop: Header=BB633_213 Depth=1
	v_cmp_ne_u16_sdwa s[16:17], v38, s9 src0_sel:BYTE_0 src1_sel:DWORD
	v_bfrev_b32_e32 v51, 1
	s_and_saveexec_b64 s[14:15], s[16:17]
	s_cbranch_execz .LBB633_386
; %bb.383:                              ;   in Loop: Header=BB633_213 Depth=1
	v_and_b32_e32 v40, 0x7f, v38
	v_cmp_ne_u32_e32 vcc, s19, v40
	v_mov_b32_e32 v51, 0x7f800001
	s_and_saveexec_b64 s[16:17], vcc
	s_cbranch_execz .LBB633_385
; %bb.384:                              ;   in Loop: Header=BB633_213 Depth=1
	v_and_b32_e32 v42, 7, v38
	v_ffbh_u32_e32 v51, v42
	v_min_u32_e32 v51, 32, v51
	v_subrev_u32_e32 v53, 28, v51
	v_lshlrev_b64 v[62:63], v53, v[38:39]
	v_lshrrev_b32_e32 v49, 3, v40
	v_sub_u32_e32 v51, 29, v51
	v_and_b32_e32 v53, 7, v62
	v_cmp_gt_u32_e32 vcc, 8, v40
	v_cndmask_b32_e32 v40, v49, v51, vcc
	v_cndmask_b32_e32 v42, v42, v53, vcc
	v_lshlrev_b32_e32 v49, 24, v38
	v_lshlrev_b32_e32 v42, 20, v42
	v_and_b32_e32 v49, 0x80000000, v49
	v_lshl_add_u32 v40, v40, 23, v48
	v_or3_b32 v51, v49, v40, v42
.LBB633_385:                            ;   in Loop: Header=BB633_213 Depth=1
	s_or_b64 exec, exec, s[16:17]
.LBB633_386:                            ;   in Loop: Header=BB633_213 Depth=1
	s_or_b64 exec, exec, s[14:15]
.LBB633_387:                            ;   in Loop: Header=BB633_213 Depth=1
	s_or_b64 exec, exec, s[12:13]
	v_lshrrev_b16_e32 v40, 8, v38
	v_cmp_ne_u16_e32 vcc, 0, v40
	v_mov_b32_e32 v53, 0
	v_mov_b32_e32 v61, 0
	s_and_saveexec_b64 s[12:13], vcc
	s_cbranch_execz .LBB633_393
; %bb.388:                              ;   in Loop: Header=BB633_213 Depth=1
	v_cmp_ne_u16_e32 vcc, s9, v40
	v_bfrev_b32_e32 v61, 1
	s_and_saveexec_b64 s[14:15], vcc
	s_cbranch_execz .LBB633_392
; %bb.389:                              ;   in Loop: Header=BB633_213 Depth=1
	v_and_b32_e32 v42, 0x7f, v40
	v_cmp_ne_u32_e32 vcc, s19, v42
	v_mov_b32_e32 v61, 0x7f800001
	s_and_saveexec_b64 s[16:17], vcc
	s_cbranch_execz .LBB633_391
; %bb.390:                              ;   in Loop: Header=BB633_213 Depth=1
	v_and_b32_e32 v49, 7, v40
	v_ffbh_u32_e32 v62, v49
	v_min_u32_e32 v64, 32, v62
	v_subrev_u32_e32 v62, 28, v64
	v_lshlrev_b64 v[62:63], v62, v[40:41]
	v_lshrrev_b32_e32 v61, 3, v42
	v_sub_u32_e32 v40, 29, v64
	v_and_b32_e32 v62, 7, v62
	v_cmp_gt_u32_e32 vcc, 8, v42
	v_cndmask_b32_e32 v40, v61, v40, vcc
	v_cndmask_b32_e32 v42, v49, v62, vcc
	v_lshlrev_b32_e32 v49, 16, v38
	v_lshlrev_b32_e32 v42, 20, v42
	v_and_b32_e32 v49, 0x80000000, v49
	v_lshl_add_u32 v40, v40, 23, v48
	v_or3_b32 v61, v49, v40, v42
.LBB633_391:                            ;   in Loop: Header=BB633_213 Depth=1
	s_or_b64 exec, exec, s[16:17]
.LBB633_392:                            ;   in Loop: Header=BB633_213 Depth=1
	s_or_b64 exec, exec, s[14:15]
.LBB633_393:                            ;   in Loop: Header=BB633_213 Depth=1
	s_or_b64 exec, exec, s[12:13]
	v_lshrrev_b32_e32 v40, 16, v38
	v_cmp_ne_u16_sdwa s[14:15], v40, v47 src0_sel:BYTE_0 src1_sel:DWORD
	s_and_saveexec_b64 s[12:13], s[14:15]
	s_cbranch_execz .LBB633_399
; %bb.394:                              ;   in Loop: Header=BB633_213 Depth=1
	v_cmp_ne_u16_sdwa s[16:17], v40, s9 src0_sel:BYTE_0 src1_sel:DWORD
	v_bfrev_b32_e32 v53, 1
	s_and_saveexec_b64 s[14:15], s[16:17]
	s_cbranch_execz .LBB633_398
; %bb.395:                              ;   in Loop: Header=BB633_213 Depth=1
	v_bfe_u32 v42, v38, 16, 7
	v_cmp_ne_u32_e32 vcc, s19, v42
	v_mov_b32_e32 v53, 0x7f800001
	s_and_saveexec_b64 s[16:17], vcc
	s_cbranch_execz .LBB633_397
; %bb.396:                              ;   in Loop: Header=BB633_213 Depth=1
	v_and_b32_e32 v49, 7, v40
	v_ffbh_u32_e32 v62, v49
	v_min_u32_e32 v64, 32, v62
	v_subrev_u32_e32 v62, 28, v64
	v_lshlrev_b64 v[62:63], v62, v[40:41]
	v_lshrrev_b32_e32 v53, 3, v42
	v_sub_u32_e32 v63, 29, v64
	v_and_b32_e32 v62, 7, v62
	v_cmp_gt_u32_e32 vcc, 8, v42
	v_cndmask_b32_e32 v42, v53, v63, vcc
	v_cndmask_b32_e32 v49, v49, v62, vcc
	v_lshlrev_b32_e32 v40, 24, v40
	v_lshlrev_b32_e32 v49, 20, v49
	v_and_b32_e32 v40, 0x80000000, v40
	v_lshl_add_u32 v42, v42, 23, v48
	v_or3_b32 v53, v40, v42, v49
.LBB633_397:                            ;   in Loop: Header=BB633_213 Depth=1
	s_or_b64 exec, exec, s[16:17]
.LBB633_398:                            ;   in Loop: Header=BB633_213 Depth=1
	s_or_b64 exec, exec, s[14:15]
.LBB633_399:                            ;   in Loop: Header=BB633_213 Depth=1
	s_or_b64 exec, exec, s[12:13]
	v_cmp_lt_u32_e32 vcc, s20, v38
	v_mov_b32_e32 v49, 0
	v_mov_b32_e32 v62, 0
	s_and_saveexec_b64 s[12:13], vcc
	s_cbranch_execz .LBB633_405
; %bb.400:                              ;   in Loop: Header=BB633_213 Depth=1
	v_lshrrev_b32_e32 v40, 24, v38
	v_cmp_ne_u32_e32 vcc, s9, v40
	v_bfrev_b32_e32 v62, 1
	s_and_saveexec_b64 s[14:15], vcc
	s_cbranch_execz .LBB633_404
; %bb.401:                              ;   in Loop: Header=BB633_213 Depth=1
	v_bfe_u32 v38, v38, 24, 7
	v_cmp_ne_u32_e32 vcc, s19, v38
	v_mov_b32_e32 v62, 0x7f800001
	s_and_saveexec_b64 s[16:17], vcc
	s_cbranch_execz .LBB633_403
; %bb.402:                              ;   in Loop: Header=BB633_213 Depth=1
	v_and_b32_e32 v42, 7, v40
	v_ffbh_u32_e32 v62, v42
	v_min_u32_e32 v65, 32, v62
	v_subrev_u32_e32 v62, 28, v65
	v_lshlrev_b64 v[62:63], v62, v[40:41]
	v_lshrrev_b32_e32 v64, 3, v38
	v_sub_u32_e32 v63, 29, v65
	v_and_b32_e32 v62, 7, v62
	v_cmp_gt_u32_e32 vcc, 8, v38
	v_cndmask_b32_e32 v38, v64, v63, vcc
	v_cndmask_b32_e32 v42, v42, v62, vcc
	v_lshlrev_b32_e32 v40, 24, v40
	v_lshlrev_b32_e32 v42, 20, v42
	v_and_b32_e32 v40, 0x80000000, v40
	v_lshl_add_u32 v38, v38, 23, v48
	v_or3_b32 v62, v40, v38, v42
.LBB633_403:                            ;   in Loop: Header=BB633_213 Depth=1
	s_or_b64 exec, exec, s[16:17]
.LBB633_404:                            ;   in Loop: Header=BB633_213 Depth=1
	s_or_b64 exec, exec, s[14:15]
.LBB633_405:                            ;   in Loop: Header=BB633_213 Depth=1
	s_or_b64 exec, exec, s[12:13]
	v_cvt_pkrtz_f16_f32 v65, v44, v52
	buffer_load_dword v44, v60, s[0:3], 0 offen
	buffer_load_dword v42, v60, s[0:3], 0 offen offset:4
	buffer_load_dword v40, v60, s[0:3], 0 offen offset:8
	;; [unrolled: 1-line block ×3, first 2 shown]
	v_cvt_pkrtz_f16_f32 v64, v46, v50
	v_cvt_pkrtz_f16_f32 v50, v51, v61
	;; [unrolled: 1-line block ×3, first 2 shown]
	v_mfma_f32_16x16x16f16 v[34:37], v[64:65], v[14:15], v[34:37]
	s_waitcnt vmcnt(3)
	v_cmp_ne_u16_sdwa s[14:15], v44, v47 src0_sel:BYTE_0 src1_sel:DWORD
	v_mfma_f32_16x16x16f16 v[34:37], v[50:51], v[16:17], v[34:37]
	s_and_saveexec_b64 s[12:13], s[14:15]
	s_cbranch_execz .LBB633_411
; %bb.406:                              ;   in Loop: Header=BB633_213 Depth=1
	v_cmp_ne_u16_sdwa s[16:17], v44, s9 src0_sel:BYTE_0 src1_sel:DWORD
	v_bfrev_b32_e32 v49, 1
	s_and_saveexec_b64 s[14:15], s[16:17]
	s_cbranch_execz .LBB633_410
; %bb.407:                              ;   in Loop: Header=BB633_213 Depth=1
	v_and_b32_e32 v46, 0x7f, v44
	v_cmp_ne_u32_e32 vcc, s19, v46
	v_mov_b32_e32 v49, 0x7f800001
	s_and_saveexec_b64 s[16:17], vcc
	s_cbranch_execz .LBB633_409
; %bb.408:                              ;   in Loop: Header=BB633_213 Depth=1
	v_and_b32_e32 v49, 7, v44
	v_ffbh_u32_e32 v50, v49
	v_min_u32_e32 v53, 32, v50
	v_subrev_u32_e32 v50, 28, v53
	v_lshlrev_b64 v[50:51], v50, v[44:45]
	v_lshrrev_b32_e32 v52, 3, v46
	v_sub_u32_e32 v51, 29, v53
	v_and_b32_e32 v50, 7, v50
	v_cmp_gt_u32_e32 vcc, 8, v46
	v_cndmask_b32_e32 v46, v52, v51, vcc
	v_cndmask_b32_e32 v49, v49, v50, vcc
	v_lshlrev_b32_e32 v50, 24, v44
	v_lshlrev_b32_e32 v49, 20, v49
	v_and_b32_e32 v50, 0x80000000, v50
	v_lshl_add_u32 v46, v46, 23, v48
	v_or3_b32 v49, v50, v46, v49
.LBB633_409:                            ;   in Loop: Header=BB633_213 Depth=1
	s_or_b64 exec, exec, s[16:17]
.LBB633_410:                            ;   in Loop: Header=BB633_213 Depth=1
	s_or_b64 exec, exec, s[14:15]
.LBB633_411:                            ;   in Loop: Header=BB633_213 Depth=1
	s_or_b64 exec, exec, s[12:13]
	v_lshrrev_b16_e32 v46, 8, v44
	v_cmp_ne_u16_e32 vcc, 0, v46
	v_mov_b32_e32 v50, 0
	v_mov_b32_e32 v51, 0
	s_and_saveexec_b64 s[12:13], vcc
	s_cbranch_execz .LBB633_417
; %bb.412:                              ;   in Loop: Header=BB633_213 Depth=1
	v_cmp_ne_u16_e32 vcc, s9, v46
	v_bfrev_b32_e32 v51, 1
	s_and_saveexec_b64 s[14:15], vcc
	s_cbranch_execz .LBB633_416
; %bb.413:                              ;   in Loop: Header=BB633_213 Depth=1
	v_and_b32_e32 v52, 0x7f, v46
	v_cmp_ne_u32_e32 vcc, s19, v52
	v_mov_b32_e32 v51, 0x7f800001
	s_and_saveexec_b64 s[16:17], vcc
	s_cbranch_execz .LBB633_415
; %bb.414:                              ;   in Loop: Header=BB633_213 Depth=1
	v_and_b32_e32 v51, 7, v46
	v_ffbh_u32_e32 v60, v51
	v_min_u32_e32 v62, 32, v60
	v_subrev_u32_e32 v60, 28, v62
	v_lshlrev_b64 v[60:61], v60, v[46:47]
	v_lshrrev_b32_e32 v53, 3, v52
	v_sub_u32_e32 v46, 29, v62
	v_and_b32_e32 v60, 7, v60
	v_cmp_gt_u32_e32 vcc, 8, v52
	v_cndmask_b32_e32 v46, v53, v46, vcc
	v_cndmask_b32_e32 v51, v51, v60, vcc
	v_lshlrev_b32_e32 v52, 16, v44
	v_lshlrev_b32_e32 v51, 20, v51
	v_and_b32_e32 v52, 0x80000000, v52
	v_lshl_add_u32 v46, v46, 23, v48
	v_or3_b32 v51, v52, v46, v51
.LBB633_415:                            ;   in Loop: Header=BB633_213 Depth=1
	s_or_b64 exec, exec, s[16:17]
.LBB633_416:                            ;   in Loop: Header=BB633_213 Depth=1
	s_or_b64 exec, exec, s[14:15]
.LBB633_417:                            ;   in Loop: Header=BB633_213 Depth=1
	s_or_b64 exec, exec, s[12:13]
	v_lshrrev_b32_e32 v46, 16, v44
	v_cmp_ne_u16_sdwa s[14:15], v46, v47 src0_sel:BYTE_0 src1_sel:DWORD
	s_and_saveexec_b64 s[12:13], s[14:15]
	s_cbranch_execz .LBB633_423
; %bb.418:                              ;   in Loop: Header=BB633_213 Depth=1
	v_cmp_ne_u16_sdwa s[16:17], v46, s9 src0_sel:BYTE_0 src1_sel:DWORD
	v_bfrev_b32_e32 v50, 1
	s_and_saveexec_b64 s[14:15], s[16:17]
	s_cbranch_execz .LBB633_422
; %bb.419:                              ;   in Loop: Header=BB633_213 Depth=1
	v_bfe_u32 v52, v44, 16, 7
	v_cmp_ne_u32_e32 vcc, s19, v52
	v_mov_b32_e32 v50, 0x7f800001
	s_and_saveexec_b64 s[16:17], vcc
	s_cbranch_execz .LBB633_421
; %bb.420:                              ;   in Loop: Header=BB633_213 Depth=1
	v_and_b32_e32 v50, 7, v46
	v_ffbh_u32_e32 v60, v50
	v_min_u32_e32 v62, 32, v60
	v_subrev_u32_e32 v60, 28, v62
	v_lshlrev_b64 v[60:61], v60, v[46:47]
	v_lshrrev_b32_e32 v53, 3, v52
	v_sub_u32_e32 v61, 29, v62
	v_and_b32_e32 v60, 7, v60
	v_cmp_gt_u32_e32 vcc, 8, v52
	v_cndmask_b32_e32 v52, v53, v61, vcc
	v_cndmask_b32_e32 v50, v50, v60, vcc
	v_lshlrev_b32_e32 v46, 24, v46
	v_lshlrev_b32_e32 v50, 20, v50
	v_and_b32_e32 v46, 0x80000000, v46
	v_lshl_add_u32 v52, v52, 23, v48
	v_or3_b32 v50, v46, v52, v50
.LBB633_421:                            ;   in Loop: Header=BB633_213 Depth=1
	s_or_b64 exec, exec, s[16:17]
.LBB633_422:                            ;   in Loop: Header=BB633_213 Depth=1
	s_or_b64 exec, exec, s[14:15]
.LBB633_423:                            ;   in Loop: Header=BB633_213 Depth=1
	s_or_b64 exec, exec, s[12:13]
	v_cmp_lt_u32_e32 vcc, s20, v44
	v_mov_b32_e32 v52, 0
	v_mov_b32_e32 v53, 0
	s_and_saveexec_b64 s[12:13], vcc
	s_cbranch_execz .LBB633_429
; %bb.424:                              ;   in Loop: Header=BB633_213 Depth=1
	v_lshrrev_b32_e32 v46, 24, v44
	v_cmp_ne_u32_e32 vcc, s9, v46
	v_bfrev_b32_e32 v53, 1
	s_and_saveexec_b64 s[14:15], vcc
	s_cbranch_execz .LBB633_428
; %bb.425:                              ;   in Loop: Header=BB633_213 Depth=1
	v_bfe_u32 v44, v44, 24, 7
	v_cmp_ne_u32_e32 vcc, s19, v44
	v_mov_b32_e32 v53, 0x7f800001
	s_and_saveexec_b64 s[16:17], vcc
	s_cbranch_execz .LBB633_427
; %bb.426:                              ;   in Loop: Header=BB633_213 Depth=1
	v_and_b32_e32 v53, 7, v46
	v_ffbh_u32_e32 v60, v53
	v_min_u32_e32 v63, 32, v60
	v_subrev_u32_e32 v60, 28, v63
	v_lshlrev_b64 v[60:61], v60, v[46:47]
	v_lshrrev_b32_e32 v62, 3, v44
	v_sub_u32_e32 v61, 29, v63
	v_and_b32_e32 v60, 7, v60
	v_cmp_gt_u32_e32 vcc, 8, v44
	v_cndmask_b32_e32 v44, v62, v61, vcc
	v_cndmask_b32_e32 v53, v53, v60, vcc
	v_lshlrev_b32_e32 v46, 24, v46
	v_lshlrev_b32_e32 v53, 20, v53
	v_and_b32_e32 v46, 0x80000000, v46
	v_lshl_add_u32 v44, v44, 23, v48
	v_or3_b32 v53, v46, v44, v53
.LBB633_427:                            ;   in Loop: Header=BB633_213 Depth=1
	s_or_b64 exec, exec, s[16:17]
.LBB633_428:                            ;   in Loop: Header=BB633_213 Depth=1
	s_or_b64 exec, exec, s[14:15]
.LBB633_429:                            ;   in Loop: Header=BB633_213 Depth=1
	s_or_b64 exec, exec, s[12:13]
	s_waitcnt vmcnt(2)
	v_cmp_ne_u16_sdwa s[14:15], v42, v47 src0_sel:BYTE_0 src1_sel:DWORD
	s_and_saveexec_b64 s[12:13], s[14:15]
	s_cbranch_execz .LBB633_435
; %bb.430:                              ;   in Loop: Header=BB633_213 Depth=1
	v_cmp_ne_u16_sdwa s[16:17], v42, s9 src0_sel:BYTE_0 src1_sel:DWORD
	v_bfrev_b32_e32 v52, 1
	s_and_saveexec_b64 s[14:15], s[16:17]
	s_cbranch_execz .LBB633_434
; %bb.431:                              ;   in Loop: Header=BB633_213 Depth=1
	v_and_b32_e32 v44, 0x7f, v42
	v_cmp_ne_u32_e32 vcc, s19, v44
	v_mov_b32_e32 v52, 0x7f800001
	s_and_saveexec_b64 s[16:17], vcc
	s_cbranch_execz .LBB633_433
; %bb.432:                              ;   in Loop: Header=BB633_213 Depth=1
	v_and_b32_e32 v46, 7, v42
	v_ffbh_u32_e32 v60, v46
	v_min_u32_e32 v62, 32, v60
	v_subrev_u32_e32 v60, 28, v62
	v_lshlrev_b64 v[60:61], v60, v[42:43]
	v_lshrrev_b32_e32 v52, 3, v44
	v_sub_u32_e32 v61, 29, v62
	v_and_b32_e32 v60, 7, v60
	v_cmp_gt_u32_e32 vcc, 8, v44
	v_cndmask_b32_e32 v44, v52, v61, vcc
	v_cndmask_b32_e32 v46, v46, v60, vcc
	v_lshlrev_b32_e32 v52, 24, v42
	v_lshlrev_b32_e32 v46, 20, v46
	v_and_b32_e32 v52, 0x80000000, v52
	v_lshl_add_u32 v44, v44, 23, v48
	v_or3_b32 v52, v52, v44, v46
.LBB633_433:                            ;   in Loop: Header=BB633_213 Depth=1
	s_or_b64 exec, exec, s[16:17]
.LBB633_434:                            ;   in Loop: Header=BB633_213 Depth=1
	s_or_b64 exec, exec, s[14:15]
.LBB633_435:                            ;   in Loop: Header=BB633_213 Depth=1
	s_or_b64 exec, exec, s[12:13]
	v_lshrrev_b16_e32 v44, 8, v42
	v_cmp_ne_u16_e32 vcc, 0, v44
	v_mov_b32_e32 v60, 0
	v_mov_b32_e32 v61, 0
	s_and_saveexec_b64 s[12:13], vcc
	s_cbranch_execz .LBB633_441
; %bb.436:                              ;   in Loop: Header=BB633_213 Depth=1
	v_cmp_ne_u16_e32 vcc, s9, v44
	v_bfrev_b32_e32 v61, 1
	s_and_saveexec_b64 s[14:15], vcc
	s_cbranch_execz .LBB633_440
; %bb.437:                              ;   in Loop: Header=BB633_213 Depth=1
	v_and_b32_e32 v46, 0x7f, v44
	v_cmp_ne_u32_e32 vcc, s19, v46
	v_mov_b32_e32 v61, 0x7f800001
	s_and_saveexec_b64 s[16:17], vcc
	s_cbranch_execz .LBB633_439
; %bb.438:                              ;   in Loop: Header=BB633_213 Depth=1
	v_and_b32_e32 v61, 7, v44
	v_ffbh_u32_e32 v62, v61
	v_min_u32_e32 v65, 32, v62
	v_subrev_u32_e32 v62, 28, v65
	v_lshlrev_b64 v[62:63], v62, v[44:45]
	v_lshrrev_b32_e32 v64, 3, v46
	v_sub_u32_e32 v44, 29, v65
	v_and_b32_e32 v62, 7, v62
	v_cmp_gt_u32_e32 vcc, 8, v46
	v_cndmask_b32_e32 v44, v64, v44, vcc
	v_cndmask_b32_e32 v46, v61, v62, vcc
	v_lshlrev_b32_e32 v61, 16, v42
	v_lshlrev_b32_e32 v46, 20, v46
	v_and_b32_e32 v61, 0x80000000, v61
	v_lshl_add_u32 v44, v44, 23, v48
	v_or3_b32 v61, v61, v44, v46
.LBB633_439:                            ;   in Loop: Header=BB633_213 Depth=1
	s_or_b64 exec, exec, s[16:17]
.LBB633_440:                            ;   in Loop: Header=BB633_213 Depth=1
	s_or_b64 exec, exec, s[14:15]
.LBB633_441:                            ;   in Loop: Header=BB633_213 Depth=1
	s_or_b64 exec, exec, s[12:13]
	v_lshrrev_b32_e32 v44, 16, v42
	v_cmp_ne_u16_sdwa s[14:15], v44, v47 src0_sel:BYTE_0 src1_sel:DWORD
	s_and_saveexec_b64 s[12:13], s[14:15]
	s_cbranch_execz .LBB633_447
; %bb.442:                              ;   in Loop: Header=BB633_213 Depth=1
	v_cmp_ne_u16_sdwa s[16:17], v44, s9 src0_sel:BYTE_0 src1_sel:DWORD
	v_bfrev_b32_e32 v60, 1
	s_and_saveexec_b64 s[14:15], s[16:17]
	s_cbranch_execz .LBB633_446
; %bb.443:                              ;   in Loop: Header=BB633_213 Depth=1
	v_bfe_u32 v46, v42, 16, 7
	v_cmp_ne_u32_e32 vcc, s19, v46
	v_mov_b32_e32 v60, 0x7f800001
	s_and_saveexec_b64 s[16:17], vcc
	s_cbranch_execz .LBB633_445
; %bb.444:                              ;   in Loop: Header=BB633_213 Depth=1
	v_and_b32_e32 v60, 7, v44
	v_ffbh_u32_e32 v62, v60
	v_min_u32_e32 v65, 32, v62
	v_subrev_u32_e32 v62, 28, v65
	v_lshlrev_b64 v[62:63], v62, v[44:45]
	v_lshrrev_b32_e32 v64, 3, v46
	v_sub_u32_e32 v63, 29, v65
	v_and_b32_e32 v62, 7, v62
	v_cmp_gt_u32_e32 vcc, 8, v46
	v_cndmask_b32_e32 v46, v64, v63, vcc
	v_cndmask_b32_e32 v60, v60, v62, vcc
	v_lshlrev_b32_e32 v44, 24, v44
	v_lshlrev_b32_e32 v60, 20, v60
	v_and_b32_e32 v44, 0x80000000, v44
	v_lshl_add_u32 v46, v46, 23, v48
	v_or3_b32 v60, v44, v46, v60
.LBB633_445:                            ;   in Loop: Header=BB633_213 Depth=1
	s_or_b64 exec, exec, s[16:17]
.LBB633_446:                            ;   in Loop: Header=BB633_213 Depth=1
	s_or_b64 exec, exec, s[14:15]
.LBB633_447:                            ;   in Loop: Header=BB633_213 Depth=1
	s_or_b64 exec, exec, s[12:13]
	v_cmp_lt_u32_e32 vcc, s20, v42
	v_mov_b32_e32 v46, 0
	v_mov_b32_e32 v62, 0
	s_and_saveexec_b64 s[12:13], vcc
	s_cbranch_execz .LBB633_453
; %bb.448:                              ;   in Loop: Header=BB633_213 Depth=1
	v_lshrrev_b32_e32 v44, 24, v42
	v_cmp_ne_u32_e32 vcc, s9, v44
	v_bfrev_b32_e32 v62, 1
	s_and_saveexec_b64 s[14:15], vcc
	s_cbranch_execz .LBB633_452
; %bb.449:                              ;   in Loop: Header=BB633_213 Depth=1
	v_bfe_u32 v42, v42, 24, 7
	v_cmp_ne_u32_e32 vcc, s19, v42
	v_mov_b32_e32 v62, 0x7f800001
	s_and_saveexec_b64 s[16:17], vcc
	s_cbranch_execz .LBB633_451
; %bb.450:                              ;   in Loop: Header=BB633_213 Depth=1
	v_and_b32_e32 v64, 7, v44
	v_ffbh_u32_e32 v62, v64
	v_min_u32_e32 v66, 32, v62
	v_subrev_u32_e32 v62, 28, v66
	v_lshlrev_b64 v[62:63], v62, v[44:45]
	v_lshrrev_b32_e32 v65, 3, v42
	v_sub_u32_e32 v63, 29, v66
	v_and_b32_e32 v62, 7, v62
	v_cmp_gt_u32_e32 vcc, 8, v42
	v_cndmask_b32_e32 v42, v65, v63, vcc
	v_cndmask_b32_e32 v62, v64, v62, vcc
	v_lshlrev_b32_e32 v44, 24, v44
	v_lshlrev_b32_e32 v62, 20, v62
	v_and_b32_e32 v44, 0x80000000, v44
	v_lshl_add_u32 v42, v42, 23, v48
	v_or3_b32 v62, v44, v42, v62
.LBB633_451:                            ;   in Loop: Header=BB633_213 Depth=1
	s_or_b64 exec, exec, s[16:17]
.LBB633_452:                            ;   in Loop: Header=BB633_213 Depth=1
	s_or_b64 exec, exec, s[14:15]
.LBB633_453:                            ;   in Loop: Header=BB633_213 Depth=1
	s_or_b64 exec, exec, s[12:13]
	v_cvt_pkrtz_f16_f32 v64, v49, v51
	v_cvt_pkrtz_f16_f32 v65, v50, v53
	;; [unrolled: 1-line block ×4, first 2 shown]
	s_waitcnt vmcnt(1)
	v_cmp_ne_u16_sdwa s[14:15], v40, v47 src0_sel:BYTE_0 src1_sel:DWORD
	v_mfma_f32_16x16x16f16 v[34:37], v[64:65], v[18:19], v[34:37]
	v_mfma_f32_16x16x16f16 v[34:37], v[50:51], v[20:21], v[34:37]
	s_and_saveexec_b64 s[12:13], s[14:15]
	s_cbranch_execz .LBB633_459
; %bb.454:                              ;   in Loop: Header=BB633_213 Depth=1
	v_cmp_ne_u16_sdwa s[16:17], v40, s9 src0_sel:BYTE_0 src1_sel:DWORD
	v_bfrev_b32_e32 v46, 1
	s_and_saveexec_b64 s[14:15], s[16:17]
	s_cbranch_execz .LBB633_458
; %bb.455:                              ;   in Loop: Header=BB633_213 Depth=1
	v_and_b32_e32 v42, 0x7f, v40
	v_cmp_ne_u32_e32 vcc, s19, v42
	v_mov_b32_e32 v46, 0x7f800001
	s_and_saveexec_b64 s[16:17], vcc
	s_cbranch_execz .LBB633_457
; %bb.456:                              ;   in Loop: Header=BB633_213 Depth=1
	v_and_b32_e32 v44, 7, v40
	v_ffbh_u32_e32 v49, v44
	v_min_u32_e32 v49, 32, v49
	v_subrev_u32_e32 v50, 28, v49
	v_lshlrev_b64 v[50:51], v50, v[40:41]
	v_lshrrev_b32_e32 v46, 3, v42
	v_sub_u32_e32 v49, 29, v49
	v_and_b32_e32 v50, 7, v50
	v_cmp_gt_u32_e32 vcc, 8, v42
	v_cndmask_b32_e32 v42, v46, v49, vcc
	v_cndmask_b32_e32 v44, v44, v50, vcc
	v_lshlrev_b32_e32 v46, 24, v40
	v_lshlrev_b32_e32 v44, 20, v44
	v_and_b32_e32 v46, 0x80000000, v46
	v_lshl_add_u32 v42, v42, 23, v48
	v_or3_b32 v46, v46, v42, v44
.LBB633_457:                            ;   in Loop: Header=BB633_213 Depth=1
	s_or_b64 exec, exec, s[16:17]
.LBB633_458:                            ;   in Loop: Header=BB633_213 Depth=1
	s_or_b64 exec, exec, s[14:15]
.LBB633_459:                            ;   in Loop: Header=BB633_213 Depth=1
	s_or_b64 exec, exec, s[12:13]
	v_lshrrev_b16_e32 v42, 8, v40
	v_cmp_ne_u16_e32 vcc, 0, v42
	v_mov_b32_e32 v44, 0
	v_mov_b32_e32 v50, 0
	s_and_saveexec_b64 s[12:13], vcc
	s_cbranch_execz .LBB633_465
; %bb.460:                              ;   in Loop: Header=BB633_213 Depth=1
	v_cmp_ne_u16_e32 vcc, s9, v42
	v_bfrev_b32_e32 v50, 1
	s_and_saveexec_b64 s[14:15], vcc
	s_cbranch_execz .LBB633_464
; %bb.461:                              ;   in Loop: Header=BB633_213 Depth=1
	v_and_b32_e32 v49, 0x7f, v42
	v_cmp_ne_u32_e32 vcc, s19, v49
	v_mov_b32_e32 v50, 0x7f800001
	s_and_saveexec_b64 s[16:17], vcc
	s_cbranch_execz .LBB633_463
; %bb.462:                              ;   in Loop: Header=BB633_213 Depth=1
	v_and_b32_e32 v52, 7, v42
	v_ffbh_u32_e32 v50, v52
	v_min_u32_e32 v60, 32, v50
	v_subrev_u32_e32 v50, 28, v60
	v_lshlrev_b64 v[50:51], v50, v[42:43]
	v_lshrrev_b32_e32 v53, 3, v49
	v_sub_u32_e32 v42, 29, v60
	v_and_b32_e32 v50, 7, v50
	v_cmp_gt_u32_e32 vcc, 8, v49
	v_cndmask_b32_e32 v42, v53, v42, vcc
	v_cndmask_b32_e32 v49, v52, v50, vcc
	v_lshlrev_b32_e32 v50, 16, v40
	v_lshlrev_b32_e32 v49, 20, v49
	v_and_b32_e32 v50, 0x80000000, v50
	v_lshl_add_u32 v42, v42, 23, v48
	v_or3_b32 v50, v50, v42, v49
.LBB633_463:                            ;   in Loop: Header=BB633_213 Depth=1
	s_or_b64 exec, exec, s[16:17]
.LBB633_464:                            ;   in Loop: Header=BB633_213 Depth=1
	s_or_b64 exec, exec, s[14:15]
.LBB633_465:                            ;   in Loop: Header=BB633_213 Depth=1
	s_or_b64 exec, exec, s[12:13]
	v_lshrrev_b32_e32 v42, 16, v40
	v_cmp_ne_u16_sdwa s[14:15], v42, v47 src0_sel:BYTE_0 src1_sel:DWORD
	s_and_saveexec_b64 s[12:13], s[14:15]
	s_cbranch_execz .LBB633_471
; %bb.466:                              ;   in Loop: Header=BB633_213 Depth=1
	v_cmp_ne_u16_sdwa s[16:17], v42, s9 src0_sel:BYTE_0 src1_sel:DWORD
	v_bfrev_b32_e32 v44, 1
	s_and_saveexec_b64 s[14:15], s[16:17]
	s_cbranch_execz .LBB633_470
; %bb.467:                              ;   in Loop: Header=BB633_213 Depth=1
	v_bfe_u32 v49, v40, 16, 7
	v_cmp_ne_u32_e32 vcc, s19, v49
	v_mov_b32_e32 v44, 0x7f800001
	s_and_saveexec_b64 s[16:17], vcc
	s_cbranch_execz .LBB633_469
; %bb.468:                              ;   in Loop: Header=BB633_213 Depth=1
	v_and_b32_e32 v44, 7, v42
	v_ffbh_u32_e32 v52, v44
	v_min_u32_e32 v60, 32, v52
	v_subrev_u32_e32 v52, 28, v60
	v_lshlrev_b64 v[52:53], v52, v[42:43]
	v_lshrrev_b32_e32 v51, 3, v49
	v_sub_u32_e32 v53, 29, v60
	v_and_b32_e32 v52, 7, v52
	v_cmp_gt_u32_e32 vcc, 8, v49
	v_cndmask_b32_e32 v49, v51, v53, vcc
	v_cndmask_b32_e32 v44, v44, v52, vcc
	v_lshlrev_b32_e32 v42, 24, v42
	v_lshlrev_b32_e32 v44, 20, v44
	v_and_b32_e32 v42, 0x80000000, v42
	v_lshl_add_u32 v49, v49, 23, v48
	v_or3_b32 v44, v42, v49, v44
.LBB633_469:                            ;   in Loop: Header=BB633_213 Depth=1
	s_or_b64 exec, exec, s[16:17]
.LBB633_470:                            ;   in Loop: Header=BB633_213 Depth=1
	s_or_b64 exec, exec, s[14:15]
.LBB633_471:                            ;   in Loop: Header=BB633_213 Depth=1
	s_or_b64 exec, exec, s[12:13]
	v_cmp_lt_u32_e32 vcc, s20, v40
	v_mov_b32_e32 v51, 0
	v_mov_b32_e32 v52, 0
	s_and_saveexec_b64 s[12:13], vcc
	s_cbranch_execz .LBB633_477
; %bb.472:                              ;   in Loop: Header=BB633_213 Depth=1
	v_lshrrev_b32_e32 v42, 24, v40
	v_cmp_ne_u32_e32 vcc, s9, v42
	v_bfrev_b32_e32 v52, 1
	s_and_saveexec_b64 s[14:15], vcc
	s_cbranch_execz .LBB633_476
; %bb.473:                              ;   in Loop: Header=BB633_213 Depth=1
	v_bfe_u32 v40, v40, 24, 7
	v_cmp_ne_u32_e32 vcc, s19, v40
	v_mov_b32_e32 v52, 0x7f800001
	s_and_saveexec_b64 s[16:17], vcc
	s_cbranch_execz .LBB633_475
; %bb.474:                              ;   in Loop: Header=BB633_213 Depth=1
	v_and_b32_e32 v49, 7, v42
	v_ffbh_u32_e32 v52, v49
	v_min_u32_e32 v61, 32, v52
	v_subrev_u32_e32 v52, 28, v61
	v_lshlrev_b64 v[52:53], v52, v[42:43]
	v_lshrrev_b32_e32 v60, 3, v40
	v_sub_u32_e32 v53, 29, v61
	v_and_b32_e32 v52, 7, v52
	v_cmp_gt_u32_e32 vcc, 8, v40
	v_cndmask_b32_e32 v40, v60, v53, vcc
	v_cndmask_b32_e32 v49, v49, v52, vcc
	v_lshlrev_b32_e32 v42, 24, v42
	v_lshlrev_b32_e32 v49, 20, v49
	v_and_b32_e32 v42, 0x80000000, v42
	v_lshl_add_u32 v40, v40, 23, v48
	v_or3_b32 v52, v42, v40, v49
.LBB633_475:                            ;   in Loop: Header=BB633_213 Depth=1
	s_or_b64 exec, exec, s[16:17]
.LBB633_476:                            ;   in Loop: Header=BB633_213 Depth=1
	s_or_b64 exec, exec, s[14:15]
.LBB633_477:                            ;   in Loop: Header=BB633_213 Depth=1
	s_or_b64 exec, exec, s[12:13]
	s_waitcnt vmcnt(0)
	v_cmp_ne_u16_sdwa s[14:15], v38, v47 src0_sel:BYTE_0 src1_sel:DWORD
	s_and_saveexec_b64 s[12:13], s[14:15]
	s_cbranch_execz .LBB633_483
; %bb.478:                              ;   in Loop: Header=BB633_213 Depth=1
	v_cmp_ne_u16_sdwa s[16:17], v38, s9 src0_sel:BYTE_0 src1_sel:DWORD
	v_bfrev_b32_e32 v51, 1
	s_and_saveexec_b64 s[14:15], s[16:17]
	s_cbranch_execz .LBB633_482
; %bb.479:                              ;   in Loop: Header=BB633_213 Depth=1
	v_and_b32_e32 v40, 0x7f, v38
	v_cmp_ne_u32_e32 vcc, s19, v40
	v_mov_b32_e32 v51, 0x7f800001
	s_and_saveexec_b64 s[16:17], vcc
	s_cbranch_execz .LBB633_481
; %bb.480:                              ;   in Loop: Header=BB633_213 Depth=1
	v_and_b32_e32 v42, 7, v38
	v_ffbh_u32_e32 v51, v42
	v_min_u32_e32 v51, 32, v51
	v_subrev_u32_e32 v53, 28, v51
	v_lshlrev_b64 v[60:61], v53, v[38:39]
	v_lshrrev_b32_e32 v49, 3, v40
	v_sub_u32_e32 v51, 29, v51
	v_and_b32_e32 v53, 7, v60
	v_cmp_gt_u32_e32 vcc, 8, v40
	v_cndmask_b32_e32 v40, v49, v51, vcc
	v_cndmask_b32_e32 v42, v42, v53, vcc
	v_lshlrev_b32_e32 v49, 24, v38
	v_lshlrev_b32_e32 v42, 20, v42
	v_and_b32_e32 v49, 0x80000000, v49
	v_lshl_add_u32 v40, v40, 23, v48
	v_or3_b32 v51, v49, v40, v42
.LBB633_481:                            ;   in Loop: Header=BB633_213 Depth=1
	s_or_b64 exec, exec, s[16:17]
.LBB633_482:                            ;   in Loop: Header=BB633_213 Depth=1
	s_or_b64 exec, exec, s[14:15]
.LBB633_483:                            ;   in Loop: Header=BB633_213 Depth=1
	s_or_b64 exec, exec, s[12:13]
	v_lshrrev_b16_e32 v40, 8, v38
	v_cmp_ne_u16_e32 vcc, 0, v40
	v_mov_b32_e32 v53, 0
	v_mov_b32_e32 v60, 0
	s_and_saveexec_b64 s[12:13], vcc
	s_cbranch_execz .LBB633_489
; %bb.484:                              ;   in Loop: Header=BB633_213 Depth=1
	v_cmp_ne_u16_e32 vcc, s9, v40
	v_bfrev_b32_e32 v60, 1
	s_and_saveexec_b64 s[14:15], vcc
	s_cbranch_execz .LBB633_488
; %bb.485:                              ;   in Loop: Header=BB633_213 Depth=1
	v_and_b32_e32 v42, 0x7f, v40
	v_cmp_ne_u32_e32 vcc, s19, v42
	v_mov_b32_e32 v60, 0x7f800001
	s_and_saveexec_b64 s[16:17], vcc
	s_cbranch_execz .LBB633_487
; %bb.486:                              ;   in Loop: Header=BB633_213 Depth=1
	v_and_b32_e32 v49, 7, v40
	v_ffbh_u32_e32 v60, v49
	v_min_u32_e32 v63, 32, v60
	v_subrev_u32_e32 v60, 28, v63
	v_lshlrev_b64 v[60:61], v60, v[40:41]
	v_lshrrev_b32_e32 v62, 3, v42
	v_sub_u32_e32 v40, 29, v63
	v_and_b32_e32 v60, 7, v60
	v_cmp_gt_u32_e32 vcc, 8, v42
	v_cndmask_b32_e32 v40, v62, v40, vcc
	v_cndmask_b32_e32 v42, v49, v60, vcc
	v_lshlrev_b32_e32 v49, 16, v38
	v_lshlrev_b32_e32 v42, 20, v42
	v_and_b32_e32 v49, 0x80000000, v49
	v_lshl_add_u32 v40, v40, 23, v48
	v_or3_b32 v60, v49, v40, v42
.LBB633_487:                            ;   in Loop: Header=BB633_213 Depth=1
	s_or_b64 exec, exec, s[16:17]
.LBB633_488:                            ;   in Loop: Header=BB633_213 Depth=1
	s_or_b64 exec, exec, s[14:15]
.LBB633_489:                            ;   in Loop: Header=BB633_213 Depth=1
	s_or_b64 exec, exec, s[12:13]
	v_lshrrev_b32_e32 v40, 16, v38
	v_cmp_ne_u16_sdwa s[14:15], v40, v47 src0_sel:BYTE_0 src1_sel:DWORD
	s_and_saveexec_b64 s[12:13], s[14:15]
	s_cbranch_execz .LBB633_495
; %bb.490:                              ;   in Loop: Header=BB633_213 Depth=1
	v_cmp_ne_u16_sdwa s[16:17], v40, s9 src0_sel:BYTE_0 src1_sel:DWORD
	v_bfrev_b32_e32 v53, 1
	s_and_saveexec_b64 s[14:15], s[16:17]
	s_cbranch_execz .LBB633_494
; %bb.491:                              ;   in Loop: Header=BB633_213 Depth=1
	v_bfe_u32 v42, v38, 16, 7
	v_cmp_ne_u32_e32 vcc, s19, v42
	v_mov_b32_e32 v53, 0x7f800001
	s_and_saveexec_b64 s[16:17], vcc
	s_cbranch_execz .LBB633_493
; %bb.492:                              ;   in Loop: Header=BB633_213 Depth=1
	v_and_b32_e32 v49, 7, v40
	v_ffbh_u32_e32 v61, v49
	v_min_u32_e32 v61, 32, v61
	v_subrev_u32_e32 v62, 28, v61
	v_lshlrev_b64 v[62:63], v62, v[40:41]
	v_lshrrev_b32_e32 v53, 3, v42
	v_sub_u32_e32 v61, 29, v61
	v_and_b32_e32 v62, 7, v62
	v_cmp_gt_u32_e32 vcc, 8, v42
	v_cndmask_b32_e32 v42, v53, v61, vcc
	v_cndmask_b32_e32 v49, v49, v62, vcc
	v_lshlrev_b32_e32 v40, 24, v40
	v_lshlrev_b32_e32 v49, 20, v49
	v_and_b32_e32 v40, 0x80000000, v40
	v_lshl_add_u32 v42, v42, 23, v48
	v_or3_b32 v53, v40, v42, v49
.LBB633_493:                            ;   in Loop: Header=BB633_213 Depth=1
	s_or_b64 exec, exec, s[16:17]
.LBB633_494:                            ;   in Loop: Header=BB633_213 Depth=1
	s_or_b64 exec, exec, s[14:15]
.LBB633_495:                            ;   in Loop: Header=BB633_213 Depth=1
	s_or_b64 exec, exec, s[12:13]
	v_cmp_lt_u32_e32 vcc, s20, v38
	v_mov_b32_e32 v49, 0
	v_mov_b32_e32 v61, 0
	s_and_saveexec_b64 s[12:13], vcc
	s_cbranch_execz .LBB633_501
; %bb.496:                              ;   in Loop: Header=BB633_213 Depth=1
	v_lshrrev_b32_e32 v40, 24, v38
	v_cmp_ne_u32_e32 vcc, s9, v40
	v_bfrev_b32_e32 v61, 1
	s_and_saveexec_b64 s[14:15], vcc
	s_cbranch_execz .LBB633_500
; %bb.497:                              ;   in Loop: Header=BB633_213 Depth=1
	v_bfe_u32 v38, v38, 24, 7
	v_cmp_ne_u32_e32 vcc, s19, v38
	v_mov_b32_e32 v61, 0x7f800001
	s_and_saveexec_b64 s[16:17], vcc
	s_cbranch_execz .LBB633_499
; %bb.498:                              ;   in Loop: Header=BB633_213 Depth=1
	v_and_b32_e32 v42, 7, v40
	v_ffbh_u32_e32 v62, v42
	v_min_u32_e32 v64, 32, v62
	v_subrev_u32_e32 v62, 28, v64
	v_lshlrev_b64 v[62:63], v62, v[40:41]
	v_lshrrev_b32_e32 v61, 3, v38
	v_sub_u32_e32 v63, 29, v64
	v_and_b32_e32 v62, 7, v62
	v_cmp_gt_u32_e32 vcc, 8, v38
	v_cndmask_b32_e32 v38, v61, v63, vcc
	v_cndmask_b32_e32 v42, v42, v62, vcc
	v_lshlrev_b32_e32 v40, 24, v40
	v_lshlrev_b32_e32 v42, 20, v42
	v_and_b32_e32 v40, 0x80000000, v40
	v_lshl_add_u32 v38, v38, 23, v48
	v_or3_b32 v61, v40, v38, v42
.LBB633_499:                            ;   in Loop: Header=BB633_213 Depth=1
	s_or_b64 exec, exec, s[16:17]
.LBB633_500:                            ;   in Loop: Header=BB633_213 Depth=1
	s_or_b64 exec, exec, s[14:15]
.LBB633_501:                            ;   in Loop: Header=BB633_213 Depth=1
	s_or_b64 exec, exec, s[12:13]
	v_cvt_pkrtz_f16_f32 v63, v44, v52
	buffer_load_dword v44, v59, s[0:3], 0 offen
	buffer_load_dword v42, v59, s[0:3], 0 offen offset:4
	buffer_load_dword v40, v59, s[0:3], 0 offen offset:8
	;; [unrolled: 1-line block ×3, first 2 shown]
	v_cvt_pkrtz_f16_f32 v62, v46, v50
	v_cvt_pkrtz_f16_f32 v50, v51, v60
	;; [unrolled: 1-line block ×3, first 2 shown]
	v_mfma_f32_16x16x16f16 v[34:37], v[62:63], v[22:23], v[34:37]
	s_waitcnt vmcnt(3)
	v_cmp_ne_u16_sdwa s[14:15], v44, v47 src0_sel:BYTE_0 src1_sel:DWORD
	v_mfma_f32_16x16x16f16 v[34:37], v[50:51], v[24:25], v[34:37]
	s_and_saveexec_b64 s[12:13], s[14:15]
	s_cbranch_execz .LBB633_507
; %bb.502:                              ;   in Loop: Header=BB633_213 Depth=1
	v_cmp_ne_u16_sdwa s[16:17], v44, s9 src0_sel:BYTE_0 src1_sel:DWORD
	v_bfrev_b32_e32 v49, 1
	s_and_saveexec_b64 s[14:15], s[16:17]
	s_cbranch_execz .LBB633_506
; %bb.503:                              ;   in Loop: Header=BB633_213 Depth=1
	v_and_b32_e32 v46, 0x7f, v44
	v_cmp_ne_u32_e32 vcc, s19, v46
	v_mov_b32_e32 v49, 0x7f800001
	s_and_saveexec_b64 s[16:17], vcc
	s_cbranch_execz .LBB633_505
; %bb.504:                              ;   in Loop: Header=BB633_213 Depth=1
	v_and_b32_e32 v49, 7, v44
	v_ffbh_u32_e32 v50, v49
	v_min_u32_e32 v53, 32, v50
	v_subrev_u32_e32 v50, 28, v53
	v_lshlrev_b64 v[50:51], v50, v[44:45]
	v_lshrrev_b32_e32 v52, 3, v46
	v_sub_u32_e32 v51, 29, v53
	v_and_b32_e32 v50, 7, v50
	v_cmp_gt_u32_e32 vcc, 8, v46
	v_cndmask_b32_e32 v46, v52, v51, vcc
	v_cndmask_b32_e32 v49, v49, v50, vcc
	v_lshlrev_b32_e32 v50, 24, v44
	v_lshlrev_b32_e32 v49, 20, v49
	v_and_b32_e32 v50, 0x80000000, v50
	v_lshl_add_u32 v46, v46, 23, v48
	v_or3_b32 v49, v50, v46, v49
.LBB633_505:                            ;   in Loop: Header=BB633_213 Depth=1
	s_or_b64 exec, exec, s[16:17]
.LBB633_506:                            ;   in Loop: Header=BB633_213 Depth=1
	s_or_b64 exec, exec, s[14:15]
.LBB633_507:                            ;   in Loop: Header=BB633_213 Depth=1
	s_or_b64 exec, exec, s[12:13]
	v_lshrrev_b16_e32 v46, 8, v44
	v_cmp_ne_u16_e32 vcc, 0, v46
	v_mov_b32_e32 v50, 0
	v_mov_b32_e32 v51, 0
	s_and_saveexec_b64 s[12:13], vcc
	s_cbranch_execz .LBB633_513
; %bb.508:                              ;   in Loop: Header=BB633_213 Depth=1
	v_cmp_ne_u16_e32 vcc, s9, v46
	v_bfrev_b32_e32 v51, 1
	s_and_saveexec_b64 s[14:15], vcc
	s_cbranch_execz .LBB633_512
; %bb.509:                              ;   in Loop: Header=BB633_213 Depth=1
	v_and_b32_e32 v52, 0x7f, v46
	v_cmp_ne_u32_e32 vcc, s19, v52
	v_mov_b32_e32 v51, 0x7f800001
	s_and_saveexec_b64 s[16:17], vcc
	s_cbranch_execz .LBB633_511
; %bb.510:                              ;   in Loop: Header=BB633_213 Depth=1
	v_and_b32_e32 v51, 7, v46
	v_ffbh_u32_e32 v59, v51
	v_min_u32_e32 v59, 32, v59
	v_subrev_u32_e32 v60, 28, v59
	v_lshlrev_b64 v[60:61], v60, v[46:47]
	v_lshrrev_b32_e32 v53, 3, v52
	v_sub_u32_e32 v46, 29, v59
	v_and_b32_e32 v59, 7, v60
	v_cmp_gt_u32_e32 vcc, 8, v52
	v_cndmask_b32_e32 v46, v53, v46, vcc
	v_cndmask_b32_e32 v51, v51, v59, vcc
	v_lshlrev_b32_e32 v52, 16, v44
	v_lshlrev_b32_e32 v51, 20, v51
	v_and_b32_e32 v52, 0x80000000, v52
	v_lshl_add_u32 v46, v46, 23, v48
	v_or3_b32 v51, v52, v46, v51
.LBB633_511:                            ;   in Loop: Header=BB633_213 Depth=1
	s_or_b64 exec, exec, s[16:17]
.LBB633_512:                            ;   in Loop: Header=BB633_213 Depth=1
	s_or_b64 exec, exec, s[14:15]
.LBB633_513:                            ;   in Loop: Header=BB633_213 Depth=1
	s_or_b64 exec, exec, s[12:13]
	v_lshrrev_b32_e32 v46, 16, v44
	v_cmp_ne_u16_sdwa s[14:15], v46, v47 src0_sel:BYTE_0 src1_sel:DWORD
	s_and_saveexec_b64 s[12:13], s[14:15]
	s_cbranch_execz .LBB633_519
; %bb.514:                              ;   in Loop: Header=BB633_213 Depth=1
	v_cmp_ne_u16_sdwa s[16:17], v46, s9 src0_sel:BYTE_0 src1_sel:DWORD
	v_bfrev_b32_e32 v50, 1
	s_and_saveexec_b64 s[14:15], s[16:17]
	s_cbranch_execz .LBB633_518
; %bb.515:                              ;   in Loop: Header=BB633_213 Depth=1
	v_bfe_u32 v52, v44, 16, 7
	v_cmp_ne_u32_e32 vcc, s19, v52
	v_mov_b32_e32 v50, 0x7f800001
	s_and_saveexec_b64 s[16:17], vcc
	s_cbranch_execz .LBB633_517
; %bb.516:                              ;   in Loop: Header=BB633_213 Depth=1
	v_and_b32_e32 v50, 7, v46
	v_ffbh_u32_e32 v59, v50
	v_min_u32_e32 v59, 32, v59
	v_subrev_u32_e32 v60, 28, v59
	v_lshlrev_b64 v[60:61], v60, v[46:47]
	v_lshrrev_b32_e32 v53, 3, v52
	v_sub_u32_e32 v59, 29, v59
	v_and_b32_e32 v60, 7, v60
	v_cmp_gt_u32_e32 vcc, 8, v52
	v_cndmask_b32_e32 v52, v53, v59, vcc
	v_cndmask_b32_e32 v50, v50, v60, vcc
	v_lshlrev_b32_e32 v46, 24, v46
	v_lshlrev_b32_e32 v50, 20, v50
	v_and_b32_e32 v46, 0x80000000, v46
	v_lshl_add_u32 v52, v52, 23, v48
	v_or3_b32 v50, v46, v52, v50
.LBB633_517:                            ;   in Loop: Header=BB633_213 Depth=1
	s_or_b64 exec, exec, s[16:17]
.LBB633_518:                            ;   in Loop: Header=BB633_213 Depth=1
	s_or_b64 exec, exec, s[14:15]
.LBB633_519:                            ;   in Loop: Header=BB633_213 Depth=1
	s_or_b64 exec, exec, s[12:13]
	v_cmp_lt_u32_e32 vcc, s20, v44
	v_mov_b32_e32 v52, 0
	v_mov_b32_e32 v53, 0
	s_and_saveexec_b64 s[12:13], vcc
	s_cbranch_execz .LBB633_525
; %bb.520:                              ;   in Loop: Header=BB633_213 Depth=1
	v_lshrrev_b32_e32 v46, 24, v44
	v_cmp_ne_u32_e32 vcc, s9, v46
	v_bfrev_b32_e32 v53, 1
	s_and_saveexec_b64 s[14:15], vcc
	s_cbranch_execz .LBB633_524
; %bb.521:                              ;   in Loop: Header=BB633_213 Depth=1
	v_bfe_u32 v44, v44, 24, 7
	v_cmp_ne_u32_e32 vcc, s19, v44
	v_mov_b32_e32 v53, 0x7f800001
	s_and_saveexec_b64 s[16:17], vcc
	s_cbranch_execz .LBB633_523
; %bb.522:                              ;   in Loop: Header=BB633_213 Depth=1
	v_and_b32_e32 v53, 7, v46
	v_ffbh_u32_e32 v60, v53
	v_min_u32_e32 v62, 32, v60
	v_subrev_u32_e32 v60, 28, v62
	v_lshlrev_b64 v[60:61], v60, v[46:47]
	v_lshrrev_b32_e32 v59, 3, v44
	v_sub_u32_e32 v61, 29, v62
	v_and_b32_e32 v60, 7, v60
	v_cmp_gt_u32_e32 vcc, 8, v44
	v_cndmask_b32_e32 v44, v59, v61, vcc
	v_cndmask_b32_e32 v53, v53, v60, vcc
	v_lshlrev_b32_e32 v46, 24, v46
	v_lshlrev_b32_e32 v53, 20, v53
	v_and_b32_e32 v46, 0x80000000, v46
	v_lshl_add_u32 v44, v44, 23, v48
	v_or3_b32 v53, v46, v44, v53
.LBB633_523:                            ;   in Loop: Header=BB633_213 Depth=1
	s_or_b64 exec, exec, s[16:17]
.LBB633_524:                            ;   in Loop: Header=BB633_213 Depth=1
	s_or_b64 exec, exec, s[14:15]
.LBB633_525:                            ;   in Loop: Header=BB633_213 Depth=1
	s_or_b64 exec, exec, s[12:13]
	s_waitcnt vmcnt(2)
	v_cmp_ne_u16_sdwa s[14:15], v42, v47 src0_sel:BYTE_0 src1_sel:DWORD
	s_and_saveexec_b64 s[12:13], s[14:15]
	s_cbranch_execz .LBB633_531
; %bb.526:                              ;   in Loop: Header=BB633_213 Depth=1
	v_cmp_ne_u16_sdwa s[16:17], v42, s9 src0_sel:BYTE_0 src1_sel:DWORD
	v_bfrev_b32_e32 v52, 1
	s_and_saveexec_b64 s[14:15], s[16:17]
	s_cbranch_execz .LBB633_530
; %bb.527:                              ;   in Loop: Header=BB633_213 Depth=1
	v_and_b32_e32 v44, 0x7f, v42
	v_cmp_ne_u32_e32 vcc, s19, v44
	v_mov_b32_e32 v52, 0x7f800001
	s_and_saveexec_b64 s[16:17], vcc
	s_cbranch_execz .LBB633_529
; %bb.528:                              ;   in Loop: Header=BB633_213 Depth=1
	v_and_b32_e32 v46, 7, v42
	v_ffbh_u32_e32 v59, v46
	v_min_u32_e32 v59, 32, v59
	v_subrev_u32_e32 v60, 28, v59
	v_lshlrev_b64 v[60:61], v60, v[42:43]
	v_lshrrev_b32_e32 v52, 3, v44
	v_sub_u32_e32 v59, 29, v59
	v_and_b32_e32 v60, 7, v60
	v_cmp_gt_u32_e32 vcc, 8, v44
	v_cndmask_b32_e32 v44, v52, v59, vcc
	v_cndmask_b32_e32 v46, v46, v60, vcc
	v_lshlrev_b32_e32 v52, 24, v42
	v_lshlrev_b32_e32 v46, 20, v46
	v_and_b32_e32 v52, 0x80000000, v52
	v_lshl_add_u32 v44, v44, 23, v48
	v_or3_b32 v52, v52, v44, v46
.LBB633_529:                            ;   in Loop: Header=BB633_213 Depth=1
	s_or_b64 exec, exec, s[16:17]
.LBB633_530:                            ;   in Loop: Header=BB633_213 Depth=1
	s_or_b64 exec, exec, s[14:15]
.LBB633_531:                            ;   in Loop: Header=BB633_213 Depth=1
	s_or_b64 exec, exec, s[12:13]
	v_lshrrev_b16_e32 v44, 8, v42
	v_cmp_ne_u16_e32 vcc, 0, v44
	v_mov_b32_e32 v59, 0
	v_mov_b32_e32 v60, 0
	s_and_saveexec_b64 s[12:13], vcc
	s_cbranch_execz .LBB633_537
; %bb.532:                              ;   in Loop: Header=BB633_213 Depth=1
	v_cmp_ne_u16_e32 vcc, s9, v44
	v_bfrev_b32_e32 v60, 1
	s_and_saveexec_b64 s[14:15], vcc
	s_cbranch_execz .LBB633_536
; %bb.533:                              ;   in Loop: Header=BB633_213 Depth=1
	v_and_b32_e32 v46, 0x7f, v44
	v_cmp_ne_u32_e32 vcc, s19, v46
	v_mov_b32_e32 v60, 0x7f800001
	s_and_saveexec_b64 s[16:17], vcc
	s_cbranch_execz .LBB633_535
; %bb.534:                              ;   in Loop: Header=BB633_213 Depth=1
	v_and_b32_e32 v62, 7, v44
	v_ffbh_u32_e32 v60, v62
	v_min_u32_e32 v64, 32, v60
	v_subrev_u32_e32 v60, 28, v64
	v_lshlrev_b64 v[60:61], v60, v[44:45]
	v_lshrrev_b32_e32 v63, 3, v46
	v_sub_u32_e32 v44, 29, v64
	v_and_b32_e32 v60, 7, v60
	v_cmp_gt_u32_e32 vcc, 8, v46
	v_cndmask_b32_e32 v44, v63, v44, vcc
	v_cndmask_b32_e32 v46, v62, v60, vcc
	v_lshlrev_b32_e32 v60, 16, v42
	v_lshlrev_b32_e32 v46, 20, v46
	v_and_b32_e32 v60, 0x80000000, v60
	v_lshl_add_u32 v44, v44, 23, v48
	v_or3_b32 v60, v60, v44, v46
.LBB633_535:                            ;   in Loop: Header=BB633_213 Depth=1
	s_or_b64 exec, exec, s[16:17]
.LBB633_536:                            ;   in Loop: Header=BB633_213 Depth=1
	s_or_b64 exec, exec, s[14:15]
.LBB633_537:                            ;   in Loop: Header=BB633_213 Depth=1
	s_or_b64 exec, exec, s[12:13]
	v_lshrrev_b32_e32 v44, 16, v42
	v_cmp_ne_u16_sdwa s[14:15], v44, v47 src0_sel:BYTE_0 src1_sel:DWORD
	s_and_saveexec_b64 s[12:13], s[14:15]
	s_cbranch_execz .LBB633_543
; %bb.538:                              ;   in Loop: Header=BB633_213 Depth=1
	v_cmp_ne_u16_sdwa s[16:17], v44, s9 src0_sel:BYTE_0 src1_sel:DWORD
	v_bfrev_b32_e32 v59, 1
	s_and_saveexec_b64 s[14:15], s[16:17]
	s_cbranch_execz .LBB633_542
; %bb.539:                              ;   in Loop: Header=BB633_213 Depth=1
	v_bfe_u32 v46, v42, 16, 7
	v_cmp_ne_u32_e32 vcc, s19, v46
	v_mov_b32_e32 v59, 0x7f800001
	s_and_saveexec_b64 s[16:17], vcc
	s_cbranch_execz .LBB633_541
; %bb.540:                              ;   in Loop: Header=BB633_213 Depth=1
	v_and_b32_e32 v59, 7, v44
	v_ffbh_u32_e32 v62, v59
	v_min_u32_e32 v64, 32, v62
	v_subrev_u32_e32 v62, 28, v64
	v_lshlrev_b64 v[62:63], v62, v[44:45]
	v_lshrrev_b32_e32 v61, 3, v46
	v_sub_u32_e32 v63, 29, v64
	v_and_b32_e32 v62, 7, v62
	v_cmp_gt_u32_e32 vcc, 8, v46
	v_cndmask_b32_e32 v46, v61, v63, vcc
	v_cndmask_b32_e32 v59, v59, v62, vcc
	v_lshlrev_b32_e32 v44, 24, v44
	v_lshlrev_b32_e32 v59, 20, v59
	v_and_b32_e32 v44, 0x80000000, v44
	v_lshl_add_u32 v46, v46, 23, v48
	v_or3_b32 v59, v44, v46, v59
.LBB633_541:                            ;   in Loop: Header=BB633_213 Depth=1
	s_or_b64 exec, exec, s[16:17]
.LBB633_542:                            ;   in Loop: Header=BB633_213 Depth=1
	s_or_b64 exec, exec, s[14:15]
.LBB633_543:                            ;   in Loop: Header=BB633_213 Depth=1
	s_or_b64 exec, exec, s[12:13]
	v_cmp_lt_u32_e32 vcc, s20, v42
	v_mov_b32_e32 v46, 0
	v_mov_b32_e32 v61, 0
	s_and_saveexec_b64 s[12:13], vcc
	s_cbranch_execz .LBB633_549
; %bb.544:                              ;   in Loop: Header=BB633_213 Depth=1
	v_lshrrev_b32_e32 v44, 24, v42
	v_cmp_ne_u32_e32 vcc, s9, v44
	v_bfrev_b32_e32 v61, 1
	s_and_saveexec_b64 s[14:15], vcc
	s_cbranch_execz .LBB633_548
; %bb.545:                              ;   in Loop: Header=BB633_213 Depth=1
	v_bfe_u32 v42, v42, 24, 7
	v_cmp_ne_u32_e32 vcc, s19, v42
	v_mov_b32_e32 v61, 0x7f800001
	s_and_saveexec_b64 s[16:17], vcc
	s_cbranch_execz .LBB633_547
; %bb.546:                              ;   in Loop: Header=BB633_213 Depth=1
	v_and_b32_e32 v61, 7, v44
	v_ffbh_u32_e32 v62, v61
	v_min_u32_e32 v65, 32, v62
	v_subrev_u32_e32 v62, 28, v65
	v_lshlrev_b64 v[62:63], v62, v[44:45]
	v_lshrrev_b32_e32 v64, 3, v42
	v_sub_u32_e32 v63, 29, v65
	v_and_b32_e32 v62, 7, v62
	v_cmp_gt_u32_e32 vcc, 8, v42
	v_cndmask_b32_e32 v42, v64, v63, vcc
	v_cndmask_b32_e32 v61, v61, v62, vcc
	v_lshlrev_b32_e32 v44, 24, v44
	v_lshlrev_b32_e32 v61, 20, v61
	v_and_b32_e32 v44, 0x80000000, v44
	v_lshl_add_u32 v42, v42, 23, v48
	v_or3_b32 v61, v44, v42, v61
.LBB633_547:                            ;   in Loop: Header=BB633_213 Depth=1
	s_or_b64 exec, exec, s[16:17]
.LBB633_548:                            ;   in Loop: Header=BB633_213 Depth=1
	s_or_b64 exec, exec, s[14:15]
.LBB633_549:                            ;   in Loop: Header=BB633_213 Depth=1
	s_or_b64 exec, exec, s[12:13]
	v_cvt_pkrtz_f16_f32 v62, v49, v51
	v_cvt_pkrtz_f16_f32 v63, v50, v53
	;; [unrolled: 1-line block ×4, first 2 shown]
	s_waitcnt vmcnt(1)
	v_cmp_ne_u16_sdwa s[14:15], v40, v47 src0_sel:BYTE_0 src1_sel:DWORD
	v_mfma_f32_16x16x16f16 v[34:37], v[62:63], v[26:27], v[34:37]
	v_mfma_f32_16x16x16f16 v[34:37], v[50:51], v[28:29], v[34:37]
	s_and_saveexec_b64 s[12:13], s[14:15]
	s_cbranch_execz .LBB633_555
; %bb.550:                              ;   in Loop: Header=BB633_213 Depth=1
	v_cmp_ne_u16_sdwa s[16:17], v40, s9 src0_sel:BYTE_0 src1_sel:DWORD
	v_bfrev_b32_e32 v46, 1
	s_and_saveexec_b64 s[14:15], s[16:17]
	s_cbranch_execz .LBB633_554
; %bb.551:                              ;   in Loop: Header=BB633_213 Depth=1
	v_and_b32_e32 v42, 0x7f, v40
	v_cmp_ne_u32_e32 vcc, s19, v42
	v_mov_b32_e32 v46, 0x7f800001
	s_and_saveexec_b64 s[16:17], vcc
	s_cbranch_execz .LBB633_553
; %bb.552:                              ;   in Loop: Header=BB633_213 Depth=1
	v_and_b32_e32 v44, 7, v40
	v_ffbh_u32_e32 v49, v44
	v_min_u32_e32 v49, 32, v49
	v_subrev_u32_e32 v50, 28, v49
	v_lshlrev_b64 v[50:51], v50, v[40:41]
	v_lshrrev_b32_e32 v46, 3, v42
	v_sub_u32_e32 v49, 29, v49
	v_and_b32_e32 v50, 7, v50
	v_cmp_gt_u32_e32 vcc, 8, v42
	v_cndmask_b32_e32 v42, v46, v49, vcc
	v_cndmask_b32_e32 v44, v44, v50, vcc
	v_lshlrev_b32_e32 v46, 24, v40
	v_lshlrev_b32_e32 v44, 20, v44
	v_and_b32_e32 v46, 0x80000000, v46
	v_lshl_add_u32 v42, v42, 23, v48
	v_or3_b32 v46, v46, v42, v44
.LBB633_553:                            ;   in Loop: Header=BB633_213 Depth=1
	s_or_b64 exec, exec, s[16:17]
.LBB633_554:                            ;   in Loop: Header=BB633_213 Depth=1
	s_or_b64 exec, exec, s[14:15]
.LBB633_555:                            ;   in Loop: Header=BB633_213 Depth=1
	s_or_b64 exec, exec, s[12:13]
	v_lshrrev_b16_e32 v42, 8, v40
	v_cmp_ne_u16_e32 vcc, 0, v42
	v_mov_b32_e32 v44, 0
	v_mov_b32_e32 v49, 0
	s_and_saveexec_b64 s[12:13], vcc
	s_cbranch_execz .LBB633_561
; %bb.556:                              ;   in Loop: Header=BB633_213 Depth=1
	v_cmp_ne_u16_e32 vcc, s9, v42
	v_bfrev_b32_e32 v49, 1
	s_and_saveexec_b64 s[14:15], vcc
	s_cbranch_execz .LBB633_560
; %bb.557:                              ;   in Loop: Header=BB633_213 Depth=1
	v_and_b32_e32 v50, 0x7f, v42
	v_cmp_ne_u32_e32 vcc, s19, v50
	v_mov_b32_e32 v49, 0x7f800001
	s_and_saveexec_b64 s[16:17], vcc
	s_cbranch_execz .LBB633_559
; %bb.558:                              ;   in Loop: Header=BB633_213 Depth=1
	v_and_b32_e32 v49, 7, v42
	v_ffbh_u32_e32 v52, v49
	v_min_u32_e32 v59, 32, v52
	v_subrev_u32_e32 v52, 28, v59
	v_lshlrev_b64 v[52:53], v52, v[42:43]
	v_lshrrev_b32_e32 v51, 3, v50
	v_sub_u32_e32 v42, 29, v59
	v_and_b32_e32 v52, 7, v52
	v_cmp_gt_u32_e32 vcc, 8, v50
	v_cndmask_b32_e32 v42, v51, v42, vcc
	v_cndmask_b32_e32 v49, v49, v52, vcc
	v_lshlrev_b32_e32 v50, 16, v40
	v_lshlrev_b32_e32 v49, 20, v49
	v_and_b32_e32 v50, 0x80000000, v50
	v_lshl_add_u32 v42, v42, 23, v48
	v_or3_b32 v49, v50, v42, v49
.LBB633_559:                            ;   in Loop: Header=BB633_213 Depth=1
	s_or_b64 exec, exec, s[16:17]
.LBB633_560:                            ;   in Loop: Header=BB633_213 Depth=1
	s_or_b64 exec, exec, s[14:15]
.LBB633_561:                            ;   in Loop: Header=BB633_213 Depth=1
	s_or_b64 exec, exec, s[12:13]
	v_lshrrev_b32_e32 v42, 16, v40
	v_cmp_ne_u16_sdwa s[14:15], v42, v47 src0_sel:BYTE_0 src1_sel:DWORD
	s_and_saveexec_b64 s[12:13], s[14:15]
	s_cbranch_execz .LBB633_567
; %bb.562:                              ;   in Loop: Header=BB633_213 Depth=1
	v_cmp_ne_u16_sdwa s[16:17], v42, s9 src0_sel:BYTE_0 src1_sel:DWORD
	v_bfrev_b32_e32 v44, 1
	s_and_saveexec_b64 s[14:15], s[16:17]
	s_cbranch_execz .LBB633_566
; %bb.563:                              ;   in Loop: Header=BB633_213 Depth=1
	v_bfe_u32 v50, v40, 16, 7
	v_cmp_ne_u32_e32 vcc, s19, v50
	v_mov_b32_e32 v44, 0x7f800001
	s_and_saveexec_b64 s[16:17], vcc
	s_cbranch_execz .LBB633_565
; %bb.564:                              ;   in Loop: Header=BB633_213 Depth=1
	v_and_b32_e32 v44, 7, v42
	v_ffbh_u32_e32 v52, v44
	v_min_u32_e32 v59, 32, v52
	v_subrev_u32_e32 v52, 28, v59
	v_lshlrev_b64 v[52:53], v52, v[42:43]
	v_lshrrev_b32_e32 v51, 3, v50
	v_sub_u32_e32 v53, 29, v59
	v_and_b32_e32 v52, 7, v52
	v_cmp_gt_u32_e32 vcc, 8, v50
	v_cndmask_b32_e32 v50, v51, v53, vcc
	v_cndmask_b32_e32 v44, v44, v52, vcc
	v_lshlrev_b32_e32 v42, 24, v42
	v_lshlrev_b32_e32 v44, 20, v44
	v_and_b32_e32 v42, 0x80000000, v42
	v_lshl_add_u32 v50, v50, 23, v48
	v_or3_b32 v44, v42, v50, v44
.LBB633_565:                            ;   in Loop: Header=BB633_213 Depth=1
	s_or_b64 exec, exec, s[16:17]
.LBB633_566:                            ;   in Loop: Header=BB633_213 Depth=1
	s_or_b64 exec, exec, s[14:15]
.LBB633_567:                            ;   in Loop: Header=BB633_213 Depth=1
	s_or_b64 exec, exec, s[12:13]
	v_cmp_lt_u32_e32 vcc, s20, v40
	v_mov_b32_e32 v50, 0
	v_mov_b32_e32 v51, 0
	s_and_saveexec_b64 s[12:13], vcc
	s_cbranch_execz .LBB633_573
; %bb.568:                              ;   in Loop: Header=BB633_213 Depth=1
	v_lshrrev_b32_e32 v42, 24, v40
	v_cmp_ne_u32_e32 vcc, s9, v42
	v_bfrev_b32_e32 v51, 1
	s_and_saveexec_b64 s[14:15], vcc
	s_cbranch_execz .LBB633_572
; %bb.569:                              ;   in Loop: Header=BB633_213 Depth=1
	v_bfe_u32 v40, v40, 24, 7
	v_cmp_ne_u32_e32 vcc, s19, v40
	v_mov_b32_e32 v51, 0x7f800001
	s_and_saveexec_b64 s[16:17], vcc
	s_cbranch_execz .LBB633_571
; %bb.570:                              ;   in Loop: Header=BB633_213 Depth=1
	v_and_b32_e32 v51, 7, v42
	v_ffbh_u32_e32 v52, v51
	v_min_u32_e32 v60, 32, v52
	v_subrev_u32_e32 v52, 28, v60
	v_lshlrev_b64 v[52:53], v52, v[42:43]
	v_lshrrev_b32_e32 v59, 3, v40
	v_sub_u32_e32 v53, 29, v60
	v_and_b32_e32 v52, 7, v52
	v_cmp_gt_u32_e32 vcc, 8, v40
	v_cndmask_b32_e32 v40, v59, v53, vcc
	v_cndmask_b32_e32 v51, v51, v52, vcc
	v_lshlrev_b32_e32 v42, 24, v42
	v_lshlrev_b32_e32 v51, 20, v51
	v_and_b32_e32 v42, 0x80000000, v42
	v_lshl_add_u32 v40, v40, 23, v48
	v_or3_b32 v51, v42, v40, v51
.LBB633_571:                            ;   in Loop: Header=BB633_213 Depth=1
	s_or_b64 exec, exec, s[16:17]
.LBB633_572:                            ;   in Loop: Header=BB633_213 Depth=1
	s_or_b64 exec, exec, s[14:15]
.LBB633_573:                            ;   in Loop: Header=BB633_213 Depth=1
	s_or_b64 exec, exec, s[12:13]
	s_waitcnt vmcnt(0)
	v_cmp_ne_u16_sdwa s[14:15], v38, v47 src0_sel:BYTE_0 src1_sel:DWORD
	s_and_saveexec_b64 s[12:13], s[14:15]
	s_cbranch_execz .LBB633_579
; %bb.574:                              ;   in Loop: Header=BB633_213 Depth=1
	v_cmp_ne_u16_sdwa s[16:17], v38, s9 src0_sel:BYTE_0 src1_sel:DWORD
	v_bfrev_b32_e32 v50, 1
	s_and_saveexec_b64 s[14:15], s[16:17]
	s_cbranch_execz .LBB633_578
; %bb.575:                              ;   in Loop: Header=BB633_213 Depth=1
	v_and_b32_e32 v40, 0x7f, v38
	v_cmp_ne_u32_e32 vcc, s19, v40
	v_mov_b32_e32 v50, 0x7f800001
	s_and_saveexec_b64 s[16:17], vcc
	s_cbranch_execz .LBB633_577
; %bb.576:                              ;   in Loop: Header=BB633_213 Depth=1
	v_and_b32_e32 v42, 7, v38
	v_ffbh_u32_e32 v52, v42
	v_min_u32_e32 v59, 32, v52
	v_subrev_u32_e32 v52, 28, v59
	v_lshlrev_b64 v[52:53], v52, v[38:39]
	v_lshrrev_b32_e32 v50, 3, v40
	v_sub_u32_e32 v53, 29, v59
	v_and_b32_e32 v52, 7, v52
	v_cmp_gt_u32_e32 vcc, 8, v40
	v_cndmask_b32_e32 v40, v50, v53, vcc
	v_cndmask_b32_e32 v42, v42, v52, vcc
	v_lshlrev_b32_e32 v50, 24, v38
	v_lshlrev_b32_e32 v42, 20, v42
	v_and_b32_e32 v50, 0x80000000, v50
	v_lshl_add_u32 v40, v40, 23, v48
	v_or3_b32 v50, v50, v40, v42
.LBB633_577:                            ;   in Loop: Header=BB633_213 Depth=1
	s_or_b64 exec, exec, s[16:17]
.LBB633_578:                            ;   in Loop: Header=BB633_213 Depth=1
	s_or_b64 exec, exec, s[14:15]
.LBB633_579:                            ;   in Loop: Header=BB633_213 Depth=1
	s_or_b64 exec, exec, s[12:13]
	v_lshrrev_b16_e32 v40, 8, v38
	v_cmp_ne_u16_e32 vcc, 0, v40
	v_mov_b32_e32 v42, 0
	v_mov_b32_e32 v52, 0
	s_and_saveexec_b64 s[12:13], vcc
	s_cbranch_execz .LBB633_585
; %bb.580:                              ;   in Loop: Header=BB633_213 Depth=1
	v_cmp_ne_u16_e32 vcc, s9, v40
	v_bfrev_b32_e32 v52, 1
	s_and_saveexec_b64 s[14:15], vcc
	s_cbranch_execz .LBB633_584
; %bb.581:                              ;   in Loop: Header=BB633_213 Depth=1
	v_and_b32_e32 v53, 0x7f, v40
	v_cmp_ne_u32_e32 vcc, s19, v53
	v_mov_b32_e32 v52, 0x7f800001
	s_and_saveexec_b64 s[16:17], vcc
	s_cbranch_execz .LBB633_583
; %bb.582:                              ;   in Loop: Header=BB633_213 Depth=1
	v_and_b32_e32 v52, 7, v40
	v_ffbh_u32_e32 v60, v52
	v_min_u32_e32 v62, 32, v60
	v_subrev_u32_e32 v60, 28, v62
	v_lshlrev_b64 v[60:61], v60, v[40:41]
	v_lshrrev_b32_e32 v59, 3, v53
	v_sub_u32_e32 v40, 29, v62
	v_and_b32_e32 v60, 7, v60
	v_cmp_gt_u32_e32 vcc, 8, v53
	v_cndmask_b32_e32 v40, v59, v40, vcc
	v_cndmask_b32_e32 v52, v52, v60, vcc
	v_lshlrev_b32_e32 v53, 16, v38
	v_lshlrev_b32_e32 v52, 20, v52
	v_and_b32_e32 v53, 0x80000000, v53
	v_lshl_add_u32 v40, v40, 23, v48
	v_or3_b32 v52, v53, v40, v52
.LBB633_583:                            ;   in Loop: Header=BB633_213 Depth=1
	s_or_b64 exec, exec, s[16:17]
.LBB633_584:                            ;   in Loop: Header=BB633_213 Depth=1
	s_or_b64 exec, exec, s[14:15]
.LBB633_585:                            ;   in Loop: Header=BB633_213 Depth=1
	s_or_b64 exec, exec, s[12:13]
	v_lshrrev_b32_e32 v40, 16, v38
	v_cmp_ne_u16_sdwa s[14:15], v40, v47 src0_sel:BYTE_0 src1_sel:DWORD
	s_and_saveexec_b64 s[12:13], s[14:15]
	s_cbranch_execz .LBB633_591
; %bb.586:                              ;   in Loop: Header=BB633_213 Depth=1
	v_cmp_ne_u16_sdwa s[16:17], v40, s9 src0_sel:BYTE_0 src1_sel:DWORD
	v_bfrev_b32_e32 v42, 1
	s_and_saveexec_b64 s[14:15], s[16:17]
	s_cbranch_execz .LBB633_590
; %bb.587:                              ;   in Loop: Header=BB633_213 Depth=1
	v_bfe_u32 v53, v38, 16, 7
	v_cmp_ne_u32_e32 vcc, s19, v53
	v_mov_b32_e32 v42, 0x7f800001
	s_and_saveexec_b64 s[16:17], vcc
	s_cbranch_execz .LBB633_589
; %bb.588:                              ;   in Loop: Header=BB633_213 Depth=1
	v_and_b32_e32 v42, 7, v40
	v_ffbh_u32_e32 v60, v42
	v_min_u32_e32 v62, 32, v60
	v_subrev_u32_e32 v60, 28, v62
	v_lshlrev_b64 v[60:61], v60, v[40:41]
	v_lshrrev_b32_e32 v59, 3, v53
	v_sub_u32_e32 v61, 29, v62
	v_and_b32_e32 v60, 7, v60
	v_cmp_gt_u32_e32 vcc, 8, v53
	v_cndmask_b32_e32 v53, v59, v61, vcc
	v_cndmask_b32_e32 v42, v42, v60, vcc
	v_lshlrev_b32_e32 v40, 24, v40
	v_lshlrev_b32_e32 v42, 20, v42
	v_and_b32_e32 v40, 0x80000000, v40
	v_lshl_add_u32 v53, v53, 23, v48
	v_or3_b32 v42, v40, v53, v42
.LBB633_589:                            ;   in Loop: Header=BB633_213 Depth=1
	s_or_b64 exec, exec, s[16:17]
.LBB633_590:                            ;   in Loop: Header=BB633_213 Depth=1
	s_or_b64 exec, exec, s[14:15]
.LBB633_591:                            ;   in Loop: Header=BB633_213 Depth=1
	s_or_b64 exec, exec, s[12:13]
	v_cmp_lt_u32_e32 vcc, s20, v38
	v_mov_b32_e32 v53, 0
	s_and_saveexec_b64 s[12:13], vcc
	s_cbranch_execz .LBB633_212
; %bb.592:                              ;   in Loop: Header=BB633_213 Depth=1
	v_lshrrev_b32_e32 v40, 24, v38
	v_cmp_ne_u32_e32 vcc, s9, v40
	v_bfrev_b32_e32 v53, 1
	s_and_saveexec_b64 s[14:15], vcc
	s_cbranch_execz .LBB633_211
; %bb.593:                              ;   in Loop: Header=BB633_213 Depth=1
	v_bfe_u32 v38, v38, 24, 7
	v_cmp_ne_u32_e32 vcc, s19, v38
	v_mov_b32_e32 v53, 0x7f800001
	s_and_saveexec_b64 s[16:17], vcc
	s_cbranch_execz .LBB633_210
; %bb.594:                              ;   in Loop: Header=BB633_213 Depth=1
	v_and_b32_e32 v53, 7, v40
	v_ffbh_u32_e32 v60, v53
	v_min_u32_e32 v62, 32, v60
	v_subrev_u32_e32 v60, 28, v62
	v_lshlrev_b64 v[60:61], v60, v[40:41]
	v_lshrrev_b32_e32 v59, 3, v38
	v_sub_u32_e32 v61, 29, v62
	v_and_b32_e32 v60, 7, v60
	v_cmp_gt_u32_e32 vcc, 8, v38
	v_cndmask_b32_e32 v38, v59, v61, vcc
	v_cndmask_b32_e32 v53, v53, v60, vcc
	v_lshlrev_b32_e32 v40, 24, v40
	v_lshlrev_b32_e32 v53, 20, v53
	v_and_b32_e32 v40, 0x80000000, v40
	v_lshl_add_u32 v38, v38, 23, v48
	v_or3_b32 v53, v40, v38, v53
	s_branch .LBB633_210
.LBB633_595:
	s_barrier
	buffer_load_dword v2, off, s[0:3], 0 offset:320
	buffer_load_dword v5, off, s[0:3], 0 offset:332
	;; [unrolled: 1-line block ×4, first 2 shown]
	v_cmp_gt_u32_e32 vcc, 64, v0
	s_waitcnt vmcnt(0)
	ds_write2st64_b64 v43, v[2:3], v[4:5] offset1:1
	s_waitcnt lgkmcnt(0)
	s_barrier
	s_and_saveexec_b64 s[4:5], vcc
	s_cbranch_execz .LBB633_597
; %bb.596:
	s_lshl_b32 s6, s50, 7
	s_mul_i32 s4, s18, s8
	s_mul_hi_u32 s5, s4, s6
	s_mul_i32 s4, s4, s6
	s_lshl_b64 s[4:5], s[4:5], 1
	s_add_u32 s7, s48, s4
	v_lshlrev_b32_e32 v4, 6, v55
	s_addc_u32 s8, s49, s5
	s_lshl_b32 s4, s24, 7
	s_mov_b32 s5, 0
	v_lshl_or_b32 v0, v0, 10, v4
	s_lshl_b64 s[4:5], s[4:5], 1
	v_lshlrev_b32_e32 v2, 5, v1
	v_and_b32_e32 v3, 16, v56
	v_and_b32_e32 v0, 0x1a00, v0
	s_add_u32 s4, s7, s4
	v_or3_b32 v0, v0, v2, v3
	s_addc_u32 s5, s8, s5
	ds_read_b128 v[2:5], v0
	ds_read_b128 v[6:9], v0 offset:128
	ds_read_b128 v[10:13], v0 offset:256
	v_or_b32_e32 v14, s25, v1
	v_mov_b32_e32 v0, s5
	v_add_co_u32_e32 v15, vcc, s4, v54
	v_addc_co_u32_e32 v16, vcc, 0, v0, vcc
	v_mad_u64_u32 v[0:1], s[4:5], v14, s6, 0
	v_lshlrev_b64 v[0:1], 1, v[0:1]
	v_add_co_u32_e32 v0, vcc, v15, v0
	v_addc_co_u32_e32 v1, vcc, v16, v1, vcc
	s_waitcnt lgkmcnt(2)
	global_store_dwordx4 v[0:1], v[2:5], off
	v_add_u32_e32 v0, 4, v14
	v_mad_u64_u32 v[0:1], s[4:5], v0, s6, 0
	v_lshlrev_b64 v[0:1], 1, v[0:1]
	v_add_co_u32_e32 v0, vcc, v15, v0
	v_addc_co_u32_e32 v1, vcc, v16, v1, vcc
	s_waitcnt lgkmcnt(1)
	global_store_dwordx4 v[0:1], v[6:9], off
	v_add_u32_e32 v0, 8, v14
	v_mad_u64_u32 v[0:1], s[4:5], v0, s6, 0
	v_lshlrev_b64 v[0:1], 1, v[0:1]
	v_add_co_u32_e32 v0, vcc, v15, v0
	v_addc_co_u32_e32 v1, vcc, v16, v1, vcc
	s_waitcnt lgkmcnt(0)
	global_store_dwordx4 v[0:1], v[10:13], off
.LBB633_597:
	s_endpgm
	.section	.rodata,"a",@progbits
	.p2align	6, 0x0
	.amdhsa_kernel _Z39paged_attention_ll4mi_QKV_mfma16_kernelIDF16_hLN4vllm18Fp8KVCacheDataTypeE1EDF16_Li16ELi128ELi256ELb0ELi12EL8MFMAType0EEvPKT_PKT0_S8_ifPKiSA_SA_iPKfiiiPfSD_PS3_PT2_iSC_SC_
		.amdhsa_group_segment_fixed_size 8192
		.amdhsa_private_segment_fixed_size 352
		.amdhsa_kernarg_size 400
		.amdhsa_user_sgpr_count 8
		.amdhsa_user_sgpr_private_segment_buffer 1
		.amdhsa_user_sgpr_dispatch_ptr 0
		.amdhsa_user_sgpr_queue_ptr 0
		.amdhsa_user_sgpr_kernarg_segment_ptr 1
		.amdhsa_user_sgpr_dispatch_id 0
		.amdhsa_user_sgpr_flat_scratch_init 1
		.amdhsa_user_sgpr_kernarg_preload_length 0
		.amdhsa_user_sgpr_kernarg_preload_offset 0
		.amdhsa_user_sgpr_private_segment_size 0
		.amdhsa_uses_dynamic_stack 0
		.amdhsa_system_sgpr_private_segment_wavefront_offset 1
		.amdhsa_system_sgpr_workgroup_id_x 1
		.amdhsa_system_sgpr_workgroup_id_y 1
		.amdhsa_system_sgpr_workgroup_id_z 1
		.amdhsa_system_sgpr_workgroup_info 0
		.amdhsa_system_vgpr_workitem_id 0
		.amdhsa_next_free_vgpr 76
		.amdhsa_next_free_sgpr 53
		.amdhsa_accum_offset 76
		.amdhsa_reserve_vcc 1
		.amdhsa_reserve_flat_scratch 0
		.amdhsa_float_round_mode_32 0
		.amdhsa_float_round_mode_16_64 0
		.amdhsa_float_denorm_mode_32 3
		.amdhsa_float_denorm_mode_16_64 3
		.amdhsa_dx10_clamp 1
		.amdhsa_ieee_mode 1
		.amdhsa_fp16_overflow 0
		.amdhsa_tg_split 0
		.amdhsa_exception_fp_ieee_invalid_op 0
		.amdhsa_exception_fp_denorm_src 0
		.amdhsa_exception_fp_ieee_div_zero 0
		.amdhsa_exception_fp_ieee_overflow 0
		.amdhsa_exception_fp_ieee_underflow 0
		.amdhsa_exception_fp_ieee_inexact 0
		.amdhsa_exception_int_div_zero 0
	.end_amdhsa_kernel
	.section	.text._Z39paged_attention_ll4mi_QKV_mfma16_kernelIDF16_hLN4vllm18Fp8KVCacheDataTypeE1EDF16_Li16ELi128ELi256ELb0ELi12EL8MFMAType0EEvPKT_PKT0_S8_ifPKiSA_SA_iPKfiiiPfSD_PS3_PT2_iSC_SC_,"axG",@progbits,_Z39paged_attention_ll4mi_QKV_mfma16_kernelIDF16_hLN4vllm18Fp8KVCacheDataTypeE1EDF16_Li16ELi128ELi256ELb0ELi12EL8MFMAType0EEvPKT_PKT0_S8_ifPKiSA_SA_iPKfiiiPfSD_PS3_PT2_iSC_SC_,comdat
.Lfunc_end633:
	.size	_Z39paged_attention_ll4mi_QKV_mfma16_kernelIDF16_hLN4vllm18Fp8KVCacheDataTypeE1EDF16_Li16ELi128ELi256ELb0ELi12EL8MFMAType0EEvPKT_PKT0_S8_ifPKiSA_SA_iPKfiiiPfSD_PS3_PT2_iSC_SC_, .Lfunc_end633-_Z39paged_attention_ll4mi_QKV_mfma16_kernelIDF16_hLN4vllm18Fp8KVCacheDataTypeE1EDF16_Li16ELi128ELi256ELb0ELi12EL8MFMAType0EEvPKT_PKT0_S8_ifPKiSA_SA_iPKfiiiPfSD_PS3_PT2_iSC_SC_
                                        ; -- End function
	.section	.AMDGPU.csdata,"",@progbits
; Kernel info:
; codeLenInByte = 21192
; NumSgprs: 57
; NumVgprs: 76
; NumAgprs: 0
; TotalNumVgprs: 76
; ScratchSize: 352
; MemoryBound: 0
; FloatMode: 240
; IeeeMode: 1
; LDSByteSize: 8192 bytes/workgroup (compile time only)
; SGPRBlocks: 7
; VGPRBlocks: 9
; NumSGPRsForWavesPerEU: 57
; NumVGPRsForWavesPerEU: 76
; AccumOffset: 76
; Occupancy: 6
; WaveLimiterHint : 1
; COMPUTE_PGM_RSRC2:SCRATCH_EN: 1
; COMPUTE_PGM_RSRC2:USER_SGPR: 8
; COMPUTE_PGM_RSRC2:TRAP_HANDLER: 0
; COMPUTE_PGM_RSRC2:TGID_X_EN: 1
; COMPUTE_PGM_RSRC2:TGID_Y_EN: 1
; COMPUTE_PGM_RSRC2:TGID_Z_EN: 1
; COMPUTE_PGM_RSRC2:TIDIG_COMP_CNT: 0
; COMPUTE_PGM_RSRC3_GFX90A:ACCUM_OFFSET: 18
; COMPUTE_PGM_RSRC3_GFX90A:TG_SPLIT: 0
	.section	.text._Z39paged_attention_ll4mi_QKV_mfma16_kernelIDF16_hLN4vllm18Fp8KVCacheDataTypeE1EDF16_Li16ELi128ELi256ELb0ELi13EL8MFMAType0EEvPKT_PKT0_S8_ifPKiSA_SA_iPKfiiiPfSD_PS3_PT2_iSC_SC_,"axG",@progbits,_Z39paged_attention_ll4mi_QKV_mfma16_kernelIDF16_hLN4vllm18Fp8KVCacheDataTypeE1EDF16_Li16ELi128ELi256ELb0ELi13EL8MFMAType0EEvPKT_PKT0_S8_ifPKiSA_SA_iPKfiiiPfSD_PS3_PT2_iSC_SC_,comdat
	.protected	_Z39paged_attention_ll4mi_QKV_mfma16_kernelIDF16_hLN4vllm18Fp8KVCacheDataTypeE1EDF16_Li16ELi128ELi256ELb0ELi13EL8MFMAType0EEvPKT_PKT0_S8_ifPKiSA_SA_iPKfiiiPfSD_PS3_PT2_iSC_SC_ ; -- Begin function _Z39paged_attention_ll4mi_QKV_mfma16_kernelIDF16_hLN4vllm18Fp8KVCacheDataTypeE1EDF16_Li16ELi128ELi256ELb0ELi13EL8MFMAType0EEvPKT_PKT0_S8_ifPKiSA_SA_iPKfiiiPfSD_PS3_PT2_iSC_SC_
	.globl	_Z39paged_attention_ll4mi_QKV_mfma16_kernelIDF16_hLN4vllm18Fp8KVCacheDataTypeE1EDF16_Li16ELi128ELi256ELb0ELi13EL8MFMAType0EEvPKT_PKT0_S8_ifPKiSA_SA_iPKfiiiPfSD_PS3_PT2_iSC_SC_
	.p2align	8
	.type	_Z39paged_attention_ll4mi_QKV_mfma16_kernelIDF16_hLN4vllm18Fp8KVCacheDataTypeE1EDF16_Li16ELi128ELi256ELb0ELi13EL8MFMAType0EEvPKT_PKT0_S8_ifPKiSA_SA_iPKfiiiPfSD_PS3_PT2_iSC_SC_,@function
_Z39paged_attention_ll4mi_QKV_mfma16_kernelIDF16_hLN4vllm18Fp8KVCacheDataTypeE1EDF16_Li16ELi128ELi256ELb0ELi13EL8MFMAType0EEvPKT_PKT0_S8_ifPKiSA_SA_iPKfiiiPfSD_PS3_PT2_iSC_SC_: ; @_Z39paged_attention_ll4mi_QKV_mfma16_kernelIDF16_hLN4vllm18Fp8KVCacheDataTypeE1EDF16_Li16ELi128ELi256ELb0ELi13EL8MFMAType0EEvPKT_PKT0_S8_ifPKiSA_SA_iPKfiiiPfSD_PS3_PT2_iSC_SC_
; %bb.0:
	s_load_dwordx2 s[6:7], s[4:5], 0x30
	s_add_u32 s0, s0, s11
	s_addc_u32 s1, s1, 0
	s_mov_b32 s24, s9
	s_mov_b64 s[12:13], 0
	s_waitcnt lgkmcnt(0)
	s_cmp_lg_u64 s[6:7], 0
	s_cselect_b64 s[16:17], -1, 0
	s_and_b64 vcc, exec, s[16:17]
	s_cbranch_vccz .LBB634_7
; %bb.1:
	s_add_i32 s14, s8, 1
	s_mov_b32 s15, 0
	s_lshl_b64 s[18:19], s[14:15], 2
	s_add_u32 s18, s6, s18
	s_mov_b32 s9, s15
	s_addc_u32 s19, s7, s19
	s_lshl_b64 s[14:15], s[8:9], 2
	s_add_u32 s14, s6, s14
	s_addc_u32 s15, s7, s15
	s_load_dword s11, s[18:19], 0x0
	s_load_dword s20, s[14:15], 0x0
	s_waitcnt lgkmcnt(0)
	s_sub_i32 s11, s11, s20
	s_cmp_eq_u32 s11, 1
	s_cselect_b64 s[14:15], -1, 0
	s_andn2_b64 vcc, exec, s[12:13]
	s_cbranch_vccnz .LBB634_3
.LBB634_2:
	s_mov_b32 s9, 0
	s_mov_b64 s[14:15], -1
.LBB634_3:
	s_andn2_b64 vcc, exec, s[14:15]
	s_cbranch_vccnz .LBB634_598
; %bb.4:
	s_load_dwordx2 s[12:13], s[4:5], 0x28
	s_lshl_b64 s[18:19], s[8:9], 2
	s_waitcnt lgkmcnt(0)
	s_add_u32 s12, s12, s18
	s_addc_u32 s13, s13, s19
	s_load_dword s33, s[12:13], 0x0
	s_lshl_b32 s20, s24, 8
	s_waitcnt lgkmcnt(0)
	s_cmp_ge_i32 s20, s33
	s_cbranch_scc1 .LBB634_598
; %bb.5:
	s_add_i32 s14, s33, 15
	s_load_dwordx2 s[12:13], s[4:5], 0x20
	s_load_dword s11, s[4:5], 0x38
	s_ashr_i32 s15, s14, 31
	v_and_b32_e32 v1, 0xcf, v0
	s_lshr_b32 s15, s15, 28
	v_add_u32_e32 v1, s20, v1
	s_add_i32 s14, s14, s15
	v_ashrrev_i32_e32 v2, 31, v1
	s_ashr_i32 s22, s14, 4
	v_lshrrev_b32_e32 v6, 28, v2
	s_add_i32 s22, s22, -1
	v_add_u32_e32 v2, v1, v6
	s_waitcnt lgkmcnt(0)
	s_mul_i32 s14, s8, s11
	s_mov_b32 s15, 0
	v_ashrrev_i32_e32 v2, 4, v2
	v_mov_b32_e32 v7, s22
	v_cmp_gt_i32_e32 vcc, s33, v1
	s_lshl_b64 s[14:15], s[14:15], 2
	v_cndmask_b32_e32 v2, v7, v2, vcc
	s_add_u32 s11, s12, s14
	v_ashrrev_i32_e32 v3, 31, v2
	s_addc_u32 s21, s13, s15
	v_lshlrev_b64 v[2:3], 2, v[2:3]
	v_mov_b32_e32 v5, s21
	v_add_co_u32_e32 v4, vcc, s11, v2
	v_or_b32_e32 v2, 16, v1
	v_addc_co_u32_e32 v5, vcc, v5, v3, vcc
	v_add_u32_e32 v3, v2, v6
	v_ashrrev_i32_e32 v3, 4, v3
	v_cmp_gt_i32_e32 vcc, s33, v2
	v_cndmask_b32_e32 v2, v7, v3, vcc
	v_ashrrev_i32_e32 v3, 31, v2
	v_lshlrev_b64 v[2:3], 2, v[2:3]
	v_mov_b32_e32 v9, s21
	v_add_co_u32_e32 v8, vcc, s11, v2
	v_or_b32_e32 v2, 32, v1
	v_addc_co_u32_e32 v9, vcc, v9, v3, vcc
	v_add_u32_e32 v3, v2, v6
	v_ashrrev_i32_e32 v3, 4, v3
	v_cmp_gt_i32_e32 vcc, s33, v2
	v_cndmask_b32_e32 v2, v7, v3, vcc
	v_ashrrev_i32_e32 v3, 31, v2
	;; [unrolled: 10-line block ×3, first 2 shown]
	v_lshlrev_b64 v[2:3], 2, v[2:3]
	v_mov_b32_e32 v1, s21
	v_add_co_u32_e32 v12, vcc, s11, v2
	v_addc_co_u32_e32 v13, vcc, v1, v3, vcc
	global_load_dword v3, v[4:5], off
	global_load_dword v2, v[8:9], off
	;; [unrolled: 1-line block ×4, first 2 shown]
	s_load_dwordx4 s[12:15], s[4:5], 0x8
	s_andn2_b64 vcc, exec, s[16:17]
	s_cbranch_vccnz .LBB634_8
; %bb.6:
	s_add_u32 s6, s6, s18
	s_addc_u32 s7, s7, s19
	s_load_dword s16, s[6:7], 0x0
	s_branch .LBB634_9
.LBB634_7:
	s_mov_b64 s[14:15], 0
	s_branch .LBB634_2
.LBB634_8:
	s_mov_b32 s16, s8
.LBB634_9:
	s_load_dwordx2 s[48:49], s[4:5], 0x68
	s_load_dwordx8 s[40:47], s[4:5], 0x48
	v_lshrrev_b32_e32 v62, 6, v0
	v_bfe_u32 v1, v0, 4, 2
	v_and_b32_e32 v55, 15, v0
	v_lshl_or_b32 v4, v62, 2, v1
	v_lshlrev_b32_e32 v5, 3, v55
	s_mul_i32 s25, s10, 13
	v_cmp_gt_u32_e32 vcc, 13, v4
	v_lshlrev_b32_e32 v54, 1, v5
	v_lshlrev_b32_e32 v56, 4, v0
	s_and_saveexec_b64 s[6:7], vcc
	s_cbranch_execz .LBB634_11
; %bb.10:
	s_load_dwordx2 s[18:19], s[4:5], 0x0
	s_waitcnt lgkmcnt(0)
	s_ashr_i32 s17, s40, 31
	s_mul_hi_u32 s23, s16, s40
	s_mul_i32 s17, s16, s17
	s_add_i32 s17, s23, s17
	s_mul_i32 s16, s16, s40
	s_lshl_b64 s[16:17], s[16:17], 1
	v_add_lshl_u32 v8, v4, s25, 7
	s_add_u32 s16, s18, s16
	v_ashrrev_i32_e32 v9, 31, v8
	s_addc_u32 s17, s19, s17
	v_lshlrev_b64 v[8:9], 1, v[8:9]
	v_mov_b32_e32 v5, s17
	v_add_co_u32_e32 v7, vcc, s16, v8
	v_addc_co_u32_e32 v5, vcc, v5, v9, vcc
	v_add_co_u32_e32 v8, vcc, v7, v54
	v_addc_co_u32_e32 v9, vcc, 0, v5, vcc
	global_load_dwordx4 v[8:11], v[8:9], off
	v_lshlrev_b32_e32 v7, 8, v0
	v_lshlrev_b32_e32 v5, 8, v55
	v_and_b32_e32 v7, 0x600, v7
	s_movk_i32 s16, 0x800
	v_and_or_b32 v5, v5, s16, v7
	v_lshlrev_b32_e32 v4, 5, v4
	v_and_b32_e32 v7, 16, v56
	v_or3_b32 v4, v5, v4, v7
	s_waitcnt vmcnt(0)
	ds_write_b128 v4, v[8:11]
.LBB634_11:
	s_or_b64 exec, exec, s[6:7]
	v_and_b32_e32 v7, 48, v0
	v_or_b32_e32 v14, s20, v7
	v_ashrrev_i32_e32 v4, 4, v14
	v_mov_b32_e32 v15, s22
	v_cmp_gt_i32_e32 vcc, s33, v14
	v_cndmask_b32_e32 v4, v15, v4, vcc
	v_ashrrev_i32_e32 v5, 31, v4
	v_lshlrev_b64 v[4:5], 2, v[4:5]
	v_mov_b32_e32 v8, s21
	v_add_co_u32_e32 v4, vcc, s11, v4
	v_addc_co_u32_e32 v5, vcc, v8, v5, vcc
	v_or_b32_e32 v8, 64, v14
	v_ashrrev_i32_e32 v9, 4, v8
	v_cmp_gt_i32_e32 vcc, s33, v8
	v_cndmask_b32_e32 v8, v15, v9, vcc
	v_ashrrev_i32_e32 v9, 31, v8
	v_lshlrev_b64 v[8:9], 2, v[8:9]
	v_mov_b32_e32 v10, s21
	v_add_co_u32_e32 v8, vcc, s11, v8
	v_addc_co_u32_e32 v9, vcc, v10, v9, vcc
	v_or_b32_e32 v10, 0x80, v14
	v_ashrrev_i32_e32 v11, 4, v10
	v_cmp_gt_i32_e32 vcc, s33, v10
	v_cndmask_b32_e32 v10, v15, v11, vcc
	v_ashrrev_i32_e32 v11, 31, v10
	v_lshlrev_b64 v[10:11], 2, v[10:11]
	v_mov_b32_e32 v16, s21
	v_add_co_u32_e32 v10, vcc, s11, v10
	s_load_dwordx2 s[50:51], s[4:5], 0x94
	s_waitcnt lgkmcnt(0)
	s_barrier
	v_addc_co_u32_e32 v11, vcc, v16, v11, vcc
	global_load_dword v50, v[4:5], off
	global_load_dword v57, v[8:9], off
	;; [unrolled: 1-line block ×3, first 2 shown]
	v_or_b32_e32 v4, 0xc0, v14
	v_ashrrev_i32_e32 v5, 4, v4
	v_cmp_gt_i32_e32 vcc, s33, v4
	v_cndmask_b32_e32 v4, v15, v5, vcc
	v_ashrrev_i32_e32 v5, 31, v4
	v_lshlrev_b64 v[4:5], 2, v[4:5]
	v_mov_b32_e32 v8, s21
	v_add_co_u32_e32 v4, vcc, s11, v4
	v_addc_co_u32_e32 v5, vcc, v8, v5, vcc
	s_mul_i32 s10, s10, s42
	global_load_dword v72, v[4:5], off
	s_add_u32 s6, s12, s10
	s_addc_u32 s7, s13, 0
	v_and_b32_e32 v12, 0xf0, v56
	v_mov_b32_e32 v13, s7
	v_add_co_u32_e32 v20, vcc, s6, v12
	v_addc_co_u32_e32 v21, vcc, 0, v13, vcc
	v_lshlrev_b32_e32 v28, 4, v7
	s_waitcnt vmcnt(7)
	v_mad_i64_i32 v[4:5], s[6:7], v3, s41, v[20:21]
	v_add_co_u32_e32 v4, vcc, v4, v28
	v_addc_co_u32_e32 v5, vcc, 0, v5, vcc
	global_load_dwordx4 v[38:41], v[4:5], off
	global_load_dwordx4 v[10:13], v[4:5], off offset:1024
	s_waitcnt vmcnt(8)
	v_mad_i64_i32 v[2:3], s[6:7], v2, s41, v[20:21]
	v_add_co_u32_e32 v8, vcc, v2, v28
	v_addc_co_u32_e32 v9, vcc, 0, v3, vcc
	s_waitcnt vmcnt(7)
	v_mad_i64_i32 v[6:7], s[6:7], v6, s41, v[20:21]
	v_add_co_u32_e32 v26, vcc, v6, v28
	v_addc_co_u32_e32 v27, vcc, 0, v7, vcc
	s_waitcnt vmcnt(6)
	v_mad_i64_i32 v[18:19], s[6:7], v18, s41, v[20:21]
	v_add_co_u32_e32 v30, vcc, v18, v28
	s_add_u32 s10, s14, s10
	v_lshl_or_b32 v63, v62, 4, v55
	global_load_dwordx4 v[14:17], v[8:9], off
	global_load_dwordx4 v[2:5], v[8:9], off offset:1024
	v_addc_co_u32_e32 v31, vcc, 0, v19, vcc
	s_addc_u32 s11, s15, 0
	v_lshlrev_b32_e32 v51, 4, v63
	global_load_dwordx4 v[6:9], v[26:27], off
	global_load_dwordx4 v[22:25], v[26:27], off offset:1024
	s_nop 0
	global_load_dwordx4 v[26:29], v[30:31], off
	global_load_dwordx4 v[18:21], v[30:31], off offset:1024
	v_mov_b32_e32 v30, s11
	v_add_co_u32_e32 v42, vcc, s10, v51
	v_addc_co_u32_e32 v43, vcc, 0, v30, vcc
	v_or_b32_e32 v51, 0x400, v51
	v_mov_b32_e32 v52, s11
	v_add_co_u32_e32 v58, vcc, s10, v51
	v_addc_co_u32_e32 v59, vcc, 0, v52, vcc
	v_cmp_gt_u32_e32 vcc, 13, v55
	s_mov_b32 s12, 0
	s_movk_i32 s13, 0x80
	s_movk_i32 s14, 0x7f
	s_mov_b32 s15, 0xffffff
	s_waitcnt vmcnt(11)
	v_mad_i64_i32 v[30:31], s[6:7], v50, s41, v[42:43]
	s_waitcnt vmcnt(10)
	v_mad_i64_i32 v[32:33], s[6:7], v57, s41, v[42:43]
	;; [unrolled: 2-line block ×3, first 2 shown]
	global_load_dwordx4 v[34:37], v[30:31], off
	s_nop 0
	global_load_dwordx4 v[30:33], v[32:33], off
	v_mad_i64_i32 v[50:51], s[6:7], v50, s41, v[58:59]
	v_mad_i64_i32 v[60:61], s[6:7], v57, s41, v[58:59]
	s_waitcnt vmcnt(10)
	v_mad_i64_i32 v[42:43], s[6:7], v72, s41, v[42:43]
	global_load_dwordx4 v[46:49], v[44:45], off
	s_nop 0
	global_load_dwordx4 v[42:45], v[42:43], off
	s_nop 0
	global_load_dwordx4 v[50:53], v[50:51], off
	s_nop 0
	global_load_dwordx4 v[64:67], v[60:61], off
	s_waitcnt vmcnt(13)
	buffer_store_dword v41, off, s[0:3], 0 offset:12
	buffer_store_dword v40, off, s[0:3], 0 offset:8
	v_mad_i64_i32 v[40:41], s[6:7], v68, s41, v[58:59]
	global_load_dwordx4 v[68:71], v[40:41], off
	v_mad_i64_i32 v[40:41], s[6:7], v72, s41, v[58:59]
	global_load_dwordx4 v[72:75], v[40:41], off
	s_nop 0
	buffer_store_dword v39, off, s[0:3], 0 offset:4
	buffer_store_dword v38, off, s[0:3], 0
	s_waitcnt vmcnt(18)
	buffer_store_dword v13, off, s[0:3], 0 offset:28
	buffer_store_dword v12, off, s[0:3], 0 offset:24
	;; [unrolled: 1-line block ×4, first 2 shown]
	s_waitcnt vmcnt(21)
	buffer_store_dword v17, off, s[0:3], 0 offset:44
	buffer_store_dword v16, off, s[0:3], 0 offset:40
	;; [unrolled: 1-line block ×4, first 2 shown]
	s_load_dword s6, s[4:5], 0x1c
	s_load_dwordx4 s[40:43], s[4:5], 0x80
	s_waitcnt vmcnt(24)
	buffer_store_dword v5, off, s[0:3], 0 offset:60
	buffer_store_dword v4, off, s[0:3], 0 offset:56
	;; [unrolled: 1-line block ×4, first 2 shown]
	v_add_u32_e32 v2, -13, v55
	v_cndmask_b32_e32 v2, v2, v55, vcc
	v_lshlrev_b32_e32 v2, 5, v2
	v_mov_b32_e32 v10, 0x80
	s_waitcnt vmcnt(27)
	buffer_store_dword v9, off, s[0:3], 0 offset:76
	buffer_store_dword v8, off, s[0:3], 0 offset:72
	;; [unrolled: 1-line block ×4, first 2 shown]
	v_lshl_add_u32 v14, v1, 9, v2
	v_add_u32_e32 v39, 16, v10
	v_add_u32_e32 v61, 32, v10
	;; [unrolled: 1-line block ×7, first 2 shown]
	ds_read_b128 v[2:5], v14
	ds_read_b128 v[6:9], v14 offset:16
	ds_read_b128 v[10:13], v14 offset:2048
	;; [unrolled: 1-line block ×3, first 2 shown]
	s_waitcnt vmcnt(30)
	buffer_store_dword v25, off, s[0:3], 0 offset:92
	buffer_store_dword v24, off, s[0:3], 0 offset:88
	buffer_store_dword v23, off, s[0:3], 0 offset:84
	buffer_store_dword v22, off, s[0:3], 0 offset:80
	s_waitcnt vmcnt(33)
	buffer_store_dword v29, off, s[0:3], 0 offset:108
	buffer_store_dword v28, off, s[0:3], 0 offset:104
	buffer_store_dword v27, off, s[0:3], 0 offset:100
	buffer_store_dword v26, off, s[0:3], 0 offset:96
	;; [unrolled: 5-line block ×3, first 2 shown]
	s_waitcnt lgkmcnt(0)
	v_mov_b32_e32 v18, s6
	v_and_b32_e32 v38, 63, v0
	v_mov_b32_e32 v27, 0
	s_waitcnt vmcnt(39)
	buffer_store_dword v37, off, s[0:3], 0 offset:140
	buffer_store_dword v36, off, s[0:3], 0 offset:136
	buffer_store_dword v35, off, s[0:3], 0 offset:132
	buffer_store_dword v34, off, s[0:3], 0 offset:128
	s_waitcnt vmcnt(42)
	buffer_store_dword v33, off, s[0:3], 0 offset:172
	buffer_store_dword v32, off, s[0:3], 0 offset:168
	buffer_store_dword v31, off, s[0:3], 0 offset:164
	buffer_store_dword v30, off, s[0:3], 0 offset:160
	;; [unrolled: 5-line block ×7, first 2 shown]
	s_waitcnt vmcnt(58)
	buffer_store_dword v75, off, s[0:3], 0 offset:252
	s_load_dword s4, s[40:41], 0x0
	v_mov_b32_e32 v29, 0
	v_mov_b32_e32 v31, 0x100
	v_bfrev_b32_e32 v33, 60
	buffer_store_dword v74, off, s[0:3], 0 offset:248
	buffer_store_dword v73, off, s[0:3], 0 offset:244
	;; [unrolled: 1-line block ×3, first 2 shown]
	s_waitcnt lgkmcnt(0)
	v_mul_f32_e32 v22, s4, v18
	v_mov_b32_e32 v24, v22
	v_mov_b32_e32 v25, v22
	s_branch .LBB634_15
.LBB634_12:                             ;   in Loop: Header=BB634_15 Depth=1
	s_or_b64 exec, exec, s[10:11]
.LBB634_13:                             ;   in Loop: Header=BB634_15 Depth=1
	s_or_b64 exec, exec, s[6:7]
.LBB634_14:                             ;   in Loop: Header=BB634_15 Depth=1
	s_or_b64 exec, exec, s[4:5]
	v_cvt_pkrtz_f16_f32 v42, v34, v32
	v_cvt_pkrtz_f16_f32 v43, v23, v36
	;; [unrolled: 1-line block ×4, first 2 shown]
	v_add_u32_e32 v26, s12, v31
	v_mfma_f32_16x16x16f16 v[18:21], v[42:43], v[14:15], v[18:21]
	s_add_i32 s12, s12, 16
	v_mov_b32_e32 v23, v22
	s_cmp_eq_u32 s12, 64
	v_add_u32_e32 v27, 32, v27
	v_mfma_f32_16x16x16f16 v[18:21], v[34:35], v[16:17], v[18:21]
	s_nop 7
	s_nop 2
	v_pk_mul_f32 v[18:19], v[24:25], v[18:19]
	v_pk_mul_f32 v[20:21], v[22:23], v[20:21]
	buffer_store_dword v19, v26, s[0:3], 0 offen offset:4
	buffer_store_dword v18, v26, s[0:3], 0 offen
	buffer_store_dword v21, v26, s[0:3], 0 offen offset:12
	buffer_store_dword v20, v26, s[0:3], 0 offen offset:8
	s_cbranch_scc1 .LBB634_205
.LBB634_15:                             ; =>This Inner Loop Header: Depth=1
	buffer_load_dword v20, v27, s[0:3], 0 offen
	buffer_load_dword v18, v27, s[0:3], 0 offen offset:4
	buffer_load_dword v28, v27, s[0:3], 0 offen offset:8
	;; [unrolled: 1-line block ×3, first 2 shown]
	v_mov_b32_e32 v19, 0
	s_waitcnt vmcnt(3)
	v_cmp_ne_u16_sdwa s[6:7], v20, v29 src0_sel:BYTE_0 src1_sel:DWORD
	s_and_saveexec_b64 s[4:5], s[6:7]
	s_cbranch_execz .LBB634_21
; %bb.16:                               ;   in Loop: Header=BB634_15 Depth=1
	v_cmp_ne_u16_sdwa s[10:11], v20, s13 src0_sel:BYTE_0 src1_sel:DWORD
	v_bfrev_b32_e32 v19, 1
	s_and_saveexec_b64 s[6:7], s[10:11]
	s_cbranch_execz .LBB634_20
; %bb.17:                               ;   in Loop: Header=BB634_15 Depth=1
	v_and_b32_e32 v21, 0x7f, v20
	v_cmp_ne_u32_e32 vcc, s14, v21
	v_mov_b32_e32 v19, 0x7f800001
	s_and_saveexec_b64 s[10:11], vcc
	s_cbranch_execz .LBB634_19
; %bb.18:                               ;   in Loop: Header=BB634_15 Depth=1
	v_and_b32_e32 v19, 7, v20
	v_ffbh_u32_e32 v30, v19
	v_min_u32_e32 v30, 32, v30
	v_subrev_u32_e32 v32, 28, v30
	v_lshlrev_b64 v[34:35], v32, v[20:21]
	v_lshrrev_b32_e32 v23, 3, v21
	v_sub_u32_e32 v30, 29, v30
	v_and_b32_e32 v32, 7, v34
	v_cmp_gt_u32_e32 vcc, 8, v21
	v_cndmask_b32_e32 v21, v23, v30, vcc
	v_cndmask_b32_e32 v19, v19, v32, vcc
	v_lshlrev_b32_e32 v23, 24, v20
	v_lshlrev_b32_e32 v19, 20, v19
	v_and_b32_e32 v23, 0x80000000, v23
	v_lshl_add_u32 v21, v21, 23, v33
	v_or3_b32 v19, v23, v21, v19
.LBB634_19:                             ;   in Loop: Header=BB634_15 Depth=1
	s_or_b64 exec, exec, s[10:11]
.LBB634_20:                             ;   in Loop: Header=BB634_15 Depth=1
	s_or_b64 exec, exec, s[6:7]
.LBB634_21:                             ;   in Loop: Header=BB634_15 Depth=1
	s_or_b64 exec, exec, s[4:5]
	v_lshrrev_b16_e32 v30, 8, v20
	v_cmp_ne_u16_e32 vcc, 0, v30
	v_mov_b32_e32 v21, 0
	v_mov_b32_e32 v23, 0
	s_and_saveexec_b64 s[4:5], vcc
	s_cbranch_execz .LBB634_27
; %bb.22:                               ;   in Loop: Header=BB634_15 Depth=1
	v_cmp_ne_u16_e32 vcc, s13, v30
	v_bfrev_b32_e32 v23, 1
	s_and_saveexec_b64 s[6:7], vcc
	s_cbranch_execz .LBB634_26
; %bb.23:                               ;   in Loop: Header=BB634_15 Depth=1
	v_and_b32_e32 v32, 0x7f, v30
	v_cmp_ne_u32_e32 vcc, s14, v32
	v_mov_b32_e32 v23, 0x7f800001
	s_and_saveexec_b64 s[10:11], vcc
	s_cbranch_execz .LBB634_25
; %bb.24:                               ;   in Loop: Header=BB634_15 Depth=1
	v_and_b32_e32 v23, 7, v30
	v_ffbh_u32_e32 v34, v23
	v_min_u32_e32 v37, 32, v34
	v_subrev_u32_e32 v34, 28, v37
	v_lshlrev_b64 v[34:35], v34, v[30:31]
	v_lshrrev_b32_e32 v36, 3, v32
	v_sub_u32_e32 v30, 29, v37
	v_and_b32_e32 v34, 7, v34
	v_cmp_gt_u32_e32 vcc, 8, v32
	v_cndmask_b32_e32 v30, v36, v30, vcc
	v_cndmask_b32_e32 v23, v23, v34, vcc
	v_lshlrev_b32_e32 v32, 16, v20
	v_lshlrev_b32_e32 v23, 20, v23
	v_and_b32_e32 v32, 0x80000000, v32
	v_lshl_add_u32 v30, v30, 23, v33
	v_or3_b32 v23, v32, v30, v23
.LBB634_25:                             ;   in Loop: Header=BB634_15 Depth=1
	s_or_b64 exec, exec, s[10:11]
.LBB634_26:                             ;   in Loop: Header=BB634_15 Depth=1
	s_or_b64 exec, exec, s[6:7]
.LBB634_27:                             ;   in Loop: Header=BB634_15 Depth=1
	s_or_b64 exec, exec, s[4:5]
	v_lshrrev_b32_e32 v30, 16, v20
	v_cmp_ne_u16_sdwa s[6:7], v30, v29 src0_sel:BYTE_0 src1_sel:DWORD
	s_and_saveexec_b64 s[4:5], s[6:7]
	s_cbranch_execz .LBB634_33
; %bb.28:                               ;   in Loop: Header=BB634_15 Depth=1
	v_cmp_ne_u16_sdwa s[10:11], v30, s13 src0_sel:BYTE_0 src1_sel:DWORD
	v_bfrev_b32_e32 v21, 1
	s_and_saveexec_b64 s[6:7], s[10:11]
	s_cbranch_execz .LBB634_32
; %bb.29:                               ;   in Loop: Header=BB634_15 Depth=1
	v_bfe_u32 v32, v20, 16, 7
	v_cmp_ne_u32_e32 vcc, s14, v32
	v_mov_b32_e32 v21, 0x7f800001
	s_and_saveexec_b64 s[10:11], vcc
	s_cbranch_execz .LBB634_31
; %bb.30:                               ;   in Loop: Header=BB634_15 Depth=1
	v_and_b32_e32 v21, 7, v30
	v_ffbh_u32_e32 v34, v21
	v_min_u32_e32 v37, 32, v34
	v_subrev_u32_e32 v34, 28, v37
	v_lshlrev_b64 v[34:35], v34, v[30:31]
	v_lshrrev_b32_e32 v36, 3, v32
	v_sub_u32_e32 v35, 29, v37
	v_and_b32_e32 v34, 7, v34
	v_cmp_gt_u32_e32 vcc, 8, v32
	v_cndmask_b32_e32 v32, v36, v35, vcc
	v_cndmask_b32_e32 v21, v21, v34, vcc
	v_lshlrev_b32_e32 v30, 24, v30
	v_lshlrev_b32_e32 v21, 20, v21
	v_and_b32_e32 v30, 0x80000000, v30
	v_lshl_add_u32 v32, v32, 23, v33
	v_or3_b32 v21, v30, v32, v21
.LBB634_31:                             ;   in Loop: Header=BB634_15 Depth=1
	s_or_b64 exec, exec, s[10:11]
.LBB634_32:                             ;   in Loop: Header=BB634_15 Depth=1
	s_or_b64 exec, exec, s[6:7]
.LBB634_33:                             ;   in Loop: Header=BB634_15 Depth=1
	s_or_b64 exec, exec, s[4:5]
	v_cmp_lt_u32_e32 vcc, s15, v20
	v_mov_b32_e32 v34, 0
	v_mov_b32_e32 v35, 0
	s_and_saveexec_b64 s[4:5], vcc
	s_cbranch_execz .LBB634_39
; %bb.34:                               ;   in Loop: Header=BB634_15 Depth=1
	v_lshrrev_b32_e32 v30, 24, v20
	v_cmp_ne_u32_e32 vcc, s13, v30
	v_bfrev_b32_e32 v35, 1
	s_and_saveexec_b64 s[6:7], vcc
	s_cbranch_execz .LBB634_38
; %bb.35:                               ;   in Loop: Header=BB634_15 Depth=1
	v_bfe_u32 v20, v20, 24, 7
	v_cmp_ne_u32_e32 vcc, s14, v20
	v_mov_b32_e32 v35, 0x7f800001
	s_and_saveexec_b64 s[10:11], vcc
	s_cbranch_execz .LBB634_37
; %bb.36:                               ;   in Loop: Header=BB634_15 Depth=1
	v_and_b32_e32 v32, 7, v30
	v_ffbh_u32_e32 v36, v32
	v_min_u32_e32 v40, 32, v36
	v_subrev_u32_e32 v36, 28, v40
	v_lshlrev_b64 v[36:37], v36, v[30:31]
	v_lshrrev_b32_e32 v35, 3, v20
	v_sub_u32_e32 v37, 29, v40
	v_and_b32_e32 v36, 7, v36
	v_cmp_gt_u32_e32 vcc, 8, v20
	v_cndmask_b32_e32 v20, v35, v37, vcc
	v_cndmask_b32_e32 v32, v32, v36, vcc
	v_lshlrev_b32_e32 v30, 24, v30
	v_lshlrev_b32_e32 v32, 20, v32
	v_and_b32_e32 v30, 0x80000000, v30
	v_lshl_add_u32 v20, v20, 23, v33
	v_or3_b32 v35, v30, v20, v32
.LBB634_37:                             ;   in Loop: Header=BB634_15 Depth=1
	s_or_b64 exec, exec, s[10:11]
.LBB634_38:                             ;   in Loop: Header=BB634_15 Depth=1
	s_or_b64 exec, exec, s[6:7]
.LBB634_39:                             ;   in Loop: Header=BB634_15 Depth=1
	s_or_b64 exec, exec, s[4:5]
	s_waitcnt vmcnt(2)
	v_cmp_ne_u16_sdwa s[6:7], v18, v29 src0_sel:BYTE_0 src1_sel:DWORD
	s_and_saveexec_b64 s[4:5], s[6:7]
	s_cbranch_execz .LBB634_45
; %bb.40:                               ;   in Loop: Header=BB634_15 Depth=1
	v_cmp_ne_u16_sdwa s[10:11], v18, s13 src0_sel:BYTE_0 src1_sel:DWORD
	v_bfrev_b32_e32 v34, 1
	s_and_saveexec_b64 s[6:7], s[10:11]
	s_cbranch_execz .LBB634_44
; %bb.41:                               ;   in Loop: Header=BB634_15 Depth=1
	v_and_b32_e32 v20, 0x7f, v18
	v_cmp_ne_u32_e32 vcc, s14, v20
	v_mov_b32_e32 v34, 0x7f800001
	s_and_saveexec_b64 s[10:11], vcc
	s_cbranch_execz .LBB634_43
; %bb.42:                               ;   in Loop: Header=BB634_15 Depth=1
	v_and_b32_e32 v30, 7, v18
	v_ffbh_u32_e32 v34, v30
	v_min_u32_e32 v34, 32, v34
	v_subrev_u32_e32 v36, 28, v34
	v_lshlrev_b64 v[36:37], v36, v[18:19]
	v_lshrrev_b32_e32 v32, 3, v20
	v_sub_u32_e32 v34, 29, v34
	v_and_b32_e32 v36, 7, v36
	v_cmp_gt_u32_e32 vcc, 8, v20
	v_cndmask_b32_e32 v20, v32, v34, vcc
	v_cndmask_b32_e32 v30, v30, v36, vcc
	v_lshlrev_b32_e32 v32, 24, v18
	v_lshlrev_b32_e32 v30, 20, v30
	v_and_b32_e32 v32, 0x80000000, v32
	v_lshl_add_u32 v20, v20, 23, v33
	v_or3_b32 v34, v32, v20, v30
.LBB634_43:                             ;   in Loop: Header=BB634_15 Depth=1
	s_or_b64 exec, exec, s[10:11]
.LBB634_44:                             ;   in Loop: Header=BB634_15 Depth=1
	s_or_b64 exec, exec, s[6:7]
.LBB634_45:                             ;   in Loop: Header=BB634_15 Depth=1
	s_or_b64 exec, exec, s[4:5]
	v_lshrrev_b16_e32 v20, 8, v18
	v_cmp_ne_u16_e32 vcc, 0, v20
	v_mov_b32_e32 v30, 0
	v_mov_b32_e32 v36, 0
	s_and_saveexec_b64 s[4:5], vcc
	s_cbranch_execz .LBB634_51
; %bb.46:                               ;   in Loop: Header=BB634_15 Depth=1
	v_cmp_ne_u16_e32 vcc, s13, v20
	v_bfrev_b32_e32 v36, 1
	s_and_saveexec_b64 s[6:7], vcc
	s_cbranch_execz .LBB634_50
; %bb.47:                               ;   in Loop: Header=BB634_15 Depth=1
	v_and_b32_e32 v32, 0x7f, v20
	v_cmp_ne_u32_e32 vcc, s14, v32
	v_mov_b32_e32 v36, 0x7f800001
	s_and_saveexec_b64 s[10:11], vcc
	s_cbranch_execz .LBB634_49
; %bb.48:                               ;   in Loop: Header=BB634_15 Depth=1
	v_and_b32_e32 v40, 7, v20
	v_ffbh_u32_e32 v36, v40
	v_min_u32_e32 v43, 32, v36
	v_subrev_u32_e32 v36, 28, v43
	v_lshlrev_b64 v[36:37], v36, v[20:21]
	v_lshrrev_b32_e32 v42, 3, v32
	v_sub_u32_e32 v20, 29, v43
	v_and_b32_e32 v36, 7, v36
	v_cmp_gt_u32_e32 vcc, 8, v32
	v_cndmask_b32_e32 v20, v42, v20, vcc
	v_cndmask_b32_e32 v32, v40, v36, vcc
	v_lshlrev_b32_e32 v36, 16, v18
	v_lshlrev_b32_e32 v32, 20, v32
	v_and_b32_e32 v36, 0x80000000, v36
	v_lshl_add_u32 v20, v20, 23, v33
	v_or3_b32 v36, v36, v20, v32
.LBB634_49:                             ;   in Loop: Header=BB634_15 Depth=1
	s_or_b64 exec, exec, s[10:11]
.LBB634_50:                             ;   in Loop: Header=BB634_15 Depth=1
	s_or_b64 exec, exec, s[6:7]
.LBB634_51:                             ;   in Loop: Header=BB634_15 Depth=1
	s_or_b64 exec, exec, s[4:5]
	v_lshrrev_b32_e32 v20, 16, v18
	v_cmp_ne_u16_sdwa s[6:7], v20, v29 src0_sel:BYTE_0 src1_sel:DWORD
	s_and_saveexec_b64 s[4:5], s[6:7]
	s_cbranch_execz .LBB634_57
; %bb.52:                               ;   in Loop: Header=BB634_15 Depth=1
	v_cmp_ne_u16_sdwa s[10:11], v20, s13 src0_sel:BYTE_0 src1_sel:DWORD
	v_bfrev_b32_e32 v30, 1
	s_and_saveexec_b64 s[6:7], s[10:11]
	s_cbranch_execz .LBB634_56
; %bb.53:                               ;   in Loop: Header=BB634_15 Depth=1
	v_bfe_u32 v32, v18, 16, 7
	v_cmp_ne_u32_e32 vcc, s14, v32
	v_mov_b32_e32 v30, 0x7f800001
	s_and_saveexec_b64 s[10:11], vcc
	s_cbranch_execz .LBB634_55
; %bb.54:                               ;   in Loop: Header=BB634_15 Depth=1
	v_and_b32_e32 v30, 7, v20
	v_ffbh_u32_e32 v40, v30
	v_min_u32_e32 v40, 32, v40
	v_subrev_u32_e32 v42, 28, v40
	v_lshlrev_b64 v[42:43], v42, v[20:21]
	v_lshrrev_b32_e32 v37, 3, v32
	v_sub_u32_e32 v40, 29, v40
	v_and_b32_e32 v42, 7, v42
	v_cmp_gt_u32_e32 vcc, 8, v32
	v_cndmask_b32_e32 v32, v37, v40, vcc
	v_cndmask_b32_e32 v30, v30, v42, vcc
	v_lshlrev_b32_e32 v20, 24, v20
	v_lshlrev_b32_e32 v30, 20, v30
	v_and_b32_e32 v20, 0x80000000, v20
	v_lshl_add_u32 v32, v32, 23, v33
	v_or3_b32 v30, v20, v32, v30
.LBB634_55:                             ;   in Loop: Header=BB634_15 Depth=1
	s_or_b64 exec, exec, s[10:11]
.LBB634_56:                             ;   in Loop: Header=BB634_15 Depth=1
	s_or_b64 exec, exec, s[6:7]
.LBB634_57:                             ;   in Loop: Header=BB634_15 Depth=1
	s_or_b64 exec, exec, s[4:5]
	v_cmp_lt_u32_e32 vcc, s15, v18
	v_mov_b32_e32 v32, 0
	v_mov_b32_e32 v37, 0
	s_and_saveexec_b64 s[4:5], vcc
	s_cbranch_execz .LBB634_63
; %bb.58:                               ;   in Loop: Header=BB634_15 Depth=1
	v_lshrrev_b32_e32 v20, 24, v18
	v_cmp_ne_u32_e32 vcc, s13, v20
	v_bfrev_b32_e32 v37, 1
	s_and_saveexec_b64 s[6:7], vcc
	s_cbranch_execz .LBB634_62
; %bb.59:                               ;   in Loop: Header=BB634_15 Depth=1
	v_bfe_u32 v18, v18, 24, 7
	v_cmp_ne_u32_e32 vcc, s14, v18
	v_mov_b32_e32 v37, 0x7f800001
	s_and_saveexec_b64 s[10:11], vcc
	s_cbranch_execz .LBB634_61
; %bb.60:                               ;   in Loop: Header=BB634_15 Depth=1
	v_and_b32_e32 v37, 7, v20
	v_ffbh_u32_e32 v42, v37
	v_min_u32_e32 v44, 32, v42
	v_subrev_u32_e32 v42, 28, v44
	v_lshlrev_b64 v[42:43], v42, v[20:21]
	v_lshrrev_b32_e32 v40, 3, v18
	v_sub_u32_e32 v43, 29, v44
	v_and_b32_e32 v42, 7, v42
	v_cmp_gt_u32_e32 vcc, 8, v18
	v_cndmask_b32_e32 v18, v40, v43, vcc
	v_cndmask_b32_e32 v37, v37, v42, vcc
	v_lshlrev_b32_e32 v20, 24, v20
	v_lshlrev_b32_e32 v37, 20, v37
	v_and_b32_e32 v20, 0x80000000, v20
	v_lshl_add_u32 v18, v18, 23, v33
	v_or3_b32 v37, v20, v18, v37
.LBB634_61:                             ;   in Loop: Header=BB634_15 Depth=1
	s_or_b64 exec, exec, s[10:11]
.LBB634_62:                             ;   in Loop: Header=BB634_15 Depth=1
	s_or_b64 exec, exec, s[6:7]
.LBB634_63:                             ;   in Loop: Header=BB634_15 Depth=1
	s_or_b64 exec, exec, s[4:5]
	v_cvt_pkrtz_f16_f32 v18, v19, v23
	v_cvt_pkrtz_f16_f32 v19, v21, v35
	;; [unrolled: 1-line block ×4, first 2 shown]
	s_waitcnt vmcnt(1)
	v_cmp_ne_u16_sdwa s[6:7], v28, v29 src0_sel:BYTE_0 src1_sel:DWORD
	v_mfma_f32_16x16x16f16 v[18:21], v[18:19], v[2:3], 0
	v_mfma_f32_16x16x16f16 v[18:21], v[34:35], v[4:5], v[18:21]
	s_and_saveexec_b64 s[4:5], s[6:7]
	s_cbranch_execz .LBB634_69
; %bb.64:                               ;   in Loop: Header=BB634_15 Depth=1
	v_cmp_ne_u16_sdwa s[10:11], v28, s13 src0_sel:BYTE_0 src1_sel:DWORD
	v_bfrev_b32_e32 v32, 1
	s_and_saveexec_b64 s[6:7], s[10:11]
	s_cbranch_execz .LBB634_68
; %bb.65:                               ;   in Loop: Header=BB634_15 Depth=1
	v_and_b32_e32 v23, 0x7f, v28
	v_cmp_ne_u32_e32 vcc, s14, v23
	v_mov_b32_e32 v32, 0x7f800001
	s_and_saveexec_b64 s[10:11], vcc
	s_cbranch_execz .LBB634_67
; %bb.66:                               ;   in Loop: Header=BB634_15 Depth=1
	v_and_b32_e32 v30, 7, v28
	v_ffbh_u32_e32 v34, v30
	v_min_u32_e32 v36, 32, v34
	v_subrev_u32_e32 v34, 28, v36
	v_lshlrev_b64 v[34:35], v34, v[28:29]
	v_lshrrev_b32_e32 v32, 3, v23
	v_sub_u32_e32 v35, 29, v36
	v_and_b32_e32 v34, 7, v34
	v_cmp_gt_u32_e32 vcc, 8, v23
	v_cndmask_b32_e32 v23, v32, v35, vcc
	v_cndmask_b32_e32 v30, v30, v34, vcc
	v_lshlrev_b32_e32 v32, 24, v28
	v_lshlrev_b32_e32 v30, 20, v30
	v_and_b32_e32 v32, 0x80000000, v32
	v_lshl_add_u32 v23, v23, 23, v33
	v_or3_b32 v32, v32, v23, v30
.LBB634_67:                             ;   in Loop: Header=BB634_15 Depth=1
	s_or_b64 exec, exec, s[10:11]
.LBB634_68:                             ;   in Loop: Header=BB634_15 Depth=1
	s_or_b64 exec, exec, s[6:7]
.LBB634_69:                             ;   in Loop: Header=BB634_15 Depth=1
	s_or_b64 exec, exec, s[4:5]
	v_lshrrev_b16_e32 v30, 8, v28
	v_cmp_ne_u16_e32 vcc, 0, v30
	v_mov_b32_e32 v34, 0
	v_mov_b32_e32 v35, 0
	s_and_saveexec_b64 s[4:5], vcc
	s_cbranch_execz .LBB634_75
; %bb.70:                               ;   in Loop: Header=BB634_15 Depth=1
	v_cmp_ne_u16_e32 vcc, s13, v30
	v_bfrev_b32_e32 v35, 1
	s_and_saveexec_b64 s[6:7], vcc
	s_cbranch_execz .LBB634_74
; %bb.71:                               ;   in Loop: Header=BB634_15 Depth=1
	v_and_b32_e32 v23, 0x7f, v30
	v_cmp_ne_u32_e32 vcc, s14, v23
	v_mov_b32_e32 v35, 0x7f800001
	s_and_saveexec_b64 s[10:11], vcc
	s_cbranch_execz .LBB634_73
; %bb.72:                               ;   in Loop: Header=BB634_15 Depth=1
	v_and_b32_e32 v35, 7, v30
	v_ffbh_u32_e32 v36, v35
	v_min_u32_e32 v42, 32, v36
	v_subrev_u32_e32 v36, 28, v42
	v_lshlrev_b64 v[36:37], v36, v[30:31]
	v_lshrrev_b32_e32 v40, 3, v23
	v_sub_u32_e32 v30, 29, v42
	v_and_b32_e32 v36, 7, v36
	v_cmp_gt_u32_e32 vcc, 8, v23
	v_cndmask_b32_e32 v23, v40, v30, vcc
	v_cndmask_b32_e32 v30, v35, v36, vcc
	v_lshlrev_b32_e32 v35, 16, v28
	v_lshlrev_b32_e32 v30, 20, v30
	v_and_b32_e32 v35, 0x80000000, v35
	v_lshl_add_u32 v23, v23, 23, v33
	v_or3_b32 v35, v35, v23, v30
.LBB634_73:                             ;   in Loop: Header=BB634_15 Depth=1
	s_or_b64 exec, exec, s[10:11]
.LBB634_74:                             ;   in Loop: Header=BB634_15 Depth=1
	s_or_b64 exec, exec, s[6:7]
.LBB634_75:                             ;   in Loop: Header=BB634_15 Depth=1
	s_or_b64 exec, exec, s[4:5]
	v_lshrrev_b32_e32 v30, 16, v28
	v_cmp_ne_u16_sdwa s[6:7], v30, v29 src0_sel:BYTE_0 src1_sel:DWORD
	s_and_saveexec_b64 s[4:5], s[6:7]
	s_cbranch_execz .LBB634_81
; %bb.76:                               ;   in Loop: Header=BB634_15 Depth=1
	v_cmp_ne_u16_sdwa s[10:11], v30, s13 src0_sel:BYTE_0 src1_sel:DWORD
	v_bfrev_b32_e32 v34, 1
	s_and_saveexec_b64 s[6:7], s[10:11]
	s_cbranch_execz .LBB634_80
; %bb.77:                               ;   in Loop: Header=BB634_15 Depth=1
	v_bfe_u32 v23, v28, 16, 7
	v_cmp_ne_u32_e32 vcc, s14, v23
	v_mov_b32_e32 v34, 0x7f800001
	s_and_saveexec_b64 s[10:11], vcc
	s_cbranch_execz .LBB634_79
; %bb.78:                               ;   in Loop: Header=BB634_15 Depth=1
	v_and_b32_e32 v34, 7, v30
	v_ffbh_u32_e32 v36, v34
	v_min_u32_e32 v42, 32, v36
	v_subrev_u32_e32 v36, 28, v42
	v_lshlrev_b64 v[36:37], v36, v[30:31]
	v_lshrrev_b32_e32 v40, 3, v23
	v_sub_u32_e32 v37, 29, v42
	v_and_b32_e32 v36, 7, v36
	v_cmp_gt_u32_e32 vcc, 8, v23
	v_cndmask_b32_e32 v23, v40, v37, vcc
	v_cndmask_b32_e32 v34, v34, v36, vcc
	v_lshlrev_b32_e32 v30, 24, v30
	v_lshlrev_b32_e32 v34, 20, v34
	v_and_b32_e32 v30, 0x80000000, v30
	v_lshl_add_u32 v23, v23, 23, v33
	v_or3_b32 v34, v30, v23, v34
.LBB634_79:                             ;   in Loop: Header=BB634_15 Depth=1
	s_or_b64 exec, exec, s[10:11]
.LBB634_80:                             ;   in Loop: Header=BB634_15 Depth=1
	s_or_b64 exec, exec, s[6:7]
.LBB634_81:                             ;   in Loop: Header=BB634_15 Depth=1
	s_or_b64 exec, exec, s[4:5]
	v_cmp_lt_u32_e32 vcc, s15, v28
	v_mov_b32_e32 v36, 0
	v_mov_b32_e32 v37, 0
	s_and_saveexec_b64 s[4:5], vcc
	s_cbranch_execz .LBB634_87
; %bb.82:                               ;   in Loop: Header=BB634_15 Depth=1
	v_lshrrev_b32_e32 v30, 24, v28
	v_cmp_ne_u32_e32 vcc, s13, v30
	v_bfrev_b32_e32 v37, 1
	s_and_saveexec_b64 s[6:7], vcc
	s_cbranch_execz .LBB634_86
; %bb.83:                               ;   in Loop: Header=BB634_15 Depth=1
	v_bfe_u32 v23, v28, 24, 7
	v_cmp_ne_u32_e32 vcc, s14, v23
	v_mov_b32_e32 v37, 0x7f800001
	s_and_saveexec_b64 s[10:11], vcc
	s_cbranch_execz .LBB634_85
; %bb.84:                               ;   in Loop: Header=BB634_15 Depth=1
	v_and_b32_e32 v28, 7, v30
	v_ffbh_u32_e32 v40, v28
	v_min_u32_e32 v40, 32, v40
	v_subrev_u32_e32 v42, 28, v40
	v_lshlrev_b64 v[42:43], v42, v[30:31]
	v_lshrrev_b32_e32 v37, 3, v23
	v_sub_u32_e32 v40, 29, v40
	v_and_b32_e32 v42, 7, v42
	v_cmp_gt_u32_e32 vcc, 8, v23
	v_cndmask_b32_e32 v23, v37, v40, vcc
	v_cndmask_b32_e32 v28, v28, v42, vcc
	v_lshlrev_b32_e32 v30, 24, v30
	v_lshlrev_b32_e32 v28, 20, v28
	v_and_b32_e32 v30, 0x80000000, v30
	v_lshl_add_u32 v23, v23, 23, v33
	v_or3_b32 v37, v30, v23, v28
.LBB634_85:                             ;   in Loop: Header=BB634_15 Depth=1
	s_or_b64 exec, exec, s[10:11]
.LBB634_86:                             ;   in Loop: Header=BB634_15 Depth=1
	s_or_b64 exec, exec, s[6:7]
.LBB634_87:                             ;   in Loop: Header=BB634_15 Depth=1
	s_or_b64 exec, exec, s[4:5]
	s_waitcnt vmcnt(0)
	v_cmp_ne_u16_sdwa s[6:7], v26, v29 src0_sel:BYTE_0 src1_sel:DWORD
	s_and_saveexec_b64 s[4:5], s[6:7]
	s_cbranch_execz .LBB634_93
; %bb.88:                               ;   in Loop: Header=BB634_15 Depth=1
	v_cmp_ne_u16_sdwa s[10:11], v26, s13 src0_sel:BYTE_0 src1_sel:DWORD
	v_bfrev_b32_e32 v36, 1
	s_and_saveexec_b64 s[6:7], s[10:11]
	s_cbranch_execz .LBB634_92
; %bb.89:                               ;   in Loop: Header=BB634_15 Depth=1
	v_and_b32_e32 v23, 0x7f, v26
	v_cmp_ne_u32_e32 vcc, s14, v23
	v_mov_b32_e32 v36, 0x7f800001
	s_and_saveexec_b64 s[10:11], vcc
	s_cbranch_execz .LBB634_91
; %bb.90:                               ;   in Loop: Header=BB634_15 Depth=1
	v_and_b32_e32 v28, 7, v26
	v_ffbh_u32_e32 v36, v28
	v_min_u32_e32 v36, 32, v36
	v_subrev_u32_e32 v40, 28, v36
	v_lshlrev_b64 v[42:43], v40, v[26:27]
	v_lshrrev_b32_e32 v30, 3, v23
	v_sub_u32_e32 v36, 29, v36
	v_and_b32_e32 v40, 7, v42
	v_cmp_gt_u32_e32 vcc, 8, v23
	v_cndmask_b32_e32 v23, v30, v36, vcc
	v_cndmask_b32_e32 v28, v28, v40, vcc
	v_lshlrev_b32_e32 v30, 24, v26
	v_lshlrev_b32_e32 v28, 20, v28
	v_and_b32_e32 v30, 0x80000000, v30
	v_lshl_add_u32 v23, v23, 23, v33
	v_or3_b32 v36, v30, v23, v28
.LBB634_91:                             ;   in Loop: Header=BB634_15 Depth=1
	s_or_b64 exec, exec, s[10:11]
.LBB634_92:                             ;   in Loop: Header=BB634_15 Depth=1
	s_or_b64 exec, exec, s[6:7]
.LBB634_93:                             ;   in Loop: Header=BB634_15 Depth=1
	s_or_b64 exec, exec, s[4:5]
	v_lshrrev_b16_e32 v28, 8, v26
	v_cmp_ne_u16_e32 vcc, 0, v28
	v_mov_b32_e32 v40, 0
	v_mov_b32_e32 v42, 0
	s_and_saveexec_b64 s[4:5], vcc
	s_cbranch_execz .LBB634_99
; %bb.94:                               ;   in Loop: Header=BB634_15 Depth=1
	v_cmp_ne_u16_e32 vcc, s13, v28
	v_bfrev_b32_e32 v42, 1
	s_and_saveexec_b64 s[6:7], vcc
	s_cbranch_execz .LBB634_98
; %bb.95:                               ;   in Loop: Header=BB634_15 Depth=1
	v_and_b32_e32 v23, 0x7f, v28
	v_cmp_ne_u32_e32 vcc, s14, v23
	v_mov_b32_e32 v42, 0x7f800001
	s_and_saveexec_b64 s[10:11], vcc
	s_cbranch_execz .LBB634_97
; %bb.96:                               ;   in Loop: Header=BB634_15 Depth=1
	v_and_b32_e32 v30, 7, v28
	v_ffbh_u32_e32 v42, v30
	v_min_u32_e32 v45, 32, v42
	v_subrev_u32_e32 v42, 28, v45
	v_lshlrev_b64 v[42:43], v42, v[28:29]
	v_lshrrev_b32_e32 v44, 3, v23
	v_sub_u32_e32 v28, 29, v45
	v_and_b32_e32 v42, 7, v42
	v_cmp_gt_u32_e32 vcc, 8, v23
	v_cndmask_b32_e32 v23, v44, v28, vcc
	v_cndmask_b32_e32 v28, v30, v42, vcc
	v_lshlrev_b32_e32 v30, 16, v26
	v_lshlrev_b32_e32 v28, 20, v28
	v_and_b32_e32 v30, 0x80000000, v30
	v_lshl_add_u32 v23, v23, 23, v33
	v_or3_b32 v42, v30, v23, v28
.LBB634_97:                             ;   in Loop: Header=BB634_15 Depth=1
	s_or_b64 exec, exec, s[10:11]
.LBB634_98:                             ;   in Loop: Header=BB634_15 Depth=1
	s_or_b64 exec, exec, s[6:7]
.LBB634_99:                             ;   in Loop: Header=BB634_15 Depth=1
	s_or_b64 exec, exec, s[4:5]
	v_lshrrev_b32_e32 v28, 16, v26
	v_cmp_ne_u16_sdwa s[6:7], v28, v29 src0_sel:BYTE_0 src1_sel:DWORD
	s_and_saveexec_b64 s[4:5], s[6:7]
	s_cbranch_execz .LBB634_105
; %bb.100:                              ;   in Loop: Header=BB634_15 Depth=1
	v_cmp_ne_u16_sdwa s[10:11], v28, s13 src0_sel:BYTE_0 src1_sel:DWORD
	v_bfrev_b32_e32 v40, 1
	s_and_saveexec_b64 s[6:7], s[10:11]
	s_cbranch_execz .LBB634_104
; %bb.101:                              ;   in Loop: Header=BB634_15 Depth=1
	v_bfe_u32 v23, v26, 16, 7
	v_cmp_ne_u32_e32 vcc, s14, v23
	v_mov_b32_e32 v40, 0x7f800001
	s_and_saveexec_b64 s[10:11], vcc
	s_cbranch_execz .LBB634_103
; %bb.102:                              ;   in Loop: Header=BB634_15 Depth=1
	v_and_b32_e32 v30, 7, v28
	v_ffbh_u32_e32 v43, v30
	v_min_u32_e32 v43, 32, v43
	v_subrev_u32_e32 v44, 28, v43
	v_lshlrev_b64 v[44:45], v44, v[28:29]
	v_lshrrev_b32_e32 v40, 3, v23
	v_sub_u32_e32 v43, 29, v43
	v_and_b32_e32 v44, 7, v44
	v_cmp_gt_u32_e32 vcc, 8, v23
	v_cndmask_b32_e32 v23, v40, v43, vcc
	v_cndmask_b32_e32 v30, v30, v44, vcc
	v_lshlrev_b32_e32 v28, 24, v28
	v_lshlrev_b32_e32 v30, 20, v30
	v_and_b32_e32 v28, 0x80000000, v28
	v_lshl_add_u32 v23, v23, 23, v33
	v_or3_b32 v40, v28, v23, v30
.LBB634_103:                            ;   in Loop: Header=BB634_15 Depth=1
	s_or_b64 exec, exec, s[10:11]
.LBB634_104:                            ;   in Loop: Header=BB634_15 Depth=1
	s_or_b64 exec, exec, s[6:7]
.LBB634_105:                            ;   in Loop: Header=BB634_15 Depth=1
	s_or_b64 exec, exec, s[4:5]
	v_cmp_lt_u32_e32 vcc, s15, v26
	v_mov_b32_e32 v23, 0
	v_mov_b32_e32 v43, 0
	s_and_saveexec_b64 s[4:5], vcc
	s_cbranch_execz .LBB634_111
; %bb.106:                              ;   in Loop: Header=BB634_15 Depth=1
	v_lshrrev_b32_e32 v28, 24, v26
	v_cmp_ne_u32_e32 vcc, s13, v28
	v_bfrev_b32_e32 v43, 1
	s_and_saveexec_b64 s[6:7], vcc
	s_cbranch_execz .LBB634_110
; %bb.107:                              ;   in Loop: Header=BB634_15 Depth=1
	v_bfe_u32 v26, v26, 24, 7
	v_cmp_ne_u32_e32 vcc, s14, v26
	v_mov_b32_e32 v43, 0x7f800001
	s_and_saveexec_b64 s[10:11], vcc
	s_cbranch_execz .LBB634_109
; %bb.108:                              ;   in Loop: Header=BB634_15 Depth=1
	v_and_b32_e32 v30, 7, v28
	v_ffbh_u32_e32 v44, v30
	v_min_u32_e32 v46, 32, v44
	v_subrev_u32_e32 v44, 28, v46
	v_lshlrev_b64 v[44:45], v44, v[28:29]
	v_lshrrev_b32_e32 v43, 3, v26
	v_sub_u32_e32 v45, 29, v46
	v_and_b32_e32 v44, 7, v44
	v_cmp_gt_u32_e32 vcc, 8, v26
	v_cndmask_b32_e32 v26, v43, v45, vcc
	v_cndmask_b32_e32 v30, v30, v44, vcc
	v_lshlrev_b32_e32 v28, 24, v28
	v_lshlrev_b32_e32 v30, 20, v30
	v_and_b32_e32 v28, 0x80000000, v28
	v_lshl_add_u32 v26, v26, 23, v33
	v_or3_b32 v43, v28, v26, v30
.LBB634_109:                            ;   in Loop: Header=BB634_15 Depth=1
	s_or_b64 exec, exec, s[10:11]
.LBB634_110:                            ;   in Loop: Header=BB634_15 Depth=1
	s_or_b64 exec, exec, s[6:7]
.LBB634_111:                            ;   in Loop: Header=BB634_15 Depth=1
	s_or_b64 exec, exec, s[4:5]
	v_cvt_pkrtz_f16_f32 v44, v32, v35
	buffer_load_dword v32, v27, s[0:3], 0 offen offset:16
	buffer_load_dword v30, v27, s[0:3], 0 offen offset:20
	;; [unrolled: 1-line block ×4, first 2 shown]
	v_cvt_pkrtz_f16_f32 v45, v34, v37
	v_cvt_pkrtz_f16_f32 v34, v36, v42
	;; [unrolled: 1-line block ×3, first 2 shown]
	v_mfma_f32_16x16x16f16 v[18:21], v[44:45], v[6:7], v[18:21]
	s_waitcnt vmcnt(3)
	v_cmp_ne_u16_sdwa s[6:7], v32, v29 src0_sel:BYTE_0 src1_sel:DWORD
	v_mfma_f32_16x16x16f16 v[18:21], v[34:35], v[8:9], v[18:21]
	s_and_saveexec_b64 s[4:5], s[6:7]
	s_cbranch_execz .LBB634_117
; %bb.112:                              ;   in Loop: Header=BB634_15 Depth=1
	v_cmp_ne_u16_sdwa s[10:11], v32, s13 src0_sel:BYTE_0 src1_sel:DWORD
	v_bfrev_b32_e32 v23, 1
	s_and_saveexec_b64 s[6:7], s[10:11]
	s_cbranch_execz .LBB634_116
; %bb.113:                              ;   in Loop: Header=BB634_15 Depth=1
	v_and_b32_e32 v34, 0x7f, v32
	v_cmp_ne_u32_e32 vcc, s14, v34
	v_mov_b32_e32 v23, 0x7f800001
	s_and_saveexec_b64 s[10:11], vcc
	s_cbranch_execz .LBB634_115
; %bb.114:                              ;   in Loop: Header=BB634_15 Depth=1
	v_and_b32_e32 v23, 7, v32
	v_ffbh_u32_e32 v36, v23
	v_min_u32_e32 v40, 32, v36
	v_subrev_u32_e32 v36, 28, v40
	v_lshlrev_b64 v[36:37], v36, v[32:33]
	v_lshrrev_b32_e32 v35, 3, v34
	v_sub_u32_e32 v37, 29, v40
	v_and_b32_e32 v36, 7, v36
	v_cmp_gt_u32_e32 vcc, 8, v34
	v_cndmask_b32_e32 v34, v35, v37, vcc
	v_cndmask_b32_e32 v23, v23, v36, vcc
	v_lshlrev_b32_e32 v35, 24, v32
	v_lshlrev_b32_e32 v23, 20, v23
	v_and_b32_e32 v35, 0x80000000, v35
	v_lshl_add_u32 v34, v34, 23, v33
	v_or3_b32 v23, v35, v34, v23
.LBB634_115:                            ;   in Loop: Header=BB634_15 Depth=1
	s_or_b64 exec, exec, s[10:11]
.LBB634_116:                            ;   in Loop: Header=BB634_15 Depth=1
	s_or_b64 exec, exec, s[6:7]
.LBB634_117:                            ;   in Loop: Header=BB634_15 Depth=1
	s_or_b64 exec, exec, s[4:5]
	v_lshrrev_b16_e32 v34, 8, v32
	v_cmp_ne_u16_e32 vcc, 0, v34
	v_mov_b32_e32 v35, 0
	v_mov_b32_e32 v36, 0
	s_and_saveexec_b64 s[4:5], vcc
	s_cbranch_execz .LBB634_123
; %bb.118:                              ;   in Loop: Header=BB634_15 Depth=1
	v_cmp_ne_u16_e32 vcc, s13, v34
	v_bfrev_b32_e32 v36, 1
	s_and_saveexec_b64 s[6:7], vcc
	s_cbranch_execz .LBB634_122
; %bb.119:                              ;   in Loop: Header=BB634_15 Depth=1
	v_and_b32_e32 v37, 0x7f, v34
	v_cmp_ne_u32_e32 vcc, s14, v37
	v_mov_b32_e32 v36, 0x7f800001
	s_and_saveexec_b64 s[10:11], vcc
	s_cbranch_execz .LBB634_121
; %bb.120:                              ;   in Loop: Header=BB634_15 Depth=1
	v_and_b32_e32 v36, 7, v34
	v_ffbh_u32_e32 v42, v36
	v_min_u32_e32 v44, 32, v42
	v_subrev_u32_e32 v42, 28, v44
	v_lshlrev_b64 v[42:43], v42, v[34:35]
	v_lshrrev_b32_e32 v40, 3, v37
	v_sub_u32_e32 v34, 29, v44
	v_and_b32_e32 v42, 7, v42
	v_cmp_gt_u32_e32 vcc, 8, v37
	v_cndmask_b32_e32 v34, v40, v34, vcc
	v_cndmask_b32_e32 v36, v36, v42, vcc
	v_lshlrev_b32_e32 v37, 16, v32
	v_lshlrev_b32_e32 v36, 20, v36
	v_and_b32_e32 v37, 0x80000000, v37
	v_lshl_add_u32 v34, v34, 23, v33
	v_or3_b32 v36, v37, v34, v36
.LBB634_121:                            ;   in Loop: Header=BB634_15 Depth=1
	s_or_b64 exec, exec, s[10:11]
.LBB634_122:                            ;   in Loop: Header=BB634_15 Depth=1
	s_or_b64 exec, exec, s[6:7]
.LBB634_123:                            ;   in Loop: Header=BB634_15 Depth=1
	s_or_b64 exec, exec, s[4:5]
	v_lshrrev_b32_e32 v34, 16, v32
	v_cmp_ne_u16_sdwa s[6:7], v34, v29 src0_sel:BYTE_0 src1_sel:DWORD
	s_and_saveexec_b64 s[4:5], s[6:7]
	s_cbranch_execz .LBB634_129
; %bb.124:                              ;   in Loop: Header=BB634_15 Depth=1
	v_cmp_ne_u16_sdwa s[10:11], v34, s13 src0_sel:BYTE_0 src1_sel:DWORD
	v_bfrev_b32_e32 v35, 1
	s_and_saveexec_b64 s[6:7], s[10:11]
	s_cbranch_execz .LBB634_128
; %bb.125:                              ;   in Loop: Header=BB634_15 Depth=1
	v_bfe_u32 v37, v32, 16, 7
	v_cmp_ne_u32_e32 vcc, s14, v37
	v_mov_b32_e32 v35, 0x7f800001
	s_and_saveexec_b64 s[10:11], vcc
	s_cbranch_execz .LBB634_127
; %bb.126:                              ;   in Loop: Header=BB634_15 Depth=1
	v_and_b32_e32 v35, 7, v34
	v_ffbh_u32_e32 v42, v35
	v_min_u32_e32 v44, 32, v42
	v_subrev_u32_e32 v42, 28, v44
	v_lshlrev_b64 v[42:43], v42, v[34:35]
	v_lshrrev_b32_e32 v40, 3, v37
	v_sub_u32_e32 v43, 29, v44
	v_and_b32_e32 v42, 7, v42
	v_cmp_gt_u32_e32 vcc, 8, v37
	v_cndmask_b32_e32 v37, v40, v43, vcc
	v_cndmask_b32_e32 v35, v35, v42, vcc
	v_lshlrev_b32_e32 v34, 24, v34
	v_lshlrev_b32_e32 v35, 20, v35
	v_and_b32_e32 v34, 0x80000000, v34
	v_lshl_add_u32 v37, v37, 23, v33
	v_or3_b32 v35, v34, v37, v35
.LBB634_127:                            ;   in Loop: Header=BB634_15 Depth=1
	s_or_b64 exec, exec, s[10:11]
.LBB634_128:                            ;   in Loop: Header=BB634_15 Depth=1
	s_or_b64 exec, exec, s[6:7]
.LBB634_129:                            ;   in Loop: Header=BB634_15 Depth=1
	s_or_b64 exec, exec, s[4:5]
	v_cmp_lt_u32_e32 vcc, s15, v32
	v_mov_b32_e32 v37, 0
	v_mov_b32_e32 v40, 0
	s_and_saveexec_b64 s[4:5], vcc
	s_cbranch_execz .LBB634_135
; %bb.130:                              ;   in Loop: Header=BB634_15 Depth=1
	v_lshrrev_b32_e32 v34, 24, v32
	v_cmp_ne_u32_e32 vcc, s13, v34
	v_bfrev_b32_e32 v40, 1
	s_and_saveexec_b64 s[6:7], vcc
	s_cbranch_execz .LBB634_134
; %bb.131:                              ;   in Loop: Header=BB634_15 Depth=1
	v_bfe_u32 v32, v32, 24, 7
	v_cmp_ne_u32_e32 vcc, s14, v32
	v_mov_b32_e32 v40, 0x7f800001
	s_and_saveexec_b64 s[10:11], vcc
	s_cbranch_execz .LBB634_133
; %bb.132:                              ;   in Loop: Header=BB634_15 Depth=1
	v_and_b32_e32 v40, 7, v34
	v_ffbh_u32_e32 v42, v40
	v_min_u32_e32 v45, 32, v42
	v_subrev_u32_e32 v42, 28, v45
	v_lshlrev_b64 v[42:43], v42, v[34:35]
	v_lshrrev_b32_e32 v44, 3, v32
	v_sub_u32_e32 v43, 29, v45
	v_and_b32_e32 v42, 7, v42
	v_cmp_gt_u32_e32 vcc, 8, v32
	v_cndmask_b32_e32 v32, v44, v43, vcc
	v_cndmask_b32_e32 v40, v40, v42, vcc
	v_lshlrev_b32_e32 v34, 24, v34
	v_lshlrev_b32_e32 v40, 20, v40
	v_and_b32_e32 v34, 0x80000000, v34
	v_lshl_add_u32 v32, v32, 23, v33
	v_or3_b32 v40, v34, v32, v40
.LBB634_133:                            ;   in Loop: Header=BB634_15 Depth=1
	s_or_b64 exec, exec, s[10:11]
.LBB634_134:                            ;   in Loop: Header=BB634_15 Depth=1
	s_or_b64 exec, exec, s[6:7]
.LBB634_135:                            ;   in Loop: Header=BB634_15 Depth=1
	s_or_b64 exec, exec, s[4:5]
	s_waitcnt vmcnt(2)
	v_cmp_ne_u16_sdwa s[6:7], v30, v29 src0_sel:BYTE_0 src1_sel:DWORD
	s_and_saveexec_b64 s[4:5], s[6:7]
	s_cbranch_execz .LBB634_141
; %bb.136:                              ;   in Loop: Header=BB634_15 Depth=1
	v_cmp_ne_u16_sdwa s[10:11], v30, s13 src0_sel:BYTE_0 src1_sel:DWORD
	v_bfrev_b32_e32 v37, 1
	s_and_saveexec_b64 s[6:7], s[10:11]
	s_cbranch_execz .LBB634_140
; %bb.137:                              ;   in Loop: Header=BB634_15 Depth=1
	v_and_b32_e32 v32, 0x7f, v30
	v_cmp_ne_u32_e32 vcc, s14, v32
	v_mov_b32_e32 v37, 0x7f800001
	s_and_saveexec_b64 s[10:11], vcc
	s_cbranch_execz .LBB634_139
; %bb.138:                              ;   in Loop: Header=BB634_15 Depth=1
	v_and_b32_e32 v34, 7, v30
	v_ffbh_u32_e32 v42, v34
	v_min_u32_e32 v44, 32, v42
	v_subrev_u32_e32 v42, 28, v44
	v_lshlrev_b64 v[42:43], v42, v[30:31]
	v_lshrrev_b32_e32 v37, 3, v32
	v_sub_u32_e32 v43, 29, v44
	v_and_b32_e32 v42, 7, v42
	v_cmp_gt_u32_e32 vcc, 8, v32
	v_cndmask_b32_e32 v32, v37, v43, vcc
	v_cndmask_b32_e32 v34, v34, v42, vcc
	v_lshlrev_b32_e32 v37, 24, v30
	v_lshlrev_b32_e32 v34, 20, v34
	v_and_b32_e32 v37, 0x80000000, v37
	v_lshl_add_u32 v32, v32, 23, v33
	v_or3_b32 v37, v37, v32, v34
.LBB634_139:                            ;   in Loop: Header=BB634_15 Depth=1
	s_or_b64 exec, exec, s[10:11]
.LBB634_140:                            ;   in Loop: Header=BB634_15 Depth=1
	s_or_b64 exec, exec, s[6:7]
.LBB634_141:                            ;   in Loop: Header=BB634_15 Depth=1
	s_or_b64 exec, exec, s[4:5]
	v_lshrrev_b16_e32 v32, 8, v30
	v_cmp_ne_u16_e32 vcc, 0, v32
	v_mov_b32_e32 v42, 0
	v_mov_b32_e32 v43, 0
	s_and_saveexec_b64 s[4:5], vcc
	s_cbranch_execz .LBB634_147
; %bb.142:                              ;   in Loop: Header=BB634_15 Depth=1
	v_cmp_ne_u16_e32 vcc, s13, v32
	v_bfrev_b32_e32 v43, 1
	s_and_saveexec_b64 s[6:7], vcc
	s_cbranch_execz .LBB634_146
; %bb.143:                              ;   in Loop: Header=BB634_15 Depth=1
	v_and_b32_e32 v34, 0x7f, v32
	v_cmp_ne_u32_e32 vcc, s14, v34
	v_mov_b32_e32 v43, 0x7f800001
	s_and_saveexec_b64 s[10:11], vcc
	s_cbranch_execz .LBB634_145
; %bb.144:                              ;   in Loop: Header=BB634_15 Depth=1
	v_and_b32_e32 v43, 7, v32
	v_ffbh_u32_e32 v44, v43
	v_min_u32_e32 v47, 32, v44
	v_subrev_u32_e32 v44, 28, v47
	v_lshlrev_b64 v[44:45], v44, v[32:33]
	v_lshrrev_b32_e32 v46, 3, v34
	v_sub_u32_e32 v32, 29, v47
	v_and_b32_e32 v44, 7, v44
	v_cmp_gt_u32_e32 vcc, 8, v34
	v_cndmask_b32_e32 v32, v46, v32, vcc
	v_cndmask_b32_e32 v34, v43, v44, vcc
	v_lshlrev_b32_e32 v43, 16, v30
	v_lshlrev_b32_e32 v34, 20, v34
	v_and_b32_e32 v43, 0x80000000, v43
	v_lshl_add_u32 v32, v32, 23, v33
	v_or3_b32 v43, v43, v32, v34
.LBB634_145:                            ;   in Loop: Header=BB634_15 Depth=1
	s_or_b64 exec, exec, s[10:11]
.LBB634_146:                            ;   in Loop: Header=BB634_15 Depth=1
	s_or_b64 exec, exec, s[6:7]
.LBB634_147:                            ;   in Loop: Header=BB634_15 Depth=1
	s_or_b64 exec, exec, s[4:5]
	v_lshrrev_b32_e32 v32, 16, v30
	v_cmp_ne_u16_sdwa s[6:7], v32, v29 src0_sel:BYTE_0 src1_sel:DWORD
	s_and_saveexec_b64 s[4:5], s[6:7]
	s_cbranch_execz .LBB634_153
; %bb.148:                              ;   in Loop: Header=BB634_15 Depth=1
	v_cmp_ne_u16_sdwa s[10:11], v32, s13 src0_sel:BYTE_0 src1_sel:DWORD
	v_bfrev_b32_e32 v42, 1
	s_and_saveexec_b64 s[6:7], s[10:11]
	s_cbranch_execz .LBB634_152
; %bb.149:                              ;   in Loop: Header=BB634_15 Depth=1
	v_bfe_u32 v34, v30, 16, 7
	v_cmp_ne_u32_e32 vcc, s14, v34
	v_mov_b32_e32 v42, 0x7f800001
	s_and_saveexec_b64 s[10:11], vcc
	s_cbranch_execz .LBB634_151
; %bb.150:                              ;   in Loop: Header=BB634_15 Depth=1
	v_and_b32_e32 v42, 7, v32
	v_ffbh_u32_e32 v44, v42
	v_min_u32_e32 v47, 32, v44
	v_subrev_u32_e32 v44, 28, v47
	v_lshlrev_b64 v[44:45], v44, v[32:33]
	v_lshrrev_b32_e32 v46, 3, v34
	v_sub_u32_e32 v45, 29, v47
	v_and_b32_e32 v44, 7, v44
	v_cmp_gt_u32_e32 vcc, 8, v34
	v_cndmask_b32_e32 v34, v46, v45, vcc
	v_cndmask_b32_e32 v42, v42, v44, vcc
	v_lshlrev_b32_e32 v32, 24, v32
	v_lshlrev_b32_e32 v42, 20, v42
	v_and_b32_e32 v32, 0x80000000, v32
	v_lshl_add_u32 v34, v34, 23, v33
	v_or3_b32 v42, v32, v34, v42
.LBB634_151:                            ;   in Loop: Header=BB634_15 Depth=1
	s_or_b64 exec, exec, s[10:11]
.LBB634_152:                            ;   in Loop: Header=BB634_15 Depth=1
	s_or_b64 exec, exec, s[6:7]
.LBB634_153:                            ;   in Loop: Header=BB634_15 Depth=1
	s_or_b64 exec, exec, s[4:5]
	v_cmp_lt_u32_e32 vcc, s15, v30
	v_mov_b32_e32 v34, 0
	v_mov_b32_e32 v44, 0
	s_and_saveexec_b64 s[4:5], vcc
	s_cbranch_execz .LBB634_159
; %bb.154:                              ;   in Loop: Header=BB634_15 Depth=1
	v_lshrrev_b32_e32 v32, 24, v30
	v_cmp_ne_u32_e32 vcc, s13, v32
	v_bfrev_b32_e32 v44, 1
	s_and_saveexec_b64 s[6:7], vcc
	s_cbranch_execz .LBB634_158
; %bb.155:                              ;   in Loop: Header=BB634_15 Depth=1
	v_bfe_u32 v30, v30, 24, 7
	v_cmp_ne_u32_e32 vcc, s14, v30
	v_mov_b32_e32 v44, 0x7f800001
	s_and_saveexec_b64 s[10:11], vcc
	s_cbranch_execz .LBB634_157
; %bb.156:                              ;   in Loop: Header=BB634_15 Depth=1
	v_and_b32_e32 v46, 7, v32
	v_ffbh_u32_e32 v44, v46
	v_min_u32_e32 v48, 32, v44
	v_subrev_u32_e32 v44, 28, v48
	v_lshlrev_b64 v[44:45], v44, v[32:33]
	v_lshrrev_b32_e32 v47, 3, v30
	v_sub_u32_e32 v45, 29, v48
	v_and_b32_e32 v44, 7, v44
	v_cmp_gt_u32_e32 vcc, 8, v30
	v_cndmask_b32_e32 v30, v47, v45, vcc
	v_cndmask_b32_e32 v44, v46, v44, vcc
	v_lshlrev_b32_e32 v32, 24, v32
	v_lshlrev_b32_e32 v44, 20, v44
	v_and_b32_e32 v32, 0x80000000, v32
	v_lshl_add_u32 v30, v30, 23, v33
	v_or3_b32 v44, v32, v30, v44
.LBB634_157:                            ;   in Loop: Header=BB634_15 Depth=1
	s_or_b64 exec, exec, s[10:11]
.LBB634_158:                            ;   in Loop: Header=BB634_15 Depth=1
	s_or_b64 exec, exec, s[6:7]
.LBB634_159:                            ;   in Loop: Header=BB634_15 Depth=1
	s_or_b64 exec, exec, s[4:5]
	v_cvt_pkrtz_f16_f32 v46, v23, v36
	v_cvt_pkrtz_f16_f32 v47, v35, v40
	;; [unrolled: 1-line block ×4, first 2 shown]
	s_waitcnt vmcnt(1)
	v_cmp_ne_u16_sdwa s[6:7], v28, v29 src0_sel:BYTE_0 src1_sel:DWORD
	v_mfma_f32_16x16x16f16 v[18:21], v[46:47], v[10:11], v[18:21]
	v_mfma_f32_16x16x16f16 v[18:21], v[36:37], v[12:13], v[18:21]
	s_and_saveexec_b64 s[4:5], s[6:7]
	s_cbranch_execz .LBB634_165
; %bb.160:                              ;   in Loop: Header=BB634_15 Depth=1
	v_cmp_ne_u16_sdwa s[10:11], v28, s13 src0_sel:BYTE_0 src1_sel:DWORD
	v_bfrev_b32_e32 v34, 1
	s_and_saveexec_b64 s[6:7], s[10:11]
	s_cbranch_execz .LBB634_164
; %bb.161:                              ;   in Loop: Header=BB634_15 Depth=1
	v_and_b32_e32 v23, 0x7f, v28
	v_cmp_ne_u32_e32 vcc, s14, v23
	v_mov_b32_e32 v34, 0x7f800001
	s_and_saveexec_b64 s[10:11], vcc
	s_cbranch_execz .LBB634_163
; %bb.162:                              ;   in Loop: Header=BB634_15 Depth=1
	v_and_b32_e32 v30, 7, v28
	v_ffbh_u32_e32 v34, v30
	v_min_u32_e32 v36, 32, v34
	v_subrev_u32_e32 v34, 28, v36
	v_lshlrev_b64 v[34:35], v34, v[28:29]
	v_lshrrev_b32_e32 v32, 3, v23
	v_sub_u32_e32 v35, 29, v36
	v_and_b32_e32 v34, 7, v34
	v_cmp_gt_u32_e32 vcc, 8, v23
	v_cndmask_b32_e32 v23, v32, v35, vcc
	v_cndmask_b32_e32 v30, v30, v34, vcc
	v_lshlrev_b32_e32 v32, 24, v28
	v_lshlrev_b32_e32 v30, 20, v30
	v_and_b32_e32 v32, 0x80000000, v32
	v_lshl_add_u32 v23, v23, 23, v33
	v_or3_b32 v34, v32, v23, v30
.LBB634_163:                            ;   in Loop: Header=BB634_15 Depth=1
	s_or_b64 exec, exec, s[10:11]
.LBB634_164:                            ;   in Loop: Header=BB634_15 Depth=1
	s_or_b64 exec, exec, s[6:7]
.LBB634_165:                            ;   in Loop: Header=BB634_15 Depth=1
	s_or_b64 exec, exec, s[4:5]
	v_lshrrev_b16_e32 v30, 8, v28
	v_cmp_ne_u16_e32 vcc, 0, v30
	v_mov_b32_e32 v23, 0
	v_mov_b32_e32 v32, 0
	s_and_saveexec_b64 s[4:5], vcc
	s_cbranch_execz .LBB634_171
; %bb.166:                              ;   in Loop: Header=BB634_15 Depth=1
	v_cmp_ne_u16_e32 vcc, s13, v30
	v_bfrev_b32_e32 v32, 1
	s_and_saveexec_b64 s[6:7], vcc
	s_cbranch_execz .LBB634_170
; %bb.167:                              ;   in Loop: Header=BB634_15 Depth=1
	v_and_b32_e32 v35, 0x7f, v30
	v_cmp_ne_u32_e32 vcc, s14, v35
	v_mov_b32_e32 v32, 0x7f800001
	s_and_saveexec_b64 s[10:11], vcc
	s_cbranch_execz .LBB634_169
; %bb.168:                              ;   in Loop: Header=BB634_15 Depth=1
	v_and_b32_e32 v32, 7, v30
	v_ffbh_u32_e32 v36, v32
	v_min_u32_e32 v42, 32, v36
	v_subrev_u32_e32 v36, 28, v42
	v_lshlrev_b64 v[36:37], v36, v[30:31]
	v_lshrrev_b32_e32 v40, 3, v35
	v_sub_u32_e32 v30, 29, v42
	v_and_b32_e32 v36, 7, v36
	v_cmp_gt_u32_e32 vcc, 8, v35
	v_cndmask_b32_e32 v30, v40, v30, vcc
	v_cndmask_b32_e32 v32, v32, v36, vcc
	v_lshlrev_b32_e32 v35, 16, v28
	v_lshlrev_b32_e32 v32, 20, v32
	v_and_b32_e32 v35, 0x80000000, v35
	v_lshl_add_u32 v30, v30, 23, v33
	v_or3_b32 v32, v35, v30, v32
.LBB634_169:                            ;   in Loop: Header=BB634_15 Depth=1
	s_or_b64 exec, exec, s[10:11]
.LBB634_170:                            ;   in Loop: Header=BB634_15 Depth=1
	s_or_b64 exec, exec, s[6:7]
.LBB634_171:                            ;   in Loop: Header=BB634_15 Depth=1
	s_or_b64 exec, exec, s[4:5]
	v_lshrrev_b32_e32 v30, 16, v28
	v_cmp_ne_u16_sdwa s[6:7], v30, v29 src0_sel:BYTE_0 src1_sel:DWORD
	s_and_saveexec_b64 s[4:5], s[6:7]
	s_cbranch_execz .LBB634_177
; %bb.172:                              ;   in Loop: Header=BB634_15 Depth=1
	v_cmp_ne_u16_sdwa s[10:11], v30, s13 src0_sel:BYTE_0 src1_sel:DWORD
	v_bfrev_b32_e32 v23, 1
	s_and_saveexec_b64 s[6:7], s[10:11]
	s_cbranch_execz .LBB634_176
; %bb.173:                              ;   in Loop: Header=BB634_15 Depth=1
	v_bfe_u32 v35, v28, 16, 7
	v_cmp_ne_u32_e32 vcc, s14, v35
	v_mov_b32_e32 v23, 0x7f800001
	s_and_saveexec_b64 s[10:11], vcc
	s_cbranch_execz .LBB634_175
; %bb.174:                              ;   in Loop: Header=BB634_15 Depth=1
	v_and_b32_e32 v23, 7, v30
	v_ffbh_u32_e32 v36, v23
	v_min_u32_e32 v42, 32, v36
	v_subrev_u32_e32 v36, 28, v42
	v_lshlrev_b64 v[36:37], v36, v[30:31]
	v_lshrrev_b32_e32 v40, 3, v35
	v_sub_u32_e32 v37, 29, v42
	v_and_b32_e32 v36, 7, v36
	v_cmp_gt_u32_e32 vcc, 8, v35
	v_cndmask_b32_e32 v35, v40, v37, vcc
	v_cndmask_b32_e32 v23, v23, v36, vcc
	v_lshlrev_b32_e32 v30, 24, v30
	v_lshlrev_b32_e32 v23, 20, v23
	v_and_b32_e32 v30, 0x80000000, v30
	v_lshl_add_u32 v35, v35, 23, v33
	v_or3_b32 v23, v30, v35, v23
.LBB634_175:                            ;   in Loop: Header=BB634_15 Depth=1
	s_or_b64 exec, exec, s[10:11]
.LBB634_176:                            ;   in Loop: Header=BB634_15 Depth=1
	s_or_b64 exec, exec, s[6:7]
.LBB634_177:                            ;   in Loop: Header=BB634_15 Depth=1
	s_or_b64 exec, exec, s[4:5]
	v_cmp_lt_u32_e32 vcc, s15, v28
	v_mov_b32_e32 v35, 0
	v_mov_b32_e32 v36, 0
	s_and_saveexec_b64 s[4:5], vcc
	s_cbranch_execz .LBB634_183
; %bb.178:                              ;   in Loop: Header=BB634_15 Depth=1
	v_lshrrev_b32_e32 v30, 24, v28
	v_cmp_ne_u32_e32 vcc, s13, v30
	v_bfrev_b32_e32 v36, 1
	s_and_saveexec_b64 s[6:7], vcc
	s_cbranch_execz .LBB634_182
; %bb.179:                              ;   in Loop: Header=BB634_15 Depth=1
	v_bfe_u32 v28, v28, 24, 7
	v_cmp_ne_u32_e32 vcc, s14, v28
	v_mov_b32_e32 v36, 0x7f800001
	s_and_saveexec_b64 s[10:11], vcc
	s_cbranch_execz .LBB634_181
; %bb.180:                              ;   in Loop: Header=BB634_15 Depth=1
	v_and_b32_e32 v40, 7, v30
	v_ffbh_u32_e32 v36, v40
	v_min_u32_e32 v43, 32, v36
	v_subrev_u32_e32 v36, 28, v43
	v_lshlrev_b64 v[36:37], v36, v[30:31]
	v_lshrrev_b32_e32 v42, 3, v28
	v_sub_u32_e32 v37, 29, v43
	v_and_b32_e32 v36, 7, v36
	v_cmp_gt_u32_e32 vcc, 8, v28
	v_cndmask_b32_e32 v28, v42, v37, vcc
	v_cndmask_b32_e32 v36, v40, v36, vcc
	v_lshlrev_b32_e32 v30, 24, v30
	v_lshlrev_b32_e32 v36, 20, v36
	v_and_b32_e32 v30, 0x80000000, v30
	v_lshl_add_u32 v28, v28, 23, v33
	v_or3_b32 v36, v30, v28, v36
.LBB634_181:                            ;   in Loop: Header=BB634_15 Depth=1
	s_or_b64 exec, exec, s[10:11]
.LBB634_182:                            ;   in Loop: Header=BB634_15 Depth=1
	s_or_b64 exec, exec, s[6:7]
.LBB634_183:                            ;   in Loop: Header=BB634_15 Depth=1
	s_or_b64 exec, exec, s[4:5]
	s_waitcnt vmcnt(0)
	v_cmp_ne_u16_sdwa s[6:7], v26, v29 src0_sel:BYTE_0 src1_sel:DWORD
	s_and_saveexec_b64 s[4:5], s[6:7]
	s_cbranch_execz .LBB634_189
; %bb.184:                              ;   in Loop: Header=BB634_15 Depth=1
	v_cmp_ne_u16_sdwa s[10:11], v26, s13 src0_sel:BYTE_0 src1_sel:DWORD
	v_bfrev_b32_e32 v35, 1
	s_and_saveexec_b64 s[6:7], s[10:11]
	s_cbranch_execz .LBB634_188
; %bb.185:                              ;   in Loop: Header=BB634_15 Depth=1
	v_and_b32_e32 v28, 0x7f, v26
	v_cmp_ne_u32_e32 vcc, s14, v28
	v_mov_b32_e32 v35, 0x7f800001
	s_and_saveexec_b64 s[10:11], vcc
	s_cbranch_execz .LBB634_187
; %bb.186:                              ;   in Loop: Header=BB634_15 Depth=1
	v_and_b32_e32 v30, 7, v26
	v_ffbh_u32_e32 v37, v30
	v_min_u32_e32 v37, 32, v37
	v_subrev_u32_e32 v40, 28, v37
	v_lshlrev_b64 v[42:43], v40, v[26:27]
	v_lshrrev_b32_e32 v35, 3, v28
	v_sub_u32_e32 v37, 29, v37
	v_and_b32_e32 v40, 7, v42
	v_cmp_gt_u32_e32 vcc, 8, v28
	v_cndmask_b32_e32 v28, v35, v37, vcc
	v_cndmask_b32_e32 v30, v30, v40, vcc
	v_lshlrev_b32_e32 v35, 24, v26
	v_lshlrev_b32_e32 v30, 20, v30
	v_and_b32_e32 v35, 0x80000000, v35
	v_lshl_add_u32 v28, v28, 23, v33
	v_or3_b32 v35, v35, v28, v30
.LBB634_187:                            ;   in Loop: Header=BB634_15 Depth=1
	s_or_b64 exec, exec, s[10:11]
.LBB634_188:                            ;   in Loop: Header=BB634_15 Depth=1
	s_or_b64 exec, exec, s[6:7]
.LBB634_189:                            ;   in Loop: Header=BB634_15 Depth=1
	s_or_b64 exec, exec, s[4:5]
	v_lshrrev_b16_e32 v28, 8, v26
	v_cmp_ne_u16_e32 vcc, 0, v28
	v_mov_b32_e32 v30, 0
	v_mov_b32_e32 v37, 0
	s_and_saveexec_b64 s[4:5], vcc
	s_cbranch_execz .LBB634_195
; %bb.190:                              ;   in Loop: Header=BB634_15 Depth=1
	v_cmp_ne_u16_e32 vcc, s13, v28
	v_bfrev_b32_e32 v37, 1
	s_and_saveexec_b64 s[6:7], vcc
	s_cbranch_execz .LBB634_194
; %bb.191:                              ;   in Loop: Header=BB634_15 Depth=1
	v_and_b32_e32 v40, 0x7f, v28
	v_cmp_ne_u32_e32 vcc, s14, v40
	v_mov_b32_e32 v37, 0x7f800001
	s_and_saveexec_b64 s[10:11], vcc
	s_cbranch_execz .LBB634_193
; %bb.192:                              ;   in Loop: Header=BB634_15 Depth=1
	v_and_b32_e32 v37, 7, v28
	v_ffbh_u32_e32 v42, v37
	v_min_u32_e32 v45, 32, v42
	v_subrev_u32_e32 v42, 28, v45
	v_lshlrev_b64 v[42:43], v42, v[28:29]
	v_lshrrev_b32_e32 v44, 3, v40
	v_sub_u32_e32 v28, 29, v45
	v_and_b32_e32 v42, 7, v42
	v_cmp_gt_u32_e32 vcc, 8, v40
	v_cndmask_b32_e32 v28, v44, v28, vcc
	v_cndmask_b32_e32 v37, v37, v42, vcc
	v_lshlrev_b32_e32 v40, 16, v26
	v_lshlrev_b32_e32 v37, 20, v37
	v_and_b32_e32 v40, 0x80000000, v40
	v_lshl_add_u32 v28, v28, 23, v33
	v_or3_b32 v37, v40, v28, v37
.LBB634_193:                            ;   in Loop: Header=BB634_15 Depth=1
	s_or_b64 exec, exec, s[10:11]
.LBB634_194:                            ;   in Loop: Header=BB634_15 Depth=1
	s_or_b64 exec, exec, s[6:7]
.LBB634_195:                            ;   in Loop: Header=BB634_15 Depth=1
	s_or_b64 exec, exec, s[4:5]
	v_lshrrev_b32_e32 v28, 16, v26
	v_cmp_ne_u16_sdwa s[6:7], v28, v29 src0_sel:BYTE_0 src1_sel:DWORD
	s_and_saveexec_b64 s[4:5], s[6:7]
	s_cbranch_execz .LBB634_201
; %bb.196:                              ;   in Loop: Header=BB634_15 Depth=1
	v_cmp_ne_u16_sdwa s[10:11], v28, s13 src0_sel:BYTE_0 src1_sel:DWORD
	v_bfrev_b32_e32 v30, 1
	s_and_saveexec_b64 s[6:7], s[10:11]
	s_cbranch_execz .LBB634_200
; %bb.197:                              ;   in Loop: Header=BB634_15 Depth=1
	v_bfe_u32 v40, v26, 16, 7
	v_cmp_ne_u32_e32 vcc, s14, v40
	v_mov_b32_e32 v30, 0x7f800001
	s_and_saveexec_b64 s[10:11], vcc
	s_cbranch_execz .LBB634_199
; %bb.198:                              ;   in Loop: Header=BB634_15 Depth=1
	v_and_b32_e32 v30, 7, v28
	v_ffbh_u32_e32 v42, v30
	v_min_u32_e32 v45, 32, v42
	v_subrev_u32_e32 v42, 28, v45
	v_lshlrev_b64 v[42:43], v42, v[28:29]
	v_lshrrev_b32_e32 v44, 3, v40
	v_sub_u32_e32 v43, 29, v45
	v_and_b32_e32 v42, 7, v42
	v_cmp_gt_u32_e32 vcc, 8, v40
	v_cndmask_b32_e32 v40, v44, v43, vcc
	v_cndmask_b32_e32 v30, v30, v42, vcc
	v_lshlrev_b32_e32 v28, 24, v28
	v_lshlrev_b32_e32 v30, 20, v30
	v_and_b32_e32 v28, 0x80000000, v28
	v_lshl_add_u32 v40, v40, 23, v33
	v_or3_b32 v30, v28, v40, v30
.LBB634_199:                            ;   in Loop: Header=BB634_15 Depth=1
	s_or_b64 exec, exec, s[10:11]
.LBB634_200:                            ;   in Loop: Header=BB634_15 Depth=1
	s_or_b64 exec, exec, s[6:7]
.LBB634_201:                            ;   in Loop: Header=BB634_15 Depth=1
	s_or_b64 exec, exec, s[4:5]
	v_cmp_lt_u32_e32 vcc, s15, v26
	v_mov_b32_e32 v40, 0
	s_and_saveexec_b64 s[4:5], vcc
	s_cbranch_execz .LBB634_14
; %bb.202:                              ;   in Loop: Header=BB634_15 Depth=1
	v_lshrrev_b32_e32 v28, 24, v26
	v_cmp_ne_u32_e32 vcc, s13, v28
	v_bfrev_b32_e32 v40, 1
	s_and_saveexec_b64 s[6:7], vcc
	s_cbranch_execz .LBB634_13
; %bb.203:                              ;   in Loop: Header=BB634_15 Depth=1
	v_bfe_u32 v26, v26, 24, 7
	v_cmp_ne_u32_e32 vcc, s14, v26
	v_mov_b32_e32 v40, 0x7f800001
	s_and_saveexec_b64 s[10:11], vcc
	s_cbranch_execz .LBB634_12
; %bb.204:                              ;   in Loop: Header=BB634_15 Depth=1
	v_and_b32_e32 v40, 7, v28
	v_ffbh_u32_e32 v42, v40
	v_min_u32_e32 v45, 32, v42
	v_subrev_u32_e32 v42, 28, v45
	v_lshlrev_b64 v[42:43], v42, v[28:29]
	v_lshrrev_b32_e32 v44, 3, v26
	v_sub_u32_e32 v43, 29, v45
	v_and_b32_e32 v42, 7, v42
	v_cmp_gt_u32_e32 vcc, 8, v26
	v_cndmask_b32_e32 v26, v44, v43, vcc
	v_cndmask_b32_e32 v40, v40, v42, vcc
	v_lshlrev_b32_e32 v28, 24, v28
	v_lshlrev_b32_e32 v40, 20, v40
	v_and_b32_e32 v28, 0x80000000, v28
	v_lshl_add_u32 v26, v26, 23, v33
	v_or3_b32 v40, v28, v26, v40
	s_branch .LBB634_12
.LBB634_205:
	buffer_load_dword v13, off, s[0:3], 0 offset:256
	buffer_load_dword v14, off, s[0:3], 0 offset:260
	;; [unrolled: 1-line block ×16, first 2 shown]
	v_and_b32_e32 v12, 0xc0, v0
	v_add_u32_e32 v12, s20, v12
	v_lshl_or_b32 v12, v1, 2, v12
	v_or_b32_e32 v23, 1, v12
	v_mov_b32_e32 v19, 0xff7fffff
	v_or_b32_e32 v24, 2, v12
	v_or_b32_e32 v25, 3, v12
	v_cmp_gt_i32_e64 s[26:27], s33, v12
	v_cmp_gt_i32_e64 s[28:29], s33, v23
	s_mov_b32 s52, 0xff7fffff
	v_or_b32_e32 v26, 16, v12
	v_or_b32_e32 v27, 17, v12
	;; [unrolled: 1-line block ×12, first 2 shown]
	v_cmp_gt_i32_e64 s[30:31], s33, v24
	v_cmp_gt_i32_e64 s[34:35], s33, v25
	v_mbcnt_lo_u32_b32 v20, -1, 0
	v_cmp_gt_i32_e64 s[36:37], s33, v26
	v_cmp_gt_i32_e64 s[38:39], s33, v27
	v_mbcnt_hi_u32_b32 v20, -1, v20
	v_cmp_gt_i32_e64 s[20:21], s33, v28
	v_cmp_gt_i32_e64 s[22:23], s33, v29
	v_and_b32_e32 v21, 64, v20
	v_cmp_gt_i32_e64 s[16:17], s33, v30
	v_cmp_gt_i32_e64 s[18:19], s33, v31
	v_xor_b32_e32 v22, 32, v20
	v_add_u32_e32 v21, 64, v21
	v_cmp_gt_i32_e64 s[12:13], s33, v32
	v_cmp_gt_i32_e64 s[14:15], s33, v33
	v_cmp_lt_i32_e32 vcc, v22, v21
	v_cmp_gt_i32_e64 s[6:7], s33, v34
	v_cmp_gt_i32_e64 s[10:11], s33, v35
	v_cndmask_b32_e32 v22, v20, v22, vcc
	v_cmp_gt_i32_e32 vcc, s33, v36
	v_cmp_gt_i32_e64 s[4:5], s33, v37
	v_lshlrev_b32_e32 v22, 2, v22
	s_waitcnt vmcnt(15)
	v_cndmask_b32_e64 v12, v19, v13, s[26:27]
	s_waitcnt vmcnt(14)
	v_cndmask_b32_e64 v23, v19, v14, s[28:29]
	;; [unrolled: 2-line block ×4, first 2 shown]
	v_max3_f32 v12, v12, s52, v23
	s_waitcnt vmcnt(11)
	v_cndmask_b32_e64 v26, v19, v17, s[36:37]
	s_waitcnt vmcnt(10)
	v_cndmask_b32_e64 v27, v19, v18, s[38:39]
	v_max3_f32 v12, v12, v24, v25
	s_waitcnt vmcnt(9)
	v_cndmask_b32_e64 v28, v19, v11, s[20:21]
	s_waitcnt vmcnt(8)
	v_cndmask_b32_e64 v29, v19, v10, s[22:23]
	;; [unrolled: 5-line block ×5, first 2 shown]
	v_max3_f32 v12, v12, v32, v33
	s_waitcnt vmcnt(1)
	v_cndmask_b32_e32 v36, v19, v3, vcc
	s_waitcnt vmcnt(0)
	v_cndmask_b32_e64 v19, v19, v2, s[4:5]
	v_max3_f32 v12, v12, v34, v35
	v_max3_f32 v12, v12, v36, v19
	ds_bpermute_b32 v19, v22, v12
	v_xor_b32_e32 v23, 16, v20
	v_cmp_lt_i32_e64 s[40:41], v23, v21
	v_cndmask_b32_e64 v20, v20, v23, s[40:41]
	v_lshlrev_b32_e32 v20, 2, v20
	s_waitcnt lgkmcnt(0)
	v_max_f32_e32 v19, v19, v19
	v_max_f32_e32 v12, v12, v19
	ds_bpermute_b32 v19, v20, v12
	s_waitcnt lgkmcnt(0)
	v_max_f32_e32 v19, v19, v19
	v_max_f32_e32 v12, v12, v19
	v_sub_f32_e32 v13, v13, v12
	v_sub_f32_e32 v14, v14, v12
	;; [unrolled: 1-line block ×3, first 2 shown]
	v_mul_f32_e32 v13, 0x3fb8aa3b, v13
	v_mul_f32_e32 v14, 0x3fb8aa3b, v14
	;; [unrolled: 1-line block ×3, first 2 shown]
	v_exp_f32_e32 v13, v13
	v_exp_f32_e32 v14, v14
	v_exp_f32_e32 v15, v15
	v_sub_f32_e32 v16, v16, v12
	v_cndmask_b32_e64 v13, 0, v13, s[26:27]
	v_mul_f32_e32 v16, 0x3fb8aa3b, v16
	v_cndmask_b32_e64 v14, 0, v14, s[28:29]
	v_cndmask_b32_e64 v15, 0, v15, s[30:31]
	v_add_f32_e32 v19, 0, v13
	buffer_store_dword v13, off, s[0:3], 0 offset:256
	buffer_store_dword v14, off, s[0:3], 0 offset:260
	;; [unrolled: 1-line block ×3, first 2 shown]
	v_sub_f32_e32 v13, v17, v12
	v_exp_f32_e32 v16, v16
	v_add_f32_e32 v19, v19, v14
	v_mul_f32_e32 v13, 0x3fb8aa3b, v13
	v_sub_f32_e32 v14, v18, v12
	v_exp_f32_e32 v13, v13
	v_mul_f32_e32 v14, 0x3fb8aa3b, v14
	v_sub_f32_e32 v11, v11, v12
	v_exp_f32_e32 v14, v14
	;; [unrolled: 3-line block ×3, first 2 shown]
	v_mul_f32_e32 v10, 0x3fb8aa3b, v10
	v_sub_f32_e32 v9, v9, v12
	v_cndmask_b32_e64 v16, 0, v16, s[34:35]
	v_add_f32_e32 v19, v19, v15
	v_exp_f32_e32 v10, v10
	v_mul_f32_e32 v9, 0x3fb8aa3b, v9
	v_sub_f32_e32 v8, v8, v12
	v_add_f32_e32 v19, v19, v16
	v_cndmask_b32_e64 v13, 0, v13, s[36:37]
	v_exp_f32_e32 v9, v9
	v_mul_f32_e32 v8, 0x3fb8aa3b, v8
	v_sub_f32_e32 v7, v7, v12
	v_add_f32_e32 v15, v19, v13
	v_cndmask_b32_e64 v14, 0, v14, s[38:39]
	;; [unrolled: 5-line block ×5, first 2 shown]
	v_exp_f32_e32 v5, v5
	v_mul_f32_e32 v4, 0x3fb8aa3b, v4
	v_sub_f32_e32 v3, v3, v12
	buffer_store_dword v16, off, s[0:3], 0 offset:268
	buffer_store_dword v13, off, s[0:3], 0 offset:272
	;; [unrolled: 1-line block ×5, first 2 shown]
	v_add_f32_e32 v10, v15, v9
	v_cndmask_b32_e64 v8, 0, v8, s[18:19]
	v_exp_f32_e32 v4, v4
	v_mul_f32_e32 v3, 0x3fb8aa3b, v3
	v_sub_f32_e32 v2, v2, v12
	v_add_f32_e32 v10, v10, v8
	v_cndmask_b32_e64 v7, 0, v7, s[12:13]
	v_exp_f32_e32 v3, v3
	v_mul_f32_e32 v2, 0x3fb8aa3b, v2
	v_add_f32_e32 v10, v10, v7
	v_cndmask_b32_e64 v6, 0, v6, s[14:15]
	v_exp_f32_e32 v2, v2
	v_add_f32_e32 v10, v10, v6
	v_cndmask_b32_e64 v5, 0, v5, s[6:7]
	buffer_store_dword v9, off, s[0:3], 0 offset:288
	buffer_store_dword v8, off, s[0:3], 0 offset:292
	;; [unrolled: 1-line block ×4, first 2 shown]
	v_add_f32_e32 v6, v10, v5
	v_cndmask_b32_e64 v4, 0, v4, s[10:11]
	v_add_f32_e32 v6, v6, v4
	v_cndmask_b32_e32 v3, 0, v3, vcc
	v_add_f32_e32 v6, v6, v3
	v_cndmask_b32_e64 v2, 0, v2, s[4:5]
	v_add_f32_e32 v6, v6, v2
	ds_bpermute_b32 v7, v22, v6
	buffer_store_dword v5, off, s[0:3], 0 offset:304
	buffer_store_dword v4, off, s[0:3], 0 offset:308
	;; [unrolled: 1-line block ×4, first 2 shown]
	v_cmp_gt_u32_e64 s[4:5], 16, v38
	s_waitcnt lgkmcnt(0)
	s_barrier
	v_add_f32_e32 v2, v6, v7
	ds_bpermute_b32 v3, v20, v2
	s_waitcnt lgkmcnt(0)
	s_and_saveexec_b64 s[6:7], s[4:5]
	s_cbranch_execz .LBB634_207
; %bb.206:
	v_add_f32_e32 v2, v2, v3
	v_lshlrev_b32_e32 v3, 2, v63
	ds_write2st64_b32 v3, v12, v2 offset1:1
.LBB634_207:
	s_or_b64 exec, exec, s[6:7]
	v_lshlrev_b32_e32 v2, 2, v55
	s_waitcnt lgkmcnt(0)
	s_barrier
	ds_read2_b32 v[12:13], v2 offset1:16
	ds_read2_b32 v[14:15], v2 offset0:32 offset1:48
	ds_read2_b32 v[6:7], v2 offset0:64 offset1:80
	;; [unrolled: 1-line block ×3, first 2 shown]
	s_waitcnt lgkmcnt(0)
	s_barrier
	buffer_load_dword v20, off, s[0:3], 0 offset:256
	buffer_load_dword v21, off, s[0:3], 0 offset:260
	;; [unrolled: 1-line block ×16, first 2 shown]
	v_lshlrev_b32_e32 v19, 3, v1
	v_lshlrev_b32_e32 v18, 5, v55
	;; [unrolled: 1-line block ×3, first 2 shown]
	v_or3_b32 v43, v28, v18, v19
	v_max3_f32 v19, v12, s52, v13
	v_max3_f32 v19, v19, v14, v15
	v_sub_f32_e32 v12, v12, v19
	v_sub_f32_e32 v13, v13, v19
	v_mul_f32_e32 v12, 0x3fb8aa3b, v12
	v_sub_f32_e32 v14, v14, v19
	v_mul_f32_e32 v13, 0x3fb8aa3b, v13
	v_exp_f32_e32 v12, v12
	v_sub_f32_e32 v15, v15, v19
	v_mul_f32_e32 v14, 0x3fb8aa3b, v14
	v_exp_f32_e32 v13, v13
	v_mul_f32_e32 v15, 0x3fb8aa3b, v15
	v_exp_f32_e32 v14, v14
	v_exp_f32_e32 v15, v15
	v_fma_f32 v6, v12, v6, 0
	v_fmac_f32_e32 v6, v13, v7
	v_fmac_f32_e32 v6, v14, v10
	;; [unrolled: 1-line block ×3, first 2 shown]
	v_cmp_eq_u32_e32 vcc, 1, v62
	v_add_f32_e32 v10, 0x358637bd, v6
	v_cndmask_b32_e32 v12, v12, v13, vcc
	v_cmp_eq_u32_e32 vcc, 2, v62
	v_div_scale_f32 v11, s[6:7], v10, v10, 1.0
	v_cndmask_b32_e32 v7, v12, v14, vcc
	v_rcp_f32_e32 v12, v11
	v_cmp_eq_u32_e32 vcc, 3, v62
	v_cndmask_b32_e32 v7, v7, v15, vcc
	v_div_scale_f32 v13, vcc, 1.0, v10, 1.0
	v_fma_f32 v14, -v11, v12, 1.0
	v_fmac_f32_e32 v12, v14, v12
	v_mul_f32_e32 v14, v13, v12
	v_fma_f32 v15, -v11, v14, v13
	v_fmac_f32_e32 v14, v15, v12
	v_fma_f32 v11, -v11, v14, v13
	v_div_fmas_f32 v11, v11, v12, v14
	v_div_fixup_f32 v10, v11, v10, 1.0
	v_mul_f32_e32 v10, v7, v10
	s_mul_i32 s20, s51, 13
	v_cmp_gt_u32_e32 vcc, 13, v0
	s_waitcnt vmcnt(14)
	v_pk_mul_f32 v[14:15], v[10:11], v[20:21] op_sel_hi:[0,1]
	v_cvt_f16_f32_e32 v7, v14
	s_waitcnt vmcnt(12)
	v_pk_mul_f32 v[12:13], v[10:11], v[22:23] op_sel_hi:[0,1]
	buffer_store_dword v14, off, s[0:3], 0 offset:256
	buffer_store_dword v15, off, s[0:3], 0 offset:260
	;; [unrolled: 1-line block ×3, first 2 shown]
	s_waitcnt vmcnt(13)
	v_pk_mul_f32 v[20:21], v[10:11], v[24:25] op_sel_hi:[0,1]
	v_cvt_f16_f32_e32 v14, v12
	s_waitcnt vmcnt(11)
	v_pk_mul_f32 v[22:23], v[10:11], v[26:27] op_sel_hi:[0,1]
	v_cvt_f16_f32_e32 v11, v15
	v_cvt_f16_f32_e32 v15, v13
	buffer_store_dword v13, off, s[0:3], 0 offset:268
	buffer_store_dword v22, off, s[0:3], 0 offset:272
	;; [unrolled: 1-line block ×3, first 2 shown]
	v_pack_b32_f16 v12, v7, v11
	v_cvt_f16_f32_e32 v11, v23
	v_pack_b32_f16 v13, v14, v15
	v_cvt_f16_f32_e32 v7, v22
	v_cvt_f16_f32_e32 v15, v20
	;; [unrolled: 1-line block ×3, first 2 shown]
	s_waitcnt vmcnt(12)
	v_pk_mul_f32 v[4:5], v[10:11], v[4:5] op_sel_hi:[0,1]
	v_pack_b32_f16 v14, v7, v11
	s_waitcnt vmcnt(10)
	v_pk_mul_f32 v[2:3], v[10:11], v[2:3] op_sel_hi:[0,1]
	v_pack_b32_f16 v15, v15, v22
	v_cvt_f16_f32_e32 v11, v5
	buffer_store_dword v20, off, s[0:3], 0 offset:280
	buffer_store_dword v21, off, s[0:3], 0 offset:284
	ds_write2st64_b64 v43, v[12:13], v[14:15] offset1:1
	buffer_store_dword v2, off, s[0:3], 0 offset:288
	buffer_store_dword v3, off, s[0:3], 0 offset:292
	v_cvt_f16_f32_e32 v2, v2
	v_cvt_f16_f32_e32 v3, v3
	;; [unrolled: 1-line block ×3, first 2 shown]
	buffer_store_dword v4, off, s[0:3], 0 offset:296
	buffer_store_dword v5, off, s[0:3], 0 offset:300
	s_waitcnt vmcnt(12)
	v_pk_mul_f32 v[4:5], v[10:11], v[16:17] op_sel_hi:[0,1]
	v_pk_mul_f32 v[8:9], v[10:11], v[8:9] op_sel_hi:[0,1]
	v_pack_b32_f16 v2, v2, v3
	v_pack_b32_f16 v3, v7, v11
	buffer_store_dword v8, off, s[0:3], 0 offset:304
	buffer_store_dword v9, off, s[0:3], 0 offset:308
	v_cvt_f16_f32_e32 v7, v8
	v_cvt_f16_f32_e32 v8, v9
	;; [unrolled: 1-line block ×4, first 2 shown]
	buffer_store_dword v4, off, s[0:3], 0 offset:312
	buffer_store_dword v5, off, s[0:3], 0 offset:316
	v_pack_b32_f16 v4, v7, v8
	v_pack_b32_f16 v5, v9, v10
	ds_write2st64_b64 v43, v[2:3], v[4:5] offset0:2 offset1:3
	s_and_saveexec_b64 s[6:7], vcc
	s_cbranch_execz .LBB634_209
; %bb.208:
	v_add_co_u32_e32 v4, vcc, s25, v55
	v_addc_co_u32_e64 v5, s[10:11], 0, 0, vcc
	v_mov_b32_e32 v2, s20
	v_mov_b32_e32 v3, 0
	v_mad_u64_u32 v[4:5], s[10:11], s8, v2, v[4:5]
	v_mov_b32_e32 v2, s24
	s_mul_i32 s9, s9, s20
	v_mad_u64_u32 v[2:3], s[10:11], v4, s50, v[2:3]
	v_add_u32_e32 v5, s9, v5
	v_mov_b32_e32 v4, v3
	v_mad_u64_u32 v[4:5], s[10:11], v5, s50, v[4:5]
	v_mov_b32_e32 v3, v4
	v_lshlrev_b64 v[2:3], 2, v[2:3]
	v_mov_b32_e32 v5, s47
	v_add_co_u32_e32 v4, vcc, s46, v2
	v_addc_co_u32_e32 v5, vcc, v5, v3, vcc
	global_store_dword v[4:5], v19, off
	v_mov_b32_e32 v4, s45
	v_add_co_u32_e32 v2, vcc, s44, v2
	v_addc_co_u32_e32 v3, vcc, v4, v3, vcc
	global_store_dword v[2:3], v6, off
.LBB634_209:
	s_or_b64 exec, exec, s[6:7]
	v_lshl_or_b32 v30, v1, 9, v18
	s_waitcnt lgkmcnt(0)
	s_barrier
	s_load_dword s6, s[42:43], 0x0
	ds_read_b128 v[2:5], v30
	ds_read_b128 v[6:9], v30 offset:16
	ds_read_b128 v[10:13], v30 offset:2048
	;; [unrolled: 1-line block ×7, first 2 shown]
	v_mov_b32_e32 v35, 0x80
	v_mov_b32_e32 v45, 0x140
	s_mov_b64 s[12:13], -1
	s_waitcnt lgkmcnt(0)
	s_mov_b32 s7, s6
	s_mov_b32 s10, s6
	;; [unrolled: 1-line block ×3, first 2 shown]
	s_movk_i32 s9, 0x80
	s_movk_i32 s21, 0x7f
	s_mov_b32 s22, 0xffffff
	v_mov_b32_e32 v47, 0
	v_bfrev_b32_e32 v48, 60
	s_branch .LBB634_213
.LBB634_210:                            ;   in Loop: Header=BB634_213 Depth=1
	s_or_b64 exec, exec, s[18:19]
.LBB634_211:                            ;   in Loop: Header=BB634_213 Depth=1
	s_or_b64 exec, exec, s[16:17]
.LBB634_212:                            ;   in Loop: Header=BB634_213 Depth=1
	s_or_b64 exec, exec, s[14:15]
	v_cvt_pkrtz_f16_f32 v60, v46, v49
	v_cvt_pkrtz_f16_f32 v61, v44, v51
	s_xor_b64 s[14:15], s[12:13], -1
	s_mov_b64 s[12:13], 0
	v_mov_b32_e32 v59, v58
	v_mfma_f32_16x16x16f16 v[62:65], v[60:61], v[30:31], v[34:37]
	v_mov_b32_e32 v61, v41
	v_mov_b32_e32 v60, v57
	s_and_b64 vcc, exec, s[14:15]
	s_nop 3
	v_cvt_pkrtz_f16_f32 v36, v50, v52
	v_cvt_pkrtz_f16_f32 v37, v42, v53
	v_mov_b32_e32 v35, v39
	s_nop 0
	v_mfma_f32_16x16x16f16 v[50:53], v[36:37], v[32:33], v[62:65]
	s_nop 7
	s_nop 2
	v_pk_mul_f32 v[50:51], v[50:51], s[6:7]
	v_pk_mul_f32 v[36:37], v[52:53], s[10:11]
	v_cvt_f16_f32_e32 v34, v50
	v_cvt_f16_f32_e32 v38, v51
	;; [unrolled: 1-line block ×4, first 2 shown]
	v_pack_b32_f16 v34, v34, v38
	v_pack_b32_f16 v36, v36, v37
	buffer_store_dword v34, v45, s[0:3], 0 offen
	buffer_store_dword v36, v45, s[0:3], 0 offen offset:4
	v_mov_b32_e32 v45, 0x148
	s_cbranch_vccnz .LBB634_595
.LBB634_213:                            ; =>This Inner Loop Header: Depth=1
	buffer_load_dword v36, v35, s[0:3], 0 offen
	buffer_load_dword v34, v35, s[0:3], 0 offen offset:4
	buffer_load_dword v40, v35, s[0:3], 0 offen offset:8
	;; [unrolled: 1-line block ×3, first 2 shown]
	v_mov_b32_e32 v35, 0
	s_waitcnt vmcnt(3)
	v_cmp_ne_u16_sdwa s[16:17], v36, v47 src0_sel:BYTE_0 src1_sel:DWORD
	s_and_saveexec_b64 s[14:15], s[16:17]
	s_cbranch_execz .LBB634_219
; %bb.214:                              ;   in Loop: Header=BB634_213 Depth=1
	v_cmp_ne_u16_sdwa s[18:19], v36, s9 src0_sel:BYTE_0 src1_sel:DWORD
	v_bfrev_b32_e32 v35, 1
	s_and_saveexec_b64 s[16:17], s[18:19]
	s_cbranch_execz .LBB634_218
; %bb.215:                              ;   in Loop: Header=BB634_213 Depth=1
	v_and_b32_e32 v37, 0x7f, v36
	v_cmp_ne_u32_e32 vcc, s21, v37
	v_mov_b32_e32 v35, 0x7f800001
	s_and_saveexec_b64 s[18:19], vcc
	s_cbranch_execz .LBB634_217
; %bb.216:                              ;   in Loop: Header=BB634_213 Depth=1
	v_and_b32_e32 v35, 7, v36
	v_ffbh_u32_e32 v44, v35
	v_min_u32_e32 v44, 32, v44
	v_subrev_u32_e32 v46, 28, v44
	v_lshlrev_b64 v[50:51], v46, v[36:37]
	v_lshrrev_b32_e32 v42, 3, v37
	v_sub_u32_e32 v44, 29, v44
	v_and_b32_e32 v46, 7, v50
	v_cmp_gt_u32_e32 vcc, 8, v37
	v_cndmask_b32_e32 v37, v42, v44, vcc
	v_cndmask_b32_e32 v35, v35, v46, vcc
	v_lshlrev_b32_e32 v42, 24, v36
	v_lshlrev_b32_e32 v35, 20, v35
	v_and_b32_e32 v42, 0x80000000, v42
	v_lshl_add_u32 v37, v37, 23, v48
	v_or3_b32 v35, v42, v37, v35
.LBB634_217:                            ;   in Loop: Header=BB634_213 Depth=1
	s_or_b64 exec, exec, s[18:19]
.LBB634_218:                            ;   in Loop: Header=BB634_213 Depth=1
	s_or_b64 exec, exec, s[16:17]
.LBB634_219:                            ;   in Loop: Header=BB634_213 Depth=1
	s_or_b64 exec, exec, s[14:15]
	v_lshrrev_b16_e32 v42, 8, v36
	v_cmp_ne_u16_e32 vcc, 0, v42
	v_mov_b32_e32 v37, 0
	s_and_saveexec_b64 s[14:15], vcc
	s_cbranch_execz .LBB634_225
; %bb.220:                              ;   in Loop: Header=BB634_213 Depth=1
	v_cmp_ne_u16_e32 vcc, s9, v42
	v_bfrev_b32_e32 v37, 1
	s_and_saveexec_b64 s[16:17], vcc
	s_cbranch_execz .LBB634_224
; %bb.221:                              ;   in Loop: Header=BB634_213 Depth=1
	v_and_b32_e32 v44, 0x7f, v42
	v_cmp_ne_u32_e32 vcc, s21, v44
	v_mov_b32_e32 v37, 0x7f800001
	s_and_saveexec_b64 s[18:19], vcc
	s_cbranch_execz .LBB634_223
; %bb.222:                              ;   in Loop: Header=BB634_213 Depth=1
	v_and_b32_e32 v37, 7, v42
	v_ffbh_u32_e32 v49, v37
	v_min_u32_e32 v49, 32, v49
	v_subrev_u32_e32 v50, 28, v49
	v_lshlrev_b64 v[50:51], v50, v[42:43]
	v_lshrrev_b32_e32 v46, 3, v44
	v_sub_u32_e32 v42, 29, v49
	v_and_b32_e32 v49, 7, v50
	v_cmp_gt_u32_e32 vcc, 8, v44
	v_cndmask_b32_e32 v42, v46, v42, vcc
	v_cndmask_b32_e32 v37, v37, v49, vcc
	v_lshlrev_b32_e32 v44, 16, v36
	v_lshlrev_b32_e32 v37, 20, v37
	v_and_b32_e32 v44, 0x80000000, v44
	v_lshl_add_u32 v42, v42, 23, v48
	v_or3_b32 v37, v44, v42, v37
.LBB634_223:                            ;   in Loop: Header=BB634_213 Depth=1
	s_or_b64 exec, exec, s[18:19]
.LBB634_224:                            ;   in Loop: Header=BB634_213 Depth=1
	s_or_b64 exec, exec, s[16:17]
.LBB634_225:                            ;   in Loop: Header=BB634_213 Depth=1
	s_or_b64 exec, exec, s[14:15]
	v_lshrrev_b32_e32 v42, 16, v36
	v_cmp_ne_u16_sdwa s[16:17], v42, v47 src0_sel:BYTE_0 src1_sel:DWORD
	v_mov_b32_e32 v46, 0
	v_mov_b32_e32 v44, 0
	s_and_saveexec_b64 s[14:15], s[16:17]
	s_cbranch_execz .LBB634_231
; %bb.226:                              ;   in Loop: Header=BB634_213 Depth=1
	v_cmp_ne_u16_sdwa s[18:19], v42, s9 src0_sel:BYTE_0 src1_sel:DWORD
	v_bfrev_b32_e32 v44, 1
	s_and_saveexec_b64 s[16:17], s[18:19]
	s_cbranch_execz .LBB634_230
; %bb.227:                              ;   in Loop: Header=BB634_213 Depth=1
	v_bfe_u32 v49, v36, 16, 7
	v_cmp_ne_u32_e32 vcc, s21, v49
	v_mov_b32_e32 v44, 0x7f800001
	s_and_saveexec_b64 s[18:19], vcc
	s_cbranch_execz .LBB634_229
; %bb.228:                              ;   in Loop: Header=BB634_213 Depth=1
	v_and_b32_e32 v44, 7, v42
	v_ffbh_u32_e32 v50, v44
	v_min_u32_e32 v53, 32, v50
	v_subrev_u32_e32 v50, 28, v53
	v_lshlrev_b64 v[50:51], v50, v[42:43]
	v_lshrrev_b32_e32 v52, 3, v49
	v_sub_u32_e32 v51, 29, v53
	v_and_b32_e32 v50, 7, v50
	v_cmp_gt_u32_e32 vcc, 8, v49
	v_cndmask_b32_e32 v49, v52, v51, vcc
	v_cndmask_b32_e32 v44, v44, v50, vcc
	v_lshlrev_b32_e32 v42, 24, v42
	v_lshlrev_b32_e32 v44, 20, v44
	v_and_b32_e32 v42, 0x80000000, v42
	v_lshl_add_u32 v49, v49, 23, v48
	v_or3_b32 v44, v42, v49, v44
.LBB634_229:                            ;   in Loop: Header=BB634_213 Depth=1
	s_or_b64 exec, exec, s[18:19]
.LBB634_230:                            ;   in Loop: Header=BB634_213 Depth=1
	s_or_b64 exec, exec, s[16:17]
.LBB634_231:                            ;   in Loop: Header=BB634_213 Depth=1
	s_or_b64 exec, exec, s[14:15]
	v_cmp_lt_u32_e32 vcc, s22, v36
	s_and_saveexec_b64 s[14:15], vcc
	s_cbranch_execz .LBB634_237
; %bb.232:                              ;   in Loop: Header=BB634_213 Depth=1
	v_lshrrev_b32_e32 v42, 24, v36
	v_cmp_ne_u32_e32 vcc, s9, v42
	v_bfrev_b32_e32 v46, 1
	s_and_saveexec_b64 s[16:17], vcc
	s_cbranch_execz .LBB634_236
; %bb.233:                              ;   in Loop: Header=BB634_213 Depth=1
	v_bfe_u32 v36, v36, 24, 7
	v_cmp_ne_u32_e32 vcc, s21, v36
	v_mov_b32_e32 v46, 0x7f800001
	s_and_saveexec_b64 s[18:19], vcc
	s_cbranch_execz .LBB634_235
; %bb.234:                              ;   in Loop: Header=BB634_213 Depth=1
	v_and_b32_e32 v46, 7, v42
	v_ffbh_u32_e32 v50, v46
	v_min_u32_e32 v52, 32, v50
	v_subrev_u32_e32 v50, 28, v52
	v_lshlrev_b64 v[50:51], v50, v[42:43]
	v_lshrrev_b32_e32 v49, 3, v36
	v_sub_u32_e32 v51, 29, v52
	v_and_b32_e32 v50, 7, v50
	v_cmp_gt_u32_e32 vcc, 8, v36
	v_cndmask_b32_e32 v36, v49, v51, vcc
	v_cndmask_b32_e32 v46, v46, v50, vcc
	v_lshlrev_b32_e32 v42, 24, v42
	v_lshlrev_b32_e32 v46, 20, v46
	v_and_b32_e32 v42, 0x80000000, v42
	v_lshl_add_u32 v36, v36, 23, v48
	v_or3_b32 v46, v42, v36, v46
.LBB634_235:                            ;   in Loop: Header=BB634_213 Depth=1
	s_or_b64 exec, exec, s[18:19]
.LBB634_236:                            ;   in Loop: Header=BB634_213 Depth=1
	s_or_b64 exec, exec, s[16:17]
.LBB634_237:                            ;   in Loop: Header=BB634_213 Depth=1
	s_or_b64 exec, exec, s[14:15]
	s_waitcnt vmcnt(2)
	v_cmp_ne_u16_sdwa s[16:17], v34, v47 src0_sel:BYTE_0 src1_sel:DWORD
	v_mov_b32_e32 v42, 0
	v_mov_b32_e32 v49, 0
	s_and_saveexec_b64 s[14:15], s[16:17]
	s_cbranch_execz .LBB634_243
; %bb.238:                              ;   in Loop: Header=BB634_213 Depth=1
	v_cmp_ne_u16_sdwa s[18:19], v34, s9 src0_sel:BYTE_0 src1_sel:DWORD
	v_bfrev_b32_e32 v49, 1
	s_and_saveexec_b64 s[16:17], s[18:19]
	s_cbranch_execz .LBB634_242
; %bb.239:                              ;   in Loop: Header=BB634_213 Depth=1
	v_and_b32_e32 v36, 0x7f, v34
	v_cmp_ne_u32_e32 vcc, s21, v36
	v_mov_b32_e32 v49, 0x7f800001
	s_and_saveexec_b64 s[18:19], vcc
	s_cbranch_execz .LBB634_241
; %bb.240:                              ;   in Loop: Header=BB634_213 Depth=1
	v_and_b32_e32 v49, 7, v34
	v_ffbh_u32_e32 v50, v49
	v_min_u32_e32 v53, 32, v50
	v_subrev_u32_e32 v50, 28, v53
	v_lshlrev_b64 v[50:51], v50, v[34:35]
	v_lshrrev_b32_e32 v52, 3, v36
	v_sub_u32_e32 v51, 29, v53
	v_and_b32_e32 v50, 7, v50
	v_cmp_gt_u32_e32 vcc, 8, v36
	v_cndmask_b32_e32 v36, v52, v51, vcc
	v_cndmask_b32_e32 v49, v49, v50, vcc
	v_lshlrev_b32_e32 v50, 24, v34
	v_lshlrev_b32_e32 v49, 20, v49
	v_and_b32_e32 v50, 0x80000000, v50
	v_lshl_add_u32 v36, v36, 23, v48
	v_or3_b32 v49, v50, v36, v49
.LBB634_241:                            ;   in Loop: Header=BB634_213 Depth=1
	s_or_b64 exec, exec, s[18:19]
.LBB634_242:                            ;   in Loop: Header=BB634_213 Depth=1
	s_or_b64 exec, exec, s[16:17]
.LBB634_243:                            ;   in Loop: Header=BB634_213 Depth=1
	s_or_b64 exec, exec, s[14:15]
	v_lshrrev_b16_e32 v36, 8, v34
	v_cmp_ne_u16_e32 vcc, 0, v36
	s_and_saveexec_b64 s[14:15], vcc
	s_cbranch_execz .LBB634_249
; %bb.244:                              ;   in Loop: Header=BB634_213 Depth=1
	v_cmp_ne_u16_e32 vcc, s9, v36
	v_bfrev_b32_e32 v42, 1
	s_and_saveexec_b64 s[16:17], vcc
	s_cbranch_execz .LBB634_248
; %bb.245:                              ;   in Loop: Header=BB634_213 Depth=1
	v_and_b32_e32 v50, 0x7f, v36
	v_cmp_ne_u32_e32 vcc, s21, v50
	v_mov_b32_e32 v42, 0x7f800001
	s_and_saveexec_b64 s[18:19], vcc
	s_cbranch_execz .LBB634_247
; %bb.246:                              ;   in Loop: Header=BB634_213 Depth=1
	v_and_b32_e32 v42, 7, v36
	v_ffbh_u32_e32 v52, v42
	v_min_u32_e32 v62, 32, v52
	v_subrev_u32_e32 v52, 28, v62
	v_lshlrev_b64 v[52:53], v52, v[36:37]
	v_lshrrev_b32_e32 v51, 3, v50
	v_sub_u32_e32 v36, 29, v62
	v_and_b32_e32 v52, 7, v52
	v_cmp_gt_u32_e32 vcc, 8, v50
	v_cndmask_b32_e32 v36, v51, v36, vcc
	v_cndmask_b32_e32 v42, v42, v52, vcc
	v_lshlrev_b32_e32 v50, 16, v34
	v_lshlrev_b32_e32 v42, 20, v42
	v_and_b32_e32 v50, 0x80000000, v50
	v_lshl_add_u32 v36, v36, 23, v48
	v_or3_b32 v42, v50, v36, v42
.LBB634_247:                            ;   in Loop: Header=BB634_213 Depth=1
	s_or_b64 exec, exec, s[18:19]
.LBB634_248:                            ;   in Loop: Header=BB634_213 Depth=1
	s_or_b64 exec, exec, s[16:17]
.LBB634_249:                            ;   in Loop: Header=BB634_213 Depth=1
	s_or_b64 exec, exec, s[14:15]
	v_lshrrev_b32_e32 v36, 16, v34
	v_cmp_ne_u16_sdwa s[16:17], v36, v47 src0_sel:BYTE_0 src1_sel:DWORD
	v_mov_b32_e32 v51, 0
	v_mov_b32_e32 v50, 0
	s_and_saveexec_b64 s[14:15], s[16:17]
	s_cbranch_execz .LBB634_255
; %bb.250:                              ;   in Loop: Header=BB634_213 Depth=1
	v_cmp_ne_u16_sdwa s[18:19], v36, s9 src0_sel:BYTE_0 src1_sel:DWORD
	v_bfrev_b32_e32 v50, 1
	s_and_saveexec_b64 s[16:17], s[18:19]
	s_cbranch_execz .LBB634_254
; %bb.251:                              ;   in Loop: Header=BB634_213 Depth=1
	v_bfe_u32 v52, v34, 16, 7
	v_cmp_ne_u32_e32 vcc, s21, v52
	v_mov_b32_e32 v50, 0x7f800001
	s_and_saveexec_b64 s[18:19], vcc
	s_cbranch_execz .LBB634_253
; %bb.252:                              ;   in Loop: Header=BB634_213 Depth=1
	v_and_b32_e32 v50, 7, v36
	v_ffbh_u32_e32 v62, v50
	v_min_u32_e32 v64, 32, v62
	v_subrev_u32_e32 v62, 28, v64
	v_lshlrev_b64 v[62:63], v62, v[36:37]
	v_lshrrev_b32_e32 v53, 3, v52
	v_sub_u32_e32 v63, 29, v64
	v_and_b32_e32 v62, 7, v62
	v_cmp_gt_u32_e32 vcc, 8, v52
	v_cndmask_b32_e32 v52, v53, v63, vcc
	v_cndmask_b32_e32 v50, v50, v62, vcc
	v_lshlrev_b32_e32 v36, 24, v36
	v_lshlrev_b32_e32 v50, 20, v50
	v_and_b32_e32 v36, 0x80000000, v36
	v_lshl_add_u32 v52, v52, 23, v48
	v_or3_b32 v50, v36, v52, v50
.LBB634_253:                            ;   in Loop: Header=BB634_213 Depth=1
	s_or_b64 exec, exec, s[18:19]
.LBB634_254:                            ;   in Loop: Header=BB634_213 Depth=1
	s_or_b64 exec, exec, s[16:17]
.LBB634_255:                            ;   in Loop: Header=BB634_213 Depth=1
	s_or_b64 exec, exec, s[14:15]
	v_cmp_lt_u32_e32 vcc, s22, v34
	s_and_saveexec_b64 s[14:15], vcc
	s_cbranch_execz .LBB634_261
; %bb.256:                              ;   in Loop: Header=BB634_213 Depth=1
	v_lshrrev_b32_e32 v36, 24, v34
	v_cmp_ne_u32_e32 vcc, s9, v36
	v_bfrev_b32_e32 v51, 1
	s_and_saveexec_b64 s[16:17], vcc
	s_cbranch_execz .LBB634_260
; %bb.257:                              ;   in Loop: Header=BB634_213 Depth=1
	v_bfe_u32 v34, v34, 24, 7
	v_cmp_ne_u32_e32 vcc, s21, v34
	v_mov_b32_e32 v51, 0x7f800001
	s_and_saveexec_b64 s[18:19], vcc
	s_cbranch_execz .LBB634_259
; %bb.258:                              ;   in Loop: Header=BB634_213 Depth=1
	v_and_b32_e32 v51, 7, v36
	v_ffbh_u32_e32 v52, v51
	v_min_u32_e32 v63, 32, v52
	v_subrev_u32_e32 v52, 28, v63
	v_lshlrev_b64 v[52:53], v52, v[36:37]
	v_lshrrev_b32_e32 v62, 3, v34
	v_sub_u32_e32 v53, 29, v63
	v_and_b32_e32 v52, 7, v52
	v_cmp_gt_u32_e32 vcc, 8, v34
	v_cndmask_b32_e32 v34, v62, v53, vcc
	v_cndmask_b32_e32 v51, v51, v52, vcc
	v_lshlrev_b32_e32 v36, 24, v36
	v_lshlrev_b32_e32 v51, 20, v51
	v_and_b32_e32 v36, 0x80000000, v36
	v_lshl_add_u32 v34, v34, 23, v48
	v_or3_b32 v51, v36, v34, v51
.LBB634_259:                            ;   in Loop: Header=BB634_213 Depth=1
	s_or_b64 exec, exec, s[18:19]
.LBB634_260:                            ;   in Loop: Header=BB634_213 Depth=1
	s_or_b64 exec, exec, s[16:17]
.LBB634_261:                            ;   in Loop: Header=BB634_213 Depth=1
	s_or_b64 exec, exec, s[14:15]
	v_cvt_pkrtz_f16_f32 v34, v35, v37
	v_cvt_pkrtz_f16_f32 v35, v44, v46
	;; [unrolled: 1-line block ×4, first 2 shown]
	v_mov_b32_e32 v44, 0
	v_mfma_f32_16x16x16f16 v[34:37], v[34:35], v[2:3], 0
	s_waitcnt vmcnt(1)
	v_cmp_ne_u16_sdwa s[16:17], v40, v47 src0_sel:BYTE_0 src1_sel:DWORD
	v_mov_b32_e32 v46, 0
	v_mfma_f32_16x16x16f16 v[34:37], v[52:53], v[4:5], v[34:37]
	s_and_saveexec_b64 s[14:15], s[16:17]
	s_cbranch_execz .LBB634_267
; %bb.262:                              ;   in Loop: Header=BB634_213 Depth=1
	v_cmp_ne_u16_sdwa s[18:19], v40, s9 src0_sel:BYTE_0 src1_sel:DWORD
	v_bfrev_b32_e32 v46, 1
	s_and_saveexec_b64 s[16:17], s[18:19]
	s_cbranch_execz .LBB634_266
; %bb.263:                              ;   in Loop: Header=BB634_213 Depth=1
	v_and_b32_e32 v42, 0x7f, v40
	v_cmp_ne_u32_e32 vcc, s21, v42
	v_mov_b32_e32 v46, 0x7f800001
	s_and_saveexec_b64 s[18:19], vcc
	s_cbranch_execz .LBB634_265
; %bb.264:                              ;   in Loop: Header=BB634_213 Depth=1
	v_and_b32_e32 v46, 7, v40
	v_ffbh_u32_e32 v50, v46
	v_min_u32_e32 v52, 32, v50
	v_subrev_u32_e32 v50, 28, v52
	v_lshlrev_b64 v[50:51], v50, v[40:41]
	v_lshrrev_b32_e32 v49, 3, v42
	v_sub_u32_e32 v51, 29, v52
	v_and_b32_e32 v50, 7, v50
	v_cmp_gt_u32_e32 vcc, 8, v42
	v_cndmask_b32_e32 v42, v49, v51, vcc
	v_cndmask_b32_e32 v46, v46, v50, vcc
	v_lshlrev_b32_e32 v49, 24, v40
	v_lshlrev_b32_e32 v46, 20, v46
	v_and_b32_e32 v49, 0x80000000, v49
	v_lshl_add_u32 v42, v42, 23, v48
	v_or3_b32 v46, v49, v42, v46
.LBB634_265:                            ;   in Loop: Header=BB634_213 Depth=1
	s_or_b64 exec, exec, s[18:19]
.LBB634_266:                            ;   in Loop: Header=BB634_213 Depth=1
	s_or_b64 exec, exec, s[16:17]
.LBB634_267:                            ;   in Loop: Header=BB634_213 Depth=1
	s_or_b64 exec, exec, s[14:15]
	v_lshrrev_b16_e32 v42, 8, v40
	v_cmp_ne_u16_e32 vcc, 0, v42
	v_mov_b32_e32 v50, 0
	s_and_saveexec_b64 s[14:15], vcc
	s_cbranch_execz .LBB634_273
; %bb.268:                              ;   in Loop: Header=BB634_213 Depth=1
	v_cmp_ne_u16_e32 vcc, s9, v42
	v_bfrev_b32_e32 v50, 1
	s_and_saveexec_b64 s[16:17], vcc
	s_cbranch_execz .LBB634_272
; %bb.269:                              ;   in Loop: Header=BB634_213 Depth=1
	v_and_b32_e32 v49, 0x7f, v42
	v_cmp_ne_u32_e32 vcc, s21, v49
	v_mov_b32_e32 v50, 0x7f800001
	s_and_saveexec_b64 s[18:19], vcc
	s_cbranch_execz .LBB634_271
; %bb.270:                              ;   in Loop: Header=BB634_213 Depth=1
	v_and_b32_e32 v52, 7, v42
	v_ffbh_u32_e32 v50, v52
	v_min_u32_e32 v62, 32, v50
	v_subrev_u32_e32 v50, 28, v62
	v_lshlrev_b64 v[50:51], v50, v[42:43]
	v_lshrrev_b32_e32 v53, 3, v49
	v_sub_u32_e32 v42, 29, v62
	v_and_b32_e32 v50, 7, v50
	v_cmp_gt_u32_e32 vcc, 8, v49
	v_cndmask_b32_e32 v42, v53, v42, vcc
	v_cndmask_b32_e32 v49, v52, v50, vcc
	v_lshlrev_b32_e32 v50, 16, v40
	v_lshlrev_b32_e32 v49, 20, v49
	v_and_b32_e32 v50, 0x80000000, v50
	v_lshl_add_u32 v42, v42, 23, v48
	v_or3_b32 v50, v50, v42, v49
.LBB634_271:                            ;   in Loop: Header=BB634_213 Depth=1
	s_or_b64 exec, exec, s[18:19]
.LBB634_272:                            ;   in Loop: Header=BB634_213 Depth=1
	s_or_b64 exec, exec, s[16:17]
.LBB634_273:                            ;   in Loop: Header=BB634_213 Depth=1
	s_or_b64 exec, exec, s[14:15]
	v_lshrrev_b32_e32 v42, 16, v40
	v_cmp_ne_u16_sdwa s[16:17], v42, v47 src0_sel:BYTE_0 src1_sel:DWORD
	s_and_saveexec_b64 s[14:15], s[16:17]
	s_cbranch_execz .LBB634_279
; %bb.274:                              ;   in Loop: Header=BB634_213 Depth=1
	v_cmp_ne_u16_sdwa s[18:19], v42, s9 src0_sel:BYTE_0 src1_sel:DWORD
	v_bfrev_b32_e32 v44, 1
	s_and_saveexec_b64 s[16:17], s[18:19]
	s_cbranch_execz .LBB634_278
; %bb.275:                              ;   in Loop: Header=BB634_213 Depth=1
	v_bfe_u32 v49, v40, 16, 7
	v_cmp_ne_u32_e32 vcc, s21, v49
	v_mov_b32_e32 v44, 0x7f800001
	s_and_saveexec_b64 s[18:19], vcc
	s_cbranch_execz .LBB634_277
; %bb.276:                              ;   in Loop: Header=BB634_213 Depth=1
	v_and_b32_e32 v44, 7, v42
	v_ffbh_u32_e32 v52, v44
	v_min_u32_e32 v62, 32, v52
	v_subrev_u32_e32 v52, 28, v62
	v_lshlrev_b64 v[52:53], v52, v[42:43]
	v_lshrrev_b32_e32 v51, 3, v49
	v_sub_u32_e32 v53, 29, v62
	v_and_b32_e32 v52, 7, v52
	v_cmp_gt_u32_e32 vcc, 8, v49
	v_cndmask_b32_e32 v49, v51, v53, vcc
	v_cndmask_b32_e32 v44, v44, v52, vcc
	v_lshlrev_b32_e32 v42, 24, v42
	v_lshlrev_b32_e32 v44, 20, v44
	v_and_b32_e32 v42, 0x80000000, v42
	v_lshl_add_u32 v49, v49, 23, v48
	v_or3_b32 v44, v42, v49, v44
.LBB634_277:                            ;   in Loop: Header=BB634_213 Depth=1
	s_or_b64 exec, exec, s[18:19]
.LBB634_278:                            ;   in Loop: Header=BB634_213 Depth=1
	s_or_b64 exec, exec, s[16:17]
.LBB634_279:                            ;   in Loop: Header=BB634_213 Depth=1
	s_or_b64 exec, exec, s[14:15]
	v_cmp_lt_u32_e32 vcc, s22, v40
	v_mov_b32_e32 v51, 0
	v_mov_b32_e32 v52, 0
	s_and_saveexec_b64 s[14:15], vcc
	s_cbranch_execz .LBB634_285
; %bb.280:                              ;   in Loop: Header=BB634_213 Depth=1
	v_lshrrev_b32_e32 v42, 24, v40
	v_cmp_ne_u32_e32 vcc, s9, v42
	v_bfrev_b32_e32 v52, 1
	s_and_saveexec_b64 s[16:17], vcc
	s_cbranch_execz .LBB634_284
; %bb.281:                              ;   in Loop: Header=BB634_213 Depth=1
	v_bfe_u32 v40, v40, 24, 7
	v_cmp_ne_u32_e32 vcc, s21, v40
	v_mov_b32_e32 v52, 0x7f800001
	s_and_saveexec_b64 s[18:19], vcc
	s_cbranch_execz .LBB634_283
; %bb.282:                              ;   in Loop: Header=BB634_213 Depth=1
	v_and_b32_e32 v49, 7, v42
	v_ffbh_u32_e32 v52, v49
	v_min_u32_e32 v63, 32, v52
	v_subrev_u32_e32 v52, 28, v63
	v_lshlrev_b64 v[52:53], v52, v[42:43]
	v_lshrrev_b32_e32 v62, 3, v40
	v_sub_u32_e32 v53, 29, v63
	v_and_b32_e32 v52, 7, v52
	v_cmp_gt_u32_e32 vcc, 8, v40
	v_cndmask_b32_e32 v40, v62, v53, vcc
	v_cndmask_b32_e32 v49, v49, v52, vcc
	v_lshlrev_b32_e32 v42, 24, v42
	v_lshlrev_b32_e32 v49, 20, v49
	v_and_b32_e32 v42, 0x80000000, v42
	v_lshl_add_u32 v40, v40, 23, v48
	v_or3_b32 v52, v42, v40, v49
.LBB634_283:                            ;   in Loop: Header=BB634_213 Depth=1
	s_or_b64 exec, exec, s[18:19]
.LBB634_284:                            ;   in Loop: Header=BB634_213 Depth=1
	s_or_b64 exec, exec, s[16:17]
.LBB634_285:                            ;   in Loop: Header=BB634_213 Depth=1
	s_or_b64 exec, exec, s[14:15]
	s_waitcnt vmcnt(0)
	v_cmp_ne_u16_sdwa s[16:17], v38, v47 src0_sel:BYTE_0 src1_sel:DWORD
	s_and_saveexec_b64 s[14:15], s[16:17]
	s_cbranch_execz .LBB634_291
; %bb.286:                              ;   in Loop: Header=BB634_213 Depth=1
	v_cmp_ne_u16_sdwa s[18:19], v38, s9 src0_sel:BYTE_0 src1_sel:DWORD
	v_bfrev_b32_e32 v51, 1
	s_and_saveexec_b64 s[16:17], s[18:19]
	s_cbranch_execz .LBB634_290
; %bb.287:                              ;   in Loop: Header=BB634_213 Depth=1
	v_and_b32_e32 v40, 0x7f, v38
	v_cmp_ne_u32_e32 vcc, s21, v40
	v_mov_b32_e32 v51, 0x7f800001
	s_and_saveexec_b64 s[18:19], vcc
	s_cbranch_execz .LBB634_289
; %bb.288:                              ;   in Loop: Header=BB634_213 Depth=1
	v_and_b32_e32 v42, 7, v38
	v_ffbh_u32_e32 v51, v42
	v_min_u32_e32 v51, 32, v51
	v_subrev_u32_e32 v53, 28, v51
	v_lshlrev_b64 v[62:63], v53, v[38:39]
	v_lshrrev_b32_e32 v49, 3, v40
	v_sub_u32_e32 v51, 29, v51
	v_and_b32_e32 v53, 7, v62
	v_cmp_gt_u32_e32 vcc, 8, v40
	v_cndmask_b32_e32 v40, v49, v51, vcc
	v_cndmask_b32_e32 v42, v42, v53, vcc
	v_lshlrev_b32_e32 v49, 24, v38
	v_lshlrev_b32_e32 v42, 20, v42
	v_and_b32_e32 v49, 0x80000000, v49
	v_lshl_add_u32 v40, v40, 23, v48
	v_or3_b32 v51, v49, v40, v42
.LBB634_289:                            ;   in Loop: Header=BB634_213 Depth=1
	s_or_b64 exec, exec, s[18:19]
.LBB634_290:                            ;   in Loop: Header=BB634_213 Depth=1
	s_or_b64 exec, exec, s[16:17]
.LBB634_291:                            ;   in Loop: Header=BB634_213 Depth=1
	s_or_b64 exec, exec, s[14:15]
	v_lshrrev_b16_e32 v40, 8, v38
	v_cmp_ne_u16_e32 vcc, 0, v40
	v_mov_b32_e32 v53, 0
	v_mov_b32_e32 v62, 0
	s_and_saveexec_b64 s[14:15], vcc
	s_cbranch_execz .LBB634_297
; %bb.292:                              ;   in Loop: Header=BB634_213 Depth=1
	v_cmp_ne_u16_e32 vcc, s9, v40
	v_bfrev_b32_e32 v62, 1
	s_and_saveexec_b64 s[16:17], vcc
	s_cbranch_execz .LBB634_296
; %bb.293:                              ;   in Loop: Header=BB634_213 Depth=1
	v_and_b32_e32 v42, 0x7f, v40
	v_cmp_ne_u32_e32 vcc, s21, v42
	v_mov_b32_e32 v62, 0x7f800001
	s_and_saveexec_b64 s[18:19], vcc
	s_cbranch_execz .LBB634_295
; %bb.294:                              ;   in Loop: Header=BB634_213 Depth=1
	v_and_b32_e32 v49, 7, v40
	v_ffbh_u32_e32 v62, v49
	v_min_u32_e32 v65, 32, v62
	v_subrev_u32_e32 v62, 28, v65
	v_lshlrev_b64 v[62:63], v62, v[40:41]
	v_lshrrev_b32_e32 v64, 3, v42
	v_sub_u32_e32 v40, 29, v65
	v_and_b32_e32 v62, 7, v62
	v_cmp_gt_u32_e32 vcc, 8, v42
	v_cndmask_b32_e32 v40, v64, v40, vcc
	v_cndmask_b32_e32 v42, v49, v62, vcc
	v_lshlrev_b32_e32 v49, 16, v38
	v_lshlrev_b32_e32 v42, 20, v42
	v_and_b32_e32 v49, 0x80000000, v49
	v_lshl_add_u32 v40, v40, 23, v48
	v_or3_b32 v62, v49, v40, v42
.LBB634_295:                            ;   in Loop: Header=BB634_213 Depth=1
	s_or_b64 exec, exec, s[18:19]
.LBB634_296:                            ;   in Loop: Header=BB634_213 Depth=1
	s_or_b64 exec, exec, s[16:17]
.LBB634_297:                            ;   in Loop: Header=BB634_213 Depth=1
	s_or_b64 exec, exec, s[14:15]
	v_lshrrev_b32_e32 v40, 16, v38
	v_cmp_ne_u16_sdwa s[16:17], v40, v47 src0_sel:BYTE_0 src1_sel:DWORD
	s_and_saveexec_b64 s[14:15], s[16:17]
	s_cbranch_execz .LBB634_303
; %bb.298:                              ;   in Loop: Header=BB634_213 Depth=1
	v_cmp_ne_u16_sdwa s[18:19], v40, s9 src0_sel:BYTE_0 src1_sel:DWORD
	v_bfrev_b32_e32 v53, 1
	s_and_saveexec_b64 s[16:17], s[18:19]
	s_cbranch_execz .LBB634_302
; %bb.299:                              ;   in Loop: Header=BB634_213 Depth=1
	v_bfe_u32 v42, v38, 16, 7
	v_cmp_ne_u32_e32 vcc, s21, v42
	v_mov_b32_e32 v53, 0x7f800001
	s_and_saveexec_b64 s[18:19], vcc
	s_cbranch_execz .LBB634_301
; %bb.300:                              ;   in Loop: Header=BB634_213 Depth=1
	v_and_b32_e32 v49, 7, v40
	v_ffbh_u32_e32 v63, v49
	v_min_u32_e32 v63, 32, v63
	v_subrev_u32_e32 v64, 28, v63
	v_lshlrev_b64 v[64:65], v64, v[40:41]
	v_lshrrev_b32_e32 v53, 3, v42
	v_sub_u32_e32 v63, 29, v63
	v_and_b32_e32 v64, 7, v64
	v_cmp_gt_u32_e32 vcc, 8, v42
	v_cndmask_b32_e32 v42, v53, v63, vcc
	v_cndmask_b32_e32 v49, v49, v64, vcc
	v_lshlrev_b32_e32 v40, 24, v40
	v_lshlrev_b32_e32 v49, 20, v49
	v_and_b32_e32 v40, 0x80000000, v40
	v_lshl_add_u32 v42, v42, 23, v48
	v_or3_b32 v53, v40, v42, v49
.LBB634_301:                            ;   in Loop: Header=BB634_213 Depth=1
	s_or_b64 exec, exec, s[18:19]
.LBB634_302:                            ;   in Loop: Header=BB634_213 Depth=1
	s_or_b64 exec, exec, s[16:17]
.LBB634_303:                            ;   in Loop: Header=BB634_213 Depth=1
	s_or_b64 exec, exec, s[14:15]
	v_cmp_lt_u32_e32 vcc, s22, v38
	v_mov_b32_e32 v49, 0
	v_mov_b32_e32 v63, 0
	s_and_saveexec_b64 s[14:15], vcc
	s_cbranch_execz .LBB634_309
; %bb.304:                              ;   in Loop: Header=BB634_213 Depth=1
	v_lshrrev_b32_e32 v40, 24, v38
	v_cmp_ne_u32_e32 vcc, s9, v40
	v_bfrev_b32_e32 v63, 1
	s_and_saveexec_b64 s[16:17], vcc
	s_cbranch_execz .LBB634_308
; %bb.305:                              ;   in Loop: Header=BB634_213 Depth=1
	v_bfe_u32 v38, v38, 24, 7
	v_cmp_ne_u32_e32 vcc, s21, v38
	v_mov_b32_e32 v63, 0x7f800001
	s_and_saveexec_b64 s[18:19], vcc
	s_cbranch_execz .LBB634_307
; %bb.306:                              ;   in Loop: Header=BB634_213 Depth=1
	v_and_b32_e32 v42, 7, v40
	v_ffbh_u32_e32 v64, v42
	v_min_u32_e32 v66, 32, v64
	v_subrev_u32_e32 v64, 28, v66
	v_lshlrev_b64 v[64:65], v64, v[40:41]
	v_lshrrev_b32_e32 v63, 3, v38
	v_sub_u32_e32 v65, 29, v66
	v_and_b32_e32 v64, 7, v64
	v_cmp_gt_u32_e32 vcc, 8, v38
	v_cndmask_b32_e32 v38, v63, v65, vcc
	v_cndmask_b32_e32 v42, v42, v64, vcc
	v_lshlrev_b32_e32 v40, 24, v40
	v_lshlrev_b32_e32 v42, 20, v42
	v_and_b32_e32 v40, 0x80000000, v40
	v_lshl_add_u32 v38, v38, 23, v48
	v_or3_b32 v63, v40, v38, v42
.LBB634_307:                            ;   in Loop: Header=BB634_213 Depth=1
	s_or_b64 exec, exec, s[18:19]
.LBB634_308:                            ;   in Loop: Header=BB634_213 Depth=1
	s_or_b64 exec, exec, s[16:17]
.LBB634_309:                            ;   in Loop: Header=BB634_213 Depth=1
	s_or_b64 exec, exec, s[14:15]
	v_cvt_pkrtz_f16_f32 v65, v44, v52
	buffer_load_dword v44, v61, s[0:3], 0 offen
	buffer_load_dword v42, v61, s[0:3], 0 offen offset:4
	buffer_load_dword v40, v61, s[0:3], 0 offen offset:8
	;; [unrolled: 1-line block ×3, first 2 shown]
	v_cvt_pkrtz_f16_f32 v64, v46, v50
	v_cvt_pkrtz_f16_f32 v50, v51, v62
	;; [unrolled: 1-line block ×3, first 2 shown]
	v_mfma_f32_16x16x16f16 v[34:37], v[64:65], v[6:7], v[34:37]
	s_waitcnt vmcnt(3)
	v_cmp_ne_u16_sdwa s[16:17], v44, v47 src0_sel:BYTE_0 src1_sel:DWORD
	v_mfma_f32_16x16x16f16 v[34:37], v[50:51], v[8:9], v[34:37]
	s_and_saveexec_b64 s[14:15], s[16:17]
	s_cbranch_execz .LBB634_315
; %bb.310:                              ;   in Loop: Header=BB634_213 Depth=1
	v_cmp_ne_u16_sdwa s[18:19], v44, s9 src0_sel:BYTE_0 src1_sel:DWORD
	v_bfrev_b32_e32 v49, 1
	s_and_saveexec_b64 s[16:17], s[18:19]
	s_cbranch_execz .LBB634_314
; %bb.311:                              ;   in Loop: Header=BB634_213 Depth=1
	v_and_b32_e32 v46, 0x7f, v44
	v_cmp_ne_u32_e32 vcc, s21, v46
	v_mov_b32_e32 v49, 0x7f800001
	s_and_saveexec_b64 s[18:19], vcc
	s_cbranch_execz .LBB634_313
; %bb.312:                              ;   in Loop: Header=BB634_213 Depth=1
	v_and_b32_e32 v49, 7, v44
	v_ffbh_u32_e32 v50, v49
	v_min_u32_e32 v53, 32, v50
	v_subrev_u32_e32 v50, 28, v53
	v_lshlrev_b64 v[50:51], v50, v[44:45]
	v_lshrrev_b32_e32 v52, 3, v46
	v_sub_u32_e32 v51, 29, v53
	v_and_b32_e32 v50, 7, v50
	v_cmp_gt_u32_e32 vcc, 8, v46
	v_cndmask_b32_e32 v46, v52, v51, vcc
	v_cndmask_b32_e32 v49, v49, v50, vcc
	v_lshlrev_b32_e32 v50, 24, v44
	v_lshlrev_b32_e32 v49, 20, v49
	v_and_b32_e32 v50, 0x80000000, v50
	v_lshl_add_u32 v46, v46, 23, v48
	v_or3_b32 v49, v50, v46, v49
.LBB634_313:                            ;   in Loop: Header=BB634_213 Depth=1
	s_or_b64 exec, exec, s[18:19]
.LBB634_314:                            ;   in Loop: Header=BB634_213 Depth=1
	s_or_b64 exec, exec, s[16:17]
.LBB634_315:                            ;   in Loop: Header=BB634_213 Depth=1
	s_or_b64 exec, exec, s[14:15]
	v_lshrrev_b16_e32 v46, 8, v44
	v_cmp_ne_u16_e32 vcc, 0, v46
	v_mov_b32_e32 v50, 0
	v_mov_b32_e32 v51, 0
	s_and_saveexec_b64 s[14:15], vcc
	s_cbranch_execz .LBB634_321
; %bb.316:                              ;   in Loop: Header=BB634_213 Depth=1
	v_cmp_ne_u16_e32 vcc, s9, v46
	v_bfrev_b32_e32 v51, 1
	s_and_saveexec_b64 s[16:17], vcc
	s_cbranch_execz .LBB634_320
; %bb.317:                              ;   in Loop: Header=BB634_213 Depth=1
	v_and_b32_e32 v52, 0x7f, v46
	v_cmp_ne_u32_e32 vcc, s21, v52
	v_mov_b32_e32 v51, 0x7f800001
	s_and_saveexec_b64 s[18:19], vcc
	s_cbranch_execz .LBB634_319
; %bb.318:                              ;   in Loop: Header=BB634_213 Depth=1
	v_and_b32_e32 v51, 7, v46
	v_ffbh_u32_e32 v61, v51
	v_min_u32_e32 v61, 32, v61
	v_subrev_u32_e32 v62, 28, v61
	v_lshlrev_b64 v[62:63], v62, v[46:47]
	v_lshrrev_b32_e32 v53, 3, v52
	v_sub_u32_e32 v46, 29, v61
	v_and_b32_e32 v61, 7, v62
	v_cmp_gt_u32_e32 vcc, 8, v52
	v_cndmask_b32_e32 v46, v53, v46, vcc
	v_cndmask_b32_e32 v51, v51, v61, vcc
	v_lshlrev_b32_e32 v52, 16, v44
	v_lshlrev_b32_e32 v51, 20, v51
	v_and_b32_e32 v52, 0x80000000, v52
	v_lshl_add_u32 v46, v46, 23, v48
	v_or3_b32 v51, v52, v46, v51
.LBB634_319:                            ;   in Loop: Header=BB634_213 Depth=1
	s_or_b64 exec, exec, s[18:19]
.LBB634_320:                            ;   in Loop: Header=BB634_213 Depth=1
	s_or_b64 exec, exec, s[16:17]
.LBB634_321:                            ;   in Loop: Header=BB634_213 Depth=1
	s_or_b64 exec, exec, s[14:15]
	v_lshrrev_b32_e32 v46, 16, v44
	v_cmp_ne_u16_sdwa s[16:17], v46, v47 src0_sel:BYTE_0 src1_sel:DWORD
	s_and_saveexec_b64 s[14:15], s[16:17]
	s_cbranch_execz .LBB634_327
; %bb.322:                              ;   in Loop: Header=BB634_213 Depth=1
	v_cmp_ne_u16_sdwa s[18:19], v46, s9 src0_sel:BYTE_0 src1_sel:DWORD
	v_bfrev_b32_e32 v50, 1
	s_and_saveexec_b64 s[16:17], s[18:19]
	s_cbranch_execz .LBB634_326
; %bb.323:                              ;   in Loop: Header=BB634_213 Depth=1
	v_bfe_u32 v52, v44, 16, 7
	v_cmp_ne_u32_e32 vcc, s21, v52
	v_mov_b32_e32 v50, 0x7f800001
	s_and_saveexec_b64 s[18:19], vcc
	s_cbranch_execz .LBB634_325
; %bb.324:                              ;   in Loop: Header=BB634_213 Depth=1
	v_and_b32_e32 v50, 7, v46
	v_ffbh_u32_e32 v61, v50
	v_min_u32_e32 v61, 32, v61
	v_subrev_u32_e32 v62, 28, v61
	v_lshlrev_b64 v[62:63], v62, v[46:47]
	v_lshrrev_b32_e32 v53, 3, v52
	v_sub_u32_e32 v61, 29, v61
	v_and_b32_e32 v62, 7, v62
	v_cmp_gt_u32_e32 vcc, 8, v52
	v_cndmask_b32_e32 v52, v53, v61, vcc
	v_cndmask_b32_e32 v50, v50, v62, vcc
	v_lshlrev_b32_e32 v46, 24, v46
	v_lshlrev_b32_e32 v50, 20, v50
	v_and_b32_e32 v46, 0x80000000, v46
	v_lshl_add_u32 v52, v52, 23, v48
	v_or3_b32 v50, v46, v52, v50
.LBB634_325:                            ;   in Loop: Header=BB634_213 Depth=1
	s_or_b64 exec, exec, s[18:19]
.LBB634_326:                            ;   in Loop: Header=BB634_213 Depth=1
	s_or_b64 exec, exec, s[16:17]
.LBB634_327:                            ;   in Loop: Header=BB634_213 Depth=1
	s_or_b64 exec, exec, s[14:15]
	v_cmp_lt_u32_e32 vcc, s22, v44
	v_mov_b32_e32 v52, 0
	v_mov_b32_e32 v53, 0
	s_and_saveexec_b64 s[14:15], vcc
	s_cbranch_execz .LBB634_333
; %bb.328:                              ;   in Loop: Header=BB634_213 Depth=1
	v_lshrrev_b32_e32 v46, 24, v44
	v_cmp_ne_u32_e32 vcc, s9, v46
	v_bfrev_b32_e32 v53, 1
	s_and_saveexec_b64 s[16:17], vcc
	s_cbranch_execz .LBB634_332
; %bb.329:                              ;   in Loop: Header=BB634_213 Depth=1
	v_bfe_u32 v44, v44, 24, 7
	v_cmp_ne_u32_e32 vcc, s21, v44
	v_mov_b32_e32 v53, 0x7f800001
	s_and_saveexec_b64 s[18:19], vcc
	s_cbranch_execz .LBB634_331
; %bb.330:                              ;   in Loop: Header=BB634_213 Depth=1
	v_and_b32_e32 v53, 7, v46
	v_ffbh_u32_e32 v62, v53
	v_min_u32_e32 v64, 32, v62
	v_subrev_u32_e32 v62, 28, v64
	v_lshlrev_b64 v[62:63], v62, v[46:47]
	v_lshrrev_b32_e32 v61, 3, v44
	v_sub_u32_e32 v63, 29, v64
	v_and_b32_e32 v62, 7, v62
	v_cmp_gt_u32_e32 vcc, 8, v44
	v_cndmask_b32_e32 v44, v61, v63, vcc
	v_cndmask_b32_e32 v53, v53, v62, vcc
	v_lshlrev_b32_e32 v46, 24, v46
	v_lshlrev_b32_e32 v53, 20, v53
	v_and_b32_e32 v46, 0x80000000, v46
	v_lshl_add_u32 v44, v44, 23, v48
	v_or3_b32 v53, v46, v44, v53
.LBB634_331:                            ;   in Loop: Header=BB634_213 Depth=1
	s_or_b64 exec, exec, s[18:19]
.LBB634_332:                            ;   in Loop: Header=BB634_213 Depth=1
	s_or_b64 exec, exec, s[16:17]
.LBB634_333:                            ;   in Loop: Header=BB634_213 Depth=1
	s_or_b64 exec, exec, s[14:15]
	s_waitcnt vmcnt(2)
	v_cmp_ne_u16_sdwa s[16:17], v42, v47 src0_sel:BYTE_0 src1_sel:DWORD
	s_and_saveexec_b64 s[14:15], s[16:17]
	s_cbranch_execz .LBB634_339
; %bb.334:                              ;   in Loop: Header=BB634_213 Depth=1
	v_cmp_ne_u16_sdwa s[18:19], v42, s9 src0_sel:BYTE_0 src1_sel:DWORD
	v_bfrev_b32_e32 v52, 1
	s_and_saveexec_b64 s[16:17], s[18:19]
	s_cbranch_execz .LBB634_338
; %bb.335:                              ;   in Loop: Header=BB634_213 Depth=1
	v_and_b32_e32 v44, 0x7f, v42
	v_cmp_ne_u32_e32 vcc, s21, v44
	v_mov_b32_e32 v52, 0x7f800001
	s_and_saveexec_b64 s[18:19], vcc
	s_cbranch_execz .LBB634_337
; %bb.336:                              ;   in Loop: Header=BB634_213 Depth=1
	v_and_b32_e32 v46, 7, v42
	v_ffbh_u32_e32 v61, v46
	v_min_u32_e32 v61, 32, v61
	v_subrev_u32_e32 v62, 28, v61
	v_lshlrev_b64 v[62:63], v62, v[42:43]
	v_lshrrev_b32_e32 v52, 3, v44
	v_sub_u32_e32 v61, 29, v61
	v_and_b32_e32 v62, 7, v62
	v_cmp_gt_u32_e32 vcc, 8, v44
	v_cndmask_b32_e32 v44, v52, v61, vcc
	v_cndmask_b32_e32 v46, v46, v62, vcc
	v_lshlrev_b32_e32 v52, 24, v42
	v_lshlrev_b32_e32 v46, 20, v46
	v_and_b32_e32 v52, 0x80000000, v52
	v_lshl_add_u32 v44, v44, 23, v48
	v_or3_b32 v52, v52, v44, v46
.LBB634_337:                            ;   in Loop: Header=BB634_213 Depth=1
	s_or_b64 exec, exec, s[18:19]
.LBB634_338:                            ;   in Loop: Header=BB634_213 Depth=1
	s_or_b64 exec, exec, s[16:17]
.LBB634_339:                            ;   in Loop: Header=BB634_213 Depth=1
	s_or_b64 exec, exec, s[14:15]
	v_lshrrev_b16_e32 v44, 8, v42
	v_cmp_ne_u16_e32 vcc, 0, v44
	v_mov_b32_e32 v61, 0
	v_mov_b32_e32 v62, 0
	s_and_saveexec_b64 s[14:15], vcc
	s_cbranch_execz .LBB634_345
; %bb.340:                              ;   in Loop: Header=BB634_213 Depth=1
	v_cmp_ne_u16_e32 vcc, s9, v44
	v_bfrev_b32_e32 v62, 1
	s_and_saveexec_b64 s[16:17], vcc
	s_cbranch_execz .LBB634_344
; %bb.341:                              ;   in Loop: Header=BB634_213 Depth=1
	v_and_b32_e32 v46, 0x7f, v44
	v_cmp_ne_u32_e32 vcc, s21, v46
	v_mov_b32_e32 v62, 0x7f800001
	s_and_saveexec_b64 s[18:19], vcc
	s_cbranch_execz .LBB634_343
; %bb.342:                              ;   in Loop: Header=BB634_213 Depth=1
	v_and_b32_e32 v64, 7, v44
	v_ffbh_u32_e32 v62, v64
	v_min_u32_e32 v66, 32, v62
	v_subrev_u32_e32 v62, 28, v66
	v_lshlrev_b64 v[62:63], v62, v[44:45]
	v_lshrrev_b32_e32 v65, 3, v46
	v_sub_u32_e32 v44, 29, v66
	v_and_b32_e32 v62, 7, v62
	v_cmp_gt_u32_e32 vcc, 8, v46
	v_cndmask_b32_e32 v44, v65, v44, vcc
	v_cndmask_b32_e32 v46, v64, v62, vcc
	v_lshlrev_b32_e32 v62, 16, v42
	v_lshlrev_b32_e32 v46, 20, v46
	v_and_b32_e32 v62, 0x80000000, v62
	v_lshl_add_u32 v44, v44, 23, v48
	v_or3_b32 v62, v62, v44, v46
.LBB634_343:                            ;   in Loop: Header=BB634_213 Depth=1
	s_or_b64 exec, exec, s[18:19]
.LBB634_344:                            ;   in Loop: Header=BB634_213 Depth=1
	s_or_b64 exec, exec, s[16:17]
.LBB634_345:                            ;   in Loop: Header=BB634_213 Depth=1
	s_or_b64 exec, exec, s[14:15]
	v_lshrrev_b32_e32 v44, 16, v42
	v_cmp_ne_u16_sdwa s[16:17], v44, v47 src0_sel:BYTE_0 src1_sel:DWORD
	s_and_saveexec_b64 s[14:15], s[16:17]
	s_cbranch_execz .LBB634_351
; %bb.346:                              ;   in Loop: Header=BB634_213 Depth=1
	v_cmp_ne_u16_sdwa s[18:19], v44, s9 src0_sel:BYTE_0 src1_sel:DWORD
	v_bfrev_b32_e32 v61, 1
	s_and_saveexec_b64 s[16:17], s[18:19]
	s_cbranch_execz .LBB634_350
; %bb.347:                              ;   in Loop: Header=BB634_213 Depth=1
	v_bfe_u32 v46, v42, 16, 7
	v_cmp_ne_u32_e32 vcc, s21, v46
	v_mov_b32_e32 v61, 0x7f800001
	s_and_saveexec_b64 s[18:19], vcc
	s_cbranch_execz .LBB634_349
; %bb.348:                              ;   in Loop: Header=BB634_213 Depth=1
	v_and_b32_e32 v61, 7, v44
	v_ffbh_u32_e32 v64, v61
	v_min_u32_e32 v66, 32, v64
	v_subrev_u32_e32 v64, 28, v66
	v_lshlrev_b64 v[64:65], v64, v[44:45]
	v_lshrrev_b32_e32 v63, 3, v46
	v_sub_u32_e32 v65, 29, v66
	v_and_b32_e32 v64, 7, v64
	v_cmp_gt_u32_e32 vcc, 8, v46
	v_cndmask_b32_e32 v46, v63, v65, vcc
	v_cndmask_b32_e32 v61, v61, v64, vcc
	v_lshlrev_b32_e32 v44, 24, v44
	v_lshlrev_b32_e32 v61, 20, v61
	v_and_b32_e32 v44, 0x80000000, v44
	v_lshl_add_u32 v46, v46, 23, v48
	v_or3_b32 v61, v44, v46, v61
.LBB634_349:                            ;   in Loop: Header=BB634_213 Depth=1
	s_or_b64 exec, exec, s[18:19]
.LBB634_350:                            ;   in Loop: Header=BB634_213 Depth=1
	s_or_b64 exec, exec, s[16:17]
.LBB634_351:                            ;   in Loop: Header=BB634_213 Depth=1
	s_or_b64 exec, exec, s[14:15]
	v_cmp_lt_u32_e32 vcc, s22, v42
	v_mov_b32_e32 v46, 0
	v_mov_b32_e32 v63, 0
	s_and_saveexec_b64 s[14:15], vcc
	s_cbranch_execz .LBB634_357
; %bb.352:                              ;   in Loop: Header=BB634_213 Depth=1
	v_lshrrev_b32_e32 v44, 24, v42
	v_cmp_ne_u32_e32 vcc, s9, v44
	v_bfrev_b32_e32 v63, 1
	s_and_saveexec_b64 s[16:17], vcc
	s_cbranch_execz .LBB634_356
; %bb.353:                              ;   in Loop: Header=BB634_213 Depth=1
	v_bfe_u32 v42, v42, 24, 7
	v_cmp_ne_u32_e32 vcc, s21, v42
	v_mov_b32_e32 v63, 0x7f800001
	s_and_saveexec_b64 s[18:19], vcc
	s_cbranch_execz .LBB634_355
; %bb.354:                              ;   in Loop: Header=BB634_213 Depth=1
	v_and_b32_e32 v63, 7, v44
	v_ffbh_u32_e32 v64, v63
	v_min_u32_e32 v67, 32, v64
	v_subrev_u32_e32 v64, 28, v67
	v_lshlrev_b64 v[64:65], v64, v[44:45]
	v_lshrrev_b32_e32 v66, 3, v42
	v_sub_u32_e32 v65, 29, v67
	v_and_b32_e32 v64, 7, v64
	v_cmp_gt_u32_e32 vcc, 8, v42
	v_cndmask_b32_e32 v42, v66, v65, vcc
	v_cndmask_b32_e32 v63, v63, v64, vcc
	v_lshlrev_b32_e32 v44, 24, v44
	v_lshlrev_b32_e32 v63, 20, v63
	v_and_b32_e32 v44, 0x80000000, v44
	v_lshl_add_u32 v42, v42, 23, v48
	v_or3_b32 v63, v44, v42, v63
.LBB634_355:                            ;   in Loop: Header=BB634_213 Depth=1
	s_or_b64 exec, exec, s[18:19]
.LBB634_356:                            ;   in Loop: Header=BB634_213 Depth=1
	s_or_b64 exec, exec, s[16:17]
.LBB634_357:                            ;   in Loop: Header=BB634_213 Depth=1
	s_or_b64 exec, exec, s[14:15]
	v_cvt_pkrtz_f16_f32 v64, v49, v51
	v_cvt_pkrtz_f16_f32 v65, v50, v53
	;; [unrolled: 1-line block ×4, first 2 shown]
	s_waitcnt vmcnt(1)
	v_cmp_ne_u16_sdwa s[16:17], v40, v47 src0_sel:BYTE_0 src1_sel:DWORD
	v_mfma_f32_16x16x16f16 v[34:37], v[64:65], v[10:11], v[34:37]
	v_mfma_f32_16x16x16f16 v[34:37], v[50:51], v[12:13], v[34:37]
	s_and_saveexec_b64 s[14:15], s[16:17]
	s_cbranch_execz .LBB634_363
; %bb.358:                              ;   in Loop: Header=BB634_213 Depth=1
	v_cmp_ne_u16_sdwa s[18:19], v40, s9 src0_sel:BYTE_0 src1_sel:DWORD
	v_bfrev_b32_e32 v46, 1
	s_and_saveexec_b64 s[16:17], s[18:19]
	s_cbranch_execz .LBB634_362
; %bb.359:                              ;   in Loop: Header=BB634_213 Depth=1
	v_and_b32_e32 v42, 0x7f, v40
	v_cmp_ne_u32_e32 vcc, s21, v42
	v_mov_b32_e32 v46, 0x7f800001
	s_and_saveexec_b64 s[18:19], vcc
	s_cbranch_execz .LBB634_361
; %bb.360:                              ;   in Loop: Header=BB634_213 Depth=1
	v_and_b32_e32 v44, 7, v40
	v_ffbh_u32_e32 v49, v44
	v_min_u32_e32 v49, 32, v49
	v_subrev_u32_e32 v50, 28, v49
	v_lshlrev_b64 v[50:51], v50, v[40:41]
	v_lshrrev_b32_e32 v46, 3, v42
	v_sub_u32_e32 v49, 29, v49
	v_and_b32_e32 v50, 7, v50
	v_cmp_gt_u32_e32 vcc, 8, v42
	v_cndmask_b32_e32 v42, v46, v49, vcc
	v_cndmask_b32_e32 v44, v44, v50, vcc
	v_lshlrev_b32_e32 v46, 24, v40
	v_lshlrev_b32_e32 v44, 20, v44
	v_and_b32_e32 v46, 0x80000000, v46
	v_lshl_add_u32 v42, v42, 23, v48
	v_or3_b32 v46, v46, v42, v44
.LBB634_361:                            ;   in Loop: Header=BB634_213 Depth=1
	s_or_b64 exec, exec, s[18:19]
.LBB634_362:                            ;   in Loop: Header=BB634_213 Depth=1
	s_or_b64 exec, exec, s[16:17]
.LBB634_363:                            ;   in Loop: Header=BB634_213 Depth=1
	s_or_b64 exec, exec, s[14:15]
	v_lshrrev_b16_e32 v42, 8, v40
	v_cmp_ne_u16_e32 vcc, 0, v42
	v_mov_b32_e32 v44, 0
	v_mov_b32_e32 v50, 0
	s_and_saveexec_b64 s[14:15], vcc
	s_cbranch_execz .LBB634_369
; %bb.364:                              ;   in Loop: Header=BB634_213 Depth=1
	v_cmp_ne_u16_e32 vcc, s9, v42
	v_bfrev_b32_e32 v50, 1
	s_and_saveexec_b64 s[16:17], vcc
	s_cbranch_execz .LBB634_368
; %bb.365:                              ;   in Loop: Header=BB634_213 Depth=1
	v_and_b32_e32 v49, 0x7f, v42
	v_cmp_ne_u32_e32 vcc, s21, v49
	v_mov_b32_e32 v50, 0x7f800001
	s_and_saveexec_b64 s[18:19], vcc
	s_cbranch_execz .LBB634_367
; %bb.366:                              ;   in Loop: Header=BB634_213 Depth=1
	v_and_b32_e32 v52, 7, v42
	v_ffbh_u32_e32 v50, v52
	v_min_u32_e32 v61, 32, v50
	v_subrev_u32_e32 v50, 28, v61
	v_lshlrev_b64 v[50:51], v50, v[42:43]
	v_lshrrev_b32_e32 v53, 3, v49
	v_sub_u32_e32 v42, 29, v61
	v_and_b32_e32 v50, 7, v50
	v_cmp_gt_u32_e32 vcc, 8, v49
	v_cndmask_b32_e32 v42, v53, v42, vcc
	v_cndmask_b32_e32 v49, v52, v50, vcc
	v_lshlrev_b32_e32 v50, 16, v40
	v_lshlrev_b32_e32 v49, 20, v49
	v_and_b32_e32 v50, 0x80000000, v50
	v_lshl_add_u32 v42, v42, 23, v48
	v_or3_b32 v50, v50, v42, v49
.LBB634_367:                            ;   in Loop: Header=BB634_213 Depth=1
	s_or_b64 exec, exec, s[18:19]
.LBB634_368:                            ;   in Loop: Header=BB634_213 Depth=1
	s_or_b64 exec, exec, s[16:17]
.LBB634_369:                            ;   in Loop: Header=BB634_213 Depth=1
	s_or_b64 exec, exec, s[14:15]
	v_lshrrev_b32_e32 v42, 16, v40
	v_cmp_ne_u16_sdwa s[16:17], v42, v47 src0_sel:BYTE_0 src1_sel:DWORD
	s_and_saveexec_b64 s[14:15], s[16:17]
	s_cbranch_execz .LBB634_375
; %bb.370:                              ;   in Loop: Header=BB634_213 Depth=1
	v_cmp_ne_u16_sdwa s[18:19], v42, s9 src0_sel:BYTE_0 src1_sel:DWORD
	v_bfrev_b32_e32 v44, 1
	s_and_saveexec_b64 s[16:17], s[18:19]
	s_cbranch_execz .LBB634_374
; %bb.371:                              ;   in Loop: Header=BB634_213 Depth=1
	v_bfe_u32 v49, v40, 16, 7
	v_cmp_ne_u32_e32 vcc, s21, v49
	v_mov_b32_e32 v44, 0x7f800001
	s_and_saveexec_b64 s[18:19], vcc
	s_cbranch_execz .LBB634_373
; %bb.372:                              ;   in Loop: Header=BB634_213 Depth=1
	v_and_b32_e32 v44, 7, v42
	v_ffbh_u32_e32 v52, v44
	v_min_u32_e32 v61, 32, v52
	v_subrev_u32_e32 v52, 28, v61
	v_lshlrev_b64 v[52:53], v52, v[42:43]
	v_lshrrev_b32_e32 v51, 3, v49
	v_sub_u32_e32 v53, 29, v61
	v_and_b32_e32 v52, 7, v52
	v_cmp_gt_u32_e32 vcc, 8, v49
	v_cndmask_b32_e32 v49, v51, v53, vcc
	v_cndmask_b32_e32 v44, v44, v52, vcc
	v_lshlrev_b32_e32 v42, 24, v42
	v_lshlrev_b32_e32 v44, 20, v44
	v_and_b32_e32 v42, 0x80000000, v42
	v_lshl_add_u32 v49, v49, 23, v48
	v_or3_b32 v44, v42, v49, v44
.LBB634_373:                            ;   in Loop: Header=BB634_213 Depth=1
	s_or_b64 exec, exec, s[18:19]
.LBB634_374:                            ;   in Loop: Header=BB634_213 Depth=1
	s_or_b64 exec, exec, s[16:17]
.LBB634_375:                            ;   in Loop: Header=BB634_213 Depth=1
	s_or_b64 exec, exec, s[14:15]
	v_cmp_lt_u32_e32 vcc, s22, v40
	v_mov_b32_e32 v51, 0
	v_mov_b32_e32 v52, 0
	s_and_saveexec_b64 s[14:15], vcc
	s_cbranch_execz .LBB634_381
; %bb.376:                              ;   in Loop: Header=BB634_213 Depth=1
	v_lshrrev_b32_e32 v42, 24, v40
	v_cmp_ne_u32_e32 vcc, s9, v42
	v_bfrev_b32_e32 v52, 1
	s_and_saveexec_b64 s[16:17], vcc
	s_cbranch_execz .LBB634_380
; %bb.377:                              ;   in Loop: Header=BB634_213 Depth=1
	v_bfe_u32 v40, v40, 24, 7
	v_cmp_ne_u32_e32 vcc, s21, v40
	v_mov_b32_e32 v52, 0x7f800001
	s_and_saveexec_b64 s[18:19], vcc
	s_cbranch_execz .LBB634_379
; %bb.378:                              ;   in Loop: Header=BB634_213 Depth=1
	v_and_b32_e32 v49, 7, v42
	v_ffbh_u32_e32 v52, v49
	v_min_u32_e32 v62, 32, v52
	v_subrev_u32_e32 v52, 28, v62
	v_lshlrev_b64 v[52:53], v52, v[42:43]
	v_lshrrev_b32_e32 v61, 3, v40
	v_sub_u32_e32 v53, 29, v62
	v_and_b32_e32 v52, 7, v52
	v_cmp_gt_u32_e32 vcc, 8, v40
	v_cndmask_b32_e32 v40, v61, v53, vcc
	v_cndmask_b32_e32 v49, v49, v52, vcc
	v_lshlrev_b32_e32 v42, 24, v42
	v_lshlrev_b32_e32 v49, 20, v49
	v_and_b32_e32 v42, 0x80000000, v42
	v_lshl_add_u32 v40, v40, 23, v48
	v_or3_b32 v52, v42, v40, v49
.LBB634_379:                            ;   in Loop: Header=BB634_213 Depth=1
	s_or_b64 exec, exec, s[18:19]
.LBB634_380:                            ;   in Loop: Header=BB634_213 Depth=1
	s_or_b64 exec, exec, s[16:17]
.LBB634_381:                            ;   in Loop: Header=BB634_213 Depth=1
	s_or_b64 exec, exec, s[14:15]
	s_waitcnt vmcnt(0)
	v_cmp_ne_u16_sdwa s[16:17], v38, v47 src0_sel:BYTE_0 src1_sel:DWORD
	s_and_saveexec_b64 s[14:15], s[16:17]
	s_cbranch_execz .LBB634_387
; %bb.382:                              ;   in Loop: Header=BB634_213 Depth=1
	v_cmp_ne_u16_sdwa s[18:19], v38, s9 src0_sel:BYTE_0 src1_sel:DWORD
	v_bfrev_b32_e32 v51, 1
	s_and_saveexec_b64 s[16:17], s[18:19]
	s_cbranch_execz .LBB634_386
; %bb.383:                              ;   in Loop: Header=BB634_213 Depth=1
	v_and_b32_e32 v40, 0x7f, v38
	v_cmp_ne_u32_e32 vcc, s21, v40
	v_mov_b32_e32 v51, 0x7f800001
	s_and_saveexec_b64 s[18:19], vcc
	s_cbranch_execz .LBB634_385
; %bb.384:                              ;   in Loop: Header=BB634_213 Depth=1
	v_and_b32_e32 v42, 7, v38
	v_ffbh_u32_e32 v51, v42
	v_min_u32_e32 v51, 32, v51
	v_subrev_u32_e32 v53, 28, v51
	v_lshlrev_b64 v[62:63], v53, v[38:39]
	v_lshrrev_b32_e32 v49, 3, v40
	v_sub_u32_e32 v51, 29, v51
	v_and_b32_e32 v53, 7, v62
	v_cmp_gt_u32_e32 vcc, 8, v40
	v_cndmask_b32_e32 v40, v49, v51, vcc
	v_cndmask_b32_e32 v42, v42, v53, vcc
	v_lshlrev_b32_e32 v49, 24, v38
	v_lshlrev_b32_e32 v42, 20, v42
	v_and_b32_e32 v49, 0x80000000, v49
	v_lshl_add_u32 v40, v40, 23, v48
	v_or3_b32 v51, v49, v40, v42
.LBB634_385:                            ;   in Loop: Header=BB634_213 Depth=1
	s_or_b64 exec, exec, s[18:19]
.LBB634_386:                            ;   in Loop: Header=BB634_213 Depth=1
	s_or_b64 exec, exec, s[16:17]
.LBB634_387:                            ;   in Loop: Header=BB634_213 Depth=1
	s_or_b64 exec, exec, s[14:15]
	v_lshrrev_b16_e32 v40, 8, v38
	v_cmp_ne_u16_e32 vcc, 0, v40
	v_mov_b32_e32 v53, 0
	v_mov_b32_e32 v61, 0
	s_and_saveexec_b64 s[14:15], vcc
	s_cbranch_execz .LBB634_393
; %bb.388:                              ;   in Loop: Header=BB634_213 Depth=1
	v_cmp_ne_u16_e32 vcc, s9, v40
	v_bfrev_b32_e32 v61, 1
	s_and_saveexec_b64 s[16:17], vcc
	s_cbranch_execz .LBB634_392
; %bb.389:                              ;   in Loop: Header=BB634_213 Depth=1
	v_and_b32_e32 v42, 0x7f, v40
	v_cmp_ne_u32_e32 vcc, s21, v42
	v_mov_b32_e32 v61, 0x7f800001
	s_and_saveexec_b64 s[18:19], vcc
	s_cbranch_execz .LBB634_391
; %bb.390:                              ;   in Loop: Header=BB634_213 Depth=1
	v_and_b32_e32 v49, 7, v40
	v_ffbh_u32_e32 v62, v49
	v_min_u32_e32 v64, 32, v62
	v_subrev_u32_e32 v62, 28, v64
	v_lshlrev_b64 v[62:63], v62, v[40:41]
	v_lshrrev_b32_e32 v61, 3, v42
	v_sub_u32_e32 v40, 29, v64
	v_and_b32_e32 v62, 7, v62
	v_cmp_gt_u32_e32 vcc, 8, v42
	v_cndmask_b32_e32 v40, v61, v40, vcc
	v_cndmask_b32_e32 v42, v49, v62, vcc
	v_lshlrev_b32_e32 v49, 16, v38
	v_lshlrev_b32_e32 v42, 20, v42
	v_and_b32_e32 v49, 0x80000000, v49
	v_lshl_add_u32 v40, v40, 23, v48
	v_or3_b32 v61, v49, v40, v42
.LBB634_391:                            ;   in Loop: Header=BB634_213 Depth=1
	s_or_b64 exec, exec, s[18:19]
.LBB634_392:                            ;   in Loop: Header=BB634_213 Depth=1
	s_or_b64 exec, exec, s[16:17]
.LBB634_393:                            ;   in Loop: Header=BB634_213 Depth=1
	s_or_b64 exec, exec, s[14:15]
	v_lshrrev_b32_e32 v40, 16, v38
	v_cmp_ne_u16_sdwa s[16:17], v40, v47 src0_sel:BYTE_0 src1_sel:DWORD
	s_and_saveexec_b64 s[14:15], s[16:17]
	s_cbranch_execz .LBB634_399
; %bb.394:                              ;   in Loop: Header=BB634_213 Depth=1
	v_cmp_ne_u16_sdwa s[18:19], v40, s9 src0_sel:BYTE_0 src1_sel:DWORD
	v_bfrev_b32_e32 v53, 1
	s_and_saveexec_b64 s[16:17], s[18:19]
	s_cbranch_execz .LBB634_398
; %bb.395:                              ;   in Loop: Header=BB634_213 Depth=1
	v_bfe_u32 v42, v38, 16, 7
	v_cmp_ne_u32_e32 vcc, s21, v42
	v_mov_b32_e32 v53, 0x7f800001
	s_and_saveexec_b64 s[18:19], vcc
	s_cbranch_execz .LBB634_397
; %bb.396:                              ;   in Loop: Header=BB634_213 Depth=1
	v_and_b32_e32 v49, 7, v40
	v_ffbh_u32_e32 v62, v49
	v_min_u32_e32 v64, 32, v62
	v_subrev_u32_e32 v62, 28, v64
	v_lshlrev_b64 v[62:63], v62, v[40:41]
	v_lshrrev_b32_e32 v53, 3, v42
	v_sub_u32_e32 v63, 29, v64
	v_and_b32_e32 v62, 7, v62
	v_cmp_gt_u32_e32 vcc, 8, v42
	v_cndmask_b32_e32 v42, v53, v63, vcc
	v_cndmask_b32_e32 v49, v49, v62, vcc
	v_lshlrev_b32_e32 v40, 24, v40
	v_lshlrev_b32_e32 v49, 20, v49
	v_and_b32_e32 v40, 0x80000000, v40
	v_lshl_add_u32 v42, v42, 23, v48
	v_or3_b32 v53, v40, v42, v49
.LBB634_397:                            ;   in Loop: Header=BB634_213 Depth=1
	s_or_b64 exec, exec, s[18:19]
.LBB634_398:                            ;   in Loop: Header=BB634_213 Depth=1
	s_or_b64 exec, exec, s[16:17]
.LBB634_399:                            ;   in Loop: Header=BB634_213 Depth=1
	s_or_b64 exec, exec, s[14:15]
	v_cmp_lt_u32_e32 vcc, s22, v38
	v_mov_b32_e32 v49, 0
	v_mov_b32_e32 v62, 0
	s_and_saveexec_b64 s[14:15], vcc
	s_cbranch_execz .LBB634_405
; %bb.400:                              ;   in Loop: Header=BB634_213 Depth=1
	v_lshrrev_b32_e32 v40, 24, v38
	v_cmp_ne_u32_e32 vcc, s9, v40
	v_bfrev_b32_e32 v62, 1
	s_and_saveexec_b64 s[16:17], vcc
	s_cbranch_execz .LBB634_404
; %bb.401:                              ;   in Loop: Header=BB634_213 Depth=1
	v_bfe_u32 v38, v38, 24, 7
	v_cmp_ne_u32_e32 vcc, s21, v38
	v_mov_b32_e32 v62, 0x7f800001
	s_and_saveexec_b64 s[18:19], vcc
	s_cbranch_execz .LBB634_403
; %bb.402:                              ;   in Loop: Header=BB634_213 Depth=1
	v_and_b32_e32 v42, 7, v40
	v_ffbh_u32_e32 v62, v42
	v_min_u32_e32 v65, 32, v62
	v_subrev_u32_e32 v62, 28, v65
	v_lshlrev_b64 v[62:63], v62, v[40:41]
	v_lshrrev_b32_e32 v64, 3, v38
	v_sub_u32_e32 v63, 29, v65
	v_and_b32_e32 v62, 7, v62
	v_cmp_gt_u32_e32 vcc, 8, v38
	v_cndmask_b32_e32 v38, v64, v63, vcc
	v_cndmask_b32_e32 v42, v42, v62, vcc
	v_lshlrev_b32_e32 v40, 24, v40
	v_lshlrev_b32_e32 v42, 20, v42
	v_and_b32_e32 v40, 0x80000000, v40
	v_lshl_add_u32 v38, v38, 23, v48
	v_or3_b32 v62, v40, v38, v42
.LBB634_403:                            ;   in Loop: Header=BB634_213 Depth=1
	s_or_b64 exec, exec, s[18:19]
.LBB634_404:                            ;   in Loop: Header=BB634_213 Depth=1
	s_or_b64 exec, exec, s[16:17]
.LBB634_405:                            ;   in Loop: Header=BB634_213 Depth=1
	s_or_b64 exec, exec, s[14:15]
	v_cvt_pkrtz_f16_f32 v65, v44, v52
	buffer_load_dword v44, v60, s[0:3], 0 offen
	buffer_load_dword v42, v60, s[0:3], 0 offen offset:4
	buffer_load_dword v40, v60, s[0:3], 0 offen offset:8
	;; [unrolled: 1-line block ×3, first 2 shown]
	v_cvt_pkrtz_f16_f32 v64, v46, v50
	v_cvt_pkrtz_f16_f32 v50, v51, v61
	v_cvt_pkrtz_f16_f32 v51, v53, v62
	v_mfma_f32_16x16x16f16 v[34:37], v[64:65], v[14:15], v[34:37]
	s_waitcnt vmcnt(3)
	v_cmp_ne_u16_sdwa s[16:17], v44, v47 src0_sel:BYTE_0 src1_sel:DWORD
	v_mfma_f32_16x16x16f16 v[34:37], v[50:51], v[16:17], v[34:37]
	s_and_saveexec_b64 s[14:15], s[16:17]
	s_cbranch_execz .LBB634_411
; %bb.406:                              ;   in Loop: Header=BB634_213 Depth=1
	v_cmp_ne_u16_sdwa s[18:19], v44, s9 src0_sel:BYTE_0 src1_sel:DWORD
	v_bfrev_b32_e32 v49, 1
	s_and_saveexec_b64 s[16:17], s[18:19]
	s_cbranch_execz .LBB634_410
; %bb.407:                              ;   in Loop: Header=BB634_213 Depth=1
	v_and_b32_e32 v46, 0x7f, v44
	v_cmp_ne_u32_e32 vcc, s21, v46
	v_mov_b32_e32 v49, 0x7f800001
	s_and_saveexec_b64 s[18:19], vcc
	s_cbranch_execz .LBB634_409
; %bb.408:                              ;   in Loop: Header=BB634_213 Depth=1
	v_and_b32_e32 v49, 7, v44
	v_ffbh_u32_e32 v50, v49
	v_min_u32_e32 v53, 32, v50
	v_subrev_u32_e32 v50, 28, v53
	v_lshlrev_b64 v[50:51], v50, v[44:45]
	v_lshrrev_b32_e32 v52, 3, v46
	v_sub_u32_e32 v51, 29, v53
	v_and_b32_e32 v50, 7, v50
	v_cmp_gt_u32_e32 vcc, 8, v46
	v_cndmask_b32_e32 v46, v52, v51, vcc
	v_cndmask_b32_e32 v49, v49, v50, vcc
	v_lshlrev_b32_e32 v50, 24, v44
	v_lshlrev_b32_e32 v49, 20, v49
	v_and_b32_e32 v50, 0x80000000, v50
	v_lshl_add_u32 v46, v46, 23, v48
	v_or3_b32 v49, v50, v46, v49
.LBB634_409:                            ;   in Loop: Header=BB634_213 Depth=1
	s_or_b64 exec, exec, s[18:19]
.LBB634_410:                            ;   in Loop: Header=BB634_213 Depth=1
	s_or_b64 exec, exec, s[16:17]
.LBB634_411:                            ;   in Loop: Header=BB634_213 Depth=1
	s_or_b64 exec, exec, s[14:15]
	v_lshrrev_b16_e32 v46, 8, v44
	v_cmp_ne_u16_e32 vcc, 0, v46
	v_mov_b32_e32 v50, 0
	v_mov_b32_e32 v51, 0
	s_and_saveexec_b64 s[14:15], vcc
	s_cbranch_execz .LBB634_417
; %bb.412:                              ;   in Loop: Header=BB634_213 Depth=1
	v_cmp_ne_u16_e32 vcc, s9, v46
	v_bfrev_b32_e32 v51, 1
	s_and_saveexec_b64 s[16:17], vcc
	s_cbranch_execz .LBB634_416
; %bb.413:                              ;   in Loop: Header=BB634_213 Depth=1
	v_and_b32_e32 v52, 0x7f, v46
	v_cmp_ne_u32_e32 vcc, s21, v52
	v_mov_b32_e32 v51, 0x7f800001
	s_and_saveexec_b64 s[18:19], vcc
	s_cbranch_execz .LBB634_415
; %bb.414:                              ;   in Loop: Header=BB634_213 Depth=1
	v_and_b32_e32 v51, 7, v46
	v_ffbh_u32_e32 v60, v51
	v_min_u32_e32 v62, 32, v60
	v_subrev_u32_e32 v60, 28, v62
	v_lshlrev_b64 v[60:61], v60, v[46:47]
	v_lshrrev_b32_e32 v53, 3, v52
	v_sub_u32_e32 v46, 29, v62
	v_and_b32_e32 v60, 7, v60
	v_cmp_gt_u32_e32 vcc, 8, v52
	v_cndmask_b32_e32 v46, v53, v46, vcc
	v_cndmask_b32_e32 v51, v51, v60, vcc
	v_lshlrev_b32_e32 v52, 16, v44
	v_lshlrev_b32_e32 v51, 20, v51
	v_and_b32_e32 v52, 0x80000000, v52
	v_lshl_add_u32 v46, v46, 23, v48
	v_or3_b32 v51, v52, v46, v51
.LBB634_415:                            ;   in Loop: Header=BB634_213 Depth=1
	s_or_b64 exec, exec, s[18:19]
.LBB634_416:                            ;   in Loop: Header=BB634_213 Depth=1
	s_or_b64 exec, exec, s[16:17]
.LBB634_417:                            ;   in Loop: Header=BB634_213 Depth=1
	s_or_b64 exec, exec, s[14:15]
	v_lshrrev_b32_e32 v46, 16, v44
	v_cmp_ne_u16_sdwa s[16:17], v46, v47 src0_sel:BYTE_0 src1_sel:DWORD
	s_and_saveexec_b64 s[14:15], s[16:17]
	s_cbranch_execz .LBB634_423
; %bb.418:                              ;   in Loop: Header=BB634_213 Depth=1
	v_cmp_ne_u16_sdwa s[18:19], v46, s9 src0_sel:BYTE_0 src1_sel:DWORD
	v_bfrev_b32_e32 v50, 1
	s_and_saveexec_b64 s[16:17], s[18:19]
	s_cbranch_execz .LBB634_422
; %bb.419:                              ;   in Loop: Header=BB634_213 Depth=1
	v_bfe_u32 v52, v44, 16, 7
	v_cmp_ne_u32_e32 vcc, s21, v52
	v_mov_b32_e32 v50, 0x7f800001
	s_and_saveexec_b64 s[18:19], vcc
	s_cbranch_execz .LBB634_421
; %bb.420:                              ;   in Loop: Header=BB634_213 Depth=1
	v_and_b32_e32 v50, 7, v46
	v_ffbh_u32_e32 v60, v50
	v_min_u32_e32 v62, 32, v60
	v_subrev_u32_e32 v60, 28, v62
	v_lshlrev_b64 v[60:61], v60, v[46:47]
	v_lshrrev_b32_e32 v53, 3, v52
	v_sub_u32_e32 v61, 29, v62
	v_and_b32_e32 v60, 7, v60
	v_cmp_gt_u32_e32 vcc, 8, v52
	v_cndmask_b32_e32 v52, v53, v61, vcc
	v_cndmask_b32_e32 v50, v50, v60, vcc
	v_lshlrev_b32_e32 v46, 24, v46
	v_lshlrev_b32_e32 v50, 20, v50
	v_and_b32_e32 v46, 0x80000000, v46
	v_lshl_add_u32 v52, v52, 23, v48
	v_or3_b32 v50, v46, v52, v50
.LBB634_421:                            ;   in Loop: Header=BB634_213 Depth=1
	s_or_b64 exec, exec, s[18:19]
.LBB634_422:                            ;   in Loop: Header=BB634_213 Depth=1
	s_or_b64 exec, exec, s[16:17]
.LBB634_423:                            ;   in Loop: Header=BB634_213 Depth=1
	s_or_b64 exec, exec, s[14:15]
	v_cmp_lt_u32_e32 vcc, s22, v44
	v_mov_b32_e32 v52, 0
	v_mov_b32_e32 v53, 0
	s_and_saveexec_b64 s[14:15], vcc
	s_cbranch_execz .LBB634_429
; %bb.424:                              ;   in Loop: Header=BB634_213 Depth=1
	v_lshrrev_b32_e32 v46, 24, v44
	v_cmp_ne_u32_e32 vcc, s9, v46
	v_bfrev_b32_e32 v53, 1
	s_and_saveexec_b64 s[16:17], vcc
	s_cbranch_execz .LBB634_428
; %bb.425:                              ;   in Loop: Header=BB634_213 Depth=1
	v_bfe_u32 v44, v44, 24, 7
	v_cmp_ne_u32_e32 vcc, s21, v44
	v_mov_b32_e32 v53, 0x7f800001
	s_and_saveexec_b64 s[18:19], vcc
	s_cbranch_execz .LBB634_427
; %bb.426:                              ;   in Loop: Header=BB634_213 Depth=1
	v_and_b32_e32 v53, 7, v46
	v_ffbh_u32_e32 v60, v53
	v_min_u32_e32 v63, 32, v60
	v_subrev_u32_e32 v60, 28, v63
	v_lshlrev_b64 v[60:61], v60, v[46:47]
	v_lshrrev_b32_e32 v62, 3, v44
	v_sub_u32_e32 v61, 29, v63
	v_and_b32_e32 v60, 7, v60
	v_cmp_gt_u32_e32 vcc, 8, v44
	v_cndmask_b32_e32 v44, v62, v61, vcc
	v_cndmask_b32_e32 v53, v53, v60, vcc
	v_lshlrev_b32_e32 v46, 24, v46
	v_lshlrev_b32_e32 v53, 20, v53
	v_and_b32_e32 v46, 0x80000000, v46
	v_lshl_add_u32 v44, v44, 23, v48
	v_or3_b32 v53, v46, v44, v53
.LBB634_427:                            ;   in Loop: Header=BB634_213 Depth=1
	s_or_b64 exec, exec, s[18:19]
.LBB634_428:                            ;   in Loop: Header=BB634_213 Depth=1
	s_or_b64 exec, exec, s[16:17]
.LBB634_429:                            ;   in Loop: Header=BB634_213 Depth=1
	s_or_b64 exec, exec, s[14:15]
	s_waitcnt vmcnt(2)
	v_cmp_ne_u16_sdwa s[16:17], v42, v47 src0_sel:BYTE_0 src1_sel:DWORD
	s_and_saveexec_b64 s[14:15], s[16:17]
	s_cbranch_execz .LBB634_435
; %bb.430:                              ;   in Loop: Header=BB634_213 Depth=1
	v_cmp_ne_u16_sdwa s[18:19], v42, s9 src0_sel:BYTE_0 src1_sel:DWORD
	v_bfrev_b32_e32 v52, 1
	s_and_saveexec_b64 s[16:17], s[18:19]
	s_cbranch_execz .LBB634_434
; %bb.431:                              ;   in Loop: Header=BB634_213 Depth=1
	v_and_b32_e32 v44, 0x7f, v42
	v_cmp_ne_u32_e32 vcc, s21, v44
	v_mov_b32_e32 v52, 0x7f800001
	s_and_saveexec_b64 s[18:19], vcc
	s_cbranch_execz .LBB634_433
; %bb.432:                              ;   in Loop: Header=BB634_213 Depth=1
	v_and_b32_e32 v46, 7, v42
	v_ffbh_u32_e32 v60, v46
	v_min_u32_e32 v62, 32, v60
	v_subrev_u32_e32 v60, 28, v62
	v_lshlrev_b64 v[60:61], v60, v[42:43]
	v_lshrrev_b32_e32 v52, 3, v44
	v_sub_u32_e32 v61, 29, v62
	v_and_b32_e32 v60, 7, v60
	v_cmp_gt_u32_e32 vcc, 8, v44
	v_cndmask_b32_e32 v44, v52, v61, vcc
	v_cndmask_b32_e32 v46, v46, v60, vcc
	v_lshlrev_b32_e32 v52, 24, v42
	v_lshlrev_b32_e32 v46, 20, v46
	v_and_b32_e32 v52, 0x80000000, v52
	v_lshl_add_u32 v44, v44, 23, v48
	v_or3_b32 v52, v52, v44, v46
.LBB634_433:                            ;   in Loop: Header=BB634_213 Depth=1
	s_or_b64 exec, exec, s[18:19]
.LBB634_434:                            ;   in Loop: Header=BB634_213 Depth=1
	s_or_b64 exec, exec, s[16:17]
.LBB634_435:                            ;   in Loop: Header=BB634_213 Depth=1
	s_or_b64 exec, exec, s[14:15]
	v_lshrrev_b16_e32 v44, 8, v42
	v_cmp_ne_u16_e32 vcc, 0, v44
	v_mov_b32_e32 v60, 0
	v_mov_b32_e32 v61, 0
	s_and_saveexec_b64 s[14:15], vcc
	s_cbranch_execz .LBB634_441
; %bb.436:                              ;   in Loop: Header=BB634_213 Depth=1
	v_cmp_ne_u16_e32 vcc, s9, v44
	v_bfrev_b32_e32 v61, 1
	s_and_saveexec_b64 s[16:17], vcc
	s_cbranch_execz .LBB634_440
; %bb.437:                              ;   in Loop: Header=BB634_213 Depth=1
	v_and_b32_e32 v46, 0x7f, v44
	v_cmp_ne_u32_e32 vcc, s21, v46
	v_mov_b32_e32 v61, 0x7f800001
	s_and_saveexec_b64 s[18:19], vcc
	s_cbranch_execz .LBB634_439
; %bb.438:                              ;   in Loop: Header=BB634_213 Depth=1
	v_and_b32_e32 v61, 7, v44
	v_ffbh_u32_e32 v62, v61
	v_min_u32_e32 v65, 32, v62
	v_subrev_u32_e32 v62, 28, v65
	v_lshlrev_b64 v[62:63], v62, v[44:45]
	v_lshrrev_b32_e32 v64, 3, v46
	v_sub_u32_e32 v44, 29, v65
	v_and_b32_e32 v62, 7, v62
	v_cmp_gt_u32_e32 vcc, 8, v46
	v_cndmask_b32_e32 v44, v64, v44, vcc
	v_cndmask_b32_e32 v46, v61, v62, vcc
	v_lshlrev_b32_e32 v61, 16, v42
	v_lshlrev_b32_e32 v46, 20, v46
	v_and_b32_e32 v61, 0x80000000, v61
	v_lshl_add_u32 v44, v44, 23, v48
	v_or3_b32 v61, v61, v44, v46
.LBB634_439:                            ;   in Loop: Header=BB634_213 Depth=1
	s_or_b64 exec, exec, s[18:19]
.LBB634_440:                            ;   in Loop: Header=BB634_213 Depth=1
	s_or_b64 exec, exec, s[16:17]
.LBB634_441:                            ;   in Loop: Header=BB634_213 Depth=1
	s_or_b64 exec, exec, s[14:15]
	v_lshrrev_b32_e32 v44, 16, v42
	v_cmp_ne_u16_sdwa s[16:17], v44, v47 src0_sel:BYTE_0 src1_sel:DWORD
	s_and_saveexec_b64 s[14:15], s[16:17]
	s_cbranch_execz .LBB634_447
; %bb.442:                              ;   in Loop: Header=BB634_213 Depth=1
	v_cmp_ne_u16_sdwa s[18:19], v44, s9 src0_sel:BYTE_0 src1_sel:DWORD
	v_bfrev_b32_e32 v60, 1
	s_and_saveexec_b64 s[16:17], s[18:19]
	s_cbranch_execz .LBB634_446
; %bb.443:                              ;   in Loop: Header=BB634_213 Depth=1
	v_bfe_u32 v46, v42, 16, 7
	v_cmp_ne_u32_e32 vcc, s21, v46
	v_mov_b32_e32 v60, 0x7f800001
	s_and_saveexec_b64 s[18:19], vcc
	s_cbranch_execz .LBB634_445
; %bb.444:                              ;   in Loop: Header=BB634_213 Depth=1
	v_and_b32_e32 v60, 7, v44
	v_ffbh_u32_e32 v62, v60
	v_min_u32_e32 v65, 32, v62
	v_subrev_u32_e32 v62, 28, v65
	v_lshlrev_b64 v[62:63], v62, v[44:45]
	v_lshrrev_b32_e32 v64, 3, v46
	v_sub_u32_e32 v63, 29, v65
	v_and_b32_e32 v62, 7, v62
	v_cmp_gt_u32_e32 vcc, 8, v46
	v_cndmask_b32_e32 v46, v64, v63, vcc
	v_cndmask_b32_e32 v60, v60, v62, vcc
	v_lshlrev_b32_e32 v44, 24, v44
	v_lshlrev_b32_e32 v60, 20, v60
	v_and_b32_e32 v44, 0x80000000, v44
	v_lshl_add_u32 v46, v46, 23, v48
	v_or3_b32 v60, v44, v46, v60
.LBB634_445:                            ;   in Loop: Header=BB634_213 Depth=1
	s_or_b64 exec, exec, s[18:19]
.LBB634_446:                            ;   in Loop: Header=BB634_213 Depth=1
	s_or_b64 exec, exec, s[16:17]
.LBB634_447:                            ;   in Loop: Header=BB634_213 Depth=1
	s_or_b64 exec, exec, s[14:15]
	v_cmp_lt_u32_e32 vcc, s22, v42
	v_mov_b32_e32 v46, 0
	v_mov_b32_e32 v62, 0
	s_and_saveexec_b64 s[14:15], vcc
	s_cbranch_execz .LBB634_453
; %bb.448:                              ;   in Loop: Header=BB634_213 Depth=1
	v_lshrrev_b32_e32 v44, 24, v42
	v_cmp_ne_u32_e32 vcc, s9, v44
	v_bfrev_b32_e32 v62, 1
	s_and_saveexec_b64 s[16:17], vcc
	s_cbranch_execz .LBB634_452
; %bb.449:                              ;   in Loop: Header=BB634_213 Depth=1
	v_bfe_u32 v42, v42, 24, 7
	v_cmp_ne_u32_e32 vcc, s21, v42
	v_mov_b32_e32 v62, 0x7f800001
	s_and_saveexec_b64 s[18:19], vcc
	s_cbranch_execz .LBB634_451
; %bb.450:                              ;   in Loop: Header=BB634_213 Depth=1
	v_and_b32_e32 v64, 7, v44
	v_ffbh_u32_e32 v62, v64
	v_min_u32_e32 v66, 32, v62
	v_subrev_u32_e32 v62, 28, v66
	v_lshlrev_b64 v[62:63], v62, v[44:45]
	v_lshrrev_b32_e32 v65, 3, v42
	v_sub_u32_e32 v63, 29, v66
	v_and_b32_e32 v62, 7, v62
	v_cmp_gt_u32_e32 vcc, 8, v42
	v_cndmask_b32_e32 v42, v65, v63, vcc
	v_cndmask_b32_e32 v62, v64, v62, vcc
	v_lshlrev_b32_e32 v44, 24, v44
	v_lshlrev_b32_e32 v62, 20, v62
	v_and_b32_e32 v44, 0x80000000, v44
	v_lshl_add_u32 v42, v42, 23, v48
	v_or3_b32 v62, v44, v42, v62
.LBB634_451:                            ;   in Loop: Header=BB634_213 Depth=1
	s_or_b64 exec, exec, s[18:19]
.LBB634_452:                            ;   in Loop: Header=BB634_213 Depth=1
	s_or_b64 exec, exec, s[16:17]
.LBB634_453:                            ;   in Loop: Header=BB634_213 Depth=1
	s_or_b64 exec, exec, s[14:15]
	v_cvt_pkrtz_f16_f32 v64, v49, v51
	v_cvt_pkrtz_f16_f32 v65, v50, v53
	;; [unrolled: 1-line block ×4, first 2 shown]
	s_waitcnt vmcnt(1)
	v_cmp_ne_u16_sdwa s[16:17], v40, v47 src0_sel:BYTE_0 src1_sel:DWORD
	v_mfma_f32_16x16x16f16 v[34:37], v[64:65], v[18:19], v[34:37]
	v_mfma_f32_16x16x16f16 v[34:37], v[50:51], v[20:21], v[34:37]
	s_and_saveexec_b64 s[14:15], s[16:17]
	s_cbranch_execz .LBB634_459
; %bb.454:                              ;   in Loop: Header=BB634_213 Depth=1
	v_cmp_ne_u16_sdwa s[18:19], v40, s9 src0_sel:BYTE_0 src1_sel:DWORD
	v_bfrev_b32_e32 v46, 1
	s_and_saveexec_b64 s[16:17], s[18:19]
	s_cbranch_execz .LBB634_458
; %bb.455:                              ;   in Loop: Header=BB634_213 Depth=1
	v_and_b32_e32 v42, 0x7f, v40
	v_cmp_ne_u32_e32 vcc, s21, v42
	v_mov_b32_e32 v46, 0x7f800001
	s_and_saveexec_b64 s[18:19], vcc
	s_cbranch_execz .LBB634_457
; %bb.456:                              ;   in Loop: Header=BB634_213 Depth=1
	v_and_b32_e32 v44, 7, v40
	v_ffbh_u32_e32 v49, v44
	v_min_u32_e32 v49, 32, v49
	v_subrev_u32_e32 v50, 28, v49
	v_lshlrev_b64 v[50:51], v50, v[40:41]
	v_lshrrev_b32_e32 v46, 3, v42
	v_sub_u32_e32 v49, 29, v49
	v_and_b32_e32 v50, 7, v50
	v_cmp_gt_u32_e32 vcc, 8, v42
	v_cndmask_b32_e32 v42, v46, v49, vcc
	v_cndmask_b32_e32 v44, v44, v50, vcc
	v_lshlrev_b32_e32 v46, 24, v40
	v_lshlrev_b32_e32 v44, 20, v44
	v_and_b32_e32 v46, 0x80000000, v46
	v_lshl_add_u32 v42, v42, 23, v48
	v_or3_b32 v46, v46, v42, v44
.LBB634_457:                            ;   in Loop: Header=BB634_213 Depth=1
	s_or_b64 exec, exec, s[18:19]
.LBB634_458:                            ;   in Loop: Header=BB634_213 Depth=1
	s_or_b64 exec, exec, s[16:17]
.LBB634_459:                            ;   in Loop: Header=BB634_213 Depth=1
	s_or_b64 exec, exec, s[14:15]
	v_lshrrev_b16_e32 v42, 8, v40
	v_cmp_ne_u16_e32 vcc, 0, v42
	v_mov_b32_e32 v44, 0
	v_mov_b32_e32 v50, 0
	s_and_saveexec_b64 s[14:15], vcc
	s_cbranch_execz .LBB634_465
; %bb.460:                              ;   in Loop: Header=BB634_213 Depth=1
	v_cmp_ne_u16_e32 vcc, s9, v42
	v_bfrev_b32_e32 v50, 1
	s_and_saveexec_b64 s[16:17], vcc
	s_cbranch_execz .LBB634_464
; %bb.461:                              ;   in Loop: Header=BB634_213 Depth=1
	v_and_b32_e32 v49, 0x7f, v42
	v_cmp_ne_u32_e32 vcc, s21, v49
	v_mov_b32_e32 v50, 0x7f800001
	s_and_saveexec_b64 s[18:19], vcc
	s_cbranch_execz .LBB634_463
; %bb.462:                              ;   in Loop: Header=BB634_213 Depth=1
	v_and_b32_e32 v52, 7, v42
	v_ffbh_u32_e32 v50, v52
	v_min_u32_e32 v60, 32, v50
	v_subrev_u32_e32 v50, 28, v60
	v_lshlrev_b64 v[50:51], v50, v[42:43]
	v_lshrrev_b32_e32 v53, 3, v49
	v_sub_u32_e32 v42, 29, v60
	v_and_b32_e32 v50, 7, v50
	v_cmp_gt_u32_e32 vcc, 8, v49
	v_cndmask_b32_e32 v42, v53, v42, vcc
	v_cndmask_b32_e32 v49, v52, v50, vcc
	v_lshlrev_b32_e32 v50, 16, v40
	v_lshlrev_b32_e32 v49, 20, v49
	v_and_b32_e32 v50, 0x80000000, v50
	v_lshl_add_u32 v42, v42, 23, v48
	v_or3_b32 v50, v50, v42, v49
.LBB634_463:                            ;   in Loop: Header=BB634_213 Depth=1
	s_or_b64 exec, exec, s[18:19]
.LBB634_464:                            ;   in Loop: Header=BB634_213 Depth=1
	s_or_b64 exec, exec, s[16:17]
.LBB634_465:                            ;   in Loop: Header=BB634_213 Depth=1
	s_or_b64 exec, exec, s[14:15]
	v_lshrrev_b32_e32 v42, 16, v40
	v_cmp_ne_u16_sdwa s[16:17], v42, v47 src0_sel:BYTE_0 src1_sel:DWORD
	s_and_saveexec_b64 s[14:15], s[16:17]
	s_cbranch_execz .LBB634_471
; %bb.466:                              ;   in Loop: Header=BB634_213 Depth=1
	v_cmp_ne_u16_sdwa s[18:19], v42, s9 src0_sel:BYTE_0 src1_sel:DWORD
	v_bfrev_b32_e32 v44, 1
	s_and_saveexec_b64 s[16:17], s[18:19]
	s_cbranch_execz .LBB634_470
; %bb.467:                              ;   in Loop: Header=BB634_213 Depth=1
	v_bfe_u32 v49, v40, 16, 7
	v_cmp_ne_u32_e32 vcc, s21, v49
	v_mov_b32_e32 v44, 0x7f800001
	s_and_saveexec_b64 s[18:19], vcc
	s_cbranch_execz .LBB634_469
; %bb.468:                              ;   in Loop: Header=BB634_213 Depth=1
	v_and_b32_e32 v44, 7, v42
	v_ffbh_u32_e32 v52, v44
	v_min_u32_e32 v60, 32, v52
	v_subrev_u32_e32 v52, 28, v60
	v_lshlrev_b64 v[52:53], v52, v[42:43]
	v_lshrrev_b32_e32 v51, 3, v49
	v_sub_u32_e32 v53, 29, v60
	v_and_b32_e32 v52, 7, v52
	v_cmp_gt_u32_e32 vcc, 8, v49
	v_cndmask_b32_e32 v49, v51, v53, vcc
	v_cndmask_b32_e32 v44, v44, v52, vcc
	v_lshlrev_b32_e32 v42, 24, v42
	v_lshlrev_b32_e32 v44, 20, v44
	v_and_b32_e32 v42, 0x80000000, v42
	v_lshl_add_u32 v49, v49, 23, v48
	v_or3_b32 v44, v42, v49, v44
.LBB634_469:                            ;   in Loop: Header=BB634_213 Depth=1
	s_or_b64 exec, exec, s[18:19]
.LBB634_470:                            ;   in Loop: Header=BB634_213 Depth=1
	s_or_b64 exec, exec, s[16:17]
.LBB634_471:                            ;   in Loop: Header=BB634_213 Depth=1
	s_or_b64 exec, exec, s[14:15]
	v_cmp_lt_u32_e32 vcc, s22, v40
	v_mov_b32_e32 v51, 0
	v_mov_b32_e32 v52, 0
	s_and_saveexec_b64 s[14:15], vcc
	s_cbranch_execz .LBB634_477
; %bb.472:                              ;   in Loop: Header=BB634_213 Depth=1
	v_lshrrev_b32_e32 v42, 24, v40
	v_cmp_ne_u32_e32 vcc, s9, v42
	v_bfrev_b32_e32 v52, 1
	s_and_saveexec_b64 s[16:17], vcc
	s_cbranch_execz .LBB634_476
; %bb.473:                              ;   in Loop: Header=BB634_213 Depth=1
	v_bfe_u32 v40, v40, 24, 7
	v_cmp_ne_u32_e32 vcc, s21, v40
	v_mov_b32_e32 v52, 0x7f800001
	s_and_saveexec_b64 s[18:19], vcc
	s_cbranch_execz .LBB634_475
; %bb.474:                              ;   in Loop: Header=BB634_213 Depth=1
	v_and_b32_e32 v49, 7, v42
	v_ffbh_u32_e32 v52, v49
	v_min_u32_e32 v61, 32, v52
	v_subrev_u32_e32 v52, 28, v61
	v_lshlrev_b64 v[52:53], v52, v[42:43]
	v_lshrrev_b32_e32 v60, 3, v40
	v_sub_u32_e32 v53, 29, v61
	v_and_b32_e32 v52, 7, v52
	v_cmp_gt_u32_e32 vcc, 8, v40
	v_cndmask_b32_e32 v40, v60, v53, vcc
	v_cndmask_b32_e32 v49, v49, v52, vcc
	v_lshlrev_b32_e32 v42, 24, v42
	v_lshlrev_b32_e32 v49, 20, v49
	v_and_b32_e32 v42, 0x80000000, v42
	v_lshl_add_u32 v40, v40, 23, v48
	v_or3_b32 v52, v42, v40, v49
.LBB634_475:                            ;   in Loop: Header=BB634_213 Depth=1
	s_or_b64 exec, exec, s[18:19]
.LBB634_476:                            ;   in Loop: Header=BB634_213 Depth=1
	s_or_b64 exec, exec, s[16:17]
.LBB634_477:                            ;   in Loop: Header=BB634_213 Depth=1
	s_or_b64 exec, exec, s[14:15]
	s_waitcnt vmcnt(0)
	v_cmp_ne_u16_sdwa s[16:17], v38, v47 src0_sel:BYTE_0 src1_sel:DWORD
	s_and_saveexec_b64 s[14:15], s[16:17]
	s_cbranch_execz .LBB634_483
; %bb.478:                              ;   in Loop: Header=BB634_213 Depth=1
	v_cmp_ne_u16_sdwa s[18:19], v38, s9 src0_sel:BYTE_0 src1_sel:DWORD
	v_bfrev_b32_e32 v51, 1
	s_and_saveexec_b64 s[16:17], s[18:19]
	s_cbranch_execz .LBB634_482
; %bb.479:                              ;   in Loop: Header=BB634_213 Depth=1
	v_and_b32_e32 v40, 0x7f, v38
	v_cmp_ne_u32_e32 vcc, s21, v40
	v_mov_b32_e32 v51, 0x7f800001
	s_and_saveexec_b64 s[18:19], vcc
	s_cbranch_execz .LBB634_481
; %bb.480:                              ;   in Loop: Header=BB634_213 Depth=1
	v_and_b32_e32 v42, 7, v38
	v_ffbh_u32_e32 v51, v42
	v_min_u32_e32 v51, 32, v51
	v_subrev_u32_e32 v53, 28, v51
	v_lshlrev_b64 v[60:61], v53, v[38:39]
	v_lshrrev_b32_e32 v49, 3, v40
	v_sub_u32_e32 v51, 29, v51
	v_and_b32_e32 v53, 7, v60
	v_cmp_gt_u32_e32 vcc, 8, v40
	v_cndmask_b32_e32 v40, v49, v51, vcc
	v_cndmask_b32_e32 v42, v42, v53, vcc
	v_lshlrev_b32_e32 v49, 24, v38
	v_lshlrev_b32_e32 v42, 20, v42
	v_and_b32_e32 v49, 0x80000000, v49
	v_lshl_add_u32 v40, v40, 23, v48
	v_or3_b32 v51, v49, v40, v42
.LBB634_481:                            ;   in Loop: Header=BB634_213 Depth=1
	s_or_b64 exec, exec, s[18:19]
.LBB634_482:                            ;   in Loop: Header=BB634_213 Depth=1
	s_or_b64 exec, exec, s[16:17]
.LBB634_483:                            ;   in Loop: Header=BB634_213 Depth=1
	s_or_b64 exec, exec, s[14:15]
	v_lshrrev_b16_e32 v40, 8, v38
	v_cmp_ne_u16_e32 vcc, 0, v40
	v_mov_b32_e32 v53, 0
	v_mov_b32_e32 v60, 0
	s_and_saveexec_b64 s[14:15], vcc
	s_cbranch_execz .LBB634_489
; %bb.484:                              ;   in Loop: Header=BB634_213 Depth=1
	v_cmp_ne_u16_e32 vcc, s9, v40
	v_bfrev_b32_e32 v60, 1
	s_and_saveexec_b64 s[16:17], vcc
	s_cbranch_execz .LBB634_488
; %bb.485:                              ;   in Loop: Header=BB634_213 Depth=1
	v_and_b32_e32 v42, 0x7f, v40
	v_cmp_ne_u32_e32 vcc, s21, v42
	v_mov_b32_e32 v60, 0x7f800001
	s_and_saveexec_b64 s[18:19], vcc
	s_cbranch_execz .LBB634_487
; %bb.486:                              ;   in Loop: Header=BB634_213 Depth=1
	v_and_b32_e32 v49, 7, v40
	v_ffbh_u32_e32 v60, v49
	v_min_u32_e32 v63, 32, v60
	v_subrev_u32_e32 v60, 28, v63
	v_lshlrev_b64 v[60:61], v60, v[40:41]
	v_lshrrev_b32_e32 v62, 3, v42
	v_sub_u32_e32 v40, 29, v63
	v_and_b32_e32 v60, 7, v60
	v_cmp_gt_u32_e32 vcc, 8, v42
	v_cndmask_b32_e32 v40, v62, v40, vcc
	v_cndmask_b32_e32 v42, v49, v60, vcc
	v_lshlrev_b32_e32 v49, 16, v38
	v_lshlrev_b32_e32 v42, 20, v42
	v_and_b32_e32 v49, 0x80000000, v49
	v_lshl_add_u32 v40, v40, 23, v48
	v_or3_b32 v60, v49, v40, v42
.LBB634_487:                            ;   in Loop: Header=BB634_213 Depth=1
	s_or_b64 exec, exec, s[18:19]
.LBB634_488:                            ;   in Loop: Header=BB634_213 Depth=1
	s_or_b64 exec, exec, s[16:17]
.LBB634_489:                            ;   in Loop: Header=BB634_213 Depth=1
	s_or_b64 exec, exec, s[14:15]
	v_lshrrev_b32_e32 v40, 16, v38
	v_cmp_ne_u16_sdwa s[16:17], v40, v47 src0_sel:BYTE_0 src1_sel:DWORD
	s_and_saveexec_b64 s[14:15], s[16:17]
	s_cbranch_execz .LBB634_495
; %bb.490:                              ;   in Loop: Header=BB634_213 Depth=1
	v_cmp_ne_u16_sdwa s[18:19], v40, s9 src0_sel:BYTE_0 src1_sel:DWORD
	v_bfrev_b32_e32 v53, 1
	s_and_saveexec_b64 s[16:17], s[18:19]
	s_cbranch_execz .LBB634_494
; %bb.491:                              ;   in Loop: Header=BB634_213 Depth=1
	v_bfe_u32 v42, v38, 16, 7
	v_cmp_ne_u32_e32 vcc, s21, v42
	v_mov_b32_e32 v53, 0x7f800001
	s_and_saveexec_b64 s[18:19], vcc
	s_cbranch_execz .LBB634_493
; %bb.492:                              ;   in Loop: Header=BB634_213 Depth=1
	v_and_b32_e32 v49, 7, v40
	v_ffbh_u32_e32 v61, v49
	v_min_u32_e32 v61, 32, v61
	v_subrev_u32_e32 v62, 28, v61
	v_lshlrev_b64 v[62:63], v62, v[40:41]
	v_lshrrev_b32_e32 v53, 3, v42
	v_sub_u32_e32 v61, 29, v61
	v_and_b32_e32 v62, 7, v62
	v_cmp_gt_u32_e32 vcc, 8, v42
	v_cndmask_b32_e32 v42, v53, v61, vcc
	v_cndmask_b32_e32 v49, v49, v62, vcc
	v_lshlrev_b32_e32 v40, 24, v40
	v_lshlrev_b32_e32 v49, 20, v49
	v_and_b32_e32 v40, 0x80000000, v40
	v_lshl_add_u32 v42, v42, 23, v48
	v_or3_b32 v53, v40, v42, v49
.LBB634_493:                            ;   in Loop: Header=BB634_213 Depth=1
	s_or_b64 exec, exec, s[18:19]
.LBB634_494:                            ;   in Loop: Header=BB634_213 Depth=1
	s_or_b64 exec, exec, s[16:17]
.LBB634_495:                            ;   in Loop: Header=BB634_213 Depth=1
	s_or_b64 exec, exec, s[14:15]
	v_cmp_lt_u32_e32 vcc, s22, v38
	v_mov_b32_e32 v49, 0
	v_mov_b32_e32 v61, 0
	s_and_saveexec_b64 s[14:15], vcc
	s_cbranch_execz .LBB634_501
; %bb.496:                              ;   in Loop: Header=BB634_213 Depth=1
	v_lshrrev_b32_e32 v40, 24, v38
	v_cmp_ne_u32_e32 vcc, s9, v40
	v_bfrev_b32_e32 v61, 1
	s_and_saveexec_b64 s[16:17], vcc
	s_cbranch_execz .LBB634_500
; %bb.497:                              ;   in Loop: Header=BB634_213 Depth=1
	v_bfe_u32 v38, v38, 24, 7
	v_cmp_ne_u32_e32 vcc, s21, v38
	v_mov_b32_e32 v61, 0x7f800001
	s_and_saveexec_b64 s[18:19], vcc
	s_cbranch_execz .LBB634_499
; %bb.498:                              ;   in Loop: Header=BB634_213 Depth=1
	v_and_b32_e32 v42, 7, v40
	v_ffbh_u32_e32 v62, v42
	v_min_u32_e32 v64, 32, v62
	v_subrev_u32_e32 v62, 28, v64
	v_lshlrev_b64 v[62:63], v62, v[40:41]
	v_lshrrev_b32_e32 v61, 3, v38
	v_sub_u32_e32 v63, 29, v64
	v_and_b32_e32 v62, 7, v62
	v_cmp_gt_u32_e32 vcc, 8, v38
	v_cndmask_b32_e32 v38, v61, v63, vcc
	v_cndmask_b32_e32 v42, v42, v62, vcc
	v_lshlrev_b32_e32 v40, 24, v40
	v_lshlrev_b32_e32 v42, 20, v42
	v_and_b32_e32 v40, 0x80000000, v40
	v_lshl_add_u32 v38, v38, 23, v48
	v_or3_b32 v61, v40, v38, v42
.LBB634_499:                            ;   in Loop: Header=BB634_213 Depth=1
	s_or_b64 exec, exec, s[18:19]
.LBB634_500:                            ;   in Loop: Header=BB634_213 Depth=1
	s_or_b64 exec, exec, s[16:17]
.LBB634_501:                            ;   in Loop: Header=BB634_213 Depth=1
	s_or_b64 exec, exec, s[14:15]
	v_cvt_pkrtz_f16_f32 v63, v44, v52
	buffer_load_dword v44, v59, s[0:3], 0 offen
	buffer_load_dword v42, v59, s[0:3], 0 offen offset:4
	buffer_load_dword v40, v59, s[0:3], 0 offen offset:8
	;; [unrolled: 1-line block ×3, first 2 shown]
	v_cvt_pkrtz_f16_f32 v62, v46, v50
	v_cvt_pkrtz_f16_f32 v50, v51, v60
	;; [unrolled: 1-line block ×3, first 2 shown]
	v_mfma_f32_16x16x16f16 v[34:37], v[62:63], v[22:23], v[34:37]
	s_waitcnt vmcnt(3)
	v_cmp_ne_u16_sdwa s[16:17], v44, v47 src0_sel:BYTE_0 src1_sel:DWORD
	v_mfma_f32_16x16x16f16 v[34:37], v[50:51], v[24:25], v[34:37]
	s_and_saveexec_b64 s[14:15], s[16:17]
	s_cbranch_execz .LBB634_507
; %bb.502:                              ;   in Loop: Header=BB634_213 Depth=1
	v_cmp_ne_u16_sdwa s[18:19], v44, s9 src0_sel:BYTE_0 src1_sel:DWORD
	v_bfrev_b32_e32 v49, 1
	s_and_saveexec_b64 s[16:17], s[18:19]
	s_cbranch_execz .LBB634_506
; %bb.503:                              ;   in Loop: Header=BB634_213 Depth=1
	v_and_b32_e32 v46, 0x7f, v44
	v_cmp_ne_u32_e32 vcc, s21, v46
	v_mov_b32_e32 v49, 0x7f800001
	s_and_saveexec_b64 s[18:19], vcc
	s_cbranch_execz .LBB634_505
; %bb.504:                              ;   in Loop: Header=BB634_213 Depth=1
	v_and_b32_e32 v49, 7, v44
	v_ffbh_u32_e32 v50, v49
	v_min_u32_e32 v53, 32, v50
	v_subrev_u32_e32 v50, 28, v53
	v_lshlrev_b64 v[50:51], v50, v[44:45]
	v_lshrrev_b32_e32 v52, 3, v46
	v_sub_u32_e32 v51, 29, v53
	v_and_b32_e32 v50, 7, v50
	v_cmp_gt_u32_e32 vcc, 8, v46
	v_cndmask_b32_e32 v46, v52, v51, vcc
	v_cndmask_b32_e32 v49, v49, v50, vcc
	v_lshlrev_b32_e32 v50, 24, v44
	v_lshlrev_b32_e32 v49, 20, v49
	v_and_b32_e32 v50, 0x80000000, v50
	v_lshl_add_u32 v46, v46, 23, v48
	v_or3_b32 v49, v50, v46, v49
.LBB634_505:                            ;   in Loop: Header=BB634_213 Depth=1
	s_or_b64 exec, exec, s[18:19]
.LBB634_506:                            ;   in Loop: Header=BB634_213 Depth=1
	s_or_b64 exec, exec, s[16:17]
.LBB634_507:                            ;   in Loop: Header=BB634_213 Depth=1
	s_or_b64 exec, exec, s[14:15]
	v_lshrrev_b16_e32 v46, 8, v44
	v_cmp_ne_u16_e32 vcc, 0, v46
	v_mov_b32_e32 v50, 0
	v_mov_b32_e32 v51, 0
	s_and_saveexec_b64 s[14:15], vcc
	s_cbranch_execz .LBB634_513
; %bb.508:                              ;   in Loop: Header=BB634_213 Depth=1
	v_cmp_ne_u16_e32 vcc, s9, v46
	v_bfrev_b32_e32 v51, 1
	s_and_saveexec_b64 s[16:17], vcc
	s_cbranch_execz .LBB634_512
; %bb.509:                              ;   in Loop: Header=BB634_213 Depth=1
	v_and_b32_e32 v52, 0x7f, v46
	v_cmp_ne_u32_e32 vcc, s21, v52
	v_mov_b32_e32 v51, 0x7f800001
	s_and_saveexec_b64 s[18:19], vcc
	s_cbranch_execz .LBB634_511
; %bb.510:                              ;   in Loop: Header=BB634_213 Depth=1
	v_and_b32_e32 v51, 7, v46
	v_ffbh_u32_e32 v59, v51
	v_min_u32_e32 v59, 32, v59
	v_subrev_u32_e32 v60, 28, v59
	v_lshlrev_b64 v[60:61], v60, v[46:47]
	v_lshrrev_b32_e32 v53, 3, v52
	v_sub_u32_e32 v46, 29, v59
	v_and_b32_e32 v59, 7, v60
	v_cmp_gt_u32_e32 vcc, 8, v52
	v_cndmask_b32_e32 v46, v53, v46, vcc
	v_cndmask_b32_e32 v51, v51, v59, vcc
	v_lshlrev_b32_e32 v52, 16, v44
	v_lshlrev_b32_e32 v51, 20, v51
	v_and_b32_e32 v52, 0x80000000, v52
	v_lshl_add_u32 v46, v46, 23, v48
	v_or3_b32 v51, v52, v46, v51
.LBB634_511:                            ;   in Loop: Header=BB634_213 Depth=1
	s_or_b64 exec, exec, s[18:19]
.LBB634_512:                            ;   in Loop: Header=BB634_213 Depth=1
	s_or_b64 exec, exec, s[16:17]
.LBB634_513:                            ;   in Loop: Header=BB634_213 Depth=1
	s_or_b64 exec, exec, s[14:15]
	v_lshrrev_b32_e32 v46, 16, v44
	v_cmp_ne_u16_sdwa s[16:17], v46, v47 src0_sel:BYTE_0 src1_sel:DWORD
	s_and_saveexec_b64 s[14:15], s[16:17]
	s_cbranch_execz .LBB634_519
; %bb.514:                              ;   in Loop: Header=BB634_213 Depth=1
	v_cmp_ne_u16_sdwa s[18:19], v46, s9 src0_sel:BYTE_0 src1_sel:DWORD
	v_bfrev_b32_e32 v50, 1
	s_and_saveexec_b64 s[16:17], s[18:19]
	s_cbranch_execz .LBB634_518
; %bb.515:                              ;   in Loop: Header=BB634_213 Depth=1
	v_bfe_u32 v52, v44, 16, 7
	v_cmp_ne_u32_e32 vcc, s21, v52
	v_mov_b32_e32 v50, 0x7f800001
	s_and_saveexec_b64 s[18:19], vcc
	s_cbranch_execz .LBB634_517
; %bb.516:                              ;   in Loop: Header=BB634_213 Depth=1
	v_and_b32_e32 v50, 7, v46
	v_ffbh_u32_e32 v59, v50
	v_min_u32_e32 v59, 32, v59
	v_subrev_u32_e32 v60, 28, v59
	v_lshlrev_b64 v[60:61], v60, v[46:47]
	v_lshrrev_b32_e32 v53, 3, v52
	v_sub_u32_e32 v59, 29, v59
	v_and_b32_e32 v60, 7, v60
	v_cmp_gt_u32_e32 vcc, 8, v52
	v_cndmask_b32_e32 v52, v53, v59, vcc
	v_cndmask_b32_e32 v50, v50, v60, vcc
	v_lshlrev_b32_e32 v46, 24, v46
	v_lshlrev_b32_e32 v50, 20, v50
	v_and_b32_e32 v46, 0x80000000, v46
	v_lshl_add_u32 v52, v52, 23, v48
	v_or3_b32 v50, v46, v52, v50
.LBB634_517:                            ;   in Loop: Header=BB634_213 Depth=1
	s_or_b64 exec, exec, s[18:19]
.LBB634_518:                            ;   in Loop: Header=BB634_213 Depth=1
	s_or_b64 exec, exec, s[16:17]
.LBB634_519:                            ;   in Loop: Header=BB634_213 Depth=1
	s_or_b64 exec, exec, s[14:15]
	v_cmp_lt_u32_e32 vcc, s22, v44
	v_mov_b32_e32 v52, 0
	v_mov_b32_e32 v53, 0
	s_and_saveexec_b64 s[14:15], vcc
	s_cbranch_execz .LBB634_525
; %bb.520:                              ;   in Loop: Header=BB634_213 Depth=1
	v_lshrrev_b32_e32 v46, 24, v44
	v_cmp_ne_u32_e32 vcc, s9, v46
	v_bfrev_b32_e32 v53, 1
	s_and_saveexec_b64 s[16:17], vcc
	s_cbranch_execz .LBB634_524
; %bb.521:                              ;   in Loop: Header=BB634_213 Depth=1
	v_bfe_u32 v44, v44, 24, 7
	v_cmp_ne_u32_e32 vcc, s21, v44
	v_mov_b32_e32 v53, 0x7f800001
	s_and_saveexec_b64 s[18:19], vcc
	s_cbranch_execz .LBB634_523
; %bb.522:                              ;   in Loop: Header=BB634_213 Depth=1
	v_and_b32_e32 v53, 7, v46
	v_ffbh_u32_e32 v60, v53
	v_min_u32_e32 v62, 32, v60
	v_subrev_u32_e32 v60, 28, v62
	v_lshlrev_b64 v[60:61], v60, v[46:47]
	v_lshrrev_b32_e32 v59, 3, v44
	v_sub_u32_e32 v61, 29, v62
	v_and_b32_e32 v60, 7, v60
	v_cmp_gt_u32_e32 vcc, 8, v44
	v_cndmask_b32_e32 v44, v59, v61, vcc
	v_cndmask_b32_e32 v53, v53, v60, vcc
	v_lshlrev_b32_e32 v46, 24, v46
	v_lshlrev_b32_e32 v53, 20, v53
	v_and_b32_e32 v46, 0x80000000, v46
	v_lshl_add_u32 v44, v44, 23, v48
	v_or3_b32 v53, v46, v44, v53
.LBB634_523:                            ;   in Loop: Header=BB634_213 Depth=1
	s_or_b64 exec, exec, s[18:19]
.LBB634_524:                            ;   in Loop: Header=BB634_213 Depth=1
	s_or_b64 exec, exec, s[16:17]
.LBB634_525:                            ;   in Loop: Header=BB634_213 Depth=1
	s_or_b64 exec, exec, s[14:15]
	s_waitcnt vmcnt(2)
	v_cmp_ne_u16_sdwa s[16:17], v42, v47 src0_sel:BYTE_0 src1_sel:DWORD
	s_and_saveexec_b64 s[14:15], s[16:17]
	s_cbranch_execz .LBB634_531
; %bb.526:                              ;   in Loop: Header=BB634_213 Depth=1
	v_cmp_ne_u16_sdwa s[18:19], v42, s9 src0_sel:BYTE_0 src1_sel:DWORD
	v_bfrev_b32_e32 v52, 1
	s_and_saveexec_b64 s[16:17], s[18:19]
	s_cbranch_execz .LBB634_530
; %bb.527:                              ;   in Loop: Header=BB634_213 Depth=1
	v_and_b32_e32 v44, 0x7f, v42
	v_cmp_ne_u32_e32 vcc, s21, v44
	v_mov_b32_e32 v52, 0x7f800001
	s_and_saveexec_b64 s[18:19], vcc
	s_cbranch_execz .LBB634_529
; %bb.528:                              ;   in Loop: Header=BB634_213 Depth=1
	v_and_b32_e32 v46, 7, v42
	v_ffbh_u32_e32 v59, v46
	v_min_u32_e32 v59, 32, v59
	v_subrev_u32_e32 v60, 28, v59
	v_lshlrev_b64 v[60:61], v60, v[42:43]
	v_lshrrev_b32_e32 v52, 3, v44
	v_sub_u32_e32 v59, 29, v59
	v_and_b32_e32 v60, 7, v60
	v_cmp_gt_u32_e32 vcc, 8, v44
	v_cndmask_b32_e32 v44, v52, v59, vcc
	v_cndmask_b32_e32 v46, v46, v60, vcc
	v_lshlrev_b32_e32 v52, 24, v42
	v_lshlrev_b32_e32 v46, 20, v46
	v_and_b32_e32 v52, 0x80000000, v52
	v_lshl_add_u32 v44, v44, 23, v48
	v_or3_b32 v52, v52, v44, v46
.LBB634_529:                            ;   in Loop: Header=BB634_213 Depth=1
	s_or_b64 exec, exec, s[18:19]
.LBB634_530:                            ;   in Loop: Header=BB634_213 Depth=1
	s_or_b64 exec, exec, s[16:17]
.LBB634_531:                            ;   in Loop: Header=BB634_213 Depth=1
	s_or_b64 exec, exec, s[14:15]
	v_lshrrev_b16_e32 v44, 8, v42
	v_cmp_ne_u16_e32 vcc, 0, v44
	v_mov_b32_e32 v59, 0
	v_mov_b32_e32 v60, 0
	s_and_saveexec_b64 s[14:15], vcc
	s_cbranch_execz .LBB634_537
; %bb.532:                              ;   in Loop: Header=BB634_213 Depth=1
	v_cmp_ne_u16_e32 vcc, s9, v44
	v_bfrev_b32_e32 v60, 1
	s_and_saveexec_b64 s[16:17], vcc
	s_cbranch_execz .LBB634_536
; %bb.533:                              ;   in Loop: Header=BB634_213 Depth=1
	v_and_b32_e32 v46, 0x7f, v44
	v_cmp_ne_u32_e32 vcc, s21, v46
	v_mov_b32_e32 v60, 0x7f800001
	s_and_saveexec_b64 s[18:19], vcc
	s_cbranch_execz .LBB634_535
; %bb.534:                              ;   in Loop: Header=BB634_213 Depth=1
	v_and_b32_e32 v62, 7, v44
	v_ffbh_u32_e32 v60, v62
	v_min_u32_e32 v64, 32, v60
	v_subrev_u32_e32 v60, 28, v64
	v_lshlrev_b64 v[60:61], v60, v[44:45]
	v_lshrrev_b32_e32 v63, 3, v46
	v_sub_u32_e32 v44, 29, v64
	v_and_b32_e32 v60, 7, v60
	v_cmp_gt_u32_e32 vcc, 8, v46
	v_cndmask_b32_e32 v44, v63, v44, vcc
	v_cndmask_b32_e32 v46, v62, v60, vcc
	v_lshlrev_b32_e32 v60, 16, v42
	v_lshlrev_b32_e32 v46, 20, v46
	v_and_b32_e32 v60, 0x80000000, v60
	v_lshl_add_u32 v44, v44, 23, v48
	v_or3_b32 v60, v60, v44, v46
.LBB634_535:                            ;   in Loop: Header=BB634_213 Depth=1
	s_or_b64 exec, exec, s[18:19]
.LBB634_536:                            ;   in Loop: Header=BB634_213 Depth=1
	s_or_b64 exec, exec, s[16:17]
.LBB634_537:                            ;   in Loop: Header=BB634_213 Depth=1
	s_or_b64 exec, exec, s[14:15]
	v_lshrrev_b32_e32 v44, 16, v42
	v_cmp_ne_u16_sdwa s[16:17], v44, v47 src0_sel:BYTE_0 src1_sel:DWORD
	s_and_saveexec_b64 s[14:15], s[16:17]
	s_cbranch_execz .LBB634_543
; %bb.538:                              ;   in Loop: Header=BB634_213 Depth=1
	v_cmp_ne_u16_sdwa s[18:19], v44, s9 src0_sel:BYTE_0 src1_sel:DWORD
	v_bfrev_b32_e32 v59, 1
	s_and_saveexec_b64 s[16:17], s[18:19]
	s_cbranch_execz .LBB634_542
; %bb.539:                              ;   in Loop: Header=BB634_213 Depth=1
	v_bfe_u32 v46, v42, 16, 7
	v_cmp_ne_u32_e32 vcc, s21, v46
	v_mov_b32_e32 v59, 0x7f800001
	s_and_saveexec_b64 s[18:19], vcc
	s_cbranch_execz .LBB634_541
; %bb.540:                              ;   in Loop: Header=BB634_213 Depth=1
	v_and_b32_e32 v59, 7, v44
	v_ffbh_u32_e32 v62, v59
	v_min_u32_e32 v64, 32, v62
	v_subrev_u32_e32 v62, 28, v64
	v_lshlrev_b64 v[62:63], v62, v[44:45]
	v_lshrrev_b32_e32 v61, 3, v46
	v_sub_u32_e32 v63, 29, v64
	v_and_b32_e32 v62, 7, v62
	v_cmp_gt_u32_e32 vcc, 8, v46
	v_cndmask_b32_e32 v46, v61, v63, vcc
	v_cndmask_b32_e32 v59, v59, v62, vcc
	v_lshlrev_b32_e32 v44, 24, v44
	v_lshlrev_b32_e32 v59, 20, v59
	v_and_b32_e32 v44, 0x80000000, v44
	v_lshl_add_u32 v46, v46, 23, v48
	v_or3_b32 v59, v44, v46, v59
.LBB634_541:                            ;   in Loop: Header=BB634_213 Depth=1
	s_or_b64 exec, exec, s[18:19]
.LBB634_542:                            ;   in Loop: Header=BB634_213 Depth=1
	s_or_b64 exec, exec, s[16:17]
.LBB634_543:                            ;   in Loop: Header=BB634_213 Depth=1
	s_or_b64 exec, exec, s[14:15]
	v_cmp_lt_u32_e32 vcc, s22, v42
	v_mov_b32_e32 v46, 0
	v_mov_b32_e32 v61, 0
	s_and_saveexec_b64 s[14:15], vcc
	s_cbranch_execz .LBB634_549
; %bb.544:                              ;   in Loop: Header=BB634_213 Depth=1
	v_lshrrev_b32_e32 v44, 24, v42
	v_cmp_ne_u32_e32 vcc, s9, v44
	v_bfrev_b32_e32 v61, 1
	s_and_saveexec_b64 s[16:17], vcc
	s_cbranch_execz .LBB634_548
; %bb.545:                              ;   in Loop: Header=BB634_213 Depth=1
	v_bfe_u32 v42, v42, 24, 7
	v_cmp_ne_u32_e32 vcc, s21, v42
	v_mov_b32_e32 v61, 0x7f800001
	s_and_saveexec_b64 s[18:19], vcc
	s_cbranch_execz .LBB634_547
; %bb.546:                              ;   in Loop: Header=BB634_213 Depth=1
	v_and_b32_e32 v61, 7, v44
	v_ffbh_u32_e32 v62, v61
	v_min_u32_e32 v65, 32, v62
	v_subrev_u32_e32 v62, 28, v65
	v_lshlrev_b64 v[62:63], v62, v[44:45]
	v_lshrrev_b32_e32 v64, 3, v42
	v_sub_u32_e32 v63, 29, v65
	v_and_b32_e32 v62, 7, v62
	v_cmp_gt_u32_e32 vcc, 8, v42
	v_cndmask_b32_e32 v42, v64, v63, vcc
	v_cndmask_b32_e32 v61, v61, v62, vcc
	v_lshlrev_b32_e32 v44, 24, v44
	v_lshlrev_b32_e32 v61, 20, v61
	v_and_b32_e32 v44, 0x80000000, v44
	v_lshl_add_u32 v42, v42, 23, v48
	v_or3_b32 v61, v44, v42, v61
.LBB634_547:                            ;   in Loop: Header=BB634_213 Depth=1
	s_or_b64 exec, exec, s[18:19]
.LBB634_548:                            ;   in Loop: Header=BB634_213 Depth=1
	s_or_b64 exec, exec, s[16:17]
.LBB634_549:                            ;   in Loop: Header=BB634_213 Depth=1
	s_or_b64 exec, exec, s[14:15]
	v_cvt_pkrtz_f16_f32 v62, v49, v51
	v_cvt_pkrtz_f16_f32 v63, v50, v53
	;; [unrolled: 1-line block ×4, first 2 shown]
	s_waitcnt vmcnt(1)
	v_cmp_ne_u16_sdwa s[16:17], v40, v47 src0_sel:BYTE_0 src1_sel:DWORD
	v_mfma_f32_16x16x16f16 v[34:37], v[62:63], v[26:27], v[34:37]
	v_mfma_f32_16x16x16f16 v[34:37], v[50:51], v[28:29], v[34:37]
	s_and_saveexec_b64 s[14:15], s[16:17]
	s_cbranch_execz .LBB634_555
; %bb.550:                              ;   in Loop: Header=BB634_213 Depth=1
	v_cmp_ne_u16_sdwa s[18:19], v40, s9 src0_sel:BYTE_0 src1_sel:DWORD
	v_bfrev_b32_e32 v46, 1
	s_and_saveexec_b64 s[16:17], s[18:19]
	s_cbranch_execz .LBB634_554
; %bb.551:                              ;   in Loop: Header=BB634_213 Depth=1
	v_and_b32_e32 v42, 0x7f, v40
	v_cmp_ne_u32_e32 vcc, s21, v42
	v_mov_b32_e32 v46, 0x7f800001
	s_and_saveexec_b64 s[18:19], vcc
	s_cbranch_execz .LBB634_553
; %bb.552:                              ;   in Loop: Header=BB634_213 Depth=1
	v_and_b32_e32 v44, 7, v40
	v_ffbh_u32_e32 v49, v44
	v_min_u32_e32 v49, 32, v49
	v_subrev_u32_e32 v50, 28, v49
	v_lshlrev_b64 v[50:51], v50, v[40:41]
	v_lshrrev_b32_e32 v46, 3, v42
	v_sub_u32_e32 v49, 29, v49
	v_and_b32_e32 v50, 7, v50
	v_cmp_gt_u32_e32 vcc, 8, v42
	v_cndmask_b32_e32 v42, v46, v49, vcc
	v_cndmask_b32_e32 v44, v44, v50, vcc
	v_lshlrev_b32_e32 v46, 24, v40
	v_lshlrev_b32_e32 v44, 20, v44
	v_and_b32_e32 v46, 0x80000000, v46
	v_lshl_add_u32 v42, v42, 23, v48
	v_or3_b32 v46, v46, v42, v44
.LBB634_553:                            ;   in Loop: Header=BB634_213 Depth=1
	s_or_b64 exec, exec, s[18:19]
.LBB634_554:                            ;   in Loop: Header=BB634_213 Depth=1
	s_or_b64 exec, exec, s[16:17]
.LBB634_555:                            ;   in Loop: Header=BB634_213 Depth=1
	s_or_b64 exec, exec, s[14:15]
	v_lshrrev_b16_e32 v42, 8, v40
	v_cmp_ne_u16_e32 vcc, 0, v42
	v_mov_b32_e32 v44, 0
	v_mov_b32_e32 v49, 0
	s_and_saveexec_b64 s[14:15], vcc
	s_cbranch_execz .LBB634_561
; %bb.556:                              ;   in Loop: Header=BB634_213 Depth=1
	v_cmp_ne_u16_e32 vcc, s9, v42
	v_bfrev_b32_e32 v49, 1
	s_and_saveexec_b64 s[16:17], vcc
	s_cbranch_execz .LBB634_560
; %bb.557:                              ;   in Loop: Header=BB634_213 Depth=1
	v_and_b32_e32 v50, 0x7f, v42
	v_cmp_ne_u32_e32 vcc, s21, v50
	v_mov_b32_e32 v49, 0x7f800001
	s_and_saveexec_b64 s[18:19], vcc
	s_cbranch_execz .LBB634_559
; %bb.558:                              ;   in Loop: Header=BB634_213 Depth=1
	v_and_b32_e32 v49, 7, v42
	v_ffbh_u32_e32 v52, v49
	v_min_u32_e32 v59, 32, v52
	v_subrev_u32_e32 v52, 28, v59
	v_lshlrev_b64 v[52:53], v52, v[42:43]
	v_lshrrev_b32_e32 v51, 3, v50
	v_sub_u32_e32 v42, 29, v59
	v_and_b32_e32 v52, 7, v52
	v_cmp_gt_u32_e32 vcc, 8, v50
	v_cndmask_b32_e32 v42, v51, v42, vcc
	v_cndmask_b32_e32 v49, v49, v52, vcc
	v_lshlrev_b32_e32 v50, 16, v40
	v_lshlrev_b32_e32 v49, 20, v49
	v_and_b32_e32 v50, 0x80000000, v50
	v_lshl_add_u32 v42, v42, 23, v48
	v_or3_b32 v49, v50, v42, v49
.LBB634_559:                            ;   in Loop: Header=BB634_213 Depth=1
	s_or_b64 exec, exec, s[18:19]
.LBB634_560:                            ;   in Loop: Header=BB634_213 Depth=1
	s_or_b64 exec, exec, s[16:17]
.LBB634_561:                            ;   in Loop: Header=BB634_213 Depth=1
	s_or_b64 exec, exec, s[14:15]
	v_lshrrev_b32_e32 v42, 16, v40
	v_cmp_ne_u16_sdwa s[16:17], v42, v47 src0_sel:BYTE_0 src1_sel:DWORD
	s_and_saveexec_b64 s[14:15], s[16:17]
	s_cbranch_execz .LBB634_567
; %bb.562:                              ;   in Loop: Header=BB634_213 Depth=1
	v_cmp_ne_u16_sdwa s[18:19], v42, s9 src0_sel:BYTE_0 src1_sel:DWORD
	v_bfrev_b32_e32 v44, 1
	s_and_saveexec_b64 s[16:17], s[18:19]
	s_cbranch_execz .LBB634_566
; %bb.563:                              ;   in Loop: Header=BB634_213 Depth=1
	v_bfe_u32 v50, v40, 16, 7
	v_cmp_ne_u32_e32 vcc, s21, v50
	v_mov_b32_e32 v44, 0x7f800001
	s_and_saveexec_b64 s[18:19], vcc
	s_cbranch_execz .LBB634_565
; %bb.564:                              ;   in Loop: Header=BB634_213 Depth=1
	v_and_b32_e32 v44, 7, v42
	v_ffbh_u32_e32 v52, v44
	v_min_u32_e32 v59, 32, v52
	v_subrev_u32_e32 v52, 28, v59
	v_lshlrev_b64 v[52:53], v52, v[42:43]
	v_lshrrev_b32_e32 v51, 3, v50
	v_sub_u32_e32 v53, 29, v59
	v_and_b32_e32 v52, 7, v52
	v_cmp_gt_u32_e32 vcc, 8, v50
	v_cndmask_b32_e32 v50, v51, v53, vcc
	v_cndmask_b32_e32 v44, v44, v52, vcc
	v_lshlrev_b32_e32 v42, 24, v42
	v_lshlrev_b32_e32 v44, 20, v44
	v_and_b32_e32 v42, 0x80000000, v42
	v_lshl_add_u32 v50, v50, 23, v48
	v_or3_b32 v44, v42, v50, v44
.LBB634_565:                            ;   in Loop: Header=BB634_213 Depth=1
	s_or_b64 exec, exec, s[18:19]
.LBB634_566:                            ;   in Loop: Header=BB634_213 Depth=1
	s_or_b64 exec, exec, s[16:17]
.LBB634_567:                            ;   in Loop: Header=BB634_213 Depth=1
	s_or_b64 exec, exec, s[14:15]
	v_cmp_lt_u32_e32 vcc, s22, v40
	v_mov_b32_e32 v50, 0
	v_mov_b32_e32 v51, 0
	s_and_saveexec_b64 s[14:15], vcc
	s_cbranch_execz .LBB634_573
; %bb.568:                              ;   in Loop: Header=BB634_213 Depth=1
	v_lshrrev_b32_e32 v42, 24, v40
	v_cmp_ne_u32_e32 vcc, s9, v42
	v_bfrev_b32_e32 v51, 1
	s_and_saveexec_b64 s[16:17], vcc
	s_cbranch_execz .LBB634_572
; %bb.569:                              ;   in Loop: Header=BB634_213 Depth=1
	v_bfe_u32 v40, v40, 24, 7
	v_cmp_ne_u32_e32 vcc, s21, v40
	v_mov_b32_e32 v51, 0x7f800001
	s_and_saveexec_b64 s[18:19], vcc
	s_cbranch_execz .LBB634_571
; %bb.570:                              ;   in Loop: Header=BB634_213 Depth=1
	v_and_b32_e32 v51, 7, v42
	v_ffbh_u32_e32 v52, v51
	v_min_u32_e32 v60, 32, v52
	v_subrev_u32_e32 v52, 28, v60
	v_lshlrev_b64 v[52:53], v52, v[42:43]
	v_lshrrev_b32_e32 v59, 3, v40
	v_sub_u32_e32 v53, 29, v60
	v_and_b32_e32 v52, 7, v52
	v_cmp_gt_u32_e32 vcc, 8, v40
	v_cndmask_b32_e32 v40, v59, v53, vcc
	v_cndmask_b32_e32 v51, v51, v52, vcc
	v_lshlrev_b32_e32 v42, 24, v42
	v_lshlrev_b32_e32 v51, 20, v51
	v_and_b32_e32 v42, 0x80000000, v42
	v_lshl_add_u32 v40, v40, 23, v48
	v_or3_b32 v51, v42, v40, v51
.LBB634_571:                            ;   in Loop: Header=BB634_213 Depth=1
	s_or_b64 exec, exec, s[18:19]
.LBB634_572:                            ;   in Loop: Header=BB634_213 Depth=1
	s_or_b64 exec, exec, s[16:17]
.LBB634_573:                            ;   in Loop: Header=BB634_213 Depth=1
	s_or_b64 exec, exec, s[14:15]
	s_waitcnt vmcnt(0)
	v_cmp_ne_u16_sdwa s[16:17], v38, v47 src0_sel:BYTE_0 src1_sel:DWORD
	s_and_saveexec_b64 s[14:15], s[16:17]
	s_cbranch_execz .LBB634_579
; %bb.574:                              ;   in Loop: Header=BB634_213 Depth=1
	v_cmp_ne_u16_sdwa s[18:19], v38, s9 src0_sel:BYTE_0 src1_sel:DWORD
	v_bfrev_b32_e32 v50, 1
	s_and_saveexec_b64 s[16:17], s[18:19]
	s_cbranch_execz .LBB634_578
; %bb.575:                              ;   in Loop: Header=BB634_213 Depth=1
	v_and_b32_e32 v40, 0x7f, v38
	v_cmp_ne_u32_e32 vcc, s21, v40
	v_mov_b32_e32 v50, 0x7f800001
	s_and_saveexec_b64 s[18:19], vcc
	s_cbranch_execz .LBB634_577
; %bb.576:                              ;   in Loop: Header=BB634_213 Depth=1
	v_and_b32_e32 v42, 7, v38
	v_ffbh_u32_e32 v52, v42
	v_min_u32_e32 v59, 32, v52
	v_subrev_u32_e32 v52, 28, v59
	v_lshlrev_b64 v[52:53], v52, v[38:39]
	v_lshrrev_b32_e32 v50, 3, v40
	v_sub_u32_e32 v53, 29, v59
	v_and_b32_e32 v52, 7, v52
	v_cmp_gt_u32_e32 vcc, 8, v40
	v_cndmask_b32_e32 v40, v50, v53, vcc
	v_cndmask_b32_e32 v42, v42, v52, vcc
	v_lshlrev_b32_e32 v50, 24, v38
	v_lshlrev_b32_e32 v42, 20, v42
	v_and_b32_e32 v50, 0x80000000, v50
	v_lshl_add_u32 v40, v40, 23, v48
	v_or3_b32 v50, v50, v40, v42
.LBB634_577:                            ;   in Loop: Header=BB634_213 Depth=1
	s_or_b64 exec, exec, s[18:19]
.LBB634_578:                            ;   in Loop: Header=BB634_213 Depth=1
	s_or_b64 exec, exec, s[16:17]
.LBB634_579:                            ;   in Loop: Header=BB634_213 Depth=1
	s_or_b64 exec, exec, s[14:15]
	v_lshrrev_b16_e32 v40, 8, v38
	v_cmp_ne_u16_e32 vcc, 0, v40
	v_mov_b32_e32 v42, 0
	v_mov_b32_e32 v52, 0
	s_and_saveexec_b64 s[14:15], vcc
	s_cbranch_execz .LBB634_585
; %bb.580:                              ;   in Loop: Header=BB634_213 Depth=1
	v_cmp_ne_u16_e32 vcc, s9, v40
	v_bfrev_b32_e32 v52, 1
	s_and_saveexec_b64 s[16:17], vcc
	s_cbranch_execz .LBB634_584
; %bb.581:                              ;   in Loop: Header=BB634_213 Depth=1
	v_and_b32_e32 v53, 0x7f, v40
	v_cmp_ne_u32_e32 vcc, s21, v53
	v_mov_b32_e32 v52, 0x7f800001
	s_and_saveexec_b64 s[18:19], vcc
	s_cbranch_execz .LBB634_583
; %bb.582:                              ;   in Loop: Header=BB634_213 Depth=1
	v_and_b32_e32 v52, 7, v40
	v_ffbh_u32_e32 v60, v52
	v_min_u32_e32 v62, 32, v60
	v_subrev_u32_e32 v60, 28, v62
	v_lshlrev_b64 v[60:61], v60, v[40:41]
	v_lshrrev_b32_e32 v59, 3, v53
	v_sub_u32_e32 v40, 29, v62
	v_and_b32_e32 v60, 7, v60
	v_cmp_gt_u32_e32 vcc, 8, v53
	v_cndmask_b32_e32 v40, v59, v40, vcc
	v_cndmask_b32_e32 v52, v52, v60, vcc
	v_lshlrev_b32_e32 v53, 16, v38
	v_lshlrev_b32_e32 v52, 20, v52
	v_and_b32_e32 v53, 0x80000000, v53
	v_lshl_add_u32 v40, v40, 23, v48
	v_or3_b32 v52, v53, v40, v52
.LBB634_583:                            ;   in Loop: Header=BB634_213 Depth=1
	s_or_b64 exec, exec, s[18:19]
.LBB634_584:                            ;   in Loop: Header=BB634_213 Depth=1
	s_or_b64 exec, exec, s[16:17]
.LBB634_585:                            ;   in Loop: Header=BB634_213 Depth=1
	s_or_b64 exec, exec, s[14:15]
	v_lshrrev_b32_e32 v40, 16, v38
	v_cmp_ne_u16_sdwa s[16:17], v40, v47 src0_sel:BYTE_0 src1_sel:DWORD
	s_and_saveexec_b64 s[14:15], s[16:17]
	s_cbranch_execz .LBB634_591
; %bb.586:                              ;   in Loop: Header=BB634_213 Depth=1
	v_cmp_ne_u16_sdwa s[18:19], v40, s9 src0_sel:BYTE_0 src1_sel:DWORD
	v_bfrev_b32_e32 v42, 1
	s_and_saveexec_b64 s[16:17], s[18:19]
	s_cbranch_execz .LBB634_590
; %bb.587:                              ;   in Loop: Header=BB634_213 Depth=1
	v_bfe_u32 v53, v38, 16, 7
	v_cmp_ne_u32_e32 vcc, s21, v53
	v_mov_b32_e32 v42, 0x7f800001
	s_and_saveexec_b64 s[18:19], vcc
	s_cbranch_execz .LBB634_589
; %bb.588:                              ;   in Loop: Header=BB634_213 Depth=1
	v_and_b32_e32 v42, 7, v40
	v_ffbh_u32_e32 v60, v42
	v_min_u32_e32 v62, 32, v60
	v_subrev_u32_e32 v60, 28, v62
	v_lshlrev_b64 v[60:61], v60, v[40:41]
	v_lshrrev_b32_e32 v59, 3, v53
	v_sub_u32_e32 v61, 29, v62
	v_and_b32_e32 v60, 7, v60
	v_cmp_gt_u32_e32 vcc, 8, v53
	v_cndmask_b32_e32 v53, v59, v61, vcc
	v_cndmask_b32_e32 v42, v42, v60, vcc
	v_lshlrev_b32_e32 v40, 24, v40
	v_lshlrev_b32_e32 v42, 20, v42
	v_and_b32_e32 v40, 0x80000000, v40
	v_lshl_add_u32 v53, v53, 23, v48
	v_or3_b32 v42, v40, v53, v42
.LBB634_589:                            ;   in Loop: Header=BB634_213 Depth=1
	s_or_b64 exec, exec, s[18:19]
.LBB634_590:                            ;   in Loop: Header=BB634_213 Depth=1
	s_or_b64 exec, exec, s[16:17]
.LBB634_591:                            ;   in Loop: Header=BB634_213 Depth=1
	s_or_b64 exec, exec, s[14:15]
	v_cmp_lt_u32_e32 vcc, s22, v38
	v_mov_b32_e32 v53, 0
	s_and_saveexec_b64 s[14:15], vcc
	s_cbranch_execz .LBB634_212
; %bb.592:                              ;   in Loop: Header=BB634_213 Depth=1
	v_lshrrev_b32_e32 v40, 24, v38
	v_cmp_ne_u32_e32 vcc, s9, v40
	v_bfrev_b32_e32 v53, 1
	s_and_saveexec_b64 s[16:17], vcc
	s_cbranch_execz .LBB634_211
; %bb.593:                              ;   in Loop: Header=BB634_213 Depth=1
	v_bfe_u32 v38, v38, 24, 7
	v_cmp_ne_u32_e32 vcc, s21, v38
	v_mov_b32_e32 v53, 0x7f800001
	s_and_saveexec_b64 s[18:19], vcc
	s_cbranch_execz .LBB634_210
; %bb.594:                              ;   in Loop: Header=BB634_213 Depth=1
	v_and_b32_e32 v53, 7, v40
	v_ffbh_u32_e32 v60, v53
	v_min_u32_e32 v62, 32, v60
	v_subrev_u32_e32 v60, 28, v62
	v_lshlrev_b64 v[60:61], v60, v[40:41]
	v_lshrrev_b32_e32 v59, 3, v38
	v_sub_u32_e32 v61, 29, v62
	v_and_b32_e32 v60, 7, v60
	v_cmp_gt_u32_e32 vcc, 8, v38
	v_cndmask_b32_e32 v38, v59, v61, vcc
	v_cndmask_b32_e32 v53, v53, v60, vcc
	v_lshlrev_b32_e32 v40, 24, v40
	v_lshlrev_b32_e32 v53, 20, v53
	v_and_b32_e32 v40, 0x80000000, v40
	v_lshl_add_u32 v38, v38, 23, v48
	v_or3_b32 v53, v40, v38, v53
	s_branch .LBB634_210
.LBB634_595:
	s_barrier
	buffer_load_dword v2, off, s[0:3], 0 offset:320
	buffer_load_dword v5, off, s[0:3], 0 offset:332
	;; [unrolled: 1-line block ×4, first 2 shown]
	v_cmp_gt_u32_e32 vcc, 64, v0
	s_waitcnt vmcnt(0)
	ds_write2st64_b64 v43, v[2:3], v[4:5] offset1:1
	s_waitcnt lgkmcnt(0)
	s_barrier
	s_and_saveexec_b64 s[6:7], vcc
	s_cbranch_execz .LBB634_598
; %bb.596:
	s_lshl_b32 s6, s50, 7
	s_mul_i32 s7, s20, s8
	s_mul_hi_u32 s11, s7, s6
	s_mul_i32 s10, s7, s6
	s_lshl_b64 s[10:11], s[10:11], 1
	v_lshlrev_b32_e32 v4, 6, v55
	s_add_u32 s7, s48, s10
	v_lshl_or_b32 v0, v0, 10, v4
	s_mov_b32 s9, 0
	s_addc_u32 s10, s49, s11
	s_lshl_b32 s8, s24, 7
	v_lshlrev_b32_e32 v2, 5, v1
	v_and_b32_e32 v3, 16, v56
	v_and_b32_e32 v0, 0x1a00, v0
	s_lshl_b64 s[8:9], s[8:9], 1
	v_or3_b32 v0, v0, v2, v3
	s_add_u32 s7, s7, s8
	ds_read_b128 v[4:7], v0 offset:256
	s_addc_u32 s8, s10, s9
	ds_read_b128 v[8:11], v0 offset:128
	ds_read_b128 v[12:15], v0
	v_add_u32_e32 v18, s25, v1
	v_mov_b32_e32 v3, s8
	v_add_co_u32_e32 v2, vcc, s7, v54
	v_mad_u64_u32 v[16:17], s[8:9], v18, s6, 0
	v_addc_co_u32_e32 v3, vcc, 0, v3, vcc
	v_lshlrev_b64 v[16:17], 1, v[16:17]
	v_add_co_u32_e32 v16, vcc, v2, v16
	v_addc_co_u32_e32 v17, vcc, v3, v17, vcc
	s_waitcnt lgkmcnt(0)
	global_store_dwordx4 v[16:17], v[12:15], off
	s_nop 0
	v_add_u32_e32 v12, 4, v18
	v_mad_u64_u32 v[12:13], s[8:9], v12, s6, 0
	v_lshlrev_b64 v[12:13], 1, v[12:13]
	v_add_co_u32_e32 v12, vcc, v2, v12
	v_addc_co_u32_e32 v13, vcc, v3, v13, vcc
	global_store_dwordx4 v[12:13], v[8:11], off
	s_nop 0
	v_add_u32_e32 v8, 8, v18
	v_mad_u64_u32 v[8:9], s[8:9], v8, s6, 0
	v_lshlrev_b64 v[8:9], 1, v[8:9]
	v_add_co_u32_e32 v8, vcc, v2, v8
	v_addc_co_u32_e32 v9, vcc, v3, v9, vcc
	global_store_dwordx4 v[8:9], v[4:7], off
	s_and_b64 exec, exec, s[4:5]
	s_cbranch_execz .LBB634_598
; %bb.597:
	ds_read_b128 v[4:7], v0 offset:384
	v_add3_u32 v0, s25, v1, 12
	v_mad_u64_u32 v[0:1], s[4:5], v0, s6, 0
	v_lshlrev_b64 v[0:1], 1, v[0:1]
	v_add_co_u32_e32 v0, vcc, v2, v0
	v_addc_co_u32_e32 v1, vcc, v3, v1, vcc
	s_waitcnt lgkmcnt(0)
	global_store_dwordx4 v[0:1], v[4:7], off
.LBB634_598:
	s_endpgm
	.section	.rodata,"a",@progbits
	.p2align	6, 0x0
	.amdhsa_kernel _Z39paged_attention_ll4mi_QKV_mfma16_kernelIDF16_hLN4vllm18Fp8KVCacheDataTypeE1EDF16_Li16ELi128ELi256ELb0ELi13EL8MFMAType0EEvPKT_PKT0_S8_ifPKiSA_SA_iPKfiiiPfSD_PS3_PT2_iSC_SC_
		.amdhsa_group_segment_fixed_size 8192
		.amdhsa_private_segment_fixed_size 352
		.amdhsa_kernarg_size 400
		.amdhsa_user_sgpr_count 8
		.amdhsa_user_sgpr_private_segment_buffer 1
		.amdhsa_user_sgpr_dispatch_ptr 0
		.amdhsa_user_sgpr_queue_ptr 0
		.amdhsa_user_sgpr_kernarg_segment_ptr 1
		.amdhsa_user_sgpr_dispatch_id 0
		.amdhsa_user_sgpr_flat_scratch_init 1
		.amdhsa_user_sgpr_kernarg_preload_length 0
		.amdhsa_user_sgpr_kernarg_preload_offset 0
		.amdhsa_user_sgpr_private_segment_size 0
		.amdhsa_uses_dynamic_stack 0
		.amdhsa_system_sgpr_private_segment_wavefront_offset 1
		.amdhsa_system_sgpr_workgroup_id_x 1
		.amdhsa_system_sgpr_workgroup_id_y 1
		.amdhsa_system_sgpr_workgroup_id_z 1
		.amdhsa_system_sgpr_workgroup_info 0
		.amdhsa_system_vgpr_workitem_id 0
		.amdhsa_next_free_vgpr 76
		.amdhsa_next_free_sgpr 53
		.amdhsa_accum_offset 76
		.amdhsa_reserve_vcc 1
		.amdhsa_reserve_flat_scratch 0
		.amdhsa_float_round_mode_32 0
		.amdhsa_float_round_mode_16_64 0
		.amdhsa_float_denorm_mode_32 3
		.amdhsa_float_denorm_mode_16_64 3
		.amdhsa_dx10_clamp 1
		.amdhsa_ieee_mode 1
		.amdhsa_fp16_overflow 0
		.amdhsa_tg_split 0
		.amdhsa_exception_fp_ieee_invalid_op 0
		.amdhsa_exception_fp_denorm_src 0
		.amdhsa_exception_fp_ieee_div_zero 0
		.amdhsa_exception_fp_ieee_overflow 0
		.amdhsa_exception_fp_ieee_underflow 0
		.amdhsa_exception_fp_ieee_inexact 0
		.amdhsa_exception_int_div_zero 0
	.end_amdhsa_kernel
	.section	.text._Z39paged_attention_ll4mi_QKV_mfma16_kernelIDF16_hLN4vllm18Fp8KVCacheDataTypeE1EDF16_Li16ELi128ELi256ELb0ELi13EL8MFMAType0EEvPKT_PKT0_S8_ifPKiSA_SA_iPKfiiiPfSD_PS3_PT2_iSC_SC_,"axG",@progbits,_Z39paged_attention_ll4mi_QKV_mfma16_kernelIDF16_hLN4vllm18Fp8KVCacheDataTypeE1EDF16_Li16ELi128ELi256ELb0ELi13EL8MFMAType0EEvPKT_PKT0_S8_ifPKiSA_SA_iPKfiiiPfSD_PS3_PT2_iSC_SC_,comdat
.Lfunc_end634:
	.size	_Z39paged_attention_ll4mi_QKV_mfma16_kernelIDF16_hLN4vllm18Fp8KVCacheDataTypeE1EDF16_Li16ELi128ELi256ELb0ELi13EL8MFMAType0EEvPKT_PKT0_S8_ifPKiSA_SA_iPKfiiiPfSD_PS3_PT2_iSC_SC_, .Lfunc_end634-_Z39paged_attention_ll4mi_QKV_mfma16_kernelIDF16_hLN4vllm18Fp8KVCacheDataTypeE1EDF16_Li16ELi128ELi256ELb0ELi13EL8MFMAType0EEvPKT_PKT0_S8_ifPKiSA_SA_iPKfiiiPfSD_PS3_PT2_iSC_SC_
                                        ; -- End function
	.section	.AMDGPU.csdata,"",@progbits
; Kernel info:
; codeLenInByte = 21252
; NumSgprs: 57
; NumVgprs: 76
; NumAgprs: 0
; TotalNumVgprs: 76
; ScratchSize: 352
; MemoryBound: 0
; FloatMode: 240
; IeeeMode: 1
; LDSByteSize: 8192 bytes/workgroup (compile time only)
; SGPRBlocks: 7
; VGPRBlocks: 9
; NumSGPRsForWavesPerEU: 57
; NumVGPRsForWavesPerEU: 76
; AccumOffset: 76
; Occupancy: 6
; WaveLimiterHint : 1
; COMPUTE_PGM_RSRC2:SCRATCH_EN: 1
; COMPUTE_PGM_RSRC2:USER_SGPR: 8
; COMPUTE_PGM_RSRC2:TRAP_HANDLER: 0
; COMPUTE_PGM_RSRC2:TGID_X_EN: 1
; COMPUTE_PGM_RSRC2:TGID_Y_EN: 1
; COMPUTE_PGM_RSRC2:TGID_Z_EN: 1
; COMPUTE_PGM_RSRC2:TIDIG_COMP_CNT: 0
; COMPUTE_PGM_RSRC3_GFX90A:ACCUM_OFFSET: 18
; COMPUTE_PGM_RSRC3_GFX90A:TG_SPLIT: 0
	.section	.text._Z39paged_attention_ll4mi_QKV_mfma16_kernelIDF16_hLN4vllm18Fp8KVCacheDataTypeE1EDF16_Li16ELi128ELi256ELb0ELi14EL8MFMAType0EEvPKT_PKT0_S8_ifPKiSA_SA_iPKfiiiPfSD_PS3_PT2_iSC_SC_,"axG",@progbits,_Z39paged_attention_ll4mi_QKV_mfma16_kernelIDF16_hLN4vllm18Fp8KVCacheDataTypeE1EDF16_Li16ELi128ELi256ELb0ELi14EL8MFMAType0EEvPKT_PKT0_S8_ifPKiSA_SA_iPKfiiiPfSD_PS3_PT2_iSC_SC_,comdat
	.protected	_Z39paged_attention_ll4mi_QKV_mfma16_kernelIDF16_hLN4vllm18Fp8KVCacheDataTypeE1EDF16_Li16ELi128ELi256ELb0ELi14EL8MFMAType0EEvPKT_PKT0_S8_ifPKiSA_SA_iPKfiiiPfSD_PS3_PT2_iSC_SC_ ; -- Begin function _Z39paged_attention_ll4mi_QKV_mfma16_kernelIDF16_hLN4vllm18Fp8KVCacheDataTypeE1EDF16_Li16ELi128ELi256ELb0ELi14EL8MFMAType0EEvPKT_PKT0_S8_ifPKiSA_SA_iPKfiiiPfSD_PS3_PT2_iSC_SC_
	.globl	_Z39paged_attention_ll4mi_QKV_mfma16_kernelIDF16_hLN4vllm18Fp8KVCacheDataTypeE1EDF16_Li16ELi128ELi256ELb0ELi14EL8MFMAType0EEvPKT_PKT0_S8_ifPKiSA_SA_iPKfiiiPfSD_PS3_PT2_iSC_SC_
	.p2align	8
	.type	_Z39paged_attention_ll4mi_QKV_mfma16_kernelIDF16_hLN4vllm18Fp8KVCacheDataTypeE1EDF16_Li16ELi128ELi256ELb0ELi14EL8MFMAType0EEvPKT_PKT0_S8_ifPKiSA_SA_iPKfiiiPfSD_PS3_PT2_iSC_SC_,@function
_Z39paged_attention_ll4mi_QKV_mfma16_kernelIDF16_hLN4vllm18Fp8KVCacheDataTypeE1EDF16_Li16ELi128ELi256ELb0ELi14EL8MFMAType0EEvPKT_PKT0_S8_ifPKiSA_SA_iPKfiiiPfSD_PS3_PT2_iSC_SC_: ; @_Z39paged_attention_ll4mi_QKV_mfma16_kernelIDF16_hLN4vllm18Fp8KVCacheDataTypeE1EDF16_Li16ELi128ELi256ELb0ELi14EL8MFMAType0EEvPKT_PKT0_S8_ifPKiSA_SA_iPKfiiiPfSD_PS3_PT2_iSC_SC_
; %bb.0:
	s_load_dwordx2 s[6:7], s[4:5], 0x30
	s_add_u32 s0, s0, s11
	s_addc_u32 s1, s1, 0
	s_mov_b32 s24, s9
	s_mov_b64 s[12:13], 0
	s_waitcnt lgkmcnt(0)
	s_cmp_lg_u64 s[6:7], 0
	s_cselect_b64 s[16:17], -1, 0
	s_and_b64 vcc, exec, s[16:17]
	s_cbranch_vccz .LBB635_7
; %bb.1:
	s_add_i32 s14, s8, 1
	s_mov_b32 s15, 0
	s_lshl_b64 s[18:19], s[14:15], 2
	s_add_u32 s18, s6, s18
	s_mov_b32 s9, s15
	s_addc_u32 s19, s7, s19
	s_lshl_b64 s[14:15], s[8:9], 2
	s_add_u32 s14, s6, s14
	s_addc_u32 s15, s7, s15
	s_load_dword s11, s[18:19], 0x0
	s_load_dword s20, s[14:15], 0x0
	s_waitcnt lgkmcnt(0)
	s_sub_i32 s11, s11, s20
	s_cmp_eq_u32 s11, 1
	s_cselect_b64 s[14:15], -1, 0
	s_andn2_b64 vcc, exec, s[12:13]
	s_cbranch_vccnz .LBB635_3
.LBB635_2:
	s_mov_b32 s9, 0
	s_mov_b64 s[14:15], -1
.LBB635_3:
	s_andn2_b64 vcc, exec, s[14:15]
	s_cbranch_vccnz .LBB635_598
; %bb.4:
	s_load_dwordx2 s[12:13], s[4:5], 0x28
	s_lshl_b64 s[18:19], s[8:9], 2
	s_waitcnt lgkmcnt(0)
	s_add_u32 s12, s12, s18
	s_addc_u32 s13, s13, s19
	s_load_dword s33, s[12:13], 0x0
	s_lshl_b32 s20, s24, 8
	s_waitcnt lgkmcnt(0)
	s_cmp_ge_i32 s20, s33
	s_cbranch_scc1 .LBB635_598
; %bb.5:
	s_add_i32 s14, s33, 15
	s_load_dwordx2 s[12:13], s[4:5], 0x20
	s_load_dword s11, s[4:5], 0x38
	s_ashr_i32 s15, s14, 31
	v_and_b32_e32 v1, 0xcf, v0
	s_lshr_b32 s15, s15, 28
	v_add_u32_e32 v1, s20, v1
	s_add_i32 s14, s14, s15
	v_ashrrev_i32_e32 v2, 31, v1
	s_ashr_i32 s22, s14, 4
	v_lshrrev_b32_e32 v6, 28, v2
	s_add_i32 s22, s22, -1
	v_add_u32_e32 v2, v1, v6
	s_waitcnt lgkmcnt(0)
	s_mul_i32 s14, s8, s11
	s_mov_b32 s15, 0
	v_ashrrev_i32_e32 v2, 4, v2
	v_mov_b32_e32 v7, s22
	v_cmp_gt_i32_e32 vcc, s33, v1
	s_lshl_b64 s[14:15], s[14:15], 2
	v_cndmask_b32_e32 v2, v7, v2, vcc
	s_add_u32 s11, s12, s14
	v_ashrrev_i32_e32 v3, 31, v2
	s_addc_u32 s21, s13, s15
	v_lshlrev_b64 v[2:3], 2, v[2:3]
	v_mov_b32_e32 v5, s21
	v_add_co_u32_e32 v4, vcc, s11, v2
	v_or_b32_e32 v2, 16, v1
	v_addc_co_u32_e32 v5, vcc, v5, v3, vcc
	v_add_u32_e32 v3, v2, v6
	v_ashrrev_i32_e32 v3, 4, v3
	v_cmp_gt_i32_e32 vcc, s33, v2
	v_cndmask_b32_e32 v2, v7, v3, vcc
	v_ashrrev_i32_e32 v3, 31, v2
	v_lshlrev_b64 v[2:3], 2, v[2:3]
	v_mov_b32_e32 v9, s21
	v_add_co_u32_e32 v8, vcc, s11, v2
	v_or_b32_e32 v2, 32, v1
	v_addc_co_u32_e32 v9, vcc, v9, v3, vcc
	v_add_u32_e32 v3, v2, v6
	v_ashrrev_i32_e32 v3, 4, v3
	v_cmp_gt_i32_e32 vcc, s33, v2
	v_cndmask_b32_e32 v2, v7, v3, vcc
	v_ashrrev_i32_e32 v3, 31, v2
	;; [unrolled: 10-line block ×3, first 2 shown]
	v_lshlrev_b64 v[2:3], 2, v[2:3]
	v_mov_b32_e32 v1, s21
	v_add_co_u32_e32 v12, vcc, s11, v2
	v_addc_co_u32_e32 v13, vcc, v1, v3, vcc
	global_load_dword v3, v[4:5], off
	global_load_dword v2, v[8:9], off
	;; [unrolled: 1-line block ×4, first 2 shown]
	s_load_dwordx4 s[12:15], s[4:5], 0x8
	s_andn2_b64 vcc, exec, s[16:17]
	s_cbranch_vccnz .LBB635_8
; %bb.6:
	s_add_u32 s6, s6, s18
	s_addc_u32 s7, s7, s19
	s_load_dword s16, s[6:7], 0x0
	s_branch .LBB635_9
.LBB635_7:
	s_mov_b64 s[14:15], 0
	s_branch .LBB635_2
.LBB635_8:
	s_mov_b32 s16, s8
.LBB635_9:
	s_load_dwordx2 s[48:49], s[4:5], 0x68
	s_load_dwordx8 s[40:47], s[4:5], 0x48
	v_lshrrev_b32_e32 v62, 6, v0
	v_bfe_u32 v1, v0, 4, 2
	v_and_b32_e32 v55, 15, v0
	v_lshl_or_b32 v4, v62, 2, v1
	v_lshlrev_b32_e32 v5, 3, v55
	s_mul_i32 s25, s10, 14
	v_cmp_gt_u32_e32 vcc, 14, v4
	v_lshlrev_b32_e32 v54, 1, v5
	v_lshlrev_b32_e32 v56, 4, v0
	s_and_saveexec_b64 s[6:7], vcc
	s_cbranch_execz .LBB635_11
; %bb.10:
	s_load_dwordx2 s[18:19], s[4:5], 0x0
	s_waitcnt lgkmcnt(0)
	s_ashr_i32 s17, s40, 31
	s_mul_hi_u32 s23, s16, s40
	s_mul_i32 s17, s16, s17
	s_add_i32 s17, s23, s17
	s_mul_i32 s16, s16, s40
	s_lshl_b64 s[16:17], s[16:17], 1
	v_add_lshl_u32 v8, v4, s25, 7
	s_add_u32 s16, s18, s16
	v_ashrrev_i32_e32 v9, 31, v8
	s_addc_u32 s17, s19, s17
	v_lshlrev_b64 v[8:9], 1, v[8:9]
	v_mov_b32_e32 v5, s17
	v_add_co_u32_e32 v7, vcc, s16, v8
	v_addc_co_u32_e32 v5, vcc, v5, v9, vcc
	v_add_co_u32_e32 v8, vcc, v7, v54
	v_addc_co_u32_e32 v9, vcc, 0, v5, vcc
	global_load_dwordx4 v[8:11], v[8:9], off
	v_lshlrev_b32_e32 v7, 8, v0
	v_lshlrev_b32_e32 v5, 8, v55
	v_and_b32_e32 v7, 0x600, v7
	s_movk_i32 s16, 0x800
	v_and_or_b32 v5, v5, s16, v7
	v_lshlrev_b32_e32 v4, 5, v4
	v_and_b32_e32 v7, 16, v56
	v_or3_b32 v4, v5, v4, v7
	s_waitcnt vmcnt(0)
	ds_write_b128 v4, v[8:11]
.LBB635_11:
	s_or_b64 exec, exec, s[6:7]
	v_and_b32_e32 v7, 48, v0
	v_or_b32_e32 v14, s20, v7
	v_ashrrev_i32_e32 v4, 4, v14
	v_mov_b32_e32 v15, s22
	v_cmp_gt_i32_e32 vcc, s33, v14
	v_cndmask_b32_e32 v4, v15, v4, vcc
	v_ashrrev_i32_e32 v5, 31, v4
	v_lshlrev_b64 v[4:5], 2, v[4:5]
	v_mov_b32_e32 v8, s21
	v_add_co_u32_e32 v4, vcc, s11, v4
	v_addc_co_u32_e32 v5, vcc, v8, v5, vcc
	v_or_b32_e32 v8, 64, v14
	v_ashrrev_i32_e32 v9, 4, v8
	v_cmp_gt_i32_e32 vcc, s33, v8
	v_cndmask_b32_e32 v8, v15, v9, vcc
	v_ashrrev_i32_e32 v9, 31, v8
	v_lshlrev_b64 v[8:9], 2, v[8:9]
	v_mov_b32_e32 v10, s21
	v_add_co_u32_e32 v8, vcc, s11, v8
	v_addc_co_u32_e32 v9, vcc, v10, v9, vcc
	v_or_b32_e32 v10, 0x80, v14
	v_ashrrev_i32_e32 v11, 4, v10
	v_cmp_gt_i32_e32 vcc, s33, v10
	v_cndmask_b32_e32 v10, v15, v11, vcc
	v_ashrrev_i32_e32 v11, 31, v10
	v_lshlrev_b64 v[10:11], 2, v[10:11]
	v_mov_b32_e32 v16, s21
	v_add_co_u32_e32 v10, vcc, s11, v10
	s_load_dwordx2 s[50:51], s[4:5], 0x94
	s_waitcnt lgkmcnt(0)
	s_barrier
	v_addc_co_u32_e32 v11, vcc, v16, v11, vcc
	global_load_dword v50, v[4:5], off
	global_load_dword v57, v[8:9], off
	global_load_dword v68, v[10:11], off
	v_or_b32_e32 v4, 0xc0, v14
	v_ashrrev_i32_e32 v5, 4, v4
	v_cmp_gt_i32_e32 vcc, s33, v4
	v_cndmask_b32_e32 v4, v15, v5, vcc
	v_ashrrev_i32_e32 v5, 31, v4
	v_lshlrev_b64 v[4:5], 2, v[4:5]
	v_mov_b32_e32 v8, s21
	v_add_co_u32_e32 v4, vcc, s11, v4
	v_addc_co_u32_e32 v5, vcc, v8, v5, vcc
	s_mul_i32 s10, s10, s42
	global_load_dword v72, v[4:5], off
	s_add_u32 s6, s12, s10
	s_addc_u32 s7, s13, 0
	v_and_b32_e32 v12, 0xf0, v56
	v_mov_b32_e32 v13, s7
	v_add_co_u32_e32 v20, vcc, s6, v12
	v_addc_co_u32_e32 v21, vcc, 0, v13, vcc
	v_lshlrev_b32_e32 v28, 4, v7
	s_waitcnt vmcnt(7)
	v_mad_i64_i32 v[4:5], s[6:7], v3, s41, v[20:21]
	v_add_co_u32_e32 v4, vcc, v4, v28
	v_addc_co_u32_e32 v5, vcc, 0, v5, vcc
	global_load_dwordx4 v[38:41], v[4:5], off
	global_load_dwordx4 v[10:13], v[4:5], off offset:1024
	s_waitcnt vmcnt(8)
	v_mad_i64_i32 v[2:3], s[6:7], v2, s41, v[20:21]
	v_add_co_u32_e32 v8, vcc, v2, v28
	v_addc_co_u32_e32 v9, vcc, 0, v3, vcc
	s_waitcnt vmcnt(7)
	v_mad_i64_i32 v[6:7], s[6:7], v6, s41, v[20:21]
	v_add_co_u32_e32 v26, vcc, v6, v28
	v_addc_co_u32_e32 v27, vcc, 0, v7, vcc
	s_waitcnt vmcnt(6)
	v_mad_i64_i32 v[18:19], s[6:7], v18, s41, v[20:21]
	v_add_co_u32_e32 v30, vcc, v18, v28
	s_add_u32 s10, s14, s10
	v_lshl_or_b32 v63, v62, 4, v55
	global_load_dwordx4 v[14:17], v[8:9], off
	global_load_dwordx4 v[2:5], v[8:9], off offset:1024
	v_addc_co_u32_e32 v31, vcc, 0, v19, vcc
	s_addc_u32 s11, s15, 0
	v_lshlrev_b32_e32 v51, 4, v63
	global_load_dwordx4 v[6:9], v[26:27], off
	global_load_dwordx4 v[22:25], v[26:27], off offset:1024
	s_nop 0
	global_load_dwordx4 v[26:29], v[30:31], off
	global_load_dwordx4 v[18:21], v[30:31], off offset:1024
	v_mov_b32_e32 v30, s11
	v_add_co_u32_e32 v42, vcc, s10, v51
	v_addc_co_u32_e32 v43, vcc, 0, v30, vcc
	v_or_b32_e32 v51, 0x400, v51
	v_mov_b32_e32 v52, s11
	v_add_co_u32_e32 v58, vcc, s10, v51
	v_addc_co_u32_e32 v59, vcc, 0, v52, vcc
	v_cmp_gt_u32_e32 vcc, 14, v55
	s_mov_b32 s12, 0
	s_movk_i32 s13, 0x80
	s_movk_i32 s14, 0x7f
	s_mov_b32 s15, 0xffffff
	s_waitcnt vmcnt(11)
	v_mad_i64_i32 v[30:31], s[6:7], v50, s41, v[42:43]
	s_waitcnt vmcnt(10)
	v_mad_i64_i32 v[32:33], s[6:7], v57, s41, v[42:43]
	s_waitcnt vmcnt(9)
	v_mad_i64_i32 v[44:45], s[6:7], v68, s41, v[42:43]
	global_load_dwordx4 v[34:37], v[30:31], off
	s_nop 0
	global_load_dwordx4 v[30:33], v[32:33], off
	v_mad_i64_i32 v[50:51], s[6:7], v50, s41, v[58:59]
	v_mad_i64_i32 v[60:61], s[6:7], v57, s41, v[58:59]
	s_waitcnt vmcnt(10)
	v_mad_i64_i32 v[42:43], s[6:7], v72, s41, v[42:43]
	global_load_dwordx4 v[46:49], v[44:45], off
	s_nop 0
	global_load_dwordx4 v[42:45], v[42:43], off
	s_nop 0
	;; [unrolled: 2-line block ×3, first 2 shown]
	global_load_dwordx4 v[64:67], v[60:61], off
	s_waitcnt vmcnt(13)
	buffer_store_dword v41, off, s[0:3], 0 offset:12
	buffer_store_dword v40, off, s[0:3], 0 offset:8
	v_mad_i64_i32 v[40:41], s[6:7], v68, s41, v[58:59]
	global_load_dwordx4 v[68:71], v[40:41], off
	v_mad_i64_i32 v[40:41], s[6:7], v72, s41, v[58:59]
	global_load_dwordx4 v[72:75], v[40:41], off
	s_nop 0
	buffer_store_dword v39, off, s[0:3], 0 offset:4
	buffer_store_dword v38, off, s[0:3], 0
	s_waitcnt vmcnt(18)
	buffer_store_dword v13, off, s[0:3], 0 offset:28
	buffer_store_dword v12, off, s[0:3], 0 offset:24
	;; [unrolled: 1-line block ×4, first 2 shown]
	s_waitcnt vmcnt(21)
	buffer_store_dword v17, off, s[0:3], 0 offset:44
	buffer_store_dword v16, off, s[0:3], 0 offset:40
	buffer_store_dword v15, off, s[0:3], 0 offset:36
	buffer_store_dword v14, off, s[0:3], 0 offset:32
	s_load_dword s6, s[4:5], 0x1c
	s_load_dwordx4 s[40:43], s[4:5], 0x80
	s_waitcnt vmcnt(24)
	buffer_store_dword v5, off, s[0:3], 0 offset:60
	buffer_store_dword v4, off, s[0:3], 0 offset:56
	;; [unrolled: 1-line block ×4, first 2 shown]
	v_add_u32_e32 v2, -14, v55
	v_cndmask_b32_e32 v2, v2, v55, vcc
	v_lshlrev_b32_e32 v2, 5, v2
	v_mov_b32_e32 v10, 0x80
	s_waitcnt vmcnt(27)
	buffer_store_dword v9, off, s[0:3], 0 offset:76
	buffer_store_dword v8, off, s[0:3], 0 offset:72
	;; [unrolled: 1-line block ×4, first 2 shown]
	v_lshl_add_u32 v14, v1, 9, v2
	v_add_u32_e32 v39, 16, v10
	v_add_u32_e32 v61, 32, v10
	;; [unrolled: 1-line block ×7, first 2 shown]
	ds_read_b128 v[2:5], v14
	ds_read_b128 v[6:9], v14 offset:16
	ds_read_b128 v[10:13], v14 offset:2048
	;; [unrolled: 1-line block ×3, first 2 shown]
	s_waitcnt vmcnt(30)
	buffer_store_dword v25, off, s[0:3], 0 offset:92
	buffer_store_dword v24, off, s[0:3], 0 offset:88
	buffer_store_dword v23, off, s[0:3], 0 offset:84
	buffer_store_dword v22, off, s[0:3], 0 offset:80
	s_waitcnt vmcnt(33)
	buffer_store_dword v29, off, s[0:3], 0 offset:108
	buffer_store_dword v28, off, s[0:3], 0 offset:104
	buffer_store_dword v27, off, s[0:3], 0 offset:100
	buffer_store_dword v26, off, s[0:3], 0 offset:96
	;; [unrolled: 5-line block ×3, first 2 shown]
	s_waitcnt lgkmcnt(0)
	v_mov_b32_e32 v18, s6
	v_and_b32_e32 v38, 63, v0
	v_mov_b32_e32 v27, 0
	s_waitcnt vmcnt(39)
	buffer_store_dword v37, off, s[0:3], 0 offset:140
	buffer_store_dword v36, off, s[0:3], 0 offset:136
	buffer_store_dword v35, off, s[0:3], 0 offset:132
	buffer_store_dword v34, off, s[0:3], 0 offset:128
	s_waitcnt vmcnt(42)
	buffer_store_dword v33, off, s[0:3], 0 offset:172
	buffer_store_dword v32, off, s[0:3], 0 offset:168
	buffer_store_dword v31, off, s[0:3], 0 offset:164
	buffer_store_dword v30, off, s[0:3], 0 offset:160
	;; [unrolled: 5-line block ×7, first 2 shown]
	s_waitcnt vmcnt(58)
	buffer_store_dword v75, off, s[0:3], 0 offset:252
	s_load_dword s4, s[40:41], 0x0
	v_mov_b32_e32 v29, 0
	v_mov_b32_e32 v31, 0x100
	v_bfrev_b32_e32 v33, 60
	buffer_store_dword v74, off, s[0:3], 0 offset:248
	buffer_store_dword v73, off, s[0:3], 0 offset:244
	;; [unrolled: 1-line block ×3, first 2 shown]
	s_waitcnt lgkmcnt(0)
	v_mul_f32_e32 v22, s4, v18
	v_mov_b32_e32 v24, v22
	v_mov_b32_e32 v25, v22
	s_branch .LBB635_15
.LBB635_12:                             ;   in Loop: Header=BB635_15 Depth=1
	s_or_b64 exec, exec, s[10:11]
.LBB635_13:                             ;   in Loop: Header=BB635_15 Depth=1
	s_or_b64 exec, exec, s[6:7]
.LBB635_14:                             ;   in Loop: Header=BB635_15 Depth=1
	s_or_b64 exec, exec, s[4:5]
	v_cvt_pkrtz_f16_f32 v42, v34, v32
	v_cvt_pkrtz_f16_f32 v43, v23, v36
	;; [unrolled: 1-line block ×4, first 2 shown]
	v_add_u32_e32 v26, s12, v31
	v_mfma_f32_16x16x16f16 v[18:21], v[42:43], v[14:15], v[18:21]
	s_add_i32 s12, s12, 16
	v_mov_b32_e32 v23, v22
	s_cmp_eq_u32 s12, 64
	v_add_u32_e32 v27, 32, v27
	v_mfma_f32_16x16x16f16 v[18:21], v[34:35], v[16:17], v[18:21]
	s_nop 7
	s_nop 2
	v_pk_mul_f32 v[18:19], v[24:25], v[18:19]
	v_pk_mul_f32 v[20:21], v[22:23], v[20:21]
	buffer_store_dword v19, v26, s[0:3], 0 offen offset:4
	buffer_store_dword v18, v26, s[0:3], 0 offen
	buffer_store_dword v21, v26, s[0:3], 0 offen offset:12
	buffer_store_dword v20, v26, s[0:3], 0 offen offset:8
	s_cbranch_scc1 .LBB635_205
.LBB635_15:                             ; =>This Inner Loop Header: Depth=1
	buffer_load_dword v20, v27, s[0:3], 0 offen
	buffer_load_dword v18, v27, s[0:3], 0 offen offset:4
	buffer_load_dword v28, v27, s[0:3], 0 offen offset:8
	;; [unrolled: 1-line block ×3, first 2 shown]
	v_mov_b32_e32 v19, 0
	s_waitcnt vmcnt(3)
	v_cmp_ne_u16_sdwa s[6:7], v20, v29 src0_sel:BYTE_0 src1_sel:DWORD
	s_and_saveexec_b64 s[4:5], s[6:7]
	s_cbranch_execz .LBB635_21
; %bb.16:                               ;   in Loop: Header=BB635_15 Depth=1
	v_cmp_ne_u16_sdwa s[10:11], v20, s13 src0_sel:BYTE_0 src1_sel:DWORD
	v_bfrev_b32_e32 v19, 1
	s_and_saveexec_b64 s[6:7], s[10:11]
	s_cbranch_execz .LBB635_20
; %bb.17:                               ;   in Loop: Header=BB635_15 Depth=1
	v_and_b32_e32 v21, 0x7f, v20
	v_cmp_ne_u32_e32 vcc, s14, v21
	v_mov_b32_e32 v19, 0x7f800001
	s_and_saveexec_b64 s[10:11], vcc
	s_cbranch_execz .LBB635_19
; %bb.18:                               ;   in Loop: Header=BB635_15 Depth=1
	v_and_b32_e32 v19, 7, v20
	v_ffbh_u32_e32 v30, v19
	v_min_u32_e32 v30, 32, v30
	v_subrev_u32_e32 v32, 28, v30
	v_lshlrev_b64 v[34:35], v32, v[20:21]
	v_lshrrev_b32_e32 v23, 3, v21
	v_sub_u32_e32 v30, 29, v30
	v_and_b32_e32 v32, 7, v34
	v_cmp_gt_u32_e32 vcc, 8, v21
	v_cndmask_b32_e32 v21, v23, v30, vcc
	v_cndmask_b32_e32 v19, v19, v32, vcc
	v_lshlrev_b32_e32 v23, 24, v20
	v_lshlrev_b32_e32 v19, 20, v19
	v_and_b32_e32 v23, 0x80000000, v23
	v_lshl_add_u32 v21, v21, 23, v33
	v_or3_b32 v19, v23, v21, v19
.LBB635_19:                             ;   in Loop: Header=BB635_15 Depth=1
	s_or_b64 exec, exec, s[10:11]
.LBB635_20:                             ;   in Loop: Header=BB635_15 Depth=1
	s_or_b64 exec, exec, s[6:7]
.LBB635_21:                             ;   in Loop: Header=BB635_15 Depth=1
	s_or_b64 exec, exec, s[4:5]
	v_lshrrev_b16_e32 v30, 8, v20
	v_cmp_ne_u16_e32 vcc, 0, v30
	v_mov_b32_e32 v21, 0
	v_mov_b32_e32 v23, 0
	s_and_saveexec_b64 s[4:5], vcc
	s_cbranch_execz .LBB635_27
; %bb.22:                               ;   in Loop: Header=BB635_15 Depth=1
	v_cmp_ne_u16_e32 vcc, s13, v30
	v_bfrev_b32_e32 v23, 1
	s_and_saveexec_b64 s[6:7], vcc
	s_cbranch_execz .LBB635_26
; %bb.23:                               ;   in Loop: Header=BB635_15 Depth=1
	v_and_b32_e32 v32, 0x7f, v30
	v_cmp_ne_u32_e32 vcc, s14, v32
	v_mov_b32_e32 v23, 0x7f800001
	s_and_saveexec_b64 s[10:11], vcc
	s_cbranch_execz .LBB635_25
; %bb.24:                               ;   in Loop: Header=BB635_15 Depth=1
	v_and_b32_e32 v23, 7, v30
	v_ffbh_u32_e32 v34, v23
	v_min_u32_e32 v37, 32, v34
	v_subrev_u32_e32 v34, 28, v37
	v_lshlrev_b64 v[34:35], v34, v[30:31]
	v_lshrrev_b32_e32 v36, 3, v32
	v_sub_u32_e32 v30, 29, v37
	v_and_b32_e32 v34, 7, v34
	v_cmp_gt_u32_e32 vcc, 8, v32
	v_cndmask_b32_e32 v30, v36, v30, vcc
	v_cndmask_b32_e32 v23, v23, v34, vcc
	v_lshlrev_b32_e32 v32, 16, v20
	v_lshlrev_b32_e32 v23, 20, v23
	v_and_b32_e32 v32, 0x80000000, v32
	v_lshl_add_u32 v30, v30, 23, v33
	v_or3_b32 v23, v32, v30, v23
.LBB635_25:                             ;   in Loop: Header=BB635_15 Depth=1
	s_or_b64 exec, exec, s[10:11]
.LBB635_26:                             ;   in Loop: Header=BB635_15 Depth=1
	s_or_b64 exec, exec, s[6:7]
.LBB635_27:                             ;   in Loop: Header=BB635_15 Depth=1
	s_or_b64 exec, exec, s[4:5]
	v_lshrrev_b32_e32 v30, 16, v20
	v_cmp_ne_u16_sdwa s[6:7], v30, v29 src0_sel:BYTE_0 src1_sel:DWORD
	s_and_saveexec_b64 s[4:5], s[6:7]
	s_cbranch_execz .LBB635_33
; %bb.28:                               ;   in Loop: Header=BB635_15 Depth=1
	v_cmp_ne_u16_sdwa s[10:11], v30, s13 src0_sel:BYTE_0 src1_sel:DWORD
	v_bfrev_b32_e32 v21, 1
	s_and_saveexec_b64 s[6:7], s[10:11]
	s_cbranch_execz .LBB635_32
; %bb.29:                               ;   in Loop: Header=BB635_15 Depth=1
	v_bfe_u32 v32, v20, 16, 7
	v_cmp_ne_u32_e32 vcc, s14, v32
	v_mov_b32_e32 v21, 0x7f800001
	s_and_saveexec_b64 s[10:11], vcc
	s_cbranch_execz .LBB635_31
; %bb.30:                               ;   in Loop: Header=BB635_15 Depth=1
	v_and_b32_e32 v21, 7, v30
	v_ffbh_u32_e32 v34, v21
	v_min_u32_e32 v37, 32, v34
	v_subrev_u32_e32 v34, 28, v37
	v_lshlrev_b64 v[34:35], v34, v[30:31]
	v_lshrrev_b32_e32 v36, 3, v32
	v_sub_u32_e32 v35, 29, v37
	v_and_b32_e32 v34, 7, v34
	v_cmp_gt_u32_e32 vcc, 8, v32
	v_cndmask_b32_e32 v32, v36, v35, vcc
	v_cndmask_b32_e32 v21, v21, v34, vcc
	v_lshlrev_b32_e32 v30, 24, v30
	v_lshlrev_b32_e32 v21, 20, v21
	v_and_b32_e32 v30, 0x80000000, v30
	v_lshl_add_u32 v32, v32, 23, v33
	v_or3_b32 v21, v30, v32, v21
.LBB635_31:                             ;   in Loop: Header=BB635_15 Depth=1
	s_or_b64 exec, exec, s[10:11]
.LBB635_32:                             ;   in Loop: Header=BB635_15 Depth=1
	s_or_b64 exec, exec, s[6:7]
.LBB635_33:                             ;   in Loop: Header=BB635_15 Depth=1
	s_or_b64 exec, exec, s[4:5]
	v_cmp_lt_u32_e32 vcc, s15, v20
	v_mov_b32_e32 v34, 0
	v_mov_b32_e32 v35, 0
	s_and_saveexec_b64 s[4:5], vcc
	s_cbranch_execz .LBB635_39
; %bb.34:                               ;   in Loop: Header=BB635_15 Depth=1
	v_lshrrev_b32_e32 v30, 24, v20
	v_cmp_ne_u32_e32 vcc, s13, v30
	v_bfrev_b32_e32 v35, 1
	s_and_saveexec_b64 s[6:7], vcc
	s_cbranch_execz .LBB635_38
; %bb.35:                               ;   in Loop: Header=BB635_15 Depth=1
	v_bfe_u32 v20, v20, 24, 7
	v_cmp_ne_u32_e32 vcc, s14, v20
	v_mov_b32_e32 v35, 0x7f800001
	s_and_saveexec_b64 s[10:11], vcc
	s_cbranch_execz .LBB635_37
; %bb.36:                               ;   in Loop: Header=BB635_15 Depth=1
	v_and_b32_e32 v32, 7, v30
	v_ffbh_u32_e32 v36, v32
	v_min_u32_e32 v40, 32, v36
	v_subrev_u32_e32 v36, 28, v40
	v_lshlrev_b64 v[36:37], v36, v[30:31]
	v_lshrrev_b32_e32 v35, 3, v20
	v_sub_u32_e32 v37, 29, v40
	v_and_b32_e32 v36, 7, v36
	v_cmp_gt_u32_e32 vcc, 8, v20
	v_cndmask_b32_e32 v20, v35, v37, vcc
	v_cndmask_b32_e32 v32, v32, v36, vcc
	v_lshlrev_b32_e32 v30, 24, v30
	v_lshlrev_b32_e32 v32, 20, v32
	v_and_b32_e32 v30, 0x80000000, v30
	v_lshl_add_u32 v20, v20, 23, v33
	v_or3_b32 v35, v30, v20, v32
.LBB635_37:                             ;   in Loop: Header=BB635_15 Depth=1
	s_or_b64 exec, exec, s[10:11]
.LBB635_38:                             ;   in Loop: Header=BB635_15 Depth=1
	s_or_b64 exec, exec, s[6:7]
.LBB635_39:                             ;   in Loop: Header=BB635_15 Depth=1
	s_or_b64 exec, exec, s[4:5]
	s_waitcnt vmcnt(2)
	v_cmp_ne_u16_sdwa s[6:7], v18, v29 src0_sel:BYTE_0 src1_sel:DWORD
	s_and_saveexec_b64 s[4:5], s[6:7]
	s_cbranch_execz .LBB635_45
; %bb.40:                               ;   in Loop: Header=BB635_15 Depth=1
	v_cmp_ne_u16_sdwa s[10:11], v18, s13 src0_sel:BYTE_0 src1_sel:DWORD
	v_bfrev_b32_e32 v34, 1
	s_and_saveexec_b64 s[6:7], s[10:11]
	s_cbranch_execz .LBB635_44
; %bb.41:                               ;   in Loop: Header=BB635_15 Depth=1
	v_and_b32_e32 v20, 0x7f, v18
	v_cmp_ne_u32_e32 vcc, s14, v20
	v_mov_b32_e32 v34, 0x7f800001
	s_and_saveexec_b64 s[10:11], vcc
	s_cbranch_execz .LBB635_43
; %bb.42:                               ;   in Loop: Header=BB635_15 Depth=1
	v_and_b32_e32 v30, 7, v18
	v_ffbh_u32_e32 v34, v30
	v_min_u32_e32 v34, 32, v34
	v_subrev_u32_e32 v36, 28, v34
	v_lshlrev_b64 v[36:37], v36, v[18:19]
	v_lshrrev_b32_e32 v32, 3, v20
	v_sub_u32_e32 v34, 29, v34
	v_and_b32_e32 v36, 7, v36
	v_cmp_gt_u32_e32 vcc, 8, v20
	v_cndmask_b32_e32 v20, v32, v34, vcc
	v_cndmask_b32_e32 v30, v30, v36, vcc
	v_lshlrev_b32_e32 v32, 24, v18
	v_lshlrev_b32_e32 v30, 20, v30
	v_and_b32_e32 v32, 0x80000000, v32
	v_lshl_add_u32 v20, v20, 23, v33
	v_or3_b32 v34, v32, v20, v30
.LBB635_43:                             ;   in Loop: Header=BB635_15 Depth=1
	s_or_b64 exec, exec, s[10:11]
.LBB635_44:                             ;   in Loop: Header=BB635_15 Depth=1
	s_or_b64 exec, exec, s[6:7]
.LBB635_45:                             ;   in Loop: Header=BB635_15 Depth=1
	s_or_b64 exec, exec, s[4:5]
	v_lshrrev_b16_e32 v20, 8, v18
	v_cmp_ne_u16_e32 vcc, 0, v20
	v_mov_b32_e32 v30, 0
	v_mov_b32_e32 v36, 0
	s_and_saveexec_b64 s[4:5], vcc
	s_cbranch_execz .LBB635_51
; %bb.46:                               ;   in Loop: Header=BB635_15 Depth=1
	v_cmp_ne_u16_e32 vcc, s13, v20
	v_bfrev_b32_e32 v36, 1
	s_and_saveexec_b64 s[6:7], vcc
	s_cbranch_execz .LBB635_50
; %bb.47:                               ;   in Loop: Header=BB635_15 Depth=1
	v_and_b32_e32 v32, 0x7f, v20
	v_cmp_ne_u32_e32 vcc, s14, v32
	v_mov_b32_e32 v36, 0x7f800001
	s_and_saveexec_b64 s[10:11], vcc
	s_cbranch_execz .LBB635_49
; %bb.48:                               ;   in Loop: Header=BB635_15 Depth=1
	v_and_b32_e32 v40, 7, v20
	v_ffbh_u32_e32 v36, v40
	v_min_u32_e32 v43, 32, v36
	v_subrev_u32_e32 v36, 28, v43
	v_lshlrev_b64 v[36:37], v36, v[20:21]
	v_lshrrev_b32_e32 v42, 3, v32
	v_sub_u32_e32 v20, 29, v43
	v_and_b32_e32 v36, 7, v36
	v_cmp_gt_u32_e32 vcc, 8, v32
	v_cndmask_b32_e32 v20, v42, v20, vcc
	v_cndmask_b32_e32 v32, v40, v36, vcc
	v_lshlrev_b32_e32 v36, 16, v18
	v_lshlrev_b32_e32 v32, 20, v32
	v_and_b32_e32 v36, 0x80000000, v36
	v_lshl_add_u32 v20, v20, 23, v33
	v_or3_b32 v36, v36, v20, v32
.LBB635_49:                             ;   in Loop: Header=BB635_15 Depth=1
	s_or_b64 exec, exec, s[10:11]
.LBB635_50:                             ;   in Loop: Header=BB635_15 Depth=1
	s_or_b64 exec, exec, s[6:7]
.LBB635_51:                             ;   in Loop: Header=BB635_15 Depth=1
	s_or_b64 exec, exec, s[4:5]
	v_lshrrev_b32_e32 v20, 16, v18
	v_cmp_ne_u16_sdwa s[6:7], v20, v29 src0_sel:BYTE_0 src1_sel:DWORD
	s_and_saveexec_b64 s[4:5], s[6:7]
	s_cbranch_execz .LBB635_57
; %bb.52:                               ;   in Loop: Header=BB635_15 Depth=1
	v_cmp_ne_u16_sdwa s[10:11], v20, s13 src0_sel:BYTE_0 src1_sel:DWORD
	v_bfrev_b32_e32 v30, 1
	s_and_saveexec_b64 s[6:7], s[10:11]
	s_cbranch_execz .LBB635_56
; %bb.53:                               ;   in Loop: Header=BB635_15 Depth=1
	v_bfe_u32 v32, v18, 16, 7
	v_cmp_ne_u32_e32 vcc, s14, v32
	v_mov_b32_e32 v30, 0x7f800001
	s_and_saveexec_b64 s[10:11], vcc
	s_cbranch_execz .LBB635_55
; %bb.54:                               ;   in Loop: Header=BB635_15 Depth=1
	v_and_b32_e32 v30, 7, v20
	v_ffbh_u32_e32 v40, v30
	v_min_u32_e32 v40, 32, v40
	v_subrev_u32_e32 v42, 28, v40
	v_lshlrev_b64 v[42:43], v42, v[20:21]
	v_lshrrev_b32_e32 v37, 3, v32
	v_sub_u32_e32 v40, 29, v40
	v_and_b32_e32 v42, 7, v42
	v_cmp_gt_u32_e32 vcc, 8, v32
	v_cndmask_b32_e32 v32, v37, v40, vcc
	v_cndmask_b32_e32 v30, v30, v42, vcc
	v_lshlrev_b32_e32 v20, 24, v20
	v_lshlrev_b32_e32 v30, 20, v30
	v_and_b32_e32 v20, 0x80000000, v20
	v_lshl_add_u32 v32, v32, 23, v33
	v_or3_b32 v30, v20, v32, v30
.LBB635_55:                             ;   in Loop: Header=BB635_15 Depth=1
	s_or_b64 exec, exec, s[10:11]
.LBB635_56:                             ;   in Loop: Header=BB635_15 Depth=1
	s_or_b64 exec, exec, s[6:7]
.LBB635_57:                             ;   in Loop: Header=BB635_15 Depth=1
	s_or_b64 exec, exec, s[4:5]
	v_cmp_lt_u32_e32 vcc, s15, v18
	v_mov_b32_e32 v32, 0
	v_mov_b32_e32 v37, 0
	s_and_saveexec_b64 s[4:5], vcc
	s_cbranch_execz .LBB635_63
; %bb.58:                               ;   in Loop: Header=BB635_15 Depth=1
	v_lshrrev_b32_e32 v20, 24, v18
	v_cmp_ne_u32_e32 vcc, s13, v20
	v_bfrev_b32_e32 v37, 1
	s_and_saveexec_b64 s[6:7], vcc
	s_cbranch_execz .LBB635_62
; %bb.59:                               ;   in Loop: Header=BB635_15 Depth=1
	v_bfe_u32 v18, v18, 24, 7
	v_cmp_ne_u32_e32 vcc, s14, v18
	v_mov_b32_e32 v37, 0x7f800001
	s_and_saveexec_b64 s[10:11], vcc
	s_cbranch_execz .LBB635_61
; %bb.60:                               ;   in Loop: Header=BB635_15 Depth=1
	v_and_b32_e32 v37, 7, v20
	v_ffbh_u32_e32 v42, v37
	v_min_u32_e32 v44, 32, v42
	v_subrev_u32_e32 v42, 28, v44
	v_lshlrev_b64 v[42:43], v42, v[20:21]
	v_lshrrev_b32_e32 v40, 3, v18
	v_sub_u32_e32 v43, 29, v44
	v_and_b32_e32 v42, 7, v42
	v_cmp_gt_u32_e32 vcc, 8, v18
	v_cndmask_b32_e32 v18, v40, v43, vcc
	v_cndmask_b32_e32 v37, v37, v42, vcc
	v_lshlrev_b32_e32 v20, 24, v20
	v_lshlrev_b32_e32 v37, 20, v37
	v_and_b32_e32 v20, 0x80000000, v20
	v_lshl_add_u32 v18, v18, 23, v33
	v_or3_b32 v37, v20, v18, v37
.LBB635_61:                             ;   in Loop: Header=BB635_15 Depth=1
	s_or_b64 exec, exec, s[10:11]
.LBB635_62:                             ;   in Loop: Header=BB635_15 Depth=1
	s_or_b64 exec, exec, s[6:7]
.LBB635_63:                             ;   in Loop: Header=BB635_15 Depth=1
	s_or_b64 exec, exec, s[4:5]
	v_cvt_pkrtz_f16_f32 v18, v19, v23
	v_cvt_pkrtz_f16_f32 v19, v21, v35
	;; [unrolled: 1-line block ×4, first 2 shown]
	s_waitcnt vmcnt(1)
	v_cmp_ne_u16_sdwa s[6:7], v28, v29 src0_sel:BYTE_0 src1_sel:DWORD
	v_mfma_f32_16x16x16f16 v[18:21], v[18:19], v[2:3], 0
	v_mfma_f32_16x16x16f16 v[18:21], v[34:35], v[4:5], v[18:21]
	s_and_saveexec_b64 s[4:5], s[6:7]
	s_cbranch_execz .LBB635_69
; %bb.64:                               ;   in Loop: Header=BB635_15 Depth=1
	v_cmp_ne_u16_sdwa s[10:11], v28, s13 src0_sel:BYTE_0 src1_sel:DWORD
	v_bfrev_b32_e32 v32, 1
	s_and_saveexec_b64 s[6:7], s[10:11]
	s_cbranch_execz .LBB635_68
; %bb.65:                               ;   in Loop: Header=BB635_15 Depth=1
	v_and_b32_e32 v23, 0x7f, v28
	v_cmp_ne_u32_e32 vcc, s14, v23
	v_mov_b32_e32 v32, 0x7f800001
	s_and_saveexec_b64 s[10:11], vcc
	s_cbranch_execz .LBB635_67
; %bb.66:                               ;   in Loop: Header=BB635_15 Depth=1
	v_and_b32_e32 v30, 7, v28
	v_ffbh_u32_e32 v34, v30
	v_min_u32_e32 v36, 32, v34
	v_subrev_u32_e32 v34, 28, v36
	v_lshlrev_b64 v[34:35], v34, v[28:29]
	v_lshrrev_b32_e32 v32, 3, v23
	v_sub_u32_e32 v35, 29, v36
	v_and_b32_e32 v34, 7, v34
	v_cmp_gt_u32_e32 vcc, 8, v23
	v_cndmask_b32_e32 v23, v32, v35, vcc
	v_cndmask_b32_e32 v30, v30, v34, vcc
	v_lshlrev_b32_e32 v32, 24, v28
	v_lshlrev_b32_e32 v30, 20, v30
	v_and_b32_e32 v32, 0x80000000, v32
	v_lshl_add_u32 v23, v23, 23, v33
	v_or3_b32 v32, v32, v23, v30
.LBB635_67:                             ;   in Loop: Header=BB635_15 Depth=1
	s_or_b64 exec, exec, s[10:11]
.LBB635_68:                             ;   in Loop: Header=BB635_15 Depth=1
	s_or_b64 exec, exec, s[6:7]
.LBB635_69:                             ;   in Loop: Header=BB635_15 Depth=1
	s_or_b64 exec, exec, s[4:5]
	v_lshrrev_b16_e32 v30, 8, v28
	v_cmp_ne_u16_e32 vcc, 0, v30
	v_mov_b32_e32 v34, 0
	v_mov_b32_e32 v35, 0
	s_and_saveexec_b64 s[4:5], vcc
	s_cbranch_execz .LBB635_75
; %bb.70:                               ;   in Loop: Header=BB635_15 Depth=1
	v_cmp_ne_u16_e32 vcc, s13, v30
	v_bfrev_b32_e32 v35, 1
	s_and_saveexec_b64 s[6:7], vcc
	s_cbranch_execz .LBB635_74
; %bb.71:                               ;   in Loop: Header=BB635_15 Depth=1
	v_and_b32_e32 v23, 0x7f, v30
	v_cmp_ne_u32_e32 vcc, s14, v23
	v_mov_b32_e32 v35, 0x7f800001
	s_and_saveexec_b64 s[10:11], vcc
	s_cbranch_execz .LBB635_73
; %bb.72:                               ;   in Loop: Header=BB635_15 Depth=1
	v_and_b32_e32 v35, 7, v30
	v_ffbh_u32_e32 v36, v35
	v_min_u32_e32 v42, 32, v36
	v_subrev_u32_e32 v36, 28, v42
	v_lshlrev_b64 v[36:37], v36, v[30:31]
	v_lshrrev_b32_e32 v40, 3, v23
	v_sub_u32_e32 v30, 29, v42
	v_and_b32_e32 v36, 7, v36
	v_cmp_gt_u32_e32 vcc, 8, v23
	v_cndmask_b32_e32 v23, v40, v30, vcc
	v_cndmask_b32_e32 v30, v35, v36, vcc
	v_lshlrev_b32_e32 v35, 16, v28
	v_lshlrev_b32_e32 v30, 20, v30
	v_and_b32_e32 v35, 0x80000000, v35
	v_lshl_add_u32 v23, v23, 23, v33
	v_or3_b32 v35, v35, v23, v30
.LBB635_73:                             ;   in Loop: Header=BB635_15 Depth=1
	s_or_b64 exec, exec, s[10:11]
.LBB635_74:                             ;   in Loop: Header=BB635_15 Depth=1
	s_or_b64 exec, exec, s[6:7]
.LBB635_75:                             ;   in Loop: Header=BB635_15 Depth=1
	s_or_b64 exec, exec, s[4:5]
	v_lshrrev_b32_e32 v30, 16, v28
	v_cmp_ne_u16_sdwa s[6:7], v30, v29 src0_sel:BYTE_0 src1_sel:DWORD
	s_and_saveexec_b64 s[4:5], s[6:7]
	s_cbranch_execz .LBB635_81
; %bb.76:                               ;   in Loop: Header=BB635_15 Depth=1
	v_cmp_ne_u16_sdwa s[10:11], v30, s13 src0_sel:BYTE_0 src1_sel:DWORD
	v_bfrev_b32_e32 v34, 1
	s_and_saveexec_b64 s[6:7], s[10:11]
	s_cbranch_execz .LBB635_80
; %bb.77:                               ;   in Loop: Header=BB635_15 Depth=1
	v_bfe_u32 v23, v28, 16, 7
	v_cmp_ne_u32_e32 vcc, s14, v23
	v_mov_b32_e32 v34, 0x7f800001
	s_and_saveexec_b64 s[10:11], vcc
	s_cbranch_execz .LBB635_79
; %bb.78:                               ;   in Loop: Header=BB635_15 Depth=1
	v_and_b32_e32 v34, 7, v30
	v_ffbh_u32_e32 v36, v34
	v_min_u32_e32 v42, 32, v36
	v_subrev_u32_e32 v36, 28, v42
	v_lshlrev_b64 v[36:37], v36, v[30:31]
	v_lshrrev_b32_e32 v40, 3, v23
	v_sub_u32_e32 v37, 29, v42
	v_and_b32_e32 v36, 7, v36
	v_cmp_gt_u32_e32 vcc, 8, v23
	v_cndmask_b32_e32 v23, v40, v37, vcc
	v_cndmask_b32_e32 v34, v34, v36, vcc
	v_lshlrev_b32_e32 v30, 24, v30
	v_lshlrev_b32_e32 v34, 20, v34
	v_and_b32_e32 v30, 0x80000000, v30
	v_lshl_add_u32 v23, v23, 23, v33
	v_or3_b32 v34, v30, v23, v34
.LBB635_79:                             ;   in Loop: Header=BB635_15 Depth=1
	s_or_b64 exec, exec, s[10:11]
.LBB635_80:                             ;   in Loop: Header=BB635_15 Depth=1
	s_or_b64 exec, exec, s[6:7]
.LBB635_81:                             ;   in Loop: Header=BB635_15 Depth=1
	s_or_b64 exec, exec, s[4:5]
	v_cmp_lt_u32_e32 vcc, s15, v28
	v_mov_b32_e32 v36, 0
	v_mov_b32_e32 v37, 0
	s_and_saveexec_b64 s[4:5], vcc
	s_cbranch_execz .LBB635_87
; %bb.82:                               ;   in Loop: Header=BB635_15 Depth=1
	v_lshrrev_b32_e32 v30, 24, v28
	v_cmp_ne_u32_e32 vcc, s13, v30
	v_bfrev_b32_e32 v37, 1
	s_and_saveexec_b64 s[6:7], vcc
	s_cbranch_execz .LBB635_86
; %bb.83:                               ;   in Loop: Header=BB635_15 Depth=1
	v_bfe_u32 v23, v28, 24, 7
	v_cmp_ne_u32_e32 vcc, s14, v23
	v_mov_b32_e32 v37, 0x7f800001
	s_and_saveexec_b64 s[10:11], vcc
	s_cbranch_execz .LBB635_85
; %bb.84:                               ;   in Loop: Header=BB635_15 Depth=1
	v_and_b32_e32 v28, 7, v30
	v_ffbh_u32_e32 v40, v28
	v_min_u32_e32 v40, 32, v40
	v_subrev_u32_e32 v42, 28, v40
	v_lshlrev_b64 v[42:43], v42, v[30:31]
	v_lshrrev_b32_e32 v37, 3, v23
	v_sub_u32_e32 v40, 29, v40
	v_and_b32_e32 v42, 7, v42
	v_cmp_gt_u32_e32 vcc, 8, v23
	v_cndmask_b32_e32 v23, v37, v40, vcc
	v_cndmask_b32_e32 v28, v28, v42, vcc
	v_lshlrev_b32_e32 v30, 24, v30
	v_lshlrev_b32_e32 v28, 20, v28
	v_and_b32_e32 v30, 0x80000000, v30
	v_lshl_add_u32 v23, v23, 23, v33
	v_or3_b32 v37, v30, v23, v28
.LBB635_85:                             ;   in Loop: Header=BB635_15 Depth=1
	s_or_b64 exec, exec, s[10:11]
.LBB635_86:                             ;   in Loop: Header=BB635_15 Depth=1
	s_or_b64 exec, exec, s[6:7]
.LBB635_87:                             ;   in Loop: Header=BB635_15 Depth=1
	s_or_b64 exec, exec, s[4:5]
	s_waitcnt vmcnt(0)
	v_cmp_ne_u16_sdwa s[6:7], v26, v29 src0_sel:BYTE_0 src1_sel:DWORD
	s_and_saveexec_b64 s[4:5], s[6:7]
	s_cbranch_execz .LBB635_93
; %bb.88:                               ;   in Loop: Header=BB635_15 Depth=1
	v_cmp_ne_u16_sdwa s[10:11], v26, s13 src0_sel:BYTE_0 src1_sel:DWORD
	v_bfrev_b32_e32 v36, 1
	s_and_saveexec_b64 s[6:7], s[10:11]
	s_cbranch_execz .LBB635_92
; %bb.89:                               ;   in Loop: Header=BB635_15 Depth=1
	v_and_b32_e32 v23, 0x7f, v26
	v_cmp_ne_u32_e32 vcc, s14, v23
	v_mov_b32_e32 v36, 0x7f800001
	s_and_saveexec_b64 s[10:11], vcc
	s_cbranch_execz .LBB635_91
; %bb.90:                               ;   in Loop: Header=BB635_15 Depth=1
	v_and_b32_e32 v28, 7, v26
	v_ffbh_u32_e32 v36, v28
	v_min_u32_e32 v36, 32, v36
	v_subrev_u32_e32 v40, 28, v36
	v_lshlrev_b64 v[42:43], v40, v[26:27]
	v_lshrrev_b32_e32 v30, 3, v23
	v_sub_u32_e32 v36, 29, v36
	v_and_b32_e32 v40, 7, v42
	v_cmp_gt_u32_e32 vcc, 8, v23
	v_cndmask_b32_e32 v23, v30, v36, vcc
	v_cndmask_b32_e32 v28, v28, v40, vcc
	v_lshlrev_b32_e32 v30, 24, v26
	v_lshlrev_b32_e32 v28, 20, v28
	v_and_b32_e32 v30, 0x80000000, v30
	v_lshl_add_u32 v23, v23, 23, v33
	v_or3_b32 v36, v30, v23, v28
.LBB635_91:                             ;   in Loop: Header=BB635_15 Depth=1
	s_or_b64 exec, exec, s[10:11]
.LBB635_92:                             ;   in Loop: Header=BB635_15 Depth=1
	s_or_b64 exec, exec, s[6:7]
.LBB635_93:                             ;   in Loop: Header=BB635_15 Depth=1
	s_or_b64 exec, exec, s[4:5]
	v_lshrrev_b16_e32 v28, 8, v26
	v_cmp_ne_u16_e32 vcc, 0, v28
	v_mov_b32_e32 v40, 0
	v_mov_b32_e32 v42, 0
	s_and_saveexec_b64 s[4:5], vcc
	s_cbranch_execz .LBB635_99
; %bb.94:                               ;   in Loop: Header=BB635_15 Depth=1
	v_cmp_ne_u16_e32 vcc, s13, v28
	v_bfrev_b32_e32 v42, 1
	s_and_saveexec_b64 s[6:7], vcc
	s_cbranch_execz .LBB635_98
; %bb.95:                               ;   in Loop: Header=BB635_15 Depth=1
	v_and_b32_e32 v23, 0x7f, v28
	v_cmp_ne_u32_e32 vcc, s14, v23
	v_mov_b32_e32 v42, 0x7f800001
	s_and_saveexec_b64 s[10:11], vcc
	s_cbranch_execz .LBB635_97
; %bb.96:                               ;   in Loop: Header=BB635_15 Depth=1
	v_and_b32_e32 v30, 7, v28
	v_ffbh_u32_e32 v42, v30
	v_min_u32_e32 v45, 32, v42
	v_subrev_u32_e32 v42, 28, v45
	v_lshlrev_b64 v[42:43], v42, v[28:29]
	v_lshrrev_b32_e32 v44, 3, v23
	v_sub_u32_e32 v28, 29, v45
	v_and_b32_e32 v42, 7, v42
	v_cmp_gt_u32_e32 vcc, 8, v23
	v_cndmask_b32_e32 v23, v44, v28, vcc
	v_cndmask_b32_e32 v28, v30, v42, vcc
	v_lshlrev_b32_e32 v30, 16, v26
	v_lshlrev_b32_e32 v28, 20, v28
	v_and_b32_e32 v30, 0x80000000, v30
	v_lshl_add_u32 v23, v23, 23, v33
	v_or3_b32 v42, v30, v23, v28
.LBB635_97:                             ;   in Loop: Header=BB635_15 Depth=1
	s_or_b64 exec, exec, s[10:11]
.LBB635_98:                             ;   in Loop: Header=BB635_15 Depth=1
	s_or_b64 exec, exec, s[6:7]
.LBB635_99:                             ;   in Loop: Header=BB635_15 Depth=1
	s_or_b64 exec, exec, s[4:5]
	v_lshrrev_b32_e32 v28, 16, v26
	v_cmp_ne_u16_sdwa s[6:7], v28, v29 src0_sel:BYTE_0 src1_sel:DWORD
	s_and_saveexec_b64 s[4:5], s[6:7]
	s_cbranch_execz .LBB635_105
; %bb.100:                              ;   in Loop: Header=BB635_15 Depth=1
	v_cmp_ne_u16_sdwa s[10:11], v28, s13 src0_sel:BYTE_0 src1_sel:DWORD
	v_bfrev_b32_e32 v40, 1
	s_and_saveexec_b64 s[6:7], s[10:11]
	s_cbranch_execz .LBB635_104
; %bb.101:                              ;   in Loop: Header=BB635_15 Depth=1
	v_bfe_u32 v23, v26, 16, 7
	v_cmp_ne_u32_e32 vcc, s14, v23
	v_mov_b32_e32 v40, 0x7f800001
	s_and_saveexec_b64 s[10:11], vcc
	s_cbranch_execz .LBB635_103
; %bb.102:                              ;   in Loop: Header=BB635_15 Depth=1
	v_and_b32_e32 v30, 7, v28
	v_ffbh_u32_e32 v43, v30
	v_min_u32_e32 v43, 32, v43
	v_subrev_u32_e32 v44, 28, v43
	v_lshlrev_b64 v[44:45], v44, v[28:29]
	v_lshrrev_b32_e32 v40, 3, v23
	v_sub_u32_e32 v43, 29, v43
	v_and_b32_e32 v44, 7, v44
	v_cmp_gt_u32_e32 vcc, 8, v23
	v_cndmask_b32_e32 v23, v40, v43, vcc
	v_cndmask_b32_e32 v30, v30, v44, vcc
	v_lshlrev_b32_e32 v28, 24, v28
	v_lshlrev_b32_e32 v30, 20, v30
	v_and_b32_e32 v28, 0x80000000, v28
	v_lshl_add_u32 v23, v23, 23, v33
	v_or3_b32 v40, v28, v23, v30
.LBB635_103:                            ;   in Loop: Header=BB635_15 Depth=1
	s_or_b64 exec, exec, s[10:11]
.LBB635_104:                            ;   in Loop: Header=BB635_15 Depth=1
	s_or_b64 exec, exec, s[6:7]
.LBB635_105:                            ;   in Loop: Header=BB635_15 Depth=1
	s_or_b64 exec, exec, s[4:5]
	v_cmp_lt_u32_e32 vcc, s15, v26
	v_mov_b32_e32 v23, 0
	v_mov_b32_e32 v43, 0
	s_and_saveexec_b64 s[4:5], vcc
	s_cbranch_execz .LBB635_111
; %bb.106:                              ;   in Loop: Header=BB635_15 Depth=1
	v_lshrrev_b32_e32 v28, 24, v26
	v_cmp_ne_u32_e32 vcc, s13, v28
	v_bfrev_b32_e32 v43, 1
	s_and_saveexec_b64 s[6:7], vcc
	s_cbranch_execz .LBB635_110
; %bb.107:                              ;   in Loop: Header=BB635_15 Depth=1
	v_bfe_u32 v26, v26, 24, 7
	v_cmp_ne_u32_e32 vcc, s14, v26
	v_mov_b32_e32 v43, 0x7f800001
	s_and_saveexec_b64 s[10:11], vcc
	s_cbranch_execz .LBB635_109
; %bb.108:                              ;   in Loop: Header=BB635_15 Depth=1
	v_and_b32_e32 v30, 7, v28
	v_ffbh_u32_e32 v44, v30
	v_min_u32_e32 v46, 32, v44
	v_subrev_u32_e32 v44, 28, v46
	v_lshlrev_b64 v[44:45], v44, v[28:29]
	v_lshrrev_b32_e32 v43, 3, v26
	v_sub_u32_e32 v45, 29, v46
	v_and_b32_e32 v44, 7, v44
	v_cmp_gt_u32_e32 vcc, 8, v26
	v_cndmask_b32_e32 v26, v43, v45, vcc
	v_cndmask_b32_e32 v30, v30, v44, vcc
	v_lshlrev_b32_e32 v28, 24, v28
	v_lshlrev_b32_e32 v30, 20, v30
	v_and_b32_e32 v28, 0x80000000, v28
	v_lshl_add_u32 v26, v26, 23, v33
	v_or3_b32 v43, v28, v26, v30
.LBB635_109:                            ;   in Loop: Header=BB635_15 Depth=1
	s_or_b64 exec, exec, s[10:11]
.LBB635_110:                            ;   in Loop: Header=BB635_15 Depth=1
	s_or_b64 exec, exec, s[6:7]
.LBB635_111:                            ;   in Loop: Header=BB635_15 Depth=1
	s_or_b64 exec, exec, s[4:5]
	v_cvt_pkrtz_f16_f32 v44, v32, v35
	buffer_load_dword v32, v27, s[0:3], 0 offen offset:16
	buffer_load_dword v30, v27, s[0:3], 0 offen offset:20
	buffer_load_dword v28, v27, s[0:3], 0 offen offset:24
	buffer_load_dword v26, v27, s[0:3], 0 offen offset:28
	v_cvt_pkrtz_f16_f32 v45, v34, v37
	v_cvt_pkrtz_f16_f32 v34, v36, v42
	;; [unrolled: 1-line block ×3, first 2 shown]
	v_mfma_f32_16x16x16f16 v[18:21], v[44:45], v[6:7], v[18:21]
	s_waitcnt vmcnt(3)
	v_cmp_ne_u16_sdwa s[6:7], v32, v29 src0_sel:BYTE_0 src1_sel:DWORD
	v_mfma_f32_16x16x16f16 v[18:21], v[34:35], v[8:9], v[18:21]
	s_and_saveexec_b64 s[4:5], s[6:7]
	s_cbranch_execz .LBB635_117
; %bb.112:                              ;   in Loop: Header=BB635_15 Depth=1
	v_cmp_ne_u16_sdwa s[10:11], v32, s13 src0_sel:BYTE_0 src1_sel:DWORD
	v_bfrev_b32_e32 v23, 1
	s_and_saveexec_b64 s[6:7], s[10:11]
	s_cbranch_execz .LBB635_116
; %bb.113:                              ;   in Loop: Header=BB635_15 Depth=1
	v_and_b32_e32 v34, 0x7f, v32
	v_cmp_ne_u32_e32 vcc, s14, v34
	v_mov_b32_e32 v23, 0x7f800001
	s_and_saveexec_b64 s[10:11], vcc
	s_cbranch_execz .LBB635_115
; %bb.114:                              ;   in Loop: Header=BB635_15 Depth=1
	v_and_b32_e32 v23, 7, v32
	v_ffbh_u32_e32 v36, v23
	v_min_u32_e32 v40, 32, v36
	v_subrev_u32_e32 v36, 28, v40
	v_lshlrev_b64 v[36:37], v36, v[32:33]
	v_lshrrev_b32_e32 v35, 3, v34
	v_sub_u32_e32 v37, 29, v40
	v_and_b32_e32 v36, 7, v36
	v_cmp_gt_u32_e32 vcc, 8, v34
	v_cndmask_b32_e32 v34, v35, v37, vcc
	v_cndmask_b32_e32 v23, v23, v36, vcc
	v_lshlrev_b32_e32 v35, 24, v32
	v_lshlrev_b32_e32 v23, 20, v23
	v_and_b32_e32 v35, 0x80000000, v35
	v_lshl_add_u32 v34, v34, 23, v33
	v_or3_b32 v23, v35, v34, v23
.LBB635_115:                            ;   in Loop: Header=BB635_15 Depth=1
	s_or_b64 exec, exec, s[10:11]
.LBB635_116:                            ;   in Loop: Header=BB635_15 Depth=1
	s_or_b64 exec, exec, s[6:7]
.LBB635_117:                            ;   in Loop: Header=BB635_15 Depth=1
	s_or_b64 exec, exec, s[4:5]
	v_lshrrev_b16_e32 v34, 8, v32
	v_cmp_ne_u16_e32 vcc, 0, v34
	v_mov_b32_e32 v35, 0
	v_mov_b32_e32 v36, 0
	s_and_saveexec_b64 s[4:5], vcc
	s_cbranch_execz .LBB635_123
; %bb.118:                              ;   in Loop: Header=BB635_15 Depth=1
	v_cmp_ne_u16_e32 vcc, s13, v34
	v_bfrev_b32_e32 v36, 1
	s_and_saveexec_b64 s[6:7], vcc
	s_cbranch_execz .LBB635_122
; %bb.119:                              ;   in Loop: Header=BB635_15 Depth=1
	v_and_b32_e32 v37, 0x7f, v34
	v_cmp_ne_u32_e32 vcc, s14, v37
	v_mov_b32_e32 v36, 0x7f800001
	s_and_saveexec_b64 s[10:11], vcc
	s_cbranch_execz .LBB635_121
; %bb.120:                              ;   in Loop: Header=BB635_15 Depth=1
	v_and_b32_e32 v36, 7, v34
	v_ffbh_u32_e32 v42, v36
	v_min_u32_e32 v44, 32, v42
	v_subrev_u32_e32 v42, 28, v44
	v_lshlrev_b64 v[42:43], v42, v[34:35]
	v_lshrrev_b32_e32 v40, 3, v37
	v_sub_u32_e32 v34, 29, v44
	v_and_b32_e32 v42, 7, v42
	v_cmp_gt_u32_e32 vcc, 8, v37
	v_cndmask_b32_e32 v34, v40, v34, vcc
	v_cndmask_b32_e32 v36, v36, v42, vcc
	v_lshlrev_b32_e32 v37, 16, v32
	v_lshlrev_b32_e32 v36, 20, v36
	v_and_b32_e32 v37, 0x80000000, v37
	v_lshl_add_u32 v34, v34, 23, v33
	v_or3_b32 v36, v37, v34, v36
.LBB635_121:                            ;   in Loop: Header=BB635_15 Depth=1
	s_or_b64 exec, exec, s[10:11]
.LBB635_122:                            ;   in Loop: Header=BB635_15 Depth=1
	s_or_b64 exec, exec, s[6:7]
.LBB635_123:                            ;   in Loop: Header=BB635_15 Depth=1
	s_or_b64 exec, exec, s[4:5]
	v_lshrrev_b32_e32 v34, 16, v32
	v_cmp_ne_u16_sdwa s[6:7], v34, v29 src0_sel:BYTE_0 src1_sel:DWORD
	s_and_saveexec_b64 s[4:5], s[6:7]
	s_cbranch_execz .LBB635_129
; %bb.124:                              ;   in Loop: Header=BB635_15 Depth=1
	v_cmp_ne_u16_sdwa s[10:11], v34, s13 src0_sel:BYTE_0 src1_sel:DWORD
	v_bfrev_b32_e32 v35, 1
	s_and_saveexec_b64 s[6:7], s[10:11]
	s_cbranch_execz .LBB635_128
; %bb.125:                              ;   in Loop: Header=BB635_15 Depth=1
	v_bfe_u32 v37, v32, 16, 7
	v_cmp_ne_u32_e32 vcc, s14, v37
	v_mov_b32_e32 v35, 0x7f800001
	s_and_saveexec_b64 s[10:11], vcc
	s_cbranch_execz .LBB635_127
; %bb.126:                              ;   in Loop: Header=BB635_15 Depth=1
	v_and_b32_e32 v35, 7, v34
	v_ffbh_u32_e32 v42, v35
	v_min_u32_e32 v44, 32, v42
	v_subrev_u32_e32 v42, 28, v44
	v_lshlrev_b64 v[42:43], v42, v[34:35]
	v_lshrrev_b32_e32 v40, 3, v37
	v_sub_u32_e32 v43, 29, v44
	v_and_b32_e32 v42, 7, v42
	v_cmp_gt_u32_e32 vcc, 8, v37
	v_cndmask_b32_e32 v37, v40, v43, vcc
	v_cndmask_b32_e32 v35, v35, v42, vcc
	v_lshlrev_b32_e32 v34, 24, v34
	v_lshlrev_b32_e32 v35, 20, v35
	v_and_b32_e32 v34, 0x80000000, v34
	v_lshl_add_u32 v37, v37, 23, v33
	v_or3_b32 v35, v34, v37, v35
.LBB635_127:                            ;   in Loop: Header=BB635_15 Depth=1
	s_or_b64 exec, exec, s[10:11]
.LBB635_128:                            ;   in Loop: Header=BB635_15 Depth=1
	s_or_b64 exec, exec, s[6:7]
.LBB635_129:                            ;   in Loop: Header=BB635_15 Depth=1
	s_or_b64 exec, exec, s[4:5]
	v_cmp_lt_u32_e32 vcc, s15, v32
	v_mov_b32_e32 v37, 0
	v_mov_b32_e32 v40, 0
	s_and_saveexec_b64 s[4:5], vcc
	s_cbranch_execz .LBB635_135
; %bb.130:                              ;   in Loop: Header=BB635_15 Depth=1
	v_lshrrev_b32_e32 v34, 24, v32
	v_cmp_ne_u32_e32 vcc, s13, v34
	v_bfrev_b32_e32 v40, 1
	s_and_saveexec_b64 s[6:7], vcc
	s_cbranch_execz .LBB635_134
; %bb.131:                              ;   in Loop: Header=BB635_15 Depth=1
	v_bfe_u32 v32, v32, 24, 7
	v_cmp_ne_u32_e32 vcc, s14, v32
	v_mov_b32_e32 v40, 0x7f800001
	s_and_saveexec_b64 s[10:11], vcc
	s_cbranch_execz .LBB635_133
; %bb.132:                              ;   in Loop: Header=BB635_15 Depth=1
	v_and_b32_e32 v40, 7, v34
	v_ffbh_u32_e32 v42, v40
	v_min_u32_e32 v45, 32, v42
	v_subrev_u32_e32 v42, 28, v45
	v_lshlrev_b64 v[42:43], v42, v[34:35]
	v_lshrrev_b32_e32 v44, 3, v32
	v_sub_u32_e32 v43, 29, v45
	v_and_b32_e32 v42, 7, v42
	v_cmp_gt_u32_e32 vcc, 8, v32
	v_cndmask_b32_e32 v32, v44, v43, vcc
	v_cndmask_b32_e32 v40, v40, v42, vcc
	v_lshlrev_b32_e32 v34, 24, v34
	v_lshlrev_b32_e32 v40, 20, v40
	v_and_b32_e32 v34, 0x80000000, v34
	v_lshl_add_u32 v32, v32, 23, v33
	v_or3_b32 v40, v34, v32, v40
.LBB635_133:                            ;   in Loop: Header=BB635_15 Depth=1
	s_or_b64 exec, exec, s[10:11]
.LBB635_134:                            ;   in Loop: Header=BB635_15 Depth=1
	s_or_b64 exec, exec, s[6:7]
.LBB635_135:                            ;   in Loop: Header=BB635_15 Depth=1
	s_or_b64 exec, exec, s[4:5]
	s_waitcnt vmcnt(2)
	v_cmp_ne_u16_sdwa s[6:7], v30, v29 src0_sel:BYTE_0 src1_sel:DWORD
	s_and_saveexec_b64 s[4:5], s[6:7]
	s_cbranch_execz .LBB635_141
; %bb.136:                              ;   in Loop: Header=BB635_15 Depth=1
	v_cmp_ne_u16_sdwa s[10:11], v30, s13 src0_sel:BYTE_0 src1_sel:DWORD
	v_bfrev_b32_e32 v37, 1
	s_and_saveexec_b64 s[6:7], s[10:11]
	s_cbranch_execz .LBB635_140
; %bb.137:                              ;   in Loop: Header=BB635_15 Depth=1
	v_and_b32_e32 v32, 0x7f, v30
	v_cmp_ne_u32_e32 vcc, s14, v32
	v_mov_b32_e32 v37, 0x7f800001
	s_and_saveexec_b64 s[10:11], vcc
	s_cbranch_execz .LBB635_139
; %bb.138:                              ;   in Loop: Header=BB635_15 Depth=1
	v_and_b32_e32 v34, 7, v30
	v_ffbh_u32_e32 v42, v34
	v_min_u32_e32 v44, 32, v42
	v_subrev_u32_e32 v42, 28, v44
	v_lshlrev_b64 v[42:43], v42, v[30:31]
	v_lshrrev_b32_e32 v37, 3, v32
	v_sub_u32_e32 v43, 29, v44
	v_and_b32_e32 v42, 7, v42
	v_cmp_gt_u32_e32 vcc, 8, v32
	v_cndmask_b32_e32 v32, v37, v43, vcc
	v_cndmask_b32_e32 v34, v34, v42, vcc
	v_lshlrev_b32_e32 v37, 24, v30
	v_lshlrev_b32_e32 v34, 20, v34
	v_and_b32_e32 v37, 0x80000000, v37
	v_lshl_add_u32 v32, v32, 23, v33
	v_or3_b32 v37, v37, v32, v34
.LBB635_139:                            ;   in Loop: Header=BB635_15 Depth=1
	s_or_b64 exec, exec, s[10:11]
.LBB635_140:                            ;   in Loop: Header=BB635_15 Depth=1
	s_or_b64 exec, exec, s[6:7]
.LBB635_141:                            ;   in Loop: Header=BB635_15 Depth=1
	s_or_b64 exec, exec, s[4:5]
	v_lshrrev_b16_e32 v32, 8, v30
	v_cmp_ne_u16_e32 vcc, 0, v32
	v_mov_b32_e32 v42, 0
	v_mov_b32_e32 v43, 0
	s_and_saveexec_b64 s[4:5], vcc
	s_cbranch_execz .LBB635_147
; %bb.142:                              ;   in Loop: Header=BB635_15 Depth=1
	v_cmp_ne_u16_e32 vcc, s13, v32
	v_bfrev_b32_e32 v43, 1
	s_and_saveexec_b64 s[6:7], vcc
	s_cbranch_execz .LBB635_146
; %bb.143:                              ;   in Loop: Header=BB635_15 Depth=1
	v_and_b32_e32 v34, 0x7f, v32
	v_cmp_ne_u32_e32 vcc, s14, v34
	v_mov_b32_e32 v43, 0x7f800001
	s_and_saveexec_b64 s[10:11], vcc
	s_cbranch_execz .LBB635_145
; %bb.144:                              ;   in Loop: Header=BB635_15 Depth=1
	v_and_b32_e32 v43, 7, v32
	v_ffbh_u32_e32 v44, v43
	v_min_u32_e32 v47, 32, v44
	v_subrev_u32_e32 v44, 28, v47
	v_lshlrev_b64 v[44:45], v44, v[32:33]
	v_lshrrev_b32_e32 v46, 3, v34
	v_sub_u32_e32 v32, 29, v47
	v_and_b32_e32 v44, 7, v44
	v_cmp_gt_u32_e32 vcc, 8, v34
	v_cndmask_b32_e32 v32, v46, v32, vcc
	v_cndmask_b32_e32 v34, v43, v44, vcc
	v_lshlrev_b32_e32 v43, 16, v30
	v_lshlrev_b32_e32 v34, 20, v34
	v_and_b32_e32 v43, 0x80000000, v43
	v_lshl_add_u32 v32, v32, 23, v33
	v_or3_b32 v43, v43, v32, v34
.LBB635_145:                            ;   in Loop: Header=BB635_15 Depth=1
	s_or_b64 exec, exec, s[10:11]
.LBB635_146:                            ;   in Loop: Header=BB635_15 Depth=1
	s_or_b64 exec, exec, s[6:7]
.LBB635_147:                            ;   in Loop: Header=BB635_15 Depth=1
	s_or_b64 exec, exec, s[4:5]
	v_lshrrev_b32_e32 v32, 16, v30
	v_cmp_ne_u16_sdwa s[6:7], v32, v29 src0_sel:BYTE_0 src1_sel:DWORD
	s_and_saveexec_b64 s[4:5], s[6:7]
	s_cbranch_execz .LBB635_153
; %bb.148:                              ;   in Loop: Header=BB635_15 Depth=1
	v_cmp_ne_u16_sdwa s[10:11], v32, s13 src0_sel:BYTE_0 src1_sel:DWORD
	v_bfrev_b32_e32 v42, 1
	s_and_saveexec_b64 s[6:7], s[10:11]
	s_cbranch_execz .LBB635_152
; %bb.149:                              ;   in Loop: Header=BB635_15 Depth=1
	v_bfe_u32 v34, v30, 16, 7
	v_cmp_ne_u32_e32 vcc, s14, v34
	v_mov_b32_e32 v42, 0x7f800001
	s_and_saveexec_b64 s[10:11], vcc
	s_cbranch_execz .LBB635_151
; %bb.150:                              ;   in Loop: Header=BB635_15 Depth=1
	v_and_b32_e32 v42, 7, v32
	v_ffbh_u32_e32 v44, v42
	v_min_u32_e32 v47, 32, v44
	v_subrev_u32_e32 v44, 28, v47
	v_lshlrev_b64 v[44:45], v44, v[32:33]
	v_lshrrev_b32_e32 v46, 3, v34
	v_sub_u32_e32 v45, 29, v47
	v_and_b32_e32 v44, 7, v44
	v_cmp_gt_u32_e32 vcc, 8, v34
	v_cndmask_b32_e32 v34, v46, v45, vcc
	v_cndmask_b32_e32 v42, v42, v44, vcc
	v_lshlrev_b32_e32 v32, 24, v32
	v_lshlrev_b32_e32 v42, 20, v42
	v_and_b32_e32 v32, 0x80000000, v32
	v_lshl_add_u32 v34, v34, 23, v33
	v_or3_b32 v42, v32, v34, v42
.LBB635_151:                            ;   in Loop: Header=BB635_15 Depth=1
	s_or_b64 exec, exec, s[10:11]
.LBB635_152:                            ;   in Loop: Header=BB635_15 Depth=1
	s_or_b64 exec, exec, s[6:7]
.LBB635_153:                            ;   in Loop: Header=BB635_15 Depth=1
	s_or_b64 exec, exec, s[4:5]
	v_cmp_lt_u32_e32 vcc, s15, v30
	v_mov_b32_e32 v34, 0
	v_mov_b32_e32 v44, 0
	s_and_saveexec_b64 s[4:5], vcc
	s_cbranch_execz .LBB635_159
; %bb.154:                              ;   in Loop: Header=BB635_15 Depth=1
	v_lshrrev_b32_e32 v32, 24, v30
	v_cmp_ne_u32_e32 vcc, s13, v32
	v_bfrev_b32_e32 v44, 1
	s_and_saveexec_b64 s[6:7], vcc
	s_cbranch_execz .LBB635_158
; %bb.155:                              ;   in Loop: Header=BB635_15 Depth=1
	v_bfe_u32 v30, v30, 24, 7
	v_cmp_ne_u32_e32 vcc, s14, v30
	v_mov_b32_e32 v44, 0x7f800001
	s_and_saveexec_b64 s[10:11], vcc
	s_cbranch_execz .LBB635_157
; %bb.156:                              ;   in Loop: Header=BB635_15 Depth=1
	v_and_b32_e32 v46, 7, v32
	v_ffbh_u32_e32 v44, v46
	v_min_u32_e32 v48, 32, v44
	v_subrev_u32_e32 v44, 28, v48
	v_lshlrev_b64 v[44:45], v44, v[32:33]
	v_lshrrev_b32_e32 v47, 3, v30
	v_sub_u32_e32 v45, 29, v48
	v_and_b32_e32 v44, 7, v44
	v_cmp_gt_u32_e32 vcc, 8, v30
	v_cndmask_b32_e32 v30, v47, v45, vcc
	v_cndmask_b32_e32 v44, v46, v44, vcc
	v_lshlrev_b32_e32 v32, 24, v32
	v_lshlrev_b32_e32 v44, 20, v44
	v_and_b32_e32 v32, 0x80000000, v32
	v_lshl_add_u32 v30, v30, 23, v33
	v_or3_b32 v44, v32, v30, v44
.LBB635_157:                            ;   in Loop: Header=BB635_15 Depth=1
	s_or_b64 exec, exec, s[10:11]
.LBB635_158:                            ;   in Loop: Header=BB635_15 Depth=1
	s_or_b64 exec, exec, s[6:7]
.LBB635_159:                            ;   in Loop: Header=BB635_15 Depth=1
	s_or_b64 exec, exec, s[4:5]
	v_cvt_pkrtz_f16_f32 v46, v23, v36
	v_cvt_pkrtz_f16_f32 v47, v35, v40
	;; [unrolled: 1-line block ×4, first 2 shown]
	s_waitcnt vmcnt(1)
	v_cmp_ne_u16_sdwa s[6:7], v28, v29 src0_sel:BYTE_0 src1_sel:DWORD
	v_mfma_f32_16x16x16f16 v[18:21], v[46:47], v[10:11], v[18:21]
	v_mfma_f32_16x16x16f16 v[18:21], v[36:37], v[12:13], v[18:21]
	s_and_saveexec_b64 s[4:5], s[6:7]
	s_cbranch_execz .LBB635_165
; %bb.160:                              ;   in Loop: Header=BB635_15 Depth=1
	v_cmp_ne_u16_sdwa s[10:11], v28, s13 src0_sel:BYTE_0 src1_sel:DWORD
	v_bfrev_b32_e32 v34, 1
	s_and_saveexec_b64 s[6:7], s[10:11]
	s_cbranch_execz .LBB635_164
; %bb.161:                              ;   in Loop: Header=BB635_15 Depth=1
	v_and_b32_e32 v23, 0x7f, v28
	v_cmp_ne_u32_e32 vcc, s14, v23
	v_mov_b32_e32 v34, 0x7f800001
	s_and_saveexec_b64 s[10:11], vcc
	s_cbranch_execz .LBB635_163
; %bb.162:                              ;   in Loop: Header=BB635_15 Depth=1
	v_and_b32_e32 v30, 7, v28
	v_ffbh_u32_e32 v34, v30
	v_min_u32_e32 v36, 32, v34
	v_subrev_u32_e32 v34, 28, v36
	v_lshlrev_b64 v[34:35], v34, v[28:29]
	v_lshrrev_b32_e32 v32, 3, v23
	v_sub_u32_e32 v35, 29, v36
	v_and_b32_e32 v34, 7, v34
	v_cmp_gt_u32_e32 vcc, 8, v23
	v_cndmask_b32_e32 v23, v32, v35, vcc
	v_cndmask_b32_e32 v30, v30, v34, vcc
	v_lshlrev_b32_e32 v32, 24, v28
	v_lshlrev_b32_e32 v30, 20, v30
	v_and_b32_e32 v32, 0x80000000, v32
	v_lshl_add_u32 v23, v23, 23, v33
	v_or3_b32 v34, v32, v23, v30
.LBB635_163:                            ;   in Loop: Header=BB635_15 Depth=1
	s_or_b64 exec, exec, s[10:11]
.LBB635_164:                            ;   in Loop: Header=BB635_15 Depth=1
	s_or_b64 exec, exec, s[6:7]
.LBB635_165:                            ;   in Loop: Header=BB635_15 Depth=1
	s_or_b64 exec, exec, s[4:5]
	v_lshrrev_b16_e32 v30, 8, v28
	v_cmp_ne_u16_e32 vcc, 0, v30
	v_mov_b32_e32 v23, 0
	v_mov_b32_e32 v32, 0
	s_and_saveexec_b64 s[4:5], vcc
	s_cbranch_execz .LBB635_171
; %bb.166:                              ;   in Loop: Header=BB635_15 Depth=1
	v_cmp_ne_u16_e32 vcc, s13, v30
	v_bfrev_b32_e32 v32, 1
	s_and_saveexec_b64 s[6:7], vcc
	s_cbranch_execz .LBB635_170
; %bb.167:                              ;   in Loop: Header=BB635_15 Depth=1
	v_and_b32_e32 v35, 0x7f, v30
	v_cmp_ne_u32_e32 vcc, s14, v35
	v_mov_b32_e32 v32, 0x7f800001
	s_and_saveexec_b64 s[10:11], vcc
	s_cbranch_execz .LBB635_169
; %bb.168:                              ;   in Loop: Header=BB635_15 Depth=1
	v_and_b32_e32 v32, 7, v30
	v_ffbh_u32_e32 v36, v32
	v_min_u32_e32 v42, 32, v36
	v_subrev_u32_e32 v36, 28, v42
	v_lshlrev_b64 v[36:37], v36, v[30:31]
	v_lshrrev_b32_e32 v40, 3, v35
	v_sub_u32_e32 v30, 29, v42
	v_and_b32_e32 v36, 7, v36
	v_cmp_gt_u32_e32 vcc, 8, v35
	v_cndmask_b32_e32 v30, v40, v30, vcc
	v_cndmask_b32_e32 v32, v32, v36, vcc
	v_lshlrev_b32_e32 v35, 16, v28
	v_lshlrev_b32_e32 v32, 20, v32
	v_and_b32_e32 v35, 0x80000000, v35
	v_lshl_add_u32 v30, v30, 23, v33
	v_or3_b32 v32, v35, v30, v32
.LBB635_169:                            ;   in Loop: Header=BB635_15 Depth=1
	s_or_b64 exec, exec, s[10:11]
.LBB635_170:                            ;   in Loop: Header=BB635_15 Depth=1
	s_or_b64 exec, exec, s[6:7]
.LBB635_171:                            ;   in Loop: Header=BB635_15 Depth=1
	s_or_b64 exec, exec, s[4:5]
	v_lshrrev_b32_e32 v30, 16, v28
	v_cmp_ne_u16_sdwa s[6:7], v30, v29 src0_sel:BYTE_0 src1_sel:DWORD
	s_and_saveexec_b64 s[4:5], s[6:7]
	s_cbranch_execz .LBB635_177
; %bb.172:                              ;   in Loop: Header=BB635_15 Depth=1
	v_cmp_ne_u16_sdwa s[10:11], v30, s13 src0_sel:BYTE_0 src1_sel:DWORD
	v_bfrev_b32_e32 v23, 1
	s_and_saveexec_b64 s[6:7], s[10:11]
	s_cbranch_execz .LBB635_176
; %bb.173:                              ;   in Loop: Header=BB635_15 Depth=1
	v_bfe_u32 v35, v28, 16, 7
	v_cmp_ne_u32_e32 vcc, s14, v35
	v_mov_b32_e32 v23, 0x7f800001
	s_and_saveexec_b64 s[10:11], vcc
	s_cbranch_execz .LBB635_175
; %bb.174:                              ;   in Loop: Header=BB635_15 Depth=1
	v_and_b32_e32 v23, 7, v30
	v_ffbh_u32_e32 v36, v23
	v_min_u32_e32 v42, 32, v36
	v_subrev_u32_e32 v36, 28, v42
	v_lshlrev_b64 v[36:37], v36, v[30:31]
	v_lshrrev_b32_e32 v40, 3, v35
	v_sub_u32_e32 v37, 29, v42
	v_and_b32_e32 v36, 7, v36
	v_cmp_gt_u32_e32 vcc, 8, v35
	v_cndmask_b32_e32 v35, v40, v37, vcc
	v_cndmask_b32_e32 v23, v23, v36, vcc
	v_lshlrev_b32_e32 v30, 24, v30
	v_lshlrev_b32_e32 v23, 20, v23
	v_and_b32_e32 v30, 0x80000000, v30
	v_lshl_add_u32 v35, v35, 23, v33
	v_or3_b32 v23, v30, v35, v23
.LBB635_175:                            ;   in Loop: Header=BB635_15 Depth=1
	s_or_b64 exec, exec, s[10:11]
.LBB635_176:                            ;   in Loop: Header=BB635_15 Depth=1
	s_or_b64 exec, exec, s[6:7]
.LBB635_177:                            ;   in Loop: Header=BB635_15 Depth=1
	s_or_b64 exec, exec, s[4:5]
	v_cmp_lt_u32_e32 vcc, s15, v28
	v_mov_b32_e32 v35, 0
	v_mov_b32_e32 v36, 0
	s_and_saveexec_b64 s[4:5], vcc
	s_cbranch_execz .LBB635_183
; %bb.178:                              ;   in Loop: Header=BB635_15 Depth=1
	v_lshrrev_b32_e32 v30, 24, v28
	v_cmp_ne_u32_e32 vcc, s13, v30
	v_bfrev_b32_e32 v36, 1
	s_and_saveexec_b64 s[6:7], vcc
	s_cbranch_execz .LBB635_182
; %bb.179:                              ;   in Loop: Header=BB635_15 Depth=1
	v_bfe_u32 v28, v28, 24, 7
	v_cmp_ne_u32_e32 vcc, s14, v28
	v_mov_b32_e32 v36, 0x7f800001
	s_and_saveexec_b64 s[10:11], vcc
	s_cbranch_execz .LBB635_181
; %bb.180:                              ;   in Loop: Header=BB635_15 Depth=1
	v_and_b32_e32 v40, 7, v30
	v_ffbh_u32_e32 v36, v40
	v_min_u32_e32 v43, 32, v36
	v_subrev_u32_e32 v36, 28, v43
	v_lshlrev_b64 v[36:37], v36, v[30:31]
	v_lshrrev_b32_e32 v42, 3, v28
	v_sub_u32_e32 v37, 29, v43
	v_and_b32_e32 v36, 7, v36
	v_cmp_gt_u32_e32 vcc, 8, v28
	v_cndmask_b32_e32 v28, v42, v37, vcc
	v_cndmask_b32_e32 v36, v40, v36, vcc
	v_lshlrev_b32_e32 v30, 24, v30
	v_lshlrev_b32_e32 v36, 20, v36
	v_and_b32_e32 v30, 0x80000000, v30
	v_lshl_add_u32 v28, v28, 23, v33
	v_or3_b32 v36, v30, v28, v36
.LBB635_181:                            ;   in Loop: Header=BB635_15 Depth=1
	s_or_b64 exec, exec, s[10:11]
.LBB635_182:                            ;   in Loop: Header=BB635_15 Depth=1
	s_or_b64 exec, exec, s[6:7]
.LBB635_183:                            ;   in Loop: Header=BB635_15 Depth=1
	s_or_b64 exec, exec, s[4:5]
	s_waitcnt vmcnt(0)
	v_cmp_ne_u16_sdwa s[6:7], v26, v29 src0_sel:BYTE_0 src1_sel:DWORD
	s_and_saveexec_b64 s[4:5], s[6:7]
	s_cbranch_execz .LBB635_189
; %bb.184:                              ;   in Loop: Header=BB635_15 Depth=1
	v_cmp_ne_u16_sdwa s[10:11], v26, s13 src0_sel:BYTE_0 src1_sel:DWORD
	v_bfrev_b32_e32 v35, 1
	s_and_saveexec_b64 s[6:7], s[10:11]
	s_cbranch_execz .LBB635_188
; %bb.185:                              ;   in Loop: Header=BB635_15 Depth=1
	v_and_b32_e32 v28, 0x7f, v26
	v_cmp_ne_u32_e32 vcc, s14, v28
	v_mov_b32_e32 v35, 0x7f800001
	s_and_saveexec_b64 s[10:11], vcc
	s_cbranch_execz .LBB635_187
; %bb.186:                              ;   in Loop: Header=BB635_15 Depth=1
	v_and_b32_e32 v30, 7, v26
	v_ffbh_u32_e32 v37, v30
	v_min_u32_e32 v37, 32, v37
	v_subrev_u32_e32 v40, 28, v37
	v_lshlrev_b64 v[42:43], v40, v[26:27]
	v_lshrrev_b32_e32 v35, 3, v28
	v_sub_u32_e32 v37, 29, v37
	v_and_b32_e32 v40, 7, v42
	v_cmp_gt_u32_e32 vcc, 8, v28
	v_cndmask_b32_e32 v28, v35, v37, vcc
	v_cndmask_b32_e32 v30, v30, v40, vcc
	v_lshlrev_b32_e32 v35, 24, v26
	v_lshlrev_b32_e32 v30, 20, v30
	v_and_b32_e32 v35, 0x80000000, v35
	v_lshl_add_u32 v28, v28, 23, v33
	v_or3_b32 v35, v35, v28, v30
.LBB635_187:                            ;   in Loop: Header=BB635_15 Depth=1
	s_or_b64 exec, exec, s[10:11]
.LBB635_188:                            ;   in Loop: Header=BB635_15 Depth=1
	s_or_b64 exec, exec, s[6:7]
.LBB635_189:                            ;   in Loop: Header=BB635_15 Depth=1
	s_or_b64 exec, exec, s[4:5]
	v_lshrrev_b16_e32 v28, 8, v26
	v_cmp_ne_u16_e32 vcc, 0, v28
	v_mov_b32_e32 v30, 0
	v_mov_b32_e32 v37, 0
	s_and_saveexec_b64 s[4:5], vcc
	s_cbranch_execz .LBB635_195
; %bb.190:                              ;   in Loop: Header=BB635_15 Depth=1
	v_cmp_ne_u16_e32 vcc, s13, v28
	v_bfrev_b32_e32 v37, 1
	s_and_saveexec_b64 s[6:7], vcc
	s_cbranch_execz .LBB635_194
; %bb.191:                              ;   in Loop: Header=BB635_15 Depth=1
	v_and_b32_e32 v40, 0x7f, v28
	v_cmp_ne_u32_e32 vcc, s14, v40
	v_mov_b32_e32 v37, 0x7f800001
	s_and_saveexec_b64 s[10:11], vcc
	s_cbranch_execz .LBB635_193
; %bb.192:                              ;   in Loop: Header=BB635_15 Depth=1
	v_and_b32_e32 v37, 7, v28
	v_ffbh_u32_e32 v42, v37
	v_min_u32_e32 v45, 32, v42
	v_subrev_u32_e32 v42, 28, v45
	v_lshlrev_b64 v[42:43], v42, v[28:29]
	v_lshrrev_b32_e32 v44, 3, v40
	v_sub_u32_e32 v28, 29, v45
	v_and_b32_e32 v42, 7, v42
	v_cmp_gt_u32_e32 vcc, 8, v40
	v_cndmask_b32_e32 v28, v44, v28, vcc
	v_cndmask_b32_e32 v37, v37, v42, vcc
	v_lshlrev_b32_e32 v40, 16, v26
	v_lshlrev_b32_e32 v37, 20, v37
	v_and_b32_e32 v40, 0x80000000, v40
	v_lshl_add_u32 v28, v28, 23, v33
	v_or3_b32 v37, v40, v28, v37
.LBB635_193:                            ;   in Loop: Header=BB635_15 Depth=1
	s_or_b64 exec, exec, s[10:11]
.LBB635_194:                            ;   in Loop: Header=BB635_15 Depth=1
	s_or_b64 exec, exec, s[6:7]
.LBB635_195:                            ;   in Loop: Header=BB635_15 Depth=1
	s_or_b64 exec, exec, s[4:5]
	v_lshrrev_b32_e32 v28, 16, v26
	v_cmp_ne_u16_sdwa s[6:7], v28, v29 src0_sel:BYTE_0 src1_sel:DWORD
	s_and_saveexec_b64 s[4:5], s[6:7]
	s_cbranch_execz .LBB635_201
; %bb.196:                              ;   in Loop: Header=BB635_15 Depth=1
	v_cmp_ne_u16_sdwa s[10:11], v28, s13 src0_sel:BYTE_0 src1_sel:DWORD
	v_bfrev_b32_e32 v30, 1
	s_and_saveexec_b64 s[6:7], s[10:11]
	s_cbranch_execz .LBB635_200
; %bb.197:                              ;   in Loop: Header=BB635_15 Depth=1
	v_bfe_u32 v40, v26, 16, 7
	v_cmp_ne_u32_e32 vcc, s14, v40
	v_mov_b32_e32 v30, 0x7f800001
	s_and_saveexec_b64 s[10:11], vcc
	s_cbranch_execz .LBB635_199
; %bb.198:                              ;   in Loop: Header=BB635_15 Depth=1
	v_and_b32_e32 v30, 7, v28
	v_ffbh_u32_e32 v42, v30
	v_min_u32_e32 v45, 32, v42
	v_subrev_u32_e32 v42, 28, v45
	v_lshlrev_b64 v[42:43], v42, v[28:29]
	v_lshrrev_b32_e32 v44, 3, v40
	v_sub_u32_e32 v43, 29, v45
	v_and_b32_e32 v42, 7, v42
	v_cmp_gt_u32_e32 vcc, 8, v40
	v_cndmask_b32_e32 v40, v44, v43, vcc
	v_cndmask_b32_e32 v30, v30, v42, vcc
	v_lshlrev_b32_e32 v28, 24, v28
	v_lshlrev_b32_e32 v30, 20, v30
	v_and_b32_e32 v28, 0x80000000, v28
	v_lshl_add_u32 v40, v40, 23, v33
	v_or3_b32 v30, v28, v40, v30
.LBB635_199:                            ;   in Loop: Header=BB635_15 Depth=1
	s_or_b64 exec, exec, s[10:11]
.LBB635_200:                            ;   in Loop: Header=BB635_15 Depth=1
	s_or_b64 exec, exec, s[6:7]
.LBB635_201:                            ;   in Loop: Header=BB635_15 Depth=1
	s_or_b64 exec, exec, s[4:5]
	v_cmp_lt_u32_e32 vcc, s15, v26
	v_mov_b32_e32 v40, 0
	s_and_saveexec_b64 s[4:5], vcc
	s_cbranch_execz .LBB635_14
; %bb.202:                              ;   in Loop: Header=BB635_15 Depth=1
	v_lshrrev_b32_e32 v28, 24, v26
	v_cmp_ne_u32_e32 vcc, s13, v28
	v_bfrev_b32_e32 v40, 1
	s_and_saveexec_b64 s[6:7], vcc
	s_cbranch_execz .LBB635_13
; %bb.203:                              ;   in Loop: Header=BB635_15 Depth=1
	v_bfe_u32 v26, v26, 24, 7
	v_cmp_ne_u32_e32 vcc, s14, v26
	v_mov_b32_e32 v40, 0x7f800001
	s_and_saveexec_b64 s[10:11], vcc
	s_cbranch_execz .LBB635_12
; %bb.204:                              ;   in Loop: Header=BB635_15 Depth=1
	v_and_b32_e32 v40, 7, v28
	v_ffbh_u32_e32 v42, v40
	v_min_u32_e32 v45, 32, v42
	v_subrev_u32_e32 v42, 28, v45
	v_lshlrev_b64 v[42:43], v42, v[28:29]
	v_lshrrev_b32_e32 v44, 3, v26
	v_sub_u32_e32 v43, 29, v45
	v_and_b32_e32 v42, 7, v42
	v_cmp_gt_u32_e32 vcc, 8, v26
	v_cndmask_b32_e32 v26, v44, v43, vcc
	v_cndmask_b32_e32 v40, v40, v42, vcc
	v_lshlrev_b32_e32 v28, 24, v28
	v_lshlrev_b32_e32 v40, 20, v40
	v_and_b32_e32 v28, 0x80000000, v28
	v_lshl_add_u32 v26, v26, 23, v33
	v_or3_b32 v40, v28, v26, v40
	s_branch .LBB635_12
.LBB635_205:
	buffer_load_dword v13, off, s[0:3], 0 offset:256
	buffer_load_dword v14, off, s[0:3], 0 offset:260
	;; [unrolled: 1-line block ×16, first 2 shown]
	v_and_b32_e32 v12, 0xc0, v0
	v_add_u32_e32 v12, s20, v12
	v_lshl_or_b32 v12, v1, 2, v12
	v_or_b32_e32 v23, 1, v12
	v_mov_b32_e32 v19, 0xff7fffff
	v_or_b32_e32 v24, 2, v12
	v_or_b32_e32 v25, 3, v12
	v_cmp_gt_i32_e64 s[26:27], s33, v12
	v_cmp_gt_i32_e64 s[28:29], s33, v23
	s_mov_b32 s52, 0xff7fffff
	v_or_b32_e32 v26, 16, v12
	v_or_b32_e32 v27, 17, v12
	v_or_b32_e32 v28, 18, v12
	v_or_b32_e32 v29, 19, v12
	v_or_b32_e32 v30, 32, v12
	v_or_b32_e32 v31, 33, v12
	v_or_b32_e32 v32, 34, v12
	v_or_b32_e32 v33, 35, v12
	v_or_b32_e32 v34, 48, v12
	v_or_b32_e32 v35, 49, v12
	v_or_b32_e32 v36, 50, v12
	v_or_b32_e32 v37, 51, v12
	v_cmp_gt_i32_e64 s[30:31], s33, v24
	v_cmp_gt_i32_e64 s[34:35], s33, v25
	v_mbcnt_lo_u32_b32 v20, -1, 0
	v_cmp_gt_i32_e64 s[36:37], s33, v26
	v_cmp_gt_i32_e64 s[38:39], s33, v27
	v_mbcnt_hi_u32_b32 v20, -1, v20
	v_cmp_gt_i32_e64 s[20:21], s33, v28
	v_cmp_gt_i32_e64 s[22:23], s33, v29
	v_and_b32_e32 v21, 64, v20
	v_cmp_gt_i32_e64 s[16:17], s33, v30
	v_cmp_gt_i32_e64 s[18:19], s33, v31
	v_xor_b32_e32 v22, 32, v20
	v_add_u32_e32 v21, 64, v21
	v_cmp_gt_i32_e64 s[12:13], s33, v32
	v_cmp_gt_i32_e64 s[14:15], s33, v33
	v_cmp_lt_i32_e32 vcc, v22, v21
	v_cmp_gt_i32_e64 s[6:7], s33, v34
	v_cmp_gt_i32_e64 s[10:11], s33, v35
	v_cndmask_b32_e32 v22, v20, v22, vcc
	v_cmp_gt_i32_e32 vcc, s33, v36
	v_cmp_gt_i32_e64 s[4:5], s33, v37
	v_lshlrev_b32_e32 v22, 2, v22
	s_waitcnt vmcnt(15)
	v_cndmask_b32_e64 v12, v19, v13, s[26:27]
	s_waitcnt vmcnt(14)
	v_cndmask_b32_e64 v23, v19, v14, s[28:29]
	;; [unrolled: 2-line block ×4, first 2 shown]
	v_max3_f32 v12, v12, s52, v23
	s_waitcnt vmcnt(11)
	v_cndmask_b32_e64 v26, v19, v17, s[36:37]
	s_waitcnt vmcnt(10)
	v_cndmask_b32_e64 v27, v19, v18, s[38:39]
	v_max3_f32 v12, v12, v24, v25
	s_waitcnt vmcnt(9)
	v_cndmask_b32_e64 v28, v19, v11, s[20:21]
	s_waitcnt vmcnt(8)
	v_cndmask_b32_e64 v29, v19, v10, s[22:23]
	;; [unrolled: 5-line block ×5, first 2 shown]
	v_max3_f32 v12, v12, v32, v33
	s_waitcnt vmcnt(1)
	v_cndmask_b32_e32 v36, v19, v3, vcc
	s_waitcnt vmcnt(0)
	v_cndmask_b32_e64 v19, v19, v2, s[4:5]
	v_max3_f32 v12, v12, v34, v35
	v_max3_f32 v12, v12, v36, v19
	ds_bpermute_b32 v19, v22, v12
	v_xor_b32_e32 v23, 16, v20
	v_cmp_lt_i32_e64 s[40:41], v23, v21
	v_cndmask_b32_e64 v20, v20, v23, s[40:41]
	v_lshlrev_b32_e32 v20, 2, v20
	s_waitcnt lgkmcnt(0)
	v_max_f32_e32 v19, v19, v19
	v_max_f32_e32 v12, v12, v19
	ds_bpermute_b32 v19, v20, v12
	s_waitcnt lgkmcnt(0)
	v_max_f32_e32 v19, v19, v19
	v_max_f32_e32 v12, v12, v19
	v_sub_f32_e32 v13, v13, v12
	v_sub_f32_e32 v14, v14, v12
	;; [unrolled: 1-line block ×3, first 2 shown]
	v_mul_f32_e32 v13, 0x3fb8aa3b, v13
	v_mul_f32_e32 v14, 0x3fb8aa3b, v14
	;; [unrolled: 1-line block ×3, first 2 shown]
	v_exp_f32_e32 v13, v13
	v_exp_f32_e32 v14, v14
	;; [unrolled: 1-line block ×3, first 2 shown]
	v_sub_f32_e32 v16, v16, v12
	v_cndmask_b32_e64 v13, 0, v13, s[26:27]
	v_mul_f32_e32 v16, 0x3fb8aa3b, v16
	v_cndmask_b32_e64 v14, 0, v14, s[28:29]
	v_cndmask_b32_e64 v15, 0, v15, s[30:31]
	v_add_f32_e32 v19, 0, v13
	buffer_store_dword v13, off, s[0:3], 0 offset:256
	buffer_store_dword v14, off, s[0:3], 0 offset:260
	;; [unrolled: 1-line block ×3, first 2 shown]
	v_sub_f32_e32 v13, v17, v12
	v_exp_f32_e32 v16, v16
	v_add_f32_e32 v19, v19, v14
	v_mul_f32_e32 v13, 0x3fb8aa3b, v13
	v_sub_f32_e32 v14, v18, v12
	v_exp_f32_e32 v13, v13
	v_mul_f32_e32 v14, 0x3fb8aa3b, v14
	v_sub_f32_e32 v11, v11, v12
	v_exp_f32_e32 v14, v14
	;; [unrolled: 3-line block ×3, first 2 shown]
	v_mul_f32_e32 v10, 0x3fb8aa3b, v10
	v_sub_f32_e32 v9, v9, v12
	v_cndmask_b32_e64 v16, 0, v16, s[34:35]
	v_add_f32_e32 v19, v19, v15
	v_exp_f32_e32 v10, v10
	v_mul_f32_e32 v9, 0x3fb8aa3b, v9
	v_sub_f32_e32 v8, v8, v12
	v_add_f32_e32 v19, v19, v16
	v_cndmask_b32_e64 v13, 0, v13, s[36:37]
	v_exp_f32_e32 v9, v9
	v_mul_f32_e32 v8, 0x3fb8aa3b, v8
	v_sub_f32_e32 v7, v7, v12
	v_add_f32_e32 v15, v19, v13
	v_cndmask_b32_e64 v14, 0, v14, s[38:39]
	;; [unrolled: 5-line block ×5, first 2 shown]
	v_exp_f32_e32 v5, v5
	v_mul_f32_e32 v4, 0x3fb8aa3b, v4
	v_sub_f32_e32 v3, v3, v12
	buffer_store_dword v16, off, s[0:3], 0 offset:268
	buffer_store_dword v13, off, s[0:3], 0 offset:272
	buffer_store_dword v14, off, s[0:3], 0 offset:276
	buffer_store_dword v11, off, s[0:3], 0 offset:280
	buffer_store_dword v10, off, s[0:3], 0 offset:284
	v_add_f32_e32 v10, v15, v9
	v_cndmask_b32_e64 v8, 0, v8, s[18:19]
	v_exp_f32_e32 v4, v4
	v_mul_f32_e32 v3, 0x3fb8aa3b, v3
	v_sub_f32_e32 v2, v2, v12
	v_add_f32_e32 v10, v10, v8
	v_cndmask_b32_e64 v7, 0, v7, s[12:13]
	v_exp_f32_e32 v3, v3
	v_mul_f32_e32 v2, 0x3fb8aa3b, v2
	v_add_f32_e32 v10, v10, v7
	v_cndmask_b32_e64 v6, 0, v6, s[14:15]
	v_exp_f32_e32 v2, v2
	v_add_f32_e32 v10, v10, v6
	v_cndmask_b32_e64 v5, 0, v5, s[6:7]
	buffer_store_dword v9, off, s[0:3], 0 offset:288
	buffer_store_dword v8, off, s[0:3], 0 offset:292
	;; [unrolled: 1-line block ×4, first 2 shown]
	v_add_f32_e32 v6, v10, v5
	v_cndmask_b32_e64 v4, 0, v4, s[10:11]
	v_add_f32_e32 v6, v6, v4
	v_cndmask_b32_e32 v3, 0, v3, vcc
	v_add_f32_e32 v6, v6, v3
	v_cndmask_b32_e64 v2, 0, v2, s[4:5]
	v_add_f32_e32 v6, v6, v2
	ds_bpermute_b32 v7, v22, v6
	buffer_store_dword v5, off, s[0:3], 0 offset:304
	buffer_store_dword v4, off, s[0:3], 0 offset:308
	;; [unrolled: 1-line block ×4, first 2 shown]
	v_cmp_gt_u32_e32 vcc, 16, v38
	s_waitcnt lgkmcnt(0)
	s_barrier
	v_add_f32_e32 v2, v6, v7
	ds_bpermute_b32 v3, v20, v2
	s_waitcnt lgkmcnt(0)
	s_and_saveexec_b64 s[4:5], vcc
	s_cbranch_execz .LBB635_207
; %bb.206:
	v_add_f32_e32 v2, v2, v3
	v_lshlrev_b32_e32 v3, 2, v63
	ds_write2st64_b32 v3, v12, v2 offset1:1
.LBB635_207:
	s_or_b64 exec, exec, s[4:5]
	v_lshlrev_b32_e32 v2, 2, v55
	s_waitcnt lgkmcnt(0)
	s_barrier
	ds_read2_b32 v[12:13], v2 offset1:16
	ds_read2_b32 v[14:15], v2 offset0:32 offset1:48
	ds_read2_b32 v[6:7], v2 offset0:64 offset1:80
	;; [unrolled: 1-line block ×3, first 2 shown]
	s_waitcnt lgkmcnt(0)
	s_barrier
	buffer_load_dword v20, off, s[0:3], 0 offset:256
	buffer_load_dword v21, off, s[0:3], 0 offset:260
	;; [unrolled: 1-line block ×16, first 2 shown]
	v_lshlrev_b32_e32 v19, 3, v1
	v_lshlrev_b32_e32 v18, 5, v55
	;; [unrolled: 1-line block ×3, first 2 shown]
	v_or3_b32 v43, v28, v18, v19
	v_max3_f32 v19, v12, s52, v13
	v_max3_f32 v19, v19, v14, v15
	v_sub_f32_e32 v12, v12, v19
	v_sub_f32_e32 v13, v13, v19
	v_mul_f32_e32 v12, 0x3fb8aa3b, v12
	v_sub_f32_e32 v14, v14, v19
	v_mul_f32_e32 v13, 0x3fb8aa3b, v13
	v_exp_f32_e32 v12, v12
	v_sub_f32_e32 v15, v15, v19
	v_mul_f32_e32 v14, 0x3fb8aa3b, v14
	v_exp_f32_e32 v13, v13
	v_mul_f32_e32 v15, 0x3fb8aa3b, v15
	v_exp_f32_e32 v14, v14
	v_exp_f32_e32 v15, v15
	v_fma_f32 v6, v12, v6, 0
	v_fmac_f32_e32 v6, v13, v7
	v_fmac_f32_e32 v6, v14, v10
	;; [unrolled: 1-line block ×3, first 2 shown]
	v_cmp_eq_u32_e32 vcc, 1, v62
	v_add_f32_e32 v10, 0x358637bd, v6
	v_cndmask_b32_e32 v12, v12, v13, vcc
	v_cmp_eq_u32_e32 vcc, 2, v62
	v_div_scale_f32 v11, s[4:5], v10, v10, 1.0
	v_cndmask_b32_e32 v7, v12, v14, vcc
	v_rcp_f32_e32 v12, v11
	v_cmp_eq_u32_e32 vcc, 3, v62
	v_cndmask_b32_e32 v7, v7, v15, vcc
	v_div_scale_f32 v13, vcc, 1.0, v10, 1.0
	v_fma_f32 v14, -v11, v12, 1.0
	v_fmac_f32_e32 v12, v14, v12
	v_mul_f32_e32 v14, v13, v12
	v_fma_f32 v15, -v11, v14, v13
	v_fmac_f32_e32 v14, v15, v12
	v_fma_f32 v11, -v11, v14, v13
	v_div_fmas_f32 v11, v11, v12, v14
	v_div_fixup_f32 v10, v11, v10, 1.0
	v_mul_f32_e32 v10, v7, v10
	s_mul_i32 s18, s51, 14
	v_cmp_gt_u32_e32 vcc, 14, v0
	s_waitcnt vmcnt(14)
	v_pk_mul_f32 v[14:15], v[10:11], v[20:21] op_sel_hi:[0,1]
	v_cvt_f16_f32_e32 v7, v14
	s_waitcnt vmcnt(12)
	v_pk_mul_f32 v[12:13], v[10:11], v[22:23] op_sel_hi:[0,1]
	buffer_store_dword v14, off, s[0:3], 0 offset:256
	buffer_store_dword v15, off, s[0:3], 0 offset:260
	;; [unrolled: 1-line block ×3, first 2 shown]
	s_waitcnt vmcnt(13)
	v_pk_mul_f32 v[20:21], v[10:11], v[24:25] op_sel_hi:[0,1]
	v_cvt_f16_f32_e32 v14, v12
	s_waitcnt vmcnt(11)
	v_pk_mul_f32 v[22:23], v[10:11], v[26:27] op_sel_hi:[0,1]
	v_cvt_f16_f32_e32 v11, v15
	v_cvt_f16_f32_e32 v15, v13
	buffer_store_dword v13, off, s[0:3], 0 offset:268
	buffer_store_dword v22, off, s[0:3], 0 offset:272
	;; [unrolled: 1-line block ×3, first 2 shown]
	v_pack_b32_f16 v12, v7, v11
	v_cvt_f16_f32_e32 v11, v23
	v_pack_b32_f16 v13, v14, v15
	v_cvt_f16_f32_e32 v7, v22
	v_cvt_f16_f32_e32 v15, v20
	;; [unrolled: 1-line block ×3, first 2 shown]
	s_waitcnt vmcnt(12)
	v_pk_mul_f32 v[4:5], v[10:11], v[4:5] op_sel_hi:[0,1]
	v_pack_b32_f16 v14, v7, v11
	s_waitcnt vmcnt(10)
	v_pk_mul_f32 v[2:3], v[10:11], v[2:3] op_sel_hi:[0,1]
	v_pack_b32_f16 v15, v15, v22
	v_cvt_f16_f32_e32 v11, v5
	buffer_store_dword v20, off, s[0:3], 0 offset:280
	buffer_store_dword v21, off, s[0:3], 0 offset:284
	ds_write2st64_b64 v43, v[12:13], v[14:15] offset1:1
	buffer_store_dword v2, off, s[0:3], 0 offset:288
	buffer_store_dword v3, off, s[0:3], 0 offset:292
	v_cvt_f16_f32_e32 v2, v2
	v_cvt_f16_f32_e32 v3, v3
	;; [unrolled: 1-line block ×3, first 2 shown]
	buffer_store_dword v4, off, s[0:3], 0 offset:296
	buffer_store_dword v5, off, s[0:3], 0 offset:300
	s_waitcnt vmcnt(12)
	v_pk_mul_f32 v[4:5], v[10:11], v[16:17] op_sel_hi:[0,1]
	v_pk_mul_f32 v[8:9], v[10:11], v[8:9] op_sel_hi:[0,1]
	v_pack_b32_f16 v2, v2, v3
	v_pack_b32_f16 v3, v7, v11
	buffer_store_dword v8, off, s[0:3], 0 offset:304
	buffer_store_dword v9, off, s[0:3], 0 offset:308
	v_cvt_f16_f32_e32 v7, v8
	v_cvt_f16_f32_e32 v8, v9
	;; [unrolled: 1-line block ×4, first 2 shown]
	buffer_store_dword v4, off, s[0:3], 0 offset:312
	buffer_store_dword v5, off, s[0:3], 0 offset:316
	v_pack_b32_f16 v4, v7, v8
	v_pack_b32_f16 v5, v9, v10
	ds_write2st64_b64 v43, v[2:3], v[4:5] offset0:2 offset1:3
	s_and_saveexec_b64 s[4:5], vcc
	s_cbranch_execz .LBB635_209
; %bb.208:
	v_add_co_u32_e32 v4, vcc, s25, v55
	v_addc_co_u32_e64 v5, s[6:7], 0, 0, vcc
	v_mov_b32_e32 v2, s18
	v_mad_u64_u32 v[4:5], s[6:7], s8, v2, v[4:5]
	v_mov_b32_e32 v3, 0
	s_mul_i32 s6, s9, s18
	v_mov_b32_e32 v2, s24
	v_add_u32_e32 v5, s6, v5
	v_mad_u64_u32 v[2:3], s[6:7], v4, s50, v[2:3]
	v_mov_b32_e32 v4, v3
	v_mad_u64_u32 v[4:5], s[6:7], v5, s50, v[4:5]
	v_mov_b32_e32 v3, v4
	v_lshlrev_b64 v[2:3], 2, v[2:3]
	v_mov_b32_e32 v5, s47
	v_add_co_u32_e32 v4, vcc, s46, v2
	v_addc_co_u32_e32 v5, vcc, v5, v3, vcc
	global_store_dword v[4:5], v19, off
	v_mov_b32_e32 v4, s45
	v_add_co_u32_e32 v2, vcc, s44, v2
	v_addc_co_u32_e32 v3, vcc, v4, v3, vcc
	global_store_dword v[2:3], v6, off
.LBB635_209:
	s_or_b64 exec, exec, s[4:5]
	v_lshl_or_b32 v30, v1, 9, v18
	s_waitcnt lgkmcnt(0)
	s_barrier
	s_load_dword s4, s[42:43], 0x0
	ds_read_b128 v[2:5], v30
	ds_read_b128 v[6:9], v30 offset:16
	ds_read_b128 v[10:13], v30 offset:2048
	;; [unrolled: 1-line block ×7, first 2 shown]
	v_mov_b32_e32 v35, 0x80
	v_mov_b32_e32 v45, 0x140
	s_mov_b64 s[10:11], -1
	s_waitcnt lgkmcnt(0)
	s_mov_b32 s5, s4
	s_mov_b32 s6, s4
	;; [unrolled: 1-line block ×3, first 2 shown]
	s_movk_i32 s9, 0x80
	s_movk_i32 s19, 0x7f
	s_mov_b32 s20, 0xffffff
	v_mov_b32_e32 v47, 0
	v_bfrev_b32_e32 v48, 60
	s_branch .LBB635_213
.LBB635_210:                            ;   in Loop: Header=BB635_213 Depth=1
	s_or_b64 exec, exec, s[16:17]
.LBB635_211:                            ;   in Loop: Header=BB635_213 Depth=1
	s_or_b64 exec, exec, s[14:15]
.LBB635_212:                            ;   in Loop: Header=BB635_213 Depth=1
	s_or_b64 exec, exec, s[12:13]
	v_cvt_pkrtz_f16_f32 v60, v46, v49
	v_cvt_pkrtz_f16_f32 v61, v44, v51
	s_xor_b64 s[12:13], s[10:11], -1
	s_mov_b64 s[10:11], 0
	v_mov_b32_e32 v59, v58
	v_mfma_f32_16x16x16f16 v[62:65], v[60:61], v[30:31], v[34:37]
	v_mov_b32_e32 v61, v41
	v_mov_b32_e32 v60, v57
	s_and_b64 vcc, exec, s[12:13]
	s_nop 3
	v_cvt_pkrtz_f16_f32 v36, v50, v52
	v_cvt_pkrtz_f16_f32 v37, v42, v53
	v_mov_b32_e32 v35, v39
	s_nop 0
	v_mfma_f32_16x16x16f16 v[50:53], v[36:37], v[32:33], v[62:65]
	s_nop 7
	s_nop 2
	v_pk_mul_f32 v[50:51], v[50:51], s[4:5]
	v_pk_mul_f32 v[36:37], v[52:53], s[6:7]
	v_cvt_f16_f32_e32 v34, v50
	v_cvt_f16_f32_e32 v38, v51
	;; [unrolled: 1-line block ×4, first 2 shown]
	v_pack_b32_f16 v34, v34, v38
	v_pack_b32_f16 v36, v36, v37
	buffer_store_dword v34, v45, s[0:3], 0 offen
	buffer_store_dword v36, v45, s[0:3], 0 offen offset:4
	v_mov_b32_e32 v45, 0x148
	s_cbranch_vccnz .LBB635_595
.LBB635_213:                            ; =>This Inner Loop Header: Depth=1
	buffer_load_dword v36, v35, s[0:3], 0 offen
	buffer_load_dword v34, v35, s[0:3], 0 offen offset:4
	buffer_load_dword v40, v35, s[0:3], 0 offen offset:8
	;; [unrolled: 1-line block ×3, first 2 shown]
	v_mov_b32_e32 v35, 0
	s_waitcnt vmcnt(3)
	v_cmp_ne_u16_sdwa s[14:15], v36, v47 src0_sel:BYTE_0 src1_sel:DWORD
	s_and_saveexec_b64 s[12:13], s[14:15]
	s_cbranch_execz .LBB635_219
; %bb.214:                              ;   in Loop: Header=BB635_213 Depth=1
	v_cmp_ne_u16_sdwa s[16:17], v36, s9 src0_sel:BYTE_0 src1_sel:DWORD
	v_bfrev_b32_e32 v35, 1
	s_and_saveexec_b64 s[14:15], s[16:17]
	s_cbranch_execz .LBB635_218
; %bb.215:                              ;   in Loop: Header=BB635_213 Depth=1
	v_and_b32_e32 v37, 0x7f, v36
	v_cmp_ne_u32_e32 vcc, s19, v37
	v_mov_b32_e32 v35, 0x7f800001
	s_and_saveexec_b64 s[16:17], vcc
	s_cbranch_execz .LBB635_217
; %bb.216:                              ;   in Loop: Header=BB635_213 Depth=1
	v_and_b32_e32 v35, 7, v36
	v_ffbh_u32_e32 v44, v35
	v_min_u32_e32 v44, 32, v44
	v_subrev_u32_e32 v46, 28, v44
	v_lshlrev_b64 v[50:51], v46, v[36:37]
	v_lshrrev_b32_e32 v42, 3, v37
	v_sub_u32_e32 v44, 29, v44
	v_and_b32_e32 v46, 7, v50
	v_cmp_gt_u32_e32 vcc, 8, v37
	v_cndmask_b32_e32 v37, v42, v44, vcc
	v_cndmask_b32_e32 v35, v35, v46, vcc
	v_lshlrev_b32_e32 v42, 24, v36
	v_lshlrev_b32_e32 v35, 20, v35
	v_and_b32_e32 v42, 0x80000000, v42
	v_lshl_add_u32 v37, v37, 23, v48
	v_or3_b32 v35, v42, v37, v35
.LBB635_217:                            ;   in Loop: Header=BB635_213 Depth=1
	s_or_b64 exec, exec, s[16:17]
.LBB635_218:                            ;   in Loop: Header=BB635_213 Depth=1
	s_or_b64 exec, exec, s[14:15]
.LBB635_219:                            ;   in Loop: Header=BB635_213 Depth=1
	s_or_b64 exec, exec, s[12:13]
	v_lshrrev_b16_e32 v42, 8, v36
	v_cmp_ne_u16_e32 vcc, 0, v42
	v_mov_b32_e32 v37, 0
	s_and_saveexec_b64 s[12:13], vcc
	s_cbranch_execz .LBB635_225
; %bb.220:                              ;   in Loop: Header=BB635_213 Depth=1
	v_cmp_ne_u16_e32 vcc, s9, v42
	v_bfrev_b32_e32 v37, 1
	s_and_saveexec_b64 s[14:15], vcc
	s_cbranch_execz .LBB635_224
; %bb.221:                              ;   in Loop: Header=BB635_213 Depth=1
	v_and_b32_e32 v44, 0x7f, v42
	v_cmp_ne_u32_e32 vcc, s19, v44
	v_mov_b32_e32 v37, 0x7f800001
	s_and_saveexec_b64 s[16:17], vcc
	s_cbranch_execz .LBB635_223
; %bb.222:                              ;   in Loop: Header=BB635_213 Depth=1
	v_and_b32_e32 v37, 7, v42
	v_ffbh_u32_e32 v49, v37
	v_min_u32_e32 v49, 32, v49
	v_subrev_u32_e32 v50, 28, v49
	v_lshlrev_b64 v[50:51], v50, v[42:43]
	v_lshrrev_b32_e32 v46, 3, v44
	v_sub_u32_e32 v42, 29, v49
	v_and_b32_e32 v49, 7, v50
	v_cmp_gt_u32_e32 vcc, 8, v44
	v_cndmask_b32_e32 v42, v46, v42, vcc
	v_cndmask_b32_e32 v37, v37, v49, vcc
	v_lshlrev_b32_e32 v44, 16, v36
	v_lshlrev_b32_e32 v37, 20, v37
	v_and_b32_e32 v44, 0x80000000, v44
	v_lshl_add_u32 v42, v42, 23, v48
	v_or3_b32 v37, v44, v42, v37
.LBB635_223:                            ;   in Loop: Header=BB635_213 Depth=1
	s_or_b64 exec, exec, s[16:17]
.LBB635_224:                            ;   in Loop: Header=BB635_213 Depth=1
	s_or_b64 exec, exec, s[14:15]
.LBB635_225:                            ;   in Loop: Header=BB635_213 Depth=1
	s_or_b64 exec, exec, s[12:13]
	v_lshrrev_b32_e32 v42, 16, v36
	v_cmp_ne_u16_sdwa s[14:15], v42, v47 src0_sel:BYTE_0 src1_sel:DWORD
	v_mov_b32_e32 v46, 0
	v_mov_b32_e32 v44, 0
	s_and_saveexec_b64 s[12:13], s[14:15]
	s_cbranch_execz .LBB635_231
; %bb.226:                              ;   in Loop: Header=BB635_213 Depth=1
	v_cmp_ne_u16_sdwa s[16:17], v42, s9 src0_sel:BYTE_0 src1_sel:DWORD
	v_bfrev_b32_e32 v44, 1
	s_and_saveexec_b64 s[14:15], s[16:17]
	s_cbranch_execz .LBB635_230
; %bb.227:                              ;   in Loop: Header=BB635_213 Depth=1
	v_bfe_u32 v49, v36, 16, 7
	v_cmp_ne_u32_e32 vcc, s19, v49
	v_mov_b32_e32 v44, 0x7f800001
	s_and_saveexec_b64 s[16:17], vcc
	s_cbranch_execz .LBB635_229
; %bb.228:                              ;   in Loop: Header=BB635_213 Depth=1
	v_and_b32_e32 v44, 7, v42
	v_ffbh_u32_e32 v50, v44
	v_min_u32_e32 v53, 32, v50
	v_subrev_u32_e32 v50, 28, v53
	v_lshlrev_b64 v[50:51], v50, v[42:43]
	v_lshrrev_b32_e32 v52, 3, v49
	v_sub_u32_e32 v51, 29, v53
	v_and_b32_e32 v50, 7, v50
	v_cmp_gt_u32_e32 vcc, 8, v49
	v_cndmask_b32_e32 v49, v52, v51, vcc
	v_cndmask_b32_e32 v44, v44, v50, vcc
	v_lshlrev_b32_e32 v42, 24, v42
	v_lshlrev_b32_e32 v44, 20, v44
	v_and_b32_e32 v42, 0x80000000, v42
	v_lshl_add_u32 v49, v49, 23, v48
	v_or3_b32 v44, v42, v49, v44
.LBB635_229:                            ;   in Loop: Header=BB635_213 Depth=1
	s_or_b64 exec, exec, s[16:17]
.LBB635_230:                            ;   in Loop: Header=BB635_213 Depth=1
	s_or_b64 exec, exec, s[14:15]
.LBB635_231:                            ;   in Loop: Header=BB635_213 Depth=1
	s_or_b64 exec, exec, s[12:13]
	v_cmp_lt_u32_e32 vcc, s20, v36
	s_and_saveexec_b64 s[12:13], vcc
	s_cbranch_execz .LBB635_237
; %bb.232:                              ;   in Loop: Header=BB635_213 Depth=1
	v_lshrrev_b32_e32 v42, 24, v36
	v_cmp_ne_u32_e32 vcc, s9, v42
	v_bfrev_b32_e32 v46, 1
	s_and_saveexec_b64 s[14:15], vcc
	s_cbranch_execz .LBB635_236
; %bb.233:                              ;   in Loop: Header=BB635_213 Depth=1
	v_bfe_u32 v36, v36, 24, 7
	v_cmp_ne_u32_e32 vcc, s19, v36
	v_mov_b32_e32 v46, 0x7f800001
	s_and_saveexec_b64 s[16:17], vcc
	s_cbranch_execz .LBB635_235
; %bb.234:                              ;   in Loop: Header=BB635_213 Depth=1
	v_and_b32_e32 v46, 7, v42
	v_ffbh_u32_e32 v50, v46
	v_min_u32_e32 v52, 32, v50
	v_subrev_u32_e32 v50, 28, v52
	v_lshlrev_b64 v[50:51], v50, v[42:43]
	v_lshrrev_b32_e32 v49, 3, v36
	v_sub_u32_e32 v51, 29, v52
	v_and_b32_e32 v50, 7, v50
	v_cmp_gt_u32_e32 vcc, 8, v36
	v_cndmask_b32_e32 v36, v49, v51, vcc
	v_cndmask_b32_e32 v46, v46, v50, vcc
	v_lshlrev_b32_e32 v42, 24, v42
	v_lshlrev_b32_e32 v46, 20, v46
	v_and_b32_e32 v42, 0x80000000, v42
	v_lshl_add_u32 v36, v36, 23, v48
	v_or3_b32 v46, v42, v36, v46
.LBB635_235:                            ;   in Loop: Header=BB635_213 Depth=1
	s_or_b64 exec, exec, s[16:17]
.LBB635_236:                            ;   in Loop: Header=BB635_213 Depth=1
	s_or_b64 exec, exec, s[14:15]
.LBB635_237:                            ;   in Loop: Header=BB635_213 Depth=1
	s_or_b64 exec, exec, s[12:13]
	s_waitcnt vmcnt(2)
	v_cmp_ne_u16_sdwa s[14:15], v34, v47 src0_sel:BYTE_0 src1_sel:DWORD
	v_mov_b32_e32 v42, 0
	v_mov_b32_e32 v49, 0
	s_and_saveexec_b64 s[12:13], s[14:15]
	s_cbranch_execz .LBB635_243
; %bb.238:                              ;   in Loop: Header=BB635_213 Depth=1
	v_cmp_ne_u16_sdwa s[16:17], v34, s9 src0_sel:BYTE_0 src1_sel:DWORD
	v_bfrev_b32_e32 v49, 1
	s_and_saveexec_b64 s[14:15], s[16:17]
	s_cbranch_execz .LBB635_242
; %bb.239:                              ;   in Loop: Header=BB635_213 Depth=1
	v_and_b32_e32 v36, 0x7f, v34
	v_cmp_ne_u32_e32 vcc, s19, v36
	v_mov_b32_e32 v49, 0x7f800001
	s_and_saveexec_b64 s[16:17], vcc
	s_cbranch_execz .LBB635_241
; %bb.240:                              ;   in Loop: Header=BB635_213 Depth=1
	v_and_b32_e32 v49, 7, v34
	v_ffbh_u32_e32 v50, v49
	v_min_u32_e32 v53, 32, v50
	v_subrev_u32_e32 v50, 28, v53
	v_lshlrev_b64 v[50:51], v50, v[34:35]
	v_lshrrev_b32_e32 v52, 3, v36
	v_sub_u32_e32 v51, 29, v53
	v_and_b32_e32 v50, 7, v50
	v_cmp_gt_u32_e32 vcc, 8, v36
	v_cndmask_b32_e32 v36, v52, v51, vcc
	v_cndmask_b32_e32 v49, v49, v50, vcc
	v_lshlrev_b32_e32 v50, 24, v34
	v_lshlrev_b32_e32 v49, 20, v49
	v_and_b32_e32 v50, 0x80000000, v50
	v_lshl_add_u32 v36, v36, 23, v48
	v_or3_b32 v49, v50, v36, v49
.LBB635_241:                            ;   in Loop: Header=BB635_213 Depth=1
	s_or_b64 exec, exec, s[16:17]
.LBB635_242:                            ;   in Loop: Header=BB635_213 Depth=1
	s_or_b64 exec, exec, s[14:15]
.LBB635_243:                            ;   in Loop: Header=BB635_213 Depth=1
	s_or_b64 exec, exec, s[12:13]
	v_lshrrev_b16_e32 v36, 8, v34
	v_cmp_ne_u16_e32 vcc, 0, v36
	s_and_saveexec_b64 s[12:13], vcc
	s_cbranch_execz .LBB635_249
; %bb.244:                              ;   in Loop: Header=BB635_213 Depth=1
	v_cmp_ne_u16_e32 vcc, s9, v36
	v_bfrev_b32_e32 v42, 1
	s_and_saveexec_b64 s[14:15], vcc
	s_cbranch_execz .LBB635_248
; %bb.245:                              ;   in Loop: Header=BB635_213 Depth=1
	v_and_b32_e32 v50, 0x7f, v36
	v_cmp_ne_u32_e32 vcc, s19, v50
	v_mov_b32_e32 v42, 0x7f800001
	s_and_saveexec_b64 s[16:17], vcc
	s_cbranch_execz .LBB635_247
; %bb.246:                              ;   in Loop: Header=BB635_213 Depth=1
	v_and_b32_e32 v42, 7, v36
	v_ffbh_u32_e32 v52, v42
	v_min_u32_e32 v62, 32, v52
	v_subrev_u32_e32 v52, 28, v62
	v_lshlrev_b64 v[52:53], v52, v[36:37]
	v_lshrrev_b32_e32 v51, 3, v50
	v_sub_u32_e32 v36, 29, v62
	v_and_b32_e32 v52, 7, v52
	v_cmp_gt_u32_e32 vcc, 8, v50
	v_cndmask_b32_e32 v36, v51, v36, vcc
	v_cndmask_b32_e32 v42, v42, v52, vcc
	v_lshlrev_b32_e32 v50, 16, v34
	v_lshlrev_b32_e32 v42, 20, v42
	v_and_b32_e32 v50, 0x80000000, v50
	v_lshl_add_u32 v36, v36, 23, v48
	v_or3_b32 v42, v50, v36, v42
.LBB635_247:                            ;   in Loop: Header=BB635_213 Depth=1
	s_or_b64 exec, exec, s[16:17]
.LBB635_248:                            ;   in Loop: Header=BB635_213 Depth=1
	s_or_b64 exec, exec, s[14:15]
.LBB635_249:                            ;   in Loop: Header=BB635_213 Depth=1
	s_or_b64 exec, exec, s[12:13]
	v_lshrrev_b32_e32 v36, 16, v34
	v_cmp_ne_u16_sdwa s[14:15], v36, v47 src0_sel:BYTE_0 src1_sel:DWORD
	v_mov_b32_e32 v51, 0
	v_mov_b32_e32 v50, 0
	s_and_saveexec_b64 s[12:13], s[14:15]
	s_cbranch_execz .LBB635_255
; %bb.250:                              ;   in Loop: Header=BB635_213 Depth=1
	v_cmp_ne_u16_sdwa s[16:17], v36, s9 src0_sel:BYTE_0 src1_sel:DWORD
	v_bfrev_b32_e32 v50, 1
	s_and_saveexec_b64 s[14:15], s[16:17]
	s_cbranch_execz .LBB635_254
; %bb.251:                              ;   in Loop: Header=BB635_213 Depth=1
	v_bfe_u32 v52, v34, 16, 7
	v_cmp_ne_u32_e32 vcc, s19, v52
	v_mov_b32_e32 v50, 0x7f800001
	s_and_saveexec_b64 s[16:17], vcc
	s_cbranch_execz .LBB635_253
; %bb.252:                              ;   in Loop: Header=BB635_213 Depth=1
	v_and_b32_e32 v50, 7, v36
	v_ffbh_u32_e32 v62, v50
	v_min_u32_e32 v64, 32, v62
	v_subrev_u32_e32 v62, 28, v64
	v_lshlrev_b64 v[62:63], v62, v[36:37]
	v_lshrrev_b32_e32 v53, 3, v52
	v_sub_u32_e32 v63, 29, v64
	v_and_b32_e32 v62, 7, v62
	v_cmp_gt_u32_e32 vcc, 8, v52
	v_cndmask_b32_e32 v52, v53, v63, vcc
	v_cndmask_b32_e32 v50, v50, v62, vcc
	v_lshlrev_b32_e32 v36, 24, v36
	v_lshlrev_b32_e32 v50, 20, v50
	v_and_b32_e32 v36, 0x80000000, v36
	v_lshl_add_u32 v52, v52, 23, v48
	v_or3_b32 v50, v36, v52, v50
.LBB635_253:                            ;   in Loop: Header=BB635_213 Depth=1
	s_or_b64 exec, exec, s[16:17]
.LBB635_254:                            ;   in Loop: Header=BB635_213 Depth=1
	s_or_b64 exec, exec, s[14:15]
.LBB635_255:                            ;   in Loop: Header=BB635_213 Depth=1
	s_or_b64 exec, exec, s[12:13]
	v_cmp_lt_u32_e32 vcc, s20, v34
	s_and_saveexec_b64 s[12:13], vcc
	s_cbranch_execz .LBB635_261
; %bb.256:                              ;   in Loop: Header=BB635_213 Depth=1
	v_lshrrev_b32_e32 v36, 24, v34
	v_cmp_ne_u32_e32 vcc, s9, v36
	v_bfrev_b32_e32 v51, 1
	s_and_saveexec_b64 s[14:15], vcc
	s_cbranch_execz .LBB635_260
; %bb.257:                              ;   in Loop: Header=BB635_213 Depth=1
	v_bfe_u32 v34, v34, 24, 7
	v_cmp_ne_u32_e32 vcc, s19, v34
	v_mov_b32_e32 v51, 0x7f800001
	s_and_saveexec_b64 s[16:17], vcc
	s_cbranch_execz .LBB635_259
; %bb.258:                              ;   in Loop: Header=BB635_213 Depth=1
	v_and_b32_e32 v51, 7, v36
	v_ffbh_u32_e32 v52, v51
	v_min_u32_e32 v63, 32, v52
	v_subrev_u32_e32 v52, 28, v63
	v_lshlrev_b64 v[52:53], v52, v[36:37]
	v_lshrrev_b32_e32 v62, 3, v34
	v_sub_u32_e32 v53, 29, v63
	v_and_b32_e32 v52, 7, v52
	v_cmp_gt_u32_e32 vcc, 8, v34
	v_cndmask_b32_e32 v34, v62, v53, vcc
	v_cndmask_b32_e32 v51, v51, v52, vcc
	v_lshlrev_b32_e32 v36, 24, v36
	v_lshlrev_b32_e32 v51, 20, v51
	v_and_b32_e32 v36, 0x80000000, v36
	v_lshl_add_u32 v34, v34, 23, v48
	v_or3_b32 v51, v36, v34, v51
.LBB635_259:                            ;   in Loop: Header=BB635_213 Depth=1
	s_or_b64 exec, exec, s[16:17]
.LBB635_260:                            ;   in Loop: Header=BB635_213 Depth=1
	s_or_b64 exec, exec, s[14:15]
.LBB635_261:                            ;   in Loop: Header=BB635_213 Depth=1
	s_or_b64 exec, exec, s[12:13]
	v_cvt_pkrtz_f16_f32 v34, v35, v37
	v_cvt_pkrtz_f16_f32 v35, v44, v46
	v_cvt_pkrtz_f16_f32 v52, v49, v42
	v_cvt_pkrtz_f16_f32 v53, v50, v51
	v_mov_b32_e32 v44, 0
	v_mfma_f32_16x16x16f16 v[34:37], v[34:35], v[2:3], 0
	s_waitcnt vmcnt(1)
	v_cmp_ne_u16_sdwa s[14:15], v40, v47 src0_sel:BYTE_0 src1_sel:DWORD
	v_mov_b32_e32 v46, 0
	v_mfma_f32_16x16x16f16 v[34:37], v[52:53], v[4:5], v[34:37]
	s_and_saveexec_b64 s[12:13], s[14:15]
	s_cbranch_execz .LBB635_267
; %bb.262:                              ;   in Loop: Header=BB635_213 Depth=1
	v_cmp_ne_u16_sdwa s[16:17], v40, s9 src0_sel:BYTE_0 src1_sel:DWORD
	v_bfrev_b32_e32 v46, 1
	s_and_saveexec_b64 s[14:15], s[16:17]
	s_cbranch_execz .LBB635_266
; %bb.263:                              ;   in Loop: Header=BB635_213 Depth=1
	v_and_b32_e32 v42, 0x7f, v40
	v_cmp_ne_u32_e32 vcc, s19, v42
	v_mov_b32_e32 v46, 0x7f800001
	s_and_saveexec_b64 s[16:17], vcc
	s_cbranch_execz .LBB635_265
; %bb.264:                              ;   in Loop: Header=BB635_213 Depth=1
	v_and_b32_e32 v46, 7, v40
	v_ffbh_u32_e32 v50, v46
	v_min_u32_e32 v52, 32, v50
	v_subrev_u32_e32 v50, 28, v52
	v_lshlrev_b64 v[50:51], v50, v[40:41]
	v_lshrrev_b32_e32 v49, 3, v42
	v_sub_u32_e32 v51, 29, v52
	v_and_b32_e32 v50, 7, v50
	v_cmp_gt_u32_e32 vcc, 8, v42
	v_cndmask_b32_e32 v42, v49, v51, vcc
	v_cndmask_b32_e32 v46, v46, v50, vcc
	v_lshlrev_b32_e32 v49, 24, v40
	v_lshlrev_b32_e32 v46, 20, v46
	v_and_b32_e32 v49, 0x80000000, v49
	v_lshl_add_u32 v42, v42, 23, v48
	v_or3_b32 v46, v49, v42, v46
.LBB635_265:                            ;   in Loop: Header=BB635_213 Depth=1
	s_or_b64 exec, exec, s[16:17]
.LBB635_266:                            ;   in Loop: Header=BB635_213 Depth=1
	s_or_b64 exec, exec, s[14:15]
.LBB635_267:                            ;   in Loop: Header=BB635_213 Depth=1
	s_or_b64 exec, exec, s[12:13]
	v_lshrrev_b16_e32 v42, 8, v40
	v_cmp_ne_u16_e32 vcc, 0, v42
	v_mov_b32_e32 v50, 0
	s_and_saveexec_b64 s[12:13], vcc
	s_cbranch_execz .LBB635_273
; %bb.268:                              ;   in Loop: Header=BB635_213 Depth=1
	v_cmp_ne_u16_e32 vcc, s9, v42
	v_bfrev_b32_e32 v50, 1
	s_and_saveexec_b64 s[14:15], vcc
	s_cbranch_execz .LBB635_272
; %bb.269:                              ;   in Loop: Header=BB635_213 Depth=1
	v_and_b32_e32 v49, 0x7f, v42
	v_cmp_ne_u32_e32 vcc, s19, v49
	v_mov_b32_e32 v50, 0x7f800001
	s_and_saveexec_b64 s[16:17], vcc
	s_cbranch_execz .LBB635_271
; %bb.270:                              ;   in Loop: Header=BB635_213 Depth=1
	v_and_b32_e32 v52, 7, v42
	v_ffbh_u32_e32 v50, v52
	v_min_u32_e32 v62, 32, v50
	v_subrev_u32_e32 v50, 28, v62
	v_lshlrev_b64 v[50:51], v50, v[42:43]
	v_lshrrev_b32_e32 v53, 3, v49
	v_sub_u32_e32 v42, 29, v62
	v_and_b32_e32 v50, 7, v50
	v_cmp_gt_u32_e32 vcc, 8, v49
	v_cndmask_b32_e32 v42, v53, v42, vcc
	v_cndmask_b32_e32 v49, v52, v50, vcc
	v_lshlrev_b32_e32 v50, 16, v40
	v_lshlrev_b32_e32 v49, 20, v49
	v_and_b32_e32 v50, 0x80000000, v50
	v_lshl_add_u32 v42, v42, 23, v48
	v_or3_b32 v50, v50, v42, v49
.LBB635_271:                            ;   in Loop: Header=BB635_213 Depth=1
	s_or_b64 exec, exec, s[16:17]
.LBB635_272:                            ;   in Loop: Header=BB635_213 Depth=1
	s_or_b64 exec, exec, s[14:15]
.LBB635_273:                            ;   in Loop: Header=BB635_213 Depth=1
	s_or_b64 exec, exec, s[12:13]
	v_lshrrev_b32_e32 v42, 16, v40
	v_cmp_ne_u16_sdwa s[14:15], v42, v47 src0_sel:BYTE_0 src1_sel:DWORD
	s_and_saveexec_b64 s[12:13], s[14:15]
	s_cbranch_execz .LBB635_279
; %bb.274:                              ;   in Loop: Header=BB635_213 Depth=1
	v_cmp_ne_u16_sdwa s[16:17], v42, s9 src0_sel:BYTE_0 src1_sel:DWORD
	v_bfrev_b32_e32 v44, 1
	s_and_saveexec_b64 s[14:15], s[16:17]
	s_cbranch_execz .LBB635_278
; %bb.275:                              ;   in Loop: Header=BB635_213 Depth=1
	v_bfe_u32 v49, v40, 16, 7
	v_cmp_ne_u32_e32 vcc, s19, v49
	v_mov_b32_e32 v44, 0x7f800001
	s_and_saveexec_b64 s[16:17], vcc
	s_cbranch_execz .LBB635_277
; %bb.276:                              ;   in Loop: Header=BB635_213 Depth=1
	v_and_b32_e32 v44, 7, v42
	v_ffbh_u32_e32 v52, v44
	v_min_u32_e32 v62, 32, v52
	v_subrev_u32_e32 v52, 28, v62
	v_lshlrev_b64 v[52:53], v52, v[42:43]
	v_lshrrev_b32_e32 v51, 3, v49
	v_sub_u32_e32 v53, 29, v62
	v_and_b32_e32 v52, 7, v52
	v_cmp_gt_u32_e32 vcc, 8, v49
	v_cndmask_b32_e32 v49, v51, v53, vcc
	v_cndmask_b32_e32 v44, v44, v52, vcc
	v_lshlrev_b32_e32 v42, 24, v42
	v_lshlrev_b32_e32 v44, 20, v44
	v_and_b32_e32 v42, 0x80000000, v42
	v_lshl_add_u32 v49, v49, 23, v48
	v_or3_b32 v44, v42, v49, v44
.LBB635_277:                            ;   in Loop: Header=BB635_213 Depth=1
	s_or_b64 exec, exec, s[16:17]
.LBB635_278:                            ;   in Loop: Header=BB635_213 Depth=1
	s_or_b64 exec, exec, s[14:15]
.LBB635_279:                            ;   in Loop: Header=BB635_213 Depth=1
	s_or_b64 exec, exec, s[12:13]
	v_cmp_lt_u32_e32 vcc, s20, v40
	v_mov_b32_e32 v51, 0
	v_mov_b32_e32 v52, 0
	s_and_saveexec_b64 s[12:13], vcc
	s_cbranch_execz .LBB635_285
; %bb.280:                              ;   in Loop: Header=BB635_213 Depth=1
	v_lshrrev_b32_e32 v42, 24, v40
	v_cmp_ne_u32_e32 vcc, s9, v42
	v_bfrev_b32_e32 v52, 1
	s_and_saveexec_b64 s[14:15], vcc
	s_cbranch_execz .LBB635_284
; %bb.281:                              ;   in Loop: Header=BB635_213 Depth=1
	v_bfe_u32 v40, v40, 24, 7
	v_cmp_ne_u32_e32 vcc, s19, v40
	v_mov_b32_e32 v52, 0x7f800001
	s_and_saveexec_b64 s[16:17], vcc
	s_cbranch_execz .LBB635_283
; %bb.282:                              ;   in Loop: Header=BB635_213 Depth=1
	v_and_b32_e32 v49, 7, v42
	v_ffbh_u32_e32 v52, v49
	v_min_u32_e32 v63, 32, v52
	v_subrev_u32_e32 v52, 28, v63
	v_lshlrev_b64 v[52:53], v52, v[42:43]
	v_lshrrev_b32_e32 v62, 3, v40
	v_sub_u32_e32 v53, 29, v63
	v_and_b32_e32 v52, 7, v52
	v_cmp_gt_u32_e32 vcc, 8, v40
	v_cndmask_b32_e32 v40, v62, v53, vcc
	v_cndmask_b32_e32 v49, v49, v52, vcc
	v_lshlrev_b32_e32 v42, 24, v42
	v_lshlrev_b32_e32 v49, 20, v49
	v_and_b32_e32 v42, 0x80000000, v42
	v_lshl_add_u32 v40, v40, 23, v48
	v_or3_b32 v52, v42, v40, v49
.LBB635_283:                            ;   in Loop: Header=BB635_213 Depth=1
	s_or_b64 exec, exec, s[16:17]
.LBB635_284:                            ;   in Loop: Header=BB635_213 Depth=1
	s_or_b64 exec, exec, s[14:15]
.LBB635_285:                            ;   in Loop: Header=BB635_213 Depth=1
	s_or_b64 exec, exec, s[12:13]
	s_waitcnt vmcnt(0)
	v_cmp_ne_u16_sdwa s[14:15], v38, v47 src0_sel:BYTE_0 src1_sel:DWORD
	s_and_saveexec_b64 s[12:13], s[14:15]
	s_cbranch_execz .LBB635_291
; %bb.286:                              ;   in Loop: Header=BB635_213 Depth=1
	v_cmp_ne_u16_sdwa s[16:17], v38, s9 src0_sel:BYTE_0 src1_sel:DWORD
	v_bfrev_b32_e32 v51, 1
	s_and_saveexec_b64 s[14:15], s[16:17]
	s_cbranch_execz .LBB635_290
; %bb.287:                              ;   in Loop: Header=BB635_213 Depth=1
	v_and_b32_e32 v40, 0x7f, v38
	v_cmp_ne_u32_e32 vcc, s19, v40
	v_mov_b32_e32 v51, 0x7f800001
	s_and_saveexec_b64 s[16:17], vcc
	s_cbranch_execz .LBB635_289
; %bb.288:                              ;   in Loop: Header=BB635_213 Depth=1
	v_and_b32_e32 v42, 7, v38
	v_ffbh_u32_e32 v51, v42
	v_min_u32_e32 v51, 32, v51
	v_subrev_u32_e32 v53, 28, v51
	v_lshlrev_b64 v[62:63], v53, v[38:39]
	v_lshrrev_b32_e32 v49, 3, v40
	v_sub_u32_e32 v51, 29, v51
	v_and_b32_e32 v53, 7, v62
	v_cmp_gt_u32_e32 vcc, 8, v40
	v_cndmask_b32_e32 v40, v49, v51, vcc
	v_cndmask_b32_e32 v42, v42, v53, vcc
	v_lshlrev_b32_e32 v49, 24, v38
	v_lshlrev_b32_e32 v42, 20, v42
	v_and_b32_e32 v49, 0x80000000, v49
	v_lshl_add_u32 v40, v40, 23, v48
	v_or3_b32 v51, v49, v40, v42
.LBB635_289:                            ;   in Loop: Header=BB635_213 Depth=1
	s_or_b64 exec, exec, s[16:17]
.LBB635_290:                            ;   in Loop: Header=BB635_213 Depth=1
	s_or_b64 exec, exec, s[14:15]
.LBB635_291:                            ;   in Loop: Header=BB635_213 Depth=1
	s_or_b64 exec, exec, s[12:13]
	v_lshrrev_b16_e32 v40, 8, v38
	v_cmp_ne_u16_e32 vcc, 0, v40
	v_mov_b32_e32 v53, 0
	v_mov_b32_e32 v62, 0
	s_and_saveexec_b64 s[12:13], vcc
	s_cbranch_execz .LBB635_297
; %bb.292:                              ;   in Loop: Header=BB635_213 Depth=1
	v_cmp_ne_u16_e32 vcc, s9, v40
	v_bfrev_b32_e32 v62, 1
	s_and_saveexec_b64 s[14:15], vcc
	s_cbranch_execz .LBB635_296
; %bb.293:                              ;   in Loop: Header=BB635_213 Depth=1
	v_and_b32_e32 v42, 0x7f, v40
	v_cmp_ne_u32_e32 vcc, s19, v42
	v_mov_b32_e32 v62, 0x7f800001
	s_and_saveexec_b64 s[16:17], vcc
	s_cbranch_execz .LBB635_295
; %bb.294:                              ;   in Loop: Header=BB635_213 Depth=1
	v_and_b32_e32 v49, 7, v40
	v_ffbh_u32_e32 v62, v49
	v_min_u32_e32 v65, 32, v62
	v_subrev_u32_e32 v62, 28, v65
	v_lshlrev_b64 v[62:63], v62, v[40:41]
	v_lshrrev_b32_e32 v64, 3, v42
	v_sub_u32_e32 v40, 29, v65
	v_and_b32_e32 v62, 7, v62
	v_cmp_gt_u32_e32 vcc, 8, v42
	v_cndmask_b32_e32 v40, v64, v40, vcc
	v_cndmask_b32_e32 v42, v49, v62, vcc
	v_lshlrev_b32_e32 v49, 16, v38
	v_lshlrev_b32_e32 v42, 20, v42
	v_and_b32_e32 v49, 0x80000000, v49
	v_lshl_add_u32 v40, v40, 23, v48
	v_or3_b32 v62, v49, v40, v42
.LBB635_295:                            ;   in Loop: Header=BB635_213 Depth=1
	s_or_b64 exec, exec, s[16:17]
.LBB635_296:                            ;   in Loop: Header=BB635_213 Depth=1
	s_or_b64 exec, exec, s[14:15]
.LBB635_297:                            ;   in Loop: Header=BB635_213 Depth=1
	s_or_b64 exec, exec, s[12:13]
	v_lshrrev_b32_e32 v40, 16, v38
	v_cmp_ne_u16_sdwa s[14:15], v40, v47 src0_sel:BYTE_0 src1_sel:DWORD
	s_and_saveexec_b64 s[12:13], s[14:15]
	s_cbranch_execz .LBB635_303
; %bb.298:                              ;   in Loop: Header=BB635_213 Depth=1
	v_cmp_ne_u16_sdwa s[16:17], v40, s9 src0_sel:BYTE_0 src1_sel:DWORD
	v_bfrev_b32_e32 v53, 1
	s_and_saveexec_b64 s[14:15], s[16:17]
	s_cbranch_execz .LBB635_302
; %bb.299:                              ;   in Loop: Header=BB635_213 Depth=1
	v_bfe_u32 v42, v38, 16, 7
	v_cmp_ne_u32_e32 vcc, s19, v42
	v_mov_b32_e32 v53, 0x7f800001
	s_and_saveexec_b64 s[16:17], vcc
	s_cbranch_execz .LBB635_301
; %bb.300:                              ;   in Loop: Header=BB635_213 Depth=1
	v_and_b32_e32 v49, 7, v40
	v_ffbh_u32_e32 v63, v49
	v_min_u32_e32 v63, 32, v63
	v_subrev_u32_e32 v64, 28, v63
	v_lshlrev_b64 v[64:65], v64, v[40:41]
	v_lshrrev_b32_e32 v53, 3, v42
	v_sub_u32_e32 v63, 29, v63
	v_and_b32_e32 v64, 7, v64
	v_cmp_gt_u32_e32 vcc, 8, v42
	v_cndmask_b32_e32 v42, v53, v63, vcc
	v_cndmask_b32_e32 v49, v49, v64, vcc
	v_lshlrev_b32_e32 v40, 24, v40
	v_lshlrev_b32_e32 v49, 20, v49
	v_and_b32_e32 v40, 0x80000000, v40
	v_lshl_add_u32 v42, v42, 23, v48
	v_or3_b32 v53, v40, v42, v49
.LBB635_301:                            ;   in Loop: Header=BB635_213 Depth=1
	s_or_b64 exec, exec, s[16:17]
.LBB635_302:                            ;   in Loop: Header=BB635_213 Depth=1
	s_or_b64 exec, exec, s[14:15]
.LBB635_303:                            ;   in Loop: Header=BB635_213 Depth=1
	s_or_b64 exec, exec, s[12:13]
	v_cmp_lt_u32_e32 vcc, s20, v38
	v_mov_b32_e32 v49, 0
	v_mov_b32_e32 v63, 0
	s_and_saveexec_b64 s[12:13], vcc
	s_cbranch_execz .LBB635_309
; %bb.304:                              ;   in Loop: Header=BB635_213 Depth=1
	v_lshrrev_b32_e32 v40, 24, v38
	v_cmp_ne_u32_e32 vcc, s9, v40
	v_bfrev_b32_e32 v63, 1
	s_and_saveexec_b64 s[14:15], vcc
	s_cbranch_execz .LBB635_308
; %bb.305:                              ;   in Loop: Header=BB635_213 Depth=1
	v_bfe_u32 v38, v38, 24, 7
	v_cmp_ne_u32_e32 vcc, s19, v38
	v_mov_b32_e32 v63, 0x7f800001
	s_and_saveexec_b64 s[16:17], vcc
	s_cbranch_execz .LBB635_307
; %bb.306:                              ;   in Loop: Header=BB635_213 Depth=1
	v_and_b32_e32 v42, 7, v40
	v_ffbh_u32_e32 v64, v42
	v_min_u32_e32 v66, 32, v64
	v_subrev_u32_e32 v64, 28, v66
	v_lshlrev_b64 v[64:65], v64, v[40:41]
	v_lshrrev_b32_e32 v63, 3, v38
	v_sub_u32_e32 v65, 29, v66
	v_and_b32_e32 v64, 7, v64
	v_cmp_gt_u32_e32 vcc, 8, v38
	v_cndmask_b32_e32 v38, v63, v65, vcc
	v_cndmask_b32_e32 v42, v42, v64, vcc
	v_lshlrev_b32_e32 v40, 24, v40
	v_lshlrev_b32_e32 v42, 20, v42
	v_and_b32_e32 v40, 0x80000000, v40
	v_lshl_add_u32 v38, v38, 23, v48
	v_or3_b32 v63, v40, v38, v42
.LBB635_307:                            ;   in Loop: Header=BB635_213 Depth=1
	s_or_b64 exec, exec, s[16:17]
.LBB635_308:                            ;   in Loop: Header=BB635_213 Depth=1
	s_or_b64 exec, exec, s[14:15]
.LBB635_309:                            ;   in Loop: Header=BB635_213 Depth=1
	s_or_b64 exec, exec, s[12:13]
	v_cvt_pkrtz_f16_f32 v65, v44, v52
	buffer_load_dword v44, v61, s[0:3], 0 offen
	buffer_load_dword v42, v61, s[0:3], 0 offen offset:4
	buffer_load_dword v40, v61, s[0:3], 0 offen offset:8
	;; [unrolled: 1-line block ×3, first 2 shown]
	v_cvt_pkrtz_f16_f32 v64, v46, v50
	v_cvt_pkrtz_f16_f32 v50, v51, v62
	v_cvt_pkrtz_f16_f32 v51, v53, v63
	v_mfma_f32_16x16x16f16 v[34:37], v[64:65], v[6:7], v[34:37]
	s_waitcnt vmcnt(3)
	v_cmp_ne_u16_sdwa s[14:15], v44, v47 src0_sel:BYTE_0 src1_sel:DWORD
	v_mfma_f32_16x16x16f16 v[34:37], v[50:51], v[8:9], v[34:37]
	s_and_saveexec_b64 s[12:13], s[14:15]
	s_cbranch_execz .LBB635_315
; %bb.310:                              ;   in Loop: Header=BB635_213 Depth=1
	v_cmp_ne_u16_sdwa s[16:17], v44, s9 src0_sel:BYTE_0 src1_sel:DWORD
	v_bfrev_b32_e32 v49, 1
	s_and_saveexec_b64 s[14:15], s[16:17]
	s_cbranch_execz .LBB635_314
; %bb.311:                              ;   in Loop: Header=BB635_213 Depth=1
	v_and_b32_e32 v46, 0x7f, v44
	v_cmp_ne_u32_e32 vcc, s19, v46
	v_mov_b32_e32 v49, 0x7f800001
	s_and_saveexec_b64 s[16:17], vcc
	s_cbranch_execz .LBB635_313
; %bb.312:                              ;   in Loop: Header=BB635_213 Depth=1
	v_and_b32_e32 v49, 7, v44
	v_ffbh_u32_e32 v50, v49
	v_min_u32_e32 v53, 32, v50
	v_subrev_u32_e32 v50, 28, v53
	v_lshlrev_b64 v[50:51], v50, v[44:45]
	v_lshrrev_b32_e32 v52, 3, v46
	v_sub_u32_e32 v51, 29, v53
	v_and_b32_e32 v50, 7, v50
	v_cmp_gt_u32_e32 vcc, 8, v46
	v_cndmask_b32_e32 v46, v52, v51, vcc
	v_cndmask_b32_e32 v49, v49, v50, vcc
	v_lshlrev_b32_e32 v50, 24, v44
	v_lshlrev_b32_e32 v49, 20, v49
	v_and_b32_e32 v50, 0x80000000, v50
	v_lshl_add_u32 v46, v46, 23, v48
	v_or3_b32 v49, v50, v46, v49
.LBB635_313:                            ;   in Loop: Header=BB635_213 Depth=1
	s_or_b64 exec, exec, s[16:17]
.LBB635_314:                            ;   in Loop: Header=BB635_213 Depth=1
	s_or_b64 exec, exec, s[14:15]
.LBB635_315:                            ;   in Loop: Header=BB635_213 Depth=1
	s_or_b64 exec, exec, s[12:13]
	v_lshrrev_b16_e32 v46, 8, v44
	v_cmp_ne_u16_e32 vcc, 0, v46
	v_mov_b32_e32 v50, 0
	v_mov_b32_e32 v51, 0
	s_and_saveexec_b64 s[12:13], vcc
	s_cbranch_execz .LBB635_321
; %bb.316:                              ;   in Loop: Header=BB635_213 Depth=1
	v_cmp_ne_u16_e32 vcc, s9, v46
	v_bfrev_b32_e32 v51, 1
	s_and_saveexec_b64 s[14:15], vcc
	s_cbranch_execz .LBB635_320
; %bb.317:                              ;   in Loop: Header=BB635_213 Depth=1
	v_and_b32_e32 v52, 0x7f, v46
	v_cmp_ne_u32_e32 vcc, s19, v52
	v_mov_b32_e32 v51, 0x7f800001
	s_and_saveexec_b64 s[16:17], vcc
	s_cbranch_execz .LBB635_319
; %bb.318:                              ;   in Loop: Header=BB635_213 Depth=1
	v_and_b32_e32 v51, 7, v46
	v_ffbh_u32_e32 v61, v51
	v_min_u32_e32 v61, 32, v61
	v_subrev_u32_e32 v62, 28, v61
	v_lshlrev_b64 v[62:63], v62, v[46:47]
	v_lshrrev_b32_e32 v53, 3, v52
	v_sub_u32_e32 v46, 29, v61
	v_and_b32_e32 v61, 7, v62
	v_cmp_gt_u32_e32 vcc, 8, v52
	v_cndmask_b32_e32 v46, v53, v46, vcc
	v_cndmask_b32_e32 v51, v51, v61, vcc
	v_lshlrev_b32_e32 v52, 16, v44
	v_lshlrev_b32_e32 v51, 20, v51
	v_and_b32_e32 v52, 0x80000000, v52
	v_lshl_add_u32 v46, v46, 23, v48
	v_or3_b32 v51, v52, v46, v51
.LBB635_319:                            ;   in Loop: Header=BB635_213 Depth=1
	s_or_b64 exec, exec, s[16:17]
.LBB635_320:                            ;   in Loop: Header=BB635_213 Depth=1
	s_or_b64 exec, exec, s[14:15]
.LBB635_321:                            ;   in Loop: Header=BB635_213 Depth=1
	s_or_b64 exec, exec, s[12:13]
	v_lshrrev_b32_e32 v46, 16, v44
	v_cmp_ne_u16_sdwa s[14:15], v46, v47 src0_sel:BYTE_0 src1_sel:DWORD
	s_and_saveexec_b64 s[12:13], s[14:15]
	s_cbranch_execz .LBB635_327
; %bb.322:                              ;   in Loop: Header=BB635_213 Depth=1
	v_cmp_ne_u16_sdwa s[16:17], v46, s9 src0_sel:BYTE_0 src1_sel:DWORD
	v_bfrev_b32_e32 v50, 1
	s_and_saveexec_b64 s[14:15], s[16:17]
	s_cbranch_execz .LBB635_326
; %bb.323:                              ;   in Loop: Header=BB635_213 Depth=1
	v_bfe_u32 v52, v44, 16, 7
	v_cmp_ne_u32_e32 vcc, s19, v52
	v_mov_b32_e32 v50, 0x7f800001
	s_and_saveexec_b64 s[16:17], vcc
	s_cbranch_execz .LBB635_325
; %bb.324:                              ;   in Loop: Header=BB635_213 Depth=1
	v_and_b32_e32 v50, 7, v46
	v_ffbh_u32_e32 v61, v50
	v_min_u32_e32 v61, 32, v61
	v_subrev_u32_e32 v62, 28, v61
	v_lshlrev_b64 v[62:63], v62, v[46:47]
	v_lshrrev_b32_e32 v53, 3, v52
	v_sub_u32_e32 v61, 29, v61
	v_and_b32_e32 v62, 7, v62
	v_cmp_gt_u32_e32 vcc, 8, v52
	v_cndmask_b32_e32 v52, v53, v61, vcc
	v_cndmask_b32_e32 v50, v50, v62, vcc
	v_lshlrev_b32_e32 v46, 24, v46
	v_lshlrev_b32_e32 v50, 20, v50
	v_and_b32_e32 v46, 0x80000000, v46
	v_lshl_add_u32 v52, v52, 23, v48
	v_or3_b32 v50, v46, v52, v50
.LBB635_325:                            ;   in Loop: Header=BB635_213 Depth=1
	s_or_b64 exec, exec, s[16:17]
.LBB635_326:                            ;   in Loop: Header=BB635_213 Depth=1
	s_or_b64 exec, exec, s[14:15]
.LBB635_327:                            ;   in Loop: Header=BB635_213 Depth=1
	s_or_b64 exec, exec, s[12:13]
	v_cmp_lt_u32_e32 vcc, s20, v44
	v_mov_b32_e32 v52, 0
	v_mov_b32_e32 v53, 0
	s_and_saveexec_b64 s[12:13], vcc
	s_cbranch_execz .LBB635_333
; %bb.328:                              ;   in Loop: Header=BB635_213 Depth=1
	v_lshrrev_b32_e32 v46, 24, v44
	v_cmp_ne_u32_e32 vcc, s9, v46
	v_bfrev_b32_e32 v53, 1
	s_and_saveexec_b64 s[14:15], vcc
	s_cbranch_execz .LBB635_332
; %bb.329:                              ;   in Loop: Header=BB635_213 Depth=1
	v_bfe_u32 v44, v44, 24, 7
	v_cmp_ne_u32_e32 vcc, s19, v44
	v_mov_b32_e32 v53, 0x7f800001
	s_and_saveexec_b64 s[16:17], vcc
	s_cbranch_execz .LBB635_331
; %bb.330:                              ;   in Loop: Header=BB635_213 Depth=1
	v_and_b32_e32 v53, 7, v46
	v_ffbh_u32_e32 v62, v53
	v_min_u32_e32 v64, 32, v62
	v_subrev_u32_e32 v62, 28, v64
	v_lshlrev_b64 v[62:63], v62, v[46:47]
	v_lshrrev_b32_e32 v61, 3, v44
	v_sub_u32_e32 v63, 29, v64
	v_and_b32_e32 v62, 7, v62
	v_cmp_gt_u32_e32 vcc, 8, v44
	v_cndmask_b32_e32 v44, v61, v63, vcc
	v_cndmask_b32_e32 v53, v53, v62, vcc
	v_lshlrev_b32_e32 v46, 24, v46
	v_lshlrev_b32_e32 v53, 20, v53
	v_and_b32_e32 v46, 0x80000000, v46
	v_lshl_add_u32 v44, v44, 23, v48
	v_or3_b32 v53, v46, v44, v53
.LBB635_331:                            ;   in Loop: Header=BB635_213 Depth=1
	s_or_b64 exec, exec, s[16:17]
.LBB635_332:                            ;   in Loop: Header=BB635_213 Depth=1
	s_or_b64 exec, exec, s[14:15]
.LBB635_333:                            ;   in Loop: Header=BB635_213 Depth=1
	s_or_b64 exec, exec, s[12:13]
	s_waitcnt vmcnt(2)
	v_cmp_ne_u16_sdwa s[14:15], v42, v47 src0_sel:BYTE_0 src1_sel:DWORD
	s_and_saveexec_b64 s[12:13], s[14:15]
	s_cbranch_execz .LBB635_339
; %bb.334:                              ;   in Loop: Header=BB635_213 Depth=1
	v_cmp_ne_u16_sdwa s[16:17], v42, s9 src0_sel:BYTE_0 src1_sel:DWORD
	v_bfrev_b32_e32 v52, 1
	s_and_saveexec_b64 s[14:15], s[16:17]
	s_cbranch_execz .LBB635_338
; %bb.335:                              ;   in Loop: Header=BB635_213 Depth=1
	v_and_b32_e32 v44, 0x7f, v42
	v_cmp_ne_u32_e32 vcc, s19, v44
	v_mov_b32_e32 v52, 0x7f800001
	s_and_saveexec_b64 s[16:17], vcc
	s_cbranch_execz .LBB635_337
; %bb.336:                              ;   in Loop: Header=BB635_213 Depth=1
	v_and_b32_e32 v46, 7, v42
	v_ffbh_u32_e32 v61, v46
	v_min_u32_e32 v61, 32, v61
	v_subrev_u32_e32 v62, 28, v61
	v_lshlrev_b64 v[62:63], v62, v[42:43]
	v_lshrrev_b32_e32 v52, 3, v44
	v_sub_u32_e32 v61, 29, v61
	v_and_b32_e32 v62, 7, v62
	v_cmp_gt_u32_e32 vcc, 8, v44
	v_cndmask_b32_e32 v44, v52, v61, vcc
	v_cndmask_b32_e32 v46, v46, v62, vcc
	v_lshlrev_b32_e32 v52, 24, v42
	v_lshlrev_b32_e32 v46, 20, v46
	v_and_b32_e32 v52, 0x80000000, v52
	v_lshl_add_u32 v44, v44, 23, v48
	v_or3_b32 v52, v52, v44, v46
.LBB635_337:                            ;   in Loop: Header=BB635_213 Depth=1
	s_or_b64 exec, exec, s[16:17]
.LBB635_338:                            ;   in Loop: Header=BB635_213 Depth=1
	s_or_b64 exec, exec, s[14:15]
.LBB635_339:                            ;   in Loop: Header=BB635_213 Depth=1
	s_or_b64 exec, exec, s[12:13]
	v_lshrrev_b16_e32 v44, 8, v42
	v_cmp_ne_u16_e32 vcc, 0, v44
	v_mov_b32_e32 v61, 0
	v_mov_b32_e32 v62, 0
	s_and_saveexec_b64 s[12:13], vcc
	s_cbranch_execz .LBB635_345
; %bb.340:                              ;   in Loop: Header=BB635_213 Depth=1
	v_cmp_ne_u16_e32 vcc, s9, v44
	v_bfrev_b32_e32 v62, 1
	s_and_saveexec_b64 s[14:15], vcc
	s_cbranch_execz .LBB635_344
; %bb.341:                              ;   in Loop: Header=BB635_213 Depth=1
	v_and_b32_e32 v46, 0x7f, v44
	v_cmp_ne_u32_e32 vcc, s19, v46
	v_mov_b32_e32 v62, 0x7f800001
	s_and_saveexec_b64 s[16:17], vcc
	s_cbranch_execz .LBB635_343
; %bb.342:                              ;   in Loop: Header=BB635_213 Depth=1
	v_and_b32_e32 v64, 7, v44
	v_ffbh_u32_e32 v62, v64
	v_min_u32_e32 v66, 32, v62
	v_subrev_u32_e32 v62, 28, v66
	v_lshlrev_b64 v[62:63], v62, v[44:45]
	v_lshrrev_b32_e32 v65, 3, v46
	v_sub_u32_e32 v44, 29, v66
	v_and_b32_e32 v62, 7, v62
	v_cmp_gt_u32_e32 vcc, 8, v46
	v_cndmask_b32_e32 v44, v65, v44, vcc
	v_cndmask_b32_e32 v46, v64, v62, vcc
	v_lshlrev_b32_e32 v62, 16, v42
	v_lshlrev_b32_e32 v46, 20, v46
	v_and_b32_e32 v62, 0x80000000, v62
	v_lshl_add_u32 v44, v44, 23, v48
	v_or3_b32 v62, v62, v44, v46
.LBB635_343:                            ;   in Loop: Header=BB635_213 Depth=1
	s_or_b64 exec, exec, s[16:17]
.LBB635_344:                            ;   in Loop: Header=BB635_213 Depth=1
	s_or_b64 exec, exec, s[14:15]
.LBB635_345:                            ;   in Loop: Header=BB635_213 Depth=1
	s_or_b64 exec, exec, s[12:13]
	v_lshrrev_b32_e32 v44, 16, v42
	v_cmp_ne_u16_sdwa s[14:15], v44, v47 src0_sel:BYTE_0 src1_sel:DWORD
	s_and_saveexec_b64 s[12:13], s[14:15]
	s_cbranch_execz .LBB635_351
; %bb.346:                              ;   in Loop: Header=BB635_213 Depth=1
	v_cmp_ne_u16_sdwa s[16:17], v44, s9 src0_sel:BYTE_0 src1_sel:DWORD
	v_bfrev_b32_e32 v61, 1
	s_and_saveexec_b64 s[14:15], s[16:17]
	s_cbranch_execz .LBB635_350
; %bb.347:                              ;   in Loop: Header=BB635_213 Depth=1
	v_bfe_u32 v46, v42, 16, 7
	v_cmp_ne_u32_e32 vcc, s19, v46
	v_mov_b32_e32 v61, 0x7f800001
	s_and_saveexec_b64 s[16:17], vcc
	s_cbranch_execz .LBB635_349
; %bb.348:                              ;   in Loop: Header=BB635_213 Depth=1
	v_and_b32_e32 v61, 7, v44
	v_ffbh_u32_e32 v64, v61
	v_min_u32_e32 v66, 32, v64
	v_subrev_u32_e32 v64, 28, v66
	v_lshlrev_b64 v[64:65], v64, v[44:45]
	v_lshrrev_b32_e32 v63, 3, v46
	v_sub_u32_e32 v65, 29, v66
	v_and_b32_e32 v64, 7, v64
	v_cmp_gt_u32_e32 vcc, 8, v46
	v_cndmask_b32_e32 v46, v63, v65, vcc
	v_cndmask_b32_e32 v61, v61, v64, vcc
	v_lshlrev_b32_e32 v44, 24, v44
	v_lshlrev_b32_e32 v61, 20, v61
	v_and_b32_e32 v44, 0x80000000, v44
	v_lshl_add_u32 v46, v46, 23, v48
	v_or3_b32 v61, v44, v46, v61
.LBB635_349:                            ;   in Loop: Header=BB635_213 Depth=1
	s_or_b64 exec, exec, s[16:17]
.LBB635_350:                            ;   in Loop: Header=BB635_213 Depth=1
	s_or_b64 exec, exec, s[14:15]
.LBB635_351:                            ;   in Loop: Header=BB635_213 Depth=1
	s_or_b64 exec, exec, s[12:13]
	v_cmp_lt_u32_e32 vcc, s20, v42
	v_mov_b32_e32 v46, 0
	v_mov_b32_e32 v63, 0
	s_and_saveexec_b64 s[12:13], vcc
	s_cbranch_execz .LBB635_357
; %bb.352:                              ;   in Loop: Header=BB635_213 Depth=1
	v_lshrrev_b32_e32 v44, 24, v42
	v_cmp_ne_u32_e32 vcc, s9, v44
	v_bfrev_b32_e32 v63, 1
	s_and_saveexec_b64 s[14:15], vcc
	s_cbranch_execz .LBB635_356
; %bb.353:                              ;   in Loop: Header=BB635_213 Depth=1
	v_bfe_u32 v42, v42, 24, 7
	v_cmp_ne_u32_e32 vcc, s19, v42
	v_mov_b32_e32 v63, 0x7f800001
	s_and_saveexec_b64 s[16:17], vcc
	s_cbranch_execz .LBB635_355
; %bb.354:                              ;   in Loop: Header=BB635_213 Depth=1
	v_and_b32_e32 v63, 7, v44
	v_ffbh_u32_e32 v64, v63
	v_min_u32_e32 v67, 32, v64
	v_subrev_u32_e32 v64, 28, v67
	v_lshlrev_b64 v[64:65], v64, v[44:45]
	v_lshrrev_b32_e32 v66, 3, v42
	v_sub_u32_e32 v65, 29, v67
	v_and_b32_e32 v64, 7, v64
	v_cmp_gt_u32_e32 vcc, 8, v42
	v_cndmask_b32_e32 v42, v66, v65, vcc
	v_cndmask_b32_e32 v63, v63, v64, vcc
	v_lshlrev_b32_e32 v44, 24, v44
	v_lshlrev_b32_e32 v63, 20, v63
	v_and_b32_e32 v44, 0x80000000, v44
	v_lshl_add_u32 v42, v42, 23, v48
	v_or3_b32 v63, v44, v42, v63
.LBB635_355:                            ;   in Loop: Header=BB635_213 Depth=1
	s_or_b64 exec, exec, s[16:17]
.LBB635_356:                            ;   in Loop: Header=BB635_213 Depth=1
	s_or_b64 exec, exec, s[14:15]
.LBB635_357:                            ;   in Loop: Header=BB635_213 Depth=1
	s_or_b64 exec, exec, s[12:13]
	v_cvt_pkrtz_f16_f32 v64, v49, v51
	v_cvt_pkrtz_f16_f32 v65, v50, v53
	;; [unrolled: 1-line block ×4, first 2 shown]
	s_waitcnt vmcnt(1)
	v_cmp_ne_u16_sdwa s[14:15], v40, v47 src0_sel:BYTE_0 src1_sel:DWORD
	v_mfma_f32_16x16x16f16 v[34:37], v[64:65], v[10:11], v[34:37]
	v_mfma_f32_16x16x16f16 v[34:37], v[50:51], v[12:13], v[34:37]
	s_and_saveexec_b64 s[12:13], s[14:15]
	s_cbranch_execz .LBB635_363
; %bb.358:                              ;   in Loop: Header=BB635_213 Depth=1
	v_cmp_ne_u16_sdwa s[16:17], v40, s9 src0_sel:BYTE_0 src1_sel:DWORD
	v_bfrev_b32_e32 v46, 1
	s_and_saveexec_b64 s[14:15], s[16:17]
	s_cbranch_execz .LBB635_362
; %bb.359:                              ;   in Loop: Header=BB635_213 Depth=1
	v_and_b32_e32 v42, 0x7f, v40
	v_cmp_ne_u32_e32 vcc, s19, v42
	v_mov_b32_e32 v46, 0x7f800001
	s_and_saveexec_b64 s[16:17], vcc
	s_cbranch_execz .LBB635_361
; %bb.360:                              ;   in Loop: Header=BB635_213 Depth=1
	v_and_b32_e32 v44, 7, v40
	v_ffbh_u32_e32 v49, v44
	v_min_u32_e32 v49, 32, v49
	v_subrev_u32_e32 v50, 28, v49
	v_lshlrev_b64 v[50:51], v50, v[40:41]
	v_lshrrev_b32_e32 v46, 3, v42
	v_sub_u32_e32 v49, 29, v49
	v_and_b32_e32 v50, 7, v50
	v_cmp_gt_u32_e32 vcc, 8, v42
	v_cndmask_b32_e32 v42, v46, v49, vcc
	v_cndmask_b32_e32 v44, v44, v50, vcc
	v_lshlrev_b32_e32 v46, 24, v40
	v_lshlrev_b32_e32 v44, 20, v44
	v_and_b32_e32 v46, 0x80000000, v46
	v_lshl_add_u32 v42, v42, 23, v48
	v_or3_b32 v46, v46, v42, v44
.LBB635_361:                            ;   in Loop: Header=BB635_213 Depth=1
	s_or_b64 exec, exec, s[16:17]
.LBB635_362:                            ;   in Loop: Header=BB635_213 Depth=1
	s_or_b64 exec, exec, s[14:15]
.LBB635_363:                            ;   in Loop: Header=BB635_213 Depth=1
	s_or_b64 exec, exec, s[12:13]
	v_lshrrev_b16_e32 v42, 8, v40
	v_cmp_ne_u16_e32 vcc, 0, v42
	v_mov_b32_e32 v44, 0
	v_mov_b32_e32 v50, 0
	s_and_saveexec_b64 s[12:13], vcc
	s_cbranch_execz .LBB635_369
; %bb.364:                              ;   in Loop: Header=BB635_213 Depth=1
	v_cmp_ne_u16_e32 vcc, s9, v42
	v_bfrev_b32_e32 v50, 1
	s_and_saveexec_b64 s[14:15], vcc
	s_cbranch_execz .LBB635_368
; %bb.365:                              ;   in Loop: Header=BB635_213 Depth=1
	v_and_b32_e32 v49, 0x7f, v42
	v_cmp_ne_u32_e32 vcc, s19, v49
	v_mov_b32_e32 v50, 0x7f800001
	s_and_saveexec_b64 s[16:17], vcc
	s_cbranch_execz .LBB635_367
; %bb.366:                              ;   in Loop: Header=BB635_213 Depth=1
	v_and_b32_e32 v52, 7, v42
	v_ffbh_u32_e32 v50, v52
	v_min_u32_e32 v61, 32, v50
	v_subrev_u32_e32 v50, 28, v61
	v_lshlrev_b64 v[50:51], v50, v[42:43]
	v_lshrrev_b32_e32 v53, 3, v49
	v_sub_u32_e32 v42, 29, v61
	v_and_b32_e32 v50, 7, v50
	v_cmp_gt_u32_e32 vcc, 8, v49
	v_cndmask_b32_e32 v42, v53, v42, vcc
	v_cndmask_b32_e32 v49, v52, v50, vcc
	v_lshlrev_b32_e32 v50, 16, v40
	v_lshlrev_b32_e32 v49, 20, v49
	v_and_b32_e32 v50, 0x80000000, v50
	v_lshl_add_u32 v42, v42, 23, v48
	v_or3_b32 v50, v50, v42, v49
.LBB635_367:                            ;   in Loop: Header=BB635_213 Depth=1
	s_or_b64 exec, exec, s[16:17]
.LBB635_368:                            ;   in Loop: Header=BB635_213 Depth=1
	s_or_b64 exec, exec, s[14:15]
.LBB635_369:                            ;   in Loop: Header=BB635_213 Depth=1
	s_or_b64 exec, exec, s[12:13]
	v_lshrrev_b32_e32 v42, 16, v40
	v_cmp_ne_u16_sdwa s[14:15], v42, v47 src0_sel:BYTE_0 src1_sel:DWORD
	s_and_saveexec_b64 s[12:13], s[14:15]
	s_cbranch_execz .LBB635_375
; %bb.370:                              ;   in Loop: Header=BB635_213 Depth=1
	v_cmp_ne_u16_sdwa s[16:17], v42, s9 src0_sel:BYTE_0 src1_sel:DWORD
	v_bfrev_b32_e32 v44, 1
	s_and_saveexec_b64 s[14:15], s[16:17]
	s_cbranch_execz .LBB635_374
; %bb.371:                              ;   in Loop: Header=BB635_213 Depth=1
	v_bfe_u32 v49, v40, 16, 7
	v_cmp_ne_u32_e32 vcc, s19, v49
	v_mov_b32_e32 v44, 0x7f800001
	s_and_saveexec_b64 s[16:17], vcc
	s_cbranch_execz .LBB635_373
; %bb.372:                              ;   in Loop: Header=BB635_213 Depth=1
	v_and_b32_e32 v44, 7, v42
	v_ffbh_u32_e32 v52, v44
	v_min_u32_e32 v61, 32, v52
	v_subrev_u32_e32 v52, 28, v61
	v_lshlrev_b64 v[52:53], v52, v[42:43]
	v_lshrrev_b32_e32 v51, 3, v49
	v_sub_u32_e32 v53, 29, v61
	v_and_b32_e32 v52, 7, v52
	v_cmp_gt_u32_e32 vcc, 8, v49
	v_cndmask_b32_e32 v49, v51, v53, vcc
	v_cndmask_b32_e32 v44, v44, v52, vcc
	v_lshlrev_b32_e32 v42, 24, v42
	v_lshlrev_b32_e32 v44, 20, v44
	v_and_b32_e32 v42, 0x80000000, v42
	v_lshl_add_u32 v49, v49, 23, v48
	v_or3_b32 v44, v42, v49, v44
.LBB635_373:                            ;   in Loop: Header=BB635_213 Depth=1
	s_or_b64 exec, exec, s[16:17]
.LBB635_374:                            ;   in Loop: Header=BB635_213 Depth=1
	s_or_b64 exec, exec, s[14:15]
.LBB635_375:                            ;   in Loop: Header=BB635_213 Depth=1
	s_or_b64 exec, exec, s[12:13]
	v_cmp_lt_u32_e32 vcc, s20, v40
	v_mov_b32_e32 v51, 0
	v_mov_b32_e32 v52, 0
	s_and_saveexec_b64 s[12:13], vcc
	s_cbranch_execz .LBB635_381
; %bb.376:                              ;   in Loop: Header=BB635_213 Depth=1
	v_lshrrev_b32_e32 v42, 24, v40
	v_cmp_ne_u32_e32 vcc, s9, v42
	v_bfrev_b32_e32 v52, 1
	s_and_saveexec_b64 s[14:15], vcc
	s_cbranch_execz .LBB635_380
; %bb.377:                              ;   in Loop: Header=BB635_213 Depth=1
	v_bfe_u32 v40, v40, 24, 7
	v_cmp_ne_u32_e32 vcc, s19, v40
	v_mov_b32_e32 v52, 0x7f800001
	s_and_saveexec_b64 s[16:17], vcc
	s_cbranch_execz .LBB635_379
; %bb.378:                              ;   in Loop: Header=BB635_213 Depth=1
	v_and_b32_e32 v49, 7, v42
	v_ffbh_u32_e32 v52, v49
	v_min_u32_e32 v62, 32, v52
	v_subrev_u32_e32 v52, 28, v62
	v_lshlrev_b64 v[52:53], v52, v[42:43]
	v_lshrrev_b32_e32 v61, 3, v40
	v_sub_u32_e32 v53, 29, v62
	v_and_b32_e32 v52, 7, v52
	v_cmp_gt_u32_e32 vcc, 8, v40
	v_cndmask_b32_e32 v40, v61, v53, vcc
	v_cndmask_b32_e32 v49, v49, v52, vcc
	v_lshlrev_b32_e32 v42, 24, v42
	v_lshlrev_b32_e32 v49, 20, v49
	v_and_b32_e32 v42, 0x80000000, v42
	v_lshl_add_u32 v40, v40, 23, v48
	v_or3_b32 v52, v42, v40, v49
.LBB635_379:                            ;   in Loop: Header=BB635_213 Depth=1
	s_or_b64 exec, exec, s[16:17]
.LBB635_380:                            ;   in Loop: Header=BB635_213 Depth=1
	s_or_b64 exec, exec, s[14:15]
.LBB635_381:                            ;   in Loop: Header=BB635_213 Depth=1
	s_or_b64 exec, exec, s[12:13]
	s_waitcnt vmcnt(0)
	v_cmp_ne_u16_sdwa s[14:15], v38, v47 src0_sel:BYTE_0 src1_sel:DWORD
	s_and_saveexec_b64 s[12:13], s[14:15]
	s_cbranch_execz .LBB635_387
; %bb.382:                              ;   in Loop: Header=BB635_213 Depth=1
	v_cmp_ne_u16_sdwa s[16:17], v38, s9 src0_sel:BYTE_0 src1_sel:DWORD
	v_bfrev_b32_e32 v51, 1
	s_and_saveexec_b64 s[14:15], s[16:17]
	s_cbranch_execz .LBB635_386
; %bb.383:                              ;   in Loop: Header=BB635_213 Depth=1
	v_and_b32_e32 v40, 0x7f, v38
	v_cmp_ne_u32_e32 vcc, s19, v40
	v_mov_b32_e32 v51, 0x7f800001
	s_and_saveexec_b64 s[16:17], vcc
	s_cbranch_execz .LBB635_385
; %bb.384:                              ;   in Loop: Header=BB635_213 Depth=1
	v_and_b32_e32 v42, 7, v38
	v_ffbh_u32_e32 v51, v42
	v_min_u32_e32 v51, 32, v51
	v_subrev_u32_e32 v53, 28, v51
	v_lshlrev_b64 v[62:63], v53, v[38:39]
	v_lshrrev_b32_e32 v49, 3, v40
	v_sub_u32_e32 v51, 29, v51
	v_and_b32_e32 v53, 7, v62
	v_cmp_gt_u32_e32 vcc, 8, v40
	v_cndmask_b32_e32 v40, v49, v51, vcc
	v_cndmask_b32_e32 v42, v42, v53, vcc
	v_lshlrev_b32_e32 v49, 24, v38
	v_lshlrev_b32_e32 v42, 20, v42
	v_and_b32_e32 v49, 0x80000000, v49
	v_lshl_add_u32 v40, v40, 23, v48
	v_or3_b32 v51, v49, v40, v42
.LBB635_385:                            ;   in Loop: Header=BB635_213 Depth=1
	s_or_b64 exec, exec, s[16:17]
.LBB635_386:                            ;   in Loop: Header=BB635_213 Depth=1
	s_or_b64 exec, exec, s[14:15]
.LBB635_387:                            ;   in Loop: Header=BB635_213 Depth=1
	s_or_b64 exec, exec, s[12:13]
	v_lshrrev_b16_e32 v40, 8, v38
	v_cmp_ne_u16_e32 vcc, 0, v40
	v_mov_b32_e32 v53, 0
	v_mov_b32_e32 v61, 0
	s_and_saveexec_b64 s[12:13], vcc
	s_cbranch_execz .LBB635_393
; %bb.388:                              ;   in Loop: Header=BB635_213 Depth=1
	v_cmp_ne_u16_e32 vcc, s9, v40
	v_bfrev_b32_e32 v61, 1
	s_and_saveexec_b64 s[14:15], vcc
	s_cbranch_execz .LBB635_392
; %bb.389:                              ;   in Loop: Header=BB635_213 Depth=1
	v_and_b32_e32 v42, 0x7f, v40
	v_cmp_ne_u32_e32 vcc, s19, v42
	v_mov_b32_e32 v61, 0x7f800001
	s_and_saveexec_b64 s[16:17], vcc
	s_cbranch_execz .LBB635_391
; %bb.390:                              ;   in Loop: Header=BB635_213 Depth=1
	v_and_b32_e32 v49, 7, v40
	v_ffbh_u32_e32 v62, v49
	v_min_u32_e32 v64, 32, v62
	v_subrev_u32_e32 v62, 28, v64
	v_lshlrev_b64 v[62:63], v62, v[40:41]
	v_lshrrev_b32_e32 v61, 3, v42
	v_sub_u32_e32 v40, 29, v64
	v_and_b32_e32 v62, 7, v62
	v_cmp_gt_u32_e32 vcc, 8, v42
	v_cndmask_b32_e32 v40, v61, v40, vcc
	v_cndmask_b32_e32 v42, v49, v62, vcc
	v_lshlrev_b32_e32 v49, 16, v38
	v_lshlrev_b32_e32 v42, 20, v42
	v_and_b32_e32 v49, 0x80000000, v49
	v_lshl_add_u32 v40, v40, 23, v48
	v_or3_b32 v61, v49, v40, v42
.LBB635_391:                            ;   in Loop: Header=BB635_213 Depth=1
	s_or_b64 exec, exec, s[16:17]
.LBB635_392:                            ;   in Loop: Header=BB635_213 Depth=1
	s_or_b64 exec, exec, s[14:15]
.LBB635_393:                            ;   in Loop: Header=BB635_213 Depth=1
	s_or_b64 exec, exec, s[12:13]
	v_lshrrev_b32_e32 v40, 16, v38
	v_cmp_ne_u16_sdwa s[14:15], v40, v47 src0_sel:BYTE_0 src1_sel:DWORD
	s_and_saveexec_b64 s[12:13], s[14:15]
	s_cbranch_execz .LBB635_399
; %bb.394:                              ;   in Loop: Header=BB635_213 Depth=1
	v_cmp_ne_u16_sdwa s[16:17], v40, s9 src0_sel:BYTE_0 src1_sel:DWORD
	v_bfrev_b32_e32 v53, 1
	s_and_saveexec_b64 s[14:15], s[16:17]
	s_cbranch_execz .LBB635_398
; %bb.395:                              ;   in Loop: Header=BB635_213 Depth=1
	v_bfe_u32 v42, v38, 16, 7
	v_cmp_ne_u32_e32 vcc, s19, v42
	v_mov_b32_e32 v53, 0x7f800001
	s_and_saveexec_b64 s[16:17], vcc
	s_cbranch_execz .LBB635_397
; %bb.396:                              ;   in Loop: Header=BB635_213 Depth=1
	v_and_b32_e32 v49, 7, v40
	v_ffbh_u32_e32 v62, v49
	v_min_u32_e32 v64, 32, v62
	v_subrev_u32_e32 v62, 28, v64
	v_lshlrev_b64 v[62:63], v62, v[40:41]
	v_lshrrev_b32_e32 v53, 3, v42
	v_sub_u32_e32 v63, 29, v64
	v_and_b32_e32 v62, 7, v62
	v_cmp_gt_u32_e32 vcc, 8, v42
	v_cndmask_b32_e32 v42, v53, v63, vcc
	v_cndmask_b32_e32 v49, v49, v62, vcc
	v_lshlrev_b32_e32 v40, 24, v40
	v_lshlrev_b32_e32 v49, 20, v49
	v_and_b32_e32 v40, 0x80000000, v40
	v_lshl_add_u32 v42, v42, 23, v48
	v_or3_b32 v53, v40, v42, v49
.LBB635_397:                            ;   in Loop: Header=BB635_213 Depth=1
	s_or_b64 exec, exec, s[16:17]
.LBB635_398:                            ;   in Loop: Header=BB635_213 Depth=1
	s_or_b64 exec, exec, s[14:15]
.LBB635_399:                            ;   in Loop: Header=BB635_213 Depth=1
	s_or_b64 exec, exec, s[12:13]
	v_cmp_lt_u32_e32 vcc, s20, v38
	v_mov_b32_e32 v49, 0
	v_mov_b32_e32 v62, 0
	s_and_saveexec_b64 s[12:13], vcc
	s_cbranch_execz .LBB635_405
; %bb.400:                              ;   in Loop: Header=BB635_213 Depth=1
	v_lshrrev_b32_e32 v40, 24, v38
	v_cmp_ne_u32_e32 vcc, s9, v40
	v_bfrev_b32_e32 v62, 1
	s_and_saveexec_b64 s[14:15], vcc
	s_cbranch_execz .LBB635_404
; %bb.401:                              ;   in Loop: Header=BB635_213 Depth=1
	v_bfe_u32 v38, v38, 24, 7
	v_cmp_ne_u32_e32 vcc, s19, v38
	v_mov_b32_e32 v62, 0x7f800001
	s_and_saveexec_b64 s[16:17], vcc
	s_cbranch_execz .LBB635_403
; %bb.402:                              ;   in Loop: Header=BB635_213 Depth=1
	v_and_b32_e32 v42, 7, v40
	v_ffbh_u32_e32 v62, v42
	v_min_u32_e32 v65, 32, v62
	v_subrev_u32_e32 v62, 28, v65
	v_lshlrev_b64 v[62:63], v62, v[40:41]
	v_lshrrev_b32_e32 v64, 3, v38
	v_sub_u32_e32 v63, 29, v65
	v_and_b32_e32 v62, 7, v62
	v_cmp_gt_u32_e32 vcc, 8, v38
	v_cndmask_b32_e32 v38, v64, v63, vcc
	v_cndmask_b32_e32 v42, v42, v62, vcc
	v_lshlrev_b32_e32 v40, 24, v40
	v_lshlrev_b32_e32 v42, 20, v42
	v_and_b32_e32 v40, 0x80000000, v40
	v_lshl_add_u32 v38, v38, 23, v48
	v_or3_b32 v62, v40, v38, v42
.LBB635_403:                            ;   in Loop: Header=BB635_213 Depth=1
	s_or_b64 exec, exec, s[16:17]
.LBB635_404:                            ;   in Loop: Header=BB635_213 Depth=1
	s_or_b64 exec, exec, s[14:15]
.LBB635_405:                            ;   in Loop: Header=BB635_213 Depth=1
	s_or_b64 exec, exec, s[12:13]
	v_cvt_pkrtz_f16_f32 v65, v44, v52
	buffer_load_dword v44, v60, s[0:3], 0 offen
	buffer_load_dword v42, v60, s[0:3], 0 offen offset:4
	buffer_load_dword v40, v60, s[0:3], 0 offen offset:8
	buffer_load_dword v38, v60, s[0:3], 0 offen offset:12
	v_cvt_pkrtz_f16_f32 v64, v46, v50
	v_cvt_pkrtz_f16_f32 v50, v51, v61
	;; [unrolled: 1-line block ×3, first 2 shown]
	v_mfma_f32_16x16x16f16 v[34:37], v[64:65], v[14:15], v[34:37]
	s_waitcnt vmcnt(3)
	v_cmp_ne_u16_sdwa s[14:15], v44, v47 src0_sel:BYTE_0 src1_sel:DWORD
	v_mfma_f32_16x16x16f16 v[34:37], v[50:51], v[16:17], v[34:37]
	s_and_saveexec_b64 s[12:13], s[14:15]
	s_cbranch_execz .LBB635_411
; %bb.406:                              ;   in Loop: Header=BB635_213 Depth=1
	v_cmp_ne_u16_sdwa s[16:17], v44, s9 src0_sel:BYTE_0 src1_sel:DWORD
	v_bfrev_b32_e32 v49, 1
	s_and_saveexec_b64 s[14:15], s[16:17]
	s_cbranch_execz .LBB635_410
; %bb.407:                              ;   in Loop: Header=BB635_213 Depth=1
	v_and_b32_e32 v46, 0x7f, v44
	v_cmp_ne_u32_e32 vcc, s19, v46
	v_mov_b32_e32 v49, 0x7f800001
	s_and_saveexec_b64 s[16:17], vcc
	s_cbranch_execz .LBB635_409
; %bb.408:                              ;   in Loop: Header=BB635_213 Depth=1
	v_and_b32_e32 v49, 7, v44
	v_ffbh_u32_e32 v50, v49
	v_min_u32_e32 v53, 32, v50
	v_subrev_u32_e32 v50, 28, v53
	v_lshlrev_b64 v[50:51], v50, v[44:45]
	v_lshrrev_b32_e32 v52, 3, v46
	v_sub_u32_e32 v51, 29, v53
	v_and_b32_e32 v50, 7, v50
	v_cmp_gt_u32_e32 vcc, 8, v46
	v_cndmask_b32_e32 v46, v52, v51, vcc
	v_cndmask_b32_e32 v49, v49, v50, vcc
	v_lshlrev_b32_e32 v50, 24, v44
	v_lshlrev_b32_e32 v49, 20, v49
	v_and_b32_e32 v50, 0x80000000, v50
	v_lshl_add_u32 v46, v46, 23, v48
	v_or3_b32 v49, v50, v46, v49
.LBB635_409:                            ;   in Loop: Header=BB635_213 Depth=1
	s_or_b64 exec, exec, s[16:17]
.LBB635_410:                            ;   in Loop: Header=BB635_213 Depth=1
	s_or_b64 exec, exec, s[14:15]
.LBB635_411:                            ;   in Loop: Header=BB635_213 Depth=1
	s_or_b64 exec, exec, s[12:13]
	v_lshrrev_b16_e32 v46, 8, v44
	v_cmp_ne_u16_e32 vcc, 0, v46
	v_mov_b32_e32 v50, 0
	v_mov_b32_e32 v51, 0
	s_and_saveexec_b64 s[12:13], vcc
	s_cbranch_execz .LBB635_417
; %bb.412:                              ;   in Loop: Header=BB635_213 Depth=1
	v_cmp_ne_u16_e32 vcc, s9, v46
	v_bfrev_b32_e32 v51, 1
	s_and_saveexec_b64 s[14:15], vcc
	s_cbranch_execz .LBB635_416
; %bb.413:                              ;   in Loop: Header=BB635_213 Depth=1
	v_and_b32_e32 v52, 0x7f, v46
	v_cmp_ne_u32_e32 vcc, s19, v52
	v_mov_b32_e32 v51, 0x7f800001
	s_and_saveexec_b64 s[16:17], vcc
	s_cbranch_execz .LBB635_415
; %bb.414:                              ;   in Loop: Header=BB635_213 Depth=1
	v_and_b32_e32 v51, 7, v46
	v_ffbh_u32_e32 v60, v51
	v_min_u32_e32 v62, 32, v60
	v_subrev_u32_e32 v60, 28, v62
	v_lshlrev_b64 v[60:61], v60, v[46:47]
	v_lshrrev_b32_e32 v53, 3, v52
	v_sub_u32_e32 v46, 29, v62
	v_and_b32_e32 v60, 7, v60
	v_cmp_gt_u32_e32 vcc, 8, v52
	v_cndmask_b32_e32 v46, v53, v46, vcc
	v_cndmask_b32_e32 v51, v51, v60, vcc
	v_lshlrev_b32_e32 v52, 16, v44
	v_lshlrev_b32_e32 v51, 20, v51
	v_and_b32_e32 v52, 0x80000000, v52
	v_lshl_add_u32 v46, v46, 23, v48
	v_or3_b32 v51, v52, v46, v51
.LBB635_415:                            ;   in Loop: Header=BB635_213 Depth=1
	s_or_b64 exec, exec, s[16:17]
.LBB635_416:                            ;   in Loop: Header=BB635_213 Depth=1
	s_or_b64 exec, exec, s[14:15]
.LBB635_417:                            ;   in Loop: Header=BB635_213 Depth=1
	s_or_b64 exec, exec, s[12:13]
	v_lshrrev_b32_e32 v46, 16, v44
	v_cmp_ne_u16_sdwa s[14:15], v46, v47 src0_sel:BYTE_0 src1_sel:DWORD
	s_and_saveexec_b64 s[12:13], s[14:15]
	s_cbranch_execz .LBB635_423
; %bb.418:                              ;   in Loop: Header=BB635_213 Depth=1
	v_cmp_ne_u16_sdwa s[16:17], v46, s9 src0_sel:BYTE_0 src1_sel:DWORD
	v_bfrev_b32_e32 v50, 1
	s_and_saveexec_b64 s[14:15], s[16:17]
	s_cbranch_execz .LBB635_422
; %bb.419:                              ;   in Loop: Header=BB635_213 Depth=1
	v_bfe_u32 v52, v44, 16, 7
	v_cmp_ne_u32_e32 vcc, s19, v52
	v_mov_b32_e32 v50, 0x7f800001
	s_and_saveexec_b64 s[16:17], vcc
	s_cbranch_execz .LBB635_421
; %bb.420:                              ;   in Loop: Header=BB635_213 Depth=1
	v_and_b32_e32 v50, 7, v46
	v_ffbh_u32_e32 v60, v50
	v_min_u32_e32 v62, 32, v60
	v_subrev_u32_e32 v60, 28, v62
	v_lshlrev_b64 v[60:61], v60, v[46:47]
	v_lshrrev_b32_e32 v53, 3, v52
	v_sub_u32_e32 v61, 29, v62
	v_and_b32_e32 v60, 7, v60
	v_cmp_gt_u32_e32 vcc, 8, v52
	v_cndmask_b32_e32 v52, v53, v61, vcc
	v_cndmask_b32_e32 v50, v50, v60, vcc
	v_lshlrev_b32_e32 v46, 24, v46
	v_lshlrev_b32_e32 v50, 20, v50
	v_and_b32_e32 v46, 0x80000000, v46
	v_lshl_add_u32 v52, v52, 23, v48
	v_or3_b32 v50, v46, v52, v50
.LBB635_421:                            ;   in Loop: Header=BB635_213 Depth=1
	s_or_b64 exec, exec, s[16:17]
.LBB635_422:                            ;   in Loop: Header=BB635_213 Depth=1
	s_or_b64 exec, exec, s[14:15]
.LBB635_423:                            ;   in Loop: Header=BB635_213 Depth=1
	s_or_b64 exec, exec, s[12:13]
	v_cmp_lt_u32_e32 vcc, s20, v44
	v_mov_b32_e32 v52, 0
	v_mov_b32_e32 v53, 0
	s_and_saveexec_b64 s[12:13], vcc
	s_cbranch_execz .LBB635_429
; %bb.424:                              ;   in Loop: Header=BB635_213 Depth=1
	v_lshrrev_b32_e32 v46, 24, v44
	v_cmp_ne_u32_e32 vcc, s9, v46
	v_bfrev_b32_e32 v53, 1
	s_and_saveexec_b64 s[14:15], vcc
	s_cbranch_execz .LBB635_428
; %bb.425:                              ;   in Loop: Header=BB635_213 Depth=1
	v_bfe_u32 v44, v44, 24, 7
	v_cmp_ne_u32_e32 vcc, s19, v44
	v_mov_b32_e32 v53, 0x7f800001
	s_and_saveexec_b64 s[16:17], vcc
	s_cbranch_execz .LBB635_427
; %bb.426:                              ;   in Loop: Header=BB635_213 Depth=1
	v_and_b32_e32 v53, 7, v46
	v_ffbh_u32_e32 v60, v53
	v_min_u32_e32 v63, 32, v60
	v_subrev_u32_e32 v60, 28, v63
	v_lshlrev_b64 v[60:61], v60, v[46:47]
	v_lshrrev_b32_e32 v62, 3, v44
	v_sub_u32_e32 v61, 29, v63
	v_and_b32_e32 v60, 7, v60
	v_cmp_gt_u32_e32 vcc, 8, v44
	v_cndmask_b32_e32 v44, v62, v61, vcc
	v_cndmask_b32_e32 v53, v53, v60, vcc
	v_lshlrev_b32_e32 v46, 24, v46
	v_lshlrev_b32_e32 v53, 20, v53
	v_and_b32_e32 v46, 0x80000000, v46
	v_lshl_add_u32 v44, v44, 23, v48
	v_or3_b32 v53, v46, v44, v53
.LBB635_427:                            ;   in Loop: Header=BB635_213 Depth=1
	s_or_b64 exec, exec, s[16:17]
.LBB635_428:                            ;   in Loop: Header=BB635_213 Depth=1
	s_or_b64 exec, exec, s[14:15]
.LBB635_429:                            ;   in Loop: Header=BB635_213 Depth=1
	s_or_b64 exec, exec, s[12:13]
	s_waitcnt vmcnt(2)
	v_cmp_ne_u16_sdwa s[14:15], v42, v47 src0_sel:BYTE_0 src1_sel:DWORD
	s_and_saveexec_b64 s[12:13], s[14:15]
	s_cbranch_execz .LBB635_435
; %bb.430:                              ;   in Loop: Header=BB635_213 Depth=1
	v_cmp_ne_u16_sdwa s[16:17], v42, s9 src0_sel:BYTE_0 src1_sel:DWORD
	v_bfrev_b32_e32 v52, 1
	s_and_saveexec_b64 s[14:15], s[16:17]
	s_cbranch_execz .LBB635_434
; %bb.431:                              ;   in Loop: Header=BB635_213 Depth=1
	v_and_b32_e32 v44, 0x7f, v42
	v_cmp_ne_u32_e32 vcc, s19, v44
	v_mov_b32_e32 v52, 0x7f800001
	s_and_saveexec_b64 s[16:17], vcc
	s_cbranch_execz .LBB635_433
; %bb.432:                              ;   in Loop: Header=BB635_213 Depth=1
	v_and_b32_e32 v46, 7, v42
	v_ffbh_u32_e32 v60, v46
	v_min_u32_e32 v62, 32, v60
	v_subrev_u32_e32 v60, 28, v62
	v_lshlrev_b64 v[60:61], v60, v[42:43]
	v_lshrrev_b32_e32 v52, 3, v44
	v_sub_u32_e32 v61, 29, v62
	v_and_b32_e32 v60, 7, v60
	v_cmp_gt_u32_e32 vcc, 8, v44
	v_cndmask_b32_e32 v44, v52, v61, vcc
	v_cndmask_b32_e32 v46, v46, v60, vcc
	v_lshlrev_b32_e32 v52, 24, v42
	v_lshlrev_b32_e32 v46, 20, v46
	v_and_b32_e32 v52, 0x80000000, v52
	v_lshl_add_u32 v44, v44, 23, v48
	v_or3_b32 v52, v52, v44, v46
.LBB635_433:                            ;   in Loop: Header=BB635_213 Depth=1
	s_or_b64 exec, exec, s[16:17]
.LBB635_434:                            ;   in Loop: Header=BB635_213 Depth=1
	s_or_b64 exec, exec, s[14:15]
.LBB635_435:                            ;   in Loop: Header=BB635_213 Depth=1
	s_or_b64 exec, exec, s[12:13]
	v_lshrrev_b16_e32 v44, 8, v42
	v_cmp_ne_u16_e32 vcc, 0, v44
	v_mov_b32_e32 v60, 0
	v_mov_b32_e32 v61, 0
	s_and_saveexec_b64 s[12:13], vcc
	s_cbranch_execz .LBB635_441
; %bb.436:                              ;   in Loop: Header=BB635_213 Depth=1
	v_cmp_ne_u16_e32 vcc, s9, v44
	v_bfrev_b32_e32 v61, 1
	s_and_saveexec_b64 s[14:15], vcc
	s_cbranch_execz .LBB635_440
; %bb.437:                              ;   in Loop: Header=BB635_213 Depth=1
	v_and_b32_e32 v46, 0x7f, v44
	v_cmp_ne_u32_e32 vcc, s19, v46
	v_mov_b32_e32 v61, 0x7f800001
	s_and_saveexec_b64 s[16:17], vcc
	s_cbranch_execz .LBB635_439
; %bb.438:                              ;   in Loop: Header=BB635_213 Depth=1
	v_and_b32_e32 v61, 7, v44
	v_ffbh_u32_e32 v62, v61
	v_min_u32_e32 v65, 32, v62
	v_subrev_u32_e32 v62, 28, v65
	v_lshlrev_b64 v[62:63], v62, v[44:45]
	v_lshrrev_b32_e32 v64, 3, v46
	v_sub_u32_e32 v44, 29, v65
	v_and_b32_e32 v62, 7, v62
	v_cmp_gt_u32_e32 vcc, 8, v46
	v_cndmask_b32_e32 v44, v64, v44, vcc
	v_cndmask_b32_e32 v46, v61, v62, vcc
	v_lshlrev_b32_e32 v61, 16, v42
	v_lshlrev_b32_e32 v46, 20, v46
	v_and_b32_e32 v61, 0x80000000, v61
	v_lshl_add_u32 v44, v44, 23, v48
	v_or3_b32 v61, v61, v44, v46
.LBB635_439:                            ;   in Loop: Header=BB635_213 Depth=1
	s_or_b64 exec, exec, s[16:17]
.LBB635_440:                            ;   in Loop: Header=BB635_213 Depth=1
	s_or_b64 exec, exec, s[14:15]
.LBB635_441:                            ;   in Loop: Header=BB635_213 Depth=1
	s_or_b64 exec, exec, s[12:13]
	v_lshrrev_b32_e32 v44, 16, v42
	v_cmp_ne_u16_sdwa s[14:15], v44, v47 src0_sel:BYTE_0 src1_sel:DWORD
	s_and_saveexec_b64 s[12:13], s[14:15]
	s_cbranch_execz .LBB635_447
; %bb.442:                              ;   in Loop: Header=BB635_213 Depth=1
	v_cmp_ne_u16_sdwa s[16:17], v44, s9 src0_sel:BYTE_0 src1_sel:DWORD
	v_bfrev_b32_e32 v60, 1
	s_and_saveexec_b64 s[14:15], s[16:17]
	s_cbranch_execz .LBB635_446
; %bb.443:                              ;   in Loop: Header=BB635_213 Depth=1
	v_bfe_u32 v46, v42, 16, 7
	v_cmp_ne_u32_e32 vcc, s19, v46
	v_mov_b32_e32 v60, 0x7f800001
	s_and_saveexec_b64 s[16:17], vcc
	s_cbranch_execz .LBB635_445
; %bb.444:                              ;   in Loop: Header=BB635_213 Depth=1
	v_and_b32_e32 v60, 7, v44
	v_ffbh_u32_e32 v62, v60
	v_min_u32_e32 v65, 32, v62
	v_subrev_u32_e32 v62, 28, v65
	v_lshlrev_b64 v[62:63], v62, v[44:45]
	v_lshrrev_b32_e32 v64, 3, v46
	v_sub_u32_e32 v63, 29, v65
	v_and_b32_e32 v62, 7, v62
	v_cmp_gt_u32_e32 vcc, 8, v46
	v_cndmask_b32_e32 v46, v64, v63, vcc
	v_cndmask_b32_e32 v60, v60, v62, vcc
	v_lshlrev_b32_e32 v44, 24, v44
	v_lshlrev_b32_e32 v60, 20, v60
	v_and_b32_e32 v44, 0x80000000, v44
	v_lshl_add_u32 v46, v46, 23, v48
	v_or3_b32 v60, v44, v46, v60
.LBB635_445:                            ;   in Loop: Header=BB635_213 Depth=1
	s_or_b64 exec, exec, s[16:17]
.LBB635_446:                            ;   in Loop: Header=BB635_213 Depth=1
	s_or_b64 exec, exec, s[14:15]
.LBB635_447:                            ;   in Loop: Header=BB635_213 Depth=1
	s_or_b64 exec, exec, s[12:13]
	v_cmp_lt_u32_e32 vcc, s20, v42
	v_mov_b32_e32 v46, 0
	v_mov_b32_e32 v62, 0
	s_and_saveexec_b64 s[12:13], vcc
	s_cbranch_execz .LBB635_453
; %bb.448:                              ;   in Loop: Header=BB635_213 Depth=1
	v_lshrrev_b32_e32 v44, 24, v42
	v_cmp_ne_u32_e32 vcc, s9, v44
	v_bfrev_b32_e32 v62, 1
	s_and_saveexec_b64 s[14:15], vcc
	s_cbranch_execz .LBB635_452
; %bb.449:                              ;   in Loop: Header=BB635_213 Depth=1
	v_bfe_u32 v42, v42, 24, 7
	v_cmp_ne_u32_e32 vcc, s19, v42
	v_mov_b32_e32 v62, 0x7f800001
	s_and_saveexec_b64 s[16:17], vcc
	s_cbranch_execz .LBB635_451
; %bb.450:                              ;   in Loop: Header=BB635_213 Depth=1
	v_and_b32_e32 v64, 7, v44
	v_ffbh_u32_e32 v62, v64
	v_min_u32_e32 v66, 32, v62
	v_subrev_u32_e32 v62, 28, v66
	v_lshlrev_b64 v[62:63], v62, v[44:45]
	v_lshrrev_b32_e32 v65, 3, v42
	v_sub_u32_e32 v63, 29, v66
	v_and_b32_e32 v62, 7, v62
	v_cmp_gt_u32_e32 vcc, 8, v42
	v_cndmask_b32_e32 v42, v65, v63, vcc
	v_cndmask_b32_e32 v62, v64, v62, vcc
	v_lshlrev_b32_e32 v44, 24, v44
	v_lshlrev_b32_e32 v62, 20, v62
	v_and_b32_e32 v44, 0x80000000, v44
	v_lshl_add_u32 v42, v42, 23, v48
	v_or3_b32 v62, v44, v42, v62
.LBB635_451:                            ;   in Loop: Header=BB635_213 Depth=1
	s_or_b64 exec, exec, s[16:17]
.LBB635_452:                            ;   in Loop: Header=BB635_213 Depth=1
	s_or_b64 exec, exec, s[14:15]
.LBB635_453:                            ;   in Loop: Header=BB635_213 Depth=1
	s_or_b64 exec, exec, s[12:13]
	v_cvt_pkrtz_f16_f32 v64, v49, v51
	v_cvt_pkrtz_f16_f32 v65, v50, v53
	;; [unrolled: 1-line block ×4, first 2 shown]
	s_waitcnt vmcnt(1)
	v_cmp_ne_u16_sdwa s[14:15], v40, v47 src0_sel:BYTE_0 src1_sel:DWORD
	v_mfma_f32_16x16x16f16 v[34:37], v[64:65], v[18:19], v[34:37]
	v_mfma_f32_16x16x16f16 v[34:37], v[50:51], v[20:21], v[34:37]
	s_and_saveexec_b64 s[12:13], s[14:15]
	s_cbranch_execz .LBB635_459
; %bb.454:                              ;   in Loop: Header=BB635_213 Depth=1
	v_cmp_ne_u16_sdwa s[16:17], v40, s9 src0_sel:BYTE_0 src1_sel:DWORD
	v_bfrev_b32_e32 v46, 1
	s_and_saveexec_b64 s[14:15], s[16:17]
	s_cbranch_execz .LBB635_458
; %bb.455:                              ;   in Loop: Header=BB635_213 Depth=1
	v_and_b32_e32 v42, 0x7f, v40
	v_cmp_ne_u32_e32 vcc, s19, v42
	v_mov_b32_e32 v46, 0x7f800001
	s_and_saveexec_b64 s[16:17], vcc
	s_cbranch_execz .LBB635_457
; %bb.456:                              ;   in Loop: Header=BB635_213 Depth=1
	v_and_b32_e32 v44, 7, v40
	v_ffbh_u32_e32 v49, v44
	v_min_u32_e32 v49, 32, v49
	v_subrev_u32_e32 v50, 28, v49
	v_lshlrev_b64 v[50:51], v50, v[40:41]
	v_lshrrev_b32_e32 v46, 3, v42
	v_sub_u32_e32 v49, 29, v49
	v_and_b32_e32 v50, 7, v50
	v_cmp_gt_u32_e32 vcc, 8, v42
	v_cndmask_b32_e32 v42, v46, v49, vcc
	v_cndmask_b32_e32 v44, v44, v50, vcc
	v_lshlrev_b32_e32 v46, 24, v40
	v_lshlrev_b32_e32 v44, 20, v44
	v_and_b32_e32 v46, 0x80000000, v46
	v_lshl_add_u32 v42, v42, 23, v48
	v_or3_b32 v46, v46, v42, v44
.LBB635_457:                            ;   in Loop: Header=BB635_213 Depth=1
	s_or_b64 exec, exec, s[16:17]
.LBB635_458:                            ;   in Loop: Header=BB635_213 Depth=1
	s_or_b64 exec, exec, s[14:15]
.LBB635_459:                            ;   in Loop: Header=BB635_213 Depth=1
	s_or_b64 exec, exec, s[12:13]
	v_lshrrev_b16_e32 v42, 8, v40
	v_cmp_ne_u16_e32 vcc, 0, v42
	v_mov_b32_e32 v44, 0
	v_mov_b32_e32 v50, 0
	s_and_saveexec_b64 s[12:13], vcc
	s_cbranch_execz .LBB635_465
; %bb.460:                              ;   in Loop: Header=BB635_213 Depth=1
	v_cmp_ne_u16_e32 vcc, s9, v42
	v_bfrev_b32_e32 v50, 1
	s_and_saveexec_b64 s[14:15], vcc
	s_cbranch_execz .LBB635_464
; %bb.461:                              ;   in Loop: Header=BB635_213 Depth=1
	v_and_b32_e32 v49, 0x7f, v42
	v_cmp_ne_u32_e32 vcc, s19, v49
	v_mov_b32_e32 v50, 0x7f800001
	s_and_saveexec_b64 s[16:17], vcc
	s_cbranch_execz .LBB635_463
; %bb.462:                              ;   in Loop: Header=BB635_213 Depth=1
	v_and_b32_e32 v52, 7, v42
	v_ffbh_u32_e32 v50, v52
	v_min_u32_e32 v60, 32, v50
	v_subrev_u32_e32 v50, 28, v60
	v_lshlrev_b64 v[50:51], v50, v[42:43]
	v_lshrrev_b32_e32 v53, 3, v49
	v_sub_u32_e32 v42, 29, v60
	v_and_b32_e32 v50, 7, v50
	v_cmp_gt_u32_e32 vcc, 8, v49
	v_cndmask_b32_e32 v42, v53, v42, vcc
	v_cndmask_b32_e32 v49, v52, v50, vcc
	v_lshlrev_b32_e32 v50, 16, v40
	v_lshlrev_b32_e32 v49, 20, v49
	v_and_b32_e32 v50, 0x80000000, v50
	v_lshl_add_u32 v42, v42, 23, v48
	v_or3_b32 v50, v50, v42, v49
.LBB635_463:                            ;   in Loop: Header=BB635_213 Depth=1
	s_or_b64 exec, exec, s[16:17]
.LBB635_464:                            ;   in Loop: Header=BB635_213 Depth=1
	s_or_b64 exec, exec, s[14:15]
.LBB635_465:                            ;   in Loop: Header=BB635_213 Depth=1
	s_or_b64 exec, exec, s[12:13]
	v_lshrrev_b32_e32 v42, 16, v40
	v_cmp_ne_u16_sdwa s[14:15], v42, v47 src0_sel:BYTE_0 src1_sel:DWORD
	s_and_saveexec_b64 s[12:13], s[14:15]
	s_cbranch_execz .LBB635_471
; %bb.466:                              ;   in Loop: Header=BB635_213 Depth=1
	v_cmp_ne_u16_sdwa s[16:17], v42, s9 src0_sel:BYTE_0 src1_sel:DWORD
	v_bfrev_b32_e32 v44, 1
	s_and_saveexec_b64 s[14:15], s[16:17]
	s_cbranch_execz .LBB635_470
; %bb.467:                              ;   in Loop: Header=BB635_213 Depth=1
	v_bfe_u32 v49, v40, 16, 7
	v_cmp_ne_u32_e32 vcc, s19, v49
	v_mov_b32_e32 v44, 0x7f800001
	s_and_saveexec_b64 s[16:17], vcc
	s_cbranch_execz .LBB635_469
; %bb.468:                              ;   in Loop: Header=BB635_213 Depth=1
	v_and_b32_e32 v44, 7, v42
	v_ffbh_u32_e32 v52, v44
	v_min_u32_e32 v60, 32, v52
	v_subrev_u32_e32 v52, 28, v60
	v_lshlrev_b64 v[52:53], v52, v[42:43]
	v_lshrrev_b32_e32 v51, 3, v49
	v_sub_u32_e32 v53, 29, v60
	v_and_b32_e32 v52, 7, v52
	v_cmp_gt_u32_e32 vcc, 8, v49
	v_cndmask_b32_e32 v49, v51, v53, vcc
	v_cndmask_b32_e32 v44, v44, v52, vcc
	v_lshlrev_b32_e32 v42, 24, v42
	v_lshlrev_b32_e32 v44, 20, v44
	v_and_b32_e32 v42, 0x80000000, v42
	v_lshl_add_u32 v49, v49, 23, v48
	v_or3_b32 v44, v42, v49, v44
.LBB635_469:                            ;   in Loop: Header=BB635_213 Depth=1
	s_or_b64 exec, exec, s[16:17]
.LBB635_470:                            ;   in Loop: Header=BB635_213 Depth=1
	s_or_b64 exec, exec, s[14:15]
.LBB635_471:                            ;   in Loop: Header=BB635_213 Depth=1
	s_or_b64 exec, exec, s[12:13]
	v_cmp_lt_u32_e32 vcc, s20, v40
	v_mov_b32_e32 v51, 0
	v_mov_b32_e32 v52, 0
	s_and_saveexec_b64 s[12:13], vcc
	s_cbranch_execz .LBB635_477
; %bb.472:                              ;   in Loop: Header=BB635_213 Depth=1
	v_lshrrev_b32_e32 v42, 24, v40
	v_cmp_ne_u32_e32 vcc, s9, v42
	v_bfrev_b32_e32 v52, 1
	s_and_saveexec_b64 s[14:15], vcc
	s_cbranch_execz .LBB635_476
; %bb.473:                              ;   in Loop: Header=BB635_213 Depth=1
	v_bfe_u32 v40, v40, 24, 7
	v_cmp_ne_u32_e32 vcc, s19, v40
	v_mov_b32_e32 v52, 0x7f800001
	s_and_saveexec_b64 s[16:17], vcc
	s_cbranch_execz .LBB635_475
; %bb.474:                              ;   in Loop: Header=BB635_213 Depth=1
	v_and_b32_e32 v49, 7, v42
	v_ffbh_u32_e32 v52, v49
	v_min_u32_e32 v61, 32, v52
	v_subrev_u32_e32 v52, 28, v61
	v_lshlrev_b64 v[52:53], v52, v[42:43]
	v_lshrrev_b32_e32 v60, 3, v40
	v_sub_u32_e32 v53, 29, v61
	v_and_b32_e32 v52, 7, v52
	v_cmp_gt_u32_e32 vcc, 8, v40
	v_cndmask_b32_e32 v40, v60, v53, vcc
	v_cndmask_b32_e32 v49, v49, v52, vcc
	v_lshlrev_b32_e32 v42, 24, v42
	v_lshlrev_b32_e32 v49, 20, v49
	v_and_b32_e32 v42, 0x80000000, v42
	v_lshl_add_u32 v40, v40, 23, v48
	v_or3_b32 v52, v42, v40, v49
.LBB635_475:                            ;   in Loop: Header=BB635_213 Depth=1
	s_or_b64 exec, exec, s[16:17]
.LBB635_476:                            ;   in Loop: Header=BB635_213 Depth=1
	s_or_b64 exec, exec, s[14:15]
.LBB635_477:                            ;   in Loop: Header=BB635_213 Depth=1
	s_or_b64 exec, exec, s[12:13]
	s_waitcnt vmcnt(0)
	v_cmp_ne_u16_sdwa s[14:15], v38, v47 src0_sel:BYTE_0 src1_sel:DWORD
	s_and_saveexec_b64 s[12:13], s[14:15]
	s_cbranch_execz .LBB635_483
; %bb.478:                              ;   in Loop: Header=BB635_213 Depth=1
	v_cmp_ne_u16_sdwa s[16:17], v38, s9 src0_sel:BYTE_0 src1_sel:DWORD
	v_bfrev_b32_e32 v51, 1
	s_and_saveexec_b64 s[14:15], s[16:17]
	s_cbranch_execz .LBB635_482
; %bb.479:                              ;   in Loop: Header=BB635_213 Depth=1
	v_and_b32_e32 v40, 0x7f, v38
	v_cmp_ne_u32_e32 vcc, s19, v40
	v_mov_b32_e32 v51, 0x7f800001
	s_and_saveexec_b64 s[16:17], vcc
	s_cbranch_execz .LBB635_481
; %bb.480:                              ;   in Loop: Header=BB635_213 Depth=1
	v_and_b32_e32 v42, 7, v38
	v_ffbh_u32_e32 v51, v42
	v_min_u32_e32 v51, 32, v51
	v_subrev_u32_e32 v53, 28, v51
	v_lshlrev_b64 v[60:61], v53, v[38:39]
	v_lshrrev_b32_e32 v49, 3, v40
	v_sub_u32_e32 v51, 29, v51
	v_and_b32_e32 v53, 7, v60
	v_cmp_gt_u32_e32 vcc, 8, v40
	v_cndmask_b32_e32 v40, v49, v51, vcc
	v_cndmask_b32_e32 v42, v42, v53, vcc
	v_lshlrev_b32_e32 v49, 24, v38
	v_lshlrev_b32_e32 v42, 20, v42
	v_and_b32_e32 v49, 0x80000000, v49
	v_lshl_add_u32 v40, v40, 23, v48
	v_or3_b32 v51, v49, v40, v42
.LBB635_481:                            ;   in Loop: Header=BB635_213 Depth=1
	s_or_b64 exec, exec, s[16:17]
.LBB635_482:                            ;   in Loop: Header=BB635_213 Depth=1
	s_or_b64 exec, exec, s[14:15]
.LBB635_483:                            ;   in Loop: Header=BB635_213 Depth=1
	s_or_b64 exec, exec, s[12:13]
	v_lshrrev_b16_e32 v40, 8, v38
	v_cmp_ne_u16_e32 vcc, 0, v40
	v_mov_b32_e32 v53, 0
	v_mov_b32_e32 v60, 0
	s_and_saveexec_b64 s[12:13], vcc
	s_cbranch_execz .LBB635_489
; %bb.484:                              ;   in Loop: Header=BB635_213 Depth=1
	v_cmp_ne_u16_e32 vcc, s9, v40
	v_bfrev_b32_e32 v60, 1
	s_and_saveexec_b64 s[14:15], vcc
	s_cbranch_execz .LBB635_488
; %bb.485:                              ;   in Loop: Header=BB635_213 Depth=1
	v_and_b32_e32 v42, 0x7f, v40
	v_cmp_ne_u32_e32 vcc, s19, v42
	v_mov_b32_e32 v60, 0x7f800001
	s_and_saveexec_b64 s[16:17], vcc
	s_cbranch_execz .LBB635_487
; %bb.486:                              ;   in Loop: Header=BB635_213 Depth=1
	v_and_b32_e32 v49, 7, v40
	v_ffbh_u32_e32 v60, v49
	v_min_u32_e32 v63, 32, v60
	v_subrev_u32_e32 v60, 28, v63
	v_lshlrev_b64 v[60:61], v60, v[40:41]
	v_lshrrev_b32_e32 v62, 3, v42
	v_sub_u32_e32 v40, 29, v63
	v_and_b32_e32 v60, 7, v60
	v_cmp_gt_u32_e32 vcc, 8, v42
	v_cndmask_b32_e32 v40, v62, v40, vcc
	v_cndmask_b32_e32 v42, v49, v60, vcc
	v_lshlrev_b32_e32 v49, 16, v38
	v_lshlrev_b32_e32 v42, 20, v42
	v_and_b32_e32 v49, 0x80000000, v49
	v_lshl_add_u32 v40, v40, 23, v48
	v_or3_b32 v60, v49, v40, v42
.LBB635_487:                            ;   in Loop: Header=BB635_213 Depth=1
	s_or_b64 exec, exec, s[16:17]
.LBB635_488:                            ;   in Loop: Header=BB635_213 Depth=1
	s_or_b64 exec, exec, s[14:15]
.LBB635_489:                            ;   in Loop: Header=BB635_213 Depth=1
	s_or_b64 exec, exec, s[12:13]
	v_lshrrev_b32_e32 v40, 16, v38
	v_cmp_ne_u16_sdwa s[14:15], v40, v47 src0_sel:BYTE_0 src1_sel:DWORD
	s_and_saveexec_b64 s[12:13], s[14:15]
	s_cbranch_execz .LBB635_495
; %bb.490:                              ;   in Loop: Header=BB635_213 Depth=1
	v_cmp_ne_u16_sdwa s[16:17], v40, s9 src0_sel:BYTE_0 src1_sel:DWORD
	v_bfrev_b32_e32 v53, 1
	s_and_saveexec_b64 s[14:15], s[16:17]
	s_cbranch_execz .LBB635_494
; %bb.491:                              ;   in Loop: Header=BB635_213 Depth=1
	v_bfe_u32 v42, v38, 16, 7
	v_cmp_ne_u32_e32 vcc, s19, v42
	v_mov_b32_e32 v53, 0x7f800001
	s_and_saveexec_b64 s[16:17], vcc
	s_cbranch_execz .LBB635_493
; %bb.492:                              ;   in Loop: Header=BB635_213 Depth=1
	v_and_b32_e32 v49, 7, v40
	v_ffbh_u32_e32 v61, v49
	v_min_u32_e32 v61, 32, v61
	v_subrev_u32_e32 v62, 28, v61
	v_lshlrev_b64 v[62:63], v62, v[40:41]
	v_lshrrev_b32_e32 v53, 3, v42
	v_sub_u32_e32 v61, 29, v61
	v_and_b32_e32 v62, 7, v62
	v_cmp_gt_u32_e32 vcc, 8, v42
	v_cndmask_b32_e32 v42, v53, v61, vcc
	v_cndmask_b32_e32 v49, v49, v62, vcc
	v_lshlrev_b32_e32 v40, 24, v40
	v_lshlrev_b32_e32 v49, 20, v49
	v_and_b32_e32 v40, 0x80000000, v40
	v_lshl_add_u32 v42, v42, 23, v48
	v_or3_b32 v53, v40, v42, v49
.LBB635_493:                            ;   in Loop: Header=BB635_213 Depth=1
	s_or_b64 exec, exec, s[16:17]
.LBB635_494:                            ;   in Loop: Header=BB635_213 Depth=1
	s_or_b64 exec, exec, s[14:15]
.LBB635_495:                            ;   in Loop: Header=BB635_213 Depth=1
	s_or_b64 exec, exec, s[12:13]
	v_cmp_lt_u32_e32 vcc, s20, v38
	v_mov_b32_e32 v49, 0
	v_mov_b32_e32 v61, 0
	s_and_saveexec_b64 s[12:13], vcc
	s_cbranch_execz .LBB635_501
; %bb.496:                              ;   in Loop: Header=BB635_213 Depth=1
	v_lshrrev_b32_e32 v40, 24, v38
	v_cmp_ne_u32_e32 vcc, s9, v40
	v_bfrev_b32_e32 v61, 1
	s_and_saveexec_b64 s[14:15], vcc
	s_cbranch_execz .LBB635_500
; %bb.497:                              ;   in Loop: Header=BB635_213 Depth=1
	v_bfe_u32 v38, v38, 24, 7
	v_cmp_ne_u32_e32 vcc, s19, v38
	v_mov_b32_e32 v61, 0x7f800001
	s_and_saveexec_b64 s[16:17], vcc
	s_cbranch_execz .LBB635_499
; %bb.498:                              ;   in Loop: Header=BB635_213 Depth=1
	v_and_b32_e32 v42, 7, v40
	v_ffbh_u32_e32 v62, v42
	v_min_u32_e32 v64, 32, v62
	v_subrev_u32_e32 v62, 28, v64
	v_lshlrev_b64 v[62:63], v62, v[40:41]
	v_lshrrev_b32_e32 v61, 3, v38
	v_sub_u32_e32 v63, 29, v64
	v_and_b32_e32 v62, 7, v62
	v_cmp_gt_u32_e32 vcc, 8, v38
	v_cndmask_b32_e32 v38, v61, v63, vcc
	v_cndmask_b32_e32 v42, v42, v62, vcc
	v_lshlrev_b32_e32 v40, 24, v40
	v_lshlrev_b32_e32 v42, 20, v42
	v_and_b32_e32 v40, 0x80000000, v40
	v_lshl_add_u32 v38, v38, 23, v48
	v_or3_b32 v61, v40, v38, v42
.LBB635_499:                            ;   in Loop: Header=BB635_213 Depth=1
	s_or_b64 exec, exec, s[16:17]
.LBB635_500:                            ;   in Loop: Header=BB635_213 Depth=1
	s_or_b64 exec, exec, s[14:15]
.LBB635_501:                            ;   in Loop: Header=BB635_213 Depth=1
	s_or_b64 exec, exec, s[12:13]
	v_cvt_pkrtz_f16_f32 v63, v44, v52
	buffer_load_dword v44, v59, s[0:3], 0 offen
	buffer_load_dword v42, v59, s[0:3], 0 offen offset:4
	buffer_load_dword v40, v59, s[0:3], 0 offen offset:8
	;; [unrolled: 1-line block ×3, first 2 shown]
	v_cvt_pkrtz_f16_f32 v62, v46, v50
	v_cvt_pkrtz_f16_f32 v50, v51, v60
	;; [unrolled: 1-line block ×3, first 2 shown]
	v_mfma_f32_16x16x16f16 v[34:37], v[62:63], v[22:23], v[34:37]
	s_waitcnt vmcnt(3)
	v_cmp_ne_u16_sdwa s[14:15], v44, v47 src0_sel:BYTE_0 src1_sel:DWORD
	v_mfma_f32_16x16x16f16 v[34:37], v[50:51], v[24:25], v[34:37]
	s_and_saveexec_b64 s[12:13], s[14:15]
	s_cbranch_execz .LBB635_507
; %bb.502:                              ;   in Loop: Header=BB635_213 Depth=1
	v_cmp_ne_u16_sdwa s[16:17], v44, s9 src0_sel:BYTE_0 src1_sel:DWORD
	v_bfrev_b32_e32 v49, 1
	s_and_saveexec_b64 s[14:15], s[16:17]
	s_cbranch_execz .LBB635_506
; %bb.503:                              ;   in Loop: Header=BB635_213 Depth=1
	v_and_b32_e32 v46, 0x7f, v44
	v_cmp_ne_u32_e32 vcc, s19, v46
	v_mov_b32_e32 v49, 0x7f800001
	s_and_saveexec_b64 s[16:17], vcc
	s_cbranch_execz .LBB635_505
; %bb.504:                              ;   in Loop: Header=BB635_213 Depth=1
	v_and_b32_e32 v49, 7, v44
	v_ffbh_u32_e32 v50, v49
	v_min_u32_e32 v53, 32, v50
	v_subrev_u32_e32 v50, 28, v53
	v_lshlrev_b64 v[50:51], v50, v[44:45]
	v_lshrrev_b32_e32 v52, 3, v46
	v_sub_u32_e32 v51, 29, v53
	v_and_b32_e32 v50, 7, v50
	v_cmp_gt_u32_e32 vcc, 8, v46
	v_cndmask_b32_e32 v46, v52, v51, vcc
	v_cndmask_b32_e32 v49, v49, v50, vcc
	v_lshlrev_b32_e32 v50, 24, v44
	v_lshlrev_b32_e32 v49, 20, v49
	v_and_b32_e32 v50, 0x80000000, v50
	v_lshl_add_u32 v46, v46, 23, v48
	v_or3_b32 v49, v50, v46, v49
.LBB635_505:                            ;   in Loop: Header=BB635_213 Depth=1
	s_or_b64 exec, exec, s[16:17]
.LBB635_506:                            ;   in Loop: Header=BB635_213 Depth=1
	s_or_b64 exec, exec, s[14:15]
.LBB635_507:                            ;   in Loop: Header=BB635_213 Depth=1
	s_or_b64 exec, exec, s[12:13]
	v_lshrrev_b16_e32 v46, 8, v44
	v_cmp_ne_u16_e32 vcc, 0, v46
	v_mov_b32_e32 v50, 0
	v_mov_b32_e32 v51, 0
	s_and_saveexec_b64 s[12:13], vcc
	s_cbranch_execz .LBB635_513
; %bb.508:                              ;   in Loop: Header=BB635_213 Depth=1
	v_cmp_ne_u16_e32 vcc, s9, v46
	v_bfrev_b32_e32 v51, 1
	s_and_saveexec_b64 s[14:15], vcc
	s_cbranch_execz .LBB635_512
; %bb.509:                              ;   in Loop: Header=BB635_213 Depth=1
	v_and_b32_e32 v52, 0x7f, v46
	v_cmp_ne_u32_e32 vcc, s19, v52
	v_mov_b32_e32 v51, 0x7f800001
	s_and_saveexec_b64 s[16:17], vcc
	s_cbranch_execz .LBB635_511
; %bb.510:                              ;   in Loop: Header=BB635_213 Depth=1
	v_and_b32_e32 v51, 7, v46
	v_ffbh_u32_e32 v59, v51
	v_min_u32_e32 v59, 32, v59
	v_subrev_u32_e32 v60, 28, v59
	v_lshlrev_b64 v[60:61], v60, v[46:47]
	v_lshrrev_b32_e32 v53, 3, v52
	v_sub_u32_e32 v46, 29, v59
	v_and_b32_e32 v59, 7, v60
	v_cmp_gt_u32_e32 vcc, 8, v52
	v_cndmask_b32_e32 v46, v53, v46, vcc
	v_cndmask_b32_e32 v51, v51, v59, vcc
	v_lshlrev_b32_e32 v52, 16, v44
	v_lshlrev_b32_e32 v51, 20, v51
	v_and_b32_e32 v52, 0x80000000, v52
	v_lshl_add_u32 v46, v46, 23, v48
	v_or3_b32 v51, v52, v46, v51
.LBB635_511:                            ;   in Loop: Header=BB635_213 Depth=1
	s_or_b64 exec, exec, s[16:17]
.LBB635_512:                            ;   in Loop: Header=BB635_213 Depth=1
	s_or_b64 exec, exec, s[14:15]
.LBB635_513:                            ;   in Loop: Header=BB635_213 Depth=1
	s_or_b64 exec, exec, s[12:13]
	v_lshrrev_b32_e32 v46, 16, v44
	v_cmp_ne_u16_sdwa s[14:15], v46, v47 src0_sel:BYTE_0 src1_sel:DWORD
	s_and_saveexec_b64 s[12:13], s[14:15]
	s_cbranch_execz .LBB635_519
; %bb.514:                              ;   in Loop: Header=BB635_213 Depth=1
	v_cmp_ne_u16_sdwa s[16:17], v46, s9 src0_sel:BYTE_0 src1_sel:DWORD
	v_bfrev_b32_e32 v50, 1
	s_and_saveexec_b64 s[14:15], s[16:17]
	s_cbranch_execz .LBB635_518
; %bb.515:                              ;   in Loop: Header=BB635_213 Depth=1
	v_bfe_u32 v52, v44, 16, 7
	v_cmp_ne_u32_e32 vcc, s19, v52
	v_mov_b32_e32 v50, 0x7f800001
	s_and_saveexec_b64 s[16:17], vcc
	s_cbranch_execz .LBB635_517
; %bb.516:                              ;   in Loop: Header=BB635_213 Depth=1
	v_and_b32_e32 v50, 7, v46
	v_ffbh_u32_e32 v59, v50
	v_min_u32_e32 v59, 32, v59
	v_subrev_u32_e32 v60, 28, v59
	v_lshlrev_b64 v[60:61], v60, v[46:47]
	v_lshrrev_b32_e32 v53, 3, v52
	v_sub_u32_e32 v59, 29, v59
	v_and_b32_e32 v60, 7, v60
	v_cmp_gt_u32_e32 vcc, 8, v52
	v_cndmask_b32_e32 v52, v53, v59, vcc
	v_cndmask_b32_e32 v50, v50, v60, vcc
	v_lshlrev_b32_e32 v46, 24, v46
	v_lshlrev_b32_e32 v50, 20, v50
	v_and_b32_e32 v46, 0x80000000, v46
	v_lshl_add_u32 v52, v52, 23, v48
	v_or3_b32 v50, v46, v52, v50
.LBB635_517:                            ;   in Loop: Header=BB635_213 Depth=1
	s_or_b64 exec, exec, s[16:17]
.LBB635_518:                            ;   in Loop: Header=BB635_213 Depth=1
	s_or_b64 exec, exec, s[14:15]
.LBB635_519:                            ;   in Loop: Header=BB635_213 Depth=1
	s_or_b64 exec, exec, s[12:13]
	v_cmp_lt_u32_e32 vcc, s20, v44
	v_mov_b32_e32 v52, 0
	v_mov_b32_e32 v53, 0
	s_and_saveexec_b64 s[12:13], vcc
	s_cbranch_execz .LBB635_525
; %bb.520:                              ;   in Loop: Header=BB635_213 Depth=1
	v_lshrrev_b32_e32 v46, 24, v44
	v_cmp_ne_u32_e32 vcc, s9, v46
	v_bfrev_b32_e32 v53, 1
	s_and_saveexec_b64 s[14:15], vcc
	s_cbranch_execz .LBB635_524
; %bb.521:                              ;   in Loop: Header=BB635_213 Depth=1
	v_bfe_u32 v44, v44, 24, 7
	v_cmp_ne_u32_e32 vcc, s19, v44
	v_mov_b32_e32 v53, 0x7f800001
	s_and_saveexec_b64 s[16:17], vcc
	s_cbranch_execz .LBB635_523
; %bb.522:                              ;   in Loop: Header=BB635_213 Depth=1
	v_and_b32_e32 v53, 7, v46
	v_ffbh_u32_e32 v60, v53
	v_min_u32_e32 v62, 32, v60
	v_subrev_u32_e32 v60, 28, v62
	v_lshlrev_b64 v[60:61], v60, v[46:47]
	v_lshrrev_b32_e32 v59, 3, v44
	v_sub_u32_e32 v61, 29, v62
	v_and_b32_e32 v60, 7, v60
	v_cmp_gt_u32_e32 vcc, 8, v44
	v_cndmask_b32_e32 v44, v59, v61, vcc
	v_cndmask_b32_e32 v53, v53, v60, vcc
	v_lshlrev_b32_e32 v46, 24, v46
	v_lshlrev_b32_e32 v53, 20, v53
	v_and_b32_e32 v46, 0x80000000, v46
	v_lshl_add_u32 v44, v44, 23, v48
	v_or3_b32 v53, v46, v44, v53
.LBB635_523:                            ;   in Loop: Header=BB635_213 Depth=1
	s_or_b64 exec, exec, s[16:17]
.LBB635_524:                            ;   in Loop: Header=BB635_213 Depth=1
	s_or_b64 exec, exec, s[14:15]
.LBB635_525:                            ;   in Loop: Header=BB635_213 Depth=1
	s_or_b64 exec, exec, s[12:13]
	s_waitcnt vmcnt(2)
	v_cmp_ne_u16_sdwa s[14:15], v42, v47 src0_sel:BYTE_0 src1_sel:DWORD
	s_and_saveexec_b64 s[12:13], s[14:15]
	s_cbranch_execz .LBB635_531
; %bb.526:                              ;   in Loop: Header=BB635_213 Depth=1
	v_cmp_ne_u16_sdwa s[16:17], v42, s9 src0_sel:BYTE_0 src1_sel:DWORD
	v_bfrev_b32_e32 v52, 1
	s_and_saveexec_b64 s[14:15], s[16:17]
	s_cbranch_execz .LBB635_530
; %bb.527:                              ;   in Loop: Header=BB635_213 Depth=1
	v_and_b32_e32 v44, 0x7f, v42
	v_cmp_ne_u32_e32 vcc, s19, v44
	v_mov_b32_e32 v52, 0x7f800001
	s_and_saveexec_b64 s[16:17], vcc
	s_cbranch_execz .LBB635_529
; %bb.528:                              ;   in Loop: Header=BB635_213 Depth=1
	v_and_b32_e32 v46, 7, v42
	v_ffbh_u32_e32 v59, v46
	v_min_u32_e32 v59, 32, v59
	v_subrev_u32_e32 v60, 28, v59
	v_lshlrev_b64 v[60:61], v60, v[42:43]
	v_lshrrev_b32_e32 v52, 3, v44
	v_sub_u32_e32 v59, 29, v59
	v_and_b32_e32 v60, 7, v60
	v_cmp_gt_u32_e32 vcc, 8, v44
	v_cndmask_b32_e32 v44, v52, v59, vcc
	v_cndmask_b32_e32 v46, v46, v60, vcc
	v_lshlrev_b32_e32 v52, 24, v42
	v_lshlrev_b32_e32 v46, 20, v46
	v_and_b32_e32 v52, 0x80000000, v52
	v_lshl_add_u32 v44, v44, 23, v48
	v_or3_b32 v52, v52, v44, v46
.LBB635_529:                            ;   in Loop: Header=BB635_213 Depth=1
	s_or_b64 exec, exec, s[16:17]
.LBB635_530:                            ;   in Loop: Header=BB635_213 Depth=1
	s_or_b64 exec, exec, s[14:15]
.LBB635_531:                            ;   in Loop: Header=BB635_213 Depth=1
	s_or_b64 exec, exec, s[12:13]
	v_lshrrev_b16_e32 v44, 8, v42
	v_cmp_ne_u16_e32 vcc, 0, v44
	v_mov_b32_e32 v59, 0
	v_mov_b32_e32 v60, 0
	s_and_saveexec_b64 s[12:13], vcc
	s_cbranch_execz .LBB635_537
; %bb.532:                              ;   in Loop: Header=BB635_213 Depth=1
	v_cmp_ne_u16_e32 vcc, s9, v44
	v_bfrev_b32_e32 v60, 1
	s_and_saveexec_b64 s[14:15], vcc
	s_cbranch_execz .LBB635_536
; %bb.533:                              ;   in Loop: Header=BB635_213 Depth=1
	v_and_b32_e32 v46, 0x7f, v44
	v_cmp_ne_u32_e32 vcc, s19, v46
	v_mov_b32_e32 v60, 0x7f800001
	s_and_saveexec_b64 s[16:17], vcc
	s_cbranch_execz .LBB635_535
; %bb.534:                              ;   in Loop: Header=BB635_213 Depth=1
	v_and_b32_e32 v62, 7, v44
	v_ffbh_u32_e32 v60, v62
	v_min_u32_e32 v64, 32, v60
	v_subrev_u32_e32 v60, 28, v64
	v_lshlrev_b64 v[60:61], v60, v[44:45]
	v_lshrrev_b32_e32 v63, 3, v46
	v_sub_u32_e32 v44, 29, v64
	v_and_b32_e32 v60, 7, v60
	v_cmp_gt_u32_e32 vcc, 8, v46
	v_cndmask_b32_e32 v44, v63, v44, vcc
	v_cndmask_b32_e32 v46, v62, v60, vcc
	v_lshlrev_b32_e32 v60, 16, v42
	v_lshlrev_b32_e32 v46, 20, v46
	v_and_b32_e32 v60, 0x80000000, v60
	v_lshl_add_u32 v44, v44, 23, v48
	v_or3_b32 v60, v60, v44, v46
.LBB635_535:                            ;   in Loop: Header=BB635_213 Depth=1
	s_or_b64 exec, exec, s[16:17]
.LBB635_536:                            ;   in Loop: Header=BB635_213 Depth=1
	s_or_b64 exec, exec, s[14:15]
.LBB635_537:                            ;   in Loop: Header=BB635_213 Depth=1
	s_or_b64 exec, exec, s[12:13]
	v_lshrrev_b32_e32 v44, 16, v42
	v_cmp_ne_u16_sdwa s[14:15], v44, v47 src0_sel:BYTE_0 src1_sel:DWORD
	s_and_saveexec_b64 s[12:13], s[14:15]
	s_cbranch_execz .LBB635_543
; %bb.538:                              ;   in Loop: Header=BB635_213 Depth=1
	v_cmp_ne_u16_sdwa s[16:17], v44, s9 src0_sel:BYTE_0 src1_sel:DWORD
	v_bfrev_b32_e32 v59, 1
	s_and_saveexec_b64 s[14:15], s[16:17]
	s_cbranch_execz .LBB635_542
; %bb.539:                              ;   in Loop: Header=BB635_213 Depth=1
	v_bfe_u32 v46, v42, 16, 7
	v_cmp_ne_u32_e32 vcc, s19, v46
	v_mov_b32_e32 v59, 0x7f800001
	s_and_saveexec_b64 s[16:17], vcc
	s_cbranch_execz .LBB635_541
; %bb.540:                              ;   in Loop: Header=BB635_213 Depth=1
	v_and_b32_e32 v59, 7, v44
	v_ffbh_u32_e32 v62, v59
	v_min_u32_e32 v64, 32, v62
	v_subrev_u32_e32 v62, 28, v64
	v_lshlrev_b64 v[62:63], v62, v[44:45]
	v_lshrrev_b32_e32 v61, 3, v46
	v_sub_u32_e32 v63, 29, v64
	v_and_b32_e32 v62, 7, v62
	v_cmp_gt_u32_e32 vcc, 8, v46
	v_cndmask_b32_e32 v46, v61, v63, vcc
	v_cndmask_b32_e32 v59, v59, v62, vcc
	v_lshlrev_b32_e32 v44, 24, v44
	v_lshlrev_b32_e32 v59, 20, v59
	v_and_b32_e32 v44, 0x80000000, v44
	v_lshl_add_u32 v46, v46, 23, v48
	v_or3_b32 v59, v44, v46, v59
.LBB635_541:                            ;   in Loop: Header=BB635_213 Depth=1
	s_or_b64 exec, exec, s[16:17]
.LBB635_542:                            ;   in Loop: Header=BB635_213 Depth=1
	s_or_b64 exec, exec, s[14:15]
.LBB635_543:                            ;   in Loop: Header=BB635_213 Depth=1
	s_or_b64 exec, exec, s[12:13]
	v_cmp_lt_u32_e32 vcc, s20, v42
	v_mov_b32_e32 v46, 0
	v_mov_b32_e32 v61, 0
	s_and_saveexec_b64 s[12:13], vcc
	s_cbranch_execz .LBB635_549
; %bb.544:                              ;   in Loop: Header=BB635_213 Depth=1
	v_lshrrev_b32_e32 v44, 24, v42
	v_cmp_ne_u32_e32 vcc, s9, v44
	v_bfrev_b32_e32 v61, 1
	s_and_saveexec_b64 s[14:15], vcc
	s_cbranch_execz .LBB635_548
; %bb.545:                              ;   in Loop: Header=BB635_213 Depth=1
	v_bfe_u32 v42, v42, 24, 7
	v_cmp_ne_u32_e32 vcc, s19, v42
	v_mov_b32_e32 v61, 0x7f800001
	s_and_saveexec_b64 s[16:17], vcc
	s_cbranch_execz .LBB635_547
; %bb.546:                              ;   in Loop: Header=BB635_213 Depth=1
	v_and_b32_e32 v61, 7, v44
	v_ffbh_u32_e32 v62, v61
	v_min_u32_e32 v65, 32, v62
	v_subrev_u32_e32 v62, 28, v65
	v_lshlrev_b64 v[62:63], v62, v[44:45]
	v_lshrrev_b32_e32 v64, 3, v42
	v_sub_u32_e32 v63, 29, v65
	v_and_b32_e32 v62, 7, v62
	v_cmp_gt_u32_e32 vcc, 8, v42
	v_cndmask_b32_e32 v42, v64, v63, vcc
	v_cndmask_b32_e32 v61, v61, v62, vcc
	v_lshlrev_b32_e32 v44, 24, v44
	v_lshlrev_b32_e32 v61, 20, v61
	v_and_b32_e32 v44, 0x80000000, v44
	v_lshl_add_u32 v42, v42, 23, v48
	v_or3_b32 v61, v44, v42, v61
.LBB635_547:                            ;   in Loop: Header=BB635_213 Depth=1
	s_or_b64 exec, exec, s[16:17]
.LBB635_548:                            ;   in Loop: Header=BB635_213 Depth=1
	s_or_b64 exec, exec, s[14:15]
.LBB635_549:                            ;   in Loop: Header=BB635_213 Depth=1
	s_or_b64 exec, exec, s[12:13]
	v_cvt_pkrtz_f16_f32 v62, v49, v51
	v_cvt_pkrtz_f16_f32 v63, v50, v53
	;; [unrolled: 1-line block ×4, first 2 shown]
	s_waitcnt vmcnt(1)
	v_cmp_ne_u16_sdwa s[14:15], v40, v47 src0_sel:BYTE_0 src1_sel:DWORD
	v_mfma_f32_16x16x16f16 v[34:37], v[62:63], v[26:27], v[34:37]
	v_mfma_f32_16x16x16f16 v[34:37], v[50:51], v[28:29], v[34:37]
	s_and_saveexec_b64 s[12:13], s[14:15]
	s_cbranch_execz .LBB635_555
; %bb.550:                              ;   in Loop: Header=BB635_213 Depth=1
	v_cmp_ne_u16_sdwa s[16:17], v40, s9 src0_sel:BYTE_0 src1_sel:DWORD
	v_bfrev_b32_e32 v46, 1
	s_and_saveexec_b64 s[14:15], s[16:17]
	s_cbranch_execz .LBB635_554
; %bb.551:                              ;   in Loop: Header=BB635_213 Depth=1
	v_and_b32_e32 v42, 0x7f, v40
	v_cmp_ne_u32_e32 vcc, s19, v42
	v_mov_b32_e32 v46, 0x7f800001
	s_and_saveexec_b64 s[16:17], vcc
	s_cbranch_execz .LBB635_553
; %bb.552:                              ;   in Loop: Header=BB635_213 Depth=1
	v_and_b32_e32 v44, 7, v40
	v_ffbh_u32_e32 v49, v44
	v_min_u32_e32 v49, 32, v49
	v_subrev_u32_e32 v50, 28, v49
	v_lshlrev_b64 v[50:51], v50, v[40:41]
	v_lshrrev_b32_e32 v46, 3, v42
	v_sub_u32_e32 v49, 29, v49
	v_and_b32_e32 v50, 7, v50
	v_cmp_gt_u32_e32 vcc, 8, v42
	v_cndmask_b32_e32 v42, v46, v49, vcc
	v_cndmask_b32_e32 v44, v44, v50, vcc
	v_lshlrev_b32_e32 v46, 24, v40
	v_lshlrev_b32_e32 v44, 20, v44
	v_and_b32_e32 v46, 0x80000000, v46
	v_lshl_add_u32 v42, v42, 23, v48
	v_or3_b32 v46, v46, v42, v44
.LBB635_553:                            ;   in Loop: Header=BB635_213 Depth=1
	s_or_b64 exec, exec, s[16:17]
.LBB635_554:                            ;   in Loop: Header=BB635_213 Depth=1
	s_or_b64 exec, exec, s[14:15]
.LBB635_555:                            ;   in Loop: Header=BB635_213 Depth=1
	s_or_b64 exec, exec, s[12:13]
	v_lshrrev_b16_e32 v42, 8, v40
	v_cmp_ne_u16_e32 vcc, 0, v42
	v_mov_b32_e32 v44, 0
	v_mov_b32_e32 v49, 0
	s_and_saveexec_b64 s[12:13], vcc
	s_cbranch_execz .LBB635_561
; %bb.556:                              ;   in Loop: Header=BB635_213 Depth=1
	v_cmp_ne_u16_e32 vcc, s9, v42
	v_bfrev_b32_e32 v49, 1
	s_and_saveexec_b64 s[14:15], vcc
	s_cbranch_execz .LBB635_560
; %bb.557:                              ;   in Loop: Header=BB635_213 Depth=1
	v_and_b32_e32 v50, 0x7f, v42
	v_cmp_ne_u32_e32 vcc, s19, v50
	v_mov_b32_e32 v49, 0x7f800001
	s_and_saveexec_b64 s[16:17], vcc
	s_cbranch_execz .LBB635_559
; %bb.558:                              ;   in Loop: Header=BB635_213 Depth=1
	v_and_b32_e32 v49, 7, v42
	v_ffbh_u32_e32 v52, v49
	v_min_u32_e32 v59, 32, v52
	v_subrev_u32_e32 v52, 28, v59
	v_lshlrev_b64 v[52:53], v52, v[42:43]
	v_lshrrev_b32_e32 v51, 3, v50
	v_sub_u32_e32 v42, 29, v59
	v_and_b32_e32 v52, 7, v52
	v_cmp_gt_u32_e32 vcc, 8, v50
	v_cndmask_b32_e32 v42, v51, v42, vcc
	v_cndmask_b32_e32 v49, v49, v52, vcc
	v_lshlrev_b32_e32 v50, 16, v40
	v_lshlrev_b32_e32 v49, 20, v49
	v_and_b32_e32 v50, 0x80000000, v50
	v_lshl_add_u32 v42, v42, 23, v48
	v_or3_b32 v49, v50, v42, v49
.LBB635_559:                            ;   in Loop: Header=BB635_213 Depth=1
	s_or_b64 exec, exec, s[16:17]
.LBB635_560:                            ;   in Loop: Header=BB635_213 Depth=1
	s_or_b64 exec, exec, s[14:15]
.LBB635_561:                            ;   in Loop: Header=BB635_213 Depth=1
	s_or_b64 exec, exec, s[12:13]
	v_lshrrev_b32_e32 v42, 16, v40
	v_cmp_ne_u16_sdwa s[14:15], v42, v47 src0_sel:BYTE_0 src1_sel:DWORD
	s_and_saveexec_b64 s[12:13], s[14:15]
	s_cbranch_execz .LBB635_567
; %bb.562:                              ;   in Loop: Header=BB635_213 Depth=1
	v_cmp_ne_u16_sdwa s[16:17], v42, s9 src0_sel:BYTE_0 src1_sel:DWORD
	v_bfrev_b32_e32 v44, 1
	s_and_saveexec_b64 s[14:15], s[16:17]
	s_cbranch_execz .LBB635_566
; %bb.563:                              ;   in Loop: Header=BB635_213 Depth=1
	v_bfe_u32 v50, v40, 16, 7
	v_cmp_ne_u32_e32 vcc, s19, v50
	v_mov_b32_e32 v44, 0x7f800001
	s_and_saveexec_b64 s[16:17], vcc
	s_cbranch_execz .LBB635_565
; %bb.564:                              ;   in Loop: Header=BB635_213 Depth=1
	v_and_b32_e32 v44, 7, v42
	v_ffbh_u32_e32 v52, v44
	v_min_u32_e32 v59, 32, v52
	v_subrev_u32_e32 v52, 28, v59
	v_lshlrev_b64 v[52:53], v52, v[42:43]
	v_lshrrev_b32_e32 v51, 3, v50
	v_sub_u32_e32 v53, 29, v59
	v_and_b32_e32 v52, 7, v52
	v_cmp_gt_u32_e32 vcc, 8, v50
	v_cndmask_b32_e32 v50, v51, v53, vcc
	v_cndmask_b32_e32 v44, v44, v52, vcc
	v_lshlrev_b32_e32 v42, 24, v42
	v_lshlrev_b32_e32 v44, 20, v44
	v_and_b32_e32 v42, 0x80000000, v42
	v_lshl_add_u32 v50, v50, 23, v48
	v_or3_b32 v44, v42, v50, v44
.LBB635_565:                            ;   in Loop: Header=BB635_213 Depth=1
	s_or_b64 exec, exec, s[16:17]
.LBB635_566:                            ;   in Loop: Header=BB635_213 Depth=1
	s_or_b64 exec, exec, s[14:15]
.LBB635_567:                            ;   in Loop: Header=BB635_213 Depth=1
	s_or_b64 exec, exec, s[12:13]
	v_cmp_lt_u32_e32 vcc, s20, v40
	v_mov_b32_e32 v50, 0
	v_mov_b32_e32 v51, 0
	s_and_saveexec_b64 s[12:13], vcc
	s_cbranch_execz .LBB635_573
; %bb.568:                              ;   in Loop: Header=BB635_213 Depth=1
	v_lshrrev_b32_e32 v42, 24, v40
	v_cmp_ne_u32_e32 vcc, s9, v42
	v_bfrev_b32_e32 v51, 1
	s_and_saveexec_b64 s[14:15], vcc
	s_cbranch_execz .LBB635_572
; %bb.569:                              ;   in Loop: Header=BB635_213 Depth=1
	v_bfe_u32 v40, v40, 24, 7
	v_cmp_ne_u32_e32 vcc, s19, v40
	v_mov_b32_e32 v51, 0x7f800001
	s_and_saveexec_b64 s[16:17], vcc
	s_cbranch_execz .LBB635_571
; %bb.570:                              ;   in Loop: Header=BB635_213 Depth=1
	v_and_b32_e32 v51, 7, v42
	v_ffbh_u32_e32 v52, v51
	v_min_u32_e32 v60, 32, v52
	v_subrev_u32_e32 v52, 28, v60
	v_lshlrev_b64 v[52:53], v52, v[42:43]
	v_lshrrev_b32_e32 v59, 3, v40
	v_sub_u32_e32 v53, 29, v60
	v_and_b32_e32 v52, 7, v52
	v_cmp_gt_u32_e32 vcc, 8, v40
	v_cndmask_b32_e32 v40, v59, v53, vcc
	v_cndmask_b32_e32 v51, v51, v52, vcc
	v_lshlrev_b32_e32 v42, 24, v42
	v_lshlrev_b32_e32 v51, 20, v51
	v_and_b32_e32 v42, 0x80000000, v42
	v_lshl_add_u32 v40, v40, 23, v48
	v_or3_b32 v51, v42, v40, v51
.LBB635_571:                            ;   in Loop: Header=BB635_213 Depth=1
	s_or_b64 exec, exec, s[16:17]
.LBB635_572:                            ;   in Loop: Header=BB635_213 Depth=1
	s_or_b64 exec, exec, s[14:15]
.LBB635_573:                            ;   in Loop: Header=BB635_213 Depth=1
	s_or_b64 exec, exec, s[12:13]
	s_waitcnt vmcnt(0)
	v_cmp_ne_u16_sdwa s[14:15], v38, v47 src0_sel:BYTE_0 src1_sel:DWORD
	s_and_saveexec_b64 s[12:13], s[14:15]
	s_cbranch_execz .LBB635_579
; %bb.574:                              ;   in Loop: Header=BB635_213 Depth=1
	v_cmp_ne_u16_sdwa s[16:17], v38, s9 src0_sel:BYTE_0 src1_sel:DWORD
	v_bfrev_b32_e32 v50, 1
	s_and_saveexec_b64 s[14:15], s[16:17]
	s_cbranch_execz .LBB635_578
; %bb.575:                              ;   in Loop: Header=BB635_213 Depth=1
	v_and_b32_e32 v40, 0x7f, v38
	v_cmp_ne_u32_e32 vcc, s19, v40
	v_mov_b32_e32 v50, 0x7f800001
	s_and_saveexec_b64 s[16:17], vcc
	s_cbranch_execz .LBB635_577
; %bb.576:                              ;   in Loop: Header=BB635_213 Depth=1
	v_and_b32_e32 v42, 7, v38
	v_ffbh_u32_e32 v52, v42
	v_min_u32_e32 v59, 32, v52
	v_subrev_u32_e32 v52, 28, v59
	v_lshlrev_b64 v[52:53], v52, v[38:39]
	v_lshrrev_b32_e32 v50, 3, v40
	v_sub_u32_e32 v53, 29, v59
	v_and_b32_e32 v52, 7, v52
	v_cmp_gt_u32_e32 vcc, 8, v40
	v_cndmask_b32_e32 v40, v50, v53, vcc
	v_cndmask_b32_e32 v42, v42, v52, vcc
	v_lshlrev_b32_e32 v50, 24, v38
	v_lshlrev_b32_e32 v42, 20, v42
	v_and_b32_e32 v50, 0x80000000, v50
	v_lshl_add_u32 v40, v40, 23, v48
	v_or3_b32 v50, v50, v40, v42
.LBB635_577:                            ;   in Loop: Header=BB635_213 Depth=1
	s_or_b64 exec, exec, s[16:17]
.LBB635_578:                            ;   in Loop: Header=BB635_213 Depth=1
	s_or_b64 exec, exec, s[14:15]
.LBB635_579:                            ;   in Loop: Header=BB635_213 Depth=1
	s_or_b64 exec, exec, s[12:13]
	v_lshrrev_b16_e32 v40, 8, v38
	v_cmp_ne_u16_e32 vcc, 0, v40
	v_mov_b32_e32 v42, 0
	v_mov_b32_e32 v52, 0
	s_and_saveexec_b64 s[12:13], vcc
	s_cbranch_execz .LBB635_585
; %bb.580:                              ;   in Loop: Header=BB635_213 Depth=1
	v_cmp_ne_u16_e32 vcc, s9, v40
	v_bfrev_b32_e32 v52, 1
	s_and_saveexec_b64 s[14:15], vcc
	s_cbranch_execz .LBB635_584
; %bb.581:                              ;   in Loop: Header=BB635_213 Depth=1
	v_and_b32_e32 v53, 0x7f, v40
	v_cmp_ne_u32_e32 vcc, s19, v53
	v_mov_b32_e32 v52, 0x7f800001
	s_and_saveexec_b64 s[16:17], vcc
	s_cbranch_execz .LBB635_583
; %bb.582:                              ;   in Loop: Header=BB635_213 Depth=1
	v_and_b32_e32 v52, 7, v40
	v_ffbh_u32_e32 v60, v52
	v_min_u32_e32 v62, 32, v60
	v_subrev_u32_e32 v60, 28, v62
	v_lshlrev_b64 v[60:61], v60, v[40:41]
	v_lshrrev_b32_e32 v59, 3, v53
	v_sub_u32_e32 v40, 29, v62
	v_and_b32_e32 v60, 7, v60
	v_cmp_gt_u32_e32 vcc, 8, v53
	v_cndmask_b32_e32 v40, v59, v40, vcc
	v_cndmask_b32_e32 v52, v52, v60, vcc
	v_lshlrev_b32_e32 v53, 16, v38
	v_lshlrev_b32_e32 v52, 20, v52
	v_and_b32_e32 v53, 0x80000000, v53
	v_lshl_add_u32 v40, v40, 23, v48
	v_or3_b32 v52, v53, v40, v52
.LBB635_583:                            ;   in Loop: Header=BB635_213 Depth=1
	s_or_b64 exec, exec, s[16:17]
.LBB635_584:                            ;   in Loop: Header=BB635_213 Depth=1
	s_or_b64 exec, exec, s[14:15]
.LBB635_585:                            ;   in Loop: Header=BB635_213 Depth=1
	s_or_b64 exec, exec, s[12:13]
	v_lshrrev_b32_e32 v40, 16, v38
	v_cmp_ne_u16_sdwa s[14:15], v40, v47 src0_sel:BYTE_0 src1_sel:DWORD
	s_and_saveexec_b64 s[12:13], s[14:15]
	s_cbranch_execz .LBB635_591
; %bb.586:                              ;   in Loop: Header=BB635_213 Depth=1
	v_cmp_ne_u16_sdwa s[16:17], v40, s9 src0_sel:BYTE_0 src1_sel:DWORD
	v_bfrev_b32_e32 v42, 1
	s_and_saveexec_b64 s[14:15], s[16:17]
	s_cbranch_execz .LBB635_590
; %bb.587:                              ;   in Loop: Header=BB635_213 Depth=1
	v_bfe_u32 v53, v38, 16, 7
	v_cmp_ne_u32_e32 vcc, s19, v53
	v_mov_b32_e32 v42, 0x7f800001
	s_and_saveexec_b64 s[16:17], vcc
	s_cbranch_execz .LBB635_589
; %bb.588:                              ;   in Loop: Header=BB635_213 Depth=1
	v_and_b32_e32 v42, 7, v40
	v_ffbh_u32_e32 v60, v42
	v_min_u32_e32 v62, 32, v60
	v_subrev_u32_e32 v60, 28, v62
	v_lshlrev_b64 v[60:61], v60, v[40:41]
	v_lshrrev_b32_e32 v59, 3, v53
	v_sub_u32_e32 v61, 29, v62
	v_and_b32_e32 v60, 7, v60
	v_cmp_gt_u32_e32 vcc, 8, v53
	v_cndmask_b32_e32 v53, v59, v61, vcc
	v_cndmask_b32_e32 v42, v42, v60, vcc
	v_lshlrev_b32_e32 v40, 24, v40
	v_lshlrev_b32_e32 v42, 20, v42
	v_and_b32_e32 v40, 0x80000000, v40
	v_lshl_add_u32 v53, v53, 23, v48
	v_or3_b32 v42, v40, v53, v42
.LBB635_589:                            ;   in Loop: Header=BB635_213 Depth=1
	s_or_b64 exec, exec, s[16:17]
.LBB635_590:                            ;   in Loop: Header=BB635_213 Depth=1
	s_or_b64 exec, exec, s[14:15]
.LBB635_591:                            ;   in Loop: Header=BB635_213 Depth=1
	s_or_b64 exec, exec, s[12:13]
	v_cmp_lt_u32_e32 vcc, s20, v38
	v_mov_b32_e32 v53, 0
	s_and_saveexec_b64 s[12:13], vcc
	s_cbranch_execz .LBB635_212
; %bb.592:                              ;   in Loop: Header=BB635_213 Depth=1
	v_lshrrev_b32_e32 v40, 24, v38
	v_cmp_ne_u32_e32 vcc, s9, v40
	v_bfrev_b32_e32 v53, 1
	s_and_saveexec_b64 s[14:15], vcc
	s_cbranch_execz .LBB635_211
; %bb.593:                              ;   in Loop: Header=BB635_213 Depth=1
	v_bfe_u32 v38, v38, 24, 7
	v_cmp_ne_u32_e32 vcc, s19, v38
	v_mov_b32_e32 v53, 0x7f800001
	s_and_saveexec_b64 s[16:17], vcc
	s_cbranch_execz .LBB635_210
; %bb.594:                              ;   in Loop: Header=BB635_213 Depth=1
	v_and_b32_e32 v53, 7, v40
	v_ffbh_u32_e32 v60, v53
	v_min_u32_e32 v62, 32, v60
	v_subrev_u32_e32 v60, 28, v62
	v_lshlrev_b64 v[60:61], v60, v[40:41]
	v_lshrrev_b32_e32 v59, 3, v38
	v_sub_u32_e32 v61, 29, v62
	v_and_b32_e32 v60, 7, v60
	v_cmp_gt_u32_e32 vcc, 8, v38
	v_cndmask_b32_e32 v38, v59, v61, vcc
	v_cndmask_b32_e32 v53, v53, v60, vcc
	v_lshlrev_b32_e32 v40, 24, v40
	v_lshlrev_b32_e32 v53, 20, v53
	v_and_b32_e32 v40, 0x80000000, v40
	v_lshl_add_u32 v38, v38, 23, v48
	v_or3_b32 v53, v40, v38, v53
	s_branch .LBB635_210
.LBB635_595:
	s_barrier
	buffer_load_dword v2, off, s[0:3], 0 offset:320
	buffer_load_dword v5, off, s[0:3], 0 offset:332
	;; [unrolled: 1-line block ×4, first 2 shown]
	v_cmp_gt_u32_e32 vcc, 64, v0
	s_waitcnt vmcnt(0)
	ds_write2st64_b64 v43, v[2:3], v[4:5] offset1:1
	s_waitcnt lgkmcnt(0)
	s_barrier
	s_and_saveexec_b64 s[4:5], vcc
	s_cbranch_execz .LBB635_598
; %bb.596:
	s_lshl_b32 s4, s50, 7
	s_mul_i32 s5, s18, s8
	s_mul_hi_u32 s9, s5, s4
	s_mul_i32 s8, s5, s4
	s_lshl_b64 s[8:9], s[8:9], 1
	v_lshlrev_b32_e32 v4, 6, v55
	s_add_u32 s5, s48, s8
	v_lshl_or_b32 v0, v0, 10, v4
	s_mov_b32 s7, 0
	s_addc_u32 s8, s49, s9
	s_lshl_b32 s6, s24, 7
	v_lshlrev_b32_e32 v2, 5, v1
	v_and_b32_e32 v3, 16, v56
	v_and_b32_e32 v0, 0x1a00, v0
	s_lshl_b64 s[6:7], s[6:7], 1
	v_or3_b32 v0, v0, v2, v3
	s_add_u32 s5, s5, s6
	ds_read_b128 v[6:9], v0 offset:256
	v_or_b32_e32 v2, 12, v1
	s_addc_u32 s6, s8, s7
	ds_read_b128 v[10:13], v0 offset:128
	ds_read_b128 v[14:17], v0
	v_add_u32_e32 v1, s25, v1
	v_mov_b32_e32 v4, s6
	v_add_co_u32_e32 v3, vcc, s5, v54
	v_mad_u64_u32 v[18:19], s[6:7], v1, s4, 0
	v_addc_co_u32_e32 v4, vcc, 0, v4, vcc
	v_lshlrev_b64 v[18:19], 1, v[18:19]
	v_add_co_u32_e32 v18, vcc, v3, v18
	v_addc_co_u32_e32 v19, vcc, v4, v19, vcc
	v_add_u32_e32 v5, 4, v1
	s_waitcnt lgkmcnt(0)
	global_store_dwordx4 v[18:19], v[14:17], off
	v_add_u32_e32 v1, 8, v1
	v_mad_u64_u32 v[14:15], s[6:7], v5, s4, 0
	v_lshlrev_b64 v[14:15], 1, v[14:15]
	v_add_co_u32_e32 v14, vcc, v3, v14
	v_addc_co_u32_e32 v15, vcc, v4, v15, vcc
	global_store_dwordx4 v[14:15], v[10:13], off
	s_nop 0
	v_mad_u64_u32 v[10:11], s[6:7], v1, s4, 0
	v_lshlrev_b64 v[10:11], 1, v[10:11]
	v_add_co_u32_e32 v10, vcc, v3, v10
	v_addc_co_u32_e32 v11, vcc, v4, v11, vcc
	v_cmp_gt_u32_e32 vcc, 14, v2
	global_store_dwordx4 v[10:11], v[6:9], off
	s_and_b64 exec, exec, vcc
	s_cbranch_execz .LBB635_598
; %bb.597:
	ds_read_b128 v[6:9], v0 offset:384
	v_add_u32_e32 v0, s25, v2
	v_mad_u64_u32 v[0:1], s[4:5], v0, s4, 0
	v_lshlrev_b64 v[0:1], 1, v[0:1]
	v_add_co_u32_e32 v0, vcc, v3, v0
	v_addc_co_u32_e32 v1, vcc, v4, v1, vcc
	s_waitcnt lgkmcnt(0)
	global_store_dwordx4 v[0:1], v[6:9], off
.LBB635_598:
	s_endpgm
	.section	.rodata,"a",@progbits
	.p2align	6, 0x0
	.amdhsa_kernel _Z39paged_attention_ll4mi_QKV_mfma16_kernelIDF16_hLN4vllm18Fp8KVCacheDataTypeE1EDF16_Li16ELi128ELi256ELb0ELi14EL8MFMAType0EEvPKT_PKT0_S8_ifPKiSA_SA_iPKfiiiPfSD_PS3_PT2_iSC_SC_
		.amdhsa_group_segment_fixed_size 8192
		.amdhsa_private_segment_fixed_size 352
		.amdhsa_kernarg_size 400
		.amdhsa_user_sgpr_count 8
		.amdhsa_user_sgpr_private_segment_buffer 1
		.amdhsa_user_sgpr_dispatch_ptr 0
		.amdhsa_user_sgpr_queue_ptr 0
		.amdhsa_user_sgpr_kernarg_segment_ptr 1
		.amdhsa_user_sgpr_dispatch_id 0
		.amdhsa_user_sgpr_flat_scratch_init 1
		.amdhsa_user_sgpr_kernarg_preload_length 0
		.amdhsa_user_sgpr_kernarg_preload_offset 0
		.amdhsa_user_sgpr_private_segment_size 0
		.amdhsa_uses_dynamic_stack 0
		.amdhsa_system_sgpr_private_segment_wavefront_offset 1
		.amdhsa_system_sgpr_workgroup_id_x 1
		.amdhsa_system_sgpr_workgroup_id_y 1
		.amdhsa_system_sgpr_workgroup_id_z 1
		.amdhsa_system_sgpr_workgroup_info 0
		.amdhsa_system_vgpr_workitem_id 0
		.amdhsa_next_free_vgpr 76
		.amdhsa_next_free_sgpr 53
		.amdhsa_accum_offset 76
		.amdhsa_reserve_vcc 1
		.amdhsa_reserve_flat_scratch 0
		.amdhsa_float_round_mode_32 0
		.amdhsa_float_round_mode_16_64 0
		.amdhsa_float_denorm_mode_32 3
		.amdhsa_float_denorm_mode_16_64 3
		.amdhsa_dx10_clamp 1
		.amdhsa_ieee_mode 1
		.amdhsa_fp16_overflow 0
		.amdhsa_tg_split 0
		.amdhsa_exception_fp_ieee_invalid_op 0
		.amdhsa_exception_fp_denorm_src 0
		.amdhsa_exception_fp_ieee_div_zero 0
		.amdhsa_exception_fp_ieee_overflow 0
		.amdhsa_exception_fp_ieee_underflow 0
		.amdhsa_exception_fp_ieee_inexact 0
		.amdhsa_exception_int_div_zero 0
	.end_amdhsa_kernel
	.section	.text._Z39paged_attention_ll4mi_QKV_mfma16_kernelIDF16_hLN4vllm18Fp8KVCacheDataTypeE1EDF16_Li16ELi128ELi256ELb0ELi14EL8MFMAType0EEvPKT_PKT0_S8_ifPKiSA_SA_iPKfiiiPfSD_PS3_PT2_iSC_SC_,"axG",@progbits,_Z39paged_attention_ll4mi_QKV_mfma16_kernelIDF16_hLN4vllm18Fp8KVCacheDataTypeE1EDF16_Li16ELi128ELi256ELb0ELi14EL8MFMAType0EEvPKT_PKT0_S8_ifPKiSA_SA_iPKfiiiPfSD_PS3_PT2_iSC_SC_,comdat
.Lfunc_end635:
	.size	_Z39paged_attention_ll4mi_QKV_mfma16_kernelIDF16_hLN4vllm18Fp8KVCacheDataTypeE1EDF16_Li16ELi128ELi256ELb0ELi14EL8MFMAType0EEvPKT_PKT0_S8_ifPKiSA_SA_iPKfiiiPfSD_PS3_PT2_iSC_SC_, .Lfunc_end635-_Z39paged_attention_ll4mi_QKV_mfma16_kernelIDF16_hLN4vllm18Fp8KVCacheDataTypeE1EDF16_Li16ELi128ELi256ELb0ELi14EL8MFMAType0EEvPKT_PKT0_S8_ifPKiSA_SA_iPKfiiiPfSD_PS3_PT2_iSC_SC_
                                        ; -- End function
	.section	.AMDGPU.csdata,"",@progbits
; Kernel info:
; codeLenInByte = 21248
; NumSgprs: 57
; NumVgprs: 76
; NumAgprs: 0
; TotalNumVgprs: 76
; ScratchSize: 352
; MemoryBound: 0
; FloatMode: 240
; IeeeMode: 1
; LDSByteSize: 8192 bytes/workgroup (compile time only)
; SGPRBlocks: 7
; VGPRBlocks: 9
; NumSGPRsForWavesPerEU: 57
; NumVGPRsForWavesPerEU: 76
; AccumOffset: 76
; Occupancy: 6
; WaveLimiterHint : 1
; COMPUTE_PGM_RSRC2:SCRATCH_EN: 1
; COMPUTE_PGM_RSRC2:USER_SGPR: 8
; COMPUTE_PGM_RSRC2:TRAP_HANDLER: 0
; COMPUTE_PGM_RSRC2:TGID_X_EN: 1
; COMPUTE_PGM_RSRC2:TGID_Y_EN: 1
; COMPUTE_PGM_RSRC2:TGID_Z_EN: 1
; COMPUTE_PGM_RSRC2:TIDIG_COMP_CNT: 0
; COMPUTE_PGM_RSRC3_GFX90A:ACCUM_OFFSET: 18
; COMPUTE_PGM_RSRC3_GFX90A:TG_SPLIT: 0
	.section	.text._Z39paged_attention_ll4mi_QKV_mfma16_kernelIDF16_hLN4vllm18Fp8KVCacheDataTypeE1EDF16_Li16ELi128ELi256ELb0ELi15EL8MFMAType0EEvPKT_PKT0_S8_ifPKiSA_SA_iPKfiiiPfSD_PS3_PT2_iSC_SC_,"axG",@progbits,_Z39paged_attention_ll4mi_QKV_mfma16_kernelIDF16_hLN4vllm18Fp8KVCacheDataTypeE1EDF16_Li16ELi128ELi256ELb0ELi15EL8MFMAType0EEvPKT_PKT0_S8_ifPKiSA_SA_iPKfiiiPfSD_PS3_PT2_iSC_SC_,comdat
	.protected	_Z39paged_attention_ll4mi_QKV_mfma16_kernelIDF16_hLN4vllm18Fp8KVCacheDataTypeE1EDF16_Li16ELi128ELi256ELb0ELi15EL8MFMAType0EEvPKT_PKT0_S8_ifPKiSA_SA_iPKfiiiPfSD_PS3_PT2_iSC_SC_ ; -- Begin function _Z39paged_attention_ll4mi_QKV_mfma16_kernelIDF16_hLN4vllm18Fp8KVCacheDataTypeE1EDF16_Li16ELi128ELi256ELb0ELi15EL8MFMAType0EEvPKT_PKT0_S8_ifPKiSA_SA_iPKfiiiPfSD_PS3_PT2_iSC_SC_
	.globl	_Z39paged_attention_ll4mi_QKV_mfma16_kernelIDF16_hLN4vllm18Fp8KVCacheDataTypeE1EDF16_Li16ELi128ELi256ELb0ELi15EL8MFMAType0EEvPKT_PKT0_S8_ifPKiSA_SA_iPKfiiiPfSD_PS3_PT2_iSC_SC_
	.p2align	8
	.type	_Z39paged_attention_ll4mi_QKV_mfma16_kernelIDF16_hLN4vllm18Fp8KVCacheDataTypeE1EDF16_Li16ELi128ELi256ELb0ELi15EL8MFMAType0EEvPKT_PKT0_S8_ifPKiSA_SA_iPKfiiiPfSD_PS3_PT2_iSC_SC_,@function
_Z39paged_attention_ll4mi_QKV_mfma16_kernelIDF16_hLN4vllm18Fp8KVCacheDataTypeE1EDF16_Li16ELi128ELi256ELb0ELi15EL8MFMAType0EEvPKT_PKT0_S8_ifPKiSA_SA_iPKfiiiPfSD_PS3_PT2_iSC_SC_: ; @_Z39paged_attention_ll4mi_QKV_mfma16_kernelIDF16_hLN4vllm18Fp8KVCacheDataTypeE1EDF16_Li16ELi128ELi256ELb0ELi15EL8MFMAType0EEvPKT_PKT0_S8_ifPKiSA_SA_iPKfiiiPfSD_PS3_PT2_iSC_SC_
; %bb.0:
	s_load_dwordx2 s[6:7], s[4:5], 0x30
	s_add_u32 s0, s0, s11
	s_addc_u32 s1, s1, 0
	s_mov_b32 s24, s9
	s_mov_b64 s[12:13], 0
	s_waitcnt lgkmcnt(0)
	s_cmp_lg_u64 s[6:7], 0
	s_cselect_b64 s[16:17], -1, 0
	s_and_b64 vcc, exec, s[16:17]
	s_cbranch_vccz .LBB636_7
; %bb.1:
	s_add_i32 s14, s8, 1
	s_mov_b32 s15, 0
	s_lshl_b64 s[18:19], s[14:15], 2
	s_add_u32 s18, s6, s18
	s_mov_b32 s9, s15
	s_addc_u32 s19, s7, s19
	s_lshl_b64 s[14:15], s[8:9], 2
	s_add_u32 s14, s6, s14
	s_addc_u32 s15, s7, s15
	s_load_dword s11, s[18:19], 0x0
	s_load_dword s20, s[14:15], 0x0
	s_waitcnt lgkmcnt(0)
	s_sub_i32 s11, s11, s20
	s_cmp_eq_u32 s11, 1
	s_cselect_b64 s[14:15], -1, 0
	s_andn2_b64 vcc, exec, s[12:13]
	s_cbranch_vccnz .LBB636_3
.LBB636_2:
	s_mov_b32 s9, 0
	s_mov_b64 s[14:15], -1
.LBB636_3:
	s_andn2_b64 vcc, exec, s[14:15]
	s_cbranch_vccnz .LBB636_598
; %bb.4:
	s_load_dwordx2 s[12:13], s[4:5], 0x28
	s_lshl_b64 s[18:19], s[8:9], 2
	s_waitcnt lgkmcnt(0)
	s_add_u32 s12, s12, s18
	s_addc_u32 s13, s13, s19
	s_load_dword s33, s[12:13], 0x0
	s_lshl_b32 s20, s24, 8
	s_waitcnt lgkmcnt(0)
	s_cmp_ge_i32 s20, s33
	s_cbranch_scc1 .LBB636_598
; %bb.5:
	s_add_i32 s14, s33, 15
	s_load_dwordx2 s[12:13], s[4:5], 0x20
	s_load_dword s11, s[4:5], 0x38
	s_ashr_i32 s15, s14, 31
	v_and_b32_e32 v1, 0xcf, v0
	s_lshr_b32 s15, s15, 28
	v_add_u32_e32 v1, s20, v1
	s_add_i32 s14, s14, s15
	v_ashrrev_i32_e32 v2, 31, v1
	s_ashr_i32 s22, s14, 4
	v_lshrrev_b32_e32 v6, 28, v2
	s_add_i32 s22, s22, -1
	v_add_u32_e32 v2, v1, v6
	s_waitcnt lgkmcnt(0)
	s_mul_i32 s14, s8, s11
	s_mov_b32 s15, 0
	v_ashrrev_i32_e32 v2, 4, v2
	v_mov_b32_e32 v7, s22
	v_cmp_gt_i32_e32 vcc, s33, v1
	s_lshl_b64 s[14:15], s[14:15], 2
	v_cndmask_b32_e32 v2, v7, v2, vcc
	s_add_u32 s11, s12, s14
	v_ashrrev_i32_e32 v3, 31, v2
	s_addc_u32 s21, s13, s15
	v_lshlrev_b64 v[2:3], 2, v[2:3]
	v_mov_b32_e32 v5, s21
	v_add_co_u32_e32 v4, vcc, s11, v2
	v_or_b32_e32 v2, 16, v1
	v_addc_co_u32_e32 v5, vcc, v5, v3, vcc
	v_add_u32_e32 v3, v2, v6
	v_ashrrev_i32_e32 v3, 4, v3
	v_cmp_gt_i32_e32 vcc, s33, v2
	v_cndmask_b32_e32 v2, v7, v3, vcc
	v_ashrrev_i32_e32 v3, 31, v2
	v_lshlrev_b64 v[2:3], 2, v[2:3]
	v_mov_b32_e32 v9, s21
	v_add_co_u32_e32 v8, vcc, s11, v2
	v_or_b32_e32 v2, 32, v1
	v_addc_co_u32_e32 v9, vcc, v9, v3, vcc
	v_add_u32_e32 v3, v2, v6
	v_ashrrev_i32_e32 v3, 4, v3
	v_cmp_gt_i32_e32 vcc, s33, v2
	v_cndmask_b32_e32 v2, v7, v3, vcc
	v_ashrrev_i32_e32 v3, 31, v2
	;; [unrolled: 10-line block ×3, first 2 shown]
	v_lshlrev_b64 v[2:3], 2, v[2:3]
	v_mov_b32_e32 v1, s21
	v_add_co_u32_e32 v12, vcc, s11, v2
	v_addc_co_u32_e32 v13, vcc, v1, v3, vcc
	global_load_dword v3, v[4:5], off
	global_load_dword v2, v[8:9], off
	;; [unrolled: 1-line block ×4, first 2 shown]
	s_load_dwordx4 s[12:15], s[4:5], 0x8
	s_andn2_b64 vcc, exec, s[16:17]
	s_cbranch_vccnz .LBB636_8
; %bb.6:
	s_add_u32 s6, s6, s18
	s_addc_u32 s7, s7, s19
	s_load_dword s16, s[6:7], 0x0
	s_branch .LBB636_9
.LBB636_7:
	s_mov_b64 s[14:15], 0
	s_branch .LBB636_2
.LBB636_8:
	s_mov_b32 s16, s8
.LBB636_9:
	s_load_dwordx2 s[48:49], s[4:5], 0x68
	s_load_dwordx8 s[40:47], s[4:5], 0x48
	v_lshrrev_b32_e32 v64, 6, v0
	v_bfe_u32 v1, v0, 4, 2
	v_and_b32_e32 v55, 15, v0
	v_lshl_or_b32 v4, v64, 2, v1
	v_lshlrev_b32_e32 v5, 3, v55
	s_mul_i32 s25, s10, 15
	v_cmp_gt_u32_e32 vcc, 15, v4
	v_lshlrev_b32_e32 v54, 1, v5
	v_lshlrev_b32_e32 v56, 4, v0
	s_and_saveexec_b64 s[6:7], vcc
	s_cbranch_execz .LBB636_11
; %bb.10:
	s_load_dwordx2 s[18:19], s[4:5], 0x0
	s_waitcnt lgkmcnt(0)
	s_ashr_i32 s17, s40, 31
	s_mul_hi_u32 s23, s16, s40
	s_mul_i32 s17, s16, s17
	s_add_i32 s17, s23, s17
	s_mul_i32 s16, s16, s40
	s_lshl_b64 s[16:17], s[16:17], 1
	v_add_lshl_u32 v8, v4, s25, 7
	s_add_u32 s16, s18, s16
	v_ashrrev_i32_e32 v9, 31, v8
	s_addc_u32 s17, s19, s17
	v_lshlrev_b64 v[8:9], 1, v[8:9]
	v_mov_b32_e32 v5, s17
	v_add_co_u32_e32 v7, vcc, s16, v8
	v_addc_co_u32_e32 v5, vcc, v5, v9, vcc
	v_add_co_u32_e32 v8, vcc, v7, v54
	v_addc_co_u32_e32 v9, vcc, 0, v5, vcc
	global_load_dwordx4 v[8:11], v[8:9], off
	v_lshlrev_b32_e32 v7, 8, v0
	v_lshlrev_b32_e32 v5, 8, v55
	v_and_b32_e32 v7, 0x600, v7
	s_movk_i32 s16, 0x800
	v_and_or_b32 v5, v5, s16, v7
	v_lshlrev_b32_e32 v4, 5, v4
	v_and_b32_e32 v7, 16, v56
	v_or3_b32 v4, v5, v4, v7
	s_waitcnt vmcnt(0)
	ds_write_b128 v4, v[8:11]
.LBB636_11:
	s_or_b64 exec, exec, s[6:7]
	v_and_b32_e32 v7, 48, v0
	v_or_b32_e32 v12, s20, v7
	v_ashrrev_i32_e32 v4, 4, v12
	v_mov_b32_e32 v13, s22
	v_cmp_gt_i32_e32 vcc, s33, v12
	v_cndmask_b32_e32 v4, v13, v4, vcc
	v_ashrrev_i32_e32 v5, 31, v4
	v_lshlrev_b64 v[4:5], 2, v[4:5]
	v_mov_b32_e32 v8, s21
	v_add_co_u32_e32 v4, vcc, s11, v4
	v_addc_co_u32_e32 v5, vcc, v8, v5, vcc
	v_or_b32_e32 v8, 64, v12
	v_ashrrev_i32_e32 v9, 4, v8
	v_cmp_gt_i32_e32 vcc, s33, v8
	v_cndmask_b32_e32 v8, v13, v9, vcc
	v_ashrrev_i32_e32 v9, 31, v8
	v_lshlrev_b64 v[8:9], 2, v[8:9]
	v_mov_b32_e32 v10, s21
	v_add_co_u32_e32 v8, vcc, s11, v8
	v_addc_co_u32_e32 v9, vcc, v10, v9, vcc
	v_or_b32_e32 v10, 0x80, v12
	v_ashrrev_i32_e32 v11, 4, v10
	v_cmp_gt_i32_e32 vcc, s33, v10
	v_cndmask_b32_e32 v10, v13, v11, vcc
	v_ashrrev_i32_e32 v11, 31, v10
	v_lshlrev_b64 v[10:11], 2, v[10:11]
	v_mov_b32_e32 v14, s21
	v_add_co_u32_e32 v10, vcc, s11, v10
	s_load_dwordx2 s[50:51], s[4:5], 0x94
	s_waitcnt lgkmcnt(0)
	s_barrier
	v_addc_co_u32_e32 v11, vcc, v14, v11, vcc
	global_load_dword v50, v[4:5], off
	global_load_dword v57, v[8:9], off
	global_load_dword v62, v[10:11], off
	v_or_b32_e32 v4, 0xc0, v12
	v_ashrrev_i32_e32 v5, 4, v4
	v_cmp_gt_i32_e32 vcc, s33, v4
	v_cndmask_b32_e32 v4, v13, v5, vcc
	v_ashrrev_i32_e32 v5, 31, v4
	v_lshlrev_b64 v[4:5], 2, v[4:5]
	v_mov_b32_e32 v8, s21
	v_add_co_u32_e32 v4, vcc, s11, v4
	v_addc_co_u32_e32 v5, vcc, v8, v5, vcc
	global_load_dword v63, v[4:5], off
	s_mul_i32 s10, s10, s42
	s_add_u32 s6, s12, s10
	s_addc_u32 s7, s13, 0
	v_and_b32_e32 v4, 0xf0, v56
	v_mov_b32_e32 v5, s7
	v_add_co_u32_e32 v20, vcc, s6, v4
	v_addc_co_u32_e32 v21, vcc, 0, v5, vcc
	v_lshlrev_b32_e32 v28, 4, v7
	s_waitcnt vmcnt(7)
	v_mad_i64_i32 v[4:5], s[6:7], v3, s41, v[20:21]
	v_add_co_u32_e32 v4, vcc, v4, v28
	v_addc_co_u32_e32 v5, vcc, 0, v5, vcc
	global_load_dwordx4 v[34:37], v[4:5], off
	global_load_dwordx4 v[10:13], v[4:5], off offset:1024
	s_waitcnt vmcnt(8)
	v_mad_i64_i32 v[2:3], s[6:7], v2, s41, v[20:21]
	v_add_co_u32_e32 v8, vcc, v2, v28
	v_addc_co_u32_e32 v9, vcc, 0, v3, vcc
	s_waitcnt vmcnt(7)
	v_mad_i64_i32 v[6:7], s[6:7], v6, s41, v[20:21]
	v_add_co_u32_e32 v26, vcc, v6, v28
	v_addc_co_u32_e32 v27, vcc, 0, v7, vcc
	s_waitcnt vmcnt(6)
	v_mad_i64_i32 v[18:19], s[6:7], v18, s41, v[20:21]
	v_add_co_u32_e32 v30, vcc, v18, v28
	s_add_u32 s10, s14, s10
	v_lshl_or_b32 v65, v64, 4, v55
	global_load_dwordx4 v[14:17], v[8:9], off
	global_load_dwordx4 v[2:5], v[8:9], off offset:1024
	v_addc_co_u32_e32 v31, vcc, 0, v19, vcc
	s_addc_u32 s11, s15, 0
	v_lshlrev_b32_e32 v51, 4, v65
	global_load_dwordx4 v[6:9], v[26:27], off
	global_load_dwordx4 v[22:25], v[26:27], off offset:1024
	s_nop 0
	global_load_dwordx4 v[26:29], v[30:31], off
	global_load_dwordx4 v[18:21], v[30:31], off offset:1024
	v_mov_b32_e32 v30, s11
	v_add_co_u32_e32 v42, vcc, s10, v51
	v_addc_co_u32_e32 v43, vcc, 0, v30, vcc
	v_or_b32_e32 v51, 0x400, v51
	v_mov_b32_e32 v52, s11
	v_add_co_u32_e32 v58, vcc, s10, v51
	v_addc_co_u32_e32 v59, vcc, 0, v52, vcc
	v_cmp_ne_u32_e32 vcc, 15, v55
	s_mov_b32 s12, 0
	s_movk_i32 s13, 0x80
	s_movk_i32 s14, 0x7f
	s_mov_b32 s15, 0xffffff
	s_waitcnt vmcnt(11)
	v_mad_i64_i32 v[30:31], s[6:7], v50, s41, v[42:43]
	s_waitcnt vmcnt(10)
	v_mad_i64_i32 v[32:33], s[6:7], v57, s41, v[42:43]
	;; [unrolled: 2-line block ×3, first 2 shown]
	global_load_dwordx4 v[38:41], v[30:31], off
	s_nop 0
	global_load_dwordx4 v[30:33], v[32:33], off
	v_mad_i64_i32 v[50:51], s[6:7], v50, s41, v[58:59]
	v_mad_i64_i32 v[60:61], s[6:7], v57, s41, v[58:59]
	s_waitcnt vmcnt(10)
	v_mad_i64_i32 v[42:43], s[6:7], v63, s41, v[42:43]
	global_load_dwordx4 v[46:49], v[44:45], off
	s_nop 0
	global_load_dwordx4 v[42:45], v[42:43], off
	s_nop 0
	global_load_dwordx4 v[50:53], v[50:51], off
	s_nop 0
	global_load_dwordx4 v[66:69], v[60:61], off
	v_mad_i64_i32 v[60:61], s[6:7], v62, s41, v[58:59]
	global_load_dwordx4 v[70:73], v[60:61], off
	s_waitcnt vmcnt(14)
	buffer_store_dword v37, off, s[0:3], 0 offset:12
	buffer_store_dword v36, off, s[0:3], 0 offset:8
	v_mad_i64_i32 v[36:37], s[6:7], v63, s41, v[58:59]
	global_load_dwordx4 v[74:77], v[36:37], off
	s_nop 0
	buffer_store_dword v35, off, s[0:3], 0 offset:4
	buffer_store_dword v34, off, s[0:3], 0
	s_waitcnt vmcnt(18)
	buffer_store_dword v13, off, s[0:3], 0 offset:28
	buffer_store_dword v12, off, s[0:3], 0 offset:24
	;; [unrolled: 1-line block ×4, first 2 shown]
	s_waitcnt vmcnt(21)
	buffer_store_dword v17, off, s[0:3], 0 offset:44
	buffer_store_dword v16, off, s[0:3], 0 offset:40
	;; [unrolled: 1-line block ×4, first 2 shown]
	s_load_dword s6, s[4:5], 0x1c
	s_load_dwordx4 s[40:43], s[4:5], 0x80
	s_waitcnt vmcnt(24)
	buffer_store_dword v5, off, s[0:3], 0 offset:60
	buffer_store_dword v4, off, s[0:3], 0 offset:56
	buffer_store_dword v3, off, s[0:3], 0 offset:52
	buffer_store_dword v2, off, s[0:3], 0 offset:48
	v_cndmask_b32_e32 v2, 0, v55, vcc
	v_lshlrev_b32_e32 v2, 5, v2
	v_mov_b32_e32 v10, 0x80
	s_waitcnt vmcnt(27)
	buffer_store_dword v9, off, s[0:3], 0 offset:76
	buffer_store_dword v8, off, s[0:3], 0 offset:72
	;; [unrolled: 1-line block ×4, first 2 shown]
	v_lshl_or_b32 v14, v1, 9, v2
	v_add_u32_e32 v57, 16, v10
	v_add_u32_e32 v63, 32, v10
	;; [unrolled: 1-line block ×7, first 2 shown]
	ds_read_b128 v[2:5], v14
	ds_read_b128 v[6:9], v14 offset:16
	ds_read_b128 v[10:13], v14 offset:2048
	;; [unrolled: 1-line block ×3, first 2 shown]
	s_waitcnt vmcnt(30)
	buffer_store_dword v25, off, s[0:3], 0 offset:92
	buffer_store_dword v24, off, s[0:3], 0 offset:88
	buffer_store_dword v23, off, s[0:3], 0 offset:84
	buffer_store_dword v22, off, s[0:3], 0 offset:80
	s_waitcnt vmcnt(33)
	buffer_store_dword v29, off, s[0:3], 0 offset:108
	buffer_store_dword v28, off, s[0:3], 0 offset:104
	buffer_store_dword v27, off, s[0:3], 0 offset:100
	buffer_store_dword v26, off, s[0:3], 0 offset:96
	;; [unrolled: 5-line block ×3, first 2 shown]
	s_waitcnt lgkmcnt(0)
	v_mov_b32_e32 v18, s6
	v_and_b32_e32 v35, 63, v0
	v_mov_b32_e32 v27, 0
	v_mov_b32_e32 v29, 0
	s_waitcnt vmcnt(39)
	buffer_store_dword v41, off, s[0:3], 0 offset:140
	buffer_store_dword v40, off, s[0:3], 0 offset:136
	buffer_store_dword v39, off, s[0:3], 0 offset:132
	buffer_store_dword v38, off, s[0:3], 0 offset:128
	s_waitcnt vmcnt(42)
	buffer_store_dword v33, off, s[0:3], 0 offset:172
	buffer_store_dword v32, off, s[0:3], 0 offset:168
	buffer_store_dword v31, off, s[0:3], 0 offset:164
	buffer_store_dword v30, off, s[0:3], 0 offset:160
	;; [unrolled: 5-line block ×7, first 2 shown]
	s_waitcnt vmcnt(58)
	buffer_store_dword v77, off, s[0:3], 0 offset:252
	s_load_dword s4, s[40:41], 0x0
	v_mov_b32_e32 v31, 0x100
	v_bfrev_b32_e32 v33, 60
	buffer_store_dword v76, off, s[0:3], 0 offset:248
	buffer_store_dword v75, off, s[0:3], 0 offset:244
	;; [unrolled: 1-line block ×3, first 2 shown]
	s_waitcnt lgkmcnt(0)
	v_mul_f32_e32 v22, s4, v18
	v_mov_b32_e32 v24, v22
	v_mov_b32_e32 v25, v22
	s_branch .LBB636_15
.LBB636_12:                             ;   in Loop: Header=BB636_15 Depth=1
	s_or_b64 exec, exec, s[10:11]
.LBB636_13:                             ;   in Loop: Header=BB636_15 Depth=1
	s_or_b64 exec, exec, s[6:7]
.LBB636_14:                             ;   in Loop: Header=BB636_15 Depth=1
	s_or_b64 exec, exec, s[4:5]
	v_cvt_pkrtz_f16_f32 v40, v34, v32
	v_cvt_pkrtz_f16_f32 v41, v23, v37
	;; [unrolled: 1-line block ×4, first 2 shown]
	v_add_u32_e32 v26, s12, v31
	v_mfma_f32_16x16x16f16 v[18:21], v[40:41], v[14:15], v[18:21]
	s_add_i32 s12, s12, 16
	v_mov_b32_e32 v23, v22
	s_cmp_eq_u32 s12, 64
	v_add_u32_e32 v27, 32, v27
	v_mfma_f32_16x16x16f16 v[18:21], v[36:37], v[16:17], v[18:21]
	s_nop 7
	s_nop 2
	v_pk_mul_f32 v[18:19], v[24:25], v[18:19]
	v_pk_mul_f32 v[20:21], v[22:23], v[20:21]
	buffer_store_dword v19, v26, s[0:3], 0 offen offset:4
	buffer_store_dword v18, v26, s[0:3], 0 offen
	buffer_store_dword v21, v26, s[0:3], 0 offen offset:12
	buffer_store_dword v20, v26, s[0:3], 0 offen offset:8
	s_cbranch_scc1 .LBB636_205
.LBB636_15:                             ; =>This Inner Loop Header: Depth=1
	buffer_load_dword v20, v27, s[0:3], 0 offen
	buffer_load_dword v18, v27, s[0:3], 0 offen offset:4
	buffer_load_dword v28, v27, s[0:3], 0 offen offset:8
	;; [unrolled: 1-line block ×3, first 2 shown]
	v_mov_b32_e32 v19, 0
	s_waitcnt vmcnt(3)
	v_cmp_ne_u16_sdwa s[6:7], v20, v29 src0_sel:BYTE_0 src1_sel:DWORD
	s_and_saveexec_b64 s[4:5], s[6:7]
	s_cbranch_execz .LBB636_21
; %bb.16:                               ;   in Loop: Header=BB636_15 Depth=1
	v_cmp_ne_u16_sdwa s[10:11], v20, s13 src0_sel:BYTE_0 src1_sel:DWORD
	v_bfrev_b32_e32 v19, 1
	s_and_saveexec_b64 s[6:7], s[10:11]
	s_cbranch_execz .LBB636_20
; %bb.17:                               ;   in Loop: Header=BB636_15 Depth=1
	v_and_b32_e32 v21, 0x7f, v20
	v_cmp_ne_u32_e32 vcc, s14, v21
	v_mov_b32_e32 v19, 0x7f800001
	s_and_saveexec_b64 s[10:11], vcc
	s_cbranch_execz .LBB636_19
; %bb.18:                               ;   in Loop: Header=BB636_15 Depth=1
	v_and_b32_e32 v19, 7, v20
	v_ffbh_u32_e32 v30, v19
	v_min_u32_e32 v30, 32, v30
	v_subrev_u32_e32 v32, 28, v30
	v_lshlrev_b64 v[36:37], v32, v[20:21]
	v_lshrrev_b32_e32 v23, 3, v21
	v_sub_u32_e32 v30, 29, v30
	v_and_b32_e32 v32, 7, v36
	v_cmp_gt_u32_e32 vcc, 8, v21
	v_cndmask_b32_e32 v21, v23, v30, vcc
	v_cndmask_b32_e32 v19, v19, v32, vcc
	v_lshlrev_b32_e32 v23, 24, v20
	v_lshlrev_b32_e32 v19, 20, v19
	v_and_b32_e32 v23, 0x80000000, v23
	v_lshl_add_u32 v21, v21, 23, v33
	v_or3_b32 v19, v23, v21, v19
.LBB636_19:                             ;   in Loop: Header=BB636_15 Depth=1
	s_or_b64 exec, exec, s[10:11]
.LBB636_20:                             ;   in Loop: Header=BB636_15 Depth=1
	s_or_b64 exec, exec, s[6:7]
.LBB636_21:                             ;   in Loop: Header=BB636_15 Depth=1
	s_or_b64 exec, exec, s[4:5]
	v_lshrrev_b16_e32 v30, 8, v20
	v_cmp_ne_u16_e32 vcc, 0, v30
	v_mov_b32_e32 v21, 0
	v_mov_b32_e32 v23, 0
	s_and_saveexec_b64 s[4:5], vcc
	s_cbranch_execz .LBB636_27
; %bb.22:                               ;   in Loop: Header=BB636_15 Depth=1
	v_cmp_ne_u16_e32 vcc, s13, v30
	v_bfrev_b32_e32 v23, 1
	s_and_saveexec_b64 s[6:7], vcc
	s_cbranch_execz .LBB636_26
; %bb.23:                               ;   in Loop: Header=BB636_15 Depth=1
	v_and_b32_e32 v32, 0x7f, v30
	v_cmp_ne_u32_e32 vcc, s14, v32
	v_mov_b32_e32 v23, 0x7f800001
	s_and_saveexec_b64 s[10:11], vcc
	s_cbranch_execz .LBB636_25
; %bb.24:                               ;   in Loop: Header=BB636_15 Depth=1
	v_and_b32_e32 v23, 7, v30
	v_ffbh_u32_e32 v36, v23
	v_min_u32_e32 v38, 32, v36
	v_subrev_u32_e32 v36, 28, v38
	v_lshlrev_b64 v[36:37], v36, v[30:31]
	v_lshrrev_b32_e32 v34, 3, v32
	v_sub_u32_e32 v30, 29, v38
	v_and_b32_e32 v36, 7, v36
	v_cmp_gt_u32_e32 vcc, 8, v32
	v_cndmask_b32_e32 v30, v34, v30, vcc
	v_cndmask_b32_e32 v23, v23, v36, vcc
	v_lshlrev_b32_e32 v32, 16, v20
	v_lshlrev_b32_e32 v23, 20, v23
	v_and_b32_e32 v32, 0x80000000, v32
	v_lshl_add_u32 v30, v30, 23, v33
	v_or3_b32 v23, v32, v30, v23
.LBB636_25:                             ;   in Loop: Header=BB636_15 Depth=1
	s_or_b64 exec, exec, s[10:11]
.LBB636_26:                             ;   in Loop: Header=BB636_15 Depth=1
	s_or_b64 exec, exec, s[6:7]
.LBB636_27:                             ;   in Loop: Header=BB636_15 Depth=1
	s_or_b64 exec, exec, s[4:5]
	v_lshrrev_b32_e32 v30, 16, v20
	v_cmp_ne_u16_sdwa s[6:7], v30, v29 src0_sel:BYTE_0 src1_sel:DWORD
	s_and_saveexec_b64 s[4:5], s[6:7]
	s_cbranch_execz .LBB636_33
; %bb.28:                               ;   in Loop: Header=BB636_15 Depth=1
	v_cmp_ne_u16_sdwa s[10:11], v30, s13 src0_sel:BYTE_0 src1_sel:DWORD
	v_bfrev_b32_e32 v21, 1
	s_and_saveexec_b64 s[6:7], s[10:11]
	s_cbranch_execz .LBB636_32
; %bb.29:                               ;   in Loop: Header=BB636_15 Depth=1
	v_bfe_u32 v32, v20, 16, 7
	v_cmp_ne_u32_e32 vcc, s14, v32
	v_mov_b32_e32 v21, 0x7f800001
	s_and_saveexec_b64 s[10:11], vcc
	s_cbranch_execz .LBB636_31
; %bb.30:                               ;   in Loop: Header=BB636_15 Depth=1
	v_and_b32_e32 v21, 7, v30
	v_ffbh_u32_e32 v36, v21
	v_min_u32_e32 v38, 32, v36
	v_subrev_u32_e32 v36, 28, v38
	v_lshlrev_b64 v[36:37], v36, v[30:31]
	v_lshrrev_b32_e32 v34, 3, v32
	v_sub_u32_e32 v37, 29, v38
	v_and_b32_e32 v36, 7, v36
	v_cmp_gt_u32_e32 vcc, 8, v32
	v_cndmask_b32_e32 v32, v34, v37, vcc
	v_cndmask_b32_e32 v21, v21, v36, vcc
	v_lshlrev_b32_e32 v30, 24, v30
	v_lshlrev_b32_e32 v21, 20, v21
	v_and_b32_e32 v30, 0x80000000, v30
	v_lshl_add_u32 v32, v32, 23, v33
	v_or3_b32 v21, v30, v32, v21
.LBB636_31:                             ;   in Loop: Header=BB636_15 Depth=1
	s_or_b64 exec, exec, s[10:11]
.LBB636_32:                             ;   in Loop: Header=BB636_15 Depth=1
	s_or_b64 exec, exec, s[6:7]
.LBB636_33:                             ;   in Loop: Header=BB636_15 Depth=1
	s_or_b64 exec, exec, s[4:5]
	v_cmp_lt_u32_e32 vcc, s15, v20
	v_mov_b32_e32 v34, 0
	v_mov_b32_e32 v36, 0
	s_and_saveexec_b64 s[4:5], vcc
	s_cbranch_execz .LBB636_39
; %bb.34:                               ;   in Loop: Header=BB636_15 Depth=1
	v_lshrrev_b32_e32 v30, 24, v20
	v_cmp_ne_u32_e32 vcc, s13, v30
	v_bfrev_b32_e32 v36, 1
	s_and_saveexec_b64 s[6:7], vcc
	s_cbranch_execz .LBB636_38
; %bb.35:                               ;   in Loop: Header=BB636_15 Depth=1
	v_bfe_u32 v20, v20, 24, 7
	v_cmp_ne_u32_e32 vcc, s14, v20
	v_mov_b32_e32 v36, 0x7f800001
	s_and_saveexec_b64 s[10:11], vcc
	s_cbranch_execz .LBB636_37
; %bb.36:                               ;   in Loop: Header=BB636_15 Depth=1
	v_and_b32_e32 v32, 7, v30
	v_ffbh_u32_e32 v36, v32
	v_min_u32_e32 v39, 32, v36
	v_subrev_u32_e32 v36, 28, v39
	v_lshlrev_b64 v[36:37], v36, v[30:31]
	v_lshrrev_b32_e32 v38, 3, v20
	v_sub_u32_e32 v37, 29, v39
	v_and_b32_e32 v36, 7, v36
	v_cmp_gt_u32_e32 vcc, 8, v20
	v_cndmask_b32_e32 v20, v38, v37, vcc
	v_cndmask_b32_e32 v32, v32, v36, vcc
	v_lshlrev_b32_e32 v30, 24, v30
	v_lshlrev_b32_e32 v32, 20, v32
	v_and_b32_e32 v30, 0x80000000, v30
	v_lshl_add_u32 v20, v20, 23, v33
	v_or3_b32 v36, v30, v20, v32
.LBB636_37:                             ;   in Loop: Header=BB636_15 Depth=1
	s_or_b64 exec, exec, s[10:11]
.LBB636_38:                             ;   in Loop: Header=BB636_15 Depth=1
	s_or_b64 exec, exec, s[6:7]
.LBB636_39:                             ;   in Loop: Header=BB636_15 Depth=1
	s_or_b64 exec, exec, s[4:5]
	s_waitcnt vmcnt(2)
	v_cmp_ne_u16_sdwa s[6:7], v18, v29 src0_sel:BYTE_0 src1_sel:DWORD
	s_and_saveexec_b64 s[4:5], s[6:7]
	s_cbranch_execz .LBB636_45
; %bb.40:                               ;   in Loop: Header=BB636_15 Depth=1
	v_cmp_ne_u16_sdwa s[10:11], v18, s13 src0_sel:BYTE_0 src1_sel:DWORD
	v_bfrev_b32_e32 v34, 1
	s_and_saveexec_b64 s[6:7], s[10:11]
	s_cbranch_execz .LBB636_44
; %bb.41:                               ;   in Loop: Header=BB636_15 Depth=1
	v_and_b32_e32 v20, 0x7f, v18
	v_cmp_ne_u32_e32 vcc, s14, v20
	v_mov_b32_e32 v34, 0x7f800001
	s_and_saveexec_b64 s[10:11], vcc
	s_cbranch_execz .LBB636_43
; %bb.42:                               ;   in Loop: Header=BB636_15 Depth=1
	v_and_b32_e32 v30, 7, v18
	v_ffbh_u32_e32 v34, v30
	v_min_u32_e32 v34, 32, v34
	v_subrev_u32_e32 v37, 28, v34
	v_lshlrev_b64 v[38:39], v37, v[18:19]
	v_lshrrev_b32_e32 v32, 3, v20
	v_sub_u32_e32 v34, 29, v34
	v_and_b32_e32 v37, 7, v38
	v_cmp_gt_u32_e32 vcc, 8, v20
	v_cndmask_b32_e32 v20, v32, v34, vcc
	v_cndmask_b32_e32 v30, v30, v37, vcc
	v_lshlrev_b32_e32 v32, 24, v18
	v_lshlrev_b32_e32 v30, 20, v30
	v_and_b32_e32 v32, 0x80000000, v32
	v_lshl_add_u32 v20, v20, 23, v33
	v_or3_b32 v34, v32, v20, v30
.LBB636_43:                             ;   in Loop: Header=BB636_15 Depth=1
	s_or_b64 exec, exec, s[10:11]
.LBB636_44:                             ;   in Loop: Header=BB636_15 Depth=1
	s_or_b64 exec, exec, s[6:7]
.LBB636_45:                             ;   in Loop: Header=BB636_15 Depth=1
	s_or_b64 exec, exec, s[4:5]
	v_lshrrev_b16_e32 v20, 8, v18
	v_cmp_ne_u16_e32 vcc, 0, v20
	v_mov_b32_e32 v30, 0
	v_mov_b32_e32 v37, 0
	s_and_saveexec_b64 s[4:5], vcc
	s_cbranch_execz .LBB636_51
; %bb.46:                               ;   in Loop: Header=BB636_15 Depth=1
	v_cmp_ne_u16_e32 vcc, s13, v20
	v_bfrev_b32_e32 v37, 1
	s_and_saveexec_b64 s[6:7], vcc
	s_cbranch_execz .LBB636_50
; %bb.47:                               ;   in Loop: Header=BB636_15 Depth=1
	v_and_b32_e32 v32, 0x7f, v20
	v_cmp_ne_u32_e32 vcc, s14, v32
	v_mov_b32_e32 v37, 0x7f800001
	s_and_saveexec_b64 s[10:11], vcc
	s_cbranch_execz .LBB636_49
; %bb.48:                               ;   in Loop: Header=BB636_15 Depth=1
	v_and_b32_e32 v37, 7, v20
	v_ffbh_u32_e32 v38, v37
	v_min_u32_e32 v41, 32, v38
	v_subrev_u32_e32 v38, 28, v41
	v_lshlrev_b64 v[38:39], v38, v[20:21]
	v_lshrrev_b32_e32 v40, 3, v32
	v_sub_u32_e32 v20, 29, v41
	v_and_b32_e32 v38, 7, v38
	v_cmp_gt_u32_e32 vcc, 8, v32
	v_cndmask_b32_e32 v20, v40, v20, vcc
	v_cndmask_b32_e32 v32, v37, v38, vcc
	v_lshlrev_b32_e32 v37, 16, v18
	v_lshlrev_b32_e32 v32, 20, v32
	v_and_b32_e32 v37, 0x80000000, v37
	v_lshl_add_u32 v20, v20, 23, v33
	v_or3_b32 v37, v37, v20, v32
.LBB636_49:                             ;   in Loop: Header=BB636_15 Depth=1
	s_or_b64 exec, exec, s[10:11]
.LBB636_50:                             ;   in Loop: Header=BB636_15 Depth=1
	s_or_b64 exec, exec, s[6:7]
.LBB636_51:                             ;   in Loop: Header=BB636_15 Depth=1
	s_or_b64 exec, exec, s[4:5]
	v_lshrrev_b32_e32 v20, 16, v18
	v_cmp_ne_u16_sdwa s[6:7], v20, v29 src0_sel:BYTE_0 src1_sel:DWORD
	s_and_saveexec_b64 s[4:5], s[6:7]
	s_cbranch_execz .LBB636_57
; %bb.52:                               ;   in Loop: Header=BB636_15 Depth=1
	v_cmp_ne_u16_sdwa s[10:11], v20, s13 src0_sel:BYTE_0 src1_sel:DWORD
	v_bfrev_b32_e32 v30, 1
	s_and_saveexec_b64 s[6:7], s[10:11]
	s_cbranch_execz .LBB636_56
; %bb.53:                               ;   in Loop: Header=BB636_15 Depth=1
	v_bfe_u32 v32, v18, 16, 7
	v_cmp_ne_u32_e32 vcc, s14, v32
	v_mov_b32_e32 v30, 0x7f800001
	s_and_saveexec_b64 s[10:11], vcc
	s_cbranch_execz .LBB636_55
; %bb.54:                               ;   in Loop: Header=BB636_15 Depth=1
	v_and_b32_e32 v30, 7, v20
	v_ffbh_u32_e32 v38, v30
	v_min_u32_e32 v41, 32, v38
	v_subrev_u32_e32 v38, 28, v41
	v_lshlrev_b64 v[38:39], v38, v[20:21]
	v_lshrrev_b32_e32 v40, 3, v32
	v_sub_u32_e32 v39, 29, v41
	v_and_b32_e32 v38, 7, v38
	v_cmp_gt_u32_e32 vcc, 8, v32
	v_cndmask_b32_e32 v32, v40, v39, vcc
	v_cndmask_b32_e32 v30, v30, v38, vcc
	v_lshlrev_b32_e32 v20, 24, v20
	v_lshlrev_b32_e32 v30, 20, v30
	v_and_b32_e32 v20, 0x80000000, v20
	v_lshl_add_u32 v32, v32, 23, v33
	v_or3_b32 v30, v20, v32, v30
.LBB636_55:                             ;   in Loop: Header=BB636_15 Depth=1
	s_or_b64 exec, exec, s[10:11]
.LBB636_56:                             ;   in Loop: Header=BB636_15 Depth=1
	s_or_b64 exec, exec, s[6:7]
.LBB636_57:                             ;   in Loop: Header=BB636_15 Depth=1
	s_or_b64 exec, exec, s[4:5]
	v_cmp_lt_u32_e32 vcc, s15, v18
	v_mov_b32_e32 v32, 0
	v_mov_b32_e32 v38, 0
	s_and_saveexec_b64 s[4:5], vcc
	s_cbranch_execz .LBB636_63
; %bb.58:                               ;   in Loop: Header=BB636_15 Depth=1
	v_lshrrev_b32_e32 v20, 24, v18
	v_cmp_ne_u32_e32 vcc, s13, v20
	v_bfrev_b32_e32 v38, 1
	s_and_saveexec_b64 s[6:7], vcc
	s_cbranch_execz .LBB636_62
; %bb.59:                               ;   in Loop: Header=BB636_15 Depth=1
	v_bfe_u32 v18, v18, 24, 7
	v_cmp_ne_u32_e32 vcc, s14, v18
	v_mov_b32_e32 v38, 0x7f800001
	s_and_saveexec_b64 s[10:11], vcc
	s_cbranch_execz .LBB636_61
; %bb.60:                               ;   in Loop: Header=BB636_15 Depth=1
	v_and_b32_e32 v40, 7, v20
	v_ffbh_u32_e32 v38, v40
	v_min_u32_e32 v42, 32, v38
	v_subrev_u32_e32 v38, 28, v42
	v_lshlrev_b64 v[38:39], v38, v[20:21]
	v_lshrrev_b32_e32 v41, 3, v18
	v_sub_u32_e32 v39, 29, v42
	v_and_b32_e32 v38, 7, v38
	v_cmp_gt_u32_e32 vcc, 8, v18
	v_cndmask_b32_e32 v18, v41, v39, vcc
	v_cndmask_b32_e32 v38, v40, v38, vcc
	v_lshlrev_b32_e32 v20, 24, v20
	v_lshlrev_b32_e32 v38, 20, v38
	v_and_b32_e32 v20, 0x80000000, v20
	v_lshl_add_u32 v18, v18, 23, v33
	v_or3_b32 v38, v20, v18, v38
.LBB636_61:                             ;   in Loop: Header=BB636_15 Depth=1
	s_or_b64 exec, exec, s[10:11]
.LBB636_62:                             ;   in Loop: Header=BB636_15 Depth=1
	s_or_b64 exec, exec, s[6:7]
.LBB636_63:                             ;   in Loop: Header=BB636_15 Depth=1
	s_or_b64 exec, exec, s[4:5]
	v_cvt_pkrtz_f16_f32 v18, v19, v23
	v_cvt_pkrtz_f16_f32 v19, v21, v36
	;; [unrolled: 1-line block ×4, first 2 shown]
	s_waitcnt vmcnt(1)
	v_cmp_ne_u16_sdwa s[6:7], v28, v29 src0_sel:BYTE_0 src1_sel:DWORD
	v_mfma_f32_16x16x16f16 v[18:21], v[18:19], v[2:3], 0
	v_mfma_f32_16x16x16f16 v[18:21], v[36:37], v[4:5], v[18:21]
	s_and_saveexec_b64 s[4:5], s[6:7]
	s_cbranch_execz .LBB636_69
; %bb.64:                               ;   in Loop: Header=BB636_15 Depth=1
	v_cmp_ne_u16_sdwa s[10:11], v28, s13 src0_sel:BYTE_0 src1_sel:DWORD
	v_bfrev_b32_e32 v32, 1
	s_and_saveexec_b64 s[6:7], s[10:11]
	s_cbranch_execz .LBB636_68
; %bb.65:                               ;   in Loop: Header=BB636_15 Depth=1
	v_and_b32_e32 v23, 0x7f, v28
	v_cmp_ne_u32_e32 vcc, s14, v23
	v_mov_b32_e32 v32, 0x7f800001
	s_and_saveexec_b64 s[10:11], vcc
	s_cbranch_execz .LBB636_67
; %bb.66:                               ;   in Loop: Header=BB636_15 Depth=1
	v_and_b32_e32 v30, 7, v28
	v_ffbh_u32_e32 v34, v30
	v_min_u32_e32 v34, 32, v34
	v_subrev_u32_e32 v36, 28, v34
	v_lshlrev_b64 v[36:37], v36, v[28:29]
	v_lshrrev_b32_e32 v32, 3, v23
	v_sub_u32_e32 v34, 29, v34
	v_and_b32_e32 v36, 7, v36
	v_cmp_gt_u32_e32 vcc, 8, v23
	v_cndmask_b32_e32 v23, v32, v34, vcc
	v_cndmask_b32_e32 v30, v30, v36, vcc
	v_lshlrev_b32_e32 v32, 24, v28
	v_lshlrev_b32_e32 v30, 20, v30
	v_and_b32_e32 v32, 0x80000000, v32
	v_lshl_add_u32 v23, v23, 23, v33
	v_or3_b32 v32, v32, v23, v30
.LBB636_67:                             ;   in Loop: Header=BB636_15 Depth=1
	s_or_b64 exec, exec, s[10:11]
.LBB636_68:                             ;   in Loop: Header=BB636_15 Depth=1
	s_or_b64 exec, exec, s[6:7]
.LBB636_69:                             ;   in Loop: Header=BB636_15 Depth=1
	s_or_b64 exec, exec, s[4:5]
	v_lshrrev_b16_e32 v30, 8, v28
	v_cmp_ne_u16_e32 vcc, 0, v30
	v_mov_b32_e32 v34, 0
	v_mov_b32_e32 v36, 0
	s_and_saveexec_b64 s[4:5], vcc
	s_cbranch_execz .LBB636_75
; %bb.70:                               ;   in Loop: Header=BB636_15 Depth=1
	v_cmp_ne_u16_e32 vcc, s13, v30
	v_bfrev_b32_e32 v36, 1
	s_and_saveexec_b64 s[6:7], vcc
	s_cbranch_execz .LBB636_74
; %bb.71:                               ;   in Loop: Header=BB636_15 Depth=1
	v_and_b32_e32 v23, 0x7f, v30
	v_cmp_ne_u32_e32 vcc, s14, v23
	v_mov_b32_e32 v36, 0x7f800001
	s_and_saveexec_b64 s[10:11], vcc
	s_cbranch_execz .LBB636_73
; %bb.72:                               ;   in Loop: Header=BB636_15 Depth=1
	v_and_b32_e32 v38, 7, v30
	v_ffbh_u32_e32 v36, v38
	v_min_u32_e32 v40, 32, v36
	v_subrev_u32_e32 v36, 28, v40
	v_lshlrev_b64 v[36:37], v36, v[30:31]
	v_lshrrev_b32_e32 v39, 3, v23
	v_sub_u32_e32 v30, 29, v40
	v_and_b32_e32 v36, 7, v36
	v_cmp_gt_u32_e32 vcc, 8, v23
	v_cndmask_b32_e32 v23, v39, v30, vcc
	v_cndmask_b32_e32 v30, v38, v36, vcc
	v_lshlrev_b32_e32 v36, 16, v28
	v_lshlrev_b32_e32 v30, 20, v30
	v_and_b32_e32 v36, 0x80000000, v36
	v_lshl_add_u32 v23, v23, 23, v33
	v_or3_b32 v36, v36, v23, v30
.LBB636_73:                             ;   in Loop: Header=BB636_15 Depth=1
	s_or_b64 exec, exec, s[10:11]
.LBB636_74:                             ;   in Loop: Header=BB636_15 Depth=1
	s_or_b64 exec, exec, s[6:7]
.LBB636_75:                             ;   in Loop: Header=BB636_15 Depth=1
	s_or_b64 exec, exec, s[4:5]
	v_lshrrev_b32_e32 v30, 16, v28
	v_cmp_ne_u16_sdwa s[6:7], v30, v29 src0_sel:BYTE_0 src1_sel:DWORD
	s_and_saveexec_b64 s[4:5], s[6:7]
	s_cbranch_execz .LBB636_81
; %bb.76:                               ;   in Loop: Header=BB636_15 Depth=1
	v_cmp_ne_u16_sdwa s[10:11], v30, s13 src0_sel:BYTE_0 src1_sel:DWORD
	v_bfrev_b32_e32 v34, 1
	s_and_saveexec_b64 s[6:7], s[10:11]
	s_cbranch_execz .LBB636_80
; %bb.77:                               ;   in Loop: Header=BB636_15 Depth=1
	v_bfe_u32 v23, v28, 16, 7
	v_cmp_ne_u32_e32 vcc, s14, v23
	v_mov_b32_e32 v34, 0x7f800001
	s_and_saveexec_b64 s[10:11], vcc
	s_cbranch_execz .LBB636_79
; %bb.78:                               ;   in Loop: Header=BB636_15 Depth=1
	v_and_b32_e32 v34, 7, v30
	v_ffbh_u32_e32 v38, v34
	v_min_u32_e32 v40, 32, v38
	v_subrev_u32_e32 v38, 28, v40
	v_lshlrev_b64 v[38:39], v38, v[30:31]
	v_lshrrev_b32_e32 v37, 3, v23
	v_sub_u32_e32 v39, 29, v40
	v_and_b32_e32 v38, 7, v38
	v_cmp_gt_u32_e32 vcc, 8, v23
	v_cndmask_b32_e32 v23, v37, v39, vcc
	v_cndmask_b32_e32 v34, v34, v38, vcc
	v_lshlrev_b32_e32 v30, 24, v30
	v_lshlrev_b32_e32 v34, 20, v34
	v_and_b32_e32 v30, 0x80000000, v30
	v_lshl_add_u32 v23, v23, 23, v33
	v_or3_b32 v34, v30, v23, v34
.LBB636_79:                             ;   in Loop: Header=BB636_15 Depth=1
	s_or_b64 exec, exec, s[10:11]
.LBB636_80:                             ;   in Loop: Header=BB636_15 Depth=1
	s_or_b64 exec, exec, s[6:7]
.LBB636_81:                             ;   in Loop: Header=BB636_15 Depth=1
	s_or_b64 exec, exec, s[4:5]
	v_cmp_lt_u32_e32 vcc, s15, v28
	v_mov_b32_e32 v37, 0
	v_mov_b32_e32 v38, 0
	s_and_saveexec_b64 s[4:5], vcc
	s_cbranch_execz .LBB636_87
; %bb.82:                               ;   in Loop: Header=BB636_15 Depth=1
	v_lshrrev_b32_e32 v30, 24, v28
	v_cmp_ne_u32_e32 vcc, s13, v30
	v_bfrev_b32_e32 v38, 1
	s_and_saveexec_b64 s[6:7], vcc
	s_cbranch_execz .LBB636_86
; %bb.83:                               ;   in Loop: Header=BB636_15 Depth=1
	v_bfe_u32 v23, v28, 24, 7
	v_cmp_ne_u32_e32 vcc, s14, v23
	v_mov_b32_e32 v38, 0x7f800001
	s_and_saveexec_b64 s[10:11], vcc
	s_cbranch_execz .LBB636_85
; %bb.84:                               ;   in Loop: Header=BB636_15 Depth=1
	v_and_b32_e32 v28, 7, v30
	v_ffbh_u32_e32 v38, v28
	v_min_u32_e32 v41, 32, v38
	v_subrev_u32_e32 v38, 28, v41
	v_lshlrev_b64 v[38:39], v38, v[30:31]
	v_lshrrev_b32_e32 v40, 3, v23
	v_sub_u32_e32 v39, 29, v41
	v_and_b32_e32 v38, 7, v38
	v_cmp_gt_u32_e32 vcc, 8, v23
	v_cndmask_b32_e32 v23, v40, v39, vcc
	v_cndmask_b32_e32 v28, v28, v38, vcc
	v_lshlrev_b32_e32 v30, 24, v30
	v_lshlrev_b32_e32 v28, 20, v28
	v_and_b32_e32 v30, 0x80000000, v30
	v_lshl_add_u32 v23, v23, 23, v33
	v_or3_b32 v38, v30, v23, v28
.LBB636_85:                             ;   in Loop: Header=BB636_15 Depth=1
	s_or_b64 exec, exec, s[10:11]
.LBB636_86:                             ;   in Loop: Header=BB636_15 Depth=1
	s_or_b64 exec, exec, s[6:7]
.LBB636_87:                             ;   in Loop: Header=BB636_15 Depth=1
	s_or_b64 exec, exec, s[4:5]
	s_waitcnt vmcnt(0)
	v_cmp_ne_u16_sdwa s[6:7], v26, v29 src0_sel:BYTE_0 src1_sel:DWORD
	s_and_saveexec_b64 s[4:5], s[6:7]
	s_cbranch_execz .LBB636_93
; %bb.88:                               ;   in Loop: Header=BB636_15 Depth=1
	v_cmp_ne_u16_sdwa s[10:11], v26, s13 src0_sel:BYTE_0 src1_sel:DWORD
	v_bfrev_b32_e32 v37, 1
	s_and_saveexec_b64 s[6:7], s[10:11]
	s_cbranch_execz .LBB636_92
; %bb.89:                               ;   in Loop: Header=BB636_15 Depth=1
	v_and_b32_e32 v23, 0x7f, v26
	v_cmp_ne_u32_e32 vcc, s14, v23
	v_mov_b32_e32 v37, 0x7f800001
	s_and_saveexec_b64 s[10:11], vcc
	s_cbranch_execz .LBB636_91
; %bb.90:                               ;   in Loop: Header=BB636_15 Depth=1
	v_and_b32_e32 v28, 7, v26
	v_ffbh_u32_e32 v37, v28
	v_min_u32_e32 v37, 32, v37
	v_subrev_u32_e32 v39, 28, v37
	v_lshlrev_b64 v[40:41], v39, v[26:27]
	v_lshrrev_b32_e32 v30, 3, v23
	v_sub_u32_e32 v37, 29, v37
	v_and_b32_e32 v39, 7, v40
	v_cmp_gt_u32_e32 vcc, 8, v23
	v_cndmask_b32_e32 v23, v30, v37, vcc
	v_cndmask_b32_e32 v28, v28, v39, vcc
	v_lshlrev_b32_e32 v30, 24, v26
	v_lshlrev_b32_e32 v28, 20, v28
	v_and_b32_e32 v30, 0x80000000, v30
	v_lshl_add_u32 v23, v23, 23, v33
	v_or3_b32 v37, v30, v23, v28
.LBB636_91:                             ;   in Loop: Header=BB636_15 Depth=1
	s_or_b64 exec, exec, s[10:11]
.LBB636_92:                             ;   in Loop: Header=BB636_15 Depth=1
	s_or_b64 exec, exec, s[6:7]
.LBB636_93:                             ;   in Loop: Header=BB636_15 Depth=1
	s_or_b64 exec, exec, s[4:5]
	v_lshrrev_b16_e32 v28, 8, v26
	v_cmp_ne_u16_e32 vcc, 0, v28
	v_mov_b32_e32 v39, 0
	v_mov_b32_e32 v40, 0
	s_and_saveexec_b64 s[4:5], vcc
	s_cbranch_execz .LBB636_99
; %bb.94:                               ;   in Loop: Header=BB636_15 Depth=1
	v_cmp_ne_u16_e32 vcc, s13, v28
	v_bfrev_b32_e32 v40, 1
	s_and_saveexec_b64 s[6:7], vcc
	s_cbranch_execz .LBB636_98
; %bb.95:                               ;   in Loop: Header=BB636_15 Depth=1
	v_and_b32_e32 v23, 0x7f, v28
	v_cmp_ne_u32_e32 vcc, s14, v23
	v_mov_b32_e32 v40, 0x7f800001
	s_and_saveexec_b64 s[10:11], vcc
	s_cbranch_execz .LBB636_97
; %bb.96:                               ;   in Loop: Header=BB636_15 Depth=1
	v_and_b32_e32 v30, 7, v28
	v_ffbh_u32_e32 v40, v30
	v_min_u32_e32 v43, 32, v40
	v_subrev_u32_e32 v40, 28, v43
	v_lshlrev_b64 v[40:41], v40, v[28:29]
	v_lshrrev_b32_e32 v42, 3, v23
	v_sub_u32_e32 v28, 29, v43
	v_and_b32_e32 v40, 7, v40
	v_cmp_gt_u32_e32 vcc, 8, v23
	v_cndmask_b32_e32 v23, v42, v28, vcc
	v_cndmask_b32_e32 v28, v30, v40, vcc
	v_lshlrev_b32_e32 v30, 16, v26
	v_lshlrev_b32_e32 v28, 20, v28
	v_and_b32_e32 v30, 0x80000000, v30
	v_lshl_add_u32 v23, v23, 23, v33
	v_or3_b32 v40, v30, v23, v28
.LBB636_97:                             ;   in Loop: Header=BB636_15 Depth=1
	s_or_b64 exec, exec, s[10:11]
.LBB636_98:                             ;   in Loop: Header=BB636_15 Depth=1
	s_or_b64 exec, exec, s[6:7]
.LBB636_99:                             ;   in Loop: Header=BB636_15 Depth=1
	s_or_b64 exec, exec, s[4:5]
	v_lshrrev_b32_e32 v28, 16, v26
	v_cmp_ne_u16_sdwa s[6:7], v28, v29 src0_sel:BYTE_0 src1_sel:DWORD
	s_and_saveexec_b64 s[4:5], s[6:7]
	s_cbranch_execz .LBB636_105
; %bb.100:                              ;   in Loop: Header=BB636_15 Depth=1
	v_cmp_ne_u16_sdwa s[10:11], v28, s13 src0_sel:BYTE_0 src1_sel:DWORD
	v_bfrev_b32_e32 v39, 1
	s_and_saveexec_b64 s[6:7], s[10:11]
	s_cbranch_execz .LBB636_104
; %bb.101:                              ;   in Loop: Header=BB636_15 Depth=1
	v_bfe_u32 v23, v26, 16, 7
	v_cmp_ne_u32_e32 vcc, s14, v23
	v_mov_b32_e32 v39, 0x7f800001
	s_and_saveexec_b64 s[10:11], vcc
	s_cbranch_execz .LBB636_103
; %bb.102:                              ;   in Loop: Header=BB636_15 Depth=1
	v_and_b32_e32 v30, 7, v28
	v_ffbh_u32_e32 v41, v30
	v_min_u32_e32 v41, 32, v41
	v_subrev_u32_e32 v42, 28, v41
	v_lshlrev_b64 v[42:43], v42, v[28:29]
	v_lshrrev_b32_e32 v39, 3, v23
	v_sub_u32_e32 v41, 29, v41
	v_and_b32_e32 v42, 7, v42
	v_cmp_gt_u32_e32 vcc, 8, v23
	v_cndmask_b32_e32 v23, v39, v41, vcc
	v_cndmask_b32_e32 v30, v30, v42, vcc
	v_lshlrev_b32_e32 v28, 24, v28
	v_lshlrev_b32_e32 v30, 20, v30
	v_and_b32_e32 v28, 0x80000000, v28
	v_lshl_add_u32 v23, v23, 23, v33
	v_or3_b32 v39, v28, v23, v30
.LBB636_103:                            ;   in Loop: Header=BB636_15 Depth=1
	s_or_b64 exec, exec, s[10:11]
.LBB636_104:                            ;   in Loop: Header=BB636_15 Depth=1
	s_or_b64 exec, exec, s[6:7]
.LBB636_105:                            ;   in Loop: Header=BB636_15 Depth=1
	s_or_b64 exec, exec, s[4:5]
	v_cmp_lt_u32_e32 vcc, s15, v26
	v_mov_b32_e32 v23, 0
	v_mov_b32_e32 v41, 0
	s_and_saveexec_b64 s[4:5], vcc
	s_cbranch_execz .LBB636_111
; %bb.106:                              ;   in Loop: Header=BB636_15 Depth=1
	v_lshrrev_b32_e32 v28, 24, v26
	v_cmp_ne_u32_e32 vcc, s13, v28
	v_bfrev_b32_e32 v41, 1
	s_and_saveexec_b64 s[6:7], vcc
	s_cbranch_execz .LBB636_110
; %bb.107:                              ;   in Loop: Header=BB636_15 Depth=1
	v_bfe_u32 v26, v26, 24, 7
	v_cmp_ne_u32_e32 vcc, s14, v26
	v_mov_b32_e32 v41, 0x7f800001
	s_and_saveexec_b64 s[10:11], vcc
	s_cbranch_execz .LBB636_109
; %bb.108:                              ;   in Loop: Header=BB636_15 Depth=1
	v_and_b32_e32 v30, 7, v28
	v_ffbh_u32_e32 v42, v30
	v_min_u32_e32 v44, 32, v42
	v_subrev_u32_e32 v42, 28, v44
	v_lshlrev_b64 v[42:43], v42, v[28:29]
	v_lshrrev_b32_e32 v41, 3, v26
	v_sub_u32_e32 v43, 29, v44
	v_and_b32_e32 v42, 7, v42
	v_cmp_gt_u32_e32 vcc, 8, v26
	v_cndmask_b32_e32 v26, v41, v43, vcc
	v_cndmask_b32_e32 v30, v30, v42, vcc
	v_lshlrev_b32_e32 v28, 24, v28
	v_lshlrev_b32_e32 v30, 20, v30
	v_and_b32_e32 v28, 0x80000000, v28
	v_lshl_add_u32 v26, v26, 23, v33
	v_or3_b32 v41, v28, v26, v30
.LBB636_109:                            ;   in Loop: Header=BB636_15 Depth=1
	s_or_b64 exec, exec, s[10:11]
.LBB636_110:                            ;   in Loop: Header=BB636_15 Depth=1
	s_or_b64 exec, exec, s[6:7]
.LBB636_111:                            ;   in Loop: Header=BB636_15 Depth=1
	s_or_b64 exec, exec, s[4:5]
	v_cvt_pkrtz_f16_f32 v42, v32, v36
	buffer_load_dword v32, v27, s[0:3], 0 offen offset:16
	buffer_load_dword v30, v27, s[0:3], 0 offen offset:20
	;; [unrolled: 1-line block ×4, first 2 shown]
	v_cvt_pkrtz_f16_f32 v43, v34, v38
	v_cvt_pkrtz_f16_f32 v36, v37, v40
	;; [unrolled: 1-line block ×3, first 2 shown]
	v_mfma_f32_16x16x16f16 v[18:21], v[42:43], v[6:7], v[18:21]
	s_waitcnt vmcnt(3)
	v_cmp_ne_u16_sdwa s[6:7], v32, v29 src0_sel:BYTE_0 src1_sel:DWORD
	v_mfma_f32_16x16x16f16 v[18:21], v[36:37], v[8:9], v[18:21]
	s_and_saveexec_b64 s[4:5], s[6:7]
	s_cbranch_execz .LBB636_117
; %bb.112:                              ;   in Loop: Header=BB636_15 Depth=1
	v_cmp_ne_u16_sdwa s[10:11], v32, s13 src0_sel:BYTE_0 src1_sel:DWORD
	v_bfrev_b32_e32 v23, 1
	s_and_saveexec_b64 s[6:7], s[10:11]
	s_cbranch_execz .LBB636_116
; %bb.113:                              ;   in Loop: Header=BB636_15 Depth=1
	v_and_b32_e32 v34, 0x7f, v32
	v_cmp_ne_u32_e32 vcc, s14, v34
	v_mov_b32_e32 v23, 0x7f800001
	s_and_saveexec_b64 s[10:11], vcc
	s_cbranch_execz .LBB636_115
; %bb.114:                              ;   in Loop: Header=BB636_15 Depth=1
	v_and_b32_e32 v23, 7, v32
	v_ffbh_u32_e32 v36, v23
	v_min_u32_e32 v39, 32, v36
	v_subrev_u32_e32 v36, 28, v39
	v_lshlrev_b64 v[36:37], v36, v[32:33]
	v_lshrrev_b32_e32 v38, 3, v34
	v_sub_u32_e32 v37, 29, v39
	v_and_b32_e32 v36, 7, v36
	v_cmp_gt_u32_e32 vcc, 8, v34
	v_cndmask_b32_e32 v34, v38, v37, vcc
	v_cndmask_b32_e32 v23, v23, v36, vcc
	v_lshlrev_b32_e32 v36, 24, v32
	v_lshlrev_b32_e32 v23, 20, v23
	v_and_b32_e32 v36, 0x80000000, v36
	v_lshl_add_u32 v34, v34, 23, v33
	v_or3_b32 v23, v36, v34, v23
.LBB636_115:                            ;   in Loop: Header=BB636_15 Depth=1
	s_or_b64 exec, exec, s[10:11]
.LBB636_116:                            ;   in Loop: Header=BB636_15 Depth=1
	s_or_b64 exec, exec, s[6:7]
.LBB636_117:                            ;   in Loop: Header=BB636_15 Depth=1
	s_or_b64 exec, exec, s[4:5]
	v_lshrrev_b16_e32 v34, 8, v32
	v_cmp_ne_u16_e32 vcc, 0, v34
	v_mov_b32_e32 v36, 0
	v_mov_b32_e32 v37, 0
	s_and_saveexec_b64 s[4:5], vcc
	s_cbranch_execz .LBB636_123
; %bb.118:                              ;   in Loop: Header=BB636_15 Depth=1
	v_cmp_ne_u16_e32 vcc, s13, v34
	v_bfrev_b32_e32 v37, 1
	s_and_saveexec_b64 s[6:7], vcc
	s_cbranch_execz .LBB636_122
; %bb.119:                              ;   in Loop: Header=BB636_15 Depth=1
	v_and_b32_e32 v38, 0x7f, v34
	v_cmp_ne_u32_e32 vcc, s14, v38
	v_mov_b32_e32 v37, 0x7f800001
	s_and_saveexec_b64 s[10:11], vcc
	s_cbranch_execz .LBB636_121
; %bb.120:                              ;   in Loop: Header=BB636_15 Depth=1
	v_and_b32_e32 v37, 7, v34
	v_ffbh_u32_e32 v40, v37
	v_min_u32_e32 v42, 32, v40
	v_subrev_u32_e32 v40, 28, v42
	v_lshlrev_b64 v[40:41], v40, v[34:35]
	v_lshrrev_b32_e32 v39, 3, v38
	v_sub_u32_e32 v34, 29, v42
	v_and_b32_e32 v40, 7, v40
	v_cmp_gt_u32_e32 vcc, 8, v38
	v_cndmask_b32_e32 v34, v39, v34, vcc
	v_cndmask_b32_e32 v37, v37, v40, vcc
	v_lshlrev_b32_e32 v38, 16, v32
	v_lshlrev_b32_e32 v37, 20, v37
	v_and_b32_e32 v38, 0x80000000, v38
	v_lshl_add_u32 v34, v34, 23, v33
	v_or3_b32 v37, v38, v34, v37
.LBB636_121:                            ;   in Loop: Header=BB636_15 Depth=1
	s_or_b64 exec, exec, s[10:11]
.LBB636_122:                            ;   in Loop: Header=BB636_15 Depth=1
	s_or_b64 exec, exec, s[6:7]
.LBB636_123:                            ;   in Loop: Header=BB636_15 Depth=1
	s_or_b64 exec, exec, s[4:5]
	v_lshrrev_b32_e32 v34, 16, v32
	v_cmp_ne_u16_sdwa s[6:7], v34, v29 src0_sel:BYTE_0 src1_sel:DWORD
	s_and_saveexec_b64 s[4:5], s[6:7]
	s_cbranch_execz .LBB636_129
; %bb.124:                              ;   in Loop: Header=BB636_15 Depth=1
	v_cmp_ne_u16_sdwa s[10:11], v34, s13 src0_sel:BYTE_0 src1_sel:DWORD
	v_bfrev_b32_e32 v36, 1
	s_and_saveexec_b64 s[6:7], s[10:11]
	s_cbranch_execz .LBB636_128
; %bb.125:                              ;   in Loop: Header=BB636_15 Depth=1
	v_bfe_u32 v38, v32, 16, 7
	v_cmp_ne_u32_e32 vcc, s14, v38
	v_mov_b32_e32 v36, 0x7f800001
	s_and_saveexec_b64 s[10:11], vcc
	s_cbranch_execz .LBB636_127
; %bb.126:                              ;   in Loop: Header=BB636_15 Depth=1
	v_and_b32_e32 v36, 7, v34
	v_ffbh_u32_e32 v40, v36
	v_min_u32_e32 v42, 32, v40
	v_subrev_u32_e32 v40, 28, v42
	v_lshlrev_b64 v[40:41], v40, v[34:35]
	v_lshrrev_b32_e32 v39, 3, v38
	v_sub_u32_e32 v41, 29, v42
	v_and_b32_e32 v40, 7, v40
	v_cmp_gt_u32_e32 vcc, 8, v38
	v_cndmask_b32_e32 v38, v39, v41, vcc
	v_cndmask_b32_e32 v36, v36, v40, vcc
	v_lshlrev_b32_e32 v34, 24, v34
	v_lshlrev_b32_e32 v36, 20, v36
	v_and_b32_e32 v34, 0x80000000, v34
	v_lshl_add_u32 v38, v38, 23, v33
	v_or3_b32 v36, v34, v38, v36
.LBB636_127:                            ;   in Loop: Header=BB636_15 Depth=1
	s_or_b64 exec, exec, s[10:11]
.LBB636_128:                            ;   in Loop: Header=BB636_15 Depth=1
	s_or_b64 exec, exec, s[6:7]
.LBB636_129:                            ;   in Loop: Header=BB636_15 Depth=1
	s_or_b64 exec, exec, s[4:5]
	v_cmp_lt_u32_e32 vcc, s15, v32
	v_mov_b32_e32 v38, 0
	v_mov_b32_e32 v39, 0
	s_and_saveexec_b64 s[4:5], vcc
	s_cbranch_execz .LBB636_135
; %bb.130:                              ;   in Loop: Header=BB636_15 Depth=1
	v_lshrrev_b32_e32 v34, 24, v32
	v_cmp_ne_u32_e32 vcc, s13, v34
	v_bfrev_b32_e32 v39, 1
	s_and_saveexec_b64 s[6:7], vcc
	s_cbranch_execz .LBB636_134
; %bb.131:                              ;   in Loop: Header=BB636_15 Depth=1
	v_bfe_u32 v32, v32, 24, 7
	v_cmp_ne_u32_e32 vcc, s14, v32
	v_mov_b32_e32 v39, 0x7f800001
	s_and_saveexec_b64 s[10:11], vcc
	s_cbranch_execz .LBB636_133
; %bb.132:                              ;   in Loop: Header=BB636_15 Depth=1
	v_and_b32_e32 v39, 7, v34
	v_ffbh_u32_e32 v40, v39
	v_min_u32_e32 v43, 32, v40
	v_subrev_u32_e32 v40, 28, v43
	v_lshlrev_b64 v[40:41], v40, v[34:35]
	v_lshrrev_b32_e32 v42, 3, v32
	v_sub_u32_e32 v41, 29, v43
	v_and_b32_e32 v40, 7, v40
	v_cmp_gt_u32_e32 vcc, 8, v32
	v_cndmask_b32_e32 v32, v42, v41, vcc
	v_cndmask_b32_e32 v39, v39, v40, vcc
	v_lshlrev_b32_e32 v34, 24, v34
	v_lshlrev_b32_e32 v39, 20, v39
	v_and_b32_e32 v34, 0x80000000, v34
	v_lshl_add_u32 v32, v32, 23, v33
	v_or3_b32 v39, v34, v32, v39
.LBB636_133:                            ;   in Loop: Header=BB636_15 Depth=1
	s_or_b64 exec, exec, s[10:11]
.LBB636_134:                            ;   in Loop: Header=BB636_15 Depth=1
	s_or_b64 exec, exec, s[6:7]
.LBB636_135:                            ;   in Loop: Header=BB636_15 Depth=1
	s_or_b64 exec, exec, s[4:5]
	s_waitcnt vmcnt(2)
	v_cmp_ne_u16_sdwa s[6:7], v30, v29 src0_sel:BYTE_0 src1_sel:DWORD
	s_and_saveexec_b64 s[4:5], s[6:7]
	s_cbranch_execz .LBB636_141
; %bb.136:                              ;   in Loop: Header=BB636_15 Depth=1
	v_cmp_ne_u16_sdwa s[10:11], v30, s13 src0_sel:BYTE_0 src1_sel:DWORD
	v_bfrev_b32_e32 v38, 1
	s_and_saveexec_b64 s[6:7], s[10:11]
	s_cbranch_execz .LBB636_140
; %bb.137:                              ;   in Loop: Header=BB636_15 Depth=1
	v_and_b32_e32 v32, 0x7f, v30
	v_cmp_ne_u32_e32 vcc, s14, v32
	v_mov_b32_e32 v38, 0x7f800001
	s_and_saveexec_b64 s[10:11], vcc
	s_cbranch_execz .LBB636_139
; %bb.138:                              ;   in Loop: Header=BB636_15 Depth=1
	v_and_b32_e32 v34, 7, v30
	v_ffbh_u32_e32 v40, v34
	v_min_u32_e32 v42, 32, v40
	v_subrev_u32_e32 v40, 28, v42
	v_lshlrev_b64 v[40:41], v40, v[30:31]
	v_lshrrev_b32_e32 v38, 3, v32
	v_sub_u32_e32 v41, 29, v42
	v_and_b32_e32 v40, 7, v40
	v_cmp_gt_u32_e32 vcc, 8, v32
	v_cndmask_b32_e32 v32, v38, v41, vcc
	v_cndmask_b32_e32 v34, v34, v40, vcc
	v_lshlrev_b32_e32 v38, 24, v30
	v_lshlrev_b32_e32 v34, 20, v34
	v_and_b32_e32 v38, 0x80000000, v38
	v_lshl_add_u32 v32, v32, 23, v33
	v_or3_b32 v38, v38, v32, v34
.LBB636_139:                            ;   in Loop: Header=BB636_15 Depth=1
	s_or_b64 exec, exec, s[10:11]
.LBB636_140:                            ;   in Loop: Header=BB636_15 Depth=1
	s_or_b64 exec, exec, s[6:7]
.LBB636_141:                            ;   in Loop: Header=BB636_15 Depth=1
	s_or_b64 exec, exec, s[4:5]
	v_lshrrev_b16_e32 v32, 8, v30
	v_cmp_ne_u16_e32 vcc, 0, v32
	v_mov_b32_e32 v40, 0
	v_mov_b32_e32 v41, 0
	s_and_saveexec_b64 s[4:5], vcc
	s_cbranch_execz .LBB636_147
; %bb.142:                              ;   in Loop: Header=BB636_15 Depth=1
	v_cmp_ne_u16_e32 vcc, s13, v32
	v_bfrev_b32_e32 v41, 1
	s_and_saveexec_b64 s[6:7], vcc
	s_cbranch_execz .LBB636_146
; %bb.143:                              ;   in Loop: Header=BB636_15 Depth=1
	v_and_b32_e32 v34, 0x7f, v32
	v_cmp_ne_u32_e32 vcc, s14, v34
	v_mov_b32_e32 v41, 0x7f800001
	s_and_saveexec_b64 s[10:11], vcc
	s_cbranch_execz .LBB636_145
; %bb.144:                              ;   in Loop: Header=BB636_15 Depth=1
	v_and_b32_e32 v41, 7, v32
	v_ffbh_u32_e32 v42, v41
	v_min_u32_e32 v45, 32, v42
	v_subrev_u32_e32 v42, 28, v45
	v_lshlrev_b64 v[42:43], v42, v[32:33]
	v_lshrrev_b32_e32 v44, 3, v34
	v_sub_u32_e32 v32, 29, v45
	v_and_b32_e32 v42, 7, v42
	v_cmp_gt_u32_e32 vcc, 8, v34
	v_cndmask_b32_e32 v32, v44, v32, vcc
	v_cndmask_b32_e32 v34, v41, v42, vcc
	v_lshlrev_b32_e32 v41, 16, v30
	v_lshlrev_b32_e32 v34, 20, v34
	v_and_b32_e32 v41, 0x80000000, v41
	v_lshl_add_u32 v32, v32, 23, v33
	v_or3_b32 v41, v41, v32, v34
.LBB636_145:                            ;   in Loop: Header=BB636_15 Depth=1
	s_or_b64 exec, exec, s[10:11]
.LBB636_146:                            ;   in Loop: Header=BB636_15 Depth=1
	s_or_b64 exec, exec, s[6:7]
.LBB636_147:                            ;   in Loop: Header=BB636_15 Depth=1
	s_or_b64 exec, exec, s[4:5]
	v_lshrrev_b32_e32 v32, 16, v30
	v_cmp_ne_u16_sdwa s[6:7], v32, v29 src0_sel:BYTE_0 src1_sel:DWORD
	s_and_saveexec_b64 s[4:5], s[6:7]
	s_cbranch_execz .LBB636_153
; %bb.148:                              ;   in Loop: Header=BB636_15 Depth=1
	v_cmp_ne_u16_sdwa s[10:11], v32, s13 src0_sel:BYTE_0 src1_sel:DWORD
	v_bfrev_b32_e32 v40, 1
	s_and_saveexec_b64 s[6:7], s[10:11]
	s_cbranch_execz .LBB636_152
; %bb.149:                              ;   in Loop: Header=BB636_15 Depth=1
	v_bfe_u32 v34, v30, 16, 7
	v_cmp_ne_u32_e32 vcc, s14, v34
	v_mov_b32_e32 v40, 0x7f800001
	s_and_saveexec_b64 s[10:11], vcc
	s_cbranch_execz .LBB636_151
; %bb.150:                              ;   in Loop: Header=BB636_15 Depth=1
	v_and_b32_e32 v40, 7, v32
	v_ffbh_u32_e32 v42, v40
	v_min_u32_e32 v45, 32, v42
	v_subrev_u32_e32 v42, 28, v45
	v_lshlrev_b64 v[42:43], v42, v[32:33]
	v_lshrrev_b32_e32 v44, 3, v34
	v_sub_u32_e32 v43, 29, v45
	v_and_b32_e32 v42, 7, v42
	v_cmp_gt_u32_e32 vcc, 8, v34
	v_cndmask_b32_e32 v34, v44, v43, vcc
	v_cndmask_b32_e32 v40, v40, v42, vcc
	v_lshlrev_b32_e32 v32, 24, v32
	v_lshlrev_b32_e32 v40, 20, v40
	v_and_b32_e32 v32, 0x80000000, v32
	v_lshl_add_u32 v34, v34, 23, v33
	v_or3_b32 v40, v32, v34, v40
.LBB636_151:                            ;   in Loop: Header=BB636_15 Depth=1
	s_or_b64 exec, exec, s[10:11]
.LBB636_152:                            ;   in Loop: Header=BB636_15 Depth=1
	s_or_b64 exec, exec, s[6:7]
.LBB636_153:                            ;   in Loop: Header=BB636_15 Depth=1
	s_or_b64 exec, exec, s[4:5]
	v_cmp_lt_u32_e32 vcc, s15, v30
	v_mov_b32_e32 v34, 0
	v_mov_b32_e32 v42, 0
	s_and_saveexec_b64 s[4:5], vcc
	s_cbranch_execz .LBB636_159
; %bb.154:                              ;   in Loop: Header=BB636_15 Depth=1
	v_lshrrev_b32_e32 v32, 24, v30
	v_cmp_ne_u32_e32 vcc, s13, v32
	v_bfrev_b32_e32 v42, 1
	s_and_saveexec_b64 s[6:7], vcc
	s_cbranch_execz .LBB636_158
; %bb.155:                              ;   in Loop: Header=BB636_15 Depth=1
	v_bfe_u32 v30, v30, 24, 7
	v_cmp_ne_u32_e32 vcc, s14, v30
	v_mov_b32_e32 v42, 0x7f800001
	s_and_saveexec_b64 s[10:11], vcc
	s_cbranch_execz .LBB636_157
; %bb.156:                              ;   in Loop: Header=BB636_15 Depth=1
	v_and_b32_e32 v44, 7, v32
	v_ffbh_u32_e32 v42, v44
	v_min_u32_e32 v46, 32, v42
	v_subrev_u32_e32 v42, 28, v46
	v_lshlrev_b64 v[42:43], v42, v[32:33]
	v_lshrrev_b32_e32 v45, 3, v30
	v_sub_u32_e32 v43, 29, v46
	v_and_b32_e32 v42, 7, v42
	v_cmp_gt_u32_e32 vcc, 8, v30
	v_cndmask_b32_e32 v30, v45, v43, vcc
	v_cndmask_b32_e32 v42, v44, v42, vcc
	v_lshlrev_b32_e32 v32, 24, v32
	v_lshlrev_b32_e32 v42, 20, v42
	v_and_b32_e32 v32, 0x80000000, v32
	v_lshl_add_u32 v30, v30, 23, v33
	v_or3_b32 v42, v32, v30, v42
.LBB636_157:                            ;   in Loop: Header=BB636_15 Depth=1
	s_or_b64 exec, exec, s[10:11]
.LBB636_158:                            ;   in Loop: Header=BB636_15 Depth=1
	s_or_b64 exec, exec, s[6:7]
.LBB636_159:                            ;   in Loop: Header=BB636_15 Depth=1
	s_or_b64 exec, exec, s[4:5]
	v_cvt_pkrtz_f16_f32 v44, v23, v37
	v_cvt_pkrtz_f16_f32 v45, v36, v39
	;; [unrolled: 1-line block ×4, first 2 shown]
	s_waitcnt vmcnt(1)
	v_cmp_ne_u16_sdwa s[6:7], v28, v29 src0_sel:BYTE_0 src1_sel:DWORD
	v_mfma_f32_16x16x16f16 v[18:21], v[44:45], v[10:11], v[18:21]
	v_mfma_f32_16x16x16f16 v[18:21], v[36:37], v[12:13], v[18:21]
	s_and_saveexec_b64 s[4:5], s[6:7]
	s_cbranch_execz .LBB636_165
; %bb.160:                              ;   in Loop: Header=BB636_15 Depth=1
	v_cmp_ne_u16_sdwa s[10:11], v28, s13 src0_sel:BYTE_0 src1_sel:DWORD
	v_bfrev_b32_e32 v34, 1
	s_and_saveexec_b64 s[6:7], s[10:11]
	s_cbranch_execz .LBB636_164
; %bb.161:                              ;   in Loop: Header=BB636_15 Depth=1
	v_and_b32_e32 v23, 0x7f, v28
	v_cmp_ne_u32_e32 vcc, s14, v23
	v_mov_b32_e32 v34, 0x7f800001
	s_and_saveexec_b64 s[10:11], vcc
	s_cbranch_execz .LBB636_163
; %bb.162:                              ;   in Loop: Header=BB636_15 Depth=1
	v_and_b32_e32 v30, 7, v28
	v_ffbh_u32_e32 v34, v30
	v_min_u32_e32 v34, 32, v34
	v_subrev_u32_e32 v36, 28, v34
	v_lshlrev_b64 v[36:37], v36, v[28:29]
	v_lshrrev_b32_e32 v32, 3, v23
	v_sub_u32_e32 v34, 29, v34
	v_and_b32_e32 v36, 7, v36
	v_cmp_gt_u32_e32 vcc, 8, v23
	v_cndmask_b32_e32 v23, v32, v34, vcc
	v_cndmask_b32_e32 v30, v30, v36, vcc
	v_lshlrev_b32_e32 v32, 24, v28
	v_lshlrev_b32_e32 v30, 20, v30
	v_and_b32_e32 v32, 0x80000000, v32
	v_lshl_add_u32 v23, v23, 23, v33
	v_or3_b32 v34, v32, v23, v30
.LBB636_163:                            ;   in Loop: Header=BB636_15 Depth=1
	s_or_b64 exec, exec, s[10:11]
.LBB636_164:                            ;   in Loop: Header=BB636_15 Depth=1
	s_or_b64 exec, exec, s[6:7]
.LBB636_165:                            ;   in Loop: Header=BB636_15 Depth=1
	s_or_b64 exec, exec, s[4:5]
	v_lshrrev_b16_e32 v30, 8, v28
	v_cmp_ne_u16_e32 vcc, 0, v30
	v_mov_b32_e32 v23, 0
	v_mov_b32_e32 v32, 0
	s_and_saveexec_b64 s[4:5], vcc
	s_cbranch_execz .LBB636_171
; %bb.166:                              ;   in Loop: Header=BB636_15 Depth=1
	v_cmp_ne_u16_e32 vcc, s13, v30
	v_bfrev_b32_e32 v32, 1
	s_and_saveexec_b64 s[6:7], vcc
	s_cbranch_execz .LBB636_170
; %bb.167:                              ;   in Loop: Header=BB636_15 Depth=1
	v_and_b32_e32 v36, 0x7f, v30
	v_cmp_ne_u32_e32 vcc, s14, v36
	v_mov_b32_e32 v32, 0x7f800001
	s_and_saveexec_b64 s[10:11], vcc
	s_cbranch_execz .LBB636_169
; %bb.168:                              ;   in Loop: Header=BB636_15 Depth=1
	v_and_b32_e32 v32, 7, v30
	v_ffbh_u32_e32 v38, v32
	v_min_u32_e32 v40, 32, v38
	v_subrev_u32_e32 v38, 28, v40
	v_lshlrev_b64 v[38:39], v38, v[30:31]
	v_lshrrev_b32_e32 v37, 3, v36
	v_sub_u32_e32 v30, 29, v40
	v_and_b32_e32 v38, 7, v38
	v_cmp_gt_u32_e32 vcc, 8, v36
	v_cndmask_b32_e32 v30, v37, v30, vcc
	v_cndmask_b32_e32 v32, v32, v38, vcc
	v_lshlrev_b32_e32 v36, 16, v28
	v_lshlrev_b32_e32 v32, 20, v32
	v_and_b32_e32 v36, 0x80000000, v36
	v_lshl_add_u32 v30, v30, 23, v33
	v_or3_b32 v32, v36, v30, v32
.LBB636_169:                            ;   in Loop: Header=BB636_15 Depth=1
	s_or_b64 exec, exec, s[10:11]
.LBB636_170:                            ;   in Loop: Header=BB636_15 Depth=1
	s_or_b64 exec, exec, s[6:7]
.LBB636_171:                            ;   in Loop: Header=BB636_15 Depth=1
	s_or_b64 exec, exec, s[4:5]
	v_lshrrev_b32_e32 v30, 16, v28
	v_cmp_ne_u16_sdwa s[6:7], v30, v29 src0_sel:BYTE_0 src1_sel:DWORD
	s_and_saveexec_b64 s[4:5], s[6:7]
	s_cbranch_execz .LBB636_177
; %bb.172:                              ;   in Loop: Header=BB636_15 Depth=1
	v_cmp_ne_u16_sdwa s[10:11], v30, s13 src0_sel:BYTE_0 src1_sel:DWORD
	v_bfrev_b32_e32 v23, 1
	s_and_saveexec_b64 s[6:7], s[10:11]
	s_cbranch_execz .LBB636_176
; %bb.173:                              ;   in Loop: Header=BB636_15 Depth=1
	v_bfe_u32 v36, v28, 16, 7
	v_cmp_ne_u32_e32 vcc, s14, v36
	v_mov_b32_e32 v23, 0x7f800001
	s_and_saveexec_b64 s[10:11], vcc
	s_cbranch_execz .LBB636_175
; %bb.174:                              ;   in Loop: Header=BB636_15 Depth=1
	v_and_b32_e32 v23, 7, v30
	v_ffbh_u32_e32 v38, v23
	v_min_u32_e32 v40, 32, v38
	v_subrev_u32_e32 v38, 28, v40
	v_lshlrev_b64 v[38:39], v38, v[30:31]
	v_lshrrev_b32_e32 v37, 3, v36
	v_sub_u32_e32 v39, 29, v40
	v_and_b32_e32 v38, 7, v38
	v_cmp_gt_u32_e32 vcc, 8, v36
	v_cndmask_b32_e32 v36, v37, v39, vcc
	v_cndmask_b32_e32 v23, v23, v38, vcc
	v_lshlrev_b32_e32 v30, 24, v30
	v_lshlrev_b32_e32 v23, 20, v23
	v_and_b32_e32 v30, 0x80000000, v30
	v_lshl_add_u32 v36, v36, 23, v33
	v_or3_b32 v23, v30, v36, v23
.LBB636_175:                            ;   in Loop: Header=BB636_15 Depth=1
	s_or_b64 exec, exec, s[10:11]
.LBB636_176:                            ;   in Loop: Header=BB636_15 Depth=1
	s_or_b64 exec, exec, s[6:7]
.LBB636_177:                            ;   in Loop: Header=BB636_15 Depth=1
	s_or_b64 exec, exec, s[4:5]
	v_cmp_lt_u32_e32 vcc, s15, v28
	v_mov_b32_e32 v36, 0
	v_mov_b32_e32 v37, 0
	s_and_saveexec_b64 s[4:5], vcc
	s_cbranch_execz .LBB636_183
; %bb.178:                              ;   in Loop: Header=BB636_15 Depth=1
	v_lshrrev_b32_e32 v30, 24, v28
	v_cmp_ne_u32_e32 vcc, s13, v30
	v_bfrev_b32_e32 v37, 1
	s_and_saveexec_b64 s[6:7], vcc
	s_cbranch_execz .LBB636_182
; %bb.179:                              ;   in Loop: Header=BB636_15 Depth=1
	v_bfe_u32 v28, v28, 24, 7
	v_cmp_ne_u32_e32 vcc, s14, v28
	v_mov_b32_e32 v37, 0x7f800001
	s_and_saveexec_b64 s[10:11], vcc
	s_cbranch_execz .LBB636_181
; %bb.180:                              ;   in Loop: Header=BB636_15 Depth=1
	v_and_b32_e32 v37, 7, v30
	v_ffbh_u32_e32 v38, v37
	v_min_u32_e32 v41, 32, v38
	v_subrev_u32_e32 v38, 28, v41
	v_lshlrev_b64 v[38:39], v38, v[30:31]
	v_lshrrev_b32_e32 v40, 3, v28
	v_sub_u32_e32 v39, 29, v41
	v_and_b32_e32 v38, 7, v38
	v_cmp_gt_u32_e32 vcc, 8, v28
	v_cndmask_b32_e32 v28, v40, v39, vcc
	v_cndmask_b32_e32 v37, v37, v38, vcc
	v_lshlrev_b32_e32 v30, 24, v30
	v_lshlrev_b32_e32 v37, 20, v37
	v_and_b32_e32 v30, 0x80000000, v30
	v_lshl_add_u32 v28, v28, 23, v33
	v_or3_b32 v37, v30, v28, v37
.LBB636_181:                            ;   in Loop: Header=BB636_15 Depth=1
	s_or_b64 exec, exec, s[10:11]
.LBB636_182:                            ;   in Loop: Header=BB636_15 Depth=1
	s_or_b64 exec, exec, s[6:7]
.LBB636_183:                            ;   in Loop: Header=BB636_15 Depth=1
	s_or_b64 exec, exec, s[4:5]
	s_waitcnt vmcnt(0)
	v_cmp_ne_u16_sdwa s[6:7], v26, v29 src0_sel:BYTE_0 src1_sel:DWORD
	s_and_saveexec_b64 s[4:5], s[6:7]
	s_cbranch_execz .LBB636_189
; %bb.184:                              ;   in Loop: Header=BB636_15 Depth=1
	v_cmp_ne_u16_sdwa s[10:11], v26, s13 src0_sel:BYTE_0 src1_sel:DWORD
	v_bfrev_b32_e32 v36, 1
	s_and_saveexec_b64 s[6:7], s[10:11]
	s_cbranch_execz .LBB636_188
; %bb.185:                              ;   in Loop: Header=BB636_15 Depth=1
	v_and_b32_e32 v28, 0x7f, v26
	v_cmp_ne_u32_e32 vcc, s14, v28
	v_mov_b32_e32 v36, 0x7f800001
	s_and_saveexec_b64 s[10:11], vcc
	s_cbranch_execz .LBB636_187
; %bb.186:                              ;   in Loop: Header=BB636_15 Depth=1
	v_and_b32_e32 v30, 7, v26
	v_ffbh_u32_e32 v38, v30
	v_min_u32_e32 v40, 32, v38
	v_subrev_u32_e32 v38, 28, v40
	v_lshlrev_b64 v[38:39], v38, v[26:27]
	v_lshrrev_b32_e32 v36, 3, v28
	v_sub_u32_e32 v39, 29, v40
	v_and_b32_e32 v38, 7, v38
	v_cmp_gt_u32_e32 vcc, 8, v28
	v_cndmask_b32_e32 v28, v36, v39, vcc
	v_cndmask_b32_e32 v30, v30, v38, vcc
	v_lshlrev_b32_e32 v36, 24, v26
	v_lshlrev_b32_e32 v30, 20, v30
	v_and_b32_e32 v36, 0x80000000, v36
	v_lshl_add_u32 v28, v28, 23, v33
	v_or3_b32 v36, v36, v28, v30
.LBB636_187:                            ;   in Loop: Header=BB636_15 Depth=1
	s_or_b64 exec, exec, s[10:11]
.LBB636_188:                            ;   in Loop: Header=BB636_15 Depth=1
	s_or_b64 exec, exec, s[6:7]
.LBB636_189:                            ;   in Loop: Header=BB636_15 Depth=1
	s_or_b64 exec, exec, s[4:5]
	v_lshrrev_b16_e32 v28, 8, v26
	v_cmp_ne_u16_e32 vcc, 0, v28
	v_mov_b32_e32 v30, 0
	v_mov_b32_e32 v38, 0
	s_and_saveexec_b64 s[4:5], vcc
	s_cbranch_execz .LBB636_195
; %bb.190:                              ;   in Loop: Header=BB636_15 Depth=1
	v_cmp_ne_u16_e32 vcc, s13, v28
	v_bfrev_b32_e32 v38, 1
	s_and_saveexec_b64 s[6:7], vcc
	s_cbranch_execz .LBB636_194
; %bb.191:                              ;   in Loop: Header=BB636_15 Depth=1
	v_and_b32_e32 v39, 0x7f, v28
	v_cmp_ne_u32_e32 vcc, s14, v39
	v_mov_b32_e32 v38, 0x7f800001
	s_and_saveexec_b64 s[10:11], vcc
	s_cbranch_execz .LBB636_193
; %bb.192:                              ;   in Loop: Header=BB636_15 Depth=1
	v_and_b32_e32 v38, 7, v28
	v_ffbh_u32_e32 v40, v38
	v_min_u32_e32 v43, 32, v40
	v_subrev_u32_e32 v40, 28, v43
	v_lshlrev_b64 v[40:41], v40, v[28:29]
	v_lshrrev_b32_e32 v42, 3, v39
	v_sub_u32_e32 v28, 29, v43
	v_and_b32_e32 v40, 7, v40
	v_cmp_gt_u32_e32 vcc, 8, v39
	v_cndmask_b32_e32 v28, v42, v28, vcc
	v_cndmask_b32_e32 v38, v38, v40, vcc
	v_lshlrev_b32_e32 v39, 16, v26
	v_lshlrev_b32_e32 v38, 20, v38
	v_and_b32_e32 v39, 0x80000000, v39
	v_lshl_add_u32 v28, v28, 23, v33
	v_or3_b32 v38, v39, v28, v38
.LBB636_193:                            ;   in Loop: Header=BB636_15 Depth=1
	s_or_b64 exec, exec, s[10:11]
.LBB636_194:                            ;   in Loop: Header=BB636_15 Depth=1
	s_or_b64 exec, exec, s[6:7]
.LBB636_195:                            ;   in Loop: Header=BB636_15 Depth=1
	s_or_b64 exec, exec, s[4:5]
	v_lshrrev_b32_e32 v28, 16, v26
	v_cmp_ne_u16_sdwa s[6:7], v28, v29 src0_sel:BYTE_0 src1_sel:DWORD
	s_and_saveexec_b64 s[4:5], s[6:7]
	s_cbranch_execz .LBB636_201
; %bb.196:                              ;   in Loop: Header=BB636_15 Depth=1
	v_cmp_ne_u16_sdwa s[10:11], v28, s13 src0_sel:BYTE_0 src1_sel:DWORD
	v_bfrev_b32_e32 v30, 1
	s_and_saveexec_b64 s[6:7], s[10:11]
	s_cbranch_execz .LBB636_200
; %bb.197:                              ;   in Loop: Header=BB636_15 Depth=1
	v_bfe_u32 v39, v26, 16, 7
	v_cmp_ne_u32_e32 vcc, s14, v39
	v_mov_b32_e32 v30, 0x7f800001
	s_and_saveexec_b64 s[10:11], vcc
	s_cbranch_execz .LBB636_199
; %bb.198:                              ;   in Loop: Header=BB636_15 Depth=1
	v_and_b32_e32 v30, 7, v28
	v_ffbh_u32_e32 v40, v30
	v_min_u32_e32 v43, 32, v40
	v_subrev_u32_e32 v40, 28, v43
	v_lshlrev_b64 v[40:41], v40, v[28:29]
	v_lshrrev_b32_e32 v42, 3, v39
	v_sub_u32_e32 v41, 29, v43
	v_and_b32_e32 v40, 7, v40
	v_cmp_gt_u32_e32 vcc, 8, v39
	v_cndmask_b32_e32 v39, v42, v41, vcc
	v_cndmask_b32_e32 v30, v30, v40, vcc
	v_lshlrev_b32_e32 v28, 24, v28
	v_lshlrev_b32_e32 v30, 20, v30
	v_and_b32_e32 v28, 0x80000000, v28
	v_lshl_add_u32 v39, v39, 23, v33
	v_or3_b32 v30, v28, v39, v30
.LBB636_199:                            ;   in Loop: Header=BB636_15 Depth=1
	s_or_b64 exec, exec, s[10:11]
.LBB636_200:                            ;   in Loop: Header=BB636_15 Depth=1
	s_or_b64 exec, exec, s[6:7]
.LBB636_201:                            ;   in Loop: Header=BB636_15 Depth=1
	s_or_b64 exec, exec, s[4:5]
	v_cmp_lt_u32_e32 vcc, s15, v26
	v_mov_b32_e32 v39, 0
	s_and_saveexec_b64 s[4:5], vcc
	s_cbranch_execz .LBB636_14
; %bb.202:                              ;   in Loop: Header=BB636_15 Depth=1
	v_lshrrev_b32_e32 v28, 24, v26
	v_cmp_ne_u32_e32 vcc, s13, v28
	v_bfrev_b32_e32 v39, 1
	s_and_saveexec_b64 s[6:7], vcc
	s_cbranch_execz .LBB636_13
; %bb.203:                              ;   in Loop: Header=BB636_15 Depth=1
	v_bfe_u32 v26, v26, 24, 7
	v_cmp_ne_u32_e32 vcc, s14, v26
	v_mov_b32_e32 v39, 0x7f800001
	s_and_saveexec_b64 s[10:11], vcc
	s_cbranch_execz .LBB636_12
; %bb.204:                              ;   in Loop: Header=BB636_15 Depth=1
	v_and_b32_e32 v39, 7, v28
	v_ffbh_u32_e32 v40, v39
	v_min_u32_e32 v43, 32, v40
	v_subrev_u32_e32 v40, 28, v43
	v_lshlrev_b64 v[40:41], v40, v[28:29]
	v_lshrrev_b32_e32 v42, 3, v26
	v_sub_u32_e32 v41, 29, v43
	v_and_b32_e32 v40, 7, v40
	v_cmp_gt_u32_e32 vcc, 8, v26
	v_cndmask_b32_e32 v26, v42, v41, vcc
	v_cndmask_b32_e32 v39, v39, v40, vcc
	v_lshlrev_b32_e32 v28, 24, v28
	v_lshlrev_b32_e32 v39, 20, v39
	v_and_b32_e32 v28, 0x80000000, v28
	v_lshl_add_u32 v26, v26, 23, v33
	v_or3_b32 v39, v28, v26, v39
	s_branch .LBB636_12
.LBB636_205:
	buffer_load_dword v13, off, s[0:3], 0 offset:256
	buffer_load_dword v14, off, s[0:3], 0 offset:260
	;; [unrolled: 1-line block ×16, first 2 shown]
	v_and_b32_e32 v12, 0xc0, v0
	v_add_u32_e32 v12, s20, v12
	v_lshl_or_b32 v12, v1, 2, v12
	v_or_b32_e32 v23, 1, v12
	v_mov_b32_e32 v19, 0xff7fffff
	v_or_b32_e32 v24, 2, v12
	v_or_b32_e32 v25, 3, v12
	v_cmp_gt_i32_e64 s[26:27], s33, v12
	v_cmp_gt_i32_e64 s[28:29], s33, v23
	s_mov_b32 s52, 0xff7fffff
	v_or_b32_e32 v26, 16, v12
	v_or_b32_e32 v27, 17, v12
	;; [unrolled: 1-line block ×12, first 2 shown]
	v_cmp_gt_i32_e64 s[30:31], s33, v24
	v_cmp_gt_i32_e64 s[34:35], s33, v25
	v_mbcnt_lo_u32_b32 v20, -1, 0
	v_cmp_gt_i32_e64 s[36:37], s33, v26
	v_cmp_gt_i32_e64 s[38:39], s33, v27
	v_mbcnt_hi_u32_b32 v20, -1, v20
	v_cmp_gt_i32_e64 s[20:21], s33, v28
	v_cmp_gt_i32_e64 s[22:23], s33, v29
	v_and_b32_e32 v21, 64, v20
	v_cmp_gt_i32_e64 s[16:17], s33, v30
	v_cmp_gt_i32_e64 s[18:19], s33, v31
	v_xor_b32_e32 v22, 32, v20
	v_add_u32_e32 v21, 64, v21
	v_cmp_gt_i32_e64 s[12:13], s33, v32
	v_cmp_gt_i32_e64 s[14:15], s33, v33
	v_cmp_lt_i32_e32 vcc, v22, v21
	v_cmp_gt_i32_e64 s[6:7], s33, v34
	v_cmp_gt_i32_e64 s[10:11], s33, v36
	v_cndmask_b32_e32 v22, v20, v22, vcc
	v_cmp_gt_i32_e32 vcc, s33, v37
	v_cmp_gt_i32_e64 s[4:5], s33, v38
	v_lshlrev_b32_e32 v22, 2, v22
	s_waitcnt vmcnt(15)
	v_cndmask_b32_e64 v12, v19, v13, s[26:27]
	s_waitcnt vmcnt(14)
	v_cndmask_b32_e64 v23, v19, v14, s[28:29]
	;; [unrolled: 2-line block ×4, first 2 shown]
	v_max3_f32 v12, v12, s52, v23
	s_waitcnt vmcnt(11)
	v_cndmask_b32_e64 v26, v19, v17, s[36:37]
	s_waitcnt vmcnt(10)
	v_cndmask_b32_e64 v27, v19, v18, s[38:39]
	v_max3_f32 v12, v12, v24, v25
	s_waitcnt vmcnt(9)
	v_cndmask_b32_e64 v28, v19, v11, s[20:21]
	s_waitcnt vmcnt(8)
	v_cndmask_b32_e64 v29, v19, v10, s[22:23]
	;; [unrolled: 5-line block ×5, first 2 shown]
	v_max3_f32 v12, v12, v32, v33
	s_waitcnt vmcnt(1)
	v_cndmask_b32_e32 v37, v19, v3, vcc
	s_waitcnt vmcnt(0)
	v_cndmask_b32_e64 v19, v19, v2, s[4:5]
	v_max3_f32 v12, v12, v34, v36
	v_max3_f32 v12, v12, v37, v19
	ds_bpermute_b32 v19, v22, v12
	v_xor_b32_e32 v23, 16, v20
	v_cmp_lt_i32_e64 s[40:41], v23, v21
	v_cndmask_b32_e64 v20, v20, v23, s[40:41]
	v_lshlrev_b32_e32 v20, 2, v20
	s_waitcnt lgkmcnt(0)
	v_max_f32_e32 v19, v19, v19
	v_max_f32_e32 v12, v12, v19
	ds_bpermute_b32 v19, v20, v12
	s_waitcnt lgkmcnt(0)
	v_max_f32_e32 v19, v19, v19
	v_max_f32_e32 v12, v12, v19
	v_sub_f32_e32 v13, v13, v12
	v_sub_f32_e32 v14, v14, v12
	v_sub_f32_e32 v15, v15, v12
	v_mul_f32_e32 v13, 0x3fb8aa3b, v13
	v_mul_f32_e32 v14, 0x3fb8aa3b, v14
	;; [unrolled: 1-line block ×3, first 2 shown]
	v_exp_f32_e32 v13, v13
	v_exp_f32_e32 v14, v14
	;; [unrolled: 1-line block ×3, first 2 shown]
	v_sub_f32_e32 v16, v16, v12
	v_cndmask_b32_e64 v13, 0, v13, s[26:27]
	v_mul_f32_e32 v16, 0x3fb8aa3b, v16
	v_cndmask_b32_e64 v14, 0, v14, s[28:29]
	v_cndmask_b32_e64 v15, 0, v15, s[30:31]
	v_add_f32_e32 v19, 0, v13
	buffer_store_dword v13, off, s[0:3], 0 offset:256
	buffer_store_dword v14, off, s[0:3], 0 offset:260
	;; [unrolled: 1-line block ×3, first 2 shown]
	v_sub_f32_e32 v13, v17, v12
	v_exp_f32_e32 v16, v16
	v_add_f32_e32 v19, v19, v14
	v_mul_f32_e32 v13, 0x3fb8aa3b, v13
	v_sub_f32_e32 v14, v18, v12
	v_exp_f32_e32 v13, v13
	v_mul_f32_e32 v14, 0x3fb8aa3b, v14
	v_sub_f32_e32 v11, v11, v12
	v_exp_f32_e32 v14, v14
	;; [unrolled: 3-line block ×3, first 2 shown]
	v_mul_f32_e32 v10, 0x3fb8aa3b, v10
	v_sub_f32_e32 v9, v9, v12
	v_cndmask_b32_e64 v16, 0, v16, s[34:35]
	v_add_f32_e32 v19, v19, v15
	v_exp_f32_e32 v10, v10
	v_mul_f32_e32 v9, 0x3fb8aa3b, v9
	v_sub_f32_e32 v8, v8, v12
	v_add_f32_e32 v19, v19, v16
	v_cndmask_b32_e64 v13, 0, v13, s[36:37]
	v_exp_f32_e32 v9, v9
	v_mul_f32_e32 v8, 0x3fb8aa3b, v8
	v_sub_f32_e32 v7, v7, v12
	v_add_f32_e32 v15, v19, v13
	v_cndmask_b32_e64 v14, 0, v14, s[38:39]
	;; [unrolled: 5-line block ×5, first 2 shown]
	v_exp_f32_e32 v5, v5
	v_mul_f32_e32 v4, 0x3fb8aa3b, v4
	v_sub_f32_e32 v3, v3, v12
	buffer_store_dword v16, off, s[0:3], 0 offset:268
	buffer_store_dword v13, off, s[0:3], 0 offset:272
	;; [unrolled: 1-line block ×5, first 2 shown]
	v_add_f32_e32 v10, v15, v9
	v_cndmask_b32_e64 v8, 0, v8, s[18:19]
	v_exp_f32_e32 v4, v4
	v_mul_f32_e32 v3, 0x3fb8aa3b, v3
	v_sub_f32_e32 v2, v2, v12
	v_add_f32_e32 v10, v10, v8
	v_cndmask_b32_e64 v7, 0, v7, s[12:13]
	v_exp_f32_e32 v3, v3
	v_mul_f32_e32 v2, 0x3fb8aa3b, v2
	v_add_f32_e32 v10, v10, v7
	v_cndmask_b32_e64 v6, 0, v6, s[14:15]
	v_exp_f32_e32 v2, v2
	v_add_f32_e32 v10, v10, v6
	v_cndmask_b32_e64 v5, 0, v5, s[6:7]
	buffer_store_dword v9, off, s[0:3], 0 offset:288
	buffer_store_dword v8, off, s[0:3], 0 offset:292
	;; [unrolled: 1-line block ×4, first 2 shown]
	v_add_f32_e32 v6, v10, v5
	v_cndmask_b32_e64 v4, 0, v4, s[10:11]
	v_add_f32_e32 v6, v6, v4
	v_cndmask_b32_e32 v3, 0, v3, vcc
	v_add_f32_e32 v6, v6, v3
	v_cndmask_b32_e64 v2, 0, v2, s[4:5]
	v_add_f32_e32 v6, v6, v2
	ds_bpermute_b32 v7, v22, v6
	buffer_store_dword v5, off, s[0:3], 0 offset:304
	buffer_store_dword v4, off, s[0:3], 0 offset:308
	;; [unrolled: 1-line block ×4, first 2 shown]
	v_cmp_gt_u32_e32 vcc, 16, v35
	s_waitcnt lgkmcnt(0)
	s_barrier
	v_add_f32_e32 v2, v6, v7
	ds_bpermute_b32 v3, v20, v2
	s_waitcnt lgkmcnt(0)
	s_and_saveexec_b64 s[4:5], vcc
	s_cbranch_execz .LBB636_207
; %bb.206:
	v_add_f32_e32 v2, v2, v3
	v_lshlrev_b32_e32 v3, 2, v65
	ds_write2st64_b32 v3, v12, v2 offset1:1
.LBB636_207:
	s_or_b64 exec, exec, s[4:5]
	v_lshlrev_b32_e32 v2, 2, v55
	s_waitcnt lgkmcnt(0)
	s_barrier
	ds_read2_b32 v[12:13], v2 offset1:16
	ds_read2_b32 v[14:15], v2 offset0:32 offset1:48
	ds_read2_b32 v[6:7], v2 offset0:64 offset1:80
	;; [unrolled: 1-line block ×3, first 2 shown]
	s_waitcnt lgkmcnt(0)
	s_barrier
	buffer_load_dword v20, off, s[0:3], 0 offset:256
	buffer_load_dword v21, off, s[0:3], 0 offset:260
	buffer_load_dword v22, off, s[0:3], 0 offset:264
	buffer_load_dword v23, off, s[0:3], 0 offset:268
	buffer_load_dword v24, off, s[0:3], 0 offset:280
	buffer_load_dword v25, off, s[0:3], 0 offset:284
	buffer_load_dword v26, off, s[0:3], 0 offset:272
	buffer_load_dword v27, off, s[0:3], 0 offset:276
	buffer_load_dword v4, off, s[0:3], 0 offset:296
	buffer_load_dword v5, off, s[0:3], 0 offset:300
	buffer_load_dword v2, off, s[0:3], 0 offset:288
	buffer_load_dword v3, off, s[0:3], 0 offset:292
	buffer_load_dword v8, off, s[0:3], 0 offset:304
	buffer_load_dword v9, off, s[0:3], 0 offset:308
	buffer_load_dword v16, off, s[0:3], 0 offset:312
	buffer_load_dword v17, off, s[0:3], 0 offset:316
	v_lshlrev_b32_e32 v19, 3, v1
	v_lshlrev_b32_e32 v18, 5, v55
	;; [unrolled: 1-line block ×3, first 2 shown]
	v_or3_b32 v39, v28, v18, v19
	v_max3_f32 v19, v12, s52, v13
	v_max3_f32 v19, v19, v14, v15
	v_sub_f32_e32 v12, v12, v19
	v_sub_f32_e32 v13, v13, v19
	v_mul_f32_e32 v12, 0x3fb8aa3b, v12
	v_sub_f32_e32 v14, v14, v19
	v_mul_f32_e32 v13, 0x3fb8aa3b, v13
	v_exp_f32_e32 v12, v12
	v_sub_f32_e32 v15, v15, v19
	v_mul_f32_e32 v14, 0x3fb8aa3b, v14
	v_exp_f32_e32 v13, v13
	v_mul_f32_e32 v15, 0x3fb8aa3b, v15
	v_exp_f32_e32 v14, v14
	v_exp_f32_e32 v15, v15
	v_fma_f32 v6, v12, v6, 0
	v_fmac_f32_e32 v6, v13, v7
	v_fmac_f32_e32 v6, v14, v10
	;; [unrolled: 1-line block ×3, first 2 shown]
	v_cmp_eq_u32_e32 vcc, 1, v64
	v_add_f32_e32 v10, 0x358637bd, v6
	v_cndmask_b32_e32 v12, v12, v13, vcc
	v_cmp_eq_u32_e32 vcc, 2, v64
	v_div_scale_f32 v11, s[4:5], v10, v10, 1.0
	v_cndmask_b32_e32 v7, v12, v14, vcc
	v_rcp_f32_e32 v12, v11
	v_cmp_eq_u32_e32 vcc, 3, v64
	v_cndmask_b32_e32 v7, v7, v15, vcc
	v_div_scale_f32 v13, vcc, 1.0, v10, 1.0
	v_fma_f32 v14, -v11, v12, 1.0
	v_fmac_f32_e32 v12, v14, v12
	v_mul_f32_e32 v14, v13, v12
	v_fma_f32 v15, -v11, v14, v13
	v_fmac_f32_e32 v14, v15, v12
	v_fma_f32 v11, -v11, v14, v13
	v_div_fmas_f32 v11, v11, v12, v14
	v_div_fixup_f32 v10, v11, v10, 1.0
	v_mul_f32_e32 v10, v7, v10
	s_mul_i32 s18, s51, 15
	v_cmp_gt_u32_e32 vcc, 15, v0
	s_waitcnt vmcnt(14)
	v_pk_mul_f32 v[14:15], v[10:11], v[20:21] op_sel_hi:[0,1]
	v_cvt_f16_f32_e32 v7, v14
	s_waitcnt vmcnt(12)
	v_pk_mul_f32 v[12:13], v[10:11], v[22:23] op_sel_hi:[0,1]
	buffer_store_dword v14, off, s[0:3], 0 offset:256
	buffer_store_dword v15, off, s[0:3], 0 offset:260
	;; [unrolled: 1-line block ×3, first 2 shown]
	s_waitcnt vmcnt(13)
	v_pk_mul_f32 v[20:21], v[10:11], v[24:25] op_sel_hi:[0,1]
	v_cvt_f16_f32_e32 v14, v12
	s_waitcnt vmcnt(11)
	v_pk_mul_f32 v[22:23], v[10:11], v[26:27] op_sel_hi:[0,1]
	v_cvt_f16_f32_e32 v11, v15
	v_cvt_f16_f32_e32 v15, v13
	buffer_store_dword v13, off, s[0:3], 0 offset:268
	buffer_store_dword v22, off, s[0:3], 0 offset:272
	;; [unrolled: 1-line block ×3, first 2 shown]
	v_pack_b32_f16 v12, v7, v11
	v_cvt_f16_f32_e32 v11, v23
	v_pack_b32_f16 v13, v14, v15
	v_cvt_f16_f32_e32 v7, v22
	v_cvt_f16_f32_e32 v15, v20
	;; [unrolled: 1-line block ×3, first 2 shown]
	s_waitcnt vmcnt(12)
	v_pk_mul_f32 v[4:5], v[10:11], v[4:5] op_sel_hi:[0,1]
	v_pack_b32_f16 v14, v7, v11
	s_waitcnt vmcnt(10)
	v_pk_mul_f32 v[2:3], v[10:11], v[2:3] op_sel_hi:[0,1]
	v_pack_b32_f16 v15, v15, v22
	v_cvt_f16_f32_e32 v11, v5
	buffer_store_dword v20, off, s[0:3], 0 offset:280
	buffer_store_dword v21, off, s[0:3], 0 offset:284
	ds_write2st64_b64 v39, v[12:13], v[14:15] offset1:1
	buffer_store_dword v2, off, s[0:3], 0 offset:288
	buffer_store_dword v3, off, s[0:3], 0 offset:292
	v_cvt_f16_f32_e32 v2, v2
	v_cvt_f16_f32_e32 v3, v3
	;; [unrolled: 1-line block ×3, first 2 shown]
	buffer_store_dword v4, off, s[0:3], 0 offset:296
	buffer_store_dword v5, off, s[0:3], 0 offset:300
	s_waitcnt vmcnt(12)
	v_pk_mul_f32 v[4:5], v[10:11], v[16:17] op_sel_hi:[0,1]
	v_pk_mul_f32 v[8:9], v[10:11], v[8:9] op_sel_hi:[0,1]
	v_pack_b32_f16 v2, v2, v3
	v_pack_b32_f16 v3, v7, v11
	buffer_store_dword v8, off, s[0:3], 0 offset:304
	buffer_store_dword v9, off, s[0:3], 0 offset:308
	v_cvt_f16_f32_e32 v7, v8
	v_cvt_f16_f32_e32 v8, v9
	;; [unrolled: 1-line block ×4, first 2 shown]
	buffer_store_dword v4, off, s[0:3], 0 offset:312
	buffer_store_dword v5, off, s[0:3], 0 offset:316
	v_pack_b32_f16 v4, v7, v8
	v_pack_b32_f16 v5, v9, v10
	ds_write2st64_b64 v39, v[2:3], v[4:5] offset0:2 offset1:3
	s_and_saveexec_b64 s[4:5], vcc
	s_cbranch_execz .LBB636_209
; %bb.208:
	v_add_co_u32_e32 v4, vcc, s25, v55
	v_addc_co_u32_e64 v5, s[6:7], 0, 0, vcc
	v_mov_b32_e32 v2, s18
	v_mad_u64_u32 v[4:5], s[6:7], s8, v2, v[4:5]
	v_mov_b32_e32 v3, 0
	s_mul_i32 s6, s9, s18
	v_mov_b32_e32 v2, s24
	v_add_u32_e32 v5, s6, v5
	v_mad_u64_u32 v[2:3], s[6:7], v4, s50, v[2:3]
	v_mov_b32_e32 v4, v3
	v_mad_u64_u32 v[4:5], s[6:7], v5, s50, v[4:5]
	v_mov_b32_e32 v3, v4
	v_lshlrev_b64 v[2:3], 2, v[2:3]
	v_mov_b32_e32 v5, s47
	v_add_co_u32_e32 v4, vcc, s46, v2
	v_addc_co_u32_e32 v5, vcc, v5, v3, vcc
	global_store_dword v[4:5], v19, off
	v_mov_b32_e32 v4, s45
	v_add_co_u32_e32 v2, vcc, s44, v2
	v_addc_co_u32_e32 v3, vcc, v4, v3, vcc
	global_store_dword v[2:3], v6, off
.LBB636_209:
	s_or_b64 exec, exec, s[4:5]
	v_lshl_or_b32 v30, v1, 9, v18
	s_waitcnt lgkmcnt(0)
	s_barrier
	s_load_dword s4, s[42:43], 0x0
	ds_read_b128 v[2:5], v30
	ds_read_b128 v[6:9], v30 offset:16
	ds_read_b128 v[10:13], v30 offset:2048
	;; [unrolled: 1-line block ×7, first 2 shown]
	v_mov_b32_e32 v35, 0x80
	v_mov_b32_e32 v41, 0x140
	s_mov_b64 s[10:11], -1
	s_waitcnt lgkmcnt(0)
	s_mov_b32 s5, s4
	s_mov_b32 s6, s4
	;; [unrolled: 1-line block ×3, first 2 shown]
	s_movk_i32 s9, 0x80
	s_movk_i32 s19, 0x7f
	s_mov_b32 s20, 0xffffff
	v_mov_b32_e32 v43, 0
	v_bfrev_b32_e32 v45, 60
	s_branch .LBB636_213
.LBB636_210:                            ;   in Loop: Header=BB636_213 Depth=1
	s_or_b64 exec, exec, s[16:17]
.LBB636_211:                            ;   in Loop: Header=BB636_213 Depth=1
	s_or_b64 exec, exec, s[14:15]
.LBB636_212:                            ;   in Loop: Header=BB636_213 Depth=1
	s_or_b64 exec, exec, s[12:13]
	v_cvt_pkrtz_f16_f32 v46, v46, v47
	v_cvt_pkrtz_f16_f32 v47, v44, v49
	s_xor_b64 s[12:13], s[10:11], -1
	s_mov_b64 s[10:11], 0
	v_mov_b32_e32 v63, v58
	v_mfma_f32_16x16x16f16 v[64:67], v[46:47], v[30:31], v[34:37]
	v_mov_b32_e32 v62, v59
	v_mov_b32_e32 v61, v60
	s_and_b64 vcc, exec, s[12:13]
	s_nop 3
	v_cvt_pkrtz_f16_f32 v36, v48, v50
	v_cvt_pkrtz_f16_f32 v37, v42, v51
	v_mov_b32_e32 v35, v57
	s_nop 0
	v_mfma_f32_16x16x16f16 v[46:49], v[36:37], v[32:33], v[64:67]
	s_nop 7
	s_nop 2
	v_pk_mul_f32 v[46:47], v[46:47], s[4:5]
	v_pk_mul_f32 v[36:37], v[48:49], s[6:7]
	v_cvt_f16_f32_e32 v34, v46
	v_cvt_f16_f32_e32 v38, v47
	;; [unrolled: 1-line block ×4, first 2 shown]
	v_pack_b32_f16 v34, v34, v38
	v_pack_b32_f16 v36, v36, v37
	buffer_store_dword v34, v41, s[0:3], 0 offen
	buffer_store_dword v36, v41, s[0:3], 0 offen offset:4
	v_mov_b32_e32 v41, 0x148
	s_cbranch_vccnz .LBB636_595
.LBB636_213:                            ; =>This Inner Loop Header: Depth=1
	buffer_load_dword v36, v35, s[0:3], 0 offen
	buffer_load_dword v34, v35, s[0:3], 0 offen offset:4
	buffer_load_dword v40, v35, s[0:3], 0 offen offset:8
	;; [unrolled: 1-line block ×3, first 2 shown]
	v_mov_b32_e32 v35, 0
	s_waitcnt vmcnt(3)
	v_cmp_ne_u16_sdwa s[14:15], v36, v43 src0_sel:BYTE_0 src1_sel:DWORD
	s_and_saveexec_b64 s[12:13], s[14:15]
	s_cbranch_execz .LBB636_219
; %bb.214:                              ;   in Loop: Header=BB636_213 Depth=1
	v_cmp_ne_u16_sdwa s[16:17], v36, s9 src0_sel:BYTE_0 src1_sel:DWORD
	v_bfrev_b32_e32 v35, 1
	s_and_saveexec_b64 s[14:15], s[16:17]
	s_cbranch_execz .LBB636_218
; %bb.215:                              ;   in Loop: Header=BB636_213 Depth=1
	v_and_b32_e32 v37, 0x7f, v36
	v_cmp_ne_u32_e32 vcc, s19, v37
	v_mov_b32_e32 v35, 0x7f800001
	s_and_saveexec_b64 s[16:17], vcc
	s_cbranch_execz .LBB636_217
; %bb.216:                              ;   in Loop: Header=BB636_213 Depth=1
	v_and_b32_e32 v35, 7, v36
	v_ffbh_u32_e32 v44, v35
	v_min_u32_e32 v44, 32, v44
	v_subrev_u32_e32 v46, 28, v44
	v_lshlrev_b64 v[46:47], v46, v[36:37]
	v_lshrrev_b32_e32 v42, 3, v37
	v_sub_u32_e32 v44, 29, v44
	v_and_b32_e32 v46, 7, v46
	v_cmp_gt_u32_e32 vcc, 8, v37
	v_cndmask_b32_e32 v37, v42, v44, vcc
	v_cndmask_b32_e32 v35, v35, v46, vcc
	v_lshlrev_b32_e32 v42, 24, v36
	v_lshlrev_b32_e32 v35, 20, v35
	v_and_b32_e32 v42, 0x80000000, v42
	v_lshl_add_u32 v37, v37, 23, v45
	v_or3_b32 v35, v42, v37, v35
.LBB636_217:                            ;   in Loop: Header=BB636_213 Depth=1
	s_or_b64 exec, exec, s[16:17]
.LBB636_218:                            ;   in Loop: Header=BB636_213 Depth=1
	s_or_b64 exec, exec, s[14:15]
.LBB636_219:                            ;   in Loop: Header=BB636_213 Depth=1
	s_or_b64 exec, exec, s[12:13]
	v_lshrrev_b16_e32 v42, 8, v36
	v_cmp_ne_u16_e32 vcc, 0, v42
	v_mov_b32_e32 v37, 0
	s_and_saveexec_b64 s[12:13], vcc
	s_cbranch_execz .LBB636_225
; %bb.220:                              ;   in Loop: Header=BB636_213 Depth=1
	v_cmp_ne_u16_e32 vcc, s9, v42
	v_bfrev_b32_e32 v37, 1
	s_and_saveexec_b64 s[14:15], vcc
	s_cbranch_execz .LBB636_224
; %bb.221:                              ;   in Loop: Header=BB636_213 Depth=1
	v_and_b32_e32 v44, 0x7f, v42
	v_cmp_ne_u32_e32 vcc, s19, v44
	v_mov_b32_e32 v37, 0x7f800001
	s_and_saveexec_b64 s[16:17], vcc
	s_cbranch_execz .LBB636_223
; %bb.222:                              ;   in Loop: Header=BB636_213 Depth=1
	v_and_b32_e32 v37, 7, v42
	v_ffbh_u32_e32 v46, v37
	v_min_u32_e32 v49, 32, v46
	v_subrev_u32_e32 v46, 28, v49
	v_lshlrev_b64 v[46:47], v46, v[42:43]
	v_lshrrev_b32_e32 v48, 3, v44
	v_sub_u32_e32 v42, 29, v49
	v_and_b32_e32 v46, 7, v46
	v_cmp_gt_u32_e32 vcc, 8, v44
	v_cndmask_b32_e32 v42, v48, v42, vcc
	v_cndmask_b32_e32 v37, v37, v46, vcc
	v_lshlrev_b32_e32 v44, 16, v36
	v_lshlrev_b32_e32 v37, 20, v37
	v_and_b32_e32 v44, 0x80000000, v44
	v_lshl_add_u32 v42, v42, 23, v45
	v_or3_b32 v37, v44, v42, v37
.LBB636_223:                            ;   in Loop: Header=BB636_213 Depth=1
	s_or_b64 exec, exec, s[16:17]
.LBB636_224:                            ;   in Loop: Header=BB636_213 Depth=1
	s_or_b64 exec, exec, s[14:15]
.LBB636_225:                            ;   in Loop: Header=BB636_213 Depth=1
	s_or_b64 exec, exec, s[12:13]
	v_lshrrev_b32_e32 v42, 16, v36
	v_cmp_ne_u16_sdwa s[14:15], v42, v43 src0_sel:BYTE_0 src1_sel:DWORD
	v_mov_b32_e32 v46, 0
	v_mov_b32_e32 v44, 0
	s_and_saveexec_b64 s[12:13], s[14:15]
	s_cbranch_execz .LBB636_231
; %bb.226:                              ;   in Loop: Header=BB636_213 Depth=1
	v_cmp_ne_u16_sdwa s[16:17], v42, s9 src0_sel:BYTE_0 src1_sel:DWORD
	v_bfrev_b32_e32 v44, 1
	s_and_saveexec_b64 s[14:15], s[16:17]
	s_cbranch_execz .LBB636_230
; %bb.227:                              ;   in Loop: Header=BB636_213 Depth=1
	v_bfe_u32 v47, v36, 16, 7
	v_cmp_ne_u32_e32 vcc, s19, v47
	v_mov_b32_e32 v44, 0x7f800001
	s_and_saveexec_b64 s[16:17], vcc
	s_cbranch_execz .LBB636_229
; %bb.228:                              ;   in Loop: Header=BB636_213 Depth=1
	v_and_b32_e32 v44, 7, v42
	v_ffbh_u32_e32 v48, v44
	v_min_u32_e32 v51, 32, v48
	v_subrev_u32_e32 v48, 28, v51
	v_lshlrev_b64 v[48:49], v48, v[42:43]
	v_lshrrev_b32_e32 v50, 3, v47
	v_sub_u32_e32 v49, 29, v51
	v_and_b32_e32 v48, 7, v48
	v_cmp_gt_u32_e32 vcc, 8, v47
	v_cndmask_b32_e32 v47, v50, v49, vcc
	v_cndmask_b32_e32 v44, v44, v48, vcc
	v_lshlrev_b32_e32 v42, 24, v42
	v_lshlrev_b32_e32 v44, 20, v44
	v_and_b32_e32 v42, 0x80000000, v42
	v_lshl_add_u32 v47, v47, 23, v45
	v_or3_b32 v44, v42, v47, v44
.LBB636_229:                            ;   in Loop: Header=BB636_213 Depth=1
	s_or_b64 exec, exec, s[16:17]
.LBB636_230:                            ;   in Loop: Header=BB636_213 Depth=1
	s_or_b64 exec, exec, s[14:15]
.LBB636_231:                            ;   in Loop: Header=BB636_213 Depth=1
	s_or_b64 exec, exec, s[12:13]
	v_cmp_lt_u32_e32 vcc, s20, v36
	s_and_saveexec_b64 s[12:13], vcc
	s_cbranch_execz .LBB636_237
; %bb.232:                              ;   in Loop: Header=BB636_213 Depth=1
	v_lshrrev_b32_e32 v42, 24, v36
	v_cmp_ne_u32_e32 vcc, s9, v42
	v_bfrev_b32_e32 v46, 1
	s_and_saveexec_b64 s[14:15], vcc
	s_cbranch_execz .LBB636_236
; %bb.233:                              ;   in Loop: Header=BB636_213 Depth=1
	v_bfe_u32 v36, v36, 24, 7
	v_cmp_ne_u32_e32 vcc, s19, v36
	v_mov_b32_e32 v46, 0x7f800001
	s_and_saveexec_b64 s[16:17], vcc
	s_cbranch_execz .LBB636_235
; %bb.234:                              ;   in Loop: Header=BB636_213 Depth=1
	v_and_b32_e32 v48, 7, v42
	v_ffbh_u32_e32 v46, v48
	v_min_u32_e32 v50, 32, v46
	v_subrev_u32_e32 v46, 28, v50
	v_lshlrev_b64 v[46:47], v46, v[42:43]
	v_lshrrev_b32_e32 v49, 3, v36
	v_sub_u32_e32 v47, 29, v50
	v_and_b32_e32 v46, 7, v46
	v_cmp_gt_u32_e32 vcc, 8, v36
	v_cndmask_b32_e32 v36, v49, v47, vcc
	v_cndmask_b32_e32 v46, v48, v46, vcc
	v_lshlrev_b32_e32 v42, 24, v42
	v_lshlrev_b32_e32 v46, 20, v46
	v_and_b32_e32 v42, 0x80000000, v42
	v_lshl_add_u32 v36, v36, 23, v45
	v_or3_b32 v46, v42, v36, v46
.LBB636_235:                            ;   in Loop: Header=BB636_213 Depth=1
	s_or_b64 exec, exec, s[16:17]
.LBB636_236:                            ;   in Loop: Header=BB636_213 Depth=1
	s_or_b64 exec, exec, s[14:15]
.LBB636_237:                            ;   in Loop: Header=BB636_213 Depth=1
	s_or_b64 exec, exec, s[12:13]
	s_waitcnt vmcnt(2)
	v_cmp_ne_u16_sdwa s[14:15], v34, v43 src0_sel:BYTE_0 src1_sel:DWORD
	v_mov_b32_e32 v42, 0
	v_mov_b32_e32 v47, 0
	s_and_saveexec_b64 s[12:13], s[14:15]
	s_cbranch_execz .LBB636_243
; %bb.238:                              ;   in Loop: Header=BB636_213 Depth=1
	v_cmp_ne_u16_sdwa s[16:17], v34, s9 src0_sel:BYTE_0 src1_sel:DWORD
	v_bfrev_b32_e32 v47, 1
	s_and_saveexec_b64 s[14:15], s[16:17]
	s_cbranch_execz .LBB636_242
; %bb.239:                              ;   in Loop: Header=BB636_213 Depth=1
	v_and_b32_e32 v36, 0x7f, v34
	v_cmp_ne_u32_e32 vcc, s19, v36
	v_mov_b32_e32 v47, 0x7f800001
	s_and_saveexec_b64 s[16:17], vcc
	s_cbranch_execz .LBB636_241
; %bb.240:                              ;   in Loop: Header=BB636_213 Depth=1
	v_and_b32_e32 v47, 7, v34
	v_ffbh_u32_e32 v48, v47
	v_min_u32_e32 v51, 32, v48
	v_subrev_u32_e32 v48, 28, v51
	v_lshlrev_b64 v[48:49], v48, v[34:35]
	v_lshrrev_b32_e32 v50, 3, v36
	v_sub_u32_e32 v49, 29, v51
	v_and_b32_e32 v48, 7, v48
	v_cmp_gt_u32_e32 vcc, 8, v36
	v_cndmask_b32_e32 v36, v50, v49, vcc
	v_cndmask_b32_e32 v47, v47, v48, vcc
	v_lshlrev_b32_e32 v48, 24, v34
	v_lshlrev_b32_e32 v47, 20, v47
	v_and_b32_e32 v48, 0x80000000, v48
	v_lshl_add_u32 v36, v36, 23, v45
	v_or3_b32 v47, v48, v36, v47
.LBB636_241:                            ;   in Loop: Header=BB636_213 Depth=1
	s_or_b64 exec, exec, s[16:17]
.LBB636_242:                            ;   in Loop: Header=BB636_213 Depth=1
	s_or_b64 exec, exec, s[14:15]
.LBB636_243:                            ;   in Loop: Header=BB636_213 Depth=1
	s_or_b64 exec, exec, s[12:13]
	v_lshrrev_b16_e32 v36, 8, v34
	v_cmp_ne_u16_e32 vcc, 0, v36
	s_and_saveexec_b64 s[12:13], vcc
	s_cbranch_execz .LBB636_249
; %bb.244:                              ;   in Loop: Header=BB636_213 Depth=1
	v_cmp_ne_u16_e32 vcc, s9, v36
	v_bfrev_b32_e32 v42, 1
	s_and_saveexec_b64 s[14:15], vcc
	s_cbranch_execz .LBB636_248
; %bb.245:                              ;   in Loop: Header=BB636_213 Depth=1
	v_and_b32_e32 v48, 0x7f, v36
	v_cmp_ne_u32_e32 vcc, s19, v48
	v_mov_b32_e32 v42, 0x7f800001
	s_and_saveexec_b64 s[16:17], vcc
	s_cbranch_execz .LBB636_247
; %bb.246:                              ;   in Loop: Header=BB636_213 Depth=1
	v_and_b32_e32 v42, 7, v36
	v_ffbh_u32_e32 v50, v42
	v_min_u32_e32 v52, 32, v50
	v_subrev_u32_e32 v50, 28, v52
	v_lshlrev_b64 v[50:51], v50, v[36:37]
	v_lshrrev_b32_e32 v49, 3, v48
	v_sub_u32_e32 v36, 29, v52
	v_and_b32_e32 v50, 7, v50
	v_cmp_gt_u32_e32 vcc, 8, v48
	v_cndmask_b32_e32 v36, v49, v36, vcc
	v_cndmask_b32_e32 v42, v42, v50, vcc
	v_lshlrev_b32_e32 v48, 16, v34
	v_lshlrev_b32_e32 v42, 20, v42
	v_and_b32_e32 v48, 0x80000000, v48
	v_lshl_add_u32 v36, v36, 23, v45
	v_or3_b32 v42, v48, v36, v42
.LBB636_247:                            ;   in Loop: Header=BB636_213 Depth=1
	s_or_b64 exec, exec, s[16:17]
.LBB636_248:                            ;   in Loop: Header=BB636_213 Depth=1
	s_or_b64 exec, exec, s[14:15]
.LBB636_249:                            ;   in Loop: Header=BB636_213 Depth=1
	s_or_b64 exec, exec, s[12:13]
	v_lshrrev_b32_e32 v36, 16, v34
	v_cmp_ne_u16_sdwa s[14:15], v36, v43 src0_sel:BYTE_0 src1_sel:DWORD
	v_mov_b32_e32 v49, 0
	v_mov_b32_e32 v48, 0
	s_and_saveexec_b64 s[12:13], s[14:15]
	s_cbranch_execz .LBB636_255
; %bb.250:                              ;   in Loop: Header=BB636_213 Depth=1
	v_cmp_ne_u16_sdwa s[16:17], v36, s9 src0_sel:BYTE_0 src1_sel:DWORD
	v_bfrev_b32_e32 v48, 1
	s_and_saveexec_b64 s[14:15], s[16:17]
	s_cbranch_execz .LBB636_254
; %bb.251:                              ;   in Loop: Header=BB636_213 Depth=1
	v_bfe_u32 v50, v34, 16, 7
	v_cmp_ne_u32_e32 vcc, s19, v50
	v_mov_b32_e32 v48, 0x7f800001
	s_and_saveexec_b64 s[16:17], vcc
	s_cbranch_execz .LBB636_253
; %bb.252:                              ;   in Loop: Header=BB636_213 Depth=1
	v_and_b32_e32 v48, 7, v36
	v_ffbh_u32_e32 v52, v48
	v_min_u32_e32 v64, 32, v52
	v_subrev_u32_e32 v52, 28, v64
	v_lshlrev_b64 v[52:53], v52, v[36:37]
	v_lshrrev_b32_e32 v51, 3, v50
	v_sub_u32_e32 v53, 29, v64
	v_and_b32_e32 v52, 7, v52
	v_cmp_gt_u32_e32 vcc, 8, v50
	v_cndmask_b32_e32 v50, v51, v53, vcc
	v_cndmask_b32_e32 v48, v48, v52, vcc
	v_lshlrev_b32_e32 v36, 24, v36
	v_lshlrev_b32_e32 v48, 20, v48
	v_and_b32_e32 v36, 0x80000000, v36
	v_lshl_add_u32 v50, v50, 23, v45
	v_or3_b32 v48, v36, v50, v48
.LBB636_253:                            ;   in Loop: Header=BB636_213 Depth=1
	s_or_b64 exec, exec, s[16:17]
.LBB636_254:                            ;   in Loop: Header=BB636_213 Depth=1
	s_or_b64 exec, exec, s[14:15]
.LBB636_255:                            ;   in Loop: Header=BB636_213 Depth=1
	s_or_b64 exec, exec, s[12:13]
	v_cmp_lt_u32_e32 vcc, s20, v34
	s_and_saveexec_b64 s[12:13], vcc
	s_cbranch_execz .LBB636_261
; %bb.256:                              ;   in Loop: Header=BB636_213 Depth=1
	v_lshrrev_b32_e32 v36, 24, v34
	v_cmp_ne_u32_e32 vcc, s9, v36
	v_bfrev_b32_e32 v49, 1
	s_and_saveexec_b64 s[14:15], vcc
	s_cbranch_execz .LBB636_260
; %bb.257:                              ;   in Loop: Header=BB636_213 Depth=1
	v_bfe_u32 v34, v34, 24, 7
	v_cmp_ne_u32_e32 vcc, s19, v34
	v_mov_b32_e32 v49, 0x7f800001
	s_and_saveexec_b64 s[16:17], vcc
	s_cbranch_execz .LBB636_259
; %bb.258:                              ;   in Loop: Header=BB636_213 Depth=1
	v_and_b32_e32 v49, 7, v36
	v_ffbh_u32_e32 v50, v49
	v_min_u32_e32 v53, 32, v50
	v_subrev_u32_e32 v50, 28, v53
	v_lshlrev_b64 v[50:51], v50, v[36:37]
	v_lshrrev_b32_e32 v52, 3, v34
	v_sub_u32_e32 v51, 29, v53
	v_and_b32_e32 v50, 7, v50
	v_cmp_gt_u32_e32 vcc, 8, v34
	v_cndmask_b32_e32 v34, v52, v51, vcc
	v_cndmask_b32_e32 v49, v49, v50, vcc
	v_lshlrev_b32_e32 v36, 24, v36
	v_lshlrev_b32_e32 v49, 20, v49
	v_and_b32_e32 v36, 0x80000000, v36
	v_lshl_add_u32 v34, v34, 23, v45
	v_or3_b32 v49, v36, v34, v49
.LBB636_259:                            ;   in Loop: Header=BB636_213 Depth=1
	s_or_b64 exec, exec, s[16:17]
.LBB636_260:                            ;   in Loop: Header=BB636_213 Depth=1
	s_or_b64 exec, exec, s[14:15]
.LBB636_261:                            ;   in Loop: Header=BB636_213 Depth=1
	s_or_b64 exec, exec, s[12:13]
	v_cvt_pkrtz_f16_f32 v34, v35, v37
	v_cvt_pkrtz_f16_f32 v35, v44, v46
	;; [unrolled: 1-line block ×4, first 2 shown]
	v_mov_b32_e32 v44, 0
	v_mfma_f32_16x16x16f16 v[34:37], v[34:35], v[2:3], 0
	s_waitcnt vmcnt(1)
	v_cmp_ne_u16_sdwa s[14:15], v40, v43 src0_sel:BYTE_0 src1_sel:DWORD
	v_mov_b32_e32 v46, 0
	v_mfma_f32_16x16x16f16 v[34:37], v[50:51], v[4:5], v[34:37]
	s_and_saveexec_b64 s[12:13], s[14:15]
	s_cbranch_execz .LBB636_267
; %bb.262:                              ;   in Loop: Header=BB636_213 Depth=1
	v_cmp_ne_u16_sdwa s[16:17], v40, s9 src0_sel:BYTE_0 src1_sel:DWORD
	v_bfrev_b32_e32 v46, 1
	s_and_saveexec_b64 s[14:15], s[16:17]
	s_cbranch_execz .LBB636_266
; %bb.263:                              ;   in Loop: Header=BB636_213 Depth=1
	v_and_b32_e32 v42, 0x7f, v40
	v_cmp_ne_u32_e32 vcc, s19, v42
	v_mov_b32_e32 v46, 0x7f800001
	s_and_saveexec_b64 s[16:17], vcc
	s_cbranch_execz .LBB636_265
; %bb.264:                              ;   in Loop: Header=BB636_213 Depth=1
	v_and_b32_e32 v48, 7, v40
	v_ffbh_u32_e32 v46, v48
	v_min_u32_e32 v50, 32, v46
	v_subrev_u32_e32 v46, 28, v50
	v_lshlrev_b64 v[46:47], v46, v[40:41]
	v_lshrrev_b32_e32 v49, 3, v42
	v_sub_u32_e32 v47, 29, v50
	v_and_b32_e32 v46, 7, v46
	v_cmp_gt_u32_e32 vcc, 8, v42
	v_cndmask_b32_e32 v42, v49, v47, vcc
	v_cndmask_b32_e32 v46, v48, v46, vcc
	v_lshlrev_b32_e32 v47, 24, v40
	v_lshlrev_b32_e32 v46, 20, v46
	v_and_b32_e32 v47, 0x80000000, v47
	v_lshl_add_u32 v42, v42, 23, v45
	v_or3_b32 v46, v47, v42, v46
.LBB636_265:                            ;   in Loop: Header=BB636_213 Depth=1
	s_or_b64 exec, exec, s[16:17]
.LBB636_266:                            ;   in Loop: Header=BB636_213 Depth=1
	s_or_b64 exec, exec, s[14:15]
.LBB636_267:                            ;   in Loop: Header=BB636_213 Depth=1
	s_or_b64 exec, exec, s[12:13]
	v_lshrrev_b16_e32 v42, 8, v40
	v_cmp_ne_u16_e32 vcc, 0, v42
	v_mov_b32_e32 v48, 0
	s_and_saveexec_b64 s[12:13], vcc
	s_cbranch_execz .LBB636_273
; %bb.268:                              ;   in Loop: Header=BB636_213 Depth=1
	v_cmp_ne_u16_e32 vcc, s9, v42
	v_bfrev_b32_e32 v48, 1
	s_and_saveexec_b64 s[14:15], vcc
	s_cbranch_execz .LBB636_272
; %bb.269:                              ;   in Loop: Header=BB636_213 Depth=1
	v_and_b32_e32 v47, 0x7f, v42
	v_cmp_ne_u32_e32 vcc, s19, v47
	v_mov_b32_e32 v48, 0x7f800001
	s_and_saveexec_b64 s[16:17], vcc
	s_cbranch_execz .LBB636_271
; %bb.270:                              ;   in Loop: Header=BB636_213 Depth=1
	v_and_b32_e32 v50, 7, v42
	v_ffbh_u32_e32 v48, v50
	v_min_u32_e32 v52, 32, v48
	v_subrev_u32_e32 v48, 28, v52
	v_lshlrev_b64 v[48:49], v48, v[42:43]
	v_lshrrev_b32_e32 v51, 3, v47
	v_sub_u32_e32 v42, 29, v52
	v_and_b32_e32 v48, 7, v48
	v_cmp_gt_u32_e32 vcc, 8, v47
	v_cndmask_b32_e32 v42, v51, v42, vcc
	v_cndmask_b32_e32 v47, v50, v48, vcc
	v_lshlrev_b32_e32 v48, 16, v40
	v_lshlrev_b32_e32 v47, 20, v47
	v_and_b32_e32 v48, 0x80000000, v48
	v_lshl_add_u32 v42, v42, 23, v45
	v_or3_b32 v48, v48, v42, v47
.LBB636_271:                            ;   in Loop: Header=BB636_213 Depth=1
	s_or_b64 exec, exec, s[16:17]
.LBB636_272:                            ;   in Loop: Header=BB636_213 Depth=1
	s_or_b64 exec, exec, s[14:15]
.LBB636_273:                            ;   in Loop: Header=BB636_213 Depth=1
	s_or_b64 exec, exec, s[12:13]
	v_lshrrev_b32_e32 v42, 16, v40
	v_cmp_ne_u16_sdwa s[14:15], v42, v43 src0_sel:BYTE_0 src1_sel:DWORD
	s_and_saveexec_b64 s[12:13], s[14:15]
	s_cbranch_execz .LBB636_279
; %bb.274:                              ;   in Loop: Header=BB636_213 Depth=1
	v_cmp_ne_u16_sdwa s[16:17], v42, s9 src0_sel:BYTE_0 src1_sel:DWORD
	v_bfrev_b32_e32 v44, 1
	s_and_saveexec_b64 s[14:15], s[16:17]
	s_cbranch_execz .LBB636_278
; %bb.275:                              ;   in Loop: Header=BB636_213 Depth=1
	v_bfe_u32 v47, v40, 16, 7
	v_cmp_ne_u32_e32 vcc, s19, v47
	v_mov_b32_e32 v44, 0x7f800001
	s_and_saveexec_b64 s[16:17], vcc
	s_cbranch_execz .LBB636_277
; %bb.276:                              ;   in Loop: Header=BB636_213 Depth=1
	v_and_b32_e32 v44, 7, v42
	v_ffbh_u32_e32 v50, v44
	v_min_u32_e32 v52, 32, v50
	v_subrev_u32_e32 v50, 28, v52
	v_lshlrev_b64 v[50:51], v50, v[42:43]
	v_lshrrev_b32_e32 v49, 3, v47
	v_sub_u32_e32 v51, 29, v52
	v_and_b32_e32 v50, 7, v50
	v_cmp_gt_u32_e32 vcc, 8, v47
	v_cndmask_b32_e32 v47, v49, v51, vcc
	v_cndmask_b32_e32 v44, v44, v50, vcc
	v_lshlrev_b32_e32 v42, 24, v42
	v_lshlrev_b32_e32 v44, 20, v44
	v_and_b32_e32 v42, 0x80000000, v42
	v_lshl_add_u32 v47, v47, 23, v45
	v_or3_b32 v44, v42, v47, v44
.LBB636_277:                            ;   in Loop: Header=BB636_213 Depth=1
	s_or_b64 exec, exec, s[16:17]
.LBB636_278:                            ;   in Loop: Header=BB636_213 Depth=1
	s_or_b64 exec, exec, s[14:15]
.LBB636_279:                            ;   in Loop: Header=BB636_213 Depth=1
	s_or_b64 exec, exec, s[12:13]
	v_cmp_lt_u32_e32 vcc, s20, v40
	v_mov_b32_e32 v49, 0
	v_mov_b32_e32 v50, 0
	s_and_saveexec_b64 s[12:13], vcc
	s_cbranch_execz .LBB636_285
; %bb.280:                              ;   in Loop: Header=BB636_213 Depth=1
	v_lshrrev_b32_e32 v42, 24, v40
	v_cmp_ne_u32_e32 vcc, s9, v42
	v_bfrev_b32_e32 v50, 1
	s_and_saveexec_b64 s[14:15], vcc
	s_cbranch_execz .LBB636_284
; %bb.281:                              ;   in Loop: Header=BB636_213 Depth=1
	v_bfe_u32 v40, v40, 24, 7
	v_cmp_ne_u32_e32 vcc, s19, v40
	v_mov_b32_e32 v50, 0x7f800001
	s_and_saveexec_b64 s[16:17], vcc
	s_cbranch_execz .LBB636_283
; %bb.282:                              ;   in Loop: Header=BB636_213 Depth=1
	v_and_b32_e32 v47, 7, v42
	v_ffbh_u32_e32 v50, v47
	v_min_u32_e32 v53, 32, v50
	v_subrev_u32_e32 v50, 28, v53
	v_lshlrev_b64 v[50:51], v50, v[42:43]
	v_lshrrev_b32_e32 v52, 3, v40
	v_sub_u32_e32 v51, 29, v53
	v_and_b32_e32 v50, 7, v50
	v_cmp_gt_u32_e32 vcc, 8, v40
	v_cndmask_b32_e32 v40, v52, v51, vcc
	v_cndmask_b32_e32 v47, v47, v50, vcc
	v_lshlrev_b32_e32 v42, 24, v42
	v_lshlrev_b32_e32 v47, 20, v47
	v_and_b32_e32 v42, 0x80000000, v42
	v_lshl_add_u32 v40, v40, 23, v45
	v_or3_b32 v50, v42, v40, v47
.LBB636_283:                            ;   in Loop: Header=BB636_213 Depth=1
	s_or_b64 exec, exec, s[16:17]
.LBB636_284:                            ;   in Loop: Header=BB636_213 Depth=1
	s_or_b64 exec, exec, s[14:15]
.LBB636_285:                            ;   in Loop: Header=BB636_213 Depth=1
	s_or_b64 exec, exec, s[12:13]
	s_waitcnt vmcnt(0)
	v_cmp_ne_u16_sdwa s[14:15], v38, v43 src0_sel:BYTE_0 src1_sel:DWORD
	s_and_saveexec_b64 s[12:13], s[14:15]
	s_cbranch_execz .LBB636_291
; %bb.286:                              ;   in Loop: Header=BB636_213 Depth=1
	v_cmp_ne_u16_sdwa s[16:17], v38, s9 src0_sel:BYTE_0 src1_sel:DWORD
	v_bfrev_b32_e32 v49, 1
	s_and_saveexec_b64 s[14:15], s[16:17]
	s_cbranch_execz .LBB636_290
; %bb.287:                              ;   in Loop: Header=BB636_213 Depth=1
	v_and_b32_e32 v40, 0x7f, v38
	v_cmp_ne_u32_e32 vcc, s19, v40
	v_mov_b32_e32 v49, 0x7f800001
	s_and_saveexec_b64 s[16:17], vcc
	s_cbranch_execz .LBB636_289
; %bb.288:                              ;   in Loop: Header=BB636_213 Depth=1
	v_and_b32_e32 v42, 7, v38
	v_ffbh_u32_e32 v49, v42
	v_min_u32_e32 v49, 32, v49
	v_subrev_u32_e32 v51, 28, v49
	v_lshlrev_b64 v[52:53], v51, v[38:39]
	v_lshrrev_b32_e32 v47, 3, v40
	v_sub_u32_e32 v49, 29, v49
	v_and_b32_e32 v51, 7, v52
	v_cmp_gt_u32_e32 vcc, 8, v40
	v_cndmask_b32_e32 v40, v47, v49, vcc
	v_cndmask_b32_e32 v42, v42, v51, vcc
	v_lshlrev_b32_e32 v47, 24, v38
	v_lshlrev_b32_e32 v42, 20, v42
	v_and_b32_e32 v47, 0x80000000, v47
	v_lshl_add_u32 v40, v40, 23, v45
	v_or3_b32 v49, v47, v40, v42
.LBB636_289:                            ;   in Loop: Header=BB636_213 Depth=1
	s_or_b64 exec, exec, s[16:17]
.LBB636_290:                            ;   in Loop: Header=BB636_213 Depth=1
	s_or_b64 exec, exec, s[14:15]
.LBB636_291:                            ;   in Loop: Header=BB636_213 Depth=1
	s_or_b64 exec, exec, s[12:13]
	v_lshrrev_b16_e32 v40, 8, v38
	v_cmp_ne_u16_e32 vcc, 0, v40
	v_mov_b32_e32 v51, 0
	v_mov_b32_e32 v52, 0
	s_and_saveexec_b64 s[12:13], vcc
	s_cbranch_execz .LBB636_297
; %bb.292:                              ;   in Loop: Header=BB636_213 Depth=1
	v_cmp_ne_u16_e32 vcc, s9, v40
	v_bfrev_b32_e32 v52, 1
	s_and_saveexec_b64 s[14:15], vcc
	s_cbranch_execz .LBB636_296
; %bb.293:                              ;   in Loop: Header=BB636_213 Depth=1
	v_and_b32_e32 v42, 0x7f, v40
	v_cmp_ne_u32_e32 vcc, s19, v42
	v_mov_b32_e32 v52, 0x7f800001
	s_and_saveexec_b64 s[16:17], vcc
	s_cbranch_execz .LBB636_295
; %bb.294:                              ;   in Loop: Header=BB636_213 Depth=1
	v_and_b32_e32 v47, 7, v40
	v_ffbh_u32_e32 v52, v47
	v_min_u32_e32 v65, 32, v52
	v_subrev_u32_e32 v52, 28, v65
	v_lshlrev_b64 v[52:53], v52, v[40:41]
	v_lshrrev_b32_e32 v64, 3, v42
	v_sub_u32_e32 v40, 29, v65
	v_and_b32_e32 v52, 7, v52
	v_cmp_gt_u32_e32 vcc, 8, v42
	v_cndmask_b32_e32 v40, v64, v40, vcc
	v_cndmask_b32_e32 v42, v47, v52, vcc
	v_lshlrev_b32_e32 v47, 16, v38
	v_lshlrev_b32_e32 v42, 20, v42
	v_and_b32_e32 v47, 0x80000000, v47
	v_lshl_add_u32 v40, v40, 23, v45
	v_or3_b32 v52, v47, v40, v42
.LBB636_295:                            ;   in Loop: Header=BB636_213 Depth=1
	s_or_b64 exec, exec, s[16:17]
.LBB636_296:                            ;   in Loop: Header=BB636_213 Depth=1
	s_or_b64 exec, exec, s[14:15]
.LBB636_297:                            ;   in Loop: Header=BB636_213 Depth=1
	s_or_b64 exec, exec, s[12:13]
	v_lshrrev_b32_e32 v40, 16, v38
	v_cmp_ne_u16_sdwa s[14:15], v40, v43 src0_sel:BYTE_0 src1_sel:DWORD
	s_and_saveexec_b64 s[12:13], s[14:15]
	s_cbranch_execz .LBB636_303
; %bb.298:                              ;   in Loop: Header=BB636_213 Depth=1
	v_cmp_ne_u16_sdwa s[16:17], v40, s9 src0_sel:BYTE_0 src1_sel:DWORD
	v_bfrev_b32_e32 v51, 1
	s_and_saveexec_b64 s[14:15], s[16:17]
	s_cbranch_execz .LBB636_302
; %bb.299:                              ;   in Loop: Header=BB636_213 Depth=1
	v_bfe_u32 v42, v38, 16, 7
	v_cmp_ne_u32_e32 vcc, s19, v42
	v_mov_b32_e32 v51, 0x7f800001
	s_and_saveexec_b64 s[16:17], vcc
	s_cbranch_execz .LBB636_301
; %bb.300:                              ;   in Loop: Header=BB636_213 Depth=1
	v_and_b32_e32 v47, 7, v40
	v_ffbh_u32_e32 v53, v47
	v_min_u32_e32 v53, 32, v53
	v_subrev_u32_e32 v64, 28, v53
	v_lshlrev_b64 v[64:65], v64, v[40:41]
	v_lshrrev_b32_e32 v51, 3, v42
	v_sub_u32_e32 v53, 29, v53
	v_and_b32_e32 v64, 7, v64
	v_cmp_gt_u32_e32 vcc, 8, v42
	v_cndmask_b32_e32 v42, v51, v53, vcc
	v_cndmask_b32_e32 v47, v47, v64, vcc
	v_lshlrev_b32_e32 v40, 24, v40
	v_lshlrev_b32_e32 v47, 20, v47
	v_and_b32_e32 v40, 0x80000000, v40
	v_lshl_add_u32 v42, v42, 23, v45
	v_or3_b32 v51, v40, v42, v47
.LBB636_301:                            ;   in Loop: Header=BB636_213 Depth=1
	s_or_b64 exec, exec, s[16:17]
.LBB636_302:                            ;   in Loop: Header=BB636_213 Depth=1
	s_or_b64 exec, exec, s[14:15]
.LBB636_303:                            ;   in Loop: Header=BB636_213 Depth=1
	s_or_b64 exec, exec, s[12:13]
	v_cmp_lt_u32_e32 vcc, s20, v38
	v_mov_b32_e32 v47, 0
	v_mov_b32_e32 v53, 0
	s_and_saveexec_b64 s[12:13], vcc
	s_cbranch_execz .LBB636_309
; %bb.304:                              ;   in Loop: Header=BB636_213 Depth=1
	v_lshrrev_b32_e32 v40, 24, v38
	v_cmp_ne_u32_e32 vcc, s9, v40
	v_bfrev_b32_e32 v53, 1
	s_and_saveexec_b64 s[14:15], vcc
	s_cbranch_execz .LBB636_308
; %bb.305:                              ;   in Loop: Header=BB636_213 Depth=1
	v_bfe_u32 v38, v38, 24, 7
	v_cmp_ne_u32_e32 vcc, s19, v38
	v_mov_b32_e32 v53, 0x7f800001
	s_and_saveexec_b64 s[16:17], vcc
	s_cbranch_execz .LBB636_307
; %bb.306:                              ;   in Loop: Header=BB636_213 Depth=1
	v_and_b32_e32 v42, 7, v40
	v_ffbh_u32_e32 v64, v42
	v_min_u32_e32 v66, 32, v64
	v_subrev_u32_e32 v64, 28, v66
	v_lshlrev_b64 v[64:65], v64, v[40:41]
	v_lshrrev_b32_e32 v53, 3, v38
	v_sub_u32_e32 v65, 29, v66
	v_and_b32_e32 v64, 7, v64
	v_cmp_gt_u32_e32 vcc, 8, v38
	v_cndmask_b32_e32 v38, v53, v65, vcc
	v_cndmask_b32_e32 v42, v42, v64, vcc
	v_lshlrev_b32_e32 v40, 24, v40
	v_lshlrev_b32_e32 v42, 20, v42
	v_and_b32_e32 v40, 0x80000000, v40
	v_lshl_add_u32 v38, v38, 23, v45
	v_or3_b32 v53, v40, v38, v42
.LBB636_307:                            ;   in Loop: Header=BB636_213 Depth=1
	s_or_b64 exec, exec, s[16:17]
.LBB636_308:                            ;   in Loop: Header=BB636_213 Depth=1
	s_or_b64 exec, exec, s[14:15]
.LBB636_309:                            ;   in Loop: Header=BB636_213 Depth=1
	s_or_b64 exec, exec, s[12:13]
	v_cvt_pkrtz_f16_f32 v65, v44, v50
	buffer_load_dword v44, v63, s[0:3], 0 offen
	buffer_load_dword v42, v63, s[0:3], 0 offen offset:4
	buffer_load_dword v40, v63, s[0:3], 0 offen offset:8
	;; [unrolled: 1-line block ×3, first 2 shown]
	v_cvt_pkrtz_f16_f32 v64, v46, v48
	v_cvt_pkrtz_f16_f32 v48, v49, v52
	;; [unrolled: 1-line block ×3, first 2 shown]
	v_mfma_f32_16x16x16f16 v[34:37], v[64:65], v[6:7], v[34:37]
	s_waitcnt vmcnt(3)
	v_cmp_ne_u16_sdwa s[14:15], v44, v43 src0_sel:BYTE_0 src1_sel:DWORD
	v_mfma_f32_16x16x16f16 v[34:37], v[48:49], v[8:9], v[34:37]
	s_and_saveexec_b64 s[12:13], s[14:15]
	s_cbranch_execz .LBB636_315
; %bb.310:                              ;   in Loop: Header=BB636_213 Depth=1
	v_cmp_ne_u16_sdwa s[16:17], v44, s9 src0_sel:BYTE_0 src1_sel:DWORD
	v_bfrev_b32_e32 v47, 1
	s_and_saveexec_b64 s[14:15], s[16:17]
	s_cbranch_execz .LBB636_314
; %bb.311:                              ;   in Loop: Header=BB636_213 Depth=1
	v_and_b32_e32 v46, 0x7f, v44
	v_cmp_ne_u32_e32 vcc, s19, v46
	v_mov_b32_e32 v47, 0x7f800001
	s_and_saveexec_b64 s[16:17], vcc
	s_cbranch_execz .LBB636_313
; %bb.312:                              ;   in Loop: Header=BB636_213 Depth=1
	v_and_b32_e32 v47, 7, v44
	v_ffbh_u32_e32 v48, v47
	v_min_u32_e32 v51, 32, v48
	v_subrev_u32_e32 v48, 28, v51
	v_lshlrev_b64 v[48:49], v48, v[44:45]
	v_lshrrev_b32_e32 v50, 3, v46
	v_sub_u32_e32 v49, 29, v51
	v_and_b32_e32 v48, 7, v48
	v_cmp_gt_u32_e32 vcc, 8, v46
	v_cndmask_b32_e32 v46, v50, v49, vcc
	v_cndmask_b32_e32 v47, v47, v48, vcc
	v_lshlrev_b32_e32 v48, 24, v44
	v_lshlrev_b32_e32 v47, 20, v47
	v_and_b32_e32 v48, 0x80000000, v48
	v_lshl_add_u32 v46, v46, 23, v45
	v_or3_b32 v47, v48, v46, v47
.LBB636_313:                            ;   in Loop: Header=BB636_213 Depth=1
	s_or_b64 exec, exec, s[16:17]
.LBB636_314:                            ;   in Loop: Header=BB636_213 Depth=1
	s_or_b64 exec, exec, s[14:15]
.LBB636_315:                            ;   in Loop: Header=BB636_213 Depth=1
	s_or_b64 exec, exec, s[12:13]
	v_lshrrev_b16_e32 v46, 8, v44
	v_cmp_ne_u16_e32 vcc, 0, v46
	v_mov_b32_e32 v48, 0
	v_mov_b32_e32 v49, 0
	s_and_saveexec_b64 s[12:13], vcc
	s_cbranch_execz .LBB636_321
; %bb.316:                              ;   in Loop: Header=BB636_213 Depth=1
	v_cmp_ne_u16_e32 vcc, s9, v46
	v_bfrev_b32_e32 v49, 1
	s_and_saveexec_b64 s[14:15], vcc
	s_cbranch_execz .LBB636_320
; %bb.317:                              ;   in Loop: Header=BB636_213 Depth=1
	v_and_b32_e32 v50, 0x7f, v46
	v_cmp_ne_u32_e32 vcc, s19, v50
	v_mov_b32_e32 v49, 0x7f800001
	s_and_saveexec_b64 s[16:17], vcc
	s_cbranch_execz .LBB636_319
; %bb.318:                              ;   in Loop: Header=BB636_213 Depth=1
	v_and_b32_e32 v49, 7, v46
	v_ffbh_u32_e32 v52, v49
	v_min_u32_e32 v63, 32, v52
	v_subrev_u32_e32 v52, 28, v63
	v_lshlrev_b64 v[52:53], v52, v[46:47]
	v_lshrrev_b32_e32 v51, 3, v50
	v_sub_u32_e32 v46, 29, v63
	v_and_b32_e32 v52, 7, v52
	v_cmp_gt_u32_e32 vcc, 8, v50
	v_cndmask_b32_e32 v46, v51, v46, vcc
	v_cndmask_b32_e32 v49, v49, v52, vcc
	v_lshlrev_b32_e32 v50, 16, v44
	v_lshlrev_b32_e32 v49, 20, v49
	v_and_b32_e32 v50, 0x80000000, v50
	v_lshl_add_u32 v46, v46, 23, v45
	v_or3_b32 v49, v50, v46, v49
.LBB636_319:                            ;   in Loop: Header=BB636_213 Depth=1
	s_or_b64 exec, exec, s[16:17]
.LBB636_320:                            ;   in Loop: Header=BB636_213 Depth=1
	s_or_b64 exec, exec, s[14:15]
.LBB636_321:                            ;   in Loop: Header=BB636_213 Depth=1
	s_or_b64 exec, exec, s[12:13]
	v_lshrrev_b32_e32 v46, 16, v44
	v_cmp_ne_u16_sdwa s[14:15], v46, v43 src0_sel:BYTE_0 src1_sel:DWORD
	s_and_saveexec_b64 s[12:13], s[14:15]
	s_cbranch_execz .LBB636_327
; %bb.322:                              ;   in Loop: Header=BB636_213 Depth=1
	v_cmp_ne_u16_sdwa s[16:17], v46, s9 src0_sel:BYTE_0 src1_sel:DWORD
	v_bfrev_b32_e32 v48, 1
	s_and_saveexec_b64 s[14:15], s[16:17]
	s_cbranch_execz .LBB636_326
; %bb.323:                              ;   in Loop: Header=BB636_213 Depth=1
	v_bfe_u32 v50, v44, 16, 7
	v_cmp_ne_u32_e32 vcc, s19, v50
	v_mov_b32_e32 v48, 0x7f800001
	s_and_saveexec_b64 s[16:17], vcc
	s_cbranch_execz .LBB636_325
; %bb.324:                              ;   in Loop: Header=BB636_213 Depth=1
	v_and_b32_e32 v48, 7, v46
	v_ffbh_u32_e32 v52, v48
	v_min_u32_e32 v63, 32, v52
	v_subrev_u32_e32 v52, 28, v63
	v_lshlrev_b64 v[52:53], v52, v[46:47]
	v_lshrrev_b32_e32 v51, 3, v50
	v_sub_u32_e32 v53, 29, v63
	v_and_b32_e32 v52, 7, v52
	v_cmp_gt_u32_e32 vcc, 8, v50
	v_cndmask_b32_e32 v50, v51, v53, vcc
	v_cndmask_b32_e32 v48, v48, v52, vcc
	v_lshlrev_b32_e32 v46, 24, v46
	v_lshlrev_b32_e32 v48, 20, v48
	v_and_b32_e32 v46, 0x80000000, v46
	v_lshl_add_u32 v50, v50, 23, v45
	v_or3_b32 v48, v46, v50, v48
.LBB636_325:                            ;   in Loop: Header=BB636_213 Depth=1
	s_or_b64 exec, exec, s[16:17]
.LBB636_326:                            ;   in Loop: Header=BB636_213 Depth=1
	s_or_b64 exec, exec, s[14:15]
.LBB636_327:                            ;   in Loop: Header=BB636_213 Depth=1
	s_or_b64 exec, exec, s[12:13]
	v_cmp_lt_u32_e32 vcc, s20, v44
	v_mov_b32_e32 v50, 0
	v_mov_b32_e32 v51, 0
	s_and_saveexec_b64 s[12:13], vcc
	s_cbranch_execz .LBB636_333
; %bb.328:                              ;   in Loop: Header=BB636_213 Depth=1
	v_lshrrev_b32_e32 v46, 24, v44
	v_cmp_ne_u32_e32 vcc, s9, v46
	v_bfrev_b32_e32 v51, 1
	s_and_saveexec_b64 s[14:15], vcc
	s_cbranch_execz .LBB636_332
; %bb.329:                              ;   in Loop: Header=BB636_213 Depth=1
	v_bfe_u32 v44, v44, 24, 7
	v_cmp_ne_u32_e32 vcc, s19, v44
	v_mov_b32_e32 v51, 0x7f800001
	s_and_saveexec_b64 s[16:17], vcc
	s_cbranch_execz .LBB636_331
; %bb.330:                              ;   in Loop: Header=BB636_213 Depth=1
	v_and_b32_e32 v51, 7, v46
	v_ffbh_u32_e32 v52, v51
	v_min_u32_e32 v64, 32, v52
	v_subrev_u32_e32 v52, 28, v64
	v_lshlrev_b64 v[52:53], v52, v[46:47]
	v_lshrrev_b32_e32 v63, 3, v44
	v_sub_u32_e32 v53, 29, v64
	v_and_b32_e32 v52, 7, v52
	v_cmp_gt_u32_e32 vcc, 8, v44
	v_cndmask_b32_e32 v44, v63, v53, vcc
	v_cndmask_b32_e32 v51, v51, v52, vcc
	v_lshlrev_b32_e32 v46, 24, v46
	v_lshlrev_b32_e32 v51, 20, v51
	v_and_b32_e32 v46, 0x80000000, v46
	v_lshl_add_u32 v44, v44, 23, v45
	v_or3_b32 v51, v46, v44, v51
.LBB636_331:                            ;   in Loop: Header=BB636_213 Depth=1
	s_or_b64 exec, exec, s[16:17]
.LBB636_332:                            ;   in Loop: Header=BB636_213 Depth=1
	s_or_b64 exec, exec, s[14:15]
.LBB636_333:                            ;   in Loop: Header=BB636_213 Depth=1
	s_or_b64 exec, exec, s[12:13]
	s_waitcnt vmcnt(2)
	v_cmp_ne_u16_sdwa s[14:15], v42, v43 src0_sel:BYTE_0 src1_sel:DWORD
	s_and_saveexec_b64 s[12:13], s[14:15]
	s_cbranch_execz .LBB636_339
; %bb.334:                              ;   in Loop: Header=BB636_213 Depth=1
	v_cmp_ne_u16_sdwa s[16:17], v42, s9 src0_sel:BYTE_0 src1_sel:DWORD
	v_bfrev_b32_e32 v50, 1
	s_and_saveexec_b64 s[14:15], s[16:17]
	s_cbranch_execz .LBB636_338
; %bb.335:                              ;   in Loop: Header=BB636_213 Depth=1
	v_and_b32_e32 v44, 0x7f, v42
	v_cmp_ne_u32_e32 vcc, s19, v44
	v_mov_b32_e32 v50, 0x7f800001
	s_and_saveexec_b64 s[16:17], vcc
	s_cbranch_execz .LBB636_337
; %bb.336:                              ;   in Loop: Header=BB636_213 Depth=1
	v_and_b32_e32 v46, 7, v42
	v_ffbh_u32_e32 v52, v46
	v_min_u32_e32 v63, 32, v52
	v_subrev_u32_e32 v52, 28, v63
	v_lshlrev_b64 v[52:53], v52, v[42:43]
	v_lshrrev_b32_e32 v50, 3, v44
	v_sub_u32_e32 v53, 29, v63
	v_and_b32_e32 v52, 7, v52
	v_cmp_gt_u32_e32 vcc, 8, v44
	v_cndmask_b32_e32 v44, v50, v53, vcc
	v_cndmask_b32_e32 v46, v46, v52, vcc
	v_lshlrev_b32_e32 v50, 24, v42
	v_lshlrev_b32_e32 v46, 20, v46
	v_and_b32_e32 v50, 0x80000000, v50
	v_lshl_add_u32 v44, v44, 23, v45
	v_or3_b32 v50, v50, v44, v46
.LBB636_337:                            ;   in Loop: Header=BB636_213 Depth=1
	s_or_b64 exec, exec, s[16:17]
.LBB636_338:                            ;   in Loop: Header=BB636_213 Depth=1
	s_or_b64 exec, exec, s[14:15]
.LBB636_339:                            ;   in Loop: Header=BB636_213 Depth=1
	s_or_b64 exec, exec, s[12:13]
	v_lshrrev_b16_e32 v44, 8, v42
	v_cmp_ne_u16_e32 vcc, 0, v44
	v_mov_b32_e32 v52, 0
	v_mov_b32_e32 v53, 0
	s_and_saveexec_b64 s[12:13], vcc
	s_cbranch_execz .LBB636_345
; %bb.340:                              ;   in Loop: Header=BB636_213 Depth=1
	v_cmp_ne_u16_e32 vcc, s9, v44
	v_bfrev_b32_e32 v53, 1
	s_and_saveexec_b64 s[14:15], vcc
	s_cbranch_execz .LBB636_344
; %bb.341:                              ;   in Loop: Header=BB636_213 Depth=1
	v_and_b32_e32 v46, 0x7f, v44
	v_cmp_ne_u32_e32 vcc, s19, v46
	v_mov_b32_e32 v53, 0x7f800001
	s_and_saveexec_b64 s[16:17], vcc
	s_cbranch_execz .LBB636_343
; %bb.342:                              ;   in Loop: Header=BB636_213 Depth=1
	v_and_b32_e32 v53, 7, v44
	v_ffbh_u32_e32 v64, v53
	v_min_u32_e32 v66, 32, v64
	v_subrev_u32_e32 v64, 28, v66
	v_lshlrev_b64 v[64:65], v64, v[44:45]
	v_lshrrev_b32_e32 v63, 3, v46
	v_sub_u32_e32 v44, 29, v66
	v_and_b32_e32 v64, 7, v64
	v_cmp_gt_u32_e32 vcc, 8, v46
	v_cndmask_b32_e32 v44, v63, v44, vcc
	v_cndmask_b32_e32 v46, v53, v64, vcc
	v_lshlrev_b32_e32 v53, 16, v42
	v_lshlrev_b32_e32 v46, 20, v46
	v_and_b32_e32 v53, 0x80000000, v53
	v_lshl_add_u32 v44, v44, 23, v45
	v_or3_b32 v53, v53, v44, v46
.LBB636_343:                            ;   in Loop: Header=BB636_213 Depth=1
	s_or_b64 exec, exec, s[16:17]
.LBB636_344:                            ;   in Loop: Header=BB636_213 Depth=1
	s_or_b64 exec, exec, s[14:15]
.LBB636_345:                            ;   in Loop: Header=BB636_213 Depth=1
	s_or_b64 exec, exec, s[12:13]
	v_lshrrev_b32_e32 v44, 16, v42
	v_cmp_ne_u16_sdwa s[14:15], v44, v43 src0_sel:BYTE_0 src1_sel:DWORD
	s_and_saveexec_b64 s[12:13], s[14:15]
	s_cbranch_execz .LBB636_351
; %bb.346:                              ;   in Loop: Header=BB636_213 Depth=1
	v_cmp_ne_u16_sdwa s[16:17], v44, s9 src0_sel:BYTE_0 src1_sel:DWORD
	v_bfrev_b32_e32 v52, 1
	s_and_saveexec_b64 s[14:15], s[16:17]
	s_cbranch_execz .LBB636_350
; %bb.347:                              ;   in Loop: Header=BB636_213 Depth=1
	v_bfe_u32 v46, v42, 16, 7
	v_cmp_ne_u32_e32 vcc, s19, v46
	v_mov_b32_e32 v52, 0x7f800001
	s_and_saveexec_b64 s[16:17], vcc
	s_cbranch_execz .LBB636_349
; %bb.348:                              ;   in Loop: Header=BB636_213 Depth=1
	v_and_b32_e32 v52, 7, v44
	v_ffbh_u32_e32 v64, v52
	v_min_u32_e32 v66, 32, v64
	v_subrev_u32_e32 v64, 28, v66
	v_lshlrev_b64 v[64:65], v64, v[44:45]
	v_lshrrev_b32_e32 v63, 3, v46
	v_sub_u32_e32 v65, 29, v66
	v_and_b32_e32 v64, 7, v64
	v_cmp_gt_u32_e32 vcc, 8, v46
	v_cndmask_b32_e32 v46, v63, v65, vcc
	v_cndmask_b32_e32 v52, v52, v64, vcc
	v_lshlrev_b32_e32 v44, 24, v44
	v_lshlrev_b32_e32 v52, 20, v52
	v_and_b32_e32 v44, 0x80000000, v44
	v_lshl_add_u32 v46, v46, 23, v45
	v_or3_b32 v52, v44, v46, v52
.LBB636_349:                            ;   in Loop: Header=BB636_213 Depth=1
	s_or_b64 exec, exec, s[16:17]
.LBB636_350:                            ;   in Loop: Header=BB636_213 Depth=1
	s_or_b64 exec, exec, s[14:15]
.LBB636_351:                            ;   in Loop: Header=BB636_213 Depth=1
	s_or_b64 exec, exec, s[12:13]
	v_cmp_lt_u32_e32 vcc, s20, v42
	v_mov_b32_e32 v46, 0
	v_mov_b32_e32 v63, 0
	s_and_saveexec_b64 s[12:13], vcc
	s_cbranch_execz .LBB636_357
; %bb.352:                              ;   in Loop: Header=BB636_213 Depth=1
	v_lshrrev_b32_e32 v44, 24, v42
	v_cmp_ne_u32_e32 vcc, s9, v44
	v_bfrev_b32_e32 v63, 1
	s_and_saveexec_b64 s[14:15], vcc
	s_cbranch_execz .LBB636_356
; %bb.353:                              ;   in Loop: Header=BB636_213 Depth=1
	v_bfe_u32 v42, v42, 24, 7
	v_cmp_ne_u32_e32 vcc, s19, v42
	v_mov_b32_e32 v63, 0x7f800001
	s_and_saveexec_b64 s[16:17], vcc
	s_cbranch_execz .LBB636_355
; %bb.354:                              ;   in Loop: Header=BB636_213 Depth=1
	v_and_b32_e32 v63, 7, v44
	v_ffbh_u32_e32 v64, v63
	v_min_u32_e32 v67, 32, v64
	v_subrev_u32_e32 v64, 28, v67
	v_lshlrev_b64 v[64:65], v64, v[44:45]
	v_lshrrev_b32_e32 v66, 3, v42
	v_sub_u32_e32 v65, 29, v67
	v_and_b32_e32 v64, 7, v64
	v_cmp_gt_u32_e32 vcc, 8, v42
	v_cndmask_b32_e32 v42, v66, v65, vcc
	v_cndmask_b32_e32 v63, v63, v64, vcc
	v_lshlrev_b32_e32 v44, 24, v44
	v_lshlrev_b32_e32 v63, 20, v63
	v_and_b32_e32 v44, 0x80000000, v44
	v_lshl_add_u32 v42, v42, 23, v45
	v_or3_b32 v63, v44, v42, v63
.LBB636_355:                            ;   in Loop: Header=BB636_213 Depth=1
	s_or_b64 exec, exec, s[16:17]
.LBB636_356:                            ;   in Loop: Header=BB636_213 Depth=1
	s_or_b64 exec, exec, s[14:15]
.LBB636_357:                            ;   in Loop: Header=BB636_213 Depth=1
	s_or_b64 exec, exec, s[12:13]
	v_cvt_pkrtz_f16_f32 v64, v47, v49
	v_cvt_pkrtz_f16_f32 v65, v48, v51
	;; [unrolled: 1-line block ×4, first 2 shown]
	s_waitcnt vmcnt(1)
	v_cmp_ne_u16_sdwa s[14:15], v40, v43 src0_sel:BYTE_0 src1_sel:DWORD
	v_mfma_f32_16x16x16f16 v[34:37], v[64:65], v[10:11], v[34:37]
	v_mfma_f32_16x16x16f16 v[34:37], v[48:49], v[12:13], v[34:37]
	s_and_saveexec_b64 s[12:13], s[14:15]
	s_cbranch_execz .LBB636_363
; %bb.358:                              ;   in Loop: Header=BB636_213 Depth=1
	v_cmp_ne_u16_sdwa s[16:17], v40, s9 src0_sel:BYTE_0 src1_sel:DWORD
	v_bfrev_b32_e32 v46, 1
	s_and_saveexec_b64 s[14:15], s[16:17]
	s_cbranch_execz .LBB636_362
; %bb.359:                              ;   in Loop: Header=BB636_213 Depth=1
	v_and_b32_e32 v42, 0x7f, v40
	v_cmp_ne_u32_e32 vcc, s19, v42
	v_mov_b32_e32 v46, 0x7f800001
	s_and_saveexec_b64 s[16:17], vcc
	s_cbranch_execz .LBB636_361
; %bb.360:                              ;   in Loop: Header=BB636_213 Depth=1
	v_and_b32_e32 v44, 7, v40
	v_ffbh_u32_e32 v46, v44
	v_min_u32_e32 v49, 32, v46
	v_subrev_u32_e32 v46, 28, v49
	v_lshlrev_b64 v[46:47], v46, v[40:41]
	v_lshrrev_b32_e32 v48, 3, v42
	v_sub_u32_e32 v47, 29, v49
	v_and_b32_e32 v46, 7, v46
	v_cmp_gt_u32_e32 vcc, 8, v42
	v_cndmask_b32_e32 v42, v48, v47, vcc
	v_cndmask_b32_e32 v44, v44, v46, vcc
	v_lshlrev_b32_e32 v46, 24, v40
	v_lshlrev_b32_e32 v44, 20, v44
	v_and_b32_e32 v46, 0x80000000, v46
	v_lshl_add_u32 v42, v42, 23, v45
	v_or3_b32 v46, v46, v42, v44
.LBB636_361:                            ;   in Loop: Header=BB636_213 Depth=1
	s_or_b64 exec, exec, s[16:17]
.LBB636_362:                            ;   in Loop: Header=BB636_213 Depth=1
	s_or_b64 exec, exec, s[14:15]
.LBB636_363:                            ;   in Loop: Header=BB636_213 Depth=1
	s_or_b64 exec, exec, s[12:13]
	v_lshrrev_b16_e32 v42, 8, v40
	v_cmp_ne_u16_e32 vcc, 0, v42
	v_mov_b32_e32 v44, 0
	v_mov_b32_e32 v48, 0
	s_and_saveexec_b64 s[12:13], vcc
	s_cbranch_execz .LBB636_369
; %bb.364:                              ;   in Loop: Header=BB636_213 Depth=1
	v_cmp_ne_u16_e32 vcc, s9, v42
	v_bfrev_b32_e32 v48, 1
	s_and_saveexec_b64 s[14:15], vcc
	s_cbranch_execz .LBB636_368
; %bb.365:                              ;   in Loop: Header=BB636_213 Depth=1
	v_and_b32_e32 v47, 0x7f, v42
	v_cmp_ne_u32_e32 vcc, s19, v47
	v_mov_b32_e32 v48, 0x7f800001
	s_and_saveexec_b64 s[16:17], vcc
	s_cbranch_execz .LBB636_367
; %bb.366:                              ;   in Loop: Header=BB636_213 Depth=1
	v_and_b32_e32 v50, 7, v42
	v_ffbh_u32_e32 v48, v50
	v_min_u32_e32 v52, 32, v48
	v_subrev_u32_e32 v48, 28, v52
	v_lshlrev_b64 v[48:49], v48, v[42:43]
	v_lshrrev_b32_e32 v51, 3, v47
	v_sub_u32_e32 v42, 29, v52
	v_and_b32_e32 v48, 7, v48
	v_cmp_gt_u32_e32 vcc, 8, v47
	v_cndmask_b32_e32 v42, v51, v42, vcc
	v_cndmask_b32_e32 v47, v50, v48, vcc
	v_lshlrev_b32_e32 v48, 16, v40
	v_lshlrev_b32_e32 v47, 20, v47
	v_and_b32_e32 v48, 0x80000000, v48
	v_lshl_add_u32 v42, v42, 23, v45
	v_or3_b32 v48, v48, v42, v47
.LBB636_367:                            ;   in Loop: Header=BB636_213 Depth=1
	s_or_b64 exec, exec, s[16:17]
.LBB636_368:                            ;   in Loop: Header=BB636_213 Depth=1
	s_or_b64 exec, exec, s[14:15]
.LBB636_369:                            ;   in Loop: Header=BB636_213 Depth=1
	s_or_b64 exec, exec, s[12:13]
	v_lshrrev_b32_e32 v42, 16, v40
	v_cmp_ne_u16_sdwa s[14:15], v42, v43 src0_sel:BYTE_0 src1_sel:DWORD
	s_and_saveexec_b64 s[12:13], s[14:15]
	s_cbranch_execz .LBB636_375
; %bb.370:                              ;   in Loop: Header=BB636_213 Depth=1
	v_cmp_ne_u16_sdwa s[16:17], v42, s9 src0_sel:BYTE_0 src1_sel:DWORD
	v_bfrev_b32_e32 v44, 1
	s_and_saveexec_b64 s[14:15], s[16:17]
	s_cbranch_execz .LBB636_374
; %bb.371:                              ;   in Loop: Header=BB636_213 Depth=1
	v_bfe_u32 v47, v40, 16, 7
	v_cmp_ne_u32_e32 vcc, s19, v47
	v_mov_b32_e32 v44, 0x7f800001
	s_and_saveexec_b64 s[16:17], vcc
	s_cbranch_execz .LBB636_373
; %bb.372:                              ;   in Loop: Header=BB636_213 Depth=1
	v_and_b32_e32 v44, 7, v42
	v_ffbh_u32_e32 v50, v44
	v_min_u32_e32 v52, 32, v50
	v_subrev_u32_e32 v50, 28, v52
	v_lshlrev_b64 v[50:51], v50, v[42:43]
	v_lshrrev_b32_e32 v49, 3, v47
	v_sub_u32_e32 v51, 29, v52
	v_and_b32_e32 v50, 7, v50
	v_cmp_gt_u32_e32 vcc, 8, v47
	v_cndmask_b32_e32 v47, v49, v51, vcc
	v_cndmask_b32_e32 v44, v44, v50, vcc
	v_lshlrev_b32_e32 v42, 24, v42
	v_lshlrev_b32_e32 v44, 20, v44
	v_and_b32_e32 v42, 0x80000000, v42
	v_lshl_add_u32 v47, v47, 23, v45
	v_or3_b32 v44, v42, v47, v44
.LBB636_373:                            ;   in Loop: Header=BB636_213 Depth=1
	s_or_b64 exec, exec, s[16:17]
.LBB636_374:                            ;   in Loop: Header=BB636_213 Depth=1
	s_or_b64 exec, exec, s[14:15]
.LBB636_375:                            ;   in Loop: Header=BB636_213 Depth=1
	s_or_b64 exec, exec, s[12:13]
	v_cmp_lt_u32_e32 vcc, s20, v40
	v_mov_b32_e32 v49, 0
	v_mov_b32_e32 v50, 0
	s_and_saveexec_b64 s[12:13], vcc
	s_cbranch_execz .LBB636_381
; %bb.376:                              ;   in Loop: Header=BB636_213 Depth=1
	v_lshrrev_b32_e32 v42, 24, v40
	v_cmp_ne_u32_e32 vcc, s9, v42
	v_bfrev_b32_e32 v50, 1
	s_and_saveexec_b64 s[14:15], vcc
	s_cbranch_execz .LBB636_380
; %bb.377:                              ;   in Loop: Header=BB636_213 Depth=1
	v_bfe_u32 v40, v40, 24, 7
	v_cmp_ne_u32_e32 vcc, s19, v40
	v_mov_b32_e32 v50, 0x7f800001
	s_and_saveexec_b64 s[16:17], vcc
	s_cbranch_execz .LBB636_379
; %bb.378:                              ;   in Loop: Header=BB636_213 Depth=1
	v_and_b32_e32 v47, 7, v42
	v_ffbh_u32_e32 v50, v47
	v_min_u32_e32 v53, 32, v50
	v_subrev_u32_e32 v50, 28, v53
	v_lshlrev_b64 v[50:51], v50, v[42:43]
	v_lshrrev_b32_e32 v52, 3, v40
	v_sub_u32_e32 v51, 29, v53
	v_and_b32_e32 v50, 7, v50
	v_cmp_gt_u32_e32 vcc, 8, v40
	v_cndmask_b32_e32 v40, v52, v51, vcc
	v_cndmask_b32_e32 v47, v47, v50, vcc
	v_lshlrev_b32_e32 v42, 24, v42
	v_lshlrev_b32_e32 v47, 20, v47
	v_and_b32_e32 v42, 0x80000000, v42
	v_lshl_add_u32 v40, v40, 23, v45
	v_or3_b32 v50, v42, v40, v47
.LBB636_379:                            ;   in Loop: Header=BB636_213 Depth=1
	s_or_b64 exec, exec, s[16:17]
.LBB636_380:                            ;   in Loop: Header=BB636_213 Depth=1
	s_or_b64 exec, exec, s[14:15]
.LBB636_381:                            ;   in Loop: Header=BB636_213 Depth=1
	s_or_b64 exec, exec, s[12:13]
	s_waitcnt vmcnt(0)
	v_cmp_ne_u16_sdwa s[14:15], v38, v43 src0_sel:BYTE_0 src1_sel:DWORD
	s_and_saveexec_b64 s[12:13], s[14:15]
	s_cbranch_execz .LBB636_387
; %bb.382:                              ;   in Loop: Header=BB636_213 Depth=1
	v_cmp_ne_u16_sdwa s[16:17], v38, s9 src0_sel:BYTE_0 src1_sel:DWORD
	v_bfrev_b32_e32 v49, 1
	s_and_saveexec_b64 s[14:15], s[16:17]
	s_cbranch_execz .LBB636_386
; %bb.383:                              ;   in Loop: Header=BB636_213 Depth=1
	v_and_b32_e32 v40, 0x7f, v38
	v_cmp_ne_u32_e32 vcc, s19, v40
	v_mov_b32_e32 v49, 0x7f800001
	s_and_saveexec_b64 s[16:17], vcc
	s_cbranch_execz .LBB636_385
; %bb.384:                              ;   in Loop: Header=BB636_213 Depth=1
	v_and_b32_e32 v42, 7, v38
	v_ffbh_u32_e32 v49, v42
	v_min_u32_e32 v49, 32, v49
	v_subrev_u32_e32 v51, 28, v49
	v_lshlrev_b64 v[52:53], v51, v[38:39]
	v_lshrrev_b32_e32 v47, 3, v40
	v_sub_u32_e32 v49, 29, v49
	v_and_b32_e32 v51, 7, v52
	v_cmp_gt_u32_e32 vcc, 8, v40
	v_cndmask_b32_e32 v40, v47, v49, vcc
	v_cndmask_b32_e32 v42, v42, v51, vcc
	v_lshlrev_b32_e32 v47, 24, v38
	v_lshlrev_b32_e32 v42, 20, v42
	v_and_b32_e32 v47, 0x80000000, v47
	v_lshl_add_u32 v40, v40, 23, v45
	v_or3_b32 v49, v47, v40, v42
.LBB636_385:                            ;   in Loop: Header=BB636_213 Depth=1
	s_or_b64 exec, exec, s[16:17]
.LBB636_386:                            ;   in Loop: Header=BB636_213 Depth=1
	s_or_b64 exec, exec, s[14:15]
.LBB636_387:                            ;   in Loop: Header=BB636_213 Depth=1
	s_or_b64 exec, exec, s[12:13]
	v_lshrrev_b16_e32 v40, 8, v38
	v_cmp_ne_u16_e32 vcc, 0, v40
	v_mov_b32_e32 v51, 0
	v_mov_b32_e32 v52, 0
	s_and_saveexec_b64 s[12:13], vcc
	s_cbranch_execz .LBB636_393
; %bb.388:                              ;   in Loop: Header=BB636_213 Depth=1
	v_cmp_ne_u16_e32 vcc, s9, v40
	v_bfrev_b32_e32 v52, 1
	s_and_saveexec_b64 s[14:15], vcc
	s_cbranch_execz .LBB636_392
; %bb.389:                              ;   in Loop: Header=BB636_213 Depth=1
	v_and_b32_e32 v42, 0x7f, v40
	v_cmp_ne_u32_e32 vcc, s19, v42
	v_mov_b32_e32 v52, 0x7f800001
	s_and_saveexec_b64 s[16:17], vcc
	s_cbranch_execz .LBB636_391
; %bb.390:                              ;   in Loop: Header=BB636_213 Depth=1
	v_and_b32_e32 v47, 7, v40
	v_ffbh_u32_e32 v52, v47
	v_min_u32_e32 v64, 32, v52
	v_subrev_u32_e32 v52, 28, v64
	v_lshlrev_b64 v[52:53], v52, v[40:41]
	v_lshrrev_b32_e32 v63, 3, v42
	v_sub_u32_e32 v40, 29, v64
	v_and_b32_e32 v52, 7, v52
	v_cmp_gt_u32_e32 vcc, 8, v42
	v_cndmask_b32_e32 v40, v63, v40, vcc
	v_cndmask_b32_e32 v42, v47, v52, vcc
	v_lshlrev_b32_e32 v47, 16, v38
	v_lshlrev_b32_e32 v42, 20, v42
	v_and_b32_e32 v47, 0x80000000, v47
	v_lshl_add_u32 v40, v40, 23, v45
	v_or3_b32 v52, v47, v40, v42
.LBB636_391:                            ;   in Loop: Header=BB636_213 Depth=1
	s_or_b64 exec, exec, s[16:17]
.LBB636_392:                            ;   in Loop: Header=BB636_213 Depth=1
	s_or_b64 exec, exec, s[14:15]
.LBB636_393:                            ;   in Loop: Header=BB636_213 Depth=1
	s_or_b64 exec, exec, s[12:13]
	v_lshrrev_b32_e32 v40, 16, v38
	v_cmp_ne_u16_sdwa s[14:15], v40, v43 src0_sel:BYTE_0 src1_sel:DWORD
	s_and_saveexec_b64 s[12:13], s[14:15]
	s_cbranch_execz .LBB636_399
; %bb.394:                              ;   in Loop: Header=BB636_213 Depth=1
	v_cmp_ne_u16_sdwa s[16:17], v40, s9 src0_sel:BYTE_0 src1_sel:DWORD
	v_bfrev_b32_e32 v51, 1
	s_and_saveexec_b64 s[14:15], s[16:17]
	s_cbranch_execz .LBB636_398
; %bb.395:                              ;   in Loop: Header=BB636_213 Depth=1
	v_bfe_u32 v42, v38, 16, 7
	v_cmp_ne_u32_e32 vcc, s19, v42
	v_mov_b32_e32 v51, 0x7f800001
	s_and_saveexec_b64 s[16:17], vcc
	s_cbranch_execz .LBB636_397
; %bb.396:                              ;   in Loop: Header=BB636_213 Depth=1
	v_and_b32_e32 v47, 7, v40
	v_ffbh_u32_e32 v53, v47
	v_min_u32_e32 v53, 32, v53
	v_subrev_u32_e32 v63, 28, v53
	v_lshlrev_b64 v[64:65], v63, v[40:41]
	v_lshrrev_b32_e32 v51, 3, v42
	v_sub_u32_e32 v53, 29, v53
	v_and_b32_e32 v63, 7, v64
	v_cmp_gt_u32_e32 vcc, 8, v42
	v_cndmask_b32_e32 v42, v51, v53, vcc
	v_cndmask_b32_e32 v47, v47, v63, vcc
	v_lshlrev_b32_e32 v40, 24, v40
	v_lshlrev_b32_e32 v47, 20, v47
	v_and_b32_e32 v40, 0x80000000, v40
	v_lshl_add_u32 v42, v42, 23, v45
	v_or3_b32 v51, v40, v42, v47
.LBB636_397:                            ;   in Loop: Header=BB636_213 Depth=1
	s_or_b64 exec, exec, s[16:17]
.LBB636_398:                            ;   in Loop: Header=BB636_213 Depth=1
	s_or_b64 exec, exec, s[14:15]
.LBB636_399:                            ;   in Loop: Header=BB636_213 Depth=1
	s_or_b64 exec, exec, s[12:13]
	v_cmp_lt_u32_e32 vcc, s20, v38
	v_mov_b32_e32 v47, 0
	v_mov_b32_e32 v53, 0
	s_and_saveexec_b64 s[12:13], vcc
	s_cbranch_execz .LBB636_405
; %bb.400:                              ;   in Loop: Header=BB636_213 Depth=1
	v_lshrrev_b32_e32 v40, 24, v38
	v_cmp_ne_u32_e32 vcc, s9, v40
	v_bfrev_b32_e32 v53, 1
	s_and_saveexec_b64 s[14:15], vcc
	s_cbranch_execz .LBB636_404
; %bb.401:                              ;   in Loop: Header=BB636_213 Depth=1
	v_bfe_u32 v38, v38, 24, 7
	v_cmp_ne_u32_e32 vcc, s19, v38
	v_mov_b32_e32 v53, 0x7f800001
	s_and_saveexec_b64 s[16:17], vcc
	s_cbranch_execz .LBB636_403
; %bb.402:                              ;   in Loop: Header=BB636_213 Depth=1
	v_and_b32_e32 v42, 7, v40
	v_ffbh_u32_e32 v63, v42
	v_min_u32_e32 v63, 32, v63
	v_subrev_u32_e32 v64, 28, v63
	v_lshlrev_b64 v[64:65], v64, v[40:41]
	v_lshrrev_b32_e32 v53, 3, v38
	v_sub_u32_e32 v63, 29, v63
	v_and_b32_e32 v64, 7, v64
	v_cmp_gt_u32_e32 vcc, 8, v38
	v_cndmask_b32_e32 v38, v53, v63, vcc
	v_cndmask_b32_e32 v42, v42, v64, vcc
	v_lshlrev_b32_e32 v40, 24, v40
	v_lshlrev_b32_e32 v42, 20, v42
	v_and_b32_e32 v40, 0x80000000, v40
	v_lshl_add_u32 v38, v38, 23, v45
	v_or3_b32 v53, v40, v38, v42
.LBB636_403:                            ;   in Loop: Header=BB636_213 Depth=1
	s_or_b64 exec, exec, s[16:17]
.LBB636_404:                            ;   in Loop: Header=BB636_213 Depth=1
	s_or_b64 exec, exec, s[14:15]
.LBB636_405:                            ;   in Loop: Header=BB636_213 Depth=1
	s_or_b64 exec, exec, s[12:13]
	v_cvt_pkrtz_f16_f32 v65, v44, v50
	buffer_load_dword v44, v62, s[0:3], 0 offen
	buffer_load_dword v42, v62, s[0:3], 0 offen offset:4
	buffer_load_dword v40, v62, s[0:3], 0 offen offset:8
	;; [unrolled: 1-line block ×3, first 2 shown]
	v_cvt_pkrtz_f16_f32 v64, v46, v48
	v_cvt_pkrtz_f16_f32 v48, v49, v52
	;; [unrolled: 1-line block ×3, first 2 shown]
	v_mfma_f32_16x16x16f16 v[34:37], v[64:65], v[14:15], v[34:37]
	s_waitcnt vmcnt(3)
	v_cmp_ne_u16_sdwa s[14:15], v44, v43 src0_sel:BYTE_0 src1_sel:DWORD
	v_mfma_f32_16x16x16f16 v[34:37], v[48:49], v[16:17], v[34:37]
	s_and_saveexec_b64 s[12:13], s[14:15]
	s_cbranch_execz .LBB636_411
; %bb.406:                              ;   in Loop: Header=BB636_213 Depth=1
	v_cmp_ne_u16_sdwa s[16:17], v44, s9 src0_sel:BYTE_0 src1_sel:DWORD
	v_bfrev_b32_e32 v47, 1
	s_and_saveexec_b64 s[14:15], s[16:17]
	s_cbranch_execz .LBB636_410
; %bb.407:                              ;   in Loop: Header=BB636_213 Depth=1
	v_and_b32_e32 v46, 0x7f, v44
	v_cmp_ne_u32_e32 vcc, s19, v46
	v_mov_b32_e32 v47, 0x7f800001
	s_and_saveexec_b64 s[16:17], vcc
	s_cbranch_execz .LBB636_409
; %bb.408:                              ;   in Loop: Header=BB636_213 Depth=1
	v_and_b32_e32 v47, 7, v44
	v_ffbh_u32_e32 v48, v47
	v_min_u32_e32 v51, 32, v48
	v_subrev_u32_e32 v48, 28, v51
	v_lshlrev_b64 v[48:49], v48, v[44:45]
	v_lshrrev_b32_e32 v50, 3, v46
	v_sub_u32_e32 v49, 29, v51
	v_and_b32_e32 v48, 7, v48
	v_cmp_gt_u32_e32 vcc, 8, v46
	v_cndmask_b32_e32 v46, v50, v49, vcc
	v_cndmask_b32_e32 v47, v47, v48, vcc
	v_lshlrev_b32_e32 v48, 24, v44
	v_lshlrev_b32_e32 v47, 20, v47
	v_and_b32_e32 v48, 0x80000000, v48
	v_lshl_add_u32 v46, v46, 23, v45
	v_or3_b32 v47, v48, v46, v47
.LBB636_409:                            ;   in Loop: Header=BB636_213 Depth=1
	s_or_b64 exec, exec, s[16:17]
.LBB636_410:                            ;   in Loop: Header=BB636_213 Depth=1
	s_or_b64 exec, exec, s[14:15]
.LBB636_411:                            ;   in Loop: Header=BB636_213 Depth=1
	s_or_b64 exec, exec, s[12:13]
	v_lshrrev_b16_e32 v46, 8, v44
	v_cmp_ne_u16_e32 vcc, 0, v46
	v_mov_b32_e32 v48, 0
	v_mov_b32_e32 v49, 0
	s_and_saveexec_b64 s[12:13], vcc
	s_cbranch_execz .LBB636_417
; %bb.412:                              ;   in Loop: Header=BB636_213 Depth=1
	v_cmp_ne_u16_e32 vcc, s9, v46
	v_bfrev_b32_e32 v49, 1
	s_and_saveexec_b64 s[14:15], vcc
	s_cbranch_execz .LBB636_416
; %bb.413:                              ;   in Loop: Header=BB636_213 Depth=1
	v_and_b32_e32 v50, 0x7f, v46
	v_cmp_ne_u32_e32 vcc, s19, v50
	v_mov_b32_e32 v49, 0x7f800001
	s_and_saveexec_b64 s[16:17], vcc
	s_cbranch_execz .LBB636_415
; %bb.414:                              ;   in Loop: Header=BB636_213 Depth=1
	v_and_b32_e32 v49, 7, v46
	v_ffbh_u32_e32 v52, v49
	v_min_u32_e32 v62, 32, v52
	v_subrev_u32_e32 v52, 28, v62
	v_lshlrev_b64 v[52:53], v52, v[46:47]
	v_lshrrev_b32_e32 v51, 3, v50
	v_sub_u32_e32 v46, 29, v62
	v_and_b32_e32 v52, 7, v52
	v_cmp_gt_u32_e32 vcc, 8, v50
	v_cndmask_b32_e32 v46, v51, v46, vcc
	v_cndmask_b32_e32 v49, v49, v52, vcc
	v_lshlrev_b32_e32 v50, 16, v44
	v_lshlrev_b32_e32 v49, 20, v49
	v_and_b32_e32 v50, 0x80000000, v50
	v_lshl_add_u32 v46, v46, 23, v45
	v_or3_b32 v49, v50, v46, v49
.LBB636_415:                            ;   in Loop: Header=BB636_213 Depth=1
	s_or_b64 exec, exec, s[16:17]
.LBB636_416:                            ;   in Loop: Header=BB636_213 Depth=1
	s_or_b64 exec, exec, s[14:15]
.LBB636_417:                            ;   in Loop: Header=BB636_213 Depth=1
	s_or_b64 exec, exec, s[12:13]
	v_lshrrev_b32_e32 v46, 16, v44
	v_cmp_ne_u16_sdwa s[14:15], v46, v43 src0_sel:BYTE_0 src1_sel:DWORD
	s_and_saveexec_b64 s[12:13], s[14:15]
	s_cbranch_execz .LBB636_423
; %bb.418:                              ;   in Loop: Header=BB636_213 Depth=1
	v_cmp_ne_u16_sdwa s[16:17], v46, s9 src0_sel:BYTE_0 src1_sel:DWORD
	v_bfrev_b32_e32 v48, 1
	s_and_saveexec_b64 s[14:15], s[16:17]
	s_cbranch_execz .LBB636_422
; %bb.419:                              ;   in Loop: Header=BB636_213 Depth=1
	v_bfe_u32 v50, v44, 16, 7
	v_cmp_ne_u32_e32 vcc, s19, v50
	v_mov_b32_e32 v48, 0x7f800001
	s_and_saveexec_b64 s[16:17], vcc
	s_cbranch_execz .LBB636_421
; %bb.420:                              ;   in Loop: Header=BB636_213 Depth=1
	v_and_b32_e32 v48, 7, v46
	v_ffbh_u32_e32 v52, v48
	v_min_u32_e32 v62, 32, v52
	v_subrev_u32_e32 v52, 28, v62
	v_lshlrev_b64 v[52:53], v52, v[46:47]
	v_lshrrev_b32_e32 v51, 3, v50
	v_sub_u32_e32 v53, 29, v62
	v_and_b32_e32 v52, 7, v52
	v_cmp_gt_u32_e32 vcc, 8, v50
	v_cndmask_b32_e32 v50, v51, v53, vcc
	v_cndmask_b32_e32 v48, v48, v52, vcc
	v_lshlrev_b32_e32 v46, 24, v46
	v_lshlrev_b32_e32 v48, 20, v48
	v_and_b32_e32 v46, 0x80000000, v46
	v_lshl_add_u32 v50, v50, 23, v45
	v_or3_b32 v48, v46, v50, v48
.LBB636_421:                            ;   in Loop: Header=BB636_213 Depth=1
	s_or_b64 exec, exec, s[16:17]
.LBB636_422:                            ;   in Loop: Header=BB636_213 Depth=1
	s_or_b64 exec, exec, s[14:15]
.LBB636_423:                            ;   in Loop: Header=BB636_213 Depth=1
	s_or_b64 exec, exec, s[12:13]
	v_cmp_lt_u32_e32 vcc, s20, v44
	v_mov_b32_e32 v50, 0
	v_mov_b32_e32 v51, 0
	s_and_saveexec_b64 s[12:13], vcc
	s_cbranch_execz .LBB636_429
; %bb.424:                              ;   in Loop: Header=BB636_213 Depth=1
	v_lshrrev_b32_e32 v46, 24, v44
	v_cmp_ne_u32_e32 vcc, s9, v46
	v_bfrev_b32_e32 v51, 1
	s_and_saveexec_b64 s[14:15], vcc
	s_cbranch_execz .LBB636_428
; %bb.425:                              ;   in Loop: Header=BB636_213 Depth=1
	v_bfe_u32 v44, v44, 24, 7
	v_cmp_ne_u32_e32 vcc, s19, v44
	v_mov_b32_e32 v51, 0x7f800001
	s_and_saveexec_b64 s[16:17], vcc
	s_cbranch_execz .LBB636_427
; %bb.426:                              ;   in Loop: Header=BB636_213 Depth=1
	v_and_b32_e32 v51, 7, v46
	v_ffbh_u32_e32 v52, v51
	v_min_u32_e32 v63, 32, v52
	v_subrev_u32_e32 v52, 28, v63
	v_lshlrev_b64 v[52:53], v52, v[46:47]
	v_lshrrev_b32_e32 v62, 3, v44
	v_sub_u32_e32 v53, 29, v63
	v_and_b32_e32 v52, 7, v52
	v_cmp_gt_u32_e32 vcc, 8, v44
	v_cndmask_b32_e32 v44, v62, v53, vcc
	v_cndmask_b32_e32 v51, v51, v52, vcc
	v_lshlrev_b32_e32 v46, 24, v46
	v_lshlrev_b32_e32 v51, 20, v51
	v_and_b32_e32 v46, 0x80000000, v46
	v_lshl_add_u32 v44, v44, 23, v45
	v_or3_b32 v51, v46, v44, v51
.LBB636_427:                            ;   in Loop: Header=BB636_213 Depth=1
	s_or_b64 exec, exec, s[16:17]
.LBB636_428:                            ;   in Loop: Header=BB636_213 Depth=1
	s_or_b64 exec, exec, s[14:15]
.LBB636_429:                            ;   in Loop: Header=BB636_213 Depth=1
	s_or_b64 exec, exec, s[12:13]
	s_waitcnt vmcnt(2)
	v_cmp_ne_u16_sdwa s[14:15], v42, v43 src0_sel:BYTE_0 src1_sel:DWORD
	s_and_saveexec_b64 s[12:13], s[14:15]
	s_cbranch_execz .LBB636_435
; %bb.430:                              ;   in Loop: Header=BB636_213 Depth=1
	v_cmp_ne_u16_sdwa s[16:17], v42, s9 src0_sel:BYTE_0 src1_sel:DWORD
	v_bfrev_b32_e32 v50, 1
	s_and_saveexec_b64 s[14:15], s[16:17]
	s_cbranch_execz .LBB636_434
; %bb.431:                              ;   in Loop: Header=BB636_213 Depth=1
	v_and_b32_e32 v44, 0x7f, v42
	v_cmp_ne_u32_e32 vcc, s19, v44
	v_mov_b32_e32 v50, 0x7f800001
	s_and_saveexec_b64 s[16:17], vcc
	s_cbranch_execz .LBB636_433
; %bb.432:                              ;   in Loop: Header=BB636_213 Depth=1
	v_and_b32_e32 v46, 7, v42
	v_ffbh_u32_e32 v52, v46
	v_min_u32_e32 v62, 32, v52
	v_subrev_u32_e32 v52, 28, v62
	v_lshlrev_b64 v[52:53], v52, v[42:43]
	v_lshrrev_b32_e32 v50, 3, v44
	v_sub_u32_e32 v53, 29, v62
	v_and_b32_e32 v52, 7, v52
	v_cmp_gt_u32_e32 vcc, 8, v44
	v_cndmask_b32_e32 v44, v50, v53, vcc
	v_cndmask_b32_e32 v46, v46, v52, vcc
	v_lshlrev_b32_e32 v50, 24, v42
	v_lshlrev_b32_e32 v46, 20, v46
	v_and_b32_e32 v50, 0x80000000, v50
	v_lshl_add_u32 v44, v44, 23, v45
	v_or3_b32 v50, v50, v44, v46
.LBB636_433:                            ;   in Loop: Header=BB636_213 Depth=1
	s_or_b64 exec, exec, s[16:17]
.LBB636_434:                            ;   in Loop: Header=BB636_213 Depth=1
	s_or_b64 exec, exec, s[14:15]
.LBB636_435:                            ;   in Loop: Header=BB636_213 Depth=1
	s_or_b64 exec, exec, s[12:13]
	v_lshrrev_b16_e32 v44, 8, v42
	v_cmp_ne_u16_e32 vcc, 0, v44
	v_mov_b32_e32 v52, 0
	v_mov_b32_e32 v53, 0
	s_and_saveexec_b64 s[12:13], vcc
	s_cbranch_execz .LBB636_441
; %bb.436:                              ;   in Loop: Header=BB636_213 Depth=1
	v_cmp_ne_u16_e32 vcc, s9, v44
	v_bfrev_b32_e32 v53, 1
	s_and_saveexec_b64 s[14:15], vcc
	s_cbranch_execz .LBB636_440
; %bb.437:                              ;   in Loop: Header=BB636_213 Depth=1
	v_and_b32_e32 v46, 0x7f, v44
	v_cmp_ne_u32_e32 vcc, s19, v46
	v_mov_b32_e32 v53, 0x7f800001
	s_and_saveexec_b64 s[16:17], vcc
	s_cbranch_execz .LBB636_439
; %bb.438:                              ;   in Loop: Header=BB636_213 Depth=1
	v_and_b32_e32 v53, 7, v44
	v_ffbh_u32_e32 v62, v53
	v_min_u32_e32 v65, 32, v62
	v_subrev_u32_e32 v62, 28, v65
	v_lshlrev_b64 v[62:63], v62, v[44:45]
	v_lshrrev_b32_e32 v64, 3, v46
	v_sub_u32_e32 v44, 29, v65
	v_and_b32_e32 v62, 7, v62
	v_cmp_gt_u32_e32 vcc, 8, v46
	v_cndmask_b32_e32 v44, v64, v44, vcc
	v_cndmask_b32_e32 v46, v53, v62, vcc
	v_lshlrev_b32_e32 v53, 16, v42
	v_lshlrev_b32_e32 v46, 20, v46
	v_and_b32_e32 v53, 0x80000000, v53
	v_lshl_add_u32 v44, v44, 23, v45
	v_or3_b32 v53, v53, v44, v46
.LBB636_439:                            ;   in Loop: Header=BB636_213 Depth=1
	s_or_b64 exec, exec, s[16:17]
.LBB636_440:                            ;   in Loop: Header=BB636_213 Depth=1
	s_or_b64 exec, exec, s[14:15]
.LBB636_441:                            ;   in Loop: Header=BB636_213 Depth=1
	s_or_b64 exec, exec, s[12:13]
	v_lshrrev_b32_e32 v44, 16, v42
	v_cmp_ne_u16_sdwa s[14:15], v44, v43 src0_sel:BYTE_0 src1_sel:DWORD
	s_and_saveexec_b64 s[12:13], s[14:15]
	s_cbranch_execz .LBB636_447
; %bb.442:                              ;   in Loop: Header=BB636_213 Depth=1
	v_cmp_ne_u16_sdwa s[16:17], v44, s9 src0_sel:BYTE_0 src1_sel:DWORD
	v_bfrev_b32_e32 v52, 1
	s_and_saveexec_b64 s[14:15], s[16:17]
	s_cbranch_execz .LBB636_446
; %bb.443:                              ;   in Loop: Header=BB636_213 Depth=1
	v_bfe_u32 v46, v42, 16, 7
	v_cmp_ne_u32_e32 vcc, s19, v46
	v_mov_b32_e32 v52, 0x7f800001
	s_and_saveexec_b64 s[16:17], vcc
	s_cbranch_execz .LBB636_445
; %bb.444:                              ;   in Loop: Header=BB636_213 Depth=1
	v_and_b32_e32 v52, 7, v44
	v_ffbh_u32_e32 v62, v52
	v_min_u32_e32 v65, 32, v62
	v_subrev_u32_e32 v62, 28, v65
	v_lshlrev_b64 v[62:63], v62, v[44:45]
	v_lshrrev_b32_e32 v64, 3, v46
	v_sub_u32_e32 v63, 29, v65
	v_and_b32_e32 v62, 7, v62
	v_cmp_gt_u32_e32 vcc, 8, v46
	v_cndmask_b32_e32 v46, v64, v63, vcc
	v_cndmask_b32_e32 v52, v52, v62, vcc
	v_lshlrev_b32_e32 v44, 24, v44
	v_lshlrev_b32_e32 v52, 20, v52
	v_and_b32_e32 v44, 0x80000000, v44
	v_lshl_add_u32 v46, v46, 23, v45
	v_or3_b32 v52, v44, v46, v52
.LBB636_445:                            ;   in Loop: Header=BB636_213 Depth=1
	s_or_b64 exec, exec, s[16:17]
.LBB636_446:                            ;   in Loop: Header=BB636_213 Depth=1
	s_or_b64 exec, exec, s[14:15]
.LBB636_447:                            ;   in Loop: Header=BB636_213 Depth=1
	s_or_b64 exec, exec, s[12:13]
	v_cmp_lt_u32_e32 vcc, s20, v42
	v_mov_b32_e32 v46, 0
	v_mov_b32_e32 v62, 0
	s_and_saveexec_b64 s[12:13], vcc
	s_cbranch_execz .LBB636_453
; %bb.448:                              ;   in Loop: Header=BB636_213 Depth=1
	v_lshrrev_b32_e32 v44, 24, v42
	v_cmp_ne_u32_e32 vcc, s9, v44
	v_bfrev_b32_e32 v62, 1
	s_and_saveexec_b64 s[14:15], vcc
	s_cbranch_execz .LBB636_452
; %bb.449:                              ;   in Loop: Header=BB636_213 Depth=1
	v_bfe_u32 v42, v42, 24, 7
	v_cmp_ne_u32_e32 vcc, s19, v42
	v_mov_b32_e32 v62, 0x7f800001
	s_and_saveexec_b64 s[16:17], vcc
	s_cbranch_execz .LBB636_451
; %bb.450:                              ;   in Loop: Header=BB636_213 Depth=1
	v_and_b32_e32 v64, 7, v44
	v_ffbh_u32_e32 v62, v64
	v_min_u32_e32 v66, 32, v62
	v_subrev_u32_e32 v62, 28, v66
	v_lshlrev_b64 v[62:63], v62, v[44:45]
	v_lshrrev_b32_e32 v65, 3, v42
	v_sub_u32_e32 v63, 29, v66
	v_and_b32_e32 v62, 7, v62
	v_cmp_gt_u32_e32 vcc, 8, v42
	v_cndmask_b32_e32 v42, v65, v63, vcc
	v_cndmask_b32_e32 v62, v64, v62, vcc
	v_lshlrev_b32_e32 v44, 24, v44
	v_lshlrev_b32_e32 v62, 20, v62
	v_and_b32_e32 v44, 0x80000000, v44
	v_lshl_add_u32 v42, v42, 23, v45
	v_or3_b32 v62, v44, v42, v62
.LBB636_451:                            ;   in Loop: Header=BB636_213 Depth=1
	s_or_b64 exec, exec, s[16:17]
.LBB636_452:                            ;   in Loop: Header=BB636_213 Depth=1
	s_or_b64 exec, exec, s[14:15]
.LBB636_453:                            ;   in Loop: Header=BB636_213 Depth=1
	s_or_b64 exec, exec, s[12:13]
	v_cvt_pkrtz_f16_f32 v64, v47, v49
	v_cvt_pkrtz_f16_f32 v65, v48, v51
	;; [unrolled: 1-line block ×4, first 2 shown]
	s_waitcnt vmcnt(1)
	v_cmp_ne_u16_sdwa s[14:15], v40, v43 src0_sel:BYTE_0 src1_sel:DWORD
	v_mfma_f32_16x16x16f16 v[34:37], v[64:65], v[18:19], v[34:37]
	v_mfma_f32_16x16x16f16 v[34:37], v[48:49], v[20:21], v[34:37]
	s_and_saveexec_b64 s[12:13], s[14:15]
	s_cbranch_execz .LBB636_459
; %bb.454:                              ;   in Loop: Header=BB636_213 Depth=1
	v_cmp_ne_u16_sdwa s[16:17], v40, s9 src0_sel:BYTE_0 src1_sel:DWORD
	v_bfrev_b32_e32 v46, 1
	s_and_saveexec_b64 s[14:15], s[16:17]
	s_cbranch_execz .LBB636_458
; %bb.455:                              ;   in Loop: Header=BB636_213 Depth=1
	v_and_b32_e32 v42, 0x7f, v40
	v_cmp_ne_u32_e32 vcc, s19, v42
	v_mov_b32_e32 v46, 0x7f800001
	s_and_saveexec_b64 s[16:17], vcc
	s_cbranch_execz .LBB636_457
; %bb.456:                              ;   in Loop: Header=BB636_213 Depth=1
	v_and_b32_e32 v44, 7, v40
	v_ffbh_u32_e32 v46, v44
	v_min_u32_e32 v49, 32, v46
	v_subrev_u32_e32 v46, 28, v49
	v_lshlrev_b64 v[46:47], v46, v[40:41]
	v_lshrrev_b32_e32 v48, 3, v42
	v_sub_u32_e32 v47, 29, v49
	v_and_b32_e32 v46, 7, v46
	v_cmp_gt_u32_e32 vcc, 8, v42
	v_cndmask_b32_e32 v42, v48, v47, vcc
	v_cndmask_b32_e32 v44, v44, v46, vcc
	v_lshlrev_b32_e32 v46, 24, v40
	v_lshlrev_b32_e32 v44, 20, v44
	v_and_b32_e32 v46, 0x80000000, v46
	v_lshl_add_u32 v42, v42, 23, v45
	v_or3_b32 v46, v46, v42, v44
.LBB636_457:                            ;   in Loop: Header=BB636_213 Depth=1
	s_or_b64 exec, exec, s[16:17]
.LBB636_458:                            ;   in Loop: Header=BB636_213 Depth=1
	s_or_b64 exec, exec, s[14:15]
.LBB636_459:                            ;   in Loop: Header=BB636_213 Depth=1
	s_or_b64 exec, exec, s[12:13]
	v_lshrrev_b16_e32 v42, 8, v40
	v_cmp_ne_u16_e32 vcc, 0, v42
	v_mov_b32_e32 v44, 0
	v_mov_b32_e32 v48, 0
	s_and_saveexec_b64 s[12:13], vcc
	s_cbranch_execz .LBB636_465
; %bb.460:                              ;   in Loop: Header=BB636_213 Depth=1
	v_cmp_ne_u16_e32 vcc, s9, v42
	v_bfrev_b32_e32 v48, 1
	s_and_saveexec_b64 s[14:15], vcc
	s_cbranch_execz .LBB636_464
; %bb.461:                              ;   in Loop: Header=BB636_213 Depth=1
	v_and_b32_e32 v47, 0x7f, v42
	v_cmp_ne_u32_e32 vcc, s19, v47
	v_mov_b32_e32 v48, 0x7f800001
	s_and_saveexec_b64 s[16:17], vcc
	s_cbranch_execz .LBB636_463
; %bb.462:                              ;   in Loop: Header=BB636_213 Depth=1
	v_and_b32_e32 v50, 7, v42
	v_ffbh_u32_e32 v48, v50
	v_min_u32_e32 v52, 32, v48
	v_subrev_u32_e32 v48, 28, v52
	v_lshlrev_b64 v[48:49], v48, v[42:43]
	v_lshrrev_b32_e32 v51, 3, v47
	v_sub_u32_e32 v42, 29, v52
	v_and_b32_e32 v48, 7, v48
	v_cmp_gt_u32_e32 vcc, 8, v47
	v_cndmask_b32_e32 v42, v51, v42, vcc
	v_cndmask_b32_e32 v47, v50, v48, vcc
	v_lshlrev_b32_e32 v48, 16, v40
	v_lshlrev_b32_e32 v47, 20, v47
	v_and_b32_e32 v48, 0x80000000, v48
	v_lshl_add_u32 v42, v42, 23, v45
	v_or3_b32 v48, v48, v42, v47
.LBB636_463:                            ;   in Loop: Header=BB636_213 Depth=1
	s_or_b64 exec, exec, s[16:17]
.LBB636_464:                            ;   in Loop: Header=BB636_213 Depth=1
	s_or_b64 exec, exec, s[14:15]
.LBB636_465:                            ;   in Loop: Header=BB636_213 Depth=1
	s_or_b64 exec, exec, s[12:13]
	v_lshrrev_b32_e32 v42, 16, v40
	v_cmp_ne_u16_sdwa s[14:15], v42, v43 src0_sel:BYTE_0 src1_sel:DWORD
	s_and_saveexec_b64 s[12:13], s[14:15]
	s_cbranch_execz .LBB636_471
; %bb.466:                              ;   in Loop: Header=BB636_213 Depth=1
	v_cmp_ne_u16_sdwa s[16:17], v42, s9 src0_sel:BYTE_0 src1_sel:DWORD
	v_bfrev_b32_e32 v44, 1
	s_and_saveexec_b64 s[14:15], s[16:17]
	s_cbranch_execz .LBB636_470
; %bb.467:                              ;   in Loop: Header=BB636_213 Depth=1
	v_bfe_u32 v47, v40, 16, 7
	v_cmp_ne_u32_e32 vcc, s19, v47
	v_mov_b32_e32 v44, 0x7f800001
	s_and_saveexec_b64 s[16:17], vcc
	s_cbranch_execz .LBB636_469
; %bb.468:                              ;   in Loop: Header=BB636_213 Depth=1
	v_and_b32_e32 v44, 7, v42
	v_ffbh_u32_e32 v50, v44
	v_min_u32_e32 v52, 32, v50
	v_subrev_u32_e32 v50, 28, v52
	v_lshlrev_b64 v[50:51], v50, v[42:43]
	v_lshrrev_b32_e32 v49, 3, v47
	v_sub_u32_e32 v51, 29, v52
	v_and_b32_e32 v50, 7, v50
	v_cmp_gt_u32_e32 vcc, 8, v47
	v_cndmask_b32_e32 v47, v49, v51, vcc
	v_cndmask_b32_e32 v44, v44, v50, vcc
	v_lshlrev_b32_e32 v42, 24, v42
	v_lshlrev_b32_e32 v44, 20, v44
	v_and_b32_e32 v42, 0x80000000, v42
	v_lshl_add_u32 v47, v47, 23, v45
	v_or3_b32 v44, v42, v47, v44
.LBB636_469:                            ;   in Loop: Header=BB636_213 Depth=1
	s_or_b64 exec, exec, s[16:17]
.LBB636_470:                            ;   in Loop: Header=BB636_213 Depth=1
	s_or_b64 exec, exec, s[14:15]
.LBB636_471:                            ;   in Loop: Header=BB636_213 Depth=1
	s_or_b64 exec, exec, s[12:13]
	v_cmp_lt_u32_e32 vcc, s20, v40
	v_mov_b32_e32 v49, 0
	v_mov_b32_e32 v50, 0
	s_and_saveexec_b64 s[12:13], vcc
	s_cbranch_execz .LBB636_477
; %bb.472:                              ;   in Loop: Header=BB636_213 Depth=1
	v_lshrrev_b32_e32 v42, 24, v40
	v_cmp_ne_u32_e32 vcc, s9, v42
	v_bfrev_b32_e32 v50, 1
	s_and_saveexec_b64 s[14:15], vcc
	s_cbranch_execz .LBB636_476
; %bb.473:                              ;   in Loop: Header=BB636_213 Depth=1
	v_bfe_u32 v40, v40, 24, 7
	v_cmp_ne_u32_e32 vcc, s19, v40
	v_mov_b32_e32 v50, 0x7f800001
	s_and_saveexec_b64 s[16:17], vcc
	s_cbranch_execz .LBB636_475
; %bb.474:                              ;   in Loop: Header=BB636_213 Depth=1
	v_and_b32_e32 v47, 7, v42
	v_ffbh_u32_e32 v50, v47
	v_min_u32_e32 v53, 32, v50
	v_subrev_u32_e32 v50, 28, v53
	v_lshlrev_b64 v[50:51], v50, v[42:43]
	v_lshrrev_b32_e32 v52, 3, v40
	v_sub_u32_e32 v51, 29, v53
	v_and_b32_e32 v50, 7, v50
	v_cmp_gt_u32_e32 vcc, 8, v40
	v_cndmask_b32_e32 v40, v52, v51, vcc
	v_cndmask_b32_e32 v47, v47, v50, vcc
	v_lshlrev_b32_e32 v42, 24, v42
	v_lshlrev_b32_e32 v47, 20, v47
	v_and_b32_e32 v42, 0x80000000, v42
	v_lshl_add_u32 v40, v40, 23, v45
	v_or3_b32 v50, v42, v40, v47
.LBB636_475:                            ;   in Loop: Header=BB636_213 Depth=1
	s_or_b64 exec, exec, s[16:17]
.LBB636_476:                            ;   in Loop: Header=BB636_213 Depth=1
	s_or_b64 exec, exec, s[14:15]
.LBB636_477:                            ;   in Loop: Header=BB636_213 Depth=1
	s_or_b64 exec, exec, s[12:13]
	s_waitcnt vmcnt(0)
	v_cmp_ne_u16_sdwa s[14:15], v38, v43 src0_sel:BYTE_0 src1_sel:DWORD
	s_and_saveexec_b64 s[12:13], s[14:15]
	s_cbranch_execz .LBB636_483
; %bb.478:                              ;   in Loop: Header=BB636_213 Depth=1
	v_cmp_ne_u16_sdwa s[16:17], v38, s9 src0_sel:BYTE_0 src1_sel:DWORD
	v_bfrev_b32_e32 v49, 1
	s_and_saveexec_b64 s[14:15], s[16:17]
	s_cbranch_execz .LBB636_482
; %bb.479:                              ;   in Loop: Header=BB636_213 Depth=1
	v_and_b32_e32 v40, 0x7f, v38
	v_cmp_ne_u32_e32 vcc, s19, v40
	v_mov_b32_e32 v49, 0x7f800001
	s_and_saveexec_b64 s[16:17], vcc
	s_cbranch_execz .LBB636_481
; %bb.480:                              ;   in Loop: Header=BB636_213 Depth=1
	v_and_b32_e32 v42, 7, v38
	v_ffbh_u32_e32 v49, v42
	v_min_u32_e32 v49, 32, v49
	v_subrev_u32_e32 v51, 28, v49
	v_lshlrev_b64 v[52:53], v51, v[38:39]
	v_lshrrev_b32_e32 v47, 3, v40
	v_sub_u32_e32 v49, 29, v49
	v_and_b32_e32 v51, 7, v52
	v_cmp_gt_u32_e32 vcc, 8, v40
	v_cndmask_b32_e32 v40, v47, v49, vcc
	v_cndmask_b32_e32 v42, v42, v51, vcc
	v_lshlrev_b32_e32 v47, 24, v38
	v_lshlrev_b32_e32 v42, 20, v42
	v_and_b32_e32 v47, 0x80000000, v47
	v_lshl_add_u32 v40, v40, 23, v45
	v_or3_b32 v49, v47, v40, v42
.LBB636_481:                            ;   in Loop: Header=BB636_213 Depth=1
	s_or_b64 exec, exec, s[16:17]
.LBB636_482:                            ;   in Loop: Header=BB636_213 Depth=1
	s_or_b64 exec, exec, s[14:15]
.LBB636_483:                            ;   in Loop: Header=BB636_213 Depth=1
	s_or_b64 exec, exec, s[12:13]
	v_lshrrev_b16_e32 v40, 8, v38
	v_cmp_ne_u16_e32 vcc, 0, v40
	v_mov_b32_e32 v51, 0
	v_mov_b32_e32 v52, 0
	s_and_saveexec_b64 s[12:13], vcc
	s_cbranch_execz .LBB636_489
; %bb.484:                              ;   in Loop: Header=BB636_213 Depth=1
	v_cmp_ne_u16_e32 vcc, s9, v40
	v_bfrev_b32_e32 v52, 1
	s_and_saveexec_b64 s[14:15], vcc
	s_cbranch_execz .LBB636_488
; %bb.485:                              ;   in Loop: Header=BB636_213 Depth=1
	v_and_b32_e32 v42, 0x7f, v40
	v_cmp_ne_u32_e32 vcc, s19, v42
	v_mov_b32_e32 v52, 0x7f800001
	s_and_saveexec_b64 s[16:17], vcc
	s_cbranch_execz .LBB636_487
; %bb.486:                              ;   in Loop: Header=BB636_213 Depth=1
	v_and_b32_e32 v47, 7, v40
	v_ffbh_u32_e32 v52, v47
	v_min_u32_e32 v63, 32, v52
	v_subrev_u32_e32 v52, 28, v63
	v_lshlrev_b64 v[52:53], v52, v[40:41]
	v_lshrrev_b32_e32 v62, 3, v42
	v_sub_u32_e32 v40, 29, v63
	v_and_b32_e32 v52, 7, v52
	v_cmp_gt_u32_e32 vcc, 8, v42
	v_cndmask_b32_e32 v40, v62, v40, vcc
	v_cndmask_b32_e32 v42, v47, v52, vcc
	v_lshlrev_b32_e32 v47, 16, v38
	v_lshlrev_b32_e32 v42, 20, v42
	v_and_b32_e32 v47, 0x80000000, v47
	v_lshl_add_u32 v40, v40, 23, v45
	v_or3_b32 v52, v47, v40, v42
.LBB636_487:                            ;   in Loop: Header=BB636_213 Depth=1
	s_or_b64 exec, exec, s[16:17]
.LBB636_488:                            ;   in Loop: Header=BB636_213 Depth=1
	s_or_b64 exec, exec, s[14:15]
.LBB636_489:                            ;   in Loop: Header=BB636_213 Depth=1
	s_or_b64 exec, exec, s[12:13]
	v_lshrrev_b32_e32 v40, 16, v38
	v_cmp_ne_u16_sdwa s[14:15], v40, v43 src0_sel:BYTE_0 src1_sel:DWORD
	s_and_saveexec_b64 s[12:13], s[14:15]
	s_cbranch_execz .LBB636_495
; %bb.490:                              ;   in Loop: Header=BB636_213 Depth=1
	v_cmp_ne_u16_sdwa s[16:17], v40, s9 src0_sel:BYTE_0 src1_sel:DWORD
	v_bfrev_b32_e32 v51, 1
	s_and_saveexec_b64 s[14:15], s[16:17]
	s_cbranch_execz .LBB636_494
; %bb.491:                              ;   in Loop: Header=BB636_213 Depth=1
	v_bfe_u32 v42, v38, 16, 7
	v_cmp_ne_u32_e32 vcc, s19, v42
	v_mov_b32_e32 v51, 0x7f800001
	s_and_saveexec_b64 s[16:17], vcc
	s_cbranch_execz .LBB636_493
; %bb.492:                              ;   in Loop: Header=BB636_213 Depth=1
	v_and_b32_e32 v47, 7, v40
	v_ffbh_u32_e32 v53, v47
	v_min_u32_e32 v53, 32, v53
	v_subrev_u32_e32 v62, 28, v53
	v_lshlrev_b64 v[62:63], v62, v[40:41]
	v_lshrrev_b32_e32 v51, 3, v42
	v_sub_u32_e32 v53, 29, v53
	v_and_b32_e32 v62, 7, v62
	v_cmp_gt_u32_e32 vcc, 8, v42
	v_cndmask_b32_e32 v42, v51, v53, vcc
	v_cndmask_b32_e32 v47, v47, v62, vcc
	v_lshlrev_b32_e32 v40, 24, v40
	v_lshlrev_b32_e32 v47, 20, v47
	v_and_b32_e32 v40, 0x80000000, v40
	v_lshl_add_u32 v42, v42, 23, v45
	v_or3_b32 v51, v40, v42, v47
.LBB636_493:                            ;   in Loop: Header=BB636_213 Depth=1
	s_or_b64 exec, exec, s[16:17]
.LBB636_494:                            ;   in Loop: Header=BB636_213 Depth=1
	s_or_b64 exec, exec, s[14:15]
.LBB636_495:                            ;   in Loop: Header=BB636_213 Depth=1
	s_or_b64 exec, exec, s[12:13]
	v_cmp_lt_u32_e32 vcc, s20, v38
	v_mov_b32_e32 v47, 0
	v_mov_b32_e32 v53, 0
	s_and_saveexec_b64 s[12:13], vcc
	s_cbranch_execz .LBB636_501
; %bb.496:                              ;   in Loop: Header=BB636_213 Depth=1
	v_lshrrev_b32_e32 v40, 24, v38
	v_cmp_ne_u32_e32 vcc, s9, v40
	v_bfrev_b32_e32 v53, 1
	s_and_saveexec_b64 s[14:15], vcc
	s_cbranch_execz .LBB636_500
; %bb.497:                              ;   in Loop: Header=BB636_213 Depth=1
	v_bfe_u32 v38, v38, 24, 7
	v_cmp_ne_u32_e32 vcc, s19, v38
	v_mov_b32_e32 v53, 0x7f800001
	s_and_saveexec_b64 s[16:17], vcc
	s_cbranch_execz .LBB636_499
; %bb.498:                              ;   in Loop: Header=BB636_213 Depth=1
	v_and_b32_e32 v42, 7, v40
	v_ffbh_u32_e32 v62, v42
	v_min_u32_e32 v64, 32, v62
	v_subrev_u32_e32 v62, 28, v64
	v_lshlrev_b64 v[62:63], v62, v[40:41]
	v_lshrrev_b32_e32 v53, 3, v38
	v_sub_u32_e32 v63, 29, v64
	v_and_b32_e32 v62, 7, v62
	v_cmp_gt_u32_e32 vcc, 8, v38
	v_cndmask_b32_e32 v38, v53, v63, vcc
	v_cndmask_b32_e32 v42, v42, v62, vcc
	v_lshlrev_b32_e32 v40, 24, v40
	v_lshlrev_b32_e32 v42, 20, v42
	v_and_b32_e32 v40, 0x80000000, v40
	v_lshl_add_u32 v38, v38, 23, v45
	v_or3_b32 v53, v40, v38, v42
.LBB636_499:                            ;   in Loop: Header=BB636_213 Depth=1
	s_or_b64 exec, exec, s[16:17]
.LBB636_500:                            ;   in Loop: Header=BB636_213 Depth=1
	s_or_b64 exec, exec, s[14:15]
.LBB636_501:                            ;   in Loop: Header=BB636_213 Depth=1
	s_or_b64 exec, exec, s[12:13]
	v_cvt_pkrtz_f16_f32 v63, v44, v50
	buffer_load_dword v44, v61, s[0:3], 0 offen
	buffer_load_dword v42, v61, s[0:3], 0 offen offset:4
	buffer_load_dword v40, v61, s[0:3], 0 offen offset:8
	;; [unrolled: 1-line block ×3, first 2 shown]
	v_cvt_pkrtz_f16_f32 v62, v46, v48
	v_cvt_pkrtz_f16_f32 v48, v49, v52
	;; [unrolled: 1-line block ×3, first 2 shown]
	v_mfma_f32_16x16x16f16 v[34:37], v[62:63], v[22:23], v[34:37]
	s_waitcnt vmcnt(3)
	v_cmp_ne_u16_sdwa s[14:15], v44, v43 src0_sel:BYTE_0 src1_sel:DWORD
	v_mfma_f32_16x16x16f16 v[34:37], v[48:49], v[24:25], v[34:37]
	s_and_saveexec_b64 s[12:13], s[14:15]
	s_cbranch_execz .LBB636_507
; %bb.502:                              ;   in Loop: Header=BB636_213 Depth=1
	v_cmp_ne_u16_sdwa s[16:17], v44, s9 src0_sel:BYTE_0 src1_sel:DWORD
	v_bfrev_b32_e32 v47, 1
	s_and_saveexec_b64 s[14:15], s[16:17]
	s_cbranch_execz .LBB636_506
; %bb.503:                              ;   in Loop: Header=BB636_213 Depth=1
	v_and_b32_e32 v46, 0x7f, v44
	v_cmp_ne_u32_e32 vcc, s19, v46
	v_mov_b32_e32 v47, 0x7f800001
	s_and_saveexec_b64 s[16:17], vcc
	s_cbranch_execz .LBB636_505
; %bb.504:                              ;   in Loop: Header=BB636_213 Depth=1
	v_and_b32_e32 v47, 7, v44
	v_ffbh_u32_e32 v48, v47
	v_min_u32_e32 v51, 32, v48
	v_subrev_u32_e32 v48, 28, v51
	v_lshlrev_b64 v[48:49], v48, v[44:45]
	v_lshrrev_b32_e32 v50, 3, v46
	v_sub_u32_e32 v49, 29, v51
	v_and_b32_e32 v48, 7, v48
	v_cmp_gt_u32_e32 vcc, 8, v46
	v_cndmask_b32_e32 v46, v50, v49, vcc
	v_cndmask_b32_e32 v47, v47, v48, vcc
	v_lshlrev_b32_e32 v48, 24, v44
	v_lshlrev_b32_e32 v47, 20, v47
	v_and_b32_e32 v48, 0x80000000, v48
	v_lshl_add_u32 v46, v46, 23, v45
	v_or3_b32 v47, v48, v46, v47
.LBB636_505:                            ;   in Loop: Header=BB636_213 Depth=1
	s_or_b64 exec, exec, s[16:17]
.LBB636_506:                            ;   in Loop: Header=BB636_213 Depth=1
	s_or_b64 exec, exec, s[14:15]
.LBB636_507:                            ;   in Loop: Header=BB636_213 Depth=1
	s_or_b64 exec, exec, s[12:13]
	v_lshrrev_b16_e32 v46, 8, v44
	v_cmp_ne_u16_e32 vcc, 0, v46
	v_mov_b32_e32 v48, 0
	v_mov_b32_e32 v49, 0
	s_and_saveexec_b64 s[12:13], vcc
	s_cbranch_execz .LBB636_513
; %bb.508:                              ;   in Loop: Header=BB636_213 Depth=1
	v_cmp_ne_u16_e32 vcc, s9, v46
	v_bfrev_b32_e32 v49, 1
	s_and_saveexec_b64 s[14:15], vcc
	s_cbranch_execz .LBB636_512
; %bb.509:                              ;   in Loop: Header=BB636_213 Depth=1
	v_and_b32_e32 v50, 0x7f, v46
	v_cmp_ne_u32_e32 vcc, s19, v50
	v_mov_b32_e32 v49, 0x7f800001
	s_and_saveexec_b64 s[16:17], vcc
	s_cbranch_execz .LBB636_511
; %bb.510:                              ;   in Loop: Header=BB636_213 Depth=1
	v_and_b32_e32 v49, 7, v46
	v_ffbh_u32_e32 v52, v49
	v_min_u32_e32 v61, 32, v52
	v_subrev_u32_e32 v52, 28, v61
	v_lshlrev_b64 v[52:53], v52, v[46:47]
	v_lshrrev_b32_e32 v51, 3, v50
	v_sub_u32_e32 v46, 29, v61
	v_and_b32_e32 v52, 7, v52
	v_cmp_gt_u32_e32 vcc, 8, v50
	v_cndmask_b32_e32 v46, v51, v46, vcc
	v_cndmask_b32_e32 v49, v49, v52, vcc
	v_lshlrev_b32_e32 v50, 16, v44
	v_lshlrev_b32_e32 v49, 20, v49
	v_and_b32_e32 v50, 0x80000000, v50
	v_lshl_add_u32 v46, v46, 23, v45
	v_or3_b32 v49, v50, v46, v49
.LBB636_511:                            ;   in Loop: Header=BB636_213 Depth=1
	s_or_b64 exec, exec, s[16:17]
.LBB636_512:                            ;   in Loop: Header=BB636_213 Depth=1
	s_or_b64 exec, exec, s[14:15]
.LBB636_513:                            ;   in Loop: Header=BB636_213 Depth=1
	s_or_b64 exec, exec, s[12:13]
	v_lshrrev_b32_e32 v46, 16, v44
	v_cmp_ne_u16_sdwa s[14:15], v46, v43 src0_sel:BYTE_0 src1_sel:DWORD
	s_and_saveexec_b64 s[12:13], s[14:15]
	s_cbranch_execz .LBB636_519
; %bb.514:                              ;   in Loop: Header=BB636_213 Depth=1
	v_cmp_ne_u16_sdwa s[16:17], v46, s9 src0_sel:BYTE_0 src1_sel:DWORD
	v_bfrev_b32_e32 v48, 1
	s_and_saveexec_b64 s[14:15], s[16:17]
	s_cbranch_execz .LBB636_518
; %bb.515:                              ;   in Loop: Header=BB636_213 Depth=1
	v_bfe_u32 v50, v44, 16, 7
	v_cmp_ne_u32_e32 vcc, s19, v50
	v_mov_b32_e32 v48, 0x7f800001
	s_and_saveexec_b64 s[16:17], vcc
	s_cbranch_execz .LBB636_517
; %bb.516:                              ;   in Loop: Header=BB636_213 Depth=1
	v_and_b32_e32 v48, 7, v46
	v_ffbh_u32_e32 v52, v48
	v_min_u32_e32 v61, 32, v52
	v_subrev_u32_e32 v52, 28, v61
	v_lshlrev_b64 v[52:53], v52, v[46:47]
	v_lshrrev_b32_e32 v51, 3, v50
	v_sub_u32_e32 v53, 29, v61
	v_and_b32_e32 v52, 7, v52
	v_cmp_gt_u32_e32 vcc, 8, v50
	v_cndmask_b32_e32 v50, v51, v53, vcc
	v_cndmask_b32_e32 v48, v48, v52, vcc
	v_lshlrev_b32_e32 v46, 24, v46
	v_lshlrev_b32_e32 v48, 20, v48
	v_and_b32_e32 v46, 0x80000000, v46
	v_lshl_add_u32 v50, v50, 23, v45
	v_or3_b32 v48, v46, v50, v48
.LBB636_517:                            ;   in Loop: Header=BB636_213 Depth=1
	s_or_b64 exec, exec, s[16:17]
.LBB636_518:                            ;   in Loop: Header=BB636_213 Depth=1
	s_or_b64 exec, exec, s[14:15]
.LBB636_519:                            ;   in Loop: Header=BB636_213 Depth=1
	s_or_b64 exec, exec, s[12:13]
	v_cmp_lt_u32_e32 vcc, s20, v44
	v_mov_b32_e32 v50, 0
	v_mov_b32_e32 v51, 0
	s_and_saveexec_b64 s[12:13], vcc
	s_cbranch_execz .LBB636_525
; %bb.520:                              ;   in Loop: Header=BB636_213 Depth=1
	v_lshrrev_b32_e32 v46, 24, v44
	v_cmp_ne_u32_e32 vcc, s9, v46
	v_bfrev_b32_e32 v51, 1
	s_and_saveexec_b64 s[14:15], vcc
	s_cbranch_execz .LBB636_524
; %bb.521:                              ;   in Loop: Header=BB636_213 Depth=1
	v_bfe_u32 v44, v44, 24, 7
	v_cmp_ne_u32_e32 vcc, s19, v44
	v_mov_b32_e32 v51, 0x7f800001
	s_and_saveexec_b64 s[16:17], vcc
	s_cbranch_execz .LBB636_523
; %bb.522:                              ;   in Loop: Header=BB636_213 Depth=1
	v_and_b32_e32 v51, 7, v46
	v_ffbh_u32_e32 v52, v51
	v_min_u32_e32 v62, 32, v52
	v_subrev_u32_e32 v52, 28, v62
	v_lshlrev_b64 v[52:53], v52, v[46:47]
	v_lshrrev_b32_e32 v61, 3, v44
	v_sub_u32_e32 v53, 29, v62
	v_and_b32_e32 v52, 7, v52
	v_cmp_gt_u32_e32 vcc, 8, v44
	v_cndmask_b32_e32 v44, v61, v53, vcc
	v_cndmask_b32_e32 v51, v51, v52, vcc
	v_lshlrev_b32_e32 v46, 24, v46
	v_lshlrev_b32_e32 v51, 20, v51
	v_and_b32_e32 v46, 0x80000000, v46
	v_lshl_add_u32 v44, v44, 23, v45
	v_or3_b32 v51, v46, v44, v51
.LBB636_523:                            ;   in Loop: Header=BB636_213 Depth=1
	s_or_b64 exec, exec, s[16:17]
.LBB636_524:                            ;   in Loop: Header=BB636_213 Depth=1
	s_or_b64 exec, exec, s[14:15]
.LBB636_525:                            ;   in Loop: Header=BB636_213 Depth=1
	s_or_b64 exec, exec, s[12:13]
	s_waitcnt vmcnt(2)
	v_cmp_ne_u16_sdwa s[14:15], v42, v43 src0_sel:BYTE_0 src1_sel:DWORD
	s_and_saveexec_b64 s[12:13], s[14:15]
	s_cbranch_execz .LBB636_531
; %bb.526:                              ;   in Loop: Header=BB636_213 Depth=1
	v_cmp_ne_u16_sdwa s[16:17], v42, s9 src0_sel:BYTE_0 src1_sel:DWORD
	v_bfrev_b32_e32 v50, 1
	s_and_saveexec_b64 s[14:15], s[16:17]
	s_cbranch_execz .LBB636_530
; %bb.527:                              ;   in Loop: Header=BB636_213 Depth=1
	v_and_b32_e32 v44, 0x7f, v42
	v_cmp_ne_u32_e32 vcc, s19, v44
	v_mov_b32_e32 v50, 0x7f800001
	s_and_saveexec_b64 s[16:17], vcc
	s_cbranch_execz .LBB636_529
; %bb.528:                              ;   in Loop: Header=BB636_213 Depth=1
	v_and_b32_e32 v46, 7, v42
	v_ffbh_u32_e32 v52, v46
	v_min_u32_e32 v61, 32, v52
	v_subrev_u32_e32 v52, 28, v61
	v_lshlrev_b64 v[52:53], v52, v[42:43]
	v_lshrrev_b32_e32 v50, 3, v44
	v_sub_u32_e32 v53, 29, v61
	v_and_b32_e32 v52, 7, v52
	v_cmp_gt_u32_e32 vcc, 8, v44
	v_cndmask_b32_e32 v44, v50, v53, vcc
	v_cndmask_b32_e32 v46, v46, v52, vcc
	v_lshlrev_b32_e32 v50, 24, v42
	v_lshlrev_b32_e32 v46, 20, v46
	v_and_b32_e32 v50, 0x80000000, v50
	v_lshl_add_u32 v44, v44, 23, v45
	v_or3_b32 v50, v50, v44, v46
.LBB636_529:                            ;   in Loop: Header=BB636_213 Depth=1
	s_or_b64 exec, exec, s[16:17]
.LBB636_530:                            ;   in Loop: Header=BB636_213 Depth=1
	s_or_b64 exec, exec, s[14:15]
.LBB636_531:                            ;   in Loop: Header=BB636_213 Depth=1
	s_or_b64 exec, exec, s[12:13]
	v_lshrrev_b16_e32 v44, 8, v42
	v_cmp_ne_u16_e32 vcc, 0, v44
	v_mov_b32_e32 v52, 0
	v_mov_b32_e32 v53, 0
	s_and_saveexec_b64 s[12:13], vcc
	s_cbranch_execz .LBB636_537
; %bb.532:                              ;   in Loop: Header=BB636_213 Depth=1
	v_cmp_ne_u16_e32 vcc, s9, v44
	v_bfrev_b32_e32 v53, 1
	s_and_saveexec_b64 s[14:15], vcc
	s_cbranch_execz .LBB636_536
; %bb.533:                              ;   in Loop: Header=BB636_213 Depth=1
	v_and_b32_e32 v46, 0x7f, v44
	v_cmp_ne_u32_e32 vcc, s19, v46
	v_mov_b32_e32 v53, 0x7f800001
	s_and_saveexec_b64 s[16:17], vcc
	s_cbranch_execz .LBB636_535
; %bb.534:                              ;   in Loop: Header=BB636_213 Depth=1
	v_and_b32_e32 v53, 7, v44
	v_ffbh_u32_e32 v62, v53
	v_min_u32_e32 v64, 32, v62
	v_subrev_u32_e32 v62, 28, v64
	v_lshlrev_b64 v[62:63], v62, v[44:45]
	v_lshrrev_b32_e32 v61, 3, v46
	v_sub_u32_e32 v44, 29, v64
	v_and_b32_e32 v62, 7, v62
	v_cmp_gt_u32_e32 vcc, 8, v46
	v_cndmask_b32_e32 v44, v61, v44, vcc
	v_cndmask_b32_e32 v46, v53, v62, vcc
	v_lshlrev_b32_e32 v53, 16, v42
	v_lshlrev_b32_e32 v46, 20, v46
	v_and_b32_e32 v53, 0x80000000, v53
	v_lshl_add_u32 v44, v44, 23, v45
	v_or3_b32 v53, v53, v44, v46
.LBB636_535:                            ;   in Loop: Header=BB636_213 Depth=1
	s_or_b64 exec, exec, s[16:17]
.LBB636_536:                            ;   in Loop: Header=BB636_213 Depth=1
	s_or_b64 exec, exec, s[14:15]
.LBB636_537:                            ;   in Loop: Header=BB636_213 Depth=1
	s_or_b64 exec, exec, s[12:13]
	v_lshrrev_b32_e32 v44, 16, v42
	v_cmp_ne_u16_sdwa s[14:15], v44, v43 src0_sel:BYTE_0 src1_sel:DWORD
	s_and_saveexec_b64 s[12:13], s[14:15]
	s_cbranch_execz .LBB636_543
; %bb.538:                              ;   in Loop: Header=BB636_213 Depth=1
	v_cmp_ne_u16_sdwa s[16:17], v44, s9 src0_sel:BYTE_0 src1_sel:DWORD
	v_bfrev_b32_e32 v52, 1
	s_and_saveexec_b64 s[14:15], s[16:17]
	s_cbranch_execz .LBB636_542
; %bb.539:                              ;   in Loop: Header=BB636_213 Depth=1
	v_bfe_u32 v46, v42, 16, 7
	v_cmp_ne_u32_e32 vcc, s19, v46
	v_mov_b32_e32 v52, 0x7f800001
	s_and_saveexec_b64 s[16:17], vcc
	s_cbranch_execz .LBB636_541
; %bb.540:                              ;   in Loop: Header=BB636_213 Depth=1
	v_and_b32_e32 v52, 7, v44
	v_ffbh_u32_e32 v62, v52
	v_min_u32_e32 v64, 32, v62
	v_subrev_u32_e32 v62, 28, v64
	v_lshlrev_b64 v[62:63], v62, v[44:45]
	v_lshrrev_b32_e32 v61, 3, v46
	v_sub_u32_e32 v63, 29, v64
	v_and_b32_e32 v62, 7, v62
	v_cmp_gt_u32_e32 vcc, 8, v46
	v_cndmask_b32_e32 v46, v61, v63, vcc
	v_cndmask_b32_e32 v52, v52, v62, vcc
	v_lshlrev_b32_e32 v44, 24, v44
	v_lshlrev_b32_e32 v52, 20, v52
	v_and_b32_e32 v44, 0x80000000, v44
	v_lshl_add_u32 v46, v46, 23, v45
	v_or3_b32 v52, v44, v46, v52
.LBB636_541:                            ;   in Loop: Header=BB636_213 Depth=1
	s_or_b64 exec, exec, s[16:17]
.LBB636_542:                            ;   in Loop: Header=BB636_213 Depth=1
	s_or_b64 exec, exec, s[14:15]
.LBB636_543:                            ;   in Loop: Header=BB636_213 Depth=1
	s_or_b64 exec, exec, s[12:13]
	v_cmp_lt_u32_e32 vcc, s20, v42
	v_mov_b32_e32 v46, 0
	v_mov_b32_e32 v61, 0
	s_and_saveexec_b64 s[12:13], vcc
	s_cbranch_execz .LBB636_549
; %bb.544:                              ;   in Loop: Header=BB636_213 Depth=1
	v_lshrrev_b32_e32 v44, 24, v42
	v_cmp_ne_u32_e32 vcc, s9, v44
	v_bfrev_b32_e32 v61, 1
	s_and_saveexec_b64 s[14:15], vcc
	s_cbranch_execz .LBB636_548
; %bb.545:                              ;   in Loop: Header=BB636_213 Depth=1
	v_bfe_u32 v42, v42, 24, 7
	v_cmp_ne_u32_e32 vcc, s19, v42
	v_mov_b32_e32 v61, 0x7f800001
	s_and_saveexec_b64 s[16:17], vcc
	s_cbranch_execz .LBB636_547
; %bb.546:                              ;   in Loop: Header=BB636_213 Depth=1
	v_and_b32_e32 v61, 7, v44
	v_ffbh_u32_e32 v62, v61
	v_min_u32_e32 v65, 32, v62
	v_subrev_u32_e32 v62, 28, v65
	v_lshlrev_b64 v[62:63], v62, v[44:45]
	v_lshrrev_b32_e32 v64, 3, v42
	v_sub_u32_e32 v63, 29, v65
	v_and_b32_e32 v62, 7, v62
	v_cmp_gt_u32_e32 vcc, 8, v42
	v_cndmask_b32_e32 v42, v64, v63, vcc
	v_cndmask_b32_e32 v61, v61, v62, vcc
	v_lshlrev_b32_e32 v44, 24, v44
	v_lshlrev_b32_e32 v61, 20, v61
	v_and_b32_e32 v44, 0x80000000, v44
	v_lshl_add_u32 v42, v42, 23, v45
	v_or3_b32 v61, v44, v42, v61
.LBB636_547:                            ;   in Loop: Header=BB636_213 Depth=1
	s_or_b64 exec, exec, s[16:17]
.LBB636_548:                            ;   in Loop: Header=BB636_213 Depth=1
	s_or_b64 exec, exec, s[14:15]
.LBB636_549:                            ;   in Loop: Header=BB636_213 Depth=1
	s_or_b64 exec, exec, s[12:13]
	v_cvt_pkrtz_f16_f32 v62, v47, v49
	v_cvt_pkrtz_f16_f32 v63, v48, v51
	v_cvt_pkrtz_f16_f32 v48, v50, v53
	v_cvt_pkrtz_f16_f32 v49, v52, v61
	s_waitcnt vmcnt(1)
	v_cmp_ne_u16_sdwa s[14:15], v40, v43 src0_sel:BYTE_0 src1_sel:DWORD
	v_mfma_f32_16x16x16f16 v[34:37], v[62:63], v[26:27], v[34:37]
	v_mfma_f32_16x16x16f16 v[34:37], v[48:49], v[28:29], v[34:37]
	s_and_saveexec_b64 s[12:13], s[14:15]
	s_cbranch_execz .LBB636_555
; %bb.550:                              ;   in Loop: Header=BB636_213 Depth=1
	v_cmp_ne_u16_sdwa s[16:17], v40, s9 src0_sel:BYTE_0 src1_sel:DWORD
	v_bfrev_b32_e32 v46, 1
	s_and_saveexec_b64 s[14:15], s[16:17]
	s_cbranch_execz .LBB636_554
; %bb.551:                              ;   in Loop: Header=BB636_213 Depth=1
	v_and_b32_e32 v42, 0x7f, v40
	v_cmp_ne_u32_e32 vcc, s19, v42
	v_mov_b32_e32 v46, 0x7f800001
	s_and_saveexec_b64 s[16:17], vcc
	s_cbranch_execz .LBB636_553
; %bb.552:                              ;   in Loop: Header=BB636_213 Depth=1
	v_and_b32_e32 v44, 7, v40
	v_ffbh_u32_e32 v46, v44
	v_min_u32_e32 v49, 32, v46
	v_subrev_u32_e32 v46, 28, v49
	v_lshlrev_b64 v[46:47], v46, v[40:41]
	v_lshrrev_b32_e32 v48, 3, v42
	v_sub_u32_e32 v47, 29, v49
	v_and_b32_e32 v46, 7, v46
	v_cmp_gt_u32_e32 vcc, 8, v42
	v_cndmask_b32_e32 v42, v48, v47, vcc
	v_cndmask_b32_e32 v44, v44, v46, vcc
	v_lshlrev_b32_e32 v46, 24, v40
	v_lshlrev_b32_e32 v44, 20, v44
	v_and_b32_e32 v46, 0x80000000, v46
	v_lshl_add_u32 v42, v42, 23, v45
	v_or3_b32 v46, v46, v42, v44
.LBB636_553:                            ;   in Loop: Header=BB636_213 Depth=1
	s_or_b64 exec, exec, s[16:17]
.LBB636_554:                            ;   in Loop: Header=BB636_213 Depth=1
	s_or_b64 exec, exec, s[14:15]
.LBB636_555:                            ;   in Loop: Header=BB636_213 Depth=1
	s_or_b64 exec, exec, s[12:13]
	v_lshrrev_b16_e32 v42, 8, v40
	v_cmp_ne_u16_e32 vcc, 0, v42
	v_mov_b32_e32 v44, 0
	v_mov_b32_e32 v47, 0
	s_and_saveexec_b64 s[12:13], vcc
	s_cbranch_execz .LBB636_561
; %bb.556:                              ;   in Loop: Header=BB636_213 Depth=1
	v_cmp_ne_u16_e32 vcc, s9, v42
	v_bfrev_b32_e32 v47, 1
	s_and_saveexec_b64 s[14:15], vcc
	s_cbranch_execz .LBB636_560
; %bb.557:                              ;   in Loop: Header=BB636_213 Depth=1
	v_and_b32_e32 v48, 0x7f, v42
	v_cmp_ne_u32_e32 vcc, s19, v48
	v_mov_b32_e32 v47, 0x7f800001
	s_and_saveexec_b64 s[16:17], vcc
	s_cbranch_execz .LBB636_559
; %bb.558:                              ;   in Loop: Header=BB636_213 Depth=1
	v_and_b32_e32 v47, 7, v42
	v_ffbh_u32_e32 v50, v47
	v_min_u32_e32 v52, 32, v50
	v_subrev_u32_e32 v50, 28, v52
	v_lshlrev_b64 v[50:51], v50, v[42:43]
	v_lshrrev_b32_e32 v49, 3, v48
	v_sub_u32_e32 v42, 29, v52
	v_and_b32_e32 v50, 7, v50
	v_cmp_gt_u32_e32 vcc, 8, v48
	v_cndmask_b32_e32 v42, v49, v42, vcc
	v_cndmask_b32_e32 v47, v47, v50, vcc
	v_lshlrev_b32_e32 v48, 16, v40
	v_lshlrev_b32_e32 v47, 20, v47
	v_and_b32_e32 v48, 0x80000000, v48
	v_lshl_add_u32 v42, v42, 23, v45
	v_or3_b32 v47, v48, v42, v47
.LBB636_559:                            ;   in Loop: Header=BB636_213 Depth=1
	s_or_b64 exec, exec, s[16:17]
.LBB636_560:                            ;   in Loop: Header=BB636_213 Depth=1
	s_or_b64 exec, exec, s[14:15]
.LBB636_561:                            ;   in Loop: Header=BB636_213 Depth=1
	s_or_b64 exec, exec, s[12:13]
	v_lshrrev_b32_e32 v42, 16, v40
	v_cmp_ne_u16_sdwa s[14:15], v42, v43 src0_sel:BYTE_0 src1_sel:DWORD
	s_and_saveexec_b64 s[12:13], s[14:15]
	s_cbranch_execz .LBB636_567
; %bb.562:                              ;   in Loop: Header=BB636_213 Depth=1
	v_cmp_ne_u16_sdwa s[16:17], v42, s9 src0_sel:BYTE_0 src1_sel:DWORD
	v_bfrev_b32_e32 v44, 1
	s_and_saveexec_b64 s[14:15], s[16:17]
	s_cbranch_execz .LBB636_566
; %bb.563:                              ;   in Loop: Header=BB636_213 Depth=1
	v_bfe_u32 v48, v40, 16, 7
	v_cmp_ne_u32_e32 vcc, s19, v48
	v_mov_b32_e32 v44, 0x7f800001
	s_and_saveexec_b64 s[16:17], vcc
	s_cbranch_execz .LBB636_565
; %bb.564:                              ;   in Loop: Header=BB636_213 Depth=1
	v_and_b32_e32 v44, 7, v42
	v_ffbh_u32_e32 v50, v44
	v_min_u32_e32 v52, 32, v50
	v_subrev_u32_e32 v50, 28, v52
	v_lshlrev_b64 v[50:51], v50, v[42:43]
	v_lshrrev_b32_e32 v49, 3, v48
	v_sub_u32_e32 v51, 29, v52
	v_and_b32_e32 v50, 7, v50
	v_cmp_gt_u32_e32 vcc, 8, v48
	v_cndmask_b32_e32 v48, v49, v51, vcc
	v_cndmask_b32_e32 v44, v44, v50, vcc
	v_lshlrev_b32_e32 v42, 24, v42
	v_lshlrev_b32_e32 v44, 20, v44
	v_and_b32_e32 v42, 0x80000000, v42
	v_lshl_add_u32 v48, v48, 23, v45
	v_or3_b32 v44, v42, v48, v44
.LBB636_565:                            ;   in Loop: Header=BB636_213 Depth=1
	s_or_b64 exec, exec, s[16:17]
.LBB636_566:                            ;   in Loop: Header=BB636_213 Depth=1
	s_or_b64 exec, exec, s[14:15]
.LBB636_567:                            ;   in Loop: Header=BB636_213 Depth=1
	s_or_b64 exec, exec, s[12:13]
	v_cmp_lt_u32_e32 vcc, s20, v40
	v_mov_b32_e32 v48, 0
	v_mov_b32_e32 v49, 0
	s_and_saveexec_b64 s[12:13], vcc
	s_cbranch_execz .LBB636_573
; %bb.568:                              ;   in Loop: Header=BB636_213 Depth=1
	v_lshrrev_b32_e32 v42, 24, v40
	v_cmp_ne_u32_e32 vcc, s9, v42
	v_bfrev_b32_e32 v49, 1
	s_and_saveexec_b64 s[14:15], vcc
	s_cbranch_execz .LBB636_572
; %bb.569:                              ;   in Loop: Header=BB636_213 Depth=1
	v_bfe_u32 v40, v40, 24, 7
	v_cmp_ne_u32_e32 vcc, s19, v40
	v_mov_b32_e32 v49, 0x7f800001
	s_and_saveexec_b64 s[16:17], vcc
	s_cbranch_execz .LBB636_571
; %bb.570:                              ;   in Loop: Header=BB636_213 Depth=1
	v_and_b32_e32 v49, 7, v42
	v_ffbh_u32_e32 v50, v49
	v_min_u32_e32 v53, 32, v50
	v_subrev_u32_e32 v50, 28, v53
	v_lshlrev_b64 v[50:51], v50, v[42:43]
	v_lshrrev_b32_e32 v52, 3, v40
	v_sub_u32_e32 v51, 29, v53
	v_and_b32_e32 v50, 7, v50
	v_cmp_gt_u32_e32 vcc, 8, v40
	v_cndmask_b32_e32 v40, v52, v51, vcc
	v_cndmask_b32_e32 v49, v49, v50, vcc
	v_lshlrev_b32_e32 v42, 24, v42
	v_lshlrev_b32_e32 v49, 20, v49
	v_and_b32_e32 v42, 0x80000000, v42
	v_lshl_add_u32 v40, v40, 23, v45
	v_or3_b32 v49, v42, v40, v49
.LBB636_571:                            ;   in Loop: Header=BB636_213 Depth=1
	s_or_b64 exec, exec, s[16:17]
.LBB636_572:                            ;   in Loop: Header=BB636_213 Depth=1
	s_or_b64 exec, exec, s[14:15]
.LBB636_573:                            ;   in Loop: Header=BB636_213 Depth=1
	s_or_b64 exec, exec, s[12:13]
	s_waitcnt vmcnt(0)
	v_cmp_ne_u16_sdwa s[14:15], v38, v43 src0_sel:BYTE_0 src1_sel:DWORD
	s_and_saveexec_b64 s[12:13], s[14:15]
	s_cbranch_execz .LBB636_579
; %bb.574:                              ;   in Loop: Header=BB636_213 Depth=1
	v_cmp_ne_u16_sdwa s[16:17], v38, s9 src0_sel:BYTE_0 src1_sel:DWORD
	v_bfrev_b32_e32 v48, 1
	s_and_saveexec_b64 s[14:15], s[16:17]
	s_cbranch_execz .LBB636_578
; %bb.575:                              ;   in Loop: Header=BB636_213 Depth=1
	v_and_b32_e32 v40, 0x7f, v38
	v_cmp_ne_u32_e32 vcc, s19, v40
	v_mov_b32_e32 v48, 0x7f800001
	s_and_saveexec_b64 s[16:17], vcc
	s_cbranch_execz .LBB636_577
; %bb.576:                              ;   in Loop: Header=BB636_213 Depth=1
	v_and_b32_e32 v42, 7, v38
	v_ffbh_u32_e32 v50, v42
	v_min_u32_e32 v52, 32, v50
	v_subrev_u32_e32 v50, 28, v52
	v_lshlrev_b64 v[50:51], v50, v[38:39]
	v_lshrrev_b32_e32 v48, 3, v40
	v_sub_u32_e32 v51, 29, v52
	v_and_b32_e32 v50, 7, v50
	v_cmp_gt_u32_e32 vcc, 8, v40
	v_cndmask_b32_e32 v40, v48, v51, vcc
	v_cndmask_b32_e32 v42, v42, v50, vcc
	v_lshlrev_b32_e32 v48, 24, v38
	v_lshlrev_b32_e32 v42, 20, v42
	v_and_b32_e32 v48, 0x80000000, v48
	v_lshl_add_u32 v40, v40, 23, v45
	v_or3_b32 v48, v48, v40, v42
.LBB636_577:                            ;   in Loop: Header=BB636_213 Depth=1
	s_or_b64 exec, exec, s[16:17]
.LBB636_578:                            ;   in Loop: Header=BB636_213 Depth=1
	s_or_b64 exec, exec, s[14:15]
.LBB636_579:                            ;   in Loop: Header=BB636_213 Depth=1
	s_or_b64 exec, exec, s[12:13]
	v_lshrrev_b16_e32 v40, 8, v38
	v_cmp_ne_u16_e32 vcc, 0, v40
	v_mov_b32_e32 v42, 0
	v_mov_b32_e32 v50, 0
	s_and_saveexec_b64 s[12:13], vcc
	s_cbranch_execz .LBB636_585
; %bb.580:                              ;   in Loop: Header=BB636_213 Depth=1
	v_cmp_ne_u16_e32 vcc, s9, v40
	v_bfrev_b32_e32 v50, 1
	s_and_saveexec_b64 s[14:15], vcc
	s_cbranch_execz .LBB636_584
; %bb.581:                              ;   in Loop: Header=BB636_213 Depth=1
	v_and_b32_e32 v51, 0x7f, v40
	v_cmp_ne_u32_e32 vcc, s19, v51
	v_mov_b32_e32 v50, 0x7f800001
	s_and_saveexec_b64 s[16:17], vcc
	s_cbranch_execz .LBB636_583
; %bb.582:                              ;   in Loop: Header=BB636_213 Depth=1
	v_and_b32_e32 v50, 7, v40
	v_ffbh_u32_e32 v52, v50
	v_min_u32_e32 v62, 32, v52
	v_subrev_u32_e32 v52, 28, v62
	v_lshlrev_b64 v[52:53], v52, v[40:41]
	v_lshrrev_b32_e32 v61, 3, v51
	v_sub_u32_e32 v40, 29, v62
	v_and_b32_e32 v52, 7, v52
	v_cmp_gt_u32_e32 vcc, 8, v51
	v_cndmask_b32_e32 v40, v61, v40, vcc
	v_cndmask_b32_e32 v50, v50, v52, vcc
	v_lshlrev_b32_e32 v51, 16, v38
	v_lshlrev_b32_e32 v50, 20, v50
	v_and_b32_e32 v51, 0x80000000, v51
	v_lshl_add_u32 v40, v40, 23, v45
	v_or3_b32 v50, v51, v40, v50
.LBB636_583:                            ;   in Loop: Header=BB636_213 Depth=1
	s_or_b64 exec, exec, s[16:17]
.LBB636_584:                            ;   in Loop: Header=BB636_213 Depth=1
	s_or_b64 exec, exec, s[14:15]
.LBB636_585:                            ;   in Loop: Header=BB636_213 Depth=1
	s_or_b64 exec, exec, s[12:13]
	v_lshrrev_b32_e32 v40, 16, v38
	v_cmp_ne_u16_sdwa s[14:15], v40, v43 src0_sel:BYTE_0 src1_sel:DWORD
	s_and_saveexec_b64 s[12:13], s[14:15]
	s_cbranch_execz .LBB636_591
; %bb.586:                              ;   in Loop: Header=BB636_213 Depth=1
	v_cmp_ne_u16_sdwa s[16:17], v40, s9 src0_sel:BYTE_0 src1_sel:DWORD
	v_bfrev_b32_e32 v42, 1
	s_and_saveexec_b64 s[14:15], s[16:17]
	s_cbranch_execz .LBB636_590
; %bb.587:                              ;   in Loop: Header=BB636_213 Depth=1
	v_bfe_u32 v51, v38, 16, 7
	v_cmp_ne_u32_e32 vcc, s19, v51
	v_mov_b32_e32 v42, 0x7f800001
	s_and_saveexec_b64 s[16:17], vcc
	s_cbranch_execz .LBB636_589
; %bb.588:                              ;   in Loop: Header=BB636_213 Depth=1
	v_and_b32_e32 v42, 7, v40
	v_ffbh_u32_e32 v52, v42
	v_min_u32_e32 v62, 32, v52
	v_subrev_u32_e32 v52, 28, v62
	v_lshlrev_b64 v[52:53], v52, v[40:41]
	v_lshrrev_b32_e32 v61, 3, v51
	v_sub_u32_e32 v53, 29, v62
	v_and_b32_e32 v52, 7, v52
	v_cmp_gt_u32_e32 vcc, 8, v51
	v_cndmask_b32_e32 v51, v61, v53, vcc
	v_cndmask_b32_e32 v42, v42, v52, vcc
	v_lshlrev_b32_e32 v40, 24, v40
	v_lshlrev_b32_e32 v42, 20, v42
	v_and_b32_e32 v40, 0x80000000, v40
	v_lshl_add_u32 v51, v51, 23, v45
	v_or3_b32 v42, v40, v51, v42
.LBB636_589:                            ;   in Loop: Header=BB636_213 Depth=1
	s_or_b64 exec, exec, s[16:17]
.LBB636_590:                            ;   in Loop: Header=BB636_213 Depth=1
	s_or_b64 exec, exec, s[14:15]
.LBB636_591:                            ;   in Loop: Header=BB636_213 Depth=1
	s_or_b64 exec, exec, s[12:13]
	v_cmp_lt_u32_e32 vcc, s20, v38
	v_mov_b32_e32 v51, 0
	s_and_saveexec_b64 s[12:13], vcc
	s_cbranch_execz .LBB636_212
; %bb.592:                              ;   in Loop: Header=BB636_213 Depth=1
	v_lshrrev_b32_e32 v40, 24, v38
	v_cmp_ne_u32_e32 vcc, s9, v40
	v_bfrev_b32_e32 v51, 1
	s_and_saveexec_b64 s[14:15], vcc
	s_cbranch_execz .LBB636_211
; %bb.593:                              ;   in Loop: Header=BB636_213 Depth=1
	v_bfe_u32 v38, v38, 24, 7
	v_cmp_ne_u32_e32 vcc, s19, v38
	v_mov_b32_e32 v51, 0x7f800001
	s_and_saveexec_b64 s[16:17], vcc
	s_cbranch_execz .LBB636_210
; %bb.594:                              ;   in Loop: Header=BB636_213 Depth=1
	v_and_b32_e32 v51, 7, v40
	v_ffbh_u32_e32 v52, v51
	v_min_u32_e32 v62, 32, v52
	v_subrev_u32_e32 v52, 28, v62
	v_lshlrev_b64 v[52:53], v52, v[40:41]
	v_lshrrev_b32_e32 v61, 3, v38
	v_sub_u32_e32 v53, 29, v62
	v_and_b32_e32 v52, 7, v52
	v_cmp_gt_u32_e32 vcc, 8, v38
	v_cndmask_b32_e32 v38, v61, v53, vcc
	v_cndmask_b32_e32 v51, v51, v52, vcc
	v_lshlrev_b32_e32 v40, 24, v40
	v_lshlrev_b32_e32 v51, 20, v51
	v_and_b32_e32 v40, 0x80000000, v40
	v_lshl_add_u32 v38, v38, 23, v45
	v_or3_b32 v51, v40, v38, v51
	s_branch .LBB636_210
.LBB636_595:
	s_barrier
	buffer_load_dword v2, off, s[0:3], 0 offset:320
	buffer_load_dword v5, off, s[0:3], 0 offset:332
	;; [unrolled: 1-line block ×4, first 2 shown]
	v_cmp_gt_u32_e32 vcc, 64, v0
	s_waitcnt vmcnt(0)
	ds_write2st64_b64 v39, v[2:3], v[4:5] offset1:1
	s_waitcnt lgkmcnt(0)
	s_barrier
	s_and_saveexec_b64 s[4:5], vcc
	s_cbranch_execz .LBB636_598
; %bb.596:
	s_lshl_b32 s4, s50, 7
	s_mul_i32 s5, s18, s8
	s_mul_hi_u32 s9, s5, s4
	s_mul_i32 s8, s5, s4
	s_lshl_b64 s[8:9], s[8:9], 1
	v_lshlrev_b32_e32 v4, 6, v55
	s_add_u32 s5, s48, s8
	v_lshl_or_b32 v0, v0, 10, v4
	s_mov_b32 s7, 0
	s_addc_u32 s8, s49, s9
	s_lshl_b32 s6, s24, 7
	v_lshlrev_b32_e32 v2, 5, v1
	v_and_b32_e32 v3, 16, v56
	v_and_b32_e32 v0, 0x1a00, v0
	s_lshl_b64 s[6:7], s[6:7], 1
	v_or3_b32 v0, v0, v2, v3
	s_add_u32 s5, s5, s6
	ds_read_b128 v[4:7], v0 offset:256
	s_addc_u32 s6, s8, s7
	ds_read_b128 v[8:11], v0 offset:128
	ds_read_b128 v[12:15], v0
	v_add_u32_e32 v18, s25, v1
	v_mov_b32_e32 v3, s6
	v_add_co_u32_e32 v2, vcc, s5, v54
	v_mad_u64_u32 v[16:17], s[6:7], v18, s4, 0
	v_addc_co_u32_e32 v3, vcc, 0, v3, vcc
	v_lshlrev_b64 v[16:17], 1, v[16:17]
	v_add_co_u32_e32 v16, vcc, v2, v16
	v_addc_co_u32_e32 v17, vcc, v3, v17, vcc
	s_waitcnt lgkmcnt(0)
	global_store_dwordx4 v[16:17], v[12:15], off
	s_nop 0
	v_add_u32_e32 v12, 4, v18
	v_mad_u64_u32 v[12:13], s[6:7], v12, s4, 0
	v_lshlrev_b64 v[12:13], 1, v[12:13]
	v_add_co_u32_e32 v12, vcc, v2, v12
	v_addc_co_u32_e32 v13, vcc, v3, v13, vcc
	global_store_dwordx4 v[12:13], v[8:11], off
	s_nop 0
	v_add_u32_e32 v8, 8, v18
	v_mad_u64_u32 v[8:9], s[6:7], v8, s4, 0
	v_lshlrev_b64 v[8:9], 1, v[8:9]
	v_add_co_u32_e32 v8, vcc, v2, v8
	v_addc_co_u32_e32 v9, vcc, v3, v9, vcc
	v_cmp_ne_u32_e32 vcc, 3, v1
	global_store_dwordx4 v[8:9], v[4:7], off
	s_and_b64 exec, exec, vcc
	s_cbranch_execz .LBB636_598
; %bb.597:
	ds_read_b128 v[4:7], v0 offset:384
	v_add3_u32 v0, s25, v1, 12
	v_mad_u64_u32 v[0:1], s[4:5], v0, s4, 0
	v_lshlrev_b64 v[0:1], 1, v[0:1]
	v_add_co_u32_e32 v0, vcc, v2, v0
	v_addc_co_u32_e32 v1, vcc, v3, v1, vcc
	s_waitcnt lgkmcnt(0)
	global_store_dwordx4 v[0:1], v[4:7], off
.LBB636_598:
	s_endpgm
	.section	.rodata,"a",@progbits
	.p2align	6, 0x0
	.amdhsa_kernel _Z39paged_attention_ll4mi_QKV_mfma16_kernelIDF16_hLN4vllm18Fp8KVCacheDataTypeE1EDF16_Li16ELi128ELi256ELb0ELi15EL8MFMAType0EEvPKT_PKT0_S8_ifPKiSA_SA_iPKfiiiPfSD_PS3_PT2_iSC_SC_
		.amdhsa_group_segment_fixed_size 8192
		.amdhsa_private_segment_fixed_size 352
		.amdhsa_kernarg_size 400
		.amdhsa_user_sgpr_count 8
		.amdhsa_user_sgpr_private_segment_buffer 1
		.amdhsa_user_sgpr_dispatch_ptr 0
		.amdhsa_user_sgpr_queue_ptr 0
		.amdhsa_user_sgpr_kernarg_segment_ptr 1
		.amdhsa_user_sgpr_dispatch_id 0
		.amdhsa_user_sgpr_flat_scratch_init 1
		.amdhsa_user_sgpr_kernarg_preload_length 0
		.amdhsa_user_sgpr_kernarg_preload_offset 0
		.amdhsa_user_sgpr_private_segment_size 0
		.amdhsa_uses_dynamic_stack 0
		.amdhsa_system_sgpr_private_segment_wavefront_offset 1
		.amdhsa_system_sgpr_workgroup_id_x 1
		.amdhsa_system_sgpr_workgroup_id_y 1
		.amdhsa_system_sgpr_workgroup_id_z 1
		.amdhsa_system_sgpr_workgroup_info 0
		.amdhsa_system_vgpr_workitem_id 0
		.amdhsa_next_free_vgpr 78
		.amdhsa_next_free_sgpr 53
		.amdhsa_accum_offset 80
		.amdhsa_reserve_vcc 1
		.amdhsa_reserve_flat_scratch 0
		.amdhsa_float_round_mode_32 0
		.amdhsa_float_round_mode_16_64 0
		.amdhsa_float_denorm_mode_32 3
		.amdhsa_float_denorm_mode_16_64 3
		.amdhsa_dx10_clamp 1
		.amdhsa_ieee_mode 1
		.amdhsa_fp16_overflow 0
		.amdhsa_tg_split 0
		.amdhsa_exception_fp_ieee_invalid_op 0
		.amdhsa_exception_fp_denorm_src 0
		.amdhsa_exception_fp_ieee_div_zero 0
		.amdhsa_exception_fp_ieee_overflow 0
		.amdhsa_exception_fp_ieee_underflow 0
		.amdhsa_exception_fp_ieee_inexact 0
		.amdhsa_exception_int_div_zero 0
	.end_amdhsa_kernel
	.section	.text._Z39paged_attention_ll4mi_QKV_mfma16_kernelIDF16_hLN4vllm18Fp8KVCacheDataTypeE1EDF16_Li16ELi128ELi256ELb0ELi15EL8MFMAType0EEvPKT_PKT0_S8_ifPKiSA_SA_iPKfiiiPfSD_PS3_PT2_iSC_SC_,"axG",@progbits,_Z39paged_attention_ll4mi_QKV_mfma16_kernelIDF16_hLN4vllm18Fp8KVCacheDataTypeE1EDF16_Li16ELi128ELi256ELb0ELi15EL8MFMAType0EEvPKT_PKT0_S8_ifPKiSA_SA_iPKfiiiPfSD_PS3_PT2_iSC_SC_,comdat
.Lfunc_end636:
	.size	_Z39paged_attention_ll4mi_QKV_mfma16_kernelIDF16_hLN4vllm18Fp8KVCacheDataTypeE1EDF16_Li16ELi128ELi256ELb0ELi15EL8MFMAType0EEvPKT_PKT0_S8_ifPKiSA_SA_iPKfiiiPfSD_PS3_PT2_iSC_SC_, .Lfunc_end636-_Z39paged_attention_ll4mi_QKV_mfma16_kernelIDF16_hLN4vllm18Fp8KVCacheDataTypeE1EDF16_Li16ELi128ELi256ELb0ELi15EL8MFMAType0EEvPKT_PKT0_S8_ifPKiSA_SA_iPKfiiiPfSD_PS3_PT2_iSC_SC_
                                        ; -- End function
	.section	.AMDGPU.csdata,"",@progbits
; Kernel info:
; codeLenInByte = 21248
; NumSgprs: 57
; NumVgprs: 78
; NumAgprs: 0
; TotalNumVgprs: 78
; ScratchSize: 352
; MemoryBound: 0
; FloatMode: 240
; IeeeMode: 1
; LDSByteSize: 8192 bytes/workgroup (compile time only)
; SGPRBlocks: 7
; VGPRBlocks: 9
; NumSGPRsForWavesPerEU: 57
; NumVGPRsForWavesPerEU: 78
; AccumOffset: 80
; Occupancy: 6
; WaveLimiterHint : 1
; COMPUTE_PGM_RSRC2:SCRATCH_EN: 1
; COMPUTE_PGM_RSRC2:USER_SGPR: 8
; COMPUTE_PGM_RSRC2:TRAP_HANDLER: 0
; COMPUTE_PGM_RSRC2:TGID_X_EN: 1
; COMPUTE_PGM_RSRC2:TGID_Y_EN: 1
; COMPUTE_PGM_RSRC2:TGID_Z_EN: 1
; COMPUTE_PGM_RSRC2:TIDIG_COMP_CNT: 0
; COMPUTE_PGM_RSRC3_GFX90A:ACCUM_OFFSET: 19
; COMPUTE_PGM_RSRC3_GFX90A:TG_SPLIT: 0
	.section	.text._Z39paged_attention_ll4mi_QKV_mfma16_kernelIDF16_hLN4vllm18Fp8KVCacheDataTypeE1EDF16_Li16ELi128ELi256ELb0ELi16EL8MFMAType0EEvPKT_PKT0_S8_ifPKiSA_SA_iPKfiiiPfSD_PS3_PT2_iSC_SC_,"axG",@progbits,_Z39paged_attention_ll4mi_QKV_mfma16_kernelIDF16_hLN4vllm18Fp8KVCacheDataTypeE1EDF16_Li16ELi128ELi256ELb0ELi16EL8MFMAType0EEvPKT_PKT0_S8_ifPKiSA_SA_iPKfiiiPfSD_PS3_PT2_iSC_SC_,comdat
	.protected	_Z39paged_attention_ll4mi_QKV_mfma16_kernelIDF16_hLN4vllm18Fp8KVCacheDataTypeE1EDF16_Li16ELi128ELi256ELb0ELi16EL8MFMAType0EEvPKT_PKT0_S8_ifPKiSA_SA_iPKfiiiPfSD_PS3_PT2_iSC_SC_ ; -- Begin function _Z39paged_attention_ll4mi_QKV_mfma16_kernelIDF16_hLN4vllm18Fp8KVCacheDataTypeE1EDF16_Li16ELi128ELi256ELb0ELi16EL8MFMAType0EEvPKT_PKT0_S8_ifPKiSA_SA_iPKfiiiPfSD_PS3_PT2_iSC_SC_
	.globl	_Z39paged_attention_ll4mi_QKV_mfma16_kernelIDF16_hLN4vllm18Fp8KVCacheDataTypeE1EDF16_Li16ELi128ELi256ELb0ELi16EL8MFMAType0EEvPKT_PKT0_S8_ifPKiSA_SA_iPKfiiiPfSD_PS3_PT2_iSC_SC_
	.p2align	8
	.type	_Z39paged_attention_ll4mi_QKV_mfma16_kernelIDF16_hLN4vllm18Fp8KVCacheDataTypeE1EDF16_Li16ELi128ELi256ELb0ELi16EL8MFMAType0EEvPKT_PKT0_S8_ifPKiSA_SA_iPKfiiiPfSD_PS3_PT2_iSC_SC_,@function
_Z39paged_attention_ll4mi_QKV_mfma16_kernelIDF16_hLN4vllm18Fp8KVCacheDataTypeE1EDF16_Li16ELi128ELi256ELb0ELi16EL8MFMAType0EEvPKT_PKT0_S8_ifPKiSA_SA_iPKfiiiPfSD_PS3_PT2_iSC_SC_: ; @_Z39paged_attention_ll4mi_QKV_mfma16_kernelIDF16_hLN4vllm18Fp8KVCacheDataTypeE1EDF16_Li16ELi128ELi256ELb0ELi16EL8MFMAType0EEvPKT_PKT0_S8_ifPKiSA_SA_iPKfiiiPfSD_PS3_PT2_iSC_SC_
; %bb.0:
	s_load_dwordx2 s[6:7], s[4:5], 0x30
	s_add_u32 s0, s0, s11
	s_addc_u32 s1, s1, 0
	s_mov_b32 s24, s9
	s_mov_b64 s[12:13], 0
	s_waitcnt lgkmcnt(0)
	s_cmp_lg_u64 s[6:7], 0
	s_cselect_b64 s[16:17], -1, 0
	s_and_b64 vcc, exec, s[16:17]
	s_cbranch_vccz .LBB637_7
; %bb.1:
	s_add_i32 s14, s8, 1
	s_mov_b32 s15, 0
	s_lshl_b64 s[18:19], s[14:15], 2
	s_add_u32 s18, s6, s18
	s_mov_b32 s9, s15
	s_addc_u32 s19, s7, s19
	s_lshl_b64 s[14:15], s[8:9], 2
	s_add_u32 s14, s6, s14
	s_addc_u32 s15, s7, s15
	s_load_dword s11, s[18:19], 0x0
	s_load_dword s20, s[14:15], 0x0
	s_waitcnt lgkmcnt(0)
	s_sub_i32 s11, s11, s20
	s_cmp_eq_u32 s11, 1
	s_cselect_b64 s[14:15], -1, 0
	s_andn2_b64 vcc, exec, s[12:13]
	s_cbranch_vccnz .LBB637_3
.LBB637_2:
	s_mov_b32 s9, 0
	s_mov_b64 s[14:15], -1
.LBB637_3:
	s_andn2_b64 vcc, exec, s[14:15]
	s_cbranch_vccnz .LBB637_597
; %bb.4:
	s_load_dwordx2 s[12:13], s[4:5], 0x28
	s_lshl_b64 s[18:19], s[8:9], 2
	s_waitcnt lgkmcnt(0)
	s_add_u32 s12, s12, s18
	s_addc_u32 s13, s13, s19
	s_load_dword s33, s[12:13], 0x0
	s_lshl_b32 s20, s24, 8
	s_waitcnt lgkmcnt(0)
	s_cmp_ge_i32 s20, s33
	s_cbranch_scc1 .LBB637_597
; %bb.5:
	s_add_i32 s14, s33, 15
	s_load_dwordx2 s[12:13], s[4:5], 0x20
	s_load_dword s11, s[4:5], 0x38
	s_ashr_i32 s15, s14, 31
	v_and_b32_e32 v1, 0xcf, v0
	s_lshr_b32 s15, s15, 28
	v_add_u32_e32 v1, s20, v1
	s_add_i32 s14, s14, s15
	v_ashrrev_i32_e32 v2, 31, v1
	s_ashr_i32 s22, s14, 4
	v_lshrrev_b32_e32 v6, 28, v2
	s_add_i32 s22, s22, -1
	v_add_u32_e32 v2, v1, v6
	s_waitcnt lgkmcnt(0)
	s_mul_i32 s14, s8, s11
	s_mov_b32 s15, 0
	v_ashrrev_i32_e32 v2, 4, v2
	v_mov_b32_e32 v7, s22
	v_cmp_gt_i32_e32 vcc, s33, v1
	s_lshl_b64 s[14:15], s[14:15], 2
	v_cndmask_b32_e32 v2, v7, v2, vcc
	s_add_u32 s11, s12, s14
	v_ashrrev_i32_e32 v3, 31, v2
	s_addc_u32 s21, s13, s15
	v_lshlrev_b64 v[2:3], 2, v[2:3]
	v_mov_b32_e32 v5, s21
	v_add_co_u32_e32 v4, vcc, s11, v2
	v_or_b32_e32 v2, 16, v1
	v_addc_co_u32_e32 v5, vcc, v5, v3, vcc
	v_add_u32_e32 v3, v2, v6
	v_ashrrev_i32_e32 v3, 4, v3
	v_cmp_gt_i32_e32 vcc, s33, v2
	v_cndmask_b32_e32 v2, v7, v3, vcc
	v_ashrrev_i32_e32 v3, 31, v2
	v_lshlrev_b64 v[2:3], 2, v[2:3]
	v_mov_b32_e32 v9, s21
	v_add_co_u32_e32 v8, vcc, s11, v2
	v_or_b32_e32 v2, 32, v1
	v_addc_co_u32_e32 v9, vcc, v9, v3, vcc
	v_add_u32_e32 v3, v2, v6
	v_ashrrev_i32_e32 v3, 4, v3
	v_cmp_gt_i32_e32 vcc, s33, v2
	v_cndmask_b32_e32 v2, v7, v3, vcc
	v_ashrrev_i32_e32 v3, 31, v2
	;; [unrolled: 10-line block ×3, first 2 shown]
	v_lshlrev_b64 v[2:3], 2, v[2:3]
	v_mov_b32_e32 v1, s21
	v_add_co_u32_e32 v12, vcc, s11, v2
	v_addc_co_u32_e32 v13, vcc, v1, v3, vcc
	global_load_dword v2, v[4:5], off
	global_load_dword v6, v[8:9], off
	;; [unrolled: 1-line block ×4, first 2 shown]
	s_load_dwordx4 s[12:15], s[4:5], 0x8
	s_andn2_b64 vcc, exec, s[16:17]
	s_cbranch_vccnz .LBB637_8
; %bb.6:
	s_add_u32 s6, s6, s18
	s_addc_u32 s7, s7, s19
	s_load_dword s16, s[6:7], 0x0
	s_branch .LBB637_9
.LBB637_7:
	s_mov_b64 s[14:15], 0
	s_branch .LBB637_2
.LBB637_8:
	s_mov_b32 s16, s8
.LBB637_9:
	s_load_dwordx2 s[48:49], s[4:5], 0x68
	s_load_dwordx8 s[40:47], s[4:5], 0x48
	v_and_b32_e32 v51, 15, v0
	v_lshlrev_b32_e32 v3, 3, v51
	s_movk_i32 s6, 0x100
	v_lshrrev_b32_e32 v60, 6, v0
	v_bfe_u32 v1, v0, 4, 2
	s_lshl_b32 s25, s10, 4
	v_cmp_gt_u32_e32 vcc, s6, v0
	v_lshlrev_b32_e32 v50, 1, v3
	v_lshlrev_b32_e32 v52, 4, v0
	s_and_saveexec_b64 s[6:7], vcc
	s_cbranch_execz .LBB637_11
; %bb.10:
	s_load_dwordx2 s[18:19], s[4:5], 0x0
	s_waitcnt lgkmcnt(0)
	s_ashr_i32 s17, s40, 31
	s_mul_hi_u32 s23, s16, s40
	s_mul_i32 s17, s16, s17
	v_lshl_or_b32 v3, v60, 2, v1
	s_add_i32 s17, s23, s17
	s_mul_i32 s16, s16, s40
	s_lshl_b64 s[16:17], s[16:17], 1
	v_add_lshl_u32 v4, v3, s25, 7
	s_add_u32 s16, s18, s16
	v_ashrrev_i32_e32 v5, 31, v4
	s_addc_u32 s17, s19, s17
	v_lshlrev_b64 v[4:5], 1, v[4:5]
	v_mov_b32_e32 v7, s17
	v_add_co_u32_e32 v4, vcc, s16, v4
	v_addc_co_u32_e32 v5, vcc, v7, v5, vcc
	v_add_co_u32_e32 v4, vcc, v4, v50
	v_addc_co_u32_e32 v5, vcc, 0, v5, vcc
	global_load_dwordx4 v[8:11], v[4:5], off
	v_lshlrev_b32_e32 v5, 8, v0
	v_lshlrev_b32_e32 v4, 8, v51
	v_and_b32_e32 v5, 0x600, v5
	s_movk_i32 s16, 0x800
	v_and_or_b32 v4, v4, s16, v5
	v_lshlrev_b32_e32 v3, 5, v3
	v_and_b32_e32 v5, 16, v52
	v_or3_b32 v3, v4, v3, v5
	s_waitcnt vmcnt(0)
	ds_write_b128 v3, v[8:11]
.LBB637_11:
	s_or_b64 exec, exec, s[6:7]
	v_and_b32_e32 v3, 48, v0
	v_or_b32_e32 v7, s20, v3
	v_ashrrev_i32_e32 v4, 4, v7
	v_mov_b32_e32 v12, s22
	v_cmp_gt_i32_e32 vcc, s33, v7
	v_cndmask_b32_e32 v4, v12, v4, vcc
	v_ashrrev_i32_e32 v5, 31, v4
	v_lshlrev_b64 v[4:5], 2, v[4:5]
	v_mov_b32_e32 v8, s21
	v_add_co_u32_e32 v4, vcc, s11, v4
	v_addc_co_u32_e32 v5, vcc, v8, v5, vcc
	v_or_b32_e32 v8, 64, v7
	v_ashrrev_i32_e32 v9, 4, v8
	v_cmp_gt_i32_e32 vcc, s33, v8
	v_cndmask_b32_e32 v8, v12, v9, vcc
	v_ashrrev_i32_e32 v9, 31, v8
	v_lshlrev_b64 v[8:9], 2, v[8:9]
	v_mov_b32_e32 v10, s21
	v_add_co_u32_e32 v8, vcc, s11, v8
	v_addc_co_u32_e32 v9, vcc, v10, v9, vcc
	v_or_b32_e32 v10, 0x80, v7
	v_ashrrev_i32_e32 v11, 4, v10
	v_cmp_gt_i32_e32 vcc, s33, v10
	v_cndmask_b32_e32 v10, v12, v11, vcc
	v_ashrrev_i32_e32 v11, 31, v10
	v_lshlrev_b64 v[10:11], 2, v[10:11]
	v_mov_b32_e32 v13, s21
	v_add_co_u32_e32 v10, vcc, s11, v10
	s_load_dwordx2 s[50:51], s[4:5], 0x94
	s_waitcnt lgkmcnt(0)
	s_barrier
	v_addc_co_u32_e32 v11, vcc, v13, v11, vcc
	global_load_dword v53, v[4:5], off
	global_load_dword v58, v[8:9], off
	;; [unrolled: 1-line block ×3, first 2 shown]
	v_or_b32_e32 v4, 0xc0, v7
	v_ashrrev_i32_e32 v5, 4, v4
	v_cmp_gt_i32_e32 vcc, s33, v4
	v_cndmask_b32_e32 v4, v12, v5, vcc
	v_ashrrev_i32_e32 v5, 31, v4
	v_lshlrev_b64 v[4:5], 2, v[4:5]
	v_mov_b32_e32 v7, s21
	v_add_co_u32_e32 v4, vcc, s11, v4
	v_addc_co_u32_e32 v5, vcc, v7, v5, vcc
	global_load_dword v62, v[4:5], off
	s_mul_i32 s10, s10, s42
	s_add_u32 s6, s12, s10
	s_addc_u32 s7, s13, 0
	v_and_b32_e32 v4, 0xf0, v52
	v_mov_b32_e32 v5, s7
	v_add_co_u32_e32 v20, vcc, s6, v4
	v_addc_co_u32_e32 v21, vcc, 0, v5, vcc
	v_lshlrev_b32_e32 v28, 4, v3
	s_waitcnt vmcnt(7)
	v_mad_i64_i32 v[2:3], s[6:7], v2, s41, v[20:21]
	v_add_co_u32_e32 v8, vcc, v2, v28
	v_addc_co_u32_e32 v9, vcc, 0, v3, vcc
	s_waitcnt vmcnt(6)
	v_mad_i64_i32 v[6:7], s[6:7], v6, s41, v[20:21]
	v_add_co_u32_e32 v22, vcc, v6, v28
	v_addc_co_u32_e32 v23, vcc, 0, v7, vcc
	global_load_dwordx4 v[10:13], v[8:9], off
	global_load_dwordx4 v[2:5], v[8:9], off offset:1024
	s_nop 0
	global_load_dwordx4 v[6:9], v[22:23], off
	global_load_dwordx4 v[14:17], v[22:23], off offset:1024
	s_waitcnt vmcnt(9)
	v_mad_i64_i32 v[22:23], s[6:7], v19, s41, v[20:21]
	v_add_co_u32_e32 v26, vcc, v22, v28
	v_addc_co_u32_e32 v27, vcc, 0, v23, vcc
	s_waitcnt vmcnt(8)
	v_mad_i64_i32 v[18:19], s[6:7], v18, s41, v[20:21]
	v_add_co_u32_e32 v34, vcc, v18, v28
	s_add_u32 s10, s14, s10
	v_lshl_or_b32 v61, v60, 4, v51
	v_addc_co_u32_e32 v35, vcc, 0, v19, vcc
	s_addc_u32 s11, s15, 0
	v_lshlrev_b32_e32 v54, 4, v61
	global_load_dwordx4 v[30:33], v[26:27], off
	global_load_dwordx4 v[22:25], v[26:27], off offset:1024
	s_nop 0
	global_load_dwordx4 v[26:29], v[34:35], off
	global_load_dwordx4 v[18:21], v[34:35], off offset:1024
	v_mov_b32_e32 v34, s11
	v_add_co_u32_e32 v42, vcc, s10, v54
	v_addc_co_u32_e32 v43, vcc, 0, v34, vcc
	v_or_b32_e32 v54, 0x400, v54
	v_mov_b32_e32 v55, s11
	v_add_co_u32_e32 v54, vcc, s10, v54
	v_addc_co_u32_e32 v55, vcc, 0, v55, vcc
	s_mov_b32 s12, 0
	s_movk_i32 s13, 0x80
	s_movk_i32 s14, 0x7f
	s_mov_b32 s15, 0xffffff
	s_waitcnt vmcnt(11)
	v_mad_i64_i32 v[34:35], s[6:7], v53, s41, v[42:43]
	s_waitcnt vmcnt(10)
	v_mad_i64_i32 v[36:37], s[6:7], v58, s41, v[42:43]
	;; [unrolled: 2-line block ×3, first 2 shown]
	global_load_dwordx4 v[38:41], v[34:35], off
	s_nop 0
	global_load_dwordx4 v[34:37], v[36:37], off
	v_mad_i64_i32 v[56:57], s[6:7], v53, s41, v[54:55]
	s_waitcnt vmcnt(10)
	v_mad_i64_i32 v[42:43], s[6:7], v62, s41, v[42:43]
	global_load_dwordx4 v[46:49], v[44:45], off
	s_nop 0
	global_load_dwordx4 v[42:45], v[42:43], off
	s_nop 0
	global_load_dwordx4 v[64:67], v[56:57], off
	v_mad_i64_i32 v[56:57], s[6:7], v58, s41, v[54:55]
	global_load_dwordx4 v[68:71], v[56:57], off
	v_mad_i64_i32 v[56:57], s[6:7], v59, s41, v[54:55]
	v_mad_i64_i32 v[54:55], s[6:7], v62, s41, v[54:55]
	global_load_dwordx4 v[72:75], v[56:57], off
	global_load_dwordx4 v[76:79], v[54:55], off
	s_waitcnt vmcnt(15)
	buffer_store_dword v13, off, s[0:3], 0 offset:12
	buffer_store_dword v12, off, s[0:3], 0 offset:8
	;; [unrolled: 1-line block ×3, first 2 shown]
	buffer_store_dword v10, off, s[0:3], 0
	s_waitcnt vmcnt(18)
	buffer_store_dword v5, off, s[0:3], 0 offset:28
	buffer_store_dword v4, off, s[0:3], 0 offset:24
	;; [unrolled: 1-line block ×4, first 2 shown]
	s_waitcnt vmcnt(21)
	buffer_store_dword v9, off, s[0:3], 0 offset:44
	buffer_store_dword v8, off, s[0:3], 0 offset:40
	;; [unrolled: 1-line block ×4, first 2 shown]
	s_load_dword s6, s[4:5], 0x1c
	s_load_dwordx4 s[40:43], s[4:5], 0x80
	s_waitcnt vmcnt(24)
	buffer_store_dword v17, off, s[0:3], 0 offset:60
	buffer_store_dword v16, off, s[0:3], 0 offset:56
	buffer_store_dword v15, off, s[0:3], 0 offset:52
	buffer_store_dword v14, off, s[0:3], 0 offset:48
	s_waitcnt vmcnt(27)
	buffer_store_dword v33, off, s[0:3], 0 offset:76
	buffer_store_dword v32, off, s[0:3], 0 offset:72
	;; [unrolled: 1-line block ×4, first 2 shown]
	v_lshlrev_b32_e32 v33, 5, v51
	v_mov_b32_e32 v2, 0x80
	v_lshl_or_b32 v31, v1, 9, v33
	v_add_u32_e32 v53, 16, v2
	v_add_u32_e32 v59, 32, v2
	;; [unrolled: 1-line block ×7, first 2 shown]
	ds_read_b128 v[2:5], v31
	ds_read_b128 v[6:9], v31 offset:16
	ds_read_b128 v[10:13], v31 offset:2048
	;; [unrolled: 1-line block ×3, first 2 shown]
	s_waitcnt vmcnt(30)
	buffer_store_dword v25, off, s[0:3], 0 offset:92
	buffer_store_dword v24, off, s[0:3], 0 offset:88
	buffer_store_dword v23, off, s[0:3], 0 offset:84
	buffer_store_dword v22, off, s[0:3], 0 offset:80
	s_waitcnt vmcnt(33)
	buffer_store_dword v29, off, s[0:3], 0 offset:108
	buffer_store_dword v28, off, s[0:3], 0 offset:104
	buffer_store_dword v27, off, s[0:3], 0 offset:100
	buffer_store_dword v26, off, s[0:3], 0 offset:96
	;; [unrolled: 5-line block ×3, first 2 shown]
	s_waitcnt lgkmcnt(0)
	v_mov_b32_e32 v18, s6
	v_and_b32_e32 v62, 63, v0
	v_mov_b32_e32 v27, 0
	s_waitcnt vmcnt(39)
	buffer_store_dword v41, off, s[0:3], 0 offset:140
	buffer_store_dword v40, off, s[0:3], 0 offset:136
	buffer_store_dword v39, off, s[0:3], 0 offset:132
	buffer_store_dword v38, off, s[0:3], 0 offset:128
	s_waitcnt vmcnt(42)
	buffer_store_dword v37, off, s[0:3], 0 offset:172
	buffer_store_dword v36, off, s[0:3], 0 offset:168
	buffer_store_dword v35, off, s[0:3], 0 offset:164
	buffer_store_dword v34, off, s[0:3], 0 offset:160
	;; [unrolled: 5-line block ×7, first 2 shown]
	s_waitcnt vmcnt(60)
	buffer_store_dword v79, off, s[0:3], 0 offset:252
	s_load_dword s4, s[40:41], 0x0
	v_mov_b32_e32 v29, 0
	v_mov_b32_e32 v35, 0x100
	v_bfrev_b32_e32 v36, 60
	buffer_store_dword v78, off, s[0:3], 0 offset:248
	buffer_store_dword v77, off, s[0:3], 0 offset:244
	;; [unrolled: 1-line block ×3, first 2 shown]
	s_waitcnt lgkmcnt(0)
	v_mul_f32_e32 v22, s4, v18
	v_mov_b32_e32 v24, v22
	v_mov_b32_e32 v25, v22
	s_branch .LBB637_15
.LBB637_12:                             ;   in Loop: Header=BB637_15 Depth=1
	s_or_b64 exec, exec, s[10:11]
.LBB637_13:                             ;   in Loop: Header=BB637_15 Depth=1
	s_or_b64 exec, exec, s[6:7]
.LBB637_14:                             ;   in Loop: Header=BB637_15 Depth=1
	s_or_b64 exec, exec, s[4:5]
	v_cvt_pkrtz_f16_f32 v42, v34, v32
	v_cvt_pkrtz_f16_f32 v43, v23, v38
	;; [unrolled: 1-line block ×4, first 2 shown]
	v_add_u32_e32 v26, s12, v35
	v_mfma_f32_16x16x16f16 v[18:21], v[42:43], v[14:15], v[18:21]
	s_add_i32 s12, s12, 16
	v_mov_b32_e32 v23, v22
	s_cmp_eq_u32 s12, 64
	v_add_u32_e32 v27, 32, v27
	v_mfma_f32_16x16x16f16 v[18:21], v[38:39], v[16:17], v[18:21]
	s_nop 7
	s_nop 2
	v_pk_mul_f32 v[18:19], v[24:25], v[18:19]
	v_pk_mul_f32 v[20:21], v[22:23], v[20:21]
	buffer_store_dword v19, v26, s[0:3], 0 offen offset:4
	buffer_store_dword v18, v26, s[0:3], 0 offen
	buffer_store_dword v21, v26, s[0:3], 0 offen offset:12
	buffer_store_dword v20, v26, s[0:3], 0 offen offset:8
	s_cbranch_scc1 .LBB637_205
.LBB637_15:                             ; =>This Inner Loop Header: Depth=1
	buffer_load_dword v20, v27, s[0:3], 0 offen
	buffer_load_dword v18, v27, s[0:3], 0 offen offset:4
	buffer_load_dword v28, v27, s[0:3], 0 offen offset:8
	;; [unrolled: 1-line block ×3, first 2 shown]
	v_mov_b32_e32 v19, 0
	s_waitcnt vmcnt(3)
	v_cmp_ne_u16_sdwa s[6:7], v20, v29 src0_sel:BYTE_0 src1_sel:DWORD
	s_and_saveexec_b64 s[4:5], s[6:7]
	s_cbranch_execz .LBB637_21
; %bb.16:                               ;   in Loop: Header=BB637_15 Depth=1
	v_cmp_ne_u16_sdwa s[10:11], v20, s13 src0_sel:BYTE_0 src1_sel:DWORD
	v_bfrev_b32_e32 v19, 1
	s_and_saveexec_b64 s[6:7], s[10:11]
	s_cbranch_execz .LBB637_20
; %bb.17:                               ;   in Loop: Header=BB637_15 Depth=1
	v_and_b32_e32 v21, 0x7f, v20
	v_cmp_ne_u32_e32 vcc, s14, v21
	v_mov_b32_e32 v19, 0x7f800001
	s_and_saveexec_b64 s[10:11], vcc
	s_cbranch_execz .LBB637_19
; %bb.18:                               ;   in Loop: Header=BB637_15 Depth=1
	v_and_b32_e32 v19, 7, v20
	v_ffbh_u32_e32 v30, v19
	v_min_u32_e32 v30, 32, v30
	v_subrev_u32_e32 v32, 28, v30
	v_lshlrev_b64 v[38:39], v32, v[20:21]
	v_lshrrev_b32_e32 v23, 3, v21
	v_sub_u32_e32 v30, 29, v30
	v_and_b32_e32 v32, 7, v38
	v_cmp_gt_u32_e32 vcc, 8, v21
	v_cndmask_b32_e32 v21, v23, v30, vcc
	v_cndmask_b32_e32 v19, v19, v32, vcc
	v_lshlrev_b32_e32 v23, 24, v20
	v_lshlrev_b32_e32 v19, 20, v19
	v_and_b32_e32 v23, 0x80000000, v23
	v_lshl_add_u32 v21, v21, 23, v36
	v_or3_b32 v19, v23, v21, v19
.LBB637_19:                             ;   in Loop: Header=BB637_15 Depth=1
	s_or_b64 exec, exec, s[10:11]
.LBB637_20:                             ;   in Loop: Header=BB637_15 Depth=1
	s_or_b64 exec, exec, s[6:7]
.LBB637_21:                             ;   in Loop: Header=BB637_15 Depth=1
	s_or_b64 exec, exec, s[4:5]
	v_lshrrev_b16_e32 v30, 8, v20
	v_cmp_ne_u16_e32 vcc, 0, v30
	v_mov_b32_e32 v21, 0
	v_mov_b32_e32 v23, 0
	s_and_saveexec_b64 s[4:5], vcc
	s_cbranch_execz .LBB637_27
; %bb.22:                               ;   in Loop: Header=BB637_15 Depth=1
	v_cmp_ne_u16_e32 vcc, s13, v30
	v_bfrev_b32_e32 v23, 1
	s_and_saveexec_b64 s[6:7], vcc
	s_cbranch_execz .LBB637_26
; %bb.23:                               ;   in Loop: Header=BB637_15 Depth=1
	v_and_b32_e32 v32, 0x7f, v30
	v_cmp_ne_u32_e32 vcc, s14, v32
	v_mov_b32_e32 v23, 0x7f800001
	s_and_saveexec_b64 s[10:11], vcc
	s_cbranch_execz .LBB637_25
; %bb.24:                               ;   in Loop: Header=BB637_15 Depth=1
	v_and_b32_e32 v23, 7, v30
	v_ffbh_u32_e32 v37, v23
	v_min_u32_e32 v37, 32, v37
	v_subrev_u32_e32 v38, 28, v37
	v_lshlrev_b64 v[38:39], v38, v[30:31]
	v_lshrrev_b32_e32 v34, 3, v32
	v_sub_u32_e32 v30, 29, v37
	v_and_b32_e32 v37, 7, v38
	v_cmp_gt_u32_e32 vcc, 8, v32
	v_cndmask_b32_e32 v30, v34, v30, vcc
	v_cndmask_b32_e32 v23, v23, v37, vcc
	v_lshlrev_b32_e32 v32, 16, v20
	v_lshlrev_b32_e32 v23, 20, v23
	v_and_b32_e32 v32, 0x80000000, v32
	v_lshl_add_u32 v30, v30, 23, v36
	v_or3_b32 v23, v32, v30, v23
.LBB637_25:                             ;   in Loop: Header=BB637_15 Depth=1
	s_or_b64 exec, exec, s[10:11]
.LBB637_26:                             ;   in Loop: Header=BB637_15 Depth=1
	s_or_b64 exec, exec, s[6:7]
.LBB637_27:                             ;   in Loop: Header=BB637_15 Depth=1
	s_or_b64 exec, exec, s[4:5]
	v_lshrrev_b32_e32 v30, 16, v20
	v_cmp_ne_u16_sdwa s[6:7], v30, v29 src0_sel:BYTE_0 src1_sel:DWORD
	s_and_saveexec_b64 s[4:5], s[6:7]
	s_cbranch_execz .LBB637_33
; %bb.28:                               ;   in Loop: Header=BB637_15 Depth=1
	v_cmp_ne_u16_sdwa s[10:11], v30, s13 src0_sel:BYTE_0 src1_sel:DWORD
	v_bfrev_b32_e32 v21, 1
	s_and_saveexec_b64 s[6:7], s[10:11]
	s_cbranch_execz .LBB637_32
; %bb.29:                               ;   in Loop: Header=BB637_15 Depth=1
	v_bfe_u32 v32, v20, 16, 7
	v_cmp_ne_u32_e32 vcc, s14, v32
	v_mov_b32_e32 v21, 0x7f800001
	s_and_saveexec_b64 s[10:11], vcc
	s_cbranch_execz .LBB637_31
; %bb.30:                               ;   in Loop: Header=BB637_15 Depth=1
	v_and_b32_e32 v21, 7, v30
	v_ffbh_u32_e32 v37, v21
	v_min_u32_e32 v37, 32, v37
	v_subrev_u32_e32 v38, 28, v37
	v_lshlrev_b64 v[38:39], v38, v[30:31]
	v_lshrrev_b32_e32 v34, 3, v32
	v_sub_u32_e32 v37, 29, v37
	v_and_b32_e32 v38, 7, v38
	v_cmp_gt_u32_e32 vcc, 8, v32
	v_cndmask_b32_e32 v32, v34, v37, vcc
	v_cndmask_b32_e32 v21, v21, v38, vcc
	v_lshlrev_b32_e32 v30, 24, v30
	v_lshlrev_b32_e32 v21, 20, v21
	v_and_b32_e32 v30, 0x80000000, v30
	v_lshl_add_u32 v32, v32, 23, v36
	v_or3_b32 v21, v30, v32, v21
.LBB637_31:                             ;   in Loop: Header=BB637_15 Depth=1
	s_or_b64 exec, exec, s[10:11]
.LBB637_32:                             ;   in Loop: Header=BB637_15 Depth=1
	s_or_b64 exec, exec, s[6:7]
.LBB637_33:                             ;   in Loop: Header=BB637_15 Depth=1
	s_or_b64 exec, exec, s[4:5]
	v_cmp_lt_u32_e32 vcc, s15, v20
	v_mov_b32_e32 v34, 0
	v_mov_b32_e32 v37, 0
	s_and_saveexec_b64 s[4:5], vcc
	s_cbranch_execz .LBB637_39
; %bb.34:                               ;   in Loop: Header=BB637_15 Depth=1
	v_lshrrev_b32_e32 v30, 24, v20
	v_cmp_ne_u32_e32 vcc, s13, v30
	v_bfrev_b32_e32 v37, 1
	s_and_saveexec_b64 s[6:7], vcc
	s_cbranch_execz .LBB637_38
; %bb.35:                               ;   in Loop: Header=BB637_15 Depth=1
	v_bfe_u32 v20, v20, 24, 7
	v_cmp_ne_u32_e32 vcc, s14, v20
	v_mov_b32_e32 v37, 0x7f800001
	s_and_saveexec_b64 s[10:11], vcc
	s_cbranch_execz .LBB637_37
; %bb.36:                               ;   in Loop: Header=BB637_15 Depth=1
	v_and_b32_e32 v32, 7, v30
	v_ffbh_u32_e32 v38, v32
	v_min_u32_e32 v40, 32, v38
	v_subrev_u32_e32 v38, 28, v40
	v_lshlrev_b64 v[38:39], v38, v[30:31]
	v_lshrrev_b32_e32 v37, 3, v20
	v_sub_u32_e32 v39, 29, v40
	v_and_b32_e32 v38, 7, v38
	v_cmp_gt_u32_e32 vcc, 8, v20
	v_cndmask_b32_e32 v20, v37, v39, vcc
	v_cndmask_b32_e32 v32, v32, v38, vcc
	v_lshlrev_b32_e32 v30, 24, v30
	v_lshlrev_b32_e32 v32, 20, v32
	v_and_b32_e32 v30, 0x80000000, v30
	v_lshl_add_u32 v20, v20, 23, v36
	v_or3_b32 v37, v30, v20, v32
.LBB637_37:                             ;   in Loop: Header=BB637_15 Depth=1
	s_or_b64 exec, exec, s[10:11]
.LBB637_38:                             ;   in Loop: Header=BB637_15 Depth=1
	s_or_b64 exec, exec, s[6:7]
.LBB637_39:                             ;   in Loop: Header=BB637_15 Depth=1
	s_or_b64 exec, exec, s[4:5]
	s_waitcnt vmcnt(2)
	v_cmp_ne_u16_sdwa s[6:7], v18, v29 src0_sel:BYTE_0 src1_sel:DWORD
	s_and_saveexec_b64 s[4:5], s[6:7]
	s_cbranch_execz .LBB637_45
; %bb.40:                               ;   in Loop: Header=BB637_15 Depth=1
	v_cmp_ne_u16_sdwa s[10:11], v18, s13 src0_sel:BYTE_0 src1_sel:DWORD
	v_bfrev_b32_e32 v34, 1
	s_and_saveexec_b64 s[6:7], s[10:11]
	s_cbranch_execz .LBB637_44
; %bb.41:                               ;   in Loop: Header=BB637_15 Depth=1
	v_and_b32_e32 v20, 0x7f, v18
	v_cmp_ne_u32_e32 vcc, s14, v20
	v_mov_b32_e32 v34, 0x7f800001
	s_and_saveexec_b64 s[10:11], vcc
	s_cbranch_execz .LBB637_43
; %bb.42:                               ;   in Loop: Header=BB637_15 Depth=1
	v_and_b32_e32 v30, 7, v18
	v_ffbh_u32_e32 v34, v30
	v_min_u32_e32 v34, 32, v34
	v_subrev_u32_e32 v38, 28, v34
	v_lshlrev_b64 v[38:39], v38, v[18:19]
	v_lshrrev_b32_e32 v32, 3, v20
	v_sub_u32_e32 v34, 29, v34
	v_and_b32_e32 v38, 7, v38
	v_cmp_gt_u32_e32 vcc, 8, v20
	v_cndmask_b32_e32 v20, v32, v34, vcc
	v_cndmask_b32_e32 v30, v30, v38, vcc
	v_lshlrev_b32_e32 v32, 24, v18
	v_lshlrev_b32_e32 v30, 20, v30
	v_and_b32_e32 v32, 0x80000000, v32
	v_lshl_add_u32 v20, v20, 23, v36
	v_or3_b32 v34, v32, v20, v30
.LBB637_43:                             ;   in Loop: Header=BB637_15 Depth=1
	s_or_b64 exec, exec, s[10:11]
.LBB637_44:                             ;   in Loop: Header=BB637_15 Depth=1
	s_or_b64 exec, exec, s[6:7]
.LBB637_45:                             ;   in Loop: Header=BB637_15 Depth=1
	s_or_b64 exec, exec, s[4:5]
	v_lshrrev_b16_e32 v20, 8, v18
	v_cmp_ne_u16_e32 vcc, 0, v20
	v_mov_b32_e32 v30, 0
	v_mov_b32_e32 v38, 0
	s_and_saveexec_b64 s[4:5], vcc
	s_cbranch_execz .LBB637_51
; %bb.46:                               ;   in Loop: Header=BB637_15 Depth=1
	v_cmp_ne_u16_e32 vcc, s13, v20
	v_bfrev_b32_e32 v38, 1
	s_and_saveexec_b64 s[6:7], vcc
	s_cbranch_execz .LBB637_50
; %bb.47:                               ;   in Loop: Header=BB637_15 Depth=1
	v_and_b32_e32 v32, 0x7f, v20
	v_cmp_ne_u32_e32 vcc, s14, v32
	v_mov_b32_e32 v38, 0x7f800001
	s_and_saveexec_b64 s[10:11], vcc
	s_cbranch_execz .LBB637_49
; %bb.48:                               ;   in Loop: Header=BB637_15 Depth=1
	v_and_b32_e32 v40, 7, v20
	v_ffbh_u32_e32 v38, v40
	v_min_u32_e32 v42, 32, v38
	v_subrev_u32_e32 v38, 28, v42
	v_lshlrev_b64 v[38:39], v38, v[20:21]
	v_lshrrev_b32_e32 v41, 3, v32
	v_sub_u32_e32 v20, 29, v42
	v_and_b32_e32 v38, 7, v38
	v_cmp_gt_u32_e32 vcc, 8, v32
	v_cndmask_b32_e32 v20, v41, v20, vcc
	v_cndmask_b32_e32 v32, v40, v38, vcc
	v_lshlrev_b32_e32 v38, 16, v18
	v_lshlrev_b32_e32 v32, 20, v32
	v_and_b32_e32 v38, 0x80000000, v38
	v_lshl_add_u32 v20, v20, 23, v36
	v_or3_b32 v38, v38, v20, v32
.LBB637_49:                             ;   in Loop: Header=BB637_15 Depth=1
	s_or_b64 exec, exec, s[10:11]
.LBB637_50:                             ;   in Loop: Header=BB637_15 Depth=1
	s_or_b64 exec, exec, s[6:7]
.LBB637_51:                             ;   in Loop: Header=BB637_15 Depth=1
	s_or_b64 exec, exec, s[4:5]
	v_lshrrev_b32_e32 v20, 16, v18
	v_cmp_ne_u16_sdwa s[6:7], v20, v29 src0_sel:BYTE_0 src1_sel:DWORD
	s_and_saveexec_b64 s[4:5], s[6:7]
	s_cbranch_execz .LBB637_57
; %bb.52:                               ;   in Loop: Header=BB637_15 Depth=1
	v_cmp_ne_u16_sdwa s[10:11], v20, s13 src0_sel:BYTE_0 src1_sel:DWORD
	v_bfrev_b32_e32 v30, 1
	s_and_saveexec_b64 s[6:7], s[10:11]
	s_cbranch_execz .LBB637_56
; %bb.53:                               ;   in Loop: Header=BB637_15 Depth=1
	v_bfe_u32 v32, v18, 16, 7
	v_cmp_ne_u32_e32 vcc, s14, v32
	v_mov_b32_e32 v30, 0x7f800001
	s_and_saveexec_b64 s[10:11], vcc
	s_cbranch_execz .LBB637_55
; %bb.54:                               ;   in Loop: Header=BB637_15 Depth=1
	v_and_b32_e32 v30, 7, v20
	v_ffbh_u32_e32 v40, v30
	v_min_u32_e32 v42, 32, v40
	v_subrev_u32_e32 v40, 28, v42
	v_lshlrev_b64 v[40:41], v40, v[20:21]
	v_lshrrev_b32_e32 v39, 3, v32
	v_sub_u32_e32 v41, 29, v42
	v_and_b32_e32 v40, 7, v40
	v_cmp_gt_u32_e32 vcc, 8, v32
	v_cndmask_b32_e32 v32, v39, v41, vcc
	v_cndmask_b32_e32 v30, v30, v40, vcc
	v_lshlrev_b32_e32 v20, 24, v20
	v_lshlrev_b32_e32 v30, 20, v30
	v_and_b32_e32 v20, 0x80000000, v20
	v_lshl_add_u32 v32, v32, 23, v36
	v_or3_b32 v30, v20, v32, v30
.LBB637_55:                             ;   in Loop: Header=BB637_15 Depth=1
	s_or_b64 exec, exec, s[10:11]
.LBB637_56:                             ;   in Loop: Header=BB637_15 Depth=1
	s_or_b64 exec, exec, s[6:7]
.LBB637_57:                             ;   in Loop: Header=BB637_15 Depth=1
	s_or_b64 exec, exec, s[4:5]
	v_cmp_lt_u32_e32 vcc, s15, v18
	v_mov_b32_e32 v32, 0
	v_mov_b32_e32 v39, 0
	s_and_saveexec_b64 s[4:5], vcc
	s_cbranch_execz .LBB637_63
; %bb.58:                               ;   in Loop: Header=BB637_15 Depth=1
	v_lshrrev_b32_e32 v20, 24, v18
	v_cmp_ne_u32_e32 vcc, s13, v20
	v_bfrev_b32_e32 v39, 1
	s_and_saveexec_b64 s[6:7], vcc
	s_cbranch_execz .LBB637_62
; %bb.59:                               ;   in Loop: Header=BB637_15 Depth=1
	v_bfe_u32 v18, v18, 24, 7
	v_cmp_ne_u32_e32 vcc, s14, v18
	v_mov_b32_e32 v39, 0x7f800001
	s_and_saveexec_b64 s[10:11], vcc
	s_cbranch_execz .LBB637_61
; %bb.60:                               ;   in Loop: Header=BB637_15 Depth=1
	v_and_b32_e32 v39, 7, v20
	v_ffbh_u32_e32 v40, v39
	v_min_u32_e32 v43, 32, v40
	v_subrev_u32_e32 v40, 28, v43
	v_lshlrev_b64 v[40:41], v40, v[20:21]
	v_lshrrev_b32_e32 v42, 3, v18
	v_sub_u32_e32 v41, 29, v43
	v_and_b32_e32 v40, 7, v40
	v_cmp_gt_u32_e32 vcc, 8, v18
	v_cndmask_b32_e32 v18, v42, v41, vcc
	v_cndmask_b32_e32 v39, v39, v40, vcc
	v_lshlrev_b32_e32 v20, 24, v20
	v_lshlrev_b32_e32 v39, 20, v39
	v_and_b32_e32 v20, 0x80000000, v20
	v_lshl_add_u32 v18, v18, 23, v36
	v_or3_b32 v39, v20, v18, v39
.LBB637_61:                             ;   in Loop: Header=BB637_15 Depth=1
	s_or_b64 exec, exec, s[10:11]
.LBB637_62:                             ;   in Loop: Header=BB637_15 Depth=1
	s_or_b64 exec, exec, s[6:7]
.LBB637_63:                             ;   in Loop: Header=BB637_15 Depth=1
	s_or_b64 exec, exec, s[4:5]
	v_cvt_pkrtz_f16_f32 v18, v19, v23
	v_cvt_pkrtz_f16_f32 v19, v21, v37
	;; [unrolled: 1-line block ×4, first 2 shown]
	s_waitcnt vmcnt(1)
	v_cmp_ne_u16_sdwa s[6:7], v28, v29 src0_sel:BYTE_0 src1_sel:DWORD
	v_mfma_f32_16x16x16f16 v[18:21], v[18:19], v[2:3], 0
	v_mfma_f32_16x16x16f16 v[18:21], v[38:39], v[4:5], v[18:21]
	s_and_saveexec_b64 s[4:5], s[6:7]
	s_cbranch_execz .LBB637_69
; %bb.64:                               ;   in Loop: Header=BB637_15 Depth=1
	v_cmp_ne_u16_sdwa s[10:11], v28, s13 src0_sel:BYTE_0 src1_sel:DWORD
	v_bfrev_b32_e32 v32, 1
	s_and_saveexec_b64 s[6:7], s[10:11]
	s_cbranch_execz .LBB637_68
; %bb.65:                               ;   in Loop: Header=BB637_15 Depth=1
	v_and_b32_e32 v23, 0x7f, v28
	v_cmp_ne_u32_e32 vcc, s14, v23
	v_mov_b32_e32 v32, 0x7f800001
	s_and_saveexec_b64 s[10:11], vcc
	s_cbranch_execz .LBB637_67
; %bb.66:                               ;   in Loop: Header=BB637_15 Depth=1
	v_and_b32_e32 v30, 7, v28
	v_ffbh_u32_e32 v34, v30
	v_min_u32_e32 v34, 32, v34
	v_subrev_u32_e32 v37, 28, v34
	v_lshlrev_b64 v[38:39], v37, v[28:29]
	v_lshrrev_b32_e32 v32, 3, v23
	v_sub_u32_e32 v34, 29, v34
	v_and_b32_e32 v37, 7, v38
	v_cmp_gt_u32_e32 vcc, 8, v23
	v_cndmask_b32_e32 v23, v32, v34, vcc
	v_cndmask_b32_e32 v30, v30, v37, vcc
	v_lshlrev_b32_e32 v32, 24, v28
	v_lshlrev_b32_e32 v30, 20, v30
	v_and_b32_e32 v32, 0x80000000, v32
	v_lshl_add_u32 v23, v23, 23, v36
	v_or3_b32 v32, v32, v23, v30
.LBB637_67:                             ;   in Loop: Header=BB637_15 Depth=1
	s_or_b64 exec, exec, s[10:11]
.LBB637_68:                             ;   in Loop: Header=BB637_15 Depth=1
	s_or_b64 exec, exec, s[6:7]
.LBB637_69:                             ;   in Loop: Header=BB637_15 Depth=1
	s_or_b64 exec, exec, s[4:5]
	v_lshrrev_b16_e32 v30, 8, v28
	v_cmp_ne_u16_e32 vcc, 0, v30
	v_mov_b32_e32 v34, 0
	v_mov_b32_e32 v37, 0
	s_and_saveexec_b64 s[4:5], vcc
	s_cbranch_execz .LBB637_75
; %bb.70:                               ;   in Loop: Header=BB637_15 Depth=1
	v_cmp_ne_u16_e32 vcc, s13, v30
	v_bfrev_b32_e32 v37, 1
	s_and_saveexec_b64 s[6:7], vcc
	s_cbranch_execz .LBB637_74
; %bb.71:                               ;   in Loop: Header=BB637_15 Depth=1
	v_and_b32_e32 v23, 0x7f, v30
	v_cmp_ne_u32_e32 vcc, s14, v23
	v_mov_b32_e32 v37, 0x7f800001
	s_and_saveexec_b64 s[10:11], vcc
	s_cbranch_execz .LBB637_73
; %bb.72:                               ;   in Loop: Header=BB637_15 Depth=1
	v_and_b32_e32 v37, 7, v30
	v_ffbh_u32_e32 v38, v37
	v_min_u32_e32 v41, 32, v38
	v_subrev_u32_e32 v38, 28, v41
	v_lshlrev_b64 v[38:39], v38, v[30:31]
	v_lshrrev_b32_e32 v40, 3, v23
	v_sub_u32_e32 v30, 29, v41
	v_and_b32_e32 v38, 7, v38
	v_cmp_gt_u32_e32 vcc, 8, v23
	v_cndmask_b32_e32 v23, v40, v30, vcc
	v_cndmask_b32_e32 v30, v37, v38, vcc
	v_lshlrev_b32_e32 v37, 16, v28
	v_lshlrev_b32_e32 v30, 20, v30
	v_and_b32_e32 v37, 0x80000000, v37
	v_lshl_add_u32 v23, v23, 23, v36
	v_or3_b32 v37, v37, v23, v30
.LBB637_73:                             ;   in Loop: Header=BB637_15 Depth=1
	s_or_b64 exec, exec, s[10:11]
.LBB637_74:                             ;   in Loop: Header=BB637_15 Depth=1
	s_or_b64 exec, exec, s[6:7]
.LBB637_75:                             ;   in Loop: Header=BB637_15 Depth=1
	s_or_b64 exec, exec, s[4:5]
	v_lshrrev_b32_e32 v30, 16, v28
	v_cmp_ne_u16_sdwa s[6:7], v30, v29 src0_sel:BYTE_0 src1_sel:DWORD
	s_and_saveexec_b64 s[4:5], s[6:7]
	s_cbranch_execz .LBB637_81
; %bb.76:                               ;   in Loop: Header=BB637_15 Depth=1
	v_cmp_ne_u16_sdwa s[10:11], v30, s13 src0_sel:BYTE_0 src1_sel:DWORD
	v_bfrev_b32_e32 v34, 1
	s_and_saveexec_b64 s[6:7], s[10:11]
	s_cbranch_execz .LBB637_80
; %bb.77:                               ;   in Loop: Header=BB637_15 Depth=1
	v_bfe_u32 v23, v28, 16, 7
	v_cmp_ne_u32_e32 vcc, s14, v23
	v_mov_b32_e32 v34, 0x7f800001
	s_and_saveexec_b64 s[10:11], vcc
	s_cbranch_execz .LBB637_79
; %bb.78:                               ;   in Loop: Header=BB637_15 Depth=1
	v_and_b32_e32 v34, 7, v30
	v_ffbh_u32_e32 v38, v34
	v_min_u32_e32 v41, 32, v38
	v_subrev_u32_e32 v38, 28, v41
	v_lshlrev_b64 v[38:39], v38, v[30:31]
	v_lshrrev_b32_e32 v40, 3, v23
	v_sub_u32_e32 v39, 29, v41
	v_and_b32_e32 v38, 7, v38
	v_cmp_gt_u32_e32 vcc, 8, v23
	v_cndmask_b32_e32 v23, v40, v39, vcc
	v_cndmask_b32_e32 v34, v34, v38, vcc
	v_lshlrev_b32_e32 v30, 24, v30
	v_lshlrev_b32_e32 v34, 20, v34
	v_and_b32_e32 v30, 0x80000000, v30
	v_lshl_add_u32 v23, v23, 23, v36
	v_or3_b32 v34, v30, v23, v34
.LBB637_79:                             ;   in Loop: Header=BB637_15 Depth=1
	s_or_b64 exec, exec, s[10:11]
.LBB637_80:                             ;   in Loop: Header=BB637_15 Depth=1
	s_or_b64 exec, exec, s[6:7]
.LBB637_81:                             ;   in Loop: Header=BB637_15 Depth=1
	s_or_b64 exec, exec, s[4:5]
	v_cmp_lt_u32_e32 vcc, s15, v28
	v_mov_b32_e32 v38, 0
	v_mov_b32_e32 v39, 0
	s_and_saveexec_b64 s[4:5], vcc
	s_cbranch_execz .LBB637_87
; %bb.82:                               ;   in Loop: Header=BB637_15 Depth=1
	v_lshrrev_b32_e32 v30, 24, v28
	v_cmp_ne_u32_e32 vcc, s13, v30
	v_bfrev_b32_e32 v39, 1
	s_and_saveexec_b64 s[6:7], vcc
	s_cbranch_execz .LBB637_86
; %bb.83:                               ;   in Loop: Header=BB637_15 Depth=1
	v_bfe_u32 v23, v28, 24, 7
	v_cmp_ne_u32_e32 vcc, s14, v23
	v_mov_b32_e32 v39, 0x7f800001
	s_and_saveexec_b64 s[10:11], vcc
	s_cbranch_execz .LBB637_85
; %bb.84:                               ;   in Loop: Header=BB637_15 Depth=1
	v_and_b32_e32 v28, 7, v30
	v_ffbh_u32_e32 v40, v28
	v_min_u32_e32 v42, 32, v40
	v_subrev_u32_e32 v40, 28, v42
	v_lshlrev_b64 v[40:41], v40, v[30:31]
	v_lshrrev_b32_e32 v39, 3, v23
	v_sub_u32_e32 v41, 29, v42
	v_and_b32_e32 v40, 7, v40
	v_cmp_gt_u32_e32 vcc, 8, v23
	v_cndmask_b32_e32 v23, v39, v41, vcc
	v_cndmask_b32_e32 v28, v28, v40, vcc
	v_lshlrev_b32_e32 v30, 24, v30
	v_lshlrev_b32_e32 v28, 20, v28
	v_and_b32_e32 v30, 0x80000000, v30
	v_lshl_add_u32 v23, v23, 23, v36
	v_or3_b32 v39, v30, v23, v28
.LBB637_85:                             ;   in Loop: Header=BB637_15 Depth=1
	s_or_b64 exec, exec, s[10:11]
.LBB637_86:                             ;   in Loop: Header=BB637_15 Depth=1
	s_or_b64 exec, exec, s[6:7]
.LBB637_87:                             ;   in Loop: Header=BB637_15 Depth=1
	s_or_b64 exec, exec, s[4:5]
	s_waitcnt vmcnt(0)
	v_cmp_ne_u16_sdwa s[6:7], v26, v29 src0_sel:BYTE_0 src1_sel:DWORD
	s_and_saveexec_b64 s[4:5], s[6:7]
	s_cbranch_execz .LBB637_93
; %bb.88:                               ;   in Loop: Header=BB637_15 Depth=1
	v_cmp_ne_u16_sdwa s[10:11], v26, s13 src0_sel:BYTE_0 src1_sel:DWORD
	v_bfrev_b32_e32 v38, 1
	s_and_saveexec_b64 s[6:7], s[10:11]
	s_cbranch_execz .LBB637_92
; %bb.89:                               ;   in Loop: Header=BB637_15 Depth=1
	v_and_b32_e32 v23, 0x7f, v26
	v_cmp_ne_u32_e32 vcc, s14, v23
	v_mov_b32_e32 v38, 0x7f800001
	s_and_saveexec_b64 s[10:11], vcc
	s_cbranch_execz .LBB637_91
; %bb.90:                               ;   in Loop: Header=BB637_15 Depth=1
	v_and_b32_e32 v28, 7, v26
	v_ffbh_u32_e32 v38, v28
	v_min_u32_e32 v38, 32, v38
	v_subrev_u32_e32 v40, 28, v38
	v_lshlrev_b64 v[40:41], v40, v[26:27]
	v_lshrrev_b32_e32 v30, 3, v23
	v_sub_u32_e32 v38, 29, v38
	v_and_b32_e32 v40, 7, v40
	v_cmp_gt_u32_e32 vcc, 8, v23
	v_cndmask_b32_e32 v23, v30, v38, vcc
	v_cndmask_b32_e32 v28, v28, v40, vcc
	v_lshlrev_b32_e32 v30, 24, v26
	v_lshlrev_b32_e32 v28, 20, v28
	v_and_b32_e32 v30, 0x80000000, v30
	v_lshl_add_u32 v23, v23, 23, v36
	v_or3_b32 v38, v30, v23, v28
.LBB637_91:                             ;   in Loop: Header=BB637_15 Depth=1
	s_or_b64 exec, exec, s[10:11]
.LBB637_92:                             ;   in Loop: Header=BB637_15 Depth=1
	s_or_b64 exec, exec, s[6:7]
.LBB637_93:                             ;   in Loop: Header=BB637_15 Depth=1
	s_or_b64 exec, exec, s[4:5]
	v_lshrrev_b16_e32 v28, 8, v26
	v_cmp_ne_u16_e32 vcc, 0, v28
	v_mov_b32_e32 v40, 0
	v_mov_b32_e32 v41, 0
	s_and_saveexec_b64 s[4:5], vcc
	s_cbranch_execz .LBB637_99
; %bb.94:                               ;   in Loop: Header=BB637_15 Depth=1
	v_cmp_ne_u16_e32 vcc, s13, v28
	v_bfrev_b32_e32 v41, 1
	s_and_saveexec_b64 s[6:7], vcc
	s_cbranch_execz .LBB637_98
; %bb.95:                               ;   in Loop: Header=BB637_15 Depth=1
	v_and_b32_e32 v23, 0x7f, v28
	v_cmp_ne_u32_e32 vcc, s14, v23
	v_mov_b32_e32 v41, 0x7f800001
	s_and_saveexec_b64 s[10:11], vcc
	s_cbranch_execz .LBB637_97
; %bb.96:                               ;   in Loop: Header=BB637_15 Depth=1
	v_and_b32_e32 v30, 7, v28
	v_ffbh_u32_e32 v42, v30
	v_min_u32_e32 v44, 32, v42
	v_subrev_u32_e32 v42, 28, v44
	v_lshlrev_b64 v[42:43], v42, v[28:29]
	v_lshrrev_b32_e32 v41, 3, v23
	v_sub_u32_e32 v28, 29, v44
	v_and_b32_e32 v42, 7, v42
	v_cmp_gt_u32_e32 vcc, 8, v23
	v_cndmask_b32_e32 v23, v41, v28, vcc
	v_cndmask_b32_e32 v28, v30, v42, vcc
	v_lshlrev_b32_e32 v30, 16, v26
	v_lshlrev_b32_e32 v28, 20, v28
	v_and_b32_e32 v30, 0x80000000, v30
	v_lshl_add_u32 v23, v23, 23, v36
	v_or3_b32 v41, v30, v23, v28
.LBB637_97:                             ;   in Loop: Header=BB637_15 Depth=1
	s_or_b64 exec, exec, s[10:11]
.LBB637_98:                             ;   in Loop: Header=BB637_15 Depth=1
	s_or_b64 exec, exec, s[6:7]
.LBB637_99:                             ;   in Loop: Header=BB637_15 Depth=1
	s_or_b64 exec, exec, s[4:5]
	v_lshrrev_b32_e32 v28, 16, v26
	v_cmp_ne_u16_sdwa s[6:7], v28, v29 src0_sel:BYTE_0 src1_sel:DWORD
	s_and_saveexec_b64 s[4:5], s[6:7]
	s_cbranch_execz .LBB637_105
; %bb.100:                              ;   in Loop: Header=BB637_15 Depth=1
	v_cmp_ne_u16_sdwa s[10:11], v28, s13 src0_sel:BYTE_0 src1_sel:DWORD
	v_bfrev_b32_e32 v40, 1
	s_and_saveexec_b64 s[6:7], s[10:11]
	s_cbranch_execz .LBB637_104
; %bb.101:                              ;   in Loop: Header=BB637_15 Depth=1
	v_bfe_u32 v23, v26, 16, 7
	v_cmp_ne_u32_e32 vcc, s14, v23
	v_mov_b32_e32 v40, 0x7f800001
	s_and_saveexec_b64 s[10:11], vcc
	s_cbranch_execz .LBB637_103
; %bb.102:                              ;   in Loop: Header=BB637_15 Depth=1
	v_and_b32_e32 v30, 7, v28
	v_ffbh_u32_e32 v42, v30
	v_min_u32_e32 v44, 32, v42
	v_subrev_u32_e32 v42, 28, v44
	v_lshlrev_b64 v[42:43], v42, v[28:29]
	v_lshrrev_b32_e32 v40, 3, v23
	v_sub_u32_e32 v43, 29, v44
	v_and_b32_e32 v42, 7, v42
	v_cmp_gt_u32_e32 vcc, 8, v23
	v_cndmask_b32_e32 v23, v40, v43, vcc
	v_cndmask_b32_e32 v30, v30, v42, vcc
	v_lshlrev_b32_e32 v28, 24, v28
	v_lshlrev_b32_e32 v30, 20, v30
	v_and_b32_e32 v28, 0x80000000, v28
	v_lshl_add_u32 v23, v23, 23, v36
	v_or3_b32 v40, v28, v23, v30
.LBB637_103:                            ;   in Loop: Header=BB637_15 Depth=1
	s_or_b64 exec, exec, s[10:11]
.LBB637_104:                            ;   in Loop: Header=BB637_15 Depth=1
	s_or_b64 exec, exec, s[6:7]
.LBB637_105:                            ;   in Loop: Header=BB637_15 Depth=1
	s_or_b64 exec, exec, s[4:5]
	v_cmp_lt_u32_e32 vcc, s15, v26
	v_mov_b32_e32 v23, 0
	v_mov_b32_e32 v42, 0
	s_and_saveexec_b64 s[4:5], vcc
	s_cbranch_execz .LBB637_111
; %bb.106:                              ;   in Loop: Header=BB637_15 Depth=1
	v_lshrrev_b32_e32 v28, 24, v26
	v_cmp_ne_u32_e32 vcc, s13, v28
	v_bfrev_b32_e32 v42, 1
	s_and_saveexec_b64 s[6:7], vcc
	s_cbranch_execz .LBB637_110
; %bb.107:                              ;   in Loop: Header=BB637_15 Depth=1
	v_bfe_u32 v26, v26, 24, 7
	v_cmp_ne_u32_e32 vcc, s14, v26
	v_mov_b32_e32 v42, 0x7f800001
	s_and_saveexec_b64 s[10:11], vcc
	s_cbranch_execz .LBB637_109
; %bb.108:                              ;   in Loop: Header=BB637_15 Depth=1
	v_and_b32_e32 v30, 7, v28
	v_ffbh_u32_e32 v42, v30
	v_min_u32_e32 v45, 32, v42
	v_subrev_u32_e32 v42, 28, v45
	v_lshlrev_b64 v[42:43], v42, v[28:29]
	v_lshrrev_b32_e32 v44, 3, v26
	v_sub_u32_e32 v43, 29, v45
	v_and_b32_e32 v42, 7, v42
	v_cmp_gt_u32_e32 vcc, 8, v26
	v_cndmask_b32_e32 v26, v44, v43, vcc
	v_cndmask_b32_e32 v30, v30, v42, vcc
	v_lshlrev_b32_e32 v28, 24, v28
	v_lshlrev_b32_e32 v30, 20, v30
	v_and_b32_e32 v28, 0x80000000, v28
	v_lshl_add_u32 v26, v26, 23, v36
	v_or3_b32 v42, v28, v26, v30
.LBB637_109:                            ;   in Loop: Header=BB637_15 Depth=1
	s_or_b64 exec, exec, s[10:11]
.LBB637_110:                            ;   in Loop: Header=BB637_15 Depth=1
	s_or_b64 exec, exec, s[6:7]
.LBB637_111:                            ;   in Loop: Header=BB637_15 Depth=1
	s_or_b64 exec, exec, s[4:5]
	v_cvt_pkrtz_f16_f32 v44, v32, v37
	buffer_load_dword v32, v27, s[0:3], 0 offen offset:16
	buffer_load_dword v30, v27, s[0:3], 0 offen offset:20
	;; [unrolled: 1-line block ×4, first 2 shown]
	v_cvt_pkrtz_f16_f32 v45, v34, v39
	v_cvt_pkrtz_f16_f32 v38, v38, v41
	;; [unrolled: 1-line block ×3, first 2 shown]
	v_mfma_f32_16x16x16f16 v[18:21], v[44:45], v[6:7], v[18:21]
	s_waitcnt vmcnt(3)
	v_cmp_ne_u16_sdwa s[6:7], v32, v29 src0_sel:BYTE_0 src1_sel:DWORD
	v_mfma_f32_16x16x16f16 v[18:21], v[38:39], v[8:9], v[18:21]
	s_and_saveexec_b64 s[4:5], s[6:7]
	s_cbranch_execz .LBB637_117
; %bb.112:                              ;   in Loop: Header=BB637_15 Depth=1
	v_cmp_ne_u16_sdwa s[10:11], v32, s13 src0_sel:BYTE_0 src1_sel:DWORD
	v_bfrev_b32_e32 v23, 1
	s_and_saveexec_b64 s[6:7], s[10:11]
	s_cbranch_execz .LBB637_116
; %bb.113:                              ;   in Loop: Header=BB637_15 Depth=1
	v_and_b32_e32 v34, 0x7f, v32
	v_cmp_ne_u32_e32 vcc, s14, v34
	v_mov_b32_e32 v23, 0x7f800001
	s_and_saveexec_b64 s[10:11], vcc
	s_cbranch_execz .LBB637_115
; %bb.114:                              ;   in Loop: Header=BB637_15 Depth=1
	v_and_b32_e32 v23, 7, v32
	v_ffbh_u32_e32 v38, v23
	v_min_u32_e32 v40, 32, v38
	v_subrev_u32_e32 v38, 28, v40
	v_lshlrev_b64 v[38:39], v38, v[32:33]
	v_lshrrev_b32_e32 v37, 3, v34
	v_sub_u32_e32 v39, 29, v40
	v_and_b32_e32 v38, 7, v38
	v_cmp_gt_u32_e32 vcc, 8, v34
	v_cndmask_b32_e32 v34, v37, v39, vcc
	v_cndmask_b32_e32 v23, v23, v38, vcc
	v_lshlrev_b32_e32 v37, 24, v32
	v_lshlrev_b32_e32 v23, 20, v23
	v_and_b32_e32 v37, 0x80000000, v37
	v_lshl_add_u32 v34, v34, 23, v36
	v_or3_b32 v23, v37, v34, v23
.LBB637_115:                            ;   in Loop: Header=BB637_15 Depth=1
	s_or_b64 exec, exec, s[10:11]
.LBB637_116:                            ;   in Loop: Header=BB637_15 Depth=1
	s_or_b64 exec, exec, s[6:7]
.LBB637_117:                            ;   in Loop: Header=BB637_15 Depth=1
	s_or_b64 exec, exec, s[4:5]
	v_lshrrev_b16_e32 v34, 8, v32
	v_cmp_ne_u16_e32 vcc, 0, v34
	v_mov_b32_e32 v37, 0
	v_mov_b32_e32 v38, 0
	s_and_saveexec_b64 s[4:5], vcc
	s_cbranch_execz .LBB637_123
; %bb.118:                              ;   in Loop: Header=BB637_15 Depth=1
	v_cmp_ne_u16_e32 vcc, s13, v34
	v_bfrev_b32_e32 v38, 1
	s_and_saveexec_b64 s[6:7], vcc
	s_cbranch_execz .LBB637_122
; %bb.119:                              ;   in Loop: Header=BB637_15 Depth=1
	v_and_b32_e32 v39, 0x7f, v34
	v_cmp_ne_u32_e32 vcc, s14, v39
	v_mov_b32_e32 v38, 0x7f800001
	s_and_saveexec_b64 s[10:11], vcc
	s_cbranch_execz .LBB637_121
; %bb.120:                              ;   in Loop: Header=BB637_15 Depth=1
	v_and_b32_e32 v38, 7, v34
	v_ffbh_u32_e32 v40, v38
	v_min_u32_e32 v43, 32, v40
	v_subrev_u32_e32 v40, 28, v43
	v_lshlrev_b64 v[40:41], v40, v[34:35]
	v_lshrrev_b32_e32 v42, 3, v39
	v_sub_u32_e32 v34, 29, v43
	v_and_b32_e32 v40, 7, v40
	v_cmp_gt_u32_e32 vcc, 8, v39
	v_cndmask_b32_e32 v34, v42, v34, vcc
	v_cndmask_b32_e32 v38, v38, v40, vcc
	v_lshlrev_b32_e32 v39, 16, v32
	v_lshlrev_b32_e32 v38, 20, v38
	v_and_b32_e32 v39, 0x80000000, v39
	v_lshl_add_u32 v34, v34, 23, v36
	v_or3_b32 v38, v39, v34, v38
.LBB637_121:                            ;   in Loop: Header=BB637_15 Depth=1
	s_or_b64 exec, exec, s[10:11]
.LBB637_122:                            ;   in Loop: Header=BB637_15 Depth=1
	s_or_b64 exec, exec, s[6:7]
.LBB637_123:                            ;   in Loop: Header=BB637_15 Depth=1
	s_or_b64 exec, exec, s[4:5]
	v_lshrrev_b32_e32 v34, 16, v32
	v_cmp_ne_u16_sdwa s[6:7], v34, v29 src0_sel:BYTE_0 src1_sel:DWORD
	s_and_saveexec_b64 s[4:5], s[6:7]
	s_cbranch_execz .LBB637_129
; %bb.124:                              ;   in Loop: Header=BB637_15 Depth=1
	v_cmp_ne_u16_sdwa s[10:11], v34, s13 src0_sel:BYTE_0 src1_sel:DWORD
	v_bfrev_b32_e32 v37, 1
	s_and_saveexec_b64 s[6:7], s[10:11]
	s_cbranch_execz .LBB637_128
; %bb.125:                              ;   in Loop: Header=BB637_15 Depth=1
	v_bfe_u32 v39, v32, 16, 7
	v_cmp_ne_u32_e32 vcc, s14, v39
	v_mov_b32_e32 v37, 0x7f800001
	s_and_saveexec_b64 s[10:11], vcc
	s_cbranch_execz .LBB637_127
; %bb.126:                              ;   in Loop: Header=BB637_15 Depth=1
	v_and_b32_e32 v37, 7, v34
	v_ffbh_u32_e32 v40, v37
	v_min_u32_e32 v43, 32, v40
	v_subrev_u32_e32 v40, 28, v43
	v_lshlrev_b64 v[40:41], v40, v[34:35]
	v_lshrrev_b32_e32 v42, 3, v39
	v_sub_u32_e32 v41, 29, v43
	v_and_b32_e32 v40, 7, v40
	v_cmp_gt_u32_e32 vcc, 8, v39
	v_cndmask_b32_e32 v39, v42, v41, vcc
	v_cndmask_b32_e32 v37, v37, v40, vcc
	v_lshlrev_b32_e32 v34, 24, v34
	v_lshlrev_b32_e32 v37, 20, v37
	v_and_b32_e32 v34, 0x80000000, v34
	v_lshl_add_u32 v39, v39, 23, v36
	v_or3_b32 v37, v34, v39, v37
.LBB637_127:                            ;   in Loop: Header=BB637_15 Depth=1
	s_or_b64 exec, exec, s[10:11]
.LBB637_128:                            ;   in Loop: Header=BB637_15 Depth=1
	s_or_b64 exec, exec, s[6:7]
.LBB637_129:                            ;   in Loop: Header=BB637_15 Depth=1
	s_or_b64 exec, exec, s[4:5]
	v_cmp_lt_u32_e32 vcc, s15, v32
	v_mov_b32_e32 v39, 0
	v_mov_b32_e32 v40, 0
	s_and_saveexec_b64 s[4:5], vcc
	s_cbranch_execz .LBB637_135
; %bb.130:                              ;   in Loop: Header=BB637_15 Depth=1
	v_lshrrev_b32_e32 v34, 24, v32
	v_cmp_ne_u32_e32 vcc, s13, v34
	v_bfrev_b32_e32 v40, 1
	s_and_saveexec_b64 s[6:7], vcc
	s_cbranch_execz .LBB637_134
; %bb.131:                              ;   in Loop: Header=BB637_15 Depth=1
	v_bfe_u32 v32, v32, 24, 7
	v_cmp_ne_u32_e32 vcc, s14, v32
	v_mov_b32_e32 v40, 0x7f800001
	s_and_saveexec_b64 s[10:11], vcc
	s_cbranch_execz .LBB637_133
; %bb.132:                              ;   in Loop: Header=BB637_15 Depth=1
	v_and_b32_e32 v42, 7, v34
	v_ffbh_u32_e32 v40, v42
	v_min_u32_e32 v44, 32, v40
	v_subrev_u32_e32 v40, 28, v44
	v_lshlrev_b64 v[40:41], v40, v[34:35]
	v_lshrrev_b32_e32 v43, 3, v32
	v_sub_u32_e32 v41, 29, v44
	v_and_b32_e32 v40, 7, v40
	v_cmp_gt_u32_e32 vcc, 8, v32
	v_cndmask_b32_e32 v32, v43, v41, vcc
	v_cndmask_b32_e32 v40, v42, v40, vcc
	v_lshlrev_b32_e32 v34, 24, v34
	v_lshlrev_b32_e32 v40, 20, v40
	v_and_b32_e32 v34, 0x80000000, v34
	v_lshl_add_u32 v32, v32, 23, v36
	v_or3_b32 v40, v34, v32, v40
.LBB637_133:                            ;   in Loop: Header=BB637_15 Depth=1
	s_or_b64 exec, exec, s[10:11]
.LBB637_134:                            ;   in Loop: Header=BB637_15 Depth=1
	s_or_b64 exec, exec, s[6:7]
.LBB637_135:                            ;   in Loop: Header=BB637_15 Depth=1
	s_or_b64 exec, exec, s[4:5]
	s_waitcnt vmcnt(2)
	v_cmp_ne_u16_sdwa s[6:7], v30, v29 src0_sel:BYTE_0 src1_sel:DWORD
	s_and_saveexec_b64 s[4:5], s[6:7]
	s_cbranch_execz .LBB637_141
; %bb.136:                              ;   in Loop: Header=BB637_15 Depth=1
	v_cmp_ne_u16_sdwa s[10:11], v30, s13 src0_sel:BYTE_0 src1_sel:DWORD
	v_bfrev_b32_e32 v39, 1
	s_and_saveexec_b64 s[6:7], s[10:11]
	s_cbranch_execz .LBB637_140
; %bb.137:                              ;   in Loop: Header=BB637_15 Depth=1
	v_and_b32_e32 v32, 0x7f, v30
	v_cmp_ne_u32_e32 vcc, s14, v32
	v_mov_b32_e32 v39, 0x7f800001
	s_and_saveexec_b64 s[10:11], vcc
	s_cbranch_execz .LBB637_139
; %bb.138:                              ;   in Loop: Header=BB637_15 Depth=1
	v_and_b32_e32 v34, 7, v30
	v_ffbh_u32_e32 v41, v34
	v_min_u32_e32 v41, 32, v41
	v_subrev_u32_e32 v42, 28, v41
	v_lshlrev_b64 v[42:43], v42, v[30:31]
	v_lshrrev_b32_e32 v39, 3, v32
	v_sub_u32_e32 v41, 29, v41
	v_and_b32_e32 v42, 7, v42
	v_cmp_gt_u32_e32 vcc, 8, v32
	v_cndmask_b32_e32 v32, v39, v41, vcc
	v_cndmask_b32_e32 v34, v34, v42, vcc
	v_lshlrev_b32_e32 v39, 24, v30
	v_lshlrev_b32_e32 v34, 20, v34
	v_and_b32_e32 v39, 0x80000000, v39
	v_lshl_add_u32 v32, v32, 23, v36
	v_or3_b32 v39, v39, v32, v34
.LBB637_139:                            ;   in Loop: Header=BB637_15 Depth=1
	s_or_b64 exec, exec, s[10:11]
.LBB637_140:                            ;   in Loop: Header=BB637_15 Depth=1
	s_or_b64 exec, exec, s[6:7]
.LBB637_141:                            ;   in Loop: Header=BB637_15 Depth=1
	s_or_b64 exec, exec, s[4:5]
	v_lshrrev_b16_e32 v32, 8, v30
	v_cmp_ne_u16_e32 vcc, 0, v32
	v_mov_b32_e32 v41, 0
	v_mov_b32_e32 v42, 0
	s_and_saveexec_b64 s[4:5], vcc
	s_cbranch_execz .LBB637_147
; %bb.142:                              ;   in Loop: Header=BB637_15 Depth=1
	v_cmp_ne_u16_e32 vcc, s13, v32
	v_bfrev_b32_e32 v42, 1
	s_and_saveexec_b64 s[6:7], vcc
	s_cbranch_execz .LBB637_146
; %bb.143:                              ;   in Loop: Header=BB637_15 Depth=1
	v_and_b32_e32 v34, 0x7f, v32
	v_cmp_ne_u32_e32 vcc, s14, v34
	v_mov_b32_e32 v42, 0x7f800001
	s_and_saveexec_b64 s[10:11], vcc
	s_cbranch_execz .LBB637_145
; %bb.144:                              ;   in Loop: Header=BB637_15 Depth=1
	v_and_b32_e32 v44, 7, v32
	v_ffbh_u32_e32 v42, v44
	v_min_u32_e32 v46, 32, v42
	v_subrev_u32_e32 v42, 28, v46
	v_lshlrev_b64 v[42:43], v42, v[32:33]
	v_lshrrev_b32_e32 v45, 3, v34
	v_sub_u32_e32 v32, 29, v46
	v_and_b32_e32 v42, 7, v42
	v_cmp_gt_u32_e32 vcc, 8, v34
	v_cndmask_b32_e32 v32, v45, v32, vcc
	v_cndmask_b32_e32 v34, v44, v42, vcc
	v_lshlrev_b32_e32 v42, 16, v30
	v_lshlrev_b32_e32 v34, 20, v34
	v_and_b32_e32 v42, 0x80000000, v42
	v_lshl_add_u32 v32, v32, 23, v36
	v_or3_b32 v42, v42, v32, v34
.LBB637_145:                            ;   in Loop: Header=BB637_15 Depth=1
	s_or_b64 exec, exec, s[10:11]
.LBB637_146:                            ;   in Loop: Header=BB637_15 Depth=1
	s_or_b64 exec, exec, s[6:7]
.LBB637_147:                            ;   in Loop: Header=BB637_15 Depth=1
	s_or_b64 exec, exec, s[4:5]
	v_lshrrev_b32_e32 v32, 16, v30
	v_cmp_ne_u16_sdwa s[6:7], v32, v29 src0_sel:BYTE_0 src1_sel:DWORD
	s_and_saveexec_b64 s[4:5], s[6:7]
	s_cbranch_execz .LBB637_153
; %bb.148:                              ;   in Loop: Header=BB637_15 Depth=1
	v_cmp_ne_u16_sdwa s[10:11], v32, s13 src0_sel:BYTE_0 src1_sel:DWORD
	v_bfrev_b32_e32 v41, 1
	s_and_saveexec_b64 s[6:7], s[10:11]
	s_cbranch_execz .LBB637_152
; %bb.149:                              ;   in Loop: Header=BB637_15 Depth=1
	v_bfe_u32 v34, v30, 16, 7
	v_cmp_ne_u32_e32 vcc, s14, v34
	v_mov_b32_e32 v41, 0x7f800001
	s_and_saveexec_b64 s[10:11], vcc
	s_cbranch_execz .LBB637_151
; %bb.150:                              ;   in Loop: Header=BB637_15 Depth=1
	v_and_b32_e32 v41, 7, v32
	v_ffbh_u32_e32 v44, v41
	v_min_u32_e32 v46, 32, v44
	v_subrev_u32_e32 v44, 28, v46
	v_lshlrev_b64 v[44:45], v44, v[32:33]
	v_lshrrev_b32_e32 v43, 3, v34
	v_sub_u32_e32 v45, 29, v46
	v_and_b32_e32 v44, 7, v44
	v_cmp_gt_u32_e32 vcc, 8, v34
	v_cndmask_b32_e32 v34, v43, v45, vcc
	v_cndmask_b32_e32 v41, v41, v44, vcc
	v_lshlrev_b32_e32 v32, 24, v32
	v_lshlrev_b32_e32 v41, 20, v41
	v_and_b32_e32 v32, 0x80000000, v32
	v_lshl_add_u32 v34, v34, 23, v36
	v_or3_b32 v41, v32, v34, v41
.LBB637_151:                            ;   in Loop: Header=BB637_15 Depth=1
	s_or_b64 exec, exec, s[10:11]
.LBB637_152:                            ;   in Loop: Header=BB637_15 Depth=1
	s_or_b64 exec, exec, s[6:7]
.LBB637_153:                            ;   in Loop: Header=BB637_15 Depth=1
	s_or_b64 exec, exec, s[4:5]
	v_cmp_lt_u32_e32 vcc, s15, v30
	v_mov_b32_e32 v34, 0
	v_mov_b32_e32 v43, 0
	s_and_saveexec_b64 s[4:5], vcc
	s_cbranch_execz .LBB637_159
; %bb.154:                              ;   in Loop: Header=BB637_15 Depth=1
	v_lshrrev_b32_e32 v32, 24, v30
	v_cmp_ne_u32_e32 vcc, s13, v32
	v_bfrev_b32_e32 v43, 1
	s_and_saveexec_b64 s[6:7], vcc
	s_cbranch_execz .LBB637_158
; %bb.155:                              ;   in Loop: Header=BB637_15 Depth=1
	v_bfe_u32 v30, v30, 24, 7
	v_cmp_ne_u32_e32 vcc, s14, v30
	v_mov_b32_e32 v43, 0x7f800001
	s_and_saveexec_b64 s[10:11], vcc
	s_cbranch_execz .LBB637_157
; %bb.156:                              ;   in Loop: Header=BB637_15 Depth=1
	v_and_b32_e32 v43, 7, v32
	v_ffbh_u32_e32 v44, v43
	v_min_u32_e32 v47, 32, v44
	v_subrev_u32_e32 v44, 28, v47
	v_lshlrev_b64 v[44:45], v44, v[32:33]
	v_lshrrev_b32_e32 v46, 3, v30
	v_sub_u32_e32 v45, 29, v47
	v_and_b32_e32 v44, 7, v44
	v_cmp_gt_u32_e32 vcc, 8, v30
	v_cndmask_b32_e32 v30, v46, v45, vcc
	v_cndmask_b32_e32 v43, v43, v44, vcc
	v_lshlrev_b32_e32 v32, 24, v32
	v_lshlrev_b32_e32 v43, 20, v43
	v_and_b32_e32 v32, 0x80000000, v32
	v_lshl_add_u32 v30, v30, 23, v36
	v_or3_b32 v43, v32, v30, v43
.LBB637_157:                            ;   in Loop: Header=BB637_15 Depth=1
	s_or_b64 exec, exec, s[10:11]
.LBB637_158:                            ;   in Loop: Header=BB637_15 Depth=1
	s_or_b64 exec, exec, s[6:7]
.LBB637_159:                            ;   in Loop: Header=BB637_15 Depth=1
	s_or_b64 exec, exec, s[4:5]
	v_cvt_pkrtz_f16_f32 v44, v23, v38
	v_cvt_pkrtz_f16_f32 v45, v37, v40
	;; [unrolled: 1-line block ×4, first 2 shown]
	s_waitcnt vmcnt(1)
	v_cmp_ne_u16_sdwa s[6:7], v28, v29 src0_sel:BYTE_0 src1_sel:DWORD
	v_mfma_f32_16x16x16f16 v[18:21], v[44:45], v[10:11], v[18:21]
	v_mfma_f32_16x16x16f16 v[18:21], v[38:39], v[12:13], v[18:21]
	s_and_saveexec_b64 s[4:5], s[6:7]
	s_cbranch_execz .LBB637_165
; %bb.160:                              ;   in Loop: Header=BB637_15 Depth=1
	v_cmp_ne_u16_sdwa s[10:11], v28, s13 src0_sel:BYTE_0 src1_sel:DWORD
	v_bfrev_b32_e32 v34, 1
	s_and_saveexec_b64 s[6:7], s[10:11]
	s_cbranch_execz .LBB637_164
; %bb.161:                              ;   in Loop: Header=BB637_15 Depth=1
	v_and_b32_e32 v23, 0x7f, v28
	v_cmp_ne_u32_e32 vcc, s14, v23
	v_mov_b32_e32 v34, 0x7f800001
	s_and_saveexec_b64 s[10:11], vcc
	s_cbranch_execz .LBB637_163
; %bb.162:                              ;   in Loop: Header=BB637_15 Depth=1
	v_and_b32_e32 v30, 7, v28
	v_ffbh_u32_e32 v34, v30
	v_min_u32_e32 v34, 32, v34
	v_subrev_u32_e32 v37, 28, v34
	v_lshlrev_b64 v[38:39], v37, v[28:29]
	v_lshrrev_b32_e32 v32, 3, v23
	v_sub_u32_e32 v34, 29, v34
	v_and_b32_e32 v37, 7, v38
	v_cmp_gt_u32_e32 vcc, 8, v23
	v_cndmask_b32_e32 v23, v32, v34, vcc
	v_cndmask_b32_e32 v30, v30, v37, vcc
	v_lshlrev_b32_e32 v32, 24, v28
	v_lshlrev_b32_e32 v30, 20, v30
	v_and_b32_e32 v32, 0x80000000, v32
	v_lshl_add_u32 v23, v23, 23, v36
	v_or3_b32 v34, v32, v23, v30
.LBB637_163:                            ;   in Loop: Header=BB637_15 Depth=1
	s_or_b64 exec, exec, s[10:11]
.LBB637_164:                            ;   in Loop: Header=BB637_15 Depth=1
	s_or_b64 exec, exec, s[6:7]
.LBB637_165:                            ;   in Loop: Header=BB637_15 Depth=1
	s_or_b64 exec, exec, s[4:5]
	v_lshrrev_b16_e32 v30, 8, v28
	v_cmp_ne_u16_e32 vcc, 0, v30
	v_mov_b32_e32 v23, 0
	v_mov_b32_e32 v32, 0
	s_and_saveexec_b64 s[4:5], vcc
	s_cbranch_execz .LBB637_171
; %bb.166:                              ;   in Loop: Header=BB637_15 Depth=1
	v_cmp_ne_u16_e32 vcc, s13, v30
	v_bfrev_b32_e32 v32, 1
	s_and_saveexec_b64 s[6:7], vcc
	s_cbranch_execz .LBB637_170
; %bb.167:                              ;   in Loop: Header=BB637_15 Depth=1
	v_and_b32_e32 v37, 0x7f, v30
	v_cmp_ne_u32_e32 vcc, s14, v37
	v_mov_b32_e32 v32, 0x7f800001
	s_and_saveexec_b64 s[10:11], vcc
	s_cbranch_execz .LBB637_169
; %bb.168:                              ;   in Loop: Header=BB637_15 Depth=1
	v_and_b32_e32 v32, 7, v30
	v_ffbh_u32_e32 v38, v32
	v_min_u32_e32 v41, 32, v38
	v_subrev_u32_e32 v38, 28, v41
	v_lshlrev_b64 v[38:39], v38, v[30:31]
	v_lshrrev_b32_e32 v40, 3, v37
	v_sub_u32_e32 v30, 29, v41
	v_and_b32_e32 v38, 7, v38
	v_cmp_gt_u32_e32 vcc, 8, v37
	v_cndmask_b32_e32 v30, v40, v30, vcc
	v_cndmask_b32_e32 v32, v32, v38, vcc
	v_lshlrev_b32_e32 v37, 16, v28
	v_lshlrev_b32_e32 v32, 20, v32
	v_and_b32_e32 v37, 0x80000000, v37
	v_lshl_add_u32 v30, v30, 23, v36
	v_or3_b32 v32, v37, v30, v32
.LBB637_169:                            ;   in Loop: Header=BB637_15 Depth=1
	s_or_b64 exec, exec, s[10:11]
.LBB637_170:                            ;   in Loop: Header=BB637_15 Depth=1
	s_or_b64 exec, exec, s[6:7]
.LBB637_171:                            ;   in Loop: Header=BB637_15 Depth=1
	s_or_b64 exec, exec, s[4:5]
	v_lshrrev_b32_e32 v30, 16, v28
	v_cmp_ne_u16_sdwa s[6:7], v30, v29 src0_sel:BYTE_0 src1_sel:DWORD
	s_and_saveexec_b64 s[4:5], s[6:7]
	s_cbranch_execz .LBB637_177
; %bb.172:                              ;   in Loop: Header=BB637_15 Depth=1
	v_cmp_ne_u16_sdwa s[10:11], v30, s13 src0_sel:BYTE_0 src1_sel:DWORD
	v_bfrev_b32_e32 v23, 1
	s_and_saveexec_b64 s[6:7], s[10:11]
	s_cbranch_execz .LBB637_176
; %bb.173:                              ;   in Loop: Header=BB637_15 Depth=1
	v_bfe_u32 v37, v28, 16, 7
	v_cmp_ne_u32_e32 vcc, s14, v37
	v_mov_b32_e32 v23, 0x7f800001
	s_and_saveexec_b64 s[10:11], vcc
	s_cbranch_execz .LBB637_175
; %bb.174:                              ;   in Loop: Header=BB637_15 Depth=1
	v_and_b32_e32 v23, 7, v30
	v_ffbh_u32_e32 v38, v23
	v_min_u32_e32 v41, 32, v38
	v_subrev_u32_e32 v38, 28, v41
	v_lshlrev_b64 v[38:39], v38, v[30:31]
	v_lshrrev_b32_e32 v40, 3, v37
	v_sub_u32_e32 v39, 29, v41
	v_and_b32_e32 v38, 7, v38
	v_cmp_gt_u32_e32 vcc, 8, v37
	v_cndmask_b32_e32 v37, v40, v39, vcc
	v_cndmask_b32_e32 v23, v23, v38, vcc
	v_lshlrev_b32_e32 v30, 24, v30
	v_lshlrev_b32_e32 v23, 20, v23
	v_and_b32_e32 v30, 0x80000000, v30
	v_lshl_add_u32 v37, v37, 23, v36
	v_or3_b32 v23, v30, v37, v23
.LBB637_175:                            ;   in Loop: Header=BB637_15 Depth=1
	s_or_b64 exec, exec, s[10:11]
.LBB637_176:                            ;   in Loop: Header=BB637_15 Depth=1
	s_or_b64 exec, exec, s[6:7]
.LBB637_177:                            ;   in Loop: Header=BB637_15 Depth=1
	s_or_b64 exec, exec, s[4:5]
	v_cmp_lt_u32_e32 vcc, s15, v28
	v_mov_b32_e32 v37, 0
	v_mov_b32_e32 v38, 0
	s_and_saveexec_b64 s[4:5], vcc
	s_cbranch_execz .LBB637_183
; %bb.178:                              ;   in Loop: Header=BB637_15 Depth=1
	v_lshrrev_b32_e32 v30, 24, v28
	v_cmp_ne_u32_e32 vcc, s13, v30
	v_bfrev_b32_e32 v38, 1
	s_and_saveexec_b64 s[6:7], vcc
	s_cbranch_execz .LBB637_182
; %bb.179:                              ;   in Loop: Header=BB637_15 Depth=1
	v_bfe_u32 v28, v28, 24, 7
	v_cmp_ne_u32_e32 vcc, s14, v28
	v_mov_b32_e32 v38, 0x7f800001
	s_and_saveexec_b64 s[10:11], vcc
	s_cbranch_execz .LBB637_181
; %bb.180:                              ;   in Loop: Header=BB637_15 Depth=1
	v_and_b32_e32 v40, 7, v30
	v_ffbh_u32_e32 v38, v40
	v_min_u32_e32 v42, 32, v38
	v_subrev_u32_e32 v38, 28, v42
	v_lshlrev_b64 v[38:39], v38, v[30:31]
	v_lshrrev_b32_e32 v41, 3, v28
	v_sub_u32_e32 v39, 29, v42
	v_and_b32_e32 v38, 7, v38
	v_cmp_gt_u32_e32 vcc, 8, v28
	v_cndmask_b32_e32 v28, v41, v39, vcc
	v_cndmask_b32_e32 v38, v40, v38, vcc
	v_lshlrev_b32_e32 v30, 24, v30
	v_lshlrev_b32_e32 v38, 20, v38
	v_and_b32_e32 v30, 0x80000000, v30
	v_lshl_add_u32 v28, v28, 23, v36
	v_or3_b32 v38, v30, v28, v38
.LBB637_181:                            ;   in Loop: Header=BB637_15 Depth=1
	s_or_b64 exec, exec, s[10:11]
.LBB637_182:                            ;   in Loop: Header=BB637_15 Depth=1
	s_or_b64 exec, exec, s[6:7]
.LBB637_183:                            ;   in Loop: Header=BB637_15 Depth=1
	s_or_b64 exec, exec, s[4:5]
	s_waitcnt vmcnt(0)
	v_cmp_ne_u16_sdwa s[6:7], v26, v29 src0_sel:BYTE_0 src1_sel:DWORD
	s_and_saveexec_b64 s[4:5], s[6:7]
	s_cbranch_execz .LBB637_189
; %bb.184:                              ;   in Loop: Header=BB637_15 Depth=1
	v_cmp_ne_u16_sdwa s[10:11], v26, s13 src0_sel:BYTE_0 src1_sel:DWORD
	v_bfrev_b32_e32 v37, 1
	s_and_saveexec_b64 s[6:7], s[10:11]
	s_cbranch_execz .LBB637_188
; %bb.185:                              ;   in Loop: Header=BB637_15 Depth=1
	v_and_b32_e32 v28, 0x7f, v26
	v_cmp_ne_u32_e32 vcc, s14, v28
	v_mov_b32_e32 v37, 0x7f800001
	s_and_saveexec_b64 s[10:11], vcc
	s_cbranch_execz .LBB637_187
; %bb.186:                              ;   in Loop: Header=BB637_15 Depth=1
	v_and_b32_e32 v30, 7, v26
	v_ffbh_u32_e32 v39, v30
	v_min_u32_e32 v39, 32, v39
	v_subrev_u32_e32 v40, 28, v39
	v_lshlrev_b64 v[40:41], v40, v[26:27]
	v_lshrrev_b32_e32 v37, 3, v28
	v_sub_u32_e32 v39, 29, v39
	v_and_b32_e32 v40, 7, v40
	v_cmp_gt_u32_e32 vcc, 8, v28
	v_cndmask_b32_e32 v28, v37, v39, vcc
	v_cndmask_b32_e32 v30, v30, v40, vcc
	v_lshlrev_b32_e32 v37, 24, v26
	v_lshlrev_b32_e32 v30, 20, v30
	v_and_b32_e32 v37, 0x80000000, v37
	v_lshl_add_u32 v28, v28, 23, v36
	v_or3_b32 v37, v37, v28, v30
.LBB637_187:                            ;   in Loop: Header=BB637_15 Depth=1
	s_or_b64 exec, exec, s[10:11]
.LBB637_188:                            ;   in Loop: Header=BB637_15 Depth=1
	s_or_b64 exec, exec, s[6:7]
.LBB637_189:                            ;   in Loop: Header=BB637_15 Depth=1
	s_or_b64 exec, exec, s[4:5]
	v_lshrrev_b16_e32 v28, 8, v26
	v_cmp_ne_u16_e32 vcc, 0, v28
	v_mov_b32_e32 v30, 0
	v_mov_b32_e32 v39, 0
	s_and_saveexec_b64 s[4:5], vcc
	s_cbranch_execz .LBB637_195
; %bb.190:                              ;   in Loop: Header=BB637_15 Depth=1
	v_cmp_ne_u16_e32 vcc, s13, v28
	v_bfrev_b32_e32 v39, 1
	s_and_saveexec_b64 s[6:7], vcc
	s_cbranch_execz .LBB637_194
; %bb.191:                              ;   in Loop: Header=BB637_15 Depth=1
	v_and_b32_e32 v40, 0x7f, v28
	v_cmp_ne_u32_e32 vcc, s14, v40
	v_mov_b32_e32 v39, 0x7f800001
	s_and_saveexec_b64 s[10:11], vcc
	s_cbranch_execz .LBB637_193
; %bb.192:                              ;   in Loop: Header=BB637_15 Depth=1
	v_and_b32_e32 v39, 7, v28
	v_ffbh_u32_e32 v42, v39
	v_min_u32_e32 v44, 32, v42
	v_subrev_u32_e32 v42, 28, v44
	v_lshlrev_b64 v[42:43], v42, v[28:29]
	v_lshrrev_b32_e32 v41, 3, v40
	v_sub_u32_e32 v28, 29, v44
	v_and_b32_e32 v42, 7, v42
	v_cmp_gt_u32_e32 vcc, 8, v40
	v_cndmask_b32_e32 v28, v41, v28, vcc
	v_cndmask_b32_e32 v39, v39, v42, vcc
	v_lshlrev_b32_e32 v40, 16, v26
	v_lshlrev_b32_e32 v39, 20, v39
	v_and_b32_e32 v40, 0x80000000, v40
	v_lshl_add_u32 v28, v28, 23, v36
	v_or3_b32 v39, v40, v28, v39
.LBB637_193:                            ;   in Loop: Header=BB637_15 Depth=1
	s_or_b64 exec, exec, s[10:11]
.LBB637_194:                            ;   in Loop: Header=BB637_15 Depth=1
	s_or_b64 exec, exec, s[6:7]
.LBB637_195:                            ;   in Loop: Header=BB637_15 Depth=1
	s_or_b64 exec, exec, s[4:5]
	v_lshrrev_b32_e32 v28, 16, v26
	v_cmp_ne_u16_sdwa s[6:7], v28, v29 src0_sel:BYTE_0 src1_sel:DWORD
	s_and_saveexec_b64 s[4:5], s[6:7]
	s_cbranch_execz .LBB637_201
; %bb.196:                              ;   in Loop: Header=BB637_15 Depth=1
	v_cmp_ne_u16_sdwa s[10:11], v28, s13 src0_sel:BYTE_0 src1_sel:DWORD
	v_bfrev_b32_e32 v30, 1
	s_and_saveexec_b64 s[6:7], s[10:11]
	s_cbranch_execz .LBB637_200
; %bb.197:                              ;   in Loop: Header=BB637_15 Depth=1
	v_bfe_u32 v40, v26, 16, 7
	v_cmp_ne_u32_e32 vcc, s14, v40
	v_mov_b32_e32 v30, 0x7f800001
	s_and_saveexec_b64 s[10:11], vcc
	s_cbranch_execz .LBB637_199
; %bb.198:                              ;   in Loop: Header=BB637_15 Depth=1
	v_and_b32_e32 v30, 7, v28
	v_ffbh_u32_e32 v42, v30
	v_min_u32_e32 v44, 32, v42
	v_subrev_u32_e32 v42, 28, v44
	v_lshlrev_b64 v[42:43], v42, v[28:29]
	v_lshrrev_b32_e32 v41, 3, v40
	v_sub_u32_e32 v43, 29, v44
	v_and_b32_e32 v42, 7, v42
	v_cmp_gt_u32_e32 vcc, 8, v40
	v_cndmask_b32_e32 v40, v41, v43, vcc
	v_cndmask_b32_e32 v30, v30, v42, vcc
	v_lshlrev_b32_e32 v28, 24, v28
	v_lshlrev_b32_e32 v30, 20, v30
	v_and_b32_e32 v28, 0x80000000, v28
	v_lshl_add_u32 v40, v40, 23, v36
	v_or3_b32 v30, v28, v40, v30
.LBB637_199:                            ;   in Loop: Header=BB637_15 Depth=1
	s_or_b64 exec, exec, s[10:11]
.LBB637_200:                            ;   in Loop: Header=BB637_15 Depth=1
	s_or_b64 exec, exec, s[6:7]
.LBB637_201:                            ;   in Loop: Header=BB637_15 Depth=1
	s_or_b64 exec, exec, s[4:5]
	v_cmp_lt_u32_e32 vcc, s15, v26
	v_mov_b32_e32 v40, 0
	s_and_saveexec_b64 s[4:5], vcc
	s_cbranch_execz .LBB637_14
; %bb.202:                              ;   in Loop: Header=BB637_15 Depth=1
	v_lshrrev_b32_e32 v28, 24, v26
	v_cmp_ne_u32_e32 vcc, s13, v28
	v_bfrev_b32_e32 v40, 1
	s_and_saveexec_b64 s[6:7], vcc
	s_cbranch_execz .LBB637_13
; %bb.203:                              ;   in Loop: Header=BB637_15 Depth=1
	v_bfe_u32 v26, v26, 24, 7
	v_cmp_ne_u32_e32 vcc, s14, v26
	v_mov_b32_e32 v40, 0x7f800001
	s_and_saveexec_b64 s[10:11], vcc
	s_cbranch_execz .LBB637_12
; %bb.204:                              ;   in Loop: Header=BB637_15 Depth=1
	v_and_b32_e32 v42, 7, v28
	v_ffbh_u32_e32 v40, v42
	v_min_u32_e32 v44, 32, v40
	v_subrev_u32_e32 v40, 28, v44
	v_lshlrev_b64 v[40:41], v40, v[28:29]
	v_lshrrev_b32_e32 v43, 3, v26
	v_sub_u32_e32 v41, 29, v44
	v_and_b32_e32 v40, 7, v40
	v_cmp_gt_u32_e32 vcc, 8, v26
	v_cndmask_b32_e32 v26, v43, v41, vcc
	v_cndmask_b32_e32 v40, v42, v40, vcc
	v_lshlrev_b32_e32 v28, 24, v28
	v_lshlrev_b32_e32 v40, 20, v40
	v_and_b32_e32 v28, 0x80000000, v28
	v_lshl_add_u32 v26, v26, 23, v36
	v_or3_b32 v40, v28, v26, v40
	s_branch .LBB637_12
.LBB637_205:
	buffer_load_dword v13, off, s[0:3], 0 offset:256
	buffer_load_dword v14, off, s[0:3], 0 offset:260
	;; [unrolled: 1-line block ×16, first 2 shown]
	v_and_b32_e32 v12, 0xc0, v0
	v_add_u32_e32 v12, s20, v12
	v_lshl_or_b32 v12, v1, 2, v12
	v_or_b32_e32 v23, 1, v12
	v_mov_b32_e32 v19, 0xff7fffff
	v_or_b32_e32 v24, 2, v12
	v_or_b32_e32 v25, 3, v12
	v_cmp_gt_i32_e64 s[26:27], s33, v12
	v_cmp_gt_i32_e64 s[28:29], s33, v23
	s_mov_b32 s52, 0xff7fffff
	v_or_b32_e32 v26, 16, v12
	v_or_b32_e32 v27, 17, v12
	;; [unrolled: 1-line block ×12, first 2 shown]
	v_cmp_gt_i32_e64 s[30:31], s33, v24
	v_cmp_gt_i32_e64 s[34:35], s33, v25
	v_mbcnt_lo_u32_b32 v20, -1, 0
	v_cmp_gt_i32_e64 s[36:37], s33, v26
	v_cmp_gt_i32_e64 s[38:39], s33, v27
	v_mbcnt_hi_u32_b32 v20, -1, v20
	v_cmp_gt_i32_e64 s[20:21], s33, v28
	v_cmp_gt_i32_e64 s[22:23], s33, v29
	v_and_b32_e32 v21, 64, v20
	v_cmp_gt_i32_e64 s[16:17], s33, v30
	v_cmp_gt_i32_e64 s[18:19], s33, v32
	v_xor_b32_e32 v22, 32, v20
	v_add_u32_e32 v21, 64, v21
	v_cmp_gt_i32_e64 s[12:13], s33, v34
	v_cmp_gt_i32_e64 s[14:15], s33, v35
	v_cmp_lt_i32_e32 vcc, v22, v21
	v_cmp_gt_i32_e64 s[6:7], s33, v36
	v_cmp_gt_i32_e64 s[10:11], s33, v37
	v_cndmask_b32_e32 v22, v20, v22, vcc
	v_cmp_gt_i32_e32 vcc, s33, v38
	v_cmp_gt_i32_e64 s[4:5], s33, v39
	v_lshlrev_b32_e32 v22, 2, v22
	s_waitcnt vmcnt(15)
	v_cndmask_b32_e64 v12, v19, v13, s[26:27]
	s_waitcnt vmcnt(14)
	v_cndmask_b32_e64 v23, v19, v14, s[28:29]
	;; [unrolled: 2-line block ×4, first 2 shown]
	v_max3_f32 v12, v12, s52, v23
	s_waitcnt vmcnt(11)
	v_cndmask_b32_e64 v26, v19, v17, s[36:37]
	s_waitcnt vmcnt(10)
	v_cndmask_b32_e64 v27, v19, v18, s[38:39]
	v_max3_f32 v12, v12, v24, v25
	s_waitcnt vmcnt(9)
	v_cndmask_b32_e64 v28, v19, v11, s[20:21]
	s_waitcnt vmcnt(8)
	v_cndmask_b32_e64 v29, v19, v10, s[22:23]
	;; [unrolled: 5-line block ×5, first 2 shown]
	v_max3_f32 v12, v12, v34, v35
	s_waitcnt vmcnt(1)
	v_cndmask_b32_e32 v38, v19, v3, vcc
	s_waitcnt vmcnt(0)
	v_cndmask_b32_e64 v19, v19, v2, s[4:5]
	v_max3_f32 v12, v12, v36, v37
	v_max3_f32 v12, v12, v38, v19
	ds_bpermute_b32 v19, v22, v12
	v_xor_b32_e32 v23, 16, v20
	v_cmp_lt_i32_e64 s[40:41], v23, v21
	v_cndmask_b32_e64 v20, v20, v23, s[40:41]
	v_lshlrev_b32_e32 v20, 2, v20
	s_waitcnt lgkmcnt(0)
	v_max_f32_e32 v19, v19, v19
	v_max_f32_e32 v12, v12, v19
	ds_bpermute_b32 v19, v20, v12
	s_waitcnt lgkmcnt(0)
	v_max_f32_e32 v19, v19, v19
	v_max_f32_e32 v12, v12, v19
	v_sub_f32_e32 v13, v13, v12
	v_sub_f32_e32 v14, v14, v12
	;; [unrolled: 1-line block ×3, first 2 shown]
	v_mul_f32_e32 v13, 0x3fb8aa3b, v13
	v_mul_f32_e32 v14, 0x3fb8aa3b, v14
	;; [unrolled: 1-line block ×3, first 2 shown]
	v_exp_f32_e32 v13, v13
	v_exp_f32_e32 v14, v14
	;; [unrolled: 1-line block ×3, first 2 shown]
	v_sub_f32_e32 v16, v16, v12
	v_cndmask_b32_e64 v13, 0, v13, s[26:27]
	v_mul_f32_e32 v16, 0x3fb8aa3b, v16
	v_cndmask_b32_e64 v14, 0, v14, s[28:29]
	v_cndmask_b32_e64 v15, 0, v15, s[30:31]
	v_add_f32_e32 v19, 0, v13
	buffer_store_dword v13, off, s[0:3], 0 offset:256
	buffer_store_dword v14, off, s[0:3], 0 offset:260
	buffer_store_dword v15, off, s[0:3], 0 offset:264
	v_sub_f32_e32 v13, v17, v12
	v_exp_f32_e32 v16, v16
	v_add_f32_e32 v19, v19, v14
	v_mul_f32_e32 v13, 0x3fb8aa3b, v13
	v_sub_f32_e32 v14, v18, v12
	v_exp_f32_e32 v13, v13
	v_mul_f32_e32 v14, 0x3fb8aa3b, v14
	v_sub_f32_e32 v11, v11, v12
	v_exp_f32_e32 v14, v14
	;; [unrolled: 3-line block ×3, first 2 shown]
	v_mul_f32_e32 v10, 0x3fb8aa3b, v10
	v_sub_f32_e32 v9, v9, v12
	v_cndmask_b32_e64 v16, 0, v16, s[34:35]
	v_add_f32_e32 v19, v19, v15
	v_exp_f32_e32 v10, v10
	v_mul_f32_e32 v9, 0x3fb8aa3b, v9
	v_sub_f32_e32 v8, v8, v12
	v_add_f32_e32 v19, v19, v16
	v_cndmask_b32_e64 v13, 0, v13, s[36:37]
	v_exp_f32_e32 v9, v9
	v_mul_f32_e32 v8, 0x3fb8aa3b, v8
	v_sub_f32_e32 v7, v7, v12
	v_add_f32_e32 v15, v19, v13
	v_cndmask_b32_e64 v14, 0, v14, s[38:39]
	;; [unrolled: 5-line block ×5, first 2 shown]
	v_exp_f32_e32 v5, v5
	v_mul_f32_e32 v4, 0x3fb8aa3b, v4
	v_sub_f32_e32 v3, v3, v12
	buffer_store_dword v16, off, s[0:3], 0 offset:268
	buffer_store_dword v13, off, s[0:3], 0 offset:272
	buffer_store_dword v14, off, s[0:3], 0 offset:276
	buffer_store_dword v11, off, s[0:3], 0 offset:280
	buffer_store_dword v10, off, s[0:3], 0 offset:284
	v_add_f32_e32 v10, v15, v9
	v_cndmask_b32_e64 v8, 0, v8, s[18:19]
	v_exp_f32_e32 v4, v4
	v_mul_f32_e32 v3, 0x3fb8aa3b, v3
	v_sub_f32_e32 v2, v2, v12
	v_add_f32_e32 v10, v10, v8
	v_cndmask_b32_e64 v7, 0, v7, s[12:13]
	v_exp_f32_e32 v3, v3
	v_mul_f32_e32 v2, 0x3fb8aa3b, v2
	v_add_f32_e32 v10, v10, v7
	v_cndmask_b32_e64 v6, 0, v6, s[14:15]
	v_exp_f32_e32 v2, v2
	v_add_f32_e32 v10, v10, v6
	v_cndmask_b32_e64 v5, 0, v5, s[6:7]
	buffer_store_dword v9, off, s[0:3], 0 offset:288
	buffer_store_dword v8, off, s[0:3], 0 offset:292
	;; [unrolled: 1-line block ×4, first 2 shown]
	v_add_f32_e32 v6, v10, v5
	v_cndmask_b32_e64 v4, 0, v4, s[10:11]
	v_add_f32_e32 v6, v6, v4
	v_cndmask_b32_e32 v3, 0, v3, vcc
	v_add_f32_e32 v6, v6, v3
	v_cndmask_b32_e64 v2, 0, v2, s[4:5]
	v_add_f32_e32 v6, v6, v2
	ds_bpermute_b32 v7, v22, v6
	buffer_store_dword v5, off, s[0:3], 0 offset:304
	buffer_store_dword v4, off, s[0:3], 0 offset:308
	;; [unrolled: 1-line block ×4, first 2 shown]
	v_cmp_gt_u32_e32 vcc, 16, v62
	s_waitcnt lgkmcnt(0)
	s_barrier
	v_add_f32_e32 v2, v6, v7
	ds_bpermute_b32 v3, v20, v2
	s_waitcnt lgkmcnt(0)
	s_and_saveexec_b64 s[4:5], vcc
	s_cbranch_execz .LBB637_207
; %bb.206:
	v_add_f32_e32 v2, v2, v3
	v_lshlrev_b32_e32 v3, 2, v61
	ds_write2st64_b32 v3, v12, v2 offset1:1
.LBB637_207:
	s_or_b64 exec, exec, s[4:5]
	v_lshlrev_b32_e32 v2, 2, v51
	s_waitcnt lgkmcnt(0)
	s_barrier
	ds_read2_b32 v[12:13], v2 offset1:16
	ds_read2_b32 v[14:15], v2 offset0:32 offset1:48
	ds_read2_b32 v[6:7], v2 offset0:64 offset1:80
	;; [unrolled: 1-line block ×3, first 2 shown]
	s_waitcnt lgkmcnt(0)
	s_barrier
	buffer_load_dword v20, off, s[0:3], 0 offset:256
	buffer_load_dword v21, off, s[0:3], 0 offset:260
	;; [unrolled: 1-line block ×16, first 2 shown]
	v_lshlrev_b32_e32 v18, 3, v1
	v_lshlrev_b32_e32 v19, 11, v60
	v_or3_b32 v39, v19, v33, v18
	v_max3_f32 v18, v12, s52, v13
	v_max3_f32 v18, v18, v14, v15
	v_sub_f32_e32 v12, v12, v18
	v_sub_f32_e32 v13, v13, v18
	v_mul_f32_e32 v12, 0x3fb8aa3b, v12
	v_sub_f32_e32 v14, v14, v18
	v_mul_f32_e32 v13, 0x3fb8aa3b, v13
	v_exp_f32_e32 v12, v12
	v_sub_f32_e32 v15, v15, v18
	v_mul_f32_e32 v14, 0x3fb8aa3b, v14
	v_exp_f32_e32 v13, v13
	v_mul_f32_e32 v15, 0x3fb8aa3b, v15
	v_exp_f32_e32 v14, v14
	v_exp_f32_e32 v15, v15
	v_fma_f32 v6, v12, v6, 0
	v_fmac_f32_e32 v6, v13, v7
	v_fmac_f32_e32 v6, v14, v10
	;; [unrolled: 1-line block ×3, first 2 shown]
	v_cmp_eq_u32_e32 vcc, 1, v60
	v_add_f32_e32 v10, 0x358637bd, v6
	v_cndmask_b32_e32 v12, v12, v13, vcc
	v_cmp_eq_u32_e32 vcc, 2, v60
	v_div_scale_f32 v11, s[4:5], v10, v10, 1.0
	v_cndmask_b32_e32 v7, v12, v14, vcc
	v_rcp_f32_e32 v12, v11
	v_cmp_eq_u32_e32 vcc, 3, v60
	v_cndmask_b32_e32 v7, v7, v15, vcc
	v_div_scale_f32 v13, vcc, 1.0, v10, 1.0
	v_fma_f32 v14, -v11, v12, 1.0
	v_fmac_f32_e32 v12, v14, v12
	v_mul_f32_e32 v14, v13, v12
	v_fma_f32 v15, -v11, v14, v13
	v_fmac_f32_e32 v14, v15, v12
	v_fma_f32 v11, -v11, v14, v13
	v_div_fmas_f32 v11, v11, v12, v14
	v_div_fixup_f32 v10, v11, v10, 1.0
	v_mul_f32_e32 v10, v7, v10
	s_lshl_b32 s18, s51, 4
	v_cmp_gt_u32_e32 vcc, 16, v0
	s_waitcnt vmcnt(14)
	v_pk_mul_f32 v[14:15], v[10:11], v[20:21] op_sel_hi:[0,1]
	v_cvt_f16_f32_e32 v7, v14
	s_waitcnt vmcnt(12)
	v_pk_mul_f32 v[12:13], v[10:11], v[22:23] op_sel_hi:[0,1]
	buffer_store_dword v14, off, s[0:3], 0 offset:256
	buffer_store_dword v15, off, s[0:3], 0 offset:260
	;; [unrolled: 1-line block ×4, first 2 shown]
	s_waitcnt vmcnt(14)
	v_pk_mul_f32 v[20:21], v[10:11], v[24:25] op_sel_hi:[0,1]
	v_cvt_f16_f32_e32 v14, v12
	s_waitcnt vmcnt(12)
	v_pk_mul_f32 v[22:23], v[10:11], v[26:27] op_sel_hi:[0,1]
	v_cvt_f16_f32_e32 v11, v15
	v_cvt_f16_f32_e32 v13, v13
	;; [unrolled: 1-line block ×4, first 2 shown]
	v_pack_b32_f16 v12, v7, v11
	v_cvt_f16_f32_e32 v11, v23
	v_cvt_f16_f32_e32 v7, v22
	v_pack_b32_f16 v13, v14, v13
	v_pack_b32_f16 v15, v15, v19
	s_waitcnt vmcnt(10)
	v_pk_mul_f32 v[4:5], v[10:11], v[4:5] op_sel_hi:[0,1]
	v_pack_b32_f16 v14, v7, v11
	s_waitcnt vmcnt(8)
	v_pk_mul_f32 v[2:3], v[10:11], v[2:3] op_sel_hi:[0,1]
	v_cvt_f16_f32_e32 v11, v5
	buffer_store_dword v22, off, s[0:3], 0 offset:272
	buffer_store_dword v23, off, s[0:3], 0 offset:276
	;; [unrolled: 1-line block ×4, first 2 shown]
	ds_write2st64_b64 v39, v[12:13], v[14:15] offset1:1
	buffer_store_dword v2, off, s[0:3], 0 offset:288
	buffer_store_dword v3, off, s[0:3], 0 offset:292
	v_cvt_f16_f32_e32 v2, v2
	v_cvt_f16_f32_e32 v3, v3
	;; [unrolled: 1-line block ×3, first 2 shown]
	buffer_store_dword v4, off, s[0:3], 0 offset:296
	buffer_store_dword v5, off, s[0:3], 0 offset:300
	s_waitcnt vmcnt(12)
	v_pk_mul_f32 v[4:5], v[10:11], v[16:17] op_sel_hi:[0,1]
	v_pk_mul_f32 v[8:9], v[10:11], v[8:9] op_sel_hi:[0,1]
	v_pack_b32_f16 v2, v2, v3
	v_pack_b32_f16 v3, v7, v11
	buffer_store_dword v8, off, s[0:3], 0 offset:304
	buffer_store_dword v9, off, s[0:3], 0 offset:308
	v_cvt_f16_f32_e32 v7, v8
	v_cvt_f16_f32_e32 v8, v9
	;; [unrolled: 1-line block ×4, first 2 shown]
	buffer_store_dword v4, off, s[0:3], 0 offset:312
	buffer_store_dword v5, off, s[0:3], 0 offset:316
	v_pack_b32_f16 v4, v7, v8
	v_pack_b32_f16 v5, v9, v10
	ds_write2st64_b64 v39, v[2:3], v[4:5] offset0:2 offset1:3
	s_and_saveexec_b64 s[4:5], vcc
	s_cbranch_execz .LBB637_209
; %bb.208:
	v_or_b32_e32 v2, s25, v0
	v_mov_b32_e32 v3, 0
	v_mov_b32_e32 v4, s18
	v_mad_u64_u32 v[4:5], s[6:7], s8, v4, v[2:3]
	v_mov_b32_e32 v2, s24
	s_mul_i32 s9, s9, s18
	v_mad_u64_u32 v[2:3], s[6:7], v4, s50, v[2:3]
	v_add_u32_e32 v5, s9, v5
	v_mov_b32_e32 v4, v3
	v_mad_u64_u32 v[4:5], s[6:7], v5, s50, v[4:5]
	v_mov_b32_e32 v3, v4
	v_lshlrev_b64 v[2:3], 2, v[2:3]
	v_mov_b32_e32 v5, s47
	v_add_co_u32_e32 v4, vcc, s46, v2
	v_addc_co_u32_e32 v5, vcc, v5, v3, vcc
	global_store_dword v[4:5], v18, off
	v_mov_b32_e32 v4, s45
	v_add_co_u32_e32 v2, vcc, s44, v2
	v_addc_co_u32_e32 v3, vcc, v4, v3, vcc
	global_store_dword v[2:3], v6, off
.LBB637_209:
	s_or_b64 exec, exec, s[4:5]
	s_waitcnt lgkmcnt(0)
	s_barrier
	s_load_dword s4, s[42:43], 0x0
	ds_read_b128 v[2:5], v31
	ds_read_b128 v[6:9], v31 offset:16
	ds_read_b128 v[10:13], v31 offset:2048
	;; [unrolled: 1-line block ×7, first 2 shown]
	v_mov_b32_e32 v35, 0x80
	v_mov_b32_e32 v41, 0x140
	s_mov_b64 s[10:11], -1
	s_waitcnt lgkmcnt(0)
	s_mov_b32 s5, s4
	s_mov_b32 s6, s4
	;; [unrolled: 1-line block ×3, first 2 shown]
	s_movk_i32 s9, 0x80
	s_movk_i32 s19, 0x7f
	s_mov_b32 s20, 0xffffff
	v_mov_b32_e32 v43, 0
	v_bfrev_b32_e32 v45, 60
	s_branch .LBB637_213
.LBB637_210:                            ;   in Loop: Header=BB637_213 Depth=1
	s_or_b64 exec, exec, s[16:17]
.LBB637_211:                            ;   in Loop: Header=BB637_213 Depth=1
	s_or_b64 exec, exec, s[14:15]
.LBB637_212:                            ;   in Loop: Header=BB637_213 Depth=1
	s_or_b64 exec, exec, s[12:13]
	v_cvt_pkrtz_f16_f32 v46, v46, v47
	v_cvt_pkrtz_f16_f32 v47, v44, v49
	s_xor_b64 s[12:13], s[10:11], -1
	s_mov_b64 s[10:11], 0
	v_mov_b32_e32 v59, v54
	v_mfma_f32_16x16x16f16 v[60:63], v[46:47], v[30:31], v[34:37]
	s_and_b64 vcc, exec, s[12:13]
	s_nop 5
	v_cvt_pkrtz_f16_f32 v36, v48, v57
	v_cvt_pkrtz_f16_f32 v37, v42, v58
	v_mov_b32_e32 v35, v53
	v_mov_b32_e32 v58, v55
	v_mfma_f32_16x16x16f16 v[46:49], v[36:37], v[32:33], v[60:63]
	v_mov_b32_e32 v57, v56
	s_nop 7
	s_nop 1
	v_pk_mul_f32 v[46:47], v[46:47], s[4:5]
	v_pk_mul_f32 v[36:37], v[48:49], s[6:7]
	v_cvt_f16_f32_e32 v34, v46
	v_cvt_f16_f32_e32 v38, v47
	;; [unrolled: 1-line block ×4, first 2 shown]
	v_pack_b32_f16 v34, v34, v38
	v_pack_b32_f16 v36, v36, v37
	buffer_store_dword v34, v41, s[0:3], 0 offen
	buffer_store_dword v36, v41, s[0:3], 0 offen offset:4
	v_mov_b32_e32 v41, 0x148
	s_cbranch_vccnz .LBB637_595
.LBB637_213:                            ; =>This Inner Loop Header: Depth=1
	buffer_load_dword v36, v35, s[0:3], 0 offen
	buffer_load_dword v34, v35, s[0:3], 0 offen offset:4
	buffer_load_dword v40, v35, s[0:3], 0 offen offset:8
	buffer_load_dword v38, v35, s[0:3], 0 offen offset:12
	v_mov_b32_e32 v35, 0
	s_waitcnt vmcnt(3)
	v_cmp_ne_u16_sdwa s[14:15], v36, v43 src0_sel:BYTE_0 src1_sel:DWORD
	s_and_saveexec_b64 s[12:13], s[14:15]
	s_cbranch_execz .LBB637_219
; %bb.214:                              ;   in Loop: Header=BB637_213 Depth=1
	v_cmp_ne_u16_sdwa s[16:17], v36, s9 src0_sel:BYTE_0 src1_sel:DWORD
	v_bfrev_b32_e32 v35, 1
	s_and_saveexec_b64 s[14:15], s[16:17]
	s_cbranch_execz .LBB637_218
; %bb.215:                              ;   in Loop: Header=BB637_213 Depth=1
	v_and_b32_e32 v37, 0x7f, v36
	v_cmp_ne_u32_e32 vcc, s19, v37
	v_mov_b32_e32 v35, 0x7f800001
	s_and_saveexec_b64 s[16:17], vcc
	s_cbranch_execz .LBB637_217
; %bb.216:                              ;   in Loop: Header=BB637_213 Depth=1
	v_and_b32_e32 v35, 7, v36
	v_ffbh_u32_e32 v44, v35
	v_min_u32_e32 v44, 32, v44
	v_subrev_u32_e32 v46, 28, v44
	v_lshlrev_b64 v[46:47], v46, v[36:37]
	v_lshrrev_b32_e32 v42, 3, v37
	v_sub_u32_e32 v44, 29, v44
	v_and_b32_e32 v46, 7, v46
	v_cmp_gt_u32_e32 vcc, 8, v37
	v_cndmask_b32_e32 v37, v42, v44, vcc
	v_cndmask_b32_e32 v35, v35, v46, vcc
	v_lshlrev_b32_e32 v42, 24, v36
	v_lshlrev_b32_e32 v35, 20, v35
	v_and_b32_e32 v42, 0x80000000, v42
	v_lshl_add_u32 v37, v37, 23, v45
	v_or3_b32 v35, v42, v37, v35
.LBB637_217:                            ;   in Loop: Header=BB637_213 Depth=1
	s_or_b64 exec, exec, s[16:17]
.LBB637_218:                            ;   in Loop: Header=BB637_213 Depth=1
	s_or_b64 exec, exec, s[14:15]
.LBB637_219:                            ;   in Loop: Header=BB637_213 Depth=1
	s_or_b64 exec, exec, s[12:13]
	v_lshrrev_b16_e32 v42, 8, v36
	v_cmp_ne_u16_e32 vcc, 0, v42
	v_mov_b32_e32 v37, 0
	s_and_saveexec_b64 s[12:13], vcc
	s_cbranch_execz .LBB637_225
; %bb.220:                              ;   in Loop: Header=BB637_213 Depth=1
	v_cmp_ne_u16_e32 vcc, s9, v42
	v_bfrev_b32_e32 v37, 1
	s_and_saveexec_b64 s[14:15], vcc
	s_cbranch_execz .LBB637_224
; %bb.221:                              ;   in Loop: Header=BB637_213 Depth=1
	v_and_b32_e32 v44, 0x7f, v42
	v_cmp_ne_u32_e32 vcc, s19, v44
	v_mov_b32_e32 v37, 0x7f800001
	s_and_saveexec_b64 s[16:17], vcc
	s_cbranch_execz .LBB637_223
; %bb.222:                              ;   in Loop: Header=BB637_213 Depth=1
	v_and_b32_e32 v37, 7, v42
	v_ffbh_u32_e32 v46, v37
	v_min_u32_e32 v49, 32, v46
	v_subrev_u32_e32 v46, 28, v49
	v_lshlrev_b64 v[46:47], v46, v[42:43]
	v_lshrrev_b32_e32 v48, 3, v44
	v_sub_u32_e32 v42, 29, v49
	v_and_b32_e32 v46, 7, v46
	v_cmp_gt_u32_e32 vcc, 8, v44
	v_cndmask_b32_e32 v42, v48, v42, vcc
	v_cndmask_b32_e32 v37, v37, v46, vcc
	v_lshlrev_b32_e32 v44, 16, v36
	v_lshlrev_b32_e32 v37, 20, v37
	v_and_b32_e32 v44, 0x80000000, v44
	v_lshl_add_u32 v42, v42, 23, v45
	v_or3_b32 v37, v44, v42, v37
.LBB637_223:                            ;   in Loop: Header=BB637_213 Depth=1
	s_or_b64 exec, exec, s[16:17]
.LBB637_224:                            ;   in Loop: Header=BB637_213 Depth=1
	s_or_b64 exec, exec, s[14:15]
.LBB637_225:                            ;   in Loop: Header=BB637_213 Depth=1
	s_or_b64 exec, exec, s[12:13]
	v_lshrrev_b32_e32 v42, 16, v36
	v_cmp_ne_u16_sdwa s[14:15], v42, v43 src0_sel:BYTE_0 src1_sel:DWORD
	v_mov_b32_e32 v46, 0
	v_mov_b32_e32 v44, 0
	s_and_saveexec_b64 s[12:13], s[14:15]
	s_cbranch_execz .LBB637_231
; %bb.226:                              ;   in Loop: Header=BB637_213 Depth=1
	v_cmp_ne_u16_sdwa s[16:17], v42, s9 src0_sel:BYTE_0 src1_sel:DWORD
	v_bfrev_b32_e32 v44, 1
	s_and_saveexec_b64 s[14:15], s[16:17]
	s_cbranch_execz .LBB637_230
; %bb.227:                              ;   in Loop: Header=BB637_213 Depth=1
	v_bfe_u32 v47, v36, 16, 7
	v_cmp_ne_u32_e32 vcc, s19, v47
	v_mov_b32_e32 v44, 0x7f800001
	s_and_saveexec_b64 s[16:17], vcc
	s_cbranch_execz .LBB637_229
; %bb.228:                              ;   in Loop: Header=BB637_213 Depth=1
	v_and_b32_e32 v44, 7, v42
	v_ffbh_u32_e32 v48, v44
	v_min_u32_e32 v61, 32, v48
	v_subrev_u32_e32 v48, 28, v61
	v_lshlrev_b64 v[48:49], v48, v[42:43]
	v_lshrrev_b32_e32 v60, 3, v47
	v_sub_u32_e32 v49, 29, v61
	v_and_b32_e32 v48, 7, v48
	v_cmp_gt_u32_e32 vcc, 8, v47
	v_cndmask_b32_e32 v47, v60, v49, vcc
	v_cndmask_b32_e32 v44, v44, v48, vcc
	v_lshlrev_b32_e32 v42, 24, v42
	v_lshlrev_b32_e32 v44, 20, v44
	v_and_b32_e32 v42, 0x80000000, v42
	v_lshl_add_u32 v47, v47, 23, v45
	v_or3_b32 v44, v42, v47, v44
.LBB637_229:                            ;   in Loop: Header=BB637_213 Depth=1
	s_or_b64 exec, exec, s[16:17]
.LBB637_230:                            ;   in Loop: Header=BB637_213 Depth=1
	s_or_b64 exec, exec, s[14:15]
.LBB637_231:                            ;   in Loop: Header=BB637_213 Depth=1
	s_or_b64 exec, exec, s[12:13]
	v_cmp_lt_u32_e32 vcc, s20, v36
	s_and_saveexec_b64 s[12:13], vcc
	s_cbranch_execz .LBB637_237
; %bb.232:                              ;   in Loop: Header=BB637_213 Depth=1
	v_lshrrev_b32_e32 v42, 24, v36
	v_cmp_ne_u32_e32 vcc, s9, v42
	v_bfrev_b32_e32 v46, 1
	s_and_saveexec_b64 s[14:15], vcc
	s_cbranch_execz .LBB637_236
; %bb.233:                              ;   in Loop: Header=BB637_213 Depth=1
	v_bfe_u32 v36, v36, 24, 7
	v_cmp_ne_u32_e32 vcc, s19, v36
	v_mov_b32_e32 v46, 0x7f800001
	s_and_saveexec_b64 s[16:17], vcc
	s_cbranch_execz .LBB637_235
; %bb.234:                              ;   in Loop: Header=BB637_213 Depth=1
	v_and_b32_e32 v48, 7, v42
	v_ffbh_u32_e32 v46, v48
	v_min_u32_e32 v60, 32, v46
	v_subrev_u32_e32 v46, 28, v60
	v_lshlrev_b64 v[46:47], v46, v[42:43]
	v_lshrrev_b32_e32 v49, 3, v36
	v_sub_u32_e32 v47, 29, v60
	v_and_b32_e32 v46, 7, v46
	v_cmp_gt_u32_e32 vcc, 8, v36
	v_cndmask_b32_e32 v36, v49, v47, vcc
	v_cndmask_b32_e32 v46, v48, v46, vcc
	v_lshlrev_b32_e32 v42, 24, v42
	v_lshlrev_b32_e32 v46, 20, v46
	v_and_b32_e32 v42, 0x80000000, v42
	v_lshl_add_u32 v36, v36, 23, v45
	v_or3_b32 v46, v42, v36, v46
.LBB637_235:                            ;   in Loop: Header=BB637_213 Depth=1
	s_or_b64 exec, exec, s[16:17]
.LBB637_236:                            ;   in Loop: Header=BB637_213 Depth=1
	s_or_b64 exec, exec, s[14:15]
.LBB637_237:                            ;   in Loop: Header=BB637_213 Depth=1
	s_or_b64 exec, exec, s[12:13]
	s_waitcnt vmcnt(2)
	v_cmp_ne_u16_sdwa s[14:15], v34, v43 src0_sel:BYTE_0 src1_sel:DWORD
	v_mov_b32_e32 v42, 0
	v_mov_b32_e32 v47, 0
	s_and_saveexec_b64 s[12:13], s[14:15]
	s_cbranch_execz .LBB637_243
; %bb.238:                              ;   in Loop: Header=BB637_213 Depth=1
	v_cmp_ne_u16_sdwa s[16:17], v34, s9 src0_sel:BYTE_0 src1_sel:DWORD
	v_bfrev_b32_e32 v47, 1
	s_and_saveexec_b64 s[14:15], s[16:17]
	s_cbranch_execz .LBB637_242
; %bb.239:                              ;   in Loop: Header=BB637_213 Depth=1
	v_and_b32_e32 v36, 0x7f, v34
	v_cmp_ne_u32_e32 vcc, s19, v36
	v_mov_b32_e32 v47, 0x7f800001
	s_and_saveexec_b64 s[16:17], vcc
	s_cbranch_execz .LBB637_241
; %bb.240:                              ;   in Loop: Header=BB637_213 Depth=1
	v_and_b32_e32 v47, 7, v34
	v_ffbh_u32_e32 v48, v47
	v_min_u32_e32 v61, 32, v48
	v_subrev_u32_e32 v48, 28, v61
	v_lshlrev_b64 v[48:49], v48, v[34:35]
	v_lshrrev_b32_e32 v60, 3, v36
	v_sub_u32_e32 v49, 29, v61
	v_and_b32_e32 v48, 7, v48
	v_cmp_gt_u32_e32 vcc, 8, v36
	v_cndmask_b32_e32 v36, v60, v49, vcc
	v_cndmask_b32_e32 v47, v47, v48, vcc
	v_lshlrev_b32_e32 v48, 24, v34
	v_lshlrev_b32_e32 v47, 20, v47
	v_and_b32_e32 v48, 0x80000000, v48
	v_lshl_add_u32 v36, v36, 23, v45
	v_or3_b32 v47, v48, v36, v47
.LBB637_241:                            ;   in Loop: Header=BB637_213 Depth=1
	s_or_b64 exec, exec, s[16:17]
.LBB637_242:                            ;   in Loop: Header=BB637_213 Depth=1
	s_or_b64 exec, exec, s[14:15]
.LBB637_243:                            ;   in Loop: Header=BB637_213 Depth=1
	s_or_b64 exec, exec, s[12:13]
	v_lshrrev_b16_e32 v36, 8, v34
	v_cmp_ne_u16_e32 vcc, 0, v36
	s_and_saveexec_b64 s[12:13], vcc
	s_cbranch_execz .LBB637_249
; %bb.244:                              ;   in Loop: Header=BB637_213 Depth=1
	v_cmp_ne_u16_e32 vcc, s9, v36
	v_bfrev_b32_e32 v42, 1
	s_and_saveexec_b64 s[14:15], vcc
	s_cbranch_execz .LBB637_248
; %bb.245:                              ;   in Loop: Header=BB637_213 Depth=1
	v_and_b32_e32 v48, 0x7f, v36
	v_cmp_ne_u32_e32 vcc, s19, v48
	v_mov_b32_e32 v42, 0x7f800001
	s_and_saveexec_b64 s[16:17], vcc
	s_cbranch_execz .LBB637_247
; %bb.246:                              ;   in Loop: Header=BB637_213 Depth=1
	v_and_b32_e32 v42, 7, v36
	v_ffbh_u32_e32 v60, v42
	v_min_u32_e32 v62, 32, v60
	v_subrev_u32_e32 v60, 28, v62
	v_lshlrev_b64 v[60:61], v60, v[36:37]
	v_lshrrev_b32_e32 v49, 3, v48
	v_sub_u32_e32 v36, 29, v62
	v_and_b32_e32 v60, 7, v60
	v_cmp_gt_u32_e32 vcc, 8, v48
	v_cndmask_b32_e32 v36, v49, v36, vcc
	v_cndmask_b32_e32 v42, v42, v60, vcc
	v_lshlrev_b32_e32 v48, 16, v34
	v_lshlrev_b32_e32 v42, 20, v42
	v_and_b32_e32 v48, 0x80000000, v48
	v_lshl_add_u32 v36, v36, 23, v45
	v_or3_b32 v42, v48, v36, v42
.LBB637_247:                            ;   in Loop: Header=BB637_213 Depth=1
	s_or_b64 exec, exec, s[16:17]
.LBB637_248:                            ;   in Loop: Header=BB637_213 Depth=1
	s_or_b64 exec, exec, s[14:15]
.LBB637_249:                            ;   in Loop: Header=BB637_213 Depth=1
	s_or_b64 exec, exec, s[12:13]
	v_lshrrev_b32_e32 v36, 16, v34
	v_cmp_ne_u16_sdwa s[14:15], v36, v43 src0_sel:BYTE_0 src1_sel:DWORD
	v_mov_b32_e32 v49, 0
	v_mov_b32_e32 v48, 0
	s_and_saveexec_b64 s[12:13], s[14:15]
	s_cbranch_execz .LBB637_255
; %bb.250:                              ;   in Loop: Header=BB637_213 Depth=1
	v_cmp_ne_u16_sdwa s[16:17], v36, s9 src0_sel:BYTE_0 src1_sel:DWORD
	v_bfrev_b32_e32 v48, 1
	s_and_saveexec_b64 s[14:15], s[16:17]
	s_cbranch_execz .LBB637_254
; %bb.251:                              ;   in Loop: Header=BB637_213 Depth=1
	v_bfe_u32 v60, v34, 16, 7
	v_cmp_ne_u32_e32 vcc, s19, v60
	v_mov_b32_e32 v48, 0x7f800001
	s_and_saveexec_b64 s[16:17], vcc
	s_cbranch_execz .LBB637_253
; %bb.252:                              ;   in Loop: Header=BB637_213 Depth=1
	v_and_b32_e32 v48, 7, v36
	v_ffbh_u32_e32 v62, v48
	v_min_u32_e32 v64, 32, v62
	v_subrev_u32_e32 v62, 28, v64
	v_lshlrev_b64 v[62:63], v62, v[36:37]
	v_lshrrev_b32_e32 v61, 3, v60
	v_sub_u32_e32 v63, 29, v64
	v_and_b32_e32 v62, 7, v62
	v_cmp_gt_u32_e32 vcc, 8, v60
	v_cndmask_b32_e32 v60, v61, v63, vcc
	v_cndmask_b32_e32 v48, v48, v62, vcc
	v_lshlrev_b32_e32 v36, 24, v36
	v_lshlrev_b32_e32 v48, 20, v48
	v_and_b32_e32 v36, 0x80000000, v36
	v_lshl_add_u32 v60, v60, 23, v45
	v_or3_b32 v48, v36, v60, v48
.LBB637_253:                            ;   in Loop: Header=BB637_213 Depth=1
	s_or_b64 exec, exec, s[16:17]
.LBB637_254:                            ;   in Loop: Header=BB637_213 Depth=1
	s_or_b64 exec, exec, s[14:15]
.LBB637_255:                            ;   in Loop: Header=BB637_213 Depth=1
	s_or_b64 exec, exec, s[12:13]
	v_cmp_lt_u32_e32 vcc, s20, v34
	s_and_saveexec_b64 s[12:13], vcc
	s_cbranch_execz .LBB637_261
; %bb.256:                              ;   in Loop: Header=BB637_213 Depth=1
	v_lshrrev_b32_e32 v36, 24, v34
	v_cmp_ne_u32_e32 vcc, s9, v36
	v_bfrev_b32_e32 v49, 1
	s_and_saveexec_b64 s[14:15], vcc
	s_cbranch_execz .LBB637_260
; %bb.257:                              ;   in Loop: Header=BB637_213 Depth=1
	v_bfe_u32 v34, v34, 24, 7
	v_cmp_ne_u32_e32 vcc, s19, v34
	v_mov_b32_e32 v49, 0x7f800001
	s_and_saveexec_b64 s[16:17], vcc
	s_cbranch_execz .LBB637_259
; %bb.258:                              ;   in Loop: Header=BB637_213 Depth=1
	v_and_b32_e32 v49, 7, v36
	v_ffbh_u32_e32 v60, v49
	v_min_u32_e32 v63, 32, v60
	v_subrev_u32_e32 v60, 28, v63
	v_lshlrev_b64 v[60:61], v60, v[36:37]
	v_lshrrev_b32_e32 v62, 3, v34
	v_sub_u32_e32 v61, 29, v63
	v_and_b32_e32 v60, 7, v60
	v_cmp_gt_u32_e32 vcc, 8, v34
	v_cndmask_b32_e32 v34, v62, v61, vcc
	v_cndmask_b32_e32 v49, v49, v60, vcc
	v_lshlrev_b32_e32 v36, 24, v36
	v_lshlrev_b32_e32 v49, 20, v49
	v_and_b32_e32 v36, 0x80000000, v36
	v_lshl_add_u32 v34, v34, 23, v45
	v_or3_b32 v49, v36, v34, v49
.LBB637_259:                            ;   in Loop: Header=BB637_213 Depth=1
	s_or_b64 exec, exec, s[16:17]
.LBB637_260:                            ;   in Loop: Header=BB637_213 Depth=1
	s_or_b64 exec, exec, s[14:15]
.LBB637_261:                            ;   in Loop: Header=BB637_213 Depth=1
	s_or_b64 exec, exec, s[12:13]
	v_cvt_pkrtz_f16_f32 v34, v35, v37
	v_cvt_pkrtz_f16_f32 v35, v44, v46
	;; [unrolled: 1-line block ×4, first 2 shown]
	v_mov_b32_e32 v44, 0
	v_mfma_f32_16x16x16f16 v[34:37], v[34:35], v[2:3], 0
	s_waitcnt vmcnt(1)
	v_cmp_ne_u16_sdwa s[14:15], v40, v43 src0_sel:BYTE_0 src1_sel:DWORD
	v_mov_b32_e32 v46, 0
	v_mfma_f32_16x16x16f16 v[34:37], v[60:61], v[4:5], v[34:37]
	s_and_saveexec_b64 s[12:13], s[14:15]
	s_cbranch_execz .LBB637_267
; %bb.262:                              ;   in Loop: Header=BB637_213 Depth=1
	v_cmp_ne_u16_sdwa s[16:17], v40, s9 src0_sel:BYTE_0 src1_sel:DWORD
	v_bfrev_b32_e32 v46, 1
	s_and_saveexec_b64 s[14:15], s[16:17]
	s_cbranch_execz .LBB637_266
; %bb.263:                              ;   in Loop: Header=BB637_213 Depth=1
	v_and_b32_e32 v42, 0x7f, v40
	v_cmp_ne_u32_e32 vcc, s19, v42
	v_mov_b32_e32 v46, 0x7f800001
	s_and_saveexec_b64 s[16:17], vcc
	s_cbranch_execz .LBB637_265
; %bb.264:                              ;   in Loop: Header=BB637_213 Depth=1
	v_and_b32_e32 v48, 7, v40
	v_ffbh_u32_e32 v46, v48
	v_min_u32_e32 v60, 32, v46
	v_subrev_u32_e32 v46, 28, v60
	v_lshlrev_b64 v[46:47], v46, v[40:41]
	v_lshrrev_b32_e32 v49, 3, v42
	v_sub_u32_e32 v47, 29, v60
	v_and_b32_e32 v46, 7, v46
	v_cmp_gt_u32_e32 vcc, 8, v42
	v_cndmask_b32_e32 v42, v49, v47, vcc
	v_cndmask_b32_e32 v46, v48, v46, vcc
	v_lshlrev_b32_e32 v47, 24, v40
	v_lshlrev_b32_e32 v46, 20, v46
	v_and_b32_e32 v47, 0x80000000, v47
	v_lshl_add_u32 v42, v42, 23, v45
	v_or3_b32 v46, v47, v42, v46
.LBB637_265:                            ;   in Loop: Header=BB637_213 Depth=1
	s_or_b64 exec, exec, s[16:17]
.LBB637_266:                            ;   in Loop: Header=BB637_213 Depth=1
	s_or_b64 exec, exec, s[14:15]
.LBB637_267:                            ;   in Loop: Header=BB637_213 Depth=1
	s_or_b64 exec, exec, s[12:13]
	v_lshrrev_b16_e32 v42, 8, v40
	v_cmp_ne_u16_e32 vcc, 0, v42
	v_mov_b32_e32 v48, 0
	s_and_saveexec_b64 s[12:13], vcc
	s_cbranch_execz .LBB637_273
; %bb.268:                              ;   in Loop: Header=BB637_213 Depth=1
	v_cmp_ne_u16_e32 vcc, s9, v42
	v_bfrev_b32_e32 v48, 1
	s_and_saveexec_b64 s[14:15], vcc
	s_cbranch_execz .LBB637_272
; %bb.269:                              ;   in Loop: Header=BB637_213 Depth=1
	v_and_b32_e32 v47, 0x7f, v42
	v_cmp_ne_u32_e32 vcc, s19, v47
	v_mov_b32_e32 v48, 0x7f800001
	s_and_saveexec_b64 s[16:17], vcc
	s_cbranch_execz .LBB637_271
; %bb.270:                              ;   in Loop: Header=BB637_213 Depth=1
	v_and_b32_e32 v60, 7, v42
	v_ffbh_u32_e32 v48, v60
	v_min_u32_e32 v62, 32, v48
	v_subrev_u32_e32 v48, 28, v62
	v_lshlrev_b64 v[48:49], v48, v[42:43]
	v_lshrrev_b32_e32 v61, 3, v47
	v_sub_u32_e32 v42, 29, v62
	v_and_b32_e32 v48, 7, v48
	v_cmp_gt_u32_e32 vcc, 8, v47
	v_cndmask_b32_e32 v42, v61, v42, vcc
	v_cndmask_b32_e32 v47, v60, v48, vcc
	v_lshlrev_b32_e32 v48, 16, v40
	v_lshlrev_b32_e32 v47, 20, v47
	v_and_b32_e32 v48, 0x80000000, v48
	v_lshl_add_u32 v42, v42, 23, v45
	v_or3_b32 v48, v48, v42, v47
.LBB637_271:                            ;   in Loop: Header=BB637_213 Depth=1
	s_or_b64 exec, exec, s[16:17]
.LBB637_272:                            ;   in Loop: Header=BB637_213 Depth=1
	s_or_b64 exec, exec, s[14:15]
.LBB637_273:                            ;   in Loop: Header=BB637_213 Depth=1
	s_or_b64 exec, exec, s[12:13]
	v_lshrrev_b32_e32 v42, 16, v40
	v_cmp_ne_u16_sdwa s[14:15], v42, v43 src0_sel:BYTE_0 src1_sel:DWORD
	s_and_saveexec_b64 s[12:13], s[14:15]
	s_cbranch_execz .LBB637_279
; %bb.274:                              ;   in Loop: Header=BB637_213 Depth=1
	v_cmp_ne_u16_sdwa s[16:17], v42, s9 src0_sel:BYTE_0 src1_sel:DWORD
	v_bfrev_b32_e32 v44, 1
	s_and_saveexec_b64 s[14:15], s[16:17]
	s_cbranch_execz .LBB637_278
; %bb.275:                              ;   in Loop: Header=BB637_213 Depth=1
	v_bfe_u32 v47, v40, 16, 7
	v_cmp_ne_u32_e32 vcc, s19, v47
	v_mov_b32_e32 v44, 0x7f800001
	s_and_saveexec_b64 s[16:17], vcc
	s_cbranch_execz .LBB637_277
; %bb.276:                              ;   in Loop: Header=BB637_213 Depth=1
	v_and_b32_e32 v44, 7, v42
	v_ffbh_u32_e32 v60, v44
	v_min_u32_e32 v62, 32, v60
	v_subrev_u32_e32 v60, 28, v62
	v_lshlrev_b64 v[60:61], v60, v[42:43]
	v_lshrrev_b32_e32 v49, 3, v47
	v_sub_u32_e32 v61, 29, v62
	v_and_b32_e32 v60, 7, v60
	v_cmp_gt_u32_e32 vcc, 8, v47
	v_cndmask_b32_e32 v47, v49, v61, vcc
	v_cndmask_b32_e32 v44, v44, v60, vcc
	v_lshlrev_b32_e32 v42, 24, v42
	v_lshlrev_b32_e32 v44, 20, v44
	v_and_b32_e32 v42, 0x80000000, v42
	v_lshl_add_u32 v47, v47, 23, v45
	v_or3_b32 v44, v42, v47, v44
.LBB637_277:                            ;   in Loop: Header=BB637_213 Depth=1
	s_or_b64 exec, exec, s[16:17]
.LBB637_278:                            ;   in Loop: Header=BB637_213 Depth=1
	s_or_b64 exec, exec, s[14:15]
.LBB637_279:                            ;   in Loop: Header=BB637_213 Depth=1
	s_or_b64 exec, exec, s[12:13]
	v_cmp_lt_u32_e32 vcc, s20, v40
	v_mov_b32_e32 v49, 0
	v_mov_b32_e32 v60, 0
	s_and_saveexec_b64 s[12:13], vcc
	s_cbranch_execz .LBB637_285
; %bb.280:                              ;   in Loop: Header=BB637_213 Depth=1
	v_lshrrev_b32_e32 v42, 24, v40
	v_cmp_ne_u32_e32 vcc, s9, v42
	v_bfrev_b32_e32 v60, 1
	s_and_saveexec_b64 s[14:15], vcc
	s_cbranch_execz .LBB637_284
; %bb.281:                              ;   in Loop: Header=BB637_213 Depth=1
	v_bfe_u32 v40, v40, 24, 7
	v_cmp_ne_u32_e32 vcc, s19, v40
	v_mov_b32_e32 v60, 0x7f800001
	s_and_saveexec_b64 s[16:17], vcc
	s_cbranch_execz .LBB637_283
; %bb.282:                              ;   in Loop: Header=BB637_213 Depth=1
	v_and_b32_e32 v47, 7, v42
	v_ffbh_u32_e32 v60, v47
	v_min_u32_e32 v63, 32, v60
	v_subrev_u32_e32 v60, 28, v63
	v_lshlrev_b64 v[60:61], v60, v[42:43]
	v_lshrrev_b32_e32 v62, 3, v40
	v_sub_u32_e32 v61, 29, v63
	v_and_b32_e32 v60, 7, v60
	v_cmp_gt_u32_e32 vcc, 8, v40
	v_cndmask_b32_e32 v40, v62, v61, vcc
	v_cndmask_b32_e32 v47, v47, v60, vcc
	v_lshlrev_b32_e32 v42, 24, v42
	v_lshlrev_b32_e32 v47, 20, v47
	v_and_b32_e32 v42, 0x80000000, v42
	v_lshl_add_u32 v40, v40, 23, v45
	v_or3_b32 v60, v42, v40, v47
.LBB637_283:                            ;   in Loop: Header=BB637_213 Depth=1
	s_or_b64 exec, exec, s[16:17]
.LBB637_284:                            ;   in Loop: Header=BB637_213 Depth=1
	s_or_b64 exec, exec, s[14:15]
.LBB637_285:                            ;   in Loop: Header=BB637_213 Depth=1
	s_or_b64 exec, exec, s[12:13]
	s_waitcnt vmcnt(0)
	v_cmp_ne_u16_sdwa s[14:15], v38, v43 src0_sel:BYTE_0 src1_sel:DWORD
	s_and_saveexec_b64 s[12:13], s[14:15]
	s_cbranch_execz .LBB637_291
; %bb.286:                              ;   in Loop: Header=BB637_213 Depth=1
	v_cmp_ne_u16_sdwa s[16:17], v38, s9 src0_sel:BYTE_0 src1_sel:DWORD
	v_bfrev_b32_e32 v49, 1
	s_and_saveexec_b64 s[14:15], s[16:17]
	s_cbranch_execz .LBB637_290
; %bb.287:                              ;   in Loop: Header=BB637_213 Depth=1
	v_and_b32_e32 v40, 0x7f, v38
	v_cmp_ne_u32_e32 vcc, s19, v40
	v_mov_b32_e32 v49, 0x7f800001
	s_and_saveexec_b64 s[16:17], vcc
	s_cbranch_execz .LBB637_289
; %bb.288:                              ;   in Loop: Header=BB637_213 Depth=1
	v_and_b32_e32 v42, 7, v38
	v_ffbh_u32_e32 v49, v42
	v_min_u32_e32 v49, 32, v49
	v_subrev_u32_e32 v61, 28, v49
	v_lshlrev_b64 v[62:63], v61, v[38:39]
	v_lshrrev_b32_e32 v47, 3, v40
	v_sub_u32_e32 v49, 29, v49
	v_and_b32_e32 v61, 7, v62
	v_cmp_gt_u32_e32 vcc, 8, v40
	v_cndmask_b32_e32 v40, v47, v49, vcc
	v_cndmask_b32_e32 v42, v42, v61, vcc
	v_lshlrev_b32_e32 v47, 24, v38
	v_lshlrev_b32_e32 v42, 20, v42
	v_and_b32_e32 v47, 0x80000000, v47
	v_lshl_add_u32 v40, v40, 23, v45
	v_or3_b32 v49, v47, v40, v42
.LBB637_289:                            ;   in Loop: Header=BB637_213 Depth=1
	s_or_b64 exec, exec, s[16:17]
.LBB637_290:                            ;   in Loop: Header=BB637_213 Depth=1
	s_or_b64 exec, exec, s[14:15]
.LBB637_291:                            ;   in Loop: Header=BB637_213 Depth=1
	s_or_b64 exec, exec, s[12:13]
	v_lshrrev_b16_e32 v40, 8, v38
	v_cmp_ne_u16_e32 vcc, 0, v40
	v_mov_b32_e32 v61, 0
	v_mov_b32_e32 v62, 0
	s_and_saveexec_b64 s[12:13], vcc
	s_cbranch_execz .LBB637_297
; %bb.292:                              ;   in Loop: Header=BB637_213 Depth=1
	v_cmp_ne_u16_e32 vcc, s9, v40
	v_bfrev_b32_e32 v62, 1
	s_and_saveexec_b64 s[14:15], vcc
	s_cbranch_execz .LBB637_296
; %bb.293:                              ;   in Loop: Header=BB637_213 Depth=1
	v_and_b32_e32 v42, 0x7f, v40
	v_cmp_ne_u32_e32 vcc, s19, v42
	v_mov_b32_e32 v62, 0x7f800001
	s_and_saveexec_b64 s[16:17], vcc
	s_cbranch_execz .LBB637_295
; %bb.294:                              ;   in Loop: Header=BB637_213 Depth=1
	v_and_b32_e32 v47, 7, v40
	v_ffbh_u32_e32 v62, v47
	v_min_u32_e32 v65, 32, v62
	v_subrev_u32_e32 v62, 28, v65
	v_lshlrev_b64 v[62:63], v62, v[40:41]
	v_lshrrev_b32_e32 v64, 3, v42
	v_sub_u32_e32 v40, 29, v65
	v_and_b32_e32 v62, 7, v62
	v_cmp_gt_u32_e32 vcc, 8, v42
	v_cndmask_b32_e32 v40, v64, v40, vcc
	v_cndmask_b32_e32 v42, v47, v62, vcc
	v_lshlrev_b32_e32 v47, 16, v38
	v_lshlrev_b32_e32 v42, 20, v42
	v_and_b32_e32 v47, 0x80000000, v47
	v_lshl_add_u32 v40, v40, 23, v45
	v_or3_b32 v62, v47, v40, v42
.LBB637_295:                            ;   in Loop: Header=BB637_213 Depth=1
	s_or_b64 exec, exec, s[16:17]
.LBB637_296:                            ;   in Loop: Header=BB637_213 Depth=1
	s_or_b64 exec, exec, s[14:15]
.LBB637_297:                            ;   in Loop: Header=BB637_213 Depth=1
	s_or_b64 exec, exec, s[12:13]
	v_lshrrev_b32_e32 v40, 16, v38
	v_cmp_ne_u16_sdwa s[14:15], v40, v43 src0_sel:BYTE_0 src1_sel:DWORD
	s_and_saveexec_b64 s[12:13], s[14:15]
	s_cbranch_execz .LBB637_303
; %bb.298:                              ;   in Loop: Header=BB637_213 Depth=1
	v_cmp_ne_u16_sdwa s[16:17], v40, s9 src0_sel:BYTE_0 src1_sel:DWORD
	v_bfrev_b32_e32 v61, 1
	s_and_saveexec_b64 s[14:15], s[16:17]
	s_cbranch_execz .LBB637_302
; %bb.299:                              ;   in Loop: Header=BB637_213 Depth=1
	v_bfe_u32 v42, v38, 16, 7
	v_cmp_ne_u32_e32 vcc, s19, v42
	v_mov_b32_e32 v61, 0x7f800001
	s_and_saveexec_b64 s[16:17], vcc
	s_cbranch_execz .LBB637_301
; %bb.300:                              ;   in Loop: Header=BB637_213 Depth=1
	v_and_b32_e32 v47, 7, v40
	v_ffbh_u32_e32 v63, v47
	v_min_u32_e32 v63, 32, v63
	v_subrev_u32_e32 v64, 28, v63
	v_lshlrev_b64 v[64:65], v64, v[40:41]
	v_lshrrev_b32_e32 v61, 3, v42
	v_sub_u32_e32 v63, 29, v63
	v_and_b32_e32 v64, 7, v64
	v_cmp_gt_u32_e32 vcc, 8, v42
	v_cndmask_b32_e32 v42, v61, v63, vcc
	v_cndmask_b32_e32 v47, v47, v64, vcc
	v_lshlrev_b32_e32 v40, 24, v40
	v_lshlrev_b32_e32 v47, 20, v47
	v_and_b32_e32 v40, 0x80000000, v40
	v_lshl_add_u32 v42, v42, 23, v45
	v_or3_b32 v61, v40, v42, v47
.LBB637_301:                            ;   in Loop: Header=BB637_213 Depth=1
	s_or_b64 exec, exec, s[16:17]
.LBB637_302:                            ;   in Loop: Header=BB637_213 Depth=1
	s_or_b64 exec, exec, s[14:15]
.LBB637_303:                            ;   in Loop: Header=BB637_213 Depth=1
	s_or_b64 exec, exec, s[12:13]
	v_cmp_lt_u32_e32 vcc, s20, v38
	v_mov_b32_e32 v47, 0
	v_mov_b32_e32 v63, 0
	s_and_saveexec_b64 s[12:13], vcc
	s_cbranch_execz .LBB637_309
; %bb.304:                              ;   in Loop: Header=BB637_213 Depth=1
	v_lshrrev_b32_e32 v40, 24, v38
	v_cmp_ne_u32_e32 vcc, s9, v40
	v_bfrev_b32_e32 v63, 1
	s_and_saveexec_b64 s[14:15], vcc
	s_cbranch_execz .LBB637_308
; %bb.305:                              ;   in Loop: Header=BB637_213 Depth=1
	v_bfe_u32 v38, v38, 24, 7
	v_cmp_ne_u32_e32 vcc, s19, v38
	v_mov_b32_e32 v63, 0x7f800001
	s_and_saveexec_b64 s[16:17], vcc
	s_cbranch_execz .LBB637_307
; %bb.306:                              ;   in Loop: Header=BB637_213 Depth=1
	v_and_b32_e32 v42, 7, v40
	v_ffbh_u32_e32 v64, v42
	v_min_u32_e32 v66, 32, v64
	v_subrev_u32_e32 v64, 28, v66
	v_lshlrev_b64 v[64:65], v64, v[40:41]
	v_lshrrev_b32_e32 v63, 3, v38
	v_sub_u32_e32 v65, 29, v66
	v_and_b32_e32 v64, 7, v64
	v_cmp_gt_u32_e32 vcc, 8, v38
	v_cndmask_b32_e32 v38, v63, v65, vcc
	v_cndmask_b32_e32 v42, v42, v64, vcc
	v_lshlrev_b32_e32 v40, 24, v40
	v_lshlrev_b32_e32 v42, 20, v42
	v_and_b32_e32 v40, 0x80000000, v40
	v_lshl_add_u32 v38, v38, 23, v45
	v_or3_b32 v63, v40, v38, v42
.LBB637_307:                            ;   in Loop: Header=BB637_213 Depth=1
	s_or_b64 exec, exec, s[16:17]
.LBB637_308:                            ;   in Loop: Header=BB637_213 Depth=1
	s_or_b64 exec, exec, s[14:15]
.LBB637_309:                            ;   in Loop: Header=BB637_213 Depth=1
	s_or_b64 exec, exec, s[12:13]
	v_cvt_pkrtz_f16_f32 v65, v44, v60
	buffer_load_dword v44, v59, s[0:3], 0 offen
	buffer_load_dword v42, v59, s[0:3], 0 offen offset:4
	buffer_load_dword v40, v59, s[0:3], 0 offen offset:8
	;; [unrolled: 1-line block ×3, first 2 shown]
	v_cvt_pkrtz_f16_f32 v64, v46, v48
	v_cvt_pkrtz_f16_f32 v48, v49, v62
	;; [unrolled: 1-line block ×3, first 2 shown]
	v_mfma_f32_16x16x16f16 v[34:37], v[64:65], v[6:7], v[34:37]
	s_waitcnt vmcnt(3)
	v_cmp_ne_u16_sdwa s[14:15], v44, v43 src0_sel:BYTE_0 src1_sel:DWORD
	v_mfma_f32_16x16x16f16 v[34:37], v[48:49], v[8:9], v[34:37]
	s_and_saveexec_b64 s[12:13], s[14:15]
	s_cbranch_execz .LBB637_315
; %bb.310:                              ;   in Loop: Header=BB637_213 Depth=1
	v_cmp_ne_u16_sdwa s[16:17], v44, s9 src0_sel:BYTE_0 src1_sel:DWORD
	v_bfrev_b32_e32 v47, 1
	s_and_saveexec_b64 s[14:15], s[16:17]
	s_cbranch_execz .LBB637_314
; %bb.311:                              ;   in Loop: Header=BB637_213 Depth=1
	v_and_b32_e32 v46, 0x7f, v44
	v_cmp_ne_u32_e32 vcc, s19, v46
	v_mov_b32_e32 v47, 0x7f800001
	s_and_saveexec_b64 s[16:17], vcc
	s_cbranch_execz .LBB637_313
; %bb.312:                              ;   in Loop: Header=BB637_213 Depth=1
	v_and_b32_e32 v47, 7, v44
	v_ffbh_u32_e32 v48, v47
	v_min_u32_e32 v60, 32, v48
	v_subrev_u32_e32 v48, 28, v60
	v_lshlrev_b64 v[48:49], v48, v[44:45]
	v_lshrrev_b32_e32 v59, 3, v46
	v_sub_u32_e32 v49, 29, v60
	v_and_b32_e32 v48, 7, v48
	v_cmp_gt_u32_e32 vcc, 8, v46
	v_cndmask_b32_e32 v46, v59, v49, vcc
	v_cndmask_b32_e32 v47, v47, v48, vcc
	v_lshlrev_b32_e32 v48, 24, v44
	v_lshlrev_b32_e32 v47, 20, v47
	v_and_b32_e32 v48, 0x80000000, v48
	v_lshl_add_u32 v46, v46, 23, v45
	v_or3_b32 v47, v48, v46, v47
.LBB637_313:                            ;   in Loop: Header=BB637_213 Depth=1
	s_or_b64 exec, exec, s[16:17]
.LBB637_314:                            ;   in Loop: Header=BB637_213 Depth=1
	s_or_b64 exec, exec, s[14:15]
.LBB637_315:                            ;   in Loop: Header=BB637_213 Depth=1
	s_or_b64 exec, exec, s[12:13]
	v_lshrrev_b16_e32 v46, 8, v44
	v_cmp_ne_u16_e32 vcc, 0, v46
	v_mov_b32_e32 v48, 0
	v_mov_b32_e32 v49, 0
	s_and_saveexec_b64 s[12:13], vcc
	s_cbranch_execz .LBB637_321
; %bb.316:                              ;   in Loop: Header=BB637_213 Depth=1
	v_cmp_ne_u16_e32 vcc, s9, v46
	v_bfrev_b32_e32 v49, 1
	s_and_saveexec_b64 s[14:15], vcc
	s_cbranch_execz .LBB637_320
; %bb.317:                              ;   in Loop: Header=BB637_213 Depth=1
	v_and_b32_e32 v59, 0x7f, v46
	v_cmp_ne_u32_e32 vcc, s19, v59
	v_mov_b32_e32 v49, 0x7f800001
	s_and_saveexec_b64 s[16:17], vcc
	s_cbranch_execz .LBB637_319
; %bb.318:                              ;   in Loop: Header=BB637_213 Depth=1
	v_and_b32_e32 v49, 7, v46
	v_ffbh_u32_e32 v60, v49
	v_min_u32_e32 v63, 32, v60
	v_subrev_u32_e32 v60, 28, v63
	v_lshlrev_b64 v[60:61], v60, v[46:47]
	v_lshrrev_b32_e32 v62, 3, v59
	v_sub_u32_e32 v46, 29, v63
	v_and_b32_e32 v60, 7, v60
	v_cmp_gt_u32_e32 vcc, 8, v59
	v_cndmask_b32_e32 v46, v62, v46, vcc
	v_cndmask_b32_e32 v49, v49, v60, vcc
	v_lshlrev_b32_e32 v59, 16, v44
	v_lshlrev_b32_e32 v49, 20, v49
	v_and_b32_e32 v59, 0x80000000, v59
	v_lshl_add_u32 v46, v46, 23, v45
	v_or3_b32 v49, v59, v46, v49
.LBB637_319:                            ;   in Loop: Header=BB637_213 Depth=1
	s_or_b64 exec, exec, s[16:17]
.LBB637_320:                            ;   in Loop: Header=BB637_213 Depth=1
	s_or_b64 exec, exec, s[14:15]
.LBB637_321:                            ;   in Loop: Header=BB637_213 Depth=1
	s_or_b64 exec, exec, s[12:13]
	v_lshrrev_b32_e32 v46, 16, v44
	v_cmp_ne_u16_sdwa s[14:15], v46, v43 src0_sel:BYTE_0 src1_sel:DWORD
	s_and_saveexec_b64 s[12:13], s[14:15]
	s_cbranch_execz .LBB637_327
; %bb.322:                              ;   in Loop: Header=BB637_213 Depth=1
	v_cmp_ne_u16_sdwa s[16:17], v46, s9 src0_sel:BYTE_0 src1_sel:DWORD
	v_bfrev_b32_e32 v48, 1
	s_and_saveexec_b64 s[14:15], s[16:17]
	s_cbranch_execz .LBB637_326
; %bb.323:                              ;   in Loop: Header=BB637_213 Depth=1
	v_bfe_u32 v59, v44, 16, 7
	v_cmp_ne_u32_e32 vcc, s19, v59
	v_mov_b32_e32 v48, 0x7f800001
	s_and_saveexec_b64 s[16:17], vcc
	s_cbranch_execz .LBB637_325
; %bb.324:                              ;   in Loop: Header=BB637_213 Depth=1
	v_and_b32_e32 v48, 7, v46
	v_ffbh_u32_e32 v60, v48
	v_min_u32_e32 v63, 32, v60
	v_subrev_u32_e32 v60, 28, v63
	v_lshlrev_b64 v[60:61], v60, v[46:47]
	v_lshrrev_b32_e32 v62, 3, v59
	v_sub_u32_e32 v61, 29, v63
	v_and_b32_e32 v60, 7, v60
	v_cmp_gt_u32_e32 vcc, 8, v59
	v_cndmask_b32_e32 v59, v62, v61, vcc
	v_cndmask_b32_e32 v48, v48, v60, vcc
	v_lshlrev_b32_e32 v46, 24, v46
	v_lshlrev_b32_e32 v48, 20, v48
	v_and_b32_e32 v46, 0x80000000, v46
	v_lshl_add_u32 v59, v59, 23, v45
	v_or3_b32 v48, v46, v59, v48
.LBB637_325:                            ;   in Loop: Header=BB637_213 Depth=1
	s_or_b64 exec, exec, s[16:17]
.LBB637_326:                            ;   in Loop: Header=BB637_213 Depth=1
	s_or_b64 exec, exec, s[14:15]
.LBB637_327:                            ;   in Loop: Header=BB637_213 Depth=1
	s_or_b64 exec, exec, s[12:13]
	v_cmp_lt_u32_e32 vcc, s20, v44
	v_mov_b32_e32 v59, 0
	v_mov_b32_e32 v60, 0
	s_and_saveexec_b64 s[12:13], vcc
	s_cbranch_execz .LBB637_333
; %bb.328:                              ;   in Loop: Header=BB637_213 Depth=1
	v_lshrrev_b32_e32 v46, 24, v44
	v_cmp_ne_u32_e32 vcc, s9, v46
	v_bfrev_b32_e32 v60, 1
	s_and_saveexec_b64 s[14:15], vcc
	s_cbranch_execz .LBB637_332
; %bb.329:                              ;   in Loop: Header=BB637_213 Depth=1
	v_bfe_u32 v44, v44, 24, 7
	v_cmp_ne_u32_e32 vcc, s19, v44
	v_mov_b32_e32 v60, 0x7f800001
	s_and_saveexec_b64 s[16:17], vcc
	s_cbranch_execz .LBB637_331
; %bb.330:                              ;   in Loop: Header=BB637_213 Depth=1
	v_and_b32_e32 v62, 7, v46
	v_ffbh_u32_e32 v60, v62
	v_min_u32_e32 v64, 32, v60
	v_subrev_u32_e32 v60, 28, v64
	v_lshlrev_b64 v[60:61], v60, v[46:47]
	v_lshrrev_b32_e32 v63, 3, v44
	v_sub_u32_e32 v61, 29, v64
	v_and_b32_e32 v60, 7, v60
	v_cmp_gt_u32_e32 vcc, 8, v44
	v_cndmask_b32_e32 v44, v63, v61, vcc
	v_cndmask_b32_e32 v60, v62, v60, vcc
	v_lshlrev_b32_e32 v46, 24, v46
	v_lshlrev_b32_e32 v60, 20, v60
	v_and_b32_e32 v46, 0x80000000, v46
	v_lshl_add_u32 v44, v44, 23, v45
	v_or3_b32 v60, v46, v44, v60
.LBB637_331:                            ;   in Loop: Header=BB637_213 Depth=1
	s_or_b64 exec, exec, s[16:17]
.LBB637_332:                            ;   in Loop: Header=BB637_213 Depth=1
	s_or_b64 exec, exec, s[14:15]
.LBB637_333:                            ;   in Loop: Header=BB637_213 Depth=1
	s_or_b64 exec, exec, s[12:13]
	s_waitcnt vmcnt(2)
	v_cmp_ne_u16_sdwa s[14:15], v42, v43 src0_sel:BYTE_0 src1_sel:DWORD
	s_and_saveexec_b64 s[12:13], s[14:15]
	s_cbranch_execz .LBB637_339
; %bb.334:                              ;   in Loop: Header=BB637_213 Depth=1
	v_cmp_ne_u16_sdwa s[16:17], v42, s9 src0_sel:BYTE_0 src1_sel:DWORD
	v_bfrev_b32_e32 v59, 1
	s_and_saveexec_b64 s[14:15], s[16:17]
	s_cbranch_execz .LBB637_338
; %bb.335:                              ;   in Loop: Header=BB637_213 Depth=1
	v_and_b32_e32 v44, 0x7f, v42
	v_cmp_ne_u32_e32 vcc, s19, v44
	v_mov_b32_e32 v59, 0x7f800001
	s_and_saveexec_b64 s[16:17], vcc
	s_cbranch_execz .LBB637_337
; %bb.336:                              ;   in Loop: Header=BB637_213 Depth=1
	v_and_b32_e32 v46, 7, v42
	v_ffbh_u32_e32 v61, v46
	v_min_u32_e32 v61, 32, v61
	v_subrev_u32_e32 v62, 28, v61
	v_lshlrev_b64 v[62:63], v62, v[42:43]
	v_lshrrev_b32_e32 v59, 3, v44
	v_sub_u32_e32 v61, 29, v61
	v_and_b32_e32 v62, 7, v62
	v_cmp_gt_u32_e32 vcc, 8, v44
	v_cndmask_b32_e32 v44, v59, v61, vcc
	v_cndmask_b32_e32 v46, v46, v62, vcc
	v_lshlrev_b32_e32 v59, 24, v42
	v_lshlrev_b32_e32 v46, 20, v46
	v_and_b32_e32 v59, 0x80000000, v59
	v_lshl_add_u32 v44, v44, 23, v45
	v_or3_b32 v59, v59, v44, v46
.LBB637_337:                            ;   in Loop: Header=BB637_213 Depth=1
	s_or_b64 exec, exec, s[16:17]
.LBB637_338:                            ;   in Loop: Header=BB637_213 Depth=1
	s_or_b64 exec, exec, s[14:15]
.LBB637_339:                            ;   in Loop: Header=BB637_213 Depth=1
	s_or_b64 exec, exec, s[12:13]
	v_lshrrev_b16_e32 v44, 8, v42
	v_cmp_ne_u16_e32 vcc, 0, v44
	v_mov_b32_e32 v61, 0
	v_mov_b32_e32 v62, 0
	s_and_saveexec_b64 s[12:13], vcc
	s_cbranch_execz .LBB637_345
; %bb.340:                              ;   in Loop: Header=BB637_213 Depth=1
	v_cmp_ne_u16_e32 vcc, s9, v44
	v_bfrev_b32_e32 v62, 1
	s_and_saveexec_b64 s[14:15], vcc
	s_cbranch_execz .LBB637_344
; %bb.341:                              ;   in Loop: Header=BB637_213 Depth=1
	v_and_b32_e32 v46, 0x7f, v44
	v_cmp_ne_u32_e32 vcc, s19, v46
	v_mov_b32_e32 v62, 0x7f800001
	s_and_saveexec_b64 s[16:17], vcc
	s_cbranch_execz .LBB637_343
; %bb.342:                              ;   in Loop: Header=BB637_213 Depth=1
	v_and_b32_e32 v64, 7, v44
	v_ffbh_u32_e32 v62, v64
	v_min_u32_e32 v66, 32, v62
	v_subrev_u32_e32 v62, 28, v66
	v_lshlrev_b64 v[62:63], v62, v[44:45]
	v_lshrrev_b32_e32 v65, 3, v46
	v_sub_u32_e32 v44, 29, v66
	v_and_b32_e32 v62, 7, v62
	v_cmp_gt_u32_e32 vcc, 8, v46
	v_cndmask_b32_e32 v44, v65, v44, vcc
	v_cndmask_b32_e32 v46, v64, v62, vcc
	v_lshlrev_b32_e32 v62, 16, v42
	v_lshlrev_b32_e32 v46, 20, v46
	v_and_b32_e32 v62, 0x80000000, v62
	v_lshl_add_u32 v44, v44, 23, v45
	v_or3_b32 v62, v62, v44, v46
.LBB637_343:                            ;   in Loop: Header=BB637_213 Depth=1
	s_or_b64 exec, exec, s[16:17]
.LBB637_344:                            ;   in Loop: Header=BB637_213 Depth=1
	s_or_b64 exec, exec, s[14:15]
.LBB637_345:                            ;   in Loop: Header=BB637_213 Depth=1
	s_or_b64 exec, exec, s[12:13]
	v_lshrrev_b32_e32 v44, 16, v42
	v_cmp_ne_u16_sdwa s[14:15], v44, v43 src0_sel:BYTE_0 src1_sel:DWORD
	s_and_saveexec_b64 s[12:13], s[14:15]
	s_cbranch_execz .LBB637_351
; %bb.346:                              ;   in Loop: Header=BB637_213 Depth=1
	v_cmp_ne_u16_sdwa s[16:17], v44, s9 src0_sel:BYTE_0 src1_sel:DWORD
	v_bfrev_b32_e32 v61, 1
	s_and_saveexec_b64 s[14:15], s[16:17]
	s_cbranch_execz .LBB637_350
; %bb.347:                              ;   in Loop: Header=BB637_213 Depth=1
	v_bfe_u32 v46, v42, 16, 7
	v_cmp_ne_u32_e32 vcc, s19, v46
	v_mov_b32_e32 v61, 0x7f800001
	s_and_saveexec_b64 s[16:17], vcc
	s_cbranch_execz .LBB637_349
; %bb.348:                              ;   in Loop: Header=BB637_213 Depth=1
	v_and_b32_e32 v61, 7, v44
	v_ffbh_u32_e32 v64, v61
	v_min_u32_e32 v66, 32, v64
	v_subrev_u32_e32 v64, 28, v66
	v_lshlrev_b64 v[64:65], v64, v[44:45]
	v_lshrrev_b32_e32 v63, 3, v46
	v_sub_u32_e32 v65, 29, v66
	v_and_b32_e32 v64, 7, v64
	v_cmp_gt_u32_e32 vcc, 8, v46
	v_cndmask_b32_e32 v46, v63, v65, vcc
	v_cndmask_b32_e32 v61, v61, v64, vcc
	v_lshlrev_b32_e32 v44, 24, v44
	v_lshlrev_b32_e32 v61, 20, v61
	v_and_b32_e32 v44, 0x80000000, v44
	v_lshl_add_u32 v46, v46, 23, v45
	v_or3_b32 v61, v44, v46, v61
.LBB637_349:                            ;   in Loop: Header=BB637_213 Depth=1
	s_or_b64 exec, exec, s[16:17]
.LBB637_350:                            ;   in Loop: Header=BB637_213 Depth=1
	s_or_b64 exec, exec, s[14:15]
.LBB637_351:                            ;   in Loop: Header=BB637_213 Depth=1
	s_or_b64 exec, exec, s[12:13]
	v_cmp_lt_u32_e32 vcc, s20, v42
	v_mov_b32_e32 v46, 0
	v_mov_b32_e32 v63, 0
	s_and_saveexec_b64 s[12:13], vcc
	s_cbranch_execz .LBB637_357
; %bb.352:                              ;   in Loop: Header=BB637_213 Depth=1
	v_lshrrev_b32_e32 v44, 24, v42
	v_cmp_ne_u32_e32 vcc, s9, v44
	v_bfrev_b32_e32 v63, 1
	s_and_saveexec_b64 s[14:15], vcc
	s_cbranch_execz .LBB637_356
; %bb.353:                              ;   in Loop: Header=BB637_213 Depth=1
	v_bfe_u32 v42, v42, 24, 7
	v_cmp_ne_u32_e32 vcc, s19, v42
	v_mov_b32_e32 v63, 0x7f800001
	s_and_saveexec_b64 s[16:17], vcc
	s_cbranch_execz .LBB637_355
; %bb.354:                              ;   in Loop: Header=BB637_213 Depth=1
	v_and_b32_e32 v63, 7, v44
	v_ffbh_u32_e32 v64, v63
	v_min_u32_e32 v67, 32, v64
	v_subrev_u32_e32 v64, 28, v67
	v_lshlrev_b64 v[64:65], v64, v[44:45]
	v_lshrrev_b32_e32 v66, 3, v42
	v_sub_u32_e32 v65, 29, v67
	v_and_b32_e32 v64, 7, v64
	v_cmp_gt_u32_e32 vcc, 8, v42
	v_cndmask_b32_e32 v42, v66, v65, vcc
	v_cndmask_b32_e32 v63, v63, v64, vcc
	v_lshlrev_b32_e32 v44, 24, v44
	v_lshlrev_b32_e32 v63, 20, v63
	v_and_b32_e32 v44, 0x80000000, v44
	v_lshl_add_u32 v42, v42, 23, v45
	v_or3_b32 v63, v44, v42, v63
.LBB637_355:                            ;   in Loop: Header=BB637_213 Depth=1
	s_or_b64 exec, exec, s[16:17]
.LBB637_356:                            ;   in Loop: Header=BB637_213 Depth=1
	s_or_b64 exec, exec, s[14:15]
.LBB637_357:                            ;   in Loop: Header=BB637_213 Depth=1
	s_or_b64 exec, exec, s[12:13]
	v_cvt_pkrtz_f16_f32 v64, v47, v49
	v_cvt_pkrtz_f16_f32 v65, v48, v60
	;; [unrolled: 1-line block ×4, first 2 shown]
	s_waitcnt vmcnt(1)
	v_cmp_ne_u16_sdwa s[14:15], v40, v43 src0_sel:BYTE_0 src1_sel:DWORD
	v_mfma_f32_16x16x16f16 v[34:37], v[64:65], v[10:11], v[34:37]
	v_mfma_f32_16x16x16f16 v[34:37], v[48:49], v[12:13], v[34:37]
	s_and_saveexec_b64 s[12:13], s[14:15]
	s_cbranch_execz .LBB637_363
; %bb.358:                              ;   in Loop: Header=BB637_213 Depth=1
	v_cmp_ne_u16_sdwa s[16:17], v40, s9 src0_sel:BYTE_0 src1_sel:DWORD
	v_bfrev_b32_e32 v46, 1
	s_and_saveexec_b64 s[14:15], s[16:17]
	s_cbranch_execz .LBB637_362
; %bb.359:                              ;   in Loop: Header=BB637_213 Depth=1
	v_and_b32_e32 v42, 0x7f, v40
	v_cmp_ne_u32_e32 vcc, s19, v42
	v_mov_b32_e32 v46, 0x7f800001
	s_and_saveexec_b64 s[16:17], vcc
	s_cbranch_execz .LBB637_361
; %bb.360:                              ;   in Loop: Header=BB637_213 Depth=1
	v_and_b32_e32 v44, 7, v40
	v_ffbh_u32_e32 v46, v44
	v_min_u32_e32 v49, 32, v46
	v_subrev_u32_e32 v46, 28, v49
	v_lshlrev_b64 v[46:47], v46, v[40:41]
	v_lshrrev_b32_e32 v48, 3, v42
	v_sub_u32_e32 v47, 29, v49
	v_and_b32_e32 v46, 7, v46
	v_cmp_gt_u32_e32 vcc, 8, v42
	v_cndmask_b32_e32 v42, v48, v47, vcc
	v_cndmask_b32_e32 v44, v44, v46, vcc
	v_lshlrev_b32_e32 v46, 24, v40
	v_lshlrev_b32_e32 v44, 20, v44
	v_and_b32_e32 v46, 0x80000000, v46
	v_lshl_add_u32 v42, v42, 23, v45
	v_or3_b32 v46, v46, v42, v44
.LBB637_361:                            ;   in Loop: Header=BB637_213 Depth=1
	s_or_b64 exec, exec, s[16:17]
.LBB637_362:                            ;   in Loop: Header=BB637_213 Depth=1
	s_or_b64 exec, exec, s[14:15]
.LBB637_363:                            ;   in Loop: Header=BB637_213 Depth=1
	s_or_b64 exec, exec, s[12:13]
	v_lshrrev_b16_e32 v42, 8, v40
	v_cmp_ne_u16_e32 vcc, 0, v42
	v_mov_b32_e32 v44, 0
	v_mov_b32_e32 v48, 0
	s_and_saveexec_b64 s[12:13], vcc
	s_cbranch_execz .LBB637_369
; %bb.364:                              ;   in Loop: Header=BB637_213 Depth=1
	v_cmp_ne_u16_e32 vcc, s9, v42
	v_bfrev_b32_e32 v48, 1
	s_and_saveexec_b64 s[14:15], vcc
	s_cbranch_execz .LBB637_368
; %bb.365:                              ;   in Loop: Header=BB637_213 Depth=1
	v_and_b32_e32 v47, 0x7f, v42
	v_cmp_ne_u32_e32 vcc, s19, v47
	v_mov_b32_e32 v48, 0x7f800001
	s_and_saveexec_b64 s[16:17], vcc
	s_cbranch_execz .LBB637_367
; %bb.366:                              ;   in Loop: Header=BB637_213 Depth=1
	v_and_b32_e32 v59, 7, v42
	v_ffbh_u32_e32 v48, v59
	v_min_u32_e32 v61, 32, v48
	v_subrev_u32_e32 v48, 28, v61
	v_lshlrev_b64 v[48:49], v48, v[42:43]
	v_lshrrev_b32_e32 v60, 3, v47
	v_sub_u32_e32 v42, 29, v61
	v_and_b32_e32 v48, 7, v48
	v_cmp_gt_u32_e32 vcc, 8, v47
	v_cndmask_b32_e32 v42, v60, v42, vcc
	v_cndmask_b32_e32 v47, v59, v48, vcc
	v_lshlrev_b32_e32 v48, 16, v40
	v_lshlrev_b32_e32 v47, 20, v47
	v_and_b32_e32 v48, 0x80000000, v48
	v_lshl_add_u32 v42, v42, 23, v45
	v_or3_b32 v48, v48, v42, v47
.LBB637_367:                            ;   in Loop: Header=BB637_213 Depth=1
	s_or_b64 exec, exec, s[16:17]
.LBB637_368:                            ;   in Loop: Header=BB637_213 Depth=1
	s_or_b64 exec, exec, s[14:15]
.LBB637_369:                            ;   in Loop: Header=BB637_213 Depth=1
	s_or_b64 exec, exec, s[12:13]
	v_lshrrev_b32_e32 v42, 16, v40
	v_cmp_ne_u16_sdwa s[14:15], v42, v43 src0_sel:BYTE_0 src1_sel:DWORD
	s_and_saveexec_b64 s[12:13], s[14:15]
	s_cbranch_execz .LBB637_375
; %bb.370:                              ;   in Loop: Header=BB637_213 Depth=1
	v_cmp_ne_u16_sdwa s[16:17], v42, s9 src0_sel:BYTE_0 src1_sel:DWORD
	v_bfrev_b32_e32 v44, 1
	s_and_saveexec_b64 s[14:15], s[16:17]
	s_cbranch_execz .LBB637_374
; %bb.371:                              ;   in Loop: Header=BB637_213 Depth=1
	v_bfe_u32 v47, v40, 16, 7
	v_cmp_ne_u32_e32 vcc, s19, v47
	v_mov_b32_e32 v44, 0x7f800001
	s_and_saveexec_b64 s[16:17], vcc
	s_cbranch_execz .LBB637_373
; %bb.372:                              ;   in Loop: Header=BB637_213 Depth=1
	v_and_b32_e32 v44, 7, v42
	v_ffbh_u32_e32 v59, v44
	v_min_u32_e32 v59, 32, v59
	v_subrev_u32_e32 v60, 28, v59
	v_lshlrev_b64 v[60:61], v60, v[42:43]
	v_lshrrev_b32_e32 v49, 3, v47
	v_sub_u32_e32 v59, 29, v59
	v_and_b32_e32 v60, 7, v60
	v_cmp_gt_u32_e32 vcc, 8, v47
	v_cndmask_b32_e32 v47, v49, v59, vcc
	v_cndmask_b32_e32 v44, v44, v60, vcc
	v_lshlrev_b32_e32 v42, 24, v42
	v_lshlrev_b32_e32 v44, 20, v44
	v_and_b32_e32 v42, 0x80000000, v42
	v_lshl_add_u32 v47, v47, 23, v45
	v_or3_b32 v44, v42, v47, v44
.LBB637_373:                            ;   in Loop: Header=BB637_213 Depth=1
	s_or_b64 exec, exec, s[16:17]
.LBB637_374:                            ;   in Loop: Header=BB637_213 Depth=1
	s_or_b64 exec, exec, s[14:15]
.LBB637_375:                            ;   in Loop: Header=BB637_213 Depth=1
	s_or_b64 exec, exec, s[12:13]
	v_cmp_lt_u32_e32 vcc, s20, v40
	v_mov_b32_e32 v49, 0
	v_mov_b32_e32 v59, 0
	s_and_saveexec_b64 s[12:13], vcc
	s_cbranch_execz .LBB637_381
; %bb.376:                              ;   in Loop: Header=BB637_213 Depth=1
	v_lshrrev_b32_e32 v42, 24, v40
	v_cmp_ne_u32_e32 vcc, s9, v42
	v_bfrev_b32_e32 v59, 1
	s_and_saveexec_b64 s[14:15], vcc
	s_cbranch_execz .LBB637_380
; %bb.377:                              ;   in Loop: Header=BB637_213 Depth=1
	v_bfe_u32 v40, v40, 24, 7
	v_cmp_ne_u32_e32 vcc, s19, v40
	v_mov_b32_e32 v59, 0x7f800001
	s_and_saveexec_b64 s[16:17], vcc
	s_cbranch_execz .LBB637_379
; %bb.378:                              ;   in Loop: Header=BB637_213 Depth=1
	v_and_b32_e32 v47, 7, v42
	v_ffbh_u32_e32 v60, v47
	v_min_u32_e32 v62, 32, v60
	v_subrev_u32_e32 v60, 28, v62
	v_lshlrev_b64 v[60:61], v60, v[42:43]
	v_lshrrev_b32_e32 v59, 3, v40
	v_sub_u32_e32 v61, 29, v62
	v_and_b32_e32 v60, 7, v60
	v_cmp_gt_u32_e32 vcc, 8, v40
	v_cndmask_b32_e32 v40, v59, v61, vcc
	v_cndmask_b32_e32 v47, v47, v60, vcc
	v_lshlrev_b32_e32 v42, 24, v42
	v_lshlrev_b32_e32 v47, 20, v47
	v_and_b32_e32 v42, 0x80000000, v42
	v_lshl_add_u32 v40, v40, 23, v45
	v_or3_b32 v59, v42, v40, v47
.LBB637_379:                            ;   in Loop: Header=BB637_213 Depth=1
	s_or_b64 exec, exec, s[16:17]
.LBB637_380:                            ;   in Loop: Header=BB637_213 Depth=1
	s_or_b64 exec, exec, s[14:15]
.LBB637_381:                            ;   in Loop: Header=BB637_213 Depth=1
	s_or_b64 exec, exec, s[12:13]
	s_waitcnt vmcnt(0)
	v_cmp_ne_u16_sdwa s[14:15], v38, v43 src0_sel:BYTE_0 src1_sel:DWORD
	s_and_saveexec_b64 s[12:13], s[14:15]
	s_cbranch_execz .LBB637_387
; %bb.382:                              ;   in Loop: Header=BB637_213 Depth=1
	v_cmp_ne_u16_sdwa s[16:17], v38, s9 src0_sel:BYTE_0 src1_sel:DWORD
	v_bfrev_b32_e32 v49, 1
	s_and_saveexec_b64 s[14:15], s[16:17]
	s_cbranch_execz .LBB637_386
; %bb.383:                              ;   in Loop: Header=BB637_213 Depth=1
	v_and_b32_e32 v40, 0x7f, v38
	v_cmp_ne_u32_e32 vcc, s19, v40
	v_mov_b32_e32 v49, 0x7f800001
	s_and_saveexec_b64 s[16:17], vcc
	s_cbranch_execz .LBB637_385
; %bb.384:                              ;   in Loop: Header=BB637_213 Depth=1
	v_and_b32_e32 v42, 7, v38
	v_ffbh_u32_e32 v49, v42
	v_min_u32_e32 v49, 32, v49
	v_subrev_u32_e32 v60, 28, v49
	v_lshlrev_b64 v[60:61], v60, v[38:39]
	v_lshrrev_b32_e32 v47, 3, v40
	v_sub_u32_e32 v49, 29, v49
	v_and_b32_e32 v60, 7, v60
	v_cmp_gt_u32_e32 vcc, 8, v40
	v_cndmask_b32_e32 v40, v47, v49, vcc
	v_cndmask_b32_e32 v42, v42, v60, vcc
	v_lshlrev_b32_e32 v47, 24, v38
	v_lshlrev_b32_e32 v42, 20, v42
	v_and_b32_e32 v47, 0x80000000, v47
	v_lshl_add_u32 v40, v40, 23, v45
	v_or3_b32 v49, v47, v40, v42
.LBB637_385:                            ;   in Loop: Header=BB637_213 Depth=1
	s_or_b64 exec, exec, s[16:17]
.LBB637_386:                            ;   in Loop: Header=BB637_213 Depth=1
	s_or_b64 exec, exec, s[14:15]
.LBB637_387:                            ;   in Loop: Header=BB637_213 Depth=1
	s_or_b64 exec, exec, s[12:13]
	v_lshrrev_b16_e32 v40, 8, v38
	v_cmp_ne_u16_e32 vcc, 0, v40
	v_mov_b32_e32 v60, 0
	v_mov_b32_e32 v61, 0
	s_and_saveexec_b64 s[12:13], vcc
	s_cbranch_execz .LBB637_393
; %bb.388:                              ;   in Loop: Header=BB637_213 Depth=1
	v_cmp_ne_u16_e32 vcc, s9, v40
	v_bfrev_b32_e32 v61, 1
	s_and_saveexec_b64 s[14:15], vcc
	s_cbranch_execz .LBB637_392
; %bb.389:                              ;   in Loop: Header=BB637_213 Depth=1
	v_and_b32_e32 v42, 0x7f, v40
	v_cmp_ne_u32_e32 vcc, s19, v42
	v_mov_b32_e32 v61, 0x7f800001
	s_and_saveexec_b64 s[16:17], vcc
	s_cbranch_execz .LBB637_391
; %bb.390:                              ;   in Loop: Header=BB637_213 Depth=1
	v_and_b32_e32 v47, 7, v40
	v_ffbh_u32_e32 v62, v47
	v_min_u32_e32 v64, 32, v62
	v_subrev_u32_e32 v62, 28, v64
	v_lshlrev_b64 v[62:63], v62, v[40:41]
	v_lshrrev_b32_e32 v61, 3, v42
	v_sub_u32_e32 v40, 29, v64
	v_and_b32_e32 v62, 7, v62
	v_cmp_gt_u32_e32 vcc, 8, v42
	v_cndmask_b32_e32 v40, v61, v40, vcc
	v_cndmask_b32_e32 v42, v47, v62, vcc
	v_lshlrev_b32_e32 v47, 16, v38
	v_lshlrev_b32_e32 v42, 20, v42
	v_and_b32_e32 v47, 0x80000000, v47
	v_lshl_add_u32 v40, v40, 23, v45
	v_or3_b32 v61, v47, v40, v42
.LBB637_391:                            ;   in Loop: Header=BB637_213 Depth=1
	s_or_b64 exec, exec, s[16:17]
.LBB637_392:                            ;   in Loop: Header=BB637_213 Depth=1
	s_or_b64 exec, exec, s[14:15]
.LBB637_393:                            ;   in Loop: Header=BB637_213 Depth=1
	s_or_b64 exec, exec, s[12:13]
	v_lshrrev_b32_e32 v40, 16, v38
	v_cmp_ne_u16_sdwa s[14:15], v40, v43 src0_sel:BYTE_0 src1_sel:DWORD
	s_and_saveexec_b64 s[12:13], s[14:15]
	s_cbranch_execz .LBB637_399
; %bb.394:                              ;   in Loop: Header=BB637_213 Depth=1
	v_cmp_ne_u16_sdwa s[16:17], v40, s9 src0_sel:BYTE_0 src1_sel:DWORD
	v_bfrev_b32_e32 v60, 1
	s_and_saveexec_b64 s[14:15], s[16:17]
	s_cbranch_execz .LBB637_398
; %bb.395:                              ;   in Loop: Header=BB637_213 Depth=1
	v_bfe_u32 v42, v38, 16, 7
	v_cmp_ne_u32_e32 vcc, s19, v42
	v_mov_b32_e32 v60, 0x7f800001
	s_and_saveexec_b64 s[16:17], vcc
	s_cbranch_execz .LBB637_397
; %bb.396:                              ;   in Loop: Header=BB637_213 Depth=1
	v_and_b32_e32 v47, 7, v40
	v_ffbh_u32_e32 v62, v47
	v_min_u32_e32 v64, 32, v62
	v_subrev_u32_e32 v62, 28, v64
	v_lshlrev_b64 v[62:63], v62, v[40:41]
	v_lshrrev_b32_e32 v60, 3, v42
	v_sub_u32_e32 v63, 29, v64
	v_and_b32_e32 v62, 7, v62
	v_cmp_gt_u32_e32 vcc, 8, v42
	v_cndmask_b32_e32 v42, v60, v63, vcc
	v_cndmask_b32_e32 v47, v47, v62, vcc
	v_lshlrev_b32_e32 v40, 24, v40
	v_lshlrev_b32_e32 v47, 20, v47
	v_and_b32_e32 v40, 0x80000000, v40
	v_lshl_add_u32 v42, v42, 23, v45
	v_or3_b32 v60, v40, v42, v47
.LBB637_397:                            ;   in Loop: Header=BB637_213 Depth=1
	s_or_b64 exec, exec, s[16:17]
.LBB637_398:                            ;   in Loop: Header=BB637_213 Depth=1
	s_or_b64 exec, exec, s[14:15]
.LBB637_399:                            ;   in Loop: Header=BB637_213 Depth=1
	s_or_b64 exec, exec, s[12:13]
	v_cmp_lt_u32_e32 vcc, s20, v38
	v_mov_b32_e32 v47, 0
	v_mov_b32_e32 v62, 0
	s_and_saveexec_b64 s[12:13], vcc
	s_cbranch_execz .LBB637_405
; %bb.400:                              ;   in Loop: Header=BB637_213 Depth=1
	v_lshrrev_b32_e32 v40, 24, v38
	v_cmp_ne_u32_e32 vcc, s9, v40
	v_bfrev_b32_e32 v62, 1
	s_and_saveexec_b64 s[14:15], vcc
	s_cbranch_execz .LBB637_404
; %bb.401:                              ;   in Loop: Header=BB637_213 Depth=1
	v_bfe_u32 v38, v38, 24, 7
	v_cmp_ne_u32_e32 vcc, s19, v38
	v_mov_b32_e32 v62, 0x7f800001
	s_and_saveexec_b64 s[16:17], vcc
	s_cbranch_execz .LBB637_403
; %bb.402:                              ;   in Loop: Header=BB637_213 Depth=1
	v_and_b32_e32 v42, 7, v40
	v_ffbh_u32_e32 v62, v42
	v_min_u32_e32 v65, 32, v62
	v_subrev_u32_e32 v62, 28, v65
	v_lshlrev_b64 v[62:63], v62, v[40:41]
	v_lshrrev_b32_e32 v64, 3, v38
	v_sub_u32_e32 v63, 29, v65
	v_and_b32_e32 v62, 7, v62
	v_cmp_gt_u32_e32 vcc, 8, v38
	v_cndmask_b32_e32 v38, v64, v63, vcc
	v_cndmask_b32_e32 v42, v42, v62, vcc
	v_lshlrev_b32_e32 v40, 24, v40
	v_lshlrev_b32_e32 v42, 20, v42
	v_and_b32_e32 v40, 0x80000000, v40
	v_lshl_add_u32 v38, v38, 23, v45
	v_or3_b32 v62, v40, v38, v42
.LBB637_403:                            ;   in Loop: Header=BB637_213 Depth=1
	s_or_b64 exec, exec, s[16:17]
.LBB637_404:                            ;   in Loop: Header=BB637_213 Depth=1
	s_or_b64 exec, exec, s[14:15]
.LBB637_405:                            ;   in Loop: Header=BB637_213 Depth=1
	s_or_b64 exec, exec, s[12:13]
	v_cvt_pkrtz_f16_f32 v65, v44, v59
	buffer_load_dword v44, v58, s[0:3], 0 offen
	buffer_load_dword v42, v58, s[0:3], 0 offen offset:4
	buffer_load_dword v40, v58, s[0:3], 0 offen offset:8
	;; [unrolled: 1-line block ×3, first 2 shown]
	v_cvt_pkrtz_f16_f32 v64, v46, v48
	v_cvt_pkrtz_f16_f32 v48, v49, v61
	;; [unrolled: 1-line block ×3, first 2 shown]
	v_mfma_f32_16x16x16f16 v[34:37], v[64:65], v[14:15], v[34:37]
	s_waitcnt vmcnt(3)
	v_cmp_ne_u16_sdwa s[14:15], v44, v43 src0_sel:BYTE_0 src1_sel:DWORD
	v_mfma_f32_16x16x16f16 v[34:37], v[48:49], v[16:17], v[34:37]
	s_and_saveexec_b64 s[12:13], s[14:15]
	s_cbranch_execz .LBB637_411
; %bb.406:                              ;   in Loop: Header=BB637_213 Depth=1
	v_cmp_ne_u16_sdwa s[16:17], v44, s9 src0_sel:BYTE_0 src1_sel:DWORD
	v_bfrev_b32_e32 v47, 1
	s_and_saveexec_b64 s[14:15], s[16:17]
	s_cbranch_execz .LBB637_410
; %bb.407:                              ;   in Loop: Header=BB637_213 Depth=1
	v_and_b32_e32 v46, 0x7f, v44
	v_cmp_ne_u32_e32 vcc, s19, v46
	v_mov_b32_e32 v47, 0x7f800001
	s_and_saveexec_b64 s[16:17], vcc
	s_cbranch_execz .LBB637_409
; %bb.408:                              ;   in Loop: Header=BB637_213 Depth=1
	v_and_b32_e32 v47, 7, v44
	v_ffbh_u32_e32 v48, v47
	v_min_u32_e32 v59, 32, v48
	v_subrev_u32_e32 v48, 28, v59
	v_lshlrev_b64 v[48:49], v48, v[44:45]
	v_lshrrev_b32_e32 v58, 3, v46
	v_sub_u32_e32 v49, 29, v59
	v_and_b32_e32 v48, 7, v48
	v_cmp_gt_u32_e32 vcc, 8, v46
	v_cndmask_b32_e32 v46, v58, v49, vcc
	v_cndmask_b32_e32 v47, v47, v48, vcc
	v_lshlrev_b32_e32 v48, 24, v44
	v_lshlrev_b32_e32 v47, 20, v47
	v_and_b32_e32 v48, 0x80000000, v48
	v_lshl_add_u32 v46, v46, 23, v45
	v_or3_b32 v47, v48, v46, v47
.LBB637_409:                            ;   in Loop: Header=BB637_213 Depth=1
	s_or_b64 exec, exec, s[16:17]
.LBB637_410:                            ;   in Loop: Header=BB637_213 Depth=1
	s_or_b64 exec, exec, s[14:15]
.LBB637_411:                            ;   in Loop: Header=BB637_213 Depth=1
	s_or_b64 exec, exec, s[12:13]
	v_lshrrev_b16_e32 v46, 8, v44
	v_cmp_ne_u16_e32 vcc, 0, v46
	v_mov_b32_e32 v48, 0
	v_mov_b32_e32 v49, 0
	s_and_saveexec_b64 s[12:13], vcc
	s_cbranch_execz .LBB637_417
; %bb.412:                              ;   in Loop: Header=BB637_213 Depth=1
	v_cmp_ne_u16_e32 vcc, s9, v46
	v_bfrev_b32_e32 v49, 1
	s_and_saveexec_b64 s[14:15], vcc
	s_cbranch_execz .LBB637_416
; %bb.413:                              ;   in Loop: Header=BB637_213 Depth=1
	v_and_b32_e32 v58, 0x7f, v46
	v_cmp_ne_u32_e32 vcc, s19, v58
	v_mov_b32_e32 v49, 0x7f800001
	s_and_saveexec_b64 s[16:17], vcc
	s_cbranch_execz .LBB637_415
; %bb.414:                              ;   in Loop: Header=BB637_213 Depth=1
	v_and_b32_e32 v49, 7, v46
	v_ffbh_u32_e32 v60, v49
	v_min_u32_e32 v62, 32, v60
	v_subrev_u32_e32 v60, 28, v62
	v_lshlrev_b64 v[60:61], v60, v[46:47]
	v_lshrrev_b32_e32 v59, 3, v58
	v_sub_u32_e32 v46, 29, v62
	v_and_b32_e32 v60, 7, v60
	v_cmp_gt_u32_e32 vcc, 8, v58
	v_cndmask_b32_e32 v46, v59, v46, vcc
	v_cndmask_b32_e32 v49, v49, v60, vcc
	v_lshlrev_b32_e32 v58, 16, v44
	v_lshlrev_b32_e32 v49, 20, v49
	v_and_b32_e32 v58, 0x80000000, v58
	v_lshl_add_u32 v46, v46, 23, v45
	v_or3_b32 v49, v58, v46, v49
.LBB637_415:                            ;   in Loop: Header=BB637_213 Depth=1
	s_or_b64 exec, exec, s[16:17]
.LBB637_416:                            ;   in Loop: Header=BB637_213 Depth=1
	s_or_b64 exec, exec, s[14:15]
.LBB637_417:                            ;   in Loop: Header=BB637_213 Depth=1
	s_or_b64 exec, exec, s[12:13]
	v_lshrrev_b32_e32 v46, 16, v44
	v_cmp_ne_u16_sdwa s[14:15], v46, v43 src0_sel:BYTE_0 src1_sel:DWORD
	s_and_saveexec_b64 s[12:13], s[14:15]
	s_cbranch_execz .LBB637_423
; %bb.418:                              ;   in Loop: Header=BB637_213 Depth=1
	v_cmp_ne_u16_sdwa s[16:17], v46, s9 src0_sel:BYTE_0 src1_sel:DWORD
	v_bfrev_b32_e32 v48, 1
	s_and_saveexec_b64 s[14:15], s[16:17]
	s_cbranch_execz .LBB637_422
; %bb.419:                              ;   in Loop: Header=BB637_213 Depth=1
	v_bfe_u32 v58, v44, 16, 7
	v_cmp_ne_u32_e32 vcc, s19, v58
	v_mov_b32_e32 v48, 0x7f800001
	s_and_saveexec_b64 s[16:17], vcc
	s_cbranch_execz .LBB637_421
; %bb.420:                              ;   in Loop: Header=BB637_213 Depth=1
	v_and_b32_e32 v48, 7, v46
	v_ffbh_u32_e32 v60, v48
	v_min_u32_e32 v62, 32, v60
	v_subrev_u32_e32 v60, 28, v62
	v_lshlrev_b64 v[60:61], v60, v[46:47]
	v_lshrrev_b32_e32 v59, 3, v58
	v_sub_u32_e32 v61, 29, v62
	v_and_b32_e32 v60, 7, v60
	v_cmp_gt_u32_e32 vcc, 8, v58
	v_cndmask_b32_e32 v58, v59, v61, vcc
	v_cndmask_b32_e32 v48, v48, v60, vcc
	v_lshlrev_b32_e32 v46, 24, v46
	v_lshlrev_b32_e32 v48, 20, v48
	v_and_b32_e32 v46, 0x80000000, v46
	v_lshl_add_u32 v58, v58, 23, v45
	v_or3_b32 v48, v46, v58, v48
.LBB637_421:                            ;   in Loop: Header=BB637_213 Depth=1
	s_or_b64 exec, exec, s[16:17]
.LBB637_422:                            ;   in Loop: Header=BB637_213 Depth=1
	s_or_b64 exec, exec, s[14:15]
.LBB637_423:                            ;   in Loop: Header=BB637_213 Depth=1
	s_or_b64 exec, exec, s[12:13]
	v_cmp_lt_u32_e32 vcc, s20, v44
	v_mov_b32_e32 v58, 0
	v_mov_b32_e32 v59, 0
	s_and_saveexec_b64 s[12:13], vcc
	s_cbranch_execz .LBB637_429
; %bb.424:                              ;   in Loop: Header=BB637_213 Depth=1
	v_lshrrev_b32_e32 v46, 24, v44
	v_cmp_ne_u32_e32 vcc, s9, v46
	v_bfrev_b32_e32 v59, 1
	s_and_saveexec_b64 s[14:15], vcc
	s_cbranch_execz .LBB637_428
; %bb.425:                              ;   in Loop: Header=BB637_213 Depth=1
	v_bfe_u32 v44, v44, 24, 7
	v_cmp_ne_u32_e32 vcc, s19, v44
	v_mov_b32_e32 v59, 0x7f800001
	s_and_saveexec_b64 s[16:17], vcc
	s_cbranch_execz .LBB637_427
; %bb.426:                              ;   in Loop: Header=BB637_213 Depth=1
	v_and_b32_e32 v59, 7, v46
	v_ffbh_u32_e32 v60, v59
	v_min_u32_e32 v63, 32, v60
	v_subrev_u32_e32 v60, 28, v63
	v_lshlrev_b64 v[60:61], v60, v[46:47]
	v_lshrrev_b32_e32 v62, 3, v44
	v_sub_u32_e32 v61, 29, v63
	v_and_b32_e32 v60, 7, v60
	v_cmp_gt_u32_e32 vcc, 8, v44
	v_cndmask_b32_e32 v44, v62, v61, vcc
	v_cndmask_b32_e32 v59, v59, v60, vcc
	v_lshlrev_b32_e32 v46, 24, v46
	v_lshlrev_b32_e32 v59, 20, v59
	v_and_b32_e32 v46, 0x80000000, v46
	v_lshl_add_u32 v44, v44, 23, v45
	v_or3_b32 v59, v46, v44, v59
.LBB637_427:                            ;   in Loop: Header=BB637_213 Depth=1
	s_or_b64 exec, exec, s[16:17]
.LBB637_428:                            ;   in Loop: Header=BB637_213 Depth=1
	s_or_b64 exec, exec, s[14:15]
.LBB637_429:                            ;   in Loop: Header=BB637_213 Depth=1
	s_or_b64 exec, exec, s[12:13]
	s_waitcnt vmcnt(2)
	v_cmp_ne_u16_sdwa s[14:15], v42, v43 src0_sel:BYTE_0 src1_sel:DWORD
	s_and_saveexec_b64 s[12:13], s[14:15]
	s_cbranch_execz .LBB637_435
; %bb.430:                              ;   in Loop: Header=BB637_213 Depth=1
	v_cmp_ne_u16_sdwa s[16:17], v42, s9 src0_sel:BYTE_0 src1_sel:DWORD
	v_bfrev_b32_e32 v58, 1
	s_and_saveexec_b64 s[14:15], s[16:17]
	s_cbranch_execz .LBB637_434
; %bb.431:                              ;   in Loop: Header=BB637_213 Depth=1
	v_and_b32_e32 v44, 0x7f, v42
	v_cmp_ne_u32_e32 vcc, s19, v44
	v_mov_b32_e32 v58, 0x7f800001
	s_and_saveexec_b64 s[16:17], vcc
	s_cbranch_execz .LBB637_433
; %bb.432:                              ;   in Loop: Header=BB637_213 Depth=1
	v_and_b32_e32 v46, 7, v42
	v_ffbh_u32_e32 v60, v46
	v_min_u32_e32 v62, 32, v60
	v_subrev_u32_e32 v60, 28, v62
	v_lshlrev_b64 v[60:61], v60, v[42:43]
	v_lshrrev_b32_e32 v58, 3, v44
	v_sub_u32_e32 v61, 29, v62
	v_and_b32_e32 v60, 7, v60
	v_cmp_gt_u32_e32 vcc, 8, v44
	v_cndmask_b32_e32 v44, v58, v61, vcc
	v_cndmask_b32_e32 v46, v46, v60, vcc
	v_lshlrev_b32_e32 v58, 24, v42
	v_lshlrev_b32_e32 v46, 20, v46
	v_and_b32_e32 v58, 0x80000000, v58
	v_lshl_add_u32 v44, v44, 23, v45
	v_or3_b32 v58, v58, v44, v46
.LBB637_433:                            ;   in Loop: Header=BB637_213 Depth=1
	s_or_b64 exec, exec, s[16:17]
.LBB637_434:                            ;   in Loop: Header=BB637_213 Depth=1
	s_or_b64 exec, exec, s[14:15]
.LBB637_435:                            ;   in Loop: Header=BB637_213 Depth=1
	s_or_b64 exec, exec, s[12:13]
	v_lshrrev_b16_e32 v44, 8, v42
	v_cmp_ne_u16_e32 vcc, 0, v44
	v_mov_b32_e32 v60, 0
	v_mov_b32_e32 v61, 0
	s_and_saveexec_b64 s[12:13], vcc
	s_cbranch_execz .LBB637_441
; %bb.436:                              ;   in Loop: Header=BB637_213 Depth=1
	v_cmp_ne_u16_e32 vcc, s9, v44
	v_bfrev_b32_e32 v61, 1
	s_and_saveexec_b64 s[14:15], vcc
	s_cbranch_execz .LBB637_440
; %bb.437:                              ;   in Loop: Header=BB637_213 Depth=1
	v_and_b32_e32 v46, 0x7f, v44
	v_cmp_ne_u32_e32 vcc, s19, v46
	v_mov_b32_e32 v61, 0x7f800001
	s_and_saveexec_b64 s[16:17], vcc
	s_cbranch_execz .LBB637_439
; %bb.438:                              ;   in Loop: Header=BB637_213 Depth=1
	v_and_b32_e32 v61, 7, v44
	v_ffbh_u32_e32 v62, v61
	v_min_u32_e32 v65, 32, v62
	v_subrev_u32_e32 v62, 28, v65
	v_lshlrev_b64 v[62:63], v62, v[44:45]
	v_lshrrev_b32_e32 v64, 3, v46
	v_sub_u32_e32 v44, 29, v65
	v_and_b32_e32 v62, 7, v62
	v_cmp_gt_u32_e32 vcc, 8, v46
	v_cndmask_b32_e32 v44, v64, v44, vcc
	v_cndmask_b32_e32 v46, v61, v62, vcc
	v_lshlrev_b32_e32 v61, 16, v42
	v_lshlrev_b32_e32 v46, 20, v46
	v_and_b32_e32 v61, 0x80000000, v61
	v_lshl_add_u32 v44, v44, 23, v45
	v_or3_b32 v61, v61, v44, v46
.LBB637_439:                            ;   in Loop: Header=BB637_213 Depth=1
	s_or_b64 exec, exec, s[16:17]
.LBB637_440:                            ;   in Loop: Header=BB637_213 Depth=1
	s_or_b64 exec, exec, s[14:15]
.LBB637_441:                            ;   in Loop: Header=BB637_213 Depth=1
	s_or_b64 exec, exec, s[12:13]
	v_lshrrev_b32_e32 v44, 16, v42
	v_cmp_ne_u16_sdwa s[14:15], v44, v43 src0_sel:BYTE_0 src1_sel:DWORD
	s_and_saveexec_b64 s[12:13], s[14:15]
	s_cbranch_execz .LBB637_447
; %bb.442:                              ;   in Loop: Header=BB637_213 Depth=1
	v_cmp_ne_u16_sdwa s[16:17], v44, s9 src0_sel:BYTE_0 src1_sel:DWORD
	v_bfrev_b32_e32 v60, 1
	s_and_saveexec_b64 s[14:15], s[16:17]
	s_cbranch_execz .LBB637_446
; %bb.443:                              ;   in Loop: Header=BB637_213 Depth=1
	v_bfe_u32 v46, v42, 16, 7
	v_cmp_ne_u32_e32 vcc, s19, v46
	v_mov_b32_e32 v60, 0x7f800001
	s_and_saveexec_b64 s[16:17], vcc
	s_cbranch_execz .LBB637_445
; %bb.444:                              ;   in Loop: Header=BB637_213 Depth=1
	v_and_b32_e32 v60, 7, v44
	v_ffbh_u32_e32 v62, v60
	v_min_u32_e32 v65, 32, v62
	v_subrev_u32_e32 v62, 28, v65
	v_lshlrev_b64 v[62:63], v62, v[44:45]
	v_lshrrev_b32_e32 v64, 3, v46
	v_sub_u32_e32 v63, 29, v65
	v_and_b32_e32 v62, 7, v62
	v_cmp_gt_u32_e32 vcc, 8, v46
	v_cndmask_b32_e32 v46, v64, v63, vcc
	v_cndmask_b32_e32 v60, v60, v62, vcc
	v_lshlrev_b32_e32 v44, 24, v44
	v_lshlrev_b32_e32 v60, 20, v60
	v_and_b32_e32 v44, 0x80000000, v44
	v_lshl_add_u32 v46, v46, 23, v45
	v_or3_b32 v60, v44, v46, v60
.LBB637_445:                            ;   in Loop: Header=BB637_213 Depth=1
	s_or_b64 exec, exec, s[16:17]
.LBB637_446:                            ;   in Loop: Header=BB637_213 Depth=1
	s_or_b64 exec, exec, s[14:15]
.LBB637_447:                            ;   in Loop: Header=BB637_213 Depth=1
	s_or_b64 exec, exec, s[12:13]
	v_cmp_lt_u32_e32 vcc, s20, v42
	v_mov_b32_e32 v46, 0
	v_mov_b32_e32 v62, 0
	s_and_saveexec_b64 s[12:13], vcc
	s_cbranch_execz .LBB637_453
; %bb.448:                              ;   in Loop: Header=BB637_213 Depth=1
	v_lshrrev_b32_e32 v44, 24, v42
	v_cmp_ne_u32_e32 vcc, s9, v44
	v_bfrev_b32_e32 v62, 1
	s_and_saveexec_b64 s[14:15], vcc
	s_cbranch_execz .LBB637_452
; %bb.449:                              ;   in Loop: Header=BB637_213 Depth=1
	v_bfe_u32 v42, v42, 24, 7
	v_cmp_ne_u32_e32 vcc, s19, v42
	v_mov_b32_e32 v62, 0x7f800001
	s_and_saveexec_b64 s[16:17], vcc
	s_cbranch_execz .LBB637_451
; %bb.450:                              ;   in Loop: Header=BB637_213 Depth=1
	v_and_b32_e32 v64, 7, v44
	v_ffbh_u32_e32 v62, v64
	v_min_u32_e32 v66, 32, v62
	v_subrev_u32_e32 v62, 28, v66
	v_lshlrev_b64 v[62:63], v62, v[44:45]
	v_lshrrev_b32_e32 v65, 3, v42
	v_sub_u32_e32 v63, 29, v66
	v_and_b32_e32 v62, 7, v62
	v_cmp_gt_u32_e32 vcc, 8, v42
	v_cndmask_b32_e32 v42, v65, v63, vcc
	v_cndmask_b32_e32 v62, v64, v62, vcc
	v_lshlrev_b32_e32 v44, 24, v44
	v_lshlrev_b32_e32 v62, 20, v62
	v_and_b32_e32 v44, 0x80000000, v44
	v_lshl_add_u32 v42, v42, 23, v45
	v_or3_b32 v62, v44, v42, v62
.LBB637_451:                            ;   in Loop: Header=BB637_213 Depth=1
	s_or_b64 exec, exec, s[16:17]
.LBB637_452:                            ;   in Loop: Header=BB637_213 Depth=1
	s_or_b64 exec, exec, s[14:15]
.LBB637_453:                            ;   in Loop: Header=BB637_213 Depth=1
	s_or_b64 exec, exec, s[12:13]
	v_cvt_pkrtz_f16_f32 v64, v47, v49
	v_cvt_pkrtz_f16_f32 v65, v48, v59
	;; [unrolled: 1-line block ×4, first 2 shown]
	s_waitcnt vmcnt(1)
	v_cmp_ne_u16_sdwa s[14:15], v40, v43 src0_sel:BYTE_0 src1_sel:DWORD
	v_mfma_f32_16x16x16f16 v[34:37], v[64:65], v[18:19], v[34:37]
	v_mfma_f32_16x16x16f16 v[34:37], v[48:49], v[20:21], v[34:37]
	s_and_saveexec_b64 s[12:13], s[14:15]
	s_cbranch_execz .LBB637_459
; %bb.454:                              ;   in Loop: Header=BB637_213 Depth=1
	v_cmp_ne_u16_sdwa s[16:17], v40, s9 src0_sel:BYTE_0 src1_sel:DWORD
	v_bfrev_b32_e32 v46, 1
	s_and_saveexec_b64 s[14:15], s[16:17]
	s_cbranch_execz .LBB637_458
; %bb.455:                              ;   in Loop: Header=BB637_213 Depth=1
	v_and_b32_e32 v42, 0x7f, v40
	v_cmp_ne_u32_e32 vcc, s19, v42
	v_mov_b32_e32 v46, 0x7f800001
	s_and_saveexec_b64 s[16:17], vcc
	s_cbranch_execz .LBB637_457
; %bb.456:                              ;   in Loop: Header=BB637_213 Depth=1
	v_and_b32_e32 v44, 7, v40
	v_ffbh_u32_e32 v46, v44
	v_min_u32_e32 v49, 32, v46
	v_subrev_u32_e32 v46, 28, v49
	v_lshlrev_b64 v[46:47], v46, v[40:41]
	v_lshrrev_b32_e32 v48, 3, v42
	v_sub_u32_e32 v47, 29, v49
	v_and_b32_e32 v46, 7, v46
	v_cmp_gt_u32_e32 vcc, 8, v42
	v_cndmask_b32_e32 v42, v48, v47, vcc
	v_cndmask_b32_e32 v44, v44, v46, vcc
	v_lshlrev_b32_e32 v46, 24, v40
	v_lshlrev_b32_e32 v44, 20, v44
	v_and_b32_e32 v46, 0x80000000, v46
	v_lshl_add_u32 v42, v42, 23, v45
	v_or3_b32 v46, v46, v42, v44
.LBB637_457:                            ;   in Loop: Header=BB637_213 Depth=1
	s_or_b64 exec, exec, s[16:17]
.LBB637_458:                            ;   in Loop: Header=BB637_213 Depth=1
	s_or_b64 exec, exec, s[14:15]
.LBB637_459:                            ;   in Loop: Header=BB637_213 Depth=1
	s_or_b64 exec, exec, s[12:13]
	v_lshrrev_b16_e32 v42, 8, v40
	v_cmp_ne_u16_e32 vcc, 0, v42
	v_mov_b32_e32 v44, 0
	v_mov_b32_e32 v48, 0
	s_and_saveexec_b64 s[12:13], vcc
	s_cbranch_execz .LBB637_465
; %bb.460:                              ;   in Loop: Header=BB637_213 Depth=1
	v_cmp_ne_u16_e32 vcc, s9, v42
	v_bfrev_b32_e32 v48, 1
	s_and_saveexec_b64 s[14:15], vcc
	s_cbranch_execz .LBB637_464
; %bb.461:                              ;   in Loop: Header=BB637_213 Depth=1
	v_and_b32_e32 v47, 0x7f, v42
	v_cmp_ne_u32_e32 vcc, s19, v47
	v_mov_b32_e32 v48, 0x7f800001
	s_and_saveexec_b64 s[16:17], vcc
	s_cbranch_execz .LBB637_463
; %bb.462:                              ;   in Loop: Header=BB637_213 Depth=1
	v_and_b32_e32 v58, 7, v42
	v_ffbh_u32_e32 v48, v58
	v_min_u32_e32 v60, 32, v48
	v_subrev_u32_e32 v48, 28, v60
	v_lshlrev_b64 v[48:49], v48, v[42:43]
	v_lshrrev_b32_e32 v59, 3, v47
	v_sub_u32_e32 v42, 29, v60
	v_and_b32_e32 v48, 7, v48
	v_cmp_gt_u32_e32 vcc, 8, v47
	v_cndmask_b32_e32 v42, v59, v42, vcc
	v_cndmask_b32_e32 v47, v58, v48, vcc
	v_lshlrev_b32_e32 v48, 16, v40
	v_lshlrev_b32_e32 v47, 20, v47
	v_and_b32_e32 v48, 0x80000000, v48
	v_lshl_add_u32 v42, v42, 23, v45
	v_or3_b32 v48, v48, v42, v47
.LBB637_463:                            ;   in Loop: Header=BB637_213 Depth=1
	s_or_b64 exec, exec, s[16:17]
.LBB637_464:                            ;   in Loop: Header=BB637_213 Depth=1
	s_or_b64 exec, exec, s[14:15]
.LBB637_465:                            ;   in Loop: Header=BB637_213 Depth=1
	s_or_b64 exec, exec, s[12:13]
	v_lshrrev_b32_e32 v42, 16, v40
	v_cmp_ne_u16_sdwa s[14:15], v42, v43 src0_sel:BYTE_0 src1_sel:DWORD
	s_and_saveexec_b64 s[12:13], s[14:15]
	s_cbranch_execz .LBB637_471
; %bb.466:                              ;   in Loop: Header=BB637_213 Depth=1
	v_cmp_ne_u16_sdwa s[16:17], v42, s9 src0_sel:BYTE_0 src1_sel:DWORD
	v_bfrev_b32_e32 v44, 1
	s_and_saveexec_b64 s[14:15], s[16:17]
	s_cbranch_execz .LBB637_470
; %bb.467:                              ;   in Loop: Header=BB637_213 Depth=1
	v_bfe_u32 v47, v40, 16, 7
	v_cmp_ne_u32_e32 vcc, s19, v47
	v_mov_b32_e32 v44, 0x7f800001
	s_and_saveexec_b64 s[16:17], vcc
	s_cbranch_execz .LBB637_469
; %bb.468:                              ;   in Loop: Header=BB637_213 Depth=1
	v_and_b32_e32 v44, 7, v42
	v_ffbh_u32_e32 v58, v44
	v_min_u32_e32 v60, 32, v58
	v_subrev_u32_e32 v58, 28, v60
	v_lshlrev_b64 v[58:59], v58, v[42:43]
	v_lshrrev_b32_e32 v49, 3, v47
	v_sub_u32_e32 v59, 29, v60
	v_and_b32_e32 v58, 7, v58
	v_cmp_gt_u32_e32 vcc, 8, v47
	v_cndmask_b32_e32 v47, v49, v59, vcc
	v_cndmask_b32_e32 v44, v44, v58, vcc
	v_lshlrev_b32_e32 v42, 24, v42
	v_lshlrev_b32_e32 v44, 20, v44
	v_and_b32_e32 v42, 0x80000000, v42
	v_lshl_add_u32 v47, v47, 23, v45
	v_or3_b32 v44, v42, v47, v44
.LBB637_469:                            ;   in Loop: Header=BB637_213 Depth=1
	s_or_b64 exec, exec, s[16:17]
.LBB637_470:                            ;   in Loop: Header=BB637_213 Depth=1
	s_or_b64 exec, exec, s[14:15]
.LBB637_471:                            ;   in Loop: Header=BB637_213 Depth=1
	s_or_b64 exec, exec, s[12:13]
	v_cmp_lt_u32_e32 vcc, s20, v40
	v_mov_b32_e32 v49, 0
	v_mov_b32_e32 v58, 0
	s_and_saveexec_b64 s[12:13], vcc
	s_cbranch_execz .LBB637_477
; %bb.472:                              ;   in Loop: Header=BB637_213 Depth=1
	v_lshrrev_b32_e32 v42, 24, v40
	v_cmp_ne_u32_e32 vcc, s9, v42
	v_bfrev_b32_e32 v58, 1
	s_and_saveexec_b64 s[14:15], vcc
	s_cbranch_execz .LBB637_476
; %bb.473:                              ;   in Loop: Header=BB637_213 Depth=1
	v_bfe_u32 v40, v40, 24, 7
	v_cmp_ne_u32_e32 vcc, s19, v40
	v_mov_b32_e32 v58, 0x7f800001
	s_and_saveexec_b64 s[16:17], vcc
	s_cbranch_execz .LBB637_475
; %bb.474:                              ;   in Loop: Header=BB637_213 Depth=1
	v_and_b32_e32 v47, 7, v42
	v_ffbh_u32_e32 v58, v47
	v_min_u32_e32 v61, 32, v58
	v_subrev_u32_e32 v58, 28, v61
	v_lshlrev_b64 v[58:59], v58, v[42:43]
	v_lshrrev_b32_e32 v60, 3, v40
	v_sub_u32_e32 v59, 29, v61
	v_and_b32_e32 v58, 7, v58
	v_cmp_gt_u32_e32 vcc, 8, v40
	v_cndmask_b32_e32 v40, v60, v59, vcc
	v_cndmask_b32_e32 v47, v47, v58, vcc
	v_lshlrev_b32_e32 v42, 24, v42
	v_lshlrev_b32_e32 v47, 20, v47
	v_and_b32_e32 v42, 0x80000000, v42
	v_lshl_add_u32 v40, v40, 23, v45
	v_or3_b32 v58, v42, v40, v47
.LBB637_475:                            ;   in Loop: Header=BB637_213 Depth=1
	s_or_b64 exec, exec, s[16:17]
.LBB637_476:                            ;   in Loop: Header=BB637_213 Depth=1
	s_or_b64 exec, exec, s[14:15]
.LBB637_477:                            ;   in Loop: Header=BB637_213 Depth=1
	s_or_b64 exec, exec, s[12:13]
	s_waitcnt vmcnt(0)
	v_cmp_ne_u16_sdwa s[14:15], v38, v43 src0_sel:BYTE_0 src1_sel:DWORD
	s_and_saveexec_b64 s[12:13], s[14:15]
	s_cbranch_execz .LBB637_483
; %bb.478:                              ;   in Loop: Header=BB637_213 Depth=1
	v_cmp_ne_u16_sdwa s[16:17], v38, s9 src0_sel:BYTE_0 src1_sel:DWORD
	v_bfrev_b32_e32 v49, 1
	s_and_saveexec_b64 s[14:15], s[16:17]
	s_cbranch_execz .LBB637_482
; %bb.479:                              ;   in Loop: Header=BB637_213 Depth=1
	v_and_b32_e32 v40, 0x7f, v38
	v_cmp_ne_u32_e32 vcc, s19, v40
	v_mov_b32_e32 v49, 0x7f800001
	s_and_saveexec_b64 s[16:17], vcc
	s_cbranch_execz .LBB637_481
; %bb.480:                              ;   in Loop: Header=BB637_213 Depth=1
	v_and_b32_e32 v42, 7, v38
	v_ffbh_u32_e32 v49, v42
	v_min_u32_e32 v49, 32, v49
	v_subrev_u32_e32 v59, 28, v49
	v_lshlrev_b64 v[60:61], v59, v[38:39]
	v_lshrrev_b32_e32 v47, 3, v40
	v_sub_u32_e32 v49, 29, v49
	v_and_b32_e32 v59, 7, v60
	v_cmp_gt_u32_e32 vcc, 8, v40
	v_cndmask_b32_e32 v40, v47, v49, vcc
	v_cndmask_b32_e32 v42, v42, v59, vcc
	v_lshlrev_b32_e32 v47, 24, v38
	v_lshlrev_b32_e32 v42, 20, v42
	v_and_b32_e32 v47, 0x80000000, v47
	v_lshl_add_u32 v40, v40, 23, v45
	v_or3_b32 v49, v47, v40, v42
.LBB637_481:                            ;   in Loop: Header=BB637_213 Depth=1
	s_or_b64 exec, exec, s[16:17]
.LBB637_482:                            ;   in Loop: Header=BB637_213 Depth=1
	s_or_b64 exec, exec, s[14:15]
.LBB637_483:                            ;   in Loop: Header=BB637_213 Depth=1
	s_or_b64 exec, exec, s[12:13]
	v_lshrrev_b16_e32 v40, 8, v38
	v_cmp_ne_u16_e32 vcc, 0, v40
	v_mov_b32_e32 v59, 0
	v_mov_b32_e32 v60, 0
	s_and_saveexec_b64 s[12:13], vcc
	s_cbranch_execz .LBB637_489
; %bb.484:                              ;   in Loop: Header=BB637_213 Depth=1
	v_cmp_ne_u16_e32 vcc, s9, v40
	v_bfrev_b32_e32 v60, 1
	s_and_saveexec_b64 s[14:15], vcc
	s_cbranch_execz .LBB637_488
; %bb.485:                              ;   in Loop: Header=BB637_213 Depth=1
	v_and_b32_e32 v42, 0x7f, v40
	v_cmp_ne_u32_e32 vcc, s19, v42
	v_mov_b32_e32 v60, 0x7f800001
	s_and_saveexec_b64 s[16:17], vcc
	s_cbranch_execz .LBB637_487
; %bb.486:                              ;   in Loop: Header=BB637_213 Depth=1
	v_and_b32_e32 v47, 7, v40
	v_ffbh_u32_e32 v60, v47
	v_min_u32_e32 v63, 32, v60
	v_subrev_u32_e32 v60, 28, v63
	v_lshlrev_b64 v[60:61], v60, v[40:41]
	v_lshrrev_b32_e32 v62, 3, v42
	v_sub_u32_e32 v40, 29, v63
	v_and_b32_e32 v60, 7, v60
	v_cmp_gt_u32_e32 vcc, 8, v42
	v_cndmask_b32_e32 v40, v62, v40, vcc
	v_cndmask_b32_e32 v42, v47, v60, vcc
	v_lshlrev_b32_e32 v47, 16, v38
	v_lshlrev_b32_e32 v42, 20, v42
	v_and_b32_e32 v47, 0x80000000, v47
	v_lshl_add_u32 v40, v40, 23, v45
	v_or3_b32 v60, v47, v40, v42
.LBB637_487:                            ;   in Loop: Header=BB637_213 Depth=1
	s_or_b64 exec, exec, s[16:17]
.LBB637_488:                            ;   in Loop: Header=BB637_213 Depth=1
	s_or_b64 exec, exec, s[14:15]
.LBB637_489:                            ;   in Loop: Header=BB637_213 Depth=1
	s_or_b64 exec, exec, s[12:13]
	v_lshrrev_b32_e32 v40, 16, v38
	v_cmp_ne_u16_sdwa s[14:15], v40, v43 src0_sel:BYTE_0 src1_sel:DWORD
	s_and_saveexec_b64 s[12:13], s[14:15]
	s_cbranch_execz .LBB637_495
; %bb.490:                              ;   in Loop: Header=BB637_213 Depth=1
	v_cmp_ne_u16_sdwa s[16:17], v40, s9 src0_sel:BYTE_0 src1_sel:DWORD
	v_bfrev_b32_e32 v59, 1
	s_and_saveexec_b64 s[14:15], s[16:17]
	s_cbranch_execz .LBB637_494
; %bb.491:                              ;   in Loop: Header=BB637_213 Depth=1
	v_bfe_u32 v42, v38, 16, 7
	v_cmp_ne_u32_e32 vcc, s19, v42
	v_mov_b32_e32 v59, 0x7f800001
	s_and_saveexec_b64 s[16:17], vcc
	s_cbranch_execz .LBB637_493
; %bb.492:                              ;   in Loop: Header=BB637_213 Depth=1
	v_and_b32_e32 v47, 7, v40
	v_ffbh_u32_e32 v61, v47
	v_min_u32_e32 v61, 32, v61
	v_subrev_u32_e32 v62, 28, v61
	v_lshlrev_b64 v[62:63], v62, v[40:41]
	v_lshrrev_b32_e32 v59, 3, v42
	v_sub_u32_e32 v61, 29, v61
	v_and_b32_e32 v62, 7, v62
	v_cmp_gt_u32_e32 vcc, 8, v42
	v_cndmask_b32_e32 v42, v59, v61, vcc
	v_cndmask_b32_e32 v47, v47, v62, vcc
	v_lshlrev_b32_e32 v40, 24, v40
	v_lshlrev_b32_e32 v47, 20, v47
	v_and_b32_e32 v40, 0x80000000, v40
	v_lshl_add_u32 v42, v42, 23, v45
	v_or3_b32 v59, v40, v42, v47
.LBB637_493:                            ;   in Loop: Header=BB637_213 Depth=1
	s_or_b64 exec, exec, s[16:17]
.LBB637_494:                            ;   in Loop: Header=BB637_213 Depth=1
	s_or_b64 exec, exec, s[14:15]
.LBB637_495:                            ;   in Loop: Header=BB637_213 Depth=1
	s_or_b64 exec, exec, s[12:13]
	v_cmp_lt_u32_e32 vcc, s20, v38
	v_mov_b32_e32 v47, 0
	v_mov_b32_e32 v61, 0
	s_and_saveexec_b64 s[12:13], vcc
	s_cbranch_execz .LBB637_501
; %bb.496:                              ;   in Loop: Header=BB637_213 Depth=1
	v_lshrrev_b32_e32 v40, 24, v38
	v_cmp_ne_u32_e32 vcc, s9, v40
	v_bfrev_b32_e32 v61, 1
	s_and_saveexec_b64 s[14:15], vcc
	s_cbranch_execz .LBB637_500
; %bb.497:                              ;   in Loop: Header=BB637_213 Depth=1
	v_bfe_u32 v38, v38, 24, 7
	v_cmp_ne_u32_e32 vcc, s19, v38
	v_mov_b32_e32 v61, 0x7f800001
	s_and_saveexec_b64 s[16:17], vcc
	s_cbranch_execz .LBB637_499
; %bb.498:                              ;   in Loop: Header=BB637_213 Depth=1
	v_and_b32_e32 v42, 7, v40
	v_ffbh_u32_e32 v62, v42
	v_min_u32_e32 v64, 32, v62
	v_subrev_u32_e32 v62, 28, v64
	v_lshlrev_b64 v[62:63], v62, v[40:41]
	v_lshrrev_b32_e32 v61, 3, v38
	v_sub_u32_e32 v63, 29, v64
	v_and_b32_e32 v62, 7, v62
	v_cmp_gt_u32_e32 vcc, 8, v38
	v_cndmask_b32_e32 v38, v61, v63, vcc
	v_cndmask_b32_e32 v42, v42, v62, vcc
	v_lshlrev_b32_e32 v40, 24, v40
	v_lshlrev_b32_e32 v42, 20, v42
	v_and_b32_e32 v40, 0x80000000, v40
	v_lshl_add_u32 v38, v38, 23, v45
	v_or3_b32 v61, v40, v38, v42
.LBB637_499:                            ;   in Loop: Header=BB637_213 Depth=1
	s_or_b64 exec, exec, s[16:17]
.LBB637_500:                            ;   in Loop: Header=BB637_213 Depth=1
	s_or_b64 exec, exec, s[14:15]
.LBB637_501:                            ;   in Loop: Header=BB637_213 Depth=1
	s_or_b64 exec, exec, s[12:13]
	v_cvt_pkrtz_f16_f32 v63, v44, v58
	buffer_load_dword v44, v57, s[0:3], 0 offen
	buffer_load_dword v42, v57, s[0:3], 0 offen offset:4
	buffer_load_dword v40, v57, s[0:3], 0 offen offset:8
	;; [unrolled: 1-line block ×3, first 2 shown]
	v_cvt_pkrtz_f16_f32 v62, v46, v48
	v_cvt_pkrtz_f16_f32 v48, v49, v60
	;; [unrolled: 1-line block ×3, first 2 shown]
	v_mfma_f32_16x16x16f16 v[34:37], v[62:63], v[22:23], v[34:37]
	s_waitcnt vmcnt(3)
	v_cmp_ne_u16_sdwa s[14:15], v44, v43 src0_sel:BYTE_0 src1_sel:DWORD
	v_mfma_f32_16x16x16f16 v[34:37], v[48:49], v[24:25], v[34:37]
	s_and_saveexec_b64 s[12:13], s[14:15]
	s_cbranch_execz .LBB637_507
; %bb.502:                              ;   in Loop: Header=BB637_213 Depth=1
	v_cmp_ne_u16_sdwa s[16:17], v44, s9 src0_sel:BYTE_0 src1_sel:DWORD
	v_bfrev_b32_e32 v47, 1
	s_and_saveexec_b64 s[14:15], s[16:17]
	s_cbranch_execz .LBB637_506
; %bb.503:                              ;   in Loop: Header=BB637_213 Depth=1
	v_and_b32_e32 v46, 0x7f, v44
	v_cmp_ne_u32_e32 vcc, s19, v46
	v_mov_b32_e32 v47, 0x7f800001
	s_and_saveexec_b64 s[16:17], vcc
	s_cbranch_execz .LBB637_505
; %bb.504:                              ;   in Loop: Header=BB637_213 Depth=1
	v_and_b32_e32 v47, 7, v44
	v_ffbh_u32_e32 v48, v47
	v_min_u32_e32 v58, 32, v48
	v_subrev_u32_e32 v48, 28, v58
	v_lshlrev_b64 v[48:49], v48, v[44:45]
	v_lshrrev_b32_e32 v57, 3, v46
	v_sub_u32_e32 v49, 29, v58
	v_and_b32_e32 v48, 7, v48
	v_cmp_gt_u32_e32 vcc, 8, v46
	v_cndmask_b32_e32 v46, v57, v49, vcc
	v_cndmask_b32_e32 v47, v47, v48, vcc
	v_lshlrev_b32_e32 v48, 24, v44
	v_lshlrev_b32_e32 v47, 20, v47
	v_and_b32_e32 v48, 0x80000000, v48
	v_lshl_add_u32 v46, v46, 23, v45
	v_or3_b32 v47, v48, v46, v47
.LBB637_505:                            ;   in Loop: Header=BB637_213 Depth=1
	s_or_b64 exec, exec, s[16:17]
.LBB637_506:                            ;   in Loop: Header=BB637_213 Depth=1
	s_or_b64 exec, exec, s[14:15]
.LBB637_507:                            ;   in Loop: Header=BB637_213 Depth=1
	s_or_b64 exec, exec, s[12:13]
	v_lshrrev_b16_e32 v46, 8, v44
	v_cmp_ne_u16_e32 vcc, 0, v46
	v_mov_b32_e32 v48, 0
	v_mov_b32_e32 v49, 0
	s_and_saveexec_b64 s[12:13], vcc
	s_cbranch_execz .LBB637_513
; %bb.508:                              ;   in Loop: Header=BB637_213 Depth=1
	v_cmp_ne_u16_e32 vcc, s9, v46
	v_bfrev_b32_e32 v49, 1
	s_and_saveexec_b64 s[14:15], vcc
	s_cbranch_execz .LBB637_512
; %bb.509:                              ;   in Loop: Header=BB637_213 Depth=1
	v_and_b32_e32 v57, 0x7f, v46
	v_cmp_ne_u32_e32 vcc, s19, v57
	v_mov_b32_e32 v49, 0x7f800001
	s_and_saveexec_b64 s[16:17], vcc
	s_cbranch_execz .LBB637_511
; %bb.510:                              ;   in Loop: Header=BB637_213 Depth=1
	v_and_b32_e32 v49, 7, v46
	v_ffbh_u32_e32 v58, v49
	v_min_u32_e32 v61, 32, v58
	v_subrev_u32_e32 v58, 28, v61
	v_lshlrev_b64 v[58:59], v58, v[46:47]
	v_lshrrev_b32_e32 v60, 3, v57
	v_sub_u32_e32 v46, 29, v61
	v_and_b32_e32 v58, 7, v58
	v_cmp_gt_u32_e32 vcc, 8, v57
	v_cndmask_b32_e32 v46, v60, v46, vcc
	v_cndmask_b32_e32 v49, v49, v58, vcc
	v_lshlrev_b32_e32 v57, 16, v44
	v_lshlrev_b32_e32 v49, 20, v49
	v_and_b32_e32 v57, 0x80000000, v57
	v_lshl_add_u32 v46, v46, 23, v45
	v_or3_b32 v49, v57, v46, v49
.LBB637_511:                            ;   in Loop: Header=BB637_213 Depth=1
	s_or_b64 exec, exec, s[16:17]
.LBB637_512:                            ;   in Loop: Header=BB637_213 Depth=1
	s_or_b64 exec, exec, s[14:15]
.LBB637_513:                            ;   in Loop: Header=BB637_213 Depth=1
	s_or_b64 exec, exec, s[12:13]
	v_lshrrev_b32_e32 v46, 16, v44
	v_cmp_ne_u16_sdwa s[14:15], v46, v43 src0_sel:BYTE_0 src1_sel:DWORD
	s_and_saveexec_b64 s[12:13], s[14:15]
	s_cbranch_execz .LBB637_519
; %bb.514:                              ;   in Loop: Header=BB637_213 Depth=1
	v_cmp_ne_u16_sdwa s[16:17], v46, s9 src0_sel:BYTE_0 src1_sel:DWORD
	v_bfrev_b32_e32 v48, 1
	s_and_saveexec_b64 s[14:15], s[16:17]
	s_cbranch_execz .LBB637_518
; %bb.515:                              ;   in Loop: Header=BB637_213 Depth=1
	v_bfe_u32 v57, v44, 16, 7
	v_cmp_ne_u32_e32 vcc, s19, v57
	v_mov_b32_e32 v48, 0x7f800001
	s_and_saveexec_b64 s[16:17], vcc
	s_cbranch_execz .LBB637_517
; %bb.516:                              ;   in Loop: Header=BB637_213 Depth=1
	v_and_b32_e32 v48, 7, v46
	v_ffbh_u32_e32 v58, v48
	v_min_u32_e32 v61, 32, v58
	v_subrev_u32_e32 v58, 28, v61
	v_lshlrev_b64 v[58:59], v58, v[46:47]
	v_lshrrev_b32_e32 v60, 3, v57
	v_sub_u32_e32 v59, 29, v61
	v_and_b32_e32 v58, 7, v58
	v_cmp_gt_u32_e32 vcc, 8, v57
	v_cndmask_b32_e32 v57, v60, v59, vcc
	v_cndmask_b32_e32 v48, v48, v58, vcc
	v_lshlrev_b32_e32 v46, 24, v46
	v_lshlrev_b32_e32 v48, 20, v48
	v_and_b32_e32 v46, 0x80000000, v46
	v_lshl_add_u32 v57, v57, 23, v45
	v_or3_b32 v48, v46, v57, v48
.LBB637_517:                            ;   in Loop: Header=BB637_213 Depth=1
	s_or_b64 exec, exec, s[16:17]
.LBB637_518:                            ;   in Loop: Header=BB637_213 Depth=1
	s_or_b64 exec, exec, s[14:15]
.LBB637_519:                            ;   in Loop: Header=BB637_213 Depth=1
	s_or_b64 exec, exec, s[12:13]
	v_cmp_lt_u32_e32 vcc, s20, v44
	v_mov_b32_e32 v57, 0
	v_mov_b32_e32 v58, 0
	s_and_saveexec_b64 s[12:13], vcc
	s_cbranch_execz .LBB637_525
; %bb.520:                              ;   in Loop: Header=BB637_213 Depth=1
	v_lshrrev_b32_e32 v46, 24, v44
	v_cmp_ne_u32_e32 vcc, s9, v46
	v_bfrev_b32_e32 v58, 1
	s_and_saveexec_b64 s[14:15], vcc
	s_cbranch_execz .LBB637_524
; %bb.521:                              ;   in Loop: Header=BB637_213 Depth=1
	v_bfe_u32 v44, v44, 24, 7
	v_cmp_ne_u32_e32 vcc, s19, v44
	v_mov_b32_e32 v58, 0x7f800001
	s_and_saveexec_b64 s[16:17], vcc
	s_cbranch_execz .LBB637_523
; %bb.522:                              ;   in Loop: Header=BB637_213 Depth=1
	v_and_b32_e32 v60, 7, v46
	v_ffbh_u32_e32 v58, v60
	v_min_u32_e32 v62, 32, v58
	v_subrev_u32_e32 v58, 28, v62
	v_lshlrev_b64 v[58:59], v58, v[46:47]
	v_lshrrev_b32_e32 v61, 3, v44
	v_sub_u32_e32 v59, 29, v62
	v_and_b32_e32 v58, 7, v58
	v_cmp_gt_u32_e32 vcc, 8, v44
	v_cndmask_b32_e32 v44, v61, v59, vcc
	v_cndmask_b32_e32 v58, v60, v58, vcc
	v_lshlrev_b32_e32 v46, 24, v46
	v_lshlrev_b32_e32 v58, 20, v58
	v_and_b32_e32 v46, 0x80000000, v46
	v_lshl_add_u32 v44, v44, 23, v45
	v_or3_b32 v58, v46, v44, v58
.LBB637_523:                            ;   in Loop: Header=BB637_213 Depth=1
	s_or_b64 exec, exec, s[16:17]
.LBB637_524:                            ;   in Loop: Header=BB637_213 Depth=1
	s_or_b64 exec, exec, s[14:15]
.LBB637_525:                            ;   in Loop: Header=BB637_213 Depth=1
	s_or_b64 exec, exec, s[12:13]
	s_waitcnt vmcnt(2)
	v_cmp_ne_u16_sdwa s[14:15], v42, v43 src0_sel:BYTE_0 src1_sel:DWORD
	s_and_saveexec_b64 s[12:13], s[14:15]
	s_cbranch_execz .LBB637_531
; %bb.526:                              ;   in Loop: Header=BB637_213 Depth=1
	v_cmp_ne_u16_sdwa s[16:17], v42, s9 src0_sel:BYTE_0 src1_sel:DWORD
	v_bfrev_b32_e32 v57, 1
	s_and_saveexec_b64 s[14:15], s[16:17]
	s_cbranch_execz .LBB637_530
; %bb.527:                              ;   in Loop: Header=BB637_213 Depth=1
	v_and_b32_e32 v44, 0x7f, v42
	v_cmp_ne_u32_e32 vcc, s19, v44
	v_mov_b32_e32 v57, 0x7f800001
	s_and_saveexec_b64 s[16:17], vcc
	s_cbranch_execz .LBB637_529
; %bb.528:                              ;   in Loop: Header=BB637_213 Depth=1
	v_and_b32_e32 v46, 7, v42
	v_ffbh_u32_e32 v59, v46
	v_min_u32_e32 v59, 32, v59
	v_subrev_u32_e32 v60, 28, v59
	v_lshlrev_b64 v[60:61], v60, v[42:43]
	v_lshrrev_b32_e32 v57, 3, v44
	v_sub_u32_e32 v59, 29, v59
	v_and_b32_e32 v60, 7, v60
	v_cmp_gt_u32_e32 vcc, 8, v44
	v_cndmask_b32_e32 v44, v57, v59, vcc
	v_cndmask_b32_e32 v46, v46, v60, vcc
	v_lshlrev_b32_e32 v57, 24, v42
	v_lshlrev_b32_e32 v46, 20, v46
	v_and_b32_e32 v57, 0x80000000, v57
	v_lshl_add_u32 v44, v44, 23, v45
	v_or3_b32 v57, v57, v44, v46
.LBB637_529:                            ;   in Loop: Header=BB637_213 Depth=1
	s_or_b64 exec, exec, s[16:17]
.LBB637_530:                            ;   in Loop: Header=BB637_213 Depth=1
	s_or_b64 exec, exec, s[14:15]
.LBB637_531:                            ;   in Loop: Header=BB637_213 Depth=1
	s_or_b64 exec, exec, s[12:13]
	v_lshrrev_b16_e32 v44, 8, v42
	v_cmp_ne_u16_e32 vcc, 0, v44
	v_mov_b32_e32 v59, 0
	v_mov_b32_e32 v60, 0
	s_and_saveexec_b64 s[12:13], vcc
	s_cbranch_execz .LBB637_537
; %bb.532:                              ;   in Loop: Header=BB637_213 Depth=1
	v_cmp_ne_u16_e32 vcc, s9, v44
	v_bfrev_b32_e32 v60, 1
	s_and_saveexec_b64 s[14:15], vcc
	s_cbranch_execz .LBB637_536
; %bb.533:                              ;   in Loop: Header=BB637_213 Depth=1
	v_and_b32_e32 v46, 0x7f, v44
	v_cmp_ne_u32_e32 vcc, s19, v46
	v_mov_b32_e32 v60, 0x7f800001
	s_and_saveexec_b64 s[16:17], vcc
	s_cbranch_execz .LBB637_535
; %bb.534:                              ;   in Loop: Header=BB637_213 Depth=1
	v_and_b32_e32 v62, 7, v44
	v_ffbh_u32_e32 v60, v62
	v_min_u32_e32 v64, 32, v60
	v_subrev_u32_e32 v60, 28, v64
	v_lshlrev_b64 v[60:61], v60, v[44:45]
	v_lshrrev_b32_e32 v63, 3, v46
	v_sub_u32_e32 v44, 29, v64
	v_and_b32_e32 v60, 7, v60
	v_cmp_gt_u32_e32 vcc, 8, v46
	v_cndmask_b32_e32 v44, v63, v44, vcc
	v_cndmask_b32_e32 v46, v62, v60, vcc
	v_lshlrev_b32_e32 v60, 16, v42
	v_lshlrev_b32_e32 v46, 20, v46
	v_and_b32_e32 v60, 0x80000000, v60
	v_lshl_add_u32 v44, v44, 23, v45
	v_or3_b32 v60, v60, v44, v46
.LBB637_535:                            ;   in Loop: Header=BB637_213 Depth=1
	s_or_b64 exec, exec, s[16:17]
.LBB637_536:                            ;   in Loop: Header=BB637_213 Depth=1
	s_or_b64 exec, exec, s[14:15]
.LBB637_537:                            ;   in Loop: Header=BB637_213 Depth=1
	s_or_b64 exec, exec, s[12:13]
	v_lshrrev_b32_e32 v44, 16, v42
	v_cmp_ne_u16_sdwa s[14:15], v44, v43 src0_sel:BYTE_0 src1_sel:DWORD
	s_and_saveexec_b64 s[12:13], s[14:15]
	s_cbranch_execz .LBB637_543
; %bb.538:                              ;   in Loop: Header=BB637_213 Depth=1
	v_cmp_ne_u16_sdwa s[16:17], v44, s9 src0_sel:BYTE_0 src1_sel:DWORD
	v_bfrev_b32_e32 v59, 1
	s_and_saveexec_b64 s[14:15], s[16:17]
	s_cbranch_execz .LBB637_542
; %bb.539:                              ;   in Loop: Header=BB637_213 Depth=1
	v_bfe_u32 v46, v42, 16, 7
	v_cmp_ne_u32_e32 vcc, s19, v46
	v_mov_b32_e32 v59, 0x7f800001
	s_and_saveexec_b64 s[16:17], vcc
	s_cbranch_execz .LBB637_541
; %bb.540:                              ;   in Loop: Header=BB637_213 Depth=1
	v_and_b32_e32 v59, 7, v44
	v_ffbh_u32_e32 v62, v59
	v_min_u32_e32 v64, 32, v62
	v_subrev_u32_e32 v62, 28, v64
	v_lshlrev_b64 v[62:63], v62, v[44:45]
	v_lshrrev_b32_e32 v61, 3, v46
	v_sub_u32_e32 v63, 29, v64
	v_and_b32_e32 v62, 7, v62
	v_cmp_gt_u32_e32 vcc, 8, v46
	v_cndmask_b32_e32 v46, v61, v63, vcc
	v_cndmask_b32_e32 v59, v59, v62, vcc
	v_lshlrev_b32_e32 v44, 24, v44
	v_lshlrev_b32_e32 v59, 20, v59
	v_and_b32_e32 v44, 0x80000000, v44
	v_lshl_add_u32 v46, v46, 23, v45
	v_or3_b32 v59, v44, v46, v59
.LBB637_541:                            ;   in Loop: Header=BB637_213 Depth=1
	s_or_b64 exec, exec, s[16:17]
.LBB637_542:                            ;   in Loop: Header=BB637_213 Depth=1
	s_or_b64 exec, exec, s[14:15]
.LBB637_543:                            ;   in Loop: Header=BB637_213 Depth=1
	s_or_b64 exec, exec, s[12:13]
	v_cmp_lt_u32_e32 vcc, s20, v42
	v_mov_b32_e32 v46, 0
	v_mov_b32_e32 v61, 0
	s_and_saveexec_b64 s[12:13], vcc
	s_cbranch_execz .LBB637_549
; %bb.544:                              ;   in Loop: Header=BB637_213 Depth=1
	v_lshrrev_b32_e32 v44, 24, v42
	v_cmp_ne_u32_e32 vcc, s9, v44
	v_bfrev_b32_e32 v61, 1
	s_and_saveexec_b64 s[14:15], vcc
	s_cbranch_execz .LBB637_548
; %bb.545:                              ;   in Loop: Header=BB637_213 Depth=1
	v_bfe_u32 v42, v42, 24, 7
	v_cmp_ne_u32_e32 vcc, s19, v42
	v_mov_b32_e32 v61, 0x7f800001
	s_and_saveexec_b64 s[16:17], vcc
	s_cbranch_execz .LBB637_547
; %bb.546:                              ;   in Loop: Header=BB637_213 Depth=1
	v_and_b32_e32 v61, 7, v44
	v_ffbh_u32_e32 v62, v61
	v_min_u32_e32 v65, 32, v62
	v_subrev_u32_e32 v62, 28, v65
	v_lshlrev_b64 v[62:63], v62, v[44:45]
	v_lshrrev_b32_e32 v64, 3, v42
	v_sub_u32_e32 v63, 29, v65
	v_and_b32_e32 v62, 7, v62
	v_cmp_gt_u32_e32 vcc, 8, v42
	v_cndmask_b32_e32 v42, v64, v63, vcc
	v_cndmask_b32_e32 v61, v61, v62, vcc
	v_lshlrev_b32_e32 v44, 24, v44
	v_lshlrev_b32_e32 v61, 20, v61
	v_and_b32_e32 v44, 0x80000000, v44
	v_lshl_add_u32 v42, v42, 23, v45
	v_or3_b32 v61, v44, v42, v61
.LBB637_547:                            ;   in Loop: Header=BB637_213 Depth=1
	s_or_b64 exec, exec, s[16:17]
.LBB637_548:                            ;   in Loop: Header=BB637_213 Depth=1
	s_or_b64 exec, exec, s[14:15]
.LBB637_549:                            ;   in Loop: Header=BB637_213 Depth=1
	s_or_b64 exec, exec, s[12:13]
	v_cvt_pkrtz_f16_f32 v62, v47, v49
	v_cvt_pkrtz_f16_f32 v63, v48, v58
	;; [unrolled: 1-line block ×4, first 2 shown]
	s_waitcnt vmcnt(1)
	v_cmp_ne_u16_sdwa s[14:15], v40, v43 src0_sel:BYTE_0 src1_sel:DWORD
	v_mfma_f32_16x16x16f16 v[34:37], v[62:63], v[26:27], v[34:37]
	v_mfma_f32_16x16x16f16 v[34:37], v[48:49], v[28:29], v[34:37]
	s_and_saveexec_b64 s[12:13], s[14:15]
	s_cbranch_execz .LBB637_555
; %bb.550:                              ;   in Loop: Header=BB637_213 Depth=1
	v_cmp_ne_u16_sdwa s[16:17], v40, s9 src0_sel:BYTE_0 src1_sel:DWORD
	v_bfrev_b32_e32 v46, 1
	s_and_saveexec_b64 s[14:15], s[16:17]
	s_cbranch_execz .LBB637_554
; %bb.551:                              ;   in Loop: Header=BB637_213 Depth=1
	v_and_b32_e32 v42, 0x7f, v40
	v_cmp_ne_u32_e32 vcc, s19, v42
	v_mov_b32_e32 v46, 0x7f800001
	s_and_saveexec_b64 s[16:17], vcc
	s_cbranch_execz .LBB637_553
; %bb.552:                              ;   in Loop: Header=BB637_213 Depth=1
	v_and_b32_e32 v44, 7, v40
	v_ffbh_u32_e32 v46, v44
	v_min_u32_e32 v49, 32, v46
	v_subrev_u32_e32 v46, 28, v49
	v_lshlrev_b64 v[46:47], v46, v[40:41]
	v_lshrrev_b32_e32 v48, 3, v42
	v_sub_u32_e32 v47, 29, v49
	v_and_b32_e32 v46, 7, v46
	v_cmp_gt_u32_e32 vcc, 8, v42
	v_cndmask_b32_e32 v42, v48, v47, vcc
	v_cndmask_b32_e32 v44, v44, v46, vcc
	v_lshlrev_b32_e32 v46, 24, v40
	v_lshlrev_b32_e32 v44, 20, v44
	v_and_b32_e32 v46, 0x80000000, v46
	v_lshl_add_u32 v42, v42, 23, v45
	v_or3_b32 v46, v46, v42, v44
.LBB637_553:                            ;   in Loop: Header=BB637_213 Depth=1
	s_or_b64 exec, exec, s[16:17]
.LBB637_554:                            ;   in Loop: Header=BB637_213 Depth=1
	s_or_b64 exec, exec, s[14:15]
.LBB637_555:                            ;   in Loop: Header=BB637_213 Depth=1
	s_or_b64 exec, exec, s[12:13]
	v_lshrrev_b16_e32 v42, 8, v40
	v_cmp_ne_u16_e32 vcc, 0, v42
	v_mov_b32_e32 v44, 0
	v_mov_b32_e32 v47, 0
	s_and_saveexec_b64 s[12:13], vcc
	s_cbranch_execz .LBB637_561
; %bb.556:                              ;   in Loop: Header=BB637_213 Depth=1
	v_cmp_ne_u16_e32 vcc, s9, v42
	v_bfrev_b32_e32 v47, 1
	s_and_saveexec_b64 s[14:15], vcc
	s_cbranch_execz .LBB637_560
; %bb.557:                              ;   in Loop: Header=BB637_213 Depth=1
	v_and_b32_e32 v48, 0x7f, v42
	v_cmp_ne_u32_e32 vcc, s19, v48
	v_mov_b32_e32 v47, 0x7f800001
	s_and_saveexec_b64 s[16:17], vcc
	s_cbranch_execz .LBB637_559
; %bb.558:                              ;   in Loop: Header=BB637_213 Depth=1
	v_and_b32_e32 v47, 7, v42
	v_ffbh_u32_e32 v57, v47
	v_min_u32_e32 v57, 32, v57
	v_subrev_u32_e32 v58, 28, v57
	v_lshlrev_b64 v[58:59], v58, v[42:43]
	v_lshrrev_b32_e32 v49, 3, v48
	v_sub_u32_e32 v42, 29, v57
	v_and_b32_e32 v57, 7, v58
	v_cmp_gt_u32_e32 vcc, 8, v48
	v_cndmask_b32_e32 v42, v49, v42, vcc
	v_cndmask_b32_e32 v47, v47, v57, vcc
	v_lshlrev_b32_e32 v48, 16, v40
	v_lshlrev_b32_e32 v47, 20, v47
	v_and_b32_e32 v48, 0x80000000, v48
	v_lshl_add_u32 v42, v42, 23, v45
	v_or3_b32 v47, v48, v42, v47
.LBB637_559:                            ;   in Loop: Header=BB637_213 Depth=1
	s_or_b64 exec, exec, s[16:17]
.LBB637_560:                            ;   in Loop: Header=BB637_213 Depth=1
	s_or_b64 exec, exec, s[14:15]
.LBB637_561:                            ;   in Loop: Header=BB637_213 Depth=1
	s_or_b64 exec, exec, s[12:13]
	v_lshrrev_b32_e32 v42, 16, v40
	v_cmp_ne_u16_sdwa s[14:15], v42, v43 src0_sel:BYTE_0 src1_sel:DWORD
	s_and_saveexec_b64 s[12:13], s[14:15]
	s_cbranch_execz .LBB637_567
; %bb.562:                              ;   in Loop: Header=BB637_213 Depth=1
	v_cmp_ne_u16_sdwa s[16:17], v42, s9 src0_sel:BYTE_0 src1_sel:DWORD
	v_bfrev_b32_e32 v44, 1
	s_and_saveexec_b64 s[14:15], s[16:17]
	s_cbranch_execz .LBB637_566
; %bb.563:                              ;   in Loop: Header=BB637_213 Depth=1
	v_bfe_u32 v48, v40, 16, 7
	v_cmp_ne_u32_e32 vcc, s19, v48
	v_mov_b32_e32 v44, 0x7f800001
	s_and_saveexec_b64 s[16:17], vcc
	s_cbranch_execz .LBB637_565
; %bb.564:                              ;   in Loop: Header=BB637_213 Depth=1
	v_and_b32_e32 v44, 7, v42
	v_ffbh_u32_e32 v57, v44
	v_min_u32_e32 v57, 32, v57
	v_subrev_u32_e32 v58, 28, v57
	v_lshlrev_b64 v[58:59], v58, v[42:43]
	v_lshrrev_b32_e32 v49, 3, v48
	v_sub_u32_e32 v57, 29, v57
	v_and_b32_e32 v58, 7, v58
	v_cmp_gt_u32_e32 vcc, 8, v48
	v_cndmask_b32_e32 v48, v49, v57, vcc
	v_cndmask_b32_e32 v44, v44, v58, vcc
	v_lshlrev_b32_e32 v42, 24, v42
	v_lshlrev_b32_e32 v44, 20, v44
	v_and_b32_e32 v42, 0x80000000, v42
	v_lshl_add_u32 v48, v48, 23, v45
	v_or3_b32 v44, v42, v48, v44
.LBB637_565:                            ;   in Loop: Header=BB637_213 Depth=1
	s_or_b64 exec, exec, s[16:17]
.LBB637_566:                            ;   in Loop: Header=BB637_213 Depth=1
	s_or_b64 exec, exec, s[14:15]
.LBB637_567:                            ;   in Loop: Header=BB637_213 Depth=1
	s_or_b64 exec, exec, s[12:13]
	v_cmp_lt_u32_e32 vcc, s20, v40
	v_mov_b32_e32 v48, 0
	v_mov_b32_e32 v49, 0
	s_and_saveexec_b64 s[12:13], vcc
	s_cbranch_execz .LBB637_573
; %bb.568:                              ;   in Loop: Header=BB637_213 Depth=1
	v_lshrrev_b32_e32 v42, 24, v40
	v_cmp_ne_u32_e32 vcc, s9, v42
	v_bfrev_b32_e32 v49, 1
	s_and_saveexec_b64 s[14:15], vcc
	s_cbranch_execz .LBB637_572
; %bb.569:                              ;   in Loop: Header=BB637_213 Depth=1
	v_bfe_u32 v40, v40, 24, 7
	v_cmp_ne_u32_e32 vcc, s19, v40
	v_mov_b32_e32 v49, 0x7f800001
	s_and_saveexec_b64 s[16:17], vcc
	s_cbranch_execz .LBB637_571
; %bb.570:                              ;   in Loop: Header=BB637_213 Depth=1
	v_and_b32_e32 v49, 7, v42
	v_ffbh_u32_e32 v58, v49
	v_min_u32_e32 v60, 32, v58
	v_subrev_u32_e32 v58, 28, v60
	v_lshlrev_b64 v[58:59], v58, v[42:43]
	v_lshrrev_b32_e32 v57, 3, v40
	v_sub_u32_e32 v59, 29, v60
	v_and_b32_e32 v58, 7, v58
	v_cmp_gt_u32_e32 vcc, 8, v40
	v_cndmask_b32_e32 v40, v57, v59, vcc
	v_cndmask_b32_e32 v49, v49, v58, vcc
	v_lshlrev_b32_e32 v42, 24, v42
	v_lshlrev_b32_e32 v49, 20, v49
	v_and_b32_e32 v42, 0x80000000, v42
	v_lshl_add_u32 v40, v40, 23, v45
	v_or3_b32 v49, v42, v40, v49
.LBB637_571:                            ;   in Loop: Header=BB637_213 Depth=1
	s_or_b64 exec, exec, s[16:17]
.LBB637_572:                            ;   in Loop: Header=BB637_213 Depth=1
	s_or_b64 exec, exec, s[14:15]
.LBB637_573:                            ;   in Loop: Header=BB637_213 Depth=1
	s_or_b64 exec, exec, s[12:13]
	s_waitcnt vmcnt(0)
	v_cmp_ne_u16_sdwa s[14:15], v38, v43 src0_sel:BYTE_0 src1_sel:DWORD
	s_and_saveexec_b64 s[12:13], s[14:15]
	s_cbranch_execz .LBB637_579
; %bb.574:                              ;   in Loop: Header=BB637_213 Depth=1
	v_cmp_ne_u16_sdwa s[16:17], v38, s9 src0_sel:BYTE_0 src1_sel:DWORD
	v_bfrev_b32_e32 v48, 1
	s_and_saveexec_b64 s[14:15], s[16:17]
	s_cbranch_execz .LBB637_578
; %bb.575:                              ;   in Loop: Header=BB637_213 Depth=1
	v_and_b32_e32 v40, 0x7f, v38
	v_cmp_ne_u32_e32 vcc, s19, v40
	v_mov_b32_e32 v48, 0x7f800001
	s_and_saveexec_b64 s[16:17], vcc
	s_cbranch_execz .LBB637_577
; %bb.576:                              ;   in Loop: Header=BB637_213 Depth=1
	v_and_b32_e32 v42, 7, v38
	v_ffbh_u32_e32 v57, v42
	v_min_u32_e32 v57, 32, v57
	v_subrev_u32_e32 v58, 28, v57
	v_lshlrev_b64 v[58:59], v58, v[38:39]
	v_lshrrev_b32_e32 v48, 3, v40
	v_sub_u32_e32 v57, 29, v57
	v_and_b32_e32 v58, 7, v58
	v_cmp_gt_u32_e32 vcc, 8, v40
	v_cndmask_b32_e32 v40, v48, v57, vcc
	v_cndmask_b32_e32 v42, v42, v58, vcc
	v_lshlrev_b32_e32 v48, 24, v38
	v_lshlrev_b32_e32 v42, 20, v42
	v_and_b32_e32 v48, 0x80000000, v48
	v_lshl_add_u32 v40, v40, 23, v45
	v_or3_b32 v48, v48, v40, v42
.LBB637_577:                            ;   in Loop: Header=BB637_213 Depth=1
	s_or_b64 exec, exec, s[16:17]
.LBB637_578:                            ;   in Loop: Header=BB637_213 Depth=1
	s_or_b64 exec, exec, s[14:15]
.LBB637_579:                            ;   in Loop: Header=BB637_213 Depth=1
	s_or_b64 exec, exec, s[12:13]
	v_lshrrev_b16_e32 v40, 8, v38
	v_cmp_ne_u16_e32 vcc, 0, v40
	v_mov_b32_e32 v42, 0
	v_mov_b32_e32 v57, 0
	s_and_saveexec_b64 s[12:13], vcc
	s_cbranch_execz .LBB637_585
; %bb.580:                              ;   in Loop: Header=BB637_213 Depth=1
	v_cmp_ne_u16_e32 vcc, s9, v40
	v_bfrev_b32_e32 v57, 1
	s_and_saveexec_b64 s[14:15], vcc
	s_cbranch_execz .LBB637_584
; %bb.581:                              ;   in Loop: Header=BB637_213 Depth=1
	v_and_b32_e32 v58, 0x7f, v40
	v_cmp_ne_u32_e32 vcc, s19, v58
	v_mov_b32_e32 v57, 0x7f800001
	s_and_saveexec_b64 s[16:17], vcc
	s_cbranch_execz .LBB637_583
; %bb.582:                              ;   in Loop: Header=BB637_213 Depth=1
	v_and_b32_e32 v57, 7, v40
	v_ffbh_u32_e32 v60, v57
	v_min_u32_e32 v62, 32, v60
	v_subrev_u32_e32 v60, 28, v62
	v_lshlrev_b64 v[60:61], v60, v[40:41]
	v_lshrrev_b32_e32 v59, 3, v58
	v_sub_u32_e32 v40, 29, v62
	v_and_b32_e32 v60, 7, v60
	v_cmp_gt_u32_e32 vcc, 8, v58
	v_cndmask_b32_e32 v40, v59, v40, vcc
	v_cndmask_b32_e32 v57, v57, v60, vcc
	v_lshlrev_b32_e32 v58, 16, v38
	v_lshlrev_b32_e32 v57, 20, v57
	v_and_b32_e32 v58, 0x80000000, v58
	v_lshl_add_u32 v40, v40, 23, v45
	v_or3_b32 v57, v58, v40, v57
.LBB637_583:                            ;   in Loop: Header=BB637_213 Depth=1
	s_or_b64 exec, exec, s[16:17]
.LBB637_584:                            ;   in Loop: Header=BB637_213 Depth=1
	s_or_b64 exec, exec, s[14:15]
.LBB637_585:                            ;   in Loop: Header=BB637_213 Depth=1
	s_or_b64 exec, exec, s[12:13]
	v_lshrrev_b32_e32 v40, 16, v38
	v_cmp_ne_u16_sdwa s[14:15], v40, v43 src0_sel:BYTE_0 src1_sel:DWORD
	s_and_saveexec_b64 s[12:13], s[14:15]
	s_cbranch_execz .LBB637_591
; %bb.586:                              ;   in Loop: Header=BB637_213 Depth=1
	v_cmp_ne_u16_sdwa s[16:17], v40, s9 src0_sel:BYTE_0 src1_sel:DWORD
	v_bfrev_b32_e32 v42, 1
	s_and_saveexec_b64 s[14:15], s[16:17]
	s_cbranch_execz .LBB637_590
; %bb.587:                              ;   in Loop: Header=BB637_213 Depth=1
	v_bfe_u32 v58, v38, 16, 7
	v_cmp_ne_u32_e32 vcc, s19, v58
	v_mov_b32_e32 v42, 0x7f800001
	s_and_saveexec_b64 s[16:17], vcc
	s_cbranch_execz .LBB637_589
; %bb.588:                              ;   in Loop: Header=BB637_213 Depth=1
	v_and_b32_e32 v42, 7, v40
	v_ffbh_u32_e32 v60, v42
	v_min_u32_e32 v62, 32, v60
	v_subrev_u32_e32 v60, 28, v62
	v_lshlrev_b64 v[60:61], v60, v[40:41]
	v_lshrrev_b32_e32 v59, 3, v58
	v_sub_u32_e32 v61, 29, v62
	v_and_b32_e32 v60, 7, v60
	v_cmp_gt_u32_e32 vcc, 8, v58
	v_cndmask_b32_e32 v58, v59, v61, vcc
	v_cndmask_b32_e32 v42, v42, v60, vcc
	v_lshlrev_b32_e32 v40, 24, v40
	v_lshlrev_b32_e32 v42, 20, v42
	v_and_b32_e32 v40, 0x80000000, v40
	v_lshl_add_u32 v58, v58, 23, v45
	v_or3_b32 v42, v40, v58, v42
.LBB637_589:                            ;   in Loop: Header=BB637_213 Depth=1
	s_or_b64 exec, exec, s[16:17]
.LBB637_590:                            ;   in Loop: Header=BB637_213 Depth=1
	s_or_b64 exec, exec, s[14:15]
.LBB637_591:                            ;   in Loop: Header=BB637_213 Depth=1
	s_or_b64 exec, exec, s[12:13]
	v_cmp_lt_u32_e32 vcc, s20, v38
	v_mov_b32_e32 v58, 0
	s_and_saveexec_b64 s[12:13], vcc
	s_cbranch_execz .LBB637_212
; %bb.592:                              ;   in Loop: Header=BB637_213 Depth=1
	v_lshrrev_b32_e32 v40, 24, v38
	v_cmp_ne_u32_e32 vcc, s9, v40
	v_bfrev_b32_e32 v58, 1
	s_and_saveexec_b64 s[14:15], vcc
	s_cbranch_execz .LBB637_211
; %bb.593:                              ;   in Loop: Header=BB637_213 Depth=1
	v_bfe_u32 v38, v38, 24, 7
	v_cmp_ne_u32_e32 vcc, s19, v38
	v_mov_b32_e32 v58, 0x7f800001
	s_and_saveexec_b64 s[16:17], vcc
	s_cbranch_execz .LBB637_210
; %bb.594:                              ;   in Loop: Header=BB637_213 Depth=1
	v_and_b32_e32 v60, 7, v40
	v_ffbh_u32_e32 v58, v60
	v_min_u32_e32 v62, 32, v58
	v_subrev_u32_e32 v58, 28, v62
	v_lshlrev_b64 v[58:59], v58, v[40:41]
	v_lshrrev_b32_e32 v61, 3, v38
	v_sub_u32_e32 v59, 29, v62
	v_and_b32_e32 v58, 7, v58
	v_cmp_gt_u32_e32 vcc, 8, v38
	v_cndmask_b32_e32 v38, v61, v59, vcc
	v_cndmask_b32_e32 v58, v60, v58, vcc
	v_lshlrev_b32_e32 v40, 24, v40
	v_lshlrev_b32_e32 v58, 20, v58
	v_and_b32_e32 v40, 0x80000000, v40
	v_lshl_add_u32 v38, v38, 23, v45
	v_or3_b32 v58, v40, v38, v58
	s_branch .LBB637_210
.LBB637_595:
	s_barrier
	buffer_load_dword v2, off, s[0:3], 0 offset:320
	buffer_load_dword v5, off, s[0:3], 0 offset:332
	;; [unrolled: 1-line block ×4, first 2 shown]
	v_cmp_gt_u32_e32 vcc, 64, v0
	s_waitcnt vmcnt(0)
	ds_write2st64_b64 v39, v[2:3], v[4:5] offset1:1
	s_waitcnt lgkmcnt(0)
	s_barrier
	s_and_saveexec_b64 s[4:5], vcc
	s_cbranch_execz .LBB637_597
; %bb.596:
	s_lshl_b32 s6, s50, 7
	s_mul_i32 s4, s18, s8
	s_mul_hi_u32 s5, s4, s6
	s_mul_i32 s4, s4, s6
	s_lshl_b64 s[4:5], s[4:5], 1
	s_add_u32 s7, s48, s4
	v_lshlrev_b32_e32 v4, 6, v51
	s_addc_u32 s8, s49, s5
	s_lshl_b32 s4, s24, 7
	s_mov_b32 s5, 0
	v_lshl_or_b32 v0, v0, 10, v4
	s_lshl_b64 s[4:5], s[4:5], 1
	v_lshlrev_b32_e32 v2, 5, v1
	v_and_b32_e32 v3, 16, v52
	v_and_b32_e32 v0, 0x1a00, v0
	s_add_u32 s4, s7, s4
	v_or3_b32 v0, v0, v2, v3
	s_addc_u32 s5, s8, s5
	ds_read_b128 v[2:5], v0
	ds_read_b128 v[6:9], v0 offset:128
	ds_read_b128 v[10:13], v0 offset:256
	;; [unrolled: 1-line block ×3, first 2 shown]
	v_mov_b32_e32 v0, s5
	v_add_co_u32_e32 v18, vcc, s4, v50
	v_or_b32_e32 v20, s25, v1
	v_addc_co_u32_e32 v19, vcc, 0, v0, vcc
	v_mad_u64_u32 v[0:1], s[4:5], v20, s6, 0
	v_lshlrev_b64 v[0:1], 1, v[0:1]
	v_add_co_u32_e32 v0, vcc, v18, v0
	v_addc_co_u32_e32 v1, vcc, v19, v1, vcc
	s_waitcnt lgkmcnt(3)
	global_store_dwordx4 v[0:1], v[2:5], off
	v_or_b32_e32 v0, 4, v20
	v_mad_u64_u32 v[0:1], s[4:5], v0, s6, 0
	v_lshlrev_b64 v[0:1], 1, v[0:1]
	v_add_co_u32_e32 v0, vcc, v18, v0
	v_addc_co_u32_e32 v1, vcc, v19, v1, vcc
	s_waitcnt lgkmcnt(2)
	global_store_dwordx4 v[0:1], v[6:9], off
	v_or_b32_e32 v0, 8, v20
	;; [unrolled: 7-line block ×3, first 2 shown]
	v_mad_u64_u32 v[0:1], s[4:5], v0, s6, 0
	v_lshlrev_b64 v[0:1], 1, v[0:1]
	v_add_co_u32_e32 v0, vcc, v18, v0
	v_addc_co_u32_e32 v1, vcc, v19, v1, vcc
	s_waitcnt lgkmcnt(0)
	global_store_dwordx4 v[0:1], v[14:17], off
.LBB637_597:
	s_endpgm
	.section	.rodata,"a",@progbits
	.p2align	6, 0x0
	.amdhsa_kernel _Z39paged_attention_ll4mi_QKV_mfma16_kernelIDF16_hLN4vllm18Fp8KVCacheDataTypeE1EDF16_Li16ELi128ELi256ELb0ELi16EL8MFMAType0EEvPKT_PKT0_S8_ifPKiSA_SA_iPKfiiiPfSD_PS3_PT2_iSC_SC_
		.amdhsa_group_segment_fixed_size 8192
		.amdhsa_private_segment_fixed_size 352
		.amdhsa_kernarg_size 400
		.amdhsa_user_sgpr_count 8
		.amdhsa_user_sgpr_private_segment_buffer 1
		.amdhsa_user_sgpr_dispatch_ptr 0
		.amdhsa_user_sgpr_queue_ptr 0
		.amdhsa_user_sgpr_kernarg_segment_ptr 1
		.amdhsa_user_sgpr_dispatch_id 0
		.amdhsa_user_sgpr_flat_scratch_init 1
		.amdhsa_user_sgpr_kernarg_preload_length 0
		.amdhsa_user_sgpr_kernarg_preload_offset 0
		.amdhsa_user_sgpr_private_segment_size 0
		.amdhsa_uses_dynamic_stack 0
		.amdhsa_system_sgpr_private_segment_wavefront_offset 1
		.amdhsa_system_sgpr_workgroup_id_x 1
		.amdhsa_system_sgpr_workgroup_id_y 1
		.amdhsa_system_sgpr_workgroup_id_z 1
		.amdhsa_system_sgpr_workgroup_info 0
		.amdhsa_system_vgpr_workitem_id 0
		.amdhsa_next_free_vgpr 80
		.amdhsa_next_free_sgpr 53
		.amdhsa_accum_offset 80
		.amdhsa_reserve_vcc 1
		.amdhsa_reserve_flat_scratch 0
		.amdhsa_float_round_mode_32 0
		.amdhsa_float_round_mode_16_64 0
		.amdhsa_float_denorm_mode_32 3
		.amdhsa_float_denorm_mode_16_64 3
		.amdhsa_dx10_clamp 1
		.amdhsa_ieee_mode 1
		.amdhsa_fp16_overflow 0
		.amdhsa_tg_split 0
		.amdhsa_exception_fp_ieee_invalid_op 0
		.amdhsa_exception_fp_denorm_src 0
		.amdhsa_exception_fp_ieee_div_zero 0
		.amdhsa_exception_fp_ieee_overflow 0
		.amdhsa_exception_fp_ieee_underflow 0
		.amdhsa_exception_fp_ieee_inexact 0
		.amdhsa_exception_int_div_zero 0
	.end_amdhsa_kernel
	.section	.text._Z39paged_attention_ll4mi_QKV_mfma16_kernelIDF16_hLN4vllm18Fp8KVCacheDataTypeE1EDF16_Li16ELi128ELi256ELb0ELi16EL8MFMAType0EEvPKT_PKT0_S8_ifPKiSA_SA_iPKfiiiPfSD_PS3_PT2_iSC_SC_,"axG",@progbits,_Z39paged_attention_ll4mi_QKV_mfma16_kernelIDF16_hLN4vllm18Fp8KVCacheDataTypeE1EDF16_Li16ELi128ELi256ELb0ELi16EL8MFMAType0EEvPKT_PKT0_S8_ifPKiSA_SA_iPKfiiiPfSD_PS3_PT2_iSC_SC_,comdat
.Lfunc_end637:
	.size	_Z39paged_attention_ll4mi_QKV_mfma16_kernelIDF16_hLN4vllm18Fp8KVCacheDataTypeE1EDF16_Li16ELi128ELi256ELb0ELi16EL8MFMAType0EEvPKT_PKT0_S8_ifPKiSA_SA_iPKfiiiPfSD_PS3_PT2_iSC_SC_, .Lfunc_end637-_Z39paged_attention_ll4mi_QKV_mfma16_kernelIDF16_hLN4vllm18Fp8KVCacheDataTypeE1EDF16_Li16ELi128ELi256ELb0ELi16EL8MFMAType0EEvPKT_PKT0_S8_ifPKiSA_SA_iPKfiiiPfSD_PS3_PT2_iSC_SC_
                                        ; -- End function
	.section	.AMDGPU.csdata,"",@progbits
; Kernel info:
; codeLenInByte = 21200
; NumSgprs: 57
; NumVgprs: 80
; NumAgprs: 0
; TotalNumVgprs: 80
; ScratchSize: 352
; MemoryBound: 0
; FloatMode: 240
; IeeeMode: 1
; LDSByteSize: 8192 bytes/workgroup (compile time only)
; SGPRBlocks: 7
; VGPRBlocks: 9
; NumSGPRsForWavesPerEU: 57
; NumVGPRsForWavesPerEU: 80
; AccumOffset: 80
; Occupancy: 6
; WaveLimiterHint : 1
; COMPUTE_PGM_RSRC2:SCRATCH_EN: 1
; COMPUTE_PGM_RSRC2:USER_SGPR: 8
; COMPUTE_PGM_RSRC2:TRAP_HANDLER: 0
; COMPUTE_PGM_RSRC2:TGID_X_EN: 1
; COMPUTE_PGM_RSRC2:TGID_Y_EN: 1
; COMPUTE_PGM_RSRC2:TGID_Z_EN: 1
; COMPUTE_PGM_RSRC2:TIDIG_COMP_CNT: 0
; COMPUTE_PGM_RSRC3_GFX90A:ACCUM_OFFSET: 19
; COMPUTE_PGM_RSRC3_GFX90A:TG_SPLIT: 0
	.section	.text._Z39paged_attention_ll4mi_QKV_mfma16_kernelIDF16_hLN4vllm18Fp8KVCacheDataTypeE1EDF16_Li16ELi128ELi256ELb0ELi1EL8MFMAType0EEvPKT_PKT0_S8_ifPKiSA_SA_iPKfiiiPfSD_PS3_PT2_iSC_SC_,"axG",@progbits,_Z39paged_attention_ll4mi_QKV_mfma16_kernelIDF16_hLN4vllm18Fp8KVCacheDataTypeE1EDF16_Li16ELi128ELi256ELb0ELi1EL8MFMAType0EEvPKT_PKT0_S8_ifPKiSA_SA_iPKfiiiPfSD_PS3_PT2_iSC_SC_,comdat
	.protected	_Z39paged_attention_ll4mi_QKV_mfma16_kernelIDF16_hLN4vllm18Fp8KVCacheDataTypeE1EDF16_Li16ELi128ELi256ELb0ELi1EL8MFMAType0EEvPKT_PKT0_S8_ifPKiSA_SA_iPKfiiiPfSD_PS3_PT2_iSC_SC_ ; -- Begin function _Z39paged_attention_ll4mi_QKV_mfma16_kernelIDF16_hLN4vllm18Fp8KVCacheDataTypeE1EDF16_Li16ELi128ELi256ELb0ELi1EL8MFMAType0EEvPKT_PKT0_S8_ifPKiSA_SA_iPKfiiiPfSD_PS3_PT2_iSC_SC_
	.globl	_Z39paged_attention_ll4mi_QKV_mfma16_kernelIDF16_hLN4vllm18Fp8KVCacheDataTypeE1EDF16_Li16ELi128ELi256ELb0ELi1EL8MFMAType0EEvPKT_PKT0_S8_ifPKiSA_SA_iPKfiiiPfSD_PS3_PT2_iSC_SC_
	.p2align	8
	.type	_Z39paged_attention_ll4mi_QKV_mfma16_kernelIDF16_hLN4vllm18Fp8KVCacheDataTypeE1EDF16_Li16ELi128ELi256ELb0ELi1EL8MFMAType0EEvPKT_PKT0_S8_ifPKiSA_SA_iPKfiiiPfSD_PS3_PT2_iSC_SC_,@function
_Z39paged_attention_ll4mi_QKV_mfma16_kernelIDF16_hLN4vllm18Fp8KVCacheDataTypeE1EDF16_Li16ELi128ELi256ELb0ELi1EL8MFMAType0EEvPKT_PKT0_S8_ifPKiSA_SA_iPKfiiiPfSD_PS3_PT2_iSC_SC_: ; @_Z39paged_attention_ll4mi_QKV_mfma16_kernelIDF16_hLN4vllm18Fp8KVCacheDataTypeE1EDF16_Li16ELi128ELi256ELb0ELi1EL8MFMAType0EEvPKT_PKT0_S8_ifPKiSA_SA_iPKfiiiPfSD_PS3_PT2_iSC_SC_
; %bb.0:
	s_load_dwordx2 s[6:7], s[4:5], 0x30
	s_add_u32 s0, s0, s11
	s_addc_u32 s1, s1, 0
	s_mov_b32 s11, s9
	s_mov_b64 s[12:13], 0
	s_waitcnt lgkmcnt(0)
	s_cmp_lg_u64 s[6:7], 0
	s_cselect_b64 s[16:17], -1, 0
	s_and_b64 vcc, exec, s[16:17]
	s_cbranch_vccz .LBB638_7
; %bb.1:
	s_add_i32 s14, s8, 1
	s_mov_b32 s15, 0
	s_lshl_b64 s[18:19], s[14:15], 2
	s_add_u32 s18, s6, s18
	s_mov_b32 s9, s15
	s_addc_u32 s19, s7, s19
	s_lshl_b64 s[14:15], s[8:9], 2
	s_add_u32 s14, s6, s14
	s_addc_u32 s15, s7, s15
	s_load_dword s20, s[18:19], 0x0
	s_load_dword s21, s[14:15], 0x0
	s_waitcnt lgkmcnt(0)
	s_sub_i32 s14, s20, s21
	s_cmp_eq_u32 s14, 1
	s_cselect_b64 s[14:15], -1, 0
	s_andn2_b64 vcc, exec, s[12:13]
	s_cbranch_vccnz .LBB638_3
.LBB638_2:
	s_mov_b32 s9, 0
	s_mov_b64 s[14:15], -1
.LBB638_3:
	s_andn2_b64 vcc, exec, s[14:15]
	s_cbranch_vccnz .LBB638_597
; %bb.4:
	s_load_dwordx2 s[12:13], s[4:5], 0x28
	s_lshl_b64 s[18:19], s[8:9], 2
	s_waitcnt lgkmcnt(0)
	s_add_u32 s12, s12, s18
	s_addc_u32 s13, s13, s19
	s_load_dword s33, s[12:13], 0x0
	s_lshl_b32 s20, s11, 8
	s_waitcnt lgkmcnt(0)
	s_cmp_ge_i32 s20, s33
	s_cbranch_scc1 .LBB638_597
; %bb.5:
	s_add_i32 s15, s33, 15
	s_load_dwordx2 s[12:13], s[4:5], 0x20
	s_load_dword s14, s[4:5], 0x38
	s_ashr_i32 s21, s15, 31
	v_and_b32_e32 v1, 0xcf, v0
	s_lshr_b32 s21, s21, 28
	v_add_u32_e32 v1, s20, v1
	s_add_i32 s15, s15, s21
	v_ashrrev_i32_e32 v2, 31, v1
	s_ashr_i32 s23, s15, 4
	v_lshrrev_b32_e32 v6, 28, v2
	s_add_i32 s23, s23, -1
	v_add_u32_e32 v2, v1, v6
	s_waitcnt lgkmcnt(0)
	s_mul_i32 s14, s8, s14
	s_mov_b32 s15, 0
	v_ashrrev_i32_e32 v2, 4, v2
	v_mov_b32_e32 v7, s23
	v_cmp_gt_i32_e32 vcc, s33, v1
	s_lshl_b64 s[14:15], s[14:15], 2
	v_cndmask_b32_e32 v2, v7, v2, vcc
	s_add_u32 s21, s12, s14
	v_ashrrev_i32_e32 v3, 31, v2
	s_addc_u32 s22, s13, s15
	v_lshlrev_b64 v[2:3], 2, v[2:3]
	v_mov_b32_e32 v5, s22
	v_add_co_u32_e32 v4, vcc, s21, v2
	v_or_b32_e32 v2, 16, v1
	v_addc_co_u32_e32 v5, vcc, v5, v3, vcc
	v_add_u32_e32 v3, v2, v6
	v_ashrrev_i32_e32 v3, 4, v3
	v_cmp_gt_i32_e32 vcc, s33, v2
	v_cndmask_b32_e32 v2, v7, v3, vcc
	v_ashrrev_i32_e32 v3, 31, v2
	v_lshlrev_b64 v[2:3], 2, v[2:3]
	v_mov_b32_e32 v9, s22
	v_add_co_u32_e32 v8, vcc, s21, v2
	v_or_b32_e32 v2, 32, v1
	v_addc_co_u32_e32 v9, vcc, v9, v3, vcc
	v_add_u32_e32 v3, v2, v6
	v_ashrrev_i32_e32 v3, 4, v3
	v_cmp_gt_i32_e32 vcc, s33, v2
	v_cndmask_b32_e32 v2, v7, v3, vcc
	v_ashrrev_i32_e32 v3, 31, v2
	;; [unrolled: 10-line block ×3, first 2 shown]
	v_lshlrev_b64 v[2:3], 2, v[2:3]
	v_mov_b32_e32 v1, s22
	v_add_co_u32_e32 v12, vcc, s21, v2
	v_addc_co_u32_e32 v13, vcc, v1, v3, vcc
	global_load_dword v2, v[4:5], off
	global_load_dword v6, v[8:9], off
	;; [unrolled: 1-line block ×4, first 2 shown]
	s_load_dwordx4 s[12:15], s[4:5], 0x8
	s_andn2_b64 vcc, exec, s[16:17]
	s_cbranch_vccnz .LBB638_8
; %bb.6:
	s_add_u32 s6, s6, s18
	s_addc_u32 s7, s7, s19
	s_load_dword s16, s[6:7], 0x0
	s_branch .LBB638_9
.LBB638_7:
	s_mov_b64 s[14:15], 0
	s_branch .LBB638_2
.LBB638_8:
	s_mov_b32 s16, s8
.LBB638_9:
	s_load_dwordx2 s[48:49], s[4:5], 0x68
	s_load_dwordx8 s[40:47], s[4:5], 0x48
	v_lshrrev_b32_e32 v60, 6, v0
	v_bfe_u32 v50, v0, 4, 2
	v_and_b32_e32 v51, 15, v0
	v_lshl_or_b32 v1, v60, 2, v50
	v_lshlrev_b32_e32 v3, 3, v51
	v_cmp_eq_u32_e32 vcc, 0, v1
	v_lshlrev_b32_e32 v1, 1, v3
	v_lshlrev_b32_e32 v52, 4, v0
	s_and_saveexec_b64 s[6:7], vcc
	s_cbranch_execz .LBB638_11
; %bb.10:
	s_load_dwordx2 s[18:19], s[4:5], 0x0
	s_waitcnt lgkmcnt(0)
	s_ashr_i32 s17, s40, 31
	s_mul_hi_u32 s24, s16, s40
	s_mul_i32 s17, s16, s17
	s_add_i32 s17, s24, s17
	s_mul_i32 s16, s16, s40
	s_lshl_b64 s[16:17], s[16:17], 1
	s_add_u32 s18, s18, s16
	s_addc_u32 s19, s19, s17
	s_lshl_b32 s16, s10, 7
	s_ashr_i32 s17, s16, 31
	s_lshl_b64 s[16:17], s[16:17], 1
	s_add_u32 s16, s18, s16
	s_addc_u32 s17, s19, s17
	global_load_dwordx4 v[8:11], v1, s[16:17]
	v_lshlrev_b32_e32 v3, 8, v0
	v_lshlrev_b32_e32 v4, 8, v51
	v_and_b32_e32 v3, 0x600, v3
	v_and_b32_e32 v4, 0x800, v4
	;; [unrolled: 1-line block ×3, first 2 shown]
	v_or3_b32 v3, v4, v3, v5
	s_waitcnt vmcnt(0)
	ds_write_b128 v3, v[8:11]
.LBB638_11:
	s_or_b64 exec, exec, s[6:7]
	v_and_b32_e32 v3, 48, v0
	v_or_b32_e32 v7, s20, v3
	v_ashrrev_i32_e32 v4, 4, v7
	v_mov_b32_e32 v12, s23
	v_cmp_gt_i32_e32 vcc, s33, v7
	v_cndmask_b32_e32 v4, v12, v4, vcc
	v_ashrrev_i32_e32 v5, 31, v4
	v_lshlrev_b64 v[4:5], 2, v[4:5]
	v_mov_b32_e32 v8, s22
	v_add_co_u32_e32 v4, vcc, s21, v4
	v_addc_co_u32_e32 v5, vcc, v8, v5, vcc
	v_or_b32_e32 v8, 64, v7
	v_ashrrev_i32_e32 v9, 4, v8
	v_cmp_gt_i32_e32 vcc, s33, v8
	v_cndmask_b32_e32 v8, v12, v9, vcc
	v_ashrrev_i32_e32 v9, 31, v8
	v_lshlrev_b64 v[8:9], 2, v[8:9]
	v_mov_b32_e32 v10, s22
	v_add_co_u32_e32 v8, vcc, s21, v8
	v_addc_co_u32_e32 v9, vcc, v10, v9, vcc
	v_or_b32_e32 v10, 0x80, v7
	v_ashrrev_i32_e32 v11, 4, v10
	v_cmp_gt_i32_e32 vcc, s33, v10
	v_cndmask_b32_e32 v10, v12, v11, vcc
	v_ashrrev_i32_e32 v11, 31, v10
	v_lshlrev_b64 v[10:11], 2, v[10:11]
	v_mov_b32_e32 v13, s22
	v_add_co_u32_e32 v10, vcc, s21, v10
	s_load_dwordx2 s[50:51], s[4:5], 0x94
	s_waitcnt lgkmcnt(0)
	s_barrier
	v_addc_co_u32_e32 v11, vcc, v13, v11, vcc
	global_load_dword v53, v[4:5], off
	global_load_dword v58, v[8:9], off
	;; [unrolled: 1-line block ×3, first 2 shown]
	v_or_b32_e32 v4, 0xc0, v7
	v_ashrrev_i32_e32 v5, 4, v4
	v_cmp_gt_i32_e32 vcc, s33, v4
	v_cndmask_b32_e32 v4, v12, v5, vcc
	v_ashrrev_i32_e32 v5, 31, v4
	v_lshlrev_b64 v[4:5], 2, v[4:5]
	v_mov_b32_e32 v7, s22
	v_add_co_u32_e32 v4, vcc, s21, v4
	v_addc_co_u32_e32 v5, vcc, v7, v5, vcc
	global_load_dword v62, v[4:5], off
	s_mul_i32 s16, s10, s42
	s_add_u32 s6, s12, s16
	s_addc_u32 s7, s13, 0
	v_and_b32_e32 v4, 0xf0, v52
	v_mov_b32_e32 v5, s7
	v_add_co_u32_e32 v20, vcc, s6, v4
	v_addc_co_u32_e32 v21, vcc, 0, v5, vcc
	v_lshlrev_b32_e32 v28, 4, v3
	s_waitcnt vmcnt(7)
	v_mad_i64_i32 v[2:3], s[6:7], v2, s41, v[20:21]
	v_add_co_u32_e32 v8, vcc, v2, v28
	v_addc_co_u32_e32 v9, vcc, 0, v3, vcc
	s_waitcnt vmcnt(6)
	v_mad_i64_i32 v[6:7], s[6:7], v6, s41, v[20:21]
	v_add_co_u32_e32 v22, vcc, v6, v28
	v_addc_co_u32_e32 v23, vcc, 0, v7, vcc
	global_load_dwordx4 v[10:13], v[8:9], off
	global_load_dwordx4 v[2:5], v[8:9], off offset:1024
	s_nop 0
	global_load_dwordx4 v[6:9], v[22:23], off
	global_load_dwordx4 v[14:17], v[22:23], off offset:1024
	s_waitcnt vmcnt(9)
	v_mad_i64_i32 v[22:23], s[6:7], v19, s41, v[20:21]
	v_add_co_u32_e32 v26, vcc, v22, v28
	v_addc_co_u32_e32 v27, vcc, 0, v23, vcc
	s_waitcnt vmcnt(8)
	v_mad_i64_i32 v[18:19], s[6:7], v18, s41, v[20:21]
	v_add_co_u32_e32 v34, vcc, v18, v28
	s_add_u32 s12, s14, s16
	v_lshl_or_b32 v61, v60, 4, v51
	v_addc_co_u32_e32 v35, vcc, 0, v19, vcc
	s_addc_u32 s13, s15, 0
	v_lshlrev_b32_e32 v54, 4, v61
	global_load_dwordx4 v[30:33], v[26:27], off
	global_load_dwordx4 v[22:25], v[26:27], off offset:1024
	s_nop 0
	global_load_dwordx4 v[26:29], v[34:35], off
	global_load_dwordx4 v[18:21], v[34:35], off offset:1024
	v_mov_b32_e32 v34, s13
	v_add_co_u32_e32 v42, vcc, s12, v54
	v_addc_co_u32_e32 v43, vcc, 0, v34, vcc
	v_or_b32_e32 v54, 0x400, v54
	v_mov_b32_e32 v55, s13
	v_add_co_u32_e32 v54, vcc, s12, v54
	v_addc_co_u32_e32 v55, vcc, 0, v55, vcc
	s_mov_b32 s14, 0
	s_movk_i32 s15, 0x80
	s_movk_i32 s16, 0x7f
	s_mov_b32 s17, 0xffffff
	s_waitcnt vmcnt(11)
	v_mad_i64_i32 v[34:35], s[6:7], v53, s41, v[42:43]
	s_waitcnt vmcnt(10)
	v_mad_i64_i32 v[36:37], s[6:7], v58, s41, v[42:43]
	;; [unrolled: 2-line block ×3, first 2 shown]
	global_load_dwordx4 v[38:41], v[34:35], off
	s_nop 0
	global_load_dwordx4 v[34:37], v[36:37], off
	v_mad_i64_i32 v[56:57], s[6:7], v53, s41, v[54:55]
	s_waitcnt vmcnt(10)
	v_mad_i64_i32 v[42:43], s[6:7], v62, s41, v[42:43]
	global_load_dwordx4 v[46:49], v[44:45], off
	s_nop 0
	global_load_dwordx4 v[42:45], v[42:43], off
	s_nop 0
	global_load_dwordx4 v[64:67], v[56:57], off
	v_mad_i64_i32 v[56:57], s[6:7], v58, s41, v[54:55]
	global_load_dwordx4 v[68:71], v[56:57], off
	v_mad_i64_i32 v[56:57], s[6:7], v59, s41, v[54:55]
	v_mad_i64_i32 v[54:55], s[6:7], v62, s41, v[54:55]
	global_load_dwordx4 v[72:75], v[56:57], off
	global_load_dwordx4 v[76:79], v[54:55], off
	s_waitcnt vmcnt(15)
	buffer_store_dword v13, off, s[0:3], 0 offset:12
	buffer_store_dword v12, off, s[0:3], 0 offset:8
	buffer_store_dword v11, off, s[0:3], 0 offset:4
	buffer_store_dword v10, off, s[0:3], 0
	s_waitcnt vmcnt(18)
	buffer_store_dword v5, off, s[0:3], 0 offset:28
	buffer_store_dword v4, off, s[0:3], 0 offset:24
	buffer_store_dword v3, off, s[0:3], 0 offset:20
	buffer_store_dword v2, off, s[0:3], 0 offset:16
	s_waitcnt vmcnt(21)
	buffer_store_dword v9, off, s[0:3], 0 offset:44
	buffer_store_dword v8, off, s[0:3], 0 offset:40
	;; [unrolled: 1-line block ×4, first 2 shown]
	s_load_dword s6, s[4:5], 0x1c
	s_load_dwordx4 s[40:43], s[4:5], 0x80
	v_mov_b32_e32 v2, 0x80
	s_waitcnt vmcnt(24)
	buffer_store_dword v17, off, s[0:3], 0 offset:60
	buffer_store_dword v16, off, s[0:3], 0 offset:56
	;; [unrolled: 1-line block ×4, first 2 shown]
	s_waitcnt vmcnt(27)
	buffer_store_dword v33, off, s[0:3], 0 offset:76
	buffer_store_dword v32, off, s[0:3], 0 offset:72
	buffer_store_dword v31, off, s[0:3], 0 offset:68
	buffer_store_dword v30, off, s[0:3], 0 offset:64
	v_lshlrev_b32_e32 v14, 9, v50
	v_add_u32_e32 v53, 16, v2
	v_add_u32_e32 v59, 32, v2
	;; [unrolled: 1-line block ×7, first 2 shown]
	ds_read_b128 v[2:5], v14
	ds_read_b128 v[6:9], v14 offset:16
	ds_read_b128 v[10:13], v14 offset:2048
	;; [unrolled: 1-line block ×3, first 2 shown]
	s_waitcnt vmcnt(30)
	buffer_store_dword v25, off, s[0:3], 0 offset:92
	buffer_store_dword v24, off, s[0:3], 0 offset:88
	buffer_store_dword v23, off, s[0:3], 0 offset:84
	buffer_store_dword v22, off, s[0:3], 0 offset:80
	s_waitcnt vmcnt(33)
	buffer_store_dword v29, off, s[0:3], 0 offset:108
	buffer_store_dword v28, off, s[0:3], 0 offset:104
	buffer_store_dword v27, off, s[0:3], 0 offset:100
	buffer_store_dword v26, off, s[0:3], 0 offset:96
	;; [unrolled: 5-line block ×3, first 2 shown]
	s_waitcnt lgkmcnt(0)
	v_mov_b32_e32 v18, s6
	v_and_b32_e32 v62, 63, v0
	v_mov_b32_e32 v27, 0
	v_mov_b32_e32 v29, 0
	;; [unrolled: 1-line block ×3, first 2 shown]
	s_waitcnt vmcnt(39)
	buffer_store_dword v41, off, s[0:3], 0 offset:140
	buffer_store_dword v40, off, s[0:3], 0 offset:136
	buffer_store_dword v39, off, s[0:3], 0 offset:132
	buffer_store_dword v38, off, s[0:3], 0 offset:128
	s_waitcnt vmcnt(42)
	buffer_store_dword v37, off, s[0:3], 0 offset:172
	buffer_store_dword v36, off, s[0:3], 0 offset:168
	buffer_store_dword v35, off, s[0:3], 0 offset:164
	buffer_store_dword v34, off, s[0:3], 0 offset:160
	;; [unrolled: 5-line block ×7, first 2 shown]
	s_waitcnt vmcnt(60)
	buffer_store_dword v79, off, s[0:3], 0 offset:252
	s_load_dword s4, s[40:41], 0x0
	v_bfrev_b32_e32 v33, 60
	buffer_store_dword v78, off, s[0:3], 0 offset:248
	buffer_store_dword v77, off, s[0:3], 0 offset:244
	buffer_store_dword v76, off, s[0:3], 0 offset:240
	s_waitcnt lgkmcnt(0)
	v_mul_f32_e32 v22, s4, v18
	v_mov_b32_e32 v24, v22
	v_mov_b32_e32 v25, v22
	s_branch .LBB638_15
.LBB638_12:                             ;   in Loop: Header=BB638_15 Depth=1
	s_or_b64 exec, exec, s[12:13]
.LBB638_13:                             ;   in Loop: Header=BB638_15 Depth=1
	s_or_b64 exec, exec, s[6:7]
.LBB638_14:                             ;   in Loop: Header=BB638_15 Depth=1
	s_or_b64 exec, exec, s[4:5]
	v_cvt_pkrtz_f16_f32 v40, v34, v32
	v_cvt_pkrtz_f16_f32 v41, v23, v36
	;; [unrolled: 1-line block ×4, first 2 shown]
	v_add_u32_e32 v26, s14, v31
	v_mfma_f32_16x16x16f16 v[18:21], v[40:41], v[14:15], v[18:21]
	s_add_i32 s14, s14, 16
	v_mov_b32_e32 v23, v22
	s_cmp_eq_u32 s14, 64
	v_add_u32_e32 v27, 32, v27
	v_mfma_f32_16x16x16f16 v[18:21], v[34:35], v[16:17], v[18:21]
	s_nop 7
	s_nop 2
	v_pk_mul_f32 v[18:19], v[24:25], v[18:19]
	v_pk_mul_f32 v[20:21], v[22:23], v[20:21]
	buffer_store_dword v19, v26, s[0:3], 0 offen offset:4
	buffer_store_dword v18, v26, s[0:3], 0 offen
	buffer_store_dword v21, v26, s[0:3], 0 offen offset:12
	buffer_store_dword v20, v26, s[0:3], 0 offen offset:8
	s_cbranch_scc1 .LBB638_205
.LBB638_15:                             ; =>This Inner Loop Header: Depth=1
	buffer_load_dword v20, v27, s[0:3], 0 offen
	buffer_load_dword v18, v27, s[0:3], 0 offen offset:4
	buffer_load_dword v28, v27, s[0:3], 0 offen offset:8
	;; [unrolled: 1-line block ×3, first 2 shown]
	v_mov_b32_e32 v19, 0
	s_waitcnt vmcnt(3)
	v_cmp_ne_u16_sdwa s[6:7], v20, v29 src0_sel:BYTE_0 src1_sel:DWORD
	s_and_saveexec_b64 s[4:5], s[6:7]
	s_cbranch_execz .LBB638_21
; %bb.16:                               ;   in Loop: Header=BB638_15 Depth=1
	v_cmp_ne_u16_sdwa s[12:13], v20, s15 src0_sel:BYTE_0 src1_sel:DWORD
	v_bfrev_b32_e32 v19, 1
	s_and_saveexec_b64 s[6:7], s[12:13]
	s_cbranch_execz .LBB638_20
; %bb.17:                               ;   in Loop: Header=BB638_15 Depth=1
	v_and_b32_e32 v21, 0x7f, v20
	v_cmp_ne_u32_e32 vcc, s16, v21
	v_mov_b32_e32 v19, 0x7f800001
	s_and_saveexec_b64 s[12:13], vcc
	s_cbranch_execz .LBB638_19
; %bb.18:                               ;   in Loop: Header=BB638_15 Depth=1
	v_and_b32_e32 v19, 7, v20
	v_ffbh_u32_e32 v30, v19
	v_min_u32_e32 v30, 32, v30
	v_subrev_u32_e32 v32, 28, v30
	v_lshlrev_b64 v[34:35], v32, v[20:21]
	v_lshrrev_b32_e32 v23, 3, v21
	v_sub_u32_e32 v30, 29, v30
	v_and_b32_e32 v32, 7, v34
	v_cmp_gt_u32_e32 vcc, 8, v21
	v_cndmask_b32_e32 v21, v23, v30, vcc
	v_cndmask_b32_e32 v19, v19, v32, vcc
	v_lshlrev_b32_e32 v23, 24, v20
	v_lshlrev_b32_e32 v19, 20, v19
	v_and_b32_e32 v23, 0x80000000, v23
	v_lshl_add_u32 v21, v21, 23, v33
	v_or3_b32 v19, v23, v21, v19
.LBB638_19:                             ;   in Loop: Header=BB638_15 Depth=1
	s_or_b64 exec, exec, s[12:13]
.LBB638_20:                             ;   in Loop: Header=BB638_15 Depth=1
	s_or_b64 exec, exec, s[6:7]
.LBB638_21:                             ;   in Loop: Header=BB638_15 Depth=1
	s_or_b64 exec, exec, s[4:5]
	v_lshrrev_b16_e32 v30, 8, v20
	v_cmp_ne_u16_e32 vcc, 0, v30
	v_mov_b32_e32 v21, 0
	v_mov_b32_e32 v23, 0
	s_and_saveexec_b64 s[4:5], vcc
	s_cbranch_execz .LBB638_27
; %bb.22:                               ;   in Loop: Header=BB638_15 Depth=1
	v_cmp_ne_u16_e32 vcc, s15, v30
	v_bfrev_b32_e32 v23, 1
	s_and_saveexec_b64 s[6:7], vcc
	s_cbranch_execz .LBB638_26
; %bb.23:                               ;   in Loop: Header=BB638_15 Depth=1
	v_and_b32_e32 v32, 0x7f, v30
	v_cmp_ne_u32_e32 vcc, s16, v32
	v_mov_b32_e32 v23, 0x7f800001
	s_and_saveexec_b64 s[12:13], vcc
	s_cbranch_execz .LBB638_25
; %bb.24:                               ;   in Loop: Header=BB638_15 Depth=1
	v_and_b32_e32 v23, 7, v30
	v_ffbh_u32_e32 v34, v23
	v_min_u32_e32 v37, 32, v34
	v_subrev_u32_e32 v34, 28, v37
	v_lshlrev_b64 v[34:35], v34, v[30:31]
	v_lshrrev_b32_e32 v36, 3, v32
	v_sub_u32_e32 v30, 29, v37
	v_and_b32_e32 v34, 7, v34
	v_cmp_gt_u32_e32 vcc, 8, v32
	v_cndmask_b32_e32 v30, v36, v30, vcc
	v_cndmask_b32_e32 v23, v23, v34, vcc
	v_lshlrev_b32_e32 v32, 16, v20
	v_lshlrev_b32_e32 v23, 20, v23
	v_and_b32_e32 v32, 0x80000000, v32
	v_lshl_add_u32 v30, v30, 23, v33
	v_or3_b32 v23, v32, v30, v23
.LBB638_25:                             ;   in Loop: Header=BB638_15 Depth=1
	s_or_b64 exec, exec, s[12:13]
.LBB638_26:                             ;   in Loop: Header=BB638_15 Depth=1
	s_or_b64 exec, exec, s[6:7]
.LBB638_27:                             ;   in Loop: Header=BB638_15 Depth=1
	s_or_b64 exec, exec, s[4:5]
	v_lshrrev_b32_e32 v30, 16, v20
	v_cmp_ne_u16_sdwa s[6:7], v30, v29 src0_sel:BYTE_0 src1_sel:DWORD
	s_and_saveexec_b64 s[4:5], s[6:7]
	s_cbranch_execz .LBB638_33
; %bb.28:                               ;   in Loop: Header=BB638_15 Depth=1
	v_cmp_ne_u16_sdwa s[12:13], v30, s15 src0_sel:BYTE_0 src1_sel:DWORD
	v_bfrev_b32_e32 v21, 1
	s_and_saveexec_b64 s[6:7], s[12:13]
	s_cbranch_execz .LBB638_32
; %bb.29:                               ;   in Loop: Header=BB638_15 Depth=1
	v_bfe_u32 v32, v20, 16, 7
	v_cmp_ne_u32_e32 vcc, s16, v32
	v_mov_b32_e32 v21, 0x7f800001
	s_and_saveexec_b64 s[12:13], vcc
	s_cbranch_execz .LBB638_31
; %bb.30:                               ;   in Loop: Header=BB638_15 Depth=1
	v_and_b32_e32 v21, 7, v30
	v_ffbh_u32_e32 v34, v21
	v_min_u32_e32 v37, 32, v34
	v_subrev_u32_e32 v34, 28, v37
	v_lshlrev_b64 v[34:35], v34, v[30:31]
	v_lshrrev_b32_e32 v36, 3, v32
	v_sub_u32_e32 v35, 29, v37
	v_and_b32_e32 v34, 7, v34
	v_cmp_gt_u32_e32 vcc, 8, v32
	v_cndmask_b32_e32 v32, v36, v35, vcc
	v_cndmask_b32_e32 v21, v21, v34, vcc
	v_lshlrev_b32_e32 v30, 24, v30
	v_lshlrev_b32_e32 v21, 20, v21
	v_and_b32_e32 v30, 0x80000000, v30
	v_lshl_add_u32 v32, v32, 23, v33
	v_or3_b32 v21, v30, v32, v21
.LBB638_31:                             ;   in Loop: Header=BB638_15 Depth=1
	s_or_b64 exec, exec, s[12:13]
.LBB638_32:                             ;   in Loop: Header=BB638_15 Depth=1
	s_or_b64 exec, exec, s[6:7]
.LBB638_33:                             ;   in Loop: Header=BB638_15 Depth=1
	s_or_b64 exec, exec, s[4:5]
	v_cmp_lt_u32_e32 vcc, s17, v20
	v_mov_b32_e32 v34, 0
	v_mov_b32_e32 v35, 0
	s_and_saveexec_b64 s[4:5], vcc
	s_cbranch_execz .LBB638_39
; %bb.34:                               ;   in Loop: Header=BB638_15 Depth=1
	v_lshrrev_b32_e32 v30, 24, v20
	v_cmp_ne_u32_e32 vcc, s15, v30
	v_bfrev_b32_e32 v35, 1
	s_and_saveexec_b64 s[6:7], vcc
	s_cbranch_execz .LBB638_38
; %bb.35:                               ;   in Loop: Header=BB638_15 Depth=1
	v_bfe_u32 v20, v20, 24, 7
	v_cmp_ne_u32_e32 vcc, s16, v20
	v_mov_b32_e32 v35, 0x7f800001
	s_and_saveexec_b64 s[12:13], vcc
	s_cbranch_execz .LBB638_37
; %bb.36:                               ;   in Loop: Header=BB638_15 Depth=1
	v_and_b32_e32 v32, 7, v30
	v_ffbh_u32_e32 v36, v32
	v_min_u32_e32 v38, 32, v36
	v_subrev_u32_e32 v36, 28, v38
	v_lshlrev_b64 v[36:37], v36, v[30:31]
	v_lshrrev_b32_e32 v35, 3, v20
	v_sub_u32_e32 v37, 29, v38
	v_and_b32_e32 v36, 7, v36
	v_cmp_gt_u32_e32 vcc, 8, v20
	v_cndmask_b32_e32 v20, v35, v37, vcc
	v_cndmask_b32_e32 v32, v32, v36, vcc
	v_lshlrev_b32_e32 v30, 24, v30
	v_lshlrev_b32_e32 v32, 20, v32
	v_and_b32_e32 v30, 0x80000000, v30
	v_lshl_add_u32 v20, v20, 23, v33
	v_or3_b32 v35, v30, v20, v32
.LBB638_37:                             ;   in Loop: Header=BB638_15 Depth=1
	s_or_b64 exec, exec, s[12:13]
.LBB638_38:                             ;   in Loop: Header=BB638_15 Depth=1
	s_or_b64 exec, exec, s[6:7]
.LBB638_39:                             ;   in Loop: Header=BB638_15 Depth=1
	s_or_b64 exec, exec, s[4:5]
	s_waitcnt vmcnt(2)
	v_cmp_ne_u16_sdwa s[6:7], v18, v29 src0_sel:BYTE_0 src1_sel:DWORD
	s_and_saveexec_b64 s[4:5], s[6:7]
	s_cbranch_execz .LBB638_45
; %bb.40:                               ;   in Loop: Header=BB638_15 Depth=1
	v_cmp_ne_u16_sdwa s[12:13], v18, s15 src0_sel:BYTE_0 src1_sel:DWORD
	v_bfrev_b32_e32 v34, 1
	s_and_saveexec_b64 s[6:7], s[12:13]
	s_cbranch_execz .LBB638_44
; %bb.41:                               ;   in Loop: Header=BB638_15 Depth=1
	v_and_b32_e32 v20, 0x7f, v18
	v_cmp_ne_u32_e32 vcc, s16, v20
	v_mov_b32_e32 v34, 0x7f800001
	s_and_saveexec_b64 s[12:13], vcc
	s_cbranch_execz .LBB638_43
; %bb.42:                               ;   in Loop: Header=BB638_15 Depth=1
	v_and_b32_e32 v30, 7, v18
	v_ffbh_u32_e32 v34, v30
	v_min_u32_e32 v34, 32, v34
	v_subrev_u32_e32 v36, 28, v34
	v_lshlrev_b64 v[36:37], v36, v[18:19]
	v_lshrrev_b32_e32 v32, 3, v20
	v_sub_u32_e32 v34, 29, v34
	v_and_b32_e32 v36, 7, v36
	v_cmp_gt_u32_e32 vcc, 8, v20
	v_cndmask_b32_e32 v20, v32, v34, vcc
	v_cndmask_b32_e32 v30, v30, v36, vcc
	v_lshlrev_b32_e32 v32, 24, v18
	v_lshlrev_b32_e32 v30, 20, v30
	v_and_b32_e32 v32, 0x80000000, v32
	v_lshl_add_u32 v20, v20, 23, v33
	v_or3_b32 v34, v32, v20, v30
.LBB638_43:                             ;   in Loop: Header=BB638_15 Depth=1
	s_or_b64 exec, exec, s[12:13]
.LBB638_44:                             ;   in Loop: Header=BB638_15 Depth=1
	s_or_b64 exec, exec, s[6:7]
.LBB638_45:                             ;   in Loop: Header=BB638_15 Depth=1
	s_or_b64 exec, exec, s[4:5]
	v_lshrrev_b16_e32 v20, 8, v18
	v_cmp_ne_u16_e32 vcc, 0, v20
	v_mov_b32_e32 v30, 0
	v_mov_b32_e32 v36, 0
	s_and_saveexec_b64 s[4:5], vcc
	s_cbranch_execz .LBB638_51
; %bb.46:                               ;   in Loop: Header=BB638_15 Depth=1
	v_cmp_ne_u16_e32 vcc, s15, v20
	v_bfrev_b32_e32 v36, 1
	s_and_saveexec_b64 s[6:7], vcc
	s_cbranch_execz .LBB638_50
; %bb.47:                               ;   in Loop: Header=BB638_15 Depth=1
	v_and_b32_e32 v32, 0x7f, v20
	v_cmp_ne_u32_e32 vcc, s16, v32
	v_mov_b32_e32 v36, 0x7f800001
	s_and_saveexec_b64 s[12:13], vcc
	s_cbranch_execz .LBB638_49
; %bb.48:                               ;   in Loop: Header=BB638_15 Depth=1
	v_and_b32_e32 v38, 7, v20
	v_ffbh_u32_e32 v36, v38
	v_min_u32_e32 v40, 32, v36
	v_subrev_u32_e32 v36, 28, v40
	v_lshlrev_b64 v[36:37], v36, v[20:21]
	v_lshrrev_b32_e32 v39, 3, v32
	v_sub_u32_e32 v20, 29, v40
	v_and_b32_e32 v36, 7, v36
	v_cmp_gt_u32_e32 vcc, 8, v32
	v_cndmask_b32_e32 v20, v39, v20, vcc
	v_cndmask_b32_e32 v32, v38, v36, vcc
	v_lshlrev_b32_e32 v36, 16, v18
	v_lshlrev_b32_e32 v32, 20, v32
	v_and_b32_e32 v36, 0x80000000, v36
	v_lshl_add_u32 v20, v20, 23, v33
	v_or3_b32 v36, v36, v20, v32
.LBB638_49:                             ;   in Loop: Header=BB638_15 Depth=1
	s_or_b64 exec, exec, s[12:13]
.LBB638_50:                             ;   in Loop: Header=BB638_15 Depth=1
	s_or_b64 exec, exec, s[6:7]
.LBB638_51:                             ;   in Loop: Header=BB638_15 Depth=1
	s_or_b64 exec, exec, s[4:5]
	v_lshrrev_b32_e32 v20, 16, v18
	v_cmp_ne_u16_sdwa s[6:7], v20, v29 src0_sel:BYTE_0 src1_sel:DWORD
	s_and_saveexec_b64 s[4:5], s[6:7]
	s_cbranch_execz .LBB638_57
; %bb.52:                               ;   in Loop: Header=BB638_15 Depth=1
	v_cmp_ne_u16_sdwa s[12:13], v20, s15 src0_sel:BYTE_0 src1_sel:DWORD
	v_bfrev_b32_e32 v30, 1
	s_and_saveexec_b64 s[6:7], s[12:13]
	s_cbranch_execz .LBB638_56
; %bb.53:                               ;   in Loop: Header=BB638_15 Depth=1
	v_bfe_u32 v32, v18, 16, 7
	v_cmp_ne_u32_e32 vcc, s16, v32
	v_mov_b32_e32 v30, 0x7f800001
	s_and_saveexec_b64 s[12:13], vcc
	s_cbranch_execz .LBB638_55
; %bb.54:                               ;   in Loop: Header=BB638_15 Depth=1
	v_and_b32_e32 v30, 7, v20
	v_ffbh_u32_e32 v38, v30
	v_min_u32_e32 v40, 32, v38
	v_subrev_u32_e32 v38, 28, v40
	v_lshlrev_b64 v[38:39], v38, v[20:21]
	v_lshrrev_b32_e32 v37, 3, v32
	v_sub_u32_e32 v39, 29, v40
	v_and_b32_e32 v38, 7, v38
	v_cmp_gt_u32_e32 vcc, 8, v32
	v_cndmask_b32_e32 v32, v37, v39, vcc
	v_cndmask_b32_e32 v30, v30, v38, vcc
	v_lshlrev_b32_e32 v20, 24, v20
	v_lshlrev_b32_e32 v30, 20, v30
	v_and_b32_e32 v20, 0x80000000, v20
	v_lshl_add_u32 v32, v32, 23, v33
	v_or3_b32 v30, v20, v32, v30
.LBB638_55:                             ;   in Loop: Header=BB638_15 Depth=1
	s_or_b64 exec, exec, s[12:13]
.LBB638_56:                             ;   in Loop: Header=BB638_15 Depth=1
	s_or_b64 exec, exec, s[6:7]
.LBB638_57:                             ;   in Loop: Header=BB638_15 Depth=1
	s_or_b64 exec, exec, s[4:5]
	v_cmp_lt_u32_e32 vcc, s17, v18
	v_mov_b32_e32 v32, 0
	v_mov_b32_e32 v37, 0
	s_and_saveexec_b64 s[4:5], vcc
	s_cbranch_execz .LBB638_63
; %bb.58:                               ;   in Loop: Header=BB638_15 Depth=1
	v_lshrrev_b32_e32 v20, 24, v18
	v_cmp_ne_u32_e32 vcc, s15, v20
	v_bfrev_b32_e32 v37, 1
	s_and_saveexec_b64 s[6:7], vcc
	s_cbranch_execz .LBB638_62
; %bb.59:                               ;   in Loop: Header=BB638_15 Depth=1
	v_bfe_u32 v18, v18, 24, 7
	v_cmp_ne_u32_e32 vcc, s16, v18
	v_mov_b32_e32 v37, 0x7f800001
	s_and_saveexec_b64 s[12:13], vcc
	s_cbranch_execz .LBB638_61
; %bb.60:                               ;   in Loop: Header=BB638_15 Depth=1
	v_and_b32_e32 v37, 7, v20
	v_ffbh_u32_e32 v38, v37
	v_min_u32_e32 v41, 32, v38
	v_subrev_u32_e32 v38, 28, v41
	v_lshlrev_b64 v[38:39], v38, v[20:21]
	v_lshrrev_b32_e32 v40, 3, v18
	v_sub_u32_e32 v39, 29, v41
	v_and_b32_e32 v38, 7, v38
	v_cmp_gt_u32_e32 vcc, 8, v18
	v_cndmask_b32_e32 v18, v40, v39, vcc
	v_cndmask_b32_e32 v37, v37, v38, vcc
	v_lshlrev_b32_e32 v20, 24, v20
	v_lshlrev_b32_e32 v37, 20, v37
	v_and_b32_e32 v20, 0x80000000, v20
	v_lshl_add_u32 v18, v18, 23, v33
	v_or3_b32 v37, v20, v18, v37
.LBB638_61:                             ;   in Loop: Header=BB638_15 Depth=1
	s_or_b64 exec, exec, s[12:13]
.LBB638_62:                             ;   in Loop: Header=BB638_15 Depth=1
	s_or_b64 exec, exec, s[6:7]
.LBB638_63:                             ;   in Loop: Header=BB638_15 Depth=1
	s_or_b64 exec, exec, s[4:5]
	v_cvt_pkrtz_f16_f32 v18, v19, v23
	v_cvt_pkrtz_f16_f32 v19, v21, v35
	;; [unrolled: 1-line block ×4, first 2 shown]
	s_waitcnt vmcnt(1)
	v_cmp_ne_u16_sdwa s[6:7], v28, v29 src0_sel:BYTE_0 src1_sel:DWORD
	v_mfma_f32_16x16x16f16 v[18:21], v[18:19], v[2:3], 0
	v_mfma_f32_16x16x16f16 v[18:21], v[34:35], v[4:5], v[18:21]
	s_and_saveexec_b64 s[4:5], s[6:7]
	s_cbranch_execz .LBB638_69
; %bb.64:                               ;   in Loop: Header=BB638_15 Depth=1
	v_cmp_ne_u16_sdwa s[12:13], v28, s15 src0_sel:BYTE_0 src1_sel:DWORD
	v_bfrev_b32_e32 v32, 1
	s_and_saveexec_b64 s[6:7], s[12:13]
	s_cbranch_execz .LBB638_68
; %bb.65:                               ;   in Loop: Header=BB638_15 Depth=1
	v_and_b32_e32 v23, 0x7f, v28
	v_cmp_ne_u32_e32 vcc, s16, v23
	v_mov_b32_e32 v32, 0x7f800001
	s_and_saveexec_b64 s[12:13], vcc
	s_cbranch_execz .LBB638_67
; %bb.66:                               ;   in Loop: Header=BB638_15 Depth=1
	v_and_b32_e32 v30, 7, v28
	v_ffbh_u32_e32 v34, v30
	v_min_u32_e32 v36, 32, v34
	v_subrev_u32_e32 v34, 28, v36
	v_lshlrev_b64 v[34:35], v34, v[28:29]
	v_lshrrev_b32_e32 v32, 3, v23
	v_sub_u32_e32 v35, 29, v36
	v_and_b32_e32 v34, 7, v34
	v_cmp_gt_u32_e32 vcc, 8, v23
	v_cndmask_b32_e32 v23, v32, v35, vcc
	v_cndmask_b32_e32 v30, v30, v34, vcc
	v_lshlrev_b32_e32 v32, 24, v28
	v_lshlrev_b32_e32 v30, 20, v30
	v_and_b32_e32 v32, 0x80000000, v32
	v_lshl_add_u32 v23, v23, 23, v33
	v_or3_b32 v32, v32, v23, v30
.LBB638_67:                             ;   in Loop: Header=BB638_15 Depth=1
	s_or_b64 exec, exec, s[12:13]
.LBB638_68:                             ;   in Loop: Header=BB638_15 Depth=1
	s_or_b64 exec, exec, s[6:7]
.LBB638_69:                             ;   in Loop: Header=BB638_15 Depth=1
	s_or_b64 exec, exec, s[4:5]
	v_lshrrev_b16_e32 v30, 8, v28
	v_cmp_ne_u16_e32 vcc, 0, v30
	v_mov_b32_e32 v34, 0
	v_mov_b32_e32 v35, 0
	s_and_saveexec_b64 s[4:5], vcc
	s_cbranch_execz .LBB638_75
; %bb.70:                               ;   in Loop: Header=BB638_15 Depth=1
	v_cmp_ne_u16_e32 vcc, s15, v30
	v_bfrev_b32_e32 v35, 1
	s_and_saveexec_b64 s[6:7], vcc
	s_cbranch_execz .LBB638_74
; %bb.71:                               ;   in Loop: Header=BB638_15 Depth=1
	v_and_b32_e32 v23, 0x7f, v30
	v_cmp_ne_u32_e32 vcc, s16, v23
	v_mov_b32_e32 v35, 0x7f800001
	s_and_saveexec_b64 s[12:13], vcc
	s_cbranch_execz .LBB638_73
; %bb.72:                               ;   in Loop: Header=BB638_15 Depth=1
	v_and_b32_e32 v35, 7, v30
	v_ffbh_u32_e32 v36, v35
	v_min_u32_e32 v39, 32, v36
	v_subrev_u32_e32 v36, 28, v39
	v_lshlrev_b64 v[36:37], v36, v[30:31]
	v_lshrrev_b32_e32 v38, 3, v23
	v_sub_u32_e32 v30, 29, v39
	v_and_b32_e32 v36, 7, v36
	v_cmp_gt_u32_e32 vcc, 8, v23
	v_cndmask_b32_e32 v23, v38, v30, vcc
	v_cndmask_b32_e32 v30, v35, v36, vcc
	v_lshlrev_b32_e32 v35, 16, v28
	v_lshlrev_b32_e32 v30, 20, v30
	v_and_b32_e32 v35, 0x80000000, v35
	v_lshl_add_u32 v23, v23, 23, v33
	v_or3_b32 v35, v35, v23, v30
.LBB638_73:                             ;   in Loop: Header=BB638_15 Depth=1
	s_or_b64 exec, exec, s[12:13]
.LBB638_74:                             ;   in Loop: Header=BB638_15 Depth=1
	s_or_b64 exec, exec, s[6:7]
.LBB638_75:                             ;   in Loop: Header=BB638_15 Depth=1
	s_or_b64 exec, exec, s[4:5]
	v_lshrrev_b32_e32 v30, 16, v28
	v_cmp_ne_u16_sdwa s[6:7], v30, v29 src0_sel:BYTE_0 src1_sel:DWORD
	s_and_saveexec_b64 s[4:5], s[6:7]
	s_cbranch_execz .LBB638_81
; %bb.76:                               ;   in Loop: Header=BB638_15 Depth=1
	v_cmp_ne_u16_sdwa s[12:13], v30, s15 src0_sel:BYTE_0 src1_sel:DWORD
	v_bfrev_b32_e32 v34, 1
	s_and_saveexec_b64 s[6:7], s[12:13]
	s_cbranch_execz .LBB638_80
; %bb.77:                               ;   in Loop: Header=BB638_15 Depth=1
	v_bfe_u32 v23, v28, 16, 7
	v_cmp_ne_u32_e32 vcc, s16, v23
	v_mov_b32_e32 v34, 0x7f800001
	s_and_saveexec_b64 s[12:13], vcc
	s_cbranch_execz .LBB638_79
; %bb.78:                               ;   in Loop: Header=BB638_15 Depth=1
	v_and_b32_e32 v34, 7, v30
	v_ffbh_u32_e32 v36, v34
	v_min_u32_e32 v39, 32, v36
	v_subrev_u32_e32 v36, 28, v39
	v_lshlrev_b64 v[36:37], v36, v[30:31]
	v_lshrrev_b32_e32 v38, 3, v23
	v_sub_u32_e32 v37, 29, v39
	v_and_b32_e32 v36, 7, v36
	v_cmp_gt_u32_e32 vcc, 8, v23
	v_cndmask_b32_e32 v23, v38, v37, vcc
	v_cndmask_b32_e32 v34, v34, v36, vcc
	v_lshlrev_b32_e32 v30, 24, v30
	v_lshlrev_b32_e32 v34, 20, v34
	v_and_b32_e32 v30, 0x80000000, v30
	v_lshl_add_u32 v23, v23, 23, v33
	v_or3_b32 v34, v30, v23, v34
.LBB638_79:                             ;   in Loop: Header=BB638_15 Depth=1
	s_or_b64 exec, exec, s[12:13]
.LBB638_80:                             ;   in Loop: Header=BB638_15 Depth=1
	s_or_b64 exec, exec, s[6:7]
.LBB638_81:                             ;   in Loop: Header=BB638_15 Depth=1
	s_or_b64 exec, exec, s[4:5]
	v_cmp_lt_u32_e32 vcc, s17, v28
	v_mov_b32_e32 v36, 0
	v_mov_b32_e32 v37, 0
	s_and_saveexec_b64 s[4:5], vcc
	s_cbranch_execz .LBB638_87
; %bb.82:                               ;   in Loop: Header=BB638_15 Depth=1
	v_lshrrev_b32_e32 v30, 24, v28
	v_cmp_ne_u32_e32 vcc, s15, v30
	v_bfrev_b32_e32 v37, 1
	s_and_saveexec_b64 s[6:7], vcc
	s_cbranch_execz .LBB638_86
; %bb.83:                               ;   in Loop: Header=BB638_15 Depth=1
	v_bfe_u32 v23, v28, 24, 7
	v_cmp_ne_u32_e32 vcc, s16, v23
	v_mov_b32_e32 v37, 0x7f800001
	s_and_saveexec_b64 s[12:13], vcc
	s_cbranch_execz .LBB638_85
; %bb.84:                               ;   in Loop: Header=BB638_15 Depth=1
	v_and_b32_e32 v28, 7, v30
	v_ffbh_u32_e32 v38, v28
	v_min_u32_e32 v40, 32, v38
	v_subrev_u32_e32 v38, 28, v40
	v_lshlrev_b64 v[38:39], v38, v[30:31]
	v_lshrrev_b32_e32 v37, 3, v23
	v_sub_u32_e32 v39, 29, v40
	v_and_b32_e32 v38, 7, v38
	v_cmp_gt_u32_e32 vcc, 8, v23
	v_cndmask_b32_e32 v23, v37, v39, vcc
	v_cndmask_b32_e32 v28, v28, v38, vcc
	v_lshlrev_b32_e32 v30, 24, v30
	v_lshlrev_b32_e32 v28, 20, v28
	v_and_b32_e32 v30, 0x80000000, v30
	v_lshl_add_u32 v23, v23, 23, v33
	v_or3_b32 v37, v30, v23, v28
.LBB638_85:                             ;   in Loop: Header=BB638_15 Depth=1
	s_or_b64 exec, exec, s[12:13]
.LBB638_86:                             ;   in Loop: Header=BB638_15 Depth=1
	s_or_b64 exec, exec, s[6:7]
.LBB638_87:                             ;   in Loop: Header=BB638_15 Depth=1
	s_or_b64 exec, exec, s[4:5]
	s_waitcnt vmcnt(0)
	v_cmp_ne_u16_sdwa s[6:7], v26, v29 src0_sel:BYTE_0 src1_sel:DWORD
	s_and_saveexec_b64 s[4:5], s[6:7]
	s_cbranch_execz .LBB638_93
; %bb.88:                               ;   in Loop: Header=BB638_15 Depth=1
	v_cmp_ne_u16_sdwa s[12:13], v26, s15 src0_sel:BYTE_0 src1_sel:DWORD
	v_bfrev_b32_e32 v36, 1
	s_and_saveexec_b64 s[6:7], s[12:13]
	s_cbranch_execz .LBB638_92
; %bb.89:                               ;   in Loop: Header=BB638_15 Depth=1
	v_and_b32_e32 v23, 0x7f, v26
	v_cmp_ne_u32_e32 vcc, s16, v23
	v_mov_b32_e32 v36, 0x7f800001
	s_and_saveexec_b64 s[12:13], vcc
	s_cbranch_execz .LBB638_91
; %bb.90:                               ;   in Loop: Header=BB638_15 Depth=1
	v_and_b32_e32 v28, 7, v26
	v_ffbh_u32_e32 v36, v28
	v_min_u32_e32 v36, 32, v36
	v_subrev_u32_e32 v38, 28, v36
	v_lshlrev_b64 v[38:39], v38, v[26:27]
	v_lshrrev_b32_e32 v30, 3, v23
	v_sub_u32_e32 v36, 29, v36
	v_and_b32_e32 v38, 7, v38
	v_cmp_gt_u32_e32 vcc, 8, v23
	v_cndmask_b32_e32 v23, v30, v36, vcc
	v_cndmask_b32_e32 v28, v28, v38, vcc
	v_lshlrev_b32_e32 v30, 24, v26
	v_lshlrev_b32_e32 v28, 20, v28
	v_and_b32_e32 v30, 0x80000000, v30
	v_lshl_add_u32 v23, v23, 23, v33
	v_or3_b32 v36, v30, v23, v28
.LBB638_91:                             ;   in Loop: Header=BB638_15 Depth=1
	s_or_b64 exec, exec, s[12:13]
.LBB638_92:                             ;   in Loop: Header=BB638_15 Depth=1
	s_or_b64 exec, exec, s[6:7]
.LBB638_93:                             ;   in Loop: Header=BB638_15 Depth=1
	s_or_b64 exec, exec, s[4:5]
	v_lshrrev_b16_e32 v28, 8, v26
	v_cmp_ne_u16_e32 vcc, 0, v28
	v_mov_b32_e32 v38, 0
	v_mov_b32_e32 v39, 0
	s_and_saveexec_b64 s[4:5], vcc
	s_cbranch_execz .LBB638_99
; %bb.94:                               ;   in Loop: Header=BB638_15 Depth=1
	v_cmp_ne_u16_e32 vcc, s15, v28
	v_bfrev_b32_e32 v39, 1
	s_and_saveexec_b64 s[6:7], vcc
	s_cbranch_execz .LBB638_98
; %bb.95:                               ;   in Loop: Header=BB638_15 Depth=1
	v_and_b32_e32 v23, 0x7f, v28
	v_cmp_ne_u32_e32 vcc, s16, v23
	v_mov_b32_e32 v39, 0x7f800001
	s_and_saveexec_b64 s[12:13], vcc
	s_cbranch_execz .LBB638_97
; %bb.96:                               ;   in Loop: Header=BB638_15 Depth=1
	v_and_b32_e32 v30, 7, v28
	v_ffbh_u32_e32 v40, v30
	v_min_u32_e32 v42, 32, v40
	v_subrev_u32_e32 v40, 28, v42
	v_lshlrev_b64 v[40:41], v40, v[28:29]
	v_lshrrev_b32_e32 v39, 3, v23
	v_sub_u32_e32 v28, 29, v42
	v_and_b32_e32 v40, 7, v40
	v_cmp_gt_u32_e32 vcc, 8, v23
	v_cndmask_b32_e32 v23, v39, v28, vcc
	v_cndmask_b32_e32 v28, v30, v40, vcc
	v_lshlrev_b32_e32 v30, 16, v26
	v_lshlrev_b32_e32 v28, 20, v28
	v_and_b32_e32 v30, 0x80000000, v30
	v_lshl_add_u32 v23, v23, 23, v33
	v_or3_b32 v39, v30, v23, v28
.LBB638_97:                             ;   in Loop: Header=BB638_15 Depth=1
	s_or_b64 exec, exec, s[12:13]
.LBB638_98:                             ;   in Loop: Header=BB638_15 Depth=1
	s_or_b64 exec, exec, s[6:7]
.LBB638_99:                             ;   in Loop: Header=BB638_15 Depth=1
	s_or_b64 exec, exec, s[4:5]
	v_lshrrev_b32_e32 v28, 16, v26
	v_cmp_ne_u16_sdwa s[6:7], v28, v29 src0_sel:BYTE_0 src1_sel:DWORD
	s_and_saveexec_b64 s[4:5], s[6:7]
	s_cbranch_execz .LBB638_105
; %bb.100:                              ;   in Loop: Header=BB638_15 Depth=1
	v_cmp_ne_u16_sdwa s[12:13], v28, s15 src0_sel:BYTE_0 src1_sel:DWORD
	v_bfrev_b32_e32 v38, 1
	s_and_saveexec_b64 s[6:7], s[12:13]
	s_cbranch_execz .LBB638_104
; %bb.101:                              ;   in Loop: Header=BB638_15 Depth=1
	v_bfe_u32 v23, v26, 16, 7
	v_cmp_ne_u32_e32 vcc, s16, v23
	v_mov_b32_e32 v38, 0x7f800001
	s_and_saveexec_b64 s[12:13], vcc
	s_cbranch_execz .LBB638_103
; %bb.102:                              ;   in Loop: Header=BB638_15 Depth=1
	v_and_b32_e32 v30, 7, v28
	v_ffbh_u32_e32 v40, v30
	v_min_u32_e32 v42, 32, v40
	v_subrev_u32_e32 v40, 28, v42
	v_lshlrev_b64 v[40:41], v40, v[28:29]
	v_lshrrev_b32_e32 v38, 3, v23
	v_sub_u32_e32 v41, 29, v42
	v_and_b32_e32 v40, 7, v40
	v_cmp_gt_u32_e32 vcc, 8, v23
	v_cndmask_b32_e32 v23, v38, v41, vcc
	v_cndmask_b32_e32 v30, v30, v40, vcc
	v_lshlrev_b32_e32 v28, 24, v28
	v_lshlrev_b32_e32 v30, 20, v30
	v_and_b32_e32 v28, 0x80000000, v28
	v_lshl_add_u32 v23, v23, 23, v33
	v_or3_b32 v38, v28, v23, v30
.LBB638_103:                            ;   in Loop: Header=BB638_15 Depth=1
	s_or_b64 exec, exec, s[12:13]
.LBB638_104:                            ;   in Loop: Header=BB638_15 Depth=1
	s_or_b64 exec, exec, s[6:7]
.LBB638_105:                            ;   in Loop: Header=BB638_15 Depth=1
	s_or_b64 exec, exec, s[4:5]
	v_cmp_lt_u32_e32 vcc, s17, v26
	v_mov_b32_e32 v23, 0
	v_mov_b32_e32 v40, 0
	s_and_saveexec_b64 s[4:5], vcc
	s_cbranch_execz .LBB638_111
; %bb.106:                              ;   in Loop: Header=BB638_15 Depth=1
	v_lshrrev_b32_e32 v28, 24, v26
	v_cmp_ne_u32_e32 vcc, s15, v28
	v_bfrev_b32_e32 v40, 1
	s_and_saveexec_b64 s[6:7], vcc
	s_cbranch_execz .LBB638_110
; %bb.107:                              ;   in Loop: Header=BB638_15 Depth=1
	v_bfe_u32 v26, v26, 24, 7
	v_cmp_ne_u32_e32 vcc, s16, v26
	v_mov_b32_e32 v40, 0x7f800001
	s_and_saveexec_b64 s[12:13], vcc
	s_cbranch_execz .LBB638_109
; %bb.108:                              ;   in Loop: Header=BB638_15 Depth=1
	v_and_b32_e32 v30, 7, v28
	v_ffbh_u32_e32 v40, v30
	v_min_u32_e32 v43, 32, v40
	v_subrev_u32_e32 v40, 28, v43
	v_lshlrev_b64 v[40:41], v40, v[28:29]
	v_lshrrev_b32_e32 v42, 3, v26
	v_sub_u32_e32 v41, 29, v43
	v_and_b32_e32 v40, 7, v40
	v_cmp_gt_u32_e32 vcc, 8, v26
	v_cndmask_b32_e32 v26, v42, v41, vcc
	v_cndmask_b32_e32 v30, v30, v40, vcc
	v_lshlrev_b32_e32 v28, 24, v28
	v_lshlrev_b32_e32 v30, 20, v30
	v_and_b32_e32 v28, 0x80000000, v28
	v_lshl_add_u32 v26, v26, 23, v33
	v_or3_b32 v40, v28, v26, v30
.LBB638_109:                            ;   in Loop: Header=BB638_15 Depth=1
	s_or_b64 exec, exec, s[12:13]
.LBB638_110:                            ;   in Loop: Header=BB638_15 Depth=1
	s_or_b64 exec, exec, s[6:7]
.LBB638_111:                            ;   in Loop: Header=BB638_15 Depth=1
	s_or_b64 exec, exec, s[4:5]
	v_cvt_pkrtz_f16_f32 v42, v32, v35
	buffer_load_dword v32, v27, s[0:3], 0 offen offset:16
	buffer_load_dword v30, v27, s[0:3], 0 offen offset:20
	;; [unrolled: 1-line block ×4, first 2 shown]
	v_cvt_pkrtz_f16_f32 v43, v34, v37
	v_cvt_pkrtz_f16_f32 v34, v36, v39
	;; [unrolled: 1-line block ×3, first 2 shown]
	v_mfma_f32_16x16x16f16 v[18:21], v[42:43], v[6:7], v[18:21]
	s_waitcnt vmcnt(3)
	v_cmp_ne_u16_sdwa s[6:7], v32, v29 src0_sel:BYTE_0 src1_sel:DWORD
	v_mfma_f32_16x16x16f16 v[18:21], v[34:35], v[8:9], v[18:21]
	s_and_saveexec_b64 s[4:5], s[6:7]
	s_cbranch_execz .LBB638_117
; %bb.112:                              ;   in Loop: Header=BB638_15 Depth=1
	v_cmp_ne_u16_sdwa s[12:13], v32, s15 src0_sel:BYTE_0 src1_sel:DWORD
	v_bfrev_b32_e32 v23, 1
	s_and_saveexec_b64 s[6:7], s[12:13]
	s_cbranch_execz .LBB638_116
; %bb.113:                              ;   in Loop: Header=BB638_15 Depth=1
	v_and_b32_e32 v34, 0x7f, v32
	v_cmp_ne_u32_e32 vcc, s16, v34
	v_mov_b32_e32 v23, 0x7f800001
	s_and_saveexec_b64 s[12:13], vcc
	s_cbranch_execz .LBB638_115
; %bb.114:                              ;   in Loop: Header=BB638_15 Depth=1
	v_and_b32_e32 v23, 7, v32
	v_ffbh_u32_e32 v36, v23
	v_min_u32_e32 v38, 32, v36
	v_subrev_u32_e32 v36, 28, v38
	v_lshlrev_b64 v[36:37], v36, v[32:33]
	v_lshrrev_b32_e32 v35, 3, v34
	v_sub_u32_e32 v37, 29, v38
	v_and_b32_e32 v36, 7, v36
	v_cmp_gt_u32_e32 vcc, 8, v34
	v_cndmask_b32_e32 v34, v35, v37, vcc
	v_cndmask_b32_e32 v23, v23, v36, vcc
	v_lshlrev_b32_e32 v35, 24, v32
	v_lshlrev_b32_e32 v23, 20, v23
	v_and_b32_e32 v35, 0x80000000, v35
	v_lshl_add_u32 v34, v34, 23, v33
	v_or3_b32 v23, v35, v34, v23
.LBB638_115:                            ;   in Loop: Header=BB638_15 Depth=1
	s_or_b64 exec, exec, s[12:13]
.LBB638_116:                            ;   in Loop: Header=BB638_15 Depth=1
	s_or_b64 exec, exec, s[6:7]
.LBB638_117:                            ;   in Loop: Header=BB638_15 Depth=1
	s_or_b64 exec, exec, s[4:5]
	v_lshrrev_b16_e32 v34, 8, v32
	v_cmp_ne_u16_e32 vcc, 0, v34
	v_mov_b32_e32 v35, 0
	v_mov_b32_e32 v36, 0
	s_and_saveexec_b64 s[4:5], vcc
	s_cbranch_execz .LBB638_123
; %bb.118:                              ;   in Loop: Header=BB638_15 Depth=1
	v_cmp_ne_u16_e32 vcc, s15, v34
	v_bfrev_b32_e32 v36, 1
	s_and_saveexec_b64 s[6:7], vcc
	s_cbranch_execz .LBB638_122
; %bb.119:                              ;   in Loop: Header=BB638_15 Depth=1
	v_and_b32_e32 v37, 0x7f, v34
	v_cmp_ne_u32_e32 vcc, s16, v37
	v_mov_b32_e32 v36, 0x7f800001
	s_and_saveexec_b64 s[12:13], vcc
	s_cbranch_execz .LBB638_121
; %bb.120:                              ;   in Loop: Header=BB638_15 Depth=1
	v_and_b32_e32 v36, 7, v34
	v_ffbh_u32_e32 v38, v36
	v_min_u32_e32 v41, 32, v38
	v_subrev_u32_e32 v38, 28, v41
	v_lshlrev_b64 v[38:39], v38, v[34:35]
	v_lshrrev_b32_e32 v40, 3, v37
	v_sub_u32_e32 v34, 29, v41
	v_and_b32_e32 v38, 7, v38
	v_cmp_gt_u32_e32 vcc, 8, v37
	v_cndmask_b32_e32 v34, v40, v34, vcc
	v_cndmask_b32_e32 v36, v36, v38, vcc
	v_lshlrev_b32_e32 v37, 16, v32
	v_lshlrev_b32_e32 v36, 20, v36
	v_and_b32_e32 v37, 0x80000000, v37
	v_lshl_add_u32 v34, v34, 23, v33
	v_or3_b32 v36, v37, v34, v36
.LBB638_121:                            ;   in Loop: Header=BB638_15 Depth=1
	s_or_b64 exec, exec, s[12:13]
.LBB638_122:                            ;   in Loop: Header=BB638_15 Depth=1
	s_or_b64 exec, exec, s[6:7]
.LBB638_123:                            ;   in Loop: Header=BB638_15 Depth=1
	s_or_b64 exec, exec, s[4:5]
	v_lshrrev_b32_e32 v34, 16, v32
	v_cmp_ne_u16_sdwa s[6:7], v34, v29 src0_sel:BYTE_0 src1_sel:DWORD
	s_and_saveexec_b64 s[4:5], s[6:7]
	s_cbranch_execz .LBB638_129
; %bb.124:                              ;   in Loop: Header=BB638_15 Depth=1
	v_cmp_ne_u16_sdwa s[12:13], v34, s15 src0_sel:BYTE_0 src1_sel:DWORD
	v_bfrev_b32_e32 v35, 1
	s_and_saveexec_b64 s[6:7], s[12:13]
	s_cbranch_execz .LBB638_128
; %bb.125:                              ;   in Loop: Header=BB638_15 Depth=1
	v_bfe_u32 v37, v32, 16, 7
	v_cmp_ne_u32_e32 vcc, s16, v37
	v_mov_b32_e32 v35, 0x7f800001
	s_and_saveexec_b64 s[12:13], vcc
	s_cbranch_execz .LBB638_127
; %bb.126:                              ;   in Loop: Header=BB638_15 Depth=1
	v_and_b32_e32 v35, 7, v34
	v_ffbh_u32_e32 v38, v35
	v_min_u32_e32 v41, 32, v38
	v_subrev_u32_e32 v38, 28, v41
	v_lshlrev_b64 v[38:39], v38, v[34:35]
	v_lshrrev_b32_e32 v40, 3, v37
	v_sub_u32_e32 v39, 29, v41
	v_and_b32_e32 v38, 7, v38
	v_cmp_gt_u32_e32 vcc, 8, v37
	v_cndmask_b32_e32 v37, v40, v39, vcc
	v_cndmask_b32_e32 v35, v35, v38, vcc
	v_lshlrev_b32_e32 v34, 24, v34
	v_lshlrev_b32_e32 v35, 20, v35
	v_and_b32_e32 v34, 0x80000000, v34
	v_lshl_add_u32 v37, v37, 23, v33
	v_or3_b32 v35, v34, v37, v35
.LBB638_127:                            ;   in Loop: Header=BB638_15 Depth=1
	s_or_b64 exec, exec, s[12:13]
.LBB638_128:                            ;   in Loop: Header=BB638_15 Depth=1
	s_or_b64 exec, exec, s[6:7]
.LBB638_129:                            ;   in Loop: Header=BB638_15 Depth=1
	s_or_b64 exec, exec, s[4:5]
	v_cmp_lt_u32_e32 vcc, s17, v32
	v_mov_b32_e32 v37, 0
	v_mov_b32_e32 v38, 0
	s_and_saveexec_b64 s[4:5], vcc
	s_cbranch_execz .LBB638_135
; %bb.130:                              ;   in Loop: Header=BB638_15 Depth=1
	v_lshrrev_b32_e32 v34, 24, v32
	v_cmp_ne_u32_e32 vcc, s15, v34
	v_bfrev_b32_e32 v38, 1
	s_and_saveexec_b64 s[6:7], vcc
	s_cbranch_execz .LBB638_134
; %bb.131:                              ;   in Loop: Header=BB638_15 Depth=1
	v_bfe_u32 v32, v32, 24, 7
	v_cmp_ne_u32_e32 vcc, s16, v32
	v_mov_b32_e32 v38, 0x7f800001
	s_and_saveexec_b64 s[12:13], vcc
	s_cbranch_execz .LBB638_133
; %bb.132:                              ;   in Loop: Header=BB638_15 Depth=1
	v_and_b32_e32 v40, 7, v34
	v_ffbh_u32_e32 v38, v40
	v_min_u32_e32 v42, 32, v38
	v_subrev_u32_e32 v38, 28, v42
	v_lshlrev_b64 v[38:39], v38, v[34:35]
	v_lshrrev_b32_e32 v41, 3, v32
	v_sub_u32_e32 v39, 29, v42
	v_and_b32_e32 v38, 7, v38
	v_cmp_gt_u32_e32 vcc, 8, v32
	v_cndmask_b32_e32 v32, v41, v39, vcc
	v_cndmask_b32_e32 v38, v40, v38, vcc
	v_lshlrev_b32_e32 v34, 24, v34
	v_lshlrev_b32_e32 v38, 20, v38
	v_and_b32_e32 v34, 0x80000000, v34
	v_lshl_add_u32 v32, v32, 23, v33
	v_or3_b32 v38, v34, v32, v38
.LBB638_133:                            ;   in Loop: Header=BB638_15 Depth=1
	s_or_b64 exec, exec, s[12:13]
.LBB638_134:                            ;   in Loop: Header=BB638_15 Depth=1
	s_or_b64 exec, exec, s[6:7]
.LBB638_135:                            ;   in Loop: Header=BB638_15 Depth=1
	s_or_b64 exec, exec, s[4:5]
	s_waitcnt vmcnt(2)
	v_cmp_ne_u16_sdwa s[6:7], v30, v29 src0_sel:BYTE_0 src1_sel:DWORD
	s_and_saveexec_b64 s[4:5], s[6:7]
	s_cbranch_execz .LBB638_141
; %bb.136:                              ;   in Loop: Header=BB638_15 Depth=1
	v_cmp_ne_u16_sdwa s[12:13], v30, s15 src0_sel:BYTE_0 src1_sel:DWORD
	v_bfrev_b32_e32 v37, 1
	s_and_saveexec_b64 s[6:7], s[12:13]
	s_cbranch_execz .LBB638_140
; %bb.137:                              ;   in Loop: Header=BB638_15 Depth=1
	v_and_b32_e32 v32, 0x7f, v30
	v_cmp_ne_u32_e32 vcc, s16, v32
	v_mov_b32_e32 v37, 0x7f800001
	s_and_saveexec_b64 s[12:13], vcc
	s_cbranch_execz .LBB638_139
; %bb.138:                              ;   in Loop: Header=BB638_15 Depth=1
	v_and_b32_e32 v34, 7, v30
	v_ffbh_u32_e32 v39, v34
	v_min_u32_e32 v39, 32, v39
	v_subrev_u32_e32 v40, 28, v39
	v_lshlrev_b64 v[40:41], v40, v[30:31]
	v_lshrrev_b32_e32 v37, 3, v32
	v_sub_u32_e32 v39, 29, v39
	v_and_b32_e32 v40, 7, v40
	v_cmp_gt_u32_e32 vcc, 8, v32
	v_cndmask_b32_e32 v32, v37, v39, vcc
	v_cndmask_b32_e32 v34, v34, v40, vcc
	v_lshlrev_b32_e32 v37, 24, v30
	v_lshlrev_b32_e32 v34, 20, v34
	v_and_b32_e32 v37, 0x80000000, v37
	v_lshl_add_u32 v32, v32, 23, v33
	v_or3_b32 v37, v37, v32, v34
.LBB638_139:                            ;   in Loop: Header=BB638_15 Depth=1
	s_or_b64 exec, exec, s[12:13]
.LBB638_140:                            ;   in Loop: Header=BB638_15 Depth=1
	s_or_b64 exec, exec, s[6:7]
.LBB638_141:                            ;   in Loop: Header=BB638_15 Depth=1
	s_or_b64 exec, exec, s[4:5]
	v_lshrrev_b16_e32 v32, 8, v30
	v_cmp_ne_u16_e32 vcc, 0, v32
	v_mov_b32_e32 v39, 0
	v_mov_b32_e32 v40, 0
	s_and_saveexec_b64 s[4:5], vcc
	s_cbranch_execz .LBB638_147
; %bb.142:                              ;   in Loop: Header=BB638_15 Depth=1
	v_cmp_ne_u16_e32 vcc, s15, v32
	v_bfrev_b32_e32 v40, 1
	s_and_saveexec_b64 s[6:7], vcc
	s_cbranch_execz .LBB638_146
; %bb.143:                              ;   in Loop: Header=BB638_15 Depth=1
	v_and_b32_e32 v34, 0x7f, v32
	v_cmp_ne_u32_e32 vcc, s16, v34
	v_mov_b32_e32 v40, 0x7f800001
	s_and_saveexec_b64 s[12:13], vcc
	s_cbranch_execz .LBB638_145
; %bb.144:                              ;   in Loop: Header=BB638_15 Depth=1
	v_and_b32_e32 v42, 7, v32
	v_ffbh_u32_e32 v40, v42
	v_min_u32_e32 v44, 32, v40
	v_subrev_u32_e32 v40, 28, v44
	v_lshlrev_b64 v[40:41], v40, v[32:33]
	v_lshrrev_b32_e32 v43, 3, v34
	v_sub_u32_e32 v32, 29, v44
	v_and_b32_e32 v40, 7, v40
	v_cmp_gt_u32_e32 vcc, 8, v34
	v_cndmask_b32_e32 v32, v43, v32, vcc
	v_cndmask_b32_e32 v34, v42, v40, vcc
	v_lshlrev_b32_e32 v40, 16, v30
	v_lshlrev_b32_e32 v34, 20, v34
	v_and_b32_e32 v40, 0x80000000, v40
	v_lshl_add_u32 v32, v32, 23, v33
	v_or3_b32 v40, v40, v32, v34
.LBB638_145:                            ;   in Loop: Header=BB638_15 Depth=1
	s_or_b64 exec, exec, s[12:13]
.LBB638_146:                            ;   in Loop: Header=BB638_15 Depth=1
	s_or_b64 exec, exec, s[6:7]
.LBB638_147:                            ;   in Loop: Header=BB638_15 Depth=1
	s_or_b64 exec, exec, s[4:5]
	v_lshrrev_b32_e32 v32, 16, v30
	v_cmp_ne_u16_sdwa s[6:7], v32, v29 src0_sel:BYTE_0 src1_sel:DWORD
	s_and_saveexec_b64 s[4:5], s[6:7]
	s_cbranch_execz .LBB638_153
; %bb.148:                              ;   in Loop: Header=BB638_15 Depth=1
	v_cmp_ne_u16_sdwa s[12:13], v32, s15 src0_sel:BYTE_0 src1_sel:DWORD
	v_bfrev_b32_e32 v39, 1
	s_and_saveexec_b64 s[6:7], s[12:13]
	s_cbranch_execz .LBB638_152
; %bb.149:                              ;   in Loop: Header=BB638_15 Depth=1
	v_bfe_u32 v34, v30, 16, 7
	v_cmp_ne_u32_e32 vcc, s16, v34
	v_mov_b32_e32 v39, 0x7f800001
	s_and_saveexec_b64 s[12:13], vcc
	s_cbranch_execz .LBB638_151
; %bb.150:                              ;   in Loop: Header=BB638_15 Depth=1
	v_and_b32_e32 v39, 7, v32
	v_ffbh_u32_e32 v42, v39
	v_min_u32_e32 v44, 32, v42
	v_subrev_u32_e32 v42, 28, v44
	v_lshlrev_b64 v[42:43], v42, v[32:33]
	v_lshrrev_b32_e32 v41, 3, v34
	v_sub_u32_e32 v43, 29, v44
	v_and_b32_e32 v42, 7, v42
	v_cmp_gt_u32_e32 vcc, 8, v34
	v_cndmask_b32_e32 v34, v41, v43, vcc
	v_cndmask_b32_e32 v39, v39, v42, vcc
	v_lshlrev_b32_e32 v32, 24, v32
	v_lshlrev_b32_e32 v39, 20, v39
	v_and_b32_e32 v32, 0x80000000, v32
	v_lshl_add_u32 v34, v34, 23, v33
	v_or3_b32 v39, v32, v34, v39
.LBB638_151:                            ;   in Loop: Header=BB638_15 Depth=1
	s_or_b64 exec, exec, s[12:13]
.LBB638_152:                            ;   in Loop: Header=BB638_15 Depth=1
	s_or_b64 exec, exec, s[6:7]
.LBB638_153:                            ;   in Loop: Header=BB638_15 Depth=1
	s_or_b64 exec, exec, s[4:5]
	v_cmp_lt_u32_e32 vcc, s17, v30
	v_mov_b32_e32 v34, 0
	v_mov_b32_e32 v41, 0
	s_and_saveexec_b64 s[4:5], vcc
	s_cbranch_execz .LBB638_159
; %bb.154:                              ;   in Loop: Header=BB638_15 Depth=1
	v_lshrrev_b32_e32 v32, 24, v30
	v_cmp_ne_u32_e32 vcc, s15, v32
	v_bfrev_b32_e32 v41, 1
	s_and_saveexec_b64 s[6:7], vcc
	s_cbranch_execz .LBB638_158
; %bb.155:                              ;   in Loop: Header=BB638_15 Depth=1
	v_bfe_u32 v30, v30, 24, 7
	v_cmp_ne_u32_e32 vcc, s16, v30
	v_mov_b32_e32 v41, 0x7f800001
	s_and_saveexec_b64 s[12:13], vcc
	s_cbranch_execz .LBB638_157
; %bb.156:                              ;   in Loop: Header=BB638_15 Depth=1
	v_and_b32_e32 v41, 7, v32
	v_ffbh_u32_e32 v42, v41
	v_min_u32_e32 v45, 32, v42
	v_subrev_u32_e32 v42, 28, v45
	v_lshlrev_b64 v[42:43], v42, v[32:33]
	v_lshrrev_b32_e32 v44, 3, v30
	v_sub_u32_e32 v43, 29, v45
	v_and_b32_e32 v42, 7, v42
	v_cmp_gt_u32_e32 vcc, 8, v30
	v_cndmask_b32_e32 v30, v44, v43, vcc
	v_cndmask_b32_e32 v41, v41, v42, vcc
	v_lshlrev_b32_e32 v32, 24, v32
	v_lshlrev_b32_e32 v41, 20, v41
	v_and_b32_e32 v32, 0x80000000, v32
	v_lshl_add_u32 v30, v30, 23, v33
	v_or3_b32 v41, v32, v30, v41
.LBB638_157:                            ;   in Loop: Header=BB638_15 Depth=1
	s_or_b64 exec, exec, s[12:13]
.LBB638_158:                            ;   in Loop: Header=BB638_15 Depth=1
	s_or_b64 exec, exec, s[6:7]
.LBB638_159:                            ;   in Loop: Header=BB638_15 Depth=1
	s_or_b64 exec, exec, s[4:5]
	v_cvt_pkrtz_f16_f32 v42, v23, v36
	v_cvt_pkrtz_f16_f32 v43, v35, v38
	;; [unrolled: 1-line block ×4, first 2 shown]
	s_waitcnt vmcnt(1)
	v_cmp_ne_u16_sdwa s[6:7], v28, v29 src0_sel:BYTE_0 src1_sel:DWORD
	v_mfma_f32_16x16x16f16 v[18:21], v[42:43], v[10:11], v[18:21]
	v_mfma_f32_16x16x16f16 v[18:21], v[36:37], v[12:13], v[18:21]
	s_and_saveexec_b64 s[4:5], s[6:7]
	s_cbranch_execz .LBB638_165
; %bb.160:                              ;   in Loop: Header=BB638_15 Depth=1
	v_cmp_ne_u16_sdwa s[12:13], v28, s15 src0_sel:BYTE_0 src1_sel:DWORD
	v_bfrev_b32_e32 v34, 1
	s_and_saveexec_b64 s[6:7], s[12:13]
	s_cbranch_execz .LBB638_164
; %bb.161:                              ;   in Loop: Header=BB638_15 Depth=1
	v_and_b32_e32 v23, 0x7f, v28
	v_cmp_ne_u32_e32 vcc, s16, v23
	v_mov_b32_e32 v34, 0x7f800001
	s_and_saveexec_b64 s[12:13], vcc
	s_cbranch_execz .LBB638_163
; %bb.162:                              ;   in Loop: Header=BB638_15 Depth=1
	v_and_b32_e32 v30, 7, v28
	v_ffbh_u32_e32 v34, v30
	v_min_u32_e32 v36, 32, v34
	v_subrev_u32_e32 v34, 28, v36
	v_lshlrev_b64 v[34:35], v34, v[28:29]
	v_lshrrev_b32_e32 v32, 3, v23
	v_sub_u32_e32 v35, 29, v36
	v_and_b32_e32 v34, 7, v34
	v_cmp_gt_u32_e32 vcc, 8, v23
	v_cndmask_b32_e32 v23, v32, v35, vcc
	v_cndmask_b32_e32 v30, v30, v34, vcc
	v_lshlrev_b32_e32 v32, 24, v28
	v_lshlrev_b32_e32 v30, 20, v30
	v_and_b32_e32 v32, 0x80000000, v32
	v_lshl_add_u32 v23, v23, 23, v33
	v_or3_b32 v34, v32, v23, v30
.LBB638_163:                            ;   in Loop: Header=BB638_15 Depth=1
	s_or_b64 exec, exec, s[12:13]
.LBB638_164:                            ;   in Loop: Header=BB638_15 Depth=1
	s_or_b64 exec, exec, s[6:7]
.LBB638_165:                            ;   in Loop: Header=BB638_15 Depth=1
	s_or_b64 exec, exec, s[4:5]
	v_lshrrev_b16_e32 v30, 8, v28
	v_cmp_ne_u16_e32 vcc, 0, v30
	v_mov_b32_e32 v23, 0
	v_mov_b32_e32 v32, 0
	s_and_saveexec_b64 s[4:5], vcc
	s_cbranch_execz .LBB638_171
; %bb.166:                              ;   in Loop: Header=BB638_15 Depth=1
	v_cmp_ne_u16_e32 vcc, s15, v30
	v_bfrev_b32_e32 v32, 1
	s_and_saveexec_b64 s[6:7], vcc
	s_cbranch_execz .LBB638_170
; %bb.167:                              ;   in Loop: Header=BB638_15 Depth=1
	v_and_b32_e32 v35, 0x7f, v30
	v_cmp_ne_u32_e32 vcc, s16, v35
	v_mov_b32_e32 v32, 0x7f800001
	s_and_saveexec_b64 s[12:13], vcc
	s_cbranch_execz .LBB638_169
; %bb.168:                              ;   in Loop: Header=BB638_15 Depth=1
	v_and_b32_e32 v32, 7, v30
	v_ffbh_u32_e32 v36, v32
	v_min_u32_e32 v39, 32, v36
	v_subrev_u32_e32 v36, 28, v39
	v_lshlrev_b64 v[36:37], v36, v[30:31]
	v_lshrrev_b32_e32 v38, 3, v35
	v_sub_u32_e32 v30, 29, v39
	v_and_b32_e32 v36, 7, v36
	v_cmp_gt_u32_e32 vcc, 8, v35
	v_cndmask_b32_e32 v30, v38, v30, vcc
	v_cndmask_b32_e32 v32, v32, v36, vcc
	v_lshlrev_b32_e32 v35, 16, v28
	v_lshlrev_b32_e32 v32, 20, v32
	v_and_b32_e32 v35, 0x80000000, v35
	v_lshl_add_u32 v30, v30, 23, v33
	v_or3_b32 v32, v35, v30, v32
.LBB638_169:                            ;   in Loop: Header=BB638_15 Depth=1
	s_or_b64 exec, exec, s[12:13]
.LBB638_170:                            ;   in Loop: Header=BB638_15 Depth=1
	s_or_b64 exec, exec, s[6:7]
.LBB638_171:                            ;   in Loop: Header=BB638_15 Depth=1
	s_or_b64 exec, exec, s[4:5]
	v_lshrrev_b32_e32 v30, 16, v28
	v_cmp_ne_u16_sdwa s[6:7], v30, v29 src0_sel:BYTE_0 src1_sel:DWORD
	s_and_saveexec_b64 s[4:5], s[6:7]
	s_cbranch_execz .LBB638_177
; %bb.172:                              ;   in Loop: Header=BB638_15 Depth=1
	v_cmp_ne_u16_sdwa s[12:13], v30, s15 src0_sel:BYTE_0 src1_sel:DWORD
	v_bfrev_b32_e32 v23, 1
	s_and_saveexec_b64 s[6:7], s[12:13]
	s_cbranch_execz .LBB638_176
; %bb.173:                              ;   in Loop: Header=BB638_15 Depth=1
	v_bfe_u32 v35, v28, 16, 7
	v_cmp_ne_u32_e32 vcc, s16, v35
	v_mov_b32_e32 v23, 0x7f800001
	s_and_saveexec_b64 s[12:13], vcc
	s_cbranch_execz .LBB638_175
; %bb.174:                              ;   in Loop: Header=BB638_15 Depth=1
	v_and_b32_e32 v23, 7, v30
	v_ffbh_u32_e32 v36, v23
	v_min_u32_e32 v39, 32, v36
	v_subrev_u32_e32 v36, 28, v39
	v_lshlrev_b64 v[36:37], v36, v[30:31]
	v_lshrrev_b32_e32 v38, 3, v35
	v_sub_u32_e32 v37, 29, v39
	v_and_b32_e32 v36, 7, v36
	v_cmp_gt_u32_e32 vcc, 8, v35
	v_cndmask_b32_e32 v35, v38, v37, vcc
	v_cndmask_b32_e32 v23, v23, v36, vcc
	v_lshlrev_b32_e32 v30, 24, v30
	v_lshlrev_b32_e32 v23, 20, v23
	v_and_b32_e32 v30, 0x80000000, v30
	v_lshl_add_u32 v35, v35, 23, v33
	v_or3_b32 v23, v30, v35, v23
.LBB638_175:                            ;   in Loop: Header=BB638_15 Depth=1
	s_or_b64 exec, exec, s[12:13]
.LBB638_176:                            ;   in Loop: Header=BB638_15 Depth=1
	s_or_b64 exec, exec, s[6:7]
.LBB638_177:                            ;   in Loop: Header=BB638_15 Depth=1
	s_or_b64 exec, exec, s[4:5]
	v_cmp_lt_u32_e32 vcc, s17, v28
	v_mov_b32_e32 v35, 0
	v_mov_b32_e32 v36, 0
	s_and_saveexec_b64 s[4:5], vcc
	s_cbranch_execz .LBB638_183
; %bb.178:                              ;   in Loop: Header=BB638_15 Depth=1
	v_lshrrev_b32_e32 v30, 24, v28
	v_cmp_ne_u32_e32 vcc, s15, v30
	v_bfrev_b32_e32 v36, 1
	s_and_saveexec_b64 s[6:7], vcc
	s_cbranch_execz .LBB638_182
; %bb.179:                              ;   in Loop: Header=BB638_15 Depth=1
	v_bfe_u32 v28, v28, 24, 7
	v_cmp_ne_u32_e32 vcc, s16, v28
	v_mov_b32_e32 v36, 0x7f800001
	s_and_saveexec_b64 s[12:13], vcc
	s_cbranch_execz .LBB638_181
; %bb.180:                              ;   in Loop: Header=BB638_15 Depth=1
	v_and_b32_e32 v38, 7, v30
	v_ffbh_u32_e32 v36, v38
	v_min_u32_e32 v40, 32, v36
	v_subrev_u32_e32 v36, 28, v40
	v_lshlrev_b64 v[36:37], v36, v[30:31]
	v_lshrrev_b32_e32 v39, 3, v28
	v_sub_u32_e32 v37, 29, v40
	v_and_b32_e32 v36, 7, v36
	v_cmp_gt_u32_e32 vcc, 8, v28
	v_cndmask_b32_e32 v28, v39, v37, vcc
	v_cndmask_b32_e32 v36, v38, v36, vcc
	v_lshlrev_b32_e32 v30, 24, v30
	v_lshlrev_b32_e32 v36, 20, v36
	v_and_b32_e32 v30, 0x80000000, v30
	v_lshl_add_u32 v28, v28, 23, v33
	v_or3_b32 v36, v30, v28, v36
.LBB638_181:                            ;   in Loop: Header=BB638_15 Depth=1
	s_or_b64 exec, exec, s[12:13]
.LBB638_182:                            ;   in Loop: Header=BB638_15 Depth=1
	s_or_b64 exec, exec, s[6:7]
.LBB638_183:                            ;   in Loop: Header=BB638_15 Depth=1
	s_or_b64 exec, exec, s[4:5]
	s_waitcnt vmcnt(0)
	v_cmp_ne_u16_sdwa s[6:7], v26, v29 src0_sel:BYTE_0 src1_sel:DWORD
	s_and_saveexec_b64 s[4:5], s[6:7]
	s_cbranch_execz .LBB638_189
; %bb.184:                              ;   in Loop: Header=BB638_15 Depth=1
	v_cmp_ne_u16_sdwa s[12:13], v26, s15 src0_sel:BYTE_0 src1_sel:DWORD
	v_bfrev_b32_e32 v35, 1
	s_and_saveexec_b64 s[6:7], s[12:13]
	s_cbranch_execz .LBB638_188
; %bb.185:                              ;   in Loop: Header=BB638_15 Depth=1
	v_and_b32_e32 v28, 0x7f, v26
	v_cmp_ne_u32_e32 vcc, s16, v28
	v_mov_b32_e32 v35, 0x7f800001
	s_and_saveexec_b64 s[12:13], vcc
	s_cbranch_execz .LBB638_187
; %bb.186:                              ;   in Loop: Header=BB638_15 Depth=1
	v_and_b32_e32 v30, 7, v26
	v_ffbh_u32_e32 v37, v30
	v_min_u32_e32 v37, 32, v37
	v_subrev_u32_e32 v38, 28, v37
	v_lshlrev_b64 v[38:39], v38, v[26:27]
	v_lshrrev_b32_e32 v35, 3, v28
	v_sub_u32_e32 v37, 29, v37
	v_and_b32_e32 v38, 7, v38
	v_cmp_gt_u32_e32 vcc, 8, v28
	v_cndmask_b32_e32 v28, v35, v37, vcc
	v_cndmask_b32_e32 v30, v30, v38, vcc
	v_lshlrev_b32_e32 v35, 24, v26
	v_lshlrev_b32_e32 v30, 20, v30
	v_and_b32_e32 v35, 0x80000000, v35
	v_lshl_add_u32 v28, v28, 23, v33
	v_or3_b32 v35, v35, v28, v30
.LBB638_187:                            ;   in Loop: Header=BB638_15 Depth=1
	s_or_b64 exec, exec, s[12:13]
.LBB638_188:                            ;   in Loop: Header=BB638_15 Depth=1
	s_or_b64 exec, exec, s[6:7]
.LBB638_189:                            ;   in Loop: Header=BB638_15 Depth=1
	s_or_b64 exec, exec, s[4:5]
	v_lshrrev_b16_e32 v28, 8, v26
	v_cmp_ne_u16_e32 vcc, 0, v28
	v_mov_b32_e32 v30, 0
	v_mov_b32_e32 v37, 0
	s_and_saveexec_b64 s[4:5], vcc
	s_cbranch_execz .LBB638_195
; %bb.190:                              ;   in Loop: Header=BB638_15 Depth=1
	v_cmp_ne_u16_e32 vcc, s15, v28
	v_bfrev_b32_e32 v37, 1
	s_and_saveexec_b64 s[6:7], vcc
	s_cbranch_execz .LBB638_194
; %bb.191:                              ;   in Loop: Header=BB638_15 Depth=1
	v_and_b32_e32 v38, 0x7f, v28
	v_cmp_ne_u32_e32 vcc, s16, v38
	v_mov_b32_e32 v37, 0x7f800001
	s_and_saveexec_b64 s[12:13], vcc
	s_cbranch_execz .LBB638_193
; %bb.192:                              ;   in Loop: Header=BB638_15 Depth=1
	v_and_b32_e32 v37, 7, v28
	v_ffbh_u32_e32 v40, v37
	v_min_u32_e32 v42, 32, v40
	v_subrev_u32_e32 v40, 28, v42
	v_lshlrev_b64 v[40:41], v40, v[28:29]
	v_lshrrev_b32_e32 v39, 3, v38
	v_sub_u32_e32 v28, 29, v42
	v_and_b32_e32 v40, 7, v40
	v_cmp_gt_u32_e32 vcc, 8, v38
	v_cndmask_b32_e32 v28, v39, v28, vcc
	v_cndmask_b32_e32 v37, v37, v40, vcc
	v_lshlrev_b32_e32 v38, 16, v26
	v_lshlrev_b32_e32 v37, 20, v37
	v_and_b32_e32 v38, 0x80000000, v38
	v_lshl_add_u32 v28, v28, 23, v33
	v_or3_b32 v37, v38, v28, v37
.LBB638_193:                            ;   in Loop: Header=BB638_15 Depth=1
	s_or_b64 exec, exec, s[12:13]
.LBB638_194:                            ;   in Loop: Header=BB638_15 Depth=1
	s_or_b64 exec, exec, s[6:7]
.LBB638_195:                            ;   in Loop: Header=BB638_15 Depth=1
	s_or_b64 exec, exec, s[4:5]
	v_lshrrev_b32_e32 v28, 16, v26
	v_cmp_ne_u16_sdwa s[6:7], v28, v29 src0_sel:BYTE_0 src1_sel:DWORD
	s_and_saveexec_b64 s[4:5], s[6:7]
	s_cbranch_execz .LBB638_201
; %bb.196:                              ;   in Loop: Header=BB638_15 Depth=1
	v_cmp_ne_u16_sdwa s[12:13], v28, s15 src0_sel:BYTE_0 src1_sel:DWORD
	v_bfrev_b32_e32 v30, 1
	s_and_saveexec_b64 s[6:7], s[12:13]
	s_cbranch_execz .LBB638_200
; %bb.197:                              ;   in Loop: Header=BB638_15 Depth=1
	v_bfe_u32 v38, v26, 16, 7
	v_cmp_ne_u32_e32 vcc, s16, v38
	v_mov_b32_e32 v30, 0x7f800001
	s_and_saveexec_b64 s[12:13], vcc
	s_cbranch_execz .LBB638_199
; %bb.198:                              ;   in Loop: Header=BB638_15 Depth=1
	v_and_b32_e32 v30, 7, v28
	v_ffbh_u32_e32 v40, v30
	v_min_u32_e32 v42, 32, v40
	v_subrev_u32_e32 v40, 28, v42
	v_lshlrev_b64 v[40:41], v40, v[28:29]
	v_lshrrev_b32_e32 v39, 3, v38
	v_sub_u32_e32 v41, 29, v42
	v_and_b32_e32 v40, 7, v40
	v_cmp_gt_u32_e32 vcc, 8, v38
	v_cndmask_b32_e32 v38, v39, v41, vcc
	v_cndmask_b32_e32 v30, v30, v40, vcc
	v_lshlrev_b32_e32 v28, 24, v28
	v_lshlrev_b32_e32 v30, 20, v30
	v_and_b32_e32 v28, 0x80000000, v28
	v_lshl_add_u32 v38, v38, 23, v33
	v_or3_b32 v30, v28, v38, v30
.LBB638_199:                            ;   in Loop: Header=BB638_15 Depth=1
	s_or_b64 exec, exec, s[12:13]
.LBB638_200:                            ;   in Loop: Header=BB638_15 Depth=1
	s_or_b64 exec, exec, s[6:7]
.LBB638_201:                            ;   in Loop: Header=BB638_15 Depth=1
	s_or_b64 exec, exec, s[4:5]
	v_cmp_lt_u32_e32 vcc, s17, v26
	v_mov_b32_e32 v38, 0
	s_and_saveexec_b64 s[4:5], vcc
	s_cbranch_execz .LBB638_14
; %bb.202:                              ;   in Loop: Header=BB638_15 Depth=1
	v_lshrrev_b32_e32 v28, 24, v26
	v_cmp_ne_u32_e32 vcc, s15, v28
	v_bfrev_b32_e32 v38, 1
	s_and_saveexec_b64 s[6:7], vcc
	s_cbranch_execz .LBB638_13
; %bb.203:                              ;   in Loop: Header=BB638_15 Depth=1
	v_bfe_u32 v26, v26, 24, 7
	v_cmp_ne_u32_e32 vcc, s16, v26
	v_mov_b32_e32 v38, 0x7f800001
	s_and_saveexec_b64 s[12:13], vcc
	s_cbranch_execz .LBB638_12
; %bb.204:                              ;   in Loop: Header=BB638_15 Depth=1
	v_and_b32_e32 v40, 7, v28
	v_ffbh_u32_e32 v38, v40
	v_min_u32_e32 v42, 32, v38
	v_subrev_u32_e32 v38, 28, v42
	v_lshlrev_b64 v[38:39], v38, v[28:29]
	v_lshrrev_b32_e32 v41, 3, v26
	v_sub_u32_e32 v39, 29, v42
	v_and_b32_e32 v38, 7, v38
	v_cmp_gt_u32_e32 vcc, 8, v26
	v_cndmask_b32_e32 v26, v41, v39, vcc
	v_cndmask_b32_e32 v38, v40, v38, vcc
	v_lshlrev_b32_e32 v28, 24, v28
	v_lshlrev_b32_e32 v38, 20, v38
	v_and_b32_e32 v28, 0x80000000, v28
	v_lshl_add_u32 v26, v26, 23, v33
	v_or3_b32 v38, v28, v26, v38
	s_branch .LBB638_12
.LBB638_205:
	buffer_load_dword v13, off, s[0:3], 0 offset:256
	buffer_load_dword v14, off, s[0:3], 0 offset:260
	;; [unrolled: 1-line block ×16, first 2 shown]
	v_and_b32_e32 v12, 0xc0, v0
	v_add_u32_e32 v12, s20, v12
	v_lshl_or_b32 v12, v50, 2, v12
	v_or_b32_e32 v23, 1, v12
	v_mov_b32_e32 v19, 0xff7fffff
	v_or_b32_e32 v24, 2, v12
	v_or_b32_e32 v25, 3, v12
	v_cmp_gt_i32_e64 s[26:27], s33, v12
	v_cmp_gt_i32_e64 s[28:29], s33, v23
	s_mov_b32 s52, 0xff7fffff
	v_or_b32_e32 v26, 16, v12
	v_or_b32_e32 v27, 17, v12
	;; [unrolled: 1-line block ×12, first 2 shown]
	v_cmp_gt_i32_e64 s[30:31], s33, v24
	v_cmp_gt_i32_e64 s[34:35], s33, v25
	v_mbcnt_lo_u32_b32 v20, -1, 0
	v_cmp_gt_i32_e64 s[36:37], s33, v26
	v_cmp_gt_i32_e64 s[38:39], s33, v27
	v_mbcnt_hi_u32_b32 v20, -1, v20
	v_cmp_gt_i32_e64 s[20:21], s33, v28
	v_cmp_gt_i32_e64 s[22:23], s33, v29
	v_and_b32_e32 v21, 64, v20
	v_cmp_gt_i32_e64 s[16:17], s33, v30
	v_cmp_gt_i32_e64 s[18:19], s33, v31
	v_xor_b32_e32 v22, 32, v20
	v_add_u32_e32 v21, 64, v21
	v_cmp_gt_i32_e64 s[12:13], s33, v32
	v_cmp_gt_i32_e64 s[14:15], s33, v33
	v_cmp_lt_i32_e32 vcc, v22, v21
	v_cmp_gt_i32_e64 s[6:7], s33, v34
	v_cmp_gt_i32_e64 s[24:25], s33, v35
	v_cndmask_b32_e32 v22, v20, v22, vcc
	v_cmp_gt_i32_e32 vcc, s33, v36
	v_cmp_gt_i32_e64 s[4:5], s33, v37
	v_lshlrev_b32_e32 v22, 2, v22
	s_waitcnt vmcnt(15)
	v_cndmask_b32_e64 v12, v19, v13, s[26:27]
	s_waitcnt vmcnt(14)
	v_cndmask_b32_e64 v23, v19, v14, s[28:29]
	;; [unrolled: 2-line block ×4, first 2 shown]
	v_max3_f32 v12, v12, s52, v23
	s_waitcnt vmcnt(11)
	v_cndmask_b32_e64 v26, v19, v17, s[36:37]
	s_waitcnt vmcnt(10)
	v_cndmask_b32_e64 v27, v19, v18, s[38:39]
	v_max3_f32 v12, v12, v24, v25
	s_waitcnt vmcnt(9)
	v_cndmask_b32_e64 v28, v19, v11, s[20:21]
	s_waitcnt vmcnt(8)
	v_cndmask_b32_e64 v29, v19, v10, s[22:23]
	;; [unrolled: 5-line block ×5, first 2 shown]
	v_max3_f32 v12, v12, v32, v33
	s_waitcnt vmcnt(1)
	v_cndmask_b32_e32 v36, v19, v3, vcc
	s_waitcnt vmcnt(0)
	v_cndmask_b32_e64 v19, v19, v2, s[4:5]
	v_max3_f32 v12, v12, v34, v35
	v_max3_f32 v12, v12, v36, v19
	ds_bpermute_b32 v19, v22, v12
	v_xor_b32_e32 v23, 16, v20
	v_cmp_lt_i32_e64 s[40:41], v23, v21
	v_cndmask_b32_e64 v20, v20, v23, s[40:41]
	v_lshlrev_b32_e32 v20, 2, v20
	s_waitcnt lgkmcnt(0)
	v_max_f32_e32 v19, v19, v19
	v_max_f32_e32 v12, v12, v19
	ds_bpermute_b32 v19, v20, v12
	s_waitcnt lgkmcnt(0)
	v_max_f32_e32 v19, v19, v19
	v_max_f32_e32 v12, v12, v19
	v_sub_f32_e32 v13, v13, v12
	v_sub_f32_e32 v14, v14, v12
	;; [unrolled: 1-line block ×3, first 2 shown]
	v_mul_f32_e32 v13, 0x3fb8aa3b, v13
	v_mul_f32_e32 v14, 0x3fb8aa3b, v14
	;; [unrolled: 1-line block ×3, first 2 shown]
	v_exp_f32_e32 v13, v13
	v_exp_f32_e32 v14, v14
	;; [unrolled: 1-line block ×3, first 2 shown]
	v_sub_f32_e32 v16, v16, v12
	v_cndmask_b32_e64 v13, 0, v13, s[26:27]
	v_mul_f32_e32 v16, 0x3fb8aa3b, v16
	v_cndmask_b32_e64 v14, 0, v14, s[28:29]
	v_cndmask_b32_e64 v15, 0, v15, s[30:31]
	v_add_f32_e32 v19, 0, v13
	buffer_store_dword v13, off, s[0:3], 0 offset:256
	buffer_store_dword v14, off, s[0:3], 0 offset:260
	;; [unrolled: 1-line block ×3, first 2 shown]
	v_sub_f32_e32 v13, v17, v12
	v_exp_f32_e32 v16, v16
	v_add_f32_e32 v19, v19, v14
	v_mul_f32_e32 v13, 0x3fb8aa3b, v13
	v_sub_f32_e32 v14, v18, v12
	v_exp_f32_e32 v13, v13
	v_mul_f32_e32 v14, 0x3fb8aa3b, v14
	v_sub_f32_e32 v11, v11, v12
	v_exp_f32_e32 v14, v14
	;; [unrolled: 3-line block ×3, first 2 shown]
	v_mul_f32_e32 v10, 0x3fb8aa3b, v10
	v_sub_f32_e32 v9, v9, v12
	v_cndmask_b32_e64 v16, 0, v16, s[34:35]
	v_add_f32_e32 v19, v19, v15
	v_exp_f32_e32 v10, v10
	v_mul_f32_e32 v9, 0x3fb8aa3b, v9
	v_sub_f32_e32 v8, v8, v12
	v_add_f32_e32 v19, v19, v16
	v_cndmask_b32_e64 v13, 0, v13, s[36:37]
	v_exp_f32_e32 v9, v9
	v_mul_f32_e32 v8, 0x3fb8aa3b, v8
	v_sub_f32_e32 v7, v7, v12
	v_add_f32_e32 v15, v19, v13
	v_cndmask_b32_e64 v14, 0, v14, s[38:39]
	;; [unrolled: 5-line block ×5, first 2 shown]
	v_exp_f32_e32 v5, v5
	v_mul_f32_e32 v4, 0x3fb8aa3b, v4
	v_sub_f32_e32 v3, v3, v12
	buffer_store_dword v16, off, s[0:3], 0 offset:268
	buffer_store_dword v13, off, s[0:3], 0 offset:272
	;; [unrolled: 1-line block ×5, first 2 shown]
	v_add_f32_e32 v10, v15, v9
	v_cndmask_b32_e64 v8, 0, v8, s[18:19]
	v_exp_f32_e32 v4, v4
	v_mul_f32_e32 v3, 0x3fb8aa3b, v3
	v_sub_f32_e32 v2, v2, v12
	v_add_f32_e32 v10, v10, v8
	v_cndmask_b32_e64 v7, 0, v7, s[12:13]
	v_exp_f32_e32 v3, v3
	v_mul_f32_e32 v2, 0x3fb8aa3b, v2
	v_add_f32_e32 v10, v10, v7
	v_cndmask_b32_e64 v6, 0, v6, s[14:15]
	v_exp_f32_e32 v2, v2
	v_add_f32_e32 v10, v10, v6
	v_cndmask_b32_e64 v5, 0, v5, s[6:7]
	buffer_store_dword v9, off, s[0:3], 0 offset:288
	buffer_store_dword v8, off, s[0:3], 0 offset:292
	;; [unrolled: 1-line block ×4, first 2 shown]
	v_add_f32_e32 v6, v10, v5
	v_cndmask_b32_e64 v4, 0, v4, s[24:25]
	v_add_f32_e32 v6, v6, v4
	v_cndmask_b32_e32 v3, 0, v3, vcc
	v_add_f32_e32 v6, v6, v3
	v_cndmask_b32_e64 v2, 0, v2, s[4:5]
	v_add_f32_e32 v6, v6, v2
	ds_bpermute_b32 v7, v22, v6
	buffer_store_dword v5, off, s[0:3], 0 offset:304
	buffer_store_dword v4, off, s[0:3], 0 offset:308
	;; [unrolled: 1-line block ×4, first 2 shown]
	v_cmp_lt_u32_e64 s[4:5], 15, v62
	v_cmp_gt_u32_e32 vcc, 16, v62
	s_waitcnt lgkmcnt(0)
	v_add_f32_e32 v2, v6, v7
	ds_bpermute_b32 v3, v20, v2
	s_barrier
	s_waitcnt lgkmcnt(0)
	s_and_saveexec_b64 s[6:7], vcc
	s_cbranch_execz .LBB638_207
; %bb.206:
	v_add_f32_e32 v2, v2, v3
	v_lshlrev_b32_e32 v3, 2, v61
	ds_write2st64_b32 v3, v12, v2 offset1:1
.LBB638_207:
	s_or_b64 exec, exec, s[6:7]
	v_lshlrev_b32_e32 v2, 2, v51
	s_waitcnt lgkmcnt(0)
	s_barrier
	ds_read2_b32 v[10:11], v2 offset1:16
	ds_read2_b32 v[12:13], v2 offset0:32 offset1:48
	ds_read2_b32 v[6:7], v2 offset0:64 offset1:80
	;; [unrolled: 1-line block ×3, first 2 shown]
	s_waitcnt lgkmcnt(0)
	s_barrier
	buffer_load_dword v20, off, s[0:3], 0 offset:256
	buffer_load_dword v21, off, s[0:3], 0 offset:260
	;; [unrolled: 1-line block ×16, first 2 shown]
	v_lshlrev_b32_e32 v19, 3, v50
	v_lshlrev_b32_e32 v18, 5, v51
	;; [unrolled: 1-line block ×3, first 2 shown]
	v_or3_b32 v41, v28, v18, v19
	v_max3_f32 v19, v10, s52, v11
	v_max3_f32 v19, v19, v12, v13
	v_sub_f32_e32 v10, v10, v19
	v_sub_f32_e32 v11, v11, v19
	v_mul_f32_e32 v10, 0x3fb8aa3b, v10
	v_sub_f32_e32 v12, v12, v19
	v_mul_f32_e32 v11, 0x3fb8aa3b, v11
	v_exp_f32_e32 v10, v10
	v_sub_f32_e32 v13, v13, v19
	v_mul_f32_e32 v12, 0x3fb8aa3b, v12
	v_exp_f32_e32 v11, v11
	v_mul_f32_e32 v13, 0x3fb8aa3b, v13
	v_exp_f32_e32 v12, v12
	v_exp_f32_e32 v13, v13
	v_fma_f32 v6, v10, v6, 0
	v_fmac_f32_e32 v6, v11, v7
	v_cmp_eq_u32_e32 vcc, 1, v60
	v_fmac_f32_e32 v6, v12, v14
	v_cndmask_b32_e32 v10, v10, v11, vcc
	v_cmp_eq_u32_e32 vcc, 2, v60
	v_fmac_f32_e32 v6, v13, v15
	v_cndmask_b32_e32 v7, v10, v12, vcc
	v_add_f32_e32 v10, 0x358637bd, v6
	v_div_scale_f32 v11, s[6:7], v10, v10, 1.0
	v_rcp_f32_e32 v12, v11
	v_cmp_eq_u32_e32 vcc, 3, v60
	v_cndmask_b32_e32 v7, v7, v13, vcc
	v_div_scale_f32 v13, vcc, 1.0, v10, 1.0
	v_fma_f32 v14, -v11, v12, 1.0
	v_fmac_f32_e32 v12, v14, v12
	v_mul_f32_e32 v14, v13, v12
	v_fma_f32 v15, -v11, v14, v13
	v_fmac_f32_e32 v14, v15, v12
	v_fma_f32 v11, -v11, v14, v13
	v_div_fmas_f32 v11, v11, v12, v14
	v_div_fixup_f32 v10, v11, v10, 1.0
	v_mul_f32_e32 v10, v7, v10
	v_mov_b32_e32 v39, 0
	v_cmp_eq_u32_e32 vcc, 0, v0
	s_waitcnt vmcnt(14)
	v_pk_mul_f32 v[14:15], v[10:11], v[20:21] op_sel_hi:[0,1]
	v_cvt_f16_f32_e32 v7, v14
	s_waitcnt vmcnt(12)
	v_pk_mul_f32 v[12:13], v[10:11], v[22:23] op_sel_hi:[0,1]
	buffer_store_dword v14, off, s[0:3], 0 offset:256
	buffer_store_dword v15, off, s[0:3], 0 offset:260
	;; [unrolled: 1-line block ×3, first 2 shown]
	s_waitcnt vmcnt(13)
	v_pk_mul_f32 v[20:21], v[10:11], v[24:25] op_sel_hi:[0,1]
	v_cvt_f16_f32_e32 v14, v12
	s_waitcnt vmcnt(11)
	v_pk_mul_f32 v[22:23], v[10:11], v[26:27] op_sel_hi:[0,1]
	v_cvt_f16_f32_e32 v11, v15
	v_cvt_f16_f32_e32 v15, v13
	buffer_store_dword v13, off, s[0:3], 0 offset:268
	buffer_store_dword v22, off, s[0:3], 0 offset:272
	;; [unrolled: 1-line block ×3, first 2 shown]
	v_pack_b32_f16 v12, v7, v11
	v_cvt_f16_f32_e32 v11, v23
	v_pack_b32_f16 v13, v14, v15
	v_cvt_f16_f32_e32 v7, v22
	v_cvt_f16_f32_e32 v15, v20
	;; [unrolled: 1-line block ×3, first 2 shown]
	s_waitcnt vmcnt(12)
	v_pk_mul_f32 v[4:5], v[10:11], v[4:5] op_sel_hi:[0,1]
	v_pack_b32_f16 v14, v7, v11
	s_waitcnt vmcnt(10)
	v_pk_mul_f32 v[2:3], v[10:11], v[2:3] op_sel_hi:[0,1]
	v_pack_b32_f16 v15, v15, v22
	v_cvt_f16_f32_e32 v11, v5
	buffer_store_dword v20, off, s[0:3], 0 offset:280
	buffer_store_dword v21, off, s[0:3], 0 offset:284
	ds_write2st64_b64 v41, v[12:13], v[14:15] offset1:1
	buffer_store_dword v2, off, s[0:3], 0 offset:288
	buffer_store_dword v3, off, s[0:3], 0 offset:292
	v_cvt_f16_f32_e32 v2, v2
	v_cvt_f16_f32_e32 v3, v3
	;; [unrolled: 1-line block ×3, first 2 shown]
	buffer_store_dword v4, off, s[0:3], 0 offset:296
	buffer_store_dword v5, off, s[0:3], 0 offset:300
	s_waitcnt vmcnt(12)
	v_pk_mul_f32 v[4:5], v[10:11], v[16:17] op_sel_hi:[0,1]
	v_pk_mul_f32 v[8:9], v[10:11], v[8:9] op_sel_hi:[0,1]
	v_pack_b32_f16 v2, v2, v3
	v_pack_b32_f16 v3, v7, v11
	buffer_store_dword v8, off, s[0:3], 0 offset:304
	buffer_store_dword v9, off, s[0:3], 0 offset:308
	v_cvt_f16_f32_e32 v7, v8
	v_cvt_f16_f32_e32 v8, v9
	v_cvt_f16_f32_e32 v9, v4
	v_cvt_f16_f32_e32 v10, v5
	buffer_store_dword v4, off, s[0:3], 0 offset:312
	buffer_store_dword v5, off, s[0:3], 0 offset:316
	v_pack_b32_f16 v4, v7, v8
	v_pack_b32_f16 v5, v9, v10
	ds_write2st64_b64 v41, v[2:3], v[4:5] offset0:2 offset1:3
	s_and_saveexec_b64 s[6:7], vcc
	s_cbranch_execz .LBB638_209
; %bb.208:
	s_mul_i32 s9, s9, s51
	s_mul_hi_u32 s12, s8, s51
	s_add_i32 s12, s12, s9
	s_mul_i32 s9, s8, s51
	s_add_u32 s9, s9, s10
	s_addc_u32 s12, s12, 0
	s_mul_i32 s12, s12, s50
	s_mul_hi_u32 s13, s9, s50
	s_add_i32 s13, s13, s12
	s_mul_i32 s9, s9, s50
	s_add_u32 s12, s9, s11
	s_addc_u32 s13, s13, 0
	s_lshl_b64 s[12:13], s[12:13], 2
	s_add_u32 s14, s46, s12
	s_addc_u32 s15, s47, s13
	s_add_u32 s12, s44, s12
	s_addc_u32 s13, s45, s13
	global_store_dword v39, v19, s[14:15]
	global_store_dword v39, v6, s[12:13]
.LBB638_209:
	s_or_b64 exec, exec, s[6:7]
	v_lshl_or_b32 v30, v50, 9, v18
	s_waitcnt lgkmcnt(0)
	s_barrier
	s_load_dword s6, s[42:43], 0x0
	ds_read_b128 v[2:5], v30
	ds_read_b128 v[6:9], v30 offset:16
	ds_read_b128 v[10:13], v30 offset:2048
	;; [unrolled: 1-line block ×7, first 2 shown]
	v_mov_b32_e32 v35, 0x80
	v_mov_b32_e32 v43, 0x140
	s_mov_b64 s[14:15], -1
	s_waitcnt lgkmcnt(0)
	s_mov_b32 s7, s6
	s_mov_b32 s12, s6
	;; [unrolled: 1-line block ×3, first 2 shown]
	s_movk_i32 s9, 0x80
	s_movk_i32 s22, 0x7f
	s_mov_b32 s23, 0xffffff
	v_bfrev_b32_e32 v45, 60
	s_branch .LBB638_213
.LBB638_210:                            ;   in Loop: Header=BB638_213 Depth=1
	s_or_b64 exec, exec, s[20:21]
.LBB638_211:                            ;   in Loop: Header=BB638_213 Depth=1
	s_or_b64 exec, exec, s[18:19]
.LBB638_212:                            ;   in Loop: Header=BB638_213 Depth=1
	s_or_b64 exec, exec, s[16:17]
	v_cvt_pkrtz_f16_f32 v46, v46, v47
	v_cvt_pkrtz_f16_f32 v47, v44, v49
	s_xor_b64 s[16:17], s[14:15], -1
	s_mov_b64 s[14:15], 0
	v_mov_b32_e32 v59, v54
	v_mfma_f32_16x16x16f16 v[60:63], v[46:47], v[30:31], v[34:37]
	s_and_b64 vcc, exec, s[16:17]
	s_nop 5
	v_cvt_pkrtz_f16_f32 v36, v48, v57
	v_cvt_pkrtz_f16_f32 v37, v42, v58
	v_mov_b32_e32 v35, v53
	v_mov_b32_e32 v58, v55
	v_mfma_f32_16x16x16f16 v[46:49], v[36:37], v[32:33], v[60:63]
	v_mov_b32_e32 v57, v56
	s_nop 7
	s_nop 1
	v_pk_mul_f32 v[46:47], v[46:47], s[6:7]
	v_pk_mul_f32 v[36:37], v[48:49], s[12:13]
	v_cvt_f16_f32_e32 v34, v46
	v_cvt_f16_f32_e32 v38, v47
	;; [unrolled: 1-line block ×4, first 2 shown]
	v_pack_b32_f16 v34, v34, v38
	v_pack_b32_f16 v36, v36, v37
	buffer_store_dword v34, v43, s[0:3], 0 offen
	buffer_store_dword v36, v43, s[0:3], 0 offen offset:4
	v_mov_b32_e32 v43, 0x148
	s_cbranch_vccnz .LBB638_595
.LBB638_213:                            ; =>This Inner Loop Header: Depth=1
	buffer_load_dword v36, v35, s[0:3], 0 offen
	buffer_load_dword v34, v35, s[0:3], 0 offen offset:4
	buffer_load_dword v40, v35, s[0:3], 0 offen offset:8
	;; [unrolled: 1-line block ×3, first 2 shown]
	v_mov_b32_e32 v35, 0
	v_mov_b32_e32 v37, 0
	s_waitcnt vmcnt(3)
	v_cmp_ne_u16_sdwa s[18:19], v36, v39 src0_sel:BYTE_0 src1_sel:DWORD
	s_and_saveexec_b64 s[16:17], s[18:19]
	s_cbranch_execz .LBB638_219
; %bb.214:                              ;   in Loop: Header=BB638_213 Depth=1
	v_cmp_ne_u16_sdwa s[20:21], v36, s9 src0_sel:BYTE_0 src1_sel:DWORD
	v_bfrev_b32_e32 v37, 1
	s_and_saveexec_b64 s[18:19], s[20:21]
	s_cbranch_execz .LBB638_218
; %bb.215:                              ;   in Loop: Header=BB638_213 Depth=1
	v_and_b32_e32 v42, 0x7f, v36
	v_cmp_ne_u32_e32 vcc, s22, v42
	v_mov_b32_e32 v37, 0x7f800001
	s_and_saveexec_b64 s[20:21], vcc
	s_cbranch_execz .LBB638_217
; %bb.216:                              ;   in Loop: Header=BB638_213 Depth=1
	v_and_b32_e32 v37, 7, v36
	v_ffbh_u32_e32 v46, v37
	v_min_u32_e32 v48, 32, v46
	v_subrev_u32_e32 v46, 28, v48
	v_lshlrev_b64 v[46:47], v46, v[36:37]
	v_lshrrev_b32_e32 v44, 3, v42
	v_sub_u32_e32 v47, 29, v48
	v_and_b32_e32 v46, 7, v46
	v_cmp_gt_u32_e32 vcc, 8, v42
	v_cndmask_b32_e32 v42, v44, v47, vcc
	v_cndmask_b32_e32 v37, v37, v46, vcc
	v_lshlrev_b32_e32 v44, 24, v36
	v_lshlrev_b32_e32 v37, 20, v37
	v_and_b32_e32 v44, 0x80000000, v44
	v_lshl_add_u32 v42, v42, 23, v45
	v_or3_b32 v37, v44, v42, v37
.LBB638_217:                            ;   in Loop: Header=BB638_213 Depth=1
	s_or_b64 exec, exec, s[20:21]
.LBB638_218:                            ;   in Loop: Header=BB638_213 Depth=1
	s_or_b64 exec, exec, s[18:19]
.LBB638_219:                            ;   in Loop: Header=BB638_213 Depth=1
	s_or_b64 exec, exec, s[16:17]
	v_lshrrev_b16_e32 v42, 8, v36
	v_cmp_ne_u16_e32 vcc, 0, v42
	s_and_saveexec_b64 s[16:17], vcc
	s_cbranch_execz .LBB638_225
; %bb.220:                              ;   in Loop: Header=BB638_213 Depth=1
	v_cmp_ne_u16_e32 vcc, s9, v42
	v_bfrev_b32_e32 v35, 1
	s_and_saveexec_b64 s[18:19], vcc
	s_cbranch_execz .LBB638_224
; %bb.221:                              ;   in Loop: Header=BB638_213 Depth=1
	v_and_b32_e32 v44, 0x7f, v42
	v_cmp_ne_u32_e32 vcc, s22, v44
	v_mov_b32_e32 v35, 0x7f800001
	s_and_saveexec_b64 s[20:21], vcc
	s_cbranch_execz .LBB638_223
; %bb.222:                              ;   in Loop: Header=BB638_213 Depth=1
	v_and_b32_e32 v35, 7, v42
	v_ffbh_u32_e32 v46, v35
	v_min_u32_e32 v49, 32, v46
	v_subrev_u32_e32 v46, 28, v49
	v_lshlrev_b64 v[46:47], v46, v[42:43]
	v_lshrrev_b32_e32 v48, 3, v44
	v_sub_u32_e32 v42, 29, v49
	v_and_b32_e32 v46, 7, v46
	v_cmp_gt_u32_e32 vcc, 8, v44
	v_cndmask_b32_e32 v42, v48, v42, vcc
	v_cndmask_b32_e32 v35, v35, v46, vcc
	v_lshlrev_b32_e32 v44, 16, v36
	v_lshlrev_b32_e32 v35, 20, v35
	v_and_b32_e32 v44, 0x80000000, v44
	v_lshl_add_u32 v42, v42, 23, v45
	v_or3_b32 v35, v44, v42, v35
.LBB638_223:                            ;   in Loop: Header=BB638_213 Depth=1
	s_or_b64 exec, exec, s[20:21]
.LBB638_224:                            ;   in Loop: Header=BB638_213 Depth=1
	s_or_b64 exec, exec, s[18:19]
.LBB638_225:                            ;   in Loop: Header=BB638_213 Depth=1
	s_or_b64 exec, exec, s[16:17]
	v_lshrrev_b32_e32 v42, 16, v36
	v_cmp_ne_u16_sdwa s[18:19], v42, v39 src0_sel:BYTE_0 src1_sel:DWORD
	v_mov_b32_e32 v46, 0
	v_mov_b32_e32 v44, 0
	s_and_saveexec_b64 s[16:17], s[18:19]
	s_cbranch_execz .LBB638_231
; %bb.226:                              ;   in Loop: Header=BB638_213 Depth=1
	v_cmp_ne_u16_sdwa s[20:21], v42, s9 src0_sel:BYTE_0 src1_sel:DWORD
	v_bfrev_b32_e32 v44, 1
	s_and_saveexec_b64 s[18:19], s[20:21]
	s_cbranch_execz .LBB638_230
; %bb.227:                              ;   in Loop: Header=BB638_213 Depth=1
	v_bfe_u32 v47, v36, 16, 7
	v_cmp_ne_u32_e32 vcc, s22, v47
	v_mov_b32_e32 v44, 0x7f800001
	s_and_saveexec_b64 s[20:21], vcc
	s_cbranch_execz .LBB638_229
; %bb.228:                              ;   in Loop: Header=BB638_213 Depth=1
	v_and_b32_e32 v44, 7, v42
	v_ffbh_u32_e32 v48, v44
	v_min_u32_e32 v61, 32, v48
	v_subrev_u32_e32 v48, 28, v61
	v_lshlrev_b64 v[48:49], v48, v[42:43]
	v_lshrrev_b32_e32 v60, 3, v47
	v_sub_u32_e32 v49, 29, v61
	v_and_b32_e32 v48, 7, v48
	v_cmp_gt_u32_e32 vcc, 8, v47
	v_cndmask_b32_e32 v47, v60, v49, vcc
	v_cndmask_b32_e32 v44, v44, v48, vcc
	v_lshlrev_b32_e32 v42, 24, v42
	v_lshlrev_b32_e32 v44, 20, v44
	v_and_b32_e32 v42, 0x80000000, v42
	v_lshl_add_u32 v47, v47, 23, v45
	v_or3_b32 v44, v42, v47, v44
.LBB638_229:                            ;   in Loop: Header=BB638_213 Depth=1
	s_or_b64 exec, exec, s[20:21]
.LBB638_230:                            ;   in Loop: Header=BB638_213 Depth=1
	s_or_b64 exec, exec, s[18:19]
.LBB638_231:                            ;   in Loop: Header=BB638_213 Depth=1
	s_or_b64 exec, exec, s[16:17]
	v_cmp_lt_u32_e32 vcc, s23, v36
	s_and_saveexec_b64 s[16:17], vcc
	s_cbranch_execz .LBB638_237
; %bb.232:                              ;   in Loop: Header=BB638_213 Depth=1
	v_lshrrev_b32_e32 v42, 24, v36
	v_cmp_ne_u32_e32 vcc, s9, v42
	v_bfrev_b32_e32 v46, 1
	s_and_saveexec_b64 s[18:19], vcc
	s_cbranch_execz .LBB638_236
; %bb.233:                              ;   in Loop: Header=BB638_213 Depth=1
	v_bfe_u32 v36, v36, 24, 7
	v_cmp_ne_u32_e32 vcc, s22, v36
	v_mov_b32_e32 v46, 0x7f800001
	s_and_saveexec_b64 s[20:21], vcc
	s_cbranch_execz .LBB638_235
; %bb.234:                              ;   in Loop: Header=BB638_213 Depth=1
	v_and_b32_e32 v48, 7, v42
	v_ffbh_u32_e32 v46, v48
	v_min_u32_e32 v60, 32, v46
	v_subrev_u32_e32 v46, 28, v60
	v_lshlrev_b64 v[46:47], v46, v[42:43]
	v_lshrrev_b32_e32 v49, 3, v36
	v_sub_u32_e32 v47, 29, v60
	v_and_b32_e32 v46, 7, v46
	v_cmp_gt_u32_e32 vcc, 8, v36
	v_cndmask_b32_e32 v36, v49, v47, vcc
	v_cndmask_b32_e32 v46, v48, v46, vcc
	v_lshlrev_b32_e32 v42, 24, v42
	v_lshlrev_b32_e32 v46, 20, v46
	v_and_b32_e32 v42, 0x80000000, v42
	v_lshl_add_u32 v36, v36, 23, v45
	v_or3_b32 v46, v42, v36, v46
.LBB638_235:                            ;   in Loop: Header=BB638_213 Depth=1
	s_or_b64 exec, exec, s[20:21]
.LBB638_236:                            ;   in Loop: Header=BB638_213 Depth=1
	s_or_b64 exec, exec, s[18:19]
.LBB638_237:                            ;   in Loop: Header=BB638_213 Depth=1
	s_or_b64 exec, exec, s[16:17]
	s_waitcnt vmcnt(2)
	v_cmp_ne_u16_sdwa s[18:19], v34, v39 src0_sel:BYTE_0 src1_sel:DWORD
	v_mov_b32_e32 v42, 0
	v_mov_b32_e32 v47, 0
	s_and_saveexec_b64 s[16:17], s[18:19]
	s_cbranch_execz .LBB638_243
; %bb.238:                              ;   in Loop: Header=BB638_213 Depth=1
	v_cmp_ne_u16_sdwa s[20:21], v34, s9 src0_sel:BYTE_0 src1_sel:DWORD
	v_bfrev_b32_e32 v47, 1
	s_and_saveexec_b64 s[18:19], s[20:21]
	s_cbranch_execz .LBB638_242
; %bb.239:                              ;   in Loop: Header=BB638_213 Depth=1
	v_and_b32_e32 v36, 0x7f, v34
	v_cmp_ne_u32_e32 vcc, s22, v36
	v_mov_b32_e32 v47, 0x7f800001
	s_and_saveexec_b64 s[20:21], vcc
	s_cbranch_execz .LBB638_241
; %bb.240:                              ;   in Loop: Header=BB638_213 Depth=1
	v_and_b32_e32 v47, 7, v34
	v_ffbh_u32_e32 v48, v47
	v_min_u32_e32 v61, 32, v48
	v_subrev_u32_e32 v48, 28, v61
	v_lshlrev_b64 v[48:49], v48, v[34:35]
	v_lshrrev_b32_e32 v60, 3, v36
	v_sub_u32_e32 v49, 29, v61
	v_and_b32_e32 v48, 7, v48
	v_cmp_gt_u32_e32 vcc, 8, v36
	v_cndmask_b32_e32 v36, v60, v49, vcc
	v_cndmask_b32_e32 v47, v47, v48, vcc
	v_lshlrev_b32_e32 v48, 24, v34
	v_lshlrev_b32_e32 v47, 20, v47
	v_and_b32_e32 v48, 0x80000000, v48
	v_lshl_add_u32 v36, v36, 23, v45
	v_or3_b32 v47, v48, v36, v47
.LBB638_241:                            ;   in Loop: Header=BB638_213 Depth=1
	s_or_b64 exec, exec, s[20:21]
.LBB638_242:                            ;   in Loop: Header=BB638_213 Depth=1
	s_or_b64 exec, exec, s[18:19]
.LBB638_243:                            ;   in Loop: Header=BB638_213 Depth=1
	s_or_b64 exec, exec, s[16:17]
	v_lshrrev_b16_e32 v36, 8, v34
	v_cmp_ne_u16_e32 vcc, 0, v36
	s_and_saveexec_b64 s[16:17], vcc
	s_cbranch_execz .LBB638_249
; %bb.244:                              ;   in Loop: Header=BB638_213 Depth=1
	v_cmp_ne_u16_e32 vcc, s9, v36
	v_bfrev_b32_e32 v42, 1
	s_and_saveexec_b64 s[18:19], vcc
	s_cbranch_execz .LBB638_248
; %bb.245:                              ;   in Loop: Header=BB638_213 Depth=1
	v_and_b32_e32 v48, 0x7f, v36
	v_cmp_ne_u32_e32 vcc, s22, v48
	v_mov_b32_e32 v42, 0x7f800001
	s_and_saveexec_b64 s[20:21], vcc
	s_cbranch_execz .LBB638_247
; %bb.246:                              ;   in Loop: Header=BB638_213 Depth=1
	v_and_b32_e32 v42, 7, v36
	v_ffbh_u32_e32 v60, v42
	v_min_u32_e32 v62, 32, v60
	v_subrev_u32_e32 v60, 28, v62
	v_lshlrev_b64 v[60:61], v60, v[36:37]
	v_lshrrev_b32_e32 v49, 3, v48
	v_sub_u32_e32 v36, 29, v62
	v_and_b32_e32 v60, 7, v60
	v_cmp_gt_u32_e32 vcc, 8, v48
	v_cndmask_b32_e32 v36, v49, v36, vcc
	v_cndmask_b32_e32 v42, v42, v60, vcc
	v_lshlrev_b32_e32 v48, 16, v34
	v_lshlrev_b32_e32 v42, 20, v42
	v_and_b32_e32 v48, 0x80000000, v48
	v_lshl_add_u32 v36, v36, 23, v45
	v_or3_b32 v42, v48, v36, v42
.LBB638_247:                            ;   in Loop: Header=BB638_213 Depth=1
	s_or_b64 exec, exec, s[20:21]
.LBB638_248:                            ;   in Loop: Header=BB638_213 Depth=1
	s_or_b64 exec, exec, s[18:19]
.LBB638_249:                            ;   in Loop: Header=BB638_213 Depth=1
	s_or_b64 exec, exec, s[16:17]
	v_lshrrev_b32_e32 v36, 16, v34
	v_cmp_ne_u16_sdwa s[18:19], v36, v39 src0_sel:BYTE_0 src1_sel:DWORD
	v_mov_b32_e32 v49, 0
	v_mov_b32_e32 v48, 0
	s_and_saveexec_b64 s[16:17], s[18:19]
	s_cbranch_execz .LBB638_255
; %bb.250:                              ;   in Loop: Header=BB638_213 Depth=1
	v_cmp_ne_u16_sdwa s[20:21], v36, s9 src0_sel:BYTE_0 src1_sel:DWORD
	v_bfrev_b32_e32 v48, 1
	s_and_saveexec_b64 s[18:19], s[20:21]
	s_cbranch_execz .LBB638_254
; %bb.251:                              ;   in Loop: Header=BB638_213 Depth=1
	v_bfe_u32 v60, v34, 16, 7
	v_cmp_ne_u32_e32 vcc, s22, v60
	v_mov_b32_e32 v48, 0x7f800001
	s_and_saveexec_b64 s[20:21], vcc
	s_cbranch_execz .LBB638_253
; %bb.252:                              ;   in Loop: Header=BB638_213 Depth=1
	v_and_b32_e32 v48, 7, v36
	v_ffbh_u32_e32 v62, v48
	v_min_u32_e32 v64, 32, v62
	v_subrev_u32_e32 v62, 28, v64
	v_lshlrev_b64 v[62:63], v62, v[36:37]
	v_lshrrev_b32_e32 v61, 3, v60
	v_sub_u32_e32 v63, 29, v64
	v_and_b32_e32 v62, 7, v62
	v_cmp_gt_u32_e32 vcc, 8, v60
	v_cndmask_b32_e32 v60, v61, v63, vcc
	v_cndmask_b32_e32 v48, v48, v62, vcc
	v_lshlrev_b32_e32 v36, 24, v36
	v_lshlrev_b32_e32 v48, 20, v48
	v_and_b32_e32 v36, 0x80000000, v36
	v_lshl_add_u32 v60, v60, 23, v45
	v_or3_b32 v48, v36, v60, v48
.LBB638_253:                            ;   in Loop: Header=BB638_213 Depth=1
	s_or_b64 exec, exec, s[20:21]
.LBB638_254:                            ;   in Loop: Header=BB638_213 Depth=1
	s_or_b64 exec, exec, s[18:19]
.LBB638_255:                            ;   in Loop: Header=BB638_213 Depth=1
	s_or_b64 exec, exec, s[16:17]
	v_cmp_lt_u32_e32 vcc, s23, v34
	s_and_saveexec_b64 s[16:17], vcc
	s_cbranch_execz .LBB638_261
; %bb.256:                              ;   in Loop: Header=BB638_213 Depth=1
	v_lshrrev_b32_e32 v36, 24, v34
	v_cmp_ne_u32_e32 vcc, s9, v36
	v_bfrev_b32_e32 v49, 1
	s_and_saveexec_b64 s[18:19], vcc
	s_cbranch_execz .LBB638_260
; %bb.257:                              ;   in Loop: Header=BB638_213 Depth=1
	v_bfe_u32 v34, v34, 24, 7
	v_cmp_ne_u32_e32 vcc, s22, v34
	v_mov_b32_e32 v49, 0x7f800001
	s_and_saveexec_b64 s[20:21], vcc
	s_cbranch_execz .LBB638_259
; %bb.258:                              ;   in Loop: Header=BB638_213 Depth=1
	v_and_b32_e32 v49, 7, v36
	v_ffbh_u32_e32 v60, v49
	v_min_u32_e32 v63, 32, v60
	v_subrev_u32_e32 v60, 28, v63
	v_lshlrev_b64 v[60:61], v60, v[36:37]
	v_lshrrev_b32_e32 v62, 3, v34
	v_sub_u32_e32 v61, 29, v63
	v_and_b32_e32 v60, 7, v60
	v_cmp_gt_u32_e32 vcc, 8, v34
	v_cndmask_b32_e32 v34, v62, v61, vcc
	v_cndmask_b32_e32 v49, v49, v60, vcc
	v_lshlrev_b32_e32 v36, 24, v36
	v_lshlrev_b32_e32 v49, 20, v49
	v_and_b32_e32 v36, 0x80000000, v36
	v_lshl_add_u32 v34, v34, 23, v45
	v_or3_b32 v49, v36, v34, v49
.LBB638_259:                            ;   in Loop: Header=BB638_213 Depth=1
	s_or_b64 exec, exec, s[20:21]
.LBB638_260:                            ;   in Loop: Header=BB638_213 Depth=1
	s_or_b64 exec, exec, s[18:19]
.LBB638_261:                            ;   in Loop: Header=BB638_213 Depth=1
	s_or_b64 exec, exec, s[16:17]
	v_cvt_pkrtz_f16_f32 v34, v37, v35
	v_cvt_pkrtz_f16_f32 v35, v44, v46
	;; [unrolled: 1-line block ×4, first 2 shown]
	v_mov_b32_e32 v44, 0
	v_mfma_f32_16x16x16f16 v[34:37], v[34:35], v[2:3], 0
	s_waitcnt vmcnt(1)
	v_cmp_ne_u16_sdwa s[18:19], v40, v39 src0_sel:BYTE_0 src1_sel:DWORD
	v_mov_b32_e32 v46, 0
	v_mfma_f32_16x16x16f16 v[34:37], v[60:61], v[4:5], v[34:37]
	s_and_saveexec_b64 s[16:17], s[18:19]
	s_cbranch_execz .LBB638_267
; %bb.262:                              ;   in Loop: Header=BB638_213 Depth=1
	v_cmp_ne_u16_sdwa s[20:21], v40, s9 src0_sel:BYTE_0 src1_sel:DWORD
	v_bfrev_b32_e32 v46, 1
	s_and_saveexec_b64 s[18:19], s[20:21]
	s_cbranch_execz .LBB638_266
; %bb.263:                              ;   in Loop: Header=BB638_213 Depth=1
	v_and_b32_e32 v42, 0x7f, v40
	v_cmp_ne_u32_e32 vcc, s22, v42
	v_mov_b32_e32 v46, 0x7f800001
	s_and_saveexec_b64 s[20:21], vcc
	s_cbranch_execz .LBB638_265
; %bb.264:                              ;   in Loop: Header=BB638_213 Depth=1
	v_and_b32_e32 v48, 7, v40
	v_ffbh_u32_e32 v46, v48
	v_min_u32_e32 v60, 32, v46
	v_subrev_u32_e32 v46, 28, v60
	v_lshlrev_b64 v[46:47], v46, v[40:41]
	v_lshrrev_b32_e32 v49, 3, v42
	v_sub_u32_e32 v47, 29, v60
	v_and_b32_e32 v46, 7, v46
	v_cmp_gt_u32_e32 vcc, 8, v42
	v_cndmask_b32_e32 v42, v49, v47, vcc
	v_cndmask_b32_e32 v46, v48, v46, vcc
	v_lshlrev_b32_e32 v47, 24, v40
	v_lshlrev_b32_e32 v46, 20, v46
	v_and_b32_e32 v47, 0x80000000, v47
	v_lshl_add_u32 v42, v42, 23, v45
	v_or3_b32 v46, v47, v42, v46
.LBB638_265:                            ;   in Loop: Header=BB638_213 Depth=1
	s_or_b64 exec, exec, s[20:21]
.LBB638_266:                            ;   in Loop: Header=BB638_213 Depth=1
	s_or_b64 exec, exec, s[18:19]
.LBB638_267:                            ;   in Loop: Header=BB638_213 Depth=1
	s_or_b64 exec, exec, s[16:17]
	v_lshrrev_b16_e32 v42, 8, v40
	v_cmp_ne_u16_e32 vcc, 0, v42
	v_mov_b32_e32 v48, 0
	s_and_saveexec_b64 s[16:17], vcc
	s_cbranch_execz .LBB638_273
; %bb.268:                              ;   in Loop: Header=BB638_213 Depth=1
	v_cmp_ne_u16_e32 vcc, s9, v42
	v_bfrev_b32_e32 v48, 1
	s_and_saveexec_b64 s[18:19], vcc
	s_cbranch_execz .LBB638_272
; %bb.269:                              ;   in Loop: Header=BB638_213 Depth=1
	v_and_b32_e32 v47, 0x7f, v42
	v_cmp_ne_u32_e32 vcc, s22, v47
	v_mov_b32_e32 v48, 0x7f800001
	s_and_saveexec_b64 s[20:21], vcc
	s_cbranch_execz .LBB638_271
; %bb.270:                              ;   in Loop: Header=BB638_213 Depth=1
	v_and_b32_e32 v60, 7, v42
	v_ffbh_u32_e32 v48, v60
	v_min_u32_e32 v62, 32, v48
	v_subrev_u32_e32 v48, 28, v62
	v_lshlrev_b64 v[48:49], v48, v[42:43]
	v_lshrrev_b32_e32 v61, 3, v47
	v_sub_u32_e32 v42, 29, v62
	v_and_b32_e32 v48, 7, v48
	v_cmp_gt_u32_e32 vcc, 8, v47
	v_cndmask_b32_e32 v42, v61, v42, vcc
	v_cndmask_b32_e32 v47, v60, v48, vcc
	v_lshlrev_b32_e32 v48, 16, v40
	v_lshlrev_b32_e32 v47, 20, v47
	v_and_b32_e32 v48, 0x80000000, v48
	v_lshl_add_u32 v42, v42, 23, v45
	v_or3_b32 v48, v48, v42, v47
.LBB638_271:                            ;   in Loop: Header=BB638_213 Depth=1
	s_or_b64 exec, exec, s[20:21]
.LBB638_272:                            ;   in Loop: Header=BB638_213 Depth=1
	s_or_b64 exec, exec, s[18:19]
.LBB638_273:                            ;   in Loop: Header=BB638_213 Depth=1
	s_or_b64 exec, exec, s[16:17]
	v_lshrrev_b32_e32 v42, 16, v40
	v_cmp_ne_u16_sdwa s[18:19], v42, v39 src0_sel:BYTE_0 src1_sel:DWORD
	s_and_saveexec_b64 s[16:17], s[18:19]
	s_cbranch_execz .LBB638_279
; %bb.274:                              ;   in Loop: Header=BB638_213 Depth=1
	v_cmp_ne_u16_sdwa s[20:21], v42, s9 src0_sel:BYTE_0 src1_sel:DWORD
	v_bfrev_b32_e32 v44, 1
	s_and_saveexec_b64 s[18:19], s[20:21]
	s_cbranch_execz .LBB638_278
; %bb.275:                              ;   in Loop: Header=BB638_213 Depth=1
	v_bfe_u32 v47, v40, 16, 7
	v_cmp_ne_u32_e32 vcc, s22, v47
	v_mov_b32_e32 v44, 0x7f800001
	s_and_saveexec_b64 s[20:21], vcc
	s_cbranch_execz .LBB638_277
; %bb.276:                              ;   in Loop: Header=BB638_213 Depth=1
	v_and_b32_e32 v44, 7, v42
	v_ffbh_u32_e32 v60, v44
	v_min_u32_e32 v62, 32, v60
	v_subrev_u32_e32 v60, 28, v62
	v_lshlrev_b64 v[60:61], v60, v[42:43]
	v_lshrrev_b32_e32 v49, 3, v47
	v_sub_u32_e32 v61, 29, v62
	v_and_b32_e32 v60, 7, v60
	v_cmp_gt_u32_e32 vcc, 8, v47
	v_cndmask_b32_e32 v47, v49, v61, vcc
	v_cndmask_b32_e32 v44, v44, v60, vcc
	v_lshlrev_b32_e32 v42, 24, v42
	v_lshlrev_b32_e32 v44, 20, v44
	v_and_b32_e32 v42, 0x80000000, v42
	v_lshl_add_u32 v47, v47, 23, v45
	v_or3_b32 v44, v42, v47, v44
.LBB638_277:                            ;   in Loop: Header=BB638_213 Depth=1
	s_or_b64 exec, exec, s[20:21]
.LBB638_278:                            ;   in Loop: Header=BB638_213 Depth=1
	s_or_b64 exec, exec, s[18:19]
.LBB638_279:                            ;   in Loop: Header=BB638_213 Depth=1
	s_or_b64 exec, exec, s[16:17]
	v_cmp_lt_u32_e32 vcc, s23, v40
	v_mov_b32_e32 v49, 0
	v_mov_b32_e32 v60, 0
	s_and_saveexec_b64 s[16:17], vcc
	s_cbranch_execz .LBB638_285
; %bb.280:                              ;   in Loop: Header=BB638_213 Depth=1
	v_lshrrev_b32_e32 v42, 24, v40
	v_cmp_ne_u32_e32 vcc, s9, v42
	v_bfrev_b32_e32 v60, 1
	s_and_saveexec_b64 s[18:19], vcc
	s_cbranch_execz .LBB638_284
; %bb.281:                              ;   in Loop: Header=BB638_213 Depth=1
	v_bfe_u32 v40, v40, 24, 7
	v_cmp_ne_u32_e32 vcc, s22, v40
	v_mov_b32_e32 v60, 0x7f800001
	s_and_saveexec_b64 s[20:21], vcc
	s_cbranch_execz .LBB638_283
; %bb.282:                              ;   in Loop: Header=BB638_213 Depth=1
	v_and_b32_e32 v47, 7, v42
	v_ffbh_u32_e32 v60, v47
	v_min_u32_e32 v63, 32, v60
	v_subrev_u32_e32 v60, 28, v63
	v_lshlrev_b64 v[60:61], v60, v[42:43]
	v_lshrrev_b32_e32 v62, 3, v40
	v_sub_u32_e32 v61, 29, v63
	v_and_b32_e32 v60, 7, v60
	v_cmp_gt_u32_e32 vcc, 8, v40
	v_cndmask_b32_e32 v40, v62, v61, vcc
	v_cndmask_b32_e32 v47, v47, v60, vcc
	v_lshlrev_b32_e32 v42, 24, v42
	v_lshlrev_b32_e32 v47, 20, v47
	v_and_b32_e32 v42, 0x80000000, v42
	v_lshl_add_u32 v40, v40, 23, v45
	v_or3_b32 v60, v42, v40, v47
.LBB638_283:                            ;   in Loop: Header=BB638_213 Depth=1
	s_or_b64 exec, exec, s[20:21]
.LBB638_284:                            ;   in Loop: Header=BB638_213 Depth=1
	s_or_b64 exec, exec, s[18:19]
.LBB638_285:                            ;   in Loop: Header=BB638_213 Depth=1
	s_or_b64 exec, exec, s[16:17]
	s_waitcnt vmcnt(0)
	v_cmp_ne_u16_sdwa s[18:19], v38, v39 src0_sel:BYTE_0 src1_sel:DWORD
	s_and_saveexec_b64 s[16:17], s[18:19]
	s_cbranch_execz .LBB638_291
; %bb.286:                              ;   in Loop: Header=BB638_213 Depth=1
	v_cmp_ne_u16_sdwa s[20:21], v38, s9 src0_sel:BYTE_0 src1_sel:DWORD
	v_bfrev_b32_e32 v49, 1
	s_and_saveexec_b64 s[18:19], s[20:21]
	s_cbranch_execz .LBB638_290
; %bb.287:                              ;   in Loop: Header=BB638_213 Depth=1
	v_and_b32_e32 v40, 0x7f, v38
	v_cmp_ne_u32_e32 vcc, s22, v40
	v_mov_b32_e32 v49, 0x7f800001
	s_and_saveexec_b64 s[20:21], vcc
	s_cbranch_execz .LBB638_289
; %bb.288:                              ;   in Loop: Header=BB638_213 Depth=1
	v_and_b32_e32 v42, 7, v38
	v_ffbh_u32_e32 v49, v42
	v_min_u32_e32 v49, 32, v49
	v_subrev_u32_e32 v61, 28, v49
	v_lshlrev_b64 v[62:63], v61, v[38:39]
	v_lshrrev_b32_e32 v47, 3, v40
	v_sub_u32_e32 v49, 29, v49
	v_and_b32_e32 v61, 7, v62
	v_cmp_gt_u32_e32 vcc, 8, v40
	v_cndmask_b32_e32 v40, v47, v49, vcc
	v_cndmask_b32_e32 v42, v42, v61, vcc
	v_lshlrev_b32_e32 v47, 24, v38
	v_lshlrev_b32_e32 v42, 20, v42
	v_and_b32_e32 v47, 0x80000000, v47
	v_lshl_add_u32 v40, v40, 23, v45
	v_or3_b32 v49, v47, v40, v42
.LBB638_289:                            ;   in Loop: Header=BB638_213 Depth=1
	s_or_b64 exec, exec, s[20:21]
.LBB638_290:                            ;   in Loop: Header=BB638_213 Depth=1
	s_or_b64 exec, exec, s[18:19]
.LBB638_291:                            ;   in Loop: Header=BB638_213 Depth=1
	s_or_b64 exec, exec, s[16:17]
	v_lshrrev_b16_e32 v40, 8, v38
	v_cmp_ne_u16_e32 vcc, 0, v40
	v_mov_b32_e32 v61, 0
	v_mov_b32_e32 v62, 0
	s_and_saveexec_b64 s[16:17], vcc
	s_cbranch_execz .LBB638_297
; %bb.292:                              ;   in Loop: Header=BB638_213 Depth=1
	v_cmp_ne_u16_e32 vcc, s9, v40
	v_bfrev_b32_e32 v62, 1
	s_and_saveexec_b64 s[18:19], vcc
	s_cbranch_execz .LBB638_296
; %bb.293:                              ;   in Loop: Header=BB638_213 Depth=1
	v_and_b32_e32 v42, 0x7f, v40
	v_cmp_ne_u32_e32 vcc, s22, v42
	v_mov_b32_e32 v62, 0x7f800001
	s_and_saveexec_b64 s[20:21], vcc
	s_cbranch_execz .LBB638_295
; %bb.294:                              ;   in Loop: Header=BB638_213 Depth=1
	v_and_b32_e32 v47, 7, v40
	v_ffbh_u32_e32 v62, v47
	v_min_u32_e32 v65, 32, v62
	v_subrev_u32_e32 v62, 28, v65
	v_lshlrev_b64 v[62:63], v62, v[40:41]
	v_lshrrev_b32_e32 v64, 3, v42
	v_sub_u32_e32 v40, 29, v65
	v_and_b32_e32 v62, 7, v62
	v_cmp_gt_u32_e32 vcc, 8, v42
	v_cndmask_b32_e32 v40, v64, v40, vcc
	v_cndmask_b32_e32 v42, v47, v62, vcc
	v_lshlrev_b32_e32 v47, 16, v38
	v_lshlrev_b32_e32 v42, 20, v42
	v_and_b32_e32 v47, 0x80000000, v47
	v_lshl_add_u32 v40, v40, 23, v45
	v_or3_b32 v62, v47, v40, v42
.LBB638_295:                            ;   in Loop: Header=BB638_213 Depth=1
	s_or_b64 exec, exec, s[20:21]
.LBB638_296:                            ;   in Loop: Header=BB638_213 Depth=1
	s_or_b64 exec, exec, s[18:19]
.LBB638_297:                            ;   in Loop: Header=BB638_213 Depth=1
	s_or_b64 exec, exec, s[16:17]
	v_lshrrev_b32_e32 v40, 16, v38
	v_cmp_ne_u16_sdwa s[18:19], v40, v39 src0_sel:BYTE_0 src1_sel:DWORD
	s_and_saveexec_b64 s[16:17], s[18:19]
	s_cbranch_execz .LBB638_303
; %bb.298:                              ;   in Loop: Header=BB638_213 Depth=1
	v_cmp_ne_u16_sdwa s[20:21], v40, s9 src0_sel:BYTE_0 src1_sel:DWORD
	v_bfrev_b32_e32 v61, 1
	s_and_saveexec_b64 s[18:19], s[20:21]
	s_cbranch_execz .LBB638_302
; %bb.299:                              ;   in Loop: Header=BB638_213 Depth=1
	v_bfe_u32 v42, v38, 16, 7
	v_cmp_ne_u32_e32 vcc, s22, v42
	v_mov_b32_e32 v61, 0x7f800001
	s_and_saveexec_b64 s[20:21], vcc
	s_cbranch_execz .LBB638_301
; %bb.300:                              ;   in Loop: Header=BB638_213 Depth=1
	v_and_b32_e32 v47, 7, v40
	v_ffbh_u32_e32 v63, v47
	v_min_u32_e32 v63, 32, v63
	v_subrev_u32_e32 v64, 28, v63
	v_lshlrev_b64 v[64:65], v64, v[40:41]
	v_lshrrev_b32_e32 v61, 3, v42
	v_sub_u32_e32 v63, 29, v63
	v_and_b32_e32 v64, 7, v64
	v_cmp_gt_u32_e32 vcc, 8, v42
	v_cndmask_b32_e32 v42, v61, v63, vcc
	v_cndmask_b32_e32 v47, v47, v64, vcc
	v_lshlrev_b32_e32 v40, 24, v40
	v_lshlrev_b32_e32 v47, 20, v47
	v_and_b32_e32 v40, 0x80000000, v40
	v_lshl_add_u32 v42, v42, 23, v45
	v_or3_b32 v61, v40, v42, v47
.LBB638_301:                            ;   in Loop: Header=BB638_213 Depth=1
	s_or_b64 exec, exec, s[20:21]
.LBB638_302:                            ;   in Loop: Header=BB638_213 Depth=1
	s_or_b64 exec, exec, s[18:19]
.LBB638_303:                            ;   in Loop: Header=BB638_213 Depth=1
	s_or_b64 exec, exec, s[16:17]
	v_cmp_lt_u32_e32 vcc, s23, v38
	v_mov_b32_e32 v47, 0
	v_mov_b32_e32 v63, 0
	s_and_saveexec_b64 s[16:17], vcc
	s_cbranch_execz .LBB638_309
; %bb.304:                              ;   in Loop: Header=BB638_213 Depth=1
	v_lshrrev_b32_e32 v40, 24, v38
	v_cmp_ne_u32_e32 vcc, s9, v40
	v_bfrev_b32_e32 v63, 1
	s_and_saveexec_b64 s[18:19], vcc
	s_cbranch_execz .LBB638_308
; %bb.305:                              ;   in Loop: Header=BB638_213 Depth=1
	v_bfe_u32 v38, v38, 24, 7
	v_cmp_ne_u32_e32 vcc, s22, v38
	v_mov_b32_e32 v63, 0x7f800001
	s_and_saveexec_b64 s[20:21], vcc
	s_cbranch_execz .LBB638_307
; %bb.306:                              ;   in Loop: Header=BB638_213 Depth=1
	v_and_b32_e32 v42, 7, v40
	v_ffbh_u32_e32 v64, v42
	v_min_u32_e32 v66, 32, v64
	v_subrev_u32_e32 v64, 28, v66
	v_lshlrev_b64 v[64:65], v64, v[40:41]
	v_lshrrev_b32_e32 v63, 3, v38
	v_sub_u32_e32 v65, 29, v66
	v_and_b32_e32 v64, 7, v64
	v_cmp_gt_u32_e32 vcc, 8, v38
	v_cndmask_b32_e32 v38, v63, v65, vcc
	v_cndmask_b32_e32 v42, v42, v64, vcc
	v_lshlrev_b32_e32 v40, 24, v40
	v_lshlrev_b32_e32 v42, 20, v42
	v_and_b32_e32 v40, 0x80000000, v40
	v_lshl_add_u32 v38, v38, 23, v45
	v_or3_b32 v63, v40, v38, v42
.LBB638_307:                            ;   in Loop: Header=BB638_213 Depth=1
	s_or_b64 exec, exec, s[20:21]
.LBB638_308:                            ;   in Loop: Header=BB638_213 Depth=1
	s_or_b64 exec, exec, s[18:19]
.LBB638_309:                            ;   in Loop: Header=BB638_213 Depth=1
	s_or_b64 exec, exec, s[16:17]
	v_cvt_pkrtz_f16_f32 v65, v44, v60
	buffer_load_dword v44, v59, s[0:3], 0 offen
	buffer_load_dword v42, v59, s[0:3], 0 offen offset:4
	buffer_load_dword v40, v59, s[0:3], 0 offen offset:8
	buffer_load_dword v38, v59, s[0:3], 0 offen offset:12
	v_cvt_pkrtz_f16_f32 v64, v46, v48
	v_cvt_pkrtz_f16_f32 v48, v49, v62
	;; [unrolled: 1-line block ×3, first 2 shown]
	v_mfma_f32_16x16x16f16 v[34:37], v[64:65], v[6:7], v[34:37]
	s_waitcnt vmcnt(3)
	v_cmp_ne_u16_sdwa s[18:19], v44, v39 src0_sel:BYTE_0 src1_sel:DWORD
	v_mfma_f32_16x16x16f16 v[34:37], v[48:49], v[8:9], v[34:37]
	s_and_saveexec_b64 s[16:17], s[18:19]
	s_cbranch_execz .LBB638_315
; %bb.310:                              ;   in Loop: Header=BB638_213 Depth=1
	v_cmp_ne_u16_sdwa s[20:21], v44, s9 src0_sel:BYTE_0 src1_sel:DWORD
	v_bfrev_b32_e32 v47, 1
	s_and_saveexec_b64 s[18:19], s[20:21]
	s_cbranch_execz .LBB638_314
; %bb.311:                              ;   in Loop: Header=BB638_213 Depth=1
	v_and_b32_e32 v46, 0x7f, v44
	v_cmp_ne_u32_e32 vcc, s22, v46
	v_mov_b32_e32 v47, 0x7f800001
	s_and_saveexec_b64 s[20:21], vcc
	s_cbranch_execz .LBB638_313
; %bb.312:                              ;   in Loop: Header=BB638_213 Depth=1
	v_and_b32_e32 v47, 7, v44
	v_ffbh_u32_e32 v48, v47
	v_min_u32_e32 v60, 32, v48
	v_subrev_u32_e32 v48, 28, v60
	v_lshlrev_b64 v[48:49], v48, v[44:45]
	v_lshrrev_b32_e32 v59, 3, v46
	v_sub_u32_e32 v49, 29, v60
	v_and_b32_e32 v48, 7, v48
	v_cmp_gt_u32_e32 vcc, 8, v46
	v_cndmask_b32_e32 v46, v59, v49, vcc
	v_cndmask_b32_e32 v47, v47, v48, vcc
	v_lshlrev_b32_e32 v48, 24, v44
	v_lshlrev_b32_e32 v47, 20, v47
	v_and_b32_e32 v48, 0x80000000, v48
	v_lshl_add_u32 v46, v46, 23, v45
	v_or3_b32 v47, v48, v46, v47
.LBB638_313:                            ;   in Loop: Header=BB638_213 Depth=1
	s_or_b64 exec, exec, s[20:21]
.LBB638_314:                            ;   in Loop: Header=BB638_213 Depth=1
	s_or_b64 exec, exec, s[18:19]
.LBB638_315:                            ;   in Loop: Header=BB638_213 Depth=1
	s_or_b64 exec, exec, s[16:17]
	v_lshrrev_b16_e32 v46, 8, v44
	v_cmp_ne_u16_e32 vcc, 0, v46
	v_mov_b32_e32 v48, 0
	v_mov_b32_e32 v49, 0
	s_and_saveexec_b64 s[16:17], vcc
	s_cbranch_execz .LBB638_321
; %bb.316:                              ;   in Loop: Header=BB638_213 Depth=1
	v_cmp_ne_u16_e32 vcc, s9, v46
	v_bfrev_b32_e32 v49, 1
	s_and_saveexec_b64 s[18:19], vcc
	s_cbranch_execz .LBB638_320
; %bb.317:                              ;   in Loop: Header=BB638_213 Depth=1
	v_and_b32_e32 v59, 0x7f, v46
	v_cmp_ne_u32_e32 vcc, s22, v59
	v_mov_b32_e32 v49, 0x7f800001
	s_and_saveexec_b64 s[20:21], vcc
	s_cbranch_execz .LBB638_319
; %bb.318:                              ;   in Loop: Header=BB638_213 Depth=1
	v_and_b32_e32 v49, 7, v46
	v_ffbh_u32_e32 v60, v49
	v_min_u32_e32 v63, 32, v60
	v_subrev_u32_e32 v60, 28, v63
	v_lshlrev_b64 v[60:61], v60, v[46:47]
	v_lshrrev_b32_e32 v62, 3, v59
	v_sub_u32_e32 v46, 29, v63
	v_and_b32_e32 v60, 7, v60
	v_cmp_gt_u32_e32 vcc, 8, v59
	v_cndmask_b32_e32 v46, v62, v46, vcc
	v_cndmask_b32_e32 v49, v49, v60, vcc
	v_lshlrev_b32_e32 v59, 16, v44
	v_lshlrev_b32_e32 v49, 20, v49
	v_and_b32_e32 v59, 0x80000000, v59
	v_lshl_add_u32 v46, v46, 23, v45
	v_or3_b32 v49, v59, v46, v49
.LBB638_319:                            ;   in Loop: Header=BB638_213 Depth=1
	s_or_b64 exec, exec, s[20:21]
.LBB638_320:                            ;   in Loop: Header=BB638_213 Depth=1
	s_or_b64 exec, exec, s[18:19]
.LBB638_321:                            ;   in Loop: Header=BB638_213 Depth=1
	s_or_b64 exec, exec, s[16:17]
	v_lshrrev_b32_e32 v46, 16, v44
	v_cmp_ne_u16_sdwa s[18:19], v46, v39 src0_sel:BYTE_0 src1_sel:DWORD
	s_and_saveexec_b64 s[16:17], s[18:19]
	s_cbranch_execz .LBB638_327
; %bb.322:                              ;   in Loop: Header=BB638_213 Depth=1
	v_cmp_ne_u16_sdwa s[20:21], v46, s9 src0_sel:BYTE_0 src1_sel:DWORD
	v_bfrev_b32_e32 v48, 1
	s_and_saveexec_b64 s[18:19], s[20:21]
	s_cbranch_execz .LBB638_326
; %bb.323:                              ;   in Loop: Header=BB638_213 Depth=1
	v_bfe_u32 v59, v44, 16, 7
	v_cmp_ne_u32_e32 vcc, s22, v59
	v_mov_b32_e32 v48, 0x7f800001
	s_and_saveexec_b64 s[20:21], vcc
	s_cbranch_execz .LBB638_325
; %bb.324:                              ;   in Loop: Header=BB638_213 Depth=1
	v_and_b32_e32 v48, 7, v46
	v_ffbh_u32_e32 v60, v48
	v_min_u32_e32 v63, 32, v60
	v_subrev_u32_e32 v60, 28, v63
	v_lshlrev_b64 v[60:61], v60, v[46:47]
	v_lshrrev_b32_e32 v62, 3, v59
	v_sub_u32_e32 v61, 29, v63
	v_and_b32_e32 v60, 7, v60
	v_cmp_gt_u32_e32 vcc, 8, v59
	v_cndmask_b32_e32 v59, v62, v61, vcc
	v_cndmask_b32_e32 v48, v48, v60, vcc
	v_lshlrev_b32_e32 v46, 24, v46
	v_lshlrev_b32_e32 v48, 20, v48
	v_and_b32_e32 v46, 0x80000000, v46
	v_lshl_add_u32 v59, v59, 23, v45
	v_or3_b32 v48, v46, v59, v48
.LBB638_325:                            ;   in Loop: Header=BB638_213 Depth=1
	s_or_b64 exec, exec, s[20:21]
.LBB638_326:                            ;   in Loop: Header=BB638_213 Depth=1
	s_or_b64 exec, exec, s[18:19]
.LBB638_327:                            ;   in Loop: Header=BB638_213 Depth=1
	s_or_b64 exec, exec, s[16:17]
	v_cmp_lt_u32_e32 vcc, s23, v44
	v_mov_b32_e32 v59, 0
	v_mov_b32_e32 v60, 0
	s_and_saveexec_b64 s[16:17], vcc
	s_cbranch_execz .LBB638_333
; %bb.328:                              ;   in Loop: Header=BB638_213 Depth=1
	v_lshrrev_b32_e32 v46, 24, v44
	v_cmp_ne_u32_e32 vcc, s9, v46
	v_bfrev_b32_e32 v60, 1
	s_and_saveexec_b64 s[18:19], vcc
	s_cbranch_execz .LBB638_332
; %bb.329:                              ;   in Loop: Header=BB638_213 Depth=1
	v_bfe_u32 v44, v44, 24, 7
	v_cmp_ne_u32_e32 vcc, s22, v44
	v_mov_b32_e32 v60, 0x7f800001
	s_and_saveexec_b64 s[20:21], vcc
	s_cbranch_execz .LBB638_331
; %bb.330:                              ;   in Loop: Header=BB638_213 Depth=1
	v_and_b32_e32 v62, 7, v46
	v_ffbh_u32_e32 v60, v62
	v_min_u32_e32 v64, 32, v60
	v_subrev_u32_e32 v60, 28, v64
	v_lshlrev_b64 v[60:61], v60, v[46:47]
	v_lshrrev_b32_e32 v63, 3, v44
	v_sub_u32_e32 v61, 29, v64
	v_and_b32_e32 v60, 7, v60
	v_cmp_gt_u32_e32 vcc, 8, v44
	v_cndmask_b32_e32 v44, v63, v61, vcc
	v_cndmask_b32_e32 v60, v62, v60, vcc
	v_lshlrev_b32_e32 v46, 24, v46
	v_lshlrev_b32_e32 v60, 20, v60
	v_and_b32_e32 v46, 0x80000000, v46
	v_lshl_add_u32 v44, v44, 23, v45
	v_or3_b32 v60, v46, v44, v60
.LBB638_331:                            ;   in Loop: Header=BB638_213 Depth=1
	s_or_b64 exec, exec, s[20:21]
.LBB638_332:                            ;   in Loop: Header=BB638_213 Depth=1
	s_or_b64 exec, exec, s[18:19]
.LBB638_333:                            ;   in Loop: Header=BB638_213 Depth=1
	s_or_b64 exec, exec, s[16:17]
	s_waitcnt vmcnt(2)
	v_cmp_ne_u16_sdwa s[18:19], v42, v39 src0_sel:BYTE_0 src1_sel:DWORD
	s_and_saveexec_b64 s[16:17], s[18:19]
	s_cbranch_execz .LBB638_339
; %bb.334:                              ;   in Loop: Header=BB638_213 Depth=1
	v_cmp_ne_u16_sdwa s[20:21], v42, s9 src0_sel:BYTE_0 src1_sel:DWORD
	v_bfrev_b32_e32 v59, 1
	s_and_saveexec_b64 s[18:19], s[20:21]
	s_cbranch_execz .LBB638_338
; %bb.335:                              ;   in Loop: Header=BB638_213 Depth=1
	v_and_b32_e32 v44, 0x7f, v42
	v_cmp_ne_u32_e32 vcc, s22, v44
	v_mov_b32_e32 v59, 0x7f800001
	s_and_saveexec_b64 s[20:21], vcc
	s_cbranch_execz .LBB638_337
; %bb.336:                              ;   in Loop: Header=BB638_213 Depth=1
	v_and_b32_e32 v46, 7, v42
	v_ffbh_u32_e32 v61, v46
	v_min_u32_e32 v61, 32, v61
	v_subrev_u32_e32 v62, 28, v61
	v_lshlrev_b64 v[62:63], v62, v[42:43]
	v_lshrrev_b32_e32 v59, 3, v44
	v_sub_u32_e32 v61, 29, v61
	v_and_b32_e32 v62, 7, v62
	v_cmp_gt_u32_e32 vcc, 8, v44
	v_cndmask_b32_e32 v44, v59, v61, vcc
	v_cndmask_b32_e32 v46, v46, v62, vcc
	v_lshlrev_b32_e32 v59, 24, v42
	v_lshlrev_b32_e32 v46, 20, v46
	v_and_b32_e32 v59, 0x80000000, v59
	v_lshl_add_u32 v44, v44, 23, v45
	v_or3_b32 v59, v59, v44, v46
.LBB638_337:                            ;   in Loop: Header=BB638_213 Depth=1
	s_or_b64 exec, exec, s[20:21]
.LBB638_338:                            ;   in Loop: Header=BB638_213 Depth=1
	s_or_b64 exec, exec, s[18:19]
.LBB638_339:                            ;   in Loop: Header=BB638_213 Depth=1
	s_or_b64 exec, exec, s[16:17]
	v_lshrrev_b16_e32 v44, 8, v42
	v_cmp_ne_u16_e32 vcc, 0, v44
	v_mov_b32_e32 v61, 0
	v_mov_b32_e32 v62, 0
	s_and_saveexec_b64 s[16:17], vcc
	s_cbranch_execz .LBB638_345
; %bb.340:                              ;   in Loop: Header=BB638_213 Depth=1
	v_cmp_ne_u16_e32 vcc, s9, v44
	v_bfrev_b32_e32 v62, 1
	s_and_saveexec_b64 s[18:19], vcc
	s_cbranch_execz .LBB638_344
; %bb.341:                              ;   in Loop: Header=BB638_213 Depth=1
	v_and_b32_e32 v46, 0x7f, v44
	v_cmp_ne_u32_e32 vcc, s22, v46
	v_mov_b32_e32 v62, 0x7f800001
	s_and_saveexec_b64 s[20:21], vcc
	s_cbranch_execz .LBB638_343
; %bb.342:                              ;   in Loop: Header=BB638_213 Depth=1
	v_and_b32_e32 v64, 7, v44
	v_ffbh_u32_e32 v62, v64
	v_min_u32_e32 v66, 32, v62
	v_subrev_u32_e32 v62, 28, v66
	v_lshlrev_b64 v[62:63], v62, v[44:45]
	v_lshrrev_b32_e32 v65, 3, v46
	v_sub_u32_e32 v44, 29, v66
	v_and_b32_e32 v62, 7, v62
	v_cmp_gt_u32_e32 vcc, 8, v46
	v_cndmask_b32_e32 v44, v65, v44, vcc
	v_cndmask_b32_e32 v46, v64, v62, vcc
	v_lshlrev_b32_e32 v62, 16, v42
	v_lshlrev_b32_e32 v46, 20, v46
	v_and_b32_e32 v62, 0x80000000, v62
	v_lshl_add_u32 v44, v44, 23, v45
	v_or3_b32 v62, v62, v44, v46
.LBB638_343:                            ;   in Loop: Header=BB638_213 Depth=1
	s_or_b64 exec, exec, s[20:21]
.LBB638_344:                            ;   in Loop: Header=BB638_213 Depth=1
	s_or_b64 exec, exec, s[18:19]
.LBB638_345:                            ;   in Loop: Header=BB638_213 Depth=1
	s_or_b64 exec, exec, s[16:17]
	v_lshrrev_b32_e32 v44, 16, v42
	v_cmp_ne_u16_sdwa s[18:19], v44, v39 src0_sel:BYTE_0 src1_sel:DWORD
	s_and_saveexec_b64 s[16:17], s[18:19]
	s_cbranch_execz .LBB638_351
; %bb.346:                              ;   in Loop: Header=BB638_213 Depth=1
	v_cmp_ne_u16_sdwa s[20:21], v44, s9 src0_sel:BYTE_0 src1_sel:DWORD
	v_bfrev_b32_e32 v61, 1
	s_and_saveexec_b64 s[18:19], s[20:21]
	s_cbranch_execz .LBB638_350
; %bb.347:                              ;   in Loop: Header=BB638_213 Depth=1
	v_bfe_u32 v46, v42, 16, 7
	v_cmp_ne_u32_e32 vcc, s22, v46
	v_mov_b32_e32 v61, 0x7f800001
	s_and_saveexec_b64 s[20:21], vcc
	s_cbranch_execz .LBB638_349
; %bb.348:                              ;   in Loop: Header=BB638_213 Depth=1
	v_and_b32_e32 v61, 7, v44
	v_ffbh_u32_e32 v64, v61
	v_min_u32_e32 v66, 32, v64
	v_subrev_u32_e32 v64, 28, v66
	v_lshlrev_b64 v[64:65], v64, v[44:45]
	v_lshrrev_b32_e32 v63, 3, v46
	v_sub_u32_e32 v65, 29, v66
	v_and_b32_e32 v64, 7, v64
	v_cmp_gt_u32_e32 vcc, 8, v46
	v_cndmask_b32_e32 v46, v63, v65, vcc
	v_cndmask_b32_e32 v61, v61, v64, vcc
	v_lshlrev_b32_e32 v44, 24, v44
	v_lshlrev_b32_e32 v61, 20, v61
	v_and_b32_e32 v44, 0x80000000, v44
	v_lshl_add_u32 v46, v46, 23, v45
	v_or3_b32 v61, v44, v46, v61
.LBB638_349:                            ;   in Loop: Header=BB638_213 Depth=1
	s_or_b64 exec, exec, s[20:21]
.LBB638_350:                            ;   in Loop: Header=BB638_213 Depth=1
	s_or_b64 exec, exec, s[18:19]
.LBB638_351:                            ;   in Loop: Header=BB638_213 Depth=1
	s_or_b64 exec, exec, s[16:17]
	v_cmp_lt_u32_e32 vcc, s23, v42
	v_mov_b32_e32 v46, 0
	v_mov_b32_e32 v63, 0
	s_and_saveexec_b64 s[16:17], vcc
	s_cbranch_execz .LBB638_357
; %bb.352:                              ;   in Loop: Header=BB638_213 Depth=1
	v_lshrrev_b32_e32 v44, 24, v42
	v_cmp_ne_u32_e32 vcc, s9, v44
	v_bfrev_b32_e32 v63, 1
	s_and_saveexec_b64 s[18:19], vcc
	s_cbranch_execz .LBB638_356
; %bb.353:                              ;   in Loop: Header=BB638_213 Depth=1
	v_bfe_u32 v42, v42, 24, 7
	v_cmp_ne_u32_e32 vcc, s22, v42
	v_mov_b32_e32 v63, 0x7f800001
	s_and_saveexec_b64 s[20:21], vcc
	s_cbranch_execz .LBB638_355
; %bb.354:                              ;   in Loop: Header=BB638_213 Depth=1
	v_and_b32_e32 v63, 7, v44
	v_ffbh_u32_e32 v64, v63
	v_min_u32_e32 v67, 32, v64
	v_subrev_u32_e32 v64, 28, v67
	v_lshlrev_b64 v[64:65], v64, v[44:45]
	v_lshrrev_b32_e32 v66, 3, v42
	v_sub_u32_e32 v65, 29, v67
	v_and_b32_e32 v64, 7, v64
	v_cmp_gt_u32_e32 vcc, 8, v42
	v_cndmask_b32_e32 v42, v66, v65, vcc
	v_cndmask_b32_e32 v63, v63, v64, vcc
	v_lshlrev_b32_e32 v44, 24, v44
	v_lshlrev_b32_e32 v63, 20, v63
	v_and_b32_e32 v44, 0x80000000, v44
	v_lshl_add_u32 v42, v42, 23, v45
	v_or3_b32 v63, v44, v42, v63
.LBB638_355:                            ;   in Loop: Header=BB638_213 Depth=1
	s_or_b64 exec, exec, s[20:21]
.LBB638_356:                            ;   in Loop: Header=BB638_213 Depth=1
	s_or_b64 exec, exec, s[18:19]
.LBB638_357:                            ;   in Loop: Header=BB638_213 Depth=1
	s_or_b64 exec, exec, s[16:17]
	v_cvt_pkrtz_f16_f32 v64, v47, v49
	v_cvt_pkrtz_f16_f32 v65, v48, v60
	v_cvt_pkrtz_f16_f32 v48, v59, v62
	v_cvt_pkrtz_f16_f32 v49, v61, v63
	s_waitcnt vmcnt(1)
	v_cmp_ne_u16_sdwa s[18:19], v40, v39 src0_sel:BYTE_0 src1_sel:DWORD
	v_mfma_f32_16x16x16f16 v[34:37], v[64:65], v[10:11], v[34:37]
	v_mfma_f32_16x16x16f16 v[34:37], v[48:49], v[12:13], v[34:37]
	s_and_saveexec_b64 s[16:17], s[18:19]
	s_cbranch_execz .LBB638_363
; %bb.358:                              ;   in Loop: Header=BB638_213 Depth=1
	v_cmp_ne_u16_sdwa s[20:21], v40, s9 src0_sel:BYTE_0 src1_sel:DWORD
	v_bfrev_b32_e32 v46, 1
	s_and_saveexec_b64 s[18:19], s[20:21]
	s_cbranch_execz .LBB638_362
; %bb.359:                              ;   in Loop: Header=BB638_213 Depth=1
	v_and_b32_e32 v42, 0x7f, v40
	v_cmp_ne_u32_e32 vcc, s22, v42
	v_mov_b32_e32 v46, 0x7f800001
	s_and_saveexec_b64 s[20:21], vcc
	s_cbranch_execz .LBB638_361
; %bb.360:                              ;   in Loop: Header=BB638_213 Depth=1
	v_and_b32_e32 v44, 7, v40
	v_ffbh_u32_e32 v46, v44
	v_min_u32_e32 v49, 32, v46
	v_subrev_u32_e32 v46, 28, v49
	v_lshlrev_b64 v[46:47], v46, v[40:41]
	v_lshrrev_b32_e32 v48, 3, v42
	v_sub_u32_e32 v47, 29, v49
	v_and_b32_e32 v46, 7, v46
	v_cmp_gt_u32_e32 vcc, 8, v42
	v_cndmask_b32_e32 v42, v48, v47, vcc
	v_cndmask_b32_e32 v44, v44, v46, vcc
	v_lshlrev_b32_e32 v46, 24, v40
	v_lshlrev_b32_e32 v44, 20, v44
	v_and_b32_e32 v46, 0x80000000, v46
	v_lshl_add_u32 v42, v42, 23, v45
	v_or3_b32 v46, v46, v42, v44
.LBB638_361:                            ;   in Loop: Header=BB638_213 Depth=1
	s_or_b64 exec, exec, s[20:21]
.LBB638_362:                            ;   in Loop: Header=BB638_213 Depth=1
	s_or_b64 exec, exec, s[18:19]
.LBB638_363:                            ;   in Loop: Header=BB638_213 Depth=1
	s_or_b64 exec, exec, s[16:17]
	v_lshrrev_b16_e32 v42, 8, v40
	v_cmp_ne_u16_e32 vcc, 0, v42
	v_mov_b32_e32 v44, 0
	v_mov_b32_e32 v48, 0
	s_and_saveexec_b64 s[16:17], vcc
	s_cbranch_execz .LBB638_369
; %bb.364:                              ;   in Loop: Header=BB638_213 Depth=1
	v_cmp_ne_u16_e32 vcc, s9, v42
	v_bfrev_b32_e32 v48, 1
	s_and_saveexec_b64 s[18:19], vcc
	s_cbranch_execz .LBB638_368
; %bb.365:                              ;   in Loop: Header=BB638_213 Depth=1
	v_and_b32_e32 v47, 0x7f, v42
	v_cmp_ne_u32_e32 vcc, s22, v47
	v_mov_b32_e32 v48, 0x7f800001
	s_and_saveexec_b64 s[20:21], vcc
	s_cbranch_execz .LBB638_367
; %bb.366:                              ;   in Loop: Header=BB638_213 Depth=1
	v_and_b32_e32 v59, 7, v42
	v_ffbh_u32_e32 v48, v59
	v_min_u32_e32 v61, 32, v48
	v_subrev_u32_e32 v48, 28, v61
	v_lshlrev_b64 v[48:49], v48, v[42:43]
	v_lshrrev_b32_e32 v60, 3, v47
	v_sub_u32_e32 v42, 29, v61
	v_and_b32_e32 v48, 7, v48
	v_cmp_gt_u32_e32 vcc, 8, v47
	v_cndmask_b32_e32 v42, v60, v42, vcc
	v_cndmask_b32_e32 v47, v59, v48, vcc
	v_lshlrev_b32_e32 v48, 16, v40
	v_lshlrev_b32_e32 v47, 20, v47
	v_and_b32_e32 v48, 0x80000000, v48
	v_lshl_add_u32 v42, v42, 23, v45
	v_or3_b32 v48, v48, v42, v47
.LBB638_367:                            ;   in Loop: Header=BB638_213 Depth=1
	s_or_b64 exec, exec, s[20:21]
.LBB638_368:                            ;   in Loop: Header=BB638_213 Depth=1
	s_or_b64 exec, exec, s[18:19]
.LBB638_369:                            ;   in Loop: Header=BB638_213 Depth=1
	s_or_b64 exec, exec, s[16:17]
	v_lshrrev_b32_e32 v42, 16, v40
	v_cmp_ne_u16_sdwa s[18:19], v42, v39 src0_sel:BYTE_0 src1_sel:DWORD
	s_and_saveexec_b64 s[16:17], s[18:19]
	s_cbranch_execz .LBB638_375
; %bb.370:                              ;   in Loop: Header=BB638_213 Depth=1
	v_cmp_ne_u16_sdwa s[20:21], v42, s9 src0_sel:BYTE_0 src1_sel:DWORD
	v_bfrev_b32_e32 v44, 1
	s_and_saveexec_b64 s[18:19], s[20:21]
	s_cbranch_execz .LBB638_374
; %bb.371:                              ;   in Loop: Header=BB638_213 Depth=1
	v_bfe_u32 v47, v40, 16, 7
	v_cmp_ne_u32_e32 vcc, s22, v47
	v_mov_b32_e32 v44, 0x7f800001
	s_and_saveexec_b64 s[20:21], vcc
	s_cbranch_execz .LBB638_373
; %bb.372:                              ;   in Loop: Header=BB638_213 Depth=1
	v_and_b32_e32 v44, 7, v42
	v_ffbh_u32_e32 v59, v44
	v_min_u32_e32 v59, 32, v59
	v_subrev_u32_e32 v60, 28, v59
	v_lshlrev_b64 v[60:61], v60, v[42:43]
	v_lshrrev_b32_e32 v49, 3, v47
	v_sub_u32_e32 v59, 29, v59
	v_and_b32_e32 v60, 7, v60
	v_cmp_gt_u32_e32 vcc, 8, v47
	v_cndmask_b32_e32 v47, v49, v59, vcc
	v_cndmask_b32_e32 v44, v44, v60, vcc
	v_lshlrev_b32_e32 v42, 24, v42
	v_lshlrev_b32_e32 v44, 20, v44
	v_and_b32_e32 v42, 0x80000000, v42
	v_lshl_add_u32 v47, v47, 23, v45
	v_or3_b32 v44, v42, v47, v44
.LBB638_373:                            ;   in Loop: Header=BB638_213 Depth=1
	s_or_b64 exec, exec, s[20:21]
.LBB638_374:                            ;   in Loop: Header=BB638_213 Depth=1
	s_or_b64 exec, exec, s[18:19]
.LBB638_375:                            ;   in Loop: Header=BB638_213 Depth=1
	s_or_b64 exec, exec, s[16:17]
	v_cmp_lt_u32_e32 vcc, s23, v40
	v_mov_b32_e32 v49, 0
	v_mov_b32_e32 v59, 0
	s_and_saveexec_b64 s[16:17], vcc
	s_cbranch_execz .LBB638_381
; %bb.376:                              ;   in Loop: Header=BB638_213 Depth=1
	v_lshrrev_b32_e32 v42, 24, v40
	v_cmp_ne_u32_e32 vcc, s9, v42
	v_bfrev_b32_e32 v59, 1
	s_and_saveexec_b64 s[18:19], vcc
	s_cbranch_execz .LBB638_380
; %bb.377:                              ;   in Loop: Header=BB638_213 Depth=1
	v_bfe_u32 v40, v40, 24, 7
	v_cmp_ne_u32_e32 vcc, s22, v40
	v_mov_b32_e32 v59, 0x7f800001
	s_and_saveexec_b64 s[20:21], vcc
	s_cbranch_execz .LBB638_379
; %bb.378:                              ;   in Loop: Header=BB638_213 Depth=1
	v_and_b32_e32 v47, 7, v42
	v_ffbh_u32_e32 v60, v47
	v_min_u32_e32 v62, 32, v60
	v_subrev_u32_e32 v60, 28, v62
	v_lshlrev_b64 v[60:61], v60, v[42:43]
	v_lshrrev_b32_e32 v59, 3, v40
	v_sub_u32_e32 v61, 29, v62
	v_and_b32_e32 v60, 7, v60
	v_cmp_gt_u32_e32 vcc, 8, v40
	v_cndmask_b32_e32 v40, v59, v61, vcc
	v_cndmask_b32_e32 v47, v47, v60, vcc
	v_lshlrev_b32_e32 v42, 24, v42
	v_lshlrev_b32_e32 v47, 20, v47
	v_and_b32_e32 v42, 0x80000000, v42
	v_lshl_add_u32 v40, v40, 23, v45
	v_or3_b32 v59, v42, v40, v47
.LBB638_379:                            ;   in Loop: Header=BB638_213 Depth=1
	s_or_b64 exec, exec, s[20:21]
.LBB638_380:                            ;   in Loop: Header=BB638_213 Depth=1
	s_or_b64 exec, exec, s[18:19]
.LBB638_381:                            ;   in Loop: Header=BB638_213 Depth=1
	s_or_b64 exec, exec, s[16:17]
	s_waitcnt vmcnt(0)
	v_cmp_ne_u16_sdwa s[18:19], v38, v39 src0_sel:BYTE_0 src1_sel:DWORD
	s_and_saveexec_b64 s[16:17], s[18:19]
	s_cbranch_execz .LBB638_387
; %bb.382:                              ;   in Loop: Header=BB638_213 Depth=1
	v_cmp_ne_u16_sdwa s[20:21], v38, s9 src0_sel:BYTE_0 src1_sel:DWORD
	v_bfrev_b32_e32 v49, 1
	s_and_saveexec_b64 s[18:19], s[20:21]
	s_cbranch_execz .LBB638_386
; %bb.383:                              ;   in Loop: Header=BB638_213 Depth=1
	v_and_b32_e32 v40, 0x7f, v38
	v_cmp_ne_u32_e32 vcc, s22, v40
	v_mov_b32_e32 v49, 0x7f800001
	s_and_saveexec_b64 s[20:21], vcc
	s_cbranch_execz .LBB638_385
; %bb.384:                              ;   in Loop: Header=BB638_213 Depth=1
	v_and_b32_e32 v42, 7, v38
	v_ffbh_u32_e32 v49, v42
	v_min_u32_e32 v49, 32, v49
	v_subrev_u32_e32 v60, 28, v49
	v_lshlrev_b64 v[60:61], v60, v[38:39]
	v_lshrrev_b32_e32 v47, 3, v40
	v_sub_u32_e32 v49, 29, v49
	v_and_b32_e32 v60, 7, v60
	v_cmp_gt_u32_e32 vcc, 8, v40
	v_cndmask_b32_e32 v40, v47, v49, vcc
	v_cndmask_b32_e32 v42, v42, v60, vcc
	v_lshlrev_b32_e32 v47, 24, v38
	v_lshlrev_b32_e32 v42, 20, v42
	v_and_b32_e32 v47, 0x80000000, v47
	v_lshl_add_u32 v40, v40, 23, v45
	v_or3_b32 v49, v47, v40, v42
.LBB638_385:                            ;   in Loop: Header=BB638_213 Depth=1
	s_or_b64 exec, exec, s[20:21]
.LBB638_386:                            ;   in Loop: Header=BB638_213 Depth=1
	s_or_b64 exec, exec, s[18:19]
.LBB638_387:                            ;   in Loop: Header=BB638_213 Depth=1
	s_or_b64 exec, exec, s[16:17]
	v_lshrrev_b16_e32 v40, 8, v38
	v_cmp_ne_u16_e32 vcc, 0, v40
	v_mov_b32_e32 v60, 0
	v_mov_b32_e32 v61, 0
	s_and_saveexec_b64 s[16:17], vcc
	s_cbranch_execz .LBB638_393
; %bb.388:                              ;   in Loop: Header=BB638_213 Depth=1
	v_cmp_ne_u16_e32 vcc, s9, v40
	v_bfrev_b32_e32 v61, 1
	s_and_saveexec_b64 s[18:19], vcc
	s_cbranch_execz .LBB638_392
; %bb.389:                              ;   in Loop: Header=BB638_213 Depth=1
	v_and_b32_e32 v42, 0x7f, v40
	v_cmp_ne_u32_e32 vcc, s22, v42
	v_mov_b32_e32 v61, 0x7f800001
	s_and_saveexec_b64 s[20:21], vcc
	s_cbranch_execz .LBB638_391
; %bb.390:                              ;   in Loop: Header=BB638_213 Depth=1
	v_and_b32_e32 v47, 7, v40
	v_ffbh_u32_e32 v62, v47
	v_min_u32_e32 v64, 32, v62
	v_subrev_u32_e32 v62, 28, v64
	v_lshlrev_b64 v[62:63], v62, v[40:41]
	v_lshrrev_b32_e32 v61, 3, v42
	v_sub_u32_e32 v40, 29, v64
	v_and_b32_e32 v62, 7, v62
	v_cmp_gt_u32_e32 vcc, 8, v42
	v_cndmask_b32_e32 v40, v61, v40, vcc
	v_cndmask_b32_e32 v42, v47, v62, vcc
	v_lshlrev_b32_e32 v47, 16, v38
	v_lshlrev_b32_e32 v42, 20, v42
	v_and_b32_e32 v47, 0x80000000, v47
	v_lshl_add_u32 v40, v40, 23, v45
	v_or3_b32 v61, v47, v40, v42
.LBB638_391:                            ;   in Loop: Header=BB638_213 Depth=1
	s_or_b64 exec, exec, s[20:21]
.LBB638_392:                            ;   in Loop: Header=BB638_213 Depth=1
	s_or_b64 exec, exec, s[18:19]
.LBB638_393:                            ;   in Loop: Header=BB638_213 Depth=1
	s_or_b64 exec, exec, s[16:17]
	v_lshrrev_b32_e32 v40, 16, v38
	v_cmp_ne_u16_sdwa s[18:19], v40, v39 src0_sel:BYTE_0 src1_sel:DWORD
	s_and_saveexec_b64 s[16:17], s[18:19]
	s_cbranch_execz .LBB638_399
; %bb.394:                              ;   in Loop: Header=BB638_213 Depth=1
	v_cmp_ne_u16_sdwa s[20:21], v40, s9 src0_sel:BYTE_0 src1_sel:DWORD
	v_bfrev_b32_e32 v60, 1
	s_and_saveexec_b64 s[18:19], s[20:21]
	s_cbranch_execz .LBB638_398
; %bb.395:                              ;   in Loop: Header=BB638_213 Depth=1
	v_bfe_u32 v42, v38, 16, 7
	v_cmp_ne_u32_e32 vcc, s22, v42
	v_mov_b32_e32 v60, 0x7f800001
	s_and_saveexec_b64 s[20:21], vcc
	s_cbranch_execz .LBB638_397
; %bb.396:                              ;   in Loop: Header=BB638_213 Depth=1
	v_and_b32_e32 v47, 7, v40
	v_ffbh_u32_e32 v62, v47
	v_min_u32_e32 v64, 32, v62
	v_subrev_u32_e32 v62, 28, v64
	v_lshlrev_b64 v[62:63], v62, v[40:41]
	v_lshrrev_b32_e32 v60, 3, v42
	v_sub_u32_e32 v63, 29, v64
	v_and_b32_e32 v62, 7, v62
	v_cmp_gt_u32_e32 vcc, 8, v42
	v_cndmask_b32_e32 v42, v60, v63, vcc
	v_cndmask_b32_e32 v47, v47, v62, vcc
	v_lshlrev_b32_e32 v40, 24, v40
	v_lshlrev_b32_e32 v47, 20, v47
	v_and_b32_e32 v40, 0x80000000, v40
	v_lshl_add_u32 v42, v42, 23, v45
	v_or3_b32 v60, v40, v42, v47
.LBB638_397:                            ;   in Loop: Header=BB638_213 Depth=1
	s_or_b64 exec, exec, s[20:21]
.LBB638_398:                            ;   in Loop: Header=BB638_213 Depth=1
	s_or_b64 exec, exec, s[18:19]
.LBB638_399:                            ;   in Loop: Header=BB638_213 Depth=1
	s_or_b64 exec, exec, s[16:17]
	v_cmp_lt_u32_e32 vcc, s23, v38
	v_mov_b32_e32 v47, 0
	v_mov_b32_e32 v62, 0
	s_and_saveexec_b64 s[16:17], vcc
	s_cbranch_execz .LBB638_405
; %bb.400:                              ;   in Loop: Header=BB638_213 Depth=1
	v_lshrrev_b32_e32 v40, 24, v38
	v_cmp_ne_u32_e32 vcc, s9, v40
	v_bfrev_b32_e32 v62, 1
	s_and_saveexec_b64 s[18:19], vcc
	s_cbranch_execz .LBB638_404
; %bb.401:                              ;   in Loop: Header=BB638_213 Depth=1
	v_bfe_u32 v38, v38, 24, 7
	v_cmp_ne_u32_e32 vcc, s22, v38
	v_mov_b32_e32 v62, 0x7f800001
	s_and_saveexec_b64 s[20:21], vcc
	s_cbranch_execz .LBB638_403
; %bb.402:                              ;   in Loop: Header=BB638_213 Depth=1
	v_and_b32_e32 v42, 7, v40
	v_ffbh_u32_e32 v62, v42
	v_min_u32_e32 v65, 32, v62
	v_subrev_u32_e32 v62, 28, v65
	v_lshlrev_b64 v[62:63], v62, v[40:41]
	v_lshrrev_b32_e32 v64, 3, v38
	v_sub_u32_e32 v63, 29, v65
	v_and_b32_e32 v62, 7, v62
	v_cmp_gt_u32_e32 vcc, 8, v38
	v_cndmask_b32_e32 v38, v64, v63, vcc
	v_cndmask_b32_e32 v42, v42, v62, vcc
	v_lshlrev_b32_e32 v40, 24, v40
	v_lshlrev_b32_e32 v42, 20, v42
	v_and_b32_e32 v40, 0x80000000, v40
	v_lshl_add_u32 v38, v38, 23, v45
	v_or3_b32 v62, v40, v38, v42
.LBB638_403:                            ;   in Loop: Header=BB638_213 Depth=1
	s_or_b64 exec, exec, s[20:21]
.LBB638_404:                            ;   in Loop: Header=BB638_213 Depth=1
	s_or_b64 exec, exec, s[18:19]
.LBB638_405:                            ;   in Loop: Header=BB638_213 Depth=1
	s_or_b64 exec, exec, s[16:17]
	v_cvt_pkrtz_f16_f32 v65, v44, v59
	buffer_load_dword v44, v58, s[0:3], 0 offen
	buffer_load_dword v42, v58, s[0:3], 0 offen offset:4
	buffer_load_dword v40, v58, s[0:3], 0 offen offset:8
	;; [unrolled: 1-line block ×3, first 2 shown]
	v_cvt_pkrtz_f16_f32 v64, v46, v48
	v_cvt_pkrtz_f16_f32 v48, v49, v61
	;; [unrolled: 1-line block ×3, first 2 shown]
	v_mfma_f32_16x16x16f16 v[34:37], v[64:65], v[14:15], v[34:37]
	s_waitcnt vmcnt(3)
	v_cmp_ne_u16_sdwa s[18:19], v44, v39 src0_sel:BYTE_0 src1_sel:DWORD
	v_mfma_f32_16x16x16f16 v[34:37], v[48:49], v[16:17], v[34:37]
	s_and_saveexec_b64 s[16:17], s[18:19]
	s_cbranch_execz .LBB638_411
; %bb.406:                              ;   in Loop: Header=BB638_213 Depth=1
	v_cmp_ne_u16_sdwa s[20:21], v44, s9 src0_sel:BYTE_0 src1_sel:DWORD
	v_bfrev_b32_e32 v47, 1
	s_and_saveexec_b64 s[18:19], s[20:21]
	s_cbranch_execz .LBB638_410
; %bb.407:                              ;   in Loop: Header=BB638_213 Depth=1
	v_and_b32_e32 v46, 0x7f, v44
	v_cmp_ne_u32_e32 vcc, s22, v46
	v_mov_b32_e32 v47, 0x7f800001
	s_and_saveexec_b64 s[20:21], vcc
	s_cbranch_execz .LBB638_409
; %bb.408:                              ;   in Loop: Header=BB638_213 Depth=1
	v_and_b32_e32 v47, 7, v44
	v_ffbh_u32_e32 v48, v47
	v_min_u32_e32 v59, 32, v48
	v_subrev_u32_e32 v48, 28, v59
	v_lshlrev_b64 v[48:49], v48, v[44:45]
	v_lshrrev_b32_e32 v58, 3, v46
	v_sub_u32_e32 v49, 29, v59
	v_and_b32_e32 v48, 7, v48
	v_cmp_gt_u32_e32 vcc, 8, v46
	v_cndmask_b32_e32 v46, v58, v49, vcc
	v_cndmask_b32_e32 v47, v47, v48, vcc
	v_lshlrev_b32_e32 v48, 24, v44
	v_lshlrev_b32_e32 v47, 20, v47
	v_and_b32_e32 v48, 0x80000000, v48
	v_lshl_add_u32 v46, v46, 23, v45
	v_or3_b32 v47, v48, v46, v47
.LBB638_409:                            ;   in Loop: Header=BB638_213 Depth=1
	s_or_b64 exec, exec, s[20:21]
.LBB638_410:                            ;   in Loop: Header=BB638_213 Depth=1
	s_or_b64 exec, exec, s[18:19]
.LBB638_411:                            ;   in Loop: Header=BB638_213 Depth=1
	s_or_b64 exec, exec, s[16:17]
	v_lshrrev_b16_e32 v46, 8, v44
	v_cmp_ne_u16_e32 vcc, 0, v46
	v_mov_b32_e32 v48, 0
	v_mov_b32_e32 v49, 0
	s_and_saveexec_b64 s[16:17], vcc
	s_cbranch_execz .LBB638_417
; %bb.412:                              ;   in Loop: Header=BB638_213 Depth=1
	v_cmp_ne_u16_e32 vcc, s9, v46
	v_bfrev_b32_e32 v49, 1
	s_and_saveexec_b64 s[18:19], vcc
	s_cbranch_execz .LBB638_416
; %bb.413:                              ;   in Loop: Header=BB638_213 Depth=1
	v_and_b32_e32 v58, 0x7f, v46
	v_cmp_ne_u32_e32 vcc, s22, v58
	v_mov_b32_e32 v49, 0x7f800001
	s_and_saveexec_b64 s[20:21], vcc
	s_cbranch_execz .LBB638_415
; %bb.414:                              ;   in Loop: Header=BB638_213 Depth=1
	v_and_b32_e32 v49, 7, v46
	v_ffbh_u32_e32 v60, v49
	v_min_u32_e32 v62, 32, v60
	v_subrev_u32_e32 v60, 28, v62
	v_lshlrev_b64 v[60:61], v60, v[46:47]
	v_lshrrev_b32_e32 v59, 3, v58
	v_sub_u32_e32 v46, 29, v62
	v_and_b32_e32 v60, 7, v60
	v_cmp_gt_u32_e32 vcc, 8, v58
	v_cndmask_b32_e32 v46, v59, v46, vcc
	v_cndmask_b32_e32 v49, v49, v60, vcc
	v_lshlrev_b32_e32 v58, 16, v44
	v_lshlrev_b32_e32 v49, 20, v49
	v_and_b32_e32 v58, 0x80000000, v58
	v_lshl_add_u32 v46, v46, 23, v45
	v_or3_b32 v49, v58, v46, v49
.LBB638_415:                            ;   in Loop: Header=BB638_213 Depth=1
	s_or_b64 exec, exec, s[20:21]
.LBB638_416:                            ;   in Loop: Header=BB638_213 Depth=1
	s_or_b64 exec, exec, s[18:19]
.LBB638_417:                            ;   in Loop: Header=BB638_213 Depth=1
	s_or_b64 exec, exec, s[16:17]
	v_lshrrev_b32_e32 v46, 16, v44
	v_cmp_ne_u16_sdwa s[18:19], v46, v39 src0_sel:BYTE_0 src1_sel:DWORD
	s_and_saveexec_b64 s[16:17], s[18:19]
	s_cbranch_execz .LBB638_423
; %bb.418:                              ;   in Loop: Header=BB638_213 Depth=1
	v_cmp_ne_u16_sdwa s[20:21], v46, s9 src0_sel:BYTE_0 src1_sel:DWORD
	v_bfrev_b32_e32 v48, 1
	s_and_saveexec_b64 s[18:19], s[20:21]
	s_cbranch_execz .LBB638_422
; %bb.419:                              ;   in Loop: Header=BB638_213 Depth=1
	v_bfe_u32 v58, v44, 16, 7
	v_cmp_ne_u32_e32 vcc, s22, v58
	v_mov_b32_e32 v48, 0x7f800001
	s_and_saveexec_b64 s[20:21], vcc
	s_cbranch_execz .LBB638_421
; %bb.420:                              ;   in Loop: Header=BB638_213 Depth=1
	v_and_b32_e32 v48, 7, v46
	v_ffbh_u32_e32 v60, v48
	v_min_u32_e32 v62, 32, v60
	v_subrev_u32_e32 v60, 28, v62
	v_lshlrev_b64 v[60:61], v60, v[46:47]
	v_lshrrev_b32_e32 v59, 3, v58
	v_sub_u32_e32 v61, 29, v62
	v_and_b32_e32 v60, 7, v60
	v_cmp_gt_u32_e32 vcc, 8, v58
	v_cndmask_b32_e32 v58, v59, v61, vcc
	v_cndmask_b32_e32 v48, v48, v60, vcc
	v_lshlrev_b32_e32 v46, 24, v46
	v_lshlrev_b32_e32 v48, 20, v48
	v_and_b32_e32 v46, 0x80000000, v46
	v_lshl_add_u32 v58, v58, 23, v45
	v_or3_b32 v48, v46, v58, v48
.LBB638_421:                            ;   in Loop: Header=BB638_213 Depth=1
	s_or_b64 exec, exec, s[20:21]
.LBB638_422:                            ;   in Loop: Header=BB638_213 Depth=1
	s_or_b64 exec, exec, s[18:19]
.LBB638_423:                            ;   in Loop: Header=BB638_213 Depth=1
	s_or_b64 exec, exec, s[16:17]
	v_cmp_lt_u32_e32 vcc, s23, v44
	v_mov_b32_e32 v58, 0
	v_mov_b32_e32 v59, 0
	s_and_saveexec_b64 s[16:17], vcc
	s_cbranch_execz .LBB638_429
; %bb.424:                              ;   in Loop: Header=BB638_213 Depth=1
	v_lshrrev_b32_e32 v46, 24, v44
	v_cmp_ne_u32_e32 vcc, s9, v46
	v_bfrev_b32_e32 v59, 1
	s_and_saveexec_b64 s[18:19], vcc
	s_cbranch_execz .LBB638_428
; %bb.425:                              ;   in Loop: Header=BB638_213 Depth=1
	v_bfe_u32 v44, v44, 24, 7
	v_cmp_ne_u32_e32 vcc, s22, v44
	v_mov_b32_e32 v59, 0x7f800001
	s_and_saveexec_b64 s[20:21], vcc
	s_cbranch_execz .LBB638_427
; %bb.426:                              ;   in Loop: Header=BB638_213 Depth=1
	v_and_b32_e32 v59, 7, v46
	v_ffbh_u32_e32 v60, v59
	v_min_u32_e32 v63, 32, v60
	v_subrev_u32_e32 v60, 28, v63
	v_lshlrev_b64 v[60:61], v60, v[46:47]
	v_lshrrev_b32_e32 v62, 3, v44
	v_sub_u32_e32 v61, 29, v63
	v_and_b32_e32 v60, 7, v60
	v_cmp_gt_u32_e32 vcc, 8, v44
	v_cndmask_b32_e32 v44, v62, v61, vcc
	v_cndmask_b32_e32 v59, v59, v60, vcc
	v_lshlrev_b32_e32 v46, 24, v46
	v_lshlrev_b32_e32 v59, 20, v59
	v_and_b32_e32 v46, 0x80000000, v46
	v_lshl_add_u32 v44, v44, 23, v45
	v_or3_b32 v59, v46, v44, v59
.LBB638_427:                            ;   in Loop: Header=BB638_213 Depth=1
	s_or_b64 exec, exec, s[20:21]
.LBB638_428:                            ;   in Loop: Header=BB638_213 Depth=1
	s_or_b64 exec, exec, s[18:19]
.LBB638_429:                            ;   in Loop: Header=BB638_213 Depth=1
	s_or_b64 exec, exec, s[16:17]
	s_waitcnt vmcnt(2)
	v_cmp_ne_u16_sdwa s[18:19], v42, v39 src0_sel:BYTE_0 src1_sel:DWORD
	s_and_saveexec_b64 s[16:17], s[18:19]
	s_cbranch_execz .LBB638_435
; %bb.430:                              ;   in Loop: Header=BB638_213 Depth=1
	v_cmp_ne_u16_sdwa s[20:21], v42, s9 src0_sel:BYTE_0 src1_sel:DWORD
	v_bfrev_b32_e32 v58, 1
	s_and_saveexec_b64 s[18:19], s[20:21]
	s_cbranch_execz .LBB638_434
; %bb.431:                              ;   in Loop: Header=BB638_213 Depth=1
	v_and_b32_e32 v44, 0x7f, v42
	v_cmp_ne_u32_e32 vcc, s22, v44
	v_mov_b32_e32 v58, 0x7f800001
	s_and_saveexec_b64 s[20:21], vcc
	s_cbranch_execz .LBB638_433
; %bb.432:                              ;   in Loop: Header=BB638_213 Depth=1
	v_and_b32_e32 v46, 7, v42
	v_ffbh_u32_e32 v60, v46
	v_min_u32_e32 v62, 32, v60
	v_subrev_u32_e32 v60, 28, v62
	v_lshlrev_b64 v[60:61], v60, v[42:43]
	v_lshrrev_b32_e32 v58, 3, v44
	v_sub_u32_e32 v61, 29, v62
	v_and_b32_e32 v60, 7, v60
	v_cmp_gt_u32_e32 vcc, 8, v44
	v_cndmask_b32_e32 v44, v58, v61, vcc
	v_cndmask_b32_e32 v46, v46, v60, vcc
	v_lshlrev_b32_e32 v58, 24, v42
	v_lshlrev_b32_e32 v46, 20, v46
	v_and_b32_e32 v58, 0x80000000, v58
	v_lshl_add_u32 v44, v44, 23, v45
	v_or3_b32 v58, v58, v44, v46
.LBB638_433:                            ;   in Loop: Header=BB638_213 Depth=1
	s_or_b64 exec, exec, s[20:21]
.LBB638_434:                            ;   in Loop: Header=BB638_213 Depth=1
	s_or_b64 exec, exec, s[18:19]
.LBB638_435:                            ;   in Loop: Header=BB638_213 Depth=1
	s_or_b64 exec, exec, s[16:17]
	v_lshrrev_b16_e32 v44, 8, v42
	v_cmp_ne_u16_e32 vcc, 0, v44
	v_mov_b32_e32 v60, 0
	v_mov_b32_e32 v61, 0
	s_and_saveexec_b64 s[16:17], vcc
	s_cbranch_execz .LBB638_441
; %bb.436:                              ;   in Loop: Header=BB638_213 Depth=1
	v_cmp_ne_u16_e32 vcc, s9, v44
	v_bfrev_b32_e32 v61, 1
	s_and_saveexec_b64 s[18:19], vcc
	s_cbranch_execz .LBB638_440
; %bb.437:                              ;   in Loop: Header=BB638_213 Depth=1
	v_and_b32_e32 v46, 0x7f, v44
	v_cmp_ne_u32_e32 vcc, s22, v46
	v_mov_b32_e32 v61, 0x7f800001
	s_and_saveexec_b64 s[20:21], vcc
	s_cbranch_execz .LBB638_439
; %bb.438:                              ;   in Loop: Header=BB638_213 Depth=1
	v_and_b32_e32 v61, 7, v44
	v_ffbh_u32_e32 v62, v61
	v_min_u32_e32 v65, 32, v62
	v_subrev_u32_e32 v62, 28, v65
	v_lshlrev_b64 v[62:63], v62, v[44:45]
	v_lshrrev_b32_e32 v64, 3, v46
	v_sub_u32_e32 v44, 29, v65
	v_and_b32_e32 v62, 7, v62
	v_cmp_gt_u32_e32 vcc, 8, v46
	v_cndmask_b32_e32 v44, v64, v44, vcc
	v_cndmask_b32_e32 v46, v61, v62, vcc
	v_lshlrev_b32_e32 v61, 16, v42
	v_lshlrev_b32_e32 v46, 20, v46
	v_and_b32_e32 v61, 0x80000000, v61
	v_lshl_add_u32 v44, v44, 23, v45
	v_or3_b32 v61, v61, v44, v46
.LBB638_439:                            ;   in Loop: Header=BB638_213 Depth=1
	s_or_b64 exec, exec, s[20:21]
.LBB638_440:                            ;   in Loop: Header=BB638_213 Depth=1
	s_or_b64 exec, exec, s[18:19]
.LBB638_441:                            ;   in Loop: Header=BB638_213 Depth=1
	s_or_b64 exec, exec, s[16:17]
	v_lshrrev_b32_e32 v44, 16, v42
	v_cmp_ne_u16_sdwa s[18:19], v44, v39 src0_sel:BYTE_0 src1_sel:DWORD
	s_and_saveexec_b64 s[16:17], s[18:19]
	s_cbranch_execz .LBB638_447
; %bb.442:                              ;   in Loop: Header=BB638_213 Depth=1
	v_cmp_ne_u16_sdwa s[20:21], v44, s9 src0_sel:BYTE_0 src1_sel:DWORD
	v_bfrev_b32_e32 v60, 1
	s_and_saveexec_b64 s[18:19], s[20:21]
	s_cbranch_execz .LBB638_446
; %bb.443:                              ;   in Loop: Header=BB638_213 Depth=1
	v_bfe_u32 v46, v42, 16, 7
	v_cmp_ne_u32_e32 vcc, s22, v46
	v_mov_b32_e32 v60, 0x7f800001
	s_and_saveexec_b64 s[20:21], vcc
	s_cbranch_execz .LBB638_445
; %bb.444:                              ;   in Loop: Header=BB638_213 Depth=1
	v_and_b32_e32 v60, 7, v44
	v_ffbh_u32_e32 v62, v60
	v_min_u32_e32 v65, 32, v62
	v_subrev_u32_e32 v62, 28, v65
	v_lshlrev_b64 v[62:63], v62, v[44:45]
	v_lshrrev_b32_e32 v64, 3, v46
	v_sub_u32_e32 v63, 29, v65
	v_and_b32_e32 v62, 7, v62
	v_cmp_gt_u32_e32 vcc, 8, v46
	v_cndmask_b32_e32 v46, v64, v63, vcc
	v_cndmask_b32_e32 v60, v60, v62, vcc
	v_lshlrev_b32_e32 v44, 24, v44
	v_lshlrev_b32_e32 v60, 20, v60
	v_and_b32_e32 v44, 0x80000000, v44
	v_lshl_add_u32 v46, v46, 23, v45
	v_or3_b32 v60, v44, v46, v60
.LBB638_445:                            ;   in Loop: Header=BB638_213 Depth=1
	s_or_b64 exec, exec, s[20:21]
.LBB638_446:                            ;   in Loop: Header=BB638_213 Depth=1
	s_or_b64 exec, exec, s[18:19]
.LBB638_447:                            ;   in Loop: Header=BB638_213 Depth=1
	s_or_b64 exec, exec, s[16:17]
	v_cmp_lt_u32_e32 vcc, s23, v42
	v_mov_b32_e32 v46, 0
	v_mov_b32_e32 v62, 0
	s_and_saveexec_b64 s[16:17], vcc
	s_cbranch_execz .LBB638_453
; %bb.448:                              ;   in Loop: Header=BB638_213 Depth=1
	v_lshrrev_b32_e32 v44, 24, v42
	v_cmp_ne_u32_e32 vcc, s9, v44
	v_bfrev_b32_e32 v62, 1
	s_and_saveexec_b64 s[18:19], vcc
	s_cbranch_execz .LBB638_452
; %bb.449:                              ;   in Loop: Header=BB638_213 Depth=1
	v_bfe_u32 v42, v42, 24, 7
	v_cmp_ne_u32_e32 vcc, s22, v42
	v_mov_b32_e32 v62, 0x7f800001
	s_and_saveexec_b64 s[20:21], vcc
	s_cbranch_execz .LBB638_451
; %bb.450:                              ;   in Loop: Header=BB638_213 Depth=1
	v_and_b32_e32 v64, 7, v44
	v_ffbh_u32_e32 v62, v64
	v_min_u32_e32 v66, 32, v62
	v_subrev_u32_e32 v62, 28, v66
	v_lshlrev_b64 v[62:63], v62, v[44:45]
	v_lshrrev_b32_e32 v65, 3, v42
	v_sub_u32_e32 v63, 29, v66
	v_and_b32_e32 v62, 7, v62
	v_cmp_gt_u32_e32 vcc, 8, v42
	v_cndmask_b32_e32 v42, v65, v63, vcc
	v_cndmask_b32_e32 v62, v64, v62, vcc
	v_lshlrev_b32_e32 v44, 24, v44
	v_lshlrev_b32_e32 v62, 20, v62
	v_and_b32_e32 v44, 0x80000000, v44
	v_lshl_add_u32 v42, v42, 23, v45
	v_or3_b32 v62, v44, v42, v62
.LBB638_451:                            ;   in Loop: Header=BB638_213 Depth=1
	s_or_b64 exec, exec, s[20:21]
.LBB638_452:                            ;   in Loop: Header=BB638_213 Depth=1
	s_or_b64 exec, exec, s[18:19]
.LBB638_453:                            ;   in Loop: Header=BB638_213 Depth=1
	s_or_b64 exec, exec, s[16:17]
	v_cvt_pkrtz_f16_f32 v64, v47, v49
	v_cvt_pkrtz_f16_f32 v65, v48, v59
	;; [unrolled: 1-line block ×4, first 2 shown]
	s_waitcnt vmcnt(1)
	v_cmp_ne_u16_sdwa s[18:19], v40, v39 src0_sel:BYTE_0 src1_sel:DWORD
	v_mfma_f32_16x16x16f16 v[34:37], v[64:65], v[18:19], v[34:37]
	v_mfma_f32_16x16x16f16 v[34:37], v[48:49], v[20:21], v[34:37]
	s_and_saveexec_b64 s[16:17], s[18:19]
	s_cbranch_execz .LBB638_459
; %bb.454:                              ;   in Loop: Header=BB638_213 Depth=1
	v_cmp_ne_u16_sdwa s[20:21], v40, s9 src0_sel:BYTE_0 src1_sel:DWORD
	v_bfrev_b32_e32 v46, 1
	s_and_saveexec_b64 s[18:19], s[20:21]
	s_cbranch_execz .LBB638_458
; %bb.455:                              ;   in Loop: Header=BB638_213 Depth=1
	v_and_b32_e32 v42, 0x7f, v40
	v_cmp_ne_u32_e32 vcc, s22, v42
	v_mov_b32_e32 v46, 0x7f800001
	s_and_saveexec_b64 s[20:21], vcc
	s_cbranch_execz .LBB638_457
; %bb.456:                              ;   in Loop: Header=BB638_213 Depth=1
	v_and_b32_e32 v44, 7, v40
	v_ffbh_u32_e32 v46, v44
	v_min_u32_e32 v49, 32, v46
	v_subrev_u32_e32 v46, 28, v49
	v_lshlrev_b64 v[46:47], v46, v[40:41]
	v_lshrrev_b32_e32 v48, 3, v42
	v_sub_u32_e32 v47, 29, v49
	v_and_b32_e32 v46, 7, v46
	v_cmp_gt_u32_e32 vcc, 8, v42
	v_cndmask_b32_e32 v42, v48, v47, vcc
	v_cndmask_b32_e32 v44, v44, v46, vcc
	v_lshlrev_b32_e32 v46, 24, v40
	v_lshlrev_b32_e32 v44, 20, v44
	v_and_b32_e32 v46, 0x80000000, v46
	v_lshl_add_u32 v42, v42, 23, v45
	v_or3_b32 v46, v46, v42, v44
.LBB638_457:                            ;   in Loop: Header=BB638_213 Depth=1
	s_or_b64 exec, exec, s[20:21]
.LBB638_458:                            ;   in Loop: Header=BB638_213 Depth=1
	s_or_b64 exec, exec, s[18:19]
.LBB638_459:                            ;   in Loop: Header=BB638_213 Depth=1
	s_or_b64 exec, exec, s[16:17]
	v_lshrrev_b16_e32 v42, 8, v40
	v_cmp_ne_u16_e32 vcc, 0, v42
	v_mov_b32_e32 v44, 0
	v_mov_b32_e32 v48, 0
	s_and_saveexec_b64 s[16:17], vcc
	s_cbranch_execz .LBB638_465
; %bb.460:                              ;   in Loop: Header=BB638_213 Depth=1
	v_cmp_ne_u16_e32 vcc, s9, v42
	v_bfrev_b32_e32 v48, 1
	s_and_saveexec_b64 s[18:19], vcc
	s_cbranch_execz .LBB638_464
; %bb.461:                              ;   in Loop: Header=BB638_213 Depth=1
	v_and_b32_e32 v47, 0x7f, v42
	v_cmp_ne_u32_e32 vcc, s22, v47
	v_mov_b32_e32 v48, 0x7f800001
	s_and_saveexec_b64 s[20:21], vcc
	s_cbranch_execz .LBB638_463
; %bb.462:                              ;   in Loop: Header=BB638_213 Depth=1
	v_and_b32_e32 v58, 7, v42
	v_ffbh_u32_e32 v48, v58
	v_min_u32_e32 v60, 32, v48
	v_subrev_u32_e32 v48, 28, v60
	v_lshlrev_b64 v[48:49], v48, v[42:43]
	v_lshrrev_b32_e32 v59, 3, v47
	v_sub_u32_e32 v42, 29, v60
	v_and_b32_e32 v48, 7, v48
	v_cmp_gt_u32_e32 vcc, 8, v47
	v_cndmask_b32_e32 v42, v59, v42, vcc
	v_cndmask_b32_e32 v47, v58, v48, vcc
	v_lshlrev_b32_e32 v48, 16, v40
	v_lshlrev_b32_e32 v47, 20, v47
	v_and_b32_e32 v48, 0x80000000, v48
	v_lshl_add_u32 v42, v42, 23, v45
	v_or3_b32 v48, v48, v42, v47
.LBB638_463:                            ;   in Loop: Header=BB638_213 Depth=1
	s_or_b64 exec, exec, s[20:21]
.LBB638_464:                            ;   in Loop: Header=BB638_213 Depth=1
	s_or_b64 exec, exec, s[18:19]
.LBB638_465:                            ;   in Loop: Header=BB638_213 Depth=1
	s_or_b64 exec, exec, s[16:17]
	v_lshrrev_b32_e32 v42, 16, v40
	v_cmp_ne_u16_sdwa s[18:19], v42, v39 src0_sel:BYTE_0 src1_sel:DWORD
	s_and_saveexec_b64 s[16:17], s[18:19]
	s_cbranch_execz .LBB638_471
; %bb.466:                              ;   in Loop: Header=BB638_213 Depth=1
	v_cmp_ne_u16_sdwa s[20:21], v42, s9 src0_sel:BYTE_0 src1_sel:DWORD
	v_bfrev_b32_e32 v44, 1
	s_and_saveexec_b64 s[18:19], s[20:21]
	s_cbranch_execz .LBB638_470
; %bb.467:                              ;   in Loop: Header=BB638_213 Depth=1
	v_bfe_u32 v47, v40, 16, 7
	v_cmp_ne_u32_e32 vcc, s22, v47
	v_mov_b32_e32 v44, 0x7f800001
	s_and_saveexec_b64 s[20:21], vcc
	s_cbranch_execz .LBB638_469
; %bb.468:                              ;   in Loop: Header=BB638_213 Depth=1
	v_and_b32_e32 v44, 7, v42
	v_ffbh_u32_e32 v58, v44
	v_min_u32_e32 v60, 32, v58
	v_subrev_u32_e32 v58, 28, v60
	v_lshlrev_b64 v[58:59], v58, v[42:43]
	v_lshrrev_b32_e32 v49, 3, v47
	v_sub_u32_e32 v59, 29, v60
	v_and_b32_e32 v58, 7, v58
	v_cmp_gt_u32_e32 vcc, 8, v47
	v_cndmask_b32_e32 v47, v49, v59, vcc
	v_cndmask_b32_e32 v44, v44, v58, vcc
	v_lshlrev_b32_e32 v42, 24, v42
	v_lshlrev_b32_e32 v44, 20, v44
	v_and_b32_e32 v42, 0x80000000, v42
	v_lshl_add_u32 v47, v47, 23, v45
	v_or3_b32 v44, v42, v47, v44
.LBB638_469:                            ;   in Loop: Header=BB638_213 Depth=1
	s_or_b64 exec, exec, s[20:21]
.LBB638_470:                            ;   in Loop: Header=BB638_213 Depth=1
	s_or_b64 exec, exec, s[18:19]
.LBB638_471:                            ;   in Loop: Header=BB638_213 Depth=1
	s_or_b64 exec, exec, s[16:17]
	v_cmp_lt_u32_e32 vcc, s23, v40
	v_mov_b32_e32 v49, 0
	v_mov_b32_e32 v58, 0
	s_and_saveexec_b64 s[16:17], vcc
	s_cbranch_execz .LBB638_477
; %bb.472:                              ;   in Loop: Header=BB638_213 Depth=1
	v_lshrrev_b32_e32 v42, 24, v40
	v_cmp_ne_u32_e32 vcc, s9, v42
	v_bfrev_b32_e32 v58, 1
	s_and_saveexec_b64 s[18:19], vcc
	s_cbranch_execz .LBB638_476
; %bb.473:                              ;   in Loop: Header=BB638_213 Depth=1
	v_bfe_u32 v40, v40, 24, 7
	v_cmp_ne_u32_e32 vcc, s22, v40
	v_mov_b32_e32 v58, 0x7f800001
	s_and_saveexec_b64 s[20:21], vcc
	s_cbranch_execz .LBB638_475
; %bb.474:                              ;   in Loop: Header=BB638_213 Depth=1
	v_and_b32_e32 v47, 7, v42
	v_ffbh_u32_e32 v58, v47
	v_min_u32_e32 v61, 32, v58
	v_subrev_u32_e32 v58, 28, v61
	v_lshlrev_b64 v[58:59], v58, v[42:43]
	v_lshrrev_b32_e32 v60, 3, v40
	v_sub_u32_e32 v59, 29, v61
	v_and_b32_e32 v58, 7, v58
	v_cmp_gt_u32_e32 vcc, 8, v40
	v_cndmask_b32_e32 v40, v60, v59, vcc
	v_cndmask_b32_e32 v47, v47, v58, vcc
	v_lshlrev_b32_e32 v42, 24, v42
	v_lshlrev_b32_e32 v47, 20, v47
	v_and_b32_e32 v42, 0x80000000, v42
	v_lshl_add_u32 v40, v40, 23, v45
	v_or3_b32 v58, v42, v40, v47
.LBB638_475:                            ;   in Loop: Header=BB638_213 Depth=1
	s_or_b64 exec, exec, s[20:21]
.LBB638_476:                            ;   in Loop: Header=BB638_213 Depth=1
	s_or_b64 exec, exec, s[18:19]
.LBB638_477:                            ;   in Loop: Header=BB638_213 Depth=1
	s_or_b64 exec, exec, s[16:17]
	s_waitcnt vmcnt(0)
	v_cmp_ne_u16_sdwa s[18:19], v38, v39 src0_sel:BYTE_0 src1_sel:DWORD
	s_and_saveexec_b64 s[16:17], s[18:19]
	s_cbranch_execz .LBB638_483
; %bb.478:                              ;   in Loop: Header=BB638_213 Depth=1
	v_cmp_ne_u16_sdwa s[20:21], v38, s9 src0_sel:BYTE_0 src1_sel:DWORD
	v_bfrev_b32_e32 v49, 1
	s_and_saveexec_b64 s[18:19], s[20:21]
	s_cbranch_execz .LBB638_482
; %bb.479:                              ;   in Loop: Header=BB638_213 Depth=1
	v_and_b32_e32 v40, 0x7f, v38
	v_cmp_ne_u32_e32 vcc, s22, v40
	v_mov_b32_e32 v49, 0x7f800001
	s_and_saveexec_b64 s[20:21], vcc
	s_cbranch_execz .LBB638_481
; %bb.480:                              ;   in Loop: Header=BB638_213 Depth=1
	v_and_b32_e32 v42, 7, v38
	v_ffbh_u32_e32 v49, v42
	v_min_u32_e32 v49, 32, v49
	v_subrev_u32_e32 v59, 28, v49
	v_lshlrev_b64 v[60:61], v59, v[38:39]
	v_lshrrev_b32_e32 v47, 3, v40
	v_sub_u32_e32 v49, 29, v49
	v_and_b32_e32 v59, 7, v60
	v_cmp_gt_u32_e32 vcc, 8, v40
	v_cndmask_b32_e32 v40, v47, v49, vcc
	v_cndmask_b32_e32 v42, v42, v59, vcc
	v_lshlrev_b32_e32 v47, 24, v38
	v_lshlrev_b32_e32 v42, 20, v42
	v_and_b32_e32 v47, 0x80000000, v47
	v_lshl_add_u32 v40, v40, 23, v45
	v_or3_b32 v49, v47, v40, v42
.LBB638_481:                            ;   in Loop: Header=BB638_213 Depth=1
	s_or_b64 exec, exec, s[20:21]
.LBB638_482:                            ;   in Loop: Header=BB638_213 Depth=1
	s_or_b64 exec, exec, s[18:19]
.LBB638_483:                            ;   in Loop: Header=BB638_213 Depth=1
	s_or_b64 exec, exec, s[16:17]
	v_lshrrev_b16_e32 v40, 8, v38
	v_cmp_ne_u16_e32 vcc, 0, v40
	v_mov_b32_e32 v59, 0
	v_mov_b32_e32 v60, 0
	s_and_saveexec_b64 s[16:17], vcc
	s_cbranch_execz .LBB638_489
; %bb.484:                              ;   in Loop: Header=BB638_213 Depth=1
	v_cmp_ne_u16_e32 vcc, s9, v40
	v_bfrev_b32_e32 v60, 1
	s_and_saveexec_b64 s[18:19], vcc
	s_cbranch_execz .LBB638_488
; %bb.485:                              ;   in Loop: Header=BB638_213 Depth=1
	v_and_b32_e32 v42, 0x7f, v40
	v_cmp_ne_u32_e32 vcc, s22, v42
	v_mov_b32_e32 v60, 0x7f800001
	s_and_saveexec_b64 s[20:21], vcc
	s_cbranch_execz .LBB638_487
; %bb.486:                              ;   in Loop: Header=BB638_213 Depth=1
	v_and_b32_e32 v47, 7, v40
	v_ffbh_u32_e32 v60, v47
	v_min_u32_e32 v63, 32, v60
	v_subrev_u32_e32 v60, 28, v63
	v_lshlrev_b64 v[60:61], v60, v[40:41]
	v_lshrrev_b32_e32 v62, 3, v42
	v_sub_u32_e32 v40, 29, v63
	v_and_b32_e32 v60, 7, v60
	v_cmp_gt_u32_e32 vcc, 8, v42
	v_cndmask_b32_e32 v40, v62, v40, vcc
	v_cndmask_b32_e32 v42, v47, v60, vcc
	v_lshlrev_b32_e32 v47, 16, v38
	v_lshlrev_b32_e32 v42, 20, v42
	v_and_b32_e32 v47, 0x80000000, v47
	v_lshl_add_u32 v40, v40, 23, v45
	v_or3_b32 v60, v47, v40, v42
.LBB638_487:                            ;   in Loop: Header=BB638_213 Depth=1
	s_or_b64 exec, exec, s[20:21]
.LBB638_488:                            ;   in Loop: Header=BB638_213 Depth=1
	s_or_b64 exec, exec, s[18:19]
.LBB638_489:                            ;   in Loop: Header=BB638_213 Depth=1
	s_or_b64 exec, exec, s[16:17]
	v_lshrrev_b32_e32 v40, 16, v38
	v_cmp_ne_u16_sdwa s[18:19], v40, v39 src0_sel:BYTE_0 src1_sel:DWORD
	s_and_saveexec_b64 s[16:17], s[18:19]
	s_cbranch_execz .LBB638_495
; %bb.490:                              ;   in Loop: Header=BB638_213 Depth=1
	v_cmp_ne_u16_sdwa s[20:21], v40, s9 src0_sel:BYTE_0 src1_sel:DWORD
	v_bfrev_b32_e32 v59, 1
	s_and_saveexec_b64 s[18:19], s[20:21]
	s_cbranch_execz .LBB638_494
; %bb.491:                              ;   in Loop: Header=BB638_213 Depth=1
	v_bfe_u32 v42, v38, 16, 7
	v_cmp_ne_u32_e32 vcc, s22, v42
	v_mov_b32_e32 v59, 0x7f800001
	s_and_saveexec_b64 s[20:21], vcc
	s_cbranch_execz .LBB638_493
; %bb.492:                              ;   in Loop: Header=BB638_213 Depth=1
	v_and_b32_e32 v47, 7, v40
	v_ffbh_u32_e32 v61, v47
	v_min_u32_e32 v61, 32, v61
	v_subrev_u32_e32 v62, 28, v61
	v_lshlrev_b64 v[62:63], v62, v[40:41]
	v_lshrrev_b32_e32 v59, 3, v42
	v_sub_u32_e32 v61, 29, v61
	v_and_b32_e32 v62, 7, v62
	v_cmp_gt_u32_e32 vcc, 8, v42
	v_cndmask_b32_e32 v42, v59, v61, vcc
	v_cndmask_b32_e32 v47, v47, v62, vcc
	v_lshlrev_b32_e32 v40, 24, v40
	v_lshlrev_b32_e32 v47, 20, v47
	v_and_b32_e32 v40, 0x80000000, v40
	v_lshl_add_u32 v42, v42, 23, v45
	v_or3_b32 v59, v40, v42, v47
.LBB638_493:                            ;   in Loop: Header=BB638_213 Depth=1
	s_or_b64 exec, exec, s[20:21]
.LBB638_494:                            ;   in Loop: Header=BB638_213 Depth=1
	s_or_b64 exec, exec, s[18:19]
.LBB638_495:                            ;   in Loop: Header=BB638_213 Depth=1
	s_or_b64 exec, exec, s[16:17]
	v_cmp_lt_u32_e32 vcc, s23, v38
	v_mov_b32_e32 v47, 0
	v_mov_b32_e32 v61, 0
	s_and_saveexec_b64 s[16:17], vcc
	s_cbranch_execz .LBB638_501
; %bb.496:                              ;   in Loop: Header=BB638_213 Depth=1
	v_lshrrev_b32_e32 v40, 24, v38
	v_cmp_ne_u32_e32 vcc, s9, v40
	v_bfrev_b32_e32 v61, 1
	s_and_saveexec_b64 s[18:19], vcc
	s_cbranch_execz .LBB638_500
; %bb.497:                              ;   in Loop: Header=BB638_213 Depth=1
	v_bfe_u32 v38, v38, 24, 7
	v_cmp_ne_u32_e32 vcc, s22, v38
	v_mov_b32_e32 v61, 0x7f800001
	s_and_saveexec_b64 s[20:21], vcc
	s_cbranch_execz .LBB638_499
; %bb.498:                              ;   in Loop: Header=BB638_213 Depth=1
	v_and_b32_e32 v42, 7, v40
	v_ffbh_u32_e32 v62, v42
	v_min_u32_e32 v64, 32, v62
	v_subrev_u32_e32 v62, 28, v64
	v_lshlrev_b64 v[62:63], v62, v[40:41]
	v_lshrrev_b32_e32 v61, 3, v38
	v_sub_u32_e32 v63, 29, v64
	v_and_b32_e32 v62, 7, v62
	v_cmp_gt_u32_e32 vcc, 8, v38
	v_cndmask_b32_e32 v38, v61, v63, vcc
	v_cndmask_b32_e32 v42, v42, v62, vcc
	v_lshlrev_b32_e32 v40, 24, v40
	v_lshlrev_b32_e32 v42, 20, v42
	v_and_b32_e32 v40, 0x80000000, v40
	v_lshl_add_u32 v38, v38, 23, v45
	v_or3_b32 v61, v40, v38, v42
.LBB638_499:                            ;   in Loop: Header=BB638_213 Depth=1
	s_or_b64 exec, exec, s[20:21]
.LBB638_500:                            ;   in Loop: Header=BB638_213 Depth=1
	s_or_b64 exec, exec, s[18:19]
.LBB638_501:                            ;   in Loop: Header=BB638_213 Depth=1
	s_or_b64 exec, exec, s[16:17]
	v_cvt_pkrtz_f16_f32 v63, v44, v58
	buffer_load_dword v44, v57, s[0:3], 0 offen
	buffer_load_dword v42, v57, s[0:3], 0 offen offset:4
	buffer_load_dword v40, v57, s[0:3], 0 offen offset:8
	buffer_load_dword v38, v57, s[0:3], 0 offen offset:12
	v_cvt_pkrtz_f16_f32 v62, v46, v48
	v_cvt_pkrtz_f16_f32 v48, v49, v60
	v_cvt_pkrtz_f16_f32 v49, v59, v61
	v_mfma_f32_16x16x16f16 v[34:37], v[62:63], v[22:23], v[34:37]
	s_waitcnt vmcnt(3)
	v_cmp_ne_u16_sdwa s[18:19], v44, v39 src0_sel:BYTE_0 src1_sel:DWORD
	v_mfma_f32_16x16x16f16 v[34:37], v[48:49], v[24:25], v[34:37]
	s_and_saveexec_b64 s[16:17], s[18:19]
	s_cbranch_execz .LBB638_507
; %bb.502:                              ;   in Loop: Header=BB638_213 Depth=1
	v_cmp_ne_u16_sdwa s[20:21], v44, s9 src0_sel:BYTE_0 src1_sel:DWORD
	v_bfrev_b32_e32 v47, 1
	s_and_saveexec_b64 s[18:19], s[20:21]
	s_cbranch_execz .LBB638_506
; %bb.503:                              ;   in Loop: Header=BB638_213 Depth=1
	v_and_b32_e32 v46, 0x7f, v44
	v_cmp_ne_u32_e32 vcc, s22, v46
	v_mov_b32_e32 v47, 0x7f800001
	s_and_saveexec_b64 s[20:21], vcc
	s_cbranch_execz .LBB638_505
; %bb.504:                              ;   in Loop: Header=BB638_213 Depth=1
	v_and_b32_e32 v47, 7, v44
	v_ffbh_u32_e32 v48, v47
	v_min_u32_e32 v58, 32, v48
	v_subrev_u32_e32 v48, 28, v58
	v_lshlrev_b64 v[48:49], v48, v[44:45]
	v_lshrrev_b32_e32 v57, 3, v46
	v_sub_u32_e32 v49, 29, v58
	v_and_b32_e32 v48, 7, v48
	v_cmp_gt_u32_e32 vcc, 8, v46
	v_cndmask_b32_e32 v46, v57, v49, vcc
	v_cndmask_b32_e32 v47, v47, v48, vcc
	v_lshlrev_b32_e32 v48, 24, v44
	v_lshlrev_b32_e32 v47, 20, v47
	v_and_b32_e32 v48, 0x80000000, v48
	v_lshl_add_u32 v46, v46, 23, v45
	v_or3_b32 v47, v48, v46, v47
.LBB638_505:                            ;   in Loop: Header=BB638_213 Depth=1
	s_or_b64 exec, exec, s[20:21]
.LBB638_506:                            ;   in Loop: Header=BB638_213 Depth=1
	s_or_b64 exec, exec, s[18:19]
.LBB638_507:                            ;   in Loop: Header=BB638_213 Depth=1
	s_or_b64 exec, exec, s[16:17]
	v_lshrrev_b16_e32 v46, 8, v44
	v_cmp_ne_u16_e32 vcc, 0, v46
	v_mov_b32_e32 v48, 0
	v_mov_b32_e32 v49, 0
	s_and_saveexec_b64 s[16:17], vcc
	s_cbranch_execz .LBB638_513
; %bb.508:                              ;   in Loop: Header=BB638_213 Depth=1
	v_cmp_ne_u16_e32 vcc, s9, v46
	v_bfrev_b32_e32 v49, 1
	s_and_saveexec_b64 s[18:19], vcc
	s_cbranch_execz .LBB638_512
; %bb.509:                              ;   in Loop: Header=BB638_213 Depth=1
	v_and_b32_e32 v57, 0x7f, v46
	v_cmp_ne_u32_e32 vcc, s22, v57
	v_mov_b32_e32 v49, 0x7f800001
	s_and_saveexec_b64 s[20:21], vcc
	s_cbranch_execz .LBB638_511
; %bb.510:                              ;   in Loop: Header=BB638_213 Depth=1
	v_and_b32_e32 v49, 7, v46
	v_ffbh_u32_e32 v58, v49
	v_min_u32_e32 v61, 32, v58
	v_subrev_u32_e32 v58, 28, v61
	v_lshlrev_b64 v[58:59], v58, v[46:47]
	v_lshrrev_b32_e32 v60, 3, v57
	v_sub_u32_e32 v46, 29, v61
	v_and_b32_e32 v58, 7, v58
	v_cmp_gt_u32_e32 vcc, 8, v57
	v_cndmask_b32_e32 v46, v60, v46, vcc
	v_cndmask_b32_e32 v49, v49, v58, vcc
	v_lshlrev_b32_e32 v57, 16, v44
	v_lshlrev_b32_e32 v49, 20, v49
	v_and_b32_e32 v57, 0x80000000, v57
	v_lshl_add_u32 v46, v46, 23, v45
	v_or3_b32 v49, v57, v46, v49
.LBB638_511:                            ;   in Loop: Header=BB638_213 Depth=1
	s_or_b64 exec, exec, s[20:21]
.LBB638_512:                            ;   in Loop: Header=BB638_213 Depth=1
	s_or_b64 exec, exec, s[18:19]
.LBB638_513:                            ;   in Loop: Header=BB638_213 Depth=1
	s_or_b64 exec, exec, s[16:17]
	v_lshrrev_b32_e32 v46, 16, v44
	v_cmp_ne_u16_sdwa s[18:19], v46, v39 src0_sel:BYTE_0 src1_sel:DWORD
	s_and_saveexec_b64 s[16:17], s[18:19]
	s_cbranch_execz .LBB638_519
; %bb.514:                              ;   in Loop: Header=BB638_213 Depth=1
	v_cmp_ne_u16_sdwa s[20:21], v46, s9 src0_sel:BYTE_0 src1_sel:DWORD
	v_bfrev_b32_e32 v48, 1
	s_and_saveexec_b64 s[18:19], s[20:21]
	s_cbranch_execz .LBB638_518
; %bb.515:                              ;   in Loop: Header=BB638_213 Depth=1
	v_bfe_u32 v57, v44, 16, 7
	v_cmp_ne_u32_e32 vcc, s22, v57
	v_mov_b32_e32 v48, 0x7f800001
	s_and_saveexec_b64 s[20:21], vcc
	s_cbranch_execz .LBB638_517
; %bb.516:                              ;   in Loop: Header=BB638_213 Depth=1
	v_and_b32_e32 v48, 7, v46
	v_ffbh_u32_e32 v58, v48
	v_min_u32_e32 v61, 32, v58
	v_subrev_u32_e32 v58, 28, v61
	v_lshlrev_b64 v[58:59], v58, v[46:47]
	v_lshrrev_b32_e32 v60, 3, v57
	v_sub_u32_e32 v59, 29, v61
	v_and_b32_e32 v58, 7, v58
	v_cmp_gt_u32_e32 vcc, 8, v57
	v_cndmask_b32_e32 v57, v60, v59, vcc
	v_cndmask_b32_e32 v48, v48, v58, vcc
	v_lshlrev_b32_e32 v46, 24, v46
	v_lshlrev_b32_e32 v48, 20, v48
	v_and_b32_e32 v46, 0x80000000, v46
	v_lshl_add_u32 v57, v57, 23, v45
	v_or3_b32 v48, v46, v57, v48
.LBB638_517:                            ;   in Loop: Header=BB638_213 Depth=1
	s_or_b64 exec, exec, s[20:21]
.LBB638_518:                            ;   in Loop: Header=BB638_213 Depth=1
	s_or_b64 exec, exec, s[18:19]
.LBB638_519:                            ;   in Loop: Header=BB638_213 Depth=1
	s_or_b64 exec, exec, s[16:17]
	v_cmp_lt_u32_e32 vcc, s23, v44
	v_mov_b32_e32 v57, 0
	v_mov_b32_e32 v58, 0
	s_and_saveexec_b64 s[16:17], vcc
	s_cbranch_execz .LBB638_525
; %bb.520:                              ;   in Loop: Header=BB638_213 Depth=1
	v_lshrrev_b32_e32 v46, 24, v44
	v_cmp_ne_u32_e32 vcc, s9, v46
	v_bfrev_b32_e32 v58, 1
	s_and_saveexec_b64 s[18:19], vcc
	s_cbranch_execz .LBB638_524
; %bb.521:                              ;   in Loop: Header=BB638_213 Depth=1
	v_bfe_u32 v44, v44, 24, 7
	v_cmp_ne_u32_e32 vcc, s22, v44
	v_mov_b32_e32 v58, 0x7f800001
	s_and_saveexec_b64 s[20:21], vcc
	s_cbranch_execz .LBB638_523
; %bb.522:                              ;   in Loop: Header=BB638_213 Depth=1
	v_and_b32_e32 v60, 7, v46
	v_ffbh_u32_e32 v58, v60
	v_min_u32_e32 v62, 32, v58
	v_subrev_u32_e32 v58, 28, v62
	v_lshlrev_b64 v[58:59], v58, v[46:47]
	v_lshrrev_b32_e32 v61, 3, v44
	v_sub_u32_e32 v59, 29, v62
	v_and_b32_e32 v58, 7, v58
	v_cmp_gt_u32_e32 vcc, 8, v44
	v_cndmask_b32_e32 v44, v61, v59, vcc
	v_cndmask_b32_e32 v58, v60, v58, vcc
	v_lshlrev_b32_e32 v46, 24, v46
	v_lshlrev_b32_e32 v58, 20, v58
	v_and_b32_e32 v46, 0x80000000, v46
	v_lshl_add_u32 v44, v44, 23, v45
	v_or3_b32 v58, v46, v44, v58
.LBB638_523:                            ;   in Loop: Header=BB638_213 Depth=1
	s_or_b64 exec, exec, s[20:21]
.LBB638_524:                            ;   in Loop: Header=BB638_213 Depth=1
	s_or_b64 exec, exec, s[18:19]
.LBB638_525:                            ;   in Loop: Header=BB638_213 Depth=1
	s_or_b64 exec, exec, s[16:17]
	s_waitcnt vmcnt(2)
	v_cmp_ne_u16_sdwa s[18:19], v42, v39 src0_sel:BYTE_0 src1_sel:DWORD
	s_and_saveexec_b64 s[16:17], s[18:19]
	s_cbranch_execz .LBB638_531
; %bb.526:                              ;   in Loop: Header=BB638_213 Depth=1
	v_cmp_ne_u16_sdwa s[20:21], v42, s9 src0_sel:BYTE_0 src1_sel:DWORD
	v_bfrev_b32_e32 v57, 1
	s_and_saveexec_b64 s[18:19], s[20:21]
	s_cbranch_execz .LBB638_530
; %bb.527:                              ;   in Loop: Header=BB638_213 Depth=1
	v_and_b32_e32 v44, 0x7f, v42
	v_cmp_ne_u32_e32 vcc, s22, v44
	v_mov_b32_e32 v57, 0x7f800001
	s_and_saveexec_b64 s[20:21], vcc
	s_cbranch_execz .LBB638_529
; %bb.528:                              ;   in Loop: Header=BB638_213 Depth=1
	v_and_b32_e32 v46, 7, v42
	v_ffbh_u32_e32 v59, v46
	v_min_u32_e32 v59, 32, v59
	v_subrev_u32_e32 v60, 28, v59
	v_lshlrev_b64 v[60:61], v60, v[42:43]
	v_lshrrev_b32_e32 v57, 3, v44
	v_sub_u32_e32 v59, 29, v59
	v_and_b32_e32 v60, 7, v60
	v_cmp_gt_u32_e32 vcc, 8, v44
	v_cndmask_b32_e32 v44, v57, v59, vcc
	v_cndmask_b32_e32 v46, v46, v60, vcc
	v_lshlrev_b32_e32 v57, 24, v42
	v_lshlrev_b32_e32 v46, 20, v46
	v_and_b32_e32 v57, 0x80000000, v57
	v_lshl_add_u32 v44, v44, 23, v45
	v_or3_b32 v57, v57, v44, v46
.LBB638_529:                            ;   in Loop: Header=BB638_213 Depth=1
	s_or_b64 exec, exec, s[20:21]
.LBB638_530:                            ;   in Loop: Header=BB638_213 Depth=1
	s_or_b64 exec, exec, s[18:19]
.LBB638_531:                            ;   in Loop: Header=BB638_213 Depth=1
	s_or_b64 exec, exec, s[16:17]
	v_lshrrev_b16_e32 v44, 8, v42
	v_cmp_ne_u16_e32 vcc, 0, v44
	v_mov_b32_e32 v59, 0
	v_mov_b32_e32 v60, 0
	s_and_saveexec_b64 s[16:17], vcc
	s_cbranch_execz .LBB638_537
; %bb.532:                              ;   in Loop: Header=BB638_213 Depth=1
	v_cmp_ne_u16_e32 vcc, s9, v44
	v_bfrev_b32_e32 v60, 1
	s_and_saveexec_b64 s[18:19], vcc
	s_cbranch_execz .LBB638_536
; %bb.533:                              ;   in Loop: Header=BB638_213 Depth=1
	v_and_b32_e32 v46, 0x7f, v44
	v_cmp_ne_u32_e32 vcc, s22, v46
	v_mov_b32_e32 v60, 0x7f800001
	s_and_saveexec_b64 s[20:21], vcc
	s_cbranch_execz .LBB638_535
; %bb.534:                              ;   in Loop: Header=BB638_213 Depth=1
	v_and_b32_e32 v62, 7, v44
	v_ffbh_u32_e32 v60, v62
	v_min_u32_e32 v64, 32, v60
	v_subrev_u32_e32 v60, 28, v64
	v_lshlrev_b64 v[60:61], v60, v[44:45]
	v_lshrrev_b32_e32 v63, 3, v46
	v_sub_u32_e32 v44, 29, v64
	v_and_b32_e32 v60, 7, v60
	v_cmp_gt_u32_e32 vcc, 8, v46
	v_cndmask_b32_e32 v44, v63, v44, vcc
	v_cndmask_b32_e32 v46, v62, v60, vcc
	v_lshlrev_b32_e32 v60, 16, v42
	v_lshlrev_b32_e32 v46, 20, v46
	v_and_b32_e32 v60, 0x80000000, v60
	v_lshl_add_u32 v44, v44, 23, v45
	v_or3_b32 v60, v60, v44, v46
.LBB638_535:                            ;   in Loop: Header=BB638_213 Depth=1
	s_or_b64 exec, exec, s[20:21]
.LBB638_536:                            ;   in Loop: Header=BB638_213 Depth=1
	s_or_b64 exec, exec, s[18:19]
.LBB638_537:                            ;   in Loop: Header=BB638_213 Depth=1
	s_or_b64 exec, exec, s[16:17]
	v_lshrrev_b32_e32 v44, 16, v42
	v_cmp_ne_u16_sdwa s[18:19], v44, v39 src0_sel:BYTE_0 src1_sel:DWORD
	s_and_saveexec_b64 s[16:17], s[18:19]
	s_cbranch_execz .LBB638_543
; %bb.538:                              ;   in Loop: Header=BB638_213 Depth=1
	v_cmp_ne_u16_sdwa s[20:21], v44, s9 src0_sel:BYTE_0 src1_sel:DWORD
	v_bfrev_b32_e32 v59, 1
	s_and_saveexec_b64 s[18:19], s[20:21]
	s_cbranch_execz .LBB638_542
; %bb.539:                              ;   in Loop: Header=BB638_213 Depth=1
	v_bfe_u32 v46, v42, 16, 7
	v_cmp_ne_u32_e32 vcc, s22, v46
	v_mov_b32_e32 v59, 0x7f800001
	s_and_saveexec_b64 s[20:21], vcc
	s_cbranch_execz .LBB638_541
; %bb.540:                              ;   in Loop: Header=BB638_213 Depth=1
	v_and_b32_e32 v59, 7, v44
	v_ffbh_u32_e32 v62, v59
	v_min_u32_e32 v64, 32, v62
	v_subrev_u32_e32 v62, 28, v64
	v_lshlrev_b64 v[62:63], v62, v[44:45]
	v_lshrrev_b32_e32 v61, 3, v46
	v_sub_u32_e32 v63, 29, v64
	v_and_b32_e32 v62, 7, v62
	v_cmp_gt_u32_e32 vcc, 8, v46
	v_cndmask_b32_e32 v46, v61, v63, vcc
	v_cndmask_b32_e32 v59, v59, v62, vcc
	v_lshlrev_b32_e32 v44, 24, v44
	v_lshlrev_b32_e32 v59, 20, v59
	v_and_b32_e32 v44, 0x80000000, v44
	v_lshl_add_u32 v46, v46, 23, v45
	v_or3_b32 v59, v44, v46, v59
.LBB638_541:                            ;   in Loop: Header=BB638_213 Depth=1
	s_or_b64 exec, exec, s[20:21]
.LBB638_542:                            ;   in Loop: Header=BB638_213 Depth=1
	s_or_b64 exec, exec, s[18:19]
.LBB638_543:                            ;   in Loop: Header=BB638_213 Depth=1
	s_or_b64 exec, exec, s[16:17]
	v_cmp_lt_u32_e32 vcc, s23, v42
	v_mov_b32_e32 v46, 0
	v_mov_b32_e32 v61, 0
	s_and_saveexec_b64 s[16:17], vcc
	s_cbranch_execz .LBB638_549
; %bb.544:                              ;   in Loop: Header=BB638_213 Depth=1
	v_lshrrev_b32_e32 v44, 24, v42
	v_cmp_ne_u32_e32 vcc, s9, v44
	v_bfrev_b32_e32 v61, 1
	s_and_saveexec_b64 s[18:19], vcc
	s_cbranch_execz .LBB638_548
; %bb.545:                              ;   in Loop: Header=BB638_213 Depth=1
	v_bfe_u32 v42, v42, 24, 7
	v_cmp_ne_u32_e32 vcc, s22, v42
	v_mov_b32_e32 v61, 0x7f800001
	s_and_saveexec_b64 s[20:21], vcc
	s_cbranch_execz .LBB638_547
; %bb.546:                              ;   in Loop: Header=BB638_213 Depth=1
	v_and_b32_e32 v61, 7, v44
	v_ffbh_u32_e32 v62, v61
	v_min_u32_e32 v65, 32, v62
	v_subrev_u32_e32 v62, 28, v65
	v_lshlrev_b64 v[62:63], v62, v[44:45]
	v_lshrrev_b32_e32 v64, 3, v42
	v_sub_u32_e32 v63, 29, v65
	v_and_b32_e32 v62, 7, v62
	v_cmp_gt_u32_e32 vcc, 8, v42
	v_cndmask_b32_e32 v42, v64, v63, vcc
	v_cndmask_b32_e32 v61, v61, v62, vcc
	v_lshlrev_b32_e32 v44, 24, v44
	v_lshlrev_b32_e32 v61, 20, v61
	v_and_b32_e32 v44, 0x80000000, v44
	v_lshl_add_u32 v42, v42, 23, v45
	v_or3_b32 v61, v44, v42, v61
.LBB638_547:                            ;   in Loop: Header=BB638_213 Depth=1
	s_or_b64 exec, exec, s[20:21]
.LBB638_548:                            ;   in Loop: Header=BB638_213 Depth=1
	s_or_b64 exec, exec, s[18:19]
.LBB638_549:                            ;   in Loop: Header=BB638_213 Depth=1
	s_or_b64 exec, exec, s[16:17]
	v_cvt_pkrtz_f16_f32 v62, v47, v49
	v_cvt_pkrtz_f16_f32 v63, v48, v58
	;; [unrolled: 1-line block ×4, first 2 shown]
	s_waitcnt vmcnt(1)
	v_cmp_ne_u16_sdwa s[18:19], v40, v39 src0_sel:BYTE_0 src1_sel:DWORD
	v_mfma_f32_16x16x16f16 v[34:37], v[62:63], v[26:27], v[34:37]
	v_mfma_f32_16x16x16f16 v[34:37], v[48:49], v[28:29], v[34:37]
	s_and_saveexec_b64 s[16:17], s[18:19]
	s_cbranch_execz .LBB638_555
; %bb.550:                              ;   in Loop: Header=BB638_213 Depth=1
	v_cmp_ne_u16_sdwa s[20:21], v40, s9 src0_sel:BYTE_0 src1_sel:DWORD
	v_bfrev_b32_e32 v46, 1
	s_and_saveexec_b64 s[18:19], s[20:21]
	s_cbranch_execz .LBB638_554
; %bb.551:                              ;   in Loop: Header=BB638_213 Depth=1
	v_and_b32_e32 v42, 0x7f, v40
	v_cmp_ne_u32_e32 vcc, s22, v42
	v_mov_b32_e32 v46, 0x7f800001
	s_and_saveexec_b64 s[20:21], vcc
	s_cbranch_execz .LBB638_553
; %bb.552:                              ;   in Loop: Header=BB638_213 Depth=1
	v_and_b32_e32 v44, 7, v40
	v_ffbh_u32_e32 v46, v44
	v_min_u32_e32 v49, 32, v46
	v_subrev_u32_e32 v46, 28, v49
	v_lshlrev_b64 v[46:47], v46, v[40:41]
	v_lshrrev_b32_e32 v48, 3, v42
	v_sub_u32_e32 v47, 29, v49
	v_and_b32_e32 v46, 7, v46
	v_cmp_gt_u32_e32 vcc, 8, v42
	v_cndmask_b32_e32 v42, v48, v47, vcc
	v_cndmask_b32_e32 v44, v44, v46, vcc
	v_lshlrev_b32_e32 v46, 24, v40
	v_lshlrev_b32_e32 v44, 20, v44
	v_and_b32_e32 v46, 0x80000000, v46
	v_lshl_add_u32 v42, v42, 23, v45
	v_or3_b32 v46, v46, v42, v44
.LBB638_553:                            ;   in Loop: Header=BB638_213 Depth=1
	s_or_b64 exec, exec, s[20:21]
.LBB638_554:                            ;   in Loop: Header=BB638_213 Depth=1
	s_or_b64 exec, exec, s[18:19]
.LBB638_555:                            ;   in Loop: Header=BB638_213 Depth=1
	s_or_b64 exec, exec, s[16:17]
	v_lshrrev_b16_e32 v42, 8, v40
	v_cmp_ne_u16_e32 vcc, 0, v42
	v_mov_b32_e32 v44, 0
	v_mov_b32_e32 v47, 0
	s_and_saveexec_b64 s[16:17], vcc
	s_cbranch_execz .LBB638_561
; %bb.556:                              ;   in Loop: Header=BB638_213 Depth=1
	v_cmp_ne_u16_e32 vcc, s9, v42
	v_bfrev_b32_e32 v47, 1
	s_and_saveexec_b64 s[18:19], vcc
	s_cbranch_execz .LBB638_560
; %bb.557:                              ;   in Loop: Header=BB638_213 Depth=1
	v_and_b32_e32 v48, 0x7f, v42
	v_cmp_ne_u32_e32 vcc, s22, v48
	v_mov_b32_e32 v47, 0x7f800001
	s_and_saveexec_b64 s[20:21], vcc
	s_cbranch_execz .LBB638_559
; %bb.558:                              ;   in Loop: Header=BB638_213 Depth=1
	v_and_b32_e32 v47, 7, v42
	v_ffbh_u32_e32 v57, v47
	v_min_u32_e32 v57, 32, v57
	v_subrev_u32_e32 v58, 28, v57
	v_lshlrev_b64 v[58:59], v58, v[42:43]
	v_lshrrev_b32_e32 v49, 3, v48
	v_sub_u32_e32 v42, 29, v57
	v_and_b32_e32 v57, 7, v58
	v_cmp_gt_u32_e32 vcc, 8, v48
	v_cndmask_b32_e32 v42, v49, v42, vcc
	v_cndmask_b32_e32 v47, v47, v57, vcc
	v_lshlrev_b32_e32 v48, 16, v40
	v_lshlrev_b32_e32 v47, 20, v47
	v_and_b32_e32 v48, 0x80000000, v48
	v_lshl_add_u32 v42, v42, 23, v45
	v_or3_b32 v47, v48, v42, v47
.LBB638_559:                            ;   in Loop: Header=BB638_213 Depth=1
	s_or_b64 exec, exec, s[20:21]
.LBB638_560:                            ;   in Loop: Header=BB638_213 Depth=1
	s_or_b64 exec, exec, s[18:19]
.LBB638_561:                            ;   in Loop: Header=BB638_213 Depth=1
	s_or_b64 exec, exec, s[16:17]
	v_lshrrev_b32_e32 v42, 16, v40
	v_cmp_ne_u16_sdwa s[18:19], v42, v39 src0_sel:BYTE_0 src1_sel:DWORD
	s_and_saveexec_b64 s[16:17], s[18:19]
	s_cbranch_execz .LBB638_567
; %bb.562:                              ;   in Loop: Header=BB638_213 Depth=1
	v_cmp_ne_u16_sdwa s[20:21], v42, s9 src0_sel:BYTE_0 src1_sel:DWORD
	v_bfrev_b32_e32 v44, 1
	s_and_saveexec_b64 s[18:19], s[20:21]
	s_cbranch_execz .LBB638_566
; %bb.563:                              ;   in Loop: Header=BB638_213 Depth=1
	v_bfe_u32 v48, v40, 16, 7
	v_cmp_ne_u32_e32 vcc, s22, v48
	v_mov_b32_e32 v44, 0x7f800001
	s_and_saveexec_b64 s[20:21], vcc
	s_cbranch_execz .LBB638_565
; %bb.564:                              ;   in Loop: Header=BB638_213 Depth=1
	v_and_b32_e32 v44, 7, v42
	v_ffbh_u32_e32 v57, v44
	v_min_u32_e32 v57, 32, v57
	v_subrev_u32_e32 v58, 28, v57
	v_lshlrev_b64 v[58:59], v58, v[42:43]
	v_lshrrev_b32_e32 v49, 3, v48
	v_sub_u32_e32 v57, 29, v57
	v_and_b32_e32 v58, 7, v58
	v_cmp_gt_u32_e32 vcc, 8, v48
	v_cndmask_b32_e32 v48, v49, v57, vcc
	v_cndmask_b32_e32 v44, v44, v58, vcc
	v_lshlrev_b32_e32 v42, 24, v42
	v_lshlrev_b32_e32 v44, 20, v44
	v_and_b32_e32 v42, 0x80000000, v42
	v_lshl_add_u32 v48, v48, 23, v45
	v_or3_b32 v44, v42, v48, v44
.LBB638_565:                            ;   in Loop: Header=BB638_213 Depth=1
	s_or_b64 exec, exec, s[20:21]
.LBB638_566:                            ;   in Loop: Header=BB638_213 Depth=1
	s_or_b64 exec, exec, s[18:19]
.LBB638_567:                            ;   in Loop: Header=BB638_213 Depth=1
	s_or_b64 exec, exec, s[16:17]
	v_cmp_lt_u32_e32 vcc, s23, v40
	v_mov_b32_e32 v48, 0
	v_mov_b32_e32 v49, 0
	s_and_saveexec_b64 s[16:17], vcc
	s_cbranch_execz .LBB638_573
; %bb.568:                              ;   in Loop: Header=BB638_213 Depth=1
	v_lshrrev_b32_e32 v42, 24, v40
	v_cmp_ne_u32_e32 vcc, s9, v42
	v_bfrev_b32_e32 v49, 1
	s_and_saveexec_b64 s[18:19], vcc
	s_cbranch_execz .LBB638_572
; %bb.569:                              ;   in Loop: Header=BB638_213 Depth=1
	v_bfe_u32 v40, v40, 24, 7
	v_cmp_ne_u32_e32 vcc, s22, v40
	v_mov_b32_e32 v49, 0x7f800001
	s_and_saveexec_b64 s[20:21], vcc
	s_cbranch_execz .LBB638_571
; %bb.570:                              ;   in Loop: Header=BB638_213 Depth=1
	v_and_b32_e32 v49, 7, v42
	v_ffbh_u32_e32 v58, v49
	v_min_u32_e32 v60, 32, v58
	v_subrev_u32_e32 v58, 28, v60
	v_lshlrev_b64 v[58:59], v58, v[42:43]
	v_lshrrev_b32_e32 v57, 3, v40
	v_sub_u32_e32 v59, 29, v60
	v_and_b32_e32 v58, 7, v58
	v_cmp_gt_u32_e32 vcc, 8, v40
	v_cndmask_b32_e32 v40, v57, v59, vcc
	v_cndmask_b32_e32 v49, v49, v58, vcc
	v_lshlrev_b32_e32 v42, 24, v42
	v_lshlrev_b32_e32 v49, 20, v49
	v_and_b32_e32 v42, 0x80000000, v42
	v_lshl_add_u32 v40, v40, 23, v45
	v_or3_b32 v49, v42, v40, v49
.LBB638_571:                            ;   in Loop: Header=BB638_213 Depth=1
	s_or_b64 exec, exec, s[20:21]
.LBB638_572:                            ;   in Loop: Header=BB638_213 Depth=1
	s_or_b64 exec, exec, s[18:19]
.LBB638_573:                            ;   in Loop: Header=BB638_213 Depth=1
	s_or_b64 exec, exec, s[16:17]
	s_waitcnt vmcnt(0)
	v_cmp_ne_u16_sdwa s[18:19], v38, v39 src0_sel:BYTE_0 src1_sel:DWORD
	s_and_saveexec_b64 s[16:17], s[18:19]
	s_cbranch_execz .LBB638_579
; %bb.574:                              ;   in Loop: Header=BB638_213 Depth=1
	v_cmp_ne_u16_sdwa s[20:21], v38, s9 src0_sel:BYTE_0 src1_sel:DWORD
	v_bfrev_b32_e32 v48, 1
	s_and_saveexec_b64 s[18:19], s[20:21]
	s_cbranch_execz .LBB638_578
; %bb.575:                              ;   in Loop: Header=BB638_213 Depth=1
	v_and_b32_e32 v40, 0x7f, v38
	v_cmp_ne_u32_e32 vcc, s22, v40
	v_mov_b32_e32 v48, 0x7f800001
	s_and_saveexec_b64 s[20:21], vcc
	s_cbranch_execz .LBB638_577
; %bb.576:                              ;   in Loop: Header=BB638_213 Depth=1
	v_and_b32_e32 v42, 7, v38
	v_ffbh_u32_e32 v57, v42
	v_min_u32_e32 v57, 32, v57
	v_subrev_u32_e32 v58, 28, v57
	v_lshlrev_b64 v[58:59], v58, v[38:39]
	v_lshrrev_b32_e32 v48, 3, v40
	v_sub_u32_e32 v57, 29, v57
	v_and_b32_e32 v58, 7, v58
	v_cmp_gt_u32_e32 vcc, 8, v40
	v_cndmask_b32_e32 v40, v48, v57, vcc
	v_cndmask_b32_e32 v42, v42, v58, vcc
	v_lshlrev_b32_e32 v48, 24, v38
	v_lshlrev_b32_e32 v42, 20, v42
	v_and_b32_e32 v48, 0x80000000, v48
	v_lshl_add_u32 v40, v40, 23, v45
	v_or3_b32 v48, v48, v40, v42
.LBB638_577:                            ;   in Loop: Header=BB638_213 Depth=1
	s_or_b64 exec, exec, s[20:21]
.LBB638_578:                            ;   in Loop: Header=BB638_213 Depth=1
	s_or_b64 exec, exec, s[18:19]
.LBB638_579:                            ;   in Loop: Header=BB638_213 Depth=1
	s_or_b64 exec, exec, s[16:17]
	v_lshrrev_b16_e32 v40, 8, v38
	v_cmp_ne_u16_e32 vcc, 0, v40
	v_mov_b32_e32 v42, 0
	v_mov_b32_e32 v57, 0
	s_and_saveexec_b64 s[16:17], vcc
	s_cbranch_execz .LBB638_585
; %bb.580:                              ;   in Loop: Header=BB638_213 Depth=1
	v_cmp_ne_u16_e32 vcc, s9, v40
	v_bfrev_b32_e32 v57, 1
	s_and_saveexec_b64 s[18:19], vcc
	s_cbranch_execz .LBB638_584
; %bb.581:                              ;   in Loop: Header=BB638_213 Depth=1
	v_and_b32_e32 v58, 0x7f, v40
	v_cmp_ne_u32_e32 vcc, s22, v58
	v_mov_b32_e32 v57, 0x7f800001
	s_and_saveexec_b64 s[20:21], vcc
	s_cbranch_execz .LBB638_583
; %bb.582:                              ;   in Loop: Header=BB638_213 Depth=1
	v_and_b32_e32 v57, 7, v40
	v_ffbh_u32_e32 v60, v57
	v_min_u32_e32 v62, 32, v60
	v_subrev_u32_e32 v60, 28, v62
	v_lshlrev_b64 v[60:61], v60, v[40:41]
	v_lshrrev_b32_e32 v59, 3, v58
	v_sub_u32_e32 v40, 29, v62
	v_and_b32_e32 v60, 7, v60
	v_cmp_gt_u32_e32 vcc, 8, v58
	v_cndmask_b32_e32 v40, v59, v40, vcc
	v_cndmask_b32_e32 v57, v57, v60, vcc
	v_lshlrev_b32_e32 v58, 16, v38
	v_lshlrev_b32_e32 v57, 20, v57
	v_and_b32_e32 v58, 0x80000000, v58
	v_lshl_add_u32 v40, v40, 23, v45
	v_or3_b32 v57, v58, v40, v57
.LBB638_583:                            ;   in Loop: Header=BB638_213 Depth=1
	s_or_b64 exec, exec, s[20:21]
.LBB638_584:                            ;   in Loop: Header=BB638_213 Depth=1
	s_or_b64 exec, exec, s[18:19]
.LBB638_585:                            ;   in Loop: Header=BB638_213 Depth=1
	s_or_b64 exec, exec, s[16:17]
	v_lshrrev_b32_e32 v40, 16, v38
	v_cmp_ne_u16_sdwa s[18:19], v40, v39 src0_sel:BYTE_0 src1_sel:DWORD
	s_and_saveexec_b64 s[16:17], s[18:19]
	s_cbranch_execz .LBB638_591
; %bb.586:                              ;   in Loop: Header=BB638_213 Depth=1
	v_cmp_ne_u16_sdwa s[20:21], v40, s9 src0_sel:BYTE_0 src1_sel:DWORD
	v_bfrev_b32_e32 v42, 1
	s_and_saveexec_b64 s[18:19], s[20:21]
	s_cbranch_execz .LBB638_590
; %bb.587:                              ;   in Loop: Header=BB638_213 Depth=1
	v_bfe_u32 v58, v38, 16, 7
	v_cmp_ne_u32_e32 vcc, s22, v58
	v_mov_b32_e32 v42, 0x7f800001
	s_and_saveexec_b64 s[20:21], vcc
	s_cbranch_execz .LBB638_589
; %bb.588:                              ;   in Loop: Header=BB638_213 Depth=1
	v_and_b32_e32 v42, 7, v40
	v_ffbh_u32_e32 v60, v42
	v_min_u32_e32 v62, 32, v60
	v_subrev_u32_e32 v60, 28, v62
	v_lshlrev_b64 v[60:61], v60, v[40:41]
	v_lshrrev_b32_e32 v59, 3, v58
	v_sub_u32_e32 v61, 29, v62
	v_and_b32_e32 v60, 7, v60
	v_cmp_gt_u32_e32 vcc, 8, v58
	v_cndmask_b32_e32 v58, v59, v61, vcc
	v_cndmask_b32_e32 v42, v42, v60, vcc
	v_lshlrev_b32_e32 v40, 24, v40
	v_lshlrev_b32_e32 v42, 20, v42
	v_and_b32_e32 v40, 0x80000000, v40
	v_lshl_add_u32 v58, v58, 23, v45
	v_or3_b32 v42, v40, v58, v42
.LBB638_589:                            ;   in Loop: Header=BB638_213 Depth=1
	s_or_b64 exec, exec, s[20:21]
.LBB638_590:                            ;   in Loop: Header=BB638_213 Depth=1
	s_or_b64 exec, exec, s[18:19]
.LBB638_591:                            ;   in Loop: Header=BB638_213 Depth=1
	s_or_b64 exec, exec, s[16:17]
	v_cmp_lt_u32_e32 vcc, s23, v38
	v_mov_b32_e32 v58, 0
	s_and_saveexec_b64 s[16:17], vcc
	s_cbranch_execz .LBB638_212
; %bb.592:                              ;   in Loop: Header=BB638_213 Depth=1
	v_lshrrev_b32_e32 v40, 24, v38
	v_cmp_ne_u32_e32 vcc, s9, v40
	v_bfrev_b32_e32 v58, 1
	s_and_saveexec_b64 s[18:19], vcc
	s_cbranch_execz .LBB638_211
; %bb.593:                              ;   in Loop: Header=BB638_213 Depth=1
	v_bfe_u32 v38, v38, 24, 7
	v_cmp_ne_u32_e32 vcc, s22, v38
	v_mov_b32_e32 v58, 0x7f800001
	s_and_saveexec_b64 s[20:21], vcc
	s_cbranch_execz .LBB638_210
; %bb.594:                              ;   in Loop: Header=BB638_213 Depth=1
	v_and_b32_e32 v60, 7, v40
	v_ffbh_u32_e32 v58, v60
	v_min_u32_e32 v62, 32, v58
	v_subrev_u32_e32 v58, 28, v62
	v_lshlrev_b64 v[58:59], v58, v[40:41]
	v_lshrrev_b32_e32 v61, 3, v38
	v_sub_u32_e32 v59, 29, v62
	v_and_b32_e32 v58, 7, v58
	v_cmp_gt_u32_e32 vcc, 8, v38
	v_cndmask_b32_e32 v38, v61, v59, vcc
	v_cndmask_b32_e32 v58, v60, v58, vcc
	v_lshlrev_b32_e32 v40, 24, v40
	v_lshlrev_b32_e32 v58, 20, v58
	v_and_b32_e32 v40, 0x80000000, v40
	v_lshl_add_u32 v38, v38, 23, v45
	v_or3_b32 v58, v40, v38, v58
	s_branch .LBB638_210
.LBB638_595:
	s_barrier
	buffer_load_dword v2, off, s[0:3], 0 offset:320
	buffer_load_dword v5, off, s[0:3], 0 offset:332
	;; [unrolled: 1-line block ×4, first 2 shown]
	v_cmp_gt_u32_e32 vcc, 64, v0
	s_xor_b64 s[4:5], s[4:5], -1
	s_and_b64 s[4:5], vcc, s[4:5]
	s_waitcnt vmcnt(0)
	ds_write2st64_b64 v41, v[2:3], v[4:5] offset1:1
	s_waitcnt lgkmcnt(0)
	s_barrier
	s_and_saveexec_b64 s[6:7], s[4:5]
	s_cbranch_execz .LBB638_597
; %bb.596:
	s_mul_i32 s4, s51, s8
	s_lshl_b32 s6, s50, 7
	s_mul_hi_u32 s5, s4, s6
	s_mul_i32 s4, s4, s6
	v_lshlrev_b32_e32 v4, 6, v51
	s_lshl_b64 s[4:5], s[4:5], 1
	v_lshl_or_b32 v0, v0, 10, v4
	s_add_u32 s7, s48, s4
	v_lshlrev_b32_e32 v2, 5, v50
	v_and_b32_e32 v3, 16, v52
	v_and_b32_e32 v0, 0x1a00, v0
	s_addc_u32 s8, s49, s5
	s_lshl_b32 s4, s11, 7
	s_mov_b32 s5, 0
	v_or3_b32 v0, v0, v2, v3
	s_lshl_b64 s[4:5], s[4:5], 1
	ds_read_b128 v[2:5], v0
	s_add_u32 s7, s7, s4
	s_addc_u32 s8, s8, s5
	s_mul_hi_u32 s5, s6, s10
	s_mul_i32 s4, s6, s10
	s_lshl_b64 s[4:5], s[4:5], 1
	s_add_u32 s4, s7, s4
	s_addc_u32 s5, s8, s5
	s_waitcnt lgkmcnt(0)
	global_store_dwordx4 v1, v[2:5], s[4:5]
.LBB638_597:
	s_endpgm
	.section	.rodata,"a",@progbits
	.p2align	6, 0x0
	.amdhsa_kernel _Z39paged_attention_ll4mi_QKV_mfma16_kernelIDF16_hLN4vllm18Fp8KVCacheDataTypeE1EDF16_Li16ELi128ELi256ELb0ELi1EL8MFMAType0EEvPKT_PKT0_S8_ifPKiSA_SA_iPKfiiiPfSD_PS3_PT2_iSC_SC_
		.amdhsa_group_segment_fixed_size 8192
		.amdhsa_private_segment_fixed_size 352
		.amdhsa_kernarg_size 400
		.amdhsa_user_sgpr_count 8
		.amdhsa_user_sgpr_private_segment_buffer 1
		.amdhsa_user_sgpr_dispatch_ptr 0
		.amdhsa_user_sgpr_queue_ptr 0
		.amdhsa_user_sgpr_kernarg_segment_ptr 1
		.amdhsa_user_sgpr_dispatch_id 0
		.amdhsa_user_sgpr_flat_scratch_init 1
		.amdhsa_user_sgpr_kernarg_preload_length 0
		.amdhsa_user_sgpr_kernarg_preload_offset 0
		.amdhsa_user_sgpr_private_segment_size 0
		.amdhsa_uses_dynamic_stack 0
		.amdhsa_system_sgpr_private_segment_wavefront_offset 1
		.amdhsa_system_sgpr_workgroup_id_x 1
		.amdhsa_system_sgpr_workgroup_id_y 1
		.amdhsa_system_sgpr_workgroup_id_z 1
		.amdhsa_system_sgpr_workgroup_info 0
		.amdhsa_system_vgpr_workitem_id 0
		.amdhsa_next_free_vgpr 80
		.amdhsa_next_free_sgpr 53
		.amdhsa_accum_offset 80
		.amdhsa_reserve_vcc 1
		.amdhsa_reserve_flat_scratch 0
		.amdhsa_float_round_mode_32 0
		.amdhsa_float_round_mode_16_64 0
		.amdhsa_float_denorm_mode_32 3
		.amdhsa_float_denorm_mode_16_64 3
		.amdhsa_dx10_clamp 1
		.amdhsa_ieee_mode 1
		.amdhsa_fp16_overflow 0
		.amdhsa_tg_split 0
		.amdhsa_exception_fp_ieee_invalid_op 0
		.amdhsa_exception_fp_denorm_src 0
		.amdhsa_exception_fp_ieee_div_zero 0
		.amdhsa_exception_fp_ieee_overflow 0
		.amdhsa_exception_fp_ieee_underflow 0
		.amdhsa_exception_fp_ieee_inexact 0
		.amdhsa_exception_int_div_zero 0
	.end_amdhsa_kernel
	.section	.text._Z39paged_attention_ll4mi_QKV_mfma16_kernelIDF16_hLN4vllm18Fp8KVCacheDataTypeE1EDF16_Li16ELi128ELi256ELb0ELi1EL8MFMAType0EEvPKT_PKT0_S8_ifPKiSA_SA_iPKfiiiPfSD_PS3_PT2_iSC_SC_,"axG",@progbits,_Z39paged_attention_ll4mi_QKV_mfma16_kernelIDF16_hLN4vllm18Fp8KVCacheDataTypeE1EDF16_Li16ELi128ELi256ELb0ELi1EL8MFMAType0EEvPKT_PKT0_S8_ifPKiSA_SA_iPKfiiiPfSD_PS3_PT2_iSC_SC_,comdat
.Lfunc_end638:
	.size	_Z39paged_attention_ll4mi_QKV_mfma16_kernelIDF16_hLN4vllm18Fp8KVCacheDataTypeE1EDF16_Li16ELi128ELi256ELb0ELi1EL8MFMAType0EEvPKT_PKT0_S8_ifPKiSA_SA_iPKfiiiPfSD_PS3_PT2_iSC_SC_, .Lfunc_end638-_Z39paged_attention_ll4mi_QKV_mfma16_kernelIDF16_hLN4vllm18Fp8KVCacheDataTypeE1EDF16_Li16ELi128ELi256ELb0ELi1EL8MFMAType0EEvPKT_PKT0_S8_ifPKiSA_SA_iPKfiiiPfSD_PS3_PT2_iSC_SC_
                                        ; -- End function
	.section	.AMDGPU.csdata,"",@progbits
; Kernel info:
; codeLenInByte = 20996
; NumSgprs: 57
; NumVgprs: 80
; NumAgprs: 0
; TotalNumVgprs: 80
; ScratchSize: 352
; MemoryBound: 0
; FloatMode: 240
; IeeeMode: 1
; LDSByteSize: 8192 bytes/workgroup (compile time only)
; SGPRBlocks: 7
; VGPRBlocks: 9
; NumSGPRsForWavesPerEU: 57
; NumVGPRsForWavesPerEU: 80
; AccumOffset: 80
; Occupancy: 6
; WaveLimiterHint : 1
; COMPUTE_PGM_RSRC2:SCRATCH_EN: 1
; COMPUTE_PGM_RSRC2:USER_SGPR: 8
; COMPUTE_PGM_RSRC2:TRAP_HANDLER: 0
; COMPUTE_PGM_RSRC2:TGID_X_EN: 1
; COMPUTE_PGM_RSRC2:TGID_Y_EN: 1
; COMPUTE_PGM_RSRC2:TGID_Z_EN: 1
; COMPUTE_PGM_RSRC2:TIDIG_COMP_CNT: 0
; COMPUTE_PGM_RSRC3_GFX90A:ACCUM_OFFSET: 19
; COMPUTE_PGM_RSRC3_GFX90A:TG_SPLIT: 0
	.section	.text._Z39paged_attention_ll4mi_QKV_mfma16_kernelIDF16_hLN4vllm18Fp8KVCacheDataTypeE1EDF16_Li16ELi128ELi256ELb0ELi2EL8MFMAType0EEvPKT_PKT0_S8_ifPKiSA_SA_iPKfiiiPfSD_PS3_PT2_iSC_SC_,"axG",@progbits,_Z39paged_attention_ll4mi_QKV_mfma16_kernelIDF16_hLN4vllm18Fp8KVCacheDataTypeE1EDF16_Li16ELi128ELi256ELb0ELi2EL8MFMAType0EEvPKT_PKT0_S8_ifPKiSA_SA_iPKfiiiPfSD_PS3_PT2_iSC_SC_,comdat
	.protected	_Z39paged_attention_ll4mi_QKV_mfma16_kernelIDF16_hLN4vllm18Fp8KVCacheDataTypeE1EDF16_Li16ELi128ELi256ELb0ELi2EL8MFMAType0EEvPKT_PKT0_S8_ifPKiSA_SA_iPKfiiiPfSD_PS3_PT2_iSC_SC_ ; -- Begin function _Z39paged_attention_ll4mi_QKV_mfma16_kernelIDF16_hLN4vllm18Fp8KVCacheDataTypeE1EDF16_Li16ELi128ELi256ELb0ELi2EL8MFMAType0EEvPKT_PKT0_S8_ifPKiSA_SA_iPKfiiiPfSD_PS3_PT2_iSC_SC_
	.globl	_Z39paged_attention_ll4mi_QKV_mfma16_kernelIDF16_hLN4vllm18Fp8KVCacheDataTypeE1EDF16_Li16ELi128ELi256ELb0ELi2EL8MFMAType0EEvPKT_PKT0_S8_ifPKiSA_SA_iPKfiiiPfSD_PS3_PT2_iSC_SC_
	.p2align	8
	.type	_Z39paged_attention_ll4mi_QKV_mfma16_kernelIDF16_hLN4vllm18Fp8KVCacheDataTypeE1EDF16_Li16ELi128ELi256ELb0ELi2EL8MFMAType0EEvPKT_PKT0_S8_ifPKiSA_SA_iPKfiiiPfSD_PS3_PT2_iSC_SC_,@function
_Z39paged_attention_ll4mi_QKV_mfma16_kernelIDF16_hLN4vllm18Fp8KVCacheDataTypeE1EDF16_Li16ELi128ELi256ELb0ELi2EL8MFMAType0EEvPKT_PKT0_S8_ifPKiSA_SA_iPKfiiiPfSD_PS3_PT2_iSC_SC_: ; @_Z39paged_attention_ll4mi_QKV_mfma16_kernelIDF16_hLN4vllm18Fp8KVCacheDataTypeE1EDF16_Li16ELi128ELi256ELb0ELi2EL8MFMAType0EEvPKT_PKT0_S8_ifPKiSA_SA_iPKfiiiPfSD_PS3_PT2_iSC_SC_
; %bb.0:
	s_load_dwordx2 s[6:7], s[4:5], 0x30
	s_add_u32 s0, s0, s11
	s_addc_u32 s1, s1, 0
	s_mov_b32 s24, s9
	s_mov_b64 s[12:13], 0
	s_waitcnt lgkmcnt(0)
	s_cmp_lg_u64 s[6:7], 0
	s_cselect_b64 s[16:17], -1, 0
	s_and_b64 vcc, exec, s[16:17]
	s_cbranch_vccz .LBB639_7
; %bb.1:
	s_add_i32 s14, s8, 1
	s_mov_b32 s15, 0
	s_lshl_b64 s[18:19], s[14:15], 2
	s_add_u32 s18, s6, s18
	s_mov_b32 s9, s15
	s_addc_u32 s19, s7, s19
	s_lshl_b64 s[14:15], s[8:9], 2
	s_add_u32 s14, s6, s14
	s_addc_u32 s15, s7, s15
	s_load_dword s11, s[18:19], 0x0
	s_load_dword s20, s[14:15], 0x0
	s_waitcnt lgkmcnt(0)
	s_sub_i32 s11, s11, s20
	s_cmp_eq_u32 s11, 1
	s_cselect_b64 s[14:15], -1, 0
	s_andn2_b64 vcc, exec, s[12:13]
	s_cbranch_vccnz .LBB639_3
.LBB639_2:
	s_mov_b32 s9, 0
	s_mov_b64 s[14:15], -1
.LBB639_3:
	s_andn2_b64 vcc, exec, s[14:15]
	s_cbranch_vccnz .LBB639_597
; %bb.4:
	s_load_dwordx2 s[12:13], s[4:5], 0x28
	s_lshl_b64 s[18:19], s[8:9], 2
	s_waitcnt lgkmcnt(0)
	s_add_u32 s12, s12, s18
	s_addc_u32 s13, s13, s19
	s_load_dword s33, s[12:13], 0x0
	s_lshl_b32 s20, s24, 8
	s_waitcnt lgkmcnt(0)
	s_cmp_ge_i32 s20, s33
	s_cbranch_scc1 .LBB639_597
; %bb.5:
	s_add_i32 s14, s33, 15
	s_load_dwordx2 s[12:13], s[4:5], 0x20
	s_load_dword s11, s[4:5], 0x38
	s_ashr_i32 s15, s14, 31
	v_and_b32_e32 v1, 0xcf, v0
	s_lshr_b32 s15, s15, 28
	v_add_u32_e32 v1, s20, v1
	s_add_i32 s14, s14, s15
	v_ashrrev_i32_e32 v2, 31, v1
	s_ashr_i32 s22, s14, 4
	v_lshrrev_b32_e32 v10, 28, v2
	s_add_i32 s22, s22, -1
	v_add_u32_e32 v2, v1, v10
	s_waitcnt lgkmcnt(0)
	s_mul_i32 s14, s8, s11
	s_mov_b32 s15, 0
	v_ashrrev_i32_e32 v2, 4, v2
	v_mov_b32_e32 v11, s22
	v_cmp_gt_i32_e32 vcc, s33, v1
	s_lshl_b64 s[14:15], s[14:15], 2
	v_cndmask_b32_e32 v2, v11, v2, vcc
	s_add_u32 s11, s12, s14
	v_ashrrev_i32_e32 v3, 31, v2
	s_addc_u32 s21, s13, s15
	v_lshlrev_b64 v[2:3], 2, v[2:3]
	v_mov_b32_e32 v5, s21
	v_add_co_u32_e32 v4, vcc, s11, v2
	v_or_b32_e32 v2, 16, v1
	v_addc_co_u32_e32 v5, vcc, v5, v3, vcc
	v_add_u32_e32 v3, v2, v10
	v_ashrrev_i32_e32 v3, 4, v3
	v_cmp_gt_i32_e32 vcc, s33, v2
	v_cndmask_b32_e32 v2, v11, v3, vcc
	v_ashrrev_i32_e32 v3, 31, v2
	v_lshlrev_b64 v[2:3], 2, v[2:3]
	v_mov_b32_e32 v7, s21
	v_add_co_u32_e32 v6, vcc, s11, v2
	v_or_b32_e32 v2, 32, v1
	v_addc_co_u32_e32 v7, vcc, v7, v3, vcc
	v_add_u32_e32 v3, v2, v10
	v_ashrrev_i32_e32 v3, 4, v3
	v_cmp_gt_i32_e32 vcc, s33, v2
	v_cndmask_b32_e32 v2, v11, v3, vcc
	v_ashrrev_i32_e32 v3, 31, v2
	;; [unrolled: 10-line block ×3, first 2 shown]
	v_lshlrev_b64 v[2:3], 2, v[2:3]
	v_mov_b32_e32 v1, s21
	v_add_co_u32_e32 v10, vcc, s11, v2
	v_addc_co_u32_e32 v11, vcc, v1, v3, vcc
	global_load_dword v3, v[4:5], off
	global_load_dword v2, v[6:7], off
	;; [unrolled: 1-line block ×4, first 2 shown]
	s_load_dwordx4 s[12:15], s[4:5], 0x8
	s_andn2_b64 vcc, exec, s[16:17]
	s_cbranch_vccnz .LBB639_8
; %bb.6:
	s_add_u32 s6, s6, s18
	s_addc_u32 s7, s7, s19
	s_load_dword s16, s[6:7], 0x0
	s_branch .LBB639_9
.LBB639_7:
	s_mov_b64 s[14:15], 0
	s_branch .LBB639_2
.LBB639_8:
	s_mov_b32 s16, s8
.LBB639_9:
	s_load_dwordx2 s[48:49], s[4:5], 0x68
	s_load_dwordx8 s[40:47], s[4:5], 0x48
	v_lshrrev_b32_e32 v65, 6, v0
	v_bfe_u32 v54, v0, 4, 2
	v_and_b32_e32 v55, 15, v0
	v_lshl_or_b32 v4, v65, 2, v54
	v_lshlrev_b32_e32 v1, 3, v55
	s_lshl_b32 s25, s10, 1
	v_cmp_gt_u32_e32 vcc, 2, v4
	v_lshlrev_b32_e32 v1, 1, v1
	v_lshlrev_b32_e32 v56, 4, v0
	s_and_saveexec_b64 s[6:7], vcc
	s_cbranch_execz .LBB639_11
; %bb.10:
	s_load_dwordx2 s[18:19], s[4:5], 0x0
	s_waitcnt lgkmcnt(0)
	s_ashr_i32 s17, s40, 31
	s_mul_hi_u32 s23, s16, s40
	s_mul_i32 s17, s16, s17
	s_add_i32 s17, s23, s17
	s_mul_i32 s16, s16, s40
	s_lshl_b64 s[16:17], s[16:17], 1
	v_add_lshl_u32 v6, v54, s25, 7
	s_add_u32 s16, s18, s16
	v_ashrrev_i32_e32 v7, 31, v6
	s_addc_u32 s17, s19, s17
	v_lshlrev_b64 v[6:7], 1, v[6:7]
	v_mov_b32_e32 v5, s17
	v_add_co_u32_e32 v6, vcc, s16, v6
	v_addc_co_u32_e32 v5, vcc, v5, v7, vcc
	v_add_co_u32_e32 v6, vcc, v6, v1
	v_addc_co_u32_e32 v7, vcc, 0, v5, vcc
	global_load_dwordx4 v[6:9], v[6:7], off
	v_lshlrev_b32_e32 v10, 8, v0
	v_lshlrev_b32_e32 v5, 8, v55
	v_and_b32_e32 v10, 0x600, v10
	s_movk_i32 s16, 0x800
	v_and_or_b32 v5, v5, s16, v10
	v_lshlrev_b32_e32 v4, 5, v4
	v_and_b32_e32 v10, 16, v56
	v_or3_b32 v4, v5, v4, v10
	s_waitcnt vmcnt(0)
	ds_write_b128 v4, v[6:9]
.LBB639_11:
	s_or_b64 exec, exec, s[6:7]
	v_and_b32_e32 v10, 48, v0
	v_or_b32_e32 v11, s20, v10
	v_ashrrev_i32_e32 v4, 4, v11
	v_mov_b32_e32 v12, s22
	v_cmp_gt_i32_e32 vcc, s33, v11
	v_cndmask_b32_e32 v4, v12, v4, vcc
	v_ashrrev_i32_e32 v5, 31, v4
	v_lshlrev_b64 v[4:5], 2, v[4:5]
	v_mov_b32_e32 v6, s21
	v_add_co_u32_e32 v4, vcc, s11, v4
	v_addc_co_u32_e32 v5, vcc, v6, v5, vcc
	v_or_b32_e32 v6, 64, v11
	v_ashrrev_i32_e32 v7, 4, v6
	v_cmp_gt_i32_e32 vcc, s33, v6
	v_cndmask_b32_e32 v6, v12, v7, vcc
	v_ashrrev_i32_e32 v7, 31, v6
	v_lshlrev_b64 v[6:7], 2, v[6:7]
	v_mov_b32_e32 v8, s21
	v_add_co_u32_e32 v6, vcc, s11, v6
	v_addc_co_u32_e32 v7, vcc, v8, v7, vcc
	v_or_b32_e32 v8, 0x80, v11
	v_ashrrev_i32_e32 v9, 4, v8
	v_cmp_gt_i32_e32 vcc, s33, v8
	v_cndmask_b32_e32 v8, v12, v9, vcc
	v_ashrrev_i32_e32 v9, 31, v8
	v_lshlrev_b64 v[8:9], 2, v[8:9]
	v_mov_b32_e32 v13, s21
	v_add_co_u32_e32 v8, vcc, s11, v8
	s_load_dwordx2 s[50:51], s[4:5], 0x94
	s_waitcnt lgkmcnt(0)
	s_barrier
	v_addc_co_u32_e32 v9, vcc, v13, v9, vcc
	global_load_dword v50, v[4:5], off
	global_load_dword v57, v[6:7], off
	;; [unrolled: 1-line block ×3, first 2 shown]
	v_or_b32_e32 v4, 0xc0, v11
	v_ashrrev_i32_e32 v5, 4, v4
	v_cmp_gt_i32_e32 vcc, s33, v4
	v_cndmask_b32_e32 v4, v12, v5, vcc
	v_ashrrev_i32_e32 v5, 31, v4
	v_lshlrev_b64 v[4:5], 2, v[4:5]
	v_mov_b32_e32 v6, s21
	v_add_co_u32_e32 v4, vcc, s11, v4
	v_addc_co_u32_e32 v5, vcc, v6, v5, vcc
	global_load_dword v63, v[4:5], off
	s_mul_i32 s10, s10, s42
	s_add_u32 s6, s12, s10
	s_addc_u32 s7, s13, 0
	v_and_b32_e32 v4, 0xf0, v56
	v_mov_b32_e32 v5, s7
	v_add_co_u32_e32 v20, vcc, s6, v4
	v_addc_co_u32_e32 v21, vcc, 0, v5, vcc
	v_lshlrev_b32_e32 v28, 4, v10
	s_waitcnt vmcnt(7)
	v_mad_i64_i32 v[4:5], s[6:7], v3, s41, v[20:21]
	v_add_co_u32_e32 v4, vcc, v4, v28
	v_addc_co_u32_e32 v5, vcc, 0, v5, vcc
	s_waitcnt vmcnt(6)
	v_mad_i64_i32 v[2:3], s[6:7], v2, s41, v[20:21]
	v_add_co_u32_e32 v16, vcc, v2, v28
	v_addc_co_u32_e32 v17, vcc, 0, v3, vcc
	;; [unrolled: 4-line block ×3, first 2 shown]
	s_waitcnt vmcnt(4)
	v_mad_i64_i32 v[18:19], s[6:7], v18, s41, v[20:21]
	global_load_dwordx4 v[34:37], v[4:5], off
	global_load_dwordx4 v[6:9], v[4:5], off offset:1024
	v_add_co_u32_e32 v30, vcc, v18, v28
	s_add_u32 s10, s14, s10
	v_lshl_or_b32 v66, v65, 4, v55
	global_load_dwordx4 v[10:13], v[16:17], off
	global_load_dwordx4 v[2:5], v[16:17], off offset:1024
	v_addc_co_u32_e32 v31, vcc, 0, v19, vcc
	s_addc_u32 s11, s15, 0
	v_lshlrev_b32_e32 v51, 4, v66
	global_load_dwordx4 v[14:17], v[26:27], off
	global_load_dwordx4 v[22:25], v[26:27], off offset:1024
	s_nop 0
	global_load_dwordx4 v[26:29], v[30:31], off
	global_load_dwordx4 v[18:21], v[30:31], off offset:1024
	v_mov_b32_e32 v30, s11
	v_add_co_u32_e32 v42, vcc, s10, v51
	v_addc_co_u32_e32 v43, vcc, 0, v30, vcc
	v_or_b32_e32 v51, 0x400, v51
	v_mov_b32_e32 v52, s11
	v_add_co_u32_e32 v58, vcc, s10, v51
	v_addc_co_u32_e32 v59, vcc, 0, v52, vcc
	s_mov_b32 s12, 0
	s_movk_i32 s13, 0x80
	s_movk_i32 s14, 0x7f
	s_mov_b32 s15, 0xffffff
	s_waitcnt vmcnt(11)
	v_mad_i64_i32 v[30:31], s[6:7], v50, s41, v[42:43]
	s_waitcnt vmcnt(10)
	v_mad_i64_i32 v[32:33], s[6:7], v57, s41, v[42:43]
	;; [unrolled: 2-line block ×3, first 2 shown]
	global_load_dwordx4 v[38:41], v[30:31], off
	s_nop 0
	global_load_dwordx4 v[30:33], v[32:33], off
	v_mad_i64_i32 v[60:61], s[6:7], v57, s41, v[58:59]
	v_mad_i64_i32 v[50:51], s[6:7], v50, s41, v[58:59]
	v_and_b32_e32 v57, 63, v0
	s_waitcnt vmcnt(10)
	v_mad_i64_i32 v[42:43], s[6:7], v63, s41, v[42:43]
	global_load_dwordx4 v[46:49], v[44:45], off
	s_nop 0
	global_load_dwordx4 v[42:45], v[42:43], off
	s_nop 0
	global_load_dwordx4 v[68:71], v[60:61], off
	v_mad_i64_i32 v[60:61], s[6:7], v62, s41, v[58:59]
	v_mad_i64_i32 v[58:59], s[6:7], v63, s41, v[58:59]
	global_load_dwordx4 v[50:53], v[50:51], off
	s_nop 0
	global_load_dwordx4 v[76:79], v[58:59], off
	global_load_dwordx4 v[72:75], v[60:61], off
	s_waitcnt vmcnt(15)
	buffer_store_dword v37, off, s[0:3], 0 offset:12
	buffer_store_dword v36, off, s[0:3], 0 offset:8
	buffer_store_dword v35, off, s[0:3], 0 offset:4
	buffer_store_dword v34, off, s[0:3], 0
	s_waitcnt vmcnt(18)
	buffer_store_dword v9, off, s[0:3], 0 offset:28
	buffer_store_dword v8, off, s[0:3], 0 offset:24
	;; [unrolled: 1-line block ×4, first 2 shown]
	s_waitcnt vmcnt(21)
	buffer_store_dword v13, off, s[0:3], 0 offset:44
	buffer_store_dword v12, off, s[0:3], 0 offset:40
	;; [unrolled: 1-line block ×4, first 2 shown]
	s_load_dword s6, s[4:5], 0x1c
	s_load_dwordx4 s[40:43], s[4:5], 0x80
	s_waitcnt vmcnt(24)
	buffer_store_dword v5, off, s[0:3], 0 offset:60
	buffer_store_dword v4, off, s[0:3], 0 offset:56
	;; [unrolled: 1-line block ×4, first 2 shown]
	v_and_b32_e32 v2, 1, v0
	v_lshlrev_b32_e32 v2, 5, v2
	v_mov_b32_e32 v6, 0x80
	s_waitcnt vmcnt(27)
	buffer_store_dword v17, off, s[0:3], 0 offset:76
	buffer_store_dword v16, off, s[0:3], 0 offset:72
	;; [unrolled: 1-line block ×4, first 2 shown]
	v_lshl_or_b32 v14, v54, 9, v2
	v_add_u32_e32 v58, 16, v6
	v_add_u32_e32 v64, 32, v6
	;; [unrolled: 1-line block ×7, first 2 shown]
	ds_read_b128 v[2:5], v14
	ds_read_b128 v[6:9], v14 offset:16
	ds_read_b128 v[10:13], v14 offset:2048
	;; [unrolled: 1-line block ×3, first 2 shown]
	s_waitcnt vmcnt(30)
	buffer_store_dword v25, off, s[0:3], 0 offset:92
	buffer_store_dword v24, off, s[0:3], 0 offset:88
	buffer_store_dword v23, off, s[0:3], 0 offset:84
	buffer_store_dword v22, off, s[0:3], 0 offset:80
	s_waitcnt vmcnt(33)
	buffer_store_dword v29, off, s[0:3], 0 offset:108
	buffer_store_dword v28, off, s[0:3], 0 offset:104
	buffer_store_dword v27, off, s[0:3], 0 offset:100
	buffer_store_dword v26, off, s[0:3], 0 offset:96
	;; [unrolled: 5-line block ×3, first 2 shown]
	s_waitcnt lgkmcnt(0)
	v_mov_b32_e32 v18, s6
	v_mov_b32_e32 v27, 0
	;; [unrolled: 1-line block ×3, first 2 shown]
	s_waitcnt vmcnt(39)
	buffer_store_dword v41, off, s[0:3], 0 offset:140
	buffer_store_dword v40, off, s[0:3], 0 offset:136
	buffer_store_dword v39, off, s[0:3], 0 offset:132
	buffer_store_dword v38, off, s[0:3], 0 offset:128
	s_waitcnt vmcnt(42)
	buffer_store_dword v33, off, s[0:3], 0 offset:172
	buffer_store_dword v32, off, s[0:3], 0 offset:168
	buffer_store_dword v31, off, s[0:3], 0 offset:164
	buffer_store_dword v30, off, s[0:3], 0 offset:160
	;; [unrolled: 5-line block ×5, first 2 shown]
	buffer_store_dword v71, off, s[0:3], 0 offset:188
	buffer_store_dword v70, off, s[0:3], 0 offset:184
	;; [unrolled: 1-line block ×4, first 2 shown]
	s_waitcnt vmcnt(56)
	buffer_store_dword v75, off, s[0:3], 0 offset:220
	buffer_store_dword v74, off, s[0:3], 0 offset:216
	buffer_store_dword v73, off, s[0:3], 0 offset:212
	buffer_store_dword v72, off, s[0:3], 0 offset:208
	buffer_store_dword v79, off, s[0:3], 0 offset:252
	s_load_dword s4, s[40:41], 0x0
	v_mov_b32_e32 v31, 0x100
	v_bfrev_b32_e32 v33, 60
	buffer_store_dword v78, off, s[0:3], 0 offset:248
	buffer_store_dword v77, off, s[0:3], 0 offset:244
	;; [unrolled: 1-line block ×3, first 2 shown]
	s_waitcnt lgkmcnt(0)
	v_mul_f32_e32 v22, s4, v18
	v_mov_b32_e32 v24, v22
	v_mov_b32_e32 v25, v22
	s_branch .LBB639_15
.LBB639_12:                             ;   in Loop: Header=BB639_15 Depth=1
	s_or_b64 exec, exec, s[10:11]
.LBB639_13:                             ;   in Loop: Header=BB639_15 Depth=1
	s_or_b64 exec, exec, s[6:7]
.LBB639_14:                             ;   in Loop: Header=BB639_15 Depth=1
	s_or_b64 exec, exec, s[4:5]
	v_cvt_pkrtz_f16_f32 v40, v34, v32
	v_cvt_pkrtz_f16_f32 v41, v23, v36
	;; [unrolled: 1-line block ×4, first 2 shown]
	v_add_u32_e32 v26, s12, v31
	v_mfma_f32_16x16x16f16 v[18:21], v[40:41], v[14:15], v[18:21]
	s_add_i32 s12, s12, 16
	v_mov_b32_e32 v23, v22
	s_cmp_eq_u32 s12, 64
	v_add_u32_e32 v27, 32, v27
	v_mfma_f32_16x16x16f16 v[18:21], v[34:35], v[16:17], v[18:21]
	s_nop 7
	s_nop 2
	v_pk_mul_f32 v[18:19], v[24:25], v[18:19]
	v_pk_mul_f32 v[20:21], v[22:23], v[20:21]
	buffer_store_dword v19, v26, s[0:3], 0 offen offset:4
	buffer_store_dword v18, v26, s[0:3], 0 offen
	buffer_store_dword v21, v26, s[0:3], 0 offen offset:12
	buffer_store_dword v20, v26, s[0:3], 0 offen offset:8
	s_cbranch_scc1 .LBB639_205
.LBB639_15:                             ; =>This Inner Loop Header: Depth=1
	buffer_load_dword v20, v27, s[0:3], 0 offen
	buffer_load_dword v18, v27, s[0:3], 0 offen offset:4
	buffer_load_dword v28, v27, s[0:3], 0 offen offset:8
	buffer_load_dword v26, v27, s[0:3], 0 offen offset:12
	v_mov_b32_e32 v19, 0
	s_waitcnt vmcnt(3)
	v_cmp_ne_u16_sdwa s[6:7], v20, v29 src0_sel:BYTE_0 src1_sel:DWORD
	s_and_saveexec_b64 s[4:5], s[6:7]
	s_cbranch_execz .LBB639_21
; %bb.16:                               ;   in Loop: Header=BB639_15 Depth=1
	v_cmp_ne_u16_sdwa s[10:11], v20, s13 src0_sel:BYTE_0 src1_sel:DWORD
	v_bfrev_b32_e32 v19, 1
	s_and_saveexec_b64 s[6:7], s[10:11]
	s_cbranch_execz .LBB639_20
; %bb.17:                               ;   in Loop: Header=BB639_15 Depth=1
	v_and_b32_e32 v21, 0x7f, v20
	v_cmp_ne_u32_e32 vcc, s14, v21
	v_mov_b32_e32 v19, 0x7f800001
	s_and_saveexec_b64 s[10:11], vcc
	s_cbranch_execz .LBB639_19
; %bb.18:                               ;   in Loop: Header=BB639_15 Depth=1
	v_and_b32_e32 v19, 7, v20
	v_ffbh_u32_e32 v30, v19
	v_min_u32_e32 v30, 32, v30
	v_subrev_u32_e32 v32, 28, v30
	v_lshlrev_b64 v[34:35], v32, v[20:21]
	v_lshrrev_b32_e32 v23, 3, v21
	v_sub_u32_e32 v30, 29, v30
	v_and_b32_e32 v32, 7, v34
	v_cmp_gt_u32_e32 vcc, 8, v21
	v_cndmask_b32_e32 v21, v23, v30, vcc
	v_cndmask_b32_e32 v19, v19, v32, vcc
	v_lshlrev_b32_e32 v23, 24, v20
	v_lshlrev_b32_e32 v19, 20, v19
	v_and_b32_e32 v23, 0x80000000, v23
	v_lshl_add_u32 v21, v21, 23, v33
	v_or3_b32 v19, v23, v21, v19
.LBB639_19:                             ;   in Loop: Header=BB639_15 Depth=1
	s_or_b64 exec, exec, s[10:11]
.LBB639_20:                             ;   in Loop: Header=BB639_15 Depth=1
	s_or_b64 exec, exec, s[6:7]
.LBB639_21:                             ;   in Loop: Header=BB639_15 Depth=1
	s_or_b64 exec, exec, s[4:5]
	v_lshrrev_b16_e32 v30, 8, v20
	v_cmp_ne_u16_e32 vcc, 0, v30
	v_mov_b32_e32 v21, 0
	v_mov_b32_e32 v23, 0
	s_and_saveexec_b64 s[4:5], vcc
	s_cbranch_execz .LBB639_27
; %bb.22:                               ;   in Loop: Header=BB639_15 Depth=1
	v_cmp_ne_u16_e32 vcc, s13, v30
	v_bfrev_b32_e32 v23, 1
	s_and_saveexec_b64 s[6:7], vcc
	s_cbranch_execz .LBB639_26
; %bb.23:                               ;   in Loop: Header=BB639_15 Depth=1
	v_and_b32_e32 v32, 0x7f, v30
	v_cmp_ne_u32_e32 vcc, s14, v32
	v_mov_b32_e32 v23, 0x7f800001
	s_and_saveexec_b64 s[10:11], vcc
	s_cbranch_execz .LBB639_25
; %bb.24:                               ;   in Loop: Header=BB639_15 Depth=1
	v_and_b32_e32 v23, 7, v30
	v_ffbh_u32_e32 v34, v23
	v_min_u32_e32 v37, 32, v34
	v_subrev_u32_e32 v34, 28, v37
	v_lshlrev_b64 v[34:35], v34, v[30:31]
	v_lshrrev_b32_e32 v36, 3, v32
	v_sub_u32_e32 v30, 29, v37
	v_and_b32_e32 v34, 7, v34
	v_cmp_gt_u32_e32 vcc, 8, v32
	v_cndmask_b32_e32 v30, v36, v30, vcc
	v_cndmask_b32_e32 v23, v23, v34, vcc
	v_lshlrev_b32_e32 v32, 16, v20
	v_lshlrev_b32_e32 v23, 20, v23
	v_and_b32_e32 v32, 0x80000000, v32
	v_lshl_add_u32 v30, v30, 23, v33
	v_or3_b32 v23, v32, v30, v23
.LBB639_25:                             ;   in Loop: Header=BB639_15 Depth=1
	s_or_b64 exec, exec, s[10:11]
.LBB639_26:                             ;   in Loop: Header=BB639_15 Depth=1
	s_or_b64 exec, exec, s[6:7]
.LBB639_27:                             ;   in Loop: Header=BB639_15 Depth=1
	s_or_b64 exec, exec, s[4:5]
	v_lshrrev_b32_e32 v30, 16, v20
	v_cmp_ne_u16_sdwa s[6:7], v30, v29 src0_sel:BYTE_0 src1_sel:DWORD
	s_and_saveexec_b64 s[4:5], s[6:7]
	s_cbranch_execz .LBB639_33
; %bb.28:                               ;   in Loop: Header=BB639_15 Depth=1
	v_cmp_ne_u16_sdwa s[10:11], v30, s13 src0_sel:BYTE_0 src1_sel:DWORD
	v_bfrev_b32_e32 v21, 1
	s_and_saveexec_b64 s[6:7], s[10:11]
	s_cbranch_execz .LBB639_32
; %bb.29:                               ;   in Loop: Header=BB639_15 Depth=1
	v_bfe_u32 v32, v20, 16, 7
	v_cmp_ne_u32_e32 vcc, s14, v32
	v_mov_b32_e32 v21, 0x7f800001
	s_and_saveexec_b64 s[10:11], vcc
	s_cbranch_execz .LBB639_31
; %bb.30:                               ;   in Loop: Header=BB639_15 Depth=1
	v_and_b32_e32 v21, 7, v30
	v_ffbh_u32_e32 v34, v21
	v_min_u32_e32 v37, 32, v34
	v_subrev_u32_e32 v34, 28, v37
	v_lshlrev_b64 v[34:35], v34, v[30:31]
	v_lshrrev_b32_e32 v36, 3, v32
	v_sub_u32_e32 v35, 29, v37
	v_and_b32_e32 v34, 7, v34
	v_cmp_gt_u32_e32 vcc, 8, v32
	v_cndmask_b32_e32 v32, v36, v35, vcc
	v_cndmask_b32_e32 v21, v21, v34, vcc
	v_lshlrev_b32_e32 v30, 24, v30
	v_lshlrev_b32_e32 v21, 20, v21
	v_and_b32_e32 v30, 0x80000000, v30
	v_lshl_add_u32 v32, v32, 23, v33
	v_or3_b32 v21, v30, v32, v21
.LBB639_31:                             ;   in Loop: Header=BB639_15 Depth=1
	s_or_b64 exec, exec, s[10:11]
.LBB639_32:                             ;   in Loop: Header=BB639_15 Depth=1
	s_or_b64 exec, exec, s[6:7]
.LBB639_33:                             ;   in Loop: Header=BB639_15 Depth=1
	s_or_b64 exec, exec, s[4:5]
	v_cmp_lt_u32_e32 vcc, s15, v20
	v_mov_b32_e32 v34, 0
	v_mov_b32_e32 v35, 0
	s_and_saveexec_b64 s[4:5], vcc
	s_cbranch_execz .LBB639_39
; %bb.34:                               ;   in Loop: Header=BB639_15 Depth=1
	v_lshrrev_b32_e32 v30, 24, v20
	v_cmp_ne_u32_e32 vcc, s13, v30
	v_bfrev_b32_e32 v35, 1
	s_and_saveexec_b64 s[6:7], vcc
	s_cbranch_execz .LBB639_38
; %bb.35:                               ;   in Loop: Header=BB639_15 Depth=1
	v_bfe_u32 v20, v20, 24, 7
	v_cmp_ne_u32_e32 vcc, s14, v20
	v_mov_b32_e32 v35, 0x7f800001
	s_and_saveexec_b64 s[10:11], vcc
	s_cbranch_execz .LBB639_37
; %bb.36:                               ;   in Loop: Header=BB639_15 Depth=1
	v_and_b32_e32 v32, 7, v30
	v_ffbh_u32_e32 v36, v32
	v_min_u32_e32 v38, 32, v36
	v_subrev_u32_e32 v36, 28, v38
	v_lshlrev_b64 v[36:37], v36, v[30:31]
	v_lshrrev_b32_e32 v35, 3, v20
	v_sub_u32_e32 v37, 29, v38
	v_and_b32_e32 v36, 7, v36
	v_cmp_gt_u32_e32 vcc, 8, v20
	v_cndmask_b32_e32 v20, v35, v37, vcc
	v_cndmask_b32_e32 v32, v32, v36, vcc
	v_lshlrev_b32_e32 v30, 24, v30
	v_lshlrev_b32_e32 v32, 20, v32
	v_and_b32_e32 v30, 0x80000000, v30
	v_lshl_add_u32 v20, v20, 23, v33
	v_or3_b32 v35, v30, v20, v32
.LBB639_37:                             ;   in Loop: Header=BB639_15 Depth=1
	s_or_b64 exec, exec, s[10:11]
.LBB639_38:                             ;   in Loop: Header=BB639_15 Depth=1
	s_or_b64 exec, exec, s[6:7]
.LBB639_39:                             ;   in Loop: Header=BB639_15 Depth=1
	s_or_b64 exec, exec, s[4:5]
	s_waitcnt vmcnt(2)
	v_cmp_ne_u16_sdwa s[6:7], v18, v29 src0_sel:BYTE_0 src1_sel:DWORD
	s_and_saveexec_b64 s[4:5], s[6:7]
	s_cbranch_execz .LBB639_45
; %bb.40:                               ;   in Loop: Header=BB639_15 Depth=1
	v_cmp_ne_u16_sdwa s[10:11], v18, s13 src0_sel:BYTE_0 src1_sel:DWORD
	v_bfrev_b32_e32 v34, 1
	s_and_saveexec_b64 s[6:7], s[10:11]
	s_cbranch_execz .LBB639_44
; %bb.41:                               ;   in Loop: Header=BB639_15 Depth=1
	v_and_b32_e32 v20, 0x7f, v18
	v_cmp_ne_u32_e32 vcc, s14, v20
	v_mov_b32_e32 v34, 0x7f800001
	s_and_saveexec_b64 s[10:11], vcc
	s_cbranch_execz .LBB639_43
; %bb.42:                               ;   in Loop: Header=BB639_15 Depth=1
	v_and_b32_e32 v30, 7, v18
	v_ffbh_u32_e32 v34, v30
	v_min_u32_e32 v34, 32, v34
	v_subrev_u32_e32 v36, 28, v34
	v_lshlrev_b64 v[36:37], v36, v[18:19]
	v_lshrrev_b32_e32 v32, 3, v20
	v_sub_u32_e32 v34, 29, v34
	v_and_b32_e32 v36, 7, v36
	v_cmp_gt_u32_e32 vcc, 8, v20
	v_cndmask_b32_e32 v20, v32, v34, vcc
	v_cndmask_b32_e32 v30, v30, v36, vcc
	v_lshlrev_b32_e32 v32, 24, v18
	v_lshlrev_b32_e32 v30, 20, v30
	v_and_b32_e32 v32, 0x80000000, v32
	v_lshl_add_u32 v20, v20, 23, v33
	v_or3_b32 v34, v32, v20, v30
.LBB639_43:                             ;   in Loop: Header=BB639_15 Depth=1
	s_or_b64 exec, exec, s[10:11]
.LBB639_44:                             ;   in Loop: Header=BB639_15 Depth=1
	s_or_b64 exec, exec, s[6:7]
.LBB639_45:                             ;   in Loop: Header=BB639_15 Depth=1
	s_or_b64 exec, exec, s[4:5]
	v_lshrrev_b16_e32 v20, 8, v18
	v_cmp_ne_u16_e32 vcc, 0, v20
	v_mov_b32_e32 v30, 0
	v_mov_b32_e32 v36, 0
	s_and_saveexec_b64 s[4:5], vcc
	s_cbranch_execz .LBB639_51
; %bb.46:                               ;   in Loop: Header=BB639_15 Depth=1
	v_cmp_ne_u16_e32 vcc, s13, v20
	v_bfrev_b32_e32 v36, 1
	s_and_saveexec_b64 s[6:7], vcc
	s_cbranch_execz .LBB639_50
; %bb.47:                               ;   in Loop: Header=BB639_15 Depth=1
	v_and_b32_e32 v32, 0x7f, v20
	v_cmp_ne_u32_e32 vcc, s14, v32
	v_mov_b32_e32 v36, 0x7f800001
	s_and_saveexec_b64 s[10:11], vcc
	s_cbranch_execz .LBB639_49
; %bb.48:                               ;   in Loop: Header=BB639_15 Depth=1
	v_and_b32_e32 v38, 7, v20
	v_ffbh_u32_e32 v36, v38
	v_min_u32_e32 v40, 32, v36
	v_subrev_u32_e32 v36, 28, v40
	v_lshlrev_b64 v[36:37], v36, v[20:21]
	v_lshrrev_b32_e32 v39, 3, v32
	v_sub_u32_e32 v20, 29, v40
	v_and_b32_e32 v36, 7, v36
	v_cmp_gt_u32_e32 vcc, 8, v32
	v_cndmask_b32_e32 v20, v39, v20, vcc
	v_cndmask_b32_e32 v32, v38, v36, vcc
	v_lshlrev_b32_e32 v36, 16, v18
	v_lshlrev_b32_e32 v32, 20, v32
	v_and_b32_e32 v36, 0x80000000, v36
	v_lshl_add_u32 v20, v20, 23, v33
	v_or3_b32 v36, v36, v20, v32
.LBB639_49:                             ;   in Loop: Header=BB639_15 Depth=1
	s_or_b64 exec, exec, s[10:11]
.LBB639_50:                             ;   in Loop: Header=BB639_15 Depth=1
	s_or_b64 exec, exec, s[6:7]
.LBB639_51:                             ;   in Loop: Header=BB639_15 Depth=1
	s_or_b64 exec, exec, s[4:5]
	v_lshrrev_b32_e32 v20, 16, v18
	v_cmp_ne_u16_sdwa s[6:7], v20, v29 src0_sel:BYTE_0 src1_sel:DWORD
	s_and_saveexec_b64 s[4:5], s[6:7]
	s_cbranch_execz .LBB639_57
; %bb.52:                               ;   in Loop: Header=BB639_15 Depth=1
	v_cmp_ne_u16_sdwa s[10:11], v20, s13 src0_sel:BYTE_0 src1_sel:DWORD
	v_bfrev_b32_e32 v30, 1
	s_and_saveexec_b64 s[6:7], s[10:11]
	s_cbranch_execz .LBB639_56
; %bb.53:                               ;   in Loop: Header=BB639_15 Depth=1
	v_bfe_u32 v32, v18, 16, 7
	v_cmp_ne_u32_e32 vcc, s14, v32
	v_mov_b32_e32 v30, 0x7f800001
	s_and_saveexec_b64 s[10:11], vcc
	s_cbranch_execz .LBB639_55
; %bb.54:                               ;   in Loop: Header=BB639_15 Depth=1
	v_and_b32_e32 v30, 7, v20
	v_ffbh_u32_e32 v38, v30
	v_min_u32_e32 v40, 32, v38
	v_subrev_u32_e32 v38, 28, v40
	v_lshlrev_b64 v[38:39], v38, v[20:21]
	v_lshrrev_b32_e32 v37, 3, v32
	v_sub_u32_e32 v39, 29, v40
	v_and_b32_e32 v38, 7, v38
	v_cmp_gt_u32_e32 vcc, 8, v32
	v_cndmask_b32_e32 v32, v37, v39, vcc
	v_cndmask_b32_e32 v30, v30, v38, vcc
	v_lshlrev_b32_e32 v20, 24, v20
	v_lshlrev_b32_e32 v30, 20, v30
	v_and_b32_e32 v20, 0x80000000, v20
	v_lshl_add_u32 v32, v32, 23, v33
	v_or3_b32 v30, v20, v32, v30
.LBB639_55:                             ;   in Loop: Header=BB639_15 Depth=1
	s_or_b64 exec, exec, s[10:11]
.LBB639_56:                             ;   in Loop: Header=BB639_15 Depth=1
	s_or_b64 exec, exec, s[6:7]
.LBB639_57:                             ;   in Loop: Header=BB639_15 Depth=1
	s_or_b64 exec, exec, s[4:5]
	v_cmp_lt_u32_e32 vcc, s15, v18
	v_mov_b32_e32 v32, 0
	v_mov_b32_e32 v37, 0
	s_and_saveexec_b64 s[4:5], vcc
	s_cbranch_execz .LBB639_63
; %bb.58:                               ;   in Loop: Header=BB639_15 Depth=1
	v_lshrrev_b32_e32 v20, 24, v18
	v_cmp_ne_u32_e32 vcc, s13, v20
	v_bfrev_b32_e32 v37, 1
	s_and_saveexec_b64 s[6:7], vcc
	s_cbranch_execz .LBB639_62
; %bb.59:                               ;   in Loop: Header=BB639_15 Depth=1
	v_bfe_u32 v18, v18, 24, 7
	v_cmp_ne_u32_e32 vcc, s14, v18
	v_mov_b32_e32 v37, 0x7f800001
	s_and_saveexec_b64 s[10:11], vcc
	s_cbranch_execz .LBB639_61
; %bb.60:                               ;   in Loop: Header=BB639_15 Depth=1
	v_and_b32_e32 v37, 7, v20
	v_ffbh_u32_e32 v38, v37
	v_min_u32_e32 v41, 32, v38
	v_subrev_u32_e32 v38, 28, v41
	v_lshlrev_b64 v[38:39], v38, v[20:21]
	v_lshrrev_b32_e32 v40, 3, v18
	v_sub_u32_e32 v39, 29, v41
	v_and_b32_e32 v38, 7, v38
	v_cmp_gt_u32_e32 vcc, 8, v18
	v_cndmask_b32_e32 v18, v40, v39, vcc
	v_cndmask_b32_e32 v37, v37, v38, vcc
	v_lshlrev_b32_e32 v20, 24, v20
	v_lshlrev_b32_e32 v37, 20, v37
	v_and_b32_e32 v20, 0x80000000, v20
	v_lshl_add_u32 v18, v18, 23, v33
	v_or3_b32 v37, v20, v18, v37
.LBB639_61:                             ;   in Loop: Header=BB639_15 Depth=1
	s_or_b64 exec, exec, s[10:11]
.LBB639_62:                             ;   in Loop: Header=BB639_15 Depth=1
	s_or_b64 exec, exec, s[6:7]
.LBB639_63:                             ;   in Loop: Header=BB639_15 Depth=1
	s_or_b64 exec, exec, s[4:5]
	v_cvt_pkrtz_f16_f32 v18, v19, v23
	v_cvt_pkrtz_f16_f32 v19, v21, v35
	;; [unrolled: 1-line block ×4, first 2 shown]
	s_waitcnt vmcnt(1)
	v_cmp_ne_u16_sdwa s[6:7], v28, v29 src0_sel:BYTE_0 src1_sel:DWORD
	v_mfma_f32_16x16x16f16 v[18:21], v[18:19], v[2:3], 0
	v_mfma_f32_16x16x16f16 v[18:21], v[34:35], v[4:5], v[18:21]
	s_and_saveexec_b64 s[4:5], s[6:7]
	s_cbranch_execz .LBB639_69
; %bb.64:                               ;   in Loop: Header=BB639_15 Depth=1
	v_cmp_ne_u16_sdwa s[10:11], v28, s13 src0_sel:BYTE_0 src1_sel:DWORD
	v_bfrev_b32_e32 v32, 1
	s_and_saveexec_b64 s[6:7], s[10:11]
	s_cbranch_execz .LBB639_68
; %bb.65:                               ;   in Loop: Header=BB639_15 Depth=1
	v_and_b32_e32 v23, 0x7f, v28
	v_cmp_ne_u32_e32 vcc, s14, v23
	v_mov_b32_e32 v32, 0x7f800001
	s_and_saveexec_b64 s[10:11], vcc
	s_cbranch_execz .LBB639_67
; %bb.66:                               ;   in Loop: Header=BB639_15 Depth=1
	v_and_b32_e32 v30, 7, v28
	v_ffbh_u32_e32 v34, v30
	v_min_u32_e32 v36, 32, v34
	v_subrev_u32_e32 v34, 28, v36
	v_lshlrev_b64 v[34:35], v34, v[28:29]
	v_lshrrev_b32_e32 v32, 3, v23
	v_sub_u32_e32 v35, 29, v36
	v_and_b32_e32 v34, 7, v34
	v_cmp_gt_u32_e32 vcc, 8, v23
	v_cndmask_b32_e32 v23, v32, v35, vcc
	v_cndmask_b32_e32 v30, v30, v34, vcc
	v_lshlrev_b32_e32 v32, 24, v28
	v_lshlrev_b32_e32 v30, 20, v30
	v_and_b32_e32 v32, 0x80000000, v32
	v_lshl_add_u32 v23, v23, 23, v33
	v_or3_b32 v32, v32, v23, v30
.LBB639_67:                             ;   in Loop: Header=BB639_15 Depth=1
	s_or_b64 exec, exec, s[10:11]
.LBB639_68:                             ;   in Loop: Header=BB639_15 Depth=1
	s_or_b64 exec, exec, s[6:7]
.LBB639_69:                             ;   in Loop: Header=BB639_15 Depth=1
	s_or_b64 exec, exec, s[4:5]
	v_lshrrev_b16_e32 v30, 8, v28
	v_cmp_ne_u16_e32 vcc, 0, v30
	v_mov_b32_e32 v34, 0
	v_mov_b32_e32 v35, 0
	s_and_saveexec_b64 s[4:5], vcc
	s_cbranch_execz .LBB639_75
; %bb.70:                               ;   in Loop: Header=BB639_15 Depth=1
	v_cmp_ne_u16_e32 vcc, s13, v30
	v_bfrev_b32_e32 v35, 1
	s_and_saveexec_b64 s[6:7], vcc
	s_cbranch_execz .LBB639_74
; %bb.71:                               ;   in Loop: Header=BB639_15 Depth=1
	v_and_b32_e32 v23, 0x7f, v30
	v_cmp_ne_u32_e32 vcc, s14, v23
	v_mov_b32_e32 v35, 0x7f800001
	s_and_saveexec_b64 s[10:11], vcc
	s_cbranch_execz .LBB639_73
; %bb.72:                               ;   in Loop: Header=BB639_15 Depth=1
	v_and_b32_e32 v35, 7, v30
	v_ffbh_u32_e32 v36, v35
	v_min_u32_e32 v39, 32, v36
	v_subrev_u32_e32 v36, 28, v39
	v_lshlrev_b64 v[36:37], v36, v[30:31]
	v_lshrrev_b32_e32 v38, 3, v23
	v_sub_u32_e32 v30, 29, v39
	v_and_b32_e32 v36, 7, v36
	v_cmp_gt_u32_e32 vcc, 8, v23
	v_cndmask_b32_e32 v23, v38, v30, vcc
	v_cndmask_b32_e32 v30, v35, v36, vcc
	v_lshlrev_b32_e32 v35, 16, v28
	v_lshlrev_b32_e32 v30, 20, v30
	v_and_b32_e32 v35, 0x80000000, v35
	v_lshl_add_u32 v23, v23, 23, v33
	v_or3_b32 v35, v35, v23, v30
.LBB639_73:                             ;   in Loop: Header=BB639_15 Depth=1
	s_or_b64 exec, exec, s[10:11]
.LBB639_74:                             ;   in Loop: Header=BB639_15 Depth=1
	s_or_b64 exec, exec, s[6:7]
.LBB639_75:                             ;   in Loop: Header=BB639_15 Depth=1
	s_or_b64 exec, exec, s[4:5]
	v_lshrrev_b32_e32 v30, 16, v28
	v_cmp_ne_u16_sdwa s[6:7], v30, v29 src0_sel:BYTE_0 src1_sel:DWORD
	s_and_saveexec_b64 s[4:5], s[6:7]
	s_cbranch_execz .LBB639_81
; %bb.76:                               ;   in Loop: Header=BB639_15 Depth=1
	v_cmp_ne_u16_sdwa s[10:11], v30, s13 src0_sel:BYTE_0 src1_sel:DWORD
	v_bfrev_b32_e32 v34, 1
	s_and_saveexec_b64 s[6:7], s[10:11]
	s_cbranch_execz .LBB639_80
; %bb.77:                               ;   in Loop: Header=BB639_15 Depth=1
	v_bfe_u32 v23, v28, 16, 7
	v_cmp_ne_u32_e32 vcc, s14, v23
	v_mov_b32_e32 v34, 0x7f800001
	s_and_saveexec_b64 s[10:11], vcc
	s_cbranch_execz .LBB639_79
; %bb.78:                               ;   in Loop: Header=BB639_15 Depth=1
	v_and_b32_e32 v34, 7, v30
	v_ffbh_u32_e32 v36, v34
	v_min_u32_e32 v39, 32, v36
	v_subrev_u32_e32 v36, 28, v39
	v_lshlrev_b64 v[36:37], v36, v[30:31]
	v_lshrrev_b32_e32 v38, 3, v23
	v_sub_u32_e32 v37, 29, v39
	v_and_b32_e32 v36, 7, v36
	v_cmp_gt_u32_e32 vcc, 8, v23
	v_cndmask_b32_e32 v23, v38, v37, vcc
	v_cndmask_b32_e32 v34, v34, v36, vcc
	v_lshlrev_b32_e32 v30, 24, v30
	v_lshlrev_b32_e32 v34, 20, v34
	v_and_b32_e32 v30, 0x80000000, v30
	v_lshl_add_u32 v23, v23, 23, v33
	v_or3_b32 v34, v30, v23, v34
.LBB639_79:                             ;   in Loop: Header=BB639_15 Depth=1
	s_or_b64 exec, exec, s[10:11]
.LBB639_80:                             ;   in Loop: Header=BB639_15 Depth=1
	s_or_b64 exec, exec, s[6:7]
.LBB639_81:                             ;   in Loop: Header=BB639_15 Depth=1
	s_or_b64 exec, exec, s[4:5]
	v_cmp_lt_u32_e32 vcc, s15, v28
	v_mov_b32_e32 v36, 0
	v_mov_b32_e32 v37, 0
	s_and_saveexec_b64 s[4:5], vcc
	s_cbranch_execz .LBB639_87
; %bb.82:                               ;   in Loop: Header=BB639_15 Depth=1
	v_lshrrev_b32_e32 v30, 24, v28
	v_cmp_ne_u32_e32 vcc, s13, v30
	v_bfrev_b32_e32 v37, 1
	s_and_saveexec_b64 s[6:7], vcc
	s_cbranch_execz .LBB639_86
; %bb.83:                               ;   in Loop: Header=BB639_15 Depth=1
	v_bfe_u32 v23, v28, 24, 7
	v_cmp_ne_u32_e32 vcc, s14, v23
	v_mov_b32_e32 v37, 0x7f800001
	s_and_saveexec_b64 s[10:11], vcc
	s_cbranch_execz .LBB639_85
; %bb.84:                               ;   in Loop: Header=BB639_15 Depth=1
	v_and_b32_e32 v28, 7, v30
	v_ffbh_u32_e32 v38, v28
	v_min_u32_e32 v40, 32, v38
	v_subrev_u32_e32 v38, 28, v40
	v_lshlrev_b64 v[38:39], v38, v[30:31]
	v_lshrrev_b32_e32 v37, 3, v23
	v_sub_u32_e32 v39, 29, v40
	v_and_b32_e32 v38, 7, v38
	v_cmp_gt_u32_e32 vcc, 8, v23
	v_cndmask_b32_e32 v23, v37, v39, vcc
	v_cndmask_b32_e32 v28, v28, v38, vcc
	v_lshlrev_b32_e32 v30, 24, v30
	v_lshlrev_b32_e32 v28, 20, v28
	v_and_b32_e32 v30, 0x80000000, v30
	v_lshl_add_u32 v23, v23, 23, v33
	v_or3_b32 v37, v30, v23, v28
.LBB639_85:                             ;   in Loop: Header=BB639_15 Depth=1
	s_or_b64 exec, exec, s[10:11]
.LBB639_86:                             ;   in Loop: Header=BB639_15 Depth=1
	s_or_b64 exec, exec, s[6:7]
.LBB639_87:                             ;   in Loop: Header=BB639_15 Depth=1
	s_or_b64 exec, exec, s[4:5]
	s_waitcnt vmcnt(0)
	v_cmp_ne_u16_sdwa s[6:7], v26, v29 src0_sel:BYTE_0 src1_sel:DWORD
	s_and_saveexec_b64 s[4:5], s[6:7]
	s_cbranch_execz .LBB639_93
; %bb.88:                               ;   in Loop: Header=BB639_15 Depth=1
	v_cmp_ne_u16_sdwa s[10:11], v26, s13 src0_sel:BYTE_0 src1_sel:DWORD
	v_bfrev_b32_e32 v36, 1
	s_and_saveexec_b64 s[6:7], s[10:11]
	s_cbranch_execz .LBB639_92
; %bb.89:                               ;   in Loop: Header=BB639_15 Depth=1
	v_and_b32_e32 v23, 0x7f, v26
	v_cmp_ne_u32_e32 vcc, s14, v23
	v_mov_b32_e32 v36, 0x7f800001
	s_and_saveexec_b64 s[10:11], vcc
	s_cbranch_execz .LBB639_91
; %bb.90:                               ;   in Loop: Header=BB639_15 Depth=1
	v_and_b32_e32 v28, 7, v26
	v_ffbh_u32_e32 v36, v28
	v_min_u32_e32 v36, 32, v36
	v_subrev_u32_e32 v38, 28, v36
	v_lshlrev_b64 v[38:39], v38, v[26:27]
	v_lshrrev_b32_e32 v30, 3, v23
	v_sub_u32_e32 v36, 29, v36
	v_and_b32_e32 v38, 7, v38
	v_cmp_gt_u32_e32 vcc, 8, v23
	v_cndmask_b32_e32 v23, v30, v36, vcc
	v_cndmask_b32_e32 v28, v28, v38, vcc
	v_lshlrev_b32_e32 v30, 24, v26
	v_lshlrev_b32_e32 v28, 20, v28
	v_and_b32_e32 v30, 0x80000000, v30
	v_lshl_add_u32 v23, v23, 23, v33
	v_or3_b32 v36, v30, v23, v28
.LBB639_91:                             ;   in Loop: Header=BB639_15 Depth=1
	s_or_b64 exec, exec, s[10:11]
.LBB639_92:                             ;   in Loop: Header=BB639_15 Depth=1
	s_or_b64 exec, exec, s[6:7]
.LBB639_93:                             ;   in Loop: Header=BB639_15 Depth=1
	s_or_b64 exec, exec, s[4:5]
	v_lshrrev_b16_e32 v28, 8, v26
	v_cmp_ne_u16_e32 vcc, 0, v28
	v_mov_b32_e32 v38, 0
	v_mov_b32_e32 v39, 0
	s_and_saveexec_b64 s[4:5], vcc
	s_cbranch_execz .LBB639_99
; %bb.94:                               ;   in Loop: Header=BB639_15 Depth=1
	v_cmp_ne_u16_e32 vcc, s13, v28
	v_bfrev_b32_e32 v39, 1
	s_and_saveexec_b64 s[6:7], vcc
	s_cbranch_execz .LBB639_98
; %bb.95:                               ;   in Loop: Header=BB639_15 Depth=1
	v_and_b32_e32 v23, 0x7f, v28
	v_cmp_ne_u32_e32 vcc, s14, v23
	v_mov_b32_e32 v39, 0x7f800001
	s_and_saveexec_b64 s[10:11], vcc
	s_cbranch_execz .LBB639_97
; %bb.96:                               ;   in Loop: Header=BB639_15 Depth=1
	v_and_b32_e32 v30, 7, v28
	v_ffbh_u32_e32 v40, v30
	v_min_u32_e32 v42, 32, v40
	v_subrev_u32_e32 v40, 28, v42
	v_lshlrev_b64 v[40:41], v40, v[28:29]
	v_lshrrev_b32_e32 v39, 3, v23
	v_sub_u32_e32 v28, 29, v42
	v_and_b32_e32 v40, 7, v40
	v_cmp_gt_u32_e32 vcc, 8, v23
	v_cndmask_b32_e32 v23, v39, v28, vcc
	v_cndmask_b32_e32 v28, v30, v40, vcc
	v_lshlrev_b32_e32 v30, 16, v26
	v_lshlrev_b32_e32 v28, 20, v28
	v_and_b32_e32 v30, 0x80000000, v30
	v_lshl_add_u32 v23, v23, 23, v33
	v_or3_b32 v39, v30, v23, v28
.LBB639_97:                             ;   in Loop: Header=BB639_15 Depth=1
	s_or_b64 exec, exec, s[10:11]
.LBB639_98:                             ;   in Loop: Header=BB639_15 Depth=1
	s_or_b64 exec, exec, s[6:7]
.LBB639_99:                             ;   in Loop: Header=BB639_15 Depth=1
	s_or_b64 exec, exec, s[4:5]
	v_lshrrev_b32_e32 v28, 16, v26
	v_cmp_ne_u16_sdwa s[6:7], v28, v29 src0_sel:BYTE_0 src1_sel:DWORD
	s_and_saveexec_b64 s[4:5], s[6:7]
	s_cbranch_execz .LBB639_105
; %bb.100:                              ;   in Loop: Header=BB639_15 Depth=1
	v_cmp_ne_u16_sdwa s[10:11], v28, s13 src0_sel:BYTE_0 src1_sel:DWORD
	v_bfrev_b32_e32 v38, 1
	s_and_saveexec_b64 s[6:7], s[10:11]
	s_cbranch_execz .LBB639_104
; %bb.101:                              ;   in Loop: Header=BB639_15 Depth=1
	v_bfe_u32 v23, v26, 16, 7
	v_cmp_ne_u32_e32 vcc, s14, v23
	v_mov_b32_e32 v38, 0x7f800001
	s_and_saveexec_b64 s[10:11], vcc
	s_cbranch_execz .LBB639_103
; %bb.102:                              ;   in Loop: Header=BB639_15 Depth=1
	v_and_b32_e32 v30, 7, v28
	v_ffbh_u32_e32 v40, v30
	v_min_u32_e32 v42, 32, v40
	v_subrev_u32_e32 v40, 28, v42
	v_lshlrev_b64 v[40:41], v40, v[28:29]
	v_lshrrev_b32_e32 v38, 3, v23
	v_sub_u32_e32 v41, 29, v42
	v_and_b32_e32 v40, 7, v40
	v_cmp_gt_u32_e32 vcc, 8, v23
	v_cndmask_b32_e32 v23, v38, v41, vcc
	v_cndmask_b32_e32 v30, v30, v40, vcc
	v_lshlrev_b32_e32 v28, 24, v28
	v_lshlrev_b32_e32 v30, 20, v30
	v_and_b32_e32 v28, 0x80000000, v28
	v_lshl_add_u32 v23, v23, 23, v33
	v_or3_b32 v38, v28, v23, v30
.LBB639_103:                            ;   in Loop: Header=BB639_15 Depth=1
	s_or_b64 exec, exec, s[10:11]
.LBB639_104:                            ;   in Loop: Header=BB639_15 Depth=1
	s_or_b64 exec, exec, s[6:7]
.LBB639_105:                            ;   in Loop: Header=BB639_15 Depth=1
	s_or_b64 exec, exec, s[4:5]
	v_cmp_lt_u32_e32 vcc, s15, v26
	v_mov_b32_e32 v23, 0
	v_mov_b32_e32 v40, 0
	s_and_saveexec_b64 s[4:5], vcc
	s_cbranch_execz .LBB639_111
; %bb.106:                              ;   in Loop: Header=BB639_15 Depth=1
	v_lshrrev_b32_e32 v28, 24, v26
	v_cmp_ne_u32_e32 vcc, s13, v28
	v_bfrev_b32_e32 v40, 1
	s_and_saveexec_b64 s[6:7], vcc
	s_cbranch_execz .LBB639_110
; %bb.107:                              ;   in Loop: Header=BB639_15 Depth=1
	v_bfe_u32 v26, v26, 24, 7
	v_cmp_ne_u32_e32 vcc, s14, v26
	v_mov_b32_e32 v40, 0x7f800001
	s_and_saveexec_b64 s[10:11], vcc
	s_cbranch_execz .LBB639_109
; %bb.108:                              ;   in Loop: Header=BB639_15 Depth=1
	v_and_b32_e32 v30, 7, v28
	v_ffbh_u32_e32 v40, v30
	v_min_u32_e32 v43, 32, v40
	v_subrev_u32_e32 v40, 28, v43
	v_lshlrev_b64 v[40:41], v40, v[28:29]
	v_lshrrev_b32_e32 v42, 3, v26
	v_sub_u32_e32 v41, 29, v43
	v_and_b32_e32 v40, 7, v40
	v_cmp_gt_u32_e32 vcc, 8, v26
	v_cndmask_b32_e32 v26, v42, v41, vcc
	v_cndmask_b32_e32 v30, v30, v40, vcc
	v_lshlrev_b32_e32 v28, 24, v28
	v_lshlrev_b32_e32 v30, 20, v30
	v_and_b32_e32 v28, 0x80000000, v28
	v_lshl_add_u32 v26, v26, 23, v33
	v_or3_b32 v40, v28, v26, v30
.LBB639_109:                            ;   in Loop: Header=BB639_15 Depth=1
	s_or_b64 exec, exec, s[10:11]
.LBB639_110:                            ;   in Loop: Header=BB639_15 Depth=1
	s_or_b64 exec, exec, s[6:7]
.LBB639_111:                            ;   in Loop: Header=BB639_15 Depth=1
	s_or_b64 exec, exec, s[4:5]
	v_cvt_pkrtz_f16_f32 v42, v32, v35
	buffer_load_dword v32, v27, s[0:3], 0 offen offset:16
	buffer_load_dword v30, v27, s[0:3], 0 offen offset:20
	;; [unrolled: 1-line block ×4, first 2 shown]
	v_cvt_pkrtz_f16_f32 v43, v34, v37
	v_cvt_pkrtz_f16_f32 v34, v36, v39
	;; [unrolled: 1-line block ×3, first 2 shown]
	v_mfma_f32_16x16x16f16 v[18:21], v[42:43], v[6:7], v[18:21]
	s_waitcnt vmcnt(3)
	v_cmp_ne_u16_sdwa s[6:7], v32, v29 src0_sel:BYTE_0 src1_sel:DWORD
	v_mfma_f32_16x16x16f16 v[18:21], v[34:35], v[8:9], v[18:21]
	s_and_saveexec_b64 s[4:5], s[6:7]
	s_cbranch_execz .LBB639_117
; %bb.112:                              ;   in Loop: Header=BB639_15 Depth=1
	v_cmp_ne_u16_sdwa s[10:11], v32, s13 src0_sel:BYTE_0 src1_sel:DWORD
	v_bfrev_b32_e32 v23, 1
	s_and_saveexec_b64 s[6:7], s[10:11]
	s_cbranch_execz .LBB639_116
; %bb.113:                              ;   in Loop: Header=BB639_15 Depth=1
	v_and_b32_e32 v34, 0x7f, v32
	v_cmp_ne_u32_e32 vcc, s14, v34
	v_mov_b32_e32 v23, 0x7f800001
	s_and_saveexec_b64 s[10:11], vcc
	s_cbranch_execz .LBB639_115
; %bb.114:                              ;   in Loop: Header=BB639_15 Depth=1
	v_and_b32_e32 v23, 7, v32
	v_ffbh_u32_e32 v36, v23
	v_min_u32_e32 v38, 32, v36
	v_subrev_u32_e32 v36, 28, v38
	v_lshlrev_b64 v[36:37], v36, v[32:33]
	v_lshrrev_b32_e32 v35, 3, v34
	v_sub_u32_e32 v37, 29, v38
	v_and_b32_e32 v36, 7, v36
	v_cmp_gt_u32_e32 vcc, 8, v34
	v_cndmask_b32_e32 v34, v35, v37, vcc
	v_cndmask_b32_e32 v23, v23, v36, vcc
	v_lshlrev_b32_e32 v35, 24, v32
	v_lshlrev_b32_e32 v23, 20, v23
	v_and_b32_e32 v35, 0x80000000, v35
	v_lshl_add_u32 v34, v34, 23, v33
	v_or3_b32 v23, v35, v34, v23
.LBB639_115:                            ;   in Loop: Header=BB639_15 Depth=1
	s_or_b64 exec, exec, s[10:11]
.LBB639_116:                            ;   in Loop: Header=BB639_15 Depth=1
	s_or_b64 exec, exec, s[6:7]
.LBB639_117:                            ;   in Loop: Header=BB639_15 Depth=1
	s_or_b64 exec, exec, s[4:5]
	v_lshrrev_b16_e32 v34, 8, v32
	v_cmp_ne_u16_e32 vcc, 0, v34
	v_mov_b32_e32 v35, 0
	v_mov_b32_e32 v36, 0
	s_and_saveexec_b64 s[4:5], vcc
	s_cbranch_execz .LBB639_123
; %bb.118:                              ;   in Loop: Header=BB639_15 Depth=1
	v_cmp_ne_u16_e32 vcc, s13, v34
	v_bfrev_b32_e32 v36, 1
	s_and_saveexec_b64 s[6:7], vcc
	s_cbranch_execz .LBB639_122
; %bb.119:                              ;   in Loop: Header=BB639_15 Depth=1
	v_and_b32_e32 v37, 0x7f, v34
	v_cmp_ne_u32_e32 vcc, s14, v37
	v_mov_b32_e32 v36, 0x7f800001
	s_and_saveexec_b64 s[10:11], vcc
	s_cbranch_execz .LBB639_121
; %bb.120:                              ;   in Loop: Header=BB639_15 Depth=1
	v_and_b32_e32 v36, 7, v34
	v_ffbh_u32_e32 v38, v36
	v_min_u32_e32 v41, 32, v38
	v_subrev_u32_e32 v38, 28, v41
	v_lshlrev_b64 v[38:39], v38, v[34:35]
	v_lshrrev_b32_e32 v40, 3, v37
	v_sub_u32_e32 v34, 29, v41
	v_and_b32_e32 v38, 7, v38
	v_cmp_gt_u32_e32 vcc, 8, v37
	v_cndmask_b32_e32 v34, v40, v34, vcc
	v_cndmask_b32_e32 v36, v36, v38, vcc
	v_lshlrev_b32_e32 v37, 16, v32
	v_lshlrev_b32_e32 v36, 20, v36
	v_and_b32_e32 v37, 0x80000000, v37
	v_lshl_add_u32 v34, v34, 23, v33
	v_or3_b32 v36, v37, v34, v36
.LBB639_121:                            ;   in Loop: Header=BB639_15 Depth=1
	s_or_b64 exec, exec, s[10:11]
.LBB639_122:                            ;   in Loop: Header=BB639_15 Depth=1
	s_or_b64 exec, exec, s[6:7]
.LBB639_123:                            ;   in Loop: Header=BB639_15 Depth=1
	s_or_b64 exec, exec, s[4:5]
	v_lshrrev_b32_e32 v34, 16, v32
	v_cmp_ne_u16_sdwa s[6:7], v34, v29 src0_sel:BYTE_0 src1_sel:DWORD
	s_and_saveexec_b64 s[4:5], s[6:7]
	s_cbranch_execz .LBB639_129
; %bb.124:                              ;   in Loop: Header=BB639_15 Depth=1
	v_cmp_ne_u16_sdwa s[10:11], v34, s13 src0_sel:BYTE_0 src1_sel:DWORD
	v_bfrev_b32_e32 v35, 1
	s_and_saveexec_b64 s[6:7], s[10:11]
	s_cbranch_execz .LBB639_128
; %bb.125:                              ;   in Loop: Header=BB639_15 Depth=1
	v_bfe_u32 v37, v32, 16, 7
	v_cmp_ne_u32_e32 vcc, s14, v37
	v_mov_b32_e32 v35, 0x7f800001
	s_and_saveexec_b64 s[10:11], vcc
	s_cbranch_execz .LBB639_127
; %bb.126:                              ;   in Loop: Header=BB639_15 Depth=1
	v_and_b32_e32 v35, 7, v34
	v_ffbh_u32_e32 v38, v35
	v_min_u32_e32 v41, 32, v38
	v_subrev_u32_e32 v38, 28, v41
	v_lshlrev_b64 v[38:39], v38, v[34:35]
	v_lshrrev_b32_e32 v40, 3, v37
	v_sub_u32_e32 v39, 29, v41
	v_and_b32_e32 v38, 7, v38
	v_cmp_gt_u32_e32 vcc, 8, v37
	v_cndmask_b32_e32 v37, v40, v39, vcc
	v_cndmask_b32_e32 v35, v35, v38, vcc
	v_lshlrev_b32_e32 v34, 24, v34
	v_lshlrev_b32_e32 v35, 20, v35
	v_and_b32_e32 v34, 0x80000000, v34
	v_lshl_add_u32 v37, v37, 23, v33
	v_or3_b32 v35, v34, v37, v35
.LBB639_127:                            ;   in Loop: Header=BB639_15 Depth=1
	s_or_b64 exec, exec, s[10:11]
.LBB639_128:                            ;   in Loop: Header=BB639_15 Depth=1
	s_or_b64 exec, exec, s[6:7]
.LBB639_129:                            ;   in Loop: Header=BB639_15 Depth=1
	s_or_b64 exec, exec, s[4:5]
	v_cmp_lt_u32_e32 vcc, s15, v32
	v_mov_b32_e32 v37, 0
	v_mov_b32_e32 v38, 0
	s_and_saveexec_b64 s[4:5], vcc
	s_cbranch_execz .LBB639_135
; %bb.130:                              ;   in Loop: Header=BB639_15 Depth=1
	v_lshrrev_b32_e32 v34, 24, v32
	v_cmp_ne_u32_e32 vcc, s13, v34
	v_bfrev_b32_e32 v38, 1
	s_and_saveexec_b64 s[6:7], vcc
	s_cbranch_execz .LBB639_134
; %bb.131:                              ;   in Loop: Header=BB639_15 Depth=1
	v_bfe_u32 v32, v32, 24, 7
	v_cmp_ne_u32_e32 vcc, s14, v32
	v_mov_b32_e32 v38, 0x7f800001
	s_and_saveexec_b64 s[10:11], vcc
	s_cbranch_execz .LBB639_133
; %bb.132:                              ;   in Loop: Header=BB639_15 Depth=1
	v_and_b32_e32 v40, 7, v34
	v_ffbh_u32_e32 v38, v40
	v_min_u32_e32 v42, 32, v38
	v_subrev_u32_e32 v38, 28, v42
	v_lshlrev_b64 v[38:39], v38, v[34:35]
	v_lshrrev_b32_e32 v41, 3, v32
	v_sub_u32_e32 v39, 29, v42
	v_and_b32_e32 v38, 7, v38
	v_cmp_gt_u32_e32 vcc, 8, v32
	v_cndmask_b32_e32 v32, v41, v39, vcc
	v_cndmask_b32_e32 v38, v40, v38, vcc
	v_lshlrev_b32_e32 v34, 24, v34
	v_lshlrev_b32_e32 v38, 20, v38
	v_and_b32_e32 v34, 0x80000000, v34
	v_lshl_add_u32 v32, v32, 23, v33
	v_or3_b32 v38, v34, v32, v38
.LBB639_133:                            ;   in Loop: Header=BB639_15 Depth=1
	s_or_b64 exec, exec, s[10:11]
.LBB639_134:                            ;   in Loop: Header=BB639_15 Depth=1
	s_or_b64 exec, exec, s[6:7]
.LBB639_135:                            ;   in Loop: Header=BB639_15 Depth=1
	s_or_b64 exec, exec, s[4:5]
	s_waitcnt vmcnt(2)
	v_cmp_ne_u16_sdwa s[6:7], v30, v29 src0_sel:BYTE_0 src1_sel:DWORD
	s_and_saveexec_b64 s[4:5], s[6:7]
	s_cbranch_execz .LBB639_141
; %bb.136:                              ;   in Loop: Header=BB639_15 Depth=1
	v_cmp_ne_u16_sdwa s[10:11], v30, s13 src0_sel:BYTE_0 src1_sel:DWORD
	v_bfrev_b32_e32 v37, 1
	s_and_saveexec_b64 s[6:7], s[10:11]
	s_cbranch_execz .LBB639_140
; %bb.137:                              ;   in Loop: Header=BB639_15 Depth=1
	v_and_b32_e32 v32, 0x7f, v30
	v_cmp_ne_u32_e32 vcc, s14, v32
	v_mov_b32_e32 v37, 0x7f800001
	s_and_saveexec_b64 s[10:11], vcc
	s_cbranch_execz .LBB639_139
; %bb.138:                              ;   in Loop: Header=BB639_15 Depth=1
	v_and_b32_e32 v34, 7, v30
	v_ffbh_u32_e32 v39, v34
	v_min_u32_e32 v39, 32, v39
	v_subrev_u32_e32 v40, 28, v39
	v_lshlrev_b64 v[40:41], v40, v[30:31]
	v_lshrrev_b32_e32 v37, 3, v32
	v_sub_u32_e32 v39, 29, v39
	v_and_b32_e32 v40, 7, v40
	v_cmp_gt_u32_e32 vcc, 8, v32
	v_cndmask_b32_e32 v32, v37, v39, vcc
	v_cndmask_b32_e32 v34, v34, v40, vcc
	v_lshlrev_b32_e32 v37, 24, v30
	v_lshlrev_b32_e32 v34, 20, v34
	v_and_b32_e32 v37, 0x80000000, v37
	v_lshl_add_u32 v32, v32, 23, v33
	v_or3_b32 v37, v37, v32, v34
.LBB639_139:                            ;   in Loop: Header=BB639_15 Depth=1
	s_or_b64 exec, exec, s[10:11]
.LBB639_140:                            ;   in Loop: Header=BB639_15 Depth=1
	s_or_b64 exec, exec, s[6:7]
.LBB639_141:                            ;   in Loop: Header=BB639_15 Depth=1
	s_or_b64 exec, exec, s[4:5]
	v_lshrrev_b16_e32 v32, 8, v30
	v_cmp_ne_u16_e32 vcc, 0, v32
	v_mov_b32_e32 v39, 0
	v_mov_b32_e32 v40, 0
	s_and_saveexec_b64 s[4:5], vcc
	s_cbranch_execz .LBB639_147
; %bb.142:                              ;   in Loop: Header=BB639_15 Depth=1
	v_cmp_ne_u16_e32 vcc, s13, v32
	v_bfrev_b32_e32 v40, 1
	s_and_saveexec_b64 s[6:7], vcc
	s_cbranch_execz .LBB639_146
; %bb.143:                              ;   in Loop: Header=BB639_15 Depth=1
	v_and_b32_e32 v34, 0x7f, v32
	v_cmp_ne_u32_e32 vcc, s14, v34
	v_mov_b32_e32 v40, 0x7f800001
	s_and_saveexec_b64 s[10:11], vcc
	s_cbranch_execz .LBB639_145
; %bb.144:                              ;   in Loop: Header=BB639_15 Depth=1
	v_and_b32_e32 v42, 7, v32
	v_ffbh_u32_e32 v40, v42
	v_min_u32_e32 v44, 32, v40
	v_subrev_u32_e32 v40, 28, v44
	v_lshlrev_b64 v[40:41], v40, v[32:33]
	v_lshrrev_b32_e32 v43, 3, v34
	v_sub_u32_e32 v32, 29, v44
	v_and_b32_e32 v40, 7, v40
	v_cmp_gt_u32_e32 vcc, 8, v34
	v_cndmask_b32_e32 v32, v43, v32, vcc
	v_cndmask_b32_e32 v34, v42, v40, vcc
	v_lshlrev_b32_e32 v40, 16, v30
	v_lshlrev_b32_e32 v34, 20, v34
	v_and_b32_e32 v40, 0x80000000, v40
	v_lshl_add_u32 v32, v32, 23, v33
	v_or3_b32 v40, v40, v32, v34
.LBB639_145:                            ;   in Loop: Header=BB639_15 Depth=1
	s_or_b64 exec, exec, s[10:11]
.LBB639_146:                            ;   in Loop: Header=BB639_15 Depth=1
	s_or_b64 exec, exec, s[6:7]
.LBB639_147:                            ;   in Loop: Header=BB639_15 Depth=1
	s_or_b64 exec, exec, s[4:5]
	v_lshrrev_b32_e32 v32, 16, v30
	v_cmp_ne_u16_sdwa s[6:7], v32, v29 src0_sel:BYTE_0 src1_sel:DWORD
	s_and_saveexec_b64 s[4:5], s[6:7]
	s_cbranch_execz .LBB639_153
; %bb.148:                              ;   in Loop: Header=BB639_15 Depth=1
	v_cmp_ne_u16_sdwa s[10:11], v32, s13 src0_sel:BYTE_0 src1_sel:DWORD
	v_bfrev_b32_e32 v39, 1
	s_and_saveexec_b64 s[6:7], s[10:11]
	s_cbranch_execz .LBB639_152
; %bb.149:                              ;   in Loop: Header=BB639_15 Depth=1
	v_bfe_u32 v34, v30, 16, 7
	v_cmp_ne_u32_e32 vcc, s14, v34
	v_mov_b32_e32 v39, 0x7f800001
	s_and_saveexec_b64 s[10:11], vcc
	s_cbranch_execz .LBB639_151
; %bb.150:                              ;   in Loop: Header=BB639_15 Depth=1
	v_and_b32_e32 v39, 7, v32
	v_ffbh_u32_e32 v42, v39
	v_min_u32_e32 v44, 32, v42
	v_subrev_u32_e32 v42, 28, v44
	v_lshlrev_b64 v[42:43], v42, v[32:33]
	v_lshrrev_b32_e32 v41, 3, v34
	v_sub_u32_e32 v43, 29, v44
	v_and_b32_e32 v42, 7, v42
	v_cmp_gt_u32_e32 vcc, 8, v34
	v_cndmask_b32_e32 v34, v41, v43, vcc
	v_cndmask_b32_e32 v39, v39, v42, vcc
	v_lshlrev_b32_e32 v32, 24, v32
	v_lshlrev_b32_e32 v39, 20, v39
	v_and_b32_e32 v32, 0x80000000, v32
	v_lshl_add_u32 v34, v34, 23, v33
	v_or3_b32 v39, v32, v34, v39
.LBB639_151:                            ;   in Loop: Header=BB639_15 Depth=1
	s_or_b64 exec, exec, s[10:11]
.LBB639_152:                            ;   in Loop: Header=BB639_15 Depth=1
	s_or_b64 exec, exec, s[6:7]
.LBB639_153:                            ;   in Loop: Header=BB639_15 Depth=1
	s_or_b64 exec, exec, s[4:5]
	v_cmp_lt_u32_e32 vcc, s15, v30
	v_mov_b32_e32 v34, 0
	v_mov_b32_e32 v41, 0
	s_and_saveexec_b64 s[4:5], vcc
	s_cbranch_execz .LBB639_159
; %bb.154:                              ;   in Loop: Header=BB639_15 Depth=1
	v_lshrrev_b32_e32 v32, 24, v30
	v_cmp_ne_u32_e32 vcc, s13, v32
	v_bfrev_b32_e32 v41, 1
	s_and_saveexec_b64 s[6:7], vcc
	s_cbranch_execz .LBB639_158
; %bb.155:                              ;   in Loop: Header=BB639_15 Depth=1
	v_bfe_u32 v30, v30, 24, 7
	v_cmp_ne_u32_e32 vcc, s14, v30
	v_mov_b32_e32 v41, 0x7f800001
	s_and_saveexec_b64 s[10:11], vcc
	s_cbranch_execz .LBB639_157
; %bb.156:                              ;   in Loop: Header=BB639_15 Depth=1
	v_and_b32_e32 v41, 7, v32
	v_ffbh_u32_e32 v42, v41
	v_min_u32_e32 v45, 32, v42
	v_subrev_u32_e32 v42, 28, v45
	v_lshlrev_b64 v[42:43], v42, v[32:33]
	v_lshrrev_b32_e32 v44, 3, v30
	v_sub_u32_e32 v43, 29, v45
	v_and_b32_e32 v42, 7, v42
	v_cmp_gt_u32_e32 vcc, 8, v30
	v_cndmask_b32_e32 v30, v44, v43, vcc
	v_cndmask_b32_e32 v41, v41, v42, vcc
	v_lshlrev_b32_e32 v32, 24, v32
	v_lshlrev_b32_e32 v41, 20, v41
	v_and_b32_e32 v32, 0x80000000, v32
	v_lshl_add_u32 v30, v30, 23, v33
	v_or3_b32 v41, v32, v30, v41
.LBB639_157:                            ;   in Loop: Header=BB639_15 Depth=1
	s_or_b64 exec, exec, s[10:11]
.LBB639_158:                            ;   in Loop: Header=BB639_15 Depth=1
	s_or_b64 exec, exec, s[6:7]
.LBB639_159:                            ;   in Loop: Header=BB639_15 Depth=1
	s_or_b64 exec, exec, s[4:5]
	v_cvt_pkrtz_f16_f32 v42, v23, v36
	v_cvt_pkrtz_f16_f32 v43, v35, v38
	;; [unrolled: 1-line block ×4, first 2 shown]
	s_waitcnt vmcnt(1)
	v_cmp_ne_u16_sdwa s[6:7], v28, v29 src0_sel:BYTE_0 src1_sel:DWORD
	v_mfma_f32_16x16x16f16 v[18:21], v[42:43], v[10:11], v[18:21]
	v_mfma_f32_16x16x16f16 v[18:21], v[36:37], v[12:13], v[18:21]
	s_and_saveexec_b64 s[4:5], s[6:7]
	s_cbranch_execz .LBB639_165
; %bb.160:                              ;   in Loop: Header=BB639_15 Depth=1
	v_cmp_ne_u16_sdwa s[10:11], v28, s13 src0_sel:BYTE_0 src1_sel:DWORD
	v_bfrev_b32_e32 v34, 1
	s_and_saveexec_b64 s[6:7], s[10:11]
	s_cbranch_execz .LBB639_164
; %bb.161:                              ;   in Loop: Header=BB639_15 Depth=1
	v_and_b32_e32 v23, 0x7f, v28
	v_cmp_ne_u32_e32 vcc, s14, v23
	v_mov_b32_e32 v34, 0x7f800001
	s_and_saveexec_b64 s[10:11], vcc
	s_cbranch_execz .LBB639_163
; %bb.162:                              ;   in Loop: Header=BB639_15 Depth=1
	v_and_b32_e32 v30, 7, v28
	v_ffbh_u32_e32 v34, v30
	v_min_u32_e32 v36, 32, v34
	v_subrev_u32_e32 v34, 28, v36
	v_lshlrev_b64 v[34:35], v34, v[28:29]
	v_lshrrev_b32_e32 v32, 3, v23
	v_sub_u32_e32 v35, 29, v36
	v_and_b32_e32 v34, 7, v34
	v_cmp_gt_u32_e32 vcc, 8, v23
	v_cndmask_b32_e32 v23, v32, v35, vcc
	v_cndmask_b32_e32 v30, v30, v34, vcc
	v_lshlrev_b32_e32 v32, 24, v28
	v_lshlrev_b32_e32 v30, 20, v30
	v_and_b32_e32 v32, 0x80000000, v32
	v_lshl_add_u32 v23, v23, 23, v33
	v_or3_b32 v34, v32, v23, v30
.LBB639_163:                            ;   in Loop: Header=BB639_15 Depth=1
	s_or_b64 exec, exec, s[10:11]
.LBB639_164:                            ;   in Loop: Header=BB639_15 Depth=1
	s_or_b64 exec, exec, s[6:7]
.LBB639_165:                            ;   in Loop: Header=BB639_15 Depth=1
	s_or_b64 exec, exec, s[4:5]
	v_lshrrev_b16_e32 v30, 8, v28
	v_cmp_ne_u16_e32 vcc, 0, v30
	v_mov_b32_e32 v23, 0
	v_mov_b32_e32 v32, 0
	s_and_saveexec_b64 s[4:5], vcc
	s_cbranch_execz .LBB639_171
; %bb.166:                              ;   in Loop: Header=BB639_15 Depth=1
	v_cmp_ne_u16_e32 vcc, s13, v30
	v_bfrev_b32_e32 v32, 1
	s_and_saveexec_b64 s[6:7], vcc
	s_cbranch_execz .LBB639_170
; %bb.167:                              ;   in Loop: Header=BB639_15 Depth=1
	v_and_b32_e32 v35, 0x7f, v30
	v_cmp_ne_u32_e32 vcc, s14, v35
	v_mov_b32_e32 v32, 0x7f800001
	s_and_saveexec_b64 s[10:11], vcc
	s_cbranch_execz .LBB639_169
; %bb.168:                              ;   in Loop: Header=BB639_15 Depth=1
	v_and_b32_e32 v32, 7, v30
	v_ffbh_u32_e32 v36, v32
	v_min_u32_e32 v39, 32, v36
	v_subrev_u32_e32 v36, 28, v39
	v_lshlrev_b64 v[36:37], v36, v[30:31]
	v_lshrrev_b32_e32 v38, 3, v35
	v_sub_u32_e32 v30, 29, v39
	v_and_b32_e32 v36, 7, v36
	v_cmp_gt_u32_e32 vcc, 8, v35
	v_cndmask_b32_e32 v30, v38, v30, vcc
	v_cndmask_b32_e32 v32, v32, v36, vcc
	v_lshlrev_b32_e32 v35, 16, v28
	v_lshlrev_b32_e32 v32, 20, v32
	v_and_b32_e32 v35, 0x80000000, v35
	v_lshl_add_u32 v30, v30, 23, v33
	v_or3_b32 v32, v35, v30, v32
.LBB639_169:                            ;   in Loop: Header=BB639_15 Depth=1
	s_or_b64 exec, exec, s[10:11]
.LBB639_170:                            ;   in Loop: Header=BB639_15 Depth=1
	s_or_b64 exec, exec, s[6:7]
.LBB639_171:                            ;   in Loop: Header=BB639_15 Depth=1
	s_or_b64 exec, exec, s[4:5]
	v_lshrrev_b32_e32 v30, 16, v28
	v_cmp_ne_u16_sdwa s[6:7], v30, v29 src0_sel:BYTE_0 src1_sel:DWORD
	s_and_saveexec_b64 s[4:5], s[6:7]
	s_cbranch_execz .LBB639_177
; %bb.172:                              ;   in Loop: Header=BB639_15 Depth=1
	v_cmp_ne_u16_sdwa s[10:11], v30, s13 src0_sel:BYTE_0 src1_sel:DWORD
	v_bfrev_b32_e32 v23, 1
	s_and_saveexec_b64 s[6:7], s[10:11]
	s_cbranch_execz .LBB639_176
; %bb.173:                              ;   in Loop: Header=BB639_15 Depth=1
	v_bfe_u32 v35, v28, 16, 7
	v_cmp_ne_u32_e32 vcc, s14, v35
	v_mov_b32_e32 v23, 0x7f800001
	s_and_saveexec_b64 s[10:11], vcc
	s_cbranch_execz .LBB639_175
; %bb.174:                              ;   in Loop: Header=BB639_15 Depth=1
	v_and_b32_e32 v23, 7, v30
	v_ffbh_u32_e32 v36, v23
	v_min_u32_e32 v39, 32, v36
	v_subrev_u32_e32 v36, 28, v39
	v_lshlrev_b64 v[36:37], v36, v[30:31]
	v_lshrrev_b32_e32 v38, 3, v35
	v_sub_u32_e32 v37, 29, v39
	v_and_b32_e32 v36, 7, v36
	v_cmp_gt_u32_e32 vcc, 8, v35
	v_cndmask_b32_e32 v35, v38, v37, vcc
	v_cndmask_b32_e32 v23, v23, v36, vcc
	v_lshlrev_b32_e32 v30, 24, v30
	v_lshlrev_b32_e32 v23, 20, v23
	v_and_b32_e32 v30, 0x80000000, v30
	v_lshl_add_u32 v35, v35, 23, v33
	v_or3_b32 v23, v30, v35, v23
.LBB639_175:                            ;   in Loop: Header=BB639_15 Depth=1
	s_or_b64 exec, exec, s[10:11]
.LBB639_176:                            ;   in Loop: Header=BB639_15 Depth=1
	s_or_b64 exec, exec, s[6:7]
.LBB639_177:                            ;   in Loop: Header=BB639_15 Depth=1
	s_or_b64 exec, exec, s[4:5]
	v_cmp_lt_u32_e32 vcc, s15, v28
	v_mov_b32_e32 v35, 0
	v_mov_b32_e32 v36, 0
	s_and_saveexec_b64 s[4:5], vcc
	s_cbranch_execz .LBB639_183
; %bb.178:                              ;   in Loop: Header=BB639_15 Depth=1
	v_lshrrev_b32_e32 v30, 24, v28
	v_cmp_ne_u32_e32 vcc, s13, v30
	v_bfrev_b32_e32 v36, 1
	s_and_saveexec_b64 s[6:7], vcc
	s_cbranch_execz .LBB639_182
; %bb.179:                              ;   in Loop: Header=BB639_15 Depth=1
	v_bfe_u32 v28, v28, 24, 7
	v_cmp_ne_u32_e32 vcc, s14, v28
	v_mov_b32_e32 v36, 0x7f800001
	s_and_saveexec_b64 s[10:11], vcc
	s_cbranch_execz .LBB639_181
; %bb.180:                              ;   in Loop: Header=BB639_15 Depth=1
	v_and_b32_e32 v38, 7, v30
	v_ffbh_u32_e32 v36, v38
	v_min_u32_e32 v40, 32, v36
	v_subrev_u32_e32 v36, 28, v40
	v_lshlrev_b64 v[36:37], v36, v[30:31]
	v_lshrrev_b32_e32 v39, 3, v28
	v_sub_u32_e32 v37, 29, v40
	v_and_b32_e32 v36, 7, v36
	v_cmp_gt_u32_e32 vcc, 8, v28
	v_cndmask_b32_e32 v28, v39, v37, vcc
	v_cndmask_b32_e32 v36, v38, v36, vcc
	v_lshlrev_b32_e32 v30, 24, v30
	v_lshlrev_b32_e32 v36, 20, v36
	v_and_b32_e32 v30, 0x80000000, v30
	v_lshl_add_u32 v28, v28, 23, v33
	v_or3_b32 v36, v30, v28, v36
.LBB639_181:                            ;   in Loop: Header=BB639_15 Depth=1
	s_or_b64 exec, exec, s[10:11]
.LBB639_182:                            ;   in Loop: Header=BB639_15 Depth=1
	s_or_b64 exec, exec, s[6:7]
.LBB639_183:                            ;   in Loop: Header=BB639_15 Depth=1
	s_or_b64 exec, exec, s[4:5]
	s_waitcnt vmcnt(0)
	v_cmp_ne_u16_sdwa s[6:7], v26, v29 src0_sel:BYTE_0 src1_sel:DWORD
	s_and_saveexec_b64 s[4:5], s[6:7]
	s_cbranch_execz .LBB639_189
; %bb.184:                              ;   in Loop: Header=BB639_15 Depth=1
	v_cmp_ne_u16_sdwa s[10:11], v26, s13 src0_sel:BYTE_0 src1_sel:DWORD
	v_bfrev_b32_e32 v35, 1
	s_and_saveexec_b64 s[6:7], s[10:11]
	s_cbranch_execz .LBB639_188
; %bb.185:                              ;   in Loop: Header=BB639_15 Depth=1
	v_and_b32_e32 v28, 0x7f, v26
	v_cmp_ne_u32_e32 vcc, s14, v28
	v_mov_b32_e32 v35, 0x7f800001
	s_and_saveexec_b64 s[10:11], vcc
	s_cbranch_execz .LBB639_187
; %bb.186:                              ;   in Loop: Header=BB639_15 Depth=1
	v_and_b32_e32 v30, 7, v26
	v_ffbh_u32_e32 v37, v30
	v_min_u32_e32 v37, 32, v37
	v_subrev_u32_e32 v38, 28, v37
	v_lshlrev_b64 v[38:39], v38, v[26:27]
	v_lshrrev_b32_e32 v35, 3, v28
	v_sub_u32_e32 v37, 29, v37
	v_and_b32_e32 v38, 7, v38
	v_cmp_gt_u32_e32 vcc, 8, v28
	v_cndmask_b32_e32 v28, v35, v37, vcc
	v_cndmask_b32_e32 v30, v30, v38, vcc
	v_lshlrev_b32_e32 v35, 24, v26
	v_lshlrev_b32_e32 v30, 20, v30
	v_and_b32_e32 v35, 0x80000000, v35
	v_lshl_add_u32 v28, v28, 23, v33
	v_or3_b32 v35, v35, v28, v30
.LBB639_187:                            ;   in Loop: Header=BB639_15 Depth=1
	s_or_b64 exec, exec, s[10:11]
.LBB639_188:                            ;   in Loop: Header=BB639_15 Depth=1
	s_or_b64 exec, exec, s[6:7]
.LBB639_189:                            ;   in Loop: Header=BB639_15 Depth=1
	s_or_b64 exec, exec, s[4:5]
	v_lshrrev_b16_e32 v28, 8, v26
	v_cmp_ne_u16_e32 vcc, 0, v28
	v_mov_b32_e32 v30, 0
	v_mov_b32_e32 v37, 0
	s_and_saveexec_b64 s[4:5], vcc
	s_cbranch_execz .LBB639_195
; %bb.190:                              ;   in Loop: Header=BB639_15 Depth=1
	v_cmp_ne_u16_e32 vcc, s13, v28
	v_bfrev_b32_e32 v37, 1
	s_and_saveexec_b64 s[6:7], vcc
	s_cbranch_execz .LBB639_194
; %bb.191:                              ;   in Loop: Header=BB639_15 Depth=1
	v_and_b32_e32 v38, 0x7f, v28
	v_cmp_ne_u32_e32 vcc, s14, v38
	v_mov_b32_e32 v37, 0x7f800001
	s_and_saveexec_b64 s[10:11], vcc
	s_cbranch_execz .LBB639_193
; %bb.192:                              ;   in Loop: Header=BB639_15 Depth=1
	v_and_b32_e32 v37, 7, v28
	v_ffbh_u32_e32 v40, v37
	v_min_u32_e32 v42, 32, v40
	v_subrev_u32_e32 v40, 28, v42
	v_lshlrev_b64 v[40:41], v40, v[28:29]
	v_lshrrev_b32_e32 v39, 3, v38
	v_sub_u32_e32 v28, 29, v42
	v_and_b32_e32 v40, 7, v40
	v_cmp_gt_u32_e32 vcc, 8, v38
	v_cndmask_b32_e32 v28, v39, v28, vcc
	v_cndmask_b32_e32 v37, v37, v40, vcc
	v_lshlrev_b32_e32 v38, 16, v26
	v_lshlrev_b32_e32 v37, 20, v37
	v_and_b32_e32 v38, 0x80000000, v38
	v_lshl_add_u32 v28, v28, 23, v33
	v_or3_b32 v37, v38, v28, v37
.LBB639_193:                            ;   in Loop: Header=BB639_15 Depth=1
	s_or_b64 exec, exec, s[10:11]
.LBB639_194:                            ;   in Loop: Header=BB639_15 Depth=1
	s_or_b64 exec, exec, s[6:7]
.LBB639_195:                            ;   in Loop: Header=BB639_15 Depth=1
	s_or_b64 exec, exec, s[4:5]
	v_lshrrev_b32_e32 v28, 16, v26
	v_cmp_ne_u16_sdwa s[6:7], v28, v29 src0_sel:BYTE_0 src1_sel:DWORD
	s_and_saveexec_b64 s[4:5], s[6:7]
	s_cbranch_execz .LBB639_201
; %bb.196:                              ;   in Loop: Header=BB639_15 Depth=1
	v_cmp_ne_u16_sdwa s[10:11], v28, s13 src0_sel:BYTE_0 src1_sel:DWORD
	v_bfrev_b32_e32 v30, 1
	s_and_saveexec_b64 s[6:7], s[10:11]
	s_cbranch_execz .LBB639_200
; %bb.197:                              ;   in Loop: Header=BB639_15 Depth=1
	v_bfe_u32 v38, v26, 16, 7
	v_cmp_ne_u32_e32 vcc, s14, v38
	v_mov_b32_e32 v30, 0x7f800001
	s_and_saveexec_b64 s[10:11], vcc
	s_cbranch_execz .LBB639_199
; %bb.198:                              ;   in Loop: Header=BB639_15 Depth=1
	v_and_b32_e32 v30, 7, v28
	v_ffbh_u32_e32 v40, v30
	v_min_u32_e32 v42, 32, v40
	v_subrev_u32_e32 v40, 28, v42
	v_lshlrev_b64 v[40:41], v40, v[28:29]
	v_lshrrev_b32_e32 v39, 3, v38
	v_sub_u32_e32 v41, 29, v42
	v_and_b32_e32 v40, 7, v40
	v_cmp_gt_u32_e32 vcc, 8, v38
	v_cndmask_b32_e32 v38, v39, v41, vcc
	v_cndmask_b32_e32 v30, v30, v40, vcc
	v_lshlrev_b32_e32 v28, 24, v28
	v_lshlrev_b32_e32 v30, 20, v30
	v_and_b32_e32 v28, 0x80000000, v28
	v_lshl_add_u32 v38, v38, 23, v33
	v_or3_b32 v30, v28, v38, v30
.LBB639_199:                            ;   in Loop: Header=BB639_15 Depth=1
	s_or_b64 exec, exec, s[10:11]
.LBB639_200:                            ;   in Loop: Header=BB639_15 Depth=1
	s_or_b64 exec, exec, s[6:7]
.LBB639_201:                            ;   in Loop: Header=BB639_15 Depth=1
	s_or_b64 exec, exec, s[4:5]
	v_cmp_lt_u32_e32 vcc, s15, v26
	v_mov_b32_e32 v38, 0
	s_and_saveexec_b64 s[4:5], vcc
	s_cbranch_execz .LBB639_14
; %bb.202:                              ;   in Loop: Header=BB639_15 Depth=1
	v_lshrrev_b32_e32 v28, 24, v26
	v_cmp_ne_u32_e32 vcc, s13, v28
	v_bfrev_b32_e32 v38, 1
	s_and_saveexec_b64 s[6:7], vcc
	s_cbranch_execz .LBB639_13
; %bb.203:                              ;   in Loop: Header=BB639_15 Depth=1
	v_bfe_u32 v26, v26, 24, 7
	v_cmp_ne_u32_e32 vcc, s14, v26
	v_mov_b32_e32 v38, 0x7f800001
	s_and_saveexec_b64 s[10:11], vcc
	s_cbranch_execz .LBB639_12
; %bb.204:                              ;   in Loop: Header=BB639_15 Depth=1
	v_and_b32_e32 v40, 7, v28
	v_ffbh_u32_e32 v38, v40
	v_min_u32_e32 v42, 32, v38
	v_subrev_u32_e32 v38, 28, v42
	v_lshlrev_b64 v[38:39], v38, v[28:29]
	v_lshrrev_b32_e32 v41, 3, v26
	v_sub_u32_e32 v39, 29, v42
	v_and_b32_e32 v38, 7, v38
	v_cmp_gt_u32_e32 vcc, 8, v26
	v_cndmask_b32_e32 v26, v41, v39, vcc
	v_cndmask_b32_e32 v38, v40, v38, vcc
	v_lshlrev_b32_e32 v28, 24, v28
	v_lshlrev_b32_e32 v38, 20, v38
	v_and_b32_e32 v28, 0x80000000, v28
	v_lshl_add_u32 v26, v26, 23, v33
	v_or3_b32 v38, v28, v26, v38
	s_branch .LBB639_12
.LBB639_205:
	buffer_load_dword v13, off, s[0:3], 0 offset:256
	buffer_load_dword v14, off, s[0:3], 0 offset:260
	;; [unrolled: 1-line block ×16, first 2 shown]
	v_and_b32_e32 v12, 0xc0, v0
	v_add_u32_e32 v12, s20, v12
	v_lshl_or_b32 v12, v54, 2, v12
	v_or_b32_e32 v23, 1, v12
	v_mov_b32_e32 v19, 0xff7fffff
	v_or_b32_e32 v24, 2, v12
	v_or_b32_e32 v25, 3, v12
	v_cmp_gt_i32_e64 s[26:27], s33, v12
	v_cmp_gt_i32_e64 s[28:29], s33, v23
	s_mov_b32 s52, 0xff7fffff
	v_or_b32_e32 v26, 16, v12
	v_or_b32_e32 v27, 17, v12
	;; [unrolled: 1-line block ×12, first 2 shown]
	v_cmp_gt_i32_e64 s[30:31], s33, v24
	v_cmp_gt_i32_e64 s[34:35], s33, v25
	v_mbcnt_lo_u32_b32 v20, -1, 0
	v_cmp_gt_i32_e64 s[36:37], s33, v26
	v_cmp_gt_i32_e64 s[38:39], s33, v27
	v_mbcnt_hi_u32_b32 v20, -1, v20
	v_cmp_gt_i32_e64 s[20:21], s33, v28
	v_cmp_gt_i32_e64 s[22:23], s33, v29
	v_and_b32_e32 v21, 64, v20
	v_cmp_gt_i32_e64 s[16:17], s33, v30
	v_cmp_gt_i32_e64 s[18:19], s33, v31
	v_xor_b32_e32 v22, 32, v20
	v_add_u32_e32 v21, 64, v21
	v_cmp_gt_i32_e64 s[12:13], s33, v32
	v_cmp_gt_i32_e64 s[14:15], s33, v33
	v_cmp_lt_i32_e32 vcc, v22, v21
	v_cmp_gt_i32_e64 s[6:7], s33, v34
	v_cmp_gt_i32_e64 s[10:11], s33, v35
	v_cndmask_b32_e32 v22, v20, v22, vcc
	v_cmp_gt_i32_e32 vcc, s33, v36
	v_cmp_gt_i32_e64 s[4:5], s33, v37
	v_lshlrev_b32_e32 v22, 2, v22
	s_waitcnt vmcnt(15)
	v_cndmask_b32_e64 v12, v19, v13, s[26:27]
	s_waitcnt vmcnt(14)
	v_cndmask_b32_e64 v23, v19, v14, s[28:29]
	;; [unrolled: 2-line block ×4, first 2 shown]
	v_max3_f32 v12, v12, s52, v23
	s_waitcnt vmcnt(11)
	v_cndmask_b32_e64 v26, v19, v17, s[36:37]
	s_waitcnt vmcnt(10)
	v_cndmask_b32_e64 v27, v19, v18, s[38:39]
	v_max3_f32 v12, v12, v24, v25
	s_waitcnt vmcnt(9)
	v_cndmask_b32_e64 v28, v19, v11, s[20:21]
	s_waitcnt vmcnt(8)
	v_cndmask_b32_e64 v29, v19, v10, s[22:23]
	;; [unrolled: 5-line block ×5, first 2 shown]
	v_max3_f32 v12, v12, v32, v33
	s_waitcnt vmcnt(1)
	v_cndmask_b32_e32 v36, v19, v3, vcc
	s_waitcnt vmcnt(0)
	v_cndmask_b32_e64 v19, v19, v2, s[4:5]
	v_max3_f32 v12, v12, v34, v35
	v_max3_f32 v12, v12, v36, v19
	ds_bpermute_b32 v19, v22, v12
	v_xor_b32_e32 v23, 16, v20
	v_cmp_lt_i32_e64 s[40:41], v23, v21
	v_cndmask_b32_e64 v20, v20, v23, s[40:41]
	v_lshlrev_b32_e32 v20, 2, v20
	s_waitcnt lgkmcnt(0)
	v_max_f32_e32 v19, v19, v19
	v_max_f32_e32 v12, v12, v19
	ds_bpermute_b32 v19, v20, v12
	s_waitcnt lgkmcnt(0)
	v_max_f32_e32 v19, v19, v19
	v_max_f32_e32 v12, v12, v19
	v_sub_f32_e32 v13, v13, v12
	v_sub_f32_e32 v14, v14, v12
	;; [unrolled: 1-line block ×3, first 2 shown]
	v_mul_f32_e32 v13, 0x3fb8aa3b, v13
	v_mul_f32_e32 v14, 0x3fb8aa3b, v14
	;; [unrolled: 1-line block ×3, first 2 shown]
	v_exp_f32_e32 v13, v13
	v_exp_f32_e32 v14, v14
	;; [unrolled: 1-line block ×3, first 2 shown]
	v_sub_f32_e32 v16, v16, v12
	v_cndmask_b32_e64 v13, 0, v13, s[26:27]
	v_mul_f32_e32 v16, 0x3fb8aa3b, v16
	v_cndmask_b32_e64 v14, 0, v14, s[28:29]
	v_cndmask_b32_e64 v15, 0, v15, s[30:31]
	v_add_f32_e32 v19, 0, v13
	buffer_store_dword v13, off, s[0:3], 0 offset:256
	buffer_store_dword v14, off, s[0:3], 0 offset:260
	;; [unrolled: 1-line block ×3, first 2 shown]
	v_sub_f32_e32 v13, v17, v12
	v_exp_f32_e32 v16, v16
	v_add_f32_e32 v19, v19, v14
	v_mul_f32_e32 v13, 0x3fb8aa3b, v13
	v_sub_f32_e32 v14, v18, v12
	v_exp_f32_e32 v13, v13
	v_mul_f32_e32 v14, 0x3fb8aa3b, v14
	v_sub_f32_e32 v11, v11, v12
	v_exp_f32_e32 v14, v14
	;; [unrolled: 3-line block ×3, first 2 shown]
	v_mul_f32_e32 v10, 0x3fb8aa3b, v10
	v_sub_f32_e32 v9, v9, v12
	v_cndmask_b32_e64 v16, 0, v16, s[34:35]
	v_add_f32_e32 v19, v19, v15
	v_exp_f32_e32 v10, v10
	v_mul_f32_e32 v9, 0x3fb8aa3b, v9
	v_sub_f32_e32 v8, v8, v12
	v_add_f32_e32 v19, v19, v16
	v_cndmask_b32_e64 v13, 0, v13, s[36:37]
	v_exp_f32_e32 v9, v9
	v_mul_f32_e32 v8, 0x3fb8aa3b, v8
	v_sub_f32_e32 v7, v7, v12
	v_add_f32_e32 v15, v19, v13
	v_cndmask_b32_e64 v14, 0, v14, s[38:39]
	;; [unrolled: 5-line block ×5, first 2 shown]
	v_exp_f32_e32 v5, v5
	v_mul_f32_e32 v4, 0x3fb8aa3b, v4
	v_sub_f32_e32 v3, v3, v12
	buffer_store_dword v16, off, s[0:3], 0 offset:268
	buffer_store_dword v13, off, s[0:3], 0 offset:272
	;; [unrolled: 1-line block ×5, first 2 shown]
	v_add_f32_e32 v10, v15, v9
	v_cndmask_b32_e64 v8, 0, v8, s[18:19]
	v_exp_f32_e32 v4, v4
	v_mul_f32_e32 v3, 0x3fb8aa3b, v3
	v_sub_f32_e32 v2, v2, v12
	v_add_f32_e32 v10, v10, v8
	v_cndmask_b32_e64 v7, 0, v7, s[12:13]
	v_exp_f32_e32 v3, v3
	v_mul_f32_e32 v2, 0x3fb8aa3b, v2
	v_add_f32_e32 v10, v10, v7
	v_cndmask_b32_e64 v6, 0, v6, s[14:15]
	v_exp_f32_e32 v2, v2
	v_add_f32_e32 v10, v10, v6
	v_cndmask_b32_e64 v5, 0, v5, s[6:7]
	buffer_store_dword v9, off, s[0:3], 0 offset:288
	buffer_store_dword v8, off, s[0:3], 0 offset:292
	;; [unrolled: 1-line block ×4, first 2 shown]
	v_add_f32_e32 v6, v10, v5
	v_cndmask_b32_e64 v4, 0, v4, s[10:11]
	v_add_f32_e32 v6, v6, v4
	v_cndmask_b32_e32 v3, 0, v3, vcc
	v_add_f32_e32 v6, v6, v3
	v_cndmask_b32_e64 v2, 0, v2, s[4:5]
	v_add_f32_e32 v6, v6, v2
	ds_bpermute_b32 v7, v22, v6
	buffer_store_dword v5, off, s[0:3], 0 offset:304
	buffer_store_dword v4, off, s[0:3], 0 offset:308
	;; [unrolled: 1-line block ×4, first 2 shown]
	v_cmp_gt_u32_e32 vcc, 16, v57
	s_waitcnt lgkmcnt(0)
	s_barrier
	v_add_f32_e32 v2, v6, v7
	ds_bpermute_b32 v3, v20, v2
	s_waitcnt lgkmcnt(0)
	s_and_saveexec_b64 s[4:5], vcc
	s_cbranch_execz .LBB639_207
; %bb.206:
	v_add_f32_e32 v2, v2, v3
	v_lshlrev_b32_e32 v3, 2, v66
	ds_write2st64_b32 v3, v12, v2 offset1:1
.LBB639_207:
	s_or_b64 exec, exec, s[4:5]
	v_lshlrev_b32_e32 v2, 2, v55
	s_waitcnt lgkmcnt(0)
	s_barrier
	ds_read2_b32 v[12:13], v2 offset1:16
	ds_read2_b32 v[14:15], v2 offset0:32 offset1:48
	ds_read2_b32 v[6:7], v2 offset0:64 offset1:80
	;; [unrolled: 1-line block ×3, first 2 shown]
	s_waitcnt lgkmcnt(0)
	s_barrier
	buffer_load_dword v20, off, s[0:3], 0 offset:256
	buffer_load_dword v21, off, s[0:3], 0 offset:260
	;; [unrolled: 1-line block ×16, first 2 shown]
	v_lshlrev_b32_e32 v19, 3, v54
	v_lshlrev_b32_e32 v18, 5, v55
	;; [unrolled: 1-line block ×3, first 2 shown]
	v_or3_b32 v39, v28, v18, v19
	v_max3_f32 v19, v12, s52, v13
	v_max3_f32 v19, v19, v14, v15
	v_sub_f32_e32 v12, v12, v19
	v_sub_f32_e32 v13, v13, v19
	v_mul_f32_e32 v12, 0x3fb8aa3b, v12
	v_sub_f32_e32 v14, v14, v19
	v_mul_f32_e32 v13, 0x3fb8aa3b, v13
	v_exp_f32_e32 v12, v12
	v_sub_f32_e32 v15, v15, v19
	v_mul_f32_e32 v14, 0x3fb8aa3b, v14
	v_exp_f32_e32 v13, v13
	v_mul_f32_e32 v15, 0x3fb8aa3b, v15
	v_exp_f32_e32 v14, v14
	v_exp_f32_e32 v15, v15
	v_fma_f32 v6, v12, v6, 0
	v_fmac_f32_e32 v6, v13, v7
	v_fmac_f32_e32 v6, v14, v10
	;; [unrolled: 1-line block ×3, first 2 shown]
	v_cmp_eq_u32_e32 vcc, 1, v65
	v_add_f32_e32 v10, 0x358637bd, v6
	v_cndmask_b32_e32 v12, v12, v13, vcc
	v_cmp_eq_u32_e32 vcc, 2, v65
	v_div_scale_f32 v11, s[4:5], v10, v10, 1.0
	v_cndmask_b32_e32 v7, v12, v14, vcc
	v_rcp_f32_e32 v12, v11
	v_cmp_eq_u32_e32 vcc, 3, v65
	v_cndmask_b32_e32 v7, v7, v15, vcc
	v_div_scale_f32 v13, vcc, 1.0, v10, 1.0
	v_fma_f32 v14, -v11, v12, 1.0
	v_fmac_f32_e32 v12, v14, v12
	v_mul_f32_e32 v14, v13, v12
	v_fma_f32 v15, -v11, v14, v13
	v_fmac_f32_e32 v14, v15, v12
	v_fma_f32 v11, -v11, v14, v13
	v_div_fmas_f32 v11, v11, v12, v14
	v_div_fixup_f32 v10, v11, v10, 1.0
	v_mul_f32_e32 v10, v7, v10
	s_lshl_b32 s18, s51, 1
	v_cmp_gt_u32_e32 vcc, 2, v0
	s_waitcnt vmcnt(14)
	v_pk_mul_f32 v[14:15], v[10:11], v[20:21] op_sel_hi:[0,1]
	v_cvt_f16_f32_e32 v7, v14
	s_waitcnt vmcnt(12)
	v_pk_mul_f32 v[12:13], v[10:11], v[22:23] op_sel_hi:[0,1]
	buffer_store_dword v14, off, s[0:3], 0 offset:256
	buffer_store_dword v15, off, s[0:3], 0 offset:260
	;; [unrolled: 1-line block ×3, first 2 shown]
	s_waitcnt vmcnt(13)
	v_pk_mul_f32 v[20:21], v[10:11], v[24:25] op_sel_hi:[0,1]
	v_cvt_f16_f32_e32 v14, v12
	s_waitcnt vmcnt(11)
	v_pk_mul_f32 v[22:23], v[10:11], v[26:27] op_sel_hi:[0,1]
	v_cvt_f16_f32_e32 v11, v15
	v_cvt_f16_f32_e32 v15, v13
	buffer_store_dword v13, off, s[0:3], 0 offset:268
	buffer_store_dword v22, off, s[0:3], 0 offset:272
	;; [unrolled: 1-line block ×3, first 2 shown]
	v_pack_b32_f16 v12, v7, v11
	v_cvt_f16_f32_e32 v11, v23
	v_pack_b32_f16 v13, v14, v15
	v_cvt_f16_f32_e32 v7, v22
	v_cvt_f16_f32_e32 v15, v20
	;; [unrolled: 1-line block ×3, first 2 shown]
	s_waitcnt vmcnt(12)
	v_pk_mul_f32 v[4:5], v[10:11], v[4:5] op_sel_hi:[0,1]
	v_pack_b32_f16 v14, v7, v11
	s_waitcnt vmcnt(10)
	v_pk_mul_f32 v[2:3], v[10:11], v[2:3] op_sel_hi:[0,1]
	v_pack_b32_f16 v15, v15, v22
	v_cvt_f16_f32_e32 v11, v5
	buffer_store_dword v20, off, s[0:3], 0 offset:280
	buffer_store_dword v21, off, s[0:3], 0 offset:284
	ds_write2st64_b64 v39, v[12:13], v[14:15] offset1:1
	buffer_store_dword v2, off, s[0:3], 0 offset:288
	buffer_store_dword v3, off, s[0:3], 0 offset:292
	v_cvt_f16_f32_e32 v2, v2
	v_cvt_f16_f32_e32 v3, v3
	;; [unrolled: 1-line block ×3, first 2 shown]
	buffer_store_dword v4, off, s[0:3], 0 offset:296
	buffer_store_dword v5, off, s[0:3], 0 offset:300
	s_waitcnt vmcnt(12)
	v_pk_mul_f32 v[4:5], v[10:11], v[16:17] op_sel_hi:[0,1]
	v_pk_mul_f32 v[8:9], v[10:11], v[8:9] op_sel_hi:[0,1]
	v_pack_b32_f16 v2, v2, v3
	v_pack_b32_f16 v3, v7, v11
	buffer_store_dword v8, off, s[0:3], 0 offset:304
	buffer_store_dword v9, off, s[0:3], 0 offset:308
	v_cvt_f16_f32_e32 v7, v8
	v_cvt_f16_f32_e32 v8, v9
	v_cvt_f16_f32_e32 v9, v4
	v_cvt_f16_f32_e32 v10, v5
	buffer_store_dword v4, off, s[0:3], 0 offset:312
	buffer_store_dword v5, off, s[0:3], 0 offset:316
	v_pack_b32_f16 v4, v7, v8
	v_pack_b32_f16 v5, v9, v10
	ds_write2st64_b64 v39, v[2:3], v[4:5] offset0:2 offset1:3
	s_and_saveexec_b64 s[4:5], vcc
	s_cbranch_execz .LBB639_209
; %bb.208:
	v_or_b32_e32 v2, s25, v0
	v_mov_b32_e32 v3, 0
	v_mov_b32_e32 v4, s18
	v_mad_u64_u32 v[4:5], s[6:7], s8, v4, v[2:3]
	v_mov_b32_e32 v2, s24
	s_mul_i32 s9, s9, s18
	v_mad_u64_u32 v[2:3], s[6:7], v4, s50, v[2:3]
	v_add_u32_e32 v5, s9, v5
	v_mov_b32_e32 v4, v3
	v_mad_u64_u32 v[4:5], s[6:7], v5, s50, v[4:5]
	v_mov_b32_e32 v3, v4
	v_lshlrev_b64 v[2:3], 2, v[2:3]
	v_mov_b32_e32 v5, s47
	v_add_co_u32_e32 v4, vcc, s46, v2
	v_addc_co_u32_e32 v5, vcc, v5, v3, vcc
	global_store_dword v[4:5], v19, off
	v_mov_b32_e32 v4, s45
	v_add_co_u32_e32 v2, vcc, s44, v2
	v_addc_co_u32_e32 v3, vcc, v4, v3, vcc
	global_store_dword v[2:3], v6, off
.LBB639_209:
	s_or_b64 exec, exec, s[4:5]
	v_lshl_or_b32 v30, v54, 9, v18
	s_waitcnt lgkmcnt(0)
	s_barrier
	s_load_dword s4, s[42:43], 0x0
	ds_read_b128 v[2:5], v30
	ds_read_b128 v[6:9], v30 offset:16
	ds_read_b128 v[10:13], v30 offset:2048
	;; [unrolled: 1-line block ×7, first 2 shown]
	v_mov_b32_e32 v35, 0x80
	v_mov_b32_e32 v41, 0x140
	s_mov_b64 s[10:11], -1
	s_waitcnt lgkmcnt(0)
	s_mov_b32 s5, s4
	s_mov_b32 s6, s4
	;; [unrolled: 1-line block ×3, first 2 shown]
	s_movk_i32 s9, 0x80
	s_movk_i32 s19, 0x7f
	s_mov_b32 s20, 0xffffff
	v_mov_b32_e32 v43, 0
	v_bfrev_b32_e32 v45, 60
	s_branch .LBB639_213
.LBB639_210:                            ;   in Loop: Header=BB639_213 Depth=1
	s_or_b64 exec, exec, s[16:17]
.LBB639_211:                            ;   in Loop: Header=BB639_213 Depth=1
	s_or_b64 exec, exec, s[14:15]
.LBB639_212:                            ;   in Loop: Header=BB639_213 Depth=1
	s_or_b64 exec, exec, s[12:13]
	v_cvt_pkrtz_f16_f32 v46, v46, v47
	v_cvt_pkrtz_f16_f32 v47, v44, v49
	s_xor_b64 s[12:13], s[10:11], -1
	s_mov_b64 s[10:11], 0
	v_mov_b32_e32 v64, v59
	v_mfma_f32_16x16x16f16 v[66:69], v[46:47], v[30:31], v[34:37]
	v_mov_b32_e32 v63, v60
	v_mov_b32_e32 v62, v61
	s_and_b64 vcc, exec, s[12:13]
	s_nop 3
	v_cvt_pkrtz_f16_f32 v36, v48, v50
	v_cvt_pkrtz_f16_f32 v37, v42, v51
	v_mov_b32_e32 v35, v58
	s_nop 0
	v_mfma_f32_16x16x16f16 v[46:49], v[36:37], v[32:33], v[66:69]
	s_nop 7
	s_nop 2
	v_pk_mul_f32 v[46:47], v[46:47], s[4:5]
	v_pk_mul_f32 v[36:37], v[48:49], s[6:7]
	v_cvt_f16_f32_e32 v34, v46
	v_cvt_f16_f32_e32 v38, v47
	;; [unrolled: 1-line block ×4, first 2 shown]
	v_pack_b32_f16 v34, v34, v38
	v_pack_b32_f16 v36, v36, v37
	buffer_store_dword v34, v41, s[0:3], 0 offen
	buffer_store_dword v36, v41, s[0:3], 0 offen offset:4
	v_mov_b32_e32 v41, 0x148
	s_cbranch_vccnz .LBB639_595
.LBB639_213:                            ; =>This Inner Loop Header: Depth=1
	buffer_load_dword v36, v35, s[0:3], 0 offen
	buffer_load_dword v34, v35, s[0:3], 0 offen offset:4
	buffer_load_dword v40, v35, s[0:3], 0 offen offset:8
	;; [unrolled: 1-line block ×3, first 2 shown]
	v_mov_b32_e32 v35, 0
	s_waitcnt vmcnt(3)
	v_cmp_ne_u16_sdwa s[14:15], v36, v43 src0_sel:BYTE_0 src1_sel:DWORD
	s_and_saveexec_b64 s[12:13], s[14:15]
	s_cbranch_execz .LBB639_219
; %bb.214:                              ;   in Loop: Header=BB639_213 Depth=1
	v_cmp_ne_u16_sdwa s[16:17], v36, s9 src0_sel:BYTE_0 src1_sel:DWORD
	v_bfrev_b32_e32 v35, 1
	s_and_saveexec_b64 s[14:15], s[16:17]
	s_cbranch_execz .LBB639_218
; %bb.215:                              ;   in Loop: Header=BB639_213 Depth=1
	v_and_b32_e32 v37, 0x7f, v36
	v_cmp_ne_u32_e32 vcc, s19, v37
	v_mov_b32_e32 v35, 0x7f800001
	s_and_saveexec_b64 s[16:17], vcc
	s_cbranch_execz .LBB639_217
; %bb.216:                              ;   in Loop: Header=BB639_213 Depth=1
	v_and_b32_e32 v35, 7, v36
	v_ffbh_u32_e32 v44, v35
	v_min_u32_e32 v44, 32, v44
	v_subrev_u32_e32 v46, 28, v44
	v_lshlrev_b64 v[46:47], v46, v[36:37]
	v_lshrrev_b32_e32 v42, 3, v37
	v_sub_u32_e32 v44, 29, v44
	v_and_b32_e32 v46, 7, v46
	v_cmp_gt_u32_e32 vcc, 8, v37
	v_cndmask_b32_e32 v37, v42, v44, vcc
	v_cndmask_b32_e32 v35, v35, v46, vcc
	v_lshlrev_b32_e32 v42, 24, v36
	v_lshlrev_b32_e32 v35, 20, v35
	v_and_b32_e32 v42, 0x80000000, v42
	v_lshl_add_u32 v37, v37, 23, v45
	v_or3_b32 v35, v42, v37, v35
.LBB639_217:                            ;   in Loop: Header=BB639_213 Depth=1
	s_or_b64 exec, exec, s[16:17]
.LBB639_218:                            ;   in Loop: Header=BB639_213 Depth=1
	s_or_b64 exec, exec, s[14:15]
.LBB639_219:                            ;   in Loop: Header=BB639_213 Depth=1
	s_or_b64 exec, exec, s[12:13]
	v_lshrrev_b16_e32 v42, 8, v36
	v_cmp_ne_u16_e32 vcc, 0, v42
	v_mov_b32_e32 v37, 0
	s_and_saveexec_b64 s[12:13], vcc
	s_cbranch_execz .LBB639_225
; %bb.220:                              ;   in Loop: Header=BB639_213 Depth=1
	v_cmp_ne_u16_e32 vcc, s9, v42
	v_bfrev_b32_e32 v37, 1
	s_and_saveexec_b64 s[14:15], vcc
	s_cbranch_execz .LBB639_224
; %bb.221:                              ;   in Loop: Header=BB639_213 Depth=1
	v_and_b32_e32 v44, 0x7f, v42
	v_cmp_ne_u32_e32 vcc, s19, v44
	v_mov_b32_e32 v37, 0x7f800001
	s_and_saveexec_b64 s[16:17], vcc
	s_cbranch_execz .LBB639_223
; %bb.222:                              ;   in Loop: Header=BB639_213 Depth=1
	v_and_b32_e32 v37, 7, v42
	v_ffbh_u32_e32 v46, v37
	v_min_u32_e32 v49, 32, v46
	v_subrev_u32_e32 v46, 28, v49
	v_lshlrev_b64 v[46:47], v46, v[42:43]
	v_lshrrev_b32_e32 v48, 3, v44
	v_sub_u32_e32 v42, 29, v49
	v_and_b32_e32 v46, 7, v46
	v_cmp_gt_u32_e32 vcc, 8, v44
	v_cndmask_b32_e32 v42, v48, v42, vcc
	v_cndmask_b32_e32 v37, v37, v46, vcc
	v_lshlrev_b32_e32 v44, 16, v36
	v_lshlrev_b32_e32 v37, 20, v37
	v_and_b32_e32 v44, 0x80000000, v44
	v_lshl_add_u32 v42, v42, 23, v45
	v_or3_b32 v37, v44, v42, v37
.LBB639_223:                            ;   in Loop: Header=BB639_213 Depth=1
	s_or_b64 exec, exec, s[16:17]
.LBB639_224:                            ;   in Loop: Header=BB639_213 Depth=1
	s_or_b64 exec, exec, s[14:15]
.LBB639_225:                            ;   in Loop: Header=BB639_213 Depth=1
	s_or_b64 exec, exec, s[12:13]
	v_lshrrev_b32_e32 v42, 16, v36
	v_cmp_ne_u16_sdwa s[14:15], v42, v43 src0_sel:BYTE_0 src1_sel:DWORD
	v_mov_b32_e32 v46, 0
	v_mov_b32_e32 v44, 0
	s_and_saveexec_b64 s[12:13], s[14:15]
	s_cbranch_execz .LBB639_231
; %bb.226:                              ;   in Loop: Header=BB639_213 Depth=1
	v_cmp_ne_u16_sdwa s[16:17], v42, s9 src0_sel:BYTE_0 src1_sel:DWORD
	v_bfrev_b32_e32 v44, 1
	s_and_saveexec_b64 s[14:15], s[16:17]
	s_cbranch_execz .LBB639_230
; %bb.227:                              ;   in Loop: Header=BB639_213 Depth=1
	v_bfe_u32 v47, v36, 16, 7
	v_cmp_ne_u32_e32 vcc, s19, v47
	v_mov_b32_e32 v44, 0x7f800001
	s_and_saveexec_b64 s[16:17], vcc
	s_cbranch_execz .LBB639_229
; %bb.228:                              ;   in Loop: Header=BB639_213 Depth=1
	v_and_b32_e32 v44, 7, v42
	v_ffbh_u32_e32 v48, v44
	v_min_u32_e32 v51, 32, v48
	v_subrev_u32_e32 v48, 28, v51
	v_lshlrev_b64 v[48:49], v48, v[42:43]
	v_lshrrev_b32_e32 v50, 3, v47
	v_sub_u32_e32 v49, 29, v51
	v_and_b32_e32 v48, 7, v48
	v_cmp_gt_u32_e32 vcc, 8, v47
	v_cndmask_b32_e32 v47, v50, v49, vcc
	v_cndmask_b32_e32 v44, v44, v48, vcc
	v_lshlrev_b32_e32 v42, 24, v42
	v_lshlrev_b32_e32 v44, 20, v44
	v_and_b32_e32 v42, 0x80000000, v42
	v_lshl_add_u32 v47, v47, 23, v45
	v_or3_b32 v44, v42, v47, v44
.LBB639_229:                            ;   in Loop: Header=BB639_213 Depth=1
	s_or_b64 exec, exec, s[16:17]
.LBB639_230:                            ;   in Loop: Header=BB639_213 Depth=1
	s_or_b64 exec, exec, s[14:15]
.LBB639_231:                            ;   in Loop: Header=BB639_213 Depth=1
	s_or_b64 exec, exec, s[12:13]
	v_cmp_lt_u32_e32 vcc, s20, v36
	s_and_saveexec_b64 s[12:13], vcc
	s_cbranch_execz .LBB639_237
; %bb.232:                              ;   in Loop: Header=BB639_213 Depth=1
	v_lshrrev_b32_e32 v42, 24, v36
	v_cmp_ne_u32_e32 vcc, s9, v42
	v_bfrev_b32_e32 v46, 1
	s_and_saveexec_b64 s[14:15], vcc
	s_cbranch_execz .LBB639_236
; %bb.233:                              ;   in Loop: Header=BB639_213 Depth=1
	v_bfe_u32 v36, v36, 24, 7
	v_cmp_ne_u32_e32 vcc, s19, v36
	v_mov_b32_e32 v46, 0x7f800001
	s_and_saveexec_b64 s[16:17], vcc
	s_cbranch_execz .LBB639_235
; %bb.234:                              ;   in Loop: Header=BB639_213 Depth=1
	v_and_b32_e32 v48, 7, v42
	v_ffbh_u32_e32 v46, v48
	v_min_u32_e32 v50, 32, v46
	v_subrev_u32_e32 v46, 28, v50
	v_lshlrev_b64 v[46:47], v46, v[42:43]
	v_lshrrev_b32_e32 v49, 3, v36
	v_sub_u32_e32 v47, 29, v50
	v_and_b32_e32 v46, 7, v46
	v_cmp_gt_u32_e32 vcc, 8, v36
	v_cndmask_b32_e32 v36, v49, v47, vcc
	v_cndmask_b32_e32 v46, v48, v46, vcc
	v_lshlrev_b32_e32 v42, 24, v42
	v_lshlrev_b32_e32 v46, 20, v46
	v_and_b32_e32 v42, 0x80000000, v42
	v_lshl_add_u32 v36, v36, 23, v45
	v_or3_b32 v46, v42, v36, v46
.LBB639_235:                            ;   in Loop: Header=BB639_213 Depth=1
	s_or_b64 exec, exec, s[16:17]
.LBB639_236:                            ;   in Loop: Header=BB639_213 Depth=1
	s_or_b64 exec, exec, s[14:15]
.LBB639_237:                            ;   in Loop: Header=BB639_213 Depth=1
	s_or_b64 exec, exec, s[12:13]
	s_waitcnt vmcnt(2)
	v_cmp_ne_u16_sdwa s[14:15], v34, v43 src0_sel:BYTE_0 src1_sel:DWORD
	v_mov_b32_e32 v42, 0
	v_mov_b32_e32 v47, 0
	s_and_saveexec_b64 s[12:13], s[14:15]
	s_cbranch_execz .LBB639_243
; %bb.238:                              ;   in Loop: Header=BB639_213 Depth=1
	v_cmp_ne_u16_sdwa s[16:17], v34, s9 src0_sel:BYTE_0 src1_sel:DWORD
	v_bfrev_b32_e32 v47, 1
	s_and_saveexec_b64 s[14:15], s[16:17]
	s_cbranch_execz .LBB639_242
; %bb.239:                              ;   in Loop: Header=BB639_213 Depth=1
	v_and_b32_e32 v36, 0x7f, v34
	v_cmp_ne_u32_e32 vcc, s19, v36
	v_mov_b32_e32 v47, 0x7f800001
	s_and_saveexec_b64 s[16:17], vcc
	s_cbranch_execz .LBB639_241
; %bb.240:                              ;   in Loop: Header=BB639_213 Depth=1
	v_and_b32_e32 v47, 7, v34
	v_ffbh_u32_e32 v48, v47
	v_min_u32_e32 v51, 32, v48
	v_subrev_u32_e32 v48, 28, v51
	v_lshlrev_b64 v[48:49], v48, v[34:35]
	v_lshrrev_b32_e32 v50, 3, v36
	v_sub_u32_e32 v49, 29, v51
	v_and_b32_e32 v48, 7, v48
	v_cmp_gt_u32_e32 vcc, 8, v36
	v_cndmask_b32_e32 v36, v50, v49, vcc
	v_cndmask_b32_e32 v47, v47, v48, vcc
	v_lshlrev_b32_e32 v48, 24, v34
	v_lshlrev_b32_e32 v47, 20, v47
	v_and_b32_e32 v48, 0x80000000, v48
	v_lshl_add_u32 v36, v36, 23, v45
	v_or3_b32 v47, v48, v36, v47
.LBB639_241:                            ;   in Loop: Header=BB639_213 Depth=1
	s_or_b64 exec, exec, s[16:17]
.LBB639_242:                            ;   in Loop: Header=BB639_213 Depth=1
	s_or_b64 exec, exec, s[14:15]
.LBB639_243:                            ;   in Loop: Header=BB639_213 Depth=1
	s_or_b64 exec, exec, s[12:13]
	v_lshrrev_b16_e32 v36, 8, v34
	v_cmp_ne_u16_e32 vcc, 0, v36
	s_and_saveexec_b64 s[12:13], vcc
	s_cbranch_execz .LBB639_249
; %bb.244:                              ;   in Loop: Header=BB639_213 Depth=1
	v_cmp_ne_u16_e32 vcc, s9, v36
	v_bfrev_b32_e32 v42, 1
	s_and_saveexec_b64 s[14:15], vcc
	s_cbranch_execz .LBB639_248
; %bb.245:                              ;   in Loop: Header=BB639_213 Depth=1
	v_and_b32_e32 v48, 0x7f, v36
	v_cmp_ne_u32_e32 vcc, s19, v48
	v_mov_b32_e32 v42, 0x7f800001
	s_and_saveexec_b64 s[16:17], vcc
	s_cbranch_execz .LBB639_247
; %bb.246:                              ;   in Loop: Header=BB639_213 Depth=1
	v_and_b32_e32 v42, 7, v36
	v_ffbh_u32_e32 v50, v42
	v_min_u32_e32 v52, 32, v50
	v_subrev_u32_e32 v50, 28, v52
	v_lshlrev_b64 v[50:51], v50, v[36:37]
	v_lshrrev_b32_e32 v49, 3, v48
	v_sub_u32_e32 v36, 29, v52
	v_and_b32_e32 v50, 7, v50
	v_cmp_gt_u32_e32 vcc, 8, v48
	v_cndmask_b32_e32 v36, v49, v36, vcc
	v_cndmask_b32_e32 v42, v42, v50, vcc
	v_lshlrev_b32_e32 v48, 16, v34
	v_lshlrev_b32_e32 v42, 20, v42
	v_and_b32_e32 v48, 0x80000000, v48
	v_lshl_add_u32 v36, v36, 23, v45
	v_or3_b32 v42, v48, v36, v42
.LBB639_247:                            ;   in Loop: Header=BB639_213 Depth=1
	s_or_b64 exec, exec, s[16:17]
.LBB639_248:                            ;   in Loop: Header=BB639_213 Depth=1
	s_or_b64 exec, exec, s[14:15]
.LBB639_249:                            ;   in Loop: Header=BB639_213 Depth=1
	s_or_b64 exec, exec, s[12:13]
	v_lshrrev_b32_e32 v36, 16, v34
	v_cmp_ne_u16_sdwa s[14:15], v36, v43 src0_sel:BYTE_0 src1_sel:DWORD
	v_mov_b32_e32 v49, 0
	v_mov_b32_e32 v48, 0
	s_and_saveexec_b64 s[12:13], s[14:15]
	s_cbranch_execz .LBB639_255
; %bb.250:                              ;   in Loop: Header=BB639_213 Depth=1
	v_cmp_ne_u16_sdwa s[16:17], v36, s9 src0_sel:BYTE_0 src1_sel:DWORD
	v_bfrev_b32_e32 v48, 1
	s_and_saveexec_b64 s[14:15], s[16:17]
	s_cbranch_execz .LBB639_254
; %bb.251:                              ;   in Loop: Header=BB639_213 Depth=1
	v_bfe_u32 v50, v34, 16, 7
	v_cmp_ne_u32_e32 vcc, s19, v50
	v_mov_b32_e32 v48, 0x7f800001
	s_and_saveexec_b64 s[16:17], vcc
	s_cbranch_execz .LBB639_253
; %bb.252:                              ;   in Loop: Header=BB639_213 Depth=1
	v_and_b32_e32 v48, 7, v36
	v_ffbh_u32_e32 v52, v48
	v_min_u32_e32 v65, 32, v52
	v_subrev_u32_e32 v52, 28, v65
	v_lshlrev_b64 v[52:53], v52, v[36:37]
	v_lshrrev_b32_e32 v51, 3, v50
	v_sub_u32_e32 v53, 29, v65
	v_and_b32_e32 v52, 7, v52
	v_cmp_gt_u32_e32 vcc, 8, v50
	v_cndmask_b32_e32 v50, v51, v53, vcc
	v_cndmask_b32_e32 v48, v48, v52, vcc
	v_lshlrev_b32_e32 v36, 24, v36
	v_lshlrev_b32_e32 v48, 20, v48
	v_and_b32_e32 v36, 0x80000000, v36
	v_lshl_add_u32 v50, v50, 23, v45
	v_or3_b32 v48, v36, v50, v48
.LBB639_253:                            ;   in Loop: Header=BB639_213 Depth=1
	s_or_b64 exec, exec, s[16:17]
.LBB639_254:                            ;   in Loop: Header=BB639_213 Depth=1
	s_or_b64 exec, exec, s[14:15]
.LBB639_255:                            ;   in Loop: Header=BB639_213 Depth=1
	s_or_b64 exec, exec, s[12:13]
	v_cmp_lt_u32_e32 vcc, s20, v34
	s_and_saveexec_b64 s[12:13], vcc
	s_cbranch_execz .LBB639_261
; %bb.256:                              ;   in Loop: Header=BB639_213 Depth=1
	v_lshrrev_b32_e32 v36, 24, v34
	v_cmp_ne_u32_e32 vcc, s9, v36
	v_bfrev_b32_e32 v49, 1
	s_and_saveexec_b64 s[14:15], vcc
	s_cbranch_execz .LBB639_260
; %bb.257:                              ;   in Loop: Header=BB639_213 Depth=1
	v_bfe_u32 v34, v34, 24, 7
	v_cmp_ne_u32_e32 vcc, s19, v34
	v_mov_b32_e32 v49, 0x7f800001
	s_and_saveexec_b64 s[16:17], vcc
	s_cbranch_execz .LBB639_259
; %bb.258:                              ;   in Loop: Header=BB639_213 Depth=1
	v_and_b32_e32 v49, 7, v36
	v_ffbh_u32_e32 v50, v49
	v_min_u32_e32 v53, 32, v50
	v_subrev_u32_e32 v50, 28, v53
	v_lshlrev_b64 v[50:51], v50, v[36:37]
	v_lshrrev_b32_e32 v52, 3, v34
	v_sub_u32_e32 v51, 29, v53
	v_and_b32_e32 v50, 7, v50
	v_cmp_gt_u32_e32 vcc, 8, v34
	v_cndmask_b32_e32 v34, v52, v51, vcc
	v_cndmask_b32_e32 v49, v49, v50, vcc
	v_lshlrev_b32_e32 v36, 24, v36
	v_lshlrev_b32_e32 v49, 20, v49
	v_and_b32_e32 v36, 0x80000000, v36
	v_lshl_add_u32 v34, v34, 23, v45
	v_or3_b32 v49, v36, v34, v49
.LBB639_259:                            ;   in Loop: Header=BB639_213 Depth=1
	s_or_b64 exec, exec, s[16:17]
.LBB639_260:                            ;   in Loop: Header=BB639_213 Depth=1
	s_or_b64 exec, exec, s[14:15]
.LBB639_261:                            ;   in Loop: Header=BB639_213 Depth=1
	s_or_b64 exec, exec, s[12:13]
	v_cvt_pkrtz_f16_f32 v34, v35, v37
	v_cvt_pkrtz_f16_f32 v35, v44, v46
	;; [unrolled: 1-line block ×4, first 2 shown]
	v_mov_b32_e32 v44, 0
	v_mfma_f32_16x16x16f16 v[34:37], v[34:35], v[2:3], 0
	s_waitcnt vmcnt(1)
	v_cmp_ne_u16_sdwa s[14:15], v40, v43 src0_sel:BYTE_0 src1_sel:DWORD
	v_mov_b32_e32 v46, 0
	v_mfma_f32_16x16x16f16 v[34:37], v[50:51], v[4:5], v[34:37]
	s_and_saveexec_b64 s[12:13], s[14:15]
	s_cbranch_execz .LBB639_267
; %bb.262:                              ;   in Loop: Header=BB639_213 Depth=1
	v_cmp_ne_u16_sdwa s[16:17], v40, s9 src0_sel:BYTE_0 src1_sel:DWORD
	v_bfrev_b32_e32 v46, 1
	s_and_saveexec_b64 s[14:15], s[16:17]
	s_cbranch_execz .LBB639_266
; %bb.263:                              ;   in Loop: Header=BB639_213 Depth=1
	v_and_b32_e32 v42, 0x7f, v40
	v_cmp_ne_u32_e32 vcc, s19, v42
	v_mov_b32_e32 v46, 0x7f800001
	s_and_saveexec_b64 s[16:17], vcc
	s_cbranch_execz .LBB639_265
; %bb.264:                              ;   in Loop: Header=BB639_213 Depth=1
	v_and_b32_e32 v48, 7, v40
	v_ffbh_u32_e32 v46, v48
	v_min_u32_e32 v50, 32, v46
	v_subrev_u32_e32 v46, 28, v50
	v_lshlrev_b64 v[46:47], v46, v[40:41]
	v_lshrrev_b32_e32 v49, 3, v42
	v_sub_u32_e32 v47, 29, v50
	v_and_b32_e32 v46, 7, v46
	v_cmp_gt_u32_e32 vcc, 8, v42
	v_cndmask_b32_e32 v42, v49, v47, vcc
	v_cndmask_b32_e32 v46, v48, v46, vcc
	v_lshlrev_b32_e32 v47, 24, v40
	v_lshlrev_b32_e32 v46, 20, v46
	v_and_b32_e32 v47, 0x80000000, v47
	v_lshl_add_u32 v42, v42, 23, v45
	v_or3_b32 v46, v47, v42, v46
.LBB639_265:                            ;   in Loop: Header=BB639_213 Depth=1
	s_or_b64 exec, exec, s[16:17]
.LBB639_266:                            ;   in Loop: Header=BB639_213 Depth=1
	s_or_b64 exec, exec, s[14:15]
.LBB639_267:                            ;   in Loop: Header=BB639_213 Depth=1
	s_or_b64 exec, exec, s[12:13]
	v_lshrrev_b16_e32 v42, 8, v40
	v_cmp_ne_u16_e32 vcc, 0, v42
	v_mov_b32_e32 v48, 0
	s_and_saveexec_b64 s[12:13], vcc
	s_cbranch_execz .LBB639_273
; %bb.268:                              ;   in Loop: Header=BB639_213 Depth=1
	v_cmp_ne_u16_e32 vcc, s9, v42
	v_bfrev_b32_e32 v48, 1
	s_and_saveexec_b64 s[14:15], vcc
	s_cbranch_execz .LBB639_272
; %bb.269:                              ;   in Loop: Header=BB639_213 Depth=1
	v_and_b32_e32 v47, 0x7f, v42
	v_cmp_ne_u32_e32 vcc, s19, v47
	v_mov_b32_e32 v48, 0x7f800001
	s_and_saveexec_b64 s[16:17], vcc
	s_cbranch_execz .LBB639_271
; %bb.270:                              ;   in Loop: Header=BB639_213 Depth=1
	v_and_b32_e32 v50, 7, v42
	v_ffbh_u32_e32 v48, v50
	v_min_u32_e32 v52, 32, v48
	v_subrev_u32_e32 v48, 28, v52
	v_lshlrev_b64 v[48:49], v48, v[42:43]
	v_lshrrev_b32_e32 v51, 3, v47
	v_sub_u32_e32 v42, 29, v52
	v_and_b32_e32 v48, 7, v48
	v_cmp_gt_u32_e32 vcc, 8, v47
	v_cndmask_b32_e32 v42, v51, v42, vcc
	v_cndmask_b32_e32 v47, v50, v48, vcc
	v_lshlrev_b32_e32 v48, 16, v40
	v_lshlrev_b32_e32 v47, 20, v47
	v_and_b32_e32 v48, 0x80000000, v48
	v_lshl_add_u32 v42, v42, 23, v45
	v_or3_b32 v48, v48, v42, v47
.LBB639_271:                            ;   in Loop: Header=BB639_213 Depth=1
	s_or_b64 exec, exec, s[16:17]
.LBB639_272:                            ;   in Loop: Header=BB639_213 Depth=1
	s_or_b64 exec, exec, s[14:15]
.LBB639_273:                            ;   in Loop: Header=BB639_213 Depth=1
	s_or_b64 exec, exec, s[12:13]
	v_lshrrev_b32_e32 v42, 16, v40
	v_cmp_ne_u16_sdwa s[14:15], v42, v43 src0_sel:BYTE_0 src1_sel:DWORD
	s_and_saveexec_b64 s[12:13], s[14:15]
	s_cbranch_execz .LBB639_279
; %bb.274:                              ;   in Loop: Header=BB639_213 Depth=1
	v_cmp_ne_u16_sdwa s[16:17], v42, s9 src0_sel:BYTE_0 src1_sel:DWORD
	v_bfrev_b32_e32 v44, 1
	s_and_saveexec_b64 s[14:15], s[16:17]
	s_cbranch_execz .LBB639_278
; %bb.275:                              ;   in Loop: Header=BB639_213 Depth=1
	v_bfe_u32 v47, v40, 16, 7
	v_cmp_ne_u32_e32 vcc, s19, v47
	v_mov_b32_e32 v44, 0x7f800001
	s_and_saveexec_b64 s[16:17], vcc
	s_cbranch_execz .LBB639_277
; %bb.276:                              ;   in Loop: Header=BB639_213 Depth=1
	v_and_b32_e32 v44, 7, v42
	v_ffbh_u32_e32 v50, v44
	v_min_u32_e32 v52, 32, v50
	v_subrev_u32_e32 v50, 28, v52
	v_lshlrev_b64 v[50:51], v50, v[42:43]
	v_lshrrev_b32_e32 v49, 3, v47
	v_sub_u32_e32 v51, 29, v52
	v_and_b32_e32 v50, 7, v50
	v_cmp_gt_u32_e32 vcc, 8, v47
	v_cndmask_b32_e32 v47, v49, v51, vcc
	v_cndmask_b32_e32 v44, v44, v50, vcc
	v_lshlrev_b32_e32 v42, 24, v42
	v_lshlrev_b32_e32 v44, 20, v44
	v_and_b32_e32 v42, 0x80000000, v42
	v_lshl_add_u32 v47, v47, 23, v45
	v_or3_b32 v44, v42, v47, v44
.LBB639_277:                            ;   in Loop: Header=BB639_213 Depth=1
	s_or_b64 exec, exec, s[16:17]
.LBB639_278:                            ;   in Loop: Header=BB639_213 Depth=1
	s_or_b64 exec, exec, s[14:15]
.LBB639_279:                            ;   in Loop: Header=BB639_213 Depth=1
	s_or_b64 exec, exec, s[12:13]
	v_cmp_lt_u32_e32 vcc, s20, v40
	v_mov_b32_e32 v49, 0
	v_mov_b32_e32 v50, 0
	s_and_saveexec_b64 s[12:13], vcc
	s_cbranch_execz .LBB639_285
; %bb.280:                              ;   in Loop: Header=BB639_213 Depth=1
	v_lshrrev_b32_e32 v42, 24, v40
	v_cmp_ne_u32_e32 vcc, s9, v42
	v_bfrev_b32_e32 v50, 1
	s_and_saveexec_b64 s[14:15], vcc
	s_cbranch_execz .LBB639_284
; %bb.281:                              ;   in Loop: Header=BB639_213 Depth=1
	v_bfe_u32 v40, v40, 24, 7
	v_cmp_ne_u32_e32 vcc, s19, v40
	v_mov_b32_e32 v50, 0x7f800001
	s_and_saveexec_b64 s[16:17], vcc
	s_cbranch_execz .LBB639_283
; %bb.282:                              ;   in Loop: Header=BB639_213 Depth=1
	v_and_b32_e32 v47, 7, v42
	v_ffbh_u32_e32 v50, v47
	v_min_u32_e32 v53, 32, v50
	v_subrev_u32_e32 v50, 28, v53
	v_lshlrev_b64 v[50:51], v50, v[42:43]
	v_lshrrev_b32_e32 v52, 3, v40
	v_sub_u32_e32 v51, 29, v53
	v_and_b32_e32 v50, 7, v50
	v_cmp_gt_u32_e32 vcc, 8, v40
	v_cndmask_b32_e32 v40, v52, v51, vcc
	v_cndmask_b32_e32 v47, v47, v50, vcc
	v_lshlrev_b32_e32 v42, 24, v42
	v_lshlrev_b32_e32 v47, 20, v47
	v_and_b32_e32 v42, 0x80000000, v42
	v_lshl_add_u32 v40, v40, 23, v45
	v_or3_b32 v50, v42, v40, v47
.LBB639_283:                            ;   in Loop: Header=BB639_213 Depth=1
	s_or_b64 exec, exec, s[16:17]
.LBB639_284:                            ;   in Loop: Header=BB639_213 Depth=1
	s_or_b64 exec, exec, s[14:15]
.LBB639_285:                            ;   in Loop: Header=BB639_213 Depth=1
	s_or_b64 exec, exec, s[12:13]
	s_waitcnt vmcnt(0)
	v_cmp_ne_u16_sdwa s[14:15], v38, v43 src0_sel:BYTE_0 src1_sel:DWORD
	s_and_saveexec_b64 s[12:13], s[14:15]
	s_cbranch_execz .LBB639_291
; %bb.286:                              ;   in Loop: Header=BB639_213 Depth=1
	v_cmp_ne_u16_sdwa s[16:17], v38, s9 src0_sel:BYTE_0 src1_sel:DWORD
	v_bfrev_b32_e32 v49, 1
	s_and_saveexec_b64 s[14:15], s[16:17]
	s_cbranch_execz .LBB639_290
; %bb.287:                              ;   in Loop: Header=BB639_213 Depth=1
	v_and_b32_e32 v40, 0x7f, v38
	v_cmp_ne_u32_e32 vcc, s19, v40
	v_mov_b32_e32 v49, 0x7f800001
	s_and_saveexec_b64 s[16:17], vcc
	s_cbranch_execz .LBB639_289
; %bb.288:                              ;   in Loop: Header=BB639_213 Depth=1
	v_and_b32_e32 v42, 7, v38
	v_ffbh_u32_e32 v49, v42
	v_min_u32_e32 v49, 32, v49
	v_subrev_u32_e32 v51, 28, v49
	v_lshlrev_b64 v[52:53], v51, v[38:39]
	v_lshrrev_b32_e32 v47, 3, v40
	v_sub_u32_e32 v49, 29, v49
	v_and_b32_e32 v51, 7, v52
	v_cmp_gt_u32_e32 vcc, 8, v40
	v_cndmask_b32_e32 v40, v47, v49, vcc
	v_cndmask_b32_e32 v42, v42, v51, vcc
	v_lshlrev_b32_e32 v47, 24, v38
	v_lshlrev_b32_e32 v42, 20, v42
	v_and_b32_e32 v47, 0x80000000, v47
	v_lshl_add_u32 v40, v40, 23, v45
	v_or3_b32 v49, v47, v40, v42
.LBB639_289:                            ;   in Loop: Header=BB639_213 Depth=1
	s_or_b64 exec, exec, s[16:17]
.LBB639_290:                            ;   in Loop: Header=BB639_213 Depth=1
	s_or_b64 exec, exec, s[14:15]
.LBB639_291:                            ;   in Loop: Header=BB639_213 Depth=1
	s_or_b64 exec, exec, s[12:13]
	v_lshrrev_b16_e32 v40, 8, v38
	v_cmp_ne_u16_e32 vcc, 0, v40
	v_mov_b32_e32 v51, 0
	v_mov_b32_e32 v52, 0
	s_and_saveexec_b64 s[12:13], vcc
	s_cbranch_execz .LBB639_297
; %bb.292:                              ;   in Loop: Header=BB639_213 Depth=1
	v_cmp_ne_u16_e32 vcc, s9, v40
	v_bfrev_b32_e32 v52, 1
	s_and_saveexec_b64 s[14:15], vcc
	s_cbranch_execz .LBB639_296
; %bb.293:                              ;   in Loop: Header=BB639_213 Depth=1
	v_and_b32_e32 v42, 0x7f, v40
	v_cmp_ne_u32_e32 vcc, s19, v42
	v_mov_b32_e32 v52, 0x7f800001
	s_and_saveexec_b64 s[16:17], vcc
	s_cbranch_execz .LBB639_295
; %bb.294:                              ;   in Loop: Header=BB639_213 Depth=1
	v_and_b32_e32 v47, 7, v40
	v_ffbh_u32_e32 v52, v47
	v_min_u32_e32 v66, 32, v52
	v_subrev_u32_e32 v52, 28, v66
	v_lshlrev_b64 v[52:53], v52, v[40:41]
	v_lshrrev_b32_e32 v65, 3, v42
	v_sub_u32_e32 v40, 29, v66
	v_and_b32_e32 v52, 7, v52
	v_cmp_gt_u32_e32 vcc, 8, v42
	v_cndmask_b32_e32 v40, v65, v40, vcc
	v_cndmask_b32_e32 v42, v47, v52, vcc
	v_lshlrev_b32_e32 v47, 16, v38
	v_lshlrev_b32_e32 v42, 20, v42
	v_and_b32_e32 v47, 0x80000000, v47
	v_lshl_add_u32 v40, v40, 23, v45
	v_or3_b32 v52, v47, v40, v42
.LBB639_295:                            ;   in Loop: Header=BB639_213 Depth=1
	s_or_b64 exec, exec, s[16:17]
.LBB639_296:                            ;   in Loop: Header=BB639_213 Depth=1
	s_or_b64 exec, exec, s[14:15]
.LBB639_297:                            ;   in Loop: Header=BB639_213 Depth=1
	s_or_b64 exec, exec, s[12:13]
	v_lshrrev_b32_e32 v40, 16, v38
	v_cmp_ne_u16_sdwa s[14:15], v40, v43 src0_sel:BYTE_0 src1_sel:DWORD
	s_and_saveexec_b64 s[12:13], s[14:15]
	s_cbranch_execz .LBB639_303
; %bb.298:                              ;   in Loop: Header=BB639_213 Depth=1
	v_cmp_ne_u16_sdwa s[16:17], v40, s9 src0_sel:BYTE_0 src1_sel:DWORD
	v_bfrev_b32_e32 v51, 1
	s_and_saveexec_b64 s[14:15], s[16:17]
	s_cbranch_execz .LBB639_302
; %bb.299:                              ;   in Loop: Header=BB639_213 Depth=1
	v_bfe_u32 v42, v38, 16, 7
	v_cmp_ne_u32_e32 vcc, s19, v42
	v_mov_b32_e32 v51, 0x7f800001
	s_and_saveexec_b64 s[16:17], vcc
	s_cbranch_execz .LBB639_301
; %bb.300:                              ;   in Loop: Header=BB639_213 Depth=1
	v_and_b32_e32 v47, 7, v40
	v_ffbh_u32_e32 v53, v47
	v_min_u32_e32 v53, 32, v53
	v_subrev_u32_e32 v65, 28, v53
	v_lshlrev_b64 v[66:67], v65, v[40:41]
	v_lshrrev_b32_e32 v51, 3, v42
	v_sub_u32_e32 v53, 29, v53
	v_and_b32_e32 v65, 7, v66
	v_cmp_gt_u32_e32 vcc, 8, v42
	v_cndmask_b32_e32 v42, v51, v53, vcc
	v_cndmask_b32_e32 v47, v47, v65, vcc
	v_lshlrev_b32_e32 v40, 24, v40
	v_lshlrev_b32_e32 v47, 20, v47
	v_and_b32_e32 v40, 0x80000000, v40
	v_lshl_add_u32 v42, v42, 23, v45
	v_or3_b32 v51, v40, v42, v47
.LBB639_301:                            ;   in Loop: Header=BB639_213 Depth=1
	s_or_b64 exec, exec, s[16:17]
.LBB639_302:                            ;   in Loop: Header=BB639_213 Depth=1
	s_or_b64 exec, exec, s[14:15]
.LBB639_303:                            ;   in Loop: Header=BB639_213 Depth=1
	s_or_b64 exec, exec, s[12:13]
	v_cmp_lt_u32_e32 vcc, s20, v38
	v_mov_b32_e32 v47, 0
	v_mov_b32_e32 v53, 0
	s_and_saveexec_b64 s[12:13], vcc
	s_cbranch_execz .LBB639_309
; %bb.304:                              ;   in Loop: Header=BB639_213 Depth=1
	v_lshrrev_b32_e32 v40, 24, v38
	v_cmp_ne_u32_e32 vcc, s9, v40
	v_bfrev_b32_e32 v53, 1
	s_and_saveexec_b64 s[14:15], vcc
	s_cbranch_execz .LBB639_308
; %bb.305:                              ;   in Loop: Header=BB639_213 Depth=1
	v_bfe_u32 v38, v38, 24, 7
	v_cmp_ne_u32_e32 vcc, s19, v38
	v_mov_b32_e32 v53, 0x7f800001
	s_and_saveexec_b64 s[16:17], vcc
	s_cbranch_execz .LBB639_307
; %bb.306:                              ;   in Loop: Header=BB639_213 Depth=1
	v_and_b32_e32 v42, 7, v40
	v_ffbh_u32_e32 v65, v42
	v_min_u32_e32 v65, 32, v65
	v_subrev_u32_e32 v66, 28, v65
	v_lshlrev_b64 v[66:67], v66, v[40:41]
	v_lshrrev_b32_e32 v53, 3, v38
	v_sub_u32_e32 v65, 29, v65
	v_and_b32_e32 v66, 7, v66
	v_cmp_gt_u32_e32 vcc, 8, v38
	v_cndmask_b32_e32 v38, v53, v65, vcc
	v_cndmask_b32_e32 v42, v42, v66, vcc
	v_lshlrev_b32_e32 v40, 24, v40
	v_lshlrev_b32_e32 v42, 20, v42
	v_and_b32_e32 v40, 0x80000000, v40
	v_lshl_add_u32 v38, v38, 23, v45
	v_or3_b32 v53, v40, v38, v42
.LBB639_307:                            ;   in Loop: Header=BB639_213 Depth=1
	s_or_b64 exec, exec, s[16:17]
.LBB639_308:                            ;   in Loop: Header=BB639_213 Depth=1
	s_or_b64 exec, exec, s[14:15]
.LBB639_309:                            ;   in Loop: Header=BB639_213 Depth=1
	s_or_b64 exec, exec, s[12:13]
	v_cvt_pkrtz_f16_f32 v67, v44, v50
	buffer_load_dword v44, v64, s[0:3], 0 offen
	buffer_load_dword v42, v64, s[0:3], 0 offen offset:4
	buffer_load_dword v40, v64, s[0:3], 0 offen offset:8
	;; [unrolled: 1-line block ×3, first 2 shown]
	v_cvt_pkrtz_f16_f32 v66, v46, v48
	v_cvt_pkrtz_f16_f32 v48, v49, v52
	;; [unrolled: 1-line block ×3, first 2 shown]
	v_mfma_f32_16x16x16f16 v[34:37], v[66:67], v[6:7], v[34:37]
	s_waitcnt vmcnt(3)
	v_cmp_ne_u16_sdwa s[14:15], v44, v43 src0_sel:BYTE_0 src1_sel:DWORD
	v_mfma_f32_16x16x16f16 v[34:37], v[48:49], v[8:9], v[34:37]
	s_and_saveexec_b64 s[12:13], s[14:15]
	s_cbranch_execz .LBB639_315
; %bb.310:                              ;   in Loop: Header=BB639_213 Depth=1
	v_cmp_ne_u16_sdwa s[16:17], v44, s9 src0_sel:BYTE_0 src1_sel:DWORD
	v_bfrev_b32_e32 v47, 1
	s_and_saveexec_b64 s[14:15], s[16:17]
	s_cbranch_execz .LBB639_314
; %bb.311:                              ;   in Loop: Header=BB639_213 Depth=1
	v_and_b32_e32 v46, 0x7f, v44
	v_cmp_ne_u32_e32 vcc, s19, v46
	v_mov_b32_e32 v47, 0x7f800001
	s_and_saveexec_b64 s[16:17], vcc
	s_cbranch_execz .LBB639_313
; %bb.312:                              ;   in Loop: Header=BB639_213 Depth=1
	v_and_b32_e32 v47, 7, v44
	v_ffbh_u32_e32 v48, v47
	v_min_u32_e32 v51, 32, v48
	v_subrev_u32_e32 v48, 28, v51
	v_lshlrev_b64 v[48:49], v48, v[44:45]
	v_lshrrev_b32_e32 v50, 3, v46
	v_sub_u32_e32 v49, 29, v51
	v_and_b32_e32 v48, 7, v48
	v_cmp_gt_u32_e32 vcc, 8, v46
	v_cndmask_b32_e32 v46, v50, v49, vcc
	v_cndmask_b32_e32 v47, v47, v48, vcc
	v_lshlrev_b32_e32 v48, 24, v44
	v_lshlrev_b32_e32 v47, 20, v47
	v_and_b32_e32 v48, 0x80000000, v48
	v_lshl_add_u32 v46, v46, 23, v45
	v_or3_b32 v47, v48, v46, v47
.LBB639_313:                            ;   in Loop: Header=BB639_213 Depth=1
	s_or_b64 exec, exec, s[16:17]
.LBB639_314:                            ;   in Loop: Header=BB639_213 Depth=1
	s_or_b64 exec, exec, s[14:15]
.LBB639_315:                            ;   in Loop: Header=BB639_213 Depth=1
	s_or_b64 exec, exec, s[12:13]
	v_lshrrev_b16_e32 v46, 8, v44
	v_cmp_ne_u16_e32 vcc, 0, v46
	v_mov_b32_e32 v48, 0
	v_mov_b32_e32 v49, 0
	s_and_saveexec_b64 s[12:13], vcc
	s_cbranch_execz .LBB639_321
; %bb.316:                              ;   in Loop: Header=BB639_213 Depth=1
	v_cmp_ne_u16_e32 vcc, s9, v46
	v_bfrev_b32_e32 v49, 1
	s_and_saveexec_b64 s[14:15], vcc
	s_cbranch_execz .LBB639_320
; %bb.317:                              ;   in Loop: Header=BB639_213 Depth=1
	v_and_b32_e32 v50, 0x7f, v46
	v_cmp_ne_u32_e32 vcc, s19, v50
	v_mov_b32_e32 v49, 0x7f800001
	s_and_saveexec_b64 s[16:17], vcc
	s_cbranch_execz .LBB639_319
; %bb.318:                              ;   in Loop: Header=BB639_213 Depth=1
	v_and_b32_e32 v49, 7, v46
	v_ffbh_u32_e32 v52, v49
	v_min_u32_e32 v64, 32, v52
	v_subrev_u32_e32 v52, 28, v64
	v_lshlrev_b64 v[52:53], v52, v[46:47]
	v_lshrrev_b32_e32 v51, 3, v50
	v_sub_u32_e32 v46, 29, v64
	v_and_b32_e32 v52, 7, v52
	v_cmp_gt_u32_e32 vcc, 8, v50
	v_cndmask_b32_e32 v46, v51, v46, vcc
	v_cndmask_b32_e32 v49, v49, v52, vcc
	v_lshlrev_b32_e32 v50, 16, v44
	v_lshlrev_b32_e32 v49, 20, v49
	v_and_b32_e32 v50, 0x80000000, v50
	v_lshl_add_u32 v46, v46, 23, v45
	v_or3_b32 v49, v50, v46, v49
.LBB639_319:                            ;   in Loop: Header=BB639_213 Depth=1
	s_or_b64 exec, exec, s[16:17]
.LBB639_320:                            ;   in Loop: Header=BB639_213 Depth=1
	s_or_b64 exec, exec, s[14:15]
.LBB639_321:                            ;   in Loop: Header=BB639_213 Depth=1
	s_or_b64 exec, exec, s[12:13]
	v_lshrrev_b32_e32 v46, 16, v44
	v_cmp_ne_u16_sdwa s[14:15], v46, v43 src0_sel:BYTE_0 src1_sel:DWORD
	s_and_saveexec_b64 s[12:13], s[14:15]
	s_cbranch_execz .LBB639_327
; %bb.322:                              ;   in Loop: Header=BB639_213 Depth=1
	v_cmp_ne_u16_sdwa s[16:17], v46, s9 src0_sel:BYTE_0 src1_sel:DWORD
	v_bfrev_b32_e32 v48, 1
	s_and_saveexec_b64 s[14:15], s[16:17]
	s_cbranch_execz .LBB639_326
; %bb.323:                              ;   in Loop: Header=BB639_213 Depth=1
	v_bfe_u32 v50, v44, 16, 7
	v_cmp_ne_u32_e32 vcc, s19, v50
	v_mov_b32_e32 v48, 0x7f800001
	s_and_saveexec_b64 s[16:17], vcc
	s_cbranch_execz .LBB639_325
; %bb.324:                              ;   in Loop: Header=BB639_213 Depth=1
	v_and_b32_e32 v48, 7, v46
	v_ffbh_u32_e32 v52, v48
	v_min_u32_e32 v64, 32, v52
	v_subrev_u32_e32 v52, 28, v64
	v_lshlrev_b64 v[52:53], v52, v[46:47]
	v_lshrrev_b32_e32 v51, 3, v50
	v_sub_u32_e32 v53, 29, v64
	v_and_b32_e32 v52, 7, v52
	v_cmp_gt_u32_e32 vcc, 8, v50
	v_cndmask_b32_e32 v50, v51, v53, vcc
	v_cndmask_b32_e32 v48, v48, v52, vcc
	v_lshlrev_b32_e32 v46, 24, v46
	v_lshlrev_b32_e32 v48, 20, v48
	v_and_b32_e32 v46, 0x80000000, v46
	v_lshl_add_u32 v50, v50, 23, v45
	v_or3_b32 v48, v46, v50, v48
.LBB639_325:                            ;   in Loop: Header=BB639_213 Depth=1
	s_or_b64 exec, exec, s[16:17]
.LBB639_326:                            ;   in Loop: Header=BB639_213 Depth=1
	s_or_b64 exec, exec, s[14:15]
.LBB639_327:                            ;   in Loop: Header=BB639_213 Depth=1
	s_or_b64 exec, exec, s[12:13]
	v_cmp_lt_u32_e32 vcc, s20, v44
	v_mov_b32_e32 v50, 0
	v_mov_b32_e32 v51, 0
	s_and_saveexec_b64 s[12:13], vcc
	s_cbranch_execz .LBB639_333
; %bb.328:                              ;   in Loop: Header=BB639_213 Depth=1
	v_lshrrev_b32_e32 v46, 24, v44
	v_cmp_ne_u32_e32 vcc, s9, v46
	v_bfrev_b32_e32 v51, 1
	s_and_saveexec_b64 s[14:15], vcc
	s_cbranch_execz .LBB639_332
; %bb.329:                              ;   in Loop: Header=BB639_213 Depth=1
	v_bfe_u32 v44, v44, 24, 7
	v_cmp_ne_u32_e32 vcc, s19, v44
	v_mov_b32_e32 v51, 0x7f800001
	s_and_saveexec_b64 s[16:17], vcc
	s_cbranch_execz .LBB639_331
; %bb.330:                              ;   in Loop: Header=BB639_213 Depth=1
	v_and_b32_e32 v51, 7, v46
	v_ffbh_u32_e32 v52, v51
	v_min_u32_e32 v65, 32, v52
	v_subrev_u32_e32 v52, 28, v65
	v_lshlrev_b64 v[52:53], v52, v[46:47]
	v_lshrrev_b32_e32 v64, 3, v44
	v_sub_u32_e32 v53, 29, v65
	v_and_b32_e32 v52, 7, v52
	v_cmp_gt_u32_e32 vcc, 8, v44
	v_cndmask_b32_e32 v44, v64, v53, vcc
	v_cndmask_b32_e32 v51, v51, v52, vcc
	v_lshlrev_b32_e32 v46, 24, v46
	v_lshlrev_b32_e32 v51, 20, v51
	v_and_b32_e32 v46, 0x80000000, v46
	v_lshl_add_u32 v44, v44, 23, v45
	v_or3_b32 v51, v46, v44, v51
.LBB639_331:                            ;   in Loop: Header=BB639_213 Depth=1
	s_or_b64 exec, exec, s[16:17]
.LBB639_332:                            ;   in Loop: Header=BB639_213 Depth=1
	s_or_b64 exec, exec, s[14:15]
.LBB639_333:                            ;   in Loop: Header=BB639_213 Depth=1
	s_or_b64 exec, exec, s[12:13]
	s_waitcnt vmcnt(2)
	v_cmp_ne_u16_sdwa s[14:15], v42, v43 src0_sel:BYTE_0 src1_sel:DWORD
	s_and_saveexec_b64 s[12:13], s[14:15]
	s_cbranch_execz .LBB639_339
; %bb.334:                              ;   in Loop: Header=BB639_213 Depth=1
	v_cmp_ne_u16_sdwa s[16:17], v42, s9 src0_sel:BYTE_0 src1_sel:DWORD
	v_bfrev_b32_e32 v50, 1
	s_and_saveexec_b64 s[14:15], s[16:17]
	s_cbranch_execz .LBB639_338
; %bb.335:                              ;   in Loop: Header=BB639_213 Depth=1
	v_and_b32_e32 v44, 0x7f, v42
	v_cmp_ne_u32_e32 vcc, s19, v44
	v_mov_b32_e32 v50, 0x7f800001
	s_and_saveexec_b64 s[16:17], vcc
	s_cbranch_execz .LBB639_337
; %bb.336:                              ;   in Loop: Header=BB639_213 Depth=1
	v_and_b32_e32 v46, 7, v42
	v_ffbh_u32_e32 v52, v46
	v_min_u32_e32 v64, 32, v52
	v_subrev_u32_e32 v52, 28, v64
	v_lshlrev_b64 v[52:53], v52, v[42:43]
	v_lshrrev_b32_e32 v50, 3, v44
	v_sub_u32_e32 v53, 29, v64
	v_and_b32_e32 v52, 7, v52
	v_cmp_gt_u32_e32 vcc, 8, v44
	v_cndmask_b32_e32 v44, v50, v53, vcc
	v_cndmask_b32_e32 v46, v46, v52, vcc
	v_lshlrev_b32_e32 v50, 24, v42
	v_lshlrev_b32_e32 v46, 20, v46
	v_and_b32_e32 v50, 0x80000000, v50
	v_lshl_add_u32 v44, v44, 23, v45
	v_or3_b32 v50, v50, v44, v46
.LBB639_337:                            ;   in Loop: Header=BB639_213 Depth=1
	s_or_b64 exec, exec, s[16:17]
.LBB639_338:                            ;   in Loop: Header=BB639_213 Depth=1
	s_or_b64 exec, exec, s[14:15]
.LBB639_339:                            ;   in Loop: Header=BB639_213 Depth=1
	s_or_b64 exec, exec, s[12:13]
	v_lshrrev_b16_e32 v44, 8, v42
	v_cmp_ne_u16_e32 vcc, 0, v44
	v_mov_b32_e32 v52, 0
	v_mov_b32_e32 v53, 0
	s_and_saveexec_b64 s[12:13], vcc
	s_cbranch_execz .LBB639_345
; %bb.340:                              ;   in Loop: Header=BB639_213 Depth=1
	v_cmp_ne_u16_e32 vcc, s9, v44
	v_bfrev_b32_e32 v53, 1
	s_and_saveexec_b64 s[14:15], vcc
	s_cbranch_execz .LBB639_344
; %bb.341:                              ;   in Loop: Header=BB639_213 Depth=1
	v_and_b32_e32 v46, 0x7f, v44
	v_cmp_ne_u32_e32 vcc, s19, v46
	v_mov_b32_e32 v53, 0x7f800001
	s_and_saveexec_b64 s[16:17], vcc
	s_cbranch_execz .LBB639_343
; %bb.342:                              ;   in Loop: Header=BB639_213 Depth=1
	v_and_b32_e32 v53, 7, v44
	v_ffbh_u32_e32 v64, v53
	v_min_u32_e32 v67, 32, v64
	v_subrev_u32_e32 v64, 28, v67
	v_lshlrev_b64 v[64:65], v64, v[44:45]
	v_lshrrev_b32_e32 v66, 3, v46
	v_sub_u32_e32 v44, 29, v67
	v_and_b32_e32 v64, 7, v64
	v_cmp_gt_u32_e32 vcc, 8, v46
	v_cndmask_b32_e32 v44, v66, v44, vcc
	v_cndmask_b32_e32 v46, v53, v64, vcc
	v_lshlrev_b32_e32 v53, 16, v42
	v_lshlrev_b32_e32 v46, 20, v46
	v_and_b32_e32 v53, 0x80000000, v53
	v_lshl_add_u32 v44, v44, 23, v45
	v_or3_b32 v53, v53, v44, v46
.LBB639_343:                            ;   in Loop: Header=BB639_213 Depth=1
	s_or_b64 exec, exec, s[16:17]
.LBB639_344:                            ;   in Loop: Header=BB639_213 Depth=1
	s_or_b64 exec, exec, s[14:15]
.LBB639_345:                            ;   in Loop: Header=BB639_213 Depth=1
	s_or_b64 exec, exec, s[12:13]
	v_lshrrev_b32_e32 v44, 16, v42
	v_cmp_ne_u16_sdwa s[14:15], v44, v43 src0_sel:BYTE_0 src1_sel:DWORD
	s_and_saveexec_b64 s[12:13], s[14:15]
	s_cbranch_execz .LBB639_351
; %bb.346:                              ;   in Loop: Header=BB639_213 Depth=1
	v_cmp_ne_u16_sdwa s[16:17], v44, s9 src0_sel:BYTE_0 src1_sel:DWORD
	v_bfrev_b32_e32 v52, 1
	s_and_saveexec_b64 s[14:15], s[16:17]
	s_cbranch_execz .LBB639_350
; %bb.347:                              ;   in Loop: Header=BB639_213 Depth=1
	v_bfe_u32 v46, v42, 16, 7
	v_cmp_ne_u32_e32 vcc, s19, v46
	v_mov_b32_e32 v52, 0x7f800001
	s_and_saveexec_b64 s[16:17], vcc
	s_cbranch_execz .LBB639_349
; %bb.348:                              ;   in Loop: Header=BB639_213 Depth=1
	v_and_b32_e32 v52, 7, v44
	v_ffbh_u32_e32 v64, v52
	v_min_u32_e32 v67, 32, v64
	v_subrev_u32_e32 v64, 28, v67
	v_lshlrev_b64 v[64:65], v64, v[44:45]
	v_lshrrev_b32_e32 v66, 3, v46
	v_sub_u32_e32 v65, 29, v67
	v_and_b32_e32 v64, 7, v64
	v_cmp_gt_u32_e32 vcc, 8, v46
	v_cndmask_b32_e32 v46, v66, v65, vcc
	v_cndmask_b32_e32 v52, v52, v64, vcc
	v_lshlrev_b32_e32 v44, 24, v44
	v_lshlrev_b32_e32 v52, 20, v52
	v_and_b32_e32 v44, 0x80000000, v44
	v_lshl_add_u32 v46, v46, 23, v45
	v_or3_b32 v52, v44, v46, v52
.LBB639_349:                            ;   in Loop: Header=BB639_213 Depth=1
	s_or_b64 exec, exec, s[16:17]
.LBB639_350:                            ;   in Loop: Header=BB639_213 Depth=1
	s_or_b64 exec, exec, s[14:15]
.LBB639_351:                            ;   in Loop: Header=BB639_213 Depth=1
	s_or_b64 exec, exec, s[12:13]
	v_cmp_lt_u32_e32 vcc, s20, v42
	v_mov_b32_e32 v46, 0
	v_mov_b32_e32 v64, 0
	s_and_saveexec_b64 s[12:13], vcc
	s_cbranch_execz .LBB639_357
; %bb.352:                              ;   in Loop: Header=BB639_213 Depth=1
	v_lshrrev_b32_e32 v44, 24, v42
	v_cmp_ne_u32_e32 vcc, s9, v44
	v_bfrev_b32_e32 v64, 1
	s_and_saveexec_b64 s[14:15], vcc
	s_cbranch_execz .LBB639_356
; %bb.353:                              ;   in Loop: Header=BB639_213 Depth=1
	v_bfe_u32 v42, v42, 24, 7
	v_cmp_ne_u32_e32 vcc, s19, v42
	v_mov_b32_e32 v64, 0x7f800001
	s_and_saveexec_b64 s[16:17], vcc
	s_cbranch_execz .LBB639_355
; %bb.354:                              ;   in Loop: Header=BB639_213 Depth=1
	v_and_b32_e32 v66, 7, v44
	v_ffbh_u32_e32 v64, v66
	v_min_u32_e32 v68, 32, v64
	v_subrev_u32_e32 v64, 28, v68
	v_lshlrev_b64 v[64:65], v64, v[44:45]
	v_lshrrev_b32_e32 v67, 3, v42
	v_sub_u32_e32 v65, 29, v68
	v_and_b32_e32 v64, 7, v64
	v_cmp_gt_u32_e32 vcc, 8, v42
	v_cndmask_b32_e32 v42, v67, v65, vcc
	v_cndmask_b32_e32 v64, v66, v64, vcc
	v_lshlrev_b32_e32 v44, 24, v44
	v_lshlrev_b32_e32 v64, 20, v64
	v_and_b32_e32 v44, 0x80000000, v44
	v_lshl_add_u32 v42, v42, 23, v45
	v_or3_b32 v64, v44, v42, v64
.LBB639_355:                            ;   in Loop: Header=BB639_213 Depth=1
	s_or_b64 exec, exec, s[16:17]
.LBB639_356:                            ;   in Loop: Header=BB639_213 Depth=1
	s_or_b64 exec, exec, s[14:15]
.LBB639_357:                            ;   in Loop: Header=BB639_213 Depth=1
	s_or_b64 exec, exec, s[12:13]
	v_cvt_pkrtz_f16_f32 v66, v47, v49
	v_cvt_pkrtz_f16_f32 v67, v48, v51
	;; [unrolled: 1-line block ×4, first 2 shown]
	s_waitcnt vmcnt(1)
	v_cmp_ne_u16_sdwa s[14:15], v40, v43 src0_sel:BYTE_0 src1_sel:DWORD
	v_mfma_f32_16x16x16f16 v[34:37], v[66:67], v[10:11], v[34:37]
	v_mfma_f32_16x16x16f16 v[34:37], v[48:49], v[12:13], v[34:37]
	s_and_saveexec_b64 s[12:13], s[14:15]
	s_cbranch_execz .LBB639_363
; %bb.358:                              ;   in Loop: Header=BB639_213 Depth=1
	v_cmp_ne_u16_sdwa s[16:17], v40, s9 src0_sel:BYTE_0 src1_sel:DWORD
	v_bfrev_b32_e32 v46, 1
	s_and_saveexec_b64 s[14:15], s[16:17]
	s_cbranch_execz .LBB639_362
; %bb.359:                              ;   in Loop: Header=BB639_213 Depth=1
	v_and_b32_e32 v42, 0x7f, v40
	v_cmp_ne_u32_e32 vcc, s19, v42
	v_mov_b32_e32 v46, 0x7f800001
	s_and_saveexec_b64 s[16:17], vcc
	s_cbranch_execz .LBB639_361
; %bb.360:                              ;   in Loop: Header=BB639_213 Depth=1
	v_and_b32_e32 v44, 7, v40
	v_ffbh_u32_e32 v46, v44
	v_min_u32_e32 v49, 32, v46
	v_subrev_u32_e32 v46, 28, v49
	v_lshlrev_b64 v[46:47], v46, v[40:41]
	v_lshrrev_b32_e32 v48, 3, v42
	v_sub_u32_e32 v47, 29, v49
	v_and_b32_e32 v46, 7, v46
	v_cmp_gt_u32_e32 vcc, 8, v42
	v_cndmask_b32_e32 v42, v48, v47, vcc
	v_cndmask_b32_e32 v44, v44, v46, vcc
	v_lshlrev_b32_e32 v46, 24, v40
	v_lshlrev_b32_e32 v44, 20, v44
	v_and_b32_e32 v46, 0x80000000, v46
	v_lshl_add_u32 v42, v42, 23, v45
	v_or3_b32 v46, v46, v42, v44
.LBB639_361:                            ;   in Loop: Header=BB639_213 Depth=1
	s_or_b64 exec, exec, s[16:17]
.LBB639_362:                            ;   in Loop: Header=BB639_213 Depth=1
	s_or_b64 exec, exec, s[14:15]
.LBB639_363:                            ;   in Loop: Header=BB639_213 Depth=1
	s_or_b64 exec, exec, s[12:13]
	v_lshrrev_b16_e32 v42, 8, v40
	v_cmp_ne_u16_e32 vcc, 0, v42
	v_mov_b32_e32 v44, 0
	v_mov_b32_e32 v48, 0
	s_and_saveexec_b64 s[12:13], vcc
	s_cbranch_execz .LBB639_369
; %bb.364:                              ;   in Loop: Header=BB639_213 Depth=1
	v_cmp_ne_u16_e32 vcc, s9, v42
	v_bfrev_b32_e32 v48, 1
	s_and_saveexec_b64 s[14:15], vcc
	s_cbranch_execz .LBB639_368
; %bb.365:                              ;   in Loop: Header=BB639_213 Depth=1
	v_and_b32_e32 v47, 0x7f, v42
	v_cmp_ne_u32_e32 vcc, s19, v47
	v_mov_b32_e32 v48, 0x7f800001
	s_and_saveexec_b64 s[16:17], vcc
	s_cbranch_execz .LBB639_367
; %bb.366:                              ;   in Loop: Header=BB639_213 Depth=1
	v_and_b32_e32 v50, 7, v42
	v_ffbh_u32_e32 v48, v50
	v_min_u32_e32 v52, 32, v48
	v_subrev_u32_e32 v48, 28, v52
	v_lshlrev_b64 v[48:49], v48, v[42:43]
	v_lshrrev_b32_e32 v51, 3, v47
	v_sub_u32_e32 v42, 29, v52
	v_and_b32_e32 v48, 7, v48
	v_cmp_gt_u32_e32 vcc, 8, v47
	v_cndmask_b32_e32 v42, v51, v42, vcc
	v_cndmask_b32_e32 v47, v50, v48, vcc
	v_lshlrev_b32_e32 v48, 16, v40
	v_lshlrev_b32_e32 v47, 20, v47
	v_and_b32_e32 v48, 0x80000000, v48
	v_lshl_add_u32 v42, v42, 23, v45
	v_or3_b32 v48, v48, v42, v47
.LBB639_367:                            ;   in Loop: Header=BB639_213 Depth=1
	s_or_b64 exec, exec, s[16:17]
.LBB639_368:                            ;   in Loop: Header=BB639_213 Depth=1
	s_or_b64 exec, exec, s[14:15]
.LBB639_369:                            ;   in Loop: Header=BB639_213 Depth=1
	s_or_b64 exec, exec, s[12:13]
	v_lshrrev_b32_e32 v42, 16, v40
	v_cmp_ne_u16_sdwa s[14:15], v42, v43 src0_sel:BYTE_0 src1_sel:DWORD
	s_and_saveexec_b64 s[12:13], s[14:15]
	s_cbranch_execz .LBB639_375
; %bb.370:                              ;   in Loop: Header=BB639_213 Depth=1
	v_cmp_ne_u16_sdwa s[16:17], v42, s9 src0_sel:BYTE_0 src1_sel:DWORD
	v_bfrev_b32_e32 v44, 1
	s_and_saveexec_b64 s[14:15], s[16:17]
	s_cbranch_execz .LBB639_374
; %bb.371:                              ;   in Loop: Header=BB639_213 Depth=1
	v_bfe_u32 v47, v40, 16, 7
	v_cmp_ne_u32_e32 vcc, s19, v47
	v_mov_b32_e32 v44, 0x7f800001
	s_and_saveexec_b64 s[16:17], vcc
	s_cbranch_execz .LBB639_373
; %bb.372:                              ;   in Loop: Header=BB639_213 Depth=1
	v_and_b32_e32 v44, 7, v42
	v_ffbh_u32_e32 v50, v44
	v_min_u32_e32 v52, 32, v50
	v_subrev_u32_e32 v50, 28, v52
	v_lshlrev_b64 v[50:51], v50, v[42:43]
	v_lshrrev_b32_e32 v49, 3, v47
	v_sub_u32_e32 v51, 29, v52
	v_and_b32_e32 v50, 7, v50
	v_cmp_gt_u32_e32 vcc, 8, v47
	v_cndmask_b32_e32 v47, v49, v51, vcc
	v_cndmask_b32_e32 v44, v44, v50, vcc
	v_lshlrev_b32_e32 v42, 24, v42
	v_lshlrev_b32_e32 v44, 20, v44
	v_and_b32_e32 v42, 0x80000000, v42
	v_lshl_add_u32 v47, v47, 23, v45
	v_or3_b32 v44, v42, v47, v44
.LBB639_373:                            ;   in Loop: Header=BB639_213 Depth=1
	s_or_b64 exec, exec, s[16:17]
.LBB639_374:                            ;   in Loop: Header=BB639_213 Depth=1
	s_or_b64 exec, exec, s[14:15]
.LBB639_375:                            ;   in Loop: Header=BB639_213 Depth=1
	s_or_b64 exec, exec, s[12:13]
	v_cmp_lt_u32_e32 vcc, s20, v40
	v_mov_b32_e32 v49, 0
	v_mov_b32_e32 v50, 0
	s_and_saveexec_b64 s[12:13], vcc
	s_cbranch_execz .LBB639_381
; %bb.376:                              ;   in Loop: Header=BB639_213 Depth=1
	v_lshrrev_b32_e32 v42, 24, v40
	v_cmp_ne_u32_e32 vcc, s9, v42
	v_bfrev_b32_e32 v50, 1
	s_and_saveexec_b64 s[14:15], vcc
	s_cbranch_execz .LBB639_380
; %bb.377:                              ;   in Loop: Header=BB639_213 Depth=1
	v_bfe_u32 v40, v40, 24, 7
	v_cmp_ne_u32_e32 vcc, s19, v40
	v_mov_b32_e32 v50, 0x7f800001
	s_and_saveexec_b64 s[16:17], vcc
	s_cbranch_execz .LBB639_379
; %bb.378:                              ;   in Loop: Header=BB639_213 Depth=1
	v_and_b32_e32 v47, 7, v42
	v_ffbh_u32_e32 v50, v47
	v_min_u32_e32 v53, 32, v50
	v_subrev_u32_e32 v50, 28, v53
	v_lshlrev_b64 v[50:51], v50, v[42:43]
	v_lshrrev_b32_e32 v52, 3, v40
	v_sub_u32_e32 v51, 29, v53
	v_and_b32_e32 v50, 7, v50
	v_cmp_gt_u32_e32 vcc, 8, v40
	v_cndmask_b32_e32 v40, v52, v51, vcc
	v_cndmask_b32_e32 v47, v47, v50, vcc
	v_lshlrev_b32_e32 v42, 24, v42
	v_lshlrev_b32_e32 v47, 20, v47
	v_and_b32_e32 v42, 0x80000000, v42
	v_lshl_add_u32 v40, v40, 23, v45
	v_or3_b32 v50, v42, v40, v47
.LBB639_379:                            ;   in Loop: Header=BB639_213 Depth=1
	s_or_b64 exec, exec, s[16:17]
.LBB639_380:                            ;   in Loop: Header=BB639_213 Depth=1
	s_or_b64 exec, exec, s[14:15]
.LBB639_381:                            ;   in Loop: Header=BB639_213 Depth=1
	s_or_b64 exec, exec, s[12:13]
	s_waitcnt vmcnt(0)
	v_cmp_ne_u16_sdwa s[14:15], v38, v43 src0_sel:BYTE_0 src1_sel:DWORD
	s_and_saveexec_b64 s[12:13], s[14:15]
	s_cbranch_execz .LBB639_387
; %bb.382:                              ;   in Loop: Header=BB639_213 Depth=1
	v_cmp_ne_u16_sdwa s[16:17], v38, s9 src0_sel:BYTE_0 src1_sel:DWORD
	v_bfrev_b32_e32 v49, 1
	s_and_saveexec_b64 s[14:15], s[16:17]
	s_cbranch_execz .LBB639_386
; %bb.383:                              ;   in Loop: Header=BB639_213 Depth=1
	v_and_b32_e32 v40, 0x7f, v38
	v_cmp_ne_u32_e32 vcc, s19, v40
	v_mov_b32_e32 v49, 0x7f800001
	s_and_saveexec_b64 s[16:17], vcc
	s_cbranch_execz .LBB639_385
; %bb.384:                              ;   in Loop: Header=BB639_213 Depth=1
	v_and_b32_e32 v42, 7, v38
	v_ffbh_u32_e32 v49, v42
	v_min_u32_e32 v49, 32, v49
	v_subrev_u32_e32 v51, 28, v49
	v_lshlrev_b64 v[52:53], v51, v[38:39]
	v_lshrrev_b32_e32 v47, 3, v40
	v_sub_u32_e32 v49, 29, v49
	v_and_b32_e32 v51, 7, v52
	v_cmp_gt_u32_e32 vcc, 8, v40
	v_cndmask_b32_e32 v40, v47, v49, vcc
	v_cndmask_b32_e32 v42, v42, v51, vcc
	v_lshlrev_b32_e32 v47, 24, v38
	v_lshlrev_b32_e32 v42, 20, v42
	v_and_b32_e32 v47, 0x80000000, v47
	v_lshl_add_u32 v40, v40, 23, v45
	v_or3_b32 v49, v47, v40, v42
.LBB639_385:                            ;   in Loop: Header=BB639_213 Depth=1
	s_or_b64 exec, exec, s[16:17]
.LBB639_386:                            ;   in Loop: Header=BB639_213 Depth=1
	s_or_b64 exec, exec, s[14:15]
.LBB639_387:                            ;   in Loop: Header=BB639_213 Depth=1
	s_or_b64 exec, exec, s[12:13]
	v_lshrrev_b16_e32 v40, 8, v38
	v_cmp_ne_u16_e32 vcc, 0, v40
	v_mov_b32_e32 v51, 0
	v_mov_b32_e32 v52, 0
	s_and_saveexec_b64 s[12:13], vcc
	s_cbranch_execz .LBB639_393
; %bb.388:                              ;   in Loop: Header=BB639_213 Depth=1
	v_cmp_ne_u16_e32 vcc, s9, v40
	v_bfrev_b32_e32 v52, 1
	s_and_saveexec_b64 s[14:15], vcc
	s_cbranch_execz .LBB639_392
; %bb.389:                              ;   in Loop: Header=BB639_213 Depth=1
	v_and_b32_e32 v42, 0x7f, v40
	v_cmp_ne_u32_e32 vcc, s19, v42
	v_mov_b32_e32 v52, 0x7f800001
	s_and_saveexec_b64 s[16:17], vcc
	s_cbranch_execz .LBB639_391
; %bb.390:                              ;   in Loop: Header=BB639_213 Depth=1
	v_and_b32_e32 v47, 7, v40
	v_ffbh_u32_e32 v52, v47
	v_min_u32_e32 v65, 32, v52
	v_subrev_u32_e32 v52, 28, v65
	v_lshlrev_b64 v[52:53], v52, v[40:41]
	v_lshrrev_b32_e32 v64, 3, v42
	v_sub_u32_e32 v40, 29, v65
	v_and_b32_e32 v52, 7, v52
	v_cmp_gt_u32_e32 vcc, 8, v42
	v_cndmask_b32_e32 v40, v64, v40, vcc
	v_cndmask_b32_e32 v42, v47, v52, vcc
	v_lshlrev_b32_e32 v47, 16, v38
	v_lshlrev_b32_e32 v42, 20, v42
	v_and_b32_e32 v47, 0x80000000, v47
	v_lshl_add_u32 v40, v40, 23, v45
	v_or3_b32 v52, v47, v40, v42
.LBB639_391:                            ;   in Loop: Header=BB639_213 Depth=1
	s_or_b64 exec, exec, s[16:17]
.LBB639_392:                            ;   in Loop: Header=BB639_213 Depth=1
	s_or_b64 exec, exec, s[14:15]
.LBB639_393:                            ;   in Loop: Header=BB639_213 Depth=1
	s_or_b64 exec, exec, s[12:13]
	v_lshrrev_b32_e32 v40, 16, v38
	v_cmp_ne_u16_sdwa s[14:15], v40, v43 src0_sel:BYTE_0 src1_sel:DWORD
	s_and_saveexec_b64 s[12:13], s[14:15]
	s_cbranch_execz .LBB639_399
; %bb.394:                              ;   in Loop: Header=BB639_213 Depth=1
	v_cmp_ne_u16_sdwa s[16:17], v40, s9 src0_sel:BYTE_0 src1_sel:DWORD
	v_bfrev_b32_e32 v51, 1
	s_and_saveexec_b64 s[14:15], s[16:17]
	s_cbranch_execz .LBB639_398
; %bb.395:                              ;   in Loop: Header=BB639_213 Depth=1
	v_bfe_u32 v42, v38, 16, 7
	v_cmp_ne_u32_e32 vcc, s19, v42
	v_mov_b32_e32 v51, 0x7f800001
	s_and_saveexec_b64 s[16:17], vcc
	s_cbranch_execz .LBB639_397
; %bb.396:                              ;   in Loop: Header=BB639_213 Depth=1
	v_and_b32_e32 v47, 7, v40
	v_ffbh_u32_e32 v53, v47
	v_min_u32_e32 v53, 32, v53
	v_subrev_u32_e32 v64, 28, v53
	v_lshlrev_b64 v[64:65], v64, v[40:41]
	v_lshrrev_b32_e32 v51, 3, v42
	v_sub_u32_e32 v53, 29, v53
	v_and_b32_e32 v64, 7, v64
	v_cmp_gt_u32_e32 vcc, 8, v42
	v_cndmask_b32_e32 v42, v51, v53, vcc
	v_cndmask_b32_e32 v47, v47, v64, vcc
	v_lshlrev_b32_e32 v40, 24, v40
	v_lshlrev_b32_e32 v47, 20, v47
	v_and_b32_e32 v40, 0x80000000, v40
	v_lshl_add_u32 v42, v42, 23, v45
	v_or3_b32 v51, v40, v42, v47
.LBB639_397:                            ;   in Loop: Header=BB639_213 Depth=1
	s_or_b64 exec, exec, s[16:17]
.LBB639_398:                            ;   in Loop: Header=BB639_213 Depth=1
	s_or_b64 exec, exec, s[14:15]
.LBB639_399:                            ;   in Loop: Header=BB639_213 Depth=1
	s_or_b64 exec, exec, s[12:13]
	v_cmp_lt_u32_e32 vcc, s20, v38
	v_mov_b32_e32 v47, 0
	v_mov_b32_e32 v53, 0
	s_and_saveexec_b64 s[12:13], vcc
	s_cbranch_execz .LBB639_405
; %bb.400:                              ;   in Loop: Header=BB639_213 Depth=1
	v_lshrrev_b32_e32 v40, 24, v38
	v_cmp_ne_u32_e32 vcc, s9, v40
	v_bfrev_b32_e32 v53, 1
	s_and_saveexec_b64 s[14:15], vcc
	s_cbranch_execz .LBB639_404
; %bb.401:                              ;   in Loop: Header=BB639_213 Depth=1
	v_bfe_u32 v38, v38, 24, 7
	v_cmp_ne_u32_e32 vcc, s19, v38
	v_mov_b32_e32 v53, 0x7f800001
	s_and_saveexec_b64 s[16:17], vcc
	s_cbranch_execz .LBB639_403
; %bb.402:                              ;   in Loop: Header=BB639_213 Depth=1
	v_and_b32_e32 v42, 7, v40
	v_ffbh_u32_e32 v64, v42
	v_min_u32_e32 v66, 32, v64
	v_subrev_u32_e32 v64, 28, v66
	v_lshlrev_b64 v[64:65], v64, v[40:41]
	v_lshrrev_b32_e32 v53, 3, v38
	v_sub_u32_e32 v65, 29, v66
	v_and_b32_e32 v64, 7, v64
	v_cmp_gt_u32_e32 vcc, 8, v38
	v_cndmask_b32_e32 v38, v53, v65, vcc
	v_cndmask_b32_e32 v42, v42, v64, vcc
	v_lshlrev_b32_e32 v40, 24, v40
	v_lshlrev_b32_e32 v42, 20, v42
	v_and_b32_e32 v40, 0x80000000, v40
	v_lshl_add_u32 v38, v38, 23, v45
	v_or3_b32 v53, v40, v38, v42
.LBB639_403:                            ;   in Loop: Header=BB639_213 Depth=1
	s_or_b64 exec, exec, s[16:17]
.LBB639_404:                            ;   in Loop: Header=BB639_213 Depth=1
	s_or_b64 exec, exec, s[14:15]
.LBB639_405:                            ;   in Loop: Header=BB639_213 Depth=1
	s_or_b64 exec, exec, s[12:13]
	v_cvt_pkrtz_f16_f32 v65, v44, v50
	buffer_load_dword v44, v63, s[0:3], 0 offen
	buffer_load_dword v42, v63, s[0:3], 0 offen offset:4
	buffer_load_dword v40, v63, s[0:3], 0 offen offset:8
	;; [unrolled: 1-line block ×3, first 2 shown]
	v_cvt_pkrtz_f16_f32 v64, v46, v48
	v_cvt_pkrtz_f16_f32 v48, v49, v52
	;; [unrolled: 1-line block ×3, first 2 shown]
	v_mfma_f32_16x16x16f16 v[34:37], v[64:65], v[14:15], v[34:37]
	s_waitcnt vmcnt(3)
	v_cmp_ne_u16_sdwa s[14:15], v44, v43 src0_sel:BYTE_0 src1_sel:DWORD
	v_mfma_f32_16x16x16f16 v[34:37], v[48:49], v[16:17], v[34:37]
	s_and_saveexec_b64 s[12:13], s[14:15]
	s_cbranch_execz .LBB639_411
; %bb.406:                              ;   in Loop: Header=BB639_213 Depth=1
	v_cmp_ne_u16_sdwa s[16:17], v44, s9 src0_sel:BYTE_0 src1_sel:DWORD
	v_bfrev_b32_e32 v47, 1
	s_and_saveexec_b64 s[14:15], s[16:17]
	s_cbranch_execz .LBB639_410
; %bb.407:                              ;   in Loop: Header=BB639_213 Depth=1
	v_and_b32_e32 v46, 0x7f, v44
	v_cmp_ne_u32_e32 vcc, s19, v46
	v_mov_b32_e32 v47, 0x7f800001
	s_and_saveexec_b64 s[16:17], vcc
	s_cbranch_execz .LBB639_409
; %bb.408:                              ;   in Loop: Header=BB639_213 Depth=1
	v_and_b32_e32 v47, 7, v44
	v_ffbh_u32_e32 v48, v47
	v_min_u32_e32 v51, 32, v48
	v_subrev_u32_e32 v48, 28, v51
	v_lshlrev_b64 v[48:49], v48, v[44:45]
	v_lshrrev_b32_e32 v50, 3, v46
	v_sub_u32_e32 v49, 29, v51
	v_and_b32_e32 v48, 7, v48
	v_cmp_gt_u32_e32 vcc, 8, v46
	v_cndmask_b32_e32 v46, v50, v49, vcc
	v_cndmask_b32_e32 v47, v47, v48, vcc
	v_lshlrev_b32_e32 v48, 24, v44
	v_lshlrev_b32_e32 v47, 20, v47
	v_and_b32_e32 v48, 0x80000000, v48
	v_lshl_add_u32 v46, v46, 23, v45
	v_or3_b32 v47, v48, v46, v47
.LBB639_409:                            ;   in Loop: Header=BB639_213 Depth=1
	s_or_b64 exec, exec, s[16:17]
.LBB639_410:                            ;   in Loop: Header=BB639_213 Depth=1
	s_or_b64 exec, exec, s[14:15]
.LBB639_411:                            ;   in Loop: Header=BB639_213 Depth=1
	s_or_b64 exec, exec, s[12:13]
	v_lshrrev_b16_e32 v46, 8, v44
	v_cmp_ne_u16_e32 vcc, 0, v46
	v_mov_b32_e32 v48, 0
	v_mov_b32_e32 v49, 0
	s_and_saveexec_b64 s[12:13], vcc
	s_cbranch_execz .LBB639_417
; %bb.412:                              ;   in Loop: Header=BB639_213 Depth=1
	v_cmp_ne_u16_e32 vcc, s9, v46
	v_bfrev_b32_e32 v49, 1
	s_and_saveexec_b64 s[14:15], vcc
	s_cbranch_execz .LBB639_416
; %bb.413:                              ;   in Loop: Header=BB639_213 Depth=1
	v_and_b32_e32 v50, 0x7f, v46
	v_cmp_ne_u32_e32 vcc, s19, v50
	v_mov_b32_e32 v49, 0x7f800001
	s_and_saveexec_b64 s[16:17], vcc
	s_cbranch_execz .LBB639_415
; %bb.414:                              ;   in Loop: Header=BB639_213 Depth=1
	v_and_b32_e32 v49, 7, v46
	v_ffbh_u32_e32 v52, v49
	v_min_u32_e32 v63, 32, v52
	v_subrev_u32_e32 v52, 28, v63
	v_lshlrev_b64 v[52:53], v52, v[46:47]
	v_lshrrev_b32_e32 v51, 3, v50
	v_sub_u32_e32 v46, 29, v63
	v_and_b32_e32 v52, 7, v52
	v_cmp_gt_u32_e32 vcc, 8, v50
	v_cndmask_b32_e32 v46, v51, v46, vcc
	v_cndmask_b32_e32 v49, v49, v52, vcc
	v_lshlrev_b32_e32 v50, 16, v44
	v_lshlrev_b32_e32 v49, 20, v49
	v_and_b32_e32 v50, 0x80000000, v50
	v_lshl_add_u32 v46, v46, 23, v45
	v_or3_b32 v49, v50, v46, v49
.LBB639_415:                            ;   in Loop: Header=BB639_213 Depth=1
	s_or_b64 exec, exec, s[16:17]
.LBB639_416:                            ;   in Loop: Header=BB639_213 Depth=1
	s_or_b64 exec, exec, s[14:15]
.LBB639_417:                            ;   in Loop: Header=BB639_213 Depth=1
	s_or_b64 exec, exec, s[12:13]
	v_lshrrev_b32_e32 v46, 16, v44
	v_cmp_ne_u16_sdwa s[14:15], v46, v43 src0_sel:BYTE_0 src1_sel:DWORD
	s_and_saveexec_b64 s[12:13], s[14:15]
	s_cbranch_execz .LBB639_423
; %bb.418:                              ;   in Loop: Header=BB639_213 Depth=1
	v_cmp_ne_u16_sdwa s[16:17], v46, s9 src0_sel:BYTE_0 src1_sel:DWORD
	v_bfrev_b32_e32 v48, 1
	s_and_saveexec_b64 s[14:15], s[16:17]
	s_cbranch_execz .LBB639_422
; %bb.419:                              ;   in Loop: Header=BB639_213 Depth=1
	v_bfe_u32 v50, v44, 16, 7
	v_cmp_ne_u32_e32 vcc, s19, v50
	v_mov_b32_e32 v48, 0x7f800001
	s_and_saveexec_b64 s[16:17], vcc
	s_cbranch_execz .LBB639_421
; %bb.420:                              ;   in Loop: Header=BB639_213 Depth=1
	v_and_b32_e32 v48, 7, v46
	v_ffbh_u32_e32 v52, v48
	v_min_u32_e32 v63, 32, v52
	v_subrev_u32_e32 v52, 28, v63
	v_lshlrev_b64 v[52:53], v52, v[46:47]
	v_lshrrev_b32_e32 v51, 3, v50
	v_sub_u32_e32 v53, 29, v63
	v_and_b32_e32 v52, 7, v52
	v_cmp_gt_u32_e32 vcc, 8, v50
	v_cndmask_b32_e32 v50, v51, v53, vcc
	v_cndmask_b32_e32 v48, v48, v52, vcc
	v_lshlrev_b32_e32 v46, 24, v46
	v_lshlrev_b32_e32 v48, 20, v48
	v_and_b32_e32 v46, 0x80000000, v46
	v_lshl_add_u32 v50, v50, 23, v45
	v_or3_b32 v48, v46, v50, v48
.LBB639_421:                            ;   in Loop: Header=BB639_213 Depth=1
	s_or_b64 exec, exec, s[16:17]
.LBB639_422:                            ;   in Loop: Header=BB639_213 Depth=1
	s_or_b64 exec, exec, s[14:15]
.LBB639_423:                            ;   in Loop: Header=BB639_213 Depth=1
	s_or_b64 exec, exec, s[12:13]
	v_cmp_lt_u32_e32 vcc, s20, v44
	v_mov_b32_e32 v50, 0
	v_mov_b32_e32 v51, 0
	s_and_saveexec_b64 s[12:13], vcc
	s_cbranch_execz .LBB639_429
; %bb.424:                              ;   in Loop: Header=BB639_213 Depth=1
	v_lshrrev_b32_e32 v46, 24, v44
	v_cmp_ne_u32_e32 vcc, s9, v46
	v_bfrev_b32_e32 v51, 1
	s_and_saveexec_b64 s[14:15], vcc
	s_cbranch_execz .LBB639_428
; %bb.425:                              ;   in Loop: Header=BB639_213 Depth=1
	v_bfe_u32 v44, v44, 24, 7
	v_cmp_ne_u32_e32 vcc, s19, v44
	v_mov_b32_e32 v51, 0x7f800001
	s_and_saveexec_b64 s[16:17], vcc
	s_cbranch_execz .LBB639_427
; %bb.426:                              ;   in Loop: Header=BB639_213 Depth=1
	v_and_b32_e32 v51, 7, v46
	v_ffbh_u32_e32 v52, v51
	v_min_u32_e32 v64, 32, v52
	v_subrev_u32_e32 v52, 28, v64
	v_lshlrev_b64 v[52:53], v52, v[46:47]
	v_lshrrev_b32_e32 v63, 3, v44
	v_sub_u32_e32 v53, 29, v64
	v_and_b32_e32 v52, 7, v52
	v_cmp_gt_u32_e32 vcc, 8, v44
	v_cndmask_b32_e32 v44, v63, v53, vcc
	v_cndmask_b32_e32 v51, v51, v52, vcc
	v_lshlrev_b32_e32 v46, 24, v46
	v_lshlrev_b32_e32 v51, 20, v51
	v_and_b32_e32 v46, 0x80000000, v46
	v_lshl_add_u32 v44, v44, 23, v45
	v_or3_b32 v51, v46, v44, v51
.LBB639_427:                            ;   in Loop: Header=BB639_213 Depth=1
	s_or_b64 exec, exec, s[16:17]
.LBB639_428:                            ;   in Loop: Header=BB639_213 Depth=1
	s_or_b64 exec, exec, s[14:15]
.LBB639_429:                            ;   in Loop: Header=BB639_213 Depth=1
	s_or_b64 exec, exec, s[12:13]
	s_waitcnt vmcnt(2)
	v_cmp_ne_u16_sdwa s[14:15], v42, v43 src0_sel:BYTE_0 src1_sel:DWORD
	s_and_saveexec_b64 s[12:13], s[14:15]
	s_cbranch_execz .LBB639_435
; %bb.430:                              ;   in Loop: Header=BB639_213 Depth=1
	v_cmp_ne_u16_sdwa s[16:17], v42, s9 src0_sel:BYTE_0 src1_sel:DWORD
	v_bfrev_b32_e32 v50, 1
	s_and_saveexec_b64 s[14:15], s[16:17]
	s_cbranch_execz .LBB639_434
; %bb.431:                              ;   in Loop: Header=BB639_213 Depth=1
	v_and_b32_e32 v44, 0x7f, v42
	v_cmp_ne_u32_e32 vcc, s19, v44
	v_mov_b32_e32 v50, 0x7f800001
	s_and_saveexec_b64 s[16:17], vcc
	s_cbranch_execz .LBB639_433
; %bb.432:                              ;   in Loop: Header=BB639_213 Depth=1
	v_and_b32_e32 v46, 7, v42
	v_ffbh_u32_e32 v52, v46
	v_min_u32_e32 v63, 32, v52
	v_subrev_u32_e32 v52, 28, v63
	v_lshlrev_b64 v[52:53], v52, v[42:43]
	v_lshrrev_b32_e32 v50, 3, v44
	v_sub_u32_e32 v53, 29, v63
	v_and_b32_e32 v52, 7, v52
	v_cmp_gt_u32_e32 vcc, 8, v44
	v_cndmask_b32_e32 v44, v50, v53, vcc
	v_cndmask_b32_e32 v46, v46, v52, vcc
	v_lshlrev_b32_e32 v50, 24, v42
	v_lshlrev_b32_e32 v46, 20, v46
	v_and_b32_e32 v50, 0x80000000, v50
	v_lshl_add_u32 v44, v44, 23, v45
	v_or3_b32 v50, v50, v44, v46
.LBB639_433:                            ;   in Loop: Header=BB639_213 Depth=1
	s_or_b64 exec, exec, s[16:17]
.LBB639_434:                            ;   in Loop: Header=BB639_213 Depth=1
	s_or_b64 exec, exec, s[14:15]
.LBB639_435:                            ;   in Loop: Header=BB639_213 Depth=1
	s_or_b64 exec, exec, s[12:13]
	v_lshrrev_b16_e32 v44, 8, v42
	v_cmp_ne_u16_e32 vcc, 0, v44
	v_mov_b32_e32 v52, 0
	v_mov_b32_e32 v53, 0
	s_and_saveexec_b64 s[12:13], vcc
	s_cbranch_execz .LBB639_441
; %bb.436:                              ;   in Loop: Header=BB639_213 Depth=1
	v_cmp_ne_u16_e32 vcc, s9, v44
	v_bfrev_b32_e32 v53, 1
	s_and_saveexec_b64 s[14:15], vcc
	s_cbranch_execz .LBB639_440
; %bb.437:                              ;   in Loop: Header=BB639_213 Depth=1
	v_and_b32_e32 v46, 0x7f, v44
	v_cmp_ne_u32_e32 vcc, s19, v46
	v_mov_b32_e32 v53, 0x7f800001
	s_and_saveexec_b64 s[16:17], vcc
	s_cbranch_execz .LBB639_439
; %bb.438:                              ;   in Loop: Header=BB639_213 Depth=1
	v_and_b32_e32 v53, 7, v44
	v_ffbh_u32_e32 v64, v53
	v_min_u32_e32 v66, 32, v64
	v_subrev_u32_e32 v64, 28, v66
	v_lshlrev_b64 v[64:65], v64, v[44:45]
	v_lshrrev_b32_e32 v63, 3, v46
	v_sub_u32_e32 v44, 29, v66
	v_and_b32_e32 v64, 7, v64
	v_cmp_gt_u32_e32 vcc, 8, v46
	v_cndmask_b32_e32 v44, v63, v44, vcc
	v_cndmask_b32_e32 v46, v53, v64, vcc
	v_lshlrev_b32_e32 v53, 16, v42
	v_lshlrev_b32_e32 v46, 20, v46
	v_and_b32_e32 v53, 0x80000000, v53
	v_lshl_add_u32 v44, v44, 23, v45
	v_or3_b32 v53, v53, v44, v46
.LBB639_439:                            ;   in Loop: Header=BB639_213 Depth=1
	s_or_b64 exec, exec, s[16:17]
.LBB639_440:                            ;   in Loop: Header=BB639_213 Depth=1
	s_or_b64 exec, exec, s[14:15]
.LBB639_441:                            ;   in Loop: Header=BB639_213 Depth=1
	s_or_b64 exec, exec, s[12:13]
	v_lshrrev_b32_e32 v44, 16, v42
	v_cmp_ne_u16_sdwa s[14:15], v44, v43 src0_sel:BYTE_0 src1_sel:DWORD
	s_and_saveexec_b64 s[12:13], s[14:15]
	s_cbranch_execz .LBB639_447
; %bb.442:                              ;   in Loop: Header=BB639_213 Depth=1
	v_cmp_ne_u16_sdwa s[16:17], v44, s9 src0_sel:BYTE_0 src1_sel:DWORD
	v_bfrev_b32_e32 v52, 1
	s_and_saveexec_b64 s[14:15], s[16:17]
	s_cbranch_execz .LBB639_446
; %bb.443:                              ;   in Loop: Header=BB639_213 Depth=1
	v_bfe_u32 v46, v42, 16, 7
	v_cmp_ne_u32_e32 vcc, s19, v46
	v_mov_b32_e32 v52, 0x7f800001
	s_and_saveexec_b64 s[16:17], vcc
	s_cbranch_execz .LBB639_445
; %bb.444:                              ;   in Loop: Header=BB639_213 Depth=1
	v_and_b32_e32 v52, 7, v44
	v_ffbh_u32_e32 v64, v52
	v_min_u32_e32 v66, 32, v64
	v_subrev_u32_e32 v64, 28, v66
	v_lshlrev_b64 v[64:65], v64, v[44:45]
	v_lshrrev_b32_e32 v63, 3, v46
	v_sub_u32_e32 v65, 29, v66
	v_and_b32_e32 v64, 7, v64
	v_cmp_gt_u32_e32 vcc, 8, v46
	v_cndmask_b32_e32 v46, v63, v65, vcc
	v_cndmask_b32_e32 v52, v52, v64, vcc
	v_lshlrev_b32_e32 v44, 24, v44
	v_lshlrev_b32_e32 v52, 20, v52
	v_and_b32_e32 v44, 0x80000000, v44
	v_lshl_add_u32 v46, v46, 23, v45
	v_or3_b32 v52, v44, v46, v52
.LBB639_445:                            ;   in Loop: Header=BB639_213 Depth=1
	s_or_b64 exec, exec, s[16:17]
.LBB639_446:                            ;   in Loop: Header=BB639_213 Depth=1
	s_or_b64 exec, exec, s[14:15]
.LBB639_447:                            ;   in Loop: Header=BB639_213 Depth=1
	s_or_b64 exec, exec, s[12:13]
	v_cmp_lt_u32_e32 vcc, s20, v42
	v_mov_b32_e32 v46, 0
	v_mov_b32_e32 v63, 0
	s_and_saveexec_b64 s[12:13], vcc
	s_cbranch_execz .LBB639_453
; %bb.448:                              ;   in Loop: Header=BB639_213 Depth=1
	v_lshrrev_b32_e32 v44, 24, v42
	v_cmp_ne_u32_e32 vcc, s9, v44
	v_bfrev_b32_e32 v63, 1
	s_and_saveexec_b64 s[14:15], vcc
	s_cbranch_execz .LBB639_452
; %bb.449:                              ;   in Loop: Header=BB639_213 Depth=1
	v_bfe_u32 v42, v42, 24, 7
	v_cmp_ne_u32_e32 vcc, s19, v42
	v_mov_b32_e32 v63, 0x7f800001
	s_and_saveexec_b64 s[16:17], vcc
	s_cbranch_execz .LBB639_451
; %bb.450:                              ;   in Loop: Header=BB639_213 Depth=1
	v_and_b32_e32 v63, 7, v44
	v_ffbh_u32_e32 v64, v63
	v_min_u32_e32 v67, 32, v64
	v_subrev_u32_e32 v64, 28, v67
	v_lshlrev_b64 v[64:65], v64, v[44:45]
	v_lshrrev_b32_e32 v66, 3, v42
	v_sub_u32_e32 v65, 29, v67
	v_and_b32_e32 v64, 7, v64
	v_cmp_gt_u32_e32 vcc, 8, v42
	v_cndmask_b32_e32 v42, v66, v65, vcc
	v_cndmask_b32_e32 v63, v63, v64, vcc
	v_lshlrev_b32_e32 v44, 24, v44
	v_lshlrev_b32_e32 v63, 20, v63
	v_and_b32_e32 v44, 0x80000000, v44
	v_lshl_add_u32 v42, v42, 23, v45
	v_or3_b32 v63, v44, v42, v63
.LBB639_451:                            ;   in Loop: Header=BB639_213 Depth=1
	s_or_b64 exec, exec, s[16:17]
.LBB639_452:                            ;   in Loop: Header=BB639_213 Depth=1
	s_or_b64 exec, exec, s[14:15]
.LBB639_453:                            ;   in Loop: Header=BB639_213 Depth=1
	s_or_b64 exec, exec, s[12:13]
	v_cvt_pkrtz_f16_f32 v64, v47, v49
	v_cvt_pkrtz_f16_f32 v65, v48, v51
	;; [unrolled: 1-line block ×4, first 2 shown]
	s_waitcnt vmcnt(1)
	v_cmp_ne_u16_sdwa s[14:15], v40, v43 src0_sel:BYTE_0 src1_sel:DWORD
	v_mfma_f32_16x16x16f16 v[34:37], v[64:65], v[18:19], v[34:37]
	v_mfma_f32_16x16x16f16 v[34:37], v[48:49], v[20:21], v[34:37]
	s_and_saveexec_b64 s[12:13], s[14:15]
	s_cbranch_execz .LBB639_459
; %bb.454:                              ;   in Loop: Header=BB639_213 Depth=1
	v_cmp_ne_u16_sdwa s[16:17], v40, s9 src0_sel:BYTE_0 src1_sel:DWORD
	v_bfrev_b32_e32 v46, 1
	s_and_saveexec_b64 s[14:15], s[16:17]
	s_cbranch_execz .LBB639_458
; %bb.455:                              ;   in Loop: Header=BB639_213 Depth=1
	v_and_b32_e32 v42, 0x7f, v40
	v_cmp_ne_u32_e32 vcc, s19, v42
	v_mov_b32_e32 v46, 0x7f800001
	s_and_saveexec_b64 s[16:17], vcc
	s_cbranch_execz .LBB639_457
; %bb.456:                              ;   in Loop: Header=BB639_213 Depth=1
	v_and_b32_e32 v44, 7, v40
	v_ffbh_u32_e32 v46, v44
	v_min_u32_e32 v49, 32, v46
	v_subrev_u32_e32 v46, 28, v49
	v_lshlrev_b64 v[46:47], v46, v[40:41]
	v_lshrrev_b32_e32 v48, 3, v42
	v_sub_u32_e32 v47, 29, v49
	v_and_b32_e32 v46, 7, v46
	v_cmp_gt_u32_e32 vcc, 8, v42
	v_cndmask_b32_e32 v42, v48, v47, vcc
	v_cndmask_b32_e32 v44, v44, v46, vcc
	v_lshlrev_b32_e32 v46, 24, v40
	v_lshlrev_b32_e32 v44, 20, v44
	v_and_b32_e32 v46, 0x80000000, v46
	v_lshl_add_u32 v42, v42, 23, v45
	v_or3_b32 v46, v46, v42, v44
.LBB639_457:                            ;   in Loop: Header=BB639_213 Depth=1
	s_or_b64 exec, exec, s[16:17]
.LBB639_458:                            ;   in Loop: Header=BB639_213 Depth=1
	s_or_b64 exec, exec, s[14:15]
.LBB639_459:                            ;   in Loop: Header=BB639_213 Depth=1
	s_or_b64 exec, exec, s[12:13]
	v_lshrrev_b16_e32 v42, 8, v40
	v_cmp_ne_u16_e32 vcc, 0, v42
	v_mov_b32_e32 v44, 0
	v_mov_b32_e32 v48, 0
	s_and_saveexec_b64 s[12:13], vcc
	s_cbranch_execz .LBB639_465
; %bb.460:                              ;   in Loop: Header=BB639_213 Depth=1
	v_cmp_ne_u16_e32 vcc, s9, v42
	v_bfrev_b32_e32 v48, 1
	s_and_saveexec_b64 s[14:15], vcc
	s_cbranch_execz .LBB639_464
; %bb.461:                              ;   in Loop: Header=BB639_213 Depth=1
	v_and_b32_e32 v47, 0x7f, v42
	v_cmp_ne_u32_e32 vcc, s19, v47
	v_mov_b32_e32 v48, 0x7f800001
	s_and_saveexec_b64 s[16:17], vcc
	s_cbranch_execz .LBB639_463
; %bb.462:                              ;   in Loop: Header=BB639_213 Depth=1
	v_and_b32_e32 v50, 7, v42
	v_ffbh_u32_e32 v48, v50
	v_min_u32_e32 v52, 32, v48
	v_subrev_u32_e32 v48, 28, v52
	v_lshlrev_b64 v[48:49], v48, v[42:43]
	v_lshrrev_b32_e32 v51, 3, v47
	v_sub_u32_e32 v42, 29, v52
	v_and_b32_e32 v48, 7, v48
	v_cmp_gt_u32_e32 vcc, 8, v47
	v_cndmask_b32_e32 v42, v51, v42, vcc
	v_cndmask_b32_e32 v47, v50, v48, vcc
	v_lshlrev_b32_e32 v48, 16, v40
	v_lshlrev_b32_e32 v47, 20, v47
	v_and_b32_e32 v48, 0x80000000, v48
	v_lshl_add_u32 v42, v42, 23, v45
	v_or3_b32 v48, v48, v42, v47
.LBB639_463:                            ;   in Loop: Header=BB639_213 Depth=1
	s_or_b64 exec, exec, s[16:17]
.LBB639_464:                            ;   in Loop: Header=BB639_213 Depth=1
	s_or_b64 exec, exec, s[14:15]
.LBB639_465:                            ;   in Loop: Header=BB639_213 Depth=1
	s_or_b64 exec, exec, s[12:13]
	v_lshrrev_b32_e32 v42, 16, v40
	v_cmp_ne_u16_sdwa s[14:15], v42, v43 src0_sel:BYTE_0 src1_sel:DWORD
	s_and_saveexec_b64 s[12:13], s[14:15]
	s_cbranch_execz .LBB639_471
; %bb.466:                              ;   in Loop: Header=BB639_213 Depth=1
	v_cmp_ne_u16_sdwa s[16:17], v42, s9 src0_sel:BYTE_0 src1_sel:DWORD
	v_bfrev_b32_e32 v44, 1
	s_and_saveexec_b64 s[14:15], s[16:17]
	s_cbranch_execz .LBB639_470
; %bb.467:                              ;   in Loop: Header=BB639_213 Depth=1
	v_bfe_u32 v47, v40, 16, 7
	v_cmp_ne_u32_e32 vcc, s19, v47
	v_mov_b32_e32 v44, 0x7f800001
	s_and_saveexec_b64 s[16:17], vcc
	s_cbranch_execz .LBB639_469
; %bb.468:                              ;   in Loop: Header=BB639_213 Depth=1
	v_and_b32_e32 v44, 7, v42
	v_ffbh_u32_e32 v50, v44
	v_min_u32_e32 v52, 32, v50
	v_subrev_u32_e32 v50, 28, v52
	v_lshlrev_b64 v[50:51], v50, v[42:43]
	v_lshrrev_b32_e32 v49, 3, v47
	v_sub_u32_e32 v51, 29, v52
	v_and_b32_e32 v50, 7, v50
	v_cmp_gt_u32_e32 vcc, 8, v47
	v_cndmask_b32_e32 v47, v49, v51, vcc
	v_cndmask_b32_e32 v44, v44, v50, vcc
	v_lshlrev_b32_e32 v42, 24, v42
	v_lshlrev_b32_e32 v44, 20, v44
	v_and_b32_e32 v42, 0x80000000, v42
	v_lshl_add_u32 v47, v47, 23, v45
	v_or3_b32 v44, v42, v47, v44
.LBB639_469:                            ;   in Loop: Header=BB639_213 Depth=1
	s_or_b64 exec, exec, s[16:17]
.LBB639_470:                            ;   in Loop: Header=BB639_213 Depth=1
	s_or_b64 exec, exec, s[14:15]
.LBB639_471:                            ;   in Loop: Header=BB639_213 Depth=1
	s_or_b64 exec, exec, s[12:13]
	v_cmp_lt_u32_e32 vcc, s20, v40
	v_mov_b32_e32 v49, 0
	v_mov_b32_e32 v50, 0
	s_and_saveexec_b64 s[12:13], vcc
	s_cbranch_execz .LBB639_477
; %bb.472:                              ;   in Loop: Header=BB639_213 Depth=1
	v_lshrrev_b32_e32 v42, 24, v40
	v_cmp_ne_u32_e32 vcc, s9, v42
	v_bfrev_b32_e32 v50, 1
	s_and_saveexec_b64 s[14:15], vcc
	s_cbranch_execz .LBB639_476
; %bb.473:                              ;   in Loop: Header=BB639_213 Depth=1
	v_bfe_u32 v40, v40, 24, 7
	v_cmp_ne_u32_e32 vcc, s19, v40
	v_mov_b32_e32 v50, 0x7f800001
	s_and_saveexec_b64 s[16:17], vcc
	s_cbranch_execz .LBB639_475
; %bb.474:                              ;   in Loop: Header=BB639_213 Depth=1
	v_and_b32_e32 v47, 7, v42
	v_ffbh_u32_e32 v50, v47
	v_min_u32_e32 v53, 32, v50
	v_subrev_u32_e32 v50, 28, v53
	v_lshlrev_b64 v[50:51], v50, v[42:43]
	v_lshrrev_b32_e32 v52, 3, v40
	v_sub_u32_e32 v51, 29, v53
	v_and_b32_e32 v50, 7, v50
	v_cmp_gt_u32_e32 vcc, 8, v40
	v_cndmask_b32_e32 v40, v52, v51, vcc
	v_cndmask_b32_e32 v47, v47, v50, vcc
	v_lshlrev_b32_e32 v42, 24, v42
	v_lshlrev_b32_e32 v47, 20, v47
	v_and_b32_e32 v42, 0x80000000, v42
	v_lshl_add_u32 v40, v40, 23, v45
	v_or3_b32 v50, v42, v40, v47
.LBB639_475:                            ;   in Loop: Header=BB639_213 Depth=1
	s_or_b64 exec, exec, s[16:17]
.LBB639_476:                            ;   in Loop: Header=BB639_213 Depth=1
	s_or_b64 exec, exec, s[14:15]
.LBB639_477:                            ;   in Loop: Header=BB639_213 Depth=1
	s_or_b64 exec, exec, s[12:13]
	s_waitcnt vmcnt(0)
	v_cmp_ne_u16_sdwa s[14:15], v38, v43 src0_sel:BYTE_0 src1_sel:DWORD
	s_and_saveexec_b64 s[12:13], s[14:15]
	s_cbranch_execz .LBB639_483
; %bb.478:                              ;   in Loop: Header=BB639_213 Depth=1
	v_cmp_ne_u16_sdwa s[16:17], v38, s9 src0_sel:BYTE_0 src1_sel:DWORD
	v_bfrev_b32_e32 v49, 1
	s_and_saveexec_b64 s[14:15], s[16:17]
	s_cbranch_execz .LBB639_482
; %bb.479:                              ;   in Loop: Header=BB639_213 Depth=1
	v_and_b32_e32 v40, 0x7f, v38
	v_cmp_ne_u32_e32 vcc, s19, v40
	v_mov_b32_e32 v49, 0x7f800001
	s_and_saveexec_b64 s[16:17], vcc
	s_cbranch_execz .LBB639_481
; %bb.480:                              ;   in Loop: Header=BB639_213 Depth=1
	v_and_b32_e32 v42, 7, v38
	v_ffbh_u32_e32 v49, v42
	v_min_u32_e32 v49, 32, v49
	v_subrev_u32_e32 v51, 28, v49
	v_lshlrev_b64 v[52:53], v51, v[38:39]
	v_lshrrev_b32_e32 v47, 3, v40
	v_sub_u32_e32 v49, 29, v49
	v_and_b32_e32 v51, 7, v52
	v_cmp_gt_u32_e32 vcc, 8, v40
	v_cndmask_b32_e32 v40, v47, v49, vcc
	v_cndmask_b32_e32 v42, v42, v51, vcc
	v_lshlrev_b32_e32 v47, 24, v38
	v_lshlrev_b32_e32 v42, 20, v42
	v_and_b32_e32 v47, 0x80000000, v47
	v_lshl_add_u32 v40, v40, 23, v45
	v_or3_b32 v49, v47, v40, v42
.LBB639_481:                            ;   in Loop: Header=BB639_213 Depth=1
	s_or_b64 exec, exec, s[16:17]
.LBB639_482:                            ;   in Loop: Header=BB639_213 Depth=1
	s_or_b64 exec, exec, s[14:15]
.LBB639_483:                            ;   in Loop: Header=BB639_213 Depth=1
	s_or_b64 exec, exec, s[12:13]
	v_lshrrev_b16_e32 v40, 8, v38
	v_cmp_ne_u16_e32 vcc, 0, v40
	v_mov_b32_e32 v51, 0
	v_mov_b32_e32 v52, 0
	s_and_saveexec_b64 s[12:13], vcc
	s_cbranch_execz .LBB639_489
; %bb.484:                              ;   in Loop: Header=BB639_213 Depth=1
	v_cmp_ne_u16_e32 vcc, s9, v40
	v_bfrev_b32_e32 v52, 1
	s_and_saveexec_b64 s[14:15], vcc
	s_cbranch_execz .LBB639_488
; %bb.485:                              ;   in Loop: Header=BB639_213 Depth=1
	v_and_b32_e32 v42, 0x7f, v40
	v_cmp_ne_u32_e32 vcc, s19, v42
	v_mov_b32_e32 v52, 0x7f800001
	s_and_saveexec_b64 s[16:17], vcc
	s_cbranch_execz .LBB639_487
; %bb.486:                              ;   in Loop: Header=BB639_213 Depth=1
	v_and_b32_e32 v47, 7, v40
	v_ffbh_u32_e32 v52, v47
	v_min_u32_e32 v64, 32, v52
	v_subrev_u32_e32 v52, 28, v64
	v_lshlrev_b64 v[52:53], v52, v[40:41]
	v_lshrrev_b32_e32 v63, 3, v42
	v_sub_u32_e32 v40, 29, v64
	v_and_b32_e32 v52, 7, v52
	v_cmp_gt_u32_e32 vcc, 8, v42
	v_cndmask_b32_e32 v40, v63, v40, vcc
	v_cndmask_b32_e32 v42, v47, v52, vcc
	v_lshlrev_b32_e32 v47, 16, v38
	v_lshlrev_b32_e32 v42, 20, v42
	v_and_b32_e32 v47, 0x80000000, v47
	v_lshl_add_u32 v40, v40, 23, v45
	v_or3_b32 v52, v47, v40, v42
.LBB639_487:                            ;   in Loop: Header=BB639_213 Depth=1
	s_or_b64 exec, exec, s[16:17]
.LBB639_488:                            ;   in Loop: Header=BB639_213 Depth=1
	s_or_b64 exec, exec, s[14:15]
.LBB639_489:                            ;   in Loop: Header=BB639_213 Depth=1
	s_or_b64 exec, exec, s[12:13]
	v_lshrrev_b32_e32 v40, 16, v38
	v_cmp_ne_u16_sdwa s[14:15], v40, v43 src0_sel:BYTE_0 src1_sel:DWORD
	s_and_saveexec_b64 s[12:13], s[14:15]
	s_cbranch_execz .LBB639_495
; %bb.490:                              ;   in Loop: Header=BB639_213 Depth=1
	v_cmp_ne_u16_sdwa s[16:17], v40, s9 src0_sel:BYTE_0 src1_sel:DWORD
	v_bfrev_b32_e32 v51, 1
	s_and_saveexec_b64 s[14:15], s[16:17]
	s_cbranch_execz .LBB639_494
; %bb.491:                              ;   in Loop: Header=BB639_213 Depth=1
	v_bfe_u32 v42, v38, 16, 7
	v_cmp_ne_u32_e32 vcc, s19, v42
	v_mov_b32_e32 v51, 0x7f800001
	s_and_saveexec_b64 s[16:17], vcc
	s_cbranch_execz .LBB639_493
; %bb.492:                              ;   in Loop: Header=BB639_213 Depth=1
	v_and_b32_e32 v47, 7, v40
	v_ffbh_u32_e32 v53, v47
	v_min_u32_e32 v53, 32, v53
	v_subrev_u32_e32 v63, 28, v53
	v_lshlrev_b64 v[64:65], v63, v[40:41]
	v_lshrrev_b32_e32 v51, 3, v42
	v_sub_u32_e32 v53, 29, v53
	v_and_b32_e32 v63, 7, v64
	v_cmp_gt_u32_e32 vcc, 8, v42
	v_cndmask_b32_e32 v42, v51, v53, vcc
	v_cndmask_b32_e32 v47, v47, v63, vcc
	v_lshlrev_b32_e32 v40, 24, v40
	v_lshlrev_b32_e32 v47, 20, v47
	v_and_b32_e32 v40, 0x80000000, v40
	v_lshl_add_u32 v42, v42, 23, v45
	v_or3_b32 v51, v40, v42, v47
.LBB639_493:                            ;   in Loop: Header=BB639_213 Depth=1
	s_or_b64 exec, exec, s[16:17]
.LBB639_494:                            ;   in Loop: Header=BB639_213 Depth=1
	s_or_b64 exec, exec, s[14:15]
.LBB639_495:                            ;   in Loop: Header=BB639_213 Depth=1
	s_or_b64 exec, exec, s[12:13]
	v_cmp_lt_u32_e32 vcc, s20, v38
	v_mov_b32_e32 v47, 0
	v_mov_b32_e32 v53, 0
	s_and_saveexec_b64 s[12:13], vcc
	s_cbranch_execz .LBB639_501
; %bb.496:                              ;   in Loop: Header=BB639_213 Depth=1
	v_lshrrev_b32_e32 v40, 24, v38
	v_cmp_ne_u32_e32 vcc, s9, v40
	v_bfrev_b32_e32 v53, 1
	s_and_saveexec_b64 s[14:15], vcc
	s_cbranch_execz .LBB639_500
; %bb.497:                              ;   in Loop: Header=BB639_213 Depth=1
	v_bfe_u32 v38, v38, 24, 7
	v_cmp_ne_u32_e32 vcc, s19, v38
	v_mov_b32_e32 v53, 0x7f800001
	s_and_saveexec_b64 s[16:17], vcc
	s_cbranch_execz .LBB639_499
; %bb.498:                              ;   in Loop: Header=BB639_213 Depth=1
	v_and_b32_e32 v42, 7, v40
	v_ffbh_u32_e32 v63, v42
	v_min_u32_e32 v63, 32, v63
	v_subrev_u32_e32 v64, 28, v63
	v_lshlrev_b64 v[64:65], v64, v[40:41]
	v_lshrrev_b32_e32 v53, 3, v38
	v_sub_u32_e32 v63, 29, v63
	v_and_b32_e32 v64, 7, v64
	v_cmp_gt_u32_e32 vcc, 8, v38
	v_cndmask_b32_e32 v38, v53, v63, vcc
	v_cndmask_b32_e32 v42, v42, v64, vcc
	v_lshlrev_b32_e32 v40, 24, v40
	v_lshlrev_b32_e32 v42, 20, v42
	v_and_b32_e32 v40, 0x80000000, v40
	v_lshl_add_u32 v38, v38, 23, v45
	v_or3_b32 v53, v40, v38, v42
.LBB639_499:                            ;   in Loop: Header=BB639_213 Depth=1
	s_or_b64 exec, exec, s[16:17]
.LBB639_500:                            ;   in Loop: Header=BB639_213 Depth=1
	s_or_b64 exec, exec, s[14:15]
.LBB639_501:                            ;   in Loop: Header=BB639_213 Depth=1
	s_or_b64 exec, exec, s[12:13]
	v_cvt_pkrtz_f16_f32 v65, v44, v50
	buffer_load_dword v44, v62, s[0:3], 0 offen
	buffer_load_dword v42, v62, s[0:3], 0 offen offset:4
	buffer_load_dword v40, v62, s[0:3], 0 offen offset:8
	;; [unrolled: 1-line block ×3, first 2 shown]
	v_cvt_pkrtz_f16_f32 v64, v46, v48
	v_cvt_pkrtz_f16_f32 v48, v49, v52
	v_cvt_pkrtz_f16_f32 v49, v51, v53
	v_mfma_f32_16x16x16f16 v[34:37], v[64:65], v[22:23], v[34:37]
	s_waitcnt vmcnt(3)
	v_cmp_ne_u16_sdwa s[14:15], v44, v43 src0_sel:BYTE_0 src1_sel:DWORD
	v_mfma_f32_16x16x16f16 v[34:37], v[48:49], v[24:25], v[34:37]
	s_and_saveexec_b64 s[12:13], s[14:15]
	s_cbranch_execz .LBB639_507
; %bb.502:                              ;   in Loop: Header=BB639_213 Depth=1
	v_cmp_ne_u16_sdwa s[16:17], v44, s9 src0_sel:BYTE_0 src1_sel:DWORD
	v_bfrev_b32_e32 v47, 1
	s_and_saveexec_b64 s[14:15], s[16:17]
	s_cbranch_execz .LBB639_506
; %bb.503:                              ;   in Loop: Header=BB639_213 Depth=1
	v_and_b32_e32 v46, 0x7f, v44
	v_cmp_ne_u32_e32 vcc, s19, v46
	v_mov_b32_e32 v47, 0x7f800001
	s_and_saveexec_b64 s[16:17], vcc
	s_cbranch_execz .LBB639_505
; %bb.504:                              ;   in Loop: Header=BB639_213 Depth=1
	v_and_b32_e32 v47, 7, v44
	v_ffbh_u32_e32 v48, v47
	v_min_u32_e32 v51, 32, v48
	v_subrev_u32_e32 v48, 28, v51
	v_lshlrev_b64 v[48:49], v48, v[44:45]
	v_lshrrev_b32_e32 v50, 3, v46
	v_sub_u32_e32 v49, 29, v51
	v_and_b32_e32 v48, 7, v48
	v_cmp_gt_u32_e32 vcc, 8, v46
	v_cndmask_b32_e32 v46, v50, v49, vcc
	v_cndmask_b32_e32 v47, v47, v48, vcc
	v_lshlrev_b32_e32 v48, 24, v44
	v_lshlrev_b32_e32 v47, 20, v47
	v_and_b32_e32 v48, 0x80000000, v48
	v_lshl_add_u32 v46, v46, 23, v45
	v_or3_b32 v47, v48, v46, v47
.LBB639_505:                            ;   in Loop: Header=BB639_213 Depth=1
	s_or_b64 exec, exec, s[16:17]
.LBB639_506:                            ;   in Loop: Header=BB639_213 Depth=1
	s_or_b64 exec, exec, s[14:15]
.LBB639_507:                            ;   in Loop: Header=BB639_213 Depth=1
	s_or_b64 exec, exec, s[12:13]
	v_lshrrev_b16_e32 v46, 8, v44
	v_cmp_ne_u16_e32 vcc, 0, v46
	v_mov_b32_e32 v48, 0
	v_mov_b32_e32 v49, 0
	s_and_saveexec_b64 s[12:13], vcc
	s_cbranch_execz .LBB639_513
; %bb.508:                              ;   in Loop: Header=BB639_213 Depth=1
	v_cmp_ne_u16_e32 vcc, s9, v46
	v_bfrev_b32_e32 v49, 1
	s_and_saveexec_b64 s[14:15], vcc
	s_cbranch_execz .LBB639_512
; %bb.509:                              ;   in Loop: Header=BB639_213 Depth=1
	v_and_b32_e32 v50, 0x7f, v46
	v_cmp_ne_u32_e32 vcc, s19, v50
	v_mov_b32_e32 v49, 0x7f800001
	s_and_saveexec_b64 s[16:17], vcc
	s_cbranch_execz .LBB639_511
; %bb.510:                              ;   in Loop: Header=BB639_213 Depth=1
	v_and_b32_e32 v49, 7, v46
	v_ffbh_u32_e32 v52, v49
	v_min_u32_e32 v62, 32, v52
	v_subrev_u32_e32 v52, 28, v62
	v_lshlrev_b64 v[52:53], v52, v[46:47]
	v_lshrrev_b32_e32 v51, 3, v50
	v_sub_u32_e32 v46, 29, v62
	v_and_b32_e32 v52, 7, v52
	v_cmp_gt_u32_e32 vcc, 8, v50
	v_cndmask_b32_e32 v46, v51, v46, vcc
	v_cndmask_b32_e32 v49, v49, v52, vcc
	v_lshlrev_b32_e32 v50, 16, v44
	v_lshlrev_b32_e32 v49, 20, v49
	v_and_b32_e32 v50, 0x80000000, v50
	v_lshl_add_u32 v46, v46, 23, v45
	v_or3_b32 v49, v50, v46, v49
.LBB639_511:                            ;   in Loop: Header=BB639_213 Depth=1
	s_or_b64 exec, exec, s[16:17]
.LBB639_512:                            ;   in Loop: Header=BB639_213 Depth=1
	s_or_b64 exec, exec, s[14:15]
.LBB639_513:                            ;   in Loop: Header=BB639_213 Depth=1
	s_or_b64 exec, exec, s[12:13]
	v_lshrrev_b32_e32 v46, 16, v44
	v_cmp_ne_u16_sdwa s[14:15], v46, v43 src0_sel:BYTE_0 src1_sel:DWORD
	s_and_saveexec_b64 s[12:13], s[14:15]
	s_cbranch_execz .LBB639_519
; %bb.514:                              ;   in Loop: Header=BB639_213 Depth=1
	v_cmp_ne_u16_sdwa s[16:17], v46, s9 src0_sel:BYTE_0 src1_sel:DWORD
	v_bfrev_b32_e32 v48, 1
	s_and_saveexec_b64 s[14:15], s[16:17]
	s_cbranch_execz .LBB639_518
; %bb.515:                              ;   in Loop: Header=BB639_213 Depth=1
	v_bfe_u32 v50, v44, 16, 7
	v_cmp_ne_u32_e32 vcc, s19, v50
	v_mov_b32_e32 v48, 0x7f800001
	s_and_saveexec_b64 s[16:17], vcc
	s_cbranch_execz .LBB639_517
; %bb.516:                              ;   in Loop: Header=BB639_213 Depth=1
	v_and_b32_e32 v48, 7, v46
	v_ffbh_u32_e32 v52, v48
	v_min_u32_e32 v62, 32, v52
	v_subrev_u32_e32 v52, 28, v62
	v_lshlrev_b64 v[52:53], v52, v[46:47]
	v_lshrrev_b32_e32 v51, 3, v50
	v_sub_u32_e32 v53, 29, v62
	v_and_b32_e32 v52, 7, v52
	v_cmp_gt_u32_e32 vcc, 8, v50
	v_cndmask_b32_e32 v50, v51, v53, vcc
	v_cndmask_b32_e32 v48, v48, v52, vcc
	v_lshlrev_b32_e32 v46, 24, v46
	v_lshlrev_b32_e32 v48, 20, v48
	v_and_b32_e32 v46, 0x80000000, v46
	v_lshl_add_u32 v50, v50, 23, v45
	v_or3_b32 v48, v46, v50, v48
.LBB639_517:                            ;   in Loop: Header=BB639_213 Depth=1
	s_or_b64 exec, exec, s[16:17]
.LBB639_518:                            ;   in Loop: Header=BB639_213 Depth=1
	s_or_b64 exec, exec, s[14:15]
.LBB639_519:                            ;   in Loop: Header=BB639_213 Depth=1
	s_or_b64 exec, exec, s[12:13]
	v_cmp_lt_u32_e32 vcc, s20, v44
	v_mov_b32_e32 v50, 0
	v_mov_b32_e32 v51, 0
	s_and_saveexec_b64 s[12:13], vcc
	s_cbranch_execz .LBB639_525
; %bb.520:                              ;   in Loop: Header=BB639_213 Depth=1
	v_lshrrev_b32_e32 v46, 24, v44
	v_cmp_ne_u32_e32 vcc, s9, v46
	v_bfrev_b32_e32 v51, 1
	s_and_saveexec_b64 s[14:15], vcc
	s_cbranch_execz .LBB639_524
; %bb.521:                              ;   in Loop: Header=BB639_213 Depth=1
	v_bfe_u32 v44, v44, 24, 7
	v_cmp_ne_u32_e32 vcc, s19, v44
	v_mov_b32_e32 v51, 0x7f800001
	s_and_saveexec_b64 s[16:17], vcc
	s_cbranch_execz .LBB639_523
; %bb.522:                              ;   in Loop: Header=BB639_213 Depth=1
	v_and_b32_e32 v51, 7, v46
	v_ffbh_u32_e32 v52, v51
	v_min_u32_e32 v63, 32, v52
	v_subrev_u32_e32 v52, 28, v63
	v_lshlrev_b64 v[52:53], v52, v[46:47]
	v_lshrrev_b32_e32 v62, 3, v44
	v_sub_u32_e32 v53, 29, v63
	v_and_b32_e32 v52, 7, v52
	v_cmp_gt_u32_e32 vcc, 8, v44
	v_cndmask_b32_e32 v44, v62, v53, vcc
	v_cndmask_b32_e32 v51, v51, v52, vcc
	v_lshlrev_b32_e32 v46, 24, v46
	v_lshlrev_b32_e32 v51, 20, v51
	v_and_b32_e32 v46, 0x80000000, v46
	v_lshl_add_u32 v44, v44, 23, v45
	v_or3_b32 v51, v46, v44, v51
.LBB639_523:                            ;   in Loop: Header=BB639_213 Depth=1
	s_or_b64 exec, exec, s[16:17]
.LBB639_524:                            ;   in Loop: Header=BB639_213 Depth=1
	s_or_b64 exec, exec, s[14:15]
.LBB639_525:                            ;   in Loop: Header=BB639_213 Depth=1
	s_or_b64 exec, exec, s[12:13]
	s_waitcnt vmcnt(2)
	v_cmp_ne_u16_sdwa s[14:15], v42, v43 src0_sel:BYTE_0 src1_sel:DWORD
	s_and_saveexec_b64 s[12:13], s[14:15]
	s_cbranch_execz .LBB639_531
; %bb.526:                              ;   in Loop: Header=BB639_213 Depth=1
	v_cmp_ne_u16_sdwa s[16:17], v42, s9 src0_sel:BYTE_0 src1_sel:DWORD
	v_bfrev_b32_e32 v50, 1
	s_and_saveexec_b64 s[14:15], s[16:17]
	s_cbranch_execz .LBB639_530
; %bb.527:                              ;   in Loop: Header=BB639_213 Depth=1
	v_and_b32_e32 v44, 0x7f, v42
	v_cmp_ne_u32_e32 vcc, s19, v44
	v_mov_b32_e32 v50, 0x7f800001
	s_and_saveexec_b64 s[16:17], vcc
	s_cbranch_execz .LBB639_529
; %bb.528:                              ;   in Loop: Header=BB639_213 Depth=1
	v_and_b32_e32 v46, 7, v42
	v_ffbh_u32_e32 v52, v46
	v_min_u32_e32 v62, 32, v52
	v_subrev_u32_e32 v52, 28, v62
	v_lshlrev_b64 v[52:53], v52, v[42:43]
	v_lshrrev_b32_e32 v50, 3, v44
	v_sub_u32_e32 v53, 29, v62
	v_and_b32_e32 v52, 7, v52
	v_cmp_gt_u32_e32 vcc, 8, v44
	v_cndmask_b32_e32 v44, v50, v53, vcc
	v_cndmask_b32_e32 v46, v46, v52, vcc
	v_lshlrev_b32_e32 v50, 24, v42
	v_lshlrev_b32_e32 v46, 20, v46
	v_and_b32_e32 v50, 0x80000000, v50
	v_lshl_add_u32 v44, v44, 23, v45
	v_or3_b32 v50, v50, v44, v46
.LBB639_529:                            ;   in Loop: Header=BB639_213 Depth=1
	s_or_b64 exec, exec, s[16:17]
.LBB639_530:                            ;   in Loop: Header=BB639_213 Depth=1
	s_or_b64 exec, exec, s[14:15]
.LBB639_531:                            ;   in Loop: Header=BB639_213 Depth=1
	s_or_b64 exec, exec, s[12:13]
	v_lshrrev_b16_e32 v44, 8, v42
	v_cmp_ne_u16_e32 vcc, 0, v44
	v_mov_b32_e32 v52, 0
	v_mov_b32_e32 v53, 0
	s_and_saveexec_b64 s[12:13], vcc
	s_cbranch_execz .LBB639_537
; %bb.532:                              ;   in Loop: Header=BB639_213 Depth=1
	v_cmp_ne_u16_e32 vcc, s9, v44
	v_bfrev_b32_e32 v53, 1
	s_and_saveexec_b64 s[14:15], vcc
	s_cbranch_execz .LBB639_536
; %bb.533:                              ;   in Loop: Header=BB639_213 Depth=1
	v_and_b32_e32 v46, 0x7f, v44
	v_cmp_ne_u32_e32 vcc, s19, v46
	v_mov_b32_e32 v53, 0x7f800001
	s_and_saveexec_b64 s[16:17], vcc
	s_cbranch_execz .LBB639_535
; %bb.534:                              ;   in Loop: Header=BB639_213 Depth=1
	v_and_b32_e32 v53, 7, v44
	v_ffbh_u32_e32 v62, v53
	v_min_u32_e32 v65, 32, v62
	v_subrev_u32_e32 v62, 28, v65
	v_lshlrev_b64 v[62:63], v62, v[44:45]
	v_lshrrev_b32_e32 v64, 3, v46
	v_sub_u32_e32 v44, 29, v65
	v_and_b32_e32 v62, 7, v62
	v_cmp_gt_u32_e32 vcc, 8, v46
	v_cndmask_b32_e32 v44, v64, v44, vcc
	v_cndmask_b32_e32 v46, v53, v62, vcc
	v_lshlrev_b32_e32 v53, 16, v42
	v_lshlrev_b32_e32 v46, 20, v46
	v_and_b32_e32 v53, 0x80000000, v53
	v_lshl_add_u32 v44, v44, 23, v45
	v_or3_b32 v53, v53, v44, v46
.LBB639_535:                            ;   in Loop: Header=BB639_213 Depth=1
	s_or_b64 exec, exec, s[16:17]
.LBB639_536:                            ;   in Loop: Header=BB639_213 Depth=1
	s_or_b64 exec, exec, s[14:15]
.LBB639_537:                            ;   in Loop: Header=BB639_213 Depth=1
	s_or_b64 exec, exec, s[12:13]
	v_lshrrev_b32_e32 v44, 16, v42
	v_cmp_ne_u16_sdwa s[14:15], v44, v43 src0_sel:BYTE_0 src1_sel:DWORD
	s_and_saveexec_b64 s[12:13], s[14:15]
	s_cbranch_execz .LBB639_543
; %bb.538:                              ;   in Loop: Header=BB639_213 Depth=1
	v_cmp_ne_u16_sdwa s[16:17], v44, s9 src0_sel:BYTE_0 src1_sel:DWORD
	v_bfrev_b32_e32 v52, 1
	s_and_saveexec_b64 s[14:15], s[16:17]
	s_cbranch_execz .LBB639_542
; %bb.539:                              ;   in Loop: Header=BB639_213 Depth=1
	v_bfe_u32 v46, v42, 16, 7
	v_cmp_ne_u32_e32 vcc, s19, v46
	v_mov_b32_e32 v52, 0x7f800001
	s_and_saveexec_b64 s[16:17], vcc
	s_cbranch_execz .LBB639_541
; %bb.540:                              ;   in Loop: Header=BB639_213 Depth=1
	v_and_b32_e32 v52, 7, v44
	v_ffbh_u32_e32 v62, v52
	v_min_u32_e32 v65, 32, v62
	v_subrev_u32_e32 v62, 28, v65
	v_lshlrev_b64 v[62:63], v62, v[44:45]
	v_lshrrev_b32_e32 v64, 3, v46
	v_sub_u32_e32 v63, 29, v65
	v_and_b32_e32 v62, 7, v62
	v_cmp_gt_u32_e32 vcc, 8, v46
	v_cndmask_b32_e32 v46, v64, v63, vcc
	v_cndmask_b32_e32 v52, v52, v62, vcc
	v_lshlrev_b32_e32 v44, 24, v44
	v_lshlrev_b32_e32 v52, 20, v52
	v_and_b32_e32 v44, 0x80000000, v44
	v_lshl_add_u32 v46, v46, 23, v45
	v_or3_b32 v52, v44, v46, v52
.LBB639_541:                            ;   in Loop: Header=BB639_213 Depth=1
	s_or_b64 exec, exec, s[16:17]
.LBB639_542:                            ;   in Loop: Header=BB639_213 Depth=1
	s_or_b64 exec, exec, s[14:15]
.LBB639_543:                            ;   in Loop: Header=BB639_213 Depth=1
	s_or_b64 exec, exec, s[12:13]
	v_cmp_lt_u32_e32 vcc, s20, v42
	v_mov_b32_e32 v46, 0
	v_mov_b32_e32 v62, 0
	s_and_saveexec_b64 s[12:13], vcc
	s_cbranch_execz .LBB639_549
; %bb.544:                              ;   in Loop: Header=BB639_213 Depth=1
	v_lshrrev_b32_e32 v44, 24, v42
	v_cmp_ne_u32_e32 vcc, s9, v44
	v_bfrev_b32_e32 v62, 1
	s_and_saveexec_b64 s[14:15], vcc
	s_cbranch_execz .LBB639_548
; %bb.545:                              ;   in Loop: Header=BB639_213 Depth=1
	v_bfe_u32 v42, v42, 24, 7
	v_cmp_ne_u32_e32 vcc, s19, v42
	v_mov_b32_e32 v62, 0x7f800001
	s_and_saveexec_b64 s[16:17], vcc
	s_cbranch_execz .LBB639_547
; %bb.546:                              ;   in Loop: Header=BB639_213 Depth=1
	v_and_b32_e32 v64, 7, v44
	v_ffbh_u32_e32 v62, v64
	v_min_u32_e32 v66, 32, v62
	v_subrev_u32_e32 v62, 28, v66
	v_lshlrev_b64 v[62:63], v62, v[44:45]
	v_lshrrev_b32_e32 v65, 3, v42
	v_sub_u32_e32 v63, 29, v66
	v_and_b32_e32 v62, 7, v62
	v_cmp_gt_u32_e32 vcc, 8, v42
	v_cndmask_b32_e32 v42, v65, v63, vcc
	v_cndmask_b32_e32 v62, v64, v62, vcc
	v_lshlrev_b32_e32 v44, 24, v44
	v_lshlrev_b32_e32 v62, 20, v62
	v_and_b32_e32 v44, 0x80000000, v44
	v_lshl_add_u32 v42, v42, 23, v45
	v_or3_b32 v62, v44, v42, v62
.LBB639_547:                            ;   in Loop: Header=BB639_213 Depth=1
	s_or_b64 exec, exec, s[16:17]
.LBB639_548:                            ;   in Loop: Header=BB639_213 Depth=1
	s_or_b64 exec, exec, s[14:15]
.LBB639_549:                            ;   in Loop: Header=BB639_213 Depth=1
	s_or_b64 exec, exec, s[12:13]
	v_cvt_pkrtz_f16_f32 v64, v47, v49
	v_cvt_pkrtz_f16_f32 v65, v48, v51
	;; [unrolled: 1-line block ×4, first 2 shown]
	s_waitcnt vmcnt(1)
	v_cmp_ne_u16_sdwa s[14:15], v40, v43 src0_sel:BYTE_0 src1_sel:DWORD
	v_mfma_f32_16x16x16f16 v[34:37], v[64:65], v[26:27], v[34:37]
	v_mfma_f32_16x16x16f16 v[34:37], v[48:49], v[28:29], v[34:37]
	s_and_saveexec_b64 s[12:13], s[14:15]
	s_cbranch_execz .LBB639_555
; %bb.550:                              ;   in Loop: Header=BB639_213 Depth=1
	v_cmp_ne_u16_sdwa s[16:17], v40, s9 src0_sel:BYTE_0 src1_sel:DWORD
	v_bfrev_b32_e32 v46, 1
	s_and_saveexec_b64 s[14:15], s[16:17]
	s_cbranch_execz .LBB639_554
; %bb.551:                              ;   in Loop: Header=BB639_213 Depth=1
	v_and_b32_e32 v42, 0x7f, v40
	v_cmp_ne_u32_e32 vcc, s19, v42
	v_mov_b32_e32 v46, 0x7f800001
	s_and_saveexec_b64 s[16:17], vcc
	s_cbranch_execz .LBB639_553
; %bb.552:                              ;   in Loop: Header=BB639_213 Depth=1
	v_and_b32_e32 v44, 7, v40
	v_ffbh_u32_e32 v46, v44
	v_min_u32_e32 v49, 32, v46
	v_subrev_u32_e32 v46, 28, v49
	v_lshlrev_b64 v[46:47], v46, v[40:41]
	v_lshrrev_b32_e32 v48, 3, v42
	v_sub_u32_e32 v47, 29, v49
	v_and_b32_e32 v46, 7, v46
	v_cmp_gt_u32_e32 vcc, 8, v42
	v_cndmask_b32_e32 v42, v48, v47, vcc
	v_cndmask_b32_e32 v44, v44, v46, vcc
	v_lshlrev_b32_e32 v46, 24, v40
	v_lshlrev_b32_e32 v44, 20, v44
	v_and_b32_e32 v46, 0x80000000, v46
	v_lshl_add_u32 v42, v42, 23, v45
	v_or3_b32 v46, v46, v42, v44
.LBB639_553:                            ;   in Loop: Header=BB639_213 Depth=1
	s_or_b64 exec, exec, s[16:17]
.LBB639_554:                            ;   in Loop: Header=BB639_213 Depth=1
	s_or_b64 exec, exec, s[14:15]
.LBB639_555:                            ;   in Loop: Header=BB639_213 Depth=1
	s_or_b64 exec, exec, s[12:13]
	v_lshrrev_b16_e32 v42, 8, v40
	v_cmp_ne_u16_e32 vcc, 0, v42
	v_mov_b32_e32 v44, 0
	v_mov_b32_e32 v47, 0
	s_and_saveexec_b64 s[12:13], vcc
	s_cbranch_execz .LBB639_561
; %bb.556:                              ;   in Loop: Header=BB639_213 Depth=1
	v_cmp_ne_u16_e32 vcc, s9, v42
	v_bfrev_b32_e32 v47, 1
	s_and_saveexec_b64 s[14:15], vcc
	s_cbranch_execz .LBB639_560
; %bb.557:                              ;   in Loop: Header=BB639_213 Depth=1
	v_and_b32_e32 v48, 0x7f, v42
	v_cmp_ne_u32_e32 vcc, s19, v48
	v_mov_b32_e32 v47, 0x7f800001
	s_and_saveexec_b64 s[16:17], vcc
	s_cbranch_execz .LBB639_559
; %bb.558:                              ;   in Loop: Header=BB639_213 Depth=1
	v_and_b32_e32 v47, 7, v42
	v_ffbh_u32_e32 v50, v47
	v_min_u32_e32 v52, 32, v50
	v_subrev_u32_e32 v50, 28, v52
	v_lshlrev_b64 v[50:51], v50, v[42:43]
	v_lshrrev_b32_e32 v49, 3, v48
	v_sub_u32_e32 v42, 29, v52
	v_and_b32_e32 v50, 7, v50
	v_cmp_gt_u32_e32 vcc, 8, v48
	v_cndmask_b32_e32 v42, v49, v42, vcc
	v_cndmask_b32_e32 v47, v47, v50, vcc
	v_lshlrev_b32_e32 v48, 16, v40
	v_lshlrev_b32_e32 v47, 20, v47
	v_and_b32_e32 v48, 0x80000000, v48
	v_lshl_add_u32 v42, v42, 23, v45
	v_or3_b32 v47, v48, v42, v47
.LBB639_559:                            ;   in Loop: Header=BB639_213 Depth=1
	s_or_b64 exec, exec, s[16:17]
.LBB639_560:                            ;   in Loop: Header=BB639_213 Depth=1
	s_or_b64 exec, exec, s[14:15]
.LBB639_561:                            ;   in Loop: Header=BB639_213 Depth=1
	s_or_b64 exec, exec, s[12:13]
	v_lshrrev_b32_e32 v42, 16, v40
	v_cmp_ne_u16_sdwa s[14:15], v42, v43 src0_sel:BYTE_0 src1_sel:DWORD
	s_and_saveexec_b64 s[12:13], s[14:15]
	s_cbranch_execz .LBB639_567
; %bb.562:                              ;   in Loop: Header=BB639_213 Depth=1
	v_cmp_ne_u16_sdwa s[16:17], v42, s9 src0_sel:BYTE_0 src1_sel:DWORD
	v_bfrev_b32_e32 v44, 1
	s_and_saveexec_b64 s[14:15], s[16:17]
	s_cbranch_execz .LBB639_566
; %bb.563:                              ;   in Loop: Header=BB639_213 Depth=1
	v_bfe_u32 v48, v40, 16, 7
	v_cmp_ne_u32_e32 vcc, s19, v48
	v_mov_b32_e32 v44, 0x7f800001
	s_and_saveexec_b64 s[16:17], vcc
	s_cbranch_execz .LBB639_565
; %bb.564:                              ;   in Loop: Header=BB639_213 Depth=1
	v_and_b32_e32 v44, 7, v42
	v_ffbh_u32_e32 v50, v44
	v_min_u32_e32 v52, 32, v50
	v_subrev_u32_e32 v50, 28, v52
	v_lshlrev_b64 v[50:51], v50, v[42:43]
	v_lshrrev_b32_e32 v49, 3, v48
	v_sub_u32_e32 v51, 29, v52
	v_and_b32_e32 v50, 7, v50
	v_cmp_gt_u32_e32 vcc, 8, v48
	v_cndmask_b32_e32 v48, v49, v51, vcc
	v_cndmask_b32_e32 v44, v44, v50, vcc
	v_lshlrev_b32_e32 v42, 24, v42
	v_lshlrev_b32_e32 v44, 20, v44
	v_and_b32_e32 v42, 0x80000000, v42
	v_lshl_add_u32 v48, v48, 23, v45
	v_or3_b32 v44, v42, v48, v44
.LBB639_565:                            ;   in Loop: Header=BB639_213 Depth=1
	s_or_b64 exec, exec, s[16:17]
.LBB639_566:                            ;   in Loop: Header=BB639_213 Depth=1
	s_or_b64 exec, exec, s[14:15]
.LBB639_567:                            ;   in Loop: Header=BB639_213 Depth=1
	s_or_b64 exec, exec, s[12:13]
	v_cmp_lt_u32_e32 vcc, s20, v40
	v_mov_b32_e32 v48, 0
	v_mov_b32_e32 v49, 0
	s_and_saveexec_b64 s[12:13], vcc
	s_cbranch_execz .LBB639_573
; %bb.568:                              ;   in Loop: Header=BB639_213 Depth=1
	v_lshrrev_b32_e32 v42, 24, v40
	v_cmp_ne_u32_e32 vcc, s9, v42
	v_bfrev_b32_e32 v49, 1
	s_and_saveexec_b64 s[14:15], vcc
	s_cbranch_execz .LBB639_572
; %bb.569:                              ;   in Loop: Header=BB639_213 Depth=1
	v_bfe_u32 v40, v40, 24, 7
	v_cmp_ne_u32_e32 vcc, s19, v40
	v_mov_b32_e32 v49, 0x7f800001
	s_and_saveexec_b64 s[16:17], vcc
	s_cbranch_execz .LBB639_571
; %bb.570:                              ;   in Loop: Header=BB639_213 Depth=1
	v_and_b32_e32 v49, 7, v42
	v_ffbh_u32_e32 v50, v49
	v_min_u32_e32 v53, 32, v50
	v_subrev_u32_e32 v50, 28, v53
	v_lshlrev_b64 v[50:51], v50, v[42:43]
	v_lshrrev_b32_e32 v52, 3, v40
	v_sub_u32_e32 v51, 29, v53
	v_and_b32_e32 v50, 7, v50
	v_cmp_gt_u32_e32 vcc, 8, v40
	v_cndmask_b32_e32 v40, v52, v51, vcc
	v_cndmask_b32_e32 v49, v49, v50, vcc
	v_lshlrev_b32_e32 v42, 24, v42
	v_lshlrev_b32_e32 v49, 20, v49
	v_and_b32_e32 v42, 0x80000000, v42
	v_lshl_add_u32 v40, v40, 23, v45
	v_or3_b32 v49, v42, v40, v49
.LBB639_571:                            ;   in Loop: Header=BB639_213 Depth=1
	s_or_b64 exec, exec, s[16:17]
.LBB639_572:                            ;   in Loop: Header=BB639_213 Depth=1
	s_or_b64 exec, exec, s[14:15]
.LBB639_573:                            ;   in Loop: Header=BB639_213 Depth=1
	s_or_b64 exec, exec, s[12:13]
	s_waitcnt vmcnt(0)
	v_cmp_ne_u16_sdwa s[14:15], v38, v43 src0_sel:BYTE_0 src1_sel:DWORD
	s_and_saveexec_b64 s[12:13], s[14:15]
	s_cbranch_execz .LBB639_579
; %bb.574:                              ;   in Loop: Header=BB639_213 Depth=1
	v_cmp_ne_u16_sdwa s[16:17], v38, s9 src0_sel:BYTE_0 src1_sel:DWORD
	v_bfrev_b32_e32 v48, 1
	s_and_saveexec_b64 s[14:15], s[16:17]
	s_cbranch_execz .LBB639_578
; %bb.575:                              ;   in Loop: Header=BB639_213 Depth=1
	v_and_b32_e32 v40, 0x7f, v38
	v_cmp_ne_u32_e32 vcc, s19, v40
	v_mov_b32_e32 v48, 0x7f800001
	s_and_saveexec_b64 s[16:17], vcc
	s_cbranch_execz .LBB639_577
; %bb.576:                              ;   in Loop: Header=BB639_213 Depth=1
	v_and_b32_e32 v42, 7, v38
	v_ffbh_u32_e32 v50, v42
	v_min_u32_e32 v52, 32, v50
	v_subrev_u32_e32 v50, 28, v52
	v_lshlrev_b64 v[50:51], v50, v[38:39]
	v_lshrrev_b32_e32 v48, 3, v40
	v_sub_u32_e32 v51, 29, v52
	v_and_b32_e32 v50, 7, v50
	v_cmp_gt_u32_e32 vcc, 8, v40
	v_cndmask_b32_e32 v40, v48, v51, vcc
	v_cndmask_b32_e32 v42, v42, v50, vcc
	v_lshlrev_b32_e32 v48, 24, v38
	v_lshlrev_b32_e32 v42, 20, v42
	v_and_b32_e32 v48, 0x80000000, v48
	v_lshl_add_u32 v40, v40, 23, v45
	v_or3_b32 v48, v48, v40, v42
.LBB639_577:                            ;   in Loop: Header=BB639_213 Depth=1
	s_or_b64 exec, exec, s[16:17]
.LBB639_578:                            ;   in Loop: Header=BB639_213 Depth=1
	s_or_b64 exec, exec, s[14:15]
.LBB639_579:                            ;   in Loop: Header=BB639_213 Depth=1
	s_or_b64 exec, exec, s[12:13]
	v_lshrrev_b16_e32 v40, 8, v38
	v_cmp_ne_u16_e32 vcc, 0, v40
	v_mov_b32_e32 v42, 0
	v_mov_b32_e32 v50, 0
	s_and_saveexec_b64 s[12:13], vcc
	s_cbranch_execz .LBB639_585
; %bb.580:                              ;   in Loop: Header=BB639_213 Depth=1
	v_cmp_ne_u16_e32 vcc, s9, v40
	v_bfrev_b32_e32 v50, 1
	s_and_saveexec_b64 s[14:15], vcc
	s_cbranch_execz .LBB639_584
; %bb.581:                              ;   in Loop: Header=BB639_213 Depth=1
	v_and_b32_e32 v51, 0x7f, v40
	v_cmp_ne_u32_e32 vcc, s19, v51
	v_mov_b32_e32 v50, 0x7f800001
	s_and_saveexec_b64 s[16:17], vcc
	s_cbranch_execz .LBB639_583
; %bb.582:                              ;   in Loop: Header=BB639_213 Depth=1
	v_and_b32_e32 v50, 7, v40
	v_ffbh_u32_e32 v52, v50
	v_min_u32_e32 v63, 32, v52
	v_subrev_u32_e32 v52, 28, v63
	v_lshlrev_b64 v[52:53], v52, v[40:41]
	v_lshrrev_b32_e32 v62, 3, v51
	v_sub_u32_e32 v40, 29, v63
	v_and_b32_e32 v52, 7, v52
	v_cmp_gt_u32_e32 vcc, 8, v51
	v_cndmask_b32_e32 v40, v62, v40, vcc
	v_cndmask_b32_e32 v50, v50, v52, vcc
	v_lshlrev_b32_e32 v51, 16, v38
	v_lshlrev_b32_e32 v50, 20, v50
	v_and_b32_e32 v51, 0x80000000, v51
	v_lshl_add_u32 v40, v40, 23, v45
	v_or3_b32 v50, v51, v40, v50
.LBB639_583:                            ;   in Loop: Header=BB639_213 Depth=1
	s_or_b64 exec, exec, s[16:17]
.LBB639_584:                            ;   in Loop: Header=BB639_213 Depth=1
	s_or_b64 exec, exec, s[14:15]
.LBB639_585:                            ;   in Loop: Header=BB639_213 Depth=1
	s_or_b64 exec, exec, s[12:13]
	v_lshrrev_b32_e32 v40, 16, v38
	v_cmp_ne_u16_sdwa s[14:15], v40, v43 src0_sel:BYTE_0 src1_sel:DWORD
	s_and_saveexec_b64 s[12:13], s[14:15]
	s_cbranch_execz .LBB639_591
; %bb.586:                              ;   in Loop: Header=BB639_213 Depth=1
	v_cmp_ne_u16_sdwa s[16:17], v40, s9 src0_sel:BYTE_0 src1_sel:DWORD
	v_bfrev_b32_e32 v42, 1
	s_and_saveexec_b64 s[14:15], s[16:17]
	s_cbranch_execz .LBB639_590
; %bb.587:                              ;   in Loop: Header=BB639_213 Depth=1
	v_bfe_u32 v51, v38, 16, 7
	v_cmp_ne_u32_e32 vcc, s19, v51
	v_mov_b32_e32 v42, 0x7f800001
	s_and_saveexec_b64 s[16:17], vcc
	s_cbranch_execz .LBB639_589
; %bb.588:                              ;   in Loop: Header=BB639_213 Depth=1
	v_and_b32_e32 v42, 7, v40
	v_ffbh_u32_e32 v52, v42
	v_min_u32_e32 v63, 32, v52
	v_subrev_u32_e32 v52, 28, v63
	v_lshlrev_b64 v[52:53], v52, v[40:41]
	v_lshrrev_b32_e32 v62, 3, v51
	v_sub_u32_e32 v53, 29, v63
	v_and_b32_e32 v52, 7, v52
	v_cmp_gt_u32_e32 vcc, 8, v51
	v_cndmask_b32_e32 v51, v62, v53, vcc
	v_cndmask_b32_e32 v42, v42, v52, vcc
	v_lshlrev_b32_e32 v40, 24, v40
	v_lshlrev_b32_e32 v42, 20, v42
	v_and_b32_e32 v40, 0x80000000, v40
	v_lshl_add_u32 v51, v51, 23, v45
	v_or3_b32 v42, v40, v51, v42
.LBB639_589:                            ;   in Loop: Header=BB639_213 Depth=1
	s_or_b64 exec, exec, s[16:17]
.LBB639_590:                            ;   in Loop: Header=BB639_213 Depth=1
	s_or_b64 exec, exec, s[14:15]
.LBB639_591:                            ;   in Loop: Header=BB639_213 Depth=1
	s_or_b64 exec, exec, s[12:13]
	v_cmp_lt_u32_e32 vcc, s20, v38
	v_mov_b32_e32 v51, 0
	s_and_saveexec_b64 s[12:13], vcc
	s_cbranch_execz .LBB639_212
; %bb.592:                              ;   in Loop: Header=BB639_213 Depth=1
	v_lshrrev_b32_e32 v40, 24, v38
	v_cmp_ne_u32_e32 vcc, s9, v40
	v_bfrev_b32_e32 v51, 1
	s_and_saveexec_b64 s[14:15], vcc
	s_cbranch_execz .LBB639_211
; %bb.593:                              ;   in Loop: Header=BB639_213 Depth=1
	v_bfe_u32 v38, v38, 24, 7
	v_cmp_ne_u32_e32 vcc, s19, v38
	v_mov_b32_e32 v51, 0x7f800001
	s_and_saveexec_b64 s[16:17], vcc
	s_cbranch_execz .LBB639_210
; %bb.594:                              ;   in Loop: Header=BB639_213 Depth=1
	v_and_b32_e32 v51, 7, v40
	v_ffbh_u32_e32 v52, v51
	v_min_u32_e32 v63, 32, v52
	v_subrev_u32_e32 v52, 28, v63
	v_lshlrev_b64 v[52:53], v52, v[40:41]
	v_lshrrev_b32_e32 v62, 3, v38
	v_sub_u32_e32 v53, 29, v63
	v_and_b32_e32 v52, 7, v52
	v_cmp_gt_u32_e32 vcc, 8, v38
	v_cndmask_b32_e32 v38, v62, v53, vcc
	v_cndmask_b32_e32 v51, v51, v52, vcc
	v_lshlrev_b32_e32 v40, 24, v40
	v_lshlrev_b32_e32 v51, 20, v51
	v_and_b32_e32 v40, 0x80000000, v40
	v_lshl_add_u32 v38, v38, 23, v45
	v_or3_b32 v51, v40, v38, v51
	s_branch .LBB639_210
.LBB639_595:
	s_barrier
	buffer_load_dword v2, off, s[0:3], 0 offset:320
	buffer_load_dword v5, off, s[0:3], 0 offset:332
	;; [unrolled: 1-line block ×4, first 2 shown]
	v_cmp_gt_u32_e32 vcc, 64, v0
	v_cmp_gt_u32_e64 s[4:5], 32, v57
	s_and_b64 s[4:5], vcc, s[4:5]
	s_waitcnt vmcnt(0)
	ds_write2st64_b64 v39, v[2:3], v[4:5] offset1:1
	s_waitcnt lgkmcnt(0)
	s_barrier
	s_and_saveexec_b64 s[6:7], s[4:5]
	s_cbranch_execz .LBB639_597
; %bb.596:
	s_mul_i32 s4, s18, s8
	s_lshl_b32 s6, s50, 7
	s_mul_hi_u32 s5, s4, s6
	s_mul_i32 s4, s4, s6
	v_lshlrev_b32_e32 v4, 6, v55
	s_lshl_b64 s[4:5], s[4:5], 1
	v_lshl_or_b32 v0, v0, 10, v4
	s_add_u32 s7, s48, s4
	v_lshlrev_b32_e32 v2, 5, v54
	v_and_b32_e32 v3, 16, v56
	v_and_b32_e32 v0, 0x1a00, v0
	s_addc_u32 s8, s49, s5
	s_lshl_b32 s4, s24, 7
	s_mov_b32 s5, 0
	v_or3_b32 v0, v0, v2, v3
	s_lshl_b64 s[4:5], s[4:5], 1
	ds_read_b128 v[2:5], v0
	s_add_u32 s7, s7, s4
	v_or_b32_e32 v0, s25, v54
	s_addc_u32 s8, s8, s5
	v_mad_u64_u32 v[6:7], s[4:5], s6, v0, 0
	v_lshlrev_b64 v[6:7], 1, v[6:7]
	v_mov_b32_e32 v0, s8
	v_add_co_u32_e32 v6, vcc, s7, v6
	v_addc_co_u32_e32 v7, vcc, v0, v7, vcc
	v_add_co_u32_e32 v0, vcc, v6, v1
	v_addc_co_u32_e32 v1, vcc, 0, v7, vcc
	s_waitcnt lgkmcnt(0)
	global_store_dwordx4 v[0:1], v[2:5], off
.LBB639_597:
	s_endpgm
	.section	.rodata,"a",@progbits
	.p2align	6, 0x0
	.amdhsa_kernel _Z39paged_attention_ll4mi_QKV_mfma16_kernelIDF16_hLN4vllm18Fp8KVCacheDataTypeE1EDF16_Li16ELi128ELi256ELb0ELi2EL8MFMAType0EEvPKT_PKT0_S8_ifPKiSA_SA_iPKfiiiPfSD_PS3_PT2_iSC_SC_
		.amdhsa_group_segment_fixed_size 8192
		.amdhsa_private_segment_fixed_size 352
		.amdhsa_kernarg_size 400
		.amdhsa_user_sgpr_count 8
		.amdhsa_user_sgpr_private_segment_buffer 1
		.amdhsa_user_sgpr_dispatch_ptr 0
		.amdhsa_user_sgpr_queue_ptr 0
		.amdhsa_user_sgpr_kernarg_segment_ptr 1
		.amdhsa_user_sgpr_dispatch_id 0
		.amdhsa_user_sgpr_flat_scratch_init 1
		.amdhsa_user_sgpr_kernarg_preload_length 0
		.amdhsa_user_sgpr_kernarg_preload_offset 0
		.amdhsa_user_sgpr_private_segment_size 0
		.amdhsa_uses_dynamic_stack 0
		.amdhsa_system_sgpr_private_segment_wavefront_offset 1
		.amdhsa_system_sgpr_workgroup_id_x 1
		.amdhsa_system_sgpr_workgroup_id_y 1
		.amdhsa_system_sgpr_workgroup_id_z 1
		.amdhsa_system_sgpr_workgroup_info 0
		.amdhsa_system_vgpr_workitem_id 0
		.amdhsa_next_free_vgpr 80
		.amdhsa_next_free_sgpr 53
		.amdhsa_accum_offset 80
		.amdhsa_reserve_vcc 1
		.amdhsa_reserve_flat_scratch 0
		.amdhsa_float_round_mode_32 0
		.amdhsa_float_round_mode_16_64 0
		.amdhsa_float_denorm_mode_32 3
		.amdhsa_float_denorm_mode_16_64 3
		.amdhsa_dx10_clamp 1
		.amdhsa_ieee_mode 1
		.amdhsa_fp16_overflow 0
		.amdhsa_tg_split 0
		.amdhsa_exception_fp_ieee_invalid_op 0
		.amdhsa_exception_fp_denorm_src 0
		.amdhsa_exception_fp_ieee_div_zero 0
		.amdhsa_exception_fp_ieee_overflow 0
		.amdhsa_exception_fp_ieee_underflow 0
		.amdhsa_exception_fp_ieee_inexact 0
		.amdhsa_exception_int_div_zero 0
	.end_amdhsa_kernel
	.section	.text._Z39paged_attention_ll4mi_QKV_mfma16_kernelIDF16_hLN4vllm18Fp8KVCacheDataTypeE1EDF16_Li16ELi128ELi256ELb0ELi2EL8MFMAType0EEvPKT_PKT0_S8_ifPKiSA_SA_iPKfiiiPfSD_PS3_PT2_iSC_SC_,"axG",@progbits,_Z39paged_attention_ll4mi_QKV_mfma16_kernelIDF16_hLN4vllm18Fp8KVCacheDataTypeE1EDF16_Li16ELi128ELi256ELb0ELi2EL8MFMAType0EEvPKT_PKT0_S8_ifPKiSA_SA_iPKfiiiPfSD_PS3_PT2_iSC_SC_,comdat
.Lfunc_end639:
	.size	_Z39paged_attention_ll4mi_QKV_mfma16_kernelIDF16_hLN4vllm18Fp8KVCacheDataTypeE1EDF16_Li16ELi128ELi256ELb0ELi2EL8MFMAType0EEvPKT_PKT0_S8_ifPKiSA_SA_iPKfiiiPfSD_PS3_PT2_iSC_SC_, .Lfunc_end639-_Z39paged_attention_ll4mi_QKV_mfma16_kernelIDF16_hLN4vllm18Fp8KVCacheDataTypeE1EDF16_Li16ELi128ELi256ELb0ELi2EL8MFMAType0EEvPKT_PKT0_S8_ifPKiSA_SA_iPKfiiiPfSD_PS3_PT2_iSC_SC_
                                        ; -- End function
	.section	.AMDGPU.csdata,"",@progbits
; Kernel info:
; codeLenInByte = 21076
; NumSgprs: 57
; NumVgprs: 80
; NumAgprs: 0
; TotalNumVgprs: 80
; ScratchSize: 352
; MemoryBound: 0
; FloatMode: 240
; IeeeMode: 1
; LDSByteSize: 8192 bytes/workgroup (compile time only)
; SGPRBlocks: 7
; VGPRBlocks: 9
; NumSGPRsForWavesPerEU: 57
; NumVGPRsForWavesPerEU: 80
; AccumOffset: 80
; Occupancy: 6
; WaveLimiterHint : 1
; COMPUTE_PGM_RSRC2:SCRATCH_EN: 1
; COMPUTE_PGM_RSRC2:USER_SGPR: 8
; COMPUTE_PGM_RSRC2:TRAP_HANDLER: 0
; COMPUTE_PGM_RSRC2:TGID_X_EN: 1
; COMPUTE_PGM_RSRC2:TGID_Y_EN: 1
; COMPUTE_PGM_RSRC2:TGID_Z_EN: 1
; COMPUTE_PGM_RSRC2:TIDIG_COMP_CNT: 0
; COMPUTE_PGM_RSRC3_GFX90A:ACCUM_OFFSET: 19
; COMPUTE_PGM_RSRC3_GFX90A:TG_SPLIT: 0
	.section	.text._Z39paged_attention_ll4mi_QKV_mfma16_kernelIDF16_hLN4vllm18Fp8KVCacheDataTypeE1EDF16_Li16ELi128ELi256ELb0ELi3EL8MFMAType0EEvPKT_PKT0_S8_ifPKiSA_SA_iPKfiiiPfSD_PS3_PT2_iSC_SC_,"axG",@progbits,_Z39paged_attention_ll4mi_QKV_mfma16_kernelIDF16_hLN4vllm18Fp8KVCacheDataTypeE1EDF16_Li16ELi128ELi256ELb0ELi3EL8MFMAType0EEvPKT_PKT0_S8_ifPKiSA_SA_iPKfiiiPfSD_PS3_PT2_iSC_SC_,comdat
	.protected	_Z39paged_attention_ll4mi_QKV_mfma16_kernelIDF16_hLN4vllm18Fp8KVCacheDataTypeE1EDF16_Li16ELi128ELi256ELb0ELi3EL8MFMAType0EEvPKT_PKT0_S8_ifPKiSA_SA_iPKfiiiPfSD_PS3_PT2_iSC_SC_ ; -- Begin function _Z39paged_attention_ll4mi_QKV_mfma16_kernelIDF16_hLN4vllm18Fp8KVCacheDataTypeE1EDF16_Li16ELi128ELi256ELb0ELi3EL8MFMAType0EEvPKT_PKT0_S8_ifPKiSA_SA_iPKfiiiPfSD_PS3_PT2_iSC_SC_
	.globl	_Z39paged_attention_ll4mi_QKV_mfma16_kernelIDF16_hLN4vllm18Fp8KVCacheDataTypeE1EDF16_Li16ELi128ELi256ELb0ELi3EL8MFMAType0EEvPKT_PKT0_S8_ifPKiSA_SA_iPKfiiiPfSD_PS3_PT2_iSC_SC_
	.p2align	8
	.type	_Z39paged_attention_ll4mi_QKV_mfma16_kernelIDF16_hLN4vllm18Fp8KVCacheDataTypeE1EDF16_Li16ELi128ELi256ELb0ELi3EL8MFMAType0EEvPKT_PKT0_S8_ifPKiSA_SA_iPKfiiiPfSD_PS3_PT2_iSC_SC_,@function
_Z39paged_attention_ll4mi_QKV_mfma16_kernelIDF16_hLN4vllm18Fp8KVCacheDataTypeE1EDF16_Li16ELi128ELi256ELb0ELi3EL8MFMAType0EEvPKT_PKT0_S8_ifPKiSA_SA_iPKfiiiPfSD_PS3_PT2_iSC_SC_: ; @_Z39paged_attention_ll4mi_QKV_mfma16_kernelIDF16_hLN4vllm18Fp8KVCacheDataTypeE1EDF16_Li16ELi128ELi256ELb0ELi3EL8MFMAType0EEvPKT_PKT0_S8_ifPKiSA_SA_iPKfiiiPfSD_PS3_PT2_iSC_SC_
; %bb.0:
	s_load_dwordx2 s[6:7], s[4:5], 0x30
	s_add_u32 s0, s0, s11
	s_addc_u32 s1, s1, 0
	s_mov_b32 s24, s9
	s_mov_b64 s[12:13], 0
	s_waitcnt lgkmcnt(0)
	s_cmp_lg_u64 s[6:7], 0
	s_cselect_b64 s[16:17], -1, 0
	s_and_b64 vcc, exec, s[16:17]
	s_cbranch_vccz .LBB640_7
; %bb.1:
	s_add_i32 s14, s8, 1
	s_mov_b32 s15, 0
	s_lshl_b64 s[18:19], s[14:15], 2
	s_add_u32 s18, s6, s18
	s_mov_b32 s9, s15
	s_addc_u32 s19, s7, s19
	s_lshl_b64 s[14:15], s[8:9], 2
	s_add_u32 s14, s6, s14
	s_addc_u32 s15, s7, s15
	s_load_dword s11, s[18:19], 0x0
	s_load_dword s20, s[14:15], 0x0
	s_waitcnt lgkmcnt(0)
	s_sub_i32 s11, s11, s20
	s_cmp_eq_u32 s11, 1
	s_cselect_b64 s[14:15], -1, 0
	s_andn2_b64 vcc, exec, s[12:13]
	s_cbranch_vccnz .LBB640_3
.LBB640_2:
	s_mov_b32 s9, 0
	s_mov_b64 s[14:15], -1
.LBB640_3:
	s_andn2_b64 vcc, exec, s[14:15]
	s_cbranch_vccnz .LBB640_597
; %bb.4:
	s_load_dwordx2 s[12:13], s[4:5], 0x28
	s_lshl_b64 s[18:19], s[8:9], 2
	s_waitcnt lgkmcnt(0)
	s_add_u32 s12, s12, s18
	s_addc_u32 s13, s13, s19
	s_load_dword s33, s[12:13], 0x0
	s_lshl_b32 s20, s24, 8
	s_waitcnt lgkmcnt(0)
	s_cmp_ge_i32 s20, s33
	s_cbranch_scc1 .LBB640_597
; %bb.5:
	s_add_i32 s14, s33, 15
	s_load_dwordx2 s[12:13], s[4:5], 0x20
	s_load_dword s11, s[4:5], 0x38
	s_ashr_i32 s15, s14, 31
	v_and_b32_e32 v1, 0xcf, v0
	s_lshr_b32 s15, s15, 28
	v_add_u32_e32 v1, s20, v1
	s_add_i32 s14, s14, s15
	v_ashrrev_i32_e32 v2, 31, v1
	s_ashr_i32 s22, s14, 4
	v_lshrrev_b32_e32 v8, 28, v2
	s_add_i32 s22, s22, -1
	v_add_u32_e32 v2, v1, v8
	s_waitcnt lgkmcnt(0)
	s_mul_i32 s14, s8, s11
	s_mov_b32 s15, 0
	v_ashrrev_i32_e32 v2, 4, v2
	v_mov_b32_e32 v9, s22
	v_cmp_gt_i32_e32 vcc, s33, v1
	s_lshl_b64 s[14:15], s[14:15], 2
	v_cndmask_b32_e32 v2, v9, v2, vcc
	s_add_u32 s11, s12, s14
	v_ashrrev_i32_e32 v3, 31, v2
	s_addc_u32 s21, s13, s15
	v_lshlrev_b64 v[2:3], 2, v[2:3]
	v_mov_b32_e32 v5, s21
	v_add_co_u32_e32 v4, vcc, s11, v2
	v_or_b32_e32 v2, 16, v1
	v_addc_co_u32_e32 v5, vcc, v5, v3, vcc
	v_add_u32_e32 v3, v2, v8
	v_ashrrev_i32_e32 v3, 4, v3
	v_cmp_gt_i32_e32 vcc, s33, v2
	v_cndmask_b32_e32 v2, v9, v3, vcc
	v_ashrrev_i32_e32 v3, 31, v2
	v_lshlrev_b64 v[2:3], 2, v[2:3]
	v_mov_b32_e32 v7, s21
	v_add_co_u32_e32 v6, vcc, s11, v2
	v_or_b32_e32 v2, 32, v1
	v_addc_co_u32_e32 v7, vcc, v7, v3, vcc
	v_add_u32_e32 v3, v2, v8
	v_ashrrev_i32_e32 v3, 4, v3
	v_cmp_gt_i32_e32 vcc, s33, v2
	v_cndmask_b32_e32 v2, v9, v3, vcc
	v_ashrrev_i32_e32 v3, 31, v2
	v_lshlrev_b64 v[2:3], 2, v[2:3]
	v_mov_b32_e32 v11, s21
	v_add_co_u32_e32 v10, vcc, s11, v2
	v_or_b32_e32 v1, 48, v1
	v_addc_co_u32_e32 v11, vcc, v11, v3, vcc
	v_add_u32_e32 v2, v1, v8
	v_ashrrev_i32_e32 v2, 4, v2
	v_cmp_gt_i32_e32 vcc, s33, v1
	v_cndmask_b32_e32 v2, v9, v2, vcc
	v_ashrrev_i32_e32 v3, 31, v2
	v_lshlrev_b64 v[2:3], 2, v[2:3]
	v_mov_b32_e32 v1, s21
	v_add_co_u32_e32 v12, vcc, s11, v2
	v_addc_co_u32_e32 v13, vcc, v1, v3, vcc
	global_load_dword v2, v[4:5], off
	global_load_dword v9, v[6:7], off
	;; [unrolled: 1-line block ×4, first 2 shown]
	s_load_dwordx4 s[12:15], s[4:5], 0x8
	s_andn2_b64 vcc, exec, s[16:17]
	s_cbranch_vccnz .LBB640_8
; %bb.6:
	s_add_u32 s6, s6, s18
	s_addc_u32 s7, s7, s19
	s_load_dword s16, s[6:7], 0x0
	s_branch .LBB640_9
.LBB640_7:
	s_mov_b64 s[14:15], 0
	s_branch .LBB640_2
.LBB640_8:
	s_mov_b32 s16, s8
.LBB640_9:
	s_load_dwordx2 s[48:49], s[4:5], 0x68
	s_load_dwordx8 s[40:47], s[4:5], 0x48
	v_lshrrev_b32_e32 v61, 6, v0
	v_bfe_u32 v55, v0, 4, 2
	v_and_b32_e32 v56, 15, v0
	s_mul_i32 s25, s10, 3
	v_lshl_or_b32 v3, v61, 2, v55
	v_lshlrev_b32_e32 v1, 3, v56
	v_add_u32_e32 v54, s25, v55
	v_cmp_gt_u32_e32 vcc, 3, v3
	v_lshlrev_b32_e32 v1, 1, v1
	v_lshlrev_b32_e32 v57, 4, v0
	s_and_saveexec_b64 s[6:7], vcc
	s_cbranch_execz .LBB640_11
; %bb.10:
	s_load_dwordx2 s[18:19], s[4:5], 0x0
	s_waitcnt lgkmcnt(0)
	s_ashr_i32 s17, s40, 31
	s_mul_hi_u32 s23, s16, s40
	s_mul_i32 s17, s16, s17
	s_add_i32 s17, s23, s17
	s_mul_i32 s16, s16, s40
	s_lshl_b64 s[16:17], s[16:17], 1
	v_lshlrev_b32_e32 v4, 7, v54
	s_add_u32 s16, s18, s16
	v_ashrrev_i32_e32 v5, 31, v4
	s_addc_u32 s17, s19, s17
	v_lshlrev_b64 v[4:5], 1, v[4:5]
	v_mov_b32_e32 v6, s17
	v_add_co_u32_e32 v4, vcc, s16, v4
	v_addc_co_u32_e32 v5, vcc, v6, v5, vcc
	v_add_co_u32_e32 v4, vcc, v4, v1
	v_addc_co_u32_e32 v5, vcc, 0, v5, vcc
	global_load_dwordx4 v[4:7], v[4:5], off
	v_lshlrev_b32_e32 v11, 8, v0
	v_lshlrev_b32_e32 v10, 8, v56
	v_and_b32_e32 v11, 0x600, v11
	s_movk_i32 s16, 0x800
	v_and_or_b32 v10, v10, s16, v11
	v_lshlrev_b32_e32 v3, 5, v3
	v_and_b32_e32 v11, 16, v57
	v_or3_b32 v3, v10, v3, v11
	s_waitcnt vmcnt(0)
	ds_write_b128 v3, v[4:7]
.LBB640_11:
	s_or_b64 exec, exec, s[6:7]
	s_waitcnt lgkmcnt(0)
	s_mul_i32 s10, s10, s42
	s_add_u32 s6, s12, s10
	s_addc_u32 s7, s13, 0
	v_and_b32_e32 v3, 0xf0, v57
	v_mov_b32_e32 v4, s7
	v_add_co_u32_e32 v18, vcc, s6, v3
	v_and_b32_e32 v10, 48, v0
	v_addc_co_u32_e32 v19, vcc, 0, v4, vcc
	v_lshlrev_b32_e32 v21, 4, v10
	s_waitcnt vmcnt(3)
	v_mad_i64_i32 v[2:3], s[6:7], v2, s41, v[18:19]
	v_add_co_u32_e32 v6, vcc, v2, v21
	v_addc_co_u32_e32 v7, vcc, 0, v3, vcc
	v_or_b32_e32 v16, s20, v10
	v_ashrrev_i32_e32 v10, 4, v16
	v_mov_b32_e32 v17, s22
	v_cmp_gt_i32_e32 vcc, s33, v16
	v_cndmask_b32_e32 v10, v17, v10, vcc
	v_ashrrev_i32_e32 v11, 31, v10
	v_lshlrev_b64 v[10:11], 2, v[10:11]
	v_mov_b32_e32 v12, s21
	v_add_co_u32_e32 v10, vcc, s11, v10
	v_addc_co_u32_e32 v11, vcc, v12, v11, vcc
	v_or_b32_e32 v12, 64, v16
	v_ashrrev_i32_e32 v13, 4, v12
	v_cmp_gt_i32_e32 vcc, s33, v12
	v_cndmask_b32_e32 v12, v17, v13, vcc
	v_ashrrev_i32_e32 v13, 31, v12
	v_lshlrev_b64 v[12:13], 2, v[12:13]
	v_mov_b32_e32 v14, s21
	v_add_co_u32_e32 v12, vcc, s11, v12
	v_addc_co_u32_e32 v13, vcc, v14, v13, vcc
	v_or_b32_e32 v14, 0x80, v16
	v_ashrrev_i32_e32 v15, 4, v14
	v_cmp_gt_i32_e32 vcc, s33, v14
	v_cndmask_b32_e32 v14, v17, v15, vcc
	v_ashrrev_i32_e32 v15, 31, v14
	v_lshlrev_b64 v[14:15], 2, v[14:15]
	v_mov_b32_e32 v22, s21
	v_add_co_u32_e32 v14, vcc, s11, v14
	s_load_dwordx2 s[50:51], s[4:5], 0x94
	s_waitcnt lgkmcnt(0)
	s_barrier
	global_load_dwordx4 v[2:5], v[6:7], off
	v_addc_co_u32_e32 v15, vcc, v22, v15, vcc
	global_load_dword v50, v[10:11], off
	global_load_dword v58, v[12:13], off
	;; [unrolled: 1-line block ×3, first 2 shown]
	v_or_b32_e32 v10, 0xc0, v16
	v_ashrrev_i32_e32 v11, 4, v10
	v_cmp_gt_i32_e32 vcc, s33, v10
	v_cndmask_b32_e32 v10, v17, v11, vcc
	v_ashrrev_i32_e32 v11, 31, v10
	v_lshlrev_b64 v[10:11], 2, v[10:11]
	v_mov_b32_e32 v12, s21
	v_add_co_u32_e32 v10, vcc, s11, v10
	v_addc_co_u32_e32 v11, vcc, v12, v11, vcc
	global_load_dword v63, v[10:11], off
	global_load_dwordx4 v[14:17], v[6:7], off offset:1024
	s_waitcnt vmcnt(8)
	v_mad_i64_i32 v[6:7], s[6:7], v9, s41, v[18:19]
	v_add_co_u32_e32 v6, vcc, v6, v21
	v_addc_co_u32_e32 v7, vcc, 0, v7, vcc
	global_load_dwordx4 v[46:49], v[6:7], off
	global_load_dwordx4 v[10:13], v[6:7], off offset:1024
	s_waitcnt vmcnt(9)
	v_mad_i64_i32 v[6:7], s[6:7], v8, s41, v[18:19]
	v_add_co_u32_e32 v22, vcc, v6, v21
	v_addc_co_u32_e32 v23, vcc, 0, v7, vcc
	global_load_dwordx4 v[6:9], v[22:23], off
	s_add_u32 s10, s14, s10
	v_lshl_or_b32 v62, v61, 4, v56
	s_addc_u32 s11, s15, 0
	v_lshlrev_b32_e32 v51, 4, v62
	s_mov_b32 s12, 0
	s_waitcnt vmcnt(8)
	buffer_store_dword v5, off, s[0:3], 0 offset:12
	buffer_store_dword v4, off, s[0:3], 0 offset:8
	v_mad_i64_i32 v[4:5], s[6:7], v20, s41, v[18:19]
	v_add_co_u32_e32 v4, vcc, v4, v21
	v_addc_co_u32_e32 v5, vcc, 0, v5, vcc
	global_load_dwordx4 v[22:25], v[22:23], off offset:1024
	s_nop 0
	global_load_dwordx4 v[26:29], v[4:5], off
	global_load_dwordx4 v[18:21], v[4:5], off offset:1024
	v_mov_b32_e32 v5, s11
	v_add_co_u32_e32 v4, vcc, s10, v51
	v_addc_co_u32_e32 v5, vcc, 0, v5, vcc
	s_waitcnt vmcnt(12)
	v_mad_i64_i32 v[30:31], s[6:7], v50, s41, v[4:5]
	s_waitcnt vmcnt(11)
	v_mad_i64_i32 v[32:33], s[6:7], v58, s41, v[4:5]
	;; [unrolled: 2-line block ×3, first 2 shown]
	global_load_dwordx4 v[34:37], v[30:31], off
	s_nop 0
	global_load_dwordx4 v[30:33], v[32:33], off
	s_waitcnt vmcnt(11)
	v_mad_i64_i32 v[4:5], s[6:7], v63, s41, v[4:5]
	global_load_dwordx4 v[42:45], v[38:39], off
	s_nop 0
	global_load_dwordx4 v[38:41], v[4:5], off
	v_or_b32_e32 v4, 0x400, v51
	v_mov_b32_e32 v5, s11
	v_add_co_u32_e32 v4, vcc, s10, v4
	v_addc_co_u32_e32 v5, vcc, 0, v5, vcc
	v_mad_i64_i32 v[50:51], s[6:7], v50, s41, v[4:5]
	buffer_store_dword v3, off, s[0:3], 0 offset:4
	buffer_store_dword v2, off, s[0:3], 0
	v_mad_i64_i32 v[2:3], s[6:7], v60, s41, v[4:5]
	global_load_dwordx4 v[50:53], v[50:51], off
	v_mad_i64_i32 v[58:59], s[6:7], v58, s41, v[4:5]
	global_load_dwordx4 v[68:71], v[2:3], off
	;; [unrolled: 2-line block ×3, first 2 shown]
	global_load_dwordx4 v[72:75], v[2:3], off
	v_mov_b32_e32 v2, 0x80
	s_waitcnt vmcnt(18)
	buffer_store_dword v17, off, s[0:3], 0 offset:28
	buffer_store_dword v16, off, s[0:3], 0 offset:24
	;; [unrolled: 1-line block ×4, first 2 shown]
	s_waitcnt vmcnt(21)
	buffer_store_dword v49, off, s[0:3], 0 offset:44
	buffer_store_dword v48, off, s[0:3], 0 offset:40
	;; [unrolled: 1-line block ×4, first 2 shown]
	v_add_u32_e32 v47, 16, v2
	v_add_u32_e32 v46, 32, v2
	;; [unrolled: 1-line block ×7, first 2 shown]
	v_mul_lo_u16_e32 v2, 0x56, v56
	v_mov_b32_e32 v3, 3
	s_load_dword s6, s[4:5], 0x1c
	s_load_dwordx4 s[40:43], s[4:5], 0x80
	v_mul_lo_u16_sdwa v2, v2, v3 dst_sel:DWORD dst_unused:UNUSED_PAD src0_sel:BYTE_1 src1_sel:DWORD
	v_sub_u16_e32 v2, v56, v2
	v_mov_b32_e32 v3, 5
	v_lshlrev_b32_sdwa v2, v3, v2 dst_sel:DWORD dst_unused:UNUSED_PAD src0_sel:DWORD src1_sel:BYTE_0
	s_waitcnt vmcnt(24)
	buffer_store_dword v13, off, s[0:3], 0 offset:60
	buffer_store_dword v12, off, s[0:3], 0 offset:56
	;; [unrolled: 1-line block ×4, first 2 shown]
	s_waitcnt vmcnt(27)
	buffer_store_dword v9, off, s[0:3], 0 offset:76
	buffer_store_dword v8, off, s[0:3], 0 offset:72
	;; [unrolled: 1-line block ×4, first 2 shown]
	v_lshl_add_u32 v14, v55, 9, v2
	ds_read_b128 v[2:5], v14
	ds_read_b128 v[6:9], v14 offset:16
	ds_read_b128 v[10:13], v14 offset:2048
	;; [unrolled: 1-line block ×3, first 2 shown]
	s_waitcnt vmcnt(28)
	buffer_store_dword v25, off, s[0:3], 0 offset:92
	buffer_store_dword v24, off, s[0:3], 0 offset:88
	buffer_store_dword v23, off, s[0:3], 0 offset:84
	buffer_store_dword v22, off, s[0:3], 0 offset:80
	s_waitcnt vmcnt(31)
	buffer_store_dword v29, off, s[0:3], 0 offset:108
	buffer_store_dword v28, off, s[0:3], 0 offset:104
	buffer_store_dword v27, off, s[0:3], 0 offset:100
	buffer_store_dword v26, off, s[0:3], 0 offset:96
	;; [unrolled: 5-line block ×9, first 2 shown]
	buffer_store_dword v71, off, s[0:3], 0 offset:220
	buffer_store_dword v70, off, s[0:3], 0 offset:216
	buffer_store_dword v69, off, s[0:3], 0 offset:212
	buffer_store_dword v68, off, s[0:3], 0 offset:208
	s_waitcnt vmcnt(56)
	buffer_store_dword v75, off, s[0:3], 0 offset:252
	s_waitcnt lgkmcnt(0)
	s_load_dword s4, s[40:41], 0x0
	v_mov_b32_e32 v18, s6
	v_and_b32_e32 v63, 63, v0
	s_movk_i32 s13, 0x80
	v_mov_b32_e32 v27, 0
	s_waitcnt lgkmcnt(0)
	v_mul_f32_e32 v22, s4, v18
	v_mov_b32_e32 v24, v22
	v_mov_b32_e32 v25, v22
	s_movk_i32 s14, 0x7f
	s_mov_b32 s15, 0xffffff
	v_mov_b32_e32 v29, 0
	v_mov_b32_e32 v31, 0x100
	v_bfrev_b32_e32 v33, 60
	buffer_store_dword v74, off, s[0:3], 0 offset:248
	buffer_store_dword v73, off, s[0:3], 0 offset:244
	;; [unrolled: 1-line block ×3, first 2 shown]
	s_branch .LBB640_15
.LBB640_12:                             ;   in Loop: Header=BB640_15 Depth=1
	s_or_b64 exec, exec, s[10:11]
.LBB640_13:                             ;   in Loop: Header=BB640_15 Depth=1
	s_or_b64 exec, exec, s[6:7]
.LBB640_14:                             ;   in Loop: Header=BB640_15 Depth=1
	s_or_b64 exec, exec, s[4:5]
	v_cvt_pkrtz_f16_f32 v40, v34, v32
	v_cvt_pkrtz_f16_f32 v41, v23, v36
	;; [unrolled: 1-line block ×4, first 2 shown]
	v_add_u32_e32 v26, s12, v31
	v_mfma_f32_16x16x16f16 v[18:21], v[40:41], v[14:15], v[18:21]
	s_add_i32 s12, s12, 16
	v_mov_b32_e32 v23, v22
	s_cmp_eq_u32 s12, 64
	v_add_u32_e32 v27, 32, v27
	v_mfma_f32_16x16x16f16 v[18:21], v[34:35], v[16:17], v[18:21]
	s_nop 7
	s_nop 2
	v_pk_mul_f32 v[18:19], v[24:25], v[18:19]
	v_pk_mul_f32 v[20:21], v[22:23], v[20:21]
	buffer_store_dword v19, v26, s[0:3], 0 offen offset:4
	buffer_store_dword v18, v26, s[0:3], 0 offen
	buffer_store_dword v21, v26, s[0:3], 0 offen offset:12
	buffer_store_dword v20, v26, s[0:3], 0 offen offset:8
	s_cbranch_scc1 .LBB640_205
.LBB640_15:                             ; =>This Inner Loop Header: Depth=1
	buffer_load_dword v20, v27, s[0:3], 0 offen
	buffer_load_dword v18, v27, s[0:3], 0 offen offset:4
	buffer_load_dword v28, v27, s[0:3], 0 offen offset:8
	buffer_load_dword v26, v27, s[0:3], 0 offen offset:12
	v_mov_b32_e32 v19, 0
	s_waitcnt vmcnt(3)
	v_cmp_ne_u16_sdwa s[6:7], v20, v29 src0_sel:BYTE_0 src1_sel:DWORD
	s_and_saveexec_b64 s[4:5], s[6:7]
	s_cbranch_execz .LBB640_21
; %bb.16:                               ;   in Loop: Header=BB640_15 Depth=1
	v_cmp_ne_u16_sdwa s[10:11], v20, s13 src0_sel:BYTE_0 src1_sel:DWORD
	v_bfrev_b32_e32 v19, 1
	s_and_saveexec_b64 s[6:7], s[10:11]
	s_cbranch_execz .LBB640_20
; %bb.17:                               ;   in Loop: Header=BB640_15 Depth=1
	v_and_b32_e32 v21, 0x7f, v20
	v_cmp_ne_u32_e32 vcc, s14, v21
	v_mov_b32_e32 v19, 0x7f800001
	s_and_saveexec_b64 s[10:11], vcc
	s_cbranch_execz .LBB640_19
; %bb.18:                               ;   in Loop: Header=BB640_15 Depth=1
	v_and_b32_e32 v19, 7, v20
	v_ffbh_u32_e32 v30, v19
	v_min_u32_e32 v30, 32, v30
	v_subrev_u32_e32 v32, 28, v30
	v_lshlrev_b64 v[34:35], v32, v[20:21]
	v_lshrrev_b32_e32 v23, 3, v21
	v_sub_u32_e32 v30, 29, v30
	v_and_b32_e32 v32, 7, v34
	v_cmp_gt_u32_e32 vcc, 8, v21
	v_cndmask_b32_e32 v21, v23, v30, vcc
	v_cndmask_b32_e32 v19, v19, v32, vcc
	v_lshlrev_b32_e32 v23, 24, v20
	v_lshlrev_b32_e32 v19, 20, v19
	v_and_b32_e32 v23, 0x80000000, v23
	v_lshl_add_u32 v21, v21, 23, v33
	v_or3_b32 v19, v23, v21, v19
.LBB640_19:                             ;   in Loop: Header=BB640_15 Depth=1
	s_or_b64 exec, exec, s[10:11]
.LBB640_20:                             ;   in Loop: Header=BB640_15 Depth=1
	s_or_b64 exec, exec, s[6:7]
.LBB640_21:                             ;   in Loop: Header=BB640_15 Depth=1
	s_or_b64 exec, exec, s[4:5]
	v_lshrrev_b16_e32 v30, 8, v20
	v_cmp_ne_u16_e32 vcc, 0, v30
	v_mov_b32_e32 v21, 0
	v_mov_b32_e32 v23, 0
	s_and_saveexec_b64 s[4:5], vcc
	s_cbranch_execz .LBB640_27
; %bb.22:                               ;   in Loop: Header=BB640_15 Depth=1
	v_cmp_ne_u16_e32 vcc, s13, v30
	v_bfrev_b32_e32 v23, 1
	s_and_saveexec_b64 s[6:7], vcc
	s_cbranch_execz .LBB640_26
; %bb.23:                               ;   in Loop: Header=BB640_15 Depth=1
	v_and_b32_e32 v32, 0x7f, v30
	v_cmp_ne_u32_e32 vcc, s14, v32
	v_mov_b32_e32 v23, 0x7f800001
	s_and_saveexec_b64 s[10:11], vcc
	s_cbranch_execz .LBB640_25
; %bb.24:                               ;   in Loop: Header=BB640_15 Depth=1
	v_and_b32_e32 v23, 7, v30
	v_ffbh_u32_e32 v34, v23
	v_min_u32_e32 v37, 32, v34
	v_subrev_u32_e32 v34, 28, v37
	v_lshlrev_b64 v[34:35], v34, v[30:31]
	v_lshrrev_b32_e32 v36, 3, v32
	v_sub_u32_e32 v30, 29, v37
	v_and_b32_e32 v34, 7, v34
	v_cmp_gt_u32_e32 vcc, 8, v32
	v_cndmask_b32_e32 v30, v36, v30, vcc
	v_cndmask_b32_e32 v23, v23, v34, vcc
	v_lshlrev_b32_e32 v32, 16, v20
	v_lshlrev_b32_e32 v23, 20, v23
	v_and_b32_e32 v32, 0x80000000, v32
	v_lshl_add_u32 v30, v30, 23, v33
	v_or3_b32 v23, v32, v30, v23
.LBB640_25:                             ;   in Loop: Header=BB640_15 Depth=1
	s_or_b64 exec, exec, s[10:11]
.LBB640_26:                             ;   in Loop: Header=BB640_15 Depth=1
	s_or_b64 exec, exec, s[6:7]
.LBB640_27:                             ;   in Loop: Header=BB640_15 Depth=1
	s_or_b64 exec, exec, s[4:5]
	v_lshrrev_b32_e32 v30, 16, v20
	v_cmp_ne_u16_sdwa s[6:7], v30, v29 src0_sel:BYTE_0 src1_sel:DWORD
	s_and_saveexec_b64 s[4:5], s[6:7]
	s_cbranch_execz .LBB640_33
; %bb.28:                               ;   in Loop: Header=BB640_15 Depth=1
	v_cmp_ne_u16_sdwa s[10:11], v30, s13 src0_sel:BYTE_0 src1_sel:DWORD
	v_bfrev_b32_e32 v21, 1
	s_and_saveexec_b64 s[6:7], s[10:11]
	s_cbranch_execz .LBB640_32
; %bb.29:                               ;   in Loop: Header=BB640_15 Depth=1
	v_bfe_u32 v32, v20, 16, 7
	v_cmp_ne_u32_e32 vcc, s14, v32
	v_mov_b32_e32 v21, 0x7f800001
	s_and_saveexec_b64 s[10:11], vcc
	s_cbranch_execz .LBB640_31
; %bb.30:                               ;   in Loop: Header=BB640_15 Depth=1
	v_and_b32_e32 v21, 7, v30
	v_ffbh_u32_e32 v34, v21
	v_min_u32_e32 v37, 32, v34
	v_subrev_u32_e32 v34, 28, v37
	v_lshlrev_b64 v[34:35], v34, v[30:31]
	v_lshrrev_b32_e32 v36, 3, v32
	v_sub_u32_e32 v35, 29, v37
	v_and_b32_e32 v34, 7, v34
	v_cmp_gt_u32_e32 vcc, 8, v32
	v_cndmask_b32_e32 v32, v36, v35, vcc
	v_cndmask_b32_e32 v21, v21, v34, vcc
	v_lshlrev_b32_e32 v30, 24, v30
	v_lshlrev_b32_e32 v21, 20, v21
	v_and_b32_e32 v30, 0x80000000, v30
	v_lshl_add_u32 v32, v32, 23, v33
	v_or3_b32 v21, v30, v32, v21
.LBB640_31:                             ;   in Loop: Header=BB640_15 Depth=1
	s_or_b64 exec, exec, s[10:11]
.LBB640_32:                             ;   in Loop: Header=BB640_15 Depth=1
	s_or_b64 exec, exec, s[6:7]
.LBB640_33:                             ;   in Loop: Header=BB640_15 Depth=1
	s_or_b64 exec, exec, s[4:5]
	v_cmp_lt_u32_e32 vcc, s15, v20
	v_mov_b32_e32 v34, 0
	v_mov_b32_e32 v35, 0
	s_and_saveexec_b64 s[4:5], vcc
	s_cbranch_execz .LBB640_39
; %bb.34:                               ;   in Loop: Header=BB640_15 Depth=1
	v_lshrrev_b32_e32 v30, 24, v20
	v_cmp_ne_u32_e32 vcc, s13, v30
	v_bfrev_b32_e32 v35, 1
	s_and_saveexec_b64 s[6:7], vcc
	s_cbranch_execz .LBB640_38
; %bb.35:                               ;   in Loop: Header=BB640_15 Depth=1
	v_bfe_u32 v20, v20, 24, 7
	v_cmp_ne_u32_e32 vcc, s14, v20
	v_mov_b32_e32 v35, 0x7f800001
	s_and_saveexec_b64 s[10:11], vcc
	s_cbranch_execz .LBB640_37
; %bb.36:                               ;   in Loop: Header=BB640_15 Depth=1
	v_and_b32_e32 v32, 7, v30
	v_ffbh_u32_e32 v36, v32
	v_min_u32_e32 v38, 32, v36
	v_subrev_u32_e32 v36, 28, v38
	v_lshlrev_b64 v[36:37], v36, v[30:31]
	v_lshrrev_b32_e32 v35, 3, v20
	v_sub_u32_e32 v37, 29, v38
	v_and_b32_e32 v36, 7, v36
	v_cmp_gt_u32_e32 vcc, 8, v20
	v_cndmask_b32_e32 v20, v35, v37, vcc
	v_cndmask_b32_e32 v32, v32, v36, vcc
	v_lshlrev_b32_e32 v30, 24, v30
	v_lshlrev_b32_e32 v32, 20, v32
	v_and_b32_e32 v30, 0x80000000, v30
	v_lshl_add_u32 v20, v20, 23, v33
	v_or3_b32 v35, v30, v20, v32
.LBB640_37:                             ;   in Loop: Header=BB640_15 Depth=1
	s_or_b64 exec, exec, s[10:11]
.LBB640_38:                             ;   in Loop: Header=BB640_15 Depth=1
	s_or_b64 exec, exec, s[6:7]
.LBB640_39:                             ;   in Loop: Header=BB640_15 Depth=1
	s_or_b64 exec, exec, s[4:5]
	s_waitcnt vmcnt(2)
	v_cmp_ne_u16_sdwa s[6:7], v18, v29 src0_sel:BYTE_0 src1_sel:DWORD
	s_and_saveexec_b64 s[4:5], s[6:7]
	s_cbranch_execz .LBB640_45
; %bb.40:                               ;   in Loop: Header=BB640_15 Depth=1
	v_cmp_ne_u16_sdwa s[10:11], v18, s13 src0_sel:BYTE_0 src1_sel:DWORD
	v_bfrev_b32_e32 v34, 1
	s_and_saveexec_b64 s[6:7], s[10:11]
	s_cbranch_execz .LBB640_44
; %bb.41:                               ;   in Loop: Header=BB640_15 Depth=1
	v_and_b32_e32 v20, 0x7f, v18
	v_cmp_ne_u32_e32 vcc, s14, v20
	v_mov_b32_e32 v34, 0x7f800001
	s_and_saveexec_b64 s[10:11], vcc
	s_cbranch_execz .LBB640_43
; %bb.42:                               ;   in Loop: Header=BB640_15 Depth=1
	v_and_b32_e32 v30, 7, v18
	v_ffbh_u32_e32 v34, v30
	v_min_u32_e32 v34, 32, v34
	v_subrev_u32_e32 v36, 28, v34
	v_lshlrev_b64 v[36:37], v36, v[18:19]
	v_lshrrev_b32_e32 v32, 3, v20
	v_sub_u32_e32 v34, 29, v34
	v_and_b32_e32 v36, 7, v36
	v_cmp_gt_u32_e32 vcc, 8, v20
	v_cndmask_b32_e32 v20, v32, v34, vcc
	v_cndmask_b32_e32 v30, v30, v36, vcc
	v_lshlrev_b32_e32 v32, 24, v18
	v_lshlrev_b32_e32 v30, 20, v30
	v_and_b32_e32 v32, 0x80000000, v32
	v_lshl_add_u32 v20, v20, 23, v33
	v_or3_b32 v34, v32, v20, v30
.LBB640_43:                             ;   in Loop: Header=BB640_15 Depth=1
	s_or_b64 exec, exec, s[10:11]
.LBB640_44:                             ;   in Loop: Header=BB640_15 Depth=1
	s_or_b64 exec, exec, s[6:7]
.LBB640_45:                             ;   in Loop: Header=BB640_15 Depth=1
	s_or_b64 exec, exec, s[4:5]
	v_lshrrev_b16_e32 v20, 8, v18
	v_cmp_ne_u16_e32 vcc, 0, v20
	v_mov_b32_e32 v30, 0
	v_mov_b32_e32 v36, 0
	s_and_saveexec_b64 s[4:5], vcc
	s_cbranch_execz .LBB640_51
; %bb.46:                               ;   in Loop: Header=BB640_15 Depth=1
	v_cmp_ne_u16_e32 vcc, s13, v20
	v_bfrev_b32_e32 v36, 1
	s_and_saveexec_b64 s[6:7], vcc
	s_cbranch_execz .LBB640_50
; %bb.47:                               ;   in Loop: Header=BB640_15 Depth=1
	v_and_b32_e32 v32, 0x7f, v20
	v_cmp_ne_u32_e32 vcc, s14, v32
	v_mov_b32_e32 v36, 0x7f800001
	s_and_saveexec_b64 s[10:11], vcc
	s_cbranch_execz .LBB640_49
; %bb.48:                               ;   in Loop: Header=BB640_15 Depth=1
	v_and_b32_e32 v38, 7, v20
	v_ffbh_u32_e32 v36, v38
	v_min_u32_e32 v40, 32, v36
	v_subrev_u32_e32 v36, 28, v40
	v_lshlrev_b64 v[36:37], v36, v[20:21]
	v_lshrrev_b32_e32 v39, 3, v32
	v_sub_u32_e32 v20, 29, v40
	v_and_b32_e32 v36, 7, v36
	v_cmp_gt_u32_e32 vcc, 8, v32
	v_cndmask_b32_e32 v20, v39, v20, vcc
	v_cndmask_b32_e32 v32, v38, v36, vcc
	v_lshlrev_b32_e32 v36, 16, v18
	v_lshlrev_b32_e32 v32, 20, v32
	v_and_b32_e32 v36, 0x80000000, v36
	v_lshl_add_u32 v20, v20, 23, v33
	v_or3_b32 v36, v36, v20, v32
.LBB640_49:                             ;   in Loop: Header=BB640_15 Depth=1
	s_or_b64 exec, exec, s[10:11]
.LBB640_50:                             ;   in Loop: Header=BB640_15 Depth=1
	s_or_b64 exec, exec, s[6:7]
.LBB640_51:                             ;   in Loop: Header=BB640_15 Depth=1
	s_or_b64 exec, exec, s[4:5]
	v_lshrrev_b32_e32 v20, 16, v18
	v_cmp_ne_u16_sdwa s[6:7], v20, v29 src0_sel:BYTE_0 src1_sel:DWORD
	s_and_saveexec_b64 s[4:5], s[6:7]
	s_cbranch_execz .LBB640_57
; %bb.52:                               ;   in Loop: Header=BB640_15 Depth=1
	v_cmp_ne_u16_sdwa s[10:11], v20, s13 src0_sel:BYTE_0 src1_sel:DWORD
	v_bfrev_b32_e32 v30, 1
	s_and_saveexec_b64 s[6:7], s[10:11]
	s_cbranch_execz .LBB640_56
; %bb.53:                               ;   in Loop: Header=BB640_15 Depth=1
	v_bfe_u32 v32, v18, 16, 7
	v_cmp_ne_u32_e32 vcc, s14, v32
	v_mov_b32_e32 v30, 0x7f800001
	s_and_saveexec_b64 s[10:11], vcc
	s_cbranch_execz .LBB640_55
; %bb.54:                               ;   in Loop: Header=BB640_15 Depth=1
	v_and_b32_e32 v30, 7, v20
	v_ffbh_u32_e32 v38, v30
	v_min_u32_e32 v40, 32, v38
	v_subrev_u32_e32 v38, 28, v40
	v_lshlrev_b64 v[38:39], v38, v[20:21]
	v_lshrrev_b32_e32 v37, 3, v32
	v_sub_u32_e32 v39, 29, v40
	v_and_b32_e32 v38, 7, v38
	v_cmp_gt_u32_e32 vcc, 8, v32
	v_cndmask_b32_e32 v32, v37, v39, vcc
	v_cndmask_b32_e32 v30, v30, v38, vcc
	v_lshlrev_b32_e32 v20, 24, v20
	v_lshlrev_b32_e32 v30, 20, v30
	v_and_b32_e32 v20, 0x80000000, v20
	v_lshl_add_u32 v32, v32, 23, v33
	v_or3_b32 v30, v20, v32, v30
.LBB640_55:                             ;   in Loop: Header=BB640_15 Depth=1
	s_or_b64 exec, exec, s[10:11]
.LBB640_56:                             ;   in Loop: Header=BB640_15 Depth=1
	s_or_b64 exec, exec, s[6:7]
.LBB640_57:                             ;   in Loop: Header=BB640_15 Depth=1
	s_or_b64 exec, exec, s[4:5]
	v_cmp_lt_u32_e32 vcc, s15, v18
	v_mov_b32_e32 v32, 0
	v_mov_b32_e32 v37, 0
	s_and_saveexec_b64 s[4:5], vcc
	s_cbranch_execz .LBB640_63
; %bb.58:                               ;   in Loop: Header=BB640_15 Depth=1
	v_lshrrev_b32_e32 v20, 24, v18
	v_cmp_ne_u32_e32 vcc, s13, v20
	v_bfrev_b32_e32 v37, 1
	s_and_saveexec_b64 s[6:7], vcc
	s_cbranch_execz .LBB640_62
; %bb.59:                               ;   in Loop: Header=BB640_15 Depth=1
	v_bfe_u32 v18, v18, 24, 7
	v_cmp_ne_u32_e32 vcc, s14, v18
	v_mov_b32_e32 v37, 0x7f800001
	s_and_saveexec_b64 s[10:11], vcc
	s_cbranch_execz .LBB640_61
; %bb.60:                               ;   in Loop: Header=BB640_15 Depth=1
	v_and_b32_e32 v37, 7, v20
	v_ffbh_u32_e32 v38, v37
	v_min_u32_e32 v41, 32, v38
	v_subrev_u32_e32 v38, 28, v41
	v_lshlrev_b64 v[38:39], v38, v[20:21]
	v_lshrrev_b32_e32 v40, 3, v18
	v_sub_u32_e32 v39, 29, v41
	v_and_b32_e32 v38, 7, v38
	v_cmp_gt_u32_e32 vcc, 8, v18
	v_cndmask_b32_e32 v18, v40, v39, vcc
	v_cndmask_b32_e32 v37, v37, v38, vcc
	v_lshlrev_b32_e32 v20, 24, v20
	v_lshlrev_b32_e32 v37, 20, v37
	v_and_b32_e32 v20, 0x80000000, v20
	v_lshl_add_u32 v18, v18, 23, v33
	v_or3_b32 v37, v20, v18, v37
.LBB640_61:                             ;   in Loop: Header=BB640_15 Depth=1
	s_or_b64 exec, exec, s[10:11]
.LBB640_62:                             ;   in Loop: Header=BB640_15 Depth=1
	s_or_b64 exec, exec, s[6:7]
.LBB640_63:                             ;   in Loop: Header=BB640_15 Depth=1
	s_or_b64 exec, exec, s[4:5]
	v_cvt_pkrtz_f16_f32 v18, v19, v23
	v_cvt_pkrtz_f16_f32 v19, v21, v35
	;; [unrolled: 1-line block ×4, first 2 shown]
	s_waitcnt vmcnt(1)
	v_cmp_ne_u16_sdwa s[6:7], v28, v29 src0_sel:BYTE_0 src1_sel:DWORD
	v_mfma_f32_16x16x16f16 v[18:21], v[18:19], v[2:3], 0
	v_mfma_f32_16x16x16f16 v[18:21], v[34:35], v[4:5], v[18:21]
	s_and_saveexec_b64 s[4:5], s[6:7]
	s_cbranch_execz .LBB640_69
; %bb.64:                               ;   in Loop: Header=BB640_15 Depth=1
	v_cmp_ne_u16_sdwa s[10:11], v28, s13 src0_sel:BYTE_0 src1_sel:DWORD
	v_bfrev_b32_e32 v32, 1
	s_and_saveexec_b64 s[6:7], s[10:11]
	s_cbranch_execz .LBB640_68
; %bb.65:                               ;   in Loop: Header=BB640_15 Depth=1
	v_and_b32_e32 v23, 0x7f, v28
	v_cmp_ne_u32_e32 vcc, s14, v23
	v_mov_b32_e32 v32, 0x7f800001
	s_and_saveexec_b64 s[10:11], vcc
	s_cbranch_execz .LBB640_67
; %bb.66:                               ;   in Loop: Header=BB640_15 Depth=1
	v_and_b32_e32 v30, 7, v28
	v_ffbh_u32_e32 v34, v30
	v_min_u32_e32 v36, 32, v34
	v_subrev_u32_e32 v34, 28, v36
	v_lshlrev_b64 v[34:35], v34, v[28:29]
	v_lshrrev_b32_e32 v32, 3, v23
	v_sub_u32_e32 v35, 29, v36
	v_and_b32_e32 v34, 7, v34
	v_cmp_gt_u32_e32 vcc, 8, v23
	v_cndmask_b32_e32 v23, v32, v35, vcc
	v_cndmask_b32_e32 v30, v30, v34, vcc
	v_lshlrev_b32_e32 v32, 24, v28
	v_lshlrev_b32_e32 v30, 20, v30
	v_and_b32_e32 v32, 0x80000000, v32
	v_lshl_add_u32 v23, v23, 23, v33
	v_or3_b32 v32, v32, v23, v30
.LBB640_67:                             ;   in Loop: Header=BB640_15 Depth=1
	s_or_b64 exec, exec, s[10:11]
.LBB640_68:                             ;   in Loop: Header=BB640_15 Depth=1
	s_or_b64 exec, exec, s[6:7]
.LBB640_69:                             ;   in Loop: Header=BB640_15 Depth=1
	s_or_b64 exec, exec, s[4:5]
	v_lshrrev_b16_e32 v30, 8, v28
	v_cmp_ne_u16_e32 vcc, 0, v30
	v_mov_b32_e32 v34, 0
	v_mov_b32_e32 v35, 0
	s_and_saveexec_b64 s[4:5], vcc
	s_cbranch_execz .LBB640_75
; %bb.70:                               ;   in Loop: Header=BB640_15 Depth=1
	v_cmp_ne_u16_e32 vcc, s13, v30
	v_bfrev_b32_e32 v35, 1
	s_and_saveexec_b64 s[6:7], vcc
	s_cbranch_execz .LBB640_74
; %bb.71:                               ;   in Loop: Header=BB640_15 Depth=1
	v_and_b32_e32 v23, 0x7f, v30
	v_cmp_ne_u32_e32 vcc, s14, v23
	v_mov_b32_e32 v35, 0x7f800001
	s_and_saveexec_b64 s[10:11], vcc
	s_cbranch_execz .LBB640_73
; %bb.72:                               ;   in Loop: Header=BB640_15 Depth=1
	v_and_b32_e32 v35, 7, v30
	v_ffbh_u32_e32 v36, v35
	v_min_u32_e32 v39, 32, v36
	v_subrev_u32_e32 v36, 28, v39
	v_lshlrev_b64 v[36:37], v36, v[30:31]
	v_lshrrev_b32_e32 v38, 3, v23
	v_sub_u32_e32 v30, 29, v39
	v_and_b32_e32 v36, 7, v36
	v_cmp_gt_u32_e32 vcc, 8, v23
	v_cndmask_b32_e32 v23, v38, v30, vcc
	v_cndmask_b32_e32 v30, v35, v36, vcc
	v_lshlrev_b32_e32 v35, 16, v28
	v_lshlrev_b32_e32 v30, 20, v30
	v_and_b32_e32 v35, 0x80000000, v35
	v_lshl_add_u32 v23, v23, 23, v33
	v_or3_b32 v35, v35, v23, v30
.LBB640_73:                             ;   in Loop: Header=BB640_15 Depth=1
	s_or_b64 exec, exec, s[10:11]
.LBB640_74:                             ;   in Loop: Header=BB640_15 Depth=1
	s_or_b64 exec, exec, s[6:7]
.LBB640_75:                             ;   in Loop: Header=BB640_15 Depth=1
	s_or_b64 exec, exec, s[4:5]
	v_lshrrev_b32_e32 v30, 16, v28
	v_cmp_ne_u16_sdwa s[6:7], v30, v29 src0_sel:BYTE_0 src1_sel:DWORD
	s_and_saveexec_b64 s[4:5], s[6:7]
	s_cbranch_execz .LBB640_81
; %bb.76:                               ;   in Loop: Header=BB640_15 Depth=1
	v_cmp_ne_u16_sdwa s[10:11], v30, s13 src0_sel:BYTE_0 src1_sel:DWORD
	v_bfrev_b32_e32 v34, 1
	s_and_saveexec_b64 s[6:7], s[10:11]
	s_cbranch_execz .LBB640_80
; %bb.77:                               ;   in Loop: Header=BB640_15 Depth=1
	v_bfe_u32 v23, v28, 16, 7
	v_cmp_ne_u32_e32 vcc, s14, v23
	v_mov_b32_e32 v34, 0x7f800001
	s_and_saveexec_b64 s[10:11], vcc
	s_cbranch_execz .LBB640_79
; %bb.78:                               ;   in Loop: Header=BB640_15 Depth=1
	v_and_b32_e32 v34, 7, v30
	v_ffbh_u32_e32 v36, v34
	v_min_u32_e32 v39, 32, v36
	v_subrev_u32_e32 v36, 28, v39
	v_lshlrev_b64 v[36:37], v36, v[30:31]
	v_lshrrev_b32_e32 v38, 3, v23
	v_sub_u32_e32 v37, 29, v39
	v_and_b32_e32 v36, 7, v36
	v_cmp_gt_u32_e32 vcc, 8, v23
	v_cndmask_b32_e32 v23, v38, v37, vcc
	v_cndmask_b32_e32 v34, v34, v36, vcc
	v_lshlrev_b32_e32 v30, 24, v30
	v_lshlrev_b32_e32 v34, 20, v34
	v_and_b32_e32 v30, 0x80000000, v30
	v_lshl_add_u32 v23, v23, 23, v33
	v_or3_b32 v34, v30, v23, v34
.LBB640_79:                             ;   in Loop: Header=BB640_15 Depth=1
	s_or_b64 exec, exec, s[10:11]
.LBB640_80:                             ;   in Loop: Header=BB640_15 Depth=1
	s_or_b64 exec, exec, s[6:7]
.LBB640_81:                             ;   in Loop: Header=BB640_15 Depth=1
	s_or_b64 exec, exec, s[4:5]
	v_cmp_lt_u32_e32 vcc, s15, v28
	v_mov_b32_e32 v36, 0
	v_mov_b32_e32 v37, 0
	s_and_saveexec_b64 s[4:5], vcc
	s_cbranch_execz .LBB640_87
; %bb.82:                               ;   in Loop: Header=BB640_15 Depth=1
	v_lshrrev_b32_e32 v30, 24, v28
	v_cmp_ne_u32_e32 vcc, s13, v30
	v_bfrev_b32_e32 v37, 1
	s_and_saveexec_b64 s[6:7], vcc
	s_cbranch_execz .LBB640_86
; %bb.83:                               ;   in Loop: Header=BB640_15 Depth=1
	v_bfe_u32 v23, v28, 24, 7
	v_cmp_ne_u32_e32 vcc, s14, v23
	v_mov_b32_e32 v37, 0x7f800001
	s_and_saveexec_b64 s[10:11], vcc
	s_cbranch_execz .LBB640_85
; %bb.84:                               ;   in Loop: Header=BB640_15 Depth=1
	v_and_b32_e32 v28, 7, v30
	v_ffbh_u32_e32 v38, v28
	v_min_u32_e32 v40, 32, v38
	v_subrev_u32_e32 v38, 28, v40
	v_lshlrev_b64 v[38:39], v38, v[30:31]
	v_lshrrev_b32_e32 v37, 3, v23
	v_sub_u32_e32 v39, 29, v40
	v_and_b32_e32 v38, 7, v38
	v_cmp_gt_u32_e32 vcc, 8, v23
	v_cndmask_b32_e32 v23, v37, v39, vcc
	v_cndmask_b32_e32 v28, v28, v38, vcc
	v_lshlrev_b32_e32 v30, 24, v30
	v_lshlrev_b32_e32 v28, 20, v28
	v_and_b32_e32 v30, 0x80000000, v30
	v_lshl_add_u32 v23, v23, 23, v33
	v_or3_b32 v37, v30, v23, v28
.LBB640_85:                             ;   in Loop: Header=BB640_15 Depth=1
	s_or_b64 exec, exec, s[10:11]
.LBB640_86:                             ;   in Loop: Header=BB640_15 Depth=1
	s_or_b64 exec, exec, s[6:7]
.LBB640_87:                             ;   in Loop: Header=BB640_15 Depth=1
	s_or_b64 exec, exec, s[4:5]
	s_waitcnt vmcnt(0)
	v_cmp_ne_u16_sdwa s[6:7], v26, v29 src0_sel:BYTE_0 src1_sel:DWORD
	s_and_saveexec_b64 s[4:5], s[6:7]
	s_cbranch_execz .LBB640_93
; %bb.88:                               ;   in Loop: Header=BB640_15 Depth=1
	v_cmp_ne_u16_sdwa s[10:11], v26, s13 src0_sel:BYTE_0 src1_sel:DWORD
	v_bfrev_b32_e32 v36, 1
	s_and_saveexec_b64 s[6:7], s[10:11]
	s_cbranch_execz .LBB640_92
; %bb.89:                               ;   in Loop: Header=BB640_15 Depth=1
	v_and_b32_e32 v23, 0x7f, v26
	v_cmp_ne_u32_e32 vcc, s14, v23
	v_mov_b32_e32 v36, 0x7f800001
	s_and_saveexec_b64 s[10:11], vcc
	s_cbranch_execz .LBB640_91
; %bb.90:                               ;   in Loop: Header=BB640_15 Depth=1
	v_and_b32_e32 v28, 7, v26
	v_ffbh_u32_e32 v36, v28
	v_min_u32_e32 v36, 32, v36
	v_subrev_u32_e32 v38, 28, v36
	v_lshlrev_b64 v[38:39], v38, v[26:27]
	v_lshrrev_b32_e32 v30, 3, v23
	v_sub_u32_e32 v36, 29, v36
	v_and_b32_e32 v38, 7, v38
	v_cmp_gt_u32_e32 vcc, 8, v23
	v_cndmask_b32_e32 v23, v30, v36, vcc
	v_cndmask_b32_e32 v28, v28, v38, vcc
	v_lshlrev_b32_e32 v30, 24, v26
	v_lshlrev_b32_e32 v28, 20, v28
	v_and_b32_e32 v30, 0x80000000, v30
	v_lshl_add_u32 v23, v23, 23, v33
	v_or3_b32 v36, v30, v23, v28
.LBB640_91:                             ;   in Loop: Header=BB640_15 Depth=1
	s_or_b64 exec, exec, s[10:11]
.LBB640_92:                             ;   in Loop: Header=BB640_15 Depth=1
	s_or_b64 exec, exec, s[6:7]
.LBB640_93:                             ;   in Loop: Header=BB640_15 Depth=1
	s_or_b64 exec, exec, s[4:5]
	v_lshrrev_b16_e32 v28, 8, v26
	v_cmp_ne_u16_e32 vcc, 0, v28
	v_mov_b32_e32 v38, 0
	v_mov_b32_e32 v39, 0
	s_and_saveexec_b64 s[4:5], vcc
	s_cbranch_execz .LBB640_99
; %bb.94:                               ;   in Loop: Header=BB640_15 Depth=1
	v_cmp_ne_u16_e32 vcc, s13, v28
	v_bfrev_b32_e32 v39, 1
	s_and_saveexec_b64 s[6:7], vcc
	s_cbranch_execz .LBB640_98
; %bb.95:                               ;   in Loop: Header=BB640_15 Depth=1
	v_and_b32_e32 v23, 0x7f, v28
	v_cmp_ne_u32_e32 vcc, s14, v23
	v_mov_b32_e32 v39, 0x7f800001
	s_and_saveexec_b64 s[10:11], vcc
	s_cbranch_execz .LBB640_97
; %bb.96:                               ;   in Loop: Header=BB640_15 Depth=1
	v_and_b32_e32 v30, 7, v28
	v_ffbh_u32_e32 v40, v30
	v_min_u32_e32 v42, 32, v40
	v_subrev_u32_e32 v40, 28, v42
	v_lshlrev_b64 v[40:41], v40, v[28:29]
	v_lshrrev_b32_e32 v39, 3, v23
	v_sub_u32_e32 v28, 29, v42
	v_and_b32_e32 v40, 7, v40
	v_cmp_gt_u32_e32 vcc, 8, v23
	v_cndmask_b32_e32 v23, v39, v28, vcc
	v_cndmask_b32_e32 v28, v30, v40, vcc
	v_lshlrev_b32_e32 v30, 16, v26
	v_lshlrev_b32_e32 v28, 20, v28
	v_and_b32_e32 v30, 0x80000000, v30
	v_lshl_add_u32 v23, v23, 23, v33
	v_or3_b32 v39, v30, v23, v28
.LBB640_97:                             ;   in Loop: Header=BB640_15 Depth=1
	s_or_b64 exec, exec, s[10:11]
.LBB640_98:                             ;   in Loop: Header=BB640_15 Depth=1
	s_or_b64 exec, exec, s[6:7]
.LBB640_99:                             ;   in Loop: Header=BB640_15 Depth=1
	s_or_b64 exec, exec, s[4:5]
	v_lshrrev_b32_e32 v28, 16, v26
	v_cmp_ne_u16_sdwa s[6:7], v28, v29 src0_sel:BYTE_0 src1_sel:DWORD
	s_and_saveexec_b64 s[4:5], s[6:7]
	s_cbranch_execz .LBB640_105
; %bb.100:                              ;   in Loop: Header=BB640_15 Depth=1
	v_cmp_ne_u16_sdwa s[10:11], v28, s13 src0_sel:BYTE_0 src1_sel:DWORD
	v_bfrev_b32_e32 v38, 1
	s_and_saveexec_b64 s[6:7], s[10:11]
	s_cbranch_execz .LBB640_104
; %bb.101:                              ;   in Loop: Header=BB640_15 Depth=1
	v_bfe_u32 v23, v26, 16, 7
	v_cmp_ne_u32_e32 vcc, s14, v23
	v_mov_b32_e32 v38, 0x7f800001
	s_and_saveexec_b64 s[10:11], vcc
	s_cbranch_execz .LBB640_103
; %bb.102:                              ;   in Loop: Header=BB640_15 Depth=1
	v_and_b32_e32 v30, 7, v28
	v_ffbh_u32_e32 v40, v30
	v_min_u32_e32 v42, 32, v40
	v_subrev_u32_e32 v40, 28, v42
	v_lshlrev_b64 v[40:41], v40, v[28:29]
	v_lshrrev_b32_e32 v38, 3, v23
	v_sub_u32_e32 v41, 29, v42
	v_and_b32_e32 v40, 7, v40
	v_cmp_gt_u32_e32 vcc, 8, v23
	v_cndmask_b32_e32 v23, v38, v41, vcc
	v_cndmask_b32_e32 v30, v30, v40, vcc
	v_lshlrev_b32_e32 v28, 24, v28
	v_lshlrev_b32_e32 v30, 20, v30
	v_and_b32_e32 v28, 0x80000000, v28
	v_lshl_add_u32 v23, v23, 23, v33
	v_or3_b32 v38, v28, v23, v30
.LBB640_103:                            ;   in Loop: Header=BB640_15 Depth=1
	s_or_b64 exec, exec, s[10:11]
.LBB640_104:                            ;   in Loop: Header=BB640_15 Depth=1
	s_or_b64 exec, exec, s[6:7]
.LBB640_105:                            ;   in Loop: Header=BB640_15 Depth=1
	s_or_b64 exec, exec, s[4:5]
	v_cmp_lt_u32_e32 vcc, s15, v26
	v_mov_b32_e32 v23, 0
	v_mov_b32_e32 v40, 0
	s_and_saveexec_b64 s[4:5], vcc
	s_cbranch_execz .LBB640_111
; %bb.106:                              ;   in Loop: Header=BB640_15 Depth=1
	v_lshrrev_b32_e32 v28, 24, v26
	v_cmp_ne_u32_e32 vcc, s13, v28
	v_bfrev_b32_e32 v40, 1
	s_and_saveexec_b64 s[6:7], vcc
	s_cbranch_execz .LBB640_110
; %bb.107:                              ;   in Loop: Header=BB640_15 Depth=1
	v_bfe_u32 v26, v26, 24, 7
	v_cmp_ne_u32_e32 vcc, s14, v26
	v_mov_b32_e32 v40, 0x7f800001
	s_and_saveexec_b64 s[10:11], vcc
	s_cbranch_execz .LBB640_109
; %bb.108:                              ;   in Loop: Header=BB640_15 Depth=1
	v_and_b32_e32 v30, 7, v28
	v_ffbh_u32_e32 v40, v30
	v_min_u32_e32 v43, 32, v40
	v_subrev_u32_e32 v40, 28, v43
	v_lshlrev_b64 v[40:41], v40, v[28:29]
	v_lshrrev_b32_e32 v42, 3, v26
	v_sub_u32_e32 v41, 29, v43
	v_and_b32_e32 v40, 7, v40
	v_cmp_gt_u32_e32 vcc, 8, v26
	v_cndmask_b32_e32 v26, v42, v41, vcc
	v_cndmask_b32_e32 v30, v30, v40, vcc
	v_lshlrev_b32_e32 v28, 24, v28
	v_lshlrev_b32_e32 v30, 20, v30
	v_and_b32_e32 v28, 0x80000000, v28
	v_lshl_add_u32 v26, v26, 23, v33
	v_or3_b32 v40, v28, v26, v30
.LBB640_109:                            ;   in Loop: Header=BB640_15 Depth=1
	s_or_b64 exec, exec, s[10:11]
.LBB640_110:                            ;   in Loop: Header=BB640_15 Depth=1
	s_or_b64 exec, exec, s[6:7]
.LBB640_111:                            ;   in Loop: Header=BB640_15 Depth=1
	s_or_b64 exec, exec, s[4:5]
	v_cvt_pkrtz_f16_f32 v42, v32, v35
	buffer_load_dword v32, v27, s[0:3], 0 offen offset:16
	buffer_load_dword v30, v27, s[0:3], 0 offen offset:20
	;; [unrolled: 1-line block ×4, first 2 shown]
	v_cvt_pkrtz_f16_f32 v43, v34, v37
	v_cvt_pkrtz_f16_f32 v34, v36, v39
	;; [unrolled: 1-line block ×3, first 2 shown]
	v_mfma_f32_16x16x16f16 v[18:21], v[42:43], v[6:7], v[18:21]
	s_waitcnt vmcnt(3)
	v_cmp_ne_u16_sdwa s[6:7], v32, v29 src0_sel:BYTE_0 src1_sel:DWORD
	v_mfma_f32_16x16x16f16 v[18:21], v[34:35], v[8:9], v[18:21]
	s_and_saveexec_b64 s[4:5], s[6:7]
	s_cbranch_execz .LBB640_117
; %bb.112:                              ;   in Loop: Header=BB640_15 Depth=1
	v_cmp_ne_u16_sdwa s[10:11], v32, s13 src0_sel:BYTE_0 src1_sel:DWORD
	v_bfrev_b32_e32 v23, 1
	s_and_saveexec_b64 s[6:7], s[10:11]
	s_cbranch_execz .LBB640_116
; %bb.113:                              ;   in Loop: Header=BB640_15 Depth=1
	v_and_b32_e32 v34, 0x7f, v32
	v_cmp_ne_u32_e32 vcc, s14, v34
	v_mov_b32_e32 v23, 0x7f800001
	s_and_saveexec_b64 s[10:11], vcc
	s_cbranch_execz .LBB640_115
; %bb.114:                              ;   in Loop: Header=BB640_15 Depth=1
	v_and_b32_e32 v23, 7, v32
	v_ffbh_u32_e32 v36, v23
	v_min_u32_e32 v38, 32, v36
	v_subrev_u32_e32 v36, 28, v38
	v_lshlrev_b64 v[36:37], v36, v[32:33]
	v_lshrrev_b32_e32 v35, 3, v34
	v_sub_u32_e32 v37, 29, v38
	v_and_b32_e32 v36, 7, v36
	v_cmp_gt_u32_e32 vcc, 8, v34
	v_cndmask_b32_e32 v34, v35, v37, vcc
	v_cndmask_b32_e32 v23, v23, v36, vcc
	v_lshlrev_b32_e32 v35, 24, v32
	v_lshlrev_b32_e32 v23, 20, v23
	v_and_b32_e32 v35, 0x80000000, v35
	v_lshl_add_u32 v34, v34, 23, v33
	v_or3_b32 v23, v35, v34, v23
.LBB640_115:                            ;   in Loop: Header=BB640_15 Depth=1
	s_or_b64 exec, exec, s[10:11]
.LBB640_116:                            ;   in Loop: Header=BB640_15 Depth=1
	s_or_b64 exec, exec, s[6:7]
.LBB640_117:                            ;   in Loop: Header=BB640_15 Depth=1
	s_or_b64 exec, exec, s[4:5]
	v_lshrrev_b16_e32 v34, 8, v32
	v_cmp_ne_u16_e32 vcc, 0, v34
	v_mov_b32_e32 v35, 0
	v_mov_b32_e32 v36, 0
	s_and_saveexec_b64 s[4:5], vcc
	s_cbranch_execz .LBB640_123
; %bb.118:                              ;   in Loop: Header=BB640_15 Depth=1
	v_cmp_ne_u16_e32 vcc, s13, v34
	v_bfrev_b32_e32 v36, 1
	s_and_saveexec_b64 s[6:7], vcc
	s_cbranch_execz .LBB640_122
; %bb.119:                              ;   in Loop: Header=BB640_15 Depth=1
	v_and_b32_e32 v37, 0x7f, v34
	v_cmp_ne_u32_e32 vcc, s14, v37
	v_mov_b32_e32 v36, 0x7f800001
	s_and_saveexec_b64 s[10:11], vcc
	s_cbranch_execz .LBB640_121
; %bb.120:                              ;   in Loop: Header=BB640_15 Depth=1
	v_and_b32_e32 v36, 7, v34
	v_ffbh_u32_e32 v38, v36
	v_min_u32_e32 v41, 32, v38
	v_subrev_u32_e32 v38, 28, v41
	v_lshlrev_b64 v[38:39], v38, v[34:35]
	v_lshrrev_b32_e32 v40, 3, v37
	v_sub_u32_e32 v34, 29, v41
	v_and_b32_e32 v38, 7, v38
	v_cmp_gt_u32_e32 vcc, 8, v37
	v_cndmask_b32_e32 v34, v40, v34, vcc
	v_cndmask_b32_e32 v36, v36, v38, vcc
	v_lshlrev_b32_e32 v37, 16, v32
	v_lshlrev_b32_e32 v36, 20, v36
	v_and_b32_e32 v37, 0x80000000, v37
	v_lshl_add_u32 v34, v34, 23, v33
	v_or3_b32 v36, v37, v34, v36
.LBB640_121:                            ;   in Loop: Header=BB640_15 Depth=1
	s_or_b64 exec, exec, s[10:11]
.LBB640_122:                            ;   in Loop: Header=BB640_15 Depth=1
	s_or_b64 exec, exec, s[6:7]
.LBB640_123:                            ;   in Loop: Header=BB640_15 Depth=1
	s_or_b64 exec, exec, s[4:5]
	v_lshrrev_b32_e32 v34, 16, v32
	v_cmp_ne_u16_sdwa s[6:7], v34, v29 src0_sel:BYTE_0 src1_sel:DWORD
	s_and_saveexec_b64 s[4:5], s[6:7]
	s_cbranch_execz .LBB640_129
; %bb.124:                              ;   in Loop: Header=BB640_15 Depth=1
	v_cmp_ne_u16_sdwa s[10:11], v34, s13 src0_sel:BYTE_0 src1_sel:DWORD
	v_bfrev_b32_e32 v35, 1
	s_and_saveexec_b64 s[6:7], s[10:11]
	s_cbranch_execz .LBB640_128
; %bb.125:                              ;   in Loop: Header=BB640_15 Depth=1
	v_bfe_u32 v37, v32, 16, 7
	v_cmp_ne_u32_e32 vcc, s14, v37
	v_mov_b32_e32 v35, 0x7f800001
	s_and_saveexec_b64 s[10:11], vcc
	s_cbranch_execz .LBB640_127
; %bb.126:                              ;   in Loop: Header=BB640_15 Depth=1
	v_and_b32_e32 v35, 7, v34
	v_ffbh_u32_e32 v38, v35
	v_min_u32_e32 v41, 32, v38
	v_subrev_u32_e32 v38, 28, v41
	v_lshlrev_b64 v[38:39], v38, v[34:35]
	v_lshrrev_b32_e32 v40, 3, v37
	v_sub_u32_e32 v39, 29, v41
	v_and_b32_e32 v38, 7, v38
	v_cmp_gt_u32_e32 vcc, 8, v37
	v_cndmask_b32_e32 v37, v40, v39, vcc
	v_cndmask_b32_e32 v35, v35, v38, vcc
	v_lshlrev_b32_e32 v34, 24, v34
	v_lshlrev_b32_e32 v35, 20, v35
	v_and_b32_e32 v34, 0x80000000, v34
	v_lshl_add_u32 v37, v37, 23, v33
	v_or3_b32 v35, v34, v37, v35
.LBB640_127:                            ;   in Loop: Header=BB640_15 Depth=1
	s_or_b64 exec, exec, s[10:11]
.LBB640_128:                            ;   in Loop: Header=BB640_15 Depth=1
	s_or_b64 exec, exec, s[6:7]
.LBB640_129:                            ;   in Loop: Header=BB640_15 Depth=1
	s_or_b64 exec, exec, s[4:5]
	v_cmp_lt_u32_e32 vcc, s15, v32
	v_mov_b32_e32 v37, 0
	v_mov_b32_e32 v38, 0
	s_and_saveexec_b64 s[4:5], vcc
	s_cbranch_execz .LBB640_135
; %bb.130:                              ;   in Loop: Header=BB640_15 Depth=1
	v_lshrrev_b32_e32 v34, 24, v32
	v_cmp_ne_u32_e32 vcc, s13, v34
	v_bfrev_b32_e32 v38, 1
	s_and_saveexec_b64 s[6:7], vcc
	s_cbranch_execz .LBB640_134
; %bb.131:                              ;   in Loop: Header=BB640_15 Depth=1
	v_bfe_u32 v32, v32, 24, 7
	v_cmp_ne_u32_e32 vcc, s14, v32
	v_mov_b32_e32 v38, 0x7f800001
	s_and_saveexec_b64 s[10:11], vcc
	s_cbranch_execz .LBB640_133
; %bb.132:                              ;   in Loop: Header=BB640_15 Depth=1
	v_and_b32_e32 v40, 7, v34
	v_ffbh_u32_e32 v38, v40
	v_min_u32_e32 v42, 32, v38
	v_subrev_u32_e32 v38, 28, v42
	v_lshlrev_b64 v[38:39], v38, v[34:35]
	v_lshrrev_b32_e32 v41, 3, v32
	v_sub_u32_e32 v39, 29, v42
	v_and_b32_e32 v38, 7, v38
	v_cmp_gt_u32_e32 vcc, 8, v32
	v_cndmask_b32_e32 v32, v41, v39, vcc
	v_cndmask_b32_e32 v38, v40, v38, vcc
	v_lshlrev_b32_e32 v34, 24, v34
	v_lshlrev_b32_e32 v38, 20, v38
	v_and_b32_e32 v34, 0x80000000, v34
	v_lshl_add_u32 v32, v32, 23, v33
	v_or3_b32 v38, v34, v32, v38
.LBB640_133:                            ;   in Loop: Header=BB640_15 Depth=1
	s_or_b64 exec, exec, s[10:11]
.LBB640_134:                            ;   in Loop: Header=BB640_15 Depth=1
	s_or_b64 exec, exec, s[6:7]
.LBB640_135:                            ;   in Loop: Header=BB640_15 Depth=1
	s_or_b64 exec, exec, s[4:5]
	s_waitcnt vmcnt(2)
	v_cmp_ne_u16_sdwa s[6:7], v30, v29 src0_sel:BYTE_0 src1_sel:DWORD
	s_and_saveexec_b64 s[4:5], s[6:7]
	s_cbranch_execz .LBB640_141
; %bb.136:                              ;   in Loop: Header=BB640_15 Depth=1
	v_cmp_ne_u16_sdwa s[10:11], v30, s13 src0_sel:BYTE_0 src1_sel:DWORD
	v_bfrev_b32_e32 v37, 1
	s_and_saveexec_b64 s[6:7], s[10:11]
	s_cbranch_execz .LBB640_140
; %bb.137:                              ;   in Loop: Header=BB640_15 Depth=1
	v_and_b32_e32 v32, 0x7f, v30
	v_cmp_ne_u32_e32 vcc, s14, v32
	v_mov_b32_e32 v37, 0x7f800001
	s_and_saveexec_b64 s[10:11], vcc
	s_cbranch_execz .LBB640_139
; %bb.138:                              ;   in Loop: Header=BB640_15 Depth=1
	v_and_b32_e32 v34, 7, v30
	v_ffbh_u32_e32 v39, v34
	v_min_u32_e32 v39, 32, v39
	v_subrev_u32_e32 v40, 28, v39
	v_lshlrev_b64 v[40:41], v40, v[30:31]
	v_lshrrev_b32_e32 v37, 3, v32
	v_sub_u32_e32 v39, 29, v39
	v_and_b32_e32 v40, 7, v40
	v_cmp_gt_u32_e32 vcc, 8, v32
	v_cndmask_b32_e32 v32, v37, v39, vcc
	v_cndmask_b32_e32 v34, v34, v40, vcc
	v_lshlrev_b32_e32 v37, 24, v30
	v_lshlrev_b32_e32 v34, 20, v34
	v_and_b32_e32 v37, 0x80000000, v37
	v_lshl_add_u32 v32, v32, 23, v33
	v_or3_b32 v37, v37, v32, v34
.LBB640_139:                            ;   in Loop: Header=BB640_15 Depth=1
	s_or_b64 exec, exec, s[10:11]
.LBB640_140:                            ;   in Loop: Header=BB640_15 Depth=1
	s_or_b64 exec, exec, s[6:7]
.LBB640_141:                            ;   in Loop: Header=BB640_15 Depth=1
	s_or_b64 exec, exec, s[4:5]
	v_lshrrev_b16_e32 v32, 8, v30
	v_cmp_ne_u16_e32 vcc, 0, v32
	v_mov_b32_e32 v39, 0
	v_mov_b32_e32 v40, 0
	s_and_saveexec_b64 s[4:5], vcc
	s_cbranch_execz .LBB640_147
; %bb.142:                              ;   in Loop: Header=BB640_15 Depth=1
	v_cmp_ne_u16_e32 vcc, s13, v32
	v_bfrev_b32_e32 v40, 1
	s_and_saveexec_b64 s[6:7], vcc
	s_cbranch_execz .LBB640_146
; %bb.143:                              ;   in Loop: Header=BB640_15 Depth=1
	v_and_b32_e32 v34, 0x7f, v32
	v_cmp_ne_u32_e32 vcc, s14, v34
	v_mov_b32_e32 v40, 0x7f800001
	s_and_saveexec_b64 s[10:11], vcc
	s_cbranch_execz .LBB640_145
; %bb.144:                              ;   in Loop: Header=BB640_15 Depth=1
	v_and_b32_e32 v42, 7, v32
	v_ffbh_u32_e32 v40, v42
	v_min_u32_e32 v44, 32, v40
	v_subrev_u32_e32 v40, 28, v44
	v_lshlrev_b64 v[40:41], v40, v[32:33]
	v_lshrrev_b32_e32 v43, 3, v34
	v_sub_u32_e32 v32, 29, v44
	v_and_b32_e32 v40, 7, v40
	v_cmp_gt_u32_e32 vcc, 8, v34
	v_cndmask_b32_e32 v32, v43, v32, vcc
	v_cndmask_b32_e32 v34, v42, v40, vcc
	v_lshlrev_b32_e32 v40, 16, v30
	v_lshlrev_b32_e32 v34, 20, v34
	v_and_b32_e32 v40, 0x80000000, v40
	v_lshl_add_u32 v32, v32, 23, v33
	v_or3_b32 v40, v40, v32, v34
.LBB640_145:                            ;   in Loop: Header=BB640_15 Depth=1
	s_or_b64 exec, exec, s[10:11]
.LBB640_146:                            ;   in Loop: Header=BB640_15 Depth=1
	s_or_b64 exec, exec, s[6:7]
.LBB640_147:                            ;   in Loop: Header=BB640_15 Depth=1
	s_or_b64 exec, exec, s[4:5]
	v_lshrrev_b32_e32 v32, 16, v30
	v_cmp_ne_u16_sdwa s[6:7], v32, v29 src0_sel:BYTE_0 src1_sel:DWORD
	s_and_saveexec_b64 s[4:5], s[6:7]
	s_cbranch_execz .LBB640_153
; %bb.148:                              ;   in Loop: Header=BB640_15 Depth=1
	v_cmp_ne_u16_sdwa s[10:11], v32, s13 src0_sel:BYTE_0 src1_sel:DWORD
	v_bfrev_b32_e32 v39, 1
	s_and_saveexec_b64 s[6:7], s[10:11]
	s_cbranch_execz .LBB640_152
; %bb.149:                              ;   in Loop: Header=BB640_15 Depth=1
	v_bfe_u32 v34, v30, 16, 7
	v_cmp_ne_u32_e32 vcc, s14, v34
	v_mov_b32_e32 v39, 0x7f800001
	s_and_saveexec_b64 s[10:11], vcc
	s_cbranch_execz .LBB640_151
; %bb.150:                              ;   in Loop: Header=BB640_15 Depth=1
	v_and_b32_e32 v39, 7, v32
	v_ffbh_u32_e32 v42, v39
	v_min_u32_e32 v44, 32, v42
	v_subrev_u32_e32 v42, 28, v44
	v_lshlrev_b64 v[42:43], v42, v[32:33]
	v_lshrrev_b32_e32 v41, 3, v34
	v_sub_u32_e32 v43, 29, v44
	v_and_b32_e32 v42, 7, v42
	v_cmp_gt_u32_e32 vcc, 8, v34
	v_cndmask_b32_e32 v34, v41, v43, vcc
	v_cndmask_b32_e32 v39, v39, v42, vcc
	v_lshlrev_b32_e32 v32, 24, v32
	v_lshlrev_b32_e32 v39, 20, v39
	v_and_b32_e32 v32, 0x80000000, v32
	v_lshl_add_u32 v34, v34, 23, v33
	v_or3_b32 v39, v32, v34, v39
.LBB640_151:                            ;   in Loop: Header=BB640_15 Depth=1
	s_or_b64 exec, exec, s[10:11]
.LBB640_152:                            ;   in Loop: Header=BB640_15 Depth=1
	s_or_b64 exec, exec, s[6:7]
.LBB640_153:                            ;   in Loop: Header=BB640_15 Depth=1
	s_or_b64 exec, exec, s[4:5]
	v_cmp_lt_u32_e32 vcc, s15, v30
	v_mov_b32_e32 v34, 0
	v_mov_b32_e32 v41, 0
	s_and_saveexec_b64 s[4:5], vcc
	s_cbranch_execz .LBB640_159
; %bb.154:                              ;   in Loop: Header=BB640_15 Depth=1
	v_lshrrev_b32_e32 v32, 24, v30
	v_cmp_ne_u32_e32 vcc, s13, v32
	v_bfrev_b32_e32 v41, 1
	s_and_saveexec_b64 s[6:7], vcc
	s_cbranch_execz .LBB640_158
; %bb.155:                              ;   in Loop: Header=BB640_15 Depth=1
	v_bfe_u32 v30, v30, 24, 7
	v_cmp_ne_u32_e32 vcc, s14, v30
	v_mov_b32_e32 v41, 0x7f800001
	s_and_saveexec_b64 s[10:11], vcc
	s_cbranch_execz .LBB640_157
; %bb.156:                              ;   in Loop: Header=BB640_15 Depth=1
	v_and_b32_e32 v41, 7, v32
	v_ffbh_u32_e32 v42, v41
	v_min_u32_e32 v45, 32, v42
	v_subrev_u32_e32 v42, 28, v45
	v_lshlrev_b64 v[42:43], v42, v[32:33]
	v_lshrrev_b32_e32 v44, 3, v30
	v_sub_u32_e32 v43, 29, v45
	v_and_b32_e32 v42, 7, v42
	v_cmp_gt_u32_e32 vcc, 8, v30
	v_cndmask_b32_e32 v30, v44, v43, vcc
	v_cndmask_b32_e32 v41, v41, v42, vcc
	v_lshlrev_b32_e32 v32, 24, v32
	v_lshlrev_b32_e32 v41, 20, v41
	v_and_b32_e32 v32, 0x80000000, v32
	v_lshl_add_u32 v30, v30, 23, v33
	v_or3_b32 v41, v32, v30, v41
.LBB640_157:                            ;   in Loop: Header=BB640_15 Depth=1
	s_or_b64 exec, exec, s[10:11]
.LBB640_158:                            ;   in Loop: Header=BB640_15 Depth=1
	s_or_b64 exec, exec, s[6:7]
.LBB640_159:                            ;   in Loop: Header=BB640_15 Depth=1
	s_or_b64 exec, exec, s[4:5]
	v_cvt_pkrtz_f16_f32 v42, v23, v36
	v_cvt_pkrtz_f16_f32 v43, v35, v38
	v_cvt_pkrtz_f16_f32 v36, v37, v40
	v_cvt_pkrtz_f16_f32 v37, v39, v41
	s_waitcnt vmcnt(1)
	v_cmp_ne_u16_sdwa s[6:7], v28, v29 src0_sel:BYTE_0 src1_sel:DWORD
	v_mfma_f32_16x16x16f16 v[18:21], v[42:43], v[10:11], v[18:21]
	v_mfma_f32_16x16x16f16 v[18:21], v[36:37], v[12:13], v[18:21]
	s_and_saveexec_b64 s[4:5], s[6:7]
	s_cbranch_execz .LBB640_165
; %bb.160:                              ;   in Loop: Header=BB640_15 Depth=1
	v_cmp_ne_u16_sdwa s[10:11], v28, s13 src0_sel:BYTE_0 src1_sel:DWORD
	v_bfrev_b32_e32 v34, 1
	s_and_saveexec_b64 s[6:7], s[10:11]
	s_cbranch_execz .LBB640_164
; %bb.161:                              ;   in Loop: Header=BB640_15 Depth=1
	v_and_b32_e32 v23, 0x7f, v28
	v_cmp_ne_u32_e32 vcc, s14, v23
	v_mov_b32_e32 v34, 0x7f800001
	s_and_saveexec_b64 s[10:11], vcc
	s_cbranch_execz .LBB640_163
; %bb.162:                              ;   in Loop: Header=BB640_15 Depth=1
	v_and_b32_e32 v30, 7, v28
	v_ffbh_u32_e32 v34, v30
	v_min_u32_e32 v36, 32, v34
	v_subrev_u32_e32 v34, 28, v36
	v_lshlrev_b64 v[34:35], v34, v[28:29]
	v_lshrrev_b32_e32 v32, 3, v23
	v_sub_u32_e32 v35, 29, v36
	v_and_b32_e32 v34, 7, v34
	v_cmp_gt_u32_e32 vcc, 8, v23
	v_cndmask_b32_e32 v23, v32, v35, vcc
	v_cndmask_b32_e32 v30, v30, v34, vcc
	v_lshlrev_b32_e32 v32, 24, v28
	v_lshlrev_b32_e32 v30, 20, v30
	v_and_b32_e32 v32, 0x80000000, v32
	v_lshl_add_u32 v23, v23, 23, v33
	v_or3_b32 v34, v32, v23, v30
.LBB640_163:                            ;   in Loop: Header=BB640_15 Depth=1
	s_or_b64 exec, exec, s[10:11]
.LBB640_164:                            ;   in Loop: Header=BB640_15 Depth=1
	s_or_b64 exec, exec, s[6:7]
.LBB640_165:                            ;   in Loop: Header=BB640_15 Depth=1
	s_or_b64 exec, exec, s[4:5]
	v_lshrrev_b16_e32 v30, 8, v28
	v_cmp_ne_u16_e32 vcc, 0, v30
	v_mov_b32_e32 v23, 0
	v_mov_b32_e32 v32, 0
	s_and_saveexec_b64 s[4:5], vcc
	s_cbranch_execz .LBB640_171
; %bb.166:                              ;   in Loop: Header=BB640_15 Depth=1
	v_cmp_ne_u16_e32 vcc, s13, v30
	v_bfrev_b32_e32 v32, 1
	s_and_saveexec_b64 s[6:7], vcc
	s_cbranch_execz .LBB640_170
; %bb.167:                              ;   in Loop: Header=BB640_15 Depth=1
	v_and_b32_e32 v35, 0x7f, v30
	v_cmp_ne_u32_e32 vcc, s14, v35
	v_mov_b32_e32 v32, 0x7f800001
	s_and_saveexec_b64 s[10:11], vcc
	s_cbranch_execz .LBB640_169
; %bb.168:                              ;   in Loop: Header=BB640_15 Depth=1
	v_and_b32_e32 v32, 7, v30
	v_ffbh_u32_e32 v36, v32
	v_min_u32_e32 v39, 32, v36
	v_subrev_u32_e32 v36, 28, v39
	v_lshlrev_b64 v[36:37], v36, v[30:31]
	v_lshrrev_b32_e32 v38, 3, v35
	v_sub_u32_e32 v30, 29, v39
	v_and_b32_e32 v36, 7, v36
	v_cmp_gt_u32_e32 vcc, 8, v35
	v_cndmask_b32_e32 v30, v38, v30, vcc
	v_cndmask_b32_e32 v32, v32, v36, vcc
	v_lshlrev_b32_e32 v35, 16, v28
	v_lshlrev_b32_e32 v32, 20, v32
	v_and_b32_e32 v35, 0x80000000, v35
	v_lshl_add_u32 v30, v30, 23, v33
	v_or3_b32 v32, v35, v30, v32
.LBB640_169:                            ;   in Loop: Header=BB640_15 Depth=1
	s_or_b64 exec, exec, s[10:11]
.LBB640_170:                            ;   in Loop: Header=BB640_15 Depth=1
	s_or_b64 exec, exec, s[6:7]
.LBB640_171:                            ;   in Loop: Header=BB640_15 Depth=1
	s_or_b64 exec, exec, s[4:5]
	v_lshrrev_b32_e32 v30, 16, v28
	v_cmp_ne_u16_sdwa s[6:7], v30, v29 src0_sel:BYTE_0 src1_sel:DWORD
	s_and_saveexec_b64 s[4:5], s[6:7]
	s_cbranch_execz .LBB640_177
; %bb.172:                              ;   in Loop: Header=BB640_15 Depth=1
	v_cmp_ne_u16_sdwa s[10:11], v30, s13 src0_sel:BYTE_0 src1_sel:DWORD
	v_bfrev_b32_e32 v23, 1
	s_and_saveexec_b64 s[6:7], s[10:11]
	s_cbranch_execz .LBB640_176
; %bb.173:                              ;   in Loop: Header=BB640_15 Depth=1
	v_bfe_u32 v35, v28, 16, 7
	v_cmp_ne_u32_e32 vcc, s14, v35
	v_mov_b32_e32 v23, 0x7f800001
	s_and_saveexec_b64 s[10:11], vcc
	s_cbranch_execz .LBB640_175
; %bb.174:                              ;   in Loop: Header=BB640_15 Depth=1
	v_and_b32_e32 v23, 7, v30
	v_ffbh_u32_e32 v36, v23
	v_min_u32_e32 v39, 32, v36
	v_subrev_u32_e32 v36, 28, v39
	v_lshlrev_b64 v[36:37], v36, v[30:31]
	v_lshrrev_b32_e32 v38, 3, v35
	v_sub_u32_e32 v37, 29, v39
	v_and_b32_e32 v36, 7, v36
	v_cmp_gt_u32_e32 vcc, 8, v35
	v_cndmask_b32_e32 v35, v38, v37, vcc
	v_cndmask_b32_e32 v23, v23, v36, vcc
	v_lshlrev_b32_e32 v30, 24, v30
	v_lshlrev_b32_e32 v23, 20, v23
	v_and_b32_e32 v30, 0x80000000, v30
	v_lshl_add_u32 v35, v35, 23, v33
	v_or3_b32 v23, v30, v35, v23
.LBB640_175:                            ;   in Loop: Header=BB640_15 Depth=1
	s_or_b64 exec, exec, s[10:11]
.LBB640_176:                            ;   in Loop: Header=BB640_15 Depth=1
	s_or_b64 exec, exec, s[6:7]
.LBB640_177:                            ;   in Loop: Header=BB640_15 Depth=1
	s_or_b64 exec, exec, s[4:5]
	v_cmp_lt_u32_e32 vcc, s15, v28
	v_mov_b32_e32 v35, 0
	v_mov_b32_e32 v36, 0
	s_and_saveexec_b64 s[4:5], vcc
	s_cbranch_execz .LBB640_183
; %bb.178:                              ;   in Loop: Header=BB640_15 Depth=1
	v_lshrrev_b32_e32 v30, 24, v28
	v_cmp_ne_u32_e32 vcc, s13, v30
	v_bfrev_b32_e32 v36, 1
	s_and_saveexec_b64 s[6:7], vcc
	s_cbranch_execz .LBB640_182
; %bb.179:                              ;   in Loop: Header=BB640_15 Depth=1
	v_bfe_u32 v28, v28, 24, 7
	v_cmp_ne_u32_e32 vcc, s14, v28
	v_mov_b32_e32 v36, 0x7f800001
	s_and_saveexec_b64 s[10:11], vcc
	s_cbranch_execz .LBB640_181
; %bb.180:                              ;   in Loop: Header=BB640_15 Depth=1
	v_and_b32_e32 v38, 7, v30
	v_ffbh_u32_e32 v36, v38
	v_min_u32_e32 v40, 32, v36
	v_subrev_u32_e32 v36, 28, v40
	v_lshlrev_b64 v[36:37], v36, v[30:31]
	v_lshrrev_b32_e32 v39, 3, v28
	v_sub_u32_e32 v37, 29, v40
	v_and_b32_e32 v36, 7, v36
	v_cmp_gt_u32_e32 vcc, 8, v28
	v_cndmask_b32_e32 v28, v39, v37, vcc
	v_cndmask_b32_e32 v36, v38, v36, vcc
	v_lshlrev_b32_e32 v30, 24, v30
	v_lshlrev_b32_e32 v36, 20, v36
	v_and_b32_e32 v30, 0x80000000, v30
	v_lshl_add_u32 v28, v28, 23, v33
	v_or3_b32 v36, v30, v28, v36
.LBB640_181:                            ;   in Loop: Header=BB640_15 Depth=1
	s_or_b64 exec, exec, s[10:11]
.LBB640_182:                            ;   in Loop: Header=BB640_15 Depth=1
	s_or_b64 exec, exec, s[6:7]
.LBB640_183:                            ;   in Loop: Header=BB640_15 Depth=1
	s_or_b64 exec, exec, s[4:5]
	s_waitcnt vmcnt(0)
	v_cmp_ne_u16_sdwa s[6:7], v26, v29 src0_sel:BYTE_0 src1_sel:DWORD
	s_and_saveexec_b64 s[4:5], s[6:7]
	s_cbranch_execz .LBB640_189
; %bb.184:                              ;   in Loop: Header=BB640_15 Depth=1
	v_cmp_ne_u16_sdwa s[10:11], v26, s13 src0_sel:BYTE_0 src1_sel:DWORD
	v_bfrev_b32_e32 v35, 1
	s_and_saveexec_b64 s[6:7], s[10:11]
	s_cbranch_execz .LBB640_188
; %bb.185:                              ;   in Loop: Header=BB640_15 Depth=1
	v_and_b32_e32 v28, 0x7f, v26
	v_cmp_ne_u32_e32 vcc, s14, v28
	v_mov_b32_e32 v35, 0x7f800001
	s_and_saveexec_b64 s[10:11], vcc
	s_cbranch_execz .LBB640_187
; %bb.186:                              ;   in Loop: Header=BB640_15 Depth=1
	v_and_b32_e32 v30, 7, v26
	v_ffbh_u32_e32 v37, v30
	v_min_u32_e32 v37, 32, v37
	v_subrev_u32_e32 v38, 28, v37
	v_lshlrev_b64 v[38:39], v38, v[26:27]
	v_lshrrev_b32_e32 v35, 3, v28
	v_sub_u32_e32 v37, 29, v37
	v_and_b32_e32 v38, 7, v38
	v_cmp_gt_u32_e32 vcc, 8, v28
	v_cndmask_b32_e32 v28, v35, v37, vcc
	v_cndmask_b32_e32 v30, v30, v38, vcc
	v_lshlrev_b32_e32 v35, 24, v26
	v_lshlrev_b32_e32 v30, 20, v30
	v_and_b32_e32 v35, 0x80000000, v35
	v_lshl_add_u32 v28, v28, 23, v33
	v_or3_b32 v35, v35, v28, v30
.LBB640_187:                            ;   in Loop: Header=BB640_15 Depth=1
	s_or_b64 exec, exec, s[10:11]
.LBB640_188:                            ;   in Loop: Header=BB640_15 Depth=1
	s_or_b64 exec, exec, s[6:7]
.LBB640_189:                            ;   in Loop: Header=BB640_15 Depth=1
	s_or_b64 exec, exec, s[4:5]
	v_lshrrev_b16_e32 v28, 8, v26
	v_cmp_ne_u16_e32 vcc, 0, v28
	v_mov_b32_e32 v30, 0
	v_mov_b32_e32 v37, 0
	s_and_saveexec_b64 s[4:5], vcc
	s_cbranch_execz .LBB640_195
; %bb.190:                              ;   in Loop: Header=BB640_15 Depth=1
	v_cmp_ne_u16_e32 vcc, s13, v28
	v_bfrev_b32_e32 v37, 1
	s_and_saveexec_b64 s[6:7], vcc
	s_cbranch_execz .LBB640_194
; %bb.191:                              ;   in Loop: Header=BB640_15 Depth=1
	v_and_b32_e32 v38, 0x7f, v28
	v_cmp_ne_u32_e32 vcc, s14, v38
	v_mov_b32_e32 v37, 0x7f800001
	s_and_saveexec_b64 s[10:11], vcc
	s_cbranch_execz .LBB640_193
; %bb.192:                              ;   in Loop: Header=BB640_15 Depth=1
	v_and_b32_e32 v37, 7, v28
	v_ffbh_u32_e32 v40, v37
	v_min_u32_e32 v42, 32, v40
	v_subrev_u32_e32 v40, 28, v42
	v_lshlrev_b64 v[40:41], v40, v[28:29]
	v_lshrrev_b32_e32 v39, 3, v38
	v_sub_u32_e32 v28, 29, v42
	v_and_b32_e32 v40, 7, v40
	v_cmp_gt_u32_e32 vcc, 8, v38
	v_cndmask_b32_e32 v28, v39, v28, vcc
	v_cndmask_b32_e32 v37, v37, v40, vcc
	v_lshlrev_b32_e32 v38, 16, v26
	v_lshlrev_b32_e32 v37, 20, v37
	v_and_b32_e32 v38, 0x80000000, v38
	v_lshl_add_u32 v28, v28, 23, v33
	v_or3_b32 v37, v38, v28, v37
.LBB640_193:                            ;   in Loop: Header=BB640_15 Depth=1
	s_or_b64 exec, exec, s[10:11]
.LBB640_194:                            ;   in Loop: Header=BB640_15 Depth=1
	s_or_b64 exec, exec, s[6:7]
.LBB640_195:                            ;   in Loop: Header=BB640_15 Depth=1
	s_or_b64 exec, exec, s[4:5]
	v_lshrrev_b32_e32 v28, 16, v26
	v_cmp_ne_u16_sdwa s[6:7], v28, v29 src0_sel:BYTE_0 src1_sel:DWORD
	s_and_saveexec_b64 s[4:5], s[6:7]
	s_cbranch_execz .LBB640_201
; %bb.196:                              ;   in Loop: Header=BB640_15 Depth=1
	v_cmp_ne_u16_sdwa s[10:11], v28, s13 src0_sel:BYTE_0 src1_sel:DWORD
	v_bfrev_b32_e32 v30, 1
	s_and_saveexec_b64 s[6:7], s[10:11]
	s_cbranch_execz .LBB640_200
; %bb.197:                              ;   in Loop: Header=BB640_15 Depth=1
	v_bfe_u32 v38, v26, 16, 7
	v_cmp_ne_u32_e32 vcc, s14, v38
	v_mov_b32_e32 v30, 0x7f800001
	s_and_saveexec_b64 s[10:11], vcc
	s_cbranch_execz .LBB640_199
; %bb.198:                              ;   in Loop: Header=BB640_15 Depth=1
	v_and_b32_e32 v30, 7, v28
	v_ffbh_u32_e32 v40, v30
	v_min_u32_e32 v42, 32, v40
	v_subrev_u32_e32 v40, 28, v42
	v_lshlrev_b64 v[40:41], v40, v[28:29]
	v_lshrrev_b32_e32 v39, 3, v38
	v_sub_u32_e32 v41, 29, v42
	v_and_b32_e32 v40, 7, v40
	v_cmp_gt_u32_e32 vcc, 8, v38
	v_cndmask_b32_e32 v38, v39, v41, vcc
	v_cndmask_b32_e32 v30, v30, v40, vcc
	v_lshlrev_b32_e32 v28, 24, v28
	v_lshlrev_b32_e32 v30, 20, v30
	v_and_b32_e32 v28, 0x80000000, v28
	v_lshl_add_u32 v38, v38, 23, v33
	v_or3_b32 v30, v28, v38, v30
.LBB640_199:                            ;   in Loop: Header=BB640_15 Depth=1
	s_or_b64 exec, exec, s[10:11]
.LBB640_200:                            ;   in Loop: Header=BB640_15 Depth=1
	s_or_b64 exec, exec, s[6:7]
.LBB640_201:                            ;   in Loop: Header=BB640_15 Depth=1
	s_or_b64 exec, exec, s[4:5]
	v_cmp_lt_u32_e32 vcc, s15, v26
	v_mov_b32_e32 v38, 0
	s_and_saveexec_b64 s[4:5], vcc
	s_cbranch_execz .LBB640_14
; %bb.202:                              ;   in Loop: Header=BB640_15 Depth=1
	v_lshrrev_b32_e32 v28, 24, v26
	v_cmp_ne_u32_e32 vcc, s13, v28
	v_bfrev_b32_e32 v38, 1
	s_and_saveexec_b64 s[6:7], vcc
	s_cbranch_execz .LBB640_13
; %bb.203:                              ;   in Loop: Header=BB640_15 Depth=1
	v_bfe_u32 v26, v26, 24, 7
	v_cmp_ne_u32_e32 vcc, s14, v26
	v_mov_b32_e32 v38, 0x7f800001
	s_and_saveexec_b64 s[10:11], vcc
	s_cbranch_execz .LBB640_12
; %bb.204:                              ;   in Loop: Header=BB640_15 Depth=1
	v_and_b32_e32 v40, 7, v28
	v_ffbh_u32_e32 v38, v40
	v_min_u32_e32 v42, 32, v38
	v_subrev_u32_e32 v38, 28, v42
	v_lshlrev_b64 v[38:39], v38, v[28:29]
	v_lshrrev_b32_e32 v41, 3, v26
	v_sub_u32_e32 v39, 29, v42
	v_and_b32_e32 v38, 7, v38
	v_cmp_gt_u32_e32 vcc, 8, v26
	v_cndmask_b32_e32 v26, v41, v39, vcc
	v_cndmask_b32_e32 v38, v40, v38, vcc
	v_lshlrev_b32_e32 v28, 24, v28
	v_lshlrev_b32_e32 v38, 20, v38
	v_and_b32_e32 v28, 0x80000000, v28
	v_lshl_add_u32 v26, v26, 23, v33
	v_or3_b32 v38, v28, v26, v38
	s_branch .LBB640_12
.LBB640_205:
	buffer_load_dword v13, off, s[0:3], 0 offset:256
	buffer_load_dword v14, off, s[0:3], 0 offset:260
	;; [unrolled: 1-line block ×16, first 2 shown]
	v_and_b32_e32 v12, 0xc0, v0
	v_add_u32_e32 v12, s20, v12
	v_lshl_or_b32 v12, v55, 2, v12
	v_or_b32_e32 v23, 1, v12
	v_mov_b32_e32 v19, 0xff7fffff
	v_or_b32_e32 v24, 2, v12
	v_or_b32_e32 v25, 3, v12
	v_cmp_gt_i32_e64 s[26:27], s33, v12
	v_cmp_gt_i32_e64 s[28:29], s33, v23
	s_mov_b32 s52, 0xff7fffff
	v_or_b32_e32 v26, 16, v12
	v_or_b32_e32 v27, 17, v12
	;; [unrolled: 1-line block ×12, first 2 shown]
	v_cmp_gt_i32_e64 s[30:31], s33, v24
	v_cmp_gt_i32_e64 s[34:35], s33, v25
	v_mbcnt_lo_u32_b32 v20, -1, 0
	v_cmp_gt_i32_e64 s[36:37], s33, v26
	v_cmp_gt_i32_e64 s[38:39], s33, v27
	v_mbcnt_hi_u32_b32 v20, -1, v20
	v_cmp_gt_i32_e64 s[20:21], s33, v28
	v_cmp_gt_i32_e64 s[22:23], s33, v29
	v_and_b32_e32 v21, 64, v20
	v_cmp_gt_i32_e64 s[16:17], s33, v30
	v_cmp_gt_i32_e64 s[18:19], s33, v31
	v_xor_b32_e32 v22, 32, v20
	v_add_u32_e32 v21, 64, v21
	v_cmp_gt_i32_e64 s[12:13], s33, v32
	v_cmp_gt_i32_e64 s[14:15], s33, v33
	v_cmp_lt_i32_e32 vcc, v22, v21
	v_cmp_gt_i32_e64 s[6:7], s33, v34
	v_cmp_gt_i32_e64 s[10:11], s33, v35
	v_cndmask_b32_e32 v22, v20, v22, vcc
	v_cmp_gt_i32_e32 vcc, s33, v36
	v_cmp_gt_i32_e64 s[4:5], s33, v37
	v_lshlrev_b32_e32 v22, 2, v22
	s_waitcnt vmcnt(15)
	v_cndmask_b32_e64 v12, v19, v13, s[26:27]
	s_waitcnt vmcnt(14)
	v_cndmask_b32_e64 v23, v19, v14, s[28:29]
	;; [unrolled: 2-line block ×4, first 2 shown]
	v_max3_f32 v12, v12, s52, v23
	s_waitcnt vmcnt(11)
	v_cndmask_b32_e64 v26, v19, v17, s[36:37]
	s_waitcnt vmcnt(10)
	v_cndmask_b32_e64 v27, v19, v18, s[38:39]
	v_max3_f32 v12, v12, v24, v25
	s_waitcnt vmcnt(9)
	v_cndmask_b32_e64 v28, v19, v11, s[20:21]
	s_waitcnt vmcnt(8)
	v_cndmask_b32_e64 v29, v19, v10, s[22:23]
	;; [unrolled: 5-line block ×5, first 2 shown]
	v_max3_f32 v12, v12, v32, v33
	s_waitcnt vmcnt(1)
	v_cndmask_b32_e32 v36, v19, v3, vcc
	s_waitcnt vmcnt(0)
	v_cndmask_b32_e64 v19, v19, v2, s[4:5]
	v_max3_f32 v12, v12, v34, v35
	v_max3_f32 v12, v12, v36, v19
	ds_bpermute_b32 v19, v22, v12
	v_xor_b32_e32 v23, 16, v20
	v_cmp_lt_i32_e64 s[40:41], v23, v21
	v_cndmask_b32_e64 v20, v20, v23, s[40:41]
	v_lshlrev_b32_e32 v20, 2, v20
	s_waitcnt lgkmcnt(0)
	v_max_f32_e32 v19, v19, v19
	v_max_f32_e32 v12, v12, v19
	ds_bpermute_b32 v19, v20, v12
	s_waitcnt lgkmcnt(0)
	v_max_f32_e32 v19, v19, v19
	v_max_f32_e32 v12, v12, v19
	v_sub_f32_e32 v13, v13, v12
	v_sub_f32_e32 v14, v14, v12
	;; [unrolled: 1-line block ×3, first 2 shown]
	v_mul_f32_e32 v13, 0x3fb8aa3b, v13
	v_mul_f32_e32 v14, 0x3fb8aa3b, v14
	v_mul_f32_e32 v15, 0x3fb8aa3b, v15
	v_exp_f32_e32 v13, v13
	v_exp_f32_e32 v14, v14
	;; [unrolled: 1-line block ×3, first 2 shown]
	v_sub_f32_e32 v16, v16, v12
	v_cndmask_b32_e64 v13, 0, v13, s[26:27]
	v_mul_f32_e32 v16, 0x3fb8aa3b, v16
	v_cndmask_b32_e64 v14, 0, v14, s[28:29]
	v_cndmask_b32_e64 v15, 0, v15, s[30:31]
	v_add_f32_e32 v19, 0, v13
	buffer_store_dword v13, off, s[0:3], 0 offset:256
	buffer_store_dword v14, off, s[0:3], 0 offset:260
	buffer_store_dword v15, off, s[0:3], 0 offset:264
	v_sub_f32_e32 v13, v17, v12
	v_exp_f32_e32 v16, v16
	v_add_f32_e32 v19, v19, v14
	v_mul_f32_e32 v13, 0x3fb8aa3b, v13
	v_sub_f32_e32 v14, v18, v12
	v_exp_f32_e32 v13, v13
	v_mul_f32_e32 v14, 0x3fb8aa3b, v14
	v_sub_f32_e32 v11, v11, v12
	v_exp_f32_e32 v14, v14
	;; [unrolled: 3-line block ×3, first 2 shown]
	v_mul_f32_e32 v10, 0x3fb8aa3b, v10
	v_sub_f32_e32 v9, v9, v12
	v_cndmask_b32_e64 v16, 0, v16, s[34:35]
	v_add_f32_e32 v19, v19, v15
	v_exp_f32_e32 v10, v10
	v_mul_f32_e32 v9, 0x3fb8aa3b, v9
	v_sub_f32_e32 v8, v8, v12
	v_add_f32_e32 v19, v19, v16
	v_cndmask_b32_e64 v13, 0, v13, s[36:37]
	v_exp_f32_e32 v9, v9
	v_mul_f32_e32 v8, 0x3fb8aa3b, v8
	v_sub_f32_e32 v7, v7, v12
	v_add_f32_e32 v15, v19, v13
	v_cndmask_b32_e64 v14, 0, v14, s[38:39]
	;; [unrolled: 5-line block ×5, first 2 shown]
	v_exp_f32_e32 v5, v5
	v_mul_f32_e32 v4, 0x3fb8aa3b, v4
	v_sub_f32_e32 v3, v3, v12
	buffer_store_dword v16, off, s[0:3], 0 offset:268
	buffer_store_dword v13, off, s[0:3], 0 offset:272
	buffer_store_dword v14, off, s[0:3], 0 offset:276
	buffer_store_dword v11, off, s[0:3], 0 offset:280
	buffer_store_dword v10, off, s[0:3], 0 offset:284
	v_add_f32_e32 v10, v15, v9
	v_cndmask_b32_e64 v8, 0, v8, s[18:19]
	v_exp_f32_e32 v4, v4
	v_mul_f32_e32 v3, 0x3fb8aa3b, v3
	v_sub_f32_e32 v2, v2, v12
	v_add_f32_e32 v10, v10, v8
	v_cndmask_b32_e64 v7, 0, v7, s[12:13]
	v_exp_f32_e32 v3, v3
	v_mul_f32_e32 v2, 0x3fb8aa3b, v2
	v_add_f32_e32 v10, v10, v7
	v_cndmask_b32_e64 v6, 0, v6, s[14:15]
	v_exp_f32_e32 v2, v2
	v_add_f32_e32 v10, v10, v6
	v_cndmask_b32_e64 v5, 0, v5, s[6:7]
	buffer_store_dword v9, off, s[0:3], 0 offset:288
	buffer_store_dword v8, off, s[0:3], 0 offset:292
	;; [unrolled: 1-line block ×4, first 2 shown]
	v_add_f32_e32 v6, v10, v5
	v_cndmask_b32_e64 v4, 0, v4, s[10:11]
	v_add_f32_e32 v6, v6, v4
	v_cndmask_b32_e32 v3, 0, v3, vcc
	v_add_f32_e32 v6, v6, v3
	v_cndmask_b32_e64 v2, 0, v2, s[4:5]
	v_add_f32_e32 v6, v6, v2
	ds_bpermute_b32 v7, v22, v6
	buffer_store_dword v5, off, s[0:3], 0 offset:304
	buffer_store_dword v4, off, s[0:3], 0 offset:308
	;; [unrolled: 1-line block ×4, first 2 shown]
	v_cmp_gt_u32_e32 vcc, 16, v63
	s_waitcnt lgkmcnt(0)
	s_barrier
	v_add_f32_e32 v2, v6, v7
	ds_bpermute_b32 v3, v20, v2
	s_waitcnt lgkmcnt(0)
	s_and_saveexec_b64 s[4:5], vcc
	s_cbranch_execz .LBB640_207
; %bb.206:
	v_add_f32_e32 v2, v2, v3
	v_lshlrev_b32_e32 v3, 2, v62
	ds_write2st64_b32 v3, v12, v2 offset1:1
.LBB640_207:
	s_or_b64 exec, exec, s[4:5]
	v_lshlrev_b32_e32 v2, 2, v56
	s_waitcnt lgkmcnt(0)
	s_barrier
	ds_read2_b32 v[12:13], v2 offset1:16
	ds_read2_b32 v[14:15], v2 offset0:32 offset1:48
	ds_read2_b32 v[6:7], v2 offset0:64 offset1:80
	ds_read2_b32 v[10:11], v2 offset0:96 offset1:112
	s_waitcnt lgkmcnt(0)
	s_barrier
	buffer_load_dword v20, off, s[0:3], 0 offset:256
	buffer_load_dword v21, off, s[0:3], 0 offset:260
	;; [unrolled: 1-line block ×16, first 2 shown]
	v_lshlrev_b32_e32 v19, 3, v55
	v_lshlrev_b32_e32 v18, 5, v56
	;; [unrolled: 1-line block ×3, first 2 shown]
	v_or3_b32 v39, v28, v18, v19
	v_max3_f32 v19, v12, s52, v13
	v_max3_f32 v19, v19, v14, v15
	v_sub_f32_e32 v12, v12, v19
	v_sub_f32_e32 v13, v13, v19
	v_mul_f32_e32 v12, 0x3fb8aa3b, v12
	v_sub_f32_e32 v14, v14, v19
	v_mul_f32_e32 v13, 0x3fb8aa3b, v13
	v_exp_f32_e32 v12, v12
	v_sub_f32_e32 v15, v15, v19
	v_mul_f32_e32 v14, 0x3fb8aa3b, v14
	v_exp_f32_e32 v13, v13
	v_mul_f32_e32 v15, 0x3fb8aa3b, v15
	v_exp_f32_e32 v14, v14
	v_exp_f32_e32 v15, v15
	v_fma_f32 v6, v12, v6, 0
	v_fmac_f32_e32 v6, v13, v7
	v_fmac_f32_e32 v6, v14, v10
	;; [unrolled: 1-line block ×3, first 2 shown]
	v_cmp_eq_u32_e32 vcc, 1, v61
	v_add_f32_e32 v10, 0x358637bd, v6
	v_cndmask_b32_e32 v12, v12, v13, vcc
	v_cmp_eq_u32_e32 vcc, 2, v61
	v_div_scale_f32 v11, s[4:5], v10, v10, 1.0
	v_cndmask_b32_e32 v7, v12, v14, vcc
	v_rcp_f32_e32 v12, v11
	v_cmp_eq_u32_e32 vcc, 3, v61
	v_cndmask_b32_e32 v7, v7, v15, vcc
	v_div_scale_f32 v13, vcc, 1.0, v10, 1.0
	v_fma_f32 v14, -v11, v12, 1.0
	v_fmac_f32_e32 v12, v14, v12
	v_mul_f32_e32 v14, v13, v12
	v_fma_f32 v15, -v11, v14, v13
	v_fmac_f32_e32 v14, v15, v12
	v_fma_f32 v11, -v11, v14, v13
	v_div_fmas_f32 v11, v11, v12, v14
	v_div_fixup_f32 v10, v11, v10, 1.0
	v_mul_f32_e32 v10, v7, v10
	s_mul_i32 s18, s51, 3
	v_cmp_gt_u32_e32 vcc, 3, v0
	s_waitcnt vmcnt(14)
	v_pk_mul_f32 v[14:15], v[10:11], v[20:21] op_sel_hi:[0,1]
	v_cvt_f16_f32_e32 v7, v14
	s_waitcnt vmcnt(12)
	v_pk_mul_f32 v[12:13], v[10:11], v[22:23] op_sel_hi:[0,1]
	buffer_store_dword v14, off, s[0:3], 0 offset:256
	buffer_store_dword v15, off, s[0:3], 0 offset:260
	;; [unrolled: 1-line block ×3, first 2 shown]
	s_waitcnt vmcnt(13)
	v_pk_mul_f32 v[20:21], v[10:11], v[24:25] op_sel_hi:[0,1]
	v_cvt_f16_f32_e32 v14, v12
	s_waitcnt vmcnt(11)
	v_pk_mul_f32 v[22:23], v[10:11], v[26:27] op_sel_hi:[0,1]
	v_cvt_f16_f32_e32 v11, v15
	v_cvt_f16_f32_e32 v15, v13
	buffer_store_dword v13, off, s[0:3], 0 offset:268
	buffer_store_dword v22, off, s[0:3], 0 offset:272
	buffer_store_dword v23, off, s[0:3], 0 offset:276
	v_pack_b32_f16 v12, v7, v11
	v_cvt_f16_f32_e32 v11, v23
	v_pack_b32_f16 v13, v14, v15
	v_cvt_f16_f32_e32 v7, v22
	v_cvt_f16_f32_e32 v15, v20
	;; [unrolled: 1-line block ×3, first 2 shown]
	s_waitcnt vmcnt(12)
	v_pk_mul_f32 v[4:5], v[10:11], v[4:5] op_sel_hi:[0,1]
	v_pack_b32_f16 v14, v7, v11
	s_waitcnt vmcnt(10)
	v_pk_mul_f32 v[2:3], v[10:11], v[2:3] op_sel_hi:[0,1]
	v_pack_b32_f16 v15, v15, v22
	v_cvt_f16_f32_e32 v11, v5
	buffer_store_dword v20, off, s[0:3], 0 offset:280
	buffer_store_dword v21, off, s[0:3], 0 offset:284
	ds_write2st64_b64 v39, v[12:13], v[14:15] offset1:1
	buffer_store_dword v2, off, s[0:3], 0 offset:288
	buffer_store_dword v3, off, s[0:3], 0 offset:292
	v_cvt_f16_f32_e32 v2, v2
	v_cvt_f16_f32_e32 v3, v3
	;; [unrolled: 1-line block ×3, first 2 shown]
	buffer_store_dword v4, off, s[0:3], 0 offset:296
	buffer_store_dword v5, off, s[0:3], 0 offset:300
	s_waitcnt vmcnt(12)
	v_pk_mul_f32 v[4:5], v[10:11], v[16:17] op_sel_hi:[0,1]
	v_pk_mul_f32 v[8:9], v[10:11], v[8:9] op_sel_hi:[0,1]
	v_pack_b32_f16 v2, v2, v3
	v_pack_b32_f16 v3, v7, v11
	buffer_store_dword v8, off, s[0:3], 0 offset:304
	buffer_store_dword v9, off, s[0:3], 0 offset:308
	v_cvt_f16_f32_e32 v7, v8
	v_cvt_f16_f32_e32 v8, v9
	v_cvt_f16_f32_e32 v9, v4
	v_cvt_f16_f32_e32 v10, v5
	buffer_store_dword v4, off, s[0:3], 0 offset:312
	buffer_store_dword v5, off, s[0:3], 0 offset:316
	v_pack_b32_f16 v4, v7, v8
	v_pack_b32_f16 v5, v9, v10
	ds_write2st64_b64 v39, v[2:3], v[4:5] offset0:2 offset1:3
	s_and_saveexec_b64 s[4:5], vcc
	s_cbranch_execz .LBB640_209
; %bb.208:
	v_add_co_u32_e32 v4, vcc, s25, v56
	v_addc_co_u32_e64 v5, s[6:7], 0, 0, vcc
	v_mov_b32_e32 v2, s18
	v_mad_u64_u32 v[4:5], s[6:7], s8, v2, v[4:5]
	v_mov_b32_e32 v3, 0
	s_mul_i32 s6, s9, s18
	v_mov_b32_e32 v2, s24
	v_add_u32_e32 v5, s6, v5
	v_mad_u64_u32 v[2:3], s[6:7], v4, s50, v[2:3]
	v_mov_b32_e32 v4, v3
	v_mad_u64_u32 v[4:5], s[6:7], v5, s50, v[4:5]
	v_mov_b32_e32 v3, v4
	v_lshlrev_b64 v[2:3], 2, v[2:3]
	v_mov_b32_e32 v5, s47
	v_add_co_u32_e32 v4, vcc, s46, v2
	v_addc_co_u32_e32 v5, vcc, v5, v3, vcc
	global_store_dword v[4:5], v19, off
	v_mov_b32_e32 v4, s45
	v_add_co_u32_e32 v2, vcc, s44, v2
	v_addc_co_u32_e32 v3, vcc, v4, v3, vcc
	global_store_dword v[2:3], v6, off
.LBB640_209:
	s_or_b64 exec, exec, s[4:5]
	v_lshl_or_b32 v30, v55, 9, v18
	s_waitcnt lgkmcnt(0)
	s_barrier
	s_load_dword s4, s[42:43], 0x0
	ds_read_b128 v[2:5], v30
	ds_read_b128 v[6:9], v30 offset:16
	ds_read_b128 v[10:13], v30 offset:2048
	;; [unrolled: 1-line block ×7, first 2 shown]
	v_mov_b32_e32 v35, 0x80
	v_mov_b32_e32 v41, 0x140
	s_mov_b64 s[10:11], -1
	s_waitcnt lgkmcnt(0)
	s_mov_b32 s5, s4
	s_mov_b32 s6, s4
	;; [unrolled: 1-line block ×3, first 2 shown]
	s_movk_i32 s9, 0x80
	s_movk_i32 s19, 0x7f
	s_mov_b32 s20, 0xffffff
	v_mov_b32_e32 v43, 0
	v_bfrev_b32_e32 v45, 60
	s_branch .LBB640_213
.LBB640_210:                            ;   in Loop: Header=BB640_213 Depth=1
	s_or_b64 exec, exec, s[16:17]
.LBB640_211:                            ;   in Loop: Header=BB640_213 Depth=1
	s_or_b64 exec, exec, s[14:15]
.LBB640_212:                            ;   in Loop: Header=BB640_213 Depth=1
	s_or_b64 exec, exec, s[12:13]
	v_cvt_pkrtz_f16_f32 v60, v46, v50
	v_cvt_pkrtz_f16_f32 v61, v44, v52
	s_xor_b64 s[12:13], s[10:11], -1
	s_mov_b64 s[10:11], 0
	v_mov_b32_e32 v46, v48
	v_mfma_f32_16x16x16f16 v[62:65], v[60:61], v[30:31], v[34:37]
	v_mov_b32_e32 v60, v49
	s_and_b64 vcc, exec, s[12:13]
	s_nop 4
	v_cvt_pkrtz_f16_f32 v36, v51, v53
	v_cvt_pkrtz_f16_f32 v37, v42, v59
	v_mov_b32_e32 v35, v47
	v_mov_b32_e32 v59, v58
	v_mfma_f32_16x16x16f16 v[50:53], v[36:37], v[32:33], v[62:65]
	s_nop 7
	s_nop 2
	v_pk_mul_f32 v[50:51], v[50:51], s[4:5]
	v_pk_mul_f32 v[36:37], v[52:53], s[6:7]
	v_cvt_f16_f32_e32 v34, v50
	v_cvt_f16_f32_e32 v38, v51
	;; [unrolled: 1-line block ×4, first 2 shown]
	v_pack_b32_f16 v34, v34, v38
	v_pack_b32_f16 v36, v36, v37
	buffer_store_dword v34, v41, s[0:3], 0 offen
	buffer_store_dword v36, v41, s[0:3], 0 offen offset:4
	v_mov_b32_e32 v41, 0x148
	s_cbranch_vccnz .LBB640_595
.LBB640_213:                            ; =>This Inner Loop Header: Depth=1
	buffer_load_dword v36, v35, s[0:3], 0 offen
	buffer_load_dword v34, v35, s[0:3], 0 offen offset:4
	buffer_load_dword v40, v35, s[0:3], 0 offen offset:8
	;; [unrolled: 1-line block ×3, first 2 shown]
	v_mov_b32_e32 v35, 0
	s_waitcnt vmcnt(3)
	v_cmp_ne_u16_sdwa s[14:15], v36, v43 src0_sel:BYTE_0 src1_sel:DWORD
	s_and_saveexec_b64 s[12:13], s[14:15]
	s_cbranch_execz .LBB640_219
; %bb.214:                              ;   in Loop: Header=BB640_213 Depth=1
	v_cmp_ne_u16_sdwa s[16:17], v36, s9 src0_sel:BYTE_0 src1_sel:DWORD
	v_bfrev_b32_e32 v35, 1
	s_and_saveexec_b64 s[14:15], s[16:17]
	s_cbranch_execz .LBB640_218
; %bb.215:                              ;   in Loop: Header=BB640_213 Depth=1
	v_and_b32_e32 v37, 0x7f, v36
	v_cmp_ne_u32_e32 vcc, s19, v37
	v_mov_b32_e32 v35, 0x7f800001
	s_and_saveexec_b64 s[16:17], vcc
	s_cbranch_execz .LBB640_217
; %bb.216:                              ;   in Loop: Header=BB640_213 Depth=1
	v_and_b32_e32 v35, 7, v36
	v_ffbh_u32_e32 v44, v35
	v_min_u32_e32 v44, 32, v44
	v_subrev_u32_e32 v50, 28, v44
	v_lshlrev_b64 v[50:51], v50, v[36:37]
	v_lshrrev_b32_e32 v42, 3, v37
	v_sub_u32_e32 v44, 29, v44
	v_and_b32_e32 v50, 7, v50
	v_cmp_gt_u32_e32 vcc, 8, v37
	v_cndmask_b32_e32 v37, v42, v44, vcc
	v_cndmask_b32_e32 v35, v35, v50, vcc
	v_lshlrev_b32_e32 v42, 24, v36
	v_lshlrev_b32_e32 v35, 20, v35
	v_and_b32_e32 v42, 0x80000000, v42
	v_lshl_add_u32 v37, v37, 23, v45
	v_or3_b32 v35, v42, v37, v35
.LBB640_217:                            ;   in Loop: Header=BB640_213 Depth=1
	s_or_b64 exec, exec, s[16:17]
.LBB640_218:                            ;   in Loop: Header=BB640_213 Depth=1
	s_or_b64 exec, exec, s[14:15]
.LBB640_219:                            ;   in Loop: Header=BB640_213 Depth=1
	s_or_b64 exec, exec, s[12:13]
	v_lshrrev_b16_e32 v42, 8, v36
	v_cmp_ne_u16_e32 vcc, 0, v42
	v_mov_b32_e32 v37, 0
	s_and_saveexec_b64 s[12:13], vcc
	s_cbranch_execz .LBB640_225
; %bb.220:                              ;   in Loop: Header=BB640_213 Depth=1
	v_cmp_ne_u16_e32 vcc, s9, v42
	v_bfrev_b32_e32 v37, 1
	s_and_saveexec_b64 s[14:15], vcc
	s_cbranch_execz .LBB640_224
; %bb.221:                              ;   in Loop: Header=BB640_213 Depth=1
	v_and_b32_e32 v44, 0x7f, v42
	v_cmp_ne_u32_e32 vcc, s19, v44
	v_mov_b32_e32 v37, 0x7f800001
	s_and_saveexec_b64 s[16:17], vcc
	s_cbranch_execz .LBB640_223
; %bb.222:                              ;   in Loop: Header=BB640_213 Depth=1
	v_and_b32_e32 v37, 7, v42
	v_ffbh_u32_e32 v50, v37
	v_min_u32_e32 v53, 32, v50
	v_subrev_u32_e32 v50, 28, v53
	v_lshlrev_b64 v[50:51], v50, v[42:43]
	v_lshrrev_b32_e32 v52, 3, v44
	v_sub_u32_e32 v42, 29, v53
	v_and_b32_e32 v50, 7, v50
	v_cmp_gt_u32_e32 vcc, 8, v44
	v_cndmask_b32_e32 v42, v52, v42, vcc
	v_cndmask_b32_e32 v37, v37, v50, vcc
	v_lshlrev_b32_e32 v44, 16, v36
	v_lshlrev_b32_e32 v37, 20, v37
	v_and_b32_e32 v44, 0x80000000, v44
	v_lshl_add_u32 v42, v42, 23, v45
	v_or3_b32 v37, v44, v42, v37
.LBB640_223:                            ;   in Loop: Header=BB640_213 Depth=1
	s_or_b64 exec, exec, s[16:17]
.LBB640_224:                            ;   in Loop: Header=BB640_213 Depth=1
	s_or_b64 exec, exec, s[14:15]
.LBB640_225:                            ;   in Loop: Header=BB640_213 Depth=1
	s_or_b64 exec, exec, s[12:13]
	v_lshrrev_b32_e32 v42, 16, v36
	v_cmp_ne_u16_sdwa s[14:15], v42, v43 src0_sel:BYTE_0 src1_sel:DWORD
	v_mov_b32_e32 v50, 0
	v_mov_b32_e32 v44, 0
	s_and_saveexec_b64 s[12:13], s[14:15]
	s_cbranch_execz .LBB640_231
; %bb.226:                              ;   in Loop: Header=BB640_213 Depth=1
	v_cmp_ne_u16_sdwa s[16:17], v42, s9 src0_sel:BYTE_0 src1_sel:DWORD
	v_bfrev_b32_e32 v44, 1
	s_and_saveexec_b64 s[14:15], s[16:17]
	s_cbranch_execz .LBB640_230
; %bb.227:                              ;   in Loop: Header=BB640_213 Depth=1
	v_bfe_u32 v51, v36, 16, 7
	v_cmp_ne_u32_e32 vcc, s19, v51
	v_mov_b32_e32 v44, 0x7f800001
	s_and_saveexec_b64 s[16:17], vcc
	s_cbranch_execz .LBB640_229
; %bb.228:                              ;   in Loop: Header=BB640_213 Depth=1
	v_and_b32_e32 v44, 7, v42
	v_ffbh_u32_e32 v52, v44
	v_min_u32_e32 v62, 32, v52
	v_subrev_u32_e32 v52, 28, v62
	v_lshlrev_b64 v[52:53], v52, v[42:43]
	v_lshrrev_b32_e32 v61, 3, v51
	v_sub_u32_e32 v53, 29, v62
	v_and_b32_e32 v52, 7, v52
	v_cmp_gt_u32_e32 vcc, 8, v51
	v_cndmask_b32_e32 v51, v61, v53, vcc
	v_cndmask_b32_e32 v44, v44, v52, vcc
	v_lshlrev_b32_e32 v42, 24, v42
	v_lshlrev_b32_e32 v44, 20, v44
	v_and_b32_e32 v42, 0x80000000, v42
	v_lshl_add_u32 v51, v51, 23, v45
	v_or3_b32 v44, v42, v51, v44
.LBB640_229:                            ;   in Loop: Header=BB640_213 Depth=1
	s_or_b64 exec, exec, s[16:17]
.LBB640_230:                            ;   in Loop: Header=BB640_213 Depth=1
	s_or_b64 exec, exec, s[14:15]
.LBB640_231:                            ;   in Loop: Header=BB640_213 Depth=1
	s_or_b64 exec, exec, s[12:13]
	v_cmp_lt_u32_e32 vcc, s20, v36
	s_and_saveexec_b64 s[12:13], vcc
	s_cbranch_execz .LBB640_237
; %bb.232:                              ;   in Loop: Header=BB640_213 Depth=1
	v_lshrrev_b32_e32 v42, 24, v36
	v_cmp_ne_u32_e32 vcc, s9, v42
	v_bfrev_b32_e32 v50, 1
	s_and_saveexec_b64 s[14:15], vcc
	s_cbranch_execz .LBB640_236
; %bb.233:                              ;   in Loop: Header=BB640_213 Depth=1
	v_bfe_u32 v36, v36, 24, 7
	v_cmp_ne_u32_e32 vcc, s19, v36
	v_mov_b32_e32 v50, 0x7f800001
	s_and_saveexec_b64 s[16:17], vcc
	s_cbranch_execz .LBB640_235
; %bb.234:                              ;   in Loop: Header=BB640_213 Depth=1
	v_and_b32_e32 v52, 7, v42
	v_ffbh_u32_e32 v50, v52
	v_min_u32_e32 v61, 32, v50
	v_subrev_u32_e32 v50, 28, v61
	v_lshlrev_b64 v[50:51], v50, v[42:43]
	v_lshrrev_b32_e32 v53, 3, v36
	v_sub_u32_e32 v51, 29, v61
	v_and_b32_e32 v50, 7, v50
	v_cmp_gt_u32_e32 vcc, 8, v36
	v_cndmask_b32_e32 v36, v53, v51, vcc
	v_cndmask_b32_e32 v50, v52, v50, vcc
	v_lshlrev_b32_e32 v42, 24, v42
	v_lshlrev_b32_e32 v50, 20, v50
	v_and_b32_e32 v42, 0x80000000, v42
	v_lshl_add_u32 v36, v36, 23, v45
	v_or3_b32 v50, v42, v36, v50
.LBB640_235:                            ;   in Loop: Header=BB640_213 Depth=1
	s_or_b64 exec, exec, s[16:17]
.LBB640_236:                            ;   in Loop: Header=BB640_213 Depth=1
	s_or_b64 exec, exec, s[14:15]
.LBB640_237:                            ;   in Loop: Header=BB640_213 Depth=1
	s_or_b64 exec, exec, s[12:13]
	s_waitcnt vmcnt(2)
	v_cmp_ne_u16_sdwa s[14:15], v34, v43 src0_sel:BYTE_0 src1_sel:DWORD
	v_mov_b32_e32 v42, 0
	v_mov_b32_e32 v51, 0
	s_and_saveexec_b64 s[12:13], s[14:15]
	s_cbranch_execz .LBB640_243
; %bb.238:                              ;   in Loop: Header=BB640_213 Depth=1
	v_cmp_ne_u16_sdwa s[16:17], v34, s9 src0_sel:BYTE_0 src1_sel:DWORD
	v_bfrev_b32_e32 v51, 1
	s_and_saveexec_b64 s[14:15], s[16:17]
	s_cbranch_execz .LBB640_242
; %bb.239:                              ;   in Loop: Header=BB640_213 Depth=1
	v_and_b32_e32 v36, 0x7f, v34
	v_cmp_ne_u32_e32 vcc, s19, v36
	v_mov_b32_e32 v51, 0x7f800001
	s_and_saveexec_b64 s[16:17], vcc
	s_cbranch_execz .LBB640_241
; %bb.240:                              ;   in Loop: Header=BB640_213 Depth=1
	v_and_b32_e32 v51, 7, v34
	v_ffbh_u32_e32 v52, v51
	v_min_u32_e32 v62, 32, v52
	v_subrev_u32_e32 v52, 28, v62
	v_lshlrev_b64 v[52:53], v52, v[34:35]
	v_lshrrev_b32_e32 v61, 3, v36
	v_sub_u32_e32 v53, 29, v62
	v_and_b32_e32 v52, 7, v52
	v_cmp_gt_u32_e32 vcc, 8, v36
	v_cndmask_b32_e32 v36, v61, v53, vcc
	v_cndmask_b32_e32 v51, v51, v52, vcc
	v_lshlrev_b32_e32 v52, 24, v34
	v_lshlrev_b32_e32 v51, 20, v51
	v_and_b32_e32 v52, 0x80000000, v52
	v_lshl_add_u32 v36, v36, 23, v45
	v_or3_b32 v51, v52, v36, v51
.LBB640_241:                            ;   in Loop: Header=BB640_213 Depth=1
	s_or_b64 exec, exec, s[16:17]
.LBB640_242:                            ;   in Loop: Header=BB640_213 Depth=1
	s_or_b64 exec, exec, s[14:15]
.LBB640_243:                            ;   in Loop: Header=BB640_213 Depth=1
	s_or_b64 exec, exec, s[12:13]
	v_lshrrev_b16_e32 v36, 8, v34
	v_cmp_ne_u16_e32 vcc, 0, v36
	s_and_saveexec_b64 s[12:13], vcc
	s_cbranch_execz .LBB640_249
; %bb.244:                              ;   in Loop: Header=BB640_213 Depth=1
	v_cmp_ne_u16_e32 vcc, s9, v36
	v_bfrev_b32_e32 v42, 1
	s_and_saveexec_b64 s[14:15], vcc
	s_cbranch_execz .LBB640_248
; %bb.245:                              ;   in Loop: Header=BB640_213 Depth=1
	v_and_b32_e32 v52, 0x7f, v36
	v_cmp_ne_u32_e32 vcc, s19, v52
	v_mov_b32_e32 v42, 0x7f800001
	s_and_saveexec_b64 s[16:17], vcc
	s_cbranch_execz .LBB640_247
; %bb.246:                              ;   in Loop: Header=BB640_213 Depth=1
	v_and_b32_e32 v42, 7, v36
	v_ffbh_u32_e32 v61, v42
	v_min_u32_e32 v61, 32, v61
	v_subrev_u32_e32 v62, 28, v61
	v_lshlrev_b64 v[62:63], v62, v[36:37]
	v_lshrrev_b32_e32 v53, 3, v52
	v_sub_u32_e32 v36, 29, v61
	v_and_b32_e32 v61, 7, v62
	v_cmp_gt_u32_e32 vcc, 8, v52
	v_cndmask_b32_e32 v36, v53, v36, vcc
	v_cndmask_b32_e32 v42, v42, v61, vcc
	v_lshlrev_b32_e32 v52, 16, v34
	v_lshlrev_b32_e32 v42, 20, v42
	v_and_b32_e32 v52, 0x80000000, v52
	v_lshl_add_u32 v36, v36, 23, v45
	v_or3_b32 v42, v52, v36, v42
.LBB640_247:                            ;   in Loop: Header=BB640_213 Depth=1
	s_or_b64 exec, exec, s[16:17]
.LBB640_248:                            ;   in Loop: Header=BB640_213 Depth=1
	s_or_b64 exec, exec, s[14:15]
.LBB640_249:                            ;   in Loop: Header=BB640_213 Depth=1
	s_or_b64 exec, exec, s[12:13]
	v_lshrrev_b32_e32 v36, 16, v34
	v_cmp_ne_u16_sdwa s[14:15], v36, v43 src0_sel:BYTE_0 src1_sel:DWORD
	v_mov_b32_e32 v53, 0
	v_mov_b32_e32 v52, 0
	s_and_saveexec_b64 s[12:13], s[14:15]
	s_cbranch_execz .LBB640_255
; %bb.250:                              ;   in Loop: Header=BB640_213 Depth=1
	v_cmp_ne_u16_sdwa s[16:17], v36, s9 src0_sel:BYTE_0 src1_sel:DWORD
	v_bfrev_b32_e32 v52, 1
	s_and_saveexec_b64 s[14:15], s[16:17]
	s_cbranch_execz .LBB640_254
; %bb.251:                              ;   in Loop: Header=BB640_213 Depth=1
	v_bfe_u32 v61, v34, 16, 7
	v_cmp_ne_u32_e32 vcc, s19, v61
	v_mov_b32_e32 v52, 0x7f800001
	s_and_saveexec_b64 s[16:17], vcc
	s_cbranch_execz .LBB640_253
; %bb.252:                              ;   in Loop: Header=BB640_213 Depth=1
	v_and_b32_e32 v52, 7, v36
	v_ffbh_u32_e32 v62, v52
	v_min_u32_e32 v65, 32, v62
	v_subrev_u32_e32 v62, 28, v65
	v_lshlrev_b64 v[62:63], v62, v[36:37]
	v_lshrrev_b32_e32 v64, 3, v61
	v_sub_u32_e32 v63, 29, v65
	v_and_b32_e32 v62, 7, v62
	v_cmp_gt_u32_e32 vcc, 8, v61
	v_cndmask_b32_e32 v61, v64, v63, vcc
	v_cndmask_b32_e32 v52, v52, v62, vcc
	v_lshlrev_b32_e32 v36, 24, v36
	v_lshlrev_b32_e32 v52, 20, v52
	v_and_b32_e32 v36, 0x80000000, v36
	v_lshl_add_u32 v61, v61, 23, v45
	v_or3_b32 v52, v36, v61, v52
.LBB640_253:                            ;   in Loop: Header=BB640_213 Depth=1
	s_or_b64 exec, exec, s[16:17]
.LBB640_254:                            ;   in Loop: Header=BB640_213 Depth=1
	s_or_b64 exec, exec, s[14:15]
.LBB640_255:                            ;   in Loop: Header=BB640_213 Depth=1
	s_or_b64 exec, exec, s[12:13]
	v_cmp_lt_u32_e32 vcc, s20, v34
	s_and_saveexec_b64 s[12:13], vcc
	s_cbranch_execz .LBB640_261
; %bb.256:                              ;   in Loop: Header=BB640_213 Depth=1
	v_lshrrev_b32_e32 v36, 24, v34
	v_cmp_ne_u32_e32 vcc, s9, v36
	v_bfrev_b32_e32 v53, 1
	s_and_saveexec_b64 s[14:15], vcc
	s_cbranch_execz .LBB640_260
; %bb.257:                              ;   in Loop: Header=BB640_213 Depth=1
	v_bfe_u32 v34, v34, 24, 7
	v_cmp_ne_u32_e32 vcc, s19, v34
	v_mov_b32_e32 v53, 0x7f800001
	s_and_saveexec_b64 s[16:17], vcc
	s_cbranch_execz .LBB640_259
; %bb.258:                              ;   in Loop: Header=BB640_213 Depth=1
	v_and_b32_e32 v53, 7, v36
	v_ffbh_u32_e32 v62, v53
	v_min_u32_e32 v64, 32, v62
	v_subrev_u32_e32 v62, 28, v64
	v_lshlrev_b64 v[62:63], v62, v[36:37]
	v_lshrrev_b32_e32 v61, 3, v34
	v_sub_u32_e32 v63, 29, v64
	v_and_b32_e32 v62, 7, v62
	v_cmp_gt_u32_e32 vcc, 8, v34
	v_cndmask_b32_e32 v34, v61, v63, vcc
	v_cndmask_b32_e32 v53, v53, v62, vcc
	v_lshlrev_b32_e32 v36, 24, v36
	v_lshlrev_b32_e32 v53, 20, v53
	v_and_b32_e32 v36, 0x80000000, v36
	v_lshl_add_u32 v34, v34, 23, v45
	v_or3_b32 v53, v36, v34, v53
.LBB640_259:                            ;   in Loop: Header=BB640_213 Depth=1
	s_or_b64 exec, exec, s[16:17]
.LBB640_260:                            ;   in Loop: Header=BB640_213 Depth=1
	s_or_b64 exec, exec, s[14:15]
.LBB640_261:                            ;   in Loop: Header=BB640_213 Depth=1
	s_or_b64 exec, exec, s[12:13]
	v_cvt_pkrtz_f16_f32 v34, v35, v37
	v_cvt_pkrtz_f16_f32 v35, v44, v50
	;; [unrolled: 1-line block ×4, first 2 shown]
	v_mov_b32_e32 v44, 0
	v_mfma_f32_16x16x16f16 v[34:37], v[34:35], v[2:3], 0
	s_waitcnt vmcnt(1)
	v_cmp_ne_u16_sdwa s[14:15], v40, v43 src0_sel:BYTE_0 src1_sel:DWORD
	v_mov_b32_e32 v51, 0
	v_mfma_f32_16x16x16f16 v[34:37], v[62:63], v[4:5], v[34:37]
	s_and_saveexec_b64 s[12:13], s[14:15]
	s_cbranch_execz .LBB640_267
; %bb.262:                              ;   in Loop: Header=BB640_213 Depth=1
	v_cmp_ne_u16_sdwa s[16:17], v40, s9 src0_sel:BYTE_0 src1_sel:DWORD
	v_bfrev_b32_e32 v51, 1
	s_and_saveexec_b64 s[14:15], s[16:17]
	s_cbranch_execz .LBB640_266
; %bb.263:                              ;   in Loop: Header=BB640_213 Depth=1
	v_and_b32_e32 v42, 0x7f, v40
	v_cmp_ne_u32_e32 vcc, s19, v42
	v_mov_b32_e32 v51, 0x7f800001
	s_and_saveexec_b64 s[16:17], vcc
	s_cbranch_execz .LBB640_265
; %bb.264:                              ;   in Loop: Header=BB640_213 Depth=1
	v_and_b32_e32 v52, 7, v40
	v_ffbh_u32_e32 v50, v52
	v_min_u32_e32 v61, 32, v50
	v_subrev_u32_e32 v50, 28, v61
	v_lshlrev_b64 v[50:51], v50, v[40:41]
	v_lshrrev_b32_e32 v53, 3, v42
	v_sub_u32_e32 v51, 29, v61
	v_and_b32_e32 v50, 7, v50
	v_cmp_gt_u32_e32 vcc, 8, v42
	v_cndmask_b32_e32 v42, v53, v51, vcc
	v_cndmask_b32_e32 v50, v52, v50, vcc
	v_lshlrev_b32_e32 v51, 24, v40
	v_lshlrev_b32_e32 v50, 20, v50
	v_and_b32_e32 v51, 0x80000000, v51
	v_lshl_add_u32 v42, v42, 23, v45
	v_or3_b32 v51, v51, v42, v50
.LBB640_265:                            ;   in Loop: Header=BB640_213 Depth=1
	s_or_b64 exec, exec, s[16:17]
.LBB640_266:                            ;   in Loop: Header=BB640_213 Depth=1
	s_or_b64 exec, exec, s[14:15]
.LBB640_267:                            ;   in Loop: Header=BB640_213 Depth=1
	s_or_b64 exec, exec, s[12:13]
	v_lshrrev_b16_e32 v42, 8, v40
	v_cmp_ne_u16_e32 vcc, 0, v42
	v_mov_b32_e32 v52, 0
	s_and_saveexec_b64 s[12:13], vcc
	s_cbranch_execz .LBB640_273
; %bb.268:                              ;   in Loop: Header=BB640_213 Depth=1
	v_cmp_ne_u16_e32 vcc, s9, v42
	v_bfrev_b32_e32 v52, 1
	s_and_saveexec_b64 s[14:15], vcc
	s_cbranch_execz .LBB640_272
; %bb.269:                              ;   in Loop: Header=BB640_213 Depth=1
	v_and_b32_e32 v50, 0x7f, v42
	v_cmp_ne_u32_e32 vcc, s19, v50
	v_mov_b32_e32 v52, 0x7f800001
	s_and_saveexec_b64 s[16:17], vcc
	s_cbranch_execz .LBB640_271
; %bb.270:                              ;   in Loop: Header=BB640_213 Depth=1
	v_and_b32_e32 v61, 7, v42
	v_ffbh_u32_e32 v52, v61
	v_min_u32_e32 v63, 32, v52
	v_subrev_u32_e32 v52, 28, v63
	v_lshlrev_b64 v[52:53], v52, v[42:43]
	v_lshrrev_b32_e32 v62, 3, v50
	v_sub_u32_e32 v42, 29, v63
	v_and_b32_e32 v52, 7, v52
	v_cmp_gt_u32_e32 vcc, 8, v50
	v_cndmask_b32_e32 v42, v62, v42, vcc
	v_cndmask_b32_e32 v50, v61, v52, vcc
	v_lshlrev_b32_e32 v52, 16, v40
	v_lshlrev_b32_e32 v50, 20, v50
	v_and_b32_e32 v52, 0x80000000, v52
	v_lshl_add_u32 v42, v42, 23, v45
	v_or3_b32 v52, v52, v42, v50
.LBB640_271:                            ;   in Loop: Header=BB640_213 Depth=1
	s_or_b64 exec, exec, s[16:17]
.LBB640_272:                            ;   in Loop: Header=BB640_213 Depth=1
	s_or_b64 exec, exec, s[14:15]
.LBB640_273:                            ;   in Loop: Header=BB640_213 Depth=1
	s_or_b64 exec, exec, s[12:13]
	v_lshrrev_b32_e32 v42, 16, v40
	v_cmp_ne_u16_sdwa s[14:15], v42, v43 src0_sel:BYTE_0 src1_sel:DWORD
	s_and_saveexec_b64 s[12:13], s[14:15]
	s_cbranch_execz .LBB640_279
; %bb.274:                              ;   in Loop: Header=BB640_213 Depth=1
	v_cmp_ne_u16_sdwa s[16:17], v42, s9 src0_sel:BYTE_0 src1_sel:DWORD
	v_bfrev_b32_e32 v44, 1
	s_and_saveexec_b64 s[14:15], s[16:17]
	s_cbranch_execz .LBB640_278
; %bb.275:                              ;   in Loop: Header=BB640_213 Depth=1
	v_bfe_u32 v50, v40, 16, 7
	v_cmp_ne_u32_e32 vcc, s19, v50
	v_mov_b32_e32 v44, 0x7f800001
	s_and_saveexec_b64 s[16:17], vcc
	s_cbranch_execz .LBB640_277
; %bb.276:                              ;   in Loop: Header=BB640_213 Depth=1
	v_and_b32_e32 v44, 7, v42
	v_ffbh_u32_e32 v61, v44
	v_min_u32_e32 v61, 32, v61
	v_subrev_u32_e32 v62, 28, v61
	v_lshlrev_b64 v[62:63], v62, v[42:43]
	v_lshrrev_b32_e32 v53, 3, v50
	v_sub_u32_e32 v61, 29, v61
	v_and_b32_e32 v62, 7, v62
	v_cmp_gt_u32_e32 vcc, 8, v50
	v_cndmask_b32_e32 v50, v53, v61, vcc
	v_cndmask_b32_e32 v44, v44, v62, vcc
	v_lshlrev_b32_e32 v42, 24, v42
	v_lshlrev_b32_e32 v44, 20, v44
	v_and_b32_e32 v42, 0x80000000, v42
	v_lshl_add_u32 v50, v50, 23, v45
	v_or3_b32 v44, v42, v50, v44
.LBB640_277:                            ;   in Loop: Header=BB640_213 Depth=1
	s_or_b64 exec, exec, s[16:17]
.LBB640_278:                            ;   in Loop: Header=BB640_213 Depth=1
	s_or_b64 exec, exec, s[14:15]
.LBB640_279:                            ;   in Loop: Header=BB640_213 Depth=1
	s_or_b64 exec, exec, s[12:13]
	v_cmp_lt_u32_e32 vcc, s20, v40
	v_mov_b32_e32 v53, 0
	v_mov_b32_e32 v61, 0
	s_and_saveexec_b64 s[12:13], vcc
	s_cbranch_execz .LBB640_285
; %bb.280:                              ;   in Loop: Header=BB640_213 Depth=1
	v_lshrrev_b32_e32 v42, 24, v40
	v_cmp_ne_u32_e32 vcc, s9, v42
	v_bfrev_b32_e32 v61, 1
	s_and_saveexec_b64 s[14:15], vcc
	s_cbranch_execz .LBB640_284
; %bb.281:                              ;   in Loop: Header=BB640_213 Depth=1
	v_bfe_u32 v40, v40, 24, 7
	v_cmp_ne_u32_e32 vcc, s19, v40
	v_mov_b32_e32 v61, 0x7f800001
	s_and_saveexec_b64 s[16:17], vcc
	s_cbranch_execz .LBB640_283
; %bb.282:                              ;   in Loop: Header=BB640_213 Depth=1
	v_and_b32_e32 v50, 7, v42
	v_ffbh_u32_e32 v62, v50
	v_min_u32_e32 v64, 32, v62
	v_subrev_u32_e32 v62, 28, v64
	v_lshlrev_b64 v[62:63], v62, v[42:43]
	v_lshrrev_b32_e32 v61, 3, v40
	v_sub_u32_e32 v63, 29, v64
	v_and_b32_e32 v62, 7, v62
	v_cmp_gt_u32_e32 vcc, 8, v40
	v_cndmask_b32_e32 v40, v61, v63, vcc
	v_cndmask_b32_e32 v50, v50, v62, vcc
	v_lshlrev_b32_e32 v42, 24, v42
	v_lshlrev_b32_e32 v50, 20, v50
	v_and_b32_e32 v42, 0x80000000, v42
	v_lshl_add_u32 v40, v40, 23, v45
	v_or3_b32 v61, v42, v40, v50
.LBB640_283:                            ;   in Loop: Header=BB640_213 Depth=1
	s_or_b64 exec, exec, s[16:17]
.LBB640_284:                            ;   in Loop: Header=BB640_213 Depth=1
	s_or_b64 exec, exec, s[14:15]
.LBB640_285:                            ;   in Loop: Header=BB640_213 Depth=1
	s_or_b64 exec, exec, s[12:13]
	s_waitcnt vmcnt(0)
	v_cmp_ne_u16_sdwa s[14:15], v38, v43 src0_sel:BYTE_0 src1_sel:DWORD
	s_and_saveexec_b64 s[12:13], s[14:15]
	s_cbranch_execz .LBB640_291
; %bb.286:                              ;   in Loop: Header=BB640_213 Depth=1
	v_cmp_ne_u16_sdwa s[16:17], v38, s9 src0_sel:BYTE_0 src1_sel:DWORD
	v_bfrev_b32_e32 v53, 1
	s_and_saveexec_b64 s[14:15], s[16:17]
	s_cbranch_execz .LBB640_290
; %bb.287:                              ;   in Loop: Header=BB640_213 Depth=1
	v_and_b32_e32 v40, 0x7f, v38
	v_cmp_ne_u32_e32 vcc, s19, v40
	v_mov_b32_e32 v53, 0x7f800001
	s_and_saveexec_b64 s[16:17], vcc
	s_cbranch_execz .LBB640_289
; %bb.288:                              ;   in Loop: Header=BB640_213 Depth=1
	v_and_b32_e32 v42, 7, v38
	v_ffbh_u32_e32 v53, v42
	v_min_u32_e32 v53, 32, v53
	v_subrev_u32_e32 v62, 28, v53
	v_lshlrev_b64 v[62:63], v62, v[38:39]
	v_lshrrev_b32_e32 v50, 3, v40
	v_sub_u32_e32 v53, 29, v53
	v_and_b32_e32 v62, 7, v62
	v_cmp_gt_u32_e32 vcc, 8, v40
	v_cndmask_b32_e32 v40, v50, v53, vcc
	v_cndmask_b32_e32 v42, v42, v62, vcc
	v_lshlrev_b32_e32 v50, 24, v38
	v_lshlrev_b32_e32 v42, 20, v42
	v_and_b32_e32 v50, 0x80000000, v50
	v_lshl_add_u32 v40, v40, 23, v45
	v_or3_b32 v53, v50, v40, v42
.LBB640_289:                            ;   in Loop: Header=BB640_213 Depth=1
	s_or_b64 exec, exec, s[16:17]
.LBB640_290:                            ;   in Loop: Header=BB640_213 Depth=1
	s_or_b64 exec, exec, s[14:15]
.LBB640_291:                            ;   in Loop: Header=BB640_213 Depth=1
	s_or_b64 exec, exec, s[12:13]
	v_lshrrev_b16_e32 v40, 8, v38
	v_cmp_ne_u16_e32 vcc, 0, v40
	v_mov_b32_e32 v62, 0
	v_mov_b32_e32 v63, 0
	s_and_saveexec_b64 s[12:13], vcc
	s_cbranch_execz .LBB640_297
; %bb.292:                              ;   in Loop: Header=BB640_213 Depth=1
	v_cmp_ne_u16_e32 vcc, s9, v40
	v_bfrev_b32_e32 v63, 1
	s_and_saveexec_b64 s[14:15], vcc
	s_cbranch_execz .LBB640_296
; %bb.293:                              ;   in Loop: Header=BB640_213 Depth=1
	v_and_b32_e32 v42, 0x7f, v40
	v_cmp_ne_u32_e32 vcc, s19, v42
	v_mov_b32_e32 v63, 0x7f800001
	s_and_saveexec_b64 s[16:17], vcc
	s_cbranch_execz .LBB640_295
; %bb.294:                              ;   in Loop: Header=BB640_213 Depth=1
	v_and_b32_e32 v50, 7, v40
	v_ffbh_u32_e32 v64, v50
	v_min_u32_e32 v66, 32, v64
	v_subrev_u32_e32 v64, 28, v66
	v_lshlrev_b64 v[64:65], v64, v[40:41]
	v_lshrrev_b32_e32 v63, 3, v42
	v_sub_u32_e32 v40, 29, v66
	v_and_b32_e32 v64, 7, v64
	v_cmp_gt_u32_e32 vcc, 8, v42
	v_cndmask_b32_e32 v40, v63, v40, vcc
	v_cndmask_b32_e32 v42, v50, v64, vcc
	v_lshlrev_b32_e32 v50, 16, v38
	v_lshlrev_b32_e32 v42, 20, v42
	v_and_b32_e32 v50, 0x80000000, v50
	v_lshl_add_u32 v40, v40, 23, v45
	v_or3_b32 v63, v50, v40, v42
.LBB640_295:                            ;   in Loop: Header=BB640_213 Depth=1
	s_or_b64 exec, exec, s[16:17]
.LBB640_296:                            ;   in Loop: Header=BB640_213 Depth=1
	s_or_b64 exec, exec, s[14:15]
.LBB640_297:                            ;   in Loop: Header=BB640_213 Depth=1
	s_or_b64 exec, exec, s[12:13]
	v_lshrrev_b32_e32 v40, 16, v38
	v_cmp_ne_u16_sdwa s[14:15], v40, v43 src0_sel:BYTE_0 src1_sel:DWORD
	s_and_saveexec_b64 s[12:13], s[14:15]
	s_cbranch_execz .LBB640_303
; %bb.298:                              ;   in Loop: Header=BB640_213 Depth=1
	v_cmp_ne_u16_sdwa s[16:17], v40, s9 src0_sel:BYTE_0 src1_sel:DWORD
	v_bfrev_b32_e32 v62, 1
	s_and_saveexec_b64 s[14:15], s[16:17]
	s_cbranch_execz .LBB640_302
; %bb.299:                              ;   in Loop: Header=BB640_213 Depth=1
	v_bfe_u32 v42, v38, 16, 7
	v_cmp_ne_u32_e32 vcc, s19, v42
	v_mov_b32_e32 v62, 0x7f800001
	s_and_saveexec_b64 s[16:17], vcc
	s_cbranch_execz .LBB640_301
; %bb.300:                              ;   in Loop: Header=BB640_213 Depth=1
	v_and_b32_e32 v50, 7, v40
	v_ffbh_u32_e32 v64, v50
	v_min_u32_e32 v66, 32, v64
	v_subrev_u32_e32 v64, 28, v66
	v_lshlrev_b64 v[64:65], v64, v[40:41]
	v_lshrrev_b32_e32 v62, 3, v42
	v_sub_u32_e32 v65, 29, v66
	v_and_b32_e32 v64, 7, v64
	v_cmp_gt_u32_e32 vcc, 8, v42
	v_cndmask_b32_e32 v42, v62, v65, vcc
	v_cndmask_b32_e32 v50, v50, v64, vcc
	v_lshlrev_b32_e32 v40, 24, v40
	v_lshlrev_b32_e32 v50, 20, v50
	v_and_b32_e32 v40, 0x80000000, v40
	v_lshl_add_u32 v42, v42, 23, v45
	v_or3_b32 v62, v40, v42, v50
.LBB640_301:                            ;   in Loop: Header=BB640_213 Depth=1
	s_or_b64 exec, exec, s[16:17]
.LBB640_302:                            ;   in Loop: Header=BB640_213 Depth=1
	s_or_b64 exec, exec, s[14:15]
.LBB640_303:                            ;   in Loop: Header=BB640_213 Depth=1
	s_or_b64 exec, exec, s[12:13]
	v_cmp_lt_u32_e32 vcc, s20, v38
	v_mov_b32_e32 v50, 0
	v_mov_b32_e32 v64, 0
	s_and_saveexec_b64 s[12:13], vcc
	s_cbranch_execz .LBB640_309
; %bb.304:                              ;   in Loop: Header=BB640_213 Depth=1
	v_lshrrev_b32_e32 v40, 24, v38
	v_cmp_ne_u32_e32 vcc, s9, v40
	v_bfrev_b32_e32 v64, 1
	s_and_saveexec_b64 s[14:15], vcc
	s_cbranch_execz .LBB640_308
; %bb.305:                              ;   in Loop: Header=BB640_213 Depth=1
	v_bfe_u32 v38, v38, 24, 7
	v_cmp_ne_u32_e32 vcc, s19, v38
	v_mov_b32_e32 v64, 0x7f800001
	s_and_saveexec_b64 s[16:17], vcc
	s_cbranch_execz .LBB640_307
; %bb.306:                              ;   in Loop: Header=BB640_213 Depth=1
	v_and_b32_e32 v42, 7, v40
	v_ffbh_u32_e32 v64, v42
	v_min_u32_e32 v67, 32, v64
	v_subrev_u32_e32 v64, 28, v67
	v_lshlrev_b64 v[64:65], v64, v[40:41]
	v_lshrrev_b32_e32 v66, 3, v38
	v_sub_u32_e32 v65, 29, v67
	v_and_b32_e32 v64, 7, v64
	v_cmp_gt_u32_e32 vcc, 8, v38
	v_cndmask_b32_e32 v38, v66, v65, vcc
	v_cndmask_b32_e32 v42, v42, v64, vcc
	v_lshlrev_b32_e32 v40, 24, v40
	v_lshlrev_b32_e32 v42, 20, v42
	v_and_b32_e32 v40, 0x80000000, v40
	v_lshl_add_u32 v38, v38, 23, v45
	v_or3_b32 v64, v40, v38, v42
.LBB640_307:                            ;   in Loop: Header=BB640_213 Depth=1
	s_or_b64 exec, exec, s[16:17]
.LBB640_308:                            ;   in Loop: Header=BB640_213 Depth=1
	s_or_b64 exec, exec, s[14:15]
.LBB640_309:                            ;   in Loop: Header=BB640_213 Depth=1
	s_or_b64 exec, exec, s[12:13]
	v_cvt_pkrtz_f16_f32 v67, v44, v61
	buffer_load_dword v44, v46, s[0:3], 0 offen
	buffer_load_dword v42, v46, s[0:3], 0 offen offset:4
	buffer_load_dword v40, v46, s[0:3], 0 offen offset:8
	;; [unrolled: 1-line block ×3, first 2 shown]
	v_cvt_pkrtz_f16_f32 v66, v51, v52
	v_cvt_pkrtz_f16_f32 v52, v53, v63
	;; [unrolled: 1-line block ×3, first 2 shown]
	v_mfma_f32_16x16x16f16 v[34:37], v[66:67], v[6:7], v[34:37]
	s_waitcnt vmcnt(3)
	v_cmp_ne_u16_sdwa s[14:15], v44, v43 src0_sel:BYTE_0 src1_sel:DWORD
	v_mfma_f32_16x16x16f16 v[34:37], v[52:53], v[8:9], v[34:37]
	s_and_saveexec_b64 s[12:13], s[14:15]
	s_cbranch_execz .LBB640_315
; %bb.310:                              ;   in Loop: Header=BB640_213 Depth=1
	v_cmp_ne_u16_sdwa s[16:17], v44, s9 src0_sel:BYTE_0 src1_sel:DWORD
	v_bfrev_b32_e32 v50, 1
	s_and_saveexec_b64 s[14:15], s[16:17]
	s_cbranch_execz .LBB640_314
; %bb.311:                              ;   in Loop: Header=BB640_213 Depth=1
	v_and_b32_e32 v46, 0x7f, v44
	v_cmp_ne_u32_e32 vcc, s19, v46
	v_mov_b32_e32 v50, 0x7f800001
	s_and_saveexec_b64 s[16:17], vcc
	s_cbranch_execz .LBB640_313
; %bb.312:                              ;   in Loop: Header=BB640_213 Depth=1
	v_and_b32_e32 v52, 7, v44
	v_ffbh_u32_e32 v50, v52
	v_min_u32_e32 v61, 32, v50
	v_subrev_u32_e32 v50, 28, v61
	v_lshlrev_b64 v[50:51], v50, v[44:45]
	v_lshrrev_b32_e32 v53, 3, v46
	v_sub_u32_e32 v51, 29, v61
	v_and_b32_e32 v50, 7, v50
	v_cmp_gt_u32_e32 vcc, 8, v46
	v_cndmask_b32_e32 v46, v53, v51, vcc
	v_cndmask_b32_e32 v50, v52, v50, vcc
	v_lshlrev_b32_e32 v51, 24, v44
	v_lshlrev_b32_e32 v50, 20, v50
	v_and_b32_e32 v51, 0x80000000, v51
	v_lshl_add_u32 v46, v46, 23, v45
	v_or3_b32 v50, v51, v46, v50
.LBB640_313:                            ;   in Loop: Header=BB640_213 Depth=1
	s_or_b64 exec, exec, s[16:17]
.LBB640_314:                            ;   in Loop: Header=BB640_213 Depth=1
	s_or_b64 exec, exec, s[14:15]
.LBB640_315:                            ;   in Loop: Header=BB640_213 Depth=1
	s_or_b64 exec, exec, s[12:13]
	v_lshrrev_b16_e32 v46, 8, v44
	v_cmp_ne_u16_e32 vcc, 0, v46
	v_mov_b32_e32 v51, 0
	v_mov_b32_e32 v52, 0
	s_and_saveexec_b64 s[12:13], vcc
	s_cbranch_execz .LBB640_321
; %bb.316:                              ;   in Loop: Header=BB640_213 Depth=1
	v_cmp_ne_u16_e32 vcc, s9, v46
	v_bfrev_b32_e32 v52, 1
	s_and_saveexec_b64 s[14:15], vcc
	s_cbranch_execz .LBB640_320
; %bb.317:                              ;   in Loop: Header=BB640_213 Depth=1
	v_and_b32_e32 v53, 0x7f, v46
	v_cmp_ne_u32_e32 vcc, s19, v53
	v_mov_b32_e32 v52, 0x7f800001
	s_and_saveexec_b64 s[16:17], vcc
	s_cbranch_execz .LBB640_319
; %bb.318:                              ;   in Loop: Header=BB640_213 Depth=1
	v_and_b32_e32 v52, 7, v46
	v_ffbh_u32_e32 v62, v52
	v_min_u32_e32 v64, 32, v62
	v_subrev_u32_e32 v62, 28, v64
	v_lshlrev_b64 v[62:63], v62, v[46:47]
	v_lshrrev_b32_e32 v61, 3, v53
	v_sub_u32_e32 v46, 29, v64
	v_and_b32_e32 v62, 7, v62
	v_cmp_gt_u32_e32 vcc, 8, v53
	v_cndmask_b32_e32 v46, v61, v46, vcc
	v_cndmask_b32_e32 v52, v52, v62, vcc
	v_lshlrev_b32_e32 v53, 16, v44
	v_lshlrev_b32_e32 v52, 20, v52
	v_and_b32_e32 v53, 0x80000000, v53
	v_lshl_add_u32 v46, v46, 23, v45
	v_or3_b32 v52, v53, v46, v52
.LBB640_319:                            ;   in Loop: Header=BB640_213 Depth=1
	s_or_b64 exec, exec, s[16:17]
.LBB640_320:                            ;   in Loop: Header=BB640_213 Depth=1
	s_or_b64 exec, exec, s[14:15]
.LBB640_321:                            ;   in Loop: Header=BB640_213 Depth=1
	s_or_b64 exec, exec, s[12:13]
	v_lshrrev_b32_e32 v46, 16, v44
	v_cmp_ne_u16_sdwa s[14:15], v46, v43 src0_sel:BYTE_0 src1_sel:DWORD
	s_and_saveexec_b64 s[12:13], s[14:15]
	s_cbranch_execz .LBB640_327
; %bb.322:                              ;   in Loop: Header=BB640_213 Depth=1
	v_cmp_ne_u16_sdwa s[16:17], v46, s9 src0_sel:BYTE_0 src1_sel:DWORD
	v_bfrev_b32_e32 v51, 1
	s_and_saveexec_b64 s[14:15], s[16:17]
	s_cbranch_execz .LBB640_326
; %bb.323:                              ;   in Loop: Header=BB640_213 Depth=1
	v_bfe_u32 v53, v44, 16, 7
	v_cmp_ne_u32_e32 vcc, s19, v53
	v_mov_b32_e32 v51, 0x7f800001
	s_and_saveexec_b64 s[16:17], vcc
	s_cbranch_execz .LBB640_325
; %bb.324:                              ;   in Loop: Header=BB640_213 Depth=1
	v_and_b32_e32 v51, 7, v46
	v_ffbh_u32_e32 v62, v51
	v_min_u32_e32 v64, 32, v62
	v_subrev_u32_e32 v62, 28, v64
	v_lshlrev_b64 v[62:63], v62, v[46:47]
	v_lshrrev_b32_e32 v61, 3, v53
	v_sub_u32_e32 v63, 29, v64
	v_and_b32_e32 v62, 7, v62
	v_cmp_gt_u32_e32 vcc, 8, v53
	v_cndmask_b32_e32 v53, v61, v63, vcc
	v_cndmask_b32_e32 v51, v51, v62, vcc
	v_lshlrev_b32_e32 v46, 24, v46
	v_lshlrev_b32_e32 v51, 20, v51
	v_and_b32_e32 v46, 0x80000000, v46
	v_lshl_add_u32 v53, v53, 23, v45
	v_or3_b32 v51, v46, v53, v51
.LBB640_325:                            ;   in Loop: Header=BB640_213 Depth=1
	s_or_b64 exec, exec, s[16:17]
.LBB640_326:                            ;   in Loop: Header=BB640_213 Depth=1
	s_or_b64 exec, exec, s[14:15]
.LBB640_327:                            ;   in Loop: Header=BB640_213 Depth=1
	s_or_b64 exec, exec, s[12:13]
	v_cmp_lt_u32_e32 vcc, s20, v44
	v_mov_b32_e32 v53, 0
	v_mov_b32_e32 v61, 0
	s_and_saveexec_b64 s[12:13], vcc
	s_cbranch_execz .LBB640_333
; %bb.328:                              ;   in Loop: Header=BB640_213 Depth=1
	v_lshrrev_b32_e32 v46, 24, v44
	v_cmp_ne_u32_e32 vcc, s9, v46
	v_bfrev_b32_e32 v61, 1
	s_and_saveexec_b64 s[14:15], vcc
	s_cbranch_execz .LBB640_332
; %bb.329:                              ;   in Loop: Header=BB640_213 Depth=1
	v_bfe_u32 v44, v44, 24, 7
	v_cmp_ne_u32_e32 vcc, s19, v44
	v_mov_b32_e32 v61, 0x7f800001
	s_and_saveexec_b64 s[16:17], vcc
	s_cbranch_execz .LBB640_331
; %bb.330:                              ;   in Loop: Header=BB640_213 Depth=1
	v_and_b32_e32 v61, 7, v46
	v_ffbh_u32_e32 v62, v61
	v_min_u32_e32 v65, 32, v62
	v_subrev_u32_e32 v62, 28, v65
	v_lshlrev_b64 v[62:63], v62, v[46:47]
	v_lshrrev_b32_e32 v64, 3, v44
	v_sub_u32_e32 v63, 29, v65
	v_and_b32_e32 v62, 7, v62
	v_cmp_gt_u32_e32 vcc, 8, v44
	v_cndmask_b32_e32 v44, v64, v63, vcc
	v_cndmask_b32_e32 v61, v61, v62, vcc
	v_lshlrev_b32_e32 v46, 24, v46
	v_lshlrev_b32_e32 v61, 20, v61
	v_and_b32_e32 v46, 0x80000000, v46
	v_lshl_add_u32 v44, v44, 23, v45
	v_or3_b32 v61, v46, v44, v61
.LBB640_331:                            ;   in Loop: Header=BB640_213 Depth=1
	s_or_b64 exec, exec, s[16:17]
.LBB640_332:                            ;   in Loop: Header=BB640_213 Depth=1
	s_or_b64 exec, exec, s[14:15]
.LBB640_333:                            ;   in Loop: Header=BB640_213 Depth=1
	s_or_b64 exec, exec, s[12:13]
	s_waitcnt vmcnt(2)
	v_cmp_ne_u16_sdwa s[14:15], v42, v43 src0_sel:BYTE_0 src1_sel:DWORD
	s_and_saveexec_b64 s[12:13], s[14:15]
	s_cbranch_execz .LBB640_339
; %bb.334:                              ;   in Loop: Header=BB640_213 Depth=1
	v_cmp_ne_u16_sdwa s[16:17], v42, s9 src0_sel:BYTE_0 src1_sel:DWORD
	v_bfrev_b32_e32 v53, 1
	s_and_saveexec_b64 s[14:15], s[16:17]
	s_cbranch_execz .LBB640_338
; %bb.335:                              ;   in Loop: Header=BB640_213 Depth=1
	v_and_b32_e32 v44, 0x7f, v42
	v_cmp_ne_u32_e32 vcc, s19, v44
	v_mov_b32_e32 v53, 0x7f800001
	s_and_saveexec_b64 s[16:17], vcc
	s_cbranch_execz .LBB640_337
; %bb.336:                              ;   in Loop: Header=BB640_213 Depth=1
	v_and_b32_e32 v46, 7, v42
	v_ffbh_u32_e32 v62, v46
	v_min_u32_e32 v64, 32, v62
	v_subrev_u32_e32 v62, 28, v64
	v_lshlrev_b64 v[62:63], v62, v[42:43]
	v_lshrrev_b32_e32 v53, 3, v44
	v_sub_u32_e32 v63, 29, v64
	v_and_b32_e32 v62, 7, v62
	v_cmp_gt_u32_e32 vcc, 8, v44
	v_cndmask_b32_e32 v44, v53, v63, vcc
	v_cndmask_b32_e32 v46, v46, v62, vcc
	v_lshlrev_b32_e32 v53, 24, v42
	v_lshlrev_b32_e32 v46, 20, v46
	v_and_b32_e32 v53, 0x80000000, v53
	v_lshl_add_u32 v44, v44, 23, v45
	v_or3_b32 v53, v53, v44, v46
.LBB640_337:                            ;   in Loop: Header=BB640_213 Depth=1
	s_or_b64 exec, exec, s[16:17]
.LBB640_338:                            ;   in Loop: Header=BB640_213 Depth=1
	s_or_b64 exec, exec, s[14:15]
.LBB640_339:                            ;   in Loop: Header=BB640_213 Depth=1
	s_or_b64 exec, exec, s[12:13]
	v_lshrrev_b16_e32 v44, 8, v42
	v_cmp_ne_u16_e32 vcc, 0, v44
	v_mov_b32_e32 v62, 0
	v_mov_b32_e32 v63, 0
	s_and_saveexec_b64 s[12:13], vcc
	s_cbranch_execz .LBB640_345
; %bb.340:                              ;   in Loop: Header=BB640_213 Depth=1
	v_cmp_ne_u16_e32 vcc, s9, v44
	v_bfrev_b32_e32 v63, 1
	s_and_saveexec_b64 s[14:15], vcc
	s_cbranch_execz .LBB640_344
; %bb.341:                              ;   in Loop: Header=BB640_213 Depth=1
	v_and_b32_e32 v46, 0x7f, v44
	v_cmp_ne_u32_e32 vcc, s19, v46
	v_mov_b32_e32 v63, 0x7f800001
	s_and_saveexec_b64 s[16:17], vcc
	s_cbranch_execz .LBB640_343
; %bb.342:                              ;   in Loop: Header=BB640_213 Depth=1
	v_and_b32_e32 v63, 7, v44
	v_ffbh_u32_e32 v64, v63
	v_min_u32_e32 v67, 32, v64
	v_subrev_u32_e32 v64, 28, v67
	v_lshlrev_b64 v[64:65], v64, v[44:45]
	v_lshrrev_b32_e32 v66, 3, v46
	v_sub_u32_e32 v44, 29, v67
	v_and_b32_e32 v64, 7, v64
	v_cmp_gt_u32_e32 vcc, 8, v46
	v_cndmask_b32_e32 v44, v66, v44, vcc
	v_cndmask_b32_e32 v46, v63, v64, vcc
	v_lshlrev_b32_e32 v63, 16, v42
	v_lshlrev_b32_e32 v46, 20, v46
	v_and_b32_e32 v63, 0x80000000, v63
	v_lshl_add_u32 v44, v44, 23, v45
	v_or3_b32 v63, v63, v44, v46
.LBB640_343:                            ;   in Loop: Header=BB640_213 Depth=1
	s_or_b64 exec, exec, s[16:17]
.LBB640_344:                            ;   in Loop: Header=BB640_213 Depth=1
	s_or_b64 exec, exec, s[14:15]
.LBB640_345:                            ;   in Loop: Header=BB640_213 Depth=1
	s_or_b64 exec, exec, s[12:13]
	v_lshrrev_b32_e32 v44, 16, v42
	v_cmp_ne_u16_sdwa s[14:15], v44, v43 src0_sel:BYTE_0 src1_sel:DWORD
	s_and_saveexec_b64 s[12:13], s[14:15]
	s_cbranch_execz .LBB640_351
; %bb.346:                              ;   in Loop: Header=BB640_213 Depth=1
	v_cmp_ne_u16_sdwa s[16:17], v44, s9 src0_sel:BYTE_0 src1_sel:DWORD
	v_bfrev_b32_e32 v62, 1
	s_and_saveexec_b64 s[14:15], s[16:17]
	s_cbranch_execz .LBB640_350
; %bb.347:                              ;   in Loop: Header=BB640_213 Depth=1
	v_bfe_u32 v46, v42, 16, 7
	v_cmp_ne_u32_e32 vcc, s19, v46
	v_mov_b32_e32 v62, 0x7f800001
	s_and_saveexec_b64 s[16:17], vcc
	s_cbranch_execz .LBB640_349
; %bb.348:                              ;   in Loop: Header=BB640_213 Depth=1
	v_and_b32_e32 v62, 7, v44
	v_ffbh_u32_e32 v64, v62
	v_min_u32_e32 v67, 32, v64
	v_subrev_u32_e32 v64, 28, v67
	v_lshlrev_b64 v[64:65], v64, v[44:45]
	v_lshrrev_b32_e32 v66, 3, v46
	v_sub_u32_e32 v65, 29, v67
	v_and_b32_e32 v64, 7, v64
	v_cmp_gt_u32_e32 vcc, 8, v46
	v_cndmask_b32_e32 v46, v66, v65, vcc
	v_cndmask_b32_e32 v62, v62, v64, vcc
	v_lshlrev_b32_e32 v44, 24, v44
	v_lshlrev_b32_e32 v62, 20, v62
	v_and_b32_e32 v44, 0x80000000, v44
	v_lshl_add_u32 v46, v46, 23, v45
	v_or3_b32 v62, v44, v46, v62
.LBB640_349:                            ;   in Loop: Header=BB640_213 Depth=1
	s_or_b64 exec, exec, s[16:17]
.LBB640_350:                            ;   in Loop: Header=BB640_213 Depth=1
	s_or_b64 exec, exec, s[14:15]
.LBB640_351:                            ;   in Loop: Header=BB640_213 Depth=1
	s_or_b64 exec, exec, s[12:13]
	v_cmp_lt_u32_e32 vcc, s20, v42
	v_mov_b32_e32 v46, 0
	v_mov_b32_e32 v64, 0
	s_and_saveexec_b64 s[12:13], vcc
	s_cbranch_execz .LBB640_357
; %bb.352:                              ;   in Loop: Header=BB640_213 Depth=1
	v_lshrrev_b32_e32 v44, 24, v42
	v_cmp_ne_u32_e32 vcc, s9, v44
	v_bfrev_b32_e32 v64, 1
	s_and_saveexec_b64 s[14:15], vcc
	s_cbranch_execz .LBB640_356
; %bb.353:                              ;   in Loop: Header=BB640_213 Depth=1
	v_bfe_u32 v42, v42, 24, 7
	v_cmp_ne_u32_e32 vcc, s19, v42
	v_mov_b32_e32 v64, 0x7f800001
	s_and_saveexec_b64 s[16:17], vcc
	s_cbranch_execz .LBB640_355
; %bb.354:                              ;   in Loop: Header=BB640_213 Depth=1
	v_and_b32_e32 v66, 7, v44
	v_ffbh_u32_e32 v64, v66
	v_min_u32_e32 v68, 32, v64
	v_subrev_u32_e32 v64, 28, v68
	v_lshlrev_b64 v[64:65], v64, v[44:45]
	v_lshrrev_b32_e32 v67, 3, v42
	v_sub_u32_e32 v65, 29, v68
	v_and_b32_e32 v64, 7, v64
	v_cmp_gt_u32_e32 vcc, 8, v42
	v_cndmask_b32_e32 v42, v67, v65, vcc
	v_cndmask_b32_e32 v64, v66, v64, vcc
	v_lshlrev_b32_e32 v44, 24, v44
	v_lshlrev_b32_e32 v64, 20, v64
	v_and_b32_e32 v44, 0x80000000, v44
	v_lshl_add_u32 v42, v42, 23, v45
	v_or3_b32 v64, v44, v42, v64
.LBB640_355:                            ;   in Loop: Header=BB640_213 Depth=1
	s_or_b64 exec, exec, s[16:17]
.LBB640_356:                            ;   in Loop: Header=BB640_213 Depth=1
	s_or_b64 exec, exec, s[14:15]
.LBB640_357:                            ;   in Loop: Header=BB640_213 Depth=1
	s_or_b64 exec, exec, s[12:13]
	v_cvt_pkrtz_f16_f32 v50, v50, v52
	v_cvt_pkrtz_f16_f32 v51, v51, v61
	s_waitcnt vmcnt(1)
	v_cmp_ne_u16_sdwa s[14:15], v40, v43 src0_sel:BYTE_0 src1_sel:DWORD
	v_mfma_f32_16x16x16f16 v[34:37], v[50:51], v[10:11], v[34:37]
	v_cvt_pkrtz_f16_f32 v50, v53, v63
	v_cvt_pkrtz_f16_f32 v51, v62, v64
	s_nop 1
	v_mfma_f32_16x16x16f16 v[34:37], v[50:51], v[12:13], v[34:37]
	s_and_saveexec_b64 s[12:13], s[14:15]
	s_cbranch_execz .LBB640_363
; %bb.358:                              ;   in Loop: Header=BB640_213 Depth=1
	v_cmp_ne_u16_sdwa s[16:17], v40, s9 src0_sel:BYTE_0 src1_sel:DWORD
	v_bfrev_b32_e32 v46, 1
	s_and_saveexec_b64 s[14:15], s[16:17]
	s_cbranch_execz .LBB640_362
; %bb.359:                              ;   in Loop: Header=BB640_213 Depth=1
	v_and_b32_e32 v42, 0x7f, v40
	v_cmp_ne_u32_e32 vcc, s19, v42
	v_mov_b32_e32 v46, 0x7f800001
	s_and_saveexec_b64 s[16:17], vcc
	s_cbranch_execz .LBB640_361
; %bb.360:                              ;   in Loop: Header=BB640_213 Depth=1
	v_and_b32_e32 v44, 7, v40
	v_ffbh_u32_e32 v50, v44
	v_min_u32_e32 v52, 32, v50
	v_subrev_u32_e32 v50, 28, v52
	v_lshlrev_b64 v[50:51], v50, v[40:41]
	v_lshrrev_b32_e32 v46, 3, v42
	v_sub_u32_e32 v51, 29, v52
	v_and_b32_e32 v50, 7, v50
	v_cmp_gt_u32_e32 vcc, 8, v42
	v_cndmask_b32_e32 v42, v46, v51, vcc
	v_cndmask_b32_e32 v44, v44, v50, vcc
	v_lshlrev_b32_e32 v46, 24, v40
	v_lshlrev_b32_e32 v44, 20, v44
	v_and_b32_e32 v46, 0x80000000, v46
	v_lshl_add_u32 v42, v42, 23, v45
	v_or3_b32 v46, v46, v42, v44
.LBB640_361:                            ;   in Loop: Header=BB640_213 Depth=1
	s_or_b64 exec, exec, s[16:17]
.LBB640_362:                            ;   in Loop: Header=BB640_213 Depth=1
	s_or_b64 exec, exec, s[14:15]
.LBB640_363:                            ;   in Loop: Header=BB640_213 Depth=1
	s_or_b64 exec, exec, s[12:13]
	v_lshrrev_b16_e32 v42, 8, v40
	v_cmp_ne_u16_e32 vcc, 0, v42
	v_mov_b32_e32 v44, 0
	v_mov_b32_e32 v51, 0
	s_and_saveexec_b64 s[12:13], vcc
	s_cbranch_execz .LBB640_369
; %bb.364:                              ;   in Loop: Header=BB640_213 Depth=1
	v_cmp_ne_u16_e32 vcc, s9, v42
	v_bfrev_b32_e32 v51, 1
	s_and_saveexec_b64 s[14:15], vcc
	s_cbranch_execz .LBB640_368
; %bb.365:                              ;   in Loop: Header=BB640_213 Depth=1
	v_and_b32_e32 v50, 0x7f, v42
	v_cmp_ne_u32_e32 vcc, s19, v50
	v_mov_b32_e32 v51, 0x7f800001
	s_and_saveexec_b64 s[16:17], vcc
	s_cbranch_execz .LBB640_367
; %bb.366:                              ;   in Loop: Header=BB640_213 Depth=1
	v_and_b32_e32 v51, 7, v42
	v_ffbh_u32_e32 v52, v51
	v_min_u32_e32 v62, 32, v52
	v_subrev_u32_e32 v52, 28, v62
	v_lshlrev_b64 v[52:53], v52, v[42:43]
	v_lshrrev_b32_e32 v61, 3, v50
	v_sub_u32_e32 v42, 29, v62
	v_and_b32_e32 v52, 7, v52
	v_cmp_gt_u32_e32 vcc, 8, v50
	v_cndmask_b32_e32 v42, v61, v42, vcc
	v_cndmask_b32_e32 v50, v51, v52, vcc
	v_lshlrev_b32_e32 v51, 16, v40
	v_lshlrev_b32_e32 v50, 20, v50
	v_and_b32_e32 v51, 0x80000000, v51
	v_lshl_add_u32 v42, v42, 23, v45
	v_or3_b32 v51, v51, v42, v50
.LBB640_367:                            ;   in Loop: Header=BB640_213 Depth=1
	s_or_b64 exec, exec, s[16:17]
.LBB640_368:                            ;   in Loop: Header=BB640_213 Depth=1
	s_or_b64 exec, exec, s[14:15]
.LBB640_369:                            ;   in Loop: Header=BB640_213 Depth=1
	s_or_b64 exec, exec, s[12:13]
	v_lshrrev_b32_e32 v42, 16, v40
	v_cmp_ne_u16_sdwa s[14:15], v42, v43 src0_sel:BYTE_0 src1_sel:DWORD
	s_and_saveexec_b64 s[12:13], s[14:15]
	s_cbranch_execz .LBB640_375
; %bb.370:                              ;   in Loop: Header=BB640_213 Depth=1
	v_cmp_ne_u16_sdwa s[16:17], v42, s9 src0_sel:BYTE_0 src1_sel:DWORD
	v_bfrev_b32_e32 v44, 1
	s_and_saveexec_b64 s[14:15], s[16:17]
	s_cbranch_execz .LBB640_374
; %bb.371:                              ;   in Loop: Header=BB640_213 Depth=1
	v_bfe_u32 v50, v40, 16, 7
	v_cmp_ne_u32_e32 vcc, s19, v50
	v_mov_b32_e32 v44, 0x7f800001
	s_and_saveexec_b64 s[16:17], vcc
	s_cbranch_execz .LBB640_373
; %bb.372:                              ;   in Loop: Header=BB640_213 Depth=1
	v_and_b32_e32 v44, 7, v42
	v_ffbh_u32_e32 v52, v44
	v_min_u32_e32 v62, 32, v52
	v_subrev_u32_e32 v52, 28, v62
	v_lshlrev_b64 v[52:53], v52, v[42:43]
	v_lshrrev_b32_e32 v61, 3, v50
	v_sub_u32_e32 v53, 29, v62
	v_and_b32_e32 v52, 7, v52
	v_cmp_gt_u32_e32 vcc, 8, v50
	v_cndmask_b32_e32 v50, v61, v53, vcc
	v_cndmask_b32_e32 v44, v44, v52, vcc
	v_lshlrev_b32_e32 v42, 24, v42
	v_lshlrev_b32_e32 v44, 20, v44
	v_and_b32_e32 v42, 0x80000000, v42
	v_lshl_add_u32 v50, v50, 23, v45
	v_or3_b32 v44, v42, v50, v44
.LBB640_373:                            ;   in Loop: Header=BB640_213 Depth=1
	s_or_b64 exec, exec, s[16:17]
.LBB640_374:                            ;   in Loop: Header=BB640_213 Depth=1
	s_or_b64 exec, exec, s[14:15]
.LBB640_375:                            ;   in Loop: Header=BB640_213 Depth=1
	s_or_b64 exec, exec, s[12:13]
	v_cmp_lt_u32_e32 vcc, s20, v40
	v_mov_b32_e32 v52, 0
	v_mov_b32_e32 v53, 0
	s_and_saveexec_b64 s[12:13], vcc
	s_cbranch_execz .LBB640_381
; %bb.376:                              ;   in Loop: Header=BB640_213 Depth=1
	v_lshrrev_b32_e32 v42, 24, v40
	v_cmp_ne_u32_e32 vcc, s9, v42
	v_bfrev_b32_e32 v53, 1
	s_and_saveexec_b64 s[14:15], vcc
	s_cbranch_execz .LBB640_380
; %bb.377:                              ;   in Loop: Header=BB640_213 Depth=1
	v_bfe_u32 v40, v40, 24, 7
	v_cmp_ne_u32_e32 vcc, s19, v40
	v_mov_b32_e32 v53, 0x7f800001
	s_and_saveexec_b64 s[16:17], vcc
	s_cbranch_execz .LBB640_379
; %bb.378:                              ;   in Loop: Header=BB640_213 Depth=1
	v_and_b32_e32 v50, 7, v42
	v_ffbh_u32_e32 v61, v50
	v_min_u32_e32 v61, 32, v61
	v_subrev_u32_e32 v62, 28, v61
	v_lshlrev_b64 v[62:63], v62, v[42:43]
	v_lshrrev_b32_e32 v53, 3, v40
	v_sub_u32_e32 v61, 29, v61
	v_and_b32_e32 v62, 7, v62
	v_cmp_gt_u32_e32 vcc, 8, v40
	v_cndmask_b32_e32 v40, v53, v61, vcc
	v_cndmask_b32_e32 v50, v50, v62, vcc
	v_lshlrev_b32_e32 v42, 24, v42
	v_lshlrev_b32_e32 v50, 20, v50
	v_and_b32_e32 v42, 0x80000000, v42
	v_lshl_add_u32 v40, v40, 23, v45
	v_or3_b32 v53, v42, v40, v50
.LBB640_379:                            ;   in Loop: Header=BB640_213 Depth=1
	s_or_b64 exec, exec, s[16:17]
.LBB640_380:                            ;   in Loop: Header=BB640_213 Depth=1
	s_or_b64 exec, exec, s[14:15]
.LBB640_381:                            ;   in Loop: Header=BB640_213 Depth=1
	s_or_b64 exec, exec, s[12:13]
	s_waitcnt vmcnt(0)
	v_cmp_ne_u16_sdwa s[14:15], v38, v43 src0_sel:BYTE_0 src1_sel:DWORD
	s_and_saveexec_b64 s[12:13], s[14:15]
	s_cbranch_execz .LBB640_387
; %bb.382:                              ;   in Loop: Header=BB640_213 Depth=1
	v_cmp_ne_u16_sdwa s[16:17], v38, s9 src0_sel:BYTE_0 src1_sel:DWORD
	v_bfrev_b32_e32 v52, 1
	s_and_saveexec_b64 s[14:15], s[16:17]
	s_cbranch_execz .LBB640_386
; %bb.383:                              ;   in Loop: Header=BB640_213 Depth=1
	v_and_b32_e32 v40, 0x7f, v38
	v_cmp_ne_u32_e32 vcc, s19, v40
	v_mov_b32_e32 v52, 0x7f800001
	s_and_saveexec_b64 s[16:17], vcc
	s_cbranch_execz .LBB640_385
; %bb.384:                              ;   in Loop: Header=BB640_213 Depth=1
	v_and_b32_e32 v42, 7, v38
	v_ffbh_u32_e32 v52, v42
	v_min_u32_e32 v52, 32, v52
	v_subrev_u32_e32 v61, 28, v52
	v_lshlrev_b64 v[62:63], v61, v[38:39]
	v_lshrrev_b32_e32 v50, 3, v40
	v_sub_u32_e32 v52, 29, v52
	v_and_b32_e32 v61, 7, v62
	v_cmp_gt_u32_e32 vcc, 8, v40
	v_cndmask_b32_e32 v40, v50, v52, vcc
	v_cndmask_b32_e32 v42, v42, v61, vcc
	v_lshlrev_b32_e32 v50, 24, v38
	v_lshlrev_b32_e32 v42, 20, v42
	v_and_b32_e32 v50, 0x80000000, v50
	v_lshl_add_u32 v40, v40, 23, v45
	v_or3_b32 v52, v50, v40, v42
.LBB640_385:                            ;   in Loop: Header=BB640_213 Depth=1
	s_or_b64 exec, exec, s[16:17]
.LBB640_386:                            ;   in Loop: Header=BB640_213 Depth=1
	s_or_b64 exec, exec, s[14:15]
.LBB640_387:                            ;   in Loop: Header=BB640_213 Depth=1
	s_or_b64 exec, exec, s[12:13]
	v_lshrrev_b16_e32 v40, 8, v38
	v_cmp_ne_u16_e32 vcc, 0, v40
	v_mov_b32_e32 v61, 0
	v_mov_b32_e32 v62, 0
	s_and_saveexec_b64 s[12:13], vcc
	s_cbranch_execz .LBB640_393
; %bb.388:                              ;   in Loop: Header=BB640_213 Depth=1
	v_cmp_ne_u16_e32 vcc, s9, v40
	v_bfrev_b32_e32 v62, 1
	s_and_saveexec_b64 s[14:15], vcc
	s_cbranch_execz .LBB640_392
; %bb.389:                              ;   in Loop: Header=BB640_213 Depth=1
	v_and_b32_e32 v42, 0x7f, v40
	v_cmp_ne_u32_e32 vcc, s19, v42
	v_mov_b32_e32 v62, 0x7f800001
	s_and_saveexec_b64 s[16:17], vcc
	s_cbranch_execz .LBB640_391
; %bb.390:                              ;   in Loop: Header=BB640_213 Depth=1
	v_and_b32_e32 v50, 7, v40
	v_ffbh_u32_e32 v62, v50
	v_min_u32_e32 v65, 32, v62
	v_subrev_u32_e32 v62, 28, v65
	v_lshlrev_b64 v[62:63], v62, v[40:41]
	v_lshrrev_b32_e32 v64, 3, v42
	v_sub_u32_e32 v40, 29, v65
	v_and_b32_e32 v62, 7, v62
	v_cmp_gt_u32_e32 vcc, 8, v42
	v_cndmask_b32_e32 v40, v64, v40, vcc
	v_cndmask_b32_e32 v42, v50, v62, vcc
	v_lshlrev_b32_e32 v50, 16, v38
	v_lshlrev_b32_e32 v42, 20, v42
	v_and_b32_e32 v50, 0x80000000, v50
	v_lshl_add_u32 v40, v40, 23, v45
	v_or3_b32 v62, v50, v40, v42
.LBB640_391:                            ;   in Loop: Header=BB640_213 Depth=1
	s_or_b64 exec, exec, s[16:17]
.LBB640_392:                            ;   in Loop: Header=BB640_213 Depth=1
	s_or_b64 exec, exec, s[14:15]
.LBB640_393:                            ;   in Loop: Header=BB640_213 Depth=1
	s_or_b64 exec, exec, s[12:13]
	v_lshrrev_b32_e32 v40, 16, v38
	v_cmp_ne_u16_sdwa s[14:15], v40, v43 src0_sel:BYTE_0 src1_sel:DWORD
	s_and_saveexec_b64 s[12:13], s[14:15]
	s_cbranch_execz .LBB640_399
; %bb.394:                              ;   in Loop: Header=BB640_213 Depth=1
	v_cmp_ne_u16_sdwa s[16:17], v40, s9 src0_sel:BYTE_0 src1_sel:DWORD
	v_bfrev_b32_e32 v61, 1
	s_and_saveexec_b64 s[14:15], s[16:17]
	s_cbranch_execz .LBB640_398
; %bb.395:                              ;   in Loop: Header=BB640_213 Depth=1
	v_bfe_u32 v42, v38, 16, 7
	v_cmp_ne_u32_e32 vcc, s19, v42
	v_mov_b32_e32 v61, 0x7f800001
	s_and_saveexec_b64 s[16:17], vcc
	s_cbranch_execz .LBB640_397
; %bb.396:                              ;   in Loop: Header=BB640_213 Depth=1
	v_and_b32_e32 v50, 7, v40
	v_ffbh_u32_e32 v63, v50
	v_min_u32_e32 v63, 32, v63
	v_subrev_u32_e32 v64, 28, v63
	v_lshlrev_b64 v[64:65], v64, v[40:41]
	v_lshrrev_b32_e32 v61, 3, v42
	v_sub_u32_e32 v63, 29, v63
	v_and_b32_e32 v64, 7, v64
	v_cmp_gt_u32_e32 vcc, 8, v42
	v_cndmask_b32_e32 v42, v61, v63, vcc
	v_cndmask_b32_e32 v50, v50, v64, vcc
	v_lshlrev_b32_e32 v40, 24, v40
	v_lshlrev_b32_e32 v50, 20, v50
	v_and_b32_e32 v40, 0x80000000, v40
	v_lshl_add_u32 v42, v42, 23, v45
	v_or3_b32 v61, v40, v42, v50
.LBB640_397:                            ;   in Loop: Header=BB640_213 Depth=1
	s_or_b64 exec, exec, s[16:17]
.LBB640_398:                            ;   in Loop: Header=BB640_213 Depth=1
	s_or_b64 exec, exec, s[14:15]
.LBB640_399:                            ;   in Loop: Header=BB640_213 Depth=1
	s_or_b64 exec, exec, s[12:13]
	v_cmp_lt_u32_e32 vcc, s20, v38
	v_mov_b32_e32 v50, 0
	v_mov_b32_e32 v63, 0
	s_and_saveexec_b64 s[12:13], vcc
	s_cbranch_execz .LBB640_405
; %bb.400:                              ;   in Loop: Header=BB640_213 Depth=1
	v_lshrrev_b32_e32 v40, 24, v38
	v_cmp_ne_u32_e32 vcc, s9, v40
	v_bfrev_b32_e32 v63, 1
	s_and_saveexec_b64 s[14:15], vcc
	s_cbranch_execz .LBB640_404
; %bb.401:                              ;   in Loop: Header=BB640_213 Depth=1
	v_bfe_u32 v38, v38, 24, 7
	v_cmp_ne_u32_e32 vcc, s19, v38
	v_mov_b32_e32 v63, 0x7f800001
	s_and_saveexec_b64 s[16:17], vcc
	s_cbranch_execz .LBB640_403
; %bb.402:                              ;   in Loop: Header=BB640_213 Depth=1
	v_and_b32_e32 v42, 7, v40
	v_ffbh_u32_e32 v64, v42
	v_min_u32_e32 v66, 32, v64
	v_subrev_u32_e32 v64, 28, v66
	v_lshlrev_b64 v[64:65], v64, v[40:41]
	v_lshrrev_b32_e32 v63, 3, v38
	v_sub_u32_e32 v65, 29, v66
	v_and_b32_e32 v64, 7, v64
	v_cmp_gt_u32_e32 vcc, 8, v38
	v_cndmask_b32_e32 v38, v63, v65, vcc
	v_cndmask_b32_e32 v42, v42, v64, vcc
	v_lshlrev_b32_e32 v40, 24, v40
	v_lshlrev_b32_e32 v42, 20, v42
	v_and_b32_e32 v40, 0x80000000, v40
	v_lshl_add_u32 v38, v38, 23, v45
	v_or3_b32 v63, v40, v38, v42
.LBB640_403:                            ;   in Loop: Header=BB640_213 Depth=1
	s_or_b64 exec, exec, s[16:17]
.LBB640_404:                            ;   in Loop: Header=BB640_213 Depth=1
	s_or_b64 exec, exec, s[14:15]
.LBB640_405:                            ;   in Loop: Header=BB640_213 Depth=1
	s_or_b64 exec, exec, s[12:13]
	v_cvt_pkrtz_f16_f32 v65, v44, v53
	buffer_load_dword v44, v60, s[0:3], 0 offen
	buffer_load_dword v42, v60, s[0:3], 0 offen offset:4
	buffer_load_dword v40, v60, s[0:3], 0 offen offset:8
	;; [unrolled: 1-line block ×3, first 2 shown]
	v_cvt_pkrtz_f16_f32 v64, v46, v51
	v_cvt_pkrtz_f16_f32 v52, v52, v62
	;; [unrolled: 1-line block ×3, first 2 shown]
	v_mfma_f32_16x16x16f16 v[34:37], v[64:65], v[14:15], v[34:37]
	s_waitcnt vmcnt(3)
	v_cmp_ne_u16_sdwa s[14:15], v44, v43 src0_sel:BYTE_0 src1_sel:DWORD
	v_mfma_f32_16x16x16f16 v[34:37], v[52:53], v[16:17], v[34:37]
	s_and_saveexec_b64 s[12:13], s[14:15]
	s_cbranch_execz .LBB640_411
; %bb.406:                              ;   in Loop: Header=BB640_213 Depth=1
	v_cmp_ne_u16_sdwa s[16:17], v44, s9 src0_sel:BYTE_0 src1_sel:DWORD
	v_bfrev_b32_e32 v50, 1
	s_and_saveexec_b64 s[14:15], s[16:17]
	s_cbranch_execz .LBB640_410
; %bb.407:                              ;   in Loop: Header=BB640_213 Depth=1
	v_and_b32_e32 v46, 0x7f, v44
	v_cmp_ne_u32_e32 vcc, s19, v46
	v_mov_b32_e32 v50, 0x7f800001
	s_and_saveexec_b64 s[16:17], vcc
	s_cbranch_execz .LBB640_409
; %bb.408:                              ;   in Loop: Header=BB640_213 Depth=1
	v_and_b32_e32 v52, 7, v44
	v_ffbh_u32_e32 v50, v52
	v_min_u32_e32 v60, 32, v50
	v_subrev_u32_e32 v50, 28, v60
	v_lshlrev_b64 v[50:51], v50, v[44:45]
	v_lshrrev_b32_e32 v53, 3, v46
	v_sub_u32_e32 v51, 29, v60
	v_and_b32_e32 v50, 7, v50
	v_cmp_gt_u32_e32 vcc, 8, v46
	v_cndmask_b32_e32 v46, v53, v51, vcc
	v_cndmask_b32_e32 v50, v52, v50, vcc
	v_lshlrev_b32_e32 v51, 24, v44
	v_lshlrev_b32_e32 v50, 20, v50
	v_and_b32_e32 v51, 0x80000000, v51
	v_lshl_add_u32 v46, v46, 23, v45
	v_or3_b32 v50, v51, v46, v50
.LBB640_409:                            ;   in Loop: Header=BB640_213 Depth=1
	s_or_b64 exec, exec, s[16:17]
.LBB640_410:                            ;   in Loop: Header=BB640_213 Depth=1
	s_or_b64 exec, exec, s[14:15]
.LBB640_411:                            ;   in Loop: Header=BB640_213 Depth=1
	s_or_b64 exec, exec, s[12:13]
	v_lshrrev_b16_e32 v46, 8, v44
	v_cmp_ne_u16_e32 vcc, 0, v46
	v_mov_b32_e32 v51, 0
	v_mov_b32_e32 v52, 0
	s_and_saveexec_b64 s[12:13], vcc
	s_cbranch_execz .LBB640_417
; %bb.412:                              ;   in Loop: Header=BB640_213 Depth=1
	v_cmp_ne_u16_e32 vcc, s9, v46
	v_bfrev_b32_e32 v52, 1
	s_and_saveexec_b64 s[14:15], vcc
	s_cbranch_execz .LBB640_416
; %bb.413:                              ;   in Loop: Header=BB640_213 Depth=1
	v_and_b32_e32 v53, 0x7f, v46
	v_cmp_ne_u32_e32 vcc, s19, v53
	v_mov_b32_e32 v52, 0x7f800001
	s_and_saveexec_b64 s[16:17], vcc
	s_cbranch_execz .LBB640_415
; %bb.414:                              ;   in Loop: Header=BB640_213 Depth=1
	v_and_b32_e32 v52, 7, v46
	v_ffbh_u32_e32 v60, v52
	v_min_u32_e32 v63, 32, v60
	v_subrev_u32_e32 v60, 28, v63
	v_lshlrev_b64 v[60:61], v60, v[46:47]
	v_lshrrev_b32_e32 v62, 3, v53
	v_sub_u32_e32 v46, 29, v63
	v_and_b32_e32 v60, 7, v60
	v_cmp_gt_u32_e32 vcc, 8, v53
	v_cndmask_b32_e32 v46, v62, v46, vcc
	v_cndmask_b32_e32 v52, v52, v60, vcc
	v_lshlrev_b32_e32 v53, 16, v44
	v_lshlrev_b32_e32 v52, 20, v52
	v_and_b32_e32 v53, 0x80000000, v53
	v_lshl_add_u32 v46, v46, 23, v45
	v_or3_b32 v52, v53, v46, v52
.LBB640_415:                            ;   in Loop: Header=BB640_213 Depth=1
	s_or_b64 exec, exec, s[16:17]
.LBB640_416:                            ;   in Loop: Header=BB640_213 Depth=1
	s_or_b64 exec, exec, s[14:15]
.LBB640_417:                            ;   in Loop: Header=BB640_213 Depth=1
	s_or_b64 exec, exec, s[12:13]
	v_lshrrev_b32_e32 v46, 16, v44
	v_cmp_ne_u16_sdwa s[14:15], v46, v43 src0_sel:BYTE_0 src1_sel:DWORD
	s_and_saveexec_b64 s[12:13], s[14:15]
	s_cbranch_execz .LBB640_423
; %bb.418:                              ;   in Loop: Header=BB640_213 Depth=1
	v_cmp_ne_u16_sdwa s[16:17], v46, s9 src0_sel:BYTE_0 src1_sel:DWORD
	v_bfrev_b32_e32 v51, 1
	s_and_saveexec_b64 s[14:15], s[16:17]
	s_cbranch_execz .LBB640_422
; %bb.419:                              ;   in Loop: Header=BB640_213 Depth=1
	v_bfe_u32 v53, v44, 16, 7
	v_cmp_ne_u32_e32 vcc, s19, v53
	v_mov_b32_e32 v51, 0x7f800001
	s_and_saveexec_b64 s[16:17], vcc
	s_cbranch_execz .LBB640_421
; %bb.420:                              ;   in Loop: Header=BB640_213 Depth=1
	v_and_b32_e32 v51, 7, v46
	v_ffbh_u32_e32 v60, v51
	v_min_u32_e32 v63, 32, v60
	v_subrev_u32_e32 v60, 28, v63
	v_lshlrev_b64 v[60:61], v60, v[46:47]
	v_lshrrev_b32_e32 v62, 3, v53
	v_sub_u32_e32 v61, 29, v63
	v_and_b32_e32 v60, 7, v60
	v_cmp_gt_u32_e32 vcc, 8, v53
	v_cndmask_b32_e32 v53, v62, v61, vcc
	v_cndmask_b32_e32 v51, v51, v60, vcc
	v_lshlrev_b32_e32 v46, 24, v46
	v_lshlrev_b32_e32 v51, 20, v51
	v_and_b32_e32 v46, 0x80000000, v46
	v_lshl_add_u32 v53, v53, 23, v45
	v_or3_b32 v51, v46, v53, v51
.LBB640_421:                            ;   in Loop: Header=BB640_213 Depth=1
	s_or_b64 exec, exec, s[16:17]
.LBB640_422:                            ;   in Loop: Header=BB640_213 Depth=1
	s_or_b64 exec, exec, s[14:15]
.LBB640_423:                            ;   in Loop: Header=BB640_213 Depth=1
	s_or_b64 exec, exec, s[12:13]
	v_cmp_lt_u32_e32 vcc, s20, v44
	v_mov_b32_e32 v53, 0
	v_mov_b32_e32 v60, 0
	s_and_saveexec_b64 s[12:13], vcc
	s_cbranch_execz .LBB640_429
; %bb.424:                              ;   in Loop: Header=BB640_213 Depth=1
	v_lshrrev_b32_e32 v46, 24, v44
	v_cmp_ne_u32_e32 vcc, s9, v46
	v_bfrev_b32_e32 v60, 1
	s_and_saveexec_b64 s[14:15], vcc
	s_cbranch_execz .LBB640_428
; %bb.425:                              ;   in Loop: Header=BB640_213 Depth=1
	v_bfe_u32 v44, v44, 24, 7
	v_cmp_ne_u32_e32 vcc, s19, v44
	v_mov_b32_e32 v60, 0x7f800001
	s_and_saveexec_b64 s[16:17], vcc
	s_cbranch_execz .LBB640_427
; %bb.426:                              ;   in Loop: Header=BB640_213 Depth=1
	v_and_b32_e32 v62, 7, v46
	v_ffbh_u32_e32 v60, v62
	v_min_u32_e32 v64, 32, v60
	v_subrev_u32_e32 v60, 28, v64
	v_lshlrev_b64 v[60:61], v60, v[46:47]
	v_lshrrev_b32_e32 v63, 3, v44
	v_sub_u32_e32 v61, 29, v64
	v_and_b32_e32 v60, 7, v60
	v_cmp_gt_u32_e32 vcc, 8, v44
	v_cndmask_b32_e32 v44, v63, v61, vcc
	v_cndmask_b32_e32 v60, v62, v60, vcc
	v_lshlrev_b32_e32 v46, 24, v46
	v_lshlrev_b32_e32 v60, 20, v60
	v_and_b32_e32 v46, 0x80000000, v46
	v_lshl_add_u32 v44, v44, 23, v45
	v_or3_b32 v60, v46, v44, v60
.LBB640_427:                            ;   in Loop: Header=BB640_213 Depth=1
	s_or_b64 exec, exec, s[16:17]
.LBB640_428:                            ;   in Loop: Header=BB640_213 Depth=1
	s_or_b64 exec, exec, s[14:15]
.LBB640_429:                            ;   in Loop: Header=BB640_213 Depth=1
	s_or_b64 exec, exec, s[12:13]
	s_waitcnt vmcnt(2)
	v_cmp_ne_u16_sdwa s[14:15], v42, v43 src0_sel:BYTE_0 src1_sel:DWORD
	s_and_saveexec_b64 s[12:13], s[14:15]
	s_cbranch_execz .LBB640_435
; %bb.430:                              ;   in Loop: Header=BB640_213 Depth=1
	v_cmp_ne_u16_sdwa s[16:17], v42, s9 src0_sel:BYTE_0 src1_sel:DWORD
	v_bfrev_b32_e32 v53, 1
	s_and_saveexec_b64 s[14:15], s[16:17]
	s_cbranch_execz .LBB640_434
; %bb.431:                              ;   in Loop: Header=BB640_213 Depth=1
	v_and_b32_e32 v44, 0x7f, v42
	v_cmp_ne_u32_e32 vcc, s19, v44
	v_mov_b32_e32 v53, 0x7f800001
	s_and_saveexec_b64 s[16:17], vcc
	s_cbranch_execz .LBB640_433
; %bb.432:                              ;   in Loop: Header=BB640_213 Depth=1
	v_and_b32_e32 v46, 7, v42
	v_ffbh_u32_e32 v61, v46
	v_min_u32_e32 v61, 32, v61
	v_subrev_u32_e32 v62, 28, v61
	v_lshlrev_b64 v[62:63], v62, v[42:43]
	v_lshrrev_b32_e32 v53, 3, v44
	v_sub_u32_e32 v61, 29, v61
	v_and_b32_e32 v62, 7, v62
	v_cmp_gt_u32_e32 vcc, 8, v44
	v_cndmask_b32_e32 v44, v53, v61, vcc
	v_cndmask_b32_e32 v46, v46, v62, vcc
	v_lshlrev_b32_e32 v53, 24, v42
	v_lshlrev_b32_e32 v46, 20, v46
	v_and_b32_e32 v53, 0x80000000, v53
	v_lshl_add_u32 v44, v44, 23, v45
	v_or3_b32 v53, v53, v44, v46
.LBB640_433:                            ;   in Loop: Header=BB640_213 Depth=1
	s_or_b64 exec, exec, s[16:17]
.LBB640_434:                            ;   in Loop: Header=BB640_213 Depth=1
	s_or_b64 exec, exec, s[14:15]
.LBB640_435:                            ;   in Loop: Header=BB640_213 Depth=1
	s_or_b64 exec, exec, s[12:13]
	v_lshrrev_b16_e32 v44, 8, v42
	v_cmp_ne_u16_e32 vcc, 0, v44
	v_mov_b32_e32 v61, 0
	v_mov_b32_e32 v62, 0
	s_and_saveexec_b64 s[12:13], vcc
	s_cbranch_execz .LBB640_441
; %bb.436:                              ;   in Loop: Header=BB640_213 Depth=1
	v_cmp_ne_u16_e32 vcc, s9, v44
	v_bfrev_b32_e32 v62, 1
	s_and_saveexec_b64 s[14:15], vcc
	s_cbranch_execz .LBB640_440
; %bb.437:                              ;   in Loop: Header=BB640_213 Depth=1
	v_and_b32_e32 v46, 0x7f, v44
	v_cmp_ne_u32_e32 vcc, s19, v46
	v_mov_b32_e32 v62, 0x7f800001
	s_and_saveexec_b64 s[16:17], vcc
	s_cbranch_execz .LBB640_439
; %bb.438:                              ;   in Loop: Header=BB640_213 Depth=1
	v_and_b32_e32 v64, 7, v44
	v_ffbh_u32_e32 v62, v64
	v_min_u32_e32 v66, 32, v62
	v_subrev_u32_e32 v62, 28, v66
	v_lshlrev_b64 v[62:63], v62, v[44:45]
	v_lshrrev_b32_e32 v65, 3, v46
	v_sub_u32_e32 v44, 29, v66
	v_and_b32_e32 v62, 7, v62
	v_cmp_gt_u32_e32 vcc, 8, v46
	v_cndmask_b32_e32 v44, v65, v44, vcc
	v_cndmask_b32_e32 v46, v64, v62, vcc
	v_lshlrev_b32_e32 v62, 16, v42
	v_lshlrev_b32_e32 v46, 20, v46
	v_and_b32_e32 v62, 0x80000000, v62
	v_lshl_add_u32 v44, v44, 23, v45
	v_or3_b32 v62, v62, v44, v46
.LBB640_439:                            ;   in Loop: Header=BB640_213 Depth=1
	s_or_b64 exec, exec, s[16:17]
.LBB640_440:                            ;   in Loop: Header=BB640_213 Depth=1
	s_or_b64 exec, exec, s[14:15]
.LBB640_441:                            ;   in Loop: Header=BB640_213 Depth=1
	s_or_b64 exec, exec, s[12:13]
	v_lshrrev_b32_e32 v44, 16, v42
	v_cmp_ne_u16_sdwa s[14:15], v44, v43 src0_sel:BYTE_0 src1_sel:DWORD
	s_and_saveexec_b64 s[12:13], s[14:15]
	s_cbranch_execz .LBB640_447
; %bb.442:                              ;   in Loop: Header=BB640_213 Depth=1
	v_cmp_ne_u16_sdwa s[16:17], v44, s9 src0_sel:BYTE_0 src1_sel:DWORD
	v_bfrev_b32_e32 v61, 1
	s_and_saveexec_b64 s[14:15], s[16:17]
	s_cbranch_execz .LBB640_446
; %bb.443:                              ;   in Loop: Header=BB640_213 Depth=1
	v_bfe_u32 v46, v42, 16, 7
	v_cmp_ne_u32_e32 vcc, s19, v46
	v_mov_b32_e32 v61, 0x7f800001
	s_and_saveexec_b64 s[16:17], vcc
	s_cbranch_execz .LBB640_445
; %bb.444:                              ;   in Loop: Header=BB640_213 Depth=1
	v_and_b32_e32 v61, 7, v44
	v_ffbh_u32_e32 v64, v61
	v_min_u32_e32 v66, 32, v64
	v_subrev_u32_e32 v64, 28, v66
	v_lshlrev_b64 v[64:65], v64, v[44:45]
	v_lshrrev_b32_e32 v63, 3, v46
	v_sub_u32_e32 v65, 29, v66
	v_and_b32_e32 v64, 7, v64
	v_cmp_gt_u32_e32 vcc, 8, v46
	v_cndmask_b32_e32 v46, v63, v65, vcc
	v_cndmask_b32_e32 v61, v61, v64, vcc
	v_lshlrev_b32_e32 v44, 24, v44
	v_lshlrev_b32_e32 v61, 20, v61
	v_and_b32_e32 v44, 0x80000000, v44
	v_lshl_add_u32 v46, v46, 23, v45
	v_or3_b32 v61, v44, v46, v61
.LBB640_445:                            ;   in Loop: Header=BB640_213 Depth=1
	s_or_b64 exec, exec, s[16:17]
.LBB640_446:                            ;   in Loop: Header=BB640_213 Depth=1
	s_or_b64 exec, exec, s[14:15]
.LBB640_447:                            ;   in Loop: Header=BB640_213 Depth=1
	s_or_b64 exec, exec, s[12:13]
	v_cmp_lt_u32_e32 vcc, s20, v42
	v_mov_b32_e32 v46, 0
	v_mov_b32_e32 v63, 0
	s_and_saveexec_b64 s[12:13], vcc
	s_cbranch_execz .LBB640_453
; %bb.448:                              ;   in Loop: Header=BB640_213 Depth=1
	v_lshrrev_b32_e32 v44, 24, v42
	v_cmp_ne_u32_e32 vcc, s9, v44
	v_bfrev_b32_e32 v63, 1
	s_and_saveexec_b64 s[14:15], vcc
	s_cbranch_execz .LBB640_452
; %bb.449:                              ;   in Loop: Header=BB640_213 Depth=1
	v_bfe_u32 v42, v42, 24, 7
	v_cmp_ne_u32_e32 vcc, s19, v42
	v_mov_b32_e32 v63, 0x7f800001
	s_and_saveexec_b64 s[16:17], vcc
	s_cbranch_execz .LBB640_451
; %bb.450:                              ;   in Loop: Header=BB640_213 Depth=1
	v_and_b32_e32 v63, 7, v44
	v_ffbh_u32_e32 v64, v63
	v_min_u32_e32 v67, 32, v64
	v_subrev_u32_e32 v64, 28, v67
	v_lshlrev_b64 v[64:65], v64, v[44:45]
	v_lshrrev_b32_e32 v66, 3, v42
	v_sub_u32_e32 v65, 29, v67
	v_and_b32_e32 v64, 7, v64
	v_cmp_gt_u32_e32 vcc, 8, v42
	v_cndmask_b32_e32 v42, v66, v65, vcc
	v_cndmask_b32_e32 v63, v63, v64, vcc
	v_lshlrev_b32_e32 v44, 24, v44
	v_lshlrev_b32_e32 v63, 20, v63
	v_and_b32_e32 v44, 0x80000000, v44
	v_lshl_add_u32 v42, v42, 23, v45
	v_or3_b32 v63, v44, v42, v63
.LBB640_451:                            ;   in Loop: Header=BB640_213 Depth=1
	s_or_b64 exec, exec, s[16:17]
.LBB640_452:                            ;   in Loop: Header=BB640_213 Depth=1
	s_or_b64 exec, exec, s[14:15]
.LBB640_453:                            ;   in Loop: Header=BB640_213 Depth=1
	s_or_b64 exec, exec, s[12:13]
	v_cvt_pkrtz_f16_f32 v50, v50, v52
	v_cvt_pkrtz_f16_f32 v51, v51, v60
	s_waitcnt vmcnt(1)
	v_cmp_ne_u16_sdwa s[14:15], v40, v43 src0_sel:BYTE_0 src1_sel:DWORD
	v_mfma_f32_16x16x16f16 v[34:37], v[50:51], v[18:19], v[34:37]
	v_cvt_pkrtz_f16_f32 v50, v53, v62
	v_cvt_pkrtz_f16_f32 v51, v61, v63
	s_nop 1
	v_mfma_f32_16x16x16f16 v[34:37], v[50:51], v[20:21], v[34:37]
	s_and_saveexec_b64 s[12:13], s[14:15]
	s_cbranch_execz .LBB640_459
; %bb.454:                              ;   in Loop: Header=BB640_213 Depth=1
	v_cmp_ne_u16_sdwa s[16:17], v40, s9 src0_sel:BYTE_0 src1_sel:DWORD
	v_bfrev_b32_e32 v46, 1
	s_and_saveexec_b64 s[14:15], s[16:17]
	s_cbranch_execz .LBB640_458
; %bb.455:                              ;   in Loop: Header=BB640_213 Depth=1
	v_and_b32_e32 v42, 0x7f, v40
	v_cmp_ne_u32_e32 vcc, s19, v42
	v_mov_b32_e32 v46, 0x7f800001
	s_and_saveexec_b64 s[16:17], vcc
	s_cbranch_execz .LBB640_457
; %bb.456:                              ;   in Loop: Header=BB640_213 Depth=1
	v_and_b32_e32 v44, 7, v40
	v_ffbh_u32_e32 v50, v44
	v_min_u32_e32 v52, 32, v50
	v_subrev_u32_e32 v50, 28, v52
	v_lshlrev_b64 v[50:51], v50, v[40:41]
	v_lshrrev_b32_e32 v46, 3, v42
	v_sub_u32_e32 v51, 29, v52
	v_and_b32_e32 v50, 7, v50
	v_cmp_gt_u32_e32 vcc, 8, v42
	v_cndmask_b32_e32 v42, v46, v51, vcc
	v_cndmask_b32_e32 v44, v44, v50, vcc
	v_lshlrev_b32_e32 v46, 24, v40
	v_lshlrev_b32_e32 v44, 20, v44
	v_and_b32_e32 v46, 0x80000000, v46
	v_lshl_add_u32 v42, v42, 23, v45
	v_or3_b32 v46, v46, v42, v44
.LBB640_457:                            ;   in Loop: Header=BB640_213 Depth=1
	s_or_b64 exec, exec, s[16:17]
.LBB640_458:                            ;   in Loop: Header=BB640_213 Depth=1
	s_or_b64 exec, exec, s[14:15]
.LBB640_459:                            ;   in Loop: Header=BB640_213 Depth=1
	s_or_b64 exec, exec, s[12:13]
	v_lshrrev_b16_e32 v42, 8, v40
	v_cmp_ne_u16_e32 vcc, 0, v42
	v_mov_b32_e32 v44, 0
	v_mov_b32_e32 v51, 0
	s_and_saveexec_b64 s[12:13], vcc
	s_cbranch_execz .LBB640_465
; %bb.460:                              ;   in Loop: Header=BB640_213 Depth=1
	v_cmp_ne_u16_e32 vcc, s9, v42
	v_bfrev_b32_e32 v51, 1
	s_and_saveexec_b64 s[14:15], vcc
	s_cbranch_execz .LBB640_464
; %bb.461:                              ;   in Loop: Header=BB640_213 Depth=1
	v_and_b32_e32 v50, 0x7f, v42
	v_cmp_ne_u32_e32 vcc, s19, v50
	v_mov_b32_e32 v51, 0x7f800001
	s_and_saveexec_b64 s[16:17], vcc
	s_cbranch_execz .LBB640_463
; %bb.462:                              ;   in Loop: Header=BB640_213 Depth=1
	v_and_b32_e32 v51, 7, v42
	v_ffbh_u32_e32 v52, v51
	v_min_u32_e32 v61, 32, v52
	v_subrev_u32_e32 v52, 28, v61
	v_lshlrev_b64 v[52:53], v52, v[42:43]
	v_lshrrev_b32_e32 v60, 3, v50
	v_sub_u32_e32 v42, 29, v61
	v_and_b32_e32 v52, 7, v52
	v_cmp_gt_u32_e32 vcc, 8, v50
	v_cndmask_b32_e32 v42, v60, v42, vcc
	v_cndmask_b32_e32 v50, v51, v52, vcc
	v_lshlrev_b32_e32 v51, 16, v40
	v_lshlrev_b32_e32 v50, 20, v50
	v_and_b32_e32 v51, 0x80000000, v51
	v_lshl_add_u32 v42, v42, 23, v45
	v_or3_b32 v51, v51, v42, v50
.LBB640_463:                            ;   in Loop: Header=BB640_213 Depth=1
	s_or_b64 exec, exec, s[16:17]
.LBB640_464:                            ;   in Loop: Header=BB640_213 Depth=1
	s_or_b64 exec, exec, s[14:15]
.LBB640_465:                            ;   in Loop: Header=BB640_213 Depth=1
	s_or_b64 exec, exec, s[12:13]
	v_lshrrev_b32_e32 v42, 16, v40
	v_cmp_ne_u16_sdwa s[14:15], v42, v43 src0_sel:BYTE_0 src1_sel:DWORD
	s_and_saveexec_b64 s[12:13], s[14:15]
	s_cbranch_execz .LBB640_471
; %bb.466:                              ;   in Loop: Header=BB640_213 Depth=1
	v_cmp_ne_u16_sdwa s[16:17], v42, s9 src0_sel:BYTE_0 src1_sel:DWORD
	v_bfrev_b32_e32 v44, 1
	s_and_saveexec_b64 s[14:15], s[16:17]
	s_cbranch_execz .LBB640_470
; %bb.467:                              ;   in Loop: Header=BB640_213 Depth=1
	v_bfe_u32 v50, v40, 16, 7
	v_cmp_ne_u32_e32 vcc, s19, v50
	v_mov_b32_e32 v44, 0x7f800001
	s_and_saveexec_b64 s[16:17], vcc
	s_cbranch_execz .LBB640_469
; %bb.468:                              ;   in Loop: Header=BB640_213 Depth=1
	v_and_b32_e32 v44, 7, v42
	v_ffbh_u32_e32 v52, v44
	v_min_u32_e32 v61, 32, v52
	v_subrev_u32_e32 v52, 28, v61
	v_lshlrev_b64 v[52:53], v52, v[42:43]
	v_lshrrev_b32_e32 v60, 3, v50
	v_sub_u32_e32 v53, 29, v61
	v_and_b32_e32 v52, 7, v52
	v_cmp_gt_u32_e32 vcc, 8, v50
	v_cndmask_b32_e32 v50, v60, v53, vcc
	v_cndmask_b32_e32 v44, v44, v52, vcc
	v_lshlrev_b32_e32 v42, 24, v42
	v_lshlrev_b32_e32 v44, 20, v44
	v_and_b32_e32 v42, 0x80000000, v42
	v_lshl_add_u32 v50, v50, 23, v45
	v_or3_b32 v44, v42, v50, v44
.LBB640_469:                            ;   in Loop: Header=BB640_213 Depth=1
	s_or_b64 exec, exec, s[16:17]
.LBB640_470:                            ;   in Loop: Header=BB640_213 Depth=1
	s_or_b64 exec, exec, s[14:15]
.LBB640_471:                            ;   in Loop: Header=BB640_213 Depth=1
	s_or_b64 exec, exec, s[12:13]
	v_cmp_lt_u32_e32 vcc, s20, v40
	v_mov_b32_e32 v52, 0
	v_mov_b32_e32 v53, 0
	s_and_saveexec_b64 s[12:13], vcc
	s_cbranch_execz .LBB640_477
; %bb.472:                              ;   in Loop: Header=BB640_213 Depth=1
	v_lshrrev_b32_e32 v42, 24, v40
	v_cmp_ne_u32_e32 vcc, s9, v42
	v_bfrev_b32_e32 v53, 1
	s_and_saveexec_b64 s[14:15], vcc
	s_cbranch_execz .LBB640_476
; %bb.473:                              ;   in Loop: Header=BB640_213 Depth=1
	v_bfe_u32 v40, v40, 24, 7
	v_cmp_ne_u32_e32 vcc, s19, v40
	v_mov_b32_e32 v53, 0x7f800001
	s_and_saveexec_b64 s[16:17], vcc
	s_cbranch_execz .LBB640_475
; %bb.474:                              ;   in Loop: Header=BB640_213 Depth=1
	v_and_b32_e32 v50, 7, v42
	v_ffbh_u32_e32 v60, v50
	v_min_u32_e32 v62, 32, v60
	v_subrev_u32_e32 v60, 28, v62
	v_lshlrev_b64 v[60:61], v60, v[42:43]
	v_lshrrev_b32_e32 v53, 3, v40
	v_sub_u32_e32 v61, 29, v62
	v_and_b32_e32 v60, 7, v60
	v_cmp_gt_u32_e32 vcc, 8, v40
	v_cndmask_b32_e32 v40, v53, v61, vcc
	v_cndmask_b32_e32 v50, v50, v60, vcc
	v_lshlrev_b32_e32 v42, 24, v42
	v_lshlrev_b32_e32 v50, 20, v50
	v_and_b32_e32 v42, 0x80000000, v42
	v_lshl_add_u32 v40, v40, 23, v45
	v_or3_b32 v53, v42, v40, v50
.LBB640_475:                            ;   in Loop: Header=BB640_213 Depth=1
	s_or_b64 exec, exec, s[16:17]
.LBB640_476:                            ;   in Loop: Header=BB640_213 Depth=1
	s_or_b64 exec, exec, s[14:15]
.LBB640_477:                            ;   in Loop: Header=BB640_213 Depth=1
	s_or_b64 exec, exec, s[12:13]
	s_waitcnt vmcnt(0)
	v_cmp_ne_u16_sdwa s[14:15], v38, v43 src0_sel:BYTE_0 src1_sel:DWORD
	s_and_saveexec_b64 s[12:13], s[14:15]
	s_cbranch_execz .LBB640_483
; %bb.478:                              ;   in Loop: Header=BB640_213 Depth=1
	v_cmp_ne_u16_sdwa s[16:17], v38, s9 src0_sel:BYTE_0 src1_sel:DWORD
	v_bfrev_b32_e32 v52, 1
	s_and_saveexec_b64 s[14:15], s[16:17]
	s_cbranch_execz .LBB640_482
; %bb.479:                              ;   in Loop: Header=BB640_213 Depth=1
	v_and_b32_e32 v40, 0x7f, v38
	v_cmp_ne_u32_e32 vcc, s19, v40
	v_mov_b32_e32 v52, 0x7f800001
	s_and_saveexec_b64 s[16:17], vcc
	s_cbranch_execz .LBB640_481
; %bb.480:                              ;   in Loop: Header=BB640_213 Depth=1
	v_and_b32_e32 v42, 7, v38
	v_ffbh_u32_e32 v52, v42
	v_min_u32_e32 v52, 32, v52
	v_subrev_u32_e32 v60, 28, v52
	v_lshlrev_b64 v[60:61], v60, v[38:39]
	v_lshrrev_b32_e32 v50, 3, v40
	v_sub_u32_e32 v52, 29, v52
	v_and_b32_e32 v60, 7, v60
	v_cmp_gt_u32_e32 vcc, 8, v40
	v_cndmask_b32_e32 v40, v50, v52, vcc
	v_cndmask_b32_e32 v42, v42, v60, vcc
	v_lshlrev_b32_e32 v50, 24, v38
	v_lshlrev_b32_e32 v42, 20, v42
	v_and_b32_e32 v50, 0x80000000, v50
	v_lshl_add_u32 v40, v40, 23, v45
	v_or3_b32 v52, v50, v40, v42
.LBB640_481:                            ;   in Loop: Header=BB640_213 Depth=1
	s_or_b64 exec, exec, s[16:17]
.LBB640_482:                            ;   in Loop: Header=BB640_213 Depth=1
	s_or_b64 exec, exec, s[14:15]
.LBB640_483:                            ;   in Loop: Header=BB640_213 Depth=1
	s_or_b64 exec, exec, s[12:13]
	v_lshrrev_b16_e32 v40, 8, v38
	v_cmp_ne_u16_e32 vcc, 0, v40
	v_mov_b32_e32 v60, 0
	v_mov_b32_e32 v61, 0
	s_and_saveexec_b64 s[12:13], vcc
	s_cbranch_execz .LBB640_489
; %bb.484:                              ;   in Loop: Header=BB640_213 Depth=1
	v_cmp_ne_u16_e32 vcc, s9, v40
	v_bfrev_b32_e32 v61, 1
	s_and_saveexec_b64 s[14:15], vcc
	s_cbranch_execz .LBB640_488
; %bb.485:                              ;   in Loop: Header=BB640_213 Depth=1
	v_and_b32_e32 v42, 0x7f, v40
	v_cmp_ne_u32_e32 vcc, s19, v42
	v_mov_b32_e32 v61, 0x7f800001
	s_and_saveexec_b64 s[16:17], vcc
	s_cbranch_execz .LBB640_487
; %bb.486:                              ;   in Loop: Header=BB640_213 Depth=1
	v_and_b32_e32 v50, 7, v40
	v_ffbh_u32_e32 v62, v50
	v_min_u32_e32 v64, 32, v62
	v_subrev_u32_e32 v62, 28, v64
	v_lshlrev_b64 v[62:63], v62, v[40:41]
	v_lshrrev_b32_e32 v61, 3, v42
	v_sub_u32_e32 v40, 29, v64
	v_and_b32_e32 v62, 7, v62
	v_cmp_gt_u32_e32 vcc, 8, v42
	v_cndmask_b32_e32 v40, v61, v40, vcc
	v_cndmask_b32_e32 v42, v50, v62, vcc
	v_lshlrev_b32_e32 v50, 16, v38
	v_lshlrev_b32_e32 v42, 20, v42
	v_and_b32_e32 v50, 0x80000000, v50
	v_lshl_add_u32 v40, v40, 23, v45
	v_or3_b32 v61, v50, v40, v42
.LBB640_487:                            ;   in Loop: Header=BB640_213 Depth=1
	s_or_b64 exec, exec, s[16:17]
.LBB640_488:                            ;   in Loop: Header=BB640_213 Depth=1
	s_or_b64 exec, exec, s[14:15]
.LBB640_489:                            ;   in Loop: Header=BB640_213 Depth=1
	s_or_b64 exec, exec, s[12:13]
	v_lshrrev_b32_e32 v40, 16, v38
	v_cmp_ne_u16_sdwa s[14:15], v40, v43 src0_sel:BYTE_0 src1_sel:DWORD
	s_and_saveexec_b64 s[12:13], s[14:15]
	s_cbranch_execz .LBB640_495
; %bb.490:                              ;   in Loop: Header=BB640_213 Depth=1
	v_cmp_ne_u16_sdwa s[16:17], v40, s9 src0_sel:BYTE_0 src1_sel:DWORD
	v_bfrev_b32_e32 v60, 1
	s_and_saveexec_b64 s[14:15], s[16:17]
	s_cbranch_execz .LBB640_494
; %bb.491:                              ;   in Loop: Header=BB640_213 Depth=1
	v_bfe_u32 v42, v38, 16, 7
	v_cmp_ne_u32_e32 vcc, s19, v42
	v_mov_b32_e32 v60, 0x7f800001
	s_and_saveexec_b64 s[16:17], vcc
	s_cbranch_execz .LBB640_493
; %bb.492:                              ;   in Loop: Header=BB640_213 Depth=1
	v_and_b32_e32 v50, 7, v40
	v_ffbh_u32_e32 v62, v50
	v_min_u32_e32 v64, 32, v62
	v_subrev_u32_e32 v62, 28, v64
	v_lshlrev_b64 v[62:63], v62, v[40:41]
	v_lshrrev_b32_e32 v60, 3, v42
	v_sub_u32_e32 v63, 29, v64
	v_and_b32_e32 v62, 7, v62
	v_cmp_gt_u32_e32 vcc, 8, v42
	v_cndmask_b32_e32 v42, v60, v63, vcc
	v_cndmask_b32_e32 v50, v50, v62, vcc
	v_lshlrev_b32_e32 v40, 24, v40
	v_lshlrev_b32_e32 v50, 20, v50
	v_and_b32_e32 v40, 0x80000000, v40
	v_lshl_add_u32 v42, v42, 23, v45
	v_or3_b32 v60, v40, v42, v50
.LBB640_493:                            ;   in Loop: Header=BB640_213 Depth=1
	s_or_b64 exec, exec, s[16:17]
.LBB640_494:                            ;   in Loop: Header=BB640_213 Depth=1
	s_or_b64 exec, exec, s[14:15]
.LBB640_495:                            ;   in Loop: Header=BB640_213 Depth=1
	s_or_b64 exec, exec, s[12:13]
	v_cmp_lt_u32_e32 vcc, s20, v38
	v_mov_b32_e32 v50, 0
	v_mov_b32_e32 v62, 0
	s_and_saveexec_b64 s[12:13], vcc
	s_cbranch_execz .LBB640_501
; %bb.496:                              ;   in Loop: Header=BB640_213 Depth=1
	v_lshrrev_b32_e32 v40, 24, v38
	v_cmp_ne_u32_e32 vcc, s9, v40
	v_bfrev_b32_e32 v62, 1
	s_and_saveexec_b64 s[14:15], vcc
	s_cbranch_execz .LBB640_500
; %bb.497:                              ;   in Loop: Header=BB640_213 Depth=1
	v_bfe_u32 v38, v38, 24, 7
	v_cmp_ne_u32_e32 vcc, s19, v38
	v_mov_b32_e32 v62, 0x7f800001
	s_and_saveexec_b64 s[16:17], vcc
	s_cbranch_execz .LBB640_499
; %bb.498:                              ;   in Loop: Header=BB640_213 Depth=1
	v_and_b32_e32 v42, 7, v40
	v_ffbh_u32_e32 v62, v42
	v_min_u32_e32 v65, 32, v62
	v_subrev_u32_e32 v62, 28, v65
	v_lshlrev_b64 v[62:63], v62, v[40:41]
	v_lshrrev_b32_e32 v64, 3, v38
	v_sub_u32_e32 v63, 29, v65
	v_and_b32_e32 v62, 7, v62
	v_cmp_gt_u32_e32 vcc, 8, v38
	v_cndmask_b32_e32 v38, v64, v63, vcc
	v_cndmask_b32_e32 v42, v42, v62, vcc
	v_lshlrev_b32_e32 v40, 24, v40
	v_lshlrev_b32_e32 v42, 20, v42
	v_and_b32_e32 v40, 0x80000000, v40
	v_lshl_add_u32 v38, v38, 23, v45
	v_or3_b32 v62, v40, v38, v42
.LBB640_499:                            ;   in Loop: Header=BB640_213 Depth=1
	s_or_b64 exec, exec, s[16:17]
.LBB640_500:                            ;   in Loop: Header=BB640_213 Depth=1
	s_or_b64 exec, exec, s[14:15]
.LBB640_501:                            ;   in Loop: Header=BB640_213 Depth=1
	s_or_b64 exec, exec, s[12:13]
	v_cvt_pkrtz_f16_f32 v65, v44, v53
	buffer_load_dword v44, v59, s[0:3], 0 offen
	buffer_load_dword v42, v59, s[0:3], 0 offen offset:4
	buffer_load_dword v40, v59, s[0:3], 0 offen offset:8
	;; [unrolled: 1-line block ×3, first 2 shown]
	v_cvt_pkrtz_f16_f32 v64, v46, v51
	v_cvt_pkrtz_f16_f32 v52, v52, v61
	;; [unrolled: 1-line block ×3, first 2 shown]
	v_mfma_f32_16x16x16f16 v[34:37], v[64:65], v[22:23], v[34:37]
	s_waitcnt vmcnt(3)
	v_cmp_ne_u16_sdwa s[14:15], v44, v43 src0_sel:BYTE_0 src1_sel:DWORD
	v_mfma_f32_16x16x16f16 v[34:37], v[52:53], v[24:25], v[34:37]
	s_and_saveexec_b64 s[12:13], s[14:15]
	s_cbranch_execz .LBB640_507
; %bb.502:                              ;   in Loop: Header=BB640_213 Depth=1
	v_cmp_ne_u16_sdwa s[16:17], v44, s9 src0_sel:BYTE_0 src1_sel:DWORD
	v_bfrev_b32_e32 v50, 1
	s_and_saveexec_b64 s[14:15], s[16:17]
	s_cbranch_execz .LBB640_506
; %bb.503:                              ;   in Loop: Header=BB640_213 Depth=1
	v_and_b32_e32 v46, 0x7f, v44
	v_cmp_ne_u32_e32 vcc, s19, v46
	v_mov_b32_e32 v50, 0x7f800001
	s_and_saveexec_b64 s[16:17], vcc
	s_cbranch_execz .LBB640_505
; %bb.504:                              ;   in Loop: Header=BB640_213 Depth=1
	v_and_b32_e32 v52, 7, v44
	v_ffbh_u32_e32 v50, v52
	v_min_u32_e32 v59, 32, v50
	v_subrev_u32_e32 v50, 28, v59
	v_lshlrev_b64 v[50:51], v50, v[44:45]
	v_lshrrev_b32_e32 v53, 3, v46
	v_sub_u32_e32 v51, 29, v59
	v_and_b32_e32 v50, 7, v50
	v_cmp_gt_u32_e32 vcc, 8, v46
	v_cndmask_b32_e32 v46, v53, v51, vcc
	v_cndmask_b32_e32 v50, v52, v50, vcc
	v_lshlrev_b32_e32 v51, 24, v44
	v_lshlrev_b32_e32 v50, 20, v50
	v_and_b32_e32 v51, 0x80000000, v51
	v_lshl_add_u32 v46, v46, 23, v45
	v_or3_b32 v50, v51, v46, v50
.LBB640_505:                            ;   in Loop: Header=BB640_213 Depth=1
	s_or_b64 exec, exec, s[16:17]
.LBB640_506:                            ;   in Loop: Header=BB640_213 Depth=1
	s_or_b64 exec, exec, s[14:15]
.LBB640_507:                            ;   in Loop: Header=BB640_213 Depth=1
	s_or_b64 exec, exec, s[12:13]
	v_lshrrev_b16_e32 v46, 8, v44
	v_cmp_ne_u16_e32 vcc, 0, v46
	v_mov_b32_e32 v51, 0
	v_mov_b32_e32 v52, 0
	s_and_saveexec_b64 s[12:13], vcc
	s_cbranch_execz .LBB640_513
; %bb.508:                              ;   in Loop: Header=BB640_213 Depth=1
	v_cmp_ne_u16_e32 vcc, s9, v46
	v_bfrev_b32_e32 v52, 1
	s_and_saveexec_b64 s[14:15], vcc
	s_cbranch_execz .LBB640_512
; %bb.509:                              ;   in Loop: Header=BB640_213 Depth=1
	v_and_b32_e32 v53, 0x7f, v46
	v_cmp_ne_u32_e32 vcc, s19, v53
	v_mov_b32_e32 v52, 0x7f800001
	s_and_saveexec_b64 s[16:17], vcc
	s_cbranch_execz .LBB640_511
; %bb.510:                              ;   in Loop: Header=BB640_213 Depth=1
	v_and_b32_e32 v52, 7, v46
	v_ffbh_u32_e32 v60, v52
	v_min_u32_e32 v62, 32, v60
	v_subrev_u32_e32 v60, 28, v62
	v_lshlrev_b64 v[60:61], v60, v[46:47]
	v_lshrrev_b32_e32 v59, 3, v53
	v_sub_u32_e32 v46, 29, v62
	v_and_b32_e32 v60, 7, v60
	v_cmp_gt_u32_e32 vcc, 8, v53
	v_cndmask_b32_e32 v46, v59, v46, vcc
	v_cndmask_b32_e32 v52, v52, v60, vcc
	v_lshlrev_b32_e32 v53, 16, v44
	v_lshlrev_b32_e32 v52, 20, v52
	v_and_b32_e32 v53, 0x80000000, v53
	v_lshl_add_u32 v46, v46, 23, v45
	v_or3_b32 v52, v53, v46, v52
.LBB640_511:                            ;   in Loop: Header=BB640_213 Depth=1
	s_or_b64 exec, exec, s[16:17]
.LBB640_512:                            ;   in Loop: Header=BB640_213 Depth=1
	s_or_b64 exec, exec, s[14:15]
.LBB640_513:                            ;   in Loop: Header=BB640_213 Depth=1
	s_or_b64 exec, exec, s[12:13]
	v_lshrrev_b32_e32 v46, 16, v44
	v_cmp_ne_u16_sdwa s[14:15], v46, v43 src0_sel:BYTE_0 src1_sel:DWORD
	s_and_saveexec_b64 s[12:13], s[14:15]
	s_cbranch_execz .LBB640_519
; %bb.514:                              ;   in Loop: Header=BB640_213 Depth=1
	v_cmp_ne_u16_sdwa s[16:17], v46, s9 src0_sel:BYTE_0 src1_sel:DWORD
	v_bfrev_b32_e32 v51, 1
	s_and_saveexec_b64 s[14:15], s[16:17]
	s_cbranch_execz .LBB640_518
; %bb.515:                              ;   in Loop: Header=BB640_213 Depth=1
	v_bfe_u32 v53, v44, 16, 7
	v_cmp_ne_u32_e32 vcc, s19, v53
	v_mov_b32_e32 v51, 0x7f800001
	s_and_saveexec_b64 s[16:17], vcc
	s_cbranch_execz .LBB640_517
; %bb.516:                              ;   in Loop: Header=BB640_213 Depth=1
	v_and_b32_e32 v51, 7, v46
	v_ffbh_u32_e32 v60, v51
	v_min_u32_e32 v62, 32, v60
	v_subrev_u32_e32 v60, 28, v62
	v_lshlrev_b64 v[60:61], v60, v[46:47]
	v_lshrrev_b32_e32 v59, 3, v53
	v_sub_u32_e32 v61, 29, v62
	v_and_b32_e32 v60, 7, v60
	v_cmp_gt_u32_e32 vcc, 8, v53
	v_cndmask_b32_e32 v53, v59, v61, vcc
	v_cndmask_b32_e32 v51, v51, v60, vcc
	v_lshlrev_b32_e32 v46, 24, v46
	v_lshlrev_b32_e32 v51, 20, v51
	v_and_b32_e32 v46, 0x80000000, v46
	v_lshl_add_u32 v53, v53, 23, v45
	v_or3_b32 v51, v46, v53, v51
.LBB640_517:                            ;   in Loop: Header=BB640_213 Depth=1
	s_or_b64 exec, exec, s[16:17]
.LBB640_518:                            ;   in Loop: Header=BB640_213 Depth=1
	s_or_b64 exec, exec, s[14:15]
.LBB640_519:                            ;   in Loop: Header=BB640_213 Depth=1
	s_or_b64 exec, exec, s[12:13]
	v_cmp_lt_u32_e32 vcc, s20, v44
	v_mov_b32_e32 v53, 0
	v_mov_b32_e32 v59, 0
	s_and_saveexec_b64 s[12:13], vcc
	s_cbranch_execz .LBB640_525
; %bb.520:                              ;   in Loop: Header=BB640_213 Depth=1
	v_lshrrev_b32_e32 v46, 24, v44
	v_cmp_ne_u32_e32 vcc, s9, v46
	v_bfrev_b32_e32 v59, 1
	s_and_saveexec_b64 s[14:15], vcc
	s_cbranch_execz .LBB640_524
; %bb.521:                              ;   in Loop: Header=BB640_213 Depth=1
	v_bfe_u32 v44, v44, 24, 7
	v_cmp_ne_u32_e32 vcc, s19, v44
	v_mov_b32_e32 v59, 0x7f800001
	s_and_saveexec_b64 s[16:17], vcc
	s_cbranch_execz .LBB640_523
; %bb.522:                              ;   in Loop: Header=BB640_213 Depth=1
	v_and_b32_e32 v59, 7, v46
	v_ffbh_u32_e32 v60, v59
	v_min_u32_e32 v63, 32, v60
	v_subrev_u32_e32 v60, 28, v63
	v_lshlrev_b64 v[60:61], v60, v[46:47]
	v_lshrrev_b32_e32 v62, 3, v44
	v_sub_u32_e32 v61, 29, v63
	v_and_b32_e32 v60, 7, v60
	v_cmp_gt_u32_e32 vcc, 8, v44
	v_cndmask_b32_e32 v44, v62, v61, vcc
	v_cndmask_b32_e32 v59, v59, v60, vcc
	v_lshlrev_b32_e32 v46, 24, v46
	v_lshlrev_b32_e32 v59, 20, v59
	v_and_b32_e32 v46, 0x80000000, v46
	v_lshl_add_u32 v44, v44, 23, v45
	v_or3_b32 v59, v46, v44, v59
.LBB640_523:                            ;   in Loop: Header=BB640_213 Depth=1
	s_or_b64 exec, exec, s[16:17]
.LBB640_524:                            ;   in Loop: Header=BB640_213 Depth=1
	s_or_b64 exec, exec, s[14:15]
.LBB640_525:                            ;   in Loop: Header=BB640_213 Depth=1
	s_or_b64 exec, exec, s[12:13]
	s_waitcnt vmcnt(2)
	v_cmp_ne_u16_sdwa s[14:15], v42, v43 src0_sel:BYTE_0 src1_sel:DWORD
	s_and_saveexec_b64 s[12:13], s[14:15]
	s_cbranch_execz .LBB640_531
; %bb.526:                              ;   in Loop: Header=BB640_213 Depth=1
	v_cmp_ne_u16_sdwa s[16:17], v42, s9 src0_sel:BYTE_0 src1_sel:DWORD
	v_bfrev_b32_e32 v53, 1
	s_and_saveexec_b64 s[14:15], s[16:17]
	s_cbranch_execz .LBB640_530
; %bb.527:                              ;   in Loop: Header=BB640_213 Depth=1
	v_and_b32_e32 v44, 0x7f, v42
	v_cmp_ne_u32_e32 vcc, s19, v44
	v_mov_b32_e32 v53, 0x7f800001
	s_and_saveexec_b64 s[16:17], vcc
	s_cbranch_execz .LBB640_529
; %bb.528:                              ;   in Loop: Header=BB640_213 Depth=1
	v_and_b32_e32 v46, 7, v42
	v_ffbh_u32_e32 v60, v46
	v_min_u32_e32 v62, 32, v60
	v_subrev_u32_e32 v60, 28, v62
	v_lshlrev_b64 v[60:61], v60, v[42:43]
	v_lshrrev_b32_e32 v53, 3, v44
	v_sub_u32_e32 v61, 29, v62
	v_and_b32_e32 v60, 7, v60
	v_cmp_gt_u32_e32 vcc, 8, v44
	v_cndmask_b32_e32 v44, v53, v61, vcc
	v_cndmask_b32_e32 v46, v46, v60, vcc
	v_lshlrev_b32_e32 v53, 24, v42
	v_lshlrev_b32_e32 v46, 20, v46
	v_and_b32_e32 v53, 0x80000000, v53
	v_lshl_add_u32 v44, v44, 23, v45
	v_or3_b32 v53, v53, v44, v46
.LBB640_529:                            ;   in Loop: Header=BB640_213 Depth=1
	s_or_b64 exec, exec, s[16:17]
.LBB640_530:                            ;   in Loop: Header=BB640_213 Depth=1
	s_or_b64 exec, exec, s[14:15]
.LBB640_531:                            ;   in Loop: Header=BB640_213 Depth=1
	s_or_b64 exec, exec, s[12:13]
	v_lshrrev_b16_e32 v44, 8, v42
	v_cmp_ne_u16_e32 vcc, 0, v44
	v_mov_b32_e32 v60, 0
	v_mov_b32_e32 v61, 0
	s_and_saveexec_b64 s[12:13], vcc
	s_cbranch_execz .LBB640_537
; %bb.532:                              ;   in Loop: Header=BB640_213 Depth=1
	v_cmp_ne_u16_e32 vcc, s9, v44
	v_bfrev_b32_e32 v61, 1
	s_and_saveexec_b64 s[14:15], vcc
	s_cbranch_execz .LBB640_536
; %bb.533:                              ;   in Loop: Header=BB640_213 Depth=1
	v_and_b32_e32 v46, 0x7f, v44
	v_cmp_ne_u32_e32 vcc, s19, v46
	v_mov_b32_e32 v61, 0x7f800001
	s_and_saveexec_b64 s[16:17], vcc
	s_cbranch_execz .LBB640_535
; %bb.534:                              ;   in Loop: Header=BB640_213 Depth=1
	v_and_b32_e32 v61, 7, v44
	v_ffbh_u32_e32 v62, v61
	v_min_u32_e32 v65, 32, v62
	v_subrev_u32_e32 v62, 28, v65
	v_lshlrev_b64 v[62:63], v62, v[44:45]
	v_lshrrev_b32_e32 v64, 3, v46
	v_sub_u32_e32 v44, 29, v65
	v_and_b32_e32 v62, 7, v62
	v_cmp_gt_u32_e32 vcc, 8, v46
	v_cndmask_b32_e32 v44, v64, v44, vcc
	v_cndmask_b32_e32 v46, v61, v62, vcc
	v_lshlrev_b32_e32 v61, 16, v42
	v_lshlrev_b32_e32 v46, 20, v46
	v_and_b32_e32 v61, 0x80000000, v61
	v_lshl_add_u32 v44, v44, 23, v45
	v_or3_b32 v61, v61, v44, v46
.LBB640_535:                            ;   in Loop: Header=BB640_213 Depth=1
	s_or_b64 exec, exec, s[16:17]
.LBB640_536:                            ;   in Loop: Header=BB640_213 Depth=1
	s_or_b64 exec, exec, s[14:15]
.LBB640_537:                            ;   in Loop: Header=BB640_213 Depth=1
	s_or_b64 exec, exec, s[12:13]
	v_lshrrev_b32_e32 v44, 16, v42
	v_cmp_ne_u16_sdwa s[14:15], v44, v43 src0_sel:BYTE_0 src1_sel:DWORD
	s_and_saveexec_b64 s[12:13], s[14:15]
	s_cbranch_execz .LBB640_543
; %bb.538:                              ;   in Loop: Header=BB640_213 Depth=1
	v_cmp_ne_u16_sdwa s[16:17], v44, s9 src0_sel:BYTE_0 src1_sel:DWORD
	v_bfrev_b32_e32 v60, 1
	s_and_saveexec_b64 s[14:15], s[16:17]
	s_cbranch_execz .LBB640_542
; %bb.539:                              ;   in Loop: Header=BB640_213 Depth=1
	v_bfe_u32 v46, v42, 16, 7
	v_cmp_ne_u32_e32 vcc, s19, v46
	v_mov_b32_e32 v60, 0x7f800001
	s_and_saveexec_b64 s[16:17], vcc
	s_cbranch_execz .LBB640_541
; %bb.540:                              ;   in Loop: Header=BB640_213 Depth=1
	v_and_b32_e32 v60, 7, v44
	v_ffbh_u32_e32 v62, v60
	v_min_u32_e32 v65, 32, v62
	v_subrev_u32_e32 v62, 28, v65
	v_lshlrev_b64 v[62:63], v62, v[44:45]
	v_lshrrev_b32_e32 v64, 3, v46
	v_sub_u32_e32 v63, 29, v65
	v_and_b32_e32 v62, 7, v62
	v_cmp_gt_u32_e32 vcc, 8, v46
	v_cndmask_b32_e32 v46, v64, v63, vcc
	v_cndmask_b32_e32 v60, v60, v62, vcc
	v_lshlrev_b32_e32 v44, 24, v44
	v_lshlrev_b32_e32 v60, 20, v60
	v_and_b32_e32 v44, 0x80000000, v44
	v_lshl_add_u32 v46, v46, 23, v45
	v_or3_b32 v60, v44, v46, v60
.LBB640_541:                            ;   in Loop: Header=BB640_213 Depth=1
	s_or_b64 exec, exec, s[16:17]
.LBB640_542:                            ;   in Loop: Header=BB640_213 Depth=1
	s_or_b64 exec, exec, s[14:15]
.LBB640_543:                            ;   in Loop: Header=BB640_213 Depth=1
	s_or_b64 exec, exec, s[12:13]
	v_cmp_lt_u32_e32 vcc, s20, v42
	v_mov_b32_e32 v46, 0
	v_mov_b32_e32 v62, 0
	s_and_saveexec_b64 s[12:13], vcc
	s_cbranch_execz .LBB640_549
; %bb.544:                              ;   in Loop: Header=BB640_213 Depth=1
	v_lshrrev_b32_e32 v44, 24, v42
	v_cmp_ne_u32_e32 vcc, s9, v44
	v_bfrev_b32_e32 v62, 1
	s_and_saveexec_b64 s[14:15], vcc
	s_cbranch_execz .LBB640_548
; %bb.545:                              ;   in Loop: Header=BB640_213 Depth=1
	v_bfe_u32 v42, v42, 24, 7
	v_cmp_ne_u32_e32 vcc, s19, v42
	v_mov_b32_e32 v62, 0x7f800001
	s_and_saveexec_b64 s[16:17], vcc
	s_cbranch_execz .LBB640_547
; %bb.546:                              ;   in Loop: Header=BB640_213 Depth=1
	v_and_b32_e32 v64, 7, v44
	v_ffbh_u32_e32 v62, v64
	v_min_u32_e32 v66, 32, v62
	v_subrev_u32_e32 v62, 28, v66
	v_lshlrev_b64 v[62:63], v62, v[44:45]
	v_lshrrev_b32_e32 v65, 3, v42
	v_sub_u32_e32 v63, 29, v66
	v_and_b32_e32 v62, 7, v62
	v_cmp_gt_u32_e32 vcc, 8, v42
	v_cndmask_b32_e32 v42, v65, v63, vcc
	v_cndmask_b32_e32 v62, v64, v62, vcc
	v_lshlrev_b32_e32 v44, 24, v44
	v_lshlrev_b32_e32 v62, 20, v62
	v_and_b32_e32 v44, 0x80000000, v44
	v_lshl_add_u32 v42, v42, 23, v45
	v_or3_b32 v62, v44, v42, v62
.LBB640_547:                            ;   in Loop: Header=BB640_213 Depth=1
	s_or_b64 exec, exec, s[16:17]
.LBB640_548:                            ;   in Loop: Header=BB640_213 Depth=1
	s_or_b64 exec, exec, s[14:15]
.LBB640_549:                            ;   in Loop: Header=BB640_213 Depth=1
	s_or_b64 exec, exec, s[12:13]
	v_cvt_pkrtz_f16_f32 v50, v50, v52
	v_cvt_pkrtz_f16_f32 v51, v51, v59
	s_waitcnt vmcnt(1)
	v_cmp_ne_u16_sdwa s[14:15], v40, v43 src0_sel:BYTE_0 src1_sel:DWORD
	v_mfma_f32_16x16x16f16 v[34:37], v[50:51], v[26:27], v[34:37]
	v_cvt_pkrtz_f16_f32 v50, v53, v61
	v_cvt_pkrtz_f16_f32 v51, v60, v62
	s_nop 1
	v_mfma_f32_16x16x16f16 v[34:37], v[50:51], v[28:29], v[34:37]
	s_and_saveexec_b64 s[12:13], s[14:15]
	s_cbranch_execz .LBB640_555
; %bb.550:                              ;   in Loop: Header=BB640_213 Depth=1
	v_cmp_ne_u16_sdwa s[16:17], v40, s9 src0_sel:BYTE_0 src1_sel:DWORD
	v_bfrev_b32_e32 v46, 1
	s_and_saveexec_b64 s[14:15], s[16:17]
	s_cbranch_execz .LBB640_554
; %bb.551:                              ;   in Loop: Header=BB640_213 Depth=1
	v_and_b32_e32 v42, 0x7f, v40
	v_cmp_ne_u32_e32 vcc, s19, v42
	v_mov_b32_e32 v46, 0x7f800001
	s_and_saveexec_b64 s[16:17], vcc
	s_cbranch_execz .LBB640_553
; %bb.552:                              ;   in Loop: Header=BB640_213 Depth=1
	v_and_b32_e32 v44, 7, v40
	v_ffbh_u32_e32 v50, v44
	v_min_u32_e32 v52, 32, v50
	v_subrev_u32_e32 v50, 28, v52
	v_lshlrev_b64 v[50:51], v50, v[40:41]
	v_lshrrev_b32_e32 v46, 3, v42
	v_sub_u32_e32 v51, 29, v52
	v_and_b32_e32 v50, 7, v50
	v_cmp_gt_u32_e32 vcc, 8, v42
	v_cndmask_b32_e32 v42, v46, v51, vcc
	v_cndmask_b32_e32 v44, v44, v50, vcc
	v_lshlrev_b32_e32 v46, 24, v40
	v_lshlrev_b32_e32 v44, 20, v44
	v_and_b32_e32 v46, 0x80000000, v46
	v_lshl_add_u32 v42, v42, 23, v45
	v_or3_b32 v46, v46, v42, v44
.LBB640_553:                            ;   in Loop: Header=BB640_213 Depth=1
	s_or_b64 exec, exec, s[16:17]
.LBB640_554:                            ;   in Loop: Header=BB640_213 Depth=1
	s_or_b64 exec, exec, s[14:15]
.LBB640_555:                            ;   in Loop: Header=BB640_213 Depth=1
	s_or_b64 exec, exec, s[12:13]
	v_lshrrev_b16_e32 v42, 8, v40
	v_cmp_ne_u16_e32 vcc, 0, v42
	v_mov_b32_e32 v44, 0
	v_mov_b32_e32 v50, 0
	s_and_saveexec_b64 s[12:13], vcc
	s_cbranch_execz .LBB640_561
; %bb.556:                              ;   in Loop: Header=BB640_213 Depth=1
	v_cmp_ne_u16_e32 vcc, s9, v42
	v_bfrev_b32_e32 v50, 1
	s_and_saveexec_b64 s[14:15], vcc
	s_cbranch_execz .LBB640_560
; %bb.557:                              ;   in Loop: Header=BB640_213 Depth=1
	v_and_b32_e32 v51, 0x7f, v42
	v_cmp_ne_u32_e32 vcc, s19, v51
	v_mov_b32_e32 v50, 0x7f800001
	s_and_saveexec_b64 s[16:17], vcc
	s_cbranch_execz .LBB640_559
; %bb.558:                              ;   in Loop: Header=BB640_213 Depth=1
	v_and_b32_e32 v50, 7, v42
	v_ffbh_u32_e32 v52, v50
	v_min_u32_e32 v60, 32, v52
	v_subrev_u32_e32 v52, 28, v60
	v_lshlrev_b64 v[52:53], v52, v[42:43]
	v_lshrrev_b32_e32 v59, 3, v51
	v_sub_u32_e32 v42, 29, v60
	v_and_b32_e32 v52, 7, v52
	v_cmp_gt_u32_e32 vcc, 8, v51
	v_cndmask_b32_e32 v42, v59, v42, vcc
	v_cndmask_b32_e32 v50, v50, v52, vcc
	v_lshlrev_b32_e32 v51, 16, v40
	v_lshlrev_b32_e32 v50, 20, v50
	v_and_b32_e32 v51, 0x80000000, v51
	v_lshl_add_u32 v42, v42, 23, v45
	v_or3_b32 v50, v51, v42, v50
.LBB640_559:                            ;   in Loop: Header=BB640_213 Depth=1
	s_or_b64 exec, exec, s[16:17]
.LBB640_560:                            ;   in Loop: Header=BB640_213 Depth=1
	s_or_b64 exec, exec, s[14:15]
.LBB640_561:                            ;   in Loop: Header=BB640_213 Depth=1
	s_or_b64 exec, exec, s[12:13]
	v_lshrrev_b32_e32 v42, 16, v40
	v_cmp_ne_u16_sdwa s[14:15], v42, v43 src0_sel:BYTE_0 src1_sel:DWORD
	s_and_saveexec_b64 s[12:13], s[14:15]
	s_cbranch_execz .LBB640_567
; %bb.562:                              ;   in Loop: Header=BB640_213 Depth=1
	v_cmp_ne_u16_sdwa s[16:17], v42, s9 src0_sel:BYTE_0 src1_sel:DWORD
	v_bfrev_b32_e32 v44, 1
	s_and_saveexec_b64 s[14:15], s[16:17]
	s_cbranch_execz .LBB640_566
; %bb.563:                              ;   in Loop: Header=BB640_213 Depth=1
	v_bfe_u32 v51, v40, 16, 7
	v_cmp_ne_u32_e32 vcc, s19, v51
	v_mov_b32_e32 v44, 0x7f800001
	s_and_saveexec_b64 s[16:17], vcc
	s_cbranch_execz .LBB640_565
; %bb.564:                              ;   in Loop: Header=BB640_213 Depth=1
	v_and_b32_e32 v44, 7, v42
	v_ffbh_u32_e32 v52, v44
	v_min_u32_e32 v60, 32, v52
	v_subrev_u32_e32 v52, 28, v60
	v_lshlrev_b64 v[52:53], v52, v[42:43]
	v_lshrrev_b32_e32 v59, 3, v51
	v_sub_u32_e32 v53, 29, v60
	v_and_b32_e32 v52, 7, v52
	v_cmp_gt_u32_e32 vcc, 8, v51
	v_cndmask_b32_e32 v51, v59, v53, vcc
	v_cndmask_b32_e32 v44, v44, v52, vcc
	v_lshlrev_b32_e32 v42, 24, v42
	v_lshlrev_b32_e32 v44, 20, v44
	v_and_b32_e32 v42, 0x80000000, v42
	v_lshl_add_u32 v51, v51, 23, v45
	v_or3_b32 v44, v42, v51, v44
.LBB640_565:                            ;   in Loop: Header=BB640_213 Depth=1
	s_or_b64 exec, exec, s[16:17]
.LBB640_566:                            ;   in Loop: Header=BB640_213 Depth=1
	s_or_b64 exec, exec, s[14:15]
.LBB640_567:                            ;   in Loop: Header=BB640_213 Depth=1
	s_or_b64 exec, exec, s[12:13]
	v_cmp_lt_u32_e32 vcc, s20, v40
	v_mov_b32_e32 v51, 0
	v_mov_b32_e32 v52, 0
	s_and_saveexec_b64 s[12:13], vcc
	s_cbranch_execz .LBB640_573
; %bb.568:                              ;   in Loop: Header=BB640_213 Depth=1
	v_lshrrev_b32_e32 v42, 24, v40
	v_cmp_ne_u32_e32 vcc, s9, v42
	v_bfrev_b32_e32 v52, 1
	s_and_saveexec_b64 s[14:15], vcc
	s_cbranch_execz .LBB640_572
; %bb.569:                              ;   in Loop: Header=BB640_213 Depth=1
	v_bfe_u32 v40, v40, 24, 7
	v_cmp_ne_u32_e32 vcc, s19, v40
	v_mov_b32_e32 v52, 0x7f800001
	s_and_saveexec_b64 s[16:17], vcc
	s_cbranch_execz .LBB640_571
; %bb.570:                              ;   in Loop: Header=BB640_213 Depth=1
	v_and_b32_e32 v59, 7, v42
	v_ffbh_u32_e32 v52, v59
	v_min_u32_e32 v61, 32, v52
	v_subrev_u32_e32 v52, 28, v61
	v_lshlrev_b64 v[52:53], v52, v[42:43]
	v_lshrrev_b32_e32 v60, 3, v40
	v_sub_u32_e32 v53, 29, v61
	v_and_b32_e32 v52, 7, v52
	v_cmp_gt_u32_e32 vcc, 8, v40
	v_cndmask_b32_e32 v40, v60, v53, vcc
	v_cndmask_b32_e32 v52, v59, v52, vcc
	v_lshlrev_b32_e32 v42, 24, v42
	v_lshlrev_b32_e32 v52, 20, v52
	v_and_b32_e32 v42, 0x80000000, v42
	v_lshl_add_u32 v40, v40, 23, v45
	v_or3_b32 v52, v42, v40, v52
.LBB640_571:                            ;   in Loop: Header=BB640_213 Depth=1
	s_or_b64 exec, exec, s[16:17]
.LBB640_572:                            ;   in Loop: Header=BB640_213 Depth=1
	s_or_b64 exec, exec, s[14:15]
.LBB640_573:                            ;   in Loop: Header=BB640_213 Depth=1
	s_or_b64 exec, exec, s[12:13]
	s_waitcnt vmcnt(0)
	v_cmp_ne_u16_sdwa s[14:15], v38, v43 src0_sel:BYTE_0 src1_sel:DWORD
	s_and_saveexec_b64 s[12:13], s[14:15]
	s_cbranch_execz .LBB640_579
; %bb.574:                              ;   in Loop: Header=BB640_213 Depth=1
	v_cmp_ne_u16_sdwa s[16:17], v38, s9 src0_sel:BYTE_0 src1_sel:DWORD
	v_bfrev_b32_e32 v51, 1
	s_and_saveexec_b64 s[14:15], s[16:17]
	s_cbranch_execz .LBB640_578
; %bb.575:                              ;   in Loop: Header=BB640_213 Depth=1
	v_and_b32_e32 v40, 0x7f, v38
	v_cmp_ne_u32_e32 vcc, s19, v40
	v_mov_b32_e32 v51, 0x7f800001
	s_and_saveexec_b64 s[16:17], vcc
	s_cbranch_execz .LBB640_577
; %bb.576:                              ;   in Loop: Header=BB640_213 Depth=1
	v_and_b32_e32 v42, 7, v38
	v_ffbh_u32_e32 v53, v42
	v_min_u32_e32 v53, 32, v53
	v_subrev_u32_e32 v59, 28, v53
	v_lshlrev_b64 v[60:61], v59, v[38:39]
	v_lshrrev_b32_e32 v51, 3, v40
	v_sub_u32_e32 v53, 29, v53
	v_and_b32_e32 v59, 7, v60
	v_cmp_gt_u32_e32 vcc, 8, v40
	v_cndmask_b32_e32 v40, v51, v53, vcc
	v_cndmask_b32_e32 v42, v42, v59, vcc
	v_lshlrev_b32_e32 v51, 24, v38
	v_lshlrev_b32_e32 v42, 20, v42
	v_and_b32_e32 v51, 0x80000000, v51
	v_lshl_add_u32 v40, v40, 23, v45
	v_or3_b32 v51, v51, v40, v42
.LBB640_577:                            ;   in Loop: Header=BB640_213 Depth=1
	s_or_b64 exec, exec, s[16:17]
.LBB640_578:                            ;   in Loop: Header=BB640_213 Depth=1
	s_or_b64 exec, exec, s[14:15]
.LBB640_579:                            ;   in Loop: Header=BB640_213 Depth=1
	s_or_b64 exec, exec, s[12:13]
	v_lshrrev_b16_e32 v40, 8, v38
	v_cmp_ne_u16_e32 vcc, 0, v40
	v_mov_b32_e32 v42, 0
	v_mov_b32_e32 v53, 0
	s_and_saveexec_b64 s[12:13], vcc
	s_cbranch_execz .LBB640_585
; %bb.580:                              ;   in Loop: Header=BB640_213 Depth=1
	v_cmp_ne_u16_e32 vcc, s9, v40
	v_bfrev_b32_e32 v53, 1
	s_and_saveexec_b64 s[14:15], vcc
	s_cbranch_execz .LBB640_584
; %bb.581:                              ;   in Loop: Header=BB640_213 Depth=1
	v_and_b32_e32 v59, 0x7f, v40
	v_cmp_ne_u32_e32 vcc, s19, v59
	v_mov_b32_e32 v53, 0x7f800001
	s_and_saveexec_b64 s[16:17], vcc
	s_cbranch_execz .LBB640_583
; %bb.582:                              ;   in Loop: Header=BB640_213 Depth=1
	v_and_b32_e32 v53, 7, v40
	v_ffbh_u32_e32 v60, v53
	v_min_u32_e32 v63, 32, v60
	v_subrev_u32_e32 v60, 28, v63
	v_lshlrev_b64 v[60:61], v60, v[40:41]
	v_lshrrev_b32_e32 v62, 3, v59
	v_sub_u32_e32 v40, 29, v63
	v_and_b32_e32 v60, 7, v60
	v_cmp_gt_u32_e32 vcc, 8, v59
	v_cndmask_b32_e32 v40, v62, v40, vcc
	v_cndmask_b32_e32 v53, v53, v60, vcc
	v_lshlrev_b32_e32 v59, 16, v38
	v_lshlrev_b32_e32 v53, 20, v53
	v_and_b32_e32 v59, 0x80000000, v59
	v_lshl_add_u32 v40, v40, 23, v45
	v_or3_b32 v53, v59, v40, v53
.LBB640_583:                            ;   in Loop: Header=BB640_213 Depth=1
	s_or_b64 exec, exec, s[16:17]
.LBB640_584:                            ;   in Loop: Header=BB640_213 Depth=1
	s_or_b64 exec, exec, s[14:15]
.LBB640_585:                            ;   in Loop: Header=BB640_213 Depth=1
	s_or_b64 exec, exec, s[12:13]
	v_lshrrev_b32_e32 v40, 16, v38
	v_cmp_ne_u16_sdwa s[14:15], v40, v43 src0_sel:BYTE_0 src1_sel:DWORD
	s_and_saveexec_b64 s[12:13], s[14:15]
	s_cbranch_execz .LBB640_591
; %bb.586:                              ;   in Loop: Header=BB640_213 Depth=1
	v_cmp_ne_u16_sdwa s[16:17], v40, s9 src0_sel:BYTE_0 src1_sel:DWORD
	v_bfrev_b32_e32 v42, 1
	s_and_saveexec_b64 s[14:15], s[16:17]
	s_cbranch_execz .LBB640_590
; %bb.587:                              ;   in Loop: Header=BB640_213 Depth=1
	v_bfe_u32 v59, v38, 16, 7
	v_cmp_ne_u32_e32 vcc, s19, v59
	v_mov_b32_e32 v42, 0x7f800001
	s_and_saveexec_b64 s[16:17], vcc
	s_cbranch_execz .LBB640_589
; %bb.588:                              ;   in Loop: Header=BB640_213 Depth=1
	v_and_b32_e32 v42, 7, v40
	v_ffbh_u32_e32 v60, v42
	v_min_u32_e32 v63, 32, v60
	v_subrev_u32_e32 v60, 28, v63
	v_lshlrev_b64 v[60:61], v60, v[40:41]
	v_lshrrev_b32_e32 v62, 3, v59
	v_sub_u32_e32 v61, 29, v63
	v_and_b32_e32 v60, 7, v60
	v_cmp_gt_u32_e32 vcc, 8, v59
	v_cndmask_b32_e32 v59, v62, v61, vcc
	v_cndmask_b32_e32 v42, v42, v60, vcc
	v_lshlrev_b32_e32 v40, 24, v40
	v_lshlrev_b32_e32 v42, 20, v42
	v_and_b32_e32 v40, 0x80000000, v40
	v_lshl_add_u32 v59, v59, 23, v45
	v_or3_b32 v42, v40, v59, v42
.LBB640_589:                            ;   in Loop: Header=BB640_213 Depth=1
	s_or_b64 exec, exec, s[16:17]
.LBB640_590:                            ;   in Loop: Header=BB640_213 Depth=1
	s_or_b64 exec, exec, s[14:15]
.LBB640_591:                            ;   in Loop: Header=BB640_213 Depth=1
	s_or_b64 exec, exec, s[12:13]
	v_cmp_lt_u32_e32 vcc, s20, v38
	v_mov_b32_e32 v59, 0
	s_and_saveexec_b64 s[12:13], vcc
	s_cbranch_execz .LBB640_212
; %bb.592:                              ;   in Loop: Header=BB640_213 Depth=1
	v_lshrrev_b32_e32 v40, 24, v38
	v_cmp_ne_u32_e32 vcc, s9, v40
	v_bfrev_b32_e32 v59, 1
	s_and_saveexec_b64 s[14:15], vcc
	s_cbranch_execz .LBB640_211
; %bb.593:                              ;   in Loop: Header=BB640_213 Depth=1
	v_bfe_u32 v38, v38, 24, 7
	v_cmp_ne_u32_e32 vcc, s19, v38
	v_mov_b32_e32 v59, 0x7f800001
	s_and_saveexec_b64 s[16:17], vcc
	s_cbranch_execz .LBB640_210
; %bb.594:                              ;   in Loop: Header=BB640_213 Depth=1
	v_and_b32_e32 v59, 7, v40
	v_ffbh_u32_e32 v60, v59
	v_min_u32_e32 v63, 32, v60
	v_subrev_u32_e32 v60, 28, v63
	v_lshlrev_b64 v[60:61], v60, v[40:41]
	v_lshrrev_b32_e32 v62, 3, v38
	v_sub_u32_e32 v61, 29, v63
	v_and_b32_e32 v60, 7, v60
	v_cmp_gt_u32_e32 vcc, 8, v38
	v_cndmask_b32_e32 v38, v62, v61, vcc
	v_cndmask_b32_e32 v59, v59, v60, vcc
	v_lshlrev_b32_e32 v40, 24, v40
	v_lshlrev_b32_e32 v59, 20, v59
	v_and_b32_e32 v40, 0x80000000, v40
	v_lshl_add_u32 v38, v38, 23, v45
	v_or3_b32 v59, v40, v38, v59
	s_branch .LBB640_210
.LBB640_595:
	s_barrier
	buffer_load_dword v2, off, s[0:3], 0 offset:320
	buffer_load_dword v5, off, s[0:3], 0 offset:332
	;; [unrolled: 1-line block ×4, first 2 shown]
	v_cmp_gt_u32_e32 vcc, 64, v0
	v_cmp_ne_u32_e64 s[4:5], 3, v55
	s_and_b64 s[4:5], vcc, s[4:5]
	s_waitcnt vmcnt(0)
	ds_write2st64_b64 v39, v[2:3], v[4:5] offset1:1
	s_waitcnt lgkmcnt(0)
	s_barrier
	s_and_saveexec_b64 s[6:7], s[4:5]
	s_cbranch_execz .LBB640_597
; %bb.596:
	s_mul_i32 s4, s18, s8
	s_lshl_b32 s6, s50, 7
	s_mul_hi_u32 s5, s4, s6
	s_mul_i32 s4, s4, s6
	s_lshl_b64 s[4:5], s[4:5], 1
	s_add_u32 s7, s48, s4
	v_lshlrev_b32_e32 v4, 6, v56
	s_addc_u32 s8, s49, s5
	s_lshl_b32 s4, s24, 7
	s_mov_b32 s5, 0
	v_lshl_or_b32 v0, v0, 10, v4
	s_lshl_b64 s[4:5], s[4:5], 1
	v_lshlrev_b32_e32 v2, 5, v55
	v_and_b32_e32 v3, 16, v57
	v_and_b32_e32 v0, 0x1a00, v0
	s_add_u32 s7, s7, s4
	v_or3_b32 v0, v0, v2, v3
	s_addc_u32 s8, s8, s5
	v_mad_u64_u32 v[6:7], s[4:5], s6, v54, 0
	ds_read_b128 v[2:5], v0
	v_lshlrev_b64 v[6:7], 1, v[6:7]
	v_mov_b32_e32 v0, s8
	v_add_co_u32_e32 v6, vcc, s7, v6
	v_addc_co_u32_e32 v7, vcc, v0, v7, vcc
	v_add_co_u32_e32 v0, vcc, v6, v1
	v_addc_co_u32_e32 v1, vcc, 0, v7, vcc
	s_waitcnt lgkmcnt(0)
	global_store_dwordx4 v[0:1], v[2:5], off
.LBB640_597:
	s_endpgm
	.section	.rodata,"a",@progbits
	.p2align	6, 0x0
	.amdhsa_kernel _Z39paged_attention_ll4mi_QKV_mfma16_kernelIDF16_hLN4vllm18Fp8KVCacheDataTypeE1EDF16_Li16ELi128ELi256ELb0ELi3EL8MFMAType0EEvPKT_PKT0_S8_ifPKiSA_SA_iPKfiiiPfSD_PS3_PT2_iSC_SC_
		.amdhsa_group_segment_fixed_size 8192
		.amdhsa_private_segment_fixed_size 352
		.amdhsa_kernarg_size 400
		.amdhsa_user_sgpr_count 8
		.amdhsa_user_sgpr_private_segment_buffer 1
		.amdhsa_user_sgpr_dispatch_ptr 0
		.amdhsa_user_sgpr_queue_ptr 0
		.amdhsa_user_sgpr_kernarg_segment_ptr 1
		.amdhsa_user_sgpr_dispatch_id 0
		.amdhsa_user_sgpr_flat_scratch_init 1
		.amdhsa_user_sgpr_kernarg_preload_length 0
		.amdhsa_user_sgpr_kernarg_preload_offset 0
		.amdhsa_user_sgpr_private_segment_size 0
		.amdhsa_uses_dynamic_stack 0
		.amdhsa_system_sgpr_private_segment_wavefront_offset 1
		.amdhsa_system_sgpr_workgroup_id_x 1
		.amdhsa_system_sgpr_workgroup_id_y 1
		.amdhsa_system_sgpr_workgroup_id_z 1
		.amdhsa_system_sgpr_workgroup_info 0
		.amdhsa_system_vgpr_workitem_id 0
		.amdhsa_next_free_vgpr 76
		.amdhsa_next_free_sgpr 53
		.amdhsa_accum_offset 76
		.amdhsa_reserve_vcc 1
		.amdhsa_reserve_flat_scratch 0
		.amdhsa_float_round_mode_32 0
		.amdhsa_float_round_mode_16_64 0
		.amdhsa_float_denorm_mode_32 3
		.amdhsa_float_denorm_mode_16_64 3
		.amdhsa_dx10_clamp 1
		.amdhsa_ieee_mode 1
		.amdhsa_fp16_overflow 0
		.amdhsa_tg_split 0
		.amdhsa_exception_fp_ieee_invalid_op 0
		.amdhsa_exception_fp_denorm_src 0
		.amdhsa_exception_fp_ieee_div_zero 0
		.amdhsa_exception_fp_ieee_overflow 0
		.amdhsa_exception_fp_ieee_underflow 0
		.amdhsa_exception_fp_ieee_inexact 0
		.amdhsa_exception_int_div_zero 0
	.end_amdhsa_kernel
	.section	.text._Z39paged_attention_ll4mi_QKV_mfma16_kernelIDF16_hLN4vllm18Fp8KVCacheDataTypeE1EDF16_Li16ELi128ELi256ELb0ELi3EL8MFMAType0EEvPKT_PKT0_S8_ifPKiSA_SA_iPKfiiiPfSD_PS3_PT2_iSC_SC_,"axG",@progbits,_Z39paged_attention_ll4mi_QKV_mfma16_kernelIDF16_hLN4vllm18Fp8KVCacheDataTypeE1EDF16_Li16ELi128ELi256ELb0ELi3EL8MFMAType0EEvPKT_PKT0_S8_ifPKiSA_SA_iPKfiiiPfSD_PS3_PT2_iSC_SC_,comdat
.Lfunc_end640:
	.size	_Z39paged_attention_ll4mi_QKV_mfma16_kernelIDF16_hLN4vllm18Fp8KVCacheDataTypeE1EDF16_Li16ELi128ELi256ELb0ELi3EL8MFMAType0EEvPKT_PKT0_S8_ifPKiSA_SA_iPKfiiiPfSD_PS3_PT2_iSC_SC_, .Lfunc_end640-_Z39paged_attention_ll4mi_QKV_mfma16_kernelIDF16_hLN4vllm18Fp8KVCacheDataTypeE1EDF16_Li16ELi128ELi256ELb0ELi3EL8MFMAType0EEvPKT_PKT0_S8_ifPKiSA_SA_iPKfiiiPfSD_PS3_PT2_iSC_SC_
                                        ; -- End function
	.section	.AMDGPU.csdata,"",@progbits
; Kernel info:
; codeLenInByte = 21112
; NumSgprs: 57
; NumVgprs: 76
; NumAgprs: 0
; TotalNumVgprs: 76
; ScratchSize: 352
; MemoryBound: 0
; FloatMode: 240
; IeeeMode: 1
; LDSByteSize: 8192 bytes/workgroup (compile time only)
; SGPRBlocks: 7
; VGPRBlocks: 9
; NumSGPRsForWavesPerEU: 57
; NumVGPRsForWavesPerEU: 76
; AccumOffset: 76
; Occupancy: 6
; WaveLimiterHint : 1
; COMPUTE_PGM_RSRC2:SCRATCH_EN: 1
; COMPUTE_PGM_RSRC2:USER_SGPR: 8
; COMPUTE_PGM_RSRC2:TRAP_HANDLER: 0
; COMPUTE_PGM_RSRC2:TGID_X_EN: 1
; COMPUTE_PGM_RSRC2:TGID_Y_EN: 1
; COMPUTE_PGM_RSRC2:TGID_Z_EN: 1
; COMPUTE_PGM_RSRC2:TIDIG_COMP_CNT: 0
; COMPUTE_PGM_RSRC3_GFX90A:ACCUM_OFFSET: 18
; COMPUTE_PGM_RSRC3_GFX90A:TG_SPLIT: 0
	.section	.text._Z39paged_attention_ll4mi_QKV_mfma16_kernelIDF16_hLN4vllm18Fp8KVCacheDataTypeE1EDF16_Li16ELi128ELi256ELb0ELi4EL8MFMAType0EEvPKT_PKT0_S8_ifPKiSA_SA_iPKfiiiPfSD_PS3_PT2_iSC_SC_,"axG",@progbits,_Z39paged_attention_ll4mi_QKV_mfma16_kernelIDF16_hLN4vllm18Fp8KVCacheDataTypeE1EDF16_Li16ELi128ELi256ELb0ELi4EL8MFMAType0EEvPKT_PKT0_S8_ifPKiSA_SA_iPKfiiiPfSD_PS3_PT2_iSC_SC_,comdat
	.protected	_Z39paged_attention_ll4mi_QKV_mfma16_kernelIDF16_hLN4vllm18Fp8KVCacheDataTypeE1EDF16_Li16ELi128ELi256ELb0ELi4EL8MFMAType0EEvPKT_PKT0_S8_ifPKiSA_SA_iPKfiiiPfSD_PS3_PT2_iSC_SC_ ; -- Begin function _Z39paged_attention_ll4mi_QKV_mfma16_kernelIDF16_hLN4vllm18Fp8KVCacheDataTypeE1EDF16_Li16ELi128ELi256ELb0ELi4EL8MFMAType0EEvPKT_PKT0_S8_ifPKiSA_SA_iPKfiiiPfSD_PS3_PT2_iSC_SC_
	.globl	_Z39paged_attention_ll4mi_QKV_mfma16_kernelIDF16_hLN4vllm18Fp8KVCacheDataTypeE1EDF16_Li16ELi128ELi256ELb0ELi4EL8MFMAType0EEvPKT_PKT0_S8_ifPKiSA_SA_iPKfiiiPfSD_PS3_PT2_iSC_SC_
	.p2align	8
	.type	_Z39paged_attention_ll4mi_QKV_mfma16_kernelIDF16_hLN4vllm18Fp8KVCacheDataTypeE1EDF16_Li16ELi128ELi256ELb0ELi4EL8MFMAType0EEvPKT_PKT0_S8_ifPKiSA_SA_iPKfiiiPfSD_PS3_PT2_iSC_SC_,@function
_Z39paged_attention_ll4mi_QKV_mfma16_kernelIDF16_hLN4vllm18Fp8KVCacheDataTypeE1EDF16_Li16ELi128ELi256ELb0ELi4EL8MFMAType0EEvPKT_PKT0_S8_ifPKiSA_SA_iPKfiiiPfSD_PS3_PT2_iSC_SC_: ; @_Z39paged_attention_ll4mi_QKV_mfma16_kernelIDF16_hLN4vllm18Fp8KVCacheDataTypeE1EDF16_Li16ELi128ELi256ELb0ELi4EL8MFMAType0EEvPKT_PKT0_S8_ifPKiSA_SA_iPKfiiiPfSD_PS3_PT2_iSC_SC_
; %bb.0:
	s_load_dwordx2 s[6:7], s[4:5], 0x30
	s_add_u32 s0, s0, s11
	s_addc_u32 s1, s1, 0
	s_mov_b32 s26, s9
	s_mov_b64 s[12:13], 0
	s_waitcnt lgkmcnt(0)
	s_cmp_lg_u64 s[6:7], 0
	s_cselect_b64 s[16:17], -1, 0
	s_and_b64 vcc, exec, s[16:17]
	s_cbranch_vccz .LBB641_7
; %bb.1:
	s_add_i32 s14, s8, 1
	s_mov_b32 s15, 0
	s_lshl_b64 s[18:19], s[14:15], 2
	s_add_u32 s18, s6, s18
	s_mov_b32 s9, s15
	s_addc_u32 s19, s7, s19
	s_lshl_b64 s[14:15], s[8:9], 2
	s_add_u32 s14, s6, s14
	s_addc_u32 s15, s7, s15
	s_load_dword s11, s[18:19], 0x0
	s_load_dword s20, s[14:15], 0x0
	s_waitcnt lgkmcnt(0)
	s_sub_i32 s11, s11, s20
	s_cmp_eq_u32 s11, 1
	s_cselect_b64 s[14:15], -1, 0
	s_andn2_b64 vcc, exec, s[12:13]
	s_cbranch_vccnz .LBB641_3
.LBB641_2:
	s_mov_b32 s9, 0
	s_mov_b64 s[14:15], -1
.LBB641_3:
	s_andn2_b64 vcc, exec, s[14:15]
	s_cbranch_vccnz .LBB641_597
; %bb.4:
	s_load_dwordx2 s[12:13], s[4:5], 0x28
	s_lshl_b64 s[18:19], s[8:9], 2
	s_waitcnt lgkmcnt(0)
	s_add_u32 s12, s12, s18
	s_addc_u32 s13, s13, s19
	s_load_dword s33, s[12:13], 0x0
	s_lshl_b32 s20, s26, 8
	s_waitcnt lgkmcnt(0)
	s_cmp_ge_i32 s20, s33
	s_cbranch_scc1 .LBB641_597
; %bb.5:
	s_add_i32 s14, s33, 15
	s_load_dwordx2 s[12:13], s[4:5], 0x20
	s_load_dword s11, s[4:5], 0x38
	s_ashr_i32 s15, s14, 31
	v_and_b32_e32 v1, 0xcf, v0
	s_lshr_b32 s15, s15, 28
	v_add_u32_e32 v1, s20, v1
	s_add_i32 s14, s14, s15
	v_ashrrev_i32_e32 v2, 31, v1
	s_ashr_i32 s22, s14, 4
	v_lshrrev_b32_e32 v10, 28, v2
	s_add_i32 s22, s22, -1
	v_add_u32_e32 v2, v1, v10
	s_waitcnt lgkmcnt(0)
	s_mul_i32 s14, s8, s11
	s_mov_b32 s15, 0
	v_ashrrev_i32_e32 v2, 4, v2
	v_mov_b32_e32 v11, s22
	v_cmp_gt_i32_e32 vcc, s33, v1
	s_lshl_b64 s[14:15], s[14:15], 2
	v_cndmask_b32_e32 v2, v11, v2, vcc
	s_add_u32 s11, s12, s14
	v_ashrrev_i32_e32 v3, 31, v2
	s_addc_u32 s21, s13, s15
	v_lshlrev_b64 v[2:3], 2, v[2:3]
	v_mov_b32_e32 v5, s21
	v_add_co_u32_e32 v4, vcc, s11, v2
	v_or_b32_e32 v2, 16, v1
	v_addc_co_u32_e32 v5, vcc, v5, v3, vcc
	v_add_u32_e32 v3, v2, v10
	v_ashrrev_i32_e32 v3, 4, v3
	v_cmp_gt_i32_e32 vcc, s33, v2
	v_cndmask_b32_e32 v2, v11, v3, vcc
	v_ashrrev_i32_e32 v3, 31, v2
	v_lshlrev_b64 v[2:3], 2, v[2:3]
	v_mov_b32_e32 v7, s21
	v_add_co_u32_e32 v6, vcc, s11, v2
	v_or_b32_e32 v2, 32, v1
	v_addc_co_u32_e32 v7, vcc, v7, v3, vcc
	v_add_u32_e32 v3, v2, v10
	v_ashrrev_i32_e32 v3, 4, v3
	v_cmp_gt_i32_e32 vcc, s33, v2
	v_cndmask_b32_e32 v2, v11, v3, vcc
	v_ashrrev_i32_e32 v3, 31, v2
	;; [unrolled: 10-line block ×3, first 2 shown]
	v_lshlrev_b64 v[2:3], 2, v[2:3]
	v_mov_b32_e32 v1, s21
	v_add_co_u32_e32 v10, vcc, s11, v2
	v_addc_co_u32_e32 v11, vcc, v1, v3, vcc
	global_load_dword v3, v[4:5], off
	global_load_dword v2, v[6:7], off
	;; [unrolled: 1-line block ×4, first 2 shown]
	s_load_dwordx4 s[12:15], s[4:5], 0x8
	s_andn2_b64 vcc, exec, s[16:17]
	s_cbranch_vccnz .LBB641_8
; %bb.6:
	s_add_u32 s6, s6, s18
	s_addc_u32 s7, s7, s19
	s_load_dword s18, s[6:7], 0x0
	s_branch .LBB641_9
.LBB641_7:
	s_mov_b64 s[14:15], 0
	s_branch .LBB641_2
.LBB641_8:
	s_mov_b32 s18, s8
.LBB641_9:
	s_load_dwordx2 s[52:53], s[4:5], 0x68
	s_load_dwordx8 s[40:47], s[4:5], 0x48
	v_and_b32_e32 v55, 15, v0
	v_bfe_u32 v65, v0, 4, 2
	s_lshl_b32 s27, s10, 2
	v_lshlrev_b32_e32 v1, 3, v55
	v_lshrrev_b32_e32 v66, 6, v0
	v_or_b32_e32 v54, s27, v65
	v_cmp_gt_u32_e64 s[6:7], 64, v0
	v_lshlrev_b32_e32 v1, 1, v1
	v_lshlrev_b32_e32 v56, 5, v65
	v_lshlrev_b32_e32 v57, 4, v0
	s_and_saveexec_b64 s[16:17], s[6:7]
	s_cbranch_execz .LBB641_11
; %bb.10:
	s_load_dwordx2 s[24:25], s[4:5], 0x0
	s_waitcnt lgkmcnt(0)
	s_ashr_i32 s19, s40, 31
	s_mul_hi_u32 s23, s18, s40
	s_mul_i32 s19, s18, s19
	s_add_i32 s19, s23, s19
	s_mul_i32 s18, s18, s40
	s_lshl_b64 s[18:19], s[18:19], 1
	v_lshlrev_b32_e32 v4, 7, v54
	s_add_u32 s18, s24, s18
	v_ashrrev_i32_e32 v5, 31, v4
	s_addc_u32 s19, s25, s19
	v_lshlrev_b64 v[4:5], 1, v[4:5]
	v_mov_b32_e32 v6, s19
	v_add_co_u32_e32 v4, vcc, s18, v4
	v_addc_co_u32_e32 v5, vcc, v6, v5, vcc
	v_add_co_u32_e32 v4, vcc, v4, v1
	v_addc_co_u32_e32 v5, vcc, 0, v5, vcc
	global_load_dwordx4 v[4:7], v[4:5], off
	v_lshlrev_b32_e32 v9, 8, v0
	v_lshlrev_b32_e32 v8, 8, v55
	v_and_b32_e32 v9, 0x600, v9
	s_movk_i32 s18, 0x800
	v_and_or_b32 v8, v8, s18, v9
	v_lshl_or_b32 v9, v66, 7, v56
	v_and_b32_e32 v10, 16, v57
	v_or3_b32 v8, v8, v9, v10
	s_waitcnt vmcnt(0)
	ds_write_b128 v8, v[4:7]
.LBB641_11:
	s_or_b64 exec, exec, s[16:17]
	v_and_b32_e32 v10, 48, v0
	v_or_b32_e32 v11, s20, v10
	v_ashrrev_i32_e32 v4, 4, v11
	v_mov_b32_e32 v12, s22
	v_cmp_gt_i32_e32 vcc, s33, v11
	v_cndmask_b32_e32 v4, v12, v4, vcc
	v_ashrrev_i32_e32 v5, 31, v4
	v_lshlrev_b64 v[4:5], 2, v[4:5]
	v_mov_b32_e32 v6, s21
	v_add_co_u32_e32 v4, vcc, s11, v4
	v_addc_co_u32_e32 v5, vcc, v6, v5, vcc
	v_or_b32_e32 v6, 64, v11
	v_ashrrev_i32_e32 v7, 4, v6
	v_cmp_gt_i32_e32 vcc, s33, v6
	v_cndmask_b32_e32 v6, v12, v7, vcc
	v_ashrrev_i32_e32 v7, 31, v6
	v_lshlrev_b64 v[6:7], 2, v[6:7]
	v_mov_b32_e32 v8, s21
	v_add_co_u32_e32 v6, vcc, s11, v6
	v_addc_co_u32_e32 v7, vcc, v8, v7, vcc
	v_or_b32_e32 v8, 0x80, v11
	v_ashrrev_i32_e32 v9, 4, v8
	v_cmp_gt_i32_e32 vcc, s33, v8
	v_cndmask_b32_e32 v8, v12, v9, vcc
	v_ashrrev_i32_e32 v9, 31, v8
	v_lshlrev_b64 v[8:9], 2, v[8:9]
	v_mov_b32_e32 v13, s21
	v_add_co_u32_e32 v8, vcc, s11, v8
	s_load_dwordx2 s[54:55], s[4:5], 0x94
	s_waitcnt lgkmcnt(0)
	s_barrier
	v_addc_co_u32_e32 v9, vcc, v13, v9, vcc
	global_load_dword v50, v[4:5], off
	global_load_dword v60, v[6:7], off
	;; [unrolled: 1-line block ×3, first 2 shown]
	v_or_b32_e32 v4, 0xc0, v11
	v_ashrrev_i32_e32 v5, 4, v4
	v_cmp_gt_i32_e32 vcc, s33, v4
	v_cndmask_b32_e32 v4, v12, v5, vcc
	v_ashrrev_i32_e32 v5, 31, v4
	v_lshlrev_b64 v[4:5], 2, v[4:5]
	v_mov_b32_e32 v6, s21
	v_add_co_u32_e32 v4, vcc, s11, v4
	v_addc_co_u32_e32 v5, vcc, v6, v5, vcc
	global_load_dword v63, v[4:5], off
	s_mul_i32 s16, s10, s42
	s_add_u32 s10, s12, s16
	s_addc_u32 s11, s13, 0
	v_and_b32_e32 v4, 0xf0, v57
	v_mov_b32_e32 v5, s11
	v_add_co_u32_e32 v20, vcc, s10, v4
	v_addc_co_u32_e32 v21, vcc, 0, v5, vcc
	v_lshlrev_b32_e32 v28, 4, v10
	s_waitcnt vmcnt(7)
	v_mad_i64_i32 v[4:5], s[10:11], v3, s41, v[20:21]
	v_add_co_u32_e32 v4, vcc, v4, v28
	v_addc_co_u32_e32 v5, vcc, 0, v5, vcc
	s_waitcnt vmcnt(6)
	v_mad_i64_i32 v[2:3], s[10:11], v2, s41, v[20:21]
	v_add_co_u32_e32 v16, vcc, v2, v28
	v_addc_co_u32_e32 v17, vcc, 0, v3, vcc
	s_waitcnt vmcnt(5)
	v_mad_i64_i32 v[14:15], s[10:11], v14, s41, v[20:21]
	v_add_co_u32_e32 v26, vcc, v14, v28
	v_addc_co_u32_e32 v27, vcc, 0, v15, vcc
	s_waitcnt vmcnt(4)
	v_mad_i64_i32 v[18:19], s[10:11], v18, s41, v[20:21]
	global_load_dwordx4 v[34:37], v[4:5], off
	global_load_dwordx4 v[6:9], v[4:5], off offset:1024
	v_add_co_u32_e32 v30, vcc, v18, v28
	s_add_u32 s12, s14, s16
	v_lshl_or_b32 v67, v66, 4, v55
	global_load_dwordx4 v[10:13], v[16:17], off
	global_load_dwordx4 v[2:5], v[16:17], off offset:1024
	v_addc_co_u32_e32 v31, vcc, 0, v19, vcc
	s_addc_u32 s13, s15, 0
	v_lshlrev_b32_e32 v51, 4, v67
	global_load_dwordx4 v[14:17], v[26:27], off
	global_load_dwordx4 v[22:25], v[26:27], off offset:1024
	s_nop 0
	global_load_dwordx4 v[26:29], v[30:31], off
	global_load_dwordx4 v[18:21], v[30:31], off offset:1024
	v_mov_b32_e32 v30, s13
	v_add_co_u32_e32 v42, vcc, s12, v51
	v_addc_co_u32_e32 v43, vcc, 0, v30, vcc
	v_or_b32_e32 v51, 0x400, v51
	v_mov_b32_e32 v52, s13
	v_add_co_u32_e32 v58, vcc, s12, v51
	v_addc_co_u32_e32 v59, vcc, 0, v52, vcc
	s_mov_b32 s14, 0
	s_movk_i32 s15, 0x80
	s_movk_i32 s16, 0x7f
	s_mov_b32 s17, 0xffffff
	s_waitcnt vmcnt(11)
	v_mad_i64_i32 v[30:31], s[10:11], v50, s41, v[42:43]
	s_waitcnt vmcnt(10)
	v_mad_i64_i32 v[32:33], s[10:11], v60, s41, v[42:43]
	;; [unrolled: 2-line block ×3, first 2 shown]
	global_load_dwordx4 v[38:41], v[30:31], off
	s_nop 0
	global_load_dwordx4 v[30:33], v[32:33], off
	v_mad_i64_i32 v[60:61], s[10:11], v60, s41, v[58:59]
	v_mad_i64_i32 v[50:51], s[10:11], v50, s41, v[58:59]
	s_waitcnt vmcnt(10)
	v_mad_i64_i32 v[42:43], s[10:11], v63, s41, v[42:43]
	global_load_dwordx4 v[46:49], v[44:45], off
	s_nop 0
	global_load_dwordx4 v[42:45], v[42:43], off
	s_nop 0
	global_load_dwordx4 v[68:71], v[60:61], off
	v_mad_i64_i32 v[60:61], s[10:11], v62, s41, v[58:59]
	v_mad_i64_i32 v[58:59], s[10:11], v63, s41, v[58:59]
	global_load_dwordx4 v[50:53], v[50:51], off
	s_nop 0
	global_load_dwordx4 v[76:79], v[58:59], off
	global_load_dwordx4 v[72:75], v[60:61], off
	s_waitcnt vmcnt(15)
	buffer_store_dword v37, off, s[0:3], 0 offset:12
	buffer_store_dword v36, off, s[0:3], 0 offset:8
	;; [unrolled: 1-line block ×3, first 2 shown]
	buffer_store_dword v34, off, s[0:3], 0
	s_waitcnt vmcnt(18)
	buffer_store_dword v9, off, s[0:3], 0 offset:28
	buffer_store_dword v8, off, s[0:3], 0 offset:24
	;; [unrolled: 1-line block ×4, first 2 shown]
	s_waitcnt vmcnt(21)
	buffer_store_dword v13, off, s[0:3], 0 offset:44
	buffer_store_dword v12, off, s[0:3], 0 offset:40
	;; [unrolled: 1-line block ×4, first 2 shown]
	s_load_dword s10, s[4:5], 0x1c
	s_load_dwordx4 s[48:51], s[4:5], 0x80
	s_waitcnt vmcnt(24)
	buffer_store_dword v5, off, s[0:3], 0 offset:60
	buffer_store_dword v4, off, s[0:3], 0 offset:56
	;; [unrolled: 1-line block ×4, first 2 shown]
	v_and_b32_e32 v2, 3, v0
	v_lshlrev_b32_e32 v2, 5, v2
	v_mov_b32_e32 v6, 0x80
	s_waitcnt vmcnt(27)
	buffer_store_dword v17, off, s[0:3], 0 offset:76
	buffer_store_dword v16, off, s[0:3], 0 offset:72
	;; [unrolled: 1-line block ×4, first 2 shown]
	v_lshl_or_b32 v14, v65, 9, v2
	v_add_u32_e32 v58, 16, v6
	v_add_u32_e32 v64, 32, v6
	;; [unrolled: 1-line block ×7, first 2 shown]
	ds_read_b128 v[2:5], v14
	ds_read_b128 v[6:9], v14 offset:16
	ds_read_b128 v[10:13], v14 offset:2048
	;; [unrolled: 1-line block ×3, first 2 shown]
	s_waitcnt vmcnt(30)
	buffer_store_dword v25, off, s[0:3], 0 offset:92
	buffer_store_dword v24, off, s[0:3], 0 offset:88
	buffer_store_dword v23, off, s[0:3], 0 offset:84
	buffer_store_dword v22, off, s[0:3], 0 offset:80
	s_waitcnt vmcnt(33)
	buffer_store_dword v29, off, s[0:3], 0 offset:108
	buffer_store_dword v28, off, s[0:3], 0 offset:104
	buffer_store_dword v27, off, s[0:3], 0 offset:100
	buffer_store_dword v26, off, s[0:3], 0 offset:96
	;; [unrolled: 5-line block ×3, first 2 shown]
	s_waitcnt lgkmcnt(0)
	v_mov_b32_e32 v18, s10
	v_and_b32_e32 v35, 63, v0
	v_mov_b32_e32 v27, 0
	v_mov_b32_e32 v29, 0
	s_waitcnt vmcnt(39)
	buffer_store_dword v41, off, s[0:3], 0 offset:140
	buffer_store_dword v40, off, s[0:3], 0 offset:136
	buffer_store_dword v39, off, s[0:3], 0 offset:132
	buffer_store_dword v38, off, s[0:3], 0 offset:128
	s_waitcnt vmcnt(42)
	buffer_store_dword v33, off, s[0:3], 0 offset:172
	buffer_store_dword v32, off, s[0:3], 0 offset:168
	buffer_store_dword v31, off, s[0:3], 0 offset:164
	buffer_store_dword v30, off, s[0:3], 0 offset:160
	;; [unrolled: 5-line block ×5, first 2 shown]
	buffer_store_dword v71, off, s[0:3], 0 offset:188
	buffer_store_dword v70, off, s[0:3], 0 offset:184
	;; [unrolled: 1-line block ×4, first 2 shown]
	s_waitcnt vmcnt(56)
	buffer_store_dword v75, off, s[0:3], 0 offset:220
	buffer_store_dword v74, off, s[0:3], 0 offset:216
	buffer_store_dword v73, off, s[0:3], 0 offset:212
	buffer_store_dword v72, off, s[0:3], 0 offset:208
	buffer_store_dword v79, off, s[0:3], 0 offset:252
	s_load_dword s4, s[48:49], 0x0
	v_mov_b32_e32 v31, 0x100
	v_bfrev_b32_e32 v33, 60
	buffer_store_dword v78, off, s[0:3], 0 offset:248
	buffer_store_dword v77, off, s[0:3], 0 offset:244
	;; [unrolled: 1-line block ×3, first 2 shown]
	s_waitcnt lgkmcnt(0)
	v_mul_f32_e32 v22, s4, v18
	v_mov_b32_e32 v24, v22
	v_mov_b32_e32 v25, v22
	s_branch .LBB641_15
.LBB641_12:                             ;   in Loop: Header=BB641_15 Depth=1
	s_or_b64 exec, exec, s[12:13]
.LBB641_13:                             ;   in Loop: Header=BB641_15 Depth=1
	s_or_b64 exec, exec, s[10:11]
.LBB641_14:                             ;   in Loop: Header=BB641_15 Depth=1
	s_or_b64 exec, exec, s[4:5]
	v_cvt_pkrtz_f16_f32 v40, v34, v32
	v_cvt_pkrtz_f16_f32 v41, v23, v37
	v_cvt_pkrtz_f16_f32 v36, v36, v38
	v_cvt_pkrtz_f16_f32 v37, v30, v39
	v_add_u32_e32 v26, s14, v31
	v_mfma_f32_16x16x16f16 v[18:21], v[40:41], v[14:15], v[18:21]
	s_add_i32 s14, s14, 16
	v_mov_b32_e32 v23, v22
	s_cmp_eq_u32 s14, 64
	v_add_u32_e32 v27, 32, v27
	v_mfma_f32_16x16x16f16 v[18:21], v[36:37], v[16:17], v[18:21]
	s_nop 7
	s_nop 2
	v_pk_mul_f32 v[18:19], v[24:25], v[18:19]
	v_pk_mul_f32 v[20:21], v[22:23], v[20:21]
	buffer_store_dword v19, v26, s[0:3], 0 offen offset:4
	buffer_store_dword v18, v26, s[0:3], 0 offen
	buffer_store_dword v21, v26, s[0:3], 0 offen offset:12
	buffer_store_dword v20, v26, s[0:3], 0 offen offset:8
	s_cbranch_scc1 .LBB641_205
.LBB641_15:                             ; =>This Inner Loop Header: Depth=1
	buffer_load_dword v20, v27, s[0:3], 0 offen
	buffer_load_dword v18, v27, s[0:3], 0 offen offset:4
	buffer_load_dword v28, v27, s[0:3], 0 offen offset:8
	;; [unrolled: 1-line block ×3, first 2 shown]
	v_mov_b32_e32 v19, 0
	s_waitcnt vmcnt(3)
	v_cmp_ne_u16_sdwa s[10:11], v20, v29 src0_sel:BYTE_0 src1_sel:DWORD
	s_and_saveexec_b64 s[4:5], s[10:11]
	s_cbranch_execz .LBB641_21
; %bb.16:                               ;   in Loop: Header=BB641_15 Depth=1
	v_cmp_ne_u16_sdwa s[12:13], v20, s15 src0_sel:BYTE_0 src1_sel:DWORD
	v_bfrev_b32_e32 v19, 1
	s_and_saveexec_b64 s[10:11], s[12:13]
	s_cbranch_execz .LBB641_20
; %bb.17:                               ;   in Loop: Header=BB641_15 Depth=1
	v_and_b32_e32 v21, 0x7f, v20
	v_cmp_ne_u32_e32 vcc, s16, v21
	v_mov_b32_e32 v19, 0x7f800001
	s_and_saveexec_b64 s[12:13], vcc
	s_cbranch_execz .LBB641_19
; %bb.18:                               ;   in Loop: Header=BB641_15 Depth=1
	v_and_b32_e32 v19, 7, v20
	v_ffbh_u32_e32 v30, v19
	v_min_u32_e32 v30, 32, v30
	v_subrev_u32_e32 v32, 28, v30
	v_lshlrev_b64 v[36:37], v32, v[20:21]
	v_lshrrev_b32_e32 v23, 3, v21
	v_sub_u32_e32 v30, 29, v30
	v_and_b32_e32 v32, 7, v36
	v_cmp_gt_u32_e32 vcc, 8, v21
	v_cndmask_b32_e32 v21, v23, v30, vcc
	v_cndmask_b32_e32 v19, v19, v32, vcc
	v_lshlrev_b32_e32 v23, 24, v20
	v_lshlrev_b32_e32 v19, 20, v19
	v_and_b32_e32 v23, 0x80000000, v23
	v_lshl_add_u32 v21, v21, 23, v33
	v_or3_b32 v19, v23, v21, v19
.LBB641_19:                             ;   in Loop: Header=BB641_15 Depth=1
	s_or_b64 exec, exec, s[12:13]
.LBB641_20:                             ;   in Loop: Header=BB641_15 Depth=1
	s_or_b64 exec, exec, s[10:11]
.LBB641_21:                             ;   in Loop: Header=BB641_15 Depth=1
	s_or_b64 exec, exec, s[4:5]
	v_lshrrev_b16_e32 v30, 8, v20
	v_cmp_ne_u16_e32 vcc, 0, v30
	v_mov_b32_e32 v21, 0
	v_mov_b32_e32 v23, 0
	s_and_saveexec_b64 s[4:5], vcc
	s_cbranch_execz .LBB641_27
; %bb.22:                               ;   in Loop: Header=BB641_15 Depth=1
	v_cmp_ne_u16_e32 vcc, s15, v30
	v_bfrev_b32_e32 v23, 1
	s_and_saveexec_b64 s[10:11], vcc
	s_cbranch_execz .LBB641_26
; %bb.23:                               ;   in Loop: Header=BB641_15 Depth=1
	v_and_b32_e32 v32, 0x7f, v30
	v_cmp_ne_u32_e32 vcc, s16, v32
	v_mov_b32_e32 v23, 0x7f800001
	s_and_saveexec_b64 s[12:13], vcc
	s_cbranch_execz .LBB641_25
; %bb.24:                               ;   in Loop: Header=BB641_15 Depth=1
	v_and_b32_e32 v23, 7, v30
	v_ffbh_u32_e32 v36, v23
	v_min_u32_e32 v38, 32, v36
	v_subrev_u32_e32 v36, 28, v38
	v_lshlrev_b64 v[36:37], v36, v[30:31]
	v_lshrrev_b32_e32 v34, 3, v32
	v_sub_u32_e32 v30, 29, v38
	v_and_b32_e32 v36, 7, v36
	v_cmp_gt_u32_e32 vcc, 8, v32
	v_cndmask_b32_e32 v30, v34, v30, vcc
	v_cndmask_b32_e32 v23, v23, v36, vcc
	v_lshlrev_b32_e32 v32, 16, v20
	v_lshlrev_b32_e32 v23, 20, v23
	v_and_b32_e32 v32, 0x80000000, v32
	v_lshl_add_u32 v30, v30, 23, v33
	v_or3_b32 v23, v32, v30, v23
.LBB641_25:                             ;   in Loop: Header=BB641_15 Depth=1
	s_or_b64 exec, exec, s[12:13]
.LBB641_26:                             ;   in Loop: Header=BB641_15 Depth=1
	s_or_b64 exec, exec, s[10:11]
.LBB641_27:                             ;   in Loop: Header=BB641_15 Depth=1
	s_or_b64 exec, exec, s[4:5]
	v_lshrrev_b32_e32 v30, 16, v20
	v_cmp_ne_u16_sdwa s[10:11], v30, v29 src0_sel:BYTE_0 src1_sel:DWORD
	s_and_saveexec_b64 s[4:5], s[10:11]
	s_cbranch_execz .LBB641_33
; %bb.28:                               ;   in Loop: Header=BB641_15 Depth=1
	v_cmp_ne_u16_sdwa s[12:13], v30, s15 src0_sel:BYTE_0 src1_sel:DWORD
	v_bfrev_b32_e32 v21, 1
	s_and_saveexec_b64 s[10:11], s[12:13]
	s_cbranch_execz .LBB641_32
; %bb.29:                               ;   in Loop: Header=BB641_15 Depth=1
	v_bfe_u32 v32, v20, 16, 7
	v_cmp_ne_u32_e32 vcc, s16, v32
	v_mov_b32_e32 v21, 0x7f800001
	s_and_saveexec_b64 s[12:13], vcc
	s_cbranch_execz .LBB641_31
; %bb.30:                               ;   in Loop: Header=BB641_15 Depth=1
	v_and_b32_e32 v21, 7, v30
	v_ffbh_u32_e32 v36, v21
	v_min_u32_e32 v38, 32, v36
	v_subrev_u32_e32 v36, 28, v38
	v_lshlrev_b64 v[36:37], v36, v[30:31]
	v_lshrrev_b32_e32 v34, 3, v32
	v_sub_u32_e32 v37, 29, v38
	v_and_b32_e32 v36, 7, v36
	v_cmp_gt_u32_e32 vcc, 8, v32
	v_cndmask_b32_e32 v32, v34, v37, vcc
	v_cndmask_b32_e32 v21, v21, v36, vcc
	v_lshlrev_b32_e32 v30, 24, v30
	v_lshlrev_b32_e32 v21, 20, v21
	v_and_b32_e32 v30, 0x80000000, v30
	v_lshl_add_u32 v32, v32, 23, v33
	v_or3_b32 v21, v30, v32, v21
.LBB641_31:                             ;   in Loop: Header=BB641_15 Depth=1
	s_or_b64 exec, exec, s[12:13]
.LBB641_32:                             ;   in Loop: Header=BB641_15 Depth=1
	s_or_b64 exec, exec, s[10:11]
.LBB641_33:                             ;   in Loop: Header=BB641_15 Depth=1
	s_or_b64 exec, exec, s[4:5]
	v_cmp_lt_u32_e32 vcc, s17, v20
	v_mov_b32_e32 v34, 0
	v_mov_b32_e32 v36, 0
	s_and_saveexec_b64 s[4:5], vcc
	s_cbranch_execz .LBB641_39
; %bb.34:                               ;   in Loop: Header=BB641_15 Depth=1
	v_lshrrev_b32_e32 v30, 24, v20
	v_cmp_ne_u32_e32 vcc, s15, v30
	v_bfrev_b32_e32 v36, 1
	s_and_saveexec_b64 s[10:11], vcc
	s_cbranch_execz .LBB641_38
; %bb.35:                               ;   in Loop: Header=BB641_15 Depth=1
	v_bfe_u32 v20, v20, 24, 7
	v_cmp_ne_u32_e32 vcc, s16, v20
	v_mov_b32_e32 v36, 0x7f800001
	s_and_saveexec_b64 s[12:13], vcc
	s_cbranch_execz .LBB641_37
; %bb.36:                               ;   in Loop: Header=BB641_15 Depth=1
	v_and_b32_e32 v32, 7, v30
	v_ffbh_u32_e32 v36, v32
	v_min_u32_e32 v39, 32, v36
	v_subrev_u32_e32 v36, 28, v39
	v_lshlrev_b64 v[36:37], v36, v[30:31]
	v_lshrrev_b32_e32 v38, 3, v20
	v_sub_u32_e32 v37, 29, v39
	v_and_b32_e32 v36, 7, v36
	v_cmp_gt_u32_e32 vcc, 8, v20
	v_cndmask_b32_e32 v20, v38, v37, vcc
	v_cndmask_b32_e32 v32, v32, v36, vcc
	v_lshlrev_b32_e32 v30, 24, v30
	v_lshlrev_b32_e32 v32, 20, v32
	v_and_b32_e32 v30, 0x80000000, v30
	v_lshl_add_u32 v20, v20, 23, v33
	v_or3_b32 v36, v30, v20, v32
.LBB641_37:                             ;   in Loop: Header=BB641_15 Depth=1
	s_or_b64 exec, exec, s[12:13]
.LBB641_38:                             ;   in Loop: Header=BB641_15 Depth=1
	s_or_b64 exec, exec, s[10:11]
.LBB641_39:                             ;   in Loop: Header=BB641_15 Depth=1
	s_or_b64 exec, exec, s[4:5]
	s_waitcnt vmcnt(2)
	v_cmp_ne_u16_sdwa s[10:11], v18, v29 src0_sel:BYTE_0 src1_sel:DWORD
	s_and_saveexec_b64 s[4:5], s[10:11]
	s_cbranch_execz .LBB641_45
; %bb.40:                               ;   in Loop: Header=BB641_15 Depth=1
	v_cmp_ne_u16_sdwa s[12:13], v18, s15 src0_sel:BYTE_0 src1_sel:DWORD
	v_bfrev_b32_e32 v34, 1
	s_and_saveexec_b64 s[10:11], s[12:13]
	s_cbranch_execz .LBB641_44
; %bb.41:                               ;   in Loop: Header=BB641_15 Depth=1
	v_and_b32_e32 v20, 0x7f, v18
	v_cmp_ne_u32_e32 vcc, s16, v20
	v_mov_b32_e32 v34, 0x7f800001
	s_and_saveexec_b64 s[12:13], vcc
	s_cbranch_execz .LBB641_43
; %bb.42:                               ;   in Loop: Header=BB641_15 Depth=1
	v_and_b32_e32 v30, 7, v18
	v_ffbh_u32_e32 v34, v30
	v_min_u32_e32 v34, 32, v34
	v_subrev_u32_e32 v37, 28, v34
	v_lshlrev_b64 v[38:39], v37, v[18:19]
	v_lshrrev_b32_e32 v32, 3, v20
	v_sub_u32_e32 v34, 29, v34
	v_and_b32_e32 v37, 7, v38
	v_cmp_gt_u32_e32 vcc, 8, v20
	v_cndmask_b32_e32 v20, v32, v34, vcc
	v_cndmask_b32_e32 v30, v30, v37, vcc
	v_lshlrev_b32_e32 v32, 24, v18
	v_lshlrev_b32_e32 v30, 20, v30
	v_and_b32_e32 v32, 0x80000000, v32
	v_lshl_add_u32 v20, v20, 23, v33
	v_or3_b32 v34, v32, v20, v30
.LBB641_43:                             ;   in Loop: Header=BB641_15 Depth=1
	s_or_b64 exec, exec, s[12:13]
.LBB641_44:                             ;   in Loop: Header=BB641_15 Depth=1
	s_or_b64 exec, exec, s[10:11]
.LBB641_45:                             ;   in Loop: Header=BB641_15 Depth=1
	s_or_b64 exec, exec, s[4:5]
	v_lshrrev_b16_e32 v20, 8, v18
	v_cmp_ne_u16_e32 vcc, 0, v20
	v_mov_b32_e32 v30, 0
	v_mov_b32_e32 v37, 0
	s_and_saveexec_b64 s[4:5], vcc
	s_cbranch_execz .LBB641_51
; %bb.46:                               ;   in Loop: Header=BB641_15 Depth=1
	v_cmp_ne_u16_e32 vcc, s15, v20
	v_bfrev_b32_e32 v37, 1
	s_and_saveexec_b64 s[10:11], vcc
	s_cbranch_execz .LBB641_50
; %bb.47:                               ;   in Loop: Header=BB641_15 Depth=1
	v_and_b32_e32 v32, 0x7f, v20
	v_cmp_ne_u32_e32 vcc, s16, v32
	v_mov_b32_e32 v37, 0x7f800001
	s_and_saveexec_b64 s[12:13], vcc
	s_cbranch_execz .LBB641_49
; %bb.48:                               ;   in Loop: Header=BB641_15 Depth=1
	v_and_b32_e32 v37, 7, v20
	v_ffbh_u32_e32 v38, v37
	v_min_u32_e32 v41, 32, v38
	v_subrev_u32_e32 v38, 28, v41
	v_lshlrev_b64 v[38:39], v38, v[20:21]
	v_lshrrev_b32_e32 v40, 3, v32
	v_sub_u32_e32 v20, 29, v41
	v_and_b32_e32 v38, 7, v38
	v_cmp_gt_u32_e32 vcc, 8, v32
	v_cndmask_b32_e32 v20, v40, v20, vcc
	v_cndmask_b32_e32 v32, v37, v38, vcc
	v_lshlrev_b32_e32 v37, 16, v18
	v_lshlrev_b32_e32 v32, 20, v32
	v_and_b32_e32 v37, 0x80000000, v37
	v_lshl_add_u32 v20, v20, 23, v33
	v_or3_b32 v37, v37, v20, v32
.LBB641_49:                             ;   in Loop: Header=BB641_15 Depth=1
	s_or_b64 exec, exec, s[12:13]
.LBB641_50:                             ;   in Loop: Header=BB641_15 Depth=1
	s_or_b64 exec, exec, s[10:11]
.LBB641_51:                             ;   in Loop: Header=BB641_15 Depth=1
	s_or_b64 exec, exec, s[4:5]
	v_lshrrev_b32_e32 v20, 16, v18
	v_cmp_ne_u16_sdwa s[10:11], v20, v29 src0_sel:BYTE_0 src1_sel:DWORD
	s_and_saveexec_b64 s[4:5], s[10:11]
	s_cbranch_execz .LBB641_57
; %bb.52:                               ;   in Loop: Header=BB641_15 Depth=1
	v_cmp_ne_u16_sdwa s[12:13], v20, s15 src0_sel:BYTE_0 src1_sel:DWORD
	v_bfrev_b32_e32 v30, 1
	s_and_saveexec_b64 s[10:11], s[12:13]
	s_cbranch_execz .LBB641_56
; %bb.53:                               ;   in Loop: Header=BB641_15 Depth=1
	v_bfe_u32 v32, v18, 16, 7
	v_cmp_ne_u32_e32 vcc, s16, v32
	v_mov_b32_e32 v30, 0x7f800001
	s_and_saveexec_b64 s[12:13], vcc
	s_cbranch_execz .LBB641_55
; %bb.54:                               ;   in Loop: Header=BB641_15 Depth=1
	v_and_b32_e32 v30, 7, v20
	v_ffbh_u32_e32 v38, v30
	v_min_u32_e32 v41, 32, v38
	v_subrev_u32_e32 v38, 28, v41
	v_lshlrev_b64 v[38:39], v38, v[20:21]
	v_lshrrev_b32_e32 v40, 3, v32
	v_sub_u32_e32 v39, 29, v41
	v_and_b32_e32 v38, 7, v38
	v_cmp_gt_u32_e32 vcc, 8, v32
	v_cndmask_b32_e32 v32, v40, v39, vcc
	v_cndmask_b32_e32 v30, v30, v38, vcc
	v_lshlrev_b32_e32 v20, 24, v20
	v_lshlrev_b32_e32 v30, 20, v30
	v_and_b32_e32 v20, 0x80000000, v20
	v_lshl_add_u32 v32, v32, 23, v33
	v_or3_b32 v30, v20, v32, v30
.LBB641_55:                             ;   in Loop: Header=BB641_15 Depth=1
	s_or_b64 exec, exec, s[12:13]
.LBB641_56:                             ;   in Loop: Header=BB641_15 Depth=1
	s_or_b64 exec, exec, s[10:11]
.LBB641_57:                             ;   in Loop: Header=BB641_15 Depth=1
	s_or_b64 exec, exec, s[4:5]
	v_cmp_lt_u32_e32 vcc, s17, v18
	v_mov_b32_e32 v32, 0
	v_mov_b32_e32 v38, 0
	s_and_saveexec_b64 s[4:5], vcc
	s_cbranch_execz .LBB641_63
; %bb.58:                               ;   in Loop: Header=BB641_15 Depth=1
	v_lshrrev_b32_e32 v20, 24, v18
	v_cmp_ne_u32_e32 vcc, s15, v20
	v_bfrev_b32_e32 v38, 1
	s_and_saveexec_b64 s[10:11], vcc
	s_cbranch_execz .LBB641_62
; %bb.59:                               ;   in Loop: Header=BB641_15 Depth=1
	v_bfe_u32 v18, v18, 24, 7
	v_cmp_ne_u32_e32 vcc, s16, v18
	v_mov_b32_e32 v38, 0x7f800001
	s_and_saveexec_b64 s[12:13], vcc
	s_cbranch_execz .LBB641_61
; %bb.60:                               ;   in Loop: Header=BB641_15 Depth=1
	v_and_b32_e32 v40, 7, v20
	v_ffbh_u32_e32 v38, v40
	v_min_u32_e32 v42, 32, v38
	v_subrev_u32_e32 v38, 28, v42
	v_lshlrev_b64 v[38:39], v38, v[20:21]
	v_lshrrev_b32_e32 v41, 3, v18
	v_sub_u32_e32 v39, 29, v42
	v_and_b32_e32 v38, 7, v38
	v_cmp_gt_u32_e32 vcc, 8, v18
	v_cndmask_b32_e32 v18, v41, v39, vcc
	v_cndmask_b32_e32 v38, v40, v38, vcc
	v_lshlrev_b32_e32 v20, 24, v20
	v_lshlrev_b32_e32 v38, 20, v38
	v_and_b32_e32 v20, 0x80000000, v20
	v_lshl_add_u32 v18, v18, 23, v33
	v_or3_b32 v38, v20, v18, v38
.LBB641_61:                             ;   in Loop: Header=BB641_15 Depth=1
	s_or_b64 exec, exec, s[12:13]
.LBB641_62:                             ;   in Loop: Header=BB641_15 Depth=1
	s_or_b64 exec, exec, s[10:11]
.LBB641_63:                             ;   in Loop: Header=BB641_15 Depth=1
	s_or_b64 exec, exec, s[4:5]
	v_cvt_pkrtz_f16_f32 v18, v19, v23
	v_cvt_pkrtz_f16_f32 v19, v21, v36
	;; [unrolled: 1-line block ×4, first 2 shown]
	s_waitcnt vmcnt(1)
	v_cmp_ne_u16_sdwa s[10:11], v28, v29 src0_sel:BYTE_0 src1_sel:DWORD
	v_mfma_f32_16x16x16f16 v[18:21], v[18:19], v[2:3], 0
	v_mfma_f32_16x16x16f16 v[18:21], v[36:37], v[4:5], v[18:21]
	s_and_saveexec_b64 s[4:5], s[10:11]
	s_cbranch_execz .LBB641_69
; %bb.64:                               ;   in Loop: Header=BB641_15 Depth=1
	v_cmp_ne_u16_sdwa s[12:13], v28, s15 src0_sel:BYTE_0 src1_sel:DWORD
	v_bfrev_b32_e32 v32, 1
	s_and_saveexec_b64 s[10:11], s[12:13]
	s_cbranch_execz .LBB641_68
; %bb.65:                               ;   in Loop: Header=BB641_15 Depth=1
	v_and_b32_e32 v23, 0x7f, v28
	v_cmp_ne_u32_e32 vcc, s16, v23
	v_mov_b32_e32 v32, 0x7f800001
	s_and_saveexec_b64 s[12:13], vcc
	s_cbranch_execz .LBB641_67
; %bb.66:                               ;   in Loop: Header=BB641_15 Depth=1
	v_and_b32_e32 v30, 7, v28
	v_ffbh_u32_e32 v34, v30
	v_min_u32_e32 v34, 32, v34
	v_subrev_u32_e32 v36, 28, v34
	v_lshlrev_b64 v[36:37], v36, v[28:29]
	v_lshrrev_b32_e32 v32, 3, v23
	v_sub_u32_e32 v34, 29, v34
	v_and_b32_e32 v36, 7, v36
	v_cmp_gt_u32_e32 vcc, 8, v23
	v_cndmask_b32_e32 v23, v32, v34, vcc
	v_cndmask_b32_e32 v30, v30, v36, vcc
	v_lshlrev_b32_e32 v32, 24, v28
	v_lshlrev_b32_e32 v30, 20, v30
	v_and_b32_e32 v32, 0x80000000, v32
	v_lshl_add_u32 v23, v23, 23, v33
	v_or3_b32 v32, v32, v23, v30
.LBB641_67:                             ;   in Loop: Header=BB641_15 Depth=1
	s_or_b64 exec, exec, s[12:13]
.LBB641_68:                             ;   in Loop: Header=BB641_15 Depth=1
	s_or_b64 exec, exec, s[10:11]
.LBB641_69:                             ;   in Loop: Header=BB641_15 Depth=1
	s_or_b64 exec, exec, s[4:5]
	v_lshrrev_b16_e32 v30, 8, v28
	v_cmp_ne_u16_e32 vcc, 0, v30
	v_mov_b32_e32 v34, 0
	v_mov_b32_e32 v36, 0
	s_and_saveexec_b64 s[4:5], vcc
	s_cbranch_execz .LBB641_75
; %bb.70:                               ;   in Loop: Header=BB641_15 Depth=1
	v_cmp_ne_u16_e32 vcc, s15, v30
	v_bfrev_b32_e32 v36, 1
	s_and_saveexec_b64 s[10:11], vcc
	s_cbranch_execz .LBB641_74
; %bb.71:                               ;   in Loop: Header=BB641_15 Depth=1
	v_and_b32_e32 v23, 0x7f, v30
	v_cmp_ne_u32_e32 vcc, s16, v23
	v_mov_b32_e32 v36, 0x7f800001
	s_and_saveexec_b64 s[12:13], vcc
	s_cbranch_execz .LBB641_73
; %bb.72:                               ;   in Loop: Header=BB641_15 Depth=1
	v_and_b32_e32 v38, 7, v30
	v_ffbh_u32_e32 v36, v38
	v_min_u32_e32 v40, 32, v36
	v_subrev_u32_e32 v36, 28, v40
	v_lshlrev_b64 v[36:37], v36, v[30:31]
	v_lshrrev_b32_e32 v39, 3, v23
	v_sub_u32_e32 v30, 29, v40
	v_and_b32_e32 v36, 7, v36
	v_cmp_gt_u32_e32 vcc, 8, v23
	v_cndmask_b32_e32 v23, v39, v30, vcc
	v_cndmask_b32_e32 v30, v38, v36, vcc
	v_lshlrev_b32_e32 v36, 16, v28
	v_lshlrev_b32_e32 v30, 20, v30
	v_and_b32_e32 v36, 0x80000000, v36
	v_lshl_add_u32 v23, v23, 23, v33
	v_or3_b32 v36, v36, v23, v30
.LBB641_73:                             ;   in Loop: Header=BB641_15 Depth=1
	s_or_b64 exec, exec, s[12:13]
.LBB641_74:                             ;   in Loop: Header=BB641_15 Depth=1
	s_or_b64 exec, exec, s[10:11]
.LBB641_75:                             ;   in Loop: Header=BB641_15 Depth=1
	s_or_b64 exec, exec, s[4:5]
	v_lshrrev_b32_e32 v30, 16, v28
	v_cmp_ne_u16_sdwa s[10:11], v30, v29 src0_sel:BYTE_0 src1_sel:DWORD
	s_and_saveexec_b64 s[4:5], s[10:11]
	s_cbranch_execz .LBB641_81
; %bb.76:                               ;   in Loop: Header=BB641_15 Depth=1
	v_cmp_ne_u16_sdwa s[12:13], v30, s15 src0_sel:BYTE_0 src1_sel:DWORD
	v_bfrev_b32_e32 v34, 1
	s_and_saveexec_b64 s[10:11], s[12:13]
	s_cbranch_execz .LBB641_80
; %bb.77:                               ;   in Loop: Header=BB641_15 Depth=1
	v_bfe_u32 v23, v28, 16, 7
	v_cmp_ne_u32_e32 vcc, s16, v23
	v_mov_b32_e32 v34, 0x7f800001
	s_and_saveexec_b64 s[12:13], vcc
	s_cbranch_execz .LBB641_79
; %bb.78:                               ;   in Loop: Header=BB641_15 Depth=1
	v_and_b32_e32 v34, 7, v30
	v_ffbh_u32_e32 v38, v34
	v_min_u32_e32 v40, 32, v38
	v_subrev_u32_e32 v38, 28, v40
	v_lshlrev_b64 v[38:39], v38, v[30:31]
	v_lshrrev_b32_e32 v37, 3, v23
	v_sub_u32_e32 v39, 29, v40
	v_and_b32_e32 v38, 7, v38
	v_cmp_gt_u32_e32 vcc, 8, v23
	v_cndmask_b32_e32 v23, v37, v39, vcc
	v_cndmask_b32_e32 v34, v34, v38, vcc
	v_lshlrev_b32_e32 v30, 24, v30
	v_lshlrev_b32_e32 v34, 20, v34
	v_and_b32_e32 v30, 0x80000000, v30
	v_lshl_add_u32 v23, v23, 23, v33
	v_or3_b32 v34, v30, v23, v34
.LBB641_79:                             ;   in Loop: Header=BB641_15 Depth=1
	s_or_b64 exec, exec, s[12:13]
.LBB641_80:                             ;   in Loop: Header=BB641_15 Depth=1
	s_or_b64 exec, exec, s[10:11]
.LBB641_81:                             ;   in Loop: Header=BB641_15 Depth=1
	s_or_b64 exec, exec, s[4:5]
	v_cmp_lt_u32_e32 vcc, s17, v28
	v_mov_b32_e32 v37, 0
	v_mov_b32_e32 v38, 0
	s_and_saveexec_b64 s[4:5], vcc
	s_cbranch_execz .LBB641_87
; %bb.82:                               ;   in Loop: Header=BB641_15 Depth=1
	v_lshrrev_b32_e32 v30, 24, v28
	v_cmp_ne_u32_e32 vcc, s15, v30
	v_bfrev_b32_e32 v38, 1
	s_and_saveexec_b64 s[10:11], vcc
	s_cbranch_execz .LBB641_86
; %bb.83:                               ;   in Loop: Header=BB641_15 Depth=1
	v_bfe_u32 v23, v28, 24, 7
	v_cmp_ne_u32_e32 vcc, s16, v23
	v_mov_b32_e32 v38, 0x7f800001
	s_and_saveexec_b64 s[12:13], vcc
	s_cbranch_execz .LBB641_85
; %bb.84:                               ;   in Loop: Header=BB641_15 Depth=1
	v_and_b32_e32 v28, 7, v30
	v_ffbh_u32_e32 v38, v28
	v_min_u32_e32 v41, 32, v38
	v_subrev_u32_e32 v38, 28, v41
	v_lshlrev_b64 v[38:39], v38, v[30:31]
	v_lshrrev_b32_e32 v40, 3, v23
	v_sub_u32_e32 v39, 29, v41
	v_and_b32_e32 v38, 7, v38
	v_cmp_gt_u32_e32 vcc, 8, v23
	v_cndmask_b32_e32 v23, v40, v39, vcc
	v_cndmask_b32_e32 v28, v28, v38, vcc
	v_lshlrev_b32_e32 v30, 24, v30
	v_lshlrev_b32_e32 v28, 20, v28
	v_and_b32_e32 v30, 0x80000000, v30
	v_lshl_add_u32 v23, v23, 23, v33
	v_or3_b32 v38, v30, v23, v28
.LBB641_85:                             ;   in Loop: Header=BB641_15 Depth=1
	s_or_b64 exec, exec, s[12:13]
.LBB641_86:                             ;   in Loop: Header=BB641_15 Depth=1
	s_or_b64 exec, exec, s[10:11]
.LBB641_87:                             ;   in Loop: Header=BB641_15 Depth=1
	s_or_b64 exec, exec, s[4:5]
	s_waitcnt vmcnt(0)
	v_cmp_ne_u16_sdwa s[10:11], v26, v29 src0_sel:BYTE_0 src1_sel:DWORD
	s_and_saveexec_b64 s[4:5], s[10:11]
	s_cbranch_execz .LBB641_93
; %bb.88:                               ;   in Loop: Header=BB641_15 Depth=1
	v_cmp_ne_u16_sdwa s[12:13], v26, s15 src0_sel:BYTE_0 src1_sel:DWORD
	v_bfrev_b32_e32 v37, 1
	s_and_saveexec_b64 s[10:11], s[12:13]
	s_cbranch_execz .LBB641_92
; %bb.89:                               ;   in Loop: Header=BB641_15 Depth=1
	v_and_b32_e32 v23, 0x7f, v26
	v_cmp_ne_u32_e32 vcc, s16, v23
	v_mov_b32_e32 v37, 0x7f800001
	s_and_saveexec_b64 s[12:13], vcc
	s_cbranch_execz .LBB641_91
; %bb.90:                               ;   in Loop: Header=BB641_15 Depth=1
	v_and_b32_e32 v28, 7, v26
	v_ffbh_u32_e32 v37, v28
	v_min_u32_e32 v37, 32, v37
	v_subrev_u32_e32 v39, 28, v37
	v_lshlrev_b64 v[40:41], v39, v[26:27]
	v_lshrrev_b32_e32 v30, 3, v23
	v_sub_u32_e32 v37, 29, v37
	v_and_b32_e32 v39, 7, v40
	v_cmp_gt_u32_e32 vcc, 8, v23
	v_cndmask_b32_e32 v23, v30, v37, vcc
	v_cndmask_b32_e32 v28, v28, v39, vcc
	v_lshlrev_b32_e32 v30, 24, v26
	v_lshlrev_b32_e32 v28, 20, v28
	v_and_b32_e32 v30, 0x80000000, v30
	v_lshl_add_u32 v23, v23, 23, v33
	v_or3_b32 v37, v30, v23, v28
.LBB641_91:                             ;   in Loop: Header=BB641_15 Depth=1
	s_or_b64 exec, exec, s[12:13]
.LBB641_92:                             ;   in Loop: Header=BB641_15 Depth=1
	s_or_b64 exec, exec, s[10:11]
.LBB641_93:                             ;   in Loop: Header=BB641_15 Depth=1
	s_or_b64 exec, exec, s[4:5]
	v_lshrrev_b16_e32 v28, 8, v26
	v_cmp_ne_u16_e32 vcc, 0, v28
	v_mov_b32_e32 v39, 0
	v_mov_b32_e32 v40, 0
	s_and_saveexec_b64 s[4:5], vcc
	s_cbranch_execz .LBB641_99
; %bb.94:                               ;   in Loop: Header=BB641_15 Depth=1
	v_cmp_ne_u16_e32 vcc, s15, v28
	v_bfrev_b32_e32 v40, 1
	s_and_saveexec_b64 s[10:11], vcc
	s_cbranch_execz .LBB641_98
; %bb.95:                               ;   in Loop: Header=BB641_15 Depth=1
	v_and_b32_e32 v23, 0x7f, v28
	v_cmp_ne_u32_e32 vcc, s16, v23
	v_mov_b32_e32 v40, 0x7f800001
	s_and_saveexec_b64 s[12:13], vcc
	s_cbranch_execz .LBB641_97
; %bb.96:                               ;   in Loop: Header=BB641_15 Depth=1
	v_and_b32_e32 v30, 7, v28
	v_ffbh_u32_e32 v40, v30
	v_min_u32_e32 v43, 32, v40
	v_subrev_u32_e32 v40, 28, v43
	v_lshlrev_b64 v[40:41], v40, v[28:29]
	v_lshrrev_b32_e32 v42, 3, v23
	v_sub_u32_e32 v28, 29, v43
	v_and_b32_e32 v40, 7, v40
	v_cmp_gt_u32_e32 vcc, 8, v23
	v_cndmask_b32_e32 v23, v42, v28, vcc
	v_cndmask_b32_e32 v28, v30, v40, vcc
	v_lshlrev_b32_e32 v30, 16, v26
	v_lshlrev_b32_e32 v28, 20, v28
	v_and_b32_e32 v30, 0x80000000, v30
	v_lshl_add_u32 v23, v23, 23, v33
	v_or3_b32 v40, v30, v23, v28
.LBB641_97:                             ;   in Loop: Header=BB641_15 Depth=1
	s_or_b64 exec, exec, s[12:13]
.LBB641_98:                             ;   in Loop: Header=BB641_15 Depth=1
	s_or_b64 exec, exec, s[10:11]
.LBB641_99:                             ;   in Loop: Header=BB641_15 Depth=1
	s_or_b64 exec, exec, s[4:5]
	v_lshrrev_b32_e32 v28, 16, v26
	v_cmp_ne_u16_sdwa s[10:11], v28, v29 src0_sel:BYTE_0 src1_sel:DWORD
	s_and_saveexec_b64 s[4:5], s[10:11]
	s_cbranch_execz .LBB641_105
; %bb.100:                              ;   in Loop: Header=BB641_15 Depth=1
	v_cmp_ne_u16_sdwa s[12:13], v28, s15 src0_sel:BYTE_0 src1_sel:DWORD
	v_bfrev_b32_e32 v39, 1
	s_and_saveexec_b64 s[10:11], s[12:13]
	s_cbranch_execz .LBB641_104
; %bb.101:                              ;   in Loop: Header=BB641_15 Depth=1
	v_bfe_u32 v23, v26, 16, 7
	v_cmp_ne_u32_e32 vcc, s16, v23
	v_mov_b32_e32 v39, 0x7f800001
	s_and_saveexec_b64 s[12:13], vcc
	s_cbranch_execz .LBB641_103
; %bb.102:                              ;   in Loop: Header=BB641_15 Depth=1
	v_and_b32_e32 v30, 7, v28
	v_ffbh_u32_e32 v41, v30
	v_min_u32_e32 v41, 32, v41
	v_subrev_u32_e32 v42, 28, v41
	v_lshlrev_b64 v[42:43], v42, v[28:29]
	v_lshrrev_b32_e32 v39, 3, v23
	v_sub_u32_e32 v41, 29, v41
	v_and_b32_e32 v42, 7, v42
	v_cmp_gt_u32_e32 vcc, 8, v23
	v_cndmask_b32_e32 v23, v39, v41, vcc
	v_cndmask_b32_e32 v30, v30, v42, vcc
	v_lshlrev_b32_e32 v28, 24, v28
	v_lshlrev_b32_e32 v30, 20, v30
	v_and_b32_e32 v28, 0x80000000, v28
	v_lshl_add_u32 v23, v23, 23, v33
	v_or3_b32 v39, v28, v23, v30
.LBB641_103:                            ;   in Loop: Header=BB641_15 Depth=1
	s_or_b64 exec, exec, s[12:13]
.LBB641_104:                            ;   in Loop: Header=BB641_15 Depth=1
	s_or_b64 exec, exec, s[10:11]
.LBB641_105:                            ;   in Loop: Header=BB641_15 Depth=1
	s_or_b64 exec, exec, s[4:5]
	v_cmp_lt_u32_e32 vcc, s17, v26
	v_mov_b32_e32 v23, 0
	v_mov_b32_e32 v41, 0
	s_and_saveexec_b64 s[4:5], vcc
	s_cbranch_execz .LBB641_111
; %bb.106:                              ;   in Loop: Header=BB641_15 Depth=1
	v_lshrrev_b32_e32 v28, 24, v26
	v_cmp_ne_u32_e32 vcc, s15, v28
	v_bfrev_b32_e32 v41, 1
	s_and_saveexec_b64 s[10:11], vcc
	s_cbranch_execz .LBB641_110
; %bb.107:                              ;   in Loop: Header=BB641_15 Depth=1
	v_bfe_u32 v26, v26, 24, 7
	v_cmp_ne_u32_e32 vcc, s16, v26
	v_mov_b32_e32 v41, 0x7f800001
	s_and_saveexec_b64 s[12:13], vcc
	s_cbranch_execz .LBB641_109
; %bb.108:                              ;   in Loop: Header=BB641_15 Depth=1
	v_and_b32_e32 v30, 7, v28
	v_ffbh_u32_e32 v42, v30
	v_min_u32_e32 v44, 32, v42
	v_subrev_u32_e32 v42, 28, v44
	v_lshlrev_b64 v[42:43], v42, v[28:29]
	v_lshrrev_b32_e32 v41, 3, v26
	v_sub_u32_e32 v43, 29, v44
	v_and_b32_e32 v42, 7, v42
	v_cmp_gt_u32_e32 vcc, 8, v26
	v_cndmask_b32_e32 v26, v41, v43, vcc
	v_cndmask_b32_e32 v30, v30, v42, vcc
	v_lshlrev_b32_e32 v28, 24, v28
	v_lshlrev_b32_e32 v30, 20, v30
	v_and_b32_e32 v28, 0x80000000, v28
	v_lshl_add_u32 v26, v26, 23, v33
	v_or3_b32 v41, v28, v26, v30
.LBB641_109:                            ;   in Loop: Header=BB641_15 Depth=1
	s_or_b64 exec, exec, s[12:13]
.LBB641_110:                            ;   in Loop: Header=BB641_15 Depth=1
	s_or_b64 exec, exec, s[10:11]
.LBB641_111:                            ;   in Loop: Header=BB641_15 Depth=1
	s_or_b64 exec, exec, s[4:5]
	v_cvt_pkrtz_f16_f32 v42, v32, v36
	buffer_load_dword v32, v27, s[0:3], 0 offen offset:16
	buffer_load_dword v30, v27, s[0:3], 0 offen offset:20
	buffer_load_dword v28, v27, s[0:3], 0 offen offset:24
	buffer_load_dword v26, v27, s[0:3], 0 offen offset:28
	v_cvt_pkrtz_f16_f32 v43, v34, v38
	v_cvt_pkrtz_f16_f32 v36, v37, v40
	;; [unrolled: 1-line block ×3, first 2 shown]
	v_mfma_f32_16x16x16f16 v[18:21], v[42:43], v[6:7], v[18:21]
	s_waitcnt vmcnt(3)
	v_cmp_ne_u16_sdwa s[10:11], v32, v29 src0_sel:BYTE_0 src1_sel:DWORD
	v_mfma_f32_16x16x16f16 v[18:21], v[36:37], v[8:9], v[18:21]
	s_and_saveexec_b64 s[4:5], s[10:11]
	s_cbranch_execz .LBB641_117
; %bb.112:                              ;   in Loop: Header=BB641_15 Depth=1
	v_cmp_ne_u16_sdwa s[12:13], v32, s15 src0_sel:BYTE_0 src1_sel:DWORD
	v_bfrev_b32_e32 v23, 1
	s_and_saveexec_b64 s[10:11], s[12:13]
	s_cbranch_execz .LBB641_116
; %bb.113:                              ;   in Loop: Header=BB641_15 Depth=1
	v_and_b32_e32 v34, 0x7f, v32
	v_cmp_ne_u32_e32 vcc, s16, v34
	v_mov_b32_e32 v23, 0x7f800001
	s_and_saveexec_b64 s[12:13], vcc
	s_cbranch_execz .LBB641_115
; %bb.114:                              ;   in Loop: Header=BB641_15 Depth=1
	v_and_b32_e32 v23, 7, v32
	v_ffbh_u32_e32 v36, v23
	v_min_u32_e32 v39, 32, v36
	v_subrev_u32_e32 v36, 28, v39
	v_lshlrev_b64 v[36:37], v36, v[32:33]
	v_lshrrev_b32_e32 v38, 3, v34
	v_sub_u32_e32 v37, 29, v39
	v_and_b32_e32 v36, 7, v36
	v_cmp_gt_u32_e32 vcc, 8, v34
	v_cndmask_b32_e32 v34, v38, v37, vcc
	v_cndmask_b32_e32 v23, v23, v36, vcc
	v_lshlrev_b32_e32 v36, 24, v32
	v_lshlrev_b32_e32 v23, 20, v23
	v_and_b32_e32 v36, 0x80000000, v36
	v_lshl_add_u32 v34, v34, 23, v33
	v_or3_b32 v23, v36, v34, v23
.LBB641_115:                            ;   in Loop: Header=BB641_15 Depth=1
	s_or_b64 exec, exec, s[12:13]
.LBB641_116:                            ;   in Loop: Header=BB641_15 Depth=1
	s_or_b64 exec, exec, s[10:11]
.LBB641_117:                            ;   in Loop: Header=BB641_15 Depth=1
	s_or_b64 exec, exec, s[4:5]
	v_lshrrev_b16_e32 v34, 8, v32
	v_cmp_ne_u16_e32 vcc, 0, v34
	v_mov_b32_e32 v36, 0
	v_mov_b32_e32 v37, 0
	s_and_saveexec_b64 s[4:5], vcc
	s_cbranch_execz .LBB641_123
; %bb.118:                              ;   in Loop: Header=BB641_15 Depth=1
	v_cmp_ne_u16_e32 vcc, s15, v34
	v_bfrev_b32_e32 v37, 1
	s_and_saveexec_b64 s[10:11], vcc
	s_cbranch_execz .LBB641_122
; %bb.119:                              ;   in Loop: Header=BB641_15 Depth=1
	v_and_b32_e32 v38, 0x7f, v34
	v_cmp_ne_u32_e32 vcc, s16, v38
	v_mov_b32_e32 v37, 0x7f800001
	s_and_saveexec_b64 s[12:13], vcc
	s_cbranch_execz .LBB641_121
; %bb.120:                              ;   in Loop: Header=BB641_15 Depth=1
	v_and_b32_e32 v37, 7, v34
	v_ffbh_u32_e32 v40, v37
	v_min_u32_e32 v42, 32, v40
	v_subrev_u32_e32 v40, 28, v42
	v_lshlrev_b64 v[40:41], v40, v[34:35]
	v_lshrrev_b32_e32 v39, 3, v38
	v_sub_u32_e32 v34, 29, v42
	v_and_b32_e32 v40, 7, v40
	v_cmp_gt_u32_e32 vcc, 8, v38
	v_cndmask_b32_e32 v34, v39, v34, vcc
	v_cndmask_b32_e32 v37, v37, v40, vcc
	v_lshlrev_b32_e32 v38, 16, v32
	v_lshlrev_b32_e32 v37, 20, v37
	v_and_b32_e32 v38, 0x80000000, v38
	v_lshl_add_u32 v34, v34, 23, v33
	v_or3_b32 v37, v38, v34, v37
.LBB641_121:                            ;   in Loop: Header=BB641_15 Depth=1
	s_or_b64 exec, exec, s[12:13]
.LBB641_122:                            ;   in Loop: Header=BB641_15 Depth=1
	s_or_b64 exec, exec, s[10:11]
.LBB641_123:                            ;   in Loop: Header=BB641_15 Depth=1
	s_or_b64 exec, exec, s[4:5]
	v_lshrrev_b32_e32 v34, 16, v32
	v_cmp_ne_u16_sdwa s[10:11], v34, v29 src0_sel:BYTE_0 src1_sel:DWORD
	s_and_saveexec_b64 s[4:5], s[10:11]
	s_cbranch_execz .LBB641_129
; %bb.124:                              ;   in Loop: Header=BB641_15 Depth=1
	v_cmp_ne_u16_sdwa s[12:13], v34, s15 src0_sel:BYTE_0 src1_sel:DWORD
	v_bfrev_b32_e32 v36, 1
	s_and_saveexec_b64 s[10:11], s[12:13]
	s_cbranch_execz .LBB641_128
; %bb.125:                              ;   in Loop: Header=BB641_15 Depth=1
	v_bfe_u32 v38, v32, 16, 7
	v_cmp_ne_u32_e32 vcc, s16, v38
	v_mov_b32_e32 v36, 0x7f800001
	s_and_saveexec_b64 s[12:13], vcc
	s_cbranch_execz .LBB641_127
; %bb.126:                              ;   in Loop: Header=BB641_15 Depth=1
	v_and_b32_e32 v36, 7, v34
	v_ffbh_u32_e32 v40, v36
	v_min_u32_e32 v42, 32, v40
	v_subrev_u32_e32 v40, 28, v42
	v_lshlrev_b64 v[40:41], v40, v[34:35]
	v_lshrrev_b32_e32 v39, 3, v38
	v_sub_u32_e32 v41, 29, v42
	v_and_b32_e32 v40, 7, v40
	v_cmp_gt_u32_e32 vcc, 8, v38
	v_cndmask_b32_e32 v38, v39, v41, vcc
	v_cndmask_b32_e32 v36, v36, v40, vcc
	v_lshlrev_b32_e32 v34, 24, v34
	v_lshlrev_b32_e32 v36, 20, v36
	v_and_b32_e32 v34, 0x80000000, v34
	v_lshl_add_u32 v38, v38, 23, v33
	v_or3_b32 v36, v34, v38, v36
.LBB641_127:                            ;   in Loop: Header=BB641_15 Depth=1
	s_or_b64 exec, exec, s[12:13]
.LBB641_128:                            ;   in Loop: Header=BB641_15 Depth=1
	s_or_b64 exec, exec, s[10:11]
.LBB641_129:                            ;   in Loop: Header=BB641_15 Depth=1
	s_or_b64 exec, exec, s[4:5]
	v_cmp_lt_u32_e32 vcc, s17, v32
	v_mov_b32_e32 v38, 0
	v_mov_b32_e32 v39, 0
	s_and_saveexec_b64 s[4:5], vcc
	s_cbranch_execz .LBB641_135
; %bb.130:                              ;   in Loop: Header=BB641_15 Depth=1
	v_lshrrev_b32_e32 v34, 24, v32
	v_cmp_ne_u32_e32 vcc, s15, v34
	v_bfrev_b32_e32 v39, 1
	s_and_saveexec_b64 s[10:11], vcc
	s_cbranch_execz .LBB641_134
; %bb.131:                              ;   in Loop: Header=BB641_15 Depth=1
	v_bfe_u32 v32, v32, 24, 7
	v_cmp_ne_u32_e32 vcc, s16, v32
	v_mov_b32_e32 v39, 0x7f800001
	s_and_saveexec_b64 s[12:13], vcc
	s_cbranch_execz .LBB641_133
; %bb.132:                              ;   in Loop: Header=BB641_15 Depth=1
	v_and_b32_e32 v39, 7, v34
	v_ffbh_u32_e32 v40, v39
	v_min_u32_e32 v43, 32, v40
	v_subrev_u32_e32 v40, 28, v43
	v_lshlrev_b64 v[40:41], v40, v[34:35]
	v_lshrrev_b32_e32 v42, 3, v32
	v_sub_u32_e32 v41, 29, v43
	v_and_b32_e32 v40, 7, v40
	v_cmp_gt_u32_e32 vcc, 8, v32
	v_cndmask_b32_e32 v32, v42, v41, vcc
	v_cndmask_b32_e32 v39, v39, v40, vcc
	v_lshlrev_b32_e32 v34, 24, v34
	v_lshlrev_b32_e32 v39, 20, v39
	v_and_b32_e32 v34, 0x80000000, v34
	v_lshl_add_u32 v32, v32, 23, v33
	v_or3_b32 v39, v34, v32, v39
.LBB641_133:                            ;   in Loop: Header=BB641_15 Depth=1
	s_or_b64 exec, exec, s[12:13]
.LBB641_134:                            ;   in Loop: Header=BB641_15 Depth=1
	s_or_b64 exec, exec, s[10:11]
.LBB641_135:                            ;   in Loop: Header=BB641_15 Depth=1
	s_or_b64 exec, exec, s[4:5]
	s_waitcnt vmcnt(2)
	v_cmp_ne_u16_sdwa s[10:11], v30, v29 src0_sel:BYTE_0 src1_sel:DWORD
	s_and_saveexec_b64 s[4:5], s[10:11]
	s_cbranch_execz .LBB641_141
; %bb.136:                              ;   in Loop: Header=BB641_15 Depth=1
	v_cmp_ne_u16_sdwa s[12:13], v30, s15 src0_sel:BYTE_0 src1_sel:DWORD
	v_bfrev_b32_e32 v38, 1
	s_and_saveexec_b64 s[10:11], s[12:13]
	s_cbranch_execz .LBB641_140
; %bb.137:                              ;   in Loop: Header=BB641_15 Depth=1
	v_and_b32_e32 v32, 0x7f, v30
	v_cmp_ne_u32_e32 vcc, s16, v32
	v_mov_b32_e32 v38, 0x7f800001
	s_and_saveexec_b64 s[12:13], vcc
	s_cbranch_execz .LBB641_139
; %bb.138:                              ;   in Loop: Header=BB641_15 Depth=1
	v_and_b32_e32 v34, 7, v30
	v_ffbh_u32_e32 v40, v34
	v_min_u32_e32 v42, 32, v40
	v_subrev_u32_e32 v40, 28, v42
	v_lshlrev_b64 v[40:41], v40, v[30:31]
	v_lshrrev_b32_e32 v38, 3, v32
	v_sub_u32_e32 v41, 29, v42
	v_and_b32_e32 v40, 7, v40
	v_cmp_gt_u32_e32 vcc, 8, v32
	v_cndmask_b32_e32 v32, v38, v41, vcc
	v_cndmask_b32_e32 v34, v34, v40, vcc
	v_lshlrev_b32_e32 v38, 24, v30
	v_lshlrev_b32_e32 v34, 20, v34
	v_and_b32_e32 v38, 0x80000000, v38
	v_lshl_add_u32 v32, v32, 23, v33
	v_or3_b32 v38, v38, v32, v34
.LBB641_139:                            ;   in Loop: Header=BB641_15 Depth=1
	s_or_b64 exec, exec, s[12:13]
.LBB641_140:                            ;   in Loop: Header=BB641_15 Depth=1
	s_or_b64 exec, exec, s[10:11]
.LBB641_141:                            ;   in Loop: Header=BB641_15 Depth=1
	s_or_b64 exec, exec, s[4:5]
	v_lshrrev_b16_e32 v32, 8, v30
	v_cmp_ne_u16_e32 vcc, 0, v32
	v_mov_b32_e32 v40, 0
	v_mov_b32_e32 v41, 0
	s_and_saveexec_b64 s[4:5], vcc
	s_cbranch_execz .LBB641_147
; %bb.142:                              ;   in Loop: Header=BB641_15 Depth=1
	v_cmp_ne_u16_e32 vcc, s15, v32
	v_bfrev_b32_e32 v41, 1
	s_and_saveexec_b64 s[10:11], vcc
	s_cbranch_execz .LBB641_146
; %bb.143:                              ;   in Loop: Header=BB641_15 Depth=1
	v_and_b32_e32 v34, 0x7f, v32
	v_cmp_ne_u32_e32 vcc, s16, v34
	v_mov_b32_e32 v41, 0x7f800001
	s_and_saveexec_b64 s[12:13], vcc
	s_cbranch_execz .LBB641_145
; %bb.144:                              ;   in Loop: Header=BB641_15 Depth=1
	v_and_b32_e32 v41, 7, v32
	v_ffbh_u32_e32 v42, v41
	v_min_u32_e32 v45, 32, v42
	v_subrev_u32_e32 v42, 28, v45
	v_lshlrev_b64 v[42:43], v42, v[32:33]
	v_lshrrev_b32_e32 v44, 3, v34
	v_sub_u32_e32 v32, 29, v45
	v_and_b32_e32 v42, 7, v42
	v_cmp_gt_u32_e32 vcc, 8, v34
	v_cndmask_b32_e32 v32, v44, v32, vcc
	v_cndmask_b32_e32 v34, v41, v42, vcc
	v_lshlrev_b32_e32 v41, 16, v30
	v_lshlrev_b32_e32 v34, 20, v34
	v_and_b32_e32 v41, 0x80000000, v41
	v_lshl_add_u32 v32, v32, 23, v33
	v_or3_b32 v41, v41, v32, v34
.LBB641_145:                            ;   in Loop: Header=BB641_15 Depth=1
	s_or_b64 exec, exec, s[12:13]
.LBB641_146:                            ;   in Loop: Header=BB641_15 Depth=1
	s_or_b64 exec, exec, s[10:11]
.LBB641_147:                            ;   in Loop: Header=BB641_15 Depth=1
	s_or_b64 exec, exec, s[4:5]
	v_lshrrev_b32_e32 v32, 16, v30
	v_cmp_ne_u16_sdwa s[10:11], v32, v29 src0_sel:BYTE_0 src1_sel:DWORD
	s_and_saveexec_b64 s[4:5], s[10:11]
	s_cbranch_execz .LBB641_153
; %bb.148:                              ;   in Loop: Header=BB641_15 Depth=1
	v_cmp_ne_u16_sdwa s[12:13], v32, s15 src0_sel:BYTE_0 src1_sel:DWORD
	v_bfrev_b32_e32 v40, 1
	s_and_saveexec_b64 s[10:11], s[12:13]
	s_cbranch_execz .LBB641_152
; %bb.149:                              ;   in Loop: Header=BB641_15 Depth=1
	v_bfe_u32 v34, v30, 16, 7
	v_cmp_ne_u32_e32 vcc, s16, v34
	v_mov_b32_e32 v40, 0x7f800001
	s_and_saveexec_b64 s[12:13], vcc
	s_cbranch_execz .LBB641_151
; %bb.150:                              ;   in Loop: Header=BB641_15 Depth=1
	v_and_b32_e32 v40, 7, v32
	v_ffbh_u32_e32 v42, v40
	v_min_u32_e32 v45, 32, v42
	v_subrev_u32_e32 v42, 28, v45
	v_lshlrev_b64 v[42:43], v42, v[32:33]
	v_lshrrev_b32_e32 v44, 3, v34
	v_sub_u32_e32 v43, 29, v45
	v_and_b32_e32 v42, 7, v42
	v_cmp_gt_u32_e32 vcc, 8, v34
	v_cndmask_b32_e32 v34, v44, v43, vcc
	v_cndmask_b32_e32 v40, v40, v42, vcc
	v_lshlrev_b32_e32 v32, 24, v32
	v_lshlrev_b32_e32 v40, 20, v40
	v_and_b32_e32 v32, 0x80000000, v32
	v_lshl_add_u32 v34, v34, 23, v33
	v_or3_b32 v40, v32, v34, v40
.LBB641_151:                            ;   in Loop: Header=BB641_15 Depth=1
	s_or_b64 exec, exec, s[12:13]
.LBB641_152:                            ;   in Loop: Header=BB641_15 Depth=1
	s_or_b64 exec, exec, s[10:11]
.LBB641_153:                            ;   in Loop: Header=BB641_15 Depth=1
	s_or_b64 exec, exec, s[4:5]
	v_cmp_lt_u32_e32 vcc, s17, v30
	v_mov_b32_e32 v34, 0
	v_mov_b32_e32 v42, 0
	s_and_saveexec_b64 s[4:5], vcc
	s_cbranch_execz .LBB641_159
; %bb.154:                              ;   in Loop: Header=BB641_15 Depth=1
	v_lshrrev_b32_e32 v32, 24, v30
	v_cmp_ne_u32_e32 vcc, s15, v32
	v_bfrev_b32_e32 v42, 1
	s_and_saveexec_b64 s[10:11], vcc
	s_cbranch_execz .LBB641_158
; %bb.155:                              ;   in Loop: Header=BB641_15 Depth=1
	v_bfe_u32 v30, v30, 24, 7
	v_cmp_ne_u32_e32 vcc, s16, v30
	v_mov_b32_e32 v42, 0x7f800001
	s_and_saveexec_b64 s[12:13], vcc
	s_cbranch_execz .LBB641_157
; %bb.156:                              ;   in Loop: Header=BB641_15 Depth=1
	v_and_b32_e32 v44, 7, v32
	v_ffbh_u32_e32 v42, v44
	v_min_u32_e32 v46, 32, v42
	v_subrev_u32_e32 v42, 28, v46
	v_lshlrev_b64 v[42:43], v42, v[32:33]
	v_lshrrev_b32_e32 v45, 3, v30
	v_sub_u32_e32 v43, 29, v46
	v_and_b32_e32 v42, 7, v42
	v_cmp_gt_u32_e32 vcc, 8, v30
	v_cndmask_b32_e32 v30, v45, v43, vcc
	v_cndmask_b32_e32 v42, v44, v42, vcc
	v_lshlrev_b32_e32 v32, 24, v32
	v_lshlrev_b32_e32 v42, 20, v42
	v_and_b32_e32 v32, 0x80000000, v32
	v_lshl_add_u32 v30, v30, 23, v33
	v_or3_b32 v42, v32, v30, v42
.LBB641_157:                            ;   in Loop: Header=BB641_15 Depth=1
	s_or_b64 exec, exec, s[12:13]
.LBB641_158:                            ;   in Loop: Header=BB641_15 Depth=1
	s_or_b64 exec, exec, s[10:11]
.LBB641_159:                            ;   in Loop: Header=BB641_15 Depth=1
	s_or_b64 exec, exec, s[4:5]
	v_cvt_pkrtz_f16_f32 v44, v23, v37
	v_cvt_pkrtz_f16_f32 v45, v36, v39
	;; [unrolled: 1-line block ×4, first 2 shown]
	s_waitcnt vmcnt(1)
	v_cmp_ne_u16_sdwa s[10:11], v28, v29 src0_sel:BYTE_0 src1_sel:DWORD
	v_mfma_f32_16x16x16f16 v[18:21], v[44:45], v[10:11], v[18:21]
	v_mfma_f32_16x16x16f16 v[18:21], v[36:37], v[12:13], v[18:21]
	s_and_saveexec_b64 s[4:5], s[10:11]
	s_cbranch_execz .LBB641_165
; %bb.160:                              ;   in Loop: Header=BB641_15 Depth=1
	v_cmp_ne_u16_sdwa s[12:13], v28, s15 src0_sel:BYTE_0 src1_sel:DWORD
	v_bfrev_b32_e32 v34, 1
	s_and_saveexec_b64 s[10:11], s[12:13]
	s_cbranch_execz .LBB641_164
; %bb.161:                              ;   in Loop: Header=BB641_15 Depth=1
	v_and_b32_e32 v23, 0x7f, v28
	v_cmp_ne_u32_e32 vcc, s16, v23
	v_mov_b32_e32 v34, 0x7f800001
	s_and_saveexec_b64 s[12:13], vcc
	s_cbranch_execz .LBB641_163
; %bb.162:                              ;   in Loop: Header=BB641_15 Depth=1
	v_and_b32_e32 v30, 7, v28
	v_ffbh_u32_e32 v34, v30
	v_min_u32_e32 v34, 32, v34
	v_subrev_u32_e32 v36, 28, v34
	v_lshlrev_b64 v[36:37], v36, v[28:29]
	v_lshrrev_b32_e32 v32, 3, v23
	v_sub_u32_e32 v34, 29, v34
	v_and_b32_e32 v36, 7, v36
	v_cmp_gt_u32_e32 vcc, 8, v23
	v_cndmask_b32_e32 v23, v32, v34, vcc
	v_cndmask_b32_e32 v30, v30, v36, vcc
	v_lshlrev_b32_e32 v32, 24, v28
	v_lshlrev_b32_e32 v30, 20, v30
	v_and_b32_e32 v32, 0x80000000, v32
	v_lshl_add_u32 v23, v23, 23, v33
	v_or3_b32 v34, v32, v23, v30
.LBB641_163:                            ;   in Loop: Header=BB641_15 Depth=1
	s_or_b64 exec, exec, s[12:13]
.LBB641_164:                            ;   in Loop: Header=BB641_15 Depth=1
	s_or_b64 exec, exec, s[10:11]
.LBB641_165:                            ;   in Loop: Header=BB641_15 Depth=1
	s_or_b64 exec, exec, s[4:5]
	v_lshrrev_b16_e32 v30, 8, v28
	v_cmp_ne_u16_e32 vcc, 0, v30
	v_mov_b32_e32 v23, 0
	v_mov_b32_e32 v32, 0
	s_and_saveexec_b64 s[4:5], vcc
	s_cbranch_execz .LBB641_171
; %bb.166:                              ;   in Loop: Header=BB641_15 Depth=1
	v_cmp_ne_u16_e32 vcc, s15, v30
	v_bfrev_b32_e32 v32, 1
	s_and_saveexec_b64 s[10:11], vcc
	s_cbranch_execz .LBB641_170
; %bb.167:                              ;   in Loop: Header=BB641_15 Depth=1
	v_and_b32_e32 v36, 0x7f, v30
	v_cmp_ne_u32_e32 vcc, s16, v36
	v_mov_b32_e32 v32, 0x7f800001
	s_and_saveexec_b64 s[12:13], vcc
	s_cbranch_execz .LBB641_169
; %bb.168:                              ;   in Loop: Header=BB641_15 Depth=1
	v_and_b32_e32 v32, 7, v30
	v_ffbh_u32_e32 v38, v32
	v_min_u32_e32 v40, 32, v38
	v_subrev_u32_e32 v38, 28, v40
	v_lshlrev_b64 v[38:39], v38, v[30:31]
	v_lshrrev_b32_e32 v37, 3, v36
	v_sub_u32_e32 v30, 29, v40
	v_and_b32_e32 v38, 7, v38
	v_cmp_gt_u32_e32 vcc, 8, v36
	v_cndmask_b32_e32 v30, v37, v30, vcc
	v_cndmask_b32_e32 v32, v32, v38, vcc
	v_lshlrev_b32_e32 v36, 16, v28
	v_lshlrev_b32_e32 v32, 20, v32
	v_and_b32_e32 v36, 0x80000000, v36
	v_lshl_add_u32 v30, v30, 23, v33
	v_or3_b32 v32, v36, v30, v32
.LBB641_169:                            ;   in Loop: Header=BB641_15 Depth=1
	s_or_b64 exec, exec, s[12:13]
.LBB641_170:                            ;   in Loop: Header=BB641_15 Depth=1
	s_or_b64 exec, exec, s[10:11]
.LBB641_171:                            ;   in Loop: Header=BB641_15 Depth=1
	s_or_b64 exec, exec, s[4:5]
	v_lshrrev_b32_e32 v30, 16, v28
	v_cmp_ne_u16_sdwa s[10:11], v30, v29 src0_sel:BYTE_0 src1_sel:DWORD
	s_and_saveexec_b64 s[4:5], s[10:11]
	s_cbranch_execz .LBB641_177
; %bb.172:                              ;   in Loop: Header=BB641_15 Depth=1
	v_cmp_ne_u16_sdwa s[12:13], v30, s15 src0_sel:BYTE_0 src1_sel:DWORD
	v_bfrev_b32_e32 v23, 1
	s_and_saveexec_b64 s[10:11], s[12:13]
	s_cbranch_execz .LBB641_176
; %bb.173:                              ;   in Loop: Header=BB641_15 Depth=1
	v_bfe_u32 v36, v28, 16, 7
	v_cmp_ne_u32_e32 vcc, s16, v36
	v_mov_b32_e32 v23, 0x7f800001
	s_and_saveexec_b64 s[12:13], vcc
	s_cbranch_execz .LBB641_175
; %bb.174:                              ;   in Loop: Header=BB641_15 Depth=1
	v_and_b32_e32 v23, 7, v30
	v_ffbh_u32_e32 v38, v23
	v_min_u32_e32 v40, 32, v38
	v_subrev_u32_e32 v38, 28, v40
	v_lshlrev_b64 v[38:39], v38, v[30:31]
	v_lshrrev_b32_e32 v37, 3, v36
	v_sub_u32_e32 v39, 29, v40
	v_and_b32_e32 v38, 7, v38
	v_cmp_gt_u32_e32 vcc, 8, v36
	v_cndmask_b32_e32 v36, v37, v39, vcc
	v_cndmask_b32_e32 v23, v23, v38, vcc
	v_lshlrev_b32_e32 v30, 24, v30
	v_lshlrev_b32_e32 v23, 20, v23
	v_and_b32_e32 v30, 0x80000000, v30
	v_lshl_add_u32 v36, v36, 23, v33
	v_or3_b32 v23, v30, v36, v23
.LBB641_175:                            ;   in Loop: Header=BB641_15 Depth=1
	s_or_b64 exec, exec, s[12:13]
.LBB641_176:                            ;   in Loop: Header=BB641_15 Depth=1
	s_or_b64 exec, exec, s[10:11]
.LBB641_177:                            ;   in Loop: Header=BB641_15 Depth=1
	s_or_b64 exec, exec, s[4:5]
	v_cmp_lt_u32_e32 vcc, s17, v28
	v_mov_b32_e32 v36, 0
	v_mov_b32_e32 v37, 0
	s_and_saveexec_b64 s[4:5], vcc
	s_cbranch_execz .LBB641_183
; %bb.178:                              ;   in Loop: Header=BB641_15 Depth=1
	v_lshrrev_b32_e32 v30, 24, v28
	v_cmp_ne_u32_e32 vcc, s15, v30
	v_bfrev_b32_e32 v37, 1
	s_and_saveexec_b64 s[10:11], vcc
	s_cbranch_execz .LBB641_182
; %bb.179:                              ;   in Loop: Header=BB641_15 Depth=1
	v_bfe_u32 v28, v28, 24, 7
	v_cmp_ne_u32_e32 vcc, s16, v28
	v_mov_b32_e32 v37, 0x7f800001
	s_and_saveexec_b64 s[12:13], vcc
	s_cbranch_execz .LBB641_181
; %bb.180:                              ;   in Loop: Header=BB641_15 Depth=1
	v_and_b32_e32 v37, 7, v30
	v_ffbh_u32_e32 v38, v37
	v_min_u32_e32 v41, 32, v38
	v_subrev_u32_e32 v38, 28, v41
	v_lshlrev_b64 v[38:39], v38, v[30:31]
	v_lshrrev_b32_e32 v40, 3, v28
	v_sub_u32_e32 v39, 29, v41
	v_and_b32_e32 v38, 7, v38
	v_cmp_gt_u32_e32 vcc, 8, v28
	v_cndmask_b32_e32 v28, v40, v39, vcc
	v_cndmask_b32_e32 v37, v37, v38, vcc
	v_lshlrev_b32_e32 v30, 24, v30
	v_lshlrev_b32_e32 v37, 20, v37
	v_and_b32_e32 v30, 0x80000000, v30
	v_lshl_add_u32 v28, v28, 23, v33
	v_or3_b32 v37, v30, v28, v37
.LBB641_181:                            ;   in Loop: Header=BB641_15 Depth=1
	s_or_b64 exec, exec, s[12:13]
.LBB641_182:                            ;   in Loop: Header=BB641_15 Depth=1
	s_or_b64 exec, exec, s[10:11]
.LBB641_183:                            ;   in Loop: Header=BB641_15 Depth=1
	s_or_b64 exec, exec, s[4:5]
	s_waitcnt vmcnt(0)
	v_cmp_ne_u16_sdwa s[10:11], v26, v29 src0_sel:BYTE_0 src1_sel:DWORD
	s_and_saveexec_b64 s[4:5], s[10:11]
	s_cbranch_execz .LBB641_189
; %bb.184:                              ;   in Loop: Header=BB641_15 Depth=1
	v_cmp_ne_u16_sdwa s[12:13], v26, s15 src0_sel:BYTE_0 src1_sel:DWORD
	v_bfrev_b32_e32 v36, 1
	s_and_saveexec_b64 s[10:11], s[12:13]
	s_cbranch_execz .LBB641_188
; %bb.185:                              ;   in Loop: Header=BB641_15 Depth=1
	v_and_b32_e32 v28, 0x7f, v26
	v_cmp_ne_u32_e32 vcc, s16, v28
	v_mov_b32_e32 v36, 0x7f800001
	s_and_saveexec_b64 s[12:13], vcc
	s_cbranch_execz .LBB641_187
; %bb.186:                              ;   in Loop: Header=BB641_15 Depth=1
	v_and_b32_e32 v30, 7, v26
	v_ffbh_u32_e32 v38, v30
	v_min_u32_e32 v40, 32, v38
	v_subrev_u32_e32 v38, 28, v40
	v_lshlrev_b64 v[38:39], v38, v[26:27]
	v_lshrrev_b32_e32 v36, 3, v28
	v_sub_u32_e32 v39, 29, v40
	v_and_b32_e32 v38, 7, v38
	v_cmp_gt_u32_e32 vcc, 8, v28
	v_cndmask_b32_e32 v28, v36, v39, vcc
	v_cndmask_b32_e32 v30, v30, v38, vcc
	v_lshlrev_b32_e32 v36, 24, v26
	v_lshlrev_b32_e32 v30, 20, v30
	v_and_b32_e32 v36, 0x80000000, v36
	v_lshl_add_u32 v28, v28, 23, v33
	v_or3_b32 v36, v36, v28, v30
.LBB641_187:                            ;   in Loop: Header=BB641_15 Depth=1
	s_or_b64 exec, exec, s[12:13]
.LBB641_188:                            ;   in Loop: Header=BB641_15 Depth=1
	s_or_b64 exec, exec, s[10:11]
.LBB641_189:                            ;   in Loop: Header=BB641_15 Depth=1
	s_or_b64 exec, exec, s[4:5]
	v_lshrrev_b16_e32 v28, 8, v26
	v_cmp_ne_u16_e32 vcc, 0, v28
	v_mov_b32_e32 v30, 0
	v_mov_b32_e32 v38, 0
	s_and_saveexec_b64 s[4:5], vcc
	s_cbranch_execz .LBB641_195
; %bb.190:                              ;   in Loop: Header=BB641_15 Depth=1
	v_cmp_ne_u16_e32 vcc, s15, v28
	v_bfrev_b32_e32 v38, 1
	s_and_saveexec_b64 s[10:11], vcc
	s_cbranch_execz .LBB641_194
; %bb.191:                              ;   in Loop: Header=BB641_15 Depth=1
	v_and_b32_e32 v39, 0x7f, v28
	v_cmp_ne_u32_e32 vcc, s16, v39
	v_mov_b32_e32 v38, 0x7f800001
	s_and_saveexec_b64 s[12:13], vcc
	s_cbranch_execz .LBB641_193
; %bb.192:                              ;   in Loop: Header=BB641_15 Depth=1
	v_and_b32_e32 v38, 7, v28
	v_ffbh_u32_e32 v40, v38
	v_min_u32_e32 v43, 32, v40
	v_subrev_u32_e32 v40, 28, v43
	v_lshlrev_b64 v[40:41], v40, v[28:29]
	v_lshrrev_b32_e32 v42, 3, v39
	v_sub_u32_e32 v28, 29, v43
	v_and_b32_e32 v40, 7, v40
	v_cmp_gt_u32_e32 vcc, 8, v39
	v_cndmask_b32_e32 v28, v42, v28, vcc
	v_cndmask_b32_e32 v38, v38, v40, vcc
	v_lshlrev_b32_e32 v39, 16, v26
	v_lshlrev_b32_e32 v38, 20, v38
	v_and_b32_e32 v39, 0x80000000, v39
	v_lshl_add_u32 v28, v28, 23, v33
	v_or3_b32 v38, v39, v28, v38
.LBB641_193:                            ;   in Loop: Header=BB641_15 Depth=1
	s_or_b64 exec, exec, s[12:13]
.LBB641_194:                            ;   in Loop: Header=BB641_15 Depth=1
	s_or_b64 exec, exec, s[10:11]
.LBB641_195:                            ;   in Loop: Header=BB641_15 Depth=1
	s_or_b64 exec, exec, s[4:5]
	v_lshrrev_b32_e32 v28, 16, v26
	v_cmp_ne_u16_sdwa s[10:11], v28, v29 src0_sel:BYTE_0 src1_sel:DWORD
	s_and_saveexec_b64 s[4:5], s[10:11]
	s_cbranch_execz .LBB641_201
; %bb.196:                              ;   in Loop: Header=BB641_15 Depth=1
	v_cmp_ne_u16_sdwa s[12:13], v28, s15 src0_sel:BYTE_0 src1_sel:DWORD
	v_bfrev_b32_e32 v30, 1
	s_and_saveexec_b64 s[10:11], s[12:13]
	s_cbranch_execz .LBB641_200
; %bb.197:                              ;   in Loop: Header=BB641_15 Depth=1
	v_bfe_u32 v39, v26, 16, 7
	v_cmp_ne_u32_e32 vcc, s16, v39
	v_mov_b32_e32 v30, 0x7f800001
	s_and_saveexec_b64 s[12:13], vcc
	s_cbranch_execz .LBB641_199
; %bb.198:                              ;   in Loop: Header=BB641_15 Depth=1
	v_and_b32_e32 v30, 7, v28
	v_ffbh_u32_e32 v40, v30
	v_min_u32_e32 v43, 32, v40
	v_subrev_u32_e32 v40, 28, v43
	v_lshlrev_b64 v[40:41], v40, v[28:29]
	v_lshrrev_b32_e32 v42, 3, v39
	v_sub_u32_e32 v41, 29, v43
	v_and_b32_e32 v40, 7, v40
	v_cmp_gt_u32_e32 vcc, 8, v39
	v_cndmask_b32_e32 v39, v42, v41, vcc
	v_cndmask_b32_e32 v30, v30, v40, vcc
	v_lshlrev_b32_e32 v28, 24, v28
	v_lshlrev_b32_e32 v30, 20, v30
	v_and_b32_e32 v28, 0x80000000, v28
	v_lshl_add_u32 v39, v39, 23, v33
	v_or3_b32 v30, v28, v39, v30
.LBB641_199:                            ;   in Loop: Header=BB641_15 Depth=1
	s_or_b64 exec, exec, s[12:13]
.LBB641_200:                            ;   in Loop: Header=BB641_15 Depth=1
	s_or_b64 exec, exec, s[10:11]
.LBB641_201:                            ;   in Loop: Header=BB641_15 Depth=1
	s_or_b64 exec, exec, s[4:5]
	v_cmp_lt_u32_e32 vcc, s17, v26
	v_mov_b32_e32 v39, 0
	s_and_saveexec_b64 s[4:5], vcc
	s_cbranch_execz .LBB641_14
; %bb.202:                              ;   in Loop: Header=BB641_15 Depth=1
	v_lshrrev_b32_e32 v28, 24, v26
	v_cmp_ne_u32_e32 vcc, s15, v28
	v_bfrev_b32_e32 v39, 1
	s_and_saveexec_b64 s[10:11], vcc
	s_cbranch_execz .LBB641_13
; %bb.203:                              ;   in Loop: Header=BB641_15 Depth=1
	v_bfe_u32 v26, v26, 24, 7
	v_cmp_ne_u32_e32 vcc, s16, v26
	v_mov_b32_e32 v39, 0x7f800001
	s_and_saveexec_b64 s[12:13], vcc
	s_cbranch_execz .LBB641_12
; %bb.204:                              ;   in Loop: Header=BB641_15 Depth=1
	v_and_b32_e32 v39, 7, v28
	v_ffbh_u32_e32 v40, v39
	v_min_u32_e32 v43, 32, v40
	v_subrev_u32_e32 v40, 28, v43
	v_lshlrev_b64 v[40:41], v40, v[28:29]
	v_lshrrev_b32_e32 v42, 3, v26
	v_sub_u32_e32 v41, 29, v43
	v_and_b32_e32 v40, 7, v40
	v_cmp_gt_u32_e32 vcc, 8, v26
	v_cndmask_b32_e32 v26, v42, v41, vcc
	v_cndmask_b32_e32 v39, v39, v40, vcc
	v_lshlrev_b32_e32 v28, 24, v28
	v_lshlrev_b32_e32 v39, 20, v39
	v_and_b32_e32 v28, 0x80000000, v28
	v_lshl_add_u32 v26, v26, 23, v33
	v_or3_b32 v39, v28, v26, v39
	s_branch .LBB641_12
.LBB641_205:
	buffer_load_dword v13, off, s[0:3], 0 offset:256
	buffer_load_dword v14, off, s[0:3], 0 offset:260
	;; [unrolled: 1-line block ×16, first 2 shown]
	v_and_b32_e32 v12, 0xc0, v0
	v_add_u32_e32 v12, s20, v12
	v_lshl_or_b32 v12, v65, 2, v12
	v_or_b32_e32 v23, 1, v12
	v_mov_b32_e32 v19, 0xff7fffff
	v_or_b32_e32 v24, 2, v12
	v_or_b32_e32 v25, 3, v12
	v_cmp_gt_i32_e64 s[28:29], s33, v12
	v_cmp_gt_i32_e64 s[30:31], s33, v23
	s_mov_b32 s48, 0xff7fffff
	v_or_b32_e32 v26, 16, v12
	v_or_b32_e32 v27, 17, v12
	;; [unrolled: 1-line block ×12, first 2 shown]
	v_cmp_gt_i32_e64 s[34:35], s33, v24
	v_cmp_gt_i32_e64 s[36:37], s33, v25
	v_mbcnt_lo_u32_b32 v20, -1, 0
	v_cmp_gt_i32_e64 s[38:39], s33, v26
	v_cmp_gt_i32_e64 s[40:41], s33, v27
	v_mbcnt_hi_u32_b32 v20, -1, v20
	v_cmp_gt_i32_e64 s[22:23], s33, v28
	v_cmp_gt_i32_e64 s[24:25], s33, v29
	v_and_b32_e32 v21, 64, v20
	v_cmp_gt_i32_e64 s[18:19], s33, v30
	v_cmp_gt_i32_e64 s[20:21], s33, v31
	v_xor_b32_e32 v22, 32, v20
	v_add_u32_e32 v21, 64, v21
	v_cmp_gt_i32_e64 s[14:15], s33, v32
	v_cmp_gt_i32_e64 s[16:17], s33, v33
	v_cmp_lt_i32_e32 vcc, v22, v21
	v_cmp_gt_i32_e64 s[10:11], s33, v34
	v_cmp_gt_i32_e64 s[12:13], s33, v36
	v_cndmask_b32_e32 v22, v20, v22, vcc
	v_cmp_gt_i32_e32 vcc, s33, v37
	v_cmp_gt_i32_e64 s[4:5], s33, v38
	v_lshlrev_b32_e32 v22, 2, v22
	s_waitcnt vmcnt(15)
	v_cndmask_b32_e64 v12, v19, v13, s[28:29]
	s_waitcnt vmcnt(14)
	v_cndmask_b32_e64 v23, v19, v14, s[30:31]
	s_waitcnt vmcnt(13)
	v_cndmask_b32_e64 v24, v19, v15, s[34:35]
	s_waitcnt vmcnt(12)
	v_cndmask_b32_e64 v25, v19, v16, s[36:37]
	v_max3_f32 v12, v12, s48, v23
	s_waitcnt vmcnt(11)
	v_cndmask_b32_e64 v26, v19, v17, s[38:39]
	s_waitcnt vmcnt(10)
	v_cndmask_b32_e64 v27, v19, v18, s[40:41]
	v_max3_f32 v12, v12, v24, v25
	s_waitcnt vmcnt(9)
	v_cndmask_b32_e64 v28, v19, v11, s[22:23]
	s_waitcnt vmcnt(8)
	v_cndmask_b32_e64 v29, v19, v10, s[24:25]
	;; [unrolled: 5-line block ×5, first 2 shown]
	v_max3_f32 v12, v12, v32, v33
	s_waitcnt vmcnt(1)
	v_cndmask_b32_e32 v37, v19, v3, vcc
	s_waitcnt vmcnt(0)
	v_cndmask_b32_e64 v19, v19, v2, s[4:5]
	v_max3_f32 v12, v12, v34, v36
	v_max3_f32 v12, v12, v37, v19
	ds_bpermute_b32 v19, v22, v12
	v_xor_b32_e32 v23, 16, v20
	v_cmp_lt_i32_e64 s[42:43], v23, v21
	v_cndmask_b32_e64 v20, v20, v23, s[42:43]
	v_lshlrev_b32_e32 v20, 2, v20
	s_waitcnt lgkmcnt(0)
	v_max_f32_e32 v19, v19, v19
	v_max_f32_e32 v12, v12, v19
	ds_bpermute_b32 v19, v20, v12
	s_waitcnt lgkmcnt(0)
	v_max_f32_e32 v19, v19, v19
	v_max_f32_e32 v12, v12, v19
	v_sub_f32_e32 v13, v13, v12
	v_sub_f32_e32 v14, v14, v12
	;; [unrolled: 1-line block ×3, first 2 shown]
	v_mul_f32_e32 v13, 0x3fb8aa3b, v13
	v_mul_f32_e32 v14, 0x3fb8aa3b, v14
	;; [unrolled: 1-line block ×3, first 2 shown]
	v_exp_f32_e32 v13, v13
	v_exp_f32_e32 v14, v14
	v_exp_f32_e32 v15, v15
	v_sub_f32_e32 v16, v16, v12
	v_cndmask_b32_e64 v13, 0, v13, s[28:29]
	v_mul_f32_e32 v16, 0x3fb8aa3b, v16
	v_cndmask_b32_e64 v14, 0, v14, s[30:31]
	v_cndmask_b32_e64 v15, 0, v15, s[34:35]
	v_add_f32_e32 v19, 0, v13
	buffer_store_dword v13, off, s[0:3], 0 offset:256
	buffer_store_dword v14, off, s[0:3], 0 offset:260
	;; [unrolled: 1-line block ×3, first 2 shown]
	v_sub_f32_e32 v13, v17, v12
	v_exp_f32_e32 v16, v16
	v_add_f32_e32 v19, v19, v14
	v_mul_f32_e32 v13, 0x3fb8aa3b, v13
	v_sub_f32_e32 v14, v18, v12
	v_exp_f32_e32 v13, v13
	v_mul_f32_e32 v14, 0x3fb8aa3b, v14
	v_sub_f32_e32 v11, v11, v12
	v_exp_f32_e32 v14, v14
	;; [unrolled: 3-line block ×3, first 2 shown]
	v_mul_f32_e32 v10, 0x3fb8aa3b, v10
	v_sub_f32_e32 v9, v9, v12
	v_cndmask_b32_e64 v16, 0, v16, s[36:37]
	v_add_f32_e32 v19, v19, v15
	v_exp_f32_e32 v10, v10
	v_mul_f32_e32 v9, 0x3fb8aa3b, v9
	v_sub_f32_e32 v8, v8, v12
	v_add_f32_e32 v19, v19, v16
	v_cndmask_b32_e64 v13, 0, v13, s[38:39]
	v_exp_f32_e32 v9, v9
	v_mul_f32_e32 v8, 0x3fb8aa3b, v8
	v_sub_f32_e32 v7, v7, v12
	v_add_f32_e32 v15, v19, v13
	v_cndmask_b32_e64 v14, 0, v14, s[40:41]
	v_exp_f32_e32 v8, v8
	v_mul_f32_e32 v7, 0x3fb8aa3b, v7
	v_sub_f32_e32 v6, v6, v12
	v_add_f32_e32 v15, v15, v14
	v_cndmask_b32_e64 v11, 0, v11, s[22:23]
	v_exp_f32_e32 v7, v7
	v_mul_f32_e32 v6, 0x3fb8aa3b, v6
	v_sub_f32_e32 v5, v5, v12
	v_add_f32_e32 v15, v15, v11
	v_cndmask_b32_e64 v10, 0, v10, s[24:25]
	v_exp_f32_e32 v6, v6
	v_mul_f32_e32 v5, 0x3fb8aa3b, v5
	v_sub_f32_e32 v4, v4, v12
	v_add_f32_e32 v15, v15, v10
	v_cndmask_b32_e64 v9, 0, v9, s[18:19]
	v_exp_f32_e32 v5, v5
	v_mul_f32_e32 v4, 0x3fb8aa3b, v4
	v_sub_f32_e32 v3, v3, v12
	buffer_store_dword v16, off, s[0:3], 0 offset:268
	buffer_store_dword v13, off, s[0:3], 0 offset:272
	;; [unrolled: 1-line block ×5, first 2 shown]
	v_add_f32_e32 v10, v15, v9
	v_cndmask_b32_e64 v8, 0, v8, s[20:21]
	v_exp_f32_e32 v4, v4
	v_mul_f32_e32 v3, 0x3fb8aa3b, v3
	v_sub_f32_e32 v2, v2, v12
	v_add_f32_e32 v10, v10, v8
	v_cndmask_b32_e64 v7, 0, v7, s[14:15]
	v_exp_f32_e32 v3, v3
	v_mul_f32_e32 v2, 0x3fb8aa3b, v2
	v_add_f32_e32 v10, v10, v7
	v_cndmask_b32_e64 v6, 0, v6, s[16:17]
	v_exp_f32_e32 v2, v2
	v_add_f32_e32 v10, v10, v6
	v_cndmask_b32_e64 v5, 0, v5, s[10:11]
	buffer_store_dword v9, off, s[0:3], 0 offset:288
	buffer_store_dword v8, off, s[0:3], 0 offset:292
	;; [unrolled: 1-line block ×4, first 2 shown]
	v_add_f32_e32 v6, v10, v5
	v_cndmask_b32_e64 v4, 0, v4, s[12:13]
	v_add_f32_e32 v6, v6, v4
	v_cndmask_b32_e32 v3, 0, v3, vcc
	v_add_f32_e32 v6, v6, v3
	v_cndmask_b32_e64 v2, 0, v2, s[4:5]
	v_add_f32_e32 v6, v6, v2
	ds_bpermute_b32 v7, v22, v6
	buffer_store_dword v5, off, s[0:3], 0 offset:304
	buffer_store_dword v4, off, s[0:3], 0 offset:308
	;; [unrolled: 1-line block ×4, first 2 shown]
	v_cmp_gt_u32_e32 vcc, 16, v35
	s_waitcnt lgkmcnt(0)
	s_barrier
	v_add_f32_e32 v2, v6, v7
	ds_bpermute_b32 v3, v20, v2
	s_waitcnt lgkmcnt(0)
	s_and_saveexec_b64 s[4:5], vcc
	s_cbranch_execz .LBB641_207
; %bb.206:
	v_add_f32_e32 v2, v2, v3
	v_lshlrev_b32_e32 v3, 2, v67
	ds_write2st64_b32 v3, v12, v2 offset1:1
.LBB641_207:
	s_or_b64 exec, exec, s[4:5]
	v_lshlrev_b32_e32 v2, 2, v55
	s_waitcnt lgkmcnt(0)
	s_barrier
	ds_read2_b32 v[12:13], v2 offset1:16
	ds_read2_b32 v[14:15], v2 offset0:32 offset1:48
	ds_read2_b32 v[6:7], v2 offset0:64 offset1:80
	;; [unrolled: 1-line block ×3, first 2 shown]
	s_waitcnt lgkmcnt(0)
	s_barrier
	buffer_load_dword v20, off, s[0:3], 0 offset:256
	buffer_load_dword v21, off, s[0:3], 0 offset:260
	;; [unrolled: 1-line block ×16, first 2 shown]
	v_lshlrev_b32_e32 v19, 3, v65
	v_lshlrev_b32_e32 v18, 5, v55
	;; [unrolled: 1-line block ×3, first 2 shown]
	v_or3_b32 v39, v28, v18, v19
	v_max3_f32 v19, v12, s48, v13
	v_max3_f32 v19, v19, v14, v15
	v_sub_f32_e32 v12, v12, v19
	v_sub_f32_e32 v13, v13, v19
	v_mul_f32_e32 v12, 0x3fb8aa3b, v12
	v_sub_f32_e32 v14, v14, v19
	v_mul_f32_e32 v13, 0x3fb8aa3b, v13
	v_exp_f32_e32 v12, v12
	v_sub_f32_e32 v15, v15, v19
	v_mul_f32_e32 v14, 0x3fb8aa3b, v14
	v_exp_f32_e32 v13, v13
	v_mul_f32_e32 v15, 0x3fb8aa3b, v15
	v_exp_f32_e32 v14, v14
	v_exp_f32_e32 v15, v15
	v_fma_f32 v6, v12, v6, 0
	v_fmac_f32_e32 v6, v13, v7
	v_fmac_f32_e32 v6, v14, v10
	v_fmac_f32_e32 v6, v15, v11
	v_cmp_eq_u32_e32 vcc, 1, v66
	v_add_f32_e32 v10, 0x358637bd, v6
	v_cndmask_b32_e32 v12, v12, v13, vcc
	v_cmp_eq_u32_e32 vcc, 2, v66
	v_div_scale_f32 v11, s[4:5], v10, v10, 1.0
	v_cndmask_b32_e32 v7, v12, v14, vcc
	v_rcp_f32_e32 v12, v11
	v_cmp_eq_u32_e32 vcc, 3, v66
	v_cndmask_b32_e32 v7, v7, v15, vcc
	v_div_scale_f32 v13, vcc, 1.0, v10, 1.0
	v_fma_f32 v14, -v11, v12, 1.0
	v_fmac_f32_e32 v12, v14, v12
	v_mul_f32_e32 v14, v13, v12
	v_fma_f32 v15, -v11, v14, v13
	v_fmac_f32_e32 v14, v15, v12
	v_fma_f32 v11, -v11, v14, v13
	v_div_fmas_f32 v11, v11, v12, v14
	v_div_fixup_f32 v10, v11, v10, 1.0
	v_mul_f32_e32 v10, v7, v10
	s_lshl_b32 s20, s55, 2
	v_cmp_gt_u32_e32 vcc, 4, v0
	s_waitcnt vmcnt(14)
	v_pk_mul_f32 v[14:15], v[10:11], v[20:21] op_sel_hi:[0,1]
	v_cvt_f16_f32_e32 v7, v14
	s_waitcnt vmcnt(12)
	v_pk_mul_f32 v[12:13], v[10:11], v[22:23] op_sel_hi:[0,1]
	buffer_store_dword v14, off, s[0:3], 0 offset:256
	buffer_store_dword v15, off, s[0:3], 0 offset:260
	;; [unrolled: 1-line block ×3, first 2 shown]
	s_waitcnt vmcnt(13)
	v_pk_mul_f32 v[20:21], v[10:11], v[24:25] op_sel_hi:[0,1]
	v_cvt_f16_f32_e32 v14, v12
	s_waitcnt vmcnt(11)
	v_pk_mul_f32 v[22:23], v[10:11], v[26:27] op_sel_hi:[0,1]
	v_cvt_f16_f32_e32 v11, v15
	v_cvt_f16_f32_e32 v15, v13
	buffer_store_dword v13, off, s[0:3], 0 offset:268
	buffer_store_dword v22, off, s[0:3], 0 offset:272
	;; [unrolled: 1-line block ×3, first 2 shown]
	v_pack_b32_f16 v12, v7, v11
	v_cvt_f16_f32_e32 v11, v23
	v_pack_b32_f16 v13, v14, v15
	v_cvt_f16_f32_e32 v7, v22
	v_cvt_f16_f32_e32 v15, v20
	;; [unrolled: 1-line block ×3, first 2 shown]
	s_waitcnt vmcnt(12)
	v_pk_mul_f32 v[4:5], v[10:11], v[4:5] op_sel_hi:[0,1]
	v_pack_b32_f16 v14, v7, v11
	s_waitcnt vmcnt(10)
	v_pk_mul_f32 v[2:3], v[10:11], v[2:3] op_sel_hi:[0,1]
	v_pack_b32_f16 v15, v15, v22
	v_cvt_f16_f32_e32 v11, v5
	buffer_store_dword v20, off, s[0:3], 0 offset:280
	buffer_store_dword v21, off, s[0:3], 0 offset:284
	ds_write2st64_b64 v39, v[12:13], v[14:15] offset1:1
	buffer_store_dword v2, off, s[0:3], 0 offset:288
	buffer_store_dword v3, off, s[0:3], 0 offset:292
	v_cvt_f16_f32_e32 v2, v2
	v_cvt_f16_f32_e32 v3, v3
	v_cvt_f16_f32_e32 v7, v4
	buffer_store_dword v4, off, s[0:3], 0 offset:296
	buffer_store_dword v5, off, s[0:3], 0 offset:300
	s_waitcnt vmcnt(12)
	v_pk_mul_f32 v[4:5], v[10:11], v[16:17] op_sel_hi:[0,1]
	v_pk_mul_f32 v[8:9], v[10:11], v[8:9] op_sel_hi:[0,1]
	v_pack_b32_f16 v2, v2, v3
	v_pack_b32_f16 v3, v7, v11
	buffer_store_dword v8, off, s[0:3], 0 offset:304
	buffer_store_dword v9, off, s[0:3], 0 offset:308
	v_cvt_f16_f32_e32 v7, v8
	v_cvt_f16_f32_e32 v8, v9
	;; [unrolled: 1-line block ×4, first 2 shown]
	buffer_store_dword v4, off, s[0:3], 0 offset:312
	buffer_store_dword v5, off, s[0:3], 0 offset:316
	v_pack_b32_f16 v4, v7, v8
	v_pack_b32_f16 v5, v9, v10
	ds_write2st64_b64 v39, v[2:3], v[4:5] offset0:2 offset1:3
	s_and_saveexec_b64 s[4:5], vcc
	s_cbranch_execz .LBB641_209
; %bb.208:
	v_or_b32_e32 v2, s27, v0
	v_mov_b32_e32 v3, 0
	v_mov_b32_e32 v4, s20
	v_mad_u64_u32 v[4:5], s[10:11], s8, v4, v[2:3]
	v_mov_b32_e32 v2, s26
	s_mul_i32 s9, s9, s20
	v_mad_u64_u32 v[2:3], s[10:11], v4, s54, v[2:3]
	v_add_u32_e32 v5, s9, v5
	v_mov_b32_e32 v4, v3
	v_mad_u64_u32 v[4:5], s[10:11], v5, s54, v[4:5]
	v_mov_b32_e32 v3, v4
	v_lshlrev_b64 v[2:3], 2, v[2:3]
	v_mov_b32_e32 v5, s47
	v_add_co_u32_e32 v4, vcc, s46, v2
	v_addc_co_u32_e32 v5, vcc, v5, v3, vcc
	global_store_dword v[4:5], v19, off
	v_mov_b32_e32 v4, s45
	v_add_co_u32_e32 v2, vcc, s44, v2
	v_addc_co_u32_e32 v3, vcc, v4, v3, vcc
	global_store_dword v[2:3], v6, off
.LBB641_209:
	s_or_b64 exec, exec, s[4:5]
	v_lshl_or_b32 v30, v65, 9, v18
	s_waitcnt lgkmcnt(0)
	s_barrier
	s_load_dword s4, s[50:51], 0x0
	ds_read_b128 v[2:5], v30
	ds_read_b128 v[6:9], v30 offset:16
	ds_read_b128 v[10:13], v30 offset:2048
	;; [unrolled: 1-line block ×7, first 2 shown]
	v_mov_b32_e32 v35, 0x80
	v_mov_b32_e32 v41, 0x140
	s_mov_b64 s[12:13], -1
	s_waitcnt lgkmcnt(0)
	s_mov_b32 s5, s4
	s_mov_b32 s10, s4
	;; [unrolled: 1-line block ×3, first 2 shown]
	s_movk_i32 s9, 0x80
	s_movk_i32 s21, 0x7f
	s_mov_b32 s22, 0xffffff
	v_mov_b32_e32 v43, 0
	v_bfrev_b32_e32 v45, 60
	s_branch .LBB641_213
.LBB641_210:                            ;   in Loop: Header=BB641_213 Depth=1
	s_or_b64 exec, exec, s[18:19]
.LBB641_211:                            ;   in Loop: Header=BB641_213 Depth=1
	s_or_b64 exec, exec, s[16:17]
.LBB641_212:                            ;   in Loop: Header=BB641_213 Depth=1
	s_or_b64 exec, exec, s[14:15]
	v_cvt_pkrtz_f16_f32 v46, v46, v47
	v_cvt_pkrtz_f16_f32 v47, v44, v49
	s_xor_b64 s[14:15], s[12:13], -1
	s_mov_b64 s[12:13], 0
	v_mov_b32_e32 v64, v59
	v_mfma_f32_16x16x16f16 v[66:69], v[46:47], v[30:31], v[34:37]
	v_mov_b32_e32 v63, v60
	v_mov_b32_e32 v62, v61
	s_and_b64 vcc, exec, s[14:15]
	s_nop 3
	v_cvt_pkrtz_f16_f32 v36, v48, v50
	v_cvt_pkrtz_f16_f32 v37, v42, v51
	v_mov_b32_e32 v35, v58
	s_nop 0
	v_mfma_f32_16x16x16f16 v[46:49], v[36:37], v[32:33], v[66:69]
	s_nop 7
	s_nop 2
	v_pk_mul_f32 v[46:47], v[46:47], s[4:5]
	v_pk_mul_f32 v[36:37], v[48:49], s[10:11]
	v_cvt_f16_f32_e32 v34, v46
	v_cvt_f16_f32_e32 v38, v47
	;; [unrolled: 1-line block ×4, first 2 shown]
	v_pack_b32_f16 v34, v34, v38
	v_pack_b32_f16 v36, v36, v37
	buffer_store_dword v34, v41, s[0:3], 0 offen
	buffer_store_dword v36, v41, s[0:3], 0 offen offset:4
	v_mov_b32_e32 v41, 0x148
	s_cbranch_vccnz .LBB641_595
.LBB641_213:                            ; =>This Inner Loop Header: Depth=1
	buffer_load_dword v36, v35, s[0:3], 0 offen
	buffer_load_dword v34, v35, s[0:3], 0 offen offset:4
	buffer_load_dword v40, v35, s[0:3], 0 offen offset:8
	;; [unrolled: 1-line block ×3, first 2 shown]
	v_mov_b32_e32 v35, 0
	s_waitcnt vmcnt(3)
	v_cmp_ne_u16_sdwa s[16:17], v36, v43 src0_sel:BYTE_0 src1_sel:DWORD
	s_and_saveexec_b64 s[14:15], s[16:17]
	s_cbranch_execz .LBB641_219
; %bb.214:                              ;   in Loop: Header=BB641_213 Depth=1
	v_cmp_ne_u16_sdwa s[18:19], v36, s9 src0_sel:BYTE_0 src1_sel:DWORD
	v_bfrev_b32_e32 v35, 1
	s_and_saveexec_b64 s[16:17], s[18:19]
	s_cbranch_execz .LBB641_218
; %bb.215:                              ;   in Loop: Header=BB641_213 Depth=1
	v_and_b32_e32 v37, 0x7f, v36
	v_cmp_ne_u32_e32 vcc, s21, v37
	v_mov_b32_e32 v35, 0x7f800001
	s_and_saveexec_b64 s[18:19], vcc
	s_cbranch_execz .LBB641_217
; %bb.216:                              ;   in Loop: Header=BB641_213 Depth=1
	v_and_b32_e32 v35, 7, v36
	v_ffbh_u32_e32 v44, v35
	v_min_u32_e32 v44, 32, v44
	v_subrev_u32_e32 v46, 28, v44
	v_lshlrev_b64 v[46:47], v46, v[36:37]
	v_lshrrev_b32_e32 v42, 3, v37
	v_sub_u32_e32 v44, 29, v44
	v_and_b32_e32 v46, 7, v46
	v_cmp_gt_u32_e32 vcc, 8, v37
	v_cndmask_b32_e32 v37, v42, v44, vcc
	v_cndmask_b32_e32 v35, v35, v46, vcc
	v_lshlrev_b32_e32 v42, 24, v36
	v_lshlrev_b32_e32 v35, 20, v35
	v_and_b32_e32 v42, 0x80000000, v42
	v_lshl_add_u32 v37, v37, 23, v45
	v_or3_b32 v35, v42, v37, v35
.LBB641_217:                            ;   in Loop: Header=BB641_213 Depth=1
	s_or_b64 exec, exec, s[18:19]
.LBB641_218:                            ;   in Loop: Header=BB641_213 Depth=1
	s_or_b64 exec, exec, s[16:17]
.LBB641_219:                            ;   in Loop: Header=BB641_213 Depth=1
	s_or_b64 exec, exec, s[14:15]
	v_lshrrev_b16_e32 v42, 8, v36
	v_cmp_ne_u16_e32 vcc, 0, v42
	v_mov_b32_e32 v37, 0
	s_and_saveexec_b64 s[14:15], vcc
	s_cbranch_execz .LBB641_225
; %bb.220:                              ;   in Loop: Header=BB641_213 Depth=1
	v_cmp_ne_u16_e32 vcc, s9, v42
	v_bfrev_b32_e32 v37, 1
	s_and_saveexec_b64 s[16:17], vcc
	s_cbranch_execz .LBB641_224
; %bb.221:                              ;   in Loop: Header=BB641_213 Depth=1
	v_and_b32_e32 v44, 0x7f, v42
	v_cmp_ne_u32_e32 vcc, s21, v44
	v_mov_b32_e32 v37, 0x7f800001
	s_and_saveexec_b64 s[18:19], vcc
	s_cbranch_execz .LBB641_223
; %bb.222:                              ;   in Loop: Header=BB641_213 Depth=1
	v_and_b32_e32 v37, 7, v42
	v_ffbh_u32_e32 v46, v37
	v_min_u32_e32 v49, 32, v46
	v_subrev_u32_e32 v46, 28, v49
	v_lshlrev_b64 v[46:47], v46, v[42:43]
	v_lshrrev_b32_e32 v48, 3, v44
	v_sub_u32_e32 v42, 29, v49
	v_and_b32_e32 v46, 7, v46
	v_cmp_gt_u32_e32 vcc, 8, v44
	v_cndmask_b32_e32 v42, v48, v42, vcc
	v_cndmask_b32_e32 v37, v37, v46, vcc
	v_lshlrev_b32_e32 v44, 16, v36
	v_lshlrev_b32_e32 v37, 20, v37
	v_and_b32_e32 v44, 0x80000000, v44
	v_lshl_add_u32 v42, v42, 23, v45
	v_or3_b32 v37, v44, v42, v37
.LBB641_223:                            ;   in Loop: Header=BB641_213 Depth=1
	s_or_b64 exec, exec, s[18:19]
.LBB641_224:                            ;   in Loop: Header=BB641_213 Depth=1
	s_or_b64 exec, exec, s[16:17]
.LBB641_225:                            ;   in Loop: Header=BB641_213 Depth=1
	s_or_b64 exec, exec, s[14:15]
	v_lshrrev_b32_e32 v42, 16, v36
	v_cmp_ne_u16_sdwa s[16:17], v42, v43 src0_sel:BYTE_0 src1_sel:DWORD
	v_mov_b32_e32 v46, 0
	v_mov_b32_e32 v44, 0
	s_and_saveexec_b64 s[14:15], s[16:17]
	s_cbranch_execz .LBB641_231
; %bb.226:                              ;   in Loop: Header=BB641_213 Depth=1
	v_cmp_ne_u16_sdwa s[18:19], v42, s9 src0_sel:BYTE_0 src1_sel:DWORD
	v_bfrev_b32_e32 v44, 1
	s_and_saveexec_b64 s[16:17], s[18:19]
	s_cbranch_execz .LBB641_230
; %bb.227:                              ;   in Loop: Header=BB641_213 Depth=1
	v_bfe_u32 v47, v36, 16, 7
	v_cmp_ne_u32_e32 vcc, s21, v47
	v_mov_b32_e32 v44, 0x7f800001
	s_and_saveexec_b64 s[18:19], vcc
	s_cbranch_execz .LBB641_229
; %bb.228:                              ;   in Loop: Header=BB641_213 Depth=1
	v_and_b32_e32 v44, 7, v42
	v_ffbh_u32_e32 v48, v44
	v_min_u32_e32 v51, 32, v48
	v_subrev_u32_e32 v48, 28, v51
	v_lshlrev_b64 v[48:49], v48, v[42:43]
	v_lshrrev_b32_e32 v50, 3, v47
	v_sub_u32_e32 v49, 29, v51
	v_and_b32_e32 v48, 7, v48
	v_cmp_gt_u32_e32 vcc, 8, v47
	v_cndmask_b32_e32 v47, v50, v49, vcc
	v_cndmask_b32_e32 v44, v44, v48, vcc
	v_lshlrev_b32_e32 v42, 24, v42
	v_lshlrev_b32_e32 v44, 20, v44
	v_and_b32_e32 v42, 0x80000000, v42
	v_lshl_add_u32 v47, v47, 23, v45
	v_or3_b32 v44, v42, v47, v44
.LBB641_229:                            ;   in Loop: Header=BB641_213 Depth=1
	s_or_b64 exec, exec, s[18:19]
.LBB641_230:                            ;   in Loop: Header=BB641_213 Depth=1
	s_or_b64 exec, exec, s[16:17]
.LBB641_231:                            ;   in Loop: Header=BB641_213 Depth=1
	s_or_b64 exec, exec, s[14:15]
	v_cmp_lt_u32_e32 vcc, s22, v36
	s_and_saveexec_b64 s[14:15], vcc
	s_cbranch_execz .LBB641_237
; %bb.232:                              ;   in Loop: Header=BB641_213 Depth=1
	v_lshrrev_b32_e32 v42, 24, v36
	v_cmp_ne_u32_e32 vcc, s9, v42
	v_bfrev_b32_e32 v46, 1
	s_and_saveexec_b64 s[16:17], vcc
	s_cbranch_execz .LBB641_236
; %bb.233:                              ;   in Loop: Header=BB641_213 Depth=1
	v_bfe_u32 v36, v36, 24, 7
	v_cmp_ne_u32_e32 vcc, s21, v36
	v_mov_b32_e32 v46, 0x7f800001
	s_and_saveexec_b64 s[18:19], vcc
	s_cbranch_execz .LBB641_235
; %bb.234:                              ;   in Loop: Header=BB641_213 Depth=1
	v_and_b32_e32 v48, 7, v42
	v_ffbh_u32_e32 v46, v48
	v_min_u32_e32 v50, 32, v46
	v_subrev_u32_e32 v46, 28, v50
	v_lshlrev_b64 v[46:47], v46, v[42:43]
	v_lshrrev_b32_e32 v49, 3, v36
	v_sub_u32_e32 v47, 29, v50
	v_and_b32_e32 v46, 7, v46
	v_cmp_gt_u32_e32 vcc, 8, v36
	v_cndmask_b32_e32 v36, v49, v47, vcc
	v_cndmask_b32_e32 v46, v48, v46, vcc
	v_lshlrev_b32_e32 v42, 24, v42
	v_lshlrev_b32_e32 v46, 20, v46
	v_and_b32_e32 v42, 0x80000000, v42
	v_lshl_add_u32 v36, v36, 23, v45
	v_or3_b32 v46, v42, v36, v46
.LBB641_235:                            ;   in Loop: Header=BB641_213 Depth=1
	s_or_b64 exec, exec, s[18:19]
.LBB641_236:                            ;   in Loop: Header=BB641_213 Depth=1
	s_or_b64 exec, exec, s[16:17]
.LBB641_237:                            ;   in Loop: Header=BB641_213 Depth=1
	s_or_b64 exec, exec, s[14:15]
	s_waitcnt vmcnt(2)
	v_cmp_ne_u16_sdwa s[16:17], v34, v43 src0_sel:BYTE_0 src1_sel:DWORD
	v_mov_b32_e32 v42, 0
	v_mov_b32_e32 v47, 0
	s_and_saveexec_b64 s[14:15], s[16:17]
	s_cbranch_execz .LBB641_243
; %bb.238:                              ;   in Loop: Header=BB641_213 Depth=1
	v_cmp_ne_u16_sdwa s[18:19], v34, s9 src0_sel:BYTE_0 src1_sel:DWORD
	v_bfrev_b32_e32 v47, 1
	s_and_saveexec_b64 s[16:17], s[18:19]
	s_cbranch_execz .LBB641_242
; %bb.239:                              ;   in Loop: Header=BB641_213 Depth=1
	v_and_b32_e32 v36, 0x7f, v34
	v_cmp_ne_u32_e32 vcc, s21, v36
	v_mov_b32_e32 v47, 0x7f800001
	s_and_saveexec_b64 s[18:19], vcc
	s_cbranch_execz .LBB641_241
; %bb.240:                              ;   in Loop: Header=BB641_213 Depth=1
	v_and_b32_e32 v47, 7, v34
	v_ffbh_u32_e32 v48, v47
	v_min_u32_e32 v51, 32, v48
	v_subrev_u32_e32 v48, 28, v51
	v_lshlrev_b64 v[48:49], v48, v[34:35]
	v_lshrrev_b32_e32 v50, 3, v36
	v_sub_u32_e32 v49, 29, v51
	v_and_b32_e32 v48, 7, v48
	v_cmp_gt_u32_e32 vcc, 8, v36
	v_cndmask_b32_e32 v36, v50, v49, vcc
	v_cndmask_b32_e32 v47, v47, v48, vcc
	v_lshlrev_b32_e32 v48, 24, v34
	v_lshlrev_b32_e32 v47, 20, v47
	v_and_b32_e32 v48, 0x80000000, v48
	v_lshl_add_u32 v36, v36, 23, v45
	v_or3_b32 v47, v48, v36, v47
.LBB641_241:                            ;   in Loop: Header=BB641_213 Depth=1
	s_or_b64 exec, exec, s[18:19]
.LBB641_242:                            ;   in Loop: Header=BB641_213 Depth=1
	s_or_b64 exec, exec, s[16:17]
.LBB641_243:                            ;   in Loop: Header=BB641_213 Depth=1
	s_or_b64 exec, exec, s[14:15]
	v_lshrrev_b16_e32 v36, 8, v34
	v_cmp_ne_u16_e32 vcc, 0, v36
	s_and_saveexec_b64 s[14:15], vcc
	s_cbranch_execz .LBB641_249
; %bb.244:                              ;   in Loop: Header=BB641_213 Depth=1
	v_cmp_ne_u16_e32 vcc, s9, v36
	v_bfrev_b32_e32 v42, 1
	s_and_saveexec_b64 s[16:17], vcc
	s_cbranch_execz .LBB641_248
; %bb.245:                              ;   in Loop: Header=BB641_213 Depth=1
	v_and_b32_e32 v48, 0x7f, v36
	v_cmp_ne_u32_e32 vcc, s21, v48
	v_mov_b32_e32 v42, 0x7f800001
	s_and_saveexec_b64 s[18:19], vcc
	s_cbranch_execz .LBB641_247
; %bb.246:                              ;   in Loop: Header=BB641_213 Depth=1
	v_and_b32_e32 v42, 7, v36
	v_ffbh_u32_e32 v50, v42
	v_min_u32_e32 v52, 32, v50
	v_subrev_u32_e32 v50, 28, v52
	v_lshlrev_b64 v[50:51], v50, v[36:37]
	v_lshrrev_b32_e32 v49, 3, v48
	v_sub_u32_e32 v36, 29, v52
	v_and_b32_e32 v50, 7, v50
	v_cmp_gt_u32_e32 vcc, 8, v48
	v_cndmask_b32_e32 v36, v49, v36, vcc
	v_cndmask_b32_e32 v42, v42, v50, vcc
	v_lshlrev_b32_e32 v48, 16, v34
	v_lshlrev_b32_e32 v42, 20, v42
	v_and_b32_e32 v48, 0x80000000, v48
	v_lshl_add_u32 v36, v36, 23, v45
	v_or3_b32 v42, v48, v36, v42
.LBB641_247:                            ;   in Loop: Header=BB641_213 Depth=1
	s_or_b64 exec, exec, s[18:19]
.LBB641_248:                            ;   in Loop: Header=BB641_213 Depth=1
	s_or_b64 exec, exec, s[16:17]
.LBB641_249:                            ;   in Loop: Header=BB641_213 Depth=1
	s_or_b64 exec, exec, s[14:15]
	v_lshrrev_b32_e32 v36, 16, v34
	v_cmp_ne_u16_sdwa s[16:17], v36, v43 src0_sel:BYTE_0 src1_sel:DWORD
	v_mov_b32_e32 v49, 0
	v_mov_b32_e32 v48, 0
	s_and_saveexec_b64 s[14:15], s[16:17]
	s_cbranch_execz .LBB641_255
; %bb.250:                              ;   in Loop: Header=BB641_213 Depth=1
	v_cmp_ne_u16_sdwa s[18:19], v36, s9 src0_sel:BYTE_0 src1_sel:DWORD
	v_bfrev_b32_e32 v48, 1
	s_and_saveexec_b64 s[16:17], s[18:19]
	s_cbranch_execz .LBB641_254
; %bb.251:                              ;   in Loop: Header=BB641_213 Depth=1
	v_bfe_u32 v50, v34, 16, 7
	v_cmp_ne_u32_e32 vcc, s21, v50
	v_mov_b32_e32 v48, 0x7f800001
	s_and_saveexec_b64 s[18:19], vcc
	s_cbranch_execz .LBB641_253
; %bb.252:                              ;   in Loop: Header=BB641_213 Depth=1
	v_and_b32_e32 v48, 7, v36
	v_ffbh_u32_e32 v52, v48
	v_min_u32_e32 v65, 32, v52
	v_subrev_u32_e32 v52, 28, v65
	v_lshlrev_b64 v[52:53], v52, v[36:37]
	v_lshrrev_b32_e32 v51, 3, v50
	v_sub_u32_e32 v53, 29, v65
	v_and_b32_e32 v52, 7, v52
	v_cmp_gt_u32_e32 vcc, 8, v50
	v_cndmask_b32_e32 v50, v51, v53, vcc
	v_cndmask_b32_e32 v48, v48, v52, vcc
	v_lshlrev_b32_e32 v36, 24, v36
	v_lshlrev_b32_e32 v48, 20, v48
	v_and_b32_e32 v36, 0x80000000, v36
	v_lshl_add_u32 v50, v50, 23, v45
	v_or3_b32 v48, v36, v50, v48
.LBB641_253:                            ;   in Loop: Header=BB641_213 Depth=1
	s_or_b64 exec, exec, s[18:19]
.LBB641_254:                            ;   in Loop: Header=BB641_213 Depth=1
	s_or_b64 exec, exec, s[16:17]
.LBB641_255:                            ;   in Loop: Header=BB641_213 Depth=1
	s_or_b64 exec, exec, s[14:15]
	v_cmp_lt_u32_e32 vcc, s22, v34
	s_and_saveexec_b64 s[14:15], vcc
	s_cbranch_execz .LBB641_261
; %bb.256:                              ;   in Loop: Header=BB641_213 Depth=1
	v_lshrrev_b32_e32 v36, 24, v34
	v_cmp_ne_u32_e32 vcc, s9, v36
	v_bfrev_b32_e32 v49, 1
	s_and_saveexec_b64 s[16:17], vcc
	s_cbranch_execz .LBB641_260
; %bb.257:                              ;   in Loop: Header=BB641_213 Depth=1
	v_bfe_u32 v34, v34, 24, 7
	v_cmp_ne_u32_e32 vcc, s21, v34
	v_mov_b32_e32 v49, 0x7f800001
	s_and_saveexec_b64 s[18:19], vcc
	s_cbranch_execz .LBB641_259
; %bb.258:                              ;   in Loop: Header=BB641_213 Depth=1
	v_and_b32_e32 v49, 7, v36
	v_ffbh_u32_e32 v50, v49
	v_min_u32_e32 v53, 32, v50
	v_subrev_u32_e32 v50, 28, v53
	v_lshlrev_b64 v[50:51], v50, v[36:37]
	v_lshrrev_b32_e32 v52, 3, v34
	v_sub_u32_e32 v51, 29, v53
	v_and_b32_e32 v50, 7, v50
	v_cmp_gt_u32_e32 vcc, 8, v34
	v_cndmask_b32_e32 v34, v52, v51, vcc
	v_cndmask_b32_e32 v49, v49, v50, vcc
	v_lshlrev_b32_e32 v36, 24, v36
	v_lshlrev_b32_e32 v49, 20, v49
	v_and_b32_e32 v36, 0x80000000, v36
	v_lshl_add_u32 v34, v34, 23, v45
	v_or3_b32 v49, v36, v34, v49
.LBB641_259:                            ;   in Loop: Header=BB641_213 Depth=1
	s_or_b64 exec, exec, s[18:19]
.LBB641_260:                            ;   in Loop: Header=BB641_213 Depth=1
	s_or_b64 exec, exec, s[16:17]
.LBB641_261:                            ;   in Loop: Header=BB641_213 Depth=1
	s_or_b64 exec, exec, s[14:15]
	v_cvt_pkrtz_f16_f32 v34, v35, v37
	v_cvt_pkrtz_f16_f32 v35, v44, v46
	;; [unrolled: 1-line block ×4, first 2 shown]
	v_mov_b32_e32 v44, 0
	v_mfma_f32_16x16x16f16 v[34:37], v[34:35], v[2:3], 0
	s_waitcnt vmcnt(1)
	v_cmp_ne_u16_sdwa s[16:17], v40, v43 src0_sel:BYTE_0 src1_sel:DWORD
	v_mov_b32_e32 v46, 0
	v_mfma_f32_16x16x16f16 v[34:37], v[50:51], v[4:5], v[34:37]
	s_and_saveexec_b64 s[14:15], s[16:17]
	s_cbranch_execz .LBB641_267
; %bb.262:                              ;   in Loop: Header=BB641_213 Depth=1
	v_cmp_ne_u16_sdwa s[18:19], v40, s9 src0_sel:BYTE_0 src1_sel:DWORD
	v_bfrev_b32_e32 v46, 1
	s_and_saveexec_b64 s[16:17], s[18:19]
	s_cbranch_execz .LBB641_266
; %bb.263:                              ;   in Loop: Header=BB641_213 Depth=1
	v_and_b32_e32 v42, 0x7f, v40
	v_cmp_ne_u32_e32 vcc, s21, v42
	v_mov_b32_e32 v46, 0x7f800001
	s_and_saveexec_b64 s[18:19], vcc
	s_cbranch_execz .LBB641_265
; %bb.264:                              ;   in Loop: Header=BB641_213 Depth=1
	v_and_b32_e32 v48, 7, v40
	v_ffbh_u32_e32 v46, v48
	v_min_u32_e32 v50, 32, v46
	v_subrev_u32_e32 v46, 28, v50
	v_lshlrev_b64 v[46:47], v46, v[40:41]
	v_lshrrev_b32_e32 v49, 3, v42
	v_sub_u32_e32 v47, 29, v50
	v_and_b32_e32 v46, 7, v46
	v_cmp_gt_u32_e32 vcc, 8, v42
	v_cndmask_b32_e32 v42, v49, v47, vcc
	v_cndmask_b32_e32 v46, v48, v46, vcc
	v_lshlrev_b32_e32 v47, 24, v40
	v_lshlrev_b32_e32 v46, 20, v46
	v_and_b32_e32 v47, 0x80000000, v47
	v_lshl_add_u32 v42, v42, 23, v45
	v_or3_b32 v46, v47, v42, v46
.LBB641_265:                            ;   in Loop: Header=BB641_213 Depth=1
	s_or_b64 exec, exec, s[18:19]
.LBB641_266:                            ;   in Loop: Header=BB641_213 Depth=1
	s_or_b64 exec, exec, s[16:17]
.LBB641_267:                            ;   in Loop: Header=BB641_213 Depth=1
	s_or_b64 exec, exec, s[14:15]
	v_lshrrev_b16_e32 v42, 8, v40
	v_cmp_ne_u16_e32 vcc, 0, v42
	v_mov_b32_e32 v48, 0
	s_and_saveexec_b64 s[14:15], vcc
	s_cbranch_execz .LBB641_273
; %bb.268:                              ;   in Loop: Header=BB641_213 Depth=1
	v_cmp_ne_u16_e32 vcc, s9, v42
	v_bfrev_b32_e32 v48, 1
	s_and_saveexec_b64 s[16:17], vcc
	s_cbranch_execz .LBB641_272
; %bb.269:                              ;   in Loop: Header=BB641_213 Depth=1
	v_and_b32_e32 v47, 0x7f, v42
	v_cmp_ne_u32_e32 vcc, s21, v47
	v_mov_b32_e32 v48, 0x7f800001
	s_and_saveexec_b64 s[18:19], vcc
	s_cbranch_execz .LBB641_271
; %bb.270:                              ;   in Loop: Header=BB641_213 Depth=1
	v_and_b32_e32 v50, 7, v42
	v_ffbh_u32_e32 v48, v50
	v_min_u32_e32 v52, 32, v48
	v_subrev_u32_e32 v48, 28, v52
	v_lshlrev_b64 v[48:49], v48, v[42:43]
	v_lshrrev_b32_e32 v51, 3, v47
	v_sub_u32_e32 v42, 29, v52
	v_and_b32_e32 v48, 7, v48
	v_cmp_gt_u32_e32 vcc, 8, v47
	v_cndmask_b32_e32 v42, v51, v42, vcc
	v_cndmask_b32_e32 v47, v50, v48, vcc
	v_lshlrev_b32_e32 v48, 16, v40
	v_lshlrev_b32_e32 v47, 20, v47
	v_and_b32_e32 v48, 0x80000000, v48
	v_lshl_add_u32 v42, v42, 23, v45
	v_or3_b32 v48, v48, v42, v47
.LBB641_271:                            ;   in Loop: Header=BB641_213 Depth=1
	s_or_b64 exec, exec, s[18:19]
.LBB641_272:                            ;   in Loop: Header=BB641_213 Depth=1
	s_or_b64 exec, exec, s[16:17]
.LBB641_273:                            ;   in Loop: Header=BB641_213 Depth=1
	s_or_b64 exec, exec, s[14:15]
	v_lshrrev_b32_e32 v42, 16, v40
	v_cmp_ne_u16_sdwa s[16:17], v42, v43 src0_sel:BYTE_0 src1_sel:DWORD
	s_and_saveexec_b64 s[14:15], s[16:17]
	s_cbranch_execz .LBB641_279
; %bb.274:                              ;   in Loop: Header=BB641_213 Depth=1
	v_cmp_ne_u16_sdwa s[18:19], v42, s9 src0_sel:BYTE_0 src1_sel:DWORD
	v_bfrev_b32_e32 v44, 1
	s_and_saveexec_b64 s[16:17], s[18:19]
	s_cbranch_execz .LBB641_278
; %bb.275:                              ;   in Loop: Header=BB641_213 Depth=1
	v_bfe_u32 v47, v40, 16, 7
	v_cmp_ne_u32_e32 vcc, s21, v47
	v_mov_b32_e32 v44, 0x7f800001
	s_and_saveexec_b64 s[18:19], vcc
	s_cbranch_execz .LBB641_277
; %bb.276:                              ;   in Loop: Header=BB641_213 Depth=1
	v_and_b32_e32 v44, 7, v42
	v_ffbh_u32_e32 v50, v44
	v_min_u32_e32 v52, 32, v50
	v_subrev_u32_e32 v50, 28, v52
	v_lshlrev_b64 v[50:51], v50, v[42:43]
	v_lshrrev_b32_e32 v49, 3, v47
	v_sub_u32_e32 v51, 29, v52
	v_and_b32_e32 v50, 7, v50
	v_cmp_gt_u32_e32 vcc, 8, v47
	v_cndmask_b32_e32 v47, v49, v51, vcc
	v_cndmask_b32_e32 v44, v44, v50, vcc
	v_lshlrev_b32_e32 v42, 24, v42
	v_lshlrev_b32_e32 v44, 20, v44
	v_and_b32_e32 v42, 0x80000000, v42
	v_lshl_add_u32 v47, v47, 23, v45
	v_or3_b32 v44, v42, v47, v44
.LBB641_277:                            ;   in Loop: Header=BB641_213 Depth=1
	s_or_b64 exec, exec, s[18:19]
.LBB641_278:                            ;   in Loop: Header=BB641_213 Depth=1
	s_or_b64 exec, exec, s[16:17]
.LBB641_279:                            ;   in Loop: Header=BB641_213 Depth=1
	s_or_b64 exec, exec, s[14:15]
	v_cmp_lt_u32_e32 vcc, s22, v40
	v_mov_b32_e32 v49, 0
	v_mov_b32_e32 v50, 0
	s_and_saveexec_b64 s[14:15], vcc
	s_cbranch_execz .LBB641_285
; %bb.280:                              ;   in Loop: Header=BB641_213 Depth=1
	v_lshrrev_b32_e32 v42, 24, v40
	v_cmp_ne_u32_e32 vcc, s9, v42
	v_bfrev_b32_e32 v50, 1
	s_and_saveexec_b64 s[16:17], vcc
	s_cbranch_execz .LBB641_284
; %bb.281:                              ;   in Loop: Header=BB641_213 Depth=1
	v_bfe_u32 v40, v40, 24, 7
	v_cmp_ne_u32_e32 vcc, s21, v40
	v_mov_b32_e32 v50, 0x7f800001
	s_and_saveexec_b64 s[18:19], vcc
	s_cbranch_execz .LBB641_283
; %bb.282:                              ;   in Loop: Header=BB641_213 Depth=1
	v_and_b32_e32 v47, 7, v42
	v_ffbh_u32_e32 v50, v47
	v_min_u32_e32 v53, 32, v50
	v_subrev_u32_e32 v50, 28, v53
	v_lshlrev_b64 v[50:51], v50, v[42:43]
	v_lshrrev_b32_e32 v52, 3, v40
	v_sub_u32_e32 v51, 29, v53
	v_and_b32_e32 v50, 7, v50
	v_cmp_gt_u32_e32 vcc, 8, v40
	v_cndmask_b32_e32 v40, v52, v51, vcc
	v_cndmask_b32_e32 v47, v47, v50, vcc
	v_lshlrev_b32_e32 v42, 24, v42
	v_lshlrev_b32_e32 v47, 20, v47
	v_and_b32_e32 v42, 0x80000000, v42
	v_lshl_add_u32 v40, v40, 23, v45
	v_or3_b32 v50, v42, v40, v47
.LBB641_283:                            ;   in Loop: Header=BB641_213 Depth=1
	s_or_b64 exec, exec, s[18:19]
.LBB641_284:                            ;   in Loop: Header=BB641_213 Depth=1
	s_or_b64 exec, exec, s[16:17]
.LBB641_285:                            ;   in Loop: Header=BB641_213 Depth=1
	s_or_b64 exec, exec, s[14:15]
	s_waitcnt vmcnt(0)
	v_cmp_ne_u16_sdwa s[16:17], v38, v43 src0_sel:BYTE_0 src1_sel:DWORD
	s_and_saveexec_b64 s[14:15], s[16:17]
	s_cbranch_execz .LBB641_291
; %bb.286:                              ;   in Loop: Header=BB641_213 Depth=1
	v_cmp_ne_u16_sdwa s[18:19], v38, s9 src0_sel:BYTE_0 src1_sel:DWORD
	v_bfrev_b32_e32 v49, 1
	s_and_saveexec_b64 s[16:17], s[18:19]
	s_cbranch_execz .LBB641_290
; %bb.287:                              ;   in Loop: Header=BB641_213 Depth=1
	v_and_b32_e32 v40, 0x7f, v38
	v_cmp_ne_u32_e32 vcc, s21, v40
	v_mov_b32_e32 v49, 0x7f800001
	s_and_saveexec_b64 s[18:19], vcc
	s_cbranch_execz .LBB641_289
; %bb.288:                              ;   in Loop: Header=BB641_213 Depth=1
	v_and_b32_e32 v42, 7, v38
	v_ffbh_u32_e32 v49, v42
	v_min_u32_e32 v49, 32, v49
	v_subrev_u32_e32 v51, 28, v49
	v_lshlrev_b64 v[52:53], v51, v[38:39]
	v_lshrrev_b32_e32 v47, 3, v40
	v_sub_u32_e32 v49, 29, v49
	v_and_b32_e32 v51, 7, v52
	v_cmp_gt_u32_e32 vcc, 8, v40
	v_cndmask_b32_e32 v40, v47, v49, vcc
	v_cndmask_b32_e32 v42, v42, v51, vcc
	v_lshlrev_b32_e32 v47, 24, v38
	v_lshlrev_b32_e32 v42, 20, v42
	v_and_b32_e32 v47, 0x80000000, v47
	v_lshl_add_u32 v40, v40, 23, v45
	v_or3_b32 v49, v47, v40, v42
.LBB641_289:                            ;   in Loop: Header=BB641_213 Depth=1
	s_or_b64 exec, exec, s[18:19]
.LBB641_290:                            ;   in Loop: Header=BB641_213 Depth=1
	s_or_b64 exec, exec, s[16:17]
.LBB641_291:                            ;   in Loop: Header=BB641_213 Depth=1
	s_or_b64 exec, exec, s[14:15]
	v_lshrrev_b16_e32 v40, 8, v38
	v_cmp_ne_u16_e32 vcc, 0, v40
	v_mov_b32_e32 v51, 0
	v_mov_b32_e32 v52, 0
	s_and_saveexec_b64 s[14:15], vcc
	s_cbranch_execz .LBB641_297
; %bb.292:                              ;   in Loop: Header=BB641_213 Depth=1
	v_cmp_ne_u16_e32 vcc, s9, v40
	v_bfrev_b32_e32 v52, 1
	s_and_saveexec_b64 s[16:17], vcc
	s_cbranch_execz .LBB641_296
; %bb.293:                              ;   in Loop: Header=BB641_213 Depth=1
	v_and_b32_e32 v42, 0x7f, v40
	v_cmp_ne_u32_e32 vcc, s21, v42
	v_mov_b32_e32 v52, 0x7f800001
	s_and_saveexec_b64 s[18:19], vcc
	s_cbranch_execz .LBB641_295
; %bb.294:                              ;   in Loop: Header=BB641_213 Depth=1
	v_and_b32_e32 v47, 7, v40
	v_ffbh_u32_e32 v52, v47
	v_min_u32_e32 v66, 32, v52
	v_subrev_u32_e32 v52, 28, v66
	v_lshlrev_b64 v[52:53], v52, v[40:41]
	v_lshrrev_b32_e32 v65, 3, v42
	v_sub_u32_e32 v40, 29, v66
	v_and_b32_e32 v52, 7, v52
	v_cmp_gt_u32_e32 vcc, 8, v42
	v_cndmask_b32_e32 v40, v65, v40, vcc
	v_cndmask_b32_e32 v42, v47, v52, vcc
	v_lshlrev_b32_e32 v47, 16, v38
	v_lshlrev_b32_e32 v42, 20, v42
	v_and_b32_e32 v47, 0x80000000, v47
	v_lshl_add_u32 v40, v40, 23, v45
	v_or3_b32 v52, v47, v40, v42
.LBB641_295:                            ;   in Loop: Header=BB641_213 Depth=1
	s_or_b64 exec, exec, s[18:19]
.LBB641_296:                            ;   in Loop: Header=BB641_213 Depth=1
	s_or_b64 exec, exec, s[16:17]
.LBB641_297:                            ;   in Loop: Header=BB641_213 Depth=1
	s_or_b64 exec, exec, s[14:15]
	v_lshrrev_b32_e32 v40, 16, v38
	v_cmp_ne_u16_sdwa s[16:17], v40, v43 src0_sel:BYTE_0 src1_sel:DWORD
	s_and_saveexec_b64 s[14:15], s[16:17]
	s_cbranch_execz .LBB641_303
; %bb.298:                              ;   in Loop: Header=BB641_213 Depth=1
	v_cmp_ne_u16_sdwa s[18:19], v40, s9 src0_sel:BYTE_0 src1_sel:DWORD
	v_bfrev_b32_e32 v51, 1
	s_and_saveexec_b64 s[16:17], s[18:19]
	s_cbranch_execz .LBB641_302
; %bb.299:                              ;   in Loop: Header=BB641_213 Depth=1
	v_bfe_u32 v42, v38, 16, 7
	v_cmp_ne_u32_e32 vcc, s21, v42
	v_mov_b32_e32 v51, 0x7f800001
	s_and_saveexec_b64 s[18:19], vcc
	s_cbranch_execz .LBB641_301
; %bb.300:                              ;   in Loop: Header=BB641_213 Depth=1
	v_and_b32_e32 v47, 7, v40
	v_ffbh_u32_e32 v53, v47
	v_min_u32_e32 v53, 32, v53
	v_subrev_u32_e32 v65, 28, v53
	v_lshlrev_b64 v[66:67], v65, v[40:41]
	v_lshrrev_b32_e32 v51, 3, v42
	v_sub_u32_e32 v53, 29, v53
	v_and_b32_e32 v65, 7, v66
	v_cmp_gt_u32_e32 vcc, 8, v42
	v_cndmask_b32_e32 v42, v51, v53, vcc
	v_cndmask_b32_e32 v47, v47, v65, vcc
	v_lshlrev_b32_e32 v40, 24, v40
	v_lshlrev_b32_e32 v47, 20, v47
	v_and_b32_e32 v40, 0x80000000, v40
	v_lshl_add_u32 v42, v42, 23, v45
	v_or3_b32 v51, v40, v42, v47
.LBB641_301:                            ;   in Loop: Header=BB641_213 Depth=1
	s_or_b64 exec, exec, s[18:19]
.LBB641_302:                            ;   in Loop: Header=BB641_213 Depth=1
	s_or_b64 exec, exec, s[16:17]
.LBB641_303:                            ;   in Loop: Header=BB641_213 Depth=1
	s_or_b64 exec, exec, s[14:15]
	v_cmp_lt_u32_e32 vcc, s22, v38
	v_mov_b32_e32 v47, 0
	v_mov_b32_e32 v53, 0
	s_and_saveexec_b64 s[14:15], vcc
	s_cbranch_execz .LBB641_309
; %bb.304:                              ;   in Loop: Header=BB641_213 Depth=1
	v_lshrrev_b32_e32 v40, 24, v38
	v_cmp_ne_u32_e32 vcc, s9, v40
	v_bfrev_b32_e32 v53, 1
	s_and_saveexec_b64 s[16:17], vcc
	s_cbranch_execz .LBB641_308
; %bb.305:                              ;   in Loop: Header=BB641_213 Depth=1
	v_bfe_u32 v38, v38, 24, 7
	v_cmp_ne_u32_e32 vcc, s21, v38
	v_mov_b32_e32 v53, 0x7f800001
	s_and_saveexec_b64 s[18:19], vcc
	s_cbranch_execz .LBB641_307
; %bb.306:                              ;   in Loop: Header=BB641_213 Depth=1
	v_and_b32_e32 v42, 7, v40
	v_ffbh_u32_e32 v65, v42
	v_min_u32_e32 v65, 32, v65
	v_subrev_u32_e32 v66, 28, v65
	v_lshlrev_b64 v[66:67], v66, v[40:41]
	v_lshrrev_b32_e32 v53, 3, v38
	v_sub_u32_e32 v65, 29, v65
	v_and_b32_e32 v66, 7, v66
	v_cmp_gt_u32_e32 vcc, 8, v38
	v_cndmask_b32_e32 v38, v53, v65, vcc
	v_cndmask_b32_e32 v42, v42, v66, vcc
	v_lshlrev_b32_e32 v40, 24, v40
	v_lshlrev_b32_e32 v42, 20, v42
	v_and_b32_e32 v40, 0x80000000, v40
	v_lshl_add_u32 v38, v38, 23, v45
	v_or3_b32 v53, v40, v38, v42
.LBB641_307:                            ;   in Loop: Header=BB641_213 Depth=1
	s_or_b64 exec, exec, s[18:19]
.LBB641_308:                            ;   in Loop: Header=BB641_213 Depth=1
	s_or_b64 exec, exec, s[16:17]
.LBB641_309:                            ;   in Loop: Header=BB641_213 Depth=1
	s_or_b64 exec, exec, s[14:15]
	v_cvt_pkrtz_f16_f32 v67, v44, v50
	buffer_load_dword v44, v64, s[0:3], 0 offen
	buffer_load_dword v42, v64, s[0:3], 0 offen offset:4
	buffer_load_dword v40, v64, s[0:3], 0 offen offset:8
	;; [unrolled: 1-line block ×3, first 2 shown]
	v_cvt_pkrtz_f16_f32 v66, v46, v48
	v_cvt_pkrtz_f16_f32 v48, v49, v52
	;; [unrolled: 1-line block ×3, first 2 shown]
	v_mfma_f32_16x16x16f16 v[34:37], v[66:67], v[6:7], v[34:37]
	s_waitcnt vmcnt(3)
	v_cmp_ne_u16_sdwa s[16:17], v44, v43 src0_sel:BYTE_0 src1_sel:DWORD
	v_mfma_f32_16x16x16f16 v[34:37], v[48:49], v[8:9], v[34:37]
	s_and_saveexec_b64 s[14:15], s[16:17]
	s_cbranch_execz .LBB641_315
; %bb.310:                              ;   in Loop: Header=BB641_213 Depth=1
	v_cmp_ne_u16_sdwa s[18:19], v44, s9 src0_sel:BYTE_0 src1_sel:DWORD
	v_bfrev_b32_e32 v47, 1
	s_and_saveexec_b64 s[16:17], s[18:19]
	s_cbranch_execz .LBB641_314
; %bb.311:                              ;   in Loop: Header=BB641_213 Depth=1
	v_and_b32_e32 v46, 0x7f, v44
	v_cmp_ne_u32_e32 vcc, s21, v46
	v_mov_b32_e32 v47, 0x7f800001
	s_and_saveexec_b64 s[18:19], vcc
	s_cbranch_execz .LBB641_313
; %bb.312:                              ;   in Loop: Header=BB641_213 Depth=1
	v_and_b32_e32 v47, 7, v44
	v_ffbh_u32_e32 v48, v47
	v_min_u32_e32 v51, 32, v48
	v_subrev_u32_e32 v48, 28, v51
	v_lshlrev_b64 v[48:49], v48, v[44:45]
	v_lshrrev_b32_e32 v50, 3, v46
	v_sub_u32_e32 v49, 29, v51
	v_and_b32_e32 v48, 7, v48
	v_cmp_gt_u32_e32 vcc, 8, v46
	v_cndmask_b32_e32 v46, v50, v49, vcc
	v_cndmask_b32_e32 v47, v47, v48, vcc
	v_lshlrev_b32_e32 v48, 24, v44
	v_lshlrev_b32_e32 v47, 20, v47
	v_and_b32_e32 v48, 0x80000000, v48
	v_lshl_add_u32 v46, v46, 23, v45
	v_or3_b32 v47, v48, v46, v47
.LBB641_313:                            ;   in Loop: Header=BB641_213 Depth=1
	s_or_b64 exec, exec, s[18:19]
.LBB641_314:                            ;   in Loop: Header=BB641_213 Depth=1
	s_or_b64 exec, exec, s[16:17]
.LBB641_315:                            ;   in Loop: Header=BB641_213 Depth=1
	s_or_b64 exec, exec, s[14:15]
	v_lshrrev_b16_e32 v46, 8, v44
	v_cmp_ne_u16_e32 vcc, 0, v46
	v_mov_b32_e32 v48, 0
	v_mov_b32_e32 v49, 0
	s_and_saveexec_b64 s[14:15], vcc
	s_cbranch_execz .LBB641_321
; %bb.316:                              ;   in Loop: Header=BB641_213 Depth=1
	v_cmp_ne_u16_e32 vcc, s9, v46
	v_bfrev_b32_e32 v49, 1
	s_and_saveexec_b64 s[16:17], vcc
	s_cbranch_execz .LBB641_320
; %bb.317:                              ;   in Loop: Header=BB641_213 Depth=1
	v_and_b32_e32 v50, 0x7f, v46
	v_cmp_ne_u32_e32 vcc, s21, v50
	v_mov_b32_e32 v49, 0x7f800001
	s_and_saveexec_b64 s[18:19], vcc
	s_cbranch_execz .LBB641_319
; %bb.318:                              ;   in Loop: Header=BB641_213 Depth=1
	v_and_b32_e32 v49, 7, v46
	v_ffbh_u32_e32 v52, v49
	v_min_u32_e32 v64, 32, v52
	v_subrev_u32_e32 v52, 28, v64
	v_lshlrev_b64 v[52:53], v52, v[46:47]
	v_lshrrev_b32_e32 v51, 3, v50
	v_sub_u32_e32 v46, 29, v64
	v_and_b32_e32 v52, 7, v52
	v_cmp_gt_u32_e32 vcc, 8, v50
	v_cndmask_b32_e32 v46, v51, v46, vcc
	v_cndmask_b32_e32 v49, v49, v52, vcc
	v_lshlrev_b32_e32 v50, 16, v44
	v_lshlrev_b32_e32 v49, 20, v49
	v_and_b32_e32 v50, 0x80000000, v50
	v_lshl_add_u32 v46, v46, 23, v45
	v_or3_b32 v49, v50, v46, v49
.LBB641_319:                            ;   in Loop: Header=BB641_213 Depth=1
	s_or_b64 exec, exec, s[18:19]
.LBB641_320:                            ;   in Loop: Header=BB641_213 Depth=1
	s_or_b64 exec, exec, s[16:17]
.LBB641_321:                            ;   in Loop: Header=BB641_213 Depth=1
	s_or_b64 exec, exec, s[14:15]
	v_lshrrev_b32_e32 v46, 16, v44
	v_cmp_ne_u16_sdwa s[16:17], v46, v43 src0_sel:BYTE_0 src1_sel:DWORD
	s_and_saveexec_b64 s[14:15], s[16:17]
	s_cbranch_execz .LBB641_327
; %bb.322:                              ;   in Loop: Header=BB641_213 Depth=1
	v_cmp_ne_u16_sdwa s[18:19], v46, s9 src0_sel:BYTE_0 src1_sel:DWORD
	v_bfrev_b32_e32 v48, 1
	s_and_saveexec_b64 s[16:17], s[18:19]
	s_cbranch_execz .LBB641_326
; %bb.323:                              ;   in Loop: Header=BB641_213 Depth=1
	v_bfe_u32 v50, v44, 16, 7
	v_cmp_ne_u32_e32 vcc, s21, v50
	v_mov_b32_e32 v48, 0x7f800001
	s_and_saveexec_b64 s[18:19], vcc
	s_cbranch_execz .LBB641_325
; %bb.324:                              ;   in Loop: Header=BB641_213 Depth=1
	v_and_b32_e32 v48, 7, v46
	v_ffbh_u32_e32 v52, v48
	v_min_u32_e32 v64, 32, v52
	v_subrev_u32_e32 v52, 28, v64
	v_lshlrev_b64 v[52:53], v52, v[46:47]
	v_lshrrev_b32_e32 v51, 3, v50
	v_sub_u32_e32 v53, 29, v64
	v_and_b32_e32 v52, 7, v52
	v_cmp_gt_u32_e32 vcc, 8, v50
	v_cndmask_b32_e32 v50, v51, v53, vcc
	v_cndmask_b32_e32 v48, v48, v52, vcc
	v_lshlrev_b32_e32 v46, 24, v46
	v_lshlrev_b32_e32 v48, 20, v48
	v_and_b32_e32 v46, 0x80000000, v46
	v_lshl_add_u32 v50, v50, 23, v45
	v_or3_b32 v48, v46, v50, v48
.LBB641_325:                            ;   in Loop: Header=BB641_213 Depth=1
	s_or_b64 exec, exec, s[18:19]
.LBB641_326:                            ;   in Loop: Header=BB641_213 Depth=1
	s_or_b64 exec, exec, s[16:17]
.LBB641_327:                            ;   in Loop: Header=BB641_213 Depth=1
	s_or_b64 exec, exec, s[14:15]
	v_cmp_lt_u32_e32 vcc, s22, v44
	v_mov_b32_e32 v50, 0
	v_mov_b32_e32 v51, 0
	s_and_saveexec_b64 s[14:15], vcc
	s_cbranch_execz .LBB641_333
; %bb.328:                              ;   in Loop: Header=BB641_213 Depth=1
	v_lshrrev_b32_e32 v46, 24, v44
	v_cmp_ne_u32_e32 vcc, s9, v46
	v_bfrev_b32_e32 v51, 1
	s_and_saveexec_b64 s[16:17], vcc
	s_cbranch_execz .LBB641_332
; %bb.329:                              ;   in Loop: Header=BB641_213 Depth=1
	v_bfe_u32 v44, v44, 24, 7
	v_cmp_ne_u32_e32 vcc, s21, v44
	v_mov_b32_e32 v51, 0x7f800001
	s_and_saveexec_b64 s[18:19], vcc
	s_cbranch_execz .LBB641_331
; %bb.330:                              ;   in Loop: Header=BB641_213 Depth=1
	v_and_b32_e32 v51, 7, v46
	v_ffbh_u32_e32 v52, v51
	v_min_u32_e32 v65, 32, v52
	v_subrev_u32_e32 v52, 28, v65
	v_lshlrev_b64 v[52:53], v52, v[46:47]
	v_lshrrev_b32_e32 v64, 3, v44
	v_sub_u32_e32 v53, 29, v65
	v_and_b32_e32 v52, 7, v52
	v_cmp_gt_u32_e32 vcc, 8, v44
	v_cndmask_b32_e32 v44, v64, v53, vcc
	v_cndmask_b32_e32 v51, v51, v52, vcc
	v_lshlrev_b32_e32 v46, 24, v46
	v_lshlrev_b32_e32 v51, 20, v51
	v_and_b32_e32 v46, 0x80000000, v46
	v_lshl_add_u32 v44, v44, 23, v45
	v_or3_b32 v51, v46, v44, v51
.LBB641_331:                            ;   in Loop: Header=BB641_213 Depth=1
	s_or_b64 exec, exec, s[18:19]
.LBB641_332:                            ;   in Loop: Header=BB641_213 Depth=1
	s_or_b64 exec, exec, s[16:17]
.LBB641_333:                            ;   in Loop: Header=BB641_213 Depth=1
	s_or_b64 exec, exec, s[14:15]
	s_waitcnt vmcnt(2)
	v_cmp_ne_u16_sdwa s[16:17], v42, v43 src0_sel:BYTE_0 src1_sel:DWORD
	s_and_saveexec_b64 s[14:15], s[16:17]
	s_cbranch_execz .LBB641_339
; %bb.334:                              ;   in Loop: Header=BB641_213 Depth=1
	v_cmp_ne_u16_sdwa s[18:19], v42, s9 src0_sel:BYTE_0 src1_sel:DWORD
	v_bfrev_b32_e32 v50, 1
	s_and_saveexec_b64 s[16:17], s[18:19]
	s_cbranch_execz .LBB641_338
; %bb.335:                              ;   in Loop: Header=BB641_213 Depth=1
	v_and_b32_e32 v44, 0x7f, v42
	v_cmp_ne_u32_e32 vcc, s21, v44
	v_mov_b32_e32 v50, 0x7f800001
	s_and_saveexec_b64 s[18:19], vcc
	s_cbranch_execz .LBB641_337
; %bb.336:                              ;   in Loop: Header=BB641_213 Depth=1
	v_and_b32_e32 v46, 7, v42
	v_ffbh_u32_e32 v52, v46
	v_min_u32_e32 v64, 32, v52
	v_subrev_u32_e32 v52, 28, v64
	v_lshlrev_b64 v[52:53], v52, v[42:43]
	v_lshrrev_b32_e32 v50, 3, v44
	v_sub_u32_e32 v53, 29, v64
	v_and_b32_e32 v52, 7, v52
	v_cmp_gt_u32_e32 vcc, 8, v44
	v_cndmask_b32_e32 v44, v50, v53, vcc
	v_cndmask_b32_e32 v46, v46, v52, vcc
	v_lshlrev_b32_e32 v50, 24, v42
	v_lshlrev_b32_e32 v46, 20, v46
	v_and_b32_e32 v50, 0x80000000, v50
	v_lshl_add_u32 v44, v44, 23, v45
	v_or3_b32 v50, v50, v44, v46
.LBB641_337:                            ;   in Loop: Header=BB641_213 Depth=1
	s_or_b64 exec, exec, s[18:19]
.LBB641_338:                            ;   in Loop: Header=BB641_213 Depth=1
	s_or_b64 exec, exec, s[16:17]
.LBB641_339:                            ;   in Loop: Header=BB641_213 Depth=1
	s_or_b64 exec, exec, s[14:15]
	v_lshrrev_b16_e32 v44, 8, v42
	v_cmp_ne_u16_e32 vcc, 0, v44
	v_mov_b32_e32 v52, 0
	v_mov_b32_e32 v53, 0
	s_and_saveexec_b64 s[14:15], vcc
	s_cbranch_execz .LBB641_345
; %bb.340:                              ;   in Loop: Header=BB641_213 Depth=1
	v_cmp_ne_u16_e32 vcc, s9, v44
	v_bfrev_b32_e32 v53, 1
	s_and_saveexec_b64 s[16:17], vcc
	s_cbranch_execz .LBB641_344
; %bb.341:                              ;   in Loop: Header=BB641_213 Depth=1
	v_and_b32_e32 v46, 0x7f, v44
	v_cmp_ne_u32_e32 vcc, s21, v46
	v_mov_b32_e32 v53, 0x7f800001
	s_and_saveexec_b64 s[18:19], vcc
	s_cbranch_execz .LBB641_343
; %bb.342:                              ;   in Loop: Header=BB641_213 Depth=1
	v_and_b32_e32 v53, 7, v44
	v_ffbh_u32_e32 v64, v53
	v_min_u32_e32 v67, 32, v64
	v_subrev_u32_e32 v64, 28, v67
	v_lshlrev_b64 v[64:65], v64, v[44:45]
	v_lshrrev_b32_e32 v66, 3, v46
	v_sub_u32_e32 v44, 29, v67
	v_and_b32_e32 v64, 7, v64
	v_cmp_gt_u32_e32 vcc, 8, v46
	v_cndmask_b32_e32 v44, v66, v44, vcc
	v_cndmask_b32_e32 v46, v53, v64, vcc
	v_lshlrev_b32_e32 v53, 16, v42
	v_lshlrev_b32_e32 v46, 20, v46
	v_and_b32_e32 v53, 0x80000000, v53
	v_lshl_add_u32 v44, v44, 23, v45
	v_or3_b32 v53, v53, v44, v46
.LBB641_343:                            ;   in Loop: Header=BB641_213 Depth=1
	s_or_b64 exec, exec, s[18:19]
.LBB641_344:                            ;   in Loop: Header=BB641_213 Depth=1
	s_or_b64 exec, exec, s[16:17]
.LBB641_345:                            ;   in Loop: Header=BB641_213 Depth=1
	s_or_b64 exec, exec, s[14:15]
	v_lshrrev_b32_e32 v44, 16, v42
	v_cmp_ne_u16_sdwa s[16:17], v44, v43 src0_sel:BYTE_0 src1_sel:DWORD
	s_and_saveexec_b64 s[14:15], s[16:17]
	s_cbranch_execz .LBB641_351
; %bb.346:                              ;   in Loop: Header=BB641_213 Depth=1
	v_cmp_ne_u16_sdwa s[18:19], v44, s9 src0_sel:BYTE_0 src1_sel:DWORD
	v_bfrev_b32_e32 v52, 1
	s_and_saveexec_b64 s[16:17], s[18:19]
	s_cbranch_execz .LBB641_350
; %bb.347:                              ;   in Loop: Header=BB641_213 Depth=1
	v_bfe_u32 v46, v42, 16, 7
	v_cmp_ne_u32_e32 vcc, s21, v46
	v_mov_b32_e32 v52, 0x7f800001
	s_and_saveexec_b64 s[18:19], vcc
	s_cbranch_execz .LBB641_349
; %bb.348:                              ;   in Loop: Header=BB641_213 Depth=1
	v_and_b32_e32 v52, 7, v44
	v_ffbh_u32_e32 v64, v52
	v_min_u32_e32 v67, 32, v64
	v_subrev_u32_e32 v64, 28, v67
	v_lshlrev_b64 v[64:65], v64, v[44:45]
	v_lshrrev_b32_e32 v66, 3, v46
	v_sub_u32_e32 v65, 29, v67
	v_and_b32_e32 v64, 7, v64
	v_cmp_gt_u32_e32 vcc, 8, v46
	v_cndmask_b32_e32 v46, v66, v65, vcc
	v_cndmask_b32_e32 v52, v52, v64, vcc
	v_lshlrev_b32_e32 v44, 24, v44
	v_lshlrev_b32_e32 v52, 20, v52
	v_and_b32_e32 v44, 0x80000000, v44
	v_lshl_add_u32 v46, v46, 23, v45
	v_or3_b32 v52, v44, v46, v52
.LBB641_349:                            ;   in Loop: Header=BB641_213 Depth=1
	s_or_b64 exec, exec, s[18:19]
.LBB641_350:                            ;   in Loop: Header=BB641_213 Depth=1
	s_or_b64 exec, exec, s[16:17]
.LBB641_351:                            ;   in Loop: Header=BB641_213 Depth=1
	s_or_b64 exec, exec, s[14:15]
	v_cmp_lt_u32_e32 vcc, s22, v42
	v_mov_b32_e32 v46, 0
	v_mov_b32_e32 v64, 0
	s_and_saveexec_b64 s[14:15], vcc
	s_cbranch_execz .LBB641_357
; %bb.352:                              ;   in Loop: Header=BB641_213 Depth=1
	v_lshrrev_b32_e32 v44, 24, v42
	v_cmp_ne_u32_e32 vcc, s9, v44
	v_bfrev_b32_e32 v64, 1
	s_and_saveexec_b64 s[16:17], vcc
	s_cbranch_execz .LBB641_356
; %bb.353:                              ;   in Loop: Header=BB641_213 Depth=1
	v_bfe_u32 v42, v42, 24, 7
	v_cmp_ne_u32_e32 vcc, s21, v42
	v_mov_b32_e32 v64, 0x7f800001
	s_and_saveexec_b64 s[18:19], vcc
	s_cbranch_execz .LBB641_355
; %bb.354:                              ;   in Loop: Header=BB641_213 Depth=1
	v_and_b32_e32 v66, 7, v44
	v_ffbh_u32_e32 v64, v66
	v_min_u32_e32 v68, 32, v64
	v_subrev_u32_e32 v64, 28, v68
	v_lshlrev_b64 v[64:65], v64, v[44:45]
	v_lshrrev_b32_e32 v67, 3, v42
	v_sub_u32_e32 v65, 29, v68
	v_and_b32_e32 v64, 7, v64
	v_cmp_gt_u32_e32 vcc, 8, v42
	v_cndmask_b32_e32 v42, v67, v65, vcc
	v_cndmask_b32_e32 v64, v66, v64, vcc
	v_lshlrev_b32_e32 v44, 24, v44
	v_lshlrev_b32_e32 v64, 20, v64
	v_and_b32_e32 v44, 0x80000000, v44
	v_lshl_add_u32 v42, v42, 23, v45
	v_or3_b32 v64, v44, v42, v64
.LBB641_355:                            ;   in Loop: Header=BB641_213 Depth=1
	s_or_b64 exec, exec, s[18:19]
.LBB641_356:                            ;   in Loop: Header=BB641_213 Depth=1
	s_or_b64 exec, exec, s[16:17]
.LBB641_357:                            ;   in Loop: Header=BB641_213 Depth=1
	s_or_b64 exec, exec, s[14:15]
	v_cvt_pkrtz_f16_f32 v66, v47, v49
	v_cvt_pkrtz_f16_f32 v67, v48, v51
	;; [unrolled: 1-line block ×4, first 2 shown]
	s_waitcnt vmcnt(1)
	v_cmp_ne_u16_sdwa s[16:17], v40, v43 src0_sel:BYTE_0 src1_sel:DWORD
	v_mfma_f32_16x16x16f16 v[34:37], v[66:67], v[10:11], v[34:37]
	v_mfma_f32_16x16x16f16 v[34:37], v[48:49], v[12:13], v[34:37]
	s_and_saveexec_b64 s[14:15], s[16:17]
	s_cbranch_execz .LBB641_363
; %bb.358:                              ;   in Loop: Header=BB641_213 Depth=1
	v_cmp_ne_u16_sdwa s[18:19], v40, s9 src0_sel:BYTE_0 src1_sel:DWORD
	v_bfrev_b32_e32 v46, 1
	s_and_saveexec_b64 s[16:17], s[18:19]
	s_cbranch_execz .LBB641_362
; %bb.359:                              ;   in Loop: Header=BB641_213 Depth=1
	v_and_b32_e32 v42, 0x7f, v40
	v_cmp_ne_u32_e32 vcc, s21, v42
	v_mov_b32_e32 v46, 0x7f800001
	s_and_saveexec_b64 s[18:19], vcc
	s_cbranch_execz .LBB641_361
; %bb.360:                              ;   in Loop: Header=BB641_213 Depth=1
	v_and_b32_e32 v44, 7, v40
	v_ffbh_u32_e32 v46, v44
	v_min_u32_e32 v49, 32, v46
	v_subrev_u32_e32 v46, 28, v49
	v_lshlrev_b64 v[46:47], v46, v[40:41]
	v_lshrrev_b32_e32 v48, 3, v42
	v_sub_u32_e32 v47, 29, v49
	v_and_b32_e32 v46, 7, v46
	v_cmp_gt_u32_e32 vcc, 8, v42
	v_cndmask_b32_e32 v42, v48, v47, vcc
	v_cndmask_b32_e32 v44, v44, v46, vcc
	v_lshlrev_b32_e32 v46, 24, v40
	v_lshlrev_b32_e32 v44, 20, v44
	v_and_b32_e32 v46, 0x80000000, v46
	v_lshl_add_u32 v42, v42, 23, v45
	v_or3_b32 v46, v46, v42, v44
.LBB641_361:                            ;   in Loop: Header=BB641_213 Depth=1
	s_or_b64 exec, exec, s[18:19]
.LBB641_362:                            ;   in Loop: Header=BB641_213 Depth=1
	s_or_b64 exec, exec, s[16:17]
.LBB641_363:                            ;   in Loop: Header=BB641_213 Depth=1
	s_or_b64 exec, exec, s[14:15]
	v_lshrrev_b16_e32 v42, 8, v40
	v_cmp_ne_u16_e32 vcc, 0, v42
	v_mov_b32_e32 v44, 0
	v_mov_b32_e32 v48, 0
	s_and_saveexec_b64 s[14:15], vcc
	s_cbranch_execz .LBB641_369
; %bb.364:                              ;   in Loop: Header=BB641_213 Depth=1
	v_cmp_ne_u16_e32 vcc, s9, v42
	v_bfrev_b32_e32 v48, 1
	s_and_saveexec_b64 s[16:17], vcc
	s_cbranch_execz .LBB641_368
; %bb.365:                              ;   in Loop: Header=BB641_213 Depth=1
	v_and_b32_e32 v47, 0x7f, v42
	v_cmp_ne_u32_e32 vcc, s21, v47
	v_mov_b32_e32 v48, 0x7f800001
	s_and_saveexec_b64 s[18:19], vcc
	s_cbranch_execz .LBB641_367
; %bb.366:                              ;   in Loop: Header=BB641_213 Depth=1
	v_and_b32_e32 v50, 7, v42
	v_ffbh_u32_e32 v48, v50
	v_min_u32_e32 v52, 32, v48
	v_subrev_u32_e32 v48, 28, v52
	v_lshlrev_b64 v[48:49], v48, v[42:43]
	v_lshrrev_b32_e32 v51, 3, v47
	v_sub_u32_e32 v42, 29, v52
	v_and_b32_e32 v48, 7, v48
	v_cmp_gt_u32_e32 vcc, 8, v47
	v_cndmask_b32_e32 v42, v51, v42, vcc
	v_cndmask_b32_e32 v47, v50, v48, vcc
	v_lshlrev_b32_e32 v48, 16, v40
	v_lshlrev_b32_e32 v47, 20, v47
	v_and_b32_e32 v48, 0x80000000, v48
	v_lshl_add_u32 v42, v42, 23, v45
	v_or3_b32 v48, v48, v42, v47
.LBB641_367:                            ;   in Loop: Header=BB641_213 Depth=1
	s_or_b64 exec, exec, s[18:19]
.LBB641_368:                            ;   in Loop: Header=BB641_213 Depth=1
	s_or_b64 exec, exec, s[16:17]
.LBB641_369:                            ;   in Loop: Header=BB641_213 Depth=1
	s_or_b64 exec, exec, s[14:15]
	v_lshrrev_b32_e32 v42, 16, v40
	v_cmp_ne_u16_sdwa s[16:17], v42, v43 src0_sel:BYTE_0 src1_sel:DWORD
	s_and_saveexec_b64 s[14:15], s[16:17]
	s_cbranch_execz .LBB641_375
; %bb.370:                              ;   in Loop: Header=BB641_213 Depth=1
	v_cmp_ne_u16_sdwa s[18:19], v42, s9 src0_sel:BYTE_0 src1_sel:DWORD
	v_bfrev_b32_e32 v44, 1
	s_and_saveexec_b64 s[16:17], s[18:19]
	s_cbranch_execz .LBB641_374
; %bb.371:                              ;   in Loop: Header=BB641_213 Depth=1
	v_bfe_u32 v47, v40, 16, 7
	v_cmp_ne_u32_e32 vcc, s21, v47
	v_mov_b32_e32 v44, 0x7f800001
	s_and_saveexec_b64 s[18:19], vcc
	s_cbranch_execz .LBB641_373
; %bb.372:                              ;   in Loop: Header=BB641_213 Depth=1
	v_and_b32_e32 v44, 7, v42
	v_ffbh_u32_e32 v50, v44
	v_min_u32_e32 v52, 32, v50
	v_subrev_u32_e32 v50, 28, v52
	v_lshlrev_b64 v[50:51], v50, v[42:43]
	v_lshrrev_b32_e32 v49, 3, v47
	v_sub_u32_e32 v51, 29, v52
	v_and_b32_e32 v50, 7, v50
	v_cmp_gt_u32_e32 vcc, 8, v47
	v_cndmask_b32_e32 v47, v49, v51, vcc
	v_cndmask_b32_e32 v44, v44, v50, vcc
	v_lshlrev_b32_e32 v42, 24, v42
	v_lshlrev_b32_e32 v44, 20, v44
	v_and_b32_e32 v42, 0x80000000, v42
	v_lshl_add_u32 v47, v47, 23, v45
	v_or3_b32 v44, v42, v47, v44
.LBB641_373:                            ;   in Loop: Header=BB641_213 Depth=1
	s_or_b64 exec, exec, s[18:19]
.LBB641_374:                            ;   in Loop: Header=BB641_213 Depth=1
	s_or_b64 exec, exec, s[16:17]
.LBB641_375:                            ;   in Loop: Header=BB641_213 Depth=1
	s_or_b64 exec, exec, s[14:15]
	v_cmp_lt_u32_e32 vcc, s22, v40
	v_mov_b32_e32 v49, 0
	v_mov_b32_e32 v50, 0
	s_and_saveexec_b64 s[14:15], vcc
	s_cbranch_execz .LBB641_381
; %bb.376:                              ;   in Loop: Header=BB641_213 Depth=1
	v_lshrrev_b32_e32 v42, 24, v40
	v_cmp_ne_u32_e32 vcc, s9, v42
	v_bfrev_b32_e32 v50, 1
	s_and_saveexec_b64 s[16:17], vcc
	s_cbranch_execz .LBB641_380
; %bb.377:                              ;   in Loop: Header=BB641_213 Depth=1
	v_bfe_u32 v40, v40, 24, 7
	v_cmp_ne_u32_e32 vcc, s21, v40
	v_mov_b32_e32 v50, 0x7f800001
	s_and_saveexec_b64 s[18:19], vcc
	s_cbranch_execz .LBB641_379
; %bb.378:                              ;   in Loop: Header=BB641_213 Depth=1
	v_and_b32_e32 v47, 7, v42
	v_ffbh_u32_e32 v50, v47
	v_min_u32_e32 v53, 32, v50
	v_subrev_u32_e32 v50, 28, v53
	v_lshlrev_b64 v[50:51], v50, v[42:43]
	v_lshrrev_b32_e32 v52, 3, v40
	v_sub_u32_e32 v51, 29, v53
	v_and_b32_e32 v50, 7, v50
	v_cmp_gt_u32_e32 vcc, 8, v40
	v_cndmask_b32_e32 v40, v52, v51, vcc
	v_cndmask_b32_e32 v47, v47, v50, vcc
	v_lshlrev_b32_e32 v42, 24, v42
	v_lshlrev_b32_e32 v47, 20, v47
	v_and_b32_e32 v42, 0x80000000, v42
	v_lshl_add_u32 v40, v40, 23, v45
	v_or3_b32 v50, v42, v40, v47
.LBB641_379:                            ;   in Loop: Header=BB641_213 Depth=1
	s_or_b64 exec, exec, s[18:19]
.LBB641_380:                            ;   in Loop: Header=BB641_213 Depth=1
	s_or_b64 exec, exec, s[16:17]
.LBB641_381:                            ;   in Loop: Header=BB641_213 Depth=1
	s_or_b64 exec, exec, s[14:15]
	s_waitcnt vmcnt(0)
	v_cmp_ne_u16_sdwa s[16:17], v38, v43 src0_sel:BYTE_0 src1_sel:DWORD
	s_and_saveexec_b64 s[14:15], s[16:17]
	s_cbranch_execz .LBB641_387
; %bb.382:                              ;   in Loop: Header=BB641_213 Depth=1
	v_cmp_ne_u16_sdwa s[18:19], v38, s9 src0_sel:BYTE_0 src1_sel:DWORD
	v_bfrev_b32_e32 v49, 1
	s_and_saveexec_b64 s[16:17], s[18:19]
	s_cbranch_execz .LBB641_386
; %bb.383:                              ;   in Loop: Header=BB641_213 Depth=1
	v_and_b32_e32 v40, 0x7f, v38
	v_cmp_ne_u32_e32 vcc, s21, v40
	v_mov_b32_e32 v49, 0x7f800001
	s_and_saveexec_b64 s[18:19], vcc
	s_cbranch_execz .LBB641_385
; %bb.384:                              ;   in Loop: Header=BB641_213 Depth=1
	v_and_b32_e32 v42, 7, v38
	v_ffbh_u32_e32 v49, v42
	v_min_u32_e32 v49, 32, v49
	v_subrev_u32_e32 v51, 28, v49
	v_lshlrev_b64 v[52:53], v51, v[38:39]
	v_lshrrev_b32_e32 v47, 3, v40
	v_sub_u32_e32 v49, 29, v49
	v_and_b32_e32 v51, 7, v52
	v_cmp_gt_u32_e32 vcc, 8, v40
	v_cndmask_b32_e32 v40, v47, v49, vcc
	v_cndmask_b32_e32 v42, v42, v51, vcc
	v_lshlrev_b32_e32 v47, 24, v38
	v_lshlrev_b32_e32 v42, 20, v42
	v_and_b32_e32 v47, 0x80000000, v47
	v_lshl_add_u32 v40, v40, 23, v45
	v_or3_b32 v49, v47, v40, v42
.LBB641_385:                            ;   in Loop: Header=BB641_213 Depth=1
	s_or_b64 exec, exec, s[18:19]
.LBB641_386:                            ;   in Loop: Header=BB641_213 Depth=1
	s_or_b64 exec, exec, s[16:17]
.LBB641_387:                            ;   in Loop: Header=BB641_213 Depth=1
	s_or_b64 exec, exec, s[14:15]
	v_lshrrev_b16_e32 v40, 8, v38
	v_cmp_ne_u16_e32 vcc, 0, v40
	v_mov_b32_e32 v51, 0
	v_mov_b32_e32 v52, 0
	s_and_saveexec_b64 s[14:15], vcc
	s_cbranch_execz .LBB641_393
; %bb.388:                              ;   in Loop: Header=BB641_213 Depth=1
	v_cmp_ne_u16_e32 vcc, s9, v40
	v_bfrev_b32_e32 v52, 1
	s_and_saveexec_b64 s[16:17], vcc
	s_cbranch_execz .LBB641_392
; %bb.389:                              ;   in Loop: Header=BB641_213 Depth=1
	v_and_b32_e32 v42, 0x7f, v40
	v_cmp_ne_u32_e32 vcc, s21, v42
	v_mov_b32_e32 v52, 0x7f800001
	s_and_saveexec_b64 s[18:19], vcc
	s_cbranch_execz .LBB641_391
; %bb.390:                              ;   in Loop: Header=BB641_213 Depth=1
	v_and_b32_e32 v47, 7, v40
	v_ffbh_u32_e32 v52, v47
	v_min_u32_e32 v65, 32, v52
	v_subrev_u32_e32 v52, 28, v65
	v_lshlrev_b64 v[52:53], v52, v[40:41]
	v_lshrrev_b32_e32 v64, 3, v42
	v_sub_u32_e32 v40, 29, v65
	v_and_b32_e32 v52, 7, v52
	v_cmp_gt_u32_e32 vcc, 8, v42
	v_cndmask_b32_e32 v40, v64, v40, vcc
	v_cndmask_b32_e32 v42, v47, v52, vcc
	v_lshlrev_b32_e32 v47, 16, v38
	v_lshlrev_b32_e32 v42, 20, v42
	v_and_b32_e32 v47, 0x80000000, v47
	v_lshl_add_u32 v40, v40, 23, v45
	v_or3_b32 v52, v47, v40, v42
.LBB641_391:                            ;   in Loop: Header=BB641_213 Depth=1
	s_or_b64 exec, exec, s[18:19]
.LBB641_392:                            ;   in Loop: Header=BB641_213 Depth=1
	s_or_b64 exec, exec, s[16:17]
.LBB641_393:                            ;   in Loop: Header=BB641_213 Depth=1
	s_or_b64 exec, exec, s[14:15]
	v_lshrrev_b32_e32 v40, 16, v38
	v_cmp_ne_u16_sdwa s[16:17], v40, v43 src0_sel:BYTE_0 src1_sel:DWORD
	s_and_saveexec_b64 s[14:15], s[16:17]
	s_cbranch_execz .LBB641_399
; %bb.394:                              ;   in Loop: Header=BB641_213 Depth=1
	v_cmp_ne_u16_sdwa s[18:19], v40, s9 src0_sel:BYTE_0 src1_sel:DWORD
	v_bfrev_b32_e32 v51, 1
	s_and_saveexec_b64 s[16:17], s[18:19]
	s_cbranch_execz .LBB641_398
; %bb.395:                              ;   in Loop: Header=BB641_213 Depth=1
	v_bfe_u32 v42, v38, 16, 7
	v_cmp_ne_u32_e32 vcc, s21, v42
	v_mov_b32_e32 v51, 0x7f800001
	s_and_saveexec_b64 s[18:19], vcc
	s_cbranch_execz .LBB641_397
; %bb.396:                              ;   in Loop: Header=BB641_213 Depth=1
	v_and_b32_e32 v47, 7, v40
	v_ffbh_u32_e32 v53, v47
	v_min_u32_e32 v53, 32, v53
	v_subrev_u32_e32 v64, 28, v53
	v_lshlrev_b64 v[64:65], v64, v[40:41]
	v_lshrrev_b32_e32 v51, 3, v42
	v_sub_u32_e32 v53, 29, v53
	v_and_b32_e32 v64, 7, v64
	v_cmp_gt_u32_e32 vcc, 8, v42
	v_cndmask_b32_e32 v42, v51, v53, vcc
	v_cndmask_b32_e32 v47, v47, v64, vcc
	v_lshlrev_b32_e32 v40, 24, v40
	v_lshlrev_b32_e32 v47, 20, v47
	v_and_b32_e32 v40, 0x80000000, v40
	v_lshl_add_u32 v42, v42, 23, v45
	v_or3_b32 v51, v40, v42, v47
.LBB641_397:                            ;   in Loop: Header=BB641_213 Depth=1
	s_or_b64 exec, exec, s[18:19]
.LBB641_398:                            ;   in Loop: Header=BB641_213 Depth=1
	s_or_b64 exec, exec, s[16:17]
.LBB641_399:                            ;   in Loop: Header=BB641_213 Depth=1
	s_or_b64 exec, exec, s[14:15]
	v_cmp_lt_u32_e32 vcc, s22, v38
	v_mov_b32_e32 v47, 0
	v_mov_b32_e32 v53, 0
	s_and_saveexec_b64 s[14:15], vcc
	s_cbranch_execz .LBB641_405
; %bb.400:                              ;   in Loop: Header=BB641_213 Depth=1
	v_lshrrev_b32_e32 v40, 24, v38
	v_cmp_ne_u32_e32 vcc, s9, v40
	v_bfrev_b32_e32 v53, 1
	s_and_saveexec_b64 s[16:17], vcc
	s_cbranch_execz .LBB641_404
; %bb.401:                              ;   in Loop: Header=BB641_213 Depth=1
	v_bfe_u32 v38, v38, 24, 7
	v_cmp_ne_u32_e32 vcc, s21, v38
	v_mov_b32_e32 v53, 0x7f800001
	s_and_saveexec_b64 s[18:19], vcc
	s_cbranch_execz .LBB641_403
; %bb.402:                              ;   in Loop: Header=BB641_213 Depth=1
	v_and_b32_e32 v42, 7, v40
	v_ffbh_u32_e32 v64, v42
	v_min_u32_e32 v66, 32, v64
	v_subrev_u32_e32 v64, 28, v66
	v_lshlrev_b64 v[64:65], v64, v[40:41]
	v_lshrrev_b32_e32 v53, 3, v38
	v_sub_u32_e32 v65, 29, v66
	v_and_b32_e32 v64, 7, v64
	v_cmp_gt_u32_e32 vcc, 8, v38
	v_cndmask_b32_e32 v38, v53, v65, vcc
	v_cndmask_b32_e32 v42, v42, v64, vcc
	v_lshlrev_b32_e32 v40, 24, v40
	v_lshlrev_b32_e32 v42, 20, v42
	v_and_b32_e32 v40, 0x80000000, v40
	v_lshl_add_u32 v38, v38, 23, v45
	v_or3_b32 v53, v40, v38, v42
.LBB641_403:                            ;   in Loop: Header=BB641_213 Depth=1
	s_or_b64 exec, exec, s[18:19]
.LBB641_404:                            ;   in Loop: Header=BB641_213 Depth=1
	s_or_b64 exec, exec, s[16:17]
.LBB641_405:                            ;   in Loop: Header=BB641_213 Depth=1
	s_or_b64 exec, exec, s[14:15]
	v_cvt_pkrtz_f16_f32 v65, v44, v50
	buffer_load_dword v44, v63, s[0:3], 0 offen
	buffer_load_dword v42, v63, s[0:3], 0 offen offset:4
	buffer_load_dword v40, v63, s[0:3], 0 offen offset:8
	buffer_load_dword v38, v63, s[0:3], 0 offen offset:12
	v_cvt_pkrtz_f16_f32 v64, v46, v48
	v_cvt_pkrtz_f16_f32 v48, v49, v52
	;; [unrolled: 1-line block ×3, first 2 shown]
	v_mfma_f32_16x16x16f16 v[34:37], v[64:65], v[14:15], v[34:37]
	s_waitcnt vmcnt(3)
	v_cmp_ne_u16_sdwa s[16:17], v44, v43 src0_sel:BYTE_0 src1_sel:DWORD
	v_mfma_f32_16x16x16f16 v[34:37], v[48:49], v[16:17], v[34:37]
	s_and_saveexec_b64 s[14:15], s[16:17]
	s_cbranch_execz .LBB641_411
; %bb.406:                              ;   in Loop: Header=BB641_213 Depth=1
	v_cmp_ne_u16_sdwa s[18:19], v44, s9 src0_sel:BYTE_0 src1_sel:DWORD
	v_bfrev_b32_e32 v47, 1
	s_and_saveexec_b64 s[16:17], s[18:19]
	s_cbranch_execz .LBB641_410
; %bb.407:                              ;   in Loop: Header=BB641_213 Depth=1
	v_and_b32_e32 v46, 0x7f, v44
	v_cmp_ne_u32_e32 vcc, s21, v46
	v_mov_b32_e32 v47, 0x7f800001
	s_and_saveexec_b64 s[18:19], vcc
	s_cbranch_execz .LBB641_409
; %bb.408:                              ;   in Loop: Header=BB641_213 Depth=1
	v_and_b32_e32 v47, 7, v44
	v_ffbh_u32_e32 v48, v47
	v_min_u32_e32 v51, 32, v48
	v_subrev_u32_e32 v48, 28, v51
	v_lshlrev_b64 v[48:49], v48, v[44:45]
	v_lshrrev_b32_e32 v50, 3, v46
	v_sub_u32_e32 v49, 29, v51
	v_and_b32_e32 v48, 7, v48
	v_cmp_gt_u32_e32 vcc, 8, v46
	v_cndmask_b32_e32 v46, v50, v49, vcc
	v_cndmask_b32_e32 v47, v47, v48, vcc
	v_lshlrev_b32_e32 v48, 24, v44
	v_lshlrev_b32_e32 v47, 20, v47
	v_and_b32_e32 v48, 0x80000000, v48
	v_lshl_add_u32 v46, v46, 23, v45
	v_or3_b32 v47, v48, v46, v47
.LBB641_409:                            ;   in Loop: Header=BB641_213 Depth=1
	s_or_b64 exec, exec, s[18:19]
.LBB641_410:                            ;   in Loop: Header=BB641_213 Depth=1
	s_or_b64 exec, exec, s[16:17]
.LBB641_411:                            ;   in Loop: Header=BB641_213 Depth=1
	s_or_b64 exec, exec, s[14:15]
	v_lshrrev_b16_e32 v46, 8, v44
	v_cmp_ne_u16_e32 vcc, 0, v46
	v_mov_b32_e32 v48, 0
	v_mov_b32_e32 v49, 0
	s_and_saveexec_b64 s[14:15], vcc
	s_cbranch_execz .LBB641_417
; %bb.412:                              ;   in Loop: Header=BB641_213 Depth=1
	v_cmp_ne_u16_e32 vcc, s9, v46
	v_bfrev_b32_e32 v49, 1
	s_and_saveexec_b64 s[16:17], vcc
	s_cbranch_execz .LBB641_416
; %bb.413:                              ;   in Loop: Header=BB641_213 Depth=1
	v_and_b32_e32 v50, 0x7f, v46
	v_cmp_ne_u32_e32 vcc, s21, v50
	v_mov_b32_e32 v49, 0x7f800001
	s_and_saveexec_b64 s[18:19], vcc
	s_cbranch_execz .LBB641_415
; %bb.414:                              ;   in Loop: Header=BB641_213 Depth=1
	v_and_b32_e32 v49, 7, v46
	v_ffbh_u32_e32 v52, v49
	v_min_u32_e32 v63, 32, v52
	v_subrev_u32_e32 v52, 28, v63
	v_lshlrev_b64 v[52:53], v52, v[46:47]
	v_lshrrev_b32_e32 v51, 3, v50
	v_sub_u32_e32 v46, 29, v63
	v_and_b32_e32 v52, 7, v52
	v_cmp_gt_u32_e32 vcc, 8, v50
	v_cndmask_b32_e32 v46, v51, v46, vcc
	v_cndmask_b32_e32 v49, v49, v52, vcc
	v_lshlrev_b32_e32 v50, 16, v44
	v_lshlrev_b32_e32 v49, 20, v49
	v_and_b32_e32 v50, 0x80000000, v50
	v_lshl_add_u32 v46, v46, 23, v45
	v_or3_b32 v49, v50, v46, v49
.LBB641_415:                            ;   in Loop: Header=BB641_213 Depth=1
	s_or_b64 exec, exec, s[18:19]
.LBB641_416:                            ;   in Loop: Header=BB641_213 Depth=1
	s_or_b64 exec, exec, s[16:17]
.LBB641_417:                            ;   in Loop: Header=BB641_213 Depth=1
	s_or_b64 exec, exec, s[14:15]
	v_lshrrev_b32_e32 v46, 16, v44
	v_cmp_ne_u16_sdwa s[16:17], v46, v43 src0_sel:BYTE_0 src1_sel:DWORD
	s_and_saveexec_b64 s[14:15], s[16:17]
	s_cbranch_execz .LBB641_423
; %bb.418:                              ;   in Loop: Header=BB641_213 Depth=1
	v_cmp_ne_u16_sdwa s[18:19], v46, s9 src0_sel:BYTE_0 src1_sel:DWORD
	v_bfrev_b32_e32 v48, 1
	s_and_saveexec_b64 s[16:17], s[18:19]
	s_cbranch_execz .LBB641_422
; %bb.419:                              ;   in Loop: Header=BB641_213 Depth=1
	v_bfe_u32 v50, v44, 16, 7
	v_cmp_ne_u32_e32 vcc, s21, v50
	v_mov_b32_e32 v48, 0x7f800001
	s_and_saveexec_b64 s[18:19], vcc
	s_cbranch_execz .LBB641_421
; %bb.420:                              ;   in Loop: Header=BB641_213 Depth=1
	v_and_b32_e32 v48, 7, v46
	v_ffbh_u32_e32 v52, v48
	v_min_u32_e32 v63, 32, v52
	v_subrev_u32_e32 v52, 28, v63
	v_lshlrev_b64 v[52:53], v52, v[46:47]
	v_lshrrev_b32_e32 v51, 3, v50
	v_sub_u32_e32 v53, 29, v63
	v_and_b32_e32 v52, 7, v52
	v_cmp_gt_u32_e32 vcc, 8, v50
	v_cndmask_b32_e32 v50, v51, v53, vcc
	v_cndmask_b32_e32 v48, v48, v52, vcc
	v_lshlrev_b32_e32 v46, 24, v46
	v_lshlrev_b32_e32 v48, 20, v48
	v_and_b32_e32 v46, 0x80000000, v46
	v_lshl_add_u32 v50, v50, 23, v45
	v_or3_b32 v48, v46, v50, v48
.LBB641_421:                            ;   in Loop: Header=BB641_213 Depth=1
	s_or_b64 exec, exec, s[18:19]
.LBB641_422:                            ;   in Loop: Header=BB641_213 Depth=1
	s_or_b64 exec, exec, s[16:17]
.LBB641_423:                            ;   in Loop: Header=BB641_213 Depth=1
	s_or_b64 exec, exec, s[14:15]
	v_cmp_lt_u32_e32 vcc, s22, v44
	v_mov_b32_e32 v50, 0
	v_mov_b32_e32 v51, 0
	s_and_saveexec_b64 s[14:15], vcc
	s_cbranch_execz .LBB641_429
; %bb.424:                              ;   in Loop: Header=BB641_213 Depth=1
	v_lshrrev_b32_e32 v46, 24, v44
	v_cmp_ne_u32_e32 vcc, s9, v46
	v_bfrev_b32_e32 v51, 1
	s_and_saveexec_b64 s[16:17], vcc
	s_cbranch_execz .LBB641_428
; %bb.425:                              ;   in Loop: Header=BB641_213 Depth=1
	v_bfe_u32 v44, v44, 24, 7
	v_cmp_ne_u32_e32 vcc, s21, v44
	v_mov_b32_e32 v51, 0x7f800001
	s_and_saveexec_b64 s[18:19], vcc
	s_cbranch_execz .LBB641_427
; %bb.426:                              ;   in Loop: Header=BB641_213 Depth=1
	v_and_b32_e32 v51, 7, v46
	v_ffbh_u32_e32 v52, v51
	v_min_u32_e32 v64, 32, v52
	v_subrev_u32_e32 v52, 28, v64
	v_lshlrev_b64 v[52:53], v52, v[46:47]
	v_lshrrev_b32_e32 v63, 3, v44
	v_sub_u32_e32 v53, 29, v64
	v_and_b32_e32 v52, 7, v52
	v_cmp_gt_u32_e32 vcc, 8, v44
	v_cndmask_b32_e32 v44, v63, v53, vcc
	v_cndmask_b32_e32 v51, v51, v52, vcc
	v_lshlrev_b32_e32 v46, 24, v46
	v_lshlrev_b32_e32 v51, 20, v51
	v_and_b32_e32 v46, 0x80000000, v46
	v_lshl_add_u32 v44, v44, 23, v45
	v_or3_b32 v51, v46, v44, v51
.LBB641_427:                            ;   in Loop: Header=BB641_213 Depth=1
	s_or_b64 exec, exec, s[18:19]
.LBB641_428:                            ;   in Loop: Header=BB641_213 Depth=1
	s_or_b64 exec, exec, s[16:17]
.LBB641_429:                            ;   in Loop: Header=BB641_213 Depth=1
	s_or_b64 exec, exec, s[14:15]
	s_waitcnt vmcnt(2)
	v_cmp_ne_u16_sdwa s[16:17], v42, v43 src0_sel:BYTE_0 src1_sel:DWORD
	s_and_saveexec_b64 s[14:15], s[16:17]
	s_cbranch_execz .LBB641_435
; %bb.430:                              ;   in Loop: Header=BB641_213 Depth=1
	v_cmp_ne_u16_sdwa s[18:19], v42, s9 src0_sel:BYTE_0 src1_sel:DWORD
	v_bfrev_b32_e32 v50, 1
	s_and_saveexec_b64 s[16:17], s[18:19]
	s_cbranch_execz .LBB641_434
; %bb.431:                              ;   in Loop: Header=BB641_213 Depth=1
	v_and_b32_e32 v44, 0x7f, v42
	v_cmp_ne_u32_e32 vcc, s21, v44
	v_mov_b32_e32 v50, 0x7f800001
	s_and_saveexec_b64 s[18:19], vcc
	s_cbranch_execz .LBB641_433
; %bb.432:                              ;   in Loop: Header=BB641_213 Depth=1
	v_and_b32_e32 v46, 7, v42
	v_ffbh_u32_e32 v52, v46
	v_min_u32_e32 v63, 32, v52
	v_subrev_u32_e32 v52, 28, v63
	v_lshlrev_b64 v[52:53], v52, v[42:43]
	v_lshrrev_b32_e32 v50, 3, v44
	v_sub_u32_e32 v53, 29, v63
	v_and_b32_e32 v52, 7, v52
	v_cmp_gt_u32_e32 vcc, 8, v44
	v_cndmask_b32_e32 v44, v50, v53, vcc
	v_cndmask_b32_e32 v46, v46, v52, vcc
	v_lshlrev_b32_e32 v50, 24, v42
	v_lshlrev_b32_e32 v46, 20, v46
	v_and_b32_e32 v50, 0x80000000, v50
	v_lshl_add_u32 v44, v44, 23, v45
	v_or3_b32 v50, v50, v44, v46
.LBB641_433:                            ;   in Loop: Header=BB641_213 Depth=1
	s_or_b64 exec, exec, s[18:19]
.LBB641_434:                            ;   in Loop: Header=BB641_213 Depth=1
	s_or_b64 exec, exec, s[16:17]
.LBB641_435:                            ;   in Loop: Header=BB641_213 Depth=1
	s_or_b64 exec, exec, s[14:15]
	v_lshrrev_b16_e32 v44, 8, v42
	v_cmp_ne_u16_e32 vcc, 0, v44
	v_mov_b32_e32 v52, 0
	v_mov_b32_e32 v53, 0
	s_and_saveexec_b64 s[14:15], vcc
	s_cbranch_execz .LBB641_441
; %bb.436:                              ;   in Loop: Header=BB641_213 Depth=1
	v_cmp_ne_u16_e32 vcc, s9, v44
	v_bfrev_b32_e32 v53, 1
	s_and_saveexec_b64 s[16:17], vcc
	s_cbranch_execz .LBB641_440
; %bb.437:                              ;   in Loop: Header=BB641_213 Depth=1
	v_and_b32_e32 v46, 0x7f, v44
	v_cmp_ne_u32_e32 vcc, s21, v46
	v_mov_b32_e32 v53, 0x7f800001
	s_and_saveexec_b64 s[18:19], vcc
	s_cbranch_execz .LBB641_439
; %bb.438:                              ;   in Loop: Header=BB641_213 Depth=1
	v_and_b32_e32 v53, 7, v44
	v_ffbh_u32_e32 v64, v53
	v_min_u32_e32 v66, 32, v64
	v_subrev_u32_e32 v64, 28, v66
	v_lshlrev_b64 v[64:65], v64, v[44:45]
	v_lshrrev_b32_e32 v63, 3, v46
	v_sub_u32_e32 v44, 29, v66
	v_and_b32_e32 v64, 7, v64
	v_cmp_gt_u32_e32 vcc, 8, v46
	v_cndmask_b32_e32 v44, v63, v44, vcc
	v_cndmask_b32_e32 v46, v53, v64, vcc
	v_lshlrev_b32_e32 v53, 16, v42
	v_lshlrev_b32_e32 v46, 20, v46
	v_and_b32_e32 v53, 0x80000000, v53
	v_lshl_add_u32 v44, v44, 23, v45
	v_or3_b32 v53, v53, v44, v46
.LBB641_439:                            ;   in Loop: Header=BB641_213 Depth=1
	s_or_b64 exec, exec, s[18:19]
.LBB641_440:                            ;   in Loop: Header=BB641_213 Depth=1
	s_or_b64 exec, exec, s[16:17]
.LBB641_441:                            ;   in Loop: Header=BB641_213 Depth=1
	s_or_b64 exec, exec, s[14:15]
	v_lshrrev_b32_e32 v44, 16, v42
	v_cmp_ne_u16_sdwa s[16:17], v44, v43 src0_sel:BYTE_0 src1_sel:DWORD
	s_and_saveexec_b64 s[14:15], s[16:17]
	s_cbranch_execz .LBB641_447
; %bb.442:                              ;   in Loop: Header=BB641_213 Depth=1
	v_cmp_ne_u16_sdwa s[18:19], v44, s9 src0_sel:BYTE_0 src1_sel:DWORD
	v_bfrev_b32_e32 v52, 1
	s_and_saveexec_b64 s[16:17], s[18:19]
	s_cbranch_execz .LBB641_446
; %bb.443:                              ;   in Loop: Header=BB641_213 Depth=1
	v_bfe_u32 v46, v42, 16, 7
	v_cmp_ne_u32_e32 vcc, s21, v46
	v_mov_b32_e32 v52, 0x7f800001
	s_and_saveexec_b64 s[18:19], vcc
	s_cbranch_execz .LBB641_445
; %bb.444:                              ;   in Loop: Header=BB641_213 Depth=1
	v_and_b32_e32 v52, 7, v44
	v_ffbh_u32_e32 v64, v52
	v_min_u32_e32 v66, 32, v64
	v_subrev_u32_e32 v64, 28, v66
	v_lshlrev_b64 v[64:65], v64, v[44:45]
	v_lshrrev_b32_e32 v63, 3, v46
	v_sub_u32_e32 v65, 29, v66
	v_and_b32_e32 v64, 7, v64
	v_cmp_gt_u32_e32 vcc, 8, v46
	v_cndmask_b32_e32 v46, v63, v65, vcc
	v_cndmask_b32_e32 v52, v52, v64, vcc
	v_lshlrev_b32_e32 v44, 24, v44
	v_lshlrev_b32_e32 v52, 20, v52
	v_and_b32_e32 v44, 0x80000000, v44
	v_lshl_add_u32 v46, v46, 23, v45
	v_or3_b32 v52, v44, v46, v52
.LBB641_445:                            ;   in Loop: Header=BB641_213 Depth=1
	s_or_b64 exec, exec, s[18:19]
.LBB641_446:                            ;   in Loop: Header=BB641_213 Depth=1
	s_or_b64 exec, exec, s[16:17]
.LBB641_447:                            ;   in Loop: Header=BB641_213 Depth=1
	s_or_b64 exec, exec, s[14:15]
	v_cmp_lt_u32_e32 vcc, s22, v42
	v_mov_b32_e32 v46, 0
	v_mov_b32_e32 v63, 0
	s_and_saveexec_b64 s[14:15], vcc
	s_cbranch_execz .LBB641_453
; %bb.448:                              ;   in Loop: Header=BB641_213 Depth=1
	v_lshrrev_b32_e32 v44, 24, v42
	v_cmp_ne_u32_e32 vcc, s9, v44
	v_bfrev_b32_e32 v63, 1
	s_and_saveexec_b64 s[16:17], vcc
	s_cbranch_execz .LBB641_452
; %bb.449:                              ;   in Loop: Header=BB641_213 Depth=1
	v_bfe_u32 v42, v42, 24, 7
	v_cmp_ne_u32_e32 vcc, s21, v42
	v_mov_b32_e32 v63, 0x7f800001
	s_and_saveexec_b64 s[18:19], vcc
	s_cbranch_execz .LBB641_451
; %bb.450:                              ;   in Loop: Header=BB641_213 Depth=1
	v_and_b32_e32 v63, 7, v44
	v_ffbh_u32_e32 v64, v63
	v_min_u32_e32 v67, 32, v64
	v_subrev_u32_e32 v64, 28, v67
	v_lshlrev_b64 v[64:65], v64, v[44:45]
	v_lshrrev_b32_e32 v66, 3, v42
	v_sub_u32_e32 v65, 29, v67
	v_and_b32_e32 v64, 7, v64
	v_cmp_gt_u32_e32 vcc, 8, v42
	v_cndmask_b32_e32 v42, v66, v65, vcc
	v_cndmask_b32_e32 v63, v63, v64, vcc
	v_lshlrev_b32_e32 v44, 24, v44
	v_lshlrev_b32_e32 v63, 20, v63
	v_and_b32_e32 v44, 0x80000000, v44
	v_lshl_add_u32 v42, v42, 23, v45
	v_or3_b32 v63, v44, v42, v63
.LBB641_451:                            ;   in Loop: Header=BB641_213 Depth=1
	s_or_b64 exec, exec, s[18:19]
.LBB641_452:                            ;   in Loop: Header=BB641_213 Depth=1
	s_or_b64 exec, exec, s[16:17]
.LBB641_453:                            ;   in Loop: Header=BB641_213 Depth=1
	s_or_b64 exec, exec, s[14:15]
	v_cvt_pkrtz_f16_f32 v64, v47, v49
	v_cvt_pkrtz_f16_f32 v65, v48, v51
	;; [unrolled: 1-line block ×4, first 2 shown]
	s_waitcnt vmcnt(1)
	v_cmp_ne_u16_sdwa s[16:17], v40, v43 src0_sel:BYTE_0 src1_sel:DWORD
	v_mfma_f32_16x16x16f16 v[34:37], v[64:65], v[18:19], v[34:37]
	v_mfma_f32_16x16x16f16 v[34:37], v[48:49], v[20:21], v[34:37]
	s_and_saveexec_b64 s[14:15], s[16:17]
	s_cbranch_execz .LBB641_459
; %bb.454:                              ;   in Loop: Header=BB641_213 Depth=1
	v_cmp_ne_u16_sdwa s[18:19], v40, s9 src0_sel:BYTE_0 src1_sel:DWORD
	v_bfrev_b32_e32 v46, 1
	s_and_saveexec_b64 s[16:17], s[18:19]
	s_cbranch_execz .LBB641_458
; %bb.455:                              ;   in Loop: Header=BB641_213 Depth=1
	v_and_b32_e32 v42, 0x7f, v40
	v_cmp_ne_u32_e32 vcc, s21, v42
	v_mov_b32_e32 v46, 0x7f800001
	s_and_saveexec_b64 s[18:19], vcc
	s_cbranch_execz .LBB641_457
; %bb.456:                              ;   in Loop: Header=BB641_213 Depth=1
	v_and_b32_e32 v44, 7, v40
	v_ffbh_u32_e32 v46, v44
	v_min_u32_e32 v49, 32, v46
	v_subrev_u32_e32 v46, 28, v49
	v_lshlrev_b64 v[46:47], v46, v[40:41]
	v_lshrrev_b32_e32 v48, 3, v42
	v_sub_u32_e32 v47, 29, v49
	v_and_b32_e32 v46, 7, v46
	v_cmp_gt_u32_e32 vcc, 8, v42
	v_cndmask_b32_e32 v42, v48, v47, vcc
	v_cndmask_b32_e32 v44, v44, v46, vcc
	v_lshlrev_b32_e32 v46, 24, v40
	v_lshlrev_b32_e32 v44, 20, v44
	v_and_b32_e32 v46, 0x80000000, v46
	v_lshl_add_u32 v42, v42, 23, v45
	v_or3_b32 v46, v46, v42, v44
.LBB641_457:                            ;   in Loop: Header=BB641_213 Depth=1
	s_or_b64 exec, exec, s[18:19]
.LBB641_458:                            ;   in Loop: Header=BB641_213 Depth=1
	s_or_b64 exec, exec, s[16:17]
.LBB641_459:                            ;   in Loop: Header=BB641_213 Depth=1
	s_or_b64 exec, exec, s[14:15]
	v_lshrrev_b16_e32 v42, 8, v40
	v_cmp_ne_u16_e32 vcc, 0, v42
	v_mov_b32_e32 v44, 0
	v_mov_b32_e32 v48, 0
	s_and_saveexec_b64 s[14:15], vcc
	s_cbranch_execz .LBB641_465
; %bb.460:                              ;   in Loop: Header=BB641_213 Depth=1
	v_cmp_ne_u16_e32 vcc, s9, v42
	v_bfrev_b32_e32 v48, 1
	s_and_saveexec_b64 s[16:17], vcc
	s_cbranch_execz .LBB641_464
; %bb.461:                              ;   in Loop: Header=BB641_213 Depth=1
	v_and_b32_e32 v47, 0x7f, v42
	v_cmp_ne_u32_e32 vcc, s21, v47
	v_mov_b32_e32 v48, 0x7f800001
	s_and_saveexec_b64 s[18:19], vcc
	s_cbranch_execz .LBB641_463
; %bb.462:                              ;   in Loop: Header=BB641_213 Depth=1
	v_and_b32_e32 v50, 7, v42
	v_ffbh_u32_e32 v48, v50
	v_min_u32_e32 v52, 32, v48
	v_subrev_u32_e32 v48, 28, v52
	v_lshlrev_b64 v[48:49], v48, v[42:43]
	v_lshrrev_b32_e32 v51, 3, v47
	v_sub_u32_e32 v42, 29, v52
	v_and_b32_e32 v48, 7, v48
	v_cmp_gt_u32_e32 vcc, 8, v47
	v_cndmask_b32_e32 v42, v51, v42, vcc
	v_cndmask_b32_e32 v47, v50, v48, vcc
	v_lshlrev_b32_e32 v48, 16, v40
	v_lshlrev_b32_e32 v47, 20, v47
	v_and_b32_e32 v48, 0x80000000, v48
	v_lshl_add_u32 v42, v42, 23, v45
	v_or3_b32 v48, v48, v42, v47
.LBB641_463:                            ;   in Loop: Header=BB641_213 Depth=1
	s_or_b64 exec, exec, s[18:19]
.LBB641_464:                            ;   in Loop: Header=BB641_213 Depth=1
	s_or_b64 exec, exec, s[16:17]
.LBB641_465:                            ;   in Loop: Header=BB641_213 Depth=1
	s_or_b64 exec, exec, s[14:15]
	v_lshrrev_b32_e32 v42, 16, v40
	v_cmp_ne_u16_sdwa s[16:17], v42, v43 src0_sel:BYTE_0 src1_sel:DWORD
	s_and_saveexec_b64 s[14:15], s[16:17]
	s_cbranch_execz .LBB641_471
; %bb.466:                              ;   in Loop: Header=BB641_213 Depth=1
	v_cmp_ne_u16_sdwa s[18:19], v42, s9 src0_sel:BYTE_0 src1_sel:DWORD
	v_bfrev_b32_e32 v44, 1
	s_and_saveexec_b64 s[16:17], s[18:19]
	s_cbranch_execz .LBB641_470
; %bb.467:                              ;   in Loop: Header=BB641_213 Depth=1
	v_bfe_u32 v47, v40, 16, 7
	v_cmp_ne_u32_e32 vcc, s21, v47
	v_mov_b32_e32 v44, 0x7f800001
	s_and_saveexec_b64 s[18:19], vcc
	s_cbranch_execz .LBB641_469
; %bb.468:                              ;   in Loop: Header=BB641_213 Depth=1
	v_and_b32_e32 v44, 7, v42
	v_ffbh_u32_e32 v50, v44
	v_min_u32_e32 v52, 32, v50
	v_subrev_u32_e32 v50, 28, v52
	v_lshlrev_b64 v[50:51], v50, v[42:43]
	v_lshrrev_b32_e32 v49, 3, v47
	v_sub_u32_e32 v51, 29, v52
	v_and_b32_e32 v50, 7, v50
	v_cmp_gt_u32_e32 vcc, 8, v47
	v_cndmask_b32_e32 v47, v49, v51, vcc
	v_cndmask_b32_e32 v44, v44, v50, vcc
	v_lshlrev_b32_e32 v42, 24, v42
	v_lshlrev_b32_e32 v44, 20, v44
	v_and_b32_e32 v42, 0x80000000, v42
	v_lshl_add_u32 v47, v47, 23, v45
	v_or3_b32 v44, v42, v47, v44
.LBB641_469:                            ;   in Loop: Header=BB641_213 Depth=1
	s_or_b64 exec, exec, s[18:19]
.LBB641_470:                            ;   in Loop: Header=BB641_213 Depth=1
	s_or_b64 exec, exec, s[16:17]
.LBB641_471:                            ;   in Loop: Header=BB641_213 Depth=1
	s_or_b64 exec, exec, s[14:15]
	v_cmp_lt_u32_e32 vcc, s22, v40
	v_mov_b32_e32 v49, 0
	v_mov_b32_e32 v50, 0
	s_and_saveexec_b64 s[14:15], vcc
	s_cbranch_execz .LBB641_477
; %bb.472:                              ;   in Loop: Header=BB641_213 Depth=1
	v_lshrrev_b32_e32 v42, 24, v40
	v_cmp_ne_u32_e32 vcc, s9, v42
	v_bfrev_b32_e32 v50, 1
	s_and_saveexec_b64 s[16:17], vcc
	s_cbranch_execz .LBB641_476
; %bb.473:                              ;   in Loop: Header=BB641_213 Depth=1
	v_bfe_u32 v40, v40, 24, 7
	v_cmp_ne_u32_e32 vcc, s21, v40
	v_mov_b32_e32 v50, 0x7f800001
	s_and_saveexec_b64 s[18:19], vcc
	s_cbranch_execz .LBB641_475
; %bb.474:                              ;   in Loop: Header=BB641_213 Depth=1
	v_and_b32_e32 v47, 7, v42
	v_ffbh_u32_e32 v50, v47
	v_min_u32_e32 v53, 32, v50
	v_subrev_u32_e32 v50, 28, v53
	v_lshlrev_b64 v[50:51], v50, v[42:43]
	v_lshrrev_b32_e32 v52, 3, v40
	v_sub_u32_e32 v51, 29, v53
	v_and_b32_e32 v50, 7, v50
	v_cmp_gt_u32_e32 vcc, 8, v40
	v_cndmask_b32_e32 v40, v52, v51, vcc
	v_cndmask_b32_e32 v47, v47, v50, vcc
	v_lshlrev_b32_e32 v42, 24, v42
	v_lshlrev_b32_e32 v47, 20, v47
	v_and_b32_e32 v42, 0x80000000, v42
	v_lshl_add_u32 v40, v40, 23, v45
	v_or3_b32 v50, v42, v40, v47
.LBB641_475:                            ;   in Loop: Header=BB641_213 Depth=1
	s_or_b64 exec, exec, s[18:19]
.LBB641_476:                            ;   in Loop: Header=BB641_213 Depth=1
	s_or_b64 exec, exec, s[16:17]
.LBB641_477:                            ;   in Loop: Header=BB641_213 Depth=1
	s_or_b64 exec, exec, s[14:15]
	s_waitcnt vmcnt(0)
	v_cmp_ne_u16_sdwa s[16:17], v38, v43 src0_sel:BYTE_0 src1_sel:DWORD
	s_and_saveexec_b64 s[14:15], s[16:17]
	s_cbranch_execz .LBB641_483
; %bb.478:                              ;   in Loop: Header=BB641_213 Depth=1
	v_cmp_ne_u16_sdwa s[18:19], v38, s9 src0_sel:BYTE_0 src1_sel:DWORD
	v_bfrev_b32_e32 v49, 1
	s_and_saveexec_b64 s[16:17], s[18:19]
	s_cbranch_execz .LBB641_482
; %bb.479:                              ;   in Loop: Header=BB641_213 Depth=1
	v_and_b32_e32 v40, 0x7f, v38
	v_cmp_ne_u32_e32 vcc, s21, v40
	v_mov_b32_e32 v49, 0x7f800001
	s_and_saveexec_b64 s[18:19], vcc
	s_cbranch_execz .LBB641_481
; %bb.480:                              ;   in Loop: Header=BB641_213 Depth=1
	v_and_b32_e32 v42, 7, v38
	v_ffbh_u32_e32 v49, v42
	v_min_u32_e32 v49, 32, v49
	v_subrev_u32_e32 v51, 28, v49
	v_lshlrev_b64 v[52:53], v51, v[38:39]
	v_lshrrev_b32_e32 v47, 3, v40
	v_sub_u32_e32 v49, 29, v49
	v_and_b32_e32 v51, 7, v52
	v_cmp_gt_u32_e32 vcc, 8, v40
	v_cndmask_b32_e32 v40, v47, v49, vcc
	v_cndmask_b32_e32 v42, v42, v51, vcc
	v_lshlrev_b32_e32 v47, 24, v38
	v_lshlrev_b32_e32 v42, 20, v42
	v_and_b32_e32 v47, 0x80000000, v47
	v_lshl_add_u32 v40, v40, 23, v45
	v_or3_b32 v49, v47, v40, v42
.LBB641_481:                            ;   in Loop: Header=BB641_213 Depth=1
	s_or_b64 exec, exec, s[18:19]
.LBB641_482:                            ;   in Loop: Header=BB641_213 Depth=1
	s_or_b64 exec, exec, s[16:17]
.LBB641_483:                            ;   in Loop: Header=BB641_213 Depth=1
	s_or_b64 exec, exec, s[14:15]
	v_lshrrev_b16_e32 v40, 8, v38
	v_cmp_ne_u16_e32 vcc, 0, v40
	v_mov_b32_e32 v51, 0
	v_mov_b32_e32 v52, 0
	s_and_saveexec_b64 s[14:15], vcc
	s_cbranch_execz .LBB641_489
; %bb.484:                              ;   in Loop: Header=BB641_213 Depth=1
	v_cmp_ne_u16_e32 vcc, s9, v40
	v_bfrev_b32_e32 v52, 1
	s_and_saveexec_b64 s[16:17], vcc
	s_cbranch_execz .LBB641_488
; %bb.485:                              ;   in Loop: Header=BB641_213 Depth=1
	v_and_b32_e32 v42, 0x7f, v40
	v_cmp_ne_u32_e32 vcc, s21, v42
	v_mov_b32_e32 v52, 0x7f800001
	s_and_saveexec_b64 s[18:19], vcc
	s_cbranch_execz .LBB641_487
; %bb.486:                              ;   in Loop: Header=BB641_213 Depth=1
	v_and_b32_e32 v47, 7, v40
	v_ffbh_u32_e32 v52, v47
	v_min_u32_e32 v64, 32, v52
	v_subrev_u32_e32 v52, 28, v64
	v_lshlrev_b64 v[52:53], v52, v[40:41]
	v_lshrrev_b32_e32 v63, 3, v42
	v_sub_u32_e32 v40, 29, v64
	v_and_b32_e32 v52, 7, v52
	v_cmp_gt_u32_e32 vcc, 8, v42
	v_cndmask_b32_e32 v40, v63, v40, vcc
	v_cndmask_b32_e32 v42, v47, v52, vcc
	v_lshlrev_b32_e32 v47, 16, v38
	v_lshlrev_b32_e32 v42, 20, v42
	v_and_b32_e32 v47, 0x80000000, v47
	v_lshl_add_u32 v40, v40, 23, v45
	v_or3_b32 v52, v47, v40, v42
.LBB641_487:                            ;   in Loop: Header=BB641_213 Depth=1
	s_or_b64 exec, exec, s[18:19]
.LBB641_488:                            ;   in Loop: Header=BB641_213 Depth=1
	s_or_b64 exec, exec, s[16:17]
.LBB641_489:                            ;   in Loop: Header=BB641_213 Depth=1
	s_or_b64 exec, exec, s[14:15]
	v_lshrrev_b32_e32 v40, 16, v38
	v_cmp_ne_u16_sdwa s[16:17], v40, v43 src0_sel:BYTE_0 src1_sel:DWORD
	s_and_saveexec_b64 s[14:15], s[16:17]
	s_cbranch_execz .LBB641_495
; %bb.490:                              ;   in Loop: Header=BB641_213 Depth=1
	v_cmp_ne_u16_sdwa s[18:19], v40, s9 src0_sel:BYTE_0 src1_sel:DWORD
	v_bfrev_b32_e32 v51, 1
	s_and_saveexec_b64 s[16:17], s[18:19]
	s_cbranch_execz .LBB641_494
; %bb.491:                              ;   in Loop: Header=BB641_213 Depth=1
	v_bfe_u32 v42, v38, 16, 7
	v_cmp_ne_u32_e32 vcc, s21, v42
	v_mov_b32_e32 v51, 0x7f800001
	s_and_saveexec_b64 s[18:19], vcc
	s_cbranch_execz .LBB641_493
; %bb.492:                              ;   in Loop: Header=BB641_213 Depth=1
	v_and_b32_e32 v47, 7, v40
	v_ffbh_u32_e32 v53, v47
	v_min_u32_e32 v53, 32, v53
	v_subrev_u32_e32 v63, 28, v53
	v_lshlrev_b64 v[64:65], v63, v[40:41]
	v_lshrrev_b32_e32 v51, 3, v42
	v_sub_u32_e32 v53, 29, v53
	v_and_b32_e32 v63, 7, v64
	v_cmp_gt_u32_e32 vcc, 8, v42
	v_cndmask_b32_e32 v42, v51, v53, vcc
	v_cndmask_b32_e32 v47, v47, v63, vcc
	v_lshlrev_b32_e32 v40, 24, v40
	v_lshlrev_b32_e32 v47, 20, v47
	v_and_b32_e32 v40, 0x80000000, v40
	v_lshl_add_u32 v42, v42, 23, v45
	v_or3_b32 v51, v40, v42, v47
.LBB641_493:                            ;   in Loop: Header=BB641_213 Depth=1
	s_or_b64 exec, exec, s[18:19]
.LBB641_494:                            ;   in Loop: Header=BB641_213 Depth=1
	s_or_b64 exec, exec, s[16:17]
.LBB641_495:                            ;   in Loop: Header=BB641_213 Depth=1
	s_or_b64 exec, exec, s[14:15]
	v_cmp_lt_u32_e32 vcc, s22, v38
	v_mov_b32_e32 v47, 0
	v_mov_b32_e32 v53, 0
	s_and_saveexec_b64 s[14:15], vcc
	s_cbranch_execz .LBB641_501
; %bb.496:                              ;   in Loop: Header=BB641_213 Depth=1
	v_lshrrev_b32_e32 v40, 24, v38
	v_cmp_ne_u32_e32 vcc, s9, v40
	v_bfrev_b32_e32 v53, 1
	s_and_saveexec_b64 s[16:17], vcc
	s_cbranch_execz .LBB641_500
; %bb.497:                              ;   in Loop: Header=BB641_213 Depth=1
	v_bfe_u32 v38, v38, 24, 7
	v_cmp_ne_u32_e32 vcc, s21, v38
	v_mov_b32_e32 v53, 0x7f800001
	s_and_saveexec_b64 s[18:19], vcc
	s_cbranch_execz .LBB641_499
; %bb.498:                              ;   in Loop: Header=BB641_213 Depth=1
	v_and_b32_e32 v42, 7, v40
	v_ffbh_u32_e32 v63, v42
	v_min_u32_e32 v63, 32, v63
	v_subrev_u32_e32 v64, 28, v63
	v_lshlrev_b64 v[64:65], v64, v[40:41]
	v_lshrrev_b32_e32 v53, 3, v38
	v_sub_u32_e32 v63, 29, v63
	v_and_b32_e32 v64, 7, v64
	v_cmp_gt_u32_e32 vcc, 8, v38
	v_cndmask_b32_e32 v38, v53, v63, vcc
	v_cndmask_b32_e32 v42, v42, v64, vcc
	v_lshlrev_b32_e32 v40, 24, v40
	v_lshlrev_b32_e32 v42, 20, v42
	v_and_b32_e32 v40, 0x80000000, v40
	v_lshl_add_u32 v38, v38, 23, v45
	v_or3_b32 v53, v40, v38, v42
.LBB641_499:                            ;   in Loop: Header=BB641_213 Depth=1
	s_or_b64 exec, exec, s[18:19]
.LBB641_500:                            ;   in Loop: Header=BB641_213 Depth=1
	s_or_b64 exec, exec, s[16:17]
.LBB641_501:                            ;   in Loop: Header=BB641_213 Depth=1
	s_or_b64 exec, exec, s[14:15]
	v_cvt_pkrtz_f16_f32 v65, v44, v50
	buffer_load_dword v44, v62, s[0:3], 0 offen
	buffer_load_dword v42, v62, s[0:3], 0 offen offset:4
	buffer_load_dword v40, v62, s[0:3], 0 offen offset:8
	;; [unrolled: 1-line block ×3, first 2 shown]
	v_cvt_pkrtz_f16_f32 v64, v46, v48
	v_cvt_pkrtz_f16_f32 v48, v49, v52
	;; [unrolled: 1-line block ×3, first 2 shown]
	v_mfma_f32_16x16x16f16 v[34:37], v[64:65], v[22:23], v[34:37]
	s_waitcnt vmcnt(3)
	v_cmp_ne_u16_sdwa s[16:17], v44, v43 src0_sel:BYTE_0 src1_sel:DWORD
	v_mfma_f32_16x16x16f16 v[34:37], v[48:49], v[24:25], v[34:37]
	s_and_saveexec_b64 s[14:15], s[16:17]
	s_cbranch_execz .LBB641_507
; %bb.502:                              ;   in Loop: Header=BB641_213 Depth=1
	v_cmp_ne_u16_sdwa s[18:19], v44, s9 src0_sel:BYTE_0 src1_sel:DWORD
	v_bfrev_b32_e32 v47, 1
	s_and_saveexec_b64 s[16:17], s[18:19]
	s_cbranch_execz .LBB641_506
; %bb.503:                              ;   in Loop: Header=BB641_213 Depth=1
	v_and_b32_e32 v46, 0x7f, v44
	v_cmp_ne_u32_e32 vcc, s21, v46
	v_mov_b32_e32 v47, 0x7f800001
	s_and_saveexec_b64 s[18:19], vcc
	s_cbranch_execz .LBB641_505
; %bb.504:                              ;   in Loop: Header=BB641_213 Depth=1
	v_and_b32_e32 v47, 7, v44
	v_ffbh_u32_e32 v48, v47
	v_min_u32_e32 v51, 32, v48
	v_subrev_u32_e32 v48, 28, v51
	v_lshlrev_b64 v[48:49], v48, v[44:45]
	v_lshrrev_b32_e32 v50, 3, v46
	v_sub_u32_e32 v49, 29, v51
	v_and_b32_e32 v48, 7, v48
	v_cmp_gt_u32_e32 vcc, 8, v46
	v_cndmask_b32_e32 v46, v50, v49, vcc
	v_cndmask_b32_e32 v47, v47, v48, vcc
	v_lshlrev_b32_e32 v48, 24, v44
	v_lshlrev_b32_e32 v47, 20, v47
	v_and_b32_e32 v48, 0x80000000, v48
	v_lshl_add_u32 v46, v46, 23, v45
	v_or3_b32 v47, v48, v46, v47
.LBB641_505:                            ;   in Loop: Header=BB641_213 Depth=1
	s_or_b64 exec, exec, s[18:19]
.LBB641_506:                            ;   in Loop: Header=BB641_213 Depth=1
	s_or_b64 exec, exec, s[16:17]
.LBB641_507:                            ;   in Loop: Header=BB641_213 Depth=1
	s_or_b64 exec, exec, s[14:15]
	v_lshrrev_b16_e32 v46, 8, v44
	v_cmp_ne_u16_e32 vcc, 0, v46
	v_mov_b32_e32 v48, 0
	v_mov_b32_e32 v49, 0
	s_and_saveexec_b64 s[14:15], vcc
	s_cbranch_execz .LBB641_513
; %bb.508:                              ;   in Loop: Header=BB641_213 Depth=1
	v_cmp_ne_u16_e32 vcc, s9, v46
	v_bfrev_b32_e32 v49, 1
	s_and_saveexec_b64 s[16:17], vcc
	s_cbranch_execz .LBB641_512
; %bb.509:                              ;   in Loop: Header=BB641_213 Depth=1
	v_and_b32_e32 v50, 0x7f, v46
	v_cmp_ne_u32_e32 vcc, s21, v50
	v_mov_b32_e32 v49, 0x7f800001
	s_and_saveexec_b64 s[18:19], vcc
	s_cbranch_execz .LBB641_511
; %bb.510:                              ;   in Loop: Header=BB641_213 Depth=1
	v_and_b32_e32 v49, 7, v46
	v_ffbh_u32_e32 v52, v49
	v_min_u32_e32 v62, 32, v52
	v_subrev_u32_e32 v52, 28, v62
	v_lshlrev_b64 v[52:53], v52, v[46:47]
	v_lshrrev_b32_e32 v51, 3, v50
	v_sub_u32_e32 v46, 29, v62
	v_and_b32_e32 v52, 7, v52
	v_cmp_gt_u32_e32 vcc, 8, v50
	v_cndmask_b32_e32 v46, v51, v46, vcc
	v_cndmask_b32_e32 v49, v49, v52, vcc
	v_lshlrev_b32_e32 v50, 16, v44
	v_lshlrev_b32_e32 v49, 20, v49
	v_and_b32_e32 v50, 0x80000000, v50
	v_lshl_add_u32 v46, v46, 23, v45
	v_or3_b32 v49, v50, v46, v49
.LBB641_511:                            ;   in Loop: Header=BB641_213 Depth=1
	s_or_b64 exec, exec, s[18:19]
.LBB641_512:                            ;   in Loop: Header=BB641_213 Depth=1
	s_or_b64 exec, exec, s[16:17]
.LBB641_513:                            ;   in Loop: Header=BB641_213 Depth=1
	s_or_b64 exec, exec, s[14:15]
	v_lshrrev_b32_e32 v46, 16, v44
	v_cmp_ne_u16_sdwa s[16:17], v46, v43 src0_sel:BYTE_0 src1_sel:DWORD
	s_and_saveexec_b64 s[14:15], s[16:17]
	s_cbranch_execz .LBB641_519
; %bb.514:                              ;   in Loop: Header=BB641_213 Depth=1
	v_cmp_ne_u16_sdwa s[18:19], v46, s9 src0_sel:BYTE_0 src1_sel:DWORD
	v_bfrev_b32_e32 v48, 1
	s_and_saveexec_b64 s[16:17], s[18:19]
	s_cbranch_execz .LBB641_518
; %bb.515:                              ;   in Loop: Header=BB641_213 Depth=1
	v_bfe_u32 v50, v44, 16, 7
	v_cmp_ne_u32_e32 vcc, s21, v50
	v_mov_b32_e32 v48, 0x7f800001
	s_and_saveexec_b64 s[18:19], vcc
	s_cbranch_execz .LBB641_517
; %bb.516:                              ;   in Loop: Header=BB641_213 Depth=1
	v_and_b32_e32 v48, 7, v46
	v_ffbh_u32_e32 v52, v48
	v_min_u32_e32 v62, 32, v52
	v_subrev_u32_e32 v52, 28, v62
	v_lshlrev_b64 v[52:53], v52, v[46:47]
	v_lshrrev_b32_e32 v51, 3, v50
	v_sub_u32_e32 v53, 29, v62
	v_and_b32_e32 v52, 7, v52
	v_cmp_gt_u32_e32 vcc, 8, v50
	v_cndmask_b32_e32 v50, v51, v53, vcc
	v_cndmask_b32_e32 v48, v48, v52, vcc
	v_lshlrev_b32_e32 v46, 24, v46
	v_lshlrev_b32_e32 v48, 20, v48
	v_and_b32_e32 v46, 0x80000000, v46
	v_lshl_add_u32 v50, v50, 23, v45
	v_or3_b32 v48, v46, v50, v48
.LBB641_517:                            ;   in Loop: Header=BB641_213 Depth=1
	s_or_b64 exec, exec, s[18:19]
.LBB641_518:                            ;   in Loop: Header=BB641_213 Depth=1
	s_or_b64 exec, exec, s[16:17]
.LBB641_519:                            ;   in Loop: Header=BB641_213 Depth=1
	s_or_b64 exec, exec, s[14:15]
	v_cmp_lt_u32_e32 vcc, s22, v44
	v_mov_b32_e32 v50, 0
	v_mov_b32_e32 v51, 0
	s_and_saveexec_b64 s[14:15], vcc
	s_cbranch_execz .LBB641_525
; %bb.520:                              ;   in Loop: Header=BB641_213 Depth=1
	v_lshrrev_b32_e32 v46, 24, v44
	v_cmp_ne_u32_e32 vcc, s9, v46
	v_bfrev_b32_e32 v51, 1
	s_and_saveexec_b64 s[16:17], vcc
	s_cbranch_execz .LBB641_524
; %bb.521:                              ;   in Loop: Header=BB641_213 Depth=1
	v_bfe_u32 v44, v44, 24, 7
	v_cmp_ne_u32_e32 vcc, s21, v44
	v_mov_b32_e32 v51, 0x7f800001
	s_and_saveexec_b64 s[18:19], vcc
	s_cbranch_execz .LBB641_523
; %bb.522:                              ;   in Loop: Header=BB641_213 Depth=1
	v_and_b32_e32 v51, 7, v46
	v_ffbh_u32_e32 v52, v51
	v_min_u32_e32 v63, 32, v52
	v_subrev_u32_e32 v52, 28, v63
	v_lshlrev_b64 v[52:53], v52, v[46:47]
	v_lshrrev_b32_e32 v62, 3, v44
	v_sub_u32_e32 v53, 29, v63
	v_and_b32_e32 v52, 7, v52
	v_cmp_gt_u32_e32 vcc, 8, v44
	v_cndmask_b32_e32 v44, v62, v53, vcc
	v_cndmask_b32_e32 v51, v51, v52, vcc
	v_lshlrev_b32_e32 v46, 24, v46
	v_lshlrev_b32_e32 v51, 20, v51
	v_and_b32_e32 v46, 0x80000000, v46
	v_lshl_add_u32 v44, v44, 23, v45
	v_or3_b32 v51, v46, v44, v51
.LBB641_523:                            ;   in Loop: Header=BB641_213 Depth=1
	s_or_b64 exec, exec, s[18:19]
.LBB641_524:                            ;   in Loop: Header=BB641_213 Depth=1
	s_or_b64 exec, exec, s[16:17]
.LBB641_525:                            ;   in Loop: Header=BB641_213 Depth=1
	s_or_b64 exec, exec, s[14:15]
	s_waitcnt vmcnt(2)
	v_cmp_ne_u16_sdwa s[16:17], v42, v43 src0_sel:BYTE_0 src1_sel:DWORD
	s_and_saveexec_b64 s[14:15], s[16:17]
	s_cbranch_execz .LBB641_531
; %bb.526:                              ;   in Loop: Header=BB641_213 Depth=1
	v_cmp_ne_u16_sdwa s[18:19], v42, s9 src0_sel:BYTE_0 src1_sel:DWORD
	v_bfrev_b32_e32 v50, 1
	s_and_saveexec_b64 s[16:17], s[18:19]
	s_cbranch_execz .LBB641_530
; %bb.527:                              ;   in Loop: Header=BB641_213 Depth=1
	v_and_b32_e32 v44, 0x7f, v42
	v_cmp_ne_u32_e32 vcc, s21, v44
	v_mov_b32_e32 v50, 0x7f800001
	s_and_saveexec_b64 s[18:19], vcc
	s_cbranch_execz .LBB641_529
; %bb.528:                              ;   in Loop: Header=BB641_213 Depth=1
	v_and_b32_e32 v46, 7, v42
	v_ffbh_u32_e32 v52, v46
	v_min_u32_e32 v62, 32, v52
	v_subrev_u32_e32 v52, 28, v62
	v_lshlrev_b64 v[52:53], v52, v[42:43]
	v_lshrrev_b32_e32 v50, 3, v44
	v_sub_u32_e32 v53, 29, v62
	v_and_b32_e32 v52, 7, v52
	v_cmp_gt_u32_e32 vcc, 8, v44
	v_cndmask_b32_e32 v44, v50, v53, vcc
	v_cndmask_b32_e32 v46, v46, v52, vcc
	v_lshlrev_b32_e32 v50, 24, v42
	v_lshlrev_b32_e32 v46, 20, v46
	v_and_b32_e32 v50, 0x80000000, v50
	v_lshl_add_u32 v44, v44, 23, v45
	v_or3_b32 v50, v50, v44, v46
.LBB641_529:                            ;   in Loop: Header=BB641_213 Depth=1
	s_or_b64 exec, exec, s[18:19]
.LBB641_530:                            ;   in Loop: Header=BB641_213 Depth=1
	s_or_b64 exec, exec, s[16:17]
.LBB641_531:                            ;   in Loop: Header=BB641_213 Depth=1
	s_or_b64 exec, exec, s[14:15]
	v_lshrrev_b16_e32 v44, 8, v42
	v_cmp_ne_u16_e32 vcc, 0, v44
	v_mov_b32_e32 v52, 0
	v_mov_b32_e32 v53, 0
	s_and_saveexec_b64 s[14:15], vcc
	s_cbranch_execz .LBB641_537
; %bb.532:                              ;   in Loop: Header=BB641_213 Depth=1
	v_cmp_ne_u16_e32 vcc, s9, v44
	v_bfrev_b32_e32 v53, 1
	s_and_saveexec_b64 s[16:17], vcc
	s_cbranch_execz .LBB641_536
; %bb.533:                              ;   in Loop: Header=BB641_213 Depth=1
	v_and_b32_e32 v46, 0x7f, v44
	v_cmp_ne_u32_e32 vcc, s21, v46
	v_mov_b32_e32 v53, 0x7f800001
	s_and_saveexec_b64 s[18:19], vcc
	s_cbranch_execz .LBB641_535
; %bb.534:                              ;   in Loop: Header=BB641_213 Depth=1
	v_and_b32_e32 v53, 7, v44
	v_ffbh_u32_e32 v62, v53
	v_min_u32_e32 v65, 32, v62
	v_subrev_u32_e32 v62, 28, v65
	v_lshlrev_b64 v[62:63], v62, v[44:45]
	v_lshrrev_b32_e32 v64, 3, v46
	v_sub_u32_e32 v44, 29, v65
	v_and_b32_e32 v62, 7, v62
	v_cmp_gt_u32_e32 vcc, 8, v46
	v_cndmask_b32_e32 v44, v64, v44, vcc
	v_cndmask_b32_e32 v46, v53, v62, vcc
	v_lshlrev_b32_e32 v53, 16, v42
	v_lshlrev_b32_e32 v46, 20, v46
	v_and_b32_e32 v53, 0x80000000, v53
	v_lshl_add_u32 v44, v44, 23, v45
	v_or3_b32 v53, v53, v44, v46
.LBB641_535:                            ;   in Loop: Header=BB641_213 Depth=1
	s_or_b64 exec, exec, s[18:19]
.LBB641_536:                            ;   in Loop: Header=BB641_213 Depth=1
	s_or_b64 exec, exec, s[16:17]
.LBB641_537:                            ;   in Loop: Header=BB641_213 Depth=1
	s_or_b64 exec, exec, s[14:15]
	v_lshrrev_b32_e32 v44, 16, v42
	v_cmp_ne_u16_sdwa s[16:17], v44, v43 src0_sel:BYTE_0 src1_sel:DWORD
	s_and_saveexec_b64 s[14:15], s[16:17]
	s_cbranch_execz .LBB641_543
; %bb.538:                              ;   in Loop: Header=BB641_213 Depth=1
	v_cmp_ne_u16_sdwa s[18:19], v44, s9 src0_sel:BYTE_0 src1_sel:DWORD
	v_bfrev_b32_e32 v52, 1
	s_and_saveexec_b64 s[16:17], s[18:19]
	s_cbranch_execz .LBB641_542
; %bb.539:                              ;   in Loop: Header=BB641_213 Depth=1
	v_bfe_u32 v46, v42, 16, 7
	v_cmp_ne_u32_e32 vcc, s21, v46
	v_mov_b32_e32 v52, 0x7f800001
	s_and_saveexec_b64 s[18:19], vcc
	s_cbranch_execz .LBB641_541
; %bb.540:                              ;   in Loop: Header=BB641_213 Depth=1
	v_and_b32_e32 v52, 7, v44
	v_ffbh_u32_e32 v62, v52
	v_min_u32_e32 v65, 32, v62
	v_subrev_u32_e32 v62, 28, v65
	v_lshlrev_b64 v[62:63], v62, v[44:45]
	v_lshrrev_b32_e32 v64, 3, v46
	v_sub_u32_e32 v63, 29, v65
	v_and_b32_e32 v62, 7, v62
	v_cmp_gt_u32_e32 vcc, 8, v46
	v_cndmask_b32_e32 v46, v64, v63, vcc
	v_cndmask_b32_e32 v52, v52, v62, vcc
	v_lshlrev_b32_e32 v44, 24, v44
	v_lshlrev_b32_e32 v52, 20, v52
	v_and_b32_e32 v44, 0x80000000, v44
	v_lshl_add_u32 v46, v46, 23, v45
	v_or3_b32 v52, v44, v46, v52
.LBB641_541:                            ;   in Loop: Header=BB641_213 Depth=1
	s_or_b64 exec, exec, s[18:19]
.LBB641_542:                            ;   in Loop: Header=BB641_213 Depth=1
	s_or_b64 exec, exec, s[16:17]
.LBB641_543:                            ;   in Loop: Header=BB641_213 Depth=1
	s_or_b64 exec, exec, s[14:15]
	v_cmp_lt_u32_e32 vcc, s22, v42
	v_mov_b32_e32 v46, 0
	v_mov_b32_e32 v62, 0
	s_and_saveexec_b64 s[14:15], vcc
	s_cbranch_execz .LBB641_549
; %bb.544:                              ;   in Loop: Header=BB641_213 Depth=1
	v_lshrrev_b32_e32 v44, 24, v42
	v_cmp_ne_u32_e32 vcc, s9, v44
	v_bfrev_b32_e32 v62, 1
	s_and_saveexec_b64 s[16:17], vcc
	s_cbranch_execz .LBB641_548
; %bb.545:                              ;   in Loop: Header=BB641_213 Depth=1
	v_bfe_u32 v42, v42, 24, 7
	v_cmp_ne_u32_e32 vcc, s21, v42
	v_mov_b32_e32 v62, 0x7f800001
	s_and_saveexec_b64 s[18:19], vcc
	s_cbranch_execz .LBB641_547
; %bb.546:                              ;   in Loop: Header=BB641_213 Depth=1
	v_and_b32_e32 v64, 7, v44
	v_ffbh_u32_e32 v62, v64
	v_min_u32_e32 v66, 32, v62
	v_subrev_u32_e32 v62, 28, v66
	v_lshlrev_b64 v[62:63], v62, v[44:45]
	v_lshrrev_b32_e32 v65, 3, v42
	v_sub_u32_e32 v63, 29, v66
	v_and_b32_e32 v62, 7, v62
	v_cmp_gt_u32_e32 vcc, 8, v42
	v_cndmask_b32_e32 v42, v65, v63, vcc
	v_cndmask_b32_e32 v62, v64, v62, vcc
	v_lshlrev_b32_e32 v44, 24, v44
	v_lshlrev_b32_e32 v62, 20, v62
	v_and_b32_e32 v44, 0x80000000, v44
	v_lshl_add_u32 v42, v42, 23, v45
	v_or3_b32 v62, v44, v42, v62
.LBB641_547:                            ;   in Loop: Header=BB641_213 Depth=1
	s_or_b64 exec, exec, s[18:19]
.LBB641_548:                            ;   in Loop: Header=BB641_213 Depth=1
	s_or_b64 exec, exec, s[16:17]
.LBB641_549:                            ;   in Loop: Header=BB641_213 Depth=1
	s_or_b64 exec, exec, s[14:15]
	v_cvt_pkrtz_f16_f32 v64, v47, v49
	v_cvt_pkrtz_f16_f32 v65, v48, v51
	;; [unrolled: 1-line block ×4, first 2 shown]
	s_waitcnt vmcnt(1)
	v_cmp_ne_u16_sdwa s[16:17], v40, v43 src0_sel:BYTE_0 src1_sel:DWORD
	v_mfma_f32_16x16x16f16 v[34:37], v[64:65], v[26:27], v[34:37]
	v_mfma_f32_16x16x16f16 v[34:37], v[48:49], v[28:29], v[34:37]
	s_and_saveexec_b64 s[14:15], s[16:17]
	s_cbranch_execz .LBB641_555
; %bb.550:                              ;   in Loop: Header=BB641_213 Depth=1
	v_cmp_ne_u16_sdwa s[18:19], v40, s9 src0_sel:BYTE_0 src1_sel:DWORD
	v_bfrev_b32_e32 v46, 1
	s_and_saveexec_b64 s[16:17], s[18:19]
	s_cbranch_execz .LBB641_554
; %bb.551:                              ;   in Loop: Header=BB641_213 Depth=1
	v_and_b32_e32 v42, 0x7f, v40
	v_cmp_ne_u32_e32 vcc, s21, v42
	v_mov_b32_e32 v46, 0x7f800001
	s_and_saveexec_b64 s[18:19], vcc
	s_cbranch_execz .LBB641_553
; %bb.552:                              ;   in Loop: Header=BB641_213 Depth=1
	v_and_b32_e32 v44, 7, v40
	v_ffbh_u32_e32 v46, v44
	v_min_u32_e32 v49, 32, v46
	v_subrev_u32_e32 v46, 28, v49
	v_lshlrev_b64 v[46:47], v46, v[40:41]
	v_lshrrev_b32_e32 v48, 3, v42
	v_sub_u32_e32 v47, 29, v49
	v_and_b32_e32 v46, 7, v46
	v_cmp_gt_u32_e32 vcc, 8, v42
	v_cndmask_b32_e32 v42, v48, v47, vcc
	v_cndmask_b32_e32 v44, v44, v46, vcc
	v_lshlrev_b32_e32 v46, 24, v40
	v_lshlrev_b32_e32 v44, 20, v44
	v_and_b32_e32 v46, 0x80000000, v46
	v_lshl_add_u32 v42, v42, 23, v45
	v_or3_b32 v46, v46, v42, v44
.LBB641_553:                            ;   in Loop: Header=BB641_213 Depth=1
	s_or_b64 exec, exec, s[18:19]
.LBB641_554:                            ;   in Loop: Header=BB641_213 Depth=1
	s_or_b64 exec, exec, s[16:17]
.LBB641_555:                            ;   in Loop: Header=BB641_213 Depth=1
	s_or_b64 exec, exec, s[14:15]
	v_lshrrev_b16_e32 v42, 8, v40
	v_cmp_ne_u16_e32 vcc, 0, v42
	v_mov_b32_e32 v44, 0
	v_mov_b32_e32 v47, 0
	s_and_saveexec_b64 s[14:15], vcc
	s_cbranch_execz .LBB641_561
; %bb.556:                              ;   in Loop: Header=BB641_213 Depth=1
	v_cmp_ne_u16_e32 vcc, s9, v42
	v_bfrev_b32_e32 v47, 1
	s_and_saveexec_b64 s[16:17], vcc
	s_cbranch_execz .LBB641_560
; %bb.557:                              ;   in Loop: Header=BB641_213 Depth=1
	v_and_b32_e32 v48, 0x7f, v42
	v_cmp_ne_u32_e32 vcc, s21, v48
	v_mov_b32_e32 v47, 0x7f800001
	s_and_saveexec_b64 s[18:19], vcc
	s_cbranch_execz .LBB641_559
; %bb.558:                              ;   in Loop: Header=BB641_213 Depth=1
	v_and_b32_e32 v47, 7, v42
	v_ffbh_u32_e32 v50, v47
	v_min_u32_e32 v52, 32, v50
	v_subrev_u32_e32 v50, 28, v52
	v_lshlrev_b64 v[50:51], v50, v[42:43]
	v_lshrrev_b32_e32 v49, 3, v48
	v_sub_u32_e32 v42, 29, v52
	v_and_b32_e32 v50, 7, v50
	v_cmp_gt_u32_e32 vcc, 8, v48
	v_cndmask_b32_e32 v42, v49, v42, vcc
	v_cndmask_b32_e32 v47, v47, v50, vcc
	v_lshlrev_b32_e32 v48, 16, v40
	v_lshlrev_b32_e32 v47, 20, v47
	v_and_b32_e32 v48, 0x80000000, v48
	v_lshl_add_u32 v42, v42, 23, v45
	v_or3_b32 v47, v48, v42, v47
.LBB641_559:                            ;   in Loop: Header=BB641_213 Depth=1
	s_or_b64 exec, exec, s[18:19]
.LBB641_560:                            ;   in Loop: Header=BB641_213 Depth=1
	s_or_b64 exec, exec, s[16:17]
.LBB641_561:                            ;   in Loop: Header=BB641_213 Depth=1
	s_or_b64 exec, exec, s[14:15]
	v_lshrrev_b32_e32 v42, 16, v40
	v_cmp_ne_u16_sdwa s[16:17], v42, v43 src0_sel:BYTE_0 src1_sel:DWORD
	s_and_saveexec_b64 s[14:15], s[16:17]
	s_cbranch_execz .LBB641_567
; %bb.562:                              ;   in Loop: Header=BB641_213 Depth=1
	v_cmp_ne_u16_sdwa s[18:19], v42, s9 src0_sel:BYTE_0 src1_sel:DWORD
	v_bfrev_b32_e32 v44, 1
	s_and_saveexec_b64 s[16:17], s[18:19]
	s_cbranch_execz .LBB641_566
; %bb.563:                              ;   in Loop: Header=BB641_213 Depth=1
	v_bfe_u32 v48, v40, 16, 7
	v_cmp_ne_u32_e32 vcc, s21, v48
	v_mov_b32_e32 v44, 0x7f800001
	s_and_saveexec_b64 s[18:19], vcc
	s_cbranch_execz .LBB641_565
; %bb.564:                              ;   in Loop: Header=BB641_213 Depth=1
	v_and_b32_e32 v44, 7, v42
	v_ffbh_u32_e32 v50, v44
	v_min_u32_e32 v52, 32, v50
	v_subrev_u32_e32 v50, 28, v52
	v_lshlrev_b64 v[50:51], v50, v[42:43]
	v_lshrrev_b32_e32 v49, 3, v48
	v_sub_u32_e32 v51, 29, v52
	v_and_b32_e32 v50, 7, v50
	v_cmp_gt_u32_e32 vcc, 8, v48
	v_cndmask_b32_e32 v48, v49, v51, vcc
	v_cndmask_b32_e32 v44, v44, v50, vcc
	v_lshlrev_b32_e32 v42, 24, v42
	v_lshlrev_b32_e32 v44, 20, v44
	v_and_b32_e32 v42, 0x80000000, v42
	v_lshl_add_u32 v48, v48, 23, v45
	v_or3_b32 v44, v42, v48, v44
.LBB641_565:                            ;   in Loop: Header=BB641_213 Depth=1
	s_or_b64 exec, exec, s[18:19]
.LBB641_566:                            ;   in Loop: Header=BB641_213 Depth=1
	s_or_b64 exec, exec, s[16:17]
.LBB641_567:                            ;   in Loop: Header=BB641_213 Depth=1
	s_or_b64 exec, exec, s[14:15]
	v_cmp_lt_u32_e32 vcc, s22, v40
	v_mov_b32_e32 v48, 0
	v_mov_b32_e32 v49, 0
	s_and_saveexec_b64 s[14:15], vcc
	s_cbranch_execz .LBB641_573
; %bb.568:                              ;   in Loop: Header=BB641_213 Depth=1
	v_lshrrev_b32_e32 v42, 24, v40
	v_cmp_ne_u32_e32 vcc, s9, v42
	v_bfrev_b32_e32 v49, 1
	s_and_saveexec_b64 s[16:17], vcc
	s_cbranch_execz .LBB641_572
; %bb.569:                              ;   in Loop: Header=BB641_213 Depth=1
	v_bfe_u32 v40, v40, 24, 7
	v_cmp_ne_u32_e32 vcc, s21, v40
	v_mov_b32_e32 v49, 0x7f800001
	s_and_saveexec_b64 s[18:19], vcc
	s_cbranch_execz .LBB641_571
; %bb.570:                              ;   in Loop: Header=BB641_213 Depth=1
	v_and_b32_e32 v49, 7, v42
	v_ffbh_u32_e32 v50, v49
	v_min_u32_e32 v53, 32, v50
	v_subrev_u32_e32 v50, 28, v53
	v_lshlrev_b64 v[50:51], v50, v[42:43]
	v_lshrrev_b32_e32 v52, 3, v40
	v_sub_u32_e32 v51, 29, v53
	v_and_b32_e32 v50, 7, v50
	v_cmp_gt_u32_e32 vcc, 8, v40
	v_cndmask_b32_e32 v40, v52, v51, vcc
	v_cndmask_b32_e32 v49, v49, v50, vcc
	v_lshlrev_b32_e32 v42, 24, v42
	v_lshlrev_b32_e32 v49, 20, v49
	v_and_b32_e32 v42, 0x80000000, v42
	v_lshl_add_u32 v40, v40, 23, v45
	v_or3_b32 v49, v42, v40, v49
.LBB641_571:                            ;   in Loop: Header=BB641_213 Depth=1
	s_or_b64 exec, exec, s[18:19]
.LBB641_572:                            ;   in Loop: Header=BB641_213 Depth=1
	s_or_b64 exec, exec, s[16:17]
.LBB641_573:                            ;   in Loop: Header=BB641_213 Depth=1
	s_or_b64 exec, exec, s[14:15]
	s_waitcnt vmcnt(0)
	v_cmp_ne_u16_sdwa s[16:17], v38, v43 src0_sel:BYTE_0 src1_sel:DWORD
	s_and_saveexec_b64 s[14:15], s[16:17]
	s_cbranch_execz .LBB641_579
; %bb.574:                              ;   in Loop: Header=BB641_213 Depth=1
	v_cmp_ne_u16_sdwa s[18:19], v38, s9 src0_sel:BYTE_0 src1_sel:DWORD
	v_bfrev_b32_e32 v48, 1
	s_and_saveexec_b64 s[16:17], s[18:19]
	s_cbranch_execz .LBB641_578
; %bb.575:                              ;   in Loop: Header=BB641_213 Depth=1
	v_and_b32_e32 v40, 0x7f, v38
	v_cmp_ne_u32_e32 vcc, s21, v40
	v_mov_b32_e32 v48, 0x7f800001
	s_and_saveexec_b64 s[18:19], vcc
	s_cbranch_execz .LBB641_577
; %bb.576:                              ;   in Loop: Header=BB641_213 Depth=1
	v_and_b32_e32 v42, 7, v38
	v_ffbh_u32_e32 v50, v42
	v_min_u32_e32 v52, 32, v50
	v_subrev_u32_e32 v50, 28, v52
	v_lshlrev_b64 v[50:51], v50, v[38:39]
	v_lshrrev_b32_e32 v48, 3, v40
	v_sub_u32_e32 v51, 29, v52
	v_and_b32_e32 v50, 7, v50
	v_cmp_gt_u32_e32 vcc, 8, v40
	v_cndmask_b32_e32 v40, v48, v51, vcc
	v_cndmask_b32_e32 v42, v42, v50, vcc
	v_lshlrev_b32_e32 v48, 24, v38
	v_lshlrev_b32_e32 v42, 20, v42
	v_and_b32_e32 v48, 0x80000000, v48
	v_lshl_add_u32 v40, v40, 23, v45
	v_or3_b32 v48, v48, v40, v42
.LBB641_577:                            ;   in Loop: Header=BB641_213 Depth=1
	s_or_b64 exec, exec, s[18:19]
.LBB641_578:                            ;   in Loop: Header=BB641_213 Depth=1
	s_or_b64 exec, exec, s[16:17]
.LBB641_579:                            ;   in Loop: Header=BB641_213 Depth=1
	s_or_b64 exec, exec, s[14:15]
	v_lshrrev_b16_e32 v40, 8, v38
	v_cmp_ne_u16_e32 vcc, 0, v40
	v_mov_b32_e32 v42, 0
	v_mov_b32_e32 v50, 0
	s_and_saveexec_b64 s[14:15], vcc
	s_cbranch_execz .LBB641_585
; %bb.580:                              ;   in Loop: Header=BB641_213 Depth=1
	v_cmp_ne_u16_e32 vcc, s9, v40
	v_bfrev_b32_e32 v50, 1
	s_and_saveexec_b64 s[16:17], vcc
	s_cbranch_execz .LBB641_584
; %bb.581:                              ;   in Loop: Header=BB641_213 Depth=1
	v_and_b32_e32 v51, 0x7f, v40
	v_cmp_ne_u32_e32 vcc, s21, v51
	v_mov_b32_e32 v50, 0x7f800001
	s_and_saveexec_b64 s[18:19], vcc
	s_cbranch_execz .LBB641_583
; %bb.582:                              ;   in Loop: Header=BB641_213 Depth=1
	v_and_b32_e32 v50, 7, v40
	v_ffbh_u32_e32 v52, v50
	v_min_u32_e32 v63, 32, v52
	v_subrev_u32_e32 v52, 28, v63
	v_lshlrev_b64 v[52:53], v52, v[40:41]
	v_lshrrev_b32_e32 v62, 3, v51
	v_sub_u32_e32 v40, 29, v63
	v_and_b32_e32 v52, 7, v52
	v_cmp_gt_u32_e32 vcc, 8, v51
	v_cndmask_b32_e32 v40, v62, v40, vcc
	v_cndmask_b32_e32 v50, v50, v52, vcc
	v_lshlrev_b32_e32 v51, 16, v38
	v_lshlrev_b32_e32 v50, 20, v50
	v_and_b32_e32 v51, 0x80000000, v51
	v_lshl_add_u32 v40, v40, 23, v45
	v_or3_b32 v50, v51, v40, v50
.LBB641_583:                            ;   in Loop: Header=BB641_213 Depth=1
	s_or_b64 exec, exec, s[18:19]
.LBB641_584:                            ;   in Loop: Header=BB641_213 Depth=1
	s_or_b64 exec, exec, s[16:17]
.LBB641_585:                            ;   in Loop: Header=BB641_213 Depth=1
	s_or_b64 exec, exec, s[14:15]
	v_lshrrev_b32_e32 v40, 16, v38
	v_cmp_ne_u16_sdwa s[16:17], v40, v43 src0_sel:BYTE_0 src1_sel:DWORD
	s_and_saveexec_b64 s[14:15], s[16:17]
	s_cbranch_execz .LBB641_591
; %bb.586:                              ;   in Loop: Header=BB641_213 Depth=1
	v_cmp_ne_u16_sdwa s[18:19], v40, s9 src0_sel:BYTE_0 src1_sel:DWORD
	v_bfrev_b32_e32 v42, 1
	s_and_saveexec_b64 s[16:17], s[18:19]
	s_cbranch_execz .LBB641_590
; %bb.587:                              ;   in Loop: Header=BB641_213 Depth=1
	v_bfe_u32 v51, v38, 16, 7
	v_cmp_ne_u32_e32 vcc, s21, v51
	v_mov_b32_e32 v42, 0x7f800001
	s_and_saveexec_b64 s[18:19], vcc
	s_cbranch_execz .LBB641_589
; %bb.588:                              ;   in Loop: Header=BB641_213 Depth=1
	v_and_b32_e32 v42, 7, v40
	v_ffbh_u32_e32 v52, v42
	v_min_u32_e32 v63, 32, v52
	v_subrev_u32_e32 v52, 28, v63
	v_lshlrev_b64 v[52:53], v52, v[40:41]
	v_lshrrev_b32_e32 v62, 3, v51
	v_sub_u32_e32 v53, 29, v63
	v_and_b32_e32 v52, 7, v52
	v_cmp_gt_u32_e32 vcc, 8, v51
	v_cndmask_b32_e32 v51, v62, v53, vcc
	v_cndmask_b32_e32 v42, v42, v52, vcc
	v_lshlrev_b32_e32 v40, 24, v40
	v_lshlrev_b32_e32 v42, 20, v42
	v_and_b32_e32 v40, 0x80000000, v40
	v_lshl_add_u32 v51, v51, 23, v45
	v_or3_b32 v42, v40, v51, v42
.LBB641_589:                            ;   in Loop: Header=BB641_213 Depth=1
	s_or_b64 exec, exec, s[18:19]
.LBB641_590:                            ;   in Loop: Header=BB641_213 Depth=1
	s_or_b64 exec, exec, s[16:17]
.LBB641_591:                            ;   in Loop: Header=BB641_213 Depth=1
	s_or_b64 exec, exec, s[14:15]
	v_cmp_lt_u32_e32 vcc, s22, v38
	v_mov_b32_e32 v51, 0
	s_and_saveexec_b64 s[14:15], vcc
	s_cbranch_execz .LBB641_212
; %bb.592:                              ;   in Loop: Header=BB641_213 Depth=1
	v_lshrrev_b32_e32 v40, 24, v38
	v_cmp_ne_u32_e32 vcc, s9, v40
	v_bfrev_b32_e32 v51, 1
	s_and_saveexec_b64 s[16:17], vcc
	s_cbranch_execz .LBB641_211
; %bb.593:                              ;   in Loop: Header=BB641_213 Depth=1
	v_bfe_u32 v38, v38, 24, 7
	v_cmp_ne_u32_e32 vcc, s21, v38
	v_mov_b32_e32 v51, 0x7f800001
	s_and_saveexec_b64 s[18:19], vcc
	s_cbranch_execz .LBB641_210
; %bb.594:                              ;   in Loop: Header=BB641_213 Depth=1
	v_and_b32_e32 v51, 7, v40
	v_ffbh_u32_e32 v52, v51
	v_min_u32_e32 v63, 32, v52
	v_subrev_u32_e32 v52, 28, v63
	v_lshlrev_b64 v[52:53], v52, v[40:41]
	v_lshrrev_b32_e32 v62, 3, v38
	v_sub_u32_e32 v53, 29, v63
	v_and_b32_e32 v52, 7, v52
	v_cmp_gt_u32_e32 vcc, 8, v38
	v_cndmask_b32_e32 v38, v62, v53, vcc
	v_cndmask_b32_e32 v51, v51, v52, vcc
	v_lshlrev_b32_e32 v40, 24, v40
	v_lshlrev_b32_e32 v51, 20, v51
	v_and_b32_e32 v40, 0x80000000, v40
	v_lshl_add_u32 v38, v38, 23, v45
	v_or3_b32 v51, v40, v38, v51
	s_branch .LBB641_210
.LBB641_595:
	s_barrier
	buffer_load_dword v2, off, s[0:3], 0 offset:320
	buffer_load_dword v5, off, s[0:3], 0 offset:332
	;; [unrolled: 1-line block ×4, first 2 shown]
	s_waitcnt vmcnt(0)
	ds_write2st64_b64 v39, v[2:3], v[4:5] offset1:1
	s_waitcnt lgkmcnt(0)
	s_barrier
	s_and_saveexec_b64 s[4:5], s[6:7]
	s_cbranch_execz .LBB641_597
; %bb.596:
	s_lshl_b32 s6, s54, 7
	s_mul_i32 s4, s20, s8
	s_mul_hi_u32 s5, s4, s6
	s_mul_i32 s4, s4, s6
	s_lshl_b64 s[4:5], s[4:5], 1
	s_add_u32 s7, s52, s4
	v_lshlrev_b32_e32 v3, 6, v55
	s_addc_u32 s8, s53, s5
	s_lshl_b32 s4, s26, 7
	s_mov_b32 s5, 0
	v_lshl_or_b32 v0, v0, 10, v3
	s_lshl_b64 s[4:5], s[4:5], 1
	v_and_b32_e32 v2, 16, v57
	v_and_b32_e32 v0, 0x1a00, v0
	s_add_u32 s7, s7, s4
	v_or3_b32 v0, v0, v56, v2
	s_addc_u32 s8, s8, s5
	v_mad_u64_u32 v[6:7], s[4:5], s6, v54, 0
	ds_read_b128 v[2:5], v0
	v_lshlrev_b64 v[6:7], 1, v[6:7]
	v_mov_b32_e32 v0, s8
	v_add_co_u32_e32 v6, vcc, s7, v6
	v_addc_co_u32_e32 v7, vcc, v0, v7, vcc
	v_add_co_u32_e32 v0, vcc, v6, v1
	v_addc_co_u32_e32 v1, vcc, 0, v7, vcc
	s_waitcnt lgkmcnt(0)
	global_store_dwordx4 v[0:1], v[2:5], off
.LBB641_597:
	s_endpgm
	.section	.rodata,"a",@progbits
	.p2align	6, 0x0
	.amdhsa_kernel _Z39paged_attention_ll4mi_QKV_mfma16_kernelIDF16_hLN4vllm18Fp8KVCacheDataTypeE1EDF16_Li16ELi128ELi256ELb0ELi4EL8MFMAType0EEvPKT_PKT0_S8_ifPKiSA_SA_iPKfiiiPfSD_PS3_PT2_iSC_SC_
		.amdhsa_group_segment_fixed_size 8192
		.amdhsa_private_segment_fixed_size 352
		.amdhsa_kernarg_size 400
		.amdhsa_user_sgpr_count 8
		.amdhsa_user_sgpr_private_segment_buffer 1
		.amdhsa_user_sgpr_dispatch_ptr 0
		.amdhsa_user_sgpr_queue_ptr 0
		.amdhsa_user_sgpr_kernarg_segment_ptr 1
		.amdhsa_user_sgpr_dispatch_id 0
		.amdhsa_user_sgpr_flat_scratch_init 1
		.amdhsa_user_sgpr_kernarg_preload_length 0
		.amdhsa_user_sgpr_kernarg_preload_offset 0
		.amdhsa_user_sgpr_private_segment_size 0
		.amdhsa_uses_dynamic_stack 0
		.amdhsa_system_sgpr_private_segment_wavefront_offset 1
		.amdhsa_system_sgpr_workgroup_id_x 1
		.amdhsa_system_sgpr_workgroup_id_y 1
		.amdhsa_system_sgpr_workgroup_id_z 1
		.amdhsa_system_sgpr_workgroup_info 0
		.amdhsa_system_vgpr_workitem_id 0
		.amdhsa_next_free_vgpr 80
		.amdhsa_next_free_sgpr 56
		.amdhsa_accum_offset 80
		.amdhsa_reserve_vcc 1
		.amdhsa_reserve_flat_scratch 0
		.amdhsa_float_round_mode_32 0
		.amdhsa_float_round_mode_16_64 0
		.amdhsa_float_denorm_mode_32 3
		.amdhsa_float_denorm_mode_16_64 3
		.amdhsa_dx10_clamp 1
		.amdhsa_ieee_mode 1
		.amdhsa_fp16_overflow 0
		.amdhsa_tg_split 0
		.amdhsa_exception_fp_ieee_invalid_op 0
		.amdhsa_exception_fp_denorm_src 0
		.amdhsa_exception_fp_ieee_div_zero 0
		.amdhsa_exception_fp_ieee_overflow 0
		.amdhsa_exception_fp_ieee_underflow 0
		.amdhsa_exception_fp_ieee_inexact 0
		.amdhsa_exception_int_div_zero 0
	.end_amdhsa_kernel
	.section	.text._Z39paged_attention_ll4mi_QKV_mfma16_kernelIDF16_hLN4vllm18Fp8KVCacheDataTypeE1EDF16_Li16ELi128ELi256ELb0ELi4EL8MFMAType0EEvPKT_PKT0_S8_ifPKiSA_SA_iPKfiiiPfSD_PS3_PT2_iSC_SC_,"axG",@progbits,_Z39paged_attention_ll4mi_QKV_mfma16_kernelIDF16_hLN4vllm18Fp8KVCacheDataTypeE1EDF16_Li16ELi128ELi256ELb0ELi4EL8MFMAType0EEvPKT_PKT0_S8_ifPKiSA_SA_iPKfiiiPfSD_PS3_PT2_iSC_SC_,comdat
.Lfunc_end641:
	.size	_Z39paged_attention_ll4mi_QKV_mfma16_kernelIDF16_hLN4vllm18Fp8KVCacheDataTypeE1EDF16_Li16ELi128ELi256ELb0ELi4EL8MFMAType0EEvPKT_PKT0_S8_ifPKiSA_SA_iPKfiiiPfSD_PS3_PT2_iSC_SC_, .Lfunc_end641-_Z39paged_attention_ll4mi_QKV_mfma16_kernelIDF16_hLN4vllm18Fp8KVCacheDataTypeE1EDF16_Li16ELi128ELi256ELb0ELi4EL8MFMAType0EEvPKT_PKT0_S8_ifPKiSA_SA_iPKfiiiPfSD_PS3_PT2_iSC_SC_
                                        ; -- End function
	.section	.AMDGPU.csdata,"",@progbits
; Kernel info:
; codeLenInByte = 21056
; NumSgprs: 60
; NumVgprs: 80
; NumAgprs: 0
; TotalNumVgprs: 80
; ScratchSize: 352
; MemoryBound: 0
; FloatMode: 240
; IeeeMode: 1
; LDSByteSize: 8192 bytes/workgroup (compile time only)
; SGPRBlocks: 7
; VGPRBlocks: 9
; NumSGPRsForWavesPerEU: 60
; NumVGPRsForWavesPerEU: 80
; AccumOffset: 80
; Occupancy: 6
; WaveLimiterHint : 1
; COMPUTE_PGM_RSRC2:SCRATCH_EN: 1
; COMPUTE_PGM_RSRC2:USER_SGPR: 8
; COMPUTE_PGM_RSRC2:TRAP_HANDLER: 0
; COMPUTE_PGM_RSRC2:TGID_X_EN: 1
; COMPUTE_PGM_RSRC2:TGID_Y_EN: 1
; COMPUTE_PGM_RSRC2:TGID_Z_EN: 1
; COMPUTE_PGM_RSRC2:TIDIG_COMP_CNT: 0
; COMPUTE_PGM_RSRC3_GFX90A:ACCUM_OFFSET: 19
; COMPUTE_PGM_RSRC3_GFX90A:TG_SPLIT: 0
	.section	.text._Z39paged_attention_ll4mi_QKV_mfma16_kernelIDF16_hLN4vllm18Fp8KVCacheDataTypeE1EDF16_Li32ELi128ELi256ELb1ELi5EL8MFMAType0EEvPKT_PKT0_S8_ifPKiSA_SA_iPKfiiiPfSD_PS3_PT2_iSC_SC_,"axG",@progbits,_Z39paged_attention_ll4mi_QKV_mfma16_kernelIDF16_hLN4vllm18Fp8KVCacheDataTypeE1EDF16_Li32ELi128ELi256ELb1ELi5EL8MFMAType0EEvPKT_PKT0_S8_ifPKiSA_SA_iPKfiiiPfSD_PS3_PT2_iSC_SC_,comdat
	.protected	_Z39paged_attention_ll4mi_QKV_mfma16_kernelIDF16_hLN4vllm18Fp8KVCacheDataTypeE1EDF16_Li32ELi128ELi256ELb1ELi5EL8MFMAType0EEvPKT_PKT0_S8_ifPKiSA_SA_iPKfiiiPfSD_PS3_PT2_iSC_SC_ ; -- Begin function _Z39paged_attention_ll4mi_QKV_mfma16_kernelIDF16_hLN4vllm18Fp8KVCacheDataTypeE1EDF16_Li32ELi128ELi256ELb1ELi5EL8MFMAType0EEvPKT_PKT0_S8_ifPKiSA_SA_iPKfiiiPfSD_PS3_PT2_iSC_SC_
	.globl	_Z39paged_attention_ll4mi_QKV_mfma16_kernelIDF16_hLN4vllm18Fp8KVCacheDataTypeE1EDF16_Li32ELi128ELi256ELb1ELi5EL8MFMAType0EEvPKT_PKT0_S8_ifPKiSA_SA_iPKfiiiPfSD_PS3_PT2_iSC_SC_
	.p2align	8
	.type	_Z39paged_attention_ll4mi_QKV_mfma16_kernelIDF16_hLN4vllm18Fp8KVCacheDataTypeE1EDF16_Li32ELi128ELi256ELb1ELi5EL8MFMAType0EEvPKT_PKT0_S8_ifPKiSA_SA_iPKfiiiPfSD_PS3_PT2_iSC_SC_,@function
_Z39paged_attention_ll4mi_QKV_mfma16_kernelIDF16_hLN4vllm18Fp8KVCacheDataTypeE1EDF16_Li32ELi128ELi256ELb1ELi5EL8MFMAType0EEvPKT_PKT0_S8_ifPKiSA_SA_iPKfiiiPfSD_PS3_PT2_iSC_SC_: ; @_Z39paged_attention_ll4mi_QKV_mfma16_kernelIDF16_hLN4vllm18Fp8KVCacheDataTypeE1EDF16_Li32ELi128ELi256ELb1ELi5EL8MFMAType0EEvPKT_PKT0_S8_ifPKiSA_SA_iPKfiiiPfSD_PS3_PT2_iSC_SC_
; %bb.0:
	s_load_dwordx2 s[6:7], s[4:5], 0x30
	s_add_u32 s0, s0, s11
	s_addc_u32 s1, s1, 0
	s_mov_b32 s26, s9
	s_mov_b64 s[14:15], 0
	s_waitcnt lgkmcnt(0)
	s_cmp_lg_u64 s[6:7], 0
	s_cselect_b64 s[12:13], -1, 0
	s_and_b64 vcc, exec, s[12:13]
	s_cbranch_vccz .LBB642_7
; %bb.1:
	s_add_i32 s16, s8, 1
	s_mov_b32 s17, 0
	s_lshl_b64 s[18:19], s[16:17], 2
	s_add_u32 s18, s6, s18
	s_mov_b32 s9, s17
	s_addc_u32 s19, s7, s19
	s_lshl_b64 s[16:17], s[8:9], 2
	s_add_u32 s16, s6, s16
	s_addc_u32 s17, s7, s17
	s_load_dword s11, s[18:19], 0x0
	s_load_dword s20, s[16:17], 0x0
	s_waitcnt lgkmcnt(0)
	s_sub_i32 s11, s11, s20
	s_cmp_eq_u32 s11, 1
	s_cselect_b64 s[16:17], -1, 0
	s_andn2_b64 vcc, exec, s[14:15]
	s_cbranch_vccnz .LBB642_3
.LBB642_2:
	s_mov_b32 s9, 0
	s_mov_b64 s[16:17], -1
.LBB642_3:
	s_andn2_b64 vcc, exec, s[16:17]
	s_cbranch_vccnz .LBB642_600
; %bb.4:
	s_load_dwordx2 s[16:17], s[4:5], 0x28
	s_lshl_b64 s[14:15], s[8:9], 2
	s_waitcnt lgkmcnt(0)
	s_add_u32 s16, s16, s14
	s_addc_u32 s17, s17, s15
	s_load_dword s33, s[16:17], 0x0
	s_lshl_b32 s20, s26, 8
	s_waitcnt lgkmcnt(0)
	s_cmp_ge_i32 s20, s33
	s_cbranch_scc1 .LBB642_600
; %bb.5:
	s_add_i32 s18, s33, 31
	s_load_dwordx2 s[16:17], s[4:5], 0x20
	s_load_dword s11, s[4:5], 0x38
	s_ashr_i32 s19, s18, 31
	v_and_b32_e32 v1, 0xcf, v0
	s_lshr_b32 s19, s19, 27
	v_add_u32_e32 v1, s20, v1
	s_add_i32 s18, s18, s19
	v_ashrrev_i32_e32 v2, 31, v1
	s_ashr_i32 s23, s18, 5
	v_lshrrev_b32_e32 v4, 27, v2
	s_add_i32 s23, s23, -1
	v_add_u32_e32 v2, v1, v4
	s_waitcnt lgkmcnt(0)
	s_mul_i32 s18, s8, s11
	s_mov_b32 s19, 0
	v_ashrrev_i32_e32 v2, 5, v2
	v_mov_b32_e32 v5, s23
	v_cmp_gt_i32_e32 vcc, s33, v1
	s_lshl_b64 s[18:19], s[18:19], 2
	v_cndmask_b32_e32 v2, v5, v2, vcc
	s_add_u32 s21, s16, s18
	v_ashrrev_i32_e32 v3, 31, v2
	s_addc_u32 s22, s17, s19
	v_lshlrev_b64 v[2:3], 2, v[2:3]
	v_mov_b32_e32 v7, s22
	v_add_co_u32_e32 v6, vcc, s21, v2
	v_or_b32_e32 v2, 16, v1
	v_addc_co_u32_e32 v7, vcc, v7, v3, vcc
	v_add_u32_e32 v3, v2, v4
	v_ashrrev_i32_e32 v3, 5, v3
	v_cmp_gt_i32_e32 vcc, s33, v2
	v_cndmask_b32_e32 v2, v5, v3, vcc
	v_ashrrev_i32_e32 v3, 31, v2
	v_lshlrev_b64 v[2:3], 2, v[2:3]
	v_mov_b32_e32 v9, s22
	v_add_co_u32_e32 v8, vcc, s21, v2
	v_or_b32_e32 v2, 32, v1
	v_addc_co_u32_e32 v9, vcc, v9, v3, vcc
	v_add_u32_e32 v3, v2, v4
	v_ashrrev_i32_e32 v3, 5, v3
	v_cmp_gt_i32_e32 vcc, s33, v2
	v_cndmask_b32_e32 v2, v5, v3, vcc
	v_ashrrev_i32_e32 v3, 31, v2
	;; [unrolled: 10-line block ×3, first 2 shown]
	v_lshlrev_b64 v[2:3], 2, v[2:3]
	v_mov_b32_e32 v1, s22
	v_add_co_u32_e32 v12, vcc, s21, v2
	v_addc_co_u32_e32 v13, vcc, v1, v3, vcc
	global_load_dword v5, v[6:7], off
	global_load_dword v4, v[8:9], off
	;; [unrolled: 1-line block ×4, first 2 shown]
	s_load_dwordx2 s[16:17], s[4:5], 0x8
	s_andn2_b64 vcc, exec, s[12:13]
	s_cbranch_vccnz .LBB642_8
; %bb.6:
	s_add_u32 s6, s6, s14
	s_addc_u32 s7, s7, s15
	s_load_dword s11, s[6:7], 0x0
	s_branch .LBB642_9
.LBB642_7:
	s_mov_b64 s[16:17], 0
	s_branch .LBB642_2
.LBB642_8:
	s_mov_b32 s11, s8
.LBB642_9:
	s_load_dwordx2 s[6:7], s[4:5], 0x10
	s_load_dwordx4 s[12:15], s[4:5], 0x48
	v_lshrrev_b32_e32 v27, 6, v0
	v_bfe_u32 v1, v0, 4, 2
	v_and_b32_e32 v41, 15, v0
	v_lshl_or_b32 v6, v27, 2, v1
	v_lshlrev_b32_e32 v7, 3, v41
	s_mul_i32 s27, s10, 5
	v_cmp_gt_u32_e32 vcc, 5, v6
	v_lshlrev_b32_e32 v39, 1, v7
	v_lshlrev_b32_e32 v43, 4, v0
	s_and_saveexec_b64 s[18:19], vcc
	s_cbranch_execz .LBB642_11
; %bb.10:
	s_load_dwordx2 s[24:25], s[4:5], 0x0
	s_waitcnt lgkmcnt(0)
	s_ashr_i32 s15, s12, 31
	s_mul_hi_u32 s28, s11, s12
	s_mul_i32 s15, s11, s15
	s_add_i32 s29, s28, s15
	s_mul_i32 s28, s11, s12
	s_lshl_b64 s[28:29], s[28:29], 1
	v_add_lshl_u32 v8, v6, s27, 7
	s_add_u32 s11, s24, s28
	v_ashrrev_i32_e32 v9, 31, v8
	s_addc_u32 s12, s25, s29
	v_lshlrev_b64 v[8:9], 1, v[8:9]
	v_mov_b32_e32 v7, s12
	v_add_co_u32_e32 v8, vcc, s11, v8
	v_addc_co_u32_e32 v7, vcc, v7, v9, vcc
	v_add_co_u32_e32 v8, vcc, v8, v39
	v_addc_co_u32_e32 v9, vcc, 0, v7, vcc
	global_load_dwordx4 v[8:11], v[8:9], off
	v_lshlrev_b32_e32 v12, 8, v0
	v_lshlrev_b32_e32 v7, 8, v41
	v_and_b32_e32 v12, 0x600, v12
	s_movk_i32 s11, 0x800
	v_and_or_b32 v7, v7, s11, v12
	v_lshlrev_b32_e32 v6, 5, v6
	v_and_b32_e32 v12, 16, v43
	v_or3_b32 v6, v7, v6, v12
	s_waitcnt vmcnt(0)
	ds_write_b128 v6, v[8:11]
.LBB642_11:
	s_or_b64 exec, exec, s[18:19]
	s_waitcnt lgkmcnt(0)
	s_mul_i32 s14, s10, s14
	s_add_u32 s10, s16, s14
	s_addc_u32 s11, s17, 0
	v_pk_mov_b32 v[6:7], s[10:11], s[10:11] op_sel:[0,1]
	s_waitcnt vmcnt(3)
	v_mad_i64_i32 v[8:9], s[10:11], v5, s13, v[6:7]
	v_lshlrev_b32_e32 v11, 4, v41
	v_and_b32_e32 v18, 48, v0
	v_add_co_u32_e32 v5, vcc, v8, v11
	v_lshlrev_b32_e32 v10, 5, v18
	v_addc_co_u32_e32 v9, vcc, 0, v9, vcc
	v_add_co_u32_e32 v8, vcc, v5, v10
	v_addc_co_u32_e32 v9, vcc, 0, v9, vcc
	s_load_dwordx2 s[48:49], s[4:5], 0x94
	s_waitcnt lgkmcnt(0)
	s_barrier
	global_load_dwordx4 v[20:23], v[8:9], off
	global_load_dwordx4 v[28:31], v[8:9], off offset:2048
	s_waitcnt vmcnt(4)
	v_mad_i64_i32 v[4:5], s[10:11], v4, s13, v[6:7]
	v_or_b32_e32 v8, 0x100, v11
	v_add_co_u32_e32 v4, vcc, v4, v8
	v_addc_co_u32_e32 v5, vcc, 0, v5, vcc
	v_add_co_u32_e32 v4, vcc, v4, v10
	v_addc_co_u32_e32 v5, vcc, 0, v5, vcc
	global_load_dwordx4 v[32:35], v[4:5], off
	global_load_dwordx4 v[44:47], v[4:5], off offset:2048
	s_waitcnt vmcnt(5)
	v_mad_i64_i32 v[4:5], s[10:11], v3, s13, v[6:7]
	v_add_co_u32_e32 v3, vcc, v4, v11
	v_addc_co_u32_e32 v5, vcc, 0, v5, vcc
	v_add_co_u32_e32 v4, vcc, v3, v10
	v_addc_co_u32_e32 v5, vcc, 0, v5, vcc
	s_waitcnt vmcnt(4)
	v_mad_i64_i32 v[2:3], s[10:11], v2, s13, v[6:7]
	v_add_co_u32_e32 v2, vcc, v2, v8
	v_addc_co_u32_e32 v3, vcc, 0, v3, vcc
	v_add_co_u32_e32 v2, vcc, v2, v10
	v_addc_co_u32_e32 v3, vcc, 0, v3, vcc
	global_load_dwordx4 v[48:51], v[4:5], off
	global_load_dwordx4 v[52:55], v[4:5], off offset:2048
	global_load_dwordx4 v[56:59], v[2:3], off
	global_load_dwordx4 v[60:63], v[2:3], off offset:2048
	v_mul_lo_u16_e32 v2, 52, v41
	v_mov_b32_e32 v3, 5
	v_mul_lo_u16_sdwa v2, v2, v3 dst_sel:DWORD dst_unused:UNUSED_PAD src0_sel:BYTE_1 src1_sel:DWORD
	v_sub_u16_e32 v2, v41, v2
	v_lshlrev_b32_sdwa v2, v3, v2 dst_sel:DWORD dst_unused:UNUSED_PAD src0_sel:DWORD src1_sel:BYTE_0
	v_lshl_add_u32 v14, v1, 9, v2
	s_load_dwordx2 s[50:51], s[4:5], 0x68
	s_load_dwordx4 s[44:47], s[4:5], 0x58
	ds_read_b128 v[2:5], v14
	ds_read_b128 v[6:9], v14 offset:16
	ds_read_b128 v[10:13], v14 offset:2048
	;; [unrolled: 1-line block ×3, first 2 shown]
	s_mov_b32 s12, 0
	v_cmp_gt_u32_e32 vcc, 5, v41
	s_waitcnt vmcnt(7)
	buffer_store_dword v23, off, s[0:3], 0 offset:12
	buffer_store_dword v22, off, s[0:3], 0 offset:8
	;; [unrolled: 1-line block ×3, first 2 shown]
	buffer_store_dword v20, off, s[0:3], 0
	s_waitcnt vmcnt(10)
	buffer_store_dword v31, off, s[0:3], 0 offset:28
	buffer_store_dword v30, off, s[0:3], 0 offset:24
	buffer_store_dword v29, off, s[0:3], 0 offset:20
	buffer_store_dword v28, off, s[0:3], 0 offset:16
	s_waitcnt vmcnt(13)
	buffer_store_dword v35, off, s[0:3], 0 offset:44
	buffer_store_dword v34, off, s[0:3], 0 offset:40
	buffer_store_dword v33, off, s[0:3], 0 offset:36
	buffer_store_dword v32, off, s[0:3], 0 offset:32
	;; [unrolled: 5-line block ×7, first 2 shown]
	v_mov_b32_e32 v35, 0
	v_mov_b32_e32 v31, 0
	s_and_saveexec_b64 s[10:11], vcc
	s_cbranch_execz .LBB642_13
; %bb.12:
	s_load_dwordx2 s[16:17], s[4:5], 0x40
	v_add_u32_e32 v20, s27, v41
	v_ashrrev_i32_e32 v21, 31, v20
	v_lshlrev_b64 v[20:21], 2, v[20:21]
	s_waitcnt lgkmcnt(0)
	v_mov_b32_e32 v19, s17
	v_add_co_u32_e32 v20, vcc, s16, v20
	v_addc_co_u32_e32 v21, vcc, v19, v21, vcc
	global_load_dword v31, v[20:21], off
.LBB642_13:
	s_or_b64 exec, exec, s[10:11]
	s_ashr_i32 s10, s20, 31
	v_or_b32_e32 v24, s20, v18
	s_lshr_b32 s10, s10, 27
	v_add_u32_e32 v18, s10, v24
	v_ashrrev_i32_e32 v18, 5, v18
	v_mov_b32_e32 v25, s23
	v_cmp_gt_i32_e32 vcc, s33, v24
	v_cndmask_b32_e32 v18, v25, v18, vcc
	v_ashrrev_i32_e32 v19, 31, v18
	v_lshlrev_b64 v[18:19], 2, v[18:19]
	v_mov_b32_e32 v20, s22
	v_add_co_u32_e32 v18, vcc, s21, v18
	v_addc_co_u32_e32 v19, vcc, v20, v19, vcc
	v_or_b32_e32 v20, 64, v24
	v_add_u32_e32 v21, s10, v20
	v_ashrrev_i32_e32 v21, 5, v21
	v_cmp_gt_i32_e32 vcc, s33, v20
	v_cndmask_b32_e32 v20, v25, v21, vcc
	v_ashrrev_i32_e32 v21, 31, v20
	v_lshlrev_b64 v[20:21], 2, v[20:21]
	v_mov_b32_e32 v22, s22
	v_add_co_u32_e32 v20, vcc, s21, v20
	v_addc_co_u32_e32 v21, vcc, v22, v21, vcc
	v_or_b32_e32 v22, 0x80, v24
	v_add_u32_e32 v23, s10, v22
	v_ashrrev_i32_e32 v23, 5, v23
	v_cmp_gt_i32_e32 vcc, s33, v22
	v_cndmask_b32_e32 v22, v25, v23, vcc
	v_ashrrev_i32_e32 v23, 31, v22
	v_lshlrev_b64 v[22:23], 2, v[22:23]
	v_mov_b32_e32 v26, s22
	v_add_co_u32_e32 v22, vcc, s21, v22
	v_addc_co_u32_e32 v23, vcc, v26, v23, vcc
	global_load_dword v26, v[18:19], off
	global_load_dword v28, v[20:21], off
	;; [unrolled: 1-line block ×3, first 2 shown]
	v_or_b32_e32 v18, 0xc0, v24
	v_add_u32_e32 v19, s10, v18
	v_ashrrev_i32_e32 v19, 5, v19
	v_cmp_gt_i32_e32 vcc, s33, v18
	v_cndmask_b32_e32 v18, v25, v19, vcc
	v_ashrrev_i32_e32 v19, 31, v18
	v_lshlrev_b64 v[18:19], 2, v[18:19]
	v_mov_b32_e32 v20, s22
	v_add_co_u32_e32 v18, vcc, s21, v18
	v_addc_co_u32_e32 v19, vcc, v20, v19, vcc
	global_load_dword v32, v[18:19], off
	s_add_u32 s6, s6, s14
	v_and_b32_e32 v18, 16, v0
	s_addc_u32 s7, s7, 0
	v_lshl_or_b32 v29, v27, 4, v41
	v_mov_b32_e32 v20, s7
	v_add_co_u32_e32 v34, vcc, s6, v18
	v_lshlrev_b32_e32 v19, 5, v29
	v_addc_co_u32_e32 v36, vcc, 0, v20, vcc
	v_add_co_u32_e32 v22, vcc, v34, v19
	v_addc_co_u32_e32 v23, vcc, 0, v36, vcc
	v_or_b32_e32 v33, 0x800, v19
	s_movk_i32 s14, 0x7f
	s_mov_b32 s15, 0xffffff
	v_mov_b32_e32 v37, 0x100
	v_bfrev_b32_e32 v38, 60
	s_waitcnt vmcnt(3)
	v_mad_i64_i32 v[18:19], s[6:7], v26, s13, v[22:23]
	s_waitcnt vmcnt(2)
	v_mad_i64_i32 v[24:25], s[6:7], v28, s13, v[22:23]
	global_load_dwordx4 v[18:21], v[18:19], off
	s_nop 0
	global_load_dwordx4 v[52:55], v[24:25], off
	s_waitcnt vmcnt(3)
	v_mad_i64_i32 v[24:25], s[6:7], v30, s13, v[22:23]
	s_waitcnt vmcnt(2)
	v_mad_i64_i32 v[22:23], s[6:7], v32, s13, v[22:23]
	global_load_dwordx4 v[56:59], v[24:25], off
	global_load_dwordx4 v[60:63], v[22:23], off
	v_add_co_u32_e32 v22, vcc, v34, v33
	v_addc_co_u32_e32 v23, vcc, 0, v36, vcc
	v_mad_i64_i32 v[24:25], s[6:7], v26, s13, v[22:23]
	global_load_dwordx4 v[64:67], v[24:25], off
	v_mad_i64_i32 v[24:25], s[6:7], v28, s13, v[22:23]
	global_load_dwordx4 v[68:71], v[24:25], off
	;; [unrolled: 2-line block ×4, first 2 shown]
	s_load_dword s6, s[4:5], 0x1c
	s_load_dwordx4 s[40:43], s[4:5], 0x80
	v_mov_b32_e32 v22, 0x80
	v_add_u32_e32 v45, 16, v22
	v_add_u32_e32 v46, 32, v22
	;; [unrolled: 1-line block ×3, first 2 shown]
	s_waitcnt lgkmcnt(0)
	s_load_dword s4, s[40:41], 0x0
	v_add_u32_e32 v51, 64, v22
	v_add_u32_e32 v48, 0x50, v22
	;; [unrolled: 1-line block ×4, first 2 shown]
	v_mov_b32_e32 v22, s6
	s_waitcnt lgkmcnt(0)
	v_mul_f32_e32 v22, s4, v22
	v_and_b32_e32 v33, 63, v0
	s_movk_i32 s13, 0x80
	v_mov_b32_e32 v36, 0
	v_mov_b32_e32 v24, v22
	v_mov_b32_e32 v25, v22
	s_waitcnt vmcnt(7)
	buffer_store_dword v21, off, s[0:3], 0 offset:140
	buffer_store_dword v20, off, s[0:3], 0 offset:136
	buffer_store_dword v19, off, s[0:3], 0 offset:132
	buffer_store_dword v18, off, s[0:3], 0 offset:128
	s_waitcnt vmcnt(10)
	buffer_store_dword v55, off, s[0:3], 0 offset:172
	buffer_store_dword v54, off, s[0:3], 0 offset:168
	buffer_store_dword v53, off, s[0:3], 0 offset:164
	buffer_store_dword v52, off, s[0:3], 0 offset:160
	;; [unrolled: 5-line block ×8, first 2 shown]
	s_branch .LBB642_17
.LBB642_14:                             ;   in Loop: Header=BB642_17 Depth=1
	s_or_b64 exec, exec, s[10:11]
.LBB642_15:                             ;   in Loop: Header=BB642_17 Depth=1
	s_or_b64 exec, exec, s[6:7]
.LBB642_16:                             ;   in Loop: Header=BB642_17 Depth=1
	s_or_b64 exec, exec, s[4:5]
	v_cvt_pkrtz_f16_f32 v54, v34, v32
	v_cvt_pkrtz_f16_f32 v55, v23, v42
	v_add_u32_e32 v26, s12, v37
	s_add_i32 s12, s12, 16
	v_mov_b32_e32 v23, v22
	v_mfma_f32_16x16x16f16 v[18:21], v[54:55], v[14:15], v[18:21]
	v_cvt_pkrtz_f16_f32 v54, v40, v44
	v_cvt_pkrtz_f16_f32 v55, v30, v52
	s_cmp_eq_u32 s12, 64
	v_add_u32_e32 v36, 32, v36
	v_mfma_f32_16x16x16f16 v[18:21], v[54:55], v[16:17], v[18:21]
	s_nop 7
	s_nop 2
	v_pk_mul_f32 v[18:19], v[24:25], v[18:19]
	v_pk_mul_f32 v[20:21], v[22:23], v[20:21]
	buffer_store_dword v19, v26, s[0:3], 0 offen offset:4
	buffer_store_dword v18, v26, s[0:3], 0 offen
	buffer_store_dword v21, v26, s[0:3], 0 offen offset:12
	buffer_store_dword v20, v26, s[0:3], 0 offen offset:8
	s_cbranch_scc1 .LBB642_207
.LBB642_17:                             ; =>This Inner Loop Header: Depth=1
	buffer_load_dword v20, v36, s[0:3], 0 offen
	buffer_load_dword v18, v36, s[0:3], 0 offen offset:4
	buffer_load_dword v28, v36, s[0:3], 0 offen offset:8
	;; [unrolled: 1-line block ×3, first 2 shown]
	v_mov_b32_e32 v19, 0
	v_mov_b32_e32 v21, 0
	s_waitcnt vmcnt(3)
	v_cmp_ne_u16_sdwa s[6:7], v20, v35 src0_sel:BYTE_0 src1_sel:DWORD
	s_and_saveexec_b64 s[4:5], s[6:7]
	s_cbranch_execz .LBB642_23
; %bb.18:                               ;   in Loop: Header=BB642_17 Depth=1
	v_cmp_ne_u16_sdwa s[10:11], v20, s13 src0_sel:BYTE_0 src1_sel:DWORD
	v_bfrev_b32_e32 v21, 1
	s_and_saveexec_b64 s[6:7], s[10:11]
	s_cbranch_execz .LBB642_22
; %bb.19:                               ;   in Loop: Header=BB642_17 Depth=1
	v_and_b32_e32 v23, 0x7f, v20
	v_cmp_ne_u32_e32 vcc, s14, v23
	v_mov_b32_e32 v21, 0x7f800001
	s_and_saveexec_b64 s[10:11], vcc
	s_cbranch_execz .LBB642_21
; %bb.20:                               ;   in Loop: Header=BB642_17 Depth=1
	v_and_b32_e32 v21, 7, v20
	v_ffbh_u32_e32 v32, v21
	v_min_u32_e32 v32, 32, v32
	v_subrev_u32_e32 v34, 28, v32
	v_lshlrev_b64 v[52:53], v34, v[20:21]
	v_lshrrev_b32_e32 v30, 3, v23
	v_sub_u32_e32 v32, 29, v32
	v_and_b32_e32 v34, 7, v52
	v_cmp_gt_u32_e32 vcc, 8, v23
	v_cndmask_b32_e32 v23, v30, v32, vcc
	v_cndmask_b32_e32 v21, v21, v34, vcc
	v_lshlrev_b32_e32 v30, 24, v20
	v_lshlrev_b32_e32 v21, 20, v21
	v_and_b32_e32 v30, 0x80000000, v30
	v_lshl_add_u32 v23, v23, 23, v38
	v_or3_b32 v21, v30, v23, v21
.LBB642_21:                             ;   in Loop: Header=BB642_17 Depth=1
	s_or_b64 exec, exec, s[10:11]
.LBB642_22:                             ;   in Loop: Header=BB642_17 Depth=1
	s_or_b64 exec, exec, s[6:7]
.LBB642_23:                             ;   in Loop: Header=BB642_17 Depth=1
	s_or_b64 exec, exec, s[4:5]
	v_lshrrev_b16_e32 v30, 8, v20
	v_cmp_ne_u16_e32 vcc, 0, v30
	s_and_saveexec_b64 s[4:5], vcc
	s_cbranch_execz .LBB642_29
; %bb.24:                               ;   in Loop: Header=BB642_17 Depth=1
	v_cmp_ne_u16_e32 vcc, s13, v30
	v_bfrev_b32_e32 v19, 1
	s_and_saveexec_b64 s[6:7], vcc
	s_cbranch_execz .LBB642_28
; %bb.25:                               ;   in Loop: Header=BB642_17 Depth=1
	v_and_b32_e32 v23, 0x7f, v30
	v_cmp_ne_u32_e32 vcc, s14, v23
	v_mov_b32_e32 v19, 0x7f800001
	s_and_saveexec_b64 s[10:11], vcc
	s_cbranch_execz .LBB642_27
; %bb.26:                               ;   in Loop: Header=BB642_17 Depth=1
	v_and_b32_e32 v19, 7, v30
	v_ffbh_u32_e32 v34, v19
	v_min_u32_e32 v34, 32, v34
	v_subrev_u32_e32 v40, 28, v34
	v_lshlrev_b64 v[52:53], v40, v[30:31]
	v_lshrrev_b32_e32 v32, 3, v23
	v_sub_u32_e32 v30, 29, v34
	v_and_b32_e32 v34, 7, v52
	v_cmp_gt_u32_e32 vcc, 8, v23
	v_cndmask_b32_e32 v23, v32, v30, vcc
	v_cndmask_b32_e32 v19, v19, v34, vcc
	v_lshlrev_b32_e32 v30, 16, v20
	v_lshlrev_b32_e32 v19, 20, v19
	v_and_b32_e32 v30, 0x80000000, v30
	v_lshl_add_u32 v23, v23, 23, v38
	v_or3_b32 v19, v30, v23, v19
.LBB642_27:                             ;   in Loop: Header=BB642_17 Depth=1
	s_or_b64 exec, exec, s[10:11]
.LBB642_28:                             ;   in Loop: Header=BB642_17 Depth=1
	s_or_b64 exec, exec, s[6:7]
.LBB642_29:                             ;   in Loop: Header=BB642_17 Depth=1
	s_or_b64 exec, exec, s[4:5]
	v_lshrrev_b32_e32 v30, 16, v20
	v_cmp_ne_u16_sdwa s[6:7], v30, v35 src0_sel:BYTE_0 src1_sel:DWORD
	v_mov_b32_e32 v32, 0
	v_mov_b32_e32 v23, 0
	s_and_saveexec_b64 s[4:5], s[6:7]
	s_cbranch_execz .LBB642_35
; %bb.30:                               ;   in Loop: Header=BB642_17 Depth=1
	v_cmp_ne_u16_sdwa s[10:11], v30, s13 src0_sel:BYTE_0 src1_sel:DWORD
	v_bfrev_b32_e32 v23, 1
	s_and_saveexec_b64 s[6:7], s[10:11]
	s_cbranch_execz .LBB642_34
; %bb.31:                               ;   in Loop: Header=BB642_17 Depth=1
	v_bfe_u32 v34, v20, 16, 7
	v_cmp_ne_u32_e32 vcc, s14, v34
	v_mov_b32_e32 v23, 0x7f800001
	s_and_saveexec_b64 s[10:11], vcc
	s_cbranch_execz .LBB642_33
; %bb.32:                               ;   in Loop: Header=BB642_17 Depth=1
	v_and_b32_e32 v23, 7, v30
	v_ffbh_u32_e32 v42, v23
	v_min_u32_e32 v42, 32, v42
	v_subrev_u32_e32 v44, 28, v42
	v_lshlrev_b64 v[52:53], v44, v[30:31]
	v_lshrrev_b32_e32 v40, 3, v34
	v_sub_u32_e32 v42, 29, v42
	v_and_b32_e32 v44, 7, v52
	v_cmp_gt_u32_e32 vcc, 8, v34
	v_cndmask_b32_e32 v34, v40, v42, vcc
	v_cndmask_b32_e32 v23, v23, v44, vcc
	v_lshlrev_b32_e32 v30, 24, v30
	v_lshlrev_b32_e32 v23, 20, v23
	v_and_b32_e32 v30, 0x80000000, v30
	v_lshl_add_u32 v34, v34, 23, v38
	v_or3_b32 v23, v30, v34, v23
.LBB642_33:                             ;   in Loop: Header=BB642_17 Depth=1
	s_or_b64 exec, exec, s[10:11]
.LBB642_34:                             ;   in Loop: Header=BB642_17 Depth=1
	s_or_b64 exec, exec, s[6:7]
.LBB642_35:                             ;   in Loop: Header=BB642_17 Depth=1
	s_or_b64 exec, exec, s[4:5]
	v_cmp_lt_u32_e32 vcc, s15, v20
	s_and_saveexec_b64 s[4:5], vcc
	s_cbranch_execz .LBB642_41
; %bb.36:                               ;   in Loop: Header=BB642_17 Depth=1
	v_lshrrev_b32_e32 v30, 24, v20
	v_cmp_ne_u32_e32 vcc, s13, v30
	v_bfrev_b32_e32 v32, 1
	s_and_saveexec_b64 s[6:7], vcc
	s_cbranch_execz .LBB642_40
; %bb.37:                               ;   in Loop: Header=BB642_17 Depth=1
	v_bfe_u32 v20, v20, 24, 7
	v_cmp_ne_u32_e32 vcc, s14, v20
	v_mov_b32_e32 v32, 0x7f800001
	s_and_saveexec_b64 s[10:11], vcc
	s_cbranch_execz .LBB642_39
; %bb.38:                               ;   in Loop: Header=BB642_17 Depth=1
	v_and_b32_e32 v32, 7, v30
	v_ffbh_u32_e32 v40, v32
	v_min_u32_e32 v40, 32, v40
	v_subrev_u32_e32 v42, 28, v40
	v_lshlrev_b64 v[52:53], v42, v[30:31]
	v_lshrrev_b32_e32 v34, 3, v20
	v_sub_u32_e32 v40, 29, v40
	v_and_b32_e32 v42, 7, v52
	v_cmp_gt_u32_e32 vcc, 8, v20
	v_cndmask_b32_e32 v20, v34, v40, vcc
	v_cndmask_b32_e32 v32, v32, v42, vcc
	v_lshlrev_b32_e32 v30, 24, v30
	v_lshlrev_b32_e32 v32, 20, v32
	v_and_b32_e32 v30, 0x80000000, v30
	v_lshl_add_u32 v20, v20, 23, v38
	v_or3_b32 v32, v30, v20, v32
.LBB642_39:                             ;   in Loop: Header=BB642_17 Depth=1
	s_or_b64 exec, exec, s[10:11]
.LBB642_40:                             ;   in Loop: Header=BB642_17 Depth=1
	s_or_b64 exec, exec, s[6:7]
.LBB642_41:                             ;   in Loop: Header=BB642_17 Depth=1
	s_or_b64 exec, exec, s[4:5]
	s_waitcnt vmcnt(2)
	v_cmp_ne_u16_sdwa s[6:7], v18, v35 src0_sel:BYTE_0 src1_sel:DWORD
	v_mov_b32_e32 v30, 0
	v_mov_b32_e32 v34, 0
	s_and_saveexec_b64 s[4:5], s[6:7]
	s_cbranch_execz .LBB642_47
; %bb.42:                               ;   in Loop: Header=BB642_17 Depth=1
	v_cmp_ne_u16_sdwa s[10:11], v18, s13 src0_sel:BYTE_0 src1_sel:DWORD
	v_bfrev_b32_e32 v34, 1
	s_and_saveexec_b64 s[6:7], s[10:11]
	s_cbranch_execz .LBB642_46
; %bb.43:                               ;   in Loop: Header=BB642_17 Depth=1
	v_and_b32_e32 v20, 0x7f, v18
	v_cmp_ne_u32_e32 vcc, s14, v20
	v_mov_b32_e32 v34, 0x7f800001
	s_and_saveexec_b64 s[10:11], vcc
	s_cbranch_execz .LBB642_45
; %bb.44:                               ;   in Loop: Header=BB642_17 Depth=1
	v_and_b32_e32 v34, 7, v18
	v_ffbh_u32_e32 v42, v34
	v_min_u32_e32 v42, 32, v42
	v_subrev_u32_e32 v44, 28, v42
	v_lshlrev_b64 v[52:53], v44, v[18:19]
	v_lshrrev_b32_e32 v40, 3, v20
	v_sub_u32_e32 v42, 29, v42
	v_and_b32_e32 v44, 7, v52
	v_cmp_gt_u32_e32 vcc, 8, v20
	v_cndmask_b32_e32 v20, v40, v42, vcc
	v_cndmask_b32_e32 v34, v34, v44, vcc
	v_lshlrev_b32_e32 v40, 24, v18
	v_lshlrev_b32_e32 v34, 20, v34
	v_and_b32_e32 v40, 0x80000000, v40
	v_lshl_add_u32 v20, v20, 23, v38
	v_or3_b32 v34, v40, v20, v34
.LBB642_45:                             ;   in Loop: Header=BB642_17 Depth=1
	s_or_b64 exec, exec, s[10:11]
.LBB642_46:                             ;   in Loop: Header=BB642_17 Depth=1
	s_or_b64 exec, exec, s[6:7]
.LBB642_47:                             ;   in Loop: Header=BB642_17 Depth=1
	s_or_b64 exec, exec, s[4:5]
	v_lshrrev_b16_e32 v20, 8, v18
	v_cmp_ne_u16_e32 vcc, 0, v20
	s_and_saveexec_b64 s[4:5], vcc
	s_cbranch_execz .LBB642_53
; %bb.48:                               ;   in Loop: Header=BB642_17 Depth=1
	v_cmp_ne_u16_e32 vcc, s13, v20
	v_bfrev_b32_e32 v30, 1
	s_and_saveexec_b64 s[6:7], vcc
	s_cbranch_execz .LBB642_52
; %bb.49:                               ;   in Loop: Header=BB642_17 Depth=1
	v_and_b32_e32 v40, 0x7f, v20
	v_cmp_ne_u32_e32 vcc, s14, v40
	v_mov_b32_e32 v30, 0x7f800001
	s_and_saveexec_b64 s[10:11], vcc
	s_cbranch_execz .LBB642_51
; %bb.50:                               ;   in Loop: Header=BB642_17 Depth=1
	v_and_b32_e32 v30, 7, v20
	v_ffbh_u32_e32 v44, v30
	v_min_u32_e32 v44, 32, v44
	v_subrev_u32_e32 v52, 28, v44
	v_lshlrev_b64 v[52:53], v52, v[20:21]
	v_lshrrev_b32_e32 v42, 3, v40
	v_sub_u32_e32 v20, 29, v44
	v_and_b32_e32 v44, 7, v52
	v_cmp_gt_u32_e32 vcc, 8, v40
	v_cndmask_b32_e32 v20, v42, v20, vcc
	v_cndmask_b32_e32 v30, v30, v44, vcc
	v_lshlrev_b32_e32 v40, 16, v18
	v_lshlrev_b32_e32 v30, 20, v30
	v_and_b32_e32 v40, 0x80000000, v40
	v_lshl_add_u32 v20, v20, 23, v38
	v_or3_b32 v30, v40, v20, v30
.LBB642_51:                             ;   in Loop: Header=BB642_17 Depth=1
	s_or_b64 exec, exec, s[10:11]
.LBB642_52:                             ;   in Loop: Header=BB642_17 Depth=1
	s_or_b64 exec, exec, s[6:7]
.LBB642_53:                             ;   in Loop: Header=BB642_17 Depth=1
	s_or_b64 exec, exec, s[4:5]
	v_lshrrev_b32_e32 v20, 16, v18
	v_cmp_ne_u16_sdwa s[6:7], v20, v35 src0_sel:BYTE_0 src1_sel:DWORD
	v_mov_b32_e32 v42, 0
	v_mov_b32_e32 v40, 0
	s_and_saveexec_b64 s[4:5], s[6:7]
	s_cbranch_execz .LBB642_59
; %bb.54:                               ;   in Loop: Header=BB642_17 Depth=1
	v_cmp_ne_u16_sdwa s[10:11], v20, s13 src0_sel:BYTE_0 src1_sel:DWORD
	v_bfrev_b32_e32 v40, 1
	s_and_saveexec_b64 s[6:7], s[10:11]
	s_cbranch_execz .LBB642_58
; %bb.55:                               ;   in Loop: Header=BB642_17 Depth=1
	v_bfe_u32 v44, v18, 16, 7
	v_cmp_ne_u32_e32 vcc, s14, v44
	v_mov_b32_e32 v40, 0x7f800001
	s_and_saveexec_b64 s[10:11], vcc
	s_cbranch_execz .LBB642_57
; %bb.56:                               ;   in Loop: Header=BB642_17 Depth=1
	v_and_b32_e32 v40, 7, v20
	v_ffbh_u32_e32 v52, v40
	v_min_u32_e32 v55, 32, v52
	v_subrev_u32_e32 v52, 28, v55
	v_lshlrev_b64 v[52:53], v52, v[20:21]
	v_lshrrev_b32_e32 v54, 3, v44
	v_sub_u32_e32 v53, 29, v55
	v_and_b32_e32 v52, 7, v52
	v_cmp_gt_u32_e32 vcc, 8, v44
	v_cndmask_b32_e32 v44, v54, v53, vcc
	v_cndmask_b32_e32 v40, v40, v52, vcc
	v_lshlrev_b32_e32 v20, 24, v20
	v_lshlrev_b32_e32 v40, 20, v40
	v_and_b32_e32 v20, 0x80000000, v20
	v_lshl_add_u32 v44, v44, 23, v38
	v_or3_b32 v40, v20, v44, v40
.LBB642_57:                             ;   in Loop: Header=BB642_17 Depth=1
	s_or_b64 exec, exec, s[10:11]
.LBB642_58:                             ;   in Loop: Header=BB642_17 Depth=1
	s_or_b64 exec, exec, s[6:7]
.LBB642_59:                             ;   in Loop: Header=BB642_17 Depth=1
	s_or_b64 exec, exec, s[4:5]
	v_cmp_lt_u32_e32 vcc, s15, v18
	s_and_saveexec_b64 s[4:5], vcc
	s_cbranch_execz .LBB642_65
; %bb.60:                               ;   in Loop: Header=BB642_17 Depth=1
	v_lshrrev_b32_e32 v20, 24, v18
	v_cmp_ne_u32_e32 vcc, s13, v20
	v_bfrev_b32_e32 v42, 1
	s_and_saveexec_b64 s[6:7], vcc
	s_cbranch_execz .LBB642_64
; %bb.61:                               ;   in Loop: Header=BB642_17 Depth=1
	v_bfe_u32 v18, v18, 24, 7
	v_cmp_ne_u32_e32 vcc, s14, v18
	v_mov_b32_e32 v42, 0x7f800001
	s_and_saveexec_b64 s[10:11], vcc
	s_cbranch_execz .LBB642_63
; %bb.62:                               ;   in Loop: Header=BB642_17 Depth=1
	v_and_b32_e32 v42, 7, v20
	v_ffbh_u32_e32 v52, v42
	v_min_u32_e32 v54, 32, v52
	v_subrev_u32_e32 v52, 28, v54
	v_lshlrev_b64 v[52:53], v52, v[20:21]
	v_lshrrev_b32_e32 v44, 3, v18
	v_sub_u32_e32 v53, 29, v54
	v_and_b32_e32 v52, 7, v52
	v_cmp_gt_u32_e32 vcc, 8, v18
	v_cndmask_b32_e32 v18, v44, v53, vcc
	v_cndmask_b32_e32 v42, v42, v52, vcc
	v_lshlrev_b32_e32 v20, 24, v20
	v_lshlrev_b32_e32 v42, 20, v42
	v_and_b32_e32 v20, 0x80000000, v20
	v_lshl_add_u32 v18, v18, 23, v38
	v_or3_b32 v42, v20, v18, v42
.LBB642_63:                             ;   in Loop: Header=BB642_17 Depth=1
	s_or_b64 exec, exec, s[10:11]
.LBB642_64:                             ;   in Loop: Header=BB642_17 Depth=1
	s_or_b64 exec, exec, s[6:7]
.LBB642_65:                             ;   in Loop: Header=BB642_17 Depth=1
	s_or_b64 exec, exec, s[4:5]
	v_cvt_pkrtz_f16_f32 v18, v21, v19
	v_cvt_pkrtz_f16_f32 v19, v23, v32
	;; [unrolled: 1-line block ×4, first 2 shown]
	v_mov_b32_e32 v32, 0
	v_mfma_f32_16x16x16f16 v[18:21], v[18:19], v[2:3], 0
	s_waitcnt vmcnt(1)
	v_cmp_ne_u16_sdwa s[6:7], v28, v35 src0_sel:BYTE_0 src1_sel:DWORD
	v_mov_b32_e32 v34, 0
	v_mfma_f32_16x16x16f16 v[18:21], v[52:53], v[4:5], v[18:21]
	s_and_saveexec_b64 s[4:5], s[6:7]
	s_cbranch_execz .LBB642_71
; %bb.66:                               ;   in Loop: Header=BB642_17 Depth=1
	v_cmp_ne_u16_sdwa s[10:11], v28, s13 src0_sel:BYTE_0 src1_sel:DWORD
	v_bfrev_b32_e32 v34, 1
	s_and_saveexec_b64 s[6:7], s[10:11]
	s_cbranch_execz .LBB642_70
; %bb.67:                               ;   in Loop: Header=BB642_17 Depth=1
	v_and_b32_e32 v23, 0x7f, v28
	v_cmp_ne_u32_e32 vcc, s14, v23
	v_mov_b32_e32 v34, 0x7f800001
	s_and_saveexec_b64 s[10:11], vcc
	s_cbranch_execz .LBB642_69
; %bb.68:                               ;   in Loop: Header=BB642_17 Depth=1
	v_and_b32_e32 v30, 7, v28
	v_ffbh_u32_e32 v40, v30
	v_min_u32_e32 v40, 32, v40
	v_subrev_u32_e32 v42, 28, v40
	v_lshlrev_b64 v[52:53], v42, v[28:29]
	v_lshrrev_b32_e32 v34, 3, v23
	v_sub_u32_e32 v40, 29, v40
	v_and_b32_e32 v42, 7, v52
	v_cmp_gt_u32_e32 vcc, 8, v23
	v_cndmask_b32_e32 v23, v34, v40, vcc
	v_cndmask_b32_e32 v30, v30, v42, vcc
	v_lshlrev_b32_e32 v34, 24, v28
	v_lshlrev_b32_e32 v30, 20, v30
	v_and_b32_e32 v34, 0x80000000, v34
	v_lshl_add_u32 v23, v23, 23, v38
	v_or3_b32 v34, v34, v23, v30
.LBB642_69:                             ;   in Loop: Header=BB642_17 Depth=1
	s_or_b64 exec, exec, s[10:11]
.LBB642_70:                             ;   in Loop: Header=BB642_17 Depth=1
	s_or_b64 exec, exec, s[6:7]
.LBB642_71:                             ;   in Loop: Header=BB642_17 Depth=1
	s_or_b64 exec, exec, s[4:5]
	v_lshrrev_b16_e32 v30, 8, v28
	v_cmp_ne_u16_e32 vcc, 0, v30
	v_mov_b32_e32 v40, 0
	s_and_saveexec_b64 s[4:5], vcc
	s_cbranch_execz .LBB642_77
; %bb.72:                               ;   in Loop: Header=BB642_17 Depth=1
	v_cmp_ne_u16_e32 vcc, s13, v30
	v_bfrev_b32_e32 v40, 1
	s_and_saveexec_b64 s[6:7], vcc
	s_cbranch_execz .LBB642_76
; %bb.73:                               ;   in Loop: Header=BB642_17 Depth=1
	v_and_b32_e32 v23, 0x7f, v30
	v_cmp_ne_u32_e32 vcc, s14, v23
	v_mov_b32_e32 v40, 0x7f800001
	s_and_saveexec_b64 s[10:11], vcc
	s_cbranch_execz .LBB642_75
; %bb.74:                               ;   in Loop: Header=BB642_17 Depth=1
	v_and_b32_e32 v40, 7, v30
	v_ffbh_u32_e32 v44, v40
	v_min_u32_e32 v44, 32, v44
	v_subrev_u32_e32 v52, 28, v44
	v_lshlrev_b64 v[52:53], v52, v[30:31]
	v_lshrrev_b32_e32 v42, 3, v23
	v_sub_u32_e32 v30, 29, v44
	v_and_b32_e32 v44, 7, v52
	v_cmp_gt_u32_e32 vcc, 8, v23
	v_cndmask_b32_e32 v23, v42, v30, vcc
	v_cndmask_b32_e32 v30, v40, v44, vcc
	v_lshlrev_b32_e32 v40, 16, v28
	v_lshlrev_b32_e32 v30, 20, v30
	v_and_b32_e32 v40, 0x80000000, v40
	v_lshl_add_u32 v23, v23, 23, v38
	v_or3_b32 v40, v40, v23, v30
.LBB642_75:                             ;   in Loop: Header=BB642_17 Depth=1
	s_or_b64 exec, exec, s[10:11]
.LBB642_76:                             ;   in Loop: Header=BB642_17 Depth=1
	s_or_b64 exec, exec, s[6:7]
.LBB642_77:                             ;   in Loop: Header=BB642_17 Depth=1
	s_or_b64 exec, exec, s[4:5]
	v_lshrrev_b32_e32 v30, 16, v28
	v_cmp_ne_u16_sdwa s[6:7], v30, v35 src0_sel:BYTE_0 src1_sel:DWORD
	s_and_saveexec_b64 s[4:5], s[6:7]
	s_cbranch_execz .LBB642_83
; %bb.78:                               ;   in Loop: Header=BB642_17 Depth=1
	v_cmp_ne_u16_sdwa s[10:11], v30, s13 src0_sel:BYTE_0 src1_sel:DWORD
	v_bfrev_b32_e32 v32, 1
	s_and_saveexec_b64 s[6:7], s[10:11]
	s_cbranch_execz .LBB642_82
; %bb.79:                               ;   in Loop: Header=BB642_17 Depth=1
	v_bfe_u32 v23, v28, 16, 7
	v_cmp_ne_u32_e32 vcc, s14, v23
	v_mov_b32_e32 v32, 0x7f800001
	s_and_saveexec_b64 s[10:11], vcc
	s_cbranch_execz .LBB642_81
; %bb.80:                               ;   in Loop: Header=BB642_17 Depth=1
	v_and_b32_e32 v32, 7, v30
	v_ffbh_u32_e32 v44, v32
	v_min_u32_e32 v44, 32, v44
	v_subrev_u32_e32 v52, 28, v44
	v_lshlrev_b64 v[52:53], v52, v[30:31]
	v_lshrrev_b32_e32 v42, 3, v23
	v_sub_u32_e32 v44, 29, v44
	v_and_b32_e32 v52, 7, v52
	v_cmp_gt_u32_e32 vcc, 8, v23
	v_cndmask_b32_e32 v23, v42, v44, vcc
	v_cndmask_b32_e32 v32, v32, v52, vcc
	v_lshlrev_b32_e32 v30, 24, v30
	v_lshlrev_b32_e32 v32, 20, v32
	v_and_b32_e32 v30, 0x80000000, v30
	v_lshl_add_u32 v23, v23, 23, v38
	v_or3_b32 v32, v30, v23, v32
.LBB642_81:                             ;   in Loop: Header=BB642_17 Depth=1
	s_or_b64 exec, exec, s[10:11]
.LBB642_82:                             ;   in Loop: Header=BB642_17 Depth=1
	s_or_b64 exec, exec, s[6:7]
.LBB642_83:                             ;   in Loop: Header=BB642_17 Depth=1
	s_or_b64 exec, exec, s[4:5]
	v_cmp_lt_u32_e32 vcc, s15, v28
	v_mov_b32_e32 v42, 0
	v_mov_b32_e32 v44, 0
	s_and_saveexec_b64 s[4:5], vcc
	s_cbranch_execz .LBB642_89
; %bb.84:                               ;   in Loop: Header=BB642_17 Depth=1
	v_lshrrev_b32_e32 v30, 24, v28
	v_cmp_ne_u32_e32 vcc, s13, v30
	v_bfrev_b32_e32 v44, 1
	s_and_saveexec_b64 s[6:7], vcc
	s_cbranch_execz .LBB642_88
; %bb.85:                               ;   in Loop: Header=BB642_17 Depth=1
	v_bfe_u32 v23, v28, 24, 7
	v_cmp_ne_u32_e32 vcc, s14, v23
	v_mov_b32_e32 v44, 0x7f800001
	s_and_saveexec_b64 s[10:11], vcc
	s_cbranch_execz .LBB642_87
; %bb.86:                               ;   in Loop: Header=BB642_17 Depth=1
	v_and_b32_e32 v28, 7, v30
	v_ffbh_u32_e32 v52, v28
	v_min_u32_e32 v54, 32, v52
	v_subrev_u32_e32 v52, 28, v54
	v_lshlrev_b64 v[52:53], v52, v[30:31]
	v_lshrrev_b32_e32 v44, 3, v23
	v_sub_u32_e32 v53, 29, v54
	v_and_b32_e32 v52, 7, v52
	v_cmp_gt_u32_e32 vcc, 8, v23
	v_cndmask_b32_e32 v23, v44, v53, vcc
	v_cndmask_b32_e32 v28, v28, v52, vcc
	v_lshlrev_b32_e32 v30, 24, v30
	v_lshlrev_b32_e32 v28, 20, v28
	v_and_b32_e32 v30, 0x80000000, v30
	v_lshl_add_u32 v23, v23, 23, v38
	v_or3_b32 v44, v30, v23, v28
.LBB642_87:                             ;   in Loop: Header=BB642_17 Depth=1
	s_or_b64 exec, exec, s[10:11]
.LBB642_88:                             ;   in Loop: Header=BB642_17 Depth=1
	s_or_b64 exec, exec, s[6:7]
.LBB642_89:                             ;   in Loop: Header=BB642_17 Depth=1
	s_or_b64 exec, exec, s[4:5]
	s_waitcnt vmcnt(0)
	v_cmp_ne_u16_sdwa s[6:7], v26, v35 src0_sel:BYTE_0 src1_sel:DWORD
	s_and_saveexec_b64 s[4:5], s[6:7]
	s_cbranch_execz .LBB642_95
; %bb.90:                               ;   in Loop: Header=BB642_17 Depth=1
	v_cmp_ne_u16_sdwa s[10:11], v26, s13 src0_sel:BYTE_0 src1_sel:DWORD
	v_bfrev_b32_e32 v42, 1
	s_and_saveexec_b64 s[6:7], s[10:11]
	s_cbranch_execz .LBB642_94
; %bb.91:                               ;   in Loop: Header=BB642_17 Depth=1
	v_and_b32_e32 v23, 0x7f, v26
	v_cmp_ne_u32_e32 vcc, s14, v23
	v_mov_b32_e32 v42, 0x7f800001
	s_and_saveexec_b64 s[10:11], vcc
	s_cbranch_execz .LBB642_93
; %bb.92:                               ;   in Loop: Header=BB642_17 Depth=1
	v_and_b32_e32 v28, 7, v26
	v_ffbh_u32_e32 v42, v28
	v_min_u32_e32 v42, 32, v42
	v_subrev_u32_e32 v52, 28, v42
	v_lshlrev_b64 v[52:53], v52, v[26:27]
	v_lshrrev_b32_e32 v30, 3, v23
	v_sub_u32_e32 v42, 29, v42
	v_and_b32_e32 v52, 7, v52
	v_cmp_gt_u32_e32 vcc, 8, v23
	v_cndmask_b32_e32 v23, v30, v42, vcc
	v_cndmask_b32_e32 v28, v28, v52, vcc
	v_lshlrev_b32_e32 v30, 24, v26
	v_lshlrev_b32_e32 v28, 20, v28
	v_and_b32_e32 v30, 0x80000000, v30
	v_lshl_add_u32 v23, v23, 23, v38
	v_or3_b32 v42, v30, v23, v28
.LBB642_93:                             ;   in Loop: Header=BB642_17 Depth=1
	s_or_b64 exec, exec, s[10:11]
.LBB642_94:                             ;   in Loop: Header=BB642_17 Depth=1
	s_or_b64 exec, exec, s[6:7]
.LBB642_95:                             ;   in Loop: Header=BB642_17 Depth=1
	s_or_b64 exec, exec, s[4:5]
	v_lshrrev_b16_e32 v28, 8, v26
	v_cmp_ne_u16_e32 vcc, 0, v28
	v_mov_b32_e32 v52, 0
	v_mov_b32_e32 v53, 0
	s_and_saveexec_b64 s[4:5], vcc
	s_cbranch_execz .LBB642_101
; %bb.96:                               ;   in Loop: Header=BB642_17 Depth=1
	v_cmp_ne_u16_e32 vcc, s13, v28
	v_bfrev_b32_e32 v53, 1
	s_and_saveexec_b64 s[6:7], vcc
	s_cbranch_execz .LBB642_100
; %bb.97:                               ;   in Loop: Header=BB642_17 Depth=1
	v_and_b32_e32 v23, 0x7f, v28
	v_cmp_ne_u32_e32 vcc, s14, v23
	v_mov_b32_e32 v53, 0x7f800001
	s_and_saveexec_b64 s[10:11], vcc
	s_cbranch_execz .LBB642_99
; %bb.98:                               ;   in Loop: Header=BB642_17 Depth=1
	v_and_b32_e32 v30, 7, v28
	v_ffbh_u32_e32 v54, v30
	v_min_u32_e32 v56, 32, v54
	v_subrev_u32_e32 v54, 28, v56
	v_lshlrev_b64 v[54:55], v54, v[28:29]
	v_lshrrev_b32_e32 v53, 3, v23
	v_sub_u32_e32 v28, 29, v56
	v_and_b32_e32 v54, 7, v54
	v_cmp_gt_u32_e32 vcc, 8, v23
	v_cndmask_b32_e32 v23, v53, v28, vcc
	v_cndmask_b32_e32 v28, v30, v54, vcc
	v_lshlrev_b32_e32 v30, 16, v26
	v_lshlrev_b32_e32 v28, 20, v28
	v_and_b32_e32 v30, 0x80000000, v30
	v_lshl_add_u32 v23, v23, 23, v38
	v_or3_b32 v53, v30, v23, v28
.LBB642_99:                             ;   in Loop: Header=BB642_17 Depth=1
	s_or_b64 exec, exec, s[10:11]
.LBB642_100:                            ;   in Loop: Header=BB642_17 Depth=1
	s_or_b64 exec, exec, s[6:7]
.LBB642_101:                            ;   in Loop: Header=BB642_17 Depth=1
	s_or_b64 exec, exec, s[4:5]
	v_lshrrev_b32_e32 v28, 16, v26
	v_cmp_ne_u16_sdwa s[6:7], v28, v35 src0_sel:BYTE_0 src1_sel:DWORD
	s_and_saveexec_b64 s[4:5], s[6:7]
	s_cbranch_execz .LBB642_107
; %bb.102:                              ;   in Loop: Header=BB642_17 Depth=1
	v_cmp_ne_u16_sdwa s[10:11], v28, s13 src0_sel:BYTE_0 src1_sel:DWORD
	v_bfrev_b32_e32 v52, 1
	s_and_saveexec_b64 s[6:7], s[10:11]
	s_cbranch_execz .LBB642_106
; %bb.103:                              ;   in Loop: Header=BB642_17 Depth=1
	v_bfe_u32 v23, v26, 16, 7
	v_cmp_ne_u32_e32 vcc, s14, v23
	v_mov_b32_e32 v52, 0x7f800001
	s_and_saveexec_b64 s[10:11], vcc
	s_cbranch_execz .LBB642_105
; %bb.104:                              ;   in Loop: Header=BB642_17 Depth=1
	v_and_b32_e32 v30, 7, v28
	v_ffbh_u32_e32 v54, v30
	v_min_u32_e32 v56, 32, v54
	v_subrev_u32_e32 v54, 28, v56
	v_lshlrev_b64 v[54:55], v54, v[28:29]
	v_lshrrev_b32_e32 v52, 3, v23
	v_sub_u32_e32 v55, 29, v56
	v_and_b32_e32 v54, 7, v54
	v_cmp_gt_u32_e32 vcc, 8, v23
	v_cndmask_b32_e32 v23, v52, v55, vcc
	v_cndmask_b32_e32 v30, v30, v54, vcc
	v_lshlrev_b32_e32 v28, 24, v28
	v_lshlrev_b32_e32 v30, 20, v30
	v_and_b32_e32 v28, 0x80000000, v28
	v_lshl_add_u32 v23, v23, 23, v38
	v_or3_b32 v52, v28, v23, v30
.LBB642_105:                            ;   in Loop: Header=BB642_17 Depth=1
	s_or_b64 exec, exec, s[10:11]
.LBB642_106:                            ;   in Loop: Header=BB642_17 Depth=1
	s_or_b64 exec, exec, s[6:7]
.LBB642_107:                            ;   in Loop: Header=BB642_17 Depth=1
	s_or_b64 exec, exec, s[4:5]
	v_cmp_lt_u32_e32 vcc, s15, v26
	v_mov_b32_e32 v23, 0
	v_mov_b32_e32 v54, 0
	s_and_saveexec_b64 s[4:5], vcc
	s_cbranch_execz .LBB642_113
; %bb.108:                              ;   in Loop: Header=BB642_17 Depth=1
	v_lshrrev_b32_e32 v28, 24, v26
	v_cmp_ne_u32_e32 vcc, s13, v28
	v_bfrev_b32_e32 v54, 1
	s_and_saveexec_b64 s[6:7], vcc
	s_cbranch_execz .LBB642_112
; %bb.109:                              ;   in Loop: Header=BB642_17 Depth=1
	v_bfe_u32 v26, v26, 24, 7
	v_cmp_ne_u32_e32 vcc, s14, v26
	v_mov_b32_e32 v54, 0x7f800001
	s_and_saveexec_b64 s[10:11], vcc
	s_cbranch_execz .LBB642_111
; %bb.110:                              ;   in Loop: Header=BB642_17 Depth=1
	v_and_b32_e32 v30, 7, v28
	v_ffbh_u32_e32 v54, v30
	v_min_u32_e32 v57, 32, v54
	v_subrev_u32_e32 v54, 28, v57
	v_lshlrev_b64 v[54:55], v54, v[28:29]
	v_lshrrev_b32_e32 v56, 3, v26
	v_sub_u32_e32 v55, 29, v57
	v_and_b32_e32 v54, 7, v54
	v_cmp_gt_u32_e32 vcc, 8, v26
	v_cndmask_b32_e32 v26, v56, v55, vcc
	v_cndmask_b32_e32 v30, v30, v54, vcc
	v_lshlrev_b32_e32 v28, 24, v28
	v_lshlrev_b32_e32 v30, 20, v30
	v_and_b32_e32 v28, 0x80000000, v28
	v_lshl_add_u32 v26, v26, 23, v38
	v_or3_b32 v54, v28, v26, v30
.LBB642_111:                            ;   in Loop: Header=BB642_17 Depth=1
	s_or_b64 exec, exec, s[10:11]
.LBB642_112:                            ;   in Loop: Header=BB642_17 Depth=1
	s_or_b64 exec, exec, s[6:7]
.LBB642_113:                            ;   in Loop: Header=BB642_17 Depth=1
	s_or_b64 exec, exec, s[4:5]
	v_cvt_pkrtz_f16_f32 v57, v32, v44
	buffer_load_dword v32, v36, s[0:3], 0 offen offset:16
	buffer_load_dword v30, v36, s[0:3], 0 offen offset:20
	;; [unrolled: 1-line block ×4, first 2 shown]
	v_cvt_pkrtz_f16_f32 v56, v34, v40
	s_waitcnt vmcnt(3)
	v_cmp_ne_u16_sdwa s[6:7], v32, v35 src0_sel:BYTE_0 src1_sel:DWORD
	v_mfma_f32_16x16x16f16 v[18:21], v[56:57], v[6:7], v[18:21]
	v_cvt_pkrtz_f16_f32 v56, v42, v53
	v_cvt_pkrtz_f16_f32 v57, v52, v54
	s_nop 1
	v_mfma_f32_16x16x16f16 v[18:21], v[56:57], v[8:9], v[18:21]
	s_and_saveexec_b64 s[4:5], s[6:7]
	s_cbranch_execz .LBB642_119
; %bb.114:                              ;   in Loop: Header=BB642_17 Depth=1
	v_cmp_ne_u16_sdwa s[10:11], v32, s13 src0_sel:BYTE_0 src1_sel:DWORD
	v_bfrev_b32_e32 v23, 1
	s_and_saveexec_b64 s[6:7], s[10:11]
	s_cbranch_execz .LBB642_118
; %bb.115:                              ;   in Loop: Header=BB642_17 Depth=1
	v_and_b32_e32 v34, 0x7f, v32
	v_cmp_ne_u32_e32 vcc, s14, v34
	v_mov_b32_e32 v23, 0x7f800001
	s_and_saveexec_b64 s[10:11], vcc
	s_cbranch_execz .LBB642_117
; %bb.116:                              ;   in Loop: Header=BB642_17 Depth=1
	v_and_b32_e32 v23, 7, v32
	v_ffbh_u32_e32 v42, v23
	v_min_u32_e32 v42, 32, v42
	v_subrev_u32_e32 v44, 28, v42
	v_lshlrev_b64 v[52:53], v44, v[32:33]
	v_lshrrev_b32_e32 v40, 3, v34
	v_sub_u32_e32 v42, 29, v42
	v_and_b32_e32 v44, 7, v52
	v_cmp_gt_u32_e32 vcc, 8, v34
	v_cndmask_b32_e32 v34, v40, v42, vcc
	v_cndmask_b32_e32 v23, v23, v44, vcc
	v_lshlrev_b32_e32 v40, 24, v32
	v_lshlrev_b32_e32 v23, 20, v23
	v_and_b32_e32 v40, 0x80000000, v40
	v_lshl_add_u32 v34, v34, 23, v38
	v_or3_b32 v23, v40, v34, v23
.LBB642_117:                            ;   in Loop: Header=BB642_17 Depth=1
	s_or_b64 exec, exec, s[10:11]
.LBB642_118:                            ;   in Loop: Header=BB642_17 Depth=1
	s_or_b64 exec, exec, s[6:7]
.LBB642_119:                            ;   in Loop: Header=BB642_17 Depth=1
	s_or_b64 exec, exec, s[4:5]
	v_lshrrev_b16_e32 v34, 8, v32
	v_cmp_ne_u16_e32 vcc, 0, v34
	v_mov_b32_e32 v40, 0
	v_mov_b32_e32 v42, 0
	s_and_saveexec_b64 s[4:5], vcc
	s_cbranch_execz .LBB642_125
; %bb.120:                              ;   in Loop: Header=BB642_17 Depth=1
	v_cmp_ne_u16_e32 vcc, s13, v34
	v_bfrev_b32_e32 v42, 1
	s_and_saveexec_b64 s[6:7], vcc
	s_cbranch_execz .LBB642_124
; %bb.121:                              ;   in Loop: Header=BB642_17 Depth=1
	v_and_b32_e32 v44, 0x7f, v34
	v_cmp_ne_u32_e32 vcc, s14, v44
	v_mov_b32_e32 v42, 0x7f800001
	s_and_saveexec_b64 s[10:11], vcc
	s_cbranch_execz .LBB642_123
; %bb.122:                              ;   in Loop: Header=BB642_17 Depth=1
	v_and_b32_e32 v42, 7, v34
	v_ffbh_u32_e32 v52, v42
	v_min_u32_e32 v55, 32, v52
	v_subrev_u32_e32 v52, 28, v55
	v_lshlrev_b64 v[52:53], v52, v[34:35]
	v_lshrrev_b32_e32 v54, 3, v44
	v_sub_u32_e32 v34, 29, v55
	v_and_b32_e32 v52, 7, v52
	v_cmp_gt_u32_e32 vcc, 8, v44
	v_cndmask_b32_e32 v34, v54, v34, vcc
	v_cndmask_b32_e32 v42, v42, v52, vcc
	v_lshlrev_b32_e32 v44, 16, v32
	v_lshlrev_b32_e32 v42, 20, v42
	v_and_b32_e32 v44, 0x80000000, v44
	v_lshl_add_u32 v34, v34, 23, v38
	v_or3_b32 v42, v44, v34, v42
.LBB642_123:                            ;   in Loop: Header=BB642_17 Depth=1
	s_or_b64 exec, exec, s[10:11]
.LBB642_124:                            ;   in Loop: Header=BB642_17 Depth=1
	s_or_b64 exec, exec, s[6:7]
.LBB642_125:                            ;   in Loop: Header=BB642_17 Depth=1
	s_or_b64 exec, exec, s[4:5]
	v_lshrrev_b32_e32 v34, 16, v32
	v_cmp_ne_u16_sdwa s[6:7], v34, v35 src0_sel:BYTE_0 src1_sel:DWORD
	s_and_saveexec_b64 s[4:5], s[6:7]
	s_cbranch_execz .LBB642_131
; %bb.126:                              ;   in Loop: Header=BB642_17 Depth=1
	v_cmp_ne_u16_sdwa s[10:11], v34, s13 src0_sel:BYTE_0 src1_sel:DWORD
	v_bfrev_b32_e32 v40, 1
	s_and_saveexec_b64 s[6:7], s[10:11]
	s_cbranch_execz .LBB642_130
; %bb.127:                              ;   in Loop: Header=BB642_17 Depth=1
	v_bfe_u32 v44, v32, 16, 7
	v_cmp_ne_u32_e32 vcc, s14, v44
	v_mov_b32_e32 v40, 0x7f800001
	s_and_saveexec_b64 s[10:11], vcc
	s_cbranch_execz .LBB642_129
; %bb.128:                              ;   in Loop: Header=BB642_17 Depth=1
	v_and_b32_e32 v40, 7, v34
	v_ffbh_u32_e32 v52, v40
	v_min_u32_e32 v55, 32, v52
	v_subrev_u32_e32 v52, 28, v55
	v_lshlrev_b64 v[52:53], v52, v[34:35]
	v_lshrrev_b32_e32 v54, 3, v44
	v_sub_u32_e32 v53, 29, v55
	v_and_b32_e32 v52, 7, v52
	v_cmp_gt_u32_e32 vcc, 8, v44
	v_cndmask_b32_e32 v44, v54, v53, vcc
	v_cndmask_b32_e32 v40, v40, v52, vcc
	v_lshlrev_b32_e32 v34, 24, v34
	v_lshlrev_b32_e32 v40, 20, v40
	v_and_b32_e32 v34, 0x80000000, v34
	v_lshl_add_u32 v44, v44, 23, v38
	v_or3_b32 v40, v34, v44, v40
.LBB642_129:                            ;   in Loop: Header=BB642_17 Depth=1
	s_or_b64 exec, exec, s[10:11]
.LBB642_130:                            ;   in Loop: Header=BB642_17 Depth=1
	s_or_b64 exec, exec, s[6:7]
.LBB642_131:                            ;   in Loop: Header=BB642_17 Depth=1
	s_or_b64 exec, exec, s[4:5]
	v_cmp_lt_u32_e32 vcc, s15, v32
	v_mov_b32_e32 v44, 0
	v_mov_b32_e32 v52, 0
	s_and_saveexec_b64 s[4:5], vcc
	s_cbranch_execz .LBB642_137
; %bb.132:                              ;   in Loop: Header=BB642_17 Depth=1
	v_lshrrev_b32_e32 v34, 24, v32
	v_cmp_ne_u32_e32 vcc, s13, v34
	v_bfrev_b32_e32 v52, 1
	s_and_saveexec_b64 s[6:7], vcc
	s_cbranch_execz .LBB642_136
; %bb.133:                              ;   in Loop: Header=BB642_17 Depth=1
	v_bfe_u32 v32, v32, 24, 7
	v_cmp_ne_u32_e32 vcc, s14, v32
	v_mov_b32_e32 v52, 0x7f800001
	s_and_saveexec_b64 s[10:11], vcc
	s_cbranch_execz .LBB642_135
; %bb.134:                              ;   in Loop: Header=BB642_17 Depth=1
	v_and_b32_e32 v54, 7, v34
	v_ffbh_u32_e32 v52, v54
	v_min_u32_e32 v56, 32, v52
	v_subrev_u32_e32 v52, 28, v56
	v_lshlrev_b64 v[52:53], v52, v[34:35]
	v_lshrrev_b32_e32 v55, 3, v32
	v_sub_u32_e32 v53, 29, v56
	v_and_b32_e32 v52, 7, v52
	v_cmp_gt_u32_e32 vcc, 8, v32
	v_cndmask_b32_e32 v32, v55, v53, vcc
	v_cndmask_b32_e32 v52, v54, v52, vcc
	v_lshlrev_b32_e32 v34, 24, v34
	v_lshlrev_b32_e32 v52, 20, v52
	v_and_b32_e32 v34, 0x80000000, v34
	v_lshl_add_u32 v32, v32, 23, v38
	v_or3_b32 v52, v34, v32, v52
.LBB642_135:                            ;   in Loop: Header=BB642_17 Depth=1
	s_or_b64 exec, exec, s[10:11]
.LBB642_136:                            ;   in Loop: Header=BB642_17 Depth=1
	s_or_b64 exec, exec, s[6:7]
.LBB642_137:                            ;   in Loop: Header=BB642_17 Depth=1
	s_or_b64 exec, exec, s[4:5]
	s_waitcnt vmcnt(2)
	v_cmp_ne_u16_sdwa s[6:7], v30, v35 src0_sel:BYTE_0 src1_sel:DWORD
	s_and_saveexec_b64 s[4:5], s[6:7]
	s_cbranch_execz .LBB642_143
; %bb.138:                              ;   in Loop: Header=BB642_17 Depth=1
	v_cmp_ne_u16_sdwa s[10:11], v30, s13 src0_sel:BYTE_0 src1_sel:DWORD
	v_bfrev_b32_e32 v44, 1
	s_and_saveexec_b64 s[6:7], s[10:11]
	s_cbranch_execz .LBB642_142
; %bb.139:                              ;   in Loop: Header=BB642_17 Depth=1
	v_and_b32_e32 v32, 0x7f, v30
	v_cmp_ne_u32_e32 vcc, s14, v32
	v_mov_b32_e32 v44, 0x7f800001
	s_and_saveexec_b64 s[10:11], vcc
	s_cbranch_execz .LBB642_141
; %bb.140:                              ;   in Loop: Header=BB642_17 Depth=1
	v_and_b32_e32 v34, 7, v30
	v_ffbh_u32_e32 v53, v34
	v_min_u32_e32 v53, 32, v53
	v_subrev_u32_e32 v54, 28, v53
	v_lshlrev_b64 v[54:55], v54, v[30:31]
	v_lshrrev_b32_e32 v44, 3, v32
	v_sub_u32_e32 v53, 29, v53
	v_and_b32_e32 v54, 7, v54
	v_cmp_gt_u32_e32 vcc, 8, v32
	v_cndmask_b32_e32 v32, v44, v53, vcc
	v_cndmask_b32_e32 v34, v34, v54, vcc
	v_lshlrev_b32_e32 v44, 24, v30
	v_lshlrev_b32_e32 v34, 20, v34
	v_and_b32_e32 v44, 0x80000000, v44
	v_lshl_add_u32 v32, v32, 23, v38
	v_or3_b32 v44, v44, v32, v34
.LBB642_141:                            ;   in Loop: Header=BB642_17 Depth=1
	s_or_b64 exec, exec, s[10:11]
.LBB642_142:                            ;   in Loop: Header=BB642_17 Depth=1
	s_or_b64 exec, exec, s[6:7]
.LBB642_143:                            ;   in Loop: Header=BB642_17 Depth=1
	s_or_b64 exec, exec, s[4:5]
	v_lshrrev_b16_e32 v32, 8, v30
	v_cmp_ne_u16_e32 vcc, 0, v32
	v_mov_b32_e32 v53, 0
	v_mov_b32_e32 v54, 0
	s_and_saveexec_b64 s[4:5], vcc
	s_cbranch_execz .LBB642_149
; %bb.144:                              ;   in Loop: Header=BB642_17 Depth=1
	v_cmp_ne_u16_e32 vcc, s13, v32
	v_bfrev_b32_e32 v54, 1
	s_and_saveexec_b64 s[6:7], vcc
	s_cbranch_execz .LBB642_148
; %bb.145:                              ;   in Loop: Header=BB642_17 Depth=1
	v_and_b32_e32 v34, 0x7f, v32
	v_cmp_ne_u32_e32 vcc, s14, v34
	v_mov_b32_e32 v54, 0x7f800001
	s_and_saveexec_b64 s[10:11], vcc
	s_cbranch_execz .LBB642_147
; %bb.146:                              ;   in Loop: Header=BB642_17 Depth=1
	v_and_b32_e32 v56, 7, v32
	v_ffbh_u32_e32 v54, v56
	v_min_u32_e32 v58, 32, v54
	v_subrev_u32_e32 v54, 28, v58
	v_lshlrev_b64 v[54:55], v54, v[32:33]
	v_lshrrev_b32_e32 v57, 3, v34
	v_sub_u32_e32 v32, 29, v58
	v_and_b32_e32 v54, 7, v54
	v_cmp_gt_u32_e32 vcc, 8, v34
	v_cndmask_b32_e32 v32, v57, v32, vcc
	v_cndmask_b32_e32 v34, v56, v54, vcc
	v_lshlrev_b32_e32 v54, 16, v30
	v_lshlrev_b32_e32 v34, 20, v34
	v_and_b32_e32 v54, 0x80000000, v54
	v_lshl_add_u32 v32, v32, 23, v38
	v_or3_b32 v54, v54, v32, v34
.LBB642_147:                            ;   in Loop: Header=BB642_17 Depth=1
	s_or_b64 exec, exec, s[10:11]
.LBB642_148:                            ;   in Loop: Header=BB642_17 Depth=1
	s_or_b64 exec, exec, s[6:7]
.LBB642_149:                            ;   in Loop: Header=BB642_17 Depth=1
	s_or_b64 exec, exec, s[4:5]
	v_lshrrev_b32_e32 v32, 16, v30
	v_cmp_ne_u16_sdwa s[6:7], v32, v35 src0_sel:BYTE_0 src1_sel:DWORD
	s_and_saveexec_b64 s[4:5], s[6:7]
	s_cbranch_execz .LBB642_155
; %bb.150:                              ;   in Loop: Header=BB642_17 Depth=1
	v_cmp_ne_u16_sdwa s[10:11], v32, s13 src0_sel:BYTE_0 src1_sel:DWORD
	v_bfrev_b32_e32 v53, 1
	s_and_saveexec_b64 s[6:7], s[10:11]
	s_cbranch_execz .LBB642_154
; %bb.151:                              ;   in Loop: Header=BB642_17 Depth=1
	v_bfe_u32 v34, v30, 16, 7
	v_cmp_ne_u32_e32 vcc, s14, v34
	v_mov_b32_e32 v53, 0x7f800001
	s_and_saveexec_b64 s[10:11], vcc
	s_cbranch_execz .LBB642_153
; %bb.152:                              ;   in Loop: Header=BB642_17 Depth=1
	v_and_b32_e32 v53, 7, v32
	v_ffbh_u32_e32 v56, v53
	v_min_u32_e32 v58, 32, v56
	v_subrev_u32_e32 v56, 28, v58
	v_lshlrev_b64 v[56:57], v56, v[32:33]
	v_lshrrev_b32_e32 v55, 3, v34
	v_sub_u32_e32 v57, 29, v58
	v_and_b32_e32 v56, 7, v56
	v_cmp_gt_u32_e32 vcc, 8, v34
	v_cndmask_b32_e32 v34, v55, v57, vcc
	v_cndmask_b32_e32 v53, v53, v56, vcc
	v_lshlrev_b32_e32 v32, 24, v32
	v_lshlrev_b32_e32 v53, 20, v53
	v_and_b32_e32 v32, 0x80000000, v32
	v_lshl_add_u32 v34, v34, 23, v38
	v_or3_b32 v53, v32, v34, v53
.LBB642_153:                            ;   in Loop: Header=BB642_17 Depth=1
	s_or_b64 exec, exec, s[10:11]
.LBB642_154:                            ;   in Loop: Header=BB642_17 Depth=1
	s_or_b64 exec, exec, s[6:7]
.LBB642_155:                            ;   in Loop: Header=BB642_17 Depth=1
	s_or_b64 exec, exec, s[4:5]
	v_cmp_lt_u32_e32 vcc, s15, v30
	v_mov_b32_e32 v34, 0
	v_mov_b32_e32 v55, 0
	s_and_saveexec_b64 s[4:5], vcc
	s_cbranch_execz .LBB642_161
; %bb.156:                              ;   in Loop: Header=BB642_17 Depth=1
	v_lshrrev_b32_e32 v32, 24, v30
	v_cmp_ne_u32_e32 vcc, s13, v32
	v_bfrev_b32_e32 v55, 1
	s_and_saveexec_b64 s[6:7], vcc
	s_cbranch_execz .LBB642_160
; %bb.157:                              ;   in Loop: Header=BB642_17 Depth=1
	v_bfe_u32 v30, v30, 24, 7
	v_cmp_ne_u32_e32 vcc, s14, v30
	v_mov_b32_e32 v55, 0x7f800001
	s_and_saveexec_b64 s[10:11], vcc
	s_cbranch_execz .LBB642_159
; %bb.158:                              ;   in Loop: Header=BB642_17 Depth=1
	v_and_b32_e32 v55, 7, v32
	v_ffbh_u32_e32 v56, v55
	v_min_u32_e32 v59, 32, v56
	v_subrev_u32_e32 v56, 28, v59
	v_lshlrev_b64 v[56:57], v56, v[32:33]
	v_lshrrev_b32_e32 v58, 3, v30
	v_sub_u32_e32 v57, 29, v59
	v_and_b32_e32 v56, 7, v56
	v_cmp_gt_u32_e32 vcc, 8, v30
	v_cndmask_b32_e32 v30, v58, v57, vcc
	v_cndmask_b32_e32 v55, v55, v56, vcc
	v_lshlrev_b32_e32 v32, 24, v32
	v_lshlrev_b32_e32 v55, 20, v55
	v_and_b32_e32 v32, 0x80000000, v32
	v_lshl_add_u32 v30, v30, 23, v38
	v_or3_b32 v55, v32, v30, v55
.LBB642_159:                            ;   in Loop: Header=BB642_17 Depth=1
	s_or_b64 exec, exec, s[10:11]
.LBB642_160:                            ;   in Loop: Header=BB642_17 Depth=1
	s_or_b64 exec, exec, s[6:7]
.LBB642_161:                            ;   in Loop: Header=BB642_17 Depth=1
	s_or_b64 exec, exec, s[4:5]
	v_cvt_pkrtz_f16_f32 v56, v23, v42
	v_cvt_pkrtz_f16_f32 v57, v40, v52
	;; [unrolled: 1-line block ×4, first 2 shown]
	s_waitcnt vmcnt(1)
	v_cmp_ne_u16_sdwa s[6:7], v28, v35 src0_sel:BYTE_0 src1_sel:DWORD
	v_mfma_f32_16x16x16f16 v[18:21], v[56:57], v[10:11], v[18:21]
	v_mfma_f32_16x16x16f16 v[18:21], v[52:53], v[12:13], v[18:21]
	s_and_saveexec_b64 s[4:5], s[6:7]
	s_cbranch_execz .LBB642_167
; %bb.162:                              ;   in Loop: Header=BB642_17 Depth=1
	v_cmp_ne_u16_sdwa s[10:11], v28, s13 src0_sel:BYTE_0 src1_sel:DWORD
	v_bfrev_b32_e32 v34, 1
	s_and_saveexec_b64 s[6:7], s[10:11]
	s_cbranch_execz .LBB642_166
; %bb.163:                              ;   in Loop: Header=BB642_17 Depth=1
	v_and_b32_e32 v23, 0x7f, v28
	v_cmp_ne_u32_e32 vcc, s14, v23
	v_mov_b32_e32 v34, 0x7f800001
	s_and_saveexec_b64 s[10:11], vcc
	s_cbranch_execz .LBB642_165
; %bb.164:                              ;   in Loop: Header=BB642_17 Depth=1
	v_and_b32_e32 v30, 7, v28
	v_ffbh_u32_e32 v34, v30
	v_min_u32_e32 v34, 32, v34
	v_subrev_u32_e32 v40, 28, v34
	v_lshlrev_b64 v[52:53], v40, v[28:29]
	v_lshrrev_b32_e32 v32, 3, v23
	v_sub_u32_e32 v34, 29, v34
	v_and_b32_e32 v40, 7, v52
	v_cmp_gt_u32_e32 vcc, 8, v23
	v_cndmask_b32_e32 v23, v32, v34, vcc
	v_cndmask_b32_e32 v30, v30, v40, vcc
	v_lshlrev_b32_e32 v32, 24, v28
	v_lshlrev_b32_e32 v30, 20, v30
	v_and_b32_e32 v32, 0x80000000, v32
	v_lshl_add_u32 v23, v23, 23, v38
	v_or3_b32 v34, v32, v23, v30
.LBB642_165:                            ;   in Loop: Header=BB642_17 Depth=1
	s_or_b64 exec, exec, s[10:11]
.LBB642_166:                            ;   in Loop: Header=BB642_17 Depth=1
	s_or_b64 exec, exec, s[6:7]
.LBB642_167:                            ;   in Loop: Header=BB642_17 Depth=1
	s_or_b64 exec, exec, s[4:5]
	v_lshrrev_b16_e32 v30, 8, v28
	v_cmp_ne_u16_e32 vcc, 0, v30
	v_mov_b32_e32 v23, 0
	v_mov_b32_e32 v32, 0
	s_and_saveexec_b64 s[4:5], vcc
	s_cbranch_execz .LBB642_173
; %bb.168:                              ;   in Loop: Header=BB642_17 Depth=1
	v_cmp_ne_u16_e32 vcc, s13, v30
	v_bfrev_b32_e32 v32, 1
	s_and_saveexec_b64 s[6:7], vcc
	s_cbranch_execz .LBB642_172
; %bb.169:                              ;   in Loop: Header=BB642_17 Depth=1
	v_and_b32_e32 v40, 0x7f, v30
	v_cmp_ne_u32_e32 vcc, s14, v40
	v_mov_b32_e32 v32, 0x7f800001
	s_and_saveexec_b64 s[10:11], vcc
	s_cbranch_execz .LBB642_171
; %bb.170:                              ;   in Loop: Header=BB642_17 Depth=1
	v_and_b32_e32 v32, 7, v30
	v_ffbh_u32_e32 v44, v32
	v_min_u32_e32 v44, 32, v44
	v_subrev_u32_e32 v52, 28, v44
	v_lshlrev_b64 v[52:53], v52, v[30:31]
	v_lshrrev_b32_e32 v42, 3, v40
	v_sub_u32_e32 v30, 29, v44
	v_and_b32_e32 v44, 7, v52
	v_cmp_gt_u32_e32 vcc, 8, v40
	v_cndmask_b32_e32 v30, v42, v30, vcc
	v_cndmask_b32_e32 v32, v32, v44, vcc
	v_lshlrev_b32_e32 v40, 16, v28
	v_lshlrev_b32_e32 v32, 20, v32
	v_and_b32_e32 v40, 0x80000000, v40
	v_lshl_add_u32 v30, v30, 23, v38
	v_or3_b32 v32, v40, v30, v32
.LBB642_171:                            ;   in Loop: Header=BB642_17 Depth=1
	s_or_b64 exec, exec, s[10:11]
.LBB642_172:                            ;   in Loop: Header=BB642_17 Depth=1
	s_or_b64 exec, exec, s[6:7]
.LBB642_173:                            ;   in Loop: Header=BB642_17 Depth=1
	s_or_b64 exec, exec, s[4:5]
	v_lshrrev_b32_e32 v30, 16, v28
	v_cmp_ne_u16_sdwa s[6:7], v30, v35 src0_sel:BYTE_0 src1_sel:DWORD
	s_and_saveexec_b64 s[4:5], s[6:7]
	s_cbranch_execz .LBB642_179
; %bb.174:                              ;   in Loop: Header=BB642_17 Depth=1
	v_cmp_ne_u16_sdwa s[10:11], v30, s13 src0_sel:BYTE_0 src1_sel:DWORD
	v_bfrev_b32_e32 v23, 1
	s_and_saveexec_b64 s[6:7], s[10:11]
	s_cbranch_execz .LBB642_178
; %bb.175:                              ;   in Loop: Header=BB642_17 Depth=1
	v_bfe_u32 v40, v28, 16, 7
	v_cmp_ne_u32_e32 vcc, s14, v40
	v_mov_b32_e32 v23, 0x7f800001
	s_and_saveexec_b64 s[10:11], vcc
	s_cbranch_execz .LBB642_177
; %bb.176:                              ;   in Loop: Header=BB642_17 Depth=1
	v_and_b32_e32 v23, 7, v30
	v_ffbh_u32_e32 v44, v23
	v_min_u32_e32 v44, 32, v44
	v_subrev_u32_e32 v52, 28, v44
	v_lshlrev_b64 v[52:53], v52, v[30:31]
	v_lshrrev_b32_e32 v42, 3, v40
	v_sub_u32_e32 v44, 29, v44
	v_and_b32_e32 v52, 7, v52
	v_cmp_gt_u32_e32 vcc, 8, v40
	v_cndmask_b32_e32 v40, v42, v44, vcc
	v_cndmask_b32_e32 v23, v23, v52, vcc
	v_lshlrev_b32_e32 v30, 24, v30
	v_lshlrev_b32_e32 v23, 20, v23
	v_and_b32_e32 v30, 0x80000000, v30
	v_lshl_add_u32 v40, v40, 23, v38
	v_or3_b32 v23, v30, v40, v23
.LBB642_177:                            ;   in Loop: Header=BB642_17 Depth=1
	s_or_b64 exec, exec, s[10:11]
.LBB642_178:                            ;   in Loop: Header=BB642_17 Depth=1
	s_or_b64 exec, exec, s[6:7]
.LBB642_179:                            ;   in Loop: Header=BB642_17 Depth=1
	s_or_b64 exec, exec, s[4:5]
	v_cmp_lt_u32_e32 vcc, s15, v28
	v_mov_b32_e32 v40, 0
	v_mov_b32_e32 v42, 0
	s_and_saveexec_b64 s[4:5], vcc
	s_cbranch_execz .LBB642_185
; %bb.180:                              ;   in Loop: Header=BB642_17 Depth=1
	v_lshrrev_b32_e32 v30, 24, v28
	v_cmp_ne_u32_e32 vcc, s13, v30
	v_bfrev_b32_e32 v42, 1
	s_and_saveexec_b64 s[6:7], vcc
	s_cbranch_execz .LBB642_184
; %bb.181:                              ;   in Loop: Header=BB642_17 Depth=1
	v_bfe_u32 v28, v28, 24, 7
	v_cmp_ne_u32_e32 vcc, s14, v28
	v_mov_b32_e32 v42, 0x7f800001
	s_and_saveexec_b64 s[10:11], vcc
	s_cbranch_execz .LBB642_183
; %bb.182:                              ;   in Loop: Header=BB642_17 Depth=1
	v_and_b32_e32 v42, 7, v30
	v_ffbh_u32_e32 v52, v42
	v_min_u32_e32 v54, 32, v52
	v_subrev_u32_e32 v52, 28, v54
	v_lshlrev_b64 v[52:53], v52, v[30:31]
	v_lshrrev_b32_e32 v44, 3, v28
	v_sub_u32_e32 v53, 29, v54
	v_and_b32_e32 v52, 7, v52
	v_cmp_gt_u32_e32 vcc, 8, v28
	v_cndmask_b32_e32 v28, v44, v53, vcc
	v_cndmask_b32_e32 v42, v42, v52, vcc
	v_lshlrev_b32_e32 v30, 24, v30
	v_lshlrev_b32_e32 v42, 20, v42
	v_and_b32_e32 v30, 0x80000000, v30
	v_lshl_add_u32 v28, v28, 23, v38
	v_or3_b32 v42, v30, v28, v42
.LBB642_183:                            ;   in Loop: Header=BB642_17 Depth=1
	s_or_b64 exec, exec, s[10:11]
.LBB642_184:                            ;   in Loop: Header=BB642_17 Depth=1
	s_or_b64 exec, exec, s[6:7]
.LBB642_185:                            ;   in Loop: Header=BB642_17 Depth=1
	s_or_b64 exec, exec, s[4:5]
	s_waitcnt vmcnt(0)
	v_cmp_ne_u16_sdwa s[6:7], v26, v35 src0_sel:BYTE_0 src1_sel:DWORD
	s_and_saveexec_b64 s[4:5], s[6:7]
	s_cbranch_execz .LBB642_191
; %bb.186:                              ;   in Loop: Header=BB642_17 Depth=1
	v_cmp_ne_u16_sdwa s[10:11], v26, s13 src0_sel:BYTE_0 src1_sel:DWORD
	v_bfrev_b32_e32 v40, 1
	s_and_saveexec_b64 s[6:7], s[10:11]
	s_cbranch_execz .LBB642_190
; %bb.187:                              ;   in Loop: Header=BB642_17 Depth=1
	v_and_b32_e32 v28, 0x7f, v26
	v_cmp_ne_u32_e32 vcc, s14, v28
	v_mov_b32_e32 v40, 0x7f800001
	s_and_saveexec_b64 s[10:11], vcc
	s_cbranch_execz .LBB642_189
; %bb.188:                              ;   in Loop: Header=BB642_17 Depth=1
	v_and_b32_e32 v30, 7, v26
	v_ffbh_u32_e32 v44, v30
	v_min_u32_e32 v44, 32, v44
	v_subrev_u32_e32 v52, 28, v44
	v_lshlrev_b64 v[52:53], v52, v[26:27]
	v_lshrrev_b32_e32 v40, 3, v28
	v_sub_u32_e32 v44, 29, v44
	v_and_b32_e32 v52, 7, v52
	v_cmp_gt_u32_e32 vcc, 8, v28
	v_cndmask_b32_e32 v28, v40, v44, vcc
	v_cndmask_b32_e32 v30, v30, v52, vcc
	v_lshlrev_b32_e32 v40, 24, v26
	v_lshlrev_b32_e32 v30, 20, v30
	v_and_b32_e32 v40, 0x80000000, v40
	v_lshl_add_u32 v28, v28, 23, v38
	v_or3_b32 v40, v40, v28, v30
.LBB642_189:                            ;   in Loop: Header=BB642_17 Depth=1
	s_or_b64 exec, exec, s[10:11]
.LBB642_190:                            ;   in Loop: Header=BB642_17 Depth=1
	s_or_b64 exec, exec, s[6:7]
.LBB642_191:                            ;   in Loop: Header=BB642_17 Depth=1
	s_or_b64 exec, exec, s[4:5]
	v_lshrrev_b16_e32 v28, 8, v26
	v_cmp_ne_u16_e32 vcc, 0, v28
	v_mov_b32_e32 v30, 0
	v_mov_b32_e32 v44, 0
	s_and_saveexec_b64 s[4:5], vcc
	s_cbranch_execz .LBB642_197
; %bb.192:                              ;   in Loop: Header=BB642_17 Depth=1
	v_cmp_ne_u16_e32 vcc, s13, v28
	v_bfrev_b32_e32 v44, 1
	s_and_saveexec_b64 s[6:7], vcc
	s_cbranch_execz .LBB642_196
; %bb.193:                              ;   in Loop: Header=BB642_17 Depth=1
	v_and_b32_e32 v52, 0x7f, v28
	v_cmp_ne_u32_e32 vcc, s14, v52
	v_mov_b32_e32 v44, 0x7f800001
	s_and_saveexec_b64 s[10:11], vcc
	s_cbranch_execz .LBB642_195
; %bb.194:                              ;   in Loop: Header=BB642_17 Depth=1
	v_and_b32_e32 v44, 7, v28
	v_ffbh_u32_e32 v54, v44
	v_min_u32_e32 v56, 32, v54
	v_subrev_u32_e32 v54, 28, v56
	v_lshlrev_b64 v[54:55], v54, v[28:29]
	v_lshrrev_b32_e32 v53, 3, v52
	v_sub_u32_e32 v28, 29, v56
	v_and_b32_e32 v54, 7, v54
	v_cmp_gt_u32_e32 vcc, 8, v52
	v_cndmask_b32_e32 v28, v53, v28, vcc
	v_cndmask_b32_e32 v44, v44, v54, vcc
	v_lshlrev_b32_e32 v52, 16, v26
	v_lshlrev_b32_e32 v44, 20, v44
	v_and_b32_e32 v52, 0x80000000, v52
	v_lshl_add_u32 v28, v28, 23, v38
	v_or3_b32 v44, v52, v28, v44
.LBB642_195:                            ;   in Loop: Header=BB642_17 Depth=1
	s_or_b64 exec, exec, s[10:11]
.LBB642_196:                            ;   in Loop: Header=BB642_17 Depth=1
	s_or_b64 exec, exec, s[6:7]
.LBB642_197:                            ;   in Loop: Header=BB642_17 Depth=1
	s_or_b64 exec, exec, s[4:5]
	v_lshrrev_b32_e32 v28, 16, v26
	v_cmp_ne_u16_sdwa s[6:7], v28, v35 src0_sel:BYTE_0 src1_sel:DWORD
	s_and_saveexec_b64 s[4:5], s[6:7]
	s_cbranch_execz .LBB642_203
; %bb.198:                              ;   in Loop: Header=BB642_17 Depth=1
	v_cmp_ne_u16_sdwa s[10:11], v28, s13 src0_sel:BYTE_0 src1_sel:DWORD
	v_bfrev_b32_e32 v30, 1
	s_and_saveexec_b64 s[6:7], s[10:11]
	s_cbranch_execz .LBB642_202
; %bb.199:                              ;   in Loop: Header=BB642_17 Depth=1
	v_bfe_u32 v52, v26, 16, 7
	v_cmp_ne_u32_e32 vcc, s14, v52
	v_mov_b32_e32 v30, 0x7f800001
	s_and_saveexec_b64 s[10:11], vcc
	s_cbranch_execz .LBB642_201
; %bb.200:                              ;   in Loop: Header=BB642_17 Depth=1
	v_and_b32_e32 v30, 7, v28
	v_ffbh_u32_e32 v54, v30
	v_min_u32_e32 v56, 32, v54
	v_subrev_u32_e32 v54, 28, v56
	v_lshlrev_b64 v[54:55], v54, v[28:29]
	v_lshrrev_b32_e32 v53, 3, v52
	v_sub_u32_e32 v55, 29, v56
	v_and_b32_e32 v54, 7, v54
	v_cmp_gt_u32_e32 vcc, 8, v52
	v_cndmask_b32_e32 v52, v53, v55, vcc
	v_cndmask_b32_e32 v30, v30, v54, vcc
	v_lshlrev_b32_e32 v28, 24, v28
	v_lshlrev_b32_e32 v30, 20, v30
	v_and_b32_e32 v28, 0x80000000, v28
	v_lshl_add_u32 v52, v52, 23, v38
	v_or3_b32 v30, v28, v52, v30
.LBB642_201:                            ;   in Loop: Header=BB642_17 Depth=1
	s_or_b64 exec, exec, s[10:11]
.LBB642_202:                            ;   in Loop: Header=BB642_17 Depth=1
	s_or_b64 exec, exec, s[6:7]
.LBB642_203:                            ;   in Loop: Header=BB642_17 Depth=1
	s_or_b64 exec, exec, s[4:5]
	v_cmp_lt_u32_e32 vcc, s15, v26
	v_mov_b32_e32 v52, 0
	s_and_saveexec_b64 s[4:5], vcc
	s_cbranch_execz .LBB642_16
; %bb.204:                              ;   in Loop: Header=BB642_17 Depth=1
	v_lshrrev_b32_e32 v28, 24, v26
	v_cmp_ne_u32_e32 vcc, s13, v28
	v_bfrev_b32_e32 v52, 1
	s_and_saveexec_b64 s[6:7], vcc
	s_cbranch_execz .LBB642_15
; %bb.205:                              ;   in Loop: Header=BB642_17 Depth=1
	v_bfe_u32 v26, v26, 24, 7
	v_cmp_ne_u32_e32 vcc, s14, v26
	v_mov_b32_e32 v52, 0x7f800001
	s_and_saveexec_b64 s[10:11], vcc
	s_cbranch_execz .LBB642_14
; %bb.206:                              ;   in Loop: Header=BB642_17 Depth=1
	v_and_b32_e32 v54, 7, v28
	v_ffbh_u32_e32 v52, v54
	v_min_u32_e32 v56, 32, v52
	v_subrev_u32_e32 v52, 28, v56
	v_lshlrev_b64 v[52:53], v52, v[28:29]
	v_lshrrev_b32_e32 v55, 3, v26
	v_sub_u32_e32 v53, 29, v56
	v_and_b32_e32 v52, 7, v52
	v_cmp_gt_u32_e32 vcc, 8, v26
	v_cndmask_b32_e32 v26, v55, v53, vcc
	v_cndmask_b32_e32 v52, v54, v52, vcc
	v_lshlrev_b32_e32 v28, 24, v28
	v_lshlrev_b32_e32 v52, 20, v52
	v_and_b32_e32 v28, 0x80000000, v28
	v_lshl_add_u32 v26, v26, 23, v38
	v_or3_b32 v52, v28, v26, v52
	s_branch .LBB642_14
.LBB642_207:
	buffer_load_dword v17, off, s[0:3], 0 offset:256
	buffer_load_dword v16, off, s[0:3], 0 offset:260
	;; [unrolled: 1-line block ×16, first 2 shown]
	v_and_b32_e32 v18, 0xc0, v0
	v_add_u32_e32 v18, s20, v18
	v_lshl_or_b32 v18, v1, 2, v18
	v_or_b32_e32 v20, 1, v18
	v_subrev_u32_e32 v24, s33, v20
	v_add_u32_e32 v26, 1, v24
	v_cvt_f32_i32_e32 v25, v24
	v_add_u32_e32 v28, 2, v24
	v_add_u32_e32 v30, 3, v24
	;; [unrolled: 1-line block ×14, first 2 shown]
	v_cvt_f32_i32_e32 v26, v26
	v_cvt_f32_i32_e32 v28, v28
	;; [unrolled: 1-line block ×4, first 2 shown]
	v_mov_b32_e32 v19, 0xff7fffff
	v_or_b32_e32 v21, 2, v18
	v_or_b32_e32 v22, 3, v18
	v_cvt_f32_i32_e32 v32, v32
	v_cvt_f32_i32_e32 v34, v34
	v_cmp_gt_i32_e64 s[28:29], s33, v18
	v_cmp_gt_i32_e64 s[30:31], s33, v20
	s_mov_b32 s52, 0xff7fffff
	v_cmp_gt_i32_e64 s[34:35], s33, v21
	v_cmp_gt_i32_e64 s[36:37], s33, v22
	v_or_b32_e32 v23, 16, v18
	v_cvt_f32_i32_e32 v35, v35
	v_cvt_f32_i32_e32 v36, v36
	v_cmp_gt_i32_e64 s[24:25], s33, v23
	v_cvt_f32_i32_e32 v37, v37
	v_cvt_f32_i32_e32 v38, v38
	;; [unrolled: 1-line block ×7, first 2 shown]
	s_waitcnt vmcnt(15)
	v_fmac_f32_e32 v17, v31, v25
	s_waitcnt vmcnt(14)
	v_fmac_f32_e32 v16, v31, v26
	;; [unrolled: 2-line block ×4, first 2 shown]
	v_cndmask_b32_e64 v20, v19, v16, s[30:31]
	v_cndmask_b32_e64 v21, v19, v15, s[34:35]
	;; [unrolled: 1-line block ×3, first 2 shown]
	s_waitcnt vmcnt(11)
	v_fmac_f32_e32 v13, v31, v32
	s_waitcnt vmcnt(10)
	v_fmac_f32_e32 v12, v31, v34
	;; [unrolled: 2-line block ×9, first 2 shown]
	v_cndmask_b32_e64 v24, v19, v17, s[28:29]
	v_max3_f32 v20, v24, s52, v20
	v_max3_f32 v20, v20, v21, v22
	v_or_b32_e32 v22, 17, v18
	v_cmp_gt_i32_e64 s[38:39], s33, v22
	v_cndmask_b32_e64 v21, v19, v13, s[24:25]
	v_cndmask_b32_e64 v22, v19, v12, s[38:39]
	v_max3_f32 v20, v20, v21, v22
	v_or_b32_e32 v21, 18, v18
	v_or_b32_e32 v22, 19, v18
	v_cmp_gt_i32_e64 s[20:21], s33, v21
	v_cmp_gt_i32_e64 s[22:23], s33, v22
	v_cndmask_b32_e64 v21, v19, v11, s[20:21]
	v_cndmask_b32_e64 v22, v19, v10, s[22:23]
	v_max3_f32 v20, v20, v21, v22
	v_or_b32_e32 v21, 32, v18
	v_or_b32_e32 v22, 33, v18
	v_cmp_gt_i32_e64 s[16:17], s33, v21
	;; [unrolled: 7-line block ×3, first 2 shown]
	v_cmp_gt_i32_e64 s[14:15], s33, v22
	v_cndmask_b32_e64 v21, v19, v7, s[12:13]
	v_cndmask_b32_e64 v22, v19, v6, s[14:15]
	v_max3_f32 v20, v20, v21, v22
	v_or_b32_e32 v21, 48, v18
	v_or_b32_e32 v22, 49, v18
	v_fmac_f32_e32 v5, v31, v44
	v_fmac_f32_e32 v4, v31, v52
	v_cmp_gt_i32_e64 s[6:7], s33, v21
	v_cmp_gt_i32_e64 s[10:11], s33, v22
	v_cndmask_b32_e64 v21, v19, v5, s[6:7]
	v_cndmask_b32_e64 v22, v19, v4, s[10:11]
	v_max3_f32 v20, v20, v21, v22
	v_or_b32_e32 v21, 50, v18
	v_or_b32_e32 v18, 51, v18
	v_fmac_f32_e32 v3, v31, v53
	v_cmp_gt_i32_e32 vcc, s33, v21
	v_cmp_gt_i32_e64 s[4:5], s33, v18
	v_cndmask_b32_e32 v21, v19, v3, vcc
	v_cndmask_b32_e64 v18, v19, v2, s[4:5]
	v_mbcnt_lo_u32_b32 v19, -1, 0
	v_mbcnt_hi_u32_b32 v19, -1, v19
	v_max3_f32 v18, v20, v21, v18
	v_and_b32_e32 v20, 64, v19
	v_add_u32_e32 v20, 64, v20
	v_xor_b32_e32 v21, 32, v19
	v_cmp_lt_i32_e64 s[40:41], v21, v20
	v_cndmask_b32_e64 v21, v19, v21, s[40:41]
	v_lshlrev_b32_e32 v21, 2, v21
	ds_bpermute_b32 v22, v21, v18
	s_waitcnt lgkmcnt(0)
	v_max_f32_e32 v22, v22, v22
	v_max_f32_e32 v18, v18, v22
	v_xor_b32_e32 v22, 16, v19
	v_cmp_lt_i32_e64 s[40:41], v22, v20
	v_cndmask_b32_e64 v19, v19, v22, s[40:41]
	v_lshlrev_b32_e32 v19, 2, v19
	ds_bpermute_b32 v20, v19, v18
	s_waitcnt lgkmcnt(0)
	v_max_f32_e32 v20, v20, v20
	v_max_f32_e32 v18, v18, v20
	v_sub_f32_e32 v17, v17, v18
	v_mul_f32_e32 v17, 0x3fb8aa3b, v17
	v_sub_f32_e32 v16, v16, v18
	v_exp_f32_e32 v17, v17
	v_mul_f32_e32 v16, 0x3fb8aa3b, v16
	v_sub_f32_e32 v15, v15, v18
	v_exp_f32_e32 v16, v16
	;; [unrolled: 3-line block ×4, first 2 shown]
	v_mul_f32_e32 v13, 0x3fb8aa3b, v13
	v_sub_f32_e32 v12, v12, v18
	v_cndmask_b32_e64 v17, 0, v17, s[28:29]
	v_exp_f32_e32 v13, v13
	v_mul_f32_e32 v12, 0x3fb8aa3b, v12
	v_sub_f32_e32 v11, v11, v18
	v_add_f32_e32 v20, 0, v17
	v_cndmask_b32_e64 v16, 0, v16, s[30:31]
	v_exp_f32_e32 v12, v12
	v_mul_f32_e32 v11, 0x3fb8aa3b, v11
	v_sub_f32_e32 v10, v10, v18
	v_add_f32_e32 v20, v20, v16
	;; [unrolled: 5-line block ×4, first 2 shown]
	v_cndmask_b32_e64 v13, 0, v13, s[24:25]
	v_exp_f32_e32 v9, v9
	v_mul_f32_e32 v8, 0x3fb8aa3b, v8
	v_sub_f32_e32 v7, v7, v18
	buffer_store_dword v17, off, s[0:3], 0 offset:256
	buffer_store_dword v16, off, s[0:3], 0 offset:260
	;; [unrolled: 1-line block ×4, first 2 shown]
	v_add_f32_e32 v14, v20, v13
	v_cndmask_b32_e64 v12, 0, v12, s[38:39]
	v_exp_f32_e32 v8, v8
	v_mul_f32_e32 v7, 0x3fb8aa3b, v7
	v_sub_f32_e32 v6, v6, v18
	v_add_f32_e32 v14, v14, v12
	v_cndmask_b32_e64 v11, 0, v11, s[20:21]
	v_exp_f32_e32 v7, v7
	v_mul_f32_e32 v6, 0x3fb8aa3b, v6
	v_sub_f32_e32 v5, v5, v18
	;; [unrolled: 5-line block ×4, first 2 shown]
	buffer_store_dword v13, off, s[0:3], 0 offset:272
	buffer_store_dword v12, off, s[0:3], 0 offset:276
	;; [unrolled: 1-line block ×4, first 2 shown]
	v_add_f32_e32 v10, v14, v9
	v_cndmask_b32_e64 v8, 0, v8, s[18:19]
	v_exp_f32_e32 v4, v4
	v_mul_f32_e32 v3, 0x3fb8aa3b, v3
	v_sub_f32_e32 v2, v2, v18
	v_add_f32_e32 v10, v10, v8
	v_cndmask_b32_e64 v7, 0, v7, s[12:13]
	v_exp_f32_e32 v3, v3
	v_mul_f32_e32 v2, 0x3fb8aa3b, v2
	v_add_f32_e32 v10, v10, v7
	v_cndmask_b32_e64 v6, 0, v6, s[14:15]
	v_exp_f32_e32 v2, v2
	v_add_f32_e32 v10, v10, v6
	v_cndmask_b32_e64 v5, 0, v5, s[6:7]
	buffer_store_dword v9, off, s[0:3], 0 offset:288
	buffer_store_dword v8, off, s[0:3], 0 offset:292
	;; [unrolled: 1-line block ×4, first 2 shown]
	v_add_f32_e32 v6, v10, v5
	v_cndmask_b32_e64 v4, 0, v4, s[10:11]
	v_add_f32_e32 v6, v6, v4
	v_cndmask_b32_e32 v3, 0, v3, vcc
	v_add_f32_e32 v6, v6, v3
	v_cndmask_b32_e64 v2, 0, v2, s[4:5]
	v_add_f32_e32 v6, v6, v2
	ds_bpermute_b32 v7, v21, v6
	buffer_store_dword v5, off, s[0:3], 0 offset:304
	buffer_store_dword v4, off, s[0:3], 0 offset:308
	;; [unrolled: 1-line block ×4, first 2 shown]
	v_cmp_gt_u32_e64 s[4:5], 16, v33
	s_waitcnt lgkmcnt(0)
	s_barrier
	v_add_f32_e32 v2, v6, v7
	ds_bpermute_b32 v3, v19, v2
	s_waitcnt lgkmcnt(0)
	s_and_saveexec_b64 s[6:7], s[4:5]
	s_cbranch_execz .LBB642_209
; %bb.208:
	v_add_f32_e32 v2, v2, v3
	v_lshlrev_b32_e32 v3, 2, v29
	ds_write2st64_b32 v3, v18, v2 offset1:1
.LBB642_209:
	s_or_b64 exec, exec, s[6:7]
	v_lshlrev_b32_e32 v2, 2, v41
	s_waitcnt lgkmcnt(0)
	s_barrier
	ds_read2_b32 v[12:13], v2 offset1:16
	ds_read2_b32 v[14:15], v2 offset0:32 offset1:48
	ds_read2_b32 v[6:7], v2 offset0:64 offset1:80
	;; [unrolled: 1-line block ×3, first 2 shown]
	s_waitcnt lgkmcnt(0)
	s_barrier
	buffer_load_dword v20, off, s[0:3], 0 offset:256
	buffer_load_dword v21, off, s[0:3], 0 offset:260
	;; [unrolled: 1-line block ×16, first 2 shown]
	v_lshlrev_b32_e32 v19, 3, v1
	v_lshlrev_b32_e32 v18, 5, v41
	;; [unrolled: 1-line block ×3, first 2 shown]
	v_or3_b32 v52, v26, v18, v19
	v_max3_f32 v19, v12, s52, v13
	v_max3_f32 v19, v19, v14, v15
	v_sub_f32_e32 v12, v12, v19
	v_sub_f32_e32 v13, v13, v19
	v_mul_f32_e32 v12, 0x3fb8aa3b, v12
	v_sub_f32_e32 v14, v14, v19
	v_mul_f32_e32 v13, 0x3fb8aa3b, v13
	v_exp_f32_e32 v12, v12
	v_sub_f32_e32 v15, v15, v19
	v_mul_f32_e32 v14, 0x3fb8aa3b, v14
	v_exp_f32_e32 v13, v13
	v_mul_f32_e32 v15, 0x3fb8aa3b, v15
	v_exp_f32_e32 v14, v14
	v_exp_f32_e32 v15, v15
	v_fma_f32 v6, v12, v6, 0
	v_fmac_f32_e32 v6, v13, v7
	v_fmac_f32_e32 v6, v14, v10
	;; [unrolled: 1-line block ×3, first 2 shown]
	v_cmp_eq_u32_e32 vcc, 1, v27
	v_add_f32_e32 v10, 0x358637bd, v6
	v_cndmask_b32_e32 v12, v12, v13, vcc
	v_cmp_eq_u32_e32 vcc, 2, v27
	v_div_scale_f32 v11, s[6:7], v10, v10, 1.0
	v_cndmask_b32_e32 v7, v12, v14, vcc
	v_rcp_f32_e32 v12, v11
	v_cmp_eq_u32_e32 vcc, 3, v27
	v_cndmask_b32_e32 v7, v7, v15, vcc
	v_div_scale_f32 v13, vcc, 1.0, v10, 1.0
	v_fma_f32 v14, -v11, v12, 1.0
	v_fmac_f32_e32 v12, v14, v12
	v_mul_f32_e32 v14, v13, v12
	v_fma_f32 v15, -v11, v14, v13
	v_fmac_f32_e32 v14, v15, v12
	v_fma_f32 v11, -v11, v14, v13
	v_div_fmas_f32 v11, v11, v12, v14
	v_div_fixup_f32 v10, v11, v10, 1.0
	v_mul_f32_e32 v10, v7, v10
	s_mul_i32 s20, s49, 5
	v_cmp_gt_u32_e32 vcc, 5, v0
	s_waitcnt vmcnt(14)
	v_pk_mul_f32 v[14:15], v[10:11], v[20:21] op_sel_hi:[0,1]
	v_cvt_f16_f32_e32 v7, v14
	s_waitcnt vmcnt(12)
	v_pk_mul_f32 v[12:13], v[10:11], v[22:23] op_sel_hi:[0,1]
	buffer_store_dword v14, off, s[0:3], 0 offset:256
	buffer_store_dword v15, off, s[0:3], 0 offset:260
	;; [unrolled: 1-line block ×3, first 2 shown]
	s_waitcnt vmcnt(13)
	v_pk_mul_f32 v[20:21], v[10:11], v[24:25] op_sel_hi:[0,1]
	v_cvt_f16_f32_e32 v14, v12
	s_waitcnt vmcnt(11)
	v_pk_mul_f32 v[22:23], v[10:11], v[28:29] op_sel_hi:[0,1]
	v_cvt_f16_f32_e32 v11, v15
	v_cvt_f16_f32_e32 v15, v13
	buffer_store_dword v13, off, s[0:3], 0 offset:268
	buffer_store_dword v22, off, s[0:3], 0 offset:272
	;; [unrolled: 1-line block ×3, first 2 shown]
	v_pack_b32_f16 v12, v7, v11
	v_cvt_f16_f32_e32 v11, v23
	v_pack_b32_f16 v13, v14, v15
	v_cvt_f16_f32_e32 v7, v22
	v_cvt_f16_f32_e32 v15, v20
	;; [unrolled: 1-line block ×3, first 2 shown]
	s_waitcnt vmcnt(12)
	v_pk_mul_f32 v[4:5], v[10:11], v[4:5] op_sel_hi:[0,1]
	v_pack_b32_f16 v14, v7, v11
	s_waitcnt vmcnt(10)
	v_pk_mul_f32 v[2:3], v[10:11], v[2:3] op_sel_hi:[0,1]
	v_pack_b32_f16 v15, v15, v22
	v_cvt_f16_f32_e32 v11, v5
	buffer_store_dword v20, off, s[0:3], 0 offset:280
	buffer_store_dword v21, off, s[0:3], 0 offset:284
	ds_write2st64_b64 v52, v[12:13], v[14:15] offset1:1
	buffer_store_dword v2, off, s[0:3], 0 offset:288
	buffer_store_dword v3, off, s[0:3], 0 offset:292
	v_cvt_f16_f32_e32 v2, v2
	v_cvt_f16_f32_e32 v3, v3
	;; [unrolled: 1-line block ×3, first 2 shown]
	buffer_store_dword v4, off, s[0:3], 0 offset:296
	buffer_store_dword v5, off, s[0:3], 0 offset:300
	s_waitcnt vmcnt(12)
	v_pk_mul_f32 v[4:5], v[10:11], v[16:17] op_sel_hi:[0,1]
	v_pk_mul_f32 v[8:9], v[10:11], v[8:9] op_sel_hi:[0,1]
	v_pack_b32_f16 v2, v2, v3
	v_pack_b32_f16 v3, v7, v11
	buffer_store_dword v8, off, s[0:3], 0 offset:304
	buffer_store_dword v9, off, s[0:3], 0 offset:308
	v_cvt_f16_f32_e32 v7, v8
	v_cvt_f16_f32_e32 v8, v9
	;; [unrolled: 1-line block ×4, first 2 shown]
	buffer_store_dword v4, off, s[0:3], 0 offset:312
	buffer_store_dword v5, off, s[0:3], 0 offset:316
	v_pack_b32_f16 v4, v7, v8
	v_pack_b32_f16 v5, v9, v10
	ds_write2st64_b64 v52, v[2:3], v[4:5] offset0:2 offset1:3
	s_and_saveexec_b64 s[6:7], vcc
	s_cbranch_execz .LBB642_211
; %bb.210:
	v_add_co_u32_e32 v4, vcc, s27, v41
	v_addc_co_u32_e64 v5, s[10:11], 0, 0, vcc
	v_mov_b32_e32 v2, s20
	v_mov_b32_e32 v3, 0
	v_mad_u64_u32 v[4:5], s[10:11], s8, v2, v[4:5]
	v_mov_b32_e32 v2, s26
	s_mul_i32 s9, s9, s20
	v_mad_u64_u32 v[2:3], s[10:11], v4, s48, v[2:3]
	v_add_u32_e32 v5, s9, v5
	v_mov_b32_e32 v4, v3
	v_mad_u64_u32 v[4:5], s[10:11], v5, s48, v[4:5]
	v_mov_b32_e32 v3, v4
	v_lshlrev_b64 v[2:3], 2, v[2:3]
	v_mov_b32_e32 v5, s47
	v_add_co_u32_e32 v4, vcc, s46, v2
	v_addc_co_u32_e32 v5, vcc, v5, v3, vcc
	global_store_dword v[4:5], v19, off
	v_mov_b32_e32 v4, s45
	v_add_co_u32_e32 v2, vcc, s44, v2
	v_addc_co_u32_e32 v3, vcc, v4, v3, vcc
	global_store_dword v[2:3], v6, off
.LBB642_211:
	s_or_b64 exec, exec, s[6:7]
	v_lshl_or_b32 v30, v1, 9, v18
	s_waitcnt lgkmcnt(0)
	s_barrier
	s_load_dword s6, s[42:43], 0x0
	ds_read_b128 v[2:5], v30
	ds_read_b128 v[6:9], v30 offset:16
	ds_read_b128 v[10:13], v30 offset:2048
	;; [unrolled: 1-line block ×7, first 2 shown]
	v_mov_b32_e32 v35, 0x80
	v_mov_b32_e32 v53, 0x140
	s_mov_b64 s[12:13], -1
	s_waitcnt lgkmcnt(0)
	s_mov_b32 s7, s6
	s_mov_b32 s10, s6
	;; [unrolled: 1-line block ×3, first 2 shown]
	s_movk_i32 s9, 0x80
	s_movk_i32 s21, 0x7f
	s_mov_b32 s22, 0xffffff
	v_mov_b32_e32 v54, 0
	v_bfrev_b32_e32 v55, 60
	s_branch .LBB642_215
.LBB642_212:                            ;   in Loop: Header=BB642_215 Depth=1
	s_or_b64 exec, exec, s[18:19]
.LBB642_213:                            ;   in Loop: Header=BB642_215 Depth=1
	s_or_b64 exec, exec, s[16:17]
.LBB642_214:                            ;   in Loop: Header=BB642_215 Depth=1
	s_or_b64 exec, exec, s[14:15]
	v_cvt_pkrtz_f16_f32 v60, v46, v50
	v_cvt_pkrtz_f16_f32 v61, v44, v56
	s_xor_b64 s[14:15], s[12:13], -1
	s_mov_b64 s[12:13], 0
	v_mov_b32_e32 v46, v47
	v_mfma_f32_16x16x16f16 v[60:63], v[60:61], v[30:31], v[34:37]
	v_mov_b32_e32 v50, v49
	s_and_b64 vcc, exec, s[14:15]
	s_nop 4
	v_cvt_pkrtz_f16_f32 v36, v51, v57
	v_cvt_pkrtz_f16_f32 v37, v42, v58
	v_mov_b32_e32 v35, v45
	v_mov_b32_e32 v51, v48
	v_mfma_f32_16x16x16f16 v[56:59], v[36:37], v[32:33], v[60:63]
	s_nop 7
	s_nop 2
	v_pk_mul_f32 v[56:57], v[56:57], s[6:7]
	v_pk_mul_f32 v[36:37], v[58:59], s[10:11]
	v_cvt_f16_f32_e32 v34, v56
	v_cvt_f16_f32_e32 v38, v57
	;; [unrolled: 1-line block ×4, first 2 shown]
	v_pack_b32_f16 v34, v34, v38
	v_pack_b32_f16 v36, v36, v37
	buffer_store_dword v34, v53, s[0:3], 0 offen
	buffer_store_dword v36, v53, s[0:3], 0 offen offset:4
	v_mov_b32_e32 v53, 0x148
	s_cbranch_vccnz .LBB642_597
.LBB642_215:                            ; =>This Inner Loop Header: Depth=1
	buffer_load_dword v36, v35, s[0:3], 0 offen
	buffer_load_dword v34, v35, s[0:3], 0 offen offset:4
	buffer_load_dword v40, v35, s[0:3], 0 offen offset:8
	buffer_load_dword v38, v35, s[0:3], 0 offen offset:12
	v_mov_b32_e32 v35, 0
	s_waitcnt vmcnt(3)
	v_cmp_ne_u16_sdwa s[16:17], v36, v54 src0_sel:BYTE_0 src1_sel:DWORD
	s_and_saveexec_b64 s[14:15], s[16:17]
	s_cbranch_execz .LBB642_221
; %bb.216:                              ;   in Loop: Header=BB642_215 Depth=1
	v_cmp_ne_u16_sdwa s[18:19], v36, s9 src0_sel:BYTE_0 src1_sel:DWORD
	v_bfrev_b32_e32 v35, 1
	s_and_saveexec_b64 s[16:17], s[18:19]
	s_cbranch_execz .LBB642_220
; %bb.217:                              ;   in Loop: Header=BB642_215 Depth=1
	v_and_b32_e32 v37, 0x7f, v36
	v_cmp_ne_u32_e32 vcc, s21, v37
	v_mov_b32_e32 v35, 0x7f800001
	s_and_saveexec_b64 s[18:19], vcc
	s_cbranch_execz .LBB642_219
; %bb.218:                              ;   in Loop: Header=BB642_215 Depth=1
	v_and_b32_e32 v35, 7, v36
	v_ffbh_u32_e32 v44, v35
	v_min_u32_e32 v44, 32, v44
	v_subrev_u32_e32 v56, 28, v44
	v_lshlrev_b64 v[56:57], v56, v[36:37]
	v_lshrrev_b32_e32 v42, 3, v37
	v_sub_u32_e32 v44, 29, v44
	v_and_b32_e32 v56, 7, v56
	v_cmp_gt_u32_e32 vcc, 8, v37
	v_cndmask_b32_e32 v37, v42, v44, vcc
	v_cndmask_b32_e32 v35, v35, v56, vcc
	v_lshlrev_b32_e32 v42, 24, v36
	v_lshlrev_b32_e32 v35, 20, v35
	v_and_b32_e32 v42, 0x80000000, v42
	v_lshl_add_u32 v37, v37, 23, v55
	v_or3_b32 v35, v42, v37, v35
.LBB642_219:                            ;   in Loop: Header=BB642_215 Depth=1
	s_or_b64 exec, exec, s[18:19]
.LBB642_220:                            ;   in Loop: Header=BB642_215 Depth=1
	s_or_b64 exec, exec, s[16:17]
.LBB642_221:                            ;   in Loop: Header=BB642_215 Depth=1
	s_or_b64 exec, exec, s[14:15]
	v_lshrrev_b16_e32 v42, 8, v36
	v_cmp_ne_u16_e32 vcc, 0, v42
	v_mov_b32_e32 v37, 0
	s_and_saveexec_b64 s[14:15], vcc
	s_cbranch_execz .LBB642_227
; %bb.222:                              ;   in Loop: Header=BB642_215 Depth=1
	v_cmp_ne_u16_e32 vcc, s9, v42
	v_bfrev_b32_e32 v37, 1
	s_and_saveexec_b64 s[16:17], vcc
	s_cbranch_execz .LBB642_226
; %bb.223:                              ;   in Loop: Header=BB642_215 Depth=1
	v_and_b32_e32 v44, 0x7f, v42
	v_cmp_ne_u32_e32 vcc, s21, v44
	v_mov_b32_e32 v37, 0x7f800001
	s_and_saveexec_b64 s[18:19], vcc
	s_cbranch_execz .LBB642_225
; %bb.224:                              ;   in Loop: Header=BB642_215 Depth=1
	v_and_b32_e32 v37, 7, v42
	v_ffbh_u32_e32 v56, v37
	v_min_u32_e32 v59, 32, v56
	v_subrev_u32_e32 v56, 28, v59
	v_lshlrev_b64 v[56:57], v56, v[42:43]
	v_lshrrev_b32_e32 v58, 3, v44
	v_sub_u32_e32 v42, 29, v59
	v_and_b32_e32 v56, 7, v56
	v_cmp_gt_u32_e32 vcc, 8, v44
	v_cndmask_b32_e32 v42, v58, v42, vcc
	v_cndmask_b32_e32 v37, v37, v56, vcc
	v_lshlrev_b32_e32 v44, 16, v36
	v_lshlrev_b32_e32 v37, 20, v37
	v_and_b32_e32 v44, 0x80000000, v44
	v_lshl_add_u32 v42, v42, 23, v55
	v_or3_b32 v37, v44, v42, v37
.LBB642_225:                            ;   in Loop: Header=BB642_215 Depth=1
	s_or_b64 exec, exec, s[18:19]
.LBB642_226:                            ;   in Loop: Header=BB642_215 Depth=1
	s_or_b64 exec, exec, s[16:17]
.LBB642_227:                            ;   in Loop: Header=BB642_215 Depth=1
	s_or_b64 exec, exec, s[14:15]
	v_lshrrev_b32_e32 v42, 16, v36
	v_cmp_ne_u16_sdwa s[16:17], v42, v54 src0_sel:BYTE_0 src1_sel:DWORD
	v_mov_b32_e32 v56, 0
	v_mov_b32_e32 v44, 0
	s_and_saveexec_b64 s[14:15], s[16:17]
	s_cbranch_execz .LBB642_233
; %bb.228:                              ;   in Loop: Header=BB642_215 Depth=1
	v_cmp_ne_u16_sdwa s[18:19], v42, s9 src0_sel:BYTE_0 src1_sel:DWORD
	v_bfrev_b32_e32 v44, 1
	s_and_saveexec_b64 s[16:17], s[18:19]
	s_cbranch_execz .LBB642_232
; %bb.229:                              ;   in Loop: Header=BB642_215 Depth=1
	v_bfe_u32 v57, v36, 16, 7
	v_cmp_ne_u32_e32 vcc, s21, v57
	v_mov_b32_e32 v44, 0x7f800001
	s_and_saveexec_b64 s[18:19], vcc
	s_cbranch_execz .LBB642_231
; %bb.230:                              ;   in Loop: Header=BB642_215 Depth=1
	v_and_b32_e32 v44, 7, v42
	v_ffbh_u32_e32 v58, v44
	v_min_u32_e32 v61, 32, v58
	v_subrev_u32_e32 v58, 28, v61
	v_lshlrev_b64 v[58:59], v58, v[42:43]
	v_lshrrev_b32_e32 v60, 3, v57
	v_sub_u32_e32 v59, 29, v61
	v_and_b32_e32 v58, 7, v58
	v_cmp_gt_u32_e32 vcc, 8, v57
	v_cndmask_b32_e32 v57, v60, v59, vcc
	v_cndmask_b32_e32 v44, v44, v58, vcc
	v_lshlrev_b32_e32 v42, 24, v42
	v_lshlrev_b32_e32 v44, 20, v44
	v_and_b32_e32 v42, 0x80000000, v42
	v_lshl_add_u32 v57, v57, 23, v55
	v_or3_b32 v44, v42, v57, v44
.LBB642_231:                            ;   in Loop: Header=BB642_215 Depth=1
	s_or_b64 exec, exec, s[18:19]
.LBB642_232:                            ;   in Loop: Header=BB642_215 Depth=1
	s_or_b64 exec, exec, s[16:17]
.LBB642_233:                            ;   in Loop: Header=BB642_215 Depth=1
	s_or_b64 exec, exec, s[14:15]
	v_cmp_lt_u32_e32 vcc, s22, v36
	s_and_saveexec_b64 s[14:15], vcc
	s_cbranch_execz .LBB642_239
; %bb.234:                              ;   in Loop: Header=BB642_215 Depth=1
	v_lshrrev_b32_e32 v42, 24, v36
	v_cmp_ne_u32_e32 vcc, s9, v42
	v_bfrev_b32_e32 v56, 1
	s_and_saveexec_b64 s[16:17], vcc
	s_cbranch_execz .LBB642_238
; %bb.235:                              ;   in Loop: Header=BB642_215 Depth=1
	v_bfe_u32 v36, v36, 24, 7
	v_cmp_ne_u32_e32 vcc, s21, v36
	v_mov_b32_e32 v56, 0x7f800001
	s_and_saveexec_b64 s[18:19], vcc
	s_cbranch_execz .LBB642_237
; %bb.236:                              ;   in Loop: Header=BB642_215 Depth=1
	v_and_b32_e32 v58, 7, v42
	v_ffbh_u32_e32 v56, v58
	v_min_u32_e32 v60, 32, v56
	v_subrev_u32_e32 v56, 28, v60
	v_lshlrev_b64 v[56:57], v56, v[42:43]
	v_lshrrev_b32_e32 v59, 3, v36
	v_sub_u32_e32 v57, 29, v60
	v_and_b32_e32 v56, 7, v56
	v_cmp_gt_u32_e32 vcc, 8, v36
	v_cndmask_b32_e32 v36, v59, v57, vcc
	v_cndmask_b32_e32 v56, v58, v56, vcc
	v_lshlrev_b32_e32 v42, 24, v42
	v_lshlrev_b32_e32 v56, 20, v56
	v_and_b32_e32 v42, 0x80000000, v42
	v_lshl_add_u32 v36, v36, 23, v55
	v_or3_b32 v56, v42, v36, v56
.LBB642_237:                            ;   in Loop: Header=BB642_215 Depth=1
	s_or_b64 exec, exec, s[18:19]
.LBB642_238:                            ;   in Loop: Header=BB642_215 Depth=1
	s_or_b64 exec, exec, s[16:17]
.LBB642_239:                            ;   in Loop: Header=BB642_215 Depth=1
	s_or_b64 exec, exec, s[14:15]
	s_waitcnt vmcnt(2)
	v_cmp_ne_u16_sdwa s[16:17], v34, v54 src0_sel:BYTE_0 src1_sel:DWORD
	v_mov_b32_e32 v42, 0
	v_mov_b32_e32 v57, 0
	s_and_saveexec_b64 s[14:15], s[16:17]
	s_cbranch_execz .LBB642_245
; %bb.240:                              ;   in Loop: Header=BB642_215 Depth=1
	v_cmp_ne_u16_sdwa s[18:19], v34, s9 src0_sel:BYTE_0 src1_sel:DWORD
	v_bfrev_b32_e32 v57, 1
	s_and_saveexec_b64 s[16:17], s[18:19]
	s_cbranch_execz .LBB642_244
; %bb.241:                              ;   in Loop: Header=BB642_215 Depth=1
	v_and_b32_e32 v36, 0x7f, v34
	v_cmp_ne_u32_e32 vcc, s21, v36
	v_mov_b32_e32 v57, 0x7f800001
	s_and_saveexec_b64 s[18:19], vcc
	s_cbranch_execz .LBB642_243
; %bb.242:                              ;   in Loop: Header=BB642_215 Depth=1
	v_and_b32_e32 v57, 7, v34
	v_ffbh_u32_e32 v58, v57
	v_min_u32_e32 v61, 32, v58
	v_subrev_u32_e32 v58, 28, v61
	v_lshlrev_b64 v[58:59], v58, v[34:35]
	v_lshrrev_b32_e32 v60, 3, v36
	v_sub_u32_e32 v59, 29, v61
	v_and_b32_e32 v58, 7, v58
	v_cmp_gt_u32_e32 vcc, 8, v36
	v_cndmask_b32_e32 v36, v60, v59, vcc
	v_cndmask_b32_e32 v57, v57, v58, vcc
	v_lshlrev_b32_e32 v58, 24, v34
	v_lshlrev_b32_e32 v57, 20, v57
	v_and_b32_e32 v58, 0x80000000, v58
	v_lshl_add_u32 v36, v36, 23, v55
	v_or3_b32 v57, v58, v36, v57
.LBB642_243:                            ;   in Loop: Header=BB642_215 Depth=1
	s_or_b64 exec, exec, s[18:19]
.LBB642_244:                            ;   in Loop: Header=BB642_215 Depth=1
	s_or_b64 exec, exec, s[16:17]
.LBB642_245:                            ;   in Loop: Header=BB642_215 Depth=1
	s_or_b64 exec, exec, s[14:15]
	v_lshrrev_b16_e32 v36, 8, v34
	v_cmp_ne_u16_e32 vcc, 0, v36
	s_and_saveexec_b64 s[14:15], vcc
	s_cbranch_execz .LBB642_251
; %bb.246:                              ;   in Loop: Header=BB642_215 Depth=1
	v_cmp_ne_u16_e32 vcc, s9, v36
	v_bfrev_b32_e32 v42, 1
	s_and_saveexec_b64 s[16:17], vcc
	s_cbranch_execz .LBB642_250
; %bb.247:                              ;   in Loop: Header=BB642_215 Depth=1
	v_and_b32_e32 v58, 0x7f, v36
	v_cmp_ne_u32_e32 vcc, s21, v58
	v_mov_b32_e32 v42, 0x7f800001
	s_and_saveexec_b64 s[18:19], vcc
	s_cbranch_execz .LBB642_249
; %bb.248:                              ;   in Loop: Header=BB642_215 Depth=1
	v_and_b32_e32 v42, 7, v36
	v_ffbh_u32_e32 v60, v42
	v_min_u32_e32 v62, 32, v60
	v_subrev_u32_e32 v60, 28, v62
	v_lshlrev_b64 v[60:61], v60, v[36:37]
	v_lshrrev_b32_e32 v59, 3, v58
	v_sub_u32_e32 v36, 29, v62
	v_and_b32_e32 v60, 7, v60
	v_cmp_gt_u32_e32 vcc, 8, v58
	v_cndmask_b32_e32 v36, v59, v36, vcc
	v_cndmask_b32_e32 v42, v42, v60, vcc
	v_lshlrev_b32_e32 v58, 16, v34
	v_lshlrev_b32_e32 v42, 20, v42
	v_and_b32_e32 v58, 0x80000000, v58
	v_lshl_add_u32 v36, v36, 23, v55
	v_or3_b32 v42, v58, v36, v42
.LBB642_249:                            ;   in Loop: Header=BB642_215 Depth=1
	s_or_b64 exec, exec, s[18:19]
.LBB642_250:                            ;   in Loop: Header=BB642_215 Depth=1
	s_or_b64 exec, exec, s[16:17]
.LBB642_251:                            ;   in Loop: Header=BB642_215 Depth=1
	s_or_b64 exec, exec, s[14:15]
	v_lshrrev_b32_e32 v36, 16, v34
	v_cmp_ne_u16_sdwa s[16:17], v36, v54 src0_sel:BYTE_0 src1_sel:DWORD
	v_mov_b32_e32 v59, 0
	v_mov_b32_e32 v58, 0
	s_and_saveexec_b64 s[14:15], s[16:17]
	s_cbranch_execz .LBB642_257
; %bb.252:                              ;   in Loop: Header=BB642_215 Depth=1
	v_cmp_ne_u16_sdwa s[18:19], v36, s9 src0_sel:BYTE_0 src1_sel:DWORD
	v_bfrev_b32_e32 v58, 1
	s_and_saveexec_b64 s[16:17], s[18:19]
	s_cbranch_execz .LBB642_256
; %bb.253:                              ;   in Loop: Header=BB642_215 Depth=1
	v_bfe_u32 v60, v34, 16, 7
	v_cmp_ne_u32_e32 vcc, s21, v60
	v_mov_b32_e32 v58, 0x7f800001
	s_and_saveexec_b64 s[18:19], vcc
	s_cbranch_execz .LBB642_255
; %bb.254:                              ;   in Loop: Header=BB642_215 Depth=1
	v_and_b32_e32 v58, 7, v36
	v_ffbh_u32_e32 v62, v58
	v_min_u32_e32 v64, 32, v62
	v_subrev_u32_e32 v62, 28, v64
	v_lshlrev_b64 v[62:63], v62, v[36:37]
	v_lshrrev_b32_e32 v61, 3, v60
	v_sub_u32_e32 v63, 29, v64
	v_and_b32_e32 v62, 7, v62
	v_cmp_gt_u32_e32 vcc, 8, v60
	v_cndmask_b32_e32 v60, v61, v63, vcc
	v_cndmask_b32_e32 v58, v58, v62, vcc
	v_lshlrev_b32_e32 v36, 24, v36
	v_lshlrev_b32_e32 v58, 20, v58
	v_and_b32_e32 v36, 0x80000000, v36
	v_lshl_add_u32 v60, v60, 23, v55
	v_or3_b32 v58, v36, v60, v58
.LBB642_255:                            ;   in Loop: Header=BB642_215 Depth=1
	s_or_b64 exec, exec, s[18:19]
.LBB642_256:                            ;   in Loop: Header=BB642_215 Depth=1
	s_or_b64 exec, exec, s[16:17]
.LBB642_257:                            ;   in Loop: Header=BB642_215 Depth=1
	s_or_b64 exec, exec, s[14:15]
	v_cmp_lt_u32_e32 vcc, s22, v34
	s_and_saveexec_b64 s[14:15], vcc
	s_cbranch_execz .LBB642_263
; %bb.258:                              ;   in Loop: Header=BB642_215 Depth=1
	v_lshrrev_b32_e32 v36, 24, v34
	v_cmp_ne_u32_e32 vcc, s9, v36
	v_bfrev_b32_e32 v59, 1
	s_and_saveexec_b64 s[16:17], vcc
	s_cbranch_execz .LBB642_262
; %bb.259:                              ;   in Loop: Header=BB642_215 Depth=1
	v_bfe_u32 v34, v34, 24, 7
	v_cmp_ne_u32_e32 vcc, s21, v34
	v_mov_b32_e32 v59, 0x7f800001
	s_and_saveexec_b64 s[18:19], vcc
	s_cbranch_execz .LBB642_261
; %bb.260:                              ;   in Loop: Header=BB642_215 Depth=1
	v_and_b32_e32 v59, 7, v36
	v_ffbh_u32_e32 v60, v59
	v_min_u32_e32 v63, 32, v60
	v_subrev_u32_e32 v60, 28, v63
	v_lshlrev_b64 v[60:61], v60, v[36:37]
	v_lshrrev_b32_e32 v62, 3, v34
	v_sub_u32_e32 v61, 29, v63
	v_and_b32_e32 v60, 7, v60
	v_cmp_gt_u32_e32 vcc, 8, v34
	v_cndmask_b32_e32 v34, v62, v61, vcc
	v_cndmask_b32_e32 v59, v59, v60, vcc
	v_lshlrev_b32_e32 v36, 24, v36
	v_lshlrev_b32_e32 v59, 20, v59
	v_and_b32_e32 v36, 0x80000000, v36
	v_lshl_add_u32 v34, v34, 23, v55
	v_or3_b32 v59, v36, v34, v59
.LBB642_261:                            ;   in Loop: Header=BB642_215 Depth=1
	s_or_b64 exec, exec, s[18:19]
.LBB642_262:                            ;   in Loop: Header=BB642_215 Depth=1
	s_or_b64 exec, exec, s[16:17]
.LBB642_263:                            ;   in Loop: Header=BB642_215 Depth=1
	s_or_b64 exec, exec, s[14:15]
	v_cvt_pkrtz_f16_f32 v34, v35, v37
	v_cvt_pkrtz_f16_f32 v35, v44, v56
	;; [unrolled: 1-line block ×4, first 2 shown]
	v_mov_b32_e32 v44, 0
	v_mfma_f32_16x16x16f16 v[34:37], v[34:35], v[2:3], 0
	s_waitcnt vmcnt(1)
	v_cmp_ne_u16_sdwa s[16:17], v40, v54 src0_sel:BYTE_0 src1_sel:DWORD
	v_mov_b32_e32 v57, 0
	v_mfma_f32_16x16x16f16 v[34:37], v[60:61], v[4:5], v[34:37]
	s_and_saveexec_b64 s[14:15], s[16:17]
	s_cbranch_execz .LBB642_269
; %bb.264:                              ;   in Loop: Header=BB642_215 Depth=1
	v_cmp_ne_u16_sdwa s[18:19], v40, s9 src0_sel:BYTE_0 src1_sel:DWORD
	v_bfrev_b32_e32 v57, 1
	s_and_saveexec_b64 s[16:17], s[18:19]
	s_cbranch_execz .LBB642_268
; %bb.265:                              ;   in Loop: Header=BB642_215 Depth=1
	v_and_b32_e32 v42, 0x7f, v40
	v_cmp_ne_u32_e32 vcc, s21, v42
	v_mov_b32_e32 v57, 0x7f800001
	s_and_saveexec_b64 s[18:19], vcc
	s_cbranch_execz .LBB642_267
; %bb.266:                              ;   in Loop: Header=BB642_215 Depth=1
	v_and_b32_e32 v58, 7, v40
	v_ffbh_u32_e32 v56, v58
	v_min_u32_e32 v60, 32, v56
	v_subrev_u32_e32 v56, 28, v60
	v_lshlrev_b64 v[56:57], v56, v[40:41]
	v_lshrrev_b32_e32 v59, 3, v42
	v_sub_u32_e32 v57, 29, v60
	v_and_b32_e32 v56, 7, v56
	v_cmp_gt_u32_e32 vcc, 8, v42
	v_cndmask_b32_e32 v42, v59, v57, vcc
	v_cndmask_b32_e32 v56, v58, v56, vcc
	v_lshlrev_b32_e32 v57, 24, v40
	v_lshlrev_b32_e32 v56, 20, v56
	v_and_b32_e32 v57, 0x80000000, v57
	v_lshl_add_u32 v42, v42, 23, v55
	v_or3_b32 v57, v57, v42, v56
.LBB642_267:                            ;   in Loop: Header=BB642_215 Depth=1
	s_or_b64 exec, exec, s[18:19]
.LBB642_268:                            ;   in Loop: Header=BB642_215 Depth=1
	s_or_b64 exec, exec, s[16:17]
.LBB642_269:                            ;   in Loop: Header=BB642_215 Depth=1
	s_or_b64 exec, exec, s[14:15]
	v_lshrrev_b16_e32 v42, 8, v40
	v_cmp_ne_u16_e32 vcc, 0, v42
	v_mov_b32_e32 v58, 0
	s_and_saveexec_b64 s[14:15], vcc
	s_cbranch_execz .LBB642_275
; %bb.270:                              ;   in Loop: Header=BB642_215 Depth=1
	v_cmp_ne_u16_e32 vcc, s9, v42
	v_bfrev_b32_e32 v58, 1
	s_and_saveexec_b64 s[16:17], vcc
	s_cbranch_execz .LBB642_274
; %bb.271:                              ;   in Loop: Header=BB642_215 Depth=1
	v_and_b32_e32 v56, 0x7f, v42
	v_cmp_ne_u32_e32 vcc, s21, v56
	v_mov_b32_e32 v58, 0x7f800001
	s_and_saveexec_b64 s[18:19], vcc
	s_cbranch_execz .LBB642_273
; %bb.272:                              ;   in Loop: Header=BB642_215 Depth=1
	v_and_b32_e32 v60, 7, v42
	v_ffbh_u32_e32 v58, v60
	v_min_u32_e32 v62, 32, v58
	v_subrev_u32_e32 v58, 28, v62
	v_lshlrev_b64 v[58:59], v58, v[42:43]
	v_lshrrev_b32_e32 v61, 3, v56
	v_sub_u32_e32 v42, 29, v62
	v_and_b32_e32 v58, 7, v58
	v_cmp_gt_u32_e32 vcc, 8, v56
	v_cndmask_b32_e32 v42, v61, v42, vcc
	v_cndmask_b32_e32 v56, v60, v58, vcc
	v_lshlrev_b32_e32 v58, 16, v40
	v_lshlrev_b32_e32 v56, 20, v56
	v_and_b32_e32 v58, 0x80000000, v58
	v_lshl_add_u32 v42, v42, 23, v55
	v_or3_b32 v58, v58, v42, v56
.LBB642_273:                            ;   in Loop: Header=BB642_215 Depth=1
	s_or_b64 exec, exec, s[18:19]
.LBB642_274:                            ;   in Loop: Header=BB642_215 Depth=1
	s_or_b64 exec, exec, s[16:17]
.LBB642_275:                            ;   in Loop: Header=BB642_215 Depth=1
	s_or_b64 exec, exec, s[14:15]
	v_lshrrev_b32_e32 v42, 16, v40
	v_cmp_ne_u16_sdwa s[16:17], v42, v54 src0_sel:BYTE_0 src1_sel:DWORD
	s_and_saveexec_b64 s[14:15], s[16:17]
	s_cbranch_execz .LBB642_281
; %bb.276:                              ;   in Loop: Header=BB642_215 Depth=1
	v_cmp_ne_u16_sdwa s[18:19], v42, s9 src0_sel:BYTE_0 src1_sel:DWORD
	v_bfrev_b32_e32 v44, 1
	s_and_saveexec_b64 s[16:17], s[18:19]
	s_cbranch_execz .LBB642_280
; %bb.277:                              ;   in Loop: Header=BB642_215 Depth=1
	v_bfe_u32 v56, v40, 16, 7
	v_cmp_ne_u32_e32 vcc, s21, v56
	v_mov_b32_e32 v44, 0x7f800001
	s_and_saveexec_b64 s[18:19], vcc
	s_cbranch_execz .LBB642_279
; %bb.278:                              ;   in Loop: Header=BB642_215 Depth=1
	v_and_b32_e32 v44, 7, v42
	v_ffbh_u32_e32 v60, v44
	v_min_u32_e32 v62, 32, v60
	v_subrev_u32_e32 v60, 28, v62
	v_lshlrev_b64 v[60:61], v60, v[42:43]
	v_lshrrev_b32_e32 v59, 3, v56
	v_sub_u32_e32 v61, 29, v62
	v_and_b32_e32 v60, 7, v60
	v_cmp_gt_u32_e32 vcc, 8, v56
	v_cndmask_b32_e32 v56, v59, v61, vcc
	v_cndmask_b32_e32 v44, v44, v60, vcc
	v_lshlrev_b32_e32 v42, 24, v42
	v_lshlrev_b32_e32 v44, 20, v44
	v_and_b32_e32 v42, 0x80000000, v42
	v_lshl_add_u32 v56, v56, 23, v55
	v_or3_b32 v44, v42, v56, v44
.LBB642_279:                            ;   in Loop: Header=BB642_215 Depth=1
	s_or_b64 exec, exec, s[18:19]
.LBB642_280:                            ;   in Loop: Header=BB642_215 Depth=1
	s_or_b64 exec, exec, s[16:17]
.LBB642_281:                            ;   in Loop: Header=BB642_215 Depth=1
	s_or_b64 exec, exec, s[14:15]
	v_cmp_lt_u32_e32 vcc, s22, v40
	v_mov_b32_e32 v59, 0
	v_mov_b32_e32 v60, 0
	s_and_saveexec_b64 s[14:15], vcc
	s_cbranch_execz .LBB642_287
; %bb.282:                              ;   in Loop: Header=BB642_215 Depth=1
	v_lshrrev_b32_e32 v42, 24, v40
	v_cmp_ne_u32_e32 vcc, s9, v42
	v_bfrev_b32_e32 v60, 1
	s_and_saveexec_b64 s[16:17], vcc
	s_cbranch_execz .LBB642_286
; %bb.283:                              ;   in Loop: Header=BB642_215 Depth=1
	v_bfe_u32 v40, v40, 24, 7
	v_cmp_ne_u32_e32 vcc, s21, v40
	v_mov_b32_e32 v60, 0x7f800001
	s_and_saveexec_b64 s[18:19], vcc
	s_cbranch_execz .LBB642_285
; %bb.284:                              ;   in Loop: Header=BB642_215 Depth=1
	v_and_b32_e32 v56, 7, v42
	v_ffbh_u32_e32 v60, v56
	v_min_u32_e32 v63, 32, v60
	v_subrev_u32_e32 v60, 28, v63
	v_lshlrev_b64 v[60:61], v60, v[42:43]
	v_lshrrev_b32_e32 v62, 3, v40
	v_sub_u32_e32 v61, 29, v63
	v_and_b32_e32 v60, 7, v60
	v_cmp_gt_u32_e32 vcc, 8, v40
	v_cndmask_b32_e32 v40, v62, v61, vcc
	v_cndmask_b32_e32 v56, v56, v60, vcc
	v_lshlrev_b32_e32 v42, 24, v42
	v_lshlrev_b32_e32 v56, 20, v56
	v_and_b32_e32 v42, 0x80000000, v42
	v_lshl_add_u32 v40, v40, 23, v55
	v_or3_b32 v60, v42, v40, v56
.LBB642_285:                            ;   in Loop: Header=BB642_215 Depth=1
	s_or_b64 exec, exec, s[18:19]
.LBB642_286:                            ;   in Loop: Header=BB642_215 Depth=1
	s_or_b64 exec, exec, s[16:17]
.LBB642_287:                            ;   in Loop: Header=BB642_215 Depth=1
	s_or_b64 exec, exec, s[14:15]
	s_waitcnt vmcnt(0)
	v_cmp_ne_u16_sdwa s[16:17], v38, v54 src0_sel:BYTE_0 src1_sel:DWORD
	s_and_saveexec_b64 s[14:15], s[16:17]
	s_cbranch_execz .LBB642_293
; %bb.288:                              ;   in Loop: Header=BB642_215 Depth=1
	v_cmp_ne_u16_sdwa s[18:19], v38, s9 src0_sel:BYTE_0 src1_sel:DWORD
	v_bfrev_b32_e32 v59, 1
	s_and_saveexec_b64 s[16:17], s[18:19]
	s_cbranch_execz .LBB642_292
; %bb.289:                              ;   in Loop: Header=BB642_215 Depth=1
	v_and_b32_e32 v40, 0x7f, v38
	v_cmp_ne_u32_e32 vcc, s21, v40
	v_mov_b32_e32 v59, 0x7f800001
	s_and_saveexec_b64 s[18:19], vcc
	s_cbranch_execz .LBB642_291
; %bb.290:                              ;   in Loop: Header=BB642_215 Depth=1
	v_and_b32_e32 v42, 7, v38
	v_ffbh_u32_e32 v59, v42
	v_min_u32_e32 v59, 32, v59
	v_subrev_u32_e32 v61, 28, v59
	v_lshlrev_b64 v[62:63], v61, v[38:39]
	v_lshrrev_b32_e32 v56, 3, v40
	v_sub_u32_e32 v59, 29, v59
	v_and_b32_e32 v61, 7, v62
	v_cmp_gt_u32_e32 vcc, 8, v40
	v_cndmask_b32_e32 v40, v56, v59, vcc
	v_cndmask_b32_e32 v42, v42, v61, vcc
	v_lshlrev_b32_e32 v56, 24, v38
	v_lshlrev_b32_e32 v42, 20, v42
	v_and_b32_e32 v56, 0x80000000, v56
	v_lshl_add_u32 v40, v40, 23, v55
	v_or3_b32 v59, v56, v40, v42
.LBB642_291:                            ;   in Loop: Header=BB642_215 Depth=1
	s_or_b64 exec, exec, s[18:19]
.LBB642_292:                            ;   in Loop: Header=BB642_215 Depth=1
	s_or_b64 exec, exec, s[16:17]
.LBB642_293:                            ;   in Loop: Header=BB642_215 Depth=1
	s_or_b64 exec, exec, s[14:15]
	v_lshrrev_b16_e32 v40, 8, v38
	v_cmp_ne_u16_e32 vcc, 0, v40
	v_mov_b32_e32 v61, 0
	v_mov_b32_e32 v62, 0
	s_and_saveexec_b64 s[14:15], vcc
	s_cbranch_execz .LBB642_299
; %bb.294:                              ;   in Loop: Header=BB642_215 Depth=1
	v_cmp_ne_u16_e32 vcc, s9, v40
	v_bfrev_b32_e32 v62, 1
	s_and_saveexec_b64 s[16:17], vcc
	s_cbranch_execz .LBB642_298
; %bb.295:                              ;   in Loop: Header=BB642_215 Depth=1
	v_and_b32_e32 v42, 0x7f, v40
	v_cmp_ne_u32_e32 vcc, s21, v42
	v_mov_b32_e32 v62, 0x7f800001
	s_and_saveexec_b64 s[18:19], vcc
	s_cbranch_execz .LBB642_297
; %bb.296:                              ;   in Loop: Header=BB642_215 Depth=1
	v_and_b32_e32 v56, 7, v40
	v_ffbh_u32_e32 v62, v56
	v_min_u32_e32 v65, 32, v62
	v_subrev_u32_e32 v62, 28, v65
	v_lshlrev_b64 v[62:63], v62, v[40:41]
	v_lshrrev_b32_e32 v64, 3, v42
	v_sub_u32_e32 v40, 29, v65
	v_and_b32_e32 v62, 7, v62
	v_cmp_gt_u32_e32 vcc, 8, v42
	v_cndmask_b32_e32 v40, v64, v40, vcc
	v_cndmask_b32_e32 v42, v56, v62, vcc
	v_lshlrev_b32_e32 v56, 16, v38
	v_lshlrev_b32_e32 v42, 20, v42
	v_and_b32_e32 v56, 0x80000000, v56
	v_lshl_add_u32 v40, v40, 23, v55
	v_or3_b32 v62, v56, v40, v42
.LBB642_297:                            ;   in Loop: Header=BB642_215 Depth=1
	s_or_b64 exec, exec, s[18:19]
.LBB642_298:                            ;   in Loop: Header=BB642_215 Depth=1
	s_or_b64 exec, exec, s[16:17]
.LBB642_299:                            ;   in Loop: Header=BB642_215 Depth=1
	s_or_b64 exec, exec, s[14:15]
	v_lshrrev_b32_e32 v40, 16, v38
	v_cmp_ne_u16_sdwa s[16:17], v40, v54 src0_sel:BYTE_0 src1_sel:DWORD
	s_and_saveexec_b64 s[14:15], s[16:17]
	s_cbranch_execz .LBB642_305
; %bb.300:                              ;   in Loop: Header=BB642_215 Depth=1
	v_cmp_ne_u16_sdwa s[18:19], v40, s9 src0_sel:BYTE_0 src1_sel:DWORD
	v_bfrev_b32_e32 v61, 1
	s_and_saveexec_b64 s[16:17], s[18:19]
	s_cbranch_execz .LBB642_304
; %bb.301:                              ;   in Loop: Header=BB642_215 Depth=1
	v_bfe_u32 v42, v38, 16, 7
	v_cmp_ne_u32_e32 vcc, s21, v42
	v_mov_b32_e32 v61, 0x7f800001
	s_and_saveexec_b64 s[18:19], vcc
	s_cbranch_execz .LBB642_303
; %bb.302:                              ;   in Loop: Header=BB642_215 Depth=1
	v_and_b32_e32 v56, 7, v40
	v_ffbh_u32_e32 v63, v56
	v_min_u32_e32 v63, 32, v63
	v_subrev_u32_e32 v64, 28, v63
	v_lshlrev_b64 v[64:65], v64, v[40:41]
	v_lshrrev_b32_e32 v61, 3, v42
	v_sub_u32_e32 v63, 29, v63
	v_and_b32_e32 v64, 7, v64
	v_cmp_gt_u32_e32 vcc, 8, v42
	v_cndmask_b32_e32 v42, v61, v63, vcc
	v_cndmask_b32_e32 v56, v56, v64, vcc
	v_lshlrev_b32_e32 v40, 24, v40
	v_lshlrev_b32_e32 v56, 20, v56
	v_and_b32_e32 v40, 0x80000000, v40
	v_lshl_add_u32 v42, v42, 23, v55
	v_or3_b32 v61, v40, v42, v56
.LBB642_303:                            ;   in Loop: Header=BB642_215 Depth=1
	s_or_b64 exec, exec, s[18:19]
.LBB642_304:                            ;   in Loop: Header=BB642_215 Depth=1
	s_or_b64 exec, exec, s[16:17]
.LBB642_305:                            ;   in Loop: Header=BB642_215 Depth=1
	s_or_b64 exec, exec, s[14:15]
	v_cmp_lt_u32_e32 vcc, s22, v38
	v_mov_b32_e32 v56, 0
	v_mov_b32_e32 v63, 0
	s_and_saveexec_b64 s[14:15], vcc
	s_cbranch_execz .LBB642_311
; %bb.306:                              ;   in Loop: Header=BB642_215 Depth=1
	v_lshrrev_b32_e32 v40, 24, v38
	v_cmp_ne_u32_e32 vcc, s9, v40
	v_bfrev_b32_e32 v63, 1
	s_and_saveexec_b64 s[16:17], vcc
	s_cbranch_execz .LBB642_310
; %bb.307:                              ;   in Loop: Header=BB642_215 Depth=1
	v_bfe_u32 v38, v38, 24, 7
	v_cmp_ne_u32_e32 vcc, s21, v38
	v_mov_b32_e32 v63, 0x7f800001
	s_and_saveexec_b64 s[18:19], vcc
	s_cbranch_execz .LBB642_309
; %bb.308:                              ;   in Loop: Header=BB642_215 Depth=1
	v_and_b32_e32 v42, 7, v40
	v_ffbh_u32_e32 v64, v42
	v_min_u32_e32 v66, 32, v64
	v_subrev_u32_e32 v64, 28, v66
	v_lshlrev_b64 v[64:65], v64, v[40:41]
	v_lshrrev_b32_e32 v63, 3, v38
	v_sub_u32_e32 v65, 29, v66
	v_and_b32_e32 v64, 7, v64
	v_cmp_gt_u32_e32 vcc, 8, v38
	v_cndmask_b32_e32 v38, v63, v65, vcc
	v_cndmask_b32_e32 v42, v42, v64, vcc
	v_lshlrev_b32_e32 v40, 24, v40
	v_lshlrev_b32_e32 v42, 20, v42
	v_and_b32_e32 v40, 0x80000000, v40
	v_lshl_add_u32 v38, v38, 23, v55
	v_or3_b32 v63, v40, v38, v42
.LBB642_309:                            ;   in Loop: Header=BB642_215 Depth=1
	s_or_b64 exec, exec, s[18:19]
.LBB642_310:                            ;   in Loop: Header=BB642_215 Depth=1
	s_or_b64 exec, exec, s[16:17]
.LBB642_311:                            ;   in Loop: Header=BB642_215 Depth=1
	s_or_b64 exec, exec, s[14:15]
	v_cvt_pkrtz_f16_f32 v65, v44, v60
	buffer_load_dword v44, v46, s[0:3], 0 offen
	buffer_load_dword v42, v46, s[0:3], 0 offen offset:4
	buffer_load_dword v40, v46, s[0:3], 0 offen offset:8
	;; [unrolled: 1-line block ×3, first 2 shown]
	v_cvt_pkrtz_f16_f32 v64, v57, v58
	v_cvt_pkrtz_f16_f32 v58, v59, v62
	;; [unrolled: 1-line block ×3, first 2 shown]
	v_mfma_f32_16x16x16f16 v[34:37], v[64:65], v[6:7], v[34:37]
	s_waitcnt vmcnt(3)
	v_cmp_ne_u16_sdwa s[16:17], v44, v54 src0_sel:BYTE_0 src1_sel:DWORD
	v_mfma_f32_16x16x16f16 v[34:37], v[58:59], v[8:9], v[34:37]
	s_and_saveexec_b64 s[14:15], s[16:17]
	s_cbranch_execz .LBB642_317
; %bb.312:                              ;   in Loop: Header=BB642_215 Depth=1
	v_cmp_ne_u16_sdwa s[18:19], v44, s9 src0_sel:BYTE_0 src1_sel:DWORD
	v_bfrev_b32_e32 v56, 1
	s_and_saveexec_b64 s[16:17], s[18:19]
	s_cbranch_execz .LBB642_316
; %bb.313:                              ;   in Loop: Header=BB642_215 Depth=1
	v_and_b32_e32 v46, 0x7f, v44
	v_cmp_ne_u32_e32 vcc, s21, v46
	v_mov_b32_e32 v56, 0x7f800001
	s_and_saveexec_b64 s[18:19], vcc
	s_cbranch_execz .LBB642_315
; %bb.314:                              ;   in Loop: Header=BB642_215 Depth=1
	v_and_b32_e32 v58, 7, v44
	v_ffbh_u32_e32 v56, v58
	v_min_u32_e32 v60, 32, v56
	v_subrev_u32_e32 v56, 28, v60
	v_lshlrev_b64 v[56:57], v56, v[44:45]
	v_lshrrev_b32_e32 v59, 3, v46
	v_sub_u32_e32 v57, 29, v60
	v_and_b32_e32 v56, 7, v56
	v_cmp_gt_u32_e32 vcc, 8, v46
	v_cndmask_b32_e32 v46, v59, v57, vcc
	v_cndmask_b32_e32 v56, v58, v56, vcc
	v_lshlrev_b32_e32 v57, 24, v44
	v_lshlrev_b32_e32 v56, 20, v56
	v_and_b32_e32 v57, 0x80000000, v57
	v_lshl_add_u32 v46, v46, 23, v55
	v_or3_b32 v56, v57, v46, v56
.LBB642_315:                            ;   in Loop: Header=BB642_215 Depth=1
	s_or_b64 exec, exec, s[18:19]
.LBB642_316:                            ;   in Loop: Header=BB642_215 Depth=1
	s_or_b64 exec, exec, s[16:17]
.LBB642_317:                            ;   in Loop: Header=BB642_215 Depth=1
	s_or_b64 exec, exec, s[14:15]
	v_lshrrev_b16_e32 v46, 8, v44
	v_cmp_ne_u16_e32 vcc, 0, v46
	v_mov_b32_e32 v57, 0
	v_mov_b32_e32 v58, 0
	s_and_saveexec_b64 s[14:15], vcc
	s_cbranch_execz .LBB642_323
; %bb.318:                              ;   in Loop: Header=BB642_215 Depth=1
	v_cmp_ne_u16_e32 vcc, s9, v46
	v_bfrev_b32_e32 v58, 1
	s_and_saveexec_b64 s[16:17], vcc
	s_cbranch_execz .LBB642_322
; %bb.319:                              ;   in Loop: Header=BB642_215 Depth=1
	v_and_b32_e32 v59, 0x7f, v46
	v_cmp_ne_u32_e32 vcc, s21, v59
	v_mov_b32_e32 v58, 0x7f800001
	s_and_saveexec_b64 s[18:19], vcc
	s_cbranch_execz .LBB642_321
; %bb.320:                              ;   in Loop: Header=BB642_215 Depth=1
	v_and_b32_e32 v58, 7, v46
	v_ffbh_u32_e32 v60, v58
	v_min_u32_e32 v63, 32, v60
	v_subrev_u32_e32 v60, 28, v63
	v_lshlrev_b64 v[60:61], v60, v[46:47]
	v_lshrrev_b32_e32 v62, 3, v59
	v_sub_u32_e32 v46, 29, v63
	v_and_b32_e32 v60, 7, v60
	v_cmp_gt_u32_e32 vcc, 8, v59
	v_cndmask_b32_e32 v46, v62, v46, vcc
	v_cndmask_b32_e32 v58, v58, v60, vcc
	v_lshlrev_b32_e32 v59, 16, v44
	v_lshlrev_b32_e32 v58, 20, v58
	v_and_b32_e32 v59, 0x80000000, v59
	v_lshl_add_u32 v46, v46, 23, v55
	v_or3_b32 v58, v59, v46, v58
.LBB642_321:                            ;   in Loop: Header=BB642_215 Depth=1
	s_or_b64 exec, exec, s[18:19]
.LBB642_322:                            ;   in Loop: Header=BB642_215 Depth=1
	s_or_b64 exec, exec, s[16:17]
.LBB642_323:                            ;   in Loop: Header=BB642_215 Depth=1
	s_or_b64 exec, exec, s[14:15]
	v_lshrrev_b32_e32 v46, 16, v44
	v_cmp_ne_u16_sdwa s[16:17], v46, v54 src0_sel:BYTE_0 src1_sel:DWORD
	s_and_saveexec_b64 s[14:15], s[16:17]
	s_cbranch_execz .LBB642_329
; %bb.324:                              ;   in Loop: Header=BB642_215 Depth=1
	v_cmp_ne_u16_sdwa s[18:19], v46, s9 src0_sel:BYTE_0 src1_sel:DWORD
	v_bfrev_b32_e32 v57, 1
	s_and_saveexec_b64 s[16:17], s[18:19]
	s_cbranch_execz .LBB642_328
; %bb.325:                              ;   in Loop: Header=BB642_215 Depth=1
	v_bfe_u32 v59, v44, 16, 7
	v_cmp_ne_u32_e32 vcc, s21, v59
	v_mov_b32_e32 v57, 0x7f800001
	s_and_saveexec_b64 s[18:19], vcc
	s_cbranch_execz .LBB642_327
; %bb.326:                              ;   in Loop: Header=BB642_215 Depth=1
	v_and_b32_e32 v57, 7, v46
	v_ffbh_u32_e32 v60, v57
	v_min_u32_e32 v63, 32, v60
	v_subrev_u32_e32 v60, 28, v63
	v_lshlrev_b64 v[60:61], v60, v[46:47]
	v_lshrrev_b32_e32 v62, 3, v59
	v_sub_u32_e32 v61, 29, v63
	v_and_b32_e32 v60, 7, v60
	v_cmp_gt_u32_e32 vcc, 8, v59
	v_cndmask_b32_e32 v59, v62, v61, vcc
	v_cndmask_b32_e32 v57, v57, v60, vcc
	v_lshlrev_b32_e32 v46, 24, v46
	v_lshlrev_b32_e32 v57, 20, v57
	v_and_b32_e32 v46, 0x80000000, v46
	v_lshl_add_u32 v59, v59, 23, v55
	v_or3_b32 v57, v46, v59, v57
.LBB642_327:                            ;   in Loop: Header=BB642_215 Depth=1
	s_or_b64 exec, exec, s[18:19]
.LBB642_328:                            ;   in Loop: Header=BB642_215 Depth=1
	s_or_b64 exec, exec, s[16:17]
.LBB642_329:                            ;   in Loop: Header=BB642_215 Depth=1
	s_or_b64 exec, exec, s[14:15]
	v_cmp_lt_u32_e32 vcc, s22, v44
	v_mov_b32_e32 v59, 0
	v_mov_b32_e32 v60, 0
	s_and_saveexec_b64 s[14:15], vcc
	s_cbranch_execz .LBB642_335
; %bb.330:                              ;   in Loop: Header=BB642_215 Depth=1
	v_lshrrev_b32_e32 v46, 24, v44
	v_cmp_ne_u32_e32 vcc, s9, v46
	v_bfrev_b32_e32 v60, 1
	s_and_saveexec_b64 s[16:17], vcc
	s_cbranch_execz .LBB642_334
; %bb.331:                              ;   in Loop: Header=BB642_215 Depth=1
	v_bfe_u32 v44, v44, 24, 7
	v_cmp_ne_u32_e32 vcc, s21, v44
	v_mov_b32_e32 v60, 0x7f800001
	s_and_saveexec_b64 s[18:19], vcc
	s_cbranch_execz .LBB642_333
; %bb.332:                              ;   in Loop: Header=BB642_215 Depth=1
	v_and_b32_e32 v62, 7, v46
	v_ffbh_u32_e32 v60, v62
	v_min_u32_e32 v64, 32, v60
	v_subrev_u32_e32 v60, 28, v64
	v_lshlrev_b64 v[60:61], v60, v[46:47]
	v_lshrrev_b32_e32 v63, 3, v44
	v_sub_u32_e32 v61, 29, v64
	v_and_b32_e32 v60, 7, v60
	v_cmp_gt_u32_e32 vcc, 8, v44
	v_cndmask_b32_e32 v44, v63, v61, vcc
	v_cndmask_b32_e32 v60, v62, v60, vcc
	v_lshlrev_b32_e32 v46, 24, v46
	v_lshlrev_b32_e32 v60, 20, v60
	v_and_b32_e32 v46, 0x80000000, v46
	v_lshl_add_u32 v44, v44, 23, v55
	v_or3_b32 v60, v46, v44, v60
.LBB642_333:                            ;   in Loop: Header=BB642_215 Depth=1
	s_or_b64 exec, exec, s[18:19]
.LBB642_334:                            ;   in Loop: Header=BB642_215 Depth=1
	s_or_b64 exec, exec, s[16:17]
.LBB642_335:                            ;   in Loop: Header=BB642_215 Depth=1
	s_or_b64 exec, exec, s[14:15]
	s_waitcnt vmcnt(2)
	v_cmp_ne_u16_sdwa s[16:17], v42, v54 src0_sel:BYTE_0 src1_sel:DWORD
	s_and_saveexec_b64 s[14:15], s[16:17]
	s_cbranch_execz .LBB642_341
; %bb.336:                              ;   in Loop: Header=BB642_215 Depth=1
	v_cmp_ne_u16_sdwa s[18:19], v42, s9 src0_sel:BYTE_0 src1_sel:DWORD
	v_bfrev_b32_e32 v59, 1
	s_and_saveexec_b64 s[16:17], s[18:19]
	s_cbranch_execz .LBB642_340
; %bb.337:                              ;   in Loop: Header=BB642_215 Depth=1
	v_and_b32_e32 v44, 0x7f, v42
	v_cmp_ne_u32_e32 vcc, s21, v44
	v_mov_b32_e32 v59, 0x7f800001
	s_and_saveexec_b64 s[18:19], vcc
	s_cbranch_execz .LBB642_339
; %bb.338:                              ;   in Loop: Header=BB642_215 Depth=1
	v_and_b32_e32 v46, 7, v42
	v_ffbh_u32_e32 v61, v46
	v_min_u32_e32 v61, 32, v61
	v_subrev_u32_e32 v62, 28, v61
	v_lshlrev_b64 v[62:63], v62, v[42:43]
	v_lshrrev_b32_e32 v59, 3, v44
	v_sub_u32_e32 v61, 29, v61
	v_and_b32_e32 v62, 7, v62
	v_cmp_gt_u32_e32 vcc, 8, v44
	v_cndmask_b32_e32 v44, v59, v61, vcc
	v_cndmask_b32_e32 v46, v46, v62, vcc
	v_lshlrev_b32_e32 v59, 24, v42
	v_lshlrev_b32_e32 v46, 20, v46
	v_and_b32_e32 v59, 0x80000000, v59
	v_lshl_add_u32 v44, v44, 23, v55
	v_or3_b32 v59, v59, v44, v46
.LBB642_339:                            ;   in Loop: Header=BB642_215 Depth=1
	s_or_b64 exec, exec, s[18:19]
.LBB642_340:                            ;   in Loop: Header=BB642_215 Depth=1
	s_or_b64 exec, exec, s[16:17]
.LBB642_341:                            ;   in Loop: Header=BB642_215 Depth=1
	s_or_b64 exec, exec, s[14:15]
	v_lshrrev_b16_e32 v44, 8, v42
	v_cmp_ne_u16_e32 vcc, 0, v44
	v_mov_b32_e32 v61, 0
	v_mov_b32_e32 v62, 0
	s_and_saveexec_b64 s[14:15], vcc
	s_cbranch_execz .LBB642_347
; %bb.342:                              ;   in Loop: Header=BB642_215 Depth=1
	v_cmp_ne_u16_e32 vcc, s9, v44
	v_bfrev_b32_e32 v62, 1
	s_and_saveexec_b64 s[16:17], vcc
	s_cbranch_execz .LBB642_346
; %bb.343:                              ;   in Loop: Header=BB642_215 Depth=1
	v_and_b32_e32 v46, 0x7f, v44
	v_cmp_ne_u32_e32 vcc, s21, v46
	v_mov_b32_e32 v62, 0x7f800001
	s_and_saveexec_b64 s[18:19], vcc
	s_cbranch_execz .LBB642_345
; %bb.344:                              ;   in Loop: Header=BB642_215 Depth=1
	v_and_b32_e32 v64, 7, v44
	v_ffbh_u32_e32 v62, v64
	v_min_u32_e32 v66, 32, v62
	v_subrev_u32_e32 v62, 28, v66
	v_lshlrev_b64 v[62:63], v62, v[44:45]
	v_lshrrev_b32_e32 v65, 3, v46
	v_sub_u32_e32 v44, 29, v66
	v_and_b32_e32 v62, 7, v62
	v_cmp_gt_u32_e32 vcc, 8, v46
	v_cndmask_b32_e32 v44, v65, v44, vcc
	v_cndmask_b32_e32 v46, v64, v62, vcc
	v_lshlrev_b32_e32 v62, 16, v42
	v_lshlrev_b32_e32 v46, 20, v46
	v_and_b32_e32 v62, 0x80000000, v62
	v_lshl_add_u32 v44, v44, 23, v55
	v_or3_b32 v62, v62, v44, v46
.LBB642_345:                            ;   in Loop: Header=BB642_215 Depth=1
	s_or_b64 exec, exec, s[18:19]
.LBB642_346:                            ;   in Loop: Header=BB642_215 Depth=1
	s_or_b64 exec, exec, s[16:17]
.LBB642_347:                            ;   in Loop: Header=BB642_215 Depth=1
	s_or_b64 exec, exec, s[14:15]
	v_lshrrev_b32_e32 v44, 16, v42
	v_cmp_ne_u16_sdwa s[16:17], v44, v54 src0_sel:BYTE_0 src1_sel:DWORD
	s_and_saveexec_b64 s[14:15], s[16:17]
	s_cbranch_execz .LBB642_353
; %bb.348:                              ;   in Loop: Header=BB642_215 Depth=1
	v_cmp_ne_u16_sdwa s[18:19], v44, s9 src0_sel:BYTE_0 src1_sel:DWORD
	v_bfrev_b32_e32 v61, 1
	s_and_saveexec_b64 s[16:17], s[18:19]
	s_cbranch_execz .LBB642_352
; %bb.349:                              ;   in Loop: Header=BB642_215 Depth=1
	v_bfe_u32 v46, v42, 16, 7
	v_cmp_ne_u32_e32 vcc, s21, v46
	v_mov_b32_e32 v61, 0x7f800001
	s_and_saveexec_b64 s[18:19], vcc
	s_cbranch_execz .LBB642_351
; %bb.350:                              ;   in Loop: Header=BB642_215 Depth=1
	v_and_b32_e32 v61, 7, v44
	v_ffbh_u32_e32 v64, v61
	v_min_u32_e32 v66, 32, v64
	v_subrev_u32_e32 v64, 28, v66
	v_lshlrev_b64 v[64:65], v64, v[44:45]
	v_lshrrev_b32_e32 v63, 3, v46
	v_sub_u32_e32 v65, 29, v66
	v_and_b32_e32 v64, 7, v64
	v_cmp_gt_u32_e32 vcc, 8, v46
	v_cndmask_b32_e32 v46, v63, v65, vcc
	v_cndmask_b32_e32 v61, v61, v64, vcc
	v_lshlrev_b32_e32 v44, 24, v44
	v_lshlrev_b32_e32 v61, 20, v61
	v_and_b32_e32 v44, 0x80000000, v44
	v_lshl_add_u32 v46, v46, 23, v55
	v_or3_b32 v61, v44, v46, v61
.LBB642_351:                            ;   in Loop: Header=BB642_215 Depth=1
	s_or_b64 exec, exec, s[18:19]
.LBB642_352:                            ;   in Loop: Header=BB642_215 Depth=1
	s_or_b64 exec, exec, s[16:17]
.LBB642_353:                            ;   in Loop: Header=BB642_215 Depth=1
	s_or_b64 exec, exec, s[14:15]
	v_cmp_lt_u32_e32 vcc, s22, v42
	v_mov_b32_e32 v46, 0
	v_mov_b32_e32 v63, 0
	s_and_saveexec_b64 s[14:15], vcc
	s_cbranch_execz .LBB642_359
; %bb.354:                              ;   in Loop: Header=BB642_215 Depth=1
	v_lshrrev_b32_e32 v44, 24, v42
	v_cmp_ne_u32_e32 vcc, s9, v44
	v_bfrev_b32_e32 v63, 1
	s_and_saveexec_b64 s[16:17], vcc
	s_cbranch_execz .LBB642_358
; %bb.355:                              ;   in Loop: Header=BB642_215 Depth=1
	v_bfe_u32 v42, v42, 24, 7
	v_cmp_ne_u32_e32 vcc, s21, v42
	v_mov_b32_e32 v63, 0x7f800001
	s_and_saveexec_b64 s[18:19], vcc
	s_cbranch_execz .LBB642_357
; %bb.356:                              ;   in Loop: Header=BB642_215 Depth=1
	v_and_b32_e32 v63, 7, v44
	v_ffbh_u32_e32 v64, v63
	v_min_u32_e32 v67, 32, v64
	v_subrev_u32_e32 v64, 28, v67
	v_lshlrev_b64 v[64:65], v64, v[44:45]
	v_lshrrev_b32_e32 v66, 3, v42
	v_sub_u32_e32 v65, 29, v67
	v_and_b32_e32 v64, 7, v64
	v_cmp_gt_u32_e32 vcc, 8, v42
	v_cndmask_b32_e32 v42, v66, v65, vcc
	v_cndmask_b32_e32 v63, v63, v64, vcc
	v_lshlrev_b32_e32 v44, 24, v44
	v_lshlrev_b32_e32 v63, 20, v63
	v_and_b32_e32 v44, 0x80000000, v44
	v_lshl_add_u32 v42, v42, 23, v55
	v_or3_b32 v63, v44, v42, v63
.LBB642_357:                            ;   in Loop: Header=BB642_215 Depth=1
	s_or_b64 exec, exec, s[18:19]
.LBB642_358:                            ;   in Loop: Header=BB642_215 Depth=1
	s_or_b64 exec, exec, s[16:17]
.LBB642_359:                            ;   in Loop: Header=BB642_215 Depth=1
	s_or_b64 exec, exec, s[14:15]
	v_cvt_pkrtz_f16_f32 v56, v56, v58
	v_cvt_pkrtz_f16_f32 v57, v57, v60
	s_waitcnt vmcnt(1)
	v_cmp_ne_u16_sdwa s[16:17], v40, v54 src0_sel:BYTE_0 src1_sel:DWORD
	v_mfma_f32_16x16x16f16 v[34:37], v[56:57], v[10:11], v[34:37]
	v_cvt_pkrtz_f16_f32 v56, v59, v62
	v_cvt_pkrtz_f16_f32 v57, v61, v63
	s_nop 1
	v_mfma_f32_16x16x16f16 v[34:37], v[56:57], v[12:13], v[34:37]
	s_and_saveexec_b64 s[14:15], s[16:17]
	s_cbranch_execz .LBB642_365
; %bb.360:                              ;   in Loop: Header=BB642_215 Depth=1
	v_cmp_ne_u16_sdwa s[18:19], v40, s9 src0_sel:BYTE_0 src1_sel:DWORD
	v_bfrev_b32_e32 v46, 1
	s_and_saveexec_b64 s[16:17], s[18:19]
	s_cbranch_execz .LBB642_364
; %bb.361:                              ;   in Loop: Header=BB642_215 Depth=1
	v_and_b32_e32 v42, 0x7f, v40
	v_cmp_ne_u32_e32 vcc, s21, v42
	v_mov_b32_e32 v46, 0x7f800001
	s_and_saveexec_b64 s[18:19], vcc
	s_cbranch_execz .LBB642_363
; %bb.362:                              ;   in Loop: Header=BB642_215 Depth=1
	v_and_b32_e32 v44, 7, v40
	v_ffbh_u32_e32 v56, v44
	v_min_u32_e32 v58, 32, v56
	v_subrev_u32_e32 v56, 28, v58
	v_lshlrev_b64 v[56:57], v56, v[40:41]
	v_lshrrev_b32_e32 v46, 3, v42
	v_sub_u32_e32 v57, 29, v58
	v_and_b32_e32 v56, 7, v56
	v_cmp_gt_u32_e32 vcc, 8, v42
	v_cndmask_b32_e32 v42, v46, v57, vcc
	v_cndmask_b32_e32 v44, v44, v56, vcc
	v_lshlrev_b32_e32 v46, 24, v40
	v_lshlrev_b32_e32 v44, 20, v44
	v_and_b32_e32 v46, 0x80000000, v46
	v_lshl_add_u32 v42, v42, 23, v55
	v_or3_b32 v46, v46, v42, v44
.LBB642_363:                            ;   in Loop: Header=BB642_215 Depth=1
	s_or_b64 exec, exec, s[18:19]
.LBB642_364:                            ;   in Loop: Header=BB642_215 Depth=1
	s_or_b64 exec, exec, s[16:17]
.LBB642_365:                            ;   in Loop: Header=BB642_215 Depth=1
	s_or_b64 exec, exec, s[14:15]
	v_lshrrev_b16_e32 v42, 8, v40
	v_cmp_ne_u16_e32 vcc, 0, v42
	v_mov_b32_e32 v44, 0
	v_mov_b32_e32 v57, 0
	s_and_saveexec_b64 s[14:15], vcc
	s_cbranch_execz .LBB642_371
; %bb.366:                              ;   in Loop: Header=BB642_215 Depth=1
	v_cmp_ne_u16_e32 vcc, s9, v42
	v_bfrev_b32_e32 v57, 1
	s_and_saveexec_b64 s[16:17], vcc
	s_cbranch_execz .LBB642_370
; %bb.367:                              ;   in Loop: Header=BB642_215 Depth=1
	v_and_b32_e32 v56, 0x7f, v42
	v_cmp_ne_u32_e32 vcc, s21, v56
	v_mov_b32_e32 v57, 0x7f800001
	s_and_saveexec_b64 s[18:19], vcc
	s_cbranch_execz .LBB642_369
; %bb.368:                              ;   in Loop: Header=BB642_215 Depth=1
	v_and_b32_e32 v57, 7, v42
	v_ffbh_u32_e32 v58, v57
	v_min_u32_e32 v61, 32, v58
	v_subrev_u32_e32 v58, 28, v61
	v_lshlrev_b64 v[58:59], v58, v[42:43]
	v_lshrrev_b32_e32 v60, 3, v56
	v_sub_u32_e32 v42, 29, v61
	v_and_b32_e32 v58, 7, v58
	v_cmp_gt_u32_e32 vcc, 8, v56
	v_cndmask_b32_e32 v42, v60, v42, vcc
	v_cndmask_b32_e32 v56, v57, v58, vcc
	v_lshlrev_b32_e32 v57, 16, v40
	v_lshlrev_b32_e32 v56, 20, v56
	v_and_b32_e32 v57, 0x80000000, v57
	v_lshl_add_u32 v42, v42, 23, v55
	v_or3_b32 v57, v57, v42, v56
.LBB642_369:                            ;   in Loop: Header=BB642_215 Depth=1
	s_or_b64 exec, exec, s[18:19]
.LBB642_370:                            ;   in Loop: Header=BB642_215 Depth=1
	s_or_b64 exec, exec, s[16:17]
.LBB642_371:                            ;   in Loop: Header=BB642_215 Depth=1
	s_or_b64 exec, exec, s[14:15]
	v_lshrrev_b32_e32 v42, 16, v40
	v_cmp_ne_u16_sdwa s[16:17], v42, v54 src0_sel:BYTE_0 src1_sel:DWORD
	s_and_saveexec_b64 s[14:15], s[16:17]
	s_cbranch_execz .LBB642_377
; %bb.372:                              ;   in Loop: Header=BB642_215 Depth=1
	v_cmp_ne_u16_sdwa s[18:19], v42, s9 src0_sel:BYTE_0 src1_sel:DWORD
	v_bfrev_b32_e32 v44, 1
	s_and_saveexec_b64 s[16:17], s[18:19]
	s_cbranch_execz .LBB642_376
; %bb.373:                              ;   in Loop: Header=BB642_215 Depth=1
	v_bfe_u32 v56, v40, 16, 7
	v_cmp_ne_u32_e32 vcc, s21, v56
	v_mov_b32_e32 v44, 0x7f800001
	s_and_saveexec_b64 s[18:19], vcc
	s_cbranch_execz .LBB642_375
; %bb.374:                              ;   in Loop: Header=BB642_215 Depth=1
	v_and_b32_e32 v44, 7, v42
	v_ffbh_u32_e32 v58, v44
	v_min_u32_e32 v61, 32, v58
	v_subrev_u32_e32 v58, 28, v61
	v_lshlrev_b64 v[58:59], v58, v[42:43]
	v_lshrrev_b32_e32 v60, 3, v56
	v_sub_u32_e32 v59, 29, v61
	v_and_b32_e32 v58, 7, v58
	v_cmp_gt_u32_e32 vcc, 8, v56
	v_cndmask_b32_e32 v56, v60, v59, vcc
	v_cndmask_b32_e32 v44, v44, v58, vcc
	v_lshlrev_b32_e32 v42, 24, v42
	v_lshlrev_b32_e32 v44, 20, v44
	v_and_b32_e32 v42, 0x80000000, v42
	v_lshl_add_u32 v56, v56, 23, v55
	v_or3_b32 v44, v42, v56, v44
.LBB642_375:                            ;   in Loop: Header=BB642_215 Depth=1
	s_or_b64 exec, exec, s[18:19]
.LBB642_376:                            ;   in Loop: Header=BB642_215 Depth=1
	s_or_b64 exec, exec, s[16:17]
.LBB642_377:                            ;   in Loop: Header=BB642_215 Depth=1
	s_or_b64 exec, exec, s[14:15]
	v_cmp_lt_u32_e32 vcc, s22, v40
	v_mov_b32_e32 v58, 0
	v_mov_b32_e32 v59, 0
	s_and_saveexec_b64 s[14:15], vcc
	s_cbranch_execz .LBB642_383
; %bb.378:                              ;   in Loop: Header=BB642_215 Depth=1
	v_lshrrev_b32_e32 v42, 24, v40
	v_cmp_ne_u32_e32 vcc, s9, v42
	v_bfrev_b32_e32 v59, 1
	s_and_saveexec_b64 s[16:17], vcc
	s_cbranch_execz .LBB642_382
; %bb.379:                              ;   in Loop: Header=BB642_215 Depth=1
	v_bfe_u32 v40, v40, 24, 7
	v_cmp_ne_u32_e32 vcc, s21, v40
	v_mov_b32_e32 v59, 0x7f800001
	s_and_saveexec_b64 s[18:19], vcc
	s_cbranch_execz .LBB642_381
; %bb.380:                              ;   in Loop: Header=BB642_215 Depth=1
	v_and_b32_e32 v56, 7, v42
	v_ffbh_u32_e32 v60, v56
	v_min_u32_e32 v62, 32, v60
	v_subrev_u32_e32 v60, 28, v62
	v_lshlrev_b64 v[60:61], v60, v[42:43]
	v_lshrrev_b32_e32 v59, 3, v40
	v_sub_u32_e32 v61, 29, v62
	v_and_b32_e32 v60, 7, v60
	v_cmp_gt_u32_e32 vcc, 8, v40
	v_cndmask_b32_e32 v40, v59, v61, vcc
	v_cndmask_b32_e32 v56, v56, v60, vcc
	v_lshlrev_b32_e32 v42, 24, v42
	v_lshlrev_b32_e32 v56, 20, v56
	v_and_b32_e32 v42, 0x80000000, v42
	v_lshl_add_u32 v40, v40, 23, v55
	v_or3_b32 v59, v42, v40, v56
.LBB642_381:                            ;   in Loop: Header=BB642_215 Depth=1
	s_or_b64 exec, exec, s[18:19]
.LBB642_382:                            ;   in Loop: Header=BB642_215 Depth=1
	s_or_b64 exec, exec, s[16:17]
.LBB642_383:                            ;   in Loop: Header=BB642_215 Depth=1
	s_or_b64 exec, exec, s[14:15]
	s_waitcnt vmcnt(0)
	v_cmp_ne_u16_sdwa s[16:17], v38, v54 src0_sel:BYTE_0 src1_sel:DWORD
	s_and_saveexec_b64 s[14:15], s[16:17]
	s_cbranch_execz .LBB642_389
; %bb.384:                              ;   in Loop: Header=BB642_215 Depth=1
	v_cmp_ne_u16_sdwa s[18:19], v38, s9 src0_sel:BYTE_0 src1_sel:DWORD
	v_bfrev_b32_e32 v58, 1
	s_and_saveexec_b64 s[16:17], s[18:19]
	s_cbranch_execz .LBB642_388
; %bb.385:                              ;   in Loop: Header=BB642_215 Depth=1
	v_and_b32_e32 v40, 0x7f, v38
	v_cmp_ne_u32_e32 vcc, s21, v40
	v_mov_b32_e32 v58, 0x7f800001
	s_and_saveexec_b64 s[18:19], vcc
	s_cbranch_execz .LBB642_387
; %bb.386:                              ;   in Loop: Header=BB642_215 Depth=1
	v_and_b32_e32 v42, 7, v38
	v_ffbh_u32_e32 v58, v42
	v_min_u32_e32 v58, 32, v58
	v_subrev_u32_e32 v60, 28, v58
	v_lshlrev_b64 v[60:61], v60, v[38:39]
	v_lshrrev_b32_e32 v56, 3, v40
	v_sub_u32_e32 v58, 29, v58
	v_and_b32_e32 v60, 7, v60
	v_cmp_gt_u32_e32 vcc, 8, v40
	v_cndmask_b32_e32 v40, v56, v58, vcc
	v_cndmask_b32_e32 v42, v42, v60, vcc
	v_lshlrev_b32_e32 v56, 24, v38
	v_lshlrev_b32_e32 v42, 20, v42
	v_and_b32_e32 v56, 0x80000000, v56
	v_lshl_add_u32 v40, v40, 23, v55
	v_or3_b32 v58, v56, v40, v42
.LBB642_387:                            ;   in Loop: Header=BB642_215 Depth=1
	s_or_b64 exec, exec, s[18:19]
.LBB642_388:                            ;   in Loop: Header=BB642_215 Depth=1
	s_or_b64 exec, exec, s[16:17]
.LBB642_389:                            ;   in Loop: Header=BB642_215 Depth=1
	s_or_b64 exec, exec, s[14:15]
	v_lshrrev_b16_e32 v40, 8, v38
	v_cmp_ne_u16_e32 vcc, 0, v40
	v_mov_b32_e32 v60, 0
	v_mov_b32_e32 v61, 0
	s_and_saveexec_b64 s[14:15], vcc
	s_cbranch_execz .LBB642_395
; %bb.390:                              ;   in Loop: Header=BB642_215 Depth=1
	v_cmp_ne_u16_e32 vcc, s9, v40
	v_bfrev_b32_e32 v61, 1
	s_and_saveexec_b64 s[16:17], vcc
	s_cbranch_execz .LBB642_394
; %bb.391:                              ;   in Loop: Header=BB642_215 Depth=1
	v_and_b32_e32 v42, 0x7f, v40
	v_cmp_ne_u32_e32 vcc, s21, v42
	v_mov_b32_e32 v61, 0x7f800001
	s_and_saveexec_b64 s[18:19], vcc
	s_cbranch_execz .LBB642_393
; %bb.392:                              ;   in Loop: Header=BB642_215 Depth=1
	v_and_b32_e32 v56, 7, v40
	v_ffbh_u32_e32 v62, v56
	v_min_u32_e32 v64, 32, v62
	v_subrev_u32_e32 v62, 28, v64
	v_lshlrev_b64 v[62:63], v62, v[40:41]
	v_lshrrev_b32_e32 v61, 3, v42
	v_sub_u32_e32 v40, 29, v64
	v_and_b32_e32 v62, 7, v62
	v_cmp_gt_u32_e32 vcc, 8, v42
	v_cndmask_b32_e32 v40, v61, v40, vcc
	v_cndmask_b32_e32 v42, v56, v62, vcc
	v_lshlrev_b32_e32 v56, 16, v38
	v_lshlrev_b32_e32 v42, 20, v42
	v_and_b32_e32 v56, 0x80000000, v56
	v_lshl_add_u32 v40, v40, 23, v55
	v_or3_b32 v61, v56, v40, v42
.LBB642_393:                            ;   in Loop: Header=BB642_215 Depth=1
	s_or_b64 exec, exec, s[18:19]
.LBB642_394:                            ;   in Loop: Header=BB642_215 Depth=1
	s_or_b64 exec, exec, s[16:17]
.LBB642_395:                            ;   in Loop: Header=BB642_215 Depth=1
	s_or_b64 exec, exec, s[14:15]
	v_lshrrev_b32_e32 v40, 16, v38
	v_cmp_ne_u16_sdwa s[16:17], v40, v54 src0_sel:BYTE_0 src1_sel:DWORD
	s_and_saveexec_b64 s[14:15], s[16:17]
	s_cbranch_execz .LBB642_401
; %bb.396:                              ;   in Loop: Header=BB642_215 Depth=1
	v_cmp_ne_u16_sdwa s[18:19], v40, s9 src0_sel:BYTE_0 src1_sel:DWORD
	v_bfrev_b32_e32 v60, 1
	s_and_saveexec_b64 s[16:17], s[18:19]
	s_cbranch_execz .LBB642_400
; %bb.397:                              ;   in Loop: Header=BB642_215 Depth=1
	v_bfe_u32 v42, v38, 16, 7
	v_cmp_ne_u32_e32 vcc, s21, v42
	v_mov_b32_e32 v60, 0x7f800001
	s_and_saveexec_b64 s[18:19], vcc
	s_cbranch_execz .LBB642_399
; %bb.398:                              ;   in Loop: Header=BB642_215 Depth=1
	v_and_b32_e32 v56, 7, v40
	v_ffbh_u32_e32 v62, v56
	v_min_u32_e32 v64, 32, v62
	v_subrev_u32_e32 v62, 28, v64
	v_lshlrev_b64 v[62:63], v62, v[40:41]
	v_lshrrev_b32_e32 v60, 3, v42
	v_sub_u32_e32 v63, 29, v64
	v_and_b32_e32 v62, 7, v62
	v_cmp_gt_u32_e32 vcc, 8, v42
	v_cndmask_b32_e32 v42, v60, v63, vcc
	v_cndmask_b32_e32 v56, v56, v62, vcc
	v_lshlrev_b32_e32 v40, 24, v40
	v_lshlrev_b32_e32 v56, 20, v56
	v_and_b32_e32 v40, 0x80000000, v40
	v_lshl_add_u32 v42, v42, 23, v55
	v_or3_b32 v60, v40, v42, v56
.LBB642_399:                            ;   in Loop: Header=BB642_215 Depth=1
	s_or_b64 exec, exec, s[18:19]
.LBB642_400:                            ;   in Loop: Header=BB642_215 Depth=1
	s_or_b64 exec, exec, s[16:17]
.LBB642_401:                            ;   in Loop: Header=BB642_215 Depth=1
	s_or_b64 exec, exec, s[14:15]
	v_cmp_lt_u32_e32 vcc, s22, v38
	v_mov_b32_e32 v56, 0
	v_mov_b32_e32 v62, 0
	s_and_saveexec_b64 s[14:15], vcc
	s_cbranch_execz .LBB642_407
; %bb.402:                              ;   in Loop: Header=BB642_215 Depth=1
	v_lshrrev_b32_e32 v40, 24, v38
	v_cmp_ne_u32_e32 vcc, s9, v40
	v_bfrev_b32_e32 v62, 1
	s_and_saveexec_b64 s[16:17], vcc
	s_cbranch_execz .LBB642_406
; %bb.403:                              ;   in Loop: Header=BB642_215 Depth=1
	v_bfe_u32 v38, v38, 24, 7
	v_cmp_ne_u32_e32 vcc, s21, v38
	v_mov_b32_e32 v62, 0x7f800001
	s_and_saveexec_b64 s[18:19], vcc
	s_cbranch_execz .LBB642_405
; %bb.404:                              ;   in Loop: Header=BB642_215 Depth=1
	v_and_b32_e32 v42, 7, v40
	v_ffbh_u32_e32 v62, v42
	v_min_u32_e32 v65, 32, v62
	v_subrev_u32_e32 v62, 28, v65
	v_lshlrev_b64 v[62:63], v62, v[40:41]
	v_lshrrev_b32_e32 v64, 3, v38
	v_sub_u32_e32 v63, 29, v65
	v_and_b32_e32 v62, 7, v62
	v_cmp_gt_u32_e32 vcc, 8, v38
	v_cndmask_b32_e32 v38, v64, v63, vcc
	v_cndmask_b32_e32 v42, v42, v62, vcc
	v_lshlrev_b32_e32 v40, 24, v40
	v_lshlrev_b32_e32 v42, 20, v42
	v_and_b32_e32 v40, 0x80000000, v40
	v_lshl_add_u32 v38, v38, 23, v55
	v_or3_b32 v62, v40, v38, v42
.LBB642_405:                            ;   in Loop: Header=BB642_215 Depth=1
	s_or_b64 exec, exec, s[18:19]
.LBB642_406:                            ;   in Loop: Header=BB642_215 Depth=1
	s_or_b64 exec, exec, s[16:17]
.LBB642_407:                            ;   in Loop: Header=BB642_215 Depth=1
	s_or_b64 exec, exec, s[14:15]
	v_cvt_pkrtz_f16_f32 v65, v44, v59
	buffer_load_dword v44, v51, s[0:3], 0 offen
	buffer_load_dword v42, v51, s[0:3], 0 offen offset:4
	buffer_load_dword v40, v51, s[0:3], 0 offen offset:8
	;; [unrolled: 1-line block ×3, first 2 shown]
	v_cvt_pkrtz_f16_f32 v64, v46, v57
	v_cvt_pkrtz_f16_f32 v58, v58, v61
	;; [unrolled: 1-line block ×3, first 2 shown]
	v_mfma_f32_16x16x16f16 v[34:37], v[64:65], v[14:15], v[34:37]
	s_waitcnt vmcnt(3)
	v_cmp_ne_u16_sdwa s[16:17], v44, v54 src0_sel:BYTE_0 src1_sel:DWORD
	v_mfma_f32_16x16x16f16 v[34:37], v[58:59], v[16:17], v[34:37]
	s_and_saveexec_b64 s[14:15], s[16:17]
	s_cbranch_execz .LBB642_413
; %bb.408:                              ;   in Loop: Header=BB642_215 Depth=1
	v_cmp_ne_u16_sdwa s[18:19], v44, s9 src0_sel:BYTE_0 src1_sel:DWORD
	v_bfrev_b32_e32 v56, 1
	s_and_saveexec_b64 s[16:17], s[18:19]
	s_cbranch_execz .LBB642_412
; %bb.409:                              ;   in Loop: Header=BB642_215 Depth=1
	v_and_b32_e32 v46, 0x7f, v44
	v_cmp_ne_u32_e32 vcc, s21, v46
	v_mov_b32_e32 v56, 0x7f800001
	s_and_saveexec_b64 s[18:19], vcc
	s_cbranch_execz .LBB642_411
; %bb.410:                              ;   in Loop: Header=BB642_215 Depth=1
	v_and_b32_e32 v51, 7, v44
	v_ffbh_u32_e32 v56, v51
	v_min_u32_e32 v59, 32, v56
	v_subrev_u32_e32 v56, 28, v59
	v_lshlrev_b64 v[56:57], v56, v[44:45]
	v_lshrrev_b32_e32 v58, 3, v46
	v_sub_u32_e32 v57, 29, v59
	v_and_b32_e32 v56, 7, v56
	v_cmp_gt_u32_e32 vcc, 8, v46
	v_cndmask_b32_e32 v46, v58, v57, vcc
	v_cndmask_b32_e32 v51, v51, v56, vcc
	v_lshlrev_b32_e32 v56, 24, v44
	v_lshlrev_b32_e32 v51, 20, v51
	v_and_b32_e32 v56, 0x80000000, v56
	v_lshl_add_u32 v46, v46, 23, v55
	v_or3_b32 v56, v56, v46, v51
.LBB642_411:                            ;   in Loop: Header=BB642_215 Depth=1
	s_or_b64 exec, exec, s[18:19]
.LBB642_412:                            ;   in Loop: Header=BB642_215 Depth=1
	s_or_b64 exec, exec, s[16:17]
.LBB642_413:                            ;   in Loop: Header=BB642_215 Depth=1
	s_or_b64 exec, exec, s[14:15]
	v_lshrrev_b16_e32 v46, 8, v44
	v_cmp_ne_u16_e32 vcc, 0, v46
	v_mov_b32_e32 v51, 0
	v_mov_b32_e32 v57, 0
	s_and_saveexec_b64 s[14:15], vcc
	s_cbranch_execz .LBB642_419
; %bb.414:                              ;   in Loop: Header=BB642_215 Depth=1
	v_cmp_ne_u16_e32 vcc, s9, v46
	v_bfrev_b32_e32 v57, 1
	s_and_saveexec_b64 s[16:17], vcc
	s_cbranch_execz .LBB642_418
; %bb.415:                              ;   in Loop: Header=BB642_215 Depth=1
	v_and_b32_e32 v58, 0x7f, v46
	v_cmp_ne_u32_e32 vcc, s21, v58
	v_mov_b32_e32 v57, 0x7f800001
	s_and_saveexec_b64 s[18:19], vcc
	s_cbranch_execz .LBB642_417
; %bb.416:                              ;   in Loop: Header=BB642_215 Depth=1
	v_and_b32_e32 v57, 7, v46
	v_ffbh_u32_e32 v60, v57
	v_min_u32_e32 v62, 32, v60
	v_subrev_u32_e32 v60, 28, v62
	v_lshlrev_b64 v[60:61], v60, v[46:47]
	v_lshrrev_b32_e32 v59, 3, v58
	v_sub_u32_e32 v46, 29, v62
	v_and_b32_e32 v60, 7, v60
	v_cmp_gt_u32_e32 vcc, 8, v58
	v_cndmask_b32_e32 v46, v59, v46, vcc
	v_cndmask_b32_e32 v57, v57, v60, vcc
	v_lshlrev_b32_e32 v58, 16, v44
	v_lshlrev_b32_e32 v57, 20, v57
	v_and_b32_e32 v58, 0x80000000, v58
	v_lshl_add_u32 v46, v46, 23, v55
	v_or3_b32 v57, v58, v46, v57
.LBB642_417:                            ;   in Loop: Header=BB642_215 Depth=1
	s_or_b64 exec, exec, s[18:19]
.LBB642_418:                            ;   in Loop: Header=BB642_215 Depth=1
	s_or_b64 exec, exec, s[16:17]
.LBB642_419:                            ;   in Loop: Header=BB642_215 Depth=1
	s_or_b64 exec, exec, s[14:15]
	v_lshrrev_b32_e32 v46, 16, v44
	v_cmp_ne_u16_sdwa s[16:17], v46, v54 src0_sel:BYTE_0 src1_sel:DWORD
	s_and_saveexec_b64 s[14:15], s[16:17]
	s_cbranch_execz .LBB642_425
; %bb.420:                              ;   in Loop: Header=BB642_215 Depth=1
	v_cmp_ne_u16_sdwa s[18:19], v46, s9 src0_sel:BYTE_0 src1_sel:DWORD
	v_bfrev_b32_e32 v51, 1
	s_and_saveexec_b64 s[16:17], s[18:19]
	s_cbranch_execz .LBB642_424
; %bb.421:                              ;   in Loop: Header=BB642_215 Depth=1
	v_bfe_u32 v58, v44, 16, 7
	v_cmp_ne_u32_e32 vcc, s21, v58
	v_mov_b32_e32 v51, 0x7f800001
	s_and_saveexec_b64 s[18:19], vcc
	s_cbranch_execz .LBB642_423
; %bb.422:                              ;   in Loop: Header=BB642_215 Depth=1
	v_and_b32_e32 v51, 7, v46
	v_ffbh_u32_e32 v60, v51
	v_min_u32_e32 v62, 32, v60
	v_subrev_u32_e32 v60, 28, v62
	v_lshlrev_b64 v[60:61], v60, v[46:47]
	v_lshrrev_b32_e32 v59, 3, v58
	v_sub_u32_e32 v61, 29, v62
	v_and_b32_e32 v60, 7, v60
	v_cmp_gt_u32_e32 vcc, 8, v58
	v_cndmask_b32_e32 v58, v59, v61, vcc
	v_cndmask_b32_e32 v51, v51, v60, vcc
	v_lshlrev_b32_e32 v46, 24, v46
	v_lshlrev_b32_e32 v51, 20, v51
	v_and_b32_e32 v46, 0x80000000, v46
	v_lshl_add_u32 v58, v58, 23, v55
	v_or3_b32 v51, v46, v58, v51
.LBB642_423:                            ;   in Loop: Header=BB642_215 Depth=1
	s_or_b64 exec, exec, s[18:19]
.LBB642_424:                            ;   in Loop: Header=BB642_215 Depth=1
	s_or_b64 exec, exec, s[16:17]
.LBB642_425:                            ;   in Loop: Header=BB642_215 Depth=1
	s_or_b64 exec, exec, s[14:15]
	v_cmp_lt_u32_e32 vcc, s22, v44
	v_mov_b32_e32 v58, 0
	v_mov_b32_e32 v59, 0
	s_and_saveexec_b64 s[14:15], vcc
	s_cbranch_execz .LBB642_431
; %bb.426:                              ;   in Loop: Header=BB642_215 Depth=1
	v_lshrrev_b32_e32 v46, 24, v44
	v_cmp_ne_u32_e32 vcc, s9, v46
	v_bfrev_b32_e32 v59, 1
	s_and_saveexec_b64 s[16:17], vcc
	s_cbranch_execz .LBB642_430
; %bb.427:                              ;   in Loop: Header=BB642_215 Depth=1
	v_bfe_u32 v44, v44, 24, 7
	v_cmp_ne_u32_e32 vcc, s21, v44
	v_mov_b32_e32 v59, 0x7f800001
	s_and_saveexec_b64 s[18:19], vcc
	s_cbranch_execz .LBB642_429
; %bb.428:                              ;   in Loop: Header=BB642_215 Depth=1
	v_and_b32_e32 v59, 7, v46
	v_ffbh_u32_e32 v60, v59
	v_min_u32_e32 v63, 32, v60
	v_subrev_u32_e32 v60, 28, v63
	v_lshlrev_b64 v[60:61], v60, v[46:47]
	v_lshrrev_b32_e32 v62, 3, v44
	v_sub_u32_e32 v61, 29, v63
	v_and_b32_e32 v60, 7, v60
	v_cmp_gt_u32_e32 vcc, 8, v44
	v_cndmask_b32_e32 v44, v62, v61, vcc
	v_cndmask_b32_e32 v59, v59, v60, vcc
	v_lshlrev_b32_e32 v46, 24, v46
	v_lshlrev_b32_e32 v59, 20, v59
	v_and_b32_e32 v46, 0x80000000, v46
	v_lshl_add_u32 v44, v44, 23, v55
	v_or3_b32 v59, v46, v44, v59
.LBB642_429:                            ;   in Loop: Header=BB642_215 Depth=1
	s_or_b64 exec, exec, s[18:19]
.LBB642_430:                            ;   in Loop: Header=BB642_215 Depth=1
	s_or_b64 exec, exec, s[16:17]
.LBB642_431:                            ;   in Loop: Header=BB642_215 Depth=1
	s_or_b64 exec, exec, s[14:15]
	s_waitcnt vmcnt(2)
	v_cmp_ne_u16_sdwa s[16:17], v42, v54 src0_sel:BYTE_0 src1_sel:DWORD
	s_and_saveexec_b64 s[14:15], s[16:17]
	s_cbranch_execz .LBB642_437
; %bb.432:                              ;   in Loop: Header=BB642_215 Depth=1
	v_cmp_ne_u16_sdwa s[18:19], v42, s9 src0_sel:BYTE_0 src1_sel:DWORD
	v_bfrev_b32_e32 v58, 1
	s_and_saveexec_b64 s[16:17], s[18:19]
	s_cbranch_execz .LBB642_436
; %bb.433:                              ;   in Loop: Header=BB642_215 Depth=1
	v_and_b32_e32 v44, 0x7f, v42
	v_cmp_ne_u32_e32 vcc, s21, v44
	v_mov_b32_e32 v58, 0x7f800001
	s_and_saveexec_b64 s[18:19], vcc
	s_cbranch_execz .LBB642_435
; %bb.434:                              ;   in Loop: Header=BB642_215 Depth=1
	v_and_b32_e32 v46, 7, v42
	v_ffbh_u32_e32 v60, v46
	v_min_u32_e32 v62, 32, v60
	v_subrev_u32_e32 v60, 28, v62
	v_lshlrev_b64 v[60:61], v60, v[42:43]
	v_lshrrev_b32_e32 v58, 3, v44
	v_sub_u32_e32 v61, 29, v62
	v_and_b32_e32 v60, 7, v60
	v_cmp_gt_u32_e32 vcc, 8, v44
	v_cndmask_b32_e32 v44, v58, v61, vcc
	v_cndmask_b32_e32 v46, v46, v60, vcc
	v_lshlrev_b32_e32 v58, 24, v42
	v_lshlrev_b32_e32 v46, 20, v46
	v_and_b32_e32 v58, 0x80000000, v58
	v_lshl_add_u32 v44, v44, 23, v55
	v_or3_b32 v58, v58, v44, v46
.LBB642_435:                            ;   in Loop: Header=BB642_215 Depth=1
	s_or_b64 exec, exec, s[18:19]
.LBB642_436:                            ;   in Loop: Header=BB642_215 Depth=1
	s_or_b64 exec, exec, s[16:17]
.LBB642_437:                            ;   in Loop: Header=BB642_215 Depth=1
	s_or_b64 exec, exec, s[14:15]
	v_lshrrev_b16_e32 v44, 8, v42
	v_cmp_ne_u16_e32 vcc, 0, v44
	v_mov_b32_e32 v60, 0
	v_mov_b32_e32 v61, 0
	s_and_saveexec_b64 s[14:15], vcc
	s_cbranch_execz .LBB642_443
; %bb.438:                              ;   in Loop: Header=BB642_215 Depth=1
	v_cmp_ne_u16_e32 vcc, s9, v44
	v_bfrev_b32_e32 v61, 1
	s_and_saveexec_b64 s[16:17], vcc
	s_cbranch_execz .LBB642_442
; %bb.439:                              ;   in Loop: Header=BB642_215 Depth=1
	v_and_b32_e32 v46, 0x7f, v44
	v_cmp_ne_u32_e32 vcc, s21, v46
	v_mov_b32_e32 v61, 0x7f800001
	s_and_saveexec_b64 s[18:19], vcc
	s_cbranch_execz .LBB642_441
; %bb.440:                              ;   in Loop: Header=BB642_215 Depth=1
	v_and_b32_e32 v61, 7, v44
	v_ffbh_u32_e32 v62, v61
	v_min_u32_e32 v65, 32, v62
	v_subrev_u32_e32 v62, 28, v65
	v_lshlrev_b64 v[62:63], v62, v[44:45]
	v_lshrrev_b32_e32 v64, 3, v46
	v_sub_u32_e32 v44, 29, v65
	v_and_b32_e32 v62, 7, v62
	v_cmp_gt_u32_e32 vcc, 8, v46
	v_cndmask_b32_e32 v44, v64, v44, vcc
	v_cndmask_b32_e32 v46, v61, v62, vcc
	v_lshlrev_b32_e32 v61, 16, v42
	v_lshlrev_b32_e32 v46, 20, v46
	v_and_b32_e32 v61, 0x80000000, v61
	v_lshl_add_u32 v44, v44, 23, v55
	v_or3_b32 v61, v61, v44, v46
.LBB642_441:                            ;   in Loop: Header=BB642_215 Depth=1
	s_or_b64 exec, exec, s[18:19]
.LBB642_442:                            ;   in Loop: Header=BB642_215 Depth=1
	s_or_b64 exec, exec, s[16:17]
.LBB642_443:                            ;   in Loop: Header=BB642_215 Depth=1
	s_or_b64 exec, exec, s[14:15]
	v_lshrrev_b32_e32 v44, 16, v42
	v_cmp_ne_u16_sdwa s[16:17], v44, v54 src0_sel:BYTE_0 src1_sel:DWORD
	s_and_saveexec_b64 s[14:15], s[16:17]
	s_cbranch_execz .LBB642_449
; %bb.444:                              ;   in Loop: Header=BB642_215 Depth=1
	v_cmp_ne_u16_sdwa s[18:19], v44, s9 src0_sel:BYTE_0 src1_sel:DWORD
	v_bfrev_b32_e32 v60, 1
	s_and_saveexec_b64 s[16:17], s[18:19]
	s_cbranch_execz .LBB642_448
; %bb.445:                              ;   in Loop: Header=BB642_215 Depth=1
	v_bfe_u32 v46, v42, 16, 7
	v_cmp_ne_u32_e32 vcc, s21, v46
	v_mov_b32_e32 v60, 0x7f800001
	s_and_saveexec_b64 s[18:19], vcc
	s_cbranch_execz .LBB642_447
; %bb.446:                              ;   in Loop: Header=BB642_215 Depth=1
	v_and_b32_e32 v60, 7, v44
	v_ffbh_u32_e32 v62, v60
	v_min_u32_e32 v65, 32, v62
	v_subrev_u32_e32 v62, 28, v65
	v_lshlrev_b64 v[62:63], v62, v[44:45]
	v_lshrrev_b32_e32 v64, 3, v46
	v_sub_u32_e32 v63, 29, v65
	v_and_b32_e32 v62, 7, v62
	v_cmp_gt_u32_e32 vcc, 8, v46
	v_cndmask_b32_e32 v46, v64, v63, vcc
	v_cndmask_b32_e32 v60, v60, v62, vcc
	v_lshlrev_b32_e32 v44, 24, v44
	v_lshlrev_b32_e32 v60, 20, v60
	v_and_b32_e32 v44, 0x80000000, v44
	v_lshl_add_u32 v46, v46, 23, v55
	v_or3_b32 v60, v44, v46, v60
.LBB642_447:                            ;   in Loop: Header=BB642_215 Depth=1
	s_or_b64 exec, exec, s[18:19]
.LBB642_448:                            ;   in Loop: Header=BB642_215 Depth=1
	s_or_b64 exec, exec, s[16:17]
.LBB642_449:                            ;   in Loop: Header=BB642_215 Depth=1
	s_or_b64 exec, exec, s[14:15]
	v_cmp_lt_u32_e32 vcc, s22, v42
	v_mov_b32_e32 v46, 0
	v_mov_b32_e32 v62, 0
	s_and_saveexec_b64 s[14:15], vcc
	s_cbranch_execz .LBB642_455
; %bb.450:                              ;   in Loop: Header=BB642_215 Depth=1
	v_lshrrev_b32_e32 v44, 24, v42
	v_cmp_ne_u32_e32 vcc, s9, v44
	v_bfrev_b32_e32 v62, 1
	s_and_saveexec_b64 s[16:17], vcc
	s_cbranch_execz .LBB642_454
; %bb.451:                              ;   in Loop: Header=BB642_215 Depth=1
	v_bfe_u32 v42, v42, 24, 7
	v_cmp_ne_u32_e32 vcc, s21, v42
	v_mov_b32_e32 v62, 0x7f800001
	s_and_saveexec_b64 s[18:19], vcc
	s_cbranch_execz .LBB642_453
; %bb.452:                              ;   in Loop: Header=BB642_215 Depth=1
	v_and_b32_e32 v64, 7, v44
	v_ffbh_u32_e32 v62, v64
	v_min_u32_e32 v66, 32, v62
	v_subrev_u32_e32 v62, 28, v66
	v_lshlrev_b64 v[62:63], v62, v[44:45]
	v_lshrrev_b32_e32 v65, 3, v42
	v_sub_u32_e32 v63, 29, v66
	v_and_b32_e32 v62, 7, v62
	v_cmp_gt_u32_e32 vcc, 8, v42
	v_cndmask_b32_e32 v42, v65, v63, vcc
	v_cndmask_b32_e32 v62, v64, v62, vcc
	v_lshlrev_b32_e32 v44, 24, v44
	v_lshlrev_b32_e32 v62, 20, v62
	v_and_b32_e32 v44, 0x80000000, v44
	v_lshl_add_u32 v42, v42, 23, v55
	v_or3_b32 v62, v44, v42, v62
.LBB642_453:                            ;   in Loop: Header=BB642_215 Depth=1
	s_or_b64 exec, exec, s[18:19]
.LBB642_454:                            ;   in Loop: Header=BB642_215 Depth=1
	s_or_b64 exec, exec, s[16:17]
.LBB642_455:                            ;   in Loop: Header=BB642_215 Depth=1
	s_or_b64 exec, exec, s[14:15]
	v_cvt_pkrtz_f16_f32 v56, v56, v57
	v_cvt_pkrtz_f16_f32 v57, v51, v59
	s_waitcnt vmcnt(1)
	v_cmp_ne_u16_sdwa s[16:17], v40, v54 src0_sel:BYTE_0 src1_sel:DWORD
	v_mfma_f32_16x16x16f16 v[34:37], v[56:57], v[18:19], v[34:37]
	v_cvt_pkrtz_f16_f32 v56, v58, v61
	v_cvt_pkrtz_f16_f32 v57, v60, v62
	s_nop 1
	v_mfma_f32_16x16x16f16 v[34:37], v[56:57], v[20:21], v[34:37]
	s_and_saveexec_b64 s[14:15], s[16:17]
	s_cbranch_execz .LBB642_461
; %bb.456:                              ;   in Loop: Header=BB642_215 Depth=1
	v_cmp_ne_u16_sdwa s[18:19], v40, s9 src0_sel:BYTE_0 src1_sel:DWORD
	v_bfrev_b32_e32 v46, 1
	s_and_saveexec_b64 s[16:17], s[18:19]
	s_cbranch_execz .LBB642_460
; %bb.457:                              ;   in Loop: Header=BB642_215 Depth=1
	v_and_b32_e32 v42, 0x7f, v40
	v_cmp_ne_u32_e32 vcc, s21, v42
	v_mov_b32_e32 v46, 0x7f800001
	s_and_saveexec_b64 s[18:19], vcc
	s_cbranch_execz .LBB642_459
; %bb.458:                              ;   in Loop: Header=BB642_215 Depth=1
	v_and_b32_e32 v44, 7, v40
	v_ffbh_u32_e32 v51, v44
	v_min_u32_e32 v51, 32, v51
	v_subrev_u32_e32 v56, 28, v51
	v_lshlrev_b64 v[56:57], v56, v[40:41]
	v_lshrrev_b32_e32 v46, 3, v42
	v_sub_u32_e32 v51, 29, v51
	v_and_b32_e32 v56, 7, v56
	v_cmp_gt_u32_e32 vcc, 8, v42
	v_cndmask_b32_e32 v42, v46, v51, vcc
	v_cndmask_b32_e32 v44, v44, v56, vcc
	v_lshlrev_b32_e32 v46, 24, v40
	v_lshlrev_b32_e32 v44, 20, v44
	v_and_b32_e32 v46, 0x80000000, v46
	v_lshl_add_u32 v42, v42, 23, v55
	v_or3_b32 v46, v46, v42, v44
.LBB642_459:                            ;   in Loop: Header=BB642_215 Depth=1
	s_or_b64 exec, exec, s[18:19]
.LBB642_460:                            ;   in Loop: Header=BB642_215 Depth=1
	s_or_b64 exec, exec, s[16:17]
.LBB642_461:                            ;   in Loop: Header=BB642_215 Depth=1
	s_or_b64 exec, exec, s[14:15]
	v_lshrrev_b16_e32 v42, 8, v40
	v_cmp_ne_u16_e32 vcc, 0, v42
	v_mov_b32_e32 v44, 0
	v_mov_b32_e32 v56, 0
	s_and_saveexec_b64 s[14:15], vcc
	s_cbranch_execz .LBB642_467
; %bb.462:                              ;   in Loop: Header=BB642_215 Depth=1
	v_cmp_ne_u16_e32 vcc, s9, v42
	v_bfrev_b32_e32 v56, 1
	s_and_saveexec_b64 s[16:17], vcc
	s_cbranch_execz .LBB642_466
; %bb.463:                              ;   in Loop: Header=BB642_215 Depth=1
	v_and_b32_e32 v51, 0x7f, v42
	v_cmp_ne_u32_e32 vcc, s21, v51
	v_mov_b32_e32 v56, 0x7f800001
	s_and_saveexec_b64 s[18:19], vcc
	s_cbranch_execz .LBB642_465
; %bb.464:                              ;   in Loop: Header=BB642_215 Depth=1
	v_and_b32_e32 v58, 7, v42
	v_ffbh_u32_e32 v56, v58
	v_min_u32_e32 v60, 32, v56
	v_subrev_u32_e32 v56, 28, v60
	v_lshlrev_b64 v[56:57], v56, v[42:43]
	v_lshrrev_b32_e32 v59, 3, v51
	v_sub_u32_e32 v42, 29, v60
	v_and_b32_e32 v56, 7, v56
	v_cmp_gt_u32_e32 vcc, 8, v51
	v_cndmask_b32_e32 v42, v59, v42, vcc
	v_cndmask_b32_e32 v51, v58, v56, vcc
	v_lshlrev_b32_e32 v56, 16, v40
	v_lshlrev_b32_e32 v51, 20, v51
	v_and_b32_e32 v56, 0x80000000, v56
	v_lshl_add_u32 v42, v42, 23, v55
	v_or3_b32 v56, v56, v42, v51
.LBB642_465:                            ;   in Loop: Header=BB642_215 Depth=1
	s_or_b64 exec, exec, s[18:19]
.LBB642_466:                            ;   in Loop: Header=BB642_215 Depth=1
	s_or_b64 exec, exec, s[16:17]
.LBB642_467:                            ;   in Loop: Header=BB642_215 Depth=1
	s_or_b64 exec, exec, s[14:15]
	v_lshrrev_b32_e32 v42, 16, v40
	v_cmp_ne_u16_sdwa s[16:17], v42, v54 src0_sel:BYTE_0 src1_sel:DWORD
	s_and_saveexec_b64 s[14:15], s[16:17]
	s_cbranch_execz .LBB642_473
; %bb.468:                              ;   in Loop: Header=BB642_215 Depth=1
	v_cmp_ne_u16_sdwa s[18:19], v42, s9 src0_sel:BYTE_0 src1_sel:DWORD
	v_bfrev_b32_e32 v44, 1
	s_and_saveexec_b64 s[16:17], s[18:19]
	s_cbranch_execz .LBB642_472
; %bb.469:                              ;   in Loop: Header=BB642_215 Depth=1
	v_bfe_u32 v51, v40, 16, 7
	v_cmp_ne_u32_e32 vcc, s21, v51
	v_mov_b32_e32 v44, 0x7f800001
	s_and_saveexec_b64 s[18:19], vcc
	s_cbranch_execz .LBB642_471
; %bb.470:                              ;   in Loop: Header=BB642_215 Depth=1
	v_and_b32_e32 v44, 7, v42
	v_ffbh_u32_e32 v58, v44
	v_min_u32_e32 v60, 32, v58
	v_subrev_u32_e32 v58, 28, v60
	v_lshlrev_b64 v[58:59], v58, v[42:43]
	v_lshrrev_b32_e32 v57, 3, v51
	v_sub_u32_e32 v59, 29, v60
	v_and_b32_e32 v58, 7, v58
	v_cmp_gt_u32_e32 vcc, 8, v51
	v_cndmask_b32_e32 v51, v57, v59, vcc
	v_cndmask_b32_e32 v44, v44, v58, vcc
	v_lshlrev_b32_e32 v42, 24, v42
	v_lshlrev_b32_e32 v44, 20, v44
	v_and_b32_e32 v42, 0x80000000, v42
	v_lshl_add_u32 v51, v51, 23, v55
	v_or3_b32 v44, v42, v51, v44
.LBB642_471:                            ;   in Loop: Header=BB642_215 Depth=1
	s_or_b64 exec, exec, s[18:19]
.LBB642_472:                            ;   in Loop: Header=BB642_215 Depth=1
	s_or_b64 exec, exec, s[16:17]
.LBB642_473:                            ;   in Loop: Header=BB642_215 Depth=1
	s_or_b64 exec, exec, s[14:15]
	v_cmp_lt_u32_e32 vcc, s22, v40
	v_mov_b32_e32 v57, 0
	v_mov_b32_e32 v58, 0
	s_and_saveexec_b64 s[14:15], vcc
	s_cbranch_execz .LBB642_479
; %bb.474:                              ;   in Loop: Header=BB642_215 Depth=1
	v_lshrrev_b32_e32 v42, 24, v40
	v_cmp_ne_u32_e32 vcc, s9, v42
	v_bfrev_b32_e32 v58, 1
	s_and_saveexec_b64 s[16:17], vcc
	s_cbranch_execz .LBB642_478
; %bb.475:                              ;   in Loop: Header=BB642_215 Depth=1
	v_bfe_u32 v40, v40, 24, 7
	v_cmp_ne_u32_e32 vcc, s21, v40
	v_mov_b32_e32 v58, 0x7f800001
	s_and_saveexec_b64 s[18:19], vcc
	s_cbranch_execz .LBB642_477
; %bb.476:                              ;   in Loop: Header=BB642_215 Depth=1
	v_and_b32_e32 v51, 7, v42
	v_ffbh_u32_e32 v58, v51
	v_min_u32_e32 v61, 32, v58
	v_subrev_u32_e32 v58, 28, v61
	v_lshlrev_b64 v[58:59], v58, v[42:43]
	v_lshrrev_b32_e32 v60, 3, v40
	v_sub_u32_e32 v59, 29, v61
	v_and_b32_e32 v58, 7, v58
	v_cmp_gt_u32_e32 vcc, 8, v40
	v_cndmask_b32_e32 v40, v60, v59, vcc
	v_cndmask_b32_e32 v51, v51, v58, vcc
	v_lshlrev_b32_e32 v42, 24, v42
	v_lshlrev_b32_e32 v51, 20, v51
	v_and_b32_e32 v42, 0x80000000, v42
	v_lshl_add_u32 v40, v40, 23, v55
	v_or3_b32 v58, v42, v40, v51
.LBB642_477:                            ;   in Loop: Header=BB642_215 Depth=1
	s_or_b64 exec, exec, s[18:19]
.LBB642_478:                            ;   in Loop: Header=BB642_215 Depth=1
	s_or_b64 exec, exec, s[16:17]
.LBB642_479:                            ;   in Loop: Header=BB642_215 Depth=1
	s_or_b64 exec, exec, s[14:15]
	s_waitcnt vmcnt(0)
	v_cmp_ne_u16_sdwa s[16:17], v38, v54 src0_sel:BYTE_0 src1_sel:DWORD
	s_and_saveexec_b64 s[14:15], s[16:17]
	s_cbranch_execz .LBB642_485
; %bb.480:                              ;   in Loop: Header=BB642_215 Depth=1
	v_cmp_ne_u16_sdwa s[18:19], v38, s9 src0_sel:BYTE_0 src1_sel:DWORD
	v_bfrev_b32_e32 v57, 1
	s_and_saveexec_b64 s[16:17], s[18:19]
	s_cbranch_execz .LBB642_484
; %bb.481:                              ;   in Loop: Header=BB642_215 Depth=1
	v_and_b32_e32 v40, 0x7f, v38
	v_cmp_ne_u32_e32 vcc, s21, v40
	v_mov_b32_e32 v57, 0x7f800001
	s_and_saveexec_b64 s[18:19], vcc
	s_cbranch_execz .LBB642_483
; %bb.482:                              ;   in Loop: Header=BB642_215 Depth=1
	v_and_b32_e32 v42, 7, v38
	v_ffbh_u32_e32 v57, v42
	v_min_u32_e32 v57, 32, v57
	v_subrev_u32_e32 v59, 28, v57
	v_lshlrev_b64 v[60:61], v59, v[38:39]
	v_lshrrev_b32_e32 v51, 3, v40
	v_sub_u32_e32 v57, 29, v57
	v_and_b32_e32 v59, 7, v60
	v_cmp_gt_u32_e32 vcc, 8, v40
	v_cndmask_b32_e32 v40, v51, v57, vcc
	v_cndmask_b32_e32 v42, v42, v59, vcc
	v_lshlrev_b32_e32 v51, 24, v38
	v_lshlrev_b32_e32 v42, 20, v42
	v_and_b32_e32 v51, 0x80000000, v51
	v_lshl_add_u32 v40, v40, 23, v55
	v_or3_b32 v57, v51, v40, v42
.LBB642_483:                            ;   in Loop: Header=BB642_215 Depth=1
	s_or_b64 exec, exec, s[18:19]
.LBB642_484:                            ;   in Loop: Header=BB642_215 Depth=1
	s_or_b64 exec, exec, s[16:17]
.LBB642_485:                            ;   in Loop: Header=BB642_215 Depth=1
	s_or_b64 exec, exec, s[14:15]
	v_lshrrev_b16_e32 v40, 8, v38
	v_cmp_ne_u16_e32 vcc, 0, v40
	v_mov_b32_e32 v59, 0
	v_mov_b32_e32 v60, 0
	s_and_saveexec_b64 s[14:15], vcc
	s_cbranch_execz .LBB642_491
; %bb.486:                              ;   in Loop: Header=BB642_215 Depth=1
	v_cmp_ne_u16_e32 vcc, s9, v40
	v_bfrev_b32_e32 v60, 1
	s_and_saveexec_b64 s[16:17], vcc
	s_cbranch_execz .LBB642_490
; %bb.487:                              ;   in Loop: Header=BB642_215 Depth=1
	v_and_b32_e32 v42, 0x7f, v40
	v_cmp_ne_u32_e32 vcc, s21, v42
	v_mov_b32_e32 v60, 0x7f800001
	s_and_saveexec_b64 s[18:19], vcc
	s_cbranch_execz .LBB642_489
; %bb.488:                              ;   in Loop: Header=BB642_215 Depth=1
	v_and_b32_e32 v51, 7, v40
	v_ffbh_u32_e32 v60, v51
	v_min_u32_e32 v63, 32, v60
	v_subrev_u32_e32 v60, 28, v63
	v_lshlrev_b64 v[60:61], v60, v[40:41]
	v_lshrrev_b32_e32 v62, 3, v42
	v_sub_u32_e32 v40, 29, v63
	v_and_b32_e32 v60, 7, v60
	v_cmp_gt_u32_e32 vcc, 8, v42
	v_cndmask_b32_e32 v40, v62, v40, vcc
	v_cndmask_b32_e32 v42, v51, v60, vcc
	v_lshlrev_b32_e32 v51, 16, v38
	v_lshlrev_b32_e32 v42, 20, v42
	v_and_b32_e32 v51, 0x80000000, v51
	v_lshl_add_u32 v40, v40, 23, v55
	v_or3_b32 v60, v51, v40, v42
.LBB642_489:                            ;   in Loop: Header=BB642_215 Depth=1
	s_or_b64 exec, exec, s[18:19]
.LBB642_490:                            ;   in Loop: Header=BB642_215 Depth=1
	s_or_b64 exec, exec, s[16:17]
.LBB642_491:                            ;   in Loop: Header=BB642_215 Depth=1
	s_or_b64 exec, exec, s[14:15]
	v_lshrrev_b32_e32 v40, 16, v38
	v_cmp_ne_u16_sdwa s[16:17], v40, v54 src0_sel:BYTE_0 src1_sel:DWORD
	s_and_saveexec_b64 s[14:15], s[16:17]
	s_cbranch_execz .LBB642_497
; %bb.492:                              ;   in Loop: Header=BB642_215 Depth=1
	v_cmp_ne_u16_sdwa s[18:19], v40, s9 src0_sel:BYTE_0 src1_sel:DWORD
	v_bfrev_b32_e32 v59, 1
	s_and_saveexec_b64 s[16:17], s[18:19]
	s_cbranch_execz .LBB642_496
; %bb.493:                              ;   in Loop: Header=BB642_215 Depth=1
	v_bfe_u32 v42, v38, 16, 7
	v_cmp_ne_u32_e32 vcc, s21, v42
	v_mov_b32_e32 v59, 0x7f800001
	s_and_saveexec_b64 s[18:19], vcc
	s_cbranch_execz .LBB642_495
; %bb.494:                              ;   in Loop: Header=BB642_215 Depth=1
	v_and_b32_e32 v51, 7, v40
	v_ffbh_u32_e32 v61, v51
	v_min_u32_e32 v61, 32, v61
	v_subrev_u32_e32 v62, 28, v61
	v_lshlrev_b64 v[62:63], v62, v[40:41]
	v_lshrrev_b32_e32 v59, 3, v42
	v_sub_u32_e32 v61, 29, v61
	v_and_b32_e32 v62, 7, v62
	v_cmp_gt_u32_e32 vcc, 8, v42
	v_cndmask_b32_e32 v42, v59, v61, vcc
	v_cndmask_b32_e32 v51, v51, v62, vcc
	v_lshlrev_b32_e32 v40, 24, v40
	v_lshlrev_b32_e32 v51, 20, v51
	v_and_b32_e32 v40, 0x80000000, v40
	v_lshl_add_u32 v42, v42, 23, v55
	v_or3_b32 v59, v40, v42, v51
.LBB642_495:                            ;   in Loop: Header=BB642_215 Depth=1
	s_or_b64 exec, exec, s[18:19]
.LBB642_496:                            ;   in Loop: Header=BB642_215 Depth=1
	s_or_b64 exec, exec, s[16:17]
.LBB642_497:                            ;   in Loop: Header=BB642_215 Depth=1
	s_or_b64 exec, exec, s[14:15]
	v_cmp_lt_u32_e32 vcc, s22, v38
	v_mov_b32_e32 v51, 0
	v_mov_b32_e32 v61, 0
	s_and_saveexec_b64 s[14:15], vcc
	s_cbranch_execz .LBB642_503
; %bb.498:                              ;   in Loop: Header=BB642_215 Depth=1
	v_lshrrev_b32_e32 v40, 24, v38
	v_cmp_ne_u32_e32 vcc, s9, v40
	v_bfrev_b32_e32 v61, 1
	s_and_saveexec_b64 s[16:17], vcc
	s_cbranch_execz .LBB642_502
; %bb.499:                              ;   in Loop: Header=BB642_215 Depth=1
	v_bfe_u32 v38, v38, 24, 7
	v_cmp_ne_u32_e32 vcc, s21, v38
	v_mov_b32_e32 v61, 0x7f800001
	s_and_saveexec_b64 s[18:19], vcc
	s_cbranch_execz .LBB642_501
; %bb.500:                              ;   in Loop: Header=BB642_215 Depth=1
	v_and_b32_e32 v42, 7, v40
	v_ffbh_u32_e32 v62, v42
	v_min_u32_e32 v64, 32, v62
	v_subrev_u32_e32 v62, 28, v64
	v_lshlrev_b64 v[62:63], v62, v[40:41]
	v_lshrrev_b32_e32 v61, 3, v38
	v_sub_u32_e32 v63, 29, v64
	v_and_b32_e32 v62, 7, v62
	v_cmp_gt_u32_e32 vcc, 8, v38
	v_cndmask_b32_e32 v38, v61, v63, vcc
	v_cndmask_b32_e32 v42, v42, v62, vcc
	v_lshlrev_b32_e32 v40, 24, v40
	v_lshlrev_b32_e32 v42, 20, v42
	v_and_b32_e32 v40, 0x80000000, v40
	v_lshl_add_u32 v38, v38, 23, v55
	v_or3_b32 v61, v40, v38, v42
.LBB642_501:                            ;   in Loop: Header=BB642_215 Depth=1
	s_or_b64 exec, exec, s[18:19]
.LBB642_502:                            ;   in Loop: Header=BB642_215 Depth=1
	s_or_b64 exec, exec, s[16:17]
.LBB642_503:                            ;   in Loop: Header=BB642_215 Depth=1
	s_or_b64 exec, exec, s[14:15]
	v_cvt_pkrtz_f16_f32 v63, v44, v58
	buffer_load_dword v44, v50, s[0:3], 0 offen
	buffer_load_dword v42, v50, s[0:3], 0 offen offset:4
	buffer_load_dword v40, v50, s[0:3], 0 offen offset:8
	;; [unrolled: 1-line block ×3, first 2 shown]
	v_cvt_pkrtz_f16_f32 v62, v46, v56
	v_cvt_pkrtz_f16_f32 v56, v57, v60
	v_cvt_pkrtz_f16_f32 v57, v59, v61
	v_mfma_f32_16x16x16f16 v[34:37], v[62:63], v[22:23], v[34:37]
	s_waitcnt vmcnt(3)
	v_cmp_ne_u16_sdwa s[16:17], v44, v54 src0_sel:BYTE_0 src1_sel:DWORD
	v_mfma_f32_16x16x16f16 v[34:37], v[56:57], v[24:25], v[34:37]
	s_and_saveexec_b64 s[14:15], s[16:17]
	s_cbranch_execz .LBB642_509
; %bb.504:                              ;   in Loop: Header=BB642_215 Depth=1
	v_cmp_ne_u16_sdwa s[18:19], v44, s9 src0_sel:BYTE_0 src1_sel:DWORD
	v_bfrev_b32_e32 v51, 1
	s_and_saveexec_b64 s[16:17], s[18:19]
	s_cbranch_execz .LBB642_508
; %bb.505:                              ;   in Loop: Header=BB642_215 Depth=1
	v_and_b32_e32 v46, 0x7f, v44
	v_cmp_ne_u32_e32 vcc, s21, v46
	v_mov_b32_e32 v51, 0x7f800001
	s_and_saveexec_b64 s[18:19], vcc
	s_cbranch_execz .LBB642_507
; %bb.506:                              ;   in Loop: Header=BB642_215 Depth=1
	v_and_b32_e32 v56, 7, v44
	v_ffbh_u32_e32 v50, v56
	v_min_u32_e32 v58, 32, v50
	v_subrev_u32_e32 v50, 28, v58
	v_lshlrev_b64 v[50:51], v50, v[44:45]
	v_lshrrev_b32_e32 v57, 3, v46
	v_sub_u32_e32 v51, 29, v58
	v_and_b32_e32 v50, 7, v50
	v_cmp_gt_u32_e32 vcc, 8, v46
	v_cndmask_b32_e32 v46, v57, v51, vcc
	v_cndmask_b32_e32 v50, v56, v50, vcc
	v_lshlrev_b32_e32 v51, 24, v44
	v_lshlrev_b32_e32 v50, 20, v50
	v_and_b32_e32 v51, 0x80000000, v51
	v_lshl_add_u32 v46, v46, 23, v55
	v_or3_b32 v51, v51, v46, v50
.LBB642_507:                            ;   in Loop: Header=BB642_215 Depth=1
	s_or_b64 exec, exec, s[18:19]
.LBB642_508:                            ;   in Loop: Header=BB642_215 Depth=1
	s_or_b64 exec, exec, s[16:17]
.LBB642_509:                            ;   in Loop: Header=BB642_215 Depth=1
	s_or_b64 exec, exec, s[14:15]
	v_lshrrev_b16_e32 v46, 8, v44
	v_cmp_ne_u16_e32 vcc, 0, v46
	v_mov_b32_e32 v50, 0
	v_mov_b32_e32 v56, 0
	s_and_saveexec_b64 s[14:15], vcc
	s_cbranch_execz .LBB642_515
; %bb.510:                              ;   in Loop: Header=BB642_215 Depth=1
	v_cmp_ne_u16_e32 vcc, s9, v46
	v_bfrev_b32_e32 v56, 1
	s_and_saveexec_b64 s[16:17], vcc
	s_cbranch_execz .LBB642_514
; %bb.511:                              ;   in Loop: Header=BB642_215 Depth=1
	v_and_b32_e32 v57, 0x7f, v46
	v_cmp_ne_u32_e32 vcc, s21, v57
	v_mov_b32_e32 v56, 0x7f800001
	s_and_saveexec_b64 s[18:19], vcc
	s_cbranch_execz .LBB642_513
; %bb.512:                              ;   in Loop: Header=BB642_215 Depth=1
	v_and_b32_e32 v56, 7, v46
	v_ffbh_u32_e32 v58, v56
	v_min_u32_e32 v61, 32, v58
	v_subrev_u32_e32 v58, 28, v61
	v_lshlrev_b64 v[58:59], v58, v[46:47]
	v_lshrrev_b32_e32 v60, 3, v57
	v_sub_u32_e32 v46, 29, v61
	v_and_b32_e32 v58, 7, v58
	v_cmp_gt_u32_e32 vcc, 8, v57
	v_cndmask_b32_e32 v46, v60, v46, vcc
	v_cndmask_b32_e32 v56, v56, v58, vcc
	v_lshlrev_b32_e32 v57, 16, v44
	v_lshlrev_b32_e32 v56, 20, v56
	v_and_b32_e32 v57, 0x80000000, v57
	v_lshl_add_u32 v46, v46, 23, v55
	v_or3_b32 v56, v57, v46, v56
.LBB642_513:                            ;   in Loop: Header=BB642_215 Depth=1
	s_or_b64 exec, exec, s[18:19]
.LBB642_514:                            ;   in Loop: Header=BB642_215 Depth=1
	s_or_b64 exec, exec, s[16:17]
.LBB642_515:                            ;   in Loop: Header=BB642_215 Depth=1
	s_or_b64 exec, exec, s[14:15]
	v_lshrrev_b32_e32 v46, 16, v44
	v_cmp_ne_u16_sdwa s[16:17], v46, v54 src0_sel:BYTE_0 src1_sel:DWORD
	s_and_saveexec_b64 s[14:15], s[16:17]
	s_cbranch_execz .LBB642_521
; %bb.516:                              ;   in Loop: Header=BB642_215 Depth=1
	v_cmp_ne_u16_sdwa s[18:19], v46, s9 src0_sel:BYTE_0 src1_sel:DWORD
	v_bfrev_b32_e32 v50, 1
	s_and_saveexec_b64 s[16:17], s[18:19]
	s_cbranch_execz .LBB642_520
; %bb.517:                              ;   in Loop: Header=BB642_215 Depth=1
	v_bfe_u32 v57, v44, 16, 7
	v_cmp_ne_u32_e32 vcc, s21, v57
	v_mov_b32_e32 v50, 0x7f800001
	s_and_saveexec_b64 s[18:19], vcc
	s_cbranch_execz .LBB642_519
; %bb.518:                              ;   in Loop: Header=BB642_215 Depth=1
	v_and_b32_e32 v50, 7, v46
	v_ffbh_u32_e32 v58, v50
	v_min_u32_e32 v61, 32, v58
	v_subrev_u32_e32 v58, 28, v61
	v_lshlrev_b64 v[58:59], v58, v[46:47]
	v_lshrrev_b32_e32 v60, 3, v57
	v_sub_u32_e32 v59, 29, v61
	v_and_b32_e32 v58, 7, v58
	v_cmp_gt_u32_e32 vcc, 8, v57
	v_cndmask_b32_e32 v57, v60, v59, vcc
	v_cndmask_b32_e32 v50, v50, v58, vcc
	v_lshlrev_b32_e32 v46, 24, v46
	v_lshlrev_b32_e32 v50, 20, v50
	v_and_b32_e32 v46, 0x80000000, v46
	v_lshl_add_u32 v57, v57, 23, v55
	v_or3_b32 v50, v46, v57, v50
.LBB642_519:                            ;   in Loop: Header=BB642_215 Depth=1
	s_or_b64 exec, exec, s[18:19]
.LBB642_520:                            ;   in Loop: Header=BB642_215 Depth=1
	s_or_b64 exec, exec, s[16:17]
.LBB642_521:                            ;   in Loop: Header=BB642_215 Depth=1
	s_or_b64 exec, exec, s[14:15]
	v_cmp_lt_u32_e32 vcc, s22, v44
	v_mov_b32_e32 v57, 0
	v_mov_b32_e32 v58, 0
	s_and_saveexec_b64 s[14:15], vcc
	s_cbranch_execz .LBB642_527
; %bb.522:                              ;   in Loop: Header=BB642_215 Depth=1
	v_lshrrev_b32_e32 v46, 24, v44
	v_cmp_ne_u32_e32 vcc, s9, v46
	v_bfrev_b32_e32 v58, 1
	s_and_saveexec_b64 s[16:17], vcc
	s_cbranch_execz .LBB642_526
; %bb.523:                              ;   in Loop: Header=BB642_215 Depth=1
	v_bfe_u32 v44, v44, 24, 7
	v_cmp_ne_u32_e32 vcc, s21, v44
	v_mov_b32_e32 v58, 0x7f800001
	s_and_saveexec_b64 s[18:19], vcc
	s_cbranch_execz .LBB642_525
; %bb.524:                              ;   in Loop: Header=BB642_215 Depth=1
	v_and_b32_e32 v60, 7, v46
	v_ffbh_u32_e32 v58, v60
	v_min_u32_e32 v62, 32, v58
	v_subrev_u32_e32 v58, 28, v62
	v_lshlrev_b64 v[58:59], v58, v[46:47]
	v_lshrrev_b32_e32 v61, 3, v44
	v_sub_u32_e32 v59, 29, v62
	v_and_b32_e32 v58, 7, v58
	v_cmp_gt_u32_e32 vcc, 8, v44
	v_cndmask_b32_e32 v44, v61, v59, vcc
	v_cndmask_b32_e32 v58, v60, v58, vcc
	v_lshlrev_b32_e32 v46, 24, v46
	v_lshlrev_b32_e32 v58, 20, v58
	v_and_b32_e32 v46, 0x80000000, v46
	v_lshl_add_u32 v44, v44, 23, v55
	v_or3_b32 v58, v46, v44, v58
.LBB642_525:                            ;   in Loop: Header=BB642_215 Depth=1
	s_or_b64 exec, exec, s[18:19]
.LBB642_526:                            ;   in Loop: Header=BB642_215 Depth=1
	s_or_b64 exec, exec, s[16:17]
.LBB642_527:                            ;   in Loop: Header=BB642_215 Depth=1
	s_or_b64 exec, exec, s[14:15]
	s_waitcnt vmcnt(2)
	v_cmp_ne_u16_sdwa s[16:17], v42, v54 src0_sel:BYTE_0 src1_sel:DWORD
	s_and_saveexec_b64 s[14:15], s[16:17]
	s_cbranch_execz .LBB642_533
; %bb.528:                              ;   in Loop: Header=BB642_215 Depth=1
	v_cmp_ne_u16_sdwa s[18:19], v42, s9 src0_sel:BYTE_0 src1_sel:DWORD
	v_bfrev_b32_e32 v57, 1
	s_and_saveexec_b64 s[16:17], s[18:19]
	s_cbranch_execz .LBB642_532
; %bb.529:                              ;   in Loop: Header=BB642_215 Depth=1
	v_and_b32_e32 v44, 0x7f, v42
	v_cmp_ne_u32_e32 vcc, s21, v44
	v_mov_b32_e32 v57, 0x7f800001
	s_and_saveexec_b64 s[18:19], vcc
	s_cbranch_execz .LBB642_531
; %bb.530:                              ;   in Loop: Header=BB642_215 Depth=1
	v_and_b32_e32 v46, 7, v42
	v_ffbh_u32_e32 v59, v46
	v_min_u32_e32 v59, 32, v59
	v_subrev_u32_e32 v60, 28, v59
	v_lshlrev_b64 v[60:61], v60, v[42:43]
	v_lshrrev_b32_e32 v57, 3, v44
	v_sub_u32_e32 v59, 29, v59
	v_and_b32_e32 v60, 7, v60
	v_cmp_gt_u32_e32 vcc, 8, v44
	v_cndmask_b32_e32 v44, v57, v59, vcc
	v_cndmask_b32_e32 v46, v46, v60, vcc
	v_lshlrev_b32_e32 v57, 24, v42
	v_lshlrev_b32_e32 v46, 20, v46
	v_and_b32_e32 v57, 0x80000000, v57
	v_lshl_add_u32 v44, v44, 23, v55
	v_or3_b32 v57, v57, v44, v46
.LBB642_531:                            ;   in Loop: Header=BB642_215 Depth=1
	s_or_b64 exec, exec, s[18:19]
.LBB642_532:                            ;   in Loop: Header=BB642_215 Depth=1
	s_or_b64 exec, exec, s[16:17]
.LBB642_533:                            ;   in Loop: Header=BB642_215 Depth=1
	s_or_b64 exec, exec, s[14:15]
	v_lshrrev_b16_e32 v44, 8, v42
	v_cmp_ne_u16_e32 vcc, 0, v44
	v_mov_b32_e32 v59, 0
	v_mov_b32_e32 v60, 0
	s_and_saveexec_b64 s[14:15], vcc
	s_cbranch_execz .LBB642_539
; %bb.534:                              ;   in Loop: Header=BB642_215 Depth=1
	v_cmp_ne_u16_e32 vcc, s9, v44
	v_bfrev_b32_e32 v60, 1
	s_and_saveexec_b64 s[16:17], vcc
	s_cbranch_execz .LBB642_538
; %bb.535:                              ;   in Loop: Header=BB642_215 Depth=1
	v_and_b32_e32 v46, 0x7f, v44
	v_cmp_ne_u32_e32 vcc, s21, v46
	v_mov_b32_e32 v60, 0x7f800001
	s_and_saveexec_b64 s[18:19], vcc
	s_cbranch_execz .LBB642_537
; %bb.536:                              ;   in Loop: Header=BB642_215 Depth=1
	v_and_b32_e32 v62, 7, v44
	v_ffbh_u32_e32 v60, v62
	v_min_u32_e32 v64, 32, v60
	v_subrev_u32_e32 v60, 28, v64
	v_lshlrev_b64 v[60:61], v60, v[44:45]
	v_lshrrev_b32_e32 v63, 3, v46
	v_sub_u32_e32 v44, 29, v64
	v_and_b32_e32 v60, 7, v60
	v_cmp_gt_u32_e32 vcc, 8, v46
	v_cndmask_b32_e32 v44, v63, v44, vcc
	v_cndmask_b32_e32 v46, v62, v60, vcc
	v_lshlrev_b32_e32 v60, 16, v42
	v_lshlrev_b32_e32 v46, 20, v46
	v_and_b32_e32 v60, 0x80000000, v60
	v_lshl_add_u32 v44, v44, 23, v55
	v_or3_b32 v60, v60, v44, v46
.LBB642_537:                            ;   in Loop: Header=BB642_215 Depth=1
	s_or_b64 exec, exec, s[18:19]
.LBB642_538:                            ;   in Loop: Header=BB642_215 Depth=1
	s_or_b64 exec, exec, s[16:17]
.LBB642_539:                            ;   in Loop: Header=BB642_215 Depth=1
	s_or_b64 exec, exec, s[14:15]
	v_lshrrev_b32_e32 v44, 16, v42
	v_cmp_ne_u16_sdwa s[16:17], v44, v54 src0_sel:BYTE_0 src1_sel:DWORD
	s_and_saveexec_b64 s[14:15], s[16:17]
	s_cbranch_execz .LBB642_545
; %bb.540:                              ;   in Loop: Header=BB642_215 Depth=1
	v_cmp_ne_u16_sdwa s[18:19], v44, s9 src0_sel:BYTE_0 src1_sel:DWORD
	v_bfrev_b32_e32 v59, 1
	s_and_saveexec_b64 s[16:17], s[18:19]
	s_cbranch_execz .LBB642_544
; %bb.541:                              ;   in Loop: Header=BB642_215 Depth=1
	v_bfe_u32 v46, v42, 16, 7
	v_cmp_ne_u32_e32 vcc, s21, v46
	v_mov_b32_e32 v59, 0x7f800001
	s_and_saveexec_b64 s[18:19], vcc
	s_cbranch_execz .LBB642_543
; %bb.542:                              ;   in Loop: Header=BB642_215 Depth=1
	v_and_b32_e32 v59, 7, v44
	v_ffbh_u32_e32 v62, v59
	v_min_u32_e32 v64, 32, v62
	v_subrev_u32_e32 v62, 28, v64
	v_lshlrev_b64 v[62:63], v62, v[44:45]
	v_lshrrev_b32_e32 v61, 3, v46
	v_sub_u32_e32 v63, 29, v64
	v_and_b32_e32 v62, 7, v62
	v_cmp_gt_u32_e32 vcc, 8, v46
	v_cndmask_b32_e32 v46, v61, v63, vcc
	v_cndmask_b32_e32 v59, v59, v62, vcc
	v_lshlrev_b32_e32 v44, 24, v44
	v_lshlrev_b32_e32 v59, 20, v59
	v_and_b32_e32 v44, 0x80000000, v44
	v_lshl_add_u32 v46, v46, 23, v55
	v_or3_b32 v59, v44, v46, v59
.LBB642_543:                            ;   in Loop: Header=BB642_215 Depth=1
	s_or_b64 exec, exec, s[18:19]
.LBB642_544:                            ;   in Loop: Header=BB642_215 Depth=1
	s_or_b64 exec, exec, s[16:17]
.LBB642_545:                            ;   in Loop: Header=BB642_215 Depth=1
	s_or_b64 exec, exec, s[14:15]
	v_cmp_lt_u32_e32 vcc, s22, v42
	v_mov_b32_e32 v46, 0
	v_mov_b32_e32 v61, 0
	s_and_saveexec_b64 s[14:15], vcc
	s_cbranch_execz .LBB642_551
; %bb.546:                              ;   in Loop: Header=BB642_215 Depth=1
	v_lshrrev_b32_e32 v44, 24, v42
	v_cmp_ne_u32_e32 vcc, s9, v44
	v_bfrev_b32_e32 v61, 1
	s_and_saveexec_b64 s[16:17], vcc
	s_cbranch_execz .LBB642_550
; %bb.547:                              ;   in Loop: Header=BB642_215 Depth=1
	v_bfe_u32 v42, v42, 24, 7
	v_cmp_ne_u32_e32 vcc, s21, v42
	v_mov_b32_e32 v61, 0x7f800001
	s_and_saveexec_b64 s[18:19], vcc
	s_cbranch_execz .LBB642_549
; %bb.548:                              ;   in Loop: Header=BB642_215 Depth=1
	v_and_b32_e32 v61, 7, v44
	v_ffbh_u32_e32 v62, v61
	v_min_u32_e32 v65, 32, v62
	v_subrev_u32_e32 v62, 28, v65
	v_lshlrev_b64 v[62:63], v62, v[44:45]
	v_lshrrev_b32_e32 v64, 3, v42
	v_sub_u32_e32 v63, 29, v65
	v_and_b32_e32 v62, 7, v62
	v_cmp_gt_u32_e32 vcc, 8, v42
	v_cndmask_b32_e32 v42, v64, v63, vcc
	v_cndmask_b32_e32 v61, v61, v62, vcc
	v_lshlrev_b32_e32 v44, 24, v44
	v_lshlrev_b32_e32 v61, 20, v61
	v_and_b32_e32 v44, 0x80000000, v44
	v_lshl_add_u32 v42, v42, 23, v55
	v_or3_b32 v61, v44, v42, v61
.LBB642_549:                            ;   in Loop: Header=BB642_215 Depth=1
	s_or_b64 exec, exec, s[18:19]
.LBB642_550:                            ;   in Loop: Header=BB642_215 Depth=1
	s_or_b64 exec, exec, s[16:17]
.LBB642_551:                            ;   in Loop: Header=BB642_215 Depth=1
	s_or_b64 exec, exec, s[14:15]
	v_cvt_pkrtz_f16_f32 v62, v51, v56
	v_cvt_pkrtz_f16_f32 v63, v50, v58
	;; [unrolled: 1-line block ×4, first 2 shown]
	s_waitcnt vmcnt(1)
	v_cmp_ne_u16_sdwa s[16:17], v40, v54 src0_sel:BYTE_0 src1_sel:DWORD
	v_mfma_f32_16x16x16f16 v[34:37], v[62:63], v[26:27], v[34:37]
	v_mfma_f32_16x16x16f16 v[34:37], v[50:51], v[28:29], v[34:37]
	s_and_saveexec_b64 s[14:15], s[16:17]
	s_cbranch_execz .LBB642_557
; %bb.552:                              ;   in Loop: Header=BB642_215 Depth=1
	v_cmp_ne_u16_sdwa s[18:19], v40, s9 src0_sel:BYTE_0 src1_sel:DWORD
	v_bfrev_b32_e32 v46, 1
	s_and_saveexec_b64 s[16:17], s[18:19]
	s_cbranch_execz .LBB642_556
; %bb.553:                              ;   in Loop: Header=BB642_215 Depth=1
	v_and_b32_e32 v42, 0x7f, v40
	v_cmp_ne_u32_e32 vcc, s21, v42
	v_mov_b32_e32 v46, 0x7f800001
	s_and_saveexec_b64 s[18:19], vcc
	s_cbranch_execz .LBB642_555
; %bb.554:                              ;   in Loop: Header=BB642_215 Depth=1
	v_and_b32_e32 v44, 7, v40
	v_ffbh_u32_e32 v50, v44
	v_min_u32_e32 v56, 32, v50
	v_subrev_u32_e32 v50, 28, v56
	v_lshlrev_b64 v[50:51], v50, v[40:41]
	v_lshrrev_b32_e32 v46, 3, v42
	v_sub_u32_e32 v51, 29, v56
	v_and_b32_e32 v50, 7, v50
	v_cmp_gt_u32_e32 vcc, 8, v42
	v_cndmask_b32_e32 v42, v46, v51, vcc
	v_cndmask_b32_e32 v44, v44, v50, vcc
	v_lshlrev_b32_e32 v46, 24, v40
	v_lshlrev_b32_e32 v44, 20, v44
	v_and_b32_e32 v46, 0x80000000, v46
	v_lshl_add_u32 v42, v42, 23, v55
	v_or3_b32 v46, v46, v42, v44
.LBB642_555:                            ;   in Loop: Header=BB642_215 Depth=1
	s_or_b64 exec, exec, s[18:19]
.LBB642_556:                            ;   in Loop: Header=BB642_215 Depth=1
	s_or_b64 exec, exec, s[16:17]
.LBB642_557:                            ;   in Loop: Header=BB642_215 Depth=1
	s_or_b64 exec, exec, s[14:15]
	v_lshrrev_b16_e32 v42, 8, v40
	v_cmp_ne_u16_e32 vcc, 0, v42
	v_mov_b32_e32 v44, 0
	v_mov_b32_e32 v50, 0
	s_and_saveexec_b64 s[14:15], vcc
	s_cbranch_execz .LBB642_563
; %bb.558:                              ;   in Loop: Header=BB642_215 Depth=1
	v_cmp_ne_u16_e32 vcc, s9, v42
	v_bfrev_b32_e32 v50, 1
	s_and_saveexec_b64 s[16:17], vcc
	s_cbranch_execz .LBB642_562
; %bb.559:                              ;   in Loop: Header=BB642_215 Depth=1
	v_and_b32_e32 v51, 0x7f, v42
	v_cmp_ne_u32_e32 vcc, s21, v51
	v_mov_b32_e32 v50, 0x7f800001
	s_and_saveexec_b64 s[18:19], vcc
	s_cbranch_execz .LBB642_561
; %bb.560:                              ;   in Loop: Header=BB642_215 Depth=1
	v_and_b32_e32 v50, 7, v42
	v_ffbh_u32_e32 v56, v50
	v_min_u32_e32 v59, 32, v56
	v_subrev_u32_e32 v56, 28, v59
	v_lshlrev_b64 v[56:57], v56, v[42:43]
	v_lshrrev_b32_e32 v58, 3, v51
	v_sub_u32_e32 v42, 29, v59
	v_and_b32_e32 v56, 7, v56
	v_cmp_gt_u32_e32 vcc, 8, v51
	v_cndmask_b32_e32 v42, v58, v42, vcc
	v_cndmask_b32_e32 v50, v50, v56, vcc
	v_lshlrev_b32_e32 v51, 16, v40
	v_lshlrev_b32_e32 v50, 20, v50
	v_and_b32_e32 v51, 0x80000000, v51
	v_lshl_add_u32 v42, v42, 23, v55
	v_or3_b32 v50, v51, v42, v50
.LBB642_561:                            ;   in Loop: Header=BB642_215 Depth=1
	s_or_b64 exec, exec, s[18:19]
.LBB642_562:                            ;   in Loop: Header=BB642_215 Depth=1
	s_or_b64 exec, exec, s[16:17]
.LBB642_563:                            ;   in Loop: Header=BB642_215 Depth=1
	s_or_b64 exec, exec, s[14:15]
	v_lshrrev_b32_e32 v42, 16, v40
	v_cmp_ne_u16_sdwa s[16:17], v42, v54 src0_sel:BYTE_0 src1_sel:DWORD
	s_and_saveexec_b64 s[14:15], s[16:17]
	s_cbranch_execz .LBB642_569
; %bb.564:                              ;   in Loop: Header=BB642_215 Depth=1
	v_cmp_ne_u16_sdwa s[18:19], v42, s9 src0_sel:BYTE_0 src1_sel:DWORD
	v_bfrev_b32_e32 v44, 1
	s_and_saveexec_b64 s[16:17], s[18:19]
	s_cbranch_execz .LBB642_568
; %bb.565:                              ;   in Loop: Header=BB642_215 Depth=1
	v_bfe_u32 v51, v40, 16, 7
	v_cmp_ne_u32_e32 vcc, s21, v51
	v_mov_b32_e32 v44, 0x7f800001
	s_and_saveexec_b64 s[18:19], vcc
	s_cbranch_execz .LBB642_567
; %bb.566:                              ;   in Loop: Header=BB642_215 Depth=1
	v_and_b32_e32 v44, 7, v42
	v_ffbh_u32_e32 v56, v44
	v_min_u32_e32 v59, 32, v56
	v_subrev_u32_e32 v56, 28, v59
	v_lshlrev_b64 v[56:57], v56, v[42:43]
	v_lshrrev_b32_e32 v58, 3, v51
	v_sub_u32_e32 v57, 29, v59
	v_and_b32_e32 v56, 7, v56
	v_cmp_gt_u32_e32 vcc, 8, v51
	v_cndmask_b32_e32 v51, v58, v57, vcc
	v_cndmask_b32_e32 v44, v44, v56, vcc
	v_lshlrev_b32_e32 v42, 24, v42
	v_lshlrev_b32_e32 v44, 20, v44
	v_and_b32_e32 v42, 0x80000000, v42
	v_lshl_add_u32 v51, v51, 23, v55
	v_or3_b32 v44, v42, v51, v44
.LBB642_567:                            ;   in Loop: Header=BB642_215 Depth=1
	s_or_b64 exec, exec, s[18:19]
.LBB642_568:                            ;   in Loop: Header=BB642_215 Depth=1
	s_or_b64 exec, exec, s[16:17]
.LBB642_569:                            ;   in Loop: Header=BB642_215 Depth=1
	s_or_b64 exec, exec, s[14:15]
	v_cmp_lt_u32_e32 vcc, s22, v40
	v_mov_b32_e32 v51, 0
	v_mov_b32_e32 v56, 0
	s_and_saveexec_b64 s[14:15], vcc
	s_cbranch_execz .LBB642_575
; %bb.570:                              ;   in Loop: Header=BB642_215 Depth=1
	v_lshrrev_b32_e32 v42, 24, v40
	v_cmp_ne_u32_e32 vcc, s9, v42
	v_bfrev_b32_e32 v56, 1
	s_and_saveexec_b64 s[16:17], vcc
	s_cbranch_execz .LBB642_574
; %bb.571:                              ;   in Loop: Header=BB642_215 Depth=1
	v_bfe_u32 v40, v40, 24, 7
	v_cmp_ne_u32_e32 vcc, s21, v40
	v_mov_b32_e32 v56, 0x7f800001
	s_and_saveexec_b64 s[18:19], vcc
	s_cbranch_execz .LBB642_573
; %bb.572:                              ;   in Loop: Header=BB642_215 Depth=1
	v_and_b32_e32 v58, 7, v42
	v_ffbh_u32_e32 v56, v58
	v_min_u32_e32 v60, 32, v56
	v_subrev_u32_e32 v56, 28, v60
	v_lshlrev_b64 v[56:57], v56, v[42:43]
	v_lshrrev_b32_e32 v59, 3, v40
	v_sub_u32_e32 v57, 29, v60
	v_and_b32_e32 v56, 7, v56
	v_cmp_gt_u32_e32 vcc, 8, v40
	v_cndmask_b32_e32 v40, v59, v57, vcc
	v_cndmask_b32_e32 v56, v58, v56, vcc
	v_lshlrev_b32_e32 v42, 24, v42
	v_lshlrev_b32_e32 v56, 20, v56
	v_and_b32_e32 v42, 0x80000000, v42
	v_lshl_add_u32 v40, v40, 23, v55
	v_or3_b32 v56, v42, v40, v56
.LBB642_573:                            ;   in Loop: Header=BB642_215 Depth=1
	s_or_b64 exec, exec, s[18:19]
.LBB642_574:                            ;   in Loop: Header=BB642_215 Depth=1
	s_or_b64 exec, exec, s[16:17]
.LBB642_575:                            ;   in Loop: Header=BB642_215 Depth=1
	s_or_b64 exec, exec, s[14:15]
	s_waitcnt vmcnt(0)
	v_cmp_ne_u16_sdwa s[16:17], v38, v54 src0_sel:BYTE_0 src1_sel:DWORD
	s_and_saveexec_b64 s[14:15], s[16:17]
	s_cbranch_execz .LBB642_581
; %bb.576:                              ;   in Loop: Header=BB642_215 Depth=1
	v_cmp_ne_u16_sdwa s[18:19], v38, s9 src0_sel:BYTE_0 src1_sel:DWORD
	v_bfrev_b32_e32 v51, 1
	s_and_saveexec_b64 s[16:17], s[18:19]
	s_cbranch_execz .LBB642_580
; %bb.577:                              ;   in Loop: Header=BB642_215 Depth=1
	v_and_b32_e32 v40, 0x7f, v38
	v_cmp_ne_u32_e32 vcc, s21, v40
	v_mov_b32_e32 v51, 0x7f800001
	s_and_saveexec_b64 s[18:19], vcc
	s_cbranch_execz .LBB642_579
; %bb.578:                              ;   in Loop: Header=BB642_215 Depth=1
	v_and_b32_e32 v42, 7, v38
	v_ffbh_u32_e32 v57, v42
	v_min_u32_e32 v57, 32, v57
	v_subrev_u32_e32 v58, 28, v57
	v_lshlrev_b64 v[58:59], v58, v[38:39]
	v_lshrrev_b32_e32 v51, 3, v40
	v_sub_u32_e32 v57, 29, v57
	v_and_b32_e32 v58, 7, v58
	v_cmp_gt_u32_e32 vcc, 8, v40
	v_cndmask_b32_e32 v40, v51, v57, vcc
	v_cndmask_b32_e32 v42, v42, v58, vcc
	v_lshlrev_b32_e32 v51, 24, v38
	v_lshlrev_b32_e32 v42, 20, v42
	v_and_b32_e32 v51, 0x80000000, v51
	v_lshl_add_u32 v40, v40, 23, v55
	v_or3_b32 v51, v51, v40, v42
.LBB642_579:                            ;   in Loop: Header=BB642_215 Depth=1
	s_or_b64 exec, exec, s[18:19]
.LBB642_580:                            ;   in Loop: Header=BB642_215 Depth=1
	s_or_b64 exec, exec, s[16:17]
.LBB642_581:                            ;   in Loop: Header=BB642_215 Depth=1
	s_or_b64 exec, exec, s[14:15]
	v_lshrrev_b16_e32 v40, 8, v38
	v_cmp_ne_u16_e32 vcc, 0, v40
	v_mov_b32_e32 v42, 0
	v_mov_b32_e32 v57, 0
	s_and_saveexec_b64 s[14:15], vcc
	s_cbranch_execz .LBB642_587
; %bb.582:                              ;   in Loop: Header=BB642_215 Depth=1
	v_cmp_ne_u16_e32 vcc, s9, v40
	v_bfrev_b32_e32 v57, 1
	s_and_saveexec_b64 s[16:17], vcc
	s_cbranch_execz .LBB642_586
; %bb.583:                              ;   in Loop: Header=BB642_215 Depth=1
	v_and_b32_e32 v58, 0x7f, v40
	v_cmp_ne_u32_e32 vcc, s21, v58
	v_mov_b32_e32 v57, 0x7f800001
	s_and_saveexec_b64 s[18:19], vcc
	s_cbranch_execz .LBB642_585
; %bb.584:                              ;   in Loop: Header=BB642_215 Depth=1
	v_and_b32_e32 v57, 7, v40
	v_ffbh_u32_e32 v60, v57
	v_min_u32_e32 v62, 32, v60
	v_subrev_u32_e32 v60, 28, v62
	v_lshlrev_b64 v[60:61], v60, v[40:41]
	v_lshrrev_b32_e32 v59, 3, v58
	v_sub_u32_e32 v40, 29, v62
	v_and_b32_e32 v60, 7, v60
	v_cmp_gt_u32_e32 vcc, 8, v58
	v_cndmask_b32_e32 v40, v59, v40, vcc
	v_cndmask_b32_e32 v57, v57, v60, vcc
	v_lshlrev_b32_e32 v58, 16, v38
	v_lshlrev_b32_e32 v57, 20, v57
	v_and_b32_e32 v58, 0x80000000, v58
	v_lshl_add_u32 v40, v40, 23, v55
	v_or3_b32 v57, v58, v40, v57
.LBB642_585:                            ;   in Loop: Header=BB642_215 Depth=1
	s_or_b64 exec, exec, s[18:19]
.LBB642_586:                            ;   in Loop: Header=BB642_215 Depth=1
	s_or_b64 exec, exec, s[16:17]
.LBB642_587:                            ;   in Loop: Header=BB642_215 Depth=1
	s_or_b64 exec, exec, s[14:15]
	v_lshrrev_b32_e32 v40, 16, v38
	v_cmp_ne_u16_sdwa s[16:17], v40, v54 src0_sel:BYTE_0 src1_sel:DWORD
	s_and_saveexec_b64 s[14:15], s[16:17]
	s_cbranch_execz .LBB642_593
; %bb.588:                              ;   in Loop: Header=BB642_215 Depth=1
	v_cmp_ne_u16_sdwa s[18:19], v40, s9 src0_sel:BYTE_0 src1_sel:DWORD
	v_bfrev_b32_e32 v42, 1
	s_and_saveexec_b64 s[16:17], s[18:19]
	s_cbranch_execz .LBB642_592
; %bb.589:                              ;   in Loop: Header=BB642_215 Depth=1
	v_bfe_u32 v58, v38, 16, 7
	v_cmp_ne_u32_e32 vcc, s21, v58
	v_mov_b32_e32 v42, 0x7f800001
	s_and_saveexec_b64 s[18:19], vcc
	s_cbranch_execz .LBB642_591
; %bb.590:                              ;   in Loop: Header=BB642_215 Depth=1
	v_and_b32_e32 v42, 7, v40
	v_ffbh_u32_e32 v60, v42
	v_min_u32_e32 v62, 32, v60
	v_subrev_u32_e32 v60, 28, v62
	v_lshlrev_b64 v[60:61], v60, v[40:41]
	v_lshrrev_b32_e32 v59, 3, v58
	v_sub_u32_e32 v61, 29, v62
	v_and_b32_e32 v60, 7, v60
	v_cmp_gt_u32_e32 vcc, 8, v58
	v_cndmask_b32_e32 v58, v59, v61, vcc
	v_cndmask_b32_e32 v42, v42, v60, vcc
	v_lshlrev_b32_e32 v40, 24, v40
	v_lshlrev_b32_e32 v42, 20, v42
	v_and_b32_e32 v40, 0x80000000, v40
	v_lshl_add_u32 v58, v58, 23, v55
	v_or3_b32 v42, v40, v58, v42
.LBB642_591:                            ;   in Loop: Header=BB642_215 Depth=1
	s_or_b64 exec, exec, s[18:19]
.LBB642_592:                            ;   in Loop: Header=BB642_215 Depth=1
	s_or_b64 exec, exec, s[16:17]
.LBB642_593:                            ;   in Loop: Header=BB642_215 Depth=1
	s_or_b64 exec, exec, s[14:15]
	v_cmp_lt_u32_e32 vcc, s22, v38
	v_mov_b32_e32 v58, 0
	s_and_saveexec_b64 s[14:15], vcc
	s_cbranch_execz .LBB642_214
; %bb.594:                              ;   in Loop: Header=BB642_215 Depth=1
	v_lshrrev_b32_e32 v40, 24, v38
	v_cmp_ne_u32_e32 vcc, s9, v40
	v_bfrev_b32_e32 v58, 1
	s_and_saveexec_b64 s[16:17], vcc
	s_cbranch_execz .LBB642_213
; %bb.595:                              ;   in Loop: Header=BB642_215 Depth=1
	v_bfe_u32 v38, v38, 24, 7
	v_cmp_ne_u32_e32 vcc, s21, v38
	v_mov_b32_e32 v58, 0x7f800001
	s_and_saveexec_b64 s[18:19], vcc
	s_cbranch_execz .LBB642_212
; %bb.596:                              ;   in Loop: Header=BB642_215 Depth=1
	v_and_b32_e32 v60, 7, v40
	v_ffbh_u32_e32 v58, v60
	v_min_u32_e32 v62, 32, v58
	v_subrev_u32_e32 v58, 28, v62
	v_lshlrev_b64 v[58:59], v58, v[40:41]
	v_lshrrev_b32_e32 v61, 3, v38
	v_sub_u32_e32 v59, 29, v62
	v_and_b32_e32 v58, 7, v58
	v_cmp_gt_u32_e32 vcc, 8, v38
	v_cndmask_b32_e32 v38, v61, v59, vcc
	v_cndmask_b32_e32 v58, v60, v58, vcc
	v_lshlrev_b32_e32 v40, 24, v40
	v_lshlrev_b32_e32 v58, 20, v58
	v_and_b32_e32 v40, 0x80000000, v40
	v_lshl_add_u32 v38, v38, 23, v55
	v_or3_b32 v58, v40, v38, v58
	s_branch .LBB642_212
.LBB642_597:
	s_barrier
	buffer_load_dword v2, off, s[0:3], 0 offset:320
	buffer_load_dword v5, off, s[0:3], 0 offset:332
	;; [unrolled: 1-line block ×4, first 2 shown]
	v_cmp_gt_u32_e32 vcc, 64, v0
	s_waitcnt vmcnt(0)
	ds_write2st64_b64 v52, v[2:3], v[4:5] offset1:1
	s_waitcnt lgkmcnt(0)
	s_barrier
	s_and_saveexec_b64 s[6:7], vcc
	s_cbranch_execz .LBB642_600
; %bb.598:
	s_lshl_b32 s6, s48, 7
	s_mul_i32 s7, s20, s8
	s_mul_hi_u32 s11, s7, s6
	s_mul_i32 s10, s7, s6
	s_lshl_b64 s[10:11], s[10:11], 1
	v_lshlrev_b32_e32 v4, 6, v41
	s_add_u32 s7, s50, s10
	v_lshl_or_b32 v0, v0, 10, v4
	s_mov_b32 s9, 0
	s_addc_u32 s10, s51, s11
	s_lshl_b32 s8, s26, 7
	v_lshlrev_b32_e32 v2, 5, v1
	v_and_b32_e32 v3, 16, v43
	v_and_b32_e32 v0, 0x1a00, v0
	s_lshl_b64 s[8:9], s[8:9], 1
	v_or3_b32 v0, v0, v2, v3
	s_add_u32 s7, s7, s8
	s_addc_u32 s8, s10, s9
	ds_read_b128 v[4:7], v0
	v_add_u32_e32 v8, s27, v1
	v_mov_b32_e32 v3, s8
	v_add_co_u32_e32 v2, vcc, s7, v39
	v_mad_u64_u32 v[8:9], s[8:9], v8, s6, 0
	v_addc_co_u32_e32 v3, vcc, 0, v3, vcc
	v_lshlrev_b64 v[8:9], 1, v[8:9]
	v_add_co_u32_e32 v8, vcc, v2, v8
	v_addc_co_u32_e32 v9, vcc, v3, v9, vcc
	s_waitcnt lgkmcnt(0)
	global_store_dwordx4 v[8:9], v[4:7], off
	s_and_b64 exec, exec, s[4:5]
	s_cbranch_execz .LBB642_600
; %bb.599:
	ds_read_b128 v[4:7], v0 offset:128
	v_add3_u32 v0, s27, v1, 4
	v_mad_u64_u32 v[0:1], s[4:5], v0, s6, 0
	v_lshlrev_b64 v[0:1], 1, v[0:1]
	v_add_co_u32_e32 v0, vcc, v2, v0
	v_addc_co_u32_e32 v1, vcc, v3, v1, vcc
	s_waitcnt lgkmcnt(0)
	global_store_dwordx4 v[0:1], v[4:7], off
.LBB642_600:
	s_endpgm
	.section	.rodata,"a",@progbits
	.p2align	6, 0x0
	.amdhsa_kernel _Z39paged_attention_ll4mi_QKV_mfma16_kernelIDF16_hLN4vllm18Fp8KVCacheDataTypeE1EDF16_Li32ELi128ELi256ELb1ELi5EL8MFMAType0EEvPKT_PKT0_S8_ifPKiSA_SA_iPKfiiiPfSD_PS3_PT2_iSC_SC_
		.amdhsa_group_segment_fixed_size 8192
		.amdhsa_private_segment_fixed_size 352
		.amdhsa_kernarg_size 400
		.amdhsa_user_sgpr_count 8
		.amdhsa_user_sgpr_private_segment_buffer 1
		.amdhsa_user_sgpr_dispatch_ptr 0
		.amdhsa_user_sgpr_queue_ptr 0
		.amdhsa_user_sgpr_kernarg_segment_ptr 1
		.amdhsa_user_sgpr_dispatch_id 0
		.amdhsa_user_sgpr_flat_scratch_init 1
		.amdhsa_user_sgpr_kernarg_preload_length 0
		.amdhsa_user_sgpr_kernarg_preload_offset 0
		.amdhsa_user_sgpr_private_segment_size 0
		.amdhsa_uses_dynamic_stack 0
		.amdhsa_system_sgpr_private_segment_wavefront_offset 1
		.amdhsa_system_sgpr_workgroup_id_x 1
		.amdhsa_system_sgpr_workgroup_id_y 1
		.amdhsa_system_sgpr_workgroup_id_z 1
		.amdhsa_system_sgpr_workgroup_info 0
		.amdhsa_system_vgpr_workitem_id 0
		.amdhsa_next_free_vgpr 80
		.amdhsa_next_free_sgpr 53
		.amdhsa_accum_offset 80
		.amdhsa_reserve_vcc 1
		.amdhsa_reserve_flat_scratch 0
		.amdhsa_float_round_mode_32 0
		.amdhsa_float_round_mode_16_64 0
		.amdhsa_float_denorm_mode_32 3
		.amdhsa_float_denorm_mode_16_64 3
		.amdhsa_dx10_clamp 1
		.amdhsa_ieee_mode 1
		.amdhsa_fp16_overflow 0
		.amdhsa_tg_split 0
		.amdhsa_exception_fp_ieee_invalid_op 0
		.amdhsa_exception_fp_denorm_src 0
		.amdhsa_exception_fp_ieee_div_zero 0
		.amdhsa_exception_fp_ieee_overflow 0
		.amdhsa_exception_fp_ieee_underflow 0
		.amdhsa_exception_fp_ieee_inexact 0
		.amdhsa_exception_int_div_zero 0
	.end_amdhsa_kernel
	.section	.text._Z39paged_attention_ll4mi_QKV_mfma16_kernelIDF16_hLN4vllm18Fp8KVCacheDataTypeE1EDF16_Li32ELi128ELi256ELb1ELi5EL8MFMAType0EEvPKT_PKT0_S8_ifPKiSA_SA_iPKfiiiPfSD_PS3_PT2_iSC_SC_,"axG",@progbits,_Z39paged_attention_ll4mi_QKV_mfma16_kernelIDF16_hLN4vllm18Fp8KVCacheDataTypeE1EDF16_Li32ELi128ELi256ELb1ELi5EL8MFMAType0EEvPKT_PKT0_S8_ifPKiSA_SA_iPKfiiiPfSD_PS3_PT2_iSC_SC_,comdat
.Lfunc_end642:
	.size	_Z39paged_attention_ll4mi_QKV_mfma16_kernelIDF16_hLN4vllm18Fp8KVCacheDataTypeE1EDF16_Li32ELi128ELi256ELb1ELi5EL8MFMAType0EEvPKT_PKT0_S8_ifPKiSA_SA_iPKfiiiPfSD_PS3_PT2_iSC_SC_, .Lfunc_end642-_Z39paged_attention_ll4mi_QKV_mfma16_kernelIDF16_hLN4vllm18Fp8KVCacheDataTypeE1EDF16_Li32ELi128ELi256ELb1ELi5EL8MFMAType0EEvPKT_PKT0_S8_ifPKiSA_SA_iPKfiiiPfSD_PS3_PT2_iSC_SC_
                                        ; -- End function
	.section	.AMDGPU.csdata,"",@progbits
; Kernel info:
; codeLenInByte = 21496
; NumSgprs: 57
; NumVgprs: 80
; NumAgprs: 0
; TotalNumVgprs: 80
; ScratchSize: 352
; MemoryBound: 0
; FloatMode: 240
; IeeeMode: 1
; LDSByteSize: 8192 bytes/workgroup (compile time only)
; SGPRBlocks: 7
; VGPRBlocks: 9
; NumSGPRsForWavesPerEU: 57
; NumVGPRsForWavesPerEU: 80
; AccumOffset: 80
; Occupancy: 6
; WaveLimiterHint : 1
; COMPUTE_PGM_RSRC2:SCRATCH_EN: 1
; COMPUTE_PGM_RSRC2:USER_SGPR: 8
; COMPUTE_PGM_RSRC2:TRAP_HANDLER: 0
; COMPUTE_PGM_RSRC2:TGID_X_EN: 1
; COMPUTE_PGM_RSRC2:TGID_Y_EN: 1
; COMPUTE_PGM_RSRC2:TGID_Z_EN: 1
; COMPUTE_PGM_RSRC2:TIDIG_COMP_CNT: 0
; COMPUTE_PGM_RSRC3_GFX90A:ACCUM_OFFSET: 19
; COMPUTE_PGM_RSRC3_GFX90A:TG_SPLIT: 0
	.section	.text._Z39paged_attention_ll4mi_QKV_mfma16_kernelIDF16_hLN4vllm18Fp8KVCacheDataTypeE1EDF16_Li32ELi128ELi256ELb1ELi6EL8MFMAType0EEvPKT_PKT0_S8_ifPKiSA_SA_iPKfiiiPfSD_PS3_PT2_iSC_SC_,"axG",@progbits,_Z39paged_attention_ll4mi_QKV_mfma16_kernelIDF16_hLN4vllm18Fp8KVCacheDataTypeE1EDF16_Li32ELi128ELi256ELb1ELi6EL8MFMAType0EEvPKT_PKT0_S8_ifPKiSA_SA_iPKfiiiPfSD_PS3_PT2_iSC_SC_,comdat
	.protected	_Z39paged_attention_ll4mi_QKV_mfma16_kernelIDF16_hLN4vllm18Fp8KVCacheDataTypeE1EDF16_Li32ELi128ELi256ELb1ELi6EL8MFMAType0EEvPKT_PKT0_S8_ifPKiSA_SA_iPKfiiiPfSD_PS3_PT2_iSC_SC_ ; -- Begin function _Z39paged_attention_ll4mi_QKV_mfma16_kernelIDF16_hLN4vllm18Fp8KVCacheDataTypeE1EDF16_Li32ELi128ELi256ELb1ELi6EL8MFMAType0EEvPKT_PKT0_S8_ifPKiSA_SA_iPKfiiiPfSD_PS3_PT2_iSC_SC_
	.globl	_Z39paged_attention_ll4mi_QKV_mfma16_kernelIDF16_hLN4vllm18Fp8KVCacheDataTypeE1EDF16_Li32ELi128ELi256ELb1ELi6EL8MFMAType0EEvPKT_PKT0_S8_ifPKiSA_SA_iPKfiiiPfSD_PS3_PT2_iSC_SC_
	.p2align	8
	.type	_Z39paged_attention_ll4mi_QKV_mfma16_kernelIDF16_hLN4vllm18Fp8KVCacheDataTypeE1EDF16_Li32ELi128ELi256ELb1ELi6EL8MFMAType0EEvPKT_PKT0_S8_ifPKiSA_SA_iPKfiiiPfSD_PS3_PT2_iSC_SC_,@function
_Z39paged_attention_ll4mi_QKV_mfma16_kernelIDF16_hLN4vllm18Fp8KVCacheDataTypeE1EDF16_Li32ELi128ELi256ELb1ELi6EL8MFMAType0EEvPKT_PKT0_S8_ifPKiSA_SA_iPKfiiiPfSD_PS3_PT2_iSC_SC_: ; @_Z39paged_attention_ll4mi_QKV_mfma16_kernelIDF16_hLN4vllm18Fp8KVCacheDataTypeE1EDF16_Li32ELi128ELi256ELb1ELi6EL8MFMAType0EEvPKT_PKT0_S8_ifPKiSA_SA_iPKfiiiPfSD_PS3_PT2_iSC_SC_
; %bb.0:
	s_load_dwordx2 s[6:7], s[4:5], 0x30
	s_add_u32 s0, s0, s11
	s_addc_u32 s1, s1, 0
	s_mov_b32 s26, s9
	s_mov_b64 s[14:15], 0
	s_waitcnt lgkmcnt(0)
	s_cmp_lg_u64 s[6:7], 0
	s_cselect_b64 s[12:13], -1, 0
	s_and_b64 vcc, exec, s[12:13]
	s_cbranch_vccz .LBB643_7
; %bb.1:
	s_add_i32 s16, s8, 1
	s_mov_b32 s17, 0
	s_lshl_b64 s[18:19], s[16:17], 2
	s_add_u32 s18, s6, s18
	s_mov_b32 s9, s17
	s_addc_u32 s19, s7, s19
	s_lshl_b64 s[16:17], s[8:9], 2
	s_add_u32 s16, s6, s16
	s_addc_u32 s17, s7, s17
	s_load_dword s11, s[18:19], 0x0
	s_load_dword s20, s[16:17], 0x0
	s_waitcnt lgkmcnt(0)
	s_sub_i32 s11, s11, s20
	s_cmp_eq_u32 s11, 1
	s_cselect_b64 s[16:17], -1, 0
	s_andn2_b64 vcc, exec, s[14:15]
	s_cbranch_vccnz .LBB643_3
.LBB643_2:
	s_mov_b32 s9, 0
	s_mov_b64 s[16:17], -1
.LBB643_3:
	s_andn2_b64 vcc, exec, s[16:17]
	s_cbranch_vccnz .LBB643_600
; %bb.4:
	s_load_dwordx2 s[16:17], s[4:5], 0x28
	s_lshl_b64 s[14:15], s[8:9], 2
	s_waitcnt lgkmcnt(0)
	s_add_u32 s16, s16, s14
	s_addc_u32 s17, s17, s15
	s_load_dword s33, s[16:17], 0x0
	s_lshl_b32 s20, s26, 8
	s_waitcnt lgkmcnt(0)
	s_cmp_ge_i32 s20, s33
	s_cbranch_scc1 .LBB643_600
; %bb.5:
	s_add_i32 s18, s33, 31
	s_load_dwordx2 s[16:17], s[4:5], 0x20
	s_load_dword s11, s[4:5], 0x38
	s_ashr_i32 s19, s18, 31
	v_and_b32_e32 v1, 0xcf, v0
	s_lshr_b32 s19, s19, 27
	v_add_u32_e32 v1, s20, v1
	s_add_i32 s18, s18, s19
	v_ashrrev_i32_e32 v2, 31, v1
	s_ashr_i32 s23, s18, 5
	v_lshrrev_b32_e32 v4, 27, v2
	s_add_i32 s23, s23, -1
	v_add_u32_e32 v2, v1, v4
	s_waitcnt lgkmcnt(0)
	s_mul_i32 s18, s8, s11
	s_mov_b32 s19, 0
	v_ashrrev_i32_e32 v2, 5, v2
	v_mov_b32_e32 v5, s23
	v_cmp_gt_i32_e32 vcc, s33, v1
	s_lshl_b64 s[18:19], s[18:19], 2
	v_cndmask_b32_e32 v2, v5, v2, vcc
	s_add_u32 s21, s16, s18
	v_ashrrev_i32_e32 v3, 31, v2
	s_addc_u32 s22, s17, s19
	v_lshlrev_b64 v[2:3], 2, v[2:3]
	v_mov_b32_e32 v7, s22
	v_add_co_u32_e32 v6, vcc, s21, v2
	v_or_b32_e32 v2, 16, v1
	v_addc_co_u32_e32 v7, vcc, v7, v3, vcc
	v_add_u32_e32 v3, v2, v4
	v_ashrrev_i32_e32 v3, 5, v3
	v_cmp_gt_i32_e32 vcc, s33, v2
	v_cndmask_b32_e32 v2, v5, v3, vcc
	v_ashrrev_i32_e32 v3, 31, v2
	v_lshlrev_b64 v[2:3], 2, v[2:3]
	v_mov_b32_e32 v9, s22
	v_add_co_u32_e32 v8, vcc, s21, v2
	v_or_b32_e32 v2, 32, v1
	v_addc_co_u32_e32 v9, vcc, v9, v3, vcc
	v_add_u32_e32 v3, v2, v4
	v_ashrrev_i32_e32 v3, 5, v3
	v_cmp_gt_i32_e32 vcc, s33, v2
	v_cndmask_b32_e32 v2, v5, v3, vcc
	v_ashrrev_i32_e32 v3, 31, v2
	;; [unrolled: 10-line block ×3, first 2 shown]
	v_lshlrev_b64 v[2:3], 2, v[2:3]
	v_mov_b32_e32 v1, s22
	v_add_co_u32_e32 v12, vcc, s21, v2
	v_addc_co_u32_e32 v13, vcc, v1, v3, vcc
	global_load_dword v5, v[6:7], off
	global_load_dword v4, v[8:9], off
	;; [unrolled: 1-line block ×4, first 2 shown]
	s_load_dwordx2 s[16:17], s[4:5], 0x8
	s_andn2_b64 vcc, exec, s[12:13]
	s_cbranch_vccnz .LBB643_8
; %bb.6:
	s_add_u32 s6, s6, s14
	s_addc_u32 s7, s7, s15
	s_load_dword s11, s[6:7], 0x0
	s_branch .LBB643_9
.LBB643_7:
	s_mov_b64 s[16:17], 0
	s_branch .LBB643_2
.LBB643_8:
	s_mov_b32 s11, s8
.LBB643_9:
	s_load_dwordx2 s[6:7], s[4:5], 0x10
	s_load_dwordx4 s[12:15], s[4:5], 0x48
	v_lshrrev_b32_e32 v27, 6, v0
	v_bfe_u32 v1, v0, 4, 2
	v_and_b32_e32 v41, 15, v0
	v_lshl_or_b32 v6, v27, 2, v1
	v_lshlrev_b32_e32 v7, 3, v41
	s_mul_i32 s27, s10, 6
	v_cmp_gt_u32_e32 vcc, 6, v6
	v_lshlrev_b32_e32 v39, 1, v7
	v_lshlrev_b32_e32 v43, 4, v0
	s_and_saveexec_b64 s[18:19], vcc
	s_cbranch_execz .LBB643_11
; %bb.10:
	s_load_dwordx2 s[24:25], s[4:5], 0x0
	s_waitcnt lgkmcnt(0)
	s_ashr_i32 s15, s12, 31
	s_mul_hi_u32 s28, s11, s12
	s_mul_i32 s15, s11, s15
	s_add_i32 s29, s28, s15
	s_mul_i32 s28, s11, s12
	s_lshl_b64 s[28:29], s[28:29], 1
	v_add_lshl_u32 v8, v6, s27, 7
	s_add_u32 s11, s24, s28
	v_ashrrev_i32_e32 v9, 31, v8
	s_addc_u32 s12, s25, s29
	v_lshlrev_b64 v[8:9], 1, v[8:9]
	v_mov_b32_e32 v7, s12
	v_add_co_u32_e32 v8, vcc, s11, v8
	v_addc_co_u32_e32 v7, vcc, v7, v9, vcc
	v_add_co_u32_e32 v8, vcc, v8, v39
	v_addc_co_u32_e32 v9, vcc, 0, v7, vcc
	global_load_dwordx4 v[8:11], v[8:9], off
	v_lshlrev_b32_e32 v12, 8, v0
	v_lshlrev_b32_e32 v7, 8, v41
	v_and_b32_e32 v12, 0x600, v12
	s_movk_i32 s11, 0x800
	v_and_or_b32 v7, v7, s11, v12
	v_lshlrev_b32_e32 v6, 5, v6
	v_and_b32_e32 v12, 16, v43
	v_or3_b32 v6, v7, v6, v12
	s_waitcnt vmcnt(0)
	ds_write_b128 v6, v[8:11]
.LBB643_11:
	s_or_b64 exec, exec, s[18:19]
	s_waitcnt lgkmcnt(0)
	s_mul_i32 s14, s10, s14
	s_add_u32 s10, s16, s14
	s_addc_u32 s11, s17, 0
	v_pk_mov_b32 v[6:7], s[10:11], s[10:11] op_sel:[0,1]
	s_waitcnt vmcnt(3)
	v_mad_i64_i32 v[8:9], s[10:11], v5, s13, v[6:7]
	v_lshlrev_b32_e32 v11, 4, v41
	v_and_b32_e32 v18, 48, v0
	v_add_co_u32_e32 v5, vcc, v8, v11
	v_lshlrev_b32_e32 v10, 5, v18
	v_addc_co_u32_e32 v9, vcc, 0, v9, vcc
	v_add_co_u32_e32 v8, vcc, v5, v10
	v_addc_co_u32_e32 v9, vcc, 0, v9, vcc
	s_load_dwordx2 s[48:49], s[4:5], 0x94
	s_waitcnt lgkmcnt(0)
	s_barrier
	global_load_dwordx4 v[20:23], v[8:9], off
	global_load_dwordx4 v[28:31], v[8:9], off offset:2048
	s_waitcnt vmcnt(4)
	v_mad_i64_i32 v[4:5], s[10:11], v4, s13, v[6:7]
	v_or_b32_e32 v8, 0x100, v11
	v_add_co_u32_e32 v4, vcc, v4, v8
	v_addc_co_u32_e32 v5, vcc, 0, v5, vcc
	v_add_co_u32_e32 v4, vcc, v4, v10
	v_addc_co_u32_e32 v5, vcc, 0, v5, vcc
	global_load_dwordx4 v[32:35], v[4:5], off
	global_load_dwordx4 v[44:47], v[4:5], off offset:2048
	s_waitcnt vmcnt(5)
	v_mad_i64_i32 v[4:5], s[10:11], v3, s13, v[6:7]
	v_add_co_u32_e32 v3, vcc, v4, v11
	v_addc_co_u32_e32 v5, vcc, 0, v5, vcc
	v_add_co_u32_e32 v4, vcc, v3, v10
	v_addc_co_u32_e32 v5, vcc, 0, v5, vcc
	s_waitcnt vmcnt(4)
	v_mad_i64_i32 v[2:3], s[10:11], v2, s13, v[6:7]
	v_add_co_u32_e32 v2, vcc, v2, v8
	v_addc_co_u32_e32 v3, vcc, 0, v3, vcc
	v_add_co_u32_e32 v2, vcc, v2, v10
	v_addc_co_u32_e32 v3, vcc, 0, v3, vcc
	global_load_dwordx4 v[48:51], v[4:5], off
	global_load_dwordx4 v[52:55], v[4:5], off offset:2048
	global_load_dwordx4 v[56:59], v[2:3], off
	global_load_dwordx4 v[60:63], v[2:3], off offset:2048
	v_mul_lo_u16_e32 v2, 43, v41
	v_mov_b32_e32 v3, 6
	v_mul_lo_u16_sdwa v2, v2, v3 dst_sel:DWORD dst_unused:UNUSED_PAD src0_sel:BYTE_1 src1_sel:DWORD
	v_mov_b32_e32 v4, 5
	v_sub_u16_e32 v2, v41, v2
	v_lshlrev_b32_sdwa v2, v4, v2 dst_sel:DWORD dst_unused:UNUSED_PAD src0_sel:DWORD src1_sel:BYTE_0
	v_lshl_add_u32 v14, v1, 9, v2
	s_load_dwordx2 s[50:51], s[4:5], 0x68
	s_load_dwordx4 s[44:47], s[4:5], 0x58
	ds_read_b128 v[2:5], v14
	ds_read_b128 v[6:9], v14 offset:16
	ds_read_b128 v[10:13], v14 offset:2048
	;; [unrolled: 1-line block ×3, first 2 shown]
	s_mov_b32 s12, 0
	v_cmp_gt_u32_e32 vcc, 6, v41
	s_waitcnt vmcnt(7)
	buffer_store_dword v23, off, s[0:3], 0 offset:12
	buffer_store_dword v22, off, s[0:3], 0 offset:8
	;; [unrolled: 1-line block ×3, first 2 shown]
	buffer_store_dword v20, off, s[0:3], 0
	s_waitcnt vmcnt(10)
	buffer_store_dword v31, off, s[0:3], 0 offset:28
	buffer_store_dword v30, off, s[0:3], 0 offset:24
	buffer_store_dword v29, off, s[0:3], 0 offset:20
	buffer_store_dword v28, off, s[0:3], 0 offset:16
	s_waitcnt vmcnt(13)
	buffer_store_dword v35, off, s[0:3], 0 offset:44
	buffer_store_dword v34, off, s[0:3], 0 offset:40
	buffer_store_dword v33, off, s[0:3], 0 offset:36
	buffer_store_dword v32, off, s[0:3], 0 offset:32
	;; [unrolled: 5-line block ×7, first 2 shown]
	v_mov_b32_e32 v35, 0
	v_mov_b32_e32 v31, 0
	s_and_saveexec_b64 s[10:11], vcc
	s_cbranch_execz .LBB643_13
; %bb.12:
	s_load_dwordx2 s[16:17], s[4:5], 0x40
	v_add_u32_e32 v20, s27, v41
	v_ashrrev_i32_e32 v21, 31, v20
	v_lshlrev_b64 v[20:21], 2, v[20:21]
	s_waitcnt lgkmcnt(0)
	v_mov_b32_e32 v19, s17
	v_add_co_u32_e32 v20, vcc, s16, v20
	v_addc_co_u32_e32 v21, vcc, v19, v21, vcc
	global_load_dword v31, v[20:21], off
.LBB643_13:
	s_or_b64 exec, exec, s[10:11]
	s_ashr_i32 s10, s20, 31
	v_or_b32_e32 v24, s20, v18
	s_lshr_b32 s10, s10, 27
	v_add_u32_e32 v18, s10, v24
	v_ashrrev_i32_e32 v18, 5, v18
	v_mov_b32_e32 v25, s23
	v_cmp_gt_i32_e32 vcc, s33, v24
	v_cndmask_b32_e32 v18, v25, v18, vcc
	v_ashrrev_i32_e32 v19, 31, v18
	v_lshlrev_b64 v[18:19], 2, v[18:19]
	v_mov_b32_e32 v20, s22
	v_add_co_u32_e32 v18, vcc, s21, v18
	v_addc_co_u32_e32 v19, vcc, v20, v19, vcc
	v_or_b32_e32 v20, 64, v24
	v_add_u32_e32 v21, s10, v20
	v_ashrrev_i32_e32 v21, 5, v21
	v_cmp_gt_i32_e32 vcc, s33, v20
	v_cndmask_b32_e32 v20, v25, v21, vcc
	v_ashrrev_i32_e32 v21, 31, v20
	v_lshlrev_b64 v[20:21], 2, v[20:21]
	v_mov_b32_e32 v22, s22
	v_add_co_u32_e32 v20, vcc, s21, v20
	v_addc_co_u32_e32 v21, vcc, v22, v21, vcc
	v_or_b32_e32 v22, 0x80, v24
	v_add_u32_e32 v23, s10, v22
	v_ashrrev_i32_e32 v23, 5, v23
	v_cmp_gt_i32_e32 vcc, s33, v22
	v_cndmask_b32_e32 v22, v25, v23, vcc
	v_ashrrev_i32_e32 v23, 31, v22
	v_lshlrev_b64 v[22:23], 2, v[22:23]
	v_mov_b32_e32 v26, s22
	v_add_co_u32_e32 v22, vcc, s21, v22
	v_addc_co_u32_e32 v23, vcc, v26, v23, vcc
	global_load_dword v26, v[18:19], off
	global_load_dword v28, v[20:21], off
	global_load_dword v30, v[22:23], off
	v_or_b32_e32 v18, 0xc0, v24
	v_add_u32_e32 v19, s10, v18
	v_ashrrev_i32_e32 v19, 5, v19
	v_cmp_gt_i32_e32 vcc, s33, v18
	v_cndmask_b32_e32 v18, v25, v19, vcc
	v_ashrrev_i32_e32 v19, 31, v18
	v_lshlrev_b64 v[18:19], 2, v[18:19]
	v_mov_b32_e32 v20, s22
	v_add_co_u32_e32 v18, vcc, s21, v18
	v_addc_co_u32_e32 v19, vcc, v20, v19, vcc
	global_load_dword v32, v[18:19], off
	s_add_u32 s6, s6, s14
	v_and_b32_e32 v18, 16, v0
	s_addc_u32 s7, s7, 0
	v_lshl_or_b32 v29, v27, 4, v41
	v_mov_b32_e32 v20, s7
	v_add_co_u32_e32 v34, vcc, s6, v18
	v_lshlrev_b32_e32 v19, 5, v29
	v_addc_co_u32_e32 v36, vcc, 0, v20, vcc
	v_add_co_u32_e32 v22, vcc, v34, v19
	v_addc_co_u32_e32 v23, vcc, 0, v36, vcc
	v_or_b32_e32 v33, 0x800, v19
	s_movk_i32 s14, 0x7f
	s_mov_b32 s15, 0xffffff
	v_mov_b32_e32 v37, 0x100
	v_bfrev_b32_e32 v38, 60
	s_waitcnt vmcnt(3)
	v_mad_i64_i32 v[18:19], s[6:7], v26, s13, v[22:23]
	s_waitcnt vmcnt(2)
	v_mad_i64_i32 v[24:25], s[6:7], v28, s13, v[22:23]
	global_load_dwordx4 v[18:21], v[18:19], off
	s_nop 0
	global_load_dwordx4 v[52:55], v[24:25], off
	s_waitcnt vmcnt(3)
	v_mad_i64_i32 v[24:25], s[6:7], v30, s13, v[22:23]
	s_waitcnt vmcnt(2)
	v_mad_i64_i32 v[22:23], s[6:7], v32, s13, v[22:23]
	global_load_dwordx4 v[56:59], v[24:25], off
	global_load_dwordx4 v[60:63], v[22:23], off
	v_add_co_u32_e32 v22, vcc, v34, v33
	v_addc_co_u32_e32 v23, vcc, 0, v36, vcc
	v_mad_i64_i32 v[24:25], s[6:7], v26, s13, v[22:23]
	global_load_dwordx4 v[64:67], v[24:25], off
	v_mad_i64_i32 v[24:25], s[6:7], v28, s13, v[22:23]
	global_load_dwordx4 v[68:71], v[24:25], off
	;; [unrolled: 2-line block ×4, first 2 shown]
	s_load_dword s6, s[4:5], 0x1c
	s_load_dwordx4 s[40:43], s[4:5], 0x80
	v_mov_b32_e32 v22, 0x80
	v_add_u32_e32 v45, 16, v22
	v_add_u32_e32 v46, 32, v22
	v_add_u32_e32 v47, 48, v22
	s_waitcnt lgkmcnt(0)
	s_load_dword s4, s[40:41], 0x0
	v_add_u32_e32 v51, 64, v22
	v_add_u32_e32 v48, 0x50, v22
	v_add_u32_e32 v50, 0x60, v22
	v_add_u32_e32 v49, 0x70, v22
	v_mov_b32_e32 v22, s6
	s_waitcnt lgkmcnt(0)
	v_mul_f32_e32 v22, s4, v22
	v_and_b32_e32 v33, 63, v0
	s_movk_i32 s13, 0x80
	v_mov_b32_e32 v36, 0
	v_mov_b32_e32 v24, v22
	;; [unrolled: 1-line block ×3, first 2 shown]
	s_waitcnt vmcnt(7)
	buffer_store_dword v21, off, s[0:3], 0 offset:140
	buffer_store_dword v20, off, s[0:3], 0 offset:136
	buffer_store_dword v19, off, s[0:3], 0 offset:132
	buffer_store_dword v18, off, s[0:3], 0 offset:128
	s_waitcnt vmcnt(10)
	buffer_store_dword v55, off, s[0:3], 0 offset:172
	buffer_store_dword v54, off, s[0:3], 0 offset:168
	buffer_store_dword v53, off, s[0:3], 0 offset:164
	buffer_store_dword v52, off, s[0:3], 0 offset:160
	;; [unrolled: 5-line block ×8, first 2 shown]
	s_branch .LBB643_17
.LBB643_14:                             ;   in Loop: Header=BB643_17 Depth=1
	s_or_b64 exec, exec, s[10:11]
.LBB643_15:                             ;   in Loop: Header=BB643_17 Depth=1
	s_or_b64 exec, exec, s[6:7]
.LBB643_16:                             ;   in Loop: Header=BB643_17 Depth=1
	s_or_b64 exec, exec, s[4:5]
	v_cvt_pkrtz_f16_f32 v54, v34, v32
	v_cvt_pkrtz_f16_f32 v55, v23, v42
	v_add_u32_e32 v26, s12, v37
	s_add_i32 s12, s12, 16
	v_mov_b32_e32 v23, v22
	v_mfma_f32_16x16x16f16 v[18:21], v[54:55], v[14:15], v[18:21]
	v_cvt_pkrtz_f16_f32 v54, v40, v44
	v_cvt_pkrtz_f16_f32 v55, v30, v52
	s_cmp_eq_u32 s12, 64
	v_add_u32_e32 v36, 32, v36
	v_mfma_f32_16x16x16f16 v[18:21], v[54:55], v[16:17], v[18:21]
	s_nop 7
	s_nop 2
	v_pk_mul_f32 v[18:19], v[24:25], v[18:19]
	v_pk_mul_f32 v[20:21], v[22:23], v[20:21]
	buffer_store_dword v19, v26, s[0:3], 0 offen offset:4
	buffer_store_dword v18, v26, s[0:3], 0 offen
	buffer_store_dword v21, v26, s[0:3], 0 offen offset:12
	buffer_store_dword v20, v26, s[0:3], 0 offen offset:8
	s_cbranch_scc1 .LBB643_207
.LBB643_17:                             ; =>This Inner Loop Header: Depth=1
	buffer_load_dword v20, v36, s[0:3], 0 offen
	buffer_load_dword v18, v36, s[0:3], 0 offen offset:4
	buffer_load_dword v28, v36, s[0:3], 0 offen offset:8
	;; [unrolled: 1-line block ×3, first 2 shown]
	v_mov_b32_e32 v19, 0
	v_mov_b32_e32 v21, 0
	s_waitcnt vmcnt(3)
	v_cmp_ne_u16_sdwa s[6:7], v20, v35 src0_sel:BYTE_0 src1_sel:DWORD
	s_and_saveexec_b64 s[4:5], s[6:7]
	s_cbranch_execz .LBB643_23
; %bb.18:                               ;   in Loop: Header=BB643_17 Depth=1
	v_cmp_ne_u16_sdwa s[10:11], v20, s13 src0_sel:BYTE_0 src1_sel:DWORD
	v_bfrev_b32_e32 v21, 1
	s_and_saveexec_b64 s[6:7], s[10:11]
	s_cbranch_execz .LBB643_22
; %bb.19:                               ;   in Loop: Header=BB643_17 Depth=1
	v_and_b32_e32 v23, 0x7f, v20
	v_cmp_ne_u32_e32 vcc, s14, v23
	v_mov_b32_e32 v21, 0x7f800001
	s_and_saveexec_b64 s[10:11], vcc
	s_cbranch_execz .LBB643_21
; %bb.20:                               ;   in Loop: Header=BB643_17 Depth=1
	v_and_b32_e32 v21, 7, v20
	v_ffbh_u32_e32 v32, v21
	v_min_u32_e32 v32, 32, v32
	v_subrev_u32_e32 v34, 28, v32
	v_lshlrev_b64 v[52:53], v34, v[20:21]
	v_lshrrev_b32_e32 v30, 3, v23
	v_sub_u32_e32 v32, 29, v32
	v_and_b32_e32 v34, 7, v52
	v_cmp_gt_u32_e32 vcc, 8, v23
	v_cndmask_b32_e32 v23, v30, v32, vcc
	v_cndmask_b32_e32 v21, v21, v34, vcc
	v_lshlrev_b32_e32 v30, 24, v20
	v_lshlrev_b32_e32 v21, 20, v21
	v_and_b32_e32 v30, 0x80000000, v30
	v_lshl_add_u32 v23, v23, 23, v38
	v_or3_b32 v21, v30, v23, v21
.LBB643_21:                             ;   in Loop: Header=BB643_17 Depth=1
	s_or_b64 exec, exec, s[10:11]
.LBB643_22:                             ;   in Loop: Header=BB643_17 Depth=1
	s_or_b64 exec, exec, s[6:7]
.LBB643_23:                             ;   in Loop: Header=BB643_17 Depth=1
	s_or_b64 exec, exec, s[4:5]
	v_lshrrev_b16_e32 v30, 8, v20
	v_cmp_ne_u16_e32 vcc, 0, v30
	s_and_saveexec_b64 s[4:5], vcc
	s_cbranch_execz .LBB643_29
; %bb.24:                               ;   in Loop: Header=BB643_17 Depth=1
	v_cmp_ne_u16_e32 vcc, s13, v30
	v_bfrev_b32_e32 v19, 1
	s_and_saveexec_b64 s[6:7], vcc
	s_cbranch_execz .LBB643_28
; %bb.25:                               ;   in Loop: Header=BB643_17 Depth=1
	v_and_b32_e32 v23, 0x7f, v30
	v_cmp_ne_u32_e32 vcc, s14, v23
	v_mov_b32_e32 v19, 0x7f800001
	s_and_saveexec_b64 s[10:11], vcc
	s_cbranch_execz .LBB643_27
; %bb.26:                               ;   in Loop: Header=BB643_17 Depth=1
	v_and_b32_e32 v19, 7, v30
	v_ffbh_u32_e32 v34, v19
	v_min_u32_e32 v34, 32, v34
	v_subrev_u32_e32 v40, 28, v34
	v_lshlrev_b64 v[52:53], v40, v[30:31]
	v_lshrrev_b32_e32 v32, 3, v23
	v_sub_u32_e32 v30, 29, v34
	v_and_b32_e32 v34, 7, v52
	v_cmp_gt_u32_e32 vcc, 8, v23
	v_cndmask_b32_e32 v23, v32, v30, vcc
	v_cndmask_b32_e32 v19, v19, v34, vcc
	v_lshlrev_b32_e32 v30, 16, v20
	v_lshlrev_b32_e32 v19, 20, v19
	v_and_b32_e32 v30, 0x80000000, v30
	v_lshl_add_u32 v23, v23, 23, v38
	v_or3_b32 v19, v30, v23, v19
.LBB643_27:                             ;   in Loop: Header=BB643_17 Depth=1
	s_or_b64 exec, exec, s[10:11]
.LBB643_28:                             ;   in Loop: Header=BB643_17 Depth=1
	s_or_b64 exec, exec, s[6:7]
.LBB643_29:                             ;   in Loop: Header=BB643_17 Depth=1
	s_or_b64 exec, exec, s[4:5]
	v_lshrrev_b32_e32 v30, 16, v20
	v_cmp_ne_u16_sdwa s[6:7], v30, v35 src0_sel:BYTE_0 src1_sel:DWORD
	v_mov_b32_e32 v32, 0
	v_mov_b32_e32 v23, 0
	s_and_saveexec_b64 s[4:5], s[6:7]
	s_cbranch_execz .LBB643_35
; %bb.30:                               ;   in Loop: Header=BB643_17 Depth=1
	v_cmp_ne_u16_sdwa s[10:11], v30, s13 src0_sel:BYTE_0 src1_sel:DWORD
	v_bfrev_b32_e32 v23, 1
	s_and_saveexec_b64 s[6:7], s[10:11]
	s_cbranch_execz .LBB643_34
; %bb.31:                               ;   in Loop: Header=BB643_17 Depth=1
	v_bfe_u32 v34, v20, 16, 7
	v_cmp_ne_u32_e32 vcc, s14, v34
	v_mov_b32_e32 v23, 0x7f800001
	s_and_saveexec_b64 s[10:11], vcc
	s_cbranch_execz .LBB643_33
; %bb.32:                               ;   in Loop: Header=BB643_17 Depth=1
	v_and_b32_e32 v23, 7, v30
	v_ffbh_u32_e32 v42, v23
	v_min_u32_e32 v42, 32, v42
	v_subrev_u32_e32 v44, 28, v42
	v_lshlrev_b64 v[52:53], v44, v[30:31]
	v_lshrrev_b32_e32 v40, 3, v34
	v_sub_u32_e32 v42, 29, v42
	v_and_b32_e32 v44, 7, v52
	v_cmp_gt_u32_e32 vcc, 8, v34
	v_cndmask_b32_e32 v34, v40, v42, vcc
	v_cndmask_b32_e32 v23, v23, v44, vcc
	v_lshlrev_b32_e32 v30, 24, v30
	v_lshlrev_b32_e32 v23, 20, v23
	v_and_b32_e32 v30, 0x80000000, v30
	v_lshl_add_u32 v34, v34, 23, v38
	v_or3_b32 v23, v30, v34, v23
.LBB643_33:                             ;   in Loop: Header=BB643_17 Depth=1
	s_or_b64 exec, exec, s[10:11]
.LBB643_34:                             ;   in Loop: Header=BB643_17 Depth=1
	s_or_b64 exec, exec, s[6:7]
.LBB643_35:                             ;   in Loop: Header=BB643_17 Depth=1
	s_or_b64 exec, exec, s[4:5]
	v_cmp_lt_u32_e32 vcc, s15, v20
	s_and_saveexec_b64 s[4:5], vcc
	s_cbranch_execz .LBB643_41
; %bb.36:                               ;   in Loop: Header=BB643_17 Depth=1
	v_lshrrev_b32_e32 v30, 24, v20
	v_cmp_ne_u32_e32 vcc, s13, v30
	v_bfrev_b32_e32 v32, 1
	s_and_saveexec_b64 s[6:7], vcc
	s_cbranch_execz .LBB643_40
; %bb.37:                               ;   in Loop: Header=BB643_17 Depth=1
	v_bfe_u32 v20, v20, 24, 7
	v_cmp_ne_u32_e32 vcc, s14, v20
	v_mov_b32_e32 v32, 0x7f800001
	s_and_saveexec_b64 s[10:11], vcc
	s_cbranch_execz .LBB643_39
; %bb.38:                               ;   in Loop: Header=BB643_17 Depth=1
	v_and_b32_e32 v32, 7, v30
	v_ffbh_u32_e32 v40, v32
	v_min_u32_e32 v40, 32, v40
	v_subrev_u32_e32 v42, 28, v40
	v_lshlrev_b64 v[52:53], v42, v[30:31]
	v_lshrrev_b32_e32 v34, 3, v20
	v_sub_u32_e32 v40, 29, v40
	v_and_b32_e32 v42, 7, v52
	v_cmp_gt_u32_e32 vcc, 8, v20
	v_cndmask_b32_e32 v20, v34, v40, vcc
	v_cndmask_b32_e32 v32, v32, v42, vcc
	v_lshlrev_b32_e32 v30, 24, v30
	v_lshlrev_b32_e32 v32, 20, v32
	v_and_b32_e32 v30, 0x80000000, v30
	v_lshl_add_u32 v20, v20, 23, v38
	v_or3_b32 v32, v30, v20, v32
.LBB643_39:                             ;   in Loop: Header=BB643_17 Depth=1
	s_or_b64 exec, exec, s[10:11]
.LBB643_40:                             ;   in Loop: Header=BB643_17 Depth=1
	s_or_b64 exec, exec, s[6:7]
.LBB643_41:                             ;   in Loop: Header=BB643_17 Depth=1
	s_or_b64 exec, exec, s[4:5]
	s_waitcnt vmcnt(2)
	v_cmp_ne_u16_sdwa s[6:7], v18, v35 src0_sel:BYTE_0 src1_sel:DWORD
	v_mov_b32_e32 v30, 0
	v_mov_b32_e32 v34, 0
	s_and_saveexec_b64 s[4:5], s[6:7]
	s_cbranch_execz .LBB643_47
; %bb.42:                               ;   in Loop: Header=BB643_17 Depth=1
	v_cmp_ne_u16_sdwa s[10:11], v18, s13 src0_sel:BYTE_0 src1_sel:DWORD
	v_bfrev_b32_e32 v34, 1
	s_and_saveexec_b64 s[6:7], s[10:11]
	s_cbranch_execz .LBB643_46
; %bb.43:                               ;   in Loop: Header=BB643_17 Depth=1
	v_and_b32_e32 v20, 0x7f, v18
	v_cmp_ne_u32_e32 vcc, s14, v20
	v_mov_b32_e32 v34, 0x7f800001
	s_and_saveexec_b64 s[10:11], vcc
	s_cbranch_execz .LBB643_45
; %bb.44:                               ;   in Loop: Header=BB643_17 Depth=1
	v_and_b32_e32 v34, 7, v18
	v_ffbh_u32_e32 v42, v34
	v_min_u32_e32 v42, 32, v42
	v_subrev_u32_e32 v44, 28, v42
	v_lshlrev_b64 v[52:53], v44, v[18:19]
	v_lshrrev_b32_e32 v40, 3, v20
	v_sub_u32_e32 v42, 29, v42
	v_and_b32_e32 v44, 7, v52
	v_cmp_gt_u32_e32 vcc, 8, v20
	v_cndmask_b32_e32 v20, v40, v42, vcc
	v_cndmask_b32_e32 v34, v34, v44, vcc
	v_lshlrev_b32_e32 v40, 24, v18
	v_lshlrev_b32_e32 v34, 20, v34
	v_and_b32_e32 v40, 0x80000000, v40
	v_lshl_add_u32 v20, v20, 23, v38
	v_or3_b32 v34, v40, v20, v34
.LBB643_45:                             ;   in Loop: Header=BB643_17 Depth=1
	s_or_b64 exec, exec, s[10:11]
.LBB643_46:                             ;   in Loop: Header=BB643_17 Depth=1
	s_or_b64 exec, exec, s[6:7]
.LBB643_47:                             ;   in Loop: Header=BB643_17 Depth=1
	s_or_b64 exec, exec, s[4:5]
	v_lshrrev_b16_e32 v20, 8, v18
	v_cmp_ne_u16_e32 vcc, 0, v20
	s_and_saveexec_b64 s[4:5], vcc
	s_cbranch_execz .LBB643_53
; %bb.48:                               ;   in Loop: Header=BB643_17 Depth=1
	v_cmp_ne_u16_e32 vcc, s13, v20
	v_bfrev_b32_e32 v30, 1
	s_and_saveexec_b64 s[6:7], vcc
	s_cbranch_execz .LBB643_52
; %bb.49:                               ;   in Loop: Header=BB643_17 Depth=1
	v_and_b32_e32 v40, 0x7f, v20
	v_cmp_ne_u32_e32 vcc, s14, v40
	v_mov_b32_e32 v30, 0x7f800001
	s_and_saveexec_b64 s[10:11], vcc
	s_cbranch_execz .LBB643_51
; %bb.50:                               ;   in Loop: Header=BB643_17 Depth=1
	v_and_b32_e32 v30, 7, v20
	v_ffbh_u32_e32 v44, v30
	v_min_u32_e32 v44, 32, v44
	v_subrev_u32_e32 v52, 28, v44
	v_lshlrev_b64 v[52:53], v52, v[20:21]
	v_lshrrev_b32_e32 v42, 3, v40
	v_sub_u32_e32 v20, 29, v44
	v_and_b32_e32 v44, 7, v52
	v_cmp_gt_u32_e32 vcc, 8, v40
	v_cndmask_b32_e32 v20, v42, v20, vcc
	v_cndmask_b32_e32 v30, v30, v44, vcc
	v_lshlrev_b32_e32 v40, 16, v18
	v_lshlrev_b32_e32 v30, 20, v30
	v_and_b32_e32 v40, 0x80000000, v40
	v_lshl_add_u32 v20, v20, 23, v38
	v_or3_b32 v30, v40, v20, v30
.LBB643_51:                             ;   in Loop: Header=BB643_17 Depth=1
	s_or_b64 exec, exec, s[10:11]
.LBB643_52:                             ;   in Loop: Header=BB643_17 Depth=1
	s_or_b64 exec, exec, s[6:7]
.LBB643_53:                             ;   in Loop: Header=BB643_17 Depth=1
	s_or_b64 exec, exec, s[4:5]
	v_lshrrev_b32_e32 v20, 16, v18
	v_cmp_ne_u16_sdwa s[6:7], v20, v35 src0_sel:BYTE_0 src1_sel:DWORD
	v_mov_b32_e32 v42, 0
	v_mov_b32_e32 v40, 0
	s_and_saveexec_b64 s[4:5], s[6:7]
	s_cbranch_execz .LBB643_59
; %bb.54:                               ;   in Loop: Header=BB643_17 Depth=1
	v_cmp_ne_u16_sdwa s[10:11], v20, s13 src0_sel:BYTE_0 src1_sel:DWORD
	v_bfrev_b32_e32 v40, 1
	s_and_saveexec_b64 s[6:7], s[10:11]
	s_cbranch_execz .LBB643_58
; %bb.55:                               ;   in Loop: Header=BB643_17 Depth=1
	v_bfe_u32 v44, v18, 16, 7
	v_cmp_ne_u32_e32 vcc, s14, v44
	v_mov_b32_e32 v40, 0x7f800001
	s_and_saveexec_b64 s[10:11], vcc
	s_cbranch_execz .LBB643_57
; %bb.56:                               ;   in Loop: Header=BB643_17 Depth=1
	v_and_b32_e32 v40, 7, v20
	v_ffbh_u32_e32 v52, v40
	v_min_u32_e32 v55, 32, v52
	v_subrev_u32_e32 v52, 28, v55
	v_lshlrev_b64 v[52:53], v52, v[20:21]
	v_lshrrev_b32_e32 v54, 3, v44
	v_sub_u32_e32 v53, 29, v55
	v_and_b32_e32 v52, 7, v52
	v_cmp_gt_u32_e32 vcc, 8, v44
	v_cndmask_b32_e32 v44, v54, v53, vcc
	v_cndmask_b32_e32 v40, v40, v52, vcc
	v_lshlrev_b32_e32 v20, 24, v20
	v_lshlrev_b32_e32 v40, 20, v40
	v_and_b32_e32 v20, 0x80000000, v20
	v_lshl_add_u32 v44, v44, 23, v38
	v_or3_b32 v40, v20, v44, v40
.LBB643_57:                             ;   in Loop: Header=BB643_17 Depth=1
	s_or_b64 exec, exec, s[10:11]
.LBB643_58:                             ;   in Loop: Header=BB643_17 Depth=1
	s_or_b64 exec, exec, s[6:7]
.LBB643_59:                             ;   in Loop: Header=BB643_17 Depth=1
	s_or_b64 exec, exec, s[4:5]
	v_cmp_lt_u32_e32 vcc, s15, v18
	s_and_saveexec_b64 s[4:5], vcc
	s_cbranch_execz .LBB643_65
; %bb.60:                               ;   in Loop: Header=BB643_17 Depth=1
	v_lshrrev_b32_e32 v20, 24, v18
	v_cmp_ne_u32_e32 vcc, s13, v20
	v_bfrev_b32_e32 v42, 1
	s_and_saveexec_b64 s[6:7], vcc
	s_cbranch_execz .LBB643_64
; %bb.61:                               ;   in Loop: Header=BB643_17 Depth=1
	v_bfe_u32 v18, v18, 24, 7
	v_cmp_ne_u32_e32 vcc, s14, v18
	v_mov_b32_e32 v42, 0x7f800001
	s_and_saveexec_b64 s[10:11], vcc
	s_cbranch_execz .LBB643_63
; %bb.62:                               ;   in Loop: Header=BB643_17 Depth=1
	v_and_b32_e32 v42, 7, v20
	v_ffbh_u32_e32 v52, v42
	v_min_u32_e32 v54, 32, v52
	v_subrev_u32_e32 v52, 28, v54
	v_lshlrev_b64 v[52:53], v52, v[20:21]
	v_lshrrev_b32_e32 v44, 3, v18
	v_sub_u32_e32 v53, 29, v54
	v_and_b32_e32 v52, 7, v52
	v_cmp_gt_u32_e32 vcc, 8, v18
	v_cndmask_b32_e32 v18, v44, v53, vcc
	v_cndmask_b32_e32 v42, v42, v52, vcc
	v_lshlrev_b32_e32 v20, 24, v20
	v_lshlrev_b32_e32 v42, 20, v42
	v_and_b32_e32 v20, 0x80000000, v20
	v_lshl_add_u32 v18, v18, 23, v38
	v_or3_b32 v42, v20, v18, v42
.LBB643_63:                             ;   in Loop: Header=BB643_17 Depth=1
	s_or_b64 exec, exec, s[10:11]
.LBB643_64:                             ;   in Loop: Header=BB643_17 Depth=1
	s_or_b64 exec, exec, s[6:7]
.LBB643_65:                             ;   in Loop: Header=BB643_17 Depth=1
	s_or_b64 exec, exec, s[4:5]
	v_cvt_pkrtz_f16_f32 v18, v21, v19
	v_cvt_pkrtz_f16_f32 v19, v23, v32
	;; [unrolled: 1-line block ×4, first 2 shown]
	v_mov_b32_e32 v32, 0
	v_mfma_f32_16x16x16f16 v[18:21], v[18:19], v[2:3], 0
	s_waitcnt vmcnt(1)
	v_cmp_ne_u16_sdwa s[6:7], v28, v35 src0_sel:BYTE_0 src1_sel:DWORD
	v_mov_b32_e32 v34, 0
	v_mfma_f32_16x16x16f16 v[18:21], v[52:53], v[4:5], v[18:21]
	s_and_saveexec_b64 s[4:5], s[6:7]
	s_cbranch_execz .LBB643_71
; %bb.66:                               ;   in Loop: Header=BB643_17 Depth=1
	v_cmp_ne_u16_sdwa s[10:11], v28, s13 src0_sel:BYTE_0 src1_sel:DWORD
	v_bfrev_b32_e32 v34, 1
	s_and_saveexec_b64 s[6:7], s[10:11]
	s_cbranch_execz .LBB643_70
; %bb.67:                               ;   in Loop: Header=BB643_17 Depth=1
	v_and_b32_e32 v23, 0x7f, v28
	v_cmp_ne_u32_e32 vcc, s14, v23
	v_mov_b32_e32 v34, 0x7f800001
	s_and_saveexec_b64 s[10:11], vcc
	s_cbranch_execz .LBB643_69
; %bb.68:                               ;   in Loop: Header=BB643_17 Depth=1
	v_and_b32_e32 v30, 7, v28
	v_ffbh_u32_e32 v40, v30
	v_min_u32_e32 v40, 32, v40
	v_subrev_u32_e32 v42, 28, v40
	v_lshlrev_b64 v[52:53], v42, v[28:29]
	v_lshrrev_b32_e32 v34, 3, v23
	v_sub_u32_e32 v40, 29, v40
	v_and_b32_e32 v42, 7, v52
	v_cmp_gt_u32_e32 vcc, 8, v23
	v_cndmask_b32_e32 v23, v34, v40, vcc
	v_cndmask_b32_e32 v30, v30, v42, vcc
	v_lshlrev_b32_e32 v34, 24, v28
	v_lshlrev_b32_e32 v30, 20, v30
	v_and_b32_e32 v34, 0x80000000, v34
	v_lshl_add_u32 v23, v23, 23, v38
	v_or3_b32 v34, v34, v23, v30
.LBB643_69:                             ;   in Loop: Header=BB643_17 Depth=1
	s_or_b64 exec, exec, s[10:11]
.LBB643_70:                             ;   in Loop: Header=BB643_17 Depth=1
	s_or_b64 exec, exec, s[6:7]
.LBB643_71:                             ;   in Loop: Header=BB643_17 Depth=1
	s_or_b64 exec, exec, s[4:5]
	v_lshrrev_b16_e32 v30, 8, v28
	v_cmp_ne_u16_e32 vcc, 0, v30
	v_mov_b32_e32 v40, 0
	s_and_saveexec_b64 s[4:5], vcc
	s_cbranch_execz .LBB643_77
; %bb.72:                               ;   in Loop: Header=BB643_17 Depth=1
	v_cmp_ne_u16_e32 vcc, s13, v30
	v_bfrev_b32_e32 v40, 1
	s_and_saveexec_b64 s[6:7], vcc
	s_cbranch_execz .LBB643_76
; %bb.73:                               ;   in Loop: Header=BB643_17 Depth=1
	v_and_b32_e32 v23, 0x7f, v30
	v_cmp_ne_u32_e32 vcc, s14, v23
	v_mov_b32_e32 v40, 0x7f800001
	s_and_saveexec_b64 s[10:11], vcc
	s_cbranch_execz .LBB643_75
; %bb.74:                               ;   in Loop: Header=BB643_17 Depth=1
	v_and_b32_e32 v40, 7, v30
	v_ffbh_u32_e32 v44, v40
	v_min_u32_e32 v44, 32, v44
	v_subrev_u32_e32 v52, 28, v44
	v_lshlrev_b64 v[52:53], v52, v[30:31]
	v_lshrrev_b32_e32 v42, 3, v23
	v_sub_u32_e32 v30, 29, v44
	v_and_b32_e32 v44, 7, v52
	v_cmp_gt_u32_e32 vcc, 8, v23
	v_cndmask_b32_e32 v23, v42, v30, vcc
	v_cndmask_b32_e32 v30, v40, v44, vcc
	v_lshlrev_b32_e32 v40, 16, v28
	v_lshlrev_b32_e32 v30, 20, v30
	v_and_b32_e32 v40, 0x80000000, v40
	v_lshl_add_u32 v23, v23, 23, v38
	v_or3_b32 v40, v40, v23, v30
.LBB643_75:                             ;   in Loop: Header=BB643_17 Depth=1
	s_or_b64 exec, exec, s[10:11]
.LBB643_76:                             ;   in Loop: Header=BB643_17 Depth=1
	s_or_b64 exec, exec, s[6:7]
.LBB643_77:                             ;   in Loop: Header=BB643_17 Depth=1
	s_or_b64 exec, exec, s[4:5]
	v_lshrrev_b32_e32 v30, 16, v28
	v_cmp_ne_u16_sdwa s[6:7], v30, v35 src0_sel:BYTE_0 src1_sel:DWORD
	s_and_saveexec_b64 s[4:5], s[6:7]
	s_cbranch_execz .LBB643_83
; %bb.78:                               ;   in Loop: Header=BB643_17 Depth=1
	v_cmp_ne_u16_sdwa s[10:11], v30, s13 src0_sel:BYTE_0 src1_sel:DWORD
	v_bfrev_b32_e32 v32, 1
	s_and_saveexec_b64 s[6:7], s[10:11]
	s_cbranch_execz .LBB643_82
; %bb.79:                               ;   in Loop: Header=BB643_17 Depth=1
	v_bfe_u32 v23, v28, 16, 7
	v_cmp_ne_u32_e32 vcc, s14, v23
	v_mov_b32_e32 v32, 0x7f800001
	s_and_saveexec_b64 s[10:11], vcc
	s_cbranch_execz .LBB643_81
; %bb.80:                               ;   in Loop: Header=BB643_17 Depth=1
	v_and_b32_e32 v32, 7, v30
	v_ffbh_u32_e32 v44, v32
	v_min_u32_e32 v44, 32, v44
	v_subrev_u32_e32 v52, 28, v44
	v_lshlrev_b64 v[52:53], v52, v[30:31]
	v_lshrrev_b32_e32 v42, 3, v23
	v_sub_u32_e32 v44, 29, v44
	v_and_b32_e32 v52, 7, v52
	v_cmp_gt_u32_e32 vcc, 8, v23
	v_cndmask_b32_e32 v23, v42, v44, vcc
	v_cndmask_b32_e32 v32, v32, v52, vcc
	v_lshlrev_b32_e32 v30, 24, v30
	v_lshlrev_b32_e32 v32, 20, v32
	v_and_b32_e32 v30, 0x80000000, v30
	v_lshl_add_u32 v23, v23, 23, v38
	v_or3_b32 v32, v30, v23, v32
.LBB643_81:                             ;   in Loop: Header=BB643_17 Depth=1
	s_or_b64 exec, exec, s[10:11]
.LBB643_82:                             ;   in Loop: Header=BB643_17 Depth=1
	s_or_b64 exec, exec, s[6:7]
.LBB643_83:                             ;   in Loop: Header=BB643_17 Depth=1
	s_or_b64 exec, exec, s[4:5]
	v_cmp_lt_u32_e32 vcc, s15, v28
	v_mov_b32_e32 v42, 0
	v_mov_b32_e32 v44, 0
	s_and_saveexec_b64 s[4:5], vcc
	s_cbranch_execz .LBB643_89
; %bb.84:                               ;   in Loop: Header=BB643_17 Depth=1
	v_lshrrev_b32_e32 v30, 24, v28
	v_cmp_ne_u32_e32 vcc, s13, v30
	v_bfrev_b32_e32 v44, 1
	s_and_saveexec_b64 s[6:7], vcc
	s_cbranch_execz .LBB643_88
; %bb.85:                               ;   in Loop: Header=BB643_17 Depth=1
	v_bfe_u32 v23, v28, 24, 7
	v_cmp_ne_u32_e32 vcc, s14, v23
	v_mov_b32_e32 v44, 0x7f800001
	s_and_saveexec_b64 s[10:11], vcc
	s_cbranch_execz .LBB643_87
; %bb.86:                               ;   in Loop: Header=BB643_17 Depth=1
	v_and_b32_e32 v28, 7, v30
	v_ffbh_u32_e32 v52, v28
	v_min_u32_e32 v54, 32, v52
	v_subrev_u32_e32 v52, 28, v54
	v_lshlrev_b64 v[52:53], v52, v[30:31]
	v_lshrrev_b32_e32 v44, 3, v23
	v_sub_u32_e32 v53, 29, v54
	v_and_b32_e32 v52, 7, v52
	v_cmp_gt_u32_e32 vcc, 8, v23
	v_cndmask_b32_e32 v23, v44, v53, vcc
	v_cndmask_b32_e32 v28, v28, v52, vcc
	v_lshlrev_b32_e32 v30, 24, v30
	v_lshlrev_b32_e32 v28, 20, v28
	v_and_b32_e32 v30, 0x80000000, v30
	v_lshl_add_u32 v23, v23, 23, v38
	v_or3_b32 v44, v30, v23, v28
.LBB643_87:                             ;   in Loop: Header=BB643_17 Depth=1
	s_or_b64 exec, exec, s[10:11]
.LBB643_88:                             ;   in Loop: Header=BB643_17 Depth=1
	s_or_b64 exec, exec, s[6:7]
.LBB643_89:                             ;   in Loop: Header=BB643_17 Depth=1
	s_or_b64 exec, exec, s[4:5]
	s_waitcnt vmcnt(0)
	v_cmp_ne_u16_sdwa s[6:7], v26, v35 src0_sel:BYTE_0 src1_sel:DWORD
	s_and_saveexec_b64 s[4:5], s[6:7]
	s_cbranch_execz .LBB643_95
; %bb.90:                               ;   in Loop: Header=BB643_17 Depth=1
	v_cmp_ne_u16_sdwa s[10:11], v26, s13 src0_sel:BYTE_0 src1_sel:DWORD
	v_bfrev_b32_e32 v42, 1
	s_and_saveexec_b64 s[6:7], s[10:11]
	s_cbranch_execz .LBB643_94
; %bb.91:                               ;   in Loop: Header=BB643_17 Depth=1
	v_and_b32_e32 v23, 0x7f, v26
	v_cmp_ne_u32_e32 vcc, s14, v23
	v_mov_b32_e32 v42, 0x7f800001
	s_and_saveexec_b64 s[10:11], vcc
	s_cbranch_execz .LBB643_93
; %bb.92:                               ;   in Loop: Header=BB643_17 Depth=1
	v_and_b32_e32 v28, 7, v26
	v_ffbh_u32_e32 v42, v28
	v_min_u32_e32 v42, 32, v42
	v_subrev_u32_e32 v52, 28, v42
	v_lshlrev_b64 v[52:53], v52, v[26:27]
	v_lshrrev_b32_e32 v30, 3, v23
	v_sub_u32_e32 v42, 29, v42
	v_and_b32_e32 v52, 7, v52
	v_cmp_gt_u32_e32 vcc, 8, v23
	v_cndmask_b32_e32 v23, v30, v42, vcc
	v_cndmask_b32_e32 v28, v28, v52, vcc
	v_lshlrev_b32_e32 v30, 24, v26
	v_lshlrev_b32_e32 v28, 20, v28
	v_and_b32_e32 v30, 0x80000000, v30
	v_lshl_add_u32 v23, v23, 23, v38
	v_or3_b32 v42, v30, v23, v28
.LBB643_93:                             ;   in Loop: Header=BB643_17 Depth=1
	s_or_b64 exec, exec, s[10:11]
.LBB643_94:                             ;   in Loop: Header=BB643_17 Depth=1
	s_or_b64 exec, exec, s[6:7]
.LBB643_95:                             ;   in Loop: Header=BB643_17 Depth=1
	s_or_b64 exec, exec, s[4:5]
	v_lshrrev_b16_e32 v28, 8, v26
	v_cmp_ne_u16_e32 vcc, 0, v28
	v_mov_b32_e32 v52, 0
	v_mov_b32_e32 v53, 0
	s_and_saveexec_b64 s[4:5], vcc
	s_cbranch_execz .LBB643_101
; %bb.96:                               ;   in Loop: Header=BB643_17 Depth=1
	v_cmp_ne_u16_e32 vcc, s13, v28
	v_bfrev_b32_e32 v53, 1
	s_and_saveexec_b64 s[6:7], vcc
	s_cbranch_execz .LBB643_100
; %bb.97:                               ;   in Loop: Header=BB643_17 Depth=1
	v_and_b32_e32 v23, 0x7f, v28
	v_cmp_ne_u32_e32 vcc, s14, v23
	v_mov_b32_e32 v53, 0x7f800001
	s_and_saveexec_b64 s[10:11], vcc
	s_cbranch_execz .LBB643_99
; %bb.98:                               ;   in Loop: Header=BB643_17 Depth=1
	v_and_b32_e32 v30, 7, v28
	v_ffbh_u32_e32 v54, v30
	v_min_u32_e32 v56, 32, v54
	v_subrev_u32_e32 v54, 28, v56
	v_lshlrev_b64 v[54:55], v54, v[28:29]
	v_lshrrev_b32_e32 v53, 3, v23
	v_sub_u32_e32 v28, 29, v56
	v_and_b32_e32 v54, 7, v54
	v_cmp_gt_u32_e32 vcc, 8, v23
	v_cndmask_b32_e32 v23, v53, v28, vcc
	v_cndmask_b32_e32 v28, v30, v54, vcc
	v_lshlrev_b32_e32 v30, 16, v26
	v_lshlrev_b32_e32 v28, 20, v28
	v_and_b32_e32 v30, 0x80000000, v30
	v_lshl_add_u32 v23, v23, 23, v38
	v_or3_b32 v53, v30, v23, v28
.LBB643_99:                             ;   in Loop: Header=BB643_17 Depth=1
	s_or_b64 exec, exec, s[10:11]
.LBB643_100:                            ;   in Loop: Header=BB643_17 Depth=1
	s_or_b64 exec, exec, s[6:7]
.LBB643_101:                            ;   in Loop: Header=BB643_17 Depth=1
	s_or_b64 exec, exec, s[4:5]
	v_lshrrev_b32_e32 v28, 16, v26
	v_cmp_ne_u16_sdwa s[6:7], v28, v35 src0_sel:BYTE_0 src1_sel:DWORD
	s_and_saveexec_b64 s[4:5], s[6:7]
	s_cbranch_execz .LBB643_107
; %bb.102:                              ;   in Loop: Header=BB643_17 Depth=1
	v_cmp_ne_u16_sdwa s[10:11], v28, s13 src0_sel:BYTE_0 src1_sel:DWORD
	v_bfrev_b32_e32 v52, 1
	s_and_saveexec_b64 s[6:7], s[10:11]
	s_cbranch_execz .LBB643_106
; %bb.103:                              ;   in Loop: Header=BB643_17 Depth=1
	v_bfe_u32 v23, v26, 16, 7
	v_cmp_ne_u32_e32 vcc, s14, v23
	v_mov_b32_e32 v52, 0x7f800001
	s_and_saveexec_b64 s[10:11], vcc
	s_cbranch_execz .LBB643_105
; %bb.104:                              ;   in Loop: Header=BB643_17 Depth=1
	v_and_b32_e32 v30, 7, v28
	v_ffbh_u32_e32 v54, v30
	v_min_u32_e32 v56, 32, v54
	v_subrev_u32_e32 v54, 28, v56
	v_lshlrev_b64 v[54:55], v54, v[28:29]
	v_lshrrev_b32_e32 v52, 3, v23
	v_sub_u32_e32 v55, 29, v56
	v_and_b32_e32 v54, 7, v54
	v_cmp_gt_u32_e32 vcc, 8, v23
	v_cndmask_b32_e32 v23, v52, v55, vcc
	v_cndmask_b32_e32 v30, v30, v54, vcc
	v_lshlrev_b32_e32 v28, 24, v28
	v_lshlrev_b32_e32 v30, 20, v30
	v_and_b32_e32 v28, 0x80000000, v28
	v_lshl_add_u32 v23, v23, 23, v38
	v_or3_b32 v52, v28, v23, v30
.LBB643_105:                            ;   in Loop: Header=BB643_17 Depth=1
	s_or_b64 exec, exec, s[10:11]
.LBB643_106:                            ;   in Loop: Header=BB643_17 Depth=1
	s_or_b64 exec, exec, s[6:7]
.LBB643_107:                            ;   in Loop: Header=BB643_17 Depth=1
	s_or_b64 exec, exec, s[4:5]
	v_cmp_lt_u32_e32 vcc, s15, v26
	v_mov_b32_e32 v23, 0
	v_mov_b32_e32 v54, 0
	s_and_saveexec_b64 s[4:5], vcc
	s_cbranch_execz .LBB643_113
; %bb.108:                              ;   in Loop: Header=BB643_17 Depth=1
	v_lshrrev_b32_e32 v28, 24, v26
	v_cmp_ne_u32_e32 vcc, s13, v28
	v_bfrev_b32_e32 v54, 1
	s_and_saveexec_b64 s[6:7], vcc
	s_cbranch_execz .LBB643_112
; %bb.109:                              ;   in Loop: Header=BB643_17 Depth=1
	v_bfe_u32 v26, v26, 24, 7
	v_cmp_ne_u32_e32 vcc, s14, v26
	v_mov_b32_e32 v54, 0x7f800001
	s_and_saveexec_b64 s[10:11], vcc
	s_cbranch_execz .LBB643_111
; %bb.110:                              ;   in Loop: Header=BB643_17 Depth=1
	v_and_b32_e32 v30, 7, v28
	v_ffbh_u32_e32 v54, v30
	v_min_u32_e32 v57, 32, v54
	v_subrev_u32_e32 v54, 28, v57
	v_lshlrev_b64 v[54:55], v54, v[28:29]
	v_lshrrev_b32_e32 v56, 3, v26
	v_sub_u32_e32 v55, 29, v57
	v_and_b32_e32 v54, 7, v54
	v_cmp_gt_u32_e32 vcc, 8, v26
	v_cndmask_b32_e32 v26, v56, v55, vcc
	v_cndmask_b32_e32 v30, v30, v54, vcc
	v_lshlrev_b32_e32 v28, 24, v28
	v_lshlrev_b32_e32 v30, 20, v30
	v_and_b32_e32 v28, 0x80000000, v28
	v_lshl_add_u32 v26, v26, 23, v38
	v_or3_b32 v54, v28, v26, v30
.LBB643_111:                            ;   in Loop: Header=BB643_17 Depth=1
	s_or_b64 exec, exec, s[10:11]
.LBB643_112:                            ;   in Loop: Header=BB643_17 Depth=1
	s_or_b64 exec, exec, s[6:7]
.LBB643_113:                            ;   in Loop: Header=BB643_17 Depth=1
	s_or_b64 exec, exec, s[4:5]
	v_cvt_pkrtz_f16_f32 v57, v32, v44
	buffer_load_dword v32, v36, s[0:3], 0 offen offset:16
	buffer_load_dword v30, v36, s[0:3], 0 offen offset:20
	;; [unrolled: 1-line block ×4, first 2 shown]
	v_cvt_pkrtz_f16_f32 v56, v34, v40
	s_waitcnt vmcnt(3)
	v_cmp_ne_u16_sdwa s[6:7], v32, v35 src0_sel:BYTE_0 src1_sel:DWORD
	v_mfma_f32_16x16x16f16 v[18:21], v[56:57], v[6:7], v[18:21]
	v_cvt_pkrtz_f16_f32 v56, v42, v53
	v_cvt_pkrtz_f16_f32 v57, v52, v54
	s_nop 1
	v_mfma_f32_16x16x16f16 v[18:21], v[56:57], v[8:9], v[18:21]
	s_and_saveexec_b64 s[4:5], s[6:7]
	s_cbranch_execz .LBB643_119
; %bb.114:                              ;   in Loop: Header=BB643_17 Depth=1
	v_cmp_ne_u16_sdwa s[10:11], v32, s13 src0_sel:BYTE_0 src1_sel:DWORD
	v_bfrev_b32_e32 v23, 1
	s_and_saveexec_b64 s[6:7], s[10:11]
	s_cbranch_execz .LBB643_118
; %bb.115:                              ;   in Loop: Header=BB643_17 Depth=1
	v_and_b32_e32 v34, 0x7f, v32
	v_cmp_ne_u32_e32 vcc, s14, v34
	v_mov_b32_e32 v23, 0x7f800001
	s_and_saveexec_b64 s[10:11], vcc
	s_cbranch_execz .LBB643_117
; %bb.116:                              ;   in Loop: Header=BB643_17 Depth=1
	v_and_b32_e32 v23, 7, v32
	v_ffbh_u32_e32 v42, v23
	v_min_u32_e32 v42, 32, v42
	v_subrev_u32_e32 v44, 28, v42
	v_lshlrev_b64 v[52:53], v44, v[32:33]
	v_lshrrev_b32_e32 v40, 3, v34
	v_sub_u32_e32 v42, 29, v42
	v_and_b32_e32 v44, 7, v52
	v_cmp_gt_u32_e32 vcc, 8, v34
	v_cndmask_b32_e32 v34, v40, v42, vcc
	v_cndmask_b32_e32 v23, v23, v44, vcc
	v_lshlrev_b32_e32 v40, 24, v32
	v_lshlrev_b32_e32 v23, 20, v23
	v_and_b32_e32 v40, 0x80000000, v40
	v_lshl_add_u32 v34, v34, 23, v38
	v_or3_b32 v23, v40, v34, v23
.LBB643_117:                            ;   in Loop: Header=BB643_17 Depth=1
	s_or_b64 exec, exec, s[10:11]
.LBB643_118:                            ;   in Loop: Header=BB643_17 Depth=1
	s_or_b64 exec, exec, s[6:7]
.LBB643_119:                            ;   in Loop: Header=BB643_17 Depth=1
	s_or_b64 exec, exec, s[4:5]
	v_lshrrev_b16_e32 v34, 8, v32
	v_cmp_ne_u16_e32 vcc, 0, v34
	v_mov_b32_e32 v40, 0
	v_mov_b32_e32 v42, 0
	s_and_saveexec_b64 s[4:5], vcc
	s_cbranch_execz .LBB643_125
; %bb.120:                              ;   in Loop: Header=BB643_17 Depth=1
	v_cmp_ne_u16_e32 vcc, s13, v34
	v_bfrev_b32_e32 v42, 1
	s_and_saveexec_b64 s[6:7], vcc
	s_cbranch_execz .LBB643_124
; %bb.121:                              ;   in Loop: Header=BB643_17 Depth=1
	v_and_b32_e32 v44, 0x7f, v34
	v_cmp_ne_u32_e32 vcc, s14, v44
	v_mov_b32_e32 v42, 0x7f800001
	s_and_saveexec_b64 s[10:11], vcc
	s_cbranch_execz .LBB643_123
; %bb.122:                              ;   in Loop: Header=BB643_17 Depth=1
	v_and_b32_e32 v42, 7, v34
	v_ffbh_u32_e32 v52, v42
	v_min_u32_e32 v55, 32, v52
	v_subrev_u32_e32 v52, 28, v55
	v_lshlrev_b64 v[52:53], v52, v[34:35]
	v_lshrrev_b32_e32 v54, 3, v44
	v_sub_u32_e32 v34, 29, v55
	v_and_b32_e32 v52, 7, v52
	v_cmp_gt_u32_e32 vcc, 8, v44
	v_cndmask_b32_e32 v34, v54, v34, vcc
	v_cndmask_b32_e32 v42, v42, v52, vcc
	v_lshlrev_b32_e32 v44, 16, v32
	v_lshlrev_b32_e32 v42, 20, v42
	v_and_b32_e32 v44, 0x80000000, v44
	v_lshl_add_u32 v34, v34, 23, v38
	v_or3_b32 v42, v44, v34, v42
.LBB643_123:                            ;   in Loop: Header=BB643_17 Depth=1
	s_or_b64 exec, exec, s[10:11]
.LBB643_124:                            ;   in Loop: Header=BB643_17 Depth=1
	s_or_b64 exec, exec, s[6:7]
.LBB643_125:                            ;   in Loop: Header=BB643_17 Depth=1
	s_or_b64 exec, exec, s[4:5]
	v_lshrrev_b32_e32 v34, 16, v32
	v_cmp_ne_u16_sdwa s[6:7], v34, v35 src0_sel:BYTE_0 src1_sel:DWORD
	s_and_saveexec_b64 s[4:5], s[6:7]
	s_cbranch_execz .LBB643_131
; %bb.126:                              ;   in Loop: Header=BB643_17 Depth=1
	v_cmp_ne_u16_sdwa s[10:11], v34, s13 src0_sel:BYTE_0 src1_sel:DWORD
	v_bfrev_b32_e32 v40, 1
	s_and_saveexec_b64 s[6:7], s[10:11]
	s_cbranch_execz .LBB643_130
; %bb.127:                              ;   in Loop: Header=BB643_17 Depth=1
	v_bfe_u32 v44, v32, 16, 7
	v_cmp_ne_u32_e32 vcc, s14, v44
	v_mov_b32_e32 v40, 0x7f800001
	s_and_saveexec_b64 s[10:11], vcc
	s_cbranch_execz .LBB643_129
; %bb.128:                              ;   in Loop: Header=BB643_17 Depth=1
	v_and_b32_e32 v40, 7, v34
	v_ffbh_u32_e32 v52, v40
	v_min_u32_e32 v55, 32, v52
	v_subrev_u32_e32 v52, 28, v55
	v_lshlrev_b64 v[52:53], v52, v[34:35]
	v_lshrrev_b32_e32 v54, 3, v44
	v_sub_u32_e32 v53, 29, v55
	v_and_b32_e32 v52, 7, v52
	v_cmp_gt_u32_e32 vcc, 8, v44
	v_cndmask_b32_e32 v44, v54, v53, vcc
	v_cndmask_b32_e32 v40, v40, v52, vcc
	v_lshlrev_b32_e32 v34, 24, v34
	v_lshlrev_b32_e32 v40, 20, v40
	v_and_b32_e32 v34, 0x80000000, v34
	v_lshl_add_u32 v44, v44, 23, v38
	v_or3_b32 v40, v34, v44, v40
.LBB643_129:                            ;   in Loop: Header=BB643_17 Depth=1
	s_or_b64 exec, exec, s[10:11]
.LBB643_130:                            ;   in Loop: Header=BB643_17 Depth=1
	s_or_b64 exec, exec, s[6:7]
.LBB643_131:                            ;   in Loop: Header=BB643_17 Depth=1
	s_or_b64 exec, exec, s[4:5]
	v_cmp_lt_u32_e32 vcc, s15, v32
	v_mov_b32_e32 v44, 0
	v_mov_b32_e32 v52, 0
	s_and_saveexec_b64 s[4:5], vcc
	s_cbranch_execz .LBB643_137
; %bb.132:                              ;   in Loop: Header=BB643_17 Depth=1
	v_lshrrev_b32_e32 v34, 24, v32
	v_cmp_ne_u32_e32 vcc, s13, v34
	v_bfrev_b32_e32 v52, 1
	s_and_saveexec_b64 s[6:7], vcc
	s_cbranch_execz .LBB643_136
; %bb.133:                              ;   in Loop: Header=BB643_17 Depth=1
	v_bfe_u32 v32, v32, 24, 7
	v_cmp_ne_u32_e32 vcc, s14, v32
	v_mov_b32_e32 v52, 0x7f800001
	s_and_saveexec_b64 s[10:11], vcc
	s_cbranch_execz .LBB643_135
; %bb.134:                              ;   in Loop: Header=BB643_17 Depth=1
	v_and_b32_e32 v54, 7, v34
	v_ffbh_u32_e32 v52, v54
	v_min_u32_e32 v56, 32, v52
	v_subrev_u32_e32 v52, 28, v56
	v_lshlrev_b64 v[52:53], v52, v[34:35]
	v_lshrrev_b32_e32 v55, 3, v32
	v_sub_u32_e32 v53, 29, v56
	v_and_b32_e32 v52, 7, v52
	v_cmp_gt_u32_e32 vcc, 8, v32
	v_cndmask_b32_e32 v32, v55, v53, vcc
	v_cndmask_b32_e32 v52, v54, v52, vcc
	v_lshlrev_b32_e32 v34, 24, v34
	v_lshlrev_b32_e32 v52, 20, v52
	v_and_b32_e32 v34, 0x80000000, v34
	v_lshl_add_u32 v32, v32, 23, v38
	v_or3_b32 v52, v34, v32, v52
.LBB643_135:                            ;   in Loop: Header=BB643_17 Depth=1
	s_or_b64 exec, exec, s[10:11]
.LBB643_136:                            ;   in Loop: Header=BB643_17 Depth=1
	s_or_b64 exec, exec, s[6:7]
.LBB643_137:                            ;   in Loop: Header=BB643_17 Depth=1
	s_or_b64 exec, exec, s[4:5]
	s_waitcnt vmcnt(2)
	v_cmp_ne_u16_sdwa s[6:7], v30, v35 src0_sel:BYTE_0 src1_sel:DWORD
	s_and_saveexec_b64 s[4:5], s[6:7]
	s_cbranch_execz .LBB643_143
; %bb.138:                              ;   in Loop: Header=BB643_17 Depth=1
	v_cmp_ne_u16_sdwa s[10:11], v30, s13 src0_sel:BYTE_0 src1_sel:DWORD
	v_bfrev_b32_e32 v44, 1
	s_and_saveexec_b64 s[6:7], s[10:11]
	s_cbranch_execz .LBB643_142
; %bb.139:                              ;   in Loop: Header=BB643_17 Depth=1
	v_and_b32_e32 v32, 0x7f, v30
	v_cmp_ne_u32_e32 vcc, s14, v32
	v_mov_b32_e32 v44, 0x7f800001
	s_and_saveexec_b64 s[10:11], vcc
	s_cbranch_execz .LBB643_141
; %bb.140:                              ;   in Loop: Header=BB643_17 Depth=1
	v_and_b32_e32 v34, 7, v30
	v_ffbh_u32_e32 v53, v34
	v_min_u32_e32 v53, 32, v53
	v_subrev_u32_e32 v54, 28, v53
	v_lshlrev_b64 v[54:55], v54, v[30:31]
	v_lshrrev_b32_e32 v44, 3, v32
	v_sub_u32_e32 v53, 29, v53
	v_and_b32_e32 v54, 7, v54
	v_cmp_gt_u32_e32 vcc, 8, v32
	v_cndmask_b32_e32 v32, v44, v53, vcc
	v_cndmask_b32_e32 v34, v34, v54, vcc
	v_lshlrev_b32_e32 v44, 24, v30
	v_lshlrev_b32_e32 v34, 20, v34
	v_and_b32_e32 v44, 0x80000000, v44
	v_lshl_add_u32 v32, v32, 23, v38
	v_or3_b32 v44, v44, v32, v34
.LBB643_141:                            ;   in Loop: Header=BB643_17 Depth=1
	s_or_b64 exec, exec, s[10:11]
.LBB643_142:                            ;   in Loop: Header=BB643_17 Depth=1
	s_or_b64 exec, exec, s[6:7]
.LBB643_143:                            ;   in Loop: Header=BB643_17 Depth=1
	s_or_b64 exec, exec, s[4:5]
	v_lshrrev_b16_e32 v32, 8, v30
	v_cmp_ne_u16_e32 vcc, 0, v32
	v_mov_b32_e32 v53, 0
	v_mov_b32_e32 v54, 0
	s_and_saveexec_b64 s[4:5], vcc
	s_cbranch_execz .LBB643_149
; %bb.144:                              ;   in Loop: Header=BB643_17 Depth=1
	v_cmp_ne_u16_e32 vcc, s13, v32
	v_bfrev_b32_e32 v54, 1
	s_and_saveexec_b64 s[6:7], vcc
	s_cbranch_execz .LBB643_148
; %bb.145:                              ;   in Loop: Header=BB643_17 Depth=1
	v_and_b32_e32 v34, 0x7f, v32
	v_cmp_ne_u32_e32 vcc, s14, v34
	v_mov_b32_e32 v54, 0x7f800001
	s_and_saveexec_b64 s[10:11], vcc
	s_cbranch_execz .LBB643_147
; %bb.146:                              ;   in Loop: Header=BB643_17 Depth=1
	v_and_b32_e32 v56, 7, v32
	v_ffbh_u32_e32 v54, v56
	v_min_u32_e32 v58, 32, v54
	v_subrev_u32_e32 v54, 28, v58
	v_lshlrev_b64 v[54:55], v54, v[32:33]
	v_lshrrev_b32_e32 v57, 3, v34
	v_sub_u32_e32 v32, 29, v58
	v_and_b32_e32 v54, 7, v54
	v_cmp_gt_u32_e32 vcc, 8, v34
	v_cndmask_b32_e32 v32, v57, v32, vcc
	v_cndmask_b32_e32 v34, v56, v54, vcc
	v_lshlrev_b32_e32 v54, 16, v30
	v_lshlrev_b32_e32 v34, 20, v34
	v_and_b32_e32 v54, 0x80000000, v54
	v_lshl_add_u32 v32, v32, 23, v38
	v_or3_b32 v54, v54, v32, v34
.LBB643_147:                            ;   in Loop: Header=BB643_17 Depth=1
	s_or_b64 exec, exec, s[10:11]
.LBB643_148:                            ;   in Loop: Header=BB643_17 Depth=1
	s_or_b64 exec, exec, s[6:7]
.LBB643_149:                            ;   in Loop: Header=BB643_17 Depth=1
	s_or_b64 exec, exec, s[4:5]
	v_lshrrev_b32_e32 v32, 16, v30
	v_cmp_ne_u16_sdwa s[6:7], v32, v35 src0_sel:BYTE_0 src1_sel:DWORD
	s_and_saveexec_b64 s[4:5], s[6:7]
	s_cbranch_execz .LBB643_155
; %bb.150:                              ;   in Loop: Header=BB643_17 Depth=1
	v_cmp_ne_u16_sdwa s[10:11], v32, s13 src0_sel:BYTE_0 src1_sel:DWORD
	v_bfrev_b32_e32 v53, 1
	s_and_saveexec_b64 s[6:7], s[10:11]
	s_cbranch_execz .LBB643_154
; %bb.151:                              ;   in Loop: Header=BB643_17 Depth=1
	v_bfe_u32 v34, v30, 16, 7
	v_cmp_ne_u32_e32 vcc, s14, v34
	v_mov_b32_e32 v53, 0x7f800001
	s_and_saveexec_b64 s[10:11], vcc
	s_cbranch_execz .LBB643_153
; %bb.152:                              ;   in Loop: Header=BB643_17 Depth=1
	v_and_b32_e32 v53, 7, v32
	v_ffbh_u32_e32 v56, v53
	v_min_u32_e32 v58, 32, v56
	v_subrev_u32_e32 v56, 28, v58
	v_lshlrev_b64 v[56:57], v56, v[32:33]
	v_lshrrev_b32_e32 v55, 3, v34
	v_sub_u32_e32 v57, 29, v58
	v_and_b32_e32 v56, 7, v56
	v_cmp_gt_u32_e32 vcc, 8, v34
	v_cndmask_b32_e32 v34, v55, v57, vcc
	v_cndmask_b32_e32 v53, v53, v56, vcc
	v_lshlrev_b32_e32 v32, 24, v32
	v_lshlrev_b32_e32 v53, 20, v53
	v_and_b32_e32 v32, 0x80000000, v32
	v_lshl_add_u32 v34, v34, 23, v38
	v_or3_b32 v53, v32, v34, v53
.LBB643_153:                            ;   in Loop: Header=BB643_17 Depth=1
	s_or_b64 exec, exec, s[10:11]
.LBB643_154:                            ;   in Loop: Header=BB643_17 Depth=1
	s_or_b64 exec, exec, s[6:7]
.LBB643_155:                            ;   in Loop: Header=BB643_17 Depth=1
	s_or_b64 exec, exec, s[4:5]
	v_cmp_lt_u32_e32 vcc, s15, v30
	v_mov_b32_e32 v34, 0
	v_mov_b32_e32 v55, 0
	s_and_saveexec_b64 s[4:5], vcc
	s_cbranch_execz .LBB643_161
; %bb.156:                              ;   in Loop: Header=BB643_17 Depth=1
	v_lshrrev_b32_e32 v32, 24, v30
	v_cmp_ne_u32_e32 vcc, s13, v32
	v_bfrev_b32_e32 v55, 1
	s_and_saveexec_b64 s[6:7], vcc
	s_cbranch_execz .LBB643_160
; %bb.157:                              ;   in Loop: Header=BB643_17 Depth=1
	v_bfe_u32 v30, v30, 24, 7
	v_cmp_ne_u32_e32 vcc, s14, v30
	v_mov_b32_e32 v55, 0x7f800001
	s_and_saveexec_b64 s[10:11], vcc
	s_cbranch_execz .LBB643_159
; %bb.158:                              ;   in Loop: Header=BB643_17 Depth=1
	v_and_b32_e32 v55, 7, v32
	v_ffbh_u32_e32 v56, v55
	v_min_u32_e32 v59, 32, v56
	v_subrev_u32_e32 v56, 28, v59
	v_lshlrev_b64 v[56:57], v56, v[32:33]
	v_lshrrev_b32_e32 v58, 3, v30
	v_sub_u32_e32 v57, 29, v59
	v_and_b32_e32 v56, 7, v56
	v_cmp_gt_u32_e32 vcc, 8, v30
	v_cndmask_b32_e32 v30, v58, v57, vcc
	v_cndmask_b32_e32 v55, v55, v56, vcc
	v_lshlrev_b32_e32 v32, 24, v32
	v_lshlrev_b32_e32 v55, 20, v55
	v_and_b32_e32 v32, 0x80000000, v32
	v_lshl_add_u32 v30, v30, 23, v38
	v_or3_b32 v55, v32, v30, v55
.LBB643_159:                            ;   in Loop: Header=BB643_17 Depth=1
	s_or_b64 exec, exec, s[10:11]
.LBB643_160:                            ;   in Loop: Header=BB643_17 Depth=1
	s_or_b64 exec, exec, s[6:7]
.LBB643_161:                            ;   in Loop: Header=BB643_17 Depth=1
	s_or_b64 exec, exec, s[4:5]
	v_cvt_pkrtz_f16_f32 v56, v23, v42
	v_cvt_pkrtz_f16_f32 v57, v40, v52
	;; [unrolled: 1-line block ×4, first 2 shown]
	s_waitcnt vmcnt(1)
	v_cmp_ne_u16_sdwa s[6:7], v28, v35 src0_sel:BYTE_0 src1_sel:DWORD
	v_mfma_f32_16x16x16f16 v[18:21], v[56:57], v[10:11], v[18:21]
	v_mfma_f32_16x16x16f16 v[18:21], v[52:53], v[12:13], v[18:21]
	s_and_saveexec_b64 s[4:5], s[6:7]
	s_cbranch_execz .LBB643_167
; %bb.162:                              ;   in Loop: Header=BB643_17 Depth=1
	v_cmp_ne_u16_sdwa s[10:11], v28, s13 src0_sel:BYTE_0 src1_sel:DWORD
	v_bfrev_b32_e32 v34, 1
	s_and_saveexec_b64 s[6:7], s[10:11]
	s_cbranch_execz .LBB643_166
; %bb.163:                              ;   in Loop: Header=BB643_17 Depth=1
	v_and_b32_e32 v23, 0x7f, v28
	v_cmp_ne_u32_e32 vcc, s14, v23
	v_mov_b32_e32 v34, 0x7f800001
	s_and_saveexec_b64 s[10:11], vcc
	s_cbranch_execz .LBB643_165
; %bb.164:                              ;   in Loop: Header=BB643_17 Depth=1
	v_and_b32_e32 v30, 7, v28
	v_ffbh_u32_e32 v34, v30
	v_min_u32_e32 v34, 32, v34
	v_subrev_u32_e32 v40, 28, v34
	v_lshlrev_b64 v[52:53], v40, v[28:29]
	v_lshrrev_b32_e32 v32, 3, v23
	v_sub_u32_e32 v34, 29, v34
	v_and_b32_e32 v40, 7, v52
	v_cmp_gt_u32_e32 vcc, 8, v23
	v_cndmask_b32_e32 v23, v32, v34, vcc
	v_cndmask_b32_e32 v30, v30, v40, vcc
	v_lshlrev_b32_e32 v32, 24, v28
	v_lshlrev_b32_e32 v30, 20, v30
	v_and_b32_e32 v32, 0x80000000, v32
	v_lshl_add_u32 v23, v23, 23, v38
	v_or3_b32 v34, v32, v23, v30
.LBB643_165:                            ;   in Loop: Header=BB643_17 Depth=1
	s_or_b64 exec, exec, s[10:11]
.LBB643_166:                            ;   in Loop: Header=BB643_17 Depth=1
	s_or_b64 exec, exec, s[6:7]
.LBB643_167:                            ;   in Loop: Header=BB643_17 Depth=1
	s_or_b64 exec, exec, s[4:5]
	v_lshrrev_b16_e32 v30, 8, v28
	v_cmp_ne_u16_e32 vcc, 0, v30
	v_mov_b32_e32 v23, 0
	v_mov_b32_e32 v32, 0
	s_and_saveexec_b64 s[4:5], vcc
	s_cbranch_execz .LBB643_173
; %bb.168:                              ;   in Loop: Header=BB643_17 Depth=1
	v_cmp_ne_u16_e32 vcc, s13, v30
	v_bfrev_b32_e32 v32, 1
	s_and_saveexec_b64 s[6:7], vcc
	s_cbranch_execz .LBB643_172
; %bb.169:                              ;   in Loop: Header=BB643_17 Depth=1
	v_and_b32_e32 v40, 0x7f, v30
	v_cmp_ne_u32_e32 vcc, s14, v40
	v_mov_b32_e32 v32, 0x7f800001
	s_and_saveexec_b64 s[10:11], vcc
	s_cbranch_execz .LBB643_171
; %bb.170:                              ;   in Loop: Header=BB643_17 Depth=1
	v_and_b32_e32 v32, 7, v30
	v_ffbh_u32_e32 v44, v32
	v_min_u32_e32 v44, 32, v44
	v_subrev_u32_e32 v52, 28, v44
	v_lshlrev_b64 v[52:53], v52, v[30:31]
	v_lshrrev_b32_e32 v42, 3, v40
	v_sub_u32_e32 v30, 29, v44
	v_and_b32_e32 v44, 7, v52
	v_cmp_gt_u32_e32 vcc, 8, v40
	v_cndmask_b32_e32 v30, v42, v30, vcc
	v_cndmask_b32_e32 v32, v32, v44, vcc
	v_lshlrev_b32_e32 v40, 16, v28
	v_lshlrev_b32_e32 v32, 20, v32
	v_and_b32_e32 v40, 0x80000000, v40
	v_lshl_add_u32 v30, v30, 23, v38
	v_or3_b32 v32, v40, v30, v32
.LBB643_171:                            ;   in Loop: Header=BB643_17 Depth=1
	s_or_b64 exec, exec, s[10:11]
.LBB643_172:                            ;   in Loop: Header=BB643_17 Depth=1
	s_or_b64 exec, exec, s[6:7]
.LBB643_173:                            ;   in Loop: Header=BB643_17 Depth=1
	s_or_b64 exec, exec, s[4:5]
	v_lshrrev_b32_e32 v30, 16, v28
	v_cmp_ne_u16_sdwa s[6:7], v30, v35 src0_sel:BYTE_0 src1_sel:DWORD
	s_and_saveexec_b64 s[4:5], s[6:7]
	s_cbranch_execz .LBB643_179
; %bb.174:                              ;   in Loop: Header=BB643_17 Depth=1
	v_cmp_ne_u16_sdwa s[10:11], v30, s13 src0_sel:BYTE_0 src1_sel:DWORD
	v_bfrev_b32_e32 v23, 1
	s_and_saveexec_b64 s[6:7], s[10:11]
	s_cbranch_execz .LBB643_178
; %bb.175:                              ;   in Loop: Header=BB643_17 Depth=1
	v_bfe_u32 v40, v28, 16, 7
	v_cmp_ne_u32_e32 vcc, s14, v40
	v_mov_b32_e32 v23, 0x7f800001
	s_and_saveexec_b64 s[10:11], vcc
	s_cbranch_execz .LBB643_177
; %bb.176:                              ;   in Loop: Header=BB643_17 Depth=1
	v_and_b32_e32 v23, 7, v30
	v_ffbh_u32_e32 v44, v23
	v_min_u32_e32 v44, 32, v44
	v_subrev_u32_e32 v52, 28, v44
	v_lshlrev_b64 v[52:53], v52, v[30:31]
	v_lshrrev_b32_e32 v42, 3, v40
	v_sub_u32_e32 v44, 29, v44
	v_and_b32_e32 v52, 7, v52
	v_cmp_gt_u32_e32 vcc, 8, v40
	v_cndmask_b32_e32 v40, v42, v44, vcc
	v_cndmask_b32_e32 v23, v23, v52, vcc
	v_lshlrev_b32_e32 v30, 24, v30
	v_lshlrev_b32_e32 v23, 20, v23
	v_and_b32_e32 v30, 0x80000000, v30
	v_lshl_add_u32 v40, v40, 23, v38
	v_or3_b32 v23, v30, v40, v23
.LBB643_177:                            ;   in Loop: Header=BB643_17 Depth=1
	s_or_b64 exec, exec, s[10:11]
.LBB643_178:                            ;   in Loop: Header=BB643_17 Depth=1
	s_or_b64 exec, exec, s[6:7]
.LBB643_179:                            ;   in Loop: Header=BB643_17 Depth=1
	s_or_b64 exec, exec, s[4:5]
	v_cmp_lt_u32_e32 vcc, s15, v28
	v_mov_b32_e32 v40, 0
	v_mov_b32_e32 v42, 0
	s_and_saveexec_b64 s[4:5], vcc
	s_cbranch_execz .LBB643_185
; %bb.180:                              ;   in Loop: Header=BB643_17 Depth=1
	v_lshrrev_b32_e32 v30, 24, v28
	v_cmp_ne_u32_e32 vcc, s13, v30
	v_bfrev_b32_e32 v42, 1
	s_and_saveexec_b64 s[6:7], vcc
	s_cbranch_execz .LBB643_184
; %bb.181:                              ;   in Loop: Header=BB643_17 Depth=1
	v_bfe_u32 v28, v28, 24, 7
	v_cmp_ne_u32_e32 vcc, s14, v28
	v_mov_b32_e32 v42, 0x7f800001
	s_and_saveexec_b64 s[10:11], vcc
	s_cbranch_execz .LBB643_183
; %bb.182:                              ;   in Loop: Header=BB643_17 Depth=1
	v_and_b32_e32 v42, 7, v30
	v_ffbh_u32_e32 v52, v42
	v_min_u32_e32 v54, 32, v52
	v_subrev_u32_e32 v52, 28, v54
	v_lshlrev_b64 v[52:53], v52, v[30:31]
	v_lshrrev_b32_e32 v44, 3, v28
	v_sub_u32_e32 v53, 29, v54
	v_and_b32_e32 v52, 7, v52
	v_cmp_gt_u32_e32 vcc, 8, v28
	v_cndmask_b32_e32 v28, v44, v53, vcc
	v_cndmask_b32_e32 v42, v42, v52, vcc
	v_lshlrev_b32_e32 v30, 24, v30
	v_lshlrev_b32_e32 v42, 20, v42
	v_and_b32_e32 v30, 0x80000000, v30
	v_lshl_add_u32 v28, v28, 23, v38
	v_or3_b32 v42, v30, v28, v42
.LBB643_183:                            ;   in Loop: Header=BB643_17 Depth=1
	s_or_b64 exec, exec, s[10:11]
.LBB643_184:                            ;   in Loop: Header=BB643_17 Depth=1
	s_or_b64 exec, exec, s[6:7]
.LBB643_185:                            ;   in Loop: Header=BB643_17 Depth=1
	s_or_b64 exec, exec, s[4:5]
	s_waitcnt vmcnt(0)
	v_cmp_ne_u16_sdwa s[6:7], v26, v35 src0_sel:BYTE_0 src1_sel:DWORD
	s_and_saveexec_b64 s[4:5], s[6:7]
	s_cbranch_execz .LBB643_191
; %bb.186:                              ;   in Loop: Header=BB643_17 Depth=1
	v_cmp_ne_u16_sdwa s[10:11], v26, s13 src0_sel:BYTE_0 src1_sel:DWORD
	v_bfrev_b32_e32 v40, 1
	s_and_saveexec_b64 s[6:7], s[10:11]
	s_cbranch_execz .LBB643_190
; %bb.187:                              ;   in Loop: Header=BB643_17 Depth=1
	v_and_b32_e32 v28, 0x7f, v26
	v_cmp_ne_u32_e32 vcc, s14, v28
	v_mov_b32_e32 v40, 0x7f800001
	s_and_saveexec_b64 s[10:11], vcc
	s_cbranch_execz .LBB643_189
; %bb.188:                              ;   in Loop: Header=BB643_17 Depth=1
	v_and_b32_e32 v30, 7, v26
	v_ffbh_u32_e32 v44, v30
	v_min_u32_e32 v44, 32, v44
	v_subrev_u32_e32 v52, 28, v44
	v_lshlrev_b64 v[52:53], v52, v[26:27]
	v_lshrrev_b32_e32 v40, 3, v28
	v_sub_u32_e32 v44, 29, v44
	v_and_b32_e32 v52, 7, v52
	v_cmp_gt_u32_e32 vcc, 8, v28
	v_cndmask_b32_e32 v28, v40, v44, vcc
	v_cndmask_b32_e32 v30, v30, v52, vcc
	v_lshlrev_b32_e32 v40, 24, v26
	v_lshlrev_b32_e32 v30, 20, v30
	v_and_b32_e32 v40, 0x80000000, v40
	v_lshl_add_u32 v28, v28, 23, v38
	v_or3_b32 v40, v40, v28, v30
.LBB643_189:                            ;   in Loop: Header=BB643_17 Depth=1
	s_or_b64 exec, exec, s[10:11]
.LBB643_190:                            ;   in Loop: Header=BB643_17 Depth=1
	s_or_b64 exec, exec, s[6:7]
.LBB643_191:                            ;   in Loop: Header=BB643_17 Depth=1
	s_or_b64 exec, exec, s[4:5]
	v_lshrrev_b16_e32 v28, 8, v26
	v_cmp_ne_u16_e32 vcc, 0, v28
	v_mov_b32_e32 v30, 0
	v_mov_b32_e32 v44, 0
	s_and_saveexec_b64 s[4:5], vcc
	s_cbranch_execz .LBB643_197
; %bb.192:                              ;   in Loop: Header=BB643_17 Depth=1
	v_cmp_ne_u16_e32 vcc, s13, v28
	v_bfrev_b32_e32 v44, 1
	s_and_saveexec_b64 s[6:7], vcc
	s_cbranch_execz .LBB643_196
; %bb.193:                              ;   in Loop: Header=BB643_17 Depth=1
	v_and_b32_e32 v52, 0x7f, v28
	v_cmp_ne_u32_e32 vcc, s14, v52
	v_mov_b32_e32 v44, 0x7f800001
	s_and_saveexec_b64 s[10:11], vcc
	s_cbranch_execz .LBB643_195
; %bb.194:                              ;   in Loop: Header=BB643_17 Depth=1
	v_and_b32_e32 v44, 7, v28
	v_ffbh_u32_e32 v54, v44
	v_min_u32_e32 v56, 32, v54
	v_subrev_u32_e32 v54, 28, v56
	v_lshlrev_b64 v[54:55], v54, v[28:29]
	v_lshrrev_b32_e32 v53, 3, v52
	v_sub_u32_e32 v28, 29, v56
	v_and_b32_e32 v54, 7, v54
	v_cmp_gt_u32_e32 vcc, 8, v52
	v_cndmask_b32_e32 v28, v53, v28, vcc
	v_cndmask_b32_e32 v44, v44, v54, vcc
	v_lshlrev_b32_e32 v52, 16, v26
	v_lshlrev_b32_e32 v44, 20, v44
	v_and_b32_e32 v52, 0x80000000, v52
	v_lshl_add_u32 v28, v28, 23, v38
	v_or3_b32 v44, v52, v28, v44
.LBB643_195:                            ;   in Loop: Header=BB643_17 Depth=1
	s_or_b64 exec, exec, s[10:11]
.LBB643_196:                            ;   in Loop: Header=BB643_17 Depth=1
	s_or_b64 exec, exec, s[6:7]
.LBB643_197:                            ;   in Loop: Header=BB643_17 Depth=1
	s_or_b64 exec, exec, s[4:5]
	v_lshrrev_b32_e32 v28, 16, v26
	v_cmp_ne_u16_sdwa s[6:7], v28, v35 src0_sel:BYTE_0 src1_sel:DWORD
	s_and_saveexec_b64 s[4:5], s[6:7]
	s_cbranch_execz .LBB643_203
; %bb.198:                              ;   in Loop: Header=BB643_17 Depth=1
	v_cmp_ne_u16_sdwa s[10:11], v28, s13 src0_sel:BYTE_0 src1_sel:DWORD
	v_bfrev_b32_e32 v30, 1
	s_and_saveexec_b64 s[6:7], s[10:11]
	s_cbranch_execz .LBB643_202
; %bb.199:                              ;   in Loop: Header=BB643_17 Depth=1
	v_bfe_u32 v52, v26, 16, 7
	v_cmp_ne_u32_e32 vcc, s14, v52
	v_mov_b32_e32 v30, 0x7f800001
	s_and_saveexec_b64 s[10:11], vcc
	s_cbranch_execz .LBB643_201
; %bb.200:                              ;   in Loop: Header=BB643_17 Depth=1
	v_and_b32_e32 v30, 7, v28
	v_ffbh_u32_e32 v54, v30
	v_min_u32_e32 v56, 32, v54
	v_subrev_u32_e32 v54, 28, v56
	v_lshlrev_b64 v[54:55], v54, v[28:29]
	v_lshrrev_b32_e32 v53, 3, v52
	v_sub_u32_e32 v55, 29, v56
	v_and_b32_e32 v54, 7, v54
	v_cmp_gt_u32_e32 vcc, 8, v52
	v_cndmask_b32_e32 v52, v53, v55, vcc
	v_cndmask_b32_e32 v30, v30, v54, vcc
	v_lshlrev_b32_e32 v28, 24, v28
	v_lshlrev_b32_e32 v30, 20, v30
	v_and_b32_e32 v28, 0x80000000, v28
	v_lshl_add_u32 v52, v52, 23, v38
	v_or3_b32 v30, v28, v52, v30
.LBB643_201:                            ;   in Loop: Header=BB643_17 Depth=1
	s_or_b64 exec, exec, s[10:11]
.LBB643_202:                            ;   in Loop: Header=BB643_17 Depth=1
	s_or_b64 exec, exec, s[6:7]
.LBB643_203:                            ;   in Loop: Header=BB643_17 Depth=1
	s_or_b64 exec, exec, s[4:5]
	v_cmp_lt_u32_e32 vcc, s15, v26
	v_mov_b32_e32 v52, 0
	s_and_saveexec_b64 s[4:5], vcc
	s_cbranch_execz .LBB643_16
; %bb.204:                              ;   in Loop: Header=BB643_17 Depth=1
	v_lshrrev_b32_e32 v28, 24, v26
	v_cmp_ne_u32_e32 vcc, s13, v28
	v_bfrev_b32_e32 v52, 1
	s_and_saveexec_b64 s[6:7], vcc
	s_cbranch_execz .LBB643_15
; %bb.205:                              ;   in Loop: Header=BB643_17 Depth=1
	v_bfe_u32 v26, v26, 24, 7
	v_cmp_ne_u32_e32 vcc, s14, v26
	v_mov_b32_e32 v52, 0x7f800001
	s_and_saveexec_b64 s[10:11], vcc
	s_cbranch_execz .LBB643_14
; %bb.206:                              ;   in Loop: Header=BB643_17 Depth=1
	v_and_b32_e32 v54, 7, v28
	v_ffbh_u32_e32 v52, v54
	v_min_u32_e32 v56, 32, v52
	v_subrev_u32_e32 v52, 28, v56
	v_lshlrev_b64 v[52:53], v52, v[28:29]
	v_lshrrev_b32_e32 v55, 3, v26
	v_sub_u32_e32 v53, 29, v56
	v_and_b32_e32 v52, 7, v52
	v_cmp_gt_u32_e32 vcc, 8, v26
	v_cndmask_b32_e32 v26, v55, v53, vcc
	v_cndmask_b32_e32 v52, v54, v52, vcc
	v_lshlrev_b32_e32 v28, 24, v28
	v_lshlrev_b32_e32 v52, 20, v52
	v_and_b32_e32 v28, 0x80000000, v28
	v_lshl_add_u32 v26, v26, 23, v38
	v_or3_b32 v52, v28, v26, v52
	s_branch .LBB643_14
.LBB643_207:
	buffer_load_dword v17, off, s[0:3], 0 offset:256
	buffer_load_dword v16, off, s[0:3], 0 offset:260
	;; [unrolled: 1-line block ×16, first 2 shown]
	v_and_b32_e32 v18, 0xc0, v0
	v_add_u32_e32 v18, s20, v18
	v_lshl_or_b32 v18, v1, 2, v18
	v_or_b32_e32 v20, 1, v18
	v_subrev_u32_e32 v24, s33, v20
	v_add_u32_e32 v26, 1, v24
	v_cvt_f32_i32_e32 v25, v24
	v_add_u32_e32 v28, 2, v24
	v_add_u32_e32 v30, 3, v24
	v_add_u32_e32 v32, 16, v24
	v_add_u32_e32 v34, 17, v24
	v_add_u32_e32 v35, 18, v24
	v_add_u32_e32 v36, 19, v24
	v_add_u32_e32 v37, 32, v24
	v_add_u32_e32 v38, 33, v24
	v_add_u32_e32 v40, 34, v24
	v_add_u32_e32 v42, 35, v24
	v_add_u32_e32 v44, 48, v24
	v_add_u32_e32 v52, 49, v24
	v_add_u32_e32 v53, 50, v24
	v_add_u32_e32 v24, 51, v24
	v_cvt_f32_i32_e32 v26, v26
	v_cvt_f32_i32_e32 v28, v28
	;; [unrolled: 1-line block ×4, first 2 shown]
	v_mov_b32_e32 v19, 0xff7fffff
	v_or_b32_e32 v21, 2, v18
	v_or_b32_e32 v22, 3, v18
	v_cvt_f32_i32_e32 v32, v32
	v_cvt_f32_i32_e32 v34, v34
	v_cmp_gt_i32_e64 s[28:29], s33, v18
	v_cmp_gt_i32_e64 s[30:31], s33, v20
	s_mov_b32 s52, 0xff7fffff
	v_cmp_gt_i32_e64 s[34:35], s33, v21
	v_cmp_gt_i32_e64 s[36:37], s33, v22
	v_or_b32_e32 v23, 16, v18
	v_cvt_f32_i32_e32 v35, v35
	v_cvt_f32_i32_e32 v36, v36
	v_cmp_gt_i32_e64 s[24:25], s33, v23
	v_cvt_f32_i32_e32 v37, v37
	v_cvt_f32_i32_e32 v38, v38
	;; [unrolled: 1-line block ×7, first 2 shown]
	s_waitcnt vmcnt(15)
	v_fmac_f32_e32 v17, v31, v25
	s_waitcnt vmcnt(14)
	v_fmac_f32_e32 v16, v31, v26
	;; [unrolled: 2-line block ×4, first 2 shown]
	v_cndmask_b32_e64 v20, v19, v16, s[30:31]
	v_cndmask_b32_e64 v21, v19, v15, s[34:35]
	v_cndmask_b32_e64 v22, v19, v14, s[36:37]
	s_waitcnt vmcnt(11)
	v_fmac_f32_e32 v13, v31, v32
	s_waitcnt vmcnt(10)
	v_fmac_f32_e32 v12, v31, v34
	;; [unrolled: 2-line block ×9, first 2 shown]
	v_cndmask_b32_e64 v24, v19, v17, s[28:29]
	v_max3_f32 v20, v24, s52, v20
	v_max3_f32 v20, v20, v21, v22
	v_or_b32_e32 v22, 17, v18
	v_cmp_gt_i32_e64 s[38:39], s33, v22
	v_cndmask_b32_e64 v21, v19, v13, s[24:25]
	v_cndmask_b32_e64 v22, v19, v12, s[38:39]
	v_max3_f32 v20, v20, v21, v22
	v_or_b32_e32 v21, 18, v18
	v_or_b32_e32 v22, 19, v18
	v_cmp_gt_i32_e64 s[20:21], s33, v21
	v_cmp_gt_i32_e64 s[22:23], s33, v22
	v_cndmask_b32_e64 v21, v19, v11, s[20:21]
	v_cndmask_b32_e64 v22, v19, v10, s[22:23]
	v_max3_f32 v20, v20, v21, v22
	v_or_b32_e32 v21, 32, v18
	v_or_b32_e32 v22, 33, v18
	v_cmp_gt_i32_e64 s[16:17], s33, v21
	;; [unrolled: 7-line block ×3, first 2 shown]
	v_cmp_gt_i32_e64 s[14:15], s33, v22
	v_cndmask_b32_e64 v21, v19, v7, s[12:13]
	v_cndmask_b32_e64 v22, v19, v6, s[14:15]
	v_max3_f32 v20, v20, v21, v22
	v_or_b32_e32 v21, 48, v18
	v_or_b32_e32 v22, 49, v18
	v_fmac_f32_e32 v5, v31, v44
	v_fmac_f32_e32 v4, v31, v52
	v_cmp_gt_i32_e64 s[6:7], s33, v21
	v_cmp_gt_i32_e64 s[10:11], s33, v22
	v_cndmask_b32_e64 v21, v19, v5, s[6:7]
	v_cndmask_b32_e64 v22, v19, v4, s[10:11]
	v_max3_f32 v20, v20, v21, v22
	v_or_b32_e32 v21, 50, v18
	v_or_b32_e32 v18, 51, v18
	v_fmac_f32_e32 v3, v31, v53
	v_cmp_gt_i32_e32 vcc, s33, v21
	v_cmp_gt_i32_e64 s[4:5], s33, v18
	v_cndmask_b32_e32 v21, v19, v3, vcc
	v_cndmask_b32_e64 v18, v19, v2, s[4:5]
	v_mbcnt_lo_u32_b32 v19, -1, 0
	v_mbcnt_hi_u32_b32 v19, -1, v19
	v_max3_f32 v18, v20, v21, v18
	v_and_b32_e32 v20, 64, v19
	v_add_u32_e32 v20, 64, v20
	v_xor_b32_e32 v21, 32, v19
	v_cmp_lt_i32_e64 s[40:41], v21, v20
	v_cndmask_b32_e64 v21, v19, v21, s[40:41]
	v_lshlrev_b32_e32 v21, 2, v21
	ds_bpermute_b32 v22, v21, v18
	s_waitcnt lgkmcnt(0)
	v_max_f32_e32 v22, v22, v22
	v_max_f32_e32 v18, v18, v22
	v_xor_b32_e32 v22, 16, v19
	v_cmp_lt_i32_e64 s[40:41], v22, v20
	v_cndmask_b32_e64 v19, v19, v22, s[40:41]
	v_lshlrev_b32_e32 v19, 2, v19
	ds_bpermute_b32 v20, v19, v18
	s_waitcnt lgkmcnt(0)
	v_max_f32_e32 v20, v20, v20
	v_max_f32_e32 v18, v18, v20
	v_sub_f32_e32 v17, v17, v18
	v_mul_f32_e32 v17, 0x3fb8aa3b, v17
	v_sub_f32_e32 v16, v16, v18
	v_exp_f32_e32 v17, v17
	v_mul_f32_e32 v16, 0x3fb8aa3b, v16
	v_sub_f32_e32 v15, v15, v18
	v_exp_f32_e32 v16, v16
	;; [unrolled: 3-line block ×4, first 2 shown]
	v_mul_f32_e32 v13, 0x3fb8aa3b, v13
	v_sub_f32_e32 v12, v12, v18
	v_cndmask_b32_e64 v17, 0, v17, s[28:29]
	v_exp_f32_e32 v13, v13
	v_mul_f32_e32 v12, 0x3fb8aa3b, v12
	v_sub_f32_e32 v11, v11, v18
	v_add_f32_e32 v20, 0, v17
	v_cndmask_b32_e64 v16, 0, v16, s[30:31]
	v_exp_f32_e32 v12, v12
	v_mul_f32_e32 v11, 0x3fb8aa3b, v11
	v_sub_f32_e32 v10, v10, v18
	v_add_f32_e32 v20, v20, v16
	;; [unrolled: 5-line block ×4, first 2 shown]
	v_cndmask_b32_e64 v13, 0, v13, s[24:25]
	v_exp_f32_e32 v9, v9
	v_mul_f32_e32 v8, 0x3fb8aa3b, v8
	v_sub_f32_e32 v7, v7, v18
	buffer_store_dword v17, off, s[0:3], 0 offset:256
	buffer_store_dword v16, off, s[0:3], 0 offset:260
	buffer_store_dword v15, off, s[0:3], 0 offset:264
	buffer_store_dword v14, off, s[0:3], 0 offset:268
	v_add_f32_e32 v14, v20, v13
	v_cndmask_b32_e64 v12, 0, v12, s[38:39]
	v_exp_f32_e32 v8, v8
	v_mul_f32_e32 v7, 0x3fb8aa3b, v7
	v_sub_f32_e32 v6, v6, v18
	v_add_f32_e32 v14, v14, v12
	v_cndmask_b32_e64 v11, 0, v11, s[20:21]
	v_exp_f32_e32 v7, v7
	v_mul_f32_e32 v6, 0x3fb8aa3b, v6
	v_sub_f32_e32 v5, v5, v18
	;; [unrolled: 5-line block ×4, first 2 shown]
	buffer_store_dword v13, off, s[0:3], 0 offset:272
	buffer_store_dword v12, off, s[0:3], 0 offset:276
	;; [unrolled: 1-line block ×4, first 2 shown]
	v_add_f32_e32 v10, v14, v9
	v_cndmask_b32_e64 v8, 0, v8, s[18:19]
	v_exp_f32_e32 v4, v4
	v_mul_f32_e32 v3, 0x3fb8aa3b, v3
	v_sub_f32_e32 v2, v2, v18
	v_add_f32_e32 v10, v10, v8
	v_cndmask_b32_e64 v7, 0, v7, s[12:13]
	v_exp_f32_e32 v3, v3
	v_mul_f32_e32 v2, 0x3fb8aa3b, v2
	v_add_f32_e32 v10, v10, v7
	v_cndmask_b32_e64 v6, 0, v6, s[14:15]
	v_exp_f32_e32 v2, v2
	v_add_f32_e32 v10, v10, v6
	v_cndmask_b32_e64 v5, 0, v5, s[6:7]
	buffer_store_dword v9, off, s[0:3], 0 offset:288
	buffer_store_dword v8, off, s[0:3], 0 offset:292
	;; [unrolled: 1-line block ×4, first 2 shown]
	v_add_f32_e32 v6, v10, v5
	v_cndmask_b32_e64 v4, 0, v4, s[10:11]
	v_add_f32_e32 v6, v6, v4
	v_cndmask_b32_e32 v3, 0, v3, vcc
	v_add_f32_e32 v6, v6, v3
	v_cndmask_b32_e64 v2, 0, v2, s[4:5]
	v_add_f32_e32 v6, v6, v2
	ds_bpermute_b32 v7, v21, v6
	buffer_store_dword v5, off, s[0:3], 0 offset:304
	buffer_store_dword v4, off, s[0:3], 0 offset:308
	;; [unrolled: 1-line block ×4, first 2 shown]
	v_cmp_gt_u32_e32 vcc, 16, v33
	s_waitcnt lgkmcnt(0)
	s_barrier
	v_add_f32_e32 v2, v6, v7
	ds_bpermute_b32 v3, v19, v2
	s_waitcnt lgkmcnt(0)
	s_and_saveexec_b64 s[4:5], vcc
	s_cbranch_execz .LBB643_209
; %bb.208:
	v_add_f32_e32 v2, v2, v3
	v_lshlrev_b32_e32 v3, 2, v29
	ds_write2st64_b32 v3, v18, v2 offset1:1
.LBB643_209:
	s_or_b64 exec, exec, s[4:5]
	v_lshlrev_b32_e32 v2, 2, v41
	s_waitcnt lgkmcnt(0)
	s_barrier
	ds_read2_b32 v[12:13], v2 offset1:16
	ds_read2_b32 v[14:15], v2 offset0:32 offset1:48
	ds_read2_b32 v[6:7], v2 offset0:64 offset1:80
	;; [unrolled: 1-line block ×3, first 2 shown]
	s_waitcnt lgkmcnt(0)
	s_barrier
	buffer_load_dword v20, off, s[0:3], 0 offset:256
	buffer_load_dword v21, off, s[0:3], 0 offset:260
	;; [unrolled: 1-line block ×16, first 2 shown]
	v_lshlrev_b32_e32 v19, 3, v1
	v_lshlrev_b32_e32 v18, 5, v41
	;; [unrolled: 1-line block ×3, first 2 shown]
	v_or3_b32 v52, v26, v18, v19
	v_max3_f32 v19, v12, s52, v13
	v_max3_f32 v19, v19, v14, v15
	v_sub_f32_e32 v12, v12, v19
	v_sub_f32_e32 v13, v13, v19
	v_mul_f32_e32 v12, 0x3fb8aa3b, v12
	v_sub_f32_e32 v14, v14, v19
	v_mul_f32_e32 v13, 0x3fb8aa3b, v13
	v_exp_f32_e32 v12, v12
	v_sub_f32_e32 v15, v15, v19
	v_mul_f32_e32 v14, 0x3fb8aa3b, v14
	v_exp_f32_e32 v13, v13
	v_mul_f32_e32 v15, 0x3fb8aa3b, v15
	v_exp_f32_e32 v14, v14
	v_exp_f32_e32 v15, v15
	v_fma_f32 v6, v12, v6, 0
	v_fmac_f32_e32 v6, v13, v7
	v_fmac_f32_e32 v6, v14, v10
	;; [unrolled: 1-line block ×3, first 2 shown]
	v_cmp_eq_u32_e32 vcc, 1, v27
	v_add_f32_e32 v10, 0x358637bd, v6
	v_cndmask_b32_e32 v12, v12, v13, vcc
	v_cmp_eq_u32_e32 vcc, 2, v27
	v_div_scale_f32 v11, s[4:5], v10, v10, 1.0
	v_cndmask_b32_e32 v7, v12, v14, vcc
	v_rcp_f32_e32 v12, v11
	v_cmp_eq_u32_e32 vcc, 3, v27
	v_cndmask_b32_e32 v7, v7, v15, vcc
	v_div_scale_f32 v13, vcc, 1.0, v10, 1.0
	v_fma_f32 v14, -v11, v12, 1.0
	v_fmac_f32_e32 v12, v14, v12
	v_mul_f32_e32 v14, v13, v12
	v_fma_f32 v15, -v11, v14, v13
	v_fmac_f32_e32 v14, v15, v12
	v_fma_f32 v11, -v11, v14, v13
	v_div_fmas_f32 v11, v11, v12, v14
	v_div_fixup_f32 v10, v11, v10, 1.0
	v_mul_f32_e32 v10, v7, v10
	s_mul_i32 s18, s49, 6
	v_cmp_gt_u32_e32 vcc, 6, v0
	s_waitcnt vmcnt(14)
	v_pk_mul_f32 v[14:15], v[10:11], v[20:21] op_sel_hi:[0,1]
	v_cvt_f16_f32_e32 v7, v14
	s_waitcnt vmcnt(12)
	v_pk_mul_f32 v[12:13], v[10:11], v[22:23] op_sel_hi:[0,1]
	buffer_store_dword v14, off, s[0:3], 0 offset:256
	buffer_store_dword v15, off, s[0:3], 0 offset:260
	;; [unrolled: 1-line block ×3, first 2 shown]
	s_waitcnt vmcnt(13)
	v_pk_mul_f32 v[20:21], v[10:11], v[24:25] op_sel_hi:[0,1]
	v_cvt_f16_f32_e32 v14, v12
	s_waitcnt vmcnt(11)
	v_pk_mul_f32 v[22:23], v[10:11], v[28:29] op_sel_hi:[0,1]
	v_cvt_f16_f32_e32 v11, v15
	v_cvt_f16_f32_e32 v15, v13
	buffer_store_dword v13, off, s[0:3], 0 offset:268
	buffer_store_dword v22, off, s[0:3], 0 offset:272
	buffer_store_dword v23, off, s[0:3], 0 offset:276
	v_pack_b32_f16 v12, v7, v11
	v_cvt_f16_f32_e32 v11, v23
	v_pack_b32_f16 v13, v14, v15
	v_cvt_f16_f32_e32 v7, v22
	v_cvt_f16_f32_e32 v15, v20
	;; [unrolled: 1-line block ×3, first 2 shown]
	s_waitcnt vmcnt(12)
	v_pk_mul_f32 v[4:5], v[10:11], v[4:5] op_sel_hi:[0,1]
	v_pack_b32_f16 v14, v7, v11
	s_waitcnt vmcnt(10)
	v_pk_mul_f32 v[2:3], v[10:11], v[2:3] op_sel_hi:[0,1]
	v_pack_b32_f16 v15, v15, v22
	v_cvt_f16_f32_e32 v11, v5
	buffer_store_dword v20, off, s[0:3], 0 offset:280
	buffer_store_dword v21, off, s[0:3], 0 offset:284
	ds_write2st64_b64 v52, v[12:13], v[14:15] offset1:1
	buffer_store_dword v2, off, s[0:3], 0 offset:288
	buffer_store_dword v3, off, s[0:3], 0 offset:292
	v_cvt_f16_f32_e32 v2, v2
	v_cvt_f16_f32_e32 v3, v3
	;; [unrolled: 1-line block ×3, first 2 shown]
	buffer_store_dword v4, off, s[0:3], 0 offset:296
	buffer_store_dword v5, off, s[0:3], 0 offset:300
	s_waitcnt vmcnt(12)
	v_pk_mul_f32 v[4:5], v[10:11], v[16:17] op_sel_hi:[0,1]
	v_pk_mul_f32 v[8:9], v[10:11], v[8:9] op_sel_hi:[0,1]
	v_pack_b32_f16 v2, v2, v3
	v_pack_b32_f16 v3, v7, v11
	buffer_store_dword v8, off, s[0:3], 0 offset:304
	buffer_store_dword v9, off, s[0:3], 0 offset:308
	v_cvt_f16_f32_e32 v7, v8
	v_cvt_f16_f32_e32 v8, v9
	;; [unrolled: 1-line block ×4, first 2 shown]
	buffer_store_dword v4, off, s[0:3], 0 offset:312
	buffer_store_dword v5, off, s[0:3], 0 offset:316
	v_pack_b32_f16 v4, v7, v8
	v_pack_b32_f16 v5, v9, v10
	ds_write2st64_b64 v52, v[2:3], v[4:5] offset0:2 offset1:3
	s_and_saveexec_b64 s[4:5], vcc
	s_cbranch_execz .LBB643_211
; %bb.210:
	v_add_co_u32_e32 v4, vcc, s27, v41
	v_addc_co_u32_e64 v5, s[6:7], 0, 0, vcc
	v_mov_b32_e32 v2, s18
	v_mad_u64_u32 v[4:5], s[6:7], s8, v2, v[4:5]
	v_mov_b32_e32 v3, 0
	s_mul_i32 s6, s9, s18
	v_mov_b32_e32 v2, s26
	v_add_u32_e32 v5, s6, v5
	v_mad_u64_u32 v[2:3], s[6:7], v4, s48, v[2:3]
	v_mov_b32_e32 v4, v3
	v_mad_u64_u32 v[4:5], s[6:7], v5, s48, v[4:5]
	v_mov_b32_e32 v3, v4
	v_lshlrev_b64 v[2:3], 2, v[2:3]
	v_mov_b32_e32 v5, s47
	v_add_co_u32_e32 v4, vcc, s46, v2
	v_addc_co_u32_e32 v5, vcc, v5, v3, vcc
	global_store_dword v[4:5], v19, off
	v_mov_b32_e32 v4, s45
	v_add_co_u32_e32 v2, vcc, s44, v2
	v_addc_co_u32_e32 v3, vcc, v4, v3, vcc
	global_store_dword v[2:3], v6, off
.LBB643_211:
	s_or_b64 exec, exec, s[4:5]
	v_lshl_or_b32 v30, v1, 9, v18
	s_waitcnt lgkmcnt(0)
	s_barrier
	s_load_dword s4, s[42:43], 0x0
	ds_read_b128 v[2:5], v30
	ds_read_b128 v[6:9], v30 offset:16
	ds_read_b128 v[10:13], v30 offset:2048
	;; [unrolled: 1-line block ×7, first 2 shown]
	v_mov_b32_e32 v35, 0x80
	v_mov_b32_e32 v53, 0x140
	s_mov_b64 s[10:11], -1
	s_waitcnt lgkmcnt(0)
	s_mov_b32 s5, s4
	s_mov_b32 s6, s4
	;; [unrolled: 1-line block ×3, first 2 shown]
	s_movk_i32 s9, 0x80
	s_movk_i32 s19, 0x7f
	s_mov_b32 s20, 0xffffff
	v_mov_b32_e32 v54, 0
	v_bfrev_b32_e32 v55, 60
	s_branch .LBB643_215
.LBB643_212:                            ;   in Loop: Header=BB643_215 Depth=1
	s_or_b64 exec, exec, s[16:17]
.LBB643_213:                            ;   in Loop: Header=BB643_215 Depth=1
	s_or_b64 exec, exec, s[14:15]
.LBB643_214:                            ;   in Loop: Header=BB643_215 Depth=1
	s_or_b64 exec, exec, s[12:13]
	v_cvt_pkrtz_f16_f32 v60, v46, v50
	v_cvt_pkrtz_f16_f32 v61, v44, v56
	s_xor_b64 s[12:13], s[10:11], -1
	s_mov_b64 s[10:11], 0
	v_mov_b32_e32 v46, v47
	v_mfma_f32_16x16x16f16 v[60:63], v[60:61], v[30:31], v[34:37]
	v_mov_b32_e32 v50, v49
	s_and_b64 vcc, exec, s[12:13]
	s_nop 4
	v_cvt_pkrtz_f16_f32 v36, v51, v57
	v_cvt_pkrtz_f16_f32 v37, v42, v58
	v_mov_b32_e32 v35, v45
	v_mov_b32_e32 v51, v48
	v_mfma_f32_16x16x16f16 v[56:59], v[36:37], v[32:33], v[60:63]
	s_nop 7
	s_nop 2
	v_pk_mul_f32 v[56:57], v[56:57], s[4:5]
	v_pk_mul_f32 v[36:37], v[58:59], s[6:7]
	v_cvt_f16_f32_e32 v34, v56
	v_cvt_f16_f32_e32 v38, v57
	;; [unrolled: 1-line block ×4, first 2 shown]
	v_pack_b32_f16 v34, v34, v38
	v_pack_b32_f16 v36, v36, v37
	buffer_store_dword v34, v53, s[0:3], 0 offen
	buffer_store_dword v36, v53, s[0:3], 0 offen offset:4
	v_mov_b32_e32 v53, 0x148
	s_cbranch_vccnz .LBB643_597
.LBB643_215:                            ; =>This Inner Loop Header: Depth=1
	buffer_load_dword v36, v35, s[0:3], 0 offen
	buffer_load_dword v34, v35, s[0:3], 0 offen offset:4
	buffer_load_dword v40, v35, s[0:3], 0 offen offset:8
	;; [unrolled: 1-line block ×3, first 2 shown]
	v_mov_b32_e32 v35, 0
	s_waitcnt vmcnt(3)
	v_cmp_ne_u16_sdwa s[14:15], v36, v54 src0_sel:BYTE_0 src1_sel:DWORD
	s_and_saveexec_b64 s[12:13], s[14:15]
	s_cbranch_execz .LBB643_221
; %bb.216:                              ;   in Loop: Header=BB643_215 Depth=1
	v_cmp_ne_u16_sdwa s[16:17], v36, s9 src0_sel:BYTE_0 src1_sel:DWORD
	v_bfrev_b32_e32 v35, 1
	s_and_saveexec_b64 s[14:15], s[16:17]
	s_cbranch_execz .LBB643_220
; %bb.217:                              ;   in Loop: Header=BB643_215 Depth=1
	v_and_b32_e32 v37, 0x7f, v36
	v_cmp_ne_u32_e32 vcc, s19, v37
	v_mov_b32_e32 v35, 0x7f800001
	s_and_saveexec_b64 s[16:17], vcc
	s_cbranch_execz .LBB643_219
; %bb.218:                              ;   in Loop: Header=BB643_215 Depth=1
	v_and_b32_e32 v35, 7, v36
	v_ffbh_u32_e32 v44, v35
	v_min_u32_e32 v44, 32, v44
	v_subrev_u32_e32 v56, 28, v44
	v_lshlrev_b64 v[56:57], v56, v[36:37]
	v_lshrrev_b32_e32 v42, 3, v37
	v_sub_u32_e32 v44, 29, v44
	v_and_b32_e32 v56, 7, v56
	v_cmp_gt_u32_e32 vcc, 8, v37
	v_cndmask_b32_e32 v37, v42, v44, vcc
	v_cndmask_b32_e32 v35, v35, v56, vcc
	v_lshlrev_b32_e32 v42, 24, v36
	v_lshlrev_b32_e32 v35, 20, v35
	v_and_b32_e32 v42, 0x80000000, v42
	v_lshl_add_u32 v37, v37, 23, v55
	v_or3_b32 v35, v42, v37, v35
.LBB643_219:                            ;   in Loop: Header=BB643_215 Depth=1
	s_or_b64 exec, exec, s[16:17]
.LBB643_220:                            ;   in Loop: Header=BB643_215 Depth=1
	s_or_b64 exec, exec, s[14:15]
.LBB643_221:                            ;   in Loop: Header=BB643_215 Depth=1
	s_or_b64 exec, exec, s[12:13]
	v_lshrrev_b16_e32 v42, 8, v36
	v_cmp_ne_u16_e32 vcc, 0, v42
	v_mov_b32_e32 v37, 0
	s_and_saveexec_b64 s[12:13], vcc
	s_cbranch_execz .LBB643_227
; %bb.222:                              ;   in Loop: Header=BB643_215 Depth=1
	v_cmp_ne_u16_e32 vcc, s9, v42
	v_bfrev_b32_e32 v37, 1
	s_and_saveexec_b64 s[14:15], vcc
	s_cbranch_execz .LBB643_226
; %bb.223:                              ;   in Loop: Header=BB643_215 Depth=1
	v_and_b32_e32 v44, 0x7f, v42
	v_cmp_ne_u32_e32 vcc, s19, v44
	v_mov_b32_e32 v37, 0x7f800001
	s_and_saveexec_b64 s[16:17], vcc
	s_cbranch_execz .LBB643_225
; %bb.224:                              ;   in Loop: Header=BB643_215 Depth=1
	v_and_b32_e32 v37, 7, v42
	v_ffbh_u32_e32 v56, v37
	v_min_u32_e32 v59, 32, v56
	v_subrev_u32_e32 v56, 28, v59
	v_lshlrev_b64 v[56:57], v56, v[42:43]
	v_lshrrev_b32_e32 v58, 3, v44
	v_sub_u32_e32 v42, 29, v59
	v_and_b32_e32 v56, 7, v56
	v_cmp_gt_u32_e32 vcc, 8, v44
	v_cndmask_b32_e32 v42, v58, v42, vcc
	v_cndmask_b32_e32 v37, v37, v56, vcc
	v_lshlrev_b32_e32 v44, 16, v36
	v_lshlrev_b32_e32 v37, 20, v37
	v_and_b32_e32 v44, 0x80000000, v44
	v_lshl_add_u32 v42, v42, 23, v55
	v_or3_b32 v37, v44, v42, v37
.LBB643_225:                            ;   in Loop: Header=BB643_215 Depth=1
	s_or_b64 exec, exec, s[16:17]
.LBB643_226:                            ;   in Loop: Header=BB643_215 Depth=1
	s_or_b64 exec, exec, s[14:15]
.LBB643_227:                            ;   in Loop: Header=BB643_215 Depth=1
	s_or_b64 exec, exec, s[12:13]
	v_lshrrev_b32_e32 v42, 16, v36
	v_cmp_ne_u16_sdwa s[14:15], v42, v54 src0_sel:BYTE_0 src1_sel:DWORD
	v_mov_b32_e32 v56, 0
	v_mov_b32_e32 v44, 0
	s_and_saveexec_b64 s[12:13], s[14:15]
	s_cbranch_execz .LBB643_233
; %bb.228:                              ;   in Loop: Header=BB643_215 Depth=1
	v_cmp_ne_u16_sdwa s[16:17], v42, s9 src0_sel:BYTE_0 src1_sel:DWORD
	v_bfrev_b32_e32 v44, 1
	s_and_saveexec_b64 s[14:15], s[16:17]
	s_cbranch_execz .LBB643_232
; %bb.229:                              ;   in Loop: Header=BB643_215 Depth=1
	v_bfe_u32 v57, v36, 16, 7
	v_cmp_ne_u32_e32 vcc, s19, v57
	v_mov_b32_e32 v44, 0x7f800001
	s_and_saveexec_b64 s[16:17], vcc
	s_cbranch_execz .LBB643_231
; %bb.230:                              ;   in Loop: Header=BB643_215 Depth=1
	v_and_b32_e32 v44, 7, v42
	v_ffbh_u32_e32 v58, v44
	v_min_u32_e32 v61, 32, v58
	v_subrev_u32_e32 v58, 28, v61
	v_lshlrev_b64 v[58:59], v58, v[42:43]
	v_lshrrev_b32_e32 v60, 3, v57
	v_sub_u32_e32 v59, 29, v61
	v_and_b32_e32 v58, 7, v58
	v_cmp_gt_u32_e32 vcc, 8, v57
	v_cndmask_b32_e32 v57, v60, v59, vcc
	v_cndmask_b32_e32 v44, v44, v58, vcc
	v_lshlrev_b32_e32 v42, 24, v42
	v_lshlrev_b32_e32 v44, 20, v44
	v_and_b32_e32 v42, 0x80000000, v42
	v_lshl_add_u32 v57, v57, 23, v55
	v_or3_b32 v44, v42, v57, v44
.LBB643_231:                            ;   in Loop: Header=BB643_215 Depth=1
	s_or_b64 exec, exec, s[16:17]
.LBB643_232:                            ;   in Loop: Header=BB643_215 Depth=1
	s_or_b64 exec, exec, s[14:15]
.LBB643_233:                            ;   in Loop: Header=BB643_215 Depth=1
	s_or_b64 exec, exec, s[12:13]
	v_cmp_lt_u32_e32 vcc, s20, v36
	s_and_saveexec_b64 s[12:13], vcc
	s_cbranch_execz .LBB643_239
; %bb.234:                              ;   in Loop: Header=BB643_215 Depth=1
	v_lshrrev_b32_e32 v42, 24, v36
	v_cmp_ne_u32_e32 vcc, s9, v42
	v_bfrev_b32_e32 v56, 1
	s_and_saveexec_b64 s[14:15], vcc
	s_cbranch_execz .LBB643_238
; %bb.235:                              ;   in Loop: Header=BB643_215 Depth=1
	v_bfe_u32 v36, v36, 24, 7
	v_cmp_ne_u32_e32 vcc, s19, v36
	v_mov_b32_e32 v56, 0x7f800001
	s_and_saveexec_b64 s[16:17], vcc
	s_cbranch_execz .LBB643_237
; %bb.236:                              ;   in Loop: Header=BB643_215 Depth=1
	v_and_b32_e32 v58, 7, v42
	v_ffbh_u32_e32 v56, v58
	v_min_u32_e32 v60, 32, v56
	v_subrev_u32_e32 v56, 28, v60
	v_lshlrev_b64 v[56:57], v56, v[42:43]
	v_lshrrev_b32_e32 v59, 3, v36
	v_sub_u32_e32 v57, 29, v60
	v_and_b32_e32 v56, 7, v56
	v_cmp_gt_u32_e32 vcc, 8, v36
	v_cndmask_b32_e32 v36, v59, v57, vcc
	v_cndmask_b32_e32 v56, v58, v56, vcc
	v_lshlrev_b32_e32 v42, 24, v42
	v_lshlrev_b32_e32 v56, 20, v56
	v_and_b32_e32 v42, 0x80000000, v42
	v_lshl_add_u32 v36, v36, 23, v55
	v_or3_b32 v56, v42, v36, v56
.LBB643_237:                            ;   in Loop: Header=BB643_215 Depth=1
	s_or_b64 exec, exec, s[16:17]
.LBB643_238:                            ;   in Loop: Header=BB643_215 Depth=1
	s_or_b64 exec, exec, s[14:15]
.LBB643_239:                            ;   in Loop: Header=BB643_215 Depth=1
	s_or_b64 exec, exec, s[12:13]
	s_waitcnt vmcnt(2)
	v_cmp_ne_u16_sdwa s[14:15], v34, v54 src0_sel:BYTE_0 src1_sel:DWORD
	v_mov_b32_e32 v42, 0
	v_mov_b32_e32 v57, 0
	s_and_saveexec_b64 s[12:13], s[14:15]
	s_cbranch_execz .LBB643_245
; %bb.240:                              ;   in Loop: Header=BB643_215 Depth=1
	v_cmp_ne_u16_sdwa s[16:17], v34, s9 src0_sel:BYTE_0 src1_sel:DWORD
	v_bfrev_b32_e32 v57, 1
	s_and_saveexec_b64 s[14:15], s[16:17]
	s_cbranch_execz .LBB643_244
; %bb.241:                              ;   in Loop: Header=BB643_215 Depth=1
	v_and_b32_e32 v36, 0x7f, v34
	v_cmp_ne_u32_e32 vcc, s19, v36
	v_mov_b32_e32 v57, 0x7f800001
	s_and_saveexec_b64 s[16:17], vcc
	s_cbranch_execz .LBB643_243
; %bb.242:                              ;   in Loop: Header=BB643_215 Depth=1
	v_and_b32_e32 v57, 7, v34
	v_ffbh_u32_e32 v58, v57
	v_min_u32_e32 v61, 32, v58
	v_subrev_u32_e32 v58, 28, v61
	v_lshlrev_b64 v[58:59], v58, v[34:35]
	v_lshrrev_b32_e32 v60, 3, v36
	v_sub_u32_e32 v59, 29, v61
	v_and_b32_e32 v58, 7, v58
	v_cmp_gt_u32_e32 vcc, 8, v36
	v_cndmask_b32_e32 v36, v60, v59, vcc
	v_cndmask_b32_e32 v57, v57, v58, vcc
	v_lshlrev_b32_e32 v58, 24, v34
	v_lshlrev_b32_e32 v57, 20, v57
	v_and_b32_e32 v58, 0x80000000, v58
	v_lshl_add_u32 v36, v36, 23, v55
	v_or3_b32 v57, v58, v36, v57
.LBB643_243:                            ;   in Loop: Header=BB643_215 Depth=1
	s_or_b64 exec, exec, s[16:17]
.LBB643_244:                            ;   in Loop: Header=BB643_215 Depth=1
	s_or_b64 exec, exec, s[14:15]
.LBB643_245:                            ;   in Loop: Header=BB643_215 Depth=1
	s_or_b64 exec, exec, s[12:13]
	v_lshrrev_b16_e32 v36, 8, v34
	v_cmp_ne_u16_e32 vcc, 0, v36
	s_and_saveexec_b64 s[12:13], vcc
	s_cbranch_execz .LBB643_251
; %bb.246:                              ;   in Loop: Header=BB643_215 Depth=1
	v_cmp_ne_u16_e32 vcc, s9, v36
	v_bfrev_b32_e32 v42, 1
	s_and_saveexec_b64 s[14:15], vcc
	s_cbranch_execz .LBB643_250
; %bb.247:                              ;   in Loop: Header=BB643_215 Depth=1
	v_and_b32_e32 v58, 0x7f, v36
	v_cmp_ne_u32_e32 vcc, s19, v58
	v_mov_b32_e32 v42, 0x7f800001
	s_and_saveexec_b64 s[16:17], vcc
	s_cbranch_execz .LBB643_249
; %bb.248:                              ;   in Loop: Header=BB643_215 Depth=1
	v_and_b32_e32 v42, 7, v36
	v_ffbh_u32_e32 v60, v42
	v_min_u32_e32 v62, 32, v60
	v_subrev_u32_e32 v60, 28, v62
	v_lshlrev_b64 v[60:61], v60, v[36:37]
	v_lshrrev_b32_e32 v59, 3, v58
	v_sub_u32_e32 v36, 29, v62
	v_and_b32_e32 v60, 7, v60
	v_cmp_gt_u32_e32 vcc, 8, v58
	v_cndmask_b32_e32 v36, v59, v36, vcc
	v_cndmask_b32_e32 v42, v42, v60, vcc
	v_lshlrev_b32_e32 v58, 16, v34
	v_lshlrev_b32_e32 v42, 20, v42
	v_and_b32_e32 v58, 0x80000000, v58
	v_lshl_add_u32 v36, v36, 23, v55
	v_or3_b32 v42, v58, v36, v42
.LBB643_249:                            ;   in Loop: Header=BB643_215 Depth=1
	s_or_b64 exec, exec, s[16:17]
.LBB643_250:                            ;   in Loop: Header=BB643_215 Depth=1
	s_or_b64 exec, exec, s[14:15]
.LBB643_251:                            ;   in Loop: Header=BB643_215 Depth=1
	s_or_b64 exec, exec, s[12:13]
	v_lshrrev_b32_e32 v36, 16, v34
	v_cmp_ne_u16_sdwa s[14:15], v36, v54 src0_sel:BYTE_0 src1_sel:DWORD
	v_mov_b32_e32 v59, 0
	v_mov_b32_e32 v58, 0
	s_and_saveexec_b64 s[12:13], s[14:15]
	s_cbranch_execz .LBB643_257
; %bb.252:                              ;   in Loop: Header=BB643_215 Depth=1
	v_cmp_ne_u16_sdwa s[16:17], v36, s9 src0_sel:BYTE_0 src1_sel:DWORD
	v_bfrev_b32_e32 v58, 1
	s_and_saveexec_b64 s[14:15], s[16:17]
	s_cbranch_execz .LBB643_256
; %bb.253:                              ;   in Loop: Header=BB643_215 Depth=1
	v_bfe_u32 v60, v34, 16, 7
	v_cmp_ne_u32_e32 vcc, s19, v60
	v_mov_b32_e32 v58, 0x7f800001
	s_and_saveexec_b64 s[16:17], vcc
	s_cbranch_execz .LBB643_255
; %bb.254:                              ;   in Loop: Header=BB643_215 Depth=1
	v_and_b32_e32 v58, 7, v36
	v_ffbh_u32_e32 v62, v58
	v_min_u32_e32 v64, 32, v62
	v_subrev_u32_e32 v62, 28, v64
	v_lshlrev_b64 v[62:63], v62, v[36:37]
	v_lshrrev_b32_e32 v61, 3, v60
	v_sub_u32_e32 v63, 29, v64
	v_and_b32_e32 v62, 7, v62
	v_cmp_gt_u32_e32 vcc, 8, v60
	v_cndmask_b32_e32 v60, v61, v63, vcc
	v_cndmask_b32_e32 v58, v58, v62, vcc
	v_lshlrev_b32_e32 v36, 24, v36
	v_lshlrev_b32_e32 v58, 20, v58
	v_and_b32_e32 v36, 0x80000000, v36
	v_lshl_add_u32 v60, v60, 23, v55
	v_or3_b32 v58, v36, v60, v58
.LBB643_255:                            ;   in Loop: Header=BB643_215 Depth=1
	s_or_b64 exec, exec, s[16:17]
.LBB643_256:                            ;   in Loop: Header=BB643_215 Depth=1
	s_or_b64 exec, exec, s[14:15]
.LBB643_257:                            ;   in Loop: Header=BB643_215 Depth=1
	s_or_b64 exec, exec, s[12:13]
	v_cmp_lt_u32_e32 vcc, s20, v34
	s_and_saveexec_b64 s[12:13], vcc
	s_cbranch_execz .LBB643_263
; %bb.258:                              ;   in Loop: Header=BB643_215 Depth=1
	v_lshrrev_b32_e32 v36, 24, v34
	v_cmp_ne_u32_e32 vcc, s9, v36
	v_bfrev_b32_e32 v59, 1
	s_and_saveexec_b64 s[14:15], vcc
	s_cbranch_execz .LBB643_262
; %bb.259:                              ;   in Loop: Header=BB643_215 Depth=1
	v_bfe_u32 v34, v34, 24, 7
	v_cmp_ne_u32_e32 vcc, s19, v34
	v_mov_b32_e32 v59, 0x7f800001
	s_and_saveexec_b64 s[16:17], vcc
	s_cbranch_execz .LBB643_261
; %bb.260:                              ;   in Loop: Header=BB643_215 Depth=1
	v_and_b32_e32 v59, 7, v36
	v_ffbh_u32_e32 v60, v59
	v_min_u32_e32 v63, 32, v60
	v_subrev_u32_e32 v60, 28, v63
	v_lshlrev_b64 v[60:61], v60, v[36:37]
	v_lshrrev_b32_e32 v62, 3, v34
	v_sub_u32_e32 v61, 29, v63
	v_and_b32_e32 v60, 7, v60
	v_cmp_gt_u32_e32 vcc, 8, v34
	v_cndmask_b32_e32 v34, v62, v61, vcc
	v_cndmask_b32_e32 v59, v59, v60, vcc
	v_lshlrev_b32_e32 v36, 24, v36
	v_lshlrev_b32_e32 v59, 20, v59
	v_and_b32_e32 v36, 0x80000000, v36
	v_lshl_add_u32 v34, v34, 23, v55
	v_or3_b32 v59, v36, v34, v59
.LBB643_261:                            ;   in Loop: Header=BB643_215 Depth=1
	s_or_b64 exec, exec, s[16:17]
.LBB643_262:                            ;   in Loop: Header=BB643_215 Depth=1
	s_or_b64 exec, exec, s[14:15]
.LBB643_263:                            ;   in Loop: Header=BB643_215 Depth=1
	s_or_b64 exec, exec, s[12:13]
	v_cvt_pkrtz_f16_f32 v34, v35, v37
	v_cvt_pkrtz_f16_f32 v35, v44, v56
	;; [unrolled: 1-line block ×4, first 2 shown]
	v_mov_b32_e32 v44, 0
	v_mfma_f32_16x16x16f16 v[34:37], v[34:35], v[2:3], 0
	s_waitcnt vmcnt(1)
	v_cmp_ne_u16_sdwa s[14:15], v40, v54 src0_sel:BYTE_0 src1_sel:DWORD
	v_mov_b32_e32 v57, 0
	v_mfma_f32_16x16x16f16 v[34:37], v[60:61], v[4:5], v[34:37]
	s_and_saveexec_b64 s[12:13], s[14:15]
	s_cbranch_execz .LBB643_269
; %bb.264:                              ;   in Loop: Header=BB643_215 Depth=1
	v_cmp_ne_u16_sdwa s[16:17], v40, s9 src0_sel:BYTE_0 src1_sel:DWORD
	v_bfrev_b32_e32 v57, 1
	s_and_saveexec_b64 s[14:15], s[16:17]
	s_cbranch_execz .LBB643_268
; %bb.265:                              ;   in Loop: Header=BB643_215 Depth=1
	v_and_b32_e32 v42, 0x7f, v40
	v_cmp_ne_u32_e32 vcc, s19, v42
	v_mov_b32_e32 v57, 0x7f800001
	s_and_saveexec_b64 s[16:17], vcc
	s_cbranch_execz .LBB643_267
; %bb.266:                              ;   in Loop: Header=BB643_215 Depth=1
	v_and_b32_e32 v58, 7, v40
	v_ffbh_u32_e32 v56, v58
	v_min_u32_e32 v60, 32, v56
	v_subrev_u32_e32 v56, 28, v60
	v_lshlrev_b64 v[56:57], v56, v[40:41]
	v_lshrrev_b32_e32 v59, 3, v42
	v_sub_u32_e32 v57, 29, v60
	v_and_b32_e32 v56, 7, v56
	v_cmp_gt_u32_e32 vcc, 8, v42
	v_cndmask_b32_e32 v42, v59, v57, vcc
	v_cndmask_b32_e32 v56, v58, v56, vcc
	v_lshlrev_b32_e32 v57, 24, v40
	v_lshlrev_b32_e32 v56, 20, v56
	v_and_b32_e32 v57, 0x80000000, v57
	v_lshl_add_u32 v42, v42, 23, v55
	v_or3_b32 v57, v57, v42, v56
.LBB643_267:                            ;   in Loop: Header=BB643_215 Depth=1
	s_or_b64 exec, exec, s[16:17]
.LBB643_268:                            ;   in Loop: Header=BB643_215 Depth=1
	s_or_b64 exec, exec, s[14:15]
.LBB643_269:                            ;   in Loop: Header=BB643_215 Depth=1
	s_or_b64 exec, exec, s[12:13]
	v_lshrrev_b16_e32 v42, 8, v40
	v_cmp_ne_u16_e32 vcc, 0, v42
	v_mov_b32_e32 v58, 0
	s_and_saveexec_b64 s[12:13], vcc
	s_cbranch_execz .LBB643_275
; %bb.270:                              ;   in Loop: Header=BB643_215 Depth=1
	v_cmp_ne_u16_e32 vcc, s9, v42
	v_bfrev_b32_e32 v58, 1
	s_and_saveexec_b64 s[14:15], vcc
	s_cbranch_execz .LBB643_274
; %bb.271:                              ;   in Loop: Header=BB643_215 Depth=1
	v_and_b32_e32 v56, 0x7f, v42
	v_cmp_ne_u32_e32 vcc, s19, v56
	v_mov_b32_e32 v58, 0x7f800001
	s_and_saveexec_b64 s[16:17], vcc
	s_cbranch_execz .LBB643_273
; %bb.272:                              ;   in Loop: Header=BB643_215 Depth=1
	v_and_b32_e32 v60, 7, v42
	v_ffbh_u32_e32 v58, v60
	v_min_u32_e32 v62, 32, v58
	v_subrev_u32_e32 v58, 28, v62
	v_lshlrev_b64 v[58:59], v58, v[42:43]
	v_lshrrev_b32_e32 v61, 3, v56
	v_sub_u32_e32 v42, 29, v62
	v_and_b32_e32 v58, 7, v58
	v_cmp_gt_u32_e32 vcc, 8, v56
	v_cndmask_b32_e32 v42, v61, v42, vcc
	v_cndmask_b32_e32 v56, v60, v58, vcc
	v_lshlrev_b32_e32 v58, 16, v40
	v_lshlrev_b32_e32 v56, 20, v56
	v_and_b32_e32 v58, 0x80000000, v58
	v_lshl_add_u32 v42, v42, 23, v55
	v_or3_b32 v58, v58, v42, v56
.LBB643_273:                            ;   in Loop: Header=BB643_215 Depth=1
	s_or_b64 exec, exec, s[16:17]
.LBB643_274:                            ;   in Loop: Header=BB643_215 Depth=1
	s_or_b64 exec, exec, s[14:15]
.LBB643_275:                            ;   in Loop: Header=BB643_215 Depth=1
	s_or_b64 exec, exec, s[12:13]
	v_lshrrev_b32_e32 v42, 16, v40
	v_cmp_ne_u16_sdwa s[14:15], v42, v54 src0_sel:BYTE_0 src1_sel:DWORD
	s_and_saveexec_b64 s[12:13], s[14:15]
	s_cbranch_execz .LBB643_281
; %bb.276:                              ;   in Loop: Header=BB643_215 Depth=1
	v_cmp_ne_u16_sdwa s[16:17], v42, s9 src0_sel:BYTE_0 src1_sel:DWORD
	v_bfrev_b32_e32 v44, 1
	s_and_saveexec_b64 s[14:15], s[16:17]
	s_cbranch_execz .LBB643_280
; %bb.277:                              ;   in Loop: Header=BB643_215 Depth=1
	v_bfe_u32 v56, v40, 16, 7
	v_cmp_ne_u32_e32 vcc, s19, v56
	v_mov_b32_e32 v44, 0x7f800001
	s_and_saveexec_b64 s[16:17], vcc
	s_cbranch_execz .LBB643_279
; %bb.278:                              ;   in Loop: Header=BB643_215 Depth=1
	v_and_b32_e32 v44, 7, v42
	v_ffbh_u32_e32 v60, v44
	v_min_u32_e32 v62, 32, v60
	v_subrev_u32_e32 v60, 28, v62
	v_lshlrev_b64 v[60:61], v60, v[42:43]
	v_lshrrev_b32_e32 v59, 3, v56
	v_sub_u32_e32 v61, 29, v62
	v_and_b32_e32 v60, 7, v60
	v_cmp_gt_u32_e32 vcc, 8, v56
	v_cndmask_b32_e32 v56, v59, v61, vcc
	v_cndmask_b32_e32 v44, v44, v60, vcc
	v_lshlrev_b32_e32 v42, 24, v42
	v_lshlrev_b32_e32 v44, 20, v44
	v_and_b32_e32 v42, 0x80000000, v42
	v_lshl_add_u32 v56, v56, 23, v55
	v_or3_b32 v44, v42, v56, v44
.LBB643_279:                            ;   in Loop: Header=BB643_215 Depth=1
	s_or_b64 exec, exec, s[16:17]
.LBB643_280:                            ;   in Loop: Header=BB643_215 Depth=1
	s_or_b64 exec, exec, s[14:15]
.LBB643_281:                            ;   in Loop: Header=BB643_215 Depth=1
	s_or_b64 exec, exec, s[12:13]
	v_cmp_lt_u32_e32 vcc, s20, v40
	v_mov_b32_e32 v59, 0
	v_mov_b32_e32 v60, 0
	s_and_saveexec_b64 s[12:13], vcc
	s_cbranch_execz .LBB643_287
; %bb.282:                              ;   in Loop: Header=BB643_215 Depth=1
	v_lshrrev_b32_e32 v42, 24, v40
	v_cmp_ne_u32_e32 vcc, s9, v42
	v_bfrev_b32_e32 v60, 1
	s_and_saveexec_b64 s[14:15], vcc
	s_cbranch_execz .LBB643_286
; %bb.283:                              ;   in Loop: Header=BB643_215 Depth=1
	v_bfe_u32 v40, v40, 24, 7
	v_cmp_ne_u32_e32 vcc, s19, v40
	v_mov_b32_e32 v60, 0x7f800001
	s_and_saveexec_b64 s[16:17], vcc
	s_cbranch_execz .LBB643_285
; %bb.284:                              ;   in Loop: Header=BB643_215 Depth=1
	v_and_b32_e32 v56, 7, v42
	v_ffbh_u32_e32 v60, v56
	v_min_u32_e32 v63, 32, v60
	v_subrev_u32_e32 v60, 28, v63
	v_lshlrev_b64 v[60:61], v60, v[42:43]
	v_lshrrev_b32_e32 v62, 3, v40
	v_sub_u32_e32 v61, 29, v63
	v_and_b32_e32 v60, 7, v60
	v_cmp_gt_u32_e32 vcc, 8, v40
	v_cndmask_b32_e32 v40, v62, v61, vcc
	v_cndmask_b32_e32 v56, v56, v60, vcc
	v_lshlrev_b32_e32 v42, 24, v42
	v_lshlrev_b32_e32 v56, 20, v56
	v_and_b32_e32 v42, 0x80000000, v42
	v_lshl_add_u32 v40, v40, 23, v55
	v_or3_b32 v60, v42, v40, v56
.LBB643_285:                            ;   in Loop: Header=BB643_215 Depth=1
	s_or_b64 exec, exec, s[16:17]
.LBB643_286:                            ;   in Loop: Header=BB643_215 Depth=1
	s_or_b64 exec, exec, s[14:15]
.LBB643_287:                            ;   in Loop: Header=BB643_215 Depth=1
	s_or_b64 exec, exec, s[12:13]
	s_waitcnt vmcnt(0)
	v_cmp_ne_u16_sdwa s[14:15], v38, v54 src0_sel:BYTE_0 src1_sel:DWORD
	s_and_saveexec_b64 s[12:13], s[14:15]
	s_cbranch_execz .LBB643_293
; %bb.288:                              ;   in Loop: Header=BB643_215 Depth=1
	v_cmp_ne_u16_sdwa s[16:17], v38, s9 src0_sel:BYTE_0 src1_sel:DWORD
	v_bfrev_b32_e32 v59, 1
	s_and_saveexec_b64 s[14:15], s[16:17]
	s_cbranch_execz .LBB643_292
; %bb.289:                              ;   in Loop: Header=BB643_215 Depth=1
	v_and_b32_e32 v40, 0x7f, v38
	v_cmp_ne_u32_e32 vcc, s19, v40
	v_mov_b32_e32 v59, 0x7f800001
	s_and_saveexec_b64 s[16:17], vcc
	s_cbranch_execz .LBB643_291
; %bb.290:                              ;   in Loop: Header=BB643_215 Depth=1
	v_and_b32_e32 v42, 7, v38
	v_ffbh_u32_e32 v59, v42
	v_min_u32_e32 v59, 32, v59
	v_subrev_u32_e32 v61, 28, v59
	v_lshlrev_b64 v[62:63], v61, v[38:39]
	v_lshrrev_b32_e32 v56, 3, v40
	v_sub_u32_e32 v59, 29, v59
	v_and_b32_e32 v61, 7, v62
	v_cmp_gt_u32_e32 vcc, 8, v40
	v_cndmask_b32_e32 v40, v56, v59, vcc
	v_cndmask_b32_e32 v42, v42, v61, vcc
	v_lshlrev_b32_e32 v56, 24, v38
	v_lshlrev_b32_e32 v42, 20, v42
	v_and_b32_e32 v56, 0x80000000, v56
	v_lshl_add_u32 v40, v40, 23, v55
	v_or3_b32 v59, v56, v40, v42
.LBB643_291:                            ;   in Loop: Header=BB643_215 Depth=1
	s_or_b64 exec, exec, s[16:17]
.LBB643_292:                            ;   in Loop: Header=BB643_215 Depth=1
	s_or_b64 exec, exec, s[14:15]
.LBB643_293:                            ;   in Loop: Header=BB643_215 Depth=1
	s_or_b64 exec, exec, s[12:13]
	v_lshrrev_b16_e32 v40, 8, v38
	v_cmp_ne_u16_e32 vcc, 0, v40
	v_mov_b32_e32 v61, 0
	v_mov_b32_e32 v62, 0
	s_and_saveexec_b64 s[12:13], vcc
	s_cbranch_execz .LBB643_299
; %bb.294:                              ;   in Loop: Header=BB643_215 Depth=1
	v_cmp_ne_u16_e32 vcc, s9, v40
	v_bfrev_b32_e32 v62, 1
	s_and_saveexec_b64 s[14:15], vcc
	s_cbranch_execz .LBB643_298
; %bb.295:                              ;   in Loop: Header=BB643_215 Depth=1
	v_and_b32_e32 v42, 0x7f, v40
	v_cmp_ne_u32_e32 vcc, s19, v42
	v_mov_b32_e32 v62, 0x7f800001
	s_and_saveexec_b64 s[16:17], vcc
	s_cbranch_execz .LBB643_297
; %bb.296:                              ;   in Loop: Header=BB643_215 Depth=1
	v_and_b32_e32 v56, 7, v40
	v_ffbh_u32_e32 v62, v56
	v_min_u32_e32 v65, 32, v62
	v_subrev_u32_e32 v62, 28, v65
	v_lshlrev_b64 v[62:63], v62, v[40:41]
	v_lshrrev_b32_e32 v64, 3, v42
	v_sub_u32_e32 v40, 29, v65
	v_and_b32_e32 v62, 7, v62
	v_cmp_gt_u32_e32 vcc, 8, v42
	v_cndmask_b32_e32 v40, v64, v40, vcc
	v_cndmask_b32_e32 v42, v56, v62, vcc
	v_lshlrev_b32_e32 v56, 16, v38
	v_lshlrev_b32_e32 v42, 20, v42
	v_and_b32_e32 v56, 0x80000000, v56
	v_lshl_add_u32 v40, v40, 23, v55
	v_or3_b32 v62, v56, v40, v42
.LBB643_297:                            ;   in Loop: Header=BB643_215 Depth=1
	s_or_b64 exec, exec, s[16:17]
.LBB643_298:                            ;   in Loop: Header=BB643_215 Depth=1
	s_or_b64 exec, exec, s[14:15]
.LBB643_299:                            ;   in Loop: Header=BB643_215 Depth=1
	s_or_b64 exec, exec, s[12:13]
	v_lshrrev_b32_e32 v40, 16, v38
	v_cmp_ne_u16_sdwa s[14:15], v40, v54 src0_sel:BYTE_0 src1_sel:DWORD
	s_and_saveexec_b64 s[12:13], s[14:15]
	s_cbranch_execz .LBB643_305
; %bb.300:                              ;   in Loop: Header=BB643_215 Depth=1
	v_cmp_ne_u16_sdwa s[16:17], v40, s9 src0_sel:BYTE_0 src1_sel:DWORD
	v_bfrev_b32_e32 v61, 1
	s_and_saveexec_b64 s[14:15], s[16:17]
	s_cbranch_execz .LBB643_304
; %bb.301:                              ;   in Loop: Header=BB643_215 Depth=1
	v_bfe_u32 v42, v38, 16, 7
	v_cmp_ne_u32_e32 vcc, s19, v42
	v_mov_b32_e32 v61, 0x7f800001
	s_and_saveexec_b64 s[16:17], vcc
	s_cbranch_execz .LBB643_303
; %bb.302:                              ;   in Loop: Header=BB643_215 Depth=1
	v_and_b32_e32 v56, 7, v40
	v_ffbh_u32_e32 v63, v56
	v_min_u32_e32 v63, 32, v63
	v_subrev_u32_e32 v64, 28, v63
	v_lshlrev_b64 v[64:65], v64, v[40:41]
	v_lshrrev_b32_e32 v61, 3, v42
	v_sub_u32_e32 v63, 29, v63
	v_and_b32_e32 v64, 7, v64
	v_cmp_gt_u32_e32 vcc, 8, v42
	v_cndmask_b32_e32 v42, v61, v63, vcc
	v_cndmask_b32_e32 v56, v56, v64, vcc
	v_lshlrev_b32_e32 v40, 24, v40
	v_lshlrev_b32_e32 v56, 20, v56
	v_and_b32_e32 v40, 0x80000000, v40
	v_lshl_add_u32 v42, v42, 23, v55
	v_or3_b32 v61, v40, v42, v56
.LBB643_303:                            ;   in Loop: Header=BB643_215 Depth=1
	s_or_b64 exec, exec, s[16:17]
.LBB643_304:                            ;   in Loop: Header=BB643_215 Depth=1
	s_or_b64 exec, exec, s[14:15]
.LBB643_305:                            ;   in Loop: Header=BB643_215 Depth=1
	s_or_b64 exec, exec, s[12:13]
	v_cmp_lt_u32_e32 vcc, s20, v38
	v_mov_b32_e32 v56, 0
	v_mov_b32_e32 v63, 0
	s_and_saveexec_b64 s[12:13], vcc
	s_cbranch_execz .LBB643_311
; %bb.306:                              ;   in Loop: Header=BB643_215 Depth=1
	v_lshrrev_b32_e32 v40, 24, v38
	v_cmp_ne_u32_e32 vcc, s9, v40
	v_bfrev_b32_e32 v63, 1
	s_and_saveexec_b64 s[14:15], vcc
	s_cbranch_execz .LBB643_310
; %bb.307:                              ;   in Loop: Header=BB643_215 Depth=1
	v_bfe_u32 v38, v38, 24, 7
	v_cmp_ne_u32_e32 vcc, s19, v38
	v_mov_b32_e32 v63, 0x7f800001
	s_and_saveexec_b64 s[16:17], vcc
	s_cbranch_execz .LBB643_309
; %bb.308:                              ;   in Loop: Header=BB643_215 Depth=1
	v_and_b32_e32 v42, 7, v40
	v_ffbh_u32_e32 v64, v42
	v_min_u32_e32 v66, 32, v64
	v_subrev_u32_e32 v64, 28, v66
	v_lshlrev_b64 v[64:65], v64, v[40:41]
	v_lshrrev_b32_e32 v63, 3, v38
	v_sub_u32_e32 v65, 29, v66
	v_and_b32_e32 v64, 7, v64
	v_cmp_gt_u32_e32 vcc, 8, v38
	v_cndmask_b32_e32 v38, v63, v65, vcc
	v_cndmask_b32_e32 v42, v42, v64, vcc
	v_lshlrev_b32_e32 v40, 24, v40
	v_lshlrev_b32_e32 v42, 20, v42
	v_and_b32_e32 v40, 0x80000000, v40
	v_lshl_add_u32 v38, v38, 23, v55
	v_or3_b32 v63, v40, v38, v42
.LBB643_309:                            ;   in Loop: Header=BB643_215 Depth=1
	s_or_b64 exec, exec, s[16:17]
.LBB643_310:                            ;   in Loop: Header=BB643_215 Depth=1
	s_or_b64 exec, exec, s[14:15]
.LBB643_311:                            ;   in Loop: Header=BB643_215 Depth=1
	s_or_b64 exec, exec, s[12:13]
	v_cvt_pkrtz_f16_f32 v65, v44, v60
	buffer_load_dword v44, v46, s[0:3], 0 offen
	buffer_load_dword v42, v46, s[0:3], 0 offen offset:4
	buffer_load_dword v40, v46, s[0:3], 0 offen offset:8
	;; [unrolled: 1-line block ×3, first 2 shown]
	v_cvt_pkrtz_f16_f32 v64, v57, v58
	v_cvt_pkrtz_f16_f32 v58, v59, v62
	;; [unrolled: 1-line block ×3, first 2 shown]
	v_mfma_f32_16x16x16f16 v[34:37], v[64:65], v[6:7], v[34:37]
	s_waitcnt vmcnt(3)
	v_cmp_ne_u16_sdwa s[14:15], v44, v54 src0_sel:BYTE_0 src1_sel:DWORD
	v_mfma_f32_16x16x16f16 v[34:37], v[58:59], v[8:9], v[34:37]
	s_and_saveexec_b64 s[12:13], s[14:15]
	s_cbranch_execz .LBB643_317
; %bb.312:                              ;   in Loop: Header=BB643_215 Depth=1
	v_cmp_ne_u16_sdwa s[16:17], v44, s9 src0_sel:BYTE_0 src1_sel:DWORD
	v_bfrev_b32_e32 v56, 1
	s_and_saveexec_b64 s[14:15], s[16:17]
	s_cbranch_execz .LBB643_316
; %bb.313:                              ;   in Loop: Header=BB643_215 Depth=1
	v_and_b32_e32 v46, 0x7f, v44
	v_cmp_ne_u32_e32 vcc, s19, v46
	v_mov_b32_e32 v56, 0x7f800001
	s_and_saveexec_b64 s[16:17], vcc
	s_cbranch_execz .LBB643_315
; %bb.314:                              ;   in Loop: Header=BB643_215 Depth=1
	v_and_b32_e32 v58, 7, v44
	v_ffbh_u32_e32 v56, v58
	v_min_u32_e32 v60, 32, v56
	v_subrev_u32_e32 v56, 28, v60
	v_lshlrev_b64 v[56:57], v56, v[44:45]
	v_lshrrev_b32_e32 v59, 3, v46
	v_sub_u32_e32 v57, 29, v60
	v_and_b32_e32 v56, 7, v56
	v_cmp_gt_u32_e32 vcc, 8, v46
	v_cndmask_b32_e32 v46, v59, v57, vcc
	v_cndmask_b32_e32 v56, v58, v56, vcc
	v_lshlrev_b32_e32 v57, 24, v44
	v_lshlrev_b32_e32 v56, 20, v56
	v_and_b32_e32 v57, 0x80000000, v57
	v_lshl_add_u32 v46, v46, 23, v55
	v_or3_b32 v56, v57, v46, v56
.LBB643_315:                            ;   in Loop: Header=BB643_215 Depth=1
	s_or_b64 exec, exec, s[16:17]
.LBB643_316:                            ;   in Loop: Header=BB643_215 Depth=1
	s_or_b64 exec, exec, s[14:15]
.LBB643_317:                            ;   in Loop: Header=BB643_215 Depth=1
	s_or_b64 exec, exec, s[12:13]
	v_lshrrev_b16_e32 v46, 8, v44
	v_cmp_ne_u16_e32 vcc, 0, v46
	v_mov_b32_e32 v57, 0
	v_mov_b32_e32 v58, 0
	s_and_saveexec_b64 s[12:13], vcc
	s_cbranch_execz .LBB643_323
; %bb.318:                              ;   in Loop: Header=BB643_215 Depth=1
	v_cmp_ne_u16_e32 vcc, s9, v46
	v_bfrev_b32_e32 v58, 1
	s_and_saveexec_b64 s[14:15], vcc
	s_cbranch_execz .LBB643_322
; %bb.319:                              ;   in Loop: Header=BB643_215 Depth=1
	v_and_b32_e32 v59, 0x7f, v46
	v_cmp_ne_u32_e32 vcc, s19, v59
	v_mov_b32_e32 v58, 0x7f800001
	s_and_saveexec_b64 s[16:17], vcc
	s_cbranch_execz .LBB643_321
; %bb.320:                              ;   in Loop: Header=BB643_215 Depth=1
	v_and_b32_e32 v58, 7, v46
	v_ffbh_u32_e32 v60, v58
	v_min_u32_e32 v63, 32, v60
	v_subrev_u32_e32 v60, 28, v63
	v_lshlrev_b64 v[60:61], v60, v[46:47]
	v_lshrrev_b32_e32 v62, 3, v59
	v_sub_u32_e32 v46, 29, v63
	v_and_b32_e32 v60, 7, v60
	v_cmp_gt_u32_e32 vcc, 8, v59
	v_cndmask_b32_e32 v46, v62, v46, vcc
	v_cndmask_b32_e32 v58, v58, v60, vcc
	v_lshlrev_b32_e32 v59, 16, v44
	v_lshlrev_b32_e32 v58, 20, v58
	v_and_b32_e32 v59, 0x80000000, v59
	v_lshl_add_u32 v46, v46, 23, v55
	v_or3_b32 v58, v59, v46, v58
.LBB643_321:                            ;   in Loop: Header=BB643_215 Depth=1
	s_or_b64 exec, exec, s[16:17]
.LBB643_322:                            ;   in Loop: Header=BB643_215 Depth=1
	s_or_b64 exec, exec, s[14:15]
.LBB643_323:                            ;   in Loop: Header=BB643_215 Depth=1
	s_or_b64 exec, exec, s[12:13]
	v_lshrrev_b32_e32 v46, 16, v44
	v_cmp_ne_u16_sdwa s[14:15], v46, v54 src0_sel:BYTE_0 src1_sel:DWORD
	s_and_saveexec_b64 s[12:13], s[14:15]
	s_cbranch_execz .LBB643_329
; %bb.324:                              ;   in Loop: Header=BB643_215 Depth=1
	v_cmp_ne_u16_sdwa s[16:17], v46, s9 src0_sel:BYTE_0 src1_sel:DWORD
	v_bfrev_b32_e32 v57, 1
	s_and_saveexec_b64 s[14:15], s[16:17]
	s_cbranch_execz .LBB643_328
; %bb.325:                              ;   in Loop: Header=BB643_215 Depth=1
	v_bfe_u32 v59, v44, 16, 7
	v_cmp_ne_u32_e32 vcc, s19, v59
	v_mov_b32_e32 v57, 0x7f800001
	s_and_saveexec_b64 s[16:17], vcc
	s_cbranch_execz .LBB643_327
; %bb.326:                              ;   in Loop: Header=BB643_215 Depth=1
	v_and_b32_e32 v57, 7, v46
	v_ffbh_u32_e32 v60, v57
	v_min_u32_e32 v63, 32, v60
	v_subrev_u32_e32 v60, 28, v63
	v_lshlrev_b64 v[60:61], v60, v[46:47]
	v_lshrrev_b32_e32 v62, 3, v59
	v_sub_u32_e32 v61, 29, v63
	v_and_b32_e32 v60, 7, v60
	v_cmp_gt_u32_e32 vcc, 8, v59
	v_cndmask_b32_e32 v59, v62, v61, vcc
	v_cndmask_b32_e32 v57, v57, v60, vcc
	v_lshlrev_b32_e32 v46, 24, v46
	v_lshlrev_b32_e32 v57, 20, v57
	v_and_b32_e32 v46, 0x80000000, v46
	v_lshl_add_u32 v59, v59, 23, v55
	v_or3_b32 v57, v46, v59, v57
.LBB643_327:                            ;   in Loop: Header=BB643_215 Depth=1
	s_or_b64 exec, exec, s[16:17]
.LBB643_328:                            ;   in Loop: Header=BB643_215 Depth=1
	s_or_b64 exec, exec, s[14:15]
.LBB643_329:                            ;   in Loop: Header=BB643_215 Depth=1
	s_or_b64 exec, exec, s[12:13]
	v_cmp_lt_u32_e32 vcc, s20, v44
	v_mov_b32_e32 v59, 0
	v_mov_b32_e32 v60, 0
	s_and_saveexec_b64 s[12:13], vcc
	s_cbranch_execz .LBB643_335
; %bb.330:                              ;   in Loop: Header=BB643_215 Depth=1
	v_lshrrev_b32_e32 v46, 24, v44
	v_cmp_ne_u32_e32 vcc, s9, v46
	v_bfrev_b32_e32 v60, 1
	s_and_saveexec_b64 s[14:15], vcc
	s_cbranch_execz .LBB643_334
; %bb.331:                              ;   in Loop: Header=BB643_215 Depth=1
	v_bfe_u32 v44, v44, 24, 7
	v_cmp_ne_u32_e32 vcc, s19, v44
	v_mov_b32_e32 v60, 0x7f800001
	s_and_saveexec_b64 s[16:17], vcc
	s_cbranch_execz .LBB643_333
; %bb.332:                              ;   in Loop: Header=BB643_215 Depth=1
	v_and_b32_e32 v62, 7, v46
	v_ffbh_u32_e32 v60, v62
	v_min_u32_e32 v64, 32, v60
	v_subrev_u32_e32 v60, 28, v64
	v_lshlrev_b64 v[60:61], v60, v[46:47]
	v_lshrrev_b32_e32 v63, 3, v44
	v_sub_u32_e32 v61, 29, v64
	v_and_b32_e32 v60, 7, v60
	v_cmp_gt_u32_e32 vcc, 8, v44
	v_cndmask_b32_e32 v44, v63, v61, vcc
	v_cndmask_b32_e32 v60, v62, v60, vcc
	v_lshlrev_b32_e32 v46, 24, v46
	v_lshlrev_b32_e32 v60, 20, v60
	v_and_b32_e32 v46, 0x80000000, v46
	v_lshl_add_u32 v44, v44, 23, v55
	v_or3_b32 v60, v46, v44, v60
.LBB643_333:                            ;   in Loop: Header=BB643_215 Depth=1
	s_or_b64 exec, exec, s[16:17]
.LBB643_334:                            ;   in Loop: Header=BB643_215 Depth=1
	s_or_b64 exec, exec, s[14:15]
.LBB643_335:                            ;   in Loop: Header=BB643_215 Depth=1
	s_or_b64 exec, exec, s[12:13]
	s_waitcnt vmcnt(2)
	v_cmp_ne_u16_sdwa s[14:15], v42, v54 src0_sel:BYTE_0 src1_sel:DWORD
	s_and_saveexec_b64 s[12:13], s[14:15]
	s_cbranch_execz .LBB643_341
; %bb.336:                              ;   in Loop: Header=BB643_215 Depth=1
	v_cmp_ne_u16_sdwa s[16:17], v42, s9 src0_sel:BYTE_0 src1_sel:DWORD
	v_bfrev_b32_e32 v59, 1
	s_and_saveexec_b64 s[14:15], s[16:17]
	s_cbranch_execz .LBB643_340
; %bb.337:                              ;   in Loop: Header=BB643_215 Depth=1
	v_and_b32_e32 v44, 0x7f, v42
	v_cmp_ne_u32_e32 vcc, s19, v44
	v_mov_b32_e32 v59, 0x7f800001
	s_and_saveexec_b64 s[16:17], vcc
	s_cbranch_execz .LBB643_339
; %bb.338:                              ;   in Loop: Header=BB643_215 Depth=1
	v_and_b32_e32 v46, 7, v42
	v_ffbh_u32_e32 v61, v46
	v_min_u32_e32 v61, 32, v61
	v_subrev_u32_e32 v62, 28, v61
	v_lshlrev_b64 v[62:63], v62, v[42:43]
	v_lshrrev_b32_e32 v59, 3, v44
	v_sub_u32_e32 v61, 29, v61
	v_and_b32_e32 v62, 7, v62
	v_cmp_gt_u32_e32 vcc, 8, v44
	v_cndmask_b32_e32 v44, v59, v61, vcc
	v_cndmask_b32_e32 v46, v46, v62, vcc
	v_lshlrev_b32_e32 v59, 24, v42
	v_lshlrev_b32_e32 v46, 20, v46
	v_and_b32_e32 v59, 0x80000000, v59
	v_lshl_add_u32 v44, v44, 23, v55
	v_or3_b32 v59, v59, v44, v46
.LBB643_339:                            ;   in Loop: Header=BB643_215 Depth=1
	s_or_b64 exec, exec, s[16:17]
.LBB643_340:                            ;   in Loop: Header=BB643_215 Depth=1
	s_or_b64 exec, exec, s[14:15]
.LBB643_341:                            ;   in Loop: Header=BB643_215 Depth=1
	s_or_b64 exec, exec, s[12:13]
	v_lshrrev_b16_e32 v44, 8, v42
	v_cmp_ne_u16_e32 vcc, 0, v44
	v_mov_b32_e32 v61, 0
	v_mov_b32_e32 v62, 0
	s_and_saveexec_b64 s[12:13], vcc
	s_cbranch_execz .LBB643_347
; %bb.342:                              ;   in Loop: Header=BB643_215 Depth=1
	v_cmp_ne_u16_e32 vcc, s9, v44
	v_bfrev_b32_e32 v62, 1
	s_and_saveexec_b64 s[14:15], vcc
	s_cbranch_execz .LBB643_346
; %bb.343:                              ;   in Loop: Header=BB643_215 Depth=1
	v_and_b32_e32 v46, 0x7f, v44
	v_cmp_ne_u32_e32 vcc, s19, v46
	v_mov_b32_e32 v62, 0x7f800001
	s_and_saveexec_b64 s[16:17], vcc
	s_cbranch_execz .LBB643_345
; %bb.344:                              ;   in Loop: Header=BB643_215 Depth=1
	v_and_b32_e32 v64, 7, v44
	v_ffbh_u32_e32 v62, v64
	v_min_u32_e32 v66, 32, v62
	v_subrev_u32_e32 v62, 28, v66
	v_lshlrev_b64 v[62:63], v62, v[44:45]
	v_lshrrev_b32_e32 v65, 3, v46
	v_sub_u32_e32 v44, 29, v66
	v_and_b32_e32 v62, 7, v62
	v_cmp_gt_u32_e32 vcc, 8, v46
	v_cndmask_b32_e32 v44, v65, v44, vcc
	v_cndmask_b32_e32 v46, v64, v62, vcc
	v_lshlrev_b32_e32 v62, 16, v42
	v_lshlrev_b32_e32 v46, 20, v46
	v_and_b32_e32 v62, 0x80000000, v62
	v_lshl_add_u32 v44, v44, 23, v55
	v_or3_b32 v62, v62, v44, v46
.LBB643_345:                            ;   in Loop: Header=BB643_215 Depth=1
	s_or_b64 exec, exec, s[16:17]
.LBB643_346:                            ;   in Loop: Header=BB643_215 Depth=1
	s_or_b64 exec, exec, s[14:15]
.LBB643_347:                            ;   in Loop: Header=BB643_215 Depth=1
	s_or_b64 exec, exec, s[12:13]
	v_lshrrev_b32_e32 v44, 16, v42
	v_cmp_ne_u16_sdwa s[14:15], v44, v54 src0_sel:BYTE_0 src1_sel:DWORD
	s_and_saveexec_b64 s[12:13], s[14:15]
	s_cbranch_execz .LBB643_353
; %bb.348:                              ;   in Loop: Header=BB643_215 Depth=1
	v_cmp_ne_u16_sdwa s[16:17], v44, s9 src0_sel:BYTE_0 src1_sel:DWORD
	v_bfrev_b32_e32 v61, 1
	s_and_saveexec_b64 s[14:15], s[16:17]
	s_cbranch_execz .LBB643_352
; %bb.349:                              ;   in Loop: Header=BB643_215 Depth=1
	v_bfe_u32 v46, v42, 16, 7
	v_cmp_ne_u32_e32 vcc, s19, v46
	v_mov_b32_e32 v61, 0x7f800001
	s_and_saveexec_b64 s[16:17], vcc
	s_cbranch_execz .LBB643_351
; %bb.350:                              ;   in Loop: Header=BB643_215 Depth=1
	v_and_b32_e32 v61, 7, v44
	v_ffbh_u32_e32 v64, v61
	v_min_u32_e32 v66, 32, v64
	v_subrev_u32_e32 v64, 28, v66
	v_lshlrev_b64 v[64:65], v64, v[44:45]
	v_lshrrev_b32_e32 v63, 3, v46
	v_sub_u32_e32 v65, 29, v66
	v_and_b32_e32 v64, 7, v64
	v_cmp_gt_u32_e32 vcc, 8, v46
	v_cndmask_b32_e32 v46, v63, v65, vcc
	v_cndmask_b32_e32 v61, v61, v64, vcc
	v_lshlrev_b32_e32 v44, 24, v44
	v_lshlrev_b32_e32 v61, 20, v61
	v_and_b32_e32 v44, 0x80000000, v44
	v_lshl_add_u32 v46, v46, 23, v55
	v_or3_b32 v61, v44, v46, v61
.LBB643_351:                            ;   in Loop: Header=BB643_215 Depth=1
	s_or_b64 exec, exec, s[16:17]
.LBB643_352:                            ;   in Loop: Header=BB643_215 Depth=1
	s_or_b64 exec, exec, s[14:15]
.LBB643_353:                            ;   in Loop: Header=BB643_215 Depth=1
	s_or_b64 exec, exec, s[12:13]
	v_cmp_lt_u32_e32 vcc, s20, v42
	v_mov_b32_e32 v46, 0
	v_mov_b32_e32 v63, 0
	s_and_saveexec_b64 s[12:13], vcc
	s_cbranch_execz .LBB643_359
; %bb.354:                              ;   in Loop: Header=BB643_215 Depth=1
	v_lshrrev_b32_e32 v44, 24, v42
	v_cmp_ne_u32_e32 vcc, s9, v44
	v_bfrev_b32_e32 v63, 1
	s_and_saveexec_b64 s[14:15], vcc
	s_cbranch_execz .LBB643_358
; %bb.355:                              ;   in Loop: Header=BB643_215 Depth=1
	v_bfe_u32 v42, v42, 24, 7
	v_cmp_ne_u32_e32 vcc, s19, v42
	v_mov_b32_e32 v63, 0x7f800001
	s_and_saveexec_b64 s[16:17], vcc
	s_cbranch_execz .LBB643_357
; %bb.356:                              ;   in Loop: Header=BB643_215 Depth=1
	v_and_b32_e32 v63, 7, v44
	v_ffbh_u32_e32 v64, v63
	v_min_u32_e32 v67, 32, v64
	v_subrev_u32_e32 v64, 28, v67
	v_lshlrev_b64 v[64:65], v64, v[44:45]
	v_lshrrev_b32_e32 v66, 3, v42
	v_sub_u32_e32 v65, 29, v67
	v_and_b32_e32 v64, 7, v64
	v_cmp_gt_u32_e32 vcc, 8, v42
	v_cndmask_b32_e32 v42, v66, v65, vcc
	v_cndmask_b32_e32 v63, v63, v64, vcc
	v_lshlrev_b32_e32 v44, 24, v44
	v_lshlrev_b32_e32 v63, 20, v63
	v_and_b32_e32 v44, 0x80000000, v44
	v_lshl_add_u32 v42, v42, 23, v55
	v_or3_b32 v63, v44, v42, v63
.LBB643_357:                            ;   in Loop: Header=BB643_215 Depth=1
	s_or_b64 exec, exec, s[16:17]
.LBB643_358:                            ;   in Loop: Header=BB643_215 Depth=1
	s_or_b64 exec, exec, s[14:15]
.LBB643_359:                            ;   in Loop: Header=BB643_215 Depth=1
	s_or_b64 exec, exec, s[12:13]
	v_cvt_pkrtz_f16_f32 v56, v56, v58
	v_cvt_pkrtz_f16_f32 v57, v57, v60
	s_waitcnt vmcnt(1)
	v_cmp_ne_u16_sdwa s[14:15], v40, v54 src0_sel:BYTE_0 src1_sel:DWORD
	v_mfma_f32_16x16x16f16 v[34:37], v[56:57], v[10:11], v[34:37]
	v_cvt_pkrtz_f16_f32 v56, v59, v62
	v_cvt_pkrtz_f16_f32 v57, v61, v63
	s_nop 1
	v_mfma_f32_16x16x16f16 v[34:37], v[56:57], v[12:13], v[34:37]
	s_and_saveexec_b64 s[12:13], s[14:15]
	s_cbranch_execz .LBB643_365
; %bb.360:                              ;   in Loop: Header=BB643_215 Depth=1
	v_cmp_ne_u16_sdwa s[16:17], v40, s9 src0_sel:BYTE_0 src1_sel:DWORD
	v_bfrev_b32_e32 v46, 1
	s_and_saveexec_b64 s[14:15], s[16:17]
	s_cbranch_execz .LBB643_364
; %bb.361:                              ;   in Loop: Header=BB643_215 Depth=1
	v_and_b32_e32 v42, 0x7f, v40
	v_cmp_ne_u32_e32 vcc, s19, v42
	v_mov_b32_e32 v46, 0x7f800001
	s_and_saveexec_b64 s[16:17], vcc
	s_cbranch_execz .LBB643_363
; %bb.362:                              ;   in Loop: Header=BB643_215 Depth=1
	v_and_b32_e32 v44, 7, v40
	v_ffbh_u32_e32 v56, v44
	v_min_u32_e32 v58, 32, v56
	v_subrev_u32_e32 v56, 28, v58
	v_lshlrev_b64 v[56:57], v56, v[40:41]
	v_lshrrev_b32_e32 v46, 3, v42
	v_sub_u32_e32 v57, 29, v58
	v_and_b32_e32 v56, 7, v56
	v_cmp_gt_u32_e32 vcc, 8, v42
	v_cndmask_b32_e32 v42, v46, v57, vcc
	v_cndmask_b32_e32 v44, v44, v56, vcc
	v_lshlrev_b32_e32 v46, 24, v40
	v_lshlrev_b32_e32 v44, 20, v44
	v_and_b32_e32 v46, 0x80000000, v46
	v_lshl_add_u32 v42, v42, 23, v55
	v_or3_b32 v46, v46, v42, v44
.LBB643_363:                            ;   in Loop: Header=BB643_215 Depth=1
	s_or_b64 exec, exec, s[16:17]
.LBB643_364:                            ;   in Loop: Header=BB643_215 Depth=1
	s_or_b64 exec, exec, s[14:15]
.LBB643_365:                            ;   in Loop: Header=BB643_215 Depth=1
	s_or_b64 exec, exec, s[12:13]
	v_lshrrev_b16_e32 v42, 8, v40
	v_cmp_ne_u16_e32 vcc, 0, v42
	v_mov_b32_e32 v44, 0
	v_mov_b32_e32 v57, 0
	s_and_saveexec_b64 s[12:13], vcc
	s_cbranch_execz .LBB643_371
; %bb.366:                              ;   in Loop: Header=BB643_215 Depth=1
	v_cmp_ne_u16_e32 vcc, s9, v42
	v_bfrev_b32_e32 v57, 1
	s_and_saveexec_b64 s[14:15], vcc
	s_cbranch_execz .LBB643_370
; %bb.367:                              ;   in Loop: Header=BB643_215 Depth=1
	v_and_b32_e32 v56, 0x7f, v42
	v_cmp_ne_u32_e32 vcc, s19, v56
	v_mov_b32_e32 v57, 0x7f800001
	s_and_saveexec_b64 s[16:17], vcc
	s_cbranch_execz .LBB643_369
; %bb.368:                              ;   in Loop: Header=BB643_215 Depth=1
	v_and_b32_e32 v57, 7, v42
	v_ffbh_u32_e32 v58, v57
	v_min_u32_e32 v61, 32, v58
	v_subrev_u32_e32 v58, 28, v61
	v_lshlrev_b64 v[58:59], v58, v[42:43]
	v_lshrrev_b32_e32 v60, 3, v56
	v_sub_u32_e32 v42, 29, v61
	v_and_b32_e32 v58, 7, v58
	v_cmp_gt_u32_e32 vcc, 8, v56
	v_cndmask_b32_e32 v42, v60, v42, vcc
	v_cndmask_b32_e32 v56, v57, v58, vcc
	v_lshlrev_b32_e32 v57, 16, v40
	v_lshlrev_b32_e32 v56, 20, v56
	v_and_b32_e32 v57, 0x80000000, v57
	v_lshl_add_u32 v42, v42, 23, v55
	v_or3_b32 v57, v57, v42, v56
.LBB643_369:                            ;   in Loop: Header=BB643_215 Depth=1
	s_or_b64 exec, exec, s[16:17]
.LBB643_370:                            ;   in Loop: Header=BB643_215 Depth=1
	s_or_b64 exec, exec, s[14:15]
.LBB643_371:                            ;   in Loop: Header=BB643_215 Depth=1
	s_or_b64 exec, exec, s[12:13]
	v_lshrrev_b32_e32 v42, 16, v40
	v_cmp_ne_u16_sdwa s[14:15], v42, v54 src0_sel:BYTE_0 src1_sel:DWORD
	s_and_saveexec_b64 s[12:13], s[14:15]
	s_cbranch_execz .LBB643_377
; %bb.372:                              ;   in Loop: Header=BB643_215 Depth=1
	v_cmp_ne_u16_sdwa s[16:17], v42, s9 src0_sel:BYTE_0 src1_sel:DWORD
	v_bfrev_b32_e32 v44, 1
	s_and_saveexec_b64 s[14:15], s[16:17]
	s_cbranch_execz .LBB643_376
; %bb.373:                              ;   in Loop: Header=BB643_215 Depth=1
	v_bfe_u32 v56, v40, 16, 7
	v_cmp_ne_u32_e32 vcc, s19, v56
	v_mov_b32_e32 v44, 0x7f800001
	s_and_saveexec_b64 s[16:17], vcc
	s_cbranch_execz .LBB643_375
; %bb.374:                              ;   in Loop: Header=BB643_215 Depth=1
	v_and_b32_e32 v44, 7, v42
	v_ffbh_u32_e32 v58, v44
	v_min_u32_e32 v61, 32, v58
	v_subrev_u32_e32 v58, 28, v61
	v_lshlrev_b64 v[58:59], v58, v[42:43]
	v_lshrrev_b32_e32 v60, 3, v56
	v_sub_u32_e32 v59, 29, v61
	v_and_b32_e32 v58, 7, v58
	v_cmp_gt_u32_e32 vcc, 8, v56
	v_cndmask_b32_e32 v56, v60, v59, vcc
	v_cndmask_b32_e32 v44, v44, v58, vcc
	v_lshlrev_b32_e32 v42, 24, v42
	v_lshlrev_b32_e32 v44, 20, v44
	v_and_b32_e32 v42, 0x80000000, v42
	v_lshl_add_u32 v56, v56, 23, v55
	v_or3_b32 v44, v42, v56, v44
.LBB643_375:                            ;   in Loop: Header=BB643_215 Depth=1
	s_or_b64 exec, exec, s[16:17]
.LBB643_376:                            ;   in Loop: Header=BB643_215 Depth=1
	s_or_b64 exec, exec, s[14:15]
.LBB643_377:                            ;   in Loop: Header=BB643_215 Depth=1
	s_or_b64 exec, exec, s[12:13]
	v_cmp_lt_u32_e32 vcc, s20, v40
	v_mov_b32_e32 v58, 0
	v_mov_b32_e32 v59, 0
	s_and_saveexec_b64 s[12:13], vcc
	s_cbranch_execz .LBB643_383
; %bb.378:                              ;   in Loop: Header=BB643_215 Depth=1
	v_lshrrev_b32_e32 v42, 24, v40
	v_cmp_ne_u32_e32 vcc, s9, v42
	v_bfrev_b32_e32 v59, 1
	s_and_saveexec_b64 s[14:15], vcc
	s_cbranch_execz .LBB643_382
; %bb.379:                              ;   in Loop: Header=BB643_215 Depth=1
	v_bfe_u32 v40, v40, 24, 7
	v_cmp_ne_u32_e32 vcc, s19, v40
	v_mov_b32_e32 v59, 0x7f800001
	s_and_saveexec_b64 s[16:17], vcc
	s_cbranch_execz .LBB643_381
; %bb.380:                              ;   in Loop: Header=BB643_215 Depth=1
	v_and_b32_e32 v56, 7, v42
	v_ffbh_u32_e32 v60, v56
	v_min_u32_e32 v62, 32, v60
	v_subrev_u32_e32 v60, 28, v62
	v_lshlrev_b64 v[60:61], v60, v[42:43]
	v_lshrrev_b32_e32 v59, 3, v40
	v_sub_u32_e32 v61, 29, v62
	v_and_b32_e32 v60, 7, v60
	v_cmp_gt_u32_e32 vcc, 8, v40
	v_cndmask_b32_e32 v40, v59, v61, vcc
	v_cndmask_b32_e32 v56, v56, v60, vcc
	v_lshlrev_b32_e32 v42, 24, v42
	v_lshlrev_b32_e32 v56, 20, v56
	v_and_b32_e32 v42, 0x80000000, v42
	v_lshl_add_u32 v40, v40, 23, v55
	v_or3_b32 v59, v42, v40, v56
.LBB643_381:                            ;   in Loop: Header=BB643_215 Depth=1
	s_or_b64 exec, exec, s[16:17]
.LBB643_382:                            ;   in Loop: Header=BB643_215 Depth=1
	s_or_b64 exec, exec, s[14:15]
.LBB643_383:                            ;   in Loop: Header=BB643_215 Depth=1
	s_or_b64 exec, exec, s[12:13]
	s_waitcnt vmcnt(0)
	v_cmp_ne_u16_sdwa s[14:15], v38, v54 src0_sel:BYTE_0 src1_sel:DWORD
	s_and_saveexec_b64 s[12:13], s[14:15]
	s_cbranch_execz .LBB643_389
; %bb.384:                              ;   in Loop: Header=BB643_215 Depth=1
	v_cmp_ne_u16_sdwa s[16:17], v38, s9 src0_sel:BYTE_0 src1_sel:DWORD
	v_bfrev_b32_e32 v58, 1
	s_and_saveexec_b64 s[14:15], s[16:17]
	s_cbranch_execz .LBB643_388
; %bb.385:                              ;   in Loop: Header=BB643_215 Depth=1
	v_and_b32_e32 v40, 0x7f, v38
	v_cmp_ne_u32_e32 vcc, s19, v40
	v_mov_b32_e32 v58, 0x7f800001
	s_and_saveexec_b64 s[16:17], vcc
	s_cbranch_execz .LBB643_387
; %bb.386:                              ;   in Loop: Header=BB643_215 Depth=1
	v_and_b32_e32 v42, 7, v38
	v_ffbh_u32_e32 v58, v42
	v_min_u32_e32 v58, 32, v58
	v_subrev_u32_e32 v60, 28, v58
	v_lshlrev_b64 v[60:61], v60, v[38:39]
	v_lshrrev_b32_e32 v56, 3, v40
	v_sub_u32_e32 v58, 29, v58
	v_and_b32_e32 v60, 7, v60
	v_cmp_gt_u32_e32 vcc, 8, v40
	v_cndmask_b32_e32 v40, v56, v58, vcc
	v_cndmask_b32_e32 v42, v42, v60, vcc
	v_lshlrev_b32_e32 v56, 24, v38
	v_lshlrev_b32_e32 v42, 20, v42
	v_and_b32_e32 v56, 0x80000000, v56
	v_lshl_add_u32 v40, v40, 23, v55
	v_or3_b32 v58, v56, v40, v42
.LBB643_387:                            ;   in Loop: Header=BB643_215 Depth=1
	s_or_b64 exec, exec, s[16:17]
.LBB643_388:                            ;   in Loop: Header=BB643_215 Depth=1
	s_or_b64 exec, exec, s[14:15]
.LBB643_389:                            ;   in Loop: Header=BB643_215 Depth=1
	s_or_b64 exec, exec, s[12:13]
	v_lshrrev_b16_e32 v40, 8, v38
	v_cmp_ne_u16_e32 vcc, 0, v40
	v_mov_b32_e32 v60, 0
	v_mov_b32_e32 v61, 0
	s_and_saveexec_b64 s[12:13], vcc
	s_cbranch_execz .LBB643_395
; %bb.390:                              ;   in Loop: Header=BB643_215 Depth=1
	v_cmp_ne_u16_e32 vcc, s9, v40
	v_bfrev_b32_e32 v61, 1
	s_and_saveexec_b64 s[14:15], vcc
	s_cbranch_execz .LBB643_394
; %bb.391:                              ;   in Loop: Header=BB643_215 Depth=1
	v_and_b32_e32 v42, 0x7f, v40
	v_cmp_ne_u32_e32 vcc, s19, v42
	v_mov_b32_e32 v61, 0x7f800001
	s_and_saveexec_b64 s[16:17], vcc
	s_cbranch_execz .LBB643_393
; %bb.392:                              ;   in Loop: Header=BB643_215 Depth=1
	v_and_b32_e32 v56, 7, v40
	v_ffbh_u32_e32 v62, v56
	v_min_u32_e32 v64, 32, v62
	v_subrev_u32_e32 v62, 28, v64
	v_lshlrev_b64 v[62:63], v62, v[40:41]
	v_lshrrev_b32_e32 v61, 3, v42
	v_sub_u32_e32 v40, 29, v64
	v_and_b32_e32 v62, 7, v62
	v_cmp_gt_u32_e32 vcc, 8, v42
	v_cndmask_b32_e32 v40, v61, v40, vcc
	v_cndmask_b32_e32 v42, v56, v62, vcc
	v_lshlrev_b32_e32 v56, 16, v38
	v_lshlrev_b32_e32 v42, 20, v42
	v_and_b32_e32 v56, 0x80000000, v56
	v_lshl_add_u32 v40, v40, 23, v55
	v_or3_b32 v61, v56, v40, v42
.LBB643_393:                            ;   in Loop: Header=BB643_215 Depth=1
	s_or_b64 exec, exec, s[16:17]
.LBB643_394:                            ;   in Loop: Header=BB643_215 Depth=1
	s_or_b64 exec, exec, s[14:15]
.LBB643_395:                            ;   in Loop: Header=BB643_215 Depth=1
	s_or_b64 exec, exec, s[12:13]
	v_lshrrev_b32_e32 v40, 16, v38
	v_cmp_ne_u16_sdwa s[14:15], v40, v54 src0_sel:BYTE_0 src1_sel:DWORD
	s_and_saveexec_b64 s[12:13], s[14:15]
	s_cbranch_execz .LBB643_401
; %bb.396:                              ;   in Loop: Header=BB643_215 Depth=1
	v_cmp_ne_u16_sdwa s[16:17], v40, s9 src0_sel:BYTE_0 src1_sel:DWORD
	v_bfrev_b32_e32 v60, 1
	s_and_saveexec_b64 s[14:15], s[16:17]
	s_cbranch_execz .LBB643_400
; %bb.397:                              ;   in Loop: Header=BB643_215 Depth=1
	v_bfe_u32 v42, v38, 16, 7
	v_cmp_ne_u32_e32 vcc, s19, v42
	v_mov_b32_e32 v60, 0x7f800001
	s_and_saveexec_b64 s[16:17], vcc
	s_cbranch_execz .LBB643_399
; %bb.398:                              ;   in Loop: Header=BB643_215 Depth=1
	v_and_b32_e32 v56, 7, v40
	v_ffbh_u32_e32 v62, v56
	v_min_u32_e32 v64, 32, v62
	v_subrev_u32_e32 v62, 28, v64
	v_lshlrev_b64 v[62:63], v62, v[40:41]
	v_lshrrev_b32_e32 v60, 3, v42
	v_sub_u32_e32 v63, 29, v64
	v_and_b32_e32 v62, 7, v62
	v_cmp_gt_u32_e32 vcc, 8, v42
	v_cndmask_b32_e32 v42, v60, v63, vcc
	v_cndmask_b32_e32 v56, v56, v62, vcc
	v_lshlrev_b32_e32 v40, 24, v40
	v_lshlrev_b32_e32 v56, 20, v56
	v_and_b32_e32 v40, 0x80000000, v40
	v_lshl_add_u32 v42, v42, 23, v55
	v_or3_b32 v60, v40, v42, v56
.LBB643_399:                            ;   in Loop: Header=BB643_215 Depth=1
	s_or_b64 exec, exec, s[16:17]
.LBB643_400:                            ;   in Loop: Header=BB643_215 Depth=1
	s_or_b64 exec, exec, s[14:15]
.LBB643_401:                            ;   in Loop: Header=BB643_215 Depth=1
	s_or_b64 exec, exec, s[12:13]
	v_cmp_lt_u32_e32 vcc, s20, v38
	v_mov_b32_e32 v56, 0
	v_mov_b32_e32 v62, 0
	s_and_saveexec_b64 s[12:13], vcc
	s_cbranch_execz .LBB643_407
; %bb.402:                              ;   in Loop: Header=BB643_215 Depth=1
	v_lshrrev_b32_e32 v40, 24, v38
	v_cmp_ne_u32_e32 vcc, s9, v40
	v_bfrev_b32_e32 v62, 1
	s_and_saveexec_b64 s[14:15], vcc
	s_cbranch_execz .LBB643_406
; %bb.403:                              ;   in Loop: Header=BB643_215 Depth=1
	v_bfe_u32 v38, v38, 24, 7
	v_cmp_ne_u32_e32 vcc, s19, v38
	v_mov_b32_e32 v62, 0x7f800001
	s_and_saveexec_b64 s[16:17], vcc
	s_cbranch_execz .LBB643_405
; %bb.404:                              ;   in Loop: Header=BB643_215 Depth=1
	v_and_b32_e32 v42, 7, v40
	v_ffbh_u32_e32 v62, v42
	v_min_u32_e32 v65, 32, v62
	v_subrev_u32_e32 v62, 28, v65
	v_lshlrev_b64 v[62:63], v62, v[40:41]
	v_lshrrev_b32_e32 v64, 3, v38
	v_sub_u32_e32 v63, 29, v65
	v_and_b32_e32 v62, 7, v62
	v_cmp_gt_u32_e32 vcc, 8, v38
	v_cndmask_b32_e32 v38, v64, v63, vcc
	v_cndmask_b32_e32 v42, v42, v62, vcc
	v_lshlrev_b32_e32 v40, 24, v40
	v_lshlrev_b32_e32 v42, 20, v42
	v_and_b32_e32 v40, 0x80000000, v40
	v_lshl_add_u32 v38, v38, 23, v55
	v_or3_b32 v62, v40, v38, v42
.LBB643_405:                            ;   in Loop: Header=BB643_215 Depth=1
	s_or_b64 exec, exec, s[16:17]
.LBB643_406:                            ;   in Loop: Header=BB643_215 Depth=1
	s_or_b64 exec, exec, s[14:15]
.LBB643_407:                            ;   in Loop: Header=BB643_215 Depth=1
	s_or_b64 exec, exec, s[12:13]
	v_cvt_pkrtz_f16_f32 v65, v44, v59
	buffer_load_dword v44, v51, s[0:3], 0 offen
	buffer_load_dword v42, v51, s[0:3], 0 offen offset:4
	buffer_load_dword v40, v51, s[0:3], 0 offen offset:8
	;; [unrolled: 1-line block ×3, first 2 shown]
	v_cvt_pkrtz_f16_f32 v64, v46, v57
	v_cvt_pkrtz_f16_f32 v58, v58, v61
	;; [unrolled: 1-line block ×3, first 2 shown]
	v_mfma_f32_16x16x16f16 v[34:37], v[64:65], v[14:15], v[34:37]
	s_waitcnt vmcnt(3)
	v_cmp_ne_u16_sdwa s[14:15], v44, v54 src0_sel:BYTE_0 src1_sel:DWORD
	v_mfma_f32_16x16x16f16 v[34:37], v[58:59], v[16:17], v[34:37]
	s_and_saveexec_b64 s[12:13], s[14:15]
	s_cbranch_execz .LBB643_413
; %bb.408:                              ;   in Loop: Header=BB643_215 Depth=1
	v_cmp_ne_u16_sdwa s[16:17], v44, s9 src0_sel:BYTE_0 src1_sel:DWORD
	v_bfrev_b32_e32 v56, 1
	s_and_saveexec_b64 s[14:15], s[16:17]
	s_cbranch_execz .LBB643_412
; %bb.409:                              ;   in Loop: Header=BB643_215 Depth=1
	v_and_b32_e32 v46, 0x7f, v44
	v_cmp_ne_u32_e32 vcc, s19, v46
	v_mov_b32_e32 v56, 0x7f800001
	s_and_saveexec_b64 s[16:17], vcc
	s_cbranch_execz .LBB643_411
; %bb.410:                              ;   in Loop: Header=BB643_215 Depth=1
	v_and_b32_e32 v51, 7, v44
	v_ffbh_u32_e32 v56, v51
	v_min_u32_e32 v59, 32, v56
	v_subrev_u32_e32 v56, 28, v59
	v_lshlrev_b64 v[56:57], v56, v[44:45]
	v_lshrrev_b32_e32 v58, 3, v46
	v_sub_u32_e32 v57, 29, v59
	v_and_b32_e32 v56, 7, v56
	v_cmp_gt_u32_e32 vcc, 8, v46
	v_cndmask_b32_e32 v46, v58, v57, vcc
	v_cndmask_b32_e32 v51, v51, v56, vcc
	v_lshlrev_b32_e32 v56, 24, v44
	v_lshlrev_b32_e32 v51, 20, v51
	v_and_b32_e32 v56, 0x80000000, v56
	v_lshl_add_u32 v46, v46, 23, v55
	v_or3_b32 v56, v56, v46, v51
.LBB643_411:                            ;   in Loop: Header=BB643_215 Depth=1
	s_or_b64 exec, exec, s[16:17]
.LBB643_412:                            ;   in Loop: Header=BB643_215 Depth=1
	s_or_b64 exec, exec, s[14:15]
.LBB643_413:                            ;   in Loop: Header=BB643_215 Depth=1
	s_or_b64 exec, exec, s[12:13]
	v_lshrrev_b16_e32 v46, 8, v44
	v_cmp_ne_u16_e32 vcc, 0, v46
	v_mov_b32_e32 v51, 0
	v_mov_b32_e32 v57, 0
	s_and_saveexec_b64 s[12:13], vcc
	s_cbranch_execz .LBB643_419
; %bb.414:                              ;   in Loop: Header=BB643_215 Depth=1
	v_cmp_ne_u16_e32 vcc, s9, v46
	v_bfrev_b32_e32 v57, 1
	s_and_saveexec_b64 s[14:15], vcc
	s_cbranch_execz .LBB643_418
; %bb.415:                              ;   in Loop: Header=BB643_215 Depth=1
	v_and_b32_e32 v58, 0x7f, v46
	v_cmp_ne_u32_e32 vcc, s19, v58
	v_mov_b32_e32 v57, 0x7f800001
	s_and_saveexec_b64 s[16:17], vcc
	s_cbranch_execz .LBB643_417
; %bb.416:                              ;   in Loop: Header=BB643_215 Depth=1
	v_and_b32_e32 v57, 7, v46
	v_ffbh_u32_e32 v60, v57
	v_min_u32_e32 v62, 32, v60
	v_subrev_u32_e32 v60, 28, v62
	v_lshlrev_b64 v[60:61], v60, v[46:47]
	v_lshrrev_b32_e32 v59, 3, v58
	v_sub_u32_e32 v46, 29, v62
	v_and_b32_e32 v60, 7, v60
	v_cmp_gt_u32_e32 vcc, 8, v58
	v_cndmask_b32_e32 v46, v59, v46, vcc
	v_cndmask_b32_e32 v57, v57, v60, vcc
	v_lshlrev_b32_e32 v58, 16, v44
	v_lshlrev_b32_e32 v57, 20, v57
	v_and_b32_e32 v58, 0x80000000, v58
	v_lshl_add_u32 v46, v46, 23, v55
	v_or3_b32 v57, v58, v46, v57
.LBB643_417:                            ;   in Loop: Header=BB643_215 Depth=1
	s_or_b64 exec, exec, s[16:17]
.LBB643_418:                            ;   in Loop: Header=BB643_215 Depth=1
	s_or_b64 exec, exec, s[14:15]
.LBB643_419:                            ;   in Loop: Header=BB643_215 Depth=1
	s_or_b64 exec, exec, s[12:13]
	v_lshrrev_b32_e32 v46, 16, v44
	v_cmp_ne_u16_sdwa s[14:15], v46, v54 src0_sel:BYTE_0 src1_sel:DWORD
	s_and_saveexec_b64 s[12:13], s[14:15]
	s_cbranch_execz .LBB643_425
; %bb.420:                              ;   in Loop: Header=BB643_215 Depth=1
	v_cmp_ne_u16_sdwa s[16:17], v46, s9 src0_sel:BYTE_0 src1_sel:DWORD
	v_bfrev_b32_e32 v51, 1
	s_and_saveexec_b64 s[14:15], s[16:17]
	s_cbranch_execz .LBB643_424
; %bb.421:                              ;   in Loop: Header=BB643_215 Depth=1
	v_bfe_u32 v58, v44, 16, 7
	v_cmp_ne_u32_e32 vcc, s19, v58
	v_mov_b32_e32 v51, 0x7f800001
	s_and_saveexec_b64 s[16:17], vcc
	s_cbranch_execz .LBB643_423
; %bb.422:                              ;   in Loop: Header=BB643_215 Depth=1
	v_and_b32_e32 v51, 7, v46
	v_ffbh_u32_e32 v60, v51
	v_min_u32_e32 v62, 32, v60
	v_subrev_u32_e32 v60, 28, v62
	v_lshlrev_b64 v[60:61], v60, v[46:47]
	v_lshrrev_b32_e32 v59, 3, v58
	v_sub_u32_e32 v61, 29, v62
	v_and_b32_e32 v60, 7, v60
	v_cmp_gt_u32_e32 vcc, 8, v58
	v_cndmask_b32_e32 v58, v59, v61, vcc
	v_cndmask_b32_e32 v51, v51, v60, vcc
	v_lshlrev_b32_e32 v46, 24, v46
	v_lshlrev_b32_e32 v51, 20, v51
	v_and_b32_e32 v46, 0x80000000, v46
	v_lshl_add_u32 v58, v58, 23, v55
	v_or3_b32 v51, v46, v58, v51
.LBB643_423:                            ;   in Loop: Header=BB643_215 Depth=1
	s_or_b64 exec, exec, s[16:17]
.LBB643_424:                            ;   in Loop: Header=BB643_215 Depth=1
	s_or_b64 exec, exec, s[14:15]
.LBB643_425:                            ;   in Loop: Header=BB643_215 Depth=1
	s_or_b64 exec, exec, s[12:13]
	v_cmp_lt_u32_e32 vcc, s20, v44
	v_mov_b32_e32 v58, 0
	v_mov_b32_e32 v59, 0
	s_and_saveexec_b64 s[12:13], vcc
	s_cbranch_execz .LBB643_431
; %bb.426:                              ;   in Loop: Header=BB643_215 Depth=1
	v_lshrrev_b32_e32 v46, 24, v44
	v_cmp_ne_u32_e32 vcc, s9, v46
	v_bfrev_b32_e32 v59, 1
	s_and_saveexec_b64 s[14:15], vcc
	s_cbranch_execz .LBB643_430
; %bb.427:                              ;   in Loop: Header=BB643_215 Depth=1
	v_bfe_u32 v44, v44, 24, 7
	v_cmp_ne_u32_e32 vcc, s19, v44
	v_mov_b32_e32 v59, 0x7f800001
	s_and_saveexec_b64 s[16:17], vcc
	s_cbranch_execz .LBB643_429
; %bb.428:                              ;   in Loop: Header=BB643_215 Depth=1
	v_and_b32_e32 v59, 7, v46
	v_ffbh_u32_e32 v60, v59
	v_min_u32_e32 v63, 32, v60
	v_subrev_u32_e32 v60, 28, v63
	v_lshlrev_b64 v[60:61], v60, v[46:47]
	v_lshrrev_b32_e32 v62, 3, v44
	v_sub_u32_e32 v61, 29, v63
	v_and_b32_e32 v60, 7, v60
	v_cmp_gt_u32_e32 vcc, 8, v44
	v_cndmask_b32_e32 v44, v62, v61, vcc
	v_cndmask_b32_e32 v59, v59, v60, vcc
	v_lshlrev_b32_e32 v46, 24, v46
	v_lshlrev_b32_e32 v59, 20, v59
	v_and_b32_e32 v46, 0x80000000, v46
	v_lshl_add_u32 v44, v44, 23, v55
	v_or3_b32 v59, v46, v44, v59
.LBB643_429:                            ;   in Loop: Header=BB643_215 Depth=1
	s_or_b64 exec, exec, s[16:17]
.LBB643_430:                            ;   in Loop: Header=BB643_215 Depth=1
	s_or_b64 exec, exec, s[14:15]
.LBB643_431:                            ;   in Loop: Header=BB643_215 Depth=1
	s_or_b64 exec, exec, s[12:13]
	s_waitcnt vmcnt(2)
	v_cmp_ne_u16_sdwa s[14:15], v42, v54 src0_sel:BYTE_0 src1_sel:DWORD
	s_and_saveexec_b64 s[12:13], s[14:15]
	s_cbranch_execz .LBB643_437
; %bb.432:                              ;   in Loop: Header=BB643_215 Depth=1
	v_cmp_ne_u16_sdwa s[16:17], v42, s9 src0_sel:BYTE_0 src1_sel:DWORD
	v_bfrev_b32_e32 v58, 1
	s_and_saveexec_b64 s[14:15], s[16:17]
	s_cbranch_execz .LBB643_436
; %bb.433:                              ;   in Loop: Header=BB643_215 Depth=1
	v_and_b32_e32 v44, 0x7f, v42
	v_cmp_ne_u32_e32 vcc, s19, v44
	v_mov_b32_e32 v58, 0x7f800001
	s_and_saveexec_b64 s[16:17], vcc
	s_cbranch_execz .LBB643_435
; %bb.434:                              ;   in Loop: Header=BB643_215 Depth=1
	v_and_b32_e32 v46, 7, v42
	v_ffbh_u32_e32 v60, v46
	v_min_u32_e32 v62, 32, v60
	v_subrev_u32_e32 v60, 28, v62
	v_lshlrev_b64 v[60:61], v60, v[42:43]
	v_lshrrev_b32_e32 v58, 3, v44
	v_sub_u32_e32 v61, 29, v62
	v_and_b32_e32 v60, 7, v60
	v_cmp_gt_u32_e32 vcc, 8, v44
	v_cndmask_b32_e32 v44, v58, v61, vcc
	v_cndmask_b32_e32 v46, v46, v60, vcc
	v_lshlrev_b32_e32 v58, 24, v42
	v_lshlrev_b32_e32 v46, 20, v46
	v_and_b32_e32 v58, 0x80000000, v58
	v_lshl_add_u32 v44, v44, 23, v55
	v_or3_b32 v58, v58, v44, v46
.LBB643_435:                            ;   in Loop: Header=BB643_215 Depth=1
	s_or_b64 exec, exec, s[16:17]
.LBB643_436:                            ;   in Loop: Header=BB643_215 Depth=1
	s_or_b64 exec, exec, s[14:15]
.LBB643_437:                            ;   in Loop: Header=BB643_215 Depth=1
	s_or_b64 exec, exec, s[12:13]
	v_lshrrev_b16_e32 v44, 8, v42
	v_cmp_ne_u16_e32 vcc, 0, v44
	v_mov_b32_e32 v60, 0
	v_mov_b32_e32 v61, 0
	s_and_saveexec_b64 s[12:13], vcc
	s_cbranch_execz .LBB643_443
; %bb.438:                              ;   in Loop: Header=BB643_215 Depth=1
	v_cmp_ne_u16_e32 vcc, s9, v44
	v_bfrev_b32_e32 v61, 1
	s_and_saveexec_b64 s[14:15], vcc
	s_cbranch_execz .LBB643_442
; %bb.439:                              ;   in Loop: Header=BB643_215 Depth=1
	v_and_b32_e32 v46, 0x7f, v44
	v_cmp_ne_u32_e32 vcc, s19, v46
	v_mov_b32_e32 v61, 0x7f800001
	s_and_saveexec_b64 s[16:17], vcc
	s_cbranch_execz .LBB643_441
; %bb.440:                              ;   in Loop: Header=BB643_215 Depth=1
	v_and_b32_e32 v61, 7, v44
	v_ffbh_u32_e32 v62, v61
	v_min_u32_e32 v65, 32, v62
	v_subrev_u32_e32 v62, 28, v65
	v_lshlrev_b64 v[62:63], v62, v[44:45]
	v_lshrrev_b32_e32 v64, 3, v46
	v_sub_u32_e32 v44, 29, v65
	v_and_b32_e32 v62, 7, v62
	v_cmp_gt_u32_e32 vcc, 8, v46
	v_cndmask_b32_e32 v44, v64, v44, vcc
	v_cndmask_b32_e32 v46, v61, v62, vcc
	v_lshlrev_b32_e32 v61, 16, v42
	v_lshlrev_b32_e32 v46, 20, v46
	v_and_b32_e32 v61, 0x80000000, v61
	v_lshl_add_u32 v44, v44, 23, v55
	v_or3_b32 v61, v61, v44, v46
.LBB643_441:                            ;   in Loop: Header=BB643_215 Depth=1
	s_or_b64 exec, exec, s[16:17]
.LBB643_442:                            ;   in Loop: Header=BB643_215 Depth=1
	s_or_b64 exec, exec, s[14:15]
.LBB643_443:                            ;   in Loop: Header=BB643_215 Depth=1
	s_or_b64 exec, exec, s[12:13]
	v_lshrrev_b32_e32 v44, 16, v42
	v_cmp_ne_u16_sdwa s[14:15], v44, v54 src0_sel:BYTE_0 src1_sel:DWORD
	s_and_saveexec_b64 s[12:13], s[14:15]
	s_cbranch_execz .LBB643_449
; %bb.444:                              ;   in Loop: Header=BB643_215 Depth=1
	v_cmp_ne_u16_sdwa s[16:17], v44, s9 src0_sel:BYTE_0 src1_sel:DWORD
	v_bfrev_b32_e32 v60, 1
	s_and_saveexec_b64 s[14:15], s[16:17]
	s_cbranch_execz .LBB643_448
; %bb.445:                              ;   in Loop: Header=BB643_215 Depth=1
	v_bfe_u32 v46, v42, 16, 7
	v_cmp_ne_u32_e32 vcc, s19, v46
	v_mov_b32_e32 v60, 0x7f800001
	s_and_saveexec_b64 s[16:17], vcc
	s_cbranch_execz .LBB643_447
; %bb.446:                              ;   in Loop: Header=BB643_215 Depth=1
	v_and_b32_e32 v60, 7, v44
	v_ffbh_u32_e32 v62, v60
	v_min_u32_e32 v65, 32, v62
	v_subrev_u32_e32 v62, 28, v65
	v_lshlrev_b64 v[62:63], v62, v[44:45]
	v_lshrrev_b32_e32 v64, 3, v46
	v_sub_u32_e32 v63, 29, v65
	v_and_b32_e32 v62, 7, v62
	v_cmp_gt_u32_e32 vcc, 8, v46
	v_cndmask_b32_e32 v46, v64, v63, vcc
	v_cndmask_b32_e32 v60, v60, v62, vcc
	v_lshlrev_b32_e32 v44, 24, v44
	v_lshlrev_b32_e32 v60, 20, v60
	v_and_b32_e32 v44, 0x80000000, v44
	v_lshl_add_u32 v46, v46, 23, v55
	v_or3_b32 v60, v44, v46, v60
.LBB643_447:                            ;   in Loop: Header=BB643_215 Depth=1
	s_or_b64 exec, exec, s[16:17]
.LBB643_448:                            ;   in Loop: Header=BB643_215 Depth=1
	s_or_b64 exec, exec, s[14:15]
.LBB643_449:                            ;   in Loop: Header=BB643_215 Depth=1
	s_or_b64 exec, exec, s[12:13]
	v_cmp_lt_u32_e32 vcc, s20, v42
	v_mov_b32_e32 v46, 0
	v_mov_b32_e32 v62, 0
	s_and_saveexec_b64 s[12:13], vcc
	s_cbranch_execz .LBB643_455
; %bb.450:                              ;   in Loop: Header=BB643_215 Depth=1
	v_lshrrev_b32_e32 v44, 24, v42
	v_cmp_ne_u32_e32 vcc, s9, v44
	v_bfrev_b32_e32 v62, 1
	s_and_saveexec_b64 s[14:15], vcc
	s_cbranch_execz .LBB643_454
; %bb.451:                              ;   in Loop: Header=BB643_215 Depth=1
	v_bfe_u32 v42, v42, 24, 7
	v_cmp_ne_u32_e32 vcc, s19, v42
	v_mov_b32_e32 v62, 0x7f800001
	s_and_saveexec_b64 s[16:17], vcc
	s_cbranch_execz .LBB643_453
; %bb.452:                              ;   in Loop: Header=BB643_215 Depth=1
	v_and_b32_e32 v64, 7, v44
	v_ffbh_u32_e32 v62, v64
	v_min_u32_e32 v66, 32, v62
	v_subrev_u32_e32 v62, 28, v66
	v_lshlrev_b64 v[62:63], v62, v[44:45]
	v_lshrrev_b32_e32 v65, 3, v42
	v_sub_u32_e32 v63, 29, v66
	v_and_b32_e32 v62, 7, v62
	v_cmp_gt_u32_e32 vcc, 8, v42
	v_cndmask_b32_e32 v42, v65, v63, vcc
	v_cndmask_b32_e32 v62, v64, v62, vcc
	v_lshlrev_b32_e32 v44, 24, v44
	v_lshlrev_b32_e32 v62, 20, v62
	v_and_b32_e32 v44, 0x80000000, v44
	v_lshl_add_u32 v42, v42, 23, v55
	v_or3_b32 v62, v44, v42, v62
.LBB643_453:                            ;   in Loop: Header=BB643_215 Depth=1
	s_or_b64 exec, exec, s[16:17]
.LBB643_454:                            ;   in Loop: Header=BB643_215 Depth=1
	s_or_b64 exec, exec, s[14:15]
.LBB643_455:                            ;   in Loop: Header=BB643_215 Depth=1
	s_or_b64 exec, exec, s[12:13]
	v_cvt_pkrtz_f16_f32 v56, v56, v57
	v_cvt_pkrtz_f16_f32 v57, v51, v59
	s_waitcnt vmcnt(1)
	v_cmp_ne_u16_sdwa s[14:15], v40, v54 src0_sel:BYTE_0 src1_sel:DWORD
	v_mfma_f32_16x16x16f16 v[34:37], v[56:57], v[18:19], v[34:37]
	v_cvt_pkrtz_f16_f32 v56, v58, v61
	v_cvt_pkrtz_f16_f32 v57, v60, v62
	s_nop 1
	v_mfma_f32_16x16x16f16 v[34:37], v[56:57], v[20:21], v[34:37]
	s_and_saveexec_b64 s[12:13], s[14:15]
	s_cbranch_execz .LBB643_461
; %bb.456:                              ;   in Loop: Header=BB643_215 Depth=1
	v_cmp_ne_u16_sdwa s[16:17], v40, s9 src0_sel:BYTE_0 src1_sel:DWORD
	v_bfrev_b32_e32 v46, 1
	s_and_saveexec_b64 s[14:15], s[16:17]
	s_cbranch_execz .LBB643_460
; %bb.457:                              ;   in Loop: Header=BB643_215 Depth=1
	v_and_b32_e32 v42, 0x7f, v40
	v_cmp_ne_u32_e32 vcc, s19, v42
	v_mov_b32_e32 v46, 0x7f800001
	s_and_saveexec_b64 s[16:17], vcc
	s_cbranch_execz .LBB643_459
; %bb.458:                              ;   in Loop: Header=BB643_215 Depth=1
	v_and_b32_e32 v44, 7, v40
	v_ffbh_u32_e32 v51, v44
	v_min_u32_e32 v51, 32, v51
	v_subrev_u32_e32 v56, 28, v51
	v_lshlrev_b64 v[56:57], v56, v[40:41]
	v_lshrrev_b32_e32 v46, 3, v42
	v_sub_u32_e32 v51, 29, v51
	v_and_b32_e32 v56, 7, v56
	v_cmp_gt_u32_e32 vcc, 8, v42
	v_cndmask_b32_e32 v42, v46, v51, vcc
	v_cndmask_b32_e32 v44, v44, v56, vcc
	v_lshlrev_b32_e32 v46, 24, v40
	v_lshlrev_b32_e32 v44, 20, v44
	v_and_b32_e32 v46, 0x80000000, v46
	v_lshl_add_u32 v42, v42, 23, v55
	v_or3_b32 v46, v46, v42, v44
.LBB643_459:                            ;   in Loop: Header=BB643_215 Depth=1
	s_or_b64 exec, exec, s[16:17]
.LBB643_460:                            ;   in Loop: Header=BB643_215 Depth=1
	s_or_b64 exec, exec, s[14:15]
.LBB643_461:                            ;   in Loop: Header=BB643_215 Depth=1
	s_or_b64 exec, exec, s[12:13]
	v_lshrrev_b16_e32 v42, 8, v40
	v_cmp_ne_u16_e32 vcc, 0, v42
	v_mov_b32_e32 v44, 0
	v_mov_b32_e32 v56, 0
	s_and_saveexec_b64 s[12:13], vcc
	s_cbranch_execz .LBB643_467
; %bb.462:                              ;   in Loop: Header=BB643_215 Depth=1
	v_cmp_ne_u16_e32 vcc, s9, v42
	v_bfrev_b32_e32 v56, 1
	s_and_saveexec_b64 s[14:15], vcc
	s_cbranch_execz .LBB643_466
; %bb.463:                              ;   in Loop: Header=BB643_215 Depth=1
	v_and_b32_e32 v51, 0x7f, v42
	v_cmp_ne_u32_e32 vcc, s19, v51
	v_mov_b32_e32 v56, 0x7f800001
	s_and_saveexec_b64 s[16:17], vcc
	s_cbranch_execz .LBB643_465
; %bb.464:                              ;   in Loop: Header=BB643_215 Depth=1
	v_and_b32_e32 v58, 7, v42
	v_ffbh_u32_e32 v56, v58
	v_min_u32_e32 v60, 32, v56
	v_subrev_u32_e32 v56, 28, v60
	v_lshlrev_b64 v[56:57], v56, v[42:43]
	v_lshrrev_b32_e32 v59, 3, v51
	v_sub_u32_e32 v42, 29, v60
	v_and_b32_e32 v56, 7, v56
	v_cmp_gt_u32_e32 vcc, 8, v51
	v_cndmask_b32_e32 v42, v59, v42, vcc
	v_cndmask_b32_e32 v51, v58, v56, vcc
	v_lshlrev_b32_e32 v56, 16, v40
	v_lshlrev_b32_e32 v51, 20, v51
	v_and_b32_e32 v56, 0x80000000, v56
	v_lshl_add_u32 v42, v42, 23, v55
	v_or3_b32 v56, v56, v42, v51
.LBB643_465:                            ;   in Loop: Header=BB643_215 Depth=1
	s_or_b64 exec, exec, s[16:17]
.LBB643_466:                            ;   in Loop: Header=BB643_215 Depth=1
	s_or_b64 exec, exec, s[14:15]
.LBB643_467:                            ;   in Loop: Header=BB643_215 Depth=1
	s_or_b64 exec, exec, s[12:13]
	v_lshrrev_b32_e32 v42, 16, v40
	v_cmp_ne_u16_sdwa s[14:15], v42, v54 src0_sel:BYTE_0 src1_sel:DWORD
	s_and_saveexec_b64 s[12:13], s[14:15]
	s_cbranch_execz .LBB643_473
; %bb.468:                              ;   in Loop: Header=BB643_215 Depth=1
	v_cmp_ne_u16_sdwa s[16:17], v42, s9 src0_sel:BYTE_0 src1_sel:DWORD
	v_bfrev_b32_e32 v44, 1
	s_and_saveexec_b64 s[14:15], s[16:17]
	s_cbranch_execz .LBB643_472
; %bb.469:                              ;   in Loop: Header=BB643_215 Depth=1
	v_bfe_u32 v51, v40, 16, 7
	v_cmp_ne_u32_e32 vcc, s19, v51
	v_mov_b32_e32 v44, 0x7f800001
	s_and_saveexec_b64 s[16:17], vcc
	s_cbranch_execz .LBB643_471
; %bb.470:                              ;   in Loop: Header=BB643_215 Depth=1
	v_and_b32_e32 v44, 7, v42
	v_ffbh_u32_e32 v58, v44
	v_min_u32_e32 v60, 32, v58
	v_subrev_u32_e32 v58, 28, v60
	v_lshlrev_b64 v[58:59], v58, v[42:43]
	v_lshrrev_b32_e32 v57, 3, v51
	v_sub_u32_e32 v59, 29, v60
	v_and_b32_e32 v58, 7, v58
	v_cmp_gt_u32_e32 vcc, 8, v51
	v_cndmask_b32_e32 v51, v57, v59, vcc
	v_cndmask_b32_e32 v44, v44, v58, vcc
	v_lshlrev_b32_e32 v42, 24, v42
	v_lshlrev_b32_e32 v44, 20, v44
	v_and_b32_e32 v42, 0x80000000, v42
	v_lshl_add_u32 v51, v51, 23, v55
	v_or3_b32 v44, v42, v51, v44
.LBB643_471:                            ;   in Loop: Header=BB643_215 Depth=1
	s_or_b64 exec, exec, s[16:17]
.LBB643_472:                            ;   in Loop: Header=BB643_215 Depth=1
	s_or_b64 exec, exec, s[14:15]
.LBB643_473:                            ;   in Loop: Header=BB643_215 Depth=1
	s_or_b64 exec, exec, s[12:13]
	v_cmp_lt_u32_e32 vcc, s20, v40
	v_mov_b32_e32 v57, 0
	v_mov_b32_e32 v58, 0
	s_and_saveexec_b64 s[12:13], vcc
	s_cbranch_execz .LBB643_479
; %bb.474:                              ;   in Loop: Header=BB643_215 Depth=1
	v_lshrrev_b32_e32 v42, 24, v40
	v_cmp_ne_u32_e32 vcc, s9, v42
	v_bfrev_b32_e32 v58, 1
	s_and_saveexec_b64 s[14:15], vcc
	s_cbranch_execz .LBB643_478
; %bb.475:                              ;   in Loop: Header=BB643_215 Depth=1
	v_bfe_u32 v40, v40, 24, 7
	v_cmp_ne_u32_e32 vcc, s19, v40
	v_mov_b32_e32 v58, 0x7f800001
	s_and_saveexec_b64 s[16:17], vcc
	s_cbranch_execz .LBB643_477
; %bb.476:                              ;   in Loop: Header=BB643_215 Depth=1
	v_and_b32_e32 v51, 7, v42
	v_ffbh_u32_e32 v58, v51
	v_min_u32_e32 v61, 32, v58
	v_subrev_u32_e32 v58, 28, v61
	v_lshlrev_b64 v[58:59], v58, v[42:43]
	v_lshrrev_b32_e32 v60, 3, v40
	v_sub_u32_e32 v59, 29, v61
	v_and_b32_e32 v58, 7, v58
	v_cmp_gt_u32_e32 vcc, 8, v40
	v_cndmask_b32_e32 v40, v60, v59, vcc
	v_cndmask_b32_e32 v51, v51, v58, vcc
	v_lshlrev_b32_e32 v42, 24, v42
	v_lshlrev_b32_e32 v51, 20, v51
	v_and_b32_e32 v42, 0x80000000, v42
	v_lshl_add_u32 v40, v40, 23, v55
	v_or3_b32 v58, v42, v40, v51
.LBB643_477:                            ;   in Loop: Header=BB643_215 Depth=1
	s_or_b64 exec, exec, s[16:17]
.LBB643_478:                            ;   in Loop: Header=BB643_215 Depth=1
	s_or_b64 exec, exec, s[14:15]
.LBB643_479:                            ;   in Loop: Header=BB643_215 Depth=1
	s_or_b64 exec, exec, s[12:13]
	s_waitcnt vmcnt(0)
	v_cmp_ne_u16_sdwa s[14:15], v38, v54 src0_sel:BYTE_0 src1_sel:DWORD
	s_and_saveexec_b64 s[12:13], s[14:15]
	s_cbranch_execz .LBB643_485
; %bb.480:                              ;   in Loop: Header=BB643_215 Depth=1
	v_cmp_ne_u16_sdwa s[16:17], v38, s9 src0_sel:BYTE_0 src1_sel:DWORD
	v_bfrev_b32_e32 v57, 1
	s_and_saveexec_b64 s[14:15], s[16:17]
	s_cbranch_execz .LBB643_484
; %bb.481:                              ;   in Loop: Header=BB643_215 Depth=1
	v_and_b32_e32 v40, 0x7f, v38
	v_cmp_ne_u32_e32 vcc, s19, v40
	v_mov_b32_e32 v57, 0x7f800001
	s_and_saveexec_b64 s[16:17], vcc
	s_cbranch_execz .LBB643_483
; %bb.482:                              ;   in Loop: Header=BB643_215 Depth=1
	v_and_b32_e32 v42, 7, v38
	v_ffbh_u32_e32 v57, v42
	v_min_u32_e32 v57, 32, v57
	v_subrev_u32_e32 v59, 28, v57
	v_lshlrev_b64 v[60:61], v59, v[38:39]
	v_lshrrev_b32_e32 v51, 3, v40
	v_sub_u32_e32 v57, 29, v57
	v_and_b32_e32 v59, 7, v60
	v_cmp_gt_u32_e32 vcc, 8, v40
	v_cndmask_b32_e32 v40, v51, v57, vcc
	v_cndmask_b32_e32 v42, v42, v59, vcc
	v_lshlrev_b32_e32 v51, 24, v38
	v_lshlrev_b32_e32 v42, 20, v42
	v_and_b32_e32 v51, 0x80000000, v51
	v_lshl_add_u32 v40, v40, 23, v55
	v_or3_b32 v57, v51, v40, v42
.LBB643_483:                            ;   in Loop: Header=BB643_215 Depth=1
	s_or_b64 exec, exec, s[16:17]
.LBB643_484:                            ;   in Loop: Header=BB643_215 Depth=1
	s_or_b64 exec, exec, s[14:15]
.LBB643_485:                            ;   in Loop: Header=BB643_215 Depth=1
	s_or_b64 exec, exec, s[12:13]
	v_lshrrev_b16_e32 v40, 8, v38
	v_cmp_ne_u16_e32 vcc, 0, v40
	v_mov_b32_e32 v59, 0
	v_mov_b32_e32 v60, 0
	s_and_saveexec_b64 s[12:13], vcc
	s_cbranch_execz .LBB643_491
; %bb.486:                              ;   in Loop: Header=BB643_215 Depth=1
	v_cmp_ne_u16_e32 vcc, s9, v40
	v_bfrev_b32_e32 v60, 1
	s_and_saveexec_b64 s[14:15], vcc
	s_cbranch_execz .LBB643_490
; %bb.487:                              ;   in Loop: Header=BB643_215 Depth=1
	v_and_b32_e32 v42, 0x7f, v40
	v_cmp_ne_u32_e32 vcc, s19, v42
	v_mov_b32_e32 v60, 0x7f800001
	s_and_saveexec_b64 s[16:17], vcc
	s_cbranch_execz .LBB643_489
; %bb.488:                              ;   in Loop: Header=BB643_215 Depth=1
	v_and_b32_e32 v51, 7, v40
	v_ffbh_u32_e32 v60, v51
	v_min_u32_e32 v63, 32, v60
	v_subrev_u32_e32 v60, 28, v63
	v_lshlrev_b64 v[60:61], v60, v[40:41]
	v_lshrrev_b32_e32 v62, 3, v42
	v_sub_u32_e32 v40, 29, v63
	v_and_b32_e32 v60, 7, v60
	v_cmp_gt_u32_e32 vcc, 8, v42
	v_cndmask_b32_e32 v40, v62, v40, vcc
	v_cndmask_b32_e32 v42, v51, v60, vcc
	v_lshlrev_b32_e32 v51, 16, v38
	v_lshlrev_b32_e32 v42, 20, v42
	v_and_b32_e32 v51, 0x80000000, v51
	v_lshl_add_u32 v40, v40, 23, v55
	v_or3_b32 v60, v51, v40, v42
.LBB643_489:                            ;   in Loop: Header=BB643_215 Depth=1
	s_or_b64 exec, exec, s[16:17]
.LBB643_490:                            ;   in Loop: Header=BB643_215 Depth=1
	s_or_b64 exec, exec, s[14:15]
.LBB643_491:                            ;   in Loop: Header=BB643_215 Depth=1
	s_or_b64 exec, exec, s[12:13]
	v_lshrrev_b32_e32 v40, 16, v38
	v_cmp_ne_u16_sdwa s[14:15], v40, v54 src0_sel:BYTE_0 src1_sel:DWORD
	s_and_saveexec_b64 s[12:13], s[14:15]
	s_cbranch_execz .LBB643_497
; %bb.492:                              ;   in Loop: Header=BB643_215 Depth=1
	v_cmp_ne_u16_sdwa s[16:17], v40, s9 src0_sel:BYTE_0 src1_sel:DWORD
	v_bfrev_b32_e32 v59, 1
	s_and_saveexec_b64 s[14:15], s[16:17]
	s_cbranch_execz .LBB643_496
; %bb.493:                              ;   in Loop: Header=BB643_215 Depth=1
	v_bfe_u32 v42, v38, 16, 7
	v_cmp_ne_u32_e32 vcc, s19, v42
	v_mov_b32_e32 v59, 0x7f800001
	s_and_saveexec_b64 s[16:17], vcc
	s_cbranch_execz .LBB643_495
; %bb.494:                              ;   in Loop: Header=BB643_215 Depth=1
	v_and_b32_e32 v51, 7, v40
	v_ffbh_u32_e32 v61, v51
	v_min_u32_e32 v61, 32, v61
	v_subrev_u32_e32 v62, 28, v61
	v_lshlrev_b64 v[62:63], v62, v[40:41]
	v_lshrrev_b32_e32 v59, 3, v42
	v_sub_u32_e32 v61, 29, v61
	v_and_b32_e32 v62, 7, v62
	v_cmp_gt_u32_e32 vcc, 8, v42
	v_cndmask_b32_e32 v42, v59, v61, vcc
	v_cndmask_b32_e32 v51, v51, v62, vcc
	v_lshlrev_b32_e32 v40, 24, v40
	v_lshlrev_b32_e32 v51, 20, v51
	v_and_b32_e32 v40, 0x80000000, v40
	v_lshl_add_u32 v42, v42, 23, v55
	v_or3_b32 v59, v40, v42, v51
.LBB643_495:                            ;   in Loop: Header=BB643_215 Depth=1
	s_or_b64 exec, exec, s[16:17]
.LBB643_496:                            ;   in Loop: Header=BB643_215 Depth=1
	s_or_b64 exec, exec, s[14:15]
.LBB643_497:                            ;   in Loop: Header=BB643_215 Depth=1
	s_or_b64 exec, exec, s[12:13]
	v_cmp_lt_u32_e32 vcc, s20, v38
	v_mov_b32_e32 v51, 0
	v_mov_b32_e32 v61, 0
	s_and_saveexec_b64 s[12:13], vcc
	s_cbranch_execz .LBB643_503
; %bb.498:                              ;   in Loop: Header=BB643_215 Depth=1
	v_lshrrev_b32_e32 v40, 24, v38
	v_cmp_ne_u32_e32 vcc, s9, v40
	v_bfrev_b32_e32 v61, 1
	s_and_saveexec_b64 s[14:15], vcc
	s_cbranch_execz .LBB643_502
; %bb.499:                              ;   in Loop: Header=BB643_215 Depth=1
	v_bfe_u32 v38, v38, 24, 7
	v_cmp_ne_u32_e32 vcc, s19, v38
	v_mov_b32_e32 v61, 0x7f800001
	s_and_saveexec_b64 s[16:17], vcc
	s_cbranch_execz .LBB643_501
; %bb.500:                              ;   in Loop: Header=BB643_215 Depth=1
	v_and_b32_e32 v42, 7, v40
	v_ffbh_u32_e32 v62, v42
	v_min_u32_e32 v64, 32, v62
	v_subrev_u32_e32 v62, 28, v64
	v_lshlrev_b64 v[62:63], v62, v[40:41]
	v_lshrrev_b32_e32 v61, 3, v38
	v_sub_u32_e32 v63, 29, v64
	v_and_b32_e32 v62, 7, v62
	v_cmp_gt_u32_e32 vcc, 8, v38
	v_cndmask_b32_e32 v38, v61, v63, vcc
	v_cndmask_b32_e32 v42, v42, v62, vcc
	v_lshlrev_b32_e32 v40, 24, v40
	v_lshlrev_b32_e32 v42, 20, v42
	v_and_b32_e32 v40, 0x80000000, v40
	v_lshl_add_u32 v38, v38, 23, v55
	v_or3_b32 v61, v40, v38, v42
.LBB643_501:                            ;   in Loop: Header=BB643_215 Depth=1
	s_or_b64 exec, exec, s[16:17]
.LBB643_502:                            ;   in Loop: Header=BB643_215 Depth=1
	s_or_b64 exec, exec, s[14:15]
.LBB643_503:                            ;   in Loop: Header=BB643_215 Depth=1
	s_or_b64 exec, exec, s[12:13]
	v_cvt_pkrtz_f16_f32 v63, v44, v58
	buffer_load_dword v44, v50, s[0:3], 0 offen
	buffer_load_dword v42, v50, s[0:3], 0 offen offset:4
	buffer_load_dword v40, v50, s[0:3], 0 offen offset:8
	;; [unrolled: 1-line block ×3, first 2 shown]
	v_cvt_pkrtz_f16_f32 v62, v46, v56
	v_cvt_pkrtz_f16_f32 v56, v57, v60
	;; [unrolled: 1-line block ×3, first 2 shown]
	v_mfma_f32_16x16x16f16 v[34:37], v[62:63], v[22:23], v[34:37]
	s_waitcnt vmcnt(3)
	v_cmp_ne_u16_sdwa s[14:15], v44, v54 src0_sel:BYTE_0 src1_sel:DWORD
	v_mfma_f32_16x16x16f16 v[34:37], v[56:57], v[24:25], v[34:37]
	s_and_saveexec_b64 s[12:13], s[14:15]
	s_cbranch_execz .LBB643_509
; %bb.504:                              ;   in Loop: Header=BB643_215 Depth=1
	v_cmp_ne_u16_sdwa s[16:17], v44, s9 src0_sel:BYTE_0 src1_sel:DWORD
	v_bfrev_b32_e32 v51, 1
	s_and_saveexec_b64 s[14:15], s[16:17]
	s_cbranch_execz .LBB643_508
; %bb.505:                              ;   in Loop: Header=BB643_215 Depth=1
	v_and_b32_e32 v46, 0x7f, v44
	v_cmp_ne_u32_e32 vcc, s19, v46
	v_mov_b32_e32 v51, 0x7f800001
	s_and_saveexec_b64 s[16:17], vcc
	s_cbranch_execz .LBB643_507
; %bb.506:                              ;   in Loop: Header=BB643_215 Depth=1
	v_and_b32_e32 v56, 7, v44
	v_ffbh_u32_e32 v50, v56
	v_min_u32_e32 v58, 32, v50
	v_subrev_u32_e32 v50, 28, v58
	v_lshlrev_b64 v[50:51], v50, v[44:45]
	v_lshrrev_b32_e32 v57, 3, v46
	v_sub_u32_e32 v51, 29, v58
	v_and_b32_e32 v50, 7, v50
	v_cmp_gt_u32_e32 vcc, 8, v46
	v_cndmask_b32_e32 v46, v57, v51, vcc
	v_cndmask_b32_e32 v50, v56, v50, vcc
	v_lshlrev_b32_e32 v51, 24, v44
	v_lshlrev_b32_e32 v50, 20, v50
	v_and_b32_e32 v51, 0x80000000, v51
	v_lshl_add_u32 v46, v46, 23, v55
	v_or3_b32 v51, v51, v46, v50
.LBB643_507:                            ;   in Loop: Header=BB643_215 Depth=1
	s_or_b64 exec, exec, s[16:17]
.LBB643_508:                            ;   in Loop: Header=BB643_215 Depth=1
	s_or_b64 exec, exec, s[14:15]
.LBB643_509:                            ;   in Loop: Header=BB643_215 Depth=1
	s_or_b64 exec, exec, s[12:13]
	v_lshrrev_b16_e32 v46, 8, v44
	v_cmp_ne_u16_e32 vcc, 0, v46
	v_mov_b32_e32 v50, 0
	v_mov_b32_e32 v56, 0
	s_and_saveexec_b64 s[12:13], vcc
	s_cbranch_execz .LBB643_515
; %bb.510:                              ;   in Loop: Header=BB643_215 Depth=1
	v_cmp_ne_u16_e32 vcc, s9, v46
	v_bfrev_b32_e32 v56, 1
	s_and_saveexec_b64 s[14:15], vcc
	s_cbranch_execz .LBB643_514
; %bb.511:                              ;   in Loop: Header=BB643_215 Depth=1
	v_and_b32_e32 v57, 0x7f, v46
	v_cmp_ne_u32_e32 vcc, s19, v57
	v_mov_b32_e32 v56, 0x7f800001
	s_and_saveexec_b64 s[16:17], vcc
	s_cbranch_execz .LBB643_513
; %bb.512:                              ;   in Loop: Header=BB643_215 Depth=1
	v_and_b32_e32 v56, 7, v46
	v_ffbh_u32_e32 v58, v56
	v_min_u32_e32 v61, 32, v58
	v_subrev_u32_e32 v58, 28, v61
	v_lshlrev_b64 v[58:59], v58, v[46:47]
	v_lshrrev_b32_e32 v60, 3, v57
	v_sub_u32_e32 v46, 29, v61
	v_and_b32_e32 v58, 7, v58
	v_cmp_gt_u32_e32 vcc, 8, v57
	v_cndmask_b32_e32 v46, v60, v46, vcc
	v_cndmask_b32_e32 v56, v56, v58, vcc
	v_lshlrev_b32_e32 v57, 16, v44
	v_lshlrev_b32_e32 v56, 20, v56
	v_and_b32_e32 v57, 0x80000000, v57
	v_lshl_add_u32 v46, v46, 23, v55
	v_or3_b32 v56, v57, v46, v56
.LBB643_513:                            ;   in Loop: Header=BB643_215 Depth=1
	s_or_b64 exec, exec, s[16:17]
.LBB643_514:                            ;   in Loop: Header=BB643_215 Depth=1
	s_or_b64 exec, exec, s[14:15]
.LBB643_515:                            ;   in Loop: Header=BB643_215 Depth=1
	s_or_b64 exec, exec, s[12:13]
	v_lshrrev_b32_e32 v46, 16, v44
	v_cmp_ne_u16_sdwa s[14:15], v46, v54 src0_sel:BYTE_0 src1_sel:DWORD
	s_and_saveexec_b64 s[12:13], s[14:15]
	s_cbranch_execz .LBB643_521
; %bb.516:                              ;   in Loop: Header=BB643_215 Depth=1
	v_cmp_ne_u16_sdwa s[16:17], v46, s9 src0_sel:BYTE_0 src1_sel:DWORD
	v_bfrev_b32_e32 v50, 1
	s_and_saveexec_b64 s[14:15], s[16:17]
	s_cbranch_execz .LBB643_520
; %bb.517:                              ;   in Loop: Header=BB643_215 Depth=1
	v_bfe_u32 v57, v44, 16, 7
	v_cmp_ne_u32_e32 vcc, s19, v57
	v_mov_b32_e32 v50, 0x7f800001
	s_and_saveexec_b64 s[16:17], vcc
	s_cbranch_execz .LBB643_519
; %bb.518:                              ;   in Loop: Header=BB643_215 Depth=1
	v_and_b32_e32 v50, 7, v46
	v_ffbh_u32_e32 v58, v50
	v_min_u32_e32 v61, 32, v58
	v_subrev_u32_e32 v58, 28, v61
	v_lshlrev_b64 v[58:59], v58, v[46:47]
	v_lshrrev_b32_e32 v60, 3, v57
	v_sub_u32_e32 v59, 29, v61
	v_and_b32_e32 v58, 7, v58
	v_cmp_gt_u32_e32 vcc, 8, v57
	v_cndmask_b32_e32 v57, v60, v59, vcc
	v_cndmask_b32_e32 v50, v50, v58, vcc
	v_lshlrev_b32_e32 v46, 24, v46
	v_lshlrev_b32_e32 v50, 20, v50
	v_and_b32_e32 v46, 0x80000000, v46
	v_lshl_add_u32 v57, v57, 23, v55
	v_or3_b32 v50, v46, v57, v50
.LBB643_519:                            ;   in Loop: Header=BB643_215 Depth=1
	s_or_b64 exec, exec, s[16:17]
.LBB643_520:                            ;   in Loop: Header=BB643_215 Depth=1
	s_or_b64 exec, exec, s[14:15]
.LBB643_521:                            ;   in Loop: Header=BB643_215 Depth=1
	s_or_b64 exec, exec, s[12:13]
	v_cmp_lt_u32_e32 vcc, s20, v44
	v_mov_b32_e32 v57, 0
	v_mov_b32_e32 v58, 0
	s_and_saveexec_b64 s[12:13], vcc
	s_cbranch_execz .LBB643_527
; %bb.522:                              ;   in Loop: Header=BB643_215 Depth=1
	v_lshrrev_b32_e32 v46, 24, v44
	v_cmp_ne_u32_e32 vcc, s9, v46
	v_bfrev_b32_e32 v58, 1
	s_and_saveexec_b64 s[14:15], vcc
	s_cbranch_execz .LBB643_526
; %bb.523:                              ;   in Loop: Header=BB643_215 Depth=1
	v_bfe_u32 v44, v44, 24, 7
	v_cmp_ne_u32_e32 vcc, s19, v44
	v_mov_b32_e32 v58, 0x7f800001
	s_and_saveexec_b64 s[16:17], vcc
	s_cbranch_execz .LBB643_525
; %bb.524:                              ;   in Loop: Header=BB643_215 Depth=1
	v_and_b32_e32 v60, 7, v46
	v_ffbh_u32_e32 v58, v60
	v_min_u32_e32 v62, 32, v58
	v_subrev_u32_e32 v58, 28, v62
	v_lshlrev_b64 v[58:59], v58, v[46:47]
	v_lshrrev_b32_e32 v61, 3, v44
	v_sub_u32_e32 v59, 29, v62
	v_and_b32_e32 v58, 7, v58
	v_cmp_gt_u32_e32 vcc, 8, v44
	v_cndmask_b32_e32 v44, v61, v59, vcc
	v_cndmask_b32_e32 v58, v60, v58, vcc
	v_lshlrev_b32_e32 v46, 24, v46
	v_lshlrev_b32_e32 v58, 20, v58
	v_and_b32_e32 v46, 0x80000000, v46
	v_lshl_add_u32 v44, v44, 23, v55
	v_or3_b32 v58, v46, v44, v58
.LBB643_525:                            ;   in Loop: Header=BB643_215 Depth=1
	s_or_b64 exec, exec, s[16:17]
.LBB643_526:                            ;   in Loop: Header=BB643_215 Depth=1
	s_or_b64 exec, exec, s[14:15]
.LBB643_527:                            ;   in Loop: Header=BB643_215 Depth=1
	s_or_b64 exec, exec, s[12:13]
	s_waitcnt vmcnt(2)
	v_cmp_ne_u16_sdwa s[14:15], v42, v54 src0_sel:BYTE_0 src1_sel:DWORD
	s_and_saveexec_b64 s[12:13], s[14:15]
	s_cbranch_execz .LBB643_533
; %bb.528:                              ;   in Loop: Header=BB643_215 Depth=1
	v_cmp_ne_u16_sdwa s[16:17], v42, s9 src0_sel:BYTE_0 src1_sel:DWORD
	v_bfrev_b32_e32 v57, 1
	s_and_saveexec_b64 s[14:15], s[16:17]
	s_cbranch_execz .LBB643_532
; %bb.529:                              ;   in Loop: Header=BB643_215 Depth=1
	v_and_b32_e32 v44, 0x7f, v42
	v_cmp_ne_u32_e32 vcc, s19, v44
	v_mov_b32_e32 v57, 0x7f800001
	s_and_saveexec_b64 s[16:17], vcc
	s_cbranch_execz .LBB643_531
; %bb.530:                              ;   in Loop: Header=BB643_215 Depth=1
	v_and_b32_e32 v46, 7, v42
	v_ffbh_u32_e32 v59, v46
	v_min_u32_e32 v59, 32, v59
	v_subrev_u32_e32 v60, 28, v59
	v_lshlrev_b64 v[60:61], v60, v[42:43]
	v_lshrrev_b32_e32 v57, 3, v44
	v_sub_u32_e32 v59, 29, v59
	v_and_b32_e32 v60, 7, v60
	v_cmp_gt_u32_e32 vcc, 8, v44
	v_cndmask_b32_e32 v44, v57, v59, vcc
	v_cndmask_b32_e32 v46, v46, v60, vcc
	v_lshlrev_b32_e32 v57, 24, v42
	v_lshlrev_b32_e32 v46, 20, v46
	v_and_b32_e32 v57, 0x80000000, v57
	v_lshl_add_u32 v44, v44, 23, v55
	v_or3_b32 v57, v57, v44, v46
.LBB643_531:                            ;   in Loop: Header=BB643_215 Depth=1
	s_or_b64 exec, exec, s[16:17]
.LBB643_532:                            ;   in Loop: Header=BB643_215 Depth=1
	s_or_b64 exec, exec, s[14:15]
.LBB643_533:                            ;   in Loop: Header=BB643_215 Depth=1
	s_or_b64 exec, exec, s[12:13]
	v_lshrrev_b16_e32 v44, 8, v42
	v_cmp_ne_u16_e32 vcc, 0, v44
	v_mov_b32_e32 v59, 0
	v_mov_b32_e32 v60, 0
	s_and_saveexec_b64 s[12:13], vcc
	s_cbranch_execz .LBB643_539
; %bb.534:                              ;   in Loop: Header=BB643_215 Depth=1
	v_cmp_ne_u16_e32 vcc, s9, v44
	v_bfrev_b32_e32 v60, 1
	s_and_saveexec_b64 s[14:15], vcc
	s_cbranch_execz .LBB643_538
; %bb.535:                              ;   in Loop: Header=BB643_215 Depth=1
	v_and_b32_e32 v46, 0x7f, v44
	v_cmp_ne_u32_e32 vcc, s19, v46
	v_mov_b32_e32 v60, 0x7f800001
	s_and_saveexec_b64 s[16:17], vcc
	s_cbranch_execz .LBB643_537
; %bb.536:                              ;   in Loop: Header=BB643_215 Depth=1
	v_and_b32_e32 v62, 7, v44
	v_ffbh_u32_e32 v60, v62
	v_min_u32_e32 v64, 32, v60
	v_subrev_u32_e32 v60, 28, v64
	v_lshlrev_b64 v[60:61], v60, v[44:45]
	v_lshrrev_b32_e32 v63, 3, v46
	v_sub_u32_e32 v44, 29, v64
	v_and_b32_e32 v60, 7, v60
	v_cmp_gt_u32_e32 vcc, 8, v46
	v_cndmask_b32_e32 v44, v63, v44, vcc
	v_cndmask_b32_e32 v46, v62, v60, vcc
	v_lshlrev_b32_e32 v60, 16, v42
	v_lshlrev_b32_e32 v46, 20, v46
	v_and_b32_e32 v60, 0x80000000, v60
	v_lshl_add_u32 v44, v44, 23, v55
	v_or3_b32 v60, v60, v44, v46
.LBB643_537:                            ;   in Loop: Header=BB643_215 Depth=1
	s_or_b64 exec, exec, s[16:17]
.LBB643_538:                            ;   in Loop: Header=BB643_215 Depth=1
	s_or_b64 exec, exec, s[14:15]
.LBB643_539:                            ;   in Loop: Header=BB643_215 Depth=1
	s_or_b64 exec, exec, s[12:13]
	v_lshrrev_b32_e32 v44, 16, v42
	v_cmp_ne_u16_sdwa s[14:15], v44, v54 src0_sel:BYTE_0 src1_sel:DWORD
	s_and_saveexec_b64 s[12:13], s[14:15]
	s_cbranch_execz .LBB643_545
; %bb.540:                              ;   in Loop: Header=BB643_215 Depth=1
	v_cmp_ne_u16_sdwa s[16:17], v44, s9 src0_sel:BYTE_0 src1_sel:DWORD
	v_bfrev_b32_e32 v59, 1
	s_and_saveexec_b64 s[14:15], s[16:17]
	s_cbranch_execz .LBB643_544
; %bb.541:                              ;   in Loop: Header=BB643_215 Depth=1
	v_bfe_u32 v46, v42, 16, 7
	v_cmp_ne_u32_e32 vcc, s19, v46
	v_mov_b32_e32 v59, 0x7f800001
	s_and_saveexec_b64 s[16:17], vcc
	s_cbranch_execz .LBB643_543
; %bb.542:                              ;   in Loop: Header=BB643_215 Depth=1
	v_and_b32_e32 v59, 7, v44
	v_ffbh_u32_e32 v62, v59
	v_min_u32_e32 v64, 32, v62
	v_subrev_u32_e32 v62, 28, v64
	v_lshlrev_b64 v[62:63], v62, v[44:45]
	v_lshrrev_b32_e32 v61, 3, v46
	v_sub_u32_e32 v63, 29, v64
	v_and_b32_e32 v62, 7, v62
	v_cmp_gt_u32_e32 vcc, 8, v46
	v_cndmask_b32_e32 v46, v61, v63, vcc
	v_cndmask_b32_e32 v59, v59, v62, vcc
	v_lshlrev_b32_e32 v44, 24, v44
	v_lshlrev_b32_e32 v59, 20, v59
	v_and_b32_e32 v44, 0x80000000, v44
	v_lshl_add_u32 v46, v46, 23, v55
	v_or3_b32 v59, v44, v46, v59
.LBB643_543:                            ;   in Loop: Header=BB643_215 Depth=1
	s_or_b64 exec, exec, s[16:17]
.LBB643_544:                            ;   in Loop: Header=BB643_215 Depth=1
	s_or_b64 exec, exec, s[14:15]
.LBB643_545:                            ;   in Loop: Header=BB643_215 Depth=1
	s_or_b64 exec, exec, s[12:13]
	v_cmp_lt_u32_e32 vcc, s20, v42
	v_mov_b32_e32 v46, 0
	v_mov_b32_e32 v61, 0
	s_and_saveexec_b64 s[12:13], vcc
	s_cbranch_execz .LBB643_551
; %bb.546:                              ;   in Loop: Header=BB643_215 Depth=1
	v_lshrrev_b32_e32 v44, 24, v42
	v_cmp_ne_u32_e32 vcc, s9, v44
	v_bfrev_b32_e32 v61, 1
	s_and_saveexec_b64 s[14:15], vcc
	s_cbranch_execz .LBB643_550
; %bb.547:                              ;   in Loop: Header=BB643_215 Depth=1
	v_bfe_u32 v42, v42, 24, 7
	v_cmp_ne_u32_e32 vcc, s19, v42
	v_mov_b32_e32 v61, 0x7f800001
	s_and_saveexec_b64 s[16:17], vcc
	s_cbranch_execz .LBB643_549
; %bb.548:                              ;   in Loop: Header=BB643_215 Depth=1
	v_and_b32_e32 v61, 7, v44
	v_ffbh_u32_e32 v62, v61
	v_min_u32_e32 v65, 32, v62
	v_subrev_u32_e32 v62, 28, v65
	v_lshlrev_b64 v[62:63], v62, v[44:45]
	v_lshrrev_b32_e32 v64, 3, v42
	v_sub_u32_e32 v63, 29, v65
	v_and_b32_e32 v62, 7, v62
	v_cmp_gt_u32_e32 vcc, 8, v42
	v_cndmask_b32_e32 v42, v64, v63, vcc
	v_cndmask_b32_e32 v61, v61, v62, vcc
	v_lshlrev_b32_e32 v44, 24, v44
	v_lshlrev_b32_e32 v61, 20, v61
	v_and_b32_e32 v44, 0x80000000, v44
	v_lshl_add_u32 v42, v42, 23, v55
	v_or3_b32 v61, v44, v42, v61
.LBB643_549:                            ;   in Loop: Header=BB643_215 Depth=1
	s_or_b64 exec, exec, s[16:17]
.LBB643_550:                            ;   in Loop: Header=BB643_215 Depth=1
	s_or_b64 exec, exec, s[14:15]
.LBB643_551:                            ;   in Loop: Header=BB643_215 Depth=1
	s_or_b64 exec, exec, s[12:13]
	v_cvt_pkrtz_f16_f32 v62, v51, v56
	v_cvt_pkrtz_f16_f32 v63, v50, v58
	;; [unrolled: 1-line block ×4, first 2 shown]
	s_waitcnt vmcnt(1)
	v_cmp_ne_u16_sdwa s[14:15], v40, v54 src0_sel:BYTE_0 src1_sel:DWORD
	v_mfma_f32_16x16x16f16 v[34:37], v[62:63], v[26:27], v[34:37]
	v_mfma_f32_16x16x16f16 v[34:37], v[50:51], v[28:29], v[34:37]
	s_and_saveexec_b64 s[12:13], s[14:15]
	s_cbranch_execz .LBB643_557
; %bb.552:                              ;   in Loop: Header=BB643_215 Depth=1
	v_cmp_ne_u16_sdwa s[16:17], v40, s9 src0_sel:BYTE_0 src1_sel:DWORD
	v_bfrev_b32_e32 v46, 1
	s_and_saveexec_b64 s[14:15], s[16:17]
	s_cbranch_execz .LBB643_556
; %bb.553:                              ;   in Loop: Header=BB643_215 Depth=1
	v_and_b32_e32 v42, 0x7f, v40
	v_cmp_ne_u32_e32 vcc, s19, v42
	v_mov_b32_e32 v46, 0x7f800001
	s_and_saveexec_b64 s[16:17], vcc
	s_cbranch_execz .LBB643_555
; %bb.554:                              ;   in Loop: Header=BB643_215 Depth=1
	v_and_b32_e32 v44, 7, v40
	v_ffbh_u32_e32 v50, v44
	v_min_u32_e32 v56, 32, v50
	v_subrev_u32_e32 v50, 28, v56
	v_lshlrev_b64 v[50:51], v50, v[40:41]
	v_lshrrev_b32_e32 v46, 3, v42
	v_sub_u32_e32 v51, 29, v56
	v_and_b32_e32 v50, 7, v50
	v_cmp_gt_u32_e32 vcc, 8, v42
	v_cndmask_b32_e32 v42, v46, v51, vcc
	v_cndmask_b32_e32 v44, v44, v50, vcc
	v_lshlrev_b32_e32 v46, 24, v40
	v_lshlrev_b32_e32 v44, 20, v44
	v_and_b32_e32 v46, 0x80000000, v46
	v_lshl_add_u32 v42, v42, 23, v55
	v_or3_b32 v46, v46, v42, v44
.LBB643_555:                            ;   in Loop: Header=BB643_215 Depth=1
	s_or_b64 exec, exec, s[16:17]
.LBB643_556:                            ;   in Loop: Header=BB643_215 Depth=1
	s_or_b64 exec, exec, s[14:15]
.LBB643_557:                            ;   in Loop: Header=BB643_215 Depth=1
	s_or_b64 exec, exec, s[12:13]
	v_lshrrev_b16_e32 v42, 8, v40
	v_cmp_ne_u16_e32 vcc, 0, v42
	v_mov_b32_e32 v44, 0
	v_mov_b32_e32 v50, 0
	s_and_saveexec_b64 s[12:13], vcc
	s_cbranch_execz .LBB643_563
; %bb.558:                              ;   in Loop: Header=BB643_215 Depth=1
	v_cmp_ne_u16_e32 vcc, s9, v42
	v_bfrev_b32_e32 v50, 1
	s_and_saveexec_b64 s[14:15], vcc
	s_cbranch_execz .LBB643_562
; %bb.559:                              ;   in Loop: Header=BB643_215 Depth=1
	v_and_b32_e32 v51, 0x7f, v42
	v_cmp_ne_u32_e32 vcc, s19, v51
	v_mov_b32_e32 v50, 0x7f800001
	s_and_saveexec_b64 s[16:17], vcc
	s_cbranch_execz .LBB643_561
; %bb.560:                              ;   in Loop: Header=BB643_215 Depth=1
	v_and_b32_e32 v50, 7, v42
	v_ffbh_u32_e32 v56, v50
	v_min_u32_e32 v59, 32, v56
	v_subrev_u32_e32 v56, 28, v59
	v_lshlrev_b64 v[56:57], v56, v[42:43]
	v_lshrrev_b32_e32 v58, 3, v51
	v_sub_u32_e32 v42, 29, v59
	v_and_b32_e32 v56, 7, v56
	v_cmp_gt_u32_e32 vcc, 8, v51
	v_cndmask_b32_e32 v42, v58, v42, vcc
	v_cndmask_b32_e32 v50, v50, v56, vcc
	v_lshlrev_b32_e32 v51, 16, v40
	v_lshlrev_b32_e32 v50, 20, v50
	v_and_b32_e32 v51, 0x80000000, v51
	v_lshl_add_u32 v42, v42, 23, v55
	v_or3_b32 v50, v51, v42, v50
.LBB643_561:                            ;   in Loop: Header=BB643_215 Depth=1
	s_or_b64 exec, exec, s[16:17]
.LBB643_562:                            ;   in Loop: Header=BB643_215 Depth=1
	s_or_b64 exec, exec, s[14:15]
.LBB643_563:                            ;   in Loop: Header=BB643_215 Depth=1
	s_or_b64 exec, exec, s[12:13]
	v_lshrrev_b32_e32 v42, 16, v40
	v_cmp_ne_u16_sdwa s[14:15], v42, v54 src0_sel:BYTE_0 src1_sel:DWORD
	s_and_saveexec_b64 s[12:13], s[14:15]
	s_cbranch_execz .LBB643_569
; %bb.564:                              ;   in Loop: Header=BB643_215 Depth=1
	v_cmp_ne_u16_sdwa s[16:17], v42, s9 src0_sel:BYTE_0 src1_sel:DWORD
	v_bfrev_b32_e32 v44, 1
	s_and_saveexec_b64 s[14:15], s[16:17]
	s_cbranch_execz .LBB643_568
; %bb.565:                              ;   in Loop: Header=BB643_215 Depth=1
	v_bfe_u32 v51, v40, 16, 7
	v_cmp_ne_u32_e32 vcc, s19, v51
	v_mov_b32_e32 v44, 0x7f800001
	s_and_saveexec_b64 s[16:17], vcc
	s_cbranch_execz .LBB643_567
; %bb.566:                              ;   in Loop: Header=BB643_215 Depth=1
	v_and_b32_e32 v44, 7, v42
	v_ffbh_u32_e32 v56, v44
	v_min_u32_e32 v59, 32, v56
	v_subrev_u32_e32 v56, 28, v59
	v_lshlrev_b64 v[56:57], v56, v[42:43]
	v_lshrrev_b32_e32 v58, 3, v51
	v_sub_u32_e32 v57, 29, v59
	v_and_b32_e32 v56, 7, v56
	v_cmp_gt_u32_e32 vcc, 8, v51
	v_cndmask_b32_e32 v51, v58, v57, vcc
	v_cndmask_b32_e32 v44, v44, v56, vcc
	v_lshlrev_b32_e32 v42, 24, v42
	v_lshlrev_b32_e32 v44, 20, v44
	v_and_b32_e32 v42, 0x80000000, v42
	v_lshl_add_u32 v51, v51, 23, v55
	v_or3_b32 v44, v42, v51, v44
.LBB643_567:                            ;   in Loop: Header=BB643_215 Depth=1
	s_or_b64 exec, exec, s[16:17]
.LBB643_568:                            ;   in Loop: Header=BB643_215 Depth=1
	s_or_b64 exec, exec, s[14:15]
.LBB643_569:                            ;   in Loop: Header=BB643_215 Depth=1
	s_or_b64 exec, exec, s[12:13]
	v_cmp_lt_u32_e32 vcc, s20, v40
	v_mov_b32_e32 v51, 0
	v_mov_b32_e32 v56, 0
	s_and_saveexec_b64 s[12:13], vcc
	s_cbranch_execz .LBB643_575
; %bb.570:                              ;   in Loop: Header=BB643_215 Depth=1
	v_lshrrev_b32_e32 v42, 24, v40
	v_cmp_ne_u32_e32 vcc, s9, v42
	v_bfrev_b32_e32 v56, 1
	s_and_saveexec_b64 s[14:15], vcc
	s_cbranch_execz .LBB643_574
; %bb.571:                              ;   in Loop: Header=BB643_215 Depth=1
	v_bfe_u32 v40, v40, 24, 7
	v_cmp_ne_u32_e32 vcc, s19, v40
	v_mov_b32_e32 v56, 0x7f800001
	s_and_saveexec_b64 s[16:17], vcc
	s_cbranch_execz .LBB643_573
; %bb.572:                              ;   in Loop: Header=BB643_215 Depth=1
	v_and_b32_e32 v58, 7, v42
	v_ffbh_u32_e32 v56, v58
	v_min_u32_e32 v60, 32, v56
	v_subrev_u32_e32 v56, 28, v60
	v_lshlrev_b64 v[56:57], v56, v[42:43]
	v_lshrrev_b32_e32 v59, 3, v40
	v_sub_u32_e32 v57, 29, v60
	v_and_b32_e32 v56, 7, v56
	v_cmp_gt_u32_e32 vcc, 8, v40
	v_cndmask_b32_e32 v40, v59, v57, vcc
	v_cndmask_b32_e32 v56, v58, v56, vcc
	v_lshlrev_b32_e32 v42, 24, v42
	v_lshlrev_b32_e32 v56, 20, v56
	v_and_b32_e32 v42, 0x80000000, v42
	v_lshl_add_u32 v40, v40, 23, v55
	v_or3_b32 v56, v42, v40, v56
.LBB643_573:                            ;   in Loop: Header=BB643_215 Depth=1
	s_or_b64 exec, exec, s[16:17]
.LBB643_574:                            ;   in Loop: Header=BB643_215 Depth=1
	s_or_b64 exec, exec, s[14:15]
.LBB643_575:                            ;   in Loop: Header=BB643_215 Depth=1
	s_or_b64 exec, exec, s[12:13]
	s_waitcnt vmcnt(0)
	v_cmp_ne_u16_sdwa s[14:15], v38, v54 src0_sel:BYTE_0 src1_sel:DWORD
	s_and_saveexec_b64 s[12:13], s[14:15]
	s_cbranch_execz .LBB643_581
; %bb.576:                              ;   in Loop: Header=BB643_215 Depth=1
	v_cmp_ne_u16_sdwa s[16:17], v38, s9 src0_sel:BYTE_0 src1_sel:DWORD
	v_bfrev_b32_e32 v51, 1
	s_and_saveexec_b64 s[14:15], s[16:17]
	s_cbranch_execz .LBB643_580
; %bb.577:                              ;   in Loop: Header=BB643_215 Depth=1
	v_and_b32_e32 v40, 0x7f, v38
	v_cmp_ne_u32_e32 vcc, s19, v40
	v_mov_b32_e32 v51, 0x7f800001
	s_and_saveexec_b64 s[16:17], vcc
	s_cbranch_execz .LBB643_579
; %bb.578:                              ;   in Loop: Header=BB643_215 Depth=1
	v_and_b32_e32 v42, 7, v38
	v_ffbh_u32_e32 v57, v42
	v_min_u32_e32 v57, 32, v57
	v_subrev_u32_e32 v58, 28, v57
	v_lshlrev_b64 v[58:59], v58, v[38:39]
	v_lshrrev_b32_e32 v51, 3, v40
	v_sub_u32_e32 v57, 29, v57
	v_and_b32_e32 v58, 7, v58
	v_cmp_gt_u32_e32 vcc, 8, v40
	v_cndmask_b32_e32 v40, v51, v57, vcc
	v_cndmask_b32_e32 v42, v42, v58, vcc
	v_lshlrev_b32_e32 v51, 24, v38
	v_lshlrev_b32_e32 v42, 20, v42
	v_and_b32_e32 v51, 0x80000000, v51
	v_lshl_add_u32 v40, v40, 23, v55
	v_or3_b32 v51, v51, v40, v42
.LBB643_579:                            ;   in Loop: Header=BB643_215 Depth=1
	s_or_b64 exec, exec, s[16:17]
.LBB643_580:                            ;   in Loop: Header=BB643_215 Depth=1
	s_or_b64 exec, exec, s[14:15]
.LBB643_581:                            ;   in Loop: Header=BB643_215 Depth=1
	s_or_b64 exec, exec, s[12:13]
	v_lshrrev_b16_e32 v40, 8, v38
	v_cmp_ne_u16_e32 vcc, 0, v40
	v_mov_b32_e32 v42, 0
	v_mov_b32_e32 v57, 0
	s_and_saveexec_b64 s[12:13], vcc
	s_cbranch_execz .LBB643_587
; %bb.582:                              ;   in Loop: Header=BB643_215 Depth=1
	v_cmp_ne_u16_e32 vcc, s9, v40
	v_bfrev_b32_e32 v57, 1
	s_and_saveexec_b64 s[14:15], vcc
	s_cbranch_execz .LBB643_586
; %bb.583:                              ;   in Loop: Header=BB643_215 Depth=1
	v_and_b32_e32 v58, 0x7f, v40
	v_cmp_ne_u32_e32 vcc, s19, v58
	v_mov_b32_e32 v57, 0x7f800001
	s_and_saveexec_b64 s[16:17], vcc
	s_cbranch_execz .LBB643_585
; %bb.584:                              ;   in Loop: Header=BB643_215 Depth=1
	v_and_b32_e32 v57, 7, v40
	v_ffbh_u32_e32 v60, v57
	v_min_u32_e32 v62, 32, v60
	v_subrev_u32_e32 v60, 28, v62
	v_lshlrev_b64 v[60:61], v60, v[40:41]
	v_lshrrev_b32_e32 v59, 3, v58
	v_sub_u32_e32 v40, 29, v62
	v_and_b32_e32 v60, 7, v60
	v_cmp_gt_u32_e32 vcc, 8, v58
	v_cndmask_b32_e32 v40, v59, v40, vcc
	v_cndmask_b32_e32 v57, v57, v60, vcc
	v_lshlrev_b32_e32 v58, 16, v38
	v_lshlrev_b32_e32 v57, 20, v57
	v_and_b32_e32 v58, 0x80000000, v58
	v_lshl_add_u32 v40, v40, 23, v55
	v_or3_b32 v57, v58, v40, v57
.LBB643_585:                            ;   in Loop: Header=BB643_215 Depth=1
	s_or_b64 exec, exec, s[16:17]
.LBB643_586:                            ;   in Loop: Header=BB643_215 Depth=1
	s_or_b64 exec, exec, s[14:15]
.LBB643_587:                            ;   in Loop: Header=BB643_215 Depth=1
	s_or_b64 exec, exec, s[12:13]
	v_lshrrev_b32_e32 v40, 16, v38
	v_cmp_ne_u16_sdwa s[14:15], v40, v54 src0_sel:BYTE_0 src1_sel:DWORD
	s_and_saveexec_b64 s[12:13], s[14:15]
	s_cbranch_execz .LBB643_593
; %bb.588:                              ;   in Loop: Header=BB643_215 Depth=1
	v_cmp_ne_u16_sdwa s[16:17], v40, s9 src0_sel:BYTE_0 src1_sel:DWORD
	v_bfrev_b32_e32 v42, 1
	s_and_saveexec_b64 s[14:15], s[16:17]
	s_cbranch_execz .LBB643_592
; %bb.589:                              ;   in Loop: Header=BB643_215 Depth=1
	v_bfe_u32 v58, v38, 16, 7
	v_cmp_ne_u32_e32 vcc, s19, v58
	v_mov_b32_e32 v42, 0x7f800001
	s_and_saveexec_b64 s[16:17], vcc
	s_cbranch_execz .LBB643_591
; %bb.590:                              ;   in Loop: Header=BB643_215 Depth=1
	v_and_b32_e32 v42, 7, v40
	v_ffbh_u32_e32 v60, v42
	v_min_u32_e32 v62, 32, v60
	v_subrev_u32_e32 v60, 28, v62
	v_lshlrev_b64 v[60:61], v60, v[40:41]
	v_lshrrev_b32_e32 v59, 3, v58
	v_sub_u32_e32 v61, 29, v62
	v_and_b32_e32 v60, 7, v60
	v_cmp_gt_u32_e32 vcc, 8, v58
	v_cndmask_b32_e32 v58, v59, v61, vcc
	v_cndmask_b32_e32 v42, v42, v60, vcc
	v_lshlrev_b32_e32 v40, 24, v40
	v_lshlrev_b32_e32 v42, 20, v42
	v_and_b32_e32 v40, 0x80000000, v40
	v_lshl_add_u32 v58, v58, 23, v55
	v_or3_b32 v42, v40, v58, v42
.LBB643_591:                            ;   in Loop: Header=BB643_215 Depth=1
	s_or_b64 exec, exec, s[16:17]
.LBB643_592:                            ;   in Loop: Header=BB643_215 Depth=1
	s_or_b64 exec, exec, s[14:15]
.LBB643_593:                            ;   in Loop: Header=BB643_215 Depth=1
	s_or_b64 exec, exec, s[12:13]
	v_cmp_lt_u32_e32 vcc, s20, v38
	v_mov_b32_e32 v58, 0
	s_and_saveexec_b64 s[12:13], vcc
	s_cbranch_execz .LBB643_214
; %bb.594:                              ;   in Loop: Header=BB643_215 Depth=1
	v_lshrrev_b32_e32 v40, 24, v38
	v_cmp_ne_u32_e32 vcc, s9, v40
	v_bfrev_b32_e32 v58, 1
	s_and_saveexec_b64 s[14:15], vcc
	s_cbranch_execz .LBB643_213
; %bb.595:                              ;   in Loop: Header=BB643_215 Depth=1
	v_bfe_u32 v38, v38, 24, 7
	v_cmp_ne_u32_e32 vcc, s19, v38
	v_mov_b32_e32 v58, 0x7f800001
	s_and_saveexec_b64 s[16:17], vcc
	s_cbranch_execz .LBB643_212
; %bb.596:                              ;   in Loop: Header=BB643_215 Depth=1
	v_and_b32_e32 v60, 7, v40
	v_ffbh_u32_e32 v58, v60
	v_min_u32_e32 v62, 32, v58
	v_subrev_u32_e32 v58, 28, v62
	v_lshlrev_b64 v[58:59], v58, v[40:41]
	v_lshrrev_b32_e32 v61, 3, v38
	v_sub_u32_e32 v59, 29, v62
	v_and_b32_e32 v58, 7, v58
	v_cmp_gt_u32_e32 vcc, 8, v38
	v_cndmask_b32_e32 v38, v61, v59, vcc
	v_cndmask_b32_e32 v58, v60, v58, vcc
	v_lshlrev_b32_e32 v40, 24, v40
	v_lshlrev_b32_e32 v58, 20, v58
	v_and_b32_e32 v40, 0x80000000, v40
	v_lshl_add_u32 v38, v38, 23, v55
	v_or3_b32 v58, v40, v38, v58
	s_branch .LBB643_212
.LBB643_597:
	s_barrier
	buffer_load_dword v2, off, s[0:3], 0 offset:320
	buffer_load_dword v5, off, s[0:3], 0 offset:332
	;; [unrolled: 1-line block ×4, first 2 shown]
	v_cmp_gt_u32_e32 vcc, 64, v0
	s_waitcnt vmcnt(0)
	ds_write2st64_b64 v52, v[2:3], v[4:5] offset1:1
	s_waitcnt lgkmcnt(0)
	s_barrier
	s_and_saveexec_b64 s[4:5], vcc
	s_cbranch_execz .LBB643_600
; %bb.598:
	s_lshl_b32 s4, s48, 7
	s_mul_i32 s5, s18, s8
	s_mul_hi_u32 s9, s5, s4
	s_mul_i32 s8, s5, s4
	s_lshl_b64 s[8:9], s[8:9], 1
	s_add_u32 s5, s50, s8
	v_lshlrev_b32_e32 v5, 6, v41
	s_mov_b32 s7, 0
	s_addc_u32 s8, s51, s9
	s_lshl_b32 s6, s26, 7
	v_lshl_or_b32 v0, v0, 10, v5
	s_lshl_b64 s[6:7], s[6:7], 1
	v_lshlrev_b32_e32 v3, 5, v1
	v_and_b32_e32 v4, 16, v43
	v_and_b32_e32 v0, 0x1a00, v0
	s_add_u32 s5, s5, s6
	v_or_b32_e32 v2, 4, v1
	v_or3_b32 v0, v0, v3, v4
	s_addc_u32 s6, s8, s7
	v_add_u32_e32 v1, s27, v1
	v_mov_b32_e32 v4, s6
	v_add_co_u32_e32 v3, vcc, s5, v39
	ds_read_b128 v[6:9], v0
	v_mad_u64_u32 v[10:11], s[6:7], v1, s4, 0
	v_addc_co_u32_e32 v4, vcc, 0, v4, vcc
	v_lshlrev_b64 v[10:11], 1, v[10:11]
	v_add_co_u32_e32 v10, vcc, v3, v10
	v_addc_co_u32_e32 v11, vcc, v4, v11, vcc
	v_cmp_gt_u32_e32 vcc, 6, v2
	s_waitcnt lgkmcnt(0)
	global_store_dwordx4 v[10:11], v[6:9], off
	s_and_b64 exec, exec, vcc
	s_cbranch_execz .LBB643_600
; %bb.599:
	ds_read_b128 v[6:9], v0 offset:128
	v_add_u32_e32 v0, s27, v2
	v_mad_u64_u32 v[0:1], s[4:5], v0, s4, 0
	v_lshlrev_b64 v[0:1], 1, v[0:1]
	v_add_co_u32_e32 v0, vcc, v3, v0
	v_addc_co_u32_e32 v1, vcc, v4, v1, vcc
	s_waitcnt lgkmcnt(0)
	global_store_dwordx4 v[0:1], v[6:9], off
.LBB643_600:
	s_endpgm
	.section	.rodata,"a",@progbits
	.p2align	6, 0x0
	.amdhsa_kernel _Z39paged_attention_ll4mi_QKV_mfma16_kernelIDF16_hLN4vllm18Fp8KVCacheDataTypeE1EDF16_Li32ELi128ELi256ELb1ELi6EL8MFMAType0EEvPKT_PKT0_S8_ifPKiSA_SA_iPKfiiiPfSD_PS3_PT2_iSC_SC_
		.amdhsa_group_segment_fixed_size 8192
		.amdhsa_private_segment_fixed_size 352
		.amdhsa_kernarg_size 400
		.amdhsa_user_sgpr_count 8
		.amdhsa_user_sgpr_private_segment_buffer 1
		.amdhsa_user_sgpr_dispatch_ptr 0
		.amdhsa_user_sgpr_queue_ptr 0
		.amdhsa_user_sgpr_kernarg_segment_ptr 1
		.amdhsa_user_sgpr_dispatch_id 0
		.amdhsa_user_sgpr_flat_scratch_init 1
		.amdhsa_user_sgpr_kernarg_preload_length 0
		.amdhsa_user_sgpr_kernarg_preload_offset 0
		.amdhsa_user_sgpr_private_segment_size 0
		.amdhsa_uses_dynamic_stack 0
		.amdhsa_system_sgpr_private_segment_wavefront_offset 1
		.amdhsa_system_sgpr_workgroup_id_x 1
		.amdhsa_system_sgpr_workgroup_id_y 1
		.amdhsa_system_sgpr_workgroup_id_z 1
		.amdhsa_system_sgpr_workgroup_info 0
		.amdhsa_system_vgpr_workitem_id 0
		.amdhsa_next_free_vgpr 80
		.amdhsa_next_free_sgpr 53
		.amdhsa_accum_offset 80
		.amdhsa_reserve_vcc 1
		.amdhsa_reserve_flat_scratch 0
		.amdhsa_float_round_mode_32 0
		.amdhsa_float_round_mode_16_64 0
		.amdhsa_float_denorm_mode_32 3
		.amdhsa_float_denorm_mode_16_64 3
		.amdhsa_dx10_clamp 1
		.amdhsa_ieee_mode 1
		.amdhsa_fp16_overflow 0
		.amdhsa_tg_split 0
		.amdhsa_exception_fp_ieee_invalid_op 0
		.amdhsa_exception_fp_denorm_src 0
		.amdhsa_exception_fp_ieee_div_zero 0
		.amdhsa_exception_fp_ieee_overflow 0
		.amdhsa_exception_fp_ieee_underflow 0
		.amdhsa_exception_fp_ieee_inexact 0
		.amdhsa_exception_int_div_zero 0
	.end_amdhsa_kernel
	.section	.text._Z39paged_attention_ll4mi_QKV_mfma16_kernelIDF16_hLN4vllm18Fp8KVCacheDataTypeE1EDF16_Li32ELi128ELi256ELb1ELi6EL8MFMAType0EEvPKT_PKT0_S8_ifPKiSA_SA_iPKfiiiPfSD_PS3_PT2_iSC_SC_,"axG",@progbits,_Z39paged_attention_ll4mi_QKV_mfma16_kernelIDF16_hLN4vllm18Fp8KVCacheDataTypeE1EDF16_Li32ELi128ELi256ELb1ELi6EL8MFMAType0EEvPKT_PKT0_S8_ifPKiSA_SA_iPKfiiiPfSD_PS3_PT2_iSC_SC_,comdat
.Lfunc_end643:
	.size	_Z39paged_attention_ll4mi_QKV_mfma16_kernelIDF16_hLN4vllm18Fp8KVCacheDataTypeE1EDF16_Li32ELi128ELi256ELb1ELi6EL8MFMAType0EEvPKT_PKT0_S8_ifPKiSA_SA_iPKfiiiPfSD_PS3_PT2_iSC_SC_, .Lfunc_end643-_Z39paged_attention_ll4mi_QKV_mfma16_kernelIDF16_hLN4vllm18Fp8KVCacheDataTypeE1EDF16_Li32ELi128ELi256ELb1ELi6EL8MFMAType0EEvPKT_PKT0_S8_ifPKiSA_SA_iPKfiiiPfSD_PS3_PT2_iSC_SC_
                                        ; -- End function
	.section	.AMDGPU.csdata,"",@progbits
; Kernel info:
; codeLenInByte = 21500
; NumSgprs: 57
; NumVgprs: 80
; NumAgprs: 0
; TotalNumVgprs: 80
; ScratchSize: 352
; MemoryBound: 0
; FloatMode: 240
; IeeeMode: 1
; LDSByteSize: 8192 bytes/workgroup (compile time only)
; SGPRBlocks: 7
; VGPRBlocks: 9
; NumSGPRsForWavesPerEU: 57
; NumVGPRsForWavesPerEU: 80
; AccumOffset: 80
; Occupancy: 6
; WaveLimiterHint : 1
; COMPUTE_PGM_RSRC2:SCRATCH_EN: 1
; COMPUTE_PGM_RSRC2:USER_SGPR: 8
; COMPUTE_PGM_RSRC2:TRAP_HANDLER: 0
; COMPUTE_PGM_RSRC2:TGID_X_EN: 1
; COMPUTE_PGM_RSRC2:TGID_Y_EN: 1
; COMPUTE_PGM_RSRC2:TGID_Z_EN: 1
; COMPUTE_PGM_RSRC2:TIDIG_COMP_CNT: 0
; COMPUTE_PGM_RSRC3_GFX90A:ACCUM_OFFSET: 19
; COMPUTE_PGM_RSRC3_GFX90A:TG_SPLIT: 0
	.section	.text._Z39paged_attention_ll4mi_QKV_mfma16_kernelIDF16_hLN4vllm18Fp8KVCacheDataTypeE1EDF16_Li32ELi128ELi256ELb1ELi7EL8MFMAType0EEvPKT_PKT0_S8_ifPKiSA_SA_iPKfiiiPfSD_PS3_PT2_iSC_SC_,"axG",@progbits,_Z39paged_attention_ll4mi_QKV_mfma16_kernelIDF16_hLN4vllm18Fp8KVCacheDataTypeE1EDF16_Li32ELi128ELi256ELb1ELi7EL8MFMAType0EEvPKT_PKT0_S8_ifPKiSA_SA_iPKfiiiPfSD_PS3_PT2_iSC_SC_,comdat
	.protected	_Z39paged_attention_ll4mi_QKV_mfma16_kernelIDF16_hLN4vllm18Fp8KVCacheDataTypeE1EDF16_Li32ELi128ELi256ELb1ELi7EL8MFMAType0EEvPKT_PKT0_S8_ifPKiSA_SA_iPKfiiiPfSD_PS3_PT2_iSC_SC_ ; -- Begin function _Z39paged_attention_ll4mi_QKV_mfma16_kernelIDF16_hLN4vllm18Fp8KVCacheDataTypeE1EDF16_Li32ELi128ELi256ELb1ELi7EL8MFMAType0EEvPKT_PKT0_S8_ifPKiSA_SA_iPKfiiiPfSD_PS3_PT2_iSC_SC_
	.globl	_Z39paged_attention_ll4mi_QKV_mfma16_kernelIDF16_hLN4vllm18Fp8KVCacheDataTypeE1EDF16_Li32ELi128ELi256ELb1ELi7EL8MFMAType0EEvPKT_PKT0_S8_ifPKiSA_SA_iPKfiiiPfSD_PS3_PT2_iSC_SC_
	.p2align	8
	.type	_Z39paged_attention_ll4mi_QKV_mfma16_kernelIDF16_hLN4vllm18Fp8KVCacheDataTypeE1EDF16_Li32ELi128ELi256ELb1ELi7EL8MFMAType0EEvPKT_PKT0_S8_ifPKiSA_SA_iPKfiiiPfSD_PS3_PT2_iSC_SC_,@function
_Z39paged_attention_ll4mi_QKV_mfma16_kernelIDF16_hLN4vllm18Fp8KVCacheDataTypeE1EDF16_Li32ELi128ELi256ELb1ELi7EL8MFMAType0EEvPKT_PKT0_S8_ifPKiSA_SA_iPKfiiiPfSD_PS3_PT2_iSC_SC_: ; @_Z39paged_attention_ll4mi_QKV_mfma16_kernelIDF16_hLN4vllm18Fp8KVCacheDataTypeE1EDF16_Li32ELi128ELi256ELb1ELi7EL8MFMAType0EEvPKT_PKT0_S8_ifPKiSA_SA_iPKfiiiPfSD_PS3_PT2_iSC_SC_
; %bb.0:
	s_load_dwordx2 s[6:7], s[4:5], 0x30
	s_add_u32 s0, s0, s11
	s_addc_u32 s1, s1, 0
	s_mov_b32 s26, s9
	s_mov_b64 s[14:15], 0
	s_waitcnt lgkmcnt(0)
	s_cmp_lg_u64 s[6:7], 0
	s_cselect_b64 s[12:13], -1, 0
	s_and_b64 vcc, exec, s[12:13]
	s_cbranch_vccz .LBB644_7
; %bb.1:
	s_add_i32 s16, s8, 1
	s_mov_b32 s17, 0
	s_lshl_b64 s[18:19], s[16:17], 2
	s_add_u32 s18, s6, s18
	s_mov_b32 s9, s17
	s_addc_u32 s19, s7, s19
	s_lshl_b64 s[16:17], s[8:9], 2
	s_add_u32 s16, s6, s16
	s_addc_u32 s17, s7, s17
	s_load_dword s11, s[18:19], 0x0
	s_load_dword s20, s[16:17], 0x0
	s_waitcnt lgkmcnt(0)
	s_sub_i32 s11, s11, s20
	s_cmp_eq_u32 s11, 1
	s_cselect_b64 s[16:17], -1, 0
	s_andn2_b64 vcc, exec, s[14:15]
	s_cbranch_vccnz .LBB644_3
.LBB644_2:
	s_mov_b32 s9, 0
	s_mov_b64 s[16:17], -1
.LBB644_3:
	s_andn2_b64 vcc, exec, s[16:17]
	s_cbranch_vccnz .LBB644_600
; %bb.4:
	s_load_dwordx2 s[16:17], s[4:5], 0x28
	s_lshl_b64 s[14:15], s[8:9], 2
	s_waitcnt lgkmcnt(0)
	s_add_u32 s16, s16, s14
	s_addc_u32 s17, s17, s15
	s_load_dword s33, s[16:17], 0x0
	s_lshl_b32 s20, s26, 8
	s_waitcnt lgkmcnt(0)
	s_cmp_ge_i32 s20, s33
	s_cbranch_scc1 .LBB644_600
; %bb.5:
	s_add_i32 s18, s33, 31
	s_load_dwordx2 s[16:17], s[4:5], 0x20
	s_load_dword s11, s[4:5], 0x38
	s_ashr_i32 s19, s18, 31
	v_and_b32_e32 v1, 0xcf, v0
	s_lshr_b32 s19, s19, 27
	v_add_u32_e32 v1, s20, v1
	s_add_i32 s18, s18, s19
	v_ashrrev_i32_e32 v2, 31, v1
	s_ashr_i32 s23, s18, 5
	v_lshrrev_b32_e32 v4, 27, v2
	s_add_i32 s23, s23, -1
	v_add_u32_e32 v2, v1, v4
	s_waitcnt lgkmcnt(0)
	s_mul_i32 s18, s8, s11
	s_mov_b32 s19, 0
	v_ashrrev_i32_e32 v2, 5, v2
	v_mov_b32_e32 v5, s23
	v_cmp_gt_i32_e32 vcc, s33, v1
	s_lshl_b64 s[18:19], s[18:19], 2
	v_cndmask_b32_e32 v2, v5, v2, vcc
	s_add_u32 s21, s16, s18
	v_ashrrev_i32_e32 v3, 31, v2
	s_addc_u32 s22, s17, s19
	v_lshlrev_b64 v[2:3], 2, v[2:3]
	v_mov_b32_e32 v7, s22
	v_add_co_u32_e32 v6, vcc, s21, v2
	v_or_b32_e32 v2, 16, v1
	v_addc_co_u32_e32 v7, vcc, v7, v3, vcc
	v_add_u32_e32 v3, v2, v4
	v_ashrrev_i32_e32 v3, 5, v3
	v_cmp_gt_i32_e32 vcc, s33, v2
	v_cndmask_b32_e32 v2, v5, v3, vcc
	v_ashrrev_i32_e32 v3, 31, v2
	v_lshlrev_b64 v[2:3], 2, v[2:3]
	v_mov_b32_e32 v9, s22
	v_add_co_u32_e32 v8, vcc, s21, v2
	v_or_b32_e32 v2, 32, v1
	v_addc_co_u32_e32 v9, vcc, v9, v3, vcc
	v_add_u32_e32 v3, v2, v4
	v_ashrrev_i32_e32 v3, 5, v3
	v_cmp_gt_i32_e32 vcc, s33, v2
	v_cndmask_b32_e32 v2, v5, v3, vcc
	v_ashrrev_i32_e32 v3, 31, v2
	;; [unrolled: 10-line block ×3, first 2 shown]
	v_lshlrev_b64 v[2:3], 2, v[2:3]
	v_mov_b32_e32 v1, s22
	v_add_co_u32_e32 v12, vcc, s21, v2
	v_addc_co_u32_e32 v13, vcc, v1, v3, vcc
	global_load_dword v5, v[6:7], off
	global_load_dword v4, v[8:9], off
	global_load_dword v3, v[10:11], off
	global_load_dword v2, v[12:13], off
	s_load_dwordx2 s[16:17], s[4:5], 0x8
	s_andn2_b64 vcc, exec, s[12:13]
	s_cbranch_vccnz .LBB644_8
; %bb.6:
	s_add_u32 s6, s6, s14
	s_addc_u32 s7, s7, s15
	s_load_dword s11, s[6:7], 0x0
	s_branch .LBB644_9
.LBB644_7:
	s_mov_b64 s[16:17], 0
	s_branch .LBB644_2
.LBB644_8:
	s_mov_b32 s11, s8
.LBB644_9:
	s_load_dwordx2 s[6:7], s[4:5], 0x10
	s_load_dwordx4 s[12:15], s[4:5], 0x48
	v_lshrrev_b32_e32 v27, 6, v0
	v_bfe_u32 v1, v0, 4, 2
	v_and_b32_e32 v41, 15, v0
	v_lshl_or_b32 v6, v27, 2, v1
	v_lshlrev_b32_e32 v7, 3, v41
	s_mul_i32 s27, s10, 7
	v_cmp_gt_u32_e32 vcc, 7, v6
	v_lshlrev_b32_e32 v39, 1, v7
	v_lshlrev_b32_e32 v43, 4, v0
	s_and_saveexec_b64 s[18:19], vcc
	s_cbranch_execz .LBB644_11
; %bb.10:
	s_load_dwordx2 s[24:25], s[4:5], 0x0
	s_waitcnt lgkmcnt(0)
	s_ashr_i32 s15, s12, 31
	s_mul_hi_u32 s28, s11, s12
	s_mul_i32 s15, s11, s15
	s_add_i32 s29, s28, s15
	s_mul_i32 s28, s11, s12
	s_lshl_b64 s[28:29], s[28:29], 1
	v_add_lshl_u32 v8, v6, s27, 7
	s_add_u32 s11, s24, s28
	v_ashrrev_i32_e32 v9, 31, v8
	s_addc_u32 s12, s25, s29
	v_lshlrev_b64 v[8:9], 1, v[8:9]
	v_mov_b32_e32 v7, s12
	v_add_co_u32_e32 v8, vcc, s11, v8
	v_addc_co_u32_e32 v7, vcc, v7, v9, vcc
	v_add_co_u32_e32 v8, vcc, v8, v39
	v_addc_co_u32_e32 v9, vcc, 0, v7, vcc
	global_load_dwordx4 v[8:11], v[8:9], off
	v_lshlrev_b32_e32 v12, 8, v0
	v_lshlrev_b32_e32 v7, 8, v41
	v_and_b32_e32 v12, 0x600, v12
	s_movk_i32 s11, 0x800
	v_and_or_b32 v7, v7, s11, v12
	v_lshlrev_b32_e32 v6, 5, v6
	v_and_b32_e32 v12, 16, v43
	v_or3_b32 v6, v7, v6, v12
	s_waitcnt vmcnt(0)
	ds_write_b128 v6, v[8:11]
.LBB644_11:
	s_or_b64 exec, exec, s[18:19]
	s_waitcnt lgkmcnt(0)
	s_mul_i32 s14, s10, s14
	s_add_u32 s10, s16, s14
	s_addc_u32 s11, s17, 0
	v_pk_mov_b32 v[6:7], s[10:11], s[10:11] op_sel:[0,1]
	s_waitcnt vmcnt(3)
	v_mad_i64_i32 v[8:9], s[10:11], v5, s13, v[6:7]
	v_lshlrev_b32_e32 v11, 4, v41
	v_and_b32_e32 v18, 48, v0
	v_add_co_u32_e32 v5, vcc, v8, v11
	v_lshlrev_b32_e32 v10, 5, v18
	v_addc_co_u32_e32 v9, vcc, 0, v9, vcc
	v_add_co_u32_e32 v8, vcc, v5, v10
	v_addc_co_u32_e32 v9, vcc, 0, v9, vcc
	s_load_dwordx2 s[48:49], s[4:5], 0x94
	s_waitcnt lgkmcnt(0)
	s_barrier
	global_load_dwordx4 v[20:23], v[8:9], off
	global_load_dwordx4 v[28:31], v[8:9], off offset:2048
	s_waitcnt vmcnt(4)
	v_mad_i64_i32 v[4:5], s[10:11], v4, s13, v[6:7]
	v_or_b32_e32 v8, 0x100, v11
	v_add_co_u32_e32 v4, vcc, v4, v8
	v_addc_co_u32_e32 v5, vcc, 0, v5, vcc
	v_add_co_u32_e32 v4, vcc, v4, v10
	v_addc_co_u32_e32 v5, vcc, 0, v5, vcc
	global_load_dwordx4 v[32:35], v[4:5], off
	global_load_dwordx4 v[44:47], v[4:5], off offset:2048
	s_waitcnt vmcnt(5)
	v_mad_i64_i32 v[4:5], s[10:11], v3, s13, v[6:7]
	v_add_co_u32_e32 v3, vcc, v4, v11
	v_addc_co_u32_e32 v5, vcc, 0, v5, vcc
	v_add_co_u32_e32 v4, vcc, v3, v10
	v_addc_co_u32_e32 v5, vcc, 0, v5, vcc
	s_waitcnt vmcnt(4)
	v_mad_i64_i32 v[2:3], s[10:11], v2, s13, v[6:7]
	v_add_co_u32_e32 v2, vcc, v2, v8
	v_addc_co_u32_e32 v3, vcc, 0, v3, vcc
	v_add_co_u32_e32 v2, vcc, v2, v10
	v_addc_co_u32_e32 v3, vcc, 0, v3, vcc
	global_load_dwordx4 v[48:51], v[4:5], off
	global_load_dwordx4 v[52:55], v[4:5], off offset:2048
	global_load_dwordx4 v[56:59], v[2:3], off
	global_load_dwordx4 v[60:63], v[2:3], off offset:2048
	v_mul_lo_u16_e32 v2, 37, v41
	v_mov_b32_e32 v3, 7
	v_mul_lo_u16_sdwa v2, v2, v3 dst_sel:DWORD dst_unused:UNUSED_PAD src0_sel:BYTE_1 src1_sel:DWORD
	v_mov_b32_e32 v4, 5
	v_sub_u16_e32 v2, v41, v2
	v_lshlrev_b32_sdwa v2, v4, v2 dst_sel:DWORD dst_unused:UNUSED_PAD src0_sel:DWORD src1_sel:BYTE_0
	v_lshl_add_u32 v14, v1, 9, v2
	s_load_dwordx2 s[50:51], s[4:5], 0x68
	s_load_dwordx4 s[44:47], s[4:5], 0x58
	ds_read_b128 v[2:5], v14
	ds_read_b128 v[6:9], v14 offset:16
	ds_read_b128 v[10:13], v14 offset:2048
	;; [unrolled: 1-line block ×3, first 2 shown]
	s_mov_b32 s12, 0
	v_cmp_gt_u32_e32 vcc, 7, v41
	s_waitcnt vmcnt(7)
	buffer_store_dword v23, off, s[0:3], 0 offset:12
	buffer_store_dword v22, off, s[0:3], 0 offset:8
	;; [unrolled: 1-line block ×3, first 2 shown]
	buffer_store_dword v20, off, s[0:3], 0
	s_waitcnt vmcnt(10)
	buffer_store_dword v31, off, s[0:3], 0 offset:28
	buffer_store_dword v30, off, s[0:3], 0 offset:24
	buffer_store_dword v29, off, s[0:3], 0 offset:20
	buffer_store_dword v28, off, s[0:3], 0 offset:16
	s_waitcnt vmcnt(13)
	buffer_store_dword v35, off, s[0:3], 0 offset:44
	buffer_store_dword v34, off, s[0:3], 0 offset:40
	buffer_store_dword v33, off, s[0:3], 0 offset:36
	buffer_store_dword v32, off, s[0:3], 0 offset:32
	;; [unrolled: 5-line block ×7, first 2 shown]
	v_mov_b32_e32 v35, 0
	v_mov_b32_e32 v31, 0
	s_and_saveexec_b64 s[10:11], vcc
	s_cbranch_execz .LBB644_13
; %bb.12:
	s_load_dwordx2 s[16:17], s[4:5], 0x40
	v_add_u32_e32 v20, s27, v41
	v_ashrrev_i32_e32 v21, 31, v20
	v_lshlrev_b64 v[20:21], 2, v[20:21]
	s_waitcnt lgkmcnt(0)
	v_mov_b32_e32 v19, s17
	v_add_co_u32_e32 v20, vcc, s16, v20
	v_addc_co_u32_e32 v21, vcc, v19, v21, vcc
	global_load_dword v31, v[20:21], off
.LBB644_13:
	s_or_b64 exec, exec, s[10:11]
	s_ashr_i32 s10, s20, 31
	v_or_b32_e32 v24, s20, v18
	s_lshr_b32 s10, s10, 27
	v_add_u32_e32 v18, s10, v24
	v_ashrrev_i32_e32 v18, 5, v18
	v_mov_b32_e32 v25, s23
	v_cmp_gt_i32_e32 vcc, s33, v24
	v_cndmask_b32_e32 v18, v25, v18, vcc
	v_ashrrev_i32_e32 v19, 31, v18
	v_lshlrev_b64 v[18:19], 2, v[18:19]
	v_mov_b32_e32 v20, s22
	v_add_co_u32_e32 v18, vcc, s21, v18
	v_addc_co_u32_e32 v19, vcc, v20, v19, vcc
	v_or_b32_e32 v20, 64, v24
	v_add_u32_e32 v21, s10, v20
	v_ashrrev_i32_e32 v21, 5, v21
	v_cmp_gt_i32_e32 vcc, s33, v20
	v_cndmask_b32_e32 v20, v25, v21, vcc
	v_ashrrev_i32_e32 v21, 31, v20
	v_lshlrev_b64 v[20:21], 2, v[20:21]
	v_mov_b32_e32 v22, s22
	v_add_co_u32_e32 v20, vcc, s21, v20
	v_addc_co_u32_e32 v21, vcc, v22, v21, vcc
	v_or_b32_e32 v22, 0x80, v24
	v_add_u32_e32 v23, s10, v22
	v_ashrrev_i32_e32 v23, 5, v23
	v_cmp_gt_i32_e32 vcc, s33, v22
	v_cndmask_b32_e32 v22, v25, v23, vcc
	v_ashrrev_i32_e32 v23, 31, v22
	v_lshlrev_b64 v[22:23], 2, v[22:23]
	v_mov_b32_e32 v26, s22
	v_add_co_u32_e32 v22, vcc, s21, v22
	v_addc_co_u32_e32 v23, vcc, v26, v23, vcc
	global_load_dword v26, v[18:19], off
	global_load_dword v28, v[20:21], off
	;; [unrolled: 1-line block ×3, first 2 shown]
	v_or_b32_e32 v18, 0xc0, v24
	v_add_u32_e32 v19, s10, v18
	v_ashrrev_i32_e32 v19, 5, v19
	v_cmp_gt_i32_e32 vcc, s33, v18
	v_cndmask_b32_e32 v18, v25, v19, vcc
	v_ashrrev_i32_e32 v19, 31, v18
	v_lshlrev_b64 v[18:19], 2, v[18:19]
	v_mov_b32_e32 v20, s22
	v_add_co_u32_e32 v18, vcc, s21, v18
	v_addc_co_u32_e32 v19, vcc, v20, v19, vcc
	global_load_dword v32, v[18:19], off
	s_add_u32 s6, s6, s14
	v_and_b32_e32 v18, 16, v0
	s_addc_u32 s7, s7, 0
	v_lshl_or_b32 v29, v27, 4, v41
	v_mov_b32_e32 v20, s7
	v_add_co_u32_e32 v34, vcc, s6, v18
	v_lshlrev_b32_e32 v19, 5, v29
	v_addc_co_u32_e32 v36, vcc, 0, v20, vcc
	v_add_co_u32_e32 v22, vcc, v34, v19
	v_addc_co_u32_e32 v23, vcc, 0, v36, vcc
	v_or_b32_e32 v33, 0x800, v19
	s_movk_i32 s14, 0x7f
	s_mov_b32 s15, 0xffffff
	v_mov_b32_e32 v37, 0x100
	v_bfrev_b32_e32 v38, 60
	s_waitcnt vmcnt(3)
	v_mad_i64_i32 v[18:19], s[6:7], v26, s13, v[22:23]
	s_waitcnt vmcnt(2)
	v_mad_i64_i32 v[24:25], s[6:7], v28, s13, v[22:23]
	global_load_dwordx4 v[18:21], v[18:19], off
	s_nop 0
	global_load_dwordx4 v[52:55], v[24:25], off
	s_waitcnt vmcnt(3)
	v_mad_i64_i32 v[24:25], s[6:7], v30, s13, v[22:23]
	s_waitcnt vmcnt(2)
	v_mad_i64_i32 v[22:23], s[6:7], v32, s13, v[22:23]
	global_load_dwordx4 v[56:59], v[24:25], off
	global_load_dwordx4 v[60:63], v[22:23], off
	v_add_co_u32_e32 v22, vcc, v34, v33
	v_addc_co_u32_e32 v23, vcc, 0, v36, vcc
	v_mad_i64_i32 v[24:25], s[6:7], v26, s13, v[22:23]
	global_load_dwordx4 v[64:67], v[24:25], off
	v_mad_i64_i32 v[24:25], s[6:7], v28, s13, v[22:23]
	global_load_dwordx4 v[68:71], v[24:25], off
	;; [unrolled: 2-line block ×4, first 2 shown]
	s_load_dword s6, s[4:5], 0x1c
	s_load_dwordx4 s[40:43], s[4:5], 0x80
	v_mov_b32_e32 v22, 0x80
	v_add_u32_e32 v45, 16, v22
	v_add_u32_e32 v46, 32, v22
	;; [unrolled: 1-line block ×3, first 2 shown]
	s_waitcnt lgkmcnt(0)
	s_load_dword s4, s[40:41], 0x0
	v_add_u32_e32 v51, 64, v22
	v_add_u32_e32 v48, 0x50, v22
	;; [unrolled: 1-line block ×4, first 2 shown]
	v_mov_b32_e32 v22, s6
	s_waitcnt lgkmcnt(0)
	v_mul_f32_e32 v22, s4, v22
	v_and_b32_e32 v33, 63, v0
	s_movk_i32 s13, 0x80
	v_mov_b32_e32 v36, 0
	v_mov_b32_e32 v24, v22
	;; [unrolled: 1-line block ×3, first 2 shown]
	s_waitcnt vmcnt(7)
	buffer_store_dword v21, off, s[0:3], 0 offset:140
	buffer_store_dword v20, off, s[0:3], 0 offset:136
	buffer_store_dword v19, off, s[0:3], 0 offset:132
	buffer_store_dword v18, off, s[0:3], 0 offset:128
	s_waitcnt vmcnt(10)
	buffer_store_dword v55, off, s[0:3], 0 offset:172
	buffer_store_dword v54, off, s[0:3], 0 offset:168
	buffer_store_dword v53, off, s[0:3], 0 offset:164
	buffer_store_dword v52, off, s[0:3], 0 offset:160
	;; [unrolled: 5-line block ×8, first 2 shown]
	s_branch .LBB644_17
.LBB644_14:                             ;   in Loop: Header=BB644_17 Depth=1
	s_or_b64 exec, exec, s[10:11]
.LBB644_15:                             ;   in Loop: Header=BB644_17 Depth=1
	s_or_b64 exec, exec, s[6:7]
.LBB644_16:                             ;   in Loop: Header=BB644_17 Depth=1
	s_or_b64 exec, exec, s[4:5]
	v_cvt_pkrtz_f16_f32 v54, v34, v32
	v_cvt_pkrtz_f16_f32 v55, v23, v42
	v_add_u32_e32 v26, s12, v37
	s_add_i32 s12, s12, 16
	v_mov_b32_e32 v23, v22
	v_mfma_f32_16x16x16f16 v[18:21], v[54:55], v[14:15], v[18:21]
	v_cvt_pkrtz_f16_f32 v54, v40, v44
	v_cvt_pkrtz_f16_f32 v55, v30, v52
	s_cmp_eq_u32 s12, 64
	v_add_u32_e32 v36, 32, v36
	v_mfma_f32_16x16x16f16 v[18:21], v[54:55], v[16:17], v[18:21]
	s_nop 7
	s_nop 2
	v_pk_mul_f32 v[18:19], v[24:25], v[18:19]
	v_pk_mul_f32 v[20:21], v[22:23], v[20:21]
	buffer_store_dword v19, v26, s[0:3], 0 offen offset:4
	buffer_store_dword v18, v26, s[0:3], 0 offen
	buffer_store_dword v21, v26, s[0:3], 0 offen offset:12
	buffer_store_dword v20, v26, s[0:3], 0 offen offset:8
	s_cbranch_scc1 .LBB644_207
.LBB644_17:                             ; =>This Inner Loop Header: Depth=1
	buffer_load_dword v20, v36, s[0:3], 0 offen
	buffer_load_dword v18, v36, s[0:3], 0 offen offset:4
	buffer_load_dword v28, v36, s[0:3], 0 offen offset:8
	;; [unrolled: 1-line block ×3, first 2 shown]
	v_mov_b32_e32 v19, 0
	v_mov_b32_e32 v21, 0
	s_waitcnt vmcnt(3)
	v_cmp_ne_u16_sdwa s[6:7], v20, v35 src0_sel:BYTE_0 src1_sel:DWORD
	s_and_saveexec_b64 s[4:5], s[6:7]
	s_cbranch_execz .LBB644_23
; %bb.18:                               ;   in Loop: Header=BB644_17 Depth=1
	v_cmp_ne_u16_sdwa s[10:11], v20, s13 src0_sel:BYTE_0 src1_sel:DWORD
	v_bfrev_b32_e32 v21, 1
	s_and_saveexec_b64 s[6:7], s[10:11]
	s_cbranch_execz .LBB644_22
; %bb.19:                               ;   in Loop: Header=BB644_17 Depth=1
	v_and_b32_e32 v23, 0x7f, v20
	v_cmp_ne_u32_e32 vcc, s14, v23
	v_mov_b32_e32 v21, 0x7f800001
	s_and_saveexec_b64 s[10:11], vcc
	s_cbranch_execz .LBB644_21
; %bb.20:                               ;   in Loop: Header=BB644_17 Depth=1
	v_and_b32_e32 v21, 7, v20
	v_ffbh_u32_e32 v32, v21
	v_min_u32_e32 v32, 32, v32
	v_subrev_u32_e32 v34, 28, v32
	v_lshlrev_b64 v[52:53], v34, v[20:21]
	v_lshrrev_b32_e32 v30, 3, v23
	v_sub_u32_e32 v32, 29, v32
	v_and_b32_e32 v34, 7, v52
	v_cmp_gt_u32_e32 vcc, 8, v23
	v_cndmask_b32_e32 v23, v30, v32, vcc
	v_cndmask_b32_e32 v21, v21, v34, vcc
	v_lshlrev_b32_e32 v30, 24, v20
	v_lshlrev_b32_e32 v21, 20, v21
	v_and_b32_e32 v30, 0x80000000, v30
	v_lshl_add_u32 v23, v23, 23, v38
	v_or3_b32 v21, v30, v23, v21
.LBB644_21:                             ;   in Loop: Header=BB644_17 Depth=1
	s_or_b64 exec, exec, s[10:11]
.LBB644_22:                             ;   in Loop: Header=BB644_17 Depth=1
	s_or_b64 exec, exec, s[6:7]
.LBB644_23:                             ;   in Loop: Header=BB644_17 Depth=1
	s_or_b64 exec, exec, s[4:5]
	v_lshrrev_b16_e32 v30, 8, v20
	v_cmp_ne_u16_e32 vcc, 0, v30
	s_and_saveexec_b64 s[4:5], vcc
	s_cbranch_execz .LBB644_29
; %bb.24:                               ;   in Loop: Header=BB644_17 Depth=1
	v_cmp_ne_u16_e32 vcc, s13, v30
	v_bfrev_b32_e32 v19, 1
	s_and_saveexec_b64 s[6:7], vcc
	s_cbranch_execz .LBB644_28
; %bb.25:                               ;   in Loop: Header=BB644_17 Depth=1
	v_and_b32_e32 v23, 0x7f, v30
	v_cmp_ne_u32_e32 vcc, s14, v23
	v_mov_b32_e32 v19, 0x7f800001
	s_and_saveexec_b64 s[10:11], vcc
	s_cbranch_execz .LBB644_27
; %bb.26:                               ;   in Loop: Header=BB644_17 Depth=1
	v_and_b32_e32 v19, 7, v30
	v_ffbh_u32_e32 v34, v19
	v_min_u32_e32 v34, 32, v34
	v_subrev_u32_e32 v40, 28, v34
	v_lshlrev_b64 v[52:53], v40, v[30:31]
	v_lshrrev_b32_e32 v32, 3, v23
	v_sub_u32_e32 v30, 29, v34
	v_and_b32_e32 v34, 7, v52
	v_cmp_gt_u32_e32 vcc, 8, v23
	v_cndmask_b32_e32 v23, v32, v30, vcc
	v_cndmask_b32_e32 v19, v19, v34, vcc
	v_lshlrev_b32_e32 v30, 16, v20
	v_lshlrev_b32_e32 v19, 20, v19
	v_and_b32_e32 v30, 0x80000000, v30
	v_lshl_add_u32 v23, v23, 23, v38
	v_or3_b32 v19, v30, v23, v19
.LBB644_27:                             ;   in Loop: Header=BB644_17 Depth=1
	s_or_b64 exec, exec, s[10:11]
.LBB644_28:                             ;   in Loop: Header=BB644_17 Depth=1
	s_or_b64 exec, exec, s[6:7]
.LBB644_29:                             ;   in Loop: Header=BB644_17 Depth=1
	s_or_b64 exec, exec, s[4:5]
	v_lshrrev_b32_e32 v30, 16, v20
	v_cmp_ne_u16_sdwa s[6:7], v30, v35 src0_sel:BYTE_0 src1_sel:DWORD
	v_mov_b32_e32 v32, 0
	v_mov_b32_e32 v23, 0
	s_and_saveexec_b64 s[4:5], s[6:7]
	s_cbranch_execz .LBB644_35
; %bb.30:                               ;   in Loop: Header=BB644_17 Depth=1
	v_cmp_ne_u16_sdwa s[10:11], v30, s13 src0_sel:BYTE_0 src1_sel:DWORD
	v_bfrev_b32_e32 v23, 1
	s_and_saveexec_b64 s[6:7], s[10:11]
	s_cbranch_execz .LBB644_34
; %bb.31:                               ;   in Loop: Header=BB644_17 Depth=1
	v_bfe_u32 v34, v20, 16, 7
	v_cmp_ne_u32_e32 vcc, s14, v34
	v_mov_b32_e32 v23, 0x7f800001
	s_and_saveexec_b64 s[10:11], vcc
	s_cbranch_execz .LBB644_33
; %bb.32:                               ;   in Loop: Header=BB644_17 Depth=1
	v_and_b32_e32 v23, 7, v30
	v_ffbh_u32_e32 v42, v23
	v_min_u32_e32 v42, 32, v42
	v_subrev_u32_e32 v44, 28, v42
	v_lshlrev_b64 v[52:53], v44, v[30:31]
	v_lshrrev_b32_e32 v40, 3, v34
	v_sub_u32_e32 v42, 29, v42
	v_and_b32_e32 v44, 7, v52
	v_cmp_gt_u32_e32 vcc, 8, v34
	v_cndmask_b32_e32 v34, v40, v42, vcc
	v_cndmask_b32_e32 v23, v23, v44, vcc
	v_lshlrev_b32_e32 v30, 24, v30
	v_lshlrev_b32_e32 v23, 20, v23
	v_and_b32_e32 v30, 0x80000000, v30
	v_lshl_add_u32 v34, v34, 23, v38
	v_or3_b32 v23, v30, v34, v23
.LBB644_33:                             ;   in Loop: Header=BB644_17 Depth=1
	s_or_b64 exec, exec, s[10:11]
.LBB644_34:                             ;   in Loop: Header=BB644_17 Depth=1
	s_or_b64 exec, exec, s[6:7]
.LBB644_35:                             ;   in Loop: Header=BB644_17 Depth=1
	s_or_b64 exec, exec, s[4:5]
	v_cmp_lt_u32_e32 vcc, s15, v20
	s_and_saveexec_b64 s[4:5], vcc
	s_cbranch_execz .LBB644_41
; %bb.36:                               ;   in Loop: Header=BB644_17 Depth=1
	v_lshrrev_b32_e32 v30, 24, v20
	v_cmp_ne_u32_e32 vcc, s13, v30
	v_bfrev_b32_e32 v32, 1
	s_and_saveexec_b64 s[6:7], vcc
	s_cbranch_execz .LBB644_40
; %bb.37:                               ;   in Loop: Header=BB644_17 Depth=1
	v_bfe_u32 v20, v20, 24, 7
	v_cmp_ne_u32_e32 vcc, s14, v20
	v_mov_b32_e32 v32, 0x7f800001
	s_and_saveexec_b64 s[10:11], vcc
	s_cbranch_execz .LBB644_39
; %bb.38:                               ;   in Loop: Header=BB644_17 Depth=1
	v_and_b32_e32 v32, 7, v30
	v_ffbh_u32_e32 v40, v32
	v_min_u32_e32 v40, 32, v40
	v_subrev_u32_e32 v42, 28, v40
	v_lshlrev_b64 v[52:53], v42, v[30:31]
	v_lshrrev_b32_e32 v34, 3, v20
	v_sub_u32_e32 v40, 29, v40
	v_and_b32_e32 v42, 7, v52
	v_cmp_gt_u32_e32 vcc, 8, v20
	v_cndmask_b32_e32 v20, v34, v40, vcc
	v_cndmask_b32_e32 v32, v32, v42, vcc
	v_lshlrev_b32_e32 v30, 24, v30
	v_lshlrev_b32_e32 v32, 20, v32
	v_and_b32_e32 v30, 0x80000000, v30
	v_lshl_add_u32 v20, v20, 23, v38
	v_or3_b32 v32, v30, v20, v32
.LBB644_39:                             ;   in Loop: Header=BB644_17 Depth=1
	s_or_b64 exec, exec, s[10:11]
.LBB644_40:                             ;   in Loop: Header=BB644_17 Depth=1
	s_or_b64 exec, exec, s[6:7]
.LBB644_41:                             ;   in Loop: Header=BB644_17 Depth=1
	s_or_b64 exec, exec, s[4:5]
	s_waitcnt vmcnt(2)
	v_cmp_ne_u16_sdwa s[6:7], v18, v35 src0_sel:BYTE_0 src1_sel:DWORD
	v_mov_b32_e32 v30, 0
	v_mov_b32_e32 v34, 0
	s_and_saveexec_b64 s[4:5], s[6:7]
	s_cbranch_execz .LBB644_47
; %bb.42:                               ;   in Loop: Header=BB644_17 Depth=1
	v_cmp_ne_u16_sdwa s[10:11], v18, s13 src0_sel:BYTE_0 src1_sel:DWORD
	v_bfrev_b32_e32 v34, 1
	s_and_saveexec_b64 s[6:7], s[10:11]
	s_cbranch_execz .LBB644_46
; %bb.43:                               ;   in Loop: Header=BB644_17 Depth=1
	v_and_b32_e32 v20, 0x7f, v18
	v_cmp_ne_u32_e32 vcc, s14, v20
	v_mov_b32_e32 v34, 0x7f800001
	s_and_saveexec_b64 s[10:11], vcc
	s_cbranch_execz .LBB644_45
; %bb.44:                               ;   in Loop: Header=BB644_17 Depth=1
	v_and_b32_e32 v34, 7, v18
	v_ffbh_u32_e32 v42, v34
	v_min_u32_e32 v42, 32, v42
	v_subrev_u32_e32 v44, 28, v42
	v_lshlrev_b64 v[52:53], v44, v[18:19]
	v_lshrrev_b32_e32 v40, 3, v20
	v_sub_u32_e32 v42, 29, v42
	v_and_b32_e32 v44, 7, v52
	v_cmp_gt_u32_e32 vcc, 8, v20
	v_cndmask_b32_e32 v20, v40, v42, vcc
	v_cndmask_b32_e32 v34, v34, v44, vcc
	v_lshlrev_b32_e32 v40, 24, v18
	v_lshlrev_b32_e32 v34, 20, v34
	v_and_b32_e32 v40, 0x80000000, v40
	v_lshl_add_u32 v20, v20, 23, v38
	v_or3_b32 v34, v40, v20, v34
.LBB644_45:                             ;   in Loop: Header=BB644_17 Depth=1
	s_or_b64 exec, exec, s[10:11]
.LBB644_46:                             ;   in Loop: Header=BB644_17 Depth=1
	s_or_b64 exec, exec, s[6:7]
.LBB644_47:                             ;   in Loop: Header=BB644_17 Depth=1
	s_or_b64 exec, exec, s[4:5]
	v_lshrrev_b16_e32 v20, 8, v18
	v_cmp_ne_u16_e32 vcc, 0, v20
	s_and_saveexec_b64 s[4:5], vcc
	s_cbranch_execz .LBB644_53
; %bb.48:                               ;   in Loop: Header=BB644_17 Depth=1
	v_cmp_ne_u16_e32 vcc, s13, v20
	v_bfrev_b32_e32 v30, 1
	s_and_saveexec_b64 s[6:7], vcc
	s_cbranch_execz .LBB644_52
; %bb.49:                               ;   in Loop: Header=BB644_17 Depth=1
	v_and_b32_e32 v40, 0x7f, v20
	v_cmp_ne_u32_e32 vcc, s14, v40
	v_mov_b32_e32 v30, 0x7f800001
	s_and_saveexec_b64 s[10:11], vcc
	s_cbranch_execz .LBB644_51
; %bb.50:                               ;   in Loop: Header=BB644_17 Depth=1
	v_and_b32_e32 v30, 7, v20
	v_ffbh_u32_e32 v44, v30
	v_min_u32_e32 v44, 32, v44
	v_subrev_u32_e32 v52, 28, v44
	v_lshlrev_b64 v[52:53], v52, v[20:21]
	v_lshrrev_b32_e32 v42, 3, v40
	v_sub_u32_e32 v20, 29, v44
	v_and_b32_e32 v44, 7, v52
	v_cmp_gt_u32_e32 vcc, 8, v40
	v_cndmask_b32_e32 v20, v42, v20, vcc
	v_cndmask_b32_e32 v30, v30, v44, vcc
	v_lshlrev_b32_e32 v40, 16, v18
	v_lshlrev_b32_e32 v30, 20, v30
	v_and_b32_e32 v40, 0x80000000, v40
	v_lshl_add_u32 v20, v20, 23, v38
	v_or3_b32 v30, v40, v20, v30
.LBB644_51:                             ;   in Loop: Header=BB644_17 Depth=1
	s_or_b64 exec, exec, s[10:11]
.LBB644_52:                             ;   in Loop: Header=BB644_17 Depth=1
	s_or_b64 exec, exec, s[6:7]
.LBB644_53:                             ;   in Loop: Header=BB644_17 Depth=1
	s_or_b64 exec, exec, s[4:5]
	v_lshrrev_b32_e32 v20, 16, v18
	v_cmp_ne_u16_sdwa s[6:7], v20, v35 src0_sel:BYTE_0 src1_sel:DWORD
	v_mov_b32_e32 v42, 0
	v_mov_b32_e32 v40, 0
	s_and_saveexec_b64 s[4:5], s[6:7]
	s_cbranch_execz .LBB644_59
; %bb.54:                               ;   in Loop: Header=BB644_17 Depth=1
	v_cmp_ne_u16_sdwa s[10:11], v20, s13 src0_sel:BYTE_0 src1_sel:DWORD
	v_bfrev_b32_e32 v40, 1
	s_and_saveexec_b64 s[6:7], s[10:11]
	s_cbranch_execz .LBB644_58
; %bb.55:                               ;   in Loop: Header=BB644_17 Depth=1
	v_bfe_u32 v44, v18, 16, 7
	v_cmp_ne_u32_e32 vcc, s14, v44
	v_mov_b32_e32 v40, 0x7f800001
	s_and_saveexec_b64 s[10:11], vcc
	s_cbranch_execz .LBB644_57
; %bb.56:                               ;   in Loop: Header=BB644_17 Depth=1
	v_and_b32_e32 v40, 7, v20
	v_ffbh_u32_e32 v52, v40
	v_min_u32_e32 v55, 32, v52
	v_subrev_u32_e32 v52, 28, v55
	v_lshlrev_b64 v[52:53], v52, v[20:21]
	v_lshrrev_b32_e32 v54, 3, v44
	v_sub_u32_e32 v53, 29, v55
	v_and_b32_e32 v52, 7, v52
	v_cmp_gt_u32_e32 vcc, 8, v44
	v_cndmask_b32_e32 v44, v54, v53, vcc
	v_cndmask_b32_e32 v40, v40, v52, vcc
	v_lshlrev_b32_e32 v20, 24, v20
	v_lshlrev_b32_e32 v40, 20, v40
	v_and_b32_e32 v20, 0x80000000, v20
	v_lshl_add_u32 v44, v44, 23, v38
	v_or3_b32 v40, v20, v44, v40
.LBB644_57:                             ;   in Loop: Header=BB644_17 Depth=1
	s_or_b64 exec, exec, s[10:11]
.LBB644_58:                             ;   in Loop: Header=BB644_17 Depth=1
	s_or_b64 exec, exec, s[6:7]
.LBB644_59:                             ;   in Loop: Header=BB644_17 Depth=1
	s_or_b64 exec, exec, s[4:5]
	v_cmp_lt_u32_e32 vcc, s15, v18
	s_and_saveexec_b64 s[4:5], vcc
	s_cbranch_execz .LBB644_65
; %bb.60:                               ;   in Loop: Header=BB644_17 Depth=1
	v_lshrrev_b32_e32 v20, 24, v18
	v_cmp_ne_u32_e32 vcc, s13, v20
	v_bfrev_b32_e32 v42, 1
	s_and_saveexec_b64 s[6:7], vcc
	s_cbranch_execz .LBB644_64
; %bb.61:                               ;   in Loop: Header=BB644_17 Depth=1
	v_bfe_u32 v18, v18, 24, 7
	v_cmp_ne_u32_e32 vcc, s14, v18
	v_mov_b32_e32 v42, 0x7f800001
	s_and_saveexec_b64 s[10:11], vcc
	s_cbranch_execz .LBB644_63
; %bb.62:                               ;   in Loop: Header=BB644_17 Depth=1
	v_and_b32_e32 v42, 7, v20
	v_ffbh_u32_e32 v52, v42
	v_min_u32_e32 v54, 32, v52
	v_subrev_u32_e32 v52, 28, v54
	v_lshlrev_b64 v[52:53], v52, v[20:21]
	v_lshrrev_b32_e32 v44, 3, v18
	v_sub_u32_e32 v53, 29, v54
	v_and_b32_e32 v52, 7, v52
	v_cmp_gt_u32_e32 vcc, 8, v18
	v_cndmask_b32_e32 v18, v44, v53, vcc
	v_cndmask_b32_e32 v42, v42, v52, vcc
	v_lshlrev_b32_e32 v20, 24, v20
	v_lshlrev_b32_e32 v42, 20, v42
	v_and_b32_e32 v20, 0x80000000, v20
	v_lshl_add_u32 v18, v18, 23, v38
	v_or3_b32 v42, v20, v18, v42
.LBB644_63:                             ;   in Loop: Header=BB644_17 Depth=1
	s_or_b64 exec, exec, s[10:11]
.LBB644_64:                             ;   in Loop: Header=BB644_17 Depth=1
	s_or_b64 exec, exec, s[6:7]
.LBB644_65:                             ;   in Loop: Header=BB644_17 Depth=1
	s_or_b64 exec, exec, s[4:5]
	v_cvt_pkrtz_f16_f32 v18, v21, v19
	v_cvt_pkrtz_f16_f32 v19, v23, v32
	;; [unrolled: 1-line block ×4, first 2 shown]
	v_mov_b32_e32 v32, 0
	v_mfma_f32_16x16x16f16 v[18:21], v[18:19], v[2:3], 0
	s_waitcnt vmcnt(1)
	v_cmp_ne_u16_sdwa s[6:7], v28, v35 src0_sel:BYTE_0 src1_sel:DWORD
	v_mov_b32_e32 v34, 0
	v_mfma_f32_16x16x16f16 v[18:21], v[52:53], v[4:5], v[18:21]
	s_and_saveexec_b64 s[4:5], s[6:7]
	s_cbranch_execz .LBB644_71
; %bb.66:                               ;   in Loop: Header=BB644_17 Depth=1
	v_cmp_ne_u16_sdwa s[10:11], v28, s13 src0_sel:BYTE_0 src1_sel:DWORD
	v_bfrev_b32_e32 v34, 1
	s_and_saveexec_b64 s[6:7], s[10:11]
	s_cbranch_execz .LBB644_70
; %bb.67:                               ;   in Loop: Header=BB644_17 Depth=1
	v_and_b32_e32 v23, 0x7f, v28
	v_cmp_ne_u32_e32 vcc, s14, v23
	v_mov_b32_e32 v34, 0x7f800001
	s_and_saveexec_b64 s[10:11], vcc
	s_cbranch_execz .LBB644_69
; %bb.68:                               ;   in Loop: Header=BB644_17 Depth=1
	v_and_b32_e32 v30, 7, v28
	v_ffbh_u32_e32 v40, v30
	v_min_u32_e32 v40, 32, v40
	v_subrev_u32_e32 v42, 28, v40
	v_lshlrev_b64 v[52:53], v42, v[28:29]
	v_lshrrev_b32_e32 v34, 3, v23
	v_sub_u32_e32 v40, 29, v40
	v_and_b32_e32 v42, 7, v52
	v_cmp_gt_u32_e32 vcc, 8, v23
	v_cndmask_b32_e32 v23, v34, v40, vcc
	v_cndmask_b32_e32 v30, v30, v42, vcc
	v_lshlrev_b32_e32 v34, 24, v28
	v_lshlrev_b32_e32 v30, 20, v30
	v_and_b32_e32 v34, 0x80000000, v34
	v_lshl_add_u32 v23, v23, 23, v38
	v_or3_b32 v34, v34, v23, v30
.LBB644_69:                             ;   in Loop: Header=BB644_17 Depth=1
	s_or_b64 exec, exec, s[10:11]
.LBB644_70:                             ;   in Loop: Header=BB644_17 Depth=1
	s_or_b64 exec, exec, s[6:7]
.LBB644_71:                             ;   in Loop: Header=BB644_17 Depth=1
	s_or_b64 exec, exec, s[4:5]
	v_lshrrev_b16_e32 v30, 8, v28
	v_cmp_ne_u16_e32 vcc, 0, v30
	v_mov_b32_e32 v40, 0
	s_and_saveexec_b64 s[4:5], vcc
	s_cbranch_execz .LBB644_77
; %bb.72:                               ;   in Loop: Header=BB644_17 Depth=1
	v_cmp_ne_u16_e32 vcc, s13, v30
	v_bfrev_b32_e32 v40, 1
	s_and_saveexec_b64 s[6:7], vcc
	s_cbranch_execz .LBB644_76
; %bb.73:                               ;   in Loop: Header=BB644_17 Depth=1
	v_and_b32_e32 v23, 0x7f, v30
	v_cmp_ne_u32_e32 vcc, s14, v23
	v_mov_b32_e32 v40, 0x7f800001
	s_and_saveexec_b64 s[10:11], vcc
	s_cbranch_execz .LBB644_75
; %bb.74:                               ;   in Loop: Header=BB644_17 Depth=1
	v_and_b32_e32 v40, 7, v30
	v_ffbh_u32_e32 v44, v40
	v_min_u32_e32 v44, 32, v44
	v_subrev_u32_e32 v52, 28, v44
	v_lshlrev_b64 v[52:53], v52, v[30:31]
	v_lshrrev_b32_e32 v42, 3, v23
	v_sub_u32_e32 v30, 29, v44
	v_and_b32_e32 v44, 7, v52
	v_cmp_gt_u32_e32 vcc, 8, v23
	v_cndmask_b32_e32 v23, v42, v30, vcc
	v_cndmask_b32_e32 v30, v40, v44, vcc
	v_lshlrev_b32_e32 v40, 16, v28
	v_lshlrev_b32_e32 v30, 20, v30
	v_and_b32_e32 v40, 0x80000000, v40
	v_lshl_add_u32 v23, v23, 23, v38
	v_or3_b32 v40, v40, v23, v30
.LBB644_75:                             ;   in Loop: Header=BB644_17 Depth=1
	s_or_b64 exec, exec, s[10:11]
.LBB644_76:                             ;   in Loop: Header=BB644_17 Depth=1
	s_or_b64 exec, exec, s[6:7]
.LBB644_77:                             ;   in Loop: Header=BB644_17 Depth=1
	s_or_b64 exec, exec, s[4:5]
	v_lshrrev_b32_e32 v30, 16, v28
	v_cmp_ne_u16_sdwa s[6:7], v30, v35 src0_sel:BYTE_0 src1_sel:DWORD
	s_and_saveexec_b64 s[4:5], s[6:7]
	s_cbranch_execz .LBB644_83
; %bb.78:                               ;   in Loop: Header=BB644_17 Depth=1
	v_cmp_ne_u16_sdwa s[10:11], v30, s13 src0_sel:BYTE_0 src1_sel:DWORD
	v_bfrev_b32_e32 v32, 1
	s_and_saveexec_b64 s[6:7], s[10:11]
	s_cbranch_execz .LBB644_82
; %bb.79:                               ;   in Loop: Header=BB644_17 Depth=1
	v_bfe_u32 v23, v28, 16, 7
	v_cmp_ne_u32_e32 vcc, s14, v23
	v_mov_b32_e32 v32, 0x7f800001
	s_and_saveexec_b64 s[10:11], vcc
	s_cbranch_execz .LBB644_81
; %bb.80:                               ;   in Loop: Header=BB644_17 Depth=1
	v_and_b32_e32 v32, 7, v30
	v_ffbh_u32_e32 v44, v32
	v_min_u32_e32 v44, 32, v44
	v_subrev_u32_e32 v52, 28, v44
	v_lshlrev_b64 v[52:53], v52, v[30:31]
	v_lshrrev_b32_e32 v42, 3, v23
	v_sub_u32_e32 v44, 29, v44
	v_and_b32_e32 v52, 7, v52
	v_cmp_gt_u32_e32 vcc, 8, v23
	v_cndmask_b32_e32 v23, v42, v44, vcc
	v_cndmask_b32_e32 v32, v32, v52, vcc
	v_lshlrev_b32_e32 v30, 24, v30
	v_lshlrev_b32_e32 v32, 20, v32
	v_and_b32_e32 v30, 0x80000000, v30
	v_lshl_add_u32 v23, v23, 23, v38
	v_or3_b32 v32, v30, v23, v32
.LBB644_81:                             ;   in Loop: Header=BB644_17 Depth=1
	s_or_b64 exec, exec, s[10:11]
.LBB644_82:                             ;   in Loop: Header=BB644_17 Depth=1
	s_or_b64 exec, exec, s[6:7]
.LBB644_83:                             ;   in Loop: Header=BB644_17 Depth=1
	s_or_b64 exec, exec, s[4:5]
	v_cmp_lt_u32_e32 vcc, s15, v28
	v_mov_b32_e32 v42, 0
	v_mov_b32_e32 v44, 0
	s_and_saveexec_b64 s[4:5], vcc
	s_cbranch_execz .LBB644_89
; %bb.84:                               ;   in Loop: Header=BB644_17 Depth=1
	v_lshrrev_b32_e32 v30, 24, v28
	v_cmp_ne_u32_e32 vcc, s13, v30
	v_bfrev_b32_e32 v44, 1
	s_and_saveexec_b64 s[6:7], vcc
	s_cbranch_execz .LBB644_88
; %bb.85:                               ;   in Loop: Header=BB644_17 Depth=1
	v_bfe_u32 v23, v28, 24, 7
	v_cmp_ne_u32_e32 vcc, s14, v23
	v_mov_b32_e32 v44, 0x7f800001
	s_and_saveexec_b64 s[10:11], vcc
	s_cbranch_execz .LBB644_87
; %bb.86:                               ;   in Loop: Header=BB644_17 Depth=1
	v_and_b32_e32 v28, 7, v30
	v_ffbh_u32_e32 v52, v28
	v_min_u32_e32 v54, 32, v52
	v_subrev_u32_e32 v52, 28, v54
	v_lshlrev_b64 v[52:53], v52, v[30:31]
	v_lshrrev_b32_e32 v44, 3, v23
	v_sub_u32_e32 v53, 29, v54
	v_and_b32_e32 v52, 7, v52
	v_cmp_gt_u32_e32 vcc, 8, v23
	v_cndmask_b32_e32 v23, v44, v53, vcc
	v_cndmask_b32_e32 v28, v28, v52, vcc
	v_lshlrev_b32_e32 v30, 24, v30
	v_lshlrev_b32_e32 v28, 20, v28
	v_and_b32_e32 v30, 0x80000000, v30
	v_lshl_add_u32 v23, v23, 23, v38
	v_or3_b32 v44, v30, v23, v28
.LBB644_87:                             ;   in Loop: Header=BB644_17 Depth=1
	s_or_b64 exec, exec, s[10:11]
.LBB644_88:                             ;   in Loop: Header=BB644_17 Depth=1
	s_or_b64 exec, exec, s[6:7]
.LBB644_89:                             ;   in Loop: Header=BB644_17 Depth=1
	s_or_b64 exec, exec, s[4:5]
	s_waitcnt vmcnt(0)
	v_cmp_ne_u16_sdwa s[6:7], v26, v35 src0_sel:BYTE_0 src1_sel:DWORD
	s_and_saveexec_b64 s[4:5], s[6:7]
	s_cbranch_execz .LBB644_95
; %bb.90:                               ;   in Loop: Header=BB644_17 Depth=1
	v_cmp_ne_u16_sdwa s[10:11], v26, s13 src0_sel:BYTE_0 src1_sel:DWORD
	v_bfrev_b32_e32 v42, 1
	s_and_saveexec_b64 s[6:7], s[10:11]
	s_cbranch_execz .LBB644_94
; %bb.91:                               ;   in Loop: Header=BB644_17 Depth=1
	v_and_b32_e32 v23, 0x7f, v26
	v_cmp_ne_u32_e32 vcc, s14, v23
	v_mov_b32_e32 v42, 0x7f800001
	s_and_saveexec_b64 s[10:11], vcc
	s_cbranch_execz .LBB644_93
; %bb.92:                               ;   in Loop: Header=BB644_17 Depth=1
	v_and_b32_e32 v28, 7, v26
	v_ffbh_u32_e32 v42, v28
	v_min_u32_e32 v42, 32, v42
	v_subrev_u32_e32 v52, 28, v42
	v_lshlrev_b64 v[52:53], v52, v[26:27]
	v_lshrrev_b32_e32 v30, 3, v23
	v_sub_u32_e32 v42, 29, v42
	v_and_b32_e32 v52, 7, v52
	v_cmp_gt_u32_e32 vcc, 8, v23
	v_cndmask_b32_e32 v23, v30, v42, vcc
	v_cndmask_b32_e32 v28, v28, v52, vcc
	v_lshlrev_b32_e32 v30, 24, v26
	v_lshlrev_b32_e32 v28, 20, v28
	v_and_b32_e32 v30, 0x80000000, v30
	v_lshl_add_u32 v23, v23, 23, v38
	v_or3_b32 v42, v30, v23, v28
.LBB644_93:                             ;   in Loop: Header=BB644_17 Depth=1
	s_or_b64 exec, exec, s[10:11]
.LBB644_94:                             ;   in Loop: Header=BB644_17 Depth=1
	s_or_b64 exec, exec, s[6:7]
.LBB644_95:                             ;   in Loop: Header=BB644_17 Depth=1
	s_or_b64 exec, exec, s[4:5]
	v_lshrrev_b16_e32 v28, 8, v26
	v_cmp_ne_u16_e32 vcc, 0, v28
	v_mov_b32_e32 v52, 0
	v_mov_b32_e32 v53, 0
	s_and_saveexec_b64 s[4:5], vcc
	s_cbranch_execz .LBB644_101
; %bb.96:                               ;   in Loop: Header=BB644_17 Depth=1
	v_cmp_ne_u16_e32 vcc, s13, v28
	v_bfrev_b32_e32 v53, 1
	s_and_saveexec_b64 s[6:7], vcc
	s_cbranch_execz .LBB644_100
; %bb.97:                               ;   in Loop: Header=BB644_17 Depth=1
	v_and_b32_e32 v23, 0x7f, v28
	v_cmp_ne_u32_e32 vcc, s14, v23
	v_mov_b32_e32 v53, 0x7f800001
	s_and_saveexec_b64 s[10:11], vcc
	s_cbranch_execz .LBB644_99
; %bb.98:                               ;   in Loop: Header=BB644_17 Depth=1
	v_and_b32_e32 v30, 7, v28
	v_ffbh_u32_e32 v54, v30
	v_min_u32_e32 v56, 32, v54
	v_subrev_u32_e32 v54, 28, v56
	v_lshlrev_b64 v[54:55], v54, v[28:29]
	v_lshrrev_b32_e32 v53, 3, v23
	v_sub_u32_e32 v28, 29, v56
	v_and_b32_e32 v54, 7, v54
	v_cmp_gt_u32_e32 vcc, 8, v23
	v_cndmask_b32_e32 v23, v53, v28, vcc
	v_cndmask_b32_e32 v28, v30, v54, vcc
	v_lshlrev_b32_e32 v30, 16, v26
	v_lshlrev_b32_e32 v28, 20, v28
	v_and_b32_e32 v30, 0x80000000, v30
	v_lshl_add_u32 v23, v23, 23, v38
	v_or3_b32 v53, v30, v23, v28
.LBB644_99:                             ;   in Loop: Header=BB644_17 Depth=1
	s_or_b64 exec, exec, s[10:11]
.LBB644_100:                            ;   in Loop: Header=BB644_17 Depth=1
	s_or_b64 exec, exec, s[6:7]
.LBB644_101:                            ;   in Loop: Header=BB644_17 Depth=1
	s_or_b64 exec, exec, s[4:5]
	v_lshrrev_b32_e32 v28, 16, v26
	v_cmp_ne_u16_sdwa s[6:7], v28, v35 src0_sel:BYTE_0 src1_sel:DWORD
	s_and_saveexec_b64 s[4:5], s[6:7]
	s_cbranch_execz .LBB644_107
; %bb.102:                              ;   in Loop: Header=BB644_17 Depth=1
	v_cmp_ne_u16_sdwa s[10:11], v28, s13 src0_sel:BYTE_0 src1_sel:DWORD
	v_bfrev_b32_e32 v52, 1
	s_and_saveexec_b64 s[6:7], s[10:11]
	s_cbranch_execz .LBB644_106
; %bb.103:                              ;   in Loop: Header=BB644_17 Depth=1
	v_bfe_u32 v23, v26, 16, 7
	v_cmp_ne_u32_e32 vcc, s14, v23
	v_mov_b32_e32 v52, 0x7f800001
	s_and_saveexec_b64 s[10:11], vcc
	s_cbranch_execz .LBB644_105
; %bb.104:                              ;   in Loop: Header=BB644_17 Depth=1
	v_and_b32_e32 v30, 7, v28
	v_ffbh_u32_e32 v54, v30
	v_min_u32_e32 v56, 32, v54
	v_subrev_u32_e32 v54, 28, v56
	v_lshlrev_b64 v[54:55], v54, v[28:29]
	v_lshrrev_b32_e32 v52, 3, v23
	v_sub_u32_e32 v55, 29, v56
	v_and_b32_e32 v54, 7, v54
	v_cmp_gt_u32_e32 vcc, 8, v23
	v_cndmask_b32_e32 v23, v52, v55, vcc
	v_cndmask_b32_e32 v30, v30, v54, vcc
	v_lshlrev_b32_e32 v28, 24, v28
	v_lshlrev_b32_e32 v30, 20, v30
	v_and_b32_e32 v28, 0x80000000, v28
	v_lshl_add_u32 v23, v23, 23, v38
	v_or3_b32 v52, v28, v23, v30
.LBB644_105:                            ;   in Loop: Header=BB644_17 Depth=1
	s_or_b64 exec, exec, s[10:11]
.LBB644_106:                            ;   in Loop: Header=BB644_17 Depth=1
	s_or_b64 exec, exec, s[6:7]
.LBB644_107:                            ;   in Loop: Header=BB644_17 Depth=1
	s_or_b64 exec, exec, s[4:5]
	v_cmp_lt_u32_e32 vcc, s15, v26
	v_mov_b32_e32 v23, 0
	v_mov_b32_e32 v54, 0
	s_and_saveexec_b64 s[4:5], vcc
	s_cbranch_execz .LBB644_113
; %bb.108:                              ;   in Loop: Header=BB644_17 Depth=1
	v_lshrrev_b32_e32 v28, 24, v26
	v_cmp_ne_u32_e32 vcc, s13, v28
	v_bfrev_b32_e32 v54, 1
	s_and_saveexec_b64 s[6:7], vcc
	s_cbranch_execz .LBB644_112
; %bb.109:                              ;   in Loop: Header=BB644_17 Depth=1
	v_bfe_u32 v26, v26, 24, 7
	v_cmp_ne_u32_e32 vcc, s14, v26
	v_mov_b32_e32 v54, 0x7f800001
	s_and_saveexec_b64 s[10:11], vcc
	s_cbranch_execz .LBB644_111
; %bb.110:                              ;   in Loop: Header=BB644_17 Depth=1
	v_and_b32_e32 v30, 7, v28
	v_ffbh_u32_e32 v54, v30
	v_min_u32_e32 v57, 32, v54
	v_subrev_u32_e32 v54, 28, v57
	v_lshlrev_b64 v[54:55], v54, v[28:29]
	v_lshrrev_b32_e32 v56, 3, v26
	v_sub_u32_e32 v55, 29, v57
	v_and_b32_e32 v54, 7, v54
	v_cmp_gt_u32_e32 vcc, 8, v26
	v_cndmask_b32_e32 v26, v56, v55, vcc
	v_cndmask_b32_e32 v30, v30, v54, vcc
	v_lshlrev_b32_e32 v28, 24, v28
	v_lshlrev_b32_e32 v30, 20, v30
	v_and_b32_e32 v28, 0x80000000, v28
	v_lshl_add_u32 v26, v26, 23, v38
	v_or3_b32 v54, v28, v26, v30
.LBB644_111:                            ;   in Loop: Header=BB644_17 Depth=1
	s_or_b64 exec, exec, s[10:11]
.LBB644_112:                            ;   in Loop: Header=BB644_17 Depth=1
	s_or_b64 exec, exec, s[6:7]
.LBB644_113:                            ;   in Loop: Header=BB644_17 Depth=1
	s_or_b64 exec, exec, s[4:5]
	v_cvt_pkrtz_f16_f32 v57, v32, v44
	buffer_load_dword v32, v36, s[0:3], 0 offen offset:16
	buffer_load_dword v30, v36, s[0:3], 0 offen offset:20
	;; [unrolled: 1-line block ×4, first 2 shown]
	v_cvt_pkrtz_f16_f32 v56, v34, v40
	s_waitcnt vmcnt(3)
	v_cmp_ne_u16_sdwa s[6:7], v32, v35 src0_sel:BYTE_0 src1_sel:DWORD
	v_mfma_f32_16x16x16f16 v[18:21], v[56:57], v[6:7], v[18:21]
	v_cvt_pkrtz_f16_f32 v56, v42, v53
	v_cvt_pkrtz_f16_f32 v57, v52, v54
	s_nop 1
	v_mfma_f32_16x16x16f16 v[18:21], v[56:57], v[8:9], v[18:21]
	s_and_saveexec_b64 s[4:5], s[6:7]
	s_cbranch_execz .LBB644_119
; %bb.114:                              ;   in Loop: Header=BB644_17 Depth=1
	v_cmp_ne_u16_sdwa s[10:11], v32, s13 src0_sel:BYTE_0 src1_sel:DWORD
	v_bfrev_b32_e32 v23, 1
	s_and_saveexec_b64 s[6:7], s[10:11]
	s_cbranch_execz .LBB644_118
; %bb.115:                              ;   in Loop: Header=BB644_17 Depth=1
	v_and_b32_e32 v34, 0x7f, v32
	v_cmp_ne_u32_e32 vcc, s14, v34
	v_mov_b32_e32 v23, 0x7f800001
	s_and_saveexec_b64 s[10:11], vcc
	s_cbranch_execz .LBB644_117
; %bb.116:                              ;   in Loop: Header=BB644_17 Depth=1
	v_and_b32_e32 v23, 7, v32
	v_ffbh_u32_e32 v42, v23
	v_min_u32_e32 v42, 32, v42
	v_subrev_u32_e32 v44, 28, v42
	v_lshlrev_b64 v[52:53], v44, v[32:33]
	v_lshrrev_b32_e32 v40, 3, v34
	v_sub_u32_e32 v42, 29, v42
	v_and_b32_e32 v44, 7, v52
	v_cmp_gt_u32_e32 vcc, 8, v34
	v_cndmask_b32_e32 v34, v40, v42, vcc
	v_cndmask_b32_e32 v23, v23, v44, vcc
	v_lshlrev_b32_e32 v40, 24, v32
	v_lshlrev_b32_e32 v23, 20, v23
	v_and_b32_e32 v40, 0x80000000, v40
	v_lshl_add_u32 v34, v34, 23, v38
	v_or3_b32 v23, v40, v34, v23
.LBB644_117:                            ;   in Loop: Header=BB644_17 Depth=1
	s_or_b64 exec, exec, s[10:11]
.LBB644_118:                            ;   in Loop: Header=BB644_17 Depth=1
	s_or_b64 exec, exec, s[6:7]
.LBB644_119:                            ;   in Loop: Header=BB644_17 Depth=1
	s_or_b64 exec, exec, s[4:5]
	v_lshrrev_b16_e32 v34, 8, v32
	v_cmp_ne_u16_e32 vcc, 0, v34
	v_mov_b32_e32 v40, 0
	v_mov_b32_e32 v42, 0
	s_and_saveexec_b64 s[4:5], vcc
	s_cbranch_execz .LBB644_125
; %bb.120:                              ;   in Loop: Header=BB644_17 Depth=1
	v_cmp_ne_u16_e32 vcc, s13, v34
	v_bfrev_b32_e32 v42, 1
	s_and_saveexec_b64 s[6:7], vcc
	s_cbranch_execz .LBB644_124
; %bb.121:                              ;   in Loop: Header=BB644_17 Depth=1
	v_and_b32_e32 v44, 0x7f, v34
	v_cmp_ne_u32_e32 vcc, s14, v44
	v_mov_b32_e32 v42, 0x7f800001
	s_and_saveexec_b64 s[10:11], vcc
	s_cbranch_execz .LBB644_123
; %bb.122:                              ;   in Loop: Header=BB644_17 Depth=1
	v_and_b32_e32 v42, 7, v34
	v_ffbh_u32_e32 v52, v42
	v_min_u32_e32 v55, 32, v52
	v_subrev_u32_e32 v52, 28, v55
	v_lshlrev_b64 v[52:53], v52, v[34:35]
	v_lshrrev_b32_e32 v54, 3, v44
	v_sub_u32_e32 v34, 29, v55
	v_and_b32_e32 v52, 7, v52
	v_cmp_gt_u32_e32 vcc, 8, v44
	v_cndmask_b32_e32 v34, v54, v34, vcc
	v_cndmask_b32_e32 v42, v42, v52, vcc
	v_lshlrev_b32_e32 v44, 16, v32
	v_lshlrev_b32_e32 v42, 20, v42
	v_and_b32_e32 v44, 0x80000000, v44
	v_lshl_add_u32 v34, v34, 23, v38
	v_or3_b32 v42, v44, v34, v42
.LBB644_123:                            ;   in Loop: Header=BB644_17 Depth=1
	s_or_b64 exec, exec, s[10:11]
.LBB644_124:                            ;   in Loop: Header=BB644_17 Depth=1
	s_or_b64 exec, exec, s[6:7]
.LBB644_125:                            ;   in Loop: Header=BB644_17 Depth=1
	s_or_b64 exec, exec, s[4:5]
	v_lshrrev_b32_e32 v34, 16, v32
	v_cmp_ne_u16_sdwa s[6:7], v34, v35 src0_sel:BYTE_0 src1_sel:DWORD
	s_and_saveexec_b64 s[4:5], s[6:7]
	s_cbranch_execz .LBB644_131
; %bb.126:                              ;   in Loop: Header=BB644_17 Depth=1
	v_cmp_ne_u16_sdwa s[10:11], v34, s13 src0_sel:BYTE_0 src1_sel:DWORD
	v_bfrev_b32_e32 v40, 1
	s_and_saveexec_b64 s[6:7], s[10:11]
	s_cbranch_execz .LBB644_130
; %bb.127:                              ;   in Loop: Header=BB644_17 Depth=1
	v_bfe_u32 v44, v32, 16, 7
	v_cmp_ne_u32_e32 vcc, s14, v44
	v_mov_b32_e32 v40, 0x7f800001
	s_and_saveexec_b64 s[10:11], vcc
	s_cbranch_execz .LBB644_129
; %bb.128:                              ;   in Loop: Header=BB644_17 Depth=1
	v_and_b32_e32 v40, 7, v34
	v_ffbh_u32_e32 v52, v40
	v_min_u32_e32 v55, 32, v52
	v_subrev_u32_e32 v52, 28, v55
	v_lshlrev_b64 v[52:53], v52, v[34:35]
	v_lshrrev_b32_e32 v54, 3, v44
	v_sub_u32_e32 v53, 29, v55
	v_and_b32_e32 v52, 7, v52
	v_cmp_gt_u32_e32 vcc, 8, v44
	v_cndmask_b32_e32 v44, v54, v53, vcc
	v_cndmask_b32_e32 v40, v40, v52, vcc
	v_lshlrev_b32_e32 v34, 24, v34
	v_lshlrev_b32_e32 v40, 20, v40
	v_and_b32_e32 v34, 0x80000000, v34
	v_lshl_add_u32 v44, v44, 23, v38
	v_or3_b32 v40, v34, v44, v40
.LBB644_129:                            ;   in Loop: Header=BB644_17 Depth=1
	s_or_b64 exec, exec, s[10:11]
.LBB644_130:                            ;   in Loop: Header=BB644_17 Depth=1
	s_or_b64 exec, exec, s[6:7]
.LBB644_131:                            ;   in Loop: Header=BB644_17 Depth=1
	s_or_b64 exec, exec, s[4:5]
	v_cmp_lt_u32_e32 vcc, s15, v32
	v_mov_b32_e32 v44, 0
	v_mov_b32_e32 v52, 0
	s_and_saveexec_b64 s[4:5], vcc
	s_cbranch_execz .LBB644_137
; %bb.132:                              ;   in Loop: Header=BB644_17 Depth=1
	v_lshrrev_b32_e32 v34, 24, v32
	v_cmp_ne_u32_e32 vcc, s13, v34
	v_bfrev_b32_e32 v52, 1
	s_and_saveexec_b64 s[6:7], vcc
	s_cbranch_execz .LBB644_136
; %bb.133:                              ;   in Loop: Header=BB644_17 Depth=1
	v_bfe_u32 v32, v32, 24, 7
	v_cmp_ne_u32_e32 vcc, s14, v32
	v_mov_b32_e32 v52, 0x7f800001
	s_and_saveexec_b64 s[10:11], vcc
	s_cbranch_execz .LBB644_135
; %bb.134:                              ;   in Loop: Header=BB644_17 Depth=1
	v_and_b32_e32 v54, 7, v34
	v_ffbh_u32_e32 v52, v54
	v_min_u32_e32 v56, 32, v52
	v_subrev_u32_e32 v52, 28, v56
	v_lshlrev_b64 v[52:53], v52, v[34:35]
	v_lshrrev_b32_e32 v55, 3, v32
	v_sub_u32_e32 v53, 29, v56
	v_and_b32_e32 v52, 7, v52
	v_cmp_gt_u32_e32 vcc, 8, v32
	v_cndmask_b32_e32 v32, v55, v53, vcc
	v_cndmask_b32_e32 v52, v54, v52, vcc
	v_lshlrev_b32_e32 v34, 24, v34
	v_lshlrev_b32_e32 v52, 20, v52
	v_and_b32_e32 v34, 0x80000000, v34
	v_lshl_add_u32 v32, v32, 23, v38
	v_or3_b32 v52, v34, v32, v52
.LBB644_135:                            ;   in Loop: Header=BB644_17 Depth=1
	s_or_b64 exec, exec, s[10:11]
.LBB644_136:                            ;   in Loop: Header=BB644_17 Depth=1
	s_or_b64 exec, exec, s[6:7]
.LBB644_137:                            ;   in Loop: Header=BB644_17 Depth=1
	s_or_b64 exec, exec, s[4:5]
	s_waitcnt vmcnt(2)
	v_cmp_ne_u16_sdwa s[6:7], v30, v35 src0_sel:BYTE_0 src1_sel:DWORD
	s_and_saveexec_b64 s[4:5], s[6:7]
	s_cbranch_execz .LBB644_143
; %bb.138:                              ;   in Loop: Header=BB644_17 Depth=1
	v_cmp_ne_u16_sdwa s[10:11], v30, s13 src0_sel:BYTE_0 src1_sel:DWORD
	v_bfrev_b32_e32 v44, 1
	s_and_saveexec_b64 s[6:7], s[10:11]
	s_cbranch_execz .LBB644_142
; %bb.139:                              ;   in Loop: Header=BB644_17 Depth=1
	v_and_b32_e32 v32, 0x7f, v30
	v_cmp_ne_u32_e32 vcc, s14, v32
	v_mov_b32_e32 v44, 0x7f800001
	s_and_saveexec_b64 s[10:11], vcc
	s_cbranch_execz .LBB644_141
; %bb.140:                              ;   in Loop: Header=BB644_17 Depth=1
	v_and_b32_e32 v34, 7, v30
	v_ffbh_u32_e32 v53, v34
	v_min_u32_e32 v53, 32, v53
	v_subrev_u32_e32 v54, 28, v53
	v_lshlrev_b64 v[54:55], v54, v[30:31]
	v_lshrrev_b32_e32 v44, 3, v32
	v_sub_u32_e32 v53, 29, v53
	v_and_b32_e32 v54, 7, v54
	v_cmp_gt_u32_e32 vcc, 8, v32
	v_cndmask_b32_e32 v32, v44, v53, vcc
	v_cndmask_b32_e32 v34, v34, v54, vcc
	v_lshlrev_b32_e32 v44, 24, v30
	v_lshlrev_b32_e32 v34, 20, v34
	v_and_b32_e32 v44, 0x80000000, v44
	v_lshl_add_u32 v32, v32, 23, v38
	v_or3_b32 v44, v44, v32, v34
.LBB644_141:                            ;   in Loop: Header=BB644_17 Depth=1
	s_or_b64 exec, exec, s[10:11]
.LBB644_142:                            ;   in Loop: Header=BB644_17 Depth=1
	s_or_b64 exec, exec, s[6:7]
.LBB644_143:                            ;   in Loop: Header=BB644_17 Depth=1
	s_or_b64 exec, exec, s[4:5]
	v_lshrrev_b16_e32 v32, 8, v30
	v_cmp_ne_u16_e32 vcc, 0, v32
	v_mov_b32_e32 v53, 0
	v_mov_b32_e32 v54, 0
	s_and_saveexec_b64 s[4:5], vcc
	s_cbranch_execz .LBB644_149
; %bb.144:                              ;   in Loop: Header=BB644_17 Depth=1
	v_cmp_ne_u16_e32 vcc, s13, v32
	v_bfrev_b32_e32 v54, 1
	s_and_saveexec_b64 s[6:7], vcc
	s_cbranch_execz .LBB644_148
; %bb.145:                              ;   in Loop: Header=BB644_17 Depth=1
	v_and_b32_e32 v34, 0x7f, v32
	v_cmp_ne_u32_e32 vcc, s14, v34
	v_mov_b32_e32 v54, 0x7f800001
	s_and_saveexec_b64 s[10:11], vcc
	s_cbranch_execz .LBB644_147
; %bb.146:                              ;   in Loop: Header=BB644_17 Depth=1
	v_and_b32_e32 v56, 7, v32
	v_ffbh_u32_e32 v54, v56
	v_min_u32_e32 v58, 32, v54
	v_subrev_u32_e32 v54, 28, v58
	v_lshlrev_b64 v[54:55], v54, v[32:33]
	v_lshrrev_b32_e32 v57, 3, v34
	v_sub_u32_e32 v32, 29, v58
	v_and_b32_e32 v54, 7, v54
	v_cmp_gt_u32_e32 vcc, 8, v34
	v_cndmask_b32_e32 v32, v57, v32, vcc
	v_cndmask_b32_e32 v34, v56, v54, vcc
	v_lshlrev_b32_e32 v54, 16, v30
	v_lshlrev_b32_e32 v34, 20, v34
	v_and_b32_e32 v54, 0x80000000, v54
	v_lshl_add_u32 v32, v32, 23, v38
	v_or3_b32 v54, v54, v32, v34
.LBB644_147:                            ;   in Loop: Header=BB644_17 Depth=1
	s_or_b64 exec, exec, s[10:11]
.LBB644_148:                            ;   in Loop: Header=BB644_17 Depth=1
	s_or_b64 exec, exec, s[6:7]
.LBB644_149:                            ;   in Loop: Header=BB644_17 Depth=1
	s_or_b64 exec, exec, s[4:5]
	v_lshrrev_b32_e32 v32, 16, v30
	v_cmp_ne_u16_sdwa s[6:7], v32, v35 src0_sel:BYTE_0 src1_sel:DWORD
	s_and_saveexec_b64 s[4:5], s[6:7]
	s_cbranch_execz .LBB644_155
; %bb.150:                              ;   in Loop: Header=BB644_17 Depth=1
	v_cmp_ne_u16_sdwa s[10:11], v32, s13 src0_sel:BYTE_0 src1_sel:DWORD
	v_bfrev_b32_e32 v53, 1
	s_and_saveexec_b64 s[6:7], s[10:11]
	s_cbranch_execz .LBB644_154
; %bb.151:                              ;   in Loop: Header=BB644_17 Depth=1
	v_bfe_u32 v34, v30, 16, 7
	v_cmp_ne_u32_e32 vcc, s14, v34
	v_mov_b32_e32 v53, 0x7f800001
	s_and_saveexec_b64 s[10:11], vcc
	s_cbranch_execz .LBB644_153
; %bb.152:                              ;   in Loop: Header=BB644_17 Depth=1
	v_and_b32_e32 v53, 7, v32
	v_ffbh_u32_e32 v56, v53
	v_min_u32_e32 v58, 32, v56
	v_subrev_u32_e32 v56, 28, v58
	v_lshlrev_b64 v[56:57], v56, v[32:33]
	v_lshrrev_b32_e32 v55, 3, v34
	v_sub_u32_e32 v57, 29, v58
	v_and_b32_e32 v56, 7, v56
	v_cmp_gt_u32_e32 vcc, 8, v34
	v_cndmask_b32_e32 v34, v55, v57, vcc
	v_cndmask_b32_e32 v53, v53, v56, vcc
	v_lshlrev_b32_e32 v32, 24, v32
	v_lshlrev_b32_e32 v53, 20, v53
	v_and_b32_e32 v32, 0x80000000, v32
	v_lshl_add_u32 v34, v34, 23, v38
	v_or3_b32 v53, v32, v34, v53
.LBB644_153:                            ;   in Loop: Header=BB644_17 Depth=1
	s_or_b64 exec, exec, s[10:11]
.LBB644_154:                            ;   in Loop: Header=BB644_17 Depth=1
	s_or_b64 exec, exec, s[6:7]
.LBB644_155:                            ;   in Loop: Header=BB644_17 Depth=1
	s_or_b64 exec, exec, s[4:5]
	v_cmp_lt_u32_e32 vcc, s15, v30
	v_mov_b32_e32 v34, 0
	v_mov_b32_e32 v55, 0
	s_and_saveexec_b64 s[4:5], vcc
	s_cbranch_execz .LBB644_161
; %bb.156:                              ;   in Loop: Header=BB644_17 Depth=1
	v_lshrrev_b32_e32 v32, 24, v30
	v_cmp_ne_u32_e32 vcc, s13, v32
	v_bfrev_b32_e32 v55, 1
	s_and_saveexec_b64 s[6:7], vcc
	s_cbranch_execz .LBB644_160
; %bb.157:                              ;   in Loop: Header=BB644_17 Depth=1
	v_bfe_u32 v30, v30, 24, 7
	v_cmp_ne_u32_e32 vcc, s14, v30
	v_mov_b32_e32 v55, 0x7f800001
	s_and_saveexec_b64 s[10:11], vcc
	s_cbranch_execz .LBB644_159
; %bb.158:                              ;   in Loop: Header=BB644_17 Depth=1
	v_and_b32_e32 v55, 7, v32
	v_ffbh_u32_e32 v56, v55
	v_min_u32_e32 v59, 32, v56
	v_subrev_u32_e32 v56, 28, v59
	v_lshlrev_b64 v[56:57], v56, v[32:33]
	v_lshrrev_b32_e32 v58, 3, v30
	v_sub_u32_e32 v57, 29, v59
	v_and_b32_e32 v56, 7, v56
	v_cmp_gt_u32_e32 vcc, 8, v30
	v_cndmask_b32_e32 v30, v58, v57, vcc
	v_cndmask_b32_e32 v55, v55, v56, vcc
	v_lshlrev_b32_e32 v32, 24, v32
	v_lshlrev_b32_e32 v55, 20, v55
	v_and_b32_e32 v32, 0x80000000, v32
	v_lshl_add_u32 v30, v30, 23, v38
	v_or3_b32 v55, v32, v30, v55
.LBB644_159:                            ;   in Loop: Header=BB644_17 Depth=1
	s_or_b64 exec, exec, s[10:11]
.LBB644_160:                            ;   in Loop: Header=BB644_17 Depth=1
	s_or_b64 exec, exec, s[6:7]
.LBB644_161:                            ;   in Loop: Header=BB644_17 Depth=1
	s_or_b64 exec, exec, s[4:5]
	v_cvt_pkrtz_f16_f32 v56, v23, v42
	v_cvt_pkrtz_f16_f32 v57, v40, v52
	;; [unrolled: 1-line block ×4, first 2 shown]
	s_waitcnt vmcnt(1)
	v_cmp_ne_u16_sdwa s[6:7], v28, v35 src0_sel:BYTE_0 src1_sel:DWORD
	v_mfma_f32_16x16x16f16 v[18:21], v[56:57], v[10:11], v[18:21]
	v_mfma_f32_16x16x16f16 v[18:21], v[52:53], v[12:13], v[18:21]
	s_and_saveexec_b64 s[4:5], s[6:7]
	s_cbranch_execz .LBB644_167
; %bb.162:                              ;   in Loop: Header=BB644_17 Depth=1
	v_cmp_ne_u16_sdwa s[10:11], v28, s13 src0_sel:BYTE_0 src1_sel:DWORD
	v_bfrev_b32_e32 v34, 1
	s_and_saveexec_b64 s[6:7], s[10:11]
	s_cbranch_execz .LBB644_166
; %bb.163:                              ;   in Loop: Header=BB644_17 Depth=1
	v_and_b32_e32 v23, 0x7f, v28
	v_cmp_ne_u32_e32 vcc, s14, v23
	v_mov_b32_e32 v34, 0x7f800001
	s_and_saveexec_b64 s[10:11], vcc
	s_cbranch_execz .LBB644_165
; %bb.164:                              ;   in Loop: Header=BB644_17 Depth=1
	v_and_b32_e32 v30, 7, v28
	v_ffbh_u32_e32 v34, v30
	v_min_u32_e32 v34, 32, v34
	v_subrev_u32_e32 v40, 28, v34
	v_lshlrev_b64 v[52:53], v40, v[28:29]
	v_lshrrev_b32_e32 v32, 3, v23
	v_sub_u32_e32 v34, 29, v34
	v_and_b32_e32 v40, 7, v52
	v_cmp_gt_u32_e32 vcc, 8, v23
	v_cndmask_b32_e32 v23, v32, v34, vcc
	v_cndmask_b32_e32 v30, v30, v40, vcc
	v_lshlrev_b32_e32 v32, 24, v28
	v_lshlrev_b32_e32 v30, 20, v30
	v_and_b32_e32 v32, 0x80000000, v32
	v_lshl_add_u32 v23, v23, 23, v38
	v_or3_b32 v34, v32, v23, v30
.LBB644_165:                            ;   in Loop: Header=BB644_17 Depth=1
	s_or_b64 exec, exec, s[10:11]
.LBB644_166:                            ;   in Loop: Header=BB644_17 Depth=1
	s_or_b64 exec, exec, s[6:7]
.LBB644_167:                            ;   in Loop: Header=BB644_17 Depth=1
	s_or_b64 exec, exec, s[4:5]
	v_lshrrev_b16_e32 v30, 8, v28
	v_cmp_ne_u16_e32 vcc, 0, v30
	v_mov_b32_e32 v23, 0
	v_mov_b32_e32 v32, 0
	s_and_saveexec_b64 s[4:5], vcc
	s_cbranch_execz .LBB644_173
; %bb.168:                              ;   in Loop: Header=BB644_17 Depth=1
	v_cmp_ne_u16_e32 vcc, s13, v30
	v_bfrev_b32_e32 v32, 1
	s_and_saveexec_b64 s[6:7], vcc
	s_cbranch_execz .LBB644_172
; %bb.169:                              ;   in Loop: Header=BB644_17 Depth=1
	v_and_b32_e32 v40, 0x7f, v30
	v_cmp_ne_u32_e32 vcc, s14, v40
	v_mov_b32_e32 v32, 0x7f800001
	s_and_saveexec_b64 s[10:11], vcc
	s_cbranch_execz .LBB644_171
; %bb.170:                              ;   in Loop: Header=BB644_17 Depth=1
	v_and_b32_e32 v32, 7, v30
	v_ffbh_u32_e32 v44, v32
	v_min_u32_e32 v44, 32, v44
	v_subrev_u32_e32 v52, 28, v44
	v_lshlrev_b64 v[52:53], v52, v[30:31]
	v_lshrrev_b32_e32 v42, 3, v40
	v_sub_u32_e32 v30, 29, v44
	v_and_b32_e32 v44, 7, v52
	v_cmp_gt_u32_e32 vcc, 8, v40
	v_cndmask_b32_e32 v30, v42, v30, vcc
	v_cndmask_b32_e32 v32, v32, v44, vcc
	v_lshlrev_b32_e32 v40, 16, v28
	v_lshlrev_b32_e32 v32, 20, v32
	v_and_b32_e32 v40, 0x80000000, v40
	v_lshl_add_u32 v30, v30, 23, v38
	v_or3_b32 v32, v40, v30, v32
.LBB644_171:                            ;   in Loop: Header=BB644_17 Depth=1
	s_or_b64 exec, exec, s[10:11]
.LBB644_172:                            ;   in Loop: Header=BB644_17 Depth=1
	s_or_b64 exec, exec, s[6:7]
.LBB644_173:                            ;   in Loop: Header=BB644_17 Depth=1
	s_or_b64 exec, exec, s[4:5]
	v_lshrrev_b32_e32 v30, 16, v28
	v_cmp_ne_u16_sdwa s[6:7], v30, v35 src0_sel:BYTE_0 src1_sel:DWORD
	s_and_saveexec_b64 s[4:5], s[6:7]
	s_cbranch_execz .LBB644_179
; %bb.174:                              ;   in Loop: Header=BB644_17 Depth=1
	v_cmp_ne_u16_sdwa s[10:11], v30, s13 src0_sel:BYTE_0 src1_sel:DWORD
	v_bfrev_b32_e32 v23, 1
	s_and_saveexec_b64 s[6:7], s[10:11]
	s_cbranch_execz .LBB644_178
; %bb.175:                              ;   in Loop: Header=BB644_17 Depth=1
	v_bfe_u32 v40, v28, 16, 7
	v_cmp_ne_u32_e32 vcc, s14, v40
	v_mov_b32_e32 v23, 0x7f800001
	s_and_saveexec_b64 s[10:11], vcc
	s_cbranch_execz .LBB644_177
; %bb.176:                              ;   in Loop: Header=BB644_17 Depth=1
	v_and_b32_e32 v23, 7, v30
	v_ffbh_u32_e32 v44, v23
	v_min_u32_e32 v44, 32, v44
	v_subrev_u32_e32 v52, 28, v44
	v_lshlrev_b64 v[52:53], v52, v[30:31]
	v_lshrrev_b32_e32 v42, 3, v40
	v_sub_u32_e32 v44, 29, v44
	v_and_b32_e32 v52, 7, v52
	v_cmp_gt_u32_e32 vcc, 8, v40
	v_cndmask_b32_e32 v40, v42, v44, vcc
	v_cndmask_b32_e32 v23, v23, v52, vcc
	v_lshlrev_b32_e32 v30, 24, v30
	v_lshlrev_b32_e32 v23, 20, v23
	v_and_b32_e32 v30, 0x80000000, v30
	v_lshl_add_u32 v40, v40, 23, v38
	v_or3_b32 v23, v30, v40, v23
.LBB644_177:                            ;   in Loop: Header=BB644_17 Depth=1
	s_or_b64 exec, exec, s[10:11]
.LBB644_178:                            ;   in Loop: Header=BB644_17 Depth=1
	s_or_b64 exec, exec, s[6:7]
.LBB644_179:                            ;   in Loop: Header=BB644_17 Depth=1
	s_or_b64 exec, exec, s[4:5]
	v_cmp_lt_u32_e32 vcc, s15, v28
	v_mov_b32_e32 v40, 0
	v_mov_b32_e32 v42, 0
	s_and_saveexec_b64 s[4:5], vcc
	s_cbranch_execz .LBB644_185
; %bb.180:                              ;   in Loop: Header=BB644_17 Depth=1
	v_lshrrev_b32_e32 v30, 24, v28
	v_cmp_ne_u32_e32 vcc, s13, v30
	v_bfrev_b32_e32 v42, 1
	s_and_saveexec_b64 s[6:7], vcc
	s_cbranch_execz .LBB644_184
; %bb.181:                              ;   in Loop: Header=BB644_17 Depth=1
	v_bfe_u32 v28, v28, 24, 7
	v_cmp_ne_u32_e32 vcc, s14, v28
	v_mov_b32_e32 v42, 0x7f800001
	s_and_saveexec_b64 s[10:11], vcc
	s_cbranch_execz .LBB644_183
; %bb.182:                              ;   in Loop: Header=BB644_17 Depth=1
	v_and_b32_e32 v42, 7, v30
	v_ffbh_u32_e32 v52, v42
	v_min_u32_e32 v54, 32, v52
	v_subrev_u32_e32 v52, 28, v54
	v_lshlrev_b64 v[52:53], v52, v[30:31]
	v_lshrrev_b32_e32 v44, 3, v28
	v_sub_u32_e32 v53, 29, v54
	v_and_b32_e32 v52, 7, v52
	v_cmp_gt_u32_e32 vcc, 8, v28
	v_cndmask_b32_e32 v28, v44, v53, vcc
	v_cndmask_b32_e32 v42, v42, v52, vcc
	v_lshlrev_b32_e32 v30, 24, v30
	v_lshlrev_b32_e32 v42, 20, v42
	v_and_b32_e32 v30, 0x80000000, v30
	v_lshl_add_u32 v28, v28, 23, v38
	v_or3_b32 v42, v30, v28, v42
.LBB644_183:                            ;   in Loop: Header=BB644_17 Depth=1
	s_or_b64 exec, exec, s[10:11]
.LBB644_184:                            ;   in Loop: Header=BB644_17 Depth=1
	s_or_b64 exec, exec, s[6:7]
.LBB644_185:                            ;   in Loop: Header=BB644_17 Depth=1
	s_or_b64 exec, exec, s[4:5]
	s_waitcnt vmcnt(0)
	v_cmp_ne_u16_sdwa s[6:7], v26, v35 src0_sel:BYTE_0 src1_sel:DWORD
	s_and_saveexec_b64 s[4:5], s[6:7]
	s_cbranch_execz .LBB644_191
; %bb.186:                              ;   in Loop: Header=BB644_17 Depth=1
	v_cmp_ne_u16_sdwa s[10:11], v26, s13 src0_sel:BYTE_0 src1_sel:DWORD
	v_bfrev_b32_e32 v40, 1
	s_and_saveexec_b64 s[6:7], s[10:11]
	s_cbranch_execz .LBB644_190
; %bb.187:                              ;   in Loop: Header=BB644_17 Depth=1
	v_and_b32_e32 v28, 0x7f, v26
	v_cmp_ne_u32_e32 vcc, s14, v28
	v_mov_b32_e32 v40, 0x7f800001
	s_and_saveexec_b64 s[10:11], vcc
	s_cbranch_execz .LBB644_189
; %bb.188:                              ;   in Loop: Header=BB644_17 Depth=1
	v_and_b32_e32 v30, 7, v26
	v_ffbh_u32_e32 v44, v30
	v_min_u32_e32 v44, 32, v44
	v_subrev_u32_e32 v52, 28, v44
	v_lshlrev_b64 v[52:53], v52, v[26:27]
	v_lshrrev_b32_e32 v40, 3, v28
	v_sub_u32_e32 v44, 29, v44
	v_and_b32_e32 v52, 7, v52
	v_cmp_gt_u32_e32 vcc, 8, v28
	v_cndmask_b32_e32 v28, v40, v44, vcc
	v_cndmask_b32_e32 v30, v30, v52, vcc
	v_lshlrev_b32_e32 v40, 24, v26
	v_lshlrev_b32_e32 v30, 20, v30
	v_and_b32_e32 v40, 0x80000000, v40
	v_lshl_add_u32 v28, v28, 23, v38
	v_or3_b32 v40, v40, v28, v30
.LBB644_189:                            ;   in Loop: Header=BB644_17 Depth=1
	s_or_b64 exec, exec, s[10:11]
.LBB644_190:                            ;   in Loop: Header=BB644_17 Depth=1
	s_or_b64 exec, exec, s[6:7]
.LBB644_191:                            ;   in Loop: Header=BB644_17 Depth=1
	s_or_b64 exec, exec, s[4:5]
	v_lshrrev_b16_e32 v28, 8, v26
	v_cmp_ne_u16_e32 vcc, 0, v28
	v_mov_b32_e32 v30, 0
	v_mov_b32_e32 v44, 0
	s_and_saveexec_b64 s[4:5], vcc
	s_cbranch_execz .LBB644_197
; %bb.192:                              ;   in Loop: Header=BB644_17 Depth=1
	v_cmp_ne_u16_e32 vcc, s13, v28
	v_bfrev_b32_e32 v44, 1
	s_and_saveexec_b64 s[6:7], vcc
	s_cbranch_execz .LBB644_196
; %bb.193:                              ;   in Loop: Header=BB644_17 Depth=1
	v_and_b32_e32 v52, 0x7f, v28
	v_cmp_ne_u32_e32 vcc, s14, v52
	v_mov_b32_e32 v44, 0x7f800001
	s_and_saveexec_b64 s[10:11], vcc
	s_cbranch_execz .LBB644_195
; %bb.194:                              ;   in Loop: Header=BB644_17 Depth=1
	v_and_b32_e32 v44, 7, v28
	v_ffbh_u32_e32 v54, v44
	v_min_u32_e32 v56, 32, v54
	v_subrev_u32_e32 v54, 28, v56
	v_lshlrev_b64 v[54:55], v54, v[28:29]
	v_lshrrev_b32_e32 v53, 3, v52
	v_sub_u32_e32 v28, 29, v56
	v_and_b32_e32 v54, 7, v54
	v_cmp_gt_u32_e32 vcc, 8, v52
	v_cndmask_b32_e32 v28, v53, v28, vcc
	v_cndmask_b32_e32 v44, v44, v54, vcc
	v_lshlrev_b32_e32 v52, 16, v26
	v_lshlrev_b32_e32 v44, 20, v44
	v_and_b32_e32 v52, 0x80000000, v52
	v_lshl_add_u32 v28, v28, 23, v38
	v_or3_b32 v44, v52, v28, v44
.LBB644_195:                            ;   in Loop: Header=BB644_17 Depth=1
	s_or_b64 exec, exec, s[10:11]
.LBB644_196:                            ;   in Loop: Header=BB644_17 Depth=1
	s_or_b64 exec, exec, s[6:7]
.LBB644_197:                            ;   in Loop: Header=BB644_17 Depth=1
	s_or_b64 exec, exec, s[4:5]
	v_lshrrev_b32_e32 v28, 16, v26
	v_cmp_ne_u16_sdwa s[6:7], v28, v35 src0_sel:BYTE_0 src1_sel:DWORD
	s_and_saveexec_b64 s[4:5], s[6:7]
	s_cbranch_execz .LBB644_203
; %bb.198:                              ;   in Loop: Header=BB644_17 Depth=1
	v_cmp_ne_u16_sdwa s[10:11], v28, s13 src0_sel:BYTE_0 src1_sel:DWORD
	v_bfrev_b32_e32 v30, 1
	s_and_saveexec_b64 s[6:7], s[10:11]
	s_cbranch_execz .LBB644_202
; %bb.199:                              ;   in Loop: Header=BB644_17 Depth=1
	v_bfe_u32 v52, v26, 16, 7
	v_cmp_ne_u32_e32 vcc, s14, v52
	v_mov_b32_e32 v30, 0x7f800001
	s_and_saveexec_b64 s[10:11], vcc
	s_cbranch_execz .LBB644_201
; %bb.200:                              ;   in Loop: Header=BB644_17 Depth=1
	v_and_b32_e32 v30, 7, v28
	v_ffbh_u32_e32 v54, v30
	v_min_u32_e32 v56, 32, v54
	v_subrev_u32_e32 v54, 28, v56
	v_lshlrev_b64 v[54:55], v54, v[28:29]
	v_lshrrev_b32_e32 v53, 3, v52
	v_sub_u32_e32 v55, 29, v56
	v_and_b32_e32 v54, 7, v54
	v_cmp_gt_u32_e32 vcc, 8, v52
	v_cndmask_b32_e32 v52, v53, v55, vcc
	v_cndmask_b32_e32 v30, v30, v54, vcc
	v_lshlrev_b32_e32 v28, 24, v28
	v_lshlrev_b32_e32 v30, 20, v30
	v_and_b32_e32 v28, 0x80000000, v28
	v_lshl_add_u32 v52, v52, 23, v38
	v_or3_b32 v30, v28, v52, v30
.LBB644_201:                            ;   in Loop: Header=BB644_17 Depth=1
	s_or_b64 exec, exec, s[10:11]
.LBB644_202:                            ;   in Loop: Header=BB644_17 Depth=1
	s_or_b64 exec, exec, s[6:7]
.LBB644_203:                            ;   in Loop: Header=BB644_17 Depth=1
	s_or_b64 exec, exec, s[4:5]
	v_cmp_lt_u32_e32 vcc, s15, v26
	v_mov_b32_e32 v52, 0
	s_and_saveexec_b64 s[4:5], vcc
	s_cbranch_execz .LBB644_16
; %bb.204:                              ;   in Loop: Header=BB644_17 Depth=1
	v_lshrrev_b32_e32 v28, 24, v26
	v_cmp_ne_u32_e32 vcc, s13, v28
	v_bfrev_b32_e32 v52, 1
	s_and_saveexec_b64 s[6:7], vcc
	s_cbranch_execz .LBB644_15
; %bb.205:                              ;   in Loop: Header=BB644_17 Depth=1
	v_bfe_u32 v26, v26, 24, 7
	v_cmp_ne_u32_e32 vcc, s14, v26
	v_mov_b32_e32 v52, 0x7f800001
	s_and_saveexec_b64 s[10:11], vcc
	s_cbranch_execz .LBB644_14
; %bb.206:                              ;   in Loop: Header=BB644_17 Depth=1
	v_and_b32_e32 v54, 7, v28
	v_ffbh_u32_e32 v52, v54
	v_min_u32_e32 v56, 32, v52
	v_subrev_u32_e32 v52, 28, v56
	v_lshlrev_b64 v[52:53], v52, v[28:29]
	v_lshrrev_b32_e32 v55, 3, v26
	v_sub_u32_e32 v53, 29, v56
	v_and_b32_e32 v52, 7, v52
	v_cmp_gt_u32_e32 vcc, 8, v26
	v_cndmask_b32_e32 v26, v55, v53, vcc
	v_cndmask_b32_e32 v52, v54, v52, vcc
	v_lshlrev_b32_e32 v28, 24, v28
	v_lshlrev_b32_e32 v52, 20, v52
	v_and_b32_e32 v28, 0x80000000, v28
	v_lshl_add_u32 v26, v26, 23, v38
	v_or3_b32 v52, v28, v26, v52
	s_branch .LBB644_14
.LBB644_207:
	buffer_load_dword v17, off, s[0:3], 0 offset:256
	buffer_load_dword v16, off, s[0:3], 0 offset:260
	;; [unrolled: 1-line block ×16, first 2 shown]
	v_and_b32_e32 v18, 0xc0, v0
	v_add_u32_e32 v18, s20, v18
	v_lshl_or_b32 v18, v1, 2, v18
	v_or_b32_e32 v20, 1, v18
	v_subrev_u32_e32 v24, s33, v20
	v_add_u32_e32 v26, 1, v24
	v_cvt_f32_i32_e32 v25, v24
	v_add_u32_e32 v28, 2, v24
	v_add_u32_e32 v30, 3, v24
	;; [unrolled: 1-line block ×14, first 2 shown]
	v_cvt_f32_i32_e32 v26, v26
	v_cvt_f32_i32_e32 v28, v28
	;; [unrolled: 1-line block ×4, first 2 shown]
	v_mov_b32_e32 v19, 0xff7fffff
	v_or_b32_e32 v21, 2, v18
	v_or_b32_e32 v22, 3, v18
	v_cvt_f32_i32_e32 v32, v32
	v_cvt_f32_i32_e32 v34, v34
	v_cmp_gt_i32_e64 s[28:29], s33, v18
	v_cmp_gt_i32_e64 s[30:31], s33, v20
	s_mov_b32 s52, 0xff7fffff
	v_cmp_gt_i32_e64 s[34:35], s33, v21
	v_cmp_gt_i32_e64 s[36:37], s33, v22
	v_or_b32_e32 v23, 16, v18
	v_cvt_f32_i32_e32 v35, v35
	v_cvt_f32_i32_e32 v36, v36
	v_cmp_gt_i32_e64 s[24:25], s33, v23
	v_cvt_f32_i32_e32 v37, v37
	v_cvt_f32_i32_e32 v38, v38
	;; [unrolled: 1-line block ×7, first 2 shown]
	s_waitcnt vmcnt(15)
	v_fmac_f32_e32 v17, v31, v25
	s_waitcnt vmcnt(14)
	v_fmac_f32_e32 v16, v31, v26
	;; [unrolled: 2-line block ×4, first 2 shown]
	v_cndmask_b32_e64 v20, v19, v16, s[30:31]
	v_cndmask_b32_e64 v21, v19, v15, s[34:35]
	;; [unrolled: 1-line block ×3, first 2 shown]
	s_waitcnt vmcnt(11)
	v_fmac_f32_e32 v13, v31, v32
	s_waitcnt vmcnt(10)
	v_fmac_f32_e32 v12, v31, v34
	;; [unrolled: 2-line block ×9, first 2 shown]
	v_cndmask_b32_e64 v24, v19, v17, s[28:29]
	v_max3_f32 v20, v24, s52, v20
	v_max3_f32 v20, v20, v21, v22
	v_or_b32_e32 v22, 17, v18
	v_cmp_gt_i32_e64 s[38:39], s33, v22
	v_cndmask_b32_e64 v21, v19, v13, s[24:25]
	v_cndmask_b32_e64 v22, v19, v12, s[38:39]
	v_max3_f32 v20, v20, v21, v22
	v_or_b32_e32 v21, 18, v18
	v_or_b32_e32 v22, 19, v18
	v_cmp_gt_i32_e64 s[20:21], s33, v21
	v_cmp_gt_i32_e64 s[22:23], s33, v22
	v_cndmask_b32_e64 v21, v19, v11, s[20:21]
	v_cndmask_b32_e64 v22, v19, v10, s[22:23]
	v_max3_f32 v20, v20, v21, v22
	v_or_b32_e32 v21, 32, v18
	v_or_b32_e32 v22, 33, v18
	v_cmp_gt_i32_e64 s[16:17], s33, v21
	;; [unrolled: 7-line block ×3, first 2 shown]
	v_cmp_gt_i32_e64 s[14:15], s33, v22
	v_cndmask_b32_e64 v21, v19, v7, s[12:13]
	v_cndmask_b32_e64 v22, v19, v6, s[14:15]
	v_max3_f32 v20, v20, v21, v22
	v_or_b32_e32 v21, 48, v18
	v_or_b32_e32 v22, 49, v18
	v_fmac_f32_e32 v5, v31, v44
	v_fmac_f32_e32 v4, v31, v52
	v_cmp_gt_i32_e64 s[6:7], s33, v21
	v_cmp_gt_i32_e64 s[10:11], s33, v22
	v_cndmask_b32_e64 v21, v19, v5, s[6:7]
	v_cndmask_b32_e64 v22, v19, v4, s[10:11]
	v_max3_f32 v20, v20, v21, v22
	v_or_b32_e32 v21, 50, v18
	v_or_b32_e32 v18, 51, v18
	v_fmac_f32_e32 v3, v31, v53
	v_cmp_gt_i32_e32 vcc, s33, v21
	v_cmp_gt_i32_e64 s[4:5], s33, v18
	v_cndmask_b32_e32 v21, v19, v3, vcc
	v_cndmask_b32_e64 v18, v19, v2, s[4:5]
	v_mbcnt_lo_u32_b32 v19, -1, 0
	v_mbcnt_hi_u32_b32 v19, -1, v19
	v_max3_f32 v18, v20, v21, v18
	v_and_b32_e32 v20, 64, v19
	v_add_u32_e32 v20, 64, v20
	v_xor_b32_e32 v21, 32, v19
	v_cmp_lt_i32_e64 s[40:41], v21, v20
	v_cndmask_b32_e64 v21, v19, v21, s[40:41]
	v_lshlrev_b32_e32 v21, 2, v21
	ds_bpermute_b32 v22, v21, v18
	s_waitcnt lgkmcnt(0)
	v_max_f32_e32 v22, v22, v22
	v_max_f32_e32 v18, v18, v22
	v_xor_b32_e32 v22, 16, v19
	v_cmp_lt_i32_e64 s[40:41], v22, v20
	v_cndmask_b32_e64 v19, v19, v22, s[40:41]
	v_lshlrev_b32_e32 v19, 2, v19
	ds_bpermute_b32 v20, v19, v18
	s_waitcnt lgkmcnt(0)
	v_max_f32_e32 v20, v20, v20
	v_max_f32_e32 v18, v18, v20
	v_sub_f32_e32 v17, v17, v18
	v_mul_f32_e32 v17, 0x3fb8aa3b, v17
	v_sub_f32_e32 v16, v16, v18
	v_exp_f32_e32 v17, v17
	v_mul_f32_e32 v16, 0x3fb8aa3b, v16
	v_sub_f32_e32 v15, v15, v18
	v_exp_f32_e32 v16, v16
	;; [unrolled: 3-line block ×4, first 2 shown]
	v_mul_f32_e32 v13, 0x3fb8aa3b, v13
	v_sub_f32_e32 v12, v12, v18
	v_cndmask_b32_e64 v17, 0, v17, s[28:29]
	v_exp_f32_e32 v13, v13
	v_mul_f32_e32 v12, 0x3fb8aa3b, v12
	v_sub_f32_e32 v11, v11, v18
	v_add_f32_e32 v20, 0, v17
	v_cndmask_b32_e64 v16, 0, v16, s[30:31]
	v_exp_f32_e32 v12, v12
	v_mul_f32_e32 v11, 0x3fb8aa3b, v11
	v_sub_f32_e32 v10, v10, v18
	v_add_f32_e32 v20, v20, v16
	;; [unrolled: 5-line block ×4, first 2 shown]
	v_cndmask_b32_e64 v13, 0, v13, s[24:25]
	v_exp_f32_e32 v9, v9
	v_mul_f32_e32 v8, 0x3fb8aa3b, v8
	v_sub_f32_e32 v7, v7, v18
	buffer_store_dword v17, off, s[0:3], 0 offset:256
	buffer_store_dword v16, off, s[0:3], 0 offset:260
	;; [unrolled: 1-line block ×4, first 2 shown]
	v_add_f32_e32 v14, v20, v13
	v_cndmask_b32_e64 v12, 0, v12, s[38:39]
	v_exp_f32_e32 v8, v8
	v_mul_f32_e32 v7, 0x3fb8aa3b, v7
	v_sub_f32_e32 v6, v6, v18
	v_add_f32_e32 v14, v14, v12
	v_cndmask_b32_e64 v11, 0, v11, s[20:21]
	v_exp_f32_e32 v7, v7
	v_mul_f32_e32 v6, 0x3fb8aa3b, v6
	v_sub_f32_e32 v5, v5, v18
	v_add_f32_e32 v14, v14, v11
	v_cndmask_b32_e64 v10, 0, v10, s[22:23]
	v_exp_f32_e32 v6, v6
	v_mul_f32_e32 v5, 0x3fb8aa3b, v5
	v_sub_f32_e32 v4, v4, v18
	v_add_f32_e32 v14, v14, v10
	v_cndmask_b32_e64 v9, 0, v9, s[16:17]
	v_exp_f32_e32 v5, v5
	v_mul_f32_e32 v4, 0x3fb8aa3b, v4
	v_sub_f32_e32 v3, v3, v18
	buffer_store_dword v13, off, s[0:3], 0 offset:272
	buffer_store_dword v12, off, s[0:3], 0 offset:276
	;; [unrolled: 1-line block ×4, first 2 shown]
	v_add_f32_e32 v10, v14, v9
	v_cndmask_b32_e64 v8, 0, v8, s[18:19]
	v_exp_f32_e32 v4, v4
	v_mul_f32_e32 v3, 0x3fb8aa3b, v3
	v_sub_f32_e32 v2, v2, v18
	v_add_f32_e32 v10, v10, v8
	v_cndmask_b32_e64 v7, 0, v7, s[12:13]
	v_exp_f32_e32 v3, v3
	v_mul_f32_e32 v2, 0x3fb8aa3b, v2
	v_add_f32_e32 v10, v10, v7
	v_cndmask_b32_e64 v6, 0, v6, s[14:15]
	v_exp_f32_e32 v2, v2
	v_add_f32_e32 v10, v10, v6
	v_cndmask_b32_e64 v5, 0, v5, s[6:7]
	buffer_store_dword v9, off, s[0:3], 0 offset:288
	buffer_store_dword v8, off, s[0:3], 0 offset:292
	;; [unrolled: 1-line block ×4, first 2 shown]
	v_add_f32_e32 v6, v10, v5
	v_cndmask_b32_e64 v4, 0, v4, s[10:11]
	v_add_f32_e32 v6, v6, v4
	v_cndmask_b32_e32 v3, 0, v3, vcc
	v_add_f32_e32 v6, v6, v3
	v_cndmask_b32_e64 v2, 0, v2, s[4:5]
	v_add_f32_e32 v6, v6, v2
	ds_bpermute_b32 v7, v21, v6
	buffer_store_dword v5, off, s[0:3], 0 offset:304
	buffer_store_dword v4, off, s[0:3], 0 offset:308
	;; [unrolled: 1-line block ×4, first 2 shown]
	v_cmp_gt_u32_e32 vcc, 16, v33
	s_waitcnt lgkmcnt(0)
	s_barrier
	v_add_f32_e32 v2, v6, v7
	ds_bpermute_b32 v3, v19, v2
	s_waitcnt lgkmcnt(0)
	s_and_saveexec_b64 s[4:5], vcc
	s_cbranch_execz .LBB644_209
; %bb.208:
	v_add_f32_e32 v2, v2, v3
	v_lshlrev_b32_e32 v3, 2, v29
	ds_write2st64_b32 v3, v18, v2 offset1:1
.LBB644_209:
	s_or_b64 exec, exec, s[4:5]
	v_lshlrev_b32_e32 v2, 2, v41
	s_waitcnt lgkmcnt(0)
	s_barrier
	ds_read2_b32 v[12:13], v2 offset1:16
	ds_read2_b32 v[14:15], v2 offset0:32 offset1:48
	ds_read2_b32 v[6:7], v2 offset0:64 offset1:80
	;; [unrolled: 1-line block ×3, first 2 shown]
	s_waitcnt lgkmcnt(0)
	s_barrier
	buffer_load_dword v20, off, s[0:3], 0 offset:256
	buffer_load_dword v21, off, s[0:3], 0 offset:260
	;; [unrolled: 1-line block ×16, first 2 shown]
	v_lshlrev_b32_e32 v19, 3, v1
	v_lshlrev_b32_e32 v18, 5, v41
	;; [unrolled: 1-line block ×3, first 2 shown]
	v_or3_b32 v52, v26, v18, v19
	v_max3_f32 v19, v12, s52, v13
	v_max3_f32 v19, v19, v14, v15
	v_sub_f32_e32 v12, v12, v19
	v_sub_f32_e32 v13, v13, v19
	v_mul_f32_e32 v12, 0x3fb8aa3b, v12
	v_sub_f32_e32 v14, v14, v19
	v_mul_f32_e32 v13, 0x3fb8aa3b, v13
	v_exp_f32_e32 v12, v12
	v_sub_f32_e32 v15, v15, v19
	v_mul_f32_e32 v14, 0x3fb8aa3b, v14
	v_exp_f32_e32 v13, v13
	v_mul_f32_e32 v15, 0x3fb8aa3b, v15
	v_exp_f32_e32 v14, v14
	v_exp_f32_e32 v15, v15
	v_fma_f32 v6, v12, v6, 0
	v_fmac_f32_e32 v6, v13, v7
	v_fmac_f32_e32 v6, v14, v10
	;; [unrolled: 1-line block ×3, first 2 shown]
	v_cmp_eq_u32_e32 vcc, 1, v27
	v_add_f32_e32 v10, 0x358637bd, v6
	v_cndmask_b32_e32 v12, v12, v13, vcc
	v_cmp_eq_u32_e32 vcc, 2, v27
	v_div_scale_f32 v11, s[4:5], v10, v10, 1.0
	v_cndmask_b32_e32 v7, v12, v14, vcc
	v_rcp_f32_e32 v12, v11
	v_cmp_eq_u32_e32 vcc, 3, v27
	v_cndmask_b32_e32 v7, v7, v15, vcc
	v_div_scale_f32 v13, vcc, 1.0, v10, 1.0
	v_fma_f32 v14, -v11, v12, 1.0
	v_fmac_f32_e32 v12, v14, v12
	v_mul_f32_e32 v14, v13, v12
	v_fma_f32 v15, -v11, v14, v13
	v_fmac_f32_e32 v14, v15, v12
	v_fma_f32 v11, -v11, v14, v13
	v_div_fmas_f32 v11, v11, v12, v14
	v_div_fixup_f32 v10, v11, v10, 1.0
	v_mul_f32_e32 v10, v7, v10
	s_mul_i32 s18, s49, 7
	v_cmp_gt_u32_e32 vcc, 7, v0
	s_waitcnt vmcnt(14)
	v_pk_mul_f32 v[14:15], v[10:11], v[20:21] op_sel_hi:[0,1]
	v_cvt_f16_f32_e32 v7, v14
	s_waitcnt vmcnt(12)
	v_pk_mul_f32 v[12:13], v[10:11], v[22:23] op_sel_hi:[0,1]
	buffer_store_dword v14, off, s[0:3], 0 offset:256
	buffer_store_dword v15, off, s[0:3], 0 offset:260
	;; [unrolled: 1-line block ×3, first 2 shown]
	s_waitcnt vmcnt(13)
	v_pk_mul_f32 v[20:21], v[10:11], v[24:25] op_sel_hi:[0,1]
	v_cvt_f16_f32_e32 v14, v12
	s_waitcnt vmcnt(11)
	v_pk_mul_f32 v[22:23], v[10:11], v[28:29] op_sel_hi:[0,1]
	v_cvt_f16_f32_e32 v11, v15
	v_cvt_f16_f32_e32 v15, v13
	buffer_store_dword v13, off, s[0:3], 0 offset:268
	buffer_store_dword v22, off, s[0:3], 0 offset:272
	;; [unrolled: 1-line block ×3, first 2 shown]
	v_pack_b32_f16 v12, v7, v11
	v_cvt_f16_f32_e32 v11, v23
	v_pack_b32_f16 v13, v14, v15
	v_cvt_f16_f32_e32 v7, v22
	v_cvt_f16_f32_e32 v15, v20
	v_cvt_f16_f32_e32 v22, v21
	s_waitcnt vmcnt(12)
	v_pk_mul_f32 v[4:5], v[10:11], v[4:5] op_sel_hi:[0,1]
	v_pack_b32_f16 v14, v7, v11
	s_waitcnt vmcnt(10)
	v_pk_mul_f32 v[2:3], v[10:11], v[2:3] op_sel_hi:[0,1]
	v_pack_b32_f16 v15, v15, v22
	v_cvt_f16_f32_e32 v11, v5
	buffer_store_dword v20, off, s[0:3], 0 offset:280
	buffer_store_dword v21, off, s[0:3], 0 offset:284
	ds_write2st64_b64 v52, v[12:13], v[14:15] offset1:1
	buffer_store_dword v2, off, s[0:3], 0 offset:288
	buffer_store_dword v3, off, s[0:3], 0 offset:292
	v_cvt_f16_f32_e32 v2, v2
	v_cvt_f16_f32_e32 v3, v3
	;; [unrolled: 1-line block ×3, first 2 shown]
	buffer_store_dword v4, off, s[0:3], 0 offset:296
	buffer_store_dword v5, off, s[0:3], 0 offset:300
	s_waitcnt vmcnt(12)
	v_pk_mul_f32 v[4:5], v[10:11], v[16:17] op_sel_hi:[0,1]
	v_pk_mul_f32 v[8:9], v[10:11], v[8:9] op_sel_hi:[0,1]
	v_pack_b32_f16 v2, v2, v3
	v_pack_b32_f16 v3, v7, v11
	buffer_store_dword v8, off, s[0:3], 0 offset:304
	buffer_store_dword v9, off, s[0:3], 0 offset:308
	v_cvt_f16_f32_e32 v7, v8
	v_cvt_f16_f32_e32 v8, v9
	;; [unrolled: 1-line block ×4, first 2 shown]
	buffer_store_dword v4, off, s[0:3], 0 offset:312
	buffer_store_dword v5, off, s[0:3], 0 offset:316
	v_pack_b32_f16 v4, v7, v8
	v_pack_b32_f16 v5, v9, v10
	ds_write2st64_b64 v52, v[2:3], v[4:5] offset0:2 offset1:3
	s_and_saveexec_b64 s[4:5], vcc
	s_cbranch_execz .LBB644_211
; %bb.210:
	v_add_co_u32_e32 v4, vcc, s27, v41
	v_addc_co_u32_e64 v5, s[6:7], 0, 0, vcc
	v_mov_b32_e32 v2, s18
	v_mad_u64_u32 v[4:5], s[6:7], s8, v2, v[4:5]
	v_mov_b32_e32 v3, 0
	s_mul_i32 s6, s9, s18
	v_mov_b32_e32 v2, s26
	v_add_u32_e32 v5, s6, v5
	v_mad_u64_u32 v[2:3], s[6:7], v4, s48, v[2:3]
	v_mov_b32_e32 v4, v3
	v_mad_u64_u32 v[4:5], s[6:7], v5, s48, v[4:5]
	v_mov_b32_e32 v3, v4
	v_lshlrev_b64 v[2:3], 2, v[2:3]
	v_mov_b32_e32 v5, s47
	v_add_co_u32_e32 v4, vcc, s46, v2
	v_addc_co_u32_e32 v5, vcc, v5, v3, vcc
	global_store_dword v[4:5], v19, off
	v_mov_b32_e32 v4, s45
	v_add_co_u32_e32 v2, vcc, s44, v2
	v_addc_co_u32_e32 v3, vcc, v4, v3, vcc
	global_store_dword v[2:3], v6, off
.LBB644_211:
	s_or_b64 exec, exec, s[4:5]
	v_lshl_or_b32 v30, v1, 9, v18
	s_waitcnt lgkmcnt(0)
	s_barrier
	s_load_dword s4, s[42:43], 0x0
	ds_read_b128 v[2:5], v30
	ds_read_b128 v[6:9], v30 offset:16
	ds_read_b128 v[10:13], v30 offset:2048
	;; [unrolled: 1-line block ×7, first 2 shown]
	v_mov_b32_e32 v35, 0x80
	v_mov_b32_e32 v53, 0x140
	s_mov_b64 s[10:11], -1
	s_waitcnt lgkmcnt(0)
	s_mov_b32 s5, s4
	s_mov_b32 s6, s4
	;; [unrolled: 1-line block ×3, first 2 shown]
	s_movk_i32 s9, 0x80
	s_movk_i32 s19, 0x7f
	s_mov_b32 s20, 0xffffff
	v_mov_b32_e32 v54, 0
	v_bfrev_b32_e32 v55, 60
	s_branch .LBB644_215
.LBB644_212:                            ;   in Loop: Header=BB644_215 Depth=1
	s_or_b64 exec, exec, s[16:17]
.LBB644_213:                            ;   in Loop: Header=BB644_215 Depth=1
	s_or_b64 exec, exec, s[14:15]
.LBB644_214:                            ;   in Loop: Header=BB644_215 Depth=1
	s_or_b64 exec, exec, s[12:13]
	v_cvt_pkrtz_f16_f32 v60, v46, v50
	v_cvt_pkrtz_f16_f32 v61, v44, v56
	s_xor_b64 s[12:13], s[10:11], -1
	s_mov_b64 s[10:11], 0
	v_mov_b32_e32 v46, v47
	v_mfma_f32_16x16x16f16 v[60:63], v[60:61], v[30:31], v[34:37]
	v_mov_b32_e32 v50, v49
	s_and_b64 vcc, exec, s[12:13]
	s_nop 4
	v_cvt_pkrtz_f16_f32 v36, v51, v57
	v_cvt_pkrtz_f16_f32 v37, v42, v58
	v_mov_b32_e32 v35, v45
	v_mov_b32_e32 v51, v48
	v_mfma_f32_16x16x16f16 v[56:59], v[36:37], v[32:33], v[60:63]
	s_nop 7
	s_nop 2
	v_pk_mul_f32 v[56:57], v[56:57], s[4:5]
	v_pk_mul_f32 v[36:37], v[58:59], s[6:7]
	v_cvt_f16_f32_e32 v34, v56
	v_cvt_f16_f32_e32 v38, v57
	v_cvt_f16_f32_e32 v36, v36
	v_cvt_f16_f32_e32 v37, v37
	v_pack_b32_f16 v34, v34, v38
	v_pack_b32_f16 v36, v36, v37
	buffer_store_dword v34, v53, s[0:3], 0 offen
	buffer_store_dword v36, v53, s[0:3], 0 offen offset:4
	v_mov_b32_e32 v53, 0x148
	s_cbranch_vccnz .LBB644_597
.LBB644_215:                            ; =>This Inner Loop Header: Depth=1
	buffer_load_dword v36, v35, s[0:3], 0 offen
	buffer_load_dword v34, v35, s[0:3], 0 offen offset:4
	buffer_load_dword v40, v35, s[0:3], 0 offen offset:8
	;; [unrolled: 1-line block ×3, first 2 shown]
	v_mov_b32_e32 v35, 0
	s_waitcnt vmcnt(3)
	v_cmp_ne_u16_sdwa s[14:15], v36, v54 src0_sel:BYTE_0 src1_sel:DWORD
	s_and_saveexec_b64 s[12:13], s[14:15]
	s_cbranch_execz .LBB644_221
; %bb.216:                              ;   in Loop: Header=BB644_215 Depth=1
	v_cmp_ne_u16_sdwa s[16:17], v36, s9 src0_sel:BYTE_0 src1_sel:DWORD
	v_bfrev_b32_e32 v35, 1
	s_and_saveexec_b64 s[14:15], s[16:17]
	s_cbranch_execz .LBB644_220
; %bb.217:                              ;   in Loop: Header=BB644_215 Depth=1
	v_and_b32_e32 v37, 0x7f, v36
	v_cmp_ne_u32_e32 vcc, s19, v37
	v_mov_b32_e32 v35, 0x7f800001
	s_and_saveexec_b64 s[16:17], vcc
	s_cbranch_execz .LBB644_219
; %bb.218:                              ;   in Loop: Header=BB644_215 Depth=1
	v_and_b32_e32 v35, 7, v36
	v_ffbh_u32_e32 v44, v35
	v_min_u32_e32 v44, 32, v44
	v_subrev_u32_e32 v56, 28, v44
	v_lshlrev_b64 v[56:57], v56, v[36:37]
	v_lshrrev_b32_e32 v42, 3, v37
	v_sub_u32_e32 v44, 29, v44
	v_and_b32_e32 v56, 7, v56
	v_cmp_gt_u32_e32 vcc, 8, v37
	v_cndmask_b32_e32 v37, v42, v44, vcc
	v_cndmask_b32_e32 v35, v35, v56, vcc
	v_lshlrev_b32_e32 v42, 24, v36
	v_lshlrev_b32_e32 v35, 20, v35
	v_and_b32_e32 v42, 0x80000000, v42
	v_lshl_add_u32 v37, v37, 23, v55
	v_or3_b32 v35, v42, v37, v35
.LBB644_219:                            ;   in Loop: Header=BB644_215 Depth=1
	s_or_b64 exec, exec, s[16:17]
.LBB644_220:                            ;   in Loop: Header=BB644_215 Depth=1
	s_or_b64 exec, exec, s[14:15]
.LBB644_221:                            ;   in Loop: Header=BB644_215 Depth=1
	s_or_b64 exec, exec, s[12:13]
	v_lshrrev_b16_e32 v42, 8, v36
	v_cmp_ne_u16_e32 vcc, 0, v42
	v_mov_b32_e32 v37, 0
	s_and_saveexec_b64 s[12:13], vcc
	s_cbranch_execz .LBB644_227
; %bb.222:                              ;   in Loop: Header=BB644_215 Depth=1
	v_cmp_ne_u16_e32 vcc, s9, v42
	v_bfrev_b32_e32 v37, 1
	s_and_saveexec_b64 s[14:15], vcc
	s_cbranch_execz .LBB644_226
; %bb.223:                              ;   in Loop: Header=BB644_215 Depth=1
	v_and_b32_e32 v44, 0x7f, v42
	v_cmp_ne_u32_e32 vcc, s19, v44
	v_mov_b32_e32 v37, 0x7f800001
	s_and_saveexec_b64 s[16:17], vcc
	s_cbranch_execz .LBB644_225
; %bb.224:                              ;   in Loop: Header=BB644_215 Depth=1
	v_and_b32_e32 v37, 7, v42
	v_ffbh_u32_e32 v56, v37
	v_min_u32_e32 v59, 32, v56
	v_subrev_u32_e32 v56, 28, v59
	v_lshlrev_b64 v[56:57], v56, v[42:43]
	v_lshrrev_b32_e32 v58, 3, v44
	v_sub_u32_e32 v42, 29, v59
	v_and_b32_e32 v56, 7, v56
	v_cmp_gt_u32_e32 vcc, 8, v44
	v_cndmask_b32_e32 v42, v58, v42, vcc
	v_cndmask_b32_e32 v37, v37, v56, vcc
	v_lshlrev_b32_e32 v44, 16, v36
	v_lshlrev_b32_e32 v37, 20, v37
	v_and_b32_e32 v44, 0x80000000, v44
	v_lshl_add_u32 v42, v42, 23, v55
	v_or3_b32 v37, v44, v42, v37
.LBB644_225:                            ;   in Loop: Header=BB644_215 Depth=1
	s_or_b64 exec, exec, s[16:17]
.LBB644_226:                            ;   in Loop: Header=BB644_215 Depth=1
	s_or_b64 exec, exec, s[14:15]
.LBB644_227:                            ;   in Loop: Header=BB644_215 Depth=1
	s_or_b64 exec, exec, s[12:13]
	v_lshrrev_b32_e32 v42, 16, v36
	v_cmp_ne_u16_sdwa s[14:15], v42, v54 src0_sel:BYTE_0 src1_sel:DWORD
	v_mov_b32_e32 v56, 0
	v_mov_b32_e32 v44, 0
	s_and_saveexec_b64 s[12:13], s[14:15]
	s_cbranch_execz .LBB644_233
; %bb.228:                              ;   in Loop: Header=BB644_215 Depth=1
	v_cmp_ne_u16_sdwa s[16:17], v42, s9 src0_sel:BYTE_0 src1_sel:DWORD
	v_bfrev_b32_e32 v44, 1
	s_and_saveexec_b64 s[14:15], s[16:17]
	s_cbranch_execz .LBB644_232
; %bb.229:                              ;   in Loop: Header=BB644_215 Depth=1
	v_bfe_u32 v57, v36, 16, 7
	v_cmp_ne_u32_e32 vcc, s19, v57
	v_mov_b32_e32 v44, 0x7f800001
	s_and_saveexec_b64 s[16:17], vcc
	s_cbranch_execz .LBB644_231
; %bb.230:                              ;   in Loop: Header=BB644_215 Depth=1
	v_and_b32_e32 v44, 7, v42
	v_ffbh_u32_e32 v58, v44
	v_min_u32_e32 v61, 32, v58
	v_subrev_u32_e32 v58, 28, v61
	v_lshlrev_b64 v[58:59], v58, v[42:43]
	v_lshrrev_b32_e32 v60, 3, v57
	v_sub_u32_e32 v59, 29, v61
	v_and_b32_e32 v58, 7, v58
	v_cmp_gt_u32_e32 vcc, 8, v57
	v_cndmask_b32_e32 v57, v60, v59, vcc
	v_cndmask_b32_e32 v44, v44, v58, vcc
	v_lshlrev_b32_e32 v42, 24, v42
	v_lshlrev_b32_e32 v44, 20, v44
	v_and_b32_e32 v42, 0x80000000, v42
	v_lshl_add_u32 v57, v57, 23, v55
	v_or3_b32 v44, v42, v57, v44
.LBB644_231:                            ;   in Loop: Header=BB644_215 Depth=1
	s_or_b64 exec, exec, s[16:17]
.LBB644_232:                            ;   in Loop: Header=BB644_215 Depth=1
	s_or_b64 exec, exec, s[14:15]
.LBB644_233:                            ;   in Loop: Header=BB644_215 Depth=1
	s_or_b64 exec, exec, s[12:13]
	v_cmp_lt_u32_e32 vcc, s20, v36
	s_and_saveexec_b64 s[12:13], vcc
	s_cbranch_execz .LBB644_239
; %bb.234:                              ;   in Loop: Header=BB644_215 Depth=1
	v_lshrrev_b32_e32 v42, 24, v36
	v_cmp_ne_u32_e32 vcc, s9, v42
	v_bfrev_b32_e32 v56, 1
	s_and_saveexec_b64 s[14:15], vcc
	s_cbranch_execz .LBB644_238
; %bb.235:                              ;   in Loop: Header=BB644_215 Depth=1
	v_bfe_u32 v36, v36, 24, 7
	v_cmp_ne_u32_e32 vcc, s19, v36
	v_mov_b32_e32 v56, 0x7f800001
	s_and_saveexec_b64 s[16:17], vcc
	s_cbranch_execz .LBB644_237
; %bb.236:                              ;   in Loop: Header=BB644_215 Depth=1
	v_and_b32_e32 v58, 7, v42
	v_ffbh_u32_e32 v56, v58
	v_min_u32_e32 v60, 32, v56
	v_subrev_u32_e32 v56, 28, v60
	v_lshlrev_b64 v[56:57], v56, v[42:43]
	v_lshrrev_b32_e32 v59, 3, v36
	v_sub_u32_e32 v57, 29, v60
	v_and_b32_e32 v56, 7, v56
	v_cmp_gt_u32_e32 vcc, 8, v36
	v_cndmask_b32_e32 v36, v59, v57, vcc
	v_cndmask_b32_e32 v56, v58, v56, vcc
	v_lshlrev_b32_e32 v42, 24, v42
	v_lshlrev_b32_e32 v56, 20, v56
	v_and_b32_e32 v42, 0x80000000, v42
	v_lshl_add_u32 v36, v36, 23, v55
	v_or3_b32 v56, v42, v36, v56
.LBB644_237:                            ;   in Loop: Header=BB644_215 Depth=1
	s_or_b64 exec, exec, s[16:17]
.LBB644_238:                            ;   in Loop: Header=BB644_215 Depth=1
	s_or_b64 exec, exec, s[14:15]
.LBB644_239:                            ;   in Loop: Header=BB644_215 Depth=1
	s_or_b64 exec, exec, s[12:13]
	s_waitcnt vmcnt(2)
	v_cmp_ne_u16_sdwa s[14:15], v34, v54 src0_sel:BYTE_0 src1_sel:DWORD
	v_mov_b32_e32 v42, 0
	v_mov_b32_e32 v57, 0
	s_and_saveexec_b64 s[12:13], s[14:15]
	s_cbranch_execz .LBB644_245
; %bb.240:                              ;   in Loop: Header=BB644_215 Depth=1
	v_cmp_ne_u16_sdwa s[16:17], v34, s9 src0_sel:BYTE_0 src1_sel:DWORD
	v_bfrev_b32_e32 v57, 1
	s_and_saveexec_b64 s[14:15], s[16:17]
	s_cbranch_execz .LBB644_244
; %bb.241:                              ;   in Loop: Header=BB644_215 Depth=1
	v_and_b32_e32 v36, 0x7f, v34
	v_cmp_ne_u32_e32 vcc, s19, v36
	v_mov_b32_e32 v57, 0x7f800001
	s_and_saveexec_b64 s[16:17], vcc
	s_cbranch_execz .LBB644_243
; %bb.242:                              ;   in Loop: Header=BB644_215 Depth=1
	v_and_b32_e32 v57, 7, v34
	v_ffbh_u32_e32 v58, v57
	v_min_u32_e32 v61, 32, v58
	v_subrev_u32_e32 v58, 28, v61
	v_lshlrev_b64 v[58:59], v58, v[34:35]
	v_lshrrev_b32_e32 v60, 3, v36
	v_sub_u32_e32 v59, 29, v61
	v_and_b32_e32 v58, 7, v58
	v_cmp_gt_u32_e32 vcc, 8, v36
	v_cndmask_b32_e32 v36, v60, v59, vcc
	v_cndmask_b32_e32 v57, v57, v58, vcc
	v_lshlrev_b32_e32 v58, 24, v34
	v_lshlrev_b32_e32 v57, 20, v57
	v_and_b32_e32 v58, 0x80000000, v58
	v_lshl_add_u32 v36, v36, 23, v55
	v_or3_b32 v57, v58, v36, v57
.LBB644_243:                            ;   in Loop: Header=BB644_215 Depth=1
	s_or_b64 exec, exec, s[16:17]
.LBB644_244:                            ;   in Loop: Header=BB644_215 Depth=1
	s_or_b64 exec, exec, s[14:15]
.LBB644_245:                            ;   in Loop: Header=BB644_215 Depth=1
	s_or_b64 exec, exec, s[12:13]
	v_lshrrev_b16_e32 v36, 8, v34
	v_cmp_ne_u16_e32 vcc, 0, v36
	s_and_saveexec_b64 s[12:13], vcc
	s_cbranch_execz .LBB644_251
; %bb.246:                              ;   in Loop: Header=BB644_215 Depth=1
	v_cmp_ne_u16_e32 vcc, s9, v36
	v_bfrev_b32_e32 v42, 1
	s_and_saveexec_b64 s[14:15], vcc
	s_cbranch_execz .LBB644_250
; %bb.247:                              ;   in Loop: Header=BB644_215 Depth=1
	v_and_b32_e32 v58, 0x7f, v36
	v_cmp_ne_u32_e32 vcc, s19, v58
	v_mov_b32_e32 v42, 0x7f800001
	s_and_saveexec_b64 s[16:17], vcc
	s_cbranch_execz .LBB644_249
; %bb.248:                              ;   in Loop: Header=BB644_215 Depth=1
	v_and_b32_e32 v42, 7, v36
	v_ffbh_u32_e32 v60, v42
	v_min_u32_e32 v62, 32, v60
	v_subrev_u32_e32 v60, 28, v62
	v_lshlrev_b64 v[60:61], v60, v[36:37]
	v_lshrrev_b32_e32 v59, 3, v58
	v_sub_u32_e32 v36, 29, v62
	v_and_b32_e32 v60, 7, v60
	v_cmp_gt_u32_e32 vcc, 8, v58
	v_cndmask_b32_e32 v36, v59, v36, vcc
	v_cndmask_b32_e32 v42, v42, v60, vcc
	v_lshlrev_b32_e32 v58, 16, v34
	v_lshlrev_b32_e32 v42, 20, v42
	v_and_b32_e32 v58, 0x80000000, v58
	v_lshl_add_u32 v36, v36, 23, v55
	v_or3_b32 v42, v58, v36, v42
.LBB644_249:                            ;   in Loop: Header=BB644_215 Depth=1
	s_or_b64 exec, exec, s[16:17]
.LBB644_250:                            ;   in Loop: Header=BB644_215 Depth=1
	s_or_b64 exec, exec, s[14:15]
.LBB644_251:                            ;   in Loop: Header=BB644_215 Depth=1
	s_or_b64 exec, exec, s[12:13]
	v_lshrrev_b32_e32 v36, 16, v34
	v_cmp_ne_u16_sdwa s[14:15], v36, v54 src0_sel:BYTE_0 src1_sel:DWORD
	v_mov_b32_e32 v59, 0
	v_mov_b32_e32 v58, 0
	s_and_saveexec_b64 s[12:13], s[14:15]
	s_cbranch_execz .LBB644_257
; %bb.252:                              ;   in Loop: Header=BB644_215 Depth=1
	v_cmp_ne_u16_sdwa s[16:17], v36, s9 src0_sel:BYTE_0 src1_sel:DWORD
	v_bfrev_b32_e32 v58, 1
	s_and_saveexec_b64 s[14:15], s[16:17]
	s_cbranch_execz .LBB644_256
; %bb.253:                              ;   in Loop: Header=BB644_215 Depth=1
	v_bfe_u32 v60, v34, 16, 7
	v_cmp_ne_u32_e32 vcc, s19, v60
	v_mov_b32_e32 v58, 0x7f800001
	s_and_saveexec_b64 s[16:17], vcc
	s_cbranch_execz .LBB644_255
; %bb.254:                              ;   in Loop: Header=BB644_215 Depth=1
	v_and_b32_e32 v58, 7, v36
	v_ffbh_u32_e32 v62, v58
	v_min_u32_e32 v64, 32, v62
	v_subrev_u32_e32 v62, 28, v64
	v_lshlrev_b64 v[62:63], v62, v[36:37]
	v_lshrrev_b32_e32 v61, 3, v60
	v_sub_u32_e32 v63, 29, v64
	v_and_b32_e32 v62, 7, v62
	v_cmp_gt_u32_e32 vcc, 8, v60
	v_cndmask_b32_e32 v60, v61, v63, vcc
	v_cndmask_b32_e32 v58, v58, v62, vcc
	v_lshlrev_b32_e32 v36, 24, v36
	v_lshlrev_b32_e32 v58, 20, v58
	v_and_b32_e32 v36, 0x80000000, v36
	v_lshl_add_u32 v60, v60, 23, v55
	v_or3_b32 v58, v36, v60, v58
.LBB644_255:                            ;   in Loop: Header=BB644_215 Depth=1
	s_or_b64 exec, exec, s[16:17]
.LBB644_256:                            ;   in Loop: Header=BB644_215 Depth=1
	s_or_b64 exec, exec, s[14:15]
.LBB644_257:                            ;   in Loop: Header=BB644_215 Depth=1
	s_or_b64 exec, exec, s[12:13]
	v_cmp_lt_u32_e32 vcc, s20, v34
	s_and_saveexec_b64 s[12:13], vcc
	s_cbranch_execz .LBB644_263
; %bb.258:                              ;   in Loop: Header=BB644_215 Depth=1
	v_lshrrev_b32_e32 v36, 24, v34
	v_cmp_ne_u32_e32 vcc, s9, v36
	v_bfrev_b32_e32 v59, 1
	s_and_saveexec_b64 s[14:15], vcc
	s_cbranch_execz .LBB644_262
; %bb.259:                              ;   in Loop: Header=BB644_215 Depth=1
	v_bfe_u32 v34, v34, 24, 7
	v_cmp_ne_u32_e32 vcc, s19, v34
	v_mov_b32_e32 v59, 0x7f800001
	s_and_saveexec_b64 s[16:17], vcc
	s_cbranch_execz .LBB644_261
; %bb.260:                              ;   in Loop: Header=BB644_215 Depth=1
	v_and_b32_e32 v59, 7, v36
	v_ffbh_u32_e32 v60, v59
	v_min_u32_e32 v63, 32, v60
	v_subrev_u32_e32 v60, 28, v63
	v_lshlrev_b64 v[60:61], v60, v[36:37]
	v_lshrrev_b32_e32 v62, 3, v34
	v_sub_u32_e32 v61, 29, v63
	v_and_b32_e32 v60, 7, v60
	v_cmp_gt_u32_e32 vcc, 8, v34
	v_cndmask_b32_e32 v34, v62, v61, vcc
	v_cndmask_b32_e32 v59, v59, v60, vcc
	v_lshlrev_b32_e32 v36, 24, v36
	v_lshlrev_b32_e32 v59, 20, v59
	v_and_b32_e32 v36, 0x80000000, v36
	v_lshl_add_u32 v34, v34, 23, v55
	v_or3_b32 v59, v36, v34, v59
.LBB644_261:                            ;   in Loop: Header=BB644_215 Depth=1
	s_or_b64 exec, exec, s[16:17]
.LBB644_262:                            ;   in Loop: Header=BB644_215 Depth=1
	s_or_b64 exec, exec, s[14:15]
.LBB644_263:                            ;   in Loop: Header=BB644_215 Depth=1
	s_or_b64 exec, exec, s[12:13]
	v_cvt_pkrtz_f16_f32 v34, v35, v37
	v_cvt_pkrtz_f16_f32 v35, v44, v56
	;; [unrolled: 1-line block ×4, first 2 shown]
	v_mov_b32_e32 v44, 0
	v_mfma_f32_16x16x16f16 v[34:37], v[34:35], v[2:3], 0
	s_waitcnt vmcnt(1)
	v_cmp_ne_u16_sdwa s[14:15], v40, v54 src0_sel:BYTE_0 src1_sel:DWORD
	v_mov_b32_e32 v57, 0
	v_mfma_f32_16x16x16f16 v[34:37], v[60:61], v[4:5], v[34:37]
	s_and_saveexec_b64 s[12:13], s[14:15]
	s_cbranch_execz .LBB644_269
; %bb.264:                              ;   in Loop: Header=BB644_215 Depth=1
	v_cmp_ne_u16_sdwa s[16:17], v40, s9 src0_sel:BYTE_0 src1_sel:DWORD
	v_bfrev_b32_e32 v57, 1
	s_and_saveexec_b64 s[14:15], s[16:17]
	s_cbranch_execz .LBB644_268
; %bb.265:                              ;   in Loop: Header=BB644_215 Depth=1
	v_and_b32_e32 v42, 0x7f, v40
	v_cmp_ne_u32_e32 vcc, s19, v42
	v_mov_b32_e32 v57, 0x7f800001
	s_and_saveexec_b64 s[16:17], vcc
	s_cbranch_execz .LBB644_267
; %bb.266:                              ;   in Loop: Header=BB644_215 Depth=1
	v_and_b32_e32 v58, 7, v40
	v_ffbh_u32_e32 v56, v58
	v_min_u32_e32 v60, 32, v56
	v_subrev_u32_e32 v56, 28, v60
	v_lshlrev_b64 v[56:57], v56, v[40:41]
	v_lshrrev_b32_e32 v59, 3, v42
	v_sub_u32_e32 v57, 29, v60
	v_and_b32_e32 v56, 7, v56
	v_cmp_gt_u32_e32 vcc, 8, v42
	v_cndmask_b32_e32 v42, v59, v57, vcc
	v_cndmask_b32_e32 v56, v58, v56, vcc
	v_lshlrev_b32_e32 v57, 24, v40
	v_lshlrev_b32_e32 v56, 20, v56
	v_and_b32_e32 v57, 0x80000000, v57
	v_lshl_add_u32 v42, v42, 23, v55
	v_or3_b32 v57, v57, v42, v56
.LBB644_267:                            ;   in Loop: Header=BB644_215 Depth=1
	s_or_b64 exec, exec, s[16:17]
.LBB644_268:                            ;   in Loop: Header=BB644_215 Depth=1
	s_or_b64 exec, exec, s[14:15]
.LBB644_269:                            ;   in Loop: Header=BB644_215 Depth=1
	s_or_b64 exec, exec, s[12:13]
	v_lshrrev_b16_e32 v42, 8, v40
	v_cmp_ne_u16_e32 vcc, 0, v42
	v_mov_b32_e32 v58, 0
	s_and_saveexec_b64 s[12:13], vcc
	s_cbranch_execz .LBB644_275
; %bb.270:                              ;   in Loop: Header=BB644_215 Depth=1
	v_cmp_ne_u16_e32 vcc, s9, v42
	v_bfrev_b32_e32 v58, 1
	s_and_saveexec_b64 s[14:15], vcc
	s_cbranch_execz .LBB644_274
; %bb.271:                              ;   in Loop: Header=BB644_215 Depth=1
	v_and_b32_e32 v56, 0x7f, v42
	v_cmp_ne_u32_e32 vcc, s19, v56
	v_mov_b32_e32 v58, 0x7f800001
	s_and_saveexec_b64 s[16:17], vcc
	s_cbranch_execz .LBB644_273
; %bb.272:                              ;   in Loop: Header=BB644_215 Depth=1
	v_and_b32_e32 v60, 7, v42
	v_ffbh_u32_e32 v58, v60
	v_min_u32_e32 v62, 32, v58
	v_subrev_u32_e32 v58, 28, v62
	v_lshlrev_b64 v[58:59], v58, v[42:43]
	v_lshrrev_b32_e32 v61, 3, v56
	v_sub_u32_e32 v42, 29, v62
	v_and_b32_e32 v58, 7, v58
	v_cmp_gt_u32_e32 vcc, 8, v56
	v_cndmask_b32_e32 v42, v61, v42, vcc
	v_cndmask_b32_e32 v56, v60, v58, vcc
	v_lshlrev_b32_e32 v58, 16, v40
	v_lshlrev_b32_e32 v56, 20, v56
	v_and_b32_e32 v58, 0x80000000, v58
	v_lshl_add_u32 v42, v42, 23, v55
	v_or3_b32 v58, v58, v42, v56
.LBB644_273:                            ;   in Loop: Header=BB644_215 Depth=1
	s_or_b64 exec, exec, s[16:17]
.LBB644_274:                            ;   in Loop: Header=BB644_215 Depth=1
	s_or_b64 exec, exec, s[14:15]
.LBB644_275:                            ;   in Loop: Header=BB644_215 Depth=1
	s_or_b64 exec, exec, s[12:13]
	v_lshrrev_b32_e32 v42, 16, v40
	v_cmp_ne_u16_sdwa s[14:15], v42, v54 src0_sel:BYTE_0 src1_sel:DWORD
	s_and_saveexec_b64 s[12:13], s[14:15]
	s_cbranch_execz .LBB644_281
; %bb.276:                              ;   in Loop: Header=BB644_215 Depth=1
	v_cmp_ne_u16_sdwa s[16:17], v42, s9 src0_sel:BYTE_0 src1_sel:DWORD
	v_bfrev_b32_e32 v44, 1
	s_and_saveexec_b64 s[14:15], s[16:17]
	s_cbranch_execz .LBB644_280
; %bb.277:                              ;   in Loop: Header=BB644_215 Depth=1
	v_bfe_u32 v56, v40, 16, 7
	v_cmp_ne_u32_e32 vcc, s19, v56
	v_mov_b32_e32 v44, 0x7f800001
	s_and_saveexec_b64 s[16:17], vcc
	s_cbranch_execz .LBB644_279
; %bb.278:                              ;   in Loop: Header=BB644_215 Depth=1
	v_and_b32_e32 v44, 7, v42
	v_ffbh_u32_e32 v60, v44
	v_min_u32_e32 v62, 32, v60
	v_subrev_u32_e32 v60, 28, v62
	v_lshlrev_b64 v[60:61], v60, v[42:43]
	v_lshrrev_b32_e32 v59, 3, v56
	v_sub_u32_e32 v61, 29, v62
	v_and_b32_e32 v60, 7, v60
	v_cmp_gt_u32_e32 vcc, 8, v56
	v_cndmask_b32_e32 v56, v59, v61, vcc
	v_cndmask_b32_e32 v44, v44, v60, vcc
	v_lshlrev_b32_e32 v42, 24, v42
	v_lshlrev_b32_e32 v44, 20, v44
	v_and_b32_e32 v42, 0x80000000, v42
	v_lshl_add_u32 v56, v56, 23, v55
	v_or3_b32 v44, v42, v56, v44
.LBB644_279:                            ;   in Loop: Header=BB644_215 Depth=1
	s_or_b64 exec, exec, s[16:17]
.LBB644_280:                            ;   in Loop: Header=BB644_215 Depth=1
	s_or_b64 exec, exec, s[14:15]
.LBB644_281:                            ;   in Loop: Header=BB644_215 Depth=1
	s_or_b64 exec, exec, s[12:13]
	v_cmp_lt_u32_e32 vcc, s20, v40
	v_mov_b32_e32 v59, 0
	v_mov_b32_e32 v60, 0
	s_and_saveexec_b64 s[12:13], vcc
	s_cbranch_execz .LBB644_287
; %bb.282:                              ;   in Loop: Header=BB644_215 Depth=1
	v_lshrrev_b32_e32 v42, 24, v40
	v_cmp_ne_u32_e32 vcc, s9, v42
	v_bfrev_b32_e32 v60, 1
	s_and_saveexec_b64 s[14:15], vcc
	s_cbranch_execz .LBB644_286
; %bb.283:                              ;   in Loop: Header=BB644_215 Depth=1
	v_bfe_u32 v40, v40, 24, 7
	v_cmp_ne_u32_e32 vcc, s19, v40
	v_mov_b32_e32 v60, 0x7f800001
	s_and_saveexec_b64 s[16:17], vcc
	s_cbranch_execz .LBB644_285
; %bb.284:                              ;   in Loop: Header=BB644_215 Depth=1
	v_and_b32_e32 v56, 7, v42
	v_ffbh_u32_e32 v60, v56
	v_min_u32_e32 v63, 32, v60
	v_subrev_u32_e32 v60, 28, v63
	v_lshlrev_b64 v[60:61], v60, v[42:43]
	v_lshrrev_b32_e32 v62, 3, v40
	v_sub_u32_e32 v61, 29, v63
	v_and_b32_e32 v60, 7, v60
	v_cmp_gt_u32_e32 vcc, 8, v40
	v_cndmask_b32_e32 v40, v62, v61, vcc
	v_cndmask_b32_e32 v56, v56, v60, vcc
	v_lshlrev_b32_e32 v42, 24, v42
	v_lshlrev_b32_e32 v56, 20, v56
	v_and_b32_e32 v42, 0x80000000, v42
	v_lshl_add_u32 v40, v40, 23, v55
	v_or3_b32 v60, v42, v40, v56
.LBB644_285:                            ;   in Loop: Header=BB644_215 Depth=1
	s_or_b64 exec, exec, s[16:17]
.LBB644_286:                            ;   in Loop: Header=BB644_215 Depth=1
	s_or_b64 exec, exec, s[14:15]
.LBB644_287:                            ;   in Loop: Header=BB644_215 Depth=1
	s_or_b64 exec, exec, s[12:13]
	s_waitcnt vmcnt(0)
	v_cmp_ne_u16_sdwa s[14:15], v38, v54 src0_sel:BYTE_0 src1_sel:DWORD
	s_and_saveexec_b64 s[12:13], s[14:15]
	s_cbranch_execz .LBB644_293
; %bb.288:                              ;   in Loop: Header=BB644_215 Depth=1
	v_cmp_ne_u16_sdwa s[16:17], v38, s9 src0_sel:BYTE_0 src1_sel:DWORD
	v_bfrev_b32_e32 v59, 1
	s_and_saveexec_b64 s[14:15], s[16:17]
	s_cbranch_execz .LBB644_292
; %bb.289:                              ;   in Loop: Header=BB644_215 Depth=1
	v_and_b32_e32 v40, 0x7f, v38
	v_cmp_ne_u32_e32 vcc, s19, v40
	v_mov_b32_e32 v59, 0x7f800001
	s_and_saveexec_b64 s[16:17], vcc
	s_cbranch_execz .LBB644_291
; %bb.290:                              ;   in Loop: Header=BB644_215 Depth=1
	v_and_b32_e32 v42, 7, v38
	v_ffbh_u32_e32 v59, v42
	v_min_u32_e32 v59, 32, v59
	v_subrev_u32_e32 v61, 28, v59
	v_lshlrev_b64 v[62:63], v61, v[38:39]
	v_lshrrev_b32_e32 v56, 3, v40
	v_sub_u32_e32 v59, 29, v59
	v_and_b32_e32 v61, 7, v62
	v_cmp_gt_u32_e32 vcc, 8, v40
	v_cndmask_b32_e32 v40, v56, v59, vcc
	v_cndmask_b32_e32 v42, v42, v61, vcc
	v_lshlrev_b32_e32 v56, 24, v38
	v_lshlrev_b32_e32 v42, 20, v42
	v_and_b32_e32 v56, 0x80000000, v56
	v_lshl_add_u32 v40, v40, 23, v55
	v_or3_b32 v59, v56, v40, v42
.LBB644_291:                            ;   in Loop: Header=BB644_215 Depth=1
	s_or_b64 exec, exec, s[16:17]
.LBB644_292:                            ;   in Loop: Header=BB644_215 Depth=1
	s_or_b64 exec, exec, s[14:15]
.LBB644_293:                            ;   in Loop: Header=BB644_215 Depth=1
	s_or_b64 exec, exec, s[12:13]
	v_lshrrev_b16_e32 v40, 8, v38
	v_cmp_ne_u16_e32 vcc, 0, v40
	v_mov_b32_e32 v61, 0
	v_mov_b32_e32 v62, 0
	s_and_saveexec_b64 s[12:13], vcc
	s_cbranch_execz .LBB644_299
; %bb.294:                              ;   in Loop: Header=BB644_215 Depth=1
	v_cmp_ne_u16_e32 vcc, s9, v40
	v_bfrev_b32_e32 v62, 1
	s_and_saveexec_b64 s[14:15], vcc
	s_cbranch_execz .LBB644_298
; %bb.295:                              ;   in Loop: Header=BB644_215 Depth=1
	v_and_b32_e32 v42, 0x7f, v40
	v_cmp_ne_u32_e32 vcc, s19, v42
	v_mov_b32_e32 v62, 0x7f800001
	s_and_saveexec_b64 s[16:17], vcc
	s_cbranch_execz .LBB644_297
; %bb.296:                              ;   in Loop: Header=BB644_215 Depth=1
	v_and_b32_e32 v56, 7, v40
	v_ffbh_u32_e32 v62, v56
	v_min_u32_e32 v65, 32, v62
	v_subrev_u32_e32 v62, 28, v65
	v_lshlrev_b64 v[62:63], v62, v[40:41]
	v_lshrrev_b32_e32 v64, 3, v42
	v_sub_u32_e32 v40, 29, v65
	v_and_b32_e32 v62, 7, v62
	v_cmp_gt_u32_e32 vcc, 8, v42
	v_cndmask_b32_e32 v40, v64, v40, vcc
	v_cndmask_b32_e32 v42, v56, v62, vcc
	v_lshlrev_b32_e32 v56, 16, v38
	v_lshlrev_b32_e32 v42, 20, v42
	v_and_b32_e32 v56, 0x80000000, v56
	v_lshl_add_u32 v40, v40, 23, v55
	v_or3_b32 v62, v56, v40, v42
.LBB644_297:                            ;   in Loop: Header=BB644_215 Depth=1
	s_or_b64 exec, exec, s[16:17]
.LBB644_298:                            ;   in Loop: Header=BB644_215 Depth=1
	s_or_b64 exec, exec, s[14:15]
.LBB644_299:                            ;   in Loop: Header=BB644_215 Depth=1
	s_or_b64 exec, exec, s[12:13]
	v_lshrrev_b32_e32 v40, 16, v38
	v_cmp_ne_u16_sdwa s[14:15], v40, v54 src0_sel:BYTE_0 src1_sel:DWORD
	s_and_saveexec_b64 s[12:13], s[14:15]
	s_cbranch_execz .LBB644_305
; %bb.300:                              ;   in Loop: Header=BB644_215 Depth=1
	v_cmp_ne_u16_sdwa s[16:17], v40, s9 src0_sel:BYTE_0 src1_sel:DWORD
	v_bfrev_b32_e32 v61, 1
	s_and_saveexec_b64 s[14:15], s[16:17]
	s_cbranch_execz .LBB644_304
; %bb.301:                              ;   in Loop: Header=BB644_215 Depth=1
	v_bfe_u32 v42, v38, 16, 7
	v_cmp_ne_u32_e32 vcc, s19, v42
	v_mov_b32_e32 v61, 0x7f800001
	s_and_saveexec_b64 s[16:17], vcc
	s_cbranch_execz .LBB644_303
; %bb.302:                              ;   in Loop: Header=BB644_215 Depth=1
	v_and_b32_e32 v56, 7, v40
	v_ffbh_u32_e32 v63, v56
	v_min_u32_e32 v63, 32, v63
	v_subrev_u32_e32 v64, 28, v63
	v_lshlrev_b64 v[64:65], v64, v[40:41]
	v_lshrrev_b32_e32 v61, 3, v42
	v_sub_u32_e32 v63, 29, v63
	v_and_b32_e32 v64, 7, v64
	v_cmp_gt_u32_e32 vcc, 8, v42
	v_cndmask_b32_e32 v42, v61, v63, vcc
	v_cndmask_b32_e32 v56, v56, v64, vcc
	v_lshlrev_b32_e32 v40, 24, v40
	v_lshlrev_b32_e32 v56, 20, v56
	v_and_b32_e32 v40, 0x80000000, v40
	v_lshl_add_u32 v42, v42, 23, v55
	v_or3_b32 v61, v40, v42, v56
.LBB644_303:                            ;   in Loop: Header=BB644_215 Depth=1
	s_or_b64 exec, exec, s[16:17]
.LBB644_304:                            ;   in Loop: Header=BB644_215 Depth=1
	s_or_b64 exec, exec, s[14:15]
.LBB644_305:                            ;   in Loop: Header=BB644_215 Depth=1
	s_or_b64 exec, exec, s[12:13]
	v_cmp_lt_u32_e32 vcc, s20, v38
	v_mov_b32_e32 v56, 0
	v_mov_b32_e32 v63, 0
	s_and_saveexec_b64 s[12:13], vcc
	s_cbranch_execz .LBB644_311
; %bb.306:                              ;   in Loop: Header=BB644_215 Depth=1
	v_lshrrev_b32_e32 v40, 24, v38
	v_cmp_ne_u32_e32 vcc, s9, v40
	v_bfrev_b32_e32 v63, 1
	s_and_saveexec_b64 s[14:15], vcc
	s_cbranch_execz .LBB644_310
; %bb.307:                              ;   in Loop: Header=BB644_215 Depth=1
	v_bfe_u32 v38, v38, 24, 7
	v_cmp_ne_u32_e32 vcc, s19, v38
	v_mov_b32_e32 v63, 0x7f800001
	s_and_saveexec_b64 s[16:17], vcc
	s_cbranch_execz .LBB644_309
; %bb.308:                              ;   in Loop: Header=BB644_215 Depth=1
	v_and_b32_e32 v42, 7, v40
	v_ffbh_u32_e32 v64, v42
	v_min_u32_e32 v66, 32, v64
	v_subrev_u32_e32 v64, 28, v66
	v_lshlrev_b64 v[64:65], v64, v[40:41]
	v_lshrrev_b32_e32 v63, 3, v38
	v_sub_u32_e32 v65, 29, v66
	v_and_b32_e32 v64, 7, v64
	v_cmp_gt_u32_e32 vcc, 8, v38
	v_cndmask_b32_e32 v38, v63, v65, vcc
	v_cndmask_b32_e32 v42, v42, v64, vcc
	v_lshlrev_b32_e32 v40, 24, v40
	v_lshlrev_b32_e32 v42, 20, v42
	v_and_b32_e32 v40, 0x80000000, v40
	v_lshl_add_u32 v38, v38, 23, v55
	v_or3_b32 v63, v40, v38, v42
.LBB644_309:                            ;   in Loop: Header=BB644_215 Depth=1
	s_or_b64 exec, exec, s[16:17]
.LBB644_310:                            ;   in Loop: Header=BB644_215 Depth=1
	s_or_b64 exec, exec, s[14:15]
.LBB644_311:                            ;   in Loop: Header=BB644_215 Depth=1
	s_or_b64 exec, exec, s[12:13]
	v_cvt_pkrtz_f16_f32 v65, v44, v60
	buffer_load_dword v44, v46, s[0:3], 0 offen
	buffer_load_dword v42, v46, s[0:3], 0 offen offset:4
	buffer_load_dword v40, v46, s[0:3], 0 offen offset:8
	;; [unrolled: 1-line block ×3, first 2 shown]
	v_cvt_pkrtz_f16_f32 v64, v57, v58
	v_cvt_pkrtz_f16_f32 v58, v59, v62
	;; [unrolled: 1-line block ×3, first 2 shown]
	v_mfma_f32_16x16x16f16 v[34:37], v[64:65], v[6:7], v[34:37]
	s_waitcnt vmcnt(3)
	v_cmp_ne_u16_sdwa s[14:15], v44, v54 src0_sel:BYTE_0 src1_sel:DWORD
	v_mfma_f32_16x16x16f16 v[34:37], v[58:59], v[8:9], v[34:37]
	s_and_saveexec_b64 s[12:13], s[14:15]
	s_cbranch_execz .LBB644_317
; %bb.312:                              ;   in Loop: Header=BB644_215 Depth=1
	v_cmp_ne_u16_sdwa s[16:17], v44, s9 src0_sel:BYTE_0 src1_sel:DWORD
	v_bfrev_b32_e32 v56, 1
	s_and_saveexec_b64 s[14:15], s[16:17]
	s_cbranch_execz .LBB644_316
; %bb.313:                              ;   in Loop: Header=BB644_215 Depth=1
	v_and_b32_e32 v46, 0x7f, v44
	v_cmp_ne_u32_e32 vcc, s19, v46
	v_mov_b32_e32 v56, 0x7f800001
	s_and_saveexec_b64 s[16:17], vcc
	s_cbranch_execz .LBB644_315
; %bb.314:                              ;   in Loop: Header=BB644_215 Depth=1
	v_and_b32_e32 v58, 7, v44
	v_ffbh_u32_e32 v56, v58
	v_min_u32_e32 v60, 32, v56
	v_subrev_u32_e32 v56, 28, v60
	v_lshlrev_b64 v[56:57], v56, v[44:45]
	v_lshrrev_b32_e32 v59, 3, v46
	v_sub_u32_e32 v57, 29, v60
	v_and_b32_e32 v56, 7, v56
	v_cmp_gt_u32_e32 vcc, 8, v46
	v_cndmask_b32_e32 v46, v59, v57, vcc
	v_cndmask_b32_e32 v56, v58, v56, vcc
	v_lshlrev_b32_e32 v57, 24, v44
	v_lshlrev_b32_e32 v56, 20, v56
	v_and_b32_e32 v57, 0x80000000, v57
	v_lshl_add_u32 v46, v46, 23, v55
	v_or3_b32 v56, v57, v46, v56
.LBB644_315:                            ;   in Loop: Header=BB644_215 Depth=1
	s_or_b64 exec, exec, s[16:17]
.LBB644_316:                            ;   in Loop: Header=BB644_215 Depth=1
	s_or_b64 exec, exec, s[14:15]
.LBB644_317:                            ;   in Loop: Header=BB644_215 Depth=1
	s_or_b64 exec, exec, s[12:13]
	v_lshrrev_b16_e32 v46, 8, v44
	v_cmp_ne_u16_e32 vcc, 0, v46
	v_mov_b32_e32 v57, 0
	v_mov_b32_e32 v58, 0
	s_and_saveexec_b64 s[12:13], vcc
	s_cbranch_execz .LBB644_323
; %bb.318:                              ;   in Loop: Header=BB644_215 Depth=1
	v_cmp_ne_u16_e32 vcc, s9, v46
	v_bfrev_b32_e32 v58, 1
	s_and_saveexec_b64 s[14:15], vcc
	s_cbranch_execz .LBB644_322
; %bb.319:                              ;   in Loop: Header=BB644_215 Depth=1
	v_and_b32_e32 v59, 0x7f, v46
	v_cmp_ne_u32_e32 vcc, s19, v59
	v_mov_b32_e32 v58, 0x7f800001
	s_and_saveexec_b64 s[16:17], vcc
	s_cbranch_execz .LBB644_321
; %bb.320:                              ;   in Loop: Header=BB644_215 Depth=1
	v_and_b32_e32 v58, 7, v46
	v_ffbh_u32_e32 v60, v58
	v_min_u32_e32 v63, 32, v60
	v_subrev_u32_e32 v60, 28, v63
	v_lshlrev_b64 v[60:61], v60, v[46:47]
	v_lshrrev_b32_e32 v62, 3, v59
	v_sub_u32_e32 v46, 29, v63
	v_and_b32_e32 v60, 7, v60
	v_cmp_gt_u32_e32 vcc, 8, v59
	v_cndmask_b32_e32 v46, v62, v46, vcc
	v_cndmask_b32_e32 v58, v58, v60, vcc
	v_lshlrev_b32_e32 v59, 16, v44
	v_lshlrev_b32_e32 v58, 20, v58
	v_and_b32_e32 v59, 0x80000000, v59
	v_lshl_add_u32 v46, v46, 23, v55
	v_or3_b32 v58, v59, v46, v58
.LBB644_321:                            ;   in Loop: Header=BB644_215 Depth=1
	s_or_b64 exec, exec, s[16:17]
.LBB644_322:                            ;   in Loop: Header=BB644_215 Depth=1
	s_or_b64 exec, exec, s[14:15]
.LBB644_323:                            ;   in Loop: Header=BB644_215 Depth=1
	s_or_b64 exec, exec, s[12:13]
	v_lshrrev_b32_e32 v46, 16, v44
	v_cmp_ne_u16_sdwa s[14:15], v46, v54 src0_sel:BYTE_0 src1_sel:DWORD
	s_and_saveexec_b64 s[12:13], s[14:15]
	s_cbranch_execz .LBB644_329
; %bb.324:                              ;   in Loop: Header=BB644_215 Depth=1
	v_cmp_ne_u16_sdwa s[16:17], v46, s9 src0_sel:BYTE_0 src1_sel:DWORD
	v_bfrev_b32_e32 v57, 1
	s_and_saveexec_b64 s[14:15], s[16:17]
	s_cbranch_execz .LBB644_328
; %bb.325:                              ;   in Loop: Header=BB644_215 Depth=1
	v_bfe_u32 v59, v44, 16, 7
	v_cmp_ne_u32_e32 vcc, s19, v59
	v_mov_b32_e32 v57, 0x7f800001
	s_and_saveexec_b64 s[16:17], vcc
	s_cbranch_execz .LBB644_327
; %bb.326:                              ;   in Loop: Header=BB644_215 Depth=1
	v_and_b32_e32 v57, 7, v46
	v_ffbh_u32_e32 v60, v57
	v_min_u32_e32 v63, 32, v60
	v_subrev_u32_e32 v60, 28, v63
	v_lshlrev_b64 v[60:61], v60, v[46:47]
	v_lshrrev_b32_e32 v62, 3, v59
	v_sub_u32_e32 v61, 29, v63
	v_and_b32_e32 v60, 7, v60
	v_cmp_gt_u32_e32 vcc, 8, v59
	v_cndmask_b32_e32 v59, v62, v61, vcc
	v_cndmask_b32_e32 v57, v57, v60, vcc
	v_lshlrev_b32_e32 v46, 24, v46
	v_lshlrev_b32_e32 v57, 20, v57
	v_and_b32_e32 v46, 0x80000000, v46
	v_lshl_add_u32 v59, v59, 23, v55
	v_or3_b32 v57, v46, v59, v57
.LBB644_327:                            ;   in Loop: Header=BB644_215 Depth=1
	s_or_b64 exec, exec, s[16:17]
.LBB644_328:                            ;   in Loop: Header=BB644_215 Depth=1
	s_or_b64 exec, exec, s[14:15]
.LBB644_329:                            ;   in Loop: Header=BB644_215 Depth=1
	s_or_b64 exec, exec, s[12:13]
	v_cmp_lt_u32_e32 vcc, s20, v44
	v_mov_b32_e32 v59, 0
	v_mov_b32_e32 v60, 0
	s_and_saveexec_b64 s[12:13], vcc
	s_cbranch_execz .LBB644_335
; %bb.330:                              ;   in Loop: Header=BB644_215 Depth=1
	v_lshrrev_b32_e32 v46, 24, v44
	v_cmp_ne_u32_e32 vcc, s9, v46
	v_bfrev_b32_e32 v60, 1
	s_and_saveexec_b64 s[14:15], vcc
	s_cbranch_execz .LBB644_334
; %bb.331:                              ;   in Loop: Header=BB644_215 Depth=1
	v_bfe_u32 v44, v44, 24, 7
	v_cmp_ne_u32_e32 vcc, s19, v44
	v_mov_b32_e32 v60, 0x7f800001
	s_and_saveexec_b64 s[16:17], vcc
	s_cbranch_execz .LBB644_333
; %bb.332:                              ;   in Loop: Header=BB644_215 Depth=1
	v_and_b32_e32 v62, 7, v46
	v_ffbh_u32_e32 v60, v62
	v_min_u32_e32 v64, 32, v60
	v_subrev_u32_e32 v60, 28, v64
	v_lshlrev_b64 v[60:61], v60, v[46:47]
	v_lshrrev_b32_e32 v63, 3, v44
	v_sub_u32_e32 v61, 29, v64
	v_and_b32_e32 v60, 7, v60
	v_cmp_gt_u32_e32 vcc, 8, v44
	v_cndmask_b32_e32 v44, v63, v61, vcc
	v_cndmask_b32_e32 v60, v62, v60, vcc
	v_lshlrev_b32_e32 v46, 24, v46
	v_lshlrev_b32_e32 v60, 20, v60
	v_and_b32_e32 v46, 0x80000000, v46
	v_lshl_add_u32 v44, v44, 23, v55
	v_or3_b32 v60, v46, v44, v60
.LBB644_333:                            ;   in Loop: Header=BB644_215 Depth=1
	s_or_b64 exec, exec, s[16:17]
.LBB644_334:                            ;   in Loop: Header=BB644_215 Depth=1
	s_or_b64 exec, exec, s[14:15]
.LBB644_335:                            ;   in Loop: Header=BB644_215 Depth=1
	s_or_b64 exec, exec, s[12:13]
	s_waitcnt vmcnt(2)
	v_cmp_ne_u16_sdwa s[14:15], v42, v54 src0_sel:BYTE_0 src1_sel:DWORD
	s_and_saveexec_b64 s[12:13], s[14:15]
	s_cbranch_execz .LBB644_341
; %bb.336:                              ;   in Loop: Header=BB644_215 Depth=1
	v_cmp_ne_u16_sdwa s[16:17], v42, s9 src0_sel:BYTE_0 src1_sel:DWORD
	v_bfrev_b32_e32 v59, 1
	s_and_saveexec_b64 s[14:15], s[16:17]
	s_cbranch_execz .LBB644_340
; %bb.337:                              ;   in Loop: Header=BB644_215 Depth=1
	v_and_b32_e32 v44, 0x7f, v42
	v_cmp_ne_u32_e32 vcc, s19, v44
	v_mov_b32_e32 v59, 0x7f800001
	s_and_saveexec_b64 s[16:17], vcc
	s_cbranch_execz .LBB644_339
; %bb.338:                              ;   in Loop: Header=BB644_215 Depth=1
	v_and_b32_e32 v46, 7, v42
	v_ffbh_u32_e32 v61, v46
	v_min_u32_e32 v61, 32, v61
	v_subrev_u32_e32 v62, 28, v61
	v_lshlrev_b64 v[62:63], v62, v[42:43]
	v_lshrrev_b32_e32 v59, 3, v44
	v_sub_u32_e32 v61, 29, v61
	v_and_b32_e32 v62, 7, v62
	v_cmp_gt_u32_e32 vcc, 8, v44
	v_cndmask_b32_e32 v44, v59, v61, vcc
	v_cndmask_b32_e32 v46, v46, v62, vcc
	v_lshlrev_b32_e32 v59, 24, v42
	v_lshlrev_b32_e32 v46, 20, v46
	v_and_b32_e32 v59, 0x80000000, v59
	v_lshl_add_u32 v44, v44, 23, v55
	v_or3_b32 v59, v59, v44, v46
.LBB644_339:                            ;   in Loop: Header=BB644_215 Depth=1
	s_or_b64 exec, exec, s[16:17]
.LBB644_340:                            ;   in Loop: Header=BB644_215 Depth=1
	s_or_b64 exec, exec, s[14:15]
.LBB644_341:                            ;   in Loop: Header=BB644_215 Depth=1
	s_or_b64 exec, exec, s[12:13]
	v_lshrrev_b16_e32 v44, 8, v42
	v_cmp_ne_u16_e32 vcc, 0, v44
	v_mov_b32_e32 v61, 0
	v_mov_b32_e32 v62, 0
	s_and_saveexec_b64 s[12:13], vcc
	s_cbranch_execz .LBB644_347
; %bb.342:                              ;   in Loop: Header=BB644_215 Depth=1
	v_cmp_ne_u16_e32 vcc, s9, v44
	v_bfrev_b32_e32 v62, 1
	s_and_saveexec_b64 s[14:15], vcc
	s_cbranch_execz .LBB644_346
; %bb.343:                              ;   in Loop: Header=BB644_215 Depth=1
	v_and_b32_e32 v46, 0x7f, v44
	v_cmp_ne_u32_e32 vcc, s19, v46
	v_mov_b32_e32 v62, 0x7f800001
	s_and_saveexec_b64 s[16:17], vcc
	s_cbranch_execz .LBB644_345
; %bb.344:                              ;   in Loop: Header=BB644_215 Depth=1
	v_and_b32_e32 v64, 7, v44
	v_ffbh_u32_e32 v62, v64
	v_min_u32_e32 v66, 32, v62
	v_subrev_u32_e32 v62, 28, v66
	v_lshlrev_b64 v[62:63], v62, v[44:45]
	v_lshrrev_b32_e32 v65, 3, v46
	v_sub_u32_e32 v44, 29, v66
	v_and_b32_e32 v62, 7, v62
	v_cmp_gt_u32_e32 vcc, 8, v46
	v_cndmask_b32_e32 v44, v65, v44, vcc
	v_cndmask_b32_e32 v46, v64, v62, vcc
	v_lshlrev_b32_e32 v62, 16, v42
	v_lshlrev_b32_e32 v46, 20, v46
	v_and_b32_e32 v62, 0x80000000, v62
	v_lshl_add_u32 v44, v44, 23, v55
	v_or3_b32 v62, v62, v44, v46
.LBB644_345:                            ;   in Loop: Header=BB644_215 Depth=1
	s_or_b64 exec, exec, s[16:17]
.LBB644_346:                            ;   in Loop: Header=BB644_215 Depth=1
	s_or_b64 exec, exec, s[14:15]
.LBB644_347:                            ;   in Loop: Header=BB644_215 Depth=1
	s_or_b64 exec, exec, s[12:13]
	v_lshrrev_b32_e32 v44, 16, v42
	v_cmp_ne_u16_sdwa s[14:15], v44, v54 src0_sel:BYTE_0 src1_sel:DWORD
	s_and_saveexec_b64 s[12:13], s[14:15]
	s_cbranch_execz .LBB644_353
; %bb.348:                              ;   in Loop: Header=BB644_215 Depth=1
	v_cmp_ne_u16_sdwa s[16:17], v44, s9 src0_sel:BYTE_0 src1_sel:DWORD
	v_bfrev_b32_e32 v61, 1
	s_and_saveexec_b64 s[14:15], s[16:17]
	s_cbranch_execz .LBB644_352
; %bb.349:                              ;   in Loop: Header=BB644_215 Depth=1
	v_bfe_u32 v46, v42, 16, 7
	v_cmp_ne_u32_e32 vcc, s19, v46
	v_mov_b32_e32 v61, 0x7f800001
	s_and_saveexec_b64 s[16:17], vcc
	s_cbranch_execz .LBB644_351
; %bb.350:                              ;   in Loop: Header=BB644_215 Depth=1
	v_and_b32_e32 v61, 7, v44
	v_ffbh_u32_e32 v64, v61
	v_min_u32_e32 v66, 32, v64
	v_subrev_u32_e32 v64, 28, v66
	v_lshlrev_b64 v[64:65], v64, v[44:45]
	v_lshrrev_b32_e32 v63, 3, v46
	v_sub_u32_e32 v65, 29, v66
	v_and_b32_e32 v64, 7, v64
	v_cmp_gt_u32_e32 vcc, 8, v46
	v_cndmask_b32_e32 v46, v63, v65, vcc
	v_cndmask_b32_e32 v61, v61, v64, vcc
	v_lshlrev_b32_e32 v44, 24, v44
	v_lshlrev_b32_e32 v61, 20, v61
	v_and_b32_e32 v44, 0x80000000, v44
	v_lshl_add_u32 v46, v46, 23, v55
	v_or3_b32 v61, v44, v46, v61
.LBB644_351:                            ;   in Loop: Header=BB644_215 Depth=1
	s_or_b64 exec, exec, s[16:17]
.LBB644_352:                            ;   in Loop: Header=BB644_215 Depth=1
	s_or_b64 exec, exec, s[14:15]
.LBB644_353:                            ;   in Loop: Header=BB644_215 Depth=1
	s_or_b64 exec, exec, s[12:13]
	v_cmp_lt_u32_e32 vcc, s20, v42
	v_mov_b32_e32 v46, 0
	v_mov_b32_e32 v63, 0
	s_and_saveexec_b64 s[12:13], vcc
	s_cbranch_execz .LBB644_359
; %bb.354:                              ;   in Loop: Header=BB644_215 Depth=1
	v_lshrrev_b32_e32 v44, 24, v42
	v_cmp_ne_u32_e32 vcc, s9, v44
	v_bfrev_b32_e32 v63, 1
	s_and_saveexec_b64 s[14:15], vcc
	s_cbranch_execz .LBB644_358
; %bb.355:                              ;   in Loop: Header=BB644_215 Depth=1
	v_bfe_u32 v42, v42, 24, 7
	v_cmp_ne_u32_e32 vcc, s19, v42
	v_mov_b32_e32 v63, 0x7f800001
	s_and_saveexec_b64 s[16:17], vcc
	s_cbranch_execz .LBB644_357
; %bb.356:                              ;   in Loop: Header=BB644_215 Depth=1
	v_and_b32_e32 v63, 7, v44
	v_ffbh_u32_e32 v64, v63
	v_min_u32_e32 v67, 32, v64
	v_subrev_u32_e32 v64, 28, v67
	v_lshlrev_b64 v[64:65], v64, v[44:45]
	v_lshrrev_b32_e32 v66, 3, v42
	v_sub_u32_e32 v65, 29, v67
	v_and_b32_e32 v64, 7, v64
	v_cmp_gt_u32_e32 vcc, 8, v42
	v_cndmask_b32_e32 v42, v66, v65, vcc
	v_cndmask_b32_e32 v63, v63, v64, vcc
	v_lshlrev_b32_e32 v44, 24, v44
	v_lshlrev_b32_e32 v63, 20, v63
	v_and_b32_e32 v44, 0x80000000, v44
	v_lshl_add_u32 v42, v42, 23, v55
	v_or3_b32 v63, v44, v42, v63
.LBB644_357:                            ;   in Loop: Header=BB644_215 Depth=1
	s_or_b64 exec, exec, s[16:17]
.LBB644_358:                            ;   in Loop: Header=BB644_215 Depth=1
	s_or_b64 exec, exec, s[14:15]
.LBB644_359:                            ;   in Loop: Header=BB644_215 Depth=1
	s_or_b64 exec, exec, s[12:13]
	v_cvt_pkrtz_f16_f32 v56, v56, v58
	v_cvt_pkrtz_f16_f32 v57, v57, v60
	s_waitcnt vmcnt(1)
	v_cmp_ne_u16_sdwa s[14:15], v40, v54 src0_sel:BYTE_0 src1_sel:DWORD
	v_mfma_f32_16x16x16f16 v[34:37], v[56:57], v[10:11], v[34:37]
	v_cvt_pkrtz_f16_f32 v56, v59, v62
	v_cvt_pkrtz_f16_f32 v57, v61, v63
	s_nop 1
	v_mfma_f32_16x16x16f16 v[34:37], v[56:57], v[12:13], v[34:37]
	s_and_saveexec_b64 s[12:13], s[14:15]
	s_cbranch_execz .LBB644_365
; %bb.360:                              ;   in Loop: Header=BB644_215 Depth=1
	v_cmp_ne_u16_sdwa s[16:17], v40, s9 src0_sel:BYTE_0 src1_sel:DWORD
	v_bfrev_b32_e32 v46, 1
	s_and_saveexec_b64 s[14:15], s[16:17]
	s_cbranch_execz .LBB644_364
; %bb.361:                              ;   in Loop: Header=BB644_215 Depth=1
	v_and_b32_e32 v42, 0x7f, v40
	v_cmp_ne_u32_e32 vcc, s19, v42
	v_mov_b32_e32 v46, 0x7f800001
	s_and_saveexec_b64 s[16:17], vcc
	s_cbranch_execz .LBB644_363
; %bb.362:                              ;   in Loop: Header=BB644_215 Depth=1
	v_and_b32_e32 v44, 7, v40
	v_ffbh_u32_e32 v56, v44
	v_min_u32_e32 v58, 32, v56
	v_subrev_u32_e32 v56, 28, v58
	v_lshlrev_b64 v[56:57], v56, v[40:41]
	v_lshrrev_b32_e32 v46, 3, v42
	v_sub_u32_e32 v57, 29, v58
	v_and_b32_e32 v56, 7, v56
	v_cmp_gt_u32_e32 vcc, 8, v42
	v_cndmask_b32_e32 v42, v46, v57, vcc
	v_cndmask_b32_e32 v44, v44, v56, vcc
	v_lshlrev_b32_e32 v46, 24, v40
	v_lshlrev_b32_e32 v44, 20, v44
	v_and_b32_e32 v46, 0x80000000, v46
	v_lshl_add_u32 v42, v42, 23, v55
	v_or3_b32 v46, v46, v42, v44
.LBB644_363:                            ;   in Loop: Header=BB644_215 Depth=1
	s_or_b64 exec, exec, s[16:17]
.LBB644_364:                            ;   in Loop: Header=BB644_215 Depth=1
	s_or_b64 exec, exec, s[14:15]
.LBB644_365:                            ;   in Loop: Header=BB644_215 Depth=1
	s_or_b64 exec, exec, s[12:13]
	v_lshrrev_b16_e32 v42, 8, v40
	v_cmp_ne_u16_e32 vcc, 0, v42
	v_mov_b32_e32 v44, 0
	v_mov_b32_e32 v57, 0
	s_and_saveexec_b64 s[12:13], vcc
	s_cbranch_execz .LBB644_371
; %bb.366:                              ;   in Loop: Header=BB644_215 Depth=1
	v_cmp_ne_u16_e32 vcc, s9, v42
	v_bfrev_b32_e32 v57, 1
	s_and_saveexec_b64 s[14:15], vcc
	s_cbranch_execz .LBB644_370
; %bb.367:                              ;   in Loop: Header=BB644_215 Depth=1
	v_and_b32_e32 v56, 0x7f, v42
	v_cmp_ne_u32_e32 vcc, s19, v56
	v_mov_b32_e32 v57, 0x7f800001
	s_and_saveexec_b64 s[16:17], vcc
	s_cbranch_execz .LBB644_369
; %bb.368:                              ;   in Loop: Header=BB644_215 Depth=1
	v_and_b32_e32 v57, 7, v42
	v_ffbh_u32_e32 v58, v57
	v_min_u32_e32 v61, 32, v58
	v_subrev_u32_e32 v58, 28, v61
	v_lshlrev_b64 v[58:59], v58, v[42:43]
	v_lshrrev_b32_e32 v60, 3, v56
	v_sub_u32_e32 v42, 29, v61
	v_and_b32_e32 v58, 7, v58
	v_cmp_gt_u32_e32 vcc, 8, v56
	v_cndmask_b32_e32 v42, v60, v42, vcc
	v_cndmask_b32_e32 v56, v57, v58, vcc
	v_lshlrev_b32_e32 v57, 16, v40
	v_lshlrev_b32_e32 v56, 20, v56
	v_and_b32_e32 v57, 0x80000000, v57
	v_lshl_add_u32 v42, v42, 23, v55
	v_or3_b32 v57, v57, v42, v56
.LBB644_369:                            ;   in Loop: Header=BB644_215 Depth=1
	s_or_b64 exec, exec, s[16:17]
.LBB644_370:                            ;   in Loop: Header=BB644_215 Depth=1
	s_or_b64 exec, exec, s[14:15]
.LBB644_371:                            ;   in Loop: Header=BB644_215 Depth=1
	s_or_b64 exec, exec, s[12:13]
	v_lshrrev_b32_e32 v42, 16, v40
	v_cmp_ne_u16_sdwa s[14:15], v42, v54 src0_sel:BYTE_0 src1_sel:DWORD
	s_and_saveexec_b64 s[12:13], s[14:15]
	s_cbranch_execz .LBB644_377
; %bb.372:                              ;   in Loop: Header=BB644_215 Depth=1
	v_cmp_ne_u16_sdwa s[16:17], v42, s9 src0_sel:BYTE_0 src1_sel:DWORD
	v_bfrev_b32_e32 v44, 1
	s_and_saveexec_b64 s[14:15], s[16:17]
	s_cbranch_execz .LBB644_376
; %bb.373:                              ;   in Loop: Header=BB644_215 Depth=1
	v_bfe_u32 v56, v40, 16, 7
	v_cmp_ne_u32_e32 vcc, s19, v56
	v_mov_b32_e32 v44, 0x7f800001
	s_and_saveexec_b64 s[16:17], vcc
	s_cbranch_execz .LBB644_375
; %bb.374:                              ;   in Loop: Header=BB644_215 Depth=1
	v_and_b32_e32 v44, 7, v42
	v_ffbh_u32_e32 v58, v44
	v_min_u32_e32 v61, 32, v58
	v_subrev_u32_e32 v58, 28, v61
	v_lshlrev_b64 v[58:59], v58, v[42:43]
	v_lshrrev_b32_e32 v60, 3, v56
	v_sub_u32_e32 v59, 29, v61
	v_and_b32_e32 v58, 7, v58
	v_cmp_gt_u32_e32 vcc, 8, v56
	v_cndmask_b32_e32 v56, v60, v59, vcc
	v_cndmask_b32_e32 v44, v44, v58, vcc
	v_lshlrev_b32_e32 v42, 24, v42
	v_lshlrev_b32_e32 v44, 20, v44
	v_and_b32_e32 v42, 0x80000000, v42
	v_lshl_add_u32 v56, v56, 23, v55
	v_or3_b32 v44, v42, v56, v44
.LBB644_375:                            ;   in Loop: Header=BB644_215 Depth=1
	s_or_b64 exec, exec, s[16:17]
.LBB644_376:                            ;   in Loop: Header=BB644_215 Depth=1
	s_or_b64 exec, exec, s[14:15]
.LBB644_377:                            ;   in Loop: Header=BB644_215 Depth=1
	s_or_b64 exec, exec, s[12:13]
	v_cmp_lt_u32_e32 vcc, s20, v40
	v_mov_b32_e32 v58, 0
	v_mov_b32_e32 v59, 0
	s_and_saveexec_b64 s[12:13], vcc
	s_cbranch_execz .LBB644_383
; %bb.378:                              ;   in Loop: Header=BB644_215 Depth=1
	v_lshrrev_b32_e32 v42, 24, v40
	v_cmp_ne_u32_e32 vcc, s9, v42
	v_bfrev_b32_e32 v59, 1
	s_and_saveexec_b64 s[14:15], vcc
	s_cbranch_execz .LBB644_382
; %bb.379:                              ;   in Loop: Header=BB644_215 Depth=1
	v_bfe_u32 v40, v40, 24, 7
	v_cmp_ne_u32_e32 vcc, s19, v40
	v_mov_b32_e32 v59, 0x7f800001
	s_and_saveexec_b64 s[16:17], vcc
	s_cbranch_execz .LBB644_381
; %bb.380:                              ;   in Loop: Header=BB644_215 Depth=1
	v_and_b32_e32 v56, 7, v42
	v_ffbh_u32_e32 v60, v56
	v_min_u32_e32 v62, 32, v60
	v_subrev_u32_e32 v60, 28, v62
	v_lshlrev_b64 v[60:61], v60, v[42:43]
	v_lshrrev_b32_e32 v59, 3, v40
	v_sub_u32_e32 v61, 29, v62
	v_and_b32_e32 v60, 7, v60
	v_cmp_gt_u32_e32 vcc, 8, v40
	v_cndmask_b32_e32 v40, v59, v61, vcc
	v_cndmask_b32_e32 v56, v56, v60, vcc
	v_lshlrev_b32_e32 v42, 24, v42
	v_lshlrev_b32_e32 v56, 20, v56
	v_and_b32_e32 v42, 0x80000000, v42
	v_lshl_add_u32 v40, v40, 23, v55
	v_or3_b32 v59, v42, v40, v56
.LBB644_381:                            ;   in Loop: Header=BB644_215 Depth=1
	s_or_b64 exec, exec, s[16:17]
.LBB644_382:                            ;   in Loop: Header=BB644_215 Depth=1
	s_or_b64 exec, exec, s[14:15]
.LBB644_383:                            ;   in Loop: Header=BB644_215 Depth=1
	s_or_b64 exec, exec, s[12:13]
	s_waitcnt vmcnt(0)
	v_cmp_ne_u16_sdwa s[14:15], v38, v54 src0_sel:BYTE_0 src1_sel:DWORD
	s_and_saveexec_b64 s[12:13], s[14:15]
	s_cbranch_execz .LBB644_389
; %bb.384:                              ;   in Loop: Header=BB644_215 Depth=1
	v_cmp_ne_u16_sdwa s[16:17], v38, s9 src0_sel:BYTE_0 src1_sel:DWORD
	v_bfrev_b32_e32 v58, 1
	s_and_saveexec_b64 s[14:15], s[16:17]
	s_cbranch_execz .LBB644_388
; %bb.385:                              ;   in Loop: Header=BB644_215 Depth=1
	v_and_b32_e32 v40, 0x7f, v38
	v_cmp_ne_u32_e32 vcc, s19, v40
	v_mov_b32_e32 v58, 0x7f800001
	s_and_saveexec_b64 s[16:17], vcc
	s_cbranch_execz .LBB644_387
; %bb.386:                              ;   in Loop: Header=BB644_215 Depth=1
	v_and_b32_e32 v42, 7, v38
	v_ffbh_u32_e32 v58, v42
	v_min_u32_e32 v58, 32, v58
	v_subrev_u32_e32 v60, 28, v58
	v_lshlrev_b64 v[60:61], v60, v[38:39]
	v_lshrrev_b32_e32 v56, 3, v40
	v_sub_u32_e32 v58, 29, v58
	v_and_b32_e32 v60, 7, v60
	v_cmp_gt_u32_e32 vcc, 8, v40
	v_cndmask_b32_e32 v40, v56, v58, vcc
	v_cndmask_b32_e32 v42, v42, v60, vcc
	v_lshlrev_b32_e32 v56, 24, v38
	v_lshlrev_b32_e32 v42, 20, v42
	v_and_b32_e32 v56, 0x80000000, v56
	v_lshl_add_u32 v40, v40, 23, v55
	v_or3_b32 v58, v56, v40, v42
.LBB644_387:                            ;   in Loop: Header=BB644_215 Depth=1
	s_or_b64 exec, exec, s[16:17]
.LBB644_388:                            ;   in Loop: Header=BB644_215 Depth=1
	s_or_b64 exec, exec, s[14:15]
.LBB644_389:                            ;   in Loop: Header=BB644_215 Depth=1
	s_or_b64 exec, exec, s[12:13]
	v_lshrrev_b16_e32 v40, 8, v38
	v_cmp_ne_u16_e32 vcc, 0, v40
	v_mov_b32_e32 v60, 0
	v_mov_b32_e32 v61, 0
	s_and_saveexec_b64 s[12:13], vcc
	s_cbranch_execz .LBB644_395
; %bb.390:                              ;   in Loop: Header=BB644_215 Depth=1
	v_cmp_ne_u16_e32 vcc, s9, v40
	v_bfrev_b32_e32 v61, 1
	s_and_saveexec_b64 s[14:15], vcc
	s_cbranch_execz .LBB644_394
; %bb.391:                              ;   in Loop: Header=BB644_215 Depth=1
	v_and_b32_e32 v42, 0x7f, v40
	v_cmp_ne_u32_e32 vcc, s19, v42
	v_mov_b32_e32 v61, 0x7f800001
	s_and_saveexec_b64 s[16:17], vcc
	s_cbranch_execz .LBB644_393
; %bb.392:                              ;   in Loop: Header=BB644_215 Depth=1
	v_and_b32_e32 v56, 7, v40
	v_ffbh_u32_e32 v62, v56
	v_min_u32_e32 v64, 32, v62
	v_subrev_u32_e32 v62, 28, v64
	v_lshlrev_b64 v[62:63], v62, v[40:41]
	v_lshrrev_b32_e32 v61, 3, v42
	v_sub_u32_e32 v40, 29, v64
	v_and_b32_e32 v62, 7, v62
	v_cmp_gt_u32_e32 vcc, 8, v42
	v_cndmask_b32_e32 v40, v61, v40, vcc
	v_cndmask_b32_e32 v42, v56, v62, vcc
	v_lshlrev_b32_e32 v56, 16, v38
	v_lshlrev_b32_e32 v42, 20, v42
	v_and_b32_e32 v56, 0x80000000, v56
	v_lshl_add_u32 v40, v40, 23, v55
	v_or3_b32 v61, v56, v40, v42
.LBB644_393:                            ;   in Loop: Header=BB644_215 Depth=1
	s_or_b64 exec, exec, s[16:17]
.LBB644_394:                            ;   in Loop: Header=BB644_215 Depth=1
	s_or_b64 exec, exec, s[14:15]
.LBB644_395:                            ;   in Loop: Header=BB644_215 Depth=1
	s_or_b64 exec, exec, s[12:13]
	v_lshrrev_b32_e32 v40, 16, v38
	v_cmp_ne_u16_sdwa s[14:15], v40, v54 src0_sel:BYTE_0 src1_sel:DWORD
	s_and_saveexec_b64 s[12:13], s[14:15]
	s_cbranch_execz .LBB644_401
; %bb.396:                              ;   in Loop: Header=BB644_215 Depth=1
	v_cmp_ne_u16_sdwa s[16:17], v40, s9 src0_sel:BYTE_0 src1_sel:DWORD
	v_bfrev_b32_e32 v60, 1
	s_and_saveexec_b64 s[14:15], s[16:17]
	s_cbranch_execz .LBB644_400
; %bb.397:                              ;   in Loop: Header=BB644_215 Depth=1
	v_bfe_u32 v42, v38, 16, 7
	v_cmp_ne_u32_e32 vcc, s19, v42
	v_mov_b32_e32 v60, 0x7f800001
	s_and_saveexec_b64 s[16:17], vcc
	s_cbranch_execz .LBB644_399
; %bb.398:                              ;   in Loop: Header=BB644_215 Depth=1
	v_and_b32_e32 v56, 7, v40
	v_ffbh_u32_e32 v62, v56
	v_min_u32_e32 v64, 32, v62
	v_subrev_u32_e32 v62, 28, v64
	v_lshlrev_b64 v[62:63], v62, v[40:41]
	v_lshrrev_b32_e32 v60, 3, v42
	v_sub_u32_e32 v63, 29, v64
	v_and_b32_e32 v62, 7, v62
	v_cmp_gt_u32_e32 vcc, 8, v42
	v_cndmask_b32_e32 v42, v60, v63, vcc
	v_cndmask_b32_e32 v56, v56, v62, vcc
	v_lshlrev_b32_e32 v40, 24, v40
	v_lshlrev_b32_e32 v56, 20, v56
	v_and_b32_e32 v40, 0x80000000, v40
	v_lshl_add_u32 v42, v42, 23, v55
	v_or3_b32 v60, v40, v42, v56
.LBB644_399:                            ;   in Loop: Header=BB644_215 Depth=1
	s_or_b64 exec, exec, s[16:17]
.LBB644_400:                            ;   in Loop: Header=BB644_215 Depth=1
	s_or_b64 exec, exec, s[14:15]
.LBB644_401:                            ;   in Loop: Header=BB644_215 Depth=1
	s_or_b64 exec, exec, s[12:13]
	v_cmp_lt_u32_e32 vcc, s20, v38
	v_mov_b32_e32 v56, 0
	v_mov_b32_e32 v62, 0
	s_and_saveexec_b64 s[12:13], vcc
	s_cbranch_execz .LBB644_407
; %bb.402:                              ;   in Loop: Header=BB644_215 Depth=1
	v_lshrrev_b32_e32 v40, 24, v38
	v_cmp_ne_u32_e32 vcc, s9, v40
	v_bfrev_b32_e32 v62, 1
	s_and_saveexec_b64 s[14:15], vcc
	s_cbranch_execz .LBB644_406
; %bb.403:                              ;   in Loop: Header=BB644_215 Depth=1
	v_bfe_u32 v38, v38, 24, 7
	v_cmp_ne_u32_e32 vcc, s19, v38
	v_mov_b32_e32 v62, 0x7f800001
	s_and_saveexec_b64 s[16:17], vcc
	s_cbranch_execz .LBB644_405
; %bb.404:                              ;   in Loop: Header=BB644_215 Depth=1
	v_and_b32_e32 v42, 7, v40
	v_ffbh_u32_e32 v62, v42
	v_min_u32_e32 v65, 32, v62
	v_subrev_u32_e32 v62, 28, v65
	v_lshlrev_b64 v[62:63], v62, v[40:41]
	v_lshrrev_b32_e32 v64, 3, v38
	v_sub_u32_e32 v63, 29, v65
	v_and_b32_e32 v62, 7, v62
	v_cmp_gt_u32_e32 vcc, 8, v38
	v_cndmask_b32_e32 v38, v64, v63, vcc
	v_cndmask_b32_e32 v42, v42, v62, vcc
	v_lshlrev_b32_e32 v40, 24, v40
	v_lshlrev_b32_e32 v42, 20, v42
	v_and_b32_e32 v40, 0x80000000, v40
	v_lshl_add_u32 v38, v38, 23, v55
	v_or3_b32 v62, v40, v38, v42
.LBB644_405:                            ;   in Loop: Header=BB644_215 Depth=1
	s_or_b64 exec, exec, s[16:17]
.LBB644_406:                            ;   in Loop: Header=BB644_215 Depth=1
	s_or_b64 exec, exec, s[14:15]
.LBB644_407:                            ;   in Loop: Header=BB644_215 Depth=1
	s_or_b64 exec, exec, s[12:13]
	v_cvt_pkrtz_f16_f32 v65, v44, v59
	buffer_load_dword v44, v51, s[0:3], 0 offen
	buffer_load_dword v42, v51, s[0:3], 0 offen offset:4
	buffer_load_dword v40, v51, s[0:3], 0 offen offset:8
	buffer_load_dword v38, v51, s[0:3], 0 offen offset:12
	v_cvt_pkrtz_f16_f32 v64, v46, v57
	v_cvt_pkrtz_f16_f32 v58, v58, v61
	;; [unrolled: 1-line block ×3, first 2 shown]
	v_mfma_f32_16x16x16f16 v[34:37], v[64:65], v[14:15], v[34:37]
	s_waitcnt vmcnt(3)
	v_cmp_ne_u16_sdwa s[14:15], v44, v54 src0_sel:BYTE_0 src1_sel:DWORD
	v_mfma_f32_16x16x16f16 v[34:37], v[58:59], v[16:17], v[34:37]
	s_and_saveexec_b64 s[12:13], s[14:15]
	s_cbranch_execz .LBB644_413
; %bb.408:                              ;   in Loop: Header=BB644_215 Depth=1
	v_cmp_ne_u16_sdwa s[16:17], v44, s9 src0_sel:BYTE_0 src1_sel:DWORD
	v_bfrev_b32_e32 v56, 1
	s_and_saveexec_b64 s[14:15], s[16:17]
	s_cbranch_execz .LBB644_412
; %bb.409:                              ;   in Loop: Header=BB644_215 Depth=1
	v_and_b32_e32 v46, 0x7f, v44
	v_cmp_ne_u32_e32 vcc, s19, v46
	v_mov_b32_e32 v56, 0x7f800001
	s_and_saveexec_b64 s[16:17], vcc
	s_cbranch_execz .LBB644_411
; %bb.410:                              ;   in Loop: Header=BB644_215 Depth=1
	v_and_b32_e32 v51, 7, v44
	v_ffbh_u32_e32 v56, v51
	v_min_u32_e32 v59, 32, v56
	v_subrev_u32_e32 v56, 28, v59
	v_lshlrev_b64 v[56:57], v56, v[44:45]
	v_lshrrev_b32_e32 v58, 3, v46
	v_sub_u32_e32 v57, 29, v59
	v_and_b32_e32 v56, 7, v56
	v_cmp_gt_u32_e32 vcc, 8, v46
	v_cndmask_b32_e32 v46, v58, v57, vcc
	v_cndmask_b32_e32 v51, v51, v56, vcc
	v_lshlrev_b32_e32 v56, 24, v44
	v_lshlrev_b32_e32 v51, 20, v51
	v_and_b32_e32 v56, 0x80000000, v56
	v_lshl_add_u32 v46, v46, 23, v55
	v_or3_b32 v56, v56, v46, v51
.LBB644_411:                            ;   in Loop: Header=BB644_215 Depth=1
	s_or_b64 exec, exec, s[16:17]
.LBB644_412:                            ;   in Loop: Header=BB644_215 Depth=1
	s_or_b64 exec, exec, s[14:15]
.LBB644_413:                            ;   in Loop: Header=BB644_215 Depth=1
	s_or_b64 exec, exec, s[12:13]
	v_lshrrev_b16_e32 v46, 8, v44
	v_cmp_ne_u16_e32 vcc, 0, v46
	v_mov_b32_e32 v51, 0
	v_mov_b32_e32 v57, 0
	s_and_saveexec_b64 s[12:13], vcc
	s_cbranch_execz .LBB644_419
; %bb.414:                              ;   in Loop: Header=BB644_215 Depth=1
	v_cmp_ne_u16_e32 vcc, s9, v46
	v_bfrev_b32_e32 v57, 1
	s_and_saveexec_b64 s[14:15], vcc
	s_cbranch_execz .LBB644_418
; %bb.415:                              ;   in Loop: Header=BB644_215 Depth=1
	v_and_b32_e32 v58, 0x7f, v46
	v_cmp_ne_u32_e32 vcc, s19, v58
	v_mov_b32_e32 v57, 0x7f800001
	s_and_saveexec_b64 s[16:17], vcc
	s_cbranch_execz .LBB644_417
; %bb.416:                              ;   in Loop: Header=BB644_215 Depth=1
	v_and_b32_e32 v57, 7, v46
	v_ffbh_u32_e32 v60, v57
	v_min_u32_e32 v62, 32, v60
	v_subrev_u32_e32 v60, 28, v62
	v_lshlrev_b64 v[60:61], v60, v[46:47]
	v_lshrrev_b32_e32 v59, 3, v58
	v_sub_u32_e32 v46, 29, v62
	v_and_b32_e32 v60, 7, v60
	v_cmp_gt_u32_e32 vcc, 8, v58
	v_cndmask_b32_e32 v46, v59, v46, vcc
	v_cndmask_b32_e32 v57, v57, v60, vcc
	v_lshlrev_b32_e32 v58, 16, v44
	v_lshlrev_b32_e32 v57, 20, v57
	v_and_b32_e32 v58, 0x80000000, v58
	v_lshl_add_u32 v46, v46, 23, v55
	v_or3_b32 v57, v58, v46, v57
.LBB644_417:                            ;   in Loop: Header=BB644_215 Depth=1
	s_or_b64 exec, exec, s[16:17]
.LBB644_418:                            ;   in Loop: Header=BB644_215 Depth=1
	s_or_b64 exec, exec, s[14:15]
.LBB644_419:                            ;   in Loop: Header=BB644_215 Depth=1
	s_or_b64 exec, exec, s[12:13]
	v_lshrrev_b32_e32 v46, 16, v44
	v_cmp_ne_u16_sdwa s[14:15], v46, v54 src0_sel:BYTE_0 src1_sel:DWORD
	s_and_saveexec_b64 s[12:13], s[14:15]
	s_cbranch_execz .LBB644_425
; %bb.420:                              ;   in Loop: Header=BB644_215 Depth=1
	v_cmp_ne_u16_sdwa s[16:17], v46, s9 src0_sel:BYTE_0 src1_sel:DWORD
	v_bfrev_b32_e32 v51, 1
	s_and_saveexec_b64 s[14:15], s[16:17]
	s_cbranch_execz .LBB644_424
; %bb.421:                              ;   in Loop: Header=BB644_215 Depth=1
	v_bfe_u32 v58, v44, 16, 7
	v_cmp_ne_u32_e32 vcc, s19, v58
	v_mov_b32_e32 v51, 0x7f800001
	s_and_saveexec_b64 s[16:17], vcc
	s_cbranch_execz .LBB644_423
; %bb.422:                              ;   in Loop: Header=BB644_215 Depth=1
	v_and_b32_e32 v51, 7, v46
	v_ffbh_u32_e32 v60, v51
	v_min_u32_e32 v62, 32, v60
	v_subrev_u32_e32 v60, 28, v62
	v_lshlrev_b64 v[60:61], v60, v[46:47]
	v_lshrrev_b32_e32 v59, 3, v58
	v_sub_u32_e32 v61, 29, v62
	v_and_b32_e32 v60, 7, v60
	v_cmp_gt_u32_e32 vcc, 8, v58
	v_cndmask_b32_e32 v58, v59, v61, vcc
	v_cndmask_b32_e32 v51, v51, v60, vcc
	v_lshlrev_b32_e32 v46, 24, v46
	v_lshlrev_b32_e32 v51, 20, v51
	v_and_b32_e32 v46, 0x80000000, v46
	v_lshl_add_u32 v58, v58, 23, v55
	v_or3_b32 v51, v46, v58, v51
.LBB644_423:                            ;   in Loop: Header=BB644_215 Depth=1
	s_or_b64 exec, exec, s[16:17]
.LBB644_424:                            ;   in Loop: Header=BB644_215 Depth=1
	s_or_b64 exec, exec, s[14:15]
.LBB644_425:                            ;   in Loop: Header=BB644_215 Depth=1
	s_or_b64 exec, exec, s[12:13]
	v_cmp_lt_u32_e32 vcc, s20, v44
	v_mov_b32_e32 v58, 0
	v_mov_b32_e32 v59, 0
	s_and_saveexec_b64 s[12:13], vcc
	s_cbranch_execz .LBB644_431
; %bb.426:                              ;   in Loop: Header=BB644_215 Depth=1
	v_lshrrev_b32_e32 v46, 24, v44
	v_cmp_ne_u32_e32 vcc, s9, v46
	v_bfrev_b32_e32 v59, 1
	s_and_saveexec_b64 s[14:15], vcc
	s_cbranch_execz .LBB644_430
; %bb.427:                              ;   in Loop: Header=BB644_215 Depth=1
	v_bfe_u32 v44, v44, 24, 7
	v_cmp_ne_u32_e32 vcc, s19, v44
	v_mov_b32_e32 v59, 0x7f800001
	s_and_saveexec_b64 s[16:17], vcc
	s_cbranch_execz .LBB644_429
; %bb.428:                              ;   in Loop: Header=BB644_215 Depth=1
	v_and_b32_e32 v59, 7, v46
	v_ffbh_u32_e32 v60, v59
	v_min_u32_e32 v63, 32, v60
	v_subrev_u32_e32 v60, 28, v63
	v_lshlrev_b64 v[60:61], v60, v[46:47]
	v_lshrrev_b32_e32 v62, 3, v44
	v_sub_u32_e32 v61, 29, v63
	v_and_b32_e32 v60, 7, v60
	v_cmp_gt_u32_e32 vcc, 8, v44
	v_cndmask_b32_e32 v44, v62, v61, vcc
	v_cndmask_b32_e32 v59, v59, v60, vcc
	v_lshlrev_b32_e32 v46, 24, v46
	v_lshlrev_b32_e32 v59, 20, v59
	v_and_b32_e32 v46, 0x80000000, v46
	v_lshl_add_u32 v44, v44, 23, v55
	v_or3_b32 v59, v46, v44, v59
.LBB644_429:                            ;   in Loop: Header=BB644_215 Depth=1
	s_or_b64 exec, exec, s[16:17]
.LBB644_430:                            ;   in Loop: Header=BB644_215 Depth=1
	s_or_b64 exec, exec, s[14:15]
.LBB644_431:                            ;   in Loop: Header=BB644_215 Depth=1
	s_or_b64 exec, exec, s[12:13]
	s_waitcnt vmcnt(2)
	v_cmp_ne_u16_sdwa s[14:15], v42, v54 src0_sel:BYTE_0 src1_sel:DWORD
	s_and_saveexec_b64 s[12:13], s[14:15]
	s_cbranch_execz .LBB644_437
; %bb.432:                              ;   in Loop: Header=BB644_215 Depth=1
	v_cmp_ne_u16_sdwa s[16:17], v42, s9 src0_sel:BYTE_0 src1_sel:DWORD
	v_bfrev_b32_e32 v58, 1
	s_and_saveexec_b64 s[14:15], s[16:17]
	s_cbranch_execz .LBB644_436
; %bb.433:                              ;   in Loop: Header=BB644_215 Depth=1
	v_and_b32_e32 v44, 0x7f, v42
	v_cmp_ne_u32_e32 vcc, s19, v44
	v_mov_b32_e32 v58, 0x7f800001
	s_and_saveexec_b64 s[16:17], vcc
	s_cbranch_execz .LBB644_435
; %bb.434:                              ;   in Loop: Header=BB644_215 Depth=1
	v_and_b32_e32 v46, 7, v42
	v_ffbh_u32_e32 v60, v46
	v_min_u32_e32 v62, 32, v60
	v_subrev_u32_e32 v60, 28, v62
	v_lshlrev_b64 v[60:61], v60, v[42:43]
	v_lshrrev_b32_e32 v58, 3, v44
	v_sub_u32_e32 v61, 29, v62
	v_and_b32_e32 v60, 7, v60
	v_cmp_gt_u32_e32 vcc, 8, v44
	v_cndmask_b32_e32 v44, v58, v61, vcc
	v_cndmask_b32_e32 v46, v46, v60, vcc
	v_lshlrev_b32_e32 v58, 24, v42
	v_lshlrev_b32_e32 v46, 20, v46
	v_and_b32_e32 v58, 0x80000000, v58
	v_lshl_add_u32 v44, v44, 23, v55
	v_or3_b32 v58, v58, v44, v46
.LBB644_435:                            ;   in Loop: Header=BB644_215 Depth=1
	s_or_b64 exec, exec, s[16:17]
.LBB644_436:                            ;   in Loop: Header=BB644_215 Depth=1
	s_or_b64 exec, exec, s[14:15]
.LBB644_437:                            ;   in Loop: Header=BB644_215 Depth=1
	s_or_b64 exec, exec, s[12:13]
	v_lshrrev_b16_e32 v44, 8, v42
	v_cmp_ne_u16_e32 vcc, 0, v44
	v_mov_b32_e32 v60, 0
	v_mov_b32_e32 v61, 0
	s_and_saveexec_b64 s[12:13], vcc
	s_cbranch_execz .LBB644_443
; %bb.438:                              ;   in Loop: Header=BB644_215 Depth=1
	v_cmp_ne_u16_e32 vcc, s9, v44
	v_bfrev_b32_e32 v61, 1
	s_and_saveexec_b64 s[14:15], vcc
	s_cbranch_execz .LBB644_442
; %bb.439:                              ;   in Loop: Header=BB644_215 Depth=1
	v_and_b32_e32 v46, 0x7f, v44
	v_cmp_ne_u32_e32 vcc, s19, v46
	v_mov_b32_e32 v61, 0x7f800001
	s_and_saveexec_b64 s[16:17], vcc
	s_cbranch_execz .LBB644_441
; %bb.440:                              ;   in Loop: Header=BB644_215 Depth=1
	v_and_b32_e32 v61, 7, v44
	v_ffbh_u32_e32 v62, v61
	v_min_u32_e32 v65, 32, v62
	v_subrev_u32_e32 v62, 28, v65
	v_lshlrev_b64 v[62:63], v62, v[44:45]
	v_lshrrev_b32_e32 v64, 3, v46
	v_sub_u32_e32 v44, 29, v65
	v_and_b32_e32 v62, 7, v62
	v_cmp_gt_u32_e32 vcc, 8, v46
	v_cndmask_b32_e32 v44, v64, v44, vcc
	v_cndmask_b32_e32 v46, v61, v62, vcc
	v_lshlrev_b32_e32 v61, 16, v42
	v_lshlrev_b32_e32 v46, 20, v46
	v_and_b32_e32 v61, 0x80000000, v61
	v_lshl_add_u32 v44, v44, 23, v55
	v_or3_b32 v61, v61, v44, v46
.LBB644_441:                            ;   in Loop: Header=BB644_215 Depth=1
	s_or_b64 exec, exec, s[16:17]
.LBB644_442:                            ;   in Loop: Header=BB644_215 Depth=1
	s_or_b64 exec, exec, s[14:15]
.LBB644_443:                            ;   in Loop: Header=BB644_215 Depth=1
	s_or_b64 exec, exec, s[12:13]
	v_lshrrev_b32_e32 v44, 16, v42
	v_cmp_ne_u16_sdwa s[14:15], v44, v54 src0_sel:BYTE_0 src1_sel:DWORD
	s_and_saveexec_b64 s[12:13], s[14:15]
	s_cbranch_execz .LBB644_449
; %bb.444:                              ;   in Loop: Header=BB644_215 Depth=1
	v_cmp_ne_u16_sdwa s[16:17], v44, s9 src0_sel:BYTE_0 src1_sel:DWORD
	v_bfrev_b32_e32 v60, 1
	s_and_saveexec_b64 s[14:15], s[16:17]
	s_cbranch_execz .LBB644_448
; %bb.445:                              ;   in Loop: Header=BB644_215 Depth=1
	v_bfe_u32 v46, v42, 16, 7
	v_cmp_ne_u32_e32 vcc, s19, v46
	v_mov_b32_e32 v60, 0x7f800001
	s_and_saveexec_b64 s[16:17], vcc
	s_cbranch_execz .LBB644_447
; %bb.446:                              ;   in Loop: Header=BB644_215 Depth=1
	v_and_b32_e32 v60, 7, v44
	v_ffbh_u32_e32 v62, v60
	v_min_u32_e32 v65, 32, v62
	v_subrev_u32_e32 v62, 28, v65
	v_lshlrev_b64 v[62:63], v62, v[44:45]
	v_lshrrev_b32_e32 v64, 3, v46
	v_sub_u32_e32 v63, 29, v65
	v_and_b32_e32 v62, 7, v62
	v_cmp_gt_u32_e32 vcc, 8, v46
	v_cndmask_b32_e32 v46, v64, v63, vcc
	v_cndmask_b32_e32 v60, v60, v62, vcc
	v_lshlrev_b32_e32 v44, 24, v44
	v_lshlrev_b32_e32 v60, 20, v60
	v_and_b32_e32 v44, 0x80000000, v44
	v_lshl_add_u32 v46, v46, 23, v55
	v_or3_b32 v60, v44, v46, v60
.LBB644_447:                            ;   in Loop: Header=BB644_215 Depth=1
	s_or_b64 exec, exec, s[16:17]
.LBB644_448:                            ;   in Loop: Header=BB644_215 Depth=1
	s_or_b64 exec, exec, s[14:15]
.LBB644_449:                            ;   in Loop: Header=BB644_215 Depth=1
	s_or_b64 exec, exec, s[12:13]
	v_cmp_lt_u32_e32 vcc, s20, v42
	v_mov_b32_e32 v46, 0
	v_mov_b32_e32 v62, 0
	s_and_saveexec_b64 s[12:13], vcc
	s_cbranch_execz .LBB644_455
; %bb.450:                              ;   in Loop: Header=BB644_215 Depth=1
	v_lshrrev_b32_e32 v44, 24, v42
	v_cmp_ne_u32_e32 vcc, s9, v44
	v_bfrev_b32_e32 v62, 1
	s_and_saveexec_b64 s[14:15], vcc
	s_cbranch_execz .LBB644_454
; %bb.451:                              ;   in Loop: Header=BB644_215 Depth=1
	v_bfe_u32 v42, v42, 24, 7
	v_cmp_ne_u32_e32 vcc, s19, v42
	v_mov_b32_e32 v62, 0x7f800001
	s_and_saveexec_b64 s[16:17], vcc
	s_cbranch_execz .LBB644_453
; %bb.452:                              ;   in Loop: Header=BB644_215 Depth=1
	v_and_b32_e32 v64, 7, v44
	v_ffbh_u32_e32 v62, v64
	v_min_u32_e32 v66, 32, v62
	v_subrev_u32_e32 v62, 28, v66
	v_lshlrev_b64 v[62:63], v62, v[44:45]
	v_lshrrev_b32_e32 v65, 3, v42
	v_sub_u32_e32 v63, 29, v66
	v_and_b32_e32 v62, 7, v62
	v_cmp_gt_u32_e32 vcc, 8, v42
	v_cndmask_b32_e32 v42, v65, v63, vcc
	v_cndmask_b32_e32 v62, v64, v62, vcc
	v_lshlrev_b32_e32 v44, 24, v44
	v_lshlrev_b32_e32 v62, 20, v62
	v_and_b32_e32 v44, 0x80000000, v44
	v_lshl_add_u32 v42, v42, 23, v55
	v_or3_b32 v62, v44, v42, v62
.LBB644_453:                            ;   in Loop: Header=BB644_215 Depth=1
	s_or_b64 exec, exec, s[16:17]
.LBB644_454:                            ;   in Loop: Header=BB644_215 Depth=1
	s_or_b64 exec, exec, s[14:15]
.LBB644_455:                            ;   in Loop: Header=BB644_215 Depth=1
	s_or_b64 exec, exec, s[12:13]
	v_cvt_pkrtz_f16_f32 v56, v56, v57
	v_cvt_pkrtz_f16_f32 v57, v51, v59
	s_waitcnt vmcnt(1)
	v_cmp_ne_u16_sdwa s[14:15], v40, v54 src0_sel:BYTE_0 src1_sel:DWORD
	v_mfma_f32_16x16x16f16 v[34:37], v[56:57], v[18:19], v[34:37]
	v_cvt_pkrtz_f16_f32 v56, v58, v61
	v_cvt_pkrtz_f16_f32 v57, v60, v62
	s_nop 1
	v_mfma_f32_16x16x16f16 v[34:37], v[56:57], v[20:21], v[34:37]
	s_and_saveexec_b64 s[12:13], s[14:15]
	s_cbranch_execz .LBB644_461
; %bb.456:                              ;   in Loop: Header=BB644_215 Depth=1
	v_cmp_ne_u16_sdwa s[16:17], v40, s9 src0_sel:BYTE_0 src1_sel:DWORD
	v_bfrev_b32_e32 v46, 1
	s_and_saveexec_b64 s[14:15], s[16:17]
	s_cbranch_execz .LBB644_460
; %bb.457:                              ;   in Loop: Header=BB644_215 Depth=1
	v_and_b32_e32 v42, 0x7f, v40
	v_cmp_ne_u32_e32 vcc, s19, v42
	v_mov_b32_e32 v46, 0x7f800001
	s_and_saveexec_b64 s[16:17], vcc
	s_cbranch_execz .LBB644_459
; %bb.458:                              ;   in Loop: Header=BB644_215 Depth=1
	v_and_b32_e32 v44, 7, v40
	v_ffbh_u32_e32 v51, v44
	v_min_u32_e32 v51, 32, v51
	v_subrev_u32_e32 v56, 28, v51
	v_lshlrev_b64 v[56:57], v56, v[40:41]
	v_lshrrev_b32_e32 v46, 3, v42
	v_sub_u32_e32 v51, 29, v51
	v_and_b32_e32 v56, 7, v56
	v_cmp_gt_u32_e32 vcc, 8, v42
	v_cndmask_b32_e32 v42, v46, v51, vcc
	v_cndmask_b32_e32 v44, v44, v56, vcc
	v_lshlrev_b32_e32 v46, 24, v40
	v_lshlrev_b32_e32 v44, 20, v44
	v_and_b32_e32 v46, 0x80000000, v46
	v_lshl_add_u32 v42, v42, 23, v55
	v_or3_b32 v46, v46, v42, v44
.LBB644_459:                            ;   in Loop: Header=BB644_215 Depth=1
	s_or_b64 exec, exec, s[16:17]
.LBB644_460:                            ;   in Loop: Header=BB644_215 Depth=1
	s_or_b64 exec, exec, s[14:15]
.LBB644_461:                            ;   in Loop: Header=BB644_215 Depth=1
	s_or_b64 exec, exec, s[12:13]
	v_lshrrev_b16_e32 v42, 8, v40
	v_cmp_ne_u16_e32 vcc, 0, v42
	v_mov_b32_e32 v44, 0
	v_mov_b32_e32 v56, 0
	s_and_saveexec_b64 s[12:13], vcc
	s_cbranch_execz .LBB644_467
; %bb.462:                              ;   in Loop: Header=BB644_215 Depth=1
	v_cmp_ne_u16_e32 vcc, s9, v42
	v_bfrev_b32_e32 v56, 1
	s_and_saveexec_b64 s[14:15], vcc
	s_cbranch_execz .LBB644_466
; %bb.463:                              ;   in Loop: Header=BB644_215 Depth=1
	v_and_b32_e32 v51, 0x7f, v42
	v_cmp_ne_u32_e32 vcc, s19, v51
	v_mov_b32_e32 v56, 0x7f800001
	s_and_saveexec_b64 s[16:17], vcc
	s_cbranch_execz .LBB644_465
; %bb.464:                              ;   in Loop: Header=BB644_215 Depth=1
	v_and_b32_e32 v58, 7, v42
	v_ffbh_u32_e32 v56, v58
	v_min_u32_e32 v60, 32, v56
	v_subrev_u32_e32 v56, 28, v60
	v_lshlrev_b64 v[56:57], v56, v[42:43]
	v_lshrrev_b32_e32 v59, 3, v51
	v_sub_u32_e32 v42, 29, v60
	v_and_b32_e32 v56, 7, v56
	v_cmp_gt_u32_e32 vcc, 8, v51
	v_cndmask_b32_e32 v42, v59, v42, vcc
	v_cndmask_b32_e32 v51, v58, v56, vcc
	v_lshlrev_b32_e32 v56, 16, v40
	v_lshlrev_b32_e32 v51, 20, v51
	v_and_b32_e32 v56, 0x80000000, v56
	v_lshl_add_u32 v42, v42, 23, v55
	v_or3_b32 v56, v56, v42, v51
.LBB644_465:                            ;   in Loop: Header=BB644_215 Depth=1
	s_or_b64 exec, exec, s[16:17]
.LBB644_466:                            ;   in Loop: Header=BB644_215 Depth=1
	s_or_b64 exec, exec, s[14:15]
.LBB644_467:                            ;   in Loop: Header=BB644_215 Depth=1
	s_or_b64 exec, exec, s[12:13]
	v_lshrrev_b32_e32 v42, 16, v40
	v_cmp_ne_u16_sdwa s[14:15], v42, v54 src0_sel:BYTE_0 src1_sel:DWORD
	s_and_saveexec_b64 s[12:13], s[14:15]
	s_cbranch_execz .LBB644_473
; %bb.468:                              ;   in Loop: Header=BB644_215 Depth=1
	v_cmp_ne_u16_sdwa s[16:17], v42, s9 src0_sel:BYTE_0 src1_sel:DWORD
	v_bfrev_b32_e32 v44, 1
	s_and_saveexec_b64 s[14:15], s[16:17]
	s_cbranch_execz .LBB644_472
; %bb.469:                              ;   in Loop: Header=BB644_215 Depth=1
	v_bfe_u32 v51, v40, 16, 7
	v_cmp_ne_u32_e32 vcc, s19, v51
	v_mov_b32_e32 v44, 0x7f800001
	s_and_saveexec_b64 s[16:17], vcc
	s_cbranch_execz .LBB644_471
; %bb.470:                              ;   in Loop: Header=BB644_215 Depth=1
	v_and_b32_e32 v44, 7, v42
	v_ffbh_u32_e32 v58, v44
	v_min_u32_e32 v60, 32, v58
	v_subrev_u32_e32 v58, 28, v60
	v_lshlrev_b64 v[58:59], v58, v[42:43]
	v_lshrrev_b32_e32 v57, 3, v51
	v_sub_u32_e32 v59, 29, v60
	v_and_b32_e32 v58, 7, v58
	v_cmp_gt_u32_e32 vcc, 8, v51
	v_cndmask_b32_e32 v51, v57, v59, vcc
	v_cndmask_b32_e32 v44, v44, v58, vcc
	v_lshlrev_b32_e32 v42, 24, v42
	v_lshlrev_b32_e32 v44, 20, v44
	v_and_b32_e32 v42, 0x80000000, v42
	v_lshl_add_u32 v51, v51, 23, v55
	v_or3_b32 v44, v42, v51, v44
.LBB644_471:                            ;   in Loop: Header=BB644_215 Depth=1
	s_or_b64 exec, exec, s[16:17]
.LBB644_472:                            ;   in Loop: Header=BB644_215 Depth=1
	s_or_b64 exec, exec, s[14:15]
.LBB644_473:                            ;   in Loop: Header=BB644_215 Depth=1
	s_or_b64 exec, exec, s[12:13]
	v_cmp_lt_u32_e32 vcc, s20, v40
	v_mov_b32_e32 v57, 0
	v_mov_b32_e32 v58, 0
	s_and_saveexec_b64 s[12:13], vcc
	s_cbranch_execz .LBB644_479
; %bb.474:                              ;   in Loop: Header=BB644_215 Depth=1
	v_lshrrev_b32_e32 v42, 24, v40
	v_cmp_ne_u32_e32 vcc, s9, v42
	v_bfrev_b32_e32 v58, 1
	s_and_saveexec_b64 s[14:15], vcc
	s_cbranch_execz .LBB644_478
; %bb.475:                              ;   in Loop: Header=BB644_215 Depth=1
	v_bfe_u32 v40, v40, 24, 7
	v_cmp_ne_u32_e32 vcc, s19, v40
	v_mov_b32_e32 v58, 0x7f800001
	s_and_saveexec_b64 s[16:17], vcc
	s_cbranch_execz .LBB644_477
; %bb.476:                              ;   in Loop: Header=BB644_215 Depth=1
	v_and_b32_e32 v51, 7, v42
	v_ffbh_u32_e32 v58, v51
	v_min_u32_e32 v61, 32, v58
	v_subrev_u32_e32 v58, 28, v61
	v_lshlrev_b64 v[58:59], v58, v[42:43]
	v_lshrrev_b32_e32 v60, 3, v40
	v_sub_u32_e32 v59, 29, v61
	v_and_b32_e32 v58, 7, v58
	v_cmp_gt_u32_e32 vcc, 8, v40
	v_cndmask_b32_e32 v40, v60, v59, vcc
	v_cndmask_b32_e32 v51, v51, v58, vcc
	v_lshlrev_b32_e32 v42, 24, v42
	v_lshlrev_b32_e32 v51, 20, v51
	v_and_b32_e32 v42, 0x80000000, v42
	v_lshl_add_u32 v40, v40, 23, v55
	v_or3_b32 v58, v42, v40, v51
.LBB644_477:                            ;   in Loop: Header=BB644_215 Depth=1
	s_or_b64 exec, exec, s[16:17]
.LBB644_478:                            ;   in Loop: Header=BB644_215 Depth=1
	s_or_b64 exec, exec, s[14:15]
.LBB644_479:                            ;   in Loop: Header=BB644_215 Depth=1
	s_or_b64 exec, exec, s[12:13]
	s_waitcnt vmcnt(0)
	v_cmp_ne_u16_sdwa s[14:15], v38, v54 src0_sel:BYTE_0 src1_sel:DWORD
	s_and_saveexec_b64 s[12:13], s[14:15]
	s_cbranch_execz .LBB644_485
; %bb.480:                              ;   in Loop: Header=BB644_215 Depth=1
	v_cmp_ne_u16_sdwa s[16:17], v38, s9 src0_sel:BYTE_0 src1_sel:DWORD
	v_bfrev_b32_e32 v57, 1
	s_and_saveexec_b64 s[14:15], s[16:17]
	s_cbranch_execz .LBB644_484
; %bb.481:                              ;   in Loop: Header=BB644_215 Depth=1
	v_and_b32_e32 v40, 0x7f, v38
	v_cmp_ne_u32_e32 vcc, s19, v40
	v_mov_b32_e32 v57, 0x7f800001
	s_and_saveexec_b64 s[16:17], vcc
	s_cbranch_execz .LBB644_483
; %bb.482:                              ;   in Loop: Header=BB644_215 Depth=1
	v_and_b32_e32 v42, 7, v38
	v_ffbh_u32_e32 v57, v42
	v_min_u32_e32 v57, 32, v57
	v_subrev_u32_e32 v59, 28, v57
	v_lshlrev_b64 v[60:61], v59, v[38:39]
	v_lshrrev_b32_e32 v51, 3, v40
	v_sub_u32_e32 v57, 29, v57
	v_and_b32_e32 v59, 7, v60
	v_cmp_gt_u32_e32 vcc, 8, v40
	v_cndmask_b32_e32 v40, v51, v57, vcc
	v_cndmask_b32_e32 v42, v42, v59, vcc
	v_lshlrev_b32_e32 v51, 24, v38
	v_lshlrev_b32_e32 v42, 20, v42
	v_and_b32_e32 v51, 0x80000000, v51
	v_lshl_add_u32 v40, v40, 23, v55
	v_or3_b32 v57, v51, v40, v42
.LBB644_483:                            ;   in Loop: Header=BB644_215 Depth=1
	s_or_b64 exec, exec, s[16:17]
.LBB644_484:                            ;   in Loop: Header=BB644_215 Depth=1
	s_or_b64 exec, exec, s[14:15]
.LBB644_485:                            ;   in Loop: Header=BB644_215 Depth=1
	s_or_b64 exec, exec, s[12:13]
	v_lshrrev_b16_e32 v40, 8, v38
	v_cmp_ne_u16_e32 vcc, 0, v40
	v_mov_b32_e32 v59, 0
	v_mov_b32_e32 v60, 0
	s_and_saveexec_b64 s[12:13], vcc
	s_cbranch_execz .LBB644_491
; %bb.486:                              ;   in Loop: Header=BB644_215 Depth=1
	v_cmp_ne_u16_e32 vcc, s9, v40
	v_bfrev_b32_e32 v60, 1
	s_and_saveexec_b64 s[14:15], vcc
	s_cbranch_execz .LBB644_490
; %bb.487:                              ;   in Loop: Header=BB644_215 Depth=1
	v_and_b32_e32 v42, 0x7f, v40
	v_cmp_ne_u32_e32 vcc, s19, v42
	v_mov_b32_e32 v60, 0x7f800001
	s_and_saveexec_b64 s[16:17], vcc
	s_cbranch_execz .LBB644_489
; %bb.488:                              ;   in Loop: Header=BB644_215 Depth=1
	v_and_b32_e32 v51, 7, v40
	v_ffbh_u32_e32 v60, v51
	v_min_u32_e32 v63, 32, v60
	v_subrev_u32_e32 v60, 28, v63
	v_lshlrev_b64 v[60:61], v60, v[40:41]
	v_lshrrev_b32_e32 v62, 3, v42
	v_sub_u32_e32 v40, 29, v63
	v_and_b32_e32 v60, 7, v60
	v_cmp_gt_u32_e32 vcc, 8, v42
	v_cndmask_b32_e32 v40, v62, v40, vcc
	v_cndmask_b32_e32 v42, v51, v60, vcc
	v_lshlrev_b32_e32 v51, 16, v38
	v_lshlrev_b32_e32 v42, 20, v42
	v_and_b32_e32 v51, 0x80000000, v51
	v_lshl_add_u32 v40, v40, 23, v55
	v_or3_b32 v60, v51, v40, v42
.LBB644_489:                            ;   in Loop: Header=BB644_215 Depth=1
	s_or_b64 exec, exec, s[16:17]
.LBB644_490:                            ;   in Loop: Header=BB644_215 Depth=1
	s_or_b64 exec, exec, s[14:15]
.LBB644_491:                            ;   in Loop: Header=BB644_215 Depth=1
	s_or_b64 exec, exec, s[12:13]
	v_lshrrev_b32_e32 v40, 16, v38
	v_cmp_ne_u16_sdwa s[14:15], v40, v54 src0_sel:BYTE_0 src1_sel:DWORD
	s_and_saveexec_b64 s[12:13], s[14:15]
	s_cbranch_execz .LBB644_497
; %bb.492:                              ;   in Loop: Header=BB644_215 Depth=1
	v_cmp_ne_u16_sdwa s[16:17], v40, s9 src0_sel:BYTE_0 src1_sel:DWORD
	v_bfrev_b32_e32 v59, 1
	s_and_saveexec_b64 s[14:15], s[16:17]
	s_cbranch_execz .LBB644_496
; %bb.493:                              ;   in Loop: Header=BB644_215 Depth=1
	v_bfe_u32 v42, v38, 16, 7
	v_cmp_ne_u32_e32 vcc, s19, v42
	v_mov_b32_e32 v59, 0x7f800001
	s_and_saveexec_b64 s[16:17], vcc
	s_cbranch_execz .LBB644_495
; %bb.494:                              ;   in Loop: Header=BB644_215 Depth=1
	v_and_b32_e32 v51, 7, v40
	v_ffbh_u32_e32 v61, v51
	v_min_u32_e32 v61, 32, v61
	v_subrev_u32_e32 v62, 28, v61
	v_lshlrev_b64 v[62:63], v62, v[40:41]
	v_lshrrev_b32_e32 v59, 3, v42
	v_sub_u32_e32 v61, 29, v61
	v_and_b32_e32 v62, 7, v62
	v_cmp_gt_u32_e32 vcc, 8, v42
	v_cndmask_b32_e32 v42, v59, v61, vcc
	v_cndmask_b32_e32 v51, v51, v62, vcc
	v_lshlrev_b32_e32 v40, 24, v40
	v_lshlrev_b32_e32 v51, 20, v51
	v_and_b32_e32 v40, 0x80000000, v40
	v_lshl_add_u32 v42, v42, 23, v55
	v_or3_b32 v59, v40, v42, v51
.LBB644_495:                            ;   in Loop: Header=BB644_215 Depth=1
	s_or_b64 exec, exec, s[16:17]
.LBB644_496:                            ;   in Loop: Header=BB644_215 Depth=1
	s_or_b64 exec, exec, s[14:15]
.LBB644_497:                            ;   in Loop: Header=BB644_215 Depth=1
	s_or_b64 exec, exec, s[12:13]
	v_cmp_lt_u32_e32 vcc, s20, v38
	v_mov_b32_e32 v51, 0
	v_mov_b32_e32 v61, 0
	s_and_saveexec_b64 s[12:13], vcc
	s_cbranch_execz .LBB644_503
; %bb.498:                              ;   in Loop: Header=BB644_215 Depth=1
	v_lshrrev_b32_e32 v40, 24, v38
	v_cmp_ne_u32_e32 vcc, s9, v40
	v_bfrev_b32_e32 v61, 1
	s_and_saveexec_b64 s[14:15], vcc
	s_cbranch_execz .LBB644_502
; %bb.499:                              ;   in Loop: Header=BB644_215 Depth=1
	v_bfe_u32 v38, v38, 24, 7
	v_cmp_ne_u32_e32 vcc, s19, v38
	v_mov_b32_e32 v61, 0x7f800001
	s_and_saveexec_b64 s[16:17], vcc
	s_cbranch_execz .LBB644_501
; %bb.500:                              ;   in Loop: Header=BB644_215 Depth=1
	v_and_b32_e32 v42, 7, v40
	v_ffbh_u32_e32 v62, v42
	v_min_u32_e32 v64, 32, v62
	v_subrev_u32_e32 v62, 28, v64
	v_lshlrev_b64 v[62:63], v62, v[40:41]
	v_lshrrev_b32_e32 v61, 3, v38
	v_sub_u32_e32 v63, 29, v64
	v_and_b32_e32 v62, 7, v62
	v_cmp_gt_u32_e32 vcc, 8, v38
	v_cndmask_b32_e32 v38, v61, v63, vcc
	v_cndmask_b32_e32 v42, v42, v62, vcc
	v_lshlrev_b32_e32 v40, 24, v40
	v_lshlrev_b32_e32 v42, 20, v42
	v_and_b32_e32 v40, 0x80000000, v40
	v_lshl_add_u32 v38, v38, 23, v55
	v_or3_b32 v61, v40, v38, v42
.LBB644_501:                            ;   in Loop: Header=BB644_215 Depth=1
	s_or_b64 exec, exec, s[16:17]
.LBB644_502:                            ;   in Loop: Header=BB644_215 Depth=1
	s_or_b64 exec, exec, s[14:15]
.LBB644_503:                            ;   in Loop: Header=BB644_215 Depth=1
	s_or_b64 exec, exec, s[12:13]
	v_cvt_pkrtz_f16_f32 v63, v44, v58
	buffer_load_dword v44, v50, s[0:3], 0 offen
	buffer_load_dword v42, v50, s[0:3], 0 offen offset:4
	buffer_load_dword v40, v50, s[0:3], 0 offen offset:8
	;; [unrolled: 1-line block ×3, first 2 shown]
	v_cvt_pkrtz_f16_f32 v62, v46, v56
	v_cvt_pkrtz_f16_f32 v56, v57, v60
	v_cvt_pkrtz_f16_f32 v57, v59, v61
	v_mfma_f32_16x16x16f16 v[34:37], v[62:63], v[22:23], v[34:37]
	s_waitcnt vmcnt(3)
	v_cmp_ne_u16_sdwa s[14:15], v44, v54 src0_sel:BYTE_0 src1_sel:DWORD
	v_mfma_f32_16x16x16f16 v[34:37], v[56:57], v[24:25], v[34:37]
	s_and_saveexec_b64 s[12:13], s[14:15]
	s_cbranch_execz .LBB644_509
; %bb.504:                              ;   in Loop: Header=BB644_215 Depth=1
	v_cmp_ne_u16_sdwa s[16:17], v44, s9 src0_sel:BYTE_0 src1_sel:DWORD
	v_bfrev_b32_e32 v51, 1
	s_and_saveexec_b64 s[14:15], s[16:17]
	s_cbranch_execz .LBB644_508
; %bb.505:                              ;   in Loop: Header=BB644_215 Depth=1
	v_and_b32_e32 v46, 0x7f, v44
	v_cmp_ne_u32_e32 vcc, s19, v46
	v_mov_b32_e32 v51, 0x7f800001
	s_and_saveexec_b64 s[16:17], vcc
	s_cbranch_execz .LBB644_507
; %bb.506:                              ;   in Loop: Header=BB644_215 Depth=1
	v_and_b32_e32 v56, 7, v44
	v_ffbh_u32_e32 v50, v56
	v_min_u32_e32 v58, 32, v50
	v_subrev_u32_e32 v50, 28, v58
	v_lshlrev_b64 v[50:51], v50, v[44:45]
	v_lshrrev_b32_e32 v57, 3, v46
	v_sub_u32_e32 v51, 29, v58
	v_and_b32_e32 v50, 7, v50
	v_cmp_gt_u32_e32 vcc, 8, v46
	v_cndmask_b32_e32 v46, v57, v51, vcc
	v_cndmask_b32_e32 v50, v56, v50, vcc
	v_lshlrev_b32_e32 v51, 24, v44
	v_lshlrev_b32_e32 v50, 20, v50
	v_and_b32_e32 v51, 0x80000000, v51
	v_lshl_add_u32 v46, v46, 23, v55
	v_or3_b32 v51, v51, v46, v50
.LBB644_507:                            ;   in Loop: Header=BB644_215 Depth=1
	s_or_b64 exec, exec, s[16:17]
.LBB644_508:                            ;   in Loop: Header=BB644_215 Depth=1
	s_or_b64 exec, exec, s[14:15]
.LBB644_509:                            ;   in Loop: Header=BB644_215 Depth=1
	s_or_b64 exec, exec, s[12:13]
	v_lshrrev_b16_e32 v46, 8, v44
	v_cmp_ne_u16_e32 vcc, 0, v46
	v_mov_b32_e32 v50, 0
	v_mov_b32_e32 v56, 0
	s_and_saveexec_b64 s[12:13], vcc
	s_cbranch_execz .LBB644_515
; %bb.510:                              ;   in Loop: Header=BB644_215 Depth=1
	v_cmp_ne_u16_e32 vcc, s9, v46
	v_bfrev_b32_e32 v56, 1
	s_and_saveexec_b64 s[14:15], vcc
	s_cbranch_execz .LBB644_514
; %bb.511:                              ;   in Loop: Header=BB644_215 Depth=1
	v_and_b32_e32 v57, 0x7f, v46
	v_cmp_ne_u32_e32 vcc, s19, v57
	v_mov_b32_e32 v56, 0x7f800001
	s_and_saveexec_b64 s[16:17], vcc
	s_cbranch_execz .LBB644_513
; %bb.512:                              ;   in Loop: Header=BB644_215 Depth=1
	v_and_b32_e32 v56, 7, v46
	v_ffbh_u32_e32 v58, v56
	v_min_u32_e32 v61, 32, v58
	v_subrev_u32_e32 v58, 28, v61
	v_lshlrev_b64 v[58:59], v58, v[46:47]
	v_lshrrev_b32_e32 v60, 3, v57
	v_sub_u32_e32 v46, 29, v61
	v_and_b32_e32 v58, 7, v58
	v_cmp_gt_u32_e32 vcc, 8, v57
	v_cndmask_b32_e32 v46, v60, v46, vcc
	v_cndmask_b32_e32 v56, v56, v58, vcc
	v_lshlrev_b32_e32 v57, 16, v44
	v_lshlrev_b32_e32 v56, 20, v56
	v_and_b32_e32 v57, 0x80000000, v57
	v_lshl_add_u32 v46, v46, 23, v55
	v_or3_b32 v56, v57, v46, v56
.LBB644_513:                            ;   in Loop: Header=BB644_215 Depth=1
	s_or_b64 exec, exec, s[16:17]
.LBB644_514:                            ;   in Loop: Header=BB644_215 Depth=1
	s_or_b64 exec, exec, s[14:15]
.LBB644_515:                            ;   in Loop: Header=BB644_215 Depth=1
	s_or_b64 exec, exec, s[12:13]
	v_lshrrev_b32_e32 v46, 16, v44
	v_cmp_ne_u16_sdwa s[14:15], v46, v54 src0_sel:BYTE_0 src1_sel:DWORD
	s_and_saveexec_b64 s[12:13], s[14:15]
	s_cbranch_execz .LBB644_521
; %bb.516:                              ;   in Loop: Header=BB644_215 Depth=1
	v_cmp_ne_u16_sdwa s[16:17], v46, s9 src0_sel:BYTE_0 src1_sel:DWORD
	v_bfrev_b32_e32 v50, 1
	s_and_saveexec_b64 s[14:15], s[16:17]
	s_cbranch_execz .LBB644_520
; %bb.517:                              ;   in Loop: Header=BB644_215 Depth=1
	v_bfe_u32 v57, v44, 16, 7
	v_cmp_ne_u32_e32 vcc, s19, v57
	v_mov_b32_e32 v50, 0x7f800001
	s_and_saveexec_b64 s[16:17], vcc
	s_cbranch_execz .LBB644_519
; %bb.518:                              ;   in Loop: Header=BB644_215 Depth=1
	v_and_b32_e32 v50, 7, v46
	v_ffbh_u32_e32 v58, v50
	v_min_u32_e32 v61, 32, v58
	v_subrev_u32_e32 v58, 28, v61
	v_lshlrev_b64 v[58:59], v58, v[46:47]
	v_lshrrev_b32_e32 v60, 3, v57
	v_sub_u32_e32 v59, 29, v61
	v_and_b32_e32 v58, 7, v58
	v_cmp_gt_u32_e32 vcc, 8, v57
	v_cndmask_b32_e32 v57, v60, v59, vcc
	v_cndmask_b32_e32 v50, v50, v58, vcc
	v_lshlrev_b32_e32 v46, 24, v46
	v_lshlrev_b32_e32 v50, 20, v50
	v_and_b32_e32 v46, 0x80000000, v46
	v_lshl_add_u32 v57, v57, 23, v55
	v_or3_b32 v50, v46, v57, v50
.LBB644_519:                            ;   in Loop: Header=BB644_215 Depth=1
	s_or_b64 exec, exec, s[16:17]
.LBB644_520:                            ;   in Loop: Header=BB644_215 Depth=1
	s_or_b64 exec, exec, s[14:15]
.LBB644_521:                            ;   in Loop: Header=BB644_215 Depth=1
	s_or_b64 exec, exec, s[12:13]
	v_cmp_lt_u32_e32 vcc, s20, v44
	v_mov_b32_e32 v57, 0
	v_mov_b32_e32 v58, 0
	s_and_saveexec_b64 s[12:13], vcc
	s_cbranch_execz .LBB644_527
; %bb.522:                              ;   in Loop: Header=BB644_215 Depth=1
	v_lshrrev_b32_e32 v46, 24, v44
	v_cmp_ne_u32_e32 vcc, s9, v46
	v_bfrev_b32_e32 v58, 1
	s_and_saveexec_b64 s[14:15], vcc
	s_cbranch_execz .LBB644_526
; %bb.523:                              ;   in Loop: Header=BB644_215 Depth=1
	v_bfe_u32 v44, v44, 24, 7
	v_cmp_ne_u32_e32 vcc, s19, v44
	v_mov_b32_e32 v58, 0x7f800001
	s_and_saveexec_b64 s[16:17], vcc
	s_cbranch_execz .LBB644_525
; %bb.524:                              ;   in Loop: Header=BB644_215 Depth=1
	v_and_b32_e32 v60, 7, v46
	v_ffbh_u32_e32 v58, v60
	v_min_u32_e32 v62, 32, v58
	v_subrev_u32_e32 v58, 28, v62
	v_lshlrev_b64 v[58:59], v58, v[46:47]
	v_lshrrev_b32_e32 v61, 3, v44
	v_sub_u32_e32 v59, 29, v62
	v_and_b32_e32 v58, 7, v58
	v_cmp_gt_u32_e32 vcc, 8, v44
	v_cndmask_b32_e32 v44, v61, v59, vcc
	v_cndmask_b32_e32 v58, v60, v58, vcc
	v_lshlrev_b32_e32 v46, 24, v46
	v_lshlrev_b32_e32 v58, 20, v58
	v_and_b32_e32 v46, 0x80000000, v46
	v_lshl_add_u32 v44, v44, 23, v55
	v_or3_b32 v58, v46, v44, v58
.LBB644_525:                            ;   in Loop: Header=BB644_215 Depth=1
	s_or_b64 exec, exec, s[16:17]
.LBB644_526:                            ;   in Loop: Header=BB644_215 Depth=1
	s_or_b64 exec, exec, s[14:15]
.LBB644_527:                            ;   in Loop: Header=BB644_215 Depth=1
	s_or_b64 exec, exec, s[12:13]
	s_waitcnt vmcnt(2)
	v_cmp_ne_u16_sdwa s[14:15], v42, v54 src0_sel:BYTE_0 src1_sel:DWORD
	s_and_saveexec_b64 s[12:13], s[14:15]
	s_cbranch_execz .LBB644_533
; %bb.528:                              ;   in Loop: Header=BB644_215 Depth=1
	v_cmp_ne_u16_sdwa s[16:17], v42, s9 src0_sel:BYTE_0 src1_sel:DWORD
	v_bfrev_b32_e32 v57, 1
	s_and_saveexec_b64 s[14:15], s[16:17]
	s_cbranch_execz .LBB644_532
; %bb.529:                              ;   in Loop: Header=BB644_215 Depth=1
	v_and_b32_e32 v44, 0x7f, v42
	v_cmp_ne_u32_e32 vcc, s19, v44
	v_mov_b32_e32 v57, 0x7f800001
	s_and_saveexec_b64 s[16:17], vcc
	s_cbranch_execz .LBB644_531
; %bb.530:                              ;   in Loop: Header=BB644_215 Depth=1
	v_and_b32_e32 v46, 7, v42
	v_ffbh_u32_e32 v59, v46
	v_min_u32_e32 v59, 32, v59
	v_subrev_u32_e32 v60, 28, v59
	v_lshlrev_b64 v[60:61], v60, v[42:43]
	v_lshrrev_b32_e32 v57, 3, v44
	v_sub_u32_e32 v59, 29, v59
	v_and_b32_e32 v60, 7, v60
	v_cmp_gt_u32_e32 vcc, 8, v44
	v_cndmask_b32_e32 v44, v57, v59, vcc
	v_cndmask_b32_e32 v46, v46, v60, vcc
	v_lshlrev_b32_e32 v57, 24, v42
	v_lshlrev_b32_e32 v46, 20, v46
	v_and_b32_e32 v57, 0x80000000, v57
	v_lshl_add_u32 v44, v44, 23, v55
	v_or3_b32 v57, v57, v44, v46
.LBB644_531:                            ;   in Loop: Header=BB644_215 Depth=1
	s_or_b64 exec, exec, s[16:17]
.LBB644_532:                            ;   in Loop: Header=BB644_215 Depth=1
	s_or_b64 exec, exec, s[14:15]
.LBB644_533:                            ;   in Loop: Header=BB644_215 Depth=1
	s_or_b64 exec, exec, s[12:13]
	v_lshrrev_b16_e32 v44, 8, v42
	v_cmp_ne_u16_e32 vcc, 0, v44
	v_mov_b32_e32 v59, 0
	v_mov_b32_e32 v60, 0
	s_and_saveexec_b64 s[12:13], vcc
	s_cbranch_execz .LBB644_539
; %bb.534:                              ;   in Loop: Header=BB644_215 Depth=1
	v_cmp_ne_u16_e32 vcc, s9, v44
	v_bfrev_b32_e32 v60, 1
	s_and_saveexec_b64 s[14:15], vcc
	s_cbranch_execz .LBB644_538
; %bb.535:                              ;   in Loop: Header=BB644_215 Depth=1
	v_and_b32_e32 v46, 0x7f, v44
	v_cmp_ne_u32_e32 vcc, s19, v46
	v_mov_b32_e32 v60, 0x7f800001
	s_and_saveexec_b64 s[16:17], vcc
	s_cbranch_execz .LBB644_537
; %bb.536:                              ;   in Loop: Header=BB644_215 Depth=1
	v_and_b32_e32 v62, 7, v44
	v_ffbh_u32_e32 v60, v62
	v_min_u32_e32 v64, 32, v60
	v_subrev_u32_e32 v60, 28, v64
	v_lshlrev_b64 v[60:61], v60, v[44:45]
	v_lshrrev_b32_e32 v63, 3, v46
	v_sub_u32_e32 v44, 29, v64
	v_and_b32_e32 v60, 7, v60
	v_cmp_gt_u32_e32 vcc, 8, v46
	v_cndmask_b32_e32 v44, v63, v44, vcc
	v_cndmask_b32_e32 v46, v62, v60, vcc
	v_lshlrev_b32_e32 v60, 16, v42
	v_lshlrev_b32_e32 v46, 20, v46
	v_and_b32_e32 v60, 0x80000000, v60
	v_lshl_add_u32 v44, v44, 23, v55
	v_or3_b32 v60, v60, v44, v46
.LBB644_537:                            ;   in Loop: Header=BB644_215 Depth=1
	s_or_b64 exec, exec, s[16:17]
.LBB644_538:                            ;   in Loop: Header=BB644_215 Depth=1
	s_or_b64 exec, exec, s[14:15]
.LBB644_539:                            ;   in Loop: Header=BB644_215 Depth=1
	s_or_b64 exec, exec, s[12:13]
	v_lshrrev_b32_e32 v44, 16, v42
	v_cmp_ne_u16_sdwa s[14:15], v44, v54 src0_sel:BYTE_0 src1_sel:DWORD
	s_and_saveexec_b64 s[12:13], s[14:15]
	s_cbranch_execz .LBB644_545
; %bb.540:                              ;   in Loop: Header=BB644_215 Depth=1
	v_cmp_ne_u16_sdwa s[16:17], v44, s9 src0_sel:BYTE_0 src1_sel:DWORD
	v_bfrev_b32_e32 v59, 1
	s_and_saveexec_b64 s[14:15], s[16:17]
	s_cbranch_execz .LBB644_544
; %bb.541:                              ;   in Loop: Header=BB644_215 Depth=1
	v_bfe_u32 v46, v42, 16, 7
	v_cmp_ne_u32_e32 vcc, s19, v46
	v_mov_b32_e32 v59, 0x7f800001
	s_and_saveexec_b64 s[16:17], vcc
	s_cbranch_execz .LBB644_543
; %bb.542:                              ;   in Loop: Header=BB644_215 Depth=1
	v_and_b32_e32 v59, 7, v44
	v_ffbh_u32_e32 v62, v59
	v_min_u32_e32 v64, 32, v62
	v_subrev_u32_e32 v62, 28, v64
	v_lshlrev_b64 v[62:63], v62, v[44:45]
	v_lshrrev_b32_e32 v61, 3, v46
	v_sub_u32_e32 v63, 29, v64
	v_and_b32_e32 v62, 7, v62
	v_cmp_gt_u32_e32 vcc, 8, v46
	v_cndmask_b32_e32 v46, v61, v63, vcc
	v_cndmask_b32_e32 v59, v59, v62, vcc
	v_lshlrev_b32_e32 v44, 24, v44
	v_lshlrev_b32_e32 v59, 20, v59
	v_and_b32_e32 v44, 0x80000000, v44
	v_lshl_add_u32 v46, v46, 23, v55
	v_or3_b32 v59, v44, v46, v59
.LBB644_543:                            ;   in Loop: Header=BB644_215 Depth=1
	s_or_b64 exec, exec, s[16:17]
.LBB644_544:                            ;   in Loop: Header=BB644_215 Depth=1
	s_or_b64 exec, exec, s[14:15]
.LBB644_545:                            ;   in Loop: Header=BB644_215 Depth=1
	s_or_b64 exec, exec, s[12:13]
	v_cmp_lt_u32_e32 vcc, s20, v42
	v_mov_b32_e32 v46, 0
	v_mov_b32_e32 v61, 0
	s_and_saveexec_b64 s[12:13], vcc
	s_cbranch_execz .LBB644_551
; %bb.546:                              ;   in Loop: Header=BB644_215 Depth=1
	v_lshrrev_b32_e32 v44, 24, v42
	v_cmp_ne_u32_e32 vcc, s9, v44
	v_bfrev_b32_e32 v61, 1
	s_and_saveexec_b64 s[14:15], vcc
	s_cbranch_execz .LBB644_550
; %bb.547:                              ;   in Loop: Header=BB644_215 Depth=1
	v_bfe_u32 v42, v42, 24, 7
	v_cmp_ne_u32_e32 vcc, s19, v42
	v_mov_b32_e32 v61, 0x7f800001
	s_and_saveexec_b64 s[16:17], vcc
	s_cbranch_execz .LBB644_549
; %bb.548:                              ;   in Loop: Header=BB644_215 Depth=1
	v_and_b32_e32 v61, 7, v44
	v_ffbh_u32_e32 v62, v61
	v_min_u32_e32 v65, 32, v62
	v_subrev_u32_e32 v62, 28, v65
	v_lshlrev_b64 v[62:63], v62, v[44:45]
	v_lshrrev_b32_e32 v64, 3, v42
	v_sub_u32_e32 v63, 29, v65
	v_and_b32_e32 v62, 7, v62
	v_cmp_gt_u32_e32 vcc, 8, v42
	v_cndmask_b32_e32 v42, v64, v63, vcc
	v_cndmask_b32_e32 v61, v61, v62, vcc
	v_lshlrev_b32_e32 v44, 24, v44
	v_lshlrev_b32_e32 v61, 20, v61
	v_and_b32_e32 v44, 0x80000000, v44
	v_lshl_add_u32 v42, v42, 23, v55
	v_or3_b32 v61, v44, v42, v61
.LBB644_549:                            ;   in Loop: Header=BB644_215 Depth=1
	s_or_b64 exec, exec, s[16:17]
.LBB644_550:                            ;   in Loop: Header=BB644_215 Depth=1
	s_or_b64 exec, exec, s[14:15]
.LBB644_551:                            ;   in Loop: Header=BB644_215 Depth=1
	s_or_b64 exec, exec, s[12:13]
	v_cvt_pkrtz_f16_f32 v62, v51, v56
	v_cvt_pkrtz_f16_f32 v63, v50, v58
	;; [unrolled: 1-line block ×4, first 2 shown]
	s_waitcnt vmcnt(1)
	v_cmp_ne_u16_sdwa s[14:15], v40, v54 src0_sel:BYTE_0 src1_sel:DWORD
	v_mfma_f32_16x16x16f16 v[34:37], v[62:63], v[26:27], v[34:37]
	v_mfma_f32_16x16x16f16 v[34:37], v[50:51], v[28:29], v[34:37]
	s_and_saveexec_b64 s[12:13], s[14:15]
	s_cbranch_execz .LBB644_557
; %bb.552:                              ;   in Loop: Header=BB644_215 Depth=1
	v_cmp_ne_u16_sdwa s[16:17], v40, s9 src0_sel:BYTE_0 src1_sel:DWORD
	v_bfrev_b32_e32 v46, 1
	s_and_saveexec_b64 s[14:15], s[16:17]
	s_cbranch_execz .LBB644_556
; %bb.553:                              ;   in Loop: Header=BB644_215 Depth=1
	v_and_b32_e32 v42, 0x7f, v40
	v_cmp_ne_u32_e32 vcc, s19, v42
	v_mov_b32_e32 v46, 0x7f800001
	s_and_saveexec_b64 s[16:17], vcc
	s_cbranch_execz .LBB644_555
; %bb.554:                              ;   in Loop: Header=BB644_215 Depth=1
	v_and_b32_e32 v44, 7, v40
	v_ffbh_u32_e32 v50, v44
	v_min_u32_e32 v56, 32, v50
	v_subrev_u32_e32 v50, 28, v56
	v_lshlrev_b64 v[50:51], v50, v[40:41]
	v_lshrrev_b32_e32 v46, 3, v42
	v_sub_u32_e32 v51, 29, v56
	v_and_b32_e32 v50, 7, v50
	v_cmp_gt_u32_e32 vcc, 8, v42
	v_cndmask_b32_e32 v42, v46, v51, vcc
	v_cndmask_b32_e32 v44, v44, v50, vcc
	v_lshlrev_b32_e32 v46, 24, v40
	v_lshlrev_b32_e32 v44, 20, v44
	v_and_b32_e32 v46, 0x80000000, v46
	v_lshl_add_u32 v42, v42, 23, v55
	v_or3_b32 v46, v46, v42, v44
.LBB644_555:                            ;   in Loop: Header=BB644_215 Depth=1
	s_or_b64 exec, exec, s[16:17]
.LBB644_556:                            ;   in Loop: Header=BB644_215 Depth=1
	s_or_b64 exec, exec, s[14:15]
.LBB644_557:                            ;   in Loop: Header=BB644_215 Depth=1
	s_or_b64 exec, exec, s[12:13]
	v_lshrrev_b16_e32 v42, 8, v40
	v_cmp_ne_u16_e32 vcc, 0, v42
	v_mov_b32_e32 v44, 0
	v_mov_b32_e32 v50, 0
	s_and_saveexec_b64 s[12:13], vcc
	s_cbranch_execz .LBB644_563
; %bb.558:                              ;   in Loop: Header=BB644_215 Depth=1
	v_cmp_ne_u16_e32 vcc, s9, v42
	v_bfrev_b32_e32 v50, 1
	s_and_saveexec_b64 s[14:15], vcc
	s_cbranch_execz .LBB644_562
; %bb.559:                              ;   in Loop: Header=BB644_215 Depth=1
	v_and_b32_e32 v51, 0x7f, v42
	v_cmp_ne_u32_e32 vcc, s19, v51
	v_mov_b32_e32 v50, 0x7f800001
	s_and_saveexec_b64 s[16:17], vcc
	s_cbranch_execz .LBB644_561
; %bb.560:                              ;   in Loop: Header=BB644_215 Depth=1
	v_and_b32_e32 v50, 7, v42
	v_ffbh_u32_e32 v56, v50
	v_min_u32_e32 v59, 32, v56
	v_subrev_u32_e32 v56, 28, v59
	v_lshlrev_b64 v[56:57], v56, v[42:43]
	v_lshrrev_b32_e32 v58, 3, v51
	v_sub_u32_e32 v42, 29, v59
	v_and_b32_e32 v56, 7, v56
	v_cmp_gt_u32_e32 vcc, 8, v51
	v_cndmask_b32_e32 v42, v58, v42, vcc
	v_cndmask_b32_e32 v50, v50, v56, vcc
	v_lshlrev_b32_e32 v51, 16, v40
	v_lshlrev_b32_e32 v50, 20, v50
	v_and_b32_e32 v51, 0x80000000, v51
	v_lshl_add_u32 v42, v42, 23, v55
	v_or3_b32 v50, v51, v42, v50
.LBB644_561:                            ;   in Loop: Header=BB644_215 Depth=1
	s_or_b64 exec, exec, s[16:17]
.LBB644_562:                            ;   in Loop: Header=BB644_215 Depth=1
	s_or_b64 exec, exec, s[14:15]
.LBB644_563:                            ;   in Loop: Header=BB644_215 Depth=1
	s_or_b64 exec, exec, s[12:13]
	v_lshrrev_b32_e32 v42, 16, v40
	v_cmp_ne_u16_sdwa s[14:15], v42, v54 src0_sel:BYTE_0 src1_sel:DWORD
	s_and_saveexec_b64 s[12:13], s[14:15]
	s_cbranch_execz .LBB644_569
; %bb.564:                              ;   in Loop: Header=BB644_215 Depth=1
	v_cmp_ne_u16_sdwa s[16:17], v42, s9 src0_sel:BYTE_0 src1_sel:DWORD
	v_bfrev_b32_e32 v44, 1
	s_and_saveexec_b64 s[14:15], s[16:17]
	s_cbranch_execz .LBB644_568
; %bb.565:                              ;   in Loop: Header=BB644_215 Depth=1
	v_bfe_u32 v51, v40, 16, 7
	v_cmp_ne_u32_e32 vcc, s19, v51
	v_mov_b32_e32 v44, 0x7f800001
	s_and_saveexec_b64 s[16:17], vcc
	s_cbranch_execz .LBB644_567
; %bb.566:                              ;   in Loop: Header=BB644_215 Depth=1
	v_and_b32_e32 v44, 7, v42
	v_ffbh_u32_e32 v56, v44
	v_min_u32_e32 v59, 32, v56
	v_subrev_u32_e32 v56, 28, v59
	v_lshlrev_b64 v[56:57], v56, v[42:43]
	v_lshrrev_b32_e32 v58, 3, v51
	v_sub_u32_e32 v57, 29, v59
	v_and_b32_e32 v56, 7, v56
	v_cmp_gt_u32_e32 vcc, 8, v51
	v_cndmask_b32_e32 v51, v58, v57, vcc
	v_cndmask_b32_e32 v44, v44, v56, vcc
	v_lshlrev_b32_e32 v42, 24, v42
	v_lshlrev_b32_e32 v44, 20, v44
	v_and_b32_e32 v42, 0x80000000, v42
	v_lshl_add_u32 v51, v51, 23, v55
	v_or3_b32 v44, v42, v51, v44
.LBB644_567:                            ;   in Loop: Header=BB644_215 Depth=1
	s_or_b64 exec, exec, s[16:17]
.LBB644_568:                            ;   in Loop: Header=BB644_215 Depth=1
	s_or_b64 exec, exec, s[14:15]
.LBB644_569:                            ;   in Loop: Header=BB644_215 Depth=1
	s_or_b64 exec, exec, s[12:13]
	v_cmp_lt_u32_e32 vcc, s20, v40
	v_mov_b32_e32 v51, 0
	v_mov_b32_e32 v56, 0
	s_and_saveexec_b64 s[12:13], vcc
	s_cbranch_execz .LBB644_575
; %bb.570:                              ;   in Loop: Header=BB644_215 Depth=1
	v_lshrrev_b32_e32 v42, 24, v40
	v_cmp_ne_u32_e32 vcc, s9, v42
	v_bfrev_b32_e32 v56, 1
	s_and_saveexec_b64 s[14:15], vcc
	s_cbranch_execz .LBB644_574
; %bb.571:                              ;   in Loop: Header=BB644_215 Depth=1
	v_bfe_u32 v40, v40, 24, 7
	v_cmp_ne_u32_e32 vcc, s19, v40
	v_mov_b32_e32 v56, 0x7f800001
	s_and_saveexec_b64 s[16:17], vcc
	s_cbranch_execz .LBB644_573
; %bb.572:                              ;   in Loop: Header=BB644_215 Depth=1
	v_and_b32_e32 v58, 7, v42
	v_ffbh_u32_e32 v56, v58
	v_min_u32_e32 v60, 32, v56
	v_subrev_u32_e32 v56, 28, v60
	v_lshlrev_b64 v[56:57], v56, v[42:43]
	v_lshrrev_b32_e32 v59, 3, v40
	v_sub_u32_e32 v57, 29, v60
	v_and_b32_e32 v56, 7, v56
	v_cmp_gt_u32_e32 vcc, 8, v40
	v_cndmask_b32_e32 v40, v59, v57, vcc
	v_cndmask_b32_e32 v56, v58, v56, vcc
	v_lshlrev_b32_e32 v42, 24, v42
	v_lshlrev_b32_e32 v56, 20, v56
	v_and_b32_e32 v42, 0x80000000, v42
	v_lshl_add_u32 v40, v40, 23, v55
	v_or3_b32 v56, v42, v40, v56
.LBB644_573:                            ;   in Loop: Header=BB644_215 Depth=1
	s_or_b64 exec, exec, s[16:17]
.LBB644_574:                            ;   in Loop: Header=BB644_215 Depth=1
	s_or_b64 exec, exec, s[14:15]
.LBB644_575:                            ;   in Loop: Header=BB644_215 Depth=1
	s_or_b64 exec, exec, s[12:13]
	s_waitcnt vmcnt(0)
	v_cmp_ne_u16_sdwa s[14:15], v38, v54 src0_sel:BYTE_0 src1_sel:DWORD
	s_and_saveexec_b64 s[12:13], s[14:15]
	s_cbranch_execz .LBB644_581
; %bb.576:                              ;   in Loop: Header=BB644_215 Depth=1
	v_cmp_ne_u16_sdwa s[16:17], v38, s9 src0_sel:BYTE_0 src1_sel:DWORD
	v_bfrev_b32_e32 v51, 1
	s_and_saveexec_b64 s[14:15], s[16:17]
	s_cbranch_execz .LBB644_580
; %bb.577:                              ;   in Loop: Header=BB644_215 Depth=1
	v_and_b32_e32 v40, 0x7f, v38
	v_cmp_ne_u32_e32 vcc, s19, v40
	v_mov_b32_e32 v51, 0x7f800001
	s_and_saveexec_b64 s[16:17], vcc
	s_cbranch_execz .LBB644_579
; %bb.578:                              ;   in Loop: Header=BB644_215 Depth=1
	v_and_b32_e32 v42, 7, v38
	v_ffbh_u32_e32 v57, v42
	v_min_u32_e32 v57, 32, v57
	v_subrev_u32_e32 v58, 28, v57
	v_lshlrev_b64 v[58:59], v58, v[38:39]
	v_lshrrev_b32_e32 v51, 3, v40
	v_sub_u32_e32 v57, 29, v57
	v_and_b32_e32 v58, 7, v58
	v_cmp_gt_u32_e32 vcc, 8, v40
	v_cndmask_b32_e32 v40, v51, v57, vcc
	v_cndmask_b32_e32 v42, v42, v58, vcc
	v_lshlrev_b32_e32 v51, 24, v38
	v_lshlrev_b32_e32 v42, 20, v42
	v_and_b32_e32 v51, 0x80000000, v51
	v_lshl_add_u32 v40, v40, 23, v55
	v_or3_b32 v51, v51, v40, v42
.LBB644_579:                            ;   in Loop: Header=BB644_215 Depth=1
	s_or_b64 exec, exec, s[16:17]
.LBB644_580:                            ;   in Loop: Header=BB644_215 Depth=1
	s_or_b64 exec, exec, s[14:15]
.LBB644_581:                            ;   in Loop: Header=BB644_215 Depth=1
	s_or_b64 exec, exec, s[12:13]
	v_lshrrev_b16_e32 v40, 8, v38
	v_cmp_ne_u16_e32 vcc, 0, v40
	v_mov_b32_e32 v42, 0
	v_mov_b32_e32 v57, 0
	s_and_saveexec_b64 s[12:13], vcc
	s_cbranch_execz .LBB644_587
; %bb.582:                              ;   in Loop: Header=BB644_215 Depth=1
	v_cmp_ne_u16_e32 vcc, s9, v40
	v_bfrev_b32_e32 v57, 1
	s_and_saveexec_b64 s[14:15], vcc
	s_cbranch_execz .LBB644_586
; %bb.583:                              ;   in Loop: Header=BB644_215 Depth=1
	v_and_b32_e32 v58, 0x7f, v40
	v_cmp_ne_u32_e32 vcc, s19, v58
	v_mov_b32_e32 v57, 0x7f800001
	s_and_saveexec_b64 s[16:17], vcc
	s_cbranch_execz .LBB644_585
; %bb.584:                              ;   in Loop: Header=BB644_215 Depth=1
	v_and_b32_e32 v57, 7, v40
	v_ffbh_u32_e32 v60, v57
	v_min_u32_e32 v62, 32, v60
	v_subrev_u32_e32 v60, 28, v62
	v_lshlrev_b64 v[60:61], v60, v[40:41]
	v_lshrrev_b32_e32 v59, 3, v58
	v_sub_u32_e32 v40, 29, v62
	v_and_b32_e32 v60, 7, v60
	v_cmp_gt_u32_e32 vcc, 8, v58
	v_cndmask_b32_e32 v40, v59, v40, vcc
	v_cndmask_b32_e32 v57, v57, v60, vcc
	v_lshlrev_b32_e32 v58, 16, v38
	v_lshlrev_b32_e32 v57, 20, v57
	v_and_b32_e32 v58, 0x80000000, v58
	v_lshl_add_u32 v40, v40, 23, v55
	v_or3_b32 v57, v58, v40, v57
.LBB644_585:                            ;   in Loop: Header=BB644_215 Depth=1
	s_or_b64 exec, exec, s[16:17]
.LBB644_586:                            ;   in Loop: Header=BB644_215 Depth=1
	s_or_b64 exec, exec, s[14:15]
.LBB644_587:                            ;   in Loop: Header=BB644_215 Depth=1
	s_or_b64 exec, exec, s[12:13]
	v_lshrrev_b32_e32 v40, 16, v38
	v_cmp_ne_u16_sdwa s[14:15], v40, v54 src0_sel:BYTE_0 src1_sel:DWORD
	s_and_saveexec_b64 s[12:13], s[14:15]
	s_cbranch_execz .LBB644_593
; %bb.588:                              ;   in Loop: Header=BB644_215 Depth=1
	v_cmp_ne_u16_sdwa s[16:17], v40, s9 src0_sel:BYTE_0 src1_sel:DWORD
	v_bfrev_b32_e32 v42, 1
	s_and_saveexec_b64 s[14:15], s[16:17]
	s_cbranch_execz .LBB644_592
; %bb.589:                              ;   in Loop: Header=BB644_215 Depth=1
	v_bfe_u32 v58, v38, 16, 7
	v_cmp_ne_u32_e32 vcc, s19, v58
	v_mov_b32_e32 v42, 0x7f800001
	s_and_saveexec_b64 s[16:17], vcc
	s_cbranch_execz .LBB644_591
; %bb.590:                              ;   in Loop: Header=BB644_215 Depth=1
	v_and_b32_e32 v42, 7, v40
	v_ffbh_u32_e32 v60, v42
	v_min_u32_e32 v62, 32, v60
	v_subrev_u32_e32 v60, 28, v62
	v_lshlrev_b64 v[60:61], v60, v[40:41]
	v_lshrrev_b32_e32 v59, 3, v58
	v_sub_u32_e32 v61, 29, v62
	v_and_b32_e32 v60, 7, v60
	v_cmp_gt_u32_e32 vcc, 8, v58
	v_cndmask_b32_e32 v58, v59, v61, vcc
	v_cndmask_b32_e32 v42, v42, v60, vcc
	v_lshlrev_b32_e32 v40, 24, v40
	v_lshlrev_b32_e32 v42, 20, v42
	v_and_b32_e32 v40, 0x80000000, v40
	v_lshl_add_u32 v58, v58, 23, v55
	v_or3_b32 v42, v40, v58, v42
.LBB644_591:                            ;   in Loop: Header=BB644_215 Depth=1
	s_or_b64 exec, exec, s[16:17]
.LBB644_592:                            ;   in Loop: Header=BB644_215 Depth=1
	s_or_b64 exec, exec, s[14:15]
.LBB644_593:                            ;   in Loop: Header=BB644_215 Depth=1
	s_or_b64 exec, exec, s[12:13]
	v_cmp_lt_u32_e32 vcc, s20, v38
	v_mov_b32_e32 v58, 0
	s_and_saveexec_b64 s[12:13], vcc
	s_cbranch_execz .LBB644_214
; %bb.594:                              ;   in Loop: Header=BB644_215 Depth=1
	v_lshrrev_b32_e32 v40, 24, v38
	v_cmp_ne_u32_e32 vcc, s9, v40
	v_bfrev_b32_e32 v58, 1
	s_and_saveexec_b64 s[14:15], vcc
	s_cbranch_execz .LBB644_213
; %bb.595:                              ;   in Loop: Header=BB644_215 Depth=1
	v_bfe_u32 v38, v38, 24, 7
	v_cmp_ne_u32_e32 vcc, s19, v38
	v_mov_b32_e32 v58, 0x7f800001
	s_and_saveexec_b64 s[16:17], vcc
	s_cbranch_execz .LBB644_212
; %bb.596:                              ;   in Loop: Header=BB644_215 Depth=1
	v_and_b32_e32 v60, 7, v40
	v_ffbh_u32_e32 v58, v60
	v_min_u32_e32 v62, 32, v58
	v_subrev_u32_e32 v58, 28, v62
	v_lshlrev_b64 v[58:59], v58, v[40:41]
	v_lshrrev_b32_e32 v61, 3, v38
	v_sub_u32_e32 v59, 29, v62
	v_and_b32_e32 v58, 7, v58
	v_cmp_gt_u32_e32 vcc, 8, v38
	v_cndmask_b32_e32 v38, v61, v59, vcc
	v_cndmask_b32_e32 v58, v60, v58, vcc
	v_lshlrev_b32_e32 v40, 24, v40
	v_lshlrev_b32_e32 v58, 20, v58
	v_and_b32_e32 v40, 0x80000000, v40
	v_lshl_add_u32 v38, v38, 23, v55
	v_or3_b32 v58, v40, v38, v58
	s_branch .LBB644_212
.LBB644_597:
	s_barrier
	buffer_load_dword v2, off, s[0:3], 0 offset:320
	buffer_load_dword v5, off, s[0:3], 0 offset:332
	;; [unrolled: 1-line block ×4, first 2 shown]
	v_cmp_gt_u32_e32 vcc, 64, v0
	s_waitcnt vmcnt(0)
	ds_write2st64_b64 v52, v[2:3], v[4:5] offset1:1
	s_waitcnt lgkmcnt(0)
	s_barrier
	s_and_saveexec_b64 s[4:5], vcc
	s_cbranch_execz .LBB644_600
; %bb.598:
	s_lshl_b32 s4, s48, 7
	s_mul_i32 s5, s18, s8
	s_mul_hi_u32 s9, s5, s4
	s_mul_i32 s8, s5, s4
	s_lshl_b64 s[8:9], s[8:9], 1
	s_add_u32 s5, s50, s8
	v_lshlrev_b32_e32 v4, 6, v41
	s_mov_b32 s7, 0
	s_addc_u32 s8, s51, s9
	s_lshl_b32 s6, s26, 7
	v_lshl_or_b32 v0, v0, 10, v4
	s_lshl_b64 s[6:7], s[6:7], 1
	v_lshlrev_b32_e32 v2, 5, v1
	v_and_b32_e32 v3, 16, v43
	v_and_b32_e32 v0, 0x1a00, v0
	s_add_u32 s5, s5, s6
	v_or3_b32 v0, v0, v2, v3
	s_addc_u32 s6, s8, s7
	v_add_u32_e32 v8, s27, v1
	v_mov_b32_e32 v3, s6
	v_add_co_u32_e32 v2, vcc, s5, v39
	ds_read_b128 v[4:7], v0
	v_mad_u64_u32 v[8:9], s[6:7], v8, s4, 0
	v_addc_co_u32_e32 v3, vcc, 0, v3, vcc
	v_lshlrev_b64 v[8:9], 1, v[8:9]
	v_add_co_u32_e32 v8, vcc, v2, v8
	v_addc_co_u32_e32 v9, vcc, v3, v9, vcc
	v_cmp_ne_u32_e32 vcc, 3, v1
	s_waitcnt lgkmcnt(0)
	global_store_dwordx4 v[8:9], v[4:7], off
	s_and_b64 exec, exec, vcc
	s_cbranch_execz .LBB644_600
; %bb.599:
	ds_read_b128 v[4:7], v0 offset:128
	v_add3_u32 v0, s27, v1, 4
	v_mad_u64_u32 v[0:1], s[4:5], v0, s4, 0
	v_lshlrev_b64 v[0:1], 1, v[0:1]
	v_add_co_u32_e32 v0, vcc, v2, v0
	v_addc_co_u32_e32 v1, vcc, v3, v1, vcc
	s_waitcnt lgkmcnt(0)
	global_store_dwordx4 v[0:1], v[4:7], off
.LBB644_600:
	s_endpgm
	.section	.rodata,"a",@progbits
	.p2align	6, 0x0
	.amdhsa_kernel _Z39paged_attention_ll4mi_QKV_mfma16_kernelIDF16_hLN4vllm18Fp8KVCacheDataTypeE1EDF16_Li32ELi128ELi256ELb1ELi7EL8MFMAType0EEvPKT_PKT0_S8_ifPKiSA_SA_iPKfiiiPfSD_PS3_PT2_iSC_SC_
		.amdhsa_group_segment_fixed_size 8192
		.amdhsa_private_segment_fixed_size 352
		.amdhsa_kernarg_size 400
		.amdhsa_user_sgpr_count 8
		.amdhsa_user_sgpr_private_segment_buffer 1
		.amdhsa_user_sgpr_dispatch_ptr 0
		.amdhsa_user_sgpr_queue_ptr 0
		.amdhsa_user_sgpr_kernarg_segment_ptr 1
		.amdhsa_user_sgpr_dispatch_id 0
		.amdhsa_user_sgpr_flat_scratch_init 1
		.amdhsa_user_sgpr_kernarg_preload_length 0
		.amdhsa_user_sgpr_kernarg_preload_offset 0
		.amdhsa_user_sgpr_private_segment_size 0
		.amdhsa_uses_dynamic_stack 0
		.amdhsa_system_sgpr_private_segment_wavefront_offset 1
		.amdhsa_system_sgpr_workgroup_id_x 1
		.amdhsa_system_sgpr_workgroup_id_y 1
		.amdhsa_system_sgpr_workgroup_id_z 1
		.amdhsa_system_sgpr_workgroup_info 0
		.amdhsa_system_vgpr_workitem_id 0
		.amdhsa_next_free_vgpr 80
		.amdhsa_next_free_sgpr 53
		.amdhsa_accum_offset 80
		.amdhsa_reserve_vcc 1
		.amdhsa_reserve_flat_scratch 0
		.amdhsa_float_round_mode_32 0
		.amdhsa_float_round_mode_16_64 0
		.amdhsa_float_denorm_mode_32 3
		.amdhsa_float_denorm_mode_16_64 3
		.amdhsa_dx10_clamp 1
		.amdhsa_ieee_mode 1
		.amdhsa_fp16_overflow 0
		.amdhsa_tg_split 0
		.amdhsa_exception_fp_ieee_invalid_op 0
		.amdhsa_exception_fp_denorm_src 0
		.amdhsa_exception_fp_ieee_div_zero 0
		.amdhsa_exception_fp_ieee_overflow 0
		.amdhsa_exception_fp_ieee_underflow 0
		.amdhsa_exception_fp_ieee_inexact 0
		.amdhsa_exception_int_div_zero 0
	.end_amdhsa_kernel
	.section	.text._Z39paged_attention_ll4mi_QKV_mfma16_kernelIDF16_hLN4vllm18Fp8KVCacheDataTypeE1EDF16_Li32ELi128ELi256ELb1ELi7EL8MFMAType0EEvPKT_PKT0_S8_ifPKiSA_SA_iPKfiiiPfSD_PS3_PT2_iSC_SC_,"axG",@progbits,_Z39paged_attention_ll4mi_QKV_mfma16_kernelIDF16_hLN4vllm18Fp8KVCacheDataTypeE1EDF16_Li32ELi128ELi256ELb1ELi7EL8MFMAType0EEvPKT_PKT0_S8_ifPKiSA_SA_iPKfiiiPfSD_PS3_PT2_iSC_SC_,comdat
.Lfunc_end644:
	.size	_Z39paged_attention_ll4mi_QKV_mfma16_kernelIDF16_hLN4vllm18Fp8KVCacheDataTypeE1EDF16_Li32ELi128ELi256ELb1ELi7EL8MFMAType0EEvPKT_PKT0_S8_ifPKiSA_SA_iPKfiiiPfSD_PS3_PT2_iSC_SC_, .Lfunc_end644-_Z39paged_attention_ll4mi_QKV_mfma16_kernelIDF16_hLN4vllm18Fp8KVCacheDataTypeE1EDF16_Li32ELi128ELi256ELb1ELi7EL8MFMAType0EEvPKT_PKT0_S8_ifPKiSA_SA_iPKfiiiPfSD_PS3_PT2_iSC_SC_
                                        ; -- End function
	.section	.AMDGPU.csdata,"",@progbits
; Kernel info:
; codeLenInByte = 21500
; NumSgprs: 57
; NumVgprs: 80
; NumAgprs: 0
; TotalNumVgprs: 80
; ScratchSize: 352
; MemoryBound: 0
; FloatMode: 240
; IeeeMode: 1
; LDSByteSize: 8192 bytes/workgroup (compile time only)
; SGPRBlocks: 7
; VGPRBlocks: 9
; NumSGPRsForWavesPerEU: 57
; NumVGPRsForWavesPerEU: 80
; AccumOffset: 80
; Occupancy: 6
; WaveLimiterHint : 1
; COMPUTE_PGM_RSRC2:SCRATCH_EN: 1
; COMPUTE_PGM_RSRC2:USER_SGPR: 8
; COMPUTE_PGM_RSRC2:TRAP_HANDLER: 0
; COMPUTE_PGM_RSRC2:TGID_X_EN: 1
; COMPUTE_PGM_RSRC2:TGID_Y_EN: 1
; COMPUTE_PGM_RSRC2:TGID_Z_EN: 1
; COMPUTE_PGM_RSRC2:TIDIG_COMP_CNT: 0
; COMPUTE_PGM_RSRC3_GFX90A:ACCUM_OFFSET: 19
; COMPUTE_PGM_RSRC3_GFX90A:TG_SPLIT: 0
	.section	.text._Z39paged_attention_ll4mi_QKV_mfma16_kernelIDF16_hLN4vllm18Fp8KVCacheDataTypeE1EDF16_Li32ELi128ELi256ELb1ELi8EL8MFMAType0EEvPKT_PKT0_S8_ifPKiSA_SA_iPKfiiiPfSD_PS3_PT2_iSC_SC_,"axG",@progbits,_Z39paged_attention_ll4mi_QKV_mfma16_kernelIDF16_hLN4vllm18Fp8KVCacheDataTypeE1EDF16_Li32ELi128ELi256ELb1ELi8EL8MFMAType0EEvPKT_PKT0_S8_ifPKiSA_SA_iPKfiiiPfSD_PS3_PT2_iSC_SC_,comdat
	.protected	_Z39paged_attention_ll4mi_QKV_mfma16_kernelIDF16_hLN4vllm18Fp8KVCacheDataTypeE1EDF16_Li32ELi128ELi256ELb1ELi8EL8MFMAType0EEvPKT_PKT0_S8_ifPKiSA_SA_iPKfiiiPfSD_PS3_PT2_iSC_SC_ ; -- Begin function _Z39paged_attention_ll4mi_QKV_mfma16_kernelIDF16_hLN4vllm18Fp8KVCacheDataTypeE1EDF16_Li32ELi128ELi256ELb1ELi8EL8MFMAType0EEvPKT_PKT0_S8_ifPKiSA_SA_iPKfiiiPfSD_PS3_PT2_iSC_SC_
	.globl	_Z39paged_attention_ll4mi_QKV_mfma16_kernelIDF16_hLN4vllm18Fp8KVCacheDataTypeE1EDF16_Li32ELi128ELi256ELb1ELi8EL8MFMAType0EEvPKT_PKT0_S8_ifPKiSA_SA_iPKfiiiPfSD_PS3_PT2_iSC_SC_
	.p2align	8
	.type	_Z39paged_attention_ll4mi_QKV_mfma16_kernelIDF16_hLN4vllm18Fp8KVCacheDataTypeE1EDF16_Li32ELi128ELi256ELb1ELi8EL8MFMAType0EEvPKT_PKT0_S8_ifPKiSA_SA_iPKfiiiPfSD_PS3_PT2_iSC_SC_,@function
_Z39paged_attention_ll4mi_QKV_mfma16_kernelIDF16_hLN4vllm18Fp8KVCacheDataTypeE1EDF16_Li32ELi128ELi256ELb1ELi8EL8MFMAType0EEvPKT_PKT0_S8_ifPKiSA_SA_iPKfiiiPfSD_PS3_PT2_iSC_SC_: ; @_Z39paged_attention_ll4mi_QKV_mfma16_kernelIDF16_hLN4vllm18Fp8KVCacheDataTypeE1EDF16_Li32ELi128ELi256ELb1ELi8EL8MFMAType0EEvPKT_PKT0_S8_ifPKiSA_SA_iPKfiiiPfSD_PS3_PT2_iSC_SC_
; %bb.0:
	s_load_dwordx2 s[6:7], s[4:5], 0x30
	s_add_u32 s0, s0, s11
	s_addc_u32 s1, s1, 0
	s_mov_b32 s26, s9
	s_mov_b64 s[14:15], 0
	s_waitcnt lgkmcnt(0)
	s_cmp_lg_u64 s[6:7], 0
	s_cselect_b64 s[12:13], -1, 0
	s_and_b64 vcc, exec, s[12:13]
	s_cbranch_vccz .LBB645_7
; %bb.1:
	s_add_i32 s16, s8, 1
	s_mov_b32 s17, 0
	s_lshl_b64 s[18:19], s[16:17], 2
	s_add_u32 s18, s6, s18
	s_mov_b32 s9, s17
	s_addc_u32 s19, s7, s19
	s_lshl_b64 s[16:17], s[8:9], 2
	s_add_u32 s16, s6, s16
	s_addc_u32 s17, s7, s17
	s_load_dword s11, s[18:19], 0x0
	s_load_dword s20, s[16:17], 0x0
	s_waitcnt lgkmcnt(0)
	s_sub_i32 s11, s11, s20
	s_cmp_eq_u32 s11, 1
	s_cselect_b64 s[16:17], -1, 0
	s_andn2_b64 vcc, exec, s[14:15]
	s_cbranch_vccnz .LBB645_3
.LBB645_2:
	s_mov_b32 s9, 0
	s_mov_b64 s[16:17], -1
.LBB645_3:
	s_andn2_b64 vcc, exec, s[16:17]
	s_cbranch_vccnz .LBB645_599
; %bb.4:
	s_load_dwordx2 s[16:17], s[4:5], 0x28
	s_lshl_b64 s[14:15], s[8:9], 2
	s_waitcnt lgkmcnt(0)
	s_add_u32 s16, s16, s14
	s_addc_u32 s17, s17, s15
	s_load_dword s33, s[16:17], 0x0
	s_lshl_b32 s20, s26, 8
	s_waitcnt lgkmcnt(0)
	s_cmp_ge_i32 s20, s33
	s_cbranch_scc1 .LBB645_599
; %bb.5:
	s_add_i32 s18, s33, 31
	s_load_dwordx2 s[16:17], s[4:5], 0x20
	s_load_dword s11, s[4:5], 0x38
	s_ashr_i32 s19, s18, 31
	v_and_b32_e32 v1, 0xcf, v0
	s_lshr_b32 s19, s19, 27
	v_add_u32_e32 v1, s20, v1
	s_add_i32 s18, s18, s19
	v_ashrrev_i32_e32 v2, 31, v1
	s_ashr_i32 s23, s18, 5
	v_lshrrev_b32_e32 v4, 27, v2
	s_add_i32 s23, s23, -1
	v_add_u32_e32 v2, v1, v4
	s_waitcnt lgkmcnt(0)
	s_mul_i32 s18, s8, s11
	s_mov_b32 s19, 0
	v_ashrrev_i32_e32 v2, 5, v2
	v_mov_b32_e32 v5, s23
	v_cmp_gt_i32_e32 vcc, s33, v1
	s_lshl_b64 s[18:19], s[18:19], 2
	v_cndmask_b32_e32 v2, v5, v2, vcc
	s_add_u32 s21, s16, s18
	v_ashrrev_i32_e32 v3, 31, v2
	s_addc_u32 s22, s17, s19
	v_lshlrev_b64 v[2:3], 2, v[2:3]
	v_mov_b32_e32 v7, s22
	v_add_co_u32_e32 v6, vcc, s21, v2
	v_or_b32_e32 v2, 16, v1
	v_addc_co_u32_e32 v7, vcc, v7, v3, vcc
	v_add_u32_e32 v3, v2, v4
	v_ashrrev_i32_e32 v3, 5, v3
	v_cmp_gt_i32_e32 vcc, s33, v2
	v_cndmask_b32_e32 v2, v5, v3, vcc
	v_ashrrev_i32_e32 v3, 31, v2
	v_lshlrev_b64 v[2:3], 2, v[2:3]
	v_mov_b32_e32 v9, s22
	v_add_co_u32_e32 v8, vcc, s21, v2
	v_or_b32_e32 v2, 32, v1
	v_addc_co_u32_e32 v9, vcc, v9, v3, vcc
	v_add_u32_e32 v3, v2, v4
	v_ashrrev_i32_e32 v3, 5, v3
	v_cmp_gt_i32_e32 vcc, s33, v2
	v_cndmask_b32_e32 v2, v5, v3, vcc
	v_ashrrev_i32_e32 v3, 31, v2
	;; [unrolled: 10-line block ×3, first 2 shown]
	v_lshlrev_b64 v[2:3], 2, v[2:3]
	v_mov_b32_e32 v1, s22
	v_add_co_u32_e32 v12, vcc, s21, v2
	v_addc_co_u32_e32 v13, vcc, v1, v3, vcc
	global_load_dword v5, v[6:7], off
	global_load_dword v4, v[8:9], off
	;; [unrolled: 1-line block ×4, first 2 shown]
	s_load_dwordx2 s[16:17], s[4:5], 0x8
	s_andn2_b64 vcc, exec, s[12:13]
	s_cbranch_vccnz .LBB645_8
; %bb.6:
	s_add_u32 s6, s6, s14
	s_addc_u32 s7, s7, s15
	s_load_dword s11, s[6:7], 0x0
	s_branch .LBB645_9
.LBB645_7:
	s_mov_b64 s[16:17], 0
	s_branch .LBB645_2
.LBB645_8:
	s_mov_b32 s11, s8
.LBB645_9:
	s_load_dwordx2 s[6:7], s[4:5], 0x10
	s_load_dwordx4 s[12:15], s[4:5], 0x48
	v_and_b32_e32 v41, 15, v0
	v_lshlrev_b32_e32 v6, 3, v41
	s_waitcnt lgkmcnt(0)
	s_movk_i32 s15, 0x80
	v_lshrrev_b32_e32 v27, 6, v0
	v_bfe_u32 v1, v0, 4, 2
	s_lshl_b32 s27, s10, 3
	v_cmp_gt_u32_e32 vcc, s15, v0
	v_lshlrev_b32_e32 v39, 1, v6
	v_lshlrev_b32_e32 v43, 4, v0
	s_and_saveexec_b64 s[18:19], vcc
	s_cbranch_execz .LBB645_11
; %bb.10:
	s_load_dwordx2 s[24:25], s[4:5], 0x0
	s_ashr_i32 s15, s12, 31
	s_mul_hi_u32 s28, s11, s12
	s_mul_i32 s15, s11, s15
	v_lshl_or_b32 v10, v27, 2, v1
	s_add_i32 s29, s28, s15
	s_mul_i32 s28, s11, s12
	s_lshl_b64 s[28:29], s[28:29], 1
	v_add_lshl_u32 v6, v10, s27, 7
	s_waitcnt lgkmcnt(0)
	s_add_u32 s11, s24, s28
	v_ashrrev_i32_e32 v7, 31, v6
	s_addc_u32 s12, s25, s29
	v_lshlrev_b64 v[6:7], 1, v[6:7]
	v_mov_b32_e32 v8, s12
	v_add_co_u32_e32 v6, vcc, s11, v6
	v_addc_co_u32_e32 v7, vcc, v8, v7, vcc
	v_add_co_u32_e32 v6, vcc, v6, v39
	v_addc_co_u32_e32 v7, vcc, 0, v7, vcc
	global_load_dwordx4 v[6:9], v[6:7], off
	v_lshlrev_b32_e32 v12, 8, v0
	v_lshlrev_b32_e32 v11, 8, v41
	v_and_b32_e32 v12, 0x600, v12
	s_movk_i32 s11, 0x800
	v_and_or_b32 v11, v11, s11, v12
	v_lshlrev_b32_e32 v10, 5, v10
	v_and_b32_e32 v12, 16, v43
	v_or3_b32 v10, v11, v10, v12
	s_waitcnt vmcnt(0)
	ds_write_b128 v10, v[6:9]
.LBB645_11:
	s_or_b64 exec, exec, s[18:19]
	s_mul_i32 s14, s10, s14
	s_add_u32 s10, s16, s14
	s_addc_u32 s11, s17, 0
	v_pk_mov_b32 v[6:7], s[10:11], s[10:11] op_sel:[0,1]
	s_waitcnt vmcnt(3)
	v_mad_i64_i32 v[8:9], s[10:11], v5, s13, v[6:7]
	v_lshlrev_b32_e32 v11, 4, v41
	v_and_b32_e32 v18, 48, v0
	v_add_co_u32_e32 v5, vcc, v8, v11
	v_lshlrev_b32_e32 v10, 5, v18
	v_addc_co_u32_e32 v9, vcc, 0, v9, vcc
	v_add_co_u32_e32 v8, vcc, v5, v10
	v_addc_co_u32_e32 v9, vcc, 0, v9, vcc
	s_load_dwordx2 s[48:49], s[4:5], 0x94
	s_waitcnt lgkmcnt(0)
	s_barrier
	global_load_dwordx4 v[20:23], v[8:9], off
	global_load_dwordx4 v[28:31], v[8:9], off offset:2048
	s_waitcnt vmcnt(4)
	v_mad_i64_i32 v[4:5], s[10:11], v4, s13, v[6:7]
	v_or_b32_e32 v8, 0x100, v11
	v_add_co_u32_e32 v4, vcc, v4, v8
	v_addc_co_u32_e32 v5, vcc, 0, v5, vcc
	v_add_co_u32_e32 v4, vcc, v4, v10
	v_addc_co_u32_e32 v5, vcc, 0, v5, vcc
	global_load_dwordx4 v[32:35], v[4:5], off
	global_load_dwordx4 v[44:47], v[4:5], off offset:2048
	s_waitcnt vmcnt(5)
	v_mad_i64_i32 v[4:5], s[10:11], v3, s13, v[6:7]
	v_add_co_u32_e32 v3, vcc, v4, v11
	v_addc_co_u32_e32 v5, vcc, 0, v5, vcc
	v_add_co_u32_e32 v4, vcc, v3, v10
	v_addc_co_u32_e32 v5, vcc, 0, v5, vcc
	s_waitcnt vmcnt(4)
	v_mad_i64_i32 v[2:3], s[10:11], v2, s13, v[6:7]
	v_add_co_u32_e32 v2, vcc, v2, v8
	v_addc_co_u32_e32 v3, vcc, 0, v3, vcc
	v_add_co_u32_e32 v2, vcc, v2, v10
	v_addc_co_u32_e32 v3, vcc, 0, v3, vcc
	global_load_dwordx4 v[48:51], v[4:5], off
	global_load_dwordx4 v[52:55], v[4:5], off offset:2048
	global_load_dwordx4 v[56:59], v[2:3], off
	global_load_dwordx4 v[60:63], v[2:3], off offset:2048
	v_and_b32_e32 v2, 7, v0
	v_lshlrev_b32_e32 v2, 5, v2
	v_lshl_or_b32 v14, v1, 9, v2
	s_load_dwordx2 s[50:51], s[4:5], 0x68
	s_load_dwordx4 s[44:47], s[4:5], 0x58
	ds_read_b128 v[2:5], v14
	ds_read_b128 v[6:9], v14 offset:16
	ds_read_b128 v[10:13], v14 offset:2048
	;; [unrolled: 1-line block ×3, first 2 shown]
	s_mov_b32 s12, 0
	v_cmp_gt_u32_e32 vcc, 8, v41
	s_waitcnt vmcnt(7)
	buffer_store_dword v23, off, s[0:3], 0 offset:12
	buffer_store_dword v22, off, s[0:3], 0 offset:8
	;; [unrolled: 1-line block ×3, first 2 shown]
	buffer_store_dword v20, off, s[0:3], 0
	s_waitcnt vmcnt(10)
	buffer_store_dword v31, off, s[0:3], 0 offset:28
	buffer_store_dword v30, off, s[0:3], 0 offset:24
	buffer_store_dword v29, off, s[0:3], 0 offset:20
	buffer_store_dword v28, off, s[0:3], 0 offset:16
	s_waitcnt vmcnt(13)
	buffer_store_dword v35, off, s[0:3], 0 offset:44
	buffer_store_dword v34, off, s[0:3], 0 offset:40
	buffer_store_dword v33, off, s[0:3], 0 offset:36
	buffer_store_dword v32, off, s[0:3], 0 offset:32
	s_waitcnt vmcnt(16)
	buffer_store_dword v47, off, s[0:3], 0 offset:60
	buffer_store_dword v46, off, s[0:3], 0 offset:56
	buffer_store_dword v45, off, s[0:3], 0 offset:52
	buffer_store_dword v44, off, s[0:3], 0 offset:48
	s_waitcnt vmcnt(19)
	buffer_store_dword v51, off, s[0:3], 0 offset:76
	buffer_store_dword v50, off, s[0:3], 0 offset:72
	buffer_store_dword v49, off, s[0:3], 0 offset:68
	buffer_store_dword v48, off, s[0:3], 0 offset:64
	s_waitcnt vmcnt(22)
	buffer_store_dword v55, off, s[0:3], 0 offset:92
	buffer_store_dword v54, off, s[0:3], 0 offset:88
	buffer_store_dword v53, off, s[0:3], 0 offset:84
	buffer_store_dword v52, off, s[0:3], 0 offset:80
	s_waitcnt vmcnt(25)
	buffer_store_dword v59, off, s[0:3], 0 offset:108
	buffer_store_dword v58, off, s[0:3], 0 offset:104
	buffer_store_dword v57, off, s[0:3], 0 offset:100
	buffer_store_dword v56, off, s[0:3], 0 offset:96
	s_waitcnt vmcnt(28)
	buffer_store_dword v60, off, s[0:3], 0 offset:112
	buffer_store_dword v61, off, s[0:3], 0 offset:116
	buffer_store_dword v62, off, s[0:3], 0 offset:120
	buffer_store_dword v63, off, s[0:3], 0 offset:124
	v_mov_b32_e32 v35, 0
	v_mov_b32_e32 v31, 0
	s_and_saveexec_b64 s[10:11], vcc
	s_cbranch_execz .LBB645_13
; %bb.12:
	s_load_dwordx2 s[16:17], s[4:5], 0x40
	v_or_b32_e32 v20, s27, v41
	v_ashrrev_i32_e32 v21, 31, v20
	v_lshlrev_b64 v[20:21], 2, v[20:21]
	s_waitcnt lgkmcnt(0)
	v_mov_b32_e32 v19, s17
	v_add_co_u32_e32 v20, vcc, s16, v20
	v_addc_co_u32_e32 v21, vcc, v19, v21, vcc
	global_load_dword v31, v[20:21], off
.LBB645_13:
	s_or_b64 exec, exec, s[10:11]
	s_ashr_i32 s10, s20, 31
	v_or_b32_e32 v24, s20, v18
	s_lshr_b32 s10, s10, 27
	v_add_u32_e32 v18, s10, v24
	v_ashrrev_i32_e32 v18, 5, v18
	v_mov_b32_e32 v25, s23
	v_cmp_gt_i32_e32 vcc, s33, v24
	v_cndmask_b32_e32 v18, v25, v18, vcc
	v_ashrrev_i32_e32 v19, 31, v18
	v_lshlrev_b64 v[18:19], 2, v[18:19]
	v_mov_b32_e32 v20, s22
	v_add_co_u32_e32 v18, vcc, s21, v18
	v_addc_co_u32_e32 v19, vcc, v20, v19, vcc
	v_or_b32_e32 v20, 64, v24
	v_add_u32_e32 v21, s10, v20
	v_ashrrev_i32_e32 v21, 5, v21
	v_cmp_gt_i32_e32 vcc, s33, v20
	v_cndmask_b32_e32 v20, v25, v21, vcc
	v_ashrrev_i32_e32 v21, 31, v20
	v_lshlrev_b64 v[20:21], 2, v[20:21]
	v_mov_b32_e32 v22, s22
	v_add_co_u32_e32 v20, vcc, s21, v20
	v_addc_co_u32_e32 v21, vcc, v22, v21, vcc
	v_or_b32_e32 v22, 0x80, v24
	v_add_u32_e32 v23, s10, v22
	v_ashrrev_i32_e32 v23, 5, v23
	v_cmp_gt_i32_e32 vcc, s33, v22
	v_cndmask_b32_e32 v22, v25, v23, vcc
	v_ashrrev_i32_e32 v23, 31, v22
	v_lshlrev_b64 v[22:23], 2, v[22:23]
	v_mov_b32_e32 v26, s22
	v_add_co_u32_e32 v22, vcc, s21, v22
	v_addc_co_u32_e32 v23, vcc, v26, v23, vcc
	global_load_dword v26, v[18:19], off
	global_load_dword v28, v[20:21], off
	;; [unrolled: 1-line block ×3, first 2 shown]
	v_or_b32_e32 v18, 0xc0, v24
	v_add_u32_e32 v19, s10, v18
	v_ashrrev_i32_e32 v19, 5, v19
	v_cmp_gt_i32_e32 vcc, s33, v18
	v_cndmask_b32_e32 v18, v25, v19, vcc
	v_ashrrev_i32_e32 v19, 31, v18
	v_lshlrev_b64 v[18:19], 2, v[18:19]
	v_mov_b32_e32 v20, s22
	v_add_co_u32_e32 v18, vcc, s21, v18
	v_addc_co_u32_e32 v19, vcc, v20, v19, vcc
	global_load_dword v32, v[18:19], off
	s_add_u32 s6, s6, s14
	v_and_b32_e32 v18, 16, v0
	s_addc_u32 s7, s7, 0
	v_lshl_or_b32 v29, v27, 4, v41
	v_mov_b32_e32 v20, s7
	v_add_co_u32_e32 v34, vcc, s6, v18
	v_lshlrev_b32_e32 v19, 5, v29
	v_addc_co_u32_e32 v36, vcc, 0, v20, vcc
	v_add_co_u32_e32 v22, vcc, v34, v19
	v_addc_co_u32_e32 v23, vcc, 0, v36, vcc
	v_or_b32_e32 v33, 0x800, v19
	s_movk_i32 s14, 0x7f
	s_mov_b32 s15, 0xffffff
	v_mov_b32_e32 v37, 0x100
	v_bfrev_b32_e32 v38, 60
	s_waitcnt vmcnt(3)
	v_mad_i64_i32 v[18:19], s[6:7], v26, s13, v[22:23]
	s_waitcnt vmcnt(2)
	v_mad_i64_i32 v[24:25], s[6:7], v28, s13, v[22:23]
	global_load_dwordx4 v[18:21], v[18:19], off
	s_nop 0
	global_load_dwordx4 v[52:55], v[24:25], off
	s_waitcnt vmcnt(3)
	v_mad_i64_i32 v[24:25], s[6:7], v30, s13, v[22:23]
	s_waitcnt vmcnt(2)
	v_mad_i64_i32 v[22:23], s[6:7], v32, s13, v[22:23]
	global_load_dwordx4 v[56:59], v[24:25], off
	global_load_dwordx4 v[60:63], v[22:23], off
	v_add_co_u32_e32 v22, vcc, v34, v33
	v_addc_co_u32_e32 v23, vcc, 0, v36, vcc
	v_mad_i64_i32 v[24:25], s[6:7], v26, s13, v[22:23]
	global_load_dwordx4 v[64:67], v[24:25], off
	v_mad_i64_i32 v[24:25], s[6:7], v28, s13, v[22:23]
	global_load_dwordx4 v[68:71], v[24:25], off
	;; [unrolled: 2-line block ×4, first 2 shown]
	s_load_dword s6, s[4:5], 0x1c
	s_load_dwordx4 s[40:43], s[4:5], 0x80
	v_mov_b32_e32 v22, 0x80
	v_add_u32_e32 v45, 16, v22
	v_add_u32_e32 v46, 32, v22
	;; [unrolled: 1-line block ×3, first 2 shown]
	s_waitcnt lgkmcnt(0)
	s_load_dword s4, s[40:41], 0x0
	v_add_u32_e32 v51, 64, v22
	v_add_u32_e32 v48, 0x50, v22
	v_add_u32_e32 v50, 0x60, v22
	v_add_u32_e32 v49, 0x70, v22
	v_mov_b32_e32 v22, s6
	s_waitcnt lgkmcnt(0)
	v_mul_f32_e32 v22, s4, v22
	v_and_b32_e32 v33, 63, v0
	s_movk_i32 s13, 0x80
	v_mov_b32_e32 v36, 0
	v_mov_b32_e32 v24, v22
	;; [unrolled: 1-line block ×3, first 2 shown]
	s_waitcnt vmcnt(7)
	buffer_store_dword v21, off, s[0:3], 0 offset:140
	buffer_store_dword v20, off, s[0:3], 0 offset:136
	buffer_store_dword v19, off, s[0:3], 0 offset:132
	buffer_store_dword v18, off, s[0:3], 0 offset:128
	s_waitcnt vmcnt(10)
	buffer_store_dword v55, off, s[0:3], 0 offset:172
	buffer_store_dword v54, off, s[0:3], 0 offset:168
	buffer_store_dword v53, off, s[0:3], 0 offset:164
	buffer_store_dword v52, off, s[0:3], 0 offset:160
	;; [unrolled: 5-line block ×8, first 2 shown]
	s_branch .LBB645_17
.LBB645_14:                             ;   in Loop: Header=BB645_17 Depth=1
	s_or_b64 exec, exec, s[10:11]
.LBB645_15:                             ;   in Loop: Header=BB645_17 Depth=1
	s_or_b64 exec, exec, s[6:7]
.LBB645_16:                             ;   in Loop: Header=BB645_17 Depth=1
	s_or_b64 exec, exec, s[4:5]
	v_cvt_pkrtz_f16_f32 v54, v34, v32
	v_cvt_pkrtz_f16_f32 v55, v23, v42
	v_add_u32_e32 v26, s12, v37
	s_add_i32 s12, s12, 16
	v_mov_b32_e32 v23, v22
	v_mfma_f32_16x16x16f16 v[18:21], v[54:55], v[14:15], v[18:21]
	v_cvt_pkrtz_f16_f32 v54, v40, v44
	v_cvt_pkrtz_f16_f32 v55, v30, v52
	s_cmp_eq_u32 s12, 64
	v_add_u32_e32 v36, 32, v36
	v_mfma_f32_16x16x16f16 v[18:21], v[54:55], v[16:17], v[18:21]
	s_nop 7
	s_nop 2
	v_pk_mul_f32 v[18:19], v[24:25], v[18:19]
	v_pk_mul_f32 v[20:21], v[22:23], v[20:21]
	buffer_store_dword v19, v26, s[0:3], 0 offen offset:4
	buffer_store_dword v18, v26, s[0:3], 0 offen
	buffer_store_dword v21, v26, s[0:3], 0 offen offset:12
	buffer_store_dword v20, v26, s[0:3], 0 offen offset:8
	s_cbranch_scc1 .LBB645_207
.LBB645_17:                             ; =>This Inner Loop Header: Depth=1
	buffer_load_dword v20, v36, s[0:3], 0 offen
	buffer_load_dword v18, v36, s[0:3], 0 offen offset:4
	buffer_load_dword v28, v36, s[0:3], 0 offen offset:8
	;; [unrolled: 1-line block ×3, first 2 shown]
	v_mov_b32_e32 v19, 0
	v_mov_b32_e32 v21, 0
	s_waitcnt vmcnt(3)
	v_cmp_ne_u16_sdwa s[6:7], v20, v35 src0_sel:BYTE_0 src1_sel:DWORD
	s_and_saveexec_b64 s[4:5], s[6:7]
	s_cbranch_execz .LBB645_23
; %bb.18:                               ;   in Loop: Header=BB645_17 Depth=1
	v_cmp_ne_u16_sdwa s[10:11], v20, s13 src0_sel:BYTE_0 src1_sel:DWORD
	v_bfrev_b32_e32 v21, 1
	s_and_saveexec_b64 s[6:7], s[10:11]
	s_cbranch_execz .LBB645_22
; %bb.19:                               ;   in Loop: Header=BB645_17 Depth=1
	v_and_b32_e32 v23, 0x7f, v20
	v_cmp_ne_u32_e32 vcc, s14, v23
	v_mov_b32_e32 v21, 0x7f800001
	s_and_saveexec_b64 s[10:11], vcc
	s_cbranch_execz .LBB645_21
; %bb.20:                               ;   in Loop: Header=BB645_17 Depth=1
	v_and_b32_e32 v21, 7, v20
	v_ffbh_u32_e32 v32, v21
	v_min_u32_e32 v32, 32, v32
	v_subrev_u32_e32 v34, 28, v32
	v_lshlrev_b64 v[52:53], v34, v[20:21]
	v_lshrrev_b32_e32 v30, 3, v23
	v_sub_u32_e32 v32, 29, v32
	v_and_b32_e32 v34, 7, v52
	v_cmp_gt_u32_e32 vcc, 8, v23
	v_cndmask_b32_e32 v23, v30, v32, vcc
	v_cndmask_b32_e32 v21, v21, v34, vcc
	v_lshlrev_b32_e32 v30, 24, v20
	v_lshlrev_b32_e32 v21, 20, v21
	v_and_b32_e32 v30, 0x80000000, v30
	v_lshl_add_u32 v23, v23, 23, v38
	v_or3_b32 v21, v30, v23, v21
.LBB645_21:                             ;   in Loop: Header=BB645_17 Depth=1
	s_or_b64 exec, exec, s[10:11]
.LBB645_22:                             ;   in Loop: Header=BB645_17 Depth=1
	s_or_b64 exec, exec, s[6:7]
.LBB645_23:                             ;   in Loop: Header=BB645_17 Depth=1
	s_or_b64 exec, exec, s[4:5]
	v_lshrrev_b16_e32 v30, 8, v20
	v_cmp_ne_u16_e32 vcc, 0, v30
	s_and_saveexec_b64 s[4:5], vcc
	s_cbranch_execz .LBB645_29
; %bb.24:                               ;   in Loop: Header=BB645_17 Depth=1
	v_cmp_ne_u16_e32 vcc, s13, v30
	v_bfrev_b32_e32 v19, 1
	s_and_saveexec_b64 s[6:7], vcc
	s_cbranch_execz .LBB645_28
; %bb.25:                               ;   in Loop: Header=BB645_17 Depth=1
	v_and_b32_e32 v23, 0x7f, v30
	v_cmp_ne_u32_e32 vcc, s14, v23
	v_mov_b32_e32 v19, 0x7f800001
	s_and_saveexec_b64 s[10:11], vcc
	s_cbranch_execz .LBB645_27
; %bb.26:                               ;   in Loop: Header=BB645_17 Depth=1
	v_and_b32_e32 v19, 7, v30
	v_ffbh_u32_e32 v34, v19
	v_min_u32_e32 v34, 32, v34
	v_subrev_u32_e32 v40, 28, v34
	v_lshlrev_b64 v[52:53], v40, v[30:31]
	v_lshrrev_b32_e32 v32, 3, v23
	v_sub_u32_e32 v30, 29, v34
	v_and_b32_e32 v34, 7, v52
	v_cmp_gt_u32_e32 vcc, 8, v23
	v_cndmask_b32_e32 v23, v32, v30, vcc
	v_cndmask_b32_e32 v19, v19, v34, vcc
	v_lshlrev_b32_e32 v30, 16, v20
	v_lshlrev_b32_e32 v19, 20, v19
	v_and_b32_e32 v30, 0x80000000, v30
	v_lshl_add_u32 v23, v23, 23, v38
	v_or3_b32 v19, v30, v23, v19
.LBB645_27:                             ;   in Loop: Header=BB645_17 Depth=1
	s_or_b64 exec, exec, s[10:11]
.LBB645_28:                             ;   in Loop: Header=BB645_17 Depth=1
	s_or_b64 exec, exec, s[6:7]
.LBB645_29:                             ;   in Loop: Header=BB645_17 Depth=1
	s_or_b64 exec, exec, s[4:5]
	v_lshrrev_b32_e32 v30, 16, v20
	v_cmp_ne_u16_sdwa s[6:7], v30, v35 src0_sel:BYTE_0 src1_sel:DWORD
	v_mov_b32_e32 v32, 0
	v_mov_b32_e32 v23, 0
	s_and_saveexec_b64 s[4:5], s[6:7]
	s_cbranch_execz .LBB645_35
; %bb.30:                               ;   in Loop: Header=BB645_17 Depth=1
	v_cmp_ne_u16_sdwa s[10:11], v30, s13 src0_sel:BYTE_0 src1_sel:DWORD
	v_bfrev_b32_e32 v23, 1
	s_and_saveexec_b64 s[6:7], s[10:11]
	s_cbranch_execz .LBB645_34
; %bb.31:                               ;   in Loop: Header=BB645_17 Depth=1
	v_bfe_u32 v34, v20, 16, 7
	v_cmp_ne_u32_e32 vcc, s14, v34
	v_mov_b32_e32 v23, 0x7f800001
	s_and_saveexec_b64 s[10:11], vcc
	s_cbranch_execz .LBB645_33
; %bb.32:                               ;   in Loop: Header=BB645_17 Depth=1
	v_and_b32_e32 v23, 7, v30
	v_ffbh_u32_e32 v42, v23
	v_min_u32_e32 v42, 32, v42
	v_subrev_u32_e32 v44, 28, v42
	v_lshlrev_b64 v[52:53], v44, v[30:31]
	v_lshrrev_b32_e32 v40, 3, v34
	v_sub_u32_e32 v42, 29, v42
	v_and_b32_e32 v44, 7, v52
	v_cmp_gt_u32_e32 vcc, 8, v34
	v_cndmask_b32_e32 v34, v40, v42, vcc
	v_cndmask_b32_e32 v23, v23, v44, vcc
	v_lshlrev_b32_e32 v30, 24, v30
	v_lshlrev_b32_e32 v23, 20, v23
	v_and_b32_e32 v30, 0x80000000, v30
	v_lshl_add_u32 v34, v34, 23, v38
	v_or3_b32 v23, v30, v34, v23
.LBB645_33:                             ;   in Loop: Header=BB645_17 Depth=1
	s_or_b64 exec, exec, s[10:11]
.LBB645_34:                             ;   in Loop: Header=BB645_17 Depth=1
	s_or_b64 exec, exec, s[6:7]
.LBB645_35:                             ;   in Loop: Header=BB645_17 Depth=1
	s_or_b64 exec, exec, s[4:5]
	v_cmp_lt_u32_e32 vcc, s15, v20
	s_and_saveexec_b64 s[4:5], vcc
	s_cbranch_execz .LBB645_41
; %bb.36:                               ;   in Loop: Header=BB645_17 Depth=1
	v_lshrrev_b32_e32 v30, 24, v20
	v_cmp_ne_u32_e32 vcc, s13, v30
	v_bfrev_b32_e32 v32, 1
	s_and_saveexec_b64 s[6:7], vcc
	s_cbranch_execz .LBB645_40
; %bb.37:                               ;   in Loop: Header=BB645_17 Depth=1
	v_bfe_u32 v20, v20, 24, 7
	v_cmp_ne_u32_e32 vcc, s14, v20
	v_mov_b32_e32 v32, 0x7f800001
	s_and_saveexec_b64 s[10:11], vcc
	s_cbranch_execz .LBB645_39
; %bb.38:                               ;   in Loop: Header=BB645_17 Depth=1
	v_and_b32_e32 v32, 7, v30
	v_ffbh_u32_e32 v40, v32
	v_min_u32_e32 v40, 32, v40
	v_subrev_u32_e32 v42, 28, v40
	v_lshlrev_b64 v[52:53], v42, v[30:31]
	v_lshrrev_b32_e32 v34, 3, v20
	v_sub_u32_e32 v40, 29, v40
	v_and_b32_e32 v42, 7, v52
	v_cmp_gt_u32_e32 vcc, 8, v20
	v_cndmask_b32_e32 v20, v34, v40, vcc
	v_cndmask_b32_e32 v32, v32, v42, vcc
	v_lshlrev_b32_e32 v30, 24, v30
	v_lshlrev_b32_e32 v32, 20, v32
	v_and_b32_e32 v30, 0x80000000, v30
	v_lshl_add_u32 v20, v20, 23, v38
	v_or3_b32 v32, v30, v20, v32
.LBB645_39:                             ;   in Loop: Header=BB645_17 Depth=1
	s_or_b64 exec, exec, s[10:11]
.LBB645_40:                             ;   in Loop: Header=BB645_17 Depth=1
	s_or_b64 exec, exec, s[6:7]
.LBB645_41:                             ;   in Loop: Header=BB645_17 Depth=1
	s_or_b64 exec, exec, s[4:5]
	s_waitcnt vmcnt(2)
	v_cmp_ne_u16_sdwa s[6:7], v18, v35 src0_sel:BYTE_0 src1_sel:DWORD
	v_mov_b32_e32 v30, 0
	v_mov_b32_e32 v34, 0
	s_and_saveexec_b64 s[4:5], s[6:7]
	s_cbranch_execz .LBB645_47
; %bb.42:                               ;   in Loop: Header=BB645_17 Depth=1
	v_cmp_ne_u16_sdwa s[10:11], v18, s13 src0_sel:BYTE_0 src1_sel:DWORD
	v_bfrev_b32_e32 v34, 1
	s_and_saveexec_b64 s[6:7], s[10:11]
	s_cbranch_execz .LBB645_46
; %bb.43:                               ;   in Loop: Header=BB645_17 Depth=1
	v_and_b32_e32 v20, 0x7f, v18
	v_cmp_ne_u32_e32 vcc, s14, v20
	v_mov_b32_e32 v34, 0x7f800001
	s_and_saveexec_b64 s[10:11], vcc
	s_cbranch_execz .LBB645_45
; %bb.44:                               ;   in Loop: Header=BB645_17 Depth=1
	v_and_b32_e32 v34, 7, v18
	v_ffbh_u32_e32 v42, v34
	v_min_u32_e32 v42, 32, v42
	v_subrev_u32_e32 v44, 28, v42
	v_lshlrev_b64 v[52:53], v44, v[18:19]
	v_lshrrev_b32_e32 v40, 3, v20
	v_sub_u32_e32 v42, 29, v42
	v_and_b32_e32 v44, 7, v52
	v_cmp_gt_u32_e32 vcc, 8, v20
	v_cndmask_b32_e32 v20, v40, v42, vcc
	v_cndmask_b32_e32 v34, v34, v44, vcc
	v_lshlrev_b32_e32 v40, 24, v18
	v_lshlrev_b32_e32 v34, 20, v34
	v_and_b32_e32 v40, 0x80000000, v40
	v_lshl_add_u32 v20, v20, 23, v38
	v_or3_b32 v34, v40, v20, v34
.LBB645_45:                             ;   in Loop: Header=BB645_17 Depth=1
	s_or_b64 exec, exec, s[10:11]
.LBB645_46:                             ;   in Loop: Header=BB645_17 Depth=1
	s_or_b64 exec, exec, s[6:7]
.LBB645_47:                             ;   in Loop: Header=BB645_17 Depth=1
	s_or_b64 exec, exec, s[4:5]
	v_lshrrev_b16_e32 v20, 8, v18
	v_cmp_ne_u16_e32 vcc, 0, v20
	s_and_saveexec_b64 s[4:5], vcc
	s_cbranch_execz .LBB645_53
; %bb.48:                               ;   in Loop: Header=BB645_17 Depth=1
	v_cmp_ne_u16_e32 vcc, s13, v20
	v_bfrev_b32_e32 v30, 1
	s_and_saveexec_b64 s[6:7], vcc
	s_cbranch_execz .LBB645_52
; %bb.49:                               ;   in Loop: Header=BB645_17 Depth=1
	v_and_b32_e32 v40, 0x7f, v20
	v_cmp_ne_u32_e32 vcc, s14, v40
	v_mov_b32_e32 v30, 0x7f800001
	s_and_saveexec_b64 s[10:11], vcc
	s_cbranch_execz .LBB645_51
; %bb.50:                               ;   in Loop: Header=BB645_17 Depth=1
	v_and_b32_e32 v30, 7, v20
	v_ffbh_u32_e32 v44, v30
	v_min_u32_e32 v44, 32, v44
	v_subrev_u32_e32 v52, 28, v44
	v_lshlrev_b64 v[52:53], v52, v[20:21]
	v_lshrrev_b32_e32 v42, 3, v40
	v_sub_u32_e32 v20, 29, v44
	v_and_b32_e32 v44, 7, v52
	v_cmp_gt_u32_e32 vcc, 8, v40
	v_cndmask_b32_e32 v20, v42, v20, vcc
	v_cndmask_b32_e32 v30, v30, v44, vcc
	v_lshlrev_b32_e32 v40, 16, v18
	v_lshlrev_b32_e32 v30, 20, v30
	v_and_b32_e32 v40, 0x80000000, v40
	v_lshl_add_u32 v20, v20, 23, v38
	v_or3_b32 v30, v40, v20, v30
.LBB645_51:                             ;   in Loop: Header=BB645_17 Depth=1
	s_or_b64 exec, exec, s[10:11]
.LBB645_52:                             ;   in Loop: Header=BB645_17 Depth=1
	s_or_b64 exec, exec, s[6:7]
.LBB645_53:                             ;   in Loop: Header=BB645_17 Depth=1
	s_or_b64 exec, exec, s[4:5]
	v_lshrrev_b32_e32 v20, 16, v18
	v_cmp_ne_u16_sdwa s[6:7], v20, v35 src0_sel:BYTE_0 src1_sel:DWORD
	v_mov_b32_e32 v42, 0
	v_mov_b32_e32 v40, 0
	s_and_saveexec_b64 s[4:5], s[6:7]
	s_cbranch_execz .LBB645_59
; %bb.54:                               ;   in Loop: Header=BB645_17 Depth=1
	v_cmp_ne_u16_sdwa s[10:11], v20, s13 src0_sel:BYTE_0 src1_sel:DWORD
	v_bfrev_b32_e32 v40, 1
	s_and_saveexec_b64 s[6:7], s[10:11]
	s_cbranch_execz .LBB645_58
; %bb.55:                               ;   in Loop: Header=BB645_17 Depth=1
	v_bfe_u32 v44, v18, 16, 7
	v_cmp_ne_u32_e32 vcc, s14, v44
	v_mov_b32_e32 v40, 0x7f800001
	s_and_saveexec_b64 s[10:11], vcc
	s_cbranch_execz .LBB645_57
; %bb.56:                               ;   in Loop: Header=BB645_17 Depth=1
	v_and_b32_e32 v40, 7, v20
	v_ffbh_u32_e32 v52, v40
	v_min_u32_e32 v55, 32, v52
	v_subrev_u32_e32 v52, 28, v55
	v_lshlrev_b64 v[52:53], v52, v[20:21]
	v_lshrrev_b32_e32 v54, 3, v44
	v_sub_u32_e32 v53, 29, v55
	v_and_b32_e32 v52, 7, v52
	v_cmp_gt_u32_e32 vcc, 8, v44
	v_cndmask_b32_e32 v44, v54, v53, vcc
	v_cndmask_b32_e32 v40, v40, v52, vcc
	v_lshlrev_b32_e32 v20, 24, v20
	v_lshlrev_b32_e32 v40, 20, v40
	v_and_b32_e32 v20, 0x80000000, v20
	v_lshl_add_u32 v44, v44, 23, v38
	v_or3_b32 v40, v20, v44, v40
.LBB645_57:                             ;   in Loop: Header=BB645_17 Depth=1
	s_or_b64 exec, exec, s[10:11]
.LBB645_58:                             ;   in Loop: Header=BB645_17 Depth=1
	s_or_b64 exec, exec, s[6:7]
.LBB645_59:                             ;   in Loop: Header=BB645_17 Depth=1
	s_or_b64 exec, exec, s[4:5]
	v_cmp_lt_u32_e32 vcc, s15, v18
	s_and_saveexec_b64 s[4:5], vcc
	s_cbranch_execz .LBB645_65
; %bb.60:                               ;   in Loop: Header=BB645_17 Depth=1
	v_lshrrev_b32_e32 v20, 24, v18
	v_cmp_ne_u32_e32 vcc, s13, v20
	v_bfrev_b32_e32 v42, 1
	s_and_saveexec_b64 s[6:7], vcc
	s_cbranch_execz .LBB645_64
; %bb.61:                               ;   in Loop: Header=BB645_17 Depth=1
	v_bfe_u32 v18, v18, 24, 7
	v_cmp_ne_u32_e32 vcc, s14, v18
	v_mov_b32_e32 v42, 0x7f800001
	s_and_saveexec_b64 s[10:11], vcc
	s_cbranch_execz .LBB645_63
; %bb.62:                               ;   in Loop: Header=BB645_17 Depth=1
	v_and_b32_e32 v42, 7, v20
	v_ffbh_u32_e32 v52, v42
	v_min_u32_e32 v54, 32, v52
	v_subrev_u32_e32 v52, 28, v54
	v_lshlrev_b64 v[52:53], v52, v[20:21]
	v_lshrrev_b32_e32 v44, 3, v18
	v_sub_u32_e32 v53, 29, v54
	v_and_b32_e32 v52, 7, v52
	v_cmp_gt_u32_e32 vcc, 8, v18
	v_cndmask_b32_e32 v18, v44, v53, vcc
	v_cndmask_b32_e32 v42, v42, v52, vcc
	v_lshlrev_b32_e32 v20, 24, v20
	v_lshlrev_b32_e32 v42, 20, v42
	v_and_b32_e32 v20, 0x80000000, v20
	v_lshl_add_u32 v18, v18, 23, v38
	v_or3_b32 v42, v20, v18, v42
.LBB645_63:                             ;   in Loop: Header=BB645_17 Depth=1
	s_or_b64 exec, exec, s[10:11]
.LBB645_64:                             ;   in Loop: Header=BB645_17 Depth=1
	s_or_b64 exec, exec, s[6:7]
.LBB645_65:                             ;   in Loop: Header=BB645_17 Depth=1
	s_or_b64 exec, exec, s[4:5]
	v_cvt_pkrtz_f16_f32 v18, v21, v19
	v_cvt_pkrtz_f16_f32 v19, v23, v32
	;; [unrolled: 1-line block ×4, first 2 shown]
	v_mov_b32_e32 v32, 0
	v_mfma_f32_16x16x16f16 v[18:21], v[18:19], v[2:3], 0
	s_waitcnt vmcnt(1)
	v_cmp_ne_u16_sdwa s[6:7], v28, v35 src0_sel:BYTE_0 src1_sel:DWORD
	v_mov_b32_e32 v34, 0
	v_mfma_f32_16x16x16f16 v[18:21], v[52:53], v[4:5], v[18:21]
	s_and_saveexec_b64 s[4:5], s[6:7]
	s_cbranch_execz .LBB645_71
; %bb.66:                               ;   in Loop: Header=BB645_17 Depth=1
	v_cmp_ne_u16_sdwa s[10:11], v28, s13 src0_sel:BYTE_0 src1_sel:DWORD
	v_bfrev_b32_e32 v34, 1
	s_and_saveexec_b64 s[6:7], s[10:11]
	s_cbranch_execz .LBB645_70
; %bb.67:                               ;   in Loop: Header=BB645_17 Depth=1
	v_and_b32_e32 v23, 0x7f, v28
	v_cmp_ne_u32_e32 vcc, s14, v23
	v_mov_b32_e32 v34, 0x7f800001
	s_and_saveexec_b64 s[10:11], vcc
	s_cbranch_execz .LBB645_69
; %bb.68:                               ;   in Loop: Header=BB645_17 Depth=1
	v_and_b32_e32 v30, 7, v28
	v_ffbh_u32_e32 v40, v30
	v_min_u32_e32 v40, 32, v40
	v_subrev_u32_e32 v42, 28, v40
	v_lshlrev_b64 v[52:53], v42, v[28:29]
	v_lshrrev_b32_e32 v34, 3, v23
	v_sub_u32_e32 v40, 29, v40
	v_and_b32_e32 v42, 7, v52
	v_cmp_gt_u32_e32 vcc, 8, v23
	v_cndmask_b32_e32 v23, v34, v40, vcc
	v_cndmask_b32_e32 v30, v30, v42, vcc
	v_lshlrev_b32_e32 v34, 24, v28
	v_lshlrev_b32_e32 v30, 20, v30
	v_and_b32_e32 v34, 0x80000000, v34
	v_lshl_add_u32 v23, v23, 23, v38
	v_or3_b32 v34, v34, v23, v30
.LBB645_69:                             ;   in Loop: Header=BB645_17 Depth=1
	s_or_b64 exec, exec, s[10:11]
.LBB645_70:                             ;   in Loop: Header=BB645_17 Depth=1
	s_or_b64 exec, exec, s[6:7]
.LBB645_71:                             ;   in Loop: Header=BB645_17 Depth=1
	s_or_b64 exec, exec, s[4:5]
	v_lshrrev_b16_e32 v30, 8, v28
	v_cmp_ne_u16_e32 vcc, 0, v30
	v_mov_b32_e32 v40, 0
	s_and_saveexec_b64 s[4:5], vcc
	s_cbranch_execz .LBB645_77
; %bb.72:                               ;   in Loop: Header=BB645_17 Depth=1
	v_cmp_ne_u16_e32 vcc, s13, v30
	v_bfrev_b32_e32 v40, 1
	s_and_saveexec_b64 s[6:7], vcc
	s_cbranch_execz .LBB645_76
; %bb.73:                               ;   in Loop: Header=BB645_17 Depth=1
	v_and_b32_e32 v23, 0x7f, v30
	v_cmp_ne_u32_e32 vcc, s14, v23
	v_mov_b32_e32 v40, 0x7f800001
	s_and_saveexec_b64 s[10:11], vcc
	s_cbranch_execz .LBB645_75
; %bb.74:                               ;   in Loop: Header=BB645_17 Depth=1
	v_and_b32_e32 v40, 7, v30
	v_ffbh_u32_e32 v44, v40
	v_min_u32_e32 v44, 32, v44
	v_subrev_u32_e32 v52, 28, v44
	v_lshlrev_b64 v[52:53], v52, v[30:31]
	v_lshrrev_b32_e32 v42, 3, v23
	v_sub_u32_e32 v30, 29, v44
	v_and_b32_e32 v44, 7, v52
	v_cmp_gt_u32_e32 vcc, 8, v23
	v_cndmask_b32_e32 v23, v42, v30, vcc
	v_cndmask_b32_e32 v30, v40, v44, vcc
	v_lshlrev_b32_e32 v40, 16, v28
	v_lshlrev_b32_e32 v30, 20, v30
	v_and_b32_e32 v40, 0x80000000, v40
	v_lshl_add_u32 v23, v23, 23, v38
	v_or3_b32 v40, v40, v23, v30
.LBB645_75:                             ;   in Loop: Header=BB645_17 Depth=1
	s_or_b64 exec, exec, s[10:11]
.LBB645_76:                             ;   in Loop: Header=BB645_17 Depth=1
	s_or_b64 exec, exec, s[6:7]
.LBB645_77:                             ;   in Loop: Header=BB645_17 Depth=1
	s_or_b64 exec, exec, s[4:5]
	v_lshrrev_b32_e32 v30, 16, v28
	v_cmp_ne_u16_sdwa s[6:7], v30, v35 src0_sel:BYTE_0 src1_sel:DWORD
	s_and_saveexec_b64 s[4:5], s[6:7]
	s_cbranch_execz .LBB645_83
; %bb.78:                               ;   in Loop: Header=BB645_17 Depth=1
	v_cmp_ne_u16_sdwa s[10:11], v30, s13 src0_sel:BYTE_0 src1_sel:DWORD
	v_bfrev_b32_e32 v32, 1
	s_and_saveexec_b64 s[6:7], s[10:11]
	s_cbranch_execz .LBB645_82
; %bb.79:                               ;   in Loop: Header=BB645_17 Depth=1
	v_bfe_u32 v23, v28, 16, 7
	v_cmp_ne_u32_e32 vcc, s14, v23
	v_mov_b32_e32 v32, 0x7f800001
	s_and_saveexec_b64 s[10:11], vcc
	s_cbranch_execz .LBB645_81
; %bb.80:                               ;   in Loop: Header=BB645_17 Depth=1
	v_and_b32_e32 v32, 7, v30
	v_ffbh_u32_e32 v44, v32
	v_min_u32_e32 v44, 32, v44
	v_subrev_u32_e32 v52, 28, v44
	v_lshlrev_b64 v[52:53], v52, v[30:31]
	v_lshrrev_b32_e32 v42, 3, v23
	v_sub_u32_e32 v44, 29, v44
	v_and_b32_e32 v52, 7, v52
	v_cmp_gt_u32_e32 vcc, 8, v23
	v_cndmask_b32_e32 v23, v42, v44, vcc
	v_cndmask_b32_e32 v32, v32, v52, vcc
	v_lshlrev_b32_e32 v30, 24, v30
	v_lshlrev_b32_e32 v32, 20, v32
	v_and_b32_e32 v30, 0x80000000, v30
	v_lshl_add_u32 v23, v23, 23, v38
	v_or3_b32 v32, v30, v23, v32
.LBB645_81:                             ;   in Loop: Header=BB645_17 Depth=1
	s_or_b64 exec, exec, s[10:11]
.LBB645_82:                             ;   in Loop: Header=BB645_17 Depth=1
	s_or_b64 exec, exec, s[6:7]
.LBB645_83:                             ;   in Loop: Header=BB645_17 Depth=1
	s_or_b64 exec, exec, s[4:5]
	v_cmp_lt_u32_e32 vcc, s15, v28
	v_mov_b32_e32 v42, 0
	v_mov_b32_e32 v44, 0
	s_and_saveexec_b64 s[4:5], vcc
	s_cbranch_execz .LBB645_89
; %bb.84:                               ;   in Loop: Header=BB645_17 Depth=1
	v_lshrrev_b32_e32 v30, 24, v28
	v_cmp_ne_u32_e32 vcc, s13, v30
	v_bfrev_b32_e32 v44, 1
	s_and_saveexec_b64 s[6:7], vcc
	s_cbranch_execz .LBB645_88
; %bb.85:                               ;   in Loop: Header=BB645_17 Depth=1
	v_bfe_u32 v23, v28, 24, 7
	v_cmp_ne_u32_e32 vcc, s14, v23
	v_mov_b32_e32 v44, 0x7f800001
	s_and_saveexec_b64 s[10:11], vcc
	s_cbranch_execz .LBB645_87
; %bb.86:                               ;   in Loop: Header=BB645_17 Depth=1
	v_and_b32_e32 v28, 7, v30
	v_ffbh_u32_e32 v52, v28
	v_min_u32_e32 v54, 32, v52
	v_subrev_u32_e32 v52, 28, v54
	v_lshlrev_b64 v[52:53], v52, v[30:31]
	v_lshrrev_b32_e32 v44, 3, v23
	v_sub_u32_e32 v53, 29, v54
	v_and_b32_e32 v52, 7, v52
	v_cmp_gt_u32_e32 vcc, 8, v23
	v_cndmask_b32_e32 v23, v44, v53, vcc
	v_cndmask_b32_e32 v28, v28, v52, vcc
	v_lshlrev_b32_e32 v30, 24, v30
	v_lshlrev_b32_e32 v28, 20, v28
	v_and_b32_e32 v30, 0x80000000, v30
	v_lshl_add_u32 v23, v23, 23, v38
	v_or3_b32 v44, v30, v23, v28
.LBB645_87:                             ;   in Loop: Header=BB645_17 Depth=1
	s_or_b64 exec, exec, s[10:11]
.LBB645_88:                             ;   in Loop: Header=BB645_17 Depth=1
	s_or_b64 exec, exec, s[6:7]
.LBB645_89:                             ;   in Loop: Header=BB645_17 Depth=1
	s_or_b64 exec, exec, s[4:5]
	s_waitcnt vmcnt(0)
	v_cmp_ne_u16_sdwa s[6:7], v26, v35 src0_sel:BYTE_0 src1_sel:DWORD
	s_and_saveexec_b64 s[4:5], s[6:7]
	s_cbranch_execz .LBB645_95
; %bb.90:                               ;   in Loop: Header=BB645_17 Depth=1
	v_cmp_ne_u16_sdwa s[10:11], v26, s13 src0_sel:BYTE_0 src1_sel:DWORD
	v_bfrev_b32_e32 v42, 1
	s_and_saveexec_b64 s[6:7], s[10:11]
	s_cbranch_execz .LBB645_94
; %bb.91:                               ;   in Loop: Header=BB645_17 Depth=1
	v_and_b32_e32 v23, 0x7f, v26
	v_cmp_ne_u32_e32 vcc, s14, v23
	v_mov_b32_e32 v42, 0x7f800001
	s_and_saveexec_b64 s[10:11], vcc
	s_cbranch_execz .LBB645_93
; %bb.92:                               ;   in Loop: Header=BB645_17 Depth=1
	v_and_b32_e32 v28, 7, v26
	v_ffbh_u32_e32 v42, v28
	v_min_u32_e32 v42, 32, v42
	v_subrev_u32_e32 v52, 28, v42
	v_lshlrev_b64 v[52:53], v52, v[26:27]
	v_lshrrev_b32_e32 v30, 3, v23
	v_sub_u32_e32 v42, 29, v42
	v_and_b32_e32 v52, 7, v52
	v_cmp_gt_u32_e32 vcc, 8, v23
	v_cndmask_b32_e32 v23, v30, v42, vcc
	v_cndmask_b32_e32 v28, v28, v52, vcc
	v_lshlrev_b32_e32 v30, 24, v26
	v_lshlrev_b32_e32 v28, 20, v28
	v_and_b32_e32 v30, 0x80000000, v30
	v_lshl_add_u32 v23, v23, 23, v38
	v_or3_b32 v42, v30, v23, v28
.LBB645_93:                             ;   in Loop: Header=BB645_17 Depth=1
	s_or_b64 exec, exec, s[10:11]
.LBB645_94:                             ;   in Loop: Header=BB645_17 Depth=1
	s_or_b64 exec, exec, s[6:7]
.LBB645_95:                             ;   in Loop: Header=BB645_17 Depth=1
	s_or_b64 exec, exec, s[4:5]
	v_lshrrev_b16_e32 v28, 8, v26
	v_cmp_ne_u16_e32 vcc, 0, v28
	v_mov_b32_e32 v52, 0
	v_mov_b32_e32 v53, 0
	s_and_saveexec_b64 s[4:5], vcc
	s_cbranch_execz .LBB645_101
; %bb.96:                               ;   in Loop: Header=BB645_17 Depth=1
	v_cmp_ne_u16_e32 vcc, s13, v28
	v_bfrev_b32_e32 v53, 1
	s_and_saveexec_b64 s[6:7], vcc
	s_cbranch_execz .LBB645_100
; %bb.97:                               ;   in Loop: Header=BB645_17 Depth=1
	v_and_b32_e32 v23, 0x7f, v28
	v_cmp_ne_u32_e32 vcc, s14, v23
	v_mov_b32_e32 v53, 0x7f800001
	s_and_saveexec_b64 s[10:11], vcc
	s_cbranch_execz .LBB645_99
; %bb.98:                               ;   in Loop: Header=BB645_17 Depth=1
	v_and_b32_e32 v30, 7, v28
	v_ffbh_u32_e32 v54, v30
	v_min_u32_e32 v56, 32, v54
	v_subrev_u32_e32 v54, 28, v56
	v_lshlrev_b64 v[54:55], v54, v[28:29]
	v_lshrrev_b32_e32 v53, 3, v23
	v_sub_u32_e32 v28, 29, v56
	v_and_b32_e32 v54, 7, v54
	v_cmp_gt_u32_e32 vcc, 8, v23
	v_cndmask_b32_e32 v23, v53, v28, vcc
	v_cndmask_b32_e32 v28, v30, v54, vcc
	v_lshlrev_b32_e32 v30, 16, v26
	v_lshlrev_b32_e32 v28, 20, v28
	v_and_b32_e32 v30, 0x80000000, v30
	v_lshl_add_u32 v23, v23, 23, v38
	v_or3_b32 v53, v30, v23, v28
.LBB645_99:                             ;   in Loop: Header=BB645_17 Depth=1
	s_or_b64 exec, exec, s[10:11]
.LBB645_100:                            ;   in Loop: Header=BB645_17 Depth=1
	s_or_b64 exec, exec, s[6:7]
.LBB645_101:                            ;   in Loop: Header=BB645_17 Depth=1
	s_or_b64 exec, exec, s[4:5]
	v_lshrrev_b32_e32 v28, 16, v26
	v_cmp_ne_u16_sdwa s[6:7], v28, v35 src0_sel:BYTE_0 src1_sel:DWORD
	s_and_saveexec_b64 s[4:5], s[6:7]
	s_cbranch_execz .LBB645_107
; %bb.102:                              ;   in Loop: Header=BB645_17 Depth=1
	v_cmp_ne_u16_sdwa s[10:11], v28, s13 src0_sel:BYTE_0 src1_sel:DWORD
	v_bfrev_b32_e32 v52, 1
	s_and_saveexec_b64 s[6:7], s[10:11]
	s_cbranch_execz .LBB645_106
; %bb.103:                              ;   in Loop: Header=BB645_17 Depth=1
	v_bfe_u32 v23, v26, 16, 7
	v_cmp_ne_u32_e32 vcc, s14, v23
	v_mov_b32_e32 v52, 0x7f800001
	s_and_saveexec_b64 s[10:11], vcc
	s_cbranch_execz .LBB645_105
; %bb.104:                              ;   in Loop: Header=BB645_17 Depth=1
	v_and_b32_e32 v30, 7, v28
	v_ffbh_u32_e32 v54, v30
	v_min_u32_e32 v56, 32, v54
	v_subrev_u32_e32 v54, 28, v56
	v_lshlrev_b64 v[54:55], v54, v[28:29]
	v_lshrrev_b32_e32 v52, 3, v23
	v_sub_u32_e32 v55, 29, v56
	v_and_b32_e32 v54, 7, v54
	v_cmp_gt_u32_e32 vcc, 8, v23
	v_cndmask_b32_e32 v23, v52, v55, vcc
	v_cndmask_b32_e32 v30, v30, v54, vcc
	v_lshlrev_b32_e32 v28, 24, v28
	v_lshlrev_b32_e32 v30, 20, v30
	v_and_b32_e32 v28, 0x80000000, v28
	v_lshl_add_u32 v23, v23, 23, v38
	v_or3_b32 v52, v28, v23, v30
.LBB645_105:                            ;   in Loop: Header=BB645_17 Depth=1
	s_or_b64 exec, exec, s[10:11]
.LBB645_106:                            ;   in Loop: Header=BB645_17 Depth=1
	s_or_b64 exec, exec, s[6:7]
.LBB645_107:                            ;   in Loop: Header=BB645_17 Depth=1
	s_or_b64 exec, exec, s[4:5]
	v_cmp_lt_u32_e32 vcc, s15, v26
	v_mov_b32_e32 v23, 0
	v_mov_b32_e32 v54, 0
	s_and_saveexec_b64 s[4:5], vcc
	s_cbranch_execz .LBB645_113
; %bb.108:                              ;   in Loop: Header=BB645_17 Depth=1
	v_lshrrev_b32_e32 v28, 24, v26
	v_cmp_ne_u32_e32 vcc, s13, v28
	v_bfrev_b32_e32 v54, 1
	s_and_saveexec_b64 s[6:7], vcc
	s_cbranch_execz .LBB645_112
; %bb.109:                              ;   in Loop: Header=BB645_17 Depth=1
	v_bfe_u32 v26, v26, 24, 7
	v_cmp_ne_u32_e32 vcc, s14, v26
	v_mov_b32_e32 v54, 0x7f800001
	s_and_saveexec_b64 s[10:11], vcc
	s_cbranch_execz .LBB645_111
; %bb.110:                              ;   in Loop: Header=BB645_17 Depth=1
	v_and_b32_e32 v30, 7, v28
	v_ffbh_u32_e32 v54, v30
	v_min_u32_e32 v57, 32, v54
	v_subrev_u32_e32 v54, 28, v57
	v_lshlrev_b64 v[54:55], v54, v[28:29]
	v_lshrrev_b32_e32 v56, 3, v26
	v_sub_u32_e32 v55, 29, v57
	v_and_b32_e32 v54, 7, v54
	v_cmp_gt_u32_e32 vcc, 8, v26
	v_cndmask_b32_e32 v26, v56, v55, vcc
	v_cndmask_b32_e32 v30, v30, v54, vcc
	v_lshlrev_b32_e32 v28, 24, v28
	v_lshlrev_b32_e32 v30, 20, v30
	v_and_b32_e32 v28, 0x80000000, v28
	v_lshl_add_u32 v26, v26, 23, v38
	v_or3_b32 v54, v28, v26, v30
.LBB645_111:                            ;   in Loop: Header=BB645_17 Depth=1
	s_or_b64 exec, exec, s[10:11]
.LBB645_112:                            ;   in Loop: Header=BB645_17 Depth=1
	s_or_b64 exec, exec, s[6:7]
.LBB645_113:                            ;   in Loop: Header=BB645_17 Depth=1
	s_or_b64 exec, exec, s[4:5]
	v_cvt_pkrtz_f16_f32 v57, v32, v44
	buffer_load_dword v32, v36, s[0:3], 0 offen offset:16
	buffer_load_dword v30, v36, s[0:3], 0 offen offset:20
	;; [unrolled: 1-line block ×4, first 2 shown]
	v_cvt_pkrtz_f16_f32 v56, v34, v40
	s_waitcnt vmcnt(3)
	v_cmp_ne_u16_sdwa s[6:7], v32, v35 src0_sel:BYTE_0 src1_sel:DWORD
	v_mfma_f32_16x16x16f16 v[18:21], v[56:57], v[6:7], v[18:21]
	v_cvt_pkrtz_f16_f32 v56, v42, v53
	v_cvt_pkrtz_f16_f32 v57, v52, v54
	s_nop 1
	v_mfma_f32_16x16x16f16 v[18:21], v[56:57], v[8:9], v[18:21]
	s_and_saveexec_b64 s[4:5], s[6:7]
	s_cbranch_execz .LBB645_119
; %bb.114:                              ;   in Loop: Header=BB645_17 Depth=1
	v_cmp_ne_u16_sdwa s[10:11], v32, s13 src0_sel:BYTE_0 src1_sel:DWORD
	v_bfrev_b32_e32 v23, 1
	s_and_saveexec_b64 s[6:7], s[10:11]
	s_cbranch_execz .LBB645_118
; %bb.115:                              ;   in Loop: Header=BB645_17 Depth=1
	v_and_b32_e32 v34, 0x7f, v32
	v_cmp_ne_u32_e32 vcc, s14, v34
	v_mov_b32_e32 v23, 0x7f800001
	s_and_saveexec_b64 s[10:11], vcc
	s_cbranch_execz .LBB645_117
; %bb.116:                              ;   in Loop: Header=BB645_17 Depth=1
	v_and_b32_e32 v23, 7, v32
	v_ffbh_u32_e32 v42, v23
	v_min_u32_e32 v42, 32, v42
	v_subrev_u32_e32 v44, 28, v42
	v_lshlrev_b64 v[52:53], v44, v[32:33]
	v_lshrrev_b32_e32 v40, 3, v34
	v_sub_u32_e32 v42, 29, v42
	v_and_b32_e32 v44, 7, v52
	v_cmp_gt_u32_e32 vcc, 8, v34
	v_cndmask_b32_e32 v34, v40, v42, vcc
	v_cndmask_b32_e32 v23, v23, v44, vcc
	v_lshlrev_b32_e32 v40, 24, v32
	v_lshlrev_b32_e32 v23, 20, v23
	v_and_b32_e32 v40, 0x80000000, v40
	v_lshl_add_u32 v34, v34, 23, v38
	v_or3_b32 v23, v40, v34, v23
.LBB645_117:                            ;   in Loop: Header=BB645_17 Depth=1
	s_or_b64 exec, exec, s[10:11]
.LBB645_118:                            ;   in Loop: Header=BB645_17 Depth=1
	s_or_b64 exec, exec, s[6:7]
.LBB645_119:                            ;   in Loop: Header=BB645_17 Depth=1
	s_or_b64 exec, exec, s[4:5]
	v_lshrrev_b16_e32 v34, 8, v32
	v_cmp_ne_u16_e32 vcc, 0, v34
	v_mov_b32_e32 v40, 0
	v_mov_b32_e32 v42, 0
	s_and_saveexec_b64 s[4:5], vcc
	s_cbranch_execz .LBB645_125
; %bb.120:                              ;   in Loop: Header=BB645_17 Depth=1
	v_cmp_ne_u16_e32 vcc, s13, v34
	v_bfrev_b32_e32 v42, 1
	s_and_saveexec_b64 s[6:7], vcc
	s_cbranch_execz .LBB645_124
; %bb.121:                              ;   in Loop: Header=BB645_17 Depth=1
	v_and_b32_e32 v44, 0x7f, v34
	v_cmp_ne_u32_e32 vcc, s14, v44
	v_mov_b32_e32 v42, 0x7f800001
	s_and_saveexec_b64 s[10:11], vcc
	s_cbranch_execz .LBB645_123
; %bb.122:                              ;   in Loop: Header=BB645_17 Depth=1
	v_and_b32_e32 v42, 7, v34
	v_ffbh_u32_e32 v52, v42
	v_min_u32_e32 v55, 32, v52
	v_subrev_u32_e32 v52, 28, v55
	v_lshlrev_b64 v[52:53], v52, v[34:35]
	v_lshrrev_b32_e32 v54, 3, v44
	v_sub_u32_e32 v34, 29, v55
	v_and_b32_e32 v52, 7, v52
	v_cmp_gt_u32_e32 vcc, 8, v44
	v_cndmask_b32_e32 v34, v54, v34, vcc
	v_cndmask_b32_e32 v42, v42, v52, vcc
	v_lshlrev_b32_e32 v44, 16, v32
	v_lshlrev_b32_e32 v42, 20, v42
	v_and_b32_e32 v44, 0x80000000, v44
	v_lshl_add_u32 v34, v34, 23, v38
	v_or3_b32 v42, v44, v34, v42
.LBB645_123:                            ;   in Loop: Header=BB645_17 Depth=1
	s_or_b64 exec, exec, s[10:11]
.LBB645_124:                            ;   in Loop: Header=BB645_17 Depth=1
	s_or_b64 exec, exec, s[6:7]
.LBB645_125:                            ;   in Loop: Header=BB645_17 Depth=1
	s_or_b64 exec, exec, s[4:5]
	v_lshrrev_b32_e32 v34, 16, v32
	v_cmp_ne_u16_sdwa s[6:7], v34, v35 src0_sel:BYTE_0 src1_sel:DWORD
	s_and_saveexec_b64 s[4:5], s[6:7]
	s_cbranch_execz .LBB645_131
; %bb.126:                              ;   in Loop: Header=BB645_17 Depth=1
	v_cmp_ne_u16_sdwa s[10:11], v34, s13 src0_sel:BYTE_0 src1_sel:DWORD
	v_bfrev_b32_e32 v40, 1
	s_and_saveexec_b64 s[6:7], s[10:11]
	s_cbranch_execz .LBB645_130
; %bb.127:                              ;   in Loop: Header=BB645_17 Depth=1
	v_bfe_u32 v44, v32, 16, 7
	v_cmp_ne_u32_e32 vcc, s14, v44
	v_mov_b32_e32 v40, 0x7f800001
	s_and_saveexec_b64 s[10:11], vcc
	s_cbranch_execz .LBB645_129
; %bb.128:                              ;   in Loop: Header=BB645_17 Depth=1
	v_and_b32_e32 v40, 7, v34
	v_ffbh_u32_e32 v52, v40
	v_min_u32_e32 v55, 32, v52
	v_subrev_u32_e32 v52, 28, v55
	v_lshlrev_b64 v[52:53], v52, v[34:35]
	v_lshrrev_b32_e32 v54, 3, v44
	v_sub_u32_e32 v53, 29, v55
	v_and_b32_e32 v52, 7, v52
	v_cmp_gt_u32_e32 vcc, 8, v44
	v_cndmask_b32_e32 v44, v54, v53, vcc
	v_cndmask_b32_e32 v40, v40, v52, vcc
	v_lshlrev_b32_e32 v34, 24, v34
	v_lshlrev_b32_e32 v40, 20, v40
	v_and_b32_e32 v34, 0x80000000, v34
	v_lshl_add_u32 v44, v44, 23, v38
	v_or3_b32 v40, v34, v44, v40
.LBB645_129:                            ;   in Loop: Header=BB645_17 Depth=1
	s_or_b64 exec, exec, s[10:11]
.LBB645_130:                            ;   in Loop: Header=BB645_17 Depth=1
	s_or_b64 exec, exec, s[6:7]
.LBB645_131:                            ;   in Loop: Header=BB645_17 Depth=1
	s_or_b64 exec, exec, s[4:5]
	v_cmp_lt_u32_e32 vcc, s15, v32
	v_mov_b32_e32 v44, 0
	v_mov_b32_e32 v52, 0
	s_and_saveexec_b64 s[4:5], vcc
	s_cbranch_execz .LBB645_137
; %bb.132:                              ;   in Loop: Header=BB645_17 Depth=1
	v_lshrrev_b32_e32 v34, 24, v32
	v_cmp_ne_u32_e32 vcc, s13, v34
	v_bfrev_b32_e32 v52, 1
	s_and_saveexec_b64 s[6:7], vcc
	s_cbranch_execz .LBB645_136
; %bb.133:                              ;   in Loop: Header=BB645_17 Depth=1
	v_bfe_u32 v32, v32, 24, 7
	v_cmp_ne_u32_e32 vcc, s14, v32
	v_mov_b32_e32 v52, 0x7f800001
	s_and_saveexec_b64 s[10:11], vcc
	s_cbranch_execz .LBB645_135
; %bb.134:                              ;   in Loop: Header=BB645_17 Depth=1
	v_and_b32_e32 v54, 7, v34
	v_ffbh_u32_e32 v52, v54
	v_min_u32_e32 v56, 32, v52
	v_subrev_u32_e32 v52, 28, v56
	v_lshlrev_b64 v[52:53], v52, v[34:35]
	v_lshrrev_b32_e32 v55, 3, v32
	v_sub_u32_e32 v53, 29, v56
	v_and_b32_e32 v52, 7, v52
	v_cmp_gt_u32_e32 vcc, 8, v32
	v_cndmask_b32_e32 v32, v55, v53, vcc
	v_cndmask_b32_e32 v52, v54, v52, vcc
	v_lshlrev_b32_e32 v34, 24, v34
	v_lshlrev_b32_e32 v52, 20, v52
	v_and_b32_e32 v34, 0x80000000, v34
	v_lshl_add_u32 v32, v32, 23, v38
	v_or3_b32 v52, v34, v32, v52
.LBB645_135:                            ;   in Loop: Header=BB645_17 Depth=1
	s_or_b64 exec, exec, s[10:11]
.LBB645_136:                            ;   in Loop: Header=BB645_17 Depth=1
	s_or_b64 exec, exec, s[6:7]
.LBB645_137:                            ;   in Loop: Header=BB645_17 Depth=1
	s_or_b64 exec, exec, s[4:5]
	s_waitcnt vmcnt(2)
	v_cmp_ne_u16_sdwa s[6:7], v30, v35 src0_sel:BYTE_0 src1_sel:DWORD
	s_and_saveexec_b64 s[4:5], s[6:7]
	s_cbranch_execz .LBB645_143
; %bb.138:                              ;   in Loop: Header=BB645_17 Depth=1
	v_cmp_ne_u16_sdwa s[10:11], v30, s13 src0_sel:BYTE_0 src1_sel:DWORD
	v_bfrev_b32_e32 v44, 1
	s_and_saveexec_b64 s[6:7], s[10:11]
	s_cbranch_execz .LBB645_142
; %bb.139:                              ;   in Loop: Header=BB645_17 Depth=1
	v_and_b32_e32 v32, 0x7f, v30
	v_cmp_ne_u32_e32 vcc, s14, v32
	v_mov_b32_e32 v44, 0x7f800001
	s_and_saveexec_b64 s[10:11], vcc
	s_cbranch_execz .LBB645_141
; %bb.140:                              ;   in Loop: Header=BB645_17 Depth=1
	v_and_b32_e32 v34, 7, v30
	v_ffbh_u32_e32 v53, v34
	v_min_u32_e32 v53, 32, v53
	v_subrev_u32_e32 v54, 28, v53
	v_lshlrev_b64 v[54:55], v54, v[30:31]
	v_lshrrev_b32_e32 v44, 3, v32
	v_sub_u32_e32 v53, 29, v53
	v_and_b32_e32 v54, 7, v54
	v_cmp_gt_u32_e32 vcc, 8, v32
	v_cndmask_b32_e32 v32, v44, v53, vcc
	v_cndmask_b32_e32 v34, v34, v54, vcc
	v_lshlrev_b32_e32 v44, 24, v30
	v_lshlrev_b32_e32 v34, 20, v34
	v_and_b32_e32 v44, 0x80000000, v44
	v_lshl_add_u32 v32, v32, 23, v38
	v_or3_b32 v44, v44, v32, v34
.LBB645_141:                            ;   in Loop: Header=BB645_17 Depth=1
	s_or_b64 exec, exec, s[10:11]
.LBB645_142:                            ;   in Loop: Header=BB645_17 Depth=1
	s_or_b64 exec, exec, s[6:7]
.LBB645_143:                            ;   in Loop: Header=BB645_17 Depth=1
	s_or_b64 exec, exec, s[4:5]
	v_lshrrev_b16_e32 v32, 8, v30
	v_cmp_ne_u16_e32 vcc, 0, v32
	v_mov_b32_e32 v53, 0
	v_mov_b32_e32 v54, 0
	s_and_saveexec_b64 s[4:5], vcc
	s_cbranch_execz .LBB645_149
; %bb.144:                              ;   in Loop: Header=BB645_17 Depth=1
	v_cmp_ne_u16_e32 vcc, s13, v32
	v_bfrev_b32_e32 v54, 1
	s_and_saveexec_b64 s[6:7], vcc
	s_cbranch_execz .LBB645_148
; %bb.145:                              ;   in Loop: Header=BB645_17 Depth=1
	v_and_b32_e32 v34, 0x7f, v32
	v_cmp_ne_u32_e32 vcc, s14, v34
	v_mov_b32_e32 v54, 0x7f800001
	s_and_saveexec_b64 s[10:11], vcc
	s_cbranch_execz .LBB645_147
; %bb.146:                              ;   in Loop: Header=BB645_17 Depth=1
	v_and_b32_e32 v56, 7, v32
	v_ffbh_u32_e32 v54, v56
	v_min_u32_e32 v58, 32, v54
	v_subrev_u32_e32 v54, 28, v58
	v_lshlrev_b64 v[54:55], v54, v[32:33]
	v_lshrrev_b32_e32 v57, 3, v34
	v_sub_u32_e32 v32, 29, v58
	v_and_b32_e32 v54, 7, v54
	v_cmp_gt_u32_e32 vcc, 8, v34
	v_cndmask_b32_e32 v32, v57, v32, vcc
	v_cndmask_b32_e32 v34, v56, v54, vcc
	v_lshlrev_b32_e32 v54, 16, v30
	v_lshlrev_b32_e32 v34, 20, v34
	v_and_b32_e32 v54, 0x80000000, v54
	v_lshl_add_u32 v32, v32, 23, v38
	v_or3_b32 v54, v54, v32, v34
.LBB645_147:                            ;   in Loop: Header=BB645_17 Depth=1
	s_or_b64 exec, exec, s[10:11]
.LBB645_148:                            ;   in Loop: Header=BB645_17 Depth=1
	s_or_b64 exec, exec, s[6:7]
.LBB645_149:                            ;   in Loop: Header=BB645_17 Depth=1
	s_or_b64 exec, exec, s[4:5]
	v_lshrrev_b32_e32 v32, 16, v30
	v_cmp_ne_u16_sdwa s[6:7], v32, v35 src0_sel:BYTE_0 src1_sel:DWORD
	s_and_saveexec_b64 s[4:5], s[6:7]
	s_cbranch_execz .LBB645_155
; %bb.150:                              ;   in Loop: Header=BB645_17 Depth=1
	v_cmp_ne_u16_sdwa s[10:11], v32, s13 src0_sel:BYTE_0 src1_sel:DWORD
	v_bfrev_b32_e32 v53, 1
	s_and_saveexec_b64 s[6:7], s[10:11]
	s_cbranch_execz .LBB645_154
; %bb.151:                              ;   in Loop: Header=BB645_17 Depth=1
	v_bfe_u32 v34, v30, 16, 7
	v_cmp_ne_u32_e32 vcc, s14, v34
	v_mov_b32_e32 v53, 0x7f800001
	s_and_saveexec_b64 s[10:11], vcc
	s_cbranch_execz .LBB645_153
; %bb.152:                              ;   in Loop: Header=BB645_17 Depth=1
	v_and_b32_e32 v53, 7, v32
	v_ffbh_u32_e32 v56, v53
	v_min_u32_e32 v58, 32, v56
	v_subrev_u32_e32 v56, 28, v58
	v_lshlrev_b64 v[56:57], v56, v[32:33]
	v_lshrrev_b32_e32 v55, 3, v34
	v_sub_u32_e32 v57, 29, v58
	v_and_b32_e32 v56, 7, v56
	v_cmp_gt_u32_e32 vcc, 8, v34
	v_cndmask_b32_e32 v34, v55, v57, vcc
	v_cndmask_b32_e32 v53, v53, v56, vcc
	v_lshlrev_b32_e32 v32, 24, v32
	v_lshlrev_b32_e32 v53, 20, v53
	v_and_b32_e32 v32, 0x80000000, v32
	v_lshl_add_u32 v34, v34, 23, v38
	v_or3_b32 v53, v32, v34, v53
.LBB645_153:                            ;   in Loop: Header=BB645_17 Depth=1
	s_or_b64 exec, exec, s[10:11]
.LBB645_154:                            ;   in Loop: Header=BB645_17 Depth=1
	s_or_b64 exec, exec, s[6:7]
.LBB645_155:                            ;   in Loop: Header=BB645_17 Depth=1
	s_or_b64 exec, exec, s[4:5]
	v_cmp_lt_u32_e32 vcc, s15, v30
	v_mov_b32_e32 v34, 0
	v_mov_b32_e32 v55, 0
	s_and_saveexec_b64 s[4:5], vcc
	s_cbranch_execz .LBB645_161
; %bb.156:                              ;   in Loop: Header=BB645_17 Depth=1
	v_lshrrev_b32_e32 v32, 24, v30
	v_cmp_ne_u32_e32 vcc, s13, v32
	v_bfrev_b32_e32 v55, 1
	s_and_saveexec_b64 s[6:7], vcc
	s_cbranch_execz .LBB645_160
; %bb.157:                              ;   in Loop: Header=BB645_17 Depth=1
	v_bfe_u32 v30, v30, 24, 7
	v_cmp_ne_u32_e32 vcc, s14, v30
	v_mov_b32_e32 v55, 0x7f800001
	s_and_saveexec_b64 s[10:11], vcc
	s_cbranch_execz .LBB645_159
; %bb.158:                              ;   in Loop: Header=BB645_17 Depth=1
	v_and_b32_e32 v55, 7, v32
	v_ffbh_u32_e32 v56, v55
	v_min_u32_e32 v59, 32, v56
	v_subrev_u32_e32 v56, 28, v59
	v_lshlrev_b64 v[56:57], v56, v[32:33]
	v_lshrrev_b32_e32 v58, 3, v30
	v_sub_u32_e32 v57, 29, v59
	v_and_b32_e32 v56, 7, v56
	v_cmp_gt_u32_e32 vcc, 8, v30
	v_cndmask_b32_e32 v30, v58, v57, vcc
	v_cndmask_b32_e32 v55, v55, v56, vcc
	v_lshlrev_b32_e32 v32, 24, v32
	v_lshlrev_b32_e32 v55, 20, v55
	v_and_b32_e32 v32, 0x80000000, v32
	v_lshl_add_u32 v30, v30, 23, v38
	v_or3_b32 v55, v32, v30, v55
.LBB645_159:                            ;   in Loop: Header=BB645_17 Depth=1
	s_or_b64 exec, exec, s[10:11]
.LBB645_160:                            ;   in Loop: Header=BB645_17 Depth=1
	s_or_b64 exec, exec, s[6:7]
.LBB645_161:                            ;   in Loop: Header=BB645_17 Depth=1
	s_or_b64 exec, exec, s[4:5]
	v_cvt_pkrtz_f16_f32 v56, v23, v42
	v_cvt_pkrtz_f16_f32 v57, v40, v52
	;; [unrolled: 1-line block ×4, first 2 shown]
	s_waitcnt vmcnt(1)
	v_cmp_ne_u16_sdwa s[6:7], v28, v35 src0_sel:BYTE_0 src1_sel:DWORD
	v_mfma_f32_16x16x16f16 v[18:21], v[56:57], v[10:11], v[18:21]
	v_mfma_f32_16x16x16f16 v[18:21], v[52:53], v[12:13], v[18:21]
	s_and_saveexec_b64 s[4:5], s[6:7]
	s_cbranch_execz .LBB645_167
; %bb.162:                              ;   in Loop: Header=BB645_17 Depth=1
	v_cmp_ne_u16_sdwa s[10:11], v28, s13 src0_sel:BYTE_0 src1_sel:DWORD
	v_bfrev_b32_e32 v34, 1
	s_and_saveexec_b64 s[6:7], s[10:11]
	s_cbranch_execz .LBB645_166
; %bb.163:                              ;   in Loop: Header=BB645_17 Depth=1
	v_and_b32_e32 v23, 0x7f, v28
	v_cmp_ne_u32_e32 vcc, s14, v23
	v_mov_b32_e32 v34, 0x7f800001
	s_and_saveexec_b64 s[10:11], vcc
	s_cbranch_execz .LBB645_165
; %bb.164:                              ;   in Loop: Header=BB645_17 Depth=1
	v_and_b32_e32 v30, 7, v28
	v_ffbh_u32_e32 v34, v30
	v_min_u32_e32 v34, 32, v34
	v_subrev_u32_e32 v40, 28, v34
	v_lshlrev_b64 v[52:53], v40, v[28:29]
	v_lshrrev_b32_e32 v32, 3, v23
	v_sub_u32_e32 v34, 29, v34
	v_and_b32_e32 v40, 7, v52
	v_cmp_gt_u32_e32 vcc, 8, v23
	v_cndmask_b32_e32 v23, v32, v34, vcc
	v_cndmask_b32_e32 v30, v30, v40, vcc
	v_lshlrev_b32_e32 v32, 24, v28
	v_lshlrev_b32_e32 v30, 20, v30
	v_and_b32_e32 v32, 0x80000000, v32
	v_lshl_add_u32 v23, v23, 23, v38
	v_or3_b32 v34, v32, v23, v30
.LBB645_165:                            ;   in Loop: Header=BB645_17 Depth=1
	s_or_b64 exec, exec, s[10:11]
.LBB645_166:                            ;   in Loop: Header=BB645_17 Depth=1
	s_or_b64 exec, exec, s[6:7]
.LBB645_167:                            ;   in Loop: Header=BB645_17 Depth=1
	s_or_b64 exec, exec, s[4:5]
	v_lshrrev_b16_e32 v30, 8, v28
	v_cmp_ne_u16_e32 vcc, 0, v30
	v_mov_b32_e32 v23, 0
	v_mov_b32_e32 v32, 0
	s_and_saveexec_b64 s[4:5], vcc
	s_cbranch_execz .LBB645_173
; %bb.168:                              ;   in Loop: Header=BB645_17 Depth=1
	v_cmp_ne_u16_e32 vcc, s13, v30
	v_bfrev_b32_e32 v32, 1
	s_and_saveexec_b64 s[6:7], vcc
	s_cbranch_execz .LBB645_172
; %bb.169:                              ;   in Loop: Header=BB645_17 Depth=1
	v_and_b32_e32 v40, 0x7f, v30
	v_cmp_ne_u32_e32 vcc, s14, v40
	v_mov_b32_e32 v32, 0x7f800001
	s_and_saveexec_b64 s[10:11], vcc
	s_cbranch_execz .LBB645_171
; %bb.170:                              ;   in Loop: Header=BB645_17 Depth=1
	v_and_b32_e32 v32, 7, v30
	v_ffbh_u32_e32 v44, v32
	v_min_u32_e32 v44, 32, v44
	v_subrev_u32_e32 v52, 28, v44
	v_lshlrev_b64 v[52:53], v52, v[30:31]
	v_lshrrev_b32_e32 v42, 3, v40
	v_sub_u32_e32 v30, 29, v44
	v_and_b32_e32 v44, 7, v52
	v_cmp_gt_u32_e32 vcc, 8, v40
	v_cndmask_b32_e32 v30, v42, v30, vcc
	v_cndmask_b32_e32 v32, v32, v44, vcc
	v_lshlrev_b32_e32 v40, 16, v28
	v_lshlrev_b32_e32 v32, 20, v32
	v_and_b32_e32 v40, 0x80000000, v40
	v_lshl_add_u32 v30, v30, 23, v38
	v_or3_b32 v32, v40, v30, v32
.LBB645_171:                            ;   in Loop: Header=BB645_17 Depth=1
	s_or_b64 exec, exec, s[10:11]
.LBB645_172:                            ;   in Loop: Header=BB645_17 Depth=1
	s_or_b64 exec, exec, s[6:7]
.LBB645_173:                            ;   in Loop: Header=BB645_17 Depth=1
	s_or_b64 exec, exec, s[4:5]
	v_lshrrev_b32_e32 v30, 16, v28
	v_cmp_ne_u16_sdwa s[6:7], v30, v35 src0_sel:BYTE_0 src1_sel:DWORD
	s_and_saveexec_b64 s[4:5], s[6:7]
	s_cbranch_execz .LBB645_179
; %bb.174:                              ;   in Loop: Header=BB645_17 Depth=1
	v_cmp_ne_u16_sdwa s[10:11], v30, s13 src0_sel:BYTE_0 src1_sel:DWORD
	v_bfrev_b32_e32 v23, 1
	s_and_saveexec_b64 s[6:7], s[10:11]
	s_cbranch_execz .LBB645_178
; %bb.175:                              ;   in Loop: Header=BB645_17 Depth=1
	v_bfe_u32 v40, v28, 16, 7
	v_cmp_ne_u32_e32 vcc, s14, v40
	v_mov_b32_e32 v23, 0x7f800001
	s_and_saveexec_b64 s[10:11], vcc
	s_cbranch_execz .LBB645_177
; %bb.176:                              ;   in Loop: Header=BB645_17 Depth=1
	v_and_b32_e32 v23, 7, v30
	v_ffbh_u32_e32 v44, v23
	v_min_u32_e32 v44, 32, v44
	v_subrev_u32_e32 v52, 28, v44
	v_lshlrev_b64 v[52:53], v52, v[30:31]
	v_lshrrev_b32_e32 v42, 3, v40
	v_sub_u32_e32 v44, 29, v44
	v_and_b32_e32 v52, 7, v52
	v_cmp_gt_u32_e32 vcc, 8, v40
	v_cndmask_b32_e32 v40, v42, v44, vcc
	v_cndmask_b32_e32 v23, v23, v52, vcc
	v_lshlrev_b32_e32 v30, 24, v30
	v_lshlrev_b32_e32 v23, 20, v23
	v_and_b32_e32 v30, 0x80000000, v30
	v_lshl_add_u32 v40, v40, 23, v38
	v_or3_b32 v23, v30, v40, v23
.LBB645_177:                            ;   in Loop: Header=BB645_17 Depth=1
	s_or_b64 exec, exec, s[10:11]
.LBB645_178:                            ;   in Loop: Header=BB645_17 Depth=1
	s_or_b64 exec, exec, s[6:7]
.LBB645_179:                            ;   in Loop: Header=BB645_17 Depth=1
	s_or_b64 exec, exec, s[4:5]
	v_cmp_lt_u32_e32 vcc, s15, v28
	v_mov_b32_e32 v40, 0
	v_mov_b32_e32 v42, 0
	s_and_saveexec_b64 s[4:5], vcc
	s_cbranch_execz .LBB645_185
; %bb.180:                              ;   in Loop: Header=BB645_17 Depth=1
	v_lshrrev_b32_e32 v30, 24, v28
	v_cmp_ne_u32_e32 vcc, s13, v30
	v_bfrev_b32_e32 v42, 1
	s_and_saveexec_b64 s[6:7], vcc
	s_cbranch_execz .LBB645_184
; %bb.181:                              ;   in Loop: Header=BB645_17 Depth=1
	v_bfe_u32 v28, v28, 24, 7
	v_cmp_ne_u32_e32 vcc, s14, v28
	v_mov_b32_e32 v42, 0x7f800001
	s_and_saveexec_b64 s[10:11], vcc
	s_cbranch_execz .LBB645_183
; %bb.182:                              ;   in Loop: Header=BB645_17 Depth=1
	v_and_b32_e32 v42, 7, v30
	v_ffbh_u32_e32 v52, v42
	v_min_u32_e32 v54, 32, v52
	v_subrev_u32_e32 v52, 28, v54
	v_lshlrev_b64 v[52:53], v52, v[30:31]
	v_lshrrev_b32_e32 v44, 3, v28
	v_sub_u32_e32 v53, 29, v54
	v_and_b32_e32 v52, 7, v52
	v_cmp_gt_u32_e32 vcc, 8, v28
	v_cndmask_b32_e32 v28, v44, v53, vcc
	v_cndmask_b32_e32 v42, v42, v52, vcc
	v_lshlrev_b32_e32 v30, 24, v30
	v_lshlrev_b32_e32 v42, 20, v42
	v_and_b32_e32 v30, 0x80000000, v30
	v_lshl_add_u32 v28, v28, 23, v38
	v_or3_b32 v42, v30, v28, v42
.LBB645_183:                            ;   in Loop: Header=BB645_17 Depth=1
	s_or_b64 exec, exec, s[10:11]
.LBB645_184:                            ;   in Loop: Header=BB645_17 Depth=1
	s_or_b64 exec, exec, s[6:7]
.LBB645_185:                            ;   in Loop: Header=BB645_17 Depth=1
	s_or_b64 exec, exec, s[4:5]
	s_waitcnt vmcnt(0)
	v_cmp_ne_u16_sdwa s[6:7], v26, v35 src0_sel:BYTE_0 src1_sel:DWORD
	s_and_saveexec_b64 s[4:5], s[6:7]
	s_cbranch_execz .LBB645_191
; %bb.186:                              ;   in Loop: Header=BB645_17 Depth=1
	v_cmp_ne_u16_sdwa s[10:11], v26, s13 src0_sel:BYTE_0 src1_sel:DWORD
	v_bfrev_b32_e32 v40, 1
	s_and_saveexec_b64 s[6:7], s[10:11]
	s_cbranch_execz .LBB645_190
; %bb.187:                              ;   in Loop: Header=BB645_17 Depth=1
	v_and_b32_e32 v28, 0x7f, v26
	v_cmp_ne_u32_e32 vcc, s14, v28
	v_mov_b32_e32 v40, 0x7f800001
	s_and_saveexec_b64 s[10:11], vcc
	s_cbranch_execz .LBB645_189
; %bb.188:                              ;   in Loop: Header=BB645_17 Depth=1
	v_and_b32_e32 v30, 7, v26
	v_ffbh_u32_e32 v44, v30
	v_min_u32_e32 v44, 32, v44
	v_subrev_u32_e32 v52, 28, v44
	v_lshlrev_b64 v[52:53], v52, v[26:27]
	v_lshrrev_b32_e32 v40, 3, v28
	v_sub_u32_e32 v44, 29, v44
	v_and_b32_e32 v52, 7, v52
	v_cmp_gt_u32_e32 vcc, 8, v28
	v_cndmask_b32_e32 v28, v40, v44, vcc
	v_cndmask_b32_e32 v30, v30, v52, vcc
	v_lshlrev_b32_e32 v40, 24, v26
	v_lshlrev_b32_e32 v30, 20, v30
	v_and_b32_e32 v40, 0x80000000, v40
	v_lshl_add_u32 v28, v28, 23, v38
	v_or3_b32 v40, v40, v28, v30
.LBB645_189:                            ;   in Loop: Header=BB645_17 Depth=1
	s_or_b64 exec, exec, s[10:11]
.LBB645_190:                            ;   in Loop: Header=BB645_17 Depth=1
	s_or_b64 exec, exec, s[6:7]
.LBB645_191:                            ;   in Loop: Header=BB645_17 Depth=1
	s_or_b64 exec, exec, s[4:5]
	v_lshrrev_b16_e32 v28, 8, v26
	v_cmp_ne_u16_e32 vcc, 0, v28
	v_mov_b32_e32 v30, 0
	v_mov_b32_e32 v44, 0
	s_and_saveexec_b64 s[4:5], vcc
	s_cbranch_execz .LBB645_197
; %bb.192:                              ;   in Loop: Header=BB645_17 Depth=1
	v_cmp_ne_u16_e32 vcc, s13, v28
	v_bfrev_b32_e32 v44, 1
	s_and_saveexec_b64 s[6:7], vcc
	s_cbranch_execz .LBB645_196
; %bb.193:                              ;   in Loop: Header=BB645_17 Depth=1
	v_and_b32_e32 v52, 0x7f, v28
	v_cmp_ne_u32_e32 vcc, s14, v52
	v_mov_b32_e32 v44, 0x7f800001
	s_and_saveexec_b64 s[10:11], vcc
	s_cbranch_execz .LBB645_195
; %bb.194:                              ;   in Loop: Header=BB645_17 Depth=1
	v_and_b32_e32 v44, 7, v28
	v_ffbh_u32_e32 v54, v44
	v_min_u32_e32 v56, 32, v54
	v_subrev_u32_e32 v54, 28, v56
	v_lshlrev_b64 v[54:55], v54, v[28:29]
	v_lshrrev_b32_e32 v53, 3, v52
	v_sub_u32_e32 v28, 29, v56
	v_and_b32_e32 v54, 7, v54
	v_cmp_gt_u32_e32 vcc, 8, v52
	v_cndmask_b32_e32 v28, v53, v28, vcc
	v_cndmask_b32_e32 v44, v44, v54, vcc
	v_lshlrev_b32_e32 v52, 16, v26
	v_lshlrev_b32_e32 v44, 20, v44
	v_and_b32_e32 v52, 0x80000000, v52
	v_lshl_add_u32 v28, v28, 23, v38
	v_or3_b32 v44, v52, v28, v44
.LBB645_195:                            ;   in Loop: Header=BB645_17 Depth=1
	s_or_b64 exec, exec, s[10:11]
.LBB645_196:                            ;   in Loop: Header=BB645_17 Depth=1
	s_or_b64 exec, exec, s[6:7]
.LBB645_197:                            ;   in Loop: Header=BB645_17 Depth=1
	s_or_b64 exec, exec, s[4:5]
	v_lshrrev_b32_e32 v28, 16, v26
	v_cmp_ne_u16_sdwa s[6:7], v28, v35 src0_sel:BYTE_0 src1_sel:DWORD
	s_and_saveexec_b64 s[4:5], s[6:7]
	s_cbranch_execz .LBB645_203
; %bb.198:                              ;   in Loop: Header=BB645_17 Depth=1
	v_cmp_ne_u16_sdwa s[10:11], v28, s13 src0_sel:BYTE_0 src1_sel:DWORD
	v_bfrev_b32_e32 v30, 1
	s_and_saveexec_b64 s[6:7], s[10:11]
	s_cbranch_execz .LBB645_202
; %bb.199:                              ;   in Loop: Header=BB645_17 Depth=1
	v_bfe_u32 v52, v26, 16, 7
	v_cmp_ne_u32_e32 vcc, s14, v52
	v_mov_b32_e32 v30, 0x7f800001
	s_and_saveexec_b64 s[10:11], vcc
	s_cbranch_execz .LBB645_201
; %bb.200:                              ;   in Loop: Header=BB645_17 Depth=1
	v_and_b32_e32 v30, 7, v28
	v_ffbh_u32_e32 v54, v30
	v_min_u32_e32 v56, 32, v54
	v_subrev_u32_e32 v54, 28, v56
	v_lshlrev_b64 v[54:55], v54, v[28:29]
	v_lshrrev_b32_e32 v53, 3, v52
	v_sub_u32_e32 v55, 29, v56
	v_and_b32_e32 v54, 7, v54
	v_cmp_gt_u32_e32 vcc, 8, v52
	v_cndmask_b32_e32 v52, v53, v55, vcc
	v_cndmask_b32_e32 v30, v30, v54, vcc
	v_lshlrev_b32_e32 v28, 24, v28
	v_lshlrev_b32_e32 v30, 20, v30
	v_and_b32_e32 v28, 0x80000000, v28
	v_lshl_add_u32 v52, v52, 23, v38
	v_or3_b32 v30, v28, v52, v30
.LBB645_201:                            ;   in Loop: Header=BB645_17 Depth=1
	s_or_b64 exec, exec, s[10:11]
.LBB645_202:                            ;   in Loop: Header=BB645_17 Depth=1
	s_or_b64 exec, exec, s[6:7]
.LBB645_203:                            ;   in Loop: Header=BB645_17 Depth=1
	s_or_b64 exec, exec, s[4:5]
	v_cmp_lt_u32_e32 vcc, s15, v26
	v_mov_b32_e32 v52, 0
	s_and_saveexec_b64 s[4:5], vcc
	s_cbranch_execz .LBB645_16
; %bb.204:                              ;   in Loop: Header=BB645_17 Depth=1
	v_lshrrev_b32_e32 v28, 24, v26
	v_cmp_ne_u32_e32 vcc, s13, v28
	v_bfrev_b32_e32 v52, 1
	s_and_saveexec_b64 s[6:7], vcc
	s_cbranch_execz .LBB645_15
; %bb.205:                              ;   in Loop: Header=BB645_17 Depth=1
	v_bfe_u32 v26, v26, 24, 7
	v_cmp_ne_u32_e32 vcc, s14, v26
	v_mov_b32_e32 v52, 0x7f800001
	s_and_saveexec_b64 s[10:11], vcc
	s_cbranch_execz .LBB645_14
; %bb.206:                              ;   in Loop: Header=BB645_17 Depth=1
	v_and_b32_e32 v54, 7, v28
	v_ffbh_u32_e32 v52, v54
	v_min_u32_e32 v56, 32, v52
	v_subrev_u32_e32 v52, 28, v56
	v_lshlrev_b64 v[52:53], v52, v[28:29]
	v_lshrrev_b32_e32 v55, 3, v26
	v_sub_u32_e32 v53, 29, v56
	v_and_b32_e32 v52, 7, v52
	v_cmp_gt_u32_e32 vcc, 8, v26
	v_cndmask_b32_e32 v26, v55, v53, vcc
	v_cndmask_b32_e32 v52, v54, v52, vcc
	v_lshlrev_b32_e32 v28, 24, v28
	v_lshlrev_b32_e32 v52, 20, v52
	v_and_b32_e32 v28, 0x80000000, v28
	v_lshl_add_u32 v26, v26, 23, v38
	v_or3_b32 v52, v28, v26, v52
	s_branch .LBB645_14
.LBB645_207:
	buffer_load_dword v17, off, s[0:3], 0 offset:256
	buffer_load_dword v16, off, s[0:3], 0 offset:260
	;; [unrolled: 1-line block ×16, first 2 shown]
	v_and_b32_e32 v18, 0xc0, v0
	v_add_u32_e32 v18, s20, v18
	v_lshl_or_b32 v18, v1, 2, v18
	v_or_b32_e32 v20, 1, v18
	v_subrev_u32_e32 v24, s33, v20
	v_add_u32_e32 v26, 1, v24
	v_cvt_f32_i32_e32 v25, v24
	v_add_u32_e32 v28, 2, v24
	v_add_u32_e32 v30, 3, v24
	;; [unrolled: 1-line block ×14, first 2 shown]
	v_cvt_f32_i32_e32 v26, v26
	v_cvt_f32_i32_e32 v28, v28
	;; [unrolled: 1-line block ×4, first 2 shown]
	v_mov_b32_e32 v19, 0xff7fffff
	v_or_b32_e32 v21, 2, v18
	v_or_b32_e32 v22, 3, v18
	v_cvt_f32_i32_e32 v32, v32
	v_cvt_f32_i32_e32 v34, v34
	v_cmp_gt_i32_e64 s[28:29], s33, v18
	v_cmp_gt_i32_e64 s[30:31], s33, v20
	s_mov_b32 s52, 0xff7fffff
	v_cmp_gt_i32_e64 s[34:35], s33, v21
	v_cmp_gt_i32_e64 s[36:37], s33, v22
	v_or_b32_e32 v23, 16, v18
	v_cvt_f32_i32_e32 v35, v35
	v_cvt_f32_i32_e32 v36, v36
	v_cmp_gt_i32_e64 s[24:25], s33, v23
	v_cvt_f32_i32_e32 v37, v37
	v_cvt_f32_i32_e32 v38, v38
	;; [unrolled: 1-line block ×7, first 2 shown]
	s_waitcnt vmcnt(15)
	v_fmac_f32_e32 v17, v31, v25
	s_waitcnt vmcnt(14)
	v_fmac_f32_e32 v16, v31, v26
	;; [unrolled: 2-line block ×4, first 2 shown]
	v_cndmask_b32_e64 v20, v19, v16, s[30:31]
	v_cndmask_b32_e64 v21, v19, v15, s[34:35]
	v_cndmask_b32_e64 v22, v19, v14, s[36:37]
	s_waitcnt vmcnt(11)
	v_fmac_f32_e32 v13, v31, v32
	s_waitcnt vmcnt(10)
	v_fmac_f32_e32 v12, v31, v34
	;; [unrolled: 2-line block ×9, first 2 shown]
	v_cndmask_b32_e64 v24, v19, v17, s[28:29]
	v_max3_f32 v20, v24, s52, v20
	v_max3_f32 v20, v20, v21, v22
	v_or_b32_e32 v22, 17, v18
	v_cmp_gt_i32_e64 s[38:39], s33, v22
	v_cndmask_b32_e64 v21, v19, v13, s[24:25]
	v_cndmask_b32_e64 v22, v19, v12, s[38:39]
	v_max3_f32 v20, v20, v21, v22
	v_or_b32_e32 v21, 18, v18
	v_or_b32_e32 v22, 19, v18
	v_cmp_gt_i32_e64 s[20:21], s33, v21
	v_cmp_gt_i32_e64 s[22:23], s33, v22
	v_cndmask_b32_e64 v21, v19, v11, s[20:21]
	v_cndmask_b32_e64 v22, v19, v10, s[22:23]
	v_max3_f32 v20, v20, v21, v22
	v_or_b32_e32 v21, 32, v18
	v_or_b32_e32 v22, 33, v18
	v_cmp_gt_i32_e64 s[16:17], s33, v21
	;; [unrolled: 7-line block ×3, first 2 shown]
	v_cmp_gt_i32_e64 s[14:15], s33, v22
	v_cndmask_b32_e64 v21, v19, v7, s[12:13]
	v_cndmask_b32_e64 v22, v19, v6, s[14:15]
	v_max3_f32 v20, v20, v21, v22
	v_or_b32_e32 v21, 48, v18
	v_or_b32_e32 v22, 49, v18
	v_fmac_f32_e32 v5, v31, v44
	v_fmac_f32_e32 v4, v31, v52
	v_cmp_gt_i32_e64 s[6:7], s33, v21
	v_cmp_gt_i32_e64 s[10:11], s33, v22
	v_cndmask_b32_e64 v21, v19, v5, s[6:7]
	v_cndmask_b32_e64 v22, v19, v4, s[10:11]
	v_max3_f32 v20, v20, v21, v22
	v_or_b32_e32 v21, 50, v18
	v_or_b32_e32 v18, 51, v18
	v_fmac_f32_e32 v3, v31, v53
	v_cmp_gt_i32_e32 vcc, s33, v21
	v_cmp_gt_i32_e64 s[4:5], s33, v18
	v_cndmask_b32_e32 v21, v19, v3, vcc
	v_cndmask_b32_e64 v18, v19, v2, s[4:5]
	v_mbcnt_lo_u32_b32 v19, -1, 0
	v_mbcnt_hi_u32_b32 v19, -1, v19
	v_max3_f32 v18, v20, v21, v18
	v_and_b32_e32 v20, 64, v19
	v_add_u32_e32 v20, 64, v20
	v_xor_b32_e32 v21, 32, v19
	v_cmp_lt_i32_e64 s[40:41], v21, v20
	v_cndmask_b32_e64 v21, v19, v21, s[40:41]
	v_lshlrev_b32_e32 v21, 2, v21
	ds_bpermute_b32 v22, v21, v18
	s_waitcnt lgkmcnt(0)
	v_max_f32_e32 v22, v22, v22
	v_max_f32_e32 v18, v18, v22
	v_xor_b32_e32 v22, 16, v19
	v_cmp_lt_i32_e64 s[40:41], v22, v20
	v_cndmask_b32_e64 v19, v19, v22, s[40:41]
	v_lshlrev_b32_e32 v19, 2, v19
	ds_bpermute_b32 v20, v19, v18
	s_waitcnt lgkmcnt(0)
	v_max_f32_e32 v20, v20, v20
	v_max_f32_e32 v18, v18, v20
	v_sub_f32_e32 v17, v17, v18
	v_mul_f32_e32 v17, 0x3fb8aa3b, v17
	v_sub_f32_e32 v16, v16, v18
	v_exp_f32_e32 v17, v17
	v_mul_f32_e32 v16, 0x3fb8aa3b, v16
	v_sub_f32_e32 v15, v15, v18
	v_exp_f32_e32 v16, v16
	v_mul_f32_e32 v15, 0x3fb8aa3b, v15
	v_sub_f32_e32 v14, v14, v18
	v_exp_f32_e32 v15, v15
	v_mul_f32_e32 v14, 0x3fb8aa3b, v14
	v_sub_f32_e32 v13, v13, v18
	v_exp_f32_e32 v14, v14
	v_mul_f32_e32 v13, 0x3fb8aa3b, v13
	v_sub_f32_e32 v12, v12, v18
	v_cndmask_b32_e64 v17, 0, v17, s[28:29]
	v_exp_f32_e32 v13, v13
	v_mul_f32_e32 v12, 0x3fb8aa3b, v12
	v_sub_f32_e32 v11, v11, v18
	v_add_f32_e32 v20, 0, v17
	v_cndmask_b32_e64 v16, 0, v16, s[30:31]
	v_exp_f32_e32 v12, v12
	v_mul_f32_e32 v11, 0x3fb8aa3b, v11
	v_sub_f32_e32 v10, v10, v18
	v_add_f32_e32 v20, v20, v16
	;; [unrolled: 5-line block ×4, first 2 shown]
	v_cndmask_b32_e64 v13, 0, v13, s[24:25]
	v_exp_f32_e32 v9, v9
	v_mul_f32_e32 v8, 0x3fb8aa3b, v8
	v_sub_f32_e32 v7, v7, v18
	buffer_store_dword v17, off, s[0:3], 0 offset:256
	buffer_store_dword v16, off, s[0:3], 0 offset:260
	;; [unrolled: 1-line block ×4, first 2 shown]
	v_add_f32_e32 v14, v20, v13
	v_cndmask_b32_e64 v12, 0, v12, s[38:39]
	v_exp_f32_e32 v8, v8
	v_mul_f32_e32 v7, 0x3fb8aa3b, v7
	v_sub_f32_e32 v6, v6, v18
	v_add_f32_e32 v14, v14, v12
	v_cndmask_b32_e64 v11, 0, v11, s[20:21]
	v_exp_f32_e32 v7, v7
	v_mul_f32_e32 v6, 0x3fb8aa3b, v6
	v_sub_f32_e32 v5, v5, v18
	;; [unrolled: 5-line block ×4, first 2 shown]
	buffer_store_dword v13, off, s[0:3], 0 offset:272
	buffer_store_dword v12, off, s[0:3], 0 offset:276
	;; [unrolled: 1-line block ×4, first 2 shown]
	v_add_f32_e32 v10, v14, v9
	v_cndmask_b32_e64 v8, 0, v8, s[18:19]
	v_exp_f32_e32 v4, v4
	v_mul_f32_e32 v3, 0x3fb8aa3b, v3
	v_sub_f32_e32 v2, v2, v18
	v_add_f32_e32 v10, v10, v8
	v_cndmask_b32_e64 v7, 0, v7, s[12:13]
	v_exp_f32_e32 v3, v3
	v_mul_f32_e32 v2, 0x3fb8aa3b, v2
	v_add_f32_e32 v10, v10, v7
	v_cndmask_b32_e64 v6, 0, v6, s[14:15]
	v_exp_f32_e32 v2, v2
	v_add_f32_e32 v10, v10, v6
	v_cndmask_b32_e64 v5, 0, v5, s[6:7]
	buffer_store_dword v9, off, s[0:3], 0 offset:288
	buffer_store_dword v8, off, s[0:3], 0 offset:292
	;; [unrolled: 1-line block ×4, first 2 shown]
	v_add_f32_e32 v6, v10, v5
	v_cndmask_b32_e64 v4, 0, v4, s[10:11]
	v_add_f32_e32 v6, v6, v4
	v_cndmask_b32_e32 v3, 0, v3, vcc
	v_add_f32_e32 v6, v6, v3
	v_cndmask_b32_e64 v2, 0, v2, s[4:5]
	v_add_f32_e32 v6, v6, v2
	ds_bpermute_b32 v7, v21, v6
	buffer_store_dword v5, off, s[0:3], 0 offset:304
	buffer_store_dword v4, off, s[0:3], 0 offset:308
	buffer_store_dword v3, off, s[0:3], 0 offset:312
	buffer_store_dword v2, off, s[0:3], 0 offset:316
	v_cmp_gt_u32_e32 vcc, 16, v33
	s_waitcnt lgkmcnt(0)
	s_barrier
	v_add_f32_e32 v2, v6, v7
	ds_bpermute_b32 v3, v19, v2
	s_waitcnt lgkmcnt(0)
	s_and_saveexec_b64 s[4:5], vcc
	s_cbranch_execz .LBB645_209
; %bb.208:
	v_add_f32_e32 v2, v2, v3
	v_lshlrev_b32_e32 v3, 2, v29
	ds_write2st64_b32 v3, v18, v2 offset1:1
.LBB645_209:
	s_or_b64 exec, exec, s[4:5]
	v_lshlrev_b32_e32 v2, 2, v41
	s_waitcnt lgkmcnt(0)
	s_barrier
	ds_read2_b32 v[12:13], v2 offset1:16
	ds_read2_b32 v[14:15], v2 offset0:32 offset1:48
	ds_read2_b32 v[6:7], v2 offset0:64 offset1:80
	ds_read2_b32 v[10:11], v2 offset0:96 offset1:112
	s_waitcnt lgkmcnt(0)
	s_barrier
	buffer_load_dword v20, off, s[0:3], 0 offset:256
	buffer_load_dword v21, off, s[0:3], 0 offset:260
	;; [unrolled: 1-line block ×16, first 2 shown]
	v_lshlrev_b32_e32 v19, 3, v1
	v_lshlrev_b32_e32 v18, 5, v41
	;; [unrolled: 1-line block ×3, first 2 shown]
	v_or3_b32 v52, v26, v18, v19
	v_max3_f32 v19, v12, s52, v13
	v_max3_f32 v19, v19, v14, v15
	v_sub_f32_e32 v12, v12, v19
	v_sub_f32_e32 v13, v13, v19
	v_mul_f32_e32 v12, 0x3fb8aa3b, v12
	v_sub_f32_e32 v14, v14, v19
	v_mul_f32_e32 v13, 0x3fb8aa3b, v13
	v_exp_f32_e32 v12, v12
	v_sub_f32_e32 v15, v15, v19
	v_mul_f32_e32 v14, 0x3fb8aa3b, v14
	v_exp_f32_e32 v13, v13
	v_mul_f32_e32 v15, 0x3fb8aa3b, v15
	v_exp_f32_e32 v14, v14
	v_exp_f32_e32 v15, v15
	v_fma_f32 v6, v12, v6, 0
	v_fmac_f32_e32 v6, v13, v7
	v_fmac_f32_e32 v6, v14, v10
	;; [unrolled: 1-line block ×3, first 2 shown]
	v_cmp_eq_u32_e32 vcc, 1, v27
	v_add_f32_e32 v10, 0x358637bd, v6
	v_cndmask_b32_e32 v12, v12, v13, vcc
	v_cmp_eq_u32_e32 vcc, 2, v27
	v_div_scale_f32 v11, s[4:5], v10, v10, 1.0
	v_cndmask_b32_e32 v7, v12, v14, vcc
	v_rcp_f32_e32 v12, v11
	v_cmp_eq_u32_e32 vcc, 3, v27
	v_cndmask_b32_e32 v7, v7, v15, vcc
	v_div_scale_f32 v13, vcc, 1.0, v10, 1.0
	v_fma_f32 v14, -v11, v12, 1.0
	v_fmac_f32_e32 v12, v14, v12
	v_mul_f32_e32 v14, v13, v12
	v_fma_f32 v15, -v11, v14, v13
	v_fmac_f32_e32 v14, v15, v12
	v_fma_f32 v11, -v11, v14, v13
	v_div_fmas_f32 v11, v11, v12, v14
	v_div_fixup_f32 v10, v11, v10, 1.0
	v_mul_f32_e32 v10, v7, v10
	s_lshl_b32 s18, s49, 3
	v_cmp_gt_u32_e32 vcc, 8, v0
	s_waitcnt vmcnt(14)
	v_pk_mul_f32 v[14:15], v[10:11], v[20:21] op_sel_hi:[0,1]
	v_cvt_f16_f32_e32 v7, v14
	s_waitcnt vmcnt(12)
	v_pk_mul_f32 v[12:13], v[10:11], v[22:23] op_sel_hi:[0,1]
	buffer_store_dword v14, off, s[0:3], 0 offset:256
	buffer_store_dword v15, off, s[0:3], 0 offset:260
	;; [unrolled: 1-line block ×3, first 2 shown]
	s_waitcnt vmcnt(13)
	v_pk_mul_f32 v[20:21], v[10:11], v[24:25] op_sel_hi:[0,1]
	v_cvt_f16_f32_e32 v14, v12
	s_waitcnt vmcnt(11)
	v_pk_mul_f32 v[22:23], v[10:11], v[28:29] op_sel_hi:[0,1]
	v_cvt_f16_f32_e32 v11, v15
	v_cvt_f16_f32_e32 v15, v13
	buffer_store_dword v13, off, s[0:3], 0 offset:268
	buffer_store_dword v22, off, s[0:3], 0 offset:272
	;; [unrolled: 1-line block ×3, first 2 shown]
	v_pack_b32_f16 v12, v7, v11
	v_cvt_f16_f32_e32 v11, v23
	v_pack_b32_f16 v13, v14, v15
	v_cvt_f16_f32_e32 v7, v22
	v_cvt_f16_f32_e32 v15, v20
	;; [unrolled: 1-line block ×3, first 2 shown]
	s_waitcnt vmcnt(12)
	v_pk_mul_f32 v[4:5], v[10:11], v[4:5] op_sel_hi:[0,1]
	v_pack_b32_f16 v14, v7, v11
	s_waitcnt vmcnt(10)
	v_pk_mul_f32 v[2:3], v[10:11], v[2:3] op_sel_hi:[0,1]
	v_pack_b32_f16 v15, v15, v22
	v_cvt_f16_f32_e32 v11, v5
	buffer_store_dword v20, off, s[0:3], 0 offset:280
	buffer_store_dword v21, off, s[0:3], 0 offset:284
	ds_write2st64_b64 v52, v[12:13], v[14:15] offset1:1
	buffer_store_dword v2, off, s[0:3], 0 offset:288
	buffer_store_dword v3, off, s[0:3], 0 offset:292
	v_cvt_f16_f32_e32 v2, v2
	v_cvt_f16_f32_e32 v3, v3
	;; [unrolled: 1-line block ×3, first 2 shown]
	buffer_store_dword v4, off, s[0:3], 0 offset:296
	buffer_store_dword v5, off, s[0:3], 0 offset:300
	s_waitcnt vmcnt(12)
	v_pk_mul_f32 v[4:5], v[10:11], v[16:17] op_sel_hi:[0,1]
	v_pk_mul_f32 v[8:9], v[10:11], v[8:9] op_sel_hi:[0,1]
	v_pack_b32_f16 v2, v2, v3
	v_pack_b32_f16 v3, v7, v11
	buffer_store_dword v8, off, s[0:3], 0 offset:304
	buffer_store_dword v9, off, s[0:3], 0 offset:308
	v_cvt_f16_f32_e32 v7, v8
	v_cvt_f16_f32_e32 v8, v9
	v_cvt_f16_f32_e32 v9, v4
	v_cvt_f16_f32_e32 v10, v5
	buffer_store_dword v4, off, s[0:3], 0 offset:312
	buffer_store_dword v5, off, s[0:3], 0 offset:316
	v_pack_b32_f16 v4, v7, v8
	v_pack_b32_f16 v5, v9, v10
	ds_write2st64_b64 v52, v[2:3], v[4:5] offset0:2 offset1:3
	s_and_saveexec_b64 s[4:5], vcc
	s_cbranch_execz .LBB645_211
; %bb.210:
	v_or_b32_e32 v2, s27, v0
	v_mov_b32_e32 v3, 0
	v_mov_b32_e32 v4, s18
	v_mad_u64_u32 v[4:5], s[6:7], s8, v4, v[2:3]
	v_mov_b32_e32 v2, s26
	s_mul_i32 s9, s9, s18
	v_mad_u64_u32 v[2:3], s[6:7], v4, s48, v[2:3]
	v_add_u32_e32 v5, s9, v5
	v_mov_b32_e32 v4, v3
	v_mad_u64_u32 v[4:5], s[6:7], v5, s48, v[4:5]
	v_mov_b32_e32 v3, v4
	v_lshlrev_b64 v[2:3], 2, v[2:3]
	v_mov_b32_e32 v5, s47
	v_add_co_u32_e32 v4, vcc, s46, v2
	v_addc_co_u32_e32 v5, vcc, v5, v3, vcc
	global_store_dword v[4:5], v19, off
	v_mov_b32_e32 v4, s45
	v_add_co_u32_e32 v2, vcc, s44, v2
	v_addc_co_u32_e32 v3, vcc, v4, v3, vcc
	global_store_dword v[2:3], v6, off
.LBB645_211:
	s_or_b64 exec, exec, s[4:5]
	v_lshl_or_b32 v30, v1, 9, v18
	s_waitcnt lgkmcnt(0)
	s_barrier
	s_load_dword s4, s[42:43], 0x0
	ds_read_b128 v[2:5], v30
	ds_read_b128 v[6:9], v30 offset:16
	ds_read_b128 v[10:13], v30 offset:2048
	;; [unrolled: 1-line block ×7, first 2 shown]
	v_mov_b32_e32 v35, 0x80
	v_mov_b32_e32 v53, 0x140
	s_mov_b64 s[10:11], -1
	s_waitcnt lgkmcnt(0)
	s_mov_b32 s5, s4
	s_mov_b32 s6, s4
	;; [unrolled: 1-line block ×3, first 2 shown]
	s_movk_i32 s9, 0x80
	s_movk_i32 s19, 0x7f
	s_mov_b32 s20, 0xffffff
	v_mov_b32_e32 v54, 0
	v_bfrev_b32_e32 v55, 60
	s_branch .LBB645_215
.LBB645_212:                            ;   in Loop: Header=BB645_215 Depth=1
	s_or_b64 exec, exec, s[16:17]
.LBB645_213:                            ;   in Loop: Header=BB645_215 Depth=1
	s_or_b64 exec, exec, s[14:15]
.LBB645_214:                            ;   in Loop: Header=BB645_215 Depth=1
	s_or_b64 exec, exec, s[12:13]
	v_cvt_pkrtz_f16_f32 v60, v46, v50
	v_cvt_pkrtz_f16_f32 v61, v44, v56
	s_xor_b64 s[12:13], s[10:11], -1
	s_mov_b64 s[10:11], 0
	v_mov_b32_e32 v46, v47
	v_mfma_f32_16x16x16f16 v[60:63], v[60:61], v[30:31], v[34:37]
	v_mov_b32_e32 v50, v49
	s_and_b64 vcc, exec, s[12:13]
	s_nop 4
	v_cvt_pkrtz_f16_f32 v36, v51, v57
	v_cvt_pkrtz_f16_f32 v37, v42, v58
	v_mov_b32_e32 v35, v45
	v_mov_b32_e32 v51, v48
	v_mfma_f32_16x16x16f16 v[56:59], v[36:37], v[32:33], v[60:63]
	s_nop 7
	s_nop 2
	v_pk_mul_f32 v[56:57], v[56:57], s[4:5]
	v_pk_mul_f32 v[36:37], v[58:59], s[6:7]
	v_cvt_f16_f32_e32 v34, v56
	v_cvt_f16_f32_e32 v38, v57
	;; [unrolled: 1-line block ×4, first 2 shown]
	v_pack_b32_f16 v34, v34, v38
	v_pack_b32_f16 v36, v36, v37
	buffer_store_dword v34, v53, s[0:3], 0 offen
	buffer_store_dword v36, v53, s[0:3], 0 offen offset:4
	v_mov_b32_e32 v53, 0x148
	s_cbranch_vccnz .LBB645_597
.LBB645_215:                            ; =>This Inner Loop Header: Depth=1
	buffer_load_dword v36, v35, s[0:3], 0 offen
	buffer_load_dword v34, v35, s[0:3], 0 offen offset:4
	buffer_load_dword v40, v35, s[0:3], 0 offen offset:8
	;; [unrolled: 1-line block ×3, first 2 shown]
	v_mov_b32_e32 v35, 0
	s_waitcnt vmcnt(3)
	v_cmp_ne_u16_sdwa s[14:15], v36, v54 src0_sel:BYTE_0 src1_sel:DWORD
	s_and_saveexec_b64 s[12:13], s[14:15]
	s_cbranch_execz .LBB645_221
; %bb.216:                              ;   in Loop: Header=BB645_215 Depth=1
	v_cmp_ne_u16_sdwa s[16:17], v36, s9 src0_sel:BYTE_0 src1_sel:DWORD
	v_bfrev_b32_e32 v35, 1
	s_and_saveexec_b64 s[14:15], s[16:17]
	s_cbranch_execz .LBB645_220
; %bb.217:                              ;   in Loop: Header=BB645_215 Depth=1
	v_and_b32_e32 v37, 0x7f, v36
	v_cmp_ne_u32_e32 vcc, s19, v37
	v_mov_b32_e32 v35, 0x7f800001
	s_and_saveexec_b64 s[16:17], vcc
	s_cbranch_execz .LBB645_219
; %bb.218:                              ;   in Loop: Header=BB645_215 Depth=1
	v_and_b32_e32 v35, 7, v36
	v_ffbh_u32_e32 v44, v35
	v_min_u32_e32 v44, 32, v44
	v_subrev_u32_e32 v56, 28, v44
	v_lshlrev_b64 v[56:57], v56, v[36:37]
	v_lshrrev_b32_e32 v42, 3, v37
	v_sub_u32_e32 v44, 29, v44
	v_and_b32_e32 v56, 7, v56
	v_cmp_gt_u32_e32 vcc, 8, v37
	v_cndmask_b32_e32 v37, v42, v44, vcc
	v_cndmask_b32_e32 v35, v35, v56, vcc
	v_lshlrev_b32_e32 v42, 24, v36
	v_lshlrev_b32_e32 v35, 20, v35
	v_and_b32_e32 v42, 0x80000000, v42
	v_lshl_add_u32 v37, v37, 23, v55
	v_or3_b32 v35, v42, v37, v35
.LBB645_219:                            ;   in Loop: Header=BB645_215 Depth=1
	s_or_b64 exec, exec, s[16:17]
.LBB645_220:                            ;   in Loop: Header=BB645_215 Depth=1
	s_or_b64 exec, exec, s[14:15]
.LBB645_221:                            ;   in Loop: Header=BB645_215 Depth=1
	s_or_b64 exec, exec, s[12:13]
	v_lshrrev_b16_e32 v42, 8, v36
	v_cmp_ne_u16_e32 vcc, 0, v42
	v_mov_b32_e32 v37, 0
	s_and_saveexec_b64 s[12:13], vcc
	s_cbranch_execz .LBB645_227
; %bb.222:                              ;   in Loop: Header=BB645_215 Depth=1
	v_cmp_ne_u16_e32 vcc, s9, v42
	v_bfrev_b32_e32 v37, 1
	s_and_saveexec_b64 s[14:15], vcc
	s_cbranch_execz .LBB645_226
; %bb.223:                              ;   in Loop: Header=BB645_215 Depth=1
	v_and_b32_e32 v44, 0x7f, v42
	v_cmp_ne_u32_e32 vcc, s19, v44
	v_mov_b32_e32 v37, 0x7f800001
	s_and_saveexec_b64 s[16:17], vcc
	s_cbranch_execz .LBB645_225
; %bb.224:                              ;   in Loop: Header=BB645_215 Depth=1
	v_and_b32_e32 v37, 7, v42
	v_ffbh_u32_e32 v56, v37
	v_min_u32_e32 v59, 32, v56
	v_subrev_u32_e32 v56, 28, v59
	v_lshlrev_b64 v[56:57], v56, v[42:43]
	v_lshrrev_b32_e32 v58, 3, v44
	v_sub_u32_e32 v42, 29, v59
	v_and_b32_e32 v56, 7, v56
	v_cmp_gt_u32_e32 vcc, 8, v44
	v_cndmask_b32_e32 v42, v58, v42, vcc
	v_cndmask_b32_e32 v37, v37, v56, vcc
	v_lshlrev_b32_e32 v44, 16, v36
	v_lshlrev_b32_e32 v37, 20, v37
	v_and_b32_e32 v44, 0x80000000, v44
	v_lshl_add_u32 v42, v42, 23, v55
	v_or3_b32 v37, v44, v42, v37
.LBB645_225:                            ;   in Loop: Header=BB645_215 Depth=1
	s_or_b64 exec, exec, s[16:17]
.LBB645_226:                            ;   in Loop: Header=BB645_215 Depth=1
	s_or_b64 exec, exec, s[14:15]
.LBB645_227:                            ;   in Loop: Header=BB645_215 Depth=1
	s_or_b64 exec, exec, s[12:13]
	v_lshrrev_b32_e32 v42, 16, v36
	v_cmp_ne_u16_sdwa s[14:15], v42, v54 src0_sel:BYTE_0 src1_sel:DWORD
	v_mov_b32_e32 v56, 0
	v_mov_b32_e32 v44, 0
	s_and_saveexec_b64 s[12:13], s[14:15]
	s_cbranch_execz .LBB645_233
; %bb.228:                              ;   in Loop: Header=BB645_215 Depth=1
	v_cmp_ne_u16_sdwa s[16:17], v42, s9 src0_sel:BYTE_0 src1_sel:DWORD
	v_bfrev_b32_e32 v44, 1
	s_and_saveexec_b64 s[14:15], s[16:17]
	s_cbranch_execz .LBB645_232
; %bb.229:                              ;   in Loop: Header=BB645_215 Depth=1
	v_bfe_u32 v57, v36, 16, 7
	v_cmp_ne_u32_e32 vcc, s19, v57
	v_mov_b32_e32 v44, 0x7f800001
	s_and_saveexec_b64 s[16:17], vcc
	s_cbranch_execz .LBB645_231
; %bb.230:                              ;   in Loop: Header=BB645_215 Depth=1
	v_and_b32_e32 v44, 7, v42
	v_ffbh_u32_e32 v58, v44
	v_min_u32_e32 v61, 32, v58
	v_subrev_u32_e32 v58, 28, v61
	v_lshlrev_b64 v[58:59], v58, v[42:43]
	v_lshrrev_b32_e32 v60, 3, v57
	v_sub_u32_e32 v59, 29, v61
	v_and_b32_e32 v58, 7, v58
	v_cmp_gt_u32_e32 vcc, 8, v57
	v_cndmask_b32_e32 v57, v60, v59, vcc
	v_cndmask_b32_e32 v44, v44, v58, vcc
	v_lshlrev_b32_e32 v42, 24, v42
	v_lshlrev_b32_e32 v44, 20, v44
	v_and_b32_e32 v42, 0x80000000, v42
	v_lshl_add_u32 v57, v57, 23, v55
	v_or3_b32 v44, v42, v57, v44
.LBB645_231:                            ;   in Loop: Header=BB645_215 Depth=1
	s_or_b64 exec, exec, s[16:17]
.LBB645_232:                            ;   in Loop: Header=BB645_215 Depth=1
	s_or_b64 exec, exec, s[14:15]
.LBB645_233:                            ;   in Loop: Header=BB645_215 Depth=1
	s_or_b64 exec, exec, s[12:13]
	v_cmp_lt_u32_e32 vcc, s20, v36
	s_and_saveexec_b64 s[12:13], vcc
	s_cbranch_execz .LBB645_239
; %bb.234:                              ;   in Loop: Header=BB645_215 Depth=1
	v_lshrrev_b32_e32 v42, 24, v36
	v_cmp_ne_u32_e32 vcc, s9, v42
	v_bfrev_b32_e32 v56, 1
	s_and_saveexec_b64 s[14:15], vcc
	s_cbranch_execz .LBB645_238
; %bb.235:                              ;   in Loop: Header=BB645_215 Depth=1
	v_bfe_u32 v36, v36, 24, 7
	v_cmp_ne_u32_e32 vcc, s19, v36
	v_mov_b32_e32 v56, 0x7f800001
	s_and_saveexec_b64 s[16:17], vcc
	s_cbranch_execz .LBB645_237
; %bb.236:                              ;   in Loop: Header=BB645_215 Depth=1
	v_and_b32_e32 v58, 7, v42
	v_ffbh_u32_e32 v56, v58
	v_min_u32_e32 v60, 32, v56
	v_subrev_u32_e32 v56, 28, v60
	v_lshlrev_b64 v[56:57], v56, v[42:43]
	v_lshrrev_b32_e32 v59, 3, v36
	v_sub_u32_e32 v57, 29, v60
	v_and_b32_e32 v56, 7, v56
	v_cmp_gt_u32_e32 vcc, 8, v36
	v_cndmask_b32_e32 v36, v59, v57, vcc
	v_cndmask_b32_e32 v56, v58, v56, vcc
	v_lshlrev_b32_e32 v42, 24, v42
	v_lshlrev_b32_e32 v56, 20, v56
	v_and_b32_e32 v42, 0x80000000, v42
	v_lshl_add_u32 v36, v36, 23, v55
	v_or3_b32 v56, v42, v36, v56
.LBB645_237:                            ;   in Loop: Header=BB645_215 Depth=1
	s_or_b64 exec, exec, s[16:17]
.LBB645_238:                            ;   in Loop: Header=BB645_215 Depth=1
	s_or_b64 exec, exec, s[14:15]
.LBB645_239:                            ;   in Loop: Header=BB645_215 Depth=1
	s_or_b64 exec, exec, s[12:13]
	s_waitcnt vmcnt(2)
	v_cmp_ne_u16_sdwa s[14:15], v34, v54 src0_sel:BYTE_0 src1_sel:DWORD
	v_mov_b32_e32 v42, 0
	v_mov_b32_e32 v57, 0
	s_and_saveexec_b64 s[12:13], s[14:15]
	s_cbranch_execz .LBB645_245
; %bb.240:                              ;   in Loop: Header=BB645_215 Depth=1
	v_cmp_ne_u16_sdwa s[16:17], v34, s9 src0_sel:BYTE_0 src1_sel:DWORD
	v_bfrev_b32_e32 v57, 1
	s_and_saveexec_b64 s[14:15], s[16:17]
	s_cbranch_execz .LBB645_244
; %bb.241:                              ;   in Loop: Header=BB645_215 Depth=1
	v_and_b32_e32 v36, 0x7f, v34
	v_cmp_ne_u32_e32 vcc, s19, v36
	v_mov_b32_e32 v57, 0x7f800001
	s_and_saveexec_b64 s[16:17], vcc
	s_cbranch_execz .LBB645_243
; %bb.242:                              ;   in Loop: Header=BB645_215 Depth=1
	v_and_b32_e32 v57, 7, v34
	v_ffbh_u32_e32 v58, v57
	v_min_u32_e32 v61, 32, v58
	v_subrev_u32_e32 v58, 28, v61
	v_lshlrev_b64 v[58:59], v58, v[34:35]
	v_lshrrev_b32_e32 v60, 3, v36
	v_sub_u32_e32 v59, 29, v61
	v_and_b32_e32 v58, 7, v58
	v_cmp_gt_u32_e32 vcc, 8, v36
	v_cndmask_b32_e32 v36, v60, v59, vcc
	v_cndmask_b32_e32 v57, v57, v58, vcc
	v_lshlrev_b32_e32 v58, 24, v34
	v_lshlrev_b32_e32 v57, 20, v57
	v_and_b32_e32 v58, 0x80000000, v58
	v_lshl_add_u32 v36, v36, 23, v55
	v_or3_b32 v57, v58, v36, v57
.LBB645_243:                            ;   in Loop: Header=BB645_215 Depth=1
	s_or_b64 exec, exec, s[16:17]
.LBB645_244:                            ;   in Loop: Header=BB645_215 Depth=1
	s_or_b64 exec, exec, s[14:15]
.LBB645_245:                            ;   in Loop: Header=BB645_215 Depth=1
	s_or_b64 exec, exec, s[12:13]
	v_lshrrev_b16_e32 v36, 8, v34
	v_cmp_ne_u16_e32 vcc, 0, v36
	s_and_saveexec_b64 s[12:13], vcc
	s_cbranch_execz .LBB645_251
; %bb.246:                              ;   in Loop: Header=BB645_215 Depth=1
	v_cmp_ne_u16_e32 vcc, s9, v36
	v_bfrev_b32_e32 v42, 1
	s_and_saveexec_b64 s[14:15], vcc
	s_cbranch_execz .LBB645_250
; %bb.247:                              ;   in Loop: Header=BB645_215 Depth=1
	v_and_b32_e32 v58, 0x7f, v36
	v_cmp_ne_u32_e32 vcc, s19, v58
	v_mov_b32_e32 v42, 0x7f800001
	s_and_saveexec_b64 s[16:17], vcc
	s_cbranch_execz .LBB645_249
; %bb.248:                              ;   in Loop: Header=BB645_215 Depth=1
	v_and_b32_e32 v42, 7, v36
	v_ffbh_u32_e32 v60, v42
	v_min_u32_e32 v62, 32, v60
	v_subrev_u32_e32 v60, 28, v62
	v_lshlrev_b64 v[60:61], v60, v[36:37]
	v_lshrrev_b32_e32 v59, 3, v58
	v_sub_u32_e32 v36, 29, v62
	v_and_b32_e32 v60, 7, v60
	v_cmp_gt_u32_e32 vcc, 8, v58
	v_cndmask_b32_e32 v36, v59, v36, vcc
	v_cndmask_b32_e32 v42, v42, v60, vcc
	v_lshlrev_b32_e32 v58, 16, v34
	v_lshlrev_b32_e32 v42, 20, v42
	v_and_b32_e32 v58, 0x80000000, v58
	v_lshl_add_u32 v36, v36, 23, v55
	v_or3_b32 v42, v58, v36, v42
.LBB645_249:                            ;   in Loop: Header=BB645_215 Depth=1
	s_or_b64 exec, exec, s[16:17]
.LBB645_250:                            ;   in Loop: Header=BB645_215 Depth=1
	s_or_b64 exec, exec, s[14:15]
.LBB645_251:                            ;   in Loop: Header=BB645_215 Depth=1
	s_or_b64 exec, exec, s[12:13]
	v_lshrrev_b32_e32 v36, 16, v34
	v_cmp_ne_u16_sdwa s[14:15], v36, v54 src0_sel:BYTE_0 src1_sel:DWORD
	v_mov_b32_e32 v59, 0
	v_mov_b32_e32 v58, 0
	s_and_saveexec_b64 s[12:13], s[14:15]
	s_cbranch_execz .LBB645_257
; %bb.252:                              ;   in Loop: Header=BB645_215 Depth=1
	v_cmp_ne_u16_sdwa s[16:17], v36, s9 src0_sel:BYTE_0 src1_sel:DWORD
	v_bfrev_b32_e32 v58, 1
	s_and_saveexec_b64 s[14:15], s[16:17]
	s_cbranch_execz .LBB645_256
; %bb.253:                              ;   in Loop: Header=BB645_215 Depth=1
	v_bfe_u32 v60, v34, 16, 7
	v_cmp_ne_u32_e32 vcc, s19, v60
	v_mov_b32_e32 v58, 0x7f800001
	s_and_saveexec_b64 s[16:17], vcc
	s_cbranch_execz .LBB645_255
; %bb.254:                              ;   in Loop: Header=BB645_215 Depth=1
	v_and_b32_e32 v58, 7, v36
	v_ffbh_u32_e32 v62, v58
	v_min_u32_e32 v64, 32, v62
	v_subrev_u32_e32 v62, 28, v64
	v_lshlrev_b64 v[62:63], v62, v[36:37]
	v_lshrrev_b32_e32 v61, 3, v60
	v_sub_u32_e32 v63, 29, v64
	v_and_b32_e32 v62, 7, v62
	v_cmp_gt_u32_e32 vcc, 8, v60
	v_cndmask_b32_e32 v60, v61, v63, vcc
	v_cndmask_b32_e32 v58, v58, v62, vcc
	v_lshlrev_b32_e32 v36, 24, v36
	v_lshlrev_b32_e32 v58, 20, v58
	v_and_b32_e32 v36, 0x80000000, v36
	v_lshl_add_u32 v60, v60, 23, v55
	v_or3_b32 v58, v36, v60, v58
.LBB645_255:                            ;   in Loop: Header=BB645_215 Depth=1
	s_or_b64 exec, exec, s[16:17]
.LBB645_256:                            ;   in Loop: Header=BB645_215 Depth=1
	s_or_b64 exec, exec, s[14:15]
.LBB645_257:                            ;   in Loop: Header=BB645_215 Depth=1
	s_or_b64 exec, exec, s[12:13]
	v_cmp_lt_u32_e32 vcc, s20, v34
	s_and_saveexec_b64 s[12:13], vcc
	s_cbranch_execz .LBB645_263
; %bb.258:                              ;   in Loop: Header=BB645_215 Depth=1
	v_lshrrev_b32_e32 v36, 24, v34
	v_cmp_ne_u32_e32 vcc, s9, v36
	v_bfrev_b32_e32 v59, 1
	s_and_saveexec_b64 s[14:15], vcc
	s_cbranch_execz .LBB645_262
; %bb.259:                              ;   in Loop: Header=BB645_215 Depth=1
	v_bfe_u32 v34, v34, 24, 7
	v_cmp_ne_u32_e32 vcc, s19, v34
	v_mov_b32_e32 v59, 0x7f800001
	s_and_saveexec_b64 s[16:17], vcc
	s_cbranch_execz .LBB645_261
; %bb.260:                              ;   in Loop: Header=BB645_215 Depth=1
	v_and_b32_e32 v59, 7, v36
	v_ffbh_u32_e32 v60, v59
	v_min_u32_e32 v63, 32, v60
	v_subrev_u32_e32 v60, 28, v63
	v_lshlrev_b64 v[60:61], v60, v[36:37]
	v_lshrrev_b32_e32 v62, 3, v34
	v_sub_u32_e32 v61, 29, v63
	v_and_b32_e32 v60, 7, v60
	v_cmp_gt_u32_e32 vcc, 8, v34
	v_cndmask_b32_e32 v34, v62, v61, vcc
	v_cndmask_b32_e32 v59, v59, v60, vcc
	v_lshlrev_b32_e32 v36, 24, v36
	v_lshlrev_b32_e32 v59, 20, v59
	v_and_b32_e32 v36, 0x80000000, v36
	v_lshl_add_u32 v34, v34, 23, v55
	v_or3_b32 v59, v36, v34, v59
.LBB645_261:                            ;   in Loop: Header=BB645_215 Depth=1
	s_or_b64 exec, exec, s[16:17]
.LBB645_262:                            ;   in Loop: Header=BB645_215 Depth=1
	s_or_b64 exec, exec, s[14:15]
.LBB645_263:                            ;   in Loop: Header=BB645_215 Depth=1
	s_or_b64 exec, exec, s[12:13]
	v_cvt_pkrtz_f16_f32 v34, v35, v37
	v_cvt_pkrtz_f16_f32 v35, v44, v56
	;; [unrolled: 1-line block ×4, first 2 shown]
	v_mov_b32_e32 v44, 0
	v_mfma_f32_16x16x16f16 v[34:37], v[34:35], v[2:3], 0
	s_waitcnt vmcnt(1)
	v_cmp_ne_u16_sdwa s[14:15], v40, v54 src0_sel:BYTE_0 src1_sel:DWORD
	v_mov_b32_e32 v57, 0
	v_mfma_f32_16x16x16f16 v[34:37], v[60:61], v[4:5], v[34:37]
	s_and_saveexec_b64 s[12:13], s[14:15]
	s_cbranch_execz .LBB645_269
; %bb.264:                              ;   in Loop: Header=BB645_215 Depth=1
	v_cmp_ne_u16_sdwa s[16:17], v40, s9 src0_sel:BYTE_0 src1_sel:DWORD
	v_bfrev_b32_e32 v57, 1
	s_and_saveexec_b64 s[14:15], s[16:17]
	s_cbranch_execz .LBB645_268
; %bb.265:                              ;   in Loop: Header=BB645_215 Depth=1
	v_and_b32_e32 v42, 0x7f, v40
	v_cmp_ne_u32_e32 vcc, s19, v42
	v_mov_b32_e32 v57, 0x7f800001
	s_and_saveexec_b64 s[16:17], vcc
	s_cbranch_execz .LBB645_267
; %bb.266:                              ;   in Loop: Header=BB645_215 Depth=1
	v_and_b32_e32 v58, 7, v40
	v_ffbh_u32_e32 v56, v58
	v_min_u32_e32 v60, 32, v56
	v_subrev_u32_e32 v56, 28, v60
	v_lshlrev_b64 v[56:57], v56, v[40:41]
	v_lshrrev_b32_e32 v59, 3, v42
	v_sub_u32_e32 v57, 29, v60
	v_and_b32_e32 v56, 7, v56
	v_cmp_gt_u32_e32 vcc, 8, v42
	v_cndmask_b32_e32 v42, v59, v57, vcc
	v_cndmask_b32_e32 v56, v58, v56, vcc
	v_lshlrev_b32_e32 v57, 24, v40
	v_lshlrev_b32_e32 v56, 20, v56
	v_and_b32_e32 v57, 0x80000000, v57
	v_lshl_add_u32 v42, v42, 23, v55
	v_or3_b32 v57, v57, v42, v56
.LBB645_267:                            ;   in Loop: Header=BB645_215 Depth=1
	s_or_b64 exec, exec, s[16:17]
.LBB645_268:                            ;   in Loop: Header=BB645_215 Depth=1
	s_or_b64 exec, exec, s[14:15]
.LBB645_269:                            ;   in Loop: Header=BB645_215 Depth=1
	s_or_b64 exec, exec, s[12:13]
	v_lshrrev_b16_e32 v42, 8, v40
	v_cmp_ne_u16_e32 vcc, 0, v42
	v_mov_b32_e32 v58, 0
	s_and_saveexec_b64 s[12:13], vcc
	s_cbranch_execz .LBB645_275
; %bb.270:                              ;   in Loop: Header=BB645_215 Depth=1
	v_cmp_ne_u16_e32 vcc, s9, v42
	v_bfrev_b32_e32 v58, 1
	s_and_saveexec_b64 s[14:15], vcc
	s_cbranch_execz .LBB645_274
; %bb.271:                              ;   in Loop: Header=BB645_215 Depth=1
	v_and_b32_e32 v56, 0x7f, v42
	v_cmp_ne_u32_e32 vcc, s19, v56
	v_mov_b32_e32 v58, 0x7f800001
	s_and_saveexec_b64 s[16:17], vcc
	s_cbranch_execz .LBB645_273
; %bb.272:                              ;   in Loop: Header=BB645_215 Depth=1
	v_and_b32_e32 v60, 7, v42
	v_ffbh_u32_e32 v58, v60
	v_min_u32_e32 v62, 32, v58
	v_subrev_u32_e32 v58, 28, v62
	v_lshlrev_b64 v[58:59], v58, v[42:43]
	v_lshrrev_b32_e32 v61, 3, v56
	v_sub_u32_e32 v42, 29, v62
	v_and_b32_e32 v58, 7, v58
	v_cmp_gt_u32_e32 vcc, 8, v56
	v_cndmask_b32_e32 v42, v61, v42, vcc
	v_cndmask_b32_e32 v56, v60, v58, vcc
	v_lshlrev_b32_e32 v58, 16, v40
	v_lshlrev_b32_e32 v56, 20, v56
	v_and_b32_e32 v58, 0x80000000, v58
	v_lshl_add_u32 v42, v42, 23, v55
	v_or3_b32 v58, v58, v42, v56
.LBB645_273:                            ;   in Loop: Header=BB645_215 Depth=1
	s_or_b64 exec, exec, s[16:17]
.LBB645_274:                            ;   in Loop: Header=BB645_215 Depth=1
	s_or_b64 exec, exec, s[14:15]
.LBB645_275:                            ;   in Loop: Header=BB645_215 Depth=1
	s_or_b64 exec, exec, s[12:13]
	v_lshrrev_b32_e32 v42, 16, v40
	v_cmp_ne_u16_sdwa s[14:15], v42, v54 src0_sel:BYTE_0 src1_sel:DWORD
	s_and_saveexec_b64 s[12:13], s[14:15]
	s_cbranch_execz .LBB645_281
; %bb.276:                              ;   in Loop: Header=BB645_215 Depth=1
	v_cmp_ne_u16_sdwa s[16:17], v42, s9 src0_sel:BYTE_0 src1_sel:DWORD
	v_bfrev_b32_e32 v44, 1
	s_and_saveexec_b64 s[14:15], s[16:17]
	s_cbranch_execz .LBB645_280
; %bb.277:                              ;   in Loop: Header=BB645_215 Depth=1
	v_bfe_u32 v56, v40, 16, 7
	v_cmp_ne_u32_e32 vcc, s19, v56
	v_mov_b32_e32 v44, 0x7f800001
	s_and_saveexec_b64 s[16:17], vcc
	s_cbranch_execz .LBB645_279
; %bb.278:                              ;   in Loop: Header=BB645_215 Depth=1
	v_and_b32_e32 v44, 7, v42
	v_ffbh_u32_e32 v60, v44
	v_min_u32_e32 v62, 32, v60
	v_subrev_u32_e32 v60, 28, v62
	v_lshlrev_b64 v[60:61], v60, v[42:43]
	v_lshrrev_b32_e32 v59, 3, v56
	v_sub_u32_e32 v61, 29, v62
	v_and_b32_e32 v60, 7, v60
	v_cmp_gt_u32_e32 vcc, 8, v56
	v_cndmask_b32_e32 v56, v59, v61, vcc
	v_cndmask_b32_e32 v44, v44, v60, vcc
	v_lshlrev_b32_e32 v42, 24, v42
	v_lshlrev_b32_e32 v44, 20, v44
	v_and_b32_e32 v42, 0x80000000, v42
	v_lshl_add_u32 v56, v56, 23, v55
	v_or3_b32 v44, v42, v56, v44
.LBB645_279:                            ;   in Loop: Header=BB645_215 Depth=1
	s_or_b64 exec, exec, s[16:17]
.LBB645_280:                            ;   in Loop: Header=BB645_215 Depth=1
	s_or_b64 exec, exec, s[14:15]
.LBB645_281:                            ;   in Loop: Header=BB645_215 Depth=1
	s_or_b64 exec, exec, s[12:13]
	v_cmp_lt_u32_e32 vcc, s20, v40
	v_mov_b32_e32 v59, 0
	v_mov_b32_e32 v60, 0
	s_and_saveexec_b64 s[12:13], vcc
	s_cbranch_execz .LBB645_287
; %bb.282:                              ;   in Loop: Header=BB645_215 Depth=1
	v_lshrrev_b32_e32 v42, 24, v40
	v_cmp_ne_u32_e32 vcc, s9, v42
	v_bfrev_b32_e32 v60, 1
	s_and_saveexec_b64 s[14:15], vcc
	s_cbranch_execz .LBB645_286
; %bb.283:                              ;   in Loop: Header=BB645_215 Depth=1
	v_bfe_u32 v40, v40, 24, 7
	v_cmp_ne_u32_e32 vcc, s19, v40
	v_mov_b32_e32 v60, 0x7f800001
	s_and_saveexec_b64 s[16:17], vcc
	s_cbranch_execz .LBB645_285
; %bb.284:                              ;   in Loop: Header=BB645_215 Depth=1
	v_and_b32_e32 v56, 7, v42
	v_ffbh_u32_e32 v60, v56
	v_min_u32_e32 v63, 32, v60
	v_subrev_u32_e32 v60, 28, v63
	v_lshlrev_b64 v[60:61], v60, v[42:43]
	v_lshrrev_b32_e32 v62, 3, v40
	v_sub_u32_e32 v61, 29, v63
	v_and_b32_e32 v60, 7, v60
	v_cmp_gt_u32_e32 vcc, 8, v40
	v_cndmask_b32_e32 v40, v62, v61, vcc
	v_cndmask_b32_e32 v56, v56, v60, vcc
	v_lshlrev_b32_e32 v42, 24, v42
	v_lshlrev_b32_e32 v56, 20, v56
	v_and_b32_e32 v42, 0x80000000, v42
	v_lshl_add_u32 v40, v40, 23, v55
	v_or3_b32 v60, v42, v40, v56
.LBB645_285:                            ;   in Loop: Header=BB645_215 Depth=1
	s_or_b64 exec, exec, s[16:17]
.LBB645_286:                            ;   in Loop: Header=BB645_215 Depth=1
	s_or_b64 exec, exec, s[14:15]
.LBB645_287:                            ;   in Loop: Header=BB645_215 Depth=1
	s_or_b64 exec, exec, s[12:13]
	s_waitcnt vmcnt(0)
	v_cmp_ne_u16_sdwa s[14:15], v38, v54 src0_sel:BYTE_0 src1_sel:DWORD
	s_and_saveexec_b64 s[12:13], s[14:15]
	s_cbranch_execz .LBB645_293
; %bb.288:                              ;   in Loop: Header=BB645_215 Depth=1
	v_cmp_ne_u16_sdwa s[16:17], v38, s9 src0_sel:BYTE_0 src1_sel:DWORD
	v_bfrev_b32_e32 v59, 1
	s_and_saveexec_b64 s[14:15], s[16:17]
	s_cbranch_execz .LBB645_292
; %bb.289:                              ;   in Loop: Header=BB645_215 Depth=1
	v_and_b32_e32 v40, 0x7f, v38
	v_cmp_ne_u32_e32 vcc, s19, v40
	v_mov_b32_e32 v59, 0x7f800001
	s_and_saveexec_b64 s[16:17], vcc
	s_cbranch_execz .LBB645_291
; %bb.290:                              ;   in Loop: Header=BB645_215 Depth=1
	v_and_b32_e32 v42, 7, v38
	v_ffbh_u32_e32 v59, v42
	v_min_u32_e32 v59, 32, v59
	v_subrev_u32_e32 v61, 28, v59
	v_lshlrev_b64 v[62:63], v61, v[38:39]
	v_lshrrev_b32_e32 v56, 3, v40
	v_sub_u32_e32 v59, 29, v59
	v_and_b32_e32 v61, 7, v62
	v_cmp_gt_u32_e32 vcc, 8, v40
	v_cndmask_b32_e32 v40, v56, v59, vcc
	v_cndmask_b32_e32 v42, v42, v61, vcc
	v_lshlrev_b32_e32 v56, 24, v38
	v_lshlrev_b32_e32 v42, 20, v42
	v_and_b32_e32 v56, 0x80000000, v56
	v_lshl_add_u32 v40, v40, 23, v55
	v_or3_b32 v59, v56, v40, v42
.LBB645_291:                            ;   in Loop: Header=BB645_215 Depth=1
	s_or_b64 exec, exec, s[16:17]
.LBB645_292:                            ;   in Loop: Header=BB645_215 Depth=1
	s_or_b64 exec, exec, s[14:15]
.LBB645_293:                            ;   in Loop: Header=BB645_215 Depth=1
	s_or_b64 exec, exec, s[12:13]
	v_lshrrev_b16_e32 v40, 8, v38
	v_cmp_ne_u16_e32 vcc, 0, v40
	v_mov_b32_e32 v61, 0
	v_mov_b32_e32 v62, 0
	s_and_saveexec_b64 s[12:13], vcc
	s_cbranch_execz .LBB645_299
; %bb.294:                              ;   in Loop: Header=BB645_215 Depth=1
	v_cmp_ne_u16_e32 vcc, s9, v40
	v_bfrev_b32_e32 v62, 1
	s_and_saveexec_b64 s[14:15], vcc
	s_cbranch_execz .LBB645_298
; %bb.295:                              ;   in Loop: Header=BB645_215 Depth=1
	v_and_b32_e32 v42, 0x7f, v40
	v_cmp_ne_u32_e32 vcc, s19, v42
	v_mov_b32_e32 v62, 0x7f800001
	s_and_saveexec_b64 s[16:17], vcc
	s_cbranch_execz .LBB645_297
; %bb.296:                              ;   in Loop: Header=BB645_215 Depth=1
	v_and_b32_e32 v56, 7, v40
	v_ffbh_u32_e32 v62, v56
	v_min_u32_e32 v65, 32, v62
	v_subrev_u32_e32 v62, 28, v65
	v_lshlrev_b64 v[62:63], v62, v[40:41]
	v_lshrrev_b32_e32 v64, 3, v42
	v_sub_u32_e32 v40, 29, v65
	v_and_b32_e32 v62, 7, v62
	v_cmp_gt_u32_e32 vcc, 8, v42
	v_cndmask_b32_e32 v40, v64, v40, vcc
	v_cndmask_b32_e32 v42, v56, v62, vcc
	v_lshlrev_b32_e32 v56, 16, v38
	v_lshlrev_b32_e32 v42, 20, v42
	v_and_b32_e32 v56, 0x80000000, v56
	v_lshl_add_u32 v40, v40, 23, v55
	v_or3_b32 v62, v56, v40, v42
.LBB645_297:                            ;   in Loop: Header=BB645_215 Depth=1
	s_or_b64 exec, exec, s[16:17]
.LBB645_298:                            ;   in Loop: Header=BB645_215 Depth=1
	s_or_b64 exec, exec, s[14:15]
.LBB645_299:                            ;   in Loop: Header=BB645_215 Depth=1
	s_or_b64 exec, exec, s[12:13]
	v_lshrrev_b32_e32 v40, 16, v38
	v_cmp_ne_u16_sdwa s[14:15], v40, v54 src0_sel:BYTE_0 src1_sel:DWORD
	s_and_saveexec_b64 s[12:13], s[14:15]
	s_cbranch_execz .LBB645_305
; %bb.300:                              ;   in Loop: Header=BB645_215 Depth=1
	v_cmp_ne_u16_sdwa s[16:17], v40, s9 src0_sel:BYTE_0 src1_sel:DWORD
	v_bfrev_b32_e32 v61, 1
	s_and_saveexec_b64 s[14:15], s[16:17]
	s_cbranch_execz .LBB645_304
; %bb.301:                              ;   in Loop: Header=BB645_215 Depth=1
	v_bfe_u32 v42, v38, 16, 7
	v_cmp_ne_u32_e32 vcc, s19, v42
	v_mov_b32_e32 v61, 0x7f800001
	s_and_saveexec_b64 s[16:17], vcc
	s_cbranch_execz .LBB645_303
; %bb.302:                              ;   in Loop: Header=BB645_215 Depth=1
	v_and_b32_e32 v56, 7, v40
	v_ffbh_u32_e32 v63, v56
	v_min_u32_e32 v63, 32, v63
	v_subrev_u32_e32 v64, 28, v63
	v_lshlrev_b64 v[64:65], v64, v[40:41]
	v_lshrrev_b32_e32 v61, 3, v42
	v_sub_u32_e32 v63, 29, v63
	v_and_b32_e32 v64, 7, v64
	v_cmp_gt_u32_e32 vcc, 8, v42
	v_cndmask_b32_e32 v42, v61, v63, vcc
	v_cndmask_b32_e32 v56, v56, v64, vcc
	v_lshlrev_b32_e32 v40, 24, v40
	v_lshlrev_b32_e32 v56, 20, v56
	v_and_b32_e32 v40, 0x80000000, v40
	v_lshl_add_u32 v42, v42, 23, v55
	v_or3_b32 v61, v40, v42, v56
.LBB645_303:                            ;   in Loop: Header=BB645_215 Depth=1
	s_or_b64 exec, exec, s[16:17]
.LBB645_304:                            ;   in Loop: Header=BB645_215 Depth=1
	s_or_b64 exec, exec, s[14:15]
.LBB645_305:                            ;   in Loop: Header=BB645_215 Depth=1
	s_or_b64 exec, exec, s[12:13]
	v_cmp_lt_u32_e32 vcc, s20, v38
	v_mov_b32_e32 v56, 0
	v_mov_b32_e32 v63, 0
	s_and_saveexec_b64 s[12:13], vcc
	s_cbranch_execz .LBB645_311
; %bb.306:                              ;   in Loop: Header=BB645_215 Depth=1
	v_lshrrev_b32_e32 v40, 24, v38
	v_cmp_ne_u32_e32 vcc, s9, v40
	v_bfrev_b32_e32 v63, 1
	s_and_saveexec_b64 s[14:15], vcc
	s_cbranch_execz .LBB645_310
; %bb.307:                              ;   in Loop: Header=BB645_215 Depth=1
	v_bfe_u32 v38, v38, 24, 7
	v_cmp_ne_u32_e32 vcc, s19, v38
	v_mov_b32_e32 v63, 0x7f800001
	s_and_saveexec_b64 s[16:17], vcc
	s_cbranch_execz .LBB645_309
; %bb.308:                              ;   in Loop: Header=BB645_215 Depth=1
	v_and_b32_e32 v42, 7, v40
	v_ffbh_u32_e32 v64, v42
	v_min_u32_e32 v66, 32, v64
	v_subrev_u32_e32 v64, 28, v66
	v_lshlrev_b64 v[64:65], v64, v[40:41]
	v_lshrrev_b32_e32 v63, 3, v38
	v_sub_u32_e32 v65, 29, v66
	v_and_b32_e32 v64, 7, v64
	v_cmp_gt_u32_e32 vcc, 8, v38
	v_cndmask_b32_e32 v38, v63, v65, vcc
	v_cndmask_b32_e32 v42, v42, v64, vcc
	v_lshlrev_b32_e32 v40, 24, v40
	v_lshlrev_b32_e32 v42, 20, v42
	v_and_b32_e32 v40, 0x80000000, v40
	v_lshl_add_u32 v38, v38, 23, v55
	v_or3_b32 v63, v40, v38, v42
.LBB645_309:                            ;   in Loop: Header=BB645_215 Depth=1
	s_or_b64 exec, exec, s[16:17]
.LBB645_310:                            ;   in Loop: Header=BB645_215 Depth=1
	s_or_b64 exec, exec, s[14:15]
.LBB645_311:                            ;   in Loop: Header=BB645_215 Depth=1
	s_or_b64 exec, exec, s[12:13]
	v_cvt_pkrtz_f16_f32 v65, v44, v60
	buffer_load_dword v44, v46, s[0:3], 0 offen
	buffer_load_dword v42, v46, s[0:3], 0 offen offset:4
	buffer_load_dword v40, v46, s[0:3], 0 offen offset:8
	;; [unrolled: 1-line block ×3, first 2 shown]
	v_cvt_pkrtz_f16_f32 v64, v57, v58
	v_cvt_pkrtz_f16_f32 v58, v59, v62
	v_cvt_pkrtz_f16_f32 v59, v61, v63
	v_mfma_f32_16x16x16f16 v[34:37], v[64:65], v[6:7], v[34:37]
	s_waitcnt vmcnt(3)
	v_cmp_ne_u16_sdwa s[14:15], v44, v54 src0_sel:BYTE_0 src1_sel:DWORD
	v_mfma_f32_16x16x16f16 v[34:37], v[58:59], v[8:9], v[34:37]
	s_and_saveexec_b64 s[12:13], s[14:15]
	s_cbranch_execz .LBB645_317
; %bb.312:                              ;   in Loop: Header=BB645_215 Depth=1
	v_cmp_ne_u16_sdwa s[16:17], v44, s9 src0_sel:BYTE_0 src1_sel:DWORD
	v_bfrev_b32_e32 v56, 1
	s_and_saveexec_b64 s[14:15], s[16:17]
	s_cbranch_execz .LBB645_316
; %bb.313:                              ;   in Loop: Header=BB645_215 Depth=1
	v_and_b32_e32 v46, 0x7f, v44
	v_cmp_ne_u32_e32 vcc, s19, v46
	v_mov_b32_e32 v56, 0x7f800001
	s_and_saveexec_b64 s[16:17], vcc
	s_cbranch_execz .LBB645_315
; %bb.314:                              ;   in Loop: Header=BB645_215 Depth=1
	v_and_b32_e32 v58, 7, v44
	v_ffbh_u32_e32 v56, v58
	v_min_u32_e32 v60, 32, v56
	v_subrev_u32_e32 v56, 28, v60
	v_lshlrev_b64 v[56:57], v56, v[44:45]
	v_lshrrev_b32_e32 v59, 3, v46
	v_sub_u32_e32 v57, 29, v60
	v_and_b32_e32 v56, 7, v56
	v_cmp_gt_u32_e32 vcc, 8, v46
	v_cndmask_b32_e32 v46, v59, v57, vcc
	v_cndmask_b32_e32 v56, v58, v56, vcc
	v_lshlrev_b32_e32 v57, 24, v44
	v_lshlrev_b32_e32 v56, 20, v56
	v_and_b32_e32 v57, 0x80000000, v57
	v_lshl_add_u32 v46, v46, 23, v55
	v_or3_b32 v56, v57, v46, v56
.LBB645_315:                            ;   in Loop: Header=BB645_215 Depth=1
	s_or_b64 exec, exec, s[16:17]
.LBB645_316:                            ;   in Loop: Header=BB645_215 Depth=1
	s_or_b64 exec, exec, s[14:15]
.LBB645_317:                            ;   in Loop: Header=BB645_215 Depth=1
	s_or_b64 exec, exec, s[12:13]
	v_lshrrev_b16_e32 v46, 8, v44
	v_cmp_ne_u16_e32 vcc, 0, v46
	v_mov_b32_e32 v57, 0
	v_mov_b32_e32 v58, 0
	s_and_saveexec_b64 s[12:13], vcc
	s_cbranch_execz .LBB645_323
; %bb.318:                              ;   in Loop: Header=BB645_215 Depth=1
	v_cmp_ne_u16_e32 vcc, s9, v46
	v_bfrev_b32_e32 v58, 1
	s_and_saveexec_b64 s[14:15], vcc
	s_cbranch_execz .LBB645_322
; %bb.319:                              ;   in Loop: Header=BB645_215 Depth=1
	v_and_b32_e32 v59, 0x7f, v46
	v_cmp_ne_u32_e32 vcc, s19, v59
	v_mov_b32_e32 v58, 0x7f800001
	s_and_saveexec_b64 s[16:17], vcc
	s_cbranch_execz .LBB645_321
; %bb.320:                              ;   in Loop: Header=BB645_215 Depth=1
	v_and_b32_e32 v58, 7, v46
	v_ffbh_u32_e32 v60, v58
	v_min_u32_e32 v63, 32, v60
	v_subrev_u32_e32 v60, 28, v63
	v_lshlrev_b64 v[60:61], v60, v[46:47]
	v_lshrrev_b32_e32 v62, 3, v59
	v_sub_u32_e32 v46, 29, v63
	v_and_b32_e32 v60, 7, v60
	v_cmp_gt_u32_e32 vcc, 8, v59
	v_cndmask_b32_e32 v46, v62, v46, vcc
	v_cndmask_b32_e32 v58, v58, v60, vcc
	v_lshlrev_b32_e32 v59, 16, v44
	v_lshlrev_b32_e32 v58, 20, v58
	v_and_b32_e32 v59, 0x80000000, v59
	v_lshl_add_u32 v46, v46, 23, v55
	v_or3_b32 v58, v59, v46, v58
.LBB645_321:                            ;   in Loop: Header=BB645_215 Depth=1
	s_or_b64 exec, exec, s[16:17]
.LBB645_322:                            ;   in Loop: Header=BB645_215 Depth=1
	s_or_b64 exec, exec, s[14:15]
.LBB645_323:                            ;   in Loop: Header=BB645_215 Depth=1
	s_or_b64 exec, exec, s[12:13]
	v_lshrrev_b32_e32 v46, 16, v44
	v_cmp_ne_u16_sdwa s[14:15], v46, v54 src0_sel:BYTE_0 src1_sel:DWORD
	s_and_saveexec_b64 s[12:13], s[14:15]
	s_cbranch_execz .LBB645_329
; %bb.324:                              ;   in Loop: Header=BB645_215 Depth=1
	v_cmp_ne_u16_sdwa s[16:17], v46, s9 src0_sel:BYTE_0 src1_sel:DWORD
	v_bfrev_b32_e32 v57, 1
	s_and_saveexec_b64 s[14:15], s[16:17]
	s_cbranch_execz .LBB645_328
; %bb.325:                              ;   in Loop: Header=BB645_215 Depth=1
	v_bfe_u32 v59, v44, 16, 7
	v_cmp_ne_u32_e32 vcc, s19, v59
	v_mov_b32_e32 v57, 0x7f800001
	s_and_saveexec_b64 s[16:17], vcc
	s_cbranch_execz .LBB645_327
; %bb.326:                              ;   in Loop: Header=BB645_215 Depth=1
	v_and_b32_e32 v57, 7, v46
	v_ffbh_u32_e32 v60, v57
	v_min_u32_e32 v63, 32, v60
	v_subrev_u32_e32 v60, 28, v63
	v_lshlrev_b64 v[60:61], v60, v[46:47]
	v_lshrrev_b32_e32 v62, 3, v59
	v_sub_u32_e32 v61, 29, v63
	v_and_b32_e32 v60, 7, v60
	v_cmp_gt_u32_e32 vcc, 8, v59
	v_cndmask_b32_e32 v59, v62, v61, vcc
	v_cndmask_b32_e32 v57, v57, v60, vcc
	v_lshlrev_b32_e32 v46, 24, v46
	v_lshlrev_b32_e32 v57, 20, v57
	v_and_b32_e32 v46, 0x80000000, v46
	v_lshl_add_u32 v59, v59, 23, v55
	v_or3_b32 v57, v46, v59, v57
.LBB645_327:                            ;   in Loop: Header=BB645_215 Depth=1
	s_or_b64 exec, exec, s[16:17]
.LBB645_328:                            ;   in Loop: Header=BB645_215 Depth=1
	s_or_b64 exec, exec, s[14:15]
.LBB645_329:                            ;   in Loop: Header=BB645_215 Depth=1
	s_or_b64 exec, exec, s[12:13]
	v_cmp_lt_u32_e32 vcc, s20, v44
	v_mov_b32_e32 v59, 0
	v_mov_b32_e32 v60, 0
	s_and_saveexec_b64 s[12:13], vcc
	s_cbranch_execz .LBB645_335
; %bb.330:                              ;   in Loop: Header=BB645_215 Depth=1
	v_lshrrev_b32_e32 v46, 24, v44
	v_cmp_ne_u32_e32 vcc, s9, v46
	v_bfrev_b32_e32 v60, 1
	s_and_saveexec_b64 s[14:15], vcc
	s_cbranch_execz .LBB645_334
; %bb.331:                              ;   in Loop: Header=BB645_215 Depth=1
	v_bfe_u32 v44, v44, 24, 7
	v_cmp_ne_u32_e32 vcc, s19, v44
	v_mov_b32_e32 v60, 0x7f800001
	s_and_saveexec_b64 s[16:17], vcc
	s_cbranch_execz .LBB645_333
; %bb.332:                              ;   in Loop: Header=BB645_215 Depth=1
	v_and_b32_e32 v62, 7, v46
	v_ffbh_u32_e32 v60, v62
	v_min_u32_e32 v64, 32, v60
	v_subrev_u32_e32 v60, 28, v64
	v_lshlrev_b64 v[60:61], v60, v[46:47]
	v_lshrrev_b32_e32 v63, 3, v44
	v_sub_u32_e32 v61, 29, v64
	v_and_b32_e32 v60, 7, v60
	v_cmp_gt_u32_e32 vcc, 8, v44
	v_cndmask_b32_e32 v44, v63, v61, vcc
	v_cndmask_b32_e32 v60, v62, v60, vcc
	v_lshlrev_b32_e32 v46, 24, v46
	v_lshlrev_b32_e32 v60, 20, v60
	v_and_b32_e32 v46, 0x80000000, v46
	v_lshl_add_u32 v44, v44, 23, v55
	v_or3_b32 v60, v46, v44, v60
.LBB645_333:                            ;   in Loop: Header=BB645_215 Depth=1
	s_or_b64 exec, exec, s[16:17]
.LBB645_334:                            ;   in Loop: Header=BB645_215 Depth=1
	s_or_b64 exec, exec, s[14:15]
.LBB645_335:                            ;   in Loop: Header=BB645_215 Depth=1
	s_or_b64 exec, exec, s[12:13]
	s_waitcnt vmcnt(2)
	v_cmp_ne_u16_sdwa s[14:15], v42, v54 src0_sel:BYTE_0 src1_sel:DWORD
	s_and_saveexec_b64 s[12:13], s[14:15]
	s_cbranch_execz .LBB645_341
; %bb.336:                              ;   in Loop: Header=BB645_215 Depth=1
	v_cmp_ne_u16_sdwa s[16:17], v42, s9 src0_sel:BYTE_0 src1_sel:DWORD
	v_bfrev_b32_e32 v59, 1
	s_and_saveexec_b64 s[14:15], s[16:17]
	s_cbranch_execz .LBB645_340
; %bb.337:                              ;   in Loop: Header=BB645_215 Depth=1
	v_and_b32_e32 v44, 0x7f, v42
	v_cmp_ne_u32_e32 vcc, s19, v44
	v_mov_b32_e32 v59, 0x7f800001
	s_and_saveexec_b64 s[16:17], vcc
	s_cbranch_execz .LBB645_339
; %bb.338:                              ;   in Loop: Header=BB645_215 Depth=1
	v_and_b32_e32 v46, 7, v42
	v_ffbh_u32_e32 v61, v46
	v_min_u32_e32 v61, 32, v61
	v_subrev_u32_e32 v62, 28, v61
	v_lshlrev_b64 v[62:63], v62, v[42:43]
	v_lshrrev_b32_e32 v59, 3, v44
	v_sub_u32_e32 v61, 29, v61
	v_and_b32_e32 v62, 7, v62
	v_cmp_gt_u32_e32 vcc, 8, v44
	v_cndmask_b32_e32 v44, v59, v61, vcc
	v_cndmask_b32_e32 v46, v46, v62, vcc
	v_lshlrev_b32_e32 v59, 24, v42
	v_lshlrev_b32_e32 v46, 20, v46
	v_and_b32_e32 v59, 0x80000000, v59
	v_lshl_add_u32 v44, v44, 23, v55
	v_or3_b32 v59, v59, v44, v46
.LBB645_339:                            ;   in Loop: Header=BB645_215 Depth=1
	s_or_b64 exec, exec, s[16:17]
.LBB645_340:                            ;   in Loop: Header=BB645_215 Depth=1
	s_or_b64 exec, exec, s[14:15]
.LBB645_341:                            ;   in Loop: Header=BB645_215 Depth=1
	s_or_b64 exec, exec, s[12:13]
	v_lshrrev_b16_e32 v44, 8, v42
	v_cmp_ne_u16_e32 vcc, 0, v44
	v_mov_b32_e32 v61, 0
	v_mov_b32_e32 v62, 0
	s_and_saveexec_b64 s[12:13], vcc
	s_cbranch_execz .LBB645_347
; %bb.342:                              ;   in Loop: Header=BB645_215 Depth=1
	v_cmp_ne_u16_e32 vcc, s9, v44
	v_bfrev_b32_e32 v62, 1
	s_and_saveexec_b64 s[14:15], vcc
	s_cbranch_execz .LBB645_346
; %bb.343:                              ;   in Loop: Header=BB645_215 Depth=1
	v_and_b32_e32 v46, 0x7f, v44
	v_cmp_ne_u32_e32 vcc, s19, v46
	v_mov_b32_e32 v62, 0x7f800001
	s_and_saveexec_b64 s[16:17], vcc
	s_cbranch_execz .LBB645_345
; %bb.344:                              ;   in Loop: Header=BB645_215 Depth=1
	v_and_b32_e32 v64, 7, v44
	v_ffbh_u32_e32 v62, v64
	v_min_u32_e32 v66, 32, v62
	v_subrev_u32_e32 v62, 28, v66
	v_lshlrev_b64 v[62:63], v62, v[44:45]
	v_lshrrev_b32_e32 v65, 3, v46
	v_sub_u32_e32 v44, 29, v66
	v_and_b32_e32 v62, 7, v62
	v_cmp_gt_u32_e32 vcc, 8, v46
	v_cndmask_b32_e32 v44, v65, v44, vcc
	v_cndmask_b32_e32 v46, v64, v62, vcc
	v_lshlrev_b32_e32 v62, 16, v42
	v_lshlrev_b32_e32 v46, 20, v46
	v_and_b32_e32 v62, 0x80000000, v62
	v_lshl_add_u32 v44, v44, 23, v55
	v_or3_b32 v62, v62, v44, v46
.LBB645_345:                            ;   in Loop: Header=BB645_215 Depth=1
	s_or_b64 exec, exec, s[16:17]
.LBB645_346:                            ;   in Loop: Header=BB645_215 Depth=1
	s_or_b64 exec, exec, s[14:15]
.LBB645_347:                            ;   in Loop: Header=BB645_215 Depth=1
	s_or_b64 exec, exec, s[12:13]
	v_lshrrev_b32_e32 v44, 16, v42
	v_cmp_ne_u16_sdwa s[14:15], v44, v54 src0_sel:BYTE_0 src1_sel:DWORD
	s_and_saveexec_b64 s[12:13], s[14:15]
	s_cbranch_execz .LBB645_353
; %bb.348:                              ;   in Loop: Header=BB645_215 Depth=1
	v_cmp_ne_u16_sdwa s[16:17], v44, s9 src0_sel:BYTE_0 src1_sel:DWORD
	v_bfrev_b32_e32 v61, 1
	s_and_saveexec_b64 s[14:15], s[16:17]
	s_cbranch_execz .LBB645_352
; %bb.349:                              ;   in Loop: Header=BB645_215 Depth=1
	v_bfe_u32 v46, v42, 16, 7
	v_cmp_ne_u32_e32 vcc, s19, v46
	v_mov_b32_e32 v61, 0x7f800001
	s_and_saveexec_b64 s[16:17], vcc
	s_cbranch_execz .LBB645_351
; %bb.350:                              ;   in Loop: Header=BB645_215 Depth=1
	v_and_b32_e32 v61, 7, v44
	v_ffbh_u32_e32 v64, v61
	v_min_u32_e32 v66, 32, v64
	v_subrev_u32_e32 v64, 28, v66
	v_lshlrev_b64 v[64:65], v64, v[44:45]
	v_lshrrev_b32_e32 v63, 3, v46
	v_sub_u32_e32 v65, 29, v66
	v_and_b32_e32 v64, 7, v64
	v_cmp_gt_u32_e32 vcc, 8, v46
	v_cndmask_b32_e32 v46, v63, v65, vcc
	v_cndmask_b32_e32 v61, v61, v64, vcc
	v_lshlrev_b32_e32 v44, 24, v44
	v_lshlrev_b32_e32 v61, 20, v61
	v_and_b32_e32 v44, 0x80000000, v44
	v_lshl_add_u32 v46, v46, 23, v55
	v_or3_b32 v61, v44, v46, v61
.LBB645_351:                            ;   in Loop: Header=BB645_215 Depth=1
	s_or_b64 exec, exec, s[16:17]
.LBB645_352:                            ;   in Loop: Header=BB645_215 Depth=1
	s_or_b64 exec, exec, s[14:15]
.LBB645_353:                            ;   in Loop: Header=BB645_215 Depth=1
	s_or_b64 exec, exec, s[12:13]
	v_cmp_lt_u32_e32 vcc, s20, v42
	v_mov_b32_e32 v46, 0
	v_mov_b32_e32 v63, 0
	s_and_saveexec_b64 s[12:13], vcc
	s_cbranch_execz .LBB645_359
; %bb.354:                              ;   in Loop: Header=BB645_215 Depth=1
	v_lshrrev_b32_e32 v44, 24, v42
	v_cmp_ne_u32_e32 vcc, s9, v44
	v_bfrev_b32_e32 v63, 1
	s_and_saveexec_b64 s[14:15], vcc
	s_cbranch_execz .LBB645_358
; %bb.355:                              ;   in Loop: Header=BB645_215 Depth=1
	v_bfe_u32 v42, v42, 24, 7
	v_cmp_ne_u32_e32 vcc, s19, v42
	v_mov_b32_e32 v63, 0x7f800001
	s_and_saveexec_b64 s[16:17], vcc
	s_cbranch_execz .LBB645_357
; %bb.356:                              ;   in Loop: Header=BB645_215 Depth=1
	v_and_b32_e32 v63, 7, v44
	v_ffbh_u32_e32 v64, v63
	v_min_u32_e32 v67, 32, v64
	v_subrev_u32_e32 v64, 28, v67
	v_lshlrev_b64 v[64:65], v64, v[44:45]
	v_lshrrev_b32_e32 v66, 3, v42
	v_sub_u32_e32 v65, 29, v67
	v_and_b32_e32 v64, 7, v64
	v_cmp_gt_u32_e32 vcc, 8, v42
	v_cndmask_b32_e32 v42, v66, v65, vcc
	v_cndmask_b32_e32 v63, v63, v64, vcc
	v_lshlrev_b32_e32 v44, 24, v44
	v_lshlrev_b32_e32 v63, 20, v63
	v_and_b32_e32 v44, 0x80000000, v44
	v_lshl_add_u32 v42, v42, 23, v55
	v_or3_b32 v63, v44, v42, v63
.LBB645_357:                            ;   in Loop: Header=BB645_215 Depth=1
	s_or_b64 exec, exec, s[16:17]
.LBB645_358:                            ;   in Loop: Header=BB645_215 Depth=1
	s_or_b64 exec, exec, s[14:15]
.LBB645_359:                            ;   in Loop: Header=BB645_215 Depth=1
	s_or_b64 exec, exec, s[12:13]
	v_cvt_pkrtz_f16_f32 v56, v56, v58
	v_cvt_pkrtz_f16_f32 v57, v57, v60
	s_waitcnt vmcnt(1)
	v_cmp_ne_u16_sdwa s[14:15], v40, v54 src0_sel:BYTE_0 src1_sel:DWORD
	v_mfma_f32_16x16x16f16 v[34:37], v[56:57], v[10:11], v[34:37]
	v_cvt_pkrtz_f16_f32 v56, v59, v62
	v_cvt_pkrtz_f16_f32 v57, v61, v63
	s_nop 1
	v_mfma_f32_16x16x16f16 v[34:37], v[56:57], v[12:13], v[34:37]
	s_and_saveexec_b64 s[12:13], s[14:15]
	s_cbranch_execz .LBB645_365
; %bb.360:                              ;   in Loop: Header=BB645_215 Depth=1
	v_cmp_ne_u16_sdwa s[16:17], v40, s9 src0_sel:BYTE_0 src1_sel:DWORD
	v_bfrev_b32_e32 v46, 1
	s_and_saveexec_b64 s[14:15], s[16:17]
	s_cbranch_execz .LBB645_364
; %bb.361:                              ;   in Loop: Header=BB645_215 Depth=1
	v_and_b32_e32 v42, 0x7f, v40
	v_cmp_ne_u32_e32 vcc, s19, v42
	v_mov_b32_e32 v46, 0x7f800001
	s_and_saveexec_b64 s[16:17], vcc
	s_cbranch_execz .LBB645_363
; %bb.362:                              ;   in Loop: Header=BB645_215 Depth=1
	v_and_b32_e32 v44, 7, v40
	v_ffbh_u32_e32 v56, v44
	v_min_u32_e32 v58, 32, v56
	v_subrev_u32_e32 v56, 28, v58
	v_lshlrev_b64 v[56:57], v56, v[40:41]
	v_lshrrev_b32_e32 v46, 3, v42
	v_sub_u32_e32 v57, 29, v58
	v_and_b32_e32 v56, 7, v56
	v_cmp_gt_u32_e32 vcc, 8, v42
	v_cndmask_b32_e32 v42, v46, v57, vcc
	v_cndmask_b32_e32 v44, v44, v56, vcc
	v_lshlrev_b32_e32 v46, 24, v40
	v_lshlrev_b32_e32 v44, 20, v44
	v_and_b32_e32 v46, 0x80000000, v46
	v_lshl_add_u32 v42, v42, 23, v55
	v_or3_b32 v46, v46, v42, v44
.LBB645_363:                            ;   in Loop: Header=BB645_215 Depth=1
	s_or_b64 exec, exec, s[16:17]
.LBB645_364:                            ;   in Loop: Header=BB645_215 Depth=1
	s_or_b64 exec, exec, s[14:15]
.LBB645_365:                            ;   in Loop: Header=BB645_215 Depth=1
	s_or_b64 exec, exec, s[12:13]
	v_lshrrev_b16_e32 v42, 8, v40
	v_cmp_ne_u16_e32 vcc, 0, v42
	v_mov_b32_e32 v44, 0
	v_mov_b32_e32 v57, 0
	s_and_saveexec_b64 s[12:13], vcc
	s_cbranch_execz .LBB645_371
; %bb.366:                              ;   in Loop: Header=BB645_215 Depth=1
	v_cmp_ne_u16_e32 vcc, s9, v42
	v_bfrev_b32_e32 v57, 1
	s_and_saveexec_b64 s[14:15], vcc
	s_cbranch_execz .LBB645_370
; %bb.367:                              ;   in Loop: Header=BB645_215 Depth=1
	v_and_b32_e32 v56, 0x7f, v42
	v_cmp_ne_u32_e32 vcc, s19, v56
	v_mov_b32_e32 v57, 0x7f800001
	s_and_saveexec_b64 s[16:17], vcc
	s_cbranch_execz .LBB645_369
; %bb.368:                              ;   in Loop: Header=BB645_215 Depth=1
	v_and_b32_e32 v57, 7, v42
	v_ffbh_u32_e32 v58, v57
	v_min_u32_e32 v61, 32, v58
	v_subrev_u32_e32 v58, 28, v61
	v_lshlrev_b64 v[58:59], v58, v[42:43]
	v_lshrrev_b32_e32 v60, 3, v56
	v_sub_u32_e32 v42, 29, v61
	v_and_b32_e32 v58, 7, v58
	v_cmp_gt_u32_e32 vcc, 8, v56
	v_cndmask_b32_e32 v42, v60, v42, vcc
	v_cndmask_b32_e32 v56, v57, v58, vcc
	v_lshlrev_b32_e32 v57, 16, v40
	v_lshlrev_b32_e32 v56, 20, v56
	v_and_b32_e32 v57, 0x80000000, v57
	v_lshl_add_u32 v42, v42, 23, v55
	v_or3_b32 v57, v57, v42, v56
.LBB645_369:                            ;   in Loop: Header=BB645_215 Depth=1
	s_or_b64 exec, exec, s[16:17]
.LBB645_370:                            ;   in Loop: Header=BB645_215 Depth=1
	s_or_b64 exec, exec, s[14:15]
.LBB645_371:                            ;   in Loop: Header=BB645_215 Depth=1
	s_or_b64 exec, exec, s[12:13]
	v_lshrrev_b32_e32 v42, 16, v40
	v_cmp_ne_u16_sdwa s[14:15], v42, v54 src0_sel:BYTE_0 src1_sel:DWORD
	s_and_saveexec_b64 s[12:13], s[14:15]
	s_cbranch_execz .LBB645_377
; %bb.372:                              ;   in Loop: Header=BB645_215 Depth=1
	v_cmp_ne_u16_sdwa s[16:17], v42, s9 src0_sel:BYTE_0 src1_sel:DWORD
	v_bfrev_b32_e32 v44, 1
	s_and_saveexec_b64 s[14:15], s[16:17]
	s_cbranch_execz .LBB645_376
; %bb.373:                              ;   in Loop: Header=BB645_215 Depth=1
	v_bfe_u32 v56, v40, 16, 7
	v_cmp_ne_u32_e32 vcc, s19, v56
	v_mov_b32_e32 v44, 0x7f800001
	s_and_saveexec_b64 s[16:17], vcc
	s_cbranch_execz .LBB645_375
; %bb.374:                              ;   in Loop: Header=BB645_215 Depth=1
	v_and_b32_e32 v44, 7, v42
	v_ffbh_u32_e32 v58, v44
	v_min_u32_e32 v61, 32, v58
	v_subrev_u32_e32 v58, 28, v61
	v_lshlrev_b64 v[58:59], v58, v[42:43]
	v_lshrrev_b32_e32 v60, 3, v56
	v_sub_u32_e32 v59, 29, v61
	v_and_b32_e32 v58, 7, v58
	v_cmp_gt_u32_e32 vcc, 8, v56
	v_cndmask_b32_e32 v56, v60, v59, vcc
	v_cndmask_b32_e32 v44, v44, v58, vcc
	v_lshlrev_b32_e32 v42, 24, v42
	v_lshlrev_b32_e32 v44, 20, v44
	v_and_b32_e32 v42, 0x80000000, v42
	v_lshl_add_u32 v56, v56, 23, v55
	v_or3_b32 v44, v42, v56, v44
.LBB645_375:                            ;   in Loop: Header=BB645_215 Depth=1
	s_or_b64 exec, exec, s[16:17]
.LBB645_376:                            ;   in Loop: Header=BB645_215 Depth=1
	s_or_b64 exec, exec, s[14:15]
.LBB645_377:                            ;   in Loop: Header=BB645_215 Depth=1
	s_or_b64 exec, exec, s[12:13]
	v_cmp_lt_u32_e32 vcc, s20, v40
	v_mov_b32_e32 v58, 0
	v_mov_b32_e32 v59, 0
	s_and_saveexec_b64 s[12:13], vcc
	s_cbranch_execz .LBB645_383
; %bb.378:                              ;   in Loop: Header=BB645_215 Depth=1
	v_lshrrev_b32_e32 v42, 24, v40
	v_cmp_ne_u32_e32 vcc, s9, v42
	v_bfrev_b32_e32 v59, 1
	s_and_saveexec_b64 s[14:15], vcc
	s_cbranch_execz .LBB645_382
; %bb.379:                              ;   in Loop: Header=BB645_215 Depth=1
	v_bfe_u32 v40, v40, 24, 7
	v_cmp_ne_u32_e32 vcc, s19, v40
	v_mov_b32_e32 v59, 0x7f800001
	s_and_saveexec_b64 s[16:17], vcc
	s_cbranch_execz .LBB645_381
; %bb.380:                              ;   in Loop: Header=BB645_215 Depth=1
	v_and_b32_e32 v56, 7, v42
	v_ffbh_u32_e32 v60, v56
	v_min_u32_e32 v62, 32, v60
	v_subrev_u32_e32 v60, 28, v62
	v_lshlrev_b64 v[60:61], v60, v[42:43]
	v_lshrrev_b32_e32 v59, 3, v40
	v_sub_u32_e32 v61, 29, v62
	v_and_b32_e32 v60, 7, v60
	v_cmp_gt_u32_e32 vcc, 8, v40
	v_cndmask_b32_e32 v40, v59, v61, vcc
	v_cndmask_b32_e32 v56, v56, v60, vcc
	v_lshlrev_b32_e32 v42, 24, v42
	v_lshlrev_b32_e32 v56, 20, v56
	v_and_b32_e32 v42, 0x80000000, v42
	v_lshl_add_u32 v40, v40, 23, v55
	v_or3_b32 v59, v42, v40, v56
.LBB645_381:                            ;   in Loop: Header=BB645_215 Depth=1
	s_or_b64 exec, exec, s[16:17]
.LBB645_382:                            ;   in Loop: Header=BB645_215 Depth=1
	s_or_b64 exec, exec, s[14:15]
.LBB645_383:                            ;   in Loop: Header=BB645_215 Depth=1
	s_or_b64 exec, exec, s[12:13]
	s_waitcnt vmcnt(0)
	v_cmp_ne_u16_sdwa s[14:15], v38, v54 src0_sel:BYTE_0 src1_sel:DWORD
	s_and_saveexec_b64 s[12:13], s[14:15]
	s_cbranch_execz .LBB645_389
; %bb.384:                              ;   in Loop: Header=BB645_215 Depth=1
	v_cmp_ne_u16_sdwa s[16:17], v38, s9 src0_sel:BYTE_0 src1_sel:DWORD
	v_bfrev_b32_e32 v58, 1
	s_and_saveexec_b64 s[14:15], s[16:17]
	s_cbranch_execz .LBB645_388
; %bb.385:                              ;   in Loop: Header=BB645_215 Depth=1
	v_and_b32_e32 v40, 0x7f, v38
	v_cmp_ne_u32_e32 vcc, s19, v40
	v_mov_b32_e32 v58, 0x7f800001
	s_and_saveexec_b64 s[16:17], vcc
	s_cbranch_execz .LBB645_387
; %bb.386:                              ;   in Loop: Header=BB645_215 Depth=1
	v_and_b32_e32 v42, 7, v38
	v_ffbh_u32_e32 v58, v42
	v_min_u32_e32 v58, 32, v58
	v_subrev_u32_e32 v60, 28, v58
	v_lshlrev_b64 v[60:61], v60, v[38:39]
	v_lshrrev_b32_e32 v56, 3, v40
	v_sub_u32_e32 v58, 29, v58
	v_and_b32_e32 v60, 7, v60
	v_cmp_gt_u32_e32 vcc, 8, v40
	v_cndmask_b32_e32 v40, v56, v58, vcc
	v_cndmask_b32_e32 v42, v42, v60, vcc
	v_lshlrev_b32_e32 v56, 24, v38
	v_lshlrev_b32_e32 v42, 20, v42
	v_and_b32_e32 v56, 0x80000000, v56
	v_lshl_add_u32 v40, v40, 23, v55
	v_or3_b32 v58, v56, v40, v42
.LBB645_387:                            ;   in Loop: Header=BB645_215 Depth=1
	s_or_b64 exec, exec, s[16:17]
.LBB645_388:                            ;   in Loop: Header=BB645_215 Depth=1
	s_or_b64 exec, exec, s[14:15]
.LBB645_389:                            ;   in Loop: Header=BB645_215 Depth=1
	s_or_b64 exec, exec, s[12:13]
	v_lshrrev_b16_e32 v40, 8, v38
	v_cmp_ne_u16_e32 vcc, 0, v40
	v_mov_b32_e32 v60, 0
	v_mov_b32_e32 v61, 0
	s_and_saveexec_b64 s[12:13], vcc
	s_cbranch_execz .LBB645_395
; %bb.390:                              ;   in Loop: Header=BB645_215 Depth=1
	v_cmp_ne_u16_e32 vcc, s9, v40
	v_bfrev_b32_e32 v61, 1
	s_and_saveexec_b64 s[14:15], vcc
	s_cbranch_execz .LBB645_394
; %bb.391:                              ;   in Loop: Header=BB645_215 Depth=1
	v_and_b32_e32 v42, 0x7f, v40
	v_cmp_ne_u32_e32 vcc, s19, v42
	v_mov_b32_e32 v61, 0x7f800001
	s_and_saveexec_b64 s[16:17], vcc
	s_cbranch_execz .LBB645_393
; %bb.392:                              ;   in Loop: Header=BB645_215 Depth=1
	v_and_b32_e32 v56, 7, v40
	v_ffbh_u32_e32 v62, v56
	v_min_u32_e32 v64, 32, v62
	v_subrev_u32_e32 v62, 28, v64
	v_lshlrev_b64 v[62:63], v62, v[40:41]
	v_lshrrev_b32_e32 v61, 3, v42
	v_sub_u32_e32 v40, 29, v64
	v_and_b32_e32 v62, 7, v62
	v_cmp_gt_u32_e32 vcc, 8, v42
	v_cndmask_b32_e32 v40, v61, v40, vcc
	v_cndmask_b32_e32 v42, v56, v62, vcc
	v_lshlrev_b32_e32 v56, 16, v38
	v_lshlrev_b32_e32 v42, 20, v42
	v_and_b32_e32 v56, 0x80000000, v56
	v_lshl_add_u32 v40, v40, 23, v55
	v_or3_b32 v61, v56, v40, v42
.LBB645_393:                            ;   in Loop: Header=BB645_215 Depth=1
	s_or_b64 exec, exec, s[16:17]
.LBB645_394:                            ;   in Loop: Header=BB645_215 Depth=1
	s_or_b64 exec, exec, s[14:15]
.LBB645_395:                            ;   in Loop: Header=BB645_215 Depth=1
	s_or_b64 exec, exec, s[12:13]
	v_lshrrev_b32_e32 v40, 16, v38
	v_cmp_ne_u16_sdwa s[14:15], v40, v54 src0_sel:BYTE_0 src1_sel:DWORD
	s_and_saveexec_b64 s[12:13], s[14:15]
	s_cbranch_execz .LBB645_401
; %bb.396:                              ;   in Loop: Header=BB645_215 Depth=1
	v_cmp_ne_u16_sdwa s[16:17], v40, s9 src0_sel:BYTE_0 src1_sel:DWORD
	v_bfrev_b32_e32 v60, 1
	s_and_saveexec_b64 s[14:15], s[16:17]
	s_cbranch_execz .LBB645_400
; %bb.397:                              ;   in Loop: Header=BB645_215 Depth=1
	v_bfe_u32 v42, v38, 16, 7
	v_cmp_ne_u32_e32 vcc, s19, v42
	v_mov_b32_e32 v60, 0x7f800001
	s_and_saveexec_b64 s[16:17], vcc
	s_cbranch_execz .LBB645_399
; %bb.398:                              ;   in Loop: Header=BB645_215 Depth=1
	v_and_b32_e32 v56, 7, v40
	v_ffbh_u32_e32 v62, v56
	v_min_u32_e32 v64, 32, v62
	v_subrev_u32_e32 v62, 28, v64
	v_lshlrev_b64 v[62:63], v62, v[40:41]
	v_lshrrev_b32_e32 v60, 3, v42
	v_sub_u32_e32 v63, 29, v64
	v_and_b32_e32 v62, 7, v62
	v_cmp_gt_u32_e32 vcc, 8, v42
	v_cndmask_b32_e32 v42, v60, v63, vcc
	v_cndmask_b32_e32 v56, v56, v62, vcc
	v_lshlrev_b32_e32 v40, 24, v40
	v_lshlrev_b32_e32 v56, 20, v56
	v_and_b32_e32 v40, 0x80000000, v40
	v_lshl_add_u32 v42, v42, 23, v55
	v_or3_b32 v60, v40, v42, v56
.LBB645_399:                            ;   in Loop: Header=BB645_215 Depth=1
	s_or_b64 exec, exec, s[16:17]
.LBB645_400:                            ;   in Loop: Header=BB645_215 Depth=1
	s_or_b64 exec, exec, s[14:15]
.LBB645_401:                            ;   in Loop: Header=BB645_215 Depth=1
	s_or_b64 exec, exec, s[12:13]
	v_cmp_lt_u32_e32 vcc, s20, v38
	v_mov_b32_e32 v56, 0
	v_mov_b32_e32 v62, 0
	s_and_saveexec_b64 s[12:13], vcc
	s_cbranch_execz .LBB645_407
; %bb.402:                              ;   in Loop: Header=BB645_215 Depth=1
	v_lshrrev_b32_e32 v40, 24, v38
	v_cmp_ne_u32_e32 vcc, s9, v40
	v_bfrev_b32_e32 v62, 1
	s_and_saveexec_b64 s[14:15], vcc
	s_cbranch_execz .LBB645_406
; %bb.403:                              ;   in Loop: Header=BB645_215 Depth=1
	v_bfe_u32 v38, v38, 24, 7
	v_cmp_ne_u32_e32 vcc, s19, v38
	v_mov_b32_e32 v62, 0x7f800001
	s_and_saveexec_b64 s[16:17], vcc
	s_cbranch_execz .LBB645_405
; %bb.404:                              ;   in Loop: Header=BB645_215 Depth=1
	v_and_b32_e32 v42, 7, v40
	v_ffbh_u32_e32 v62, v42
	v_min_u32_e32 v65, 32, v62
	v_subrev_u32_e32 v62, 28, v65
	v_lshlrev_b64 v[62:63], v62, v[40:41]
	v_lshrrev_b32_e32 v64, 3, v38
	v_sub_u32_e32 v63, 29, v65
	v_and_b32_e32 v62, 7, v62
	v_cmp_gt_u32_e32 vcc, 8, v38
	v_cndmask_b32_e32 v38, v64, v63, vcc
	v_cndmask_b32_e32 v42, v42, v62, vcc
	v_lshlrev_b32_e32 v40, 24, v40
	v_lshlrev_b32_e32 v42, 20, v42
	v_and_b32_e32 v40, 0x80000000, v40
	v_lshl_add_u32 v38, v38, 23, v55
	v_or3_b32 v62, v40, v38, v42
.LBB645_405:                            ;   in Loop: Header=BB645_215 Depth=1
	s_or_b64 exec, exec, s[16:17]
.LBB645_406:                            ;   in Loop: Header=BB645_215 Depth=1
	s_or_b64 exec, exec, s[14:15]
.LBB645_407:                            ;   in Loop: Header=BB645_215 Depth=1
	s_or_b64 exec, exec, s[12:13]
	v_cvt_pkrtz_f16_f32 v65, v44, v59
	buffer_load_dword v44, v51, s[0:3], 0 offen
	buffer_load_dword v42, v51, s[0:3], 0 offen offset:4
	buffer_load_dword v40, v51, s[0:3], 0 offen offset:8
	buffer_load_dword v38, v51, s[0:3], 0 offen offset:12
	v_cvt_pkrtz_f16_f32 v64, v46, v57
	v_cvt_pkrtz_f16_f32 v58, v58, v61
	;; [unrolled: 1-line block ×3, first 2 shown]
	v_mfma_f32_16x16x16f16 v[34:37], v[64:65], v[14:15], v[34:37]
	s_waitcnt vmcnt(3)
	v_cmp_ne_u16_sdwa s[14:15], v44, v54 src0_sel:BYTE_0 src1_sel:DWORD
	v_mfma_f32_16x16x16f16 v[34:37], v[58:59], v[16:17], v[34:37]
	s_and_saveexec_b64 s[12:13], s[14:15]
	s_cbranch_execz .LBB645_413
; %bb.408:                              ;   in Loop: Header=BB645_215 Depth=1
	v_cmp_ne_u16_sdwa s[16:17], v44, s9 src0_sel:BYTE_0 src1_sel:DWORD
	v_bfrev_b32_e32 v56, 1
	s_and_saveexec_b64 s[14:15], s[16:17]
	s_cbranch_execz .LBB645_412
; %bb.409:                              ;   in Loop: Header=BB645_215 Depth=1
	v_and_b32_e32 v46, 0x7f, v44
	v_cmp_ne_u32_e32 vcc, s19, v46
	v_mov_b32_e32 v56, 0x7f800001
	s_and_saveexec_b64 s[16:17], vcc
	s_cbranch_execz .LBB645_411
; %bb.410:                              ;   in Loop: Header=BB645_215 Depth=1
	v_and_b32_e32 v51, 7, v44
	v_ffbh_u32_e32 v56, v51
	v_min_u32_e32 v59, 32, v56
	v_subrev_u32_e32 v56, 28, v59
	v_lshlrev_b64 v[56:57], v56, v[44:45]
	v_lshrrev_b32_e32 v58, 3, v46
	v_sub_u32_e32 v57, 29, v59
	v_and_b32_e32 v56, 7, v56
	v_cmp_gt_u32_e32 vcc, 8, v46
	v_cndmask_b32_e32 v46, v58, v57, vcc
	v_cndmask_b32_e32 v51, v51, v56, vcc
	v_lshlrev_b32_e32 v56, 24, v44
	v_lshlrev_b32_e32 v51, 20, v51
	v_and_b32_e32 v56, 0x80000000, v56
	v_lshl_add_u32 v46, v46, 23, v55
	v_or3_b32 v56, v56, v46, v51
.LBB645_411:                            ;   in Loop: Header=BB645_215 Depth=1
	s_or_b64 exec, exec, s[16:17]
.LBB645_412:                            ;   in Loop: Header=BB645_215 Depth=1
	s_or_b64 exec, exec, s[14:15]
.LBB645_413:                            ;   in Loop: Header=BB645_215 Depth=1
	s_or_b64 exec, exec, s[12:13]
	v_lshrrev_b16_e32 v46, 8, v44
	v_cmp_ne_u16_e32 vcc, 0, v46
	v_mov_b32_e32 v51, 0
	v_mov_b32_e32 v57, 0
	s_and_saveexec_b64 s[12:13], vcc
	s_cbranch_execz .LBB645_419
; %bb.414:                              ;   in Loop: Header=BB645_215 Depth=1
	v_cmp_ne_u16_e32 vcc, s9, v46
	v_bfrev_b32_e32 v57, 1
	s_and_saveexec_b64 s[14:15], vcc
	s_cbranch_execz .LBB645_418
; %bb.415:                              ;   in Loop: Header=BB645_215 Depth=1
	v_and_b32_e32 v58, 0x7f, v46
	v_cmp_ne_u32_e32 vcc, s19, v58
	v_mov_b32_e32 v57, 0x7f800001
	s_and_saveexec_b64 s[16:17], vcc
	s_cbranch_execz .LBB645_417
; %bb.416:                              ;   in Loop: Header=BB645_215 Depth=1
	v_and_b32_e32 v57, 7, v46
	v_ffbh_u32_e32 v60, v57
	v_min_u32_e32 v62, 32, v60
	v_subrev_u32_e32 v60, 28, v62
	v_lshlrev_b64 v[60:61], v60, v[46:47]
	v_lshrrev_b32_e32 v59, 3, v58
	v_sub_u32_e32 v46, 29, v62
	v_and_b32_e32 v60, 7, v60
	v_cmp_gt_u32_e32 vcc, 8, v58
	v_cndmask_b32_e32 v46, v59, v46, vcc
	v_cndmask_b32_e32 v57, v57, v60, vcc
	v_lshlrev_b32_e32 v58, 16, v44
	v_lshlrev_b32_e32 v57, 20, v57
	v_and_b32_e32 v58, 0x80000000, v58
	v_lshl_add_u32 v46, v46, 23, v55
	v_or3_b32 v57, v58, v46, v57
.LBB645_417:                            ;   in Loop: Header=BB645_215 Depth=1
	s_or_b64 exec, exec, s[16:17]
.LBB645_418:                            ;   in Loop: Header=BB645_215 Depth=1
	s_or_b64 exec, exec, s[14:15]
.LBB645_419:                            ;   in Loop: Header=BB645_215 Depth=1
	s_or_b64 exec, exec, s[12:13]
	v_lshrrev_b32_e32 v46, 16, v44
	v_cmp_ne_u16_sdwa s[14:15], v46, v54 src0_sel:BYTE_0 src1_sel:DWORD
	s_and_saveexec_b64 s[12:13], s[14:15]
	s_cbranch_execz .LBB645_425
; %bb.420:                              ;   in Loop: Header=BB645_215 Depth=1
	v_cmp_ne_u16_sdwa s[16:17], v46, s9 src0_sel:BYTE_0 src1_sel:DWORD
	v_bfrev_b32_e32 v51, 1
	s_and_saveexec_b64 s[14:15], s[16:17]
	s_cbranch_execz .LBB645_424
; %bb.421:                              ;   in Loop: Header=BB645_215 Depth=1
	v_bfe_u32 v58, v44, 16, 7
	v_cmp_ne_u32_e32 vcc, s19, v58
	v_mov_b32_e32 v51, 0x7f800001
	s_and_saveexec_b64 s[16:17], vcc
	s_cbranch_execz .LBB645_423
; %bb.422:                              ;   in Loop: Header=BB645_215 Depth=1
	v_and_b32_e32 v51, 7, v46
	v_ffbh_u32_e32 v60, v51
	v_min_u32_e32 v62, 32, v60
	v_subrev_u32_e32 v60, 28, v62
	v_lshlrev_b64 v[60:61], v60, v[46:47]
	v_lshrrev_b32_e32 v59, 3, v58
	v_sub_u32_e32 v61, 29, v62
	v_and_b32_e32 v60, 7, v60
	v_cmp_gt_u32_e32 vcc, 8, v58
	v_cndmask_b32_e32 v58, v59, v61, vcc
	v_cndmask_b32_e32 v51, v51, v60, vcc
	v_lshlrev_b32_e32 v46, 24, v46
	v_lshlrev_b32_e32 v51, 20, v51
	v_and_b32_e32 v46, 0x80000000, v46
	v_lshl_add_u32 v58, v58, 23, v55
	v_or3_b32 v51, v46, v58, v51
.LBB645_423:                            ;   in Loop: Header=BB645_215 Depth=1
	s_or_b64 exec, exec, s[16:17]
.LBB645_424:                            ;   in Loop: Header=BB645_215 Depth=1
	s_or_b64 exec, exec, s[14:15]
.LBB645_425:                            ;   in Loop: Header=BB645_215 Depth=1
	s_or_b64 exec, exec, s[12:13]
	v_cmp_lt_u32_e32 vcc, s20, v44
	v_mov_b32_e32 v58, 0
	v_mov_b32_e32 v59, 0
	s_and_saveexec_b64 s[12:13], vcc
	s_cbranch_execz .LBB645_431
; %bb.426:                              ;   in Loop: Header=BB645_215 Depth=1
	v_lshrrev_b32_e32 v46, 24, v44
	v_cmp_ne_u32_e32 vcc, s9, v46
	v_bfrev_b32_e32 v59, 1
	s_and_saveexec_b64 s[14:15], vcc
	s_cbranch_execz .LBB645_430
; %bb.427:                              ;   in Loop: Header=BB645_215 Depth=1
	v_bfe_u32 v44, v44, 24, 7
	v_cmp_ne_u32_e32 vcc, s19, v44
	v_mov_b32_e32 v59, 0x7f800001
	s_and_saveexec_b64 s[16:17], vcc
	s_cbranch_execz .LBB645_429
; %bb.428:                              ;   in Loop: Header=BB645_215 Depth=1
	v_and_b32_e32 v59, 7, v46
	v_ffbh_u32_e32 v60, v59
	v_min_u32_e32 v63, 32, v60
	v_subrev_u32_e32 v60, 28, v63
	v_lshlrev_b64 v[60:61], v60, v[46:47]
	v_lshrrev_b32_e32 v62, 3, v44
	v_sub_u32_e32 v61, 29, v63
	v_and_b32_e32 v60, 7, v60
	v_cmp_gt_u32_e32 vcc, 8, v44
	v_cndmask_b32_e32 v44, v62, v61, vcc
	v_cndmask_b32_e32 v59, v59, v60, vcc
	v_lshlrev_b32_e32 v46, 24, v46
	v_lshlrev_b32_e32 v59, 20, v59
	v_and_b32_e32 v46, 0x80000000, v46
	v_lshl_add_u32 v44, v44, 23, v55
	v_or3_b32 v59, v46, v44, v59
.LBB645_429:                            ;   in Loop: Header=BB645_215 Depth=1
	s_or_b64 exec, exec, s[16:17]
.LBB645_430:                            ;   in Loop: Header=BB645_215 Depth=1
	s_or_b64 exec, exec, s[14:15]
.LBB645_431:                            ;   in Loop: Header=BB645_215 Depth=1
	s_or_b64 exec, exec, s[12:13]
	s_waitcnt vmcnt(2)
	v_cmp_ne_u16_sdwa s[14:15], v42, v54 src0_sel:BYTE_0 src1_sel:DWORD
	s_and_saveexec_b64 s[12:13], s[14:15]
	s_cbranch_execz .LBB645_437
; %bb.432:                              ;   in Loop: Header=BB645_215 Depth=1
	v_cmp_ne_u16_sdwa s[16:17], v42, s9 src0_sel:BYTE_0 src1_sel:DWORD
	v_bfrev_b32_e32 v58, 1
	s_and_saveexec_b64 s[14:15], s[16:17]
	s_cbranch_execz .LBB645_436
; %bb.433:                              ;   in Loop: Header=BB645_215 Depth=1
	v_and_b32_e32 v44, 0x7f, v42
	v_cmp_ne_u32_e32 vcc, s19, v44
	v_mov_b32_e32 v58, 0x7f800001
	s_and_saveexec_b64 s[16:17], vcc
	s_cbranch_execz .LBB645_435
; %bb.434:                              ;   in Loop: Header=BB645_215 Depth=1
	v_and_b32_e32 v46, 7, v42
	v_ffbh_u32_e32 v60, v46
	v_min_u32_e32 v62, 32, v60
	v_subrev_u32_e32 v60, 28, v62
	v_lshlrev_b64 v[60:61], v60, v[42:43]
	v_lshrrev_b32_e32 v58, 3, v44
	v_sub_u32_e32 v61, 29, v62
	v_and_b32_e32 v60, 7, v60
	v_cmp_gt_u32_e32 vcc, 8, v44
	v_cndmask_b32_e32 v44, v58, v61, vcc
	v_cndmask_b32_e32 v46, v46, v60, vcc
	v_lshlrev_b32_e32 v58, 24, v42
	v_lshlrev_b32_e32 v46, 20, v46
	v_and_b32_e32 v58, 0x80000000, v58
	v_lshl_add_u32 v44, v44, 23, v55
	v_or3_b32 v58, v58, v44, v46
.LBB645_435:                            ;   in Loop: Header=BB645_215 Depth=1
	s_or_b64 exec, exec, s[16:17]
.LBB645_436:                            ;   in Loop: Header=BB645_215 Depth=1
	s_or_b64 exec, exec, s[14:15]
.LBB645_437:                            ;   in Loop: Header=BB645_215 Depth=1
	s_or_b64 exec, exec, s[12:13]
	v_lshrrev_b16_e32 v44, 8, v42
	v_cmp_ne_u16_e32 vcc, 0, v44
	v_mov_b32_e32 v60, 0
	v_mov_b32_e32 v61, 0
	s_and_saveexec_b64 s[12:13], vcc
	s_cbranch_execz .LBB645_443
; %bb.438:                              ;   in Loop: Header=BB645_215 Depth=1
	v_cmp_ne_u16_e32 vcc, s9, v44
	v_bfrev_b32_e32 v61, 1
	s_and_saveexec_b64 s[14:15], vcc
	s_cbranch_execz .LBB645_442
; %bb.439:                              ;   in Loop: Header=BB645_215 Depth=1
	v_and_b32_e32 v46, 0x7f, v44
	v_cmp_ne_u32_e32 vcc, s19, v46
	v_mov_b32_e32 v61, 0x7f800001
	s_and_saveexec_b64 s[16:17], vcc
	s_cbranch_execz .LBB645_441
; %bb.440:                              ;   in Loop: Header=BB645_215 Depth=1
	v_and_b32_e32 v61, 7, v44
	v_ffbh_u32_e32 v62, v61
	v_min_u32_e32 v65, 32, v62
	v_subrev_u32_e32 v62, 28, v65
	v_lshlrev_b64 v[62:63], v62, v[44:45]
	v_lshrrev_b32_e32 v64, 3, v46
	v_sub_u32_e32 v44, 29, v65
	v_and_b32_e32 v62, 7, v62
	v_cmp_gt_u32_e32 vcc, 8, v46
	v_cndmask_b32_e32 v44, v64, v44, vcc
	v_cndmask_b32_e32 v46, v61, v62, vcc
	v_lshlrev_b32_e32 v61, 16, v42
	v_lshlrev_b32_e32 v46, 20, v46
	v_and_b32_e32 v61, 0x80000000, v61
	v_lshl_add_u32 v44, v44, 23, v55
	v_or3_b32 v61, v61, v44, v46
.LBB645_441:                            ;   in Loop: Header=BB645_215 Depth=1
	s_or_b64 exec, exec, s[16:17]
.LBB645_442:                            ;   in Loop: Header=BB645_215 Depth=1
	s_or_b64 exec, exec, s[14:15]
.LBB645_443:                            ;   in Loop: Header=BB645_215 Depth=1
	s_or_b64 exec, exec, s[12:13]
	v_lshrrev_b32_e32 v44, 16, v42
	v_cmp_ne_u16_sdwa s[14:15], v44, v54 src0_sel:BYTE_0 src1_sel:DWORD
	s_and_saveexec_b64 s[12:13], s[14:15]
	s_cbranch_execz .LBB645_449
; %bb.444:                              ;   in Loop: Header=BB645_215 Depth=1
	v_cmp_ne_u16_sdwa s[16:17], v44, s9 src0_sel:BYTE_0 src1_sel:DWORD
	v_bfrev_b32_e32 v60, 1
	s_and_saveexec_b64 s[14:15], s[16:17]
	s_cbranch_execz .LBB645_448
; %bb.445:                              ;   in Loop: Header=BB645_215 Depth=1
	v_bfe_u32 v46, v42, 16, 7
	v_cmp_ne_u32_e32 vcc, s19, v46
	v_mov_b32_e32 v60, 0x7f800001
	s_and_saveexec_b64 s[16:17], vcc
	s_cbranch_execz .LBB645_447
; %bb.446:                              ;   in Loop: Header=BB645_215 Depth=1
	v_and_b32_e32 v60, 7, v44
	v_ffbh_u32_e32 v62, v60
	v_min_u32_e32 v65, 32, v62
	v_subrev_u32_e32 v62, 28, v65
	v_lshlrev_b64 v[62:63], v62, v[44:45]
	v_lshrrev_b32_e32 v64, 3, v46
	v_sub_u32_e32 v63, 29, v65
	v_and_b32_e32 v62, 7, v62
	v_cmp_gt_u32_e32 vcc, 8, v46
	v_cndmask_b32_e32 v46, v64, v63, vcc
	v_cndmask_b32_e32 v60, v60, v62, vcc
	v_lshlrev_b32_e32 v44, 24, v44
	v_lshlrev_b32_e32 v60, 20, v60
	v_and_b32_e32 v44, 0x80000000, v44
	v_lshl_add_u32 v46, v46, 23, v55
	v_or3_b32 v60, v44, v46, v60
.LBB645_447:                            ;   in Loop: Header=BB645_215 Depth=1
	s_or_b64 exec, exec, s[16:17]
.LBB645_448:                            ;   in Loop: Header=BB645_215 Depth=1
	s_or_b64 exec, exec, s[14:15]
.LBB645_449:                            ;   in Loop: Header=BB645_215 Depth=1
	s_or_b64 exec, exec, s[12:13]
	v_cmp_lt_u32_e32 vcc, s20, v42
	v_mov_b32_e32 v46, 0
	v_mov_b32_e32 v62, 0
	s_and_saveexec_b64 s[12:13], vcc
	s_cbranch_execz .LBB645_455
; %bb.450:                              ;   in Loop: Header=BB645_215 Depth=1
	v_lshrrev_b32_e32 v44, 24, v42
	v_cmp_ne_u32_e32 vcc, s9, v44
	v_bfrev_b32_e32 v62, 1
	s_and_saveexec_b64 s[14:15], vcc
	s_cbranch_execz .LBB645_454
; %bb.451:                              ;   in Loop: Header=BB645_215 Depth=1
	v_bfe_u32 v42, v42, 24, 7
	v_cmp_ne_u32_e32 vcc, s19, v42
	v_mov_b32_e32 v62, 0x7f800001
	s_and_saveexec_b64 s[16:17], vcc
	s_cbranch_execz .LBB645_453
; %bb.452:                              ;   in Loop: Header=BB645_215 Depth=1
	v_and_b32_e32 v64, 7, v44
	v_ffbh_u32_e32 v62, v64
	v_min_u32_e32 v66, 32, v62
	v_subrev_u32_e32 v62, 28, v66
	v_lshlrev_b64 v[62:63], v62, v[44:45]
	v_lshrrev_b32_e32 v65, 3, v42
	v_sub_u32_e32 v63, 29, v66
	v_and_b32_e32 v62, 7, v62
	v_cmp_gt_u32_e32 vcc, 8, v42
	v_cndmask_b32_e32 v42, v65, v63, vcc
	v_cndmask_b32_e32 v62, v64, v62, vcc
	v_lshlrev_b32_e32 v44, 24, v44
	v_lshlrev_b32_e32 v62, 20, v62
	v_and_b32_e32 v44, 0x80000000, v44
	v_lshl_add_u32 v42, v42, 23, v55
	v_or3_b32 v62, v44, v42, v62
.LBB645_453:                            ;   in Loop: Header=BB645_215 Depth=1
	s_or_b64 exec, exec, s[16:17]
.LBB645_454:                            ;   in Loop: Header=BB645_215 Depth=1
	s_or_b64 exec, exec, s[14:15]
.LBB645_455:                            ;   in Loop: Header=BB645_215 Depth=1
	s_or_b64 exec, exec, s[12:13]
	v_cvt_pkrtz_f16_f32 v56, v56, v57
	v_cvt_pkrtz_f16_f32 v57, v51, v59
	s_waitcnt vmcnt(1)
	v_cmp_ne_u16_sdwa s[14:15], v40, v54 src0_sel:BYTE_0 src1_sel:DWORD
	v_mfma_f32_16x16x16f16 v[34:37], v[56:57], v[18:19], v[34:37]
	v_cvt_pkrtz_f16_f32 v56, v58, v61
	v_cvt_pkrtz_f16_f32 v57, v60, v62
	s_nop 1
	v_mfma_f32_16x16x16f16 v[34:37], v[56:57], v[20:21], v[34:37]
	s_and_saveexec_b64 s[12:13], s[14:15]
	s_cbranch_execz .LBB645_461
; %bb.456:                              ;   in Loop: Header=BB645_215 Depth=1
	v_cmp_ne_u16_sdwa s[16:17], v40, s9 src0_sel:BYTE_0 src1_sel:DWORD
	v_bfrev_b32_e32 v46, 1
	s_and_saveexec_b64 s[14:15], s[16:17]
	s_cbranch_execz .LBB645_460
; %bb.457:                              ;   in Loop: Header=BB645_215 Depth=1
	v_and_b32_e32 v42, 0x7f, v40
	v_cmp_ne_u32_e32 vcc, s19, v42
	v_mov_b32_e32 v46, 0x7f800001
	s_and_saveexec_b64 s[16:17], vcc
	s_cbranch_execz .LBB645_459
; %bb.458:                              ;   in Loop: Header=BB645_215 Depth=1
	v_and_b32_e32 v44, 7, v40
	v_ffbh_u32_e32 v51, v44
	v_min_u32_e32 v51, 32, v51
	v_subrev_u32_e32 v56, 28, v51
	v_lshlrev_b64 v[56:57], v56, v[40:41]
	v_lshrrev_b32_e32 v46, 3, v42
	v_sub_u32_e32 v51, 29, v51
	v_and_b32_e32 v56, 7, v56
	v_cmp_gt_u32_e32 vcc, 8, v42
	v_cndmask_b32_e32 v42, v46, v51, vcc
	v_cndmask_b32_e32 v44, v44, v56, vcc
	v_lshlrev_b32_e32 v46, 24, v40
	v_lshlrev_b32_e32 v44, 20, v44
	v_and_b32_e32 v46, 0x80000000, v46
	v_lshl_add_u32 v42, v42, 23, v55
	v_or3_b32 v46, v46, v42, v44
.LBB645_459:                            ;   in Loop: Header=BB645_215 Depth=1
	s_or_b64 exec, exec, s[16:17]
.LBB645_460:                            ;   in Loop: Header=BB645_215 Depth=1
	s_or_b64 exec, exec, s[14:15]
.LBB645_461:                            ;   in Loop: Header=BB645_215 Depth=1
	s_or_b64 exec, exec, s[12:13]
	v_lshrrev_b16_e32 v42, 8, v40
	v_cmp_ne_u16_e32 vcc, 0, v42
	v_mov_b32_e32 v44, 0
	v_mov_b32_e32 v56, 0
	s_and_saveexec_b64 s[12:13], vcc
	s_cbranch_execz .LBB645_467
; %bb.462:                              ;   in Loop: Header=BB645_215 Depth=1
	v_cmp_ne_u16_e32 vcc, s9, v42
	v_bfrev_b32_e32 v56, 1
	s_and_saveexec_b64 s[14:15], vcc
	s_cbranch_execz .LBB645_466
; %bb.463:                              ;   in Loop: Header=BB645_215 Depth=1
	v_and_b32_e32 v51, 0x7f, v42
	v_cmp_ne_u32_e32 vcc, s19, v51
	v_mov_b32_e32 v56, 0x7f800001
	s_and_saveexec_b64 s[16:17], vcc
	s_cbranch_execz .LBB645_465
; %bb.464:                              ;   in Loop: Header=BB645_215 Depth=1
	v_and_b32_e32 v58, 7, v42
	v_ffbh_u32_e32 v56, v58
	v_min_u32_e32 v60, 32, v56
	v_subrev_u32_e32 v56, 28, v60
	v_lshlrev_b64 v[56:57], v56, v[42:43]
	v_lshrrev_b32_e32 v59, 3, v51
	v_sub_u32_e32 v42, 29, v60
	v_and_b32_e32 v56, 7, v56
	v_cmp_gt_u32_e32 vcc, 8, v51
	v_cndmask_b32_e32 v42, v59, v42, vcc
	v_cndmask_b32_e32 v51, v58, v56, vcc
	v_lshlrev_b32_e32 v56, 16, v40
	v_lshlrev_b32_e32 v51, 20, v51
	v_and_b32_e32 v56, 0x80000000, v56
	v_lshl_add_u32 v42, v42, 23, v55
	v_or3_b32 v56, v56, v42, v51
.LBB645_465:                            ;   in Loop: Header=BB645_215 Depth=1
	s_or_b64 exec, exec, s[16:17]
.LBB645_466:                            ;   in Loop: Header=BB645_215 Depth=1
	s_or_b64 exec, exec, s[14:15]
.LBB645_467:                            ;   in Loop: Header=BB645_215 Depth=1
	s_or_b64 exec, exec, s[12:13]
	v_lshrrev_b32_e32 v42, 16, v40
	v_cmp_ne_u16_sdwa s[14:15], v42, v54 src0_sel:BYTE_0 src1_sel:DWORD
	s_and_saveexec_b64 s[12:13], s[14:15]
	s_cbranch_execz .LBB645_473
; %bb.468:                              ;   in Loop: Header=BB645_215 Depth=1
	v_cmp_ne_u16_sdwa s[16:17], v42, s9 src0_sel:BYTE_0 src1_sel:DWORD
	v_bfrev_b32_e32 v44, 1
	s_and_saveexec_b64 s[14:15], s[16:17]
	s_cbranch_execz .LBB645_472
; %bb.469:                              ;   in Loop: Header=BB645_215 Depth=1
	v_bfe_u32 v51, v40, 16, 7
	v_cmp_ne_u32_e32 vcc, s19, v51
	v_mov_b32_e32 v44, 0x7f800001
	s_and_saveexec_b64 s[16:17], vcc
	s_cbranch_execz .LBB645_471
; %bb.470:                              ;   in Loop: Header=BB645_215 Depth=1
	v_and_b32_e32 v44, 7, v42
	v_ffbh_u32_e32 v58, v44
	v_min_u32_e32 v60, 32, v58
	v_subrev_u32_e32 v58, 28, v60
	v_lshlrev_b64 v[58:59], v58, v[42:43]
	v_lshrrev_b32_e32 v57, 3, v51
	v_sub_u32_e32 v59, 29, v60
	v_and_b32_e32 v58, 7, v58
	v_cmp_gt_u32_e32 vcc, 8, v51
	v_cndmask_b32_e32 v51, v57, v59, vcc
	v_cndmask_b32_e32 v44, v44, v58, vcc
	v_lshlrev_b32_e32 v42, 24, v42
	v_lshlrev_b32_e32 v44, 20, v44
	v_and_b32_e32 v42, 0x80000000, v42
	v_lshl_add_u32 v51, v51, 23, v55
	v_or3_b32 v44, v42, v51, v44
.LBB645_471:                            ;   in Loop: Header=BB645_215 Depth=1
	s_or_b64 exec, exec, s[16:17]
.LBB645_472:                            ;   in Loop: Header=BB645_215 Depth=1
	s_or_b64 exec, exec, s[14:15]
.LBB645_473:                            ;   in Loop: Header=BB645_215 Depth=1
	s_or_b64 exec, exec, s[12:13]
	v_cmp_lt_u32_e32 vcc, s20, v40
	v_mov_b32_e32 v57, 0
	v_mov_b32_e32 v58, 0
	s_and_saveexec_b64 s[12:13], vcc
	s_cbranch_execz .LBB645_479
; %bb.474:                              ;   in Loop: Header=BB645_215 Depth=1
	v_lshrrev_b32_e32 v42, 24, v40
	v_cmp_ne_u32_e32 vcc, s9, v42
	v_bfrev_b32_e32 v58, 1
	s_and_saveexec_b64 s[14:15], vcc
	s_cbranch_execz .LBB645_478
; %bb.475:                              ;   in Loop: Header=BB645_215 Depth=1
	v_bfe_u32 v40, v40, 24, 7
	v_cmp_ne_u32_e32 vcc, s19, v40
	v_mov_b32_e32 v58, 0x7f800001
	s_and_saveexec_b64 s[16:17], vcc
	s_cbranch_execz .LBB645_477
; %bb.476:                              ;   in Loop: Header=BB645_215 Depth=1
	v_and_b32_e32 v51, 7, v42
	v_ffbh_u32_e32 v58, v51
	v_min_u32_e32 v61, 32, v58
	v_subrev_u32_e32 v58, 28, v61
	v_lshlrev_b64 v[58:59], v58, v[42:43]
	v_lshrrev_b32_e32 v60, 3, v40
	v_sub_u32_e32 v59, 29, v61
	v_and_b32_e32 v58, 7, v58
	v_cmp_gt_u32_e32 vcc, 8, v40
	v_cndmask_b32_e32 v40, v60, v59, vcc
	v_cndmask_b32_e32 v51, v51, v58, vcc
	v_lshlrev_b32_e32 v42, 24, v42
	v_lshlrev_b32_e32 v51, 20, v51
	v_and_b32_e32 v42, 0x80000000, v42
	v_lshl_add_u32 v40, v40, 23, v55
	v_or3_b32 v58, v42, v40, v51
.LBB645_477:                            ;   in Loop: Header=BB645_215 Depth=1
	s_or_b64 exec, exec, s[16:17]
.LBB645_478:                            ;   in Loop: Header=BB645_215 Depth=1
	s_or_b64 exec, exec, s[14:15]
.LBB645_479:                            ;   in Loop: Header=BB645_215 Depth=1
	s_or_b64 exec, exec, s[12:13]
	s_waitcnt vmcnt(0)
	v_cmp_ne_u16_sdwa s[14:15], v38, v54 src0_sel:BYTE_0 src1_sel:DWORD
	s_and_saveexec_b64 s[12:13], s[14:15]
	s_cbranch_execz .LBB645_485
; %bb.480:                              ;   in Loop: Header=BB645_215 Depth=1
	v_cmp_ne_u16_sdwa s[16:17], v38, s9 src0_sel:BYTE_0 src1_sel:DWORD
	v_bfrev_b32_e32 v57, 1
	s_and_saveexec_b64 s[14:15], s[16:17]
	s_cbranch_execz .LBB645_484
; %bb.481:                              ;   in Loop: Header=BB645_215 Depth=1
	v_and_b32_e32 v40, 0x7f, v38
	v_cmp_ne_u32_e32 vcc, s19, v40
	v_mov_b32_e32 v57, 0x7f800001
	s_and_saveexec_b64 s[16:17], vcc
	s_cbranch_execz .LBB645_483
; %bb.482:                              ;   in Loop: Header=BB645_215 Depth=1
	v_and_b32_e32 v42, 7, v38
	v_ffbh_u32_e32 v57, v42
	v_min_u32_e32 v57, 32, v57
	v_subrev_u32_e32 v59, 28, v57
	v_lshlrev_b64 v[60:61], v59, v[38:39]
	v_lshrrev_b32_e32 v51, 3, v40
	v_sub_u32_e32 v57, 29, v57
	v_and_b32_e32 v59, 7, v60
	v_cmp_gt_u32_e32 vcc, 8, v40
	v_cndmask_b32_e32 v40, v51, v57, vcc
	v_cndmask_b32_e32 v42, v42, v59, vcc
	v_lshlrev_b32_e32 v51, 24, v38
	v_lshlrev_b32_e32 v42, 20, v42
	v_and_b32_e32 v51, 0x80000000, v51
	v_lshl_add_u32 v40, v40, 23, v55
	v_or3_b32 v57, v51, v40, v42
.LBB645_483:                            ;   in Loop: Header=BB645_215 Depth=1
	s_or_b64 exec, exec, s[16:17]
.LBB645_484:                            ;   in Loop: Header=BB645_215 Depth=1
	s_or_b64 exec, exec, s[14:15]
.LBB645_485:                            ;   in Loop: Header=BB645_215 Depth=1
	s_or_b64 exec, exec, s[12:13]
	v_lshrrev_b16_e32 v40, 8, v38
	v_cmp_ne_u16_e32 vcc, 0, v40
	v_mov_b32_e32 v59, 0
	v_mov_b32_e32 v60, 0
	s_and_saveexec_b64 s[12:13], vcc
	s_cbranch_execz .LBB645_491
; %bb.486:                              ;   in Loop: Header=BB645_215 Depth=1
	v_cmp_ne_u16_e32 vcc, s9, v40
	v_bfrev_b32_e32 v60, 1
	s_and_saveexec_b64 s[14:15], vcc
	s_cbranch_execz .LBB645_490
; %bb.487:                              ;   in Loop: Header=BB645_215 Depth=1
	v_and_b32_e32 v42, 0x7f, v40
	v_cmp_ne_u32_e32 vcc, s19, v42
	v_mov_b32_e32 v60, 0x7f800001
	s_and_saveexec_b64 s[16:17], vcc
	s_cbranch_execz .LBB645_489
; %bb.488:                              ;   in Loop: Header=BB645_215 Depth=1
	v_and_b32_e32 v51, 7, v40
	v_ffbh_u32_e32 v60, v51
	v_min_u32_e32 v63, 32, v60
	v_subrev_u32_e32 v60, 28, v63
	v_lshlrev_b64 v[60:61], v60, v[40:41]
	v_lshrrev_b32_e32 v62, 3, v42
	v_sub_u32_e32 v40, 29, v63
	v_and_b32_e32 v60, 7, v60
	v_cmp_gt_u32_e32 vcc, 8, v42
	v_cndmask_b32_e32 v40, v62, v40, vcc
	v_cndmask_b32_e32 v42, v51, v60, vcc
	v_lshlrev_b32_e32 v51, 16, v38
	v_lshlrev_b32_e32 v42, 20, v42
	v_and_b32_e32 v51, 0x80000000, v51
	v_lshl_add_u32 v40, v40, 23, v55
	v_or3_b32 v60, v51, v40, v42
.LBB645_489:                            ;   in Loop: Header=BB645_215 Depth=1
	s_or_b64 exec, exec, s[16:17]
.LBB645_490:                            ;   in Loop: Header=BB645_215 Depth=1
	s_or_b64 exec, exec, s[14:15]
.LBB645_491:                            ;   in Loop: Header=BB645_215 Depth=1
	s_or_b64 exec, exec, s[12:13]
	v_lshrrev_b32_e32 v40, 16, v38
	v_cmp_ne_u16_sdwa s[14:15], v40, v54 src0_sel:BYTE_0 src1_sel:DWORD
	s_and_saveexec_b64 s[12:13], s[14:15]
	s_cbranch_execz .LBB645_497
; %bb.492:                              ;   in Loop: Header=BB645_215 Depth=1
	v_cmp_ne_u16_sdwa s[16:17], v40, s9 src0_sel:BYTE_0 src1_sel:DWORD
	v_bfrev_b32_e32 v59, 1
	s_and_saveexec_b64 s[14:15], s[16:17]
	s_cbranch_execz .LBB645_496
; %bb.493:                              ;   in Loop: Header=BB645_215 Depth=1
	v_bfe_u32 v42, v38, 16, 7
	v_cmp_ne_u32_e32 vcc, s19, v42
	v_mov_b32_e32 v59, 0x7f800001
	s_and_saveexec_b64 s[16:17], vcc
	s_cbranch_execz .LBB645_495
; %bb.494:                              ;   in Loop: Header=BB645_215 Depth=1
	v_and_b32_e32 v51, 7, v40
	v_ffbh_u32_e32 v61, v51
	v_min_u32_e32 v61, 32, v61
	v_subrev_u32_e32 v62, 28, v61
	v_lshlrev_b64 v[62:63], v62, v[40:41]
	v_lshrrev_b32_e32 v59, 3, v42
	v_sub_u32_e32 v61, 29, v61
	v_and_b32_e32 v62, 7, v62
	v_cmp_gt_u32_e32 vcc, 8, v42
	v_cndmask_b32_e32 v42, v59, v61, vcc
	v_cndmask_b32_e32 v51, v51, v62, vcc
	v_lshlrev_b32_e32 v40, 24, v40
	v_lshlrev_b32_e32 v51, 20, v51
	v_and_b32_e32 v40, 0x80000000, v40
	v_lshl_add_u32 v42, v42, 23, v55
	v_or3_b32 v59, v40, v42, v51
.LBB645_495:                            ;   in Loop: Header=BB645_215 Depth=1
	s_or_b64 exec, exec, s[16:17]
.LBB645_496:                            ;   in Loop: Header=BB645_215 Depth=1
	s_or_b64 exec, exec, s[14:15]
.LBB645_497:                            ;   in Loop: Header=BB645_215 Depth=1
	s_or_b64 exec, exec, s[12:13]
	v_cmp_lt_u32_e32 vcc, s20, v38
	v_mov_b32_e32 v51, 0
	v_mov_b32_e32 v61, 0
	s_and_saveexec_b64 s[12:13], vcc
	s_cbranch_execz .LBB645_503
; %bb.498:                              ;   in Loop: Header=BB645_215 Depth=1
	v_lshrrev_b32_e32 v40, 24, v38
	v_cmp_ne_u32_e32 vcc, s9, v40
	v_bfrev_b32_e32 v61, 1
	s_and_saveexec_b64 s[14:15], vcc
	s_cbranch_execz .LBB645_502
; %bb.499:                              ;   in Loop: Header=BB645_215 Depth=1
	v_bfe_u32 v38, v38, 24, 7
	v_cmp_ne_u32_e32 vcc, s19, v38
	v_mov_b32_e32 v61, 0x7f800001
	s_and_saveexec_b64 s[16:17], vcc
	s_cbranch_execz .LBB645_501
; %bb.500:                              ;   in Loop: Header=BB645_215 Depth=1
	v_and_b32_e32 v42, 7, v40
	v_ffbh_u32_e32 v62, v42
	v_min_u32_e32 v64, 32, v62
	v_subrev_u32_e32 v62, 28, v64
	v_lshlrev_b64 v[62:63], v62, v[40:41]
	v_lshrrev_b32_e32 v61, 3, v38
	v_sub_u32_e32 v63, 29, v64
	v_and_b32_e32 v62, 7, v62
	v_cmp_gt_u32_e32 vcc, 8, v38
	v_cndmask_b32_e32 v38, v61, v63, vcc
	v_cndmask_b32_e32 v42, v42, v62, vcc
	v_lshlrev_b32_e32 v40, 24, v40
	v_lshlrev_b32_e32 v42, 20, v42
	v_and_b32_e32 v40, 0x80000000, v40
	v_lshl_add_u32 v38, v38, 23, v55
	v_or3_b32 v61, v40, v38, v42
.LBB645_501:                            ;   in Loop: Header=BB645_215 Depth=1
	s_or_b64 exec, exec, s[16:17]
.LBB645_502:                            ;   in Loop: Header=BB645_215 Depth=1
	s_or_b64 exec, exec, s[14:15]
.LBB645_503:                            ;   in Loop: Header=BB645_215 Depth=1
	s_or_b64 exec, exec, s[12:13]
	v_cvt_pkrtz_f16_f32 v63, v44, v58
	buffer_load_dword v44, v50, s[0:3], 0 offen
	buffer_load_dword v42, v50, s[0:3], 0 offen offset:4
	buffer_load_dword v40, v50, s[0:3], 0 offen offset:8
	;; [unrolled: 1-line block ×3, first 2 shown]
	v_cvt_pkrtz_f16_f32 v62, v46, v56
	v_cvt_pkrtz_f16_f32 v56, v57, v60
	v_cvt_pkrtz_f16_f32 v57, v59, v61
	v_mfma_f32_16x16x16f16 v[34:37], v[62:63], v[22:23], v[34:37]
	s_waitcnt vmcnt(3)
	v_cmp_ne_u16_sdwa s[14:15], v44, v54 src0_sel:BYTE_0 src1_sel:DWORD
	v_mfma_f32_16x16x16f16 v[34:37], v[56:57], v[24:25], v[34:37]
	s_and_saveexec_b64 s[12:13], s[14:15]
	s_cbranch_execz .LBB645_509
; %bb.504:                              ;   in Loop: Header=BB645_215 Depth=1
	v_cmp_ne_u16_sdwa s[16:17], v44, s9 src0_sel:BYTE_0 src1_sel:DWORD
	v_bfrev_b32_e32 v51, 1
	s_and_saveexec_b64 s[14:15], s[16:17]
	s_cbranch_execz .LBB645_508
; %bb.505:                              ;   in Loop: Header=BB645_215 Depth=1
	v_and_b32_e32 v46, 0x7f, v44
	v_cmp_ne_u32_e32 vcc, s19, v46
	v_mov_b32_e32 v51, 0x7f800001
	s_and_saveexec_b64 s[16:17], vcc
	s_cbranch_execz .LBB645_507
; %bb.506:                              ;   in Loop: Header=BB645_215 Depth=1
	v_and_b32_e32 v56, 7, v44
	v_ffbh_u32_e32 v50, v56
	v_min_u32_e32 v58, 32, v50
	v_subrev_u32_e32 v50, 28, v58
	v_lshlrev_b64 v[50:51], v50, v[44:45]
	v_lshrrev_b32_e32 v57, 3, v46
	v_sub_u32_e32 v51, 29, v58
	v_and_b32_e32 v50, 7, v50
	v_cmp_gt_u32_e32 vcc, 8, v46
	v_cndmask_b32_e32 v46, v57, v51, vcc
	v_cndmask_b32_e32 v50, v56, v50, vcc
	v_lshlrev_b32_e32 v51, 24, v44
	v_lshlrev_b32_e32 v50, 20, v50
	v_and_b32_e32 v51, 0x80000000, v51
	v_lshl_add_u32 v46, v46, 23, v55
	v_or3_b32 v51, v51, v46, v50
.LBB645_507:                            ;   in Loop: Header=BB645_215 Depth=1
	s_or_b64 exec, exec, s[16:17]
.LBB645_508:                            ;   in Loop: Header=BB645_215 Depth=1
	s_or_b64 exec, exec, s[14:15]
.LBB645_509:                            ;   in Loop: Header=BB645_215 Depth=1
	s_or_b64 exec, exec, s[12:13]
	v_lshrrev_b16_e32 v46, 8, v44
	v_cmp_ne_u16_e32 vcc, 0, v46
	v_mov_b32_e32 v50, 0
	v_mov_b32_e32 v56, 0
	s_and_saveexec_b64 s[12:13], vcc
	s_cbranch_execz .LBB645_515
; %bb.510:                              ;   in Loop: Header=BB645_215 Depth=1
	v_cmp_ne_u16_e32 vcc, s9, v46
	v_bfrev_b32_e32 v56, 1
	s_and_saveexec_b64 s[14:15], vcc
	s_cbranch_execz .LBB645_514
; %bb.511:                              ;   in Loop: Header=BB645_215 Depth=1
	v_and_b32_e32 v57, 0x7f, v46
	v_cmp_ne_u32_e32 vcc, s19, v57
	v_mov_b32_e32 v56, 0x7f800001
	s_and_saveexec_b64 s[16:17], vcc
	s_cbranch_execz .LBB645_513
; %bb.512:                              ;   in Loop: Header=BB645_215 Depth=1
	v_and_b32_e32 v56, 7, v46
	v_ffbh_u32_e32 v58, v56
	v_min_u32_e32 v61, 32, v58
	v_subrev_u32_e32 v58, 28, v61
	v_lshlrev_b64 v[58:59], v58, v[46:47]
	v_lshrrev_b32_e32 v60, 3, v57
	v_sub_u32_e32 v46, 29, v61
	v_and_b32_e32 v58, 7, v58
	v_cmp_gt_u32_e32 vcc, 8, v57
	v_cndmask_b32_e32 v46, v60, v46, vcc
	v_cndmask_b32_e32 v56, v56, v58, vcc
	v_lshlrev_b32_e32 v57, 16, v44
	v_lshlrev_b32_e32 v56, 20, v56
	v_and_b32_e32 v57, 0x80000000, v57
	v_lshl_add_u32 v46, v46, 23, v55
	v_or3_b32 v56, v57, v46, v56
.LBB645_513:                            ;   in Loop: Header=BB645_215 Depth=1
	s_or_b64 exec, exec, s[16:17]
.LBB645_514:                            ;   in Loop: Header=BB645_215 Depth=1
	s_or_b64 exec, exec, s[14:15]
.LBB645_515:                            ;   in Loop: Header=BB645_215 Depth=1
	s_or_b64 exec, exec, s[12:13]
	v_lshrrev_b32_e32 v46, 16, v44
	v_cmp_ne_u16_sdwa s[14:15], v46, v54 src0_sel:BYTE_0 src1_sel:DWORD
	s_and_saveexec_b64 s[12:13], s[14:15]
	s_cbranch_execz .LBB645_521
; %bb.516:                              ;   in Loop: Header=BB645_215 Depth=1
	v_cmp_ne_u16_sdwa s[16:17], v46, s9 src0_sel:BYTE_0 src1_sel:DWORD
	v_bfrev_b32_e32 v50, 1
	s_and_saveexec_b64 s[14:15], s[16:17]
	s_cbranch_execz .LBB645_520
; %bb.517:                              ;   in Loop: Header=BB645_215 Depth=1
	v_bfe_u32 v57, v44, 16, 7
	v_cmp_ne_u32_e32 vcc, s19, v57
	v_mov_b32_e32 v50, 0x7f800001
	s_and_saveexec_b64 s[16:17], vcc
	s_cbranch_execz .LBB645_519
; %bb.518:                              ;   in Loop: Header=BB645_215 Depth=1
	v_and_b32_e32 v50, 7, v46
	v_ffbh_u32_e32 v58, v50
	v_min_u32_e32 v61, 32, v58
	v_subrev_u32_e32 v58, 28, v61
	v_lshlrev_b64 v[58:59], v58, v[46:47]
	v_lshrrev_b32_e32 v60, 3, v57
	v_sub_u32_e32 v59, 29, v61
	v_and_b32_e32 v58, 7, v58
	v_cmp_gt_u32_e32 vcc, 8, v57
	v_cndmask_b32_e32 v57, v60, v59, vcc
	v_cndmask_b32_e32 v50, v50, v58, vcc
	v_lshlrev_b32_e32 v46, 24, v46
	v_lshlrev_b32_e32 v50, 20, v50
	v_and_b32_e32 v46, 0x80000000, v46
	v_lshl_add_u32 v57, v57, 23, v55
	v_or3_b32 v50, v46, v57, v50
.LBB645_519:                            ;   in Loop: Header=BB645_215 Depth=1
	s_or_b64 exec, exec, s[16:17]
.LBB645_520:                            ;   in Loop: Header=BB645_215 Depth=1
	s_or_b64 exec, exec, s[14:15]
.LBB645_521:                            ;   in Loop: Header=BB645_215 Depth=1
	s_or_b64 exec, exec, s[12:13]
	v_cmp_lt_u32_e32 vcc, s20, v44
	v_mov_b32_e32 v57, 0
	v_mov_b32_e32 v58, 0
	s_and_saveexec_b64 s[12:13], vcc
	s_cbranch_execz .LBB645_527
; %bb.522:                              ;   in Loop: Header=BB645_215 Depth=1
	v_lshrrev_b32_e32 v46, 24, v44
	v_cmp_ne_u32_e32 vcc, s9, v46
	v_bfrev_b32_e32 v58, 1
	s_and_saveexec_b64 s[14:15], vcc
	s_cbranch_execz .LBB645_526
; %bb.523:                              ;   in Loop: Header=BB645_215 Depth=1
	v_bfe_u32 v44, v44, 24, 7
	v_cmp_ne_u32_e32 vcc, s19, v44
	v_mov_b32_e32 v58, 0x7f800001
	s_and_saveexec_b64 s[16:17], vcc
	s_cbranch_execz .LBB645_525
; %bb.524:                              ;   in Loop: Header=BB645_215 Depth=1
	v_and_b32_e32 v60, 7, v46
	v_ffbh_u32_e32 v58, v60
	v_min_u32_e32 v62, 32, v58
	v_subrev_u32_e32 v58, 28, v62
	v_lshlrev_b64 v[58:59], v58, v[46:47]
	v_lshrrev_b32_e32 v61, 3, v44
	v_sub_u32_e32 v59, 29, v62
	v_and_b32_e32 v58, 7, v58
	v_cmp_gt_u32_e32 vcc, 8, v44
	v_cndmask_b32_e32 v44, v61, v59, vcc
	v_cndmask_b32_e32 v58, v60, v58, vcc
	v_lshlrev_b32_e32 v46, 24, v46
	v_lshlrev_b32_e32 v58, 20, v58
	v_and_b32_e32 v46, 0x80000000, v46
	v_lshl_add_u32 v44, v44, 23, v55
	v_or3_b32 v58, v46, v44, v58
.LBB645_525:                            ;   in Loop: Header=BB645_215 Depth=1
	s_or_b64 exec, exec, s[16:17]
.LBB645_526:                            ;   in Loop: Header=BB645_215 Depth=1
	s_or_b64 exec, exec, s[14:15]
.LBB645_527:                            ;   in Loop: Header=BB645_215 Depth=1
	s_or_b64 exec, exec, s[12:13]
	s_waitcnt vmcnt(2)
	v_cmp_ne_u16_sdwa s[14:15], v42, v54 src0_sel:BYTE_0 src1_sel:DWORD
	s_and_saveexec_b64 s[12:13], s[14:15]
	s_cbranch_execz .LBB645_533
; %bb.528:                              ;   in Loop: Header=BB645_215 Depth=1
	v_cmp_ne_u16_sdwa s[16:17], v42, s9 src0_sel:BYTE_0 src1_sel:DWORD
	v_bfrev_b32_e32 v57, 1
	s_and_saveexec_b64 s[14:15], s[16:17]
	s_cbranch_execz .LBB645_532
; %bb.529:                              ;   in Loop: Header=BB645_215 Depth=1
	v_and_b32_e32 v44, 0x7f, v42
	v_cmp_ne_u32_e32 vcc, s19, v44
	v_mov_b32_e32 v57, 0x7f800001
	s_and_saveexec_b64 s[16:17], vcc
	s_cbranch_execz .LBB645_531
; %bb.530:                              ;   in Loop: Header=BB645_215 Depth=1
	v_and_b32_e32 v46, 7, v42
	v_ffbh_u32_e32 v59, v46
	v_min_u32_e32 v59, 32, v59
	v_subrev_u32_e32 v60, 28, v59
	v_lshlrev_b64 v[60:61], v60, v[42:43]
	v_lshrrev_b32_e32 v57, 3, v44
	v_sub_u32_e32 v59, 29, v59
	v_and_b32_e32 v60, 7, v60
	v_cmp_gt_u32_e32 vcc, 8, v44
	v_cndmask_b32_e32 v44, v57, v59, vcc
	v_cndmask_b32_e32 v46, v46, v60, vcc
	v_lshlrev_b32_e32 v57, 24, v42
	v_lshlrev_b32_e32 v46, 20, v46
	v_and_b32_e32 v57, 0x80000000, v57
	v_lshl_add_u32 v44, v44, 23, v55
	v_or3_b32 v57, v57, v44, v46
.LBB645_531:                            ;   in Loop: Header=BB645_215 Depth=1
	s_or_b64 exec, exec, s[16:17]
.LBB645_532:                            ;   in Loop: Header=BB645_215 Depth=1
	s_or_b64 exec, exec, s[14:15]
.LBB645_533:                            ;   in Loop: Header=BB645_215 Depth=1
	s_or_b64 exec, exec, s[12:13]
	v_lshrrev_b16_e32 v44, 8, v42
	v_cmp_ne_u16_e32 vcc, 0, v44
	v_mov_b32_e32 v59, 0
	v_mov_b32_e32 v60, 0
	s_and_saveexec_b64 s[12:13], vcc
	s_cbranch_execz .LBB645_539
; %bb.534:                              ;   in Loop: Header=BB645_215 Depth=1
	v_cmp_ne_u16_e32 vcc, s9, v44
	v_bfrev_b32_e32 v60, 1
	s_and_saveexec_b64 s[14:15], vcc
	s_cbranch_execz .LBB645_538
; %bb.535:                              ;   in Loop: Header=BB645_215 Depth=1
	v_and_b32_e32 v46, 0x7f, v44
	v_cmp_ne_u32_e32 vcc, s19, v46
	v_mov_b32_e32 v60, 0x7f800001
	s_and_saveexec_b64 s[16:17], vcc
	s_cbranch_execz .LBB645_537
; %bb.536:                              ;   in Loop: Header=BB645_215 Depth=1
	v_and_b32_e32 v62, 7, v44
	v_ffbh_u32_e32 v60, v62
	v_min_u32_e32 v64, 32, v60
	v_subrev_u32_e32 v60, 28, v64
	v_lshlrev_b64 v[60:61], v60, v[44:45]
	v_lshrrev_b32_e32 v63, 3, v46
	v_sub_u32_e32 v44, 29, v64
	v_and_b32_e32 v60, 7, v60
	v_cmp_gt_u32_e32 vcc, 8, v46
	v_cndmask_b32_e32 v44, v63, v44, vcc
	v_cndmask_b32_e32 v46, v62, v60, vcc
	v_lshlrev_b32_e32 v60, 16, v42
	v_lshlrev_b32_e32 v46, 20, v46
	v_and_b32_e32 v60, 0x80000000, v60
	v_lshl_add_u32 v44, v44, 23, v55
	v_or3_b32 v60, v60, v44, v46
.LBB645_537:                            ;   in Loop: Header=BB645_215 Depth=1
	s_or_b64 exec, exec, s[16:17]
.LBB645_538:                            ;   in Loop: Header=BB645_215 Depth=1
	s_or_b64 exec, exec, s[14:15]
.LBB645_539:                            ;   in Loop: Header=BB645_215 Depth=1
	s_or_b64 exec, exec, s[12:13]
	v_lshrrev_b32_e32 v44, 16, v42
	v_cmp_ne_u16_sdwa s[14:15], v44, v54 src0_sel:BYTE_0 src1_sel:DWORD
	s_and_saveexec_b64 s[12:13], s[14:15]
	s_cbranch_execz .LBB645_545
; %bb.540:                              ;   in Loop: Header=BB645_215 Depth=1
	v_cmp_ne_u16_sdwa s[16:17], v44, s9 src0_sel:BYTE_0 src1_sel:DWORD
	v_bfrev_b32_e32 v59, 1
	s_and_saveexec_b64 s[14:15], s[16:17]
	s_cbranch_execz .LBB645_544
; %bb.541:                              ;   in Loop: Header=BB645_215 Depth=1
	v_bfe_u32 v46, v42, 16, 7
	v_cmp_ne_u32_e32 vcc, s19, v46
	v_mov_b32_e32 v59, 0x7f800001
	s_and_saveexec_b64 s[16:17], vcc
	s_cbranch_execz .LBB645_543
; %bb.542:                              ;   in Loop: Header=BB645_215 Depth=1
	v_and_b32_e32 v59, 7, v44
	v_ffbh_u32_e32 v62, v59
	v_min_u32_e32 v64, 32, v62
	v_subrev_u32_e32 v62, 28, v64
	v_lshlrev_b64 v[62:63], v62, v[44:45]
	v_lshrrev_b32_e32 v61, 3, v46
	v_sub_u32_e32 v63, 29, v64
	v_and_b32_e32 v62, 7, v62
	v_cmp_gt_u32_e32 vcc, 8, v46
	v_cndmask_b32_e32 v46, v61, v63, vcc
	v_cndmask_b32_e32 v59, v59, v62, vcc
	v_lshlrev_b32_e32 v44, 24, v44
	v_lshlrev_b32_e32 v59, 20, v59
	v_and_b32_e32 v44, 0x80000000, v44
	v_lshl_add_u32 v46, v46, 23, v55
	v_or3_b32 v59, v44, v46, v59
.LBB645_543:                            ;   in Loop: Header=BB645_215 Depth=1
	s_or_b64 exec, exec, s[16:17]
.LBB645_544:                            ;   in Loop: Header=BB645_215 Depth=1
	s_or_b64 exec, exec, s[14:15]
.LBB645_545:                            ;   in Loop: Header=BB645_215 Depth=1
	s_or_b64 exec, exec, s[12:13]
	v_cmp_lt_u32_e32 vcc, s20, v42
	v_mov_b32_e32 v46, 0
	v_mov_b32_e32 v61, 0
	s_and_saveexec_b64 s[12:13], vcc
	s_cbranch_execz .LBB645_551
; %bb.546:                              ;   in Loop: Header=BB645_215 Depth=1
	v_lshrrev_b32_e32 v44, 24, v42
	v_cmp_ne_u32_e32 vcc, s9, v44
	v_bfrev_b32_e32 v61, 1
	s_and_saveexec_b64 s[14:15], vcc
	s_cbranch_execz .LBB645_550
; %bb.547:                              ;   in Loop: Header=BB645_215 Depth=1
	v_bfe_u32 v42, v42, 24, 7
	v_cmp_ne_u32_e32 vcc, s19, v42
	v_mov_b32_e32 v61, 0x7f800001
	s_and_saveexec_b64 s[16:17], vcc
	s_cbranch_execz .LBB645_549
; %bb.548:                              ;   in Loop: Header=BB645_215 Depth=1
	v_and_b32_e32 v61, 7, v44
	v_ffbh_u32_e32 v62, v61
	v_min_u32_e32 v65, 32, v62
	v_subrev_u32_e32 v62, 28, v65
	v_lshlrev_b64 v[62:63], v62, v[44:45]
	v_lshrrev_b32_e32 v64, 3, v42
	v_sub_u32_e32 v63, 29, v65
	v_and_b32_e32 v62, 7, v62
	v_cmp_gt_u32_e32 vcc, 8, v42
	v_cndmask_b32_e32 v42, v64, v63, vcc
	v_cndmask_b32_e32 v61, v61, v62, vcc
	v_lshlrev_b32_e32 v44, 24, v44
	v_lshlrev_b32_e32 v61, 20, v61
	v_and_b32_e32 v44, 0x80000000, v44
	v_lshl_add_u32 v42, v42, 23, v55
	v_or3_b32 v61, v44, v42, v61
.LBB645_549:                            ;   in Loop: Header=BB645_215 Depth=1
	s_or_b64 exec, exec, s[16:17]
.LBB645_550:                            ;   in Loop: Header=BB645_215 Depth=1
	s_or_b64 exec, exec, s[14:15]
.LBB645_551:                            ;   in Loop: Header=BB645_215 Depth=1
	s_or_b64 exec, exec, s[12:13]
	v_cvt_pkrtz_f16_f32 v62, v51, v56
	v_cvt_pkrtz_f16_f32 v63, v50, v58
	;; [unrolled: 1-line block ×4, first 2 shown]
	s_waitcnt vmcnt(1)
	v_cmp_ne_u16_sdwa s[14:15], v40, v54 src0_sel:BYTE_0 src1_sel:DWORD
	v_mfma_f32_16x16x16f16 v[34:37], v[62:63], v[26:27], v[34:37]
	v_mfma_f32_16x16x16f16 v[34:37], v[50:51], v[28:29], v[34:37]
	s_and_saveexec_b64 s[12:13], s[14:15]
	s_cbranch_execz .LBB645_557
; %bb.552:                              ;   in Loop: Header=BB645_215 Depth=1
	v_cmp_ne_u16_sdwa s[16:17], v40, s9 src0_sel:BYTE_0 src1_sel:DWORD
	v_bfrev_b32_e32 v46, 1
	s_and_saveexec_b64 s[14:15], s[16:17]
	s_cbranch_execz .LBB645_556
; %bb.553:                              ;   in Loop: Header=BB645_215 Depth=1
	v_and_b32_e32 v42, 0x7f, v40
	v_cmp_ne_u32_e32 vcc, s19, v42
	v_mov_b32_e32 v46, 0x7f800001
	s_and_saveexec_b64 s[16:17], vcc
	s_cbranch_execz .LBB645_555
; %bb.554:                              ;   in Loop: Header=BB645_215 Depth=1
	v_and_b32_e32 v44, 7, v40
	v_ffbh_u32_e32 v50, v44
	v_min_u32_e32 v56, 32, v50
	v_subrev_u32_e32 v50, 28, v56
	v_lshlrev_b64 v[50:51], v50, v[40:41]
	v_lshrrev_b32_e32 v46, 3, v42
	v_sub_u32_e32 v51, 29, v56
	v_and_b32_e32 v50, 7, v50
	v_cmp_gt_u32_e32 vcc, 8, v42
	v_cndmask_b32_e32 v42, v46, v51, vcc
	v_cndmask_b32_e32 v44, v44, v50, vcc
	v_lshlrev_b32_e32 v46, 24, v40
	v_lshlrev_b32_e32 v44, 20, v44
	v_and_b32_e32 v46, 0x80000000, v46
	v_lshl_add_u32 v42, v42, 23, v55
	v_or3_b32 v46, v46, v42, v44
.LBB645_555:                            ;   in Loop: Header=BB645_215 Depth=1
	s_or_b64 exec, exec, s[16:17]
.LBB645_556:                            ;   in Loop: Header=BB645_215 Depth=1
	s_or_b64 exec, exec, s[14:15]
.LBB645_557:                            ;   in Loop: Header=BB645_215 Depth=1
	s_or_b64 exec, exec, s[12:13]
	v_lshrrev_b16_e32 v42, 8, v40
	v_cmp_ne_u16_e32 vcc, 0, v42
	v_mov_b32_e32 v44, 0
	v_mov_b32_e32 v50, 0
	s_and_saveexec_b64 s[12:13], vcc
	s_cbranch_execz .LBB645_563
; %bb.558:                              ;   in Loop: Header=BB645_215 Depth=1
	v_cmp_ne_u16_e32 vcc, s9, v42
	v_bfrev_b32_e32 v50, 1
	s_and_saveexec_b64 s[14:15], vcc
	s_cbranch_execz .LBB645_562
; %bb.559:                              ;   in Loop: Header=BB645_215 Depth=1
	v_and_b32_e32 v51, 0x7f, v42
	v_cmp_ne_u32_e32 vcc, s19, v51
	v_mov_b32_e32 v50, 0x7f800001
	s_and_saveexec_b64 s[16:17], vcc
	s_cbranch_execz .LBB645_561
; %bb.560:                              ;   in Loop: Header=BB645_215 Depth=1
	v_and_b32_e32 v50, 7, v42
	v_ffbh_u32_e32 v56, v50
	v_min_u32_e32 v59, 32, v56
	v_subrev_u32_e32 v56, 28, v59
	v_lshlrev_b64 v[56:57], v56, v[42:43]
	v_lshrrev_b32_e32 v58, 3, v51
	v_sub_u32_e32 v42, 29, v59
	v_and_b32_e32 v56, 7, v56
	v_cmp_gt_u32_e32 vcc, 8, v51
	v_cndmask_b32_e32 v42, v58, v42, vcc
	v_cndmask_b32_e32 v50, v50, v56, vcc
	v_lshlrev_b32_e32 v51, 16, v40
	v_lshlrev_b32_e32 v50, 20, v50
	v_and_b32_e32 v51, 0x80000000, v51
	v_lshl_add_u32 v42, v42, 23, v55
	v_or3_b32 v50, v51, v42, v50
.LBB645_561:                            ;   in Loop: Header=BB645_215 Depth=1
	s_or_b64 exec, exec, s[16:17]
.LBB645_562:                            ;   in Loop: Header=BB645_215 Depth=1
	s_or_b64 exec, exec, s[14:15]
.LBB645_563:                            ;   in Loop: Header=BB645_215 Depth=1
	s_or_b64 exec, exec, s[12:13]
	v_lshrrev_b32_e32 v42, 16, v40
	v_cmp_ne_u16_sdwa s[14:15], v42, v54 src0_sel:BYTE_0 src1_sel:DWORD
	s_and_saveexec_b64 s[12:13], s[14:15]
	s_cbranch_execz .LBB645_569
; %bb.564:                              ;   in Loop: Header=BB645_215 Depth=1
	v_cmp_ne_u16_sdwa s[16:17], v42, s9 src0_sel:BYTE_0 src1_sel:DWORD
	v_bfrev_b32_e32 v44, 1
	s_and_saveexec_b64 s[14:15], s[16:17]
	s_cbranch_execz .LBB645_568
; %bb.565:                              ;   in Loop: Header=BB645_215 Depth=1
	v_bfe_u32 v51, v40, 16, 7
	v_cmp_ne_u32_e32 vcc, s19, v51
	v_mov_b32_e32 v44, 0x7f800001
	s_and_saveexec_b64 s[16:17], vcc
	s_cbranch_execz .LBB645_567
; %bb.566:                              ;   in Loop: Header=BB645_215 Depth=1
	v_and_b32_e32 v44, 7, v42
	v_ffbh_u32_e32 v56, v44
	v_min_u32_e32 v59, 32, v56
	v_subrev_u32_e32 v56, 28, v59
	v_lshlrev_b64 v[56:57], v56, v[42:43]
	v_lshrrev_b32_e32 v58, 3, v51
	v_sub_u32_e32 v57, 29, v59
	v_and_b32_e32 v56, 7, v56
	v_cmp_gt_u32_e32 vcc, 8, v51
	v_cndmask_b32_e32 v51, v58, v57, vcc
	v_cndmask_b32_e32 v44, v44, v56, vcc
	v_lshlrev_b32_e32 v42, 24, v42
	v_lshlrev_b32_e32 v44, 20, v44
	v_and_b32_e32 v42, 0x80000000, v42
	v_lshl_add_u32 v51, v51, 23, v55
	v_or3_b32 v44, v42, v51, v44
.LBB645_567:                            ;   in Loop: Header=BB645_215 Depth=1
	s_or_b64 exec, exec, s[16:17]
.LBB645_568:                            ;   in Loop: Header=BB645_215 Depth=1
	s_or_b64 exec, exec, s[14:15]
.LBB645_569:                            ;   in Loop: Header=BB645_215 Depth=1
	s_or_b64 exec, exec, s[12:13]
	v_cmp_lt_u32_e32 vcc, s20, v40
	v_mov_b32_e32 v51, 0
	v_mov_b32_e32 v56, 0
	s_and_saveexec_b64 s[12:13], vcc
	s_cbranch_execz .LBB645_575
; %bb.570:                              ;   in Loop: Header=BB645_215 Depth=1
	v_lshrrev_b32_e32 v42, 24, v40
	v_cmp_ne_u32_e32 vcc, s9, v42
	v_bfrev_b32_e32 v56, 1
	s_and_saveexec_b64 s[14:15], vcc
	s_cbranch_execz .LBB645_574
; %bb.571:                              ;   in Loop: Header=BB645_215 Depth=1
	v_bfe_u32 v40, v40, 24, 7
	v_cmp_ne_u32_e32 vcc, s19, v40
	v_mov_b32_e32 v56, 0x7f800001
	s_and_saveexec_b64 s[16:17], vcc
	s_cbranch_execz .LBB645_573
; %bb.572:                              ;   in Loop: Header=BB645_215 Depth=1
	v_and_b32_e32 v58, 7, v42
	v_ffbh_u32_e32 v56, v58
	v_min_u32_e32 v60, 32, v56
	v_subrev_u32_e32 v56, 28, v60
	v_lshlrev_b64 v[56:57], v56, v[42:43]
	v_lshrrev_b32_e32 v59, 3, v40
	v_sub_u32_e32 v57, 29, v60
	v_and_b32_e32 v56, 7, v56
	v_cmp_gt_u32_e32 vcc, 8, v40
	v_cndmask_b32_e32 v40, v59, v57, vcc
	v_cndmask_b32_e32 v56, v58, v56, vcc
	v_lshlrev_b32_e32 v42, 24, v42
	v_lshlrev_b32_e32 v56, 20, v56
	v_and_b32_e32 v42, 0x80000000, v42
	v_lshl_add_u32 v40, v40, 23, v55
	v_or3_b32 v56, v42, v40, v56
.LBB645_573:                            ;   in Loop: Header=BB645_215 Depth=1
	s_or_b64 exec, exec, s[16:17]
.LBB645_574:                            ;   in Loop: Header=BB645_215 Depth=1
	s_or_b64 exec, exec, s[14:15]
.LBB645_575:                            ;   in Loop: Header=BB645_215 Depth=1
	s_or_b64 exec, exec, s[12:13]
	s_waitcnt vmcnt(0)
	v_cmp_ne_u16_sdwa s[14:15], v38, v54 src0_sel:BYTE_0 src1_sel:DWORD
	s_and_saveexec_b64 s[12:13], s[14:15]
	s_cbranch_execz .LBB645_581
; %bb.576:                              ;   in Loop: Header=BB645_215 Depth=1
	v_cmp_ne_u16_sdwa s[16:17], v38, s9 src0_sel:BYTE_0 src1_sel:DWORD
	v_bfrev_b32_e32 v51, 1
	s_and_saveexec_b64 s[14:15], s[16:17]
	s_cbranch_execz .LBB645_580
; %bb.577:                              ;   in Loop: Header=BB645_215 Depth=1
	v_and_b32_e32 v40, 0x7f, v38
	v_cmp_ne_u32_e32 vcc, s19, v40
	v_mov_b32_e32 v51, 0x7f800001
	s_and_saveexec_b64 s[16:17], vcc
	s_cbranch_execz .LBB645_579
; %bb.578:                              ;   in Loop: Header=BB645_215 Depth=1
	v_and_b32_e32 v42, 7, v38
	v_ffbh_u32_e32 v57, v42
	v_min_u32_e32 v57, 32, v57
	v_subrev_u32_e32 v58, 28, v57
	v_lshlrev_b64 v[58:59], v58, v[38:39]
	v_lshrrev_b32_e32 v51, 3, v40
	v_sub_u32_e32 v57, 29, v57
	v_and_b32_e32 v58, 7, v58
	v_cmp_gt_u32_e32 vcc, 8, v40
	v_cndmask_b32_e32 v40, v51, v57, vcc
	v_cndmask_b32_e32 v42, v42, v58, vcc
	v_lshlrev_b32_e32 v51, 24, v38
	v_lshlrev_b32_e32 v42, 20, v42
	v_and_b32_e32 v51, 0x80000000, v51
	v_lshl_add_u32 v40, v40, 23, v55
	v_or3_b32 v51, v51, v40, v42
.LBB645_579:                            ;   in Loop: Header=BB645_215 Depth=1
	s_or_b64 exec, exec, s[16:17]
.LBB645_580:                            ;   in Loop: Header=BB645_215 Depth=1
	s_or_b64 exec, exec, s[14:15]
.LBB645_581:                            ;   in Loop: Header=BB645_215 Depth=1
	s_or_b64 exec, exec, s[12:13]
	v_lshrrev_b16_e32 v40, 8, v38
	v_cmp_ne_u16_e32 vcc, 0, v40
	v_mov_b32_e32 v42, 0
	v_mov_b32_e32 v57, 0
	s_and_saveexec_b64 s[12:13], vcc
	s_cbranch_execz .LBB645_587
; %bb.582:                              ;   in Loop: Header=BB645_215 Depth=1
	v_cmp_ne_u16_e32 vcc, s9, v40
	v_bfrev_b32_e32 v57, 1
	s_and_saveexec_b64 s[14:15], vcc
	s_cbranch_execz .LBB645_586
; %bb.583:                              ;   in Loop: Header=BB645_215 Depth=1
	v_and_b32_e32 v58, 0x7f, v40
	v_cmp_ne_u32_e32 vcc, s19, v58
	v_mov_b32_e32 v57, 0x7f800001
	s_and_saveexec_b64 s[16:17], vcc
	s_cbranch_execz .LBB645_585
; %bb.584:                              ;   in Loop: Header=BB645_215 Depth=1
	v_and_b32_e32 v57, 7, v40
	v_ffbh_u32_e32 v60, v57
	v_min_u32_e32 v62, 32, v60
	v_subrev_u32_e32 v60, 28, v62
	v_lshlrev_b64 v[60:61], v60, v[40:41]
	v_lshrrev_b32_e32 v59, 3, v58
	v_sub_u32_e32 v40, 29, v62
	v_and_b32_e32 v60, 7, v60
	v_cmp_gt_u32_e32 vcc, 8, v58
	v_cndmask_b32_e32 v40, v59, v40, vcc
	v_cndmask_b32_e32 v57, v57, v60, vcc
	v_lshlrev_b32_e32 v58, 16, v38
	v_lshlrev_b32_e32 v57, 20, v57
	v_and_b32_e32 v58, 0x80000000, v58
	v_lshl_add_u32 v40, v40, 23, v55
	v_or3_b32 v57, v58, v40, v57
.LBB645_585:                            ;   in Loop: Header=BB645_215 Depth=1
	s_or_b64 exec, exec, s[16:17]
.LBB645_586:                            ;   in Loop: Header=BB645_215 Depth=1
	s_or_b64 exec, exec, s[14:15]
.LBB645_587:                            ;   in Loop: Header=BB645_215 Depth=1
	s_or_b64 exec, exec, s[12:13]
	v_lshrrev_b32_e32 v40, 16, v38
	v_cmp_ne_u16_sdwa s[14:15], v40, v54 src0_sel:BYTE_0 src1_sel:DWORD
	s_and_saveexec_b64 s[12:13], s[14:15]
	s_cbranch_execz .LBB645_593
; %bb.588:                              ;   in Loop: Header=BB645_215 Depth=1
	v_cmp_ne_u16_sdwa s[16:17], v40, s9 src0_sel:BYTE_0 src1_sel:DWORD
	v_bfrev_b32_e32 v42, 1
	s_and_saveexec_b64 s[14:15], s[16:17]
	s_cbranch_execz .LBB645_592
; %bb.589:                              ;   in Loop: Header=BB645_215 Depth=1
	v_bfe_u32 v58, v38, 16, 7
	v_cmp_ne_u32_e32 vcc, s19, v58
	v_mov_b32_e32 v42, 0x7f800001
	s_and_saveexec_b64 s[16:17], vcc
	s_cbranch_execz .LBB645_591
; %bb.590:                              ;   in Loop: Header=BB645_215 Depth=1
	v_and_b32_e32 v42, 7, v40
	v_ffbh_u32_e32 v60, v42
	v_min_u32_e32 v62, 32, v60
	v_subrev_u32_e32 v60, 28, v62
	v_lshlrev_b64 v[60:61], v60, v[40:41]
	v_lshrrev_b32_e32 v59, 3, v58
	v_sub_u32_e32 v61, 29, v62
	v_and_b32_e32 v60, 7, v60
	v_cmp_gt_u32_e32 vcc, 8, v58
	v_cndmask_b32_e32 v58, v59, v61, vcc
	v_cndmask_b32_e32 v42, v42, v60, vcc
	v_lshlrev_b32_e32 v40, 24, v40
	v_lshlrev_b32_e32 v42, 20, v42
	v_and_b32_e32 v40, 0x80000000, v40
	v_lshl_add_u32 v58, v58, 23, v55
	v_or3_b32 v42, v40, v58, v42
.LBB645_591:                            ;   in Loop: Header=BB645_215 Depth=1
	s_or_b64 exec, exec, s[16:17]
.LBB645_592:                            ;   in Loop: Header=BB645_215 Depth=1
	s_or_b64 exec, exec, s[14:15]
.LBB645_593:                            ;   in Loop: Header=BB645_215 Depth=1
	s_or_b64 exec, exec, s[12:13]
	v_cmp_lt_u32_e32 vcc, s20, v38
	v_mov_b32_e32 v58, 0
	s_and_saveexec_b64 s[12:13], vcc
	s_cbranch_execz .LBB645_214
; %bb.594:                              ;   in Loop: Header=BB645_215 Depth=1
	v_lshrrev_b32_e32 v40, 24, v38
	v_cmp_ne_u32_e32 vcc, s9, v40
	v_bfrev_b32_e32 v58, 1
	s_and_saveexec_b64 s[14:15], vcc
	s_cbranch_execz .LBB645_213
; %bb.595:                              ;   in Loop: Header=BB645_215 Depth=1
	v_bfe_u32 v38, v38, 24, 7
	v_cmp_ne_u32_e32 vcc, s19, v38
	v_mov_b32_e32 v58, 0x7f800001
	s_and_saveexec_b64 s[16:17], vcc
	s_cbranch_execz .LBB645_212
; %bb.596:                              ;   in Loop: Header=BB645_215 Depth=1
	v_and_b32_e32 v60, 7, v40
	v_ffbh_u32_e32 v58, v60
	v_min_u32_e32 v62, 32, v58
	v_subrev_u32_e32 v58, 28, v62
	v_lshlrev_b64 v[58:59], v58, v[40:41]
	v_lshrrev_b32_e32 v61, 3, v38
	v_sub_u32_e32 v59, 29, v62
	v_and_b32_e32 v58, 7, v58
	v_cmp_gt_u32_e32 vcc, 8, v38
	v_cndmask_b32_e32 v38, v61, v59, vcc
	v_cndmask_b32_e32 v58, v60, v58, vcc
	v_lshlrev_b32_e32 v40, 24, v40
	v_lshlrev_b32_e32 v58, 20, v58
	v_and_b32_e32 v40, 0x80000000, v40
	v_lshl_add_u32 v38, v38, 23, v55
	v_or3_b32 v58, v40, v38, v58
	s_branch .LBB645_212
.LBB645_597:
	s_barrier
	buffer_load_dword v2, off, s[0:3], 0 offset:320
	buffer_load_dword v5, off, s[0:3], 0 offset:332
	;; [unrolled: 1-line block ×4, first 2 shown]
	v_cmp_gt_u32_e32 vcc, 64, v0
	s_waitcnt vmcnt(0)
	ds_write2st64_b64 v52, v[2:3], v[4:5] offset1:1
	s_waitcnt lgkmcnt(0)
	s_barrier
	s_and_saveexec_b64 s[4:5], vcc
	s_cbranch_execz .LBB645_599
; %bb.598:
	s_lshl_b32 s6, s48, 7
	s_mul_i32 s4, s18, s8
	s_mul_hi_u32 s5, s4, s6
	s_mul_i32 s4, s4, s6
	s_lshl_b64 s[4:5], s[4:5], 1
	s_add_u32 s7, s50, s4
	v_lshlrev_b32_e32 v4, 6, v41
	s_addc_u32 s8, s51, s5
	s_lshl_b32 s4, s26, 7
	s_mov_b32 s5, 0
	v_lshl_or_b32 v0, v0, 10, v4
	s_lshl_b64 s[4:5], s[4:5], 1
	v_lshlrev_b32_e32 v2, 5, v1
	v_and_b32_e32 v3, 16, v43
	v_and_b32_e32 v0, 0x1a00, v0
	s_add_u32 s4, s7, s4
	v_or3_b32 v0, v0, v2, v3
	s_addc_u32 s5, s8, s5
	ds_read_b128 v[2:5], v0
	ds_read_b128 v[6:9], v0 offset:128
	v_mov_b32_e32 v0, s5
	v_add_co_u32_e32 v10, vcc, s4, v39
	v_or_b32_e32 v12, s27, v1
	v_addc_co_u32_e32 v11, vcc, 0, v0, vcc
	v_mad_u64_u32 v[0:1], s[4:5], v12, s6, 0
	v_lshlrev_b64 v[0:1], 1, v[0:1]
	v_add_co_u32_e32 v0, vcc, v10, v0
	v_addc_co_u32_e32 v1, vcc, v11, v1, vcc
	s_waitcnt lgkmcnt(1)
	global_store_dwordx4 v[0:1], v[2:5], off
	v_or_b32_e32 v0, 4, v12
	v_mad_u64_u32 v[0:1], s[4:5], v0, s6, 0
	v_lshlrev_b64 v[0:1], 1, v[0:1]
	v_add_co_u32_e32 v0, vcc, v10, v0
	v_addc_co_u32_e32 v1, vcc, v11, v1, vcc
	s_waitcnt lgkmcnt(0)
	global_store_dwordx4 v[0:1], v[6:9], off
.LBB645_599:
	s_endpgm
	.section	.rodata,"a",@progbits
	.p2align	6, 0x0
	.amdhsa_kernel _Z39paged_attention_ll4mi_QKV_mfma16_kernelIDF16_hLN4vllm18Fp8KVCacheDataTypeE1EDF16_Li32ELi128ELi256ELb1ELi8EL8MFMAType0EEvPKT_PKT0_S8_ifPKiSA_SA_iPKfiiiPfSD_PS3_PT2_iSC_SC_
		.amdhsa_group_segment_fixed_size 8192
		.amdhsa_private_segment_fixed_size 352
		.amdhsa_kernarg_size 400
		.amdhsa_user_sgpr_count 8
		.amdhsa_user_sgpr_private_segment_buffer 1
		.amdhsa_user_sgpr_dispatch_ptr 0
		.amdhsa_user_sgpr_queue_ptr 0
		.amdhsa_user_sgpr_kernarg_segment_ptr 1
		.amdhsa_user_sgpr_dispatch_id 0
		.amdhsa_user_sgpr_flat_scratch_init 1
		.amdhsa_user_sgpr_kernarg_preload_length 0
		.amdhsa_user_sgpr_kernarg_preload_offset 0
		.amdhsa_user_sgpr_private_segment_size 0
		.amdhsa_uses_dynamic_stack 0
		.amdhsa_system_sgpr_private_segment_wavefront_offset 1
		.amdhsa_system_sgpr_workgroup_id_x 1
		.amdhsa_system_sgpr_workgroup_id_y 1
		.amdhsa_system_sgpr_workgroup_id_z 1
		.amdhsa_system_sgpr_workgroup_info 0
		.amdhsa_system_vgpr_workitem_id 0
		.amdhsa_next_free_vgpr 80
		.amdhsa_next_free_sgpr 53
		.amdhsa_accum_offset 80
		.amdhsa_reserve_vcc 1
		.amdhsa_reserve_flat_scratch 0
		.amdhsa_float_round_mode_32 0
		.amdhsa_float_round_mode_16_64 0
		.amdhsa_float_denorm_mode_32 3
		.amdhsa_float_denorm_mode_16_64 3
		.amdhsa_dx10_clamp 1
		.amdhsa_ieee_mode 1
		.amdhsa_fp16_overflow 0
		.amdhsa_tg_split 0
		.amdhsa_exception_fp_ieee_invalid_op 0
		.amdhsa_exception_fp_denorm_src 0
		.amdhsa_exception_fp_ieee_div_zero 0
		.amdhsa_exception_fp_ieee_overflow 0
		.amdhsa_exception_fp_ieee_underflow 0
		.amdhsa_exception_fp_ieee_inexact 0
		.amdhsa_exception_int_div_zero 0
	.end_amdhsa_kernel
	.section	.text._Z39paged_attention_ll4mi_QKV_mfma16_kernelIDF16_hLN4vllm18Fp8KVCacheDataTypeE1EDF16_Li32ELi128ELi256ELb1ELi8EL8MFMAType0EEvPKT_PKT0_S8_ifPKiSA_SA_iPKfiiiPfSD_PS3_PT2_iSC_SC_,"axG",@progbits,_Z39paged_attention_ll4mi_QKV_mfma16_kernelIDF16_hLN4vllm18Fp8KVCacheDataTypeE1EDF16_Li32ELi128ELi256ELb1ELi8EL8MFMAType0EEvPKT_PKT0_S8_ifPKiSA_SA_iPKfiiiPfSD_PS3_PT2_iSC_SC_,comdat
.Lfunc_end645:
	.size	_Z39paged_attention_ll4mi_QKV_mfma16_kernelIDF16_hLN4vllm18Fp8KVCacheDataTypeE1EDF16_Li32ELi128ELi256ELb1ELi8EL8MFMAType0EEvPKT_PKT0_S8_ifPKiSA_SA_iPKfiiiPfSD_PS3_PT2_iSC_SC_, .Lfunc_end645-_Z39paged_attention_ll4mi_QKV_mfma16_kernelIDF16_hLN4vllm18Fp8KVCacheDataTypeE1EDF16_Li32ELi128ELi256ELb1ELi8EL8MFMAType0EEvPKT_PKT0_S8_ifPKiSA_SA_iPKfiiiPfSD_PS3_PT2_iSC_SC_
                                        ; -- End function
	.section	.AMDGPU.csdata,"",@progbits
; Kernel info:
; codeLenInByte = 21456
; NumSgprs: 57
; NumVgprs: 80
; NumAgprs: 0
; TotalNumVgprs: 80
; ScratchSize: 352
; MemoryBound: 0
; FloatMode: 240
; IeeeMode: 1
; LDSByteSize: 8192 bytes/workgroup (compile time only)
; SGPRBlocks: 7
; VGPRBlocks: 9
; NumSGPRsForWavesPerEU: 57
; NumVGPRsForWavesPerEU: 80
; AccumOffset: 80
; Occupancy: 6
; WaveLimiterHint : 1
; COMPUTE_PGM_RSRC2:SCRATCH_EN: 1
; COMPUTE_PGM_RSRC2:USER_SGPR: 8
; COMPUTE_PGM_RSRC2:TRAP_HANDLER: 0
; COMPUTE_PGM_RSRC2:TGID_X_EN: 1
; COMPUTE_PGM_RSRC2:TGID_Y_EN: 1
; COMPUTE_PGM_RSRC2:TGID_Z_EN: 1
; COMPUTE_PGM_RSRC2:TIDIG_COMP_CNT: 0
; COMPUTE_PGM_RSRC3_GFX90A:ACCUM_OFFSET: 19
; COMPUTE_PGM_RSRC3_GFX90A:TG_SPLIT: 0
	.section	.text._Z39paged_attention_ll4mi_QKV_mfma16_kernelIDF16_hLN4vllm18Fp8KVCacheDataTypeE1EDF16_Li32ELi128ELi256ELb1ELi9EL8MFMAType0EEvPKT_PKT0_S8_ifPKiSA_SA_iPKfiiiPfSD_PS3_PT2_iSC_SC_,"axG",@progbits,_Z39paged_attention_ll4mi_QKV_mfma16_kernelIDF16_hLN4vllm18Fp8KVCacheDataTypeE1EDF16_Li32ELi128ELi256ELb1ELi9EL8MFMAType0EEvPKT_PKT0_S8_ifPKiSA_SA_iPKfiiiPfSD_PS3_PT2_iSC_SC_,comdat
	.protected	_Z39paged_attention_ll4mi_QKV_mfma16_kernelIDF16_hLN4vllm18Fp8KVCacheDataTypeE1EDF16_Li32ELi128ELi256ELb1ELi9EL8MFMAType0EEvPKT_PKT0_S8_ifPKiSA_SA_iPKfiiiPfSD_PS3_PT2_iSC_SC_ ; -- Begin function _Z39paged_attention_ll4mi_QKV_mfma16_kernelIDF16_hLN4vllm18Fp8KVCacheDataTypeE1EDF16_Li32ELi128ELi256ELb1ELi9EL8MFMAType0EEvPKT_PKT0_S8_ifPKiSA_SA_iPKfiiiPfSD_PS3_PT2_iSC_SC_
	.globl	_Z39paged_attention_ll4mi_QKV_mfma16_kernelIDF16_hLN4vllm18Fp8KVCacheDataTypeE1EDF16_Li32ELi128ELi256ELb1ELi9EL8MFMAType0EEvPKT_PKT0_S8_ifPKiSA_SA_iPKfiiiPfSD_PS3_PT2_iSC_SC_
	.p2align	8
	.type	_Z39paged_attention_ll4mi_QKV_mfma16_kernelIDF16_hLN4vllm18Fp8KVCacheDataTypeE1EDF16_Li32ELi128ELi256ELb1ELi9EL8MFMAType0EEvPKT_PKT0_S8_ifPKiSA_SA_iPKfiiiPfSD_PS3_PT2_iSC_SC_,@function
_Z39paged_attention_ll4mi_QKV_mfma16_kernelIDF16_hLN4vllm18Fp8KVCacheDataTypeE1EDF16_Li32ELi128ELi256ELb1ELi9EL8MFMAType0EEvPKT_PKT0_S8_ifPKiSA_SA_iPKfiiiPfSD_PS3_PT2_iSC_SC_: ; @_Z39paged_attention_ll4mi_QKV_mfma16_kernelIDF16_hLN4vllm18Fp8KVCacheDataTypeE1EDF16_Li32ELi128ELi256ELb1ELi9EL8MFMAType0EEvPKT_PKT0_S8_ifPKiSA_SA_iPKfiiiPfSD_PS3_PT2_iSC_SC_
; %bb.0:
	s_load_dwordx2 s[6:7], s[4:5], 0x30
	s_add_u32 s0, s0, s11
	s_addc_u32 s1, s1, 0
	s_mov_b32 s26, s9
	s_mov_b64 s[14:15], 0
	s_waitcnt lgkmcnt(0)
	s_cmp_lg_u64 s[6:7], 0
	s_cselect_b64 s[12:13], -1, 0
	s_and_b64 vcc, exec, s[12:13]
	s_cbranch_vccz .LBB646_7
; %bb.1:
	s_add_i32 s16, s8, 1
	s_mov_b32 s17, 0
	s_lshl_b64 s[18:19], s[16:17], 2
	s_add_u32 s18, s6, s18
	s_mov_b32 s9, s17
	s_addc_u32 s19, s7, s19
	s_lshl_b64 s[16:17], s[8:9], 2
	s_add_u32 s16, s6, s16
	s_addc_u32 s17, s7, s17
	s_load_dword s11, s[18:19], 0x0
	s_load_dword s20, s[16:17], 0x0
	s_waitcnt lgkmcnt(0)
	s_sub_i32 s11, s11, s20
	s_cmp_eq_u32 s11, 1
	s_cselect_b64 s[16:17], -1, 0
	s_andn2_b64 vcc, exec, s[14:15]
	s_cbranch_vccnz .LBB646_3
.LBB646_2:
	s_mov_b32 s9, 0
	s_mov_b64 s[16:17], -1
.LBB646_3:
	s_andn2_b64 vcc, exec, s[16:17]
	s_cbranch_vccnz .LBB646_600
; %bb.4:
	s_load_dwordx2 s[16:17], s[4:5], 0x28
	s_lshl_b64 s[14:15], s[8:9], 2
	s_waitcnt lgkmcnt(0)
	s_add_u32 s16, s16, s14
	s_addc_u32 s17, s17, s15
	s_load_dword s33, s[16:17], 0x0
	s_lshl_b32 s20, s26, 8
	s_waitcnt lgkmcnt(0)
	s_cmp_ge_i32 s20, s33
	s_cbranch_scc1 .LBB646_600
; %bb.5:
	s_add_i32 s18, s33, 31
	s_load_dwordx2 s[16:17], s[4:5], 0x20
	s_load_dword s11, s[4:5], 0x38
	s_ashr_i32 s19, s18, 31
	v_and_b32_e32 v1, 0xcf, v0
	s_lshr_b32 s19, s19, 27
	v_add_u32_e32 v1, s20, v1
	s_add_i32 s18, s18, s19
	v_ashrrev_i32_e32 v2, 31, v1
	s_ashr_i32 s23, s18, 5
	v_lshrrev_b32_e32 v4, 27, v2
	s_add_i32 s23, s23, -1
	v_add_u32_e32 v2, v1, v4
	s_waitcnt lgkmcnt(0)
	s_mul_i32 s18, s8, s11
	s_mov_b32 s19, 0
	v_ashrrev_i32_e32 v2, 5, v2
	v_mov_b32_e32 v5, s23
	v_cmp_gt_i32_e32 vcc, s33, v1
	s_lshl_b64 s[18:19], s[18:19], 2
	v_cndmask_b32_e32 v2, v5, v2, vcc
	s_add_u32 s21, s16, s18
	v_ashrrev_i32_e32 v3, 31, v2
	s_addc_u32 s22, s17, s19
	v_lshlrev_b64 v[2:3], 2, v[2:3]
	v_mov_b32_e32 v7, s22
	v_add_co_u32_e32 v6, vcc, s21, v2
	v_or_b32_e32 v2, 16, v1
	v_addc_co_u32_e32 v7, vcc, v7, v3, vcc
	v_add_u32_e32 v3, v2, v4
	v_ashrrev_i32_e32 v3, 5, v3
	v_cmp_gt_i32_e32 vcc, s33, v2
	v_cndmask_b32_e32 v2, v5, v3, vcc
	v_ashrrev_i32_e32 v3, 31, v2
	v_lshlrev_b64 v[2:3], 2, v[2:3]
	v_mov_b32_e32 v9, s22
	v_add_co_u32_e32 v8, vcc, s21, v2
	v_or_b32_e32 v2, 32, v1
	v_addc_co_u32_e32 v9, vcc, v9, v3, vcc
	v_add_u32_e32 v3, v2, v4
	v_ashrrev_i32_e32 v3, 5, v3
	v_cmp_gt_i32_e32 vcc, s33, v2
	v_cndmask_b32_e32 v2, v5, v3, vcc
	v_ashrrev_i32_e32 v3, 31, v2
	v_lshlrev_b64 v[2:3], 2, v[2:3]
	v_mov_b32_e32 v11, s22
	v_add_co_u32_e32 v10, vcc, s21, v2
	v_or_b32_e32 v1, 48, v1
	v_addc_co_u32_e32 v11, vcc, v11, v3, vcc
	v_add_u32_e32 v2, v1, v4
	v_ashrrev_i32_e32 v2, 5, v2
	v_cmp_gt_i32_e32 vcc, s33, v1
	v_cndmask_b32_e32 v2, v5, v2, vcc
	v_ashrrev_i32_e32 v3, 31, v2
	v_lshlrev_b64 v[2:3], 2, v[2:3]
	v_mov_b32_e32 v1, s22
	v_add_co_u32_e32 v12, vcc, s21, v2
	v_addc_co_u32_e32 v13, vcc, v1, v3, vcc
	global_load_dword v5, v[6:7], off
	global_load_dword v4, v[8:9], off
	;; [unrolled: 1-line block ×4, first 2 shown]
	s_load_dwordx2 s[16:17], s[4:5], 0x8
	s_andn2_b64 vcc, exec, s[12:13]
	s_cbranch_vccnz .LBB646_8
; %bb.6:
	s_add_u32 s6, s6, s14
	s_addc_u32 s7, s7, s15
	s_load_dword s11, s[6:7], 0x0
	s_branch .LBB646_9
.LBB646_7:
	s_mov_b64 s[16:17], 0
	s_branch .LBB646_2
.LBB646_8:
	s_mov_b32 s11, s8
.LBB646_9:
	s_load_dwordx2 s[6:7], s[4:5], 0x10
	s_load_dwordx4 s[12:15], s[4:5], 0x48
	v_lshrrev_b32_e32 v27, 6, v0
	v_bfe_u32 v1, v0, 4, 2
	v_and_b32_e32 v41, 15, v0
	v_lshl_or_b32 v6, v27, 2, v1
	v_lshlrev_b32_e32 v7, 3, v41
	s_mul_i32 s27, s10, 9
	v_cmp_gt_u32_e32 vcc, 9, v6
	v_lshlrev_b32_e32 v39, 1, v7
	v_lshlrev_b32_e32 v43, 4, v0
	s_and_saveexec_b64 s[18:19], vcc
	s_cbranch_execz .LBB646_11
; %bb.10:
	s_load_dwordx2 s[24:25], s[4:5], 0x0
	s_waitcnt lgkmcnt(0)
	s_ashr_i32 s15, s12, 31
	s_mul_hi_u32 s28, s11, s12
	s_mul_i32 s15, s11, s15
	s_add_i32 s29, s28, s15
	s_mul_i32 s28, s11, s12
	s_lshl_b64 s[28:29], s[28:29], 1
	v_add_lshl_u32 v8, v6, s27, 7
	s_add_u32 s11, s24, s28
	v_ashrrev_i32_e32 v9, 31, v8
	s_addc_u32 s12, s25, s29
	v_lshlrev_b64 v[8:9], 1, v[8:9]
	v_mov_b32_e32 v7, s12
	v_add_co_u32_e32 v8, vcc, s11, v8
	v_addc_co_u32_e32 v7, vcc, v7, v9, vcc
	v_add_co_u32_e32 v8, vcc, v8, v39
	v_addc_co_u32_e32 v9, vcc, 0, v7, vcc
	global_load_dwordx4 v[8:11], v[8:9], off
	v_lshlrev_b32_e32 v12, 8, v0
	v_lshlrev_b32_e32 v7, 8, v41
	v_and_b32_e32 v12, 0x600, v12
	s_movk_i32 s11, 0x800
	v_and_or_b32 v7, v7, s11, v12
	v_lshlrev_b32_e32 v6, 5, v6
	v_and_b32_e32 v12, 16, v43
	v_or3_b32 v6, v7, v6, v12
	s_waitcnt vmcnt(0)
	ds_write_b128 v6, v[8:11]
.LBB646_11:
	s_or_b64 exec, exec, s[18:19]
	s_waitcnt lgkmcnt(0)
	s_mul_i32 s14, s10, s14
	s_add_u32 s10, s16, s14
	s_addc_u32 s11, s17, 0
	v_pk_mov_b32 v[6:7], s[10:11], s[10:11] op_sel:[0,1]
	s_waitcnt vmcnt(3)
	v_mad_i64_i32 v[8:9], s[10:11], v5, s13, v[6:7]
	v_lshlrev_b32_e32 v11, 4, v41
	v_and_b32_e32 v18, 48, v0
	v_add_co_u32_e32 v5, vcc, v8, v11
	v_lshlrev_b32_e32 v10, 5, v18
	v_addc_co_u32_e32 v9, vcc, 0, v9, vcc
	v_add_co_u32_e32 v8, vcc, v5, v10
	v_addc_co_u32_e32 v9, vcc, 0, v9, vcc
	s_load_dwordx2 s[48:49], s[4:5], 0x94
	s_waitcnt lgkmcnt(0)
	s_barrier
	global_load_dwordx4 v[20:23], v[8:9], off
	global_load_dwordx4 v[28:31], v[8:9], off offset:2048
	s_waitcnt vmcnt(4)
	v_mad_i64_i32 v[4:5], s[10:11], v4, s13, v[6:7]
	v_or_b32_e32 v8, 0x100, v11
	v_add_co_u32_e32 v4, vcc, v4, v8
	v_addc_co_u32_e32 v5, vcc, 0, v5, vcc
	v_add_co_u32_e32 v4, vcc, v4, v10
	v_addc_co_u32_e32 v5, vcc, 0, v5, vcc
	global_load_dwordx4 v[32:35], v[4:5], off
	global_load_dwordx4 v[44:47], v[4:5], off offset:2048
	s_waitcnt vmcnt(5)
	v_mad_i64_i32 v[4:5], s[10:11], v3, s13, v[6:7]
	v_add_co_u32_e32 v3, vcc, v4, v11
	v_addc_co_u32_e32 v5, vcc, 0, v5, vcc
	v_add_co_u32_e32 v4, vcc, v3, v10
	v_addc_co_u32_e32 v5, vcc, 0, v5, vcc
	s_waitcnt vmcnt(4)
	v_mad_i64_i32 v[2:3], s[10:11], v2, s13, v[6:7]
	v_add_co_u32_e32 v2, vcc, v2, v8
	v_addc_co_u32_e32 v3, vcc, 0, v3, vcc
	v_add_co_u32_e32 v2, vcc, v2, v10
	v_addc_co_u32_e32 v3, vcc, 0, v3, vcc
	global_load_dwordx4 v[48:51], v[4:5], off
	global_load_dwordx4 v[52:55], v[4:5], off offset:2048
	global_load_dwordx4 v[56:59], v[2:3], off
	global_load_dwordx4 v[60:63], v[2:3], off offset:2048
	v_add_u32_e32 v2, -9, v41
	v_cmp_gt_u32_e32 vcc, 9, v41
	v_cndmask_b32_e32 v2, v2, v41, vcc
	v_lshlrev_b32_e32 v2, 5, v2
	v_lshl_add_u32 v14, v1, 9, v2
	s_load_dwordx2 s[50:51], s[4:5], 0x68
	s_load_dwordx4 s[44:47], s[4:5], 0x58
	ds_read_b128 v[2:5], v14
	ds_read_b128 v[6:9], v14 offset:16
	ds_read_b128 v[10:13], v14 offset:2048
	;; [unrolled: 1-line block ×3, first 2 shown]
	s_mov_b32 s12, 0
	s_waitcnt vmcnt(7)
	buffer_store_dword v23, off, s[0:3], 0 offset:12
	buffer_store_dword v22, off, s[0:3], 0 offset:8
	;; [unrolled: 1-line block ×3, first 2 shown]
	buffer_store_dword v20, off, s[0:3], 0
	s_waitcnt vmcnt(10)
	buffer_store_dword v31, off, s[0:3], 0 offset:28
	buffer_store_dword v30, off, s[0:3], 0 offset:24
	buffer_store_dword v29, off, s[0:3], 0 offset:20
	buffer_store_dword v28, off, s[0:3], 0 offset:16
	s_waitcnt vmcnt(13)
	buffer_store_dword v35, off, s[0:3], 0 offset:44
	buffer_store_dword v34, off, s[0:3], 0 offset:40
	buffer_store_dword v33, off, s[0:3], 0 offset:36
	buffer_store_dword v32, off, s[0:3], 0 offset:32
	;; [unrolled: 5-line block ×7, first 2 shown]
	v_mov_b32_e32 v35, 0
	v_mov_b32_e32 v31, 0
	s_and_saveexec_b64 s[10:11], vcc
	s_cbranch_execz .LBB646_13
; %bb.12:
	s_load_dwordx2 s[16:17], s[4:5], 0x40
	v_add_u32_e32 v20, s27, v41
	v_ashrrev_i32_e32 v21, 31, v20
	v_lshlrev_b64 v[20:21], 2, v[20:21]
	s_waitcnt lgkmcnt(0)
	v_mov_b32_e32 v19, s17
	v_add_co_u32_e32 v20, vcc, s16, v20
	v_addc_co_u32_e32 v21, vcc, v19, v21, vcc
	global_load_dword v31, v[20:21], off
.LBB646_13:
	s_or_b64 exec, exec, s[10:11]
	s_ashr_i32 s10, s20, 31
	v_or_b32_e32 v24, s20, v18
	s_lshr_b32 s10, s10, 27
	v_add_u32_e32 v18, s10, v24
	v_ashrrev_i32_e32 v18, 5, v18
	v_mov_b32_e32 v25, s23
	v_cmp_gt_i32_e32 vcc, s33, v24
	v_cndmask_b32_e32 v18, v25, v18, vcc
	v_ashrrev_i32_e32 v19, 31, v18
	v_lshlrev_b64 v[18:19], 2, v[18:19]
	v_mov_b32_e32 v20, s22
	v_add_co_u32_e32 v18, vcc, s21, v18
	v_addc_co_u32_e32 v19, vcc, v20, v19, vcc
	v_or_b32_e32 v20, 64, v24
	v_add_u32_e32 v21, s10, v20
	v_ashrrev_i32_e32 v21, 5, v21
	v_cmp_gt_i32_e32 vcc, s33, v20
	v_cndmask_b32_e32 v20, v25, v21, vcc
	v_ashrrev_i32_e32 v21, 31, v20
	v_lshlrev_b64 v[20:21], 2, v[20:21]
	v_mov_b32_e32 v22, s22
	v_add_co_u32_e32 v20, vcc, s21, v20
	v_addc_co_u32_e32 v21, vcc, v22, v21, vcc
	v_or_b32_e32 v22, 0x80, v24
	v_add_u32_e32 v23, s10, v22
	v_ashrrev_i32_e32 v23, 5, v23
	v_cmp_gt_i32_e32 vcc, s33, v22
	v_cndmask_b32_e32 v22, v25, v23, vcc
	v_ashrrev_i32_e32 v23, 31, v22
	v_lshlrev_b64 v[22:23], 2, v[22:23]
	v_mov_b32_e32 v26, s22
	v_add_co_u32_e32 v22, vcc, s21, v22
	v_addc_co_u32_e32 v23, vcc, v26, v23, vcc
	global_load_dword v26, v[18:19], off
	global_load_dword v28, v[20:21], off
	global_load_dword v30, v[22:23], off
	v_or_b32_e32 v18, 0xc0, v24
	v_add_u32_e32 v19, s10, v18
	v_ashrrev_i32_e32 v19, 5, v19
	v_cmp_gt_i32_e32 vcc, s33, v18
	v_cndmask_b32_e32 v18, v25, v19, vcc
	v_ashrrev_i32_e32 v19, 31, v18
	v_lshlrev_b64 v[18:19], 2, v[18:19]
	v_mov_b32_e32 v20, s22
	v_add_co_u32_e32 v18, vcc, s21, v18
	v_addc_co_u32_e32 v19, vcc, v20, v19, vcc
	global_load_dword v32, v[18:19], off
	s_add_u32 s6, s6, s14
	v_and_b32_e32 v18, 16, v0
	s_addc_u32 s7, s7, 0
	v_lshl_or_b32 v29, v27, 4, v41
	v_mov_b32_e32 v20, s7
	v_add_co_u32_e32 v34, vcc, s6, v18
	v_lshlrev_b32_e32 v19, 5, v29
	v_addc_co_u32_e32 v36, vcc, 0, v20, vcc
	v_add_co_u32_e32 v22, vcc, v34, v19
	v_addc_co_u32_e32 v23, vcc, 0, v36, vcc
	v_or_b32_e32 v33, 0x800, v19
	s_movk_i32 s14, 0x7f
	s_mov_b32 s15, 0xffffff
	v_mov_b32_e32 v37, 0x100
	v_bfrev_b32_e32 v38, 60
	s_waitcnt vmcnt(3)
	v_mad_i64_i32 v[18:19], s[6:7], v26, s13, v[22:23]
	s_waitcnt vmcnt(2)
	v_mad_i64_i32 v[24:25], s[6:7], v28, s13, v[22:23]
	global_load_dwordx4 v[18:21], v[18:19], off
	s_nop 0
	global_load_dwordx4 v[52:55], v[24:25], off
	s_waitcnt vmcnt(3)
	v_mad_i64_i32 v[24:25], s[6:7], v30, s13, v[22:23]
	s_waitcnt vmcnt(2)
	v_mad_i64_i32 v[22:23], s[6:7], v32, s13, v[22:23]
	global_load_dwordx4 v[56:59], v[24:25], off
	global_load_dwordx4 v[60:63], v[22:23], off
	v_add_co_u32_e32 v22, vcc, v34, v33
	v_addc_co_u32_e32 v23, vcc, 0, v36, vcc
	v_mad_i64_i32 v[24:25], s[6:7], v26, s13, v[22:23]
	global_load_dwordx4 v[64:67], v[24:25], off
	v_mad_i64_i32 v[24:25], s[6:7], v28, s13, v[22:23]
	global_load_dwordx4 v[68:71], v[24:25], off
	;; [unrolled: 2-line block ×4, first 2 shown]
	s_load_dword s6, s[4:5], 0x1c
	s_load_dwordx4 s[40:43], s[4:5], 0x80
	v_mov_b32_e32 v22, 0x80
	v_add_u32_e32 v45, 16, v22
	v_add_u32_e32 v46, 32, v22
	v_add_u32_e32 v47, 48, v22
	s_waitcnt lgkmcnt(0)
	s_load_dword s4, s[40:41], 0x0
	v_add_u32_e32 v51, 64, v22
	v_add_u32_e32 v48, 0x50, v22
	;; [unrolled: 1-line block ×4, first 2 shown]
	v_mov_b32_e32 v22, s6
	s_waitcnt lgkmcnt(0)
	v_mul_f32_e32 v22, s4, v22
	v_and_b32_e32 v33, 63, v0
	s_movk_i32 s13, 0x80
	v_mov_b32_e32 v36, 0
	v_mov_b32_e32 v24, v22
	;; [unrolled: 1-line block ×3, first 2 shown]
	s_waitcnt vmcnt(7)
	buffer_store_dword v21, off, s[0:3], 0 offset:140
	buffer_store_dword v20, off, s[0:3], 0 offset:136
	buffer_store_dword v19, off, s[0:3], 0 offset:132
	buffer_store_dword v18, off, s[0:3], 0 offset:128
	s_waitcnt vmcnt(10)
	buffer_store_dword v55, off, s[0:3], 0 offset:172
	buffer_store_dword v54, off, s[0:3], 0 offset:168
	buffer_store_dword v53, off, s[0:3], 0 offset:164
	buffer_store_dword v52, off, s[0:3], 0 offset:160
	;; [unrolled: 5-line block ×8, first 2 shown]
	s_branch .LBB646_17
.LBB646_14:                             ;   in Loop: Header=BB646_17 Depth=1
	s_or_b64 exec, exec, s[10:11]
.LBB646_15:                             ;   in Loop: Header=BB646_17 Depth=1
	s_or_b64 exec, exec, s[6:7]
.LBB646_16:                             ;   in Loop: Header=BB646_17 Depth=1
	s_or_b64 exec, exec, s[4:5]
	v_cvt_pkrtz_f16_f32 v54, v34, v32
	v_cvt_pkrtz_f16_f32 v55, v23, v42
	v_add_u32_e32 v26, s12, v37
	s_add_i32 s12, s12, 16
	v_mov_b32_e32 v23, v22
	v_mfma_f32_16x16x16f16 v[18:21], v[54:55], v[14:15], v[18:21]
	v_cvt_pkrtz_f16_f32 v54, v40, v44
	v_cvt_pkrtz_f16_f32 v55, v30, v52
	s_cmp_eq_u32 s12, 64
	v_add_u32_e32 v36, 32, v36
	v_mfma_f32_16x16x16f16 v[18:21], v[54:55], v[16:17], v[18:21]
	s_nop 7
	s_nop 2
	v_pk_mul_f32 v[18:19], v[24:25], v[18:19]
	v_pk_mul_f32 v[20:21], v[22:23], v[20:21]
	buffer_store_dword v19, v26, s[0:3], 0 offen offset:4
	buffer_store_dword v18, v26, s[0:3], 0 offen
	buffer_store_dword v21, v26, s[0:3], 0 offen offset:12
	buffer_store_dword v20, v26, s[0:3], 0 offen offset:8
	s_cbranch_scc1 .LBB646_207
.LBB646_17:                             ; =>This Inner Loop Header: Depth=1
	buffer_load_dword v20, v36, s[0:3], 0 offen
	buffer_load_dword v18, v36, s[0:3], 0 offen offset:4
	buffer_load_dword v28, v36, s[0:3], 0 offen offset:8
	buffer_load_dword v26, v36, s[0:3], 0 offen offset:12
	v_mov_b32_e32 v19, 0
	v_mov_b32_e32 v21, 0
	s_waitcnt vmcnt(3)
	v_cmp_ne_u16_sdwa s[6:7], v20, v35 src0_sel:BYTE_0 src1_sel:DWORD
	s_and_saveexec_b64 s[4:5], s[6:7]
	s_cbranch_execz .LBB646_23
; %bb.18:                               ;   in Loop: Header=BB646_17 Depth=1
	v_cmp_ne_u16_sdwa s[10:11], v20, s13 src0_sel:BYTE_0 src1_sel:DWORD
	v_bfrev_b32_e32 v21, 1
	s_and_saveexec_b64 s[6:7], s[10:11]
	s_cbranch_execz .LBB646_22
; %bb.19:                               ;   in Loop: Header=BB646_17 Depth=1
	v_and_b32_e32 v23, 0x7f, v20
	v_cmp_ne_u32_e32 vcc, s14, v23
	v_mov_b32_e32 v21, 0x7f800001
	s_and_saveexec_b64 s[10:11], vcc
	s_cbranch_execz .LBB646_21
; %bb.20:                               ;   in Loop: Header=BB646_17 Depth=1
	v_and_b32_e32 v21, 7, v20
	v_ffbh_u32_e32 v32, v21
	v_min_u32_e32 v32, 32, v32
	v_subrev_u32_e32 v34, 28, v32
	v_lshlrev_b64 v[52:53], v34, v[20:21]
	v_lshrrev_b32_e32 v30, 3, v23
	v_sub_u32_e32 v32, 29, v32
	v_and_b32_e32 v34, 7, v52
	v_cmp_gt_u32_e32 vcc, 8, v23
	v_cndmask_b32_e32 v23, v30, v32, vcc
	v_cndmask_b32_e32 v21, v21, v34, vcc
	v_lshlrev_b32_e32 v30, 24, v20
	v_lshlrev_b32_e32 v21, 20, v21
	v_and_b32_e32 v30, 0x80000000, v30
	v_lshl_add_u32 v23, v23, 23, v38
	v_or3_b32 v21, v30, v23, v21
.LBB646_21:                             ;   in Loop: Header=BB646_17 Depth=1
	s_or_b64 exec, exec, s[10:11]
.LBB646_22:                             ;   in Loop: Header=BB646_17 Depth=1
	s_or_b64 exec, exec, s[6:7]
.LBB646_23:                             ;   in Loop: Header=BB646_17 Depth=1
	s_or_b64 exec, exec, s[4:5]
	v_lshrrev_b16_e32 v30, 8, v20
	v_cmp_ne_u16_e32 vcc, 0, v30
	s_and_saveexec_b64 s[4:5], vcc
	s_cbranch_execz .LBB646_29
; %bb.24:                               ;   in Loop: Header=BB646_17 Depth=1
	v_cmp_ne_u16_e32 vcc, s13, v30
	v_bfrev_b32_e32 v19, 1
	s_and_saveexec_b64 s[6:7], vcc
	s_cbranch_execz .LBB646_28
; %bb.25:                               ;   in Loop: Header=BB646_17 Depth=1
	v_and_b32_e32 v23, 0x7f, v30
	v_cmp_ne_u32_e32 vcc, s14, v23
	v_mov_b32_e32 v19, 0x7f800001
	s_and_saveexec_b64 s[10:11], vcc
	s_cbranch_execz .LBB646_27
; %bb.26:                               ;   in Loop: Header=BB646_17 Depth=1
	v_and_b32_e32 v19, 7, v30
	v_ffbh_u32_e32 v34, v19
	v_min_u32_e32 v34, 32, v34
	v_subrev_u32_e32 v40, 28, v34
	v_lshlrev_b64 v[52:53], v40, v[30:31]
	v_lshrrev_b32_e32 v32, 3, v23
	v_sub_u32_e32 v30, 29, v34
	v_and_b32_e32 v34, 7, v52
	v_cmp_gt_u32_e32 vcc, 8, v23
	v_cndmask_b32_e32 v23, v32, v30, vcc
	v_cndmask_b32_e32 v19, v19, v34, vcc
	v_lshlrev_b32_e32 v30, 16, v20
	v_lshlrev_b32_e32 v19, 20, v19
	v_and_b32_e32 v30, 0x80000000, v30
	v_lshl_add_u32 v23, v23, 23, v38
	v_or3_b32 v19, v30, v23, v19
.LBB646_27:                             ;   in Loop: Header=BB646_17 Depth=1
	s_or_b64 exec, exec, s[10:11]
.LBB646_28:                             ;   in Loop: Header=BB646_17 Depth=1
	s_or_b64 exec, exec, s[6:7]
.LBB646_29:                             ;   in Loop: Header=BB646_17 Depth=1
	s_or_b64 exec, exec, s[4:5]
	v_lshrrev_b32_e32 v30, 16, v20
	v_cmp_ne_u16_sdwa s[6:7], v30, v35 src0_sel:BYTE_0 src1_sel:DWORD
	v_mov_b32_e32 v32, 0
	v_mov_b32_e32 v23, 0
	s_and_saveexec_b64 s[4:5], s[6:7]
	s_cbranch_execz .LBB646_35
; %bb.30:                               ;   in Loop: Header=BB646_17 Depth=1
	v_cmp_ne_u16_sdwa s[10:11], v30, s13 src0_sel:BYTE_0 src1_sel:DWORD
	v_bfrev_b32_e32 v23, 1
	s_and_saveexec_b64 s[6:7], s[10:11]
	s_cbranch_execz .LBB646_34
; %bb.31:                               ;   in Loop: Header=BB646_17 Depth=1
	v_bfe_u32 v34, v20, 16, 7
	v_cmp_ne_u32_e32 vcc, s14, v34
	v_mov_b32_e32 v23, 0x7f800001
	s_and_saveexec_b64 s[10:11], vcc
	s_cbranch_execz .LBB646_33
; %bb.32:                               ;   in Loop: Header=BB646_17 Depth=1
	v_and_b32_e32 v23, 7, v30
	v_ffbh_u32_e32 v42, v23
	v_min_u32_e32 v42, 32, v42
	v_subrev_u32_e32 v44, 28, v42
	v_lshlrev_b64 v[52:53], v44, v[30:31]
	v_lshrrev_b32_e32 v40, 3, v34
	v_sub_u32_e32 v42, 29, v42
	v_and_b32_e32 v44, 7, v52
	v_cmp_gt_u32_e32 vcc, 8, v34
	v_cndmask_b32_e32 v34, v40, v42, vcc
	v_cndmask_b32_e32 v23, v23, v44, vcc
	v_lshlrev_b32_e32 v30, 24, v30
	v_lshlrev_b32_e32 v23, 20, v23
	v_and_b32_e32 v30, 0x80000000, v30
	v_lshl_add_u32 v34, v34, 23, v38
	v_or3_b32 v23, v30, v34, v23
.LBB646_33:                             ;   in Loop: Header=BB646_17 Depth=1
	s_or_b64 exec, exec, s[10:11]
.LBB646_34:                             ;   in Loop: Header=BB646_17 Depth=1
	s_or_b64 exec, exec, s[6:7]
.LBB646_35:                             ;   in Loop: Header=BB646_17 Depth=1
	s_or_b64 exec, exec, s[4:5]
	v_cmp_lt_u32_e32 vcc, s15, v20
	s_and_saveexec_b64 s[4:5], vcc
	s_cbranch_execz .LBB646_41
; %bb.36:                               ;   in Loop: Header=BB646_17 Depth=1
	v_lshrrev_b32_e32 v30, 24, v20
	v_cmp_ne_u32_e32 vcc, s13, v30
	v_bfrev_b32_e32 v32, 1
	s_and_saveexec_b64 s[6:7], vcc
	s_cbranch_execz .LBB646_40
; %bb.37:                               ;   in Loop: Header=BB646_17 Depth=1
	v_bfe_u32 v20, v20, 24, 7
	v_cmp_ne_u32_e32 vcc, s14, v20
	v_mov_b32_e32 v32, 0x7f800001
	s_and_saveexec_b64 s[10:11], vcc
	s_cbranch_execz .LBB646_39
; %bb.38:                               ;   in Loop: Header=BB646_17 Depth=1
	v_and_b32_e32 v32, 7, v30
	v_ffbh_u32_e32 v40, v32
	v_min_u32_e32 v40, 32, v40
	v_subrev_u32_e32 v42, 28, v40
	v_lshlrev_b64 v[52:53], v42, v[30:31]
	v_lshrrev_b32_e32 v34, 3, v20
	v_sub_u32_e32 v40, 29, v40
	v_and_b32_e32 v42, 7, v52
	v_cmp_gt_u32_e32 vcc, 8, v20
	v_cndmask_b32_e32 v20, v34, v40, vcc
	v_cndmask_b32_e32 v32, v32, v42, vcc
	v_lshlrev_b32_e32 v30, 24, v30
	v_lshlrev_b32_e32 v32, 20, v32
	v_and_b32_e32 v30, 0x80000000, v30
	v_lshl_add_u32 v20, v20, 23, v38
	v_or3_b32 v32, v30, v20, v32
.LBB646_39:                             ;   in Loop: Header=BB646_17 Depth=1
	s_or_b64 exec, exec, s[10:11]
.LBB646_40:                             ;   in Loop: Header=BB646_17 Depth=1
	s_or_b64 exec, exec, s[6:7]
.LBB646_41:                             ;   in Loop: Header=BB646_17 Depth=1
	s_or_b64 exec, exec, s[4:5]
	s_waitcnt vmcnt(2)
	v_cmp_ne_u16_sdwa s[6:7], v18, v35 src0_sel:BYTE_0 src1_sel:DWORD
	v_mov_b32_e32 v30, 0
	v_mov_b32_e32 v34, 0
	s_and_saveexec_b64 s[4:5], s[6:7]
	s_cbranch_execz .LBB646_47
; %bb.42:                               ;   in Loop: Header=BB646_17 Depth=1
	v_cmp_ne_u16_sdwa s[10:11], v18, s13 src0_sel:BYTE_0 src1_sel:DWORD
	v_bfrev_b32_e32 v34, 1
	s_and_saveexec_b64 s[6:7], s[10:11]
	s_cbranch_execz .LBB646_46
; %bb.43:                               ;   in Loop: Header=BB646_17 Depth=1
	v_and_b32_e32 v20, 0x7f, v18
	v_cmp_ne_u32_e32 vcc, s14, v20
	v_mov_b32_e32 v34, 0x7f800001
	s_and_saveexec_b64 s[10:11], vcc
	s_cbranch_execz .LBB646_45
; %bb.44:                               ;   in Loop: Header=BB646_17 Depth=1
	v_and_b32_e32 v34, 7, v18
	v_ffbh_u32_e32 v42, v34
	v_min_u32_e32 v42, 32, v42
	v_subrev_u32_e32 v44, 28, v42
	v_lshlrev_b64 v[52:53], v44, v[18:19]
	v_lshrrev_b32_e32 v40, 3, v20
	v_sub_u32_e32 v42, 29, v42
	v_and_b32_e32 v44, 7, v52
	v_cmp_gt_u32_e32 vcc, 8, v20
	v_cndmask_b32_e32 v20, v40, v42, vcc
	v_cndmask_b32_e32 v34, v34, v44, vcc
	v_lshlrev_b32_e32 v40, 24, v18
	v_lshlrev_b32_e32 v34, 20, v34
	v_and_b32_e32 v40, 0x80000000, v40
	v_lshl_add_u32 v20, v20, 23, v38
	v_or3_b32 v34, v40, v20, v34
.LBB646_45:                             ;   in Loop: Header=BB646_17 Depth=1
	s_or_b64 exec, exec, s[10:11]
.LBB646_46:                             ;   in Loop: Header=BB646_17 Depth=1
	s_or_b64 exec, exec, s[6:7]
.LBB646_47:                             ;   in Loop: Header=BB646_17 Depth=1
	s_or_b64 exec, exec, s[4:5]
	v_lshrrev_b16_e32 v20, 8, v18
	v_cmp_ne_u16_e32 vcc, 0, v20
	s_and_saveexec_b64 s[4:5], vcc
	s_cbranch_execz .LBB646_53
; %bb.48:                               ;   in Loop: Header=BB646_17 Depth=1
	v_cmp_ne_u16_e32 vcc, s13, v20
	v_bfrev_b32_e32 v30, 1
	s_and_saveexec_b64 s[6:7], vcc
	s_cbranch_execz .LBB646_52
; %bb.49:                               ;   in Loop: Header=BB646_17 Depth=1
	v_and_b32_e32 v40, 0x7f, v20
	v_cmp_ne_u32_e32 vcc, s14, v40
	v_mov_b32_e32 v30, 0x7f800001
	s_and_saveexec_b64 s[10:11], vcc
	s_cbranch_execz .LBB646_51
; %bb.50:                               ;   in Loop: Header=BB646_17 Depth=1
	v_and_b32_e32 v30, 7, v20
	v_ffbh_u32_e32 v44, v30
	v_min_u32_e32 v44, 32, v44
	v_subrev_u32_e32 v52, 28, v44
	v_lshlrev_b64 v[52:53], v52, v[20:21]
	v_lshrrev_b32_e32 v42, 3, v40
	v_sub_u32_e32 v20, 29, v44
	v_and_b32_e32 v44, 7, v52
	v_cmp_gt_u32_e32 vcc, 8, v40
	v_cndmask_b32_e32 v20, v42, v20, vcc
	v_cndmask_b32_e32 v30, v30, v44, vcc
	v_lshlrev_b32_e32 v40, 16, v18
	v_lshlrev_b32_e32 v30, 20, v30
	v_and_b32_e32 v40, 0x80000000, v40
	v_lshl_add_u32 v20, v20, 23, v38
	v_or3_b32 v30, v40, v20, v30
.LBB646_51:                             ;   in Loop: Header=BB646_17 Depth=1
	s_or_b64 exec, exec, s[10:11]
.LBB646_52:                             ;   in Loop: Header=BB646_17 Depth=1
	s_or_b64 exec, exec, s[6:7]
.LBB646_53:                             ;   in Loop: Header=BB646_17 Depth=1
	s_or_b64 exec, exec, s[4:5]
	v_lshrrev_b32_e32 v20, 16, v18
	v_cmp_ne_u16_sdwa s[6:7], v20, v35 src0_sel:BYTE_0 src1_sel:DWORD
	v_mov_b32_e32 v42, 0
	v_mov_b32_e32 v40, 0
	s_and_saveexec_b64 s[4:5], s[6:7]
	s_cbranch_execz .LBB646_59
; %bb.54:                               ;   in Loop: Header=BB646_17 Depth=1
	v_cmp_ne_u16_sdwa s[10:11], v20, s13 src0_sel:BYTE_0 src1_sel:DWORD
	v_bfrev_b32_e32 v40, 1
	s_and_saveexec_b64 s[6:7], s[10:11]
	s_cbranch_execz .LBB646_58
; %bb.55:                               ;   in Loop: Header=BB646_17 Depth=1
	v_bfe_u32 v44, v18, 16, 7
	v_cmp_ne_u32_e32 vcc, s14, v44
	v_mov_b32_e32 v40, 0x7f800001
	s_and_saveexec_b64 s[10:11], vcc
	s_cbranch_execz .LBB646_57
; %bb.56:                               ;   in Loop: Header=BB646_17 Depth=1
	v_and_b32_e32 v40, 7, v20
	v_ffbh_u32_e32 v52, v40
	v_min_u32_e32 v55, 32, v52
	v_subrev_u32_e32 v52, 28, v55
	v_lshlrev_b64 v[52:53], v52, v[20:21]
	v_lshrrev_b32_e32 v54, 3, v44
	v_sub_u32_e32 v53, 29, v55
	v_and_b32_e32 v52, 7, v52
	v_cmp_gt_u32_e32 vcc, 8, v44
	v_cndmask_b32_e32 v44, v54, v53, vcc
	v_cndmask_b32_e32 v40, v40, v52, vcc
	v_lshlrev_b32_e32 v20, 24, v20
	v_lshlrev_b32_e32 v40, 20, v40
	v_and_b32_e32 v20, 0x80000000, v20
	v_lshl_add_u32 v44, v44, 23, v38
	v_or3_b32 v40, v20, v44, v40
.LBB646_57:                             ;   in Loop: Header=BB646_17 Depth=1
	s_or_b64 exec, exec, s[10:11]
.LBB646_58:                             ;   in Loop: Header=BB646_17 Depth=1
	s_or_b64 exec, exec, s[6:7]
.LBB646_59:                             ;   in Loop: Header=BB646_17 Depth=1
	s_or_b64 exec, exec, s[4:5]
	v_cmp_lt_u32_e32 vcc, s15, v18
	s_and_saveexec_b64 s[4:5], vcc
	s_cbranch_execz .LBB646_65
; %bb.60:                               ;   in Loop: Header=BB646_17 Depth=1
	v_lshrrev_b32_e32 v20, 24, v18
	v_cmp_ne_u32_e32 vcc, s13, v20
	v_bfrev_b32_e32 v42, 1
	s_and_saveexec_b64 s[6:7], vcc
	s_cbranch_execz .LBB646_64
; %bb.61:                               ;   in Loop: Header=BB646_17 Depth=1
	v_bfe_u32 v18, v18, 24, 7
	v_cmp_ne_u32_e32 vcc, s14, v18
	v_mov_b32_e32 v42, 0x7f800001
	s_and_saveexec_b64 s[10:11], vcc
	s_cbranch_execz .LBB646_63
; %bb.62:                               ;   in Loop: Header=BB646_17 Depth=1
	v_and_b32_e32 v42, 7, v20
	v_ffbh_u32_e32 v52, v42
	v_min_u32_e32 v54, 32, v52
	v_subrev_u32_e32 v52, 28, v54
	v_lshlrev_b64 v[52:53], v52, v[20:21]
	v_lshrrev_b32_e32 v44, 3, v18
	v_sub_u32_e32 v53, 29, v54
	v_and_b32_e32 v52, 7, v52
	v_cmp_gt_u32_e32 vcc, 8, v18
	v_cndmask_b32_e32 v18, v44, v53, vcc
	v_cndmask_b32_e32 v42, v42, v52, vcc
	v_lshlrev_b32_e32 v20, 24, v20
	v_lshlrev_b32_e32 v42, 20, v42
	v_and_b32_e32 v20, 0x80000000, v20
	v_lshl_add_u32 v18, v18, 23, v38
	v_or3_b32 v42, v20, v18, v42
.LBB646_63:                             ;   in Loop: Header=BB646_17 Depth=1
	s_or_b64 exec, exec, s[10:11]
.LBB646_64:                             ;   in Loop: Header=BB646_17 Depth=1
	s_or_b64 exec, exec, s[6:7]
.LBB646_65:                             ;   in Loop: Header=BB646_17 Depth=1
	s_or_b64 exec, exec, s[4:5]
	v_cvt_pkrtz_f16_f32 v18, v21, v19
	v_cvt_pkrtz_f16_f32 v19, v23, v32
	;; [unrolled: 1-line block ×4, first 2 shown]
	v_mov_b32_e32 v32, 0
	v_mfma_f32_16x16x16f16 v[18:21], v[18:19], v[2:3], 0
	s_waitcnt vmcnt(1)
	v_cmp_ne_u16_sdwa s[6:7], v28, v35 src0_sel:BYTE_0 src1_sel:DWORD
	v_mov_b32_e32 v34, 0
	v_mfma_f32_16x16x16f16 v[18:21], v[52:53], v[4:5], v[18:21]
	s_and_saveexec_b64 s[4:5], s[6:7]
	s_cbranch_execz .LBB646_71
; %bb.66:                               ;   in Loop: Header=BB646_17 Depth=1
	v_cmp_ne_u16_sdwa s[10:11], v28, s13 src0_sel:BYTE_0 src1_sel:DWORD
	v_bfrev_b32_e32 v34, 1
	s_and_saveexec_b64 s[6:7], s[10:11]
	s_cbranch_execz .LBB646_70
; %bb.67:                               ;   in Loop: Header=BB646_17 Depth=1
	v_and_b32_e32 v23, 0x7f, v28
	v_cmp_ne_u32_e32 vcc, s14, v23
	v_mov_b32_e32 v34, 0x7f800001
	s_and_saveexec_b64 s[10:11], vcc
	s_cbranch_execz .LBB646_69
; %bb.68:                               ;   in Loop: Header=BB646_17 Depth=1
	v_and_b32_e32 v30, 7, v28
	v_ffbh_u32_e32 v40, v30
	v_min_u32_e32 v40, 32, v40
	v_subrev_u32_e32 v42, 28, v40
	v_lshlrev_b64 v[52:53], v42, v[28:29]
	v_lshrrev_b32_e32 v34, 3, v23
	v_sub_u32_e32 v40, 29, v40
	v_and_b32_e32 v42, 7, v52
	v_cmp_gt_u32_e32 vcc, 8, v23
	v_cndmask_b32_e32 v23, v34, v40, vcc
	v_cndmask_b32_e32 v30, v30, v42, vcc
	v_lshlrev_b32_e32 v34, 24, v28
	v_lshlrev_b32_e32 v30, 20, v30
	v_and_b32_e32 v34, 0x80000000, v34
	v_lshl_add_u32 v23, v23, 23, v38
	v_or3_b32 v34, v34, v23, v30
.LBB646_69:                             ;   in Loop: Header=BB646_17 Depth=1
	s_or_b64 exec, exec, s[10:11]
.LBB646_70:                             ;   in Loop: Header=BB646_17 Depth=1
	s_or_b64 exec, exec, s[6:7]
.LBB646_71:                             ;   in Loop: Header=BB646_17 Depth=1
	s_or_b64 exec, exec, s[4:5]
	v_lshrrev_b16_e32 v30, 8, v28
	v_cmp_ne_u16_e32 vcc, 0, v30
	v_mov_b32_e32 v40, 0
	s_and_saveexec_b64 s[4:5], vcc
	s_cbranch_execz .LBB646_77
; %bb.72:                               ;   in Loop: Header=BB646_17 Depth=1
	v_cmp_ne_u16_e32 vcc, s13, v30
	v_bfrev_b32_e32 v40, 1
	s_and_saveexec_b64 s[6:7], vcc
	s_cbranch_execz .LBB646_76
; %bb.73:                               ;   in Loop: Header=BB646_17 Depth=1
	v_and_b32_e32 v23, 0x7f, v30
	v_cmp_ne_u32_e32 vcc, s14, v23
	v_mov_b32_e32 v40, 0x7f800001
	s_and_saveexec_b64 s[10:11], vcc
	s_cbranch_execz .LBB646_75
; %bb.74:                               ;   in Loop: Header=BB646_17 Depth=1
	v_and_b32_e32 v40, 7, v30
	v_ffbh_u32_e32 v44, v40
	v_min_u32_e32 v44, 32, v44
	v_subrev_u32_e32 v52, 28, v44
	v_lshlrev_b64 v[52:53], v52, v[30:31]
	v_lshrrev_b32_e32 v42, 3, v23
	v_sub_u32_e32 v30, 29, v44
	v_and_b32_e32 v44, 7, v52
	v_cmp_gt_u32_e32 vcc, 8, v23
	v_cndmask_b32_e32 v23, v42, v30, vcc
	v_cndmask_b32_e32 v30, v40, v44, vcc
	v_lshlrev_b32_e32 v40, 16, v28
	v_lshlrev_b32_e32 v30, 20, v30
	v_and_b32_e32 v40, 0x80000000, v40
	v_lshl_add_u32 v23, v23, 23, v38
	v_or3_b32 v40, v40, v23, v30
.LBB646_75:                             ;   in Loop: Header=BB646_17 Depth=1
	s_or_b64 exec, exec, s[10:11]
.LBB646_76:                             ;   in Loop: Header=BB646_17 Depth=1
	s_or_b64 exec, exec, s[6:7]
.LBB646_77:                             ;   in Loop: Header=BB646_17 Depth=1
	s_or_b64 exec, exec, s[4:5]
	v_lshrrev_b32_e32 v30, 16, v28
	v_cmp_ne_u16_sdwa s[6:7], v30, v35 src0_sel:BYTE_0 src1_sel:DWORD
	s_and_saveexec_b64 s[4:5], s[6:7]
	s_cbranch_execz .LBB646_83
; %bb.78:                               ;   in Loop: Header=BB646_17 Depth=1
	v_cmp_ne_u16_sdwa s[10:11], v30, s13 src0_sel:BYTE_0 src1_sel:DWORD
	v_bfrev_b32_e32 v32, 1
	s_and_saveexec_b64 s[6:7], s[10:11]
	s_cbranch_execz .LBB646_82
; %bb.79:                               ;   in Loop: Header=BB646_17 Depth=1
	v_bfe_u32 v23, v28, 16, 7
	v_cmp_ne_u32_e32 vcc, s14, v23
	v_mov_b32_e32 v32, 0x7f800001
	s_and_saveexec_b64 s[10:11], vcc
	s_cbranch_execz .LBB646_81
; %bb.80:                               ;   in Loop: Header=BB646_17 Depth=1
	v_and_b32_e32 v32, 7, v30
	v_ffbh_u32_e32 v44, v32
	v_min_u32_e32 v44, 32, v44
	v_subrev_u32_e32 v52, 28, v44
	v_lshlrev_b64 v[52:53], v52, v[30:31]
	v_lshrrev_b32_e32 v42, 3, v23
	v_sub_u32_e32 v44, 29, v44
	v_and_b32_e32 v52, 7, v52
	v_cmp_gt_u32_e32 vcc, 8, v23
	v_cndmask_b32_e32 v23, v42, v44, vcc
	v_cndmask_b32_e32 v32, v32, v52, vcc
	v_lshlrev_b32_e32 v30, 24, v30
	v_lshlrev_b32_e32 v32, 20, v32
	v_and_b32_e32 v30, 0x80000000, v30
	v_lshl_add_u32 v23, v23, 23, v38
	v_or3_b32 v32, v30, v23, v32
.LBB646_81:                             ;   in Loop: Header=BB646_17 Depth=1
	s_or_b64 exec, exec, s[10:11]
.LBB646_82:                             ;   in Loop: Header=BB646_17 Depth=1
	s_or_b64 exec, exec, s[6:7]
.LBB646_83:                             ;   in Loop: Header=BB646_17 Depth=1
	s_or_b64 exec, exec, s[4:5]
	v_cmp_lt_u32_e32 vcc, s15, v28
	v_mov_b32_e32 v42, 0
	v_mov_b32_e32 v44, 0
	s_and_saveexec_b64 s[4:5], vcc
	s_cbranch_execz .LBB646_89
; %bb.84:                               ;   in Loop: Header=BB646_17 Depth=1
	v_lshrrev_b32_e32 v30, 24, v28
	v_cmp_ne_u32_e32 vcc, s13, v30
	v_bfrev_b32_e32 v44, 1
	s_and_saveexec_b64 s[6:7], vcc
	s_cbranch_execz .LBB646_88
; %bb.85:                               ;   in Loop: Header=BB646_17 Depth=1
	v_bfe_u32 v23, v28, 24, 7
	v_cmp_ne_u32_e32 vcc, s14, v23
	v_mov_b32_e32 v44, 0x7f800001
	s_and_saveexec_b64 s[10:11], vcc
	s_cbranch_execz .LBB646_87
; %bb.86:                               ;   in Loop: Header=BB646_17 Depth=1
	v_and_b32_e32 v28, 7, v30
	v_ffbh_u32_e32 v52, v28
	v_min_u32_e32 v54, 32, v52
	v_subrev_u32_e32 v52, 28, v54
	v_lshlrev_b64 v[52:53], v52, v[30:31]
	v_lshrrev_b32_e32 v44, 3, v23
	v_sub_u32_e32 v53, 29, v54
	v_and_b32_e32 v52, 7, v52
	v_cmp_gt_u32_e32 vcc, 8, v23
	v_cndmask_b32_e32 v23, v44, v53, vcc
	v_cndmask_b32_e32 v28, v28, v52, vcc
	v_lshlrev_b32_e32 v30, 24, v30
	v_lshlrev_b32_e32 v28, 20, v28
	v_and_b32_e32 v30, 0x80000000, v30
	v_lshl_add_u32 v23, v23, 23, v38
	v_or3_b32 v44, v30, v23, v28
.LBB646_87:                             ;   in Loop: Header=BB646_17 Depth=1
	s_or_b64 exec, exec, s[10:11]
.LBB646_88:                             ;   in Loop: Header=BB646_17 Depth=1
	s_or_b64 exec, exec, s[6:7]
.LBB646_89:                             ;   in Loop: Header=BB646_17 Depth=1
	s_or_b64 exec, exec, s[4:5]
	s_waitcnt vmcnt(0)
	v_cmp_ne_u16_sdwa s[6:7], v26, v35 src0_sel:BYTE_0 src1_sel:DWORD
	s_and_saveexec_b64 s[4:5], s[6:7]
	s_cbranch_execz .LBB646_95
; %bb.90:                               ;   in Loop: Header=BB646_17 Depth=1
	v_cmp_ne_u16_sdwa s[10:11], v26, s13 src0_sel:BYTE_0 src1_sel:DWORD
	v_bfrev_b32_e32 v42, 1
	s_and_saveexec_b64 s[6:7], s[10:11]
	s_cbranch_execz .LBB646_94
; %bb.91:                               ;   in Loop: Header=BB646_17 Depth=1
	v_and_b32_e32 v23, 0x7f, v26
	v_cmp_ne_u32_e32 vcc, s14, v23
	v_mov_b32_e32 v42, 0x7f800001
	s_and_saveexec_b64 s[10:11], vcc
	s_cbranch_execz .LBB646_93
; %bb.92:                               ;   in Loop: Header=BB646_17 Depth=1
	v_and_b32_e32 v28, 7, v26
	v_ffbh_u32_e32 v42, v28
	v_min_u32_e32 v42, 32, v42
	v_subrev_u32_e32 v52, 28, v42
	v_lshlrev_b64 v[52:53], v52, v[26:27]
	v_lshrrev_b32_e32 v30, 3, v23
	v_sub_u32_e32 v42, 29, v42
	v_and_b32_e32 v52, 7, v52
	v_cmp_gt_u32_e32 vcc, 8, v23
	v_cndmask_b32_e32 v23, v30, v42, vcc
	v_cndmask_b32_e32 v28, v28, v52, vcc
	v_lshlrev_b32_e32 v30, 24, v26
	v_lshlrev_b32_e32 v28, 20, v28
	v_and_b32_e32 v30, 0x80000000, v30
	v_lshl_add_u32 v23, v23, 23, v38
	v_or3_b32 v42, v30, v23, v28
.LBB646_93:                             ;   in Loop: Header=BB646_17 Depth=1
	s_or_b64 exec, exec, s[10:11]
.LBB646_94:                             ;   in Loop: Header=BB646_17 Depth=1
	s_or_b64 exec, exec, s[6:7]
.LBB646_95:                             ;   in Loop: Header=BB646_17 Depth=1
	s_or_b64 exec, exec, s[4:5]
	v_lshrrev_b16_e32 v28, 8, v26
	v_cmp_ne_u16_e32 vcc, 0, v28
	v_mov_b32_e32 v52, 0
	v_mov_b32_e32 v53, 0
	s_and_saveexec_b64 s[4:5], vcc
	s_cbranch_execz .LBB646_101
; %bb.96:                               ;   in Loop: Header=BB646_17 Depth=1
	v_cmp_ne_u16_e32 vcc, s13, v28
	v_bfrev_b32_e32 v53, 1
	s_and_saveexec_b64 s[6:7], vcc
	s_cbranch_execz .LBB646_100
; %bb.97:                               ;   in Loop: Header=BB646_17 Depth=1
	v_and_b32_e32 v23, 0x7f, v28
	v_cmp_ne_u32_e32 vcc, s14, v23
	v_mov_b32_e32 v53, 0x7f800001
	s_and_saveexec_b64 s[10:11], vcc
	s_cbranch_execz .LBB646_99
; %bb.98:                               ;   in Loop: Header=BB646_17 Depth=1
	v_and_b32_e32 v30, 7, v28
	v_ffbh_u32_e32 v54, v30
	v_min_u32_e32 v56, 32, v54
	v_subrev_u32_e32 v54, 28, v56
	v_lshlrev_b64 v[54:55], v54, v[28:29]
	v_lshrrev_b32_e32 v53, 3, v23
	v_sub_u32_e32 v28, 29, v56
	v_and_b32_e32 v54, 7, v54
	v_cmp_gt_u32_e32 vcc, 8, v23
	v_cndmask_b32_e32 v23, v53, v28, vcc
	v_cndmask_b32_e32 v28, v30, v54, vcc
	v_lshlrev_b32_e32 v30, 16, v26
	v_lshlrev_b32_e32 v28, 20, v28
	v_and_b32_e32 v30, 0x80000000, v30
	v_lshl_add_u32 v23, v23, 23, v38
	v_or3_b32 v53, v30, v23, v28
.LBB646_99:                             ;   in Loop: Header=BB646_17 Depth=1
	s_or_b64 exec, exec, s[10:11]
.LBB646_100:                            ;   in Loop: Header=BB646_17 Depth=1
	s_or_b64 exec, exec, s[6:7]
.LBB646_101:                            ;   in Loop: Header=BB646_17 Depth=1
	s_or_b64 exec, exec, s[4:5]
	v_lshrrev_b32_e32 v28, 16, v26
	v_cmp_ne_u16_sdwa s[6:7], v28, v35 src0_sel:BYTE_0 src1_sel:DWORD
	s_and_saveexec_b64 s[4:5], s[6:7]
	s_cbranch_execz .LBB646_107
; %bb.102:                              ;   in Loop: Header=BB646_17 Depth=1
	v_cmp_ne_u16_sdwa s[10:11], v28, s13 src0_sel:BYTE_0 src1_sel:DWORD
	v_bfrev_b32_e32 v52, 1
	s_and_saveexec_b64 s[6:7], s[10:11]
	s_cbranch_execz .LBB646_106
; %bb.103:                              ;   in Loop: Header=BB646_17 Depth=1
	v_bfe_u32 v23, v26, 16, 7
	v_cmp_ne_u32_e32 vcc, s14, v23
	v_mov_b32_e32 v52, 0x7f800001
	s_and_saveexec_b64 s[10:11], vcc
	s_cbranch_execz .LBB646_105
; %bb.104:                              ;   in Loop: Header=BB646_17 Depth=1
	v_and_b32_e32 v30, 7, v28
	v_ffbh_u32_e32 v54, v30
	v_min_u32_e32 v56, 32, v54
	v_subrev_u32_e32 v54, 28, v56
	v_lshlrev_b64 v[54:55], v54, v[28:29]
	v_lshrrev_b32_e32 v52, 3, v23
	v_sub_u32_e32 v55, 29, v56
	v_and_b32_e32 v54, 7, v54
	v_cmp_gt_u32_e32 vcc, 8, v23
	v_cndmask_b32_e32 v23, v52, v55, vcc
	v_cndmask_b32_e32 v30, v30, v54, vcc
	v_lshlrev_b32_e32 v28, 24, v28
	v_lshlrev_b32_e32 v30, 20, v30
	v_and_b32_e32 v28, 0x80000000, v28
	v_lshl_add_u32 v23, v23, 23, v38
	v_or3_b32 v52, v28, v23, v30
.LBB646_105:                            ;   in Loop: Header=BB646_17 Depth=1
	s_or_b64 exec, exec, s[10:11]
.LBB646_106:                            ;   in Loop: Header=BB646_17 Depth=1
	s_or_b64 exec, exec, s[6:7]
.LBB646_107:                            ;   in Loop: Header=BB646_17 Depth=1
	s_or_b64 exec, exec, s[4:5]
	v_cmp_lt_u32_e32 vcc, s15, v26
	v_mov_b32_e32 v23, 0
	v_mov_b32_e32 v54, 0
	s_and_saveexec_b64 s[4:5], vcc
	s_cbranch_execz .LBB646_113
; %bb.108:                              ;   in Loop: Header=BB646_17 Depth=1
	v_lshrrev_b32_e32 v28, 24, v26
	v_cmp_ne_u32_e32 vcc, s13, v28
	v_bfrev_b32_e32 v54, 1
	s_and_saveexec_b64 s[6:7], vcc
	s_cbranch_execz .LBB646_112
; %bb.109:                              ;   in Loop: Header=BB646_17 Depth=1
	v_bfe_u32 v26, v26, 24, 7
	v_cmp_ne_u32_e32 vcc, s14, v26
	v_mov_b32_e32 v54, 0x7f800001
	s_and_saveexec_b64 s[10:11], vcc
	s_cbranch_execz .LBB646_111
; %bb.110:                              ;   in Loop: Header=BB646_17 Depth=1
	v_and_b32_e32 v30, 7, v28
	v_ffbh_u32_e32 v54, v30
	v_min_u32_e32 v57, 32, v54
	v_subrev_u32_e32 v54, 28, v57
	v_lshlrev_b64 v[54:55], v54, v[28:29]
	v_lshrrev_b32_e32 v56, 3, v26
	v_sub_u32_e32 v55, 29, v57
	v_and_b32_e32 v54, 7, v54
	v_cmp_gt_u32_e32 vcc, 8, v26
	v_cndmask_b32_e32 v26, v56, v55, vcc
	v_cndmask_b32_e32 v30, v30, v54, vcc
	v_lshlrev_b32_e32 v28, 24, v28
	v_lshlrev_b32_e32 v30, 20, v30
	v_and_b32_e32 v28, 0x80000000, v28
	v_lshl_add_u32 v26, v26, 23, v38
	v_or3_b32 v54, v28, v26, v30
.LBB646_111:                            ;   in Loop: Header=BB646_17 Depth=1
	s_or_b64 exec, exec, s[10:11]
.LBB646_112:                            ;   in Loop: Header=BB646_17 Depth=1
	s_or_b64 exec, exec, s[6:7]
.LBB646_113:                            ;   in Loop: Header=BB646_17 Depth=1
	s_or_b64 exec, exec, s[4:5]
	v_cvt_pkrtz_f16_f32 v57, v32, v44
	buffer_load_dword v32, v36, s[0:3], 0 offen offset:16
	buffer_load_dword v30, v36, s[0:3], 0 offen offset:20
	;; [unrolled: 1-line block ×4, first 2 shown]
	v_cvt_pkrtz_f16_f32 v56, v34, v40
	s_waitcnt vmcnt(3)
	v_cmp_ne_u16_sdwa s[6:7], v32, v35 src0_sel:BYTE_0 src1_sel:DWORD
	v_mfma_f32_16x16x16f16 v[18:21], v[56:57], v[6:7], v[18:21]
	v_cvt_pkrtz_f16_f32 v56, v42, v53
	v_cvt_pkrtz_f16_f32 v57, v52, v54
	s_nop 1
	v_mfma_f32_16x16x16f16 v[18:21], v[56:57], v[8:9], v[18:21]
	s_and_saveexec_b64 s[4:5], s[6:7]
	s_cbranch_execz .LBB646_119
; %bb.114:                              ;   in Loop: Header=BB646_17 Depth=1
	v_cmp_ne_u16_sdwa s[10:11], v32, s13 src0_sel:BYTE_0 src1_sel:DWORD
	v_bfrev_b32_e32 v23, 1
	s_and_saveexec_b64 s[6:7], s[10:11]
	s_cbranch_execz .LBB646_118
; %bb.115:                              ;   in Loop: Header=BB646_17 Depth=1
	v_and_b32_e32 v34, 0x7f, v32
	v_cmp_ne_u32_e32 vcc, s14, v34
	v_mov_b32_e32 v23, 0x7f800001
	s_and_saveexec_b64 s[10:11], vcc
	s_cbranch_execz .LBB646_117
; %bb.116:                              ;   in Loop: Header=BB646_17 Depth=1
	v_and_b32_e32 v23, 7, v32
	v_ffbh_u32_e32 v42, v23
	v_min_u32_e32 v42, 32, v42
	v_subrev_u32_e32 v44, 28, v42
	v_lshlrev_b64 v[52:53], v44, v[32:33]
	v_lshrrev_b32_e32 v40, 3, v34
	v_sub_u32_e32 v42, 29, v42
	v_and_b32_e32 v44, 7, v52
	v_cmp_gt_u32_e32 vcc, 8, v34
	v_cndmask_b32_e32 v34, v40, v42, vcc
	v_cndmask_b32_e32 v23, v23, v44, vcc
	v_lshlrev_b32_e32 v40, 24, v32
	v_lshlrev_b32_e32 v23, 20, v23
	v_and_b32_e32 v40, 0x80000000, v40
	v_lshl_add_u32 v34, v34, 23, v38
	v_or3_b32 v23, v40, v34, v23
.LBB646_117:                            ;   in Loop: Header=BB646_17 Depth=1
	s_or_b64 exec, exec, s[10:11]
.LBB646_118:                            ;   in Loop: Header=BB646_17 Depth=1
	s_or_b64 exec, exec, s[6:7]
.LBB646_119:                            ;   in Loop: Header=BB646_17 Depth=1
	s_or_b64 exec, exec, s[4:5]
	v_lshrrev_b16_e32 v34, 8, v32
	v_cmp_ne_u16_e32 vcc, 0, v34
	v_mov_b32_e32 v40, 0
	v_mov_b32_e32 v42, 0
	s_and_saveexec_b64 s[4:5], vcc
	s_cbranch_execz .LBB646_125
; %bb.120:                              ;   in Loop: Header=BB646_17 Depth=1
	v_cmp_ne_u16_e32 vcc, s13, v34
	v_bfrev_b32_e32 v42, 1
	s_and_saveexec_b64 s[6:7], vcc
	s_cbranch_execz .LBB646_124
; %bb.121:                              ;   in Loop: Header=BB646_17 Depth=1
	v_and_b32_e32 v44, 0x7f, v34
	v_cmp_ne_u32_e32 vcc, s14, v44
	v_mov_b32_e32 v42, 0x7f800001
	s_and_saveexec_b64 s[10:11], vcc
	s_cbranch_execz .LBB646_123
; %bb.122:                              ;   in Loop: Header=BB646_17 Depth=1
	v_and_b32_e32 v42, 7, v34
	v_ffbh_u32_e32 v52, v42
	v_min_u32_e32 v55, 32, v52
	v_subrev_u32_e32 v52, 28, v55
	v_lshlrev_b64 v[52:53], v52, v[34:35]
	v_lshrrev_b32_e32 v54, 3, v44
	v_sub_u32_e32 v34, 29, v55
	v_and_b32_e32 v52, 7, v52
	v_cmp_gt_u32_e32 vcc, 8, v44
	v_cndmask_b32_e32 v34, v54, v34, vcc
	v_cndmask_b32_e32 v42, v42, v52, vcc
	v_lshlrev_b32_e32 v44, 16, v32
	v_lshlrev_b32_e32 v42, 20, v42
	v_and_b32_e32 v44, 0x80000000, v44
	v_lshl_add_u32 v34, v34, 23, v38
	v_or3_b32 v42, v44, v34, v42
.LBB646_123:                            ;   in Loop: Header=BB646_17 Depth=1
	s_or_b64 exec, exec, s[10:11]
.LBB646_124:                            ;   in Loop: Header=BB646_17 Depth=1
	s_or_b64 exec, exec, s[6:7]
.LBB646_125:                            ;   in Loop: Header=BB646_17 Depth=1
	s_or_b64 exec, exec, s[4:5]
	v_lshrrev_b32_e32 v34, 16, v32
	v_cmp_ne_u16_sdwa s[6:7], v34, v35 src0_sel:BYTE_0 src1_sel:DWORD
	s_and_saveexec_b64 s[4:5], s[6:7]
	s_cbranch_execz .LBB646_131
; %bb.126:                              ;   in Loop: Header=BB646_17 Depth=1
	v_cmp_ne_u16_sdwa s[10:11], v34, s13 src0_sel:BYTE_0 src1_sel:DWORD
	v_bfrev_b32_e32 v40, 1
	s_and_saveexec_b64 s[6:7], s[10:11]
	s_cbranch_execz .LBB646_130
; %bb.127:                              ;   in Loop: Header=BB646_17 Depth=1
	v_bfe_u32 v44, v32, 16, 7
	v_cmp_ne_u32_e32 vcc, s14, v44
	v_mov_b32_e32 v40, 0x7f800001
	s_and_saveexec_b64 s[10:11], vcc
	s_cbranch_execz .LBB646_129
; %bb.128:                              ;   in Loop: Header=BB646_17 Depth=1
	v_and_b32_e32 v40, 7, v34
	v_ffbh_u32_e32 v52, v40
	v_min_u32_e32 v55, 32, v52
	v_subrev_u32_e32 v52, 28, v55
	v_lshlrev_b64 v[52:53], v52, v[34:35]
	v_lshrrev_b32_e32 v54, 3, v44
	v_sub_u32_e32 v53, 29, v55
	v_and_b32_e32 v52, 7, v52
	v_cmp_gt_u32_e32 vcc, 8, v44
	v_cndmask_b32_e32 v44, v54, v53, vcc
	v_cndmask_b32_e32 v40, v40, v52, vcc
	v_lshlrev_b32_e32 v34, 24, v34
	v_lshlrev_b32_e32 v40, 20, v40
	v_and_b32_e32 v34, 0x80000000, v34
	v_lshl_add_u32 v44, v44, 23, v38
	v_or3_b32 v40, v34, v44, v40
.LBB646_129:                            ;   in Loop: Header=BB646_17 Depth=1
	s_or_b64 exec, exec, s[10:11]
.LBB646_130:                            ;   in Loop: Header=BB646_17 Depth=1
	s_or_b64 exec, exec, s[6:7]
.LBB646_131:                            ;   in Loop: Header=BB646_17 Depth=1
	s_or_b64 exec, exec, s[4:5]
	v_cmp_lt_u32_e32 vcc, s15, v32
	v_mov_b32_e32 v44, 0
	v_mov_b32_e32 v52, 0
	s_and_saveexec_b64 s[4:5], vcc
	s_cbranch_execz .LBB646_137
; %bb.132:                              ;   in Loop: Header=BB646_17 Depth=1
	v_lshrrev_b32_e32 v34, 24, v32
	v_cmp_ne_u32_e32 vcc, s13, v34
	v_bfrev_b32_e32 v52, 1
	s_and_saveexec_b64 s[6:7], vcc
	s_cbranch_execz .LBB646_136
; %bb.133:                              ;   in Loop: Header=BB646_17 Depth=1
	v_bfe_u32 v32, v32, 24, 7
	v_cmp_ne_u32_e32 vcc, s14, v32
	v_mov_b32_e32 v52, 0x7f800001
	s_and_saveexec_b64 s[10:11], vcc
	s_cbranch_execz .LBB646_135
; %bb.134:                              ;   in Loop: Header=BB646_17 Depth=1
	v_and_b32_e32 v54, 7, v34
	v_ffbh_u32_e32 v52, v54
	v_min_u32_e32 v56, 32, v52
	v_subrev_u32_e32 v52, 28, v56
	v_lshlrev_b64 v[52:53], v52, v[34:35]
	v_lshrrev_b32_e32 v55, 3, v32
	v_sub_u32_e32 v53, 29, v56
	v_and_b32_e32 v52, 7, v52
	v_cmp_gt_u32_e32 vcc, 8, v32
	v_cndmask_b32_e32 v32, v55, v53, vcc
	v_cndmask_b32_e32 v52, v54, v52, vcc
	v_lshlrev_b32_e32 v34, 24, v34
	v_lshlrev_b32_e32 v52, 20, v52
	v_and_b32_e32 v34, 0x80000000, v34
	v_lshl_add_u32 v32, v32, 23, v38
	v_or3_b32 v52, v34, v32, v52
.LBB646_135:                            ;   in Loop: Header=BB646_17 Depth=1
	s_or_b64 exec, exec, s[10:11]
.LBB646_136:                            ;   in Loop: Header=BB646_17 Depth=1
	s_or_b64 exec, exec, s[6:7]
.LBB646_137:                            ;   in Loop: Header=BB646_17 Depth=1
	s_or_b64 exec, exec, s[4:5]
	s_waitcnt vmcnt(2)
	v_cmp_ne_u16_sdwa s[6:7], v30, v35 src0_sel:BYTE_0 src1_sel:DWORD
	s_and_saveexec_b64 s[4:5], s[6:7]
	s_cbranch_execz .LBB646_143
; %bb.138:                              ;   in Loop: Header=BB646_17 Depth=1
	v_cmp_ne_u16_sdwa s[10:11], v30, s13 src0_sel:BYTE_0 src1_sel:DWORD
	v_bfrev_b32_e32 v44, 1
	s_and_saveexec_b64 s[6:7], s[10:11]
	s_cbranch_execz .LBB646_142
; %bb.139:                              ;   in Loop: Header=BB646_17 Depth=1
	v_and_b32_e32 v32, 0x7f, v30
	v_cmp_ne_u32_e32 vcc, s14, v32
	v_mov_b32_e32 v44, 0x7f800001
	s_and_saveexec_b64 s[10:11], vcc
	s_cbranch_execz .LBB646_141
; %bb.140:                              ;   in Loop: Header=BB646_17 Depth=1
	v_and_b32_e32 v34, 7, v30
	v_ffbh_u32_e32 v53, v34
	v_min_u32_e32 v53, 32, v53
	v_subrev_u32_e32 v54, 28, v53
	v_lshlrev_b64 v[54:55], v54, v[30:31]
	v_lshrrev_b32_e32 v44, 3, v32
	v_sub_u32_e32 v53, 29, v53
	v_and_b32_e32 v54, 7, v54
	v_cmp_gt_u32_e32 vcc, 8, v32
	v_cndmask_b32_e32 v32, v44, v53, vcc
	v_cndmask_b32_e32 v34, v34, v54, vcc
	v_lshlrev_b32_e32 v44, 24, v30
	v_lshlrev_b32_e32 v34, 20, v34
	v_and_b32_e32 v44, 0x80000000, v44
	v_lshl_add_u32 v32, v32, 23, v38
	v_or3_b32 v44, v44, v32, v34
.LBB646_141:                            ;   in Loop: Header=BB646_17 Depth=1
	s_or_b64 exec, exec, s[10:11]
.LBB646_142:                            ;   in Loop: Header=BB646_17 Depth=1
	s_or_b64 exec, exec, s[6:7]
.LBB646_143:                            ;   in Loop: Header=BB646_17 Depth=1
	s_or_b64 exec, exec, s[4:5]
	v_lshrrev_b16_e32 v32, 8, v30
	v_cmp_ne_u16_e32 vcc, 0, v32
	v_mov_b32_e32 v53, 0
	v_mov_b32_e32 v54, 0
	s_and_saveexec_b64 s[4:5], vcc
	s_cbranch_execz .LBB646_149
; %bb.144:                              ;   in Loop: Header=BB646_17 Depth=1
	v_cmp_ne_u16_e32 vcc, s13, v32
	v_bfrev_b32_e32 v54, 1
	s_and_saveexec_b64 s[6:7], vcc
	s_cbranch_execz .LBB646_148
; %bb.145:                              ;   in Loop: Header=BB646_17 Depth=1
	v_and_b32_e32 v34, 0x7f, v32
	v_cmp_ne_u32_e32 vcc, s14, v34
	v_mov_b32_e32 v54, 0x7f800001
	s_and_saveexec_b64 s[10:11], vcc
	s_cbranch_execz .LBB646_147
; %bb.146:                              ;   in Loop: Header=BB646_17 Depth=1
	v_and_b32_e32 v56, 7, v32
	v_ffbh_u32_e32 v54, v56
	v_min_u32_e32 v58, 32, v54
	v_subrev_u32_e32 v54, 28, v58
	v_lshlrev_b64 v[54:55], v54, v[32:33]
	v_lshrrev_b32_e32 v57, 3, v34
	v_sub_u32_e32 v32, 29, v58
	v_and_b32_e32 v54, 7, v54
	v_cmp_gt_u32_e32 vcc, 8, v34
	v_cndmask_b32_e32 v32, v57, v32, vcc
	v_cndmask_b32_e32 v34, v56, v54, vcc
	v_lshlrev_b32_e32 v54, 16, v30
	v_lshlrev_b32_e32 v34, 20, v34
	v_and_b32_e32 v54, 0x80000000, v54
	v_lshl_add_u32 v32, v32, 23, v38
	v_or3_b32 v54, v54, v32, v34
.LBB646_147:                            ;   in Loop: Header=BB646_17 Depth=1
	s_or_b64 exec, exec, s[10:11]
.LBB646_148:                            ;   in Loop: Header=BB646_17 Depth=1
	s_or_b64 exec, exec, s[6:7]
.LBB646_149:                            ;   in Loop: Header=BB646_17 Depth=1
	s_or_b64 exec, exec, s[4:5]
	v_lshrrev_b32_e32 v32, 16, v30
	v_cmp_ne_u16_sdwa s[6:7], v32, v35 src0_sel:BYTE_0 src1_sel:DWORD
	s_and_saveexec_b64 s[4:5], s[6:7]
	s_cbranch_execz .LBB646_155
; %bb.150:                              ;   in Loop: Header=BB646_17 Depth=1
	v_cmp_ne_u16_sdwa s[10:11], v32, s13 src0_sel:BYTE_0 src1_sel:DWORD
	v_bfrev_b32_e32 v53, 1
	s_and_saveexec_b64 s[6:7], s[10:11]
	s_cbranch_execz .LBB646_154
; %bb.151:                              ;   in Loop: Header=BB646_17 Depth=1
	v_bfe_u32 v34, v30, 16, 7
	v_cmp_ne_u32_e32 vcc, s14, v34
	v_mov_b32_e32 v53, 0x7f800001
	s_and_saveexec_b64 s[10:11], vcc
	s_cbranch_execz .LBB646_153
; %bb.152:                              ;   in Loop: Header=BB646_17 Depth=1
	v_and_b32_e32 v53, 7, v32
	v_ffbh_u32_e32 v56, v53
	v_min_u32_e32 v58, 32, v56
	v_subrev_u32_e32 v56, 28, v58
	v_lshlrev_b64 v[56:57], v56, v[32:33]
	v_lshrrev_b32_e32 v55, 3, v34
	v_sub_u32_e32 v57, 29, v58
	v_and_b32_e32 v56, 7, v56
	v_cmp_gt_u32_e32 vcc, 8, v34
	v_cndmask_b32_e32 v34, v55, v57, vcc
	v_cndmask_b32_e32 v53, v53, v56, vcc
	v_lshlrev_b32_e32 v32, 24, v32
	v_lshlrev_b32_e32 v53, 20, v53
	v_and_b32_e32 v32, 0x80000000, v32
	v_lshl_add_u32 v34, v34, 23, v38
	v_or3_b32 v53, v32, v34, v53
.LBB646_153:                            ;   in Loop: Header=BB646_17 Depth=1
	s_or_b64 exec, exec, s[10:11]
.LBB646_154:                            ;   in Loop: Header=BB646_17 Depth=1
	s_or_b64 exec, exec, s[6:7]
.LBB646_155:                            ;   in Loop: Header=BB646_17 Depth=1
	s_or_b64 exec, exec, s[4:5]
	v_cmp_lt_u32_e32 vcc, s15, v30
	v_mov_b32_e32 v34, 0
	v_mov_b32_e32 v55, 0
	s_and_saveexec_b64 s[4:5], vcc
	s_cbranch_execz .LBB646_161
; %bb.156:                              ;   in Loop: Header=BB646_17 Depth=1
	v_lshrrev_b32_e32 v32, 24, v30
	v_cmp_ne_u32_e32 vcc, s13, v32
	v_bfrev_b32_e32 v55, 1
	s_and_saveexec_b64 s[6:7], vcc
	s_cbranch_execz .LBB646_160
; %bb.157:                              ;   in Loop: Header=BB646_17 Depth=1
	v_bfe_u32 v30, v30, 24, 7
	v_cmp_ne_u32_e32 vcc, s14, v30
	v_mov_b32_e32 v55, 0x7f800001
	s_and_saveexec_b64 s[10:11], vcc
	s_cbranch_execz .LBB646_159
; %bb.158:                              ;   in Loop: Header=BB646_17 Depth=1
	v_and_b32_e32 v55, 7, v32
	v_ffbh_u32_e32 v56, v55
	v_min_u32_e32 v59, 32, v56
	v_subrev_u32_e32 v56, 28, v59
	v_lshlrev_b64 v[56:57], v56, v[32:33]
	v_lshrrev_b32_e32 v58, 3, v30
	v_sub_u32_e32 v57, 29, v59
	v_and_b32_e32 v56, 7, v56
	v_cmp_gt_u32_e32 vcc, 8, v30
	v_cndmask_b32_e32 v30, v58, v57, vcc
	v_cndmask_b32_e32 v55, v55, v56, vcc
	v_lshlrev_b32_e32 v32, 24, v32
	v_lshlrev_b32_e32 v55, 20, v55
	v_and_b32_e32 v32, 0x80000000, v32
	v_lshl_add_u32 v30, v30, 23, v38
	v_or3_b32 v55, v32, v30, v55
.LBB646_159:                            ;   in Loop: Header=BB646_17 Depth=1
	s_or_b64 exec, exec, s[10:11]
.LBB646_160:                            ;   in Loop: Header=BB646_17 Depth=1
	s_or_b64 exec, exec, s[6:7]
.LBB646_161:                            ;   in Loop: Header=BB646_17 Depth=1
	s_or_b64 exec, exec, s[4:5]
	v_cvt_pkrtz_f16_f32 v56, v23, v42
	v_cvt_pkrtz_f16_f32 v57, v40, v52
	;; [unrolled: 1-line block ×4, first 2 shown]
	s_waitcnt vmcnt(1)
	v_cmp_ne_u16_sdwa s[6:7], v28, v35 src0_sel:BYTE_0 src1_sel:DWORD
	v_mfma_f32_16x16x16f16 v[18:21], v[56:57], v[10:11], v[18:21]
	v_mfma_f32_16x16x16f16 v[18:21], v[52:53], v[12:13], v[18:21]
	s_and_saveexec_b64 s[4:5], s[6:7]
	s_cbranch_execz .LBB646_167
; %bb.162:                              ;   in Loop: Header=BB646_17 Depth=1
	v_cmp_ne_u16_sdwa s[10:11], v28, s13 src0_sel:BYTE_0 src1_sel:DWORD
	v_bfrev_b32_e32 v34, 1
	s_and_saveexec_b64 s[6:7], s[10:11]
	s_cbranch_execz .LBB646_166
; %bb.163:                              ;   in Loop: Header=BB646_17 Depth=1
	v_and_b32_e32 v23, 0x7f, v28
	v_cmp_ne_u32_e32 vcc, s14, v23
	v_mov_b32_e32 v34, 0x7f800001
	s_and_saveexec_b64 s[10:11], vcc
	s_cbranch_execz .LBB646_165
; %bb.164:                              ;   in Loop: Header=BB646_17 Depth=1
	v_and_b32_e32 v30, 7, v28
	v_ffbh_u32_e32 v34, v30
	v_min_u32_e32 v34, 32, v34
	v_subrev_u32_e32 v40, 28, v34
	v_lshlrev_b64 v[52:53], v40, v[28:29]
	v_lshrrev_b32_e32 v32, 3, v23
	v_sub_u32_e32 v34, 29, v34
	v_and_b32_e32 v40, 7, v52
	v_cmp_gt_u32_e32 vcc, 8, v23
	v_cndmask_b32_e32 v23, v32, v34, vcc
	v_cndmask_b32_e32 v30, v30, v40, vcc
	v_lshlrev_b32_e32 v32, 24, v28
	v_lshlrev_b32_e32 v30, 20, v30
	v_and_b32_e32 v32, 0x80000000, v32
	v_lshl_add_u32 v23, v23, 23, v38
	v_or3_b32 v34, v32, v23, v30
.LBB646_165:                            ;   in Loop: Header=BB646_17 Depth=1
	s_or_b64 exec, exec, s[10:11]
.LBB646_166:                            ;   in Loop: Header=BB646_17 Depth=1
	s_or_b64 exec, exec, s[6:7]
.LBB646_167:                            ;   in Loop: Header=BB646_17 Depth=1
	s_or_b64 exec, exec, s[4:5]
	v_lshrrev_b16_e32 v30, 8, v28
	v_cmp_ne_u16_e32 vcc, 0, v30
	v_mov_b32_e32 v23, 0
	v_mov_b32_e32 v32, 0
	s_and_saveexec_b64 s[4:5], vcc
	s_cbranch_execz .LBB646_173
; %bb.168:                              ;   in Loop: Header=BB646_17 Depth=1
	v_cmp_ne_u16_e32 vcc, s13, v30
	v_bfrev_b32_e32 v32, 1
	s_and_saveexec_b64 s[6:7], vcc
	s_cbranch_execz .LBB646_172
; %bb.169:                              ;   in Loop: Header=BB646_17 Depth=1
	v_and_b32_e32 v40, 0x7f, v30
	v_cmp_ne_u32_e32 vcc, s14, v40
	v_mov_b32_e32 v32, 0x7f800001
	s_and_saveexec_b64 s[10:11], vcc
	s_cbranch_execz .LBB646_171
; %bb.170:                              ;   in Loop: Header=BB646_17 Depth=1
	v_and_b32_e32 v32, 7, v30
	v_ffbh_u32_e32 v44, v32
	v_min_u32_e32 v44, 32, v44
	v_subrev_u32_e32 v52, 28, v44
	v_lshlrev_b64 v[52:53], v52, v[30:31]
	v_lshrrev_b32_e32 v42, 3, v40
	v_sub_u32_e32 v30, 29, v44
	v_and_b32_e32 v44, 7, v52
	v_cmp_gt_u32_e32 vcc, 8, v40
	v_cndmask_b32_e32 v30, v42, v30, vcc
	v_cndmask_b32_e32 v32, v32, v44, vcc
	v_lshlrev_b32_e32 v40, 16, v28
	v_lshlrev_b32_e32 v32, 20, v32
	v_and_b32_e32 v40, 0x80000000, v40
	v_lshl_add_u32 v30, v30, 23, v38
	v_or3_b32 v32, v40, v30, v32
.LBB646_171:                            ;   in Loop: Header=BB646_17 Depth=1
	s_or_b64 exec, exec, s[10:11]
.LBB646_172:                            ;   in Loop: Header=BB646_17 Depth=1
	s_or_b64 exec, exec, s[6:7]
.LBB646_173:                            ;   in Loop: Header=BB646_17 Depth=1
	s_or_b64 exec, exec, s[4:5]
	v_lshrrev_b32_e32 v30, 16, v28
	v_cmp_ne_u16_sdwa s[6:7], v30, v35 src0_sel:BYTE_0 src1_sel:DWORD
	s_and_saveexec_b64 s[4:5], s[6:7]
	s_cbranch_execz .LBB646_179
; %bb.174:                              ;   in Loop: Header=BB646_17 Depth=1
	v_cmp_ne_u16_sdwa s[10:11], v30, s13 src0_sel:BYTE_0 src1_sel:DWORD
	v_bfrev_b32_e32 v23, 1
	s_and_saveexec_b64 s[6:7], s[10:11]
	s_cbranch_execz .LBB646_178
; %bb.175:                              ;   in Loop: Header=BB646_17 Depth=1
	v_bfe_u32 v40, v28, 16, 7
	v_cmp_ne_u32_e32 vcc, s14, v40
	v_mov_b32_e32 v23, 0x7f800001
	s_and_saveexec_b64 s[10:11], vcc
	s_cbranch_execz .LBB646_177
; %bb.176:                              ;   in Loop: Header=BB646_17 Depth=1
	v_and_b32_e32 v23, 7, v30
	v_ffbh_u32_e32 v44, v23
	v_min_u32_e32 v44, 32, v44
	v_subrev_u32_e32 v52, 28, v44
	v_lshlrev_b64 v[52:53], v52, v[30:31]
	v_lshrrev_b32_e32 v42, 3, v40
	v_sub_u32_e32 v44, 29, v44
	v_and_b32_e32 v52, 7, v52
	v_cmp_gt_u32_e32 vcc, 8, v40
	v_cndmask_b32_e32 v40, v42, v44, vcc
	v_cndmask_b32_e32 v23, v23, v52, vcc
	v_lshlrev_b32_e32 v30, 24, v30
	v_lshlrev_b32_e32 v23, 20, v23
	v_and_b32_e32 v30, 0x80000000, v30
	v_lshl_add_u32 v40, v40, 23, v38
	v_or3_b32 v23, v30, v40, v23
.LBB646_177:                            ;   in Loop: Header=BB646_17 Depth=1
	s_or_b64 exec, exec, s[10:11]
.LBB646_178:                            ;   in Loop: Header=BB646_17 Depth=1
	s_or_b64 exec, exec, s[6:7]
.LBB646_179:                            ;   in Loop: Header=BB646_17 Depth=1
	s_or_b64 exec, exec, s[4:5]
	v_cmp_lt_u32_e32 vcc, s15, v28
	v_mov_b32_e32 v40, 0
	v_mov_b32_e32 v42, 0
	s_and_saveexec_b64 s[4:5], vcc
	s_cbranch_execz .LBB646_185
; %bb.180:                              ;   in Loop: Header=BB646_17 Depth=1
	v_lshrrev_b32_e32 v30, 24, v28
	v_cmp_ne_u32_e32 vcc, s13, v30
	v_bfrev_b32_e32 v42, 1
	s_and_saveexec_b64 s[6:7], vcc
	s_cbranch_execz .LBB646_184
; %bb.181:                              ;   in Loop: Header=BB646_17 Depth=1
	v_bfe_u32 v28, v28, 24, 7
	v_cmp_ne_u32_e32 vcc, s14, v28
	v_mov_b32_e32 v42, 0x7f800001
	s_and_saveexec_b64 s[10:11], vcc
	s_cbranch_execz .LBB646_183
; %bb.182:                              ;   in Loop: Header=BB646_17 Depth=1
	v_and_b32_e32 v42, 7, v30
	v_ffbh_u32_e32 v52, v42
	v_min_u32_e32 v54, 32, v52
	v_subrev_u32_e32 v52, 28, v54
	v_lshlrev_b64 v[52:53], v52, v[30:31]
	v_lshrrev_b32_e32 v44, 3, v28
	v_sub_u32_e32 v53, 29, v54
	v_and_b32_e32 v52, 7, v52
	v_cmp_gt_u32_e32 vcc, 8, v28
	v_cndmask_b32_e32 v28, v44, v53, vcc
	v_cndmask_b32_e32 v42, v42, v52, vcc
	v_lshlrev_b32_e32 v30, 24, v30
	v_lshlrev_b32_e32 v42, 20, v42
	v_and_b32_e32 v30, 0x80000000, v30
	v_lshl_add_u32 v28, v28, 23, v38
	v_or3_b32 v42, v30, v28, v42
.LBB646_183:                            ;   in Loop: Header=BB646_17 Depth=1
	s_or_b64 exec, exec, s[10:11]
.LBB646_184:                            ;   in Loop: Header=BB646_17 Depth=1
	s_or_b64 exec, exec, s[6:7]
.LBB646_185:                            ;   in Loop: Header=BB646_17 Depth=1
	s_or_b64 exec, exec, s[4:5]
	s_waitcnt vmcnt(0)
	v_cmp_ne_u16_sdwa s[6:7], v26, v35 src0_sel:BYTE_0 src1_sel:DWORD
	s_and_saveexec_b64 s[4:5], s[6:7]
	s_cbranch_execz .LBB646_191
; %bb.186:                              ;   in Loop: Header=BB646_17 Depth=1
	v_cmp_ne_u16_sdwa s[10:11], v26, s13 src0_sel:BYTE_0 src1_sel:DWORD
	v_bfrev_b32_e32 v40, 1
	s_and_saveexec_b64 s[6:7], s[10:11]
	s_cbranch_execz .LBB646_190
; %bb.187:                              ;   in Loop: Header=BB646_17 Depth=1
	v_and_b32_e32 v28, 0x7f, v26
	v_cmp_ne_u32_e32 vcc, s14, v28
	v_mov_b32_e32 v40, 0x7f800001
	s_and_saveexec_b64 s[10:11], vcc
	s_cbranch_execz .LBB646_189
; %bb.188:                              ;   in Loop: Header=BB646_17 Depth=1
	v_and_b32_e32 v30, 7, v26
	v_ffbh_u32_e32 v44, v30
	v_min_u32_e32 v44, 32, v44
	v_subrev_u32_e32 v52, 28, v44
	v_lshlrev_b64 v[52:53], v52, v[26:27]
	v_lshrrev_b32_e32 v40, 3, v28
	v_sub_u32_e32 v44, 29, v44
	v_and_b32_e32 v52, 7, v52
	v_cmp_gt_u32_e32 vcc, 8, v28
	v_cndmask_b32_e32 v28, v40, v44, vcc
	v_cndmask_b32_e32 v30, v30, v52, vcc
	v_lshlrev_b32_e32 v40, 24, v26
	v_lshlrev_b32_e32 v30, 20, v30
	v_and_b32_e32 v40, 0x80000000, v40
	v_lshl_add_u32 v28, v28, 23, v38
	v_or3_b32 v40, v40, v28, v30
.LBB646_189:                            ;   in Loop: Header=BB646_17 Depth=1
	s_or_b64 exec, exec, s[10:11]
.LBB646_190:                            ;   in Loop: Header=BB646_17 Depth=1
	s_or_b64 exec, exec, s[6:7]
.LBB646_191:                            ;   in Loop: Header=BB646_17 Depth=1
	s_or_b64 exec, exec, s[4:5]
	v_lshrrev_b16_e32 v28, 8, v26
	v_cmp_ne_u16_e32 vcc, 0, v28
	v_mov_b32_e32 v30, 0
	v_mov_b32_e32 v44, 0
	s_and_saveexec_b64 s[4:5], vcc
	s_cbranch_execz .LBB646_197
; %bb.192:                              ;   in Loop: Header=BB646_17 Depth=1
	v_cmp_ne_u16_e32 vcc, s13, v28
	v_bfrev_b32_e32 v44, 1
	s_and_saveexec_b64 s[6:7], vcc
	s_cbranch_execz .LBB646_196
; %bb.193:                              ;   in Loop: Header=BB646_17 Depth=1
	v_and_b32_e32 v52, 0x7f, v28
	v_cmp_ne_u32_e32 vcc, s14, v52
	v_mov_b32_e32 v44, 0x7f800001
	s_and_saveexec_b64 s[10:11], vcc
	s_cbranch_execz .LBB646_195
; %bb.194:                              ;   in Loop: Header=BB646_17 Depth=1
	v_and_b32_e32 v44, 7, v28
	v_ffbh_u32_e32 v54, v44
	v_min_u32_e32 v56, 32, v54
	v_subrev_u32_e32 v54, 28, v56
	v_lshlrev_b64 v[54:55], v54, v[28:29]
	v_lshrrev_b32_e32 v53, 3, v52
	v_sub_u32_e32 v28, 29, v56
	v_and_b32_e32 v54, 7, v54
	v_cmp_gt_u32_e32 vcc, 8, v52
	v_cndmask_b32_e32 v28, v53, v28, vcc
	v_cndmask_b32_e32 v44, v44, v54, vcc
	v_lshlrev_b32_e32 v52, 16, v26
	v_lshlrev_b32_e32 v44, 20, v44
	v_and_b32_e32 v52, 0x80000000, v52
	v_lshl_add_u32 v28, v28, 23, v38
	v_or3_b32 v44, v52, v28, v44
.LBB646_195:                            ;   in Loop: Header=BB646_17 Depth=1
	s_or_b64 exec, exec, s[10:11]
.LBB646_196:                            ;   in Loop: Header=BB646_17 Depth=1
	s_or_b64 exec, exec, s[6:7]
.LBB646_197:                            ;   in Loop: Header=BB646_17 Depth=1
	s_or_b64 exec, exec, s[4:5]
	v_lshrrev_b32_e32 v28, 16, v26
	v_cmp_ne_u16_sdwa s[6:7], v28, v35 src0_sel:BYTE_0 src1_sel:DWORD
	s_and_saveexec_b64 s[4:5], s[6:7]
	s_cbranch_execz .LBB646_203
; %bb.198:                              ;   in Loop: Header=BB646_17 Depth=1
	v_cmp_ne_u16_sdwa s[10:11], v28, s13 src0_sel:BYTE_0 src1_sel:DWORD
	v_bfrev_b32_e32 v30, 1
	s_and_saveexec_b64 s[6:7], s[10:11]
	s_cbranch_execz .LBB646_202
; %bb.199:                              ;   in Loop: Header=BB646_17 Depth=1
	v_bfe_u32 v52, v26, 16, 7
	v_cmp_ne_u32_e32 vcc, s14, v52
	v_mov_b32_e32 v30, 0x7f800001
	s_and_saveexec_b64 s[10:11], vcc
	s_cbranch_execz .LBB646_201
; %bb.200:                              ;   in Loop: Header=BB646_17 Depth=1
	v_and_b32_e32 v30, 7, v28
	v_ffbh_u32_e32 v54, v30
	v_min_u32_e32 v56, 32, v54
	v_subrev_u32_e32 v54, 28, v56
	v_lshlrev_b64 v[54:55], v54, v[28:29]
	v_lshrrev_b32_e32 v53, 3, v52
	v_sub_u32_e32 v55, 29, v56
	v_and_b32_e32 v54, 7, v54
	v_cmp_gt_u32_e32 vcc, 8, v52
	v_cndmask_b32_e32 v52, v53, v55, vcc
	v_cndmask_b32_e32 v30, v30, v54, vcc
	v_lshlrev_b32_e32 v28, 24, v28
	v_lshlrev_b32_e32 v30, 20, v30
	v_and_b32_e32 v28, 0x80000000, v28
	v_lshl_add_u32 v52, v52, 23, v38
	v_or3_b32 v30, v28, v52, v30
.LBB646_201:                            ;   in Loop: Header=BB646_17 Depth=1
	s_or_b64 exec, exec, s[10:11]
.LBB646_202:                            ;   in Loop: Header=BB646_17 Depth=1
	s_or_b64 exec, exec, s[6:7]
.LBB646_203:                            ;   in Loop: Header=BB646_17 Depth=1
	s_or_b64 exec, exec, s[4:5]
	v_cmp_lt_u32_e32 vcc, s15, v26
	v_mov_b32_e32 v52, 0
	s_and_saveexec_b64 s[4:5], vcc
	s_cbranch_execz .LBB646_16
; %bb.204:                              ;   in Loop: Header=BB646_17 Depth=1
	v_lshrrev_b32_e32 v28, 24, v26
	v_cmp_ne_u32_e32 vcc, s13, v28
	v_bfrev_b32_e32 v52, 1
	s_and_saveexec_b64 s[6:7], vcc
	s_cbranch_execz .LBB646_15
; %bb.205:                              ;   in Loop: Header=BB646_17 Depth=1
	v_bfe_u32 v26, v26, 24, 7
	v_cmp_ne_u32_e32 vcc, s14, v26
	v_mov_b32_e32 v52, 0x7f800001
	s_and_saveexec_b64 s[10:11], vcc
	s_cbranch_execz .LBB646_14
; %bb.206:                              ;   in Loop: Header=BB646_17 Depth=1
	v_and_b32_e32 v54, 7, v28
	v_ffbh_u32_e32 v52, v54
	v_min_u32_e32 v56, 32, v52
	v_subrev_u32_e32 v52, 28, v56
	v_lshlrev_b64 v[52:53], v52, v[28:29]
	v_lshrrev_b32_e32 v55, 3, v26
	v_sub_u32_e32 v53, 29, v56
	v_and_b32_e32 v52, 7, v52
	v_cmp_gt_u32_e32 vcc, 8, v26
	v_cndmask_b32_e32 v26, v55, v53, vcc
	v_cndmask_b32_e32 v52, v54, v52, vcc
	v_lshlrev_b32_e32 v28, 24, v28
	v_lshlrev_b32_e32 v52, 20, v52
	v_and_b32_e32 v28, 0x80000000, v28
	v_lshl_add_u32 v26, v26, 23, v38
	v_or3_b32 v52, v28, v26, v52
	s_branch .LBB646_14
.LBB646_207:
	buffer_load_dword v17, off, s[0:3], 0 offset:256
	buffer_load_dword v16, off, s[0:3], 0 offset:260
	;; [unrolled: 1-line block ×16, first 2 shown]
	v_and_b32_e32 v18, 0xc0, v0
	v_add_u32_e32 v18, s20, v18
	v_lshl_or_b32 v18, v1, 2, v18
	v_or_b32_e32 v20, 1, v18
	v_subrev_u32_e32 v24, s33, v20
	v_add_u32_e32 v26, 1, v24
	v_cvt_f32_i32_e32 v25, v24
	v_add_u32_e32 v28, 2, v24
	v_add_u32_e32 v30, 3, v24
	;; [unrolled: 1-line block ×14, first 2 shown]
	v_cvt_f32_i32_e32 v26, v26
	v_cvt_f32_i32_e32 v28, v28
	;; [unrolled: 1-line block ×4, first 2 shown]
	v_mov_b32_e32 v19, 0xff7fffff
	v_or_b32_e32 v21, 2, v18
	v_or_b32_e32 v22, 3, v18
	v_cvt_f32_i32_e32 v32, v32
	v_cvt_f32_i32_e32 v34, v34
	v_cmp_gt_i32_e64 s[28:29], s33, v18
	v_cmp_gt_i32_e64 s[30:31], s33, v20
	s_mov_b32 s52, 0xff7fffff
	v_cmp_gt_i32_e64 s[34:35], s33, v21
	v_cmp_gt_i32_e64 s[36:37], s33, v22
	v_or_b32_e32 v23, 16, v18
	v_cvt_f32_i32_e32 v35, v35
	v_cvt_f32_i32_e32 v36, v36
	v_cmp_gt_i32_e64 s[24:25], s33, v23
	v_cvt_f32_i32_e32 v37, v37
	v_cvt_f32_i32_e32 v38, v38
	;; [unrolled: 1-line block ×7, first 2 shown]
	s_waitcnt vmcnt(15)
	v_fmac_f32_e32 v17, v31, v25
	s_waitcnt vmcnt(14)
	v_fmac_f32_e32 v16, v31, v26
	;; [unrolled: 2-line block ×4, first 2 shown]
	v_cndmask_b32_e64 v20, v19, v16, s[30:31]
	v_cndmask_b32_e64 v21, v19, v15, s[34:35]
	;; [unrolled: 1-line block ×3, first 2 shown]
	s_waitcnt vmcnt(11)
	v_fmac_f32_e32 v13, v31, v32
	s_waitcnt vmcnt(10)
	v_fmac_f32_e32 v12, v31, v34
	s_waitcnt vmcnt(9)
	v_fmac_f32_e32 v11, v31, v35
	s_waitcnt vmcnt(8)
	v_fmac_f32_e32 v10, v31, v36
	s_waitcnt vmcnt(7)
	v_fmac_f32_e32 v9, v31, v37
	s_waitcnt vmcnt(6)
	v_fmac_f32_e32 v8, v31, v38
	s_waitcnt vmcnt(5)
	v_fmac_f32_e32 v7, v31, v40
	s_waitcnt vmcnt(4)
	v_fmac_f32_e32 v6, v31, v42
	s_waitcnt vmcnt(0)
	v_fmac_f32_e32 v2, v31, v24
	v_cndmask_b32_e64 v24, v19, v17, s[28:29]
	v_max3_f32 v20, v24, s52, v20
	v_max3_f32 v20, v20, v21, v22
	v_or_b32_e32 v22, 17, v18
	v_cmp_gt_i32_e64 s[38:39], s33, v22
	v_cndmask_b32_e64 v21, v19, v13, s[24:25]
	v_cndmask_b32_e64 v22, v19, v12, s[38:39]
	v_max3_f32 v20, v20, v21, v22
	v_or_b32_e32 v21, 18, v18
	v_or_b32_e32 v22, 19, v18
	v_cmp_gt_i32_e64 s[20:21], s33, v21
	v_cmp_gt_i32_e64 s[22:23], s33, v22
	v_cndmask_b32_e64 v21, v19, v11, s[20:21]
	v_cndmask_b32_e64 v22, v19, v10, s[22:23]
	v_max3_f32 v20, v20, v21, v22
	v_or_b32_e32 v21, 32, v18
	v_or_b32_e32 v22, 33, v18
	v_cmp_gt_i32_e64 s[16:17], s33, v21
	;; [unrolled: 7-line block ×3, first 2 shown]
	v_cmp_gt_i32_e64 s[14:15], s33, v22
	v_cndmask_b32_e64 v21, v19, v7, s[12:13]
	v_cndmask_b32_e64 v22, v19, v6, s[14:15]
	v_max3_f32 v20, v20, v21, v22
	v_or_b32_e32 v21, 48, v18
	v_or_b32_e32 v22, 49, v18
	v_fmac_f32_e32 v5, v31, v44
	v_fmac_f32_e32 v4, v31, v52
	v_cmp_gt_i32_e64 s[6:7], s33, v21
	v_cmp_gt_i32_e64 s[10:11], s33, v22
	v_cndmask_b32_e64 v21, v19, v5, s[6:7]
	v_cndmask_b32_e64 v22, v19, v4, s[10:11]
	v_max3_f32 v20, v20, v21, v22
	v_or_b32_e32 v21, 50, v18
	v_or_b32_e32 v18, 51, v18
	v_fmac_f32_e32 v3, v31, v53
	v_cmp_gt_i32_e32 vcc, s33, v21
	v_cmp_gt_i32_e64 s[4:5], s33, v18
	v_cndmask_b32_e32 v21, v19, v3, vcc
	v_cndmask_b32_e64 v18, v19, v2, s[4:5]
	v_mbcnt_lo_u32_b32 v19, -1, 0
	v_mbcnt_hi_u32_b32 v19, -1, v19
	v_max3_f32 v18, v20, v21, v18
	v_and_b32_e32 v20, 64, v19
	v_add_u32_e32 v20, 64, v20
	v_xor_b32_e32 v21, 32, v19
	v_cmp_lt_i32_e64 s[40:41], v21, v20
	v_cndmask_b32_e64 v21, v19, v21, s[40:41]
	v_lshlrev_b32_e32 v21, 2, v21
	ds_bpermute_b32 v22, v21, v18
	s_waitcnt lgkmcnt(0)
	v_max_f32_e32 v22, v22, v22
	v_max_f32_e32 v18, v18, v22
	v_xor_b32_e32 v22, 16, v19
	v_cmp_lt_i32_e64 s[40:41], v22, v20
	v_cndmask_b32_e64 v19, v19, v22, s[40:41]
	v_lshlrev_b32_e32 v19, 2, v19
	ds_bpermute_b32 v20, v19, v18
	s_waitcnt lgkmcnt(0)
	v_max_f32_e32 v20, v20, v20
	v_max_f32_e32 v18, v18, v20
	v_sub_f32_e32 v17, v17, v18
	v_mul_f32_e32 v17, 0x3fb8aa3b, v17
	v_sub_f32_e32 v16, v16, v18
	v_exp_f32_e32 v17, v17
	v_mul_f32_e32 v16, 0x3fb8aa3b, v16
	v_sub_f32_e32 v15, v15, v18
	v_exp_f32_e32 v16, v16
	;; [unrolled: 3-line block ×4, first 2 shown]
	v_mul_f32_e32 v13, 0x3fb8aa3b, v13
	v_sub_f32_e32 v12, v12, v18
	v_cndmask_b32_e64 v17, 0, v17, s[28:29]
	v_exp_f32_e32 v13, v13
	v_mul_f32_e32 v12, 0x3fb8aa3b, v12
	v_sub_f32_e32 v11, v11, v18
	v_add_f32_e32 v20, 0, v17
	v_cndmask_b32_e64 v16, 0, v16, s[30:31]
	v_exp_f32_e32 v12, v12
	v_mul_f32_e32 v11, 0x3fb8aa3b, v11
	v_sub_f32_e32 v10, v10, v18
	v_add_f32_e32 v20, v20, v16
	;; [unrolled: 5-line block ×4, first 2 shown]
	v_cndmask_b32_e64 v13, 0, v13, s[24:25]
	v_exp_f32_e32 v9, v9
	v_mul_f32_e32 v8, 0x3fb8aa3b, v8
	v_sub_f32_e32 v7, v7, v18
	buffer_store_dword v17, off, s[0:3], 0 offset:256
	buffer_store_dword v16, off, s[0:3], 0 offset:260
	;; [unrolled: 1-line block ×4, first 2 shown]
	v_add_f32_e32 v14, v20, v13
	v_cndmask_b32_e64 v12, 0, v12, s[38:39]
	v_exp_f32_e32 v8, v8
	v_mul_f32_e32 v7, 0x3fb8aa3b, v7
	v_sub_f32_e32 v6, v6, v18
	v_add_f32_e32 v14, v14, v12
	v_cndmask_b32_e64 v11, 0, v11, s[20:21]
	v_exp_f32_e32 v7, v7
	v_mul_f32_e32 v6, 0x3fb8aa3b, v6
	v_sub_f32_e32 v5, v5, v18
	;; [unrolled: 5-line block ×4, first 2 shown]
	buffer_store_dword v13, off, s[0:3], 0 offset:272
	buffer_store_dword v12, off, s[0:3], 0 offset:276
	;; [unrolled: 1-line block ×4, first 2 shown]
	v_add_f32_e32 v10, v14, v9
	v_cndmask_b32_e64 v8, 0, v8, s[18:19]
	v_exp_f32_e32 v4, v4
	v_mul_f32_e32 v3, 0x3fb8aa3b, v3
	v_sub_f32_e32 v2, v2, v18
	v_add_f32_e32 v10, v10, v8
	v_cndmask_b32_e64 v7, 0, v7, s[12:13]
	v_exp_f32_e32 v3, v3
	v_mul_f32_e32 v2, 0x3fb8aa3b, v2
	v_add_f32_e32 v10, v10, v7
	v_cndmask_b32_e64 v6, 0, v6, s[14:15]
	v_exp_f32_e32 v2, v2
	v_add_f32_e32 v10, v10, v6
	v_cndmask_b32_e64 v5, 0, v5, s[6:7]
	buffer_store_dword v9, off, s[0:3], 0 offset:288
	buffer_store_dword v8, off, s[0:3], 0 offset:292
	;; [unrolled: 1-line block ×4, first 2 shown]
	v_add_f32_e32 v6, v10, v5
	v_cndmask_b32_e64 v4, 0, v4, s[10:11]
	v_add_f32_e32 v6, v6, v4
	v_cndmask_b32_e32 v3, 0, v3, vcc
	v_add_f32_e32 v6, v6, v3
	v_cndmask_b32_e64 v2, 0, v2, s[4:5]
	v_add_f32_e32 v6, v6, v2
	ds_bpermute_b32 v7, v21, v6
	buffer_store_dword v5, off, s[0:3], 0 offset:304
	buffer_store_dword v4, off, s[0:3], 0 offset:308
	;; [unrolled: 1-line block ×4, first 2 shown]
	v_cmp_gt_u32_e64 s[4:5], 16, v33
	s_waitcnt lgkmcnt(0)
	s_barrier
	v_add_f32_e32 v2, v6, v7
	ds_bpermute_b32 v3, v19, v2
	s_waitcnt lgkmcnt(0)
	s_and_saveexec_b64 s[6:7], s[4:5]
	s_cbranch_execz .LBB646_209
; %bb.208:
	v_add_f32_e32 v2, v2, v3
	v_lshlrev_b32_e32 v3, 2, v29
	ds_write2st64_b32 v3, v18, v2 offset1:1
.LBB646_209:
	s_or_b64 exec, exec, s[6:7]
	v_lshlrev_b32_e32 v2, 2, v41
	s_waitcnt lgkmcnt(0)
	s_barrier
	ds_read2_b32 v[12:13], v2 offset1:16
	ds_read2_b32 v[14:15], v2 offset0:32 offset1:48
	ds_read2_b32 v[6:7], v2 offset0:64 offset1:80
	;; [unrolled: 1-line block ×3, first 2 shown]
	s_waitcnt lgkmcnt(0)
	s_barrier
	buffer_load_dword v20, off, s[0:3], 0 offset:256
	buffer_load_dword v21, off, s[0:3], 0 offset:260
	;; [unrolled: 1-line block ×16, first 2 shown]
	v_lshlrev_b32_e32 v19, 3, v1
	v_lshlrev_b32_e32 v18, 5, v41
	;; [unrolled: 1-line block ×3, first 2 shown]
	v_or3_b32 v52, v26, v18, v19
	v_max3_f32 v19, v12, s52, v13
	v_max3_f32 v19, v19, v14, v15
	v_sub_f32_e32 v12, v12, v19
	v_sub_f32_e32 v13, v13, v19
	v_mul_f32_e32 v12, 0x3fb8aa3b, v12
	v_sub_f32_e32 v14, v14, v19
	v_mul_f32_e32 v13, 0x3fb8aa3b, v13
	v_exp_f32_e32 v12, v12
	v_sub_f32_e32 v15, v15, v19
	v_mul_f32_e32 v14, 0x3fb8aa3b, v14
	v_exp_f32_e32 v13, v13
	v_mul_f32_e32 v15, 0x3fb8aa3b, v15
	v_exp_f32_e32 v14, v14
	v_exp_f32_e32 v15, v15
	v_fma_f32 v6, v12, v6, 0
	v_fmac_f32_e32 v6, v13, v7
	v_fmac_f32_e32 v6, v14, v10
	;; [unrolled: 1-line block ×3, first 2 shown]
	v_cmp_eq_u32_e32 vcc, 1, v27
	v_add_f32_e32 v10, 0x358637bd, v6
	v_cndmask_b32_e32 v12, v12, v13, vcc
	v_cmp_eq_u32_e32 vcc, 2, v27
	v_div_scale_f32 v11, s[6:7], v10, v10, 1.0
	v_cndmask_b32_e32 v7, v12, v14, vcc
	v_rcp_f32_e32 v12, v11
	v_cmp_eq_u32_e32 vcc, 3, v27
	v_cndmask_b32_e32 v7, v7, v15, vcc
	v_div_scale_f32 v13, vcc, 1.0, v10, 1.0
	v_fma_f32 v14, -v11, v12, 1.0
	v_fmac_f32_e32 v12, v14, v12
	v_mul_f32_e32 v14, v13, v12
	v_fma_f32 v15, -v11, v14, v13
	v_fmac_f32_e32 v14, v15, v12
	v_fma_f32 v11, -v11, v14, v13
	v_div_fmas_f32 v11, v11, v12, v14
	v_div_fixup_f32 v10, v11, v10, 1.0
	v_mul_f32_e32 v10, v7, v10
	s_mul_i32 s20, s49, 9
	v_cmp_gt_u32_e32 vcc, 9, v0
	s_waitcnt vmcnt(14)
	v_pk_mul_f32 v[14:15], v[10:11], v[20:21] op_sel_hi:[0,1]
	v_cvt_f16_f32_e32 v7, v14
	s_waitcnt vmcnt(12)
	v_pk_mul_f32 v[12:13], v[10:11], v[22:23] op_sel_hi:[0,1]
	buffer_store_dword v14, off, s[0:3], 0 offset:256
	buffer_store_dword v15, off, s[0:3], 0 offset:260
	;; [unrolled: 1-line block ×3, first 2 shown]
	s_waitcnt vmcnt(13)
	v_pk_mul_f32 v[20:21], v[10:11], v[24:25] op_sel_hi:[0,1]
	v_cvt_f16_f32_e32 v14, v12
	s_waitcnt vmcnt(11)
	v_pk_mul_f32 v[22:23], v[10:11], v[28:29] op_sel_hi:[0,1]
	v_cvt_f16_f32_e32 v11, v15
	v_cvt_f16_f32_e32 v15, v13
	buffer_store_dword v13, off, s[0:3], 0 offset:268
	buffer_store_dword v22, off, s[0:3], 0 offset:272
	;; [unrolled: 1-line block ×3, first 2 shown]
	v_pack_b32_f16 v12, v7, v11
	v_cvt_f16_f32_e32 v11, v23
	v_pack_b32_f16 v13, v14, v15
	v_cvt_f16_f32_e32 v7, v22
	v_cvt_f16_f32_e32 v15, v20
	;; [unrolled: 1-line block ×3, first 2 shown]
	s_waitcnt vmcnt(12)
	v_pk_mul_f32 v[4:5], v[10:11], v[4:5] op_sel_hi:[0,1]
	v_pack_b32_f16 v14, v7, v11
	s_waitcnt vmcnt(10)
	v_pk_mul_f32 v[2:3], v[10:11], v[2:3] op_sel_hi:[0,1]
	v_pack_b32_f16 v15, v15, v22
	v_cvt_f16_f32_e32 v11, v5
	buffer_store_dword v20, off, s[0:3], 0 offset:280
	buffer_store_dword v21, off, s[0:3], 0 offset:284
	ds_write2st64_b64 v52, v[12:13], v[14:15] offset1:1
	buffer_store_dword v2, off, s[0:3], 0 offset:288
	buffer_store_dword v3, off, s[0:3], 0 offset:292
	v_cvt_f16_f32_e32 v2, v2
	v_cvt_f16_f32_e32 v3, v3
	;; [unrolled: 1-line block ×3, first 2 shown]
	buffer_store_dword v4, off, s[0:3], 0 offset:296
	buffer_store_dword v5, off, s[0:3], 0 offset:300
	s_waitcnt vmcnt(12)
	v_pk_mul_f32 v[4:5], v[10:11], v[16:17] op_sel_hi:[0,1]
	v_pk_mul_f32 v[8:9], v[10:11], v[8:9] op_sel_hi:[0,1]
	v_pack_b32_f16 v2, v2, v3
	v_pack_b32_f16 v3, v7, v11
	buffer_store_dword v8, off, s[0:3], 0 offset:304
	buffer_store_dword v9, off, s[0:3], 0 offset:308
	v_cvt_f16_f32_e32 v7, v8
	v_cvt_f16_f32_e32 v8, v9
	;; [unrolled: 1-line block ×4, first 2 shown]
	buffer_store_dword v4, off, s[0:3], 0 offset:312
	buffer_store_dword v5, off, s[0:3], 0 offset:316
	v_pack_b32_f16 v4, v7, v8
	v_pack_b32_f16 v5, v9, v10
	ds_write2st64_b64 v52, v[2:3], v[4:5] offset0:2 offset1:3
	s_and_saveexec_b64 s[6:7], vcc
	s_cbranch_execz .LBB646_211
; %bb.210:
	v_add_co_u32_e32 v4, vcc, s27, v41
	v_addc_co_u32_e64 v5, s[10:11], 0, 0, vcc
	v_mov_b32_e32 v2, s20
	v_mov_b32_e32 v3, 0
	v_mad_u64_u32 v[4:5], s[10:11], s8, v2, v[4:5]
	v_mov_b32_e32 v2, s26
	s_mul_i32 s9, s9, s20
	v_mad_u64_u32 v[2:3], s[10:11], v4, s48, v[2:3]
	v_add_u32_e32 v5, s9, v5
	v_mov_b32_e32 v4, v3
	v_mad_u64_u32 v[4:5], s[10:11], v5, s48, v[4:5]
	v_mov_b32_e32 v3, v4
	v_lshlrev_b64 v[2:3], 2, v[2:3]
	v_mov_b32_e32 v5, s47
	v_add_co_u32_e32 v4, vcc, s46, v2
	v_addc_co_u32_e32 v5, vcc, v5, v3, vcc
	global_store_dword v[4:5], v19, off
	v_mov_b32_e32 v4, s45
	v_add_co_u32_e32 v2, vcc, s44, v2
	v_addc_co_u32_e32 v3, vcc, v4, v3, vcc
	global_store_dword v[2:3], v6, off
.LBB646_211:
	s_or_b64 exec, exec, s[6:7]
	v_lshl_or_b32 v30, v1, 9, v18
	s_waitcnt lgkmcnt(0)
	s_barrier
	s_load_dword s6, s[42:43], 0x0
	ds_read_b128 v[2:5], v30
	ds_read_b128 v[6:9], v30 offset:16
	ds_read_b128 v[10:13], v30 offset:2048
	;; [unrolled: 1-line block ×7, first 2 shown]
	v_mov_b32_e32 v35, 0x80
	v_mov_b32_e32 v53, 0x140
	s_mov_b64 s[12:13], -1
	s_waitcnt lgkmcnt(0)
	s_mov_b32 s7, s6
	s_mov_b32 s10, s6
	;; [unrolled: 1-line block ×3, first 2 shown]
	s_movk_i32 s9, 0x80
	s_movk_i32 s21, 0x7f
	s_mov_b32 s22, 0xffffff
	v_mov_b32_e32 v54, 0
	v_bfrev_b32_e32 v55, 60
	s_branch .LBB646_215
.LBB646_212:                            ;   in Loop: Header=BB646_215 Depth=1
	s_or_b64 exec, exec, s[18:19]
.LBB646_213:                            ;   in Loop: Header=BB646_215 Depth=1
	s_or_b64 exec, exec, s[16:17]
.LBB646_214:                            ;   in Loop: Header=BB646_215 Depth=1
	s_or_b64 exec, exec, s[14:15]
	v_cvt_pkrtz_f16_f32 v60, v46, v50
	v_cvt_pkrtz_f16_f32 v61, v44, v56
	s_xor_b64 s[14:15], s[12:13], -1
	s_mov_b64 s[12:13], 0
	v_mov_b32_e32 v46, v47
	v_mfma_f32_16x16x16f16 v[60:63], v[60:61], v[30:31], v[34:37]
	v_mov_b32_e32 v50, v49
	s_and_b64 vcc, exec, s[14:15]
	s_nop 4
	v_cvt_pkrtz_f16_f32 v36, v51, v57
	v_cvt_pkrtz_f16_f32 v37, v42, v58
	v_mov_b32_e32 v35, v45
	v_mov_b32_e32 v51, v48
	v_mfma_f32_16x16x16f16 v[56:59], v[36:37], v[32:33], v[60:63]
	s_nop 7
	s_nop 2
	v_pk_mul_f32 v[56:57], v[56:57], s[6:7]
	v_pk_mul_f32 v[36:37], v[58:59], s[10:11]
	v_cvt_f16_f32_e32 v34, v56
	v_cvt_f16_f32_e32 v38, v57
	;; [unrolled: 1-line block ×4, first 2 shown]
	v_pack_b32_f16 v34, v34, v38
	v_pack_b32_f16 v36, v36, v37
	buffer_store_dword v34, v53, s[0:3], 0 offen
	buffer_store_dword v36, v53, s[0:3], 0 offen offset:4
	v_mov_b32_e32 v53, 0x148
	s_cbranch_vccnz .LBB646_597
.LBB646_215:                            ; =>This Inner Loop Header: Depth=1
	buffer_load_dword v36, v35, s[0:3], 0 offen
	buffer_load_dword v34, v35, s[0:3], 0 offen offset:4
	buffer_load_dword v40, v35, s[0:3], 0 offen offset:8
	;; [unrolled: 1-line block ×3, first 2 shown]
	v_mov_b32_e32 v35, 0
	s_waitcnt vmcnt(3)
	v_cmp_ne_u16_sdwa s[16:17], v36, v54 src0_sel:BYTE_0 src1_sel:DWORD
	s_and_saveexec_b64 s[14:15], s[16:17]
	s_cbranch_execz .LBB646_221
; %bb.216:                              ;   in Loop: Header=BB646_215 Depth=1
	v_cmp_ne_u16_sdwa s[18:19], v36, s9 src0_sel:BYTE_0 src1_sel:DWORD
	v_bfrev_b32_e32 v35, 1
	s_and_saveexec_b64 s[16:17], s[18:19]
	s_cbranch_execz .LBB646_220
; %bb.217:                              ;   in Loop: Header=BB646_215 Depth=1
	v_and_b32_e32 v37, 0x7f, v36
	v_cmp_ne_u32_e32 vcc, s21, v37
	v_mov_b32_e32 v35, 0x7f800001
	s_and_saveexec_b64 s[18:19], vcc
	s_cbranch_execz .LBB646_219
; %bb.218:                              ;   in Loop: Header=BB646_215 Depth=1
	v_and_b32_e32 v35, 7, v36
	v_ffbh_u32_e32 v44, v35
	v_min_u32_e32 v44, 32, v44
	v_subrev_u32_e32 v56, 28, v44
	v_lshlrev_b64 v[56:57], v56, v[36:37]
	v_lshrrev_b32_e32 v42, 3, v37
	v_sub_u32_e32 v44, 29, v44
	v_and_b32_e32 v56, 7, v56
	v_cmp_gt_u32_e32 vcc, 8, v37
	v_cndmask_b32_e32 v37, v42, v44, vcc
	v_cndmask_b32_e32 v35, v35, v56, vcc
	v_lshlrev_b32_e32 v42, 24, v36
	v_lshlrev_b32_e32 v35, 20, v35
	v_and_b32_e32 v42, 0x80000000, v42
	v_lshl_add_u32 v37, v37, 23, v55
	v_or3_b32 v35, v42, v37, v35
.LBB646_219:                            ;   in Loop: Header=BB646_215 Depth=1
	s_or_b64 exec, exec, s[18:19]
.LBB646_220:                            ;   in Loop: Header=BB646_215 Depth=1
	s_or_b64 exec, exec, s[16:17]
.LBB646_221:                            ;   in Loop: Header=BB646_215 Depth=1
	s_or_b64 exec, exec, s[14:15]
	v_lshrrev_b16_e32 v42, 8, v36
	v_cmp_ne_u16_e32 vcc, 0, v42
	v_mov_b32_e32 v37, 0
	s_and_saveexec_b64 s[14:15], vcc
	s_cbranch_execz .LBB646_227
; %bb.222:                              ;   in Loop: Header=BB646_215 Depth=1
	v_cmp_ne_u16_e32 vcc, s9, v42
	v_bfrev_b32_e32 v37, 1
	s_and_saveexec_b64 s[16:17], vcc
	s_cbranch_execz .LBB646_226
; %bb.223:                              ;   in Loop: Header=BB646_215 Depth=1
	v_and_b32_e32 v44, 0x7f, v42
	v_cmp_ne_u32_e32 vcc, s21, v44
	v_mov_b32_e32 v37, 0x7f800001
	s_and_saveexec_b64 s[18:19], vcc
	s_cbranch_execz .LBB646_225
; %bb.224:                              ;   in Loop: Header=BB646_215 Depth=1
	v_and_b32_e32 v37, 7, v42
	v_ffbh_u32_e32 v56, v37
	v_min_u32_e32 v59, 32, v56
	v_subrev_u32_e32 v56, 28, v59
	v_lshlrev_b64 v[56:57], v56, v[42:43]
	v_lshrrev_b32_e32 v58, 3, v44
	v_sub_u32_e32 v42, 29, v59
	v_and_b32_e32 v56, 7, v56
	v_cmp_gt_u32_e32 vcc, 8, v44
	v_cndmask_b32_e32 v42, v58, v42, vcc
	v_cndmask_b32_e32 v37, v37, v56, vcc
	v_lshlrev_b32_e32 v44, 16, v36
	v_lshlrev_b32_e32 v37, 20, v37
	v_and_b32_e32 v44, 0x80000000, v44
	v_lshl_add_u32 v42, v42, 23, v55
	v_or3_b32 v37, v44, v42, v37
.LBB646_225:                            ;   in Loop: Header=BB646_215 Depth=1
	s_or_b64 exec, exec, s[18:19]
.LBB646_226:                            ;   in Loop: Header=BB646_215 Depth=1
	s_or_b64 exec, exec, s[16:17]
.LBB646_227:                            ;   in Loop: Header=BB646_215 Depth=1
	s_or_b64 exec, exec, s[14:15]
	v_lshrrev_b32_e32 v42, 16, v36
	v_cmp_ne_u16_sdwa s[16:17], v42, v54 src0_sel:BYTE_0 src1_sel:DWORD
	v_mov_b32_e32 v56, 0
	v_mov_b32_e32 v44, 0
	s_and_saveexec_b64 s[14:15], s[16:17]
	s_cbranch_execz .LBB646_233
; %bb.228:                              ;   in Loop: Header=BB646_215 Depth=1
	v_cmp_ne_u16_sdwa s[18:19], v42, s9 src0_sel:BYTE_0 src1_sel:DWORD
	v_bfrev_b32_e32 v44, 1
	s_and_saveexec_b64 s[16:17], s[18:19]
	s_cbranch_execz .LBB646_232
; %bb.229:                              ;   in Loop: Header=BB646_215 Depth=1
	v_bfe_u32 v57, v36, 16, 7
	v_cmp_ne_u32_e32 vcc, s21, v57
	v_mov_b32_e32 v44, 0x7f800001
	s_and_saveexec_b64 s[18:19], vcc
	s_cbranch_execz .LBB646_231
; %bb.230:                              ;   in Loop: Header=BB646_215 Depth=1
	v_and_b32_e32 v44, 7, v42
	v_ffbh_u32_e32 v58, v44
	v_min_u32_e32 v61, 32, v58
	v_subrev_u32_e32 v58, 28, v61
	v_lshlrev_b64 v[58:59], v58, v[42:43]
	v_lshrrev_b32_e32 v60, 3, v57
	v_sub_u32_e32 v59, 29, v61
	v_and_b32_e32 v58, 7, v58
	v_cmp_gt_u32_e32 vcc, 8, v57
	v_cndmask_b32_e32 v57, v60, v59, vcc
	v_cndmask_b32_e32 v44, v44, v58, vcc
	v_lshlrev_b32_e32 v42, 24, v42
	v_lshlrev_b32_e32 v44, 20, v44
	v_and_b32_e32 v42, 0x80000000, v42
	v_lshl_add_u32 v57, v57, 23, v55
	v_or3_b32 v44, v42, v57, v44
.LBB646_231:                            ;   in Loop: Header=BB646_215 Depth=1
	s_or_b64 exec, exec, s[18:19]
.LBB646_232:                            ;   in Loop: Header=BB646_215 Depth=1
	s_or_b64 exec, exec, s[16:17]
.LBB646_233:                            ;   in Loop: Header=BB646_215 Depth=1
	s_or_b64 exec, exec, s[14:15]
	v_cmp_lt_u32_e32 vcc, s22, v36
	s_and_saveexec_b64 s[14:15], vcc
	s_cbranch_execz .LBB646_239
; %bb.234:                              ;   in Loop: Header=BB646_215 Depth=1
	v_lshrrev_b32_e32 v42, 24, v36
	v_cmp_ne_u32_e32 vcc, s9, v42
	v_bfrev_b32_e32 v56, 1
	s_and_saveexec_b64 s[16:17], vcc
	s_cbranch_execz .LBB646_238
; %bb.235:                              ;   in Loop: Header=BB646_215 Depth=1
	v_bfe_u32 v36, v36, 24, 7
	v_cmp_ne_u32_e32 vcc, s21, v36
	v_mov_b32_e32 v56, 0x7f800001
	s_and_saveexec_b64 s[18:19], vcc
	s_cbranch_execz .LBB646_237
; %bb.236:                              ;   in Loop: Header=BB646_215 Depth=1
	v_and_b32_e32 v58, 7, v42
	v_ffbh_u32_e32 v56, v58
	v_min_u32_e32 v60, 32, v56
	v_subrev_u32_e32 v56, 28, v60
	v_lshlrev_b64 v[56:57], v56, v[42:43]
	v_lshrrev_b32_e32 v59, 3, v36
	v_sub_u32_e32 v57, 29, v60
	v_and_b32_e32 v56, 7, v56
	v_cmp_gt_u32_e32 vcc, 8, v36
	v_cndmask_b32_e32 v36, v59, v57, vcc
	v_cndmask_b32_e32 v56, v58, v56, vcc
	v_lshlrev_b32_e32 v42, 24, v42
	v_lshlrev_b32_e32 v56, 20, v56
	v_and_b32_e32 v42, 0x80000000, v42
	v_lshl_add_u32 v36, v36, 23, v55
	v_or3_b32 v56, v42, v36, v56
.LBB646_237:                            ;   in Loop: Header=BB646_215 Depth=1
	s_or_b64 exec, exec, s[18:19]
.LBB646_238:                            ;   in Loop: Header=BB646_215 Depth=1
	s_or_b64 exec, exec, s[16:17]
.LBB646_239:                            ;   in Loop: Header=BB646_215 Depth=1
	s_or_b64 exec, exec, s[14:15]
	s_waitcnt vmcnt(2)
	v_cmp_ne_u16_sdwa s[16:17], v34, v54 src0_sel:BYTE_0 src1_sel:DWORD
	v_mov_b32_e32 v42, 0
	v_mov_b32_e32 v57, 0
	s_and_saveexec_b64 s[14:15], s[16:17]
	s_cbranch_execz .LBB646_245
; %bb.240:                              ;   in Loop: Header=BB646_215 Depth=1
	v_cmp_ne_u16_sdwa s[18:19], v34, s9 src0_sel:BYTE_0 src1_sel:DWORD
	v_bfrev_b32_e32 v57, 1
	s_and_saveexec_b64 s[16:17], s[18:19]
	s_cbranch_execz .LBB646_244
; %bb.241:                              ;   in Loop: Header=BB646_215 Depth=1
	v_and_b32_e32 v36, 0x7f, v34
	v_cmp_ne_u32_e32 vcc, s21, v36
	v_mov_b32_e32 v57, 0x7f800001
	s_and_saveexec_b64 s[18:19], vcc
	s_cbranch_execz .LBB646_243
; %bb.242:                              ;   in Loop: Header=BB646_215 Depth=1
	v_and_b32_e32 v57, 7, v34
	v_ffbh_u32_e32 v58, v57
	v_min_u32_e32 v61, 32, v58
	v_subrev_u32_e32 v58, 28, v61
	v_lshlrev_b64 v[58:59], v58, v[34:35]
	v_lshrrev_b32_e32 v60, 3, v36
	v_sub_u32_e32 v59, 29, v61
	v_and_b32_e32 v58, 7, v58
	v_cmp_gt_u32_e32 vcc, 8, v36
	v_cndmask_b32_e32 v36, v60, v59, vcc
	v_cndmask_b32_e32 v57, v57, v58, vcc
	v_lshlrev_b32_e32 v58, 24, v34
	v_lshlrev_b32_e32 v57, 20, v57
	v_and_b32_e32 v58, 0x80000000, v58
	v_lshl_add_u32 v36, v36, 23, v55
	v_or3_b32 v57, v58, v36, v57
.LBB646_243:                            ;   in Loop: Header=BB646_215 Depth=1
	s_or_b64 exec, exec, s[18:19]
.LBB646_244:                            ;   in Loop: Header=BB646_215 Depth=1
	s_or_b64 exec, exec, s[16:17]
.LBB646_245:                            ;   in Loop: Header=BB646_215 Depth=1
	s_or_b64 exec, exec, s[14:15]
	v_lshrrev_b16_e32 v36, 8, v34
	v_cmp_ne_u16_e32 vcc, 0, v36
	s_and_saveexec_b64 s[14:15], vcc
	s_cbranch_execz .LBB646_251
; %bb.246:                              ;   in Loop: Header=BB646_215 Depth=1
	v_cmp_ne_u16_e32 vcc, s9, v36
	v_bfrev_b32_e32 v42, 1
	s_and_saveexec_b64 s[16:17], vcc
	s_cbranch_execz .LBB646_250
; %bb.247:                              ;   in Loop: Header=BB646_215 Depth=1
	v_and_b32_e32 v58, 0x7f, v36
	v_cmp_ne_u32_e32 vcc, s21, v58
	v_mov_b32_e32 v42, 0x7f800001
	s_and_saveexec_b64 s[18:19], vcc
	s_cbranch_execz .LBB646_249
; %bb.248:                              ;   in Loop: Header=BB646_215 Depth=1
	v_and_b32_e32 v42, 7, v36
	v_ffbh_u32_e32 v60, v42
	v_min_u32_e32 v62, 32, v60
	v_subrev_u32_e32 v60, 28, v62
	v_lshlrev_b64 v[60:61], v60, v[36:37]
	v_lshrrev_b32_e32 v59, 3, v58
	v_sub_u32_e32 v36, 29, v62
	v_and_b32_e32 v60, 7, v60
	v_cmp_gt_u32_e32 vcc, 8, v58
	v_cndmask_b32_e32 v36, v59, v36, vcc
	v_cndmask_b32_e32 v42, v42, v60, vcc
	v_lshlrev_b32_e32 v58, 16, v34
	v_lshlrev_b32_e32 v42, 20, v42
	v_and_b32_e32 v58, 0x80000000, v58
	v_lshl_add_u32 v36, v36, 23, v55
	v_or3_b32 v42, v58, v36, v42
.LBB646_249:                            ;   in Loop: Header=BB646_215 Depth=1
	s_or_b64 exec, exec, s[18:19]
.LBB646_250:                            ;   in Loop: Header=BB646_215 Depth=1
	s_or_b64 exec, exec, s[16:17]
.LBB646_251:                            ;   in Loop: Header=BB646_215 Depth=1
	s_or_b64 exec, exec, s[14:15]
	v_lshrrev_b32_e32 v36, 16, v34
	v_cmp_ne_u16_sdwa s[16:17], v36, v54 src0_sel:BYTE_0 src1_sel:DWORD
	v_mov_b32_e32 v59, 0
	v_mov_b32_e32 v58, 0
	s_and_saveexec_b64 s[14:15], s[16:17]
	s_cbranch_execz .LBB646_257
; %bb.252:                              ;   in Loop: Header=BB646_215 Depth=1
	v_cmp_ne_u16_sdwa s[18:19], v36, s9 src0_sel:BYTE_0 src1_sel:DWORD
	v_bfrev_b32_e32 v58, 1
	s_and_saveexec_b64 s[16:17], s[18:19]
	s_cbranch_execz .LBB646_256
; %bb.253:                              ;   in Loop: Header=BB646_215 Depth=1
	v_bfe_u32 v60, v34, 16, 7
	v_cmp_ne_u32_e32 vcc, s21, v60
	v_mov_b32_e32 v58, 0x7f800001
	s_and_saveexec_b64 s[18:19], vcc
	s_cbranch_execz .LBB646_255
; %bb.254:                              ;   in Loop: Header=BB646_215 Depth=1
	v_and_b32_e32 v58, 7, v36
	v_ffbh_u32_e32 v62, v58
	v_min_u32_e32 v64, 32, v62
	v_subrev_u32_e32 v62, 28, v64
	v_lshlrev_b64 v[62:63], v62, v[36:37]
	v_lshrrev_b32_e32 v61, 3, v60
	v_sub_u32_e32 v63, 29, v64
	v_and_b32_e32 v62, 7, v62
	v_cmp_gt_u32_e32 vcc, 8, v60
	v_cndmask_b32_e32 v60, v61, v63, vcc
	v_cndmask_b32_e32 v58, v58, v62, vcc
	v_lshlrev_b32_e32 v36, 24, v36
	v_lshlrev_b32_e32 v58, 20, v58
	v_and_b32_e32 v36, 0x80000000, v36
	v_lshl_add_u32 v60, v60, 23, v55
	v_or3_b32 v58, v36, v60, v58
.LBB646_255:                            ;   in Loop: Header=BB646_215 Depth=1
	s_or_b64 exec, exec, s[18:19]
.LBB646_256:                            ;   in Loop: Header=BB646_215 Depth=1
	s_or_b64 exec, exec, s[16:17]
.LBB646_257:                            ;   in Loop: Header=BB646_215 Depth=1
	s_or_b64 exec, exec, s[14:15]
	v_cmp_lt_u32_e32 vcc, s22, v34
	s_and_saveexec_b64 s[14:15], vcc
	s_cbranch_execz .LBB646_263
; %bb.258:                              ;   in Loop: Header=BB646_215 Depth=1
	v_lshrrev_b32_e32 v36, 24, v34
	v_cmp_ne_u32_e32 vcc, s9, v36
	v_bfrev_b32_e32 v59, 1
	s_and_saveexec_b64 s[16:17], vcc
	s_cbranch_execz .LBB646_262
; %bb.259:                              ;   in Loop: Header=BB646_215 Depth=1
	v_bfe_u32 v34, v34, 24, 7
	v_cmp_ne_u32_e32 vcc, s21, v34
	v_mov_b32_e32 v59, 0x7f800001
	s_and_saveexec_b64 s[18:19], vcc
	s_cbranch_execz .LBB646_261
; %bb.260:                              ;   in Loop: Header=BB646_215 Depth=1
	v_and_b32_e32 v59, 7, v36
	v_ffbh_u32_e32 v60, v59
	v_min_u32_e32 v63, 32, v60
	v_subrev_u32_e32 v60, 28, v63
	v_lshlrev_b64 v[60:61], v60, v[36:37]
	v_lshrrev_b32_e32 v62, 3, v34
	v_sub_u32_e32 v61, 29, v63
	v_and_b32_e32 v60, 7, v60
	v_cmp_gt_u32_e32 vcc, 8, v34
	v_cndmask_b32_e32 v34, v62, v61, vcc
	v_cndmask_b32_e32 v59, v59, v60, vcc
	v_lshlrev_b32_e32 v36, 24, v36
	v_lshlrev_b32_e32 v59, 20, v59
	v_and_b32_e32 v36, 0x80000000, v36
	v_lshl_add_u32 v34, v34, 23, v55
	v_or3_b32 v59, v36, v34, v59
.LBB646_261:                            ;   in Loop: Header=BB646_215 Depth=1
	s_or_b64 exec, exec, s[18:19]
.LBB646_262:                            ;   in Loop: Header=BB646_215 Depth=1
	s_or_b64 exec, exec, s[16:17]
.LBB646_263:                            ;   in Loop: Header=BB646_215 Depth=1
	s_or_b64 exec, exec, s[14:15]
	v_cvt_pkrtz_f16_f32 v34, v35, v37
	v_cvt_pkrtz_f16_f32 v35, v44, v56
	;; [unrolled: 1-line block ×4, first 2 shown]
	v_mov_b32_e32 v44, 0
	v_mfma_f32_16x16x16f16 v[34:37], v[34:35], v[2:3], 0
	s_waitcnt vmcnt(1)
	v_cmp_ne_u16_sdwa s[16:17], v40, v54 src0_sel:BYTE_0 src1_sel:DWORD
	v_mov_b32_e32 v57, 0
	v_mfma_f32_16x16x16f16 v[34:37], v[60:61], v[4:5], v[34:37]
	s_and_saveexec_b64 s[14:15], s[16:17]
	s_cbranch_execz .LBB646_269
; %bb.264:                              ;   in Loop: Header=BB646_215 Depth=1
	v_cmp_ne_u16_sdwa s[18:19], v40, s9 src0_sel:BYTE_0 src1_sel:DWORD
	v_bfrev_b32_e32 v57, 1
	s_and_saveexec_b64 s[16:17], s[18:19]
	s_cbranch_execz .LBB646_268
; %bb.265:                              ;   in Loop: Header=BB646_215 Depth=1
	v_and_b32_e32 v42, 0x7f, v40
	v_cmp_ne_u32_e32 vcc, s21, v42
	v_mov_b32_e32 v57, 0x7f800001
	s_and_saveexec_b64 s[18:19], vcc
	s_cbranch_execz .LBB646_267
; %bb.266:                              ;   in Loop: Header=BB646_215 Depth=1
	v_and_b32_e32 v58, 7, v40
	v_ffbh_u32_e32 v56, v58
	v_min_u32_e32 v60, 32, v56
	v_subrev_u32_e32 v56, 28, v60
	v_lshlrev_b64 v[56:57], v56, v[40:41]
	v_lshrrev_b32_e32 v59, 3, v42
	v_sub_u32_e32 v57, 29, v60
	v_and_b32_e32 v56, 7, v56
	v_cmp_gt_u32_e32 vcc, 8, v42
	v_cndmask_b32_e32 v42, v59, v57, vcc
	v_cndmask_b32_e32 v56, v58, v56, vcc
	v_lshlrev_b32_e32 v57, 24, v40
	v_lshlrev_b32_e32 v56, 20, v56
	v_and_b32_e32 v57, 0x80000000, v57
	v_lshl_add_u32 v42, v42, 23, v55
	v_or3_b32 v57, v57, v42, v56
.LBB646_267:                            ;   in Loop: Header=BB646_215 Depth=1
	s_or_b64 exec, exec, s[18:19]
.LBB646_268:                            ;   in Loop: Header=BB646_215 Depth=1
	s_or_b64 exec, exec, s[16:17]
.LBB646_269:                            ;   in Loop: Header=BB646_215 Depth=1
	s_or_b64 exec, exec, s[14:15]
	v_lshrrev_b16_e32 v42, 8, v40
	v_cmp_ne_u16_e32 vcc, 0, v42
	v_mov_b32_e32 v58, 0
	s_and_saveexec_b64 s[14:15], vcc
	s_cbranch_execz .LBB646_275
; %bb.270:                              ;   in Loop: Header=BB646_215 Depth=1
	v_cmp_ne_u16_e32 vcc, s9, v42
	v_bfrev_b32_e32 v58, 1
	s_and_saveexec_b64 s[16:17], vcc
	s_cbranch_execz .LBB646_274
; %bb.271:                              ;   in Loop: Header=BB646_215 Depth=1
	v_and_b32_e32 v56, 0x7f, v42
	v_cmp_ne_u32_e32 vcc, s21, v56
	v_mov_b32_e32 v58, 0x7f800001
	s_and_saveexec_b64 s[18:19], vcc
	s_cbranch_execz .LBB646_273
; %bb.272:                              ;   in Loop: Header=BB646_215 Depth=1
	v_and_b32_e32 v60, 7, v42
	v_ffbh_u32_e32 v58, v60
	v_min_u32_e32 v62, 32, v58
	v_subrev_u32_e32 v58, 28, v62
	v_lshlrev_b64 v[58:59], v58, v[42:43]
	v_lshrrev_b32_e32 v61, 3, v56
	v_sub_u32_e32 v42, 29, v62
	v_and_b32_e32 v58, 7, v58
	v_cmp_gt_u32_e32 vcc, 8, v56
	v_cndmask_b32_e32 v42, v61, v42, vcc
	v_cndmask_b32_e32 v56, v60, v58, vcc
	v_lshlrev_b32_e32 v58, 16, v40
	v_lshlrev_b32_e32 v56, 20, v56
	v_and_b32_e32 v58, 0x80000000, v58
	v_lshl_add_u32 v42, v42, 23, v55
	v_or3_b32 v58, v58, v42, v56
.LBB646_273:                            ;   in Loop: Header=BB646_215 Depth=1
	s_or_b64 exec, exec, s[18:19]
.LBB646_274:                            ;   in Loop: Header=BB646_215 Depth=1
	s_or_b64 exec, exec, s[16:17]
.LBB646_275:                            ;   in Loop: Header=BB646_215 Depth=1
	s_or_b64 exec, exec, s[14:15]
	v_lshrrev_b32_e32 v42, 16, v40
	v_cmp_ne_u16_sdwa s[16:17], v42, v54 src0_sel:BYTE_0 src1_sel:DWORD
	s_and_saveexec_b64 s[14:15], s[16:17]
	s_cbranch_execz .LBB646_281
; %bb.276:                              ;   in Loop: Header=BB646_215 Depth=1
	v_cmp_ne_u16_sdwa s[18:19], v42, s9 src0_sel:BYTE_0 src1_sel:DWORD
	v_bfrev_b32_e32 v44, 1
	s_and_saveexec_b64 s[16:17], s[18:19]
	s_cbranch_execz .LBB646_280
; %bb.277:                              ;   in Loop: Header=BB646_215 Depth=1
	v_bfe_u32 v56, v40, 16, 7
	v_cmp_ne_u32_e32 vcc, s21, v56
	v_mov_b32_e32 v44, 0x7f800001
	s_and_saveexec_b64 s[18:19], vcc
	s_cbranch_execz .LBB646_279
; %bb.278:                              ;   in Loop: Header=BB646_215 Depth=1
	v_and_b32_e32 v44, 7, v42
	v_ffbh_u32_e32 v60, v44
	v_min_u32_e32 v62, 32, v60
	v_subrev_u32_e32 v60, 28, v62
	v_lshlrev_b64 v[60:61], v60, v[42:43]
	v_lshrrev_b32_e32 v59, 3, v56
	v_sub_u32_e32 v61, 29, v62
	v_and_b32_e32 v60, 7, v60
	v_cmp_gt_u32_e32 vcc, 8, v56
	v_cndmask_b32_e32 v56, v59, v61, vcc
	v_cndmask_b32_e32 v44, v44, v60, vcc
	v_lshlrev_b32_e32 v42, 24, v42
	v_lshlrev_b32_e32 v44, 20, v44
	v_and_b32_e32 v42, 0x80000000, v42
	v_lshl_add_u32 v56, v56, 23, v55
	v_or3_b32 v44, v42, v56, v44
.LBB646_279:                            ;   in Loop: Header=BB646_215 Depth=1
	s_or_b64 exec, exec, s[18:19]
.LBB646_280:                            ;   in Loop: Header=BB646_215 Depth=1
	s_or_b64 exec, exec, s[16:17]
.LBB646_281:                            ;   in Loop: Header=BB646_215 Depth=1
	s_or_b64 exec, exec, s[14:15]
	v_cmp_lt_u32_e32 vcc, s22, v40
	v_mov_b32_e32 v59, 0
	v_mov_b32_e32 v60, 0
	s_and_saveexec_b64 s[14:15], vcc
	s_cbranch_execz .LBB646_287
; %bb.282:                              ;   in Loop: Header=BB646_215 Depth=1
	v_lshrrev_b32_e32 v42, 24, v40
	v_cmp_ne_u32_e32 vcc, s9, v42
	v_bfrev_b32_e32 v60, 1
	s_and_saveexec_b64 s[16:17], vcc
	s_cbranch_execz .LBB646_286
; %bb.283:                              ;   in Loop: Header=BB646_215 Depth=1
	v_bfe_u32 v40, v40, 24, 7
	v_cmp_ne_u32_e32 vcc, s21, v40
	v_mov_b32_e32 v60, 0x7f800001
	s_and_saveexec_b64 s[18:19], vcc
	s_cbranch_execz .LBB646_285
; %bb.284:                              ;   in Loop: Header=BB646_215 Depth=1
	v_and_b32_e32 v56, 7, v42
	v_ffbh_u32_e32 v60, v56
	v_min_u32_e32 v63, 32, v60
	v_subrev_u32_e32 v60, 28, v63
	v_lshlrev_b64 v[60:61], v60, v[42:43]
	v_lshrrev_b32_e32 v62, 3, v40
	v_sub_u32_e32 v61, 29, v63
	v_and_b32_e32 v60, 7, v60
	v_cmp_gt_u32_e32 vcc, 8, v40
	v_cndmask_b32_e32 v40, v62, v61, vcc
	v_cndmask_b32_e32 v56, v56, v60, vcc
	v_lshlrev_b32_e32 v42, 24, v42
	v_lshlrev_b32_e32 v56, 20, v56
	v_and_b32_e32 v42, 0x80000000, v42
	v_lshl_add_u32 v40, v40, 23, v55
	v_or3_b32 v60, v42, v40, v56
.LBB646_285:                            ;   in Loop: Header=BB646_215 Depth=1
	s_or_b64 exec, exec, s[18:19]
.LBB646_286:                            ;   in Loop: Header=BB646_215 Depth=1
	s_or_b64 exec, exec, s[16:17]
.LBB646_287:                            ;   in Loop: Header=BB646_215 Depth=1
	s_or_b64 exec, exec, s[14:15]
	s_waitcnt vmcnt(0)
	v_cmp_ne_u16_sdwa s[16:17], v38, v54 src0_sel:BYTE_0 src1_sel:DWORD
	s_and_saveexec_b64 s[14:15], s[16:17]
	s_cbranch_execz .LBB646_293
; %bb.288:                              ;   in Loop: Header=BB646_215 Depth=1
	v_cmp_ne_u16_sdwa s[18:19], v38, s9 src0_sel:BYTE_0 src1_sel:DWORD
	v_bfrev_b32_e32 v59, 1
	s_and_saveexec_b64 s[16:17], s[18:19]
	s_cbranch_execz .LBB646_292
; %bb.289:                              ;   in Loop: Header=BB646_215 Depth=1
	v_and_b32_e32 v40, 0x7f, v38
	v_cmp_ne_u32_e32 vcc, s21, v40
	v_mov_b32_e32 v59, 0x7f800001
	s_and_saveexec_b64 s[18:19], vcc
	s_cbranch_execz .LBB646_291
; %bb.290:                              ;   in Loop: Header=BB646_215 Depth=1
	v_and_b32_e32 v42, 7, v38
	v_ffbh_u32_e32 v59, v42
	v_min_u32_e32 v59, 32, v59
	v_subrev_u32_e32 v61, 28, v59
	v_lshlrev_b64 v[62:63], v61, v[38:39]
	v_lshrrev_b32_e32 v56, 3, v40
	v_sub_u32_e32 v59, 29, v59
	v_and_b32_e32 v61, 7, v62
	v_cmp_gt_u32_e32 vcc, 8, v40
	v_cndmask_b32_e32 v40, v56, v59, vcc
	v_cndmask_b32_e32 v42, v42, v61, vcc
	v_lshlrev_b32_e32 v56, 24, v38
	v_lshlrev_b32_e32 v42, 20, v42
	v_and_b32_e32 v56, 0x80000000, v56
	v_lshl_add_u32 v40, v40, 23, v55
	v_or3_b32 v59, v56, v40, v42
.LBB646_291:                            ;   in Loop: Header=BB646_215 Depth=1
	s_or_b64 exec, exec, s[18:19]
.LBB646_292:                            ;   in Loop: Header=BB646_215 Depth=1
	s_or_b64 exec, exec, s[16:17]
.LBB646_293:                            ;   in Loop: Header=BB646_215 Depth=1
	s_or_b64 exec, exec, s[14:15]
	v_lshrrev_b16_e32 v40, 8, v38
	v_cmp_ne_u16_e32 vcc, 0, v40
	v_mov_b32_e32 v61, 0
	v_mov_b32_e32 v62, 0
	s_and_saveexec_b64 s[14:15], vcc
	s_cbranch_execz .LBB646_299
; %bb.294:                              ;   in Loop: Header=BB646_215 Depth=1
	v_cmp_ne_u16_e32 vcc, s9, v40
	v_bfrev_b32_e32 v62, 1
	s_and_saveexec_b64 s[16:17], vcc
	s_cbranch_execz .LBB646_298
; %bb.295:                              ;   in Loop: Header=BB646_215 Depth=1
	v_and_b32_e32 v42, 0x7f, v40
	v_cmp_ne_u32_e32 vcc, s21, v42
	v_mov_b32_e32 v62, 0x7f800001
	s_and_saveexec_b64 s[18:19], vcc
	s_cbranch_execz .LBB646_297
; %bb.296:                              ;   in Loop: Header=BB646_215 Depth=1
	v_and_b32_e32 v56, 7, v40
	v_ffbh_u32_e32 v62, v56
	v_min_u32_e32 v65, 32, v62
	v_subrev_u32_e32 v62, 28, v65
	v_lshlrev_b64 v[62:63], v62, v[40:41]
	v_lshrrev_b32_e32 v64, 3, v42
	v_sub_u32_e32 v40, 29, v65
	v_and_b32_e32 v62, 7, v62
	v_cmp_gt_u32_e32 vcc, 8, v42
	v_cndmask_b32_e32 v40, v64, v40, vcc
	v_cndmask_b32_e32 v42, v56, v62, vcc
	v_lshlrev_b32_e32 v56, 16, v38
	v_lshlrev_b32_e32 v42, 20, v42
	v_and_b32_e32 v56, 0x80000000, v56
	v_lshl_add_u32 v40, v40, 23, v55
	v_or3_b32 v62, v56, v40, v42
.LBB646_297:                            ;   in Loop: Header=BB646_215 Depth=1
	s_or_b64 exec, exec, s[18:19]
.LBB646_298:                            ;   in Loop: Header=BB646_215 Depth=1
	s_or_b64 exec, exec, s[16:17]
.LBB646_299:                            ;   in Loop: Header=BB646_215 Depth=1
	s_or_b64 exec, exec, s[14:15]
	v_lshrrev_b32_e32 v40, 16, v38
	v_cmp_ne_u16_sdwa s[16:17], v40, v54 src0_sel:BYTE_0 src1_sel:DWORD
	s_and_saveexec_b64 s[14:15], s[16:17]
	s_cbranch_execz .LBB646_305
; %bb.300:                              ;   in Loop: Header=BB646_215 Depth=1
	v_cmp_ne_u16_sdwa s[18:19], v40, s9 src0_sel:BYTE_0 src1_sel:DWORD
	v_bfrev_b32_e32 v61, 1
	s_and_saveexec_b64 s[16:17], s[18:19]
	s_cbranch_execz .LBB646_304
; %bb.301:                              ;   in Loop: Header=BB646_215 Depth=1
	v_bfe_u32 v42, v38, 16, 7
	v_cmp_ne_u32_e32 vcc, s21, v42
	v_mov_b32_e32 v61, 0x7f800001
	s_and_saveexec_b64 s[18:19], vcc
	s_cbranch_execz .LBB646_303
; %bb.302:                              ;   in Loop: Header=BB646_215 Depth=1
	v_and_b32_e32 v56, 7, v40
	v_ffbh_u32_e32 v63, v56
	v_min_u32_e32 v63, 32, v63
	v_subrev_u32_e32 v64, 28, v63
	v_lshlrev_b64 v[64:65], v64, v[40:41]
	v_lshrrev_b32_e32 v61, 3, v42
	v_sub_u32_e32 v63, 29, v63
	v_and_b32_e32 v64, 7, v64
	v_cmp_gt_u32_e32 vcc, 8, v42
	v_cndmask_b32_e32 v42, v61, v63, vcc
	v_cndmask_b32_e32 v56, v56, v64, vcc
	v_lshlrev_b32_e32 v40, 24, v40
	v_lshlrev_b32_e32 v56, 20, v56
	v_and_b32_e32 v40, 0x80000000, v40
	v_lshl_add_u32 v42, v42, 23, v55
	v_or3_b32 v61, v40, v42, v56
.LBB646_303:                            ;   in Loop: Header=BB646_215 Depth=1
	s_or_b64 exec, exec, s[18:19]
.LBB646_304:                            ;   in Loop: Header=BB646_215 Depth=1
	s_or_b64 exec, exec, s[16:17]
.LBB646_305:                            ;   in Loop: Header=BB646_215 Depth=1
	s_or_b64 exec, exec, s[14:15]
	v_cmp_lt_u32_e32 vcc, s22, v38
	v_mov_b32_e32 v56, 0
	v_mov_b32_e32 v63, 0
	s_and_saveexec_b64 s[14:15], vcc
	s_cbranch_execz .LBB646_311
; %bb.306:                              ;   in Loop: Header=BB646_215 Depth=1
	v_lshrrev_b32_e32 v40, 24, v38
	v_cmp_ne_u32_e32 vcc, s9, v40
	v_bfrev_b32_e32 v63, 1
	s_and_saveexec_b64 s[16:17], vcc
	s_cbranch_execz .LBB646_310
; %bb.307:                              ;   in Loop: Header=BB646_215 Depth=1
	v_bfe_u32 v38, v38, 24, 7
	v_cmp_ne_u32_e32 vcc, s21, v38
	v_mov_b32_e32 v63, 0x7f800001
	s_and_saveexec_b64 s[18:19], vcc
	s_cbranch_execz .LBB646_309
; %bb.308:                              ;   in Loop: Header=BB646_215 Depth=1
	v_and_b32_e32 v42, 7, v40
	v_ffbh_u32_e32 v64, v42
	v_min_u32_e32 v66, 32, v64
	v_subrev_u32_e32 v64, 28, v66
	v_lshlrev_b64 v[64:65], v64, v[40:41]
	v_lshrrev_b32_e32 v63, 3, v38
	v_sub_u32_e32 v65, 29, v66
	v_and_b32_e32 v64, 7, v64
	v_cmp_gt_u32_e32 vcc, 8, v38
	v_cndmask_b32_e32 v38, v63, v65, vcc
	v_cndmask_b32_e32 v42, v42, v64, vcc
	v_lshlrev_b32_e32 v40, 24, v40
	v_lshlrev_b32_e32 v42, 20, v42
	v_and_b32_e32 v40, 0x80000000, v40
	v_lshl_add_u32 v38, v38, 23, v55
	v_or3_b32 v63, v40, v38, v42
.LBB646_309:                            ;   in Loop: Header=BB646_215 Depth=1
	s_or_b64 exec, exec, s[18:19]
.LBB646_310:                            ;   in Loop: Header=BB646_215 Depth=1
	s_or_b64 exec, exec, s[16:17]
.LBB646_311:                            ;   in Loop: Header=BB646_215 Depth=1
	s_or_b64 exec, exec, s[14:15]
	v_cvt_pkrtz_f16_f32 v65, v44, v60
	buffer_load_dword v44, v46, s[0:3], 0 offen
	buffer_load_dword v42, v46, s[0:3], 0 offen offset:4
	buffer_load_dword v40, v46, s[0:3], 0 offen offset:8
	;; [unrolled: 1-line block ×3, first 2 shown]
	v_cvt_pkrtz_f16_f32 v64, v57, v58
	v_cvt_pkrtz_f16_f32 v58, v59, v62
	;; [unrolled: 1-line block ×3, first 2 shown]
	v_mfma_f32_16x16x16f16 v[34:37], v[64:65], v[6:7], v[34:37]
	s_waitcnt vmcnt(3)
	v_cmp_ne_u16_sdwa s[16:17], v44, v54 src0_sel:BYTE_0 src1_sel:DWORD
	v_mfma_f32_16x16x16f16 v[34:37], v[58:59], v[8:9], v[34:37]
	s_and_saveexec_b64 s[14:15], s[16:17]
	s_cbranch_execz .LBB646_317
; %bb.312:                              ;   in Loop: Header=BB646_215 Depth=1
	v_cmp_ne_u16_sdwa s[18:19], v44, s9 src0_sel:BYTE_0 src1_sel:DWORD
	v_bfrev_b32_e32 v56, 1
	s_and_saveexec_b64 s[16:17], s[18:19]
	s_cbranch_execz .LBB646_316
; %bb.313:                              ;   in Loop: Header=BB646_215 Depth=1
	v_and_b32_e32 v46, 0x7f, v44
	v_cmp_ne_u32_e32 vcc, s21, v46
	v_mov_b32_e32 v56, 0x7f800001
	s_and_saveexec_b64 s[18:19], vcc
	s_cbranch_execz .LBB646_315
; %bb.314:                              ;   in Loop: Header=BB646_215 Depth=1
	v_and_b32_e32 v58, 7, v44
	v_ffbh_u32_e32 v56, v58
	v_min_u32_e32 v60, 32, v56
	v_subrev_u32_e32 v56, 28, v60
	v_lshlrev_b64 v[56:57], v56, v[44:45]
	v_lshrrev_b32_e32 v59, 3, v46
	v_sub_u32_e32 v57, 29, v60
	v_and_b32_e32 v56, 7, v56
	v_cmp_gt_u32_e32 vcc, 8, v46
	v_cndmask_b32_e32 v46, v59, v57, vcc
	v_cndmask_b32_e32 v56, v58, v56, vcc
	v_lshlrev_b32_e32 v57, 24, v44
	v_lshlrev_b32_e32 v56, 20, v56
	v_and_b32_e32 v57, 0x80000000, v57
	v_lshl_add_u32 v46, v46, 23, v55
	v_or3_b32 v56, v57, v46, v56
.LBB646_315:                            ;   in Loop: Header=BB646_215 Depth=1
	s_or_b64 exec, exec, s[18:19]
.LBB646_316:                            ;   in Loop: Header=BB646_215 Depth=1
	s_or_b64 exec, exec, s[16:17]
.LBB646_317:                            ;   in Loop: Header=BB646_215 Depth=1
	s_or_b64 exec, exec, s[14:15]
	v_lshrrev_b16_e32 v46, 8, v44
	v_cmp_ne_u16_e32 vcc, 0, v46
	v_mov_b32_e32 v57, 0
	v_mov_b32_e32 v58, 0
	s_and_saveexec_b64 s[14:15], vcc
	s_cbranch_execz .LBB646_323
; %bb.318:                              ;   in Loop: Header=BB646_215 Depth=1
	v_cmp_ne_u16_e32 vcc, s9, v46
	v_bfrev_b32_e32 v58, 1
	s_and_saveexec_b64 s[16:17], vcc
	s_cbranch_execz .LBB646_322
; %bb.319:                              ;   in Loop: Header=BB646_215 Depth=1
	v_and_b32_e32 v59, 0x7f, v46
	v_cmp_ne_u32_e32 vcc, s21, v59
	v_mov_b32_e32 v58, 0x7f800001
	s_and_saveexec_b64 s[18:19], vcc
	s_cbranch_execz .LBB646_321
; %bb.320:                              ;   in Loop: Header=BB646_215 Depth=1
	v_and_b32_e32 v58, 7, v46
	v_ffbh_u32_e32 v60, v58
	v_min_u32_e32 v63, 32, v60
	v_subrev_u32_e32 v60, 28, v63
	v_lshlrev_b64 v[60:61], v60, v[46:47]
	v_lshrrev_b32_e32 v62, 3, v59
	v_sub_u32_e32 v46, 29, v63
	v_and_b32_e32 v60, 7, v60
	v_cmp_gt_u32_e32 vcc, 8, v59
	v_cndmask_b32_e32 v46, v62, v46, vcc
	v_cndmask_b32_e32 v58, v58, v60, vcc
	v_lshlrev_b32_e32 v59, 16, v44
	v_lshlrev_b32_e32 v58, 20, v58
	v_and_b32_e32 v59, 0x80000000, v59
	v_lshl_add_u32 v46, v46, 23, v55
	v_or3_b32 v58, v59, v46, v58
.LBB646_321:                            ;   in Loop: Header=BB646_215 Depth=1
	s_or_b64 exec, exec, s[18:19]
.LBB646_322:                            ;   in Loop: Header=BB646_215 Depth=1
	s_or_b64 exec, exec, s[16:17]
.LBB646_323:                            ;   in Loop: Header=BB646_215 Depth=1
	s_or_b64 exec, exec, s[14:15]
	v_lshrrev_b32_e32 v46, 16, v44
	v_cmp_ne_u16_sdwa s[16:17], v46, v54 src0_sel:BYTE_0 src1_sel:DWORD
	s_and_saveexec_b64 s[14:15], s[16:17]
	s_cbranch_execz .LBB646_329
; %bb.324:                              ;   in Loop: Header=BB646_215 Depth=1
	v_cmp_ne_u16_sdwa s[18:19], v46, s9 src0_sel:BYTE_0 src1_sel:DWORD
	v_bfrev_b32_e32 v57, 1
	s_and_saveexec_b64 s[16:17], s[18:19]
	s_cbranch_execz .LBB646_328
; %bb.325:                              ;   in Loop: Header=BB646_215 Depth=1
	v_bfe_u32 v59, v44, 16, 7
	v_cmp_ne_u32_e32 vcc, s21, v59
	v_mov_b32_e32 v57, 0x7f800001
	s_and_saveexec_b64 s[18:19], vcc
	s_cbranch_execz .LBB646_327
; %bb.326:                              ;   in Loop: Header=BB646_215 Depth=1
	v_and_b32_e32 v57, 7, v46
	v_ffbh_u32_e32 v60, v57
	v_min_u32_e32 v63, 32, v60
	v_subrev_u32_e32 v60, 28, v63
	v_lshlrev_b64 v[60:61], v60, v[46:47]
	v_lshrrev_b32_e32 v62, 3, v59
	v_sub_u32_e32 v61, 29, v63
	v_and_b32_e32 v60, 7, v60
	v_cmp_gt_u32_e32 vcc, 8, v59
	v_cndmask_b32_e32 v59, v62, v61, vcc
	v_cndmask_b32_e32 v57, v57, v60, vcc
	v_lshlrev_b32_e32 v46, 24, v46
	v_lshlrev_b32_e32 v57, 20, v57
	v_and_b32_e32 v46, 0x80000000, v46
	v_lshl_add_u32 v59, v59, 23, v55
	v_or3_b32 v57, v46, v59, v57
.LBB646_327:                            ;   in Loop: Header=BB646_215 Depth=1
	s_or_b64 exec, exec, s[18:19]
.LBB646_328:                            ;   in Loop: Header=BB646_215 Depth=1
	s_or_b64 exec, exec, s[16:17]
.LBB646_329:                            ;   in Loop: Header=BB646_215 Depth=1
	s_or_b64 exec, exec, s[14:15]
	v_cmp_lt_u32_e32 vcc, s22, v44
	v_mov_b32_e32 v59, 0
	v_mov_b32_e32 v60, 0
	s_and_saveexec_b64 s[14:15], vcc
	s_cbranch_execz .LBB646_335
; %bb.330:                              ;   in Loop: Header=BB646_215 Depth=1
	v_lshrrev_b32_e32 v46, 24, v44
	v_cmp_ne_u32_e32 vcc, s9, v46
	v_bfrev_b32_e32 v60, 1
	s_and_saveexec_b64 s[16:17], vcc
	s_cbranch_execz .LBB646_334
; %bb.331:                              ;   in Loop: Header=BB646_215 Depth=1
	v_bfe_u32 v44, v44, 24, 7
	v_cmp_ne_u32_e32 vcc, s21, v44
	v_mov_b32_e32 v60, 0x7f800001
	s_and_saveexec_b64 s[18:19], vcc
	s_cbranch_execz .LBB646_333
; %bb.332:                              ;   in Loop: Header=BB646_215 Depth=1
	v_and_b32_e32 v62, 7, v46
	v_ffbh_u32_e32 v60, v62
	v_min_u32_e32 v64, 32, v60
	v_subrev_u32_e32 v60, 28, v64
	v_lshlrev_b64 v[60:61], v60, v[46:47]
	v_lshrrev_b32_e32 v63, 3, v44
	v_sub_u32_e32 v61, 29, v64
	v_and_b32_e32 v60, 7, v60
	v_cmp_gt_u32_e32 vcc, 8, v44
	v_cndmask_b32_e32 v44, v63, v61, vcc
	v_cndmask_b32_e32 v60, v62, v60, vcc
	v_lshlrev_b32_e32 v46, 24, v46
	v_lshlrev_b32_e32 v60, 20, v60
	v_and_b32_e32 v46, 0x80000000, v46
	v_lshl_add_u32 v44, v44, 23, v55
	v_or3_b32 v60, v46, v44, v60
.LBB646_333:                            ;   in Loop: Header=BB646_215 Depth=1
	s_or_b64 exec, exec, s[18:19]
.LBB646_334:                            ;   in Loop: Header=BB646_215 Depth=1
	s_or_b64 exec, exec, s[16:17]
.LBB646_335:                            ;   in Loop: Header=BB646_215 Depth=1
	s_or_b64 exec, exec, s[14:15]
	s_waitcnt vmcnt(2)
	v_cmp_ne_u16_sdwa s[16:17], v42, v54 src0_sel:BYTE_0 src1_sel:DWORD
	s_and_saveexec_b64 s[14:15], s[16:17]
	s_cbranch_execz .LBB646_341
; %bb.336:                              ;   in Loop: Header=BB646_215 Depth=1
	v_cmp_ne_u16_sdwa s[18:19], v42, s9 src0_sel:BYTE_0 src1_sel:DWORD
	v_bfrev_b32_e32 v59, 1
	s_and_saveexec_b64 s[16:17], s[18:19]
	s_cbranch_execz .LBB646_340
; %bb.337:                              ;   in Loop: Header=BB646_215 Depth=1
	v_and_b32_e32 v44, 0x7f, v42
	v_cmp_ne_u32_e32 vcc, s21, v44
	v_mov_b32_e32 v59, 0x7f800001
	s_and_saveexec_b64 s[18:19], vcc
	s_cbranch_execz .LBB646_339
; %bb.338:                              ;   in Loop: Header=BB646_215 Depth=1
	v_and_b32_e32 v46, 7, v42
	v_ffbh_u32_e32 v61, v46
	v_min_u32_e32 v61, 32, v61
	v_subrev_u32_e32 v62, 28, v61
	v_lshlrev_b64 v[62:63], v62, v[42:43]
	v_lshrrev_b32_e32 v59, 3, v44
	v_sub_u32_e32 v61, 29, v61
	v_and_b32_e32 v62, 7, v62
	v_cmp_gt_u32_e32 vcc, 8, v44
	v_cndmask_b32_e32 v44, v59, v61, vcc
	v_cndmask_b32_e32 v46, v46, v62, vcc
	v_lshlrev_b32_e32 v59, 24, v42
	v_lshlrev_b32_e32 v46, 20, v46
	v_and_b32_e32 v59, 0x80000000, v59
	v_lshl_add_u32 v44, v44, 23, v55
	v_or3_b32 v59, v59, v44, v46
.LBB646_339:                            ;   in Loop: Header=BB646_215 Depth=1
	s_or_b64 exec, exec, s[18:19]
.LBB646_340:                            ;   in Loop: Header=BB646_215 Depth=1
	s_or_b64 exec, exec, s[16:17]
.LBB646_341:                            ;   in Loop: Header=BB646_215 Depth=1
	s_or_b64 exec, exec, s[14:15]
	v_lshrrev_b16_e32 v44, 8, v42
	v_cmp_ne_u16_e32 vcc, 0, v44
	v_mov_b32_e32 v61, 0
	v_mov_b32_e32 v62, 0
	s_and_saveexec_b64 s[14:15], vcc
	s_cbranch_execz .LBB646_347
; %bb.342:                              ;   in Loop: Header=BB646_215 Depth=1
	v_cmp_ne_u16_e32 vcc, s9, v44
	v_bfrev_b32_e32 v62, 1
	s_and_saveexec_b64 s[16:17], vcc
	s_cbranch_execz .LBB646_346
; %bb.343:                              ;   in Loop: Header=BB646_215 Depth=1
	v_and_b32_e32 v46, 0x7f, v44
	v_cmp_ne_u32_e32 vcc, s21, v46
	v_mov_b32_e32 v62, 0x7f800001
	s_and_saveexec_b64 s[18:19], vcc
	s_cbranch_execz .LBB646_345
; %bb.344:                              ;   in Loop: Header=BB646_215 Depth=1
	v_and_b32_e32 v64, 7, v44
	v_ffbh_u32_e32 v62, v64
	v_min_u32_e32 v66, 32, v62
	v_subrev_u32_e32 v62, 28, v66
	v_lshlrev_b64 v[62:63], v62, v[44:45]
	v_lshrrev_b32_e32 v65, 3, v46
	v_sub_u32_e32 v44, 29, v66
	v_and_b32_e32 v62, 7, v62
	v_cmp_gt_u32_e32 vcc, 8, v46
	v_cndmask_b32_e32 v44, v65, v44, vcc
	v_cndmask_b32_e32 v46, v64, v62, vcc
	v_lshlrev_b32_e32 v62, 16, v42
	v_lshlrev_b32_e32 v46, 20, v46
	v_and_b32_e32 v62, 0x80000000, v62
	v_lshl_add_u32 v44, v44, 23, v55
	v_or3_b32 v62, v62, v44, v46
.LBB646_345:                            ;   in Loop: Header=BB646_215 Depth=1
	s_or_b64 exec, exec, s[18:19]
.LBB646_346:                            ;   in Loop: Header=BB646_215 Depth=1
	s_or_b64 exec, exec, s[16:17]
.LBB646_347:                            ;   in Loop: Header=BB646_215 Depth=1
	s_or_b64 exec, exec, s[14:15]
	v_lshrrev_b32_e32 v44, 16, v42
	v_cmp_ne_u16_sdwa s[16:17], v44, v54 src0_sel:BYTE_0 src1_sel:DWORD
	s_and_saveexec_b64 s[14:15], s[16:17]
	s_cbranch_execz .LBB646_353
; %bb.348:                              ;   in Loop: Header=BB646_215 Depth=1
	v_cmp_ne_u16_sdwa s[18:19], v44, s9 src0_sel:BYTE_0 src1_sel:DWORD
	v_bfrev_b32_e32 v61, 1
	s_and_saveexec_b64 s[16:17], s[18:19]
	s_cbranch_execz .LBB646_352
; %bb.349:                              ;   in Loop: Header=BB646_215 Depth=1
	v_bfe_u32 v46, v42, 16, 7
	v_cmp_ne_u32_e32 vcc, s21, v46
	v_mov_b32_e32 v61, 0x7f800001
	s_and_saveexec_b64 s[18:19], vcc
	s_cbranch_execz .LBB646_351
; %bb.350:                              ;   in Loop: Header=BB646_215 Depth=1
	v_and_b32_e32 v61, 7, v44
	v_ffbh_u32_e32 v64, v61
	v_min_u32_e32 v66, 32, v64
	v_subrev_u32_e32 v64, 28, v66
	v_lshlrev_b64 v[64:65], v64, v[44:45]
	v_lshrrev_b32_e32 v63, 3, v46
	v_sub_u32_e32 v65, 29, v66
	v_and_b32_e32 v64, 7, v64
	v_cmp_gt_u32_e32 vcc, 8, v46
	v_cndmask_b32_e32 v46, v63, v65, vcc
	v_cndmask_b32_e32 v61, v61, v64, vcc
	v_lshlrev_b32_e32 v44, 24, v44
	v_lshlrev_b32_e32 v61, 20, v61
	v_and_b32_e32 v44, 0x80000000, v44
	v_lshl_add_u32 v46, v46, 23, v55
	v_or3_b32 v61, v44, v46, v61
.LBB646_351:                            ;   in Loop: Header=BB646_215 Depth=1
	s_or_b64 exec, exec, s[18:19]
.LBB646_352:                            ;   in Loop: Header=BB646_215 Depth=1
	s_or_b64 exec, exec, s[16:17]
.LBB646_353:                            ;   in Loop: Header=BB646_215 Depth=1
	s_or_b64 exec, exec, s[14:15]
	v_cmp_lt_u32_e32 vcc, s22, v42
	v_mov_b32_e32 v46, 0
	v_mov_b32_e32 v63, 0
	s_and_saveexec_b64 s[14:15], vcc
	s_cbranch_execz .LBB646_359
; %bb.354:                              ;   in Loop: Header=BB646_215 Depth=1
	v_lshrrev_b32_e32 v44, 24, v42
	v_cmp_ne_u32_e32 vcc, s9, v44
	v_bfrev_b32_e32 v63, 1
	s_and_saveexec_b64 s[16:17], vcc
	s_cbranch_execz .LBB646_358
; %bb.355:                              ;   in Loop: Header=BB646_215 Depth=1
	v_bfe_u32 v42, v42, 24, 7
	v_cmp_ne_u32_e32 vcc, s21, v42
	v_mov_b32_e32 v63, 0x7f800001
	s_and_saveexec_b64 s[18:19], vcc
	s_cbranch_execz .LBB646_357
; %bb.356:                              ;   in Loop: Header=BB646_215 Depth=1
	v_and_b32_e32 v63, 7, v44
	v_ffbh_u32_e32 v64, v63
	v_min_u32_e32 v67, 32, v64
	v_subrev_u32_e32 v64, 28, v67
	v_lshlrev_b64 v[64:65], v64, v[44:45]
	v_lshrrev_b32_e32 v66, 3, v42
	v_sub_u32_e32 v65, 29, v67
	v_and_b32_e32 v64, 7, v64
	v_cmp_gt_u32_e32 vcc, 8, v42
	v_cndmask_b32_e32 v42, v66, v65, vcc
	v_cndmask_b32_e32 v63, v63, v64, vcc
	v_lshlrev_b32_e32 v44, 24, v44
	v_lshlrev_b32_e32 v63, 20, v63
	v_and_b32_e32 v44, 0x80000000, v44
	v_lshl_add_u32 v42, v42, 23, v55
	v_or3_b32 v63, v44, v42, v63
.LBB646_357:                            ;   in Loop: Header=BB646_215 Depth=1
	s_or_b64 exec, exec, s[18:19]
.LBB646_358:                            ;   in Loop: Header=BB646_215 Depth=1
	s_or_b64 exec, exec, s[16:17]
.LBB646_359:                            ;   in Loop: Header=BB646_215 Depth=1
	s_or_b64 exec, exec, s[14:15]
	v_cvt_pkrtz_f16_f32 v56, v56, v58
	v_cvt_pkrtz_f16_f32 v57, v57, v60
	s_waitcnt vmcnt(1)
	v_cmp_ne_u16_sdwa s[16:17], v40, v54 src0_sel:BYTE_0 src1_sel:DWORD
	v_mfma_f32_16x16x16f16 v[34:37], v[56:57], v[10:11], v[34:37]
	v_cvt_pkrtz_f16_f32 v56, v59, v62
	v_cvt_pkrtz_f16_f32 v57, v61, v63
	s_nop 1
	v_mfma_f32_16x16x16f16 v[34:37], v[56:57], v[12:13], v[34:37]
	s_and_saveexec_b64 s[14:15], s[16:17]
	s_cbranch_execz .LBB646_365
; %bb.360:                              ;   in Loop: Header=BB646_215 Depth=1
	v_cmp_ne_u16_sdwa s[18:19], v40, s9 src0_sel:BYTE_0 src1_sel:DWORD
	v_bfrev_b32_e32 v46, 1
	s_and_saveexec_b64 s[16:17], s[18:19]
	s_cbranch_execz .LBB646_364
; %bb.361:                              ;   in Loop: Header=BB646_215 Depth=1
	v_and_b32_e32 v42, 0x7f, v40
	v_cmp_ne_u32_e32 vcc, s21, v42
	v_mov_b32_e32 v46, 0x7f800001
	s_and_saveexec_b64 s[18:19], vcc
	s_cbranch_execz .LBB646_363
; %bb.362:                              ;   in Loop: Header=BB646_215 Depth=1
	v_and_b32_e32 v44, 7, v40
	v_ffbh_u32_e32 v56, v44
	v_min_u32_e32 v58, 32, v56
	v_subrev_u32_e32 v56, 28, v58
	v_lshlrev_b64 v[56:57], v56, v[40:41]
	v_lshrrev_b32_e32 v46, 3, v42
	v_sub_u32_e32 v57, 29, v58
	v_and_b32_e32 v56, 7, v56
	v_cmp_gt_u32_e32 vcc, 8, v42
	v_cndmask_b32_e32 v42, v46, v57, vcc
	v_cndmask_b32_e32 v44, v44, v56, vcc
	v_lshlrev_b32_e32 v46, 24, v40
	v_lshlrev_b32_e32 v44, 20, v44
	v_and_b32_e32 v46, 0x80000000, v46
	v_lshl_add_u32 v42, v42, 23, v55
	v_or3_b32 v46, v46, v42, v44
.LBB646_363:                            ;   in Loop: Header=BB646_215 Depth=1
	s_or_b64 exec, exec, s[18:19]
.LBB646_364:                            ;   in Loop: Header=BB646_215 Depth=1
	s_or_b64 exec, exec, s[16:17]
.LBB646_365:                            ;   in Loop: Header=BB646_215 Depth=1
	s_or_b64 exec, exec, s[14:15]
	v_lshrrev_b16_e32 v42, 8, v40
	v_cmp_ne_u16_e32 vcc, 0, v42
	v_mov_b32_e32 v44, 0
	v_mov_b32_e32 v57, 0
	s_and_saveexec_b64 s[14:15], vcc
	s_cbranch_execz .LBB646_371
; %bb.366:                              ;   in Loop: Header=BB646_215 Depth=1
	v_cmp_ne_u16_e32 vcc, s9, v42
	v_bfrev_b32_e32 v57, 1
	s_and_saveexec_b64 s[16:17], vcc
	s_cbranch_execz .LBB646_370
; %bb.367:                              ;   in Loop: Header=BB646_215 Depth=1
	v_and_b32_e32 v56, 0x7f, v42
	v_cmp_ne_u32_e32 vcc, s21, v56
	v_mov_b32_e32 v57, 0x7f800001
	s_and_saveexec_b64 s[18:19], vcc
	s_cbranch_execz .LBB646_369
; %bb.368:                              ;   in Loop: Header=BB646_215 Depth=1
	v_and_b32_e32 v57, 7, v42
	v_ffbh_u32_e32 v58, v57
	v_min_u32_e32 v61, 32, v58
	v_subrev_u32_e32 v58, 28, v61
	v_lshlrev_b64 v[58:59], v58, v[42:43]
	v_lshrrev_b32_e32 v60, 3, v56
	v_sub_u32_e32 v42, 29, v61
	v_and_b32_e32 v58, 7, v58
	v_cmp_gt_u32_e32 vcc, 8, v56
	v_cndmask_b32_e32 v42, v60, v42, vcc
	v_cndmask_b32_e32 v56, v57, v58, vcc
	v_lshlrev_b32_e32 v57, 16, v40
	v_lshlrev_b32_e32 v56, 20, v56
	v_and_b32_e32 v57, 0x80000000, v57
	v_lshl_add_u32 v42, v42, 23, v55
	v_or3_b32 v57, v57, v42, v56
.LBB646_369:                            ;   in Loop: Header=BB646_215 Depth=1
	s_or_b64 exec, exec, s[18:19]
.LBB646_370:                            ;   in Loop: Header=BB646_215 Depth=1
	s_or_b64 exec, exec, s[16:17]
.LBB646_371:                            ;   in Loop: Header=BB646_215 Depth=1
	s_or_b64 exec, exec, s[14:15]
	v_lshrrev_b32_e32 v42, 16, v40
	v_cmp_ne_u16_sdwa s[16:17], v42, v54 src0_sel:BYTE_0 src1_sel:DWORD
	s_and_saveexec_b64 s[14:15], s[16:17]
	s_cbranch_execz .LBB646_377
; %bb.372:                              ;   in Loop: Header=BB646_215 Depth=1
	v_cmp_ne_u16_sdwa s[18:19], v42, s9 src0_sel:BYTE_0 src1_sel:DWORD
	v_bfrev_b32_e32 v44, 1
	s_and_saveexec_b64 s[16:17], s[18:19]
	s_cbranch_execz .LBB646_376
; %bb.373:                              ;   in Loop: Header=BB646_215 Depth=1
	v_bfe_u32 v56, v40, 16, 7
	v_cmp_ne_u32_e32 vcc, s21, v56
	v_mov_b32_e32 v44, 0x7f800001
	s_and_saveexec_b64 s[18:19], vcc
	s_cbranch_execz .LBB646_375
; %bb.374:                              ;   in Loop: Header=BB646_215 Depth=1
	v_and_b32_e32 v44, 7, v42
	v_ffbh_u32_e32 v58, v44
	v_min_u32_e32 v61, 32, v58
	v_subrev_u32_e32 v58, 28, v61
	v_lshlrev_b64 v[58:59], v58, v[42:43]
	v_lshrrev_b32_e32 v60, 3, v56
	v_sub_u32_e32 v59, 29, v61
	v_and_b32_e32 v58, 7, v58
	v_cmp_gt_u32_e32 vcc, 8, v56
	v_cndmask_b32_e32 v56, v60, v59, vcc
	v_cndmask_b32_e32 v44, v44, v58, vcc
	v_lshlrev_b32_e32 v42, 24, v42
	v_lshlrev_b32_e32 v44, 20, v44
	v_and_b32_e32 v42, 0x80000000, v42
	v_lshl_add_u32 v56, v56, 23, v55
	v_or3_b32 v44, v42, v56, v44
.LBB646_375:                            ;   in Loop: Header=BB646_215 Depth=1
	s_or_b64 exec, exec, s[18:19]
.LBB646_376:                            ;   in Loop: Header=BB646_215 Depth=1
	s_or_b64 exec, exec, s[16:17]
.LBB646_377:                            ;   in Loop: Header=BB646_215 Depth=1
	s_or_b64 exec, exec, s[14:15]
	v_cmp_lt_u32_e32 vcc, s22, v40
	v_mov_b32_e32 v58, 0
	v_mov_b32_e32 v59, 0
	s_and_saveexec_b64 s[14:15], vcc
	s_cbranch_execz .LBB646_383
; %bb.378:                              ;   in Loop: Header=BB646_215 Depth=1
	v_lshrrev_b32_e32 v42, 24, v40
	v_cmp_ne_u32_e32 vcc, s9, v42
	v_bfrev_b32_e32 v59, 1
	s_and_saveexec_b64 s[16:17], vcc
	s_cbranch_execz .LBB646_382
; %bb.379:                              ;   in Loop: Header=BB646_215 Depth=1
	v_bfe_u32 v40, v40, 24, 7
	v_cmp_ne_u32_e32 vcc, s21, v40
	v_mov_b32_e32 v59, 0x7f800001
	s_and_saveexec_b64 s[18:19], vcc
	s_cbranch_execz .LBB646_381
; %bb.380:                              ;   in Loop: Header=BB646_215 Depth=1
	v_and_b32_e32 v56, 7, v42
	v_ffbh_u32_e32 v60, v56
	v_min_u32_e32 v62, 32, v60
	v_subrev_u32_e32 v60, 28, v62
	v_lshlrev_b64 v[60:61], v60, v[42:43]
	v_lshrrev_b32_e32 v59, 3, v40
	v_sub_u32_e32 v61, 29, v62
	v_and_b32_e32 v60, 7, v60
	v_cmp_gt_u32_e32 vcc, 8, v40
	v_cndmask_b32_e32 v40, v59, v61, vcc
	v_cndmask_b32_e32 v56, v56, v60, vcc
	v_lshlrev_b32_e32 v42, 24, v42
	v_lshlrev_b32_e32 v56, 20, v56
	v_and_b32_e32 v42, 0x80000000, v42
	v_lshl_add_u32 v40, v40, 23, v55
	v_or3_b32 v59, v42, v40, v56
.LBB646_381:                            ;   in Loop: Header=BB646_215 Depth=1
	s_or_b64 exec, exec, s[18:19]
.LBB646_382:                            ;   in Loop: Header=BB646_215 Depth=1
	s_or_b64 exec, exec, s[16:17]
.LBB646_383:                            ;   in Loop: Header=BB646_215 Depth=1
	s_or_b64 exec, exec, s[14:15]
	s_waitcnt vmcnt(0)
	v_cmp_ne_u16_sdwa s[16:17], v38, v54 src0_sel:BYTE_0 src1_sel:DWORD
	s_and_saveexec_b64 s[14:15], s[16:17]
	s_cbranch_execz .LBB646_389
; %bb.384:                              ;   in Loop: Header=BB646_215 Depth=1
	v_cmp_ne_u16_sdwa s[18:19], v38, s9 src0_sel:BYTE_0 src1_sel:DWORD
	v_bfrev_b32_e32 v58, 1
	s_and_saveexec_b64 s[16:17], s[18:19]
	s_cbranch_execz .LBB646_388
; %bb.385:                              ;   in Loop: Header=BB646_215 Depth=1
	v_and_b32_e32 v40, 0x7f, v38
	v_cmp_ne_u32_e32 vcc, s21, v40
	v_mov_b32_e32 v58, 0x7f800001
	s_and_saveexec_b64 s[18:19], vcc
	s_cbranch_execz .LBB646_387
; %bb.386:                              ;   in Loop: Header=BB646_215 Depth=1
	v_and_b32_e32 v42, 7, v38
	v_ffbh_u32_e32 v58, v42
	v_min_u32_e32 v58, 32, v58
	v_subrev_u32_e32 v60, 28, v58
	v_lshlrev_b64 v[60:61], v60, v[38:39]
	v_lshrrev_b32_e32 v56, 3, v40
	v_sub_u32_e32 v58, 29, v58
	v_and_b32_e32 v60, 7, v60
	v_cmp_gt_u32_e32 vcc, 8, v40
	v_cndmask_b32_e32 v40, v56, v58, vcc
	v_cndmask_b32_e32 v42, v42, v60, vcc
	v_lshlrev_b32_e32 v56, 24, v38
	v_lshlrev_b32_e32 v42, 20, v42
	v_and_b32_e32 v56, 0x80000000, v56
	v_lshl_add_u32 v40, v40, 23, v55
	v_or3_b32 v58, v56, v40, v42
.LBB646_387:                            ;   in Loop: Header=BB646_215 Depth=1
	s_or_b64 exec, exec, s[18:19]
.LBB646_388:                            ;   in Loop: Header=BB646_215 Depth=1
	s_or_b64 exec, exec, s[16:17]
.LBB646_389:                            ;   in Loop: Header=BB646_215 Depth=1
	s_or_b64 exec, exec, s[14:15]
	v_lshrrev_b16_e32 v40, 8, v38
	v_cmp_ne_u16_e32 vcc, 0, v40
	v_mov_b32_e32 v60, 0
	v_mov_b32_e32 v61, 0
	s_and_saveexec_b64 s[14:15], vcc
	s_cbranch_execz .LBB646_395
; %bb.390:                              ;   in Loop: Header=BB646_215 Depth=1
	v_cmp_ne_u16_e32 vcc, s9, v40
	v_bfrev_b32_e32 v61, 1
	s_and_saveexec_b64 s[16:17], vcc
	s_cbranch_execz .LBB646_394
; %bb.391:                              ;   in Loop: Header=BB646_215 Depth=1
	v_and_b32_e32 v42, 0x7f, v40
	v_cmp_ne_u32_e32 vcc, s21, v42
	v_mov_b32_e32 v61, 0x7f800001
	s_and_saveexec_b64 s[18:19], vcc
	s_cbranch_execz .LBB646_393
; %bb.392:                              ;   in Loop: Header=BB646_215 Depth=1
	v_and_b32_e32 v56, 7, v40
	v_ffbh_u32_e32 v62, v56
	v_min_u32_e32 v64, 32, v62
	v_subrev_u32_e32 v62, 28, v64
	v_lshlrev_b64 v[62:63], v62, v[40:41]
	v_lshrrev_b32_e32 v61, 3, v42
	v_sub_u32_e32 v40, 29, v64
	v_and_b32_e32 v62, 7, v62
	v_cmp_gt_u32_e32 vcc, 8, v42
	v_cndmask_b32_e32 v40, v61, v40, vcc
	v_cndmask_b32_e32 v42, v56, v62, vcc
	v_lshlrev_b32_e32 v56, 16, v38
	v_lshlrev_b32_e32 v42, 20, v42
	v_and_b32_e32 v56, 0x80000000, v56
	v_lshl_add_u32 v40, v40, 23, v55
	v_or3_b32 v61, v56, v40, v42
.LBB646_393:                            ;   in Loop: Header=BB646_215 Depth=1
	s_or_b64 exec, exec, s[18:19]
.LBB646_394:                            ;   in Loop: Header=BB646_215 Depth=1
	s_or_b64 exec, exec, s[16:17]
.LBB646_395:                            ;   in Loop: Header=BB646_215 Depth=1
	s_or_b64 exec, exec, s[14:15]
	v_lshrrev_b32_e32 v40, 16, v38
	v_cmp_ne_u16_sdwa s[16:17], v40, v54 src0_sel:BYTE_0 src1_sel:DWORD
	s_and_saveexec_b64 s[14:15], s[16:17]
	s_cbranch_execz .LBB646_401
; %bb.396:                              ;   in Loop: Header=BB646_215 Depth=1
	v_cmp_ne_u16_sdwa s[18:19], v40, s9 src0_sel:BYTE_0 src1_sel:DWORD
	v_bfrev_b32_e32 v60, 1
	s_and_saveexec_b64 s[16:17], s[18:19]
	s_cbranch_execz .LBB646_400
; %bb.397:                              ;   in Loop: Header=BB646_215 Depth=1
	v_bfe_u32 v42, v38, 16, 7
	v_cmp_ne_u32_e32 vcc, s21, v42
	v_mov_b32_e32 v60, 0x7f800001
	s_and_saveexec_b64 s[18:19], vcc
	s_cbranch_execz .LBB646_399
; %bb.398:                              ;   in Loop: Header=BB646_215 Depth=1
	v_and_b32_e32 v56, 7, v40
	v_ffbh_u32_e32 v62, v56
	v_min_u32_e32 v64, 32, v62
	v_subrev_u32_e32 v62, 28, v64
	v_lshlrev_b64 v[62:63], v62, v[40:41]
	v_lshrrev_b32_e32 v60, 3, v42
	v_sub_u32_e32 v63, 29, v64
	v_and_b32_e32 v62, 7, v62
	v_cmp_gt_u32_e32 vcc, 8, v42
	v_cndmask_b32_e32 v42, v60, v63, vcc
	v_cndmask_b32_e32 v56, v56, v62, vcc
	v_lshlrev_b32_e32 v40, 24, v40
	v_lshlrev_b32_e32 v56, 20, v56
	v_and_b32_e32 v40, 0x80000000, v40
	v_lshl_add_u32 v42, v42, 23, v55
	v_or3_b32 v60, v40, v42, v56
.LBB646_399:                            ;   in Loop: Header=BB646_215 Depth=1
	s_or_b64 exec, exec, s[18:19]
.LBB646_400:                            ;   in Loop: Header=BB646_215 Depth=1
	s_or_b64 exec, exec, s[16:17]
.LBB646_401:                            ;   in Loop: Header=BB646_215 Depth=1
	s_or_b64 exec, exec, s[14:15]
	v_cmp_lt_u32_e32 vcc, s22, v38
	v_mov_b32_e32 v56, 0
	v_mov_b32_e32 v62, 0
	s_and_saveexec_b64 s[14:15], vcc
	s_cbranch_execz .LBB646_407
; %bb.402:                              ;   in Loop: Header=BB646_215 Depth=1
	v_lshrrev_b32_e32 v40, 24, v38
	v_cmp_ne_u32_e32 vcc, s9, v40
	v_bfrev_b32_e32 v62, 1
	s_and_saveexec_b64 s[16:17], vcc
	s_cbranch_execz .LBB646_406
; %bb.403:                              ;   in Loop: Header=BB646_215 Depth=1
	v_bfe_u32 v38, v38, 24, 7
	v_cmp_ne_u32_e32 vcc, s21, v38
	v_mov_b32_e32 v62, 0x7f800001
	s_and_saveexec_b64 s[18:19], vcc
	s_cbranch_execz .LBB646_405
; %bb.404:                              ;   in Loop: Header=BB646_215 Depth=1
	v_and_b32_e32 v42, 7, v40
	v_ffbh_u32_e32 v62, v42
	v_min_u32_e32 v65, 32, v62
	v_subrev_u32_e32 v62, 28, v65
	v_lshlrev_b64 v[62:63], v62, v[40:41]
	v_lshrrev_b32_e32 v64, 3, v38
	v_sub_u32_e32 v63, 29, v65
	v_and_b32_e32 v62, 7, v62
	v_cmp_gt_u32_e32 vcc, 8, v38
	v_cndmask_b32_e32 v38, v64, v63, vcc
	v_cndmask_b32_e32 v42, v42, v62, vcc
	v_lshlrev_b32_e32 v40, 24, v40
	v_lshlrev_b32_e32 v42, 20, v42
	v_and_b32_e32 v40, 0x80000000, v40
	v_lshl_add_u32 v38, v38, 23, v55
	v_or3_b32 v62, v40, v38, v42
.LBB646_405:                            ;   in Loop: Header=BB646_215 Depth=1
	s_or_b64 exec, exec, s[18:19]
.LBB646_406:                            ;   in Loop: Header=BB646_215 Depth=1
	s_or_b64 exec, exec, s[16:17]
.LBB646_407:                            ;   in Loop: Header=BB646_215 Depth=1
	s_or_b64 exec, exec, s[14:15]
	v_cvt_pkrtz_f16_f32 v65, v44, v59
	buffer_load_dword v44, v51, s[0:3], 0 offen
	buffer_load_dword v42, v51, s[0:3], 0 offen offset:4
	buffer_load_dword v40, v51, s[0:3], 0 offen offset:8
	;; [unrolled: 1-line block ×3, first 2 shown]
	v_cvt_pkrtz_f16_f32 v64, v46, v57
	v_cvt_pkrtz_f16_f32 v58, v58, v61
	;; [unrolled: 1-line block ×3, first 2 shown]
	v_mfma_f32_16x16x16f16 v[34:37], v[64:65], v[14:15], v[34:37]
	s_waitcnt vmcnt(3)
	v_cmp_ne_u16_sdwa s[16:17], v44, v54 src0_sel:BYTE_0 src1_sel:DWORD
	v_mfma_f32_16x16x16f16 v[34:37], v[58:59], v[16:17], v[34:37]
	s_and_saveexec_b64 s[14:15], s[16:17]
	s_cbranch_execz .LBB646_413
; %bb.408:                              ;   in Loop: Header=BB646_215 Depth=1
	v_cmp_ne_u16_sdwa s[18:19], v44, s9 src0_sel:BYTE_0 src1_sel:DWORD
	v_bfrev_b32_e32 v56, 1
	s_and_saveexec_b64 s[16:17], s[18:19]
	s_cbranch_execz .LBB646_412
; %bb.409:                              ;   in Loop: Header=BB646_215 Depth=1
	v_and_b32_e32 v46, 0x7f, v44
	v_cmp_ne_u32_e32 vcc, s21, v46
	v_mov_b32_e32 v56, 0x7f800001
	s_and_saveexec_b64 s[18:19], vcc
	s_cbranch_execz .LBB646_411
; %bb.410:                              ;   in Loop: Header=BB646_215 Depth=1
	v_and_b32_e32 v51, 7, v44
	v_ffbh_u32_e32 v56, v51
	v_min_u32_e32 v59, 32, v56
	v_subrev_u32_e32 v56, 28, v59
	v_lshlrev_b64 v[56:57], v56, v[44:45]
	v_lshrrev_b32_e32 v58, 3, v46
	v_sub_u32_e32 v57, 29, v59
	v_and_b32_e32 v56, 7, v56
	v_cmp_gt_u32_e32 vcc, 8, v46
	v_cndmask_b32_e32 v46, v58, v57, vcc
	v_cndmask_b32_e32 v51, v51, v56, vcc
	v_lshlrev_b32_e32 v56, 24, v44
	v_lshlrev_b32_e32 v51, 20, v51
	v_and_b32_e32 v56, 0x80000000, v56
	v_lshl_add_u32 v46, v46, 23, v55
	v_or3_b32 v56, v56, v46, v51
.LBB646_411:                            ;   in Loop: Header=BB646_215 Depth=1
	s_or_b64 exec, exec, s[18:19]
.LBB646_412:                            ;   in Loop: Header=BB646_215 Depth=1
	s_or_b64 exec, exec, s[16:17]
.LBB646_413:                            ;   in Loop: Header=BB646_215 Depth=1
	s_or_b64 exec, exec, s[14:15]
	v_lshrrev_b16_e32 v46, 8, v44
	v_cmp_ne_u16_e32 vcc, 0, v46
	v_mov_b32_e32 v51, 0
	v_mov_b32_e32 v57, 0
	s_and_saveexec_b64 s[14:15], vcc
	s_cbranch_execz .LBB646_419
; %bb.414:                              ;   in Loop: Header=BB646_215 Depth=1
	v_cmp_ne_u16_e32 vcc, s9, v46
	v_bfrev_b32_e32 v57, 1
	s_and_saveexec_b64 s[16:17], vcc
	s_cbranch_execz .LBB646_418
; %bb.415:                              ;   in Loop: Header=BB646_215 Depth=1
	v_and_b32_e32 v58, 0x7f, v46
	v_cmp_ne_u32_e32 vcc, s21, v58
	v_mov_b32_e32 v57, 0x7f800001
	s_and_saveexec_b64 s[18:19], vcc
	s_cbranch_execz .LBB646_417
; %bb.416:                              ;   in Loop: Header=BB646_215 Depth=1
	v_and_b32_e32 v57, 7, v46
	v_ffbh_u32_e32 v60, v57
	v_min_u32_e32 v62, 32, v60
	v_subrev_u32_e32 v60, 28, v62
	v_lshlrev_b64 v[60:61], v60, v[46:47]
	v_lshrrev_b32_e32 v59, 3, v58
	v_sub_u32_e32 v46, 29, v62
	v_and_b32_e32 v60, 7, v60
	v_cmp_gt_u32_e32 vcc, 8, v58
	v_cndmask_b32_e32 v46, v59, v46, vcc
	v_cndmask_b32_e32 v57, v57, v60, vcc
	v_lshlrev_b32_e32 v58, 16, v44
	v_lshlrev_b32_e32 v57, 20, v57
	v_and_b32_e32 v58, 0x80000000, v58
	v_lshl_add_u32 v46, v46, 23, v55
	v_or3_b32 v57, v58, v46, v57
.LBB646_417:                            ;   in Loop: Header=BB646_215 Depth=1
	s_or_b64 exec, exec, s[18:19]
.LBB646_418:                            ;   in Loop: Header=BB646_215 Depth=1
	s_or_b64 exec, exec, s[16:17]
.LBB646_419:                            ;   in Loop: Header=BB646_215 Depth=1
	s_or_b64 exec, exec, s[14:15]
	v_lshrrev_b32_e32 v46, 16, v44
	v_cmp_ne_u16_sdwa s[16:17], v46, v54 src0_sel:BYTE_0 src1_sel:DWORD
	s_and_saveexec_b64 s[14:15], s[16:17]
	s_cbranch_execz .LBB646_425
; %bb.420:                              ;   in Loop: Header=BB646_215 Depth=1
	v_cmp_ne_u16_sdwa s[18:19], v46, s9 src0_sel:BYTE_0 src1_sel:DWORD
	v_bfrev_b32_e32 v51, 1
	s_and_saveexec_b64 s[16:17], s[18:19]
	s_cbranch_execz .LBB646_424
; %bb.421:                              ;   in Loop: Header=BB646_215 Depth=1
	v_bfe_u32 v58, v44, 16, 7
	v_cmp_ne_u32_e32 vcc, s21, v58
	v_mov_b32_e32 v51, 0x7f800001
	s_and_saveexec_b64 s[18:19], vcc
	s_cbranch_execz .LBB646_423
; %bb.422:                              ;   in Loop: Header=BB646_215 Depth=1
	v_and_b32_e32 v51, 7, v46
	v_ffbh_u32_e32 v60, v51
	v_min_u32_e32 v62, 32, v60
	v_subrev_u32_e32 v60, 28, v62
	v_lshlrev_b64 v[60:61], v60, v[46:47]
	v_lshrrev_b32_e32 v59, 3, v58
	v_sub_u32_e32 v61, 29, v62
	v_and_b32_e32 v60, 7, v60
	v_cmp_gt_u32_e32 vcc, 8, v58
	v_cndmask_b32_e32 v58, v59, v61, vcc
	v_cndmask_b32_e32 v51, v51, v60, vcc
	v_lshlrev_b32_e32 v46, 24, v46
	v_lshlrev_b32_e32 v51, 20, v51
	v_and_b32_e32 v46, 0x80000000, v46
	v_lshl_add_u32 v58, v58, 23, v55
	v_or3_b32 v51, v46, v58, v51
.LBB646_423:                            ;   in Loop: Header=BB646_215 Depth=1
	s_or_b64 exec, exec, s[18:19]
.LBB646_424:                            ;   in Loop: Header=BB646_215 Depth=1
	s_or_b64 exec, exec, s[16:17]
.LBB646_425:                            ;   in Loop: Header=BB646_215 Depth=1
	s_or_b64 exec, exec, s[14:15]
	v_cmp_lt_u32_e32 vcc, s22, v44
	v_mov_b32_e32 v58, 0
	v_mov_b32_e32 v59, 0
	s_and_saveexec_b64 s[14:15], vcc
	s_cbranch_execz .LBB646_431
; %bb.426:                              ;   in Loop: Header=BB646_215 Depth=1
	v_lshrrev_b32_e32 v46, 24, v44
	v_cmp_ne_u32_e32 vcc, s9, v46
	v_bfrev_b32_e32 v59, 1
	s_and_saveexec_b64 s[16:17], vcc
	s_cbranch_execz .LBB646_430
; %bb.427:                              ;   in Loop: Header=BB646_215 Depth=1
	v_bfe_u32 v44, v44, 24, 7
	v_cmp_ne_u32_e32 vcc, s21, v44
	v_mov_b32_e32 v59, 0x7f800001
	s_and_saveexec_b64 s[18:19], vcc
	s_cbranch_execz .LBB646_429
; %bb.428:                              ;   in Loop: Header=BB646_215 Depth=1
	v_and_b32_e32 v59, 7, v46
	v_ffbh_u32_e32 v60, v59
	v_min_u32_e32 v63, 32, v60
	v_subrev_u32_e32 v60, 28, v63
	v_lshlrev_b64 v[60:61], v60, v[46:47]
	v_lshrrev_b32_e32 v62, 3, v44
	v_sub_u32_e32 v61, 29, v63
	v_and_b32_e32 v60, 7, v60
	v_cmp_gt_u32_e32 vcc, 8, v44
	v_cndmask_b32_e32 v44, v62, v61, vcc
	v_cndmask_b32_e32 v59, v59, v60, vcc
	v_lshlrev_b32_e32 v46, 24, v46
	v_lshlrev_b32_e32 v59, 20, v59
	v_and_b32_e32 v46, 0x80000000, v46
	v_lshl_add_u32 v44, v44, 23, v55
	v_or3_b32 v59, v46, v44, v59
.LBB646_429:                            ;   in Loop: Header=BB646_215 Depth=1
	s_or_b64 exec, exec, s[18:19]
.LBB646_430:                            ;   in Loop: Header=BB646_215 Depth=1
	s_or_b64 exec, exec, s[16:17]
.LBB646_431:                            ;   in Loop: Header=BB646_215 Depth=1
	s_or_b64 exec, exec, s[14:15]
	s_waitcnt vmcnt(2)
	v_cmp_ne_u16_sdwa s[16:17], v42, v54 src0_sel:BYTE_0 src1_sel:DWORD
	s_and_saveexec_b64 s[14:15], s[16:17]
	s_cbranch_execz .LBB646_437
; %bb.432:                              ;   in Loop: Header=BB646_215 Depth=1
	v_cmp_ne_u16_sdwa s[18:19], v42, s9 src0_sel:BYTE_0 src1_sel:DWORD
	v_bfrev_b32_e32 v58, 1
	s_and_saveexec_b64 s[16:17], s[18:19]
	s_cbranch_execz .LBB646_436
; %bb.433:                              ;   in Loop: Header=BB646_215 Depth=1
	v_and_b32_e32 v44, 0x7f, v42
	v_cmp_ne_u32_e32 vcc, s21, v44
	v_mov_b32_e32 v58, 0x7f800001
	s_and_saveexec_b64 s[18:19], vcc
	s_cbranch_execz .LBB646_435
; %bb.434:                              ;   in Loop: Header=BB646_215 Depth=1
	v_and_b32_e32 v46, 7, v42
	v_ffbh_u32_e32 v60, v46
	v_min_u32_e32 v62, 32, v60
	v_subrev_u32_e32 v60, 28, v62
	v_lshlrev_b64 v[60:61], v60, v[42:43]
	v_lshrrev_b32_e32 v58, 3, v44
	v_sub_u32_e32 v61, 29, v62
	v_and_b32_e32 v60, 7, v60
	v_cmp_gt_u32_e32 vcc, 8, v44
	v_cndmask_b32_e32 v44, v58, v61, vcc
	v_cndmask_b32_e32 v46, v46, v60, vcc
	v_lshlrev_b32_e32 v58, 24, v42
	v_lshlrev_b32_e32 v46, 20, v46
	v_and_b32_e32 v58, 0x80000000, v58
	v_lshl_add_u32 v44, v44, 23, v55
	v_or3_b32 v58, v58, v44, v46
.LBB646_435:                            ;   in Loop: Header=BB646_215 Depth=1
	s_or_b64 exec, exec, s[18:19]
.LBB646_436:                            ;   in Loop: Header=BB646_215 Depth=1
	s_or_b64 exec, exec, s[16:17]
.LBB646_437:                            ;   in Loop: Header=BB646_215 Depth=1
	s_or_b64 exec, exec, s[14:15]
	v_lshrrev_b16_e32 v44, 8, v42
	v_cmp_ne_u16_e32 vcc, 0, v44
	v_mov_b32_e32 v60, 0
	v_mov_b32_e32 v61, 0
	s_and_saveexec_b64 s[14:15], vcc
	s_cbranch_execz .LBB646_443
; %bb.438:                              ;   in Loop: Header=BB646_215 Depth=1
	v_cmp_ne_u16_e32 vcc, s9, v44
	v_bfrev_b32_e32 v61, 1
	s_and_saveexec_b64 s[16:17], vcc
	s_cbranch_execz .LBB646_442
; %bb.439:                              ;   in Loop: Header=BB646_215 Depth=1
	v_and_b32_e32 v46, 0x7f, v44
	v_cmp_ne_u32_e32 vcc, s21, v46
	v_mov_b32_e32 v61, 0x7f800001
	s_and_saveexec_b64 s[18:19], vcc
	s_cbranch_execz .LBB646_441
; %bb.440:                              ;   in Loop: Header=BB646_215 Depth=1
	v_and_b32_e32 v61, 7, v44
	v_ffbh_u32_e32 v62, v61
	v_min_u32_e32 v65, 32, v62
	v_subrev_u32_e32 v62, 28, v65
	v_lshlrev_b64 v[62:63], v62, v[44:45]
	v_lshrrev_b32_e32 v64, 3, v46
	v_sub_u32_e32 v44, 29, v65
	v_and_b32_e32 v62, 7, v62
	v_cmp_gt_u32_e32 vcc, 8, v46
	v_cndmask_b32_e32 v44, v64, v44, vcc
	v_cndmask_b32_e32 v46, v61, v62, vcc
	v_lshlrev_b32_e32 v61, 16, v42
	v_lshlrev_b32_e32 v46, 20, v46
	v_and_b32_e32 v61, 0x80000000, v61
	v_lshl_add_u32 v44, v44, 23, v55
	v_or3_b32 v61, v61, v44, v46
.LBB646_441:                            ;   in Loop: Header=BB646_215 Depth=1
	s_or_b64 exec, exec, s[18:19]
.LBB646_442:                            ;   in Loop: Header=BB646_215 Depth=1
	s_or_b64 exec, exec, s[16:17]
.LBB646_443:                            ;   in Loop: Header=BB646_215 Depth=1
	s_or_b64 exec, exec, s[14:15]
	v_lshrrev_b32_e32 v44, 16, v42
	v_cmp_ne_u16_sdwa s[16:17], v44, v54 src0_sel:BYTE_0 src1_sel:DWORD
	s_and_saveexec_b64 s[14:15], s[16:17]
	s_cbranch_execz .LBB646_449
; %bb.444:                              ;   in Loop: Header=BB646_215 Depth=1
	v_cmp_ne_u16_sdwa s[18:19], v44, s9 src0_sel:BYTE_0 src1_sel:DWORD
	v_bfrev_b32_e32 v60, 1
	s_and_saveexec_b64 s[16:17], s[18:19]
	s_cbranch_execz .LBB646_448
; %bb.445:                              ;   in Loop: Header=BB646_215 Depth=1
	v_bfe_u32 v46, v42, 16, 7
	v_cmp_ne_u32_e32 vcc, s21, v46
	v_mov_b32_e32 v60, 0x7f800001
	s_and_saveexec_b64 s[18:19], vcc
	s_cbranch_execz .LBB646_447
; %bb.446:                              ;   in Loop: Header=BB646_215 Depth=1
	v_and_b32_e32 v60, 7, v44
	v_ffbh_u32_e32 v62, v60
	v_min_u32_e32 v65, 32, v62
	v_subrev_u32_e32 v62, 28, v65
	v_lshlrev_b64 v[62:63], v62, v[44:45]
	v_lshrrev_b32_e32 v64, 3, v46
	v_sub_u32_e32 v63, 29, v65
	v_and_b32_e32 v62, 7, v62
	v_cmp_gt_u32_e32 vcc, 8, v46
	v_cndmask_b32_e32 v46, v64, v63, vcc
	v_cndmask_b32_e32 v60, v60, v62, vcc
	v_lshlrev_b32_e32 v44, 24, v44
	v_lshlrev_b32_e32 v60, 20, v60
	v_and_b32_e32 v44, 0x80000000, v44
	v_lshl_add_u32 v46, v46, 23, v55
	v_or3_b32 v60, v44, v46, v60
.LBB646_447:                            ;   in Loop: Header=BB646_215 Depth=1
	s_or_b64 exec, exec, s[18:19]
.LBB646_448:                            ;   in Loop: Header=BB646_215 Depth=1
	s_or_b64 exec, exec, s[16:17]
.LBB646_449:                            ;   in Loop: Header=BB646_215 Depth=1
	s_or_b64 exec, exec, s[14:15]
	v_cmp_lt_u32_e32 vcc, s22, v42
	v_mov_b32_e32 v46, 0
	v_mov_b32_e32 v62, 0
	s_and_saveexec_b64 s[14:15], vcc
	s_cbranch_execz .LBB646_455
; %bb.450:                              ;   in Loop: Header=BB646_215 Depth=1
	v_lshrrev_b32_e32 v44, 24, v42
	v_cmp_ne_u32_e32 vcc, s9, v44
	v_bfrev_b32_e32 v62, 1
	s_and_saveexec_b64 s[16:17], vcc
	s_cbranch_execz .LBB646_454
; %bb.451:                              ;   in Loop: Header=BB646_215 Depth=1
	v_bfe_u32 v42, v42, 24, 7
	v_cmp_ne_u32_e32 vcc, s21, v42
	v_mov_b32_e32 v62, 0x7f800001
	s_and_saveexec_b64 s[18:19], vcc
	s_cbranch_execz .LBB646_453
; %bb.452:                              ;   in Loop: Header=BB646_215 Depth=1
	v_and_b32_e32 v64, 7, v44
	v_ffbh_u32_e32 v62, v64
	v_min_u32_e32 v66, 32, v62
	v_subrev_u32_e32 v62, 28, v66
	v_lshlrev_b64 v[62:63], v62, v[44:45]
	v_lshrrev_b32_e32 v65, 3, v42
	v_sub_u32_e32 v63, 29, v66
	v_and_b32_e32 v62, 7, v62
	v_cmp_gt_u32_e32 vcc, 8, v42
	v_cndmask_b32_e32 v42, v65, v63, vcc
	v_cndmask_b32_e32 v62, v64, v62, vcc
	v_lshlrev_b32_e32 v44, 24, v44
	v_lshlrev_b32_e32 v62, 20, v62
	v_and_b32_e32 v44, 0x80000000, v44
	v_lshl_add_u32 v42, v42, 23, v55
	v_or3_b32 v62, v44, v42, v62
.LBB646_453:                            ;   in Loop: Header=BB646_215 Depth=1
	s_or_b64 exec, exec, s[18:19]
.LBB646_454:                            ;   in Loop: Header=BB646_215 Depth=1
	s_or_b64 exec, exec, s[16:17]
.LBB646_455:                            ;   in Loop: Header=BB646_215 Depth=1
	s_or_b64 exec, exec, s[14:15]
	v_cvt_pkrtz_f16_f32 v56, v56, v57
	v_cvt_pkrtz_f16_f32 v57, v51, v59
	s_waitcnt vmcnt(1)
	v_cmp_ne_u16_sdwa s[16:17], v40, v54 src0_sel:BYTE_0 src1_sel:DWORD
	v_mfma_f32_16x16x16f16 v[34:37], v[56:57], v[18:19], v[34:37]
	v_cvt_pkrtz_f16_f32 v56, v58, v61
	v_cvt_pkrtz_f16_f32 v57, v60, v62
	s_nop 1
	v_mfma_f32_16x16x16f16 v[34:37], v[56:57], v[20:21], v[34:37]
	s_and_saveexec_b64 s[14:15], s[16:17]
	s_cbranch_execz .LBB646_461
; %bb.456:                              ;   in Loop: Header=BB646_215 Depth=1
	v_cmp_ne_u16_sdwa s[18:19], v40, s9 src0_sel:BYTE_0 src1_sel:DWORD
	v_bfrev_b32_e32 v46, 1
	s_and_saveexec_b64 s[16:17], s[18:19]
	s_cbranch_execz .LBB646_460
; %bb.457:                              ;   in Loop: Header=BB646_215 Depth=1
	v_and_b32_e32 v42, 0x7f, v40
	v_cmp_ne_u32_e32 vcc, s21, v42
	v_mov_b32_e32 v46, 0x7f800001
	s_and_saveexec_b64 s[18:19], vcc
	s_cbranch_execz .LBB646_459
; %bb.458:                              ;   in Loop: Header=BB646_215 Depth=1
	v_and_b32_e32 v44, 7, v40
	v_ffbh_u32_e32 v51, v44
	v_min_u32_e32 v51, 32, v51
	v_subrev_u32_e32 v56, 28, v51
	v_lshlrev_b64 v[56:57], v56, v[40:41]
	v_lshrrev_b32_e32 v46, 3, v42
	v_sub_u32_e32 v51, 29, v51
	v_and_b32_e32 v56, 7, v56
	v_cmp_gt_u32_e32 vcc, 8, v42
	v_cndmask_b32_e32 v42, v46, v51, vcc
	v_cndmask_b32_e32 v44, v44, v56, vcc
	v_lshlrev_b32_e32 v46, 24, v40
	v_lshlrev_b32_e32 v44, 20, v44
	v_and_b32_e32 v46, 0x80000000, v46
	v_lshl_add_u32 v42, v42, 23, v55
	v_or3_b32 v46, v46, v42, v44
.LBB646_459:                            ;   in Loop: Header=BB646_215 Depth=1
	s_or_b64 exec, exec, s[18:19]
.LBB646_460:                            ;   in Loop: Header=BB646_215 Depth=1
	s_or_b64 exec, exec, s[16:17]
.LBB646_461:                            ;   in Loop: Header=BB646_215 Depth=1
	s_or_b64 exec, exec, s[14:15]
	v_lshrrev_b16_e32 v42, 8, v40
	v_cmp_ne_u16_e32 vcc, 0, v42
	v_mov_b32_e32 v44, 0
	v_mov_b32_e32 v56, 0
	s_and_saveexec_b64 s[14:15], vcc
	s_cbranch_execz .LBB646_467
; %bb.462:                              ;   in Loop: Header=BB646_215 Depth=1
	v_cmp_ne_u16_e32 vcc, s9, v42
	v_bfrev_b32_e32 v56, 1
	s_and_saveexec_b64 s[16:17], vcc
	s_cbranch_execz .LBB646_466
; %bb.463:                              ;   in Loop: Header=BB646_215 Depth=1
	v_and_b32_e32 v51, 0x7f, v42
	v_cmp_ne_u32_e32 vcc, s21, v51
	v_mov_b32_e32 v56, 0x7f800001
	s_and_saveexec_b64 s[18:19], vcc
	s_cbranch_execz .LBB646_465
; %bb.464:                              ;   in Loop: Header=BB646_215 Depth=1
	v_and_b32_e32 v58, 7, v42
	v_ffbh_u32_e32 v56, v58
	v_min_u32_e32 v60, 32, v56
	v_subrev_u32_e32 v56, 28, v60
	v_lshlrev_b64 v[56:57], v56, v[42:43]
	v_lshrrev_b32_e32 v59, 3, v51
	v_sub_u32_e32 v42, 29, v60
	v_and_b32_e32 v56, 7, v56
	v_cmp_gt_u32_e32 vcc, 8, v51
	v_cndmask_b32_e32 v42, v59, v42, vcc
	v_cndmask_b32_e32 v51, v58, v56, vcc
	v_lshlrev_b32_e32 v56, 16, v40
	v_lshlrev_b32_e32 v51, 20, v51
	v_and_b32_e32 v56, 0x80000000, v56
	v_lshl_add_u32 v42, v42, 23, v55
	v_or3_b32 v56, v56, v42, v51
.LBB646_465:                            ;   in Loop: Header=BB646_215 Depth=1
	s_or_b64 exec, exec, s[18:19]
.LBB646_466:                            ;   in Loop: Header=BB646_215 Depth=1
	s_or_b64 exec, exec, s[16:17]
.LBB646_467:                            ;   in Loop: Header=BB646_215 Depth=1
	s_or_b64 exec, exec, s[14:15]
	v_lshrrev_b32_e32 v42, 16, v40
	v_cmp_ne_u16_sdwa s[16:17], v42, v54 src0_sel:BYTE_0 src1_sel:DWORD
	s_and_saveexec_b64 s[14:15], s[16:17]
	s_cbranch_execz .LBB646_473
; %bb.468:                              ;   in Loop: Header=BB646_215 Depth=1
	v_cmp_ne_u16_sdwa s[18:19], v42, s9 src0_sel:BYTE_0 src1_sel:DWORD
	v_bfrev_b32_e32 v44, 1
	s_and_saveexec_b64 s[16:17], s[18:19]
	s_cbranch_execz .LBB646_472
; %bb.469:                              ;   in Loop: Header=BB646_215 Depth=1
	v_bfe_u32 v51, v40, 16, 7
	v_cmp_ne_u32_e32 vcc, s21, v51
	v_mov_b32_e32 v44, 0x7f800001
	s_and_saveexec_b64 s[18:19], vcc
	s_cbranch_execz .LBB646_471
; %bb.470:                              ;   in Loop: Header=BB646_215 Depth=1
	v_and_b32_e32 v44, 7, v42
	v_ffbh_u32_e32 v58, v44
	v_min_u32_e32 v60, 32, v58
	v_subrev_u32_e32 v58, 28, v60
	v_lshlrev_b64 v[58:59], v58, v[42:43]
	v_lshrrev_b32_e32 v57, 3, v51
	v_sub_u32_e32 v59, 29, v60
	v_and_b32_e32 v58, 7, v58
	v_cmp_gt_u32_e32 vcc, 8, v51
	v_cndmask_b32_e32 v51, v57, v59, vcc
	v_cndmask_b32_e32 v44, v44, v58, vcc
	v_lshlrev_b32_e32 v42, 24, v42
	v_lshlrev_b32_e32 v44, 20, v44
	v_and_b32_e32 v42, 0x80000000, v42
	v_lshl_add_u32 v51, v51, 23, v55
	v_or3_b32 v44, v42, v51, v44
.LBB646_471:                            ;   in Loop: Header=BB646_215 Depth=1
	s_or_b64 exec, exec, s[18:19]
.LBB646_472:                            ;   in Loop: Header=BB646_215 Depth=1
	s_or_b64 exec, exec, s[16:17]
.LBB646_473:                            ;   in Loop: Header=BB646_215 Depth=1
	s_or_b64 exec, exec, s[14:15]
	v_cmp_lt_u32_e32 vcc, s22, v40
	v_mov_b32_e32 v57, 0
	v_mov_b32_e32 v58, 0
	s_and_saveexec_b64 s[14:15], vcc
	s_cbranch_execz .LBB646_479
; %bb.474:                              ;   in Loop: Header=BB646_215 Depth=1
	v_lshrrev_b32_e32 v42, 24, v40
	v_cmp_ne_u32_e32 vcc, s9, v42
	v_bfrev_b32_e32 v58, 1
	s_and_saveexec_b64 s[16:17], vcc
	s_cbranch_execz .LBB646_478
; %bb.475:                              ;   in Loop: Header=BB646_215 Depth=1
	v_bfe_u32 v40, v40, 24, 7
	v_cmp_ne_u32_e32 vcc, s21, v40
	v_mov_b32_e32 v58, 0x7f800001
	s_and_saveexec_b64 s[18:19], vcc
	s_cbranch_execz .LBB646_477
; %bb.476:                              ;   in Loop: Header=BB646_215 Depth=1
	v_and_b32_e32 v51, 7, v42
	v_ffbh_u32_e32 v58, v51
	v_min_u32_e32 v61, 32, v58
	v_subrev_u32_e32 v58, 28, v61
	v_lshlrev_b64 v[58:59], v58, v[42:43]
	v_lshrrev_b32_e32 v60, 3, v40
	v_sub_u32_e32 v59, 29, v61
	v_and_b32_e32 v58, 7, v58
	v_cmp_gt_u32_e32 vcc, 8, v40
	v_cndmask_b32_e32 v40, v60, v59, vcc
	v_cndmask_b32_e32 v51, v51, v58, vcc
	v_lshlrev_b32_e32 v42, 24, v42
	v_lshlrev_b32_e32 v51, 20, v51
	v_and_b32_e32 v42, 0x80000000, v42
	v_lshl_add_u32 v40, v40, 23, v55
	v_or3_b32 v58, v42, v40, v51
.LBB646_477:                            ;   in Loop: Header=BB646_215 Depth=1
	s_or_b64 exec, exec, s[18:19]
.LBB646_478:                            ;   in Loop: Header=BB646_215 Depth=1
	s_or_b64 exec, exec, s[16:17]
.LBB646_479:                            ;   in Loop: Header=BB646_215 Depth=1
	s_or_b64 exec, exec, s[14:15]
	s_waitcnt vmcnt(0)
	v_cmp_ne_u16_sdwa s[16:17], v38, v54 src0_sel:BYTE_0 src1_sel:DWORD
	s_and_saveexec_b64 s[14:15], s[16:17]
	s_cbranch_execz .LBB646_485
; %bb.480:                              ;   in Loop: Header=BB646_215 Depth=1
	v_cmp_ne_u16_sdwa s[18:19], v38, s9 src0_sel:BYTE_0 src1_sel:DWORD
	v_bfrev_b32_e32 v57, 1
	s_and_saveexec_b64 s[16:17], s[18:19]
	s_cbranch_execz .LBB646_484
; %bb.481:                              ;   in Loop: Header=BB646_215 Depth=1
	v_and_b32_e32 v40, 0x7f, v38
	v_cmp_ne_u32_e32 vcc, s21, v40
	v_mov_b32_e32 v57, 0x7f800001
	s_and_saveexec_b64 s[18:19], vcc
	s_cbranch_execz .LBB646_483
; %bb.482:                              ;   in Loop: Header=BB646_215 Depth=1
	v_and_b32_e32 v42, 7, v38
	v_ffbh_u32_e32 v57, v42
	v_min_u32_e32 v57, 32, v57
	v_subrev_u32_e32 v59, 28, v57
	v_lshlrev_b64 v[60:61], v59, v[38:39]
	v_lshrrev_b32_e32 v51, 3, v40
	v_sub_u32_e32 v57, 29, v57
	v_and_b32_e32 v59, 7, v60
	v_cmp_gt_u32_e32 vcc, 8, v40
	v_cndmask_b32_e32 v40, v51, v57, vcc
	v_cndmask_b32_e32 v42, v42, v59, vcc
	v_lshlrev_b32_e32 v51, 24, v38
	v_lshlrev_b32_e32 v42, 20, v42
	v_and_b32_e32 v51, 0x80000000, v51
	v_lshl_add_u32 v40, v40, 23, v55
	v_or3_b32 v57, v51, v40, v42
.LBB646_483:                            ;   in Loop: Header=BB646_215 Depth=1
	s_or_b64 exec, exec, s[18:19]
.LBB646_484:                            ;   in Loop: Header=BB646_215 Depth=1
	s_or_b64 exec, exec, s[16:17]
.LBB646_485:                            ;   in Loop: Header=BB646_215 Depth=1
	s_or_b64 exec, exec, s[14:15]
	v_lshrrev_b16_e32 v40, 8, v38
	v_cmp_ne_u16_e32 vcc, 0, v40
	v_mov_b32_e32 v59, 0
	v_mov_b32_e32 v60, 0
	s_and_saveexec_b64 s[14:15], vcc
	s_cbranch_execz .LBB646_491
; %bb.486:                              ;   in Loop: Header=BB646_215 Depth=1
	v_cmp_ne_u16_e32 vcc, s9, v40
	v_bfrev_b32_e32 v60, 1
	s_and_saveexec_b64 s[16:17], vcc
	s_cbranch_execz .LBB646_490
; %bb.487:                              ;   in Loop: Header=BB646_215 Depth=1
	v_and_b32_e32 v42, 0x7f, v40
	v_cmp_ne_u32_e32 vcc, s21, v42
	v_mov_b32_e32 v60, 0x7f800001
	s_and_saveexec_b64 s[18:19], vcc
	s_cbranch_execz .LBB646_489
; %bb.488:                              ;   in Loop: Header=BB646_215 Depth=1
	v_and_b32_e32 v51, 7, v40
	v_ffbh_u32_e32 v60, v51
	v_min_u32_e32 v63, 32, v60
	v_subrev_u32_e32 v60, 28, v63
	v_lshlrev_b64 v[60:61], v60, v[40:41]
	v_lshrrev_b32_e32 v62, 3, v42
	v_sub_u32_e32 v40, 29, v63
	v_and_b32_e32 v60, 7, v60
	v_cmp_gt_u32_e32 vcc, 8, v42
	v_cndmask_b32_e32 v40, v62, v40, vcc
	v_cndmask_b32_e32 v42, v51, v60, vcc
	v_lshlrev_b32_e32 v51, 16, v38
	v_lshlrev_b32_e32 v42, 20, v42
	v_and_b32_e32 v51, 0x80000000, v51
	v_lshl_add_u32 v40, v40, 23, v55
	v_or3_b32 v60, v51, v40, v42
.LBB646_489:                            ;   in Loop: Header=BB646_215 Depth=1
	s_or_b64 exec, exec, s[18:19]
.LBB646_490:                            ;   in Loop: Header=BB646_215 Depth=1
	s_or_b64 exec, exec, s[16:17]
.LBB646_491:                            ;   in Loop: Header=BB646_215 Depth=1
	s_or_b64 exec, exec, s[14:15]
	v_lshrrev_b32_e32 v40, 16, v38
	v_cmp_ne_u16_sdwa s[16:17], v40, v54 src0_sel:BYTE_0 src1_sel:DWORD
	s_and_saveexec_b64 s[14:15], s[16:17]
	s_cbranch_execz .LBB646_497
; %bb.492:                              ;   in Loop: Header=BB646_215 Depth=1
	v_cmp_ne_u16_sdwa s[18:19], v40, s9 src0_sel:BYTE_0 src1_sel:DWORD
	v_bfrev_b32_e32 v59, 1
	s_and_saveexec_b64 s[16:17], s[18:19]
	s_cbranch_execz .LBB646_496
; %bb.493:                              ;   in Loop: Header=BB646_215 Depth=1
	v_bfe_u32 v42, v38, 16, 7
	v_cmp_ne_u32_e32 vcc, s21, v42
	v_mov_b32_e32 v59, 0x7f800001
	s_and_saveexec_b64 s[18:19], vcc
	s_cbranch_execz .LBB646_495
; %bb.494:                              ;   in Loop: Header=BB646_215 Depth=1
	v_and_b32_e32 v51, 7, v40
	v_ffbh_u32_e32 v61, v51
	v_min_u32_e32 v61, 32, v61
	v_subrev_u32_e32 v62, 28, v61
	v_lshlrev_b64 v[62:63], v62, v[40:41]
	v_lshrrev_b32_e32 v59, 3, v42
	v_sub_u32_e32 v61, 29, v61
	v_and_b32_e32 v62, 7, v62
	v_cmp_gt_u32_e32 vcc, 8, v42
	v_cndmask_b32_e32 v42, v59, v61, vcc
	v_cndmask_b32_e32 v51, v51, v62, vcc
	v_lshlrev_b32_e32 v40, 24, v40
	v_lshlrev_b32_e32 v51, 20, v51
	v_and_b32_e32 v40, 0x80000000, v40
	v_lshl_add_u32 v42, v42, 23, v55
	v_or3_b32 v59, v40, v42, v51
.LBB646_495:                            ;   in Loop: Header=BB646_215 Depth=1
	s_or_b64 exec, exec, s[18:19]
.LBB646_496:                            ;   in Loop: Header=BB646_215 Depth=1
	s_or_b64 exec, exec, s[16:17]
.LBB646_497:                            ;   in Loop: Header=BB646_215 Depth=1
	s_or_b64 exec, exec, s[14:15]
	v_cmp_lt_u32_e32 vcc, s22, v38
	v_mov_b32_e32 v51, 0
	v_mov_b32_e32 v61, 0
	s_and_saveexec_b64 s[14:15], vcc
	s_cbranch_execz .LBB646_503
; %bb.498:                              ;   in Loop: Header=BB646_215 Depth=1
	v_lshrrev_b32_e32 v40, 24, v38
	v_cmp_ne_u32_e32 vcc, s9, v40
	v_bfrev_b32_e32 v61, 1
	s_and_saveexec_b64 s[16:17], vcc
	s_cbranch_execz .LBB646_502
; %bb.499:                              ;   in Loop: Header=BB646_215 Depth=1
	v_bfe_u32 v38, v38, 24, 7
	v_cmp_ne_u32_e32 vcc, s21, v38
	v_mov_b32_e32 v61, 0x7f800001
	s_and_saveexec_b64 s[18:19], vcc
	s_cbranch_execz .LBB646_501
; %bb.500:                              ;   in Loop: Header=BB646_215 Depth=1
	v_and_b32_e32 v42, 7, v40
	v_ffbh_u32_e32 v62, v42
	v_min_u32_e32 v64, 32, v62
	v_subrev_u32_e32 v62, 28, v64
	v_lshlrev_b64 v[62:63], v62, v[40:41]
	v_lshrrev_b32_e32 v61, 3, v38
	v_sub_u32_e32 v63, 29, v64
	v_and_b32_e32 v62, 7, v62
	v_cmp_gt_u32_e32 vcc, 8, v38
	v_cndmask_b32_e32 v38, v61, v63, vcc
	v_cndmask_b32_e32 v42, v42, v62, vcc
	v_lshlrev_b32_e32 v40, 24, v40
	v_lshlrev_b32_e32 v42, 20, v42
	v_and_b32_e32 v40, 0x80000000, v40
	v_lshl_add_u32 v38, v38, 23, v55
	v_or3_b32 v61, v40, v38, v42
.LBB646_501:                            ;   in Loop: Header=BB646_215 Depth=1
	s_or_b64 exec, exec, s[18:19]
.LBB646_502:                            ;   in Loop: Header=BB646_215 Depth=1
	s_or_b64 exec, exec, s[16:17]
.LBB646_503:                            ;   in Loop: Header=BB646_215 Depth=1
	s_or_b64 exec, exec, s[14:15]
	v_cvt_pkrtz_f16_f32 v63, v44, v58
	buffer_load_dword v44, v50, s[0:3], 0 offen
	buffer_load_dword v42, v50, s[0:3], 0 offen offset:4
	buffer_load_dword v40, v50, s[0:3], 0 offen offset:8
	;; [unrolled: 1-line block ×3, first 2 shown]
	v_cvt_pkrtz_f16_f32 v62, v46, v56
	v_cvt_pkrtz_f16_f32 v56, v57, v60
	;; [unrolled: 1-line block ×3, first 2 shown]
	v_mfma_f32_16x16x16f16 v[34:37], v[62:63], v[22:23], v[34:37]
	s_waitcnt vmcnt(3)
	v_cmp_ne_u16_sdwa s[16:17], v44, v54 src0_sel:BYTE_0 src1_sel:DWORD
	v_mfma_f32_16x16x16f16 v[34:37], v[56:57], v[24:25], v[34:37]
	s_and_saveexec_b64 s[14:15], s[16:17]
	s_cbranch_execz .LBB646_509
; %bb.504:                              ;   in Loop: Header=BB646_215 Depth=1
	v_cmp_ne_u16_sdwa s[18:19], v44, s9 src0_sel:BYTE_0 src1_sel:DWORD
	v_bfrev_b32_e32 v51, 1
	s_and_saveexec_b64 s[16:17], s[18:19]
	s_cbranch_execz .LBB646_508
; %bb.505:                              ;   in Loop: Header=BB646_215 Depth=1
	v_and_b32_e32 v46, 0x7f, v44
	v_cmp_ne_u32_e32 vcc, s21, v46
	v_mov_b32_e32 v51, 0x7f800001
	s_and_saveexec_b64 s[18:19], vcc
	s_cbranch_execz .LBB646_507
; %bb.506:                              ;   in Loop: Header=BB646_215 Depth=1
	v_and_b32_e32 v56, 7, v44
	v_ffbh_u32_e32 v50, v56
	v_min_u32_e32 v58, 32, v50
	v_subrev_u32_e32 v50, 28, v58
	v_lshlrev_b64 v[50:51], v50, v[44:45]
	v_lshrrev_b32_e32 v57, 3, v46
	v_sub_u32_e32 v51, 29, v58
	v_and_b32_e32 v50, 7, v50
	v_cmp_gt_u32_e32 vcc, 8, v46
	v_cndmask_b32_e32 v46, v57, v51, vcc
	v_cndmask_b32_e32 v50, v56, v50, vcc
	v_lshlrev_b32_e32 v51, 24, v44
	v_lshlrev_b32_e32 v50, 20, v50
	v_and_b32_e32 v51, 0x80000000, v51
	v_lshl_add_u32 v46, v46, 23, v55
	v_or3_b32 v51, v51, v46, v50
.LBB646_507:                            ;   in Loop: Header=BB646_215 Depth=1
	s_or_b64 exec, exec, s[18:19]
.LBB646_508:                            ;   in Loop: Header=BB646_215 Depth=1
	s_or_b64 exec, exec, s[16:17]
.LBB646_509:                            ;   in Loop: Header=BB646_215 Depth=1
	s_or_b64 exec, exec, s[14:15]
	v_lshrrev_b16_e32 v46, 8, v44
	v_cmp_ne_u16_e32 vcc, 0, v46
	v_mov_b32_e32 v50, 0
	v_mov_b32_e32 v56, 0
	s_and_saveexec_b64 s[14:15], vcc
	s_cbranch_execz .LBB646_515
; %bb.510:                              ;   in Loop: Header=BB646_215 Depth=1
	v_cmp_ne_u16_e32 vcc, s9, v46
	v_bfrev_b32_e32 v56, 1
	s_and_saveexec_b64 s[16:17], vcc
	s_cbranch_execz .LBB646_514
; %bb.511:                              ;   in Loop: Header=BB646_215 Depth=1
	v_and_b32_e32 v57, 0x7f, v46
	v_cmp_ne_u32_e32 vcc, s21, v57
	v_mov_b32_e32 v56, 0x7f800001
	s_and_saveexec_b64 s[18:19], vcc
	s_cbranch_execz .LBB646_513
; %bb.512:                              ;   in Loop: Header=BB646_215 Depth=1
	v_and_b32_e32 v56, 7, v46
	v_ffbh_u32_e32 v58, v56
	v_min_u32_e32 v61, 32, v58
	v_subrev_u32_e32 v58, 28, v61
	v_lshlrev_b64 v[58:59], v58, v[46:47]
	v_lshrrev_b32_e32 v60, 3, v57
	v_sub_u32_e32 v46, 29, v61
	v_and_b32_e32 v58, 7, v58
	v_cmp_gt_u32_e32 vcc, 8, v57
	v_cndmask_b32_e32 v46, v60, v46, vcc
	v_cndmask_b32_e32 v56, v56, v58, vcc
	v_lshlrev_b32_e32 v57, 16, v44
	v_lshlrev_b32_e32 v56, 20, v56
	v_and_b32_e32 v57, 0x80000000, v57
	v_lshl_add_u32 v46, v46, 23, v55
	v_or3_b32 v56, v57, v46, v56
.LBB646_513:                            ;   in Loop: Header=BB646_215 Depth=1
	s_or_b64 exec, exec, s[18:19]
.LBB646_514:                            ;   in Loop: Header=BB646_215 Depth=1
	s_or_b64 exec, exec, s[16:17]
.LBB646_515:                            ;   in Loop: Header=BB646_215 Depth=1
	s_or_b64 exec, exec, s[14:15]
	v_lshrrev_b32_e32 v46, 16, v44
	v_cmp_ne_u16_sdwa s[16:17], v46, v54 src0_sel:BYTE_0 src1_sel:DWORD
	s_and_saveexec_b64 s[14:15], s[16:17]
	s_cbranch_execz .LBB646_521
; %bb.516:                              ;   in Loop: Header=BB646_215 Depth=1
	v_cmp_ne_u16_sdwa s[18:19], v46, s9 src0_sel:BYTE_0 src1_sel:DWORD
	v_bfrev_b32_e32 v50, 1
	s_and_saveexec_b64 s[16:17], s[18:19]
	s_cbranch_execz .LBB646_520
; %bb.517:                              ;   in Loop: Header=BB646_215 Depth=1
	v_bfe_u32 v57, v44, 16, 7
	v_cmp_ne_u32_e32 vcc, s21, v57
	v_mov_b32_e32 v50, 0x7f800001
	s_and_saveexec_b64 s[18:19], vcc
	s_cbranch_execz .LBB646_519
; %bb.518:                              ;   in Loop: Header=BB646_215 Depth=1
	v_and_b32_e32 v50, 7, v46
	v_ffbh_u32_e32 v58, v50
	v_min_u32_e32 v61, 32, v58
	v_subrev_u32_e32 v58, 28, v61
	v_lshlrev_b64 v[58:59], v58, v[46:47]
	v_lshrrev_b32_e32 v60, 3, v57
	v_sub_u32_e32 v59, 29, v61
	v_and_b32_e32 v58, 7, v58
	v_cmp_gt_u32_e32 vcc, 8, v57
	v_cndmask_b32_e32 v57, v60, v59, vcc
	v_cndmask_b32_e32 v50, v50, v58, vcc
	v_lshlrev_b32_e32 v46, 24, v46
	v_lshlrev_b32_e32 v50, 20, v50
	v_and_b32_e32 v46, 0x80000000, v46
	v_lshl_add_u32 v57, v57, 23, v55
	v_or3_b32 v50, v46, v57, v50
.LBB646_519:                            ;   in Loop: Header=BB646_215 Depth=1
	s_or_b64 exec, exec, s[18:19]
.LBB646_520:                            ;   in Loop: Header=BB646_215 Depth=1
	s_or_b64 exec, exec, s[16:17]
.LBB646_521:                            ;   in Loop: Header=BB646_215 Depth=1
	s_or_b64 exec, exec, s[14:15]
	v_cmp_lt_u32_e32 vcc, s22, v44
	v_mov_b32_e32 v57, 0
	v_mov_b32_e32 v58, 0
	s_and_saveexec_b64 s[14:15], vcc
	s_cbranch_execz .LBB646_527
; %bb.522:                              ;   in Loop: Header=BB646_215 Depth=1
	v_lshrrev_b32_e32 v46, 24, v44
	v_cmp_ne_u32_e32 vcc, s9, v46
	v_bfrev_b32_e32 v58, 1
	s_and_saveexec_b64 s[16:17], vcc
	s_cbranch_execz .LBB646_526
; %bb.523:                              ;   in Loop: Header=BB646_215 Depth=1
	v_bfe_u32 v44, v44, 24, 7
	v_cmp_ne_u32_e32 vcc, s21, v44
	v_mov_b32_e32 v58, 0x7f800001
	s_and_saveexec_b64 s[18:19], vcc
	s_cbranch_execz .LBB646_525
; %bb.524:                              ;   in Loop: Header=BB646_215 Depth=1
	v_and_b32_e32 v60, 7, v46
	v_ffbh_u32_e32 v58, v60
	v_min_u32_e32 v62, 32, v58
	v_subrev_u32_e32 v58, 28, v62
	v_lshlrev_b64 v[58:59], v58, v[46:47]
	v_lshrrev_b32_e32 v61, 3, v44
	v_sub_u32_e32 v59, 29, v62
	v_and_b32_e32 v58, 7, v58
	v_cmp_gt_u32_e32 vcc, 8, v44
	v_cndmask_b32_e32 v44, v61, v59, vcc
	v_cndmask_b32_e32 v58, v60, v58, vcc
	v_lshlrev_b32_e32 v46, 24, v46
	v_lshlrev_b32_e32 v58, 20, v58
	v_and_b32_e32 v46, 0x80000000, v46
	v_lshl_add_u32 v44, v44, 23, v55
	v_or3_b32 v58, v46, v44, v58
.LBB646_525:                            ;   in Loop: Header=BB646_215 Depth=1
	s_or_b64 exec, exec, s[18:19]
.LBB646_526:                            ;   in Loop: Header=BB646_215 Depth=1
	s_or_b64 exec, exec, s[16:17]
.LBB646_527:                            ;   in Loop: Header=BB646_215 Depth=1
	s_or_b64 exec, exec, s[14:15]
	s_waitcnt vmcnt(2)
	v_cmp_ne_u16_sdwa s[16:17], v42, v54 src0_sel:BYTE_0 src1_sel:DWORD
	s_and_saveexec_b64 s[14:15], s[16:17]
	s_cbranch_execz .LBB646_533
; %bb.528:                              ;   in Loop: Header=BB646_215 Depth=1
	v_cmp_ne_u16_sdwa s[18:19], v42, s9 src0_sel:BYTE_0 src1_sel:DWORD
	v_bfrev_b32_e32 v57, 1
	s_and_saveexec_b64 s[16:17], s[18:19]
	s_cbranch_execz .LBB646_532
; %bb.529:                              ;   in Loop: Header=BB646_215 Depth=1
	v_and_b32_e32 v44, 0x7f, v42
	v_cmp_ne_u32_e32 vcc, s21, v44
	v_mov_b32_e32 v57, 0x7f800001
	s_and_saveexec_b64 s[18:19], vcc
	s_cbranch_execz .LBB646_531
; %bb.530:                              ;   in Loop: Header=BB646_215 Depth=1
	v_and_b32_e32 v46, 7, v42
	v_ffbh_u32_e32 v59, v46
	v_min_u32_e32 v59, 32, v59
	v_subrev_u32_e32 v60, 28, v59
	v_lshlrev_b64 v[60:61], v60, v[42:43]
	v_lshrrev_b32_e32 v57, 3, v44
	v_sub_u32_e32 v59, 29, v59
	v_and_b32_e32 v60, 7, v60
	v_cmp_gt_u32_e32 vcc, 8, v44
	v_cndmask_b32_e32 v44, v57, v59, vcc
	v_cndmask_b32_e32 v46, v46, v60, vcc
	v_lshlrev_b32_e32 v57, 24, v42
	v_lshlrev_b32_e32 v46, 20, v46
	v_and_b32_e32 v57, 0x80000000, v57
	v_lshl_add_u32 v44, v44, 23, v55
	v_or3_b32 v57, v57, v44, v46
.LBB646_531:                            ;   in Loop: Header=BB646_215 Depth=1
	s_or_b64 exec, exec, s[18:19]
.LBB646_532:                            ;   in Loop: Header=BB646_215 Depth=1
	s_or_b64 exec, exec, s[16:17]
.LBB646_533:                            ;   in Loop: Header=BB646_215 Depth=1
	s_or_b64 exec, exec, s[14:15]
	v_lshrrev_b16_e32 v44, 8, v42
	v_cmp_ne_u16_e32 vcc, 0, v44
	v_mov_b32_e32 v59, 0
	v_mov_b32_e32 v60, 0
	s_and_saveexec_b64 s[14:15], vcc
	s_cbranch_execz .LBB646_539
; %bb.534:                              ;   in Loop: Header=BB646_215 Depth=1
	v_cmp_ne_u16_e32 vcc, s9, v44
	v_bfrev_b32_e32 v60, 1
	s_and_saveexec_b64 s[16:17], vcc
	s_cbranch_execz .LBB646_538
; %bb.535:                              ;   in Loop: Header=BB646_215 Depth=1
	v_and_b32_e32 v46, 0x7f, v44
	v_cmp_ne_u32_e32 vcc, s21, v46
	v_mov_b32_e32 v60, 0x7f800001
	s_and_saveexec_b64 s[18:19], vcc
	s_cbranch_execz .LBB646_537
; %bb.536:                              ;   in Loop: Header=BB646_215 Depth=1
	v_and_b32_e32 v62, 7, v44
	v_ffbh_u32_e32 v60, v62
	v_min_u32_e32 v64, 32, v60
	v_subrev_u32_e32 v60, 28, v64
	v_lshlrev_b64 v[60:61], v60, v[44:45]
	v_lshrrev_b32_e32 v63, 3, v46
	v_sub_u32_e32 v44, 29, v64
	v_and_b32_e32 v60, 7, v60
	v_cmp_gt_u32_e32 vcc, 8, v46
	v_cndmask_b32_e32 v44, v63, v44, vcc
	v_cndmask_b32_e32 v46, v62, v60, vcc
	v_lshlrev_b32_e32 v60, 16, v42
	v_lshlrev_b32_e32 v46, 20, v46
	v_and_b32_e32 v60, 0x80000000, v60
	v_lshl_add_u32 v44, v44, 23, v55
	v_or3_b32 v60, v60, v44, v46
.LBB646_537:                            ;   in Loop: Header=BB646_215 Depth=1
	s_or_b64 exec, exec, s[18:19]
.LBB646_538:                            ;   in Loop: Header=BB646_215 Depth=1
	s_or_b64 exec, exec, s[16:17]
.LBB646_539:                            ;   in Loop: Header=BB646_215 Depth=1
	s_or_b64 exec, exec, s[14:15]
	v_lshrrev_b32_e32 v44, 16, v42
	v_cmp_ne_u16_sdwa s[16:17], v44, v54 src0_sel:BYTE_0 src1_sel:DWORD
	s_and_saveexec_b64 s[14:15], s[16:17]
	s_cbranch_execz .LBB646_545
; %bb.540:                              ;   in Loop: Header=BB646_215 Depth=1
	v_cmp_ne_u16_sdwa s[18:19], v44, s9 src0_sel:BYTE_0 src1_sel:DWORD
	v_bfrev_b32_e32 v59, 1
	s_and_saveexec_b64 s[16:17], s[18:19]
	s_cbranch_execz .LBB646_544
; %bb.541:                              ;   in Loop: Header=BB646_215 Depth=1
	v_bfe_u32 v46, v42, 16, 7
	v_cmp_ne_u32_e32 vcc, s21, v46
	v_mov_b32_e32 v59, 0x7f800001
	s_and_saveexec_b64 s[18:19], vcc
	s_cbranch_execz .LBB646_543
; %bb.542:                              ;   in Loop: Header=BB646_215 Depth=1
	v_and_b32_e32 v59, 7, v44
	v_ffbh_u32_e32 v62, v59
	v_min_u32_e32 v64, 32, v62
	v_subrev_u32_e32 v62, 28, v64
	v_lshlrev_b64 v[62:63], v62, v[44:45]
	v_lshrrev_b32_e32 v61, 3, v46
	v_sub_u32_e32 v63, 29, v64
	v_and_b32_e32 v62, 7, v62
	v_cmp_gt_u32_e32 vcc, 8, v46
	v_cndmask_b32_e32 v46, v61, v63, vcc
	v_cndmask_b32_e32 v59, v59, v62, vcc
	v_lshlrev_b32_e32 v44, 24, v44
	v_lshlrev_b32_e32 v59, 20, v59
	v_and_b32_e32 v44, 0x80000000, v44
	v_lshl_add_u32 v46, v46, 23, v55
	v_or3_b32 v59, v44, v46, v59
.LBB646_543:                            ;   in Loop: Header=BB646_215 Depth=1
	s_or_b64 exec, exec, s[18:19]
.LBB646_544:                            ;   in Loop: Header=BB646_215 Depth=1
	s_or_b64 exec, exec, s[16:17]
.LBB646_545:                            ;   in Loop: Header=BB646_215 Depth=1
	s_or_b64 exec, exec, s[14:15]
	v_cmp_lt_u32_e32 vcc, s22, v42
	v_mov_b32_e32 v46, 0
	v_mov_b32_e32 v61, 0
	s_and_saveexec_b64 s[14:15], vcc
	s_cbranch_execz .LBB646_551
; %bb.546:                              ;   in Loop: Header=BB646_215 Depth=1
	v_lshrrev_b32_e32 v44, 24, v42
	v_cmp_ne_u32_e32 vcc, s9, v44
	v_bfrev_b32_e32 v61, 1
	s_and_saveexec_b64 s[16:17], vcc
	s_cbranch_execz .LBB646_550
; %bb.547:                              ;   in Loop: Header=BB646_215 Depth=1
	v_bfe_u32 v42, v42, 24, 7
	v_cmp_ne_u32_e32 vcc, s21, v42
	v_mov_b32_e32 v61, 0x7f800001
	s_and_saveexec_b64 s[18:19], vcc
	s_cbranch_execz .LBB646_549
; %bb.548:                              ;   in Loop: Header=BB646_215 Depth=1
	v_and_b32_e32 v61, 7, v44
	v_ffbh_u32_e32 v62, v61
	v_min_u32_e32 v65, 32, v62
	v_subrev_u32_e32 v62, 28, v65
	v_lshlrev_b64 v[62:63], v62, v[44:45]
	v_lshrrev_b32_e32 v64, 3, v42
	v_sub_u32_e32 v63, 29, v65
	v_and_b32_e32 v62, 7, v62
	v_cmp_gt_u32_e32 vcc, 8, v42
	v_cndmask_b32_e32 v42, v64, v63, vcc
	v_cndmask_b32_e32 v61, v61, v62, vcc
	v_lshlrev_b32_e32 v44, 24, v44
	v_lshlrev_b32_e32 v61, 20, v61
	v_and_b32_e32 v44, 0x80000000, v44
	v_lshl_add_u32 v42, v42, 23, v55
	v_or3_b32 v61, v44, v42, v61
.LBB646_549:                            ;   in Loop: Header=BB646_215 Depth=1
	s_or_b64 exec, exec, s[18:19]
.LBB646_550:                            ;   in Loop: Header=BB646_215 Depth=1
	s_or_b64 exec, exec, s[16:17]
.LBB646_551:                            ;   in Loop: Header=BB646_215 Depth=1
	s_or_b64 exec, exec, s[14:15]
	v_cvt_pkrtz_f16_f32 v62, v51, v56
	v_cvt_pkrtz_f16_f32 v63, v50, v58
	;; [unrolled: 1-line block ×4, first 2 shown]
	s_waitcnt vmcnt(1)
	v_cmp_ne_u16_sdwa s[16:17], v40, v54 src0_sel:BYTE_0 src1_sel:DWORD
	v_mfma_f32_16x16x16f16 v[34:37], v[62:63], v[26:27], v[34:37]
	v_mfma_f32_16x16x16f16 v[34:37], v[50:51], v[28:29], v[34:37]
	s_and_saveexec_b64 s[14:15], s[16:17]
	s_cbranch_execz .LBB646_557
; %bb.552:                              ;   in Loop: Header=BB646_215 Depth=1
	v_cmp_ne_u16_sdwa s[18:19], v40, s9 src0_sel:BYTE_0 src1_sel:DWORD
	v_bfrev_b32_e32 v46, 1
	s_and_saveexec_b64 s[16:17], s[18:19]
	s_cbranch_execz .LBB646_556
; %bb.553:                              ;   in Loop: Header=BB646_215 Depth=1
	v_and_b32_e32 v42, 0x7f, v40
	v_cmp_ne_u32_e32 vcc, s21, v42
	v_mov_b32_e32 v46, 0x7f800001
	s_and_saveexec_b64 s[18:19], vcc
	s_cbranch_execz .LBB646_555
; %bb.554:                              ;   in Loop: Header=BB646_215 Depth=1
	v_and_b32_e32 v44, 7, v40
	v_ffbh_u32_e32 v50, v44
	v_min_u32_e32 v56, 32, v50
	v_subrev_u32_e32 v50, 28, v56
	v_lshlrev_b64 v[50:51], v50, v[40:41]
	v_lshrrev_b32_e32 v46, 3, v42
	v_sub_u32_e32 v51, 29, v56
	v_and_b32_e32 v50, 7, v50
	v_cmp_gt_u32_e32 vcc, 8, v42
	v_cndmask_b32_e32 v42, v46, v51, vcc
	v_cndmask_b32_e32 v44, v44, v50, vcc
	v_lshlrev_b32_e32 v46, 24, v40
	v_lshlrev_b32_e32 v44, 20, v44
	v_and_b32_e32 v46, 0x80000000, v46
	v_lshl_add_u32 v42, v42, 23, v55
	v_or3_b32 v46, v46, v42, v44
.LBB646_555:                            ;   in Loop: Header=BB646_215 Depth=1
	s_or_b64 exec, exec, s[18:19]
.LBB646_556:                            ;   in Loop: Header=BB646_215 Depth=1
	s_or_b64 exec, exec, s[16:17]
.LBB646_557:                            ;   in Loop: Header=BB646_215 Depth=1
	s_or_b64 exec, exec, s[14:15]
	v_lshrrev_b16_e32 v42, 8, v40
	v_cmp_ne_u16_e32 vcc, 0, v42
	v_mov_b32_e32 v44, 0
	v_mov_b32_e32 v50, 0
	s_and_saveexec_b64 s[14:15], vcc
	s_cbranch_execz .LBB646_563
; %bb.558:                              ;   in Loop: Header=BB646_215 Depth=1
	v_cmp_ne_u16_e32 vcc, s9, v42
	v_bfrev_b32_e32 v50, 1
	s_and_saveexec_b64 s[16:17], vcc
	s_cbranch_execz .LBB646_562
; %bb.559:                              ;   in Loop: Header=BB646_215 Depth=1
	v_and_b32_e32 v51, 0x7f, v42
	v_cmp_ne_u32_e32 vcc, s21, v51
	v_mov_b32_e32 v50, 0x7f800001
	s_and_saveexec_b64 s[18:19], vcc
	s_cbranch_execz .LBB646_561
; %bb.560:                              ;   in Loop: Header=BB646_215 Depth=1
	v_and_b32_e32 v50, 7, v42
	v_ffbh_u32_e32 v56, v50
	v_min_u32_e32 v59, 32, v56
	v_subrev_u32_e32 v56, 28, v59
	v_lshlrev_b64 v[56:57], v56, v[42:43]
	v_lshrrev_b32_e32 v58, 3, v51
	v_sub_u32_e32 v42, 29, v59
	v_and_b32_e32 v56, 7, v56
	v_cmp_gt_u32_e32 vcc, 8, v51
	v_cndmask_b32_e32 v42, v58, v42, vcc
	v_cndmask_b32_e32 v50, v50, v56, vcc
	v_lshlrev_b32_e32 v51, 16, v40
	v_lshlrev_b32_e32 v50, 20, v50
	v_and_b32_e32 v51, 0x80000000, v51
	v_lshl_add_u32 v42, v42, 23, v55
	v_or3_b32 v50, v51, v42, v50
.LBB646_561:                            ;   in Loop: Header=BB646_215 Depth=1
	s_or_b64 exec, exec, s[18:19]
.LBB646_562:                            ;   in Loop: Header=BB646_215 Depth=1
	s_or_b64 exec, exec, s[16:17]
.LBB646_563:                            ;   in Loop: Header=BB646_215 Depth=1
	s_or_b64 exec, exec, s[14:15]
	v_lshrrev_b32_e32 v42, 16, v40
	v_cmp_ne_u16_sdwa s[16:17], v42, v54 src0_sel:BYTE_0 src1_sel:DWORD
	s_and_saveexec_b64 s[14:15], s[16:17]
	s_cbranch_execz .LBB646_569
; %bb.564:                              ;   in Loop: Header=BB646_215 Depth=1
	v_cmp_ne_u16_sdwa s[18:19], v42, s9 src0_sel:BYTE_0 src1_sel:DWORD
	v_bfrev_b32_e32 v44, 1
	s_and_saveexec_b64 s[16:17], s[18:19]
	s_cbranch_execz .LBB646_568
; %bb.565:                              ;   in Loop: Header=BB646_215 Depth=1
	v_bfe_u32 v51, v40, 16, 7
	v_cmp_ne_u32_e32 vcc, s21, v51
	v_mov_b32_e32 v44, 0x7f800001
	s_and_saveexec_b64 s[18:19], vcc
	s_cbranch_execz .LBB646_567
; %bb.566:                              ;   in Loop: Header=BB646_215 Depth=1
	v_and_b32_e32 v44, 7, v42
	v_ffbh_u32_e32 v56, v44
	v_min_u32_e32 v59, 32, v56
	v_subrev_u32_e32 v56, 28, v59
	v_lshlrev_b64 v[56:57], v56, v[42:43]
	v_lshrrev_b32_e32 v58, 3, v51
	v_sub_u32_e32 v57, 29, v59
	v_and_b32_e32 v56, 7, v56
	v_cmp_gt_u32_e32 vcc, 8, v51
	v_cndmask_b32_e32 v51, v58, v57, vcc
	v_cndmask_b32_e32 v44, v44, v56, vcc
	v_lshlrev_b32_e32 v42, 24, v42
	v_lshlrev_b32_e32 v44, 20, v44
	v_and_b32_e32 v42, 0x80000000, v42
	v_lshl_add_u32 v51, v51, 23, v55
	v_or3_b32 v44, v42, v51, v44
.LBB646_567:                            ;   in Loop: Header=BB646_215 Depth=1
	s_or_b64 exec, exec, s[18:19]
.LBB646_568:                            ;   in Loop: Header=BB646_215 Depth=1
	s_or_b64 exec, exec, s[16:17]
.LBB646_569:                            ;   in Loop: Header=BB646_215 Depth=1
	s_or_b64 exec, exec, s[14:15]
	v_cmp_lt_u32_e32 vcc, s22, v40
	v_mov_b32_e32 v51, 0
	v_mov_b32_e32 v56, 0
	s_and_saveexec_b64 s[14:15], vcc
	s_cbranch_execz .LBB646_575
; %bb.570:                              ;   in Loop: Header=BB646_215 Depth=1
	v_lshrrev_b32_e32 v42, 24, v40
	v_cmp_ne_u32_e32 vcc, s9, v42
	v_bfrev_b32_e32 v56, 1
	s_and_saveexec_b64 s[16:17], vcc
	s_cbranch_execz .LBB646_574
; %bb.571:                              ;   in Loop: Header=BB646_215 Depth=1
	v_bfe_u32 v40, v40, 24, 7
	v_cmp_ne_u32_e32 vcc, s21, v40
	v_mov_b32_e32 v56, 0x7f800001
	s_and_saveexec_b64 s[18:19], vcc
	s_cbranch_execz .LBB646_573
; %bb.572:                              ;   in Loop: Header=BB646_215 Depth=1
	v_and_b32_e32 v58, 7, v42
	v_ffbh_u32_e32 v56, v58
	v_min_u32_e32 v60, 32, v56
	v_subrev_u32_e32 v56, 28, v60
	v_lshlrev_b64 v[56:57], v56, v[42:43]
	v_lshrrev_b32_e32 v59, 3, v40
	v_sub_u32_e32 v57, 29, v60
	v_and_b32_e32 v56, 7, v56
	v_cmp_gt_u32_e32 vcc, 8, v40
	v_cndmask_b32_e32 v40, v59, v57, vcc
	v_cndmask_b32_e32 v56, v58, v56, vcc
	v_lshlrev_b32_e32 v42, 24, v42
	v_lshlrev_b32_e32 v56, 20, v56
	v_and_b32_e32 v42, 0x80000000, v42
	v_lshl_add_u32 v40, v40, 23, v55
	v_or3_b32 v56, v42, v40, v56
.LBB646_573:                            ;   in Loop: Header=BB646_215 Depth=1
	s_or_b64 exec, exec, s[18:19]
.LBB646_574:                            ;   in Loop: Header=BB646_215 Depth=1
	s_or_b64 exec, exec, s[16:17]
.LBB646_575:                            ;   in Loop: Header=BB646_215 Depth=1
	s_or_b64 exec, exec, s[14:15]
	s_waitcnt vmcnt(0)
	v_cmp_ne_u16_sdwa s[16:17], v38, v54 src0_sel:BYTE_0 src1_sel:DWORD
	s_and_saveexec_b64 s[14:15], s[16:17]
	s_cbranch_execz .LBB646_581
; %bb.576:                              ;   in Loop: Header=BB646_215 Depth=1
	v_cmp_ne_u16_sdwa s[18:19], v38, s9 src0_sel:BYTE_0 src1_sel:DWORD
	v_bfrev_b32_e32 v51, 1
	s_and_saveexec_b64 s[16:17], s[18:19]
	s_cbranch_execz .LBB646_580
; %bb.577:                              ;   in Loop: Header=BB646_215 Depth=1
	v_and_b32_e32 v40, 0x7f, v38
	v_cmp_ne_u32_e32 vcc, s21, v40
	v_mov_b32_e32 v51, 0x7f800001
	s_and_saveexec_b64 s[18:19], vcc
	s_cbranch_execz .LBB646_579
; %bb.578:                              ;   in Loop: Header=BB646_215 Depth=1
	v_and_b32_e32 v42, 7, v38
	v_ffbh_u32_e32 v57, v42
	v_min_u32_e32 v57, 32, v57
	v_subrev_u32_e32 v58, 28, v57
	v_lshlrev_b64 v[58:59], v58, v[38:39]
	v_lshrrev_b32_e32 v51, 3, v40
	v_sub_u32_e32 v57, 29, v57
	v_and_b32_e32 v58, 7, v58
	v_cmp_gt_u32_e32 vcc, 8, v40
	v_cndmask_b32_e32 v40, v51, v57, vcc
	v_cndmask_b32_e32 v42, v42, v58, vcc
	v_lshlrev_b32_e32 v51, 24, v38
	v_lshlrev_b32_e32 v42, 20, v42
	v_and_b32_e32 v51, 0x80000000, v51
	v_lshl_add_u32 v40, v40, 23, v55
	v_or3_b32 v51, v51, v40, v42
.LBB646_579:                            ;   in Loop: Header=BB646_215 Depth=1
	s_or_b64 exec, exec, s[18:19]
.LBB646_580:                            ;   in Loop: Header=BB646_215 Depth=1
	s_or_b64 exec, exec, s[16:17]
.LBB646_581:                            ;   in Loop: Header=BB646_215 Depth=1
	s_or_b64 exec, exec, s[14:15]
	v_lshrrev_b16_e32 v40, 8, v38
	v_cmp_ne_u16_e32 vcc, 0, v40
	v_mov_b32_e32 v42, 0
	v_mov_b32_e32 v57, 0
	s_and_saveexec_b64 s[14:15], vcc
	s_cbranch_execz .LBB646_587
; %bb.582:                              ;   in Loop: Header=BB646_215 Depth=1
	v_cmp_ne_u16_e32 vcc, s9, v40
	v_bfrev_b32_e32 v57, 1
	s_and_saveexec_b64 s[16:17], vcc
	s_cbranch_execz .LBB646_586
; %bb.583:                              ;   in Loop: Header=BB646_215 Depth=1
	v_and_b32_e32 v58, 0x7f, v40
	v_cmp_ne_u32_e32 vcc, s21, v58
	v_mov_b32_e32 v57, 0x7f800001
	s_and_saveexec_b64 s[18:19], vcc
	s_cbranch_execz .LBB646_585
; %bb.584:                              ;   in Loop: Header=BB646_215 Depth=1
	v_and_b32_e32 v57, 7, v40
	v_ffbh_u32_e32 v60, v57
	v_min_u32_e32 v62, 32, v60
	v_subrev_u32_e32 v60, 28, v62
	v_lshlrev_b64 v[60:61], v60, v[40:41]
	v_lshrrev_b32_e32 v59, 3, v58
	v_sub_u32_e32 v40, 29, v62
	v_and_b32_e32 v60, 7, v60
	v_cmp_gt_u32_e32 vcc, 8, v58
	v_cndmask_b32_e32 v40, v59, v40, vcc
	v_cndmask_b32_e32 v57, v57, v60, vcc
	v_lshlrev_b32_e32 v58, 16, v38
	v_lshlrev_b32_e32 v57, 20, v57
	v_and_b32_e32 v58, 0x80000000, v58
	v_lshl_add_u32 v40, v40, 23, v55
	v_or3_b32 v57, v58, v40, v57
.LBB646_585:                            ;   in Loop: Header=BB646_215 Depth=1
	s_or_b64 exec, exec, s[18:19]
.LBB646_586:                            ;   in Loop: Header=BB646_215 Depth=1
	s_or_b64 exec, exec, s[16:17]
.LBB646_587:                            ;   in Loop: Header=BB646_215 Depth=1
	s_or_b64 exec, exec, s[14:15]
	v_lshrrev_b32_e32 v40, 16, v38
	v_cmp_ne_u16_sdwa s[16:17], v40, v54 src0_sel:BYTE_0 src1_sel:DWORD
	s_and_saveexec_b64 s[14:15], s[16:17]
	s_cbranch_execz .LBB646_593
; %bb.588:                              ;   in Loop: Header=BB646_215 Depth=1
	v_cmp_ne_u16_sdwa s[18:19], v40, s9 src0_sel:BYTE_0 src1_sel:DWORD
	v_bfrev_b32_e32 v42, 1
	s_and_saveexec_b64 s[16:17], s[18:19]
	s_cbranch_execz .LBB646_592
; %bb.589:                              ;   in Loop: Header=BB646_215 Depth=1
	v_bfe_u32 v58, v38, 16, 7
	v_cmp_ne_u32_e32 vcc, s21, v58
	v_mov_b32_e32 v42, 0x7f800001
	s_and_saveexec_b64 s[18:19], vcc
	s_cbranch_execz .LBB646_591
; %bb.590:                              ;   in Loop: Header=BB646_215 Depth=1
	v_and_b32_e32 v42, 7, v40
	v_ffbh_u32_e32 v60, v42
	v_min_u32_e32 v62, 32, v60
	v_subrev_u32_e32 v60, 28, v62
	v_lshlrev_b64 v[60:61], v60, v[40:41]
	v_lshrrev_b32_e32 v59, 3, v58
	v_sub_u32_e32 v61, 29, v62
	v_and_b32_e32 v60, 7, v60
	v_cmp_gt_u32_e32 vcc, 8, v58
	v_cndmask_b32_e32 v58, v59, v61, vcc
	v_cndmask_b32_e32 v42, v42, v60, vcc
	v_lshlrev_b32_e32 v40, 24, v40
	v_lshlrev_b32_e32 v42, 20, v42
	v_and_b32_e32 v40, 0x80000000, v40
	v_lshl_add_u32 v58, v58, 23, v55
	v_or3_b32 v42, v40, v58, v42
.LBB646_591:                            ;   in Loop: Header=BB646_215 Depth=1
	s_or_b64 exec, exec, s[18:19]
.LBB646_592:                            ;   in Loop: Header=BB646_215 Depth=1
	s_or_b64 exec, exec, s[16:17]
.LBB646_593:                            ;   in Loop: Header=BB646_215 Depth=1
	s_or_b64 exec, exec, s[14:15]
	v_cmp_lt_u32_e32 vcc, s22, v38
	v_mov_b32_e32 v58, 0
	s_and_saveexec_b64 s[14:15], vcc
	s_cbranch_execz .LBB646_214
; %bb.594:                              ;   in Loop: Header=BB646_215 Depth=1
	v_lshrrev_b32_e32 v40, 24, v38
	v_cmp_ne_u32_e32 vcc, s9, v40
	v_bfrev_b32_e32 v58, 1
	s_and_saveexec_b64 s[16:17], vcc
	s_cbranch_execz .LBB646_213
; %bb.595:                              ;   in Loop: Header=BB646_215 Depth=1
	v_bfe_u32 v38, v38, 24, 7
	v_cmp_ne_u32_e32 vcc, s21, v38
	v_mov_b32_e32 v58, 0x7f800001
	s_and_saveexec_b64 s[18:19], vcc
	s_cbranch_execz .LBB646_212
; %bb.596:                              ;   in Loop: Header=BB646_215 Depth=1
	v_and_b32_e32 v60, 7, v40
	v_ffbh_u32_e32 v58, v60
	v_min_u32_e32 v62, 32, v58
	v_subrev_u32_e32 v58, 28, v62
	v_lshlrev_b64 v[58:59], v58, v[40:41]
	v_lshrrev_b32_e32 v61, 3, v38
	v_sub_u32_e32 v59, 29, v62
	v_and_b32_e32 v58, 7, v58
	v_cmp_gt_u32_e32 vcc, 8, v38
	v_cndmask_b32_e32 v38, v61, v59, vcc
	v_cndmask_b32_e32 v58, v60, v58, vcc
	v_lshlrev_b32_e32 v40, 24, v40
	v_lshlrev_b32_e32 v58, 20, v58
	v_and_b32_e32 v40, 0x80000000, v40
	v_lshl_add_u32 v38, v38, 23, v55
	v_or3_b32 v58, v40, v38, v58
	s_branch .LBB646_212
.LBB646_597:
	s_barrier
	buffer_load_dword v2, off, s[0:3], 0 offset:320
	buffer_load_dword v5, off, s[0:3], 0 offset:332
	;; [unrolled: 1-line block ×4, first 2 shown]
	v_cmp_gt_u32_e32 vcc, 64, v0
	s_waitcnt vmcnt(0)
	ds_write2st64_b64 v52, v[2:3], v[4:5] offset1:1
	s_waitcnt lgkmcnt(0)
	s_barrier
	s_and_saveexec_b64 s[6:7], vcc
	s_cbranch_execz .LBB646_600
; %bb.598:
	s_lshl_b32 s6, s48, 7
	s_mul_i32 s7, s20, s8
	s_mul_hi_u32 s11, s7, s6
	s_mul_i32 s10, s7, s6
	s_lshl_b64 s[10:11], s[10:11], 1
	v_lshlrev_b32_e32 v4, 6, v41
	s_add_u32 s7, s50, s10
	v_lshl_or_b32 v0, v0, 10, v4
	s_mov_b32 s9, 0
	s_addc_u32 s10, s51, s11
	s_lshl_b32 s8, s26, 7
	v_lshlrev_b32_e32 v2, 5, v1
	v_and_b32_e32 v3, 16, v43
	v_and_b32_e32 v0, 0x1a00, v0
	s_lshl_b64 s[8:9], s[8:9], 1
	v_or3_b32 v0, v0, v2, v3
	s_add_u32 s7, s7, s8
	s_addc_u32 s8, s10, s9
	ds_read_b128 v[4:7], v0 offset:128
	ds_read_b128 v[8:11], v0
	v_add_u32_e32 v14, s27, v1
	v_mov_b32_e32 v3, s8
	v_add_co_u32_e32 v2, vcc, s7, v39
	v_mad_u64_u32 v[12:13], s[8:9], v14, s6, 0
	v_addc_co_u32_e32 v3, vcc, 0, v3, vcc
	v_lshlrev_b64 v[12:13], 1, v[12:13]
	v_add_co_u32_e32 v12, vcc, v2, v12
	v_addc_co_u32_e32 v13, vcc, v3, v13, vcc
	s_waitcnt lgkmcnt(0)
	global_store_dwordx4 v[12:13], v[8:11], off
	s_nop 0
	v_add_u32_e32 v8, 4, v14
	v_mad_u64_u32 v[8:9], s[8:9], v8, s6, 0
	v_lshlrev_b64 v[8:9], 1, v[8:9]
	v_add_co_u32_e32 v8, vcc, v2, v8
	v_addc_co_u32_e32 v9, vcc, v3, v9, vcc
	global_store_dwordx4 v[8:9], v[4:7], off
	s_and_b64 exec, exec, s[4:5]
	s_cbranch_execz .LBB646_600
; %bb.599:
	ds_read_b128 v[4:7], v0 offset:256
	v_add3_u32 v0, s27, v1, 8
	v_mad_u64_u32 v[0:1], s[4:5], v0, s6, 0
	v_lshlrev_b64 v[0:1], 1, v[0:1]
	v_add_co_u32_e32 v0, vcc, v2, v0
	v_addc_co_u32_e32 v1, vcc, v3, v1, vcc
	s_waitcnt lgkmcnt(0)
	global_store_dwordx4 v[0:1], v[4:7], off
.LBB646_600:
	s_endpgm
	.section	.rodata,"a",@progbits
	.p2align	6, 0x0
	.amdhsa_kernel _Z39paged_attention_ll4mi_QKV_mfma16_kernelIDF16_hLN4vllm18Fp8KVCacheDataTypeE1EDF16_Li32ELi128ELi256ELb1ELi9EL8MFMAType0EEvPKT_PKT0_S8_ifPKiSA_SA_iPKfiiiPfSD_PS3_PT2_iSC_SC_
		.amdhsa_group_segment_fixed_size 8192
		.amdhsa_private_segment_fixed_size 352
		.amdhsa_kernarg_size 400
		.amdhsa_user_sgpr_count 8
		.amdhsa_user_sgpr_private_segment_buffer 1
		.amdhsa_user_sgpr_dispatch_ptr 0
		.amdhsa_user_sgpr_queue_ptr 0
		.amdhsa_user_sgpr_kernarg_segment_ptr 1
		.amdhsa_user_sgpr_dispatch_id 0
		.amdhsa_user_sgpr_flat_scratch_init 1
		.amdhsa_user_sgpr_kernarg_preload_length 0
		.amdhsa_user_sgpr_kernarg_preload_offset 0
		.amdhsa_user_sgpr_private_segment_size 0
		.amdhsa_uses_dynamic_stack 0
		.amdhsa_system_sgpr_private_segment_wavefront_offset 1
		.amdhsa_system_sgpr_workgroup_id_x 1
		.amdhsa_system_sgpr_workgroup_id_y 1
		.amdhsa_system_sgpr_workgroup_id_z 1
		.amdhsa_system_sgpr_workgroup_info 0
		.amdhsa_system_vgpr_workitem_id 0
		.amdhsa_next_free_vgpr 80
		.amdhsa_next_free_sgpr 53
		.amdhsa_accum_offset 80
		.amdhsa_reserve_vcc 1
		.amdhsa_reserve_flat_scratch 0
		.amdhsa_float_round_mode_32 0
		.amdhsa_float_round_mode_16_64 0
		.amdhsa_float_denorm_mode_32 3
		.amdhsa_float_denorm_mode_16_64 3
		.amdhsa_dx10_clamp 1
		.amdhsa_ieee_mode 1
		.amdhsa_fp16_overflow 0
		.amdhsa_tg_split 0
		.amdhsa_exception_fp_ieee_invalid_op 0
		.amdhsa_exception_fp_denorm_src 0
		.amdhsa_exception_fp_ieee_div_zero 0
		.amdhsa_exception_fp_ieee_overflow 0
		.amdhsa_exception_fp_ieee_underflow 0
		.amdhsa_exception_fp_ieee_inexact 0
		.amdhsa_exception_int_div_zero 0
	.end_amdhsa_kernel
	.section	.text._Z39paged_attention_ll4mi_QKV_mfma16_kernelIDF16_hLN4vllm18Fp8KVCacheDataTypeE1EDF16_Li32ELi128ELi256ELb1ELi9EL8MFMAType0EEvPKT_PKT0_S8_ifPKiSA_SA_iPKfiiiPfSD_PS3_PT2_iSC_SC_,"axG",@progbits,_Z39paged_attention_ll4mi_QKV_mfma16_kernelIDF16_hLN4vllm18Fp8KVCacheDataTypeE1EDF16_Li32ELi128ELi256ELb1ELi9EL8MFMAType0EEvPKT_PKT0_S8_ifPKiSA_SA_iPKfiiiPfSD_PS3_PT2_iSC_SC_,comdat
.Lfunc_end646:
	.size	_Z39paged_attention_ll4mi_QKV_mfma16_kernelIDF16_hLN4vllm18Fp8KVCacheDataTypeE1EDF16_Li32ELi128ELi256ELb1ELi9EL8MFMAType0EEvPKT_PKT0_S8_ifPKiSA_SA_iPKfiiiPfSD_PS3_PT2_iSC_SC_, .Lfunc_end646-_Z39paged_attention_ll4mi_QKV_mfma16_kernelIDF16_hLN4vllm18Fp8KVCacheDataTypeE1EDF16_Li32ELi128ELi256ELb1ELi9EL8MFMAType0EEvPKT_PKT0_S8_ifPKiSA_SA_iPKfiiiPfSD_PS3_PT2_iSC_SC_
                                        ; -- End function
	.section	.AMDGPU.csdata,"",@progbits
; Kernel info:
; codeLenInByte = 21528
; NumSgprs: 57
; NumVgprs: 80
; NumAgprs: 0
; TotalNumVgprs: 80
; ScratchSize: 352
; MemoryBound: 0
; FloatMode: 240
; IeeeMode: 1
; LDSByteSize: 8192 bytes/workgroup (compile time only)
; SGPRBlocks: 7
; VGPRBlocks: 9
; NumSGPRsForWavesPerEU: 57
; NumVGPRsForWavesPerEU: 80
; AccumOffset: 80
; Occupancy: 6
; WaveLimiterHint : 1
; COMPUTE_PGM_RSRC2:SCRATCH_EN: 1
; COMPUTE_PGM_RSRC2:USER_SGPR: 8
; COMPUTE_PGM_RSRC2:TRAP_HANDLER: 0
; COMPUTE_PGM_RSRC2:TGID_X_EN: 1
; COMPUTE_PGM_RSRC2:TGID_Y_EN: 1
; COMPUTE_PGM_RSRC2:TGID_Z_EN: 1
; COMPUTE_PGM_RSRC2:TIDIG_COMP_CNT: 0
; COMPUTE_PGM_RSRC3_GFX90A:ACCUM_OFFSET: 19
; COMPUTE_PGM_RSRC3_GFX90A:TG_SPLIT: 0
	.section	.text._Z39paged_attention_ll4mi_QKV_mfma16_kernelIDF16_hLN4vllm18Fp8KVCacheDataTypeE1EDF16_Li32ELi128ELi256ELb1ELi10EL8MFMAType0EEvPKT_PKT0_S8_ifPKiSA_SA_iPKfiiiPfSD_PS3_PT2_iSC_SC_,"axG",@progbits,_Z39paged_attention_ll4mi_QKV_mfma16_kernelIDF16_hLN4vllm18Fp8KVCacheDataTypeE1EDF16_Li32ELi128ELi256ELb1ELi10EL8MFMAType0EEvPKT_PKT0_S8_ifPKiSA_SA_iPKfiiiPfSD_PS3_PT2_iSC_SC_,comdat
	.protected	_Z39paged_attention_ll4mi_QKV_mfma16_kernelIDF16_hLN4vllm18Fp8KVCacheDataTypeE1EDF16_Li32ELi128ELi256ELb1ELi10EL8MFMAType0EEvPKT_PKT0_S8_ifPKiSA_SA_iPKfiiiPfSD_PS3_PT2_iSC_SC_ ; -- Begin function _Z39paged_attention_ll4mi_QKV_mfma16_kernelIDF16_hLN4vllm18Fp8KVCacheDataTypeE1EDF16_Li32ELi128ELi256ELb1ELi10EL8MFMAType0EEvPKT_PKT0_S8_ifPKiSA_SA_iPKfiiiPfSD_PS3_PT2_iSC_SC_
	.globl	_Z39paged_attention_ll4mi_QKV_mfma16_kernelIDF16_hLN4vllm18Fp8KVCacheDataTypeE1EDF16_Li32ELi128ELi256ELb1ELi10EL8MFMAType0EEvPKT_PKT0_S8_ifPKiSA_SA_iPKfiiiPfSD_PS3_PT2_iSC_SC_
	.p2align	8
	.type	_Z39paged_attention_ll4mi_QKV_mfma16_kernelIDF16_hLN4vllm18Fp8KVCacheDataTypeE1EDF16_Li32ELi128ELi256ELb1ELi10EL8MFMAType0EEvPKT_PKT0_S8_ifPKiSA_SA_iPKfiiiPfSD_PS3_PT2_iSC_SC_,@function
_Z39paged_attention_ll4mi_QKV_mfma16_kernelIDF16_hLN4vllm18Fp8KVCacheDataTypeE1EDF16_Li32ELi128ELi256ELb1ELi10EL8MFMAType0EEvPKT_PKT0_S8_ifPKiSA_SA_iPKfiiiPfSD_PS3_PT2_iSC_SC_: ; @_Z39paged_attention_ll4mi_QKV_mfma16_kernelIDF16_hLN4vllm18Fp8KVCacheDataTypeE1EDF16_Li32ELi128ELi256ELb1ELi10EL8MFMAType0EEvPKT_PKT0_S8_ifPKiSA_SA_iPKfiiiPfSD_PS3_PT2_iSC_SC_
; %bb.0:
	s_load_dwordx2 s[6:7], s[4:5], 0x30
	s_add_u32 s0, s0, s11
	s_addc_u32 s1, s1, 0
	s_mov_b32 s26, s9
	s_mov_b64 s[14:15], 0
	s_waitcnt lgkmcnt(0)
	s_cmp_lg_u64 s[6:7], 0
	s_cselect_b64 s[12:13], -1, 0
	s_and_b64 vcc, exec, s[12:13]
	s_cbranch_vccz .LBB647_7
; %bb.1:
	s_add_i32 s16, s8, 1
	s_mov_b32 s17, 0
	s_lshl_b64 s[18:19], s[16:17], 2
	s_add_u32 s18, s6, s18
	s_mov_b32 s9, s17
	s_addc_u32 s19, s7, s19
	s_lshl_b64 s[16:17], s[8:9], 2
	s_add_u32 s16, s6, s16
	s_addc_u32 s17, s7, s17
	s_load_dword s11, s[18:19], 0x0
	s_load_dword s20, s[16:17], 0x0
	s_waitcnt lgkmcnt(0)
	s_sub_i32 s11, s11, s20
	s_cmp_eq_u32 s11, 1
	s_cselect_b64 s[16:17], -1, 0
	s_andn2_b64 vcc, exec, s[14:15]
	s_cbranch_vccnz .LBB647_3
.LBB647_2:
	s_mov_b32 s9, 0
	s_mov_b64 s[16:17], -1
.LBB647_3:
	s_andn2_b64 vcc, exec, s[16:17]
	s_cbranch_vccnz .LBB647_600
; %bb.4:
	s_load_dwordx2 s[16:17], s[4:5], 0x28
	s_lshl_b64 s[14:15], s[8:9], 2
	s_waitcnt lgkmcnt(0)
	s_add_u32 s16, s16, s14
	s_addc_u32 s17, s17, s15
	s_load_dword s33, s[16:17], 0x0
	s_lshl_b32 s20, s26, 8
	s_waitcnt lgkmcnt(0)
	s_cmp_ge_i32 s20, s33
	s_cbranch_scc1 .LBB647_600
; %bb.5:
	s_add_i32 s18, s33, 31
	s_load_dwordx2 s[16:17], s[4:5], 0x20
	s_load_dword s11, s[4:5], 0x38
	s_ashr_i32 s19, s18, 31
	v_and_b32_e32 v1, 0xcf, v0
	s_lshr_b32 s19, s19, 27
	v_add_u32_e32 v1, s20, v1
	s_add_i32 s18, s18, s19
	v_ashrrev_i32_e32 v2, 31, v1
	s_ashr_i32 s23, s18, 5
	v_lshrrev_b32_e32 v4, 27, v2
	s_add_i32 s23, s23, -1
	v_add_u32_e32 v2, v1, v4
	s_waitcnt lgkmcnt(0)
	s_mul_i32 s18, s8, s11
	s_mov_b32 s19, 0
	v_ashrrev_i32_e32 v2, 5, v2
	v_mov_b32_e32 v5, s23
	v_cmp_gt_i32_e32 vcc, s33, v1
	s_lshl_b64 s[18:19], s[18:19], 2
	v_cndmask_b32_e32 v2, v5, v2, vcc
	s_add_u32 s21, s16, s18
	v_ashrrev_i32_e32 v3, 31, v2
	s_addc_u32 s22, s17, s19
	v_lshlrev_b64 v[2:3], 2, v[2:3]
	v_mov_b32_e32 v7, s22
	v_add_co_u32_e32 v6, vcc, s21, v2
	v_or_b32_e32 v2, 16, v1
	v_addc_co_u32_e32 v7, vcc, v7, v3, vcc
	v_add_u32_e32 v3, v2, v4
	v_ashrrev_i32_e32 v3, 5, v3
	v_cmp_gt_i32_e32 vcc, s33, v2
	v_cndmask_b32_e32 v2, v5, v3, vcc
	v_ashrrev_i32_e32 v3, 31, v2
	v_lshlrev_b64 v[2:3], 2, v[2:3]
	v_mov_b32_e32 v9, s22
	v_add_co_u32_e32 v8, vcc, s21, v2
	v_or_b32_e32 v2, 32, v1
	v_addc_co_u32_e32 v9, vcc, v9, v3, vcc
	v_add_u32_e32 v3, v2, v4
	v_ashrrev_i32_e32 v3, 5, v3
	v_cmp_gt_i32_e32 vcc, s33, v2
	v_cndmask_b32_e32 v2, v5, v3, vcc
	v_ashrrev_i32_e32 v3, 31, v2
	;; [unrolled: 10-line block ×3, first 2 shown]
	v_lshlrev_b64 v[2:3], 2, v[2:3]
	v_mov_b32_e32 v1, s22
	v_add_co_u32_e32 v12, vcc, s21, v2
	v_addc_co_u32_e32 v13, vcc, v1, v3, vcc
	global_load_dword v5, v[6:7], off
	global_load_dword v4, v[8:9], off
	;; [unrolled: 1-line block ×4, first 2 shown]
	s_load_dwordx2 s[16:17], s[4:5], 0x8
	s_andn2_b64 vcc, exec, s[12:13]
	s_cbranch_vccnz .LBB647_8
; %bb.6:
	s_add_u32 s6, s6, s14
	s_addc_u32 s7, s7, s15
	s_load_dword s11, s[6:7], 0x0
	s_branch .LBB647_9
.LBB647_7:
	s_mov_b64 s[16:17], 0
	s_branch .LBB647_2
.LBB647_8:
	s_mov_b32 s11, s8
.LBB647_9:
	s_load_dwordx2 s[6:7], s[4:5], 0x10
	s_load_dwordx4 s[12:15], s[4:5], 0x48
	v_lshrrev_b32_e32 v27, 6, v0
	v_bfe_u32 v1, v0, 4, 2
	v_and_b32_e32 v41, 15, v0
	v_lshl_or_b32 v6, v27, 2, v1
	v_lshlrev_b32_e32 v7, 3, v41
	s_mul_i32 s27, s10, 10
	v_cmp_gt_u32_e32 vcc, 10, v6
	v_lshlrev_b32_e32 v39, 1, v7
	v_lshlrev_b32_e32 v43, 4, v0
	s_and_saveexec_b64 s[18:19], vcc
	s_cbranch_execz .LBB647_11
; %bb.10:
	s_load_dwordx2 s[24:25], s[4:5], 0x0
	s_waitcnt lgkmcnt(0)
	s_ashr_i32 s15, s12, 31
	s_mul_hi_u32 s28, s11, s12
	s_mul_i32 s15, s11, s15
	s_add_i32 s29, s28, s15
	s_mul_i32 s28, s11, s12
	s_lshl_b64 s[28:29], s[28:29], 1
	v_add_lshl_u32 v8, v6, s27, 7
	s_add_u32 s11, s24, s28
	v_ashrrev_i32_e32 v9, 31, v8
	s_addc_u32 s12, s25, s29
	v_lshlrev_b64 v[8:9], 1, v[8:9]
	v_mov_b32_e32 v7, s12
	v_add_co_u32_e32 v8, vcc, s11, v8
	v_addc_co_u32_e32 v7, vcc, v7, v9, vcc
	v_add_co_u32_e32 v8, vcc, v8, v39
	v_addc_co_u32_e32 v9, vcc, 0, v7, vcc
	global_load_dwordx4 v[8:11], v[8:9], off
	v_lshlrev_b32_e32 v12, 8, v0
	v_lshlrev_b32_e32 v7, 8, v41
	v_and_b32_e32 v12, 0x600, v12
	s_movk_i32 s11, 0x800
	v_and_or_b32 v7, v7, s11, v12
	v_lshlrev_b32_e32 v6, 5, v6
	v_and_b32_e32 v12, 16, v43
	v_or3_b32 v6, v7, v6, v12
	s_waitcnt vmcnt(0)
	ds_write_b128 v6, v[8:11]
.LBB647_11:
	s_or_b64 exec, exec, s[18:19]
	s_waitcnt lgkmcnt(0)
	s_mul_i32 s14, s10, s14
	s_add_u32 s10, s16, s14
	s_addc_u32 s11, s17, 0
	v_pk_mov_b32 v[6:7], s[10:11], s[10:11] op_sel:[0,1]
	s_waitcnt vmcnt(3)
	v_mad_i64_i32 v[8:9], s[10:11], v5, s13, v[6:7]
	v_lshlrev_b32_e32 v11, 4, v41
	v_and_b32_e32 v18, 48, v0
	v_add_co_u32_e32 v5, vcc, v8, v11
	v_lshlrev_b32_e32 v10, 5, v18
	v_addc_co_u32_e32 v9, vcc, 0, v9, vcc
	v_add_co_u32_e32 v8, vcc, v5, v10
	v_addc_co_u32_e32 v9, vcc, 0, v9, vcc
	s_load_dwordx2 s[48:49], s[4:5], 0x94
	s_waitcnt lgkmcnt(0)
	s_barrier
	global_load_dwordx4 v[20:23], v[8:9], off
	global_load_dwordx4 v[28:31], v[8:9], off offset:2048
	s_waitcnt vmcnt(4)
	v_mad_i64_i32 v[4:5], s[10:11], v4, s13, v[6:7]
	v_or_b32_e32 v8, 0x100, v11
	v_add_co_u32_e32 v4, vcc, v4, v8
	v_addc_co_u32_e32 v5, vcc, 0, v5, vcc
	v_add_co_u32_e32 v4, vcc, v4, v10
	v_addc_co_u32_e32 v5, vcc, 0, v5, vcc
	global_load_dwordx4 v[32:35], v[4:5], off
	global_load_dwordx4 v[44:47], v[4:5], off offset:2048
	s_waitcnt vmcnt(5)
	v_mad_i64_i32 v[4:5], s[10:11], v3, s13, v[6:7]
	v_add_co_u32_e32 v3, vcc, v4, v11
	v_addc_co_u32_e32 v5, vcc, 0, v5, vcc
	v_add_co_u32_e32 v4, vcc, v3, v10
	v_addc_co_u32_e32 v5, vcc, 0, v5, vcc
	s_waitcnt vmcnt(4)
	v_mad_i64_i32 v[2:3], s[10:11], v2, s13, v[6:7]
	v_add_co_u32_e32 v2, vcc, v2, v8
	v_addc_co_u32_e32 v3, vcc, 0, v3, vcc
	v_add_co_u32_e32 v2, vcc, v2, v10
	v_addc_co_u32_e32 v3, vcc, 0, v3, vcc
	global_load_dwordx4 v[48:51], v[4:5], off
	global_load_dwordx4 v[52:55], v[4:5], off offset:2048
	global_load_dwordx4 v[56:59], v[2:3], off
	global_load_dwordx4 v[60:63], v[2:3], off offset:2048
	v_add_u32_e32 v2, -10, v41
	v_cmp_gt_u32_e32 vcc, 10, v41
	v_cndmask_b32_e32 v2, v2, v41, vcc
	v_lshlrev_b32_e32 v2, 5, v2
	v_lshl_add_u32 v14, v1, 9, v2
	s_load_dwordx2 s[50:51], s[4:5], 0x68
	s_load_dwordx4 s[44:47], s[4:5], 0x58
	ds_read_b128 v[2:5], v14
	ds_read_b128 v[6:9], v14 offset:16
	ds_read_b128 v[10:13], v14 offset:2048
	;; [unrolled: 1-line block ×3, first 2 shown]
	s_mov_b32 s12, 0
	s_waitcnt vmcnt(7)
	buffer_store_dword v23, off, s[0:3], 0 offset:12
	buffer_store_dword v22, off, s[0:3], 0 offset:8
	buffer_store_dword v21, off, s[0:3], 0 offset:4
	buffer_store_dword v20, off, s[0:3], 0
	s_waitcnt vmcnt(10)
	buffer_store_dword v31, off, s[0:3], 0 offset:28
	buffer_store_dword v30, off, s[0:3], 0 offset:24
	buffer_store_dword v29, off, s[0:3], 0 offset:20
	buffer_store_dword v28, off, s[0:3], 0 offset:16
	s_waitcnt vmcnt(13)
	buffer_store_dword v35, off, s[0:3], 0 offset:44
	buffer_store_dword v34, off, s[0:3], 0 offset:40
	buffer_store_dword v33, off, s[0:3], 0 offset:36
	buffer_store_dword v32, off, s[0:3], 0 offset:32
	;; [unrolled: 5-line block ×7, first 2 shown]
	v_mov_b32_e32 v35, 0
	v_mov_b32_e32 v31, 0
	s_and_saveexec_b64 s[10:11], vcc
	s_cbranch_execz .LBB647_13
; %bb.12:
	s_load_dwordx2 s[16:17], s[4:5], 0x40
	v_add_u32_e32 v20, s27, v41
	v_ashrrev_i32_e32 v21, 31, v20
	v_lshlrev_b64 v[20:21], 2, v[20:21]
	s_waitcnt lgkmcnt(0)
	v_mov_b32_e32 v19, s17
	v_add_co_u32_e32 v20, vcc, s16, v20
	v_addc_co_u32_e32 v21, vcc, v19, v21, vcc
	global_load_dword v31, v[20:21], off
.LBB647_13:
	s_or_b64 exec, exec, s[10:11]
	s_ashr_i32 s10, s20, 31
	v_or_b32_e32 v24, s20, v18
	s_lshr_b32 s10, s10, 27
	v_add_u32_e32 v18, s10, v24
	v_ashrrev_i32_e32 v18, 5, v18
	v_mov_b32_e32 v25, s23
	v_cmp_gt_i32_e32 vcc, s33, v24
	v_cndmask_b32_e32 v18, v25, v18, vcc
	v_ashrrev_i32_e32 v19, 31, v18
	v_lshlrev_b64 v[18:19], 2, v[18:19]
	v_mov_b32_e32 v20, s22
	v_add_co_u32_e32 v18, vcc, s21, v18
	v_addc_co_u32_e32 v19, vcc, v20, v19, vcc
	v_or_b32_e32 v20, 64, v24
	v_add_u32_e32 v21, s10, v20
	v_ashrrev_i32_e32 v21, 5, v21
	v_cmp_gt_i32_e32 vcc, s33, v20
	v_cndmask_b32_e32 v20, v25, v21, vcc
	v_ashrrev_i32_e32 v21, 31, v20
	v_lshlrev_b64 v[20:21], 2, v[20:21]
	v_mov_b32_e32 v22, s22
	v_add_co_u32_e32 v20, vcc, s21, v20
	v_addc_co_u32_e32 v21, vcc, v22, v21, vcc
	v_or_b32_e32 v22, 0x80, v24
	v_add_u32_e32 v23, s10, v22
	v_ashrrev_i32_e32 v23, 5, v23
	v_cmp_gt_i32_e32 vcc, s33, v22
	v_cndmask_b32_e32 v22, v25, v23, vcc
	v_ashrrev_i32_e32 v23, 31, v22
	v_lshlrev_b64 v[22:23], 2, v[22:23]
	v_mov_b32_e32 v26, s22
	v_add_co_u32_e32 v22, vcc, s21, v22
	v_addc_co_u32_e32 v23, vcc, v26, v23, vcc
	global_load_dword v26, v[18:19], off
	global_load_dword v28, v[20:21], off
	;; [unrolled: 1-line block ×3, first 2 shown]
	v_or_b32_e32 v18, 0xc0, v24
	v_add_u32_e32 v19, s10, v18
	v_ashrrev_i32_e32 v19, 5, v19
	v_cmp_gt_i32_e32 vcc, s33, v18
	v_cndmask_b32_e32 v18, v25, v19, vcc
	v_ashrrev_i32_e32 v19, 31, v18
	v_lshlrev_b64 v[18:19], 2, v[18:19]
	v_mov_b32_e32 v20, s22
	v_add_co_u32_e32 v18, vcc, s21, v18
	v_addc_co_u32_e32 v19, vcc, v20, v19, vcc
	global_load_dword v32, v[18:19], off
	s_add_u32 s6, s6, s14
	v_and_b32_e32 v18, 16, v0
	s_addc_u32 s7, s7, 0
	v_lshl_or_b32 v29, v27, 4, v41
	v_mov_b32_e32 v20, s7
	v_add_co_u32_e32 v34, vcc, s6, v18
	v_lshlrev_b32_e32 v19, 5, v29
	v_addc_co_u32_e32 v36, vcc, 0, v20, vcc
	v_add_co_u32_e32 v22, vcc, v34, v19
	v_addc_co_u32_e32 v23, vcc, 0, v36, vcc
	v_or_b32_e32 v33, 0x800, v19
	s_movk_i32 s14, 0x7f
	s_mov_b32 s15, 0xffffff
	v_mov_b32_e32 v37, 0x100
	v_bfrev_b32_e32 v38, 60
	s_waitcnt vmcnt(3)
	v_mad_i64_i32 v[18:19], s[6:7], v26, s13, v[22:23]
	s_waitcnt vmcnt(2)
	v_mad_i64_i32 v[24:25], s[6:7], v28, s13, v[22:23]
	global_load_dwordx4 v[18:21], v[18:19], off
	s_nop 0
	global_load_dwordx4 v[52:55], v[24:25], off
	s_waitcnt vmcnt(3)
	v_mad_i64_i32 v[24:25], s[6:7], v30, s13, v[22:23]
	s_waitcnt vmcnt(2)
	v_mad_i64_i32 v[22:23], s[6:7], v32, s13, v[22:23]
	global_load_dwordx4 v[56:59], v[24:25], off
	global_load_dwordx4 v[60:63], v[22:23], off
	v_add_co_u32_e32 v22, vcc, v34, v33
	v_addc_co_u32_e32 v23, vcc, 0, v36, vcc
	v_mad_i64_i32 v[24:25], s[6:7], v26, s13, v[22:23]
	global_load_dwordx4 v[64:67], v[24:25], off
	v_mad_i64_i32 v[24:25], s[6:7], v28, s13, v[22:23]
	global_load_dwordx4 v[68:71], v[24:25], off
	;; [unrolled: 2-line block ×4, first 2 shown]
	s_load_dword s6, s[4:5], 0x1c
	s_load_dwordx4 s[40:43], s[4:5], 0x80
	v_mov_b32_e32 v22, 0x80
	v_add_u32_e32 v45, 16, v22
	v_add_u32_e32 v46, 32, v22
	;; [unrolled: 1-line block ×3, first 2 shown]
	s_waitcnt lgkmcnt(0)
	s_load_dword s4, s[40:41], 0x0
	v_add_u32_e32 v51, 64, v22
	v_add_u32_e32 v48, 0x50, v22
	;; [unrolled: 1-line block ×4, first 2 shown]
	v_mov_b32_e32 v22, s6
	s_waitcnt lgkmcnt(0)
	v_mul_f32_e32 v22, s4, v22
	v_and_b32_e32 v33, 63, v0
	s_movk_i32 s13, 0x80
	v_mov_b32_e32 v36, 0
	v_mov_b32_e32 v24, v22
	;; [unrolled: 1-line block ×3, first 2 shown]
	s_waitcnt vmcnt(7)
	buffer_store_dword v21, off, s[0:3], 0 offset:140
	buffer_store_dword v20, off, s[0:3], 0 offset:136
	buffer_store_dword v19, off, s[0:3], 0 offset:132
	buffer_store_dword v18, off, s[0:3], 0 offset:128
	s_waitcnt vmcnt(10)
	buffer_store_dword v55, off, s[0:3], 0 offset:172
	buffer_store_dword v54, off, s[0:3], 0 offset:168
	buffer_store_dword v53, off, s[0:3], 0 offset:164
	buffer_store_dword v52, off, s[0:3], 0 offset:160
	;; [unrolled: 5-line block ×8, first 2 shown]
	s_branch .LBB647_17
.LBB647_14:                             ;   in Loop: Header=BB647_17 Depth=1
	s_or_b64 exec, exec, s[10:11]
.LBB647_15:                             ;   in Loop: Header=BB647_17 Depth=1
	s_or_b64 exec, exec, s[6:7]
.LBB647_16:                             ;   in Loop: Header=BB647_17 Depth=1
	s_or_b64 exec, exec, s[4:5]
	v_cvt_pkrtz_f16_f32 v54, v34, v32
	v_cvt_pkrtz_f16_f32 v55, v23, v42
	v_add_u32_e32 v26, s12, v37
	s_add_i32 s12, s12, 16
	v_mov_b32_e32 v23, v22
	v_mfma_f32_16x16x16f16 v[18:21], v[54:55], v[14:15], v[18:21]
	v_cvt_pkrtz_f16_f32 v54, v40, v44
	v_cvt_pkrtz_f16_f32 v55, v30, v52
	s_cmp_eq_u32 s12, 64
	v_add_u32_e32 v36, 32, v36
	v_mfma_f32_16x16x16f16 v[18:21], v[54:55], v[16:17], v[18:21]
	s_nop 7
	s_nop 2
	v_pk_mul_f32 v[18:19], v[24:25], v[18:19]
	v_pk_mul_f32 v[20:21], v[22:23], v[20:21]
	buffer_store_dword v19, v26, s[0:3], 0 offen offset:4
	buffer_store_dword v18, v26, s[0:3], 0 offen
	buffer_store_dword v21, v26, s[0:3], 0 offen offset:12
	buffer_store_dword v20, v26, s[0:3], 0 offen offset:8
	s_cbranch_scc1 .LBB647_207
.LBB647_17:                             ; =>This Inner Loop Header: Depth=1
	buffer_load_dword v20, v36, s[0:3], 0 offen
	buffer_load_dword v18, v36, s[0:3], 0 offen offset:4
	buffer_load_dword v28, v36, s[0:3], 0 offen offset:8
	;; [unrolled: 1-line block ×3, first 2 shown]
	v_mov_b32_e32 v19, 0
	v_mov_b32_e32 v21, 0
	s_waitcnt vmcnt(3)
	v_cmp_ne_u16_sdwa s[6:7], v20, v35 src0_sel:BYTE_0 src1_sel:DWORD
	s_and_saveexec_b64 s[4:5], s[6:7]
	s_cbranch_execz .LBB647_23
; %bb.18:                               ;   in Loop: Header=BB647_17 Depth=1
	v_cmp_ne_u16_sdwa s[10:11], v20, s13 src0_sel:BYTE_0 src1_sel:DWORD
	v_bfrev_b32_e32 v21, 1
	s_and_saveexec_b64 s[6:7], s[10:11]
	s_cbranch_execz .LBB647_22
; %bb.19:                               ;   in Loop: Header=BB647_17 Depth=1
	v_and_b32_e32 v23, 0x7f, v20
	v_cmp_ne_u32_e32 vcc, s14, v23
	v_mov_b32_e32 v21, 0x7f800001
	s_and_saveexec_b64 s[10:11], vcc
	s_cbranch_execz .LBB647_21
; %bb.20:                               ;   in Loop: Header=BB647_17 Depth=1
	v_and_b32_e32 v21, 7, v20
	v_ffbh_u32_e32 v32, v21
	v_min_u32_e32 v32, 32, v32
	v_subrev_u32_e32 v34, 28, v32
	v_lshlrev_b64 v[52:53], v34, v[20:21]
	v_lshrrev_b32_e32 v30, 3, v23
	v_sub_u32_e32 v32, 29, v32
	v_and_b32_e32 v34, 7, v52
	v_cmp_gt_u32_e32 vcc, 8, v23
	v_cndmask_b32_e32 v23, v30, v32, vcc
	v_cndmask_b32_e32 v21, v21, v34, vcc
	v_lshlrev_b32_e32 v30, 24, v20
	v_lshlrev_b32_e32 v21, 20, v21
	v_and_b32_e32 v30, 0x80000000, v30
	v_lshl_add_u32 v23, v23, 23, v38
	v_or3_b32 v21, v30, v23, v21
.LBB647_21:                             ;   in Loop: Header=BB647_17 Depth=1
	s_or_b64 exec, exec, s[10:11]
.LBB647_22:                             ;   in Loop: Header=BB647_17 Depth=1
	s_or_b64 exec, exec, s[6:7]
.LBB647_23:                             ;   in Loop: Header=BB647_17 Depth=1
	s_or_b64 exec, exec, s[4:5]
	v_lshrrev_b16_e32 v30, 8, v20
	v_cmp_ne_u16_e32 vcc, 0, v30
	s_and_saveexec_b64 s[4:5], vcc
	s_cbranch_execz .LBB647_29
; %bb.24:                               ;   in Loop: Header=BB647_17 Depth=1
	v_cmp_ne_u16_e32 vcc, s13, v30
	v_bfrev_b32_e32 v19, 1
	s_and_saveexec_b64 s[6:7], vcc
	s_cbranch_execz .LBB647_28
; %bb.25:                               ;   in Loop: Header=BB647_17 Depth=1
	v_and_b32_e32 v23, 0x7f, v30
	v_cmp_ne_u32_e32 vcc, s14, v23
	v_mov_b32_e32 v19, 0x7f800001
	s_and_saveexec_b64 s[10:11], vcc
	s_cbranch_execz .LBB647_27
; %bb.26:                               ;   in Loop: Header=BB647_17 Depth=1
	v_and_b32_e32 v19, 7, v30
	v_ffbh_u32_e32 v34, v19
	v_min_u32_e32 v34, 32, v34
	v_subrev_u32_e32 v40, 28, v34
	v_lshlrev_b64 v[52:53], v40, v[30:31]
	v_lshrrev_b32_e32 v32, 3, v23
	v_sub_u32_e32 v30, 29, v34
	v_and_b32_e32 v34, 7, v52
	v_cmp_gt_u32_e32 vcc, 8, v23
	v_cndmask_b32_e32 v23, v32, v30, vcc
	v_cndmask_b32_e32 v19, v19, v34, vcc
	v_lshlrev_b32_e32 v30, 16, v20
	v_lshlrev_b32_e32 v19, 20, v19
	v_and_b32_e32 v30, 0x80000000, v30
	v_lshl_add_u32 v23, v23, 23, v38
	v_or3_b32 v19, v30, v23, v19
.LBB647_27:                             ;   in Loop: Header=BB647_17 Depth=1
	s_or_b64 exec, exec, s[10:11]
.LBB647_28:                             ;   in Loop: Header=BB647_17 Depth=1
	s_or_b64 exec, exec, s[6:7]
.LBB647_29:                             ;   in Loop: Header=BB647_17 Depth=1
	s_or_b64 exec, exec, s[4:5]
	v_lshrrev_b32_e32 v30, 16, v20
	v_cmp_ne_u16_sdwa s[6:7], v30, v35 src0_sel:BYTE_0 src1_sel:DWORD
	v_mov_b32_e32 v32, 0
	v_mov_b32_e32 v23, 0
	s_and_saveexec_b64 s[4:5], s[6:7]
	s_cbranch_execz .LBB647_35
; %bb.30:                               ;   in Loop: Header=BB647_17 Depth=1
	v_cmp_ne_u16_sdwa s[10:11], v30, s13 src0_sel:BYTE_0 src1_sel:DWORD
	v_bfrev_b32_e32 v23, 1
	s_and_saveexec_b64 s[6:7], s[10:11]
	s_cbranch_execz .LBB647_34
; %bb.31:                               ;   in Loop: Header=BB647_17 Depth=1
	v_bfe_u32 v34, v20, 16, 7
	v_cmp_ne_u32_e32 vcc, s14, v34
	v_mov_b32_e32 v23, 0x7f800001
	s_and_saveexec_b64 s[10:11], vcc
	s_cbranch_execz .LBB647_33
; %bb.32:                               ;   in Loop: Header=BB647_17 Depth=1
	v_and_b32_e32 v23, 7, v30
	v_ffbh_u32_e32 v42, v23
	v_min_u32_e32 v42, 32, v42
	v_subrev_u32_e32 v44, 28, v42
	v_lshlrev_b64 v[52:53], v44, v[30:31]
	v_lshrrev_b32_e32 v40, 3, v34
	v_sub_u32_e32 v42, 29, v42
	v_and_b32_e32 v44, 7, v52
	v_cmp_gt_u32_e32 vcc, 8, v34
	v_cndmask_b32_e32 v34, v40, v42, vcc
	v_cndmask_b32_e32 v23, v23, v44, vcc
	v_lshlrev_b32_e32 v30, 24, v30
	v_lshlrev_b32_e32 v23, 20, v23
	v_and_b32_e32 v30, 0x80000000, v30
	v_lshl_add_u32 v34, v34, 23, v38
	v_or3_b32 v23, v30, v34, v23
.LBB647_33:                             ;   in Loop: Header=BB647_17 Depth=1
	s_or_b64 exec, exec, s[10:11]
.LBB647_34:                             ;   in Loop: Header=BB647_17 Depth=1
	s_or_b64 exec, exec, s[6:7]
.LBB647_35:                             ;   in Loop: Header=BB647_17 Depth=1
	s_or_b64 exec, exec, s[4:5]
	v_cmp_lt_u32_e32 vcc, s15, v20
	s_and_saveexec_b64 s[4:5], vcc
	s_cbranch_execz .LBB647_41
; %bb.36:                               ;   in Loop: Header=BB647_17 Depth=1
	v_lshrrev_b32_e32 v30, 24, v20
	v_cmp_ne_u32_e32 vcc, s13, v30
	v_bfrev_b32_e32 v32, 1
	s_and_saveexec_b64 s[6:7], vcc
	s_cbranch_execz .LBB647_40
; %bb.37:                               ;   in Loop: Header=BB647_17 Depth=1
	v_bfe_u32 v20, v20, 24, 7
	v_cmp_ne_u32_e32 vcc, s14, v20
	v_mov_b32_e32 v32, 0x7f800001
	s_and_saveexec_b64 s[10:11], vcc
	s_cbranch_execz .LBB647_39
; %bb.38:                               ;   in Loop: Header=BB647_17 Depth=1
	v_and_b32_e32 v32, 7, v30
	v_ffbh_u32_e32 v40, v32
	v_min_u32_e32 v40, 32, v40
	v_subrev_u32_e32 v42, 28, v40
	v_lshlrev_b64 v[52:53], v42, v[30:31]
	v_lshrrev_b32_e32 v34, 3, v20
	v_sub_u32_e32 v40, 29, v40
	v_and_b32_e32 v42, 7, v52
	v_cmp_gt_u32_e32 vcc, 8, v20
	v_cndmask_b32_e32 v20, v34, v40, vcc
	v_cndmask_b32_e32 v32, v32, v42, vcc
	v_lshlrev_b32_e32 v30, 24, v30
	v_lshlrev_b32_e32 v32, 20, v32
	v_and_b32_e32 v30, 0x80000000, v30
	v_lshl_add_u32 v20, v20, 23, v38
	v_or3_b32 v32, v30, v20, v32
.LBB647_39:                             ;   in Loop: Header=BB647_17 Depth=1
	s_or_b64 exec, exec, s[10:11]
.LBB647_40:                             ;   in Loop: Header=BB647_17 Depth=1
	s_or_b64 exec, exec, s[6:7]
.LBB647_41:                             ;   in Loop: Header=BB647_17 Depth=1
	s_or_b64 exec, exec, s[4:5]
	s_waitcnt vmcnt(2)
	v_cmp_ne_u16_sdwa s[6:7], v18, v35 src0_sel:BYTE_0 src1_sel:DWORD
	v_mov_b32_e32 v30, 0
	v_mov_b32_e32 v34, 0
	s_and_saveexec_b64 s[4:5], s[6:7]
	s_cbranch_execz .LBB647_47
; %bb.42:                               ;   in Loop: Header=BB647_17 Depth=1
	v_cmp_ne_u16_sdwa s[10:11], v18, s13 src0_sel:BYTE_0 src1_sel:DWORD
	v_bfrev_b32_e32 v34, 1
	s_and_saveexec_b64 s[6:7], s[10:11]
	s_cbranch_execz .LBB647_46
; %bb.43:                               ;   in Loop: Header=BB647_17 Depth=1
	v_and_b32_e32 v20, 0x7f, v18
	v_cmp_ne_u32_e32 vcc, s14, v20
	v_mov_b32_e32 v34, 0x7f800001
	s_and_saveexec_b64 s[10:11], vcc
	s_cbranch_execz .LBB647_45
; %bb.44:                               ;   in Loop: Header=BB647_17 Depth=1
	v_and_b32_e32 v34, 7, v18
	v_ffbh_u32_e32 v42, v34
	v_min_u32_e32 v42, 32, v42
	v_subrev_u32_e32 v44, 28, v42
	v_lshlrev_b64 v[52:53], v44, v[18:19]
	v_lshrrev_b32_e32 v40, 3, v20
	v_sub_u32_e32 v42, 29, v42
	v_and_b32_e32 v44, 7, v52
	v_cmp_gt_u32_e32 vcc, 8, v20
	v_cndmask_b32_e32 v20, v40, v42, vcc
	v_cndmask_b32_e32 v34, v34, v44, vcc
	v_lshlrev_b32_e32 v40, 24, v18
	v_lshlrev_b32_e32 v34, 20, v34
	v_and_b32_e32 v40, 0x80000000, v40
	v_lshl_add_u32 v20, v20, 23, v38
	v_or3_b32 v34, v40, v20, v34
.LBB647_45:                             ;   in Loop: Header=BB647_17 Depth=1
	s_or_b64 exec, exec, s[10:11]
.LBB647_46:                             ;   in Loop: Header=BB647_17 Depth=1
	s_or_b64 exec, exec, s[6:7]
.LBB647_47:                             ;   in Loop: Header=BB647_17 Depth=1
	s_or_b64 exec, exec, s[4:5]
	v_lshrrev_b16_e32 v20, 8, v18
	v_cmp_ne_u16_e32 vcc, 0, v20
	s_and_saveexec_b64 s[4:5], vcc
	s_cbranch_execz .LBB647_53
; %bb.48:                               ;   in Loop: Header=BB647_17 Depth=1
	v_cmp_ne_u16_e32 vcc, s13, v20
	v_bfrev_b32_e32 v30, 1
	s_and_saveexec_b64 s[6:7], vcc
	s_cbranch_execz .LBB647_52
; %bb.49:                               ;   in Loop: Header=BB647_17 Depth=1
	v_and_b32_e32 v40, 0x7f, v20
	v_cmp_ne_u32_e32 vcc, s14, v40
	v_mov_b32_e32 v30, 0x7f800001
	s_and_saveexec_b64 s[10:11], vcc
	s_cbranch_execz .LBB647_51
; %bb.50:                               ;   in Loop: Header=BB647_17 Depth=1
	v_and_b32_e32 v30, 7, v20
	v_ffbh_u32_e32 v44, v30
	v_min_u32_e32 v44, 32, v44
	v_subrev_u32_e32 v52, 28, v44
	v_lshlrev_b64 v[52:53], v52, v[20:21]
	v_lshrrev_b32_e32 v42, 3, v40
	v_sub_u32_e32 v20, 29, v44
	v_and_b32_e32 v44, 7, v52
	v_cmp_gt_u32_e32 vcc, 8, v40
	v_cndmask_b32_e32 v20, v42, v20, vcc
	v_cndmask_b32_e32 v30, v30, v44, vcc
	v_lshlrev_b32_e32 v40, 16, v18
	v_lshlrev_b32_e32 v30, 20, v30
	v_and_b32_e32 v40, 0x80000000, v40
	v_lshl_add_u32 v20, v20, 23, v38
	v_or3_b32 v30, v40, v20, v30
.LBB647_51:                             ;   in Loop: Header=BB647_17 Depth=1
	s_or_b64 exec, exec, s[10:11]
.LBB647_52:                             ;   in Loop: Header=BB647_17 Depth=1
	s_or_b64 exec, exec, s[6:7]
.LBB647_53:                             ;   in Loop: Header=BB647_17 Depth=1
	s_or_b64 exec, exec, s[4:5]
	v_lshrrev_b32_e32 v20, 16, v18
	v_cmp_ne_u16_sdwa s[6:7], v20, v35 src0_sel:BYTE_0 src1_sel:DWORD
	v_mov_b32_e32 v42, 0
	v_mov_b32_e32 v40, 0
	s_and_saveexec_b64 s[4:5], s[6:7]
	s_cbranch_execz .LBB647_59
; %bb.54:                               ;   in Loop: Header=BB647_17 Depth=1
	v_cmp_ne_u16_sdwa s[10:11], v20, s13 src0_sel:BYTE_0 src1_sel:DWORD
	v_bfrev_b32_e32 v40, 1
	s_and_saveexec_b64 s[6:7], s[10:11]
	s_cbranch_execz .LBB647_58
; %bb.55:                               ;   in Loop: Header=BB647_17 Depth=1
	v_bfe_u32 v44, v18, 16, 7
	v_cmp_ne_u32_e32 vcc, s14, v44
	v_mov_b32_e32 v40, 0x7f800001
	s_and_saveexec_b64 s[10:11], vcc
	s_cbranch_execz .LBB647_57
; %bb.56:                               ;   in Loop: Header=BB647_17 Depth=1
	v_and_b32_e32 v40, 7, v20
	v_ffbh_u32_e32 v52, v40
	v_min_u32_e32 v55, 32, v52
	v_subrev_u32_e32 v52, 28, v55
	v_lshlrev_b64 v[52:53], v52, v[20:21]
	v_lshrrev_b32_e32 v54, 3, v44
	v_sub_u32_e32 v53, 29, v55
	v_and_b32_e32 v52, 7, v52
	v_cmp_gt_u32_e32 vcc, 8, v44
	v_cndmask_b32_e32 v44, v54, v53, vcc
	v_cndmask_b32_e32 v40, v40, v52, vcc
	v_lshlrev_b32_e32 v20, 24, v20
	v_lshlrev_b32_e32 v40, 20, v40
	v_and_b32_e32 v20, 0x80000000, v20
	v_lshl_add_u32 v44, v44, 23, v38
	v_or3_b32 v40, v20, v44, v40
.LBB647_57:                             ;   in Loop: Header=BB647_17 Depth=1
	s_or_b64 exec, exec, s[10:11]
.LBB647_58:                             ;   in Loop: Header=BB647_17 Depth=1
	s_or_b64 exec, exec, s[6:7]
.LBB647_59:                             ;   in Loop: Header=BB647_17 Depth=1
	s_or_b64 exec, exec, s[4:5]
	v_cmp_lt_u32_e32 vcc, s15, v18
	s_and_saveexec_b64 s[4:5], vcc
	s_cbranch_execz .LBB647_65
; %bb.60:                               ;   in Loop: Header=BB647_17 Depth=1
	v_lshrrev_b32_e32 v20, 24, v18
	v_cmp_ne_u32_e32 vcc, s13, v20
	v_bfrev_b32_e32 v42, 1
	s_and_saveexec_b64 s[6:7], vcc
	s_cbranch_execz .LBB647_64
; %bb.61:                               ;   in Loop: Header=BB647_17 Depth=1
	v_bfe_u32 v18, v18, 24, 7
	v_cmp_ne_u32_e32 vcc, s14, v18
	v_mov_b32_e32 v42, 0x7f800001
	s_and_saveexec_b64 s[10:11], vcc
	s_cbranch_execz .LBB647_63
; %bb.62:                               ;   in Loop: Header=BB647_17 Depth=1
	v_and_b32_e32 v42, 7, v20
	v_ffbh_u32_e32 v52, v42
	v_min_u32_e32 v54, 32, v52
	v_subrev_u32_e32 v52, 28, v54
	v_lshlrev_b64 v[52:53], v52, v[20:21]
	v_lshrrev_b32_e32 v44, 3, v18
	v_sub_u32_e32 v53, 29, v54
	v_and_b32_e32 v52, 7, v52
	v_cmp_gt_u32_e32 vcc, 8, v18
	v_cndmask_b32_e32 v18, v44, v53, vcc
	v_cndmask_b32_e32 v42, v42, v52, vcc
	v_lshlrev_b32_e32 v20, 24, v20
	v_lshlrev_b32_e32 v42, 20, v42
	v_and_b32_e32 v20, 0x80000000, v20
	v_lshl_add_u32 v18, v18, 23, v38
	v_or3_b32 v42, v20, v18, v42
.LBB647_63:                             ;   in Loop: Header=BB647_17 Depth=1
	s_or_b64 exec, exec, s[10:11]
.LBB647_64:                             ;   in Loop: Header=BB647_17 Depth=1
	s_or_b64 exec, exec, s[6:7]
.LBB647_65:                             ;   in Loop: Header=BB647_17 Depth=1
	s_or_b64 exec, exec, s[4:5]
	v_cvt_pkrtz_f16_f32 v18, v21, v19
	v_cvt_pkrtz_f16_f32 v19, v23, v32
	;; [unrolled: 1-line block ×4, first 2 shown]
	v_mov_b32_e32 v32, 0
	v_mfma_f32_16x16x16f16 v[18:21], v[18:19], v[2:3], 0
	s_waitcnt vmcnt(1)
	v_cmp_ne_u16_sdwa s[6:7], v28, v35 src0_sel:BYTE_0 src1_sel:DWORD
	v_mov_b32_e32 v34, 0
	v_mfma_f32_16x16x16f16 v[18:21], v[52:53], v[4:5], v[18:21]
	s_and_saveexec_b64 s[4:5], s[6:7]
	s_cbranch_execz .LBB647_71
; %bb.66:                               ;   in Loop: Header=BB647_17 Depth=1
	v_cmp_ne_u16_sdwa s[10:11], v28, s13 src0_sel:BYTE_0 src1_sel:DWORD
	v_bfrev_b32_e32 v34, 1
	s_and_saveexec_b64 s[6:7], s[10:11]
	s_cbranch_execz .LBB647_70
; %bb.67:                               ;   in Loop: Header=BB647_17 Depth=1
	v_and_b32_e32 v23, 0x7f, v28
	v_cmp_ne_u32_e32 vcc, s14, v23
	v_mov_b32_e32 v34, 0x7f800001
	s_and_saveexec_b64 s[10:11], vcc
	s_cbranch_execz .LBB647_69
; %bb.68:                               ;   in Loop: Header=BB647_17 Depth=1
	v_and_b32_e32 v30, 7, v28
	v_ffbh_u32_e32 v40, v30
	v_min_u32_e32 v40, 32, v40
	v_subrev_u32_e32 v42, 28, v40
	v_lshlrev_b64 v[52:53], v42, v[28:29]
	v_lshrrev_b32_e32 v34, 3, v23
	v_sub_u32_e32 v40, 29, v40
	v_and_b32_e32 v42, 7, v52
	v_cmp_gt_u32_e32 vcc, 8, v23
	v_cndmask_b32_e32 v23, v34, v40, vcc
	v_cndmask_b32_e32 v30, v30, v42, vcc
	v_lshlrev_b32_e32 v34, 24, v28
	v_lshlrev_b32_e32 v30, 20, v30
	v_and_b32_e32 v34, 0x80000000, v34
	v_lshl_add_u32 v23, v23, 23, v38
	v_or3_b32 v34, v34, v23, v30
.LBB647_69:                             ;   in Loop: Header=BB647_17 Depth=1
	s_or_b64 exec, exec, s[10:11]
.LBB647_70:                             ;   in Loop: Header=BB647_17 Depth=1
	s_or_b64 exec, exec, s[6:7]
.LBB647_71:                             ;   in Loop: Header=BB647_17 Depth=1
	s_or_b64 exec, exec, s[4:5]
	v_lshrrev_b16_e32 v30, 8, v28
	v_cmp_ne_u16_e32 vcc, 0, v30
	v_mov_b32_e32 v40, 0
	s_and_saveexec_b64 s[4:5], vcc
	s_cbranch_execz .LBB647_77
; %bb.72:                               ;   in Loop: Header=BB647_17 Depth=1
	v_cmp_ne_u16_e32 vcc, s13, v30
	v_bfrev_b32_e32 v40, 1
	s_and_saveexec_b64 s[6:7], vcc
	s_cbranch_execz .LBB647_76
; %bb.73:                               ;   in Loop: Header=BB647_17 Depth=1
	v_and_b32_e32 v23, 0x7f, v30
	v_cmp_ne_u32_e32 vcc, s14, v23
	v_mov_b32_e32 v40, 0x7f800001
	s_and_saveexec_b64 s[10:11], vcc
	s_cbranch_execz .LBB647_75
; %bb.74:                               ;   in Loop: Header=BB647_17 Depth=1
	v_and_b32_e32 v40, 7, v30
	v_ffbh_u32_e32 v44, v40
	v_min_u32_e32 v44, 32, v44
	v_subrev_u32_e32 v52, 28, v44
	v_lshlrev_b64 v[52:53], v52, v[30:31]
	v_lshrrev_b32_e32 v42, 3, v23
	v_sub_u32_e32 v30, 29, v44
	v_and_b32_e32 v44, 7, v52
	v_cmp_gt_u32_e32 vcc, 8, v23
	v_cndmask_b32_e32 v23, v42, v30, vcc
	v_cndmask_b32_e32 v30, v40, v44, vcc
	v_lshlrev_b32_e32 v40, 16, v28
	v_lshlrev_b32_e32 v30, 20, v30
	v_and_b32_e32 v40, 0x80000000, v40
	v_lshl_add_u32 v23, v23, 23, v38
	v_or3_b32 v40, v40, v23, v30
.LBB647_75:                             ;   in Loop: Header=BB647_17 Depth=1
	s_or_b64 exec, exec, s[10:11]
.LBB647_76:                             ;   in Loop: Header=BB647_17 Depth=1
	s_or_b64 exec, exec, s[6:7]
.LBB647_77:                             ;   in Loop: Header=BB647_17 Depth=1
	s_or_b64 exec, exec, s[4:5]
	v_lshrrev_b32_e32 v30, 16, v28
	v_cmp_ne_u16_sdwa s[6:7], v30, v35 src0_sel:BYTE_0 src1_sel:DWORD
	s_and_saveexec_b64 s[4:5], s[6:7]
	s_cbranch_execz .LBB647_83
; %bb.78:                               ;   in Loop: Header=BB647_17 Depth=1
	v_cmp_ne_u16_sdwa s[10:11], v30, s13 src0_sel:BYTE_0 src1_sel:DWORD
	v_bfrev_b32_e32 v32, 1
	s_and_saveexec_b64 s[6:7], s[10:11]
	s_cbranch_execz .LBB647_82
; %bb.79:                               ;   in Loop: Header=BB647_17 Depth=1
	v_bfe_u32 v23, v28, 16, 7
	v_cmp_ne_u32_e32 vcc, s14, v23
	v_mov_b32_e32 v32, 0x7f800001
	s_and_saveexec_b64 s[10:11], vcc
	s_cbranch_execz .LBB647_81
; %bb.80:                               ;   in Loop: Header=BB647_17 Depth=1
	v_and_b32_e32 v32, 7, v30
	v_ffbh_u32_e32 v44, v32
	v_min_u32_e32 v44, 32, v44
	v_subrev_u32_e32 v52, 28, v44
	v_lshlrev_b64 v[52:53], v52, v[30:31]
	v_lshrrev_b32_e32 v42, 3, v23
	v_sub_u32_e32 v44, 29, v44
	v_and_b32_e32 v52, 7, v52
	v_cmp_gt_u32_e32 vcc, 8, v23
	v_cndmask_b32_e32 v23, v42, v44, vcc
	v_cndmask_b32_e32 v32, v32, v52, vcc
	v_lshlrev_b32_e32 v30, 24, v30
	v_lshlrev_b32_e32 v32, 20, v32
	v_and_b32_e32 v30, 0x80000000, v30
	v_lshl_add_u32 v23, v23, 23, v38
	v_or3_b32 v32, v30, v23, v32
.LBB647_81:                             ;   in Loop: Header=BB647_17 Depth=1
	s_or_b64 exec, exec, s[10:11]
.LBB647_82:                             ;   in Loop: Header=BB647_17 Depth=1
	s_or_b64 exec, exec, s[6:7]
.LBB647_83:                             ;   in Loop: Header=BB647_17 Depth=1
	s_or_b64 exec, exec, s[4:5]
	v_cmp_lt_u32_e32 vcc, s15, v28
	v_mov_b32_e32 v42, 0
	v_mov_b32_e32 v44, 0
	s_and_saveexec_b64 s[4:5], vcc
	s_cbranch_execz .LBB647_89
; %bb.84:                               ;   in Loop: Header=BB647_17 Depth=1
	v_lshrrev_b32_e32 v30, 24, v28
	v_cmp_ne_u32_e32 vcc, s13, v30
	v_bfrev_b32_e32 v44, 1
	s_and_saveexec_b64 s[6:7], vcc
	s_cbranch_execz .LBB647_88
; %bb.85:                               ;   in Loop: Header=BB647_17 Depth=1
	v_bfe_u32 v23, v28, 24, 7
	v_cmp_ne_u32_e32 vcc, s14, v23
	v_mov_b32_e32 v44, 0x7f800001
	s_and_saveexec_b64 s[10:11], vcc
	s_cbranch_execz .LBB647_87
; %bb.86:                               ;   in Loop: Header=BB647_17 Depth=1
	v_and_b32_e32 v28, 7, v30
	v_ffbh_u32_e32 v52, v28
	v_min_u32_e32 v54, 32, v52
	v_subrev_u32_e32 v52, 28, v54
	v_lshlrev_b64 v[52:53], v52, v[30:31]
	v_lshrrev_b32_e32 v44, 3, v23
	v_sub_u32_e32 v53, 29, v54
	v_and_b32_e32 v52, 7, v52
	v_cmp_gt_u32_e32 vcc, 8, v23
	v_cndmask_b32_e32 v23, v44, v53, vcc
	v_cndmask_b32_e32 v28, v28, v52, vcc
	v_lshlrev_b32_e32 v30, 24, v30
	v_lshlrev_b32_e32 v28, 20, v28
	v_and_b32_e32 v30, 0x80000000, v30
	v_lshl_add_u32 v23, v23, 23, v38
	v_or3_b32 v44, v30, v23, v28
.LBB647_87:                             ;   in Loop: Header=BB647_17 Depth=1
	s_or_b64 exec, exec, s[10:11]
.LBB647_88:                             ;   in Loop: Header=BB647_17 Depth=1
	s_or_b64 exec, exec, s[6:7]
.LBB647_89:                             ;   in Loop: Header=BB647_17 Depth=1
	s_or_b64 exec, exec, s[4:5]
	s_waitcnt vmcnt(0)
	v_cmp_ne_u16_sdwa s[6:7], v26, v35 src0_sel:BYTE_0 src1_sel:DWORD
	s_and_saveexec_b64 s[4:5], s[6:7]
	s_cbranch_execz .LBB647_95
; %bb.90:                               ;   in Loop: Header=BB647_17 Depth=1
	v_cmp_ne_u16_sdwa s[10:11], v26, s13 src0_sel:BYTE_0 src1_sel:DWORD
	v_bfrev_b32_e32 v42, 1
	s_and_saveexec_b64 s[6:7], s[10:11]
	s_cbranch_execz .LBB647_94
; %bb.91:                               ;   in Loop: Header=BB647_17 Depth=1
	v_and_b32_e32 v23, 0x7f, v26
	v_cmp_ne_u32_e32 vcc, s14, v23
	v_mov_b32_e32 v42, 0x7f800001
	s_and_saveexec_b64 s[10:11], vcc
	s_cbranch_execz .LBB647_93
; %bb.92:                               ;   in Loop: Header=BB647_17 Depth=1
	v_and_b32_e32 v28, 7, v26
	v_ffbh_u32_e32 v42, v28
	v_min_u32_e32 v42, 32, v42
	v_subrev_u32_e32 v52, 28, v42
	v_lshlrev_b64 v[52:53], v52, v[26:27]
	v_lshrrev_b32_e32 v30, 3, v23
	v_sub_u32_e32 v42, 29, v42
	v_and_b32_e32 v52, 7, v52
	v_cmp_gt_u32_e32 vcc, 8, v23
	v_cndmask_b32_e32 v23, v30, v42, vcc
	v_cndmask_b32_e32 v28, v28, v52, vcc
	v_lshlrev_b32_e32 v30, 24, v26
	v_lshlrev_b32_e32 v28, 20, v28
	v_and_b32_e32 v30, 0x80000000, v30
	v_lshl_add_u32 v23, v23, 23, v38
	v_or3_b32 v42, v30, v23, v28
.LBB647_93:                             ;   in Loop: Header=BB647_17 Depth=1
	s_or_b64 exec, exec, s[10:11]
.LBB647_94:                             ;   in Loop: Header=BB647_17 Depth=1
	s_or_b64 exec, exec, s[6:7]
.LBB647_95:                             ;   in Loop: Header=BB647_17 Depth=1
	s_or_b64 exec, exec, s[4:5]
	v_lshrrev_b16_e32 v28, 8, v26
	v_cmp_ne_u16_e32 vcc, 0, v28
	v_mov_b32_e32 v52, 0
	v_mov_b32_e32 v53, 0
	s_and_saveexec_b64 s[4:5], vcc
	s_cbranch_execz .LBB647_101
; %bb.96:                               ;   in Loop: Header=BB647_17 Depth=1
	v_cmp_ne_u16_e32 vcc, s13, v28
	v_bfrev_b32_e32 v53, 1
	s_and_saveexec_b64 s[6:7], vcc
	s_cbranch_execz .LBB647_100
; %bb.97:                               ;   in Loop: Header=BB647_17 Depth=1
	v_and_b32_e32 v23, 0x7f, v28
	v_cmp_ne_u32_e32 vcc, s14, v23
	v_mov_b32_e32 v53, 0x7f800001
	s_and_saveexec_b64 s[10:11], vcc
	s_cbranch_execz .LBB647_99
; %bb.98:                               ;   in Loop: Header=BB647_17 Depth=1
	v_and_b32_e32 v30, 7, v28
	v_ffbh_u32_e32 v54, v30
	v_min_u32_e32 v56, 32, v54
	v_subrev_u32_e32 v54, 28, v56
	v_lshlrev_b64 v[54:55], v54, v[28:29]
	v_lshrrev_b32_e32 v53, 3, v23
	v_sub_u32_e32 v28, 29, v56
	v_and_b32_e32 v54, 7, v54
	v_cmp_gt_u32_e32 vcc, 8, v23
	v_cndmask_b32_e32 v23, v53, v28, vcc
	v_cndmask_b32_e32 v28, v30, v54, vcc
	v_lshlrev_b32_e32 v30, 16, v26
	v_lshlrev_b32_e32 v28, 20, v28
	v_and_b32_e32 v30, 0x80000000, v30
	v_lshl_add_u32 v23, v23, 23, v38
	v_or3_b32 v53, v30, v23, v28
.LBB647_99:                             ;   in Loop: Header=BB647_17 Depth=1
	s_or_b64 exec, exec, s[10:11]
.LBB647_100:                            ;   in Loop: Header=BB647_17 Depth=1
	s_or_b64 exec, exec, s[6:7]
.LBB647_101:                            ;   in Loop: Header=BB647_17 Depth=1
	s_or_b64 exec, exec, s[4:5]
	v_lshrrev_b32_e32 v28, 16, v26
	v_cmp_ne_u16_sdwa s[6:7], v28, v35 src0_sel:BYTE_0 src1_sel:DWORD
	s_and_saveexec_b64 s[4:5], s[6:7]
	s_cbranch_execz .LBB647_107
; %bb.102:                              ;   in Loop: Header=BB647_17 Depth=1
	v_cmp_ne_u16_sdwa s[10:11], v28, s13 src0_sel:BYTE_0 src1_sel:DWORD
	v_bfrev_b32_e32 v52, 1
	s_and_saveexec_b64 s[6:7], s[10:11]
	s_cbranch_execz .LBB647_106
; %bb.103:                              ;   in Loop: Header=BB647_17 Depth=1
	v_bfe_u32 v23, v26, 16, 7
	v_cmp_ne_u32_e32 vcc, s14, v23
	v_mov_b32_e32 v52, 0x7f800001
	s_and_saveexec_b64 s[10:11], vcc
	s_cbranch_execz .LBB647_105
; %bb.104:                              ;   in Loop: Header=BB647_17 Depth=1
	v_and_b32_e32 v30, 7, v28
	v_ffbh_u32_e32 v54, v30
	v_min_u32_e32 v56, 32, v54
	v_subrev_u32_e32 v54, 28, v56
	v_lshlrev_b64 v[54:55], v54, v[28:29]
	v_lshrrev_b32_e32 v52, 3, v23
	v_sub_u32_e32 v55, 29, v56
	v_and_b32_e32 v54, 7, v54
	v_cmp_gt_u32_e32 vcc, 8, v23
	v_cndmask_b32_e32 v23, v52, v55, vcc
	v_cndmask_b32_e32 v30, v30, v54, vcc
	v_lshlrev_b32_e32 v28, 24, v28
	v_lshlrev_b32_e32 v30, 20, v30
	v_and_b32_e32 v28, 0x80000000, v28
	v_lshl_add_u32 v23, v23, 23, v38
	v_or3_b32 v52, v28, v23, v30
.LBB647_105:                            ;   in Loop: Header=BB647_17 Depth=1
	s_or_b64 exec, exec, s[10:11]
.LBB647_106:                            ;   in Loop: Header=BB647_17 Depth=1
	s_or_b64 exec, exec, s[6:7]
.LBB647_107:                            ;   in Loop: Header=BB647_17 Depth=1
	s_or_b64 exec, exec, s[4:5]
	v_cmp_lt_u32_e32 vcc, s15, v26
	v_mov_b32_e32 v23, 0
	v_mov_b32_e32 v54, 0
	s_and_saveexec_b64 s[4:5], vcc
	s_cbranch_execz .LBB647_113
; %bb.108:                              ;   in Loop: Header=BB647_17 Depth=1
	v_lshrrev_b32_e32 v28, 24, v26
	v_cmp_ne_u32_e32 vcc, s13, v28
	v_bfrev_b32_e32 v54, 1
	s_and_saveexec_b64 s[6:7], vcc
	s_cbranch_execz .LBB647_112
; %bb.109:                              ;   in Loop: Header=BB647_17 Depth=1
	v_bfe_u32 v26, v26, 24, 7
	v_cmp_ne_u32_e32 vcc, s14, v26
	v_mov_b32_e32 v54, 0x7f800001
	s_and_saveexec_b64 s[10:11], vcc
	s_cbranch_execz .LBB647_111
; %bb.110:                              ;   in Loop: Header=BB647_17 Depth=1
	v_and_b32_e32 v30, 7, v28
	v_ffbh_u32_e32 v54, v30
	v_min_u32_e32 v57, 32, v54
	v_subrev_u32_e32 v54, 28, v57
	v_lshlrev_b64 v[54:55], v54, v[28:29]
	v_lshrrev_b32_e32 v56, 3, v26
	v_sub_u32_e32 v55, 29, v57
	v_and_b32_e32 v54, 7, v54
	v_cmp_gt_u32_e32 vcc, 8, v26
	v_cndmask_b32_e32 v26, v56, v55, vcc
	v_cndmask_b32_e32 v30, v30, v54, vcc
	v_lshlrev_b32_e32 v28, 24, v28
	v_lshlrev_b32_e32 v30, 20, v30
	v_and_b32_e32 v28, 0x80000000, v28
	v_lshl_add_u32 v26, v26, 23, v38
	v_or3_b32 v54, v28, v26, v30
.LBB647_111:                            ;   in Loop: Header=BB647_17 Depth=1
	s_or_b64 exec, exec, s[10:11]
.LBB647_112:                            ;   in Loop: Header=BB647_17 Depth=1
	s_or_b64 exec, exec, s[6:7]
.LBB647_113:                            ;   in Loop: Header=BB647_17 Depth=1
	s_or_b64 exec, exec, s[4:5]
	v_cvt_pkrtz_f16_f32 v57, v32, v44
	buffer_load_dword v32, v36, s[0:3], 0 offen offset:16
	buffer_load_dword v30, v36, s[0:3], 0 offen offset:20
	;; [unrolled: 1-line block ×4, first 2 shown]
	v_cvt_pkrtz_f16_f32 v56, v34, v40
	s_waitcnt vmcnt(3)
	v_cmp_ne_u16_sdwa s[6:7], v32, v35 src0_sel:BYTE_0 src1_sel:DWORD
	v_mfma_f32_16x16x16f16 v[18:21], v[56:57], v[6:7], v[18:21]
	v_cvt_pkrtz_f16_f32 v56, v42, v53
	v_cvt_pkrtz_f16_f32 v57, v52, v54
	s_nop 1
	v_mfma_f32_16x16x16f16 v[18:21], v[56:57], v[8:9], v[18:21]
	s_and_saveexec_b64 s[4:5], s[6:7]
	s_cbranch_execz .LBB647_119
; %bb.114:                              ;   in Loop: Header=BB647_17 Depth=1
	v_cmp_ne_u16_sdwa s[10:11], v32, s13 src0_sel:BYTE_0 src1_sel:DWORD
	v_bfrev_b32_e32 v23, 1
	s_and_saveexec_b64 s[6:7], s[10:11]
	s_cbranch_execz .LBB647_118
; %bb.115:                              ;   in Loop: Header=BB647_17 Depth=1
	v_and_b32_e32 v34, 0x7f, v32
	v_cmp_ne_u32_e32 vcc, s14, v34
	v_mov_b32_e32 v23, 0x7f800001
	s_and_saveexec_b64 s[10:11], vcc
	s_cbranch_execz .LBB647_117
; %bb.116:                              ;   in Loop: Header=BB647_17 Depth=1
	v_and_b32_e32 v23, 7, v32
	v_ffbh_u32_e32 v42, v23
	v_min_u32_e32 v42, 32, v42
	v_subrev_u32_e32 v44, 28, v42
	v_lshlrev_b64 v[52:53], v44, v[32:33]
	v_lshrrev_b32_e32 v40, 3, v34
	v_sub_u32_e32 v42, 29, v42
	v_and_b32_e32 v44, 7, v52
	v_cmp_gt_u32_e32 vcc, 8, v34
	v_cndmask_b32_e32 v34, v40, v42, vcc
	v_cndmask_b32_e32 v23, v23, v44, vcc
	v_lshlrev_b32_e32 v40, 24, v32
	v_lshlrev_b32_e32 v23, 20, v23
	v_and_b32_e32 v40, 0x80000000, v40
	v_lshl_add_u32 v34, v34, 23, v38
	v_or3_b32 v23, v40, v34, v23
.LBB647_117:                            ;   in Loop: Header=BB647_17 Depth=1
	s_or_b64 exec, exec, s[10:11]
.LBB647_118:                            ;   in Loop: Header=BB647_17 Depth=1
	s_or_b64 exec, exec, s[6:7]
.LBB647_119:                            ;   in Loop: Header=BB647_17 Depth=1
	s_or_b64 exec, exec, s[4:5]
	v_lshrrev_b16_e32 v34, 8, v32
	v_cmp_ne_u16_e32 vcc, 0, v34
	v_mov_b32_e32 v40, 0
	v_mov_b32_e32 v42, 0
	s_and_saveexec_b64 s[4:5], vcc
	s_cbranch_execz .LBB647_125
; %bb.120:                              ;   in Loop: Header=BB647_17 Depth=1
	v_cmp_ne_u16_e32 vcc, s13, v34
	v_bfrev_b32_e32 v42, 1
	s_and_saveexec_b64 s[6:7], vcc
	s_cbranch_execz .LBB647_124
; %bb.121:                              ;   in Loop: Header=BB647_17 Depth=1
	v_and_b32_e32 v44, 0x7f, v34
	v_cmp_ne_u32_e32 vcc, s14, v44
	v_mov_b32_e32 v42, 0x7f800001
	s_and_saveexec_b64 s[10:11], vcc
	s_cbranch_execz .LBB647_123
; %bb.122:                              ;   in Loop: Header=BB647_17 Depth=1
	v_and_b32_e32 v42, 7, v34
	v_ffbh_u32_e32 v52, v42
	v_min_u32_e32 v55, 32, v52
	v_subrev_u32_e32 v52, 28, v55
	v_lshlrev_b64 v[52:53], v52, v[34:35]
	v_lshrrev_b32_e32 v54, 3, v44
	v_sub_u32_e32 v34, 29, v55
	v_and_b32_e32 v52, 7, v52
	v_cmp_gt_u32_e32 vcc, 8, v44
	v_cndmask_b32_e32 v34, v54, v34, vcc
	v_cndmask_b32_e32 v42, v42, v52, vcc
	v_lshlrev_b32_e32 v44, 16, v32
	v_lshlrev_b32_e32 v42, 20, v42
	v_and_b32_e32 v44, 0x80000000, v44
	v_lshl_add_u32 v34, v34, 23, v38
	v_or3_b32 v42, v44, v34, v42
.LBB647_123:                            ;   in Loop: Header=BB647_17 Depth=1
	s_or_b64 exec, exec, s[10:11]
.LBB647_124:                            ;   in Loop: Header=BB647_17 Depth=1
	s_or_b64 exec, exec, s[6:7]
.LBB647_125:                            ;   in Loop: Header=BB647_17 Depth=1
	s_or_b64 exec, exec, s[4:5]
	v_lshrrev_b32_e32 v34, 16, v32
	v_cmp_ne_u16_sdwa s[6:7], v34, v35 src0_sel:BYTE_0 src1_sel:DWORD
	s_and_saveexec_b64 s[4:5], s[6:7]
	s_cbranch_execz .LBB647_131
; %bb.126:                              ;   in Loop: Header=BB647_17 Depth=1
	v_cmp_ne_u16_sdwa s[10:11], v34, s13 src0_sel:BYTE_0 src1_sel:DWORD
	v_bfrev_b32_e32 v40, 1
	s_and_saveexec_b64 s[6:7], s[10:11]
	s_cbranch_execz .LBB647_130
; %bb.127:                              ;   in Loop: Header=BB647_17 Depth=1
	v_bfe_u32 v44, v32, 16, 7
	v_cmp_ne_u32_e32 vcc, s14, v44
	v_mov_b32_e32 v40, 0x7f800001
	s_and_saveexec_b64 s[10:11], vcc
	s_cbranch_execz .LBB647_129
; %bb.128:                              ;   in Loop: Header=BB647_17 Depth=1
	v_and_b32_e32 v40, 7, v34
	v_ffbh_u32_e32 v52, v40
	v_min_u32_e32 v55, 32, v52
	v_subrev_u32_e32 v52, 28, v55
	v_lshlrev_b64 v[52:53], v52, v[34:35]
	v_lshrrev_b32_e32 v54, 3, v44
	v_sub_u32_e32 v53, 29, v55
	v_and_b32_e32 v52, 7, v52
	v_cmp_gt_u32_e32 vcc, 8, v44
	v_cndmask_b32_e32 v44, v54, v53, vcc
	v_cndmask_b32_e32 v40, v40, v52, vcc
	v_lshlrev_b32_e32 v34, 24, v34
	v_lshlrev_b32_e32 v40, 20, v40
	v_and_b32_e32 v34, 0x80000000, v34
	v_lshl_add_u32 v44, v44, 23, v38
	v_or3_b32 v40, v34, v44, v40
.LBB647_129:                            ;   in Loop: Header=BB647_17 Depth=1
	s_or_b64 exec, exec, s[10:11]
.LBB647_130:                            ;   in Loop: Header=BB647_17 Depth=1
	s_or_b64 exec, exec, s[6:7]
.LBB647_131:                            ;   in Loop: Header=BB647_17 Depth=1
	s_or_b64 exec, exec, s[4:5]
	v_cmp_lt_u32_e32 vcc, s15, v32
	v_mov_b32_e32 v44, 0
	v_mov_b32_e32 v52, 0
	s_and_saveexec_b64 s[4:5], vcc
	s_cbranch_execz .LBB647_137
; %bb.132:                              ;   in Loop: Header=BB647_17 Depth=1
	v_lshrrev_b32_e32 v34, 24, v32
	v_cmp_ne_u32_e32 vcc, s13, v34
	v_bfrev_b32_e32 v52, 1
	s_and_saveexec_b64 s[6:7], vcc
	s_cbranch_execz .LBB647_136
; %bb.133:                              ;   in Loop: Header=BB647_17 Depth=1
	v_bfe_u32 v32, v32, 24, 7
	v_cmp_ne_u32_e32 vcc, s14, v32
	v_mov_b32_e32 v52, 0x7f800001
	s_and_saveexec_b64 s[10:11], vcc
	s_cbranch_execz .LBB647_135
; %bb.134:                              ;   in Loop: Header=BB647_17 Depth=1
	v_and_b32_e32 v54, 7, v34
	v_ffbh_u32_e32 v52, v54
	v_min_u32_e32 v56, 32, v52
	v_subrev_u32_e32 v52, 28, v56
	v_lshlrev_b64 v[52:53], v52, v[34:35]
	v_lshrrev_b32_e32 v55, 3, v32
	v_sub_u32_e32 v53, 29, v56
	v_and_b32_e32 v52, 7, v52
	v_cmp_gt_u32_e32 vcc, 8, v32
	v_cndmask_b32_e32 v32, v55, v53, vcc
	v_cndmask_b32_e32 v52, v54, v52, vcc
	v_lshlrev_b32_e32 v34, 24, v34
	v_lshlrev_b32_e32 v52, 20, v52
	v_and_b32_e32 v34, 0x80000000, v34
	v_lshl_add_u32 v32, v32, 23, v38
	v_or3_b32 v52, v34, v32, v52
.LBB647_135:                            ;   in Loop: Header=BB647_17 Depth=1
	s_or_b64 exec, exec, s[10:11]
.LBB647_136:                            ;   in Loop: Header=BB647_17 Depth=1
	s_or_b64 exec, exec, s[6:7]
.LBB647_137:                            ;   in Loop: Header=BB647_17 Depth=1
	s_or_b64 exec, exec, s[4:5]
	s_waitcnt vmcnt(2)
	v_cmp_ne_u16_sdwa s[6:7], v30, v35 src0_sel:BYTE_0 src1_sel:DWORD
	s_and_saveexec_b64 s[4:5], s[6:7]
	s_cbranch_execz .LBB647_143
; %bb.138:                              ;   in Loop: Header=BB647_17 Depth=1
	v_cmp_ne_u16_sdwa s[10:11], v30, s13 src0_sel:BYTE_0 src1_sel:DWORD
	v_bfrev_b32_e32 v44, 1
	s_and_saveexec_b64 s[6:7], s[10:11]
	s_cbranch_execz .LBB647_142
; %bb.139:                              ;   in Loop: Header=BB647_17 Depth=1
	v_and_b32_e32 v32, 0x7f, v30
	v_cmp_ne_u32_e32 vcc, s14, v32
	v_mov_b32_e32 v44, 0x7f800001
	s_and_saveexec_b64 s[10:11], vcc
	s_cbranch_execz .LBB647_141
; %bb.140:                              ;   in Loop: Header=BB647_17 Depth=1
	v_and_b32_e32 v34, 7, v30
	v_ffbh_u32_e32 v53, v34
	v_min_u32_e32 v53, 32, v53
	v_subrev_u32_e32 v54, 28, v53
	v_lshlrev_b64 v[54:55], v54, v[30:31]
	v_lshrrev_b32_e32 v44, 3, v32
	v_sub_u32_e32 v53, 29, v53
	v_and_b32_e32 v54, 7, v54
	v_cmp_gt_u32_e32 vcc, 8, v32
	v_cndmask_b32_e32 v32, v44, v53, vcc
	v_cndmask_b32_e32 v34, v34, v54, vcc
	v_lshlrev_b32_e32 v44, 24, v30
	v_lshlrev_b32_e32 v34, 20, v34
	v_and_b32_e32 v44, 0x80000000, v44
	v_lshl_add_u32 v32, v32, 23, v38
	v_or3_b32 v44, v44, v32, v34
.LBB647_141:                            ;   in Loop: Header=BB647_17 Depth=1
	s_or_b64 exec, exec, s[10:11]
.LBB647_142:                            ;   in Loop: Header=BB647_17 Depth=1
	s_or_b64 exec, exec, s[6:7]
.LBB647_143:                            ;   in Loop: Header=BB647_17 Depth=1
	s_or_b64 exec, exec, s[4:5]
	v_lshrrev_b16_e32 v32, 8, v30
	v_cmp_ne_u16_e32 vcc, 0, v32
	v_mov_b32_e32 v53, 0
	v_mov_b32_e32 v54, 0
	s_and_saveexec_b64 s[4:5], vcc
	s_cbranch_execz .LBB647_149
; %bb.144:                              ;   in Loop: Header=BB647_17 Depth=1
	v_cmp_ne_u16_e32 vcc, s13, v32
	v_bfrev_b32_e32 v54, 1
	s_and_saveexec_b64 s[6:7], vcc
	s_cbranch_execz .LBB647_148
; %bb.145:                              ;   in Loop: Header=BB647_17 Depth=1
	v_and_b32_e32 v34, 0x7f, v32
	v_cmp_ne_u32_e32 vcc, s14, v34
	v_mov_b32_e32 v54, 0x7f800001
	s_and_saveexec_b64 s[10:11], vcc
	s_cbranch_execz .LBB647_147
; %bb.146:                              ;   in Loop: Header=BB647_17 Depth=1
	v_and_b32_e32 v56, 7, v32
	v_ffbh_u32_e32 v54, v56
	v_min_u32_e32 v58, 32, v54
	v_subrev_u32_e32 v54, 28, v58
	v_lshlrev_b64 v[54:55], v54, v[32:33]
	v_lshrrev_b32_e32 v57, 3, v34
	v_sub_u32_e32 v32, 29, v58
	v_and_b32_e32 v54, 7, v54
	v_cmp_gt_u32_e32 vcc, 8, v34
	v_cndmask_b32_e32 v32, v57, v32, vcc
	v_cndmask_b32_e32 v34, v56, v54, vcc
	v_lshlrev_b32_e32 v54, 16, v30
	v_lshlrev_b32_e32 v34, 20, v34
	v_and_b32_e32 v54, 0x80000000, v54
	v_lshl_add_u32 v32, v32, 23, v38
	v_or3_b32 v54, v54, v32, v34
.LBB647_147:                            ;   in Loop: Header=BB647_17 Depth=1
	s_or_b64 exec, exec, s[10:11]
.LBB647_148:                            ;   in Loop: Header=BB647_17 Depth=1
	s_or_b64 exec, exec, s[6:7]
.LBB647_149:                            ;   in Loop: Header=BB647_17 Depth=1
	s_or_b64 exec, exec, s[4:5]
	v_lshrrev_b32_e32 v32, 16, v30
	v_cmp_ne_u16_sdwa s[6:7], v32, v35 src0_sel:BYTE_0 src1_sel:DWORD
	s_and_saveexec_b64 s[4:5], s[6:7]
	s_cbranch_execz .LBB647_155
; %bb.150:                              ;   in Loop: Header=BB647_17 Depth=1
	v_cmp_ne_u16_sdwa s[10:11], v32, s13 src0_sel:BYTE_0 src1_sel:DWORD
	v_bfrev_b32_e32 v53, 1
	s_and_saveexec_b64 s[6:7], s[10:11]
	s_cbranch_execz .LBB647_154
; %bb.151:                              ;   in Loop: Header=BB647_17 Depth=1
	v_bfe_u32 v34, v30, 16, 7
	v_cmp_ne_u32_e32 vcc, s14, v34
	v_mov_b32_e32 v53, 0x7f800001
	s_and_saveexec_b64 s[10:11], vcc
	s_cbranch_execz .LBB647_153
; %bb.152:                              ;   in Loop: Header=BB647_17 Depth=1
	v_and_b32_e32 v53, 7, v32
	v_ffbh_u32_e32 v56, v53
	v_min_u32_e32 v58, 32, v56
	v_subrev_u32_e32 v56, 28, v58
	v_lshlrev_b64 v[56:57], v56, v[32:33]
	v_lshrrev_b32_e32 v55, 3, v34
	v_sub_u32_e32 v57, 29, v58
	v_and_b32_e32 v56, 7, v56
	v_cmp_gt_u32_e32 vcc, 8, v34
	v_cndmask_b32_e32 v34, v55, v57, vcc
	v_cndmask_b32_e32 v53, v53, v56, vcc
	v_lshlrev_b32_e32 v32, 24, v32
	v_lshlrev_b32_e32 v53, 20, v53
	v_and_b32_e32 v32, 0x80000000, v32
	v_lshl_add_u32 v34, v34, 23, v38
	v_or3_b32 v53, v32, v34, v53
.LBB647_153:                            ;   in Loop: Header=BB647_17 Depth=1
	s_or_b64 exec, exec, s[10:11]
.LBB647_154:                            ;   in Loop: Header=BB647_17 Depth=1
	s_or_b64 exec, exec, s[6:7]
.LBB647_155:                            ;   in Loop: Header=BB647_17 Depth=1
	s_or_b64 exec, exec, s[4:5]
	v_cmp_lt_u32_e32 vcc, s15, v30
	v_mov_b32_e32 v34, 0
	v_mov_b32_e32 v55, 0
	s_and_saveexec_b64 s[4:5], vcc
	s_cbranch_execz .LBB647_161
; %bb.156:                              ;   in Loop: Header=BB647_17 Depth=1
	v_lshrrev_b32_e32 v32, 24, v30
	v_cmp_ne_u32_e32 vcc, s13, v32
	v_bfrev_b32_e32 v55, 1
	s_and_saveexec_b64 s[6:7], vcc
	s_cbranch_execz .LBB647_160
; %bb.157:                              ;   in Loop: Header=BB647_17 Depth=1
	v_bfe_u32 v30, v30, 24, 7
	v_cmp_ne_u32_e32 vcc, s14, v30
	v_mov_b32_e32 v55, 0x7f800001
	s_and_saveexec_b64 s[10:11], vcc
	s_cbranch_execz .LBB647_159
; %bb.158:                              ;   in Loop: Header=BB647_17 Depth=1
	v_and_b32_e32 v55, 7, v32
	v_ffbh_u32_e32 v56, v55
	v_min_u32_e32 v59, 32, v56
	v_subrev_u32_e32 v56, 28, v59
	v_lshlrev_b64 v[56:57], v56, v[32:33]
	v_lshrrev_b32_e32 v58, 3, v30
	v_sub_u32_e32 v57, 29, v59
	v_and_b32_e32 v56, 7, v56
	v_cmp_gt_u32_e32 vcc, 8, v30
	v_cndmask_b32_e32 v30, v58, v57, vcc
	v_cndmask_b32_e32 v55, v55, v56, vcc
	v_lshlrev_b32_e32 v32, 24, v32
	v_lshlrev_b32_e32 v55, 20, v55
	v_and_b32_e32 v32, 0x80000000, v32
	v_lshl_add_u32 v30, v30, 23, v38
	v_or3_b32 v55, v32, v30, v55
.LBB647_159:                            ;   in Loop: Header=BB647_17 Depth=1
	s_or_b64 exec, exec, s[10:11]
.LBB647_160:                            ;   in Loop: Header=BB647_17 Depth=1
	s_or_b64 exec, exec, s[6:7]
.LBB647_161:                            ;   in Loop: Header=BB647_17 Depth=1
	s_or_b64 exec, exec, s[4:5]
	v_cvt_pkrtz_f16_f32 v56, v23, v42
	v_cvt_pkrtz_f16_f32 v57, v40, v52
	;; [unrolled: 1-line block ×4, first 2 shown]
	s_waitcnt vmcnt(1)
	v_cmp_ne_u16_sdwa s[6:7], v28, v35 src0_sel:BYTE_0 src1_sel:DWORD
	v_mfma_f32_16x16x16f16 v[18:21], v[56:57], v[10:11], v[18:21]
	v_mfma_f32_16x16x16f16 v[18:21], v[52:53], v[12:13], v[18:21]
	s_and_saveexec_b64 s[4:5], s[6:7]
	s_cbranch_execz .LBB647_167
; %bb.162:                              ;   in Loop: Header=BB647_17 Depth=1
	v_cmp_ne_u16_sdwa s[10:11], v28, s13 src0_sel:BYTE_0 src1_sel:DWORD
	v_bfrev_b32_e32 v34, 1
	s_and_saveexec_b64 s[6:7], s[10:11]
	s_cbranch_execz .LBB647_166
; %bb.163:                              ;   in Loop: Header=BB647_17 Depth=1
	v_and_b32_e32 v23, 0x7f, v28
	v_cmp_ne_u32_e32 vcc, s14, v23
	v_mov_b32_e32 v34, 0x7f800001
	s_and_saveexec_b64 s[10:11], vcc
	s_cbranch_execz .LBB647_165
; %bb.164:                              ;   in Loop: Header=BB647_17 Depth=1
	v_and_b32_e32 v30, 7, v28
	v_ffbh_u32_e32 v34, v30
	v_min_u32_e32 v34, 32, v34
	v_subrev_u32_e32 v40, 28, v34
	v_lshlrev_b64 v[52:53], v40, v[28:29]
	v_lshrrev_b32_e32 v32, 3, v23
	v_sub_u32_e32 v34, 29, v34
	v_and_b32_e32 v40, 7, v52
	v_cmp_gt_u32_e32 vcc, 8, v23
	v_cndmask_b32_e32 v23, v32, v34, vcc
	v_cndmask_b32_e32 v30, v30, v40, vcc
	v_lshlrev_b32_e32 v32, 24, v28
	v_lshlrev_b32_e32 v30, 20, v30
	v_and_b32_e32 v32, 0x80000000, v32
	v_lshl_add_u32 v23, v23, 23, v38
	v_or3_b32 v34, v32, v23, v30
.LBB647_165:                            ;   in Loop: Header=BB647_17 Depth=1
	s_or_b64 exec, exec, s[10:11]
.LBB647_166:                            ;   in Loop: Header=BB647_17 Depth=1
	s_or_b64 exec, exec, s[6:7]
.LBB647_167:                            ;   in Loop: Header=BB647_17 Depth=1
	s_or_b64 exec, exec, s[4:5]
	v_lshrrev_b16_e32 v30, 8, v28
	v_cmp_ne_u16_e32 vcc, 0, v30
	v_mov_b32_e32 v23, 0
	v_mov_b32_e32 v32, 0
	s_and_saveexec_b64 s[4:5], vcc
	s_cbranch_execz .LBB647_173
; %bb.168:                              ;   in Loop: Header=BB647_17 Depth=1
	v_cmp_ne_u16_e32 vcc, s13, v30
	v_bfrev_b32_e32 v32, 1
	s_and_saveexec_b64 s[6:7], vcc
	s_cbranch_execz .LBB647_172
; %bb.169:                              ;   in Loop: Header=BB647_17 Depth=1
	v_and_b32_e32 v40, 0x7f, v30
	v_cmp_ne_u32_e32 vcc, s14, v40
	v_mov_b32_e32 v32, 0x7f800001
	s_and_saveexec_b64 s[10:11], vcc
	s_cbranch_execz .LBB647_171
; %bb.170:                              ;   in Loop: Header=BB647_17 Depth=1
	v_and_b32_e32 v32, 7, v30
	v_ffbh_u32_e32 v44, v32
	v_min_u32_e32 v44, 32, v44
	v_subrev_u32_e32 v52, 28, v44
	v_lshlrev_b64 v[52:53], v52, v[30:31]
	v_lshrrev_b32_e32 v42, 3, v40
	v_sub_u32_e32 v30, 29, v44
	v_and_b32_e32 v44, 7, v52
	v_cmp_gt_u32_e32 vcc, 8, v40
	v_cndmask_b32_e32 v30, v42, v30, vcc
	v_cndmask_b32_e32 v32, v32, v44, vcc
	v_lshlrev_b32_e32 v40, 16, v28
	v_lshlrev_b32_e32 v32, 20, v32
	v_and_b32_e32 v40, 0x80000000, v40
	v_lshl_add_u32 v30, v30, 23, v38
	v_or3_b32 v32, v40, v30, v32
.LBB647_171:                            ;   in Loop: Header=BB647_17 Depth=1
	s_or_b64 exec, exec, s[10:11]
.LBB647_172:                            ;   in Loop: Header=BB647_17 Depth=1
	s_or_b64 exec, exec, s[6:7]
.LBB647_173:                            ;   in Loop: Header=BB647_17 Depth=1
	s_or_b64 exec, exec, s[4:5]
	v_lshrrev_b32_e32 v30, 16, v28
	v_cmp_ne_u16_sdwa s[6:7], v30, v35 src0_sel:BYTE_0 src1_sel:DWORD
	s_and_saveexec_b64 s[4:5], s[6:7]
	s_cbranch_execz .LBB647_179
; %bb.174:                              ;   in Loop: Header=BB647_17 Depth=1
	v_cmp_ne_u16_sdwa s[10:11], v30, s13 src0_sel:BYTE_0 src1_sel:DWORD
	v_bfrev_b32_e32 v23, 1
	s_and_saveexec_b64 s[6:7], s[10:11]
	s_cbranch_execz .LBB647_178
; %bb.175:                              ;   in Loop: Header=BB647_17 Depth=1
	v_bfe_u32 v40, v28, 16, 7
	v_cmp_ne_u32_e32 vcc, s14, v40
	v_mov_b32_e32 v23, 0x7f800001
	s_and_saveexec_b64 s[10:11], vcc
	s_cbranch_execz .LBB647_177
; %bb.176:                              ;   in Loop: Header=BB647_17 Depth=1
	v_and_b32_e32 v23, 7, v30
	v_ffbh_u32_e32 v44, v23
	v_min_u32_e32 v44, 32, v44
	v_subrev_u32_e32 v52, 28, v44
	v_lshlrev_b64 v[52:53], v52, v[30:31]
	v_lshrrev_b32_e32 v42, 3, v40
	v_sub_u32_e32 v44, 29, v44
	v_and_b32_e32 v52, 7, v52
	v_cmp_gt_u32_e32 vcc, 8, v40
	v_cndmask_b32_e32 v40, v42, v44, vcc
	v_cndmask_b32_e32 v23, v23, v52, vcc
	v_lshlrev_b32_e32 v30, 24, v30
	v_lshlrev_b32_e32 v23, 20, v23
	v_and_b32_e32 v30, 0x80000000, v30
	v_lshl_add_u32 v40, v40, 23, v38
	v_or3_b32 v23, v30, v40, v23
.LBB647_177:                            ;   in Loop: Header=BB647_17 Depth=1
	s_or_b64 exec, exec, s[10:11]
.LBB647_178:                            ;   in Loop: Header=BB647_17 Depth=1
	s_or_b64 exec, exec, s[6:7]
.LBB647_179:                            ;   in Loop: Header=BB647_17 Depth=1
	s_or_b64 exec, exec, s[4:5]
	v_cmp_lt_u32_e32 vcc, s15, v28
	v_mov_b32_e32 v40, 0
	v_mov_b32_e32 v42, 0
	s_and_saveexec_b64 s[4:5], vcc
	s_cbranch_execz .LBB647_185
; %bb.180:                              ;   in Loop: Header=BB647_17 Depth=1
	v_lshrrev_b32_e32 v30, 24, v28
	v_cmp_ne_u32_e32 vcc, s13, v30
	v_bfrev_b32_e32 v42, 1
	s_and_saveexec_b64 s[6:7], vcc
	s_cbranch_execz .LBB647_184
; %bb.181:                              ;   in Loop: Header=BB647_17 Depth=1
	v_bfe_u32 v28, v28, 24, 7
	v_cmp_ne_u32_e32 vcc, s14, v28
	v_mov_b32_e32 v42, 0x7f800001
	s_and_saveexec_b64 s[10:11], vcc
	s_cbranch_execz .LBB647_183
; %bb.182:                              ;   in Loop: Header=BB647_17 Depth=1
	v_and_b32_e32 v42, 7, v30
	v_ffbh_u32_e32 v52, v42
	v_min_u32_e32 v54, 32, v52
	v_subrev_u32_e32 v52, 28, v54
	v_lshlrev_b64 v[52:53], v52, v[30:31]
	v_lshrrev_b32_e32 v44, 3, v28
	v_sub_u32_e32 v53, 29, v54
	v_and_b32_e32 v52, 7, v52
	v_cmp_gt_u32_e32 vcc, 8, v28
	v_cndmask_b32_e32 v28, v44, v53, vcc
	v_cndmask_b32_e32 v42, v42, v52, vcc
	v_lshlrev_b32_e32 v30, 24, v30
	v_lshlrev_b32_e32 v42, 20, v42
	v_and_b32_e32 v30, 0x80000000, v30
	v_lshl_add_u32 v28, v28, 23, v38
	v_or3_b32 v42, v30, v28, v42
.LBB647_183:                            ;   in Loop: Header=BB647_17 Depth=1
	s_or_b64 exec, exec, s[10:11]
.LBB647_184:                            ;   in Loop: Header=BB647_17 Depth=1
	s_or_b64 exec, exec, s[6:7]
.LBB647_185:                            ;   in Loop: Header=BB647_17 Depth=1
	s_or_b64 exec, exec, s[4:5]
	s_waitcnt vmcnt(0)
	v_cmp_ne_u16_sdwa s[6:7], v26, v35 src0_sel:BYTE_0 src1_sel:DWORD
	s_and_saveexec_b64 s[4:5], s[6:7]
	s_cbranch_execz .LBB647_191
; %bb.186:                              ;   in Loop: Header=BB647_17 Depth=1
	v_cmp_ne_u16_sdwa s[10:11], v26, s13 src0_sel:BYTE_0 src1_sel:DWORD
	v_bfrev_b32_e32 v40, 1
	s_and_saveexec_b64 s[6:7], s[10:11]
	s_cbranch_execz .LBB647_190
; %bb.187:                              ;   in Loop: Header=BB647_17 Depth=1
	v_and_b32_e32 v28, 0x7f, v26
	v_cmp_ne_u32_e32 vcc, s14, v28
	v_mov_b32_e32 v40, 0x7f800001
	s_and_saveexec_b64 s[10:11], vcc
	s_cbranch_execz .LBB647_189
; %bb.188:                              ;   in Loop: Header=BB647_17 Depth=1
	v_and_b32_e32 v30, 7, v26
	v_ffbh_u32_e32 v44, v30
	v_min_u32_e32 v44, 32, v44
	v_subrev_u32_e32 v52, 28, v44
	v_lshlrev_b64 v[52:53], v52, v[26:27]
	v_lshrrev_b32_e32 v40, 3, v28
	v_sub_u32_e32 v44, 29, v44
	v_and_b32_e32 v52, 7, v52
	v_cmp_gt_u32_e32 vcc, 8, v28
	v_cndmask_b32_e32 v28, v40, v44, vcc
	v_cndmask_b32_e32 v30, v30, v52, vcc
	v_lshlrev_b32_e32 v40, 24, v26
	v_lshlrev_b32_e32 v30, 20, v30
	v_and_b32_e32 v40, 0x80000000, v40
	v_lshl_add_u32 v28, v28, 23, v38
	v_or3_b32 v40, v40, v28, v30
.LBB647_189:                            ;   in Loop: Header=BB647_17 Depth=1
	s_or_b64 exec, exec, s[10:11]
.LBB647_190:                            ;   in Loop: Header=BB647_17 Depth=1
	s_or_b64 exec, exec, s[6:7]
.LBB647_191:                            ;   in Loop: Header=BB647_17 Depth=1
	s_or_b64 exec, exec, s[4:5]
	v_lshrrev_b16_e32 v28, 8, v26
	v_cmp_ne_u16_e32 vcc, 0, v28
	v_mov_b32_e32 v30, 0
	v_mov_b32_e32 v44, 0
	s_and_saveexec_b64 s[4:5], vcc
	s_cbranch_execz .LBB647_197
; %bb.192:                              ;   in Loop: Header=BB647_17 Depth=1
	v_cmp_ne_u16_e32 vcc, s13, v28
	v_bfrev_b32_e32 v44, 1
	s_and_saveexec_b64 s[6:7], vcc
	s_cbranch_execz .LBB647_196
; %bb.193:                              ;   in Loop: Header=BB647_17 Depth=1
	v_and_b32_e32 v52, 0x7f, v28
	v_cmp_ne_u32_e32 vcc, s14, v52
	v_mov_b32_e32 v44, 0x7f800001
	s_and_saveexec_b64 s[10:11], vcc
	s_cbranch_execz .LBB647_195
; %bb.194:                              ;   in Loop: Header=BB647_17 Depth=1
	v_and_b32_e32 v44, 7, v28
	v_ffbh_u32_e32 v54, v44
	v_min_u32_e32 v56, 32, v54
	v_subrev_u32_e32 v54, 28, v56
	v_lshlrev_b64 v[54:55], v54, v[28:29]
	v_lshrrev_b32_e32 v53, 3, v52
	v_sub_u32_e32 v28, 29, v56
	v_and_b32_e32 v54, 7, v54
	v_cmp_gt_u32_e32 vcc, 8, v52
	v_cndmask_b32_e32 v28, v53, v28, vcc
	v_cndmask_b32_e32 v44, v44, v54, vcc
	v_lshlrev_b32_e32 v52, 16, v26
	v_lshlrev_b32_e32 v44, 20, v44
	v_and_b32_e32 v52, 0x80000000, v52
	v_lshl_add_u32 v28, v28, 23, v38
	v_or3_b32 v44, v52, v28, v44
.LBB647_195:                            ;   in Loop: Header=BB647_17 Depth=1
	s_or_b64 exec, exec, s[10:11]
.LBB647_196:                            ;   in Loop: Header=BB647_17 Depth=1
	s_or_b64 exec, exec, s[6:7]
.LBB647_197:                            ;   in Loop: Header=BB647_17 Depth=1
	s_or_b64 exec, exec, s[4:5]
	v_lshrrev_b32_e32 v28, 16, v26
	v_cmp_ne_u16_sdwa s[6:7], v28, v35 src0_sel:BYTE_0 src1_sel:DWORD
	s_and_saveexec_b64 s[4:5], s[6:7]
	s_cbranch_execz .LBB647_203
; %bb.198:                              ;   in Loop: Header=BB647_17 Depth=1
	v_cmp_ne_u16_sdwa s[10:11], v28, s13 src0_sel:BYTE_0 src1_sel:DWORD
	v_bfrev_b32_e32 v30, 1
	s_and_saveexec_b64 s[6:7], s[10:11]
	s_cbranch_execz .LBB647_202
; %bb.199:                              ;   in Loop: Header=BB647_17 Depth=1
	v_bfe_u32 v52, v26, 16, 7
	v_cmp_ne_u32_e32 vcc, s14, v52
	v_mov_b32_e32 v30, 0x7f800001
	s_and_saveexec_b64 s[10:11], vcc
	s_cbranch_execz .LBB647_201
; %bb.200:                              ;   in Loop: Header=BB647_17 Depth=1
	v_and_b32_e32 v30, 7, v28
	v_ffbh_u32_e32 v54, v30
	v_min_u32_e32 v56, 32, v54
	v_subrev_u32_e32 v54, 28, v56
	v_lshlrev_b64 v[54:55], v54, v[28:29]
	v_lshrrev_b32_e32 v53, 3, v52
	v_sub_u32_e32 v55, 29, v56
	v_and_b32_e32 v54, 7, v54
	v_cmp_gt_u32_e32 vcc, 8, v52
	v_cndmask_b32_e32 v52, v53, v55, vcc
	v_cndmask_b32_e32 v30, v30, v54, vcc
	v_lshlrev_b32_e32 v28, 24, v28
	v_lshlrev_b32_e32 v30, 20, v30
	v_and_b32_e32 v28, 0x80000000, v28
	v_lshl_add_u32 v52, v52, 23, v38
	v_or3_b32 v30, v28, v52, v30
.LBB647_201:                            ;   in Loop: Header=BB647_17 Depth=1
	s_or_b64 exec, exec, s[10:11]
.LBB647_202:                            ;   in Loop: Header=BB647_17 Depth=1
	s_or_b64 exec, exec, s[6:7]
.LBB647_203:                            ;   in Loop: Header=BB647_17 Depth=1
	s_or_b64 exec, exec, s[4:5]
	v_cmp_lt_u32_e32 vcc, s15, v26
	v_mov_b32_e32 v52, 0
	s_and_saveexec_b64 s[4:5], vcc
	s_cbranch_execz .LBB647_16
; %bb.204:                              ;   in Loop: Header=BB647_17 Depth=1
	v_lshrrev_b32_e32 v28, 24, v26
	v_cmp_ne_u32_e32 vcc, s13, v28
	v_bfrev_b32_e32 v52, 1
	s_and_saveexec_b64 s[6:7], vcc
	s_cbranch_execz .LBB647_15
; %bb.205:                              ;   in Loop: Header=BB647_17 Depth=1
	v_bfe_u32 v26, v26, 24, 7
	v_cmp_ne_u32_e32 vcc, s14, v26
	v_mov_b32_e32 v52, 0x7f800001
	s_and_saveexec_b64 s[10:11], vcc
	s_cbranch_execz .LBB647_14
; %bb.206:                              ;   in Loop: Header=BB647_17 Depth=1
	v_and_b32_e32 v54, 7, v28
	v_ffbh_u32_e32 v52, v54
	v_min_u32_e32 v56, 32, v52
	v_subrev_u32_e32 v52, 28, v56
	v_lshlrev_b64 v[52:53], v52, v[28:29]
	v_lshrrev_b32_e32 v55, 3, v26
	v_sub_u32_e32 v53, 29, v56
	v_and_b32_e32 v52, 7, v52
	v_cmp_gt_u32_e32 vcc, 8, v26
	v_cndmask_b32_e32 v26, v55, v53, vcc
	v_cndmask_b32_e32 v52, v54, v52, vcc
	v_lshlrev_b32_e32 v28, 24, v28
	v_lshlrev_b32_e32 v52, 20, v52
	v_and_b32_e32 v28, 0x80000000, v28
	v_lshl_add_u32 v26, v26, 23, v38
	v_or3_b32 v52, v28, v26, v52
	s_branch .LBB647_14
.LBB647_207:
	buffer_load_dword v17, off, s[0:3], 0 offset:256
	buffer_load_dword v16, off, s[0:3], 0 offset:260
	;; [unrolled: 1-line block ×16, first 2 shown]
	v_and_b32_e32 v18, 0xc0, v0
	v_add_u32_e32 v18, s20, v18
	v_lshl_or_b32 v18, v1, 2, v18
	v_or_b32_e32 v20, 1, v18
	v_subrev_u32_e32 v24, s33, v20
	v_add_u32_e32 v26, 1, v24
	v_cvt_f32_i32_e32 v25, v24
	v_add_u32_e32 v28, 2, v24
	v_add_u32_e32 v30, 3, v24
	;; [unrolled: 1-line block ×14, first 2 shown]
	v_cvt_f32_i32_e32 v26, v26
	v_cvt_f32_i32_e32 v28, v28
	;; [unrolled: 1-line block ×4, first 2 shown]
	v_mov_b32_e32 v19, 0xff7fffff
	v_or_b32_e32 v21, 2, v18
	v_or_b32_e32 v22, 3, v18
	v_cvt_f32_i32_e32 v32, v32
	v_cvt_f32_i32_e32 v34, v34
	v_cmp_gt_i32_e64 s[28:29], s33, v18
	v_cmp_gt_i32_e64 s[30:31], s33, v20
	s_mov_b32 s52, 0xff7fffff
	v_cmp_gt_i32_e64 s[34:35], s33, v21
	v_cmp_gt_i32_e64 s[36:37], s33, v22
	v_or_b32_e32 v23, 16, v18
	v_cvt_f32_i32_e32 v35, v35
	v_cvt_f32_i32_e32 v36, v36
	v_cmp_gt_i32_e64 s[24:25], s33, v23
	v_cvt_f32_i32_e32 v37, v37
	v_cvt_f32_i32_e32 v38, v38
	;; [unrolled: 1-line block ×7, first 2 shown]
	s_waitcnt vmcnt(15)
	v_fmac_f32_e32 v17, v31, v25
	s_waitcnt vmcnt(14)
	v_fmac_f32_e32 v16, v31, v26
	;; [unrolled: 2-line block ×4, first 2 shown]
	v_cndmask_b32_e64 v20, v19, v16, s[30:31]
	v_cndmask_b32_e64 v21, v19, v15, s[34:35]
	;; [unrolled: 1-line block ×3, first 2 shown]
	s_waitcnt vmcnt(11)
	v_fmac_f32_e32 v13, v31, v32
	s_waitcnt vmcnt(10)
	v_fmac_f32_e32 v12, v31, v34
	;; [unrolled: 2-line block ×9, first 2 shown]
	v_cndmask_b32_e64 v24, v19, v17, s[28:29]
	v_max3_f32 v20, v24, s52, v20
	v_max3_f32 v20, v20, v21, v22
	v_or_b32_e32 v22, 17, v18
	v_cmp_gt_i32_e64 s[38:39], s33, v22
	v_cndmask_b32_e64 v21, v19, v13, s[24:25]
	v_cndmask_b32_e64 v22, v19, v12, s[38:39]
	v_max3_f32 v20, v20, v21, v22
	v_or_b32_e32 v21, 18, v18
	v_or_b32_e32 v22, 19, v18
	v_cmp_gt_i32_e64 s[20:21], s33, v21
	v_cmp_gt_i32_e64 s[22:23], s33, v22
	v_cndmask_b32_e64 v21, v19, v11, s[20:21]
	v_cndmask_b32_e64 v22, v19, v10, s[22:23]
	v_max3_f32 v20, v20, v21, v22
	v_or_b32_e32 v21, 32, v18
	v_or_b32_e32 v22, 33, v18
	v_cmp_gt_i32_e64 s[16:17], s33, v21
	;; [unrolled: 7-line block ×3, first 2 shown]
	v_cmp_gt_i32_e64 s[14:15], s33, v22
	v_cndmask_b32_e64 v21, v19, v7, s[12:13]
	v_cndmask_b32_e64 v22, v19, v6, s[14:15]
	v_max3_f32 v20, v20, v21, v22
	v_or_b32_e32 v21, 48, v18
	v_or_b32_e32 v22, 49, v18
	v_fmac_f32_e32 v5, v31, v44
	v_fmac_f32_e32 v4, v31, v52
	v_cmp_gt_i32_e64 s[6:7], s33, v21
	v_cmp_gt_i32_e64 s[10:11], s33, v22
	v_cndmask_b32_e64 v21, v19, v5, s[6:7]
	v_cndmask_b32_e64 v22, v19, v4, s[10:11]
	v_max3_f32 v20, v20, v21, v22
	v_or_b32_e32 v21, 50, v18
	v_or_b32_e32 v18, 51, v18
	v_fmac_f32_e32 v3, v31, v53
	v_cmp_gt_i32_e32 vcc, s33, v21
	v_cmp_gt_i32_e64 s[4:5], s33, v18
	v_cndmask_b32_e32 v21, v19, v3, vcc
	v_cndmask_b32_e64 v18, v19, v2, s[4:5]
	v_mbcnt_lo_u32_b32 v19, -1, 0
	v_mbcnt_hi_u32_b32 v19, -1, v19
	v_max3_f32 v18, v20, v21, v18
	v_and_b32_e32 v20, 64, v19
	v_add_u32_e32 v20, 64, v20
	v_xor_b32_e32 v21, 32, v19
	v_cmp_lt_i32_e64 s[40:41], v21, v20
	v_cndmask_b32_e64 v21, v19, v21, s[40:41]
	v_lshlrev_b32_e32 v21, 2, v21
	ds_bpermute_b32 v22, v21, v18
	s_waitcnt lgkmcnt(0)
	v_max_f32_e32 v22, v22, v22
	v_max_f32_e32 v18, v18, v22
	v_xor_b32_e32 v22, 16, v19
	v_cmp_lt_i32_e64 s[40:41], v22, v20
	v_cndmask_b32_e64 v19, v19, v22, s[40:41]
	v_lshlrev_b32_e32 v19, 2, v19
	ds_bpermute_b32 v20, v19, v18
	s_waitcnt lgkmcnt(0)
	v_max_f32_e32 v20, v20, v20
	v_max_f32_e32 v18, v18, v20
	v_sub_f32_e32 v17, v17, v18
	v_mul_f32_e32 v17, 0x3fb8aa3b, v17
	v_sub_f32_e32 v16, v16, v18
	v_exp_f32_e32 v17, v17
	v_mul_f32_e32 v16, 0x3fb8aa3b, v16
	v_sub_f32_e32 v15, v15, v18
	v_exp_f32_e32 v16, v16
	;; [unrolled: 3-line block ×4, first 2 shown]
	v_mul_f32_e32 v13, 0x3fb8aa3b, v13
	v_sub_f32_e32 v12, v12, v18
	v_cndmask_b32_e64 v17, 0, v17, s[28:29]
	v_exp_f32_e32 v13, v13
	v_mul_f32_e32 v12, 0x3fb8aa3b, v12
	v_sub_f32_e32 v11, v11, v18
	v_add_f32_e32 v20, 0, v17
	v_cndmask_b32_e64 v16, 0, v16, s[30:31]
	v_exp_f32_e32 v12, v12
	v_mul_f32_e32 v11, 0x3fb8aa3b, v11
	v_sub_f32_e32 v10, v10, v18
	v_add_f32_e32 v20, v20, v16
	;; [unrolled: 5-line block ×4, first 2 shown]
	v_cndmask_b32_e64 v13, 0, v13, s[24:25]
	v_exp_f32_e32 v9, v9
	v_mul_f32_e32 v8, 0x3fb8aa3b, v8
	v_sub_f32_e32 v7, v7, v18
	buffer_store_dword v17, off, s[0:3], 0 offset:256
	buffer_store_dword v16, off, s[0:3], 0 offset:260
	;; [unrolled: 1-line block ×4, first 2 shown]
	v_add_f32_e32 v14, v20, v13
	v_cndmask_b32_e64 v12, 0, v12, s[38:39]
	v_exp_f32_e32 v8, v8
	v_mul_f32_e32 v7, 0x3fb8aa3b, v7
	v_sub_f32_e32 v6, v6, v18
	v_add_f32_e32 v14, v14, v12
	v_cndmask_b32_e64 v11, 0, v11, s[20:21]
	v_exp_f32_e32 v7, v7
	v_mul_f32_e32 v6, 0x3fb8aa3b, v6
	v_sub_f32_e32 v5, v5, v18
	v_add_f32_e32 v14, v14, v11
	v_cndmask_b32_e64 v10, 0, v10, s[22:23]
	v_exp_f32_e32 v6, v6
	v_mul_f32_e32 v5, 0x3fb8aa3b, v5
	v_sub_f32_e32 v4, v4, v18
	v_add_f32_e32 v14, v14, v10
	v_cndmask_b32_e64 v9, 0, v9, s[16:17]
	v_exp_f32_e32 v5, v5
	v_mul_f32_e32 v4, 0x3fb8aa3b, v4
	v_sub_f32_e32 v3, v3, v18
	buffer_store_dword v13, off, s[0:3], 0 offset:272
	buffer_store_dword v12, off, s[0:3], 0 offset:276
	;; [unrolled: 1-line block ×4, first 2 shown]
	v_add_f32_e32 v10, v14, v9
	v_cndmask_b32_e64 v8, 0, v8, s[18:19]
	v_exp_f32_e32 v4, v4
	v_mul_f32_e32 v3, 0x3fb8aa3b, v3
	v_sub_f32_e32 v2, v2, v18
	v_add_f32_e32 v10, v10, v8
	v_cndmask_b32_e64 v7, 0, v7, s[12:13]
	v_exp_f32_e32 v3, v3
	v_mul_f32_e32 v2, 0x3fb8aa3b, v2
	v_add_f32_e32 v10, v10, v7
	v_cndmask_b32_e64 v6, 0, v6, s[14:15]
	v_exp_f32_e32 v2, v2
	v_add_f32_e32 v10, v10, v6
	v_cndmask_b32_e64 v5, 0, v5, s[6:7]
	buffer_store_dword v9, off, s[0:3], 0 offset:288
	buffer_store_dword v8, off, s[0:3], 0 offset:292
	;; [unrolled: 1-line block ×4, first 2 shown]
	v_add_f32_e32 v6, v10, v5
	v_cndmask_b32_e64 v4, 0, v4, s[10:11]
	v_add_f32_e32 v6, v6, v4
	v_cndmask_b32_e32 v3, 0, v3, vcc
	v_add_f32_e32 v6, v6, v3
	v_cndmask_b32_e64 v2, 0, v2, s[4:5]
	v_add_f32_e32 v6, v6, v2
	ds_bpermute_b32 v7, v21, v6
	buffer_store_dword v5, off, s[0:3], 0 offset:304
	buffer_store_dword v4, off, s[0:3], 0 offset:308
	;; [unrolled: 1-line block ×4, first 2 shown]
	v_cmp_gt_u32_e32 vcc, 16, v33
	s_waitcnt lgkmcnt(0)
	s_barrier
	v_add_f32_e32 v2, v6, v7
	ds_bpermute_b32 v3, v19, v2
	s_waitcnt lgkmcnt(0)
	s_and_saveexec_b64 s[4:5], vcc
	s_cbranch_execz .LBB647_209
; %bb.208:
	v_add_f32_e32 v2, v2, v3
	v_lshlrev_b32_e32 v3, 2, v29
	ds_write2st64_b32 v3, v18, v2 offset1:1
.LBB647_209:
	s_or_b64 exec, exec, s[4:5]
	v_lshlrev_b32_e32 v2, 2, v41
	s_waitcnt lgkmcnt(0)
	s_barrier
	ds_read2_b32 v[12:13], v2 offset1:16
	ds_read2_b32 v[14:15], v2 offset0:32 offset1:48
	ds_read2_b32 v[6:7], v2 offset0:64 offset1:80
	;; [unrolled: 1-line block ×3, first 2 shown]
	s_waitcnt lgkmcnt(0)
	s_barrier
	buffer_load_dword v20, off, s[0:3], 0 offset:256
	buffer_load_dword v21, off, s[0:3], 0 offset:260
	;; [unrolled: 1-line block ×16, first 2 shown]
	v_lshlrev_b32_e32 v19, 3, v1
	v_lshlrev_b32_e32 v18, 5, v41
	v_lshlrev_b32_e32 v26, 11, v27
	v_or3_b32 v52, v26, v18, v19
	v_max3_f32 v19, v12, s52, v13
	v_max3_f32 v19, v19, v14, v15
	v_sub_f32_e32 v12, v12, v19
	v_sub_f32_e32 v13, v13, v19
	v_mul_f32_e32 v12, 0x3fb8aa3b, v12
	v_sub_f32_e32 v14, v14, v19
	v_mul_f32_e32 v13, 0x3fb8aa3b, v13
	v_exp_f32_e32 v12, v12
	v_sub_f32_e32 v15, v15, v19
	v_mul_f32_e32 v14, 0x3fb8aa3b, v14
	v_exp_f32_e32 v13, v13
	v_mul_f32_e32 v15, 0x3fb8aa3b, v15
	v_exp_f32_e32 v14, v14
	v_exp_f32_e32 v15, v15
	v_fma_f32 v6, v12, v6, 0
	v_fmac_f32_e32 v6, v13, v7
	v_fmac_f32_e32 v6, v14, v10
	;; [unrolled: 1-line block ×3, first 2 shown]
	v_cmp_eq_u32_e32 vcc, 1, v27
	v_add_f32_e32 v10, 0x358637bd, v6
	v_cndmask_b32_e32 v12, v12, v13, vcc
	v_cmp_eq_u32_e32 vcc, 2, v27
	v_div_scale_f32 v11, s[4:5], v10, v10, 1.0
	v_cndmask_b32_e32 v7, v12, v14, vcc
	v_rcp_f32_e32 v12, v11
	v_cmp_eq_u32_e32 vcc, 3, v27
	v_cndmask_b32_e32 v7, v7, v15, vcc
	v_div_scale_f32 v13, vcc, 1.0, v10, 1.0
	v_fma_f32 v14, -v11, v12, 1.0
	v_fmac_f32_e32 v12, v14, v12
	v_mul_f32_e32 v14, v13, v12
	v_fma_f32 v15, -v11, v14, v13
	v_fmac_f32_e32 v14, v15, v12
	v_fma_f32 v11, -v11, v14, v13
	v_div_fmas_f32 v11, v11, v12, v14
	v_div_fixup_f32 v10, v11, v10, 1.0
	v_mul_f32_e32 v10, v7, v10
	s_mul_i32 s18, s49, 10
	v_cmp_gt_u32_e32 vcc, 10, v0
	s_waitcnt vmcnt(14)
	v_pk_mul_f32 v[14:15], v[10:11], v[20:21] op_sel_hi:[0,1]
	v_cvt_f16_f32_e32 v7, v14
	s_waitcnt vmcnt(12)
	v_pk_mul_f32 v[12:13], v[10:11], v[22:23] op_sel_hi:[0,1]
	buffer_store_dword v14, off, s[0:3], 0 offset:256
	buffer_store_dword v15, off, s[0:3], 0 offset:260
	;; [unrolled: 1-line block ×3, first 2 shown]
	s_waitcnt vmcnt(13)
	v_pk_mul_f32 v[20:21], v[10:11], v[24:25] op_sel_hi:[0,1]
	v_cvt_f16_f32_e32 v14, v12
	s_waitcnt vmcnt(11)
	v_pk_mul_f32 v[22:23], v[10:11], v[28:29] op_sel_hi:[0,1]
	v_cvt_f16_f32_e32 v11, v15
	v_cvt_f16_f32_e32 v15, v13
	buffer_store_dword v13, off, s[0:3], 0 offset:268
	buffer_store_dword v22, off, s[0:3], 0 offset:272
	;; [unrolled: 1-line block ×3, first 2 shown]
	v_pack_b32_f16 v12, v7, v11
	v_cvt_f16_f32_e32 v11, v23
	v_pack_b32_f16 v13, v14, v15
	v_cvt_f16_f32_e32 v7, v22
	v_cvt_f16_f32_e32 v15, v20
	;; [unrolled: 1-line block ×3, first 2 shown]
	s_waitcnt vmcnt(12)
	v_pk_mul_f32 v[4:5], v[10:11], v[4:5] op_sel_hi:[0,1]
	v_pack_b32_f16 v14, v7, v11
	s_waitcnt vmcnt(10)
	v_pk_mul_f32 v[2:3], v[10:11], v[2:3] op_sel_hi:[0,1]
	v_pack_b32_f16 v15, v15, v22
	v_cvt_f16_f32_e32 v11, v5
	buffer_store_dword v20, off, s[0:3], 0 offset:280
	buffer_store_dword v21, off, s[0:3], 0 offset:284
	ds_write2st64_b64 v52, v[12:13], v[14:15] offset1:1
	buffer_store_dword v2, off, s[0:3], 0 offset:288
	buffer_store_dword v3, off, s[0:3], 0 offset:292
	v_cvt_f16_f32_e32 v2, v2
	v_cvt_f16_f32_e32 v3, v3
	;; [unrolled: 1-line block ×3, first 2 shown]
	buffer_store_dword v4, off, s[0:3], 0 offset:296
	buffer_store_dword v5, off, s[0:3], 0 offset:300
	s_waitcnt vmcnt(12)
	v_pk_mul_f32 v[4:5], v[10:11], v[16:17] op_sel_hi:[0,1]
	v_pk_mul_f32 v[8:9], v[10:11], v[8:9] op_sel_hi:[0,1]
	v_pack_b32_f16 v2, v2, v3
	v_pack_b32_f16 v3, v7, v11
	buffer_store_dword v8, off, s[0:3], 0 offset:304
	buffer_store_dword v9, off, s[0:3], 0 offset:308
	v_cvt_f16_f32_e32 v7, v8
	v_cvt_f16_f32_e32 v8, v9
	;; [unrolled: 1-line block ×4, first 2 shown]
	buffer_store_dword v4, off, s[0:3], 0 offset:312
	buffer_store_dword v5, off, s[0:3], 0 offset:316
	v_pack_b32_f16 v4, v7, v8
	v_pack_b32_f16 v5, v9, v10
	ds_write2st64_b64 v52, v[2:3], v[4:5] offset0:2 offset1:3
	s_and_saveexec_b64 s[4:5], vcc
	s_cbranch_execz .LBB647_211
; %bb.210:
	v_add_co_u32_e32 v4, vcc, s27, v41
	v_addc_co_u32_e64 v5, s[6:7], 0, 0, vcc
	v_mov_b32_e32 v2, s18
	v_mad_u64_u32 v[4:5], s[6:7], s8, v2, v[4:5]
	v_mov_b32_e32 v3, 0
	s_mul_i32 s6, s9, s18
	v_mov_b32_e32 v2, s26
	v_add_u32_e32 v5, s6, v5
	v_mad_u64_u32 v[2:3], s[6:7], v4, s48, v[2:3]
	v_mov_b32_e32 v4, v3
	v_mad_u64_u32 v[4:5], s[6:7], v5, s48, v[4:5]
	v_mov_b32_e32 v3, v4
	v_lshlrev_b64 v[2:3], 2, v[2:3]
	v_mov_b32_e32 v5, s47
	v_add_co_u32_e32 v4, vcc, s46, v2
	v_addc_co_u32_e32 v5, vcc, v5, v3, vcc
	global_store_dword v[4:5], v19, off
	v_mov_b32_e32 v4, s45
	v_add_co_u32_e32 v2, vcc, s44, v2
	v_addc_co_u32_e32 v3, vcc, v4, v3, vcc
	global_store_dword v[2:3], v6, off
.LBB647_211:
	s_or_b64 exec, exec, s[4:5]
	v_lshl_or_b32 v30, v1, 9, v18
	s_waitcnt lgkmcnt(0)
	s_barrier
	s_load_dword s4, s[42:43], 0x0
	ds_read_b128 v[2:5], v30
	ds_read_b128 v[6:9], v30 offset:16
	ds_read_b128 v[10:13], v30 offset:2048
	;; [unrolled: 1-line block ×7, first 2 shown]
	v_mov_b32_e32 v35, 0x80
	v_mov_b32_e32 v53, 0x140
	s_mov_b64 s[10:11], -1
	s_waitcnt lgkmcnt(0)
	s_mov_b32 s5, s4
	s_mov_b32 s6, s4
	;; [unrolled: 1-line block ×3, first 2 shown]
	s_movk_i32 s9, 0x80
	s_movk_i32 s19, 0x7f
	s_mov_b32 s20, 0xffffff
	v_mov_b32_e32 v54, 0
	v_bfrev_b32_e32 v55, 60
	s_branch .LBB647_215
.LBB647_212:                            ;   in Loop: Header=BB647_215 Depth=1
	s_or_b64 exec, exec, s[16:17]
.LBB647_213:                            ;   in Loop: Header=BB647_215 Depth=1
	s_or_b64 exec, exec, s[14:15]
.LBB647_214:                            ;   in Loop: Header=BB647_215 Depth=1
	s_or_b64 exec, exec, s[12:13]
	v_cvt_pkrtz_f16_f32 v60, v46, v50
	v_cvt_pkrtz_f16_f32 v61, v44, v56
	s_xor_b64 s[12:13], s[10:11], -1
	s_mov_b64 s[10:11], 0
	v_mov_b32_e32 v46, v47
	v_mfma_f32_16x16x16f16 v[60:63], v[60:61], v[30:31], v[34:37]
	v_mov_b32_e32 v50, v49
	s_and_b64 vcc, exec, s[12:13]
	s_nop 4
	v_cvt_pkrtz_f16_f32 v36, v51, v57
	v_cvt_pkrtz_f16_f32 v37, v42, v58
	v_mov_b32_e32 v35, v45
	v_mov_b32_e32 v51, v48
	v_mfma_f32_16x16x16f16 v[56:59], v[36:37], v[32:33], v[60:63]
	s_nop 7
	s_nop 2
	v_pk_mul_f32 v[56:57], v[56:57], s[4:5]
	v_pk_mul_f32 v[36:37], v[58:59], s[6:7]
	v_cvt_f16_f32_e32 v34, v56
	v_cvt_f16_f32_e32 v38, v57
	;; [unrolled: 1-line block ×4, first 2 shown]
	v_pack_b32_f16 v34, v34, v38
	v_pack_b32_f16 v36, v36, v37
	buffer_store_dword v34, v53, s[0:3], 0 offen
	buffer_store_dword v36, v53, s[0:3], 0 offen offset:4
	v_mov_b32_e32 v53, 0x148
	s_cbranch_vccnz .LBB647_597
.LBB647_215:                            ; =>This Inner Loop Header: Depth=1
	buffer_load_dword v36, v35, s[0:3], 0 offen
	buffer_load_dword v34, v35, s[0:3], 0 offen offset:4
	buffer_load_dword v40, v35, s[0:3], 0 offen offset:8
	;; [unrolled: 1-line block ×3, first 2 shown]
	v_mov_b32_e32 v35, 0
	s_waitcnt vmcnt(3)
	v_cmp_ne_u16_sdwa s[14:15], v36, v54 src0_sel:BYTE_0 src1_sel:DWORD
	s_and_saveexec_b64 s[12:13], s[14:15]
	s_cbranch_execz .LBB647_221
; %bb.216:                              ;   in Loop: Header=BB647_215 Depth=1
	v_cmp_ne_u16_sdwa s[16:17], v36, s9 src0_sel:BYTE_0 src1_sel:DWORD
	v_bfrev_b32_e32 v35, 1
	s_and_saveexec_b64 s[14:15], s[16:17]
	s_cbranch_execz .LBB647_220
; %bb.217:                              ;   in Loop: Header=BB647_215 Depth=1
	v_and_b32_e32 v37, 0x7f, v36
	v_cmp_ne_u32_e32 vcc, s19, v37
	v_mov_b32_e32 v35, 0x7f800001
	s_and_saveexec_b64 s[16:17], vcc
	s_cbranch_execz .LBB647_219
; %bb.218:                              ;   in Loop: Header=BB647_215 Depth=1
	v_and_b32_e32 v35, 7, v36
	v_ffbh_u32_e32 v44, v35
	v_min_u32_e32 v44, 32, v44
	v_subrev_u32_e32 v56, 28, v44
	v_lshlrev_b64 v[56:57], v56, v[36:37]
	v_lshrrev_b32_e32 v42, 3, v37
	v_sub_u32_e32 v44, 29, v44
	v_and_b32_e32 v56, 7, v56
	v_cmp_gt_u32_e32 vcc, 8, v37
	v_cndmask_b32_e32 v37, v42, v44, vcc
	v_cndmask_b32_e32 v35, v35, v56, vcc
	v_lshlrev_b32_e32 v42, 24, v36
	v_lshlrev_b32_e32 v35, 20, v35
	v_and_b32_e32 v42, 0x80000000, v42
	v_lshl_add_u32 v37, v37, 23, v55
	v_or3_b32 v35, v42, v37, v35
.LBB647_219:                            ;   in Loop: Header=BB647_215 Depth=1
	s_or_b64 exec, exec, s[16:17]
.LBB647_220:                            ;   in Loop: Header=BB647_215 Depth=1
	s_or_b64 exec, exec, s[14:15]
.LBB647_221:                            ;   in Loop: Header=BB647_215 Depth=1
	s_or_b64 exec, exec, s[12:13]
	v_lshrrev_b16_e32 v42, 8, v36
	v_cmp_ne_u16_e32 vcc, 0, v42
	v_mov_b32_e32 v37, 0
	s_and_saveexec_b64 s[12:13], vcc
	s_cbranch_execz .LBB647_227
; %bb.222:                              ;   in Loop: Header=BB647_215 Depth=1
	v_cmp_ne_u16_e32 vcc, s9, v42
	v_bfrev_b32_e32 v37, 1
	s_and_saveexec_b64 s[14:15], vcc
	s_cbranch_execz .LBB647_226
; %bb.223:                              ;   in Loop: Header=BB647_215 Depth=1
	v_and_b32_e32 v44, 0x7f, v42
	v_cmp_ne_u32_e32 vcc, s19, v44
	v_mov_b32_e32 v37, 0x7f800001
	s_and_saveexec_b64 s[16:17], vcc
	s_cbranch_execz .LBB647_225
; %bb.224:                              ;   in Loop: Header=BB647_215 Depth=1
	v_and_b32_e32 v37, 7, v42
	v_ffbh_u32_e32 v56, v37
	v_min_u32_e32 v59, 32, v56
	v_subrev_u32_e32 v56, 28, v59
	v_lshlrev_b64 v[56:57], v56, v[42:43]
	v_lshrrev_b32_e32 v58, 3, v44
	v_sub_u32_e32 v42, 29, v59
	v_and_b32_e32 v56, 7, v56
	v_cmp_gt_u32_e32 vcc, 8, v44
	v_cndmask_b32_e32 v42, v58, v42, vcc
	v_cndmask_b32_e32 v37, v37, v56, vcc
	v_lshlrev_b32_e32 v44, 16, v36
	v_lshlrev_b32_e32 v37, 20, v37
	v_and_b32_e32 v44, 0x80000000, v44
	v_lshl_add_u32 v42, v42, 23, v55
	v_or3_b32 v37, v44, v42, v37
.LBB647_225:                            ;   in Loop: Header=BB647_215 Depth=1
	s_or_b64 exec, exec, s[16:17]
.LBB647_226:                            ;   in Loop: Header=BB647_215 Depth=1
	s_or_b64 exec, exec, s[14:15]
.LBB647_227:                            ;   in Loop: Header=BB647_215 Depth=1
	s_or_b64 exec, exec, s[12:13]
	v_lshrrev_b32_e32 v42, 16, v36
	v_cmp_ne_u16_sdwa s[14:15], v42, v54 src0_sel:BYTE_0 src1_sel:DWORD
	v_mov_b32_e32 v56, 0
	v_mov_b32_e32 v44, 0
	s_and_saveexec_b64 s[12:13], s[14:15]
	s_cbranch_execz .LBB647_233
; %bb.228:                              ;   in Loop: Header=BB647_215 Depth=1
	v_cmp_ne_u16_sdwa s[16:17], v42, s9 src0_sel:BYTE_0 src1_sel:DWORD
	v_bfrev_b32_e32 v44, 1
	s_and_saveexec_b64 s[14:15], s[16:17]
	s_cbranch_execz .LBB647_232
; %bb.229:                              ;   in Loop: Header=BB647_215 Depth=1
	v_bfe_u32 v57, v36, 16, 7
	v_cmp_ne_u32_e32 vcc, s19, v57
	v_mov_b32_e32 v44, 0x7f800001
	s_and_saveexec_b64 s[16:17], vcc
	s_cbranch_execz .LBB647_231
; %bb.230:                              ;   in Loop: Header=BB647_215 Depth=1
	v_and_b32_e32 v44, 7, v42
	v_ffbh_u32_e32 v58, v44
	v_min_u32_e32 v61, 32, v58
	v_subrev_u32_e32 v58, 28, v61
	v_lshlrev_b64 v[58:59], v58, v[42:43]
	v_lshrrev_b32_e32 v60, 3, v57
	v_sub_u32_e32 v59, 29, v61
	v_and_b32_e32 v58, 7, v58
	v_cmp_gt_u32_e32 vcc, 8, v57
	v_cndmask_b32_e32 v57, v60, v59, vcc
	v_cndmask_b32_e32 v44, v44, v58, vcc
	v_lshlrev_b32_e32 v42, 24, v42
	v_lshlrev_b32_e32 v44, 20, v44
	v_and_b32_e32 v42, 0x80000000, v42
	v_lshl_add_u32 v57, v57, 23, v55
	v_or3_b32 v44, v42, v57, v44
.LBB647_231:                            ;   in Loop: Header=BB647_215 Depth=1
	s_or_b64 exec, exec, s[16:17]
.LBB647_232:                            ;   in Loop: Header=BB647_215 Depth=1
	s_or_b64 exec, exec, s[14:15]
.LBB647_233:                            ;   in Loop: Header=BB647_215 Depth=1
	s_or_b64 exec, exec, s[12:13]
	v_cmp_lt_u32_e32 vcc, s20, v36
	s_and_saveexec_b64 s[12:13], vcc
	s_cbranch_execz .LBB647_239
; %bb.234:                              ;   in Loop: Header=BB647_215 Depth=1
	v_lshrrev_b32_e32 v42, 24, v36
	v_cmp_ne_u32_e32 vcc, s9, v42
	v_bfrev_b32_e32 v56, 1
	s_and_saveexec_b64 s[14:15], vcc
	s_cbranch_execz .LBB647_238
; %bb.235:                              ;   in Loop: Header=BB647_215 Depth=1
	v_bfe_u32 v36, v36, 24, 7
	v_cmp_ne_u32_e32 vcc, s19, v36
	v_mov_b32_e32 v56, 0x7f800001
	s_and_saveexec_b64 s[16:17], vcc
	s_cbranch_execz .LBB647_237
; %bb.236:                              ;   in Loop: Header=BB647_215 Depth=1
	v_and_b32_e32 v58, 7, v42
	v_ffbh_u32_e32 v56, v58
	v_min_u32_e32 v60, 32, v56
	v_subrev_u32_e32 v56, 28, v60
	v_lshlrev_b64 v[56:57], v56, v[42:43]
	v_lshrrev_b32_e32 v59, 3, v36
	v_sub_u32_e32 v57, 29, v60
	v_and_b32_e32 v56, 7, v56
	v_cmp_gt_u32_e32 vcc, 8, v36
	v_cndmask_b32_e32 v36, v59, v57, vcc
	v_cndmask_b32_e32 v56, v58, v56, vcc
	v_lshlrev_b32_e32 v42, 24, v42
	v_lshlrev_b32_e32 v56, 20, v56
	v_and_b32_e32 v42, 0x80000000, v42
	v_lshl_add_u32 v36, v36, 23, v55
	v_or3_b32 v56, v42, v36, v56
.LBB647_237:                            ;   in Loop: Header=BB647_215 Depth=1
	s_or_b64 exec, exec, s[16:17]
.LBB647_238:                            ;   in Loop: Header=BB647_215 Depth=1
	s_or_b64 exec, exec, s[14:15]
.LBB647_239:                            ;   in Loop: Header=BB647_215 Depth=1
	s_or_b64 exec, exec, s[12:13]
	s_waitcnt vmcnt(2)
	v_cmp_ne_u16_sdwa s[14:15], v34, v54 src0_sel:BYTE_0 src1_sel:DWORD
	v_mov_b32_e32 v42, 0
	v_mov_b32_e32 v57, 0
	s_and_saveexec_b64 s[12:13], s[14:15]
	s_cbranch_execz .LBB647_245
; %bb.240:                              ;   in Loop: Header=BB647_215 Depth=1
	v_cmp_ne_u16_sdwa s[16:17], v34, s9 src0_sel:BYTE_0 src1_sel:DWORD
	v_bfrev_b32_e32 v57, 1
	s_and_saveexec_b64 s[14:15], s[16:17]
	s_cbranch_execz .LBB647_244
; %bb.241:                              ;   in Loop: Header=BB647_215 Depth=1
	v_and_b32_e32 v36, 0x7f, v34
	v_cmp_ne_u32_e32 vcc, s19, v36
	v_mov_b32_e32 v57, 0x7f800001
	s_and_saveexec_b64 s[16:17], vcc
	s_cbranch_execz .LBB647_243
; %bb.242:                              ;   in Loop: Header=BB647_215 Depth=1
	v_and_b32_e32 v57, 7, v34
	v_ffbh_u32_e32 v58, v57
	v_min_u32_e32 v61, 32, v58
	v_subrev_u32_e32 v58, 28, v61
	v_lshlrev_b64 v[58:59], v58, v[34:35]
	v_lshrrev_b32_e32 v60, 3, v36
	v_sub_u32_e32 v59, 29, v61
	v_and_b32_e32 v58, 7, v58
	v_cmp_gt_u32_e32 vcc, 8, v36
	v_cndmask_b32_e32 v36, v60, v59, vcc
	v_cndmask_b32_e32 v57, v57, v58, vcc
	v_lshlrev_b32_e32 v58, 24, v34
	v_lshlrev_b32_e32 v57, 20, v57
	v_and_b32_e32 v58, 0x80000000, v58
	v_lshl_add_u32 v36, v36, 23, v55
	v_or3_b32 v57, v58, v36, v57
.LBB647_243:                            ;   in Loop: Header=BB647_215 Depth=1
	s_or_b64 exec, exec, s[16:17]
.LBB647_244:                            ;   in Loop: Header=BB647_215 Depth=1
	s_or_b64 exec, exec, s[14:15]
.LBB647_245:                            ;   in Loop: Header=BB647_215 Depth=1
	s_or_b64 exec, exec, s[12:13]
	v_lshrrev_b16_e32 v36, 8, v34
	v_cmp_ne_u16_e32 vcc, 0, v36
	s_and_saveexec_b64 s[12:13], vcc
	s_cbranch_execz .LBB647_251
; %bb.246:                              ;   in Loop: Header=BB647_215 Depth=1
	v_cmp_ne_u16_e32 vcc, s9, v36
	v_bfrev_b32_e32 v42, 1
	s_and_saveexec_b64 s[14:15], vcc
	s_cbranch_execz .LBB647_250
; %bb.247:                              ;   in Loop: Header=BB647_215 Depth=1
	v_and_b32_e32 v58, 0x7f, v36
	v_cmp_ne_u32_e32 vcc, s19, v58
	v_mov_b32_e32 v42, 0x7f800001
	s_and_saveexec_b64 s[16:17], vcc
	s_cbranch_execz .LBB647_249
; %bb.248:                              ;   in Loop: Header=BB647_215 Depth=1
	v_and_b32_e32 v42, 7, v36
	v_ffbh_u32_e32 v60, v42
	v_min_u32_e32 v62, 32, v60
	v_subrev_u32_e32 v60, 28, v62
	v_lshlrev_b64 v[60:61], v60, v[36:37]
	v_lshrrev_b32_e32 v59, 3, v58
	v_sub_u32_e32 v36, 29, v62
	v_and_b32_e32 v60, 7, v60
	v_cmp_gt_u32_e32 vcc, 8, v58
	v_cndmask_b32_e32 v36, v59, v36, vcc
	v_cndmask_b32_e32 v42, v42, v60, vcc
	v_lshlrev_b32_e32 v58, 16, v34
	v_lshlrev_b32_e32 v42, 20, v42
	v_and_b32_e32 v58, 0x80000000, v58
	v_lshl_add_u32 v36, v36, 23, v55
	v_or3_b32 v42, v58, v36, v42
.LBB647_249:                            ;   in Loop: Header=BB647_215 Depth=1
	s_or_b64 exec, exec, s[16:17]
.LBB647_250:                            ;   in Loop: Header=BB647_215 Depth=1
	s_or_b64 exec, exec, s[14:15]
.LBB647_251:                            ;   in Loop: Header=BB647_215 Depth=1
	s_or_b64 exec, exec, s[12:13]
	v_lshrrev_b32_e32 v36, 16, v34
	v_cmp_ne_u16_sdwa s[14:15], v36, v54 src0_sel:BYTE_0 src1_sel:DWORD
	v_mov_b32_e32 v59, 0
	v_mov_b32_e32 v58, 0
	s_and_saveexec_b64 s[12:13], s[14:15]
	s_cbranch_execz .LBB647_257
; %bb.252:                              ;   in Loop: Header=BB647_215 Depth=1
	v_cmp_ne_u16_sdwa s[16:17], v36, s9 src0_sel:BYTE_0 src1_sel:DWORD
	v_bfrev_b32_e32 v58, 1
	s_and_saveexec_b64 s[14:15], s[16:17]
	s_cbranch_execz .LBB647_256
; %bb.253:                              ;   in Loop: Header=BB647_215 Depth=1
	v_bfe_u32 v60, v34, 16, 7
	v_cmp_ne_u32_e32 vcc, s19, v60
	v_mov_b32_e32 v58, 0x7f800001
	s_and_saveexec_b64 s[16:17], vcc
	s_cbranch_execz .LBB647_255
; %bb.254:                              ;   in Loop: Header=BB647_215 Depth=1
	v_and_b32_e32 v58, 7, v36
	v_ffbh_u32_e32 v62, v58
	v_min_u32_e32 v64, 32, v62
	v_subrev_u32_e32 v62, 28, v64
	v_lshlrev_b64 v[62:63], v62, v[36:37]
	v_lshrrev_b32_e32 v61, 3, v60
	v_sub_u32_e32 v63, 29, v64
	v_and_b32_e32 v62, 7, v62
	v_cmp_gt_u32_e32 vcc, 8, v60
	v_cndmask_b32_e32 v60, v61, v63, vcc
	v_cndmask_b32_e32 v58, v58, v62, vcc
	v_lshlrev_b32_e32 v36, 24, v36
	v_lshlrev_b32_e32 v58, 20, v58
	v_and_b32_e32 v36, 0x80000000, v36
	v_lshl_add_u32 v60, v60, 23, v55
	v_or3_b32 v58, v36, v60, v58
.LBB647_255:                            ;   in Loop: Header=BB647_215 Depth=1
	s_or_b64 exec, exec, s[16:17]
.LBB647_256:                            ;   in Loop: Header=BB647_215 Depth=1
	s_or_b64 exec, exec, s[14:15]
.LBB647_257:                            ;   in Loop: Header=BB647_215 Depth=1
	s_or_b64 exec, exec, s[12:13]
	v_cmp_lt_u32_e32 vcc, s20, v34
	s_and_saveexec_b64 s[12:13], vcc
	s_cbranch_execz .LBB647_263
; %bb.258:                              ;   in Loop: Header=BB647_215 Depth=1
	v_lshrrev_b32_e32 v36, 24, v34
	v_cmp_ne_u32_e32 vcc, s9, v36
	v_bfrev_b32_e32 v59, 1
	s_and_saveexec_b64 s[14:15], vcc
	s_cbranch_execz .LBB647_262
; %bb.259:                              ;   in Loop: Header=BB647_215 Depth=1
	v_bfe_u32 v34, v34, 24, 7
	v_cmp_ne_u32_e32 vcc, s19, v34
	v_mov_b32_e32 v59, 0x7f800001
	s_and_saveexec_b64 s[16:17], vcc
	s_cbranch_execz .LBB647_261
; %bb.260:                              ;   in Loop: Header=BB647_215 Depth=1
	v_and_b32_e32 v59, 7, v36
	v_ffbh_u32_e32 v60, v59
	v_min_u32_e32 v63, 32, v60
	v_subrev_u32_e32 v60, 28, v63
	v_lshlrev_b64 v[60:61], v60, v[36:37]
	v_lshrrev_b32_e32 v62, 3, v34
	v_sub_u32_e32 v61, 29, v63
	v_and_b32_e32 v60, 7, v60
	v_cmp_gt_u32_e32 vcc, 8, v34
	v_cndmask_b32_e32 v34, v62, v61, vcc
	v_cndmask_b32_e32 v59, v59, v60, vcc
	v_lshlrev_b32_e32 v36, 24, v36
	v_lshlrev_b32_e32 v59, 20, v59
	v_and_b32_e32 v36, 0x80000000, v36
	v_lshl_add_u32 v34, v34, 23, v55
	v_or3_b32 v59, v36, v34, v59
.LBB647_261:                            ;   in Loop: Header=BB647_215 Depth=1
	s_or_b64 exec, exec, s[16:17]
.LBB647_262:                            ;   in Loop: Header=BB647_215 Depth=1
	s_or_b64 exec, exec, s[14:15]
.LBB647_263:                            ;   in Loop: Header=BB647_215 Depth=1
	s_or_b64 exec, exec, s[12:13]
	v_cvt_pkrtz_f16_f32 v34, v35, v37
	v_cvt_pkrtz_f16_f32 v35, v44, v56
	;; [unrolled: 1-line block ×4, first 2 shown]
	v_mov_b32_e32 v44, 0
	v_mfma_f32_16x16x16f16 v[34:37], v[34:35], v[2:3], 0
	s_waitcnt vmcnt(1)
	v_cmp_ne_u16_sdwa s[14:15], v40, v54 src0_sel:BYTE_0 src1_sel:DWORD
	v_mov_b32_e32 v57, 0
	v_mfma_f32_16x16x16f16 v[34:37], v[60:61], v[4:5], v[34:37]
	s_and_saveexec_b64 s[12:13], s[14:15]
	s_cbranch_execz .LBB647_269
; %bb.264:                              ;   in Loop: Header=BB647_215 Depth=1
	v_cmp_ne_u16_sdwa s[16:17], v40, s9 src0_sel:BYTE_0 src1_sel:DWORD
	v_bfrev_b32_e32 v57, 1
	s_and_saveexec_b64 s[14:15], s[16:17]
	s_cbranch_execz .LBB647_268
; %bb.265:                              ;   in Loop: Header=BB647_215 Depth=1
	v_and_b32_e32 v42, 0x7f, v40
	v_cmp_ne_u32_e32 vcc, s19, v42
	v_mov_b32_e32 v57, 0x7f800001
	s_and_saveexec_b64 s[16:17], vcc
	s_cbranch_execz .LBB647_267
; %bb.266:                              ;   in Loop: Header=BB647_215 Depth=1
	v_and_b32_e32 v58, 7, v40
	v_ffbh_u32_e32 v56, v58
	v_min_u32_e32 v60, 32, v56
	v_subrev_u32_e32 v56, 28, v60
	v_lshlrev_b64 v[56:57], v56, v[40:41]
	v_lshrrev_b32_e32 v59, 3, v42
	v_sub_u32_e32 v57, 29, v60
	v_and_b32_e32 v56, 7, v56
	v_cmp_gt_u32_e32 vcc, 8, v42
	v_cndmask_b32_e32 v42, v59, v57, vcc
	v_cndmask_b32_e32 v56, v58, v56, vcc
	v_lshlrev_b32_e32 v57, 24, v40
	v_lshlrev_b32_e32 v56, 20, v56
	v_and_b32_e32 v57, 0x80000000, v57
	v_lshl_add_u32 v42, v42, 23, v55
	v_or3_b32 v57, v57, v42, v56
.LBB647_267:                            ;   in Loop: Header=BB647_215 Depth=1
	s_or_b64 exec, exec, s[16:17]
.LBB647_268:                            ;   in Loop: Header=BB647_215 Depth=1
	s_or_b64 exec, exec, s[14:15]
.LBB647_269:                            ;   in Loop: Header=BB647_215 Depth=1
	s_or_b64 exec, exec, s[12:13]
	v_lshrrev_b16_e32 v42, 8, v40
	v_cmp_ne_u16_e32 vcc, 0, v42
	v_mov_b32_e32 v58, 0
	s_and_saveexec_b64 s[12:13], vcc
	s_cbranch_execz .LBB647_275
; %bb.270:                              ;   in Loop: Header=BB647_215 Depth=1
	v_cmp_ne_u16_e32 vcc, s9, v42
	v_bfrev_b32_e32 v58, 1
	s_and_saveexec_b64 s[14:15], vcc
	s_cbranch_execz .LBB647_274
; %bb.271:                              ;   in Loop: Header=BB647_215 Depth=1
	v_and_b32_e32 v56, 0x7f, v42
	v_cmp_ne_u32_e32 vcc, s19, v56
	v_mov_b32_e32 v58, 0x7f800001
	s_and_saveexec_b64 s[16:17], vcc
	s_cbranch_execz .LBB647_273
; %bb.272:                              ;   in Loop: Header=BB647_215 Depth=1
	v_and_b32_e32 v60, 7, v42
	v_ffbh_u32_e32 v58, v60
	v_min_u32_e32 v62, 32, v58
	v_subrev_u32_e32 v58, 28, v62
	v_lshlrev_b64 v[58:59], v58, v[42:43]
	v_lshrrev_b32_e32 v61, 3, v56
	v_sub_u32_e32 v42, 29, v62
	v_and_b32_e32 v58, 7, v58
	v_cmp_gt_u32_e32 vcc, 8, v56
	v_cndmask_b32_e32 v42, v61, v42, vcc
	v_cndmask_b32_e32 v56, v60, v58, vcc
	v_lshlrev_b32_e32 v58, 16, v40
	v_lshlrev_b32_e32 v56, 20, v56
	v_and_b32_e32 v58, 0x80000000, v58
	v_lshl_add_u32 v42, v42, 23, v55
	v_or3_b32 v58, v58, v42, v56
.LBB647_273:                            ;   in Loop: Header=BB647_215 Depth=1
	s_or_b64 exec, exec, s[16:17]
.LBB647_274:                            ;   in Loop: Header=BB647_215 Depth=1
	s_or_b64 exec, exec, s[14:15]
.LBB647_275:                            ;   in Loop: Header=BB647_215 Depth=1
	s_or_b64 exec, exec, s[12:13]
	v_lshrrev_b32_e32 v42, 16, v40
	v_cmp_ne_u16_sdwa s[14:15], v42, v54 src0_sel:BYTE_0 src1_sel:DWORD
	s_and_saveexec_b64 s[12:13], s[14:15]
	s_cbranch_execz .LBB647_281
; %bb.276:                              ;   in Loop: Header=BB647_215 Depth=1
	v_cmp_ne_u16_sdwa s[16:17], v42, s9 src0_sel:BYTE_0 src1_sel:DWORD
	v_bfrev_b32_e32 v44, 1
	s_and_saveexec_b64 s[14:15], s[16:17]
	s_cbranch_execz .LBB647_280
; %bb.277:                              ;   in Loop: Header=BB647_215 Depth=1
	v_bfe_u32 v56, v40, 16, 7
	v_cmp_ne_u32_e32 vcc, s19, v56
	v_mov_b32_e32 v44, 0x7f800001
	s_and_saveexec_b64 s[16:17], vcc
	s_cbranch_execz .LBB647_279
; %bb.278:                              ;   in Loop: Header=BB647_215 Depth=1
	v_and_b32_e32 v44, 7, v42
	v_ffbh_u32_e32 v60, v44
	v_min_u32_e32 v62, 32, v60
	v_subrev_u32_e32 v60, 28, v62
	v_lshlrev_b64 v[60:61], v60, v[42:43]
	v_lshrrev_b32_e32 v59, 3, v56
	v_sub_u32_e32 v61, 29, v62
	v_and_b32_e32 v60, 7, v60
	v_cmp_gt_u32_e32 vcc, 8, v56
	v_cndmask_b32_e32 v56, v59, v61, vcc
	v_cndmask_b32_e32 v44, v44, v60, vcc
	v_lshlrev_b32_e32 v42, 24, v42
	v_lshlrev_b32_e32 v44, 20, v44
	v_and_b32_e32 v42, 0x80000000, v42
	v_lshl_add_u32 v56, v56, 23, v55
	v_or3_b32 v44, v42, v56, v44
.LBB647_279:                            ;   in Loop: Header=BB647_215 Depth=1
	s_or_b64 exec, exec, s[16:17]
.LBB647_280:                            ;   in Loop: Header=BB647_215 Depth=1
	s_or_b64 exec, exec, s[14:15]
.LBB647_281:                            ;   in Loop: Header=BB647_215 Depth=1
	s_or_b64 exec, exec, s[12:13]
	v_cmp_lt_u32_e32 vcc, s20, v40
	v_mov_b32_e32 v59, 0
	v_mov_b32_e32 v60, 0
	s_and_saveexec_b64 s[12:13], vcc
	s_cbranch_execz .LBB647_287
; %bb.282:                              ;   in Loop: Header=BB647_215 Depth=1
	v_lshrrev_b32_e32 v42, 24, v40
	v_cmp_ne_u32_e32 vcc, s9, v42
	v_bfrev_b32_e32 v60, 1
	s_and_saveexec_b64 s[14:15], vcc
	s_cbranch_execz .LBB647_286
; %bb.283:                              ;   in Loop: Header=BB647_215 Depth=1
	v_bfe_u32 v40, v40, 24, 7
	v_cmp_ne_u32_e32 vcc, s19, v40
	v_mov_b32_e32 v60, 0x7f800001
	s_and_saveexec_b64 s[16:17], vcc
	s_cbranch_execz .LBB647_285
; %bb.284:                              ;   in Loop: Header=BB647_215 Depth=1
	v_and_b32_e32 v56, 7, v42
	v_ffbh_u32_e32 v60, v56
	v_min_u32_e32 v63, 32, v60
	v_subrev_u32_e32 v60, 28, v63
	v_lshlrev_b64 v[60:61], v60, v[42:43]
	v_lshrrev_b32_e32 v62, 3, v40
	v_sub_u32_e32 v61, 29, v63
	v_and_b32_e32 v60, 7, v60
	v_cmp_gt_u32_e32 vcc, 8, v40
	v_cndmask_b32_e32 v40, v62, v61, vcc
	v_cndmask_b32_e32 v56, v56, v60, vcc
	v_lshlrev_b32_e32 v42, 24, v42
	v_lshlrev_b32_e32 v56, 20, v56
	v_and_b32_e32 v42, 0x80000000, v42
	v_lshl_add_u32 v40, v40, 23, v55
	v_or3_b32 v60, v42, v40, v56
.LBB647_285:                            ;   in Loop: Header=BB647_215 Depth=1
	s_or_b64 exec, exec, s[16:17]
.LBB647_286:                            ;   in Loop: Header=BB647_215 Depth=1
	s_or_b64 exec, exec, s[14:15]
.LBB647_287:                            ;   in Loop: Header=BB647_215 Depth=1
	s_or_b64 exec, exec, s[12:13]
	s_waitcnt vmcnt(0)
	v_cmp_ne_u16_sdwa s[14:15], v38, v54 src0_sel:BYTE_0 src1_sel:DWORD
	s_and_saveexec_b64 s[12:13], s[14:15]
	s_cbranch_execz .LBB647_293
; %bb.288:                              ;   in Loop: Header=BB647_215 Depth=1
	v_cmp_ne_u16_sdwa s[16:17], v38, s9 src0_sel:BYTE_0 src1_sel:DWORD
	v_bfrev_b32_e32 v59, 1
	s_and_saveexec_b64 s[14:15], s[16:17]
	s_cbranch_execz .LBB647_292
; %bb.289:                              ;   in Loop: Header=BB647_215 Depth=1
	v_and_b32_e32 v40, 0x7f, v38
	v_cmp_ne_u32_e32 vcc, s19, v40
	v_mov_b32_e32 v59, 0x7f800001
	s_and_saveexec_b64 s[16:17], vcc
	s_cbranch_execz .LBB647_291
; %bb.290:                              ;   in Loop: Header=BB647_215 Depth=1
	v_and_b32_e32 v42, 7, v38
	v_ffbh_u32_e32 v59, v42
	v_min_u32_e32 v59, 32, v59
	v_subrev_u32_e32 v61, 28, v59
	v_lshlrev_b64 v[62:63], v61, v[38:39]
	v_lshrrev_b32_e32 v56, 3, v40
	v_sub_u32_e32 v59, 29, v59
	v_and_b32_e32 v61, 7, v62
	v_cmp_gt_u32_e32 vcc, 8, v40
	v_cndmask_b32_e32 v40, v56, v59, vcc
	v_cndmask_b32_e32 v42, v42, v61, vcc
	v_lshlrev_b32_e32 v56, 24, v38
	v_lshlrev_b32_e32 v42, 20, v42
	v_and_b32_e32 v56, 0x80000000, v56
	v_lshl_add_u32 v40, v40, 23, v55
	v_or3_b32 v59, v56, v40, v42
.LBB647_291:                            ;   in Loop: Header=BB647_215 Depth=1
	s_or_b64 exec, exec, s[16:17]
.LBB647_292:                            ;   in Loop: Header=BB647_215 Depth=1
	s_or_b64 exec, exec, s[14:15]
.LBB647_293:                            ;   in Loop: Header=BB647_215 Depth=1
	s_or_b64 exec, exec, s[12:13]
	v_lshrrev_b16_e32 v40, 8, v38
	v_cmp_ne_u16_e32 vcc, 0, v40
	v_mov_b32_e32 v61, 0
	v_mov_b32_e32 v62, 0
	s_and_saveexec_b64 s[12:13], vcc
	s_cbranch_execz .LBB647_299
; %bb.294:                              ;   in Loop: Header=BB647_215 Depth=1
	v_cmp_ne_u16_e32 vcc, s9, v40
	v_bfrev_b32_e32 v62, 1
	s_and_saveexec_b64 s[14:15], vcc
	s_cbranch_execz .LBB647_298
; %bb.295:                              ;   in Loop: Header=BB647_215 Depth=1
	v_and_b32_e32 v42, 0x7f, v40
	v_cmp_ne_u32_e32 vcc, s19, v42
	v_mov_b32_e32 v62, 0x7f800001
	s_and_saveexec_b64 s[16:17], vcc
	s_cbranch_execz .LBB647_297
; %bb.296:                              ;   in Loop: Header=BB647_215 Depth=1
	v_and_b32_e32 v56, 7, v40
	v_ffbh_u32_e32 v62, v56
	v_min_u32_e32 v65, 32, v62
	v_subrev_u32_e32 v62, 28, v65
	v_lshlrev_b64 v[62:63], v62, v[40:41]
	v_lshrrev_b32_e32 v64, 3, v42
	v_sub_u32_e32 v40, 29, v65
	v_and_b32_e32 v62, 7, v62
	v_cmp_gt_u32_e32 vcc, 8, v42
	v_cndmask_b32_e32 v40, v64, v40, vcc
	v_cndmask_b32_e32 v42, v56, v62, vcc
	v_lshlrev_b32_e32 v56, 16, v38
	v_lshlrev_b32_e32 v42, 20, v42
	v_and_b32_e32 v56, 0x80000000, v56
	v_lshl_add_u32 v40, v40, 23, v55
	v_or3_b32 v62, v56, v40, v42
.LBB647_297:                            ;   in Loop: Header=BB647_215 Depth=1
	s_or_b64 exec, exec, s[16:17]
.LBB647_298:                            ;   in Loop: Header=BB647_215 Depth=1
	s_or_b64 exec, exec, s[14:15]
.LBB647_299:                            ;   in Loop: Header=BB647_215 Depth=1
	s_or_b64 exec, exec, s[12:13]
	v_lshrrev_b32_e32 v40, 16, v38
	v_cmp_ne_u16_sdwa s[14:15], v40, v54 src0_sel:BYTE_0 src1_sel:DWORD
	s_and_saveexec_b64 s[12:13], s[14:15]
	s_cbranch_execz .LBB647_305
; %bb.300:                              ;   in Loop: Header=BB647_215 Depth=1
	v_cmp_ne_u16_sdwa s[16:17], v40, s9 src0_sel:BYTE_0 src1_sel:DWORD
	v_bfrev_b32_e32 v61, 1
	s_and_saveexec_b64 s[14:15], s[16:17]
	s_cbranch_execz .LBB647_304
; %bb.301:                              ;   in Loop: Header=BB647_215 Depth=1
	v_bfe_u32 v42, v38, 16, 7
	v_cmp_ne_u32_e32 vcc, s19, v42
	v_mov_b32_e32 v61, 0x7f800001
	s_and_saveexec_b64 s[16:17], vcc
	s_cbranch_execz .LBB647_303
; %bb.302:                              ;   in Loop: Header=BB647_215 Depth=1
	v_and_b32_e32 v56, 7, v40
	v_ffbh_u32_e32 v63, v56
	v_min_u32_e32 v63, 32, v63
	v_subrev_u32_e32 v64, 28, v63
	v_lshlrev_b64 v[64:65], v64, v[40:41]
	v_lshrrev_b32_e32 v61, 3, v42
	v_sub_u32_e32 v63, 29, v63
	v_and_b32_e32 v64, 7, v64
	v_cmp_gt_u32_e32 vcc, 8, v42
	v_cndmask_b32_e32 v42, v61, v63, vcc
	v_cndmask_b32_e32 v56, v56, v64, vcc
	v_lshlrev_b32_e32 v40, 24, v40
	v_lshlrev_b32_e32 v56, 20, v56
	v_and_b32_e32 v40, 0x80000000, v40
	v_lshl_add_u32 v42, v42, 23, v55
	v_or3_b32 v61, v40, v42, v56
.LBB647_303:                            ;   in Loop: Header=BB647_215 Depth=1
	s_or_b64 exec, exec, s[16:17]
.LBB647_304:                            ;   in Loop: Header=BB647_215 Depth=1
	s_or_b64 exec, exec, s[14:15]
.LBB647_305:                            ;   in Loop: Header=BB647_215 Depth=1
	s_or_b64 exec, exec, s[12:13]
	v_cmp_lt_u32_e32 vcc, s20, v38
	v_mov_b32_e32 v56, 0
	v_mov_b32_e32 v63, 0
	s_and_saveexec_b64 s[12:13], vcc
	s_cbranch_execz .LBB647_311
; %bb.306:                              ;   in Loop: Header=BB647_215 Depth=1
	v_lshrrev_b32_e32 v40, 24, v38
	v_cmp_ne_u32_e32 vcc, s9, v40
	v_bfrev_b32_e32 v63, 1
	s_and_saveexec_b64 s[14:15], vcc
	s_cbranch_execz .LBB647_310
; %bb.307:                              ;   in Loop: Header=BB647_215 Depth=1
	v_bfe_u32 v38, v38, 24, 7
	v_cmp_ne_u32_e32 vcc, s19, v38
	v_mov_b32_e32 v63, 0x7f800001
	s_and_saveexec_b64 s[16:17], vcc
	s_cbranch_execz .LBB647_309
; %bb.308:                              ;   in Loop: Header=BB647_215 Depth=1
	v_and_b32_e32 v42, 7, v40
	v_ffbh_u32_e32 v64, v42
	v_min_u32_e32 v66, 32, v64
	v_subrev_u32_e32 v64, 28, v66
	v_lshlrev_b64 v[64:65], v64, v[40:41]
	v_lshrrev_b32_e32 v63, 3, v38
	v_sub_u32_e32 v65, 29, v66
	v_and_b32_e32 v64, 7, v64
	v_cmp_gt_u32_e32 vcc, 8, v38
	v_cndmask_b32_e32 v38, v63, v65, vcc
	v_cndmask_b32_e32 v42, v42, v64, vcc
	v_lshlrev_b32_e32 v40, 24, v40
	v_lshlrev_b32_e32 v42, 20, v42
	v_and_b32_e32 v40, 0x80000000, v40
	v_lshl_add_u32 v38, v38, 23, v55
	v_or3_b32 v63, v40, v38, v42
.LBB647_309:                            ;   in Loop: Header=BB647_215 Depth=1
	s_or_b64 exec, exec, s[16:17]
.LBB647_310:                            ;   in Loop: Header=BB647_215 Depth=1
	s_or_b64 exec, exec, s[14:15]
.LBB647_311:                            ;   in Loop: Header=BB647_215 Depth=1
	s_or_b64 exec, exec, s[12:13]
	v_cvt_pkrtz_f16_f32 v65, v44, v60
	buffer_load_dword v44, v46, s[0:3], 0 offen
	buffer_load_dword v42, v46, s[0:3], 0 offen offset:4
	buffer_load_dword v40, v46, s[0:3], 0 offen offset:8
	buffer_load_dword v38, v46, s[0:3], 0 offen offset:12
	v_cvt_pkrtz_f16_f32 v64, v57, v58
	v_cvt_pkrtz_f16_f32 v58, v59, v62
	;; [unrolled: 1-line block ×3, first 2 shown]
	v_mfma_f32_16x16x16f16 v[34:37], v[64:65], v[6:7], v[34:37]
	s_waitcnt vmcnt(3)
	v_cmp_ne_u16_sdwa s[14:15], v44, v54 src0_sel:BYTE_0 src1_sel:DWORD
	v_mfma_f32_16x16x16f16 v[34:37], v[58:59], v[8:9], v[34:37]
	s_and_saveexec_b64 s[12:13], s[14:15]
	s_cbranch_execz .LBB647_317
; %bb.312:                              ;   in Loop: Header=BB647_215 Depth=1
	v_cmp_ne_u16_sdwa s[16:17], v44, s9 src0_sel:BYTE_0 src1_sel:DWORD
	v_bfrev_b32_e32 v56, 1
	s_and_saveexec_b64 s[14:15], s[16:17]
	s_cbranch_execz .LBB647_316
; %bb.313:                              ;   in Loop: Header=BB647_215 Depth=1
	v_and_b32_e32 v46, 0x7f, v44
	v_cmp_ne_u32_e32 vcc, s19, v46
	v_mov_b32_e32 v56, 0x7f800001
	s_and_saveexec_b64 s[16:17], vcc
	s_cbranch_execz .LBB647_315
; %bb.314:                              ;   in Loop: Header=BB647_215 Depth=1
	v_and_b32_e32 v58, 7, v44
	v_ffbh_u32_e32 v56, v58
	v_min_u32_e32 v60, 32, v56
	v_subrev_u32_e32 v56, 28, v60
	v_lshlrev_b64 v[56:57], v56, v[44:45]
	v_lshrrev_b32_e32 v59, 3, v46
	v_sub_u32_e32 v57, 29, v60
	v_and_b32_e32 v56, 7, v56
	v_cmp_gt_u32_e32 vcc, 8, v46
	v_cndmask_b32_e32 v46, v59, v57, vcc
	v_cndmask_b32_e32 v56, v58, v56, vcc
	v_lshlrev_b32_e32 v57, 24, v44
	v_lshlrev_b32_e32 v56, 20, v56
	v_and_b32_e32 v57, 0x80000000, v57
	v_lshl_add_u32 v46, v46, 23, v55
	v_or3_b32 v56, v57, v46, v56
.LBB647_315:                            ;   in Loop: Header=BB647_215 Depth=1
	s_or_b64 exec, exec, s[16:17]
.LBB647_316:                            ;   in Loop: Header=BB647_215 Depth=1
	s_or_b64 exec, exec, s[14:15]
.LBB647_317:                            ;   in Loop: Header=BB647_215 Depth=1
	s_or_b64 exec, exec, s[12:13]
	v_lshrrev_b16_e32 v46, 8, v44
	v_cmp_ne_u16_e32 vcc, 0, v46
	v_mov_b32_e32 v57, 0
	v_mov_b32_e32 v58, 0
	s_and_saveexec_b64 s[12:13], vcc
	s_cbranch_execz .LBB647_323
; %bb.318:                              ;   in Loop: Header=BB647_215 Depth=1
	v_cmp_ne_u16_e32 vcc, s9, v46
	v_bfrev_b32_e32 v58, 1
	s_and_saveexec_b64 s[14:15], vcc
	s_cbranch_execz .LBB647_322
; %bb.319:                              ;   in Loop: Header=BB647_215 Depth=1
	v_and_b32_e32 v59, 0x7f, v46
	v_cmp_ne_u32_e32 vcc, s19, v59
	v_mov_b32_e32 v58, 0x7f800001
	s_and_saveexec_b64 s[16:17], vcc
	s_cbranch_execz .LBB647_321
; %bb.320:                              ;   in Loop: Header=BB647_215 Depth=1
	v_and_b32_e32 v58, 7, v46
	v_ffbh_u32_e32 v60, v58
	v_min_u32_e32 v63, 32, v60
	v_subrev_u32_e32 v60, 28, v63
	v_lshlrev_b64 v[60:61], v60, v[46:47]
	v_lshrrev_b32_e32 v62, 3, v59
	v_sub_u32_e32 v46, 29, v63
	v_and_b32_e32 v60, 7, v60
	v_cmp_gt_u32_e32 vcc, 8, v59
	v_cndmask_b32_e32 v46, v62, v46, vcc
	v_cndmask_b32_e32 v58, v58, v60, vcc
	v_lshlrev_b32_e32 v59, 16, v44
	v_lshlrev_b32_e32 v58, 20, v58
	v_and_b32_e32 v59, 0x80000000, v59
	v_lshl_add_u32 v46, v46, 23, v55
	v_or3_b32 v58, v59, v46, v58
.LBB647_321:                            ;   in Loop: Header=BB647_215 Depth=1
	s_or_b64 exec, exec, s[16:17]
.LBB647_322:                            ;   in Loop: Header=BB647_215 Depth=1
	s_or_b64 exec, exec, s[14:15]
.LBB647_323:                            ;   in Loop: Header=BB647_215 Depth=1
	s_or_b64 exec, exec, s[12:13]
	v_lshrrev_b32_e32 v46, 16, v44
	v_cmp_ne_u16_sdwa s[14:15], v46, v54 src0_sel:BYTE_0 src1_sel:DWORD
	s_and_saveexec_b64 s[12:13], s[14:15]
	s_cbranch_execz .LBB647_329
; %bb.324:                              ;   in Loop: Header=BB647_215 Depth=1
	v_cmp_ne_u16_sdwa s[16:17], v46, s9 src0_sel:BYTE_0 src1_sel:DWORD
	v_bfrev_b32_e32 v57, 1
	s_and_saveexec_b64 s[14:15], s[16:17]
	s_cbranch_execz .LBB647_328
; %bb.325:                              ;   in Loop: Header=BB647_215 Depth=1
	v_bfe_u32 v59, v44, 16, 7
	v_cmp_ne_u32_e32 vcc, s19, v59
	v_mov_b32_e32 v57, 0x7f800001
	s_and_saveexec_b64 s[16:17], vcc
	s_cbranch_execz .LBB647_327
; %bb.326:                              ;   in Loop: Header=BB647_215 Depth=1
	v_and_b32_e32 v57, 7, v46
	v_ffbh_u32_e32 v60, v57
	v_min_u32_e32 v63, 32, v60
	v_subrev_u32_e32 v60, 28, v63
	v_lshlrev_b64 v[60:61], v60, v[46:47]
	v_lshrrev_b32_e32 v62, 3, v59
	v_sub_u32_e32 v61, 29, v63
	v_and_b32_e32 v60, 7, v60
	v_cmp_gt_u32_e32 vcc, 8, v59
	v_cndmask_b32_e32 v59, v62, v61, vcc
	v_cndmask_b32_e32 v57, v57, v60, vcc
	v_lshlrev_b32_e32 v46, 24, v46
	v_lshlrev_b32_e32 v57, 20, v57
	v_and_b32_e32 v46, 0x80000000, v46
	v_lshl_add_u32 v59, v59, 23, v55
	v_or3_b32 v57, v46, v59, v57
.LBB647_327:                            ;   in Loop: Header=BB647_215 Depth=1
	s_or_b64 exec, exec, s[16:17]
.LBB647_328:                            ;   in Loop: Header=BB647_215 Depth=1
	s_or_b64 exec, exec, s[14:15]
.LBB647_329:                            ;   in Loop: Header=BB647_215 Depth=1
	s_or_b64 exec, exec, s[12:13]
	v_cmp_lt_u32_e32 vcc, s20, v44
	v_mov_b32_e32 v59, 0
	v_mov_b32_e32 v60, 0
	s_and_saveexec_b64 s[12:13], vcc
	s_cbranch_execz .LBB647_335
; %bb.330:                              ;   in Loop: Header=BB647_215 Depth=1
	v_lshrrev_b32_e32 v46, 24, v44
	v_cmp_ne_u32_e32 vcc, s9, v46
	v_bfrev_b32_e32 v60, 1
	s_and_saveexec_b64 s[14:15], vcc
	s_cbranch_execz .LBB647_334
; %bb.331:                              ;   in Loop: Header=BB647_215 Depth=1
	v_bfe_u32 v44, v44, 24, 7
	v_cmp_ne_u32_e32 vcc, s19, v44
	v_mov_b32_e32 v60, 0x7f800001
	s_and_saveexec_b64 s[16:17], vcc
	s_cbranch_execz .LBB647_333
; %bb.332:                              ;   in Loop: Header=BB647_215 Depth=1
	v_and_b32_e32 v62, 7, v46
	v_ffbh_u32_e32 v60, v62
	v_min_u32_e32 v64, 32, v60
	v_subrev_u32_e32 v60, 28, v64
	v_lshlrev_b64 v[60:61], v60, v[46:47]
	v_lshrrev_b32_e32 v63, 3, v44
	v_sub_u32_e32 v61, 29, v64
	v_and_b32_e32 v60, 7, v60
	v_cmp_gt_u32_e32 vcc, 8, v44
	v_cndmask_b32_e32 v44, v63, v61, vcc
	v_cndmask_b32_e32 v60, v62, v60, vcc
	v_lshlrev_b32_e32 v46, 24, v46
	v_lshlrev_b32_e32 v60, 20, v60
	v_and_b32_e32 v46, 0x80000000, v46
	v_lshl_add_u32 v44, v44, 23, v55
	v_or3_b32 v60, v46, v44, v60
.LBB647_333:                            ;   in Loop: Header=BB647_215 Depth=1
	s_or_b64 exec, exec, s[16:17]
.LBB647_334:                            ;   in Loop: Header=BB647_215 Depth=1
	s_or_b64 exec, exec, s[14:15]
.LBB647_335:                            ;   in Loop: Header=BB647_215 Depth=1
	s_or_b64 exec, exec, s[12:13]
	s_waitcnt vmcnt(2)
	v_cmp_ne_u16_sdwa s[14:15], v42, v54 src0_sel:BYTE_0 src1_sel:DWORD
	s_and_saveexec_b64 s[12:13], s[14:15]
	s_cbranch_execz .LBB647_341
; %bb.336:                              ;   in Loop: Header=BB647_215 Depth=1
	v_cmp_ne_u16_sdwa s[16:17], v42, s9 src0_sel:BYTE_0 src1_sel:DWORD
	v_bfrev_b32_e32 v59, 1
	s_and_saveexec_b64 s[14:15], s[16:17]
	s_cbranch_execz .LBB647_340
; %bb.337:                              ;   in Loop: Header=BB647_215 Depth=1
	v_and_b32_e32 v44, 0x7f, v42
	v_cmp_ne_u32_e32 vcc, s19, v44
	v_mov_b32_e32 v59, 0x7f800001
	s_and_saveexec_b64 s[16:17], vcc
	s_cbranch_execz .LBB647_339
; %bb.338:                              ;   in Loop: Header=BB647_215 Depth=1
	v_and_b32_e32 v46, 7, v42
	v_ffbh_u32_e32 v61, v46
	v_min_u32_e32 v61, 32, v61
	v_subrev_u32_e32 v62, 28, v61
	v_lshlrev_b64 v[62:63], v62, v[42:43]
	v_lshrrev_b32_e32 v59, 3, v44
	v_sub_u32_e32 v61, 29, v61
	v_and_b32_e32 v62, 7, v62
	v_cmp_gt_u32_e32 vcc, 8, v44
	v_cndmask_b32_e32 v44, v59, v61, vcc
	v_cndmask_b32_e32 v46, v46, v62, vcc
	v_lshlrev_b32_e32 v59, 24, v42
	v_lshlrev_b32_e32 v46, 20, v46
	v_and_b32_e32 v59, 0x80000000, v59
	v_lshl_add_u32 v44, v44, 23, v55
	v_or3_b32 v59, v59, v44, v46
.LBB647_339:                            ;   in Loop: Header=BB647_215 Depth=1
	s_or_b64 exec, exec, s[16:17]
.LBB647_340:                            ;   in Loop: Header=BB647_215 Depth=1
	s_or_b64 exec, exec, s[14:15]
.LBB647_341:                            ;   in Loop: Header=BB647_215 Depth=1
	s_or_b64 exec, exec, s[12:13]
	v_lshrrev_b16_e32 v44, 8, v42
	v_cmp_ne_u16_e32 vcc, 0, v44
	v_mov_b32_e32 v61, 0
	v_mov_b32_e32 v62, 0
	s_and_saveexec_b64 s[12:13], vcc
	s_cbranch_execz .LBB647_347
; %bb.342:                              ;   in Loop: Header=BB647_215 Depth=1
	v_cmp_ne_u16_e32 vcc, s9, v44
	v_bfrev_b32_e32 v62, 1
	s_and_saveexec_b64 s[14:15], vcc
	s_cbranch_execz .LBB647_346
; %bb.343:                              ;   in Loop: Header=BB647_215 Depth=1
	v_and_b32_e32 v46, 0x7f, v44
	v_cmp_ne_u32_e32 vcc, s19, v46
	v_mov_b32_e32 v62, 0x7f800001
	s_and_saveexec_b64 s[16:17], vcc
	s_cbranch_execz .LBB647_345
; %bb.344:                              ;   in Loop: Header=BB647_215 Depth=1
	v_and_b32_e32 v64, 7, v44
	v_ffbh_u32_e32 v62, v64
	v_min_u32_e32 v66, 32, v62
	v_subrev_u32_e32 v62, 28, v66
	v_lshlrev_b64 v[62:63], v62, v[44:45]
	v_lshrrev_b32_e32 v65, 3, v46
	v_sub_u32_e32 v44, 29, v66
	v_and_b32_e32 v62, 7, v62
	v_cmp_gt_u32_e32 vcc, 8, v46
	v_cndmask_b32_e32 v44, v65, v44, vcc
	v_cndmask_b32_e32 v46, v64, v62, vcc
	v_lshlrev_b32_e32 v62, 16, v42
	v_lshlrev_b32_e32 v46, 20, v46
	v_and_b32_e32 v62, 0x80000000, v62
	v_lshl_add_u32 v44, v44, 23, v55
	v_or3_b32 v62, v62, v44, v46
.LBB647_345:                            ;   in Loop: Header=BB647_215 Depth=1
	s_or_b64 exec, exec, s[16:17]
.LBB647_346:                            ;   in Loop: Header=BB647_215 Depth=1
	s_or_b64 exec, exec, s[14:15]
.LBB647_347:                            ;   in Loop: Header=BB647_215 Depth=1
	s_or_b64 exec, exec, s[12:13]
	v_lshrrev_b32_e32 v44, 16, v42
	v_cmp_ne_u16_sdwa s[14:15], v44, v54 src0_sel:BYTE_0 src1_sel:DWORD
	s_and_saveexec_b64 s[12:13], s[14:15]
	s_cbranch_execz .LBB647_353
; %bb.348:                              ;   in Loop: Header=BB647_215 Depth=1
	v_cmp_ne_u16_sdwa s[16:17], v44, s9 src0_sel:BYTE_0 src1_sel:DWORD
	v_bfrev_b32_e32 v61, 1
	s_and_saveexec_b64 s[14:15], s[16:17]
	s_cbranch_execz .LBB647_352
; %bb.349:                              ;   in Loop: Header=BB647_215 Depth=1
	v_bfe_u32 v46, v42, 16, 7
	v_cmp_ne_u32_e32 vcc, s19, v46
	v_mov_b32_e32 v61, 0x7f800001
	s_and_saveexec_b64 s[16:17], vcc
	s_cbranch_execz .LBB647_351
; %bb.350:                              ;   in Loop: Header=BB647_215 Depth=1
	v_and_b32_e32 v61, 7, v44
	v_ffbh_u32_e32 v64, v61
	v_min_u32_e32 v66, 32, v64
	v_subrev_u32_e32 v64, 28, v66
	v_lshlrev_b64 v[64:65], v64, v[44:45]
	v_lshrrev_b32_e32 v63, 3, v46
	v_sub_u32_e32 v65, 29, v66
	v_and_b32_e32 v64, 7, v64
	v_cmp_gt_u32_e32 vcc, 8, v46
	v_cndmask_b32_e32 v46, v63, v65, vcc
	v_cndmask_b32_e32 v61, v61, v64, vcc
	v_lshlrev_b32_e32 v44, 24, v44
	v_lshlrev_b32_e32 v61, 20, v61
	v_and_b32_e32 v44, 0x80000000, v44
	v_lshl_add_u32 v46, v46, 23, v55
	v_or3_b32 v61, v44, v46, v61
.LBB647_351:                            ;   in Loop: Header=BB647_215 Depth=1
	s_or_b64 exec, exec, s[16:17]
.LBB647_352:                            ;   in Loop: Header=BB647_215 Depth=1
	s_or_b64 exec, exec, s[14:15]
.LBB647_353:                            ;   in Loop: Header=BB647_215 Depth=1
	s_or_b64 exec, exec, s[12:13]
	v_cmp_lt_u32_e32 vcc, s20, v42
	v_mov_b32_e32 v46, 0
	v_mov_b32_e32 v63, 0
	s_and_saveexec_b64 s[12:13], vcc
	s_cbranch_execz .LBB647_359
; %bb.354:                              ;   in Loop: Header=BB647_215 Depth=1
	v_lshrrev_b32_e32 v44, 24, v42
	v_cmp_ne_u32_e32 vcc, s9, v44
	v_bfrev_b32_e32 v63, 1
	s_and_saveexec_b64 s[14:15], vcc
	s_cbranch_execz .LBB647_358
; %bb.355:                              ;   in Loop: Header=BB647_215 Depth=1
	v_bfe_u32 v42, v42, 24, 7
	v_cmp_ne_u32_e32 vcc, s19, v42
	v_mov_b32_e32 v63, 0x7f800001
	s_and_saveexec_b64 s[16:17], vcc
	s_cbranch_execz .LBB647_357
; %bb.356:                              ;   in Loop: Header=BB647_215 Depth=1
	v_and_b32_e32 v63, 7, v44
	v_ffbh_u32_e32 v64, v63
	v_min_u32_e32 v67, 32, v64
	v_subrev_u32_e32 v64, 28, v67
	v_lshlrev_b64 v[64:65], v64, v[44:45]
	v_lshrrev_b32_e32 v66, 3, v42
	v_sub_u32_e32 v65, 29, v67
	v_and_b32_e32 v64, 7, v64
	v_cmp_gt_u32_e32 vcc, 8, v42
	v_cndmask_b32_e32 v42, v66, v65, vcc
	v_cndmask_b32_e32 v63, v63, v64, vcc
	v_lshlrev_b32_e32 v44, 24, v44
	v_lshlrev_b32_e32 v63, 20, v63
	v_and_b32_e32 v44, 0x80000000, v44
	v_lshl_add_u32 v42, v42, 23, v55
	v_or3_b32 v63, v44, v42, v63
.LBB647_357:                            ;   in Loop: Header=BB647_215 Depth=1
	s_or_b64 exec, exec, s[16:17]
.LBB647_358:                            ;   in Loop: Header=BB647_215 Depth=1
	s_or_b64 exec, exec, s[14:15]
.LBB647_359:                            ;   in Loop: Header=BB647_215 Depth=1
	s_or_b64 exec, exec, s[12:13]
	v_cvt_pkrtz_f16_f32 v56, v56, v58
	v_cvt_pkrtz_f16_f32 v57, v57, v60
	s_waitcnt vmcnt(1)
	v_cmp_ne_u16_sdwa s[14:15], v40, v54 src0_sel:BYTE_0 src1_sel:DWORD
	v_mfma_f32_16x16x16f16 v[34:37], v[56:57], v[10:11], v[34:37]
	v_cvt_pkrtz_f16_f32 v56, v59, v62
	v_cvt_pkrtz_f16_f32 v57, v61, v63
	s_nop 1
	v_mfma_f32_16x16x16f16 v[34:37], v[56:57], v[12:13], v[34:37]
	s_and_saveexec_b64 s[12:13], s[14:15]
	s_cbranch_execz .LBB647_365
; %bb.360:                              ;   in Loop: Header=BB647_215 Depth=1
	v_cmp_ne_u16_sdwa s[16:17], v40, s9 src0_sel:BYTE_0 src1_sel:DWORD
	v_bfrev_b32_e32 v46, 1
	s_and_saveexec_b64 s[14:15], s[16:17]
	s_cbranch_execz .LBB647_364
; %bb.361:                              ;   in Loop: Header=BB647_215 Depth=1
	v_and_b32_e32 v42, 0x7f, v40
	v_cmp_ne_u32_e32 vcc, s19, v42
	v_mov_b32_e32 v46, 0x7f800001
	s_and_saveexec_b64 s[16:17], vcc
	s_cbranch_execz .LBB647_363
; %bb.362:                              ;   in Loop: Header=BB647_215 Depth=1
	v_and_b32_e32 v44, 7, v40
	v_ffbh_u32_e32 v56, v44
	v_min_u32_e32 v58, 32, v56
	v_subrev_u32_e32 v56, 28, v58
	v_lshlrev_b64 v[56:57], v56, v[40:41]
	v_lshrrev_b32_e32 v46, 3, v42
	v_sub_u32_e32 v57, 29, v58
	v_and_b32_e32 v56, 7, v56
	v_cmp_gt_u32_e32 vcc, 8, v42
	v_cndmask_b32_e32 v42, v46, v57, vcc
	v_cndmask_b32_e32 v44, v44, v56, vcc
	v_lshlrev_b32_e32 v46, 24, v40
	v_lshlrev_b32_e32 v44, 20, v44
	v_and_b32_e32 v46, 0x80000000, v46
	v_lshl_add_u32 v42, v42, 23, v55
	v_or3_b32 v46, v46, v42, v44
.LBB647_363:                            ;   in Loop: Header=BB647_215 Depth=1
	s_or_b64 exec, exec, s[16:17]
.LBB647_364:                            ;   in Loop: Header=BB647_215 Depth=1
	s_or_b64 exec, exec, s[14:15]
.LBB647_365:                            ;   in Loop: Header=BB647_215 Depth=1
	s_or_b64 exec, exec, s[12:13]
	v_lshrrev_b16_e32 v42, 8, v40
	v_cmp_ne_u16_e32 vcc, 0, v42
	v_mov_b32_e32 v44, 0
	v_mov_b32_e32 v57, 0
	s_and_saveexec_b64 s[12:13], vcc
	s_cbranch_execz .LBB647_371
; %bb.366:                              ;   in Loop: Header=BB647_215 Depth=1
	v_cmp_ne_u16_e32 vcc, s9, v42
	v_bfrev_b32_e32 v57, 1
	s_and_saveexec_b64 s[14:15], vcc
	s_cbranch_execz .LBB647_370
; %bb.367:                              ;   in Loop: Header=BB647_215 Depth=1
	v_and_b32_e32 v56, 0x7f, v42
	v_cmp_ne_u32_e32 vcc, s19, v56
	v_mov_b32_e32 v57, 0x7f800001
	s_and_saveexec_b64 s[16:17], vcc
	s_cbranch_execz .LBB647_369
; %bb.368:                              ;   in Loop: Header=BB647_215 Depth=1
	v_and_b32_e32 v57, 7, v42
	v_ffbh_u32_e32 v58, v57
	v_min_u32_e32 v61, 32, v58
	v_subrev_u32_e32 v58, 28, v61
	v_lshlrev_b64 v[58:59], v58, v[42:43]
	v_lshrrev_b32_e32 v60, 3, v56
	v_sub_u32_e32 v42, 29, v61
	v_and_b32_e32 v58, 7, v58
	v_cmp_gt_u32_e32 vcc, 8, v56
	v_cndmask_b32_e32 v42, v60, v42, vcc
	v_cndmask_b32_e32 v56, v57, v58, vcc
	v_lshlrev_b32_e32 v57, 16, v40
	v_lshlrev_b32_e32 v56, 20, v56
	v_and_b32_e32 v57, 0x80000000, v57
	v_lshl_add_u32 v42, v42, 23, v55
	v_or3_b32 v57, v57, v42, v56
.LBB647_369:                            ;   in Loop: Header=BB647_215 Depth=1
	s_or_b64 exec, exec, s[16:17]
.LBB647_370:                            ;   in Loop: Header=BB647_215 Depth=1
	s_or_b64 exec, exec, s[14:15]
.LBB647_371:                            ;   in Loop: Header=BB647_215 Depth=1
	s_or_b64 exec, exec, s[12:13]
	v_lshrrev_b32_e32 v42, 16, v40
	v_cmp_ne_u16_sdwa s[14:15], v42, v54 src0_sel:BYTE_0 src1_sel:DWORD
	s_and_saveexec_b64 s[12:13], s[14:15]
	s_cbranch_execz .LBB647_377
; %bb.372:                              ;   in Loop: Header=BB647_215 Depth=1
	v_cmp_ne_u16_sdwa s[16:17], v42, s9 src0_sel:BYTE_0 src1_sel:DWORD
	v_bfrev_b32_e32 v44, 1
	s_and_saveexec_b64 s[14:15], s[16:17]
	s_cbranch_execz .LBB647_376
; %bb.373:                              ;   in Loop: Header=BB647_215 Depth=1
	v_bfe_u32 v56, v40, 16, 7
	v_cmp_ne_u32_e32 vcc, s19, v56
	v_mov_b32_e32 v44, 0x7f800001
	s_and_saveexec_b64 s[16:17], vcc
	s_cbranch_execz .LBB647_375
; %bb.374:                              ;   in Loop: Header=BB647_215 Depth=1
	v_and_b32_e32 v44, 7, v42
	v_ffbh_u32_e32 v58, v44
	v_min_u32_e32 v61, 32, v58
	v_subrev_u32_e32 v58, 28, v61
	v_lshlrev_b64 v[58:59], v58, v[42:43]
	v_lshrrev_b32_e32 v60, 3, v56
	v_sub_u32_e32 v59, 29, v61
	v_and_b32_e32 v58, 7, v58
	v_cmp_gt_u32_e32 vcc, 8, v56
	v_cndmask_b32_e32 v56, v60, v59, vcc
	v_cndmask_b32_e32 v44, v44, v58, vcc
	v_lshlrev_b32_e32 v42, 24, v42
	v_lshlrev_b32_e32 v44, 20, v44
	v_and_b32_e32 v42, 0x80000000, v42
	v_lshl_add_u32 v56, v56, 23, v55
	v_or3_b32 v44, v42, v56, v44
.LBB647_375:                            ;   in Loop: Header=BB647_215 Depth=1
	s_or_b64 exec, exec, s[16:17]
.LBB647_376:                            ;   in Loop: Header=BB647_215 Depth=1
	s_or_b64 exec, exec, s[14:15]
.LBB647_377:                            ;   in Loop: Header=BB647_215 Depth=1
	s_or_b64 exec, exec, s[12:13]
	v_cmp_lt_u32_e32 vcc, s20, v40
	v_mov_b32_e32 v58, 0
	v_mov_b32_e32 v59, 0
	s_and_saveexec_b64 s[12:13], vcc
	s_cbranch_execz .LBB647_383
; %bb.378:                              ;   in Loop: Header=BB647_215 Depth=1
	v_lshrrev_b32_e32 v42, 24, v40
	v_cmp_ne_u32_e32 vcc, s9, v42
	v_bfrev_b32_e32 v59, 1
	s_and_saveexec_b64 s[14:15], vcc
	s_cbranch_execz .LBB647_382
; %bb.379:                              ;   in Loop: Header=BB647_215 Depth=1
	v_bfe_u32 v40, v40, 24, 7
	v_cmp_ne_u32_e32 vcc, s19, v40
	v_mov_b32_e32 v59, 0x7f800001
	s_and_saveexec_b64 s[16:17], vcc
	s_cbranch_execz .LBB647_381
; %bb.380:                              ;   in Loop: Header=BB647_215 Depth=1
	v_and_b32_e32 v56, 7, v42
	v_ffbh_u32_e32 v60, v56
	v_min_u32_e32 v62, 32, v60
	v_subrev_u32_e32 v60, 28, v62
	v_lshlrev_b64 v[60:61], v60, v[42:43]
	v_lshrrev_b32_e32 v59, 3, v40
	v_sub_u32_e32 v61, 29, v62
	v_and_b32_e32 v60, 7, v60
	v_cmp_gt_u32_e32 vcc, 8, v40
	v_cndmask_b32_e32 v40, v59, v61, vcc
	v_cndmask_b32_e32 v56, v56, v60, vcc
	v_lshlrev_b32_e32 v42, 24, v42
	v_lshlrev_b32_e32 v56, 20, v56
	v_and_b32_e32 v42, 0x80000000, v42
	v_lshl_add_u32 v40, v40, 23, v55
	v_or3_b32 v59, v42, v40, v56
.LBB647_381:                            ;   in Loop: Header=BB647_215 Depth=1
	s_or_b64 exec, exec, s[16:17]
.LBB647_382:                            ;   in Loop: Header=BB647_215 Depth=1
	s_or_b64 exec, exec, s[14:15]
.LBB647_383:                            ;   in Loop: Header=BB647_215 Depth=1
	s_or_b64 exec, exec, s[12:13]
	s_waitcnt vmcnt(0)
	v_cmp_ne_u16_sdwa s[14:15], v38, v54 src0_sel:BYTE_0 src1_sel:DWORD
	s_and_saveexec_b64 s[12:13], s[14:15]
	s_cbranch_execz .LBB647_389
; %bb.384:                              ;   in Loop: Header=BB647_215 Depth=1
	v_cmp_ne_u16_sdwa s[16:17], v38, s9 src0_sel:BYTE_0 src1_sel:DWORD
	v_bfrev_b32_e32 v58, 1
	s_and_saveexec_b64 s[14:15], s[16:17]
	s_cbranch_execz .LBB647_388
; %bb.385:                              ;   in Loop: Header=BB647_215 Depth=1
	v_and_b32_e32 v40, 0x7f, v38
	v_cmp_ne_u32_e32 vcc, s19, v40
	v_mov_b32_e32 v58, 0x7f800001
	s_and_saveexec_b64 s[16:17], vcc
	s_cbranch_execz .LBB647_387
; %bb.386:                              ;   in Loop: Header=BB647_215 Depth=1
	v_and_b32_e32 v42, 7, v38
	v_ffbh_u32_e32 v58, v42
	v_min_u32_e32 v58, 32, v58
	v_subrev_u32_e32 v60, 28, v58
	v_lshlrev_b64 v[60:61], v60, v[38:39]
	v_lshrrev_b32_e32 v56, 3, v40
	v_sub_u32_e32 v58, 29, v58
	v_and_b32_e32 v60, 7, v60
	v_cmp_gt_u32_e32 vcc, 8, v40
	v_cndmask_b32_e32 v40, v56, v58, vcc
	v_cndmask_b32_e32 v42, v42, v60, vcc
	v_lshlrev_b32_e32 v56, 24, v38
	v_lshlrev_b32_e32 v42, 20, v42
	v_and_b32_e32 v56, 0x80000000, v56
	v_lshl_add_u32 v40, v40, 23, v55
	v_or3_b32 v58, v56, v40, v42
.LBB647_387:                            ;   in Loop: Header=BB647_215 Depth=1
	s_or_b64 exec, exec, s[16:17]
.LBB647_388:                            ;   in Loop: Header=BB647_215 Depth=1
	s_or_b64 exec, exec, s[14:15]
.LBB647_389:                            ;   in Loop: Header=BB647_215 Depth=1
	s_or_b64 exec, exec, s[12:13]
	v_lshrrev_b16_e32 v40, 8, v38
	v_cmp_ne_u16_e32 vcc, 0, v40
	v_mov_b32_e32 v60, 0
	v_mov_b32_e32 v61, 0
	s_and_saveexec_b64 s[12:13], vcc
	s_cbranch_execz .LBB647_395
; %bb.390:                              ;   in Loop: Header=BB647_215 Depth=1
	v_cmp_ne_u16_e32 vcc, s9, v40
	v_bfrev_b32_e32 v61, 1
	s_and_saveexec_b64 s[14:15], vcc
	s_cbranch_execz .LBB647_394
; %bb.391:                              ;   in Loop: Header=BB647_215 Depth=1
	v_and_b32_e32 v42, 0x7f, v40
	v_cmp_ne_u32_e32 vcc, s19, v42
	v_mov_b32_e32 v61, 0x7f800001
	s_and_saveexec_b64 s[16:17], vcc
	s_cbranch_execz .LBB647_393
; %bb.392:                              ;   in Loop: Header=BB647_215 Depth=1
	v_and_b32_e32 v56, 7, v40
	v_ffbh_u32_e32 v62, v56
	v_min_u32_e32 v64, 32, v62
	v_subrev_u32_e32 v62, 28, v64
	v_lshlrev_b64 v[62:63], v62, v[40:41]
	v_lshrrev_b32_e32 v61, 3, v42
	v_sub_u32_e32 v40, 29, v64
	v_and_b32_e32 v62, 7, v62
	v_cmp_gt_u32_e32 vcc, 8, v42
	v_cndmask_b32_e32 v40, v61, v40, vcc
	v_cndmask_b32_e32 v42, v56, v62, vcc
	v_lshlrev_b32_e32 v56, 16, v38
	v_lshlrev_b32_e32 v42, 20, v42
	v_and_b32_e32 v56, 0x80000000, v56
	v_lshl_add_u32 v40, v40, 23, v55
	v_or3_b32 v61, v56, v40, v42
.LBB647_393:                            ;   in Loop: Header=BB647_215 Depth=1
	s_or_b64 exec, exec, s[16:17]
.LBB647_394:                            ;   in Loop: Header=BB647_215 Depth=1
	s_or_b64 exec, exec, s[14:15]
.LBB647_395:                            ;   in Loop: Header=BB647_215 Depth=1
	s_or_b64 exec, exec, s[12:13]
	v_lshrrev_b32_e32 v40, 16, v38
	v_cmp_ne_u16_sdwa s[14:15], v40, v54 src0_sel:BYTE_0 src1_sel:DWORD
	s_and_saveexec_b64 s[12:13], s[14:15]
	s_cbranch_execz .LBB647_401
; %bb.396:                              ;   in Loop: Header=BB647_215 Depth=1
	v_cmp_ne_u16_sdwa s[16:17], v40, s9 src0_sel:BYTE_0 src1_sel:DWORD
	v_bfrev_b32_e32 v60, 1
	s_and_saveexec_b64 s[14:15], s[16:17]
	s_cbranch_execz .LBB647_400
; %bb.397:                              ;   in Loop: Header=BB647_215 Depth=1
	v_bfe_u32 v42, v38, 16, 7
	v_cmp_ne_u32_e32 vcc, s19, v42
	v_mov_b32_e32 v60, 0x7f800001
	s_and_saveexec_b64 s[16:17], vcc
	s_cbranch_execz .LBB647_399
; %bb.398:                              ;   in Loop: Header=BB647_215 Depth=1
	v_and_b32_e32 v56, 7, v40
	v_ffbh_u32_e32 v62, v56
	v_min_u32_e32 v64, 32, v62
	v_subrev_u32_e32 v62, 28, v64
	v_lshlrev_b64 v[62:63], v62, v[40:41]
	v_lshrrev_b32_e32 v60, 3, v42
	v_sub_u32_e32 v63, 29, v64
	v_and_b32_e32 v62, 7, v62
	v_cmp_gt_u32_e32 vcc, 8, v42
	v_cndmask_b32_e32 v42, v60, v63, vcc
	v_cndmask_b32_e32 v56, v56, v62, vcc
	v_lshlrev_b32_e32 v40, 24, v40
	v_lshlrev_b32_e32 v56, 20, v56
	v_and_b32_e32 v40, 0x80000000, v40
	v_lshl_add_u32 v42, v42, 23, v55
	v_or3_b32 v60, v40, v42, v56
.LBB647_399:                            ;   in Loop: Header=BB647_215 Depth=1
	s_or_b64 exec, exec, s[16:17]
.LBB647_400:                            ;   in Loop: Header=BB647_215 Depth=1
	s_or_b64 exec, exec, s[14:15]
.LBB647_401:                            ;   in Loop: Header=BB647_215 Depth=1
	s_or_b64 exec, exec, s[12:13]
	v_cmp_lt_u32_e32 vcc, s20, v38
	v_mov_b32_e32 v56, 0
	v_mov_b32_e32 v62, 0
	s_and_saveexec_b64 s[12:13], vcc
	s_cbranch_execz .LBB647_407
; %bb.402:                              ;   in Loop: Header=BB647_215 Depth=1
	v_lshrrev_b32_e32 v40, 24, v38
	v_cmp_ne_u32_e32 vcc, s9, v40
	v_bfrev_b32_e32 v62, 1
	s_and_saveexec_b64 s[14:15], vcc
	s_cbranch_execz .LBB647_406
; %bb.403:                              ;   in Loop: Header=BB647_215 Depth=1
	v_bfe_u32 v38, v38, 24, 7
	v_cmp_ne_u32_e32 vcc, s19, v38
	v_mov_b32_e32 v62, 0x7f800001
	s_and_saveexec_b64 s[16:17], vcc
	s_cbranch_execz .LBB647_405
; %bb.404:                              ;   in Loop: Header=BB647_215 Depth=1
	v_and_b32_e32 v42, 7, v40
	v_ffbh_u32_e32 v62, v42
	v_min_u32_e32 v65, 32, v62
	v_subrev_u32_e32 v62, 28, v65
	v_lshlrev_b64 v[62:63], v62, v[40:41]
	v_lshrrev_b32_e32 v64, 3, v38
	v_sub_u32_e32 v63, 29, v65
	v_and_b32_e32 v62, 7, v62
	v_cmp_gt_u32_e32 vcc, 8, v38
	v_cndmask_b32_e32 v38, v64, v63, vcc
	v_cndmask_b32_e32 v42, v42, v62, vcc
	v_lshlrev_b32_e32 v40, 24, v40
	v_lshlrev_b32_e32 v42, 20, v42
	v_and_b32_e32 v40, 0x80000000, v40
	v_lshl_add_u32 v38, v38, 23, v55
	v_or3_b32 v62, v40, v38, v42
.LBB647_405:                            ;   in Loop: Header=BB647_215 Depth=1
	s_or_b64 exec, exec, s[16:17]
.LBB647_406:                            ;   in Loop: Header=BB647_215 Depth=1
	s_or_b64 exec, exec, s[14:15]
.LBB647_407:                            ;   in Loop: Header=BB647_215 Depth=1
	s_or_b64 exec, exec, s[12:13]
	v_cvt_pkrtz_f16_f32 v65, v44, v59
	buffer_load_dword v44, v51, s[0:3], 0 offen
	buffer_load_dword v42, v51, s[0:3], 0 offen offset:4
	buffer_load_dword v40, v51, s[0:3], 0 offen offset:8
	;; [unrolled: 1-line block ×3, first 2 shown]
	v_cvt_pkrtz_f16_f32 v64, v46, v57
	v_cvt_pkrtz_f16_f32 v58, v58, v61
	v_cvt_pkrtz_f16_f32 v59, v60, v62
	v_mfma_f32_16x16x16f16 v[34:37], v[64:65], v[14:15], v[34:37]
	s_waitcnt vmcnt(3)
	v_cmp_ne_u16_sdwa s[14:15], v44, v54 src0_sel:BYTE_0 src1_sel:DWORD
	v_mfma_f32_16x16x16f16 v[34:37], v[58:59], v[16:17], v[34:37]
	s_and_saveexec_b64 s[12:13], s[14:15]
	s_cbranch_execz .LBB647_413
; %bb.408:                              ;   in Loop: Header=BB647_215 Depth=1
	v_cmp_ne_u16_sdwa s[16:17], v44, s9 src0_sel:BYTE_0 src1_sel:DWORD
	v_bfrev_b32_e32 v56, 1
	s_and_saveexec_b64 s[14:15], s[16:17]
	s_cbranch_execz .LBB647_412
; %bb.409:                              ;   in Loop: Header=BB647_215 Depth=1
	v_and_b32_e32 v46, 0x7f, v44
	v_cmp_ne_u32_e32 vcc, s19, v46
	v_mov_b32_e32 v56, 0x7f800001
	s_and_saveexec_b64 s[16:17], vcc
	s_cbranch_execz .LBB647_411
; %bb.410:                              ;   in Loop: Header=BB647_215 Depth=1
	v_and_b32_e32 v51, 7, v44
	v_ffbh_u32_e32 v56, v51
	v_min_u32_e32 v59, 32, v56
	v_subrev_u32_e32 v56, 28, v59
	v_lshlrev_b64 v[56:57], v56, v[44:45]
	v_lshrrev_b32_e32 v58, 3, v46
	v_sub_u32_e32 v57, 29, v59
	v_and_b32_e32 v56, 7, v56
	v_cmp_gt_u32_e32 vcc, 8, v46
	v_cndmask_b32_e32 v46, v58, v57, vcc
	v_cndmask_b32_e32 v51, v51, v56, vcc
	v_lshlrev_b32_e32 v56, 24, v44
	v_lshlrev_b32_e32 v51, 20, v51
	v_and_b32_e32 v56, 0x80000000, v56
	v_lshl_add_u32 v46, v46, 23, v55
	v_or3_b32 v56, v56, v46, v51
.LBB647_411:                            ;   in Loop: Header=BB647_215 Depth=1
	s_or_b64 exec, exec, s[16:17]
.LBB647_412:                            ;   in Loop: Header=BB647_215 Depth=1
	s_or_b64 exec, exec, s[14:15]
.LBB647_413:                            ;   in Loop: Header=BB647_215 Depth=1
	s_or_b64 exec, exec, s[12:13]
	v_lshrrev_b16_e32 v46, 8, v44
	v_cmp_ne_u16_e32 vcc, 0, v46
	v_mov_b32_e32 v51, 0
	v_mov_b32_e32 v57, 0
	s_and_saveexec_b64 s[12:13], vcc
	s_cbranch_execz .LBB647_419
; %bb.414:                              ;   in Loop: Header=BB647_215 Depth=1
	v_cmp_ne_u16_e32 vcc, s9, v46
	v_bfrev_b32_e32 v57, 1
	s_and_saveexec_b64 s[14:15], vcc
	s_cbranch_execz .LBB647_418
; %bb.415:                              ;   in Loop: Header=BB647_215 Depth=1
	v_and_b32_e32 v58, 0x7f, v46
	v_cmp_ne_u32_e32 vcc, s19, v58
	v_mov_b32_e32 v57, 0x7f800001
	s_and_saveexec_b64 s[16:17], vcc
	s_cbranch_execz .LBB647_417
; %bb.416:                              ;   in Loop: Header=BB647_215 Depth=1
	v_and_b32_e32 v57, 7, v46
	v_ffbh_u32_e32 v60, v57
	v_min_u32_e32 v62, 32, v60
	v_subrev_u32_e32 v60, 28, v62
	v_lshlrev_b64 v[60:61], v60, v[46:47]
	v_lshrrev_b32_e32 v59, 3, v58
	v_sub_u32_e32 v46, 29, v62
	v_and_b32_e32 v60, 7, v60
	v_cmp_gt_u32_e32 vcc, 8, v58
	v_cndmask_b32_e32 v46, v59, v46, vcc
	v_cndmask_b32_e32 v57, v57, v60, vcc
	v_lshlrev_b32_e32 v58, 16, v44
	v_lshlrev_b32_e32 v57, 20, v57
	v_and_b32_e32 v58, 0x80000000, v58
	v_lshl_add_u32 v46, v46, 23, v55
	v_or3_b32 v57, v58, v46, v57
.LBB647_417:                            ;   in Loop: Header=BB647_215 Depth=1
	s_or_b64 exec, exec, s[16:17]
.LBB647_418:                            ;   in Loop: Header=BB647_215 Depth=1
	s_or_b64 exec, exec, s[14:15]
.LBB647_419:                            ;   in Loop: Header=BB647_215 Depth=1
	s_or_b64 exec, exec, s[12:13]
	v_lshrrev_b32_e32 v46, 16, v44
	v_cmp_ne_u16_sdwa s[14:15], v46, v54 src0_sel:BYTE_0 src1_sel:DWORD
	s_and_saveexec_b64 s[12:13], s[14:15]
	s_cbranch_execz .LBB647_425
; %bb.420:                              ;   in Loop: Header=BB647_215 Depth=1
	v_cmp_ne_u16_sdwa s[16:17], v46, s9 src0_sel:BYTE_0 src1_sel:DWORD
	v_bfrev_b32_e32 v51, 1
	s_and_saveexec_b64 s[14:15], s[16:17]
	s_cbranch_execz .LBB647_424
; %bb.421:                              ;   in Loop: Header=BB647_215 Depth=1
	v_bfe_u32 v58, v44, 16, 7
	v_cmp_ne_u32_e32 vcc, s19, v58
	v_mov_b32_e32 v51, 0x7f800001
	s_and_saveexec_b64 s[16:17], vcc
	s_cbranch_execz .LBB647_423
; %bb.422:                              ;   in Loop: Header=BB647_215 Depth=1
	v_and_b32_e32 v51, 7, v46
	v_ffbh_u32_e32 v60, v51
	v_min_u32_e32 v62, 32, v60
	v_subrev_u32_e32 v60, 28, v62
	v_lshlrev_b64 v[60:61], v60, v[46:47]
	v_lshrrev_b32_e32 v59, 3, v58
	v_sub_u32_e32 v61, 29, v62
	v_and_b32_e32 v60, 7, v60
	v_cmp_gt_u32_e32 vcc, 8, v58
	v_cndmask_b32_e32 v58, v59, v61, vcc
	v_cndmask_b32_e32 v51, v51, v60, vcc
	v_lshlrev_b32_e32 v46, 24, v46
	v_lshlrev_b32_e32 v51, 20, v51
	v_and_b32_e32 v46, 0x80000000, v46
	v_lshl_add_u32 v58, v58, 23, v55
	v_or3_b32 v51, v46, v58, v51
.LBB647_423:                            ;   in Loop: Header=BB647_215 Depth=1
	s_or_b64 exec, exec, s[16:17]
.LBB647_424:                            ;   in Loop: Header=BB647_215 Depth=1
	s_or_b64 exec, exec, s[14:15]
.LBB647_425:                            ;   in Loop: Header=BB647_215 Depth=1
	s_or_b64 exec, exec, s[12:13]
	v_cmp_lt_u32_e32 vcc, s20, v44
	v_mov_b32_e32 v58, 0
	v_mov_b32_e32 v59, 0
	s_and_saveexec_b64 s[12:13], vcc
	s_cbranch_execz .LBB647_431
; %bb.426:                              ;   in Loop: Header=BB647_215 Depth=1
	v_lshrrev_b32_e32 v46, 24, v44
	v_cmp_ne_u32_e32 vcc, s9, v46
	v_bfrev_b32_e32 v59, 1
	s_and_saveexec_b64 s[14:15], vcc
	s_cbranch_execz .LBB647_430
; %bb.427:                              ;   in Loop: Header=BB647_215 Depth=1
	v_bfe_u32 v44, v44, 24, 7
	v_cmp_ne_u32_e32 vcc, s19, v44
	v_mov_b32_e32 v59, 0x7f800001
	s_and_saveexec_b64 s[16:17], vcc
	s_cbranch_execz .LBB647_429
; %bb.428:                              ;   in Loop: Header=BB647_215 Depth=1
	v_and_b32_e32 v59, 7, v46
	v_ffbh_u32_e32 v60, v59
	v_min_u32_e32 v63, 32, v60
	v_subrev_u32_e32 v60, 28, v63
	v_lshlrev_b64 v[60:61], v60, v[46:47]
	v_lshrrev_b32_e32 v62, 3, v44
	v_sub_u32_e32 v61, 29, v63
	v_and_b32_e32 v60, 7, v60
	v_cmp_gt_u32_e32 vcc, 8, v44
	v_cndmask_b32_e32 v44, v62, v61, vcc
	v_cndmask_b32_e32 v59, v59, v60, vcc
	v_lshlrev_b32_e32 v46, 24, v46
	v_lshlrev_b32_e32 v59, 20, v59
	v_and_b32_e32 v46, 0x80000000, v46
	v_lshl_add_u32 v44, v44, 23, v55
	v_or3_b32 v59, v46, v44, v59
.LBB647_429:                            ;   in Loop: Header=BB647_215 Depth=1
	s_or_b64 exec, exec, s[16:17]
.LBB647_430:                            ;   in Loop: Header=BB647_215 Depth=1
	s_or_b64 exec, exec, s[14:15]
.LBB647_431:                            ;   in Loop: Header=BB647_215 Depth=1
	s_or_b64 exec, exec, s[12:13]
	s_waitcnt vmcnt(2)
	v_cmp_ne_u16_sdwa s[14:15], v42, v54 src0_sel:BYTE_0 src1_sel:DWORD
	s_and_saveexec_b64 s[12:13], s[14:15]
	s_cbranch_execz .LBB647_437
; %bb.432:                              ;   in Loop: Header=BB647_215 Depth=1
	v_cmp_ne_u16_sdwa s[16:17], v42, s9 src0_sel:BYTE_0 src1_sel:DWORD
	v_bfrev_b32_e32 v58, 1
	s_and_saveexec_b64 s[14:15], s[16:17]
	s_cbranch_execz .LBB647_436
; %bb.433:                              ;   in Loop: Header=BB647_215 Depth=1
	v_and_b32_e32 v44, 0x7f, v42
	v_cmp_ne_u32_e32 vcc, s19, v44
	v_mov_b32_e32 v58, 0x7f800001
	s_and_saveexec_b64 s[16:17], vcc
	s_cbranch_execz .LBB647_435
; %bb.434:                              ;   in Loop: Header=BB647_215 Depth=1
	v_and_b32_e32 v46, 7, v42
	v_ffbh_u32_e32 v60, v46
	v_min_u32_e32 v62, 32, v60
	v_subrev_u32_e32 v60, 28, v62
	v_lshlrev_b64 v[60:61], v60, v[42:43]
	v_lshrrev_b32_e32 v58, 3, v44
	v_sub_u32_e32 v61, 29, v62
	v_and_b32_e32 v60, 7, v60
	v_cmp_gt_u32_e32 vcc, 8, v44
	v_cndmask_b32_e32 v44, v58, v61, vcc
	v_cndmask_b32_e32 v46, v46, v60, vcc
	v_lshlrev_b32_e32 v58, 24, v42
	v_lshlrev_b32_e32 v46, 20, v46
	v_and_b32_e32 v58, 0x80000000, v58
	v_lshl_add_u32 v44, v44, 23, v55
	v_or3_b32 v58, v58, v44, v46
.LBB647_435:                            ;   in Loop: Header=BB647_215 Depth=1
	s_or_b64 exec, exec, s[16:17]
.LBB647_436:                            ;   in Loop: Header=BB647_215 Depth=1
	s_or_b64 exec, exec, s[14:15]
.LBB647_437:                            ;   in Loop: Header=BB647_215 Depth=1
	s_or_b64 exec, exec, s[12:13]
	v_lshrrev_b16_e32 v44, 8, v42
	v_cmp_ne_u16_e32 vcc, 0, v44
	v_mov_b32_e32 v60, 0
	v_mov_b32_e32 v61, 0
	s_and_saveexec_b64 s[12:13], vcc
	s_cbranch_execz .LBB647_443
; %bb.438:                              ;   in Loop: Header=BB647_215 Depth=1
	v_cmp_ne_u16_e32 vcc, s9, v44
	v_bfrev_b32_e32 v61, 1
	s_and_saveexec_b64 s[14:15], vcc
	s_cbranch_execz .LBB647_442
; %bb.439:                              ;   in Loop: Header=BB647_215 Depth=1
	v_and_b32_e32 v46, 0x7f, v44
	v_cmp_ne_u32_e32 vcc, s19, v46
	v_mov_b32_e32 v61, 0x7f800001
	s_and_saveexec_b64 s[16:17], vcc
	s_cbranch_execz .LBB647_441
; %bb.440:                              ;   in Loop: Header=BB647_215 Depth=1
	v_and_b32_e32 v61, 7, v44
	v_ffbh_u32_e32 v62, v61
	v_min_u32_e32 v65, 32, v62
	v_subrev_u32_e32 v62, 28, v65
	v_lshlrev_b64 v[62:63], v62, v[44:45]
	v_lshrrev_b32_e32 v64, 3, v46
	v_sub_u32_e32 v44, 29, v65
	v_and_b32_e32 v62, 7, v62
	v_cmp_gt_u32_e32 vcc, 8, v46
	v_cndmask_b32_e32 v44, v64, v44, vcc
	v_cndmask_b32_e32 v46, v61, v62, vcc
	v_lshlrev_b32_e32 v61, 16, v42
	v_lshlrev_b32_e32 v46, 20, v46
	v_and_b32_e32 v61, 0x80000000, v61
	v_lshl_add_u32 v44, v44, 23, v55
	v_or3_b32 v61, v61, v44, v46
.LBB647_441:                            ;   in Loop: Header=BB647_215 Depth=1
	s_or_b64 exec, exec, s[16:17]
.LBB647_442:                            ;   in Loop: Header=BB647_215 Depth=1
	s_or_b64 exec, exec, s[14:15]
.LBB647_443:                            ;   in Loop: Header=BB647_215 Depth=1
	s_or_b64 exec, exec, s[12:13]
	v_lshrrev_b32_e32 v44, 16, v42
	v_cmp_ne_u16_sdwa s[14:15], v44, v54 src0_sel:BYTE_0 src1_sel:DWORD
	s_and_saveexec_b64 s[12:13], s[14:15]
	s_cbranch_execz .LBB647_449
; %bb.444:                              ;   in Loop: Header=BB647_215 Depth=1
	v_cmp_ne_u16_sdwa s[16:17], v44, s9 src0_sel:BYTE_0 src1_sel:DWORD
	v_bfrev_b32_e32 v60, 1
	s_and_saveexec_b64 s[14:15], s[16:17]
	s_cbranch_execz .LBB647_448
; %bb.445:                              ;   in Loop: Header=BB647_215 Depth=1
	v_bfe_u32 v46, v42, 16, 7
	v_cmp_ne_u32_e32 vcc, s19, v46
	v_mov_b32_e32 v60, 0x7f800001
	s_and_saveexec_b64 s[16:17], vcc
	s_cbranch_execz .LBB647_447
; %bb.446:                              ;   in Loop: Header=BB647_215 Depth=1
	v_and_b32_e32 v60, 7, v44
	v_ffbh_u32_e32 v62, v60
	v_min_u32_e32 v65, 32, v62
	v_subrev_u32_e32 v62, 28, v65
	v_lshlrev_b64 v[62:63], v62, v[44:45]
	v_lshrrev_b32_e32 v64, 3, v46
	v_sub_u32_e32 v63, 29, v65
	v_and_b32_e32 v62, 7, v62
	v_cmp_gt_u32_e32 vcc, 8, v46
	v_cndmask_b32_e32 v46, v64, v63, vcc
	v_cndmask_b32_e32 v60, v60, v62, vcc
	v_lshlrev_b32_e32 v44, 24, v44
	v_lshlrev_b32_e32 v60, 20, v60
	v_and_b32_e32 v44, 0x80000000, v44
	v_lshl_add_u32 v46, v46, 23, v55
	v_or3_b32 v60, v44, v46, v60
.LBB647_447:                            ;   in Loop: Header=BB647_215 Depth=1
	s_or_b64 exec, exec, s[16:17]
.LBB647_448:                            ;   in Loop: Header=BB647_215 Depth=1
	s_or_b64 exec, exec, s[14:15]
.LBB647_449:                            ;   in Loop: Header=BB647_215 Depth=1
	s_or_b64 exec, exec, s[12:13]
	v_cmp_lt_u32_e32 vcc, s20, v42
	v_mov_b32_e32 v46, 0
	v_mov_b32_e32 v62, 0
	s_and_saveexec_b64 s[12:13], vcc
	s_cbranch_execz .LBB647_455
; %bb.450:                              ;   in Loop: Header=BB647_215 Depth=1
	v_lshrrev_b32_e32 v44, 24, v42
	v_cmp_ne_u32_e32 vcc, s9, v44
	v_bfrev_b32_e32 v62, 1
	s_and_saveexec_b64 s[14:15], vcc
	s_cbranch_execz .LBB647_454
; %bb.451:                              ;   in Loop: Header=BB647_215 Depth=1
	v_bfe_u32 v42, v42, 24, 7
	v_cmp_ne_u32_e32 vcc, s19, v42
	v_mov_b32_e32 v62, 0x7f800001
	s_and_saveexec_b64 s[16:17], vcc
	s_cbranch_execz .LBB647_453
; %bb.452:                              ;   in Loop: Header=BB647_215 Depth=1
	v_and_b32_e32 v64, 7, v44
	v_ffbh_u32_e32 v62, v64
	v_min_u32_e32 v66, 32, v62
	v_subrev_u32_e32 v62, 28, v66
	v_lshlrev_b64 v[62:63], v62, v[44:45]
	v_lshrrev_b32_e32 v65, 3, v42
	v_sub_u32_e32 v63, 29, v66
	v_and_b32_e32 v62, 7, v62
	v_cmp_gt_u32_e32 vcc, 8, v42
	v_cndmask_b32_e32 v42, v65, v63, vcc
	v_cndmask_b32_e32 v62, v64, v62, vcc
	v_lshlrev_b32_e32 v44, 24, v44
	v_lshlrev_b32_e32 v62, 20, v62
	v_and_b32_e32 v44, 0x80000000, v44
	v_lshl_add_u32 v42, v42, 23, v55
	v_or3_b32 v62, v44, v42, v62
.LBB647_453:                            ;   in Loop: Header=BB647_215 Depth=1
	s_or_b64 exec, exec, s[16:17]
.LBB647_454:                            ;   in Loop: Header=BB647_215 Depth=1
	s_or_b64 exec, exec, s[14:15]
.LBB647_455:                            ;   in Loop: Header=BB647_215 Depth=1
	s_or_b64 exec, exec, s[12:13]
	v_cvt_pkrtz_f16_f32 v56, v56, v57
	v_cvt_pkrtz_f16_f32 v57, v51, v59
	s_waitcnt vmcnt(1)
	v_cmp_ne_u16_sdwa s[14:15], v40, v54 src0_sel:BYTE_0 src1_sel:DWORD
	v_mfma_f32_16x16x16f16 v[34:37], v[56:57], v[18:19], v[34:37]
	v_cvt_pkrtz_f16_f32 v56, v58, v61
	v_cvt_pkrtz_f16_f32 v57, v60, v62
	s_nop 1
	v_mfma_f32_16x16x16f16 v[34:37], v[56:57], v[20:21], v[34:37]
	s_and_saveexec_b64 s[12:13], s[14:15]
	s_cbranch_execz .LBB647_461
; %bb.456:                              ;   in Loop: Header=BB647_215 Depth=1
	v_cmp_ne_u16_sdwa s[16:17], v40, s9 src0_sel:BYTE_0 src1_sel:DWORD
	v_bfrev_b32_e32 v46, 1
	s_and_saveexec_b64 s[14:15], s[16:17]
	s_cbranch_execz .LBB647_460
; %bb.457:                              ;   in Loop: Header=BB647_215 Depth=1
	v_and_b32_e32 v42, 0x7f, v40
	v_cmp_ne_u32_e32 vcc, s19, v42
	v_mov_b32_e32 v46, 0x7f800001
	s_and_saveexec_b64 s[16:17], vcc
	s_cbranch_execz .LBB647_459
; %bb.458:                              ;   in Loop: Header=BB647_215 Depth=1
	v_and_b32_e32 v44, 7, v40
	v_ffbh_u32_e32 v51, v44
	v_min_u32_e32 v51, 32, v51
	v_subrev_u32_e32 v56, 28, v51
	v_lshlrev_b64 v[56:57], v56, v[40:41]
	v_lshrrev_b32_e32 v46, 3, v42
	v_sub_u32_e32 v51, 29, v51
	v_and_b32_e32 v56, 7, v56
	v_cmp_gt_u32_e32 vcc, 8, v42
	v_cndmask_b32_e32 v42, v46, v51, vcc
	v_cndmask_b32_e32 v44, v44, v56, vcc
	v_lshlrev_b32_e32 v46, 24, v40
	v_lshlrev_b32_e32 v44, 20, v44
	v_and_b32_e32 v46, 0x80000000, v46
	v_lshl_add_u32 v42, v42, 23, v55
	v_or3_b32 v46, v46, v42, v44
.LBB647_459:                            ;   in Loop: Header=BB647_215 Depth=1
	s_or_b64 exec, exec, s[16:17]
.LBB647_460:                            ;   in Loop: Header=BB647_215 Depth=1
	s_or_b64 exec, exec, s[14:15]
.LBB647_461:                            ;   in Loop: Header=BB647_215 Depth=1
	s_or_b64 exec, exec, s[12:13]
	v_lshrrev_b16_e32 v42, 8, v40
	v_cmp_ne_u16_e32 vcc, 0, v42
	v_mov_b32_e32 v44, 0
	v_mov_b32_e32 v56, 0
	s_and_saveexec_b64 s[12:13], vcc
	s_cbranch_execz .LBB647_467
; %bb.462:                              ;   in Loop: Header=BB647_215 Depth=1
	v_cmp_ne_u16_e32 vcc, s9, v42
	v_bfrev_b32_e32 v56, 1
	s_and_saveexec_b64 s[14:15], vcc
	s_cbranch_execz .LBB647_466
; %bb.463:                              ;   in Loop: Header=BB647_215 Depth=1
	v_and_b32_e32 v51, 0x7f, v42
	v_cmp_ne_u32_e32 vcc, s19, v51
	v_mov_b32_e32 v56, 0x7f800001
	s_and_saveexec_b64 s[16:17], vcc
	s_cbranch_execz .LBB647_465
; %bb.464:                              ;   in Loop: Header=BB647_215 Depth=1
	v_and_b32_e32 v58, 7, v42
	v_ffbh_u32_e32 v56, v58
	v_min_u32_e32 v60, 32, v56
	v_subrev_u32_e32 v56, 28, v60
	v_lshlrev_b64 v[56:57], v56, v[42:43]
	v_lshrrev_b32_e32 v59, 3, v51
	v_sub_u32_e32 v42, 29, v60
	v_and_b32_e32 v56, 7, v56
	v_cmp_gt_u32_e32 vcc, 8, v51
	v_cndmask_b32_e32 v42, v59, v42, vcc
	v_cndmask_b32_e32 v51, v58, v56, vcc
	v_lshlrev_b32_e32 v56, 16, v40
	v_lshlrev_b32_e32 v51, 20, v51
	v_and_b32_e32 v56, 0x80000000, v56
	v_lshl_add_u32 v42, v42, 23, v55
	v_or3_b32 v56, v56, v42, v51
.LBB647_465:                            ;   in Loop: Header=BB647_215 Depth=1
	s_or_b64 exec, exec, s[16:17]
.LBB647_466:                            ;   in Loop: Header=BB647_215 Depth=1
	s_or_b64 exec, exec, s[14:15]
.LBB647_467:                            ;   in Loop: Header=BB647_215 Depth=1
	s_or_b64 exec, exec, s[12:13]
	v_lshrrev_b32_e32 v42, 16, v40
	v_cmp_ne_u16_sdwa s[14:15], v42, v54 src0_sel:BYTE_0 src1_sel:DWORD
	s_and_saveexec_b64 s[12:13], s[14:15]
	s_cbranch_execz .LBB647_473
; %bb.468:                              ;   in Loop: Header=BB647_215 Depth=1
	v_cmp_ne_u16_sdwa s[16:17], v42, s9 src0_sel:BYTE_0 src1_sel:DWORD
	v_bfrev_b32_e32 v44, 1
	s_and_saveexec_b64 s[14:15], s[16:17]
	s_cbranch_execz .LBB647_472
; %bb.469:                              ;   in Loop: Header=BB647_215 Depth=1
	v_bfe_u32 v51, v40, 16, 7
	v_cmp_ne_u32_e32 vcc, s19, v51
	v_mov_b32_e32 v44, 0x7f800001
	s_and_saveexec_b64 s[16:17], vcc
	s_cbranch_execz .LBB647_471
; %bb.470:                              ;   in Loop: Header=BB647_215 Depth=1
	v_and_b32_e32 v44, 7, v42
	v_ffbh_u32_e32 v58, v44
	v_min_u32_e32 v60, 32, v58
	v_subrev_u32_e32 v58, 28, v60
	v_lshlrev_b64 v[58:59], v58, v[42:43]
	v_lshrrev_b32_e32 v57, 3, v51
	v_sub_u32_e32 v59, 29, v60
	v_and_b32_e32 v58, 7, v58
	v_cmp_gt_u32_e32 vcc, 8, v51
	v_cndmask_b32_e32 v51, v57, v59, vcc
	v_cndmask_b32_e32 v44, v44, v58, vcc
	v_lshlrev_b32_e32 v42, 24, v42
	v_lshlrev_b32_e32 v44, 20, v44
	v_and_b32_e32 v42, 0x80000000, v42
	v_lshl_add_u32 v51, v51, 23, v55
	v_or3_b32 v44, v42, v51, v44
.LBB647_471:                            ;   in Loop: Header=BB647_215 Depth=1
	s_or_b64 exec, exec, s[16:17]
.LBB647_472:                            ;   in Loop: Header=BB647_215 Depth=1
	s_or_b64 exec, exec, s[14:15]
.LBB647_473:                            ;   in Loop: Header=BB647_215 Depth=1
	s_or_b64 exec, exec, s[12:13]
	v_cmp_lt_u32_e32 vcc, s20, v40
	v_mov_b32_e32 v57, 0
	v_mov_b32_e32 v58, 0
	s_and_saveexec_b64 s[12:13], vcc
	s_cbranch_execz .LBB647_479
; %bb.474:                              ;   in Loop: Header=BB647_215 Depth=1
	v_lshrrev_b32_e32 v42, 24, v40
	v_cmp_ne_u32_e32 vcc, s9, v42
	v_bfrev_b32_e32 v58, 1
	s_and_saveexec_b64 s[14:15], vcc
	s_cbranch_execz .LBB647_478
; %bb.475:                              ;   in Loop: Header=BB647_215 Depth=1
	v_bfe_u32 v40, v40, 24, 7
	v_cmp_ne_u32_e32 vcc, s19, v40
	v_mov_b32_e32 v58, 0x7f800001
	s_and_saveexec_b64 s[16:17], vcc
	s_cbranch_execz .LBB647_477
; %bb.476:                              ;   in Loop: Header=BB647_215 Depth=1
	v_and_b32_e32 v51, 7, v42
	v_ffbh_u32_e32 v58, v51
	v_min_u32_e32 v61, 32, v58
	v_subrev_u32_e32 v58, 28, v61
	v_lshlrev_b64 v[58:59], v58, v[42:43]
	v_lshrrev_b32_e32 v60, 3, v40
	v_sub_u32_e32 v59, 29, v61
	v_and_b32_e32 v58, 7, v58
	v_cmp_gt_u32_e32 vcc, 8, v40
	v_cndmask_b32_e32 v40, v60, v59, vcc
	v_cndmask_b32_e32 v51, v51, v58, vcc
	v_lshlrev_b32_e32 v42, 24, v42
	v_lshlrev_b32_e32 v51, 20, v51
	v_and_b32_e32 v42, 0x80000000, v42
	v_lshl_add_u32 v40, v40, 23, v55
	v_or3_b32 v58, v42, v40, v51
.LBB647_477:                            ;   in Loop: Header=BB647_215 Depth=1
	s_or_b64 exec, exec, s[16:17]
.LBB647_478:                            ;   in Loop: Header=BB647_215 Depth=1
	s_or_b64 exec, exec, s[14:15]
.LBB647_479:                            ;   in Loop: Header=BB647_215 Depth=1
	s_or_b64 exec, exec, s[12:13]
	s_waitcnt vmcnt(0)
	v_cmp_ne_u16_sdwa s[14:15], v38, v54 src0_sel:BYTE_0 src1_sel:DWORD
	s_and_saveexec_b64 s[12:13], s[14:15]
	s_cbranch_execz .LBB647_485
; %bb.480:                              ;   in Loop: Header=BB647_215 Depth=1
	v_cmp_ne_u16_sdwa s[16:17], v38, s9 src0_sel:BYTE_0 src1_sel:DWORD
	v_bfrev_b32_e32 v57, 1
	s_and_saveexec_b64 s[14:15], s[16:17]
	s_cbranch_execz .LBB647_484
; %bb.481:                              ;   in Loop: Header=BB647_215 Depth=1
	v_and_b32_e32 v40, 0x7f, v38
	v_cmp_ne_u32_e32 vcc, s19, v40
	v_mov_b32_e32 v57, 0x7f800001
	s_and_saveexec_b64 s[16:17], vcc
	s_cbranch_execz .LBB647_483
; %bb.482:                              ;   in Loop: Header=BB647_215 Depth=1
	v_and_b32_e32 v42, 7, v38
	v_ffbh_u32_e32 v57, v42
	v_min_u32_e32 v57, 32, v57
	v_subrev_u32_e32 v59, 28, v57
	v_lshlrev_b64 v[60:61], v59, v[38:39]
	v_lshrrev_b32_e32 v51, 3, v40
	v_sub_u32_e32 v57, 29, v57
	v_and_b32_e32 v59, 7, v60
	v_cmp_gt_u32_e32 vcc, 8, v40
	v_cndmask_b32_e32 v40, v51, v57, vcc
	v_cndmask_b32_e32 v42, v42, v59, vcc
	v_lshlrev_b32_e32 v51, 24, v38
	v_lshlrev_b32_e32 v42, 20, v42
	v_and_b32_e32 v51, 0x80000000, v51
	v_lshl_add_u32 v40, v40, 23, v55
	v_or3_b32 v57, v51, v40, v42
.LBB647_483:                            ;   in Loop: Header=BB647_215 Depth=1
	s_or_b64 exec, exec, s[16:17]
.LBB647_484:                            ;   in Loop: Header=BB647_215 Depth=1
	s_or_b64 exec, exec, s[14:15]
.LBB647_485:                            ;   in Loop: Header=BB647_215 Depth=1
	s_or_b64 exec, exec, s[12:13]
	v_lshrrev_b16_e32 v40, 8, v38
	v_cmp_ne_u16_e32 vcc, 0, v40
	v_mov_b32_e32 v59, 0
	v_mov_b32_e32 v60, 0
	s_and_saveexec_b64 s[12:13], vcc
	s_cbranch_execz .LBB647_491
; %bb.486:                              ;   in Loop: Header=BB647_215 Depth=1
	v_cmp_ne_u16_e32 vcc, s9, v40
	v_bfrev_b32_e32 v60, 1
	s_and_saveexec_b64 s[14:15], vcc
	s_cbranch_execz .LBB647_490
; %bb.487:                              ;   in Loop: Header=BB647_215 Depth=1
	v_and_b32_e32 v42, 0x7f, v40
	v_cmp_ne_u32_e32 vcc, s19, v42
	v_mov_b32_e32 v60, 0x7f800001
	s_and_saveexec_b64 s[16:17], vcc
	s_cbranch_execz .LBB647_489
; %bb.488:                              ;   in Loop: Header=BB647_215 Depth=1
	v_and_b32_e32 v51, 7, v40
	v_ffbh_u32_e32 v60, v51
	v_min_u32_e32 v63, 32, v60
	v_subrev_u32_e32 v60, 28, v63
	v_lshlrev_b64 v[60:61], v60, v[40:41]
	v_lshrrev_b32_e32 v62, 3, v42
	v_sub_u32_e32 v40, 29, v63
	v_and_b32_e32 v60, 7, v60
	v_cmp_gt_u32_e32 vcc, 8, v42
	v_cndmask_b32_e32 v40, v62, v40, vcc
	v_cndmask_b32_e32 v42, v51, v60, vcc
	v_lshlrev_b32_e32 v51, 16, v38
	v_lshlrev_b32_e32 v42, 20, v42
	v_and_b32_e32 v51, 0x80000000, v51
	v_lshl_add_u32 v40, v40, 23, v55
	v_or3_b32 v60, v51, v40, v42
.LBB647_489:                            ;   in Loop: Header=BB647_215 Depth=1
	s_or_b64 exec, exec, s[16:17]
.LBB647_490:                            ;   in Loop: Header=BB647_215 Depth=1
	s_or_b64 exec, exec, s[14:15]
.LBB647_491:                            ;   in Loop: Header=BB647_215 Depth=1
	s_or_b64 exec, exec, s[12:13]
	v_lshrrev_b32_e32 v40, 16, v38
	v_cmp_ne_u16_sdwa s[14:15], v40, v54 src0_sel:BYTE_0 src1_sel:DWORD
	s_and_saveexec_b64 s[12:13], s[14:15]
	s_cbranch_execz .LBB647_497
; %bb.492:                              ;   in Loop: Header=BB647_215 Depth=1
	v_cmp_ne_u16_sdwa s[16:17], v40, s9 src0_sel:BYTE_0 src1_sel:DWORD
	v_bfrev_b32_e32 v59, 1
	s_and_saveexec_b64 s[14:15], s[16:17]
	s_cbranch_execz .LBB647_496
; %bb.493:                              ;   in Loop: Header=BB647_215 Depth=1
	v_bfe_u32 v42, v38, 16, 7
	v_cmp_ne_u32_e32 vcc, s19, v42
	v_mov_b32_e32 v59, 0x7f800001
	s_and_saveexec_b64 s[16:17], vcc
	s_cbranch_execz .LBB647_495
; %bb.494:                              ;   in Loop: Header=BB647_215 Depth=1
	v_and_b32_e32 v51, 7, v40
	v_ffbh_u32_e32 v61, v51
	v_min_u32_e32 v61, 32, v61
	v_subrev_u32_e32 v62, 28, v61
	v_lshlrev_b64 v[62:63], v62, v[40:41]
	v_lshrrev_b32_e32 v59, 3, v42
	v_sub_u32_e32 v61, 29, v61
	v_and_b32_e32 v62, 7, v62
	v_cmp_gt_u32_e32 vcc, 8, v42
	v_cndmask_b32_e32 v42, v59, v61, vcc
	v_cndmask_b32_e32 v51, v51, v62, vcc
	v_lshlrev_b32_e32 v40, 24, v40
	v_lshlrev_b32_e32 v51, 20, v51
	v_and_b32_e32 v40, 0x80000000, v40
	v_lshl_add_u32 v42, v42, 23, v55
	v_or3_b32 v59, v40, v42, v51
.LBB647_495:                            ;   in Loop: Header=BB647_215 Depth=1
	s_or_b64 exec, exec, s[16:17]
.LBB647_496:                            ;   in Loop: Header=BB647_215 Depth=1
	s_or_b64 exec, exec, s[14:15]
.LBB647_497:                            ;   in Loop: Header=BB647_215 Depth=1
	s_or_b64 exec, exec, s[12:13]
	v_cmp_lt_u32_e32 vcc, s20, v38
	v_mov_b32_e32 v51, 0
	v_mov_b32_e32 v61, 0
	s_and_saveexec_b64 s[12:13], vcc
	s_cbranch_execz .LBB647_503
; %bb.498:                              ;   in Loop: Header=BB647_215 Depth=1
	v_lshrrev_b32_e32 v40, 24, v38
	v_cmp_ne_u32_e32 vcc, s9, v40
	v_bfrev_b32_e32 v61, 1
	s_and_saveexec_b64 s[14:15], vcc
	s_cbranch_execz .LBB647_502
; %bb.499:                              ;   in Loop: Header=BB647_215 Depth=1
	v_bfe_u32 v38, v38, 24, 7
	v_cmp_ne_u32_e32 vcc, s19, v38
	v_mov_b32_e32 v61, 0x7f800001
	s_and_saveexec_b64 s[16:17], vcc
	s_cbranch_execz .LBB647_501
; %bb.500:                              ;   in Loop: Header=BB647_215 Depth=1
	v_and_b32_e32 v42, 7, v40
	v_ffbh_u32_e32 v62, v42
	v_min_u32_e32 v64, 32, v62
	v_subrev_u32_e32 v62, 28, v64
	v_lshlrev_b64 v[62:63], v62, v[40:41]
	v_lshrrev_b32_e32 v61, 3, v38
	v_sub_u32_e32 v63, 29, v64
	v_and_b32_e32 v62, 7, v62
	v_cmp_gt_u32_e32 vcc, 8, v38
	v_cndmask_b32_e32 v38, v61, v63, vcc
	v_cndmask_b32_e32 v42, v42, v62, vcc
	v_lshlrev_b32_e32 v40, 24, v40
	v_lshlrev_b32_e32 v42, 20, v42
	v_and_b32_e32 v40, 0x80000000, v40
	v_lshl_add_u32 v38, v38, 23, v55
	v_or3_b32 v61, v40, v38, v42
.LBB647_501:                            ;   in Loop: Header=BB647_215 Depth=1
	s_or_b64 exec, exec, s[16:17]
.LBB647_502:                            ;   in Loop: Header=BB647_215 Depth=1
	s_or_b64 exec, exec, s[14:15]
.LBB647_503:                            ;   in Loop: Header=BB647_215 Depth=1
	s_or_b64 exec, exec, s[12:13]
	v_cvt_pkrtz_f16_f32 v63, v44, v58
	buffer_load_dword v44, v50, s[0:3], 0 offen
	buffer_load_dword v42, v50, s[0:3], 0 offen offset:4
	buffer_load_dword v40, v50, s[0:3], 0 offen offset:8
	;; [unrolled: 1-line block ×3, first 2 shown]
	v_cvt_pkrtz_f16_f32 v62, v46, v56
	v_cvt_pkrtz_f16_f32 v56, v57, v60
	;; [unrolled: 1-line block ×3, first 2 shown]
	v_mfma_f32_16x16x16f16 v[34:37], v[62:63], v[22:23], v[34:37]
	s_waitcnt vmcnt(3)
	v_cmp_ne_u16_sdwa s[14:15], v44, v54 src0_sel:BYTE_0 src1_sel:DWORD
	v_mfma_f32_16x16x16f16 v[34:37], v[56:57], v[24:25], v[34:37]
	s_and_saveexec_b64 s[12:13], s[14:15]
	s_cbranch_execz .LBB647_509
; %bb.504:                              ;   in Loop: Header=BB647_215 Depth=1
	v_cmp_ne_u16_sdwa s[16:17], v44, s9 src0_sel:BYTE_0 src1_sel:DWORD
	v_bfrev_b32_e32 v51, 1
	s_and_saveexec_b64 s[14:15], s[16:17]
	s_cbranch_execz .LBB647_508
; %bb.505:                              ;   in Loop: Header=BB647_215 Depth=1
	v_and_b32_e32 v46, 0x7f, v44
	v_cmp_ne_u32_e32 vcc, s19, v46
	v_mov_b32_e32 v51, 0x7f800001
	s_and_saveexec_b64 s[16:17], vcc
	s_cbranch_execz .LBB647_507
; %bb.506:                              ;   in Loop: Header=BB647_215 Depth=1
	v_and_b32_e32 v56, 7, v44
	v_ffbh_u32_e32 v50, v56
	v_min_u32_e32 v58, 32, v50
	v_subrev_u32_e32 v50, 28, v58
	v_lshlrev_b64 v[50:51], v50, v[44:45]
	v_lshrrev_b32_e32 v57, 3, v46
	v_sub_u32_e32 v51, 29, v58
	v_and_b32_e32 v50, 7, v50
	v_cmp_gt_u32_e32 vcc, 8, v46
	v_cndmask_b32_e32 v46, v57, v51, vcc
	v_cndmask_b32_e32 v50, v56, v50, vcc
	v_lshlrev_b32_e32 v51, 24, v44
	v_lshlrev_b32_e32 v50, 20, v50
	v_and_b32_e32 v51, 0x80000000, v51
	v_lshl_add_u32 v46, v46, 23, v55
	v_or3_b32 v51, v51, v46, v50
.LBB647_507:                            ;   in Loop: Header=BB647_215 Depth=1
	s_or_b64 exec, exec, s[16:17]
.LBB647_508:                            ;   in Loop: Header=BB647_215 Depth=1
	s_or_b64 exec, exec, s[14:15]
.LBB647_509:                            ;   in Loop: Header=BB647_215 Depth=1
	s_or_b64 exec, exec, s[12:13]
	v_lshrrev_b16_e32 v46, 8, v44
	v_cmp_ne_u16_e32 vcc, 0, v46
	v_mov_b32_e32 v50, 0
	v_mov_b32_e32 v56, 0
	s_and_saveexec_b64 s[12:13], vcc
	s_cbranch_execz .LBB647_515
; %bb.510:                              ;   in Loop: Header=BB647_215 Depth=1
	v_cmp_ne_u16_e32 vcc, s9, v46
	v_bfrev_b32_e32 v56, 1
	s_and_saveexec_b64 s[14:15], vcc
	s_cbranch_execz .LBB647_514
; %bb.511:                              ;   in Loop: Header=BB647_215 Depth=1
	v_and_b32_e32 v57, 0x7f, v46
	v_cmp_ne_u32_e32 vcc, s19, v57
	v_mov_b32_e32 v56, 0x7f800001
	s_and_saveexec_b64 s[16:17], vcc
	s_cbranch_execz .LBB647_513
; %bb.512:                              ;   in Loop: Header=BB647_215 Depth=1
	v_and_b32_e32 v56, 7, v46
	v_ffbh_u32_e32 v58, v56
	v_min_u32_e32 v61, 32, v58
	v_subrev_u32_e32 v58, 28, v61
	v_lshlrev_b64 v[58:59], v58, v[46:47]
	v_lshrrev_b32_e32 v60, 3, v57
	v_sub_u32_e32 v46, 29, v61
	v_and_b32_e32 v58, 7, v58
	v_cmp_gt_u32_e32 vcc, 8, v57
	v_cndmask_b32_e32 v46, v60, v46, vcc
	v_cndmask_b32_e32 v56, v56, v58, vcc
	v_lshlrev_b32_e32 v57, 16, v44
	v_lshlrev_b32_e32 v56, 20, v56
	v_and_b32_e32 v57, 0x80000000, v57
	v_lshl_add_u32 v46, v46, 23, v55
	v_or3_b32 v56, v57, v46, v56
.LBB647_513:                            ;   in Loop: Header=BB647_215 Depth=1
	s_or_b64 exec, exec, s[16:17]
.LBB647_514:                            ;   in Loop: Header=BB647_215 Depth=1
	s_or_b64 exec, exec, s[14:15]
.LBB647_515:                            ;   in Loop: Header=BB647_215 Depth=1
	s_or_b64 exec, exec, s[12:13]
	v_lshrrev_b32_e32 v46, 16, v44
	v_cmp_ne_u16_sdwa s[14:15], v46, v54 src0_sel:BYTE_0 src1_sel:DWORD
	s_and_saveexec_b64 s[12:13], s[14:15]
	s_cbranch_execz .LBB647_521
; %bb.516:                              ;   in Loop: Header=BB647_215 Depth=1
	v_cmp_ne_u16_sdwa s[16:17], v46, s9 src0_sel:BYTE_0 src1_sel:DWORD
	v_bfrev_b32_e32 v50, 1
	s_and_saveexec_b64 s[14:15], s[16:17]
	s_cbranch_execz .LBB647_520
; %bb.517:                              ;   in Loop: Header=BB647_215 Depth=1
	v_bfe_u32 v57, v44, 16, 7
	v_cmp_ne_u32_e32 vcc, s19, v57
	v_mov_b32_e32 v50, 0x7f800001
	s_and_saveexec_b64 s[16:17], vcc
	s_cbranch_execz .LBB647_519
; %bb.518:                              ;   in Loop: Header=BB647_215 Depth=1
	v_and_b32_e32 v50, 7, v46
	v_ffbh_u32_e32 v58, v50
	v_min_u32_e32 v61, 32, v58
	v_subrev_u32_e32 v58, 28, v61
	v_lshlrev_b64 v[58:59], v58, v[46:47]
	v_lshrrev_b32_e32 v60, 3, v57
	v_sub_u32_e32 v59, 29, v61
	v_and_b32_e32 v58, 7, v58
	v_cmp_gt_u32_e32 vcc, 8, v57
	v_cndmask_b32_e32 v57, v60, v59, vcc
	v_cndmask_b32_e32 v50, v50, v58, vcc
	v_lshlrev_b32_e32 v46, 24, v46
	v_lshlrev_b32_e32 v50, 20, v50
	v_and_b32_e32 v46, 0x80000000, v46
	v_lshl_add_u32 v57, v57, 23, v55
	v_or3_b32 v50, v46, v57, v50
.LBB647_519:                            ;   in Loop: Header=BB647_215 Depth=1
	s_or_b64 exec, exec, s[16:17]
.LBB647_520:                            ;   in Loop: Header=BB647_215 Depth=1
	s_or_b64 exec, exec, s[14:15]
.LBB647_521:                            ;   in Loop: Header=BB647_215 Depth=1
	s_or_b64 exec, exec, s[12:13]
	v_cmp_lt_u32_e32 vcc, s20, v44
	v_mov_b32_e32 v57, 0
	v_mov_b32_e32 v58, 0
	s_and_saveexec_b64 s[12:13], vcc
	s_cbranch_execz .LBB647_527
; %bb.522:                              ;   in Loop: Header=BB647_215 Depth=1
	v_lshrrev_b32_e32 v46, 24, v44
	v_cmp_ne_u32_e32 vcc, s9, v46
	v_bfrev_b32_e32 v58, 1
	s_and_saveexec_b64 s[14:15], vcc
	s_cbranch_execz .LBB647_526
; %bb.523:                              ;   in Loop: Header=BB647_215 Depth=1
	v_bfe_u32 v44, v44, 24, 7
	v_cmp_ne_u32_e32 vcc, s19, v44
	v_mov_b32_e32 v58, 0x7f800001
	s_and_saveexec_b64 s[16:17], vcc
	s_cbranch_execz .LBB647_525
; %bb.524:                              ;   in Loop: Header=BB647_215 Depth=1
	v_and_b32_e32 v60, 7, v46
	v_ffbh_u32_e32 v58, v60
	v_min_u32_e32 v62, 32, v58
	v_subrev_u32_e32 v58, 28, v62
	v_lshlrev_b64 v[58:59], v58, v[46:47]
	v_lshrrev_b32_e32 v61, 3, v44
	v_sub_u32_e32 v59, 29, v62
	v_and_b32_e32 v58, 7, v58
	v_cmp_gt_u32_e32 vcc, 8, v44
	v_cndmask_b32_e32 v44, v61, v59, vcc
	v_cndmask_b32_e32 v58, v60, v58, vcc
	v_lshlrev_b32_e32 v46, 24, v46
	v_lshlrev_b32_e32 v58, 20, v58
	v_and_b32_e32 v46, 0x80000000, v46
	v_lshl_add_u32 v44, v44, 23, v55
	v_or3_b32 v58, v46, v44, v58
.LBB647_525:                            ;   in Loop: Header=BB647_215 Depth=1
	s_or_b64 exec, exec, s[16:17]
.LBB647_526:                            ;   in Loop: Header=BB647_215 Depth=1
	s_or_b64 exec, exec, s[14:15]
.LBB647_527:                            ;   in Loop: Header=BB647_215 Depth=1
	s_or_b64 exec, exec, s[12:13]
	s_waitcnt vmcnt(2)
	v_cmp_ne_u16_sdwa s[14:15], v42, v54 src0_sel:BYTE_0 src1_sel:DWORD
	s_and_saveexec_b64 s[12:13], s[14:15]
	s_cbranch_execz .LBB647_533
; %bb.528:                              ;   in Loop: Header=BB647_215 Depth=1
	v_cmp_ne_u16_sdwa s[16:17], v42, s9 src0_sel:BYTE_0 src1_sel:DWORD
	v_bfrev_b32_e32 v57, 1
	s_and_saveexec_b64 s[14:15], s[16:17]
	s_cbranch_execz .LBB647_532
; %bb.529:                              ;   in Loop: Header=BB647_215 Depth=1
	v_and_b32_e32 v44, 0x7f, v42
	v_cmp_ne_u32_e32 vcc, s19, v44
	v_mov_b32_e32 v57, 0x7f800001
	s_and_saveexec_b64 s[16:17], vcc
	s_cbranch_execz .LBB647_531
; %bb.530:                              ;   in Loop: Header=BB647_215 Depth=1
	v_and_b32_e32 v46, 7, v42
	v_ffbh_u32_e32 v59, v46
	v_min_u32_e32 v59, 32, v59
	v_subrev_u32_e32 v60, 28, v59
	v_lshlrev_b64 v[60:61], v60, v[42:43]
	v_lshrrev_b32_e32 v57, 3, v44
	v_sub_u32_e32 v59, 29, v59
	v_and_b32_e32 v60, 7, v60
	v_cmp_gt_u32_e32 vcc, 8, v44
	v_cndmask_b32_e32 v44, v57, v59, vcc
	v_cndmask_b32_e32 v46, v46, v60, vcc
	v_lshlrev_b32_e32 v57, 24, v42
	v_lshlrev_b32_e32 v46, 20, v46
	v_and_b32_e32 v57, 0x80000000, v57
	v_lshl_add_u32 v44, v44, 23, v55
	v_or3_b32 v57, v57, v44, v46
.LBB647_531:                            ;   in Loop: Header=BB647_215 Depth=1
	s_or_b64 exec, exec, s[16:17]
.LBB647_532:                            ;   in Loop: Header=BB647_215 Depth=1
	s_or_b64 exec, exec, s[14:15]
.LBB647_533:                            ;   in Loop: Header=BB647_215 Depth=1
	s_or_b64 exec, exec, s[12:13]
	v_lshrrev_b16_e32 v44, 8, v42
	v_cmp_ne_u16_e32 vcc, 0, v44
	v_mov_b32_e32 v59, 0
	v_mov_b32_e32 v60, 0
	s_and_saveexec_b64 s[12:13], vcc
	s_cbranch_execz .LBB647_539
; %bb.534:                              ;   in Loop: Header=BB647_215 Depth=1
	v_cmp_ne_u16_e32 vcc, s9, v44
	v_bfrev_b32_e32 v60, 1
	s_and_saveexec_b64 s[14:15], vcc
	s_cbranch_execz .LBB647_538
; %bb.535:                              ;   in Loop: Header=BB647_215 Depth=1
	v_and_b32_e32 v46, 0x7f, v44
	v_cmp_ne_u32_e32 vcc, s19, v46
	v_mov_b32_e32 v60, 0x7f800001
	s_and_saveexec_b64 s[16:17], vcc
	s_cbranch_execz .LBB647_537
; %bb.536:                              ;   in Loop: Header=BB647_215 Depth=1
	v_and_b32_e32 v62, 7, v44
	v_ffbh_u32_e32 v60, v62
	v_min_u32_e32 v64, 32, v60
	v_subrev_u32_e32 v60, 28, v64
	v_lshlrev_b64 v[60:61], v60, v[44:45]
	v_lshrrev_b32_e32 v63, 3, v46
	v_sub_u32_e32 v44, 29, v64
	v_and_b32_e32 v60, 7, v60
	v_cmp_gt_u32_e32 vcc, 8, v46
	v_cndmask_b32_e32 v44, v63, v44, vcc
	v_cndmask_b32_e32 v46, v62, v60, vcc
	v_lshlrev_b32_e32 v60, 16, v42
	v_lshlrev_b32_e32 v46, 20, v46
	v_and_b32_e32 v60, 0x80000000, v60
	v_lshl_add_u32 v44, v44, 23, v55
	v_or3_b32 v60, v60, v44, v46
.LBB647_537:                            ;   in Loop: Header=BB647_215 Depth=1
	s_or_b64 exec, exec, s[16:17]
.LBB647_538:                            ;   in Loop: Header=BB647_215 Depth=1
	s_or_b64 exec, exec, s[14:15]
.LBB647_539:                            ;   in Loop: Header=BB647_215 Depth=1
	s_or_b64 exec, exec, s[12:13]
	v_lshrrev_b32_e32 v44, 16, v42
	v_cmp_ne_u16_sdwa s[14:15], v44, v54 src0_sel:BYTE_0 src1_sel:DWORD
	s_and_saveexec_b64 s[12:13], s[14:15]
	s_cbranch_execz .LBB647_545
; %bb.540:                              ;   in Loop: Header=BB647_215 Depth=1
	v_cmp_ne_u16_sdwa s[16:17], v44, s9 src0_sel:BYTE_0 src1_sel:DWORD
	v_bfrev_b32_e32 v59, 1
	s_and_saveexec_b64 s[14:15], s[16:17]
	s_cbranch_execz .LBB647_544
; %bb.541:                              ;   in Loop: Header=BB647_215 Depth=1
	v_bfe_u32 v46, v42, 16, 7
	v_cmp_ne_u32_e32 vcc, s19, v46
	v_mov_b32_e32 v59, 0x7f800001
	s_and_saveexec_b64 s[16:17], vcc
	s_cbranch_execz .LBB647_543
; %bb.542:                              ;   in Loop: Header=BB647_215 Depth=1
	v_and_b32_e32 v59, 7, v44
	v_ffbh_u32_e32 v62, v59
	v_min_u32_e32 v64, 32, v62
	v_subrev_u32_e32 v62, 28, v64
	v_lshlrev_b64 v[62:63], v62, v[44:45]
	v_lshrrev_b32_e32 v61, 3, v46
	v_sub_u32_e32 v63, 29, v64
	v_and_b32_e32 v62, 7, v62
	v_cmp_gt_u32_e32 vcc, 8, v46
	v_cndmask_b32_e32 v46, v61, v63, vcc
	v_cndmask_b32_e32 v59, v59, v62, vcc
	v_lshlrev_b32_e32 v44, 24, v44
	v_lshlrev_b32_e32 v59, 20, v59
	v_and_b32_e32 v44, 0x80000000, v44
	v_lshl_add_u32 v46, v46, 23, v55
	v_or3_b32 v59, v44, v46, v59
.LBB647_543:                            ;   in Loop: Header=BB647_215 Depth=1
	s_or_b64 exec, exec, s[16:17]
.LBB647_544:                            ;   in Loop: Header=BB647_215 Depth=1
	s_or_b64 exec, exec, s[14:15]
.LBB647_545:                            ;   in Loop: Header=BB647_215 Depth=1
	s_or_b64 exec, exec, s[12:13]
	v_cmp_lt_u32_e32 vcc, s20, v42
	v_mov_b32_e32 v46, 0
	v_mov_b32_e32 v61, 0
	s_and_saveexec_b64 s[12:13], vcc
	s_cbranch_execz .LBB647_551
; %bb.546:                              ;   in Loop: Header=BB647_215 Depth=1
	v_lshrrev_b32_e32 v44, 24, v42
	v_cmp_ne_u32_e32 vcc, s9, v44
	v_bfrev_b32_e32 v61, 1
	s_and_saveexec_b64 s[14:15], vcc
	s_cbranch_execz .LBB647_550
; %bb.547:                              ;   in Loop: Header=BB647_215 Depth=1
	v_bfe_u32 v42, v42, 24, 7
	v_cmp_ne_u32_e32 vcc, s19, v42
	v_mov_b32_e32 v61, 0x7f800001
	s_and_saveexec_b64 s[16:17], vcc
	s_cbranch_execz .LBB647_549
; %bb.548:                              ;   in Loop: Header=BB647_215 Depth=1
	v_and_b32_e32 v61, 7, v44
	v_ffbh_u32_e32 v62, v61
	v_min_u32_e32 v65, 32, v62
	v_subrev_u32_e32 v62, 28, v65
	v_lshlrev_b64 v[62:63], v62, v[44:45]
	v_lshrrev_b32_e32 v64, 3, v42
	v_sub_u32_e32 v63, 29, v65
	v_and_b32_e32 v62, 7, v62
	v_cmp_gt_u32_e32 vcc, 8, v42
	v_cndmask_b32_e32 v42, v64, v63, vcc
	v_cndmask_b32_e32 v61, v61, v62, vcc
	v_lshlrev_b32_e32 v44, 24, v44
	v_lshlrev_b32_e32 v61, 20, v61
	v_and_b32_e32 v44, 0x80000000, v44
	v_lshl_add_u32 v42, v42, 23, v55
	v_or3_b32 v61, v44, v42, v61
.LBB647_549:                            ;   in Loop: Header=BB647_215 Depth=1
	s_or_b64 exec, exec, s[16:17]
.LBB647_550:                            ;   in Loop: Header=BB647_215 Depth=1
	s_or_b64 exec, exec, s[14:15]
.LBB647_551:                            ;   in Loop: Header=BB647_215 Depth=1
	s_or_b64 exec, exec, s[12:13]
	v_cvt_pkrtz_f16_f32 v62, v51, v56
	v_cvt_pkrtz_f16_f32 v63, v50, v58
	v_cvt_pkrtz_f16_f32 v50, v57, v60
	v_cvt_pkrtz_f16_f32 v51, v59, v61
	s_waitcnt vmcnt(1)
	v_cmp_ne_u16_sdwa s[14:15], v40, v54 src0_sel:BYTE_0 src1_sel:DWORD
	v_mfma_f32_16x16x16f16 v[34:37], v[62:63], v[26:27], v[34:37]
	v_mfma_f32_16x16x16f16 v[34:37], v[50:51], v[28:29], v[34:37]
	s_and_saveexec_b64 s[12:13], s[14:15]
	s_cbranch_execz .LBB647_557
; %bb.552:                              ;   in Loop: Header=BB647_215 Depth=1
	v_cmp_ne_u16_sdwa s[16:17], v40, s9 src0_sel:BYTE_0 src1_sel:DWORD
	v_bfrev_b32_e32 v46, 1
	s_and_saveexec_b64 s[14:15], s[16:17]
	s_cbranch_execz .LBB647_556
; %bb.553:                              ;   in Loop: Header=BB647_215 Depth=1
	v_and_b32_e32 v42, 0x7f, v40
	v_cmp_ne_u32_e32 vcc, s19, v42
	v_mov_b32_e32 v46, 0x7f800001
	s_and_saveexec_b64 s[16:17], vcc
	s_cbranch_execz .LBB647_555
; %bb.554:                              ;   in Loop: Header=BB647_215 Depth=1
	v_and_b32_e32 v44, 7, v40
	v_ffbh_u32_e32 v50, v44
	v_min_u32_e32 v56, 32, v50
	v_subrev_u32_e32 v50, 28, v56
	v_lshlrev_b64 v[50:51], v50, v[40:41]
	v_lshrrev_b32_e32 v46, 3, v42
	v_sub_u32_e32 v51, 29, v56
	v_and_b32_e32 v50, 7, v50
	v_cmp_gt_u32_e32 vcc, 8, v42
	v_cndmask_b32_e32 v42, v46, v51, vcc
	v_cndmask_b32_e32 v44, v44, v50, vcc
	v_lshlrev_b32_e32 v46, 24, v40
	v_lshlrev_b32_e32 v44, 20, v44
	v_and_b32_e32 v46, 0x80000000, v46
	v_lshl_add_u32 v42, v42, 23, v55
	v_or3_b32 v46, v46, v42, v44
.LBB647_555:                            ;   in Loop: Header=BB647_215 Depth=1
	s_or_b64 exec, exec, s[16:17]
.LBB647_556:                            ;   in Loop: Header=BB647_215 Depth=1
	s_or_b64 exec, exec, s[14:15]
.LBB647_557:                            ;   in Loop: Header=BB647_215 Depth=1
	s_or_b64 exec, exec, s[12:13]
	v_lshrrev_b16_e32 v42, 8, v40
	v_cmp_ne_u16_e32 vcc, 0, v42
	v_mov_b32_e32 v44, 0
	v_mov_b32_e32 v50, 0
	s_and_saveexec_b64 s[12:13], vcc
	s_cbranch_execz .LBB647_563
; %bb.558:                              ;   in Loop: Header=BB647_215 Depth=1
	v_cmp_ne_u16_e32 vcc, s9, v42
	v_bfrev_b32_e32 v50, 1
	s_and_saveexec_b64 s[14:15], vcc
	s_cbranch_execz .LBB647_562
; %bb.559:                              ;   in Loop: Header=BB647_215 Depth=1
	v_and_b32_e32 v51, 0x7f, v42
	v_cmp_ne_u32_e32 vcc, s19, v51
	v_mov_b32_e32 v50, 0x7f800001
	s_and_saveexec_b64 s[16:17], vcc
	s_cbranch_execz .LBB647_561
; %bb.560:                              ;   in Loop: Header=BB647_215 Depth=1
	v_and_b32_e32 v50, 7, v42
	v_ffbh_u32_e32 v56, v50
	v_min_u32_e32 v59, 32, v56
	v_subrev_u32_e32 v56, 28, v59
	v_lshlrev_b64 v[56:57], v56, v[42:43]
	v_lshrrev_b32_e32 v58, 3, v51
	v_sub_u32_e32 v42, 29, v59
	v_and_b32_e32 v56, 7, v56
	v_cmp_gt_u32_e32 vcc, 8, v51
	v_cndmask_b32_e32 v42, v58, v42, vcc
	v_cndmask_b32_e32 v50, v50, v56, vcc
	v_lshlrev_b32_e32 v51, 16, v40
	v_lshlrev_b32_e32 v50, 20, v50
	v_and_b32_e32 v51, 0x80000000, v51
	v_lshl_add_u32 v42, v42, 23, v55
	v_or3_b32 v50, v51, v42, v50
.LBB647_561:                            ;   in Loop: Header=BB647_215 Depth=1
	s_or_b64 exec, exec, s[16:17]
.LBB647_562:                            ;   in Loop: Header=BB647_215 Depth=1
	s_or_b64 exec, exec, s[14:15]
.LBB647_563:                            ;   in Loop: Header=BB647_215 Depth=1
	s_or_b64 exec, exec, s[12:13]
	v_lshrrev_b32_e32 v42, 16, v40
	v_cmp_ne_u16_sdwa s[14:15], v42, v54 src0_sel:BYTE_0 src1_sel:DWORD
	s_and_saveexec_b64 s[12:13], s[14:15]
	s_cbranch_execz .LBB647_569
; %bb.564:                              ;   in Loop: Header=BB647_215 Depth=1
	v_cmp_ne_u16_sdwa s[16:17], v42, s9 src0_sel:BYTE_0 src1_sel:DWORD
	v_bfrev_b32_e32 v44, 1
	s_and_saveexec_b64 s[14:15], s[16:17]
	s_cbranch_execz .LBB647_568
; %bb.565:                              ;   in Loop: Header=BB647_215 Depth=1
	v_bfe_u32 v51, v40, 16, 7
	v_cmp_ne_u32_e32 vcc, s19, v51
	v_mov_b32_e32 v44, 0x7f800001
	s_and_saveexec_b64 s[16:17], vcc
	s_cbranch_execz .LBB647_567
; %bb.566:                              ;   in Loop: Header=BB647_215 Depth=1
	v_and_b32_e32 v44, 7, v42
	v_ffbh_u32_e32 v56, v44
	v_min_u32_e32 v59, 32, v56
	v_subrev_u32_e32 v56, 28, v59
	v_lshlrev_b64 v[56:57], v56, v[42:43]
	v_lshrrev_b32_e32 v58, 3, v51
	v_sub_u32_e32 v57, 29, v59
	v_and_b32_e32 v56, 7, v56
	v_cmp_gt_u32_e32 vcc, 8, v51
	v_cndmask_b32_e32 v51, v58, v57, vcc
	v_cndmask_b32_e32 v44, v44, v56, vcc
	v_lshlrev_b32_e32 v42, 24, v42
	v_lshlrev_b32_e32 v44, 20, v44
	v_and_b32_e32 v42, 0x80000000, v42
	v_lshl_add_u32 v51, v51, 23, v55
	v_or3_b32 v44, v42, v51, v44
.LBB647_567:                            ;   in Loop: Header=BB647_215 Depth=1
	s_or_b64 exec, exec, s[16:17]
.LBB647_568:                            ;   in Loop: Header=BB647_215 Depth=1
	s_or_b64 exec, exec, s[14:15]
.LBB647_569:                            ;   in Loop: Header=BB647_215 Depth=1
	s_or_b64 exec, exec, s[12:13]
	v_cmp_lt_u32_e32 vcc, s20, v40
	v_mov_b32_e32 v51, 0
	v_mov_b32_e32 v56, 0
	s_and_saveexec_b64 s[12:13], vcc
	s_cbranch_execz .LBB647_575
; %bb.570:                              ;   in Loop: Header=BB647_215 Depth=1
	v_lshrrev_b32_e32 v42, 24, v40
	v_cmp_ne_u32_e32 vcc, s9, v42
	v_bfrev_b32_e32 v56, 1
	s_and_saveexec_b64 s[14:15], vcc
	s_cbranch_execz .LBB647_574
; %bb.571:                              ;   in Loop: Header=BB647_215 Depth=1
	v_bfe_u32 v40, v40, 24, 7
	v_cmp_ne_u32_e32 vcc, s19, v40
	v_mov_b32_e32 v56, 0x7f800001
	s_and_saveexec_b64 s[16:17], vcc
	s_cbranch_execz .LBB647_573
; %bb.572:                              ;   in Loop: Header=BB647_215 Depth=1
	v_and_b32_e32 v58, 7, v42
	v_ffbh_u32_e32 v56, v58
	v_min_u32_e32 v60, 32, v56
	v_subrev_u32_e32 v56, 28, v60
	v_lshlrev_b64 v[56:57], v56, v[42:43]
	v_lshrrev_b32_e32 v59, 3, v40
	v_sub_u32_e32 v57, 29, v60
	v_and_b32_e32 v56, 7, v56
	v_cmp_gt_u32_e32 vcc, 8, v40
	v_cndmask_b32_e32 v40, v59, v57, vcc
	v_cndmask_b32_e32 v56, v58, v56, vcc
	v_lshlrev_b32_e32 v42, 24, v42
	v_lshlrev_b32_e32 v56, 20, v56
	v_and_b32_e32 v42, 0x80000000, v42
	v_lshl_add_u32 v40, v40, 23, v55
	v_or3_b32 v56, v42, v40, v56
.LBB647_573:                            ;   in Loop: Header=BB647_215 Depth=1
	s_or_b64 exec, exec, s[16:17]
.LBB647_574:                            ;   in Loop: Header=BB647_215 Depth=1
	s_or_b64 exec, exec, s[14:15]
.LBB647_575:                            ;   in Loop: Header=BB647_215 Depth=1
	s_or_b64 exec, exec, s[12:13]
	s_waitcnt vmcnt(0)
	v_cmp_ne_u16_sdwa s[14:15], v38, v54 src0_sel:BYTE_0 src1_sel:DWORD
	s_and_saveexec_b64 s[12:13], s[14:15]
	s_cbranch_execz .LBB647_581
; %bb.576:                              ;   in Loop: Header=BB647_215 Depth=1
	v_cmp_ne_u16_sdwa s[16:17], v38, s9 src0_sel:BYTE_0 src1_sel:DWORD
	v_bfrev_b32_e32 v51, 1
	s_and_saveexec_b64 s[14:15], s[16:17]
	s_cbranch_execz .LBB647_580
; %bb.577:                              ;   in Loop: Header=BB647_215 Depth=1
	v_and_b32_e32 v40, 0x7f, v38
	v_cmp_ne_u32_e32 vcc, s19, v40
	v_mov_b32_e32 v51, 0x7f800001
	s_and_saveexec_b64 s[16:17], vcc
	s_cbranch_execz .LBB647_579
; %bb.578:                              ;   in Loop: Header=BB647_215 Depth=1
	v_and_b32_e32 v42, 7, v38
	v_ffbh_u32_e32 v57, v42
	v_min_u32_e32 v57, 32, v57
	v_subrev_u32_e32 v58, 28, v57
	v_lshlrev_b64 v[58:59], v58, v[38:39]
	v_lshrrev_b32_e32 v51, 3, v40
	v_sub_u32_e32 v57, 29, v57
	v_and_b32_e32 v58, 7, v58
	v_cmp_gt_u32_e32 vcc, 8, v40
	v_cndmask_b32_e32 v40, v51, v57, vcc
	v_cndmask_b32_e32 v42, v42, v58, vcc
	v_lshlrev_b32_e32 v51, 24, v38
	v_lshlrev_b32_e32 v42, 20, v42
	v_and_b32_e32 v51, 0x80000000, v51
	v_lshl_add_u32 v40, v40, 23, v55
	v_or3_b32 v51, v51, v40, v42
.LBB647_579:                            ;   in Loop: Header=BB647_215 Depth=1
	s_or_b64 exec, exec, s[16:17]
.LBB647_580:                            ;   in Loop: Header=BB647_215 Depth=1
	s_or_b64 exec, exec, s[14:15]
.LBB647_581:                            ;   in Loop: Header=BB647_215 Depth=1
	s_or_b64 exec, exec, s[12:13]
	v_lshrrev_b16_e32 v40, 8, v38
	v_cmp_ne_u16_e32 vcc, 0, v40
	v_mov_b32_e32 v42, 0
	v_mov_b32_e32 v57, 0
	s_and_saveexec_b64 s[12:13], vcc
	s_cbranch_execz .LBB647_587
; %bb.582:                              ;   in Loop: Header=BB647_215 Depth=1
	v_cmp_ne_u16_e32 vcc, s9, v40
	v_bfrev_b32_e32 v57, 1
	s_and_saveexec_b64 s[14:15], vcc
	s_cbranch_execz .LBB647_586
; %bb.583:                              ;   in Loop: Header=BB647_215 Depth=1
	v_and_b32_e32 v58, 0x7f, v40
	v_cmp_ne_u32_e32 vcc, s19, v58
	v_mov_b32_e32 v57, 0x7f800001
	s_and_saveexec_b64 s[16:17], vcc
	s_cbranch_execz .LBB647_585
; %bb.584:                              ;   in Loop: Header=BB647_215 Depth=1
	v_and_b32_e32 v57, 7, v40
	v_ffbh_u32_e32 v60, v57
	v_min_u32_e32 v62, 32, v60
	v_subrev_u32_e32 v60, 28, v62
	v_lshlrev_b64 v[60:61], v60, v[40:41]
	v_lshrrev_b32_e32 v59, 3, v58
	v_sub_u32_e32 v40, 29, v62
	v_and_b32_e32 v60, 7, v60
	v_cmp_gt_u32_e32 vcc, 8, v58
	v_cndmask_b32_e32 v40, v59, v40, vcc
	v_cndmask_b32_e32 v57, v57, v60, vcc
	v_lshlrev_b32_e32 v58, 16, v38
	v_lshlrev_b32_e32 v57, 20, v57
	v_and_b32_e32 v58, 0x80000000, v58
	v_lshl_add_u32 v40, v40, 23, v55
	v_or3_b32 v57, v58, v40, v57
.LBB647_585:                            ;   in Loop: Header=BB647_215 Depth=1
	s_or_b64 exec, exec, s[16:17]
.LBB647_586:                            ;   in Loop: Header=BB647_215 Depth=1
	s_or_b64 exec, exec, s[14:15]
.LBB647_587:                            ;   in Loop: Header=BB647_215 Depth=1
	s_or_b64 exec, exec, s[12:13]
	v_lshrrev_b32_e32 v40, 16, v38
	v_cmp_ne_u16_sdwa s[14:15], v40, v54 src0_sel:BYTE_0 src1_sel:DWORD
	s_and_saveexec_b64 s[12:13], s[14:15]
	s_cbranch_execz .LBB647_593
; %bb.588:                              ;   in Loop: Header=BB647_215 Depth=1
	v_cmp_ne_u16_sdwa s[16:17], v40, s9 src0_sel:BYTE_0 src1_sel:DWORD
	v_bfrev_b32_e32 v42, 1
	s_and_saveexec_b64 s[14:15], s[16:17]
	s_cbranch_execz .LBB647_592
; %bb.589:                              ;   in Loop: Header=BB647_215 Depth=1
	v_bfe_u32 v58, v38, 16, 7
	v_cmp_ne_u32_e32 vcc, s19, v58
	v_mov_b32_e32 v42, 0x7f800001
	s_and_saveexec_b64 s[16:17], vcc
	s_cbranch_execz .LBB647_591
; %bb.590:                              ;   in Loop: Header=BB647_215 Depth=1
	v_and_b32_e32 v42, 7, v40
	v_ffbh_u32_e32 v60, v42
	v_min_u32_e32 v62, 32, v60
	v_subrev_u32_e32 v60, 28, v62
	v_lshlrev_b64 v[60:61], v60, v[40:41]
	v_lshrrev_b32_e32 v59, 3, v58
	v_sub_u32_e32 v61, 29, v62
	v_and_b32_e32 v60, 7, v60
	v_cmp_gt_u32_e32 vcc, 8, v58
	v_cndmask_b32_e32 v58, v59, v61, vcc
	v_cndmask_b32_e32 v42, v42, v60, vcc
	v_lshlrev_b32_e32 v40, 24, v40
	v_lshlrev_b32_e32 v42, 20, v42
	v_and_b32_e32 v40, 0x80000000, v40
	v_lshl_add_u32 v58, v58, 23, v55
	v_or3_b32 v42, v40, v58, v42
.LBB647_591:                            ;   in Loop: Header=BB647_215 Depth=1
	s_or_b64 exec, exec, s[16:17]
.LBB647_592:                            ;   in Loop: Header=BB647_215 Depth=1
	s_or_b64 exec, exec, s[14:15]
.LBB647_593:                            ;   in Loop: Header=BB647_215 Depth=1
	s_or_b64 exec, exec, s[12:13]
	v_cmp_lt_u32_e32 vcc, s20, v38
	v_mov_b32_e32 v58, 0
	s_and_saveexec_b64 s[12:13], vcc
	s_cbranch_execz .LBB647_214
; %bb.594:                              ;   in Loop: Header=BB647_215 Depth=1
	v_lshrrev_b32_e32 v40, 24, v38
	v_cmp_ne_u32_e32 vcc, s9, v40
	v_bfrev_b32_e32 v58, 1
	s_and_saveexec_b64 s[14:15], vcc
	s_cbranch_execz .LBB647_213
; %bb.595:                              ;   in Loop: Header=BB647_215 Depth=1
	v_bfe_u32 v38, v38, 24, 7
	v_cmp_ne_u32_e32 vcc, s19, v38
	v_mov_b32_e32 v58, 0x7f800001
	s_and_saveexec_b64 s[16:17], vcc
	s_cbranch_execz .LBB647_212
; %bb.596:                              ;   in Loop: Header=BB647_215 Depth=1
	v_and_b32_e32 v60, 7, v40
	v_ffbh_u32_e32 v58, v60
	v_min_u32_e32 v62, 32, v58
	v_subrev_u32_e32 v58, 28, v62
	v_lshlrev_b64 v[58:59], v58, v[40:41]
	v_lshrrev_b32_e32 v61, 3, v38
	v_sub_u32_e32 v59, 29, v62
	v_and_b32_e32 v58, 7, v58
	v_cmp_gt_u32_e32 vcc, 8, v38
	v_cndmask_b32_e32 v38, v61, v59, vcc
	v_cndmask_b32_e32 v58, v60, v58, vcc
	v_lshlrev_b32_e32 v40, 24, v40
	v_lshlrev_b32_e32 v58, 20, v58
	v_and_b32_e32 v40, 0x80000000, v40
	v_lshl_add_u32 v38, v38, 23, v55
	v_or3_b32 v58, v40, v38, v58
	s_branch .LBB647_212
.LBB647_597:
	s_barrier
	buffer_load_dword v2, off, s[0:3], 0 offset:320
	buffer_load_dword v5, off, s[0:3], 0 offset:332
	buffer_load_dword v3, off, s[0:3], 0 offset:324
	buffer_load_dword v4, off, s[0:3], 0 offset:328
	v_cmp_gt_u32_e32 vcc, 64, v0
	s_waitcnt vmcnt(0)
	ds_write2st64_b64 v52, v[2:3], v[4:5] offset1:1
	s_waitcnt lgkmcnt(0)
	s_barrier
	s_and_saveexec_b64 s[4:5], vcc
	s_cbranch_execz .LBB647_600
; %bb.598:
	s_lshl_b32 s4, s48, 7
	s_mul_i32 s5, s18, s8
	s_mul_hi_u32 s9, s5, s4
	s_mul_i32 s8, s5, s4
	s_lshl_b64 s[8:9], s[8:9], 1
	v_lshlrev_b32_e32 v4, 6, v41
	s_add_u32 s5, s50, s8
	v_lshl_or_b32 v0, v0, 10, v4
	s_mov_b32 s7, 0
	s_addc_u32 s8, s51, s9
	s_lshl_b32 s6, s26, 7
	v_lshlrev_b32_e32 v2, 5, v1
	v_and_b32_e32 v3, 16, v43
	v_and_b32_e32 v0, 0x1a00, v0
	s_lshl_b64 s[6:7], s[6:7], 1
	v_or3_b32 v0, v0, v2, v3
	s_add_u32 s5, s5, s6
	v_or_b32_e32 v2, 8, v1
	s_addc_u32 s6, s8, s7
	ds_read_b128 v[6:9], v0 offset:128
	ds_read_b128 v[10:13], v0
	v_add_u32_e32 v1, s27, v1
	v_mov_b32_e32 v4, s6
	v_add_co_u32_e32 v3, vcc, s5, v39
	v_mad_u64_u32 v[14:15], s[6:7], v1, s4, 0
	v_addc_co_u32_e32 v4, vcc, 0, v4, vcc
	v_lshlrev_b64 v[14:15], 1, v[14:15]
	v_add_co_u32_e32 v14, vcc, v3, v14
	v_addc_co_u32_e32 v15, vcc, v4, v15, vcc
	v_add_u32_e32 v1, 4, v1
	s_waitcnt lgkmcnt(0)
	global_store_dwordx4 v[14:15], v[10:13], off
	s_nop 0
	v_mad_u64_u32 v[10:11], s[6:7], v1, s4, 0
	v_lshlrev_b64 v[10:11], 1, v[10:11]
	v_add_co_u32_e32 v10, vcc, v3, v10
	v_addc_co_u32_e32 v11, vcc, v4, v11, vcc
	v_cmp_gt_u32_e32 vcc, 10, v2
	global_store_dwordx4 v[10:11], v[6:9], off
	s_and_b64 exec, exec, vcc
	s_cbranch_execz .LBB647_600
; %bb.599:
	ds_read_b128 v[6:9], v0 offset:256
	v_add_u32_e32 v0, s27, v2
	v_mad_u64_u32 v[0:1], s[4:5], v0, s4, 0
	v_lshlrev_b64 v[0:1], 1, v[0:1]
	v_add_co_u32_e32 v0, vcc, v3, v0
	v_addc_co_u32_e32 v1, vcc, v4, v1, vcc
	s_waitcnt lgkmcnt(0)
	global_store_dwordx4 v[0:1], v[6:9], off
.LBB647_600:
	s_endpgm
	.section	.rodata,"a",@progbits
	.p2align	6, 0x0
	.amdhsa_kernel _Z39paged_attention_ll4mi_QKV_mfma16_kernelIDF16_hLN4vllm18Fp8KVCacheDataTypeE1EDF16_Li32ELi128ELi256ELb1ELi10EL8MFMAType0EEvPKT_PKT0_S8_ifPKiSA_SA_iPKfiiiPfSD_PS3_PT2_iSC_SC_
		.amdhsa_group_segment_fixed_size 8192
		.amdhsa_private_segment_fixed_size 352
		.amdhsa_kernarg_size 400
		.amdhsa_user_sgpr_count 8
		.amdhsa_user_sgpr_private_segment_buffer 1
		.amdhsa_user_sgpr_dispatch_ptr 0
		.amdhsa_user_sgpr_queue_ptr 0
		.amdhsa_user_sgpr_kernarg_segment_ptr 1
		.amdhsa_user_sgpr_dispatch_id 0
		.amdhsa_user_sgpr_flat_scratch_init 1
		.amdhsa_user_sgpr_kernarg_preload_length 0
		.amdhsa_user_sgpr_kernarg_preload_offset 0
		.amdhsa_user_sgpr_private_segment_size 0
		.amdhsa_uses_dynamic_stack 0
		.amdhsa_system_sgpr_private_segment_wavefront_offset 1
		.amdhsa_system_sgpr_workgroup_id_x 1
		.amdhsa_system_sgpr_workgroup_id_y 1
		.amdhsa_system_sgpr_workgroup_id_z 1
		.amdhsa_system_sgpr_workgroup_info 0
		.amdhsa_system_vgpr_workitem_id 0
		.amdhsa_next_free_vgpr 80
		.amdhsa_next_free_sgpr 53
		.amdhsa_accum_offset 80
		.amdhsa_reserve_vcc 1
		.amdhsa_reserve_flat_scratch 0
		.amdhsa_float_round_mode_32 0
		.amdhsa_float_round_mode_16_64 0
		.amdhsa_float_denorm_mode_32 3
		.amdhsa_float_denorm_mode_16_64 3
		.amdhsa_dx10_clamp 1
		.amdhsa_ieee_mode 1
		.amdhsa_fp16_overflow 0
		.amdhsa_tg_split 0
		.amdhsa_exception_fp_ieee_invalid_op 0
		.amdhsa_exception_fp_denorm_src 0
		.amdhsa_exception_fp_ieee_div_zero 0
		.amdhsa_exception_fp_ieee_overflow 0
		.amdhsa_exception_fp_ieee_underflow 0
		.amdhsa_exception_fp_ieee_inexact 0
		.amdhsa_exception_int_div_zero 0
	.end_amdhsa_kernel
	.section	.text._Z39paged_attention_ll4mi_QKV_mfma16_kernelIDF16_hLN4vllm18Fp8KVCacheDataTypeE1EDF16_Li32ELi128ELi256ELb1ELi10EL8MFMAType0EEvPKT_PKT0_S8_ifPKiSA_SA_iPKfiiiPfSD_PS3_PT2_iSC_SC_,"axG",@progbits,_Z39paged_attention_ll4mi_QKV_mfma16_kernelIDF16_hLN4vllm18Fp8KVCacheDataTypeE1EDF16_Li32ELi128ELi256ELb1ELi10EL8MFMAType0EEvPKT_PKT0_S8_ifPKiSA_SA_iPKfiiiPfSD_PS3_PT2_iSC_SC_,comdat
.Lfunc_end647:
	.size	_Z39paged_attention_ll4mi_QKV_mfma16_kernelIDF16_hLN4vllm18Fp8KVCacheDataTypeE1EDF16_Li32ELi128ELi256ELb1ELi10EL8MFMAType0EEvPKT_PKT0_S8_ifPKiSA_SA_iPKfiiiPfSD_PS3_PT2_iSC_SC_, .Lfunc_end647-_Z39paged_attention_ll4mi_QKV_mfma16_kernelIDF16_hLN4vllm18Fp8KVCacheDataTypeE1EDF16_Li32ELi128ELi256ELb1ELi10EL8MFMAType0EEvPKT_PKT0_S8_ifPKiSA_SA_iPKfiiiPfSD_PS3_PT2_iSC_SC_
                                        ; -- End function
	.section	.AMDGPU.csdata,"",@progbits
; Kernel info:
; codeLenInByte = 21528
; NumSgprs: 57
; NumVgprs: 80
; NumAgprs: 0
; TotalNumVgprs: 80
; ScratchSize: 352
; MemoryBound: 0
; FloatMode: 240
; IeeeMode: 1
; LDSByteSize: 8192 bytes/workgroup (compile time only)
; SGPRBlocks: 7
; VGPRBlocks: 9
; NumSGPRsForWavesPerEU: 57
; NumVGPRsForWavesPerEU: 80
; AccumOffset: 80
; Occupancy: 6
; WaveLimiterHint : 1
; COMPUTE_PGM_RSRC2:SCRATCH_EN: 1
; COMPUTE_PGM_RSRC2:USER_SGPR: 8
; COMPUTE_PGM_RSRC2:TRAP_HANDLER: 0
; COMPUTE_PGM_RSRC2:TGID_X_EN: 1
; COMPUTE_PGM_RSRC2:TGID_Y_EN: 1
; COMPUTE_PGM_RSRC2:TGID_Z_EN: 1
; COMPUTE_PGM_RSRC2:TIDIG_COMP_CNT: 0
; COMPUTE_PGM_RSRC3_GFX90A:ACCUM_OFFSET: 19
; COMPUTE_PGM_RSRC3_GFX90A:TG_SPLIT: 0
	.section	.text._Z39paged_attention_ll4mi_QKV_mfma16_kernelIDF16_hLN4vllm18Fp8KVCacheDataTypeE1EDF16_Li32ELi128ELi256ELb1ELi11EL8MFMAType0EEvPKT_PKT0_S8_ifPKiSA_SA_iPKfiiiPfSD_PS3_PT2_iSC_SC_,"axG",@progbits,_Z39paged_attention_ll4mi_QKV_mfma16_kernelIDF16_hLN4vllm18Fp8KVCacheDataTypeE1EDF16_Li32ELi128ELi256ELb1ELi11EL8MFMAType0EEvPKT_PKT0_S8_ifPKiSA_SA_iPKfiiiPfSD_PS3_PT2_iSC_SC_,comdat
	.protected	_Z39paged_attention_ll4mi_QKV_mfma16_kernelIDF16_hLN4vllm18Fp8KVCacheDataTypeE1EDF16_Li32ELi128ELi256ELb1ELi11EL8MFMAType0EEvPKT_PKT0_S8_ifPKiSA_SA_iPKfiiiPfSD_PS3_PT2_iSC_SC_ ; -- Begin function _Z39paged_attention_ll4mi_QKV_mfma16_kernelIDF16_hLN4vllm18Fp8KVCacheDataTypeE1EDF16_Li32ELi128ELi256ELb1ELi11EL8MFMAType0EEvPKT_PKT0_S8_ifPKiSA_SA_iPKfiiiPfSD_PS3_PT2_iSC_SC_
	.globl	_Z39paged_attention_ll4mi_QKV_mfma16_kernelIDF16_hLN4vllm18Fp8KVCacheDataTypeE1EDF16_Li32ELi128ELi256ELb1ELi11EL8MFMAType0EEvPKT_PKT0_S8_ifPKiSA_SA_iPKfiiiPfSD_PS3_PT2_iSC_SC_
	.p2align	8
	.type	_Z39paged_attention_ll4mi_QKV_mfma16_kernelIDF16_hLN4vllm18Fp8KVCacheDataTypeE1EDF16_Li32ELi128ELi256ELb1ELi11EL8MFMAType0EEvPKT_PKT0_S8_ifPKiSA_SA_iPKfiiiPfSD_PS3_PT2_iSC_SC_,@function
_Z39paged_attention_ll4mi_QKV_mfma16_kernelIDF16_hLN4vllm18Fp8KVCacheDataTypeE1EDF16_Li32ELi128ELi256ELb1ELi11EL8MFMAType0EEvPKT_PKT0_S8_ifPKiSA_SA_iPKfiiiPfSD_PS3_PT2_iSC_SC_: ; @_Z39paged_attention_ll4mi_QKV_mfma16_kernelIDF16_hLN4vllm18Fp8KVCacheDataTypeE1EDF16_Li32ELi128ELi256ELb1ELi11EL8MFMAType0EEvPKT_PKT0_S8_ifPKiSA_SA_iPKfiiiPfSD_PS3_PT2_iSC_SC_
; %bb.0:
	s_load_dwordx2 s[6:7], s[4:5], 0x30
	s_add_u32 s0, s0, s11
	s_addc_u32 s1, s1, 0
	s_mov_b32 s26, s9
	s_mov_b64 s[14:15], 0
	s_waitcnt lgkmcnt(0)
	s_cmp_lg_u64 s[6:7], 0
	s_cselect_b64 s[12:13], -1, 0
	s_and_b64 vcc, exec, s[12:13]
	s_cbranch_vccz .LBB648_7
; %bb.1:
	s_add_i32 s16, s8, 1
	s_mov_b32 s17, 0
	s_lshl_b64 s[18:19], s[16:17], 2
	s_add_u32 s18, s6, s18
	s_mov_b32 s9, s17
	s_addc_u32 s19, s7, s19
	s_lshl_b64 s[16:17], s[8:9], 2
	s_add_u32 s16, s6, s16
	s_addc_u32 s17, s7, s17
	s_load_dword s11, s[18:19], 0x0
	s_load_dword s20, s[16:17], 0x0
	s_waitcnt lgkmcnt(0)
	s_sub_i32 s11, s11, s20
	s_cmp_eq_u32 s11, 1
	s_cselect_b64 s[16:17], -1, 0
	s_andn2_b64 vcc, exec, s[14:15]
	s_cbranch_vccnz .LBB648_3
.LBB648_2:
	s_mov_b32 s9, 0
	s_mov_b64 s[16:17], -1
.LBB648_3:
	s_andn2_b64 vcc, exec, s[16:17]
	s_cbranch_vccnz .LBB648_600
; %bb.4:
	s_load_dwordx2 s[16:17], s[4:5], 0x28
	s_lshl_b64 s[14:15], s[8:9], 2
	s_waitcnt lgkmcnt(0)
	s_add_u32 s16, s16, s14
	s_addc_u32 s17, s17, s15
	s_load_dword s33, s[16:17], 0x0
	s_lshl_b32 s20, s26, 8
	s_waitcnt lgkmcnt(0)
	s_cmp_ge_i32 s20, s33
	s_cbranch_scc1 .LBB648_600
; %bb.5:
	s_add_i32 s18, s33, 31
	s_load_dwordx2 s[16:17], s[4:5], 0x20
	s_load_dword s11, s[4:5], 0x38
	s_ashr_i32 s19, s18, 31
	v_and_b32_e32 v1, 0xcf, v0
	s_lshr_b32 s19, s19, 27
	v_add_u32_e32 v1, s20, v1
	s_add_i32 s18, s18, s19
	v_ashrrev_i32_e32 v2, 31, v1
	s_ashr_i32 s23, s18, 5
	v_lshrrev_b32_e32 v4, 27, v2
	s_add_i32 s23, s23, -1
	v_add_u32_e32 v2, v1, v4
	s_waitcnt lgkmcnt(0)
	s_mul_i32 s18, s8, s11
	s_mov_b32 s19, 0
	v_ashrrev_i32_e32 v2, 5, v2
	v_mov_b32_e32 v5, s23
	v_cmp_gt_i32_e32 vcc, s33, v1
	s_lshl_b64 s[18:19], s[18:19], 2
	v_cndmask_b32_e32 v2, v5, v2, vcc
	s_add_u32 s21, s16, s18
	v_ashrrev_i32_e32 v3, 31, v2
	s_addc_u32 s22, s17, s19
	v_lshlrev_b64 v[2:3], 2, v[2:3]
	v_mov_b32_e32 v7, s22
	v_add_co_u32_e32 v6, vcc, s21, v2
	v_or_b32_e32 v2, 16, v1
	v_addc_co_u32_e32 v7, vcc, v7, v3, vcc
	v_add_u32_e32 v3, v2, v4
	v_ashrrev_i32_e32 v3, 5, v3
	v_cmp_gt_i32_e32 vcc, s33, v2
	v_cndmask_b32_e32 v2, v5, v3, vcc
	v_ashrrev_i32_e32 v3, 31, v2
	v_lshlrev_b64 v[2:3], 2, v[2:3]
	v_mov_b32_e32 v9, s22
	v_add_co_u32_e32 v8, vcc, s21, v2
	v_or_b32_e32 v2, 32, v1
	v_addc_co_u32_e32 v9, vcc, v9, v3, vcc
	v_add_u32_e32 v3, v2, v4
	v_ashrrev_i32_e32 v3, 5, v3
	v_cmp_gt_i32_e32 vcc, s33, v2
	v_cndmask_b32_e32 v2, v5, v3, vcc
	v_ashrrev_i32_e32 v3, 31, v2
	;; [unrolled: 10-line block ×3, first 2 shown]
	v_lshlrev_b64 v[2:3], 2, v[2:3]
	v_mov_b32_e32 v1, s22
	v_add_co_u32_e32 v12, vcc, s21, v2
	v_addc_co_u32_e32 v13, vcc, v1, v3, vcc
	global_load_dword v5, v[6:7], off
	global_load_dword v4, v[8:9], off
	;; [unrolled: 1-line block ×4, first 2 shown]
	s_load_dwordx2 s[16:17], s[4:5], 0x8
	s_andn2_b64 vcc, exec, s[12:13]
	s_cbranch_vccnz .LBB648_8
; %bb.6:
	s_add_u32 s6, s6, s14
	s_addc_u32 s7, s7, s15
	s_load_dword s11, s[6:7], 0x0
	s_branch .LBB648_9
.LBB648_7:
	s_mov_b64 s[16:17], 0
	s_branch .LBB648_2
.LBB648_8:
	s_mov_b32 s11, s8
.LBB648_9:
	s_load_dwordx2 s[6:7], s[4:5], 0x10
	s_load_dwordx4 s[12:15], s[4:5], 0x48
	v_lshrrev_b32_e32 v27, 6, v0
	v_bfe_u32 v1, v0, 4, 2
	v_and_b32_e32 v41, 15, v0
	v_lshl_or_b32 v6, v27, 2, v1
	v_lshlrev_b32_e32 v7, 3, v41
	s_mul_i32 s27, s10, 11
	v_cmp_gt_u32_e32 vcc, 11, v6
	v_lshlrev_b32_e32 v39, 1, v7
	v_lshlrev_b32_e32 v43, 4, v0
	s_and_saveexec_b64 s[18:19], vcc
	s_cbranch_execz .LBB648_11
; %bb.10:
	s_load_dwordx2 s[24:25], s[4:5], 0x0
	s_waitcnt lgkmcnt(0)
	s_ashr_i32 s15, s12, 31
	s_mul_hi_u32 s28, s11, s12
	s_mul_i32 s15, s11, s15
	s_add_i32 s29, s28, s15
	s_mul_i32 s28, s11, s12
	s_lshl_b64 s[28:29], s[28:29], 1
	v_add_lshl_u32 v8, v6, s27, 7
	s_add_u32 s11, s24, s28
	v_ashrrev_i32_e32 v9, 31, v8
	s_addc_u32 s12, s25, s29
	v_lshlrev_b64 v[8:9], 1, v[8:9]
	v_mov_b32_e32 v7, s12
	v_add_co_u32_e32 v8, vcc, s11, v8
	v_addc_co_u32_e32 v7, vcc, v7, v9, vcc
	v_add_co_u32_e32 v8, vcc, v8, v39
	v_addc_co_u32_e32 v9, vcc, 0, v7, vcc
	global_load_dwordx4 v[8:11], v[8:9], off
	v_lshlrev_b32_e32 v12, 8, v0
	v_lshlrev_b32_e32 v7, 8, v41
	v_and_b32_e32 v12, 0x600, v12
	s_movk_i32 s11, 0x800
	v_and_or_b32 v7, v7, s11, v12
	v_lshlrev_b32_e32 v6, 5, v6
	v_and_b32_e32 v12, 16, v43
	v_or3_b32 v6, v7, v6, v12
	s_waitcnt vmcnt(0)
	ds_write_b128 v6, v[8:11]
.LBB648_11:
	s_or_b64 exec, exec, s[18:19]
	s_waitcnt lgkmcnt(0)
	s_mul_i32 s14, s10, s14
	s_add_u32 s10, s16, s14
	s_addc_u32 s11, s17, 0
	v_pk_mov_b32 v[6:7], s[10:11], s[10:11] op_sel:[0,1]
	s_waitcnt vmcnt(3)
	v_mad_i64_i32 v[8:9], s[10:11], v5, s13, v[6:7]
	v_lshlrev_b32_e32 v11, 4, v41
	v_and_b32_e32 v18, 48, v0
	v_add_co_u32_e32 v5, vcc, v8, v11
	v_lshlrev_b32_e32 v10, 5, v18
	v_addc_co_u32_e32 v9, vcc, 0, v9, vcc
	v_add_co_u32_e32 v8, vcc, v5, v10
	v_addc_co_u32_e32 v9, vcc, 0, v9, vcc
	s_load_dwordx2 s[48:49], s[4:5], 0x94
	s_waitcnt lgkmcnt(0)
	s_barrier
	global_load_dwordx4 v[20:23], v[8:9], off
	global_load_dwordx4 v[28:31], v[8:9], off offset:2048
	s_waitcnt vmcnt(4)
	v_mad_i64_i32 v[4:5], s[10:11], v4, s13, v[6:7]
	v_or_b32_e32 v8, 0x100, v11
	v_add_co_u32_e32 v4, vcc, v4, v8
	v_addc_co_u32_e32 v5, vcc, 0, v5, vcc
	v_add_co_u32_e32 v4, vcc, v4, v10
	v_addc_co_u32_e32 v5, vcc, 0, v5, vcc
	global_load_dwordx4 v[32:35], v[4:5], off
	global_load_dwordx4 v[44:47], v[4:5], off offset:2048
	s_waitcnt vmcnt(5)
	v_mad_i64_i32 v[4:5], s[10:11], v3, s13, v[6:7]
	v_add_co_u32_e32 v3, vcc, v4, v11
	v_addc_co_u32_e32 v5, vcc, 0, v5, vcc
	v_add_co_u32_e32 v4, vcc, v3, v10
	v_addc_co_u32_e32 v5, vcc, 0, v5, vcc
	s_waitcnt vmcnt(4)
	v_mad_i64_i32 v[2:3], s[10:11], v2, s13, v[6:7]
	v_add_co_u32_e32 v2, vcc, v2, v8
	v_addc_co_u32_e32 v3, vcc, 0, v3, vcc
	v_add_co_u32_e32 v2, vcc, v2, v10
	v_addc_co_u32_e32 v3, vcc, 0, v3, vcc
	global_load_dwordx4 v[48:51], v[4:5], off
	global_load_dwordx4 v[52:55], v[4:5], off offset:2048
	global_load_dwordx4 v[56:59], v[2:3], off
	global_load_dwordx4 v[60:63], v[2:3], off offset:2048
	v_add_u32_e32 v2, -11, v41
	v_cmp_gt_u32_e32 vcc, 11, v41
	v_cndmask_b32_e32 v2, v2, v41, vcc
	v_lshlrev_b32_e32 v2, 5, v2
	v_lshl_add_u32 v14, v1, 9, v2
	s_load_dwordx2 s[50:51], s[4:5], 0x68
	s_load_dwordx4 s[44:47], s[4:5], 0x58
	ds_read_b128 v[2:5], v14
	ds_read_b128 v[6:9], v14 offset:16
	ds_read_b128 v[10:13], v14 offset:2048
	;; [unrolled: 1-line block ×3, first 2 shown]
	s_mov_b32 s12, 0
	s_waitcnt vmcnt(7)
	buffer_store_dword v23, off, s[0:3], 0 offset:12
	buffer_store_dword v22, off, s[0:3], 0 offset:8
	;; [unrolled: 1-line block ×3, first 2 shown]
	buffer_store_dword v20, off, s[0:3], 0
	s_waitcnt vmcnt(10)
	buffer_store_dword v31, off, s[0:3], 0 offset:28
	buffer_store_dword v30, off, s[0:3], 0 offset:24
	buffer_store_dword v29, off, s[0:3], 0 offset:20
	buffer_store_dword v28, off, s[0:3], 0 offset:16
	s_waitcnt vmcnt(13)
	buffer_store_dword v35, off, s[0:3], 0 offset:44
	buffer_store_dword v34, off, s[0:3], 0 offset:40
	buffer_store_dword v33, off, s[0:3], 0 offset:36
	buffer_store_dword v32, off, s[0:3], 0 offset:32
	;; [unrolled: 5-line block ×7, first 2 shown]
	v_mov_b32_e32 v35, 0
	v_mov_b32_e32 v31, 0
	s_and_saveexec_b64 s[10:11], vcc
	s_cbranch_execz .LBB648_13
; %bb.12:
	s_load_dwordx2 s[16:17], s[4:5], 0x40
	v_add_u32_e32 v20, s27, v41
	v_ashrrev_i32_e32 v21, 31, v20
	v_lshlrev_b64 v[20:21], 2, v[20:21]
	s_waitcnt lgkmcnt(0)
	v_mov_b32_e32 v19, s17
	v_add_co_u32_e32 v20, vcc, s16, v20
	v_addc_co_u32_e32 v21, vcc, v19, v21, vcc
	global_load_dword v31, v[20:21], off
.LBB648_13:
	s_or_b64 exec, exec, s[10:11]
	s_ashr_i32 s10, s20, 31
	v_or_b32_e32 v24, s20, v18
	s_lshr_b32 s10, s10, 27
	v_add_u32_e32 v18, s10, v24
	v_ashrrev_i32_e32 v18, 5, v18
	v_mov_b32_e32 v25, s23
	v_cmp_gt_i32_e32 vcc, s33, v24
	v_cndmask_b32_e32 v18, v25, v18, vcc
	v_ashrrev_i32_e32 v19, 31, v18
	v_lshlrev_b64 v[18:19], 2, v[18:19]
	v_mov_b32_e32 v20, s22
	v_add_co_u32_e32 v18, vcc, s21, v18
	v_addc_co_u32_e32 v19, vcc, v20, v19, vcc
	v_or_b32_e32 v20, 64, v24
	v_add_u32_e32 v21, s10, v20
	v_ashrrev_i32_e32 v21, 5, v21
	v_cmp_gt_i32_e32 vcc, s33, v20
	v_cndmask_b32_e32 v20, v25, v21, vcc
	v_ashrrev_i32_e32 v21, 31, v20
	v_lshlrev_b64 v[20:21], 2, v[20:21]
	v_mov_b32_e32 v22, s22
	v_add_co_u32_e32 v20, vcc, s21, v20
	v_addc_co_u32_e32 v21, vcc, v22, v21, vcc
	v_or_b32_e32 v22, 0x80, v24
	v_add_u32_e32 v23, s10, v22
	v_ashrrev_i32_e32 v23, 5, v23
	v_cmp_gt_i32_e32 vcc, s33, v22
	v_cndmask_b32_e32 v22, v25, v23, vcc
	v_ashrrev_i32_e32 v23, 31, v22
	v_lshlrev_b64 v[22:23], 2, v[22:23]
	v_mov_b32_e32 v26, s22
	v_add_co_u32_e32 v22, vcc, s21, v22
	v_addc_co_u32_e32 v23, vcc, v26, v23, vcc
	global_load_dword v26, v[18:19], off
	global_load_dword v28, v[20:21], off
	;; [unrolled: 1-line block ×3, first 2 shown]
	v_or_b32_e32 v18, 0xc0, v24
	v_add_u32_e32 v19, s10, v18
	v_ashrrev_i32_e32 v19, 5, v19
	v_cmp_gt_i32_e32 vcc, s33, v18
	v_cndmask_b32_e32 v18, v25, v19, vcc
	v_ashrrev_i32_e32 v19, 31, v18
	v_lshlrev_b64 v[18:19], 2, v[18:19]
	v_mov_b32_e32 v20, s22
	v_add_co_u32_e32 v18, vcc, s21, v18
	v_addc_co_u32_e32 v19, vcc, v20, v19, vcc
	global_load_dword v32, v[18:19], off
	s_add_u32 s6, s6, s14
	v_and_b32_e32 v18, 16, v0
	s_addc_u32 s7, s7, 0
	v_lshl_or_b32 v29, v27, 4, v41
	v_mov_b32_e32 v20, s7
	v_add_co_u32_e32 v34, vcc, s6, v18
	v_lshlrev_b32_e32 v19, 5, v29
	v_addc_co_u32_e32 v36, vcc, 0, v20, vcc
	v_add_co_u32_e32 v22, vcc, v34, v19
	v_addc_co_u32_e32 v23, vcc, 0, v36, vcc
	v_or_b32_e32 v33, 0x800, v19
	s_movk_i32 s14, 0x7f
	s_mov_b32 s15, 0xffffff
	v_mov_b32_e32 v37, 0x100
	v_bfrev_b32_e32 v38, 60
	s_waitcnt vmcnt(3)
	v_mad_i64_i32 v[18:19], s[6:7], v26, s13, v[22:23]
	s_waitcnt vmcnt(2)
	v_mad_i64_i32 v[24:25], s[6:7], v28, s13, v[22:23]
	global_load_dwordx4 v[18:21], v[18:19], off
	s_nop 0
	global_load_dwordx4 v[52:55], v[24:25], off
	s_waitcnt vmcnt(3)
	v_mad_i64_i32 v[24:25], s[6:7], v30, s13, v[22:23]
	s_waitcnt vmcnt(2)
	v_mad_i64_i32 v[22:23], s[6:7], v32, s13, v[22:23]
	global_load_dwordx4 v[56:59], v[24:25], off
	global_load_dwordx4 v[60:63], v[22:23], off
	v_add_co_u32_e32 v22, vcc, v34, v33
	v_addc_co_u32_e32 v23, vcc, 0, v36, vcc
	v_mad_i64_i32 v[24:25], s[6:7], v26, s13, v[22:23]
	global_load_dwordx4 v[64:67], v[24:25], off
	v_mad_i64_i32 v[24:25], s[6:7], v28, s13, v[22:23]
	global_load_dwordx4 v[68:71], v[24:25], off
	;; [unrolled: 2-line block ×4, first 2 shown]
	s_load_dword s6, s[4:5], 0x1c
	s_load_dwordx4 s[40:43], s[4:5], 0x80
	v_mov_b32_e32 v22, 0x80
	v_add_u32_e32 v45, 16, v22
	v_add_u32_e32 v46, 32, v22
	;; [unrolled: 1-line block ×3, first 2 shown]
	s_waitcnt lgkmcnt(0)
	s_load_dword s4, s[40:41], 0x0
	v_add_u32_e32 v51, 64, v22
	v_add_u32_e32 v48, 0x50, v22
	;; [unrolled: 1-line block ×4, first 2 shown]
	v_mov_b32_e32 v22, s6
	s_waitcnt lgkmcnt(0)
	v_mul_f32_e32 v22, s4, v22
	v_and_b32_e32 v33, 63, v0
	s_movk_i32 s13, 0x80
	v_mov_b32_e32 v36, 0
	v_mov_b32_e32 v24, v22
	;; [unrolled: 1-line block ×3, first 2 shown]
	s_waitcnt vmcnt(7)
	buffer_store_dword v21, off, s[0:3], 0 offset:140
	buffer_store_dword v20, off, s[0:3], 0 offset:136
	buffer_store_dword v19, off, s[0:3], 0 offset:132
	buffer_store_dword v18, off, s[0:3], 0 offset:128
	s_waitcnt vmcnt(10)
	buffer_store_dword v55, off, s[0:3], 0 offset:172
	buffer_store_dword v54, off, s[0:3], 0 offset:168
	buffer_store_dword v53, off, s[0:3], 0 offset:164
	buffer_store_dword v52, off, s[0:3], 0 offset:160
	;; [unrolled: 5-line block ×8, first 2 shown]
	s_branch .LBB648_17
.LBB648_14:                             ;   in Loop: Header=BB648_17 Depth=1
	s_or_b64 exec, exec, s[10:11]
.LBB648_15:                             ;   in Loop: Header=BB648_17 Depth=1
	s_or_b64 exec, exec, s[6:7]
.LBB648_16:                             ;   in Loop: Header=BB648_17 Depth=1
	s_or_b64 exec, exec, s[4:5]
	v_cvt_pkrtz_f16_f32 v54, v34, v32
	v_cvt_pkrtz_f16_f32 v55, v23, v42
	v_add_u32_e32 v26, s12, v37
	s_add_i32 s12, s12, 16
	v_mov_b32_e32 v23, v22
	v_mfma_f32_16x16x16f16 v[18:21], v[54:55], v[14:15], v[18:21]
	v_cvt_pkrtz_f16_f32 v54, v40, v44
	v_cvt_pkrtz_f16_f32 v55, v30, v52
	s_cmp_eq_u32 s12, 64
	v_add_u32_e32 v36, 32, v36
	v_mfma_f32_16x16x16f16 v[18:21], v[54:55], v[16:17], v[18:21]
	s_nop 7
	s_nop 2
	v_pk_mul_f32 v[18:19], v[24:25], v[18:19]
	v_pk_mul_f32 v[20:21], v[22:23], v[20:21]
	buffer_store_dword v19, v26, s[0:3], 0 offen offset:4
	buffer_store_dword v18, v26, s[0:3], 0 offen
	buffer_store_dword v21, v26, s[0:3], 0 offen offset:12
	buffer_store_dword v20, v26, s[0:3], 0 offen offset:8
	s_cbranch_scc1 .LBB648_207
.LBB648_17:                             ; =>This Inner Loop Header: Depth=1
	buffer_load_dword v20, v36, s[0:3], 0 offen
	buffer_load_dword v18, v36, s[0:3], 0 offen offset:4
	buffer_load_dword v28, v36, s[0:3], 0 offen offset:8
	buffer_load_dword v26, v36, s[0:3], 0 offen offset:12
	v_mov_b32_e32 v19, 0
	v_mov_b32_e32 v21, 0
	s_waitcnt vmcnt(3)
	v_cmp_ne_u16_sdwa s[6:7], v20, v35 src0_sel:BYTE_0 src1_sel:DWORD
	s_and_saveexec_b64 s[4:5], s[6:7]
	s_cbranch_execz .LBB648_23
; %bb.18:                               ;   in Loop: Header=BB648_17 Depth=1
	v_cmp_ne_u16_sdwa s[10:11], v20, s13 src0_sel:BYTE_0 src1_sel:DWORD
	v_bfrev_b32_e32 v21, 1
	s_and_saveexec_b64 s[6:7], s[10:11]
	s_cbranch_execz .LBB648_22
; %bb.19:                               ;   in Loop: Header=BB648_17 Depth=1
	v_and_b32_e32 v23, 0x7f, v20
	v_cmp_ne_u32_e32 vcc, s14, v23
	v_mov_b32_e32 v21, 0x7f800001
	s_and_saveexec_b64 s[10:11], vcc
	s_cbranch_execz .LBB648_21
; %bb.20:                               ;   in Loop: Header=BB648_17 Depth=1
	v_and_b32_e32 v21, 7, v20
	v_ffbh_u32_e32 v32, v21
	v_min_u32_e32 v32, 32, v32
	v_subrev_u32_e32 v34, 28, v32
	v_lshlrev_b64 v[52:53], v34, v[20:21]
	v_lshrrev_b32_e32 v30, 3, v23
	v_sub_u32_e32 v32, 29, v32
	v_and_b32_e32 v34, 7, v52
	v_cmp_gt_u32_e32 vcc, 8, v23
	v_cndmask_b32_e32 v23, v30, v32, vcc
	v_cndmask_b32_e32 v21, v21, v34, vcc
	v_lshlrev_b32_e32 v30, 24, v20
	v_lshlrev_b32_e32 v21, 20, v21
	v_and_b32_e32 v30, 0x80000000, v30
	v_lshl_add_u32 v23, v23, 23, v38
	v_or3_b32 v21, v30, v23, v21
.LBB648_21:                             ;   in Loop: Header=BB648_17 Depth=1
	s_or_b64 exec, exec, s[10:11]
.LBB648_22:                             ;   in Loop: Header=BB648_17 Depth=1
	s_or_b64 exec, exec, s[6:7]
.LBB648_23:                             ;   in Loop: Header=BB648_17 Depth=1
	s_or_b64 exec, exec, s[4:5]
	v_lshrrev_b16_e32 v30, 8, v20
	v_cmp_ne_u16_e32 vcc, 0, v30
	s_and_saveexec_b64 s[4:5], vcc
	s_cbranch_execz .LBB648_29
; %bb.24:                               ;   in Loop: Header=BB648_17 Depth=1
	v_cmp_ne_u16_e32 vcc, s13, v30
	v_bfrev_b32_e32 v19, 1
	s_and_saveexec_b64 s[6:7], vcc
	s_cbranch_execz .LBB648_28
; %bb.25:                               ;   in Loop: Header=BB648_17 Depth=1
	v_and_b32_e32 v23, 0x7f, v30
	v_cmp_ne_u32_e32 vcc, s14, v23
	v_mov_b32_e32 v19, 0x7f800001
	s_and_saveexec_b64 s[10:11], vcc
	s_cbranch_execz .LBB648_27
; %bb.26:                               ;   in Loop: Header=BB648_17 Depth=1
	v_and_b32_e32 v19, 7, v30
	v_ffbh_u32_e32 v34, v19
	v_min_u32_e32 v34, 32, v34
	v_subrev_u32_e32 v40, 28, v34
	v_lshlrev_b64 v[52:53], v40, v[30:31]
	v_lshrrev_b32_e32 v32, 3, v23
	v_sub_u32_e32 v30, 29, v34
	v_and_b32_e32 v34, 7, v52
	v_cmp_gt_u32_e32 vcc, 8, v23
	v_cndmask_b32_e32 v23, v32, v30, vcc
	v_cndmask_b32_e32 v19, v19, v34, vcc
	v_lshlrev_b32_e32 v30, 16, v20
	v_lshlrev_b32_e32 v19, 20, v19
	v_and_b32_e32 v30, 0x80000000, v30
	v_lshl_add_u32 v23, v23, 23, v38
	v_or3_b32 v19, v30, v23, v19
.LBB648_27:                             ;   in Loop: Header=BB648_17 Depth=1
	s_or_b64 exec, exec, s[10:11]
.LBB648_28:                             ;   in Loop: Header=BB648_17 Depth=1
	s_or_b64 exec, exec, s[6:7]
.LBB648_29:                             ;   in Loop: Header=BB648_17 Depth=1
	s_or_b64 exec, exec, s[4:5]
	v_lshrrev_b32_e32 v30, 16, v20
	v_cmp_ne_u16_sdwa s[6:7], v30, v35 src0_sel:BYTE_0 src1_sel:DWORD
	v_mov_b32_e32 v32, 0
	v_mov_b32_e32 v23, 0
	s_and_saveexec_b64 s[4:5], s[6:7]
	s_cbranch_execz .LBB648_35
; %bb.30:                               ;   in Loop: Header=BB648_17 Depth=1
	v_cmp_ne_u16_sdwa s[10:11], v30, s13 src0_sel:BYTE_0 src1_sel:DWORD
	v_bfrev_b32_e32 v23, 1
	s_and_saveexec_b64 s[6:7], s[10:11]
	s_cbranch_execz .LBB648_34
; %bb.31:                               ;   in Loop: Header=BB648_17 Depth=1
	v_bfe_u32 v34, v20, 16, 7
	v_cmp_ne_u32_e32 vcc, s14, v34
	v_mov_b32_e32 v23, 0x7f800001
	s_and_saveexec_b64 s[10:11], vcc
	s_cbranch_execz .LBB648_33
; %bb.32:                               ;   in Loop: Header=BB648_17 Depth=1
	v_and_b32_e32 v23, 7, v30
	v_ffbh_u32_e32 v42, v23
	v_min_u32_e32 v42, 32, v42
	v_subrev_u32_e32 v44, 28, v42
	v_lshlrev_b64 v[52:53], v44, v[30:31]
	v_lshrrev_b32_e32 v40, 3, v34
	v_sub_u32_e32 v42, 29, v42
	v_and_b32_e32 v44, 7, v52
	v_cmp_gt_u32_e32 vcc, 8, v34
	v_cndmask_b32_e32 v34, v40, v42, vcc
	v_cndmask_b32_e32 v23, v23, v44, vcc
	v_lshlrev_b32_e32 v30, 24, v30
	v_lshlrev_b32_e32 v23, 20, v23
	v_and_b32_e32 v30, 0x80000000, v30
	v_lshl_add_u32 v34, v34, 23, v38
	v_or3_b32 v23, v30, v34, v23
.LBB648_33:                             ;   in Loop: Header=BB648_17 Depth=1
	s_or_b64 exec, exec, s[10:11]
.LBB648_34:                             ;   in Loop: Header=BB648_17 Depth=1
	s_or_b64 exec, exec, s[6:7]
.LBB648_35:                             ;   in Loop: Header=BB648_17 Depth=1
	s_or_b64 exec, exec, s[4:5]
	v_cmp_lt_u32_e32 vcc, s15, v20
	s_and_saveexec_b64 s[4:5], vcc
	s_cbranch_execz .LBB648_41
; %bb.36:                               ;   in Loop: Header=BB648_17 Depth=1
	v_lshrrev_b32_e32 v30, 24, v20
	v_cmp_ne_u32_e32 vcc, s13, v30
	v_bfrev_b32_e32 v32, 1
	s_and_saveexec_b64 s[6:7], vcc
	s_cbranch_execz .LBB648_40
; %bb.37:                               ;   in Loop: Header=BB648_17 Depth=1
	v_bfe_u32 v20, v20, 24, 7
	v_cmp_ne_u32_e32 vcc, s14, v20
	v_mov_b32_e32 v32, 0x7f800001
	s_and_saveexec_b64 s[10:11], vcc
	s_cbranch_execz .LBB648_39
; %bb.38:                               ;   in Loop: Header=BB648_17 Depth=1
	v_and_b32_e32 v32, 7, v30
	v_ffbh_u32_e32 v40, v32
	v_min_u32_e32 v40, 32, v40
	v_subrev_u32_e32 v42, 28, v40
	v_lshlrev_b64 v[52:53], v42, v[30:31]
	v_lshrrev_b32_e32 v34, 3, v20
	v_sub_u32_e32 v40, 29, v40
	v_and_b32_e32 v42, 7, v52
	v_cmp_gt_u32_e32 vcc, 8, v20
	v_cndmask_b32_e32 v20, v34, v40, vcc
	v_cndmask_b32_e32 v32, v32, v42, vcc
	v_lshlrev_b32_e32 v30, 24, v30
	v_lshlrev_b32_e32 v32, 20, v32
	v_and_b32_e32 v30, 0x80000000, v30
	v_lshl_add_u32 v20, v20, 23, v38
	v_or3_b32 v32, v30, v20, v32
.LBB648_39:                             ;   in Loop: Header=BB648_17 Depth=1
	s_or_b64 exec, exec, s[10:11]
.LBB648_40:                             ;   in Loop: Header=BB648_17 Depth=1
	s_or_b64 exec, exec, s[6:7]
.LBB648_41:                             ;   in Loop: Header=BB648_17 Depth=1
	s_or_b64 exec, exec, s[4:5]
	s_waitcnt vmcnt(2)
	v_cmp_ne_u16_sdwa s[6:7], v18, v35 src0_sel:BYTE_0 src1_sel:DWORD
	v_mov_b32_e32 v30, 0
	v_mov_b32_e32 v34, 0
	s_and_saveexec_b64 s[4:5], s[6:7]
	s_cbranch_execz .LBB648_47
; %bb.42:                               ;   in Loop: Header=BB648_17 Depth=1
	v_cmp_ne_u16_sdwa s[10:11], v18, s13 src0_sel:BYTE_0 src1_sel:DWORD
	v_bfrev_b32_e32 v34, 1
	s_and_saveexec_b64 s[6:7], s[10:11]
	s_cbranch_execz .LBB648_46
; %bb.43:                               ;   in Loop: Header=BB648_17 Depth=1
	v_and_b32_e32 v20, 0x7f, v18
	v_cmp_ne_u32_e32 vcc, s14, v20
	v_mov_b32_e32 v34, 0x7f800001
	s_and_saveexec_b64 s[10:11], vcc
	s_cbranch_execz .LBB648_45
; %bb.44:                               ;   in Loop: Header=BB648_17 Depth=1
	v_and_b32_e32 v34, 7, v18
	v_ffbh_u32_e32 v42, v34
	v_min_u32_e32 v42, 32, v42
	v_subrev_u32_e32 v44, 28, v42
	v_lshlrev_b64 v[52:53], v44, v[18:19]
	v_lshrrev_b32_e32 v40, 3, v20
	v_sub_u32_e32 v42, 29, v42
	v_and_b32_e32 v44, 7, v52
	v_cmp_gt_u32_e32 vcc, 8, v20
	v_cndmask_b32_e32 v20, v40, v42, vcc
	v_cndmask_b32_e32 v34, v34, v44, vcc
	v_lshlrev_b32_e32 v40, 24, v18
	v_lshlrev_b32_e32 v34, 20, v34
	v_and_b32_e32 v40, 0x80000000, v40
	v_lshl_add_u32 v20, v20, 23, v38
	v_or3_b32 v34, v40, v20, v34
.LBB648_45:                             ;   in Loop: Header=BB648_17 Depth=1
	s_or_b64 exec, exec, s[10:11]
.LBB648_46:                             ;   in Loop: Header=BB648_17 Depth=1
	s_or_b64 exec, exec, s[6:7]
.LBB648_47:                             ;   in Loop: Header=BB648_17 Depth=1
	s_or_b64 exec, exec, s[4:5]
	v_lshrrev_b16_e32 v20, 8, v18
	v_cmp_ne_u16_e32 vcc, 0, v20
	s_and_saveexec_b64 s[4:5], vcc
	s_cbranch_execz .LBB648_53
; %bb.48:                               ;   in Loop: Header=BB648_17 Depth=1
	v_cmp_ne_u16_e32 vcc, s13, v20
	v_bfrev_b32_e32 v30, 1
	s_and_saveexec_b64 s[6:7], vcc
	s_cbranch_execz .LBB648_52
; %bb.49:                               ;   in Loop: Header=BB648_17 Depth=1
	v_and_b32_e32 v40, 0x7f, v20
	v_cmp_ne_u32_e32 vcc, s14, v40
	v_mov_b32_e32 v30, 0x7f800001
	s_and_saveexec_b64 s[10:11], vcc
	s_cbranch_execz .LBB648_51
; %bb.50:                               ;   in Loop: Header=BB648_17 Depth=1
	v_and_b32_e32 v30, 7, v20
	v_ffbh_u32_e32 v44, v30
	v_min_u32_e32 v44, 32, v44
	v_subrev_u32_e32 v52, 28, v44
	v_lshlrev_b64 v[52:53], v52, v[20:21]
	v_lshrrev_b32_e32 v42, 3, v40
	v_sub_u32_e32 v20, 29, v44
	v_and_b32_e32 v44, 7, v52
	v_cmp_gt_u32_e32 vcc, 8, v40
	v_cndmask_b32_e32 v20, v42, v20, vcc
	v_cndmask_b32_e32 v30, v30, v44, vcc
	v_lshlrev_b32_e32 v40, 16, v18
	v_lshlrev_b32_e32 v30, 20, v30
	v_and_b32_e32 v40, 0x80000000, v40
	v_lshl_add_u32 v20, v20, 23, v38
	v_or3_b32 v30, v40, v20, v30
.LBB648_51:                             ;   in Loop: Header=BB648_17 Depth=1
	s_or_b64 exec, exec, s[10:11]
.LBB648_52:                             ;   in Loop: Header=BB648_17 Depth=1
	s_or_b64 exec, exec, s[6:7]
.LBB648_53:                             ;   in Loop: Header=BB648_17 Depth=1
	s_or_b64 exec, exec, s[4:5]
	v_lshrrev_b32_e32 v20, 16, v18
	v_cmp_ne_u16_sdwa s[6:7], v20, v35 src0_sel:BYTE_0 src1_sel:DWORD
	v_mov_b32_e32 v42, 0
	v_mov_b32_e32 v40, 0
	s_and_saveexec_b64 s[4:5], s[6:7]
	s_cbranch_execz .LBB648_59
; %bb.54:                               ;   in Loop: Header=BB648_17 Depth=1
	v_cmp_ne_u16_sdwa s[10:11], v20, s13 src0_sel:BYTE_0 src1_sel:DWORD
	v_bfrev_b32_e32 v40, 1
	s_and_saveexec_b64 s[6:7], s[10:11]
	s_cbranch_execz .LBB648_58
; %bb.55:                               ;   in Loop: Header=BB648_17 Depth=1
	v_bfe_u32 v44, v18, 16, 7
	v_cmp_ne_u32_e32 vcc, s14, v44
	v_mov_b32_e32 v40, 0x7f800001
	s_and_saveexec_b64 s[10:11], vcc
	s_cbranch_execz .LBB648_57
; %bb.56:                               ;   in Loop: Header=BB648_17 Depth=1
	v_and_b32_e32 v40, 7, v20
	v_ffbh_u32_e32 v52, v40
	v_min_u32_e32 v55, 32, v52
	v_subrev_u32_e32 v52, 28, v55
	v_lshlrev_b64 v[52:53], v52, v[20:21]
	v_lshrrev_b32_e32 v54, 3, v44
	v_sub_u32_e32 v53, 29, v55
	v_and_b32_e32 v52, 7, v52
	v_cmp_gt_u32_e32 vcc, 8, v44
	v_cndmask_b32_e32 v44, v54, v53, vcc
	v_cndmask_b32_e32 v40, v40, v52, vcc
	v_lshlrev_b32_e32 v20, 24, v20
	v_lshlrev_b32_e32 v40, 20, v40
	v_and_b32_e32 v20, 0x80000000, v20
	v_lshl_add_u32 v44, v44, 23, v38
	v_or3_b32 v40, v20, v44, v40
.LBB648_57:                             ;   in Loop: Header=BB648_17 Depth=1
	s_or_b64 exec, exec, s[10:11]
.LBB648_58:                             ;   in Loop: Header=BB648_17 Depth=1
	s_or_b64 exec, exec, s[6:7]
.LBB648_59:                             ;   in Loop: Header=BB648_17 Depth=1
	s_or_b64 exec, exec, s[4:5]
	v_cmp_lt_u32_e32 vcc, s15, v18
	s_and_saveexec_b64 s[4:5], vcc
	s_cbranch_execz .LBB648_65
; %bb.60:                               ;   in Loop: Header=BB648_17 Depth=1
	v_lshrrev_b32_e32 v20, 24, v18
	v_cmp_ne_u32_e32 vcc, s13, v20
	v_bfrev_b32_e32 v42, 1
	s_and_saveexec_b64 s[6:7], vcc
	s_cbranch_execz .LBB648_64
; %bb.61:                               ;   in Loop: Header=BB648_17 Depth=1
	v_bfe_u32 v18, v18, 24, 7
	v_cmp_ne_u32_e32 vcc, s14, v18
	v_mov_b32_e32 v42, 0x7f800001
	s_and_saveexec_b64 s[10:11], vcc
	s_cbranch_execz .LBB648_63
; %bb.62:                               ;   in Loop: Header=BB648_17 Depth=1
	v_and_b32_e32 v42, 7, v20
	v_ffbh_u32_e32 v52, v42
	v_min_u32_e32 v54, 32, v52
	v_subrev_u32_e32 v52, 28, v54
	v_lshlrev_b64 v[52:53], v52, v[20:21]
	v_lshrrev_b32_e32 v44, 3, v18
	v_sub_u32_e32 v53, 29, v54
	v_and_b32_e32 v52, 7, v52
	v_cmp_gt_u32_e32 vcc, 8, v18
	v_cndmask_b32_e32 v18, v44, v53, vcc
	v_cndmask_b32_e32 v42, v42, v52, vcc
	v_lshlrev_b32_e32 v20, 24, v20
	v_lshlrev_b32_e32 v42, 20, v42
	v_and_b32_e32 v20, 0x80000000, v20
	v_lshl_add_u32 v18, v18, 23, v38
	v_or3_b32 v42, v20, v18, v42
.LBB648_63:                             ;   in Loop: Header=BB648_17 Depth=1
	s_or_b64 exec, exec, s[10:11]
.LBB648_64:                             ;   in Loop: Header=BB648_17 Depth=1
	s_or_b64 exec, exec, s[6:7]
.LBB648_65:                             ;   in Loop: Header=BB648_17 Depth=1
	s_or_b64 exec, exec, s[4:5]
	v_cvt_pkrtz_f16_f32 v18, v21, v19
	v_cvt_pkrtz_f16_f32 v19, v23, v32
	v_cvt_pkrtz_f16_f32 v52, v34, v30
	v_cvt_pkrtz_f16_f32 v53, v40, v42
	v_mov_b32_e32 v32, 0
	v_mfma_f32_16x16x16f16 v[18:21], v[18:19], v[2:3], 0
	s_waitcnt vmcnt(1)
	v_cmp_ne_u16_sdwa s[6:7], v28, v35 src0_sel:BYTE_0 src1_sel:DWORD
	v_mov_b32_e32 v34, 0
	v_mfma_f32_16x16x16f16 v[18:21], v[52:53], v[4:5], v[18:21]
	s_and_saveexec_b64 s[4:5], s[6:7]
	s_cbranch_execz .LBB648_71
; %bb.66:                               ;   in Loop: Header=BB648_17 Depth=1
	v_cmp_ne_u16_sdwa s[10:11], v28, s13 src0_sel:BYTE_0 src1_sel:DWORD
	v_bfrev_b32_e32 v34, 1
	s_and_saveexec_b64 s[6:7], s[10:11]
	s_cbranch_execz .LBB648_70
; %bb.67:                               ;   in Loop: Header=BB648_17 Depth=1
	v_and_b32_e32 v23, 0x7f, v28
	v_cmp_ne_u32_e32 vcc, s14, v23
	v_mov_b32_e32 v34, 0x7f800001
	s_and_saveexec_b64 s[10:11], vcc
	s_cbranch_execz .LBB648_69
; %bb.68:                               ;   in Loop: Header=BB648_17 Depth=1
	v_and_b32_e32 v30, 7, v28
	v_ffbh_u32_e32 v40, v30
	v_min_u32_e32 v40, 32, v40
	v_subrev_u32_e32 v42, 28, v40
	v_lshlrev_b64 v[52:53], v42, v[28:29]
	v_lshrrev_b32_e32 v34, 3, v23
	v_sub_u32_e32 v40, 29, v40
	v_and_b32_e32 v42, 7, v52
	v_cmp_gt_u32_e32 vcc, 8, v23
	v_cndmask_b32_e32 v23, v34, v40, vcc
	v_cndmask_b32_e32 v30, v30, v42, vcc
	v_lshlrev_b32_e32 v34, 24, v28
	v_lshlrev_b32_e32 v30, 20, v30
	v_and_b32_e32 v34, 0x80000000, v34
	v_lshl_add_u32 v23, v23, 23, v38
	v_or3_b32 v34, v34, v23, v30
.LBB648_69:                             ;   in Loop: Header=BB648_17 Depth=1
	s_or_b64 exec, exec, s[10:11]
.LBB648_70:                             ;   in Loop: Header=BB648_17 Depth=1
	s_or_b64 exec, exec, s[6:7]
.LBB648_71:                             ;   in Loop: Header=BB648_17 Depth=1
	s_or_b64 exec, exec, s[4:5]
	v_lshrrev_b16_e32 v30, 8, v28
	v_cmp_ne_u16_e32 vcc, 0, v30
	v_mov_b32_e32 v40, 0
	s_and_saveexec_b64 s[4:5], vcc
	s_cbranch_execz .LBB648_77
; %bb.72:                               ;   in Loop: Header=BB648_17 Depth=1
	v_cmp_ne_u16_e32 vcc, s13, v30
	v_bfrev_b32_e32 v40, 1
	s_and_saveexec_b64 s[6:7], vcc
	s_cbranch_execz .LBB648_76
; %bb.73:                               ;   in Loop: Header=BB648_17 Depth=1
	v_and_b32_e32 v23, 0x7f, v30
	v_cmp_ne_u32_e32 vcc, s14, v23
	v_mov_b32_e32 v40, 0x7f800001
	s_and_saveexec_b64 s[10:11], vcc
	s_cbranch_execz .LBB648_75
; %bb.74:                               ;   in Loop: Header=BB648_17 Depth=1
	v_and_b32_e32 v40, 7, v30
	v_ffbh_u32_e32 v44, v40
	v_min_u32_e32 v44, 32, v44
	v_subrev_u32_e32 v52, 28, v44
	v_lshlrev_b64 v[52:53], v52, v[30:31]
	v_lshrrev_b32_e32 v42, 3, v23
	v_sub_u32_e32 v30, 29, v44
	v_and_b32_e32 v44, 7, v52
	v_cmp_gt_u32_e32 vcc, 8, v23
	v_cndmask_b32_e32 v23, v42, v30, vcc
	v_cndmask_b32_e32 v30, v40, v44, vcc
	v_lshlrev_b32_e32 v40, 16, v28
	v_lshlrev_b32_e32 v30, 20, v30
	v_and_b32_e32 v40, 0x80000000, v40
	v_lshl_add_u32 v23, v23, 23, v38
	v_or3_b32 v40, v40, v23, v30
.LBB648_75:                             ;   in Loop: Header=BB648_17 Depth=1
	s_or_b64 exec, exec, s[10:11]
.LBB648_76:                             ;   in Loop: Header=BB648_17 Depth=1
	s_or_b64 exec, exec, s[6:7]
.LBB648_77:                             ;   in Loop: Header=BB648_17 Depth=1
	s_or_b64 exec, exec, s[4:5]
	v_lshrrev_b32_e32 v30, 16, v28
	v_cmp_ne_u16_sdwa s[6:7], v30, v35 src0_sel:BYTE_0 src1_sel:DWORD
	s_and_saveexec_b64 s[4:5], s[6:7]
	s_cbranch_execz .LBB648_83
; %bb.78:                               ;   in Loop: Header=BB648_17 Depth=1
	v_cmp_ne_u16_sdwa s[10:11], v30, s13 src0_sel:BYTE_0 src1_sel:DWORD
	v_bfrev_b32_e32 v32, 1
	s_and_saveexec_b64 s[6:7], s[10:11]
	s_cbranch_execz .LBB648_82
; %bb.79:                               ;   in Loop: Header=BB648_17 Depth=1
	v_bfe_u32 v23, v28, 16, 7
	v_cmp_ne_u32_e32 vcc, s14, v23
	v_mov_b32_e32 v32, 0x7f800001
	s_and_saveexec_b64 s[10:11], vcc
	s_cbranch_execz .LBB648_81
; %bb.80:                               ;   in Loop: Header=BB648_17 Depth=1
	v_and_b32_e32 v32, 7, v30
	v_ffbh_u32_e32 v44, v32
	v_min_u32_e32 v44, 32, v44
	v_subrev_u32_e32 v52, 28, v44
	v_lshlrev_b64 v[52:53], v52, v[30:31]
	v_lshrrev_b32_e32 v42, 3, v23
	v_sub_u32_e32 v44, 29, v44
	v_and_b32_e32 v52, 7, v52
	v_cmp_gt_u32_e32 vcc, 8, v23
	v_cndmask_b32_e32 v23, v42, v44, vcc
	v_cndmask_b32_e32 v32, v32, v52, vcc
	v_lshlrev_b32_e32 v30, 24, v30
	v_lshlrev_b32_e32 v32, 20, v32
	v_and_b32_e32 v30, 0x80000000, v30
	v_lshl_add_u32 v23, v23, 23, v38
	v_or3_b32 v32, v30, v23, v32
.LBB648_81:                             ;   in Loop: Header=BB648_17 Depth=1
	s_or_b64 exec, exec, s[10:11]
.LBB648_82:                             ;   in Loop: Header=BB648_17 Depth=1
	s_or_b64 exec, exec, s[6:7]
.LBB648_83:                             ;   in Loop: Header=BB648_17 Depth=1
	s_or_b64 exec, exec, s[4:5]
	v_cmp_lt_u32_e32 vcc, s15, v28
	v_mov_b32_e32 v42, 0
	v_mov_b32_e32 v44, 0
	s_and_saveexec_b64 s[4:5], vcc
	s_cbranch_execz .LBB648_89
; %bb.84:                               ;   in Loop: Header=BB648_17 Depth=1
	v_lshrrev_b32_e32 v30, 24, v28
	v_cmp_ne_u32_e32 vcc, s13, v30
	v_bfrev_b32_e32 v44, 1
	s_and_saveexec_b64 s[6:7], vcc
	s_cbranch_execz .LBB648_88
; %bb.85:                               ;   in Loop: Header=BB648_17 Depth=1
	v_bfe_u32 v23, v28, 24, 7
	v_cmp_ne_u32_e32 vcc, s14, v23
	v_mov_b32_e32 v44, 0x7f800001
	s_and_saveexec_b64 s[10:11], vcc
	s_cbranch_execz .LBB648_87
; %bb.86:                               ;   in Loop: Header=BB648_17 Depth=1
	v_and_b32_e32 v28, 7, v30
	v_ffbh_u32_e32 v52, v28
	v_min_u32_e32 v54, 32, v52
	v_subrev_u32_e32 v52, 28, v54
	v_lshlrev_b64 v[52:53], v52, v[30:31]
	v_lshrrev_b32_e32 v44, 3, v23
	v_sub_u32_e32 v53, 29, v54
	v_and_b32_e32 v52, 7, v52
	v_cmp_gt_u32_e32 vcc, 8, v23
	v_cndmask_b32_e32 v23, v44, v53, vcc
	v_cndmask_b32_e32 v28, v28, v52, vcc
	v_lshlrev_b32_e32 v30, 24, v30
	v_lshlrev_b32_e32 v28, 20, v28
	v_and_b32_e32 v30, 0x80000000, v30
	v_lshl_add_u32 v23, v23, 23, v38
	v_or3_b32 v44, v30, v23, v28
.LBB648_87:                             ;   in Loop: Header=BB648_17 Depth=1
	s_or_b64 exec, exec, s[10:11]
.LBB648_88:                             ;   in Loop: Header=BB648_17 Depth=1
	s_or_b64 exec, exec, s[6:7]
.LBB648_89:                             ;   in Loop: Header=BB648_17 Depth=1
	s_or_b64 exec, exec, s[4:5]
	s_waitcnt vmcnt(0)
	v_cmp_ne_u16_sdwa s[6:7], v26, v35 src0_sel:BYTE_0 src1_sel:DWORD
	s_and_saveexec_b64 s[4:5], s[6:7]
	s_cbranch_execz .LBB648_95
; %bb.90:                               ;   in Loop: Header=BB648_17 Depth=1
	v_cmp_ne_u16_sdwa s[10:11], v26, s13 src0_sel:BYTE_0 src1_sel:DWORD
	v_bfrev_b32_e32 v42, 1
	s_and_saveexec_b64 s[6:7], s[10:11]
	s_cbranch_execz .LBB648_94
; %bb.91:                               ;   in Loop: Header=BB648_17 Depth=1
	v_and_b32_e32 v23, 0x7f, v26
	v_cmp_ne_u32_e32 vcc, s14, v23
	v_mov_b32_e32 v42, 0x7f800001
	s_and_saveexec_b64 s[10:11], vcc
	s_cbranch_execz .LBB648_93
; %bb.92:                               ;   in Loop: Header=BB648_17 Depth=1
	v_and_b32_e32 v28, 7, v26
	v_ffbh_u32_e32 v42, v28
	v_min_u32_e32 v42, 32, v42
	v_subrev_u32_e32 v52, 28, v42
	v_lshlrev_b64 v[52:53], v52, v[26:27]
	v_lshrrev_b32_e32 v30, 3, v23
	v_sub_u32_e32 v42, 29, v42
	v_and_b32_e32 v52, 7, v52
	v_cmp_gt_u32_e32 vcc, 8, v23
	v_cndmask_b32_e32 v23, v30, v42, vcc
	v_cndmask_b32_e32 v28, v28, v52, vcc
	v_lshlrev_b32_e32 v30, 24, v26
	v_lshlrev_b32_e32 v28, 20, v28
	v_and_b32_e32 v30, 0x80000000, v30
	v_lshl_add_u32 v23, v23, 23, v38
	v_or3_b32 v42, v30, v23, v28
.LBB648_93:                             ;   in Loop: Header=BB648_17 Depth=1
	s_or_b64 exec, exec, s[10:11]
.LBB648_94:                             ;   in Loop: Header=BB648_17 Depth=1
	s_or_b64 exec, exec, s[6:7]
.LBB648_95:                             ;   in Loop: Header=BB648_17 Depth=1
	s_or_b64 exec, exec, s[4:5]
	v_lshrrev_b16_e32 v28, 8, v26
	v_cmp_ne_u16_e32 vcc, 0, v28
	v_mov_b32_e32 v52, 0
	v_mov_b32_e32 v53, 0
	s_and_saveexec_b64 s[4:5], vcc
	s_cbranch_execz .LBB648_101
; %bb.96:                               ;   in Loop: Header=BB648_17 Depth=1
	v_cmp_ne_u16_e32 vcc, s13, v28
	v_bfrev_b32_e32 v53, 1
	s_and_saveexec_b64 s[6:7], vcc
	s_cbranch_execz .LBB648_100
; %bb.97:                               ;   in Loop: Header=BB648_17 Depth=1
	v_and_b32_e32 v23, 0x7f, v28
	v_cmp_ne_u32_e32 vcc, s14, v23
	v_mov_b32_e32 v53, 0x7f800001
	s_and_saveexec_b64 s[10:11], vcc
	s_cbranch_execz .LBB648_99
; %bb.98:                               ;   in Loop: Header=BB648_17 Depth=1
	v_and_b32_e32 v30, 7, v28
	v_ffbh_u32_e32 v54, v30
	v_min_u32_e32 v56, 32, v54
	v_subrev_u32_e32 v54, 28, v56
	v_lshlrev_b64 v[54:55], v54, v[28:29]
	v_lshrrev_b32_e32 v53, 3, v23
	v_sub_u32_e32 v28, 29, v56
	v_and_b32_e32 v54, 7, v54
	v_cmp_gt_u32_e32 vcc, 8, v23
	v_cndmask_b32_e32 v23, v53, v28, vcc
	v_cndmask_b32_e32 v28, v30, v54, vcc
	v_lshlrev_b32_e32 v30, 16, v26
	v_lshlrev_b32_e32 v28, 20, v28
	v_and_b32_e32 v30, 0x80000000, v30
	v_lshl_add_u32 v23, v23, 23, v38
	v_or3_b32 v53, v30, v23, v28
.LBB648_99:                             ;   in Loop: Header=BB648_17 Depth=1
	s_or_b64 exec, exec, s[10:11]
.LBB648_100:                            ;   in Loop: Header=BB648_17 Depth=1
	s_or_b64 exec, exec, s[6:7]
.LBB648_101:                            ;   in Loop: Header=BB648_17 Depth=1
	s_or_b64 exec, exec, s[4:5]
	v_lshrrev_b32_e32 v28, 16, v26
	v_cmp_ne_u16_sdwa s[6:7], v28, v35 src0_sel:BYTE_0 src1_sel:DWORD
	s_and_saveexec_b64 s[4:5], s[6:7]
	s_cbranch_execz .LBB648_107
; %bb.102:                              ;   in Loop: Header=BB648_17 Depth=1
	v_cmp_ne_u16_sdwa s[10:11], v28, s13 src0_sel:BYTE_0 src1_sel:DWORD
	v_bfrev_b32_e32 v52, 1
	s_and_saveexec_b64 s[6:7], s[10:11]
	s_cbranch_execz .LBB648_106
; %bb.103:                              ;   in Loop: Header=BB648_17 Depth=1
	v_bfe_u32 v23, v26, 16, 7
	v_cmp_ne_u32_e32 vcc, s14, v23
	v_mov_b32_e32 v52, 0x7f800001
	s_and_saveexec_b64 s[10:11], vcc
	s_cbranch_execz .LBB648_105
; %bb.104:                              ;   in Loop: Header=BB648_17 Depth=1
	v_and_b32_e32 v30, 7, v28
	v_ffbh_u32_e32 v54, v30
	v_min_u32_e32 v56, 32, v54
	v_subrev_u32_e32 v54, 28, v56
	v_lshlrev_b64 v[54:55], v54, v[28:29]
	v_lshrrev_b32_e32 v52, 3, v23
	v_sub_u32_e32 v55, 29, v56
	v_and_b32_e32 v54, 7, v54
	v_cmp_gt_u32_e32 vcc, 8, v23
	v_cndmask_b32_e32 v23, v52, v55, vcc
	v_cndmask_b32_e32 v30, v30, v54, vcc
	v_lshlrev_b32_e32 v28, 24, v28
	v_lshlrev_b32_e32 v30, 20, v30
	v_and_b32_e32 v28, 0x80000000, v28
	v_lshl_add_u32 v23, v23, 23, v38
	v_or3_b32 v52, v28, v23, v30
.LBB648_105:                            ;   in Loop: Header=BB648_17 Depth=1
	s_or_b64 exec, exec, s[10:11]
.LBB648_106:                            ;   in Loop: Header=BB648_17 Depth=1
	s_or_b64 exec, exec, s[6:7]
.LBB648_107:                            ;   in Loop: Header=BB648_17 Depth=1
	s_or_b64 exec, exec, s[4:5]
	v_cmp_lt_u32_e32 vcc, s15, v26
	v_mov_b32_e32 v23, 0
	v_mov_b32_e32 v54, 0
	s_and_saveexec_b64 s[4:5], vcc
	s_cbranch_execz .LBB648_113
; %bb.108:                              ;   in Loop: Header=BB648_17 Depth=1
	v_lshrrev_b32_e32 v28, 24, v26
	v_cmp_ne_u32_e32 vcc, s13, v28
	v_bfrev_b32_e32 v54, 1
	s_and_saveexec_b64 s[6:7], vcc
	s_cbranch_execz .LBB648_112
; %bb.109:                              ;   in Loop: Header=BB648_17 Depth=1
	v_bfe_u32 v26, v26, 24, 7
	v_cmp_ne_u32_e32 vcc, s14, v26
	v_mov_b32_e32 v54, 0x7f800001
	s_and_saveexec_b64 s[10:11], vcc
	s_cbranch_execz .LBB648_111
; %bb.110:                              ;   in Loop: Header=BB648_17 Depth=1
	v_and_b32_e32 v30, 7, v28
	v_ffbh_u32_e32 v54, v30
	v_min_u32_e32 v57, 32, v54
	v_subrev_u32_e32 v54, 28, v57
	v_lshlrev_b64 v[54:55], v54, v[28:29]
	v_lshrrev_b32_e32 v56, 3, v26
	v_sub_u32_e32 v55, 29, v57
	v_and_b32_e32 v54, 7, v54
	v_cmp_gt_u32_e32 vcc, 8, v26
	v_cndmask_b32_e32 v26, v56, v55, vcc
	v_cndmask_b32_e32 v30, v30, v54, vcc
	v_lshlrev_b32_e32 v28, 24, v28
	v_lshlrev_b32_e32 v30, 20, v30
	v_and_b32_e32 v28, 0x80000000, v28
	v_lshl_add_u32 v26, v26, 23, v38
	v_or3_b32 v54, v28, v26, v30
.LBB648_111:                            ;   in Loop: Header=BB648_17 Depth=1
	s_or_b64 exec, exec, s[10:11]
.LBB648_112:                            ;   in Loop: Header=BB648_17 Depth=1
	s_or_b64 exec, exec, s[6:7]
.LBB648_113:                            ;   in Loop: Header=BB648_17 Depth=1
	s_or_b64 exec, exec, s[4:5]
	v_cvt_pkrtz_f16_f32 v57, v32, v44
	buffer_load_dword v32, v36, s[0:3], 0 offen offset:16
	buffer_load_dword v30, v36, s[0:3], 0 offen offset:20
	buffer_load_dword v28, v36, s[0:3], 0 offen offset:24
	buffer_load_dword v26, v36, s[0:3], 0 offen offset:28
	v_cvt_pkrtz_f16_f32 v56, v34, v40
	s_waitcnt vmcnt(3)
	v_cmp_ne_u16_sdwa s[6:7], v32, v35 src0_sel:BYTE_0 src1_sel:DWORD
	v_mfma_f32_16x16x16f16 v[18:21], v[56:57], v[6:7], v[18:21]
	v_cvt_pkrtz_f16_f32 v56, v42, v53
	v_cvt_pkrtz_f16_f32 v57, v52, v54
	s_nop 1
	v_mfma_f32_16x16x16f16 v[18:21], v[56:57], v[8:9], v[18:21]
	s_and_saveexec_b64 s[4:5], s[6:7]
	s_cbranch_execz .LBB648_119
; %bb.114:                              ;   in Loop: Header=BB648_17 Depth=1
	v_cmp_ne_u16_sdwa s[10:11], v32, s13 src0_sel:BYTE_0 src1_sel:DWORD
	v_bfrev_b32_e32 v23, 1
	s_and_saveexec_b64 s[6:7], s[10:11]
	s_cbranch_execz .LBB648_118
; %bb.115:                              ;   in Loop: Header=BB648_17 Depth=1
	v_and_b32_e32 v34, 0x7f, v32
	v_cmp_ne_u32_e32 vcc, s14, v34
	v_mov_b32_e32 v23, 0x7f800001
	s_and_saveexec_b64 s[10:11], vcc
	s_cbranch_execz .LBB648_117
; %bb.116:                              ;   in Loop: Header=BB648_17 Depth=1
	v_and_b32_e32 v23, 7, v32
	v_ffbh_u32_e32 v42, v23
	v_min_u32_e32 v42, 32, v42
	v_subrev_u32_e32 v44, 28, v42
	v_lshlrev_b64 v[52:53], v44, v[32:33]
	v_lshrrev_b32_e32 v40, 3, v34
	v_sub_u32_e32 v42, 29, v42
	v_and_b32_e32 v44, 7, v52
	v_cmp_gt_u32_e32 vcc, 8, v34
	v_cndmask_b32_e32 v34, v40, v42, vcc
	v_cndmask_b32_e32 v23, v23, v44, vcc
	v_lshlrev_b32_e32 v40, 24, v32
	v_lshlrev_b32_e32 v23, 20, v23
	v_and_b32_e32 v40, 0x80000000, v40
	v_lshl_add_u32 v34, v34, 23, v38
	v_or3_b32 v23, v40, v34, v23
.LBB648_117:                            ;   in Loop: Header=BB648_17 Depth=1
	s_or_b64 exec, exec, s[10:11]
.LBB648_118:                            ;   in Loop: Header=BB648_17 Depth=1
	s_or_b64 exec, exec, s[6:7]
.LBB648_119:                            ;   in Loop: Header=BB648_17 Depth=1
	s_or_b64 exec, exec, s[4:5]
	v_lshrrev_b16_e32 v34, 8, v32
	v_cmp_ne_u16_e32 vcc, 0, v34
	v_mov_b32_e32 v40, 0
	v_mov_b32_e32 v42, 0
	s_and_saveexec_b64 s[4:5], vcc
	s_cbranch_execz .LBB648_125
; %bb.120:                              ;   in Loop: Header=BB648_17 Depth=1
	v_cmp_ne_u16_e32 vcc, s13, v34
	v_bfrev_b32_e32 v42, 1
	s_and_saveexec_b64 s[6:7], vcc
	s_cbranch_execz .LBB648_124
; %bb.121:                              ;   in Loop: Header=BB648_17 Depth=1
	v_and_b32_e32 v44, 0x7f, v34
	v_cmp_ne_u32_e32 vcc, s14, v44
	v_mov_b32_e32 v42, 0x7f800001
	s_and_saveexec_b64 s[10:11], vcc
	s_cbranch_execz .LBB648_123
; %bb.122:                              ;   in Loop: Header=BB648_17 Depth=1
	v_and_b32_e32 v42, 7, v34
	v_ffbh_u32_e32 v52, v42
	v_min_u32_e32 v55, 32, v52
	v_subrev_u32_e32 v52, 28, v55
	v_lshlrev_b64 v[52:53], v52, v[34:35]
	v_lshrrev_b32_e32 v54, 3, v44
	v_sub_u32_e32 v34, 29, v55
	v_and_b32_e32 v52, 7, v52
	v_cmp_gt_u32_e32 vcc, 8, v44
	v_cndmask_b32_e32 v34, v54, v34, vcc
	v_cndmask_b32_e32 v42, v42, v52, vcc
	v_lshlrev_b32_e32 v44, 16, v32
	v_lshlrev_b32_e32 v42, 20, v42
	v_and_b32_e32 v44, 0x80000000, v44
	v_lshl_add_u32 v34, v34, 23, v38
	v_or3_b32 v42, v44, v34, v42
.LBB648_123:                            ;   in Loop: Header=BB648_17 Depth=1
	s_or_b64 exec, exec, s[10:11]
.LBB648_124:                            ;   in Loop: Header=BB648_17 Depth=1
	s_or_b64 exec, exec, s[6:7]
.LBB648_125:                            ;   in Loop: Header=BB648_17 Depth=1
	s_or_b64 exec, exec, s[4:5]
	v_lshrrev_b32_e32 v34, 16, v32
	v_cmp_ne_u16_sdwa s[6:7], v34, v35 src0_sel:BYTE_0 src1_sel:DWORD
	s_and_saveexec_b64 s[4:5], s[6:7]
	s_cbranch_execz .LBB648_131
; %bb.126:                              ;   in Loop: Header=BB648_17 Depth=1
	v_cmp_ne_u16_sdwa s[10:11], v34, s13 src0_sel:BYTE_0 src1_sel:DWORD
	v_bfrev_b32_e32 v40, 1
	s_and_saveexec_b64 s[6:7], s[10:11]
	s_cbranch_execz .LBB648_130
; %bb.127:                              ;   in Loop: Header=BB648_17 Depth=1
	v_bfe_u32 v44, v32, 16, 7
	v_cmp_ne_u32_e32 vcc, s14, v44
	v_mov_b32_e32 v40, 0x7f800001
	s_and_saveexec_b64 s[10:11], vcc
	s_cbranch_execz .LBB648_129
; %bb.128:                              ;   in Loop: Header=BB648_17 Depth=1
	v_and_b32_e32 v40, 7, v34
	v_ffbh_u32_e32 v52, v40
	v_min_u32_e32 v55, 32, v52
	v_subrev_u32_e32 v52, 28, v55
	v_lshlrev_b64 v[52:53], v52, v[34:35]
	v_lshrrev_b32_e32 v54, 3, v44
	v_sub_u32_e32 v53, 29, v55
	v_and_b32_e32 v52, 7, v52
	v_cmp_gt_u32_e32 vcc, 8, v44
	v_cndmask_b32_e32 v44, v54, v53, vcc
	v_cndmask_b32_e32 v40, v40, v52, vcc
	v_lshlrev_b32_e32 v34, 24, v34
	v_lshlrev_b32_e32 v40, 20, v40
	v_and_b32_e32 v34, 0x80000000, v34
	v_lshl_add_u32 v44, v44, 23, v38
	v_or3_b32 v40, v34, v44, v40
.LBB648_129:                            ;   in Loop: Header=BB648_17 Depth=1
	s_or_b64 exec, exec, s[10:11]
.LBB648_130:                            ;   in Loop: Header=BB648_17 Depth=1
	s_or_b64 exec, exec, s[6:7]
.LBB648_131:                            ;   in Loop: Header=BB648_17 Depth=1
	s_or_b64 exec, exec, s[4:5]
	v_cmp_lt_u32_e32 vcc, s15, v32
	v_mov_b32_e32 v44, 0
	v_mov_b32_e32 v52, 0
	s_and_saveexec_b64 s[4:5], vcc
	s_cbranch_execz .LBB648_137
; %bb.132:                              ;   in Loop: Header=BB648_17 Depth=1
	v_lshrrev_b32_e32 v34, 24, v32
	v_cmp_ne_u32_e32 vcc, s13, v34
	v_bfrev_b32_e32 v52, 1
	s_and_saveexec_b64 s[6:7], vcc
	s_cbranch_execz .LBB648_136
; %bb.133:                              ;   in Loop: Header=BB648_17 Depth=1
	v_bfe_u32 v32, v32, 24, 7
	v_cmp_ne_u32_e32 vcc, s14, v32
	v_mov_b32_e32 v52, 0x7f800001
	s_and_saveexec_b64 s[10:11], vcc
	s_cbranch_execz .LBB648_135
; %bb.134:                              ;   in Loop: Header=BB648_17 Depth=1
	v_and_b32_e32 v54, 7, v34
	v_ffbh_u32_e32 v52, v54
	v_min_u32_e32 v56, 32, v52
	v_subrev_u32_e32 v52, 28, v56
	v_lshlrev_b64 v[52:53], v52, v[34:35]
	v_lshrrev_b32_e32 v55, 3, v32
	v_sub_u32_e32 v53, 29, v56
	v_and_b32_e32 v52, 7, v52
	v_cmp_gt_u32_e32 vcc, 8, v32
	v_cndmask_b32_e32 v32, v55, v53, vcc
	v_cndmask_b32_e32 v52, v54, v52, vcc
	v_lshlrev_b32_e32 v34, 24, v34
	v_lshlrev_b32_e32 v52, 20, v52
	v_and_b32_e32 v34, 0x80000000, v34
	v_lshl_add_u32 v32, v32, 23, v38
	v_or3_b32 v52, v34, v32, v52
.LBB648_135:                            ;   in Loop: Header=BB648_17 Depth=1
	s_or_b64 exec, exec, s[10:11]
.LBB648_136:                            ;   in Loop: Header=BB648_17 Depth=1
	s_or_b64 exec, exec, s[6:7]
.LBB648_137:                            ;   in Loop: Header=BB648_17 Depth=1
	s_or_b64 exec, exec, s[4:5]
	s_waitcnt vmcnt(2)
	v_cmp_ne_u16_sdwa s[6:7], v30, v35 src0_sel:BYTE_0 src1_sel:DWORD
	s_and_saveexec_b64 s[4:5], s[6:7]
	s_cbranch_execz .LBB648_143
; %bb.138:                              ;   in Loop: Header=BB648_17 Depth=1
	v_cmp_ne_u16_sdwa s[10:11], v30, s13 src0_sel:BYTE_0 src1_sel:DWORD
	v_bfrev_b32_e32 v44, 1
	s_and_saveexec_b64 s[6:7], s[10:11]
	s_cbranch_execz .LBB648_142
; %bb.139:                              ;   in Loop: Header=BB648_17 Depth=1
	v_and_b32_e32 v32, 0x7f, v30
	v_cmp_ne_u32_e32 vcc, s14, v32
	v_mov_b32_e32 v44, 0x7f800001
	s_and_saveexec_b64 s[10:11], vcc
	s_cbranch_execz .LBB648_141
; %bb.140:                              ;   in Loop: Header=BB648_17 Depth=1
	v_and_b32_e32 v34, 7, v30
	v_ffbh_u32_e32 v53, v34
	v_min_u32_e32 v53, 32, v53
	v_subrev_u32_e32 v54, 28, v53
	v_lshlrev_b64 v[54:55], v54, v[30:31]
	v_lshrrev_b32_e32 v44, 3, v32
	v_sub_u32_e32 v53, 29, v53
	v_and_b32_e32 v54, 7, v54
	v_cmp_gt_u32_e32 vcc, 8, v32
	v_cndmask_b32_e32 v32, v44, v53, vcc
	v_cndmask_b32_e32 v34, v34, v54, vcc
	v_lshlrev_b32_e32 v44, 24, v30
	v_lshlrev_b32_e32 v34, 20, v34
	v_and_b32_e32 v44, 0x80000000, v44
	v_lshl_add_u32 v32, v32, 23, v38
	v_or3_b32 v44, v44, v32, v34
.LBB648_141:                            ;   in Loop: Header=BB648_17 Depth=1
	s_or_b64 exec, exec, s[10:11]
.LBB648_142:                            ;   in Loop: Header=BB648_17 Depth=1
	s_or_b64 exec, exec, s[6:7]
.LBB648_143:                            ;   in Loop: Header=BB648_17 Depth=1
	s_or_b64 exec, exec, s[4:5]
	v_lshrrev_b16_e32 v32, 8, v30
	v_cmp_ne_u16_e32 vcc, 0, v32
	v_mov_b32_e32 v53, 0
	v_mov_b32_e32 v54, 0
	s_and_saveexec_b64 s[4:5], vcc
	s_cbranch_execz .LBB648_149
; %bb.144:                              ;   in Loop: Header=BB648_17 Depth=1
	v_cmp_ne_u16_e32 vcc, s13, v32
	v_bfrev_b32_e32 v54, 1
	s_and_saveexec_b64 s[6:7], vcc
	s_cbranch_execz .LBB648_148
; %bb.145:                              ;   in Loop: Header=BB648_17 Depth=1
	v_and_b32_e32 v34, 0x7f, v32
	v_cmp_ne_u32_e32 vcc, s14, v34
	v_mov_b32_e32 v54, 0x7f800001
	s_and_saveexec_b64 s[10:11], vcc
	s_cbranch_execz .LBB648_147
; %bb.146:                              ;   in Loop: Header=BB648_17 Depth=1
	v_and_b32_e32 v56, 7, v32
	v_ffbh_u32_e32 v54, v56
	v_min_u32_e32 v58, 32, v54
	v_subrev_u32_e32 v54, 28, v58
	v_lshlrev_b64 v[54:55], v54, v[32:33]
	v_lshrrev_b32_e32 v57, 3, v34
	v_sub_u32_e32 v32, 29, v58
	v_and_b32_e32 v54, 7, v54
	v_cmp_gt_u32_e32 vcc, 8, v34
	v_cndmask_b32_e32 v32, v57, v32, vcc
	v_cndmask_b32_e32 v34, v56, v54, vcc
	v_lshlrev_b32_e32 v54, 16, v30
	v_lshlrev_b32_e32 v34, 20, v34
	v_and_b32_e32 v54, 0x80000000, v54
	v_lshl_add_u32 v32, v32, 23, v38
	v_or3_b32 v54, v54, v32, v34
.LBB648_147:                            ;   in Loop: Header=BB648_17 Depth=1
	s_or_b64 exec, exec, s[10:11]
.LBB648_148:                            ;   in Loop: Header=BB648_17 Depth=1
	s_or_b64 exec, exec, s[6:7]
.LBB648_149:                            ;   in Loop: Header=BB648_17 Depth=1
	s_or_b64 exec, exec, s[4:5]
	v_lshrrev_b32_e32 v32, 16, v30
	v_cmp_ne_u16_sdwa s[6:7], v32, v35 src0_sel:BYTE_0 src1_sel:DWORD
	s_and_saveexec_b64 s[4:5], s[6:7]
	s_cbranch_execz .LBB648_155
; %bb.150:                              ;   in Loop: Header=BB648_17 Depth=1
	v_cmp_ne_u16_sdwa s[10:11], v32, s13 src0_sel:BYTE_0 src1_sel:DWORD
	v_bfrev_b32_e32 v53, 1
	s_and_saveexec_b64 s[6:7], s[10:11]
	s_cbranch_execz .LBB648_154
; %bb.151:                              ;   in Loop: Header=BB648_17 Depth=1
	v_bfe_u32 v34, v30, 16, 7
	v_cmp_ne_u32_e32 vcc, s14, v34
	v_mov_b32_e32 v53, 0x7f800001
	s_and_saveexec_b64 s[10:11], vcc
	s_cbranch_execz .LBB648_153
; %bb.152:                              ;   in Loop: Header=BB648_17 Depth=1
	v_and_b32_e32 v53, 7, v32
	v_ffbh_u32_e32 v56, v53
	v_min_u32_e32 v58, 32, v56
	v_subrev_u32_e32 v56, 28, v58
	v_lshlrev_b64 v[56:57], v56, v[32:33]
	v_lshrrev_b32_e32 v55, 3, v34
	v_sub_u32_e32 v57, 29, v58
	v_and_b32_e32 v56, 7, v56
	v_cmp_gt_u32_e32 vcc, 8, v34
	v_cndmask_b32_e32 v34, v55, v57, vcc
	v_cndmask_b32_e32 v53, v53, v56, vcc
	v_lshlrev_b32_e32 v32, 24, v32
	v_lshlrev_b32_e32 v53, 20, v53
	v_and_b32_e32 v32, 0x80000000, v32
	v_lshl_add_u32 v34, v34, 23, v38
	v_or3_b32 v53, v32, v34, v53
.LBB648_153:                            ;   in Loop: Header=BB648_17 Depth=1
	s_or_b64 exec, exec, s[10:11]
.LBB648_154:                            ;   in Loop: Header=BB648_17 Depth=1
	s_or_b64 exec, exec, s[6:7]
.LBB648_155:                            ;   in Loop: Header=BB648_17 Depth=1
	s_or_b64 exec, exec, s[4:5]
	v_cmp_lt_u32_e32 vcc, s15, v30
	v_mov_b32_e32 v34, 0
	v_mov_b32_e32 v55, 0
	s_and_saveexec_b64 s[4:5], vcc
	s_cbranch_execz .LBB648_161
; %bb.156:                              ;   in Loop: Header=BB648_17 Depth=1
	v_lshrrev_b32_e32 v32, 24, v30
	v_cmp_ne_u32_e32 vcc, s13, v32
	v_bfrev_b32_e32 v55, 1
	s_and_saveexec_b64 s[6:7], vcc
	s_cbranch_execz .LBB648_160
; %bb.157:                              ;   in Loop: Header=BB648_17 Depth=1
	v_bfe_u32 v30, v30, 24, 7
	v_cmp_ne_u32_e32 vcc, s14, v30
	v_mov_b32_e32 v55, 0x7f800001
	s_and_saveexec_b64 s[10:11], vcc
	s_cbranch_execz .LBB648_159
; %bb.158:                              ;   in Loop: Header=BB648_17 Depth=1
	v_and_b32_e32 v55, 7, v32
	v_ffbh_u32_e32 v56, v55
	v_min_u32_e32 v59, 32, v56
	v_subrev_u32_e32 v56, 28, v59
	v_lshlrev_b64 v[56:57], v56, v[32:33]
	v_lshrrev_b32_e32 v58, 3, v30
	v_sub_u32_e32 v57, 29, v59
	v_and_b32_e32 v56, 7, v56
	v_cmp_gt_u32_e32 vcc, 8, v30
	v_cndmask_b32_e32 v30, v58, v57, vcc
	v_cndmask_b32_e32 v55, v55, v56, vcc
	v_lshlrev_b32_e32 v32, 24, v32
	v_lshlrev_b32_e32 v55, 20, v55
	v_and_b32_e32 v32, 0x80000000, v32
	v_lshl_add_u32 v30, v30, 23, v38
	v_or3_b32 v55, v32, v30, v55
.LBB648_159:                            ;   in Loop: Header=BB648_17 Depth=1
	s_or_b64 exec, exec, s[10:11]
.LBB648_160:                            ;   in Loop: Header=BB648_17 Depth=1
	s_or_b64 exec, exec, s[6:7]
.LBB648_161:                            ;   in Loop: Header=BB648_17 Depth=1
	s_or_b64 exec, exec, s[4:5]
	v_cvt_pkrtz_f16_f32 v56, v23, v42
	v_cvt_pkrtz_f16_f32 v57, v40, v52
	;; [unrolled: 1-line block ×4, first 2 shown]
	s_waitcnt vmcnt(1)
	v_cmp_ne_u16_sdwa s[6:7], v28, v35 src0_sel:BYTE_0 src1_sel:DWORD
	v_mfma_f32_16x16x16f16 v[18:21], v[56:57], v[10:11], v[18:21]
	v_mfma_f32_16x16x16f16 v[18:21], v[52:53], v[12:13], v[18:21]
	s_and_saveexec_b64 s[4:5], s[6:7]
	s_cbranch_execz .LBB648_167
; %bb.162:                              ;   in Loop: Header=BB648_17 Depth=1
	v_cmp_ne_u16_sdwa s[10:11], v28, s13 src0_sel:BYTE_0 src1_sel:DWORD
	v_bfrev_b32_e32 v34, 1
	s_and_saveexec_b64 s[6:7], s[10:11]
	s_cbranch_execz .LBB648_166
; %bb.163:                              ;   in Loop: Header=BB648_17 Depth=1
	v_and_b32_e32 v23, 0x7f, v28
	v_cmp_ne_u32_e32 vcc, s14, v23
	v_mov_b32_e32 v34, 0x7f800001
	s_and_saveexec_b64 s[10:11], vcc
	s_cbranch_execz .LBB648_165
; %bb.164:                              ;   in Loop: Header=BB648_17 Depth=1
	v_and_b32_e32 v30, 7, v28
	v_ffbh_u32_e32 v34, v30
	v_min_u32_e32 v34, 32, v34
	v_subrev_u32_e32 v40, 28, v34
	v_lshlrev_b64 v[52:53], v40, v[28:29]
	v_lshrrev_b32_e32 v32, 3, v23
	v_sub_u32_e32 v34, 29, v34
	v_and_b32_e32 v40, 7, v52
	v_cmp_gt_u32_e32 vcc, 8, v23
	v_cndmask_b32_e32 v23, v32, v34, vcc
	v_cndmask_b32_e32 v30, v30, v40, vcc
	v_lshlrev_b32_e32 v32, 24, v28
	v_lshlrev_b32_e32 v30, 20, v30
	v_and_b32_e32 v32, 0x80000000, v32
	v_lshl_add_u32 v23, v23, 23, v38
	v_or3_b32 v34, v32, v23, v30
.LBB648_165:                            ;   in Loop: Header=BB648_17 Depth=1
	s_or_b64 exec, exec, s[10:11]
.LBB648_166:                            ;   in Loop: Header=BB648_17 Depth=1
	s_or_b64 exec, exec, s[6:7]
.LBB648_167:                            ;   in Loop: Header=BB648_17 Depth=1
	s_or_b64 exec, exec, s[4:5]
	v_lshrrev_b16_e32 v30, 8, v28
	v_cmp_ne_u16_e32 vcc, 0, v30
	v_mov_b32_e32 v23, 0
	v_mov_b32_e32 v32, 0
	s_and_saveexec_b64 s[4:5], vcc
	s_cbranch_execz .LBB648_173
; %bb.168:                              ;   in Loop: Header=BB648_17 Depth=1
	v_cmp_ne_u16_e32 vcc, s13, v30
	v_bfrev_b32_e32 v32, 1
	s_and_saveexec_b64 s[6:7], vcc
	s_cbranch_execz .LBB648_172
; %bb.169:                              ;   in Loop: Header=BB648_17 Depth=1
	v_and_b32_e32 v40, 0x7f, v30
	v_cmp_ne_u32_e32 vcc, s14, v40
	v_mov_b32_e32 v32, 0x7f800001
	s_and_saveexec_b64 s[10:11], vcc
	s_cbranch_execz .LBB648_171
; %bb.170:                              ;   in Loop: Header=BB648_17 Depth=1
	v_and_b32_e32 v32, 7, v30
	v_ffbh_u32_e32 v44, v32
	v_min_u32_e32 v44, 32, v44
	v_subrev_u32_e32 v52, 28, v44
	v_lshlrev_b64 v[52:53], v52, v[30:31]
	v_lshrrev_b32_e32 v42, 3, v40
	v_sub_u32_e32 v30, 29, v44
	v_and_b32_e32 v44, 7, v52
	v_cmp_gt_u32_e32 vcc, 8, v40
	v_cndmask_b32_e32 v30, v42, v30, vcc
	v_cndmask_b32_e32 v32, v32, v44, vcc
	v_lshlrev_b32_e32 v40, 16, v28
	v_lshlrev_b32_e32 v32, 20, v32
	v_and_b32_e32 v40, 0x80000000, v40
	v_lshl_add_u32 v30, v30, 23, v38
	v_or3_b32 v32, v40, v30, v32
.LBB648_171:                            ;   in Loop: Header=BB648_17 Depth=1
	s_or_b64 exec, exec, s[10:11]
.LBB648_172:                            ;   in Loop: Header=BB648_17 Depth=1
	s_or_b64 exec, exec, s[6:7]
.LBB648_173:                            ;   in Loop: Header=BB648_17 Depth=1
	s_or_b64 exec, exec, s[4:5]
	v_lshrrev_b32_e32 v30, 16, v28
	v_cmp_ne_u16_sdwa s[6:7], v30, v35 src0_sel:BYTE_0 src1_sel:DWORD
	s_and_saveexec_b64 s[4:5], s[6:7]
	s_cbranch_execz .LBB648_179
; %bb.174:                              ;   in Loop: Header=BB648_17 Depth=1
	v_cmp_ne_u16_sdwa s[10:11], v30, s13 src0_sel:BYTE_0 src1_sel:DWORD
	v_bfrev_b32_e32 v23, 1
	s_and_saveexec_b64 s[6:7], s[10:11]
	s_cbranch_execz .LBB648_178
; %bb.175:                              ;   in Loop: Header=BB648_17 Depth=1
	v_bfe_u32 v40, v28, 16, 7
	v_cmp_ne_u32_e32 vcc, s14, v40
	v_mov_b32_e32 v23, 0x7f800001
	s_and_saveexec_b64 s[10:11], vcc
	s_cbranch_execz .LBB648_177
; %bb.176:                              ;   in Loop: Header=BB648_17 Depth=1
	v_and_b32_e32 v23, 7, v30
	v_ffbh_u32_e32 v44, v23
	v_min_u32_e32 v44, 32, v44
	v_subrev_u32_e32 v52, 28, v44
	v_lshlrev_b64 v[52:53], v52, v[30:31]
	v_lshrrev_b32_e32 v42, 3, v40
	v_sub_u32_e32 v44, 29, v44
	v_and_b32_e32 v52, 7, v52
	v_cmp_gt_u32_e32 vcc, 8, v40
	v_cndmask_b32_e32 v40, v42, v44, vcc
	v_cndmask_b32_e32 v23, v23, v52, vcc
	v_lshlrev_b32_e32 v30, 24, v30
	v_lshlrev_b32_e32 v23, 20, v23
	v_and_b32_e32 v30, 0x80000000, v30
	v_lshl_add_u32 v40, v40, 23, v38
	v_or3_b32 v23, v30, v40, v23
.LBB648_177:                            ;   in Loop: Header=BB648_17 Depth=1
	s_or_b64 exec, exec, s[10:11]
.LBB648_178:                            ;   in Loop: Header=BB648_17 Depth=1
	s_or_b64 exec, exec, s[6:7]
.LBB648_179:                            ;   in Loop: Header=BB648_17 Depth=1
	s_or_b64 exec, exec, s[4:5]
	v_cmp_lt_u32_e32 vcc, s15, v28
	v_mov_b32_e32 v40, 0
	v_mov_b32_e32 v42, 0
	s_and_saveexec_b64 s[4:5], vcc
	s_cbranch_execz .LBB648_185
; %bb.180:                              ;   in Loop: Header=BB648_17 Depth=1
	v_lshrrev_b32_e32 v30, 24, v28
	v_cmp_ne_u32_e32 vcc, s13, v30
	v_bfrev_b32_e32 v42, 1
	s_and_saveexec_b64 s[6:7], vcc
	s_cbranch_execz .LBB648_184
; %bb.181:                              ;   in Loop: Header=BB648_17 Depth=1
	v_bfe_u32 v28, v28, 24, 7
	v_cmp_ne_u32_e32 vcc, s14, v28
	v_mov_b32_e32 v42, 0x7f800001
	s_and_saveexec_b64 s[10:11], vcc
	s_cbranch_execz .LBB648_183
; %bb.182:                              ;   in Loop: Header=BB648_17 Depth=1
	v_and_b32_e32 v42, 7, v30
	v_ffbh_u32_e32 v52, v42
	v_min_u32_e32 v54, 32, v52
	v_subrev_u32_e32 v52, 28, v54
	v_lshlrev_b64 v[52:53], v52, v[30:31]
	v_lshrrev_b32_e32 v44, 3, v28
	v_sub_u32_e32 v53, 29, v54
	v_and_b32_e32 v52, 7, v52
	v_cmp_gt_u32_e32 vcc, 8, v28
	v_cndmask_b32_e32 v28, v44, v53, vcc
	v_cndmask_b32_e32 v42, v42, v52, vcc
	v_lshlrev_b32_e32 v30, 24, v30
	v_lshlrev_b32_e32 v42, 20, v42
	v_and_b32_e32 v30, 0x80000000, v30
	v_lshl_add_u32 v28, v28, 23, v38
	v_or3_b32 v42, v30, v28, v42
.LBB648_183:                            ;   in Loop: Header=BB648_17 Depth=1
	s_or_b64 exec, exec, s[10:11]
.LBB648_184:                            ;   in Loop: Header=BB648_17 Depth=1
	s_or_b64 exec, exec, s[6:7]
.LBB648_185:                            ;   in Loop: Header=BB648_17 Depth=1
	s_or_b64 exec, exec, s[4:5]
	s_waitcnt vmcnt(0)
	v_cmp_ne_u16_sdwa s[6:7], v26, v35 src0_sel:BYTE_0 src1_sel:DWORD
	s_and_saveexec_b64 s[4:5], s[6:7]
	s_cbranch_execz .LBB648_191
; %bb.186:                              ;   in Loop: Header=BB648_17 Depth=1
	v_cmp_ne_u16_sdwa s[10:11], v26, s13 src0_sel:BYTE_0 src1_sel:DWORD
	v_bfrev_b32_e32 v40, 1
	s_and_saveexec_b64 s[6:7], s[10:11]
	s_cbranch_execz .LBB648_190
; %bb.187:                              ;   in Loop: Header=BB648_17 Depth=1
	v_and_b32_e32 v28, 0x7f, v26
	v_cmp_ne_u32_e32 vcc, s14, v28
	v_mov_b32_e32 v40, 0x7f800001
	s_and_saveexec_b64 s[10:11], vcc
	s_cbranch_execz .LBB648_189
; %bb.188:                              ;   in Loop: Header=BB648_17 Depth=1
	v_and_b32_e32 v30, 7, v26
	v_ffbh_u32_e32 v44, v30
	v_min_u32_e32 v44, 32, v44
	v_subrev_u32_e32 v52, 28, v44
	v_lshlrev_b64 v[52:53], v52, v[26:27]
	v_lshrrev_b32_e32 v40, 3, v28
	v_sub_u32_e32 v44, 29, v44
	v_and_b32_e32 v52, 7, v52
	v_cmp_gt_u32_e32 vcc, 8, v28
	v_cndmask_b32_e32 v28, v40, v44, vcc
	v_cndmask_b32_e32 v30, v30, v52, vcc
	v_lshlrev_b32_e32 v40, 24, v26
	v_lshlrev_b32_e32 v30, 20, v30
	v_and_b32_e32 v40, 0x80000000, v40
	v_lshl_add_u32 v28, v28, 23, v38
	v_or3_b32 v40, v40, v28, v30
.LBB648_189:                            ;   in Loop: Header=BB648_17 Depth=1
	s_or_b64 exec, exec, s[10:11]
.LBB648_190:                            ;   in Loop: Header=BB648_17 Depth=1
	s_or_b64 exec, exec, s[6:7]
.LBB648_191:                            ;   in Loop: Header=BB648_17 Depth=1
	s_or_b64 exec, exec, s[4:5]
	v_lshrrev_b16_e32 v28, 8, v26
	v_cmp_ne_u16_e32 vcc, 0, v28
	v_mov_b32_e32 v30, 0
	v_mov_b32_e32 v44, 0
	s_and_saveexec_b64 s[4:5], vcc
	s_cbranch_execz .LBB648_197
; %bb.192:                              ;   in Loop: Header=BB648_17 Depth=1
	v_cmp_ne_u16_e32 vcc, s13, v28
	v_bfrev_b32_e32 v44, 1
	s_and_saveexec_b64 s[6:7], vcc
	s_cbranch_execz .LBB648_196
; %bb.193:                              ;   in Loop: Header=BB648_17 Depth=1
	v_and_b32_e32 v52, 0x7f, v28
	v_cmp_ne_u32_e32 vcc, s14, v52
	v_mov_b32_e32 v44, 0x7f800001
	s_and_saveexec_b64 s[10:11], vcc
	s_cbranch_execz .LBB648_195
; %bb.194:                              ;   in Loop: Header=BB648_17 Depth=1
	v_and_b32_e32 v44, 7, v28
	v_ffbh_u32_e32 v54, v44
	v_min_u32_e32 v56, 32, v54
	v_subrev_u32_e32 v54, 28, v56
	v_lshlrev_b64 v[54:55], v54, v[28:29]
	v_lshrrev_b32_e32 v53, 3, v52
	v_sub_u32_e32 v28, 29, v56
	v_and_b32_e32 v54, 7, v54
	v_cmp_gt_u32_e32 vcc, 8, v52
	v_cndmask_b32_e32 v28, v53, v28, vcc
	v_cndmask_b32_e32 v44, v44, v54, vcc
	v_lshlrev_b32_e32 v52, 16, v26
	v_lshlrev_b32_e32 v44, 20, v44
	v_and_b32_e32 v52, 0x80000000, v52
	v_lshl_add_u32 v28, v28, 23, v38
	v_or3_b32 v44, v52, v28, v44
.LBB648_195:                            ;   in Loop: Header=BB648_17 Depth=1
	s_or_b64 exec, exec, s[10:11]
.LBB648_196:                            ;   in Loop: Header=BB648_17 Depth=1
	s_or_b64 exec, exec, s[6:7]
.LBB648_197:                            ;   in Loop: Header=BB648_17 Depth=1
	s_or_b64 exec, exec, s[4:5]
	v_lshrrev_b32_e32 v28, 16, v26
	v_cmp_ne_u16_sdwa s[6:7], v28, v35 src0_sel:BYTE_0 src1_sel:DWORD
	s_and_saveexec_b64 s[4:5], s[6:7]
	s_cbranch_execz .LBB648_203
; %bb.198:                              ;   in Loop: Header=BB648_17 Depth=1
	v_cmp_ne_u16_sdwa s[10:11], v28, s13 src0_sel:BYTE_0 src1_sel:DWORD
	v_bfrev_b32_e32 v30, 1
	s_and_saveexec_b64 s[6:7], s[10:11]
	s_cbranch_execz .LBB648_202
; %bb.199:                              ;   in Loop: Header=BB648_17 Depth=1
	v_bfe_u32 v52, v26, 16, 7
	v_cmp_ne_u32_e32 vcc, s14, v52
	v_mov_b32_e32 v30, 0x7f800001
	s_and_saveexec_b64 s[10:11], vcc
	s_cbranch_execz .LBB648_201
; %bb.200:                              ;   in Loop: Header=BB648_17 Depth=1
	v_and_b32_e32 v30, 7, v28
	v_ffbh_u32_e32 v54, v30
	v_min_u32_e32 v56, 32, v54
	v_subrev_u32_e32 v54, 28, v56
	v_lshlrev_b64 v[54:55], v54, v[28:29]
	v_lshrrev_b32_e32 v53, 3, v52
	v_sub_u32_e32 v55, 29, v56
	v_and_b32_e32 v54, 7, v54
	v_cmp_gt_u32_e32 vcc, 8, v52
	v_cndmask_b32_e32 v52, v53, v55, vcc
	v_cndmask_b32_e32 v30, v30, v54, vcc
	v_lshlrev_b32_e32 v28, 24, v28
	v_lshlrev_b32_e32 v30, 20, v30
	v_and_b32_e32 v28, 0x80000000, v28
	v_lshl_add_u32 v52, v52, 23, v38
	v_or3_b32 v30, v28, v52, v30
.LBB648_201:                            ;   in Loop: Header=BB648_17 Depth=1
	s_or_b64 exec, exec, s[10:11]
.LBB648_202:                            ;   in Loop: Header=BB648_17 Depth=1
	s_or_b64 exec, exec, s[6:7]
.LBB648_203:                            ;   in Loop: Header=BB648_17 Depth=1
	s_or_b64 exec, exec, s[4:5]
	v_cmp_lt_u32_e32 vcc, s15, v26
	v_mov_b32_e32 v52, 0
	s_and_saveexec_b64 s[4:5], vcc
	s_cbranch_execz .LBB648_16
; %bb.204:                              ;   in Loop: Header=BB648_17 Depth=1
	v_lshrrev_b32_e32 v28, 24, v26
	v_cmp_ne_u32_e32 vcc, s13, v28
	v_bfrev_b32_e32 v52, 1
	s_and_saveexec_b64 s[6:7], vcc
	s_cbranch_execz .LBB648_15
; %bb.205:                              ;   in Loop: Header=BB648_17 Depth=1
	v_bfe_u32 v26, v26, 24, 7
	v_cmp_ne_u32_e32 vcc, s14, v26
	v_mov_b32_e32 v52, 0x7f800001
	s_and_saveexec_b64 s[10:11], vcc
	s_cbranch_execz .LBB648_14
; %bb.206:                              ;   in Loop: Header=BB648_17 Depth=1
	v_and_b32_e32 v54, 7, v28
	v_ffbh_u32_e32 v52, v54
	v_min_u32_e32 v56, 32, v52
	v_subrev_u32_e32 v52, 28, v56
	v_lshlrev_b64 v[52:53], v52, v[28:29]
	v_lshrrev_b32_e32 v55, 3, v26
	v_sub_u32_e32 v53, 29, v56
	v_and_b32_e32 v52, 7, v52
	v_cmp_gt_u32_e32 vcc, 8, v26
	v_cndmask_b32_e32 v26, v55, v53, vcc
	v_cndmask_b32_e32 v52, v54, v52, vcc
	v_lshlrev_b32_e32 v28, 24, v28
	v_lshlrev_b32_e32 v52, 20, v52
	v_and_b32_e32 v28, 0x80000000, v28
	v_lshl_add_u32 v26, v26, 23, v38
	v_or3_b32 v52, v28, v26, v52
	s_branch .LBB648_14
.LBB648_207:
	buffer_load_dword v17, off, s[0:3], 0 offset:256
	buffer_load_dword v16, off, s[0:3], 0 offset:260
	;; [unrolled: 1-line block ×16, first 2 shown]
	v_and_b32_e32 v18, 0xc0, v0
	v_add_u32_e32 v18, s20, v18
	v_lshl_or_b32 v18, v1, 2, v18
	v_or_b32_e32 v20, 1, v18
	v_subrev_u32_e32 v24, s33, v20
	v_add_u32_e32 v26, 1, v24
	v_cvt_f32_i32_e32 v25, v24
	v_add_u32_e32 v28, 2, v24
	v_add_u32_e32 v30, 3, v24
	;; [unrolled: 1-line block ×14, first 2 shown]
	v_cvt_f32_i32_e32 v26, v26
	v_cvt_f32_i32_e32 v28, v28
	;; [unrolled: 1-line block ×4, first 2 shown]
	v_mov_b32_e32 v19, 0xff7fffff
	v_or_b32_e32 v21, 2, v18
	v_or_b32_e32 v22, 3, v18
	v_cvt_f32_i32_e32 v32, v32
	v_cvt_f32_i32_e32 v34, v34
	v_cmp_gt_i32_e64 s[28:29], s33, v18
	v_cmp_gt_i32_e64 s[30:31], s33, v20
	s_mov_b32 s52, 0xff7fffff
	v_cmp_gt_i32_e64 s[34:35], s33, v21
	v_cmp_gt_i32_e64 s[36:37], s33, v22
	v_or_b32_e32 v23, 16, v18
	v_cvt_f32_i32_e32 v35, v35
	v_cvt_f32_i32_e32 v36, v36
	v_cmp_gt_i32_e64 s[24:25], s33, v23
	v_cvt_f32_i32_e32 v37, v37
	v_cvt_f32_i32_e32 v38, v38
	v_cvt_f32_i32_e32 v40, v40
	v_cvt_f32_i32_e32 v42, v42
	v_cvt_f32_i32_e32 v44, v44
	v_cvt_f32_i32_e32 v52, v52
	v_cvt_f32_i32_e32 v53, v53
	s_waitcnt vmcnt(15)
	v_fmac_f32_e32 v17, v31, v25
	s_waitcnt vmcnt(14)
	v_fmac_f32_e32 v16, v31, v26
	;; [unrolled: 2-line block ×4, first 2 shown]
	v_cndmask_b32_e64 v20, v19, v16, s[30:31]
	v_cndmask_b32_e64 v21, v19, v15, s[34:35]
	;; [unrolled: 1-line block ×3, first 2 shown]
	s_waitcnt vmcnt(11)
	v_fmac_f32_e32 v13, v31, v32
	s_waitcnt vmcnt(10)
	v_fmac_f32_e32 v12, v31, v34
	;; [unrolled: 2-line block ×9, first 2 shown]
	v_cndmask_b32_e64 v24, v19, v17, s[28:29]
	v_max3_f32 v20, v24, s52, v20
	v_max3_f32 v20, v20, v21, v22
	v_or_b32_e32 v22, 17, v18
	v_cmp_gt_i32_e64 s[38:39], s33, v22
	v_cndmask_b32_e64 v21, v19, v13, s[24:25]
	v_cndmask_b32_e64 v22, v19, v12, s[38:39]
	v_max3_f32 v20, v20, v21, v22
	v_or_b32_e32 v21, 18, v18
	v_or_b32_e32 v22, 19, v18
	v_cmp_gt_i32_e64 s[20:21], s33, v21
	v_cmp_gt_i32_e64 s[22:23], s33, v22
	v_cndmask_b32_e64 v21, v19, v11, s[20:21]
	v_cndmask_b32_e64 v22, v19, v10, s[22:23]
	v_max3_f32 v20, v20, v21, v22
	v_or_b32_e32 v21, 32, v18
	v_or_b32_e32 v22, 33, v18
	v_cmp_gt_i32_e64 s[16:17], s33, v21
	;; [unrolled: 7-line block ×3, first 2 shown]
	v_cmp_gt_i32_e64 s[14:15], s33, v22
	v_cndmask_b32_e64 v21, v19, v7, s[12:13]
	v_cndmask_b32_e64 v22, v19, v6, s[14:15]
	v_max3_f32 v20, v20, v21, v22
	v_or_b32_e32 v21, 48, v18
	v_or_b32_e32 v22, 49, v18
	v_fmac_f32_e32 v5, v31, v44
	v_fmac_f32_e32 v4, v31, v52
	v_cmp_gt_i32_e64 s[6:7], s33, v21
	v_cmp_gt_i32_e64 s[10:11], s33, v22
	v_cndmask_b32_e64 v21, v19, v5, s[6:7]
	v_cndmask_b32_e64 v22, v19, v4, s[10:11]
	v_max3_f32 v20, v20, v21, v22
	v_or_b32_e32 v21, 50, v18
	v_or_b32_e32 v18, 51, v18
	v_fmac_f32_e32 v3, v31, v53
	v_cmp_gt_i32_e32 vcc, s33, v21
	v_cmp_gt_i32_e64 s[4:5], s33, v18
	v_cndmask_b32_e32 v21, v19, v3, vcc
	v_cndmask_b32_e64 v18, v19, v2, s[4:5]
	v_mbcnt_lo_u32_b32 v19, -1, 0
	v_mbcnt_hi_u32_b32 v19, -1, v19
	v_max3_f32 v18, v20, v21, v18
	v_and_b32_e32 v20, 64, v19
	v_add_u32_e32 v20, 64, v20
	v_xor_b32_e32 v21, 32, v19
	v_cmp_lt_i32_e64 s[40:41], v21, v20
	v_cndmask_b32_e64 v21, v19, v21, s[40:41]
	v_lshlrev_b32_e32 v21, 2, v21
	ds_bpermute_b32 v22, v21, v18
	s_waitcnt lgkmcnt(0)
	v_max_f32_e32 v22, v22, v22
	v_max_f32_e32 v18, v18, v22
	v_xor_b32_e32 v22, 16, v19
	v_cmp_lt_i32_e64 s[40:41], v22, v20
	v_cndmask_b32_e64 v19, v19, v22, s[40:41]
	v_lshlrev_b32_e32 v19, 2, v19
	ds_bpermute_b32 v20, v19, v18
	s_waitcnt lgkmcnt(0)
	v_max_f32_e32 v20, v20, v20
	v_max_f32_e32 v18, v18, v20
	v_sub_f32_e32 v17, v17, v18
	v_mul_f32_e32 v17, 0x3fb8aa3b, v17
	v_sub_f32_e32 v16, v16, v18
	v_exp_f32_e32 v17, v17
	v_mul_f32_e32 v16, 0x3fb8aa3b, v16
	v_sub_f32_e32 v15, v15, v18
	v_exp_f32_e32 v16, v16
	;; [unrolled: 3-line block ×4, first 2 shown]
	v_mul_f32_e32 v13, 0x3fb8aa3b, v13
	v_sub_f32_e32 v12, v12, v18
	v_cndmask_b32_e64 v17, 0, v17, s[28:29]
	v_exp_f32_e32 v13, v13
	v_mul_f32_e32 v12, 0x3fb8aa3b, v12
	v_sub_f32_e32 v11, v11, v18
	v_add_f32_e32 v20, 0, v17
	v_cndmask_b32_e64 v16, 0, v16, s[30:31]
	v_exp_f32_e32 v12, v12
	v_mul_f32_e32 v11, 0x3fb8aa3b, v11
	v_sub_f32_e32 v10, v10, v18
	v_add_f32_e32 v20, v20, v16
	;; [unrolled: 5-line block ×4, first 2 shown]
	v_cndmask_b32_e64 v13, 0, v13, s[24:25]
	v_exp_f32_e32 v9, v9
	v_mul_f32_e32 v8, 0x3fb8aa3b, v8
	v_sub_f32_e32 v7, v7, v18
	buffer_store_dword v17, off, s[0:3], 0 offset:256
	buffer_store_dword v16, off, s[0:3], 0 offset:260
	;; [unrolled: 1-line block ×4, first 2 shown]
	v_add_f32_e32 v14, v20, v13
	v_cndmask_b32_e64 v12, 0, v12, s[38:39]
	v_exp_f32_e32 v8, v8
	v_mul_f32_e32 v7, 0x3fb8aa3b, v7
	v_sub_f32_e32 v6, v6, v18
	v_add_f32_e32 v14, v14, v12
	v_cndmask_b32_e64 v11, 0, v11, s[20:21]
	v_exp_f32_e32 v7, v7
	v_mul_f32_e32 v6, 0x3fb8aa3b, v6
	v_sub_f32_e32 v5, v5, v18
	;; [unrolled: 5-line block ×4, first 2 shown]
	buffer_store_dword v13, off, s[0:3], 0 offset:272
	buffer_store_dword v12, off, s[0:3], 0 offset:276
	buffer_store_dword v11, off, s[0:3], 0 offset:280
	buffer_store_dword v10, off, s[0:3], 0 offset:284
	v_add_f32_e32 v10, v14, v9
	v_cndmask_b32_e64 v8, 0, v8, s[18:19]
	v_exp_f32_e32 v4, v4
	v_mul_f32_e32 v3, 0x3fb8aa3b, v3
	v_sub_f32_e32 v2, v2, v18
	v_add_f32_e32 v10, v10, v8
	v_cndmask_b32_e64 v7, 0, v7, s[12:13]
	v_exp_f32_e32 v3, v3
	v_mul_f32_e32 v2, 0x3fb8aa3b, v2
	v_add_f32_e32 v10, v10, v7
	v_cndmask_b32_e64 v6, 0, v6, s[14:15]
	v_exp_f32_e32 v2, v2
	v_add_f32_e32 v10, v10, v6
	v_cndmask_b32_e64 v5, 0, v5, s[6:7]
	buffer_store_dword v9, off, s[0:3], 0 offset:288
	buffer_store_dword v8, off, s[0:3], 0 offset:292
	;; [unrolled: 1-line block ×4, first 2 shown]
	v_add_f32_e32 v6, v10, v5
	v_cndmask_b32_e64 v4, 0, v4, s[10:11]
	v_add_f32_e32 v6, v6, v4
	v_cndmask_b32_e32 v3, 0, v3, vcc
	v_add_f32_e32 v6, v6, v3
	v_cndmask_b32_e64 v2, 0, v2, s[4:5]
	v_add_f32_e32 v6, v6, v2
	ds_bpermute_b32 v7, v21, v6
	buffer_store_dword v5, off, s[0:3], 0 offset:304
	buffer_store_dword v4, off, s[0:3], 0 offset:308
	;; [unrolled: 1-line block ×4, first 2 shown]
	v_cmp_gt_u32_e32 vcc, 16, v33
	s_waitcnt lgkmcnt(0)
	s_barrier
	v_add_f32_e32 v2, v6, v7
	ds_bpermute_b32 v3, v19, v2
	s_waitcnt lgkmcnt(0)
	s_and_saveexec_b64 s[4:5], vcc
	s_cbranch_execz .LBB648_209
; %bb.208:
	v_add_f32_e32 v2, v2, v3
	v_lshlrev_b32_e32 v3, 2, v29
	ds_write2st64_b32 v3, v18, v2 offset1:1
.LBB648_209:
	s_or_b64 exec, exec, s[4:5]
	v_lshlrev_b32_e32 v2, 2, v41
	s_waitcnt lgkmcnt(0)
	s_barrier
	ds_read2_b32 v[12:13], v2 offset1:16
	ds_read2_b32 v[14:15], v2 offset0:32 offset1:48
	ds_read2_b32 v[6:7], v2 offset0:64 offset1:80
	;; [unrolled: 1-line block ×3, first 2 shown]
	s_waitcnt lgkmcnt(0)
	s_barrier
	buffer_load_dword v20, off, s[0:3], 0 offset:256
	buffer_load_dword v21, off, s[0:3], 0 offset:260
	;; [unrolled: 1-line block ×16, first 2 shown]
	v_lshlrev_b32_e32 v19, 3, v1
	v_lshlrev_b32_e32 v18, 5, v41
	;; [unrolled: 1-line block ×3, first 2 shown]
	v_or3_b32 v52, v26, v18, v19
	v_max3_f32 v19, v12, s52, v13
	v_max3_f32 v19, v19, v14, v15
	v_sub_f32_e32 v12, v12, v19
	v_sub_f32_e32 v13, v13, v19
	v_mul_f32_e32 v12, 0x3fb8aa3b, v12
	v_sub_f32_e32 v14, v14, v19
	v_mul_f32_e32 v13, 0x3fb8aa3b, v13
	v_exp_f32_e32 v12, v12
	v_sub_f32_e32 v15, v15, v19
	v_mul_f32_e32 v14, 0x3fb8aa3b, v14
	v_exp_f32_e32 v13, v13
	v_mul_f32_e32 v15, 0x3fb8aa3b, v15
	v_exp_f32_e32 v14, v14
	v_exp_f32_e32 v15, v15
	v_fma_f32 v6, v12, v6, 0
	v_fmac_f32_e32 v6, v13, v7
	v_fmac_f32_e32 v6, v14, v10
	;; [unrolled: 1-line block ×3, first 2 shown]
	v_cmp_eq_u32_e32 vcc, 1, v27
	v_add_f32_e32 v10, 0x358637bd, v6
	v_cndmask_b32_e32 v12, v12, v13, vcc
	v_cmp_eq_u32_e32 vcc, 2, v27
	v_div_scale_f32 v11, s[4:5], v10, v10, 1.0
	v_cndmask_b32_e32 v7, v12, v14, vcc
	v_rcp_f32_e32 v12, v11
	v_cmp_eq_u32_e32 vcc, 3, v27
	v_cndmask_b32_e32 v7, v7, v15, vcc
	v_div_scale_f32 v13, vcc, 1.0, v10, 1.0
	v_fma_f32 v14, -v11, v12, 1.0
	v_fmac_f32_e32 v12, v14, v12
	v_mul_f32_e32 v14, v13, v12
	v_fma_f32 v15, -v11, v14, v13
	v_fmac_f32_e32 v14, v15, v12
	v_fma_f32 v11, -v11, v14, v13
	v_div_fmas_f32 v11, v11, v12, v14
	v_div_fixup_f32 v10, v11, v10, 1.0
	v_mul_f32_e32 v10, v7, v10
	s_mul_i32 s18, s49, 11
	v_cmp_gt_u32_e32 vcc, 11, v0
	s_waitcnt vmcnt(14)
	v_pk_mul_f32 v[14:15], v[10:11], v[20:21] op_sel_hi:[0,1]
	v_cvt_f16_f32_e32 v7, v14
	s_waitcnt vmcnt(12)
	v_pk_mul_f32 v[12:13], v[10:11], v[22:23] op_sel_hi:[0,1]
	buffer_store_dword v14, off, s[0:3], 0 offset:256
	buffer_store_dword v15, off, s[0:3], 0 offset:260
	;; [unrolled: 1-line block ×3, first 2 shown]
	s_waitcnt vmcnt(13)
	v_pk_mul_f32 v[20:21], v[10:11], v[24:25] op_sel_hi:[0,1]
	v_cvt_f16_f32_e32 v14, v12
	s_waitcnt vmcnt(11)
	v_pk_mul_f32 v[22:23], v[10:11], v[28:29] op_sel_hi:[0,1]
	v_cvt_f16_f32_e32 v11, v15
	v_cvt_f16_f32_e32 v15, v13
	buffer_store_dword v13, off, s[0:3], 0 offset:268
	buffer_store_dword v22, off, s[0:3], 0 offset:272
	;; [unrolled: 1-line block ×3, first 2 shown]
	v_pack_b32_f16 v12, v7, v11
	v_cvt_f16_f32_e32 v11, v23
	v_pack_b32_f16 v13, v14, v15
	v_cvt_f16_f32_e32 v7, v22
	v_cvt_f16_f32_e32 v15, v20
	v_cvt_f16_f32_e32 v22, v21
	s_waitcnt vmcnt(12)
	v_pk_mul_f32 v[4:5], v[10:11], v[4:5] op_sel_hi:[0,1]
	v_pack_b32_f16 v14, v7, v11
	s_waitcnt vmcnt(10)
	v_pk_mul_f32 v[2:3], v[10:11], v[2:3] op_sel_hi:[0,1]
	v_pack_b32_f16 v15, v15, v22
	v_cvt_f16_f32_e32 v11, v5
	buffer_store_dword v20, off, s[0:3], 0 offset:280
	buffer_store_dword v21, off, s[0:3], 0 offset:284
	ds_write2st64_b64 v52, v[12:13], v[14:15] offset1:1
	buffer_store_dword v2, off, s[0:3], 0 offset:288
	buffer_store_dword v3, off, s[0:3], 0 offset:292
	v_cvt_f16_f32_e32 v2, v2
	v_cvt_f16_f32_e32 v3, v3
	;; [unrolled: 1-line block ×3, first 2 shown]
	buffer_store_dword v4, off, s[0:3], 0 offset:296
	buffer_store_dword v5, off, s[0:3], 0 offset:300
	s_waitcnt vmcnt(12)
	v_pk_mul_f32 v[4:5], v[10:11], v[16:17] op_sel_hi:[0,1]
	v_pk_mul_f32 v[8:9], v[10:11], v[8:9] op_sel_hi:[0,1]
	v_pack_b32_f16 v2, v2, v3
	v_pack_b32_f16 v3, v7, v11
	buffer_store_dword v8, off, s[0:3], 0 offset:304
	buffer_store_dword v9, off, s[0:3], 0 offset:308
	v_cvt_f16_f32_e32 v7, v8
	v_cvt_f16_f32_e32 v8, v9
	;; [unrolled: 1-line block ×4, first 2 shown]
	buffer_store_dword v4, off, s[0:3], 0 offset:312
	buffer_store_dword v5, off, s[0:3], 0 offset:316
	v_pack_b32_f16 v4, v7, v8
	v_pack_b32_f16 v5, v9, v10
	ds_write2st64_b64 v52, v[2:3], v[4:5] offset0:2 offset1:3
	s_and_saveexec_b64 s[4:5], vcc
	s_cbranch_execz .LBB648_211
; %bb.210:
	v_add_co_u32_e32 v4, vcc, s27, v41
	v_addc_co_u32_e64 v5, s[6:7], 0, 0, vcc
	v_mov_b32_e32 v2, s18
	v_mad_u64_u32 v[4:5], s[6:7], s8, v2, v[4:5]
	v_mov_b32_e32 v3, 0
	s_mul_i32 s6, s9, s18
	v_mov_b32_e32 v2, s26
	v_add_u32_e32 v5, s6, v5
	v_mad_u64_u32 v[2:3], s[6:7], v4, s48, v[2:3]
	v_mov_b32_e32 v4, v3
	v_mad_u64_u32 v[4:5], s[6:7], v5, s48, v[4:5]
	v_mov_b32_e32 v3, v4
	v_lshlrev_b64 v[2:3], 2, v[2:3]
	v_mov_b32_e32 v5, s47
	v_add_co_u32_e32 v4, vcc, s46, v2
	v_addc_co_u32_e32 v5, vcc, v5, v3, vcc
	global_store_dword v[4:5], v19, off
	v_mov_b32_e32 v4, s45
	v_add_co_u32_e32 v2, vcc, s44, v2
	v_addc_co_u32_e32 v3, vcc, v4, v3, vcc
	global_store_dword v[2:3], v6, off
.LBB648_211:
	s_or_b64 exec, exec, s[4:5]
	v_lshl_or_b32 v30, v1, 9, v18
	s_waitcnt lgkmcnt(0)
	s_barrier
	s_load_dword s4, s[42:43], 0x0
	ds_read_b128 v[2:5], v30
	ds_read_b128 v[6:9], v30 offset:16
	ds_read_b128 v[10:13], v30 offset:2048
	;; [unrolled: 1-line block ×7, first 2 shown]
	v_mov_b32_e32 v35, 0x80
	v_mov_b32_e32 v53, 0x140
	s_mov_b64 s[10:11], -1
	s_waitcnt lgkmcnt(0)
	s_mov_b32 s5, s4
	s_mov_b32 s6, s4
	;; [unrolled: 1-line block ×3, first 2 shown]
	s_movk_i32 s9, 0x80
	s_movk_i32 s19, 0x7f
	s_mov_b32 s20, 0xffffff
	v_mov_b32_e32 v54, 0
	v_bfrev_b32_e32 v55, 60
	s_branch .LBB648_215
.LBB648_212:                            ;   in Loop: Header=BB648_215 Depth=1
	s_or_b64 exec, exec, s[16:17]
.LBB648_213:                            ;   in Loop: Header=BB648_215 Depth=1
	s_or_b64 exec, exec, s[14:15]
.LBB648_214:                            ;   in Loop: Header=BB648_215 Depth=1
	s_or_b64 exec, exec, s[12:13]
	v_cvt_pkrtz_f16_f32 v60, v46, v50
	v_cvt_pkrtz_f16_f32 v61, v44, v56
	s_xor_b64 s[12:13], s[10:11], -1
	s_mov_b64 s[10:11], 0
	v_mov_b32_e32 v46, v47
	v_mfma_f32_16x16x16f16 v[60:63], v[60:61], v[30:31], v[34:37]
	v_mov_b32_e32 v50, v49
	s_and_b64 vcc, exec, s[12:13]
	s_nop 4
	v_cvt_pkrtz_f16_f32 v36, v51, v57
	v_cvt_pkrtz_f16_f32 v37, v42, v58
	v_mov_b32_e32 v35, v45
	v_mov_b32_e32 v51, v48
	v_mfma_f32_16x16x16f16 v[56:59], v[36:37], v[32:33], v[60:63]
	s_nop 7
	s_nop 2
	v_pk_mul_f32 v[56:57], v[56:57], s[4:5]
	v_pk_mul_f32 v[36:37], v[58:59], s[6:7]
	v_cvt_f16_f32_e32 v34, v56
	v_cvt_f16_f32_e32 v38, v57
	;; [unrolled: 1-line block ×4, first 2 shown]
	v_pack_b32_f16 v34, v34, v38
	v_pack_b32_f16 v36, v36, v37
	buffer_store_dword v34, v53, s[0:3], 0 offen
	buffer_store_dword v36, v53, s[0:3], 0 offen offset:4
	v_mov_b32_e32 v53, 0x148
	s_cbranch_vccnz .LBB648_597
.LBB648_215:                            ; =>This Inner Loop Header: Depth=1
	buffer_load_dword v36, v35, s[0:3], 0 offen
	buffer_load_dword v34, v35, s[0:3], 0 offen offset:4
	buffer_load_dword v40, v35, s[0:3], 0 offen offset:8
	;; [unrolled: 1-line block ×3, first 2 shown]
	v_mov_b32_e32 v35, 0
	s_waitcnt vmcnt(3)
	v_cmp_ne_u16_sdwa s[14:15], v36, v54 src0_sel:BYTE_0 src1_sel:DWORD
	s_and_saveexec_b64 s[12:13], s[14:15]
	s_cbranch_execz .LBB648_221
; %bb.216:                              ;   in Loop: Header=BB648_215 Depth=1
	v_cmp_ne_u16_sdwa s[16:17], v36, s9 src0_sel:BYTE_0 src1_sel:DWORD
	v_bfrev_b32_e32 v35, 1
	s_and_saveexec_b64 s[14:15], s[16:17]
	s_cbranch_execz .LBB648_220
; %bb.217:                              ;   in Loop: Header=BB648_215 Depth=1
	v_and_b32_e32 v37, 0x7f, v36
	v_cmp_ne_u32_e32 vcc, s19, v37
	v_mov_b32_e32 v35, 0x7f800001
	s_and_saveexec_b64 s[16:17], vcc
	s_cbranch_execz .LBB648_219
; %bb.218:                              ;   in Loop: Header=BB648_215 Depth=1
	v_and_b32_e32 v35, 7, v36
	v_ffbh_u32_e32 v44, v35
	v_min_u32_e32 v44, 32, v44
	v_subrev_u32_e32 v56, 28, v44
	v_lshlrev_b64 v[56:57], v56, v[36:37]
	v_lshrrev_b32_e32 v42, 3, v37
	v_sub_u32_e32 v44, 29, v44
	v_and_b32_e32 v56, 7, v56
	v_cmp_gt_u32_e32 vcc, 8, v37
	v_cndmask_b32_e32 v37, v42, v44, vcc
	v_cndmask_b32_e32 v35, v35, v56, vcc
	v_lshlrev_b32_e32 v42, 24, v36
	v_lshlrev_b32_e32 v35, 20, v35
	v_and_b32_e32 v42, 0x80000000, v42
	v_lshl_add_u32 v37, v37, 23, v55
	v_or3_b32 v35, v42, v37, v35
.LBB648_219:                            ;   in Loop: Header=BB648_215 Depth=1
	s_or_b64 exec, exec, s[16:17]
.LBB648_220:                            ;   in Loop: Header=BB648_215 Depth=1
	s_or_b64 exec, exec, s[14:15]
.LBB648_221:                            ;   in Loop: Header=BB648_215 Depth=1
	s_or_b64 exec, exec, s[12:13]
	v_lshrrev_b16_e32 v42, 8, v36
	v_cmp_ne_u16_e32 vcc, 0, v42
	v_mov_b32_e32 v37, 0
	s_and_saveexec_b64 s[12:13], vcc
	s_cbranch_execz .LBB648_227
; %bb.222:                              ;   in Loop: Header=BB648_215 Depth=1
	v_cmp_ne_u16_e32 vcc, s9, v42
	v_bfrev_b32_e32 v37, 1
	s_and_saveexec_b64 s[14:15], vcc
	s_cbranch_execz .LBB648_226
; %bb.223:                              ;   in Loop: Header=BB648_215 Depth=1
	v_and_b32_e32 v44, 0x7f, v42
	v_cmp_ne_u32_e32 vcc, s19, v44
	v_mov_b32_e32 v37, 0x7f800001
	s_and_saveexec_b64 s[16:17], vcc
	s_cbranch_execz .LBB648_225
; %bb.224:                              ;   in Loop: Header=BB648_215 Depth=1
	v_and_b32_e32 v37, 7, v42
	v_ffbh_u32_e32 v56, v37
	v_min_u32_e32 v59, 32, v56
	v_subrev_u32_e32 v56, 28, v59
	v_lshlrev_b64 v[56:57], v56, v[42:43]
	v_lshrrev_b32_e32 v58, 3, v44
	v_sub_u32_e32 v42, 29, v59
	v_and_b32_e32 v56, 7, v56
	v_cmp_gt_u32_e32 vcc, 8, v44
	v_cndmask_b32_e32 v42, v58, v42, vcc
	v_cndmask_b32_e32 v37, v37, v56, vcc
	v_lshlrev_b32_e32 v44, 16, v36
	v_lshlrev_b32_e32 v37, 20, v37
	v_and_b32_e32 v44, 0x80000000, v44
	v_lshl_add_u32 v42, v42, 23, v55
	v_or3_b32 v37, v44, v42, v37
.LBB648_225:                            ;   in Loop: Header=BB648_215 Depth=1
	s_or_b64 exec, exec, s[16:17]
.LBB648_226:                            ;   in Loop: Header=BB648_215 Depth=1
	s_or_b64 exec, exec, s[14:15]
.LBB648_227:                            ;   in Loop: Header=BB648_215 Depth=1
	s_or_b64 exec, exec, s[12:13]
	v_lshrrev_b32_e32 v42, 16, v36
	v_cmp_ne_u16_sdwa s[14:15], v42, v54 src0_sel:BYTE_0 src1_sel:DWORD
	v_mov_b32_e32 v56, 0
	v_mov_b32_e32 v44, 0
	s_and_saveexec_b64 s[12:13], s[14:15]
	s_cbranch_execz .LBB648_233
; %bb.228:                              ;   in Loop: Header=BB648_215 Depth=1
	v_cmp_ne_u16_sdwa s[16:17], v42, s9 src0_sel:BYTE_0 src1_sel:DWORD
	v_bfrev_b32_e32 v44, 1
	s_and_saveexec_b64 s[14:15], s[16:17]
	s_cbranch_execz .LBB648_232
; %bb.229:                              ;   in Loop: Header=BB648_215 Depth=1
	v_bfe_u32 v57, v36, 16, 7
	v_cmp_ne_u32_e32 vcc, s19, v57
	v_mov_b32_e32 v44, 0x7f800001
	s_and_saveexec_b64 s[16:17], vcc
	s_cbranch_execz .LBB648_231
; %bb.230:                              ;   in Loop: Header=BB648_215 Depth=1
	v_and_b32_e32 v44, 7, v42
	v_ffbh_u32_e32 v58, v44
	v_min_u32_e32 v61, 32, v58
	v_subrev_u32_e32 v58, 28, v61
	v_lshlrev_b64 v[58:59], v58, v[42:43]
	v_lshrrev_b32_e32 v60, 3, v57
	v_sub_u32_e32 v59, 29, v61
	v_and_b32_e32 v58, 7, v58
	v_cmp_gt_u32_e32 vcc, 8, v57
	v_cndmask_b32_e32 v57, v60, v59, vcc
	v_cndmask_b32_e32 v44, v44, v58, vcc
	v_lshlrev_b32_e32 v42, 24, v42
	v_lshlrev_b32_e32 v44, 20, v44
	v_and_b32_e32 v42, 0x80000000, v42
	v_lshl_add_u32 v57, v57, 23, v55
	v_or3_b32 v44, v42, v57, v44
.LBB648_231:                            ;   in Loop: Header=BB648_215 Depth=1
	s_or_b64 exec, exec, s[16:17]
.LBB648_232:                            ;   in Loop: Header=BB648_215 Depth=1
	s_or_b64 exec, exec, s[14:15]
.LBB648_233:                            ;   in Loop: Header=BB648_215 Depth=1
	s_or_b64 exec, exec, s[12:13]
	v_cmp_lt_u32_e32 vcc, s20, v36
	s_and_saveexec_b64 s[12:13], vcc
	s_cbranch_execz .LBB648_239
; %bb.234:                              ;   in Loop: Header=BB648_215 Depth=1
	v_lshrrev_b32_e32 v42, 24, v36
	v_cmp_ne_u32_e32 vcc, s9, v42
	v_bfrev_b32_e32 v56, 1
	s_and_saveexec_b64 s[14:15], vcc
	s_cbranch_execz .LBB648_238
; %bb.235:                              ;   in Loop: Header=BB648_215 Depth=1
	v_bfe_u32 v36, v36, 24, 7
	v_cmp_ne_u32_e32 vcc, s19, v36
	v_mov_b32_e32 v56, 0x7f800001
	s_and_saveexec_b64 s[16:17], vcc
	s_cbranch_execz .LBB648_237
; %bb.236:                              ;   in Loop: Header=BB648_215 Depth=1
	v_and_b32_e32 v58, 7, v42
	v_ffbh_u32_e32 v56, v58
	v_min_u32_e32 v60, 32, v56
	v_subrev_u32_e32 v56, 28, v60
	v_lshlrev_b64 v[56:57], v56, v[42:43]
	v_lshrrev_b32_e32 v59, 3, v36
	v_sub_u32_e32 v57, 29, v60
	v_and_b32_e32 v56, 7, v56
	v_cmp_gt_u32_e32 vcc, 8, v36
	v_cndmask_b32_e32 v36, v59, v57, vcc
	v_cndmask_b32_e32 v56, v58, v56, vcc
	v_lshlrev_b32_e32 v42, 24, v42
	v_lshlrev_b32_e32 v56, 20, v56
	v_and_b32_e32 v42, 0x80000000, v42
	v_lshl_add_u32 v36, v36, 23, v55
	v_or3_b32 v56, v42, v36, v56
.LBB648_237:                            ;   in Loop: Header=BB648_215 Depth=1
	s_or_b64 exec, exec, s[16:17]
.LBB648_238:                            ;   in Loop: Header=BB648_215 Depth=1
	s_or_b64 exec, exec, s[14:15]
.LBB648_239:                            ;   in Loop: Header=BB648_215 Depth=1
	s_or_b64 exec, exec, s[12:13]
	s_waitcnt vmcnt(2)
	v_cmp_ne_u16_sdwa s[14:15], v34, v54 src0_sel:BYTE_0 src1_sel:DWORD
	v_mov_b32_e32 v42, 0
	v_mov_b32_e32 v57, 0
	s_and_saveexec_b64 s[12:13], s[14:15]
	s_cbranch_execz .LBB648_245
; %bb.240:                              ;   in Loop: Header=BB648_215 Depth=1
	v_cmp_ne_u16_sdwa s[16:17], v34, s9 src0_sel:BYTE_0 src1_sel:DWORD
	v_bfrev_b32_e32 v57, 1
	s_and_saveexec_b64 s[14:15], s[16:17]
	s_cbranch_execz .LBB648_244
; %bb.241:                              ;   in Loop: Header=BB648_215 Depth=1
	v_and_b32_e32 v36, 0x7f, v34
	v_cmp_ne_u32_e32 vcc, s19, v36
	v_mov_b32_e32 v57, 0x7f800001
	s_and_saveexec_b64 s[16:17], vcc
	s_cbranch_execz .LBB648_243
; %bb.242:                              ;   in Loop: Header=BB648_215 Depth=1
	v_and_b32_e32 v57, 7, v34
	v_ffbh_u32_e32 v58, v57
	v_min_u32_e32 v61, 32, v58
	v_subrev_u32_e32 v58, 28, v61
	v_lshlrev_b64 v[58:59], v58, v[34:35]
	v_lshrrev_b32_e32 v60, 3, v36
	v_sub_u32_e32 v59, 29, v61
	v_and_b32_e32 v58, 7, v58
	v_cmp_gt_u32_e32 vcc, 8, v36
	v_cndmask_b32_e32 v36, v60, v59, vcc
	v_cndmask_b32_e32 v57, v57, v58, vcc
	v_lshlrev_b32_e32 v58, 24, v34
	v_lshlrev_b32_e32 v57, 20, v57
	v_and_b32_e32 v58, 0x80000000, v58
	v_lshl_add_u32 v36, v36, 23, v55
	v_or3_b32 v57, v58, v36, v57
.LBB648_243:                            ;   in Loop: Header=BB648_215 Depth=1
	s_or_b64 exec, exec, s[16:17]
.LBB648_244:                            ;   in Loop: Header=BB648_215 Depth=1
	s_or_b64 exec, exec, s[14:15]
.LBB648_245:                            ;   in Loop: Header=BB648_215 Depth=1
	s_or_b64 exec, exec, s[12:13]
	v_lshrrev_b16_e32 v36, 8, v34
	v_cmp_ne_u16_e32 vcc, 0, v36
	s_and_saveexec_b64 s[12:13], vcc
	s_cbranch_execz .LBB648_251
; %bb.246:                              ;   in Loop: Header=BB648_215 Depth=1
	v_cmp_ne_u16_e32 vcc, s9, v36
	v_bfrev_b32_e32 v42, 1
	s_and_saveexec_b64 s[14:15], vcc
	s_cbranch_execz .LBB648_250
; %bb.247:                              ;   in Loop: Header=BB648_215 Depth=1
	v_and_b32_e32 v58, 0x7f, v36
	v_cmp_ne_u32_e32 vcc, s19, v58
	v_mov_b32_e32 v42, 0x7f800001
	s_and_saveexec_b64 s[16:17], vcc
	s_cbranch_execz .LBB648_249
; %bb.248:                              ;   in Loop: Header=BB648_215 Depth=1
	v_and_b32_e32 v42, 7, v36
	v_ffbh_u32_e32 v60, v42
	v_min_u32_e32 v62, 32, v60
	v_subrev_u32_e32 v60, 28, v62
	v_lshlrev_b64 v[60:61], v60, v[36:37]
	v_lshrrev_b32_e32 v59, 3, v58
	v_sub_u32_e32 v36, 29, v62
	v_and_b32_e32 v60, 7, v60
	v_cmp_gt_u32_e32 vcc, 8, v58
	v_cndmask_b32_e32 v36, v59, v36, vcc
	v_cndmask_b32_e32 v42, v42, v60, vcc
	v_lshlrev_b32_e32 v58, 16, v34
	v_lshlrev_b32_e32 v42, 20, v42
	v_and_b32_e32 v58, 0x80000000, v58
	v_lshl_add_u32 v36, v36, 23, v55
	v_or3_b32 v42, v58, v36, v42
.LBB648_249:                            ;   in Loop: Header=BB648_215 Depth=1
	s_or_b64 exec, exec, s[16:17]
.LBB648_250:                            ;   in Loop: Header=BB648_215 Depth=1
	s_or_b64 exec, exec, s[14:15]
.LBB648_251:                            ;   in Loop: Header=BB648_215 Depth=1
	s_or_b64 exec, exec, s[12:13]
	v_lshrrev_b32_e32 v36, 16, v34
	v_cmp_ne_u16_sdwa s[14:15], v36, v54 src0_sel:BYTE_0 src1_sel:DWORD
	v_mov_b32_e32 v59, 0
	v_mov_b32_e32 v58, 0
	s_and_saveexec_b64 s[12:13], s[14:15]
	s_cbranch_execz .LBB648_257
; %bb.252:                              ;   in Loop: Header=BB648_215 Depth=1
	v_cmp_ne_u16_sdwa s[16:17], v36, s9 src0_sel:BYTE_0 src1_sel:DWORD
	v_bfrev_b32_e32 v58, 1
	s_and_saveexec_b64 s[14:15], s[16:17]
	s_cbranch_execz .LBB648_256
; %bb.253:                              ;   in Loop: Header=BB648_215 Depth=1
	v_bfe_u32 v60, v34, 16, 7
	v_cmp_ne_u32_e32 vcc, s19, v60
	v_mov_b32_e32 v58, 0x7f800001
	s_and_saveexec_b64 s[16:17], vcc
	s_cbranch_execz .LBB648_255
; %bb.254:                              ;   in Loop: Header=BB648_215 Depth=1
	v_and_b32_e32 v58, 7, v36
	v_ffbh_u32_e32 v62, v58
	v_min_u32_e32 v64, 32, v62
	v_subrev_u32_e32 v62, 28, v64
	v_lshlrev_b64 v[62:63], v62, v[36:37]
	v_lshrrev_b32_e32 v61, 3, v60
	v_sub_u32_e32 v63, 29, v64
	v_and_b32_e32 v62, 7, v62
	v_cmp_gt_u32_e32 vcc, 8, v60
	v_cndmask_b32_e32 v60, v61, v63, vcc
	v_cndmask_b32_e32 v58, v58, v62, vcc
	v_lshlrev_b32_e32 v36, 24, v36
	v_lshlrev_b32_e32 v58, 20, v58
	v_and_b32_e32 v36, 0x80000000, v36
	v_lshl_add_u32 v60, v60, 23, v55
	v_or3_b32 v58, v36, v60, v58
.LBB648_255:                            ;   in Loop: Header=BB648_215 Depth=1
	s_or_b64 exec, exec, s[16:17]
.LBB648_256:                            ;   in Loop: Header=BB648_215 Depth=1
	s_or_b64 exec, exec, s[14:15]
.LBB648_257:                            ;   in Loop: Header=BB648_215 Depth=1
	s_or_b64 exec, exec, s[12:13]
	v_cmp_lt_u32_e32 vcc, s20, v34
	s_and_saveexec_b64 s[12:13], vcc
	s_cbranch_execz .LBB648_263
; %bb.258:                              ;   in Loop: Header=BB648_215 Depth=1
	v_lshrrev_b32_e32 v36, 24, v34
	v_cmp_ne_u32_e32 vcc, s9, v36
	v_bfrev_b32_e32 v59, 1
	s_and_saveexec_b64 s[14:15], vcc
	s_cbranch_execz .LBB648_262
; %bb.259:                              ;   in Loop: Header=BB648_215 Depth=1
	v_bfe_u32 v34, v34, 24, 7
	v_cmp_ne_u32_e32 vcc, s19, v34
	v_mov_b32_e32 v59, 0x7f800001
	s_and_saveexec_b64 s[16:17], vcc
	s_cbranch_execz .LBB648_261
; %bb.260:                              ;   in Loop: Header=BB648_215 Depth=1
	v_and_b32_e32 v59, 7, v36
	v_ffbh_u32_e32 v60, v59
	v_min_u32_e32 v63, 32, v60
	v_subrev_u32_e32 v60, 28, v63
	v_lshlrev_b64 v[60:61], v60, v[36:37]
	v_lshrrev_b32_e32 v62, 3, v34
	v_sub_u32_e32 v61, 29, v63
	v_and_b32_e32 v60, 7, v60
	v_cmp_gt_u32_e32 vcc, 8, v34
	v_cndmask_b32_e32 v34, v62, v61, vcc
	v_cndmask_b32_e32 v59, v59, v60, vcc
	v_lshlrev_b32_e32 v36, 24, v36
	v_lshlrev_b32_e32 v59, 20, v59
	v_and_b32_e32 v36, 0x80000000, v36
	v_lshl_add_u32 v34, v34, 23, v55
	v_or3_b32 v59, v36, v34, v59
.LBB648_261:                            ;   in Loop: Header=BB648_215 Depth=1
	s_or_b64 exec, exec, s[16:17]
.LBB648_262:                            ;   in Loop: Header=BB648_215 Depth=1
	s_or_b64 exec, exec, s[14:15]
.LBB648_263:                            ;   in Loop: Header=BB648_215 Depth=1
	s_or_b64 exec, exec, s[12:13]
	v_cvt_pkrtz_f16_f32 v34, v35, v37
	v_cvt_pkrtz_f16_f32 v35, v44, v56
	;; [unrolled: 1-line block ×4, first 2 shown]
	v_mov_b32_e32 v44, 0
	v_mfma_f32_16x16x16f16 v[34:37], v[34:35], v[2:3], 0
	s_waitcnt vmcnt(1)
	v_cmp_ne_u16_sdwa s[14:15], v40, v54 src0_sel:BYTE_0 src1_sel:DWORD
	v_mov_b32_e32 v57, 0
	v_mfma_f32_16x16x16f16 v[34:37], v[60:61], v[4:5], v[34:37]
	s_and_saveexec_b64 s[12:13], s[14:15]
	s_cbranch_execz .LBB648_269
; %bb.264:                              ;   in Loop: Header=BB648_215 Depth=1
	v_cmp_ne_u16_sdwa s[16:17], v40, s9 src0_sel:BYTE_0 src1_sel:DWORD
	v_bfrev_b32_e32 v57, 1
	s_and_saveexec_b64 s[14:15], s[16:17]
	s_cbranch_execz .LBB648_268
; %bb.265:                              ;   in Loop: Header=BB648_215 Depth=1
	v_and_b32_e32 v42, 0x7f, v40
	v_cmp_ne_u32_e32 vcc, s19, v42
	v_mov_b32_e32 v57, 0x7f800001
	s_and_saveexec_b64 s[16:17], vcc
	s_cbranch_execz .LBB648_267
; %bb.266:                              ;   in Loop: Header=BB648_215 Depth=1
	v_and_b32_e32 v58, 7, v40
	v_ffbh_u32_e32 v56, v58
	v_min_u32_e32 v60, 32, v56
	v_subrev_u32_e32 v56, 28, v60
	v_lshlrev_b64 v[56:57], v56, v[40:41]
	v_lshrrev_b32_e32 v59, 3, v42
	v_sub_u32_e32 v57, 29, v60
	v_and_b32_e32 v56, 7, v56
	v_cmp_gt_u32_e32 vcc, 8, v42
	v_cndmask_b32_e32 v42, v59, v57, vcc
	v_cndmask_b32_e32 v56, v58, v56, vcc
	v_lshlrev_b32_e32 v57, 24, v40
	v_lshlrev_b32_e32 v56, 20, v56
	v_and_b32_e32 v57, 0x80000000, v57
	v_lshl_add_u32 v42, v42, 23, v55
	v_or3_b32 v57, v57, v42, v56
.LBB648_267:                            ;   in Loop: Header=BB648_215 Depth=1
	s_or_b64 exec, exec, s[16:17]
.LBB648_268:                            ;   in Loop: Header=BB648_215 Depth=1
	s_or_b64 exec, exec, s[14:15]
.LBB648_269:                            ;   in Loop: Header=BB648_215 Depth=1
	s_or_b64 exec, exec, s[12:13]
	v_lshrrev_b16_e32 v42, 8, v40
	v_cmp_ne_u16_e32 vcc, 0, v42
	v_mov_b32_e32 v58, 0
	s_and_saveexec_b64 s[12:13], vcc
	s_cbranch_execz .LBB648_275
; %bb.270:                              ;   in Loop: Header=BB648_215 Depth=1
	v_cmp_ne_u16_e32 vcc, s9, v42
	v_bfrev_b32_e32 v58, 1
	s_and_saveexec_b64 s[14:15], vcc
	s_cbranch_execz .LBB648_274
; %bb.271:                              ;   in Loop: Header=BB648_215 Depth=1
	v_and_b32_e32 v56, 0x7f, v42
	v_cmp_ne_u32_e32 vcc, s19, v56
	v_mov_b32_e32 v58, 0x7f800001
	s_and_saveexec_b64 s[16:17], vcc
	s_cbranch_execz .LBB648_273
; %bb.272:                              ;   in Loop: Header=BB648_215 Depth=1
	v_and_b32_e32 v60, 7, v42
	v_ffbh_u32_e32 v58, v60
	v_min_u32_e32 v62, 32, v58
	v_subrev_u32_e32 v58, 28, v62
	v_lshlrev_b64 v[58:59], v58, v[42:43]
	v_lshrrev_b32_e32 v61, 3, v56
	v_sub_u32_e32 v42, 29, v62
	v_and_b32_e32 v58, 7, v58
	v_cmp_gt_u32_e32 vcc, 8, v56
	v_cndmask_b32_e32 v42, v61, v42, vcc
	v_cndmask_b32_e32 v56, v60, v58, vcc
	v_lshlrev_b32_e32 v58, 16, v40
	v_lshlrev_b32_e32 v56, 20, v56
	v_and_b32_e32 v58, 0x80000000, v58
	v_lshl_add_u32 v42, v42, 23, v55
	v_or3_b32 v58, v58, v42, v56
.LBB648_273:                            ;   in Loop: Header=BB648_215 Depth=1
	s_or_b64 exec, exec, s[16:17]
.LBB648_274:                            ;   in Loop: Header=BB648_215 Depth=1
	s_or_b64 exec, exec, s[14:15]
.LBB648_275:                            ;   in Loop: Header=BB648_215 Depth=1
	s_or_b64 exec, exec, s[12:13]
	v_lshrrev_b32_e32 v42, 16, v40
	v_cmp_ne_u16_sdwa s[14:15], v42, v54 src0_sel:BYTE_0 src1_sel:DWORD
	s_and_saveexec_b64 s[12:13], s[14:15]
	s_cbranch_execz .LBB648_281
; %bb.276:                              ;   in Loop: Header=BB648_215 Depth=1
	v_cmp_ne_u16_sdwa s[16:17], v42, s9 src0_sel:BYTE_0 src1_sel:DWORD
	v_bfrev_b32_e32 v44, 1
	s_and_saveexec_b64 s[14:15], s[16:17]
	s_cbranch_execz .LBB648_280
; %bb.277:                              ;   in Loop: Header=BB648_215 Depth=1
	v_bfe_u32 v56, v40, 16, 7
	v_cmp_ne_u32_e32 vcc, s19, v56
	v_mov_b32_e32 v44, 0x7f800001
	s_and_saveexec_b64 s[16:17], vcc
	s_cbranch_execz .LBB648_279
; %bb.278:                              ;   in Loop: Header=BB648_215 Depth=1
	v_and_b32_e32 v44, 7, v42
	v_ffbh_u32_e32 v60, v44
	v_min_u32_e32 v62, 32, v60
	v_subrev_u32_e32 v60, 28, v62
	v_lshlrev_b64 v[60:61], v60, v[42:43]
	v_lshrrev_b32_e32 v59, 3, v56
	v_sub_u32_e32 v61, 29, v62
	v_and_b32_e32 v60, 7, v60
	v_cmp_gt_u32_e32 vcc, 8, v56
	v_cndmask_b32_e32 v56, v59, v61, vcc
	v_cndmask_b32_e32 v44, v44, v60, vcc
	v_lshlrev_b32_e32 v42, 24, v42
	v_lshlrev_b32_e32 v44, 20, v44
	v_and_b32_e32 v42, 0x80000000, v42
	v_lshl_add_u32 v56, v56, 23, v55
	v_or3_b32 v44, v42, v56, v44
.LBB648_279:                            ;   in Loop: Header=BB648_215 Depth=1
	s_or_b64 exec, exec, s[16:17]
.LBB648_280:                            ;   in Loop: Header=BB648_215 Depth=1
	s_or_b64 exec, exec, s[14:15]
.LBB648_281:                            ;   in Loop: Header=BB648_215 Depth=1
	s_or_b64 exec, exec, s[12:13]
	v_cmp_lt_u32_e32 vcc, s20, v40
	v_mov_b32_e32 v59, 0
	v_mov_b32_e32 v60, 0
	s_and_saveexec_b64 s[12:13], vcc
	s_cbranch_execz .LBB648_287
; %bb.282:                              ;   in Loop: Header=BB648_215 Depth=1
	v_lshrrev_b32_e32 v42, 24, v40
	v_cmp_ne_u32_e32 vcc, s9, v42
	v_bfrev_b32_e32 v60, 1
	s_and_saveexec_b64 s[14:15], vcc
	s_cbranch_execz .LBB648_286
; %bb.283:                              ;   in Loop: Header=BB648_215 Depth=1
	v_bfe_u32 v40, v40, 24, 7
	v_cmp_ne_u32_e32 vcc, s19, v40
	v_mov_b32_e32 v60, 0x7f800001
	s_and_saveexec_b64 s[16:17], vcc
	s_cbranch_execz .LBB648_285
; %bb.284:                              ;   in Loop: Header=BB648_215 Depth=1
	v_and_b32_e32 v56, 7, v42
	v_ffbh_u32_e32 v60, v56
	v_min_u32_e32 v63, 32, v60
	v_subrev_u32_e32 v60, 28, v63
	v_lshlrev_b64 v[60:61], v60, v[42:43]
	v_lshrrev_b32_e32 v62, 3, v40
	v_sub_u32_e32 v61, 29, v63
	v_and_b32_e32 v60, 7, v60
	v_cmp_gt_u32_e32 vcc, 8, v40
	v_cndmask_b32_e32 v40, v62, v61, vcc
	v_cndmask_b32_e32 v56, v56, v60, vcc
	v_lshlrev_b32_e32 v42, 24, v42
	v_lshlrev_b32_e32 v56, 20, v56
	v_and_b32_e32 v42, 0x80000000, v42
	v_lshl_add_u32 v40, v40, 23, v55
	v_or3_b32 v60, v42, v40, v56
.LBB648_285:                            ;   in Loop: Header=BB648_215 Depth=1
	s_or_b64 exec, exec, s[16:17]
.LBB648_286:                            ;   in Loop: Header=BB648_215 Depth=1
	s_or_b64 exec, exec, s[14:15]
.LBB648_287:                            ;   in Loop: Header=BB648_215 Depth=1
	s_or_b64 exec, exec, s[12:13]
	s_waitcnt vmcnt(0)
	v_cmp_ne_u16_sdwa s[14:15], v38, v54 src0_sel:BYTE_0 src1_sel:DWORD
	s_and_saveexec_b64 s[12:13], s[14:15]
	s_cbranch_execz .LBB648_293
; %bb.288:                              ;   in Loop: Header=BB648_215 Depth=1
	v_cmp_ne_u16_sdwa s[16:17], v38, s9 src0_sel:BYTE_0 src1_sel:DWORD
	v_bfrev_b32_e32 v59, 1
	s_and_saveexec_b64 s[14:15], s[16:17]
	s_cbranch_execz .LBB648_292
; %bb.289:                              ;   in Loop: Header=BB648_215 Depth=1
	v_and_b32_e32 v40, 0x7f, v38
	v_cmp_ne_u32_e32 vcc, s19, v40
	v_mov_b32_e32 v59, 0x7f800001
	s_and_saveexec_b64 s[16:17], vcc
	s_cbranch_execz .LBB648_291
; %bb.290:                              ;   in Loop: Header=BB648_215 Depth=1
	v_and_b32_e32 v42, 7, v38
	v_ffbh_u32_e32 v59, v42
	v_min_u32_e32 v59, 32, v59
	v_subrev_u32_e32 v61, 28, v59
	v_lshlrev_b64 v[62:63], v61, v[38:39]
	v_lshrrev_b32_e32 v56, 3, v40
	v_sub_u32_e32 v59, 29, v59
	v_and_b32_e32 v61, 7, v62
	v_cmp_gt_u32_e32 vcc, 8, v40
	v_cndmask_b32_e32 v40, v56, v59, vcc
	v_cndmask_b32_e32 v42, v42, v61, vcc
	v_lshlrev_b32_e32 v56, 24, v38
	v_lshlrev_b32_e32 v42, 20, v42
	v_and_b32_e32 v56, 0x80000000, v56
	v_lshl_add_u32 v40, v40, 23, v55
	v_or3_b32 v59, v56, v40, v42
.LBB648_291:                            ;   in Loop: Header=BB648_215 Depth=1
	s_or_b64 exec, exec, s[16:17]
.LBB648_292:                            ;   in Loop: Header=BB648_215 Depth=1
	s_or_b64 exec, exec, s[14:15]
.LBB648_293:                            ;   in Loop: Header=BB648_215 Depth=1
	s_or_b64 exec, exec, s[12:13]
	v_lshrrev_b16_e32 v40, 8, v38
	v_cmp_ne_u16_e32 vcc, 0, v40
	v_mov_b32_e32 v61, 0
	v_mov_b32_e32 v62, 0
	s_and_saveexec_b64 s[12:13], vcc
	s_cbranch_execz .LBB648_299
; %bb.294:                              ;   in Loop: Header=BB648_215 Depth=1
	v_cmp_ne_u16_e32 vcc, s9, v40
	v_bfrev_b32_e32 v62, 1
	s_and_saveexec_b64 s[14:15], vcc
	s_cbranch_execz .LBB648_298
; %bb.295:                              ;   in Loop: Header=BB648_215 Depth=1
	v_and_b32_e32 v42, 0x7f, v40
	v_cmp_ne_u32_e32 vcc, s19, v42
	v_mov_b32_e32 v62, 0x7f800001
	s_and_saveexec_b64 s[16:17], vcc
	s_cbranch_execz .LBB648_297
; %bb.296:                              ;   in Loop: Header=BB648_215 Depth=1
	v_and_b32_e32 v56, 7, v40
	v_ffbh_u32_e32 v62, v56
	v_min_u32_e32 v65, 32, v62
	v_subrev_u32_e32 v62, 28, v65
	v_lshlrev_b64 v[62:63], v62, v[40:41]
	v_lshrrev_b32_e32 v64, 3, v42
	v_sub_u32_e32 v40, 29, v65
	v_and_b32_e32 v62, 7, v62
	v_cmp_gt_u32_e32 vcc, 8, v42
	v_cndmask_b32_e32 v40, v64, v40, vcc
	v_cndmask_b32_e32 v42, v56, v62, vcc
	v_lshlrev_b32_e32 v56, 16, v38
	v_lshlrev_b32_e32 v42, 20, v42
	v_and_b32_e32 v56, 0x80000000, v56
	v_lshl_add_u32 v40, v40, 23, v55
	v_or3_b32 v62, v56, v40, v42
.LBB648_297:                            ;   in Loop: Header=BB648_215 Depth=1
	s_or_b64 exec, exec, s[16:17]
.LBB648_298:                            ;   in Loop: Header=BB648_215 Depth=1
	s_or_b64 exec, exec, s[14:15]
.LBB648_299:                            ;   in Loop: Header=BB648_215 Depth=1
	s_or_b64 exec, exec, s[12:13]
	v_lshrrev_b32_e32 v40, 16, v38
	v_cmp_ne_u16_sdwa s[14:15], v40, v54 src0_sel:BYTE_0 src1_sel:DWORD
	s_and_saveexec_b64 s[12:13], s[14:15]
	s_cbranch_execz .LBB648_305
; %bb.300:                              ;   in Loop: Header=BB648_215 Depth=1
	v_cmp_ne_u16_sdwa s[16:17], v40, s9 src0_sel:BYTE_0 src1_sel:DWORD
	v_bfrev_b32_e32 v61, 1
	s_and_saveexec_b64 s[14:15], s[16:17]
	s_cbranch_execz .LBB648_304
; %bb.301:                              ;   in Loop: Header=BB648_215 Depth=1
	v_bfe_u32 v42, v38, 16, 7
	v_cmp_ne_u32_e32 vcc, s19, v42
	v_mov_b32_e32 v61, 0x7f800001
	s_and_saveexec_b64 s[16:17], vcc
	s_cbranch_execz .LBB648_303
; %bb.302:                              ;   in Loop: Header=BB648_215 Depth=1
	v_and_b32_e32 v56, 7, v40
	v_ffbh_u32_e32 v63, v56
	v_min_u32_e32 v63, 32, v63
	v_subrev_u32_e32 v64, 28, v63
	v_lshlrev_b64 v[64:65], v64, v[40:41]
	v_lshrrev_b32_e32 v61, 3, v42
	v_sub_u32_e32 v63, 29, v63
	v_and_b32_e32 v64, 7, v64
	v_cmp_gt_u32_e32 vcc, 8, v42
	v_cndmask_b32_e32 v42, v61, v63, vcc
	v_cndmask_b32_e32 v56, v56, v64, vcc
	v_lshlrev_b32_e32 v40, 24, v40
	v_lshlrev_b32_e32 v56, 20, v56
	v_and_b32_e32 v40, 0x80000000, v40
	v_lshl_add_u32 v42, v42, 23, v55
	v_or3_b32 v61, v40, v42, v56
.LBB648_303:                            ;   in Loop: Header=BB648_215 Depth=1
	s_or_b64 exec, exec, s[16:17]
.LBB648_304:                            ;   in Loop: Header=BB648_215 Depth=1
	s_or_b64 exec, exec, s[14:15]
.LBB648_305:                            ;   in Loop: Header=BB648_215 Depth=1
	s_or_b64 exec, exec, s[12:13]
	v_cmp_lt_u32_e32 vcc, s20, v38
	v_mov_b32_e32 v56, 0
	v_mov_b32_e32 v63, 0
	s_and_saveexec_b64 s[12:13], vcc
	s_cbranch_execz .LBB648_311
; %bb.306:                              ;   in Loop: Header=BB648_215 Depth=1
	v_lshrrev_b32_e32 v40, 24, v38
	v_cmp_ne_u32_e32 vcc, s9, v40
	v_bfrev_b32_e32 v63, 1
	s_and_saveexec_b64 s[14:15], vcc
	s_cbranch_execz .LBB648_310
; %bb.307:                              ;   in Loop: Header=BB648_215 Depth=1
	v_bfe_u32 v38, v38, 24, 7
	v_cmp_ne_u32_e32 vcc, s19, v38
	v_mov_b32_e32 v63, 0x7f800001
	s_and_saveexec_b64 s[16:17], vcc
	s_cbranch_execz .LBB648_309
; %bb.308:                              ;   in Loop: Header=BB648_215 Depth=1
	v_and_b32_e32 v42, 7, v40
	v_ffbh_u32_e32 v64, v42
	v_min_u32_e32 v66, 32, v64
	v_subrev_u32_e32 v64, 28, v66
	v_lshlrev_b64 v[64:65], v64, v[40:41]
	v_lshrrev_b32_e32 v63, 3, v38
	v_sub_u32_e32 v65, 29, v66
	v_and_b32_e32 v64, 7, v64
	v_cmp_gt_u32_e32 vcc, 8, v38
	v_cndmask_b32_e32 v38, v63, v65, vcc
	v_cndmask_b32_e32 v42, v42, v64, vcc
	v_lshlrev_b32_e32 v40, 24, v40
	v_lshlrev_b32_e32 v42, 20, v42
	v_and_b32_e32 v40, 0x80000000, v40
	v_lshl_add_u32 v38, v38, 23, v55
	v_or3_b32 v63, v40, v38, v42
.LBB648_309:                            ;   in Loop: Header=BB648_215 Depth=1
	s_or_b64 exec, exec, s[16:17]
.LBB648_310:                            ;   in Loop: Header=BB648_215 Depth=1
	s_or_b64 exec, exec, s[14:15]
.LBB648_311:                            ;   in Loop: Header=BB648_215 Depth=1
	s_or_b64 exec, exec, s[12:13]
	v_cvt_pkrtz_f16_f32 v65, v44, v60
	buffer_load_dword v44, v46, s[0:3], 0 offen
	buffer_load_dword v42, v46, s[0:3], 0 offen offset:4
	buffer_load_dword v40, v46, s[0:3], 0 offen offset:8
	;; [unrolled: 1-line block ×3, first 2 shown]
	v_cvt_pkrtz_f16_f32 v64, v57, v58
	v_cvt_pkrtz_f16_f32 v58, v59, v62
	;; [unrolled: 1-line block ×3, first 2 shown]
	v_mfma_f32_16x16x16f16 v[34:37], v[64:65], v[6:7], v[34:37]
	s_waitcnt vmcnt(3)
	v_cmp_ne_u16_sdwa s[14:15], v44, v54 src0_sel:BYTE_0 src1_sel:DWORD
	v_mfma_f32_16x16x16f16 v[34:37], v[58:59], v[8:9], v[34:37]
	s_and_saveexec_b64 s[12:13], s[14:15]
	s_cbranch_execz .LBB648_317
; %bb.312:                              ;   in Loop: Header=BB648_215 Depth=1
	v_cmp_ne_u16_sdwa s[16:17], v44, s9 src0_sel:BYTE_0 src1_sel:DWORD
	v_bfrev_b32_e32 v56, 1
	s_and_saveexec_b64 s[14:15], s[16:17]
	s_cbranch_execz .LBB648_316
; %bb.313:                              ;   in Loop: Header=BB648_215 Depth=1
	v_and_b32_e32 v46, 0x7f, v44
	v_cmp_ne_u32_e32 vcc, s19, v46
	v_mov_b32_e32 v56, 0x7f800001
	s_and_saveexec_b64 s[16:17], vcc
	s_cbranch_execz .LBB648_315
; %bb.314:                              ;   in Loop: Header=BB648_215 Depth=1
	v_and_b32_e32 v58, 7, v44
	v_ffbh_u32_e32 v56, v58
	v_min_u32_e32 v60, 32, v56
	v_subrev_u32_e32 v56, 28, v60
	v_lshlrev_b64 v[56:57], v56, v[44:45]
	v_lshrrev_b32_e32 v59, 3, v46
	v_sub_u32_e32 v57, 29, v60
	v_and_b32_e32 v56, 7, v56
	v_cmp_gt_u32_e32 vcc, 8, v46
	v_cndmask_b32_e32 v46, v59, v57, vcc
	v_cndmask_b32_e32 v56, v58, v56, vcc
	v_lshlrev_b32_e32 v57, 24, v44
	v_lshlrev_b32_e32 v56, 20, v56
	v_and_b32_e32 v57, 0x80000000, v57
	v_lshl_add_u32 v46, v46, 23, v55
	v_or3_b32 v56, v57, v46, v56
.LBB648_315:                            ;   in Loop: Header=BB648_215 Depth=1
	s_or_b64 exec, exec, s[16:17]
.LBB648_316:                            ;   in Loop: Header=BB648_215 Depth=1
	s_or_b64 exec, exec, s[14:15]
.LBB648_317:                            ;   in Loop: Header=BB648_215 Depth=1
	s_or_b64 exec, exec, s[12:13]
	v_lshrrev_b16_e32 v46, 8, v44
	v_cmp_ne_u16_e32 vcc, 0, v46
	v_mov_b32_e32 v57, 0
	v_mov_b32_e32 v58, 0
	s_and_saveexec_b64 s[12:13], vcc
	s_cbranch_execz .LBB648_323
; %bb.318:                              ;   in Loop: Header=BB648_215 Depth=1
	v_cmp_ne_u16_e32 vcc, s9, v46
	v_bfrev_b32_e32 v58, 1
	s_and_saveexec_b64 s[14:15], vcc
	s_cbranch_execz .LBB648_322
; %bb.319:                              ;   in Loop: Header=BB648_215 Depth=1
	v_and_b32_e32 v59, 0x7f, v46
	v_cmp_ne_u32_e32 vcc, s19, v59
	v_mov_b32_e32 v58, 0x7f800001
	s_and_saveexec_b64 s[16:17], vcc
	s_cbranch_execz .LBB648_321
; %bb.320:                              ;   in Loop: Header=BB648_215 Depth=1
	v_and_b32_e32 v58, 7, v46
	v_ffbh_u32_e32 v60, v58
	v_min_u32_e32 v63, 32, v60
	v_subrev_u32_e32 v60, 28, v63
	v_lshlrev_b64 v[60:61], v60, v[46:47]
	v_lshrrev_b32_e32 v62, 3, v59
	v_sub_u32_e32 v46, 29, v63
	v_and_b32_e32 v60, 7, v60
	v_cmp_gt_u32_e32 vcc, 8, v59
	v_cndmask_b32_e32 v46, v62, v46, vcc
	v_cndmask_b32_e32 v58, v58, v60, vcc
	v_lshlrev_b32_e32 v59, 16, v44
	v_lshlrev_b32_e32 v58, 20, v58
	v_and_b32_e32 v59, 0x80000000, v59
	v_lshl_add_u32 v46, v46, 23, v55
	v_or3_b32 v58, v59, v46, v58
.LBB648_321:                            ;   in Loop: Header=BB648_215 Depth=1
	s_or_b64 exec, exec, s[16:17]
.LBB648_322:                            ;   in Loop: Header=BB648_215 Depth=1
	s_or_b64 exec, exec, s[14:15]
.LBB648_323:                            ;   in Loop: Header=BB648_215 Depth=1
	s_or_b64 exec, exec, s[12:13]
	v_lshrrev_b32_e32 v46, 16, v44
	v_cmp_ne_u16_sdwa s[14:15], v46, v54 src0_sel:BYTE_0 src1_sel:DWORD
	s_and_saveexec_b64 s[12:13], s[14:15]
	s_cbranch_execz .LBB648_329
; %bb.324:                              ;   in Loop: Header=BB648_215 Depth=1
	v_cmp_ne_u16_sdwa s[16:17], v46, s9 src0_sel:BYTE_0 src1_sel:DWORD
	v_bfrev_b32_e32 v57, 1
	s_and_saveexec_b64 s[14:15], s[16:17]
	s_cbranch_execz .LBB648_328
; %bb.325:                              ;   in Loop: Header=BB648_215 Depth=1
	v_bfe_u32 v59, v44, 16, 7
	v_cmp_ne_u32_e32 vcc, s19, v59
	v_mov_b32_e32 v57, 0x7f800001
	s_and_saveexec_b64 s[16:17], vcc
	s_cbranch_execz .LBB648_327
; %bb.326:                              ;   in Loop: Header=BB648_215 Depth=1
	v_and_b32_e32 v57, 7, v46
	v_ffbh_u32_e32 v60, v57
	v_min_u32_e32 v63, 32, v60
	v_subrev_u32_e32 v60, 28, v63
	v_lshlrev_b64 v[60:61], v60, v[46:47]
	v_lshrrev_b32_e32 v62, 3, v59
	v_sub_u32_e32 v61, 29, v63
	v_and_b32_e32 v60, 7, v60
	v_cmp_gt_u32_e32 vcc, 8, v59
	v_cndmask_b32_e32 v59, v62, v61, vcc
	v_cndmask_b32_e32 v57, v57, v60, vcc
	v_lshlrev_b32_e32 v46, 24, v46
	v_lshlrev_b32_e32 v57, 20, v57
	v_and_b32_e32 v46, 0x80000000, v46
	v_lshl_add_u32 v59, v59, 23, v55
	v_or3_b32 v57, v46, v59, v57
.LBB648_327:                            ;   in Loop: Header=BB648_215 Depth=1
	s_or_b64 exec, exec, s[16:17]
.LBB648_328:                            ;   in Loop: Header=BB648_215 Depth=1
	s_or_b64 exec, exec, s[14:15]
.LBB648_329:                            ;   in Loop: Header=BB648_215 Depth=1
	s_or_b64 exec, exec, s[12:13]
	v_cmp_lt_u32_e32 vcc, s20, v44
	v_mov_b32_e32 v59, 0
	v_mov_b32_e32 v60, 0
	s_and_saveexec_b64 s[12:13], vcc
	s_cbranch_execz .LBB648_335
; %bb.330:                              ;   in Loop: Header=BB648_215 Depth=1
	v_lshrrev_b32_e32 v46, 24, v44
	v_cmp_ne_u32_e32 vcc, s9, v46
	v_bfrev_b32_e32 v60, 1
	s_and_saveexec_b64 s[14:15], vcc
	s_cbranch_execz .LBB648_334
; %bb.331:                              ;   in Loop: Header=BB648_215 Depth=1
	v_bfe_u32 v44, v44, 24, 7
	v_cmp_ne_u32_e32 vcc, s19, v44
	v_mov_b32_e32 v60, 0x7f800001
	s_and_saveexec_b64 s[16:17], vcc
	s_cbranch_execz .LBB648_333
; %bb.332:                              ;   in Loop: Header=BB648_215 Depth=1
	v_and_b32_e32 v62, 7, v46
	v_ffbh_u32_e32 v60, v62
	v_min_u32_e32 v64, 32, v60
	v_subrev_u32_e32 v60, 28, v64
	v_lshlrev_b64 v[60:61], v60, v[46:47]
	v_lshrrev_b32_e32 v63, 3, v44
	v_sub_u32_e32 v61, 29, v64
	v_and_b32_e32 v60, 7, v60
	v_cmp_gt_u32_e32 vcc, 8, v44
	v_cndmask_b32_e32 v44, v63, v61, vcc
	v_cndmask_b32_e32 v60, v62, v60, vcc
	v_lshlrev_b32_e32 v46, 24, v46
	v_lshlrev_b32_e32 v60, 20, v60
	v_and_b32_e32 v46, 0x80000000, v46
	v_lshl_add_u32 v44, v44, 23, v55
	v_or3_b32 v60, v46, v44, v60
.LBB648_333:                            ;   in Loop: Header=BB648_215 Depth=1
	s_or_b64 exec, exec, s[16:17]
.LBB648_334:                            ;   in Loop: Header=BB648_215 Depth=1
	s_or_b64 exec, exec, s[14:15]
.LBB648_335:                            ;   in Loop: Header=BB648_215 Depth=1
	s_or_b64 exec, exec, s[12:13]
	s_waitcnt vmcnt(2)
	v_cmp_ne_u16_sdwa s[14:15], v42, v54 src0_sel:BYTE_0 src1_sel:DWORD
	s_and_saveexec_b64 s[12:13], s[14:15]
	s_cbranch_execz .LBB648_341
; %bb.336:                              ;   in Loop: Header=BB648_215 Depth=1
	v_cmp_ne_u16_sdwa s[16:17], v42, s9 src0_sel:BYTE_0 src1_sel:DWORD
	v_bfrev_b32_e32 v59, 1
	s_and_saveexec_b64 s[14:15], s[16:17]
	s_cbranch_execz .LBB648_340
; %bb.337:                              ;   in Loop: Header=BB648_215 Depth=1
	v_and_b32_e32 v44, 0x7f, v42
	v_cmp_ne_u32_e32 vcc, s19, v44
	v_mov_b32_e32 v59, 0x7f800001
	s_and_saveexec_b64 s[16:17], vcc
	s_cbranch_execz .LBB648_339
; %bb.338:                              ;   in Loop: Header=BB648_215 Depth=1
	v_and_b32_e32 v46, 7, v42
	v_ffbh_u32_e32 v61, v46
	v_min_u32_e32 v61, 32, v61
	v_subrev_u32_e32 v62, 28, v61
	v_lshlrev_b64 v[62:63], v62, v[42:43]
	v_lshrrev_b32_e32 v59, 3, v44
	v_sub_u32_e32 v61, 29, v61
	v_and_b32_e32 v62, 7, v62
	v_cmp_gt_u32_e32 vcc, 8, v44
	v_cndmask_b32_e32 v44, v59, v61, vcc
	v_cndmask_b32_e32 v46, v46, v62, vcc
	v_lshlrev_b32_e32 v59, 24, v42
	v_lshlrev_b32_e32 v46, 20, v46
	v_and_b32_e32 v59, 0x80000000, v59
	v_lshl_add_u32 v44, v44, 23, v55
	v_or3_b32 v59, v59, v44, v46
.LBB648_339:                            ;   in Loop: Header=BB648_215 Depth=1
	s_or_b64 exec, exec, s[16:17]
.LBB648_340:                            ;   in Loop: Header=BB648_215 Depth=1
	s_or_b64 exec, exec, s[14:15]
.LBB648_341:                            ;   in Loop: Header=BB648_215 Depth=1
	s_or_b64 exec, exec, s[12:13]
	v_lshrrev_b16_e32 v44, 8, v42
	v_cmp_ne_u16_e32 vcc, 0, v44
	v_mov_b32_e32 v61, 0
	v_mov_b32_e32 v62, 0
	s_and_saveexec_b64 s[12:13], vcc
	s_cbranch_execz .LBB648_347
; %bb.342:                              ;   in Loop: Header=BB648_215 Depth=1
	v_cmp_ne_u16_e32 vcc, s9, v44
	v_bfrev_b32_e32 v62, 1
	s_and_saveexec_b64 s[14:15], vcc
	s_cbranch_execz .LBB648_346
; %bb.343:                              ;   in Loop: Header=BB648_215 Depth=1
	v_and_b32_e32 v46, 0x7f, v44
	v_cmp_ne_u32_e32 vcc, s19, v46
	v_mov_b32_e32 v62, 0x7f800001
	s_and_saveexec_b64 s[16:17], vcc
	s_cbranch_execz .LBB648_345
; %bb.344:                              ;   in Loop: Header=BB648_215 Depth=1
	v_and_b32_e32 v64, 7, v44
	v_ffbh_u32_e32 v62, v64
	v_min_u32_e32 v66, 32, v62
	v_subrev_u32_e32 v62, 28, v66
	v_lshlrev_b64 v[62:63], v62, v[44:45]
	v_lshrrev_b32_e32 v65, 3, v46
	v_sub_u32_e32 v44, 29, v66
	v_and_b32_e32 v62, 7, v62
	v_cmp_gt_u32_e32 vcc, 8, v46
	v_cndmask_b32_e32 v44, v65, v44, vcc
	v_cndmask_b32_e32 v46, v64, v62, vcc
	v_lshlrev_b32_e32 v62, 16, v42
	v_lshlrev_b32_e32 v46, 20, v46
	v_and_b32_e32 v62, 0x80000000, v62
	v_lshl_add_u32 v44, v44, 23, v55
	v_or3_b32 v62, v62, v44, v46
.LBB648_345:                            ;   in Loop: Header=BB648_215 Depth=1
	s_or_b64 exec, exec, s[16:17]
.LBB648_346:                            ;   in Loop: Header=BB648_215 Depth=1
	s_or_b64 exec, exec, s[14:15]
.LBB648_347:                            ;   in Loop: Header=BB648_215 Depth=1
	s_or_b64 exec, exec, s[12:13]
	v_lshrrev_b32_e32 v44, 16, v42
	v_cmp_ne_u16_sdwa s[14:15], v44, v54 src0_sel:BYTE_0 src1_sel:DWORD
	s_and_saveexec_b64 s[12:13], s[14:15]
	s_cbranch_execz .LBB648_353
; %bb.348:                              ;   in Loop: Header=BB648_215 Depth=1
	v_cmp_ne_u16_sdwa s[16:17], v44, s9 src0_sel:BYTE_0 src1_sel:DWORD
	v_bfrev_b32_e32 v61, 1
	s_and_saveexec_b64 s[14:15], s[16:17]
	s_cbranch_execz .LBB648_352
; %bb.349:                              ;   in Loop: Header=BB648_215 Depth=1
	v_bfe_u32 v46, v42, 16, 7
	v_cmp_ne_u32_e32 vcc, s19, v46
	v_mov_b32_e32 v61, 0x7f800001
	s_and_saveexec_b64 s[16:17], vcc
	s_cbranch_execz .LBB648_351
; %bb.350:                              ;   in Loop: Header=BB648_215 Depth=1
	v_and_b32_e32 v61, 7, v44
	v_ffbh_u32_e32 v64, v61
	v_min_u32_e32 v66, 32, v64
	v_subrev_u32_e32 v64, 28, v66
	v_lshlrev_b64 v[64:65], v64, v[44:45]
	v_lshrrev_b32_e32 v63, 3, v46
	v_sub_u32_e32 v65, 29, v66
	v_and_b32_e32 v64, 7, v64
	v_cmp_gt_u32_e32 vcc, 8, v46
	v_cndmask_b32_e32 v46, v63, v65, vcc
	v_cndmask_b32_e32 v61, v61, v64, vcc
	v_lshlrev_b32_e32 v44, 24, v44
	v_lshlrev_b32_e32 v61, 20, v61
	v_and_b32_e32 v44, 0x80000000, v44
	v_lshl_add_u32 v46, v46, 23, v55
	v_or3_b32 v61, v44, v46, v61
.LBB648_351:                            ;   in Loop: Header=BB648_215 Depth=1
	s_or_b64 exec, exec, s[16:17]
.LBB648_352:                            ;   in Loop: Header=BB648_215 Depth=1
	s_or_b64 exec, exec, s[14:15]
.LBB648_353:                            ;   in Loop: Header=BB648_215 Depth=1
	s_or_b64 exec, exec, s[12:13]
	v_cmp_lt_u32_e32 vcc, s20, v42
	v_mov_b32_e32 v46, 0
	v_mov_b32_e32 v63, 0
	s_and_saveexec_b64 s[12:13], vcc
	s_cbranch_execz .LBB648_359
; %bb.354:                              ;   in Loop: Header=BB648_215 Depth=1
	v_lshrrev_b32_e32 v44, 24, v42
	v_cmp_ne_u32_e32 vcc, s9, v44
	v_bfrev_b32_e32 v63, 1
	s_and_saveexec_b64 s[14:15], vcc
	s_cbranch_execz .LBB648_358
; %bb.355:                              ;   in Loop: Header=BB648_215 Depth=1
	v_bfe_u32 v42, v42, 24, 7
	v_cmp_ne_u32_e32 vcc, s19, v42
	v_mov_b32_e32 v63, 0x7f800001
	s_and_saveexec_b64 s[16:17], vcc
	s_cbranch_execz .LBB648_357
; %bb.356:                              ;   in Loop: Header=BB648_215 Depth=1
	v_and_b32_e32 v63, 7, v44
	v_ffbh_u32_e32 v64, v63
	v_min_u32_e32 v67, 32, v64
	v_subrev_u32_e32 v64, 28, v67
	v_lshlrev_b64 v[64:65], v64, v[44:45]
	v_lshrrev_b32_e32 v66, 3, v42
	v_sub_u32_e32 v65, 29, v67
	v_and_b32_e32 v64, 7, v64
	v_cmp_gt_u32_e32 vcc, 8, v42
	v_cndmask_b32_e32 v42, v66, v65, vcc
	v_cndmask_b32_e32 v63, v63, v64, vcc
	v_lshlrev_b32_e32 v44, 24, v44
	v_lshlrev_b32_e32 v63, 20, v63
	v_and_b32_e32 v44, 0x80000000, v44
	v_lshl_add_u32 v42, v42, 23, v55
	v_or3_b32 v63, v44, v42, v63
.LBB648_357:                            ;   in Loop: Header=BB648_215 Depth=1
	s_or_b64 exec, exec, s[16:17]
.LBB648_358:                            ;   in Loop: Header=BB648_215 Depth=1
	s_or_b64 exec, exec, s[14:15]
.LBB648_359:                            ;   in Loop: Header=BB648_215 Depth=1
	s_or_b64 exec, exec, s[12:13]
	v_cvt_pkrtz_f16_f32 v56, v56, v58
	v_cvt_pkrtz_f16_f32 v57, v57, v60
	s_waitcnt vmcnt(1)
	v_cmp_ne_u16_sdwa s[14:15], v40, v54 src0_sel:BYTE_0 src1_sel:DWORD
	v_mfma_f32_16x16x16f16 v[34:37], v[56:57], v[10:11], v[34:37]
	v_cvt_pkrtz_f16_f32 v56, v59, v62
	v_cvt_pkrtz_f16_f32 v57, v61, v63
	s_nop 1
	v_mfma_f32_16x16x16f16 v[34:37], v[56:57], v[12:13], v[34:37]
	s_and_saveexec_b64 s[12:13], s[14:15]
	s_cbranch_execz .LBB648_365
; %bb.360:                              ;   in Loop: Header=BB648_215 Depth=1
	v_cmp_ne_u16_sdwa s[16:17], v40, s9 src0_sel:BYTE_0 src1_sel:DWORD
	v_bfrev_b32_e32 v46, 1
	s_and_saveexec_b64 s[14:15], s[16:17]
	s_cbranch_execz .LBB648_364
; %bb.361:                              ;   in Loop: Header=BB648_215 Depth=1
	v_and_b32_e32 v42, 0x7f, v40
	v_cmp_ne_u32_e32 vcc, s19, v42
	v_mov_b32_e32 v46, 0x7f800001
	s_and_saveexec_b64 s[16:17], vcc
	s_cbranch_execz .LBB648_363
; %bb.362:                              ;   in Loop: Header=BB648_215 Depth=1
	v_and_b32_e32 v44, 7, v40
	v_ffbh_u32_e32 v56, v44
	v_min_u32_e32 v58, 32, v56
	v_subrev_u32_e32 v56, 28, v58
	v_lshlrev_b64 v[56:57], v56, v[40:41]
	v_lshrrev_b32_e32 v46, 3, v42
	v_sub_u32_e32 v57, 29, v58
	v_and_b32_e32 v56, 7, v56
	v_cmp_gt_u32_e32 vcc, 8, v42
	v_cndmask_b32_e32 v42, v46, v57, vcc
	v_cndmask_b32_e32 v44, v44, v56, vcc
	v_lshlrev_b32_e32 v46, 24, v40
	v_lshlrev_b32_e32 v44, 20, v44
	v_and_b32_e32 v46, 0x80000000, v46
	v_lshl_add_u32 v42, v42, 23, v55
	v_or3_b32 v46, v46, v42, v44
.LBB648_363:                            ;   in Loop: Header=BB648_215 Depth=1
	s_or_b64 exec, exec, s[16:17]
.LBB648_364:                            ;   in Loop: Header=BB648_215 Depth=1
	s_or_b64 exec, exec, s[14:15]
.LBB648_365:                            ;   in Loop: Header=BB648_215 Depth=1
	s_or_b64 exec, exec, s[12:13]
	v_lshrrev_b16_e32 v42, 8, v40
	v_cmp_ne_u16_e32 vcc, 0, v42
	v_mov_b32_e32 v44, 0
	v_mov_b32_e32 v57, 0
	s_and_saveexec_b64 s[12:13], vcc
	s_cbranch_execz .LBB648_371
; %bb.366:                              ;   in Loop: Header=BB648_215 Depth=1
	v_cmp_ne_u16_e32 vcc, s9, v42
	v_bfrev_b32_e32 v57, 1
	s_and_saveexec_b64 s[14:15], vcc
	s_cbranch_execz .LBB648_370
; %bb.367:                              ;   in Loop: Header=BB648_215 Depth=1
	v_and_b32_e32 v56, 0x7f, v42
	v_cmp_ne_u32_e32 vcc, s19, v56
	v_mov_b32_e32 v57, 0x7f800001
	s_and_saveexec_b64 s[16:17], vcc
	s_cbranch_execz .LBB648_369
; %bb.368:                              ;   in Loop: Header=BB648_215 Depth=1
	v_and_b32_e32 v57, 7, v42
	v_ffbh_u32_e32 v58, v57
	v_min_u32_e32 v61, 32, v58
	v_subrev_u32_e32 v58, 28, v61
	v_lshlrev_b64 v[58:59], v58, v[42:43]
	v_lshrrev_b32_e32 v60, 3, v56
	v_sub_u32_e32 v42, 29, v61
	v_and_b32_e32 v58, 7, v58
	v_cmp_gt_u32_e32 vcc, 8, v56
	v_cndmask_b32_e32 v42, v60, v42, vcc
	v_cndmask_b32_e32 v56, v57, v58, vcc
	v_lshlrev_b32_e32 v57, 16, v40
	v_lshlrev_b32_e32 v56, 20, v56
	v_and_b32_e32 v57, 0x80000000, v57
	v_lshl_add_u32 v42, v42, 23, v55
	v_or3_b32 v57, v57, v42, v56
.LBB648_369:                            ;   in Loop: Header=BB648_215 Depth=1
	s_or_b64 exec, exec, s[16:17]
.LBB648_370:                            ;   in Loop: Header=BB648_215 Depth=1
	s_or_b64 exec, exec, s[14:15]
.LBB648_371:                            ;   in Loop: Header=BB648_215 Depth=1
	s_or_b64 exec, exec, s[12:13]
	v_lshrrev_b32_e32 v42, 16, v40
	v_cmp_ne_u16_sdwa s[14:15], v42, v54 src0_sel:BYTE_0 src1_sel:DWORD
	s_and_saveexec_b64 s[12:13], s[14:15]
	s_cbranch_execz .LBB648_377
; %bb.372:                              ;   in Loop: Header=BB648_215 Depth=1
	v_cmp_ne_u16_sdwa s[16:17], v42, s9 src0_sel:BYTE_0 src1_sel:DWORD
	v_bfrev_b32_e32 v44, 1
	s_and_saveexec_b64 s[14:15], s[16:17]
	s_cbranch_execz .LBB648_376
; %bb.373:                              ;   in Loop: Header=BB648_215 Depth=1
	v_bfe_u32 v56, v40, 16, 7
	v_cmp_ne_u32_e32 vcc, s19, v56
	v_mov_b32_e32 v44, 0x7f800001
	s_and_saveexec_b64 s[16:17], vcc
	s_cbranch_execz .LBB648_375
; %bb.374:                              ;   in Loop: Header=BB648_215 Depth=1
	v_and_b32_e32 v44, 7, v42
	v_ffbh_u32_e32 v58, v44
	v_min_u32_e32 v61, 32, v58
	v_subrev_u32_e32 v58, 28, v61
	v_lshlrev_b64 v[58:59], v58, v[42:43]
	v_lshrrev_b32_e32 v60, 3, v56
	v_sub_u32_e32 v59, 29, v61
	v_and_b32_e32 v58, 7, v58
	v_cmp_gt_u32_e32 vcc, 8, v56
	v_cndmask_b32_e32 v56, v60, v59, vcc
	v_cndmask_b32_e32 v44, v44, v58, vcc
	v_lshlrev_b32_e32 v42, 24, v42
	v_lshlrev_b32_e32 v44, 20, v44
	v_and_b32_e32 v42, 0x80000000, v42
	v_lshl_add_u32 v56, v56, 23, v55
	v_or3_b32 v44, v42, v56, v44
.LBB648_375:                            ;   in Loop: Header=BB648_215 Depth=1
	s_or_b64 exec, exec, s[16:17]
.LBB648_376:                            ;   in Loop: Header=BB648_215 Depth=1
	s_or_b64 exec, exec, s[14:15]
.LBB648_377:                            ;   in Loop: Header=BB648_215 Depth=1
	s_or_b64 exec, exec, s[12:13]
	v_cmp_lt_u32_e32 vcc, s20, v40
	v_mov_b32_e32 v58, 0
	v_mov_b32_e32 v59, 0
	s_and_saveexec_b64 s[12:13], vcc
	s_cbranch_execz .LBB648_383
; %bb.378:                              ;   in Loop: Header=BB648_215 Depth=1
	v_lshrrev_b32_e32 v42, 24, v40
	v_cmp_ne_u32_e32 vcc, s9, v42
	v_bfrev_b32_e32 v59, 1
	s_and_saveexec_b64 s[14:15], vcc
	s_cbranch_execz .LBB648_382
; %bb.379:                              ;   in Loop: Header=BB648_215 Depth=1
	v_bfe_u32 v40, v40, 24, 7
	v_cmp_ne_u32_e32 vcc, s19, v40
	v_mov_b32_e32 v59, 0x7f800001
	s_and_saveexec_b64 s[16:17], vcc
	s_cbranch_execz .LBB648_381
; %bb.380:                              ;   in Loop: Header=BB648_215 Depth=1
	v_and_b32_e32 v56, 7, v42
	v_ffbh_u32_e32 v60, v56
	v_min_u32_e32 v62, 32, v60
	v_subrev_u32_e32 v60, 28, v62
	v_lshlrev_b64 v[60:61], v60, v[42:43]
	v_lshrrev_b32_e32 v59, 3, v40
	v_sub_u32_e32 v61, 29, v62
	v_and_b32_e32 v60, 7, v60
	v_cmp_gt_u32_e32 vcc, 8, v40
	v_cndmask_b32_e32 v40, v59, v61, vcc
	v_cndmask_b32_e32 v56, v56, v60, vcc
	v_lshlrev_b32_e32 v42, 24, v42
	v_lshlrev_b32_e32 v56, 20, v56
	v_and_b32_e32 v42, 0x80000000, v42
	v_lshl_add_u32 v40, v40, 23, v55
	v_or3_b32 v59, v42, v40, v56
.LBB648_381:                            ;   in Loop: Header=BB648_215 Depth=1
	s_or_b64 exec, exec, s[16:17]
.LBB648_382:                            ;   in Loop: Header=BB648_215 Depth=1
	s_or_b64 exec, exec, s[14:15]
.LBB648_383:                            ;   in Loop: Header=BB648_215 Depth=1
	s_or_b64 exec, exec, s[12:13]
	s_waitcnt vmcnt(0)
	v_cmp_ne_u16_sdwa s[14:15], v38, v54 src0_sel:BYTE_0 src1_sel:DWORD
	s_and_saveexec_b64 s[12:13], s[14:15]
	s_cbranch_execz .LBB648_389
; %bb.384:                              ;   in Loop: Header=BB648_215 Depth=1
	v_cmp_ne_u16_sdwa s[16:17], v38, s9 src0_sel:BYTE_0 src1_sel:DWORD
	v_bfrev_b32_e32 v58, 1
	s_and_saveexec_b64 s[14:15], s[16:17]
	s_cbranch_execz .LBB648_388
; %bb.385:                              ;   in Loop: Header=BB648_215 Depth=1
	v_and_b32_e32 v40, 0x7f, v38
	v_cmp_ne_u32_e32 vcc, s19, v40
	v_mov_b32_e32 v58, 0x7f800001
	s_and_saveexec_b64 s[16:17], vcc
	s_cbranch_execz .LBB648_387
; %bb.386:                              ;   in Loop: Header=BB648_215 Depth=1
	v_and_b32_e32 v42, 7, v38
	v_ffbh_u32_e32 v58, v42
	v_min_u32_e32 v58, 32, v58
	v_subrev_u32_e32 v60, 28, v58
	v_lshlrev_b64 v[60:61], v60, v[38:39]
	v_lshrrev_b32_e32 v56, 3, v40
	v_sub_u32_e32 v58, 29, v58
	v_and_b32_e32 v60, 7, v60
	v_cmp_gt_u32_e32 vcc, 8, v40
	v_cndmask_b32_e32 v40, v56, v58, vcc
	v_cndmask_b32_e32 v42, v42, v60, vcc
	v_lshlrev_b32_e32 v56, 24, v38
	v_lshlrev_b32_e32 v42, 20, v42
	v_and_b32_e32 v56, 0x80000000, v56
	v_lshl_add_u32 v40, v40, 23, v55
	v_or3_b32 v58, v56, v40, v42
.LBB648_387:                            ;   in Loop: Header=BB648_215 Depth=1
	s_or_b64 exec, exec, s[16:17]
.LBB648_388:                            ;   in Loop: Header=BB648_215 Depth=1
	s_or_b64 exec, exec, s[14:15]
.LBB648_389:                            ;   in Loop: Header=BB648_215 Depth=1
	s_or_b64 exec, exec, s[12:13]
	v_lshrrev_b16_e32 v40, 8, v38
	v_cmp_ne_u16_e32 vcc, 0, v40
	v_mov_b32_e32 v60, 0
	v_mov_b32_e32 v61, 0
	s_and_saveexec_b64 s[12:13], vcc
	s_cbranch_execz .LBB648_395
; %bb.390:                              ;   in Loop: Header=BB648_215 Depth=1
	v_cmp_ne_u16_e32 vcc, s9, v40
	v_bfrev_b32_e32 v61, 1
	s_and_saveexec_b64 s[14:15], vcc
	s_cbranch_execz .LBB648_394
; %bb.391:                              ;   in Loop: Header=BB648_215 Depth=1
	v_and_b32_e32 v42, 0x7f, v40
	v_cmp_ne_u32_e32 vcc, s19, v42
	v_mov_b32_e32 v61, 0x7f800001
	s_and_saveexec_b64 s[16:17], vcc
	s_cbranch_execz .LBB648_393
; %bb.392:                              ;   in Loop: Header=BB648_215 Depth=1
	v_and_b32_e32 v56, 7, v40
	v_ffbh_u32_e32 v62, v56
	v_min_u32_e32 v64, 32, v62
	v_subrev_u32_e32 v62, 28, v64
	v_lshlrev_b64 v[62:63], v62, v[40:41]
	v_lshrrev_b32_e32 v61, 3, v42
	v_sub_u32_e32 v40, 29, v64
	v_and_b32_e32 v62, 7, v62
	v_cmp_gt_u32_e32 vcc, 8, v42
	v_cndmask_b32_e32 v40, v61, v40, vcc
	v_cndmask_b32_e32 v42, v56, v62, vcc
	v_lshlrev_b32_e32 v56, 16, v38
	v_lshlrev_b32_e32 v42, 20, v42
	v_and_b32_e32 v56, 0x80000000, v56
	v_lshl_add_u32 v40, v40, 23, v55
	v_or3_b32 v61, v56, v40, v42
.LBB648_393:                            ;   in Loop: Header=BB648_215 Depth=1
	s_or_b64 exec, exec, s[16:17]
.LBB648_394:                            ;   in Loop: Header=BB648_215 Depth=1
	s_or_b64 exec, exec, s[14:15]
.LBB648_395:                            ;   in Loop: Header=BB648_215 Depth=1
	s_or_b64 exec, exec, s[12:13]
	v_lshrrev_b32_e32 v40, 16, v38
	v_cmp_ne_u16_sdwa s[14:15], v40, v54 src0_sel:BYTE_0 src1_sel:DWORD
	s_and_saveexec_b64 s[12:13], s[14:15]
	s_cbranch_execz .LBB648_401
; %bb.396:                              ;   in Loop: Header=BB648_215 Depth=1
	v_cmp_ne_u16_sdwa s[16:17], v40, s9 src0_sel:BYTE_0 src1_sel:DWORD
	v_bfrev_b32_e32 v60, 1
	s_and_saveexec_b64 s[14:15], s[16:17]
	s_cbranch_execz .LBB648_400
; %bb.397:                              ;   in Loop: Header=BB648_215 Depth=1
	v_bfe_u32 v42, v38, 16, 7
	v_cmp_ne_u32_e32 vcc, s19, v42
	v_mov_b32_e32 v60, 0x7f800001
	s_and_saveexec_b64 s[16:17], vcc
	s_cbranch_execz .LBB648_399
; %bb.398:                              ;   in Loop: Header=BB648_215 Depth=1
	v_and_b32_e32 v56, 7, v40
	v_ffbh_u32_e32 v62, v56
	v_min_u32_e32 v64, 32, v62
	v_subrev_u32_e32 v62, 28, v64
	v_lshlrev_b64 v[62:63], v62, v[40:41]
	v_lshrrev_b32_e32 v60, 3, v42
	v_sub_u32_e32 v63, 29, v64
	v_and_b32_e32 v62, 7, v62
	v_cmp_gt_u32_e32 vcc, 8, v42
	v_cndmask_b32_e32 v42, v60, v63, vcc
	v_cndmask_b32_e32 v56, v56, v62, vcc
	v_lshlrev_b32_e32 v40, 24, v40
	v_lshlrev_b32_e32 v56, 20, v56
	v_and_b32_e32 v40, 0x80000000, v40
	v_lshl_add_u32 v42, v42, 23, v55
	v_or3_b32 v60, v40, v42, v56
.LBB648_399:                            ;   in Loop: Header=BB648_215 Depth=1
	s_or_b64 exec, exec, s[16:17]
.LBB648_400:                            ;   in Loop: Header=BB648_215 Depth=1
	s_or_b64 exec, exec, s[14:15]
.LBB648_401:                            ;   in Loop: Header=BB648_215 Depth=1
	s_or_b64 exec, exec, s[12:13]
	v_cmp_lt_u32_e32 vcc, s20, v38
	v_mov_b32_e32 v56, 0
	v_mov_b32_e32 v62, 0
	s_and_saveexec_b64 s[12:13], vcc
	s_cbranch_execz .LBB648_407
; %bb.402:                              ;   in Loop: Header=BB648_215 Depth=1
	v_lshrrev_b32_e32 v40, 24, v38
	v_cmp_ne_u32_e32 vcc, s9, v40
	v_bfrev_b32_e32 v62, 1
	s_and_saveexec_b64 s[14:15], vcc
	s_cbranch_execz .LBB648_406
; %bb.403:                              ;   in Loop: Header=BB648_215 Depth=1
	v_bfe_u32 v38, v38, 24, 7
	v_cmp_ne_u32_e32 vcc, s19, v38
	v_mov_b32_e32 v62, 0x7f800001
	s_and_saveexec_b64 s[16:17], vcc
	s_cbranch_execz .LBB648_405
; %bb.404:                              ;   in Loop: Header=BB648_215 Depth=1
	v_and_b32_e32 v42, 7, v40
	v_ffbh_u32_e32 v62, v42
	v_min_u32_e32 v65, 32, v62
	v_subrev_u32_e32 v62, 28, v65
	v_lshlrev_b64 v[62:63], v62, v[40:41]
	v_lshrrev_b32_e32 v64, 3, v38
	v_sub_u32_e32 v63, 29, v65
	v_and_b32_e32 v62, 7, v62
	v_cmp_gt_u32_e32 vcc, 8, v38
	v_cndmask_b32_e32 v38, v64, v63, vcc
	v_cndmask_b32_e32 v42, v42, v62, vcc
	v_lshlrev_b32_e32 v40, 24, v40
	v_lshlrev_b32_e32 v42, 20, v42
	v_and_b32_e32 v40, 0x80000000, v40
	v_lshl_add_u32 v38, v38, 23, v55
	v_or3_b32 v62, v40, v38, v42
.LBB648_405:                            ;   in Loop: Header=BB648_215 Depth=1
	s_or_b64 exec, exec, s[16:17]
.LBB648_406:                            ;   in Loop: Header=BB648_215 Depth=1
	s_or_b64 exec, exec, s[14:15]
.LBB648_407:                            ;   in Loop: Header=BB648_215 Depth=1
	s_or_b64 exec, exec, s[12:13]
	v_cvt_pkrtz_f16_f32 v65, v44, v59
	buffer_load_dword v44, v51, s[0:3], 0 offen
	buffer_load_dword v42, v51, s[0:3], 0 offen offset:4
	buffer_load_dword v40, v51, s[0:3], 0 offen offset:8
	;; [unrolled: 1-line block ×3, first 2 shown]
	v_cvt_pkrtz_f16_f32 v64, v46, v57
	v_cvt_pkrtz_f16_f32 v58, v58, v61
	;; [unrolled: 1-line block ×3, first 2 shown]
	v_mfma_f32_16x16x16f16 v[34:37], v[64:65], v[14:15], v[34:37]
	s_waitcnt vmcnt(3)
	v_cmp_ne_u16_sdwa s[14:15], v44, v54 src0_sel:BYTE_0 src1_sel:DWORD
	v_mfma_f32_16x16x16f16 v[34:37], v[58:59], v[16:17], v[34:37]
	s_and_saveexec_b64 s[12:13], s[14:15]
	s_cbranch_execz .LBB648_413
; %bb.408:                              ;   in Loop: Header=BB648_215 Depth=1
	v_cmp_ne_u16_sdwa s[16:17], v44, s9 src0_sel:BYTE_0 src1_sel:DWORD
	v_bfrev_b32_e32 v56, 1
	s_and_saveexec_b64 s[14:15], s[16:17]
	s_cbranch_execz .LBB648_412
; %bb.409:                              ;   in Loop: Header=BB648_215 Depth=1
	v_and_b32_e32 v46, 0x7f, v44
	v_cmp_ne_u32_e32 vcc, s19, v46
	v_mov_b32_e32 v56, 0x7f800001
	s_and_saveexec_b64 s[16:17], vcc
	s_cbranch_execz .LBB648_411
; %bb.410:                              ;   in Loop: Header=BB648_215 Depth=1
	v_and_b32_e32 v51, 7, v44
	v_ffbh_u32_e32 v56, v51
	v_min_u32_e32 v59, 32, v56
	v_subrev_u32_e32 v56, 28, v59
	v_lshlrev_b64 v[56:57], v56, v[44:45]
	v_lshrrev_b32_e32 v58, 3, v46
	v_sub_u32_e32 v57, 29, v59
	v_and_b32_e32 v56, 7, v56
	v_cmp_gt_u32_e32 vcc, 8, v46
	v_cndmask_b32_e32 v46, v58, v57, vcc
	v_cndmask_b32_e32 v51, v51, v56, vcc
	v_lshlrev_b32_e32 v56, 24, v44
	v_lshlrev_b32_e32 v51, 20, v51
	v_and_b32_e32 v56, 0x80000000, v56
	v_lshl_add_u32 v46, v46, 23, v55
	v_or3_b32 v56, v56, v46, v51
.LBB648_411:                            ;   in Loop: Header=BB648_215 Depth=1
	s_or_b64 exec, exec, s[16:17]
.LBB648_412:                            ;   in Loop: Header=BB648_215 Depth=1
	s_or_b64 exec, exec, s[14:15]
.LBB648_413:                            ;   in Loop: Header=BB648_215 Depth=1
	s_or_b64 exec, exec, s[12:13]
	v_lshrrev_b16_e32 v46, 8, v44
	v_cmp_ne_u16_e32 vcc, 0, v46
	v_mov_b32_e32 v51, 0
	v_mov_b32_e32 v57, 0
	s_and_saveexec_b64 s[12:13], vcc
	s_cbranch_execz .LBB648_419
; %bb.414:                              ;   in Loop: Header=BB648_215 Depth=1
	v_cmp_ne_u16_e32 vcc, s9, v46
	v_bfrev_b32_e32 v57, 1
	s_and_saveexec_b64 s[14:15], vcc
	s_cbranch_execz .LBB648_418
; %bb.415:                              ;   in Loop: Header=BB648_215 Depth=1
	v_and_b32_e32 v58, 0x7f, v46
	v_cmp_ne_u32_e32 vcc, s19, v58
	v_mov_b32_e32 v57, 0x7f800001
	s_and_saveexec_b64 s[16:17], vcc
	s_cbranch_execz .LBB648_417
; %bb.416:                              ;   in Loop: Header=BB648_215 Depth=1
	v_and_b32_e32 v57, 7, v46
	v_ffbh_u32_e32 v60, v57
	v_min_u32_e32 v62, 32, v60
	v_subrev_u32_e32 v60, 28, v62
	v_lshlrev_b64 v[60:61], v60, v[46:47]
	v_lshrrev_b32_e32 v59, 3, v58
	v_sub_u32_e32 v46, 29, v62
	v_and_b32_e32 v60, 7, v60
	v_cmp_gt_u32_e32 vcc, 8, v58
	v_cndmask_b32_e32 v46, v59, v46, vcc
	v_cndmask_b32_e32 v57, v57, v60, vcc
	v_lshlrev_b32_e32 v58, 16, v44
	v_lshlrev_b32_e32 v57, 20, v57
	v_and_b32_e32 v58, 0x80000000, v58
	v_lshl_add_u32 v46, v46, 23, v55
	v_or3_b32 v57, v58, v46, v57
.LBB648_417:                            ;   in Loop: Header=BB648_215 Depth=1
	s_or_b64 exec, exec, s[16:17]
.LBB648_418:                            ;   in Loop: Header=BB648_215 Depth=1
	s_or_b64 exec, exec, s[14:15]
.LBB648_419:                            ;   in Loop: Header=BB648_215 Depth=1
	s_or_b64 exec, exec, s[12:13]
	v_lshrrev_b32_e32 v46, 16, v44
	v_cmp_ne_u16_sdwa s[14:15], v46, v54 src0_sel:BYTE_0 src1_sel:DWORD
	s_and_saveexec_b64 s[12:13], s[14:15]
	s_cbranch_execz .LBB648_425
; %bb.420:                              ;   in Loop: Header=BB648_215 Depth=1
	v_cmp_ne_u16_sdwa s[16:17], v46, s9 src0_sel:BYTE_0 src1_sel:DWORD
	v_bfrev_b32_e32 v51, 1
	s_and_saveexec_b64 s[14:15], s[16:17]
	s_cbranch_execz .LBB648_424
; %bb.421:                              ;   in Loop: Header=BB648_215 Depth=1
	v_bfe_u32 v58, v44, 16, 7
	v_cmp_ne_u32_e32 vcc, s19, v58
	v_mov_b32_e32 v51, 0x7f800001
	s_and_saveexec_b64 s[16:17], vcc
	s_cbranch_execz .LBB648_423
; %bb.422:                              ;   in Loop: Header=BB648_215 Depth=1
	v_and_b32_e32 v51, 7, v46
	v_ffbh_u32_e32 v60, v51
	v_min_u32_e32 v62, 32, v60
	v_subrev_u32_e32 v60, 28, v62
	v_lshlrev_b64 v[60:61], v60, v[46:47]
	v_lshrrev_b32_e32 v59, 3, v58
	v_sub_u32_e32 v61, 29, v62
	v_and_b32_e32 v60, 7, v60
	v_cmp_gt_u32_e32 vcc, 8, v58
	v_cndmask_b32_e32 v58, v59, v61, vcc
	v_cndmask_b32_e32 v51, v51, v60, vcc
	v_lshlrev_b32_e32 v46, 24, v46
	v_lshlrev_b32_e32 v51, 20, v51
	v_and_b32_e32 v46, 0x80000000, v46
	v_lshl_add_u32 v58, v58, 23, v55
	v_or3_b32 v51, v46, v58, v51
.LBB648_423:                            ;   in Loop: Header=BB648_215 Depth=1
	s_or_b64 exec, exec, s[16:17]
.LBB648_424:                            ;   in Loop: Header=BB648_215 Depth=1
	s_or_b64 exec, exec, s[14:15]
.LBB648_425:                            ;   in Loop: Header=BB648_215 Depth=1
	s_or_b64 exec, exec, s[12:13]
	v_cmp_lt_u32_e32 vcc, s20, v44
	v_mov_b32_e32 v58, 0
	v_mov_b32_e32 v59, 0
	s_and_saveexec_b64 s[12:13], vcc
	s_cbranch_execz .LBB648_431
; %bb.426:                              ;   in Loop: Header=BB648_215 Depth=1
	v_lshrrev_b32_e32 v46, 24, v44
	v_cmp_ne_u32_e32 vcc, s9, v46
	v_bfrev_b32_e32 v59, 1
	s_and_saveexec_b64 s[14:15], vcc
	s_cbranch_execz .LBB648_430
; %bb.427:                              ;   in Loop: Header=BB648_215 Depth=1
	v_bfe_u32 v44, v44, 24, 7
	v_cmp_ne_u32_e32 vcc, s19, v44
	v_mov_b32_e32 v59, 0x7f800001
	s_and_saveexec_b64 s[16:17], vcc
	s_cbranch_execz .LBB648_429
; %bb.428:                              ;   in Loop: Header=BB648_215 Depth=1
	v_and_b32_e32 v59, 7, v46
	v_ffbh_u32_e32 v60, v59
	v_min_u32_e32 v63, 32, v60
	v_subrev_u32_e32 v60, 28, v63
	v_lshlrev_b64 v[60:61], v60, v[46:47]
	v_lshrrev_b32_e32 v62, 3, v44
	v_sub_u32_e32 v61, 29, v63
	v_and_b32_e32 v60, 7, v60
	v_cmp_gt_u32_e32 vcc, 8, v44
	v_cndmask_b32_e32 v44, v62, v61, vcc
	v_cndmask_b32_e32 v59, v59, v60, vcc
	v_lshlrev_b32_e32 v46, 24, v46
	v_lshlrev_b32_e32 v59, 20, v59
	v_and_b32_e32 v46, 0x80000000, v46
	v_lshl_add_u32 v44, v44, 23, v55
	v_or3_b32 v59, v46, v44, v59
.LBB648_429:                            ;   in Loop: Header=BB648_215 Depth=1
	s_or_b64 exec, exec, s[16:17]
.LBB648_430:                            ;   in Loop: Header=BB648_215 Depth=1
	s_or_b64 exec, exec, s[14:15]
.LBB648_431:                            ;   in Loop: Header=BB648_215 Depth=1
	s_or_b64 exec, exec, s[12:13]
	s_waitcnt vmcnt(2)
	v_cmp_ne_u16_sdwa s[14:15], v42, v54 src0_sel:BYTE_0 src1_sel:DWORD
	s_and_saveexec_b64 s[12:13], s[14:15]
	s_cbranch_execz .LBB648_437
; %bb.432:                              ;   in Loop: Header=BB648_215 Depth=1
	v_cmp_ne_u16_sdwa s[16:17], v42, s9 src0_sel:BYTE_0 src1_sel:DWORD
	v_bfrev_b32_e32 v58, 1
	s_and_saveexec_b64 s[14:15], s[16:17]
	s_cbranch_execz .LBB648_436
; %bb.433:                              ;   in Loop: Header=BB648_215 Depth=1
	v_and_b32_e32 v44, 0x7f, v42
	v_cmp_ne_u32_e32 vcc, s19, v44
	v_mov_b32_e32 v58, 0x7f800001
	s_and_saveexec_b64 s[16:17], vcc
	s_cbranch_execz .LBB648_435
; %bb.434:                              ;   in Loop: Header=BB648_215 Depth=1
	v_and_b32_e32 v46, 7, v42
	v_ffbh_u32_e32 v60, v46
	v_min_u32_e32 v62, 32, v60
	v_subrev_u32_e32 v60, 28, v62
	v_lshlrev_b64 v[60:61], v60, v[42:43]
	v_lshrrev_b32_e32 v58, 3, v44
	v_sub_u32_e32 v61, 29, v62
	v_and_b32_e32 v60, 7, v60
	v_cmp_gt_u32_e32 vcc, 8, v44
	v_cndmask_b32_e32 v44, v58, v61, vcc
	v_cndmask_b32_e32 v46, v46, v60, vcc
	v_lshlrev_b32_e32 v58, 24, v42
	v_lshlrev_b32_e32 v46, 20, v46
	v_and_b32_e32 v58, 0x80000000, v58
	v_lshl_add_u32 v44, v44, 23, v55
	v_or3_b32 v58, v58, v44, v46
.LBB648_435:                            ;   in Loop: Header=BB648_215 Depth=1
	s_or_b64 exec, exec, s[16:17]
.LBB648_436:                            ;   in Loop: Header=BB648_215 Depth=1
	s_or_b64 exec, exec, s[14:15]
.LBB648_437:                            ;   in Loop: Header=BB648_215 Depth=1
	s_or_b64 exec, exec, s[12:13]
	v_lshrrev_b16_e32 v44, 8, v42
	v_cmp_ne_u16_e32 vcc, 0, v44
	v_mov_b32_e32 v60, 0
	v_mov_b32_e32 v61, 0
	s_and_saveexec_b64 s[12:13], vcc
	s_cbranch_execz .LBB648_443
; %bb.438:                              ;   in Loop: Header=BB648_215 Depth=1
	v_cmp_ne_u16_e32 vcc, s9, v44
	v_bfrev_b32_e32 v61, 1
	s_and_saveexec_b64 s[14:15], vcc
	s_cbranch_execz .LBB648_442
; %bb.439:                              ;   in Loop: Header=BB648_215 Depth=1
	v_and_b32_e32 v46, 0x7f, v44
	v_cmp_ne_u32_e32 vcc, s19, v46
	v_mov_b32_e32 v61, 0x7f800001
	s_and_saveexec_b64 s[16:17], vcc
	s_cbranch_execz .LBB648_441
; %bb.440:                              ;   in Loop: Header=BB648_215 Depth=1
	v_and_b32_e32 v61, 7, v44
	v_ffbh_u32_e32 v62, v61
	v_min_u32_e32 v65, 32, v62
	v_subrev_u32_e32 v62, 28, v65
	v_lshlrev_b64 v[62:63], v62, v[44:45]
	v_lshrrev_b32_e32 v64, 3, v46
	v_sub_u32_e32 v44, 29, v65
	v_and_b32_e32 v62, 7, v62
	v_cmp_gt_u32_e32 vcc, 8, v46
	v_cndmask_b32_e32 v44, v64, v44, vcc
	v_cndmask_b32_e32 v46, v61, v62, vcc
	v_lshlrev_b32_e32 v61, 16, v42
	v_lshlrev_b32_e32 v46, 20, v46
	v_and_b32_e32 v61, 0x80000000, v61
	v_lshl_add_u32 v44, v44, 23, v55
	v_or3_b32 v61, v61, v44, v46
.LBB648_441:                            ;   in Loop: Header=BB648_215 Depth=1
	s_or_b64 exec, exec, s[16:17]
.LBB648_442:                            ;   in Loop: Header=BB648_215 Depth=1
	s_or_b64 exec, exec, s[14:15]
.LBB648_443:                            ;   in Loop: Header=BB648_215 Depth=1
	s_or_b64 exec, exec, s[12:13]
	v_lshrrev_b32_e32 v44, 16, v42
	v_cmp_ne_u16_sdwa s[14:15], v44, v54 src0_sel:BYTE_0 src1_sel:DWORD
	s_and_saveexec_b64 s[12:13], s[14:15]
	s_cbranch_execz .LBB648_449
; %bb.444:                              ;   in Loop: Header=BB648_215 Depth=1
	v_cmp_ne_u16_sdwa s[16:17], v44, s9 src0_sel:BYTE_0 src1_sel:DWORD
	v_bfrev_b32_e32 v60, 1
	s_and_saveexec_b64 s[14:15], s[16:17]
	s_cbranch_execz .LBB648_448
; %bb.445:                              ;   in Loop: Header=BB648_215 Depth=1
	v_bfe_u32 v46, v42, 16, 7
	v_cmp_ne_u32_e32 vcc, s19, v46
	v_mov_b32_e32 v60, 0x7f800001
	s_and_saveexec_b64 s[16:17], vcc
	s_cbranch_execz .LBB648_447
; %bb.446:                              ;   in Loop: Header=BB648_215 Depth=1
	v_and_b32_e32 v60, 7, v44
	v_ffbh_u32_e32 v62, v60
	v_min_u32_e32 v65, 32, v62
	v_subrev_u32_e32 v62, 28, v65
	v_lshlrev_b64 v[62:63], v62, v[44:45]
	v_lshrrev_b32_e32 v64, 3, v46
	v_sub_u32_e32 v63, 29, v65
	v_and_b32_e32 v62, 7, v62
	v_cmp_gt_u32_e32 vcc, 8, v46
	v_cndmask_b32_e32 v46, v64, v63, vcc
	v_cndmask_b32_e32 v60, v60, v62, vcc
	v_lshlrev_b32_e32 v44, 24, v44
	v_lshlrev_b32_e32 v60, 20, v60
	v_and_b32_e32 v44, 0x80000000, v44
	v_lshl_add_u32 v46, v46, 23, v55
	v_or3_b32 v60, v44, v46, v60
.LBB648_447:                            ;   in Loop: Header=BB648_215 Depth=1
	s_or_b64 exec, exec, s[16:17]
.LBB648_448:                            ;   in Loop: Header=BB648_215 Depth=1
	s_or_b64 exec, exec, s[14:15]
.LBB648_449:                            ;   in Loop: Header=BB648_215 Depth=1
	s_or_b64 exec, exec, s[12:13]
	v_cmp_lt_u32_e32 vcc, s20, v42
	v_mov_b32_e32 v46, 0
	v_mov_b32_e32 v62, 0
	s_and_saveexec_b64 s[12:13], vcc
	s_cbranch_execz .LBB648_455
; %bb.450:                              ;   in Loop: Header=BB648_215 Depth=1
	v_lshrrev_b32_e32 v44, 24, v42
	v_cmp_ne_u32_e32 vcc, s9, v44
	v_bfrev_b32_e32 v62, 1
	s_and_saveexec_b64 s[14:15], vcc
	s_cbranch_execz .LBB648_454
; %bb.451:                              ;   in Loop: Header=BB648_215 Depth=1
	v_bfe_u32 v42, v42, 24, 7
	v_cmp_ne_u32_e32 vcc, s19, v42
	v_mov_b32_e32 v62, 0x7f800001
	s_and_saveexec_b64 s[16:17], vcc
	s_cbranch_execz .LBB648_453
; %bb.452:                              ;   in Loop: Header=BB648_215 Depth=1
	v_and_b32_e32 v64, 7, v44
	v_ffbh_u32_e32 v62, v64
	v_min_u32_e32 v66, 32, v62
	v_subrev_u32_e32 v62, 28, v66
	v_lshlrev_b64 v[62:63], v62, v[44:45]
	v_lshrrev_b32_e32 v65, 3, v42
	v_sub_u32_e32 v63, 29, v66
	v_and_b32_e32 v62, 7, v62
	v_cmp_gt_u32_e32 vcc, 8, v42
	v_cndmask_b32_e32 v42, v65, v63, vcc
	v_cndmask_b32_e32 v62, v64, v62, vcc
	v_lshlrev_b32_e32 v44, 24, v44
	v_lshlrev_b32_e32 v62, 20, v62
	v_and_b32_e32 v44, 0x80000000, v44
	v_lshl_add_u32 v42, v42, 23, v55
	v_or3_b32 v62, v44, v42, v62
.LBB648_453:                            ;   in Loop: Header=BB648_215 Depth=1
	s_or_b64 exec, exec, s[16:17]
.LBB648_454:                            ;   in Loop: Header=BB648_215 Depth=1
	s_or_b64 exec, exec, s[14:15]
.LBB648_455:                            ;   in Loop: Header=BB648_215 Depth=1
	s_or_b64 exec, exec, s[12:13]
	v_cvt_pkrtz_f16_f32 v56, v56, v57
	v_cvt_pkrtz_f16_f32 v57, v51, v59
	s_waitcnt vmcnt(1)
	v_cmp_ne_u16_sdwa s[14:15], v40, v54 src0_sel:BYTE_0 src1_sel:DWORD
	v_mfma_f32_16x16x16f16 v[34:37], v[56:57], v[18:19], v[34:37]
	v_cvt_pkrtz_f16_f32 v56, v58, v61
	v_cvt_pkrtz_f16_f32 v57, v60, v62
	s_nop 1
	v_mfma_f32_16x16x16f16 v[34:37], v[56:57], v[20:21], v[34:37]
	s_and_saveexec_b64 s[12:13], s[14:15]
	s_cbranch_execz .LBB648_461
; %bb.456:                              ;   in Loop: Header=BB648_215 Depth=1
	v_cmp_ne_u16_sdwa s[16:17], v40, s9 src0_sel:BYTE_0 src1_sel:DWORD
	v_bfrev_b32_e32 v46, 1
	s_and_saveexec_b64 s[14:15], s[16:17]
	s_cbranch_execz .LBB648_460
; %bb.457:                              ;   in Loop: Header=BB648_215 Depth=1
	v_and_b32_e32 v42, 0x7f, v40
	v_cmp_ne_u32_e32 vcc, s19, v42
	v_mov_b32_e32 v46, 0x7f800001
	s_and_saveexec_b64 s[16:17], vcc
	s_cbranch_execz .LBB648_459
; %bb.458:                              ;   in Loop: Header=BB648_215 Depth=1
	v_and_b32_e32 v44, 7, v40
	v_ffbh_u32_e32 v51, v44
	v_min_u32_e32 v51, 32, v51
	v_subrev_u32_e32 v56, 28, v51
	v_lshlrev_b64 v[56:57], v56, v[40:41]
	v_lshrrev_b32_e32 v46, 3, v42
	v_sub_u32_e32 v51, 29, v51
	v_and_b32_e32 v56, 7, v56
	v_cmp_gt_u32_e32 vcc, 8, v42
	v_cndmask_b32_e32 v42, v46, v51, vcc
	v_cndmask_b32_e32 v44, v44, v56, vcc
	v_lshlrev_b32_e32 v46, 24, v40
	v_lshlrev_b32_e32 v44, 20, v44
	v_and_b32_e32 v46, 0x80000000, v46
	v_lshl_add_u32 v42, v42, 23, v55
	v_or3_b32 v46, v46, v42, v44
.LBB648_459:                            ;   in Loop: Header=BB648_215 Depth=1
	s_or_b64 exec, exec, s[16:17]
.LBB648_460:                            ;   in Loop: Header=BB648_215 Depth=1
	s_or_b64 exec, exec, s[14:15]
.LBB648_461:                            ;   in Loop: Header=BB648_215 Depth=1
	s_or_b64 exec, exec, s[12:13]
	v_lshrrev_b16_e32 v42, 8, v40
	v_cmp_ne_u16_e32 vcc, 0, v42
	v_mov_b32_e32 v44, 0
	v_mov_b32_e32 v56, 0
	s_and_saveexec_b64 s[12:13], vcc
	s_cbranch_execz .LBB648_467
; %bb.462:                              ;   in Loop: Header=BB648_215 Depth=1
	v_cmp_ne_u16_e32 vcc, s9, v42
	v_bfrev_b32_e32 v56, 1
	s_and_saveexec_b64 s[14:15], vcc
	s_cbranch_execz .LBB648_466
; %bb.463:                              ;   in Loop: Header=BB648_215 Depth=1
	v_and_b32_e32 v51, 0x7f, v42
	v_cmp_ne_u32_e32 vcc, s19, v51
	v_mov_b32_e32 v56, 0x7f800001
	s_and_saveexec_b64 s[16:17], vcc
	s_cbranch_execz .LBB648_465
; %bb.464:                              ;   in Loop: Header=BB648_215 Depth=1
	v_and_b32_e32 v58, 7, v42
	v_ffbh_u32_e32 v56, v58
	v_min_u32_e32 v60, 32, v56
	v_subrev_u32_e32 v56, 28, v60
	v_lshlrev_b64 v[56:57], v56, v[42:43]
	v_lshrrev_b32_e32 v59, 3, v51
	v_sub_u32_e32 v42, 29, v60
	v_and_b32_e32 v56, 7, v56
	v_cmp_gt_u32_e32 vcc, 8, v51
	v_cndmask_b32_e32 v42, v59, v42, vcc
	v_cndmask_b32_e32 v51, v58, v56, vcc
	v_lshlrev_b32_e32 v56, 16, v40
	v_lshlrev_b32_e32 v51, 20, v51
	v_and_b32_e32 v56, 0x80000000, v56
	v_lshl_add_u32 v42, v42, 23, v55
	v_or3_b32 v56, v56, v42, v51
.LBB648_465:                            ;   in Loop: Header=BB648_215 Depth=1
	s_or_b64 exec, exec, s[16:17]
.LBB648_466:                            ;   in Loop: Header=BB648_215 Depth=1
	s_or_b64 exec, exec, s[14:15]
.LBB648_467:                            ;   in Loop: Header=BB648_215 Depth=1
	s_or_b64 exec, exec, s[12:13]
	v_lshrrev_b32_e32 v42, 16, v40
	v_cmp_ne_u16_sdwa s[14:15], v42, v54 src0_sel:BYTE_0 src1_sel:DWORD
	s_and_saveexec_b64 s[12:13], s[14:15]
	s_cbranch_execz .LBB648_473
; %bb.468:                              ;   in Loop: Header=BB648_215 Depth=1
	v_cmp_ne_u16_sdwa s[16:17], v42, s9 src0_sel:BYTE_0 src1_sel:DWORD
	v_bfrev_b32_e32 v44, 1
	s_and_saveexec_b64 s[14:15], s[16:17]
	s_cbranch_execz .LBB648_472
; %bb.469:                              ;   in Loop: Header=BB648_215 Depth=1
	v_bfe_u32 v51, v40, 16, 7
	v_cmp_ne_u32_e32 vcc, s19, v51
	v_mov_b32_e32 v44, 0x7f800001
	s_and_saveexec_b64 s[16:17], vcc
	s_cbranch_execz .LBB648_471
; %bb.470:                              ;   in Loop: Header=BB648_215 Depth=1
	v_and_b32_e32 v44, 7, v42
	v_ffbh_u32_e32 v58, v44
	v_min_u32_e32 v60, 32, v58
	v_subrev_u32_e32 v58, 28, v60
	v_lshlrev_b64 v[58:59], v58, v[42:43]
	v_lshrrev_b32_e32 v57, 3, v51
	v_sub_u32_e32 v59, 29, v60
	v_and_b32_e32 v58, 7, v58
	v_cmp_gt_u32_e32 vcc, 8, v51
	v_cndmask_b32_e32 v51, v57, v59, vcc
	v_cndmask_b32_e32 v44, v44, v58, vcc
	v_lshlrev_b32_e32 v42, 24, v42
	v_lshlrev_b32_e32 v44, 20, v44
	v_and_b32_e32 v42, 0x80000000, v42
	v_lshl_add_u32 v51, v51, 23, v55
	v_or3_b32 v44, v42, v51, v44
.LBB648_471:                            ;   in Loop: Header=BB648_215 Depth=1
	s_or_b64 exec, exec, s[16:17]
.LBB648_472:                            ;   in Loop: Header=BB648_215 Depth=1
	s_or_b64 exec, exec, s[14:15]
.LBB648_473:                            ;   in Loop: Header=BB648_215 Depth=1
	s_or_b64 exec, exec, s[12:13]
	v_cmp_lt_u32_e32 vcc, s20, v40
	v_mov_b32_e32 v57, 0
	v_mov_b32_e32 v58, 0
	s_and_saveexec_b64 s[12:13], vcc
	s_cbranch_execz .LBB648_479
; %bb.474:                              ;   in Loop: Header=BB648_215 Depth=1
	v_lshrrev_b32_e32 v42, 24, v40
	v_cmp_ne_u32_e32 vcc, s9, v42
	v_bfrev_b32_e32 v58, 1
	s_and_saveexec_b64 s[14:15], vcc
	s_cbranch_execz .LBB648_478
; %bb.475:                              ;   in Loop: Header=BB648_215 Depth=1
	v_bfe_u32 v40, v40, 24, 7
	v_cmp_ne_u32_e32 vcc, s19, v40
	v_mov_b32_e32 v58, 0x7f800001
	s_and_saveexec_b64 s[16:17], vcc
	s_cbranch_execz .LBB648_477
; %bb.476:                              ;   in Loop: Header=BB648_215 Depth=1
	v_and_b32_e32 v51, 7, v42
	v_ffbh_u32_e32 v58, v51
	v_min_u32_e32 v61, 32, v58
	v_subrev_u32_e32 v58, 28, v61
	v_lshlrev_b64 v[58:59], v58, v[42:43]
	v_lshrrev_b32_e32 v60, 3, v40
	v_sub_u32_e32 v59, 29, v61
	v_and_b32_e32 v58, 7, v58
	v_cmp_gt_u32_e32 vcc, 8, v40
	v_cndmask_b32_e32 v40, v60, v59, vcc
	v_cndmask_b32_e32 v51, v51, v58, vcc
	v_lshlrev_b32_e32 v42, 24, v42
	v_lshlrev_b32_e32 v51, 20, v51
	v_and_b32_e32 v42, 0x80000000, v42
	v_lshl_add_u32 v40, v40, 23, v55
	v_or3_b32 v58, v42, v40, v51
.LBB648_477:                            ;   in Loop: Header=BB648_215 Depth=1
	s_or_b64 exec, exec, s[16:17]
.LBB648_478:                            ;   in Loop: Header=BB648_215 Depth=1
	s_or_b64 exec, exec, s[14:15]
.LBB648_479:                            ;   in Loop: Header=BB648_215 Depth=1
	s_or_b64 exec, exec, s[12:13]
	s_waitcnt vmcnt(0)
	v_cmp_ne_u16_sdwa s[14:15], v38, v54 src0_sel:BYTE_0 src1_sel:DWORD
	s_and_saveexec_b64 s[12:13], s[14:15]
	s_cbranch_execz .LBB648_485
; %bb.480:                              ;   in Loop: Header=BB648_215 Depth=1
	v_cmp_ne_u16_sdwa s[16:17], v38, s9 src0_sel:BYTE_0 src1_sel:DWORD
	v_bfrev_b32_e32 v57, 1
	s_and_saveexec_b64 s[14:15], s[16:17]
	s_cbranch_execz .LBB648_484
; %bb.481:                              ;   in Loop: Header=BB648_215 Depth=1
	v_and_b32_e32 v40, 0x7f, v38
	v_cmp_ne_u32_e32 vcc, s19, v40
	v_mov_b32_e32 v57, 0x7f800001
	s_and_saveexec_b64 s[16:17], vcc
	s_cbranch_execz .LBB648_483
; %bb.482:                              ;   in Loop: Header=BB648_215 Depth=1
	v_and_b32_e32 v42, 7, v38
	v_ffbh_u32_e32 v57, v42
	v_min_u32_e32 v57, 32, v57
	v_subrev_u32_e32 v59, 28, v57
	v_lshlrev_b64 v[60:61], v59, v[38:39]
	v_lshrrev_b32_e32 v51, 3, v40
	v_sub_u32_e32 v57, 29, v57
	v_and_b32_e32 v59, 7, v60
	v_cmp_gt_u32_e32 vcc, 8, v40
	v_cndmask_b32_e32 v40, v51, v57, vcc
	v_cndmask_b32_e32 v42, v42, v59, vcc
	v_lshlrev_b32_e32 v51, 24, v38
	v_lshlrev_b32_e32 v42, 20, v42
	v_and_b32_e32 v51, 0x80000000, v51
	v_lshl_add_u32 v40, v40, 23, v55
	v_or3_b32 v57, v51, v40, v42
.LBB648_483:                            ;   in Loop: Header=BB648_215 Depth=1
	s_or_b64 exec, exec, s[16:17]
.LBB648_484:                            ;   in Loop: Header=BB648_215 Depth=1
	s_or_b64 exec, exec, s[14:15]
.LBB648_485:                            ;   in Loop: Header=BB648_215 Depth=1
	s_or_b64 exec, exec, s[12:13]
	v_lshrrev_b16_e32 v40, 8, v38
	v_cmp_ne_u16_e32 vcc, 0, v40
	v_mov_b32_e32 v59, 0
	v_mov_b32_e32 v60, 0
	s_and_saveexec_b64 s[12:13], vcc
	s_cbranch_execz .LBB648_491
; %bb.486:                              ;   in Loop: Header=BB648_215 Depth=1
	v_cmp_ne_u16_e32 vcc, s9, v40
	v_bfrev_b32_e32 v60, 1
	s_and_saveexec_b64 s[14:15], vcc
	s_cbranch_execz .LBB648_490
; %bb.487:                              ;   in Loop: Header=BB648_215 Depth=1
	v_and_b32_e32 v42, 0x7f, v40
	v_cmp_ne_u32_e32 vcc, s19, v42
	v_mov_b32_e32 v60, 0x7f800001
	s_and_saveexec_b64 s[16:17], vcc
	s_cbranch_execz .LBB648_489
; %bb.488:                              ;   in Loop: Header=BB648_215 Depth=1
	v_and_b32_e32 v51, 7, v40
	v_ffbh_u32_e32 v60, v51
	v_min_u32_e32 v63, 32, v60
	v_subrev_u32_e32 v60, 28, v63
	v_lshlrev_b64 v[60:61], v60, v[40:41]
	v_lshrrev_b32_e32 v62, 3, v42
	v_sub_u32_e32 v40, 29, v63
	v_and_b32_e32 v60, 7, v60
	v_cmp_gt_u32_e32 vcc, 8, v42
	v_cndmask_b32_e32 v40, v62, v40, vcc
	v_cndmask_b32_e32 v42, v51, v60, vcc
	v_lshlrev_b32_e32 v51, 16, v38
	v_lshlrev_b32_e32 v42, 20, v42
	v_and_b32_e32 v51, 0x80000000, v51
	v_lshl_add_u32 v40, v40, 23, v55
	v_or3_b32 v60, v51, v40, v42
.LBB648_489:                            ;   in Loop: Header=BB648_215 Depth=1
	s_or_b64 exec, exec, s[16:17]
.LBB648_490:                            ;   in Loop: Header=BB648_215 Depth=1
	s_or_b64 exec, exec, s[14:15]
.LBB648_491:                            ;   in Loop: Header=BB648_215 Depth=1
	s_or_b64 exec, exec, s[12:13]
	v_lshrrev_b32_e32 v40, 16, v38
	v_cmp_ne_u16_sdwa s[14:15], v40, v54 src0_sel:BYTE_0 src1_sel:DWORD
	s_and_saveexec_b64 s[12:13], s[14:15]
	s_cbranch_execz .LBB648_497
; %bb.492:                              ;   in Loop: Header=BB648_215 Depth=1
	v_cmp_ne_u16_sdwa s[16:17], v40, s9 src0_sel:BYTE_0 src1_sel:DWORD
	v_bfrev_b32_e32 v59, 1
	s_and_saveexec_b64 s[14:15], s[16:17]
	s_cbranch_execz .LBB648_496
; %bb.493:                              ;   in Loop: Header=BB648_215 Depth=1
	v_bfe_u32 v42, v38, 16, 7
	v_cmp_ne_u32_e32 vcc, s19, v42
	v_mov_b32_e32 v59, 0x7f800001
	s_and_saveexec_b64 s[16:17], vcc
	s_cbranch_execz .LBB648_495
; %bb.494:                              ;   in Loop: Header=BB648_215 Depth=1
	v_and_b32_e32 v51, 7, v40
	v_ffbh_u32_e32 v61, v51
	v_min_u32_e32 v61, 32, v61
	v_subrev_u32_e32 v62, 28, v61
	v_lshlrev_b64 v[62:63], v62, v[40:41]
	v_lshrrev_b32_e32 v59, 3, v42
	v_sub_u32_e32 v61, 29, v61
	v_and_b32_e32 v62, 7, v62
	v_cmp_gt_u32_e32 vcc, 8, v42
	v_cndmask_b32_e32 v42, v59, v61, vcc
	v_cndmask_b32_e32 v51, v51, v62, vcc
	v_lshlrev_b32_e32 v40, 24, v40
	v_lshlrev_b32_e32 v51, 20, v51
	v_and_b32_e32 v40, 0x80000000, v40
	v_lshl_add_u32 v42, v42, 23, v55
	v_or3_b32 v59, v40, v42, v51
.LBB648_495:                            ;   in Loop: Header=BB648_215 Depth=1
	s_or_b64 exec, exec, s[16:17]
.LBB648_496:                            ;   in Loop: Header=BB648_215 Depth=1
	s_or_b64 exec, exec, s[14:15]
.LBB648_497:                            ;   in Loop: Header=BB648_215 Depth=1
	s_or_b64 exec, exec, s[12:13]
	v_cmp_lt_u32_e32 vcc, s20, v38
	v_mov_b32_e32 v51, 0
	v_mov_b32_e32 v61, 0
	s_and_saveexec_b64 s[12:13], vcc
	s_cbranch_execz .LBB648_503
; %bb.498:                              ;   in Loop: Header=BB648_215 Depth=1
	v_lshrrev_b32_e32 v40, 24, v38
	v_cmp_ne_u32_e32 vcc, s9, v40
	v_bfrev_b32_e32 v61, 1
	s_and_saveexec_b64 s[14:15], vcc
	s_cbranch_execz .LBB648_502
; %bb.499:                              ;   in Loop: Header=BB648_215 Depth=1
	v_bfe_u32 v38, v38, 24, 7
	v_cmp_ne_u32_e32 vcc, s19, v38
	v_mov_b32_e32 v61, 0x7f800001
	s_and_saveexec_b64 s[16:17], vcc
	s_cbranch_execz .LBB648_501
; %bb.500:                              ;   in Loop: Header=BB648_215 Depth=1
	v_and_b32_e32 v42, 7, v40
	v_ffbh_u32_e32 v62, v42
	v_min_u32_e32 v64, 32, v62
	v_subrev_u32_e32 v62, 28, v64
	v_lshlrev_b64 v[62:63], v62, v[40:41]
	v_lshrrev_b32_e32 v61, 3, v38
	v_sub_u32_e32 v63, 29, v64
	v_and_b32_e32 v62, 7, v62
	v_cmp_gt_u32_e32 vcc, 8, v38
	v_cndmask_b32_e32 v38, v61, v63, vcc
	v_cndmask_b32_e32 v42, v42, v62, vcc
	v_lshlrev_b32_e32 v40, 24, v40
	v_lshlrev_b32_e32 v42, 20, v42
	v_and_b32_e32 v40, 0x80000000, v40
	v_lshl_add_u32 v38, v38, 23, v55
	v_or3_b32 v61, v40, v38, v42
.LBB648_501:                            ;   in Loop: Header=BB648_215 Depth=1
	s_or_b64 exec, exec, s[16:17]
.LBB648_502:                            ;   in Loop: Header=BB648_215 Depth=1
	s_or_b64 exec, exec, s[14:15]
.LBB648_503:                            ;   in Loop: Header=BB648_215 Depth=1
	s_or_b64 exec, exec, s[12:13]
	v_cvt_pkrtz_f16_f32 v63, v44, v58
	buffer_load_dword v44, v50, s[0:3], 0 offen
	buffer_load_dword v42, v50, s[0:3], 0 offen offset:4
	buffer_load_dword v40, v50, s[0:3], 0 offen offset:8
	;; [unrolled: 1-line block ×3, first 2 shown]
	v_cvt_pkrtz_f16_f32 v62, v46, v56
	v_cvt_pkrtz_f16_f32 v56, v57, v60
	;; [unrolled: 1-line block ×3, first 2 shown]
	v_mfma_f32_16x16x16f16 v[34:37], v[62:63], v[22:23], v[34:37]
	s_waitcnt vmcnt(3)
	v_cmp_ne_u16_sdwa s[14:15], v44, v54 src0_sel:BYTE_0 src1_sel:DWORD
	v_mfma_f32_16x16x16f16 v[34:37], v[56:57], v[24:25], v[34:37]
	s_and_saveexec_b64 s[12:13], s[14:15]
	s_cbranch_execz .LBB648_509
; %bb.504:                              ;   in Loop: Header=BB648_215 Depth=1
	v_cmp_ne_u16_sdwa s[16:17], v44, s9 src0_sel:BYTE_0 src1_sel:DWORD
	v_bfrev_b32_e32 v51, 1
	s_and_saveexec_b64 s[14:15], s[16:17]
	s_cbranch_execz .LBB648_508
; %bb.505:                              ;   in Loop: Header=BB648_215 Depth=1
	v_and_b32_e32 v46, 0x7f, v44
	v_cmp_ne_u32_e32 vcc, s19, v46
	v_mov_b32_e32 v51, 0x7f800001
	s_and_saveexec_b64 s[16:17], vcc
	s_cbranch_execz .LBB648_507
; %bb.506:                              ;   in Loop: Header=BB648_215 Depth=1
	v_and_b32_e32 v56, 7, v44
	v_ffbh_u32_e32 v50, v56
	v_min_u32_e32 v58, 32, v50
	v_subrev_u32_e32 v50, 28, v58
	v_lshlrev_b64 v[50:51], v50, v[44:45]
	v_lshrrev_b32_e32 v57, 3, v46
	v_sub_u32_e32 v51, 29, v58
	v_and_b32_e32 v50, 7, v50
	v_cmp_gt_u32_e32 vcc, 8, v46
	v_cndmask_b32_e32 v46, v57, v51, vcc
	v_cndmask_b32_e32 v50, v56, v50, vcc
	v_lshlrev_b32_e32 v51, 24, v44
	v_lshlrev_b32_e32 v50, 20, v50
	v_and_b32_e32 v51, 0x80000000, v51
	v_lshl_add_u32 v46, v46, 23, v55
	v_or3_b32 v51, v51, v46, v50
.LBB648_507:                            ;   in Loop: Header=BB648_215 Depth=1
	s_or_b64 exec, exec, s[16:17]
.LBB648_508:                            ;   in Loop: Header=BB648_215 Depth=1
	s_or_b64 exec, exec, s[14:15]
.LBB648_509:                            ;   in Loop: Header=BB648_215 Depth=1
	s_or_b64 exec, exec, s[12:13]
	v_lshrrev_b16_e32 v46, 8, v44
	v_cmp_ne_u16_e32 vcc, 0, v46
	v_mov_b32_e32 v50, 0
	v_mov_b32_e32 v56, 0
	s_and_saveexec_b64 s[12:13], vcc
	s_cbranch_execz .LBB648_515
; %bb.510:                              ;   in Loop: Header=BB648_215 Depth=1
	v_cmp_ne_u16_e32 vcc, s9, v46
	v_bfrev_b32_e32 v56, 1
	s_and_saveexec_b64 s[14:15], vcc
	s_cbranch_execz .LBB648_514
; %bb.511:                              ;   in Loop: Header=BB648_215 Depth=1
	v_and_b32_e32 v57, 0x7f, v46
	v_cmp_ne_u32_e32 vcc, s19, v57
	v_mov_b32_e32 v56, 0x7f800001
	s_and_saveexec_b64 s[16:17], vcc
	s_cbranch_execz .LBB648_513
; %bb.512:                              ;   in Loop: Header=BB648_215 Depth=1
	v_and_b32_e32 v56, 7, v46
	v_ffbh_u32_e32 v58, v56
	v_min_u32_e32 v61, 32, v58
	v_subrev_u32_e32 v58, 28, v61
	v_lshlrev_b64 v[58:59], v58, v[46:47]
	v_lshrrev_b32_e32 v60, 3, v57
	v_sub_u32_e32 v46, 29, v61
	v_and_b32_e32 v58, 7, v58
	v_cmp_gt_u32_e32 vcc, 8, v57
	v_cndmask_b32_e32 v46, v60, v46, vcc
	v_cndmask_b32_e32 v56, v56, v58, vcc
	v_lshlrev_b32_e32 v57, 16, v44
	v_lshlrev_b32_e32 v56, 20, v56
	v_and_b32_e32 v57, 0x80000000, v57
	v_lshl_add_u32 v46, v46, 23, v55
	v_or3_b32 v56, v57, v46, v56
.LBB648_513:                            ;   in Loop: Header=BB648_215 Depth=1
	s_or_b64 exec, exec, s[16:17]
.LBB648_514:                            ;   in Loop: Header=BB648_215 Depth=1
	s_or_b64 exec, exec, s[14:15]
.LBB648_515:                            ;   in Loop: Header=BB648_215 Depth=1
	s_or_b64 exec, exec, s[12:13]
	v_lshrrev_b32_e32 v46, 16, v44
	v_cmp_ne_u16_sdwa s[14:15], v46, v54 src0_sel:BYTE_0 src1_sel:DWORD
	s_and_saveexec_b64 s[12:13], s[14:15]
	s_cbranch_execz .LBB648_521
; %bb.516:                              ;   in Loop: Header=BB648_215 Depth=1
	v_cmp_ne_u16_sdwa s[16:17], v46, s9 src0_sel:BYTE_0 src1_sel:DWORD
	v_bfrev_b32_e32 v50, 1
	s_and_saveexec_b64 s[14:15], s[16:17]
	s_cbranch_execz .LBB648_520
; %bb.517:                              ;   in Loop: Header=BB648_215 Depth=1
	v_bfe_u32 v57, v44, 16, 7
	v_cmp_ne_u32_e32 vcc, s19, v57
	v_mov_b32_e32 v50, 0x7f800001
	s_and_saveexec_b64 s[16:17], vcc
	s_cbranch_execz .LBB648_519
; %bb.518:                              ;   in Loop: Header=BB648_215 Depth=1
	v_and_b32_e32 v50, 7, v46
	v_ffbh_u32_e32 v58, v50
	v_min_u32_e32 v61, 32, v58
	v_subrev_u32_e32 v58, 28, v61
	v_lshlrev_b64 v[58:59], v58, v[46:47]
	v_lshrrev_b32_e32 v60, 3, v57
	v_sub_u32_e32 v59, 29, v61
	v_and_b32_e32 v58, 7, v58
	v_cmp_gt_u32_e32 vcc, 8, v57
	v_cndmask_b32_e32 v57, v60, v59, vcc
	v_cndmask_b32_e32 v50, v50, v58, vcc
	v_lshlrev_b32_e32 v46, 24, v46
	v_lshlrev_b32_e32 v50, 20, v50
	v_and_b32_e32 v46, 0x80000000, v46
	v_lshl_add_u32 v57, v57, 23, v55
	v_or3_b32 v50, v46, v57, v50
.LBB648_519:                            ;   in Loop: Header=BB648_215 Depth=1
	s_or_b64 exec, exec, s[16:17]
.LBB648_520:                            ;   in Loop: Header=BB648_215 Depth=1
	s_or_b64 exec, exec, s[14:15]
.LBB648_521:                            ;   in Loop: Header=BB648_215 Depth=1
	s_or_b64 exec, exec, s[12:13]
	v_cmp_lt_u32_e32 vcc, s20, v44
	v_mov_b32_e32 v57, 0
	v_mov_b32_e32 v58, 0
	s_and_saveexec_b64 s[12:13], vcc
	s_cbranch_execz .LBB648_527
; %bb.522:                              ;   in Loop: Header=BB648_215 Depth=1
	v_lshrrev_b32_e32 v46, 24, v44
	v_cmp_ne_u32_e32 vcc, s9, v46
	v_bfrev_b32_e32 v58, 1
	s_and_saveexec_b64 s[14:15], vcc
	s_cbranch_execz .LBB648_526
; %bb.523:                              ;   in Loop: Header=BB648_215 Depth=1
	v_bfe_u32 v44, v44, 24, 7
	v_cmp_ne_u32_e32 vcc, s19, v44
	v_mov_b32_e32 v58, 0x7f800001
	s_and_saveexec_b64 s[16:17], vcc
	s_cbranch_execz .LBB648_525
; %bb.524:                              ;   in Loop: Header=BB648_215 Depth=1
	v_and_b32_e32 v60, 7, v46
	v_ffbh_u32_e32 v58, v60
	v_min_u32_e32 v62, 32, v58
	v_subrev_u32_e32 v58, 28, v62
	v_lshlrev_b64 v[58:59], v58, v[46:47]
	v_lshrrev_b32_e32 v61, 3, v44
	v_sub_u32_e32 v59, 29, v62
	v_and_b32_e32 v58, 7, v58
	v_cmp_gt_u32_e32 vcc, 8, v44
	v_cndmask_b32_e32 v44, v61, v59, vcc
	v_cndmask_b32_e32 v58, v60, v58, vcc
	v_lshlrev_b32_e32 v46, 24, v46
	v_lshlrev_b32_e32 v58, 20, v58
	v_and_b32_e32 v46, 0x80000000, v46
	v_lshl_add_u32 v44, v44, 23, v55
	v_or3_b32 v58, v46, v44, v58
.LBB648_525:                            ;   in Loop: Header=BB648_215 Depth=1
	s_or_b64 exec, exec, s[16:17]
.LBB648_526:                            ;   in Loop: Header=BB648_215 Depth=1
	s_or_b64 exec, exec, s[14:15]
.LBB648_527:                            ;   in Loop: Header=BB648_215 Depth=1
	s_or_b64 exec, exec, s[12:13]
	s_waitcnt vmcnt(2)
	v_cmp_ne_u16_sdwa s[14:15], v42, v54 src0_sel:BYTE_0 src1_sel:DWORD
	s_and_saveexec_b64 s[12:13], s[14:15]
	s_cbranch_execz .LBB648_533
; %bb.528:                              ;   in Loop: Header=BB648_215 Depth=1
	v_cmp_ne_u16_sdwa s[16:17], v42, s9 src0_sel:BYTE_0 src1_sel:DWORD
	v_bfrev_b32_e32 v57, 1
	s_and_saveexec_b64 s[14:15], s[16:17]
	s_cbranch_execz .LBB648_532
; %bb.529:                              ;   in Loop: Header=BB648_215 Depth=1
	v_and_b32_e32 v44, 0x7f, v42
	v_cmp_ne_u32_e32 vcc, s19, v44
	v_mov_b32_e32 v57, 0x7f800001
	s_and_saveexec_b64 s[16:17], vcc
	s_cbranch_execz .LBB648_531
; %bb.530:                              ;   in Loop: Header=BB648_215 Depth=1
	v_and_b32_e32 v46, 7, v42
	v_ffbh_u32_e32 v59, v46
	v_min_u32_e32 v59, 32, v59
	v_subrev_u32_e32 v60, 28, v59
	v_lshlrev_b64 v[60:61], v60, v[42:43]
	v_lshrrev_b32_e32 v57, 3, v44
	v_sub_u32_e32 v59, 29, v59
	v_and_b32_e32 v60, 7, v60
	v_cmp_gt_u32_e32 vcc, 8, v44
	v_cndmask_b32_e32 v44, v57, v59, vcc
	v_cndmask_b32_e32 v46, v46, v60, vcc
	v_lshlrev_b32_e32 v57, 24, v42
	v_lshlrev_b32_e32 v46, 20, v46
	v_and_b32_e32 v57, 0x80000000, v57
	v_lshl_add_u32 v44, v44, 23, v55
	v_or3_b32 v57, v57, v44, v46
.LBB648_531:                            ;   in Loop: Header=BB648_215 Depth=1
	s_or_b64 exec, exec, s[16:17]
.LBB648_532:                            ;   in Loop: Header=BB648_215 Depth=1
	s_or_b64 exec, exec, s[14:15]
.LBB648_533:                            ;   in Loop: Header=BB648_215 Depth=1
	s_or_b64 exec, exec, s[12:13]
	v_lshrrev_b16_e32 v44, 8, v42
	v_cmp_ne_u16_e32 vcc, 0, v44
	v_mov_b32_e32 v59, 0
	v_mov_b32_e32 v60, 0
	s_and_saveexec_b64 s[12:13], vcc
	s_cbranch_execz .LBB648_539
; %bb.534:                              ;   in Loop: Header=BB648_215 Depth=1
	v_cmp_ne_u16_e32 vcc, s9, v44
	v_bfrev_b32_e32 v60, 1
	s_and_saveexec_b64 s[14:15], vcc
	s_cbranch_execz .LBB648_538
; %bb.535:                              ;   in Loop: Header=BB648_215 Depth=1
	v_and_b32_e32 v46, 0x7f, v44
	v_cmp_ne_u32_e32 vcc, s19, v46
	v_mov_b32_e32 v60, 0x7f800001
	s_and_saveexec_b64 s[16:17], vcc
	s_cbranch_execz .LBB648_537
; %bb.536:                              ;   in Loop: Header=BB648_215 Depth=1
	v_and_b32_e32 v62, 7, v44
	v_ffbh_u32_e32 v60, v62
	v_min_u32_e32 v64, 32, v60
	v_subrev_u32_e32 v60, 28, v64
	v_lshlrev_b64 v[60:61], v60, v[44:45]
	v_lshrrev_b32_e32 v63, 3, v46
	v_sub_u32_e32 v44, 29, v64
	v_and_b32_e32 v60, 7, v60
	v_cmp_gt_u32_e32 vcc, 8, v46
	v_cndmask_b32_e32 v44, v63, v44, vcc
	v_cndmask_b32_e32 v46, v62, v60, vcc
	v_lshlrev_b32_e32 v60, 16, v42
	v_lshlrev_b32_e32 v46, 20, v46
	v_and_b32_e32 v60, 0x80000000, v60
	v_lshl_add_u32 v44, v44, 23, v55
	v_or3_b32 v60, v60, v44, v46
.LBB648_537:                            ;   in Loop: Header=BB648_215 Depth=1
	s_or_b64 exec, exec, s[16:17]
.LBB648_538:                            ;   in Loop: Header=BB648_215 Depth=1
	s_or_b64 exec, exec, s[14:15]
.LBB648_539:                            ;   in Loop: Header=BB648_215 Depth=1
	s_or_b64 exec, exec, s[12:13]
	v_lshrrev_b32_e32 v44, 16, v42
	v_cmp_ne_u16_sdwa s[14:15], v44, v54 src0_sel:BYTE_0 src1_sel:DWORD
	s_and_saveexec_b64 s[12:13], s[14:15]
	s_cbranch_execz .LBB648_545
; %bb.540:                              ;   in Loop: Header=BB648_215 Depth=1
	v_cmp_ne_u16_sdwa s[16:17], v44, s9 src0_sel:BYTE_0 src1_sel:DWORD
	v_bfrev_b32_e32 v59, 1
	s_and_saveexec_b64 s[14:15], s[16:17]
	s_cbranch_execz .LBB648_544
; %bb.541:                              ;   in Loop: Header=BB648_215 Depth=1
	v_bfe_u32 v46, v42, 16, 7
	v_cmp_ne_u32_e32 vcc, s19, v46
	v_mov_b32_e32 v59, 0x7f800001
	s_and_saveexec_b64 s[16:17], vcc
	s_cbranch_execz .LBB648_543
; %bb.542:                              ;   in Loop: Header=BB648_215 Depth=1
	v_and_b32_e32 v59, 7, v44
	v_ffbh_u32_e32 v62, v59
	v_min_u32_e32 v64, 32, v62
	v_subrev_u32_e32 v62, 28, v64
	v_lshlrev_b64 v[62:63], v62, v[44:45]
	v_lshrrev_b32_e32 v61, 3, v46
	v_sub_u32_e32 v63, 29, v64
	v_and_b32_e32 v62, 7, v62
	v_cmp_gt_u32_e32 vcc, 8, v46
	v_cndmask_b32_e32 v46, v61, v63, vcc
	v_cndmask_b32_e32 v59, v59, v62, vcc
	v_lshlrev_b32_e32 v44, 24, v44
	v_lshlrev_b32_e32 v59, 20, v59
	v_and_b32_e32 v44, 0x80000000, v44
	v_lshl_add_u32 v46, v46, 23, v55
	v_or3_b32 v59, v44, v46, v59
.LBB648_543:                            ;   in Loop: Header=BB648_215 Depth=1
	s_or_b64 exec, exec, s[16:17]
.LBB648_544:                            ;   in Loop: Header=BB648_215 Depth=1
	s_or_b64 exec, exec, s[14:15]
.LBB648_545:                            ;   in Loop: Header=BB648_215 Depth=1
	s_or_b64 exec, exec, s[12:13]
	v_cmp_lt_u32_e32 vcc, s20, v42
	v_mov_b32_e32 v46, 0
	v_mov_b32_e32 v61, 0
	s_and_saveexec_b64 s[12:13], vcc
	s_cbranch_execz .LBB648_551
; %bb.546:                              ;   in Loop: Header=BB648_215 Depth=1
	v_lshrrev_b32_e32 v44, 24, v42
	v_cmp_ne_u32_e32 vcc, s9, v44
	v_bfrev_b32_e32 v61, 1
	s_and_saveexec_b64 s[14:15], vcc
	s_cbranch_execz .LBB648_550
; %bb.547:                              ;   in Loop: Header=BB648_215 Depth=1
	v_bfe_u32 v42, v42, 24, 7
	v_cmp_ne_u32_e32 vcc, s19, v42
	v_mov_b32_e32 v61, 0x7f800001
	s_and_saveexec_b64 s[16:17], vcc
	s_cbranch_execz .LBB648_549
; %bb.548:                              ;   in Loop: Header=BB648_215 Depth=1
	v_and_b32_e32 v61, 7, v44
	v_ffbh_u32_e32 v62, v61
	v_min_u32_e32 v65, 32, v62
	v_subrev_u32_e32 v62, 28, v65
	v_lshlrev_b64 v[62:63], v62, v[44:45]
	v_lshrrev_b32_e32 v64, 3, v42
	v_sub_u32_e32 v63, 29, v65
	v_and_b32_e32 v62, 7, v62
	v_cmp_gt_u32_e32 vcc, 8, v42
	v_cndmask_b32_e32 v42, v64, v63, vcc
	v_cndmask_b32_e32 v61, v61, v62, vcc
	v_lshlrev_b32_e32 v44, 24, v44
	v_lshlrev_b32_e32 v61, 20, v61
	v_and_b32_e32 v44, 0x80000000, v44
	v_lshl_add_u32 v42, v42, 23, v55
	v_or3_b32 v61, v44, v42, v61
.LBB648_549:                            ;   in Loop: Header=BB648_215 Depth=1
	s_or_b64 exec, exec, s[16:17]
.LBB648_550:                            ;   in Loop: Header=BB648_215 Depth=1
	s_or_b64 exec, exec, s[14:15]
.LBB648_551:                            ;   in Loop: Header=BB648_215 Depth=1
	s_or_b64 exec, exec, s[12:13]
	v_cvt_pkrtz_f16_f32 v62, v51, v56
	v_cvt_pkrtz_f16_f32 v63, v50, v58
	v_cvt_pkrtz_f16_f32 v50, v57, v60
	v_cvt_pkrtz_f16_f32 v51, v59, v61
	s_waitcnt vmcnt(1)
	v_cmp_ne_u16_sdwa s[14:15], v40, v54 src0_sel:BYTE_0 src1_sel:DWORD
	v_mfma_f32_16x16x16f16 v[34:37], v[62:63], v[26:27], v[34:37]
	v_mfma_f32_16x16x16f16 v[34:37], v[50:51], v[28:29], v[34:37]
	s_and_saveexec_b64 s[12:13], s[14:15]
	s_cbranch_execz .LBB648_557
; %bb.552:                              ;   in Loop: Header=BB648_215 Depth=1
	v_cmp_ne_u16_sdwa s[16:17], v40, s9 src0_sel:BYTE_0 src1_sel:DWORD
	v_bfrev_b32_e32 v46, 1
	s_and_saveexec_b64 s[14:15], s[16:17]
	s_cbranch_execz .LBB648_556
; %bb.553:                              ;   in Loop: Header=BB648_215 Depth=1
	v_and_b32_e32 v42, 0x7f, v40
	v_cmp_ne_u32_e32 vcc, s19, v42
	v_mov_b32_e32 v46, 0x7f800001
	s_and_saveexec_b64 s[16:17], vcc
	s_cbranch_execz .LBB648_555
; %bb.554:                              ;   in Loop: Header=BB648_215 Depth=1
	v_and_b32_e32 v44, 7, v40
	v_ffbh_u32_e32 v50, v44
	v_min_u32_e32 v56, 32, v50
	v_subrev_u32_e32 v50, 28, v56
	v_lshlrev_b64 v[50:51], v50, v[40:41]
	v_lshrrev_b32_e32 v46, 3, v42
	v_sub_u32_e32 v51, 29, v56
	v_and_b32_e32 v50, 7, v50
	v_cmp_gt_u32_e32 vcc, 8, v42
	v_cndmask_b32_e32 v42, v46, v51, vcc
	v_cndmask_b32_e32 v44, v44, v50, vcc
	v_lshlrev_b32_e32 v46, 24, v40
	v_lshlrev_b32_e32 v44, 20, v44
	v_and_b32_e32 v46, 0x80000000, v46
	v_lshl_add_u32 v42, v42, 23, v55
	v_or3_b32 v46, v46, v42, v44
.LBB648_555:                            ;   in Loop: Header=BB648_215 Depth=1
	s_or_b64 exec, exec, s[16:17]
.LBB648_556:                            ;   in Loop: Header=BB648_215 Depth=1
	s_or_b64 exec, exec, s[14:15]
.LBB648_557:                            ;   in Loop: Header=BB648_215 Depth=1
	s_or_b64 exec, exec, s[12:13]
	v_lshrrev_b16_e32 v42, 8, v40
	v_cmp_ne_u16_e32 vcc, 0, v42
	v_mov_b32_e32 v44, 0
	v_mov_b32_e32 v50, 0
	s_and_saveexec_b64 s[12:13], vcc
	s_cbranch_execz .LBB648_563
; %bb.558:                              ;   in Loop: Header=BB648_215 Depth=1
	v_cmp_ne_u16_e32 vcc, s9, v42
	v_bfrev_b32_e32 v50, 1
	s_and_saveexec_b64 s[14:15], vcc
	s_cbranch_execz .LBB648_562
; %bb.559:                              ;   in Loop: Header=BB648_215 Depth=1
	v_and_b32_e32 v51, 0x7f, v42
	v_cmp_ne_u32_e32 vcc, s19, v51
	v_mov_b32_e32 v50, 0x7f800001
	s_and_saveexec_b64 s[16:17], vcc
	s_cbranch_execz .LBB648_561
; %bb.560:                              ;   in Loop: Header=BB648_215 Depth=1
	v_and_b32_e32 v50, 7, v42
	v_ffbh_u32_e32 v56, v50
	v_min_u32_e32 v59, 32, v56
	v_subrev_u32_e32 v56, 28, v59
	v_lshlrev_b64 v[56:57], v56, v[42:43]
	v_lshrrev_b32_e32 v58, 3, v51
	v_sub_u32_e32 v42, 29, v59
	v_and_b32_e32 v56, 7, v56
	v_cmp_gt_u32_e32 vcc, 8, v51
	v_cndmask_b32_e32 v42, v58, v42, vcc
	v_cndmask_b32_e32 v50, v50, v56, vcc
	v_lshlrev_b32_e32 v51, 16, v40
	v_lshlrev_b32_e32 v50, 20, v50
	v_and_b32_e32 v51, 0x80000000, v51
	v_lshl_add_u32 v42, v42, 23, v55
	v_or3_b32 v50, v51, v42, v50
.LBB648_561:                            ;   in Loop: Header=BB648_215 Depth=1
	s_or_b64 exec, exec, s[16:17]
.LBB648_562:                            ;   in Loop: Header=BB648_215 Depth=1
	s_or_b64 exec, exec, s[14:15]
.LBB648_563:                            ;   in Loop: Header=BB648_215 Depth=1
	s_or_b64 exec, exec, s[12:13]
	v_lshrrev_b32_e32 v42, 16, v40
	v_cmp_ne_u16_sdwa s[14:15], v42, v54 src0_sel:BYTE_0 src1_sel:DWORD
	s_and_saveexec_b64 s[12:13], s[14:15]
	s_cbranch_execz .LBB648_569
; %bb.564:                              ;   in Loop: Header=BB648_215 Depth=1
	v_cmp_ne_u16_sdwa s[16:17], v42, s9 src0_sel:BYTE_0 src1_sel:DWORD
	v_bfrev_b32_e32 v44, 1
	s_and_saveexec_b64 s[14:15], s[16:17]
	s_cbranch_execz .LBB648_568
; %bb.565:                              ;   in Loop: Header=BB648_215 Depth=1
	v_bfe_u32 v51, v40, 16, 7
	v_cmp_ne_u32_e32 vcc, s19, v51
	v_mov_b32_e32 v44, 0x7f800001
	s_and_saveexec_b64 s[16:17], vcc
	s_cbranch_execz .LBB648_567
; %bb.566:                              ;   in Loop: Header=BB648_215 Depth=1
	v_and_b32_e32 v44, 7, v42
	v_ffbh_u32_e32 v56, v44
	v_min_u32_e32 v59, 32, v56
	v_subrev_u32_e32 v56, 28, v59
	v_lshlrev_b64 v[56:57], v56, v[42:43]
	v_lshrrev_b32_e32 v58, 3, v51
	v_sub_u32_e32 v57, 29, v59
	v_and_b32_e32 v56, 7, v56
	v_cmp_gt_u32_e32 vcc, 8, v51
	v_cndmask_b32_e32 v51, v58, v57, vcc
	v_cndmask_b32_e32 v44, v44, v56, vcc
	v_lshlrev_b32_e32 v42, 24, v42
	v_lshlrev_b32_e32 v44, 20, v44
	v_and_b32_e32 v42, 0x80000000, v42
	v_lshl_add_u32 v51, v51, 23, v55
	v_or3_b32 v44, v42, v51, v44
.LBB648_567:                            ;   in Loop: Header=BB648_215 Depth=1
	s_or_b64 exec, exec, s[16:17]
.LBB648_568:                            ;   in Loop: Header=BB648_215 Depth=1
	s_or_b64 exec, exec, s[14:15]
.LBB648_569:                            ;   in Loop: Header=BB648_215 Depth=1
	s_or_b64 exec, exec, s[12:13]
	v_cmp_lt_u32_e32 vcc, s20, v40
	v_mov_b32_e32 v51, 0
	v_mov_b32_e32 v56, 0
	s_and_saveexec_b64 s[12:13], vcc
	s_cbranch_execz .LBB648_575
; %bb.570:                              ;   in Loop: Header=BB648_215 Depth=1
	v_lshrrev_b32_e32 v42, 24, v40
	v_cmp_ne_u32_e32 vcc, s9, v42
	v_bfrev_b32_e32 v56, 1
	s_and_saveexec_b64 s[14:15], vcc
	s_cbranch_execz .LBB648_574
; %bb.571:                              ;   in Loop: Header=BB648_215 Depth=1
	v_bfe_u32 v40, v40, 24, 7
	v_cmp_ne_u32_e32 vcc, s19, v40
	v_mov_b32_e32 v56, 0x7f800001
	s_and_saveexec_b64 s[16:17], vcc
	s_cbranch_execz .LBB648_573
; %bb.572:                              ;   in Loop: Header=BB648_215 Depth=1
	v_and_b32_e32 v58, 7, v42
	v_ffbh_u32_e32 v56, v58
	v_min_u32_e32 v60, 32, v56
	v_subrev_u32_e32 v56, 28, v60
	v_lshlrev_b64 v[56:57], v56, v[42:43]
	v_lshrrev_b32_e32 v59, 3, v40
	v_sub_u32_e32 v57, 29, v60
	v_and_b32_e32 v56, 7, v56
	v_cmp_gt_u32_e32 vcc, 8, v40
	v_cndmask_b32_e32 v40, v59, v57, vcc
	v_cndmask_b32_e32 v56, v58, v56, vcc
	v_lshlrev_b32_e32 v42, 24, v42
	v_lshlrev_b32_e32 v56, 20, v56
	v_and_b32_e32 v42, 0x80000000, v42
	v_lshl_add_u32 v40, v40, 23, v55
	v_or3_b32 v56, v42, v40, v56
.LBB648_573:                            ;   in Loop: Header=BB648_215 Depth=1
	s_or_b64 exec, exec, s[16:17]
.LBB648_574:                            ;   in Loop: Header=BB648_215 Depth=1
	s_or_b64 exec, exec, s[14:15]
.LBB648_575:                            ;   in Loop: Header=BB648_215 Depth=1
	s_or_b64 exec, exec, s[12:13]
	s_waitcnt vmcnt(0)
	v_cmp_ne_u16_sdwa s[14:15], v38, v54 src0_sel:BYTE_0 src1_sel:DWORD
	s_and_saveexec_b64 s[12:13], s[14:15]
	s_cbranch_execz .LBB648_581
; %bb.576:                              ;   in Loop: Header=BB648_215 Depth=1
	v_cmp_ne_u16_sdwa s[16:17], v38, s9 src0_sel:BYTE_0 src1_sel:DWORD
	v_bfrev_b32_e32 v51, 1
	s_and_saveexec_b64 s[14:15], s[16:17]
	s_cbranch_execz .LBB648_580
; %bb.577:                              ;   in Loop: Header=BB648_215 Depth=1
	v_and_b32_e32 v40, 0x7f, v38
	v_cmp_ne_u32_e32 vcc, s19, v40
	v_mov_b32_e32 v51, 0x7f800001
	s_and_saveexec_b64 s[16:17], vcc
	s_cbranch_execz .LBB648_579
; %bb.578:                              ;   in Loop: Header=BB648_215 Depth=1
	v_and_b32_e32 v42, 7, v38
	v_ffbh_u32_e32 v57, v42
	v_min_u32_e32 v57, 32, v57
	v_subrev_u32_e32 v58, 28, v57
	v_lshlrev_b64 v[58:59], v58, v[38:39]
	v_lshrrev_b32_e32 v51, 3, v40
	v_sub_u32_e32 v57, 29, v57
	v_and_b32_e32 v58, 7, v58
	v_cmp_gt_u32_e32 vcc, 8, v40
	v_cndmask_b32_e32 v40, v51, v57, vcc
	v_cndmask_b32_e32 v42, v42, v58, vcc
	v_lshlrev_b32_e32 v51, 24, v38
	v_lshlrev_b32_e32 v42, 20, v42
	v_and_b32_e32 v51, 0x80000000, v51
	v_lshl_add_u32 v40, v40, 23, v55
	v_or3_b32 v51, v51, v40, v42
.LBB648_579:                            ;   in Loop: Header=BB648_215 Depth=1
	s_or_b64 exec, exec, s[16:17]
.LBB648_580:                            ;   in Loop: Header=BB648_215 Depth=1
	s_or_b64 exec, exec, s[14:15]
.LBB648_581:                            ;   in Loop: Header=BB648_215 Depth=1
	s_or_b64 exec, exec, s[12:13]
	v_lshrrev_b16_e32 v40, 8, v38
	v_cmp_ne_u16_e32 vcc, 0, v40
	v_mov_b32_e32 v42, 0
	v_mov_b32_e32 v57, 0
	s_and_saveexec_b64 s[12:13], vcc
	s_cbranch_execz .LBB648_587
; %bb.582:                              ;   in Loop: Header=BB648_215 Depth=1
	v_cmp_ne_u16_e32 vcc, s9, v40
	v_bfrev_b32_e32 v57, 1
	s_and_saveexec_b64 s[14:15], vcc
	s_cbranch_execz .LBB648_586
; %bb.583:                              ;   in Loop: Header=BB648_215 Depth=1
	v_and_b32_e32 v58, 0x7f, v40
	v_cmp_ne_u32_e32 vcc, s19, v58
	v_mov_b32_e32 v57, 0x7f800001
	s_and_saveexec_b64 s[16:17], vcc
	s_cbranch_execz .LBB648_585
; %bb.584:                              ;   in Loop: Header=BB648_215 Depth=1
	v_and_b32_e32 v57, 7, v40
	v_ffbh_u32_e32 v60, v57
	v_min_u32_e32 v62, 32, v60
	v_subrev_u32_e32 v60, 28, v62
	v_lshlrev_b64 v[60:61], v60, v[40:41]
	v_lshrrev_b32_e32 v59, 3, v58
	v_sub_u32_e32 v40, 29, v62
	v_and_b32_e32 v60, 7, v60
	v_cmp_gt_u32_e32 vcc, 8, v58
	v_cndmask_b32_e32 v40, v59, v40, vcc
	v_cndmask_b32_e32 v57, v57, v60, vcc
	v_lshlrev_b32_e32 v58, 16, v38
	v_lshlrev_b32_e32 v57, 20, v57
	v_and_b32_e32 v58, 0x80000000, v58
	v_lshl_add_u32 v40, v40, 23, v55
	v_or3_b32 v57, v58, v40, v57
.LBB648_585:                            ;   in Loop: Header=BB648_215 Depth=1
	s_or_b64 exec, exec, s[16:17]
.LBB648_586:                            ;   in Loop: Header=BB648_215 Depth=1
	s_or_b64 exec, exec, s[14:15]
.LBB648_587:                            ;   in Loop: Header=BB648_215 Depth=1
	s_or_b64 exec, exec, s[12:13]
	v_lshrrev_b32_e32 v40, 16, v38
	v_cmp_ne_u16_sdwa s[14:15], v40, v54 src0_sel:BYTE_0 src1_sel:DWORD
	s_and_saveexec_b64 s[12:13], s[14:15]
	s_cbranch_execz .LBB648_593
; %bb.588:                              ;   in Loop: Header=BB648_215 Depth=1
	v_cmp_ne_u16_sdwa s[16:17], v40, s9 src0_sel:BYTE_0 src1_sel:DWORD
	v_bfrev_b32_e32 v42, 1
	s_and_saveexec_b64 s[14:15], s[16:17]
	s_cbranch_execz .LBB648_592
; %bb.589:                              ;   in Loop: Header=BB648_215 Depth=1
	v_bfe_u32 v58, v38, 16, 7
	v_cmp_ne_u32_e32 vcc, s19, v58
	v_mov_b32_e32 v42, 0x7f800001
	s_and_saveexec_b64 s[16:17], vcc
	s_cbranch_execz .LBB648_591
; %bb.590:                              ;   in Loop: Header=BB648_215 Depth=1
	v_and_b32_e32 v42, 7, v40
	v_ffbh_u32_e32 v60, v42
	v_min_u32_e32 v62, 32, v60
	v_subrev_u32_e32 v60, 28, v62
	v_lshlrev_b64 v[60:61], v60, v[40:41]
	v_lshrrev_b32_e32 v59, 3, v58
	v_sub_u32_e32 v61, 29, v62
	v_and_b32_e32 v60, 7, v60
	v_cmp_gt_u32_e32 vcc, 8, v58
	v_cndmask_b32_e32 v58, v59, v61, vcc
	v_cndmask_b32_e32 v42, v42, v60, vcc
	v_lshlrev_b32_e32 v40, 24, v40
	v_lshlrev_b32_e32 v42, 20, v42
	v_and_b32_e32 v40, 0x80000000, v40
	v_lshl_add_u32 v58, v58, 23, v55
	v_or3_b32 v42, v40, v58, v42
.LBB648_591:                            ;   in Loop: Header=BB648_215 Depth=1
	s_or_b64 exec, exec, s[16:17]
.LBB648_592:                            ;   in Loop: Header=BB648_215 Depth=1
	s_or_b64 exec, exec, s[14:15]
.LBB648_593:                            ;   in Loop: Header=BB648_215 Depth=1
	s_or_b64 exec, exec, s[12:13]
	v_cmp_lt_u32_e32 vcc, s20, v38
	v_mov_b32_e32 v58, 0
	s_and_saveexec_b64 s[12:13], vcc
	s_cbranch_execz .LBB648_214
; %bb.594:                              ;   in Loop: Header=BB648_215 Depth=1
	v_lshrrev_b32_e32 v40, 24, v38
	v_cmp_ne_u32_e32 vcc, s9, v40
	v_bfrev_b32_e32 v58, 1
	s_and_saveexec_b64 s[14:15], vcc
	s_cbranch_execz .LBB648_213
; %bb.595:                              ;   in Loop: Header=BB648_215 Depth=1
	v_bfe_u32 v38, v38, 24, 7
	v_cmp_ne_u32_e32 vcc, s19, v38
	v_mov_b32_e32 v58, 0x7f800001
	s_and_saveexec_b64 s[16:17], vcc
	s_cbranch_execz .LBB648_212
; %bb.596:                              ;   in Loop: Header=BB648_215 Depth=1
	v_and_b32_e32 v60, 7, v40
	v_ffbh_u32_e32 v58, v60
	v_min_u32_e32 v62, 32, v58
	v_subrev_u32_e32 v58, 28, v62
	v_lshlrev_b64 v[58:59], v58, v[40:41]
	v_lshrrev_b32_e32 v61, 3, v38
	v_sub_u32_e32 v59, 29, v62
	v_and_b32_e32 v58, 7, v58
	v_cmp_gt_u32_e32 vcc, 8, v38
	v_cndmask_b32_e32 v38, v61, v59, vcc
	v_cndmask_b32_e32 v58, v60, v58, vcc
	v_lshlrev_b32_e32 v40, 24, v40
	v_lshlrev_b32_e32 v58, 20, v58
	v_and_b32_e32 v40, 0x80000000, v40
	v_lshl_add_u32 v38, v38, 23, v55
	v_or3_b32 v58, v40, v38, v58
	s_branch .LBB648_212
.LBB648_597:
	s_barrier
	buffer_load_dword v2, off, s[0:3], 0 offset:320
	buffer_load_dword v5, off, s[0:3], 0 offset:332
	buffer_load_dword v3, off, s[0:3], 0 offset:324
	buffer_load_dword v4, off, s[0:3], 0 offset:328
	v_cmp_gt_u32_e32 vcc, 64, v0
	s_waitcnt vmcnt(0)
	ds_write2st64_b64 v52, v[2:3], v[4:5] offset1:1
	s_waitcnt lgkmcnt(0)
	s_barrier
	s_and_saveexec_b64 s[4:5], vcc
	s_cbranch_execz .LBB648_600
; %bb.598:
	s_lshl_b32 s4, s48, 7
	s_mul_i32 s5, s18, s8
	s_mul_hi_u32 s9, s5, s4
	s_mul_i32 s8, s5, s4
	s_lshl_b64 s[8:9], s[8:9], 1
	v_lshlrev_b32_e32 v4, 6, v41
	s_add_u32 s5, s50, s8
	v_lshl_or_b32 v0, v0, 10, v4
	s_mov_b32 s7, 0
	s_addc_u32 s8, s51, s9
	s_lshl_b32 s6, s26, 7
	v_lshlrev_b32_e32 v2, 5, v1
	v_and_b32_e32 v3, 16, v43
	v_and_b32_e32 v0, 0x1a00, v0
	s_lshl_b64 s[6:7], s[6:7], 1
	v_or3_b32 v0, v0, v2, v3
	s_add_u32 s5, s5, s6
	s_addc_u32 s6, s8, s7
	ds_read_b128 v[4:7], v0 offset:128
	ds_read_b128 v[8:11], v0
	v_add_u32_e32 v14, s27, v1
	v_mov_b32_e32 v3, s6
	v_add_co_u32_e32 v2, vcc, s5, v39
	v_mad_u64_u32 v[12:13], s[6:7], v14, s4, 0
	v_addc_co_u32_e32 v3, vcc, 0, v3, vcc
	v_lshlrev_b64 v[12:13], 1, v[12:13]
	v_add_co_u32_e32 v12, vcc, v2, v12
	v_addc_co_u32_e32 v13, vcc, v3, v13, vcc
	s_waitcnt lgkmcnt(0)
	global_store_dwordx4 v[12:13], v[8:11], off
	s_nop 0
	v_add_u32_e32 v8, 4, v14
	v_mad_u64_u32 v[8:9], s[6:7], v8, s4, 0
	v_lshlrev_b64 v[8:9], 1, v[8:9]
	v_add_co_u32_e32 v8, vcc, v2, v8
	v_addc_co_u32_e32 v9, vcc, v3, v9, vcc
	v_cmp_ne_u32_e32 vcc, 3, v1
	global_store_dwordx4 v[8:9], v[4:7], off
	s_and_b64 exec, exec, vcc
	s_cbranch_execz .LBB648_600
; %bb.599:
	ds_read_b128 v[4:7], v0 offset:256
	v_add3_u32 v0, s27, v1, 8
	v_mad_u64_u32 v[0:1], s[4:5], v0, s4, 0
	v_lshlrev_b64 v[0:1], 1, v[0:1]
	v_add_co_u32_e32 v0, vcc, v2, v0
	v_addc_co_u32_e32 v1, vcc, v3, v1, vcc
	s_waitcnt lgkmcnt(0)
	global_store_dwordx4 v[0:1], v[4:7], off
.LBB648_600:
	s_endpgm
	.section	.rodata,"a",@progbits
	.p2align	6, 0x0
	.amdhsa_kernel _Z39paged_attention_ll4mi_QKV_mfma16_kernelIDF16_hLN4vllm18Fp8KVCacheDataTypeE1EDF16_Li32ELi128ELi256ELb1ELi11EL8MFMAType0EEvPKT_PKT0_S8_ifPKiSA_SA_iPKfiiiPfSD_PS3_PT2_iSC_SC_
		.amdhsa_group_segment_fixed_size 8192
		.amdhsa_private_segment_fixed_size 352
		.amdhsa_kernarg_size 400
		.amdhsa_user_sgpr_count 8
		.amdhsa_user_sgpr_private_segment_buffer 1
		.amdhsa_user_sgpr_dispatch_ptr 0
		.amdhsa_user_sgpr_queue_ptr 0
		.amdhsa_user_sgpr_kernarg_segment_ptr 1
		.amdhsa_user_sgpr_dispatch_id 0
		.amdhsa_user_sgpr_flat_scratch_init 1
		.amdhsa_user_sgpr_kernarg_preload_length 0
		.amdhsa_user_sgpr_kernarg_preload_offset 0
		.amdhsa_user_sgpr_private_segment_size 0
		.amdhsa_uses_dynamic_stack 0
		.amdhsa_system_sgpr_private_segment_wavefront_offset 1
		.amdhsa_system_sgpr_workgroup_id_x 1
		.amdhsa_system_sgpr_workgroup_id_y 1
		.amdhsa_system_sgpr_workgroup_id_z 1
		.amdhsa_system_sgpr_workgroup_info 0
		.amdhsa_system_vgpr_workitem_id 0
		.amdhsa_next_free_vgpr 80
		.amdhsa_next_free_sgpr 53
		.amdhsa_accum_offset 80
		.amdhsa_reserve_vcc 1
		.amdhsa_reserve_flat_scratch 0
		.amdhsa_float_round_mode_32 0
		.amdhsa_float_round_mode_16_64 0
		.amdhsa_float_denorm_mode_32 3
		.amdhsa_float_denorm_mode_16_64 3
		.amdhsa_dx10_clamp 1
		.amdhsa_ieee_mode 1
		.amdhsa_fp16_overflow 0
		.amdhsa_tg_split 0
		.amdhsa_exception_fp_ieee_invalid_op 0
		.amdhsa_exception_fp_denorm_src 0
		.amdhsa_exception_fp_ieee_div_zero 0
		.amdhsa_exception_fp_ieee_overflow 0
		.amdhsa_exception_fp_ieee_underflow 0
		.amdhsa_exception_fp_ieee_inexact 0
		.amdhsa_exception_int_div_zero 0
	.end_amdhsa_kernel
	.section	.text._Z39paged_attention_ll4mi_QKV_mfma16_kernelIDF16_hLN4vllm18Fp8KVCacheDataTypeE1EDF16_Li32ELi128ELi256ELb1ELi11EL8MFMAType0EEvPKT_PKT0_S8_ifPKiSA_SA_iPKfiiiPfSD_PS3_PT2_iSC_SC_,"axG",@progbits,_Z39paged_attention_ll4mi_QKV_mfma16_kernelIDF16_hLN4vllm18Fp8KVCacheDataTypeE1EDF16_Li32ELi128ELi256ELb1ELi11EL8MFMAType0EEvPKT_PKT0_S8_ifPKiSA_SA_iPKfiiiPfSD_PS3_PT2_iSC_SC_,comdat
.Lfunc_end648:
	.size	_Z39paged_attention_ll4mi_QKV_mfma16_kernelIDF16_hLN4vllm18Fp8KVCacheDataTypeE1EDF16_Li32ELi128ELi256ELb1ELi11EL8MFMAType0EEvPKT_PKT0_S8_ifPKiSA_SA_iPKfiiiPfSD_PS3_PT2_iSC_SC_, .Lfunc_end648-_Z39paged_attention_ll4mi_QKV_mfma16_kernelIDF16_hLN4vllm18Fp8KVCacheDataTypeE1EDF16_Li32ELi128ELi256ELb1ELi11EL8MFMAType0EEvPKT_PKT0_S8_ifPKiSA_SA_iPKfiiiPfSD_PS3_PT2_iSC_SC_
                                        ; -- End function
	.section	.AMDGPU.csdata,"",@progbits
; Kernel info:
; codeLenInByte = 21528
; NumSgprs: 57
; NumVgprs: 80
; NumAgprs: 0
; TotalNumVgprs: 80
; ScratchSize: 352
; MemoryBound: 0
; FloatMode: 240
; IeeeMode: 1
; LDSByteSize: 8192 bytes/workgroup (compile time only)
; SGPRBlocks: 7
; VGPRBlocks: 9
; NumSGPRsForWavesPerEU: 57
; NumVGPRsForWavesPerEU: 80
; AccumOffset: 80
; Occupancy: 6
; WaveLimiterHint : 1
; COMPUTE_PGM_RSRC2:SCRATCH_EN: 1
; COMPUTE_PGM_RSRC2:USER_SGPR: 8
; COMPUTE_PGM_RSRC2:TRAP_HANDLER: 0
; COMPUTE_PGM_RSRC2:TGID_X_EN: 1
; COMPUTE_PGM_RSRC2:TGID_Y_EN: 1
; COMPUTE_PGM_RSRC2:TGID_Z_EN: 1
; COMPUTE_PGM_RSRC2:TIDIG_COMP_CNT: 0
; COMPUTE_PGM_RSRC3_GFX90A:ACCUM_OFFSET: 19
; COMPUTE_PGM_RSRC3_GFX90A:TG_SPLIT: 0
	.section	.text._Z39paged_attention_ll4mi_QKV_mfma16_kernelIDF16_hLN4vllm18Fp8KVCacheDataTypeE1EDF16_Li32ELi128ELi256ELb1ELi12EL8MFMAType0EEvPKT_PKT0_S8_ifPKiSA_SA_iPKfiiiPfSD_PS3_PT2_iSC_SC_,"axG",@progbits,_Z39paged_attention_ll4mi_QKV_mfma16_kernelIDF16_hLN4vllm18Fp8KVCacheDataTypeE1EDF16_Li32ELi128ELi256ELb1ELi12EL8MFMAType0EEvPKT_PKT0_S8_ifPKiSA_SA_iPKfiiiPfSD_PS3_PT2_iSC_SC_,comdat
	.protected	_Z39paged_attention_ll4mi_QKV_mfma16_kernelIDF16_hLN4vllm18Fp8KVCacheDataTypeE1EDF16_Li32ELi128ELi256ELb1ELi12EL8MFMAType0EEvPKT_PKT0_S8_ifPKiSA_SA_iPKfiiiPfSD_PS3_PT2_iSC_SC_ ; -- Begin function _Z39paged_attention_ll4mi_QKV_mfma16_kernelIDF16_hLN4vllm18Fp8KVCacheDataTypeE1EDF16_Li32ELi128ELi256ELb1ELi12EL8MFMAType0EEvPKT_PKT0_S8_ifPKiSA_SA_iPKfiiiPfSD_PS3_PT2_iSC_SC_
	.globl	_Z39paged_attention_ll4mi_QKV_mfma16_kernelIDF16_hLN4vllm18Fp8KVCacheDataTypeE1EDF16_Li32ELi128ELi256ELb1ELi12EL8MFMAType0EEvPKT_PKT0_S8_ifPKiSA_SA_iPKfiiiPfSD_PS3_PT2_iSC_SC_
	.p2align	8
	.type	_Z39paged_attention_ll4mi_QKV_mfma16_kernelIDF16_hLN4vllm18Fp8KVCacheDataTypeE1EDF16_Li32ELi128ELi256ELb1ELi12EL8MFMAType0EEvPKT_PKT0_S8_ifPKiSA_SA_iPKfiiiPfSD_PS3_PT2_iSC_SC_,@function
_Z39paged_attention_ll4mi_QKV_mfma16_kernelIDF16_hLN4vllm18Fp8KVCacheDataTypeE1EDF16_Li32ELi128ELi256ELb1ELi12EL8MFMAType0EEvPKT_PKT0_S8_ifPKiSA_SA_iPKfiiiPfSD_PS3_PT2_iSC_SC_: ; @_Z39paged_attention_ll4mi_QKV_mfma16_kernelIDF16_hLN4vllm18Fp8KVCacheDataTypeE1EDF16_Li32ELi128ELi256ELb1ELi12EL8MFMAType0EEvPKT_PKT0_S8_ifPKiSA_SA_iPKfiiiPfSD_PS3_PT2_iSC_SC_
; %bb.0:
	s_load_dwordx2 s[6:7], s[4:5], 0x30
	s_add_u32 s0, s0, s11
	s_addc_u32 s1, s1, 0
	s_mov_b32 s26, s9
	s_mov_b64 s[14:15], 0
	s_waitcnt lgkmcnt(0)
	s_cmp_lg_u64 s[6:7], 0
	s_cselect_b64 s[12:13], -1, 0
	s_and_b64 vcc, exec, s[12:13]
	s_cbranch_vccz .LBB649_7
; %bb.1:
	s_add_i32 s16, s8, 1
	s_mov_b32 s17, 0
	s_lshl_b64 s[18:19], s[16:17], 2
	s_add_u32 s18, s6, s18
	s_mov_b32 s9, s17
	s_addc_u32 s19, s7, s19
	s_lshl_b64 s[16:17], s[8:9], 2
	s_add_u32 s16, s6, s16
	s_addc_u32 s17, s7, s17
	s_load_dword s11, s[18:19], 0x0
	s_load_dword s20, s[16:17], 0x0
	s_waitcnt lgkmcnt(0)
	s_sub_i32 s11, s11, s20
	s_cmp_eq_u32 s11, 1
	s_cselect_b64 s[16:17], -1, 0
	s_andn2_b64 vcc, exec, s[14:15]
	s_cbranch_vccnz .LBB649_3
.LBB649_2:
	s_mov_b32 s9, 0
	s_mov_b64 s[16:17], -1
.LBB649_3:
	s_andn2_b64 vcc, exec, s[16:17]
	s_cbranch_vccnz .LBB649_599
; %bb.4:
	s_load_dwordx2 s[16:17], s[4:5], 0x28
	s_lshl_b64 s[14:15], s[8:9], 2
	s_waitcnt lgkmcnt(0)
	s_add_u32 s16, s16, s14
	s_addc_u32 s17, s17, s15
	s_load_dword s33, s[16:17], 0x0
	s_lshl_b32 s20, s26, 8
	s_waitcnt lgkmcnt(0)
	s_cmp_ge_i32 s20, s33
	s_cbranch_scc1 .LBB649_599
; %bb.5:
	s_add_i32 s18, s33, 31
	s_load_dwordx2 s[16:17], s[4:5], 0x20
	s_load_dword s11, s[4:5], 0x38
	s_ashr_i32 s19, s18, 31
	v_and_b32_e32 v1, 0xcf, v0
	s_lshr_b32 s19, s19, 27
	v_add_u32_e32 v1, s20, v1
	s_add_i32 s18, s18, s19
	v_ashrrev_i32_e32 v2, 31, v1
	s_ashr_i32 s23, s18, 5
	v_lshrrev_b32_e32 v4, 27, v2
	s_add_i32 s23, s23, -1
	v_add_u32_e32 v2, v1, v4
	s_waitcnt lgkmcnt(0)
	s_mul_i32 s18, s8, s11
	s_mov_b32 s19, 0
	v_ashrrev_i32_e32 v2, 5, v2
	v_mov_b32_e32 v5, s23
	v_cmp_gt_i32_e32 vcc, s33, v1
	s_lshl_b64 s[18:19], s[18:19], 2
	v_cndmask_b32_e32 v2, v5, v2, vcc
	s_add_u32 s21, s16, s18
	v_ashrrev_i32_e32 v3, 31, v2
	s_addc_u32 s22, s17, s19
	v_lshlrev_b64 v[2:3], 2, v[2:3]
	v_mov_b32_e32 v7, s22
	v_add_co_u32_e32 v6, vcc, s21, v2
	v_or_b32_e32 v2, 16, v1
	v_addc_co_u32_e32 v7, vcc, v7, v3, vcc
	v_add_u32_e32 v3, v2, v4
	v_ashrrev_i32_e32 v3, 5, v3
	v_cmp_gt_i32_e32 vcc, s33, v2
	v_cndmask_b32_e32 v2, v5, v3, vcc
	v_ashrrev_i32_e32 v3, 31, v2
	v_lshlrev_b64 v[2:3], 2, v[2:3]
	v_mov_b32_e32 v9, s22
	v_add_co_u32_e32 v8, vcc, s21, v2
	v_or_b32_e32 v2, 32, v1
	v_addc_co_u32_e32 v9, vcc, v9, v3, vcc
	v_add_u32_e32 v3, v2, v4
	v_ashrrev_i32_e32 v3, 5, v3
	v_cmp_gt_i32_e32 vcc, s33, v2
	v_cndmask_b32_e32 v2, v5, v3, vcc
	v_ashrrev_i32_e32 v3, 31, v2
	;; [unrolled: 10-line block ×3, first 2 shown]
	v_lshlrev_b64 v[2:3], 2, v[2:3]
	v_mov_b32_e32 v1, s22
	v_add_co_u32_e32 v12, vcc, s21, v2
	v_addc_co_u32_e32 v13, vcc, v1, v3, vcc
	global_load_dword v5, v[6:7], off
	global_load_dword v4, v[8:9], off
	;; [unrolled: 1-line block ×4, first 2 shown]
	s_load_dwordx2 s[16:17], s[4:5], 0x8
	s_andn2_b64 vcc, exec, s[12:13]
	s_cbranch_vccnz .LBB649_8
; %bb.6:
	s_add_u32 s6, s6, s14
	s_addc_u32 s7, s7, s15
	s_load_dword s11, s[6:7], 0x0
	s_branch .LBB649_9
.LBB649_7:
	s_mov_b64 s[16:17], 0
	s_branch .LBB649_2
.LBB649_8:
	s_mov_b32 s11, s8
.LBB649_9:
	s_load_dwordx2 s[6:7], s[4:5], 0x10
	s_load_dwordx4 s[12:15], s[4:5], 0x48
	v_and_b32_e32 v41, 15, v0
	v_lshlrev_b32_e32 v6, 3, v41
	s_waitcnt lgkmcnt(0)
	s_movk_i32 s15, 0xc0
	v_lshrrev_b32_e32 v27, 6, v0
	v_bfe_u32 v1, v0, 4, 2
	s_mul_i32 s27, s10, 12
	v_cmp_gt_u32_e32 vcc, s15, v0
	v_lshlrev_b32_e32 v39, 1, v6
	v_lshlrev_b32_e32 v43, 4, v0
	s_and_saveexec_b64 s[18:19], vcc
	s_cbranch_execz .LBB649_11
; %bb.10:
	s_load_dwordx2 s[24:25], s[4:5], 0x0
	s_ashr_i32 s15, s12, 31
	s_mul_hi_u32 s28, s11, s12
	s_mul_i32 s15, s11, s15
	v_lshl_or_b32 v10, v27, 2, v1
	s_add_i32 s29, s28, s15
	s_mul_i32 s28, s11, s12
	s_lshl_b64 s[28:29], s[28:29], 1
	v_add_lshl_u32 v6, v10, s27, 7
	s_waitcnt lgkmcnt(0)
	s_add_u32 s11, s24, s28
	v_ashrrev_i32_e32 v7, 31, v6
	s_addc_u32 s12, s25, s29
	v_lshlrev_b64 v[6:7], 1, v[6:7]
	v_mov_b32_e32 v8, s12
	v_add_co_u32_e32 v6, vcc, s11, v6
	v_addc_co_u32_e32 v7, vcc, v8, v7, vcc
	v_add_co_u32_e32 v6, vcc, v6, v39
	v_addc_co_u32_e32 v7, vcc, 0, v7, vcc
	global_load_dwordx4 v[6:9], v[6:7], off
	v_lshlrev_b32_e32 v12, 8, v0
	v_lshlrev_b32_e32 v11, 8, v41
	v_and_b32_e32 v12, 0x600, v12
	s_movk_i32 s11, 0x800
	v_and_or_b32 v11, v11, s11, v12
	v_lshlrev_b32_e32 v10, 5, v10
	v_and_b32_e32 v12, 16, v43
	v_or3_b32 v10, v11, v10, v12
	s_waitcnt vmcnt(0)
	ds_write_b128 v10, v[6:9]
.LBB649_11:
	s_or_b64 exec, exec, s[18:19]
	s_mul_i32 s14, s10, s14
	s_add_u32 s10, s16, s14
	s_addc_u32 s11, s17, 0
	v_pk_mov_b32 v[6:7], s[10:11], s[10:11] op_sel:[0,1]
	s_waitcnt vmcnt(3)
	v_mad_i64_i32 v[8:9], s[10:11], v5, s13, v[6:7]
	v_lshlrev_b32_e32 v11, 4, v41
	v_and_b32_e32 v18, 48, v0
	v_add_co_u32_e32 v5, vcc, v8, v11
	v_lshlrev_b32_e32 v10, 5, v18
	v_addc_co_u32_e32 v9, vcc, 0, v9, vcc
	v_add_co_u32_e32 v8, vcc, v5, v10
	v_addc_co_u32_e32 v9, vcc, 0, v9, vcc
	s_load_dwordx2 s[48:49], s[4:5], 0x94
	s_waitcnt lgkmcnt(0)
	s_barrier
	global_load_dwordx4 v[20:23], v[8:9], off
	global_load_dwordx4 v[28:31], v[8:9], off offset:2048
	s_waitcnt vmcnt(4)
	v_mad_i64_i32 v[4:5], s[10:11], v4, s13, v[6:7]
	v_or_b32_e32 v8, 0x100, v11
	v_add_co_u32_e32 v4, vcc, v4, v8
	v_addc_co_u32_e32 v5, vcc, 0, v5, vcc
	v_add_co_u32_e32 v4, vcc, v4, v10
	v_addc_co_u32_e32 v5, vcc, 0, v5, vcc
	global_load_dwordx4 v[32:35], v[4:5], off
	global_load_dwordx4 v[44:47], v[4:5], off offset:2048
	s_waitcnt vmcnt(5)
	v_mad_i64_i32 v[4:5], s[10:11], v3, s13, v[6:7]
	v_add_co_u32_e32 v3, vcc, v4, v11
	v_addc_co_u32_e32 v5, vcc, 0, v5, vcc
	v_add_co_u32_e32 v4, vcc, v3, v10
	v_addc_co_u32_e32 v5, vcc, 0, v5, vcc
	s_waitcnt vmcnt(4)
	v_mad_i64_i32 v[2:3], s[10:11], v2, s13, v[6:7]
	v_add_co_u32_e32 v2, vcc, v2, v8
	v_addc_co_u32_e32 v3, vcc, 0, v3, vcc
	v_add_co_u32_e32 v2, vcc, v2, v10
	v_addc_co_u32_e32 v3, vcc, 0, v3, vcc
	global_load_dwordx4 v[48:51], v[4:5], off
	global_load_dwordx4 v[52:55], v[4:5], off offset:2048
	global_load_dwordx4 v[56:59], v[2:3], off
	global_load_dwordx4 v[60:63], v[2:3], off offset:2048
	v_add_u32_e32 v2, -12, v41
	v_cmp_gt_u32_e32 vcc, 12, v41
	v_cndmask_b32_e32 v2, v2, v41, vcc
	v_lshlrev_b32_e32 v2, 5, v2
	v_lshl_add_u32 v14, v1, 9, v2
	s_load_dwordx2 s[50:51], s[4:5], 0x68
	s_load_dwordx4 s[44:47], s[4:5], 0x58
	ds_read_b128 v[2:5], v14
	ds_read_b128 v[6:9], v14 offset:16
	ds_read_b128 v[10:13], v14 offset:2048
	;; [unrolled: 1-line block ×3, first 2 shown]
	s_mov_b32 s12, 0
	s_waitcnt vmcnt(7)
	buffer_store_dword v23, off, s[0:3], 0 offset:12
	buffer_store_dword v22, off, s[0:3], 0 offset:8
	;; [unrolled: 1-line block ×3, first 2 shown]
	buffer_store_dword v20, off, s[0:3], 0
	s_waitcnt vmcnt(10)
	buffer_store_dword v31, off, s[0:3], 0 offset:28
	buffer_store_dword v30, off, s[0:3], 0 offset:24
	buffer_store_dword v29, off, s[0:3], 0 offset:20
	buffer_store_dword v28, off, s[0:3], 0 offset:16
	s_waitcnt vmcnt(13)
	buffer_store_dword v35, off, s[0:3], 0 offset:44
	buffer_store_dword v34, off, s[0:3], 0 offset:40
	buffer_store_dword v33, off, s[0:3], 0 offset:36
	buffer_store_dword v32, off, s[0:3], 0 offset:32
	;; [unrolled: 5-line block ×7, first 2 shown]
	v_mov_b32_e32 v35, 0
	v_mov_b32_e32 v31, 0
	s_and_saveexec_b64 s[10:11], vcc
	s_cbranch_execz .LBB649_13
; %bb.12:
	s_load_dwordx2 s[16:17], s[4:5], 0x40
	v_add_u32_e32 v20, s27, v41
	v_ashrrev_i32_e32 v21, 31, v20
	v_lshlrev_b64 v[20:21], 2, v[20:21]
	s_waitcnt lgkmcnt(0)
	v_mov_b32_e32 v19, s17
	v_add_co_u32_e32 v20, vcc, s16, v20
	v_addc_co_u32_e32 v21, vcc, v19, v21, vcc
	global_load_dword v31, v[20:21], off
.LBB649_13:
	s_or_b64 exec, exec, s[10:11]
	s_ashr_i32 s10, s20, 31
	v_or_b32_e32 v24, s20, v18
	s_lshr_b32 s10, s10, 27
	v_add_u32_e32 v18, s10, v24
	v_ashrrev_i32_e32 v18, 5, v18
	v_mov_b32_e32 v25, s23
	v_cmp_gt_i32_e32 vcc, s33, v24
	v_cndmask_b32_e32 v18, v25, v18, vcc
	v_ashrrev_i32_e32 v19, 31, v18
	v_lshlrev_b64 v[18:19], 2, v[18:19]
	v_mov_b32_e32 v20, s22
	v_add_co_u32_e32 v18, vcc, s21, v18
	v_addc_co_u32_e32 v19, vcc, v20, v19, vcc
	v_or_b32_e32 v20, 64, v24
	v_add_u32_e32 v21, s10, v20
	v_ashrrev_i32_e32 v21, 5, v21
	v_cmp_gt_i32_e32 vcc, s33, v20
	v_cndmask_b32_e32 v20, v25, v21, vcc
	v_ashrrev_i32_e32 v21, 31, v20
	v_lshlrev_b64 v[20:21], 2, v[20:21]
	v_mov_b32_e32 v22, s22
	v_add_co_u32_e32 v20, vcc, s21, v20
	v_addc_co_u32_e32 v21, vcc, v22, v21, vcc
	v_or_b32_e32 v22, 0x80, v24
	v_add_u32_e32 v23, s10, v22
	v_ashrrev_i32_e32 v23, 5, v23
	v_cmp_gt_i32_e32 vcc, s33, v22
	v_cndmask_b32_e32 v22, v25, v23, vcc
	v_ashrrev_i32_e32 v23, 31, v22
	v_lshlrev_b64 v[22:23], 2, v[22:23]
	v_mov_b32_e32 v26, s22
	v_add_co_u32_e32 v22, vcc, s21, v22
	v_addc_co_u32_e32 v23, vcc, v26, v23, vcc
	global_load_dword v26, v[18:19], off
	global_load_dword v28, v[20:21], off
	;; [unrolled: 1-line block ×3, first 2 shown]
	v_or_b32_e32 v18, 0xc0, v24
	v_add_u32_e32 v19, s10, v18
	v_ashrrev_i32_e32 v19, 5, v19
	v_cmp_gt_i32_e32 vcc, s33, v18
	v_cndmask_b32_e32 v18, v25, v19, vcc
	v_ashrrev_i32_e32 v19, 31, v18
	v_lshlrev_b64 v[18:19], 2, v[18:19]
	v_mov_b32_e32 v20, s22
	v_add_co_u32_e32 v18, vcc, s21, v18
	v_addc_co_u32_e32 v19, vcc, v20, v19, vcc
	global_load_dword v32, v[18:19], off
	s_add_u32 s6, s6, s14
	v_and_b32_e32 v18, 16, v0
	s_addc_u32 s7, s7, 0
	v_lshl_or_b32 v29, v27, 4, v41
	v_mov_b32_e32 v20, s7
	v_add_co_u32_e32 v34, vcc, s6, v18
	v_lshlrev_b32_e32 v19, 5, v29
	v_addc_co_u32_e32 v36, vcc, 0, v20, vcc
	v_add_co_u32_e32 v22, vcc, v34, v19
	v_addc_co_u32_e32 v23, vcc, 0, v36, vcc
	v_or_b32_e32 v33, 0x800, v19
	s_movk_i32 s14, 0x7f
	s_mov_b32 s15, 0xffffff
	v_mov_b32_e32 v37, 0x100
	v_bfrev_b32_e32 v38, 60
	s_waitcnt vmcnt(3)
	v_mad_i64_i32 v[18:19], s[6:7], v26, s13, v[22:23]
	s_waitcnt vmcnt(2)
	v_mad_i64_i32 v[24:25], s[6:7], v28, s13, v[22:23]
	global_load_dwordx4 v[18:21], v[18:19], off
	s_nop 0
	global_load_dwordx4 v[52:55], v[24:25], off
	s_waitcnt vmcnt(3)
	v_mad_i64_i32 v[24:25], s[6:7], v30, s13, v[22:23]
	s_waitcnt vmcnt(2)
	v_mad_i64_i32 v[22:23], s[6:7], v32, s13, v[22:23]
	global_load_dwordx4 v[56:59], v[24:25], off
	global_load_dwordx4 v[60:63], v[22:23], off
	v_add_co_u32_e32 v22, vcc, v34, v33
	v_addc_co_u32_e32 v23, vcc, 0, v36, vcc
	v_mad_i64_i32 v[24:25], s[6:7], v26, s13, v[22:23]
	global_load_dwordx4 v[64:67], v[24:25], off
	v_mad_i64_i32 v[24:25], s[6:7], v28, s13, v[22:23]
	global_load_dwordx4 v[68:71], v[24:25], off
	;; [unrolled: 2-line block ×4, first 2 shown]
	s_load_dword s6, s[4:5], 0x1c
	s_load_dwordx4 s[40:43], s[4:5], 0x80
	v_mov_b32_e32 v22, 0x80
	v_add_u32_e32 v45, 16, v22
	v_add_u32_e32 v46, 32, v22
	;; [unrolled: 1-line block ×3, first 2 shown]
	s_waitcnt lgkmcnt(0)
	s_load_dword s4, s[40:41], 0x0
	v_add_u32_e32 v51, 64, v22
	v_add_u32_e32 v48, 0x50, v22
	;; [unrolled: 1-line block ×4, first 2 shown]
	v_mov_b32_e32 v22, s6
	s_waitcnt lgkmcnt(0)
	v_mul_f32_e32 v22, s4, v22
	v_and_b32_e32 v33, 63, v0
	s_movk_i32 s13, 0x80
	v_mov_b32_e32 v36, 0
	v_mov_b32_e32 v24, v22
	v_mov_b32_e32 v25, v22
	s_waitcnt vmcnt(7)
	buffer_store_dword v21, off, s[0:3], 0 offset:140
	buffer_store_dword v20, off, s[0:3], 0 offset:136
	buffer_store_dword v19, off, s[0:3], 0 offset:132
	buffer_store_dword v18, off, s[0:3], 0 offset:128
	s_waitcnt vmcnt(10)
	buffer_store_dword v55, off, s[0:3], 0 offset:172
	buffer_store_dword v54, off, s[0:3], 0 offset:168
	buffer_store_dword v53, off, s[0:3], 0 offset:164
	buffer_store_dword v52, off, s[0:3], 0 offset:160
	;; [unrolled: 5-line block ×8, first 2 shown]
	s_branch .LBB649_17
.LBB649_14:                             ;   in Loop: Header=BB649_17 Depth=1
	s_or_b64 exec, exec, s[10:11]
.LBB649_15:                             ;   in Loop: Header=BB649_17 Depth=1
	s_or_b64 exec, exec, s[6:7]
.LBB649_16:                             ;   in Loop: Header=BB649_17 Depth=1
	s_or_b64 exec, exec, s[4:5]
	v_cvt_pkrtz_f16_f32 v54, v34, v32
	v_cvt_pkrtz_f16_f32 v55, v23, v42
	v_add_u32_e32 v26, s12, v37
	s_add_i32 s12, s12, 16
	v_mov_b32_e32 v23, v22
	v_mfma_f32_16x16x16f16 v[18:21], v[54:55], v[14:15], v[18:21]
	v_cvt_pkrtz_f16_f32 v54, v40, v44
	v_cvt_pkrtz_f16_f32 v55, v30, v52
	s_cmp_eq_u32 s12, 64
	v_add_u32_e32 v36, 32, v36
	v_mfma_f32_16x16x16f16 v[18:21], v[54:55], v[16:17], v[18:21]
	s_nop 7
	s_nop 2
	v_pk_mul_f32 v[18:19], v[24:25], v[18:19]
	v_pk_mul_f32 v[20:21], v[22:23], v[20:21]
	buffer_store_dword v19, v26, s[0:3], 0 offen offset:4
	buffer_store_dword v18, v26, s[0:3], 0 offen
	buffer_store_dword v21, v26, s[0:3], 0 offen offset:12
	buffer_store_dword v20, v26, s[0:3], 0 offen offset:8
	s_cbranch_scc1 .LBB649_207
.LBB649_17:                             ; =>This Inner Loop Header: Depth=1
	buffer_load_dword v20, v36, s[0:3], 0 offen
	buffer_load_dword v18, v36, s[0:3], 0 offen offset:4
	buffer_load_dword v28, v36, s[0:3], 0 offen offset:8
	;; [unrolled: 1-line block ×3, first 2 shown]
	v_mov_b32_e32 v19, 0
	v_mov_b32_e32 v21, 0
	s_waitcnt vmcnt(3)
	v_cmp_ne_u16_sdwa s[6:7], v20, v35 src0_sel:BYTE_0 src1_sel:DWORD
	s_and_saveexec_b64 s[4:5], s[6:7]
	s_cbranch_execz .LBB649_23
; %bb.18:                               ;   in Loop: Header=BB649_17 Depth=1
	v_cmp_ne_u16_sdwa s[10:11], v20, s13 src0_sel:BYTE_0 src1_sel:DWORD
	v_bfrev_b32_e32 v21, 1
	s_and_saveexec_b64 s[6:7], s[10:11]
	s_cbranch_execz .LBB649_22
; %bb.19:                               ;   in Loop: Header=BB649_17 Depth=1
	v_and_b32_e32 v23, 0x7f, v20
	v_cmp_ne_u32_e32 vcc, s14, v23
	v_mov_b32_e32 v21, 0x7f800001
	s_and_saveexec_b64 s[10:11], vcc
	s_cbranch_execz .LBB649_21
; %bb.20:                               ;   in Loop: Header=BB649_17 Depth=1
	v_and_b32_e32 v21, 7, v20
	v_ffbh_u32_e32 v32, v21
	v_min_u32_e32 v32, 32, v32
	v_subrev_u32_e32 v34, 28, v32
	v_lshlrev_b64 v[52:53], v34, v[20:21]
	v_lshrrev_b32_e32 v30, 3, v23
	v_sub_u32_e32 v32, 29, v32
	v_and_b32_e32 v34, 7, v52
	v_cmp_gt_u32_e32 vcc, 8, v23
	v_cndmask_b32_e32 v23, v30, v32, vcc
	v_cndmask_b32_e32 v21, v21, v34, vcc
	v_lshlrev_b32_e32 v30, 24, v20
	v_lshlrev_b32_e32 v21, 20, v21
	v_and_b32_e32 v30, 0x80000000, v30
	v_lshl_add_u32 v23, v23, 23, v38
	v_or3_b32 v21, v30, v23, v21
.LBB649_21:                             ;   in Loop: Header=BB649_17 Depth=1
	s_or_b64 exec, exec, s[10:11]
.LBB649_22:                             ;   in Loop: Header=BB649_17 Depth=1
	s_or_b64 exec, exec, s[6:7]
.LBB649_23:                             ;   in Loop: Header=BB649_17 Depth=1
	s_or_b64 exec, exec, s[4:5]
	v_lshrrev_b16_e32 v30, 8, v20
	v_cmp_ne_u16_e32 vcc, 0, v30
	s_and_saveexec_b64 s[4:5], vcc
	s_cbranch_execz .LBB649_29
; %bb.24:                               ;   in Loop: Header=BB649_17 Depth=1
	v_cmp_ne_u16_e32 vcc, s13, v30
	v_bfrev_b32_e32 v19, 1
	s_and_saveexec_b64 s[6:7], vcc
	s_cbranch_execz .LBB649_28
; %bb.25:                               ;   in Loop: Header=BB649_17 Depth=1
	v_and_b32_e32 v23, 0x7f, v30
	v_cmp_ne_u32_e32 vcc, s14, v23
	v_mov_b32_e32 v19, 0x7f800001
	s_and_saveexec_b64 s[10:11], vcc
	s_cbranch_execz .LBB649_27
; %bb.26:                               ;   in Loop: Header=BB649_17 Depth=1
	v_and_b32_e32 v19, 7, v30
	v_ffbh_u32_e32 v34, v19
	v_min_u32_e32 v34, 32, v34
	v_subrev_u32_e32 v40, 28, v34
	v_lshlrev_b64 v[52:53], v40, v[30:31]
	v_lshrrev_b32_e32 v32, 3, v23
	v_sub_u32_e32 v30, 29, v34
	v_and_b32_e32 v34, 7, v52
	v_cmp_gt_u32_e32 vcc, 8, v23
	v_cndmask_b32_e32 v23, v32, v30, vcc
	v_cndmask_b32_e32 v19, v19, v34, vcc
	v_lshlrev_b32_e32 v30, 16, v20
	v_lshlrev_b32_e32 v19, 20, v19
	v_and_b32_e32 v30, 0x80000000, v30
	v_lshl_add_u32 v23, v23, 23, v38
	v_or3_b32 v19, v30, v23, v19
.LBB649_27:                             ;   in Loop: Header=BB649_17 Depth=1
	s_or_b64 exec, exec, s[10:11]
.LBB649_28:                             ;   in Loop: Header=BB649_17 Depth=1
	s_or_b64 exec, exec, s[6:7]
.LBB649_29:                             ;   in Loop: Header=BB649_17 Depth=1
	s_or_b64 exec, exec, s[4:5]
	v_lshrrev_b32_e32 v30, 16, v20
	v_cmp_ne_u16_sdwa s[6:7], v30, v35 src0_sel:BYTE_0 src1_sel:DWORD
	v_mov_b32_e32 v32, 0
	v_mov_b32_e32 v23, 0
	s_and_saveexec_b64 s[4:5], s[6:7]
	s_cbranch_execz .LBB649_35
; %bb.30:                               ;   in Loop: Header=BB649_17 Depth=1
	v_cmp_ne_u16_sdwa s[10:11], v30, s13 src0_sel:BYTE_0 src1_sel:DWORD
	v_bfrev_b32_e32 v23, 1
	s_and_saveexec_b64 s[6:7], s[10:11]
	s_cbranch_execz .LBB649_34
; %bb.31:                               ;   in Loop: Header=BB649_17 Depth=1
	v_bfe_u32 v34, v20, 16, 7
	v_cmp_ne_u32_e32 vcc, s14, v34
	v_mov_b32_e32 v23, 0x7f800001
	s_and_saveexec_b64 s[10:11], vcc
	s_cbranch_execz .LBB649_33
; %bb.32:                               ;   in Loop: Header=BB649_17 Depth=1
	v_and_b32_e32 v23, 7, v30
	v_ffbh_u32_e32 v42, v23
	v_min_u32_e32 v42, 32, v42
	v_subrev_u32_e32 v44, 28, v42
	v_lshlrev_b64 v[52:53], v44, v[30:31]
	v_lshrrev_b32_e32 v40, 3, v34
	v_sub_u32_e32 v42, 29, v42
	v_and_b32_e32 v44, 7, v52
	v_cmp_gt_u32_e32 vcc, 8, v34
	v_cndmask_b32_e32 v34, v40, v42, vcc
	v_cndmask_b32_e32 v23, v23, v44, vcc
	v_lshlrev_b32_e32 v30, 24, v30
	v_lshlrev_b32_e32 v23, 20, v23
	v_and_b32_e32 v30, 0x80000000, v30
	v_lshl_add_u32 v34, v34, 23, v38
	v_or3_b32 v23, v30, v34, v23
.LBB649_33:                             ;   in Loop: Header=BB649_17 Depth=1
	s_or_b64 exec, exec, s[10:11]
.LBB649_34:                             ;   in Loop: Header=BB649_17 Depth=1
	s_or_b64 exec, exec, s[6:7]
.LBB649_35:                             ;   in Loop: Header=BB649_17 Depth=1
	s_or_b64 exec, exec, s[4:5]
	v_cmp_lt_u32_e32 vcc, s15, v20
	s_and_saveexec_b64 s[4:5], vcc
	s_cbranch_execz .LBB649_41
; %bb.36:                               ;   in Loop: Header=BB649_17 Depth=1
	v_lshrrev_b32_e32 v30, 24, v20
	v_cmp_ne_u32_e32 vcc, s13, v30
	v_bfrev_b32_e32 v32, 1
	s_and_saveexec_b64 s[6:7], vcc
	s_cbranch_execz .LBB649_40
; %bb.37:                               ;   in Loop: Header=BB649_17 Depth=1
	v_bfe_u32 v20, v20, 24, 7
	v_cmp_ne_u32_e32 vcc, s14, v20
	v_mov_b32_e32 v32, 0x7f800001
	s_and_saveexec_b64 s[10:11], vcc
	s_cbranch_execz .LBB649_39
; %bb.38:                               ;   in Loop: Header=BB649_17 Depth=1
	v_and_b32_e32 v32, 7, v30
	v_ffbh_u32_e32 v40, v32
	v_min_u32_e32 v40, 32, v40
	v_subrev_u32_e32 v42, 28, v40
	v_lshlrev_b64 v[52:53], v42, v[30:31]
	v_lshrrev_b32_e32 v34, 3, v20
	v_sub_u32_e32 v40, 29, v40
	v_and_b32_e32 v42, 7, v52
	v_cmp_gt_u32_e32 vcc, 8, v20
	v_cndmask_b32_e32 v20, v34, v40, vcc
	v_cndmask_b32_e32 v32, v32, v42, vcc
	v_lshlrev_b32_e32 v30, 24, v30
	v_lshlrev_b32_e32 v32, 20, v32
	v_and_b32_e32 v30, 0x80000000, v30
	v_lshl_add_u32 v20, v20, 23, v38
	v_or3_b32 v32, v30, v20, v32
.LBB649_39:                             ;   in Loop: Header=BB649_17 Depth=1
	s_or_b64 exec, exec, s[10:11]
.LBB649_40:                             ;   in Loop: Header=BB649_17 Depth=1
	s_or_b64 exec, exec, s[6:7]
.LBB649_41:                             ;   in Loop: Header=BB649_17 Depth=1
	s_or_b64 exec, exec, s[4:5]
	s_waitcnt vmcnt(2)
	v_cmp_ne_u16_sdwa s[6:7], v18, v35 src0_sel:BYTE_0 src1_sel:DWORD
	v_mov_b32_e32 v30, 0
	v_mov_b32_e32 v34, 0
	s_and_saveexec_b64 s[4:5], s[6:7]
	s_cbranch_execz .LBB649_47
; %bb.42:                               ;   in Loop: Header=BB649_17 Depth=1
	v_cmp_ne_u16_sdwa s[10:11], v18, s13 src0_sel:BYTE_0 src1_sel:DWORD
	v_bfrev_b32_e32 v34, 1
	s_and_saveexec_b64 s[6:7], s[10:11]
	s_cbranch_execz .LBB649_46
; %bb.43:                               ;   in Loop: Header=BB649_17 Depth=1
	v_and_b32_e32 v20, 0x7f, v18
	v_cmp_ne_u32_e32 vcc, s14, v20
	v_mov_b32_e32 v34, 0x7f800001
	s_and_saveexec_b64 s[10:11], vcc
	s_cbranch_execz .LBB649_45
; %bb.44:                               ;   in Loop: Header=BB649_17 Depth=1
	v_and_b32_e32 v34, 7, v18
	v_ffbh_u32_e32 v42, v34
	v_min_u32_e32 v42, 32, v42
	v_subrev_u32_e32 v44, 28, v42
	v_lshlrev_b64 v[52:53], v44, v[18:19]
	v_lshrrev_b32_e32 v40, 3, v20
	v_sub_u32_e32 v42, 29, v42
	v_and_b32_e32 v44, 7, v52
	v_cmp_gt_u32_e32 vcc, 8, v20
	v_cndmask_b32_e32 v20, v40, v42, vcc
	v_cndmask_b32_e32 v34, v34, v44, vcc
	v_lshlrev_b32_e32 v40, 24, v18
	v_lshlrev_b32_e32 v34, 20, v34
	v_and_b32_e32 v40, 0x80000000, v40
	v_lshl_add_u32 v20, v20, 23, v38
	v_or3_b32 v34, v40, v20, v34
.LBB649_45:                             ;   in Loop: Header=BB649_17 Depth=1
	s_or_b64 exec, exec, s[10:11]
.LBB649_46:                             ;   in Loop: Header=BB649_17 Depth=1
	s_or_b64 exec, exec, s[6:7]
.LBB649_47:                             ;   in Loop: Header=BB649_17 Depth=1
	s_or_b64 exec, exec, s[4:5]
	v_lshrrev_b16_e32 v20, 8, v18
	v_cmp_ne_u16_e32 vcc, 0, v20
	s_and_saveexec_b64 s[4:5], vcc
	s_cbranch_execz .LBB649_53
; %bb.48:                               ;   in Loop: Header=BB649_17 Depth=1
	v_cmp_ne_u16_e32 vcc, s13, v20
	v_bfrev_b32_e32 v30, 1
	s_and_saveexec_b64 s[6:7], vcc
	s_cbranch_execz .LBB649_52
; %bb.49:                               ;   in Loop: Header=BB649_17 Depth=1
	v_and_b32_e32 v40, 0x7f, v20
	v_cmp_ne_u32_e32 vcc, s14, v40
	v_mov_b32_e32 v30, 0x7f800001
	s_and_saveexec_b64 s[10:11], vcc
	s_cbranch_execz .LBB649_51
; %bb.50:                               ;   in Loop: Header=BB649_17 Depth=1
	v_and_b32_e32 v30, 7, v20
	v_ffbh_u32_e32 v44, v30
	v_min_u32_e32 v44, 32, v44
	v_subrev_u32_e32 v52, 28, v44
	v_lshlrev_b64 v[52:53], v52, v[20:21]
	v_lshrrev_b32_e32 v42, 3, v40
	v_sub_u32_e32 v20, 29, v44
	v_and_b32_e32 v44, 7, v52
	v_cmp_gt_u32_e32 vcc, 8, v40
	v_cndmask_b32_e32 v20, v42, v20, vcc
	v_cndmask_b32_e32 v30, v30, v44, vcc
	v_lshlrev_b32_e32 v40, 16, v18
	v_lshlrev_b32_e32 v30, 20, v30
	v_and_b32_e32 v40, 0x80000000, v40
	v_lshl_add_u32 v20, v20, 23, v38
	v_or3_b32 v30, v40, v20, v30
.LBB649_51:                             ;   in Loop: Header=BB649_17 Depth=1
	s_or_b64 exec, exec, s[10:11]
.LBB649_52:                             ;   in Loop: Header=BB649_17 Depth=1
	s_or_b64 exec, exec, s[6:7]
.LBB649_53:                             ;   in Loop: Header=BB649_17 Depth=1
	s_or_b64 exec, exec, s[4:5]
	v_lshrrev_b32_e32 v20, 16, v18
	v_cmp_ne_u16_sdwa s[6:7], v20, v35 src0_sel:BYTE_0 src1_sel:DWORD
	v_mov_b32_e32 v42, 0
	v_mov_b32_e32 v40, 0
	s_and_saveexec_b64 s[4:5], s[6:7]
	s_cbranch_execz .LBB649_59
; %bb.54:                               ;   in Loop: Header=BB649_17 Depth=1
	v_cmp_ne_u16_sdwa s[10:11], v20, s13 src0_sel:BYTE_0 src1_sel:DWORD
	v_bfrev_b32_e32 v40, 1
	s_and_saveexec_b64 s[6:7], s[10:11]
	s_cbranch_execz .LBB649_58
; %bb.55:                               ;   in Loop: Header=BB649_17 Depth=1
	v_bfe_u32 v44, v18, 16, 7
	v_cmp_ne_u32_e32 vcc, s14, v44
	v_mov_b32_e32 v40, 0x7f800001
	s_and_saveexec_b64 s[10:11], vcc
	s_cbranch_execz .LBB649_57
; %bb.56:                               ;   in Loop: Header=BB649_17 Depth=1
	v_and_b32_e32 v40, 7, v20
	v_ffbh_u32_e32 v52, v40
	v_min_u32_e32 v55, 32, v52
	v_subrev_u32_e32 v52, 28, v55
	v_lshlrev_b64 v[52:53], v52, v[20:21]
	v_lshrrev_b32_e32 v54, 3, v44
	v_sub_u32_e32 v53, 29, v55
	v_and_b32_e32 v52, 7, v52
	v_cmp_gt_u32_e32 vcc, 8, v44
	v_cndmask_b32_e32 v44, v54, v53, vcc
	v_cndmask_b32_e32 v40, v40, v52, vcc
	v_lshlrev_b32_e32 v20, 24, v20
	v_lshlrev_b32_e32 v40, 20, v40
	v_and_b32_e32 v20, 0x80000000, v20
	v_lshl_add_u32 v44, v44, 23, v38
	v_or3_b32 v40, v20, v44, v40
.LBB649_57:                             ;   in Loop: Header=BB649_17 Depth=1
	s_or_b64 exec, exec, s[10:11]
.LBB649_58:                             ;   in Loop: Header=BB649_17 Depth=1
	s_or_b64 exec, exec, s[6:7]
.LBB649_59:                             ;   in Loop: Header=BB649_17 Depth=1
	s_or_b64 exec, exec, s[4:5]
	v_cmp_lt_u32_e32 vcc, s15, v18
	s_and_saveexec_b64 s[4:5], vcc
	s_cbranch_execz .LBB649_65
; %bb.60:                               ;   in Loop: Header=BB649_17 Depth=1
	v_lshrrev_b32_e32 v20, 24, v18
	v_cmp_ne_u32_e32 vcc, s13, v20
	v_bfrev_b32_e32 v42, 1
	s_and_saveexec_b64 s[6:7], vcc
	s_cbranch_execz .LBB649_64
; %bb.61:                               ;   in Loop: Header=BB649_17 Depth=1
	v_bfe_u32 v18, v18, 24, 7
	v_cmp_ne_u32_e32 vcc, s14, v18
	v_mov_b32_e32 v42, 0x7f800001
	s_and_saveexec_b64 s[10:11], vcc
	s_cbranch_execz .LBB649_63
; %bb.62:                               ;   in Loop: Header=BB649_17 Depth=1
	v_and_b32_e32 v42, 7, v20
	v_ffbh_u32_e32 v52, v42
	v_min_u32_e32 v54, 32, v52
	v_subrev_u32_e32 v52, 28, v54
	v_lshlrev_b64 v[52:53], v52, v[20:21]
	v_lshrrev_b32_e32 v44, 3, v18
	v_sub_u32_e32 v53, 29, v54
	v_and_b32_e32 v52, 7, v52
	v_cmp_gt_u32_e32 vcc, 8, v18
	v_cndmask_b32_e32 v18, v44, v53, vcc
	v_cndmask_b32_e32 v42, v42, v52, vcc
	v_lshlrev_b32_e32 v20, 24, v20
	v_lshlrev_b32_e32 v42, 20, v42
	v_and_b32_e32 v20, 0x80000000, v20
	v_lshl_add_u32 v18, v18, 23, v38
	v_or3_b32 v42, v20, v18, v42
.LBB649_63:                             ;   in Loop: Header=BB649_17 Depth=1
	s_or_b64 exec, exec, s[10:11]
.LBB649_64:                             ;   in Loop: Header=BB649_17 Depth=1
	s_or_b64 exec, exec, s[6:7]
.LBB649_65:                             ;   in Loop: Header=BB649_17 Depth=1
	s_or_b64 exec, exec, s[4:5]
	v_cvt_pkrtz_f16_f32 v18, v21, v19
	v_cvt_pkrtz_f16_f32 v19, v23, v32
	;; [unrolled: 1-line block ×4, first 2 shown]
	v_mov_b32_e32 v32, 0
	v_mfma_f32_16x16x16f16 v[18:21], v[18:19], v[2:3], 0
	s_waitcnt vmcnt(1)
	v_cmp_ne_u16_sdwa s[6:7], v28, v35 src0_sel:BYTE_0 src1_sel:DWORD
	v_mov_b32_e32 v34, 0
	v_mfma_f32_16x16x16f16 v[18:21], v[52:53], v[4:5], v[18:21]
	s_and_saveexec_b64 s[4:5], s[6:7]
	s_cbranch_execz .LBB649_71
; %bb.66:                               ;   in Loop: Header=BB649_17 Depth=1
	v_cmp_ne_u16_sdwa s[10:11], v28, s13 src0_sel:BYTE_0 src1_sel:DWORD
	v_bfrev_b32_e32 v34, 1
	s_and_saveexec_b64 s[6:7], s[10:11]
	s_cbranch_execz .LBB649_70
; %bb.67:                               ;   in Loop: Header=BB649_17 Depth=1
	v_and_b32_e32 v23, 0x7f, v28
	v_cmp_ne_u32_e32 vcc, s14, v23
	v_mov_b32_e32 v34, 0x7f800001
	s_and_saveexec_b64 s[10:11], vcc
	s_cbranch_execz .LBB649_69
; %bb.68:                               ;   in Loop: Header=BB649_17 Depth=1
	v_and_b32_e32 v30, 7, v28
	v_ffbh_u32_e32 v40, v30
	v_min_u32_e32 v40, 32, v40
	v_subrev_u32_e32 v42, 28, v40
	v_lshlrev_b64 v[52:53], v42, v[28:29]
	v_lshrrev_b32_e32 v34, 3, v23
	v_sub_u32_e32 v40, 29, v40
	v_and_b32_e32 v42, 7, v52
	v_cmp_gt_u32_e32 vcc, 8, v23
	v_cndmask_b32_e32 v23, v34, v40, vcc
	v_cndmask_b32_e32 v30, v30, v42, vcc
	v_lshlrev_b32_e32 v34, 24, v28
	v_lshlrev_b32_e32 v30, 20, v30
	v_and_b32_e32 v34, 0x80000000, v34
	v_lshl_add_u32 v23, v23, 23, v38
	v_or3_b32 v34, v34, v23, v30
.LBB649_69:                             ;   in Loop: Header=BB649_17 Depth=1
	s_or_b64 exec, exec, s[10:11]
.LBB649_70:                             ;   in Loop: Header=BB649_17 Depth=1
	s_or_b64 exec, exec, s[6:7]
.LBB649_71:                             ;   in Loop: Header=BB649_17 Depth=1
	s_or_b64 exec, exec, s[4:5]
	v_lshrrev_b16_e32 v30, 8, v28
	v_cmp_ne_u16_e32 vcc, 0, v30
	v_mov_b32_e32 v40, 0
	s_and_saveexec_b64 s[4:5], vcc
	s_cbranch_execz .LBB649_77
; %bb.72:                               ;   in Loop: Header=BB649_17 Depth=1
	v_cmp_ne_u16_e32 vcc, s13, v30
	v_bfrev_b32_e32 v40, 1
	s_and_saveexec_b64 s[6:7], vcc
	s_cbranch_execz .LBB649_76
; %bb.73:                               ;   in Loop: Header=BB649_17 Depth=1
	v_and_b32_e32 v23, 0x7f, v30
	v_cmp_ne_u32_e32 vcc, s14, v23
	v_mov_b32_e32 v40, 0x7f800001
	s_and_saveexec_b64 s[10:11], vcc
	s_cbranch_execz .LBB649_75
; %bb.74:                               ;   in Loop: Header=BB649_17 Depth=1
	v_and_b32_e32 v40, 7, v30
	v_ffbh_u32_e32 v44, v40
	v_min_u32_e32 v44, 32, v44
	v_subrev_u32_e32 v52, 28, v44
	v_lshlrev_b64 v[52:53], v52, v[30:31]
	v_lshrrev_b32_e32 v42, 3, v23
	v_sub_u32_e32 v30, 29, v44
	v_and_b32_e32 v44, 7, v52
	v_cmp_gt_u32_e32 vcc, 8, v23
	v_cndmask_b32_e32 v23, v42, v30, vcc
	v_cndmask_b32_e32 v30, v40, v44, vcc
	v_lshlrev_b32_e32 v40, 16, v28
	v_lshlrev_b32_e32 v30, 20, v30
	v_and_b32_e32 v40, 0x80000000, v40
	v_lshl_add_u32 v23, v23, 23, v38
	v_or3_b32 v40, v40, v23, v30
.LBB649_75:                             ;   in Loop: Header=BB649_17 Depth=1
	s_or_b64 exec, exec, s[10:11]
.LBB649_76:                             ;   in Loop: Header=BB649_17 Depth=1
	s_or_b64 exec, exec, s[6:7]
.LBB649_77:                             ;   in Loop: Header=BB649_17 Depth=1
	s_or_b64 exec, exec, s[4:5]
	v_lshrrev_b32_e32 v30, 16, v28
	v_cmp_ne_u16_sdwa s[6:7], v30, v35 src0_sel:BYTE_0 src1_sel:DWORD
	s_and_saveexec_b64 s[4:5], s[6:7]
	s_cbranch_execz .LBB649_83
; %bb.78:                               ;   in Loop: Header=BB649_17 Depth=1
	v_cmp_ne_u16_sdwa s[10:11], v30, s13 src0_sel:BYTE_0 src1_sel:DWORD
	v_bfrev_b32_e32 v32, 1
	s_and_saveexec_b64 s[6:7], s[10:11]
	s_cbranch_execz .LBB649_82
; %bb.79:                               ;   in Loop: Header=BB649_17 Depth=1
	v_bfe_u32 v23, v28, 16, 7
	v_cmp_ne_u32_e32 vcc, s14, v23
	v_mov_b32_e32 v32, 0x7f800001
	s_and_saveexec_b64 s[10:11], vcc
	s_cbranch_execz .LBB649_81
; %bb.80:                               ;   in Loop: Header=BB649_17 Depth=1
	v_and_b32_e32 v32, 7, v30
	v_ffbh_u32_e32 v44, v32
	v_min_u32_e32 v44, 32, v44
	v_subrev_u32_e32 v52, 28, v44
	v_lshlrev_b64 v[52:53], v52, v[30:31]
	v_lshrrev_b32_e32 v42, 3, v23
	v_sub_u32_e32 v44, 29, v44
	v_and_b32_e32 v52, 7, v52
	v_cmp_gt_u32_e32 vcc, 8, v23
	v_cndmask_b32_e32 v23, v42, v44, vcc
	v_cndmask_b32_e32 v32, v32, v52, vcc
	v_lshlrev_b32_e32 v30, 24, v30
	v_lshlrev_b32_e32 v32, 20, v32
	v_and_b32_e32 v30, 0x80000000, v30
	v_lshl_add_u32 v23, v23, 23, v38
	v_or3_b32 v32, v30, v23, v32
.LBB649_81:                             ;   in Loop: Header=BB649_17 Depth=1
	s_or_b64 exec, exec, s[10:11]
.LBB649_82:                             ;   in Loop: Header=BB649_17 Depth=1
	s_or_b64 exec, exec, s[6:7]
.LBB649_83:                             ;   in Loop: Header=BB649_17 Depth=1
	s_or_b64 exec, exec, s[4:5]
	v_cmp_lt_u32_e32 vcc, s15, v28
	v_mov_b32_e32 v42, 0
	v_mov_b32_e32 v44, 0
	s_and_saveexec_b64 s[4:5], vcc
	s_cbranch_execz .LBB649_89
; %bb.84:                               ;   in Loop: Header=BB649_17 Depth=1
	v_lshrrev_b32_e32 v30, 24, v28
	v_cmp_ne_u32_e32 vcc, s13, v30
	v_bfrev_b32_e32 v44, 1
	s_and_saveexec_b64 s[6:7], vcc
	s_cbranch_execz .LBB649_88
; %bb.85:                               ;   in Loop: Header=BB649_17 Depth=1
	v_bfe_u32 v23, v28, 24, 7
	v_cmp_ne_u32_e32 vcc, s14, v23
	v_mov_b32_e32 v44, 0x7f800001
	s_and_saveexec_b64 s[10:11], vcc
	s_cbranch_execz .LBB649_87
; %bb.86:                               ;   in Loop: Header=BB649_17 Depth=1
	v_and_b32_e32 v28, 7, v30
	v_ffbh_u32_e32 v52, v28
	v_min_u32_e32 v54, 32, v52
	v_subrev_u32_e32 v52, 28, v54
	v_lshlrev_b64 v[52:53], v52, v[30:31]
	v_lshrrev_b32_e32 v44, 3, v23
	v_sub_u32_e32 v53, 29, v54
	v_and_b32_e32 v52, 7, v52
	v_cmp_gt_u32_e32 vcc, 8, v23
	v_cndmask_b32_e32 v23, v44, v53, vcc
	v_cndmask_b32_e32 v28, v28, v52, vcc
	v_lshlrev_b32_e32 v30, 24, v30
	v_lshlrev_b32_e32 v28, 20, v28
	v_and_b32_e32 v30, 0x80000000, v30
	v_lshl_add_u32 v23, v23, 23, v38
	v_or3_b32 v44, v30, v23, v28
.LBB649_87:                             ;   in Loop: Header=BB649_17 Depth=1
	s_or_b64 exec, exec, s[10:11]
.LBB649_88:                             ;   in Loop: Header=BB649_17 Depth=1
	s_or_b64 exec, exec, s[6:7]
.LBB649_89:                             ;   in Loop: Header=BB649_17 Depth=1
	s_or_b64 exec, exec, s[4:5]
	s_waitcnt vmcnt(0)
	v_cmp_ne_u16_sdwa s[6:7], v26, v35 src0_sel:BYTE_0 src1_sel:DWORD
	s_and_saveexec_b64 s[4:5], s[6:7]
	s_cbranch_execz .LBB649_95
; %bb.90:                               ;   in Loop: Header=BB649_17 Depth=1
	v_cmp_ne_u16_sdwa s[10:11], v26, s13 src0_sel:BYTE_0 src1_sel:DWORD
	v_bfrev_b32_e32 v42, 1
	s_and_saveexec_b64 s[6:7], s[10:11]
	s_cbranch_execz .LBB649_94
; %bb.91:                               ;   in Loop: Header=BB649_17 Depth=1
	v_and_b32_e32 v23, 0x7f, v26
	v_cmp_ne_u32_e32 vcc, s14, v23
	v_mov_b32_e32 v42, 0x7f800001
	s_and_saveexec_b64 s[10:11], vcc
	s_cbranch_execz .LBB649_93
; %bb.92:                               ;   in Loop: Header=BB649_17 Depth=1
	v_and_b32_e32 v28, 7, v26
	v_ffbh_u32_e32 v42, v28
	v_min_u32_e32 v42, 32, v42
	v_subrev_u32_e32 v52, 28, v42
	v_lshlrev_b64 v[52:53], v52, v[26:27]
	v_lshrrev_b32_e32 v30, 3, v23
	v_sub_u32_e32 v42, 29, v42
	v_and_b32_e32 v52, 7, v52
	v_cmp_gt_u32_e32 vcc, 8, v23
	v_cndmask_b32_e32 v23, v30, v42, vcc
	v_cndmask_b32_e32 v28, v28, v52, vcc
	v_lshlrev_b32_e32 v30, 24, v26
	v_lshlrev_b32_e32 v28, 20, v28
	v_and_b32_e32 v30, 0x80000000, v30
	v_lshl_add_u32 v23, v23, 23, v38
	v_or3_b32 v42, v30, v23, v28
.LBB649_93:                             ;   in Loop: Header=BB649_17 Depth=1
	s_or_b64 exec, exec, s[10:11]
.LBB649_94:                             ;   in Loop: Header=BB649_17 Depth=1
	s_or_b64 exec, exec, s[6:7]
.LBB649_95:                             ;   in Loop: Header=BB649_17 Depth=1
	s_or_b64 exec, exec, s[4:5]
	v_lshrrev_b16_e32 v28, 8, v26
	v_cmp_ne_u16_e32 vcc, 0, v28
	v_mov_b32_e32 v52, 0
	v_mov_b32_e32 v53, 0
	s_and_saveexec_b64 s[4:5], vcc
	s_cbranch_execz .LBB649_101
; %bb.96:                               ;   in Loop: Header=BB649_17 Depth=1
	v_cmp_ne_u16_e32 vcc, s13, v28
	v_bfrev_b32_e32 v53, 1
	s_and_saveexec_b64 s[6:7], vcc
	s_cbranch_execz .LBB649_100
; %bb.97:                               ;   in Loop: Header=BB649_17 Depth=1
	v_and_b32_e32 v23, 0x7f, v28
	v_cmp_ne_u32_e32 vcc, s14, v23
	v_mov_b32_e32 v53, 0x7f800001
	s_and_saveexec_b64 s[10:11], vcc
	s_cbranch_execz .LBB649_99
; %bb.98:                               ;   in Loop: Header=BB649_17 Depth=1
	v_and_b32_e32 v30, 7, v28
	v_ffbh_u32_e32 v54, v30
	v_min_u32_e32 v56, 32, v54
	v_subrev_u32_e32 v54, 28, v56
	v_lshlrev_b64 v[54:55], v54, v[28:29]
	v_lshrrev_b32_e32 v53, 3, v23
	v_sub_u32_e32 v28, 29, v56
	v_and_b32_e32 v54, 7, v54
	v_cmp_gt_u32_e32 vcc, 8, v23
	v_cndmask_b32_e32 v23, v53, v28, vcc
	v_cndmask_b32_e32 v28, v30, v54, vcc
	v_lshlrev_b32_e32 v30, 16, v26
	v_lshlrev_b32_e32 v28, 20, v28
	v_and_b32_e32 v30, 0x80000000, v30
	v_lshl_add_u32 v23, v23, 23, v38
	v_or3_b32 v53, v30, v23, v28
.LBB649_99:                             ;   in Loop: Header=BB649_17 Depth=1
	s_or_b64 exec, exec, s[10:11]
.LBB649_100:                            ;   in Loop: Header=BB649_17 Depth=1
	s_or_b64 exec, exec, s[6:7]
.LBB649_101:                            ;   in Loop: Header=BB649_17 Depth=1
	s_or_b64 exec, exec, s[4:5]
	v_lshrrev_b32_e32 v28, 16, v26
	v_cmp_ne_u16_sdwa s[6:7], v28, v35 src0_sel:BYTE_0 src1_sel:DWORD
	s_and_saveexec_b64 s[4:5], s[6:7]
	s_cbranch_execz .LBB649_107
; %bb.102:                              ;   in Loop: Header=BB649_17 Depth=1
	v_cmp_ne_u16_sdwa s[10:11], v28, s13 src0_sel:BYTE_0 src1_sel:DWORD
	v_bfrev_b32_e32 v52, 1
	s_and_saveexec_b64 s[6:7], s[10:11]
	s_cbranch_execz .LBB649_106
; %bb.103:                              ;   in Loop: Header=BB649_17 Depth=1
	v_bfe_u32 v23, v26, 16, 7
	v_cmp_ne_u32_e32 vcc, s14, v23
	v_mov_b32_e32 v52, 0x7f800001
	s_and_saveexec_b64 s[10:11], vcc
	s_cbranch_execz .LBB649_105
; %bb.104:                              ;   in Loop: Header=BB649_17 Depth=1
	v_and_b32_e32 v30, 7, v28
	v_ffbh_u32_e32 v54, v30
	v_min_u32_e32 v56, 32, v54
	v_subrev_u32_e32 v54, 28, v56
	v_lshlrev_b64 v[54:55], v54, v[28:29]
	v_lshrrev_b32_e32 v52, 3, v23
	v_sub_u32_e32 v55, 29, v56
	v_and_b32_e32 v54, 7, v54
	v_cmp_gt_u32_e32 vcc, 8, v23
	v_cndmask_b32_e32 v23, v52, v55, vcc
	v_cndmask_b32_e32 v30, v30, v54, vcc
	v_lshlrev_b32_e32 v28, 24, v28
	v_lshlrev_b32_e32 v30, 20, v30
	v_and_b32_e32 v28, 0x80000000, v28
	v_lshl_add_u32 v23, v23, 23, v38
	v_or3_b32 v52, v28, v23, v30
.LBB649_105:                            ;   in Loop: Header=BB649_17 Depth=1
	s_or_b64 exec, exec, s[10:11]
.LBB649_106:                            ;   in Loop: Header=BB649_17 Depth=1
	s_or_b64 exec, exec, s[6:7]
.LBB649_107:                            ;   in Loop: Header=BB649_17 Depth=1
	s_or_b64 exec, exec, s[4:5]
	v_cmp_lt_u32_e32 vcc, s15, v26
	v_mov_b32_e32 v23, 0
	v_mov_b32_e32 v54, 0
	s_and_saveexec_b64 s[4:5], vcc
	s_cbranch_execz .LBB649_113
; %bb.108:                              ;   in Loop: Header=BB649_17 Depth=1
	v_lshrrev_b32_e32 v28, 24, v26
	v_cmp_ne_u32_e32 vcc, s13, v28
	v_bfrev_b32_e32 v54, 1
	s_and_saveexec_b64 s[6:7], vcc
	s_cbranch_execz .LBB649_112
; %bb.109:                              ;   in Loop: Header=BB649_17 Depth=1
	v_bfe_u32 v26, v26, 24, 7
	v_cmp_ne_u32_e32 vcc, s14, v26
	v_mov_b32_e32 v54, 0x7f800001
	s_and_saveexec_b64 s[10:11], vcc
	s_cbranch_execz .LBB649_111
; %bb.110:                              ;   in Loop: Header=BB649_17 Depth=1
	v_and_b32_e32 v30, 7, v28
	v_ffbh_u32_e32 v54, v30
	v_min_u32_e32 v57, 32, v54
	v_subrev_u32_e32 v54, 28, v57
	v_lshlrev_b64 v[54:55], v54, v[28:29]
	v_lshrrev_b32_e32 v56, 3, v26
	v_sub_u32_e32 v55, 29, v57
	v_and_b32_e32 v54, 7, v54
	v_cmp_gt_u32_e32 vcc, 8, v26
	v_cndmask_b32_e32 v26, v56, v55, vcc
	v_cndmask_b32_e32 v30, v30, v54, vcc
	v_lshlrev_b32_e32 v28, 24, v28
	v_lshlrev_b32_e32 v30, 20, v30
	v_and_b32_e32 v28, 0x80000000, v28
	v_lshl_add_u32 v26, v26, 23, v38
	v_or3_b32 v54, v28, v26, v30
.LBB649_111:                            ;   in Loop: Header=BB649_17 Depth=1
	s_or_b64 exec, exec, s[10:11]
.LBB649_112:                            ;   in Loop: Header=BB649_17 Depth=1
	s_or_b64 exec, exec, s[6:7]
.LBB649_113:                            ;   in Loop: Header=BB649_17 Depth=1
	s_or_b64 exec, exec, s[4:5]
	v_cvt_pkrtz_f16_f32 v57, v32, v44
	buffer_load_dword v32, v36, s[0:3], 0 offen offset:16
	buffer_load_dword v30, v36, s[0:3], 0 offen offset:20
	;; [unrolled: 1-line block ×4, first 2 shown]
	v_cvt_pkrtz_f16_f32 v56, v34, v40
	s_waitcnt vmcnt(3)
	v_cmp_ne_u16_sdwa s[6:7], v32, v35 src0_sel:BYTE_0 src1_sel:DWORD
	v_mfma_f32_16x16x16f16 v[18:21], v[56:57], v[6:7], v[18:21]
	v_cvt_pkrtz_f16_f32 v56, v42, v53
	v_cvt_pkrtz_f16_f32 v57, v52, v54
	s_nop 1
	v_mfma_f32_16x16x16f16 v[18:21], v[56:57], v[8:9], v[18:21]
	s_and_saveexec_b64 s[4:5], s[6:7]
	s_cbranch_execz .LBB649_119
; %bb.114:                              ;   in Loop: Header=BB649_17 Depth=1
	v_cmp_ne_u16_sdwa s[10:11], v32, s13 src0_sel:BYTE_0 src1_sel:DWORD
	v_bfrev_b32_e32 v23, 1
	s_and_saveexec_b64 s[6:7], s[10:11]
	s_cbranch_execz .LBB649_118
; %bb.115:                              ;   in Loop: Header=BB649_17 Depth=1
	v_and_b32_e32 v34, 0x7f, v32
	v_cmp_ne_u32_e32 vcc, s14, v34
	v_mov_b32_e32 v23, 0x7f800001
	s_and_saveexec_b64 s[10:11], vcc
	s_cbranch_execz .LBB649_117
; %bb.116:                              ;   in Loop: Header=BB649_17 Depth=1
	v_and_b32_e32 v23, 7, v32
	v_ffbh_u32_e32 v42, v23
	v_min_u32_e32 v42, 32, v42
	v_subrev_u32_e32 v44, 28, v42
	v_lshlrev_b64 v[52:53], v44, v[32:33]
	v_lshrrev_b32_e32 v40, 3, v34
	v_sub_u32_e32 v42, 29, v42
	v_and_b32_e32 v44, 7, v52
	v_cmp_gt_u32_e32 vcc, 8, v34
	v_cndmask_b32_e32 v34, v40, v42, vcc
	v_cndmask_b32_e32 v23, v23, v44, vcc
	v_lshlrev_b32_e32 v40, 24, v32
	v_lshlrev_b32_e32 v23, 20, v23
	v_and_b32_e32 v40, 0x80000000, v40
	v_lshl_add_u32 v34, v34, 23, v38
	v_or3_b32 v23, v40, v34, v23
.LBB649_117:                            ;   in Loop: Header=BB649_17 Depth=1
	s_or_b64 exec, exec, s[10:11]
.LBB649_118:                            ;   in Loop: Header=BB649_17 Depth=1
	s_or_b64 exec, exec, s[6:7]
.LBB649_119:                            ;   in Loop: Header=BB649_17 Depth=1
	s_or_b64 exec, exec, s[4:5]
	v_lshrrev_b16_e32 v34, 8, v32
	v_cmp_ne_u16_e32 vcc, 0, v34
	v_mov_b32_e32 v40, 0
	v_mov_b32_e32 v42, 0
	s_and_saveexec_b64 s[4:5], vcc
	s_cbranch_execz .LBB649_125
; %bb.120:                              ;   in Loop: Header=BB649_17 Depth=1
	v_cmp_ne_u16_e32 vcc, s13, v34
	v_bfrev_b32_e32 v42, 1
	s_and_saveexec_b64 s[6:7], vcc
	s_cbranch_execz .LBB649_124
; %bb.121:                              ;   in Loop: Header=BB649_17 Depth=1
	v_and_b32_e32 v44, 0x7f, v34
	v_cmp_ne_u32_e32 vcc, s14, v44
	v_mov_b32_e32 v42, 0x7f800001
	s_and_saveexec_b64 s[10:11], vcc
	s_cbranch_execz .LBB649_123
; %bb.122:                              ;   in Loop: Header=BB649_17 Depth=1
	v_and_b32_e32 v42, 7, v34
	v_ffbh_u32_e32 v52, v42
	v_min_u32_e32 v55, 32, v52
	v_subrev_u32_e32 v52, 28, v55
	v_lshlrev_b64 v[52:53], v52, v[34:35]
	v_lshrrev_b32_e32 v54, 3, v44
	v_sub_u32_e32 v34, 29, v55
	v_and_b32_e32 v52, 7, v52
	v_cmp_gt_u32_e32 vcc, 8, v44
	v_cndmask_b32_e32 v34, v54, v34, vcc
	v_cndmask_b32_e32 v42, v42, v52, vcc
	v_lshlrev_b32_e32 v44, 16, v32
	v_lshlrev_b32_e32 v42, 20, v42
	v_and_b32_e32 v44, 0x80000000, v44
	v_lshl_add_u32 v34, v34, 23, v38
	v_or3_b32 v42, v44, v34, v42
.LBB649_123:                            ;   in Loop: Header=BB649_17 Depth=1
	s_or_b64 exec, exec, s[10:11]
.LBB649_124:                            ;   in Loop: Header=BB649_17 Depth=1
	s_or_b64 exec, exec, s[6:7]
.LBB649_125:                            ;   in Loop: Header=BB649_17 Depth=1
	s_or_b64 exec, exec, s[4:5]
	v_lshrrev_b32_e32 v34, 16, v32
	v_cmp_ne_u16_sdwa s[6:7], v34, v35 src0_sel:BYTE_0 src1_sel:DWORD
	s_and_saveexec_b64 s[4:5], s[6:7]
	s_cbranch_execz .LBB649_131
; %bb.126:                              ;   in Loop: Header=BB649_17 Depth=1
	v_cmp_ne_u16_sdwa s[10:11], v34, s13 src0_sel:BYTE_0 src1_sel:DWORD
	v_bfrev_b32_e32 v40, 1
	s_and_saveexec_b64 s[6:7], s[10:11]
	s_cbranch_execz .LBB649_130
; %bb.127:                              ;   in Loop: Header=BB649_17 Depth=1
	v_bfe_u32 v44, v32, 16, 7
	v_cmp_ne_u32_e32 vcc, s14, v44
	v_mov_b32_e32 v40, 0x7f800001
	s_and_saveexec_b64 s[10:11], vcc
	s_cbranch_execz .LBB649_129
; %bb.128:                              ;   in Loop: Header=BB649_17 Depth=1
	v_and_b32_e32 v40, 7, v34
	v_ffbh_u32_e32 v52, v40
	v_min_u32_e32 v55, 32, v52
	v_subrev_u32_e32 v52, 28, v55
	v_lshlrev_b64 v[52:53], v52, v[34:35]
	v_lshrrev_b32_e32 v54, 3, v44
	v_sub_u32_e32 v53, 29, v55
	v_and_b32_e32 v52, 7, v52
	v_cmp_gt_u32_e32 vcc, 8, v44
	v_cndmask_b32_e32 v44, v54, v53, vcc
	v_cndmask_b32_e32 v40, v40, v52, vcc
	v_lshlrev_b32_e32 v34, 24, v34
	v_lshlrev_b32_e32 v40, 20, v40
	v_and_b32_e32 v34, 0x80000000, v34
	v_lshl_add_u32 v44, v44, 23, v38
	v_or3_b32 v40, v34, v44, v40
.LBB649_129:                            ;   in Loop: Header=BB649_17 Depth=1
	s_or_b64 exec, exec, s[10:11]
.LBB649_130:                            ;   in Loop: Header=BB649_17 Depth=1
	s_or_b64 exec, exec, s[6:7]
.LBB649_131:                            ;   in Loop: Header=BB649_17 Depth=1
	s_or_b64 exec, exec, s[4:5]
	v_cmp_lt_u32_e32 vcc, s15, v32
	v_mov_b32_e32 v44, 0
	v_mov_b32_e32 v52, 0
	s_and_saveexec_b64 s[4:5], vcc
	s_cbranch_execz .LBB649_137
; %bb.132:                              ;   in Loop: Header=BB649_17 Depth=1
	v_lshrrev_b32_e32 v34, 24, v32
	v_cmp_ne_u32_e32 vcc, s13, v34
	v_bfrev_b32_e32 v52, 1
	s_and_saveexec_b64 s[6:7], vcc
	s_cbranch_execz .LBB649_136
; %bb.133:                              ;   in Loop: Header=BB649_17 Depth=1
	v_bfe_u32 v32, v32, 24, 7
	v_cmp_ne_u32_e32 vcc, s14, v32
	v_mov_b32_e32 v52, 0x7f800001
	s_and_saveexec_b64 s[10:11], vcc
	s_cbranch_execz .LBB649_135
; %bb.134:                              ;   in Loop: Header=BB649_17 Depth=1
	v_and_b32_e32 v54, 7, v34
	v_ffbh_u32_e32 v52, v54
	v_min_u32_e32 v56, 32, v52
	v_subrev_u32_e32 v52, 28, v56
	v_lshlrev_b64 v[52:53], v52, v[34:35]
	v_lshrrev_b32_e32 v55, 3, v32
	v_sub_u32_e32 v53, 29, v56
	v_and_b32_e32 v52, 7, v52
	v_cmp_gt_u32_e32 vcc, 8, v32
	v_cndmask_b32_e32 v32, v55, v53, vcc
	v_cndmask_b32_e32 v52, v54, v52, vcc
	v_lshlrev_b32_e32 v34, 24, v34
	v_lshlrev_b32_e32 v52, 20, v52
	v_and_b32_e32 v34, 0x80000000, v34
	v_lshl_add_u32 v32, v32, 23, v38
	v_or3_b32 v52, v34, v32, v52
.LBB649_135:                            ;   in Loop: Header=BB649_17 Depth=1
	s_or_b64 exec, exec, s[10:11]
.LBB649_136:                            ;   in Loop: Header=BB649_17 Depth=1
	s_or_b64 exec, exec, s[6:7]
.LBB649_137:                            ;   in Loop: Header=BB649_17 Depth=1
	s_or_b64 exec, exec, s[4:5]
	s_waitcnt vmcnt(2)
	v_cmp_ne_u16_sdwa s[6:7], v30, v35 src0_sel:BYTE_0 src1_sel:DWORD
	s_and_saveexec_b64 s[4:5], s[6:7]
	s_cbranch_execz .LBB649_143
; %bb.138:                              ;   in Loop: Header=BB649_17 Depth=1
	v_cmp_ne_u16_sdwa s[10:11], v30, s13 src0_sel:BYTE_0 src1_sel:DWORD
	v_bfrev_b32_e32 v44, 1
	s_and_saveexec_b64 s[6:7], s[10:11]
	s_cbranch_execz .LBB649_142
; %bb.139:                              ;   in Loop: Header=BB649_17 Depth=1
	v_and_b32_e32 v32, 0x7f, v30
	v_cmp_ne_u32_e32 vcc, s14, v32
	v_mov_b32_e32 v44, 0x7f800001
	s_and_saveexec_b64 s[10:11], vcc
	s_cbranch_execz .LBB649_141
; %bb.140:                              ;   in Loop: Header=BB649_17 Depth=1
	v_and_b32_e32 v34, 7, v30
	v_ffbh_u32_e32 v53, v34
	v_min_u32_e32 v53, 32, v53
	v_subrev_u32_e32 v54, 28, v53
	v_lshlrev_b64 v[54:55], v54, v[30:31]
	v_lshrrev_b32_e32 v44, 3, v32
	v_sub_u32_e32 v53, 29, v53
	v_and_b32_e32 v54, 7, v54
	v_cmp_gt_u32_e32 vcc, 8, v32
	v_cndmask_b32_e32 v32, v44, v53, vcc
	v_cndmask_b32_e32 v34, v34, v54, vcc
	v_lshlrev_b32_e32 v44, 24, v30
	v_lshlrev_b32_e32 v34, 20, v34
	v_and_b32_e32 v44, 0x80000000, v44
	v_lshl_add_u32 v32, v32, 23, v38
	v_or3_b32 v44, v44, v32, v34
.LBB649_141:                            ;   in Loop: Header=BB649_17 Depth=1
	s_or_b64 exec, exec, s[10:11]
.LBB649_142:                            ;   in Loop: Header=BB649_17 Depth=1
	s_or_b64 exec, exec, s[6:7]
.LBB649_143:                            ;   in Loop: Header=BB649_17 Depth=1
	s_or_b64 exec, exec, s[4:5]
	v_lshrrev_b16_e32 v32, 8, v30
	v_cmp_ne_u16_e32 vcc, 0, v32
	v_mov_b32_e32 v53, 0
	v_mov_b32_e32 v54, 0
	s_and_saveexec_b64 s[4:5], vcc
	s_cbranch_execz .LBB649_149
; %bb.144:                              ;   in Loop: Header=BB649_17 Depth=1
	v_cmp_ne_u16_e32 vcc, s13, v32
	v_bfrev_b32_e32 v54, 1
	s_and_saveexec_b64 s[6:7], vcc
	s_cbranch_execz .LBB649_148
; %bb.145:                              ;   in Loop: Header=BB649_17 Depth=1
	v_and_b32_e32 v34, 0x7f, v32
	v_cmp_ne_u32_e32 vcc, s14, v34
	v_mov_b32_e32 v54, 0x7f800001
	s_and_saveexec_b64 s[10:11], vcc
	s_cbranch_execz .LBB649_147
; %bb.146:                              ;   in Loop: Header=BB649_17 Depth=1
	v_and_b32_e32 v56, 7, v32
	v_ffbh_u32_e32 v54, v56
	v_min_u32_e32 v58, 32, v54
	v_subrev_u32_e32 v54, 28, v58
	v_lshlrev_b64 v[54:55], v54, v[32:33]
	v_lshrrev_b32_e32 v57, 3, v34
	v_sub_u32_e32 v32, 29, v58
	v_and_b32_e32 v54, 7, v54
	v_cmp_gt_u32_e32 vcc, 8, v34
	v_cndmask_b32_e32 v32, v57, v32, vcc
	v_cndmask_b32_e32 v34, v56, v54, vcc
	v_lshlrev_b32_e32 v54, 16, v30
	v_lshlrev_b32_e32 v34, 20, v34
	v_and_b32_e32 v54, 0x80000000, v54
	v_lshl_add_u32 v32, v32, 23, v38
	v_or3_b32 v54, v54, v32, v34
.LBB649_147:                            ;   in Loop: Header=BB649_17 Depth=1
	s_or_b64 exec, exec, s[10:11]
.LBB649_148:                            ;   in Loop: Header=BB649_17 Depth=1
	s_or_b64 exec, exec, s[6:7]
.LBB649_149:                            ;   in Loop: Header=BB649_17 Depth=1
	s_or_b64 exec, exec, s[4:5]
	v_lshrrev_b32_e32 v32, 16, v30
	v_cmp_ne_u16_sdwa s[6:7], v32, v35 src0_sel:BYTE_0 src1_sel:DWORD
	s_and_saveexec_b64 s[4:5], s[6:7]
	s_cbranch_execz .LBB649_155
; %bb.150:                              ;   in Loop: Header=BB649_17 Depth=1
	v_cmp_ne_u16_sdwa s[10:11], v32, s13 src0_sel:BYTE_0 src1_sel:DWORD
	v_bfrev_b32_e32 v53, 1
	s_and_saveexec_b64 s[6:7], s[10:11]
	s_cbranch_execz .LBB649_154
; %bb.151:                              ;   in Loop: Header=BB649_17 Depth=1
	v_bfe_u32 v34, v30, 16, 7
	v_cmp_ne_u32_e32 vcc, s14, v34
	v_mov_b32_e32 v53, 0x7f800001
	s_and_saveexec_b64 s[10:11], vcc
	s_cbranch_execz .LBB649_153
; %bb.152:                              ;   in Loop: Header=BB649_17 Depth=1
	v_and_b32_e32 v53, 7, v32
	v_ffbh_u32_e32 v56, v53
	v_min_u32_e32 v58, 32, v56
	v_subrev_u32_e32 v56, 28, v58
	v_lshlrev_b64 v[56:57], v56, v[32:33]
	v_lshrrev_b32_e32 v55, 3, v34
	v_sub_u32_e32 v57, 29, v58
	v_and_b32_e32 v56, 7, v56
	v_cmp_gt_u32_e32 vcc, 8, v34
	v_cndmask_b32_e32 v34, v55, v57, vcc
	v_cndmask_b32_e32 v53, v53, v56, vcc
	v_lshlrev_b32_e32 v32, 24, v32
	v_lshlrev_b32_e32 v53, 20, v53
	v_and_b32_e32 v32, 0x80000000, v32
	v_lshl_add_u32 v34, v34, 23, v38
	v_or3_b32 v53, v32, v34, v53
.LBB649_153:                            ;   in Loop: Header=BB649_17 Depth=1
	s_or_b64 exec, exec, s[10:11]
.LBB649_154:                            ;   in Loop: Header=BB649_17 Depth=1
	s_or_b64 exec, exec, s[6:7]
.LBB649_155:                            ;   in Loop: Header=BB649_17 Depth=1
	s_or_b64 exec, exec, s[4:5]
	v_cmp_lt_u32_e32 vcc, s15, v30
	v_mov_b32_e32 v34, 0
	v_mov_b32_e32 v55, 0
	s_and_saveexec_b64 s[4:5], vcc
	s_cbranch_execz .LBB649_161
; %bb.156:                              ;   in Loop: Header=BB649_17 Depth=1
	v_lshrrev_b32_e32 v32, 24, v30
	v_cmp_ne_u32_e32 vcc, s13, v32
	v_bfrev_b32_e32 v55, 1
	s_and_saveexec_b64 s[6:7], vcc
	s_cbranch_execz .LBB649_160
; %bb.157:                              ;   in Loop: Header=BB649_17 Depth=1
	v_bfe_u32 v30, v30, 24, 7
	v_cmp_ne_u32_e32 vcc, s14, v30
	v_mov_b32_e32 v55, 0x7f800001
	s_and_saveexec_b64 s[10:11], vcc
	s_cbranch_execz .LBB649_159
; %bb.158:                              ;   in Loop: Header=BB649_17 Depth=1
	v_and_b32_e32 v55, 7, v32
	v_ffbh_u32_e32 v56, v55
	v_min_u32_e32 v59, 32, v56
	v_subrev_u32_e32 v56, 28, v59
	v_lshlrev_b64 v[56:57], v56, v[32:33]
	v_lshrrev_b32_e32 v58, 3, v30
	v_sub_u32_e32 v57, 29, v59
	v_and_b32_e32 v56, 7, v56
	v_cmp_gt_u32_e32 vcc, 8, v30
	v_cndmask_b32_e32 v30, v58, v57, vcc
	v_cndmask_b32_e32 v55, v55, v56, vcc
	v_lshlrev_b32_e32 v32, 24, v32
	v_lshlrev_b32_e32 v55, 20, v55
	v_and_b32_e32 v32, 0x80000000, v32
	v_lshl_add_u32 v30, v30, 23, v38
	v_or3_b32 v55, v32, v30, v55
.LBB649_159:                            ;   in Loop: Header=BB649_17 Depth=1
	s_or_b64 exec, exec, s[10:11]
.LBB649_160:                            ;   in Loop: Header=BB649_17 Depth=1
	s_or_b64 exec, exec, s[6:7]
.LBB649_161:                            ;   in Loop: Header=BB649_17 Depth=1
	s_or_b64 exec, exec, s[4:5]
	v_cvt_pkrtz_f16_f32 v56, v23, v42
	v_cvt_pkrtz_f16_f32 v57, v40, v52
	;; [unrolled: 1-line block ×4, first 2 shown]
	s_waitcnt vmcnt(1)
	v_cmp_ne_u16_sdwa s[6:7], v28, v35 src0_sel:BYTE_0 src1_sel:DWORD
	v_mfma_f32_16x16x16f16 v[18:21], v[56:57], v[10:11], v[18:21]
	v_mfma_f32_16x16x16f16 v[18:21], v[52:53], v[12:13], v[18:21]
	s_and_saveexec_b64 s[4:5], s[6:7]
	s_cbranch_execz .LBB649_167
; %bb.162:                              ;   in Loop: Header=BB649_17 Depth=1
	v_cmp_ne_u16_sdwa s[10:11], v28, s13 src0_sel:BYTE_0 src1_sel:DWORD
	v_bfrev_b32_e32 v34, 1
	s_and_saveexec_b64 s[6:7], s[10:11]
	s_cbranch_execz .LBB649_166
; %bb.163:                              ;   in Loop: Header=BB649_17 Depth=1
	v_and_b32_e32 v23, 0x7f, v28
	v_cmp_ne_u32_e32 vcc, s14, v23
	v_mov_b32_e32 v34, 0x7f800001
	s_and_saveexec_b64 s[10:11], vcc
	s_cbranch_execz .LBB649_165
; %bb.164:                              ;   in Loop: Header=BB649_17 Depth=1
	v_and_b32_e32 v30, 7, v28
	v_ffbh_u32_e32 v34, v30
	v_min_u32_e32 v34, 32, v34
	v_subrev_u32_e32 v40, 28, v34
	v_lshlrev_b64 v[52:53], v40, v[28:29]
	v_lshrrev_b32_e32 v32, 3, v23
	v_sub_u32_e32 v34, 29, v34
	v_and_b32_e32 v40, 7, v52
	v_cmp_gt_u32_e32 vcc, 8, v23
	v_cndmask_b32_e32 v23, v32, v34, vcc
	v_cndmask_b32_e32 v30, v30, v40, vcc
	v_lshlrev_b32_e32 v32, 24, v28
	v_lshlrev_b32_e32 v30, 20, v30
	v_and_b32_e32 v32, 0x80000000, v32
	v_lshl_add_u32 v23, v23, 23, v38
	v_or3_b32 v34, v32, v23, v30
.LBB649_165:                            ;   in Loop: Header=BB649_17 Depth=1
	s_or_b64 exec, exec, s[10:11]
.LBB649_166:                            ;   in Loop: Header=BB649_17 Depth=1
	s_or_b64 exec, exec, s[6:7]
.LBB649_167:                            ;   in Loop: Header=BB649_17 Depth=1
	s_or_b64 exec, exec, s[4:5]
	v_lshrrev_b16_e32 v30, 8, v28
	v_cmp_ne_u16_e32 vcc, 0, v30
	v_mov_b32_e32 v23, 0
	v_mov_b32_e32 v32, 0
	s_and_saveexec_b64 s[4:5], vcc
	s_cbranch_execz .LBB649_173
; %bb.168:                              ;   in Loop: Header=BB649_17 Depth=1
	v_cmp_ne_u16_e32 vcc, s13, v30
	v_bfrev_b32_e32 v32, 1
	s_and_saveexec_b64 s[6:7], vcc
	s_cbranch_execz .LBB649_172
; %bb.169:                              ;   in Loop: Header=BB649_17 Depth=1
	v_and_b32_e32 v40, 0x7f, v30
	v_cmp_ne_u32_e32 vcc, s14, v40
	v_mov_b32_e32 v32, 0x7f800001
	s_and_saveexec_b64 s[10:11], vcc
	s_cbranch_execz .LBB649_171
; %bb.170:                              ;   in Loop: Header=BB649_17 Depth=1
	v_and_b32_e32 v32, 7, v30
	v_ffbh_u32_e32 v44, v32
	v_min_u32_e32 v44, 32, v44
	v_subrev_u32_e32 v52, 28, v44
	v_lshlrev_b64 v[52:53], v52, v[30:31]
	v_lshrrev_b32_e32 v42, 3, v40
	v_sub_u32_e32 v30, 29, v44
	v_and_b32_e32 v44, 7, v52
	v_cmp_gt_u32_e32 vcc, 8, v40
	v_cndmask_b32_e32 v30, v42, v30, vcc
	v_cndmask_b32_e32 v32, v32, v44, vcc
	v_lshlrev_b32_e32 v40, 16, v28
	v_lshlrev_b32_e32 v32, 20, v32
	v_and_b32_e32 v40, 0x80000000, v40
	v_lshl_add_u32 v30, v30, 23, v38
	v_or3_b32 v32, v40, v30, v32
.LBB649_171:                            ;   in Loop: Header=BB649_17 Depth=1
	s_or_b64 exec, exec, s[10:11]
.LBB649_172:                            ;   in Loop: Header=BB649_17 Depth=1
	s_or_b64 exec, exec, s[6:7]
.LBB649_173:                            ;   in Loop: Header=BB649_17 Depth=1
	s_or_b64 exec, exec, s[4:5]
	v_lshrrev_b32_e32 v30, 16, v28
	v_cmp_ne_u16_sdwa s[6:7], v30, v35 src0_sel:BYTE_0 src1_sel:DWORD
	s_and_saveexec_b64 s[4:5], s[6:7]
	s_cbranch_execz .LBB649_179
; %bb.174:                              ;   in Loop: Header=BB649_17 Depth=1
	v_cmp_ne_u16_sdwa s[10:11], v30, s13 src0_sel:BYTE_0 src1_sel:DWORD
	v_bfrev_b32_e32 v23, 1
	s_and_saveexec_b64 s[6:7], s[10:11]
	s_cbranch_execz .LBB649_178
; %bb.175:                              ;   in Loop: Header=BB649_17 Depth=1
	v_bfe_u32 v40, v28, 16, 7
	v_cmp_ne_u32_e32 vcc, s14, v40
	v_mov_b32_e32 v23, 0x7f800001
	s_and_saveexec_b64 s[10:11], vcc
	s_cbranch_execz .LBB649_177
; %bb.176:                              ;   in Loop: Header=BB649_17 Depth=1
	v_and_b32_e32 v23, 7, v30
	v_ffbh_u32_e32 v44, v23
	v_min_u32_e32 v44, 32, v44
	v_subrev_u32_e32 v52, 28, v44
	v_lshlrev_b64 v[52:53], v52, v[30:31]
	v_lshrrev_b32_e32 v42, 3, v40
	v_sub_u32_e32 v44, 29, v44
	v_and_b32_e32 v52, 7, v52
	v_cmp_gt_u32_e32 vcc, 8, v40
	v_cndmask_b32_e32 v40, v42, v44, vcc
	v_cndmask_b32_e32 v23, v23, v52, vcc
	v_lshlrev_b32_e32 v30, 24, v30
	v_lshlrev_b32_e32 v23, 20, v23
	v_and_b32_e32 v30, 0x80000000, v30
	v_lshl_add_u32 v40, v40, 23, v38
	v_or3_b32 v23, v30, v40, v23
.LBB649_177:                            ;   in Loop: Header=BB649_17 Depth=1
	s_or_b64 exec, exec, s[10:11]
.LBB649_178:                            ;   in Loop: Header=BB649_17 Depth=1
	s_or_b64 exec, exec, s[6:7]
.LBB649_179:                            ;   in Loop: Header=BB649_17 Depth=1
	s_or_b64 exec, exec, s[4:5]
	v_cmp_lt_u32_e32 vcc, s15, v28
	v_mov_b32_e32 v40, 0
	v_mov_b32_e32 v42, 0
	s_and_saveexec_b64 s[4:5], vcc
	s_cbranch_execz .LBB649_185
; %bb.180:                              ;   in Loop: Header=BB649_17 Depth=1
	v_lshrrev_b32_e32 v30, 24, v28
	v_cmp_ne_u32_e32 vcc, s13, v30
	v_bfrev_b32_e32 v42, 1
	s_and_saveexec_b64 s[6:7], vcc
	s_cbranch_execz .LBB649_184
; %bb.181:                              ;   in Loop: Header=BB649_17 Depth=1
	v_bfe_u32 v28, v28, 24, 7
	v_cmp_ne_u32_e32 vcc, s14, v28
	v_mov_b32_e32 v42, 0x7f800001
	s_and_saveexec_b64 s[10:11], vcc
	s_cbranch_execz .LBB649_183
; %bb.182:                              ;   in Loop: Header=BB649_17 Depth=1
	v_and_b32_e32 v42, 7, v30
	v_ffbh_u32_e32 v52, v42
	v_min_u32_e32 v54, 32, v52
	v_subrev_u32_e32 v52, 28, v54
	v_lshlrev_b64 v[52:53], v52, v[30:31]
	v_lshrrev_b32_e32 v44, 3, v28
	v_sub_u32_e32 v53, 29, v54
	v_and_b32_e32 v52, 7, v52
	v_cmp_gt_u32_e32 vcc, 8, v28
	v_cndmask_b32_e32 v28, v44, v53, vcc
	v_cndmask_b32_e32 v42, v42, v52, vcc
	v_lshlrev_b32_e32 v30, 24, v30
	v_lshlrev_b32_e32 v42, 20, v42
	v_and_b32_e32 v30, 0x80000000, v30
	v_lshl_add_u32 v28, v28, 23, v38
	v_or3_b32 v42, v30, v28, v42
.LBB649_183:                            ;   in Loop: Header=BB649_17 Depth=1
	s_or_b64 exec, exec, s[10:11]
.LBB649_184:                            ;   in Loop: Header=BB649_17 Depth=1
	s_or_b64 exec, exec, s[6:7]
.LBB649_185:                            ;   in Loop: Header=BB649_17 Depth=1
	s_or_b64 exec, exec, s[4:5]
	s_waitcnt vmcnt(0)
	v_cmp_ne_u16_sdwa s[6:7], v26, v35 src0_sel:BYTE_0 src1_sel:DWORD
	s_and_saveexec_b64 s[4:5], s[6:7]
	s_cbranch_execz .LBB649_191
; %bb.186:                              ;   in Loop: Header=BB649_17 Depth=1
	v_cmp_ne_u16_sdwa s[10:11], v26, s13 src0_sel:BYTE_0 src1_sel:DWORD
	v_bfrev_b32_e32 v40, 1
	s_and_saveexec_b64 s[6:7], s[10:11]
	s_cbranch_execz .LBB649_190
; %bb.187:                              ;   in Loop: Header=BB649_17 Depth=1
	v_and_b32_e32 v28, 0x7f, v26
	v_cmp_ne_u32_e32 vcc, s14, v28
	v_mov_b32_e32 v40, 0x7f800001
	s_and_saveexec_b64 s[10:11], vcc
	s_cbranch_execz .LBB649_189
; %bb.188:                              ;   in Loop: Header=BB649_17 Depth=1
	v_and_b32_e32 v30, 7, v26
	v_ffbh_u32_e32 v44, v30
	v_min_u32_e32 v44, 32, v44
	v_subrev_u32_e32 v52, 28, v44
	v_lshlrev_b64 v[52:53], v52, v[26:27]
	v_lshrrev_b32_e32 v40, 3, v28
	v_sub_u32_e32 v44, 29, v44
	v_and_b32_e32 v52, 7, v52
	v_cmp_gt_u32_e32 vcc, 8, v28
	v_cndmask_b32_e32 v28, v40, v44, vcc
	v_cndmask_b32_e32 v30, v30, v52, vcc
	v_lshlrev_b32_e32 v40, 24, v26
	v_lshlrev_b32_e32 v30, 20, v30
	v_and_b32_e32 v40, 0x80000000, v40
	v_lshl_add_u32 v28, v28, 23, v38
	v_or3_b32 v40, v40, v28, v30
.LBB649_189:                            ;   in Loop: Header=BB649_17 Depth=1
	s_or_b64 exec, exec, s[10:11]
.LBB649_190:                            ;   in Loop: Header=BB649_17 Depth=1
	s_or_b64 exec, exec, s[6:7]
.LBB649_191:                            ;   in Loop: Header=BB649_17 Depth=1
	s_or_b64 exec, exec, s[4:5]
	v_lshrrev_b16_e32 v28, 8, v26
	v_cmp_ne_u16_e32 vcc, 0, v28
	v_mov_b32_e32 v30, 0
	v_mov_b32_e32 v44, 0
	s_and_saveexec_b64 s[4:5], vcc
	s_cbranch_execz .LBB649_197
; %bb.192:                              ;   in Loop: Header=BB649_17 Depth=1
	v_cmp_ne_u16_e32 vcc, s13, v28
	v_bfrev_b32_e32 v44, 1
	s_and_saveexec_b64 s[6:7], vcc
	s_cbranch_execz .LBB649_196
; %bb.193:                              ;   in Loop: Header=BB649_17 Depth=1
	v_and_b32_e32 v52, 0x7f, v28
	v_cmp_ne_u32_e32 vcc, s14, v52
	v_mov_b32_e32 v44, 0x7f800001
	s_and_saveexec_b64 s[10:11], vcc
	s_cbranch_execz .LBB649_195
; %bb.194:                              ;   in Loop: Header=BB649_17 Depth=1
	v_and_b32_e32 v44, 7, v28
	v_ffbh_u32_e32 v54, v44
	v_min_u32_e32 v56, 32, v54
	v_subrev_u32_e32 v54, 28, v56
	v_lshlrev_b64 v[54:55], v54, v[28:29]
	v_lshrrev_b32_e32 v53, 3, v52
	v_sub_u32_e32 v28, 29, v56
	v_and_b32_e32 v54, 7, v54
	v_cmp_gt_u32_e32 vcc, 8, v52
	v_cndmask_b32_e32 v28, v53, v28, vcc
	v_cndmask_b32_e32 v44, v44, v54, vcc
	v_lshlrev_b32_e32 v52, 16, v26
	v_lshlrev_b32_e32 v44, 20, v44
	v_and_b32_e32 v52, 0x80000000, v52
	v_lshl_add_u32 v28, v28, 23, v38
	v_or3_b32 v44, v52, v28, v44
.LBB649_195:                            ;   in Loop: Header=BB649_17 Depth=1
	s_or_b64 exec, exec, s[10:11]
.LBB649_196:                            ;   in Loop: Header=BB649_17 Depth=1
	s_or_b64 exec, exec, s[6:7]
.LBB649_197:                            ;   in Loop: Header=BB649_17 Depth=1
	s_or_b64 exec, exec, s[4:5]
	v_lshrrev_b32_e32 v28, 16, v26
	v_cmp_ne_u16_sdwa s[6:7], v28, v35 src0_sel:BYTE_0 src1_sel:DWORD
	s_and_saveexec_b64 s[4:5], s[6:7]
	s_cbranch_execz .LBB649_203
; %bb.198:                              ;   in Loop: Header=BB649_17 Depth=1
	v_cmp_ne_u16_sdwa s[10:11], v28, s13 src0_sel:BYTE_0 src1_sel:DWORD
	v_bfrev_b32_e32 v30, 1
	s_and_saveexec_b64 s[6:7], s[10:11]
	s_cbranch_execz .LBB649_202
; %bb.199:                              ;   in Loop: Header=BB649_17 Depth=1
	v_bfe_u32 v52, v26, 16, 7
	v_cmp_ne_u32_e32 vcc, s14, v52
	v_mov_b32_e32 v30, 0x7f800001
	s_and_saveexec_b64 s[10:11], vcc
	s_cbranch_execz .LBB649_201
; %bb.200:                              ;   in Loop: Header=BB649_17 Depth=1
	v_and_b32_e32 v30, 7, v28
	v_ffbh_u32_e32 v54, v30
	v_min_u32_e32 v56, 32, v54
	v_subrev_u32_e32 v54, 28, v56
	v_lshlrev_b64 v[54:55], v54, v[28:29]
	v_lshrrev_b32_e32 v53, 3, v52
	v_sub_u32_e32 v55, 29, v56
	v_and_b32_e32 v54, 7, v54
	v_cmp_gt_u32_e32 vcc, 8, v52
	v_cndmask_b32_e32 v52, v53, v55, vcc
	v_cndmask_b32_e32 v30, v30, v54, vcc
	v_lshlrev_b32_e32 v28, 24, v28
	v_lshlrev_b32_e32 v30, 20, v30
	v_and_b32_e32 v28, 0x80000000, v28
	v_lshl_add_u32 v52, v52, 23, v38
	v_or3_b32 v30, v28, v52, v30
.LBB649_201:                            ;   in Loop: Header=BB649_17 Depth=1
	s_or_b64 exec, exec, s[10:11]
.LBB649_202:                            ;   in Loop: Header=BB649_17 Depth=1
	s_or_b64 exec, exec, s[6:7]
.LBB649_203:                            ;   in Loop: Header=BB649_17 Depth=1
	s_or_b64 exec, exec, s[4:5]
	v_cmp_lt_u32_e32 vcc, s15, v26
	v_mov_b32_e32 v52, 0
	s_and_saveexec_b64 s[4:5], vcc
	s_cbranch_execz .LBB649_16
; %bb.204:                              ;   in Loop: Header=BB649_17 Depth=1
	v_lshrrev_b32_e32 v28, 24, v26
	v_cmp_ne_u32_e32 vcc, s13, v28
	v_bfrev_b32_e32 v52, 1
	s_and_saveexec_b64 s[6:7], vcc
	s_cbranch_execz .LBB649_15
; %bb.205:                              ;   in Loop: Header=BB649_17 Depth=1
	v_bfe_u32 v26, v26, 24, 7
	v_cmp_ne_u32_e32 vcc, s14, v26
	v_mov_b32_e32 v52, 0x7f800001
	s_and_saveexec_b64 s[10:11], vcc
	s_cbranch_execz .LBB649_14
; %bb.206:                              ;   in Loop: Header=BB649_17 Depth=1
	v_and_b32_e32 v54, 7, v28
	v_ffbh_u32_e32 v52, v54
	v_min_u32_e32 v56, 32, v52
	v_subrev_u32_e32 v52, 28, v56
	v_lshlrev_b64 v[52:53], v52, v[28:29]
	v_lshrrev_b32_e32 v55, 3, v26
	v_sub_u32_e32 v53, 29, v56
	v_and_b32_e32 v52, 7, v52
	v_cmp_gt_u32_e32 vcc, 8, v26
	v_cndmask_b32_e32 v26, v55, v53, vcc
	v_cndmask_b32_e32 v52, v54, v52, vcc
	v_lshlrev_b32_e32 v28, 24, v28
	v_lshlrev_b32_e32 v52, 20, v52
	v_and_b32_e32 v28, 0x80000000, v28
	v_lshl_add_u32 v26, v26, 23, v38
	v_or3_b32 v52, v28, v26, v52
	s_branch .LBB649_14
.LBB649_207:
	buffer_load_dword v17, off, s[0:3], 0 offset:256
	buffer_load_dword v16, off, s[0:3], 0 offset:260
	;; [unrolled: 1-line block ×16, first 2 shown]
	v_and_b32_e32 v18, 0xc0, v0
	v_add_u32_e32 v18, s20, v18
	v_lshl_or_b32 v18, v1, 2, v18
	v_or_b32_e32 v20, 1, v18
	v_subrev_u32_e32 v24, s33, v20
	v_add_u32_e32 v26, 1, v24
	v_cvt_f32_i32_e32 v25, v24
	v_add_u32_e32 v28, 2, v24
	v_add_u32_e32 v30, 3, v24
	;; [unrolled: 1-line block ×14, first 2 shown]
	v_cvt_f32_i32_e32 v26, v26
	v_cvt_f32_i32_e32 v28, v28
	;; [unrolled: 1-line block ×4, first 2 shown]
	v_mov_b32_e32 v19, 0xff7fffff
	v_or_b32_e32 v21, 2, v18
	v_or_b32_e32 v22, 3, v18
	v_cvt_f32_i32_e32 v32, v32
	v_cvt_f32_i32_e32 v34, v34
	v_cmp_gt_i32_e64 s[28:29], s33, v18
	v_cmp_gt_i32_e64 s[30:31], s33, v20
	s_mov_b32 s52, 0xff7fffff
	v_cmp_gt_i32_e64 s[34:35], s33, v21
	v_cmp_gt_i32_e64 s[36:37], s33, v22
	v_or_b32_e32 v23, 16, v18
	v_cvt_f32_i32_e32 v35, v35
	v_cvt_f32_i32_e32 v36, v36
	v_cmp_gt_i32_e64 s[24:25], s33, v23
	v_cvt_f32_i32_e32 v37, v37
	v_cvt_f32_i32_e32 v38, v38
	;; [unrolled: 1-line block ×7, first 2 shown]
	s_waitcnt vmcnt(15)
	v_fmac_f32_e32 v17, v31, v25
	s_waitcnt vmcnt(14)
	v_fmac_f32_e32 v16, v31, v26
	;; [unrolled: 2-line block ×4, first 2 shown]
	v_cndmask_b32_e64 v20, v19, v16, s[30:31]
	v_cndmask_b32_e64 v21, v19, v15, s[34:35]
	v_cndmask_b32_e64 v22, v19, v14, s[36:37]
	s_waitcnt vmcnt(11)
	v_fmac_f32_e32 v13, v31, v32
	s_waitcnt vmcnt(10)
	v_fmac_f32_e32 v12, v31, v34
	;; [unrolled: 2-line block ×9, first 2 shown]
	v_cndmask_b32_e64 v24, v19, v17, s[28:29]
	v_max3_f32 v20, v24, s52, v20
	v_max3_f32 v20, v20, v21, v22
	v_or_b32_e32 v22, 17, v18
	v_cmp_gt_i32_e64 s[38:39], s33, v22
	v_cndmask_b32_e64 v21, v19, v13, s[24:25]
	v_cndmask_b32_e64 v22, v19, v12, s[38:39]
	v_max3_f32 v20, v20, v21, v22
	v_or_b32_e32 v21, 18, v18
	v_or_b32_e32 v22, 19, v18
	v_cmp_gt_i32_e64 s[20:21], s33, v21
	v_cmp_gt_i32_e64 s[22:23], s33, v22
	v_cndmask_b32_e64 v21, v19, v11, s[20:21]
	v_cndmask_b32_e64 v22, v19, v10, s[22:23]
	v_max3_f32 v20, v20, v21, v22
	v_or_b32_e32 v21, 32, v18
	v_or_b32_e32 v22, 33, v18
	v_cmp_gt_i32_e64 s[16:17], s33, v21
	;; [unrolled: 7-line block ×3, first 2 shown]
	v_cmp_gt_i32_e64 s[14:15], s33, v22
	v_cndmask_b32_e64 v21, v19, v7, s[12:13]
	v_cndmask_b32_e64 v22, v19, v6, s[14:15]
	v_max3_f32 v20, v20, v21, v22
	v_or_b32_e32 v21, 48, v18
	v_or_b32_e32 v22, 49, v18
	v_fmac_f32_e32 v5, v31, v44
	v_fmac_f32_e32 v4, v31, v52
	v_cmp_gt_i32_e64 s[6:7], s33, v21
	v_cmp_gt_i32_e64 s[10:11], s33, v22
	v_cndmask_b32_e64 v21, v19, v5, s[6:7]
	v_cndmask_b32_e64 v22, v19, v4, s[10:11]
	v_max3_f32 v20, v20, v21, v22
	v_or_b32_e32 v21, 50, v18
	v_or_b32_e32 v18, 51, v18
	v_fmac_f32_e32 v3, v31, v53
	v_cmp_gt_i32_e32 vcc, s33, v21
	v_cmp_gt_i32_e64 s[4:5], s33, v18
	v_cndmask_b32_e32 v21, v19, v3, vcc
	v_cndmask_b32_e64 v18, v19, v2, s[4:5]
	v_mbcnt_lo_u32_b32 v19, -1, 0
	v_mbcnt_hi_u32_b32 v19, -1, v19
	v_max3_f32 v18, v20, v21, v18
	v_and_b32_e32 v20, 64, v19
	v_add_u32_e32 v20, 64, v20
	v_xor_b32_e32 v21, 32, v19
	v_cmp_lt_i32_e64 s[40:41], v21, v20
	v_cndmask_b32_e64 v21, v19, v21, s[40:41]
	v_lshlrev_b32_e32 v21, 2, v21
	ds_bpermute_b32 v22, v21, v18
	s_waitcnt lgkmcnt(0)
	v_max_f32_e32 v22, v22, v22
	v_max_f32_e32 v18, v18, v22
	v_xor_b32_e32 v22, 16, v19
	v_cmp_lt_i32_e64 s[40:41], v22, v20
	v_cndmask_b32_e64 v19, v19, v22, s[40:41]
	v_lshlrev_b32_e32 v19, 2, v19
	ds_bpermute_b32 v20, v19, v18
	s_waitcnt lgkmcnt(0)
	v_max_f32_e32 v20, v20, v20
	v_max_f32_e32 v18, v18, v20
	v_sub_f32_e32 v17, v17, v18
	v_mul_f32_e32 v17, 0x3fb8aa3b, v17
	v_sub_f32_e32 v16, v16, v18
	v_exp_f32_e32 v17, v17
	v_mul_f32_e32 v16, 0x3fb8aa3b, v16
	v_sub_f32_e32 v15, v15, v18
	v_exp_f32_e32 v16, v16
	;; [unrolled: 3-line block ×4, first 2 shown]
	v_mul_f32_e32 v13, 0x3fb8aa3b, v13
	v_sub_f32_e32 v12, v12, v18
	v_cndmask_b32_e64 v17, 0, v17, s[28:29]
	v_exp_f32_e32 v13, v13
	v_mul_f32_e32 v12, 0x3fb8aa3b, v12
	v_sub_f32_e32 v11, v11, v18
	v_add_f32_e32 v20, 0, v17
	v_cndmask_b32_e64 v16, 0, v16, s[30:31]
	v_exp_f32_e32 v12, v12
	v_mul_f32_e32 v11, 0x3fb8aa3b, v11
	v_sub_f32_e32 v10, v10, v18
	v_add_f32_e32 v20, v20, v16
	;; [unrolled: 5-line block ×4, first 2 shown]
	v_cndmask_b32_e64 v13, 0, v13, s[24:25]
	v_exp_f32_e32 v9, v9
	v_mul_f32_e32 v8, 0x3fb8aa3b, v8
	v_sub_f32_e32 v7, v7, v18
	buffer_store_dword v17, off, s[0:3], 0 offset:256
	buffer_store_dword v16, off, s[0:3], 0 offset:260
	;; [unrolled: 1-line block ×4, first 2 shown]
	v_add_f32_e32 v14, v20, v13
	v_cndmask_b32_e64 v12, 0, v12, s[38:39]
	v_exp_f32_e32 v8, v8
	v_mul_f32_e32 v7, 0x3fb8aa3b, v7
	v_sub_f32_e32 v6, v6, v18
	v_add_f32_e32 v14, v14, v12
	v_cndmask_b32_e64 v11, 0, v11, s[20:21]
	v_exp_f32_e32 v7, v7
	v_mul_f32_e32 v6, 0x3fb8aa3b, v6
	v_sub_f32_e32 v5, v5, v18
	v_add_f32_e32 v14, v14, v11
	v_cndmask_b32_e64 v10, 0, v10, s[22:23]
	v_exp_f32_e32 v6, v6
	v_mul_f32_e32 v5, 0x3fb8aa3b, v5
	v_sub_f32_e32 v4, v4, v18
	v_add_f32_e32 v14, v14, v10
	v_cndmask_b32_e64 v9, 0, v9, s[16:17]
	v_exp_f32_e32 v5, v5
	v_mul_f32_e32 v4, 0x3fb8aa3b, v4
	v_sub_f32_e32 v3, v3, v18
	buffer_store_dword v13, off, s[0:3], 0 offset:272
	buffer_store_dword v12, off, s[0:3], 0 offset:276
	;; [unrolled: 1-line block ×4, first 2 shown]
	v_add_f32_e32 v10, v14, v9
	v_cndmask_b32_e64 v8, 0, v8, s[18:19]
	v_exp_f32_e32 v4, v4
	v_mul_f32_e32 v3, 0x3fb8aa3b, v3
	v_sub_f32_e32 v2, v2, v18
	v_add_f32_e32 v10, v10, v8
	v_cndmask_b32_e64 v7, 0, v7, s[12:13]
	v_exp_f32_e32 v3, v3
	v_mul_f32_e32 v2, 0x3fb8aa3b, v2
	v_add_f32_e32 v10, v10, v7
	v_cndmask_b32_e64 v6, 0, v6, s[14:15]
	v_exp_f32_e32 v2, v2
	v_add_f32_e32 v10, v10, v6
	v_cndmask_b32_e64 v5, 0, v5, s[6:7]
	buffer_store_dword v9, off, s[0:3], 0 offset:288
	buffer_store_dword v8, off, s[0:3], 0 offset:292
	;; [unrolled: 1-line block ×4, first 2 shown]
	v_add_f32_e32 v6, v10, v5
	v_cndmask_b32_e64 v4, 0, v4, s[10:11]
	v_add_f32_e32 v6, v6, v4
	v_cndmask_b32_e32 v3, 0, v3, vcc
	v_add_f32_e32 v6, v6, v3
	v_cndmask_b32_e64 v2, 0, v2, s[4:5]
	v_add_f32_e32 v6, v6, v2
	ds_bpermute_b32 v7, v21, v6
	buffer_store_dword v5, off, s[0:3], 0 offset:304
	buffer_store_dword v4, off, s[0:3], 0 offset:308
	;; [unrolled: 1-line block ×4, first 2 shown]
	v_cmp_gt_u32_e32 vcc, 16, v33
	s_waitcnt lgkmcnt(0)
	s_barrier
	v_add_f32_e32 v2, v6, v7
	ds_bpermute_b32 v3, v19, v2
	s_waitcnt lgkmcnt(0)
	s_and_saveexec_b64 s[4:5], vcc
	s_cbranch_execz .LBB649_209
; %bb.208:
	v_add_f32_e32 v2, v2, v3
	v_lshlrev_b32_e32 v3, 2, v29
	ds_write2st64_b32 v3, v18, v2 offset1:1
.LBB649_209:
	s_or_b64 exec, exec, s[4:5]
	v_lshlrev_b32_e32 v2, 2, v41
	s_waitcnt lgkmcnt(0)
	s_barrier
	ds_read2_b32 v[12:13], v2 offset1:16
	ds_read2_b32 v[14:15], v2 offset0:32 offset1:48
	ds_read2_b32 v[6:7], v2 offset0:64 offset1:80
	;; [unrolled: 1-line block ×3, first 2 shown]
	s_waitcnt lgkmcnt(0)
	s_barrier
	buffer_load_dword v20, off, s[0:3], 0 offset:256
	buffer_load_dword v21, off, s[0:3], 0 offset:260
	buffer_load_dword v22, off, s[0:3], 0 offset:264
	buffer_load_dword v23, off, s[0:3], 0 offset:268
	buffer_load_dword v24, off, s[0:3], 0 offset:280
	buffer_load_dword v25, off, s[0:3], 0 offset:284
	buffer_load_dword v28, off, s[0:3], 0 offset:272
	buffer_load_dword v29, off, s[0:3], 0 offset:276
	buffer_load_dword v4, off, s[0:3], 0 offset:296
	buffer_load_dword v5, off, s[0:3], 0 offset:300
	buffer_load_dword v2, off, s[0:3], 0 offset:288
	buffer_load_dword v3, off, s[0:3], 0 offset:292
	buffer_load_dword v8, off, s[0:3], 0 offset:304
	buffer_load_dword v9, off, s[0:3], 0 offset:308
	buffer_load_dword v16, off, s[0:3], 0 offset:312
	buffer_load_dword v17, off, s[0:3], 0 offset:316
	v_lshlrev_b32_e32 v19, 3, v1
	v_lshlrev_b32_e32 v18, 5, v41
	;; [unrolled: 1-line block ×3, first 2 shown]
	v_or3_b32 v52, v26, v18, v19
	v_max3_f32 v19, v12, s52, v13
	v_max3_f32 v19, v19, v14, v15
	v_sub_f32_e32 v12, v12, v19
	v_sub_f32_e32 v13, v13, v19
	v_mul_f32_e32 v12, 0x3fb8aa3b, v12
	v_sub_f32_e32 v14, v14, v19
	v_mul_f32_e32 v13, 0x3fb8aa3b, v13
	v_exp_f32_e32 v12, v12
	v_sub_f32_e32 v15, v15, v19
	v_mul_f32_e32 v14, 0x3fb8aa3b, v14
	v_exp_f32_e32 v13, v13
	v_mul_f32_e32 v15, 0x3fb8aa3b, v15
	v_exp_f32_e32 v14, v14
	v_exp_f32_e32 v15, v15
	v_fma_f32 v6, v12, v6, 0
	v_fmac_f32_e32 v6, v13, v7
	v_fmac_f32_e32 v6, v14, v10
	;; [unrolled: 1-line block ×3, first 2 shown]
	v_cmp_eq_u32_e32 vcc, 1, v27
	v_add_f32_e32 v10, 0x358637bd, v6
	v_cndmask_b32_e32 v12, v12, v13, vcc
	v_cmp_eq_u32_e32 vcc, 2, v27
	v_div_scale_f32 v11, s[4:5], v10, v10, 1.0
	v_cndmask_b32_e32 v7, v12, v14, vcc
	v_rcp_f32_e32 v12, v11
	v_cmp_eq_u32_e32 vcc, 3, v27
	v_cndmask_b32_e32 v7, v7, v15, vcc
	v_div_scale_f32 v13, vcc, 1.0, v10, 1.0
	v_fma_f32 v14, -v11, v12, 1.0
	v_fmac_f32_e32 v12, v14, v12
	v_mul_f32_e32 v14, v13, v12
	v_fma_f32 v15, -v11, v14, v13
	v_fmac_f32_e32 v14, v15, v12
	v_fma_f32 v11, -v11, v14, v13
	v_div_fmas_f32 v11, v11, v12, v14
	v_div_fixup_f32 v10, v11, v10, 1.0
	v_mul_f32_e32 v10, v7, v10
	s_mul_i32 s18, s49, 12
	v_cmp_gt_u32_e32 vcc, 12, v0
	s_waitcnt vmcnt(14)
	v_pk_mul_f32 v[14:15], v[10:11], v[20:21] op_sel_hi:[0,1]
	v_cvt_f16_f32_e32 v7, v14
	s_waitcnt vmcnt(12)
	v_pk_mul_f32 v[12:13], v[10:11], v[22:23] op_sel_hi:[0,1]
	buffer_store_dword v14, off, s[0:3], 0 offset:256
	buffer_store_dword v15, off, s[0:3], 0 offset:260
	;; [unrolled: 1-line block ×3, first 2 shown]
	s_waitcnt vmcnt(13)
	v_pk_mul_f32 v[20:21], v[10:11], v[24:25] op_sel_hi:[0,1]
	v_cvt_f16_f32_e32 v14, v12
	s_waitcnt vmcnt(11)
	v_pk_mul_f32 v[22:23], v[10:11], v[28:29] op_sel_hi:[0,1]
	v_cvt_f16_f32_e32 v11, v15
	v_cvt_f16_f32_e32 v15, v13
	buffer_store_dword v13, off, s[0:3], 0 offset:268
	buffer_store_dword v22, off, s[0:3], 0 offset:272
	;; [unrolled: 1-line block ×3, first 2 shown]
	v_pack_b32_f16 v12, v7, v11
	v_cvt_f16_f32_e32 v11, v23
	v_pack_b32_f16 v13, v14, v15
	v_cvt_f16_f32_e32 v7, v22
	v_cvt_f16_f32_e32 v15, v20
	;; [unrolled: 1-line block ×3, first 2 shown]
	s_waitcnt vmcnt(12)
	v_pk_mul_f32 v[4:5], v[10:11], v[4:5] op_sel_hi:[0,1]
	v_pack_b32_f16 v14, v7, v11
	s_waitcnt vmcnt(10)
	v_pk_mul_f32 v[2:3], v[10:11], v[2:3] op_sel_hi:[0,1]
	v_pack_b32_f16 v15, v15, v22
	v_cvt_f16_f32_e32 v11, v5
	buffer_store_dword v20, off, s[0:3], 0 offset:280
	buffer_store_dword v21, off, s[0:3], 0 offset:284
	ds_write2st64_b64 v52, v[12:13], v[14:15] offset1:1
	buffer_store_dword v2, off, s[0:3], 0 offset:288
	buffer_store_dword v3, off, s[0:3], 0 offset:292
	v_cvt_f16_f32_e32 v2, v2
	v_cvt_f16_f32_e32 v3, v3
	v_cvt_f16_f32_e32 v7, v4
	buffer_store_dword v4, off, s[0:3], 0 offset:296
	buffer_store_dword v5, off, s[0:3], 0 offset:300
	s_waitcnt vmcnt(12)
	v_pk_mul_f32 v[4:5], v[10:11], v[16:17] op_sel_hi:[0,1]
	v_pk_mul_f32 v[8:9], v[10:11], v[8:9] op_sel_hi:[0,1]
	v_pack_b32_f16 v2, v2, v3
	v_pack_b32_f16 v3, v7, v11
	buffer_store_dword v8, off, s[0:3], 0 offset:304
	buffer_store_dword v9, off, s[0:3], 0 offset:308
	v_cvt_f16_f32_e32 v7, v8
	v_cvt_f16_f32_e32 v8, v9
	;; [unrolled: 1-line block ×4, first 2 shown]
	buffer_store_dword v4, off, s[0:3], 0 offset:312
	buffer_store_dword v5, off, s[0:3], 0 offset:316
	v_pack_b32_f16 v4, v7, v8
	v_pack_b32_f16 v5, v9, v10
	ds_write2st64_b64 v52, v[2:3], v[4:5] offset0:2 offset1:3
	s_and_saveexec_b64 s[4:5], vcc
	s_cbranch_execz .LBB649_211
; %bb.210:
	v_add_co_u32_e32 v4, vcc, s27, v41
	v_addc_co_u32_e64 v5, s[6:7], 0, 0, vcc
	v_mov_b32_e32 v2, s18
	v_mad_u64_u32 v[4:5], s[6:7], s8, v2, v[4:5]
	v_mov_b32_e32 v3, 0
	s_mul_i32 s6, s9, s18
	v_mov_b32_e32 v2, s26
	v_add_u32_e32 v5, s6, v5
	v_mad_u64_u32 v[2:3], s[6:7], v4, s48, v[2:3]
	v_mov_b32_e32 v4, v3
	v_mad_u64_u32 v[4:5], s[6:7], v5, s48, v[4:5]
	v_mov_b32_e32 v3, v4
	v_lshlrev_b64 v[2:3], 2, v[2:3]
	v_mov_b32_e32 v5, s47
	v_add_co_u32_e32 v4, vcc, s46, v2
	v_addc_co_u32_e32 v5, vcc, v5, v3, vcc
	global_store_dword v[4:5], v19, off
	v_mov_b32_e32 v4, s45
	v_add_co_u32_e32 v2, vcc, s44, v2
	v_addc_co_u32_e32 v3, vcc, v4, v3, vcc
	global_store_dword v[2:3], v6, off
.LBB649_211:
	s_or_b64 exec, exec, s[4:5]
	v_lshl_or_b32 v30, v1, 9, v18
	s_waitcnt lgkmcnt(0)
	s_barrier
	s_load_dword s4, s[42:43], 0x0
	ds_read_b128 v[2:5], v30
	ds_read_b128 v[6:9], v30 offset:16
	ds_read_b128 v[10:13], v30 offset:2048
	;; [unrolled: 1-line block ×7, first 2 shown]
	v_mov_b32_e32 v35, 0x80
	v_mov_b32_e32 v53, 0x140
	s_mov_b64 s[10:11], -1
	s_waitcnt lgkmcnt(0)
	s_mov_b32 s5, s4
	s_mov_b32 s6, s4
	s_mov_b32 s7, s4
	s_movk_i32 s9, 0x80
	s_movk_i32 s19, 0x7f
	s_mov_b32 s20, 0xffffff
	v_mov_b32_e32 v54, 0
	v_bfrev_b32_e32 v55, 60
	s_branch .LBB649_215
.LBB649_212:                            ;   in Loop: Header=BB649_215 Depth=1
	s_or_b64 exec, exec, s[16:17]
.LBB649_213:                            ;   in Loop: Header=BB649_215 Depth=1
	s_or_b64 exec, exec, s[14:15]
.LBB649_214:                            ;   in Loop: Header=BB649_215 Depth=1
	s_or_b64 exec, exec, s[12:13]
	v_cvt_pkrtz_f16_f32 v60, v46, v50
	v_cvt_pkrtz_f16_f32 v61, v44, v56
	s_xor_b64 s[12:13], s[10:11], -1
	s_mov_b64 s[10:11], 0
	v_mov_b32_e32 v46, v47
	v_mfma_f32_16x16x16f16 v[60:63], v[60:61], v[30:31], v[34:37]
	v_mov_b32_e32 v50, v49
	s_and_b64 vcc, exec, s[12:13]
	s_nop 4
	v_cvt_pkrtz_f16_f32 v36, v51, v57
	v_cvt_pkrtz_f16_f32 v37, v42, v58
	v_mov_b32_e32 v35, v45
	v_mov_b32_e32 v51, v48
	v_mfma_f32_16x16x16f16 v[56:59], v[36:37], v[32:33], v[60:63]
	s_nop 7
	s_nop 2
	v_pk_mul_f32 v[56:57], v[56:57], s[4:5]
	v_pk_mul_f32 v[36:37], v[58:59], s[6:7]
	v_cvt_f16_f32_e32 v34, v56
	v_cvt_f16_f32_e32 v38, v57
	;; [unrolled: 1-line block ×4, first 2 shown]
	v_pack_b32_f16 v34, v34, v38
	v_pack_b32_f16 v36, v36, v37
	buffer_store_dword v34, v53, s[0:3], 0 offen
	buffer_store_dword v36, v53, s[0:3], 0 offen offset:4
	v_mov_b32_e32 v53, 0x148
	s_cbranch_vccnz .LBB649_597
.LBB649_215:                            ; =>This Inner Loop Header: Depth=1
	buffer_load_dword v36, v35, s[0:3], 0 offen
	buffer_load_dword v34, v35, s[0:3], 0 offen offset:4
	buffer_load_dword v40, v35, s[0:3], 0 offen offset:8
	buffer_load_dword v38, v35, s[0:3], 0 offen offset:12
	v_mov_b32_e32 v35, 0
	s_waitcnt vmcnt(3)
	v_cmp_ne_u16_sdwa s[14:15], v36, v54 src0_sel:BYTE_0 src1_sel:DWORD
	s_and_saveexec_b64 s[12:13], s[14:15]
	s_cbranch_execz .LBB649_221
; %bb.216:                              ;   in Loop: Header=BB649_215 Depth=1
	v_cmp_ne_u16_sdwa s[16:17], v36, s9 src0_sel:BYTE_0 src1_sel:DWORD
	v_bfrev_b32_e32 v35, 1
	s_and_saveexec_b64 s[14:15], s[16:17]
	s_cbranch_execz .LBB649_220
; %bb.217:                              ;   in Loop: Header=BB649_215 Depth=1
	v_and_b32_e32 v37, 0x7f, v36
	v_cmp_ne_u32_e32 vcc, s19, v37
	v_mov_b32_e32 v35, 0x7f800001
	s_and_saveexec_b64 s[16:17], vcc
	s_cbranch_execz .LBB649_219
; %bb.218:                              ;   in Loop: Header=BB649_215 Depth=1
	v_and_b32_e32 v35, 7, v36
	v_ffbh_u32_e32 v44, v35
	v_min_u32_e32 v44, 32, v44
	v_subrev_u32_e32 v56, 28, v44
	v_lshlrev_b64 v[56:57], v56, v[36:37]
	v_lshrrev_b32_e32 v42, 3, v37
	v_sub_u32_e32 v44, 29, v44
	v_and_b32_e32 v56, 7, v56
	v_cmp_gt_u32_e32 vcc, 8, v37
	v_cndmask_b32_e32 v37, v42, v44, vcc
	v_cndmask_b32_e32 v35, v35, v56, vcc
	v_lshlrev_b32_e32 v42, 24, v36
	v_lshlrev_b32_e32 v35, 20, v35
	v_and_b32_e32 v42, 0x80000000, v42
	v_lshl_add_u32 v37, v37, 23, v55
	v_or3_b32 v35, v42, v37, v35
.LBB649_219:                            ;   in Loop: Header=BB649_215 Depth=1
	s_or_b64 exec, exec, s[16:17]
.LBB649_220:                            ;   in Loop: Header=BB649_215 Depth=1
	s_or_b64 exec, exec, s[14:15]
.LBB649_221:                            ;   in Loop: Header=BB649_215 Depth=1
	s_or_b64 exec, exec, s[12:13]
	v_lshrrev_b16_e32 v42, 8, v36
	v_cmp_ne_u16_e32 vcc, 0, v42
	v_mov_b32_e32 v37, 0
	s_and_saveexec_b64 s[12:13], vcc
	s_cbranch_execz .LBB649_227
; %bb.222:                              ;   in Loop: Header=BB649_215 Depth=1
	v_cmp_ne_u16_e32 vcc, s9, v42
	v_bfrev_b32_e32 v37, 1
	s_and_saveexec_b64 s[14:15], vcc
	s_cbranch_execz .LBB649_226
; %bb.223:                              ;   in Loop: Header=BB649_215 Depth=1
	v_and_b32_e32 v44, 0x7f, v42
	v_cmp_ne_u32_e32 vcc, s19, v44
	v_mov_b32_e32 v37, 0x7f800001
	s_and_saveexec_b64 s[16:17], vcc
	s_cbranch_execz .LBB649_225
; %bb.224:                              ;   in Loop: Header=BB649_215 Depth=1
	v_and_b32_e32 v37, 7, v42
	v_ffbh_u32_e32 v56, v37
	v_min_u32_e32 v59, 32, v56
	v_subrev_u32_e32 v56, 28, v59
	v_lshlrev_b64 v[56:57], v56, v[42:43]
	v_lshrrev_b32_e32 v58, 3, v44
	v_sub_u32_e32 v42, 29, v59
	v_and_b32_e32 v56, 7, v56
	v_cmp_gt_u32_e32 vcc, 8, v44
	v_cndmask_b32_e32 v42, v58, v42, vcc
	v_cndmask_b32_e32 v37, v37, v56, vcc
	v_lshlrev_b32_e32 v44, 16, v36
	v_lshlrev_b32_e32 v37, 20, v37
	v_and_b32_e32 v44, 0x80000000, v44
	v_lshl_add_u32 v42, v42, 23, v55
	v_or3_b32 v37, v44, v42, v37
.LBB649_225:                            ;   in Loop: Header=BB649_215 Depth=1
	s_or_b64 exec, exec, s[16:17]
.LBB649_226:                            ;   in Loop: Header=BB649_215 Depth=1
	s_or_b64 exec, exec, s[14:15]
.LBB649_227:                            ;   in Loop: Header=BB649_215 Depth=1
	s_or_b64 exec, exec, s[12:13]
	v_lshrrev_b32_e32 v42, 16, v36
	v_cmp_ne_u16_sdwa s[14:15], v42, v54 src0_sel:BYTE_0 src1_sel:DWORD
	v_mov_b32_e32 v56, 0
	v_mov_b32_e32 v44, 0
	s_and_saveexec_b64 s[12:13], s[14:15]
	s_cbranch_execz .LBB649_233
; %bb.228:                              ;   in Loop: Header=BB649_215 Depth=1
	v_cmp_ne_u16_sdwa s[16:17], v42, s9 src0_sel:BYTE_0 src1_sel:DWORD
	v_bfrev_b32_e32 v44, 1
	s_and_saveexec_b64 s[14:15], s[16:17]
	s_cbranch_execz .LBB649_232
; %bb.229:                              ;   in Loop: Header=BB649_215 Depth=1
	v_bfe_u32 v57, v36, 16, 7
	v_cmp_ne_u32_e32 vcc, s19, v57
	v_mov_b32_e32 v44, 0x7f800001
	s_and_saveexec_b64 s[16:17], vcc
	s_cbranch_execz .LBB649_231
; %bb.230:                              ;   in Loop: Header=BB649_215 Depth=1
	v_and_b32_e32 v44, 7, v42
	v_ffbh_u32_e32 v58, v44
	v_min_u32_e32 v61, 32, v58
	v_subrev_u32_e32 v58, 28, v61
	v_lshlrev_b64 v[58:59], v58, v[42:43]
	v_lshrrev_b32_e32 v60, 3, v57
	v_sub_u32_e32 v59, 29, v61
	v_and_b32_e32 v58, 7, v58
	v_cmp_gt_u32_e32 vcc, 8, v57
	v_cndmask_b32_e32 v57, v60, v59, vcc
	v_cndmask_b32_e32 v44, v44, v58, vcc
	v_lshlrev_b32_e32 v42, 24, v42
	v_lshlrev_b32_e32 v44, 20, v44
	v_and_b32_e32 v42, 0x80000000, v42
	v_lshl_add_u32 v57, v57, 23, v55
	v_or3_b32 v44, v42, v57, v44
.LBB649_231:                            ;   in Loop: Header=BB649_215 Depth=1
	s_or_b64 exec, exec, s[16:17]
.LBB649_232:                            ;   in Loop: Header=BB649_215 Depth=1
	s_or_b64 exec, exec, s[14:15]
.LBB649_233:                            ;   in Loop: Header=BB649_215 Depth=1
	s_or_b64 exec, exec, s[12:13]
	v_cmp_lt_u32_e32 vcc, s20, v36
	s_and_saveexec_b64 s[12:13], vcc
	s_cbranch_execz .LBB649_239
; %bb.234:                              ;   in Loop: Header=BB649_215 Depth=1
	v_lshrrev_b32_e32 v42, 24, v36
	v_cmp_ne_u32_e32 vcc, s9, v42
	v_bfrev_b32_e32 v56, 1
	s_and_saveexec_b64 s[14:15], vcc
	s_cbranch_execz .LBB649_238
; %bb.235:                              ;   in Loop: Header=BB649_215 Depth=1
	v_bfe_u32 v36, v36, 24, 7
	v_cmp_ne_u32_e32 vcc, s19, v36
	v_mov_b32_e32 v56, 0x7f800001
	s_and_saveexec_b64 s[16:17], vcc
	s_cbranch_execz .LBB649_237
; %bb.236:                              ;   in Loop: Header=BB649_215 Depth=1
	v_and_b32_e32 v58, 7, v42
	v_ffbh_u32_e32 v56, v58
	v_min_u32_e32 v60, 32, v56
	v_subrev_u32_e32 v56, 28, v60
	v_lshlrev_b64 v[56:57], v56, v[42:43]
	v_lshrrev_b32_e32 v59, 3, v36
	v_sub_u32_e32 v57, 29, v60
	v_and_b32_e32 v56, 7, v56
	v_cmp_gt_u32_e32 vcc, 8, v36
	v_cndmask_b32_e32 v36, v59, v57, vcc
	v_cndmask_b32_e32 v56, v58, v56, vcc
	v_lshlrev_b32_e32 v42, 24, v42
	v_lshlrev_b32_e32 v56, 20, v56
	v_and_b32_e32 v42, 0x80000000, v42
	v_lshl_add_u32 v36, v36, 23, v55
	v_or3_b32 v56, v42, v36, v56
.LBB649_237:                            ;   in Loop: Header=BB649_215 Depth=1
	s_or_b64 exec, exec, s[16:17]
.LBB649_238:                            ;   in Loop: Header=BB649_215 Depth=1
	s_or_b64 exec, exec, s[14:15]
.LBB649_239:                            ;   in Loop: Header=BB649_215 Depth=1
	s_or_b64 exec, exec, s[12:13]
	s_waitcnt vmcnt(2)
	v_cmp_ne_u16_sdwa s[14:15], v34, v54 src0_sel:BYTE_0 src1_sel:DWORD
	v_mov_b32_e32 v42, 0
	v_mov_b32_e32 v57, 0
	s_and_saveexec_b64 s[12:13], s[14:15]
	s_cbranch_execz .LBB649_245
; %bb.240:                              ;   in Loop: Header=BB649_215 Depth=1
	v_cmp_ne_u16_sdwa s[16:17], v34, s9 src0_sel:BYTE_0 src1_sel:DWORD
	v_bfrev_b32_e32 v57, 1
	s_and_saveexec_b64 s[14:15], s[16:17]
	s_cbranch_execz .LBB649_244
; %bb.241:                              ;   in Loop: Header=BB649_215 Depth=1
	v_and_b32_e32 v36, 0x7f, v34
	v_cmp_ne_u32_e32 vcc, s19, v36
	v_mov_b32_e32 v57, 0x7f800001
	s_and_saveexec_b64 s[16:17], vcc
	s_cbranch_execz .LBB649_243
; %bb.242:                              ;   in Loop: Header=BB649_215 Depth=1
	v_and_b32_e32 v57, 7, v34
	v_ffbh_u32_e32 v58, v57
	v_min_u32_e32 v61, 32, v58
	v_subrev_u32_e32 v58, 28, v61
	v_lshlrev_b64 v[58:59], v58, v[34:35]
	v_lshrrev_b32_e32 v60, 3, v36
	v_sub_u32_e32 v59, 29, v61
	v_and_b32_e32 v58, 7, v58
	v_cmp_gt_u32_e32 vcc, 8, v36
	v_cndmask_b32_e32 v36, v60, v59, vcc
	v_cndmask_b32_e32 v57, v57, v58, vcc
	v_lshlrev_b32_e32 v58, 24, v34
	v_lshlrev_b32_e32 v57, 20, v57
	v_and_b32_e32 v58, 0x80000000, v58
	v_lshl_add_u32 v36, v36, 23, v55
	v_or3_b32 v57, v58, v36, v57
.LBB649_243:                            ;   in Loop: Header=BB649_215 Depth=1
	s_or_b64 exec, exec, s[16:17]
.LBB649_244:                            ;   in Loop: Header=BB649_215 Depth=1
	s_or_b64 exec, exec, s[14:15]
.LBB649_245:                            ;   in Loop: Header=BB649_215 Depth=1
	s_or_b64 exec, exec, s[12:13]
	v_lshrrev_b16_e32 v36, 8, v34
	v_cmp_ne_u16_e32 vcc, 0, v36
	s_and_saveexec_b64 s[12:13], vcc
	s_cbranch_execz .LBB649_251
; %bb.246:                              ;   in Loop: Header=BB649_215 Depth=1
	v_cmp_ne_u16_e32 vcc, s9, v36
	v_bfrev_b32_e32 v42, 1
	s_and_saveexec_b64 s[14:15], vcc
	s_cbranch_execz .LBB649_250
; %bb.247:                              ;   in Loop: Header=BB649_215 Depth=1
	v_and_b32_e32 v58, 0x7f, v36
	v_cmp_ne_u32_e32 vcc, s19, v58
	v_mov_b32_e32 v42, 0x7f800001
	s_and_saveexec_b64 s[16:17], vcc
	s_cbranch_execz .LBB649_249
; %bb.248:                              ;   in Loop: Header=BB649_215 Depth=1
	v_and_b32_e32 v42, 7, v36
	v_ffbh_u32_e32 v60, v42
	v_min_u32_e32 v62, 32, v60
	v_subrev_u32_e32 v60, 28, v62
	v_lshlrev_b64 v[60:61], v60, v[36:37]
	v_lshrrev_b32_e32 v59, 3, v58
	v_sub_u32_e32 v36, 29, v62
	v_and_b32_e32 v60, 7, v60
	v_cmp_gt_u32_e32 vcc, 8, v58
	v_cndmask_b32_e32 v36, v59, v36, vcc
	v_cndmask_b32_e32 v42, v42, v60, vcc
	v_lshlrev_b32_e32 v58, 16, v34
	v_lshlrev_b32_e32 v42, 20, v42
	v_and_b32_e32 v58, 0x80000000, v58
	v_lshl_add_u32 v36, v36, 23, v55
	v_or3_b32 v42, v58, v36, v42
.LBB649_249:                            ;   in Loop: Header=BB649_215 Depth=1
	s_or_b64 exec, exec, s[16:17]
.LBB649_250:                            ;   in Loop: Header=BB649_215 Depth=1
	s_or_b64 exec, exec, s[14:15]
.LBB649_251:                            ;   in Loop: Header=BB649_215 Depth=1
	s_or_b64 exec, exec, s[12:13]
	v_lshrrev_b32_e32 v36, 16, v34
	v_cmp_ne_u16_sdwa s[14:15], v36, v54 src0_sel:BYTE_0 src1_sel:DWORD
	v_mov_b32_e32 v59, 0
	v_mov_b32_e32 v58, 0
	s_and_saveexec_b64 s[12:13], s[14:15]
	s_cbranch_execz .LBB649_257
; %bb.252:                              ;   in Loop: Header=BB649_215 Depth=1
	v_cmp_ne_u16_sdwa s[16:17], v36, s9 src0_sel:BYTE_0 src1_sel:DWORD
	v_bfrev_b32_e32 v58, 1
	s_and_saveexec_b64 s[14:15], s[16:17]
	s_cbranch_execz .LBB649_256
; %bb.253:                              ;   in Loop: Header=BB649_215 Depth=1
	v_bfe_u32 v60, v34, 16, 7
	v_cmp_ne_u32_e32 vcc, s19, v60
	v_mov_b32_e32 v58, 0x7f800001
	s_and_saveexec_b64 s[16:17], vcc
	s_cbranch_execz .LBB649_255
; %bb.254:                              ;   in Loop: Header=BB649_215 Depth=1
	v_and_b32_e32 v58, 7, v36
	v_ffbh_u32_e32 v62, v58
	v_min_u32_e32 v64, 32, v62
	v_subrev_u32_e32 v62, 28, v64
	v_lshlrev_b64 v[62:63], v62, v[36:37]
	v_lshrrev_b32_e32 v61, 3, v60
	v_sub_u32_e32 v63, 29, v64
	v_and_b32_e32 v62, 7, v62
	v_cmp_gt_u32_e32 vcc, 8, v60
	v_cndmask_b32_e32 v60, v61, v63, vcc
	v_cndmask_b32_e32 v58, v58, v62, vcc
	v_lshlrev_b32_e32 v36, 24, v36
	v_lshlrev_b32_e32 v58, 20, v58
	v_and_b32_e32 v36, 0x80000000, v36
	v_lshl_add_u32 v60, v60, 23, v55
	v_or3_b32 v58, v36, v60, v58
.LBB649_255:                            ;   in Loop: Header=BB649_215 Depth=1
	s_or_b64 exec, exec, s[16:17]
.LBB649_256:                            ;   in Loop: Header=BB649_215 Depth=1
	s_or_b64 exec, exec, s[14:15]
.LBB649_257:                            ;   in Loop: Header=BB649_215 Depth=1
	s_or_b64 exec, exec, s[12:13]
	v_cmp_lt_u32_e32 vcc, s20, v34
	s_and_saveexec_b64 s[12:13], vcc
	s_cbranch_execz .LBB649_263
; %bb.258:                              ;   in Loop: Header=BB649_215 Depth=1
	v_lshrrev_b32_e32 v36, 24, v34
	v_cmp_ne_u32_e32 vcc, s9, v36
	v_bfrev_b32_e32 v59, 1
	s_and_saveexec_b64 s[14:15], vcc
	s_cbranch_execz .LBB649_262
; %bb.259:                              ;   in Loop: Header=BB649_215 Depth=1
	v_bfe_u32 v34, v34, 24, 7
	v_cmp_ne_u32_e32 vcc, s19, v34
	v_mov_b32_e32 v59, 0x7f800001
	s_and_saveexec_b64 s[16:17], vcc
	s_cbranch_execz .LBB649_261
; %bb.260:                              ;   in Loop: Header=BB649_215 Depth=1
	v_and_b32_e32 v59, 7, v36
	v_ffbh_u32_e32 v60, v59
	v_min_u32_e32 v63, 32, v60
	v_subrev_u32_e32 v60, 28, v63
	v_lshlrev_b64 v[60:61], v60, v[36:37]
	v_lshrrev_b32_e32 v62, 3, v34
	v_sub_u32_e32 v61, 29, v63
	v_and_b32_e32 v60, 7, v60
	v_cmp_gt_u32_e32 vcc, 8, v34
	v_cndmask_b32_e32 v34, v62, v61, vcc
	v_cndmask_b32_e32 v59, v59, v60, vcc
	v_lshlrev_b32_e32 v36, 24, v36
	v_lshlrev_b32_e32 v59, 20, v59
	v_and_b32_e32 v36, 0x80000000, v36
	v_lshl_add_u32 v34, v34, 23, v55
	v_or3_b32 v59, v36, v34, v59
.LBB649_261:                            ;   in Loop: Header=BB649_215 Depth=1
	s_or_b64 exec, exec, s[16:17]
.LBB649_262:                            ;   in Loop: Header=BB649_215 Depth=1
	s_or_b64 exec, exec, s[14:15]
.LBB649_263:                            ;   in Loop: Header=BB649_215 Depth=1
	s_or_b64 exec, exec, s[12:13]
	v_cvt_pkrtz_f16_f32 v34, v35, v37
	v_cvt_pkrtz_f16_f32 v35, v44, v56
	;; [unrolled: 1-line block ×4, first 2 shown]
	v_mov_b32_e32 v44, 0
	v_mfma_f32_16x16x16f16 v[34:37], v[34:35], v[2:3], 0
	s_waitcnt vmcnt(1)
	v_cmp_ne_u16_sdwa s[14:15], v40, v54 src0_sel:BYTE_0 src1_sel:DWORD
	v_mov_b32_e32 v57, 0
	v_mfma_f32_16x16x16f16 v[34:37], v[60:61], v[4:5], v[34:37]
	s_and_saveexec_b64 s[12:13], s[14:15]
	s_cbranch_execz .LBB649_269
; %bb.264:                              ;   in Loop: Header=BB649_215 Depth=1
	v_cmp_ne_u16_sdwa s[16:17], v40, s9 src0_sel:BYTE_0 src1_sel:DWORD
	v_bfrev_b32_e32 v57, 1
	s_and_saveexec_b64 s[14:15], s[16:17]
	s_cbranch_execz .LBB649_268
; %bb.265:                              ;   in Loop: Header=BB649_215 Depth=1
	v_and_b32_e32 v42, 0x7f, v40
	v_cmp_ne_u32_e32 vcc, s19, v42
	v_mov_b32_e32 v57, 0x7f800001
	s_and_saveexec_b64 s[16:17], vcc
	s_cbranch_execz .LBB649_267
; %bb.266:                              ;   in Loop: Header=BB649_215 Depth=1
	v_and_b32_e32 v58, 7, v40
	v_ffbh_u32_e32 v56, v58
	v_min_u32_e32 v60, 32, v56
	v_subrev_u32_e32 v56, 28, v60
	v_lshlrev_b64 v[56:57], v56, v[40:41]
	v_lshrrev_b32_e32 v59, 3, v42
	v_sub_u32_e32 v57, 29, v60
	v_and_b32_e32 v56, 7, v56
	v_cmp_gt_u32_e32 vcc, 8, v42
	v_cndmask_b32_e32 v42, v59, v57, vcc
	v_cndmask_b32_e32 v56, v58, v56, vcc
	v_lshlrev_b32_e32 v57, 24, v40
	v_lshlrev_b32_e32 v56, 20, v56
	v_and_b32_e32 v57, 0x80000000, v57
	v_lshl_add_u32 v42, v42, 23, v55
	v_or3_b32 v57, v57, v42, v56
.LBB649_267:                            ;   in Loop: Header=BB649_215 Depth=1
	s_or_b64 exec, exec, s[16:17]
.LBB649_268:                            ;   in Loop: Header=BB649_215 Depth=1
	s_or_b64 exec, exec, s[14:15]
.LBB649_269:                            ;   in Loop: Header=BB649_215 Depth=1
	s_or_b64 exec, exec, s[12:13]
	v_lshrrev_b16_e32 v42, 8, v40
	v_cmp_ne_u16_e32 vcc, 0, v42
	v_mov_b32_e32 v58, 0
	s_and_saveexec_b64 s[12:13], vcc
	s_cbranch_execz .LBB649_275
; %bb.270:                              ;   in Loop: Header=BB649_215 Depth=1
	v_cmp_ne_u16_e32 vcc, s9, v42
	v_bfrev_b32_e32 v58, 1
	s_and_saveexec_b64 s[14:15], vcc
	s_cbranch_execz .LBB649_274
; %bb.271:                              ;   in Loop: Header=BB649_215 Depth=1
	v_and_b32_e32 v56, 0x7f, v42
	v_cmp_ne_u32_e32 vcc, s19, v56
	v_mov_b32_e32 v58, 0x7f800001
	s_and_saveexec_b64 s[16:17], vcc
	s_cbranch_execz .LBB649_273
; %bb.272:                              ;   in Loop: Header=BB649_215 Depth=1
	v_and_b32_e32 v60, 7, v42
	v_ffbh_u32_e32 v58, v60
	v_min_u32_e32 v62, 32, v58
	v_subrev_u32_e32 v58, 28, v62
	v_lshlrev_b64 v[58:59], v58, v[42:43]
	v_lshrrev_b32_e32 v61, 3, v56
	v_sub_u32_e32 v42, 29, v62
	v_and_b32_e32 v58, 7, v58
	v_cmp_gt_u32_e32 vcc, 8, v56
	v_cndmask_b32_e32 v42, v61, v42, vcc
	v_cndmask_b32_e32 v56, v60, v58, vcc
	v_lshlrev_b32_e32 v58, 16, v40
	v_lshlrev_b32_e32 v56, 20, v56
	v_and_b32_e32 v58, 0x80000000, v58
	v_lshl_add_u32 v42, v42, 23, v55
	v_or3_b32 v58, v58, v42, v56
.LBB649_273:                            ;   in Loop: Header=BB649_215 Depth=1
	s_or_b64 exec, exec, s[16:17]
.LBB649_274:                            ;   in Loop: Header=BB649_215 Depth=1
	s_or_b64 exec, exec, s[14:15]
.LBB649_275:                            ;   in Loop: Header=BB649_215 Depth=1
	s_or_b64 exec, exec, s[12:13]
	v_lshrrev_b32_e32 v42, 16, v40
	v_cmp_ne_u16_sdwa s[14:15], v42, v54 src0_sel:BYTE_0 src1_sel:DWORD
	s_and_saveexec_b64 s[12:13], s[14:15]
	s_cbranch_execz .LBB649_281
; %bb.276:                              ;   in Loop: Header=BB649_215 Depth=1
	v_cmp_ne_u16_sdwa s[16:17], v42, s9 src0_sel:BYTE_0 src1_sel:DWORD
	v_bfrev_b32_e32 v44, 1
	s_and_saveexec_b64 s[14:15], s[16:17]
	s_cbranch_execz .LBB649_280
; %bb.277:                              ;   in Loop: Header=BB649_215 Depth=1
	v_bfe_u32 v56, v40, 16, 7
	v_cmp_ne_u32_e32 vcc, s19, v56
	v_mov_b32_e32 v44, 0x7f800001
	s_and_saveexec_b64 s[16:17], vcc
	s_cbranch_execz .LBB649_279
; %bb.278:                              ;   in Loop: Header=BB649_215 Depth=1
	v_and_b32_e32 v44, 7, v42
	v_ffbh_u32_e32 v60, v44
	v_min_u32_e32 v62, 32, v60
	v_subrev_u32_e32 v60, 28, v62
	v_lshlrev_b64 v[60:61], v60, v[42:43]
	v_lshrrev_b32_e32 v59, 3, v56
	v_sub_u32_e32 v61, 29, v62
	v_and_b32_e32 v60, 7, v60
	v_cmp_gt_u32_e32 vcc, 8, v56
	v_cndmask_b32_e32 v56, v59, v61, vcc
	v_cndmask_b32_e32 v44, v44, v60, vcc
	v_lshlrev_b32_e32 v42, 24, v42
	v_lshlrev_b32_e32 v44, 20, v44
	v_and_b32_e32 v42, 0x80000000, v42
	v_lshl_add_u32 v56, v56, 23, v55
	v_or3_b32 v44, v42, v56, v44
.LBB649_279:                            ;   in Loop: Header=BB649_215 Depth=1
	s_or_b64 exec, exec, s[16:17]
.LBB649_280:                            ;   in Loop: Header=BB649_215 Depth=1
	s_or_b64 exec, exec, s[14:15]
.LBB649_281:                            ;   in Loop: Header=BB649_215 Depth=1
	s_or_b64 exec, exec, s[12:13]
	v_cmp_lt_u32_e32 vcc, s20, v40
	v_mov_b32_e32 v59, 0
	v_mov_b32_e32 v60, 0
	s_and_saveexec_b64 s[12:13], vcc
	s_cbranch_execz .LBB649_287
; %bb.282:                              ;   in Loop: Header=BB649_215 Depth=1
	v_lshrrev_b32_e32 v42, 24, v40
	v_cmp_ne_u32_e32 vcc, s9, v42
	v_bfrev_b32_e32 v60, 1
	s_and_saveexec_b64 s[14:15], vcc
	s_cbranch_execz .LBB649_286
; %bb.283:                              ;   in Loop: Header=BB649_215 Depth=1
	v_bfe_u32 v40, v40, 24, 7
	v_cmp_ne_u32_e32 vcc, s19, v40
	v_mov_b32_e32 v60, 0x7f800001
	s_and_saveexec_b64 s[16:17], vcc
	s_cbranch_execz .LBB649_285
; %bb.284:                              ;   in Loop: Header=BB649_215 Depth=1
	v_and_b32_e32 v56, 7, v42
	v_ffbh_u32_e32 v60, v56
	v_min_u32_e32 v63, 32, v60
	v_subrev_u32_e32 v60, 28, v63
	v_lshlrev_b64 v[60:61], v60, v[42:43]
	v_lshrrev_b32_e32 v62, 3, v40
	v_sub_u32_e32 v61, 29, v63
	v_and_b32_e32 v60, 7, v60
	v_cmp_gt_u32_e32 vcc, 8, v40
	v_cndmask_b32_e32 v40, v62, v61, vcc
	v_cndmask_b32_e32 v56, v56, v60, vcc
	v_lshlrev_b32_e32 v42, 24, v42
	v_lshlrev_b32_e32 v56, 20, v56
	v_and_b32_e32 v42, 0x80000000, v42
	v_lshl_add_u32 v40, v40, 23, v55
	v_or3_b32 v60, v42, v40, v56
.LBB649_285:                            ;   in Loop: Header=BB649_215 Depth=1
	s_or_b64 exec, exec, s[16:17]
.LBB649_286:                            ;   in Loop: Header=BB649_215 Depth=1
	s_or_b64 exec, exec, s[14:15]
.LBB649_287:                            ;   in Loop: Header=BB649_215 Depth=1
	s_or_b64 exec, exec, s[12:13]
	s_waitcnt vmcnt(0)
	v_cmp_ne_u16_sdwa s[14:15], v38, v54 src0_sel:BYTE_0 src1_sel:DWORD
	s_and_saveexec_b64 s[12:13], s[14:15]
	s_cbranch_execz .LBB649_293
; %bb.288:                              ;   in Loop: Header=BB649_215 Depth=1
	v_cmp_ne_u16_sdwa s[16:17], v38, s9 src0_sel:BYTE_0 src1_sel:DWORD
	v_bfrev_b32_e32 v59, 1
	s_and_saveexec_b64 s[14:15], s[16:17]
	s_cbranch_execz .LBB649_292
; %bb.289:                              ;   in Loop: Header=BB649_215 Depth=1
	v_and_b32_e32 v40, 0x7f, v38
	v_cmp_ne_u32_e32 vcc, s19, v40
	v_mov_b32_e32 v59, 0x7f800001
	s_and_saveexec_b64 s[16:17], vcc
	s_cbranch_execz .LBB649_291
; %bb.290:                              ;   in Loop: Header=BB649_215 Depth=1
	v_and_b32_e32 v42, 7, v38
	v_ffbh_u32_e32 v59, v42
	v_min_u32_e32 v59, 32, v59
	v_subrev_u32_e32 v61, 28, v59
	v_lshlrev_b64 v[62:63], v61, v[38:39]
	v_lshrrev_b32_e32 v56, 3, v40
	v_sub_u32_e32 v59, 29, v59
	v_and_b32_e32 v61, 7, v62
	v_cmp_gt_u32_e32 vcc, 8, v40
	v_cndmask_b32_e32 v40, v56, v59, vcc
	v_cndmask_b32_e32 v42, v42, v61, vcc
	v_lshlrev_b32_e32 v56, 24, v38
	v_lshlrev_b32_e32 v42, 20, v42
	v_and_b32_e32 v56, 0x80000000, v56
	v_lshl_add_u32 v40, v40, 23, v55
	v_or3_b32 v59, v56, v40, v42
.LBB649_291:                            ;   in Loop: Header=BB649_215 Depth=1
	s_or_b64 exec, exec, s[16:17]
.LBB649_292:                            ;   in Loop: Header=BB649_215 Depth=1
	s_or_b64 exec, exec, s[14:15]
.LBB649_293:                            ;   in Loop: Header=BB649_215 Depth=1
	s_or_b64 exec, exec, s[12:13]
	v_lshrrev_b16_e32 v40, 8, v38
	v_cmp_ne_u16_e32 vcc, 0, v40
	v_mov_b32_e32 v61, 0
	v_mov_b32_e32 v62, 0
	s_and_saveexec_b64 s[12:13], vcc
	s_cbranch_execz .LBB649_299
; %bb.294:                              ;   in Loop: Header=BB649_215 Depth=1
	v_cmp_ne_u16_e32 vcc, s9, v40
	v_bfrev_b32_e32 v62, 1
	s_and_saveexec_b64 s[14:15], vcc
	s_cbranch_execz .LBB649_298
; %bb.295:                              ;   in Loop: Header=BB649_215 Depth=1
	v_and_b32_e32 v42, 0x7f, v40
	v_cmp_ne_u32_e32 vcc, s19, v42
	v_mov_b32_e32 v62, 0x7f800001
	s_and_saveexec_b64 s[16:17], vcc
	s_cbranch_execz .LBB649_297
; %bb.296:                              ;   in Loop: Header=BB649_215 Depth=1
	v_and_b32_e32 v56, 7, v40
	v_ffbh_u32_e32 v62, v56
	v_min_u32_e32 v65, 32, v62
	v_subrev_u32_e32 v62, 28, v65
	v_lshlrev_b64 v[62:63], v62, v[40:41]
	v_lshrrev_b32_e32 v64, 3, v42
	v_sub_u32_e32 v40, 29, v65
	v_and_b32_e32 v62, 7, v62
	v_cmp_gt_u32_e32 vcc, 8, v42
	v_cndmask_b32_e32 v40, v64, v40, vcc
	v_cndmask_b32_e32 v42, v56, v62, vcc
	v_lshlrev_b32_e32 v56, 16, v38
	v_lshlrev_b32_e32 v42, 20, v42
	v_and_b32_e32 v56, 0x80000000, v56
	v_lshl_add_u32 v40, v40, 23, v55
	v_or3_b32 v62, v56, v40, v42
.LBB649_297:                            ;   in Loop: Header=BB649_215 Depth=1
	s_or_b64 exec, exec, s[16:17]
.LBB649_298:                            ;   in Loop: Header=BB649_215 Depth=1
	s_or_b64 exec, exec, s[14:15]
.LBB649_299:                            ;   in Loop: Header=BB649_215 Depth=1
	s_or_b64 exec, exec, s[12:13]
	v_lshrrev_b32_e32 v40, 16, v38
	v_cmp_ne_u16_sdwa s[14:15], v40, v54 src0_sel:BYTE_0 src1_sel:DWORD
	s_and_saveexec_b64 s[12:13], s[14:15]
	s_cbranch_execz .LBB649_305
; %bb.300:                              ;   in Loop: Header=BB649_215 Depth=1
	v_cmp_ne_u16_sdwa s[16:17], v40, s9 src0_sel:BYTE_0 src1_sel:DWORD
	v_bfrev_b32_e32 v61, 1
	s_and_saveexec_b64 s[14:15], s[16:17]
	s_cbranch_execz .LBB649_304
; %bb.301:                              ;   in Loop: Header=BB649_215 Depth=1
	v_bfe_u32 v42, v38, 16, 7
	v_cmp_ne_u32_e32 vcc, s19, v42
	v_mov_b32_e32 v61, 0x7f800001
	s_and_saveexec_b64 s[16:17], vcc
	s_cbranch_execz .LBB649_303
; %bb.302:                              ;   in Loop: Header=BB649_215 Depth=1
	v_and_b32_e32 v56, 7, v40
	v_ffbh_u32_e32 v63, v56
	v_min_u32_e32 v63, 32, v63
	v_subrev_u32_e32 v64, 28, v63
	v_lshlrev_b64 v[64:65], v64, v[40:41]
	v_lshrrev_b32_e32 v61, 3, v42
	v_sub_u32_e32 v63, 29, v63
	v_and_b32_e32 v64, 7, v64
	v_cmp_gt_u32_e32 vcc, 8, v42
	v_cndmask_b32_e32 v42, v61, v63, vcc
	v_cndmask_b32_e32 v56, v56, v64, vcc
	v_lshlrev_b32_e32 v40, 24, v40
	v_lshlrev_b32_e32 v56, 20, v56
	v_and_b32_e32 v40, 0x80000000, v40
	v_lshl_add_u32 v42, v42, 23, v55
	v_or3_b32 v61, v40, v42, v56
.LBB649_303:                            ;   in Loop: Header=BB649_215 Depth=1
	s_or_b64 exec, exec, s[16:17]
.LBB649_304:                            ;   in Loop: Header=BB649_215 Depth=1
	s_or_b64 exec, exec, s[14:15]
.LBB649_305:                            ;   in Loop: Header=BB649_215 Depth=1
	s_or_b64 exec, exec, s[12:13]
	v_cmp_lt_u32_e32 vcc, s20, v38
	v_mov_b32_e32 v56, 0
	v_mov_b32_e32 v63, 0
	s_and_saveexec_b64 s[12:13], vcc
	s_cbranch_execz .LBB649_311
; %bb.306:                              ;   in Loop: Header=BB649_215 Depth=1
	v_lshrrev_b32_e32 v40, 24, v38
	v_cmp_ne_u32_e32 vcc, s9, v40
	v_bfrev_b32_e32 v63, 1
	s_and_saveexec_b64 s[14:15], vcc
	s_cbranch_execz .LBB649_310
; %bb.307:                              ;   in Loop: Header=BB649_215 Depth=1
	v_bfe_u32 v38, v38, 24, 7
	v_cmp_ne_u32_e32 vcc, s19, v38
	v_mov_b32_e32 v63, 0x7f800001
	s_and_saveexec_b64 s[16:17], vcc
	s_cbranch_execz .LBB649_309
; %bb.308:                              ;   in Loop: Header=BB649_215 Depth=1
	v_and_b32_e32 v42, 7, v40
	v_ffbh_u32_e32 v64, v42
	v_min_u32_e32 v66, 32, v64
	v_subrev_u32_e32 v64, 28, v66
	v_lshlrev_b64 v[64:65], v64, v[40:41]
	v_lshrrev_b32_e32 v63, 3, v38
	v_sub_u32_e32 v65, 29, v66
	v_and_b32_e32 v64, 7, v64
	v_cmp_gt_u32_e32 vcc, 8, v38
	v_cndmask_b32_e32 v38, v63, v65, vcc
	v_cndmask_b32_e32 v42, v42, v64, vcc
	v_lshlrev_b32_e32 v40, 24, v40
	v_lshlrev_b32_e32 v42, 20, v42
	v_and_b32_e32 v40, 0x80000000, v40
	v_lshl_add_u32 v38, v38, 23, v55
	v_or3_b32 v63, v40, v38, v42
.LBB649_309:                            ;   in Loop: Header=BB649_215 Depth=1
	s_or_b64 exec, exec, s[16:17]
.LBB649_310:                            ;   in Loop: Header=BB649_215 Depth=1
	s_or_b64 exec, exec, s[14:15]
.LBB649_311:                            ;   in Loop: Header=BB649_215 Depth=1
	s_or_b64 exec, exec, s[12:13]
	v_cvt_pkrtz_f16_f32 v65, v44, v60
	buffer_load_dword v44, v46, s[0:3], 0 offen
	buffer_load_dword v42, v46, s[0:3], 0 offen offset:4
	buffer_load_dword v40, v46, s[0:3], 0 offen offset:8
	;; [unrolled: 1-line block ×3, first 2 shown]
	v_cvt_pkrtz_f16_f32 v64, v57, v58
	v_cvt_pkrtz_f16_f32 v58, v59, v62
	;; [unrolled: 1-line block ×3, first 2 shown]
	v_mfma_f32_16x16x16f16 v[34:37], v[64:65], v[6:7], v[34:37]
	s_waitcnt vmcnt(3)
	v_cmp_ne_u16_sdwa s[14:15], v44, v54 src0_sel:BYTE_0 src1_sel:DWORD
	v_mfma_f32_16x16x16f16 v[34:37], v[58:59], v[8:9], v[34:37]
	s_and_saveexec_b64 s[12:13], s[14:15]
	s_cbranch_execz .LBB649_317
; %bb.312:                              ;   in Loop: Header=BB649_215 Depth=1
	v_cmp_ne_u16_sdwa s[16:17], v44, s9 src0_sel:BYTE_0 src1_sel:DWORD
	v_bfrev_b32_e32 v56, 1
	s_and_saveexec_b64 s[14:15], s[16:17]
	s_cbranch_execz .LBB649_316
; %bb.313:                              ;   in Loop: Header=BB649_215 Depth=1
	v_and_b32_e32 v46, 0x7f, v44
	v_cmp_ne_u32_e32 vcc, s19, v46
	v_mov_b32_e32 v56, 0x7f800001
	s_and_saveexec_b64 s[16:17], vcc
	s_cbranch_execz .LBB649_315
; %bb.314:                              ;   in Loop: Header=BB649_215 Depth=1
	v_and_b32_e32 v58, 7, v44
	v_ffbh_u32_e32 v56, v58
	v_min_u32_e32 v60, 32, v56
	v_subrev_u32_e32 v56, 28, v60
	v_lshlrev_b64 v[56:57], v56, v[44:45]
	v_lshrrev_b32_e32 v59, 3, v46
	v_sub_u32_e32 v57, 29, v60
	v_and_b32_e32 v56, 7, v56
	v_cmp_gt_u32_e32 vcc, 8, v46
	v_cndmask_b32_e32 v46, v59, v57, vcc
	v_cndmask_b32_e32 v56, v58, v56, vcc
	v_lshlrev_b32_e32 v57, 24, v44
	v_lshlrev_b32_e32 v56, 20, v56
	v_and_b32_e32 v57, 0x80000000, v57
	v_lshl_add_u32 v46, v46, 23, v55
	v_or3_b32 v56, v57, v46, v56
.LBB649_315:                            ;   in Loop: Header=BB649_215 Depth=1
	s_or_b64 exec, exec, s[16:17]
.LBB649_316:                            ;   in Loop: Header=BB649_215 Depth=1
	s_or_b64 exec, exec, s[14:15]
.LBB649_317:                            ;   in Loop: Header=BB649_215 Depth=1
	s_or_b64 exec, exec, s[12:13]
	v_lshrrev_b16_e32 v46, 8, v44
	v_cmp_ne_u16_e32 vcc, 0, v46
	v_mov_b32_e32 v57, 0
	v_mov_b32_e32 v58, 0
	s_and_saveexec_b64 s[12:13], vcc
	s_cbranch_execz .LBB649_323
; %bb.318:                              ;   in Loop: Header=BB649_215 Depth=1
	v_cmp_ne_u16_e32 vcc, s9, v46
	v_bfrev_b32_e32 v58, 1
	s_and_saveexec_b64 s[14:15], vcc
	s_cbranch_execz .LBB649_322
; %bb.319:                              ;   in Loop: Header=BB649_215 Depth=1
	v_and_b32_e32 v59, 0x7f, v46
	v_cmp_ne_u32_e32 vcc, s19, v59
	v_mov_b32_e32 v58, 0x7f800001
	s_and_saveexec_b64 s[16:17], vcc
	s_cbranch_execz .LBB649_321
; %bb.320:                              ;   in Loop: Header=BB649_215 Depth=1
	v_and_b32_e32 v58, 7, v46
	v_ffbh_u32_e32 v60, v58
	v_min_u32_e32 v63, 32, v60
	v_subrev_u32_e32 v60, 28, v63
	v_lshlrev_b64 v[60:61], v60, v[46:47]
	v_lshrrev_b32_e32 v62, 3, v59
	v_sub_u32_e32 v46, 29, v63
	v_and_b32_e32 v60, 7, v60
	v_cmp_gt_u32_e32 vcc, 8, v59
	v_cndmask_b32_e32 v46, v62, v46, vcc
	v_cndmask_b32_e32 v58, v58, v60, vcc
	v_lshlrev_b32_e32 v59, 16, v44
	v_lshlrev_b32_e32 v58, 20, v58
	v_and_b32_e32 v59, 0x80000000, v59
	v_lshl_add_u32 v46, v46, 23, v55
	v_or3_b32 v58, v59, v46, v58
.LBB649_321:                            ;   in Loop: Header=BB649_215 Depth=1
	s_or_b64 exec, exec, s[16:17]
.LBB649_322:                            ;   in Loop: Header=BB649_215 Depth=1
	s_or_b64 exec, exec, s[14:15]
.LBB649_323:                            ;   in Loop: Header=BB649_215 Depth=1
	s_or_b64 exec, exec, s[12:13]
	v_lshrrev_b32_e32 v46, 16, v44
	v_cmp_ne_u16_sdwa s[14:15], v46, v54 src0_sel:BYTE_0 src1_sel:DWORD
	s_and_saveexec_b64 s[12:13], s[14:15]
	s_cbranch_execz .LBB649_329
; %bb.324:                              ;   in Loop: Header=BB649_215 Depth=1
	v_cmp_ne_u16_sdwa s[16:17], v46, s9 src0_sel:BYTE_0 src1_sel:DWORD
	v_bfrev_b32_e32 v57, 1
	s_and_saveexec_b64 s[14:15], s[16:17]
	s_cbranch_execz .LBB649_328
; %bb.325:                              ;   in Loop: Header=BB649_215 Depth=1
	v_bfe_u32 v59, v44, 16, 7
	v_cmp_ne_u32_e32 vcc, s19, v59
	v_mov_b32_e32 v57, 0x7f800001
	s_and_saveexec_b64 s[16:17], vcc
	s_cbranch_execz .LBB649_327
; %bb.326:                              ;   in Loop: Header=BB649_215 Depth=1
	v_and_b32_e32 v57, 7, v46
	v_ffbh_u32_e32 v60, v57
	v_min_u32_e32 v63, 32, v60
	v_subrev_u32_e32 v60, 28, v63
	v_lshlrev_b64 v[60:61], v60, v[46:47]
	v_lshrrev_b32_e32 v62, 3, v59
	v_sub_u32_e32 v61, 29, v63
	v_and_b32_e32 v60, 7, v60
	v_cmp_gt_u32_e32 vcc, 8, v59
	v_cndmask_b32_e32 v59, v62, v61, vcc
	v_cndmask_b32_e32 v57, v57, v60, vcc
	v_lshlrev_b32_e32 v46, 24, v46
	v_lshlrev_b32_e32 v57, 20, v57
	v_and_b32_e32 v46, 0x80000000, v46
	v_lshl_add_u32 v59, v59, 23, v55
	v_or3_b32 v57, v46, v59, v57
.LBB649_327:                            ;   in Loop: Header=BB649_215 Depth=1
	s_or_b64 exec, exec, s[16:17]
.LBB649_328:                            ;   in Loop: Header=BB649_215 Depth=1
	s_or_b64 exec, exec, s[14:15]
.LBB649_329:                            ;   in Loop: Header=BB649_215 Depth=1
	s_or_b64 exec, exec, s[12:13]
	v_cmp_lt_u32_e32 vcc, s20, v44
	v_mov_b32_e32 v59, 0
	v_mov_b32_e32 v60, 0
	s_and_saveexec_b64 s[12:13], vcc
	s_cbranch_execz .LBB649_335
; %bb.330:                              ;   in Loop: Header=BB649_215 Depth=1
	v_lshrrev_b32_e32 v46, 24, v44
	v_cmp_ne_u32_e32 vcc, s9, v46
	v_bfrev_b32_e32 v60, 1
	s_and_saveexec_b64 s[14:15], vcc
	s_cbranch_execz .LBB649_334
; %bb.331:                              ;   in Loop: Header=BB649_215 Depth=1
	v_bfe_u32 v44, v44, 24, 7
	v_cmp_ne_u32_e32 vcc, s19, v44
	v_mov_b32_e32 v60, 0x7f800001
	s_and_saveexec_b64 s[16:17], vcc
	s_cbranch_execz .LBB649_333
; %bb.332:                              ;   in Loop: Header=BB649_215 Depth=1
	v_and_b32_e32 v62, 7, v46
	v_ffbh_u32_e32 v60, v62
	v_min_u32_e32 v64, 32, v60
	v_subrev_u32_e32 v60, 28, v64
	v_lshlrev_b64 v[60:61], v60, v[46:47]
	v_lshrrev_b32_e32 v63, 3, v44
	v_sub_u32_e32 v61, 29, v64
	v_and_b32_e32 v60, 7, v60
	v_cmp_gt_u32_e32 vcc, 8, v44
	v_cndmask_b32_e32 v44, v63, v61, vcc
	v_cndmask_b32_e32 v60, v62, v60, vcc
	v_lshlrev_b32_e32 v46, 24, v46
	v_lshlrev_b32_e32 v60, 20, v60
	v_and_b32_e32 v46, 0x80000000, v46
	v_lshl_add_u32 v44, v44, 23, v55
	v_or3_b32 v60, v46, v44, v60
.LBB649_333:                            ;   in Loop: Header=BB649_215 Depth=1
	s_or_b64 exec, exec, s[16:17]
.LBB649_334:                            ;   in Loop: Header=BB649_215 Depth=1
	s_or_b64 exec, exec, s[14:15]
.LBB649_335:                            ;   in Loop: Header=BB649_215 Depth=1
	s_or_b64 exec, exec, s[12:13]
	s_waitcnt vmcnt(2)
	v_cmp_ne_u16_sdwa s[14:15], v42, v54 src0_sel:BYTE_0 src1_sel:DWORD
	s_and_saveexec_b64 s[12:13], s[14:15]
	s_cbranch_execz .LBB649_341
; %bb.336:                              ;   in Loop: Header=BB649_215 Depth=1
	v_cmp_ne_u16_sdwa s[16:17], v42, s9 src0_sel:BYTE_0 src1_sel:DWORD
	v_bfrev_b32_e32 v59, 1
	s_and_saveexec_b64 s[14:15], s[16:17]
	s_cbranch_execz .LBB649_340
; %bb.337:                              ;   in Loop: Header=BB649_215 Depth=1
	v_and_b32_e32 v44, 0x7f, v42
	v_cmp_ne_u32_e32 vcc, s19, v44
	v_mov_b32_e32 v59, 0x7f800001
	s_and_saveexec_b64 s[16:17], vcc
	s_cbranch_execz .LBB649_339
; %bb.338:                              ;   in Loop: Header=BB649_215 Depth=1
	v_and_b32_e32 v46, 7, v42
	v_ffbh_u32_e32 v61, v46
	v_min_u32_e32 v61, 32, v61
	v_subrev_u32_e32 v62, 28, v61
	v_lshlrev_b64 v[62:63], v62, v[42:43]
	v_lshrrev_b32_e32 v59, 3, v44
	v_sub_u32_e32 v61, 29, v61
	v_and_b32_e32 v62, 7, v62
	v_cmp_gt_u32_e32 vcc, 8, v44
	v_cndmask_b32_e32 v44, v59, v61, vcc
	v_cndmask_b32_e32 v46, v46, v62, vcc
	v_lshlrev_b32_e32 v59, 24, v42
	v_lshlrev_b32_e32 v46, 20, v46
	v_and_b32_e32 v59, 0x80000000, v59
	v_lshl_add_u32 v44, v44, 23, v55
	v_or3_b32 v59, v59, v44, v46
.LBB649_339:                            ;   in Loop: Header=BB649_215 Depth=1
	s_or_b64 exec, exec, s[16:17]
.LBB649_340:                            ;   in Loop: Header=BB649_215 Depth=1
	s_or_b64 exec, exec, s[14:15]
.LBB649_341:                            ;   in Loop: Header=BB649_215 Depth=1
	s_or_b64 exec, exec, s[12:13]
	v_lshrrev_b16_e32 v44, 8, v42
	v_cmp_ne_u16_e32 vcc, 0, v44
	v_mov_b32_e32 v61, 0
	v_mov_b32_e32 v62, 0
	s_and_saveexec_b64 s[12:13], vcc
	s_cbranch_execz .LBB649_347
; %bb.342:                              ;   in Loop: Header=BB649_215 Depth=1
	v_cmp_ne_u16_e32 vcc, s9, v44
	v_bfrev_b32_e32 v62, 1
	s_and_saveexec_b64 s[14:15], vcc
	s_cbranch_execz .LBB649_346
; %bb.343:                              ;   in Loop: Header=BB649_215 Depth=1
	v_and_b32_e32 v46, 0x7f, v44
	v_cmp_ne_u32_e32 vcc, s19, v46
	v_mov_b32_e32 v62, 0x7f800001
	s_and_saveexec_b64 s[16:17], vcc
	s_cbranch_execz .LBB649_345
; %bb.344:                              ;   in Loop: Header=BB649_215 Depth=1
	v_and_b32_e32 v64, 7, v44
	v_ffbh_u32_e32 v62, v64
	v_min_u32_e32 v66, 32, v62
	v_subrev_u32_e32 v62, 28, v66
	v_lshlrev_b64 v[62:63], v62, v[44:45]
	v_lshrrev_b32_e32 v65, 3, v46
	v_sub_u32_e32 v44, 29, v66
	v_and_b32_e32 v62, 7, v62
	v_cmp_gt_u32_e32 vcc, 8, v46
	v_cndmask_b32_e32 v44, v65, v44, vcc
	v_cndmask_b32_e32 v46, v64, v62, vcc
	v_lshlrev_b32_e32 v62, 16, v42
	v_lshlrev_b32_e32 v46, 20, v46
	v_and_b32_e32 v62, 0x80000000, v62
	v_lshl_add_u32 v44, v44, 23, v55
	v_or3_b32 v62, v62, v44, v46
.LBB649_345:                            ;   in Loop: Header=BB649_215 Depth=1
	s_or_b64 exec, exec, s[16:17]
.LBB649_346:                            ;   in Loop: Header=BB649_215 Depth=1
	s_or_b64 exec, exec, s[14:15]
.LBB649_347:                            ;   in Loop: Header=BB649_215 Depth=1
	s_or_b64 exec, exec, s[12:13]
	v_lshrrev_b32_e32 v44, 16, v42
	v_cmp_ne_u16_sdwa s[14:15], v44, v54 src0_sel:BYTE_0 src1_sel:DWORD
	s_and_saveexec_b64 s[12:13], s[14:15]
	s_cbranch_execz .LBB649_353
; %bb.348:                              ;   in Loop: Header=BB649_215 Depth=1
	v_cmp_ne_u16_sdwa s[16:17], v44, s9 src0_sel:BYTE_0 src1_sel:DWORD
	v_bfrev_b32_e32 v61, 1
	s_and_saveexec_b64 s[14:15], s[16:17]
	s_cbranch_execz .LBB649_352
; %bb.349:                              ;   in Loop: Header=BB649_215 Depth=1
	v_bfe_u32 v46, v42, 16, 7
	v_cmp_ne_u32_e32 vcc, s19, v46
	v_mov_b32_e32 v61, 0x7f800001
	s_and_saveexec_b64 s[16:17], vcc
	s_cbranch_execz .LBB649_351
; %bb.350:                              ;   in Loop: Header=BB649_215 Depth=1
	v_and_b32_e32 v61, 7, v44
	v_ffbh_u32_e32 v64, v61
	v_min_u32_e32 v66, 32, v64
	v_subrev_u32_e32 v64, 28, v66
	v_lshlrev_b64 v[64:65], v64, v[44:45]
	v_lshrrev_b32_e32 v63, 3, v46
	v_sub_u32_e32 v65, 29, v66
	v_and_b32_e32 v64, 7, v64
	v_cmp_gt_u32_e32 vcc, 8, v46
	v_cndmask_b32_e32 v46, v63, v65, vcc
	v_cndmask_b32_e32 v61, v61, v64, vcc
	v_lshlrev_b32_e32 v44, 24, v44
	v_lshlrev_b32_e32 v61, 20, v61
	v_and_b32_e32 v44, 0x80000000, v44
	v_lshl_add_u32 v46, v46, 23, v55
	v_or3_b32 v61, v44, v46, v61
.LBB649_351:                            ;   in Loop: Header=BB649_215 Depth=1
	s_or_b64 exec, exec, s[16:17]
.LBB649_352:                            ;   in Loop: Header=BB649_215 Depth=1
	s_or_b64 exec, exec, s[14:15]
.LBB649_353:                            ;   in Loop: Header=BB649_215 Depth=1
	s_or_b64 exec, exec, s[12:13]
	v_cmp_lt_u32_e32 vcc, s20, v42
	v_mov_b32_e32 v46, 0
	v_mov_b32_e32 v63, 0
	s_and_saveexec_b64 s[12:13], vcc
	s_cbranch_execz .LBB649_359
; %bb.354:                              ;   in Loop: Header=BB649_215 Depth=1
	v_lshrrev_b32_e32 v44, 24, v42
	v_cmp_ne_u32_e32 vcc, s9, v44
	v_bfrev_b32_e32 v63, 1
	s_and_saveexec_b64 s[14:15], vcc
	s_cbranch_execz .LBB649_358
; %bb.355:                              ;   in Loop: Header=BB649_215 Depth=1
	v_bfe_u32 v42, v42, 24, 7
	v_cmp_ne_u32_e32 vcc, s19, v42
	v_mov_b32_e32 v63, 0x7f800001
	s_and_saveexec_b64 s[16:17], vcc
	s_cbranch_execz .LBB649_357
; %bb.356:                              ;   in Loop: Header=BB649_215 Depth=1
	v_and_b32_e32 v63, 7, v44
	v_ffbh_u32_e32 v64, v63
	v_min_u32_e32 v67, 32, v64
	v_subrev_u32_e32 v64, 28, v67
	v_lshlrev_b64 v[64:65], v64, v[44:45]
	v_lshrrev_b32_e32 v66, 3, v42
	v_sub_u32_e32 v65, 29, v67
	v_and_b32_e32 v64, 7, v64
	v_cmp_gt_u32_e32 vcc, 8, v42
	v_cndmask_b32_e32 v42, v66, v65, vcc
	v_cndmask_b32_e32 v63, v63, v64, vcc
	v_lshlrev_b32_e32 v44, 24, v44
	v_lshlrev_b32_e32 v63, 20, v63
	v_and_b32_e32 v44, 0x80000000, v44
	v_lshl_add_u32 v42, v42, 23, v55
	v_or3_b32 v63, v44, v42, v63
.LBB649_357:                            ;   in Loop: Header=BB649_215 Depth=1
	s_or_b64 exec, exec, s[16:17]
.LBB649_358:                            ;   in Loop: Header=BB649_215 Depth=1
	s_or_b64 exec, exec, s[14:15]
.LBB649_359:                            ;   in Loop: Header=BB649_215 Depth=1
	s_or_b64 exec, exec, s[12:13]
	v_cvt_pkrtz_f16_f32 v56, v56, v58
	v_cvt_pkrtz_f16_f32 v57, v57, v60
	s_waitcnt vmcnt(1)
	v_cmp_ne_u16_sdwa s[14:15], v40, v54 src0_sel:BYTE_0 src1_sel:DWORD
	v_mfma_f32_16x16x16f16 v[34:37], v[56:57], v[10:11], v[34:37]
	v_cvt_pkrtz_f16_f32 v56, v59, v62
	v_cvt_pkrtz_f16_f32 v57, v61, v63
	s_nop 1
	v_mfma_f32_16x16x16f16 v[34:37], v[56:57], v[12:13], v[34:37]
	s_and_saveexec_b64 s[12:13], s[14:15]
	s_cbranch_execz .LBB649_365
; %bb.360:                              ;   in Loop: Header=BB649_215 Depth=1
	v_cmp_ne_u16_sdwa s[16:17], v40, s9 src0_sel:BYTE_0 src1_sel:DWORD
	v_bfrev_b32_e32 v46, 1
	s_and_saveexec_b64 s[14:15], s[16:17]
	s_cbranch_execz .LBB649_364
; %bb.361:                              ;   in Loop: Header=BB649_215 Depth=1
	v_and_b32_e32 v42, 0x7f, v40
	v_cmp_ne_u32_e32 vcc, s19, v42
	v_mov_b32_e32 v46, 0x7f800001
	s_and_saveexec_b64 s[16:17], vcc
	s_cbranch_execz .LBB649_363
; %bb.362:                              ;   in Loop: Header=BB649_215 Depth=1
	v_and_b32_e32 v44, 7, v40
	v_ffbh_u32_e32 v56, v44
	v_min_u32_e32 v58, 32, v56
	v_subrev_u32_e32 v56, 28, v58
	v_lshlrev_b64 v[56:57], v56, v[40:41]
	v_lshrrev_b32_e32 v46, 3, v42
	v_sub_u32_e32 v57, 29, v58
	v_and_b32_e32 v56, 7, v56
	v_cmp_gt_u32_e32 vcc, 8, v42
	v_cndmask_b32_e32 v42, v46, v57, vcc
	v_cndmask_b32_e32 v44, v44, v56, vcc
	v_lshlrev_b32_e32 v46, 24, v40
	v_lshlrev_b32_e32 v44, 20, v44
	v_and_b32_e32 v46, 0x80000000, v46
	v_lshl_add_u32 v42, v42, 23, v55
	v_or3_b32 v46, v46, v42, v44
.LBB649_363:                            ;   in Loop: Header=BB649_215 Depth=1
	s_or_b64 exec, exec, s[16:17]
.LBB649_364:                            ;   in Loop: Header=BB649_215 Depth=1
	s_or_b64 exec, exec, s[14:15]
.LBB649_365:                            ;   in Loop: Header=BB649_215 Depth=1
	s_or_b64 exec, exec, s[12:13]
	v_lshrrev_b16_e32 v42, 8, v40
	v_cmp_ne_u16_e32 vcc, 0, v42
	v_mov_b32_e32 v44, 0
	v_mov_b32_e32 v57, 0
	s_and_saveexec_b64 s[12:13], vcc
	s_cbranch_execz .LBB649_371
; %bb.366:                              ;   in Loop: Header=BB649_215 Depth=1
	v_cmp_ne_u16_e32 vcc, s9, v42
	v_bfrev_b32_e32 v57, 1
	s_and_saveexec_b64 s[14:15], vcc
	s_cbranch_execz .LBB649_370
; %bb.367:                              ;   in Loop: Header=BB649_215 Depth=1
	v_and_b32_e32 v56, 0x7f, v42
	v_cmp_ne_u32_e32 vcc, s19, v56
	v_mov_b32_e32 v57, 0x7f800001
	s_and_saveexec_b64 s[16:17], vcc
	s_cbranch_execz .LBB649_369
; %bb.368:                              ;   in Loop: Header=BB649_215 Depth=1
	v_and_b32_e32 v57, 7, v42
	v_ffbh_u32_e32 v58, v57
	v_min_u32_e32 v61, 32, v58
	v_subrev_u32_e32 v58, 28, v61
	v_lshlrev_b64 v[58:59], v58, v[42:43]
	v_lshrrev_b32_e32 v60, 3, v56
	v_sub_u32_e32 v42, 29, v61
	v_and_b32_e32 v58, 7, v58
	v_cmp_gt_u32_e32 vcc, 8, v56
	v_cndmask_b32_e32 v42, v60, v42, vcc
	v_cndmask_b32_e32 v56, v57, v58, vcc
	v_lshlrev_b32_e32 v57, 16, v40
	v_lshlrev_b32_e32 v56, 20, v56
	v_and_b32_e32 v57, 0x80000000, v57
	v_lshl_add_u32 v42, v42, 23, v55
	v_or3_b32 v57, v57, v42, v56
.LBB649_369:                            ;   in Loop: Header=BB649_215 Depth=1
	s_or_b64 exec, exec, s[16:17]
.LBB649_370:                            ;   in Loop: Header=BB649_215 Depth=1
	s_or_b64 exec, exec, s[14:15]
.LBB649_371:                            ;   in Loop: Header=BB649_215 Depth=1
	s_or_b64 exec, exec, s[12:13]
	v_lshrrev_b32_e32 v42, 16, v40
	v_cmp_ne_u16_sdwa s[14:15], v42, v54 src0_sel:BYTE_0 src1_sel:DWORD
	s_and_saveexec_b64 s[12:13], s[14:15]
	s_cbranch_execz .LBB649_377
; %bb.372:                              ;   in Loop: Header=BB649_215 Depth=1
	v_cmp_ne_u16_sdwa s[16:17], v42, s9 src0_sel:BYTE_0 src1_sel:DWORD
	v_bfrev_b32_e32 v44, 1
	s_and_saveexec_b64 s[14:15], s[16:17]
	s_cbranch_execz .LBB649_376
; %bb.373:                              ;   in Loop: Header=BB649_215 Depth=1
	v_bfe_u32 v56, v40, 16, 7
	v_cmp_ne_u32_e32 vcc, s19, v56
	v_mov_b32_e32 v44, 0x7f800001
	s_and_saveexec_b64 s[16:17], vcc
	s_cbranch_execz .LBB649_375
; %bb.374:                              ;   in Loop: Header=BB649_215 Depth=1
	v_and_b32_e32 v44, 7, v42
	v_ffbh_u32_e32 v58, v44
	v_min_u32_e32 v61, 32, v58
	v_subrev_u32_e32 v58, 28, v61
	v_lshlrev_b64 v[58:59], v58, v[42:43]
	v_lshrrev_b32_e32 v60, 3, v56
	v_sub_u32_e32 v59, 29, v61
	v_and_b32_e32 v58, 7, v58
	v_cmp_gt_u32_e32 vcc, 8, v56
	v_cndmask_b32_e32 v56, v60, v59, vcc
	v_cndmask_b32_e32 v44, v44, v58, vcc
	v_lshlrev_b32_e32 v42, 24, v42
	v_lshlrev_b32_e32 v44, 20, v44
	v_and_b32_e32 v42, 0x80000000, v42
	v_lshl_add_u32 v56, v56, 23, v55
	v_or3_b32 v44, v42, v56, v44
.LBB649_375:                            ;   in Loop: Header=BB649_215 Depth=1
	s_or_b64 exec, exec, s[16:17]
.LBB649_376:                            ;   in Loop: Header=BB649_215 Depth=1
	s_or_b64 exec, exec, s[14:15]
.LBB649_377:                            ;   in Loop: Header=BB649_215 Depth=1
	s_or_b64 exec, exec, s[12:13]
	v_cmp_lt_u32_e32 vcc, s20, v40
	v_mov_b32_e32 v58, 0
	v_mov_b32_e32 v59, 0
	s_and_saveexec_b64 s[12:13], vcc
	s_cbranch_execz .LBB649_383
; %bb.378:                              ;   in Loop: Header=BB649_215 Depth=1
	v_lshrrev_b32_e32 v42, 24, v40
	v_cmp_ne_u32_e32 vcc, s9, v42
	v_bfrev_b32_e32 v59, 1
	s_and_saveexec_b64 s[14:15], vcc
	s_cbranch_execz .LBB649_382
; %bb.379:                              ;   in Loop: Header=BB649_215 Depth=1
	v_bfe_u32 v40, v40, 24, 7
	v_cmp_ne_u32_e32 vcc, s19, v40
	v_mov_b32_e32 v59, 0x7f800001
	s_and_saveexec_b64 s[16:17], vcc
	s_cbranch_execz .LBB649_381
; %bb.380:                              ;   in Loop: Header=BB649_215 Depth=1
	v_and_b32_e32 v56, 7, v42
	v_ffbh_u32_e32 v60, v56
	v_min_u32_e32 v62, 32, v60
	v_subrev_u32_e32 v60, 28, v62
	v_lshlrev_b64 v[60:61], v60, v[42:43]
	v_lshrrev_b32_e32 v59, 3, v40
	v_sub_u32_e32 v61, 29, v62
	v_and_b32_e32 v60, 7, v60
	v_cmp_gt_u32_e32 vcc, 8, v40
	v_cndmask_b32_e32 v40, v59, v61, vcc
	v_cndmask_b32_e32 v56, v56, v60, vcc
	v_lshlrev_b32_e32 v42, 24, v42
	v_lshlrev_b32_e32 v56, 20, v56
	v_and_b32_e32 v42, 0x80000000, v42
	v_lshl_add_u32 v40, v40, 23, v55
	v_or3_b32 v59, v42, v40, v56
.LBB649_381:                            ;   in Loop: Header=BB649_215 Depth=1
	s_or_b64 exec, exec, s[16:17]
.LBB649_382:                            ;   in Loop: Header=BB649_215 Depth=1
	s_or_b64 exec, exec, s[14:15]
.LBB649_383:                            ;   in Loop: Header=BB649_215 Depth=1
	s_or_b64 exec, exec, s[12:13]
	s_waitcnt vmcnt(0)
	v_cmp_ne_u16_sdwa s[14:15], v38, v54 src0_sel:BYTE_0 src1_sel:DWORD
	s_and_saveexec_b64 s[12:13], s[14:15]
	s_cbranch_execz .LBB649_389
; %bb.384:                              ;   in Loop: Header=BB649_215 Depth=1
	v_cmp_ne_u16_sdwa s[16:17], v38, s9 src0_sel:BYTE_0 src1_sel:DWORD
	v_bfrev_b32_e32 v58, 1
	s_and_saveexec_b64 s[14:15], s[16:17]
	s_cbranch_execz .LBB649_388
; %bb.385:                              ;   in Loop: Header=BB649_215 Depth=1
	v_and_b32_e32 v40, 0x7f, v38
	v_cmp_ne_u32_e32 vcc, s19, v40
	v_mov_b32_e32 v58, 0x7f800001
	s_and_saveexec_b64 s[16:17], vcc
	s_cbranch_execz .LBB649_387
; %bb.386:                              ;   in Loop: Header=BB649_215 Depth=1
	v_and_b32_e32 v42, 7, v38
	v_ffbh_u32_e32 v58, v42
	v_min_u32_e32 v58, 32, v58
	v_subrev_u32_e32 v60, 28, v58
	v_lshlrev_b64 v[60:61], v60, v[38:39]
	v_lshrrev_b32_e32 v56, 3, v40
	v_sub_u32_e32 v58, 29, v58
	v_and_b32_e32 v60, 7, v60
	v_cmp_gt_u32_e32 vcc, 8, v40
	v_cndmask_b32_e32 v40, v56, v58, vcc
	v_cndmask_b32_e32 v42, v42, v60, vcc
	v_lshlrev_b32_e32 v56, 24, v38
	v_lshlrev_b32_e32 v42, 20, v42
	v_and_b32_e32 v56, 0x80000000, v56
	v_lshl_add_u32 v40, v40, 23, v55
	v_or3_b32 v58, v56, v40, v42
.LBB649_387:                            ;   in Loop: Header=BB649_215 Depth=1
	s_or_b64 exec, exec, s[16:17]
.LBB649_388:                            ;   in Loop: Header=BB649_215 Depth=1
	s_or_b64 exec, exec, s[14:15]
.LBB649_389:                            ;   in Loop: Header=BB649_215 Depth=1
	s_or_b64 exec, exec, s[12:13]
	v_lshrrev_b16_e32 v40, 8, v38
	v_cmp_ne_u16_e32 vcc, 0, v40
	v_mov_b32_e32 v60, 0
	v_mov_b32_e32 v61, 0
	s_and_saveexec_b64 s[12:13], vcc
	s_cbranch_execz .LBB649_395
; %bb.390:                              ;   in Loop: Header=BB649_215 Depth=1
	v_cmp_ne_u16_e32 vcc, s9, v40
	v_bfrev_b32_e32 v61, 1
	s_and_saveexec_b64 s[14:15], vcc
	s_cbranch_execz .LBB649_394
; %bb.391:                              ;   in Loop: Header=BB649_215 Depth=1
	v_and_b32_e32 v42, 0x7f, v40
	v_cmp_ne_u32_e32 vcc, s19, v42
	v_mov_b32_e32 v61, 0x7f800001
	s_and_saveexec_b64 s[16:17], vcc
	s_cbranch_execz .LBB649_393
; %bb.392:                              ;   in Loop: Header=BB649_215 Depth=1
	v_and_b32_e32 v56, 7, v40
	v_ffbh_u32_e32 v62, v56
	v_min_u32_e32 v64, 32, v62
	v_subrev_u32_e32 v62, 28, v64
	v_lshlrev_b64 v[62:63], v62, v[40:41]
	v_lshrrev_b32_e32 v61, 3, v42
	v_sub_u32_e32 v40, 29, v64
	v_and_b32_e32 v62, 7, v62
	v_cmp_gt_u32_e32 vcc, 8, v42
	v_cndmask_b32_e32 v40, v61, v40, vcc
	v_cndmask_b32_e32 v42, v56, v62, vcc
	v_lshlrev_b32_e32 v56, 16, v38
	v_lshlrev_b32_e32 v42, 20, v42
	v_and_b32_e32 v56, 0x80000000, v56
	v_lshl_add_u32 v40, v40, 23, v55
	v_or3_b32 v61, v56, v40, v42
.LBB649_393:                            ;   in Loop: Header=BB649_215 Depth=1
	s_or_b64 exec, exec, s[16:17]
.LBB649_394:                            ;   in Loop: Header=BB649_215 Depth=1
	s_or_b64 exec, exec, s[14:15]
.LBB649_395:                            ;   in Loop: Header=BB649_215 Depth=1
	s_or_b64 exec, exec, s[12:13]
	v_lshrrev_b32_e32 v40, 16, v38
	v_cmp_ne_u16_sdwa s[14:15], v40, v54 src0_sel:BYTE_0 src1_sel:DWORD
	s_and_saveexec_b64 s[12:13], s[14:15]
	s_cbranch_execz .LBB649_401
; %bb.396:                              ;   in Loop: Header=BB649_215 Depth=1
	v_cmp_ne_u16_sdwa s[16:17], v40, s9 src0_sel:BYTE_0 src1_sel:DWORD
	v_bfrev_b32_e32 v60, 1
	s_and_saveexec_b64 s[14:15], s[16:17]
	s_cbranch_execz .LBB649_400
; %bb.397:                              ;   in Loop: Header=BB649_215 Depth=1
	v_bfe_u32 v42, v38, 16, 7
	v_cmp_ne_u32_e32 vcc, s19, v42
	v_mov_b32_e32 v60, 0x7f800001
	s_and_saveexec_b64 s[16:17], vcc
	s_cbranch_execz .LBB649_399
; %bb.398:                              ;   in Loop: Header=BB649_215 Depth=1
	v_and_b32_e32 v56, 7, v40
	v_ffbh_u32_e32 v62, v56
	v_min_u32_e32 v64, 32, v62
	v_subrev_u32_e32 v62, 28, v64
	v_lshlrev_b64 v[62:63], v62, v[40:41]
	v_lshrrev_b32_e32 v60, 3, v42
	v_sub_u32_e32 v63, 29, v64
	v_and_b32_e32 v62, 7, v62
	v_cmp_gt_u32_e32 vcc, 8, v42
	v_cndmask_b32_e32 v42, v60, v63, vcc
	v_cndmask_b32_e32 v56, v56, v62, vcc
	v_lshlrev_b32_e32 v40, 24, v40
	v_lshlrev_b32_e32 v56, 20, v56
	v_and_b32_e32 v40, 0x80000000, v40
	v_lshl_add_u32 v42, v42, 23, v55
	v_or3_b32 v60, v40, v42, v56
.LBB649_399:                            ;   in Loop: Header=BB649_215 Depth=1
	s_or_b64 exec, exec, s[16:17]
.LBB649_400:                            ;   in Loop: Header=BB649_215 Depth=1
	s_or_b64 exec, exec, s[14:15]
.LBB649_401:                            ;   in Loop: Header=BB649_215 Depth=1
	s_or_b64 exec, exec, s[12:13]
	v_cmp_lt_u32_e32 vcc, s20, v38
	v_mov_b32_e32 v56, 0
	v_mov_b32_e32 v62, 0
	s_and_saveexec_b64 s[12:13], vcc
	s_cbranch_execz .LBB649_407
; %bb.402:                              ;   in Loop: Header=BB649_215 Depth=1
	v_lshrrev_b32_e32 v40, 24, v38
	v_cmp_ne_u32_e32 vcc, s9, v40
	v_bfrev_b32_e32 v62, 1
	s_and_saveexec_b64 s[14:15], vcc
	s_cbranch_execz .LBB649_406
; %bb.403:                              ;   in Loop: Header=BB649_215 Depth=1
	v_bfe_u32 v38, v38, 24, 7
	v_cmp_ne_u32_e32 vcc, s19, v38
	v_mov_b32_e32 v62, 0x7f800001
	s_and_saveexec_b64 s[16:17], vcc
	s_cbranch_execz .LBB649_405
; %bb.404:                              ;   in Loop: Header=BB649_215 Depth=1
	v_and_b32_e32 v42, 7, v40
	v_ffbh_u32_e32 v62, v42
	v_min_u32_e32 v65, 32, v62
	v_subrev_u32_e32 v62, 28, v65
	v_lshlrev_b64 v[62:63], v62, v[40:41]
	v_lshrrev_b32_e32 v64, 3, v38
	v_sub_u32_e32 v63, 29, v65
	v_and_b32_e32 v62, 7, v62
	v_cmp_gt_u32_e32 vcc, 8, v38
	v_cndmask_b32_e32 v38, v64, v63, vcc
	v_cndmask_b32_e32 v42, v42, v62, vcc
	v_lshlrev_b32_e32 v40, 24, v40
	v_lshlrev_b32_e32 v42, 20, v42
	v_and_b32_e32 v40, 0x80000000, v40
	v_lshl_add_u32 v38, v38, 23, v55
	v_or3_b32 v62, v40, v38, v42
.LBB649_405:                            ;   in Loop: Header=BB649_215 Depth=1
	s_or_b64 exec, exec, s[16:17]
.LBB649_406:                            ;   in Loop: Header=BB649_215 Depth=1
	s_or_b64 exec, exec, s[14:15]
.LBB649_407:                            ;   in Loop: Header=BB649_215 Depth=1
	s_or_b64 exec, exec, s[12:13]
	v_cvt_pkrtz_f16_f32 v65, v44, v59
	buffer_load_dword v44, v51, s[0:3], 0 offen
	buffer_load_dword v42, v51, s[0:3], 0 offen offset:4
	buffer_load_dword v40, v51, s[0:3], 0 offen offset:8
	;; [unrolled: 1-line block ×3, first 2 shown]
	v_cvt_pkrtz_f16_f32 v64, v46, v57
	v_cvt_pkrtz_f16_f32 v58, v58, v61
	;; [unrolled: 1-line block ×3, first 2 shown]
	v_mfma_f32_16x16x16f16 v[34:37], v[64:65], v[14:15], v[34:37]
	s_waitcnt vmcnt(3)
	v_cmp_ne_u16_sdwa s[14:15], v44, v54 src0_sel:BYTE_0 src1_sel:DWORD
	v_mfma_f32_16x16x16f16 v[34:37], v[58:59], v[16:17], v[34:37]
	s_and_saveexec_b64 s[12:13], s[14:15]
	s_cbranch_execz .LBB649_413
; %bb.408:                              ;   in Loop: Header=BB649_215 Depth=1
	v_cmp_ne_u16_sdwa s[16:17], v44, s9 src0_sel:BYTE_0 src1_sel:DWORD
	v_bfrev_b32_e32 v56, 1
	s_and_saveexec_b64 s[14:15], s[16:17]
	s_cbranch_execz .LBB649_412
; %bb.409:                              ;   in Loop: Header=BB649_215 Depth=1
	v_and_b32_e32 v46, 0x7f, v44
	v_cmp_ne_u32_e32 vcc, s19, v46
	v_mov_b32_e32 v56, 0x7f800001
	s_and_saveexec_b64 s[16:17], vcc
	s_cbranch_execz .LBB649_411
; %bb.410:                              ;   in Loop: Header=BB649_215 Depth=1
	v_and_b32_e32 v51, 7, v44
	v_ffbh_u32_e32 v56, v51
	v_min_u32_e32 v59, 32, v56
	v_subrev_u32_e32 v56, 28, v59
	v_lshlrev_b64 v[56:57], v56, v[44:45]
	v_lshrrev_b32_e32 v58, 3, v46
	v_sub_u32_e32 v57, 29, v59
	v_and_b32_e32 v56, 7, v56
	v_cmp_gt_u32_e32 vcc, 8, v46
	v_cndmask_b32_e32 v46, v58, v57, vcc
	v_cndmask_b32_e32 v51, v51, v56, vcc
	v_lshlrev_b32_e32 v56, 24, v44
	v_lshlrev_b32_e32 v51, 20, v51
	v_and_b32_e32 v56, 0x80000000, v56
	v_lshl_add_u32 v46, v46, 23, v55
	v_or3_b32 v56, v56, v46, v51
.LBB649_411:                            ;   in Loop: Header=BB649_215 Depth=1
	s_or_b64 exec, exec, s[16:17]
.LBB649_412:                            ;   in Loop: Header=BB649_215 Depth=1
	s_or_b64 exec, exec, s[14:15]
.LBB649_413:                            ;   in Loop: Header=BB649_215 Depth=1
	s_or_b64 exec, exec, s[12:13]
	v_lshrrev_b16_e32 v46, 8, v44
	v_cmp_ne_u16_e32 vcc, 0, v46
	v_mov_b32_e32 v51, 0
	v_mov_b32_e32 v57, 0
	s_and_saveexec_b64 s[12:13], vcc
	s_cbranch_execz .LBB649_419
; %bb.414:                              ;   in Loop: Header=BB649_215 Depth=1
	v_cmp_ne_u16_e32 vcc, s9, v46
	v_bfrev_b32_e32 v57, 1
	s_and_saveexec_b64 s[14:15], vcc
	s_cbranch_execz .LBB649_418
; %bb.415:                              ;   in Loop: Header=BB649_215 Depth=1
	v_and_b32_e32 v58, 0x7f, v46
	v_cmp_ne_u32_e32 vcc, s19, v58
	v_mov_b32_e32 v57, 0x7f800001
	s_and_saveexec_b64 s[16:17], vcc
	s_cbranch_execz .LBB649_417
; %bb.416:                              ;   in Loop: Header=BB649_215 Depth=1
	v_and_b32_e32 v57, 7, v46
	v_ffbh_u32_e32 v60, v57
	v_min_u32_e32 v62, 32, v60
	v_subrev_u32_e32 v60, 28, v62
	v_lshlrev_b64 v[60:61], v60, v[46:47]
	v_lshrrev_b32_e32 v59, 3, v58
	v_sub_u32_e32 v46, 29, v62
	v_and_b32_e32 v60, 7, v60
	v_cmp_gt_u32_e32 vcc, 8, v58
	v_cndmask_b32_e32 v46, v59, v46, vcc
	v_cndmask_b32_e32 v57, v57, v60, vcc
	v_lshlrev_b32_e32 v58, 16, v44
	v_lshlrev_b32_e32 v57, 20, v57
	v_and_b32_e32 v58, 0x80000000, v58
	v_lshl_add_u32 v46, v46, 23, v55
	v_or3_b32 v57, v58, v46, v57
.LBB649_417:                            ;   in Loop: Header=BB649_215 Depth=1
	s_or_b64 exec, exec, s[16:17]
.LBB649_418:                            ;   in Loop: Header=BB649_215 Depth=1
	s_or_b64 exec, exec, s[14:15]
.LBB649_419:                            ;   in Loop: Header=BB649_215 Depth=1
	s_or_b64 exec, exec, s[12:13]
	v_lshrrev_b32_e32 v46, 16, v44
	v_cmp_ne_u16_sdwa s[14:15], v46, v54 src0_sel:BYTE_0 src1_sel:DWORD
	s_and_saveexec_b64 s[12:13], s[14:15]
	s_cbranch_execz .LBB649_425
; %bb.420:                              ;   in Loop: Header=BB649_215 Depth=1
	v_cmp_ne_u16_sdwa s[16:17], v46, s9 src0_sel:BYTE_0 src1_sel:DWORD
	v_bfrev_b32_e32 v51, 1
	s_and_saveexec_b64 s[14:15], s[16:17]
	s_cbranch_execz .LBB649_424
; %bb.421:                              ;   in Loop: Header=BB649_215 Depth=1
	v_bfe_u32 v58, v44, 16, 7
	v_cmp_ne_u32_e32 vcc, s19, v58
	v_mov_b32_e32 v51, 0x7f800001
	s_and_saveexec_b64 s[16:17], vcc
	s_cbranch_execz .LBB649_423
; %bb.422:                              ;   in Loop: Header=BB649_215 Depth=1
	v_and_b32_e32 v51, 7, v46
	v_ffbh_u32_e32 v60, v51
	v_min_u32_e32 v62, 32, v60
	v_subrev_u32_e32 v60, 28, v62
	v_lshlrev_b64 v[60:61], v60, v[46:47]
	v_lshrrev_b32_e32 v59, 3, v58
	v_sub_u32_e32 v61, 29, v62
	v_and_b32_e32 v60, 7, v60
	v_cmp_gt_u32_e32 vcc, 8, v58
	v_cndmask_b32_e32 v58, v59, v61, vcc
	v_cndmask_b32_e32 v51, v51, v60, vcc
	v_lshlrev_b32_e32 v46, 24, v46
	v_lshlrev_b32_e32 v51, 20, v51
	v_and_b32_e32 v46, 0x80000000, v46
	v_lshl_add_u32 v58, v58, 23, v55
	v_or3_b32 v51, v46, v58, v51
.LBB649_423:                            ;   in Loop: Header=BB649_215 Depth=1
	s_or_b64 exec, exec, s[16:17]
.LBB649_424:                            ;   in Loop: Header=BB649_215 Depth=1
	s_or_b64 exec, exec, s[14:15]
.LBB649_425:                            ;   in Loop: Header=BB649_215 Depth=1
	s_or_b64 exec, exec, s[12:13]
	v_cmp_lt_u32_e32 vcc, s20, v44
	v_mov_b32_e32 v58, 0
	v_mov_b32_e32 v59, 0
	s_and_saveexec_b64 s[12:13], vcc
	s_cbranch_execz .LBB649_431
; %bb.426:                              ;   in Loop: Header=BB649_215 Depth=1
	v_lshrrev_b32_e32 v46, 24, v44
	v_cmp_ne_u32_e32 vcc, s9, v46
	v_bfrev_b32_e32 v59, 1
	s_and_saveexec_b64 s[14:15], vcc
	s_cbranch_execz .LBB649_430
; %bb.427:                              ;   in Loop: Header=BB649_215 Depth=1
	v_bfe_u32 v44, v44, 24, 7
	v_cmp_ne_u32_e32 vcc, s19, v44
	v_mov_b32_e32 v59, 0x7f800001
	s_and_saveexec_b64 s[16:17], vcc
	s_cbranch_execz .LBB649_429
; %bb.428:                              ;   in Loop: Header=BB649_215 Depth=1
	v_and_b32_e32 v59, 7, v46
	v_ffbh_u32_e32 v60, v59
	v_min_u32_e32 v63, 32, v60
	v_subrev_u32_e32 v60, 28, v63
	v_lshlrev_b64 v[60:61], v60, v[46:47]
	v_lshrrev_b32_e32 v62, 3, v44
	v_sub_u32_e32 v61, 29, v63
	v_and_b32_e32 v60, 7, v60
	v_cmp_gt_u32_e32 vcc, 8, v44
	v_cndmask_b32_e32 v44, v62, v61, vcc
	v_cndmask_b32_e32 v59, v59, v60, vcc
	v_lshlrev_b32_e32 v46, 24, v46
	v_lshlrev_b32_e32 v59, 20, v59
	v_and_b32_e32 v46, 0x80000000, v46
	v_lshl_add_u32 v44, v44, 23, v55
	v_or3_b32 v59, v46, v44, v59
.LBB649_429:                            ;   in Loop: Header=BB649_215 Depth=1
	s_or_b64 exec, exec, s[16:17]
.LBB649_430:                            ;   in Loop: Header=BB649_215 Depth=1
	s_or_b64 exec, exec, s[14:15]
.LBB649_431:                            ;   in Loop: Header=BB649_215 Depth=1
	s_or_b64 exec, exec, s[12:13]
	s_waitcnt vmcnt(2)
	v_cmp_ne_u16_sdwa s[14:15], v42, v54 src0_sel:BYTE_0 src1_sel:DWORD
	s_and_saveexec_b64 s[12:13], s[14:15]
	s_cbranch_execz .LBB649_437
; %bb.432:                              ;   in Loop: Header=BB649_215 Depth=1
	v_cmp_ne_u16_sdwa s[16:17], v42, s9 src0_sel:BYTE_0 src1_sel:DWORD
	v_bfrev_b32_e32 v58, 1
	s_and_saveexec_b64 s[14:15], s[16:17]
	s_cbranch_execz .LBB649_436
; %bb.433:                              ;   in Loop: Header=BB649_215 Depth=1
	v_and_b32_e32 v44, 0x7f, v42
	v_cmp_ne_u32_e32 vcc, s19, v44
	v_mov_b32_e32 v58, 0x7f800001
	s_and_saveexec_b64 s[16:17], vcc
	s_cbranch_execz .LBB649_435
; %bb.434:                              ;   in Loop: Header=BB649_215 Depth=1
	v_and_b32_e32 v46, 7, v42
	v_ffbh_u32_e32 v60, v46
	v_min_u32_e32 v62, 32, v60
	v_subrev_u32_e32 v60, 28, v62
	v_lshlrev_b64 v[60:61], v60, v[42:43]
	v_lshrrev_b32_e32 v58, 3, v44
	v_sub_u32_e32 v61, 29, v62
	v_and_b32_e32 v60, 7, v60
	v_cmp_gt_u32_e32 vcc, 8, v44
	v_cndmask_b32_e32 v44, v58, v61, vcc
	v_cndmask_b32_e32 v46, v46, v60, vcc
	v_lshlrev_b32_e32 v58, 24, v42
	v_lshlrev_b32_e32 v46, 20, v46
	v_and_b32_e32 v58, 0x80000000, v58
	v_lshl_add_u32 v44, v44, 23, v55
	v_or3_b32 v58, v58, v44, v46
.LBB649_435:                            ;   in Loop: Header=BB649_215 Depth=1
	s_or_b64 exec, exec, s[16:17]
.LBB649_436:                            ;   in Loop: Header=BB649_215 Depth=1
	s_or_b64 exec, exec, s[14:15]
.LBB649_437:                            ;   in Loop: Header=BB649_215 Depth=1
	s_or_b64 exec, exec, s[12:13]
	v_lshrrev_b16_e32 v44, 8, v42
	v_cmp_ne_u16_e32 vcc, 0, v44
	v_mov_b32_e32 v60, 0
	v_mov_b32_e32 v61, 0
	s_and_saveexec_b64 s[12:13], vcc
	s_cbranch_execz .LBB649_443
; %bb.438:                              ;   in Loop: Header=BB649_215 Depth=1
	v_cmp_ne_u16_e32 vcc, s9, v44
	v_bfrev_b32_e32 v61, 1
	s_and_saveexec_b64 s[14:15], vcc
	s_cbranch_execz .LBB649_442
; %bb.439:                              ;   in Loop: Header=BB649_215 Depth=1
	v_and_b32_e32 v46, 0x7f, v44
	v_cmp_ne_u32_e32 vcc, s19, v46
	v_mov_b32_e32 v61, 0x7f800001
	s_and_saveexec_b64 s[16:17], vcc
	s_cbranch_execz .LBB649_441
; %bb.440:                              ;   in Loop: Header=BB649_215 Depth=1
	v_and_b32_e32 v61, 7, v44
	v_ffbh_u32_e32 v62, v61
	v_min_u32_e32 v65, 32, v62
	v_subrev_u32_e32 v62, 28, v65
	v_lshlrev_b64 v[62:63], v62, v[44:45]
	v_lshrrev_b32_e32 v64, 3, v46
	v_sub_u32_e32 v44, 29, v65
	v_and_b32_e32 v62, 7, v62
	v_cmp_gt_u32_e32 vcc, 8, v46
	v_cndmask_b32_e32 v44, v64, v44, vcc
	v_cndmask_b32_e32 v46, v61, v62, vcc
	v_lshlrev_b32_e32 v61, 16, v42
	v_lshlrev_b32_e32 v46, 20, v46
	v_and_b32_e32 v61, 0x80000000, v61
	v_lshl_add_u32 v44, v44, 23, v55
	v_or3_b32 v61, v61, v44, v46
.LBB649_441:                            ;   in Loop: Header=BB649_215 Depth=1
	s_or_b64 exec, exec, s[16:17]
.LBB649_442:                            ;   in Loop: Header=BB649_215 Depth=1
	s_or_b64 exec, exec, s[14:15]
.LBB649_443:                            ;   in Loop: Header=BB649_215 Depth=1
	s_or_b64 exec, exec, s[12:13]
	v_lshrrev_b32_e32 v44, 16, v42
	v_cmp_ne_u16_sdwa s[14:15], v44, v54 src0_sel:BYTE_0 src1_sel:DWORD
	s_and_saveexec_b64 s[12:13], s[14:15]
	s_cbranch_execz .LBB649_449
; %bb.444:                              ;   in Loop: Header=BB649_215 Depth=1
	v_cmp_ne_u16_sdwa s[16:17], v44, s9 src0_sel:BYTE_0 src1_sel:DWORD
	v_bfrev_b32_e32 v60, 1
	s_and_saveexec_b64 s[14:15], s[16:17]
	s_cbranch_execz .LBB649_448
; %bb.445:                              ;   in Loop: Header=BB649_215 Depth=1
	v_bfe_u32 v46, v42, 16, 7
	v_cmp_ne_u32_e32 vcc, s19, v46
	v_mov_b32_e32 v60, 0x7f800001
	s_and_saveexec_b64 s[16:17], vcc
	s_cbranch_execz .LBB649_447
; %bb.446:                              ;   in Loop: Header=BB649_215 Depth=1
	v_and_b32_e32 v60, 7, v44
	v_ffbh_u32_e32 v62, v60
	v_min_u32_e32 v65, 32, v62
	v_subrev_u32_e32 v62, 28, v65
	v_lshlrev_b64 v[62:63], v62, v[44:45]
	v_lshrrev_b32_e32 v64, 3, v46
	v_sub_u32_e32 v63, 29, v65
	v_and_b32_e32 v62, 7, v62
	v_cmp_gt_u32_e32 vcc, 8, v46
	v_cndmask_b32_e32 v46, v64, v63, vcc
	v_cndmask_b32_e32 v60, v60, v62, vcc
	v_lshlrev_b32_e32 v44, 24, v44
	v_lshlrev_b32_e32 v60, 20, v60
	v_and_b32_e32 v44, 0x80000000, v44
	v_lshl_add_u32 v46, v46, 23, v55
	v_or3_b32 v60, v44, v46, v60
.LBB649_447:                            ;   in Loop: Header=BB649_215 Depth=1
	s_or_b64 exec, exec, s[16:17]
.LBB649_448:                            ;   in Loop: Header=BB649_215 Depth=1
	s_or_b64 exec, exec, s[14:15]
.LBB649_449:                            ;   in Loop: Header=BB649_215 Depth=1
	s_or_b64 exec, exec, s[12:13]
	v_cmp_lt_u32_e32 vcc, s20, v42
	v_mov_b32_e32 v46, 0
	v_mov_b32_e32 v62, 0
	s_and_saveexec_b64 s[12:13], vcc
	s_cbranch_execz .LBB649_455
; %bb.450:                              ;   in Loop: Header=BB649_215 Depth=1
	v_lshrrev_b32_e32 v44, 24, v42
	v_cmp_ne_u32_e32 vcc, s9, v44
	v_bfrev_b32_e32 v62, 1
	s_and_saveexec_b64 s[14:15], vcc
	s_cbranch_execz .LBB649_454
; %bb.451:                              ;   in Loop: Header=BB649_215 Depth=1
	v_bfe_u32 v42, v42, 24, 7
	v_cmp_ne_u32_e32 vcc, s19, v42
	v_mov_b32_e32 v62, 0x7f800001
	s_and_saveexec_b64 s[16:17], vcc
	s_cbranch_execz .LBB649_453
; %bb.452:                              ;   in Loop: Header=BB649_215 Depth=1
	v_and_b32_e32 v64, 7, v44
	v_ffbh_u32_e32 v62, v64
	v_min_u32_e32 v66, 32, v62
	v_subrev_u32_e32 v62, 28, v66
	v_lshlrev_b64 v[62:63], v62, v[44:45]
	v_lshrrev_b32_e32 v65, 3, v42
	v_sub_u32_e32 v63, 29, v66
	v_and_b32_e32 v62, 7, v62
	v_cmp_gt_u32_e32 vcc, 8, v42
	v_cndmask_b32_e32 v42, v65, v63, vcc
	v_cndmask_b32_e32 v62, v64, v62, vcc
	v_lshlrev_b32_e32 v44, 24, v44
	v_lshlrev_b32_e32 v62, 20, v62
	v_and_b32_e32 v44, 0x80000000, v44
	v_lshl_add_u32 v42, v42, 23, v55
	v_or3_b32 v62, v44, v42, v62
.LBB649_453:                            ;   in Loop: Header=BB649_215 Depth=1
	s_or_b64 exec, exec, s[16:17]
.LBB649_454:                            ;   in Loop: Header=BB649_215 Depth=1
	s_or_b64 exec, exec, s[14:15]
.LBB649_455:                            ;   in Loop: Header=BB649_215 Depth=1
	s_or_b64 exec, exec, s[12:13]
	v_cvt_pkrtz_f16_f32 v56, v56, v57
	v_cvt_pkrtz_f16_f32 v57, v51, v59
	s_waitcnt vmcnt(1)
	v_cmp_ne_u16_sdwa s[14:15], v40, v54 src0_sel:BYTE_0 src1_sel:DWORD
	v_mfma_f32_16x16x16f16 v[34:37], v[56:57], v[18:19], v[34:37]
	v_cvt_pkrtz_f16_f32 v56, v58, v61
	v_cvt_pkrtz_f16_f32 v57, v60, v62
	s_nop 1
	v_mfma_f32_16x16x16f16 v[34:37], v[56:57], v[20:21], v[34:37]
	s_and_saveexec_b64 s[12:13], s[14:15]
	s_cbranch_execz .LBB649_461
; %bb.456:                              ;   in Loop: Header=BB649_215 Depth=1
	v_cmp_ne_u16_sdwa s[16:17], v40, s9 src0_sel:BYTE_0 src1_sel:DWORD
	v_bfrev_b32_e32 v46, 1
	s_and_saveexec_b64 s[14:15], s[16:17]
	s_cbranch_execz .LBB649_460
; %bb.457:                              ;   in Loop: Header=BB649_215 Depth=1
	v_and_b32_e32 v42, 0x7f, v40
	v_cmp_ne_u32_e32 vcc, s19, v42
	v_mov_b32_e32 v46, 0x7f800001
	s_and_saveexec_b64 s[16:17], vcc
	s_cbranch_execz .LBB649_459
; %bb.458:                              ;   in Loop: Header=BB649_215 Depth=1
	v_and_b32_e32 v44, 7, v40
	v_ffbh_u32_e32 v51, v44
	v_min_u32_e32 v51, 32, v51
	v_subrev_u32_e32 v56, 28, v51
	v_lshlrev_b64 v[56:57], v56, v[40:41]
	v_lshrrev_b32_e32 v46, 3, v42
	v_sub_u32_e32 v51, 29, v51
	v_and_b32_e32 v56, 7, v56
	v_cmp_gt_u32_e32 vcc, 8, v42
	v_cndmask_b32_e32 v42, v46, v51, vcc
	v_cndmask_b32_e32 v44, v44, v56, vcc
	v_lshlrev_b32_e32 v46, 24, v40
	v_lshlrev_b32_e32 v44, 20, v44
	v_and_b32_e32 v46, 0x80000000, v46
	v_lshl_add_u32 v42, v42, 23, v55
	v_or3_b32 v46, v46, v42, v44
.LBB649_459:                            ;   in Loop: Header=BB649_215 Depth=1
	s_or_b64 exec, exec, s[16:17]
.LBB649_460:                            ;   in Loop: Header=BB649_215 Depth=1
	s_or_b64 exec, exec, s[14:15]
.LBB649_461:                            ;   in Loop: Header=BB649_215 Depth=1
	s_or_b64 exec, exec, s[12:13]
	v_lshrrev_b16_e32 v42, 8, v40
	v_cmp_ne_u16_e32 vcc, 0, v42
	v_mov_b32_e32 v44, 0
	v_mov_b32_e32 v56, 0
	s_and_saveexec_b64 s[12:13], vcc
	s_cbranch_execz .LBB649_467
; %bb.462:                              ;   in Loop: Header=BB649_215 Depth=1
	v_cmp_ne_u16_e32 vcc, s9, v42
	v_bfrev_b32_e32 v56, 1
	s_and_saveexec_b64 s[14:15], vcc
	s_cbranch_execz .LBB649_466
; %bb.463:                              ;   in Loop: Header=BB649_215 Depth=1
	v_and_b32_e32 v51, 0x7f, v42
	v_cmp_ne_u32_e32 vcc, s19, v51
	v_mov_b32_e32 v56, 0x7f800001
	s_and_saveexec_b64 s[16:17], vcc
	s_cbranch_execz .LBB649_465
; %bb.464:                              ;   in Loop: Header=BB649_215 Depth=1
	v_and_b32_e32 v58, 7, v42
	v_ffbh_u32_e32 v56, v58
	v_min_u32_e32 v60, 32, v56
	v_subrev_u32_e32 v56, 28, v60
	v_lshlrev_b64 v[56:57], v56, v[42:43]
	v_lshrrev_b32_e32 v59, 3, v51
	v_sub_u32_e32 v42, 29, v60
	v_and_b32_e32 v56, 7, v56
	v_cmp_gt_u32_e32 vcc, 8, v51
	v_cndmask_b32_e32 v42, v59, v42, vcc
	v_cndmask_b32_e32 v51, v58, v56, vcc
	v_lshlrev_b32_e32 v56, 16, v40
	v_lshlrev_b32_e32 v51, 20, v51
	v_and_b32_e32 v56, 0x80000000, v56
	v_lshl_add_u32 v42, v42, 23, v55
	v_or3_b32 v56, v56, v42, v51
.LBB649_465:                            ;   in Loop: Header=BB649_215 Depth=1
	s_or_b64 exec, exec, s[16:17]
.LBB649_466:                            ;   in Loop: Header=BB649_215 Depth=1
	s_or_b64 exec, exec, s[14:15]
.LBB649_467:                            ;   in Loop: Header=BB649_215 Depth=1
	s_or_b64 exec, exec, s[12:13]
	v_lshrrev_b32_e32 v42, 16, v40
	v_cmp_ne_u16_sdwa s[14:15], v42, v54 src0_sel:BYTE_0 src1_sel:DWORD
	s_and_saveexec_b64 s[12:13], s[14:15]
	s_cbranch_execz .LBB649_473
; %bb.468:                              ;   in Loop: Header=BB649_215 Depth=1
	v_cmp_ne_u16_sdwa s[16:17], v42, s9 src0_sel:BYTE_0 src1_sel:DWORD
	v_bfrev_b32_e32 v44, 1
	s_and_saveexec_b64 s[14:15], s[16:17]
	s_cbranch_execz .LBB649_472
; %bb.469:                              ;   in Loop: Header=BB649_215 Depth=1
	v_bfe_u32 v51, v40, 16, 7
	v_cmp_ne_u32_e32 vcc, s19, v51
	v_mov_b32_e32 v44, 0x7f800001
	s_and_saveexec_b64 s[16:17], vcc
	s_cbranch_execz .LBB649_471
; %bb.470:                              ;   in Loop: Header=BB649_215 Depth=1
	v_and_b32_e32 v44, 7, v42
	v_ffbh_u32_e32 v58, v44
	v_min_u32_e32 v60, 32, v58
	v_subrev_u32_e32 v58, 28, v60
	v_lshlrev_b64 v[58:59], v58, v[42:43]
	v_lshrrev_b32_e32 v57, 3, v51
	v_sub_u32_e32 v59, 29, v60
	v_and_b32_e32 v58, 7, v58
	v_cmp_gt_u32_e32 vcc, 8, v51
	v_cndmask_b32_e32 v51, v57, v59, vcc
	v_cndmask_b32_e32 v44, v44, v58, vcc
	v_lshlrev_b32_e32 v42, 24, v42
	v_lshlrev_b32_e32 v44, 20, v44
	v_and_b32_e32 v42, 0x80000000, v42
	v_lshl_add_u32 v51, v51, 23, v55
	v_or3_b32 v44, v42, v51, v44
.LBB649_471:                            ;   in Loop: Header=BB649_215 Depth=1
	s_or_b64 exec, exec, s[16:17]
.LBB649_472:                            ;   in Loop: Header=BB649_215 Depth=1
	s_or_b64 exec, exec, s[14:15]
.LBB649_473:                            ;   in Loop: Header=BB649_215 Depth=1
	s_or_b64 exec, exec, s[12:13]
	v_cmp_lt_u32_e32 vcc, s20, v40
	v_mov_b32_e32 v57, 0
	v_mov_b32_e32 v58, 0
	s_and_saveexec_b64 s[12:13], vcc
	s_cbranch_execz .LBB649_479
; %bb.474:                              ;   in Loop: Header=BB649_215 Depth=1
	v_lshrrev_b32_e32 v42, 24, v40
	v_cmp_ne_u32_e32 vcc, s9, v42
	v_bfrev_b32_e32 v58, 1
	s_and_saveexec_b64 s[14:15], vcc
	s_cbranch_execz .LBB649_478
; %bb.475:                              ;   in Loop: Header=BB649_215 Depth=1
	v_bfe_u32 v40, v40, 24, 7
	v_cmp_ne_u32_e32 vcc, s19, v40
	v_mov_b32_e32 v58, 0x7f800001
	s_and_saveexec_b64 s[16:17], vcc
	s_cbranch_execz .LBB649_477
; %bb.476:                              ;   in Loop: Header=BB649_215 Depth=1
	v_and_b32_e32 v51, 7, v42
	v_ffbh_u32_e32 v58, v51
	v_min_u32_e32 v61, 32, v58
	v_subrev_u32_e32 v58, 28, v61
	v_lshlrev_b64 v[58:59], v58, v[42:43]
	v_lshrrev_b32_e32 v60, 3, v40
	v_sub_u32_e32 v59, 29, v61
	v_and_b32_e32 v58, 7, v58
	v_cmp_gt_u32_e32 vcc, 8, v40
	v_cndmask_b32_e32 v40, v60, v59, vcc
	v_cndmask_b32_e32 v51, v51, v58, vcc
	v_lshlrev_b32_e32 v42, 24, v42
	v_lshlrev_b32_e32 v51, 20, v51
	v_and_b32_e32 v42, 0x80000000, v42
	v_lshl_add_u32 v40, v40, 23, v55
	v_or3_b32 v58, v42, v40, v51
.LBB649_477:                            ;   in Loop: Header=BB649_215 Depth=1
	s_or_b64 exec, exec, s[16:17]
.LBB649_478:                            ;   in Loop: Header=BB649_215 Depth=1
	s_or_b64 exec, exec, s[14:15]
.LBB649_479:                            ;   in Loop: Header=BB649_215 Depth=1
	s_or_b64 exec, exec, s[12:13]
	s_waitcnt vmcnt(0)
	v_cmp_ne_u16_sdwa s[14:15], v38, v54 src0_sel:BYTE_0 src1_sel:DWORD
	s_and_saveexec_b64 s[12:13], s[14:15]
	s_cbranch_execz .LBB649_485
; %bb.480:                              ;   in Loop: Header=BB649_215 Depth=1
	v_cmp_ne_u16_sdwa s[16:17], v38, s9 src0_sel:BYTE_0 src1_sel:DWORD
	v_bfrev_b32_e32 v57, 1
	s_and_saveexec_b64 s[14:15], s[16:17]
	s_cbranch_execz .LBB649_484
; %bb.481:                              ;   in Loop: Header=BB649_215 Depth=1
	v_and_b32_e32 v40, 0x7f, v38
	v_cmp_ne_u32_e32 vcc, s19, v40
	v_mov_b32_e32 v57, 0x7f800001
	s_and_saveexec_b64 s[16:17], vcc
	s_cbranch_execz .LBB649_483
; %bb.482:                              ;   in Loop: Header=BB649_215 Depth=1
	v_and_b32_e32 v42, 7, v38
	v_ffbh_u32_e32 v57, v42
	v_min_u32_e32 v57, 32, v57
	v_subrev_u32_e32 v59, 28, v57
	v_lshlrev_b64 v[60:61], v59, v[38:39]
	v_lshrrev_b32_e32 v51, 3, v40
	v_sub_u32_e32 v57, 29, v57
	v_and_b32_e32 v59, 7, v60
	v_cmp_gt_u32_e32 vcc, 8, v40
	v_cndmask_b32_e32 v40, v51, v57, vcc
	v_cndmask_b32_e32 v42, v42, v59, vcc
	v_lshlrev_b32_e32 v51, 24, v38
	v_lshlrev_b32_e32 v42, 20, v42
	v_and_b32_e32 v51, 0x80000000, v51
	v_lshl_add_u32 v40, v40, 23, v55
	v_or3_b32 v57, v51, v40, v42
.LBB649_483:                            ;   in Loop: Header=BB649_215 Depth=1
	s_or_b64 exec, exec, s[16:17]
.LBB649_484:                            ;   in Loop: Header=BB649_215 Depth=1
	s_or_b64 exec, exec, s[14:15]
.LBB649_485:                            ;   in Loop: Header=BB649_215 Depth=1
	s_or_b64 exec, exec, s[12:13]
	v_lshrrev_b16_e32 v40, 8, v38
	v_cmp_ne_u16_e32 vcc, 0, v40
	v_mov_b32_e32 v59, 0
	v_mov_b32_e32 v60, 0
	s_and_saveexec_b64 s[12:13], vcc
	s_cbranch_execz .LBB649_491
; %bb.486:                              ;   in Loop: Header=BB649_215 Depth=1
	v_cmp_ne_u16_e32 vcc, s9, v40
	v_bfrev_b32_e32 v60, 1
	s_and_saveexec_b64 s[14:15], vcc
	s_cbranch_execz .LBB649_490
; %bb.487:                              ;   in Loop: Header=BB649_215 Depth=1
	v_and_b32_e32 v42, 0x7f, v40
	v_cmp_ne_u32_e32 vcc, s19, v42
	v_mov_b32_e32 v60, 0x7f800001
	s_and_saveexec_b64 s[16:17], vcc
	s_cbranch_execz .LBB649_489
; %bb.488:                              ;   in Loop: Header=BB649_215 Depth=1
	v_and_b32_e32 v51, 7, v40
	v_ffbh_u32_e32 v60, v51
	v_min_u32_e32 v63, 32, v60
	v_subrev_u32_e32 v60, 28, v63
	v_lshlrev_b64 v[60:61], v60, v[40:41]
	v_lshrrev_b32_e32 v62, 3, v42
	v_sub_u32_e32 v40, 29, v63
	v_and_b32_e32 v60, 7, v60
	v_cmp_gt_u32_e32 vcc, 8, v42
	v_cndmask_b32_e32 v40, v62, v40, vcc
	v_cndmask_b32_e32 v42, v51, v60, vcc
	v_lshlrev_b32_e32 v51, 16, v38
	v_lshlrev_b32_e32 v42, 20, v42
	v_and_b32_e32 v51, 0x80000000, v51
	v_lshl_add_u32 v40, v40, 23, v55
	v_or3_b32 v60, v51, v40, v42
.LBB649_489:                            ;   in Loop: Header=BB649_215 Depth=1
	s_or_b64 exec, exec, s[16:17]
.LBB649_490:                            ;   in Loop: Header=BB649_215 Depth=1
	s_or_b64 exec, exec, s[14:15]
.LBB649_491:                            ;   in Loop: Header=BB649_215 Depth=1
	s_or_b64 exec, exec, s[12:13]
	v_lshrrev_b32_e32 v40, 16, v38
	v_cmp_ne_u16_sdwa s[14:15], v40, v54 src0_sel:BYTE_0 src1_sel:DWORD
	s_and_saveexec_b64 s[12:13], s[14:15]
	s_cbranch_execz .LBB649_497
; %bb.492:                              ;   in Loop: Header=BB649_215 Depth=1
	v_cmp_ne_u16_sdwa s[16:17], v40, s9 src0_sel:BYTE_0 src1_sel:DWORD
	v_bfrev_b32_e32 v59, 1
	s_and_saveexec_b64 s[14:15], s[16:17]
	s_cbranch_execz .LBB649_496
; %bb.493:                              ;   in Loop: Header=BB649_215 Depth=1
	v_bfe_u32 v42, v38, 16, 7
	v_cmp_ne_u32_e32 vcc, s19, v42
	v_mov_b32_e32 v59, 0x7f800001
	s_and_saveexec_b64 s[16:17], vcc
	s_cbranch_execz .LBB649_495
; %bb.494:                              ;   in Loop: Header=BB649_215 Depth=1
	v_and_b32_e32 v51, 7, v40
	v_ffbh_u32_e32 v61, v51
	v_min_u32_e32 v61, 32, v61
	v_subrev_u32_e32 v62, 28, v61
	v_lshlrev_b64 v[62:63], v62, v[40:41]
	v_lshrrev_b32_e32 v59, 3, v42
	v_sub_u32_e32 v61, 29, v61
	v_and_b32_e32 v62, 7, v62
	v_cmp_gt_u32_e32 vcc, 8, v42
	v_cndmask_b32_e32 v42, v59, v61, vcc
	v_cndmask_b32_e32 v51, v51, v62, vcc
	v_lshlrev_b32_e32 v40, 24, v40
	v_lshlrev_b32_e32 v51, 20, v51
	v_and_b32_e32 v40, 0x80000000, v40
	v_lshl_add_u32 v42, v42, 23, v55
	v_or3_b32 v59, v40, v42, v51
.LBB649_495:                            ;   in Loop: Header=BB649_215 Depth=1
	s_or_b64 exec, exec, s[16:17]
.LBB649_496:                            ;   in Loop: Header=BB649_215 Depth=1
	s_or_b64 exec, exec, s[14:15]
.LBB649_497:                            ;   in Loop: Header=BB649_215 Depth=1
	s_or_b64 exec, exec, s[12:13]
	v_cmp_lt_u32_e32 vcc, s20, v38
	v_mov_b32_e32 v51, 0
	v_mov_b32_e32 v61, 0
	s_and_saveexec_b64 s[12:13], vcc
	s_cbranch_execz .LBB649_503
; %bb.498:                              ;   in Loop: Header=BB649_215 Depth=1
	v_lshrrev_b32_e32 v40, 24, v38
	v_cmp_ne_u32_e32 vcc, s9, v40
	v_bfrev_b32_e32 v61, 1
	s_and_saveexec_b64 s[14:15], vcc
	s_cbranch_execz .LBB649_502
; %bb.499:                              ;   in Loop: Header=BB649_215 Depth=1
	v_bfe_u32 v38, v38, 24, 7
	v_cmp_ne_u32_e32 vcc, s19, v38
	v_mov_b32_e32 v61, 0x7f800001
	s_and_saveexec_b64 s[16:17], vcc
	s_cbranch_execz .LBB649_501
; %bb.500:                              ;   in Loop: Header=BB649_215 Depth=1
	v_and_b32_e32 v42, 7, v40
	v_ffbh_u32_e32 v62, v42
	v_min_u32_e32 v64, 32, v62
	v_subrev_u32_e32 v62, 28, v64
	v_lshlrev_b64 v[62:63], v62, v[40:41]
	v_lshrrev_b32_e32 v61, 3, v38
	v_sub_u32_e32 v63, 29, v64
	v_and_b32_e32 v62, 7, v62
	v_cmp_gt_u32_e32 vcc, 8, v38
	v_cndmask_b32_e32 v38, v61, v63, vcc
	v_cndmask_b32_e32 v42, v42, v62, vcc
	v_lshlrev_b32_e32 v40, 24, v40
	v_lshlrev_b32_e32 v42, 20, v42
	v_and_b32_e32 v40, 0x80000000, v40
	v_lshl_add_u32 v38, v38, 23, v55
	v_or3_b32 v61, v40, v38, v42
.LBB649_501:                            ;   in Loop: Header=BB649_215 Depth=1
	s_or_b64 exec, exec, s[16:17]
.LBB649_502:                            ;   in Loop: Header=BB649_215 Depth=1
	s_or_b64 exec, exec, s[14:15]
.LBB649_503:                            ;   in Loop: Header=BB649_215 Depth=1
	s_or_b64 exec, exec, s[12:13]
	v_cvt_pkrtz_f16_f32 v63, v44, v58
	buffer_load_dword v44, v50, s[0:3], 0 offen
	buffer_load_dword v42, v50, s[0:3], 0 offen offset:4
	buffer_load_dword v40, v50, s[0:3], 0 offen offset:8
	;; [unrolled: 1-line block ×3, first 2 shown]
	v_cvt_pkrtz_f16_f32 v62, v46, v56
	v_cvt_pkrtz_f16_f32 v56, v57, v60
	;; [unrolled: 1-line block ×3, first 2 shown]
	v_mfma_f32_16x16x16f16 v[34:37], v[62:63], v[22:23], v[34:37]
	s_waitcnt vmcnt(3)
	v_cmp_ne_u16_sdwa s[14:15], v44, v54 src0_sel:BYTE_0 src1_sel:DWORD
	v_mfma_f32_16x16x16f16 v[34:37], v[56:57], v[24:25], v[34:37]
	s_and_saveexec_b64 s[12:13], s[14:15]
	s_cbranch_execz .LBB649_509
; %bb.504:                              ;   in Loop: Header=BB649_215 Depth=1
	v_cmp_ne_u16_sdwa s[16:17], v44, s9 src0_sel:BYTE_0 src1_sel:DWORD
	v_bfrev_b32_e32 v51, 1
	s_and_saveexec_b64 s[14:15], s[16:17]
	s_cbranch_execz .LBB649_508
; %bb.505:                              ;   in Loop: Header=BB649_215 Depth=1
	v_and_b32_e32 v46, 0x7f, v44
	v_cmp_ne_u32_e32 vcc, s19, v46
	v_mov_b32_e32 v51, 0x7f800001
	s_and_saveexec_b64 s[16:17], vcc
	s_cbranch_execz .LBB649_507
; %bb.506:                              ;   in Loop: Header=BB649_215 Depth=1
	v_and_b32_e32 v56, 7, v44
	v_ffbh_u32_e32 v50, v56
	v_min_u32_e32 v58, 32, v50
	v_subrev_u32_e32 v50, 28, v58
	v_lshlrev_b64 v[50:51], v50, v[44:45]
	v_lshrrev_b32_e32 v57, 3, v46
	v_sub_u32_e32 v51, 29, v58
	v_and_b32_e32 v50, 7, v50
	v_cmp_gt_u32_e32 vcc, 8, v46
	v_cndmask_b32_e32 v46, v57, v51, vcc
	v_cndmask_b32_e32 v50, v56, v50, vcc
	v_lshlrev_b32_e32 v51, 24, v44
	v_lshlrev_b32_e32 v50, 20, v50
	v_and_b32_e32 v51, 0x80000000, v51
	v_lshl_add_u32 v46, v46, 23, v55
	v_or3_b32 v51, v51, v46, v50
.LBB649_507:                            ;   in Loop: Header=BB649_215 Depth=1
	s_or_b64 exec, exec, s[16:17]
.LBB649_508:                            ;   in Loop: Header=BB649_215 Depth=1
	s_or_b64 exec, exec, s[14:15]
.LBB649_509:                            ;   in Loop: Header=BB649_215 Depth=1
	s_or_b64 exec, exec, s[12:13]
	v_lshrrev_b16_e32 v46, 8, v44
	v_cmp_ne_u16_e32 vcc, 0, v46
	v_mov_b32_e32 v50, 0
	v_mov_b32_e32 v56, 0
	s_and_saveexec_b64 s[12:13], vcc
	s_cbranch_execz .LBB649_515
; %bb.510:                              ;   in Loop: Header=BB649_215 Depth=1
	v_cmp_ne_u16_e32 vcc, s9, v46
	v_bfrev_b32_e32 v56, 1
	s_and_saveexec_b64 s[14:15], vcc
	s_cbranch_execz .LBB649_514
; %bb.511:                              ;   in Loop: Header=BB649_215 Depth=1
	v_and_b32_e32 v57, 0x7f, v46
	v_cmp_ne_u32_e32 vcc, s19, v57
	v_mov_b32_e32 v56, 0x7f800001
	s_and_saveexec_b64 s[16:17], vcc
	s_cbranch_execz .LBB649_513
; %bb.512:                              ;   in Loop: Header=BB649_215 Depth=1
	v_and_b32_e32 v56, 7, v46
	v_ffbh_u32_e32 v58, v56
	v_min_u32_e32 v61, 32, v58
	v_subrev_u32_e32 v58, 28, v61
	v_lshlrev_b64 v[58:59], v58, v[46:47]
	v_lshrrev_b32_e32 v60, 3, v57
	v_sub_u32_e32 v46, 29, v61
	v_and_b32_e32 v58, 7, v58
	v_cmp_gt_u32_e32 vcc, 8, v57
	v_cndmask_b32_e32 v46, v60, v46, vcc
	v_cndmask_b32_e32 v56, v56, v58, vcc
	v_lshlrev_b32_e32 v57, 16, v44
	v_lshlrev_b32_e32 v56, 20, v56
	v_and_b32_e32 v57, 0x80000000, v57
	v_lshl_add_u32 v46, v46, 23, v55
	v_or3_b32 v56, v57, v46, v56
.LBB649_513:                            ;   in Loop: Header=BB649_215 Depth=1
	s_or_b64 exec, exec, s[16:17]
.LBB649_514:                            ;   in Loop: Header=BB649_215 Depth=1
	s_or_b64 exec, exec, s[14:15]
.LBB649_515:                            ;   in Loop: Header=BB649_215 Depth=1
	s_or_b64 exec, exec, s[12:13]
	v_lshrrev_b32_e32 v46, 16, v44
	v_cmp_ne_u16_sdwa s[14:15], v46, v54 src0_sel:BYTE_0 src1_sel:DWORD
	s_and_saveexec_b64 s[12:13], s[14:15]
	s_cbranch_execz .LBB649_521
; %bb.516:                              ;   in Loop: Header=BB649_215 Depth=1
	v_cmp_ne_u16_sdwa s[16:17], v46, s9 src0_sel:BYTE_0 src1_sel:DWORD
	v_bfrev_b32_e32 v50, 1
	s_and_saveexec_b64 s[14:15], s[16:17]
	s_cbranch_execz .LBB649_520
; %bb.517:                              ;   in Loop: Header=BB649_215 Depth=1
	v_bfe_u32 v57, v44, 16, 7
	v_cmp_ne_u32_e32 vcc, s19, v57
	v_mov_b32_e32 v50, 0x7f800001
	s_and_saveexec_b64 s[16:17], vcc
	s_cbranch_execz .LBB649_519
; %bb.518:                              ;   in Loop: Header=BB649_215 Depth=1
	v_and_b32_e32 v50, 7, v46
	v_ffbh_u32_e32 v58, v50
	v_min_u32_e32 v61, 32, v58
	v_subrev_u32_e32 v58, 28, v61
	v_lshlrev_b64 v[58:59], v58, v[46:47]
	v_lshrrev_b32_e32 v60, 3, v57
	v_sub_u32_e32 v59, 29, v61
	v_and_b32_e32 v58, 7, v58
	v_cmp_gt_u32_e32 vcc, 8, v57
	v_cndmask_b32_e32 v57, v60, v59, vcc
	v_cndmask_b32_e32 v50, v50, v58, vcc
	v_lshlrev_b32_e32 v46, 24, v46
	v_lshlrev_b32_e32 v50, 20, v50
	v_and_b32_e32 v46, 0x80000000, v46
	v_lshl_add_u32 v57, v57, 23, v55
	v_or3_b32 v50, v46, v57, v50
.LBB649_519:                            ;   in Loop: Header=BB649_215 Depth=1
	s_or_b64 exec, exec, s[16:17]
.LBB649_520:                            ;   in Loop: Header=BB649_215 Depth=1
	s_or_b64 exec, exec, s[14:15]
.LBB649_521:                            ;   in Loop: Header=BB649_215 Depth=1
	s_or_b64 exec, exec, s[12:13]
	v_cmp_lt_u32_e32 vcc, s20, v44
	v_mov_b32_e32 v57, 0
	v_mov_b32_e32 v58, 0
	s_and_saveexec_b64 s[12:13], vcc
	s_cbranch_execz .LBB649_527
; %bb.522:                              ;   in Loop: Header=BB649_215 Depth=1
	v_lshrrev_b32_e32 v46, 24, v44
	v_cmp_ne_u32_e32 vcc, s9, v46
	v_bfrev_b32_e32 v58, 1
	s_and_saveexec_b64 s[14:15], vcc
	s_cbranch_execz .LBB649_526
; %bb.523:                              ;   in Loop: Header=BB649_215 Depth=1
	v_bfe_u32 v44, v44, 24, 7
	v_cmp_ne_u32_e32 vcc, s19, v44
	v_mov_b32_e32 v58, 0x7f800001
	s_and_saveexec_b64 s[16:17], vcc
	s_cbranch_execz .LBB649_525
; %bb.524:                              ;   in Loop: Header=BB649_215 Depth=1
	v_and_b32_e32 v60, 7, v46
	v_ffbh_u32_e32 v58, v60
	v_min_u32_e32 v62, 32, v58
	v_subrev_u32_e32 v58, 28, v62
	v_lshlrev_b64 v[58:59], v58, v[46:47]
	v_lshrrev_b32_e32 v61, 3, v44
	v_sub_u32_e32 v59, 29, v62
	v_and_b32_e32 v58, 7, v58
	v_cmp_gt_u32_e32 vcc, 8, v44
	v_cndmask_b32_e32 v44, v61, v59, vcc
	v_cndmask_b32_e32 v58, v60, v58, vcc
	v_lshlrev_b32_e32 v46, 24, v46
	v_lshlrev_b32_e32 v58, 20, v58
	v_and_b32_e32 v46, 0x80000000, v46
	v_lshl_add_u32 v44, v44, 23, v55
	v_or3_b32 v58, v46, v44, v58
.LBB649_525:                            ;   in Loop: Header=BB649_215 Depth=1
	s_or_b64 exec, exec, s[16:17]
.LBB649_526:                            ;   in Loop: Header=BB649_215 Depth=1
	s_or_b64 exec, exec, s[14:15]
.LBB649_527:                            ;   in Loop: Header=BB649_215 Depth=1
	s_or_b64 exec, exec, s[12:13]
	s_waitcnt vmcnt(2)
	v_cmp_ne_u16_sdwa s[14:15], v42, v54 src0_sel:BYTE_0 src1_sel:DWORD
	s_and_saveexec_b64 s[12:13], s[14:15]
	s_cbranch_execz .LBB649_533
; %bb.528:                              ;   in Loop: Header=BB649_215 Depth=1
	v_cmp_ne_u16_sdwa s[16:17], v42, s9 src0_sel:BYTE_0 src1_sel:DWORD
	v_bfrev_b32_e32 v57, 1
	s_and_saveexec_b64 s[14:15], s[16:17]
	s_cbranch_execz .LBB649_532
; %bb.529:                              ;   in Loop: Header=BB649_215 Depth=1
	v_and_b32_e32 v44, 0x7f, v42
	v_cmp_ne_u32_e32 vcc, s19, v44
	v_mov_b32_e32 v57, 0x7f800001
	s_and_saveexec_b64 s[16:17], vcc
	s_cbranch_execz .LBB649_531
; %bb.530:                              ;   in Loop: Header=BB649_215 Depth=1
	v_and_b32_e32 v46, 7, v42
	v_ffbh_u32_e32 v59, v46
	v_min_u32_e32 v59, 32, v59
	v_subrev_u32_e32 v60, 28, v59
	v_lshlrev_b64 v[60:61], v60, v[42:43]
	v_lshrrev_b32_e32 v57, 3, v44
	v_sub_u32_e32 v59, 29, v59
	v_and_b32_e32 v60, 7, v60
	v_cmp_gt_u32_e32 vcc, 8, v44
	v_cndmask_b32_e32 v44, v57, v59, vcc
	v_cndmask_b32_e32 v46, v46, v60, vcc
	v_lshlrev_b32_e32 v57, 24, v42
	v_lshlrev_b32_e32 v46, 20, v46
	v_and_b32_e32 v57, 0x80000000, v57
	v_lshl_add_u32 v44, v44, 23, v55
	v_or3_b32 v57, v57, v44, v46
.LBB649_531:                            ;   in Loop: Header=BB649_215 Depth=1
	s_or_b64 exec, exec, s[16:17]
.LBB649_532:                            ;   in Loop: Header=BB649_215 Depth=1
	s_or_b64 exec, exec, s[14:15]
.LBB649_533:                            ;   in Loop: Header=BB649_215 Depth=1
	s_or_b64 exec, exec, s[12:13]
	v_lshrrev_b16_e32 v44, 8, v42
	v_cmp_ne_u16_e32 vcc, 0, v44
	v_mov_b32_e32 v59, 0
	v_mov_b32_e32 v60, 0
	s_and_saveexec_b64 s[12:13], vcc
	s_cbranch_execz .LBB649_539
; %bb.534:                              ;   in Loop: Header=BB649_215 Depth=1
	v_cmp_ne_u16_e32 vcc, s9, v44
	v_bfrev_b32_e32 v60, 1
	s_and_saveexec_b64 s[14:15], vcc
	s_cbranch_execz .LBB649_538
; %bb.535:                              ;   in Loop: Header=BB649_215 Depth=1
	v_and_b32_e32 v46, 0x7f, v44
	v_cmp_ne_u32_e32 vcc, s19, v46
	v_mov_b32_e32 v60, 0x7f800001
	s_and_saveexec_b64 s[16:17], vcc
	s_cbranch_execz .LBB649_537
; %bb.536:                              ;   in Loop: Header=BB649_215 Depth=1
	v_and_b32_e32 v62, 7, v44
	v_ffbh_u32_e32 v60, v62
	v_min_u32_e32 v64, 32, v60
	v_subrev_u32_e32 v60, 28, v64
	v_lshlrev_b64 v[60:61], v60, v[44:45]
	v_lshrrev_b32_e32 v63, 3, v46
	v_sub_u32_e32 v44, 29, v64
	v_and_b32_e32 v60, 7, v60
	v_cmp_gt_u32_e32 vcc, 8, v46
	v_cndmask_b32_e32 v44, v63, v44, vcc
	v_cndmask_b32_e32 v46, v62, v60, vcc
	v_lshlrev_b32_e32 v60, 16, v42
	v_lshlrev_b32_e32 v46, 20, v46
	v_and_b32_e32 v60, 0x80000000, v60
	v_lshl_add_u32 v44, v44, 23, v55
	v_or3_b32 v60, v60, v44, v46
.LBB649_537:                            ;   in Loop: Header=BB649_215 Depth=1
	s_or_b64 exec, exec, s[16:17]
.LBB649_538:                            ;   in Loop: Header=BB649_215 Depth=1
	s_or_b64 exec, exec, s[14:15]
.LBB649_539:                            ;   in Loop: Header=BB649_215 Depth=1
	s_or_b64 exec, exec, s[12:13]
	v_lshrrev_b32_e32 v44, 16, v42
	v_cmp_ne_u16_sdwa s[14:15], v44, v54 src0_sel:BYTE_0 src1_sel:DWORD
	s_and_saveexec_b64 s[12:13], s[14:15]
	s_cbranch_execz .LBB649_545
; %bb.540:                              ;   in Loop: Header=BB649_215 Depth=1
	v_cmp_ne_u16_sdwa s[16:17], v44, s9 src0_sel:BYTE_0 src1_sel:DWORD
	v_bfrev_b32_e32 v59, 1
	s_and_saveexec_b64 s[14:15], s[16:17]
	s_cbranch_execz .LBB649_544
; %bb.541:                              ;   in Loop: Header=BB649_215 Depth=1
	v_bfe_u32 v46, v42, 16, 7
	v_cmp_ne_u32_e32 vcc, s19, v46
	v_mov_b32_e32 v59, 0x7f800001
	s_and_saveexec_b64 s[16:17], vcc
	s_cbranch_execz .LBB649_543
; %bb.542:                              ;   in Loop: Header=BB649_215 Depth=1
	v_and_b32_e32 v59, 7, v44
	v_ffbh_u32_e32 v62, v59
	v_min_u32_e32 v64, 32, v62
	v_subrev_u32_e32 v62, 28, v64
	v_lshlrev_b64 v[62:63], v62, v[44:45]
	v_lshrrev_b32_e32 v61, 3, v46
	v_sub_u32_e32 v63, 29, v64
	v_and_b32_e32 v62, 7, v62
	v_cmp_gt_u32_e32 vcc, 8, v46
	v_cndmask_b32_e32 v46, v61, v63, vcc
	v_cndmask_b32_e32 v59, v59, v62, vcc
	v_lshlrev_b32_e32 v44, 24, v44
	v_lshlrev_b32_e32 v59, 20, v59
	v_and_b32_e32 v44, 0x80000000, v44
	v_lshl_add_u32 v46, v46, 23, v55
	v_or3_b32 v59, v44, v46, v59
.LBB649_543:                            ;   in Loop: Header=BB649_215 Depth=1
	s_or_b64 exec, exec, s[16:17]
.LBB649_544:                            ;   in Loop: Header=BB649_215 Depth=1
	s_or_b64 exec, exec, s[14:15]
.LBB649_545:                            ;   in Loop: Header=BB649_215 Depth=1
	s_or_b64 exec, exec, s[12:13]
	v_cmp_lt_u32_e32 vcc, s20, v42
	v_mov_b32_e32 v46, 0
	v_mov_b32_e32 v61, 0
	s_and_saveexec_b64 s[12:13], vcc
	s_cbranch_execz .LBB649_551
; %bb.546:                              ;   in Loop: Header=BB649_215 Depth=1
	v_lshrrev_b32_e32 v44, 24, v42
	v_cmp_ne_u32_e32 vcc, s9, v44
	v_bfrev_b32_e32 v61, 1
	s_and_saveexec_b64 s[14:15], vcc
	s_cbranch_execz .LBB649_550
; %bb.547:                              ;   in Loop: Header=BB649_215 Depth=1
	v_bfe_u32 v42, v42, 24, 7
	v_cmp_ne_u32_e32 vcc, s19, v42
	v_mov_b32_e32 v61, 0x7f800001
	s_and_saveexec_b64 s[16:17], vcc
	s_cbranch_execz .LBB649_549
; %bb.548:                              ;   in Loop: Header=BB649_215 Depth=1
	v_and_b32_e32 v61, 7, v44
	v_ffbh_u32_e32 v62, v61
	v_min_u32_e32 v65, 32, v62
	v_subrev_u32_e32 v62, 28, v65
	v_lshlrev_b64 v[62:63], v62, v[44:45]
	v_lshrrev_b32_e32 v64, 3, v42
	v_sub_u32_e32 v63, 29, v65
	v_and_b32_e32 v62, 7, v62
	v_cmp_gt_u32_e32 vcc, 8, v42
	v_cndmask_b32_e32 v42, v64, v63, vcc
	v_cndmask_b32_e32 v61, v61, v62, vcc
	v_lshlrev_b32_e32 v44, 24, v44
	v_lshlrev_b32_e32 v61, 20, v61
	v_and_b32_e32 v44, 0x80000000, v44
	v_lshl_add_u32 v42, v42, 23, v55
	v_or3_b32 v61, v44, v42, v61
.LBB649_549:                            ;   in Loop: Header=BB649_215 Depth=1
	s_or_b64 exec, exec, s[16:17]
.LBB649_550:                            ;   in Loop: Header=BB649_215 Depth=1
	s_or_b64 exec, exec, s[14:15]
.LBB649_551:                            ;   in Loop: Header=BB649_215 Depth=1
	s_or_b64 exec, exec, s[12:13]
	v_cvt_pkrtz_f16_f32 v62, v51, v56
	v_cvt_pkrtz_f16_f32 v63, v50, v58
	;; [unrolled: 1-line block ×4, first 2 shown]
	s_waitcnt vmcnt(1)
	v_cmp_ne_u16_sdwa s[14:15], v40, v54 src0_sel:BYTE_0 src1_sel:DWORD
	v_mfma_f32_16x16x16f16 v[34:37], v[62:63], v[26:27], v[34:37]
	v_mfma_f32_16x16x16f16 v[34:37], v[50:51], v[28:29], v[34:37]
	s_and_saveexec_b64 s[12:13], s[14:15]
	s_cbranch_execz .LBB649_557
; %bb.552:                              ;   in Loop: Header=BB649_215 Depth=1
	v_cmp_ne_u16_sdwa s[16:17], v40, s9 src0_sel:BYTE_0 src1_sel:DWORD
	v_bfrev_b32_e32 v46, 1
	s_and_saveexec_b64 s[14:15], s[16:17]
	s_cbranch_execz .LBB649_556
; %bb.553:                              ;   in Loop: Header=BB649_215 Depth=1
	v_and_b32_e32 v42, 0x7f, v40
	v_cmp_ne_u32_e32 vcc, s19, v42
	v_mov_b32_e32 v46, 0x7f800001
	s_and_saveexec_b64 s[16:17], vcc
	s_cbranch_execz .LBB649_555
; %bb.554:                              ;   in Loop: Header=BB649_215 Depth=1
	v_and_b32_e32 v44, 7, v40
	v_ffbh_u32_e32 v50, v44
	v_min_u32_e32 v56, 32, v50
	v_subrev_u32_e32 v50, 28, v56
	v_lshlrev_b64 v[50:51], v50, v[40:41]
	v_lshrrev_b32_e32 v46, 3, v42
	v_sub_u32_e32 v51, 29, v56
	v_and_b32_e32 v50, 7, v50
	v_cmp_gt_u32_e32 vcc, 8, v42
	v_cndmask_b32_e32 v42, v46, v51, vcc
	v_cndmask_b32_e32 v44, v44, v50, vcc
	v_lshlrev_b32_e32 v46, 24, v40
	v_lshlrev_b32_e32 v44, 20, v44
	v_and_b32_e32 v46, 0x80000000, v46
	v_lshl_add_u32 v42, v42, 23, v55
	v_or3_b32 v46, v46, v42, v44
.LBB649_555:                            ;   in Loop: Header=BB649_215 Depth=1
	s_or_b64 exec, exec, s[16:17]
.LBB649_556:                            ;   in Loop: Header=BB649_215 Depth=1
	s_or_b64 exec, exec, s[14:15]
.LBB649_557:                            ;   in Loop: Header=BB649_215 Depth=1
	s_or_b64 exec, exec, s[12:13]
	v_lshrrev_b16_e32 v42, 8, v40
	v_cmp_ne_u16_e32 vcc, 0, v42
	v_mov_b32_e32 v44, 0
	v_mov_b32_e32 v50, 0
	s_and_saveexec_b64 s[12:13], vcc
	s_cbranch_execz .LBB649_563
; %bb.558:                              ;   in Loop: Header=BB649_215 Depth=1
	v_cmp_ne_u16_e32 vcc, s9, v42
	v_bfrev_b32_e32 v50, 1
	s_and_saveexec_b64 s[14:15], vcc
	s_cbranch_execz .LBB649_562
; %bb.559:                              ;   in Loop: Header=BB649_215 Depth=1
	v_and_b32_e32 v51, 0x7f, v42
	v_cmp_ne_u32_e32 vcc, s19, v51
	v_mov_b32_e32 v50, 0x7f800001
	s_and_saveexec_b64 s[16:17], vcc
	s_cbranch_execz .LBB649_561
; %bb.560:                              ;   in Loop: Header=BB649_215 Depth=1
	v_and_b32_e32 v50, 7, v42
	v_ffbh_u32_e32 v56, v50
	v_min_u32_e32 v59, 32, v56
	v_subrev_u32_e32 v56, 28, v59
	v_lshlrev_b64 v[56:57], v56, v[42:43]
	v_lshrrev_b32_e32 v58, 3, v51
	v_sub_u32_e32 v42, 29, v59
	v_and_b32_e32 v56, 7, v56
	v_cmp_gt_u32_e32 vcc, 8, v51
	v_cndmask_b32_e32 v42, v58, v42, vcc
	v_cndmask_b32_e32 v50, v50, v56, vcc
	v_lshlrev_b32_e32 v51, 16, v40
	v_lshlrev_b32_e32 v50, 20, v50
	v_and_b32_e32 v51, 0x80000000, v51
	v_lshl_add_u32 v42, v42, 23, v55
	v_or3_b32 v50, v51, v42, v50
.LBB649_561:                            ;   in Loop: Header=BB649_215 Depth=1
	s_or_b64 exec, exec, s[16:17]
.LBB649_562:                            ;   in Loop: Header=BB649_215 Depth=1
	s_or_b64 exec, exec, s[14:15]
.LBB649_563:                            ;   in Loop: Header=BB649_215 Depth=1
	s_or_b64 exec, exec, s[12:13]
	v_lshrrev_b32_e32 v42, 16, v40
	v_cmp_ne_u16_sdwa s[14:15], v42, v54 src0_sel:BYTE_0 src1_sel:DWORD
	s_and_saveexec_b64 s[12:13], s[14:15]
	s_cbranch_execz .LBB649_569
; %bb.564:                              ;   in Loop: Header=BB649_215 Depth=1
	v_cmp_ne_u16_sdwa s[16:17], v42, s9 src0_sel:BYTE_0 src1_sel:DWORD
	v_bfrev_b32_e32 v44, 1
	s_and_saveexec_b64 s[14:15], s[16:17]
	s_cbranch_execz .LBB649_568
; %bb.565:                              ;   in Loop: Header=BB649_215 Depth=1
	v_bfe_u32 v51, v40, 16, 7
	v_cmp_ne_u32_e32 vcc, s19, v51
	v_mov_b32_e32 v44, 0x7f800001
	s_and_saveexec_b64 s[16:17], vcc
	s_cbranch_execz .LBB649_567
; %bb.566:                              ;   in Loop: Header=BB649_215 Depth=1
	v_and_b32_e32 v44, 7, v42
	v_ffbh_u32_e32 v56, v44
	v_min_u32_e32 v59, 32, v56
	v_subrev_u32_e32 v56, 28, v59
	v_lshlrev_b64 v[56:57], v56, v[42:43]
	v_lshrrev_b32_e32 v58, 3, v51
	v_sub_u32_e32 v57, 29, v59
	v_and_b32_e32 v56, 7, v56
	v_cmp_gt_u32_e32 vcc, 8, v51
	v_cndmask_b32_e32 v51, v58, v57, vcc
	v_cndmask_b32_e32 v44, v44, v56, vcc
	v_lshlrev_b32_e32 v42, 24, v42
	v_lshlrev_b32_e32 v44, 20, v44
	v_and_b32_e32 v42, 0x80000000, v42
	v_lshl_add_u32 v51, v51, 23, v55
	v_or3_b32 v44, v42, v51, v44
.LBB649_567:                            ;   in Loop: Header=BB649_215 Depth=1
	s_or_b64 exec, exec, s[16:17]
.LBB649_568:                            ;   in Loop: Header=BB649_215 Depth=1
	s_or_b64 exec, exec, s[14:15]
.LBB649_569:                            ;   in Loop: Header=BB649_215 Depth=1
	s_or_b64 exec, exec, s[12:13]
	v_cmp_lt_u32_e32 vcc, s20, v40
	v_mov_b32_e32 v51, 0
	v_mov_b32_e32 v56, 0
	s_and_saveexec_b64 s[12:13], vcc
	s_cbranch_execz .LBB649_575
; %bb.570:                              ;   in Loop: Header=BB649_215 Depth=1
	v_lshrrev_b32_e32 v42, 24, v40
	v_cmp_ne_u32_e32 vcc, s9, v42
	v_bfrev_b32_e32 v56, 1
	s_and_saveexec_b64 s[14:15], vcc
	s_cbranch_execz .LBB649_574
; %bb.571:                              ;   in Loop: Header=BB649_215 Depth=1
	v_bfe_u32 v40, v40, 24, 7
	v_cmp_ne_u32_e32 vcc, s19, v40
	v_mov_b32_e32 v56, 0x7f800001
	s_and_saveexec_b64 s[16:17], vcc
	s_cbranch_execz .LBB649_573
; %bb.572:                              ;   in Loop: Header=BB649_215 Depth=1
	v_and_b32_e32 v58, 7, v42
	v_ffbh_u32_e32 v56, v58
	v_min_u32_e32 v60, 32, v56
	v_subrev_u32_e32 v56, 28, v60
	v_lshlrev_b64 v[56:57], v56, v[42:43]
	v_lshrrev_b32_e32 v59, 3, v40
	v_sub_u32_e32 v57, 29, v60
	v_and_b32_e32 v56, 7, v56
	v_cmp_gt_u32_e32 vcc, 8, v40
	v_cndmask_b32_e32 v40, v59, v57, vcc
	v_cndmask_b32_e32 v56, v58, v56, vcc
	v_lshlrev_b32_e32 v42, 24, v42
	v_lshlrev_b32_e32 v56, 20, v56
	v_and_b32_e32 v42, 0x80000000, v42
	v_lshl_add_u32 v40, v40, 23, v55
	v_or3_b32 v56, v42, v40, v56
.LBB649_573:                            ;   in Loop: Header=BB649_215 Depth=1
	s_or_b64 exec, exec, s[16:17]
.LBB649_574:                            ;   in Loop: Header=BB649_215 Depth=1
	s_or_b64 exec, exec, s[14:15]
.LBB649_575:                            ;   in Loop: Header=BB649_215 Depth=1
	s_or_b64 exec, exec, s[12:13]
	s_waitcnt vmcnt(0)
	v_cmp_ne_u16_sdwa s[14:15], v38, v54 src0_sel:BYTE_0 src1_sel:DWORD
	s_and_saveexec_b64 s[12:13], s[14:15]
	s_cbranch_execz .LBB649_581
; %bb.576:                              ;   in Loop: Header=BB649_215 Depth=1
	v_cmp_ne_u16_sdwa s[16:17], v38, s9 src0_sel:BYTE_0 src1_sel:DWORD
	v_bfrev_b32_e32 v51, 1
	s_and_saveexec_b64 s[14:15], s[16:17]
	s_cbranch_execz .LBB649_580
; %bb.577:                              ;   in Loop: Header=BB649_215 Depth=1
	v_and_b32_e32 v40, 0x7f, v38
	v_cmp_ne_u32_e32 vcc, s19, v40
	v_mov_b32_e32 v51, 0x7f800001
	s_and_saveexec_b64 s[16:17], vcc
	s_cbranch_execz .LBB649_579
; %bb.578:                              ;   in Loop: Header=BB649_215 Depth=1
	v_and_b32_e32 v42, 7, v38
	v_ffbh_u32_e32 v57, v42
	v_min_u32_e32 v57, 32, v57
	v_subrev_u32_e32 v58, 28, v57
	v_lshlrev_b64 v[58:59], v58, v[38:39]
	v_lshrrev_b32_e32 v51, 3, v40
	v_sub_u32_e32 v57, 29, v57
	v_and_b32_e32 v58, 7, v58
	v_cmp_gt_u32_e32 vcc, 8, v40
	v_cndmask_b32_e32 v40, v51, v57, vcc
	v_cndmask_b32_e32 v42, v42, v58, vcc
	v_lshlrev_b32_e32 v51, 24, v38
	v_lshlrev_b32_e32 v42, 20, v42
	v_and_b32_e32 v51, 0x80000000, v51
	v_lshl_add_u32 v40, v40, 23, v55
	v_or3_b32 v51, v51, v40, v42
.LBB649_579:                            ;   in Loop: Header=BB649_215 Depth=1
	s_or_b64 exec, exec, s[16:17]
.LBB649_580:                            ;   in Loop: Header=BB649_215 Depth=1
	s_or_b64 exec, exec, s[14:15]
.LBB649_581:                            ;   in Loop: Header=BB649_215 Depth=1
	s_or_b64 exec, exec, s[12:13]
	v_lshrrev_b16_e32 v40, 8, v38
	v_cmp_ne_u16_e32 vcc, 0, v40
	v_mov_b32_e32 v42, 0
	v_mov_b32_e32 v57, 0
	s_and_saveexec_b64 s[12:13], vcc
	s_cbranch_execz .LBB649_587
; %bb.582:                              ;   in Loop: Header=BB649_215 Depth=1
	v_cmp_ne_u16_e32 vcc, s9, v40
	v_bfrev_b32_e32 v57, 1
	s_and_saveexec_b64 s[14:15], vcc
	s_cbranch_execz .LBB649_586
; %bb.583:                              ;   in Loop: Header=BB649_215 Depth=1
	v_and_b32_e32 v58, 0x7f, v40
	v_cmp_ne_u32_e32 vcc, s19, v58
	v_mov_b32_e32 v57, 0x7f800001
	s_and_saveexec_b64 s[16:17], vcc
	s_cbranch_execz .LBB649_585
; %bb.584:                              ;   in Loop: Header=BB649_215 Depth=1
	v_and_b32_e32 v57, 7, v40
	v_ffbh_u32_e32 v60, v57
	v_min_u32_e32 v62, 32, v60
	v_subrev_u32_e32 v60, 28, v62
	v_lshlrev_b64 v[60:61], v60, v[40:41]
	v_lshrrev_b32_e32 v59, 3, v58
	v_sub_u32_e32 v40, 29, v62
	v_and_b32_e32 v60, 7, v60
	v_cmp_gt_u32_e32 vcc, 8, v58
	v_cndmask_b32_e32 v40, v59, v40, vcc
	v_cndmask_b32_e32 v57, v57, v60, vcc
	v_lshlrev_b32_e32 v58, 16, v38
	v_lshlrev_b32_e32 v57, 20, v57
	v_and_b32_e32 v58, 0x80000000, v58
	v_lshl_add_u32 v40, v40, 23, v55
	v_or3_b32 v57, v58, v40, v57
.LBB649_585:                            ;   in Loop: Header=BB649_215 Depth=1
	s_or_b64 exec, exec, s[16:17]
.LBB649_586:                            ;   in Loop: Header=BB649_215 Depth=1
	s_or_b64 exec, exec, s[14:15]
.LBB649_587:                            ;   in Loop: Header=BB649_215 Depth=1
	s_or_b64 exec, exec, s[12:13]
	v_lshrrev_b32_e32 v40, 16, v38
	v_cmp_ne_u16_sdwa s[14:15], v40, v54 src0_sel:BYTE_0 src1_sel:DWORD
	s_and_saveexec_b64 s[12:13], s[14:15]
	s_cbranch_execz .LBB649_593
; %bb.588:                              ;   in Loop: Header=BB649_215 Depth=1
	v_cmp_ne_u16_sdwa s[16:17], v40, s9 src0_sel:BYTE_0 src1_sel:DWORD
	v_bfrev_b32_e32 v42, 1
	s_and_saveexec_b64 s[14:15], s[16:17]
	s_cbranch_execz .LBB649_592
; %bb.589:                              ;   in Loop: Header=BB649_215 Depth=1
	v_bfe_u32 v58, v38, 16, 7
	v_cmp_ne_u32_e32 vcc, s19, v58
	v_mov_b32_e32 v42, 0x7f800001
	s_and_saveexec_b64 s[16:17], vcc
	s_cbranch_execz .LBB649_591
; %bb.590:                              ;   in Loop: Header=BB649_215 Depth=1
	v_and_b32_e32 v42, 7, v40
	v_ffbh_u32_e32 v60, v42
	v_min_u32_e32 v62, 32, v60
	v_subrev_u32_e32 v60, 28, v62
	v_lshlrev_b64 v[60:61], v60, v[40:41]
	v_lshrrev_b32_e32 v59, 3, v58
	v_sub_u32_e32 v61, 29, v62
	v_and_b32_e32 v60, 7, v60
	v_cmp_gt_u32_e32 vcc, 8, v58
	v_cndmask_b32_e32 v58, v59, v61, vcc
	v_cndmask_b32_e32 v42, v42, v60, vcc
	v_lshlrev_b32_e32 v40, 24, v40
	v_lshlrev_b32_e32 v42, 20, v42
	v_and_b32_e32 v40, 0x80000000, v40
	v_lshl_add_u32 v58, v58, 23, v55
	v_or3_b32 v42, v40, v58, v42
.LBB649_591:                            ;   in Loop: Header=BB649_215 Depth=1
	s_or_b64 exec, exec, s[16:17]
.LBB649_592:                            ;   in Loop: Header=BB649_215 Depth=1
	s_or_b64 exec, exec, s[14:15]
.LBB649_593:                            ;   in Loop: Header=BB649_215 Depth=1
	s_or_b64 exec, exec, s[12:13]
	v_cmp_lt_u32_e32 vcc, s20, v38
	v_mov_b32_e32 v58, 0
	s_and_saveexec_b64 s[12:13], vcc
	s_cbranch_execz .LBB649_214
; %bb.594:                              ;   in Loop: Header=BB649_215 Depth=1
	v_lshrrev_b32_e32 v40, 24, v38
	v_cmp_ne_u32_e32 vcc, s9, v40
	v_bfrev_b32_e32 v58, 1
	s_and_saveexec_b64 s[14:15], vcc
	s_cbranch_execz .LBB649_213
; %bb.595:                              ;   in Loop: Header=BB649_215 Depth=1
	v_bfe_u32 v38, v38, 24, 7
	v_cmp_ne_u32_e32 vcc, s19, v38
	v_mov_b32_e32 v58, 0x7f800001
	s_and_saveexec_b64 s[16:17], vcc
	s_cbranch_execz .LBB649_212
; %bb.596:                              ;   in Loop: Header=BB649_215 Depth=1
	v_and_b32_e32 v60, 7, v40
	v_ffbh_u32_e32 v58, v60
	v_min_u32_e32 v62, 32, v58
	v_subrev_u32_e32 v58, 28, v62
	v_lshlrev_b64 v[58:59], v58, v[40:41]
	v_lshrrev_b32_e32 v61, 3, v38
	v_sub_u32_e32 v59, 29, v62
	v_and_b32_e32 v58, 7, v58
	v_cmp_gt_u32_e32 vcc, 8, v38
	v_cndmask_b32_e32 v38, v61, v59, vcc
	v_cndmask_b32_e32 v58, v60, v58, vcc
	v_lshlrev_b32_e32 v40, 24, v40
	v_lshlrev_b32_e32 v58, 20, v58
	v_and_b32_e32 v40, 0x80000000, v40
	v_lshl_add_u32 v38, v38, 23, v55
	v_or3_b32 v58, v40, v38, v58
	s_branch .LBB649_212
.LBB649_597:
	s_barrier
	buffer_load_dword v2, off, s[0:3], 0 offset:320
	buffer_load_dword v5, off, s[0:3], 0 offset:332
	;; [unrolled: 1-line block ×4, first 2 shown]
	v_cmp_gt_u32_e32 vcc, 64, v0
	s_waitcnt vmcnt(0)
	ds_write2st64_b64 v52, v[2:3], v[4:5] offset1:1
	s_waitcnt lgkmcnt(0)
	s_barrier
	s_and_saveexec_b64 s[4:5], vcc
	s_cbranch_execz .LBB649_599
; %bb.598:
	s_lshl_b32 s6, s48, 7
	s_mul_i32 s4, s18, s8
	s_mul_hi_u32 s5, s4, s6
	s_mul_i32 s4, s4, s6
	s_lshl_b64 s[4:5], s[4:5], 1
	s_add_u32 s7, s50, s4
	v_lshlrev_b32_e32 v4, 6, v41
	s_addc_u32 s8, s51, s5
	s_lshl_b32 s4, s26, 7
	s_mov_b32 s5, 0
	v_lshl_or_b32 v0, v0, 10, v4
	s_lshl_b64 s[4:5], s[4:5], 1
	v_lshlrev_b32_e32 v2, 5, v1
	v_and_b32_e32 v3, 16, v43
	v_and_b32_e32 v0, 0x1a00, v0
	s_add_u32 s4, s7, s4
	v_or3_b32 v0, v0, v2, v3
	s_addc_u32 s5, s8, s5
	ds_read_b128 v[2:5], v0
	ds_read_b128 v[6:9], v0 offset:128
	ds_read_b128 v[10:13], v0 offset:256
	v_or_b32_e32 v14, s27, v1
	v_mov_b32_e32 v0, s5
	v_add_co_u32_e32 v15, vcc, s4, v39
	v_addc_co_u32_e32 v16, vcc, 0, v0, vcc
	v_mad_u64_u32 v[0:1], s[4:5], v14, s6, 0
	v_lshlrev_b64 v[0:1], 1, v[0:1]
	v_add_co_u32_e32 v0, vcc, v15, v0
	v_addc_co_u32_e32 v1, vcc, v16, v1, vcc
	s_waitcnt lgkmcnt(2)
	global_store_dwordx4 v[0:1], v[2:5], off
	v_add_u32_e32 v0, 4, v14
	v_mad_u64_u32 v[0:1], s[4:5], v0, s6, 0
	v_lshlrev_b64 v[0:1], 1, v[0:1]
	v_add_co_u32_e32 v0, vcc, v15, v0
	v_addc_co_u32_e32 v1, vcc, v16, v1, vcc
	s_waitcnt lgkmcnt(1)
	global_store_dwordx4 v[0:1], v[6:9], off
	v_add_u32_e32 v0, 8, v14
	v_mad_u64_u32 v[0:1], s[4:5], v0, s6, 0
	v_lshlrev_b64 v[0:1], 1, v[0:1]
	v_add_co_u32_e32 v0, vcc, v15, v0
	v_addc_co_u32_e32 v1, vcc, v16, v1, vcc
	s_waitcnt lgkmcnt(0)
	global_store_dwordx4 v[0:1], v[10:13], off
.LBB649_599:
	s_endpgm
	.section	.rodata,"a",@progbits
	.p2align	6, 0x0
	.amdhsa_kernel _Z39paged_attention_ll4mi_QKV_mfma16_kernelIDF16_hLN4vllm18Fp8KVCacheDataTypeE1EDF16_Li32ELi128ELi256ELb1ELi12EL8MFMAType0EEvPKT_PKT0_S8_ifPKiSA_SA_iPKfiiiPfSD_PS3_PT2_iSC_SC_
		.amdhsa_group_segment_fixed_size 8192
		.amdhsa_private_segment_fixed_size 352
		.amdhsa_kernarg_size 400
		.amdhsa_user_sgpr_count 8
		.amdhsa_user_sgpr_private_segment_buffer 1
		.amdhsa_user_sgpr_dispatch_ptr 0
		.amdhsa_user_sgpr_queue_ptr 0
		.amdhsa_user_sgpr_kernarg_segment_ptr 1
		.amdhsa_user_sgpr_dispatch_id 0
		.amdhsa_user_sgpr_flat_scratch_init 1
		.amdhsa_user_sgpr_kernarg_preload_length 0
		.amdhsa_user_sgpr_kernarg_preload_offset 0
		.amdhsa_user_sgpr_private_segment_size 0
		.amdhsa_uses_dynamic_stack 0
		.amdhsa_system_sgpr_private_segment_wavefront_offset 1
		.amdhsa_system_sgpr_workgroup_id_x 1
		.amdhsa_system_sgpr_workgroup_id_y 1
		.amdhsa_system_sgpr_workgroup_id_z 1
		.amdhsa_system_sgpr_workgroup_info 0
		.amdhsa_system_vgpr_workitem_id 0
		.amdhsa_next_free_vgpr 80
		.amdhsa_next_free_sgpr 53
		.amdhsa_accum_offset 80
		.amdhsa_reserve_vcc 1
		.amdhsa_reserve_flat_scratch 0
		.amdhsa_float_round_mode_32 0
		.amdhsa_float_round_mode_16_64 0
		.amdhsa_float_denorm_mode_32 3
		.amdhsa_float_denorm_mode_16_64 3
		.amdhsa_dx10_clamp 1
		.amdhsa_ieee_mode 1
		.amdhsa_fp16_overflow 0
		.amdhsa_tg_split 0
		.amdhsa_exception_fp_ieee_invalid_op 0
		.amdhsa_exception_fp_denorm_src 0
		.amdhsa_exception_fp_ieee_div_zero 0
		.amdhsa_exception_fp_ieee_overflow 0
		.amdhsa_exception_fp_ieee_underflow 0
		.amdhsa_exception_fp_ieee_inexact 0
		.amdhsa_exception_int_div_zero 0
	.end_amdhsa_kernel
	.section	.text._Z39paged_attention_ll4mi_QKV_mfma16_kernelIDF16_hLN4vllm18Fp8KVCacheDataTypeE1EDF16_Li32ELi128ELi256ELb1ELi12EL8MFMAType0EEvPKT_PKT0_S8_ifPKiSA_SA_iPKfiiiPfSD_PS3_PT2_iSC_SC_,"axG",@progbits,_Z39paged_attention_ll4mi_QKV_mfma16_kernelIDF16_hLN4vllm18Fp8KVCacheDataTypeE1EDF16_Li32ELi128ELi256ELb1ELi12EL8MFMAType0EEvPKT_PKT0_S8_ifPKiSA_SA_iPKfiiiPfSD_PS3_PT2_iSC_SC_,comdat
.Lfunc_end649:
	.size	_Z39paged_attention_ll4mi_QKV_mfma16_kernelIDF16_hLN4vllm18Fp8KVCacheDataTypeE1EDF16_Li32ELi128ELi256ELb1ELi12EL8MFMAType0EEvPKT_PKT0_S8_ifPKiSA_SA_iPKfiiiPfSD_PS3_PT2_iSC_SC_, .Lfunc_end649-_Z39paged_attention_ll4mi_QKV_mfma16_kernelIDF16_hLN4vllm18Fp8KVCacheDataTypeE1EDF16_Li32ELi128ELi256ELb1ELi12EL8MFMAType0EEvPKT_PKT0_S8_ifPKiSA_SA_iPKfiiiPfSD_PS3_PT2_iSC_SC_
                                        ; -- End function
	.section	.AMDGPU.csdata,"",@progbits
; Kernel info:
; codeLenInByte = 21516
; NumSgprs: 57
; NumVgprs: 80
; NumAgprs: 0
; TotalNumVgprs: 80
; ScratchSize: 352
; MemoryBound: 0
; FloatMode: 240
; IeeeMode: 1
; LDSByteSize: 8192 bytes/workgroup (compile time only)
; SGPRBlocks: 7
; VGPRBlocks: 9
; NumSGPRsForWavesPerEU: 57
; NumVGPRsForWavesPerEU: 80
; AccumOffset: 80
; Occupancy: 6
; WaveLimiterHint : 1
; COMPUTE_PGM_RSRC2:SCRATCH_EN: 1
; COMPUTE_PGM_RSRC2:USER_SGPR: 8
; COMPUTE_PGM_RSRC2:TRAP_HANDLER: 0
; COMPUTE_PGM_RSRC2:TGID_X_EN: 1
; COMPUTE_PGM_RSRC2:TGID_Y_EN: 1
; COMPUTE_PGM_RSRC2:TGID_Z_EN: 1
; COMPUTE_PGM_RSRC2:TIDIG_COMP_CNT: 0
; COMPUTE_PGM_RSRC3_GFX90A:ACCUM_OFFSET: 19
; COMPUTE_PGM_RSRC3_GFX90A:TG_SPLIT: 0
	.section	.text._Z39paged_attention_ll4mi_QKV_mfma16_kernelIDF16_hLN4vllm18Fp8KVCacheDataTypeE1EDF16_Li32ELi128ELi256ELb1ELi13EL8MFMAType0EEvPKT_PKT0_S8_ifPKiSA_SA_iPKfiiiPfSD_PS3_PT2_iSC_SC_,"axG",@progbits,_Z39paged_attention_ll4mi_QKV_mfma16_kernelIDF16_hLN4vllm18Fp8KVCacheDataTypeE1EDF16_Li32ELi128ELi256ELb1ELi13EL8MFMAType0EEvPKT_PKT0_S8_ifPKiSA_SA_iPKfiiiPfSD_PS3_PT2_iSC_SC_,comdat
	.protected	_Z39paged_attention_ll4mi_QKV_mfma16_kernelIDF16_hLN4vllm18Fp8KVCacheDataTypeE1EDF16_Li32ELi128ELi256ELb1ELi13EL8MFMAType0EEvPKT_PKT0_S8_ifPKiSA_SA_iPKfiiiPfSD_PS3_PT2_iSC_SC_ ; -- Begin function _Z39paged_attention_ll4mi_QKV_mfma16_kernelIDF16_hLN4vllm18Fp8KVCacheDataTypeE1EDF16_Li32ELi128ELi256ELb1ELi13EL8MFMAType0EEvPKT_PKT0_S8_ifPKiSA_SA_iPKfiiiPfSD_PS3_PT2_iSC_SC_
	.globl	_Z39paged_attention_ll4mi_QKV_mfma16_kernelIDF16_hLN4vllm18Fp8KVCacheDataTypeE1EDF16_Li32ELi128ELi256ELb1ELi13EL8MFMAType0EEvPKT_PKT0_S8_ifPKiSA_SA_iPKfiiiPfSD_PS3_PT2_iSC_SC_
	.p2align	8
	.type	_Z39paged_attention_ll4mi_QKV_mfma16_kernelIDF16_hLN4vllm18Fp8KVCacheDataTypeE1EDF16_Li32ELi128ELi256ELb1ELi13EL8MFMAType0EEvPKT_PKT0_S8_ifPKiSA_SA_iPKfiiiPfSD_PS3_PT2_iSC_SC_,@function
_Z39paged_attention_ll4mi_QKV_mfma16_kernelIDF16_hLN4vllm18Fp8KVCacheDataTypeE1EDF16_Li32ELi128ELi256ELb1ELi13EL8MFMAType0EEvPKT_PKT0_S8_ifPKiSA_SA_iPKfiiiPfSD_PS3_PT2_iSC_SC_: ; @_Z39paged_attention_ll4mi_QKV_mfma16_kernelIDF16_hLN4vllm18Fp8KVCacheDataTypeE1EDF16_Li32ELi128ELi256ELb1ELi13EL8MFMAType0EEvPKT_PKT0_S8_ifPKiSA_SA_iPKfiiiPfSD_PS3_PT2_iSC_SC_
; %bb.0:
	s_load_dwordx2 s[6:7], s[4:5], 0x30
	s_add_u32 s0, s0, s11
	s_addc_u32 s1, s1, 0
	s_mov_b32 s26, s9
	s_mov_b64 s[14:15], 0
	s_waitcnt lgkmcnt(0)
	s_cmp_lg_u64 s[6:7], 0
	s_cselect_b64 s[12:13], -1, 0
	s_and_b64 vcc, exec, s[12:13]
	s_cbranch_vccz .LBB650_7
; %bb.1:
	s_add_i32 s16, s8, 1
	s_mov_b32 s17, 0
	s_lshl_b64 s[18:19], s[16:17], 2
	s_add_u32 s18, s6, s18
	s_mov_b32 s9, s17
	s_addc_u32 s19, s7, s19
	s_lshl_b64 s[16:17], s[8:9], 2
	s_add_u32 s16, s6, s16
	s_addc_u32 s17, s7, s17
	s_load_dword s11, s[18:19], 0x0
	s_load_dword s20, s[16:17], 0x0
	s_waitcnt lgkmcnt(0)
	s_sub_i32 s11, s11, s20
	s_cmp_eq_u32 s11, 1
	s_cselect_b64 s[16:17], -1, 0
	s_andn2_b64 vcc, exec, s[14:15]
	s_cbranch_vccnz .LBB650_3
.LBB650_2:
	s_mov_b32 s9, 0
	s_mov_b64 s[16:17], -1
.LBB650_3:
	s_andn2_b64 vcc, exec, s[16:17]
	s_cbranch_vccnz .LBB650_600
; %bb.4:
	s_load_dwordx2 s[16:17], s[4:5], 0x28
	s_lshl_b64 s[14:15], s[8:9], 2
	s_waitcnt lgkmcnt(0)
	s_add_u32 s16, s16, s14
	s_addc_u32 s17, s17, s15
	s_load_dword s33, s[16:17], 0x0
	s_lshl_b32 s20, s26, 8
	s_waitcnt lgkmcnt(0)
	s_cmp_ge_i32 s20, s33
	s_cbranch_scc1 .LBB650_600
; %bb.5:
	s_add_i32 s18, s33, 31
	s_load_dwordx2 s[16:17], s[4:5], 0x20
	s_load_dword s11, s[4:5], 0x38
	s_ashr_i32 s19, s18, 31
	v_and_b32_e32 v1, 0xcf, v0
	s_lshr_b32 s19, s19, 27
	v_add_u32_e32 v1, s20, v1
	s_add_i32 s18, s18, s19
	v_ashrrev_i32_e32 v2, 31, v1
	s_ashr_i32 s23, s18, 5
	v_lshrrev_b32_e32 v4, 27, v2
	s_add_i32 s23, s23, -1
	v_add_u32_e32 v2, v1, v4
	s_waitcnt lgkmcnt(0)
	s_mul_i32 s18, s8, s11
	s_mov_b32 s19, 0
	v_ashrrev_i32_e32 v2, 5, v2
	v_mov_b32_e32 v5, s23
	v_cmp_gt_i32_e32 vcc, s33, v1
	s_lshl_b64 s[18:19], s[18:19], 2
	v_cndmask_b32_e32 v2, v5, v2, vcc
	s_add_u32 s21, s16, s18
	v_ashrrev_i32_e32 v3, 31, v2
	s_addc_u32 s22, s17, s19
	v_lshlrev_b64 v[2:3], 2, v[2:3]
	v_mov_b32_e32 v7, s22
	v_add_co_u32_e32 v6, vcc, s21, v2
	v_or_b32_e32 v2, 16, v1
	v_addc_co_u32_e32 v7, vcc, v7, v3, vcc
	v_add_u32_e32 v3, v2, v4
	v_ashrrev_i32_e32 v3, 5, v3
	v_cmp_gt_i32_e32 vcc, s33, v2
	v_cndmask_b32_e32 v2, v5, v3, vcc
	v_ashrrev_i32_e32 v3, 31, v2
	v_lshlrev_b64 v[2:3], 2, v[2:3]
	v_mov_b32_e32 v9, s22
	v_add_co_u32_e32 v8, vcc, s21, v2
	v_or_b32_e32 v2, 32, v1
	v_addc_co_u32_e32 v9, vcc, v9, v3, vcc
	v_add_u32_e32 v3, v2, v4
	v_ashrrev_i32_e32 v3, 5, v3
	v_cmp_gt_i32_e32 vcc, s33, v2
	v_cndmask_b32_e32 v2, v5, v3, vcc
	v_ashrrev_i32_e32 v3, 31, v2
	;; [unrolled: 10-line block ×3, first 2 shown]
	v_lshlrev_b64 v[2:3], 2, v[2:3]
	v_mov_b32_e32 v1, s22
	v_add_co_u32_e32 v12, vcc, s21, v2
	v_addc_co_u32_e32 v13, vcc, v1, v3, vcc
	global_load_dword v5, v[6:7], off
	global_load_dword v4, v[8:9], off
	;; [unrolled: 1-line block ×4, first 2 shown]
	s_load_dwordx2 s[16:17], s[4:5], 0x8
	s_andn2_b64 vcc, exec, s[12:13]
	s_cbranch_vccnz .LBB650_8
; %bb.6:
	s_add_u32 s6, s6, s14
	s_addc_u32 s7, s7, s15
	s_load_dword s11, s[6:7], 0x0
	s_branch .LBB650_9
.LBB650_7:
	s_mov_b64 s[16:17], 0
	s_branch .LBB650_2
.LBB650_8:
	s_mov_b32 s11, s8
.LBB650_9:
	s_load_dwordx2 s[6:7], s[4:5], 0x10
	s_load_dwordx4 s[12:15], s[4:5], 0x48
	v_lshrrev_b32_e32 v27, 6, v0
	v_bfe_u32 v1, v0, 4, 2
	v_and_b32_e32 v41, 15, v0
	v_lshl_or_b32 v6, v27, 2, v1
	v_lshlrev_b32_e32 v7, 3, v41
	s_mul_i32 s27, s10, 13
	v_cmp_gt_u32_e32 vcc, 13, v6
	v_lshlrev_b32_e32 v39, 1, v7
	v_lshlrev_b32_e32 v43, 4, v0
	s_and_saveexec_b64 s[18:19], vcc
	s_cbranch_execz .LBB650_11
; %bb.10:
	s_load_dwordx2 s[24:25], s[4:5], 0x0
	s_waitcnt lgkmcnt(0)
	s_ashr_i32 s15, s12, 31
	s_mul_hi_u32 s28, s11, s12
	s_mul_i32 s15, s11, s15
	s_add_i32 s29, s28, s15
	s_mul_i32 s28, s11, s12
	s_lshl_b64 s[28:29], s[28:29], 1
	v_add_lshl_u32 v8, v6, s27, 7
	s_add_u32 s11, s24, s28
	v_ashrrev_i32_e32 v9, 31, v8
	s_addc_u32 s12, s25, s29
	v_lshlrev_b64 v[8:9], 1, v[8:9]
	v_mov_b32_e32 v7, s12
	v_add_co_u32_e32 v8, vcc, s11, v8
	v_addc_co_u32_e32 v7, vcc, v7, v9, vcc
	v_add_co_u32_e32 v8, vcc, v8, v39
	v_addc_co_u32_e32 v9, vcc, 0, v7, vcc
	global_load_dwordx4 v[8:11], v[8:9], off
	v_lshlrev_b32_e32 v12, 8, v0
	v_lshlrev_b32_e32 v7, 8, v41
	v_and_b32_e32 v12, 0x600, v12
	s_movk_i32 s11, 0x800
	v_and_or_b32 v7, v7, s11, v12
	v_lshlrev_b32_e32 v6, 5, v6
	v_and_b32_e32 v12, 16, v43
	v_or3_b32 v6, v7, v6, v12
	s_waitcnt vmcnt(0)
	ds_write_b128 v6, v[8:11]
.LBB650_11:
	s_or_b64 exec, exec, s[18:19]
	s_waitcnt lgkmcnt(0)
	s_mul_i32 s14, s10, s14
	s_add_u32 s10, s16, s14
	s_addc_u32 s11, s17, 0
	v_pk_mov_b32 v[6:7], s[10:11], s[10:11] op_sel:[0,1]
	s_waitcnt vmcnt(3)
	v_mad_i64_i32 v[8:9], s[10:11], v5, s13, v[6:7]
	v_lshlrev_b32_e32 v11, 4, v41
	v_and_b32_e32 v18, 48, v0
	v_add_co_u32_e32 v5, vcc, v8, v11
	v_lshlrev_b32_e32 v10, 5, v18
	v_addc_co_u32_e32 v9, vcc, 0, v9, vcc
	v_add_co_u32_e32 v8, vcc, v5, v10
	v_addc_co_u32_e32 v9, vcc, 0, v9, vcc
	s_load_dwordx2 s[48:49], s[4:5], 0x94
	s_waitcnt lgkmcnt(0)
	s_barrier
	global_load_dwordx4 v[20:23], v[8:9], off
	global_load_dwordx4 v[28:31], v[8:9], off offset:2048
	s_waitcnt vmcnt(4)
	v_mad_i64_i32 v[4:5], s[10:11], v4, s13, v[6:7]
	v_or_b32_e32 v8, 0x100, v11
	v_add_co_u32_e32 v4, vcc, v4, v8
	v_addc_co_u32_e32 v5, vcc, 0, v5, vcc
	v_add_co_u32_e32 v4, vcc, v4, v10
	v_addc_co_u32_e32 v5, vcc, 0, v5, vcc
	global_load_dwordx4 v[32:35], v[4:5], off
	global_load_dwordx4 v[44:47], v[4:5], off offset:2048
	s_waitcnt vmcnt(5)
	v_mad_i64_i32 v[4:5], s[10:11], v3, s13, v[6:7]
	v_add_co_u32_e32 v3, vcc, v4, v11
	v_addc_co_u32_e32 v5, vcc, 0, v5, vcc
	v_add_co_u32_e32 v4, vcc, v3, v10
	v_addc_co_u32_e32 v5, vcc, 0, v5, vcc
	s_waitcnt vmcnt(4)
	v_mad_i64_i32 v[2:3], s[10:11], v2, s13, v[6:7]
	v_add_co_u32_e32 v2, vcc, v2, v8
	v_addc_co_u32_e32 v3, vcc, 0, v3, vcc
	v_add_co_u32_e32 v2, vcc, v2, v10
	v_addc_co_u32_e32 v3, vcc, 0, v3, vcc
	global_load_dwordx4 v[48:51], v[4:5], off
	global_load_dwordx4 v[52:55], v[4:5], off offset:2048
	global_load_dwordx4 v[56:59], v[2:3], off
	global_load_dwordx4 v[60:63], v[2:3], off offset:2048
	v_add_u32_e32 v2, -13, v41
	v_cmp_gt_u32_e32 vcc, 13, v41
	v_cndmask_b32_e32 v2, v2, v41, vcc
	v_lshlrev_b32_e32 v2, 5, v2
	v_lshl_add_u32 v14, v1, 9, v2
	s_load_dwordx2 s[50:51], s[4:5], 0x68
	s_load_dwordx4 s[44:47], s[4:5], 0x58
	ds_read_b128 v[2:5], v14
	ds_read_b128 v[6:9], v14 offset:16
	ds_read_b128 v[10:13], v14 offset:2048
	;; [unrolled: 1-line block ×3, first 2 shown]
	s_mov_b32 s12, 0
	s_waitcnt vmcnt(7)
	buffer_store_dword v23, off, s[0:3], 0 offset:12
	buffer_store_dword v22, off, s[0:3], 0 offset:8
	;; [unrolled: 1-line block ×3, first 2 shown]
	buffer_store_dword v20, off, s[0:3], 0
	s_waitcnt vmcnt(10)
	buffer_store_dword v31, off, s[0:3], 0 offset:28
	buffer_store_dword v30, off, s[0:3], 0 offset:24
	buffer_store_dword v29, off, s[0:3], 0 offset:20
	buffer_store_dword v28, off, s[0:3], 0 offset:16
	s_waitcnt vmcnt(13)
	buffer_store_dword v35, off, s[0:3], 0 offset:44
	buffer_store_dword v34, off, s[0:3], 0 offset:40
	buffer_store_dword v33, off, s[0:3], 0 offset:36
	buffer_store_dword v32, off, s[0:3], 0 offset:32
	;; [unrolled: 5-line block ×7, first 2 shown]
	v_mov_b32_e32 v35, 0
	v_mov_b32_e32 v31, 0
	s_and_saveexec_b64 s[10:11], vcc
	s_cbranch_execz .LBB650_13
; %bb.12:
	s_load_dwordx2 s[16:17], s[4:5], 0x40
	v_add_u32_e32 v20, s27, v41
	v_ashrrev_i32_e32 v21, 31, v20
	v_lshlrev_b64 v[20:21], 2, v[20:21]
	s_waitcnt lgkmcnt(0)
	v_mov_b32_e32 v19, s17
	v_add_co_u32_e32 v20, vcc, s16, v20
	v_addc_co_u32_e32 v21, vcc, v19, v21, vcc
	global_load_dword v31, v[20:21], off
.LBB650_13:
	s_or_b64 exec, exec, s[10:11]
	s_ashr_i32 s10, s20, 31
	v_or_b32_e32 v24, s20, v18
	s_lshr_b32 s10, s10, 27
	v_add_u32_e32 v18, s10, v24
	v_ashrrev_i32_e32 v18, 5, v18
	v_mov_b32_e32 v25, s23
	v_cmp_gt_i32_e32 vcc, s33, v24
	v_cndmask_b32_e32 v18, v25, v18, vcc
	v_ashrrev_i32_e32 v19, 31, v18
	v_lshlrev_b64 v[18:19], 2, v[18:19]
	v_mov_b32_e32 v20, s22
	v_add_co_u32_e32 v18, vcc, s21, v18
	v_addc_co_u32_e32 v19, vcc, v20, v19, vcc
	v_or_b32_e32 v20, 64, v24
	v_add_u32_e32 v21, s10, v20
	v_ashrrev_i32_e32 v21, 5, v21
	v_cmp_gt_i32_e32 vcc, s33, v20
	v_cndmask_b32_e32 v20, v25, v21, vcc
	v_ashrrev_i32_e32 v21, 31, v20
	v_lshlrev_b64 v[20:21], 2, v[20:21]
	v_mov_b32_e32 v22, s22
	v_add_co_u32_e32 v20, vcc, s21, v20
	v_addc_co_u32_e32 v21, vcc, v22, v21, vcc
	v_or_b32_e32 v22, 0x80, v24
	v_add_u32_e32 v23, s10, v22
	v_ashrrev_i32_e32 v23, 5, v23
	v_cmp_gt_i32_e32 vcc, s33, v22
	v_cndmask_b32_e32 v22, v25, v23, vcc
	v_ashrrev_i32_e32 v23, 31, v22
	v_lshlrev_b64 v[22:23], 2, v[22:23]
	v_mov_b32_e32 v26, s22
	v_add_co_u32_e32 v22, vcc, s21, v22
	v_addc_co_u32_e32 v23, vcc, v26, v23, vcc
	global_load_dword v26, v[18:19], off
	global_load_dword v28, v[20:21], off
	;; [unrolled: 1-line block ×3, first 2 shown]
	v_or_b32_e32 v18, 0xc0, v24
	v_add_u32_e32 v19, s10, v18
	v_ashrrev_i32_e32 v19, 5, v19
	v_cmp_gt_i32_e32 vcc, s33, v18
	v_cndmask_b32_e32 v18, v25, v19, vcc
	v_ashrrev_i32_e32 v19, 31, v18
	v_lshlrev_b64 v[18:19], 2, v[18:19]
	v_mov_b32_e32 v20, s22
	v_add_co_u32_e32 v18, vcc, s21, v18
	v_addc_co_u32_e32 v19, vcc, v20, v19, vcc
	global_load_dword v32, v[18:19], off
	s_add_u32 s6, s6, s14
	v_and_b32_e32 v18, 16, v0
	s_addc_u32 s7, s7, 0
	v_lshl_or_b32 v29, v27, 4, v41
	v_mov_b32_e32 v20, s7
	v_add_co_u32_e32 v34, vcc, s6, v18
	v_lshlrev_b32_e32 v19, 5, v29
	v_addc_co_u32_e32 v36, vcc, 0, v20, vcc
	v_add_co_u32_e32 v22, vcc, v34, v19
	v_addc_co_u32_e32 v23, vcc, 0, v36, vcc
	v_or_b32_e32 v33, 0x800, v19
	s_movk_i32 s14, 0x7f
	s_mov_b32 s15, 0xffffff
	v_mov_b32_e32 v37, 0x100
	v_bfrev_b32_e32 v38, 60
	s_waitcnt vmcnt(3)
	v_mad_i64_i32 v[18:19], s[6:7], v26, s13, v[22:23]
	s_waitcnt vmcnt(2)
	v_mad_i64_i32 v[24:25], s[6:7], v28, s13, v[22:23]
	global_load_dwordx4 v[18:21], v[18:19], off
	s_nop 0
	global_load_dwordx4 v[52:55], v[24:25], off
	s_waitcnt vmcnt(3)
	v_mad_i64_i32 v[24:25], s[6:7], v30, s13, v[22:23]
	s_waitcnt vmcnt(2)
	v_mad_i64_i32 v[22:23], s[6:7], v32, s13, v[22:23]
	global_load_dwordx4 v[56:59], v[24:25], off
	global_load_dwordx4 v[60:63], v[22:23], off
	v_add_co_u32_e32 v22, vcc, v34, v33
	v_addc_co_u32_e32 v23, vcc, 0, v36, vcc
	v_mad_i64_i32 v[24:25], s[6:7], v26, s13, v[22:23]
	global_load_dwordx4 v[64:67], v[24:25], off
	v_mad_i64_i32 v[24:25], s[6:7], v28, s13, v[22:23]
	global_load_dwordx4 v[68:71], v[24:25], off
	;; [unrolled: 2-line block ×4, first 2 shown]
	s_load_dword s6, s[4:5], 0x1c
	s_load_dwordx4 s[40:43], s[4:5], 0x80
	v_mov_b32_e32 v22, 0x80
	v_add_u32_e32 v45, 16, v22
	v_add_u32_e32 v46, 32, v22
	;; [unrolled: 1-line block ×3, first 2 shown]
	s_waitcnt lgkmcnt(0)
	s_load_dword s4, s[40:41], 0x0
	v_add_u32_e32 v51, 64, v22
	v_add_u32_e32 v48, 0x50, v22
	;; [unrolled: 1-line block ×4, first 2 shown]
	v_mov_b32_e32 v22, s6
	s_waitcnt lgkmcnt(0)
	v_mul_f32_e32 v22, s4, v22
	v_and_b32_e32 v33, 63, v0
	s_movk_i32 s13, 0x80
	v_mov_b32_e32 v36, 0
	v_mov_b32_e32 v24, v22
	;; [unrolled: 1-line block ×3, first 2 shown]
	s_waitcnt vmcnt(7)
	buffer_store_dword v21, off, s[0:3], 0 offset:140
	buffer_store_dword v20, off, s[0:3], 0 offset:136
	buffer_store_dword v19, off, s[0:3], 0 offset:132
	buffer_store_dword v18, off, s[0:3], 0 offset:128
	s_waitcnt vmcnt(10)
	buffer_store_dword v55, off, s[0:3], 0 offset:172
	buffer_store_dword v54, off, s[0:3], 0 offset:168
	buffer_store_dword v53, off, s[0:3], 0 offset:164
	buffer_store_dword v52, off, s[0:3], 0 offset:160
	;; [unrolled: 5-line block ×8, first 2 shown]
	s_branch .LBB650_17
.LBB650_14:                             ;   in Loop: Header=BB650_17 Depth=1
	s_or_b64 exec, exec, s[10:11]
.LBB650_15:                             ;   in Loop: Header=BB650_17 Depth=1
	s_or_b64 exec, exec, s[6:7]
.LBB650_16:                             ;   in Loop: Header=BB650_17 Depth=1
	s_or_b64 exec, exec, s[4:5]
	v_cvt_pkrtz_f16_f32 v54, v34, v32
	v_cvt_pkrtz_f16_f32 v55, v23, v42
	v_add_u32_e32 v26, s12, v37
	s_add_i32 s12, s12, 16
	v_mov_b32_e32 v23, v22
	v_mfma_f32_16x16x16f16 v[18:21], v[54:55], v[14:15], v[18:21]
	v_cvt_pkrtz_f16_f32 v54, v40, v44
	v_cvt_pkrtz_f16_f32 v55, v30, v52
	s_cmp_eq_u32 s12, 64
	v_add_u32_e32 v36, 32, v36
	v_mfma_f32_16x16x16f16 v[18:21], v[54:55], v[16:17], v[18:21]
	s_nop 7
	s_nop 2
	v_pk_mul_f32 v[18:19], v[24:25], v[18:19]
	v_pk_mul_f32 v[20:21], v[22:23], v[20:21]
	buffer_store_dword v19, v26, s[0:3], 0 offen offset:4
	buffer_store_dword v18, v26, s[0:3], 0 offen
	buffer_store_dword v21, v26, s[0:3], 0 offen offset:12
	buffer_store_dword v20, v26, s[0:3], 0 offen offset:8
	s_cbranch_scc1 .LBB650_207
.LBB650_17:                             ; =>This Inner Loop Header: Depth=1
	buffer_load_dword v20, v36, s[0:3], 0 offen
	buffer_load_dword v18, v36, s[0:3], 0 offen offset:4
	buffer_load_dword v28, v36, s[0:3], 0 offen offset:8
	;; [unrolled: 1-line block ×3, first 2 shown]
	v_mov_b32_e32 v19, 0
	v_mov_b32_e32 v21, 0
	s_waitcnt vmcnt(3)
	v_cmp_ne_u16_sdwa s[6:7], v20, v35 src0_sel:BYTE_0 src1_sel:DWORD
	s_and_saveexec_b64 s[4:5], s[6:7]
	s_cbranch_execz .LBB650_23
; %bb.18:                               ;   in Loop: Header=BB650_17 Depth=1
	v_cmp_ne_u16_sdwa s[10:11], v20, s13 src0_sel:BYTE_0 src1_sel:DWORD
	v_bfrev_b32_e32 v21, 1
	s_and_saveexec_b64 s[6:7], s[10:11]
	s_cbranch_execz .LBB650_22
; %bb.19:                               ;   in Loop: Header=BB650_17 Depth=1
	v_and_b32_e32 v23, 0x7f, v20
	v_cmp_ne_u32_e32 vcc, s14, v23
	v_mov_b32_e32 v21, 0x7f800001
	s_and_saveexec_b64 s[10:11], vcc
	s_cbranch_execz .LBB650_21
; %bb.20:                               ;   in Loop: Header=BB650_17 Depth=1
	v_and_b32_e32 v21, 7, v20
	v_ffbh_u32_e32 v32, v21
	v_min_u32_e32 v32, 32, v32
	v_subrev_u32_e32 v34, 28, v32
	v_lshlrev_b64 v[52:53], v34, v[20:21]
	v_lshrrev_b32_e32 v30, 3, v23
	v_sub_u32_e32 v32, 29, v32
	v_and_b32_e32 v34, 7, v52
	v_cmp_gt_u32_e32 vcc, 8, v23
	v_cndmask_b32_e32 v23, v30, v32, vcc
	v_cndmask_b32_e32 v21, v21, v34, vcc
	v_lshlrev_b32_e32 v30, 24, v20
	v_lshlrev_b32_e32 v21, 20, v21
	v_and_b32_e32 v30, 0x80000000, v30
	v_lshl_add_u32 v23, v23, 23, v38
	v_or3_b32 v21, v30, v23, v21
.LBB650_21:                             ;   in Loop: Header=BB650_17 Depth=1
	s_or_b64 exec, exec, s[10:11]
.LBB650_22:                             ;   in Loop: Header=BB650_17 Depth=1
	s_or_b64 exec, exec, s[6:7]
.LBB650_23:                             ;   in Loop: Header=BB650_17 Depth=1
	s_or_b64 exec, exec, s[4:5]
	v_lshrrev_b16_e32 v30, 8, v20
	v_cmp_ne_u16_e32 vcc, 0, v30
	s_and_saveexec_b64 s[4:5], vcc
	s_cbranch_execz .LBB650_29
; %bb.24:                               ;   in Loop: Header=BB650_17 Depth=1
	v_cmp_ne_u16_e32 vcc, s13, v30
	v_bfrev_b32_e32 v19, 1
	s_and_saveexec_b64 s[6:7], vcc
	s_cbranch_execz .LBB650_28
; %bb.25:                               ;   in Loop: Header=BB650_17 Depth=1
	v_and_b32_e32 v23, 0x7f, v30
	v_cmp_ne_u32_e32 vcc, s14, v23
	v_mov_b32_e32 v19, 0x7f800001
	s_and_saveexec_b64 s[10:11], vcc
	s_cbranch_execz .LBB650_27
; %bb.26:                               ;   in Loop: Header=BB650_17 Depth=1
	v_and_b32_e32 v19, 7, v30
	v_ffbh_u32_e32 v34, v19
	v_min_u32_e32 v34, 32, v34
	v_subrev_u32_e32 v40, 28, v34
	v_lshlrev_b64 v[52:53], v40, v[30:31]
	v_lshrrev_b32_e32 v32, 3, v23
	v_sub_u32_e32 v30, 29, v34
	v_and_b32_e32 v34, 7, v52
	v_cmp_gt_u32_e32 vcc, 8, v23
	v_cndmask_b32_e32 v23, v32, v30, vcc
	v_cndmask_b32_e32 v19, v19, v34, vcc
	v_lshlrev_b32_e32 v30, 16, v20
	v_lshlrev_b32_e32 v19, 20, v19
	v_and_b32_e32 v30, 0x80000000, v30
	v_lshl_add_u32 v23, v23, 23, v38
	v_or3_b32 v19, v30, v23, v19
.LBB650_27:                             ;   in Loop: Header=BB650_17 Depth=1
	s_or_b64 exec, exec, s[10:11]
.LBB650_28:                             ;   in Loop: Header=BB650_17 Depth=1
	s_or_b64 exec, exec, s[6:7]
.LBB650_29:                             ;   in Loop: Header=BB650_17 Depth=1
	s_or_b64 exec, exec, s[4:5]
	v_lshrrev_b32_e32 v30, 16, v20
	v_cmp_ne_u16_sdwa s[6:7], v30, v35 src0_sel:BYTE_0 src1_sel:DWORD
	v_mov_b32_e32 v32, 0
	v_mov_b32_e32 v23, 0
	s_and_saveexec_b64 s[4:5], s[6:7]
	s_cbranch_execz .LBB650_35
; %bb.30:                               ;   in Loop: Header=BB650_17 Depth=1
	v_cmp_ne_u16_sdwa s[10:11], v30, s13 src0_sel:BYTE_0 src1_sel:DWORD
	v_bfrev_b32_e32 v23, 1
	s_and_saveexec_b64 s[6:7], s[10:11]
	s_cbranch_execz .LBB650_34
; %bb.31:                               ;   in Loop: Header=BB650_17 Depth=1
	v_bfe_u32 v34, v20, 16, 7
	v_cmp_ne_u32_e32 vcc, s14, v34
	v_mov_b32_e32 v23, 0x7f800001
	s_and_saveexec_b64 s[10:11], vcc
	s_cbranch_execz .LBB650_33
; %bb.32:                               ;   in Loop: Header=BB650_17 Depth=1
	v_and_b32_e32 v23, 7, v30
	v_ffbh_u32_e32 v42, v23
	v_min_u32_e32 v42, 32, v42
	v_subrev_u32_e32 v44, 28, v42
	v_lshlrev_b64 v[52:53], v44, v[30:31]
	v_lshrrev_b32_e32 v40, 3, v34
	v_sub_u32_e32 v42, 29, v42
	v_and_b32_e32 v44, 7, v52
	v_cmp_gt_u32_e32 vcc, 8, v34
	v_cndmask_b32_e32 v34, v40, v42, vcc
	v_cndmask_b32_e32 v23, v23, v44, vcc
	v_lshlrev_b32_e32 v30, 24, v30
	v_lshlrev_b32_e32 v23, 20, v23
	v_and_b32_e32 v30, 0x80000000, v30
	v_lshl_add_u32 v34, v34, 23, v38
	v_or3_b32 v23, v30, v34, v23
.LBB650_33:                             ;   in Loop: Header=BB650_17 Depth=1
	s_or_b64 exec, exec, s[10:11]
.LBB650_34:                             ;   in Loop: Header=BB650_17 Depth=1
	s_or_b64 exec, exec, s[6:7]
.LBB650_35:                             ;   in Loop: Header=BB650_17 Depth=1
	s_or_b64 exec, exec, s[4:5]
	v_cmp_lt_u32_e32 vcc, s15, v20
	s_and_saveexec_b64 s[4:5], vcc
	s_cbranch_execz .LBB650_41
; %bb.36:                               ;   in Loop: Header=BB650_17 Depth=1
	v_lshrrev_b32_e32 v30, 24, v20
	v_cmp_ne_u32_e32 vcc, s13, v30
	v_bfrev_b32_e32 v32, 1
	s_and_saveexec_b64 s[6:7], vcc
	s_cbranch_execz .LBB650_40
; %bb.37:                               ;   in Loop: Header=BB650_17 Depth=1
	v_bfe_u32 v20, v20, 24, 7
	v_cmp_ne_u32_e32 vcc, s14, v20
	v_mov_b32_e32 v32, 0x7f800001
	s_and_saveexec_b64 s[10:11], vcc
	s_cbranch_execz .LBB650_39
; %bb.38:                               ;   in Loop: Header=BB650_17 Depth=1
	v_and_b32_e32 v32, 7, v30
	v_ffbh_u32_e32 v40, v32
	v_min_u32_e32 v40, 32, v40
	v_subrev_u32_e32 v42, 28, v40
	v_lshlrev_b64 v[52:53], v42, v[30:31]
	v_lshrrev_b32_e32 v34, 3, v20
	v_sub_u32_e32 v40, 29, v40
	v_and_b32_e32 v42, 7, v52
	v_cmp_gt_u32_e32 vcc, 8, v20
	v_cndmask_b32_e32 v20, v34, v40, vcc
	v_cndmask_b32_e32 v32, v32, v42, vcc
	v_lshlrev_b32_e32 v30, 24, v30
	v_lshlrev_b32_e32 v32, 20, v32
	v_and_b32_e32 v30, 0x80000000, v30
	v_lshl_add_u32 v20, v20, 23, v38
	v_or3_b32 v32, v30, v20, v32
.LBB650_39:                             ;   in Loop: Header=BB650_17 Depth=1
	s_or_b64 exec, exec, s[10:11]
.LBB650_40:                             ;   in Loop: Header=BB650_17 Depth=1
	s_or_b64 exec, exec, s[6:7]
.LBB650_41:                             ;   in Loop: Header=BB650_17 Depth=1
	s_or_b64 exec, exec, s[4:5]
	s_waitcnt vmcnt(2)
	v_cmp_ne_u16_sdwa s[6:7], v18, v35 src0_sel:BYTE_0 src1_sel:DWORD
	v_mov_b32_e32 v30, 0
	v_mov_b32_e32 v34, 0
	s_and_saveexec_b64 s[4:5], s[6:7]
	s_cbranch_execz .LBB650_47
; %bb.42:                               ;   in Loop: Header=BB650_17 Depth=1
	v_cmp_ne_u16_sdwa s[10:11], v18, s13 src0_sel:BYTE_0 src1_sel:DWORD
	v_bfrev_b32_e32 v34, 1
	s_and_saveexec_b64 s[6:7], s[10:11]
	s_cbranch_execz .LBB650_46
; %bb.43:                               ;   in Loop: Header=BB650_17 Depth=1
	v_and_b32_e32 v20, 0x7f, v18
	v_cmp_ne_u32_e32 vcc, s14, v20
	v_mov_b32_e32 v34, 0x7f800001
	s_and_saveexec_b64 s[10:11], vcc
	s_cbranch_execz .LBB650_45
; %bb.44:                               ;   in Loop: Header=BB650_17 Depth=1
	v_and_b32_e32 v34, 7, v18
	v_ffbh_u32_e32 v42, v34
	v_min_u32_e32 v42, 32, v42
	v_subrev_u32_e32 v44, 28, v42
	v_lshlrev_b64 v[52:53], v44, v[18:19]
	v_lshrrev_b32_e32 v40, 3, v20
	v_sub_u32_e32 v42, 29, v42
	v_and_b32_e32 v44, 7, v52
	v_cmp_gt_u32_e32 vcc, 8, v20
	v_cndmask_b32_e32 v20, v40, v42, vcc
	v_cndmask_b32_e32 v34, v34, v44, vcc
	v_lshlrev_b32_e32 v40, 24, v18
	v_lshlrev_b32_e32 v34, 20, v34
	v_and_b32_e32 v40, 0x80000000, v40
	v_lshl_add_u32 v20, v20, 23, v38
	v_or3_b32 v34, v40, v20, v34
.LBB650_45:                             ;   in Loop: Header=BB650_17 Depth=1
	s_or_b64 exec, exec, s[10:11]
.LBB650_46:                             ;   in Loop: Header=BB650_17 Depth=1
	s_or_b64 exec, exec, s[6:7]
.LBB650_47:                             ;   in Loop: Header=BB650_17 Depth=1
	s_or_b64 exec, exec, s[4:5]
	v_lshrrev_b16_e32 v20, 8, v18
	v_cmp_ne_u16_e32 vcc, 0, v20
	s_and_saveexec_b64 s[4:5], vcc
	s_cbranch_execz .LBB650_53
; %bb.48:                               ;   in Loop: Header=BB650_17 Depth=1
	v_cmp_ne_u16_e32 vcc, s13, v20
	v_bfrev_b32_e32 v30, 1
	s_and_saveexec_b64 s[6:7], vcc
	s_cbranch_execz .LBB650_52
; %bb.49:                               ;   in Loop: Header=BB650_17 Depth=1
	v_and_b32_e32 v40, 0x7f, v20
	v_cmp_ne_u32_e32 vcc, s14, v40
	v_mov_b32_e32 v30, 0x7f800001
	s_and_saveexec_b64 s[10:11], vcc
	s_cbranch_execz .LBB650_51
; %bb.50:                               ;   in Loop: Header=BB650_17 Depth=1
	v_and_b32_e32 v30, 7, v20
	v_ffbh_u32_e32 v44, v30
	v_min_u32_e32 v44, 32, v44
	v_subrev_u32_e32 v52, 28, v44
	v_lshlrev_b64 v[52:53], v52, v[20:21]
	v_lshrrev_b32_e32 v42, 3, v40
	v_sub_u32_e32 v20, 29, v44
	v_and_b32_e32 v44, 7, v52
	v_cmp_gt_u32_e32 vcc, 8, v40
	v_cndmask_b32_e32 v20, v42, v20, vcc
	v_cndmask_b32_e32 v30, v30, v44, vcc
	v_lshlrev_b32_e32 v40, 16, v18
	v_lshlrev_b32_e32 v30, 20, v30
	v_and_b32_e32 v40, 0x80000000, v40
	v_lshl_add_u32 v20, v20, 23, v38
	v_or3_b32 v30, v40, v20, v30
.LBB650_51:                             ;   in Loop: Header=BB650_17 Depth=1
	s_or_b64 exec, exec, s[10:11]
.LBB650_52:                             ;   in Loop: Header=BB650_17 Depth=1
	s_or_b64 exec, exec, s[6:7]
.LBB650_53:                             ;   in Loop: Header=BB650_17 Depth=1
	s_or_b64 exec, exec, s[4:5]
	v_lshrrev_b32_e32 v20, 16, v18
	v_cmp_ne_u16_sdwa s[6:7], v20, v35 src0_sel:BYTE_0 src1_sel:DWORD
	v_mov_b32_e32 v42, 0
	v_mov_b32_e32 v40, 0
	s_and_saveexec_b64 s[4:5], s[6:7]
	s_cbranch_execz .LBB650_59
; %bb.54:                               ;   in Loop: Header=BB650_17 Depth=1
	v_cmp_ne_u16_sdwa s[10:11], v20, s13 src0_sel:BYTE_0 src1_sel:DWORD
	v_bfrev_b32_e32 v40, 1
	s_and_saveexec_b64 s[6:7], s[10:11]
	s_cbranch_execz .LBB650_58
; %bb.55:                               ;   in Loop: Header=BB650_17 Depth=1
	v_bfe_u32 v44, v18, 16, 7
	v_cmp_ne_u32_e32 vcc, s14, v44
	v_mov_b32_e32 v40, 0x7f800001
	s_and_saveexec_b64 s[10:11], vcc
	s_cbranch_execz .LBB650_57
; %bb.56:                               ;   in Loop: Header=BB650_17 Depth=1
	v_and_b32_e32 v40, 7, v20
	v_ffbh_u32_e32 v52, v40
	v_min_u32_e32 v55, 32, v52
	v_subrev_u32_e32 v52, 28, v55
	v_lshlrev_b64 v[52:53], v52, v[20:21]
	v_lshrrev_b32_e32 v54, 3, v44
	v_sub_u32_e32 v53, 29, v55
	v_and_b32_e32 v52, 7, v52
	v_cmp_gt_u32_e32 vcc, 8, v44
	v_cndmask_b32_e32 v44, v54, v53, vcc
	v_cndmask_b32_e32 v40, v40, v52, vcc
	v_lshlrev_b32_e32 v20, 24, v20
	v_lshlrev_b32_e32 v40, 20, v40
	v_and_b32_e32 v20, 0x80000000, v20
	v_lshl_add_u32 v44, v44, 23, v38
	v_or3_b32 v40, v20, v44, v40
.LBB650_57:                             ;   in Loop: Header=BB650_17 Depth=1
	s_or_b64 exec, exec, s[10:11]
.LBB650_58:                             ;   in Loop: Header=BB650_17 Depth=1
	s_or_b64 exec, exec, s[6:7]
.LBB650_59:                             ;   in Loop: Header=BB650_17 Depth=1
	s_or_b64 exec, exec, s[4:5]
	v_cmp_lt_u32_e32 vcc, s15, v18
	s_and_saveexec_b64 s[4:5], vcc
	s_cbranch_execz .LBB650_65
; %bb.60:                               ;   in Loop: Header=BB650_17 Depth=1
	v_lshrrev_b32_e32 v20, 24, v18
	v_cmp_ne_u32_e32 vcc, s13, v20
	v_bfrev_b32_e32 v42, 1
	s_and_saveexec_b64 s[6:7], vcc
	s_cbranch_execz .LBB650_64
; %bb.61:                               ;   in Loop: Header=BB650_17 Depth=1
	v_bfe_u32 v18, v18, 24, 7
	v_cmp_ne_u32_e32 vcc, s14, v18
	v_mov_b32_e32 v42, 0x7f800001
	s_and_saveexec_b64 s[10:11], vcc
	s_cbranch_execz .LBB650_63
; %bb.62:                               ;   in Loop: Header=BB650_17 Depth=1
	v_and_b32_e32 v42, 7, v20
	v_ffbh_u32_e32 v52, v42
	v_min_u32_e32 v54, 32, v52
	v_subrev_u32_e32 v52, 28, v54
	v_lshlrev_b64 v[52:53], v52, v[20:21]
	v_lshrrev_b32_e32 v44, 3, v18
	v_sub_u32_e32 v53, 29, v54
	v_and_b32_e32 v52, 7, v52
	v_cmp_gt_u32_e32 vcc, 8, v18
	v_cndmask_b32_e32 v18, v44, v53, vcc
	v_cndmask_b32_e32 v42, v42, v52, vcc
	v_lshlrev_b32_e32 v20, 24, v20
	v_lshlrev_b32_e32 v42, 20, v42
	v_and_b32_e32 v20, 0x80000000, v20
	v_lshl_add_u32 v18, v18, 23, v38
	v_or3_b32 v42, v20, v18, v42
.LBB650_63:                             ;   in Loop: Header=BB650_17 Depth=1
	s_or_b64 exec, exec, s[10:11]
.LBB650_64:                             ;   in Loop: Header=BB650_17 Depth=1
	s_or_b64 exec, exec, s[6:7]
.LBB650_65:                             ;   in Loop: Header=BB650_17 Depth=1
	s_or_b64 exec, exec, s[4:5]
	v_cvt_pkrtz_f16_f32 v18, v21, v19
	v_cvt_pkrtz_f16_f32 v19, v23, v32
	;; [unrolled: 1-line block ×4, first 2 shown]
	v_mov_b32_e32 v32, 0
	v_mfma_f32_16x16x16f16 v[18:21], v[18:19], v[2:3], 0
	s_waitcnt vmcnt(1)
	v_cmp_ne_u16_sdwa s[6:7], v28, v35 src0_sel:BYTE_0 src1_sel:DWORD
	v_mov_b32_e32 v34, 0
	v_mfma_f32_16x16x16f16 v[18:21], v[52:53], v[4:5], v[18:21]
	s_and_saveexec_b64 s[4:5], s[6:7]
	s_cbranch_execz .LBB650_71
; %bb.66:                               ;   in Loop: Header=BB650_17 Depth=1
	v_cmp_ne_u16_sdwa s[10:11], v28, s13 src0_sel:BYTE_0 src1_sel:DWORD
	v_bfrev_b32_e32 v34, 1
	s_and_saveexec_b64 s[6:7], s[10:11]
	s_cbranch_execz .LBB650_70
; %bb.67:                               ;   in Loop: Header=BB650_17 Depth=1
	v_and_b32_e32 v23, 0x7f, v28
	v_cmp_ne_u32_e32 vcc, s14, v23
	v_mov_b32_e32 v34, 0x7f800001
	s_and_saveexec_b64 s[10:11], vcc
	s_cbranch_execz .LBB650_69
; %bb.68:                               ;   in Loop: Header=BB650_17 Depth=1
	v_and_b32_e32 v30, 7, v28
	v_ffbh_u32_e32 v40, v30
	v_min_u32_e32 v40, 32, v40
	v_subrev_u32_e32 v42, 28, v40
	v_lshlrev_b64 v[52:53], v42, v[28:29]
	v_lshrrev_b32_e32 v34, 3, v23
	v_sub_u32_e32 v40, 29, v40
	v_and_b32_e32 v42, 7, v52
	v_cmp_gt_u32_e32 vcc, 8, v23
	v_cndmask_b32_e32 v23, v34, v40, vcc
	v_cndmask_b32_e32 v30, v30, v42, vcc
	v_lshlrev_b32_e32 v34, 24, v28
	v_lshlrev_b32_e32 v30, 20, v30
	v_and_b32_e32 v34, 0x80000000, v34
	v_lshl_add_u32 v23, v23, 23, v38
	v_or3_b32 v34, v34, v23, v30
.LBB650_69:                             ;   in Loop: Header=BB650_17 Depth=1
	s_or_b64 exec, exec, s[10:11]
.LBB650_70:                             ;   in Loop: Header=BB650_17 Depth=1
	s_or_b64 exec, exec, s[6:7]
.LBB650_71:                             ;   in Loop: Header=BB650_17 Depth=1
	s_or_b64 exec, exec, s[4:5]
	v_lshrrev_b16_e32 v30, 8, v28
	v_cmp_ne_u16_e32 vcc, 0, v30
	v_mov_b32_e32 v40, 0
	s_and_saveexec_b64 s[4:5], vcc
	s_cbranch_execz .LBB650_77
; %bb.72:                               ;   in Loop: Header=BB650_17 Depth=1
	v_cmp_ne_u16_e32 vcc, s13, v30
	v_bfrev_b32_e32 v40, 1
	s_and_saveexec_b64 s[6:7], vcc
	s_cbranch_execz .LBB650_76
; %bb.73:                               ;   in Loop: Header=BB650_17 Depth=1
	v_and_b32_e32 v23, 0x7f, v30
	v_cmp_ne_u32_e32 vcc, s14, v23
	v_mov_b32_e32 v40, 0x7f800001
	s_and_saveexec_b64 s[10:11], vcc
	s_cbranch_execz .LBB650_75
; %bb.74:                               ;   in Loop: Header=BB650_17 Depth=1
	v_and_b32_e32 v40, 7, v30
	v_ffbh_u32_e32 v44, v40
	v_min_u32_e32 v44, 32, v44
	v_subrev_u32_e32 v52, 28, v44
	v_lshlrev_b64 v[52:53], v52, v[30:31]
	v_lshrrev_b32_e32 v42, 3, v23
	v_sub_u32_e32 v30, 29, v44
	v_and_b32_e32 v44, 7, v52
	v_cmp_gt_u32_e32 vcc, 8, v23
	v_cndmask_b32_e32 v23, v42, v30, vcc
	v_cndmask_b32_e32 v30, v40, v44, vcc
	v_lshlrev_b32_e32 v40, 16, v28
	v_lshlrev_b32_e32 v30, 20, v30
	v_and_b32_e32 v40, 0x80000000, v40
	v_lshl_add_u32 v23, v23, 23, v38
	v_or3_b32 v40, v40, v23, v30
.LBB650_75:                             ;   in Loop: Header=BB650_17 Depth=1
	s_or_b64 exec, exec, s[10:11]
.LBB650_76:                             ;   in Loop: Header=BB650_17 Depth=1
	s_or_b64 exec, exec, s[6:7]
.LBB650_77:                             ;   in Loop: Header=BB650_17 Depth=1
	s_or_b64 exec, exec, s[4:5]
	v_lshrrev_b32_e32 v30, 16, v28
	v_cmp_ne_u16_sdwa s[6:7], v30, v35 src0_sel:BYTE_0 src1_sel:DWORD
	s_and_saveexec_b64 s[4:5], s[6:7]
	s_cbranch_execz .LBB650_83
; %bb.78:                               ;   in Loop: Header=BB650_17 Depth=1
	v_cmp_ne_u16_sdwa s[10:11], v30, s13 src0_sel:BYTE_0 src1_sel:DWORD
	v_bfrev_b32_e32 v32, 1
	s_and_saveexec_b64 s[6:7], s[10:11]
	s_cbranch_execz .LBB650_82
; %bb.79:                               ;   in Loop: Header=BB650_17 Depth=1
	v_bfe_u32 v23, v28, 16, 7
	v_cmp_ne_u32_e32 vcc, s14, v23
	v_mov_b32_e32 v32, 0x7f800001
	s_and_saveexec_b64 s[10:11], vcc
	s_cbranch_execz .LBB650_81
; %bb.80:                               ;   in Loop: Header=BB650_17 Depth=1
	v_and_b32_e32 v32, 7, v30
	v_ffbh_u32_e32 v44, v32
	v_min_u32_e32 v44, 32, v44
	v_subrev_u32_e32 v52, 28, v44
	v_lshlrev_b64 v[52:53], v52, v[30:31]
	v_lshrrev_b32_e32 v42, 3, v23
	v_sub_u32_e32 v44, 29, v44
	v_and_b32_e32 v52, 7, v52
	v_cmp_gt_u32_e32 vcc, 8, v23
	v_cndmask_b32_e32 v23, v42, v44, vcc
	v_cndmask_b32_e32 v32, v32, v52, vcc
	v_lshlrev_b32_e32 v30, 24, v30
	v_lshlrev_b32_e32 v32, 20, v32
	v_and_b32_e32 v30, 0x80000000, v30
	v_lshl_add_u32 v23, v23, 23, v38
	v_or3_b32 v32, v30, v23, v32
.LBB650_81:                             ;   in Loop: Header=BB650_17 Depth=1
	s_or_b64 exec, exec, s[10:11]
.LBB650_82:                             ;   in Loop: Header=BB650_17 Depth=1
	s_or_b64 exec, exec, s[6:7]
.LBB650_83:                             ;   in Loop: Header=BB650_17 Depth=1
	s_or_b64 exec, exec, s[4:5]
	v_cmp_lt_u32_e32 vcc, s15, v28
	v_mov_b32_e32 v42, 0
	v_mov_b32_e32 v44, 0
	s_and_saveexec_b64 s[4:5], vcc
	s_cbranch_execz .LBB650_89
; %bb.84:                               ;   in Loop: Header=BB650_17 Depth=1
	v_lshrrev_b32_e32 v30, 24, v28
	v_cmp_ne_u32_e32 vcc, s13, v30
	v_bfrev_b32_e32 v44, 1
	s_and_saveexec_b64 s[6:7], vcc
	s_cbranch_execz .LBB650_88
; %bb.85:                               ;   in Loop: Header=BB650_17 Depth=1
	v_bfe_u32 v23, v28, 24, 7
	v_cmp_ne_u32_e32 vcc, s14, v23
	v_mov_b32_e32 v44, 0x7f800001
	s_and_saveexec_b64 s[10:11], vcc
	s_cbranch_execz .LBB650_87
; %bb.86:                               ;   in Loop: Header=BB650_17 Depth=1
	v_and_b32_e32 v28, 7, v30
	v_ffbh_u32_e32 v52, v28
	v_min_u32_e32 v54, 32, v52
	v_subrev_u32_e32 v52, 28, v54
	v_lshlrev_b64 v[52:53], v52, v[30:31]
	v_lshrrev_b32_e32 v44, 3, v23
	v_sub_u32_e32 v53, 29, v54
	v_and_b32_e32 v52, 7, v52
	v_cmp_gt_u32_e32 vcc, 8, v23
	v_cndmask_b32_e32 v23, v44, v53, vcc
	v_cndmask_b32_e32 v28, v28, v52, vcc
	v_lshlrev_b32_e32 v30, 24, v30
	v_lshlrev_b32_e32 v28, 20, v28
	v_and_b32_e32 v30, 0x80000000, v30
	v_lshl_add_u32 v23, v23, 23, v38
	v_or3_b32 v44, v30, v23, v28
.LBB650_87:                             ;   in Loop: Header=BB650_17 Depth=1
	s_or_b64 exec, exec, s[10:11]
.LBB650_88:                             ;   in Loop: Header=BB650_17 Depth=1
	s_or_b64 exec, exec, s[6:7]
.LBB650_89:                             ;   in Loop: Header=BB650_17 Depth=1
	s_or_b64 exec, exec, s[4:5]
	s_waitcnt vmcnt(0)
	v_cmp_ne_u16_sdwa s[6:7], v26, v35 src0_sel:BYTE_0 src1_sel:DWORD
	s_and_saveexec_b64 s[4:5], s[6:7]
	s_cbranch_execz .LBB650_95
; %bb.90:                               ;   in Loop: Header=BB650_17 Depth=1
	v_cmp_ne_u16_sdwa s[10:11], v26, s13 src0_sel:BYTE_0 src1_sel:DWORD
	v_bfrev_b32_e32 v42, 1
	s_and_saveexec_b64 s[6:7], s[10:11]
	s_cbranch_execz .LBB650_94
; %bb.91:                               ;   in Loop: Header=BB650_17 Depth=1
	v_and_b32_e32 v23, 0x7f, v26
	v_cmp_ne_u32_e32 vcc, s14, v23
	v_mov_b32_e32 v42, 0x7f800001
	s_and_saveexec_b64 s[10:11], vcc
	s_cbranch_execz .LBB650_93
; %bb.92:                               ;   in Loop: Header=BB650_17 Depth=1
	v_and_b32_e32 v28, 7, v26
	v_ffbh_u32_e32 v42, v28
	v_min_u32_e32 v42, 32, v42
	v_subrev_u32_e32 v52, 28, v42
	v_lshlrev_b64 v[52:53], v52, v[26:27]
	v_lshrrev_b32_e32 v30, 3, v23
	v_sub_u32_e32 v42, 29, v42
	v_and_b32_e32 v52, 7, v52
	v_cmp_gt_u32_e32 vcc, 8, v23
	v_cndmask_b32_e32 v23, v30, v42, vcc
	v_cndmask_b32_e32 v28, v28, v52, vcc
	v_lshlrev_b32_e32 v30, 24, v26
	v_lshlrev_b32_e32 v28, 20, v28
	v_and_b32_e32 v30, 0x80000000, v30
	v_lshl_add_u32 v23, v23, 23, v38
	v_or3_b32 v42, v30, v23, v28
.LBB650_93:                             ;   in Loop: Header=BB650_17 Depth=1
	s_or_b64 exec, exec, s[10:11]
.LBB650_94:                             ;   in Loop: Header=BB650_17 Depth=1
	s_or_b64 exec, exec, s[6:7]
.LBB650_95:                             ;   in Loop: Header=BB650_17 Depth=1
	s_or_b64 exec, exec, s[4:5]
	v_lshrrev_b16_e32 v28, 8, v26
	v_cmp_ne_u16_e32 vcc, 0, v28
	v_mov_b32_e32 v52, 0
	v_mov_b32_e32 v53, 0
	s_and_saveexec_b64 s[4:5], vcc
	s_cbranch_execz .LBB650_101
; %bb.96:                               ;   in Loop: Header=BB650_17 Depth=1
	v_cmp_ne_u16_e32 vcc, s13, v28
	v_bfrev_b32_e32 v53, 1
	s_and_saveexec_b64 s[6:7], vcc
	s_cbranch_execz .LBB650_100
; %bb.97:                               ;   in Loop: Header=BB650_17 Depth=1
	v_and_b32_e32 v23, 0x7f, v28
	v_cmp_ne_u32_e32 vcc, s14, v23
	v_mov_b32_e32 v53, 0x7f800001
	s_and_saveexec_b64 s[10:11], vcc
	s_cbranch_execz .LBB650_99
; %bb.98:                               ;   in Loop: Header=BB650_17 Depth=1
	v_and_b32_e32 v30, 7, v28
	v_ffbh_u32_e32 v54, v30
	v_min_u32_e32 v56, 32, v54
	v_subrev_u32_e32 v54, 28, v56
	v_lshlrev_b64 v[54:55], v54, v[28:29]
	v_lshrrev_b32_e32 v53, 3, v23
	v_sub_u32_e32 v28, 29, v56
	v_and_b32_e32 v54, 7, v54
	v_cmp_gt_u32_e32 vcc, 8, v23
	v_cndmask_b32_e32 v23, v53, v28, vcc
	v_cndmask_b32_e32 v28, v30, v54, vcc
	v_lshlrev_b32_e32 v30, 16, v26
	v_lshlrev_b32_e32 v28, 20, v28
	v_and_b32_e32 v30, 0x80000000, v30
	v_lshl_add_u32 v23, v23, 23, v38
	v_or3_b32 v53, v30, v23, v28
.LBB650_99:                             ;   in Loop: Header=BB650_17 Depth=1
	s_or_b64 exec, exec, s[10:11]
.LBB650_100:                            ;   in Loop: Header=BB650_17 Depth=1
	s_or_b64 exec, exec, s[6:7]
.LBB650_101:                            ;   in Loop: Header=BB650_17 Depth=1
	s_or_b64 exec, exec, s[4:5]
	v_lshrrev_b32_e32 v28, 16, v26
	v_cmp_ne_u16_sdwa s[6:7], v28, v35 src0_sel:BYTE_0 src1_sel:DWORD
	s_and_saveexec_b64 s[4:5], s[6:7]
	s_cbranch_execz .LBB650_107
; %bb.102:                              ;   in Loop: Header=BB650_17 Depth=1
	v_cmp_ne_u16_sdwa s[10:11], v28, s13 src0_sel:BYTE_0 src1_sel:DWORD
	v_bfrev_b32_e32 v52, 1
	s_and_saveexec_b64 s[6:7], s[10:11]
	s_cbranch_execz .LBB650_106
; %bb.103:                              ;   in Loop: Header=BB650_17 Depth=1
	v_bfe_u32 v23, v26, 16, 7
	v_cmp_ne_u32_e32 vcc, s14, v23
	v_mov_b32_e32 v52, 0x7f800001
	s_and_saveexec_b64 s[10:11], vcc
	s_cbranch_execz .LBB650_105
; %bb.104:                              ;   in Loop: Header=BB650_17 Depth=1
	v_and_b32_e32 v30, 7, v28
	v_ffbh_u32_e32 v54, v30
	v_min_u32_e32 v56, 32, v54
	v_subrev_u32_e32 v54, 28, v56
	v_lshlrev_b64 v[54:55], v54, v[28:29]
	v_lshrrev_b32_e32 v52, 3, v23
	v_sub_u32_e32 v55, 29, v56
	v_and_b32_e32 v54, 7, v54
	v_cmp_gt_u32_e32 vcc, 8, v23
	v_cndmask_b32_e32 v23, v52, v55, vcc
	v_cndmask_b32_e32 v30, v30, v54, vcc
	v_lshlrev_b32_e32 v28, 24, v28
	v_lshlrev_b32_e32 v30, 20, v30
	v_and_b32_e32 v28, 0x80000000, v28
	v_lshl_add_u32 v23, v23, 23, v38
	v_or3_b32 v52, v28, v23, v30
.LBB650_105:                            ;   in Loop: Header=BB650_17 Depth=1
	s_or_b64 exec, exec, s[10:11]
.LBB650_106:                            ;   in Loop: Header=BB650_17 Depth=1
	s_or_b64 exec, exec, s[6:7]
.LBB650_107:                            ;   in Loop: Header=BB650_17 Depth=1
	s_or_b64 exec, exec, s[4:5]
	v_cmp_lt_u32_e32 vcc, s15, v26
	v_mov_b32_e32 v23, 0
	v_mov_b32_e32 v54, 0
	s_and_saveexec_b64 s[4:5], vcc
	s_cbranch_execz .LBB650_113
; %bb.108:                              ;   in Loop: Header=BB650_17 Depth=1
	v_lshrrev_b32_e32 v28, 24, v26
	v_cmp_ne_u32_e32 vcc, s13, v28
	v_bfrev_b32_e32 v54, 1
	s_and_saveexec_b64 s[6:7], vcc
	s_cbranch_execz .LBB650_112
; %bb.109:                              ;   in Loop: Header=BB650_17 Depth=1
	v_bfe_u32 v26, v26, 24, 7
	v_cmp_ne_u32_e32 vcc, s14, v26
	v_mov_b32_e32 v54, 0x7f800001
	s_and_saveexec_b64 s[10:11], vcc
	s_cbranch_execz .LBB650_111
; %bb.110:                              ;   in Loop: Header=BB650_17 Depth=1
	v_and_b32_e32 v30, 7, v28
	v_ffbh_u32_e32 v54, v30
	v_min_u32_e32 v57, 32, v54
	v_subrev_u32_e32 v54, 28, v57
	v_lshlrev_b64 v[54:55], v54, v[28:29]
	v_lshrrev_b32_e32 v56, 3, v26
	v_sub_u32_e32 v55, 29, v57
	v_and_b32_e32 v54, 7, v54
	v_cmp_gt_u32_e32 vcc, 8, v26
	v_cndmask_b32_e32 v26, v56, v55, vcc
	v_cndmask_b32_e32 v30, v30, v54, vcc
	v_lshlrev_b32_e32 v28, 24, v28
	v_lshlrev_b32_e32 v30, 20, v30
	v_and_b32_e32 v28, 0x80000000, v28
	v_lshl_add_u32 v26, v26, 23, v38
	v_or3_b32 v54, v28, v26, v30
.LBB650_111:                            ;   in Loop: Header=BB650_17 Depth=1
	s_or_b64 exec, exec, s[10:11]
.LBB650_112:                            ;   in Loop: Header=BB650_17 Depth=1
	s_or_b64 exec, exec, s[6:7]
.LBB650_113:                            ;   in Loop: Header=BB650_17 Depth=1
	s_or_b64 exec, exec, s[4:5]
	v_cvt_pkrtz_f16_f32 v57, v32, v44
	buffer_load_dword v32, v36, s[0:3], 0 offen offset:16
	buffer_load_dword v30, v36, s[0:3], 0 offen offset:20
	;; [unrolled: 1-line block ×4, first 2 shown]
	v_cvt_pkrtz_f16_f32 v56, v34, v40
	s_waitcnt vmcnt(3)
	v_cmp_ne_u16_sdwa s[6:7], v32, v35 src0_sel:BYTE_0 src1_sel:DWORD
	v_mfma_f32_16x16x16f16 v[18:21], v[56:57], v[6:7], v[18:21]
	v_cvt_pkrtz_f16_f32 v56, v42, v53
	v_cvt_pkrtz_f16_f32 v57, v52, v54
	s_nop 1
	v_mfma_f32_16x16x16f16 v[18:21], v[56:57], v[8:9], v[18:21]
	s_and_saveexec_b64 s[4:5], s[6:7]
	s_cbranch_execz .LBB650_119
; %bb.114:                              ;   in Loop: Header=BB650_17 Depth=1
	v_cmp_ne_u16_sdwa s[10:11], v32, s13 src0_sel:BYTE_0 src1_sel:DWORD
	v_bfrev_b32_e32 v23, 1
	s_and_saveexec_b64 s[6:7], s[10:11]
	s_cbranch_execz .LBB650_118
; %bb.115:                              ;   in Loop: Header=BB650_17 Depth=1
	v_and_b32_e32 v34, 0x7f, v32
	v_cmp_ne_u32_e32 vcc, s14, v34
	v_mov_b32_e32 v23, 0x7f800001
	s_and_saveexec_b64 s[10:11], vcc
	s_cbranch_execz .LBB650_117
; %bb.116:                              ;   in Loop: Header=BB650_17 Depth=1
	v_and_b32_e32 v23, 7, v32
	v_ffbh_u32_e32 v42, v23
	v_min_u32_e32 v42, 32, v42
	v_subrev_u32_e32 v44, 28, v42
	v_lshlrev_b64 v[52:53], v44, v[32:33]
	v_lshrrev_b32_e32 v40, 3, v34
	v_sub_u32_e32 v42, 29, v42
	v_and_b32_e32 v44, 7, v52
	v_cmp_gt_u32_e32 vcc, 8, v34
	v_cndmask_b32_e32 v34, v40, v42, vcc
	v_cndmask_b32_e32 v23, v23, v44, vcc
	v_lshlrev_b32_e32 v40, 24, v32
	v_lshlrev_b32_e32 v23, 20, v23
	v_and_b32_e32 v40, 0x80000000, v40
	v_lshl_add_u32 v34, v34, 23, v38
	v_or3_b32 v23, v40, v34, v23
.LBB650_117:                            ;   in Loop: Header=BB650_17 Depth=1
	s_or_b64 exec, exec, s[10:11]
.LBB650_118:                            ;   in Loop: Header=BB650_17 Depth=1
	s_or_b64 exec, exec, s[6:7]
.LBB650_119:                            ;   in Loop: Header=BB650_17 Depth=1
	s_or_b64 exec, exec, s[4:5]
	v_lshrrev_b16_e32 v34, 8, v32
	v_cmp_ne_u16_e32 vcc, 0, v34
	v_mov_b32_e32 v40, 0
	v_mov_b32_e32 v42, 0
	s_and_saveexec_b64 s[4:5], vcc
	s_cbranch_execz .LBB650_125
; %bb.120:                              ;   in Loop: Header=BB650_17 Depth=1
	v_cmp_ne_u16_e32 vcc, s13, v34
	v_bfrev_b32_e32 v42, 1
	s_and_saveexec_b64 s[6:7], vcc
	s_cbranch_execz .LBB650_124
; %bb.121:                              ;   in Loop: Header=BB650_17 Depth=1
	v_and_b32_e32 v44, 0x7f, v34
	v_cmp_ne_u32_e32 vcc, s14, v44
	v_mov_b32_e32 v42, 0x7f800001
	s_and_saveexec_b64 s[10:11], vcc
	s_cbranch_execz .LBB650_123
; %bb.122:                              ;   in Loop: Header=BB650_17 Depth=1
	v_and_b32_e32 v42, 7, v34
	v_ffbh_u32_e32 v52, v42
	v_min_u32_e32 v55, 32, v52
	v_subrev_u32_e32 v52, 28, v55
	v_lshlrev_b64 v[52:53], v52, v[34:35]
	v_lshrrev_b32_e32 v54, 3, v44
	v_sub_u32_e32 v34, 29, v55
	v_and_b32_e32 v52, 7, v52
	v_cmp_gt_u32_e32 vcc, 8, v44
	v_cndmask_b32_e32 v34, v54, v34, vcc
	v_cndmask_b32_e32 v42, v42, v52, vcc
	v_lshlrev_b32_e32 v44, 16, v32
	v_lshlrev_b32_e32 v42, 20, v42
	v_and_b32_e32 v44, 0x80000000, v44
	v_lshl_add_u32 v34, v34, 23, v38
	v_or3_b32 v42, v44, v34, v42
.LBB650_123:                            ;   in Loop: Header=BB650_17 Depth=1
	s_or_b64 exec, exec, s[10:11]
.LBB650_124:                            ;   in Loop: Header=BB650_17 Depth=1
	s_or_b64 exec, exec, s[6:7]
.LBB650_125:                            ;   in Loop: Header=BB650_17 Depth=1
	s_or_b64 exec, exec, s[4:5]
	v_lshrrev_b32_e32 v34, 16, v32
	v_cmp_ne_u16_sdwa s[6:7], v34, v35 src0_sel:BYTE_0 src1_sel:DWORD
	s_and_saveexec_b64 s[4:5], s[6:7]
	s_cbranch_execz .LBB650_131
; %bb.126:                              ;   in Loop: Header=BB650_17 Depth=1
	v_cmp_ne_u16_sdwa s[10:11], v34, s13 src0_sel:BYTE_0 src1_sel:DWORD
	v_bfrev_b32_e32 v40, 1
	s_and_saveexec_b64 s[6:7], s[10:11]
	s_cbranch_execz .LBB650_130
; %bb.127:                              ;   in Loop: Header=BB650_17 Depth=1
	v_bfe_u32 v44, v32, 16, 7
	v_cmp_ne_u32_e32 vcc, s14, v44
	v_mov_b32_e32 v40, 0x7f800001
	s_and_saveexec_b64 s[10:11], vcc
	s_cbranch_execz .LBB650_129
; %bb.128:                              ;   in Loop: Header=BB650_17 Depth=1
	v_and_b32_e32 v40, 7, v34
	v_ffbh_u32_e32 v52, v40
	v_min_u32_e32 v55, 32, v52
	v_subrev_u32_e32 v52, 28, v55
	v_lshlrev_b64 v[52:53], v52, v[34:35]
	v_lshrrev_b32_e32 v54, 3, v44
	v_sub_u32_e32 v53, 29, v55
	v_and_b32_e32 v52, 7, v52
	v_cmp_gt_u32_e32 vcc, 8, v44
	v_cndmask_b32_e32 v44, v54, v53, vcc
	v_cndmask_b32_e32 v40, v40, v52, vcc
	v_lshlrev_b32_e32 v34, 24, v34
	v_lshlrev_b32_e32 v40, 20, v40
	v_and_b32_e32 v34, 0x80000000, v34
	v_lshl_add_u32 v44, v44, 23, v38
	v_or3_b32 v40, v34, v44, v40
.LBB650_129:                            ;   in Loop: Header=BB650_17 Depth=1
	s_or_b64 exec, exec, s[10:11]
.LBB650_130:                            ;   in Loop: Header=BB650_17 Depth=1
	s_or_b64 exec, exec, s[6:7]
.LBB650_131:                            ;   in Loop: Header=BB650_17 Depth=1
	s_or_b64 exec, exec, s[4:5]
	v_cmp_lt_u32_e32 vcc, s15, v32
	v_mov_b32_e32 v44, 0
	v_mov_b32_e32 v52, 0
	s_and_saveexec_b64 s[4:5], vcc
	s_cbranch_execz .LBB650_137
; %bb.132:                              ;   in Loop: Header=BB650_17 Depth=1
	v_lshrrev_b32_e32 v34, 24, v32
	v_cmp_ne_u32_e32 vcc, s13, v34
	v_bfrev_b32_e32 v52, 1
	s_and_saveexec_b64 s[6:7], vcc
	s_cbranch_execz .LBB650_136
; %bb.133:                              ;   in Loop: Header=BB650_17 Depth=1
	v_bfe_u32 v32, v32, 24, 7
	v_cmp_ne_u32_e32 vcc, s14, v32
	v_mov_b32_e32 v52, 0x7f800001
	s_and_saveexec_b64 s[10:11], vcc
	s_cbranch_execz .LBB650_135
; %bb.134:                              ;   in Loop: Header=BB650_17 Depth=1
	v_and_b32_e32 v54, 7, v34
	v_ffbh_u32_e32 v52, v54
	v_min_u32_e32 v56, 32, v52
	v_subrev_u32_e32 v52, 28, v56
	v_lshlrev_b64 v[52:53], v52, v[34:35]
	v_lshrrev_b32_e32 v55, 3, v32
	v_sub_u32_e32 v53, 29, v56
	v_and_b32_e32 v52, 7, v52
	v_cmp_gt_u32_e32 vcc, 8, v32
	v_cndmask_b32_e32 v32, v55, v53, vcc
	v_cndmask_b32_e32 v52, v54, v52, vcc
	v_lshlrev_b32_e32 v34, 24, v34
	v_lshlrev_b32_e32 v52, 20, v52
	v_and_b32_e32 v34, 0x80000000, v34
	v_lshl_add_u32 v32, v32, 23, v38
	v_or3_b32 v52, v34, v32, v52
.LBB650_135:                            ;   in Loop: Header=BB650_17 Depth=1
	s_or_b64 exec, exec, s[10:11]
.LBB650_136:                            ;   in Loop: Header=BB650_17 Depth=1
	s_or_b64 exec, exec, s[6:7]
.LBB650_137:                            ;   in Loop: Header=BB650_17 Depth=1
	s_or_b64 exec, exec, s[4:5]
	s_waitcnt vmcnt(2)
	v_cmp_ne_u16_sdwa s[6:7], v30, v35 src0_sel:BYTE_0 src1_sel:DWORD
	s_and_saveexec_b64 s[4:5], s[6:7]
	s_cbranch_execz .LBB650_143
; %bb.138:                              ;   in Loop: Header=BB650_17 Depth=1
	v_cmp_ne_u16_sdwa s[10:11], v30, s13 src0_sel:BYTE_0 src1_sel:DWORD
	v_bfrev_b32_e32 v44, 1
	s_and_saveexec_b64 s[6:7], s[10:11]
	s_cbranch_execz .LBB650_142
; %bb.139:                              ;   in Loop: Header=BB650_17 Depth=1
	v_and_b32_e32 v32, 0x7f, v30
	v_cmp_ne_u32_e32 vcc, s14, v32
	v_mov_b32_e32 v44, 0x7f800001
	s_and_saveexec_b64 s[10:11], vcc
	s_cbranch_execz .LBB650_141
; %bb.140:                              ;   in Loop: Header=BB650_17 Depth=1
	v_and_b32_e32 v34, 7, v30
	v_ffbh_u32_e32 v53, v34
	v_min_u32_e32 v53, 32, v53
	v_subrev_u32_e32 v54, 28, v53
	v_lshlrev_b64 v[54:55], v54, v[30:31]
	v_lshrrev_b32_e32 v44, 3, v32
	v_sub_u32_e32 v53, 29, v53
	v_and_b32_e32 v54, 7, v54
	v_cmp_gt_u32_e32 vcc, 8, v32
	v_cndmask_b32_e32 v32, v44, v53, vcc
	v_cndmask_b32_e32 v34, v34, v54, vcc
	v_lshlrev_b32_e32 v44, 24, v30
	v_lshlrev_b32_e32 v34, 20, v34
	v_and_b32_e32 v44, 0x80000000, v44
	v_lshl_add_u32 v32, v32, 23, v38
	v_or3_b32 v44, v44, v32, v34
.LBB650_141:                            ;   in Loop: Header=BB650_17 Depth=1
	s_or_b64 exec, exec, s[10:11]
.LBB650_142:                            ;   in Loop: Header=BB650_17 Depth=1
	s_or_b64 exec, exec, s[6:7]
.LBB650_143:                            ;   in Loop: Header=BB650_17 Depth=1
	s_or_b64 exec, exec, s[4:5]
	v_lshrrev_b16_e32 v32, 8, v30
	v_cmp_ne_u16_e32 vcc, 0, v32
	v_mov_b32_e32 v53, 0
	v_mov_b32_e32 v54, 0
	s_and_saveexec_b64 s[4:5], vcc
	s_cbranch_execz .LBB650_149
; %bb.144:                              ;   in Loop: Header=BB650_17 Depth=1
	v_cmp_ne_u16_e32 vcc, s13, v32
	v_bfrev_b32_e32 v54, 1
	s_and_saveexec_b64 s[6:7], vcc
	s_cbranch_execz .LBB650_148
; %bb.145:                              ;   in Loop: Header=BB650_17 Depth=1
	v_and_b32_e32 v34, 0x7f, v32
	v_cmp_ne_u32_e32 vcc, s14, v34
	v_mov_b32_e32 v54, 0x7f800001
	s_and_saveexec_b64 s[10:11], vcc
	s_cbranch_execz .LBB650_147
; %bb.146:                              ;   in Loop: Header=BB650_17 Depth=1
	v_and_b32_e32 v56, 7, v32
	v_ffbh_u32_e32 v54, v56
	v_min_u32_e32 v58, 32, v54
	v_subrev_u32_e32 v54, 28, v58
	v_lshlrev_b64 v[54:55], v54, v[32:33]
	v_lshrrev_b32_e32 v57, 3, v34
	v_sub_u32_e32 v32, 29, v58
	v_and_b32_e32 v54, 7, v54
	v_cmp_gt_u32_e32 vcc, 8, v34
	v_cndmask_b32_e32 v32, v57, v32, vcc
	v_cndmask_b32_e32 v34, v56, v54, vcc
	v_lshlrev_b32_e32 v54, 16, v30
	v_lshlrev_b32_e32 v34, 20, v34
	v_and_b32_e32 v54, 0x80000000, v54
	v_lshl_add_u32 v32, v32, 23, v38
	v_or3_b32 v54, v54, v32, v34
.LBB650_147:                            ;   in Loop: Header=BB650_17 Depth=1
	s_or_b64 exec, exec, s[10:11]
.LBB650_148:                            ;   in Loop: Header=BB650_17 Depth=1
	s_or_b64 exec, exec, s[6:7]
.LBB650_149:                            ;   in Loop: Header=BB650_17 Depth=1
	s_or_b64 exec, exec, s[4:5]
	v_lshrrev_b32_e32 v32, 16, v30
	v_cmp_ne_u16_sdwa s[6:7], v32, v35 src0_sel:BYTE_0 src1_sel:DWORD
	s_and_saveexec_b64 s[4:5], s[6:7]
	s_cbranch_execz .LBB650_155
; %bb.150:                              ;   in Loop: Header=BB650_17 Depth=1
	v_cmp_ne_u16_sdwa s[10:11], v32, s13 src0_sel:BYTE_0 src1_sel:DWORD
	v_bfrev_b32_e32 v53, 1
	s_and_saveexec_b64 s[6:7], s[10:11]
	s_cbranch_execz .LBB650_154
; %bb.151:                              ;   in Loop: Header=BB650_17 Depth=1
	v_bfe_u32 v34, v30, 16, 7
	v_cmp_ne_u32_e32 vcc, s14, v34
	v_mov_b32_e32 v53, 0x7f800001
	s_and_saveexec_b64 s[10:11], vcc
	s_cbranch_execz .LBB650_153
; %bb.152:                              ;   in Loop: Header=BB650_17 Depth=1
	v_and_b32_e32 v53, 7, v32
	v_ffbh_u32_e32 v56, v53
	v_min_u32_e32 v58, 32, v56
	v_subrev_u32_e32 v56, 28, v58
	v_lshlrev_b64 v[56:57], v56, v[32:33]
	v_lshrrev_b32_e32 v55, 3, v34
	v_sub_u32_e32 v57, 29, v58
	v_and_b32_e32 v56, 7, v56
	v_cmp_gt_u32_e32 vcc, 8, v34
	v_cndmask_b32_e32 v34, v55, v57, vcc
	v_cndmask_b32_e32 v53, v53, v56, vcc
	v_lshlrev_b32_e32 v32, 24, v32
	v_lshlrev_b32_e32 v53, 20, v53
	v_and_b32_e32 v32, 0x80000000, v32
	v_lshl_add_u32 v34, v34, 23, v38
	v_or3_b32 v53, v32, v34, v53
.LBB650_153:                            ;   in Loop: Header=BB650_17 Depth=1
	s_or_b64 exec, exec, s[10:11]
.LBB650_154:                            ;   in Loop: Header=BB650_17 Depth=1
	s_or_b64 exec, exec, s[6:7]
.LBB650_155:                            ;   in Loop: Header=BB650_17 Depth=1
	s_or_b64 exec, exec, s[4:5]
	v_cmp_lt_u32_e32 vcc, s15, v30
	v_mov_b32_e32 v34, 0
	v_mov_b32_e32 v55, 0
	s_and_saveexec_b64 s[4:5], vcc
	s_cbranch_execz .LBB650_161
; %bb.156:                              ;   in Loop: Header=BB650_17 Depth=1
	v_lshrrev_b32_e32 v32, 24, v30
	v_cmp_ne_u32_e32 vcc, s13, v32
	v_bfrev_b32_e32 v55, 1
	s_and_saveexec_b64 s[6:7], vcc
	s_cbranch_execz .LBB650_160
; %bb.157:                              ;   in Loop: Header=BB650_17 Depth=1
	v_bfe_u32 v30, v30, 24, 7
	v_cmp_ne_u32_e32 vcc, s14, v30
	v_mov_b32_e32 v55, 0x7f800001
	s_and_saveexec_b64 s[10:11], vcc
	s_cbranch_execz .LBB650_159
; %bb.158:                              ;   in Loop: Header=BB650_17 Depth=1
	v_and_b32_e32 v55, 7, v32
	v_ffbh_u32_e32 v56, v55
	v_min_u32_e32 v59, 32, v56
	v_subrev_u32_e32 v56, 28, v59
	v_lshlrev_b64 v[56:57], v56, v[32:33]
	v_lshrrev_b32_e32 v58, 3, v30
	v_sub_u32_e32 v57, 29, v59
	v_and_b32_e32 v56, 7, v56
	v_cmp_gt_u32_e32 vcc, 8, v30
	v_cndmask_b32_e32 v30, v58, v57, vcc
	v_cndmask_b32_e32 v55, v55, v56, vcc
	v_lshlrev_b32_e32 v32, 24, v32
	v_lshlrev_b32_e32 v55, 20, v55
	v_and_b32_e32 v32, 0x80000000, v32
	v_lshl_add_u32 v30, v30, 23, v38
	v_or3_b32 v55, v32, v30, v55
.LBB650_159:                            ;   in Loop: Header=BB650_17 Depth=1
	s_or_b64 exec, exec, s[10:11]
.LBB650_160:                            ;   in Loop: Header=BB650_17 Depth=1
	s_or_b64 exec, exec, s[6:7]
.LBB650_161:                            ;   in Loop: Header=BB650_17 Depth=1
	s_or_b64 exec, exec, s[4:5]
	v_cvt_pkrtz_f16_f32 v56, v23, v42
	v_cvt_pkrtz_f16_f32 v57, v40, v52
	;; [unrolled: 1-line block ×4, first 2 shown]
	s_waitcnt vmcnt(1)
	v_cmp_ne_u16_sdwa s[6:7], v28, v35 src0_sel:BYTE_0 src1_sel:DWORD
	v_mfma_f32_16x16x16f16 v[18:21], v[56:57], v[10:11], v[18:21]
	v_mfma_f32_16x16x16f16 v[18:21], v[52:53], v[12:13], v[18:21]
	s_and_saveexec_b64 s[4:5], s[6:7]
	s_cbranch_execz .LBB650_167
; %bb.162:                              ;   in Loop: Header=BB650_17 Depth=1
	v_cmp_ne_u16_sdwa s[10:11], v28, s13 src0_sel:BYTE_0 src1_sel:DWORD
	v_bfrev_b32_e32 v34, 1
	s_and_saveexec_b64 s[6:7], s[10:11]
	s_cbranch_execz .LBB650_166
; %bb.163:                              ;   in Loop: Header=BB650_17 Depth=1
	v_and_b32_e32 v23, 0x7f, v28
	v_cmp_ne_u32_e32 vcc, s14, v23
	v_mov_b32_e32 v34, 0x7f800001
	s_and_saveexec_b64 s[10:11], vcc
	s_cbranch_execz .LBB650_165
; %bb.164:                              ;   in Loop: Header=BB650_17 Depth=1
	v_and_b32_e32 v30, 7, v28
	v_ffbh_u32_e32 v34, v30
	v_min_u32_e32 v34, 32, v34
	v_subrev_u32_e32 v40, 28, v34
	v_lshlrev_b64 v[52:53], v40, v[28:29]
	v_lshrrev_b32_e32 v32, 3, v23
	v_sub_u32_e32 v34, 29, v34
	v_and_b32_e32 v40, 7, v52
	v_cmp_gt_u32_e32 vcc, 8, v23
	v_cndmask_b32_e32 v23, v32, v34, vcc
	v_cndmask_b32_e32 v30, v30, v40, vcc
	v_lshlrev_b32_e32 v32, 24, v28
	v_lshlrev_b32_e32 v30, 20, v30
	v_and_b32_e32 v32, 0x80000000, v32
	v_lshl_add_u32 v23, v23, 23, v38
	v_or3_b32 v34, v32, v23, v30
.LBB650_165:                            ;   in Loop: Header=BB650_17 Depth=1
	s_or_b64 exec, exec, s[10:11]
.LBB650_166:                            ;   in Loop: Header=BB650_17 Depth=1
	s_or_b64 exec, exec, s[6:7]
.LBB650_167:                            ;   in Loop: Header=BB650_17 Depth=1
	s_or_b64 exec, exec, s[4:5]
	v_lshrrev_b16_e32 v30, 8, v28
	v_cmp_ne_u16_e32 vcc, 0, v30
	v_mov_b32_e32 v23, 0
	v_mov_b32_e32 v32, 0
	s_and_saveexec_b64 s[4:5], vcc
	s_cbranch_execz .LBB650_173
; %bb.168:                              ;   in Loop: Header=BB650_17 Depth=1
	v_cmp_ne_u16_e32 vcc, s13, v30
	v_bfrev_b32_e32 v32, 1
	s_and_saveexec_b64 s[6:7], vcc
	s_cbranch_execz .LBB650_172
; %bb.169:                              ;   in Loop: Header=BB650_17 Depth=1
	v_and_b32_e32 v40, 0x7f, v30
	v_cmp_ne_u32_e32 vcc, s14, v40
	v_mov_b32_e32 v32, 0x7f800001
	s_and_saveexec_b64 s[10:11], vcc
	s_cbranch_execz .LBB650_171
; %bb.170:                              ;   in Loop: Header=BB650_17 Depth=1
	v_and_b32_e32 v32, 7, v30
	v_ffbh_u32_e32 v44, v32
	v_min_u32_e32 v44, 32, v44
	v_subrev_u32_e32 v52, 28, v44
	v_lshlrev_b64 v[52:53], v52, v[30:31]
	v_lshrrev_b32_e32 v42, 3, v40
	v_sub_u32_e32 v30, 29, v44
	v_and_b32_e32 v44, 7, v52
	v_cmp_gt_u32_e32 vcc, 8, v40
	v_cndmask_b32_e32 v30, v42, v30, vcc
	v_cndmask_b32_e32 v32, v32, v44, vcc
	v_lshlrev_b32_e32 v40, 16, v28
	v_lshlrev_b32_e32 v32, 20, v32
	v_and_b32_e32 v40, 0x80000000, v40
	v_lshl_add_u32 v30, v30, 23, v38
	v_or3_b32 v32, v40, v30, v32
.LBB650_171:                            ;   in Loop: Header=BB650_17 Depth=1
	s_or_b64 exec, exec, s[10:11]
.LBB650_172:                            ;   in Loop: Header=BB650_17 Depth=1
	s_or_b64 exec, exec, s[6:7]
.LBB650_173:                            ;   in Loop: Header=BB650_17 Depth=1
	s_or_b64 exec, exec, s[4:5]
	v_lshrrev_b32_e32 v30, 16, v28
	v_cmp_ne_u16_sdwa s[6:7], v30, v35 src0_sel:BYTE_0 src1_sel:DWORD
	s_and_saveexec_b64 s[4:5], s[6:7]
	s_cbranch_execz .LBB650_179
; %bb.174:                              ;   in Loop: Header=BB650_17 Depth=1
	v_cmp_ne_u16_sdwa s[10:11], v30, s13 src0_sel:BYTE_0 src1_sel:DWORD
	v_bfrev_b32_e32 v23, 1
	s_and_saveexec_b64 s[6:7], s[10:11]
	s_cbranch_execz .LBB650_178
; %bb.175:                              ;   in Loop: Header=BB650_17 Depth=1
	v_bfe_u32 v40, v28, 16, 7
	v_cmp_ne_u32_e32 vcc, s14, v40
	v_mov_b32_e32 v23, 0x7f800001
	s_and_saveexec_b64 s[10:11], vcc
	s_cbranch_execz .LBB650_177
; %bb.176:                              ;   in Loop: Header=BB650_17 Depth=1
	v_and_b32_e32 v23, 7, v30
	v_ffbh_u32_e32 v44, v23
	v_min_u32_e32 v44, 32, v44
	v_subrev_u32_e32 v52, 28, v44
	v_lshlrev_b64 v[52:53], v52, v[30:31]
	v_lshrrev_b32_e32 v42, 3, v40
	v_sub_u32_e32 v44, 29, v44
	v_and_b32_e32 v52, 7, v52
	v_cmp_gt_u32_e32 vcc, 8, v40
	v_cndmask_b32_e32 v40, v42, v44, vcc
	v_cndmask_b32_e32 v23, v23, v52, vcc
	v_lshlrev_b32_e32 v30, 24, v30
	v_lshlrev_b32_e32 v23, 20, v23
	v_and_b32_e32 v30, 0x80000000, v30
	v_lshl_add_u32 v40, v40, 23, v38
	v_or3_b32 v23, v30, v40, v23
.LBB650_177:                            ;   in Loop: Header=BB650_17 Depth=1
	s_or_b64 exec, exec, s[10:11]
.LBB650_178:                            ;   in Loop: Header=BB650_17 Depth=1
	s_or_b64 exec, exec, s[6:7]
.LBB650_179:                            ;   in Loop: Header=BB650_17 Depth=1
	s_or_b64 exec, exec, s[4:5]
	v_cmp_lt_u32_e32 vcc, s15, v28
	v_mov_b32_e32 v40, 0
	v_mov_b32_e32 v42, 0
	s_and_saveexec_b64 s[4:5], vcc
	s_cbranch_execz .LBB650_185
; %bb.180:                              ;   in Loop: Header=BB650_17 Depth=1
	v_lshrrev_b32_e32 v30, 24, v28
	v_cmp_ne_u32_e32 vcc, s13, v30
	v_bfrev_b32_e32 v42, 1
	s_and_saveexec_b64 s[6:7], vcc
	s_cbranch_execz .LBB650_184
; %bb.181:                              ;   in Loop: Header=BB650_17 Depth=1
	v_bfe_u32 v28, v28, 24, 7
	v_cmp_ne_u32_e32 vcc, s14, v28
	v_mov_b32_e32 v42, 0x7f800001
	s_and_saveexec_b64 s[10:11], vcc
	s_cbranch_execz .LBB650_183
; %bb.182:                              ;   in Loop: Header=BB650_17 Depth=1
	v_and_b32_e32 v42, 7, v30
	v_ffbh_u32_e32 v52, v42
	v_min_u32_e32 v54, 32, v52
	v_subrev_u32_e32 v52, 28, v54
	v_lshlrev_b64 v[52:53], v52, v[30:31]
	v_lshrrev_b32_e32 v44, 3, v28
	v_sub_u32_e32 v53, 29, v54
	v_and_b32_e32 v52, 7, v52
	v_cmp_gt_u32_e32 vcc, 8, v28
	v_cndmask_b32_e32 v28, v44, v53, vcc
	v_cndmask_b32_e32 v42, v42, v52, vcc
	v_lshlrev_b32_e32 v30, 24, v30
	v_lshlrev_b32_e32 v42, 20, v42
	v_and_b32_e32 v30, 0x80000000, v30
	v_lshl_add_u32 v28, v28, 23, v38
	v_or3_b32 v42, v30, v28, v42
.LBB650_183:                            ;   in Loop: Header=BB650_17 Depth=1
	s_or_b64 exec, exec, s[10:11]
.LBB650_184:                            ;   in Loop: Header=BB650_17 Depth=1
	s_or_b64 exec, exec, s[6:7]
.LBB650_185:                            ;   in Loop: Header=BB650_17 Depth=1
	s_or_b64 exec, exec, s[4:5]
	s_waitcnt vmcnt(0)
	v_cmp_ne_u16_sdwa s[6:7], v26, v35 src0_sel:BYTE_0 src1_sel:DWORD
	s_and_saveexec_b64 s[4:5], s[6:7]
	s_cbranch_execz .LBB650_191
; %bb.186:                              ;   in Loop: Header=BB650_17 Depth=1
	v_cmp_ne_u16_sdwa s[10:11], v26, s13 src0_sel:BYTE_0 src1_sel:DWORD
	v_bfrev_b32_e32 v40, 1
	s_and_saveexec_b64 s[6:7], s[10:11]
	s_cbranch_execz .LBB650_190
; %bb.187:                              ;   in Loop: Header=BB650_17 Depth=1
	v_and_b32_e32 v28, 0x7f, v26
	v_cmp_ne_u32_e32 vcc, s14, v28
	v_mov_b32_e32 v40, 0x7f800001
	s_and_saveexec_b64 s[10:11], vcc
	s_cbranch_execz .LBB650_189
; %bb.188:                              ;   in Loop: Header=BB650_17 Depth=1
	v_and_b32_e32 v30, 7, v26
	v_ffbh_u32_e32 v44, v30
	v_min_u32_e32 v44, 32, v44
	v_subrev_u32_e32 v52, 28, v44
	v_lshlrev_b64 v[52:53], v52, v[26:27]
	v_lshrrev_b32_e32 v40, 3, v28
	v_sub_u32_e32 v44, 29, v44
	v_and_b32_e32 v52, 7, v52
	v_cmp_gt_u32_e32 vcc, 8, v28
	v_cndmask_b32_e32 v28, v40, v44, vcc
	v_cndmask_b32_e32 v30, v30, v52, vcc
	v_lshlrev_b32_e32 v40, 24, v26
	v_lshlrev_b32_e32 v30, 20, v30
	v_and_b32_e32 v40, 0x80000000, v40
	v_lshl_add_u32 v28, v28, 23, v38
	v_or3_b32 v40, v40, v28, v30
.LBB650_189:                            ;   in Loop: Header=BB650_17 Depth=1
	s_or_b64 exec, exec, s[10:11]
.LBB650_190:                            ;   in Loop: Header=BB650_17 Depth=1
	s_or_b64 exec, exec, s[6:7]
.LBB650_191:                            ;   in Loop: Header=BB650_17 Depth=1
	s_or_b64 exec, exec, s[4:5]
	v_lshrrev_b16_e32 v28, 8, v26
	v_cmp_ne_u16_e32 vcc, 0, v28
	v_mov_b32_e32 v30, 0
	v_mov_b32_e32 v44, 0
	s_and_saveexec_b64 s[4:5], vcc
	s_cbranch_execz .LBB650_197
; %bb.192:                              ;   in Loop: Header=BB650_17 Depth=1
	v_cmp_ne_u16_e32 vcc, s13, v28
	v_bfrev_b32_e32 v44, 1
	s_and_saveexec_b64 s[6:7], vcc
	s_cbranch_execz .LBB650_196
; %bb.193:                              ;   in Loop: Header=BB650_17 Depth=1
	v_and_b32_e32 v52, 0x7f, v28
	v_cmp_ne_u32_e32 vcc, s14, v52
	v_mov_b32_e32 v44, 0x7f800001
	s_and_saveexec_b64 s[10:11], vcc
	s_cbranch_execz .LBB650_195
; %bb.194:                              ;   in Loop: Header=BB650_17 Depth=1
	v_and_b32_e32 v44, 7, v28
	v_ffbh_u32_e32 v54, v44
	v_min_u32_e32 v56, 32, v54
	v_subrev_u32_e32 v54, 28, v56
	v_lshlrev_b64 v[54:55], v54, v[28:29]
	v_lshrrev_b32_e32 v53, 3, v52
	v_sub_u32_e32 v28, 29, v56
	v_and_b32_e32 v54, 7, v54
	v_cmp_gt_u32_e32 vcc, 8, v52
	v_cndmask_b32_e32 v28, v53, v28, vcc
	v_cndmask_b32_e32 v44, v44, v54, vcc
	v_lshlrev_b32_e32 v52, 16, v26
	v_lshlrev_b32_e32 v44, 20, v44
	v_and_b32_e32 v52, 0x80000000, v52
	v_lshl_add_u32 v28, v28, 23, v38
	v_or3_b32 v44, v52, v28, v44
.LBB650_195:                            ;   in Loop: Header=BB650_17 Depth=1
	s_or_b64 exec, exec, s[10:11]
.LBB650_196:                            ;   in Loop: Header=BB650_17 Depth=1
	s_or_b64 exec, exec, s[6:7]
.LBB650_197:                            ;   in Loop: Header=BB650_17 Depth=1
	s_or_b64 exec, exec, s[4:5]
	v_lshrrev_b32_e32 v28, 16, v26
	v_cmp_ne_u16_sdwa s[6:7], v28, v35 src0_sel:BYTE_0 src1_sel:DWORD
	s_and_saveexec_b64 s[4:5], s[6:7]
	s_cbranch_execz .LBB650_203
; %bb.198:                              ;   in Loop: Header=BB650_17 Depth=1
	v_cmp_ne_u16_sdwa s[10:11], v28, s13 src0_sel:BYTE_0 src1_sel:DWORD
	v_bfrev_b32_e32 v30, 1
	s_and_saveexec_b64 s[6:7], s[10:11]
	s_cbranch_execz .LBB650_202
; %bb.199:                              ;   in Loop: Header=BB650_17 Depth=1
	v_bfe_u32 v52, v26, 16, 7
	v_cmp_ne_u32_e32 vcc, s14, v52
	v_mov_b32_e32 v30, 0x7f800001
	s_and_saveexec_b64 s[10:11], vcc
	s_cbranch_execz .LBB650_201
; %bb.200:                              ;   in Loop: Header=BB650_17 Depth=1
	v_and_b32_e32 v30, 7, v28
	v_ffbh_u32_e32 v54, v30
	v_min_u32_e32 v56, 32, v54
	v_subrev_u32_e32 v54, 28, v56
	v_lshlrev_b64 v[54:55], v54, v[28:29]
	v_lshrrev_b32_e32 v53, 3, v52
	v_sub_u32_e32 v55, 29, v56
	v_and_b32_e32 v54, 7, v54
	v_cmp_gt_u32_e32 vcc, 8, v52
	v_cndmask_b32_e32 v52, v53, v55, vcc
	v_cndmask_b32_e32 v30, v30, v54, vcc
	v_lshlrev_b32_e32 v28, 24, v28
	v_lshlrev_b32_e32 v30, 20, v30
	v_and_b32_e32 v28, 0x80000000, v28
	v_lshl_add_u32 v52, v52, 23, v38
	v_or3_b32 v30, v28, v52, v30
.LBB650_201:                            ;   in Loop: Header=BB650_17 Depth=1
	s_or_b64 exec, exec, s[10:11]
.LBB650_202:                            ;   in Loop: Header=BB650_17 Depth=1
	s_or_b64 exec, exec, s[6:7]
.LBB650_203:                            ;   in Loop: Header=BB650_17 Depth=1
	s_or_b64 exec, exec, s[4:5]
	v_cmp_lt_u32_e32 vcc, s15, v26
	v_mov_b32_e32 v52, 0
	s_and_saveexec_b64 s[4:5], vcc
	s_cbranch_execz .LBB650_16
; %bb.204:                              ;   in Loop: Header=BB650_17 Depth=1
	v_lshrrev_b32_e32 v28, 24, v26
	v_cmp_ne_u32_e32 vcc, s13, v28
	v_bfrev_b32_e32 v52, 1
	s_and_saveexec_b64 s[6:7], vcc
	s_cbranch_execz .LBB650_15
; %bb.205:                              ;   in Loop: Header=BB650_17 Depth=1
	v_bfe_u32 v26, v26, 24, 7
	v_cmp_ne_u32_e32 vcc, s14, v26
	v_mov_b32_e32 v52, 0x7f800001
	s_and_saveexec_b64 s[10:11], vcc
	s_cbranch_execz .LBB650_14
; %bb.206:                              ;   in Loop: Header=BB650_17 Depth=1
	v_and_b32_e32 v54, 7, v28
	v_ffbh_u32_e32 v52, v54
	v_min_u32_e32 v56, 32, v52
	v_subrev_u32_e32 v52, 28, v56
	v_lshlrev_b64 v[52:53], v52, v[28:29]
	v_lshrrev_b32_e32 v55, 3, v26
	v_sub_u32_e32 v53, 29, v56
	v_and_b32_e32 v52, 7, v52
	v_cmp_gt_u32_e32 vcc, 8, v26
	v_cndmask_b32_e32 v26, v55, v53, vcc
	v_cndmask_b32_e32 v52, v54, v52, vcc
	v_lshlrev_b32_e32 v28, 24, v28
	v_lshlrev_b32_e32 v52, 20, v52
	v_and_b32_e32 v28, 0x80000000, v28
	v_lshl_add_u32 v26, v26, 23, v38
	v_or3_b32 v52, v28, v26, v52
	s_branch .LBB650_14
.LBB650_207:
	buffer_load_dword v17, off, s[0:3], 0 offset:256
	buffer_load_dword v16, off, s[0:3], 0 offset:260
	;; [unrolled: 1-line block ×16, first 2 shown]
	v_and_b32_e32 v18, 0xc0, v0
	v_add_u32_e32 v18, s20, v18
	v_lshl_or_b32 v18, v1, 2, v18
	v_or_b32_e32 v20, 1, v18
	v_subrev_u32_e32 v24, s33, v20
	v_add_u32_e32 v26, 1, v24
	v_cvt_f32_i32_e32 v25, v24
	v_add_u32_e32 v28, 2, v24
	v_add_u32_e32 v30, 3, v24
	;; [unrolled: 1-line block ×14, first 2 shown]
	v_cvt_f32_i32_e32 v26, v26
	v_cvt_f32_i32_e32 v28, v28
	;; [unrolled: 1-line block ×4, first 2 shown]
	v_mov_b32_e32 v19, 0xff7fffff
	v_or_b32_e32 v21, 2, v18
	v_or_b32_e32 v22, 3, v18
	v_cvt_f32_i32_e32 v32, v32
	v_cvt_f32_i32_e32 v34, v34
	v_cmp_gt_i32_e64 s[28:29], s33, v18
	v_cmp_gt_i32_e64 s[30:31], s33, v20
	s_mov_b32 s52, 0xff7fffff
	v_cmp_gt_i32_e64 s[34:35], s33, v21
	v_cmp_gt_i32_e64 s[36:37], s33, v22
	v_or_b32_e32 v23, 16, v18
	v_cvt_f32_i32_e32 v35, v35
	v_cvt_f32_i32_e32 v36, v36
	v_cmp_gt_i32_e64 s[24:25], s33, v23
	v_cvt_f32_i32_e32 v37, v37
	v_cvt_f32_i32_e32 v38, v38
	;; [unrolled: 1-line block ×7, first 2 shown]
	s_waitcnt vmcnt(15)
	v_fmac_f32_e32 v17, v31, v25
	s_waitcnt vmcnt(14)
	v_fmac_f32_e32 v16, v31, v26
	;; [unrolled: 2-line block ×4, first 2 shown]
	v_cndmask_b32_e64 v20, v19, v16, s[30:31]
	v_cndmask_b32_e64 v21, v19, v15, s[34:35]
	;; [unrolled: 1-line block ×3, first 2 shown]
	s_waitcnt vmcnt(11)
	v_fmac_f32_e32 v13, v31, v32
	s_waitcnt vmcnt(10)
	v_fmac_f32_e32 v12, v31, v34
	;; [unrolled: 2-line block ×9, first 2 shown]
	v_cndmask_b32_e64 v24, v19, v17, s[28:29]
	v_max3_f32 v20, v24, s52, v20
	v_max3_f32 v20, v20, v21, v22
	v_or_b32_e32 v22, 17, v18
	v_cmp_gt_i32_e64 s[38:39], s33, v22
	v_cndmask_b32_e64 v21, v19, v13, s[24:25]
	v_cndmask_b32_e64 v22, v19, v12, s[38:39]
	v_max3_f32 v20, v20, v21, v22
	v_or_b32_e32 v21, 18, v18
	v_or_b32_e32 v22, 19, v18
	v_cmp_gt_i32_e64 s[20:21], s33, v21
	v_cmp_gt_i32_e64 s[22:23], s33, v22
	v_cndmask_b32_e64 v21, v19, v11, s[20:21]
	v_cndmask_b32_e64 v22, v19, v10, s[22:23]
	v_max3_f32 v20, v20, v21, v22
	v_or_b32_e32 v21, 32, v18
	v_or_b32_e32 v22, 33, v18
	v_cmp_gt_i32_e64 s[16:17], s33, v21
	v_cmp_gt_i32_e64 s[18:19], s33, v22
	v_cndmask_b32_e64 v21, v19, v9, s[16:17]
	v_cndmask_b32_e64 v22, v19, v8, s[18:19]
	v_max3_f32 v20, v20, v21, v22
	v_or_b32_e32 v21, 34, v18
	v_or_b32_e32 v22, 35, v18
	v_cmp_gt_i32_e64 s[12:13], s33, v21
	v_cmp_gt_i32_e64 s[14:15], s33, v22
	v_cndmask_b32_e64 v21, v19, v7, s[12:13]
	v_cndmask_b32_e64 v22, v19, v6, s[14:15]
	v_max3_f32 v20, v20, v21, v22
	v_or_b32_e32 v21, 48, v18
	v_or_b32_e32 v22, 49, v18
	v_fmac_f32_e32 v5, v31, v44
	v_fmac_f32_e32 v4, v31, v52
	v_cmp_gt_i32_e64 s[6:7], s33, v21
	v_cmp_gt_i32_e64 s[10:11], s33, v22
	v_cndmask_b32_e64 v21, v19, v5, s[6:7]
	v_cndmask_b32_e64 v22, v19, v4, s[10:11]
	v_max3_f32 v20, v20, v21, v22
	v_or_b32_e32 v21, 50, v18
	v_or_b32_e32 v18, 51, v18
	v_fmac_f32_e32 v3, v31, v53
	v_cmp_gt_i32_e32 vcc, s33, v21
	v_cmp_gt_i32_e64 s[4:5], s33, v18
	v_cndmask_b32_e32 v21, v19, v3, vcc
	v_cndmask_b32_e64 v18, v19, v2, s[4:5]
	v_mbcnt_lo_u32_b32 v19, -1, 0
	v_mbcnt_hi_u32_b32 v19, -1, v19
	v_max3_f32 v18, v20, v21, v18
	v_and_b32_e32 v20, 64, v19
	v_add_u32_e32 v20, 64, v20
	v_xor_b32_e32 v21, 32, v19
	v_cmp_lt_i32_e64 s[40:41], v21, v20
	v_cndmask_b32_e64 v21, v19, v21, s[40:41]
	v_lshlrev_b32_e32 v21, 2, v21
	ds_bpermute_b32 v22, v21, v18
	s_waitcnt lgkmcnt(0)
	v_max_f32_e32 v22, v22, v22
	v_max_f32_e32 v18, v18, v22
	v_xor_b32_e32 v22, 16, v19
	v_cmp_lt_i32_e64 s[40:41], v22, v20
	v_cndmask_b32_e64 v19, v19, v22, s[40:41]
	v_lshlrev_b32_e32 v19, 2, v19
	ds_bpermute_b32 v20, v19, v18
	s_waitcnt lgkmcnt(0)
	v_max_f32_e32 v20, v20, v20
	v_max_f32_e32 v18, v18, v20
	v_sub_f32_e32 v17, v17, v18
	v_mul_f32_e32 v17, 0x3fb8aa3b, v17
	v_sub_f32_e32 v16, v16, v18
	v_exp_f32_e32 v17, v17
	v_mul_f32_e32 v16, 0x3fb8aa3b, v16
	v_sub_f32_e32 v15, v15, v18
	v_exp_f32_e32 v16, v16
	;; [unrolled: 3-line block ×4, first 2 shown]
	v_mul_f32_e32 v13, 0x3fb8aa3b, v13
	v_sub_f32_e32 v12, v12, v18
	v_cndmask_b32_e64 v17, 0, v17, s[28:29]
	v_exp_f32_e32 v13, v13
	v_mul_f32_e32 v12, 0x3fb8aa3b, v12
	v_sub_f32_e32 v11, v11, v18
	v_add_f32_e32 v20, 0, v17
	v_cndmask_b32_e64 v16, 0, v16, s[30:31]
	v_exp_f32_e32 v12, v12
	v_mul_f32_e32 v11, 0x3fb8aa3b, v11
	v_sub_f32_e32 v10, v10, v18
	v_add_f32_e32 v20, v20, v16
	;; [unrolled: 5-line block ×4, first 2 shown]
	v_cndmask_b32_e64 v13, 0, v13, s[24:25]
	v_exp_f32_e32 v9, v9
	v_mul_f32_e32 v8, 0x3fb8aa3b, v8
	v_sub_f32_e32 v7, v7, v18
	buffer_store_dword v17, off, s[0:3], 0 offset:256
	buffer_store_dword v16, off, s[0:3], 0 offset:260
	;; [unrolled: 1-line block ×4, first 2 shown]
	v_add_f32_e32 v14, v20, v13
	v_cndmask_b32_e64 v12, 0, v12, s[38:39]
	v_exp_f32_e32 v8, v8
	v_mul_f32_e32 v7, 0x3fb8aa3b, v7
	v_sub_f32_e32 v6, v6, v18
	v_add_f32_e32 v14, v14, v12
	v_cndmask_b32_e64 v11, 0, v11, s[20:21]
	v_exp_f32_e32 v7, v7
	v_mul_f32_e32 v6, 0x3fb8aa3b, v6
	v_sub_f32_e32 v5, v5, v18
	;; [unrolled: 5-line block ×4, first 2 shown]
	buffer_store_dword v13, off, s[0:3], 0 offset:272
	buffer_store_dword v12, off, s[0:3], 0 offset:276
	;; [unrolled: 1-line block ×4, first 2 shown]
	v_add_f32_e32 v10, v14, v9
	v_cndmask_b32_e64 v8, 0, v8, s[18:19]
	v_exp_f32_e32 v4, v4
	v_mul_f32_e32 v3, 0x3fb8aa3b, v3
	v_sub_f32_e32 v2, v2, v18
	v_add_f32_e32 v10, v10, v8
	v_cndmask_b32_e64 v7, 0, v7, s[12:13]
	v_exp_f32_e32 v3, v3
	v_mul_f32_e32 v2, 0x3fb8aa3b, v2
	v_add_f32_e32 v10, v10, v7
	v_cndmask_b32_e64 v6, 0, v6, s[14:15]
	v_exp_f32_e32 v2, v2
	v_add_f32_e32 v10, v10, v6
	v_cndmask_b32_e64 v5, 0, v5, s[6:7]
	buffer_store_dword v9, off, s[0:3], 0 offset:288
	buffer_store_dword v8, off, s[0:3], 0 offset:292
	;; [unrolled: 1-line block ×4, first 2 shown]
	v_add_f32_e32 v6, v10, v5
	v_cndmask_b32_e64 v4, 0, v4, s[10:11]
	v_add_f32_e32 v6, v6, v4
	v_cndmask_b32_e32 v3, 0, v3, vcc
	v_add_f32_e32 v6, v6, v3
	v_cndmask_b32_e64 v2, 0, v2, s[4:5]
	v_add_f32_e32 v6, v6, v2
	ds_bpermute_b32 v7, v21, v6
	buffer_store_dword v5, off, s[0:3], 0 offset:304
	buffer_store_dword v4, off, s[0:3], 0 offset:308
	;; [unrolled: 1-line block ×4, first 2 shown]
	v_cmp_gt_u32_e64 s[4:5], 16, v33
	s_waitcnt lgkmcnt(0)
	s_barrier
	v_add_f32_e32 v2, v6, v7
	ds_bpermute_b32 v3, v19, v2
	s_waitcnt lgkmcnt(0)
	s_and_saveexec_b64 s[6:7], s[4:5]
	s_cbranch_execz .LBB650_209
; %bb.208:
	v_add_f32_e32 v2, v2, v3
	v_lshlrev_b32_e32 v3, 2, v29
	ds_write2st64_b32 v3, v18, v2 offset1:1
.LBB650_209:
	s_or_b64 exec, exec, s[6:7]
	v_lshlrev_b32_e32 v2, 2, v41
	s_waitcnt lgkmcnt(0)
	s_barrier
	ds_read2_b32 v[12:13], v2 offset1:16
	ds_read2_b32 v[14:15], v2 offset0:32 offset1:48
	ds_read2_b32 v[6:7], v2 offset0:64 offset1:80
	;; [unrolled: 1-line block ×3, first 2 shown]
	s_waitcnt lgkmcnt(0)
	s_barrier
	buffer_load_dword v20, off, s[0:3], 0 offset:256
	buffer_load_dword v21, off, s[0:3], 0 offset:260
	;; [unrolled: 1-line block ×16, first 2 shown]
	v_lshlrev_b32_e32 v19, 3, v1
	v_lshlrev_b32_e32 v18, 5, v41
	;; [unrolled: 1-line block ×3, first 2 shown]
	v_or3_b32 v52, v26, v18, v19
	v_max3_f32 v19, v12, s52, v13
	v_max3_f32 v19, v19, v14, v15
	v_sub_f32_e32 v12, v12, v19
	v_sub_f32_e32 v13, v13, v19
	v_mul_f32_e32 v12, 0x3fb8aa3b, v12
	v_sub_f32_e32 v14, v14, v19
	v_mul_f32_e32 v13, 0x3fb8aa3b, v13
	v_exp_f32_e32 v12, v12
	v_sub_f32_e32 v15, v15, v19
	v_mul_f32_e32 v14, 0x3fb8aa3b, v14
	v_exp_f32_e32 v13, v13
	v_mul_f32_e32 v15, 0x3fb8aa3b, v15
	v_exp_f32_e32 v14, v14
	v_exp_f32_e32 v15, v15
	v_fma_f32 v6, v12, v6, 0
	v_fmac_f32_e32 v6, v13, v7
	v_fmac_f32_e32 v6, v14, v10
	;; [unrolled: 1-line block ×3, first 2 shown]
	v_cmp_eq_u32_e32 vcc, 1, v27
	v_add_f32_e32 v10, 0x358637bd, v6
	v_cndmask_b32_e32 v12, v12, v13, vcc
	v_cmp_eq_u32_e32 vcc, 2, v27
	v_div_scale_f32 v11, s[6:7], v10, v10, 1.0
	v_cndmask_b32_e32 v7, v12, v14, vcc
	v_rcp_f32_e32 v12, v11
	v_cmp_eq_u32_e32 vcc, 3, v27
	v_cndmask_b32_e32 v7, v7, v15, vcc
	v_div_scale_f32 v13, vcc, 1.0, v10, 1.0
	v_fma_f32 v14, -v11, v12, 1.0
	v_fmac_f32_e32 v12, v14, v12
	v_mul_f32_e32 v14, v13, v12
	v_fma_f32 v15, -v11, v14, v13
	v_fmac_f32_e32 v14, v15, v12
	v_fma_f32 v11, -v11, v14, v13
	v_div_fmas_f32 v11, v11, v12, v14
	v_div_fixup_f32 v10, v11, v10, 1.0
	v_mul_f32_e32 v10, v7, v10
	s_mul_i32 s20, s49, 13
	v_cmp_gt_u32_e32 vcc, 13, v0
	s_waitcnt vmcnt(14)
	v_pk_mul_f32 v[14:15], v[10:11], v[20:21] op_sel_hi:[0,1]
	v_cvt_f16_f32_e32 v7, v14
	s_waitcnt vmcnt(12)
	v_pk_mul_f32 v[12:13], v[10:11], v[22:23] op_sel_hi:[0,1]
	buffer_store_dword v14, off, s[0:3], 0 offset:256
	buffer_store_dword v15, off, s[0:3], 0 offset:260
	;; [unrolled: 1-line block ×3, first 2 shown]
	s_waitcnt vmcnt(13)
	v_pk_mul_f32 v[20:21], v[10:11], v[24:25] op_sel_hi:[0,1]
	v_cvt_f16_f32_e32 v14, v12
	s_waitcnt vmcnt(11)
	v_pk_mul_f32 v[22:23], v[10:11], v[28:29] op_sel_hi:[0,1]
	v_cvt_f16_f32_e32 v11, v15
	v_cvt_f16_f32_e32 v15, v13
	buffer_store_dword v13, off, s[0:3], 0 offset:268
	buffer_store_dword v22, off, s[0:3], 0 offset:272
	buffer_store_dword v23, off, s[0:3], 0 offset:276
	v_pack_b32_f16 v12, v7, v11
	v_cvt_f16_f32_e32 v11, v23
	v_pack_b32_f16 v13, v14, v15
	v_cvt_f16_f32_e32 v7, v22
	v_cvt_f16_f32_e32 v15, v20
	;; [unrolled: 1-line block ×3, first 2 shown]
	s_waitcnt vmcnt(12)
	v_pk_mul_f32 v[4:5], v[10:11], v[4:5] op_sel_hi:[0,1]
	v_pack_b32_f16 v14, v7, v11
	s_waitcnt vmcnt(10)
	v_pk_mul_f32 v[2:3], v[10:11], v[2:3] op_sel_hi:[0,1]
	v_pack_b32_f16 v15, v15, v22
	v_cvt_f16_f32_e32 v11, v5
	buffer_store_dword v20, off, s[0:3], 0 offset:280
	buffer_store_dword v21, off, s[0:3], 0 offset:284
	ds_write2st64_b64 v52, v[12:13], v[14:15] offset1:1
	buffer_store_dword v2, off, s[0:3], 0 offset:288
	buffer_store_dword v3, off, s[0:3], 0 offset:292
	v_cvt_f16_f32_e32 v2, v2
	v_cvt_f16_f32_e32 v3, v3
	;; [unrolled: 1-line block ×3, first 2 shown]
	buffer_store_dword v4, off, s[0:3], 0 offset:296
	buffer_store_dword v5, off, s[0:3], 0 offset:300
	s_waitcnt vmcnt(12)
	v_pk_mul_f32 v[4:5], v[10:11], v[16:17] op_sel_hi:[0,1]
	v_pk_mul_f32 v[8:9], v[10:11], v[8:9] op_sel_hi:[0,1]
	v_pack_b32_f16 v2, v2, v3
	v_pack_b32_f16 v3, v7, v11
	buffer_store_dword v8, off, s[0:3], 0 offset:304
	buffer_store_dword v9, off, s[0:3], 0 offset:308
	v_cvt_f16_f32_e32 v7, v8
	v_cvt_f16_f32_e32 v8, v9
	;; [unrolled: 1-line block ×4, first 2 shown]
	buffer_store_dword v4, off, s[0:3], 0 offset:312
	buffer_store_dword v5, off, s[0:3], 0 offset:316
	v_pack_b32_f16 v4, v7, v8
	v_pack_b32_f16 v5, v9, v10
	ds_write2st64_b64 v52, v[2:3], v[4:5] offset0:2 offset1:3
	s_and_saveexec_b64 s[6:7], vcc
	s_cbranch_execz .LBB650_211
; %bb.210:
	v_add_co_u32_e32 v4, vcc, s27, v41
	v_addc_co_u32_e64 v5, s[10:11], 0, 0, vcc
	v_mov_b32_e32 v2, s20
	v_mov_b32_e32 v3, 0
	v_mad_u64_u32 v[4:5], s[10:11], s8, v2, v[4:5]
	v_mov_b32_e32 v2, s26
	s_mul_i32 s9, s9, s20
	v_mad_u64_u32 v[2:3], s[10:11], v4, s48, v[2:3]
	v_add_u32_e32 v5, s9, v5
	v_mov_b32_e32 v4, v3
	v_mad_u64_u32 v[4:5], s[10:11], v5, s48, v[4:5]
	v_mov_b32_e32 v3, v4
	v_lshlrev_b64 v[2:3], 2, v[2:3]
	v_mov_b32_e32 v5, s47
	v_add_co_u32_e32 v4, vcc, s46, v2
	v_addc_co_u32_e32 v5, vcc, v5, v3, vcc
	global_store_dword v[4:5], v19, off
	v_mov_b32_e32 v4, s45
	v_add_co_u32_e32 v2, vcc, s44, v2
	v_addc_co_u32_e32 v3, vcc, v4, v3, vcc
	global_store_dword v[2:3], v6, off
.LBB650_211:
	s_or_b64 exec, exec, s[6:7]
	v_lshl_or_b32 v30, v1, 9, v18
	s_waitcnt lgkmcnt(0)
	s_barrier
	s_load_dword s6, s[42:43], 0x0
	ds_read_b128 v[2:5], v30
	ds_read_b128 v[6:9], v30 offset:16
	ds_read_b128 v[10:13], v30 offset:2048
	ds_read_b128 v[14:17], v30 offset:2064
	ds_read_b128 v[18:21], v30 offset:4096
	ds_read_b128 v[22:25], v30 offset:4112
	ds_read_b128 v[26:29], v30 offset:6144
	ds_read_b128 v[30:33], v30 offset:6160
	v_mov_b32_e32 v35, 0x80
	v_mov_b32_e32 v53, 0x140
	s_mov_b64 s[12:13], -1
	s_waitcnt lgkmcnt(0)
	s_mov_b32 s7, s6
	s_mov_b32 s10, s6
	;; [unrolled: 1-line block ×3, first 2 shown]
	s_movk_i32 s9, 0x80
	s_movk_i32 s21, 0x7f
	s_mov_b32 s22, 0xffffff
	v_mov_b32_e32 v54, 0
	v_bfrev_b32_e32 v55, 60
	s_branch .LBB650_215
.LBB650_212:                            ;   in Loop: Header=BB650_215 Depth=1
	s_or_b64 exec, exec, s[18:19]
.LBB650_213:                            ;   in Loop: Header=BB650_215 Depth=1
	s_or_b64 exec, exec, s[16:17]
.LBB650_214:                            ;   in Loop: Header=BB650_215 Depth=1
	s_or_b64 exec, exec, s[14:15]
	v_cvt_pkrtz_f16_f32 v60, v46, v50
	v_cvt_pkrtz_f16_f32 v61, v44, v56
	s_xor_b64 s[14:15], s[12:13], -1
	s_mov_b64 s[12:13], 0
	v_mov_b32_e32 v46, v47
	v_mfma_f32_16x16x16f16 v[60:63], v[60:61], v[30:31], v[34:37]
	v_mov_b32_e32 v50, v49
	s_and_b64 vcc, exec, s[14:15]
	s_nop 4
	v_cvt_pkrtz_f16_f32 v36, v51, v57
	v_cvt_pkrtz_f16_f32 v37, v42, v58
	v_mov_b32_e32 v35, v45
	v_mov_b32_e32 v51, v48
	v_mfma_f32_16x16x16f16 v[56:59], v[36:37], v[32:33], v[60:63]
	s_nop 7
	s_nop 2
	v_pk_mul_f32 v[56:57], v[56:57], s[6:7]
	v_pk_mul_f32 v[36:37], v[58:59], s[10:11]
	v_cvt_f16_f32_e32 v34, v56
	v_cvt_f16_f32_e32 v38, v57
	;; [unrolled: 1-line block ×4, first 2 shown]
	v_pack_b32_f16 v34, v34, v38
	v_pack_b32_f16 v36, v36, v37
	buffer_store_dword v34, v53, s[0:3], 0 offen
	buffer_store_dword v36, v53, s[0:3], 0 offen offset:4
	v_mov_b32_e32 v53, 0x148
	s_cbranch_vccnz .LBB650_597
.LBB650_215:                            ; =>This Inner Loop Header: Depth=1
	buffer_load_dword v36, v35, s[0:3], 0 offen
	buffer_load_dword v34, v35, s[0:3], 0 offen offset:4
	buffer_load_dword v40, v35, s[0:3], 0 offen offset:8
	;; [unrolled: 1-line block ×3, first 2 shown]
	v_mov_b32_e32 v35, 0
	s_waitcnt vmcnt(3)
	v_cmp_ne_u16_sdwa s[16:17], v36, v54 src0_sel:BYTE_0 src1_sel:DWORD
	s_and_saveexec_b64 s[14:15], s[16:17]
	s_cbranch_execz .LBB650_221
; %bb.216:                              ;   in Loop: Header=BB650_215 Depth=1
	v_cmp_ne_u16_sdwa s[18:19], v36, s9 src0_sel:BYTE_0 src1_sel:DWORD
	v_bfrev_b32_e32 v35, 1
	s_and_saveexec_b64 s[16:17], s[18:19]
	s_cbranch_execz .LBB650_220
; %bb.217:                              ;   in Loop: Header=BB650_215 Depth=1
	v_and_b32_e32 v37, 0x7f, v36
	v_cmp_ne_u32_e32 vcc, s21, v37
	v_mov_b32_e32 v35, 0x7f800001
	s_and_saveexec_b64 s[18:19], vcc
	s_cbranch_execz .LBB650_219
; %bb.218:                              ;   in Loop: Header=BB650_215 Depth=1
	v_and_b32_e32 v35, 7, v36
	v_ffbh_u32_e32 v44, v35
	v_min_u32_e32 v44, 32, v44
	v_subrev_u32_e32 v56, 28, v44
	v_lshlrev_b64 v[56:57], v56, v[36:37]
	v_lshrrev_b32_e32 v42, 3, v37
	v_sub_u32_e32 v44, 29, v44
	v_and_b32_e32 v56, 7, v56
	v_cmp_gt_u32_e32 vcc, 8, v37
	v_cndmask_b32_e32 v37, v42, v44, vcc
	v_cndmask_b32_e32 v35, v35, v56, vcc
	v_lshlrev_b32_e32 v42, 24, v36
	v_lshlrev_b32_e32 v35, 20, v35
	v_and_b32_e32 v42, 0x80000000, v42
	v_lshl_add_u32 v37, v37, 23, v55
	v_or3_b32 v35, v42, v37, v35
.LBB650_219:                            ;   in Loop: Header=BB650_215 Depth=1
	s_or_b64 exec, exec, s[18:19]
.LBB650_220:                            ;   in Loop: Header=BB650_215 Depth=1
	s_or_b64 exec, exec, s[16:17]
.LBB650_221:                            ;   in Loop: Header=BB650_215 Depth=1
	s_or_b64 exec, exec, s[14:15]
	v_lshrrev_b16_e32 v42, 8, v36
	v_cmp_ne_u16_e32 vcc, 0, v42
	v_mov_b32_e32 v37, 0
	s_and_saveexec_b64 s[14:15], vcc
	s_cbranch_execz .LBB650_227
; %bb.222:                              ;   in Loop: Header=BB650_215 Depth=1
	v_cmp_ne_u16_e32 vcc, s9, v42
	v_bfrev_b32_e32 v37, 1
	s_and_saveexec_b64 s[16:17], vcc
	s_cbranch_execz .LBB650_226
; %bb.223:                              ;   in Loop: Header=BB650_215 Depth=1
	v_and_b32_e32 v44, 0x7f, v42
	v_cmp_ne_u32_e32 vcc, s21, v44
	v_mov_b32_e32 v37, 0x7f800001
	s_and_saveexec_b64 s[18:19], vcc
	s_cbranch_execz .LBB650_225
; %bb.224:                              ;   in Loop: Header=BB650_215 Depth=1
	v_and_b32_e32 v37, 7, v42
	v_ffbh_u32_e32 v56, v37
	v_min_u32_e32 v59, 32, v56
	v_subrev_u32_e32 v56, 28, v59
	v_lshlrev_b64 v[56:57], v56, v[42:43]
	v_lshrrev_b32_e32 v58, 3, v44
	v_sub_u32_e32 v42, 29, v59
	v_and_b32_e32 v56, 7, v56
	v_cmp_gt_u32_e32 vcc, 8, v44
	v_cndmask_b32_e32 v42, v58, v42, vcc
	v_cndmask_b32_e32 v37, v37, v56, vcc
	v_lshlrev_b32_e32 v44, 16, v36
	v_lshlrev_b32_e32 v37, 20, v37
	v_and_b32_e32 v44, 0x80000000, v44
	v_lshl_add_u32 v42, v42, 23, v55
	v_or3_b32 v37, v44, v42, v37
.LBB650_225:                            ;   in Loop: Header=BB650_215 Depth=1
	s_or_b64 exec, exec, s[18:19]
.LBB650_226:                            ;   in Loop: Header=BB650_215 Depth=1
	s_or_b64 exec, exec, s[16:17]
.LBB650_227:                            ;   in Loop: Header=BB650_215 Depth=1
	s_or_b64 exec, exec, s[14:15]
	v_lshrrev_b32_e32 v42, 16, v36
	v_cmp_ne_u16_sdwa s[16:17], v42, v54 src0_sel:BYTE_0 src1_sel:DWORD
	v_mov_b32_e32 v56, 0
	v_mov_b32_e32 v44, 0
	s_and_saveexec_b64 s[14:15], s[16:17]
	s_cbranch_execz .LBB650_233
; %bb.228:                              ;   in Loop: Header=BB650_215 Depth=1
	v_cmp_ne_u16_sdwa s[18:19], v42, s9 src0_sel:BYTE_0 src1_sel:DWORD
	v_bfrev_b32_e32 v44, 1
	s_and_saveexec_b64 s[16:17], s[18:19]
	s_cbranch_execz .LBB650_232
; %bb.229:                              ;   in Loop: Header=BB650_215 Depth=1
	v_bfe_u32 v57, v36, 16, 7
	v_cmp_ne_u32_e32 vcc, s21, v57
	v_mov_b32_e32 v44, 0x7f800001
	s_and_saveexec_b64 s[18:19], vcc
	s_cbranch_execz .LBB650_231
; %bb.230:                              ;   in Loop: Header=BB650_215 Depth=1
	v_and_b32_e32 v44, 7, v42
	v_ffbh_u32_e32 v58, v44
	v_min_u32_e32 v61, 32, v58
	v_subrev_u32_e32 v58, 28, v61
	v_lshlrev_b64 v[58:59], v58, v[42:43]
	v_lshrrev_b32_e32 v60, 3, v57
	v_sub_u32_e32 v59, 29, v61
	v_and_b32_e32 v58, 7, v58
	v_cmp_gt_u32_e32 vcc, 8, v57
	v_cndmask_b32_e32 v57, v60, v59, vcc
	v_cndmask_b32_e32 v44, v44, v58, vcc
	v_lshlrev_b32_e32 v42, 24, v42
	v_lshlrev_b32_e32 v44, 20, v44
	v_and_b32_e32 v42, 0x80000000, v42
	v_lshl_add_u32 v57, v57, 23, v55
	v_or3_b32 v44, v42, v57, v44
.LBB650_231:                            ;   in Loop: Header=BB650_215 Depth=1
	s_or_b64 exec, exec, s[18:19]
.LBB650_232:                            ;   in Loop: Header=BB650_215 Depth=1
	s_or_b64 exec, exec, s[16:17]
.LBB650_233:                            ;   in Loop: Header=BB650_215 Depth=1
	s_or_b64 exec, exec, s[14:15]
	v_cmp_lt_u32_e32 vcc, s22, v36
	s_and_saveexec_b64 s[14:15], vcc
	s_cbranch_execz .LBB650_239
; %bb.234:                              ;   in Loop: Header=BB650_215 Depth=1
	v_lshrrev_b32_e32 v42, 24, v36
	v_cmp_ne_u32_e32 vcc, s9, v42
	v_bfrev_b32_e32 v56, 1
	s_and_saveexec_b64 s[16:17], vcc
	s_cbranch_execz .LBB650_238
; %bb.235:                              ;   in Loop: Header=BB650_215 Depth=1
	v_bfe_u32 v36, v36, 24, 7
	v_cmp_ne_u32_e32 vcc, s21, v36
	v_mov_b32_e32 v56, 0x7f800001
	s_and_saveexec_b64 s[18:19], vcc
	s_cbranch_execz .LBB650_237
; %bb.236:                              ;   in Loop: Header=BB650_215 Depth=1
	v_and_b32_e32 v58, 7, v42
	v_ffbh_u32_e32 v56, v58
	v_min_u32_e32 v60, 32, v56
	v_subrev_u32_e32 v56, 28, v60
	v_lshlrev_b64 v[56:57], v56, v[42:43]
	v_lshrrev_b32_e32 v59, 3, v36
	v_sub_u32_e32 v57, 29, v60
	v_and_b32_e32 v56, 7, v56
	v_cmp_gt_u32_e32 vcc, 8, v36
	v_cndmask_b32_e32 v36, v59, v57, vcc
	v_cndmask_b32_e32 v56, v58, v56, vcc
	v_lshlrev_b32_e32 v42, 24, v42
	v_lshlrev_b32_e32 v56, 20, v56
	v_and_b32_e32 v42, 0x80000000, v42
	v_lshl_add_u32 v36, v36, 23, v55
	v_or3_b32 v56, v42, v36, v56
.LBB650_237:                            ;   in Loop: Header=BB650_215 Depth=1
	s_or_b64 exec, exec, s[18:19]
.LBB650_238:                            ;   in Loop: Header=BB650_215 Depth=1
	s_or_b64 exec, exec, s[16:17]
.LBB650_239:                            ;   in Loop: Header=BB650_215 Depth=1
	s_or_b64 exec, exec, s[14:15]
	s_waitcnt vmcnt(2)
	v_cmp_ne_u16_sdwa s[16:17], v34, v54 src0_sel:BYTE_0 src1_sel:DWORD
	v_mov_b32_e32 v42, 0
	v_mov_b32_e32 v57, 0
	s_and_saveexec_b64 s[14:15], s[16:17]
	s_cbranch_execz .LBB650_245
; %bb.240:                              ;   in Loop: Header=BB650_215 Depth=1
	v_cmp_ne_u16_sdwa s[18:19], v34, s9 src0_sel:BYTE_0 src1_sel:DWORD
	v_bfrev_b32_e32 v57, 1
	s_and_saveexec_b64 s[16:17], s[18:19]
	s_cbranch_execz .LBB650_244
; %bb.241:                              ;   in Loop: Header=BB650_215 Depth=1
	v_and_b32_e32 v36, 0x7f, v34
	v_cmp_ne_u32_e32 vcc, s21, v36
	v_mov_b32_e32 v57, 0x7f800001
	s_and_saveexec_b64 s[18:19], vcc
	s_cbranch_execz .LBB650_243
; %bb.242:                              ;   in Loop: Header=BB650_215 Depth=1
	v_and_b32_e32 v57, 7, v34
	v_ffbh_u32_e32 v58, v57
	v_min_u32_e32 v61, 32, v58
	v_subrev_u32_e32 v58, 28, v61
	v_lshlrev_b64 v[58:59], v58, v[34:35]
	v_lshrrev_b32_e32 v60, 3, v36
	v_sub_u32_e32 v59, 29, v61
	v_and_b32_e32 v58, 7, v58
	v_cmp_gt_u32_e32 vcc, 8, v36
	v_cndmask_b32_e32 v36, v60, v59, vcc
	v_cndmask_b32_e32 v57, v57, v58, vcc
	v_lshlrev_b32_e32 v58, 24, v34
	v_lshlrev_b32_e32 v57, 20, v57
	v_and_b32_e32 v58, 0x80000000, v58
	v_lshl_add_u32 v36, v36, 23, v55
	v_or3_b32 v57, v58, v36, v57
.LBB650_243:                            ;   in Loop: Header=BB650_215 Depth=1
	s_or_b64 exec, exec, s[18:19]
.LBB650_244:                            ;   in Loop: Header=BB650_215 Depth=1
	s_or_b64 exec, exec, s[16:17]
.LBB650_245:                            ;   in Loop: Header=BB650_215 Depth=1
	s_or_b64 exec, exec, s[14:15]
	v_lshrrev_b16_e32 v36, 8, v34
	v_cmp_ne_u16_e32 vcc, 0, v36
	s_and_saveexec_b64 s[14:15], vcc
	s_cbranch_execz .LBB650_251
; %bb.246:                              ;   in Loop: Header=BB650_215 Depth=1
	v_cmp_ne_u16_e32 vcc, s9, v36
	v_bfrev_b32_e32 v42, 1
	s_and_saveexec_b64 s[16:17], vcc
	s_cbranch_execz .LBB650_250
; %bb.247:                              ;   in Loop: Header=BB650_215 Depth=1
	v_and_b32_e32 v58, 0x7f, v36
	v_cmp_ne_u32_e32 vcc, s21, v58
	v_mov_b32_e32 v42, 0x7f800001
	s_and_saveexec_b64 s[18:19], vcc
	s_cbranch_execz .LBB650_249
; %bb.248:                              ;   in Loop: Header=BB650_215 Depth=1
	v_and_b32_e32 v42, 7, v36
	v_ffbh_u32_e32 v60, v42
	v_min_u32_e32 v62, 32, v60
	v_subrev_u32_e32 v60, 28, v62
	v_lshlrev_b64 v[60:61], v60, v[36:37]
	v_lshrrev_b32_e32 v59, 3, v58
	v_sub_u32_e32 v36, 29, v62
	v_and_b32_e32 v60, 7, v60
	v_cmp_gt_u32_e32 vcc, 8, v58
	v_cndmask_b32_e32 v36, v59, v36, vcc
	v_cndmask_b32_e32 v42, v42, v60, vcc
	v_lshlrev_b32_e32 v58, 16, v34
	v_lshlrev_b32_e32 v42, 20, v42
	v_and_b32_e32 v58, 0x80000000, v58
	v_lshl_add_u32 v36, v36, 23, v55
	v_or3_b32 v42, v58, v36, v42
.LBB650_249:                            ;   in Loop: Header=BB650_215 Depth=1
	s_or_b64 exec, exec, s[18:19]
.LBB650_250:                            ;   in Loop: Header=BB650_215 Depth=1
	s_or_b64 exec, exec, s[16:17]
.LBB650_251:                            ;   in Loop: Header=BB650_215 Depth=1
	s_or_b64 exec, exec, s[14:15]
	v_lshrrev_b32_e32 v36, 16, v34
	v_cmp_ne_u16_sdwa s[16:17], v36, v54 src0_sel:BYTE_0 src1_sel:DWORD
	v_mov_b32_e32 v59, 0
	v_mov_b32_e32 v58, 0
	s_and_saveexec_b64 s[14:15], s[16:17]
	s_cbranch_execz .LBB650_257
; %bb.252:                              ;   in Loop: Header=BB650_215 Depth=1
	v_cmp_ne_u16_sdwa s[18:19], v36, s9 src0_sel:BYTE_0 src1_sel:DWORD
	v_bfrev_b32_e32 v58, 1
	s_and_saveexec_b64 s[16:17], s[18:19]
	s_cbranch_execz .LBB650_256
; %bb.253:                              ;   in Loop: Header=BB650_215 Depth=1
	v_bfe_u32 v60, v34, 16, 7
	v_cmp_ne_u32_e32 vcc, s21, v60
	v_mov_b32_e32 v58, 0x7f800001
	s_and_saveexec_b64 s[18:19], vcc
	s_cbranch_execz .LBB650_255
; %bb.254:                              ;   in Loop: Header=BB650_215 Depth=1
	v_and_b32_e32 v58, 7, v36
	v_ffbh_u32_e32 v62, v58
	v_min_u32_e32 v64, 32, v62
	v_subrev_u32_e32 v62, 28, v64
	v_lshlrev_b64 v[62:63], v62, v[36:37]
	v_lshrrev_b32_e32 v61, 3, v60
	v_sub_u32_e32 v63, 29, v64
	v_and_b32_e32 v62, 7, v62
	v_cmp_gt_u32_e32 vcc, 8, v60
	v_cndmask_b32_e32 v60, v61, v63, vcc
	v_cndmask_b32_e32 v58, v58, v62, vcc
	v_lshlrev_b32_e32 v36, 24, v36
	v_lshlrev_b32_e32 v58, 20, v58
	v_and_b32_e32 v36, 0x80000000, v36
	v_lshl_add_u32 v60, v60, 23, v55
	v_or3_b32 v58, v36, v60, v58
.LBB650_255:                            ;   in Loop: Header=BB650_215 Depth=1
	s_or_b64 exec, exec, s[18:19]
.LBB650_256:                            ;   in Loop: Header=BB650_215 Depth=1
	s_or_b64 exec, exec, s[16:17]
.LBB650_257:                            ;   in Loop: Header=BB650_215 Depth=1
	s_or_b64 exec, exec, s[14:15]
	v_cmp_lt_u32_e32 vcc, s22, v34
	s_and_saveexec_b64 s[14:15], vcc
	s_cbranch_execz .LBB650_263
; %bb.258:                              ;   in Loop: Header=BB650_215 Depth=1
	v_lshrrev_b32_e32 v36, 24, v34
	v_cmp_ne_u32_e32 vcc, s9, v36
	v_bfrev_b32_e32 v59, 1
	s_and_saveexec_b64 s[16:17], vcc
	s_cbranch_execz .LBB650_262
; %bb.259:                              ;   in Loop: Header=BB650_215 Depth=1
	v_bfe_u32 v34, v34, 24, 7
	v_cmp_ne_u32_e32 vcc, s21, v34
	v_mov_b32_e32 v59, 0x7f800001
	s_and_saveexec_b64 s[18:19], vcc
	s_cbranch_execz .LBB650_261
; %bb.260:                              ;   in Loop: Header=BB650_215 Depth=1
	v_and_b32_e32 v59, 7, v36
	v_ffbh_u32_e32 v60, v59
	v_min_u32_e32 v63, 32, v60
	v_subrev_u32_e32 v60, 28, v63
	v_lshlrev_b64 v[60:61], v60, v[36:37]
	v_lshrrev_b32_e32 v62, 3, v34
	v_sub_u32_e32 v61, 29, v63
	v_and_b32_e32 v60, 7, v60
	v_cmp_gt_u32_e32 vcc, 8, v34
	v_cndmask_b32_e32 v34, v62, v61, vcc
	v_cndmask_b32_e32 v59, v59, v60, vcc
	v_lshlrev_b32_e32 v36, 24, v36
	v_lshlrev_b32_e32 v59, 20, v59
	v_and_b32_e32 v36, 0x80000000, v36
	v_lshl_add_u32 v34, v34, 23, v55
	v_or3_b32 v59, v36, v34, v59
.LBB650_261:                            ;   in Loop: Header=BB650_215 Depth=1
	s_or_b64 exec, exec, s[18:19]
.LBB650_262:                            ;   in Loop: Header=BB650_215 Depth=1
	s_or_b64 exec, exec, s[16:17]
.LBB650_263:                            ;   in Loop: Header=BB650_215 Depth=1
	s_or_b64 exec, exec, s[14:15]
	v_cvt_pkrtz_f16_f32 v34, v35, v37
	v_cvt_pkrtz_f16_f32 v35, v44, v56
	;; [unrolled: 1-line block ×4, first 2 shown]
	v_mov_b32_e32 v44, 0
	v_mfma_f32_16x16x16f16 v[34:37], v[34:35], v[2:3], 0
	s_waitcnt vmcnt(1)
	v_cmp_ne_u16_sdwa s[16:17], v40, v54 src0_sel:BYTE_0 src1_sel:DWORD
	v_mov_b32_e32 v57, 0
	v_mfma_f32_16x16x16f16 v[34:37], v[60:61], v[4:5], v[34:37]
	s_and_saveexec_b64 s[14:15], s[16:17]
	s_cbranch_execz .LBB650_269
; %bb.264:                              ;   in Loop: Header=BB650_215 Depth=1
	v_cmp_ne_u16_sdwa s[18:19], v40, s9 src0_sel:BYTE_0 src1_sel:DWORD
	v_bfrev_b32_e32 v57, 1
	s_and_saveexec_b64 s[16:17], s[18:19]
	s_cbranch_execz .LBB650_268
; %bb.265:                              ;   in Loop: Header=BB650_215 Depth=1
	v_and_b32_e32 v42, 0x7f, v40
	v_cmp_ne_u32_e32 vcc, s21, v42
	v_mov_b32_e32 v57, 0x7f800001
	s_and_saveexec_b64 s[18:19], vcc
	s_cbranch_execz .LBB650_267
; %bb.266:                              ;   in Loop: Header=BB650_215 Depth=1
	v_and_b32_e32 v58, 7, v40
	v_ffbh_u32_e32 v56, v58
	v_min_u32_e32 v60, 32, v56
	v_subrev_u32_e32 v56, 28, v60
	v_lshlrev_b64 v[56:57], v56, v[40:41]
	v_lshrrev_b32_e32 v59, 3, v42
	v_sub_u32_e32 v57, 29, v60
	v_and_b32_e32 v56, 7, v56
	v_cmp_gt_u32_e32 vcc, 8, v42
	v_cndmask_b32_e32 v42, v59, v57, vcc
	v_cndmask_b32_e32 v56, v58, v56, vcc
	v_lshlrev_b32_e32 v57, 24, v40
	v_lshlrev_b32_e32 v56, 20, v56
	v_and_b32_e32 v57, 0x80000000, v57
	v_lshl_add_u32 v42, v42, 23, v55
	v_or3_b32 v57, v57, v42, v56
.LBB650_267:                            ;   in Loop: Header=BB650_215 Depth=1
	s_or_b64 exec, exec, s[18:19]
.LBB650_268:                            ;   in Loop: Header=BB650_215 Depth=1
	s_or_b64 exec, exec, s[16:17]
.LBB650_269:                            ;   in Loop: Header=BB650_215 Depth=1
	s_or_b64 exec, exec, s[14:15]
	v_lshrrev_b16_e32 v42, 8, v40
	v_cmp_ne_u16_e32 vcc, 0, v42
	v_mov_b32_e32 v58, 0
	s_and_saveexec_b64 s[14:15], vcc
	s_cbranch_execz .LBB650_275
; %bb.270:                              ;   in Loop: Header=BB650_215 Depth=1
	v_cmp_ne_u16_e32 vcc, s9, v42
	v_bfrev_b32_e32 v58, 1
	s_and_saveexec_b64 s[16:17], vcc
	s_cbranch_execz .LBB650_274
; %bb.271:                              ;   in Loop: Header=BB650_215 Depth=1
	v_and_b32_e32 v56, 0x7f, v42
	v_cmp_ne_u32_e32 vcc, s21, v56
	v_mov_b32_e32 v58, 0x7f800001
	s_and_saveexec_b64 s[18:19], vcc
	s_cbranch_execz .LBB650_273
; %bb.272:                              ;   in Loop: Header=BB650_215 Depth=1
	v_and_b32_e32 v60, 7, v42
	v_ffbh_u32_e32 v58, v60
	v_min_u32_e32 v62, 32, v58
	v_subrev_u32_e32 v58, 28, v62
	v_lshlrev_b64 v[58:59], v58, v[42:43]
	v_lshrrev_b32_e32 v61, 3, v56
	v_sub_u32_e32 v42, 29, v62
	v_and_b32_e32 v58, 7, v58
	v_cmp_gt_u32_e32 vcc, 8, v56
	v_cndmask_b32_e32 v42, v61, v42, vcc
	v_cndmask_b32_e32 v56, v60, v58, vcc
	v_lshlrev_b32_e32 v58, 16, v40
	v_lshlrev_b32_e32 v56, 20, v56
	v_and_b32_e32 v58, 0x80000000, v58
	v_lshl_add_u32 v42, v42, 23, v55
	v_or3_b32 v58, v58, v42, v56
.LBB650_273:                            ;   in Loop: Header=BB650_215 Depth=1
	s_or_b64 exec, exec, s[18:19]
.LBB650_274:                            ;   in Loop: Header=BB650_215 Depth=1
	s_or_b64 exec, exec, s[16:17]
.LBB650_275:                            ;   in Loop: Header=BB650_215 Depth=1
	s_or_b64 exec, exec, s[14:15]
	v_lshrrev_b32_e32 v42, 16, v40
	v_cmp_ne_u16_sdwa s[16:17], v42, v54 src0_sel:BYTE_0 src1_sel:DWORD
	s_and_saveexec_b64 s[14:15], s[16:17]
	s_cbranch_execz .LBB650_281
; %bb.276:                              ;   in Loop: Header=BB650_215 Depth=1
	v_cmp_ne_u16_sdwa s[18:19], v42, s9 src0_sel:BYTE_0 src1_sel:DWORD
	v_bfrev_b32_e32 v44, 1
	s_and_saveexec_b64 s[16:17], s[18:19]
	s_cbranch_execz .LBB650_280
; %bb.277:                              ;   in Loop: Header=BB650_215 Depth=1
	v_bfe_u32 v56, v40, 16, 7
	v_cmp_ne_u32_e32 vcc, s21, v56
	v_mov_b32_e32 v44, 0x7f800001
	s_and_saveexec_b64 s[18:19], vcc
	s_cbranch_execz .LBB650_279
; %bb.278:                              ;   in Loop: Header=BB650_215 Depth=1
	v_and_b32_e32 v44, 7, v42
	v_ffbh_u32_e32 v60, v44
	v_min_u32_e32 v62, 32, v60
	v_subrev_u32_e32 v60, 28, v62
	v_lshlrev_b64 v[60:61], v60, v[42:43]
	v_lshrrev_b32_e32 v59, 3, v56
	v_sub_u32_e32 v61, 29, v62
	v_and_b32_e32 v60, 7, v60
	v_cmp_gt_u32_e32 vcc, 8, v56
	v_cndmask_b32_e32 v56, v59, v61, vcc
	v_cndmask_b32_e32 v44, v44, v60, vcc
	v_lshlrev_b32_e32 v42, 24, v42
	v_lshlrev_b32_e32 v44, 20, v44
	v_and_b32_e32 v42, 0x80000000, v42
	v_lshl_add_u32 v56, v56, 23, v55
	v_or3_b32 v44, v42, v56, v44
.LBB650_279:                            ;   in Loop: Header=BB650_215 Depth=1
	s_or_b64 exec, exec, s[18:19]
.LBB650_280:                            ;   in Loop: Header=BB650_215 Depth=1
	s_or_b64 exec, exec, s[16:17]
.LBB650_281:                            ;   in Loop: Header=BB650_215 Depth=1
	s_or_b64 exec, exec, s[14:15]
	v_cmp_lt_u32_e32 vcc, s22, v40
	v_mov_b32_e32 v59, 0
	v_mov_b32_e32 v60, 0
	s_and_saveexec_b64 s[14:15], vcc
	s_cbranch_execz .LBB650_287
; %bb.282:                              ;   in Loop: Header=BB650_215 Depth=1
	v_lshrrev_b32_e32 v42, 24, v40
	v_cmp_ne_u32_e32 vcc, s9, v42
	v_bfrev_b32_e32 v60, 1
	s_and_saveexec_b64 s[16:17], vcc
	s_cbranch_execz .LBB650_286
; %bb.283:                              ;   in Loop: Header=BB650_215 Depth=1
	v_bfe_u32 v40, v40, 24, 7
	v_cmp_ne_u32_e32 vcc, s21, v40
	v_mov_b32_e32 v60, 0x7f800001
	s_and_saveexec_b64 s[18:19], vcc
	s_cbranch_execz .LBB650_285
; %bb.284:                              ;   in Loop: Header=BB650_215 Depth=1
	v_and_b32_e32 v56, 7, v42
	v_ffbh_u32_e32 v60, v56
	v_min_u32_e32 v63, 32, v60
	v_subrev_u32_e32 v60, 28, v63
	v_lshlrev_b64 v[60:61], v60, v[42:43]
	v_lshrrev_b32_e32 v62, 3, v40
	v_sub_u32_e32 v61, 29, v63
	v_and_b32_e32 v60, 7, v60
	v_cmp_gt_u32_e32 vcc, 8, v40
	v_cndmask_b32_e32 v40, v62, v61, vcc
	v_cndmask_b32_e32 v56, v56, v60, vcc
	v_lshlrev_b32_e32 v42, 24, v42
	v_lshlrev_b32_e32 v56, 20, v56
	v_and_b32_e32 v42, 0x80000000, v42
	v_lshl_add_u32 v40, v40, 23, v55
	v_or3_b32 v60, v42, v40, v56
.LBB650_285:                            ;   in Loop: Header=BB650_215 Depth=1
	s_or_b64 exec, exec, s[18:19]
.LBB650_286:                            ;   in Loop: Header=BB650_215 Depth=1
	s_or_b64 exec, exec, s[16:17]
.LBB650_287:                            ;   in Loop: Header=BB650_215 Depth=1
	s_or_b64 exec, exec, s[14:15]
	s_waitcnt vmcnt(0)
	v_cmp_ne_u16_sdwa s[16:17], v38, v54 src0_sel:BYTE_0 src1_sel:DWORD
	s_and_saveexec_b64 s[14:15], s[16:17]
	s_cbranch_execz .LBB650_293
; %bb.288:                              ;   in Loop: Header=BB650_215 Depth=1
	v_cmp_ne_u16_sdwa s[18:19], v38, s9 src0_sel:BYTE_0 src1_sel:DWORD
	v_bfrev_b32_e32 v59, 1
	s_and_saveexec_b64 s[16:17], s[18:19]
	s_cbranch_execz .LBB650_292
; %bb.289:                              ;   in Loop: Header=BB650_215 Depth=1
	v_and_b32_e32 v40, 0x7f, v38
	v_cmp_ne_u32_e32 vcc, s21, v40
	v_mov_b32_e32 v59, 0x7f800001
	s_and_saveexec_b64 s[18:19], vcc
	s_cbranch_execz .LBB650_291
; %bb.290:                              ;   in Loop: Header=BB650_215 Depth=1
	v_and_b32_e32 v42, 7, v38
	v_ffbh_u32_e32 v59, v42
	v_min_u32_e32 v59, 32, v59
	v_subrev_u32_e32 v61, 28, v59
	v_lshlrev_b64 v[62:63], v61, v[38:39]
	v_lshrrev_b32_e32 v56, 3, v40
	v_sub_u32_e32 v59, 29, v59
	v_and_b32_e32 v61, 7, v62
	v_cmp_gt_u32_e32 vcc, 8, v40
	v_cndmask_b32_e32 v40, v56, v59, vcc
	v_cndmask_b32_e32 v42, v42, v61, vcc
	v_lshlrev_b32_e32 v56, 24, v38
	v_lshlrev_b32_e32 v42, 20, v42
	v_and_b32_e32 v56, 0x80000000, v56
	v_lshl_add_u32 v40, v40, 23, v55
	v_or3_b32 v59, v56, v40, v42
.LBB650_291:                            ;   in Loop: Header=BB650_215 Depth=1
	s_or_b64 exec, exec, s[18:19]
.LBB650_292:                            ;   in Loop: Header=BB650_215 Depth=1
	s_or_b64 exec, exec, s[16:17]
.LBB650_293:                            ;   in Loop: Header=BB650_215 Depth=1
	s_or_b64 exec, exec, s[14:15]
	v_lshrrev_b16_e32 v40, 8, v38
	v_cmp_ne_u16_e32 vcc, 0, v40
	v_mov_b32_e32 v61, 0
	v_mov_b32_e32 v62, 0
	s_and_saveexec_b64 s[14:15], vcc
	s_cbranch_execz .LBB650_299
; %bb.294:                              ;   in Loop: Header=BB650_215 Depth=1
	v_cmp_ne_u16_e32 vcc, s9, v40
	v_bfrev_b32_e32 v62, 1
	s_and_saveexec_b64 s[16:17], vcc
	s_cbranch_execz .LBB650_298
; %bb.295:                              ;   in Loop: Header=BB650_215 Depth=1
	v_and_b32_e32 v42, 0x7f, v40
	v_cmp_ne_u32_e32 vcc, s21, v42
	v_mov_b32_e32 v62, 0x7f800001
	s_and_saveexec_b64 s[18:19], vcc
	s_cbranch_execz .LBB650_297
; %bb.296:                              ;   in Loop: Header=BB650_215 Depth=1
	v_and_b32_e32 v56, 7, v40
	v_ffbh_u32_e32 v62, v56
	v_min_u32_e32 v65, 32, v62
	v_subrev_u32_e32 v62, 28, v65
	v_lshlrev_b64 v[62:63], v62, v[40:41]
	v_lshrrev_b32_e32 v64, 3, v42
	v_sub_u32_e32 v40, 29, v65
	v_and_b32_e32 v62, 7, v62
	v_cmp_gt_u32_e32 vcc, 8, v42
	v_cndmask_b32_e32 v40, v64, v40, vcc
	v_cndmask_b32_e32 v42, v56, v62, vcc
	v_lshlrev_b32_e32 v56, 16, v38
	v_lshlrev_b32_e32 v42, 20, v42
	v_and_b32_e32 v56, 0x80000000, v56
	v_lshl_add_u32 v40, v40, 23, v55
	v_or3_b32 v62, v56, v40, v42
.LBB650_297:                            ;   in Loop: Header=BB650_215 Depth=1
	s_or_b64 exec, exec, s[18:19]
.LBB650_298:                            ;   in Loop: Header=BB650_215 Depth=1
	s_or_b64 exec, exec, s[16:17]
.LBB650_299:                            ;   in Loop: Header=BB650_215 Depth=1
	s_or_b64 exec, exec, s[14:15]
	v_lshrrev_b32_e32 v40, 16, v38
	v_cmp_ne_u16_sdwa s[16:17], v40, v54 src0_sel:BYTE_0 src1_sel:DWORD
	s_and_saveexec_b64 s[14:15], s[16:17]
	s_cbranch_execz .LBB650_305
; %bb.300:                              ;   in Loop: Header=BB650_215 Depth=1
	v_cmp_ne_u16_sdwa s[18:19], v40, s9 src0_sel:BYTE_0 src1_sel:DWORD
	v_bfrev_b32_e32 v61, 1
	s_and_saveexec_b64 s[16:17], s[18:19]
	s_cbranch_execz .LBB650_304
; %bb.301:                              ;   in Loop: Header=BB650_215 Depth=1
	v_bfe_u32 v42, v38, 16, 7
	v_cmp_ne_u32_e32 vcc, s21, v42
	v_mov_b32_e32 v61, 0x7f800001
	s_and_saveexec_b64 s[18:19], vcc
	s_cbranch_execz .LBB650_303
; %bb.302:                              ;   in Loop: Header=BB650_215 Depth=1
	v_and_b32_e32 v56, 7, v40
	v_ffbh_u32_e32 v63, v56
	v_min_u32_e32 v63, 32, v63
	v_subrev_u32_e32 v64, 28, v63
	v_lshlrev_b64 v[64:65], v64, v[40:41]
	v_lshrrev_b32_e32 v61, 3, v42
	v_sub_u32_e32 v63, 29, v63
	v_and_b32_e32 v64, 7, v64
	v_cmp_gt_u32_e32 vcc, 8, v42
	v_cndmask_b32_e32 v42, v61, v63, vcc
	v_cndmask_b32_e32 v56, v56, v64, vcc
	v_lshlrev_b32_e32 v40, 24, v40
	v_lshlrev_b32_e32 v56, 20, v56
	v_and_b32_e32 v40, 0x80000000, v40
	v_lshl_add_u32 v42, v42, 23, v55
	v_or3_b32 v61, v40, v42, v56
.LBB650_303:                            ;   in Loop: Header=BB650_215 Depth=1
	s_or_b64 exec, exec, s[18:19]
.LBB650_304:                            ;   in Loop: Header=BB650_215 Depth=1
	s_or_b64 exec, exec, s[16:17]
.LBB650_305:                            ;   in Loop: Header=BB650_215 Depth=1
	s_or_b64 exec, exec, s[14:15]
	v_cmp_lt_u32_e32 vcc, s22, v38
	v_mov_b32_e32 v56, 0
	v_mov_b32_e32 v63, 0
	s_and_saveexec_b64 s[14:15], vcc
	s_cbranch_execz .LBB650_311
; %bb.306:                              ;   in Loop: Header=BB650_215 Depth=1
	v_lshrrev_b32_e32 v40, 24, v38
	v_cmp_ne_u32_e32 vcc, s9, v40
	v_bfrev_b32_e32 v63, 1
	s_and_saveexec_b64 s[16:17], vcc
	s_cbranch_execz .LBB650_310
; %bb.307:                              ;   in Loop: Header=BB650_215 Depth=1
	v_bfe_u32 v38, v38, 24, 7
	v_cmp_ne_u32_e32 vcc, s21, v38
	v_mov_b32_e32 v63, 0x7f800001
	s_and_saveexec_b64 s[18:19], vcc
	s_cbranch_execz .LBB650_309
; %bb.308:                              ;   in Loop: Header=BB650_215 Depth=1
	v_and_b32_e32 v42, 7, v40
	v_ffbh_u32_e32 v64, v42
	v_min_u32_e32 v66, 32, v64
	v_subrev_u32_e32 v64, 28, v66
	v_lshlrev_b64 v[64:65], v64, v[40:41]
	v_lshrrev_b32_e32 v63, 3, v38
	v_sub_u32_e32 v65, 29, v66
	v_and_b32_e32 v64, 7, v64
	v_cmp_gt_u32_e32 vcc, 8, v38
	v_cndmask_b32_e32 v38, v63, v65, vcc
	v_cndmask_b32_e32 v42, v42, v64, vcc
	v_lshlrev_b32_e32 v40, 24, v40
	v_lshlrev_b32_e32 v42, 20, v42
	v_and_b32_e32 v40, 0x80000000, v40
	v_lshl_add_u32 v38, v38, 23, v55
	v_or3_b32 v63, v40, v38, v42
.LBB650_309:                            ;   in Loop: Header=BB650_215 Depth=1
	s_or_b64 exec, exec, s[18:19]
.LBB650_310:                            ;   in Loop: Header=BB650_215 Depth=1
	s_or_b64 exec, exec, s[16:17]
.LBB650_311:                            ;   in Loop: Header=BB650_215 Depth=1
	s_or_b64 exec, exec, s[14:15]
	v_cvt_pkrtz_f16_f32 v65, v44, v60
	buffer_load_dword v44, v46, s[0:3], 0 offen
	buffer_load_dword v42, v46, s[0:3], 0 offen offset:4
	buffer_load_dword v40, v46, s[0:3], 0 offen offset:8
	;; [unrolled: 1-line block ×3, first 2 shown]
	v_cvt_pkrtz_f16_f32 v64, v57, v58
	v_cvt_pkrtz_f16_f32 v58, v59, v62
	;; [unrolled: 1-line block ×3, first 2 shown]
	v_mfma_f32_16x16x16f16 v[34:37], v[64:65], v[6:7], v[34:37]
	s_waitcnt vmcnt(3)
	v_cmp_ne_u16_sdwa s[16:17], v44, v54 src0_sel:BYTE_0 src1_sel:DWORD
	v_mfma_f32_16x16x16f16 v[34:37], v[58:59], v[8:9], v[34:37]
	s_and_saveexec_b64 s[14:15], s[16:17]
	s_cbranch_execz .LBB650_317
; %bb.312:                              ;   in Loop: Header=BB650_215 Depth=1
	v_cmp_ne_u16_sdwa s[18:19], v44, s9 src0_sel:BYTE_0 src1_sel:DWORD
	v_bfrev_b32_e32 v56, 1
	s_and_saveexec_b64 s[16:17], s[18:19]
	s_cbranch_execz .LBB650_316
; %bb.313:                              ;   in Loop: Header=BB650_215 Depth=1
	v_and_b32_e32 v46, 0x7f, v44
	v_cmp_ne_u32_e32 vcc, s21, v46
	v_mov_b32_e32 v56, 0x7f800001
	s_and_saveexec_b64 s[18:19], vcc
	s_cbranch_execz .LBB650_315
; %bb.314:                              ;   in Loop: Header=BB650_215 Depth=1
	v_and_b32_e32 v58, 7, v44
	v_ffbh_u32_e32 v56, v58
	v_min_u32_e32 v60, 32, v56
	v_subrev_u32_e32 v56, 28, v60
	v_lshlrev_b64 v[56:57], v56, v[44:45]
	v_lshrrev_b32_e32 v59, 3, v46
	v_sub_u32_e32 v57, 29, v60
	v_and_b32_e32 v56, 7, v56
	v_cmp_gt_u32_e32 vcc, 8, v46
	v_cndmask_b32_e32 v46, v59, v57, vcc
	v_cndmask_b32_e32 v56, v58, v56, vcc
	v_lshlrev_b32_e32 v57, 24, v44
	v_lshlrev_b32_e32 v56, 20, v56
	v_and_b32_e32 v57, 0x80000000, v57
	v_lshl_add_u32 v46, v46, 23, v55
	v_or3_b32 v56, v57, v46, v56
.LBB650_315:                            ;   in Loop: Header=BB650_215 Depth=1
	s_or_b64 exec, exec, s[18:19]
.LBB650_316:                            ;   in Loop: Header=BB650_215 Depth=1
	s_or_b64 exec, exec, s[16:17]
.LBB650_317:                            ;   in Loop: Header=BB650_215 Depth=1
	s_or_b64 exec, exec, s[14:15]
	v_lshrrev_b16_e32 v46, 8, v44
	v_cmp_ne_u16_e32 vcc, 0, v46
	v_mov_b32_e32 v57, 0
	v_mov_b32_e32 v58, 0
	s_and_saveexec_b64 s[14:15], vcc
	s_cbranch_execz .LBB650_323
; %bb.318:                              ;   in Loop: Header=BB650_215 Depth=1
	v_cmp_ne_u16_e32 vcc, s9, v46
	v_bfrev_b32_e32 v58, 1
	s_and_saveexec_b64 s[16:17], vcc
	s_cbranch_execz .LBB650_322
; %bb.319:                              ;   in Loop: Header=BB650_215 Depth=1
	v_and_b32_e32 v59, 0x7f, v46
	v_cmp_ne_u32_e32 vcc, s21, v59
	v_mov_b32_e32 v58, 0x7f800001
	s_and_saveexec_b64 s[18:19], vcc
	s_cbranch_execz .LBB650_321
; %bb.320:                              ;   in Loop: Header=BB650_215 Depth=1
	v_and_b32_e32 v58, 7, v46
	v_ffbh_u32_e32 v60, v58
	v_min_u32_e32 v63, 32, v60
	v_subrev_u32_e32 v60, 28, v63
	v_lshlrev_b64 v[60:61], v60, v[46:47]
	v_lshrrev_b32_e32 v62, 3, v59
	v_sub_u32_e32 v46, 29, v63
	v_and_b32_e32 v60, 7, v60
	v_cmp_gt_u32_e32 vcc, 8, v59
	v_cndmask_b32_e32 v46, v62, v46, vcc
	v_cndmask_b32_e32 v58, v58, v60, vcc
	v_lshlrev_b32_e32 v59, 16, v44
	v_lshlrev_b32_e32 v58, 20, v58
	v_and_b32_e32 v59, 0x80000000, v59
	v_lshl_add_u32 v46, v46, 23, v55
	v_or3_b32 v58, v59, v46, v58
.LBB650_321:                            ;   in Loop: Header=BB650_215 Depth=1
	s_or_b64 exec, exec, s[18:19]
.LBB650_322:                            ;   in Loop: Header=BB650_215 Depth=1
	s_or_b64 exec, exec, s[16:17]
.LBB650_323:                            ;   in Loop: Header=BB650_215 Depth=1
	s_or_b64 exec, exec, s[14:15]
	v_lshrrev_b32_e32 v46, 16, v44
	v_cmp_ne_u16_sdwa s[16:17], v46, v54 src0_sel:BYTE_0 src1_sel:DWORD
	s_and_saveexec_b64 s[14:15], s[16:17]
	s_cbranch_execz .LBB650_329
; %bb.324:                              ;   in Loop: Header=BB650_215 Depth=1
	v_cmp_ne_u16_sdwa s[18:19], v46, s9 src0_sel:BYTE_0 src1_sel:DWORD
	v_bfrev_b32_e32 v57, 1
	s_and_saveexec_b64 s[16:17], s[18:19]
	s_cbranch_execz .LBB650_328
; %bb.325:                              ;   in Loop: Header=BB650_215 Depth=1
	v_bfe_u32 v59, v44, 16, 7
	v_cmp_ne_u32_e32 vcc, s21, v59
	v_mov_b32_e32 v57, 0x7f800001
	s_and_saveexec_b64 s[18:19], vcc
	s_cbranch_execz .LBB650_327
; %bb.326:                              ;   in Loop: Header=BB650_215 Depth=1
	v_and_b32_e32 v57, 7, v46
	v_ffbh_u32_e32 v60, v57
	v_min_u32_e32 v63, 32, v60
	v_subrev_u32_e32 v60, 28, v63
	v_lshlrev_b64 v[60:61], v60, v[46:47]
	v_lshrrev_b32_e32 v62, 3, v59
	v_sub_u32_e32 v61, 29, v63
	v_and_b32_e32 v60, 7, v60
	v_cmp_gt_u32_e32 vcc, 8, v59
	v_cndmask_b32_e32 v59, v62, v61, vcc
	v_cndmask_b32_e32 v57, v57, v60, vcc
	v_lshlrev_b32_e32 v46, 24, v46
	v_lshlrev_b32_e32 v57, 20, v57
	v_and_b32_e32 v46, 0x80000000, v46
	v_lshl_add_u32 v59, v59, 23, v55
	v_or3_b32 v57, v46, v59, v57
.LBB650_327:                            ;   in Loop: Header=BB650_215 Depth=1
	s_or_b64 exec, exec, s[18:19]
.LBB650_328:                            ;   in Loop: Header=BB650_215 Depth=1
	s_or_b64 exec, exec, s[16:17]
.LBB650_329:                            ;   in Loop: Header=BB650_215 Depth=1
	s_or_b64 exec, exec, s[14:15]
	v_cmp_lt_u32_e32 vcc, s22, v44
	v_mov_b32_e32 v59, 0
	v_mov_b32_e32 v60, 0
	s_and_saveexec_b64 s[14:15], vcc
	s_cbranch_execz .LBB650_335
; %bb.330:                              ;   in Loop: Header=BB650_215 Depth=1
	v_lshrrev_b32_e32 v46, 24, v44
	v_cmp_ne_u32_e32 vcc, s9, v46
	v_bfrev_b32_e32 v60, 1
	s_and_saveexec_b64 s[16:17], vcc
	s_cbranch_execz .LBB650_334
; %bb.331:                              ;   in Loop: Header=BB650_215 Depth=1
	v_bfe_u32 v44, v44, 24, 7
	v_cmp_ne_u32_e32 vcc, s21, v44
	v_mov_b32_e32 v60, 0x7f800001
	s_and_saveexec_b64 s[18:19], vcc
	s_cbranch_execz .LBB650_333
; %bb.332:                              ;   in Loop: Header=BB650_215 Depth=1
	v_and_b32_e32 v62, 7, v46
	v_ffbh_u32_e32 v60, v62
	v_min_u32_e32 v64, 32, v60
	v_subrev_u32_e32 v60, 28, v64
	v_lshlrev_b64 v[60:61], v60, v[46:47]
	v_lshrrev_b32_e32 v63, 3, v44
	v_sub_u32_e32 v61, 29, v64
	v_and_b32_e32 v60, 7, v60
	v_cmp_gt_u32_e32 vcc, 8, v44
	v_cndmask_b32_e32 v44, v63, v61, vcc
	v_cndmask_b32_e32 v60, v62, v60, vcc
	v_lshlrev_b32_e32 v46, 24, v46
	v_lshlrev_b32_e32 v60, 20, v60
	v_and_b32_e32 v46, 0x80000000, v46
	v_lshl_add_u32 v44, v44, 23, v55
	v_or3_b32 v60, v46, v44, v60
.LBB650_333:                            ;   in Loop: Header=BB650_215 Depth=1
	s_or_b64 exec, exec, s[18:19]
.LBB650_334:                            ;   in Loop: Header=BB650_215 Depth=1
	s_or_b64 exec, exec, s[16:17]
.LBB650_335:                            ;   in Loop: Header=BB650_215 Depth=1
	s_or_b64 exec, exec, s[14:15]
	s_waitcnt vmcnt(2)
	v_cmp_ne_u16_sdwa s[16:17], v42, v54 src0_sel:BYTE_0 src1_sel:DWORD
	s_and_saveexec_b64 s[14:15], s[16:17]
	s_cbranch_execz .LBB650_341
; %bb.336:                              ;   in Loop: Header=BB650_215 Depth=1
	v_cmp_ne_u16_sdwa s[18:19], v42, s9 src0_sel:BYTE_0 src1_sel:DWORD
	v_bfrev_b32_e32 v59, 1
	s_and_saveexec_b64 s[16:17], s[18:19]
	s_cbranch_execz .LBB650_340
; %bb.337:                              ;   in Loop: Header=BB650_215 Depth=1
	v_and_b32_e32 v44, 0x7f, v42
	v_cmp_ne_u32_e32 vcc, s21, v44
	v_mov_b32_e32 v59, 0x7f800001
	s_and_saveexec_b64 s[18:19], vcc
	s_cbranch_execz .LBB650_339
; %bb.338:                              ;   in Loop: Header=BB650_215 Depth=1
	v_and_b32_e32 v46, 7, v42
	v_ffbh_u32_e32 v61, v46
	v_min_u32_e32 v61, 32, v61
	v_subrev_u32_e32 v62, 28, v61
	v_lshlrev_b64 v[62:63], v62, v[42:43]
	v_lshrrev_b32_e32 v59, 3, v44
	v_sub_u32_e32 v61, 29, v61
	v_and_b32_e32 v62, 7, v62
	v_cmp_gt_u32_e32 vcc, 8, v44
	v_cndmask_b32_e32 v44, v59, v61, vcc
	v_cndmask_b32_e32 v46, v46, v62, vcc
	v_lshlrev_b32_e32 v59, 24, v42
	v_lshlrev_b32_e32 v46, 20, v46
	v_and_b32_e32 v59, 0x80000000, v59
	v_lshl_add_u32 v44, v44, 23, v55
	v_or3_b32 v59, v59, v44, v46
.LBB650_339:                            ;   in Loop: Header=BB650_215 Depth=1
	s_or_b64 exec, exec, s[18:19]
.LBB650_340:                            ;   in Loop: Header=BB650_215 Depth=1
	s_or_b64 exec, exec, s[16:17]
.LBB650_341:                            ;   in Loop: Header=BB650_215 Depth=1
	s_or_b64 exec, exec, s[14:15]
	v_lshrrev_b16_e32 v44, 8, v42
	v_cmp_ne_u16_e32 vcc, 0, v44
	v_mov_b32_e32 v61, 0
	v_mov_b32_e32 v62, 0
	s_and_saveexec_b64 s[14:15], vcc
	s_cbranch_execz .LBB650_347
; %bb.342:                              ;   in Loop: Header=BB650_215 Depth=1
	v_cmp_ne_u16_e32 vcc, s9, v44
	v_bfrev_b32_e32 v62, 1
	s_and_saveexec_b64 s[16:17], vcc
	s_cbranch_execz .LBB650_346
; %bb.343:                              ;   in Loop: Header=BB650_215 Depth=1
	v_and_b32_e32 v46, 0x7f, v44
	v_cmp_ne_u32_e32 vcc, s21, v46
	v_mov_b32_e32 v62, 0x7f800001
	s_and_saveexec_b64 s[18:19], vcc
	s_cbranch_execz .LBB650_345
; %bb.344:                              ;   in Loop: Header=BB650_215 Depth=1
	v_and_b32_e32 v64, 7, v44
	v_ffbh_u32_e32 v62, v64
	v_min_u32_e32 v66, 32, v62
	v_subrev_u32_e32 v62, 28, v66
	v_lshlrev_b64 v[62:63], v62, v[44:45]
	v_lshrrev_b32_e32 v65, 3, v46
	v_sub_u32_e32 v44, 29, v66
	v_and_b32_e32 v62, 7, v62
	v_cmp_gt_u32_e32 vcc, 8, v46
	v_cndmask_b32_e32 v44, v65, v44, vcc
	v_cndmask_b32_e32 v46, v64, v62, vcc
	v_lshlrev_b32_e32 v62, 16, v42
	v_lshlrev_b32_e32 v46, 20, v46
	v_and_b32_e32 v62, 0x80000000, v62
	v_lshl_add_u32 v44, v44, 23, v55
	v_or3_b32 v62, v62, v44, v46
.LBB650_345:                            ;   in Loop: Header=BB650_215 Depth=1
	s_or_b64 exec, exec, s[18:19]
.LBB650_346:                            ;   in Loop: Header=BB650_215 Depth=1
	s_or_b64 exec, exec, s[16:17]
.LBB650_347:                            ;   in Loop: Header=BB650_215 Depth=1
	s_or_b64 exec, exec, s[14:15]
	v_lshrrev_b32_e32 v44, 16, v42
	v_cmp_ne_u16_sdwa s[16:17], v44, v54 src0_sel:BYTE_0 src1_sel:DWORD
	s_and_saveexec_b64 s[14:15], s[16:17]
	s_cbranch_execz .LBB650_353
; %bb.348:                              ;   in Loop: Header=BB650_215 Depth=1
	v_cmp_ne_u16_sdwa s[18:19], v44, s9 src0_sel:BYTE_0 src1_sel:DWORD
	v_bfrev_b32_e32 v61, 1
	s_and_saveexec_b64 s[16:17], s[18:19]
	s_cbranch_execz .LBB650_352
; %bb.349:                              ;   in Loop: Header=BB650_215 Depth=1
	v_bfe_u32 v46, v42, 16, 7
	v_cmp_ne_u32_e32 vcc, s21, v46
	v_mov_b32_e32 v61, 0x7f800001
	s_and_saveexec_b64 s[18:19], vcc
	s_cbranch_execz .LBB650_351
; %bb.350:                              ;   in Loop: Header=BB650_215 Depth=1
	v_and_b32_e32 v61, 7, v44
	v_ffbh_u32_e32 v64, v61
	v_min_u32_e32 v66, 32, v64
	v_subrev_u32_e32 v64, 28, v66
	v_lshlrev_b64 v[64:65], v64, v[44:45]
	v_lshrrev_b32_e32 v63, 3, v46
	v_sub_u32_e32 v65, 29, v66
	v_and_b32_e32 v64, 7, v64
	v_cmp_gt_u32_e32 vcc, 8, v46
	v_cndmask_b32_e32 v46, v63, v65, vcc
	v_cndmask_b32_e32 v61, v61, v64, vcc
	v_lshlrev_b32_e32 v44, 24, v44
	v_lshlrev_b32_e32 v61, 20, v61
	v_and_b32_e32 v44, 0x80000000, v44
	v_lshl_add_u32 v46, v46, 23, v55
	v_or3_b32 v61, v44, v46, v61
.LBB650_351:                            ;   in Loop: Header=BB650_215 Depth=1
	s_or_b64 exec, exec, s[18:19]
.LBB650_352:                            ;   in Loop: Header=BB650_215 Depth=1
	s_or_b64 exec, exec, s[16:17]
.LBB650_353:                            ;   in Loop: Header=BB650_215 Depth=1
	s_or_b64 exec, exec, s[14:15]
	v_cmp_lt_u32_e32 vcc, s22, v42
	v_mov_b32_e32 v46, 0
	v_mov_b32_e32 v63, 0
	s_and_saveexec_b64 s[14:15], vcc
	s_cbranch_execz .LBB650_359
; %bb.354:                              ;   in Loop: Header=BB650_215 Depth=1
	v_lshrrev_b32_e32 v44, 24, v42
	v_cmp_ne_u32_e32 vcc, s9, v44
	v_bfrev_b32_e32 v63, 1
	s_and_saveexec_b64 s[16:17], vcc
	s_cbranch_execz .LBB650_358
; %bb.355:                              ;   in Loop: Header=BB650_215 Depth=1
	v_bfe_u32 v42, v42, 24, 7
	v_cmp_ne_u32_e32 vcc, s21, v42
	v_mov_b32_e32 v63, 0x7f800001
	s_and_saveexec_b64 s[18:19], vcc
	s_cbranch_execz .LBB650_357
; %bb.356:                              ;   in Loop: Header=BB650_215 Depth=1
	v_and_b32_e32 v63, 7, v44
	v_ffbh_u32_e32 v64, v63
	v_min_u32_e32 v67, 32, v64
	v_subrev_u32_e32 v64, 28, v67
	v_lshlrev_b64 v[64:65], v64, v[44:45]
	v_lshrrev_b32_e32 v66, 3, v42
	v_sub_u32_e32 v65, 29, v67
	v_and_b32_e32 v64, 7, v64
	v_cmp_gt_u32_e32 vcc, 8, v42
	v_cndmask_b32_e32 v42, v66, v65, vcc
	v_cndmask_b32_e32 v63, v63, v64, vcc
	v_lshlrev_b32_e32 v44, 24, v44
	v_lshlrev_b32_e32 v63, 20, v63
	v_and_b32_e32 v44, 0x80000000, v44
	v_lshl_add_u32 v42, v42, 23, v55
	v_or3_b32 v63, v44, v42, v63
.LBB650_357:                            ;   in Loop: Header=BB650_215 Depth=1
	s_or_b64 exec, exec, s[18:19]
.LBB650_358:                            ;   in Loop: Header=BB650_215 Depth=1
	s_or_b64 exec, exec, s[16:17]
.LBB650_359:                            ;   in Loop: Header=BB650_215 Depth=1
	s_or_b64 exec, exec, s[14:15]
	v_cvt_pkrtz_f16_f32 v56, v56, v58
	v_cvt_pkrtz_f16_f32 v57, v57, v60
	s_waitcnt vmcnt(1)
	v_cmp_ne_u16_sdwa s[16:17], v40, v54 src0_sel:BYTE_0 src1_sel:DWORD
	v_mfma_f32_16x16x16f16 v[34:37], v[56:57], v[10:11], v[34:37]
	v_cvt_pkrtz_f16_f32 v56, v59, v62
	v_cvt_pkrtz_f16_f32 v57, v61, v63
	s_nop 1
	v_mfma_f32_16x16x16f16 v[34:37], v[56:57], v[12:13], v[34:37]
	s_and_saveexec_b64 s[14:15], s[16:17]
	s_cbranch_execz .LBB650_365
; %bb.360:                              ;   in Loop: Header=BB650_215 Depth=1
	v_cmp_ne_u16_sdwa s[18:19], v40, s9 src0_sel:BYTE_0 src1_sel:DWORD
	v_bfrev_b32_e32 v46, 1
	s_and_saveexec_b64 s[16:17], s[18:19]
	s_cbranch_execz .LBB650_364
; %bb.361:                              ;   in Loop: Header=BB650_215 Depth=1
	v_and_b32_e32 v42, 0x7f, v40
	v_cmp_ne_u32_e32 vcc, s21, v42
	v_mov_b32_e32 v46, 0x7f800001
	s_and_saveexec_b64 s[18:19], vcc
	s_cbranch_execz .LBB650_363
; %bb.362:                              ;   in Loop: Header=BB650_215 Depth=1
	v_and_b32_e32 v44, 7, v40
	v_ffbh_u32_e32 v56, v44
	v_min_u32_e32 v58, 32, v56
	v_subrev_u32_e32 v56, 28, v58
	v_lshlrev_b64 v[56:57], v56, v[40:41]
	v_lshrrev_b32_e32 v46, 3, v42
	v_sub_u32_e32 v57, 29, v58
	v_and_b32_e32 v56, 7, v56
	v_cmp_gt_u32_e32 vcc, 8, v42
	v_cndmask_b32_e32 v42, v46, v57, vcc
	v_cndmask_b32_e32 v44, v44, v56, vcc
	v_lshlrev_b32_e32 v46, 24, v40
	v_lshlrev_b32_e32 v44, 20, v44
	v_and_b32_e32 v46, 0x80000000, v46
	v_lshl_add_u32 v42, v42, 23, v55
	v_or3_b32 v46, v46, v42, v44
.LBB650_363:                            ;   in Loop: Header=BB650_215 Depth=1
	s_or_b64 exec, exec, s[18:19]
.LBB650_364:                            ;   in Loop: Header=BB650_215 Depth=1
	s_or_b64 exec, exec, s[16:17]
.LBB650_365:                            ;   in Loop: Header=BB650_215 Depth=1
	s_or_b64 exec, exec, s[14:15]
	v_lshrrev_b16_e32 v42, 8, v40
	v_cmp_ne_u16_e32 vcc, 0, v42
	v_mov_b32_e32 v44, 0
	v_mov_b32_e32 v57, 0
	s_and_saveexec_b64 s[14:15], vcc
	s_cbranch_execz .LBB650_371
; %bb.366:                              ;   in Loop: Header=BB650_215 Depth=1
	v_cmp_ne_u16_e32 vcc, s9, v42
	v_bfrev_b32_e32 v57, 1
	s_and_saveexec_b64 s[16:17], vcc
	s_cbranch_execz .LBB650_370
; %bb.367:                              ;   in Loop: Header=BB650_215 Depth=1
	v_and_b32_e32 v56, 0x7f, v42
	v_cmp_ne_u32_e32 vcc, s21, v56
	v_mov_b32_e32 v57, 0x7f800001
	s_and_saveexec_b64 s[18:19], vcc
	s_cbranch_execz .LBB650_369
; %bb.368:                              ;   in Loop: Header=BB650_215 Depth=1
	v_and_b32_e32 v57, 7, v42
	v_ffbh_u32_e32 v58, v57
	v_min_u32_e32 v61, 32, v58
	v_subrev_u32_e32 v58, 28, v61
	v_lshlrev_b64 v[58:59], v58, v[42:43]
	v_lshrrev_b32_e32 v60, 3, v56
	v_sub_u32_e32 v42, 29, v61
	v_and_b32_e32 v58, 7, v58
	v_cmp_gt_u32_e32 vcc, 8, v56
	v_cndmask_b32_e32 v42, v60, v42, vcc
	v_cndmask_b32_e32 v56, v57, v58, vcc
	v_lshlrev_b32_e32 v57, 16, v40
	v_lshlrev_b32_e32 v56, 20, v56
	v_and_b32_e32 v57, 0x80000000, v57
	v_lshl_add_u32 v42, v42, 23, v55
	v_or3_b32 v57, v57, v42, v56
.LBB650_369:                            ;   in Loop: Header=BB650_215 Depth=1
	s_or_b64 exec, exec, s[18:19]
.LBB650_370:                            ;   in Loop: Header=BB650_215 Depth=1
	s_or_b64 exec, exec, s[16:17]
.LBB650_371:                            ;   in Loop: Header=BB650_215 Depth=1
	s_or_b64 exec, exec, s[14:15]
	v_lshrrev_b32_e32 v42, 16, v40
	v_cmp_ne_u16_sdwa s[16:17], v42, v54 src0_sel:BYTE_0 src1_sel:DWORD
	s_and_saveexec_b64 s[14:15], s[16:17]
	s_cbranch_execz .LBB650_377
; %bb.372:                              ;   in Loop: Header=BB650_215 Depth=1
	v_cmp_ne_u16_sdwa s[18:19], v42, s9 src0_sel:BYTE_0 src1_sel:DWORD
	v_bfrev_b32_e32 v44, 1
	s_and_saveexec_b64 s[16:17], s[18:19]
	s_cbranch_execz .LBB650_376
; %bb.373:                              ;   in Loop: Header=BB650_215 Depth=1
	v_bfe_u32 v56, v40, 16, 7
	v_cmp_ne_u32_e32 vcc, s21, v56
	v_mov_b32_e32 v44, 0x7f800001
	s_and_saveexec_b64 s[18:19], vcc
	s_cbranch_execz .LBB650_375
; %bb.374:                              ;   in Loop: Header=BB650_215 Depth=1
	v_and_b32_e32 v44, 7, v42
	v_ffbh_u32_e32 v58, v44
	v_min_u32_e32 v61, 32, v58
	v_subrev_u32_e32 v58, 28, v61
	v_lshlrev_b64 v[58:59], v58, v[42:43]
	v_lshrrev_b32_e32 v60, 3, v56
	v_sub_u32_e32 v59, 29, v61
	v_and_b32_e32 v58, 7, v58
	v_cmp_gt_u32_e32 vcc, 8, v56
	v_cndmask_b32_e32 v56, v60, v59, vcc
	v_cndmask_b32_e32 v44, v44, v58, vcc
	v_lshlrev_b32_e32 v42, 24, v42
	v_lshlrev_b32_e32 v44, 20, v44
	v_and_b32_e32 v42, 0x80000000, v42
	v_lshl_add_u32 v56, v56, 23, v55
	v_or3_b32 v44, v42, v56, v44
.LBB650_375:                            ;   in Loop: Header=BB650_215 Depth=1
	s_or_b64 exec, exec, s[18:19]
.LBB650_376:                            ;   in Loop: Header=BB650_215 Depth=1
	s_or_b64 exec, exec, s[16:17]
.LBB650_377:                            ;   in Loop: Header=BB650_215 Depth=1
	s_or_b64 exec, exec, s[14:15]
	v_cmp_lt_u32_e32 vcc, s22, v40
	v_mov_b32_e32 v58, 0
	v_mov_b32_e32 v59, 0
	s_and_saveexec_b64 s[14:15], vcc
	s_cbranch_execz .LBB650_383
; %bb.378:                              ;   in Loop: Header=BB650_215 Depth=1
	v_lshrrev_b32_e32 v42, 24, v40
	v_cmp_ne_u32_e32 vcc, s9, v42
	v_bfrev_b32_e32 v59, 1
	s_and_saveexec_b64 s[16:17], vcc
	s_cbranch_execz .LBB650_382
; %bb.379:                              ;   in Loop: Header=BB650_215 Depth=1
	v_bfe_u32 v40, v40, 24, 7
	v_cmp_ne_u32_e32 vcc, s21, v40
	v_mov_b32_e32 v59, 0x7f800001
	s_and_saveexec_b64 s[18:19], vcc
	s_cbranch_execz .LBB650_381
; %bb.380:                              ;   in Loop: Header=BB650_215 Depth=1
	v_and_b32_e32 v56, 7, v42
	v_ffbh_u32_e32 v60, v56
	v_min_u32_e32 v62, 32, v60
	v_subrev_u32_e32 v60, 28, v62
	v_lshlrev_b64 v[60:61], v60, v[42:43]
	v_lshrrev_b32_e32 v59, 3, v40
	v_sub_u32_e32 v61, 29, v62
	v_and_b32_e32 v60, 7, v60
	v_cmp_gt_u32_e32 vcc, 8, v40
	v_cndmask_b32_e32 v40, v59, v61, vcc
	v_cndmask_b32_e32 v56, v56, v60, vcc
	v_lshlrev_b32_e32 v42, 24, v42
	v_lshlrev_b32_e32 v56, 20, v56
	v_and_b32_e32 v42, 0x80000000, v42
	v_lshl_add_u32 v40, v40, 23, v55
	v_or3_b32 v59, v42, v40, v56
.LBB650_381:                            ;   in Loop: Header=BB650_215 Depth=1
	s_or_b64 exec, exec, s[18:19]
.LBB650_382:                            ;   in Loop: Header=BB650_215 Depth=1
	s_or_b64 exec, exec, s[16:17]
.LBB650_383:                            ;   in Loop: Header=BB650_215 Depth=1
	s_or_b64 exec, exec, s[14:15]
	s_waitcnt vmcnt(0)
	v_cmp_ne_u16_sdwa s[16:17], v38, v54 src0_sel:BYTE_0 src1_sel:DWORD
	s_and_saveexec_b64 s[14:15], s[16:17]
	s_cbranch_execz .LBB650_389
; %bb.384:                              ;   in Loop: Header=BB650_215 Depth=1
	v_cmp_ne_u16_sdwa s[18:19], v38, s9 src0_sel:BYTE_0 src1_sel:DWORD
	v_bfrev_b32_e32 v58, 1
	s_and_saveexec_b64 s[16:17], s[18:19]
	s_cbranch_execz .LBB650_388
; %bb.385:                              ;   in Loop: Header=BB650_215 Depth=1
	v_and_b32_e32 v40, 0x7f, v38
	v_cmp_ne_u32_e32 vcc, s21, v40
	v_mov_b32_e32 v58, 0x7f800001
	s_and_saveexec_b64 s[18:19], vcc
	s_cbranch_execz .LBB650_387
; %bb.386:                              ;   in Loop: Header=BB650_215 Depth=1
	v_and_b32_e32 v42, 7, v38
	v_ffbh_u32_e32 v58, v42
	v_min_u32_e32 v58, 32, v58
	v_subrev_u32_e32 v60, 28, v58
	v_lshlrev_b64 v[60:61], v60, v[38:39]
	v_lshrrev_b32_e32 v56, 3, v40
	v_sub_u32_e32 v58, 29, v58
	v_and_b32_e32 v60, 7, v60
	v_cmp_gt_u32_e32 vcc, 8, v40
	v_cndmask_b32_e32 v40, v56, v58, vcc
	v_cndmask_b32_e32 v42, v42, v60, vcc
	v_lshlrev_b32_e32 v56, 24, v38
	v_lshlrev_b32_e32 v42, 20, v42
	v_and_b32_e32 v56, 0x80000000, v56
	v_lshl_add_u32 v40, v40, 23, v55
	v_or3_b32 v58, v56, v40, v42
.LBB650_387:                            ;   in Loop: Header=BB650_215 Depth=1
	s_or_b64 exec, exec, s[18:19]
.LBB650_388:                            ;   in Loop: Header=BB650_215 Depth=1
	s_or_b64 exec, exec, s[16:17]
.LBB650_389:                            ;   in Loop: Header=BB650_215 Depth=1
	s_or_b64 exec, exec, s[14:15]
	v_lshrrev_b16_e32 v40, 8, v38
	v_cmp_ne_u16_e32 vcc, 0, v40
	v_mov_b32_e32 v60, 0
	v_mov_b32_e32 v61, 0
	s_and_saveexec_b64 s[14:15], vcc
	s_cbranch_execz .LBB650_395
; %bb.390:                              ;   in Loop: Header=BB650_215 Depth=1
	v_cmp_ne_u16_e32 vcc, s9, v40
	v_bfrev_b32_e32 v61, 1
	s_and_saveexec_b64 s[16:17], vcc
	s_cbranch_execz .LBB650_394
; %bb.391:                              ;   in Loop: Header=BB650_215 Depth=1
	v_and_b32_e32 v42, 0x7f, v40
	v_cmp_ne_u32_e32 vcc, s21, v42
	v_mov_b32_e32 v61, 0x7f800001
	s_and_saveexec_b64 s[18:19], vcc
	s_cbranch_execz .LBB650_393
; %bb.392:                              ;   in Loop: Header=BB650_215 Depth=1
	v_and_b32_e32 v56, 7, v40
	v_ffbh_u32_e32 v62, v56
	v_min_u32_e32 v64, 32, v62
	v_subrev_u32_e32 v62, 28, v64
	v_lshlrev_b64 v[62:63], v62, v[40:41]
	v_lshrrev_b32_e32 v61, 3, v42
	v_sub_u32_e32 v40, 29, v64
	v_and_b32_e32 v62, 7, v62
	v_cmp_gt_u32_e32 vcc, 8, v42
	v_cndmask_b32_e32 v40, v61, v40, vcc
	v_cndmask_b32_e32 v42, v56, v62, vcc
	v_lshlrev_b32_e32 v56, 16, v38
	v_lshlrev_b32_e32 v42, 20, v42
	v_and_b32_e32 v56, 0x80000000, v56
	v_lshl_add_u32 v40, v40, 23, v55
	v_or3_b32 v61, v56, v40, v42
.LBB650_393:                            ;   in Loop: Header=BB650_215 Depth=1
	s_or_b64 exec, exec, s[18:19]
.LBB650_394:                            ;   in Loop: Header=BB650_215 Depth=1
	s_or_b64 exec, exec, s[16:17]
.LBB650_395:                            ;   in Loop: Header=BB650_215 Depth=1
	s_or_b64 exec, exec, s[14:15]
	v_lshrrev_b32_e32 v40, 16, v38
	v_cmp_ne_u16_sdwa s[16:17], v40, v54 src0_sel:BYTE_0 src1_sel:DWORD
	s_and_saveexec_b64 s[14:15], s[16:17]
	s_cbranch_execz .LBB650_401
; %bb.396:                              ;   in Loop: Header=BB650_215 Depth=1
	v_cmp_ne_u16_sdwa s[18:19], v40, s9 src0_sel:BYTE_0 src1_sel:DWORD
	v_bfrev_b32_e32 v60, 1
	s_and_saveexec_b64 s[16:17], s[18:19]
	s_cbranch_execz .LBB650_400
; %bb.397:                              ;   in Loop: Header=BB650_215 Depth=1
	v_bfe_u32 v42, v38, 16, 7
	v_cmp_ne_u32_e32 vcc, s21, v42
	v_mov_b32_e32 v60, 0x7f800001
	s_and_saveexec_b64 s[18:19], vcc
	s_cbranch_execz .LBB650_399
; %bb.398:                              ;   in Loop: Header=BB650_215 Depth=1
	v_and_b32_e32 v56, 7, v40
	v_ffbh_u32_e32 v62, v56
	v_min_u32_e32 v64, 32, v62
	v_subrev_u32_e32 v62, 28, v64
	v_lshlrev_b64 v[62:63], v62, v[40:41]
	v_lshrrev_b32_e32 v60, 3, v42
	v_sub_u32_e32 v63, 29, v64
	v_and_b32_e32 v62, 7, v62
	v_cmp_gt_u32_e32 vcc, 8, v42
	v_cndmask_b32_e32 v42, v60, v63, vcc
	v_cndmask_b32_e32 v56, v56, v62, vcc
	v_lshlrev_b32_e32 v40, 24, v40
	v_lshlrev_b32_e32 v56, 20, v56
	v_and_b32_e32 v40, 0x80000000, v40
	v_lshl_add_u32 v42, v42, 23, v55
	v_or3_b32 v60, v40, v42, v56
.LBB650_399:                            ;   in Loop: Header=BB650_215 Depth=1
	s_or_b64 exec, exec, s[18:19]
.LBB650_400:                            ;   in Loop: Header=BB650_215 Depth=1
	s_or_b64 exec, exec, s[16:17]
.LBB650_401:                            ;   in Loop: Header=BB650_215 Depth=1
	s_or_b64 exec, exec, s[14:15]
	v_cmp_lt_u32_e32 vcc, s22, v38
	v_mov_b32_e32 v56, 0
	v_mov_b32_e32 v62, 0
	s_and_saveexec_b64 s[14:15], vcc
	s_cbranch_execz .LBB650_407
; %bb.402:                              ;   in Loop: Header=BB650_215 Depth=1
	v_lshrrev_b32_e32 v40, 24, v38
	v_cmp_ne_u32_e32 vcc, s9, v40
	v_bfrev_b32_e32 v62, 1
	s_and_saveexec_b64 s[16:17], vcc
	s_cbranch_execz .LBB650_406
; %bb.403:                              ;   in Loop: Header=BB650_215 Depth=1
	v_bfe_u32 v38, v38, 24, 7
	v_cmp_ne_u32_e32 vcc, s21, v38
	v_mov_b32_e32 v62, 0x7f800001
	s_and_saveexec_b64 s[18:19], vcc
	s_cbranch_execz .LBB650_405
; %bb.404:                              ;   in Loop: Header=BB650_215 Depth=1
	v_and_b32_e32 v42, 7, v40
	v_ffbh_u32_e32 v62, v42
	v_min_u32_e32 v65, 32, v62
	v_subrev_u32_e32 v62, 28, v65
	v_lshlrev_b64 v[62:63], v62, v[40:41]
	v_lshrrev_b32_e32 v64, 3, v38
	v_sub_u32_e32 v63, 29, v65
	v_and_b32_e32 v62, 7, v62
	v_cmp_gt_u32_e32 vcc, 8, v38
	v_cndmask_b32_e32 v38, v64, v63, vcc
	v_cndmask_b32_e32 v42, v42, v62, vcc
	v_lshlrev_b32_e32 v40, 24, v40
	v_lshlrev_b32_e32 v42, 20, v42
	v_and_b32_e32 v40, 0x80000000, v40
	v_lshl_add_u32 v38, v38, 23, v55
	v_or3_b32 v62, v40, v38, v42
.LBB650_405:                            ;   in Loop: Header=BB650_215 Depth=1
	s_or_b64 exec, exec, s[18:19]
.LBB650_406:                            ;   in Loop: Header=BB650_215 Depth=1
	s_or_b64 exec, exec, s[16:17]
.LBB650_407:                            ;   in Loop: Header=BB650_215 Depth=1
	s_or_b64 exec, exec, s[14:15]
	v_cvt_pkrtz_f16_f32 v65, v44, v59
	buffer_load_dword v44, v51, s[0:3], 0 offen
	buffer_load_dword v42, v51, s[0:3], 0 offen offset:4
	buffer_load_dword v40, v51, s[0:3], 0 offen offset:8
	;; [unrolled: 1-line block ×3, first 2 shown]
	v_cvt_pkrtz_f16_f32 v64, v46, v57
	v_cvt_pkrtz_f16_f32 v58, v58, v61
	;; [unrolled: 1-line block ×3, first 2 shown]
	v_mfma_f32_16x16x16f16 v[34:37], v[64:65], v[14:15], v[34:37]
	s_waitcnt vmcnt(3)
	v_cmp_ne_u16_sdwa s[16:17], v44, v54 src0_sel:BYTE_0 src1_sel:DWORD
	v_mfma_f32_16x16x16f16 v[34:37], v[58:59], v[16:17], v[34:37]
	s_and_saveexec_b64 s[14:15], s[16:17]
	s_cbranch_execz .LBB650_413
; %bb.408:                              ;   in Loop: Header=BB650_215 Depth=1
	v_cmp_ne_u16_sdwa s[18:19], v44, s9 src0_sel:BYTE_0 src1_sel:DWORD
	v_bfrev_b32_e32 v56, 1
	s_and_saveexec_b64 s[16:17], s[18:19]
	s_cbranch_execz .LBB650_412
; %bb.409:                              ;   in Loop: Header=BB650_215 Depth=1
	v_and_b32_e32 v46, 0x7f, v44
	v_cmp_ne_u32_e32 vcc, s21, v46
	v_mov_b32_e32 v56, 0x7f800001
	s_and_saveexec_b64 s[18:19], vcc
	s_cbranch_execz .LBB650_411
; %bb.410:                              ;   in Loop: Header=BB650_215 Depth=1
	v_and_b32_e32 v51, 7, v44
	v_ffbh_u32_e32 v56, v51
	v_min_u32_e32 v59, 32, v56
	v_subrev_u32_e32 v56, 28, v59
	v_lshlrev_b64 v[56:57], v56, v[44:45]
	v_lshrrev_b32_e32 v58, 3, v46
	v_sub_u32_e32 v57, 29, v59
	v_and_b32_e32 v56, 7, v56
	v_cmp_gt_u32_e32 vcc, 8, v46
	v_cndmask_b32_e32 v46, v58, v57, vcc
	v_cndmask_b32_e32 v51, v51, v56, vcc
	v_lshlrev_b32_e32 v56, 24, v44
	v_lshlrev_b32_e32 v51, 20, v51
	v_and_b32_e32 v56, 0x80000000, v56
	v_lshl_add_u32 v46, v46, 23, v55
	v_or3_b32 v56, v56, v46, v51
.LBB650_411:                            ;   in Loop: Header=BB650_215 Depth=1
	s_or_b64 exec, exec, s[18:19]
.LBB650_412:                            ;   in Loop: Header=BB650_215 Depth=1
	s_or_b64 exec, exec, s[16:17]
.LBB650_413:                            ;   in Loop: Header=BB650_215 Depth=1
	s_or_b64 exec, exec, s[14:15]
	v_lshrrev_b16_e32 v46, 8, v44
	v_cmp_ne_u16_e32 vcc, 0, v46
	v_mov_b32_e32 v51, 0
	v_mov_b32_e32 v57, 0
	s_and_saveexec_b64 s[14:15], vcc
	s_cbranch_execz .LBB650_419
; %bb.414:                              ;   in Loop: Header=BB650_215 Depth=1
	v_cmp_ne_u16_e32 vcc, s9, v46
	v_bfrev_b32_e32 v57, 1
	s_and_saveexec_b64 s[16:17], vcc
	s_cbranch_execz .LBB650_418
; %bb.415:                              ;   in Loop: Header=BB650_215 Depth=1
	v_and_b32_e32 v58, 0x7f, v46
	v_cmp_ne_u32_e32 vcc, s21, v58
	v_mov_b32_e32 v57, 0x7f800001
	s_and_saveexec_b64 s[18:19], vcc
	s_cbranch_execz .LBB650_417
; %bb.416:                              ;   in Loop: Header=BB650_215 Depth=1
	v_and_b32_e32 v57, 7, v46
	v_ffbh_u32_e32 v60, v57
	v_min_u32_e32 v62, 32, v60
	v_subrev_u32_e32 v60, 28, v62
	v_lshlrev_b64 v[60:61], v60, v[46:47]
	v_lshrrev_b32_e32 v59, 3, v58
	v_sub_u32_e32 v46, 29, v62
	v_and_b32_e32 v60, 7, v60
	v_cmp_gt_u32_e32 vcc, 8, v58
	v_cndmask_b32_e32 v46, v59, v46, vcc
	v_cndmask_b32_e32 v57, v57, v60, vcc
	v_lshlrev_b32_e32 v58, 16, v44
	v_lshlrev_b32_e32 v57, 20, v57
	v_and_b32_e32 v58, 0x80000000, v58
	v_lshl_add_u32 v46, v46, 23, v55
	v_or3_b32 v57, v58, v46, v57
.LBB650_417:                            ;   in Loop: Header=BB650_215 Depth=1
	s_or_b64 exec, exec, s[18:19]
.LBB650_418:                            ;   in Loop: Header=BB650_215 Depth=1
	s_or_b64 exec, exec, s[16:17]
.LBB650_419:                            ;   in Loop: Header=BB650_215 Depth=1
	s_or_b64 exec, exec, s[14:15]
	v_lshrrev_b32_e32 v46, 16, v44
	v_cmp_ne_u16_sdwa s[16:17], v46, v54 src0_sel:BYTE_0 src1_sel:DWORD
	s_and_saveexec_b64 s[14:15], s[16:17]
	s_cbranch_execz .LBB650_425
; %bb.420:                              ;   in Loop: Header=BB650_215 Depth=1
	v_cmp_ne_u16_sdwa s[18:19], v46, s9 src0_sel:BYTE_0 src1_sel:DWORD
	v_bfrev_b32_e32 v51, 1
	s_and_saveexec_b64 s[16:17], s[18:19]
	s_cbranch_execz .LBB650_424
; %bb.421:                              ;   in Loop: Header=BB650_215 Depth=1
	v_bfe_u32 v58, v44, 16, 7
	v_cmp_ne_u32_e32 vcc, s21, v58
	v_mov_b32_e32 v51, 0x7f800001
	s_and_saveexec_b64 s[18:19], vcc
	s_cbranch_execz .LBB650_423
; %bb.422:                              ;   in Loop: Header=BB650_215 Depth=1
	v_and_b32_e32 v51, 7, v46
	v_ffbh_u32_e32 v60, v51
	v_min_u32_e32 v62, 32, v60
	v_subrev_u32_e32 v60, 28, v62
	v_lshlrev_b64 v[60:61], v60, v[46:47]
	v_lshrrev_b32_e32 v59, 3, v58
	v_sub_u32_e32 v61, 29, v62
	v_and_b32_e32 v60, 7, v60
	v_cmp_gt_u32_e32 vcc, 8, v58
	v_cndmask_b32_e32 v58, v59, v61, vcc
	v_cndmask_b32_e32 v51, v51, v60, vcc
	v_lshlrev_b32_e32 v46, 24, v46
	v_lshlrev_b32_e32 v51, 20, v51
	v_and_b32_e32 v46, 0x80000000, v46
	v_lshl_add_u32 v58, v58, 23, v55
	v_or3_b32 v51, v46, v58, v51
.LBB650_423:                            ;   in Loop: Header=BB650_215 Depth=1
	s_or_b64 exec, exec, s[18:19]
.LBB650_424:                            ;   in Loop: Header=BB650_215 Depth=1
	s_or_b64 exec, exec, s[16:17]
.LBB650_425:                            ;   in Loop: Header=BB650_215 Depth=1
	s_or_b64 exec, exec, s[14:15]
	v_cmp_lt_u32_e32 vcc, s22, v44
	v_mov_b32_e32 v58, 0
	v_mov_b32_e32 v59, 0
	s_and_saveexec_b64 s[14:15], vcc
	s_cbranch_execz .LBB650_431
; %bb.426:                              ;   in Loop: Header=BB650_215 Depth=1
	v_lshrrev_b32_e32 v46, 24, v44
	v_cmp_ne_u32_e32 vcc, s9, v46
	v_bfrev_b32_e32 v59, 1
	s_and_saveexec_b64 s[16:17], vcc
	s_cbranch_execz .LBB650_430
; %bb.427:                              ;   in Loop: Header=BB650_215 Depth=1
	v_bfe_u32 v44, v44, 24, 7
	v_cmp_ne_u32_e32 vcc, s21, v44
	v_mov_b32_e32 v59, 0x7f800001
	s_and_saveexec_b64 s[18:19], vcc
	s_cbranch_execz .LBB650_429
; %bb.428:                              ;   in Loop: Header=BB650_215 Depth=1
	v_and_b32_e32 v59, 7, v46
	v_ffbh_u32_e32 v60, v59
	v_min_u32_e32 v63, 32, v60
	v_subrev_u32_e32 v60, 28, v63
	v_lshlrev_b64 v[60:61], v60, v[46:47]
	v_lshrrev_b32_e32 v62, 3, v44
	v_sub_u32_e32 v61, 29, v63
	v_and_b32_e32 v60, 7, v60
	v_cmp_gt_u32_e32 vcc, 8, v44
	v_cndmask_b32_e32 v44, v62, v61, vcc
	v_cndmask_b32_e32 v59, v59, v60, vcc
	v_lshlrev_b32_e32 v46, 24, v46
	v_lshlrev_b32_e32 v59, 20, v59
	v_and_b32_e32 v46, 0x80000000, v46
	v_lshl_add_u32 v44, v44, 23, v55
	v_or3_b32 v59, v46, v44, v59
.LBB650_429:                            ;   in Loop: Header=BB650_215 Depth=1
	s_or_b64 exec, exec, s[18:19]
.LBB650_430:                            ;   in Loop: Header=BB650_215 Depth=1
	s_or_b64 exec, exec, s[16:17]
.LBB650_431:                            ;   in Loop: Header=BB650_215 Depth=1
	s_or_b64 exec, exec, s[14:15]
	s_waitcnt vmcnt(2)
	v_cmp_ne_u16_sdwa s[16:17], v42, v54 src0_sel:BYTE_0 src1_sel:DWORD
	s_and_saveexec_b64 s[14:15], s[16:17]
	s_cbranch_execz .LBB650_437
; %bb.432:                              ;   in Loop: Header=BB650_215 Depth=1
	v_cmp_ne_u16_sdwa s[18:19], v42, s9 src0_sel:BYTE_0 src1_sel:DWORD
	v_bfrev_b32_e32 v58, 1
	s_and_saveexec_b64 s[16:17], s[18:19]
	s_cbranch_execz .LBB650_436
; %bb.433:                              ;   in Loop: Header=BB650_215 Depth=1
	v_and_b32_e32 v44, 0x7f, v42
	v_cmp_ne_u32_e32 vcc, s21, v44
	v_mov_b32_e32 v58, 0x7f800001
	s_and_saveexec_b64 s[18:19], vcc
	s_cbranch_execz .LBB650_435
; %bb.434:                              ;   in Loop: Header=BB650_215 Depth=1
	v_and_b32_e32 v46, 7, v42
	v_ffbh_u32_e32 v60, v46
	v_min_u32_e32 v62, 32, v60
	v_subrev_u32_e32 v60, 28, v62
	v_lshlrev_b64 v[60:61], v60, v[42:43]
	v_lshrrev_b32_e32 v58, 3, v44
	v_sub_u32_e32 v61, 29, v62
	v_and_b32_e32 v60, 7, v60
	v_cmp_gt_u32_e32 vcc, 8, v44
	v_cndmask_b32_e32 v44, v58, v61, vcc
	v_cndmask_b32_e32 v46, v46, v60, vcc
	v_lshlrev_b32_e32 v58, 24, v42
	v_lshlrev_b32_e32 v46, 20, v46
	v_and_b32_e32 v58, 0x80000000, v58
	v_lshl_add_u32 v44, v44, 23, v55
	v_or3_b32 v58, v58, v44, v46
.LBB650_435:                            ;   in Loop: Header=BB650_215 Depth=1
	s_or_b64 exec, exec, s[18:19]
.LBB650_436:                            ;   in Loop: Header=BB650_215 Depth=1
	s_or_b64 exec, exec, s[16:17]
.LBB650_437:                            ;   in Loop: Header=BB650_215 Depth=1
	s_or_b64 exec, exec, s[14:15]
	v_lshrrev_b16_e32 v44, 8, v42
	v_cmp_ne_u16_e32 vcc, 0, v44
	v_mov_b32_e32 v60, 0
	v_mov_b32_e32 v61, 0
	s_and_saveexec_b64 s[14:15], vcc
	s_cbranch_execz .LBB650_443
; %bb.438:                              ;   in Loop: Header=BB650_215 Depth=1
	v_cmp_ne_u16_e32 vcc, s9, v44
	v_bfrev_b32_e32 v61, 1
	s_and_saveexec_b64 s[16:17], vcc
	s_cbranch_execz .LBB650_442
; %bb.439:                              ;   in Loop: Header=BB650_215 Depth=1
	v_and_b32_e32 v46, 0x7f, v44
	v_cmp_ne_u32_e32 vcc, s21, v46
	v_mov_b32_e32 v61, 0x7f800001
	s_and_saveexec_b64 s[18:19], vcc
	s_cbranch_execz .LBB650_441
; %bb.440:                              ;   in Loop: Header=BB650_215 Depth=1
	v_and_b32_e32 v61, 7, v44
	v_ffbh_u32_e32 v62, v61
	v_min_u32_e32 v65, 32, v62
	v_subrev_u32_e32 v62, 28, v65
	v_lshlrev_b64 v[62:63], v62, v[44:45]
	v_lshrrev_b32_e32 v64, 3, v46
	v_sub_u32_e32 v44, 29, v65
	v_and_b32_e32 v62, 7, v62
	v_cmp_gt_u32_e32 vcc, 8, v46
	v_cndmask_b32_e32 v44, v64, v44, vcc
	v_cndmask_b32_e32 v46, v61, v62, vcc
	v_lshlrev_b32_e32 v61, 16, v42
	v_lshlrev_b32_e32 v46, 20, v46
	v_and_b32_e32 v61, 0x80000000, v61
	v_lshl_add_u32 v44, v44, 23, v55
	v_or3_b32 v61, v61, v44, v46
.LBB650_441:                            ;   in Loop: Header=BB650_215 Depth=1
	s_or_b64 exec, exec, s[18:19]
.LBB650_442:                            ;   in Loop: Header=BB650_215 Depth=1
	s_or_b64 exec, exec, s[16:17]
.LBB650_443:                            ;   in Loop: Header=BB650_215 Depth=1
	s_or_b64 exec, exec, s[14:15]
	v_lshrrev_b32_e32 v44, 16, v42
	v_cmp_ne_u16_sdwa s[16:17], v44, v54 src0_sel:BYTE_0 src1_sel:DWORD
	s_and_saveexec_b64 s[14:15], s[16:17]
	s_cbranch_execz .LBB650_449
; %bb.444:                              ;   in Loop: Header=BB650_215 Depth=1
	v_cmp_ne_u16_sdwa s[18:19], v44, s9 src0_sel:BYTE_0 src1_sel:DWORD
	v_bfrev_b32_e32 v60, 1
	s_and_saveexec_b64 s[16:17], s[18:19]
	s_cbranch_execz .LBB650_448
; %bb.445:                              ;   in Loop: Header=BB650_215 Depth=1
	v_bfe_u32 v46, v42, 16, 7
	v_cmp_ne_u32_e32 vcc, s21, v46
	v_mov_b32_e32 v60, 0x7f800001
	s_and_saveexec_b64 s[18:19], vcc
	s_cbranch_execz .LBB650_447
; %bb.446:                              ;   in Loop: Header=BB650_215 Depth=1
	v_and_b32_e32 v60, 7, v44
	v_ffbh_u32_e32 v62, v60
	v_min_u32_e32 v65, 32, v62
	v_subrev_u32_e32 v62, 28, v65
	v_lshlrev_b64 v[62:63], v62, v[44:45]
	v_lshrrev_b32_e32 v64, 3, v46
	v_sub_u32_e32 v63, 29, v65
	v_and_b32_e32 v62, 7, v62
	v_cmp_gt_u32_e32 vcc, 8, v46
	v_cndmask_b32_e32 v46, v64, v63, vcc
	v_cndmask_b32_e32 v60, v60, v62, vcc
	v_lshlrev_b32_e32 v44, 24, v44
	v_lshlrev_b32_e32 v60, 20, v60
	v_and_b32_e32 v44, 0x80000000, v44
	v_lshl_add_u32 v46, v46, 23, v55
	v_or3_b32 v60, v44, v46, v60
.LBB650_447:                            ;   in Loop: Header=BB650_215 Depth=1
	s_or_b64 exec, exec, s[18:19]
.LBB650_448:                            ;   in Loop: Header=BB650_215 Depth=1
	s_or_b64 exec, exec, s[16:17]
.LBB650_449:                            ;   in Loop: Header=BB650_215 Depth=1
	s_or_b64 exec, exec, s[14:15]
	v_cmp_lt_u32_e32 vcc, s22, v42
	v_mov_b32_e32 v46, 0
	v_mov_b32_e32 v62, 0
	s_and_saveexec_b64 s[14:15], vcc
	s_cbranch_execz .LBB650_455
; %bb.450:                              ;   in Loop: Header=BB650_215 Depth=1
	v_lshrrev_b32_e32 v44, 24, v42
	v_cmp_ne_u32_e32 vcc, s9, v44
	v_bfrev_b32_e32 v62, 1
	s_and_saveexec_b64 s[16:17], vcc
	s_cbranch_execz .LBB650_454
; %bb.451:                              ;   in Loop: Header=BB650_215 Depth=1
	v_bfe_u32 v42, v42, 24, 7
	v_cmp_ne_u32_e32 vcc, s21, v42
	v_mov_b32_e32 v62, 0x7f800001
	s_and_saveexec_b64 s[18:19], vcc
	s_cbranch_execz .LBB650_453
; %bb.452:                              ;   in Loop: Header=BB650_215 Depth=1
	v_and_b32_e32 v64, 7, v44
	v_ffbh_u32_e32 v62, v64
	v_min_u32_e32 v66, 32, v62
	v_subrev_u32_e32 v62, 28, v66
	v_lshlrev_b64 v[62:63], v62, v[44:45]
	v_lshrrev_b32_e32 v65, 3, v42
	v_sub_u32_e32 v63, 29, v66
	v_and_b32_e32 v62, 7, v62
	v_cmp_gt_u32_e32 vcc, 8, v42
	v_cndmask_b32_e32 v42, v65, v63, vcc
	v_cndmask_b32_e32 v62, v64, v62, vcc
	v_lshlrev_b32_e32 v44, 24, v44
	v_lshlrev_b32_e32 v62, 20, v62
	v_and_b32_e32 v44, 0x80000000, v44
	v_lshl_add_u32 v42, v42, 23, v55
	v_or3_b32 v62, v44, v42, v62
.LBB650_453:                            ;   in Loop: Header=BB650_215 Depth=1
	s_or_b64 exec, exec, s[18:19]
.LBB650_454:                            ;   in Loop: Header=BB650_215 Depth=1
	s_or_b64 exec, exec, s[16:17]
.LBB650_455:                            ;   in Loop: Header=BB650_215 Depth=1
	s_or_b64 exec, exec, s[14:15]
	v_cvt_pkrtz_f16_f32 v56, v56, v57
	v_cvt_pkrtz_f16_f32 v57, v51, v59
	s_waitcnt vmcnt(1)
	v_cmp_ne_u16_sdwa s[16:17], v40, v54 src0_sel:BYTE_0 src1_sel:DWORD
	v_mfma_f32_16x16x16f16 v[34:37], v[56:57], v[18:19], v[34:37]
	v_cvt_pkrtz_f16_f32 v56, v58, v61
	v_cvt_pkrtz_f16_f32 v57, v60, v62
	s_nop 1
	v_mfma_f32_16x16x16f16 v[34:37], v[56:57], v[20:21], v[34:37]
	s_and_saveexec_b64 s[14:15], s[16:17]
	s_cbranch_execz .LBB650_461
; %bb.456:                              ;   in Loop: Header=BB650_215 Depth=1
	v_cmp_ne_u16_sdwa s[18:19], v40, s9 src0_sel:BYTE_0 src1_sel:DWORD
	v_bfrev_b32_e32 v46, 1
	s_and_saveexec_b64 s[16:17], s[18:19]
	s_cbranch_execz .LBB650_460
; %bb.457:                              ;   in Loop: Header=BB650_215 Depth=1
	v_and_b32_e32 v42, 0x7f, v40
	v_cmp_ne_u32_e32 vcc, s21, v42
	v_mov_b32_e32 v46, 0x7f800001
	s_and_saveexec_b64 s[18:19], vcc
	s_cbranch_execz .LBB650_459
; %bb.458:                              ;   in Loop: Header=BB650_215 Depth=1
	v_and_b32_e32 v44, 7, v40
	v_ffbh_u32_e32 v51, v44
	v_min_u32_e32 v51, 32, v51
	v_subrev_u32_e32 v56, 28, v51
	v_lshlrev_b64 v[56:57], v56, v[40:41]
	v_lshrrev_b32_e32 v46, 3, v42
	v_sub_u32_e32 v51, 29, v51
	v_and_b32_e32 v56, 7, v56
	v_cmp_gt_u32_e32 vcc, 8, v42
	v_cndmask_b32_e32 v42, v46, v51, vcc
	v_cndmask_b32_e32 v44, v44, v56, vcc
	v_lshlrev_b32_e32 v46, 24, v40
	v_lshlrev_b32_e32 v44, 20, v44
	v_and_b32_e32 v46, 0x80000000, v46
	v_lshl_add_u32 v42, v42, 23, v55
	v_or3_b32 v46, v46, v42, v44
.LBB650_459:                            ;   in Loop: Header=BB650_215 Depth=1
	s_or_b64 exec, exec, s[18:19]
.LBB650_460:                            ;   in Loop: Header=BB650_215 Depth=1
	s_or_b64 exec, exec, s[16:17]
.LBB650_461:                            ;   in Loop: Header=BB650_215 Depth=1
	s_or_b64 exec, exec, s[14:15]
	v_lshrrev_b16_e32 v42, 8, v40
	v_cmp_ne_u16_e32 vcc, 0, v42
	v_mov_b32_e32 v44, 0
	v_mov_b32_e32 v56, 0
	s_and_saveexec_b64 s[14:15], vcc
	s_cbranch_execz .LBB650_467
; %bb.462:                              ;   in Loop: Header=BB650_215 Depth=1
	v_cmp_ne_u16_e32 vcc, s9, v42
	v_bfrev_b32_e32 v56, 1
	s_and_saveexec_b64 s[16:17], vcc
	s_cbranch_execz .LBB650_466
; %bb.463:                              ;   in Loop: Header=BB650_215 Depth=1
	v_and_b32_e32 v51, 0x7f, v42
	v_cmp_ne_u32_e32 vcc, s21, v51
	v_mov_b32_e32 v56, 0x7f800001
	s_and_saveexec_b64 s[18:19], vcc
	s_cbranch_execz .LBB650_465
; %bb.464:                              ;   in Loop: Header=BB650_215 Depth=1
	v_and_b32_e32 v58, 7, v42
	v_ffbh_u32_e32 v56, v58
	v_min_u32_e32 v60, 32, v56
	v_subrev_u32_e32 v56, 28, v60
	v_lshlrev_b64 v[56:57], v56, v[42:43]
	v_lshrrev_b32_e32 v59, 3, v51
	v_sub_u32_e32 v42, 29, v60
	v_and_b32_e32 v56, 7, v56
	v_cmp_gt_u32_e32 vcc, 8, v51
	v_cndmask_b32_e32 v42, v59, v42, vcc
	v_cndmask_b32_e32 v51, v58, v56, vcc
	v_lshlrev_b32_e32 v56, 16, v40
	v_lshlrev_b32_e32 v51, 20, v51
	v_and_b32_e32 v56, 0x80000000, v56
	v_lshl_add_u32 v42, v42, 23, v55
	v_or3_b32 v56, v56, v42, v51
.LBB650_465:                            ;   in Loop: Header=BB650_215 Depth=1
	s_or_b64 exec, exec, s[18:19]
.LBB650_466:                            ;   in Loop: Header=BB650_215 Depth=1
	s_or_b64 exec, exec, s[16:17]
.LBB650_467:                            ;   in Loop: Header=BB650_215 Depth=1
	s_or_b64 exec, exec, s[14:15]
	v_lshrrev_b32_e32 v42, 16, v40
	v_cmp_ne_u16_sdwa s[16:17], v42, v54 src0_sel:BYTE_0 src1_sel:DWORD
	s_and_saveexec_b64 s[14:15], s[16:17]
	s_cbranch_execz .LBB650_473
; %bb.468:                              ;   in Loop: Header=BB650_215 Depth=1
	v_cmp_ne_u16_sdwa s[18:19], v42, s9 src0_sel:BYTE_0 src1_sel:DWORD
	v_bfrev_b32_e32 v44, 1
	s_and_saveexec_b64 s[16:17], s[18:19]
	s_cbranch_execz .LBB650_472
; %bb.469:                              ;   in Loop: Header=BB650_215 Depth=1
	v_bfe_u32 v51, v40, 16, 7
	v_cmp_ne_u32_e32 vcc, s21, v51
	v_mov_b32_e32 v44, 0x7f800001
	s_and_saveexec_b64 s[18:19], vcc
	s_cbranch_execz .LBB650_471
; %bb.470:                              ;   in Loop: Header=BB650_215 Depth=1
	v_and_b32_e32 v44, 7, v42
	v_ffbh_u32_e32 v58, v44
	v_min_u32_e32 v60, 32, v58
	v_subrev_u32_e32 v58, 28, v60
	v_lshlrev_b64 v[58:59], v58, v[42:43]
	v_lshrrev_b32_e32 v57, 3, v51
	v_sub_u32_e32 v59, 29, v60
	v_and_b32_e32 v58, 7, v58
	v_cmp_gt_u32_e32 vcc, 8, v51
	v_cndmask_b32_e32 v51, v57, v59, vcc
	v_cndmask_b32_e32 v44, v44, v58, vcc
	v_lshlrev_b32_e32 v42, 24, v42
	v_lshlrev_b32_e32 v44, 20, v44
	v_and_b32_e32 v42, 0x80000000, v42
	v_lshl_add_u32 v51, v51, 23, v55
	v_or3_b32 v44, v42, v51, v44
.LBB650_471:                            ;   in Loop: Header=BB650_215 Depth=1
	s_or_b64 exec, exec, s[18:19]
.LBB650_472:                            ;   in Loop: Header=BB650_215 Depth=1
	s_or_b64 exec, exec, s[16:17]
.LBB650_473:                            ;   in Loop: Header=BB650_215 Depth=1
	s_or_b64 exec, exec, s[14:15]
	v_cmp_lt_u32_e32 vcc, s22, v40
	v_mov_b32_e32 v57, 0
	v_mov_b32_e32 v58, 0
	s_and_saveexec_b64 s[14:15], vcc
	s_cbranch_execz .LBB650_479
; %bb.474:                              ;   in Loop: Header=BB650_215 Depth=1
	v_lshrrev_b32_e32 v42, 24, v40
	v_cmp_ne_u32_e32 vcc, s9, v42
	v_bfrev_b32_e32 v58, 1
	s_and_saveexec_b64 s[16:17], vcc
	s_cbranch_execz .LBB650_478
; %bb.475:                              ;   in Loop: Header=BB650_215 Depth=1
	v_bfe_u32 v40, v40, 24, 7
	v_cmp_ne_u32_e32 vcc, s21, v40
	v_mov_b32_e32 v58, 0x7f800001
	s_and_saveexec_b64 s[18:19], vcc
	s_cbranch_execz .LBB650_477
; %bb.476:                              ;   in Loop: Header=BB650_215 Depth=1
	v_and_b32_e32 v51, 7, v42
	v_ffbh_u32_e32 v58, v51
	v_min_u32_e32 v61, 32, v58
	v_subrev_u32_e32 v58, 28, v61
	v_lshlrev_b64 v[58:59], v58, v[42:43]
	v_lshrrev_b32_e32 v60, 3, v40
	v_sub_u32_e32 v59, 29, v61
	v_and_b32_e32 v58, 7, v58
	v_cmp_gt_u32_e32 vcc, 8, v40
	v_cndmask_b32_e32 v40, v60, v59, vcc
	v_cndmask_b32_e32 v51, v51, v58, vcc
	v_lshlrev_b32_e32 v42, 24, v42
	v_lshlrev_b32_e32 v51, 20, v51
	v_and_b32_e32 v42, 0x80000000, v42
	v_lshl_add_u32 v40, v40, 23, v55
	v_or3_b32 v58, v42, v40, v51
.LBB650_477:                            ;   in Loop: Header=BB650_215 Depth=1
	s_or_b64 exec, exec, s[18:19]
.LBB650_478:                            ;   in Loop: Header=BB650_215 Depth=1
	s_or_b64 exec, exec, s[16:17]
.LBB650_479:                            ;   in Loop: Header=BB650_215 Depth=1
	s_or_b64 exec, exec, s[14:15]
	s_waitcnt vmcnt(0)
	v_cmp_ne_u16_sdwa s[16:17], v38, v54 src0_sel:BYTE_0 src1_sel:DWORD
	s_and_saveexec_b64 s[14:15], s[16:17]
	s_cbranch_execz .LBB650_485
; %bb.480:                              ;   in Loop: Header=BB650_215 Depth=1
	v_cmp_ne_u16_sdwa s[18:19], v38, s9 src0_sel:BYTE_0 src1_sel:DWORD
	v_bfrev_b32_e32 v57, 1
	s_and_saveexec_b64 s[16:17], s[18:19]
	s_cbranch_execz .LBB650_484
; %bb.481:                              ;   in Loop: Header=BB650_215 Depth=1
	v_and_b32_e32 v40, 0x7f, v38
	v_cmp_ne_u32_e32 vcc, s21, v40
	v_mov_b32_e32 v57, 0x7f800001
	s_and_saveexec_b64 s[18:19], vcc
	s_cbranch_execz .LBB650_483
; %bb.482:                              ;   in Loop: Header=BB650_215 Depth=1
	v_and_b32_e32 v42, 7, v38
	v_ffbh_u32_e32 v57, v42
	v_min_u32_e32 v57, 32, v57
	v_subrev_u32_e32 v59, 28, v57
	v_lshlrev_b64 v[60:61], v59, v[38:39]
	v_lshrrev_b32_e32 v51, 3, v40
	v_sub_u32_e32 v57, 29, v57
	v_and_b32_e32 v59, 7, v60
	v_cmp_gt_u32_e32 vcc, 8, v40
	v_cndmask_b32_e32 v40, v51, v57, vcc
	v_cndmask_b32_e32 v42, v42, v59, vcc
	v_lshlrev_b32_e32 v51, 24, v38
	v_lshlrev_b32_e32 v42, 20, v42
	v_and_b32_e32 v51, 0x80000000, v51
	v_lshl_add_u32 v40, v40, 23, v55
	v_or3_b32 v57, v51, v40, v42
.LBB650_483:                            ;   in Loop: Header=BB650_215 Depth=1
	s_or_b64 exec, exec, s[18:19]
.LBB650_484:                            ;   in Loop: Header=BB650_215 Depth=1
	s_or_b64 exec, exec, s[16:17]
.LBB650_485:                            ;   in Loop: Header=BB650_215 Depth=1
	s_or_b64 exec, exec, s[14:15]
	v_lshrrev_b16_e32 v40, 8, v38
	v_cmp_ne_u16_e32 vcc, 0, v40
	v_mov_b32_e32 v59, 0
	v_mov_b32_e32 v60, 0
	s_and_saveexec_b64 s[14:15], vcc
	s_cbranch_execz .LBB650_491
; %bb.486:                              ;   in Loop: Header=BB650_215 Depth=1
	v_cmp_ne_u16_e32 vcc, s9, v40
	v_bfrev_b32_e32 v60, 1
	s_and_saveexec_b64 s[16:17], vcc
	s_cbranch_execz .LBB650_490
; %bb.487:                              ;   in Loop: Header=BB650_215 Depth=1
	v_and_b32_e32 v42, 0x7f, v40
	v_cmp_ne_u32_e32 vcc, s21, v42
	v_mov_b32_e32 v60, 0x7f800001
	s_and_saveexec_b64 s[18:19], vcc
	s_cbranch_execz .LBB650_489
; %bb.488:                              ;   in Loop: Header=BB650_215 Depth=1
	v_and_b32_e32 v51, 7, v40
	v_ffbh_u32_e32 v60, v51
	v_min_u32_e32 v63, 32, v60
	v_subrev_u32_e32 v60, 28, v63
	v_lshlrev_b64 v[60:61], v60, v[40:41]
	v_lshrrev_b32_e32 v62, 3, v42
	v_sub_u32_e32 v40, 29, v63
	v_and_b32_e32 v60, 7, v60
	v_cmp_gt_u32_e32 vcc, 8, v42
	v_cndmask_b32_e32 v40, v62, v40, vcc
	v_cndmask_b32_e32 v42, v51, v60, vcc
	v_lshlrev_b32_e32 v51, 16, v38
	v_lshlrev_b32_e32 v42, 20, v42
	v_and_b32_e32 v51, 0x80000000, v51
	v_lshl_add_u32 v40, v40, 23, v55
	v_or3_b32 v60, v51, v40, v42
.LBB650_489:                            ;   in Loop: Header=BB650_215 Depth=1
	s_or_b64 exec, exec, s[18:19]
.LBB650_490:                            ;   in Loop: Header=BB650_215 Depth=1
	s_or_b64 exec, exec, s[16:17]
.LBB650_491:                            ;   in Loop: Header=BB650_215 Depth=1
	s_or_b64 exec, exec, s[14:15]
	v_lshrrev_b32_e32 v40, 16, v38
	v_cmp_ne_u16_sdwa s[16:17], v40, v54 src0_sel:BYTE_0 src1_sel:DWORD
	s_and_saveexec_b64 s[14:15], s[16:17]
	s_cbranch_execz .LBB650_497
; %bb.492:                              ;   in Loop: Header=BB650_215 Depth=1
	v_cmp_ne_u16_sdwa s[18:19], v40, s9 src0_sel:BYTE_0 src1_sel:DWORD
	v_bfrev_b32_e32 v59, 1
	s_and_saveexec_b64 s[16:17], s[18:19]
	s_cbranch_execz .LBB650_496
; %bb.493:                              ;   in Loop: Header=BB650_215 Depth=1
	v_bfe_u32 v42, v38, 16, 7
	v_cmp_ne_u32_e32 vcc, s21, v42
	v_mov_b32_e32 v59, 0x7f800001
	s_and_saveexec_b64 s[18:19], vcc
	s_cbranch_execz .LBB650_495
; %bb.494:                              ;   in Loop: Header=BB650_215 Depth=1
	v_and_b32_e32 v51, 7, v40
	v_ffbh_u32_e32 v61, v51
	v_min_u32_e32 v61, 32, v61
	v_subrev_u32_e32 v62, 28, v61
	v_lshlrev_b64 v[62:63], v62, v[40:41]
	v_lshrrev_b32_e32 v59, 3, v42
	v_sub_u32_e32 v61, 29, v61
	v_and_b32_e32 v62, 7, v62
	v_cmp_gt_u32_e32 vcc, 8, v42
	v_cndmask_b32_e32 v42, v59, v61, vcc
	v_cndmask_b32_e32 v51, v51, v62, vcc
	v_lshlrev_b32_e32 v40, 24, v40
	v_lshlrev_b32_e32 v51, 20, v51
	v_and_b32_e32 v40, 0x80000000, v40
	v_lshl_add_u32 v42, v42, 23, v55
	v_or3_b32 v59, v40, v42, v51
.LBB650_495:                            ;   in Loop: Header=BB650_215 Depth=1
	s_or_b64 exec, exec, s[18:19]
.LBB650_496:                            ;   in Loop: Header=BB650_215 Depth=1
	s_or_b64 exec, exec, s[16:17]
.LBB650_497:                            ;   in Loop: Header=BB650_215 Depth=1
	s_or_b64 exec, exec, s[14:15]
	v_cmp_lt_u32_e32 vcc, s22, v38
	v_mov_b32_e32 v51, 0
	v_mov_b32_e32 v61, 0
	s_and_saveexec_b64 s[14:15], vcc
	s_cbranch_execz .LBB650_503
; %bb.498:                              ;   in Loop: Header=BB650_215 Depth=1
	v_lshrrev_b32_e32 v40, 24, v38
	v_cmp_ne_u32_e32 vcc, s9, v40
	v_bfrev_b32_e32 v61, 1
	s_and_saveexec_b64 s[16:17], vcc
	s_cbranch_execz .LBB650_502
; %bb.499:                              ;   in Loop: Header=BB650_215 Depth=1
	v_bfe_u32 v38, v38, 24, 7
	v_cmp_ne_u32_e32 vcc, s21, v38
	v_mov_b32_e32 v61, 0x7f800001
	s_and_saveexec_b64 s[18:19], vcc
	s_cbranch_execz .LBB650_501
; %bb.500:                              ;   in Loop: Header=BB650_215 Depth=1
	v_and_b32_e32 v42, 7, v40
	v_ffbh_u32_e32 v62, v42
	v_min_u32_e32 v64, 32, v62
	v_subrev_u32_e32 v62, 28, v64
	v_lshlrev_b64 v[62:63], v62, v[40:41]
	v_lshrrev_b32_e32 v61, 3, v38
	v_sub_u32_e32 v63, 29, v64
	v_and_b32_e32 v62, 7, v62
	v_cmp_gt_u32_e32 vcc, 8, v38
	v_cndmask_b32_e32 v38, v61, v63, vcc
	v_cndmask_b32_e32 v42, v42, v62, vcc
	v_lshlrev_b32_e32 v40, 24, v40
	v_lshlrev_b32_e32 v42, 20, v42
	v_and_b32_e32 v40, 0x80000000, v40
	v_lshl_add_u32 v38, v38, 23, v55
	v_or3_b32 v61, v40, v38, v42
.LBB650_501:                            ;   in Loop: Header=BB650_215 Depth=1
	s_or_b64 exec, exec, s[18:19]
.LBB650_502:                            ;   in Loop: Header=BB650_215 Depth=1
	s_or_b64 exec, exec, s[16:17]
.LBB650_503:                            ;   in Loop: Header=BB650_215 Depth=1
	s_or_b64 exec, exec, s[14:15]
	v_cvt_pkrtz_f16_f32 v63, v44, v58
	buffer_load_dword v44, v50, s[0:3], 0 offen
	buffer_load_dword v42, v50, s[0:3], 0 offen offset:4
	buffer_load_dword v40, v50, s[0:3], 0 offen offset:8
	;; [unrolled: 1-line block ×3, first 2 shown]
	v_cvt_pkrtz_f16_f32 v62, v46, v56
	v_cvt_pkrtz_f16_f32 v56, v57, v60
	;; [unrolled: 1-line block ×3, first 2 shown]
	v_mfma_f32_16x16x16f16 v[34:37], v[62:63], v[22:23], v[34:37]
	s_waitcnt vmcnt(3)
	v_cmp_ne_u16_sdwa s[16:17], v44, v54 src0_sel:BYTE_0 src1_sel:DWORD
	v_mfma_f32_16x16x16f16 v[34:37], v[56:57], v[24:25], v[34:37]
	s_and_saveexec_b64 s[14:15], s[16:17]
	s_cbranch_execz .LBB650_509
; %bb.504:                              ;   in Loop: Header=BB650_215 Depth=1
	v_cmp_ne_u16_sdwa s[18:19], v44, s9 src0_sel:BYTE_0 src1_sel:DWORD
	v_bfrev_b32_e32 v51, 1
	s_and_saveexec_b64 s[16:17], s[18:19]
	s_cbranch_execz .LBB650_508
; %bb.505:                              ;   in Loop: Header=BB650_215 Depth=1
	v_and_b32_e32 v46, 0x7f, v44
	v_cmp_ne_u32_e32 vcc, s21, v46
	v_mov_b32_e32 v51, 0x7f800001
	s_and_saveexec_b64 s[18:19], vcc
	s_cbranch_execz .LBB650_507
; %bb.506:                              ;   in Loop: Header=BB650_215 Depth=1
	v_and_b32_e32 v56, 7, v44
	v_ffbh_u32_e32 v50, v56
	v_min_u32_e32 v58, 32, v50
	v_subrev_u32_e32 v50, 28, v58
	v_lshlrev_b64 v[50:51], v50, v[44:45]
	v_lshrrev_b32_e32 v57, 3, v46
	v_sub_u32_e32 v51, 29, v58
	v_and_b32_e32 v50, 7, v50
	v_cmp_gt_u32_e32 vcc, 8, v46
	v_cndmask_b32_e32 v46, v57, v51, vcc
	v_cndmask_b32_e32 v50, v56, v50, vcc
	v_lshlrev_b32_e32 v51, 24, v44
	v_lshlrev_b32_e32 v50, 20, v50
	v_and_b32_e32 v51, 0x80000000, v51
	v_lshl_add_u32 v46, v46, 23, v55
	v_or3_b32 v51, v51, v46, v50
.LBB650_507:                            ;   in Loop: Header=BB650_215 Depth=1
	s_or_b64 exec, exec, s[18:19]
.LBB650_508:                            ;   in Loop: Header=BB650_215 Depth=1
	s_or_b64 exec, exec, s[16:17]
.LBB650_509:                            ;   in Loop: Header=BB650_215 Depth=1
	s_or_b64 exec, exec, s[14:15]
	v_lshrrev_b16_e32 v46, 8, v44
	v_cmp_ne_u16_e32 vcc, 0, v46
	v_mov_b32_e32 v50, 0
	v_mov_b32_e32 v56, 0
	s_and_saveexec_b64 s[14:15], vcc
	s_cbranch_execz .LBB650_515
; %bb.510:                              ;   in Loop: Header=BB650_215 Depth=1
	v_cmp_ne_u16_e32 vcc, s9, v46
	v_bfrev_b32_e32 v56, 1
	s_and_saveexec_b64 s[16:17], vcc
	s_cbranch_execz .LBB650_514
; %bb.511:                              ;   in Loop: Header=BB650_215 Depth=1
	v_and_b32_e32 v57, 0x7f, v46
	v_cmp_ne_u32_e32 vcc, s21, v57
	v_mov_b32_e32 v56, 0x7f800001
	s_and_saveexec_b64 s[18:19], vcc
	s_cbranch_execz .LBB650_513
; %bb.512:                              ;   in Loop: Header=BB650_215 Depth=1
	v_and_b32_e32 v56, 7, v46
	v_ffbh_u32_e32 v58, v56
	v_min_u32_e32 v61, 32, v58
	v_subrev_u32_e32 v58, 28, v61
	v_lshlrev_b64 v[58:59], v58, v[46:47]
	v_lshrrev_b32_e32 v60, 3, v57
	v_sub_u32_e32 v46, 29, v61
	v_and_b32_e32 v58, 7, v58
	v_cmp_gt_u32_e32 vcc, 8, v57
	v_cndmask_b32_e32 v46, v60, v46, vcc
	v_cndmask_b32_e32 v56, v56, v58, vcc
	v_lshlrev_b32_e32 v57, 16, v44
	v_lshlrev_b32_e32 v56, 20, v56
	v_and_b32_e32 v57, 0x80000000, v57
	v_lshl_add_u32 v46, v46, 23, v55
	v_or3_b32 v56, v57, v46, v56
.LBB650_513:                            ;   in Loop: Header=BB650_215 Depth=1
	s_or_b64 exec, exec, s[18:19]
.LBB650_514:                            ;   in Loop: Header=BB650_215 Depth=1
	s_or_b64 exec, exec, s[16:17]
.LBB650_515:                            ;   in Loop: Header=BB650_215 Depth=1
	s_or_b64 exec, exec, s[14:15]
	v_lshrrev_b32_e32 v46, 16, v44
	v_cmp_ne_u16_sdwa s[16:17], v46, v54 src0_sel:BYTE_0 src1_sel:DWORD
	s_and_saveexec_b64 s[14:15], s[16:17]
	s_cbranch_execz .LBB650_521
; %bb.516:                              ;   in Loop: Header=BB650_215 Depth=1
	v_cmp_ne_u16_sdwa s[18:19], v46, s9 src0_sel:BYTE_0 src1_sel:DWORD
	v_bfrev_b32_e32 v50, 1
	s_and_saveexec_b64 s[16:17], s[18:19]
	s_cbranch_execz .LBB650_520
; %bb.517:                              ;   in Loop: Header=BB650_215 Depth=1
	v_bfe_u32 v57, v44, 16, 7
	v_cmp_ne_u32_e32 vcc, s21, v57
	v_mov_b32_e32 v50, 0x7f800001
	s_and_saveexec_b64 s[18:19], vcc
	s_cbranch_execz .LBB650_519
; %bb.518:                              ;   in Loop: Header=BB650_215 Depth=1
	v_and_b32_e32 v50, 7, v46
	v_ffbh_u32_e32 v58, v50
	v_min_u32_e32 v61, 32, v58
	v_subrev_u32_e32 v58, 28, v61
	v_lshlrev_b64 v[58:59], v58, v[46:47]
	v_lshrrev_b32_e32 v60, 3, v57
	v_sub_u32_e32 v59, 29, v61
	v_and_b32_e32 v58, 7, v58
	v_cmp_gt_u32_e32 vcc, 8, v57
	v_cndmask_b32_e32 v57, v60, v59, vcc
	v_cndmask_b32_e32 v50, v50, v58, vcc
	v_lshlrev_b32_e32 v46, 24, v46
	v_lshlrev_b32_e32 v50, 20, v50
	v_and_b32_e32 v46, 0x80000000, v46
	v_lshl_add_u32 v57, v57, 23, v55
	v_or3_b32 v50, v46, v57, v50
.LBB650_519:                            ;   in Loop: Header=BB650_215 Depth=1
	s_or_b64 exec, exec, s[18:19]
.LBB650_520:                            ;   in Loop: Header=BB650_215 Depth=1
	s_or_b64 exec, exec, s[16:17]
.LBB650_521:                            ;   in Loop: Header=BB650_215 Depth=1
	s_or_b64 exec, exec, s[14:15]
	v_cmp_lt_u32_e32 vcc, s22, v44
	v_mov_b32_e32 v57, 0
	v_mov_b32_e32 v58, 0
	s_and_saveexec_b64 s[14:15], vcc
	s_cbranch_execz .LBB650_527
; %bb.522:                              ;   in Loop: Header=BB650_215 Depth=1
	v_lshrrev_b32_e32 v46, 24, v44
	v_cmp_ne_u32_e32 vcc, s9, v46
	v_bfrev_b32_e32 v58, 1
	s_and_saveexec_b64 s[16:17], vcc
	s_cbranch_execz .LBB650_526
; %bb.523:                              ;   in Loop: Header=BB650_215 Depth=1
	v_bfe_u32 v44, v44, 24, 7
	v_cmp_ne_u32_e32 vcc, s21, v44
	v_mov_b32_e32 v58, 0x7f800001
	s_and_saveexec_b64 s[18:19], vcc
	s_cbranch_execz .LBB650_525
; %bb.524:                              ;   in Loop: Header=BB650_215 Depth=1
	v_and_b32_e32 v60, 7, v46
	v_ffbh_u32_e32 v58, v60
	v_min_u32_e32 v62, 32, v58
	v_subrev_u32_e32 v58, 28, v62
	v_lshlrev_b64 v[58:59], v58, v[46:47]
	v_lshrrev_b32_e32 v61, 3, v44
	v_sub_u32_e32 v59, 29, v62
	v_and_b32_e32 v58, 7, v58
	v_cmp_gt_u32_e32 vcc, 8, v44
	v_cndmask_b32_e32 v44, v61, v59, vcc
	v_cndmask_b32_e32 v58, v60, v58, vcc
	v_lshlrev_b32_e32 v46, 24, v46
	v_lshlrev_b32_e32 v58, 20, v58
	v_and_b32_e32 v46, 0x80000000, v46
	v_lshl_add_u32 v44, v44, 23, v55
	v_or3_b32 v58, v46, v44, v58
.LBB650_525:                            ;   in Loop: Header=BB650_215 Depth=1
	s_or_b64 exec, exec, s[18:19]
.LBB650_526:                            ;   in Loop: Header=BB650_215 Depth=1
	s_or_b64 exec, exec, s[16:17]
.LBB650_527:                            ;   in Loop: Header=BB650_215 Depth=1
	s_or_b64 exec, exec, s[14:15]
	s_waitcnt vmcnt(2)
	v_cmp_ne_u16_sdwa s[16:17], v42, v54 src0_sel:BYTE_0 src1_sel:DWORD
	s_and_saveexec_b64 s[14:15], s[16:17]
	s_cbranch_execz .LBB650_533
; %bb.528:                              ;   in Loop: Header=BB650_215 Depth=1
	v_cmp_ne_u16_sdwa s[18:19], v42, s9 src0_sel:BYTE_0 src1_sel:DWORD
	v_bfrev_b32_e32 v57, 1
	s_and_saveexec_b64 s[16:17], s[18:19]
	s_cbranch_execz .LBB650_532
; %bb.529:                              ;   in Loop: Header=BB650_215 Depth=1
	v_and_b32_e32 v44, 0x7f, v42
	v_cmp_ne_u32_e32 vcc, s21, v44
	v_mov_b32_e32 v57, 0x7f800001
	s_and_saveexec_b64 s[18:19], vcc
	s_cbranch_execz .LBB650_531
; %bb.530:                              ;   in Loop: Header=BB650_215 Depth=1
	v_and_b32_e32 v46, 7, v42
	v_ffbh_u32_e32 v59, v46
	v_min_u32_e32 v59, 32, v59
	v_subrev_u32_e32 v60, 28, v59
	v_lshlrev_b64 v[60:61], v60, v[42:43]
	v_lshrrev_b32_e32 v57, 3, v44
	v_sub_u32_e32 v59, 29, v59
	v_and_b32_e32 v60, 7, v60
	v_cmp_gt_u32_e32 vcc, 8, v44
	v_cndmask_b32_e32 v44, v57, v59, vcc
	v_cndmask_b32_e32 v46, v46, v60, vcc
	v_lshlrev_b32_e32 v57, 24, v42
	v_lshlrev_b32_e32 v46, 20, v46
	v_and_b32_e32 v57, 0x80000000, v57
	v_lshl_add_u32 v44, v44, 23, v55
	v_or3_b32 v57, v57, v44, v46
.LBB650_531:                            ;   in Loop: Header=BB650_215 Depth=1
	s_or_b64 exec, exec, s[18:19]
.LBB650_532:                            ;   in Loop: Header=BB650_215 Depth=1
	s_or_b64 exec, exec, s[16:17]
.LBB650_533:                            ;   in Loop: Header=BB650_215 Depth=1
	s_or_b64 exec, exec, s[14:15]
	v_lshrrev_b16_e32 v44, 8, v42
	v_cmp_ne_u16_e32 vcc, 0, v44
	v_mov_b32_e32 v59, 0
	v_mov_b32_e32 v60, 0
	s_and_saveexec_b64 s[14:15], vcc
	s_cbranch_execz .LBB650_539
; %bb.534:                              ;   in Loop: Header=BB650_215 Depth=1
	v_cmp_ne_u16_e32 vcc, s9, v44
	v_bfrev_b32_e32 v60, 1
	s_and_saveexec_b64 s[16:17], vcc
	s_cbranch_execz .LBB650_538
; %bb.535:                              ;   in Loop: Header=BB650_215 Depth=1
	v_and_b32_e32 v46, 0x7f, v44
	v_cmp_ne_u32_e32 vcc, s21, v46
	v_mov_b32_e32 v60, 0x7f800001
	s_and_saveexec_b64 s[18:19], vcc
	s_cbranch_execz .LBB650_537
; %bb.536:                              ;   in Loop: Header=BB650_215 Depth=1
	v_and_b32_e32 v62, 7, v44
	v_ffbh_u32_e32 v60, v62
	v_min_u32_e32 v64, 32, v60
	v_subrev_u32_e32 v60, 28, v64
	v_lshlrev_b64 v[60:61], v60, v[44:45]
	v_lshrrev_b32_e32 v63, 3, v46
	v_sub_u32_e32 v44, 29, v64
	v_and_b32_e32 v60, 7, v60
	v_cmp_gt_u32_e32 vcc, 8, v46
	v_cndmask_b32_e32 v44, v63, v44, vcc
	v_cndmask_b32_e32 v46, v62, v60, vcc
	v_lshlrev_b32_e32 v60, 16, v42
	v_lshlrev_b32_e32 v46, 20, v46
	v_and_b32_e32 v60, 0x80000000, v60
	v_lshl_add_u32 v44, v44, 23, v55
	v_or3_b32 v60, v60, v44, v46
.LBB650_537:                            ;   in Loop: Header=BB650_215 Depth=1
	s_or_b64 exec, exec, s[18:19]
.LBB650_538:                            ;   in Loop: Header=BB650_215 Depth=1
	s_or_b64 exec, exec, s[16:17]
.LBB650_539:                            ;   in Loop: Header=BB650_215 Depth=1
	s_or_b64 exec, exec, s[14:15]
	v_lshrrev_b32_e32 v44, 16, v42
	v_cmp_ne_u16_sdwa s[16:17], v44, v54 src0_sel:BYTE_0 src1_sel:DWORD
	s_and_saveexec_b64 s[14:15], s[16:17]
	s_cbranch_execz .LBB650_545
; %bb.540:                              ;   in Loop: Header=BB650_215 Depth=1
	v_cmp_ne_u16_sdwa s[18:19], v44, s9 src0_sel:BYTE_0 src1_sel:DWORD
	v_bfrev_b32_e32 v59, 1
	s_and_saveexec_b64 s[16:17], s[18:19]
	s_cbranch_execz .LBB650_544
; %bb.541:                              ;   in Loop: Header=BB650_215 Depth=1
	v_bfe_u32 v46, v42, 16, 7
	v_cmp_ne_u32_e32 vcc, s21, v46
	v_mov_b32_e32 v59, 0x7f800001
	s_and_saveexec_b64 s[18:19], vcc
	s_cbranch_execz .LBB650_543
; %bb.542:                              ;   in Loop: Header=BB650_215 Depth=1
	v_and_b32_e32 v59, 7, v44
	v_ffbh_u32_e32 v62, v59
	v_min_u32_e32 v64, 32, v62
	v_subrev_u32_e32 v62, 28, v64
	v_lshlrev_b64 v[62:63], v62, v[44:45]
	v_lshrrev_b32_e32 v61, 3, v46
	v_sub_u32_e32 v63, 29, v64
	v_and_b32_e32 v62, 7, v62
	v_cmp_gt_u32_e32 vcc, 8, v46
	v_cndmask_b32_e32 v46, v61, v63, vcc
	v_cndmask_b32_e32 v59, v59, v62, vcc
	v_lshlrev_b32_e32 v44, 24, v44
	v_lshlrev_b32_e32 v59, 20, v59
	v_and_b32_e32 v44, 0x80000000, v44
	v_lshl_add_u32 v46, v46, 23, v55
	v_or3_b32 v59, v44, v46, v59
.LBB650_543:                            ;   in Loop: Header=BB650_215 Depth=1
	s_or_b64 exec, exec, s[18:19]
.LBB650_544:                            ;   in Loop: Header=BB650_215 Depth=1
	s_or_b64 exec, exec, s[16:17]
.LBB650_545:                            ;   in Loop: Header=BB650_215 Depth=1
	s_or_b64 exec, exec, s[14:15]
	v_cmp_lt_u32_e32 vcc, s22, v42
	v_mov_b32_e32 v46, 0
	v_mov_b32_e32 v61, 0
	s_and_saveexec_b64 s[14:15], vcc
	s_cbranch_execz .LBB650_551
; %bb.546:                              ;   in Loop: Header=BB650_215 Depth=1
	v_lshrrev_b32_e32 v44, 24, v42
	v_cmp_ne_u32_e32 vcc, s9, v44
	v_bfrev_b32_e32 v61, 1
	s_and_saveexec_b64 s[16:17], vcc
	s_cbranch_execz .LBB650_550
; %bb.547:                              ;   in Loop: Header=BB650_215 Depth=1
	v_bfe_u32 v42, v42, 24, 7
	v_cmp_ne_u32_e32 vcc, s21, v42
	v_mov_b32_e32 v61, 0x7f800001
	s_and_saveexec_b64 s[18:19], vcc
	s_cbranch_execz .LBB650_549
; %bb.548:                              ;   in Loop: Header=BB650_215 Depth=1
	v_and_b32_e32 v61, 7, v44
	v_ffbh_u32_e32 v62, v61
	v_min_u32_e32 v65, 32, v62
	v_subrev_u32_e32 v62, 28, v65
	v_lshlrev_b64 v[62:63], v62, v[44:45]
	v_lshrrev_b32_e32 v64, 3, v42
	v_sub_u32_e32 v63, 29, v65
	v_and_b32_e32 v62, 7, v62
	v_cmp_gt_u32_e32 vcc, 8, v42
	v_cndmask_b32_e32 v42, v64, v63, vcc
	v_cndmask_b32_e32 v61, v61, v62, vcc
	v_lshlrev_b32_e32 v44, 24, v44
	v_lshlrev_b32_e32 v61, 20, v61
	v_and_b32_e32 v44, 0x80000000, v44
	v_lshl_add_u32 v42, v42, 23, v55
	v_or3_b32 v61, v44, v42, v61
.LBB650_549:                            ;   in Loop: Header=BB650_215 Depth=1
	s_or_b64 exec, exec, s[18:19]
.LBB650_550:                            ;   in Loop: Header=BB650_215 Depth=1
	s_or_b64 exec, exec, s[16:17]
.LBB650_551:                            ;   in Loop: Header=BB650_215 Depth=1
	s_or_b64 exec, exec, s[14:15]
	v_cvt_pkrtz_f16_f32 v62, v51, v56
	v_cvt_pkrtz_f16_f32 v63, v50, v58
	;; [unrolled: 1-line block ×4, first 2 shown]
	s_waitcnt vmcnt(1)
	v_cmp_ne_u16_sdwa s[16:17], v40, v54 src0_sel:BYTE_0 src1_sel:DWORD
	v_mfma_f32_16x16x16f16 v[34:37], v[62:63], v[26:27], v[34:37]
	v_mfma_f32_16x16x16f16 v[34:37], v[50:51], v[28:29], v[34:37]
	s_and_saveexec_b64 s[14:15], s[16:17]
	s_cbranch_execz .LBB650_557
; %bb.552:                              ;   in Loop: Header=BB650_215 Depth=1
	v_cmp_ne_u16_sdwa s[18:19], v40, s9 src0_sel:BYTE_0 src1_sel:DWORD
	v_bfrev_b32_e32 v46, 1
	s_and_saveexec_b64 s[16:17], s[18:19]
	s_cbranch_execz .LBB650_556
; %bb.553:                              ;   in Loop: Header=BB650_215 Depth=1
	v_and_b32_e32 v42, 0x7f, v40
	v_cmp_ne_u32_e32 vcc, s21, v42
	v_mov_b32_e32 v46, 0x7f800001
	s_and_saveexec_b64 s[18:19], vcc
	s_cbranch_execz .LBB650_555
; %bb.554:                              ;   in Loop: Header=BB650_215 Depth=1
	v_and_b32_e32 v44, 7, v40
	v_ffbh_u32_e32 v50, v44
	v_min_u32_e32 v56, 32, v50
	v_subrev_u32_e32 v50, 28, v56
	v_lshlrev_b64 v[50:51], v50, v[40:41]
	v_lshrrev_b32_e32 v46, 3, v42
	v_sub_u32_e32 v51, 29, v56
	v_and_b32_e32 v50, 7, v50
	v_cmp_gt_u32_e32 vcc, 8, v42
	v_cndmask_b32_e32 v42, v46, v51, vcc
	v_cndmask_b32_e32 v44, v44, v50, vcc
	v_lshlrev_b32_e32 v46, 24, v40
	v_lshlrev_b32_e32 v44, 20, v44
	v_and_b32_e32 v46, 0x80000000, v46
	v_lshl_add_u32 v42, v42, 23, v55
	v_or3_b32 v46, v46, v42, v44
.LBB650_555:                            ;   in Loop: Header=BB650_215 Depth=1
	s_or_b64 exec, exec, s[18:19]
.LBB650_556:                            ;   in Loop: Header=BB650_215 Depth=1
	s_or_b64 exec, exec, s[16:17]
.LBB650_557:                            ;   in Loop: Header=BB650_215 Depth=1
	s_or_b64 exec, exec, s[14:15]
	v_lshrrev_b16_e32 v42, 8, v40
	v_cmp_ne_u16_e32 vcc, 0, v42
	v_mov_b32_e32 v44, 0
	v_mov_b32_e32 v50, 0
	s_and_saveexec_b64 s[14:15], vcc
	s_cbranch_execz .LBB650_563
; %bb.558:                              ;   in Loop: Header=BB650_215 Depth=1
	v_cmp_ne_u16_e32 vcc, s9, v42
	v_bfrev_b32_e32 v50, 1
	s_and_saveexec_b64 s[16:17], vcc
	s_cbranch_execz .LBB650_562
; %bb.559:                              ;   in Loop: Header=BB650_215 Depth=1
	v_and_b32_e32 v51, 0x7f, v42
	v_cmp_ne_u32_e32 vcc, s21, v51
	v_mov_b32_e32 v50, 0x7f800001
	s_and_saveexec_b64 s[18:19], vcc
	s_cbranch_execz .LBB650_561
; %bb.560:                              ;   in Loop: Header=BB650_215 Depth=1
	v_and_b32_e32 v50, 7, v42
	v_ffbh_u32_e32 v56, v50
	v_min_u32_e32 v59, 32, v56
	v_subrev_u32_e32 v56, 28, v59
	v_lshlrev_b64 v[56:57], v56, v[42:43]
	v_lshrrev_b32_e32 v58, 3, v51
	v_sub_u32_e32 v42, 29, v59
	v_and_b32_e32 v56, 7, v56
	v_cmp_gt_u32_e32 vcc, 8, v51
	v_cndmask_b32_e32 v42, v58, v42, vcc
	v_cndmask_b32_e32 v50, v50, v56, vcc
	v_lshlrev_b32_e32 v51, 16, v40
	v_lshlrev_b32_e32 v50, 20, v50
	v_and_b32_e32 v51, 0x80000000, v51
	v_lshl_add_u32 v42, v42, 23, v55
	v_or3_b32 v50, v51, v42, v50
.LBB650_561:                            ;   in Loop: Header=BB650_215 Depth=1
	s_or_b64 exec, exec, s[18:19]
.LBB650_562:                            ;   in Loop: Header=BB650_215 Depth=1
	s_or_b64 exec, exec, s[16:17]
.LBB650_563:                            ;   in Loop: Header=BB650_215 Depth=1
	s_or_b64 exec, exec, s[14:15]
	v_lshrrev_b32_e32 v42, 16, v40
	v_cmp_ne_u16_sdwa s[16:17], v42, v54 src0_sel:BYTE_0 src1_sel:DWORD
	s_and_saveexec_b64 s[14:15], s[16:17]
	s_cbranch_execz .LBB650_569
; %bb.564:                              ;   in Loop: Header=BB650_215 Depth=1
	v_cmp_ne_u16_sdwa s[18:19], v42, s9 src0_sel:BYTE_0 src1_sel:DWORD
	v_bfrev_b32_e32 v44, 1
	s_and_saveexec_b64 s[16:17], s[18:19]
	s_cbranch_execz .LBB650_568
; %bb.565:                              ;   in Loop: Header=BB650_215 Depth=1
	v_bfe_u32 v51, v40, 16, 7
	v_cmp_ne_u32_e32 vcc, s21, v51
	v_mov_b32_e32 v44, 0x7f800001
	s_and_saveexec_b64 s[18:19], vcc
	s_cbranch_execz .LBB650_567
; %bb.566:                              ;   in Loop: Header=BB650_215 Depth=1
	v_and_b32_e32 v44, 7, v42
	v_ffbh_u32_e32 v56, v44
	v_min_u32_e32 v59, 32, v56
	v_subrev_u32_e32 v56, 28, v59
	v_lshlrev_b64 v[56:57], v56, v[42:43]
	v_lshrrev_b32_e32 v58, 3, v51
	v_sub_u32_e32 v57, 29, v59
	v_and_b32_e32 v56, 7, v56
	v_cmp_gt_u32_e32 vcc, 8, v51
	v_cndmask_b32_e32 v51, v58, v57, vcc
	v_cndmask_b32_e32 v44, v44, v56, vcc
	v_lshlrev_b32_e32 v42, 24, v42
	v_lshlrev_b32_e32 v44, 20, v44
	v_and_b32_e32 v42, 0x80000000, v42
	v_lshl_add_u32 v51, v51, 23, v55
	v_or3_b32 v44, v42, v51, v44
.LBB650_567:                            ;   in Loop: Header=BB650_215 Depth=1
	s_or_b64 exec, exec, s[18:19]
.LBB650_568:                            ;   in Loop: Header=BB650_215 Depth=1
	s_or_b64 exec, exec, s[16:17]
.LBB650_569:                            ;   in Loop: Header=BB650_215 Depth=1
	s_or_b64 exec, exec, s[14:15]
	v_cmp_lt_u32_e32 vcc, s22, v40
	v_mov_b32_e32 v51, 0
	v_mov_b32_e32 v56, 0
	s_and_saveexec_b64 s[14:15], vcc
	s_cbranch_execz .LBB650_575
; %bb.570:                              ;   in Loop: Header=BB650_215 Depth=1
	v_lshrrev_b32_e32 v42, 24, v40
	v_cmp_ne_u32_e32 vcc, s9, v42
	v_bfrev_b32_e32 v56, 1
	s_and_saveexec_b64 s[16:17], vcc
	s_cbranch_execz .LBB650_574
; %bb.571:                              ;   in Loop: Header=BB650_215 Depth=1
	v_bfe_u32 v40, v40, 24, 7
	v_cmp_ne_u32_e32 vcc, s21, v40
	v_mov_b32_e32 v56, 0x7f800001
	s_and_saveexec_b64 s[18:19], vcc
	s_cbranch_execz .LBB650_573
; %bb.572:                              ;   in Loop: Header=BB650_215 Depth=1
	v_and_b32_e32 v58, 7, v42
	v_ffbh_u32_e32 v56, v58
	v_min_u32_e32 v60, 32, v56
	v_subrev_u32_e32 v56, 28, v60
	v_lshlrev_b64 v[56:57], v56, v[42:43]
	v_lshrrev_b32_e32 v59, 3, v40
	v_sub_u32_e32 v57, 29, v60
	v_and_b32_e32 v56, 7, v56
	v_cmp_gt_u32_e32 vcc, 8, v40
	v_cndmask_b32_e32 v40, v59, v57, vcc
	v_cndmask_b32_e32 v56, v58, v56, vcc
	v_lshlrev_b32_e32 v42, 24, v42
	v_lshlrev_b32_e32 v56, 20, v56
	v_and_b32_e32 v42, 0x80000000, v42
	v_lshl_add_u32 v40, v40, 23, v55
	v_or3_b32 v56, v42, v40, v56
.LBB650_573:                            ;   in Loop: Header=BB650_215 Depth=1
	s_or_b64 exec, exec, s[18:19]
.LBB650_574:                            ;   in Loop: Header=BB650_215 Depth=1
	s_or_b64 exec, exec, s[16:17]
.LBB650_575:                            ;   in Loop: Header=BB650_215 Depth=1
	s_or_b64 exec, exec, s[14:15]
	s_waitcnt vmcnt(0)
	v_cmp_ne_u16_sdwa s[16:17], v38, v54 src0_sel:BYTE_0 src1_sel:DWORD
	s_and_saveexec_b64 s[14:15], s[16:17]
	s_cbranch_execz .LBB650_581
; %bb.576:                              ;   in Loop: Header=BB650_215 Depth=1
	v_cmp_ne_u16_sdwa s[18:19], v38, s9 src0_sel:BYTE_0 src1_sel:DWORD
	v_bfrev_b32_e32 v51, 1
	s_and_saveexec_b64 s[16:17], s[18:19]
	s_cbranch_execz .LBB650_580
; %bb.577:                              ;   in Loop: Header=BB650_215 Depth=1
	v_and_b32_e32 v40, 0x7f, v38
	v_cmp_ne_u32_e32 vcc, s21, v40
	v_mov_b32_e32 v51, 0x7f800001
	s_and_saveexec_b64 s[18:19], vcc
	s_cbranch_execz .LBB650_579
; %bb.578:                              ;   in Loop: Header=BB650_215 Depth=1
	v_and_b32_e32 v42, 7, v38
	v_ffbh_u32_e32 v57, v42
	v_min_u32_e32 v57, 32, v57
	v_subrev_u32_e32 v58, 28, v57
	v_lshlrev_b64 v[58:59], v58, v[38:39]
	v_lshrrev_b32_e32 v51, 3, v40
	v_sub_u32_e32 v57, 29, v57
	v_and_b32_e32 v58, 7, v58
	v_cmp_gt_u32_e32 vcc, 8, v40
	v_cndmask_b32_e32 v40, v51, v57, vcc
	v_cndmask_b32_e32 v42, v42, v58, vcc
	v_lshlrev_b32_e32 v51, 24, v38
	v_lshlrev_b32_e32 v42, 20, v42
	v_and_b32_e32 v51, 0x80000000, v51
	v_lshl_add_u32 v40, v40, 23, v55
	v_or3_b32 v51, v51, v40, v42
.LBB650_579:                            ;   in Loop: Header=BB650_215 Depth=1
	s_or_b64 exec, exec, s[18:19]
.LBB650_580:                            ;   in Loop: Header=BB650_215 Depth=1
	s_or_b64 exec, exec, s[16:17]
.LBB650_581:                            ;   in Loop: Header=BB650_215 Depth=1
	s_or_b64 exec, exec, s[14:15]
	v_lshrrev_b16_e32 v40, 8, v38
	v_cmp_ne_u16_e32 vcc, 0, v40
	v_mov_b32_e32 v42, 0
	v_mov_b32_e32 v57, 0
	s_and_saveexec_b64 s[14:15], vcc
	s_cbranch_execz .LBB650_587
; %bb.582:                              ;   in Loop: Header=BB650_215 Depth=1
	v_cmp_ne_u16_e32 vcc, s9, v40
	v_bfrev_b32_e32 v57, 1
	s_and_saveexec_b64 s[16:17], vcc
	s_cbranch_execz .LBB650_586
; %bb.583:                              ;   in Loop: Header=BB650_215 Depth=1
	v_and_b32_e32 v58, 0x7f, v40
	v_cmp_ne_u32_e32 vcc, s21, v58
	v_mov_b32_e32 v57, 0x7f800001
	s_and_saveexec_b64 s[18:19], vcc
	s_cbranch_execz .LBB650_585
; %bb.584:                              ;   in Loop: Header=BB650_215 Depth=1
	v_and_b32_e32 v57, 7, v40
	v_ffbh_u32_e32 v60, v57
	v_min_u32_e32 v62, 32, v60
	v_subrev_u32_e32 v60, 28, v62
	v_lshlrev_b64 v[60:61], v60, v[40:41]
	v_lshrrev_b32_e32 v59, 3, v58
	v_sub_u32_e32 v40, 29, v62
	v_and_b32_e32 v60, 7, v60
	v_cmp_gt_u32_e32 vcc, 8, v58
	v_cndmask_b32_e32 v40, v59, v40, vcc
	v_cndmask_b32_e32 v57, v57, v60, vcc
	v_lshlrev_b32_e32 v58, 16, v38
	v_lshlrev_b32_e32 v57, 20, v57
	v_and_b32_e32 v58, 0x80000000, v58
	v_lshl_add_u32 v40, v40, 23, v55
	v_or3_b32 v57, v58, v40, v57
.LBB650_585:                            ;   in Loop: Header=BB650_215 Depth=1
	s_or_b64 exec, exec, s[18:19]
.LBB650_586:                            ;   in Loop: Header=BB650_215 Depth=1
	s_or_b64 exec, exec, s[16:17]
.LBB650_587:                            ;   in Loop: Header=BB650_215 Depth=1
	s_or_b64 exec, exec, s[14:15]
	v_lshrrev_b32_e32 v40, 16, v38
	v_cmp_ne_u16_sdwa s[16:17], v40, v54 src0_sel:BYTE_0 src1_sel:DWORD
	s_and_saveexec_b64 s[14:15], s[16:17]
	s_cbranch_execz .LBB650_593
; %bb.588:                              ;   in Loop: Header=BB650_215 Depth=1
	v_cmp_ne_u16_sdwa s[18:19], v40, s9 src0_sel:BYTE_0 src1_sel:DWORD
	v_bfrev_b32_e32 v42, 1
	s_and_saveexec_b64 s[16:17], s[18:19]
	s_cbranch_execz .LBB650_592
; %bb.589:                              ;   in Loop: Header=BB650_215 Depth=1
	v_bfe_u32 v58, v38, 16, 7
	v_cmp_ne_u32_e32 vcc, s21, v58
	v_mov_b32_e32 v42, 0x7f800001
	s_and_saveexec_b64 s[18:19], vcc
	s_cbranch_execz .LBB650_591
; %bb.590:                              ;   in Loop: Header=BB650_215 Depth=1
	v_and_b32_e32 v42, 7, v40
	v_ffbh_u32_e32 v60, v42
	v_min_u32_e32 v62, 32, v60
	v_subrev_u32_e32 v60, 28, v62
	v_lshlrev_b64 v[60:61], v60, v[40:41]
	v_lshrrev_b32_e32 v59, 3, v58
	v_sub_u32_e32 v61, 29, v62
	v_and_b32_e32 v60, 7, v60
	v_cmp_gt_u32_e32 vcc, 8, v58
	v_cndmask_b32_e32 v58, v59, v61, vcc
	v_cndmask_b32_e32 v42, v42, v60, vcc
	v_lshlrev_b32_e32 v40, 24, v40
	v_lshlrev_b32_e32 v42, 20, v42
	v_and_b32_e32 v40, 0x80000000, v40
	v_lshl_add_u32 v58, v58, 23, v55
	v_or3_b32 v42, v40, v58, v42
.LBB650_591:                            ;   in Loop: Header=BB650_215 Depth=1
	s_or_b64 exec, exec, s[18:19]
.LBB650_592:                            ;   in Loop: Header=BB650_215 Depth=1
	s_or_b64 exec, exec, s[16:17]
.LBB650_593:                            ;   in Loop: Header=BB650_215 Depth=1
	s_or_b64 exec, exec, s[14:15]
	v_cmp_lt_u32_e32 vcc, s22, v38
	v_mov_b32_e32 v58, 0
	s_and_saveexec_b64 s[14:15], vcc
	s_cbranch_execz .LBB650_214
; %bb.594:                              ;   in Loop: Header=BB650_215 Depth=1
	v_lshrrev_b32_e32 v40, 24, v38
	v_cmp_ne_u32_e32 vcc, s9, v40
	v_bfrev_b32_e32 v58, 1
	s_and_saveexec_b64 s[16:17], vcc
	s_cbranch_execz .LBB650_213
; %bb.595:                              ;   in Loop: Header=BB650_215 Depth=1
	v_bfe_u32 v38, v38, 24, 7
	v_cmp_ne_u32_e32 vcc, s21, v38
	v_mov_b32_e32 v58, 0x7f800001
	s_and_saveexec_b64 s[18:19], vcc
	s_cbranch_execz .LBB650_212
; %bb.596:                              ;   in Loop: Header=BB650_215 Depth=1
	v_and_b32_e32 v60, 7, v40
	v_ffbh_u32_e32 v58, v60
	v_min_u32_e32 v62, 32, v58
	v_subrev_u32_e32 v58, 28, v62
	v_lshlrev_b64 v[58:59], v58, v[40:41]
	v_lshrrev_b32_e32 v61, 3, v38
	v_sub_u32_e32 v59, 29, v62
	v_and_b32_e32 v58, 7, v58
	v_cmp_gt_u32_e32 vcc, 8, v38
	v_cndmask_b32_e32 v38, v61, v59, vcc
	v_cndmask_b32_e32 v58, v60, v58, vcc
	v_lshlrev_b32_e32 v40, 24, v40
	v_lshlrev_b32_e32 v58, 20, v58
	v_and_b32_e32 v40, 0x80000000, v40
	v_lshl_add_u32 v38, v38, 23, v55
	v_or3_b32 v58, v40, v38, v58
	s_branch .LBB650_212
.LBB650_597:
	s_barrier
	buffer_load_dword v2, off, s[0:3], 0 offset:320
	buffer_load_dword v5, off, s[0:3], 0 offset:332
	;; [unrolled: 1-line block ×4, first 2 shown]
	v_cmp_gt_u32_e32 vcc, 64, v0
	s_waitcnt vmcnt(0)
	ds_write2st64_b64 v52, v[2:3], v[4:5] offset1:1
	s_waitcnt lgkmcnt(0)
	s_barrier
	s_and_saveexec_b64 s[6:7], vcc
	s_cbranch_execz .LBB650_600
; %bb.598:
	s_lshl_b32 s6, s48, 7
	s_mul_i32 s7, s20, s8
	s_mul_hi_u32 s11, s7, s6
	s_mul_i32 s10, s7, s6
	s_lshl_b64 s[10:11], s[10:11], 1
	v_lshlrev_b32_e32 v4, 6, v41
	s_add_u32 s7, s50, s10
	v_lshl_or_b32 v0, v0, 10, v4
	s_mov_b32 s9, 0
	s_addc_u32 s10, s51, s11
	s_lshl_b32 s8, s26, 7
	v_lshlrev_b32_e32 v2, 5, v1
	v_and_b32_e32 v3, 16, v43
	v_and_b32_e32 v0, 0x1a00, v0
	s_lshl_b64 s[8:9], s[8:9], 1
	v_or3_b32 v0, v0, v2, v3
	s_add_u32 s7, s7, s8
	ds_read_b128 v[4:7], v0 offset:256
	s_addc_u32 s8, s10, s9
	ds_read_b128 v[8:11], v0 offset:128
	ds_read_b128 v[12:15], v0
	v_add_u32_e32 v18, s27, v1
	v_mov_b32_e32 v3, s8
	v_add_co_u32_e32 v2, vcc, s7, v39
	v_mad_u64_u32 v[16:17], s[8:9], v18, s6, 0
	v_addc_co_u32_e32 v3, vcc, 0, v3, vcc
	v_lshlrev_b64 v[16:17], 1, v[16:17]
	v_add_co_u32_e32 v16, vcc, v2, v16
	v_addc_co_u32_e32 v17, vcc, v3, v17, vcc
	s_waitcnt lgkmcnt(0)
	global_store_dwordx4 v[16:17], v[12:15], off
	s_nop 0
	v_add_u32_e32 v12, 4, v18
	v_mad_u64_u32 v[12:13], s[8:9], v12, s6, 0
	v_lshlrev_b64 v[12:13], 1, v[12:13]
	v_add_co_u32_e32 v12, vcc, v2, v12
	v_addc_co_u32_e32 v13, vcc, v3, v13, vcc
	global_store_dwordx4 v[12:13], v[8:11], off
	s_nop 0
	v_add_u32_e32 v8, 8, v18
	v_mad_u64_u32 v[8:9], s[8:9], v8, s6, 0
	v_lshlrev_b64 v[8:9], 1, v[8:9]
	v_add_co_u32_e32 v8, vcc, v2, v8
	v_addc_co_u32_e32 v9, vcc, v3, v9, vcc
	global_store_dwordx4 v[8:9], v[4:7], off
	s_and_b64 exec, exec, s[4:5]
	s_cbranch_execz .LBB650_600
; %bb.599:
	ds_read_b128 v[4:7], v0 offset:384
	v_add3_u32 v0, s27, v1, 12
	v_mad_u64_u32 v[0:1], s[4:5], v0, s6, 0
	v_lshlrev_b64 v[0:1], 1, v[0:1]
	v_add_co_u32_e32 v0, vcc, v2, v0
	v_addc_co_u32_e32 v1, vcc, v3, v1, vcc
	s_waitcnt lgkmcnt(0)
	global_store_dwordx4 v[0:1], v[4:7], off
.LBB650_600:
	s_endpgm
	.section	.rodata,"a",@progbits
	.p2align	6, 0x0
	.amdhsa_kernel _Z39paged_attention_ll4mi_QKV_mfma16_kernelIDF16_hLN4vllm18Fp8KVCacheDataTypeE1EDF16_Li32ELi128ELi256ELb1ELi13EL8MFMAType0EEvPKT_PKT0_S8_ifPKiSA_SA_iPKfiiiPfSD_PS3_PT2_iSC_SC_
		.amdhsa_group_segment_fixed_size 8192
		.amdhsa_private_segment_fixed_size 352
		.amdhsa_kernarg_size 400
		.amdhsa_user_sgpr_count 8
		.amdhsa_user_sgpr_private_segment_buffer 1
		.amdhsa_user_sgpr_dispatch_ptr 0
		.amdhsa_user_sgpr_queue_ptr 0
		.amdhsa_user_sgpr_kernarg_segment_ptr 1
		.amdhsa_user_sgpr_dispatch_id 0
		.amdhsa_user_sgpr_flat_scratch_init 1
		.amdhsa_user_sgpr_kernarg_preload_length 0
		.amdhsa_user_sgpr_kernarg_preload_offset 0
		.amdhsa_user_sgpr_private_segment_size 0
		.amdhsa_uses_dynamic_stack 0
		.amdhsa_system_sgpr_private_segment_wavefront_offset 1
		.amdhsa_system_sgpr_workgroup_id_x 1
		.amdhsa_system_sgpr_workgroup_id_y 1
		.amdhsa_system_sgpr_workgroup_id_z 1
		.amdhsa_system_sgpr_workgroup_info 0
		.amdhsa_system_vgpr_workitem_id 0
		.amdhsa_next_free_vgpr 80
		.amdhsa_next_free_sgpr 53
		.amdhsa_accum_offset 80
		.amdhsa_reserve_vcc 1
		.amdhsa_reserve_flat_scratch 0
		.amdhsa_float_round_mode_32 0
		.amdhsa_float_round_mode_16_64 0
		.amdhsa_float_denorm_mode_32 3
		.amdhsa_float_denorm_mode_16_64 3
		.amdhsa_dx10_clamp 1
		.amdhsa_ieee_mode 1
		.amdhsa_fp16_overflow 0
		.amdhsa_tg_split 0
		.amdhsa_exception_fp_ieee_invalid_op 0
		.amdhsa_exception_fp_denorm_src 0
		.amdhsa_exception_fp_ieee_div_zero 0
		.amdhsa_exception_fp_ieee_overflow 0
		.amdhsa_exception_fp_ieee_underflow 0
		.amdhsa_exception_fp_ieee_inexact 0
		.amdhsa_exception_int_div_zero 0
	.end_amdhsa_kernel
	.section	.text._Z39paged_attention_ll4mi_QKV_mfma16_kernelIDF16_hLN4vllm18Fp8KVCacheDataTypeE1EDF16_Li32ELi128ELi256ELb1ELi13EL8MFMAType0EEvPKT_PKT0_S8_ifPKiSA_SA_iPKfiiiPfSD_PS3_PT2_iSC_SC_,"axG",@progbits,_Z39paged_attention_ll4mi_QKV_mfma16_kernelIDF16_hLN4vllm18Fp8KVCacheDataTypeE1EDF16_Li32ELi128ELi256ELb1ELi13EL8MFMAType0EEvPKT_PKT0_S8_ifPKiSA_SA_iPKfiiiPfSD_PS3_PT2_iSC_SC_,comdat
.Lfunc_end650:
	.size	_Z39paged_attention_ll4mi_QKV_mfma16_kernelIDF16_hLN4vllm18Fp8KVCacheDataTypeE1EDF16_Li32ELi128ELi256ELb1ELi13EL8MFMAType0EEvPKT_PKT0_S8_ifPKiSA_SA_iPKfiiiPfSD_PS3_PT2_iSC_SC_, .Lfunc_end650-_Z39paged_attention_ll4mi_QKV_mfma16_kernelIDF16_hLN4vllm18Fp8KVCacheDataTypeE1EDF16_Li32ELi128ELi256ELb1ELi13EL8MFMAType0EEvPKT_PKT0_S8_ifPKiSA_SA_iPKfiiiPfSD_PS3_PT2_iSC_SC_
                                        ; -- End function
	.section	.AMDGPU.csdata,"",@progbits
; Kernel info:
; codeLenInByte = 21576
; NumSgprs: 57
; NumVgprs: 80
; NumAgprs: 0
; TotalNumVgprs: 80
; ScratchSize: 352
; MemoryBound: 0
; FloatMode: 240
; IeeeMode: 1
; LDSByteSize: 8192 bytes/workgroup (compile time only)
; SGPRBlocks: 7
; VGPRBlocks: 9
; NumSGPRsForWavesPerEU: 57
; NumVGPRsForWavesPerEU: 80
; AccumOffset: 80
; Occupancy: 6
; WaveLimiterHint : 1
; COMPUTE_PGM_RSRC2:SCRATCH_EN: 1
; COMPUTE_PGM_RSRC2:USER_SGPR: 8
; COMPUTE_PGM_RSRC2:TRAP_HANDLER: 0
; COMPUTE_PGM_RSRC2:TGID_X_EN: 1
; COMPUTE_PGM_RSRC2:TGID_Y_EN: 1
; COMPUTE_PGM_RSRC2:TGID_Z_EN: 1
; COMPUTE_PGM_RSRC2:TIDIG_COMP_CNT: 0
; COMPUTE_PGM_RSRC3_GFX90A:ACCUM_OFFSET: 19
; COMPUTE_PGM_RSRC3_GFX90A:TG_SPLIT: 0
	.section	.text._Z39paged_attention_ll4mi_QKV_mfma16_kernelIDF16_hLN4vllm18Fp8KVCacheDataTypeE1EDF16_Li32ELi128ELi256ELb1ELi14EL8MFMAType0EEvPKT_PKT0_S8_ifPKiSA_SA_iPKfiiiPfSD_PS3_PT2_iSC_SC_,"axG",@progbits,_Z39paged_attention_ll4mi_QKV_mfma16_kernelIDF16_hLN4vllm18Fp8KVCacheDataTypeE1EDF16_Li32ELi128ELi256ELb1ELi14EL8MFMAType0EEvPKT_PKT0_S8_ifPKiSA_SA_iPKfiiiPfSD_PS3_PT2_iSC_SC_,comdat
	.protected	_Z39paged_attention_ll4mi_QKV_mfma16_kernelIDF16_hLN4vllm18Fp8KVCacheDataTypeE1EDF16_Li32ELi128ELi256ELb1ELi14EL8MFMAType0EEvPKT_PKT0_S8_ifPKiSA_SA_iPKfiiiPfSD_PS3_PT2_iSC_SC_ ; -- Begin function _Z39paged_attention_ll4mi_QKV_mfma16_kernelIDF16_hLN4vllm18Fp8KVCacheDataTypeE1EDF16_Li32ELi128ELi256ELb1ELi14EL8MFMAType0EEvPKT_PKT0_S8_ifPKiSA_SA_iPKfiiiPfSD_PS3_PT2_iSC_SC_
	.globl	_Z39paged_attention_ll4mi_QKV_mfma16_kernelIDF16_hLN4vllm18Fp8KVCacheDataTypeE1EDF16_Li32ELi128ELi256ELb1ELi14EL8MFMAType0EEvPKT_PKT0_S8_ifPKiSA_SA_iPKfiiiPfSD_PS3_PT2_iSC_SC_
	.p2align	8
	.type	_Z39paged_attention_ll4mi_QKV_mfma16_kernelIDF16_hLN4vllm18Fp8KVCacheDataTypeE1EDF16_Li32ELi128ELi256ELb1ELi14EL8MFMAType0EEvPKT_PKT0_S8_ifPKiSA_SA_iPKfiiiPfSD_PS3_PT2_iSC_SC_,@function
_Z39paged_attention_ll4mi_QKV_mfma16_kernelIDF16_hLN4vllm18Fp8KVCacheDataTypeE1EDF16_Li32ELi128ELi256ELb1ELi14EL8MFMAType0EEvPKT_PKT0_S8_ifPKiSA_SA_iPKfiiiPfSD_PS3_PT2_iSC_SC_: ; @_Z39paged_attention_ll4mi_QKV_mfma16_kernelIDF16_hLN4vllm18Fp8KVCacheDataTypeE1EDF16_Li32ELi128ELi256ELb1ELi14EL8MFMAType0EEvPKT_PKT0_S8_ifPKiSA_SA_iPKfiiiPfSD_PS3_PT2_iSC_SC_
; %bb.0:
	s_load_dwordx2 s[6:7], s[4:5], 0x30
	s_add_u32 s0, s0, s11
	s_addc_u32 s1, s1, 0
	s_mov_b32 s26, s9
	s_mov_b64 s[14:15], 0
	s_waitcnt lgkmcnt(0)
	s_cmp_lg_u64 s[6:7], 0
	s_cselect_b64 s[12:13], -1, 0
	s_and_b64 vcc, exec, s[12:13]
	s_cbranch_vccz .LBB651_7
; %bb.1:
	s_add_i32 s16, s8, 1
	s_mov_b32 s17, 0
	s_lshl_b64 s[18:19], s[16:17], 2
	s_add_u32 s18, s6, s18
	s_mov_b32 s9, s17
	s_addc_u32 s19, s7, s19
	s_lshl_b64 s[16:17], s[8:9], 2
	s_add_u32 s16, s6, s16
	s_addc_u32 s17, s7, s17
	s_load_dword s11, s[18:19], 0x0
	s_load_dword s20, s[16:17], 0x0
	s_waitcnt lgkmcnt(0)
	s_sub_i32 s11, s11, s20
	s_cmp_eq_u32 s11, 1
	s_cselect_b64 s[16:17], -1, 0
	s_andn2_b64 vcc, exec, s[14:15]
	s_cbranch_vccnz .LBB651_3
.LBB651_2:
	s_mov_b32 s9, 0
	s_mov_b64 s[16:17], -1
.LBB651_3:
	s_andn2_b64 vcc, exec, s[16:17]
	s_cbranch_vccnz .LBB651_600
; %bb.4:
	s_load_dwordx2 s[16:17], s[4:5], 0x28
	s_lshl_b64 s[14:15], s[8:9], 2
	s_waitcnt lgkmcnt(0)
	s_add_u32 s16, s16, s14
	s_addc_u32 s17, s17, s15
	s_load_dword s33, s[16:17], 0x0
	s_lshl_b32 s20, s26, 8
	s_waitcnt lgkmcnt(0)
	s_cmp_ge_i32 s20, s33
	s_cbranch_scc1 .LBB651_600
; %bb.5:
	s_add_i32 s18, s33, 31
	s_load_dwordx2 s[16:17], s[4:5], 0x20
	s_load_dword s11, s[4:5], 0x38
	s_ashr_i32 s19, s18, 31
	v_and_b32_e32 v1, 0xcf, v0
	s_lshr_b32 s19, s19, 27
	v_add_u32_e32 v1, s20, v1
	s_add_i32 s18, s18, s19
	v_ashrrev_i32_e32 v2, 31, v1
	s_ashr_i32 s23, s18, 5
	v_lshrrev_b32_e32 v4, 27, v2
	s_add_i32 s23, s23, -1
	v_add_u32_e32 v2, v1, v4
	s_waitcnt lgkmcnt(0)
	s_mul_i32 s18, s8, s11
	s_mov_b32 s19, 0
	v_ashrrev_i32_e32 v2, 5, v2
	v_mov_b32_e32 v5, s23
	v_cmp_gt_i32_e32 vcc, s33, v1
	s_lshl_b64 s[18:19], s[18:19], 2
	v_cndmask_b32_e32 v2, v5, v2, vcc
	s_add_u32 s21, s16, s18
	v_ashrrev_i32_e32 v3, 31, v2
	s_addc_u32 s22, s17, s19
	v_lshlrev_b64 v[2:3], 2, v[2:3]
	v_mov_b32_e32 v7, s22
	v_add_co_u32_e32 v6, vcc, s21, v2
	v_or_b32_e32 v2, 16, v1
	v_addc_co_u32_e32 v7, vcc, v7, v3, vcc
	v_add_u32_e32 v3, v2, v4
	v_ashrrev_i32_e32 v3, 5, v3
	v_cmp_gt_i32_e32 vcc, s33, v2
	v_cndmask_b32_e32 v2, v5, v3, vcc
	v_ashrrev_i32_e32 v3, 31, v2
	v_lshlrev_b64 v[2:3], 2, v[2:3]
	v_mov_b32_e32 v9, s22
	v_add_co_u32_e32 v8, vcc, s21, v2
	v_or_b32_e32 v2, 32, v1
	v_addc_co_u32_e32 v9, vcc, v9, v3, vcc
	v_add_u32_e32 v3, v2, v4
	v_ashrrev_i32_e32 v3, 5, v3
	v_cmp_gt_i32_e32 vcc, s33, v2
	v_cndmask_b32_e32 v2, v5, v3, vcc
	v_ashrrev_i32_e32 v3, 31, v2
	;; [unrolled: 10-line block ×3, first 2 shown]
	v_lshlrev_b64 v[2:3], 2, v[2:3]
	v_mov_b32_e32 v1, s22
	v_add_co_u32_e32 v12, vcc, s21, v2
	v_addc_co_u32_e32 v13, vcc, v1, v3, vcc
	global_load_dword v5, v[6:7], off
	global_load_dword v4, v[8:9], off
	global_load_dword v3, v[10:11], off
	global_load_dword v2, v[12:13], off
	s_load_dwordx2 s[16:17], s[4:5], 0x8
	s_andn2_b64 vcc, exec, s[12:13]
	s_cbranch_vccnz .LBB651_8
; %bb.6:
	s_add_u32 s6, s6, s14
	s_addc_u32 s7, s7, s15
	s_load_dword s11, s[6:7], 0x0
	s_branch .LBB651_9
.LBB651_7:
	s_mov_b64 s[16:17], 0
	s_branch .LBB651_2
.LBB651_8:
	s_mov_b32 s11, s8
.LBB651_9:
	s_load_dwordx2 s[6:7], s[4:5], 0x10
	s_load_dwordx4 s[12:15], s[4:5], 0x48
	v_lshrrev_b32_e32 v27, 6, v0
	v_bfe_u32 v1, v0, 4, 2
	v_and_b32_e32 v41, 15, v0
	v_lshl_or_b32 v6, v27, 2, v1
	v_lshlrev_b32_e32 v7, 3, v41
	s_mul_i32 s27, s10, 14
	v_cmp_gt_u32_e32 vcc, 14, v6
	v_lshlrev_b32_e32 v39, 1, v7
	v_lshlrev_b32_e32 v43, 4, v0
	s_and_saveexec_b64 s[18:19], vcc
	s_cbranch_execz .LBB651_11
; %bb.10:
	s_load_dwordx2 s[24:25], s[4:5], 0x0
	s_waitcnt lgkmcnt(0)
	s_ashr_i32 s15, s12, 31
	s_mul_hi_u32 s28, s11, s12
	s_mul_i32 s15, s11, s15
	s_add_i32 s29, s28, s15
	s_mul_i32 s28, s11, s12
	s_lshl_b64 s[28:29], s[28:29], 1
	v_add_lshl_u32 v8, v6, s27, 7
	s_add_u32 s11, s24, s28
	v_ashrrev_i32_e32 v9, 31, v8
	s_addc_u32 s12, s25, s29
	v_lshlrev_b64 v[8:9], 1, v[8:9]
	v_mov_b32_e32 v7, s12
	v_add_co_u32_e32 v8, vcc, s11, v8
	v_addc_co_u32_e32 v7, vcc, v7, v9, vcc
	v_add_co_u32_e32 v8, vcc, v8, v39
	v_addc_co_u32_e32 v9, vcc, 0, v7, vcc
	global_load_dwordx4 v[8:11], v[8:9], off
	v_lshlrev_b32_e32 v12, 8, v0
	v_lshlrev_b32_e32 v7, 8, v41
	v_and_b32_e32 v12, 0x600, v12
	s_movk_i32 s11, 0x800
	v_and_or_b32 v7, v7, s11, v12
	v_lshlrev_b32_e32 v6, 5, v6
	v_and_b32_e32 v12, 16, v43
	v_or3_b32 v6, v7, v6, v12
	s_waitcnt vmcnt(0)
	ds_write_b128 v6, v[8:11]
.LBB651_11:
	s_or_b64 exec, exec, s[18:19]
	s_waitcnt lgkmcnt(0)
	s_mul_i32 s14, s10, s14
	s_add_u32 s10, s16, s14
	s_addc_u32 s11, s17, 0
	v_pk_mov_b32 v[6:7], s[10:11], s[10:11] op_sel:[0,1]
	s_waitcnt vmcnt(3)
	v_mad_i64_i32 v[8:9], s[10:11], v5, s13, v[6:7]
	v_lshlrev_b32_e32 v11, 4, v41
	v_and_b32_e32 v18, 48, v0
	v_add_co_u32_e32 v5, vcc, v8, v11
	v_lshlrev_b32_e32 v10, 5, v18
	v_addc_co_u32_e32 v9, vcc, 0, v9, vcc
	v_add_co_u32_e32 v8, vcc, v5, v10
	v_addc_co_u32_e32 v9, vcc, 0, v9, vcc
	s_load_dwordx2 s[48:49], s[4:5], 0x94
	s_waitcnt lgkmcnt(0)
	s_barrier
	global_load_dwordx4 v[20:23], v[8:9], off
	global_load_dwordx4 v[28:31], v[8:9], off offset:2048
	s_waitcnt vmcnt(4)
	v_mad_i64_i32 v[4:5], s[10:11], v4, s13, v[6:7]
	v_or_b32_e32 v8, 0x100, v11
	v_add_co_u32_e32 v4, vcc, v4, v8
	v_addc_co_u32_e32 v5, vcc, 0, v5, vcc
	v_add_co_u32_e32 v4, vcc, v4, v10
	v_addc_co_u32_e32 v5, vcc, 0, v5, vcc
	global_load_dwordx4 v[32:35], v[4:5], off
	global_load_dwordx4 v[44:47], v[4:5], off offset:2048
	s_waitcnt vmcnt(5)
	v_mad_i64_i32 v[4:5], s[10:11], v3, s13, v[6:7]
	v_add_co_u32_e32 v3, vcc, v4, v11
	v_addc_co_u32_e32 v5, vcc, 0, v5, vcc
	v_add_co_u32_e32 v4, vcc, v3, v10
	v_addc_co_u32_e32 v5, vcc, 0, v5, vcc
	s_waitcnt vmcnt(4)
	v_mad_i64_i32 v[2:3], s[10:11], v2, s13, v[6:7]
	v_add_co_u32_e32 v2, vcc, v2, v8
	v_addc_co_u32_e32 v3, vcc, 0, v3, vcc
	v_add_co_u32_e32 v2, vcc, v2, v10
	v_addc_co_u32_e32 v3, vcc, 0, v3, vcc
	global_load_dwordx4 v[48:51], v[4:5], off
	global_load_dwordx4 v[52:55], v[4:5], off offset:2048
	global_load_dwordx4 v[56:59], v[2:3], off
	global_load_dwordx4 v[60:63], v[2:3], off offset:2048
	v_add_u32_e32 v2, -14, v41
	v_cmp_gt_u32_e32 vcc, 14, v41
	v_cndmask_b32_e32 v2, v2, v41, vcc
	v_lshlrev_b32_e32 v2, 5, v2
	v_lshl_add_u32 v14, v1, 9, v2
	s_load_dwordx2 s[50:51], s[4:5], 0x68
	s_load_dwordx4 s[44:47], s[4:5], 0x58
	ds_read_b128 v[2:5], v14
	ds_read_b128 v[6:9], v14 offset:16
	ds_read_b128 v[10:13], v14 offset:2048
	;; [unrolled: 1-line block ×3, first 2 shown]
	s_mov_b32 s12, 0
	s_waitcnt vmcnt(7)
	buffer_store_dword v23, off, s[0:3], 0 offset:12
	buffer_store_dword v22, off, s[0:3], 0 offset:8
	;; [unrolled: 1-line block ×3, first 2 shown]
	buffer_store_dword v20, off, s[0:3], 0
	s_waitcnt vmcnt(10)
	buffer_store_dword v31, off, s[0:3], 0 offset:28
	buffer_store_dword v30, off, s[0:3], 0 offset:24
	buffer_store_dword v29, off, s[0:3], 0 offset:20
	buffer_store_dword v28, off, s[0:3], 0 offset:16
	s_waitcnt vmcnt(13)
	buffer_store_dword v35, off, s[0:3], 0 offset:44
	buffer_store_dword v34, off, s[0:3], 0 offset:40
	buffer_store_dword v33, off, s[0:3], 0 offset:36
	buffer_store_dword v32, off, s[0:3], 0 offset:32
	;; [unrolled: 5-line block ×7, first 2 shown]
	v_mov_b32_e32 v35, 0
	v_mov_b32_e32 v31, 0
	s_and_saveexec_b64 s[10:11], vcc
	s_cbranch_execz .LBB651_13
; %bb.12:
	s_load_dwordx2 s[16:17], s[4:5], 0x40
	v_add_u32_e32 v20, s27, v41
	v_ashrrev_i32_e32 v21, 31, v20
	v_lshlrev_b64 v[20:21], 2, v[20:21]
	s_waitcnt lgkmcnt(0)
	v_mov_b32_e32 v19, s17
	v_add_co_u32_e32 v20, vcc, s16, v20
	v_addc_co_u32_e32 v21, vcc, v19, v21, vcc
	global_load_dword v31, v[20:21], off
.LBB651_13:
	s_or_b64 exec, exec, s[10:11]
	s_ashr_i32 s10, s20, 31
	v_or_b32_e32 v24, s20, v18
	s_lshr_b32 s10, s10, 27
	v_add_u32_e32 v18, s10, v24
	v_ashrrev_i32_e32 v18, 5, v18
	v_mov_b32_e32 v25, s23
	v_cmp_gt_i32_e32 vcc, s33, v24
	v_cndmask_b32_e32 v18, v25, v18, vcc
	v_ashrrev_i32_e32 v19, 31, v18
	v_lshlrev_b64 v[18:19], 2, v[18:19]
	v_mov_b32_e32 v20, s22
	v_add_co_u32_e32 v18, vcc, s21, v18
	v_addc_co_u32_e32 v19, vcc, v20, v19, vcc
	v_or_b32_e32 v20, 64, v24
	v_add_u32_e32 v21, s10, v20
	v_ashrrev_i32_e32 v21, 5, v21
	v_cmp_gt_i32_e32 vcc, s33, v20
	v_cndmask_b32_e32 v20, v25, v21, vcc
	v_ashrrev_i32_e32 v21, 31, v20
	v_lshlrev_b64 v[20:21], 2, v[20:21]
	v_mov_b32_e32 v22, s22
	v_add_co_u32_e32 v20, vcc, s21, v20
	v_addc_co_u32_e32 v21, vcc, v22, v21, vcc
	v_or_b32_e32 v22, 0x80, v24
	v_add_u32_e32 v23, s10, v22
	v_ashrrev_i32_e32 v23, 5, v23
	v_cmp_gt_i32_e32 vcc, s33, v22
	v_cndmask_b32_e32 v22, v25, v23, vcc
	v_ashrrev_i32_e32 v23, 31, v22
	v_lshlrev_b64 v[22:23], 2, v[22:23]
	v_mov_b32_e32 v26, s22
	v_add_co_u32_e32 v22, vcc, s21, v22
	v_addc_co_u32_e32 v23, vcc, v26, v23, vcc
	global_load_dword v26, v[18:19], off
	global_load_dword v28, v[20:21], off
	;; [unrolled: 1-line block ×3, first 2 shown]
	v_or_b32_e32 v18, 0xc0, v24
	v_add_u32_e32 v19, s10, v18
	v_ashrrev_i32_e32 v19, 5, v19
	v_cmp_gt_i32_e32 vcc, s33, v18
	v_cndmask_b32_e32 v18, v25, v19, vcc
	v_ashrrev_i32_e32 v19, 31, v18
	v_lshlrev_b64 v[18:19], 2, v[18:19]
	v_mov_b32_e32 v20, s22
	v_add_co_u32_e32 v18, vcc, s21, v18
	v_addc_co_u32_e32 v19, vcc, v20, v19, vcc
	global_load_dword v32, v[18:19], off
	s_add_u32 s6, s6, s14
	v_and_b32_e32 v18, 16, v0
	s_addc_u32 s7, s7, 0
	v_lshl_or_b32 v29, v27, 4, v41
	v_mov_b32_e32 v20, s7
	v_add_co_u32_e32 v34, vcc, s6, v18
	v_lshlrev_b32_e32 v19, 5, v29
	v_addc_co_u32_e32 v36, vcc, 0, v20, vcc
	v_add_co_u32_e32 v22, vcc, v34, v19
	v_addc_co_u32_e32 v23, vcc, 0, v36, vcc
	v_or_b32_e32 v33, 0x800, v19
	s_movk_i32 s14, 0x7f
	s_mov_b32 s15, 0xffffff
	v_mov_b32_e32 v37, 0x100
	v_bfrev_b32_e32 v38, 60
	s_waitcnt vmcnt(3)
	v_mad_i64_i32 v[18:19], s[6:7], v26, s13, v[22:23]
	s_waitcnt vmcnt(2)
	v_mad_i64_i32 v[24:25], s[6:7], v28, s13, v[22:23]
	global_load_dwordx4 v[18:21], v[18:19], off
	s_nop 0
	global_load_dwordx4 v[52:55], v[24:25], off
	s_waitcnt vmcnt(3)
	v_mad_i64_i32 v[24:25], s[6:7], v30, s13, v[22:23]
	s_waitcnt vmcnt(2)
	v_mad_i64_i32 v[22:23], s[6:7], v32, s13, v[22:23]
	global_load_dwordx4 v[56:59], v[24:25], off
	global_load_dwordx4 v[60:63], v[22:23], off
	v_add_co_u32_e32 v22, vcc, v34, v33
	v_addc_co_u32_e32 v23, vcc, 0, v36, vcc
	v_mad_i64_i32 v[24:25], s[6:7], v26, s13, v[22:23]
	global_load_dwordx4 v[64:67], v[24:25], off
	v_mad_i64_i32 v[24:25], s[6:7], v28, s13, v[22:23]
	global_load_dwordx4 v[68:71], v[24:25], off
	;; [unrolled: 2-line block ×4, first 2 shown]
	s_load_dword s6, s[4:5], 0x1c
	s_load_dwordx4 s[40:43], s[4:5], 0x80
	v_mov_b32_e32 v22, 0x80
	v_add_u32_e32 v45, 16, v22
	v_add_u32_e32 v46, 32, v22
	v_add_u32_e32 v47, 48, v22
	s_waitcnt lgkmcnt(0)
	s_load_dword s4, s[40:41], 0x0
	v_add_u32_e32 v51, 64, v22
	v_add_u32_e32 v48, 0x50, v22
	;; [unrolled: 1-line block ×4, first 2 shown]
	v_mov_b32_e32 v22, s6
	s_waitcnt lgkmcnt(0)
	v_mul_f32_e32 v22, s4, v22
	v_and_b32_e32 v33, 63, v0
	s_movk_i32 s13, 0x80
	v_mov_b32_e32 v36, 0
	v_mov_b32_e32 v24, v22
	;; [unrolled: 1-line block ×3, first 2 shown]
	s_waitcnt vmcnt(7)
	buffer_store_dword v21, off, s[0:3], 0 offset:140
	buffer_store_dword v20, off, s[0:3], 0 offset:136
	buffer_store_dword v19, off, s[0:3], 0 offset:132
	buffer_store_dword v18, off, s[0:3], 0 offset:128
	s_waitcnt vmcnt(10)
	buffer_store_dword v55, off, s[0:3], 0 offset:172
	buffer_store_dword v54, off, s[0:3], 0 offset:168
	buffer_store_dword v53, off, s[0:3], 0 offset:164
	buffer_store_dword v52, off, s[0:3], 0 offset:160
	s_waitcnt vmcnt(13)
	buffer_store_dword v59, off, s[0:3], 0 offset:204
	buffer_store_dword v58, off, s[0:3], 0 offset:200
	buffer_store_dword v57, off, s[0:3], 0 offset:196
	buffer_store_dword v56, off, s[0:3], 0 offset:192
	s_waitcnt vmcnt(16)
	buffer_store_dword v63, off, s[0:3], 0 offset:236
	buffer_store_dword v62, off, s[0:3], 0 offset:232
	buffer_store_dword v61, off, s[0:3], 0 offset:228
	buffer_store_dword v60, off, s[0:3], 0 offset:224
	s_waitcnt vmcnt(19)
	buffer_store_dword v67, off, s[0:3], 0 offset:156
	buffer_store_dword v66, off, s[0:3], 0 offset:152
	buffer_store_dword v65, off, s[0:3], 0 offset:148
	buffer_store_dword v64, off, s[0:3], 0 offset:144
	s_waitcnt vmcnt(22)
	buffer_store_dword v71, off, s[0:3], 0 offset:188
	buffer_store_dword v70, off, s[0:3], 0 offset:184
	buffer_store_dword v69, off, s[0:3], 0 offset:180
	buffer_store_dword v68, off, s[0:3], 0 offset:176
	s_waitcnt vmcnt(25)
	buffer_store_dword v75, off, s[0:3], 0 offset:220
	buffer_store_dword v74, off, s[0:3], 0 offset:216
	buffer_store_dword v73, off, s[0:3], 0 offset:212
	buffer_store_dword v72, off, s[0:3], 0 offset:208
	s_waitcnt vmcnt(28)
	buffer_store_dword v79, off, s[0:3], 0 offset:252
	buffer_store_dword v78, off, s[0:3], 0 offset:248
	buffer_store_dword v77, off, s[0:3], 0 offset:244
	buffer_store_dword v76, off, s[0:3], 0 offset:240
	s_branch .LBB651_17
.LBB651_14:                             ;   in Loop: Header=BB651_17 Depth=1
	s_or_b64 exec, exec, s[10:11]
.LBB651_15:                             ;   in Loop: Header=BB651_17 Depth=1
	s_or_b64 exec, exec, s[6:7]
.LBB651_16:                             ;   in Loop: Header=BB651_17 Depth=1
	s_or_b64 exec, exec, s[4:5]
	v_cvt_pkrtz_f16_f32 v54, v34, v32
	v_cvt_pkrtz_f16_f32 v55, v23, v42
	v_add_u32_e32 v26, s12, v37
	s_add_i32 s12, s12, 16
	v_mov_b32_e32 v23, v22
	v_mfma_f32_16x16x16f16 v[18:21], v[54:55], v[14:15], v[18:21]
	v_cvt_pkrtz_f16_f32 v54, v40, v44
	v_cvt_pkrtz_f16_f32 v55, v30, v52
	s_cmp_eq_u32 s12, 64
	v_add_u32_e32 v36, 32, v36
	v_mfma_f32_16x16x16f16 v[18:21], v[54:55], v[16:17], v[18:21]
	s_nop 7
	s_nop 2
	v_pk_mul_f32 v[18:19], v[24:25], v[18:19]
	v_pk_mul_f32 v[20:21], v[22:23], v[20:21]
	buffer_store_dword v19, v26, s[0:3], 0 offen offset:4
	buffer_store_dword v18, v26, s[0:3], 0 offen
	buffer_store_dword v21, v26, s[0:3], 0 offen offset:12
	buffer_store_dword v20, v26, s[0:3], 0 offen offset:8
	s_cbranch_scc1 .LBB651_207
.LBB651_17:                             ; =>This Inner Loop Header: Depth=1
	buffer_load_dword v20, v36, s[0:3], 0 offen
	buffer_load_dword v18, v36, s[0:3], 0 offen offset:4
	buffer_load_dword v28, v36, s[0:3], 0 offen offset:8
	;; [unrolled: 1-line block ×3, first 2 shown]
	v_mov_b32_e32 v19, 0
	v_mov_b32_e32 v21, 0
	s_waitcnt vmcnt(3)
	v_cmp_ne_u16_sdwa s[6:7], v20, v35 src0_sel:BYTE_0 src1_sel:DWORD
	s_and_saveexec_b64 s[4:5], s[6:7]
	s_cbranch_execz .LBB651_23
; %bb.18:                               ;   in Loop: Header=BB651_17 Depth=1
	v_cmp_ne_u16_sdwa s[10:11], v20, s13 src0_sel:BYTE_0 src1_sel:DWORD
	v_bfrev_b32_e32 v21, 1
	s_and_saveexec_b64 s[6:7], s[10:11]
	s_cbranch_execz .LBB651_22
; %bb.19:                               ;   in Loop: Header=BB651_17 Depth=1
	v_and_b32_e32 v23, 0x7f, v20
	v_cmp_ne_u32_e32 vcc, s14, v23
	v_mov_b32_e32 v21, 0x7f800001
	s_and_saveexec_b64 s[10:11], vcc
	s_cbranch_execz .LBB651_21
; %bb.20:                               ;   in Loop: Header=BB651_17 Depth=1
	v_and_b32_e32 v21, 7, v20
	v_ffbh_u32_e32 v32, v21
	v_min_u32_e32 v32, 32, v32
	v_subrev_u32_e32 v34, 28, v32
	v_lshlrev_b64 v[52:53], v34, v[20:21]
	v_lshrrev_b32_e32 v30, 3, v23
	v_sub_u32_e32 v32, 29, v32
	v_and_b32_e32 v34, 7, v52
	v_cmp_gt_u32_e32 vcc, 8, v23
	v_cndmask_b32_e32 v23, v30, v32, vcc
	v_cndmask_b32_e32 v21, v21, v34, vcc
	v_lshlrev_b32_e32 v30, 24, v20
	v_lshlrev_b32_e32 v21, 20, v21
	v_and_b32_e32 v30, 0x80000000, v30
	v_lshl_add_u32 v23, v23, 23, v38
	v_or3_b32 v21, v30, v23, v21
.LBB651_21:                             ;   in Loop: Header=BB651_17 Depth=1
	s_or_b64 exec, exec, s[10:11]
.LBB651_22:                             ;   in Loop: Header=BB651_17 Depth=1
	s_or_b64 exec, exec, s[6:7]
.LBB651_23:                             ;   in Loop: Header=BB651_17 Depth=1
	s_or_b64 exec, exec, s[4:5]
	v_lshrrev_b16_e32 v30, 8, v20
	v_cmp_ne_u16_e32 vcc, 0, v30
	s_and_saveexec_b64 s[4:5], vcc
	s_cbranch_execz .LBB651_29
; %bb.24:                               ;   in Loop: Header=BB651_17 Depth=1
	v_cmp_ne_u16_e32 vcc, s13, v30
	v_bfrev_b32_e32 v19, 1
	s_and_saveexec_b64 s[6:7], vcc
	s_cbranch_execz .LBB651_28
; %bb.25:                               ;   in Loop: Header=BB651_17 Depth=1
	v_and_b32_e32 v23, 0x7f, v30
	v_cmp_ne_u32_e32 vcc, s14, v23
	v_mov_b32_e32 v19, 0x7f800001
	s_and_saveexec_b64 s[10:11], vcc
	s_cbranch_execz .LBB651_27
; %bb.26:                               ;   in Loop: Header=BB651_17 Depth=1
	v_and_b32_e32 v19, 7, v30
	v_ffbh_u32_e32 v34, v19
	v_min_u32_e32 v34, 32, v34
	v_subrev_u32_e32 v40, 28, v34
	v_lshlrev_b64 v[52:53], v40, v[30:31]
	v_lshrrev_b32_e32 v32, 3, v23
	v_sub_u32_e32 v30, 29, v34
	v_and_b32_e32 v34, 7, v52
	v_cmp_gt_u32_e32 vcc, 8, v23
	v_cndmask_b32_e32 v23, v32, v30, vcc
	v_cndmask_b32_e32 v19, v19, v34, vcc
	v_lshlrev_b32_e32 v30, 16, v20
	v_lshlrev_b32_e32 v19, 20, v19
	v_and_b32_e32 v30, 0x80000000, v30
	v_lshl_add_u32 v23, v23, 23, v38
	v_or3_b32 v19, v30, v23, v19
.LBB651_27:                             ;   in Loop: Header=BB651_17 Depth=1
	s_or_b64 exec, exec, s[10:11]
.LBB651_28:                             ;   in Loop: Header=BB651_17 Depth=1
	s_or_b64 exec, exec, s[6:7]
.LBB651_29:                             ;   in Loop: Header=BB651_17 Depth=1
	s_or_b64 exec, exec, s[4:5]
	v_lshrrev_b32_e32 v30, 16, v20
	v_cmp_ne_u16_sdwa s[6:7], v30, v35 src0_sel:BYTE_0 src1_sel:DWORD
	v_mov_b32_e32 v32, 0
	v_mov_b32_e32 v23, 0
	s_and_saveexec_b64 s[4:5], s[6:7]
	s_cbranch_execz .LBB651_35
; %bb.30:                               ;   in Loop: Header=BB651_17 Depth=1
	v_cmp_ne_u16_sdwa s[10:11], v30, s13 src0_sel:BYTE_0 src1_sel:DWORD
	v_bfrev_b32_e32 v23, 1
	s_and_saveexec_b64 s[6:7], s[10:11]
	s_cbranch_execz .LBB651_34
; %bb.31:                               ;   in Loop: Header=BB651_17 Depth=1
	v_bfe_u32 v34, v20, 16, 7
	v_cmp_ne_u32_e32 vcc, s14, v34
	v_mov_b32_e32 v23, 0x7f800001
	s_and_saveexec_b64 s[10:11], vcc
	s_cbranch_execz .LBB651_33
; %bb.32:                               ;   in Loop: Header=BB651_17 Depth=1
	v_and_b32_e32 v23, 7, v30
	v_ffbh_u32_e32 v42, v23
	v_min_u32_e32 v42, 32, v42
	v_subrev_u32_e32 v44, 28, v42
	v_lshlrev_b64 v[52:53], v44, v[30:31]
	v_lshrrev_b32_e32 v40, 3, v34
	v_sub_u32_e32 v42, 29, v42
	v_and_b32_e32 v44, 7, v52
	v_cmp_gt_u32_e32 vcc, 8, v34
	v_cndmask_b32_e32 v34, v40, v42, vcc
	v_cndmask_b32_e32 v23, v23, v44, vcc
	v_lshlrev_b32_e32 v30, 24, v30
	v_lshlrev_b32_e32 v23, 20, v23
	v_and_b32_e32 v30, 0x80000000, v30
	v_lshl_add_u32 v34, v34, 23, v38
	v_or3_b32 v23, v30, v34, v23
.LBB651_33:                             ;   in Loop: Header=BB651_17 Depth=1
	s_or_b64 exec, exec, s[10:11]
.LBB651_34:                             ;   in Loop: Header=BB651_17 Depth=1
	s_or_b64 exec, exec, s[6:7]
.LBB651_35:                             ;   in Loop: Header=BB651_17 Depth=1
	s_or_b64 exec, exec, s[4:5]
	v_cmp_lt_u32_e32 vcc, s15, v20
	s_and_saveexec_b64 s[4:5], vcc
	s_cbranch_execz .LBB651_41
; %bb.36:                               ;   in Loop: Header=BB651_17 Depth=1
	v_lshrrev_b32_e32 v30, 24, v20
	v_cmp_ne_u32_e32 vcc, s13, v30
	v_bfrev_b32_e32 v32, 1
	s_and_saveexec_b64 s[6:7], vcc
	s_cbranch_execz .LBB651_40
; %bb.37:                               ;   in Loop: Header=BB651_17 Depth=1
	v_bfe_u32 v20, v20, 24, 7
	v_cmp_ne_u32_e32 vcc, s14, v20
	v_mov_b32_e32 v32, 0x7f800001
	s_and_saveexec_b64 s[10:11], vcc
	s_cbranch_execz .LBB651_39
; %bb.38:                               ;   in Loop: Header=BB651_17 Depth=1
	v_and_b32_e32 v32, 7, v30
	v_ffbh_u32_e32 v40, v32
	v_min_u32_e32 v40, 32, v40
	v_subrev_u32_e32 v42, 28, v40
	v_lshlrev_b64 v[52:53], v42, v[30:31]
	v_lshrrev_b32_e32 v34, 3, v20
	v_sub_u32_e32 v40, 29, v40
	v_and_b32_e32 v42, 7, v52
	v_cmp_gt_u32_e32 vcc, 8, v20
	v_cndmask_b32_e32 v20, v34, v40, vcc
	v_cndmask_b32_e32 v32, v32, v42, vcc
	v_lshlrev_b32_e32 v30, 24, v30
	v_lshlrev_b32_e32 v32, 20, v32
	v_and_b32_e32 v30, 0x80000000, v30
	v_lshl_add_u32 v20, v20, 23, v38
	v_or3_b32 v32, v30, v20, v32
.LBB651_39:                             ;   in Loop: Header=BB651_17 Depth=1
	s_or_b64 exec, exec, s[10:11]
.LBB651_40:                             ;   in Loop: Header=BB651_17 Depth=1
	s_or_b64 exec, exec, s[6:7]
.LBB651_41:                             ;   in Loop: Header=BB651_17 Depth=1
	s_or_b64 exec, exec, s[4:5]
	s_waitcnt vmcnt(2)
	v_cmp_ne_u16_sdwa s[6:7], v18, v35 src0_sel:BYTE_0 src1_sel:DWORD
	v_mov_b32_e32 v30, 0
	v_mov_b32_e32 v34, 0
	s_and_saveexec_b64 s[4:5], s[6:7]
	s_cbranch_execz .LBB651_47
; %bb.42:                               ;   in Loop: Header=BB651_17 Depth=1
	v_cmp_ne_u16_sdwa s[10:11], v18, s13 src0_sel:BYTE_0 src1_sel:DWORD
	v_bfrev_b32_e32 v34, 1
	s_and_saveexec_b64 s[6:7], s[10:11]
	s_cbranch_execz .LBB651_46
; %bb.43:                               ;   in Loop: Header=BB651_17 Depth=1
	v_and_b32_e32 v20, 0x7f, v18
	v_cmp_ne_u32_e32 vcc, s14, v20
	v_mov_b32_e32 v34, 0x7f800001
	s_and_saveexec_b64 s[10:11], vcc
	s_cbranch_execz .LBB651_45
; %bb.44:                               ;   in Loop: Header=BB651_17 Depth=1
	v_and_b32_e32 v34, 7, v18
	v_ffbh_u32_e32 v42, v34
	v_min_u32_e32 v42, 32, v42
	v_subrev_u32_e32 v44, 28, v42
	v_lshlrev_b64 v[52:53], v44, v[18:19]
	v_lshrrev_b32_e32 v40, 3, v20
	v_sub_u32_e32 v42, 29, v42
	v_and_b32_e32 v44, 7, v52
	v_cmp_gt_u32_e32 vcc, 8, v20
	v_cndmask_b32_e32 v20, v40, v42, vcc
	v_cndmask_b32_e32 v34, v34, v44, vcc
	v_lshlrev_b32_e32 v40, 24, v18
	v_lshlrev_b32_e32 v34, 20, v34
	v_and_b32_e32 v40, 0x80000000, v40
	v_lshl_add_u32 v20, v20, 23, v38
	v_or3_b32 v34, v40, v20, v34
.LBB651_45:                             ;   in Loop: Header=BB651_17 Depth=1
	s_or_b64 exec, exec, s[10:11]
.LBB651_46:                             ;   in Loop: Header=BB651_17 Depth=1
	s_or_b64 exec, exec, s[6:7]
.LBB651_47:                             ;   in Loop: Header=BB651_17 Depth=1
	s_or_b64 exec, exec, s[4:5]
	v_lshrrev_b16_e32 v20, 8, v18
	v_cmp_ne_u16_e32 vcc, 0, v20
	s_and_saveexec_b64 s[4:5], vcc
	s_cbranch_execz .LBB651_53
; %bb.48:                               ;   in Loop: Header=BB651_17 Depth=1
	v_cmp_ne_u16_e32 vcc, s13, v20
	v_bfrev_b32_e32 v30, 1
	s_and_saveexec_b64 s[6:7], vcc
	s_cbranch_execz .LBB651_52
; %bb.49:                               ;   in Loop: Header=BB651_17 Depth=1
	v_and_b32_e32 v40, 0x7f, v20
	v_cmp_ne_u32_e32 vcc, s14, v40
	v_mov_b32_e32 v30, 0x7f800001
	s_and_saveexec_b64 s[10:11], vcc
	s_cbranch_execz .LBB651_51
; %bb.50:                               ;   in Loop: Header=BB651_17 Depth=1
	v_and_b32_e32 v30, 7, v20
	v_ffbh_u32_e32 v44, v30
	v_min_u32_e32 v44, 32, v44
	v_subrev_u32_e32 v52, 28, v44
	v_lshlrev_b64 v[52:53], v52, v[20:21]
	v_lshrrev_b32_e32 v42, 3, v40
	v_sub_u32_e32 v20, 29, v44
	v_and_b32_e32 v44, 7, v52
	v_cmp_gt_u32_e32 vcc, 8, v40
	v_cndmask_b32_e32 v20, v42, v20, vcc
	v_cndmask_b32_e32 v30, v30, v44, vcc
	v_lshlrev_b32_e32 v40, 16, v18
	v_lshlrev_b32_e32 v30, 20, v30
	v_and_b32_e32 v40, 0x80000000, v40
	v_lshl_add_u32 v20, v20, 23, v38
	v_or3_b32 v30, v40, v20, v30
.LBB651_51:                             ;   in Loop: Header=BB651_17 Depth=1
	s_or_b64 exec, exec, s[10:11]
.LBB651_52:                             ;   in Loop: Header=BB651_17 Depth=1
	s_or_b64 exec, exec, s[6:7]
.LBB651_53:                             ;   in Loop: Header=BB651_17 Depth=1
	s_or_b64 exec, exec, s[4:5]
	v_lshrrev_b32_e32 v20, 16, v18
	v_cmp_ne_u16_sdwa s[6:7], v20, v35 src0_sel:BYTE_0 src1_sel:DWORD
	v_mov_b32_e32 v42, 0
	v_mov_b32_e32 v40, 0
	s_and_saveexec_b64 s[4:5], s[6:7]
	s_cbranch_execz .LBB651_59
; %bb.54:                               ;   in Loop: Header=BB651_17 Depth=1
	v_cmp_ne_u16_sdwa s[10:11], v20, s13 src0_sel:BYTE_0 src1_sel:DWORD
	v_bfrev_b32_e32 v40, 1
	s_and_saveexec_b64 s[6:7], s[10:11]
	s_cbranch_execz .LBB651_58
; %bb.55:                               ;   in Loop: Header=BB651_17 Depth=1
	v_bfe_u32 v44, v18, 16, 7
	v_cmp_ne_u32_e32 vcc, s14, v44
	v_mov_b32_e32 v40, 0x7f800001
	s_and_saveexec_b64 s[10:11], vcc
	s_cbranch_execz .LBB651_57
; %bb.56:                               ;   in Loop: Header=BB651_17 Depth=1
	v_and_b32_e32 v40, 7, v20
	v_ffbh_u32_e32 v52, v40
	v_min_u32_e32 v55, 32, v52
	v_subrev_u32_e32 v52, 28, v55
	v_lshlrev_b64 v[52:53], v52, v[20:21]
	v_lshrrev_b32_e32 v54, 3, v44
	v_sub_u32_e32 v53, 29, v55
	v_and_b32_e32 v52, 7, v52
	v_cmp_gt_u32_e32 vcc, 8, v44
	v_cndmask_b32_e32 v44, v54, v53, vcc
	v_cndmask_b32_e32 v40, v40, v52, vcc
	v_lshlrev_b32_e32 v20, 24, v20
	v_lshlrev_b32_e32 v40, 20, v40
	v_and_b32_e32 v20, 0x80000000, v20
	v_lshl_add_u32 v44, v44, 23, v38
	v_or3_b32 v40, v20, v44, v40
.LBB651_57:                             ;   in Loop: Header=BB651_17 Depth=1
	s_or_b64 exec, exec, s[10:11]
.LBB651_58:                             ;   in Loop: Header=BB651_17 Depth=1
	s_or_b64 exec, exec, s[6:7]
.LBB651_59:                             ;   in Loop: Header=BB651_17 Depth=1
	s_or_b64 exec, exec, s[4:5]
	v_cmp_lt_u32_e32 vcc, s15, v18
	s_and_saveexec_b64 s[4:5], vcc
	s_cbranch_execz .LBB651_65
; %bb.60:                               ;   in Loop: Header=BB651_17 Depth=1
	v_lshrrev_b32_e32 v20, 24, v18
	v_cmp_ne_u32_e32 vcc, s13, v20
	v_bfrev_b32_e32 v42, 1
	s_and_saveexec_b64 s[6:7], vcc
	s_cbranch_execz .LBB651_64
; %bb.61:                               ;   in Loop: Header=BB651_17 Depth=1
	v_bfe_u32 v18, v18, 24, 7
	v_cmp_ne_u32_e32 vcc, s14, v18
	v_mov_b32_e32 v42, 0x7f800001
	s_and_saveexec_b64 s[10:11], vcc
	s_cbranch_execz .LBB651_63
; %bb.62:                               ;   in Loop: Header=BB651_17 Depth=1
	v_and_b32_e32 v42, 7, v20
	v_ffbh_u32_e32 v52, v42
	v_min_u32_e32 v54, 32, v52
	v_subrev_u32_e32 v52, 28, v54
	v_lshlrev_b64 v[52:53], v52, v[20:21]
	v_lshrrev_b32_e32 v44, 3, v18
	v_sub_u32_e32 v53, 29, v54
	v_and_b32_e32 v52, 7, v52
	v_cmp_gt_u32_e32 vcc, 8, v18
	v_cndmask_b32_e32 v18, v44, v53, vcc
	v_cndmask_b32_e32 v42, v42, v52, vcc
	v_lshlrev_b32_e32 v20, 24, v20
	v_lshlrev_b32_e32 v42, 20, v42
	v_and_b32_e32 v20, 0x80000000, v20
	v_lshl_add_u32 v18, v18, 23, v38
	v_or3_b32 v42, v20, v18, v42
.LBB651_63:                             ;   in Loop: Header=BB651_17 Depth=1
	s_or_b64 exec, exec, s[10:11]
.LBB651_64:                             ;   in Loop: Header=BB651_17 Depth=1
	s_or_b64 exec, exec, s[6:7]
.LBB651_65:                             ;   in Loop: Header=BB651_17 Depth=1
	s_or_b64 exec, exec, s[4:5]
	v_cvt_pkrtz_f16_f32 v18, v21, v19
	v_cvt_pkrtz_f16_f32 v19, v23, v32
	;; [unrolled: 1-line block ×4, first 2 shown]
	v_mov_b32_e32 v32, 0
	v_mfma_f32_16x16x16f16 v[18:21], v[18:19], v[2:3], 0
	s_waitcnt vmcnt(1)
	v_cmp_ne_u16_sdwa s[6:7], v28, v35 src0_sel:BYTE_0 src1_sel:DWORD
	v_mov_b32_e32 v34, 0
	v_mfma_f32_16x16x16f16 v[18:21], v[52:53], v[4:5], v[18:21]
	s_and_saveexec_b64 s[4:5], s[6:7]
	s_cbranch_execz .LBB651_71
; %bb.66:                               ;   in Loop: Header=BB651_17 Depth=1
	v_cmp_ne_u16_sdwa s[10:11], v28, s13 src0_sel:BYTE_0 src1_sel:DWORD
	v_bfrev_b32_e32 v34, 1
	s_and_saveexec_b64 s[6:7], s[10:11]
	s_cbranch_execz .LBB651_70
; %bb.67:                               ;   in Loop: Header=BB651_17 Depth=1
	v_and_b32_e32 v23, 0x7f, v28
	v_cmp_ne_u32_e32 vcc, s14, v23
	v_mov_b32_e32 v34, 0x7f800001
	s_and_saveexec_b64 s[10:11], vcc
	s_cbranch_execz .LBB651_69
; %bb.68:                               ;   in Loop: Header=BB651_17 Depth=1
	v_and_b32_e32 v30, 7, v28
	v_ffbh_u32_e32 v40, v30
	v_min_u32_e32 v40, 32, v40
	v_subrev_u32_e32 v42, 28, v40
	v_lshlrev_b64 v[52:53], v42, v[28:29]
	v_lshrrev_b32_e32 v34, 3, v23
	v_sub_u32_e32 v40, 29, v40
	v_and_b32_e32 v42, 7, v52
	v_cmp_gt_u32_e32 vcc, 8, v23
	v_cndmask_b32_e32 v23, v34, v40, vcc
	v_cndmask_b32_e32 v30, v30, v42, vcc
	v_lshlrev_b32_e32 v34, 24, v28
	v_lshlrev_b32_e32 v30, 20, v30
	v_and_b32_e32 v34, 0x80000000, v34
	v_lshl_add_u32 v23, v23, 23, v38
	v_or3_b32 v34, v34, v23, v30
.LBB651_69:                             ;   in Loop: Header=BB651_17 Depth=1
	s_or_b64 exec, exec, s[10:11]
.LBB651_70:                             ;   in Loop: Header=BB651_17 Depth=1
	s_or_b64 exec, exec, s[6:7]
.LBB651_71:                             ;   in Loop: Header=BB651_17 Depth=1
	s_or_b64 exec, exec, s[4:5]
	v_lshrrev_b16_e32 v30, 8, v28
	v_cmp_ne_u16_e32 vcc, 0, v30
	v_mov_b32_e32 v40, 0
	s_and_saveexec_b64 s[4:5], vcc
	s_cbranch_execz .LBB651_77
; %bb.72:                               ;   in Loop: Header=BB651_17 Depth=1
	v_cmp_ne_u16_e32 vcc, s13, v30
	v_bfrev_b32_e32 v40, 1
	s_and_saveexec_b64 s[6:7], vcc
	s_cbranch_execz .LBB651_76
; %bb.73:                               ;   in Loop: Header=BB651_17 Depth=1
	v_and_b32_e32 v23, 0x7f, v30
	v_cmp_ne_u32_e32 vcc, s14, v23
	v_mov_b32_e32 v40, 0x7f800001
	s_and_saveexec_b64 s[10:11], vcc
	s_cbranch_execz .LBB651_75
; %bb.74:                               ;   in Loop: Header=BB651_17 Depth=1
	v_and_b32_e32 v40, 7, v30
	v_ffbh_u32_e32 v44, v40
	v_min_u32_e32 v44, 32, v44
	v_subrev_u32_e32 v52, 28, v44
	v_lshlrev_b64 v[52:53], v52, v[30:31]
	v_lshrrev_b32_e32 v42, 3, v23
	v_sub_u32_e32 v30, 29, v44
	v_and_b32_e32 v44, 7, v52
	v_cmp_gt_u32_e32 vcc, 8, v23
	v_cndmask_b32_e32 v23, v42, v30, vcc
	v_cndmask_b32_e32 v30, v40, v44, vcc
	v_lshlrev_b32_e32 v40, 16, v28
	v_lshlrev_b32_e32 v30, 20, v30
	v_and_b32_e32 v40, 0x80000000, v40
	v_lshl_add_u32 v23, v23, 23, v38
	v_or3_b32 v40, v40, v23, v30
.LBB651_75:                             ;   in Loop: Header=BB651_17 Depth=1
	s_or_b64 exec, exec, s[10:11]
.LBB651_76:                             ;   in Loop: Header=BB651_17 Depth=1
	s_or_b64 exec, exec, s[6:7]
.LBB651_77:                             ;   in Loop: Header=BB651_17 Depth=1
	s_or_b64 exec, exec, s[4:5]
	v_lshrrev_b32_e32 v30, 16, v28
	v_cmp_ne_u16_sdwa s[6:7], v30, v35 src0_sel:BYTE_0 src1_sel:DWORD
	s_and_saveexec_b64 s[4:5], s[6:7]
	s_cbranch_execz .LBB651_83
; %bb.78:                               ;   in Loop: Header=BB651_17 Depth=1
	v_cmp_ne_u16_sdwa s[10:11], v30, s13 src0_sel:BYTE_0 src1_sel:DWORD
	v_bfrev_b32_e32 v32, 1
	s_and_saveexec_b64 s[6:7], s[10:11]
	s_cbranch_execz .LBB651_82
; %bb.79:                               ;   in Loop: Header=BB651_17 Depth=1
	v_bfe_u32 v23, v28, 16, 7
	v_cmp_ne_u32_e32 vcc, s14, v23
	v_mov_b32_e32 v32, 0x7f800001
	s_and_saveexec_b64 s[10:11], vcc
	s_cbranch_execz .LBB651_81
; %bb.80:                               ;   in Loop: Header=BB651_17 Depth=1
	v_and_b32_e32 v32, 7, v30
	v_ffbh_u32_e32 v44, v32
	v_min_u32_e32 v44, 32, v44
	v_subrev_u32_e32 v52, 28, v44
	v_lshlrev_b64 v[52:53], v52, v[30:31]
	v_lshrrev_b32_e32 v42, 3, v23
	v_sub_u32_e32 v44, 29, v44
	v_and_b32_e32 v52, 7, v52
	v_cmp_gt_u32_e32 vcc, 8, v23
	v_cndmask_b32_e32 v23, v42, v44, vcc
	v_cndmask_b32_e32 v32, v32, v52, vcc
	v_lshlrev_b32_e32 v30, 24, v30
	v_lshlrev_b32_e32 v32, 20, v32
	v_and_b32_e32 v30, 0x80000000, v30
	v_lshl_add_u32 v23, v23, 23, v38
	v_or3_b32 v32, v30, v23, v32
.LBB651_81:                             ;   in Loop: Header=BB651_17 Depth=1
	s_or_b64 exec, exec, s[10:11]
.LBB651_82:                             ;   in Loop: Header=BB651_17 Depth=1
	s_or_b64 exec, exec, s[6:7]
.LBB651_83:                             ;   in Loop: Header=BB651_17 Depth=1
	s_or_b64 exec, exec, s[4:5]
	v_cmp_lt_u32_e32 vcc, s15, v28
	v_mov_b32_e32 v42, 0
	v_mov_b32_e32 v44, 0
	s_and_saveexec_b64 s[4:5], vcc
	s_cbranch_execz .LBB651_89
; %bb.84:                               ;   in Loop: Header=BB651_17 Depth=1
	v_lshrrev_b32_e32 v30, 24, v28
	v_cmp_ne_u32_e32 vcc, s13, v30
	v_bfrev_b32_e32 v44, 1
	s_and_saveexec_b64 s[6:7], vcc
	s_cbranch_execz .LBB651_88
; %bb.85:                               ;   in Loop: Header=BB651_17 Depth=1
	v_bfe_u32 v23, v28, 24, 7
	v_cmp_ne_u32_e32 vcc, s14, v23
	v_mov_b32_e32 v44, 0x7f800001
	s_and_saveexec_b64 s[10:11], vcc
	s_cbranch_execz .LBB651_87
; %bb.86:                               ;   in Loop: Header=BB651_17 Depth=1
	v_and_b32_e32 v28, 7, v30
	v_ffbh_u32_e32 v52, v28
	v_min_u32_e32 v54, 32, v52
	v_subrev_u32_e32 v52, 28, v54
	v_lshlrev_b64 v[52:53], v52, v[30:31]
	v_lshrrev_b32_e32 v44, 3, v23
	v_sub_u32_e32 v53, 29, v54
	v_and_b32_e32 v52, 7, v52
	v_cmp_gt_u32_e32 vcc, 8, v23
	v_cndmask_b32_e32 v23, v44, v53, vcc
	v_cndmask_b32_e32 v28, v28, v52, vcc
	v_lshlrev_b32_e32 v30, 24, v30
	v_lshlrev_b32_e32 v28, 20, v28
	v_and_b32_e32 v30, 0x80000000, v30
	v_lshl_add_u32 v23, v23, 23, v38
	v_or3_b32 v44, v30, v23, v28
.LBB651_87:                             ;   in Loop: Header=BB651_17 Depth=1
	s_or_b64 exec, exec, s[10:11]
.LBB651_88:                             ;   in Loop: Header=BB651_17 Depth=1
	s_or_b64 exec, exec, s[6:7]
.LBB651_89:                             ;   in Loop: Header=BB651_17 Depth=1
	s_or_b64 exec, exec, s[4:5]
	s_waitcnt vmcnt(0)
	v_cmp_ne_u16_sdwa s[6:7], v26, v35 src0_sel:BYTE_0 src1_sel:DWORD
	s_and_saveexec_b64 s[4:5], s[6:7]
	s_cbranch_execz .LBB651_95
; %bb.90:                               ;   in Loop: Header=BB651_17 Depth=1
	v_cmp_ne_u16_sdwa s[10:11], v26, s13 src0_sel:BYTE_0 src1_sel:DWORD
	v_bfrev_b32_e32 v42, 1
	s_and_saveexec_b64 s[6:7], s[10:11]
	s_cbranch_execz .LBB651_94
; %bb.91:                               ;   in Loop: Header=BB651_17 Depth=1
	v_and_b32_e32 v23, 0x7f, v26
	v_cmp_ne_u32_e32 vcc, s14, v23
	v_mov_b32_e32 v42, 0x7f800001
	s_and_saveexec_b64 s[10:11], vcc
	s_cbranch_execz .LBB651_93
; %bb.92:                               ;   in Loop: Header=BB651_17 Depth=1
	v_and_b32_e32 v28, 7, v26
	v_ffbh_u32_e32 v42, v28
	v_min_u32_e32 v42, 32, v42
	v_subrev_u32_e32 v52, 28, v42
	v_lshlrev_b64 v[52:53], v52, v[26:27]
	v_lshrrev_b32_e32 v30, 3, v23
	v_sub_u32_e32 v42, 29, v42
	v_and_b32_e32 v52, 7, v52
	v_cmp_gt_u32_e32 vcc, 8, v23
	v_cndmask_b32_e32 v23, v30, v42, vcc
	v_cndmask_b32_e32 v28, v28, v52, vcc
	v_lshlrev_b32_e32 v30, 24, v26
	v_lshlrev_b32_e32 v28, 20, v28
	v_and_b32_e32 v30, 0x80000000, v30
	v_lshl_add_u32 v23, v23, 23, v38
	v_or3_b32 v42, v30, v23, v28
.LBB651_93:                             ;   in Loop: Header=BB651_17 Depth=1
	s_or_b64 exec, exec, s[10:11]
.LBB651_94:                             ;   in Loop: Header=BB651_17 Depth=1
	s_or_b64 exec, exec, s[6:7]
.LBB651_95:                             ;   in Loop: Header=BB651_17 Depth=1
	s_or_b64 exec, exec, s[4:5]
	v_lshrrev_b16_e32 v28, 8, v26
	v_cmp_ne_u16_e32 vcc, 0, v28
	v_mov_b32_e32 v52, 0
	v_mov_b32_e32 v53, 0
	s_and_saveexec_b64 s[4:5], vcc
	s_cbranch_execz .LBB651_101
; %bb.96:                               ;   in Loop: Header=BB651_17 Depth=1
	v_cmp_ne_u16_e32 vcc, s13, v28
	v_bfrev_b32_e32 v53, 1
	s_and_saveexec_b64 s[6:7], vcc
	s_cbranch_execz .LBB651_100
; %bb.97:                               ;   in Loop: Header=BB651_17 Depth=1
	v_and_b32_e32 v23, 0x7f, v28
	v_cmp_ne_u32_e32 vcc, s14, v23
	v_mov_b32_e32 v53, 0x7f800001
	s_and_saveexec_b64 s[10:11], vcc
	s_cbranch_execz .LBB651_99
; %bb.98:                               ;   in Loop: Header=BB651_17 Depth=1
	v_and_b32_e32 v30, 7, v28
	v_ffbh_u32_e32 v54, v30
	v_min_u32_e32 v56, 32, v54
	v_subrev_u32_e32 v54, 28, v56
	v_lshlrev_b64 v[54:55], v54, v[28:29]
	v_lshrrev_b32_e32 v53, 3, v23
	v_sub_u32_e32 v28, 29, v56
	v_and_b32_e32 v54, 7, v54
	v_cmp_gt_u32_e32 vcc, 8, v23
	v_cndmask_b32_e32 v23, v53, v28, vcc
	v_cndmask_b32_e32 v28, v30, v54, vcc
	v_lshlrev_b32_e32 v30, 16, v26
	v_lshlrev_b32_e32 v28, 20, v28
	v_and_b32_e32 v30, 0x80000000, v30
	v_lshl_add_u32 v23, v23, 23, v38
	v_or3_b32 v53, v30, v23, v28
.LBB651_99:                             ;   in Loop: Header=BB651_17 Depth=1
	s_or_b64 exec, exec, s[10:11]
.LBB651_100:                            ;   in Loop: Header=BB651_17 Depth=1
	s_or_b64 exec, exec, s[6:7]
.LBB651_101:                            ;   in Loop: Header=BB651_17 Depth=1
	s_or_b64 exec, exec, s[4:5]
	v_lshrrev_b32_e32 v28, 16, v26
	v_cmp_ne_u16_sdwa s[6:7], v28, v35 src0_sel:BYTE_0 src1_sel:DWORD
	s_and_saveexec_b64 s[4:5], s[6:7]
	s_cbranch_execz .LBB651_107
; %bb.102:                              ;   in Loop: Header=BB651_17 Depth=1
	v_cmp_ne_u16_sdwa s[10:11], v28, s13 src0_sel:BYTE_0 src1_sel:DWORD
	v_bfrev_b32_e32 v52, 1
	s_and_saveexec_b64 s[6:7], s[10:11]
	s_cbranch_execz .LBB651_106
; %bb.103:                              ;   in Loop: Header=BB651_17 Depth=1
	v_bfe_u32 v23, v26, 16, 7
	v_cmp_ne_u32_e32 vcc, s14, v23
	v_mov_b32_e32 v52, 0x7f800001
	s_and_saveexec_b64 s[10:11], vcc
	s_cbranch_execz .LBB651_105
; %bb.104:                              ;   in Loop: Header=BB651_17 Depth=1
	v_and_b32_e32 v30, 7, v28
	v_ffbh_u32_e32 v54, v30
	v_min_u32_e32 v56, 32, v54
	v_subrev_u32_e32 v54, 28, v56
	v_lshlrev_b64 v[54:55], v54, v[28:29]
	v_lshrrev_b32_e32 v52, 3, v23
	v_sub_u32_e32 v55, 29, v56
	v_and_b32_e32 v54, 7, v54
	v_cmp_gt_u32_e32 vcc, 8, v23
	v_cndmask_b32_e32 v23, v52, v55, vcc
	v_cndmask_b32_e32 v30, v30, v54, vcc
	v_lshlrev_b32_e32 v28, 24, v28
	v_lshlrev_b32_e32 v30, 20, v30
	v_and_b32_e32 v28, 0x80000000, v28
	v_lshl_add_u32 v23, v23, 23, v38
	v_or3_b32 v52, v28, v23, v30
.LBB651_105:                            ;   in Loop: Header=BB651_17 Depth=1
	s_or_b64 exec, exec, s[10:11]
.LBB651_106:                            ;   in Loop: Header=BB651_17 Depth=1
	s_or_b64 exec, exec, s[6:7]
.LBB651_107:                            ;   in Loop: Header=BB651_17 Depth=1
	s_or_b64 exec, exec, s[4:5]
	v_cmp_lt_u32_e32 vcc, s15, v26
	v_mov_b32_e32 v23, 0
	v_mov_b32_e32 v54, 0
	s_and_saveexec_b64 s[4:5], vcc
	s_cbranch_execz .LBB651_113
; %bb.108:                              ;   in Loop: Header=BB651_17 Depth=1
	v_lshrrev_b32_e32 v28, 24, v26
	v_cmp_ne_u32_e32 vcc, s13, v28
	v_bfrev_b32_e32 v54, 1
	s_and_saveexec_b64 s[6:7], vcc
	s_cbranch_execz .LBB651_112
; %bb.109:                              ;   in Loop: Header=BB651_17 Depth=1
	v_bfe_u32 v26, v26, 24, 7
	v_cmp_ne_u32_e32 vcc, s14, v26
	v_mov_b32_e32 v54, 0x7f800001
	s_and_saveexec_b64 s[10:11], vcc
	s_cbranch_execz .LBB651_111
; %bb.110:                              ;   in Loop: Header=BB651_17 Depth=1
	v_and_b32_e32 v30, 7, v28
	v_ffbh_u32_e32 v54, v30
	v_min_u32_e32 v57, 32, v54
	v_subrev_u32_e32 v54, 28, v57
	v_lshlrev_b64 v[54:55], v54, v[28:29]
	v_lshrrev_b32_e32 v56, 3, v26
	v_sub_u32_e32 v55, 29, v57
	v_and_b32_e32 v54, 7, v54
	v_cmp_gt_u32_e32 vcc, 8, v26
	v_cndmask_b32_e32 v26, v56, v55, vcc
	v_cndmask_b32_e32 v30, v30, v54, vcc
	v_lshlrev_b32_e32 v28, 24, v28
	v_lshlrev_b32_e32 v30, 20, v30
	v_and_b32_e32 v28, 0x80000000, v28
	v_lshl_add_u32 v26, v26, 23, v38
	v_or3_b32 v54, v28, v26, v30
.LBB651_111:                            ;   in Loop: Header=BB651_17 Depth=1
	s_or_b64 exec, exec, s[10:11]
.LBB651_112:                            ;   in Loop: Header=BB651_17 Depth=1
	s_or_b64 exec, exec, s[6:7]
.LBB651_113:                            ;   in Loop: Header=BB651_17 Depth=1
	s_or_b64 exec, exec, s[4:5]
	v_cvt_pkrtz_f16_f32 v57, v32, v44
	buffer_load_dword v32, v36, s[0:3], 0 offen offset:16
	buffer_load_dword v30, v36, s[0:3], 0 offen offset:20
	;; [unrolled: 1-line block ×4, first 2 shown]
	v_cvt_pkrtz_f16_f32 v56, v34, v40
	s_waitcnt vmcnt(3)
	v_cmp_ne_u16_sdwa s[6:7], v32, v35 src0_sel:BYTE_0 src1_sel:DWORD
	v_mfma_f32_16x16x16f16 v[18:21], v[56:57], v[6:7], v[18:21]
	v_cvt_pkrtz_f16_f32 v56, v42, v53
	v_cvt_pkrtz_f16_f32 v57, v52, v54
	s_nop 1
	v_mfma_f32_16x16x16f16 v[18:21], v[56:57], v[8:9], v[18:21]
	s_and_saveexec_b64 s[4:5], s[6:7]
	s_cbranch_execz .LBB651_119
; %bb.114:                              ;   in Loop: Header=BB651_17 Depth=1
	v_cmp_ne_u16_sdwa s[10:11], v32, s13 src0_sel:BYTE_0 src1_sel:DWORD
	v_bfrev_b32_e32 v23, 1
	s_and_saveexec_b64 s[6:7], s[10:11]
	s_cbranch_execz .LBB651_118
; %bb.115:                              ;   in Loop: Header=BB651_17 Depth=1
	v_and_b32_e32 v34, 0x7f, v32
	v_cmp_ne_u32_e32 vcc, s14, v34
	v_mov_b32_e32 v23, 0x7f800001
	s_and_saveexec_b64 s[10:11], vcc
	s_cbranch_execz .LBB651_117
; %bb.116:                              ;   in Loop: Header=BB651_17 Depth=1
	v_and_b32_e32 v23, 7, v32
	v_ffbh_u32_e32 v42, v23
	v_min_u32_e32 v42, 32, v42
	v_subrev_u32_e32 v44, 28, v42
	v_lshlrev_b64 v[52:53], v44, v[32:33]
	v_lshrrev_b32_e32 v40, 3, v34
	v_sub_u32_e32 v42, 29, v42
	v_and_b32_e32 v44, 7, v52
	v_cmp_gt_u32_e32 vcc, 8, v34
	v_cndmask_b32_e32 v34, v40, v42, vcc
	v_cndmask_b32_e32 v23, v23, v44, vcc
	v_lshlrev_b32_e32 v40, 24, v32
	v_lshlrev_b32_e32 v23, 20, v23
	v_and_b32_e32 v40, 0x80000000, v40
	v_lshl_add_u32 v34, v34, 23, v38
	v_or3_b32 v23, v40, v34, v23
.LBB651_117:                            ;   in Loop: Header=BB651_17 Depth=1
	s_or_b64 exec, exec, s[10:11]
.LBB651_118:                            ;   in Loop: Header=BB651_17 Depth=1
	s_or_b64 exec, exec, s[6:7]
.LBB651_119:                            ;   in Loop: Header=BB651_17 Depth=1
	s_or_b64 exec, exec, s[4:5]
	v_lshrrev_b16_e32 v34, 8, v32
	v_cmp_ne_u16_e32 vcc, 0, v34
	v_mov_b32_e32 v40, 0
	v_mov_b32_e32 v42, 0
	s_and_saveexec_b64 s[4:5], vcc
	s_cbranch_execz .LBB651_125
; %bb.120:                              ;   in Loop: Header=BB651_17 Depth=1
	v_cmp_ne_u16_e32 vcc, s13, v34
	v_bfrev_b32_e32 v42, 1
	s_and_saveexec_b64 s[6:7], vcc
	s_cbranch_execz .LBB651_124
; %bb.121:                              ;   in Loop: Header=BB651_17 Depth=1
	v_and_b32_e32 v44, 0x7f, v34
	v_cmp_ne_u32_e32 vcc, s14, v44
	v_mov_b32_e32 v42, 0x7f800001
	s_and_saveexec_b64 s[10:11], vcc
	s_cbranch_execz .LBB651_123
; %bb.122:                              ;   in Loop: Header=BB651_17 Depth=1
	v_and_b32_e32 v42, 7, v34
	v_ffbh_u32_e32 v52, v42
	v_min_u32_e32 v55, 32, v52
	v_subrev_u32_e32 v52, 28, v55
	v_lshlrev_b64 v[52:53], v52, v[34:35]
	v_lshrrev_b32_e32 v54, 3, v44
	v_sub_u32_e32 v34, 29, v55
	v_and_b32_e32 v52, 7, v52
	v_cmp_gt_u32_e32 vcc, 8, v44
	v_cndmask_b32_e32 v34, v54, v34, vcc
	v_cndmask_b32_e32 v42, v42, v52, vcc
	v_lshlrev_b32_e32 v44, 16, v32
	v_lshlrev_b32_e32 v42, 20, v42
	v_and_b32_e32 v44, 0x80000000, v44
	v_lshl_add_u32 v34, v34, 23, v38
	v_or3_b32 v42, v44, v34, v42
.LBB651_123:                            ;   in Loop: Header=BB651_17 Depth=1
	s_or_b64 exec, exec, s[10:11]
.LBB651_124:                            ;   in Loop: Header=BB651_17 Depth=1
	s_or_b64 exec, exec, s[6:7]
.LBB651_125:                            ;   in Loop: Header=BB651_17 Depth=1
	s_or_b64 exec, exec, s[4:5]
	v_lshrrev_b32_e32 v34, 16, v32
	v_cmp_ne_u16_sdwa s[6:7], v34, v35 src0_sel:BYTE_0 src1_sel:DWORD
	s_and_saveexec_b64 s[4:5], s[6:7]
	s_cbranch_execz .LBB651_131
; %bb.126:                              ;   in Loop: Header=BB651_17 Depth=1
	v_cmp_ne_u16_sdwa s[10:11], v34, s13 src0_sel:BYTE_0 src1_sel:DWORD
	v_bfrev_b32_e32 v40, 1
	s_and_saveexec_b64 s[6:7], s[10:11]
	s_cbranch_execz .LBB651_130
; %bb.127:                              ;   in Loop: Header=BB651_17 Depth=1
	v_bfe_u32 v44, v32, 16, 7
	v_cmp_ne_u32_e32 vcc, s14, v44
	v_mov_b32_e32 v40, 0x7f800001
	s_and_saveexec_b64 s[10:11], vcc
	s_cbranch_execz .LBB651_129
; %bb.128:                              ;   in Loop: Header=BB651_17 Depth=1
	v_and_b32_e32 v40, 7, v34
	v_ffbh_u32_e32 v52, v40
	v_min_u32_e32 v55, 32, v52
	v_subrev_u32_e32 v52, 28, v55
	v_lshlrev_b64 v[52:53], v52, v[34:35]
	v_lshrrev_b32_e32 v54, 3, v44
	v_sub_u32_e32 v53, 29, v55
	v_and_b32_e32 v52, 7, v52
	v_cmp_gt_u32_e32 vcc, 8, v44
	v_cndmask_b32_e32 v44, v54, v53, vcc
	v_cndmask_b32_e32 v40, v40, v52, vcc
	v_lshlrev_b32_e32 v34, 24, v34
	v_lshlrev_b32_e32 v40, 20, v40
	v_and_b32_e32 v34, 0x80000000, v34
	v_lshl_add_u32 v44, v44, 23, v38
	v_or3_b32 v40, v34, v44, v40
.LBB651_129:                            ;   in Loop: Header=BB651_17 Depth=1
	s_or_b64 exec, exec, s[10:11]
.LBB651_130:                            ;   in Loop: Header=BB651_17 Depth=1
	s_or_b64 exec, exec, s[6:7]
.LBB651_131:                            ;   in Loop: Header=BB651_17 Depth=1
	s_or_b64 exec, exec, s[4:5]
	v_cmp_lt_u32_e32 vcc, s15, v32
	v_mov_b32_e32 v44, 0
	v_mov_b32_e32 v52, 0
	s_and_saveexec_b64 s[4:5], vcc
	s_cbranch_execz .LBB651_137
; %bb.132:                              ;   in Loop: Header=BB651_17 Depth=1
	v_lshrrev_b32_e32 v34, 24, v32
	v_cmp_ne_u32_e32 vcc, s13, v34
	v_bfrev_b32_e32 v52, 1
	s_and_saveexec_b64 s[6:7], vcc
	s_cbranch_execz .LBB651_136
; %bb.133:                              ;   in Loop: Header=BB651_17 Depth=1
	v_bfe_u32 v32, v32, 24, 7
	v_cmp_ne_u32_e32 vcc, s14, v32
	v_mov_b32_e32 v52, 0x7f800001
	s_and_saveexec_b64 s[10:11], vcc
	s_cbranch_execz .LBB651_135
; %bb.134:                              ;   in Loop: Header=BB651_17 Depth=1
	v_and_b32_e32 v54, 7, v34
	v_ffbh_u32_e32 v52, v54
	v_min_u32_e32 v56, 32, v52
	v_subrev_u32_e32 v52, 28, v56
	v_lshlrev_b64 v[52:53], v52, v[34:35]
	v_lshrrev_b32_e32 v55, 3, v32
	v_sub_u32_e32 v53, 29, v56
	v_and_b32_e32 v52, 7, v52
	v_cmp_gt_u32_e32 vcc, 8, v32
	v_cndmask_b32_e32 v32, v55, v53, vcc
	v_cndmask_b32_e32 v52, v54, v52, vcc
	v_lshlrev_b32_e32 v34, 24, v34
	v_lshlrev_b32_e32 v52, 20, v52
	v_and_b32_e32 v34, 0x80000000, v34
	v_lshl_add_u32 v32, v32, 23, v38
	v_or3_b32 v52, v34, v32, v52
.LBB651_135:                            ;   in Loop: Header=BB651_17 Depth=1
	s_or_b64 exec, exec, s[10:11]
.LBB651_136:                            ;   in Loop: Header=BB651_17 Depth=1
	s_or_b64 exec, exec, s[6:7]
.LBB651_137:                            ;   in Loop: Header=BB651_17 Depth=1
	s_or_b64 exec, exec, s[4:5]
	s_waitcnt vmcnt(2)
	v_cmp_ne_u16_sdwa s[6:7], v30, v35 src0_sel:BYTE_0 src1_sel:DWORD
	s_and_saveexec_b64 s[4:5], s[6:7]
	s_cbranch_execz .LBB651_143
; %bb.138:                              ;   in Loop: Header=BB651_17 Depth=1
	v_cmp_ne_u16_sdwa s[10:11], v30, s13 src0_sel:BYTE_0 src1_sel:DWORD
	v_bfrev_b32_e32 v44, 1
	s_and_saveexec_b64 s[6:7], s[10:11]
	s_cbranch_execz .LBB651_142
; %bb.139:                              ;   in Loop: Header=BB651_17 Depth=1
	v_and_b32_e32 v32, 0x7f, v30
	v_cmp_ne_u32_e32 vcc, s14, v32
	v_mov_b32_e32 v44, 0x7f800001
	s_and_saveexec_b64 s[10:11], vcc
	s_cbranch_execz .LBB651_141
; %bb.140:                              ;   in Loop: Header=BB651_17 Depth=1
	v_and_b32_e32 v34, 7, v30
	v_ffbh_u32_e32 v53, v34
	v_min_u32_e32 v53, 32, v53
	v_subrev_u32_e32 v54, 28, v53
	v_lshlrev_b64 v[54:55], v54, v[30:31]
	v_lshrrev_b32_e32 v44, 3, v32
	v_sub_u32_e32 v53, 29, v53
	v_and_b32_e32 v54, 7, v54
	v_cmp_gt_u32_e32 vcc, 8, v32
	v_cndmask_b32_e32 v32, v44, v53, vcc
	v_cndmask_b32_e32 v34, v34, v54, vcc
	v_lshlrev_b32_e32 v44, 24, v30
	v_lshlrev_b32_e32 v34, 20, v34
	v_and_b32_e32 v44, 0x80000000, v44
	v_lshl_add_u32 v32, v32, 23, v38
	v_or3_b32 v44, v44, v32, v34
.LBB651_141:                            ;   in Loop: Header=BB651_17 Depth=1
	s_or_b64 exec, exec, s[10:11]
.LBB651_142:                            ;   in Loop: Header=BB651_17 Depth=1
	s_or_b64 exec, exec, s[6:7]
.LBB651_143:                            ;   in Loop: Header=BB651_17 Depth=1
	s_or_b64 exec, exec, s[4:5]
	v_lshrrev_b16_e32 v32, 8, v30
	v_cmp_ne_u16_e32 vcc, 0, v32
	v_mov_b32_e32 v53, 0
	v_mov_b32_e32 v54, 0
	s_and_saveexec_b64 s[4:5], vcc
	s_cbranch_execz .LBB651_149
; %bb.144:                              ;   in Loop: Header=BB651_17 Depth=1
	v_cmp_ne_u16_e32 vcc, s13, v32
	v_bfrev_b32_e32 v54, 1
	s_and_saveexec_b64 s[6:7], vcc
	s_cbranch_execz .LBB651_148
; %bb.145:                              ;   in Loop: Header=BB651_17 Depth=1
	v_and_b32_e32 v34, 0x7f, v32
	v_cmp_ne_u32_e32 vcc, s14, v34
	v_mov_b32_e32 v54, 0x7f800001
	s_and_saveexec_b64 s[10:11], vcc
	s_cbranch_execz .LBB651_147
; %bb.146:                              ;   in Loop: Header=BB651_17 Depth=1
	v_and_b32_e32 v56, 7, v32
	v_ffbh_u32_e32 v54, v56
	v_min_u32_e32 v58, 32, v54
	v_subrev_u32_e32 v54, 28, v58
	v_lshlrev_b64 v[54:55], v54, v[32:33]
	v_lshrrev_b32_e32 v57, 3, v34
	v_sub_u32_e32 v32, 29, v58
	v_and_b32_e32 v54, 7, v54
	v_cmp_gt_u32_e32 vcc, 8, v34
	v_cndmask_b32_e32 v32, v57, v32, vcc
	v_cndmask_b32_e32 v34, v56, v54, vcc
	v_lshlrev_b32_e32 v54, 16, v30
	v_lshlrev_b32_e32 v34, 20, v34
	v_and_b32_e32 v54, 0x80000000, v54
	v_lshl_add_u32 v32, v32, 23, v38
	v_or3_b32 v54, v54, v32, v34
.LBB651_147:                            ;   in Loop: Header=BB651_17 Depth=1
	s_or_b64 exec, exec, s[10:11]
.LBB651_148:                            ;   in Loop: Header=BB651_17 Depth=1
	s_or_b64 exec, exec, s[6:7]
.LBB651_149:                            ;   in Loop: Header=BB651_17 Depth=1
	s_or_b64 exec, exec, s[4:5]
	v_lshrrev_b32_e32 v32, 16, v30
	v_cmp_ne_u16_sdwa s[6:7], v32, v35 src0_sel:BYTE_0 src1_sel:DWORD
	s_and_saveexec_b64 s[4:5], s[6:7]
	s_cbranch_execz .LBB651_155
; %bb.150:                              ;   in Loop: Header=BB651_17 Depth=1
	v_cmp_ne_u16_sdwa s[10:11], v32, s13 src0_sel:BYTE_0 src1_sel:DWORD
	v_bfrev_b32_e32 v53, 1
	s_and_saveexec_b64 s[6:7], s[10:11]
	s_cbranch_execz .LBB651_154
; %bb.151:                              ;   in Loop: Header=BB651_17 Depth=1
	v_bfe_u32 v34, v30, 16, 7
	v_cmp_ne_u32_e32 vcc, s14, v34
	v_mov_b32_e32 v53, 0x7f800001
	s_and_saveexec_b64 s[10:11], vcc
	s_cbranch_execz .LBB651_153
; %bb.152:                              ;   in Loop: Header=BB651_17 Depth=1
	v_and_b32_e32 v53, 7, v32
	v_ffbh_u32_e32 v56, v53
	v_min_u32_e32 v58, 32, v56
	v_subrev_u32_e32 v56, 28, v58
	v_lshlrev_b64 v[56:57], v56, v[32:33]
	v_lshrrev_b32_e32 v55, 3, v34
	v_sub_u32_e32 v57, 29, v58
	v_and_b32_e32 v56, 7, v56
	v_cmp_gt_u32_e32 vcc, 8, v34
	v_cndmask_b32_e32 v34, v55, v57, vcc
	v_cndmask_b32_e32 v53, v53, v56, vcc
	v_lshlrev_b32_e32 v32, 24, v32
	v_lshlrev_b32_e32 v53, 20, v53
	v_and_b32_e32 v32, 0x80000000, v32
	v_lshl_add_u32 v34, v34, 23, v38
	v_or3_b32 v53, v32, v34, v53
.LBB651_153:                            ;   in Loop: Header=BB651_17 Depth=1
	s_or_b64 exec, exec, s[10:11]
.LBB651_154:                            ;   in Loop: Header=BB651_17 Depth=1
	s_or_b64 exec, exec, s[6:7]
.LBB651_155:                            ;   in Loop: Header=BB651_17 Depth=1
	s_or_b64 exec, exec, s[4:5]
	v_cmp_lt_u32_e32 vcc, s15, v30
	v_mov_b32_e32 v34, 0
	v_mov_b32_e32 v55, 0
	s_and_saveexec_b64 s[4:5], vcc
	s_cbranch_execz .LBB651_161
; %bb.156:                              ;   in Loop: Header=BB651_17 Depth=1
	v_lshrrev_b32_e32 v32, 24, v30
	v_cmp_ne_u32_e32 vcc, s13, v32
	v_bfrev_b32_e32 v55, 1
	s_and_saveexec_b64 s[6:7], vcc
	s_cbranch_execz .LBB651_160
; %bb.157:                              ;   in Loop: Header=BB651_17 Depth=1
	v_bfe_u32 v30, v30, 24, 7
	v_cmp_ne_u32_e32 vcc, s14, v30
	v_mov_b32_e32 v55, 0x7f800001
	s_and_saveexec_b64 s[10:11], vcc
	s_cbranch_execz .LBB651_159
; %bb.158:                              ;   in Loop: Header=BB651_17 Depth=1
	v_and_b32_e32 v55, 7, v32
	v_ffbh_u32_e32 v56, v55
	v_min_u32_e32 v59, 32, v56
	v_subrev_u32_e32 v56, 28, v59
	v_lshlrev_b64 v[56:57], v56, v[32:33]
	v_lshrrev_b32_e32 v58, 3, v30
	v_sub_u32_e32 v57, 29, v59
	v_and_b32_e32 v56, 7, v56
	v_cmp_gt_u32_e32 vcc, 8, v30
	v_cndmask_b32_e32 v30, v58, v57, vcc
	v_cndmask_b32_e32 v55, v55, v56, vcc
	v_lshlrev_b32_e32 v32, 24, v32
	v_lshlrev_b32_e32 v55, 20, v55
	v_and_b32_e32 v32, 0x80000000, v32
	v_lshl_add_u32 v30, v30, 23, v38
	v_or3_b32 v55, v32, v30, v55
.LBB651_159:                            ;   in Loop: Header=BB651_17 Depth=1
	s_or_b64 exec, exec, s[10:11]
.LBB651_160:                            ;   in Loop: Header=BB651_17 Depth=1
	s_or_b64 exec, exec, s[6:7]
.LBB651_161:                            ;   in Loop: Header=BB651_17 Depth=1
	s_or_b64 exec, exec, s[4:5]
	v_cvt_pkrtz_f16_f32 v56, v23, v42
	v_cvt_pkrtz_f16_f32 v57, v40, v52
	;; [unrolled: 1-line block ×4, first 2 shown]
	s_waitcnt vmcnt(1)
	v_cmp_ne_u16_sdwa s[6:7], v28, v35 src0_sel:BYTE_0 src1_sel:DWORD
	v_mfma_f32_16x16x16f16 v[18:21], v[56:57], v[10:11], v[18:21]
	v_mfma_f32_16x16x16f16 v[18:21], v[52:53], v[12:13], v[18:21]
	s_and_saveexec_b64 s[4:5], s[6:7]
	s_cbranch_execz .LBB651_167
; %bb.162:                              ;   in Loop: Header=BB651_17 Depth=1
	v_cmp_ne_u16_sdwa s[10:11], v28, s13 src0_sel:BYTE_0 src1_sel:DWORD
	v_bfrev_b32_e32 v34, 1
	s_and_saveexec_b64 s[6:7], s[10:11]
	s_cbranch_execz .LBB651_166
; %bb.163:                              ;   in Loop: Header=BB651_17 Depth=1
	v_and_b32_e32 v23, 0x7f, v28
	v_cmp_ne_u32_e32 vcc, s14, v23
	v_mov_b32_e32 v34, 0x7f800001
	s_and_saveexec_b64 s[10:11], vcc
	s_cbranch_execz .LBB651_165
; %bb.164:                              ;   in Loop: Header=BB651_17 Depth=1
	v_and_b32_e32 v30, 7, v28
	v_ffbh_u32_e32 v34, v30
	v_min_u32_e32 v34, 32, v34
	v_subrev_u32_e32 v40, 28, v34
	v_lshlrev_b64 v[52:53], v40, v[28:29]
	v_lshrrev_b32_e32 v32, 3, v23
	v_sub_u32_e32 v34, 29, v34
	v_and_b32_e32 v40, 7, v52
	v_cmp_gt_u32_e32 vcc, 8, v23
	v_cndmask_b32_e32 v23, v32, v34, vcc
	v_cndmask_b32_e32 v30, v30, v40, vcc
	v_lshlrev_b32_e32 v32, 24, v28
	v_lshlrev_b32_e32 v30, 20, v30
	v_and_b32_e32 v32, 0x80000000, v32
	v_lshl_add_u32 v23, v23, 23, v38
	v_or3_b32 v34, v32, v23, v30
.LBB651_165:                            ;   in Loop: Header=BB651_17 Depth=1
	s_or_b64 exec, exec, s[10:11]
.LBB651_166:                            ;   in Loop: Header=BB651_17 Depth=1
	s_or_b64 exec, exec, s[6:7]
.LBB651_167:                            ;   in Loop: Header=BB651_17 Depth=1
	s_or_b64 exec, exec, s[4:5]
	v_lshrrev_b16_e32 v30, 8, v28
	v_cmp_ne_u16_e32 vcc, 0, v30
	v_mov_b32_e32 v23, 0
	v_mov_b32_e32 v32, 0
	s_and_saveexec_b64 s[4:5], vcc
	s_cbranch_execz .LBB651_173
; %bb.168:                              ;   in Loop: Header=BB651_17 Depth=1
	v_cmp_ne_u16_e32 vcc, s13, v30
	v_bfrev_b32_e32 v32, 1
	s_and_saveexec_b64 s[6:7], vcc
	s_cbranch_execz .LBB651_172
; %bb.169:                              ;   in Loop: Header=BB651_17 Depth=1
	v_and_b32_e32 v40, 0x7f, v30
	v_cmp_ne_u32_e32 vcc, s14, v40
	v_mov_b32_e32 v32, 0x7f800001
	s_and_saveexec_b64 s[10:11], vcc
	s_cbranch_execz .LBB651_171
; %bb.170:                              ;   in Loop: Header=BB651_17 Depth=1
	v_and_b32_e32 v32, 7, v30
	v_ffbh_u32_e32 v44, v32
	v_min_u32_e32 v44, 32, v44
	v_subrev_u32_e32 v52, 28, v44
	v_lshlrev_b64 v[52:53], v52, v[30:31]
	v_lshrrev_b32_e32 v42, 3, v40
	v_sub_u32_e32 v30, 29, v44
	v_and_b32_e32 v44, 7, v52
	v_cmp_gt_u32_e32 vcc, 8, v40
	v_cndmask_b32_e32 v30, v42, v30, vcc
	v_cndmask_b32_e32 v32, v32, v44, vcc
	v_lshlrev_b32_e32 v40, 16, v28
	v_lshlrev_b32_e32 v32, 20, v32
	v_and_b32_e32 v40, 0x80000000, v40
	v_lshl_add_u32 v30, v30, 23, v38
	v_or3_b32 v32, v40, v30, v32
.LBB651_171:                            ;   in Loop: Header=BB651_17 Depth=1
	s_or_b64 exec, exec, s[10:11]
.LBB651_172:                            ;   in Loop: Header=BB651_17 Depth=1
	s_or_b64 exec, exec, s[6:7]
.LBB651_173:                            ;   in Loop: Header=BB651_17 Depth=1
	s_or_b64 exec, exec, s[4:5]
	v_lshrrev_b32_e32 v30, 16, v28
	v_cmp_ne_u16_sdwa s[6:7], v30, v35 src0_sel:BYTE_0 src1_sel:DWORD
	s_and_saveexec_b64 s[4:5], s[6:7]
	s_cbranch_execz .LBB651_179
; %bb.174:                              ;   in Loop: Header=BB651_17 Depth=1
	v_cmp_ne_u16_sdwa s[10:11], v30, s13 src0_sel:BYTE_0 src1_sel:DWORD
	v_bfrev_b32_e32 v23, 1
	s_and_saveexec_b64 s[6:7], s[10:11]
	s_cbranch_execz .LBB651_178
; %bb.175:                              ;   in Loop: Header=BB651_17 Depth=1
	v_bfe_u32 v40, v28, 16, 7
	v_cmp_ne_u32_e32 vcc, s14, v40
	v_mov_b32_e32 v23, 0x7f800001
	s_and_saveexec_b64 s[10:11], vcc
	s_cbranch_execz .LBB651_177
; %bb.176:                              ;   in Loop: Header=BB651_17 Depth=1
	v_and_b32_e32 v23, 7, v30
	v_ffbh_u32_e32 v44, v23
	v_min_u32_e32 v44, 32, v44
	v_subrev_u32_e32 v52, 28, v44
	v_lshlrev_b64 v[52:53], v52, v[30:31]
	v_lshrrev_b32_e32 v42, 3, v40
	v_sub_u32_e32 v44, 29, v44
	v_and_b32_e32 v52, 7, v52
	v_cmp_gt_u32_e32 vcc, 8, v40
	v_cndmask_b32_e32 v40, v42, v44, vcc
	v_cndmask_b32_e32 v23, v23, v52, vcc
	v_lshlrev_b32_e32 v30, 24, v30
	v_lshlrev_b32_e32 v23, 20, v23
	v_and_b32_e32 v30, 0x80000000, v30
	v_lshl_add_u32 v40, v40, 23, v38
	v_or3_b32 v23, v30, v40, v23
.LBB651_177:                            ;   in Loop: Header=BB651_17 Depth=1
	s_or_b64 exec, exec, s[10:11]
.LBB651_178:                            ;   in Loop: Header=BB651_17 Depth=1
	s_or_b64 exec, exec, s[6:7]
.LBB651_179:                            ;   in Loop: Header=BB651_17 Depth=1
	s_or_b64 exec, exec, s[4:5]
	v_cmp_lt_u32_e32 vcc, s15, v28
	v_mov_b32_e32 v40, 0
	v_mov_b32_e32 v42, 0
	s_and_saveexec_b64 s[4:5], vcc
	s_cbranch_execz .LBB651_185
; %bb.180:                              ;   in Loop: Header=BB651_17 Depth=1
	v_lshrrev_b32_e32 v30, 24, v28
	v_cmp_ne_u32_e32 vcc, s13, v30
	v_bfrev_b32_e32 v42, 1
	s_and_saveexec_b64 s[6:7], vcc
	s_cbranch_execz .LBB651_184
; %bb.181:                              ;   in Loop: Header=BB651_17 Depth=1
	v_bfe_u32 v28, v28, 24, 7
	v_cmp_ne_u32_e32 vcc, s14, v28
	v_mov_b32_e32 v42, 0x7f800001
	s_and_saveexec_b64 s[10:11], vcc
	s_cbranch_execz .LBB651_183
; %bb.182:                              ;   in Loop: Header=BB651_17 Depth=1
	v_and_b32_e32 v42, 7, v30
	v_ffbh_u32_e32 v52, v42
	v_min_u32_e32 v54, 32, v52
	v_subrev_u32_e32 v52, 28, v54
	v_lshlrev_b64 v[52:53], v52, v[30:31]
	v_lshrrev_b32_e32 v44, 3, v28
	v_sub_u32_e32 v53, 29, v54
	v_and_b32_e32 v52, 7, v52
	v_cmp_gt_u32_e32 vcc, 8, v28
	v_cndmask_b32_e32 v28, v44, v53, vcc
	v_cndmask_b32_e32 v42, v42, v52, vcc
	v_lshlrev_b32_e32 v30, 24, v30
	v_lshlrev_b32_e32 v42, 20, v42
	v_and_b32_e32 v30, 0x80000000, v30
	v_lshl_add_u32 v28, v28, 23, v38
	v_or3_b32 v42, v30, v28, v42
.LBB651_183:                            ;   in Loop: Header=BB651_17 Depth=1
	s_or_b64 exec, exec, s[10:11]
.LBB651_184:                            ;   in Loop: Header=BB651_17 Depth=1
	s_or_b64 exec, exec, s[6:7]
.LBB651_185:                            ;   in Loop: Header=BB651_17 Depth=1
	s_or_b64 exec, exec, s[4:5]
	s_waitcnt vmcnt(0)
	v_cmp_ne_u16_sdwa s[6:7], v26, v35 src0_sel:BYTE_0 src1_sel:DWORD
	s_and_saveexec_b64 s[4:5], s[6:7]
	s_cbranch_execz .LBB651_191
; %bb.186:                              ;   in Loop: Header=BB651_17 Depth=1
	v_cmp_ne_u16_sdwa s[10:11], v26, s13 src0_sel:BYTE_0 src1_sel:DWORD
	v_bfrev_b32_e32 v40, 1
	s_and_saveexec_b64 s[6:7], s[10:11]
	s_cbranch_execz .LBB651_190
; %bb.187:                              ;   in Loop: Header=BB651_17 Depth=1
	v_and_b32_e32 v28, 0x7f, v26
	v_cmp_ne_u32_e32 vcc, s14, v28
	v_mov_b32_e32 v40, 0x7f800001
	s_and_saveexec_b64 s[10:11], vcc
	s_cbranch_execz .LBB651_189
; %bb.188:                              ;   in Loop: Header=BB651_17 Depth=1
	v_and_b32_e32 v30, 7, v26
	v_ffbh_u32_e32 v44, v30
	v_min_u32_e32 v44, 32, v44
	v_subrev_u32_e32 v52, 28, v44
	v_lshlrev_b64 v[52:53], v52, v[26:27]
	v_lshrrev_b32_e32 v40, 3, v28
	v_sub_u32_e32 v44, 29, v44
	v_and_b32_e32 v52, 7, v52
	v_cmp_gt_u32_e32 vcc, 8, v28
	v_cndmask_b32_e32 v28, v40, v44, vcc
	v_cndmask_b32_e32 v30, v30, v52, vcc
	v_lshlrev_b32_e32 v40, 24, v26
	v_lshlrev_b32_e32 v30, 20, v30
	v_and_b32_e32 v40, 0x80000000, v40
	v_lshl_add_u32 v28, v28, 23, v38
	v_or3_b32 v40, v40, v28, v30
.LBB651_189:                            ;   in Loop: Header=BB651_17 Depth=1
	s_or_b64 exec, exec, s[10:11]
.LBB651_190:                            ;   in Loop: Header=BB651_17 Depth=1
	s_or_b64 exec, exec, s[6:7]
.LBB651_191:                            ;   in Loop: Header=BB651_17 Depth=1
	s_or_b64 exec, exec, s[4:5]
	v_lshrrev_b16_e32 v28, 8, v26
	v_cmp_ne_u16_e32 vcc, 0, v28
	v_mov_b32_e32 v30, 0
	v_mov_b32_e32 v44, 0
	s_and_saveexec_b64 s[4:5], vcc
	s_cbranch_execz .LBB651_197
; %bb.192:                              ;   in Loop: Header=BB651_17 Depth=1
	v_cmp_ne_u16_e32 vcc, s13, v28
	v_bfrev_b32_e32 v44, 1
	s_and_saveexec_b64 s[6:7], vcc
	s_cbranch_execz .LBB651_196
; %bb.193:                              ;   in Loop: Header=BB651_17 Depth=1
	v_and_b32_e32 v52, 0x7f, v28
	v_cmp_ne_u32_e32 vcc, s14, v52
	v_mov_b32_e32 v44, 0x7f800001
	s_and_saveexec_b64 s[10:11], vcc
	s_cbranch_execz .LBB651_195
; %bb.194:                              ;   in Loop: Header=BB651_17 Depth=1
	v_and_b32_e32 v44, 7, v28
	v_ffbh_u32_e32 v54, v44
	v_min_u32_e32 v56, 32, v54
	v_subrev_u32_e32 v54, 28, v56
	v_lshlrev_b64 v[54:55], v54, v[28:29]
	v_lshrrev_b32_e32 v53, 3, v52
	v_sub_u32_e32 v28, 29, v56
	v_and_b32_e32 v54, 7, v54
	v_cmp_gt_u32_e32 vcc, 8, v52
	v_cndmask_b32_e32 v28, v53, v28, vcc
	v_cndmask_b32_e32 v44, v44, v54, vcc
	v_lshlrev_b32_e32 v52, 16, v26
	v_lshlrev_b32_e32 v44, 20, v44
	v_and_b32_e32 v52, 0x80000000, v52
	v_lshl_add_u32 v28, v28, 23, v38
	v_or3_b32 v44, v52, v28, v44
.LBB651_195:                            ;   in Loop: Header=BB651_17 Depth=1
	s_or_b64 exec, exec, s[10:11]
.LBB651_196:                            ;   in Loop: Header=BB651_17 Depth=1
	s_or_b64 exec, exec, s[6:7]
.LBB651_197:                            ;   in Loop: Header=BB651_17 Depth=1
	s_or_b64 exec, exec, s[4:5]
	v_lshrrev_b32_e32 v28, 16, v26
	v_cmp_ne_u16_sdwa s[6:7], v28, v35 src0_sel:BYTE_0 src1_sel:DWORD
	s_and_saveexec_b64 s[4:5], s[6:7]
	s_cbranch_execz .LBB651_203
; %bb.198:                              ;   in Loop: Header=BB651_17 Depth=1
	v_cmp_ne_u16_sdwa s[10:11], v28, s13 src0_sel:BYTE_0 src1_sel:DWORD
	v_bfrev_b32_e32 v30, 1
	s_and_saveexec_b64 s[6:7], s[10:11]
	s_cbranch_execz .LBB651_202
; %bb.199:                              ;   in Loop: Header=BB651_17 Depth=1
	v_bfe_u32 v52, v26, 16, 7
	v_cmp_ne_u32_e32 vcc, s14, v52
	v_mov_b32_e32 v30, 0x7f800001
	s_and_saveexec_b64 s[10:11], vcc
	s_cbranch_execz .LBB651_201
; %bb.200:                              ;   in Loop: Header=BB651_17 Depth=1
	v_and_b32_e32 v30, 7, v28
	v_ffbh_u32_e32 v54, v30
	v_min_u32_e32 v56, 32, v54
	v_subrev_u32_e32 v54, 28, v56
	v_lshlrev_b64 v[54:55], v54, v[28:29]
	v_lshrrev_b32_e32 v53, 3, v52
	v_sub_u32_e32 v55, 29, v56
	v_and_b32_e32 v54, 7, v54
	v_cmp_gt_u32_e32 vcc, 8, v52
	v_cndmask_b32_e32 v52, v53, v55, vcc
	v_cndmask_b32_e32 v30, v30, v54, vcc
	v_lshlrev_b32_e32 v28, 24, v28
	v_lshlrev_b32_e32 v30, 20, v30
	v_and_b32_e32 v28, 0x80000000, v28
	v_lshl_add_u32 v52, v52, 23, v38
	v_or3_b32 v30, v28, v52, v30
.LBB651_201:                            ;   in Loop: Header=BB651_17 Depth=1
	s_or_b64 exec, exec, s[10:11]
.LBB651_202:                            ;   in Loop: Header=BB651_17 Depth=1
	s_or_b64 exec, exec, s[6:7]
.LBB651_203:                            ;   in Loop: Header=BB651_17 Depth=1
	s_or_b64 exec, exec, s[4:5]
	v_cmp_lt_u32_e32 vcc, s15, v26
	v_mov_b32_e32 v52, 0
	s_and_saveexec_b64 s[4:5], vcc
	s_cbranch_execz .LBB651_16
; %bb.204:                              ;   in Loop: Header=BB651_17 Depth=1
	v_lshrrev_b32_e32 v28, 24, v26
	v_cmp_ne_u32_e32 vcc, s13, v28
	v_bfrev_b32_e32 v52, 1
	s_and_saveexec_b64 s[6:7], vcc
	s_cbranch_execz .LBB651_15
; %bb.205:                              ;   in Loop: Header=BB651_17 Depth=1
	v_bfe_u32 v26, v26, 24, 7
	v_cmp_ne_u32_e32 vcc, s14, v26
	v_mov_b32_e32 v52, 0x7f800001
	s_and_saveexec_b64 s[10:11], vcc
	s_cbranch_execz .LBB651_14
; %bb.206:                              ;   in Loop: Header=BB651_17 Depth=1
	v_and_b32_e32 v54, 7, v28
	v_ffbh_u32_e32 v52, v54
	v_min_u32_e32 v56, 32, v52
	v_subrev_u32_e32 v52, 28, v56
	v_lshlrev_b64 v[52:53], v52, v[28:29]
	v_lshrrev_b32_e32 v55, 3, v26
	v_sub_u32_e32 v53, 29, v56
	v_and_b32_e32 v52, 7, v52
	v_cmp_gt_u32_e32 vcc, 8, v26
	v_cndmask_b32_e32 v26, v55, v53, vcc
	v_cndmask_b32_e32 v52, v54, v52, vcc
	v_lshlrev_b32_e32 v28, 24, v28
	v_lshlrev_b32_e32 v52, 20, v52
	v_and_b32_e32 v28, 0x80000000, v28
	v_lshl_add_u32 v26, v26, 23, v38
	v_or3_b32 v52, v28, v26, v52
	s_branch .LBB651_14
.LBB651_207:
	buffer_load_dword v17, off, s[0:3], 0 offset:256
	buffer_load_dword v16, off, s[0:3], 0 offset:260
	;; [unrolled: 1-line block ×16, first 2 shown]
	v_and_b32_e32 v18, 0xc0, v0
	v_add_u32_e32 v18, s20, v18
	v_lshl_or_b32 v18, v1, 2, v18
	v_or_b32_e32 v20, 1, v18
	v_subrev_u32_e32 v24, s33, v20
	v_add_u32_e32 v26, 1, v24
	v_cvt_f32_i32_e32 v25, v24
	v_add_u32_e32 v28, 2, v24
	v_add_u32_e32 v30, 3, v24
	v_add_u32_e32 v32, 16, v24
	v_add_u32_e32 v34, 17, v24
	v_add_u32_e32 v35, 18, v24
	v_add_u32_e32 v36, 19, v24
	v_add_u32_e32 v37, 32, v24
	v_add_u32_e32 v38, 33, v24
	v_add_u32_e32 v40, 34, v24
	v_add_u32_e32 v42, 35, v24
	v_add_u32_e32 v44, 48, v24
	v_add_u32_e32 v52, 49, v24
	v_add_u32_e32 v53, 50, v24
	v_add_u32_e32 v24, 51, v24
	v_cvt_f32_i32_e32 v26, v26
	v_cvt_f32_i32_e32 v28, v28
	;; [unrolled: 1-line block ×4, first 2 shown]
	v_mov_b32_e32 v19, 0xff7fffff
	v_or_b32_e32 v21, 2, v18
	v_or_b32_e32 v22, 3, v18
	v_cvt_f32_i32_e32 v32, v32
	v_cvt_f32_i32_e32 v34, v34
	v_cmp_gt_i32_e64 s[28:29], s33, v18
	v_cmp_gt_i32_e64 s[30:31], s33, v20
	s_mov_b32 s52, 0xff7fffff
	v_cmp_gt_i32_e64 s[34:35], s33, v21
	v_cmp_gt_i32_e64 s[36:37], s33, v22
	v_or_b32_e32 v23, 16, v18
	v_cvt_f32_i32_e32 v35, v35
	v_cvt_f32_i32_e32 v36, v36
	v_cmp_gt_i32_e64 s[24:25], s33, v23
	v_cvt_f32_i32_e32 v37, v37
	v_cvt_f32_i32_e32 v38, v38
	;; [unrolled: 1-line block ×7, first 2 shown]
	s_waitcnt vmcnt(15)
	v_fmac_f32_e32 v17, v31, v25
	s_waitcnt vmcnt(14)
	v_fmac_f32_e32 v16, v31, v26
	;; [unrolled: 2-line block ×4, first 2 shown]
	v_cndmask_b32_e64 v20, v19, v16, s[30:31]
	v_cndmask_b32_e64 v21, v19, v15, s[34:35]
	v_cndmask_b32_e64 v22, v19, v14, s[36:37]
	s_waitcnt vmcnt(11)
	v_fmac_f32_e32 v13, v31, v32
	s_waitcnt vmcnt(10)
	v_fmac_f32_e32 v12, v31, v34
	;; [unrolled: 2-line block ×9, first 2 shown]
	v_cndmask_b32_e64 v24, v19, v17, s[28:29]
	v_max3_f32 v20, v24, s52, v20
	v_max3_f32 v20, v20, v21, v22
	v_or_b32_e32 v22, 17, v18
	v_cmp_gt_i32_e64 s[38:39], s33, v22
	v_cndmask_b32_e64 v21, v19, v13, s[24:25]
	v_cndmask_b32_e64 v22, v19, v12, s[38:39]
	v_max3_f32 v20, v20, v21, v22
	v_or_b32_e32 v21, 18, v18
	v_or_b32_e32 v22, 19, v18
	v_cmp_gt_i32_e64 s[20:21], s33, v21
	v_cmp_gt_i32_e64 s[22:23], s33, v22
	v_cndmask_b32_e64 v21, v19, v11, s[20:21]
	v_cndmask_b32_e64 v22, v19, v10, s[22:23]
	v_max3_f32 v20, v20, v21, v22
	v_or_b32_e32 v21, 32, v18
	v_or_b32_e32 v22, 33, v18
	v_cmp_gt_i32_e64 s[16:17], s33, v21
	;; [unrolled: 7-line block ×3, first 2 shown]
	v_cmp_gt_i32_e64 s[14:15], s33, v22
	v_cndmask_b32_e64 v21, v19, v7, s[12:13]
	v_cndmask_b32_e64 v22, v19, v6, s[14:15]
	v_max3_f32 v20, v20, v21, v22
	v_or_b32_e32 v21, 48, v18
	v_or_b32_e32 v22, 49, v18
	v_fmac_f32_e32 v5, v31, v44
	v_fmac_f32_e32 v4, v31, v52
	v_cmp_gt_i32_e64 s[6:7], s33, v21
	v_cmp_gt_i32_e64 s[10:11], s33, v22
	v_cndmask_b32_e64 v21, v19, v5, s[6:7]
	v_cndmask_b32_e64 v22, v19, v4, s[10:11]
	v_max3_f32 v20, v20, v21, v22
	v_or_b32_e32 v21, 50, v18
	v_or_b32_e32 v18, 51, v18
	v_fmac_f32_e32 v3, v31, v53
	v_cmp_gt_i32_e32 vcc, s33, v21
	v_cmp_gt_i32_e64 s[4:5], s33, v18
	v_cndmask_b32_e32 v21, v19, v3, vcc
	v_cndmask_b32_e64 v18, v19, v2, s[4:5]
	v_mbcnt_lo_u32_b32 v19, -1, 0
	v_mbcnt_hi_u32_b32 v19, -1, v19
	v_max3_f32 v18, v20, v21, v18
	v_and_b32_e32 v20, 64, v19
	v_add_u32_e32 v20, 64, v20
	v_xor_b32_e32 v21, 32, v19
	v_cmp_lt_i32_e64 s[40:41], v21, v20
	v_cndmask_b32_e64 v21, v19, v21, s[40:41]
	v_lshlrev_b32_e32 v21, 2, v21
	ds_bpermute_b32 v22, v21, v18
	s_waitcnt lgkmcnt(0)
	v_max_f32_e32 v22, v22, v22
	v_max_f32_e32 v18, v18, v22
	v_xor_b32_e32 v22, 16, v19
	v_cmp_lt_i32_e64 s[40:41], v22, v20
	v_cndmask_b32_e64 v19, v19, v22, s[40:41]
	v_lshlrev_b32_e32 v19, 2, v19
	ds_bpermute_b32 v20, v19, v18
	s_waitcnt lgkmcnt(0)
	v_max_f32_e32 v20, v20, v20
	v_max_f32_e32 v18, v18, v20
	v_sub_f32_e32 v17, v17, v18
	v_mul_f32_e32 v17, 0x3fb8aa3b, v17
	v_sub_f32_e32 v16, v16, v18
	v_exp_f32_e32 v17, v17
	v_mul_f32_e32 v16, 0x3fb8aa3b, v16
	v_sub_f32_e32 v15, v15, v18
	v_exp_f32_e32 v16, v16
	;; [unrolled: 3-line block ×4, first 2 shown]
	v_mul_f32_e32 v13, 0x3fb8aa3b, v13
	v_sub_f32_e32 v12, v12, v18
	v_cndmask_b32_e64 v17, 0, v17, s[28:29]
	v_exp_f32_e32 v13, v13
	v_mul_f32_e32 v12, 0x3fb8aa3b, v12
	v_sub_f32_e32 v11, v11, v18
	v_add_f32_e32 v20, 0, v17
	v_cndmask_b32_e64 v16, 0, v16, s[30:31]
	v_exp_f32_e32 v12, v12
	v_mul_f32_e32 v11, 0x3fb8aa3b, v11
	v_sub_f32_e32 v10, v10, v18
	v_add_f32_e32 v20, v20, v16
	;; [unrolled: 5-line block ×4, first 2 shown]
	v_cndmask_b32_e64 v13, 0, v13, s[24:25]
	v_exp_f32_e32 v9, v9
	v_mul_f32_e32 v8, 0x3fb8aa3b, v8
	v_sub_f32_e32 v7, v7, v18
	buffer_store_dword v17, off, s[0:3], 0 offset:256
	buffer_store_dword v16, off, s[0:3], 0 offset:260
	buffer_store_dword v15, off, s[0:3], 0 offset:264
	buffer_store_dword v14, off, s[0:3], 0 offset:268
	v_add_f32_e32 v14, v20, v13
	v_cndmask_b32_e64 v12, 0, v12, s[38:39]
	v_exp_f32_e32 v8, v8
	v_mul_f32_e32 v7, 0x3fb8aa3b, v7
	v_sub_f32_e32 v6, v6, v18
	v_add_f32_e32 v14, v14, v12
	v_cndmask_b32_e64 v11, 0, v11, s[20:21]
	v_exp_f32_e32 v7, v7
	v_mul_f32_e32 v6, 0x3fb8aa3b, v6
	v_sub_f32_e32 v5, v5, v18
	;; [unrolled: 5-line block ×4, first 2 shown]
	buffer_store_dword v13, off, s[0:3], 0 offset:272
	buffer_store_dword v12, off, s[0:3], 0 offset:276
	;; [unrolled: 1-line block ×4, first 2 shown]
	v_add_f32_e32 v10, v14, v9
	v_cndmask_b32_e64 v8, 0, v8, s[18:19]
	v_exp_f32_e32 v4, v4
	v_mul_f32_e32 v3, 0x3fb8aa3b, v3
	v_sub_f32_e32 v2, v2, v18
	v_add_f32_e32 v10, v10, v8
	v_cndmask_b32_e64 v7, 0, v7, s[12:13]
	v_exp_f32_e32 v3, v3
	v_mul_f32_e32 v2, 0x3fb8aa3b, v2
	v_add_f32_e32 v10, v10, v7
	v_cndmask_b32_e64 v6, 0, v6, s[14:15]
	v_exp_f32_e32 v2, v2
	v_add_f32_e32 v10, v10, v6
	v_cndmask_b32_e64 v5, 0, v5, s[6:7]
	buffer_store_dword v9, off, s[0:3], 0 offset:288
	buffer_store_dword v8, off, s[0:3], 0 offset:292
	;; [unrolled: 1-line block ×4, first 2 shown]
	v_add_f32_e32 v6, v10, v5
	v_cndmask_b32_e64 v4, 0, v4, s[10:11]
	v_add_f32_e32 v6, v6, v4
	v_cndmask_b32_e32 v3, 0, v3, vcc
	v_add_f32_e32 v6, v6, v3
	v_cndmask_b32_e64 v2, 0, v2, s[4:5]
	v_add_f32_e32 v6, v6, v2
	ds_bpermute_b32 v7, v21, v6
	buffer_store_dword v5, off, s[0:3], 0 offset:304
	buffer_store_dword v4, off, s[0:3], 0 offset:308
	;; [unrolled: 1-line block ×4, first 2 shown]
	v_cmp_gt_u32_e32 vcc, 16, v33
	s_waitcnt lgkmcnt(0)
	s_barrier
	v_add_f32_e32 v2, v6, v7
	ds_bpermute_b32 v3, v19, v2
	s_waitcnt lgkmcnt(0)
	s_and_saveexec_b64 s[4:5], vcc
	s_cbranch_execz .LBB651_209
; %bb.208:
	v_add_f32_e32 v2, v2, v3
	v_lshlrev_b32_e32 v3, 2, v29
	ds_write2st64_b32 v3, v18, v2 offset1:1
.LBB651_209:
	s_or_b64 exec, exec, s[4:5]
	v_lshlrev_b32_e32 v2, 2, v41
	s_waitcnt lgkmcnt(0)
	s_barrier
	ds_read2_b32 v[12:13], v2 offset1:16
	ds_read2_b32 v[14:15], v2 offset0:32 offset1:48
	ds_read2_b32 v[6:7], v2 offset0:64 offset1:80
	;; [unrolled: 1-line block ×3, first 2 shown]
	s_waitcnt lgkmcnt(0)
	s_barrier
	buffer_load_dword v20, off, s[0:3], 0 offset:256
	buffer_load_dword v21, off, s[0:3], 0 offset:260
	;; [unrolled: 1-line block ×16, first 2 shown]
	v_lshlrev_b32_e32 v19, 3, v1
	v_lshlrev_b32_e32 v18, 5, v41
	;; [unrolled: 1-line block ×3, first 2 shown]
	v_or3_b32 v52, v26, v18, v19
	v_max3_f32 v19, v12, s52, v13
	v_max3_f32 v19, v19, v14, v15
	v_sub_f32_e32 v12, v12, v19
	v_sub_f32_e32 v13, v13, v19
	v_mul_f32_e32 v12, 0x3fb8aa3b, v12
	v_sub_f32_e32 v14, v14, v19
	v_mul_f32_e32 v13, 0x3fb8aa3b, v13
	v_exp_f32_e32 v12, v12
	v_sub_f32_e32 v15, v15, v19
	v_mul_f32_e32 v14, 0x3fb8aa3b, v14
	v_exp_f32_e32 v13, v13
	v_mul_f32_e32 v15, 0x3fb8aa3b, v15
	v_exp_f32_e32 v14, v14
	v_exp_f32_e32 v15, v15
	v_fma_f32 v6, v12, v6, 0
	v_fmac_f32_e32 v6, v13, v7
	v_fmac_f32_e32 v6, v14, v10
	;; [unrolled: 1-line block ×3, first 2 shown]
	v_cmp_eq_u32_e32 vcc, 1, v27
	v_add_f32_e32 v10, 0x358637bd, v6
	v_cndmask_b32_e32 v12, v12, v13, vcc
	v_cmp_eq_u32_e32 vcc, 2, v27
	v_div_scale_f32 v11, s[4:5], v10, v10, 1.0
	v_cndmask_b32_e32 v7, v12, v14, vcc
	v_rcp_f32_e32 v12, v11
	v_cmp_eq_u32_e32 vcc, 3, v27
	v_cndmask_b32_e32 v7, v7, v15, vcc
	v_div_scale_f32 v13, vcc, 1.0, v10, 1.0
	v_fma_f32 v14, -v11, v12, 1.0
	v_fmac_f32_e32 v12, v14, v12
	v_mul_f32_e32 v14, v13, v12
	v_fma_f32 v15, -v11, v14, v13
	v_fmac_f32_e32 v14, v15, v12
	v_fma_f32 v11, -v11, v14, v13
	v_div_fmas_f32 v11, v11, v12, v14
	v_div_fixup_f32 v10, v11, v10, 1.0
	v_mul_f32_e32 v10, v7, v10
	s_mul_i32 s18, s49, 14
	v_cmp_gt_u32_e32 vcc, 14, v0
	s_waitcnt vmcnt(14)
	v_pk_mul_f32 v[14:15], v[10:11], v[20:21] op_sel_hi:[0,1]
	v_cvt_f16_f32_e32 v7, v14
	s_waitcnt vmcnt(12)
	v_pk_mul_f32 v[12:13], v[10:11], v[22:23] op_sel_hi:[0,1]
	buffer_store_dword v14, off, s[0:3], 0 offset:256
	buffer_store_dword v15, off, s[0:3], 0 offset:260
	;; [unrolled: 1-line block ×3, first 2 shown]
	s_waitcnt vmcnt(13)
	v_pk_mul_f32 v[20:21], v[10:11], v[24:25] op_sel_hi:[0,1]
	v_cvt_f16_f32_e32 v14, v12
	s_waitcnt vmcnt(11)
	v_pk_mul_f32 v[22:23], v[10:11], v[28:29] op_sel_hi:[0,1]
	v_cvt_f16_f32_e32 v11, v15
	v_cvt_f16_f32_e32 v15, v13
	buffer_store_dword v13, off, s[0:3], 0 offset:268
	buffer_store_dword v22, off, s[0:3], 0 offset:272
	;; [unrolled: 1-line block ×3, first 2 shown]
	v_pack_b32_f16 v12, v7, v11
	v_cvt_f16_f32_e32 v11, v23
	v_pack_b32_f16 v13, v14, v15
	v_cvt_f16_f32_e32 v7, v22
	v_cvt_f16_f32_e32 v15, v20
	;; [unrolled: 1-line block ×3, first 2 shown]
	s_waitcnt vmcnt(12)
	v_pk_mul_f32 v[4:5], v[10:11], v[4:5] op_sel_hi:[0,1]
	v_pack_b32_f16 v14, v7, v11
	s_waitcnt vmcnt(10)
	v_pk_mul_f32 v[2:3], v[10:11], v[2:3] op_sel_hi:[0,1]
	v_pack_b32_f16 v15, v15, v22
	v_cvt_f16_f32_e32 v11, v5
	buffer_store_dword v20, off, s[0:3], 0 offset:280
	buffer_store_dword v21, off, s[0:3], 0 offset:284
	ds_write2st64_b64 v52, v[12:13], v[14:15] offset1:1
	buffer_store_dword v2, off, s[0:3], 0 offset:288
	buffer_store_dword v3, off, s[0:3], 0 offset:292
	v_cvt_f16_f32_e32 v2, v2
	v_cvt_f16_f32_e32 v3, v3
	v_cvt_f16_f32_e32 v7, v4
	buffer_store_dword v4, off, s[0:3], 0 offset:296
	buffer_store_dword v5, off, s[0:3], 0 offset:300
	s_waitcnt vmcnt(12)
	v_pk_mul_f32 v[4:5], v[10:11], v[16:17] op_sel_hi:[0,1]
	v_pk_mul_f32 v[8:9], v[10:11], v[8:9] op_sel_hi:[0,1]
	v_pack_b32_f16 v2, v2, v3
	v_pack_b32_f16 v3, v7, v11
	buffer_store_dword v8, off, s[0:3], 0 offset:304
	buffer_store_dword v9, off, s[0:3], 0 offset:308
	v_cvt_f16_f32_e32 v7, v8
	v_cvt_f16_f32_e32 v8, v9
	;; [unrolled: 1-line block ×4, first 2 shown]
	buffer_store_dword v4, off, s[0:3], 0 offset:312
	buffer_store_dword v5, off, s[0:3], 0 offset:316
	v_pack_b32_f16 v4, v7, v8
	v_pack_b32_f16 v5, v9, v10
	ds_write2st64_b64 v52, v[2:3], v[4:5] offset0:2 offset1:3
	s_and_saveexec_b64 s[4:5], vcc
	s_cbranch_execz .LBB651_211
; %bb.210:
	v_add_co_u32_e32 v4, vcc, s27, v41
	v_addc_co_u32_e64 v5, s[6:7], 0, 0, vcc
	v_mov_b32_e32 v2, s18
	v_mad_u64_u32 v[4:5], s[6:7], s8, v2, v[4:5]
	v_mov_b32_e32 v3, 0
	s_mul_i32 s6, s9, s18
	v_mov_b32_e32 v2, s26
	v_add_u32_e32 v5, s6, v5
	v_mad_u64_u32 v[2:3], s[6:7], v4, s48, v[2:3]
	v_mov_b32_e32 v4, v3
	v_mad_u64_u32 v[4:5], s[6:7], v5, s48, v[4:5]
	v_mov_b32_e32 v3, v4
	v_lshlrev_b64 v[2:3], 2, v[2:3]
	v_mov_b32_e32 v5, s47
	v_add_co_u32_e32 v4, vcc, s46, v2
	v_addc_co_u32_e32 v5, vcc, v5, v3, vcc
	global_store_dword v[4:5], v19, off
	v_mov_b32_e32 v4, s45
	v_add_co_u32_e32 v2, vcc, s44, v2
	v_addc_co_u32_e32 v3, vcc, v4, v3, vcc
	global_store_dword v[2:3], v6, off
.LBB651_211:
	s_or_b64 exec, exec, s[4:5]
	v_lshl_or_b32 v30, v1, 9, v18
	s_waitcnt lgkmcnt(0)
	s_barrier
	s_load_dword s4, s[42:43], 0x0
	ds_read_b128 v[2:5], v30
	ds_read_b128 v[6:9], v30 offset:16
	ds_read_b128 v[10:13], v30 offset:2048
	;; [unrolled: 1-line block ×7, first 2 shown]
	v_mov_b32_e32 v35, 0x80
	v_mov_b32_e32 v53, 0x140
	s_mov_b64 s[10:11], -1
	s_waitcnt lgkmcnt(0)
	s_mov_b32 s5, s4
	s_mov_b32 s6, s4
	;; [unrolled: 1-line block ×3, first 2 shown]
	s_movk_i32 s9, 0x80
	s_movk_i32 s19, 0x7f
	s_mov_b32 s20, 0xffffff
	v_mov_b32_e32 v54, 0
	v_bfrev_b32_e32 v55, 60
	s_branch .LBB651_215
.LBB651_212:                            ;   in Loop: Header=BB651_215 Depth=1
	s_or_b64 exec, exec, s[16:17]
.LBB651_213:                            ;   in Loop: Header=BB651_215 Depth=1
	s_or_b64 exec, exec, s[14:15]
.LBB651_214:                            ;   in Loop: Header=BB651_215 Depth=1
	s_or_b64 exec, exec, s[12:13]
	v_cvt_pkrtz_f16_f32 v60, v46, v50
	v_cvt_pkrtz_f16_f32 v61, v44, v56
	s_xor_b64 s[12:13], s[10:11], -1
	s_mov_b64 s[10:11], 0
	v_mov_b32_e32 v46, v47
	v_mfma_f32_16x16x16f16 v[60:63], v[60:61], v[30:31], v[34:37]
	v_mov_b32_e32 v50, v49
	s_and_b64 vcc, exec, s[12:13]
	s_nop 4
	v_cvt_pkrtz_f16_f32 v36, v51, v57
	v_cvt_pkrtz_f16_f32 v37, v42, v58
	v_mov_b32_e32 v35, v45
	v_mov_b32_e32 v51, v48
	v_mfma_f32_16x16x16f16 v[56:59], v[36:37], v[32:33], v[60:63]
	s_nop 7
	s_nop 2
	v_pk_mul_f32 v[56:57], v[56:57], s[4:5]
	v_pk_mul_f32 v[36:37], v[58:59], s[6:7]
	v_cvt_f16_f32_e32 v34, v56
	v_cvt_f16_f32_e32 v38, v57
	;; [unrolled: 1-line block ×4, first 2 shown]
	v_pack_b32_f16 v34, v34, v38
	v_pack_b32_f16 v36, v36, v37
	buffer_store_dword v34, v53, s[0:3], 0 offen
	buffer_store_dword v36, v53, s[0:3], 0 offen offset:4
	v_mov_b32_e32 v53, 0x148
	s_cbranch_vccnz .LBB651_597
.LBB651_215:                            ; =>This Inner Loop Header: Depth=1
	buffer_load_dword v36, v35, s[0:3], 0 offen
	buffer_load_dword v34, v35, s[0:3], 0 offen offset:4
	buffer_load_dword v40, v35, s[0:3], 0 offen offset:8
	;; [unrolled: 1-line block ×3, first 2 shown]
	v_mov_b32_e32 v35, 0
	s_waitcnt vmcnt(3)
	v_cmp_ne_u16_sdwa s[14:15], v36, v54 src0_sel:BYTE_0 src1_sel:DWORD
	s_and_saveexec_b64 s[12:13], s[14:15]
	s_cbranch_execz .LBB651_221
; %bb.216:                              ;   in Loop: Header=BB651_215 Depth=1
	v_cmp_ne_u16_sdwa s[16:17], v36, s9 src0_sel:BYTE_0 src1_sel:DWORD
	v_bfrev_b32_e32 v35, 1
	s_and_saveexec_b64 s[14:15], s[16:17]
	s_cbranch_execz .LBB651_220
; %bb.217:                              ;   in Loop: Header=BB651_215 Depth=1
	v_and_b32_e32 v37, 0x7f, v36
	v_cmp_ne_u32_e32 vcc, s19, v37
	v_mov_b32_e32 v35, 0x7f800001
	s_and_saveexec_b64 s[16:17], vcc
	s_cbranch_execz .LBB651_219
; %bb.218:                              ;   in Loop: Header=BB651_215 Depth=1
	v_and_b32_e32 v35, 7, v36
	v_ffbh_u32_e32 v44, v35
	v_min_u32_e32 v44, 32, v44
	v_subrev_u32_e32 v56, 28, v44
	v_lshlrev_b64 v[56:57], v56, v[36:37]
	v_lshrrev_b32_e32 v42, 3, v37
	v_sub_u32_e32 v44, 29, v44
	v_and_b32_e32 v56, 7, v56
	v_cmp_gt_u32_e32 vcc, 8, v37
	v_cndmask_b32_e32 v37, v42, v44, vcc
	v_cndmask_b32_e32 v35, v35, v56, vcc
	v_lshlrev_b32_e32 v42, 24, v36
	v_lshlrev_b32_e32 v35, 20, v35
	v_and_b32_e32 v42, 0x80000000, v42
	v_lshl_add_u32 v37, v37, 23, v55
	v_or3_b32 v35, v42, v37, v35
.LBB651_219:                            ;   in Loop: Header=BB651_215 Depth=1
	s_or_b64 exec, exec, s[16:17]
.LBB651_220:                            ;   in Loop: Header=BB651_215 Depth=1
	s_or_b64 exec, exec, s[14:15]
.LBB651_221:                            ;   in Loop: Header=BB651_215 Depth=1
	s_or_b64 exec, exec, s[12:13]
	v_lshrrev_b16_e32 v42, 8, v36
	v_cmp_ne_u16_e32 vcc, 0, v42
	v_mov_b32_e32 v37, 0
	s_and_saveexec_b64 s[12:13], vcc
	s_cbranch_execz .LBB651_227
; %bb.222:                              ;   in Loop: Header=BB651_215 Depth=1
	v_cmp_ne_u16_e32 vcc, s9, v42
	v_bfrev_b32_e32 v37, 1
	s_and_saveexec_b64 s[14:15], vcc
	s_cbranch_execz .LBB651_226
; %bb.223:                              ;   in Loop: Header=BB651_215 Depth=1
	v_and_b32_e32 v44, 0x7f, v42
	v_cmp_ne_u32_e32 vcc, s19, v44
	v_mov_b32_e32 v37, 0x7f800001
	s_and_saveexec_b64 s[16:17], vcc
	s_cbranch_execz .LBB651_225
; %bb.224:                              ;   in Loop: Header=BB651_215 Depth=1
	v_and_b32_e32 v37, 7, v42
	v_ffbh_u32_e32 v56, v37
	v_min_u32_e32 v59, 32, v56
	v_subrev_u32_e32 v56, 28, v59
	v_lshlrev_b64 v[56:57], v56, v[42:43]
	v_lshrrev_b32_e32 v58, 3, v44
	v_sub_u32_e32 v42, 29, v59
	v_and_b32_e32 v56, 7, v56
	v_cmp_gt_u32_e32 vcc, 8, v44
	v_cndmask_b32_e32 v42, v58, v42, vcc
	v_cndmask_b32_e32 v37, v37, v56, vcc
	v_lshlrev_b32_e32 v44, 16, v36
	v_lshlrev_b32_e32 v37, 20, v37
	v_and_b32_e32 v44, 0x80000000, v44
	v_lshl_add_u32 v42, v42, 23, v55
	v_or3_b32 v37, v44, v42, v37
.LBB651_225:                            ;   in Loop: Header=BB651_215 Depth=1
	s_or_b64 exec, exec, s[16:17]
.LBB651_226:                            ;   in Loop: Header=BB651_215 Depth=1
	s_or_b64 exec, exec, s[14:15]
.LBB651_227:                            ;   in Loop: Header=BB651_215 Depth=1
	s_or_b64 exec, exec, s[12:13]
	v_lshrrev_b32_e32 v42, 16, v36
	v_cmp_ne_u16_sdwa s[14:15], v42, v54 src0_sel:BYTE_0 src1_sel:DWORD
	v_mov_b32_e32 v56, 0
	v_mov_b32_e32 v44, 0
	s_and_saveexec_b64 s[12:13], s[14:15]
	s_cbranch_execz .LBB651_233
; %bb.228:                              ;   in Loop: Header=BB651_215 Depth=1
	v_cmp_ne_u16_sdwa s[16:17], v42, s9 src0_sel:BYTE_0 src1_sel:DWORD
	v_bfrev_b32_e32 v44, 1
	s_and_saveexec_b64 s[14:15], s[16:17]
	s_cbranch_execz .LBB651_232
; %bb.229:                              ;   in Loop: Header=BB651_215 Depth=1
	v_bfe_u32 v57, v36, 16, 7
	v_cmp_ne_u32_e32 vcc, s19, v57
	v_mov_b32_e32 v44, 0x7f800001
	s_and_saveexec_b64 s[16:17], vcc
	s_cbranch_execz .LBB651_231
; %bb.230:                              ;   in Loop: Header=BB651_215 Depth=1
	v_and_b32_e32 v44, 7, v42
	v_ffbh_u32_e32 v58, v44
	v_min_u32_e32 v61, 32, v58
	v_subrev_u32_e32 v58, 28, v61
	v_lshlrev_b64 v[58:59], v58, v[42:43]
	v_lshrrev_b32_e32 v60, 3, v57
	v_sub_u32_e32 v59, 29, v61
	v_and_b32_e32 v58, 7, v58
	v_cmp_gt_u32_e32 vcc, 8, v57
	v_cndmask_b32_e32 v57, v60, v59, vcc
	v_cndmask_b32_e32 v44, v44, v58, vcc
	v_lshlrev_b32_e32 v42, 24, v42
	v_lshlrev_b32_e32 v44, 20, v44
	v_and_b32_e32 v42, 0x80000000, v42
	v_lshl_add_u32 v57, v57, 23, v55
	v_or3_b32 v44, v42, v57, v44
.LBB651_231:                            ;   in Loop: Header=BB651_215 Depth=1
	s_or_b64 exec, exec, s[16:17]
.LBB651_232:                            ;   in Loop: Header=BB651_215 Depth=1
	s_or_b64 exec, exec, s[14:15]
.LBB651_233:                            ;   in Loop: Header=BB651_215 Depth=1
	s_or_b64 exec, exec, s[12:13]
	v_cmp_lt_u32_e32 vcc, s20, v36
	s_and_saveexec_b64 s[12:13], vcc
	s_cbranch_execz .LBB651_239
; %bb.234:                              ;   in Loop: Header=BB651_215 Depth=1
	v_lshrrev_b32_e32 v42, 24, v36
	v_cmp_ne_u32_e32 vcc, s9, v42
	v_bfrev_b32_e32 v56, 1
	s_and_saveexec_b64 s[14:15], vcc
	s_cbranch_execz .LBB651_238
; %bb.235:                              ;   in Loop: Header=BB651_215 Depth=1
	v_bfe_u32 v36, v36, 24, 7
	v_cmp_ne_u32_e32 vcc, s19, v36
	v_mov_b32_e32 v56, 0x7f800001
	s_and_saveexec_b64 s[16:17], vcc
	s_cbranch_execz .LBB651_237
; %bb.236:                              ;   in Loop: Header=BB651_215 Depth=1
	v_and_b32_e32 v58, 7, v42
	v_ffbh_u32_e32 v56, v58
	v_min_u32_e32 v60, 32, v56
	v_subrev_u32_e32 v56, 28, v60
	v_lshlrev_b64 v[56:57], v56, v[42:43]
	v_lshrrev_b32_e32 v59, 3, v36
	v_sub_u32_e32 v57, 29, v60
	v_and_b32_e32 v56, 7, v56
	v_cmp_gt_u32_e32 vcc, 8, v36
	v_cndmask_b32_e32 v36, v59, v57, vcc
	v_cndmask_b32_e32 v56, v58, v56, vcc
	v_lshlrev_b32_e32 v42, 24, v42
	v_lshlrev_b32_e32 v56, 20, v56
	v_and_b32_e32 v42, 0x80000000, v42
	v_lshl_add_u32 v36, v36, 23, v55
	v_or3_b32 v56, v42, v36, v56
.LBB651_237:                            ;   in Loop: Header=BB651_215 Depth=1
	s_or_b64 exec, exec, s[16:17]
.LBB651_238:                            ;   in Loop: Header=BB651_215 Depth=1
	s_or_b64 exec, exec, s[14:15]
.LBB651_239:                            ;   in Loop: Header=BB651_215 Depth=1
	s_or_b64 exec, exec, s[12:13]
	s_waitcnt vmcnt(2)
	v_cmp_ne_u16_sdwa s[14:15], v34, v54 src0_sel:BYTE_0 src1_sel:DWORD
	v_mov_b32_e32 v42, 0
	v_mov_b32_e32 v57, 0
	s_and_saveexec_b64 s[12:13], s[14:15]
	s_cbranch_execz .LBB651_245
; %bb.240:                              ;   in Loop: Header=BB651_215 Depth=1
	v_cmp_ne_u16_sdwa s[16:17], v34, s9 src0_sel:BYTE_0 src1_sel:DWORD
	v_bfrev_b32_e32 v57, 1
	s_and_saveexec_b64 s[14:15], s[16:17]
	s_cbranch_execz .LBB651_244
; %bb.241:                              ;   in Loop: Header=BB651_215 Depth=1
	v_and_b32_e32 v36, 0x7f, v34
	v_cmp_ne_u32_e32 vcc, s19, v36
	v_mov_b32_e32 v57, 0x7f800001
	s_and_saveexec_b64 s[16:17], vcc
	s_cbranch_execz .LBB651_243
; %bb.242:                              ;   in Loop: Header=BB651_215 Depth=1
	v_and_b32_e32 v57, 7, v34
	v_ffbh_u32_e32 v58, v57
	v_min_u32_e32 v61, 32, v58
	v_subrev_u32_e32 v58, 28, v61
	v_lshlrev_b64 v[58:59], v58, v[34:35]
	v_lshrrev_b32_e32 v60, 3, v36
	v_sub_u32_e32 v59, 29, v61
	v_and_b32_e32 v58, 7, v58
	v_cmp_gt_u32_e32 vcc, 8, v36
	v_cndmask_b32_e32 v36, v60, v59, vcc
	v_cndmask_b32_e32 v57, v57, v58, vcc
	v_lshlrev_b32_e32 v58, 24, v34
	v_lshlrev_b32_e32 v57, 20, v57
	v_and_b32_e32 v58, 0x80000000, v58
	v_lshl_add_u32 v36, v36, 23, v55
	v_or3_b32 v57, v58, v36, v57
.LBB651_243:                            ;   in Loop: Header=BB651_215 Depth=1
	s_or_b64 exec, exec, s[16:17]
.LBB651_244:                            ;   in Loop: Header=BB651_215 Depth=1
	s_or_b64 exec, exec, s[14:15]
.LBB651_245:                            ;   in Loop: Header=BB651_215 Depth=1
	s_or_b64 exec, exec, s[12:13]
	v_lshrrev_b16_e32 v36, 8, v34
	v_cmp_ne_u16_e32 vcc, 0, v36
	s_and_saveexec_b64 s[12:13], vcc
	s_cbranch_execz .LBB651_251
; %bb.246:                              ;   in Loop: Header=BB651_215 Depth=1
	v_cmp_ne_u16_e32 vcc, s9, v36
	v_bfrev_b32_e32 v42, 1
	s_and_saveexec_b64 s[14:15], vcc
	s_cbranch_execz .LBB651_250
; %bb.247:                              ;   in Loop: Header=BB651_215 Depth=1
	v_and_b32_e32 v58, 0x7f, v36
	v_cmp_ne_u32_e32 vcc, s19, v58
	v_mov_b32_e32 v42, 0x7f800001
	s_and_saveexec_b64 s[16:17], vcc
	s_cbranch_execz .LBB651_249
; %bb.248:                              ;   in Loop: Header=BB651_215 Depth=1
	v_and_b32_e32 v42, 7, v36
	v_ffbh_u32_e32 v60, v42
	v_min_u32_e32 v62, 32, v60
	v_subrev_u32_e32 v60, 28, v62
	v_lshlrev_b64 v[60:61], v60, v[36:37]
	v_lshrrev_b32_e32 v59, 3, v58
	v_sub_u32_e32 v36, 29, v62
	v_and_b32_e32 v60, 7, v60
	v_cmp_gt_u32_e32 vcc, 8, v58
	v_cndmask_b32_e32 v36, v59, v36, vcc
	v_cndmask_b32_e32 v42, v42, v60, vcc
	v_lshlrev_b32_e32 v58, 16, v34
	v_lshlrev_b32_e32 v42, 20, v42
	v_and_b32_e32 v58, 0x80000000, v58
	v_lshl_add_u32 v36, v36, 23, v55
	v_or3_b32 v42, v58, v36, v42
.LBB651_249:                            ;   in Loop: Header=BB651_215 Depth=1
	s_or_b64 exec, exec, s[16:17]
.LBB651_250:                            ;   in Loop: Header=BB651_215 Depth=1
	s_or_b64 exec, exec, s[14:15]
.LBB651_251:                            ;   in Loop: Header=BB651_215 Depth=1
	s_or_b64 exec, exec, s[12:13]
	v_lshrrev_b32_e32 v36, 16, v34
	v_cmp_ne_u16_sdwa s[14:15], v36, v54 src0_sel:BYTE_0 src1_sel:DWORD
	v_mov_b32_e32 v59, 0
	v_mov_b32_e32 v58, 0
	s_and_saveexec_b64 s[12:13], s[14:15]
	s_cbranch_execz .LBB651_257
; %bb.252:                              ;   in Loop: Header=BB651_215 Depth=1
	v_cmp_ne_u16_sdwa s[16:17], v36, s9 src0_sel:BYTE_0 src1_sel:DWORD
	v_bfrev_b32_e32 v58, 1
	s_and_saveexec_b64 s[14:15], s[16:17]
	s_cbranch_execz .LBB651_256
; %bb.253:                              ;   in Loop: Header=BB651_215 Depth=1
	v_bfe_u32 v60, v34, 16, 7
	v_cmp_ne_u32_e32 vcc, s19, v60
	v_mov_b32_e32 v58, 0x7f800001
	s_and_saveexec_b64 s[16:17], vcc
	s_cbranch_execz .LBB651_255
; %bb.254:                              ;   in Loop: Header=BB651_215 Depth=1
	v_and_b32_e32 v58, 7, v36
	v_ffbh_u32_e32 v62, v58
	v_min_u32_e32 v64, 32, v62
	v_subrev_u32_e32 v62, 28, v64
	v_lshlrev_b64 v[62:63], v62, v[36:37]
	v_lshrrev_b32_e32 v61, 3, v60
	v_sub_u32_e32 v63, 29, v64
	v_and_b32_e32 v62, 7, v62
	v_cmp_gt_u32_e32 vcc, 8, v60
	v_cndmask_b32_e32 v60, v61, v63, vcc
	v_cndmask_b32_e32 v58, v58, v62, vcc
	v_lshlrev_b32_e32 v36, 24, v36
	v_lshlrev_b32_e32 v58, 20, v58
	v_and_b32_e32 v36, 0x80000000, v36
	v_lshl_add_u32 v60, v60, 23, v55
	v_or3_b32 v58, v36, v60, v58
.LBB651_255:                            ;   in Loop: Header=BB651_215 Depth=1
	s_or_b64 exec, exec, s[16:17]
.LBB651_256:                            ;   in Loop: Header=BB651_215 Depth=1
	s_or_b64 exec, exec, s[14:15]
.LBB651_257:                            ;   in Loop: Header=BB651_215 Depth=1
	s_or_b64 exec, exec, s[12:13]
	v_cmp_lt_u32_e32 vcc, s20, v34
	s_and_saveexec_b64 s[12:13], vcc
	s_cbranch_execz .LBB651_263
; %bb.258:                              ;   in Loop: Header=BB651_215 Depth=1
	v_lshrrev_b32_e32 v36, 24, v34
	v_cmp_ne_u32_e32 vcc, s9, v36
	v_bfrev_b32_e32 v59, 1
	s_and_saveexec_b64 s[14:15], vcc
	s_cbranch_execz .LBB651_262
; %bb.259:                              ;   in Loop: Header=BB651_215 Depth=1
	v_bfe_u32 v34, v34, 24, 7
	v_cmp_ne_u32_e32 vcc, s19, v34
	v_mov_b32_e32 v59, 0x7f800001
	s_and_saveexec_b64 s[16:17], vcc
	s_cbranch_execz .LBB651_261
; %bb.260:                              ;   in Loop: Header=BB651_215 Depth=1
	v_and_b32_e32 v59, 7, v36
	v_ffbh_u32_e32 v60, v59
	v_min_u32_e32 v63, 32, v60
	v_subrev_u32_e32 v60, 28, v63
	v_lshlrev_b64 v[60:61], v60, v[36:37]
	v_lshrrev_b32_e32 v62, 3, v34
	v_sub_u32_e32 v61, 29, v63
	v_and_b32_e32 v60, 7, v60
	v_cmp_gt_u32_e32 vcc, 8, v34
	v_cndmask_b32_e32 v34, v62, v61, vcc
	v_cndmask_b32_e32 v59, v59, v60, vcc
	v_lshlrev_b32_e32 v36, 24, v36
	v_lshlrev_b32_e32 v59, 20, v59
	v_and_b32_e32 v36, 0x80000000, v36
	v_lshl_add_u32 v34, v34, 23, v55
	v_or3_b32 v59, v36, v34, v59
.LBB651_261:                            ;   in Loop: Header=BB651_215 Depth=1
	s_or_b64 exec, exec, s[16:17]
.LBB651_262:                            ;   in Loop: Header=BB651_215 Depth=1
	s_or_b64 exec, exec, s[14:15]
.LBB651_263:                            ;   in Loop: Header=BB651_215 Depth=1
	s_or_b64 exec, exec, s[12:13]
	v_cvt_pkrtz_f16_f32 v34, v35, v37
	v_cvt_pkrtz_f16_f32 v35, v44, v56
	;; [unrolled: 1-line block ×4, first 2 shown]
	v_mov_b32_e32 v44, 0
	v_mfma_f32_16x16x16f16 v[34:37], v[34:35], v[2:3], 0
	s_waitcnt vmcnt(1)
	v_cmp_ne_u16_sdwa s[14:15], v40, v54 src0_sel:BYTE_0 src1_sel:DWORD
	v_mov_b32_e32 v57, 0
	v_mfma_f32_16x16x16f16 v[34:37], v[60:61], v[4:5], v[34:37]
	s_and_saveexec_b64 s[12:13], s[14:15]
	s_cbranch_execz .LBB651_269
; %bb.264:                              ;   in Loop: Header=BB651_215 Depth=1
	v_cmp_ne_u16_sdwa s[16:17], v40, s9 src0_sel:BYTE_0 src1_sel:DWORD
	v_bfrev_b32_e32 v57, 1
	s_and_saveexec_b64 s[14:15], s[16:17]
	s_cbranch_execz .LBB651_268
; %bb.265:                              ;   in Loop: Header=BB651_215 Depth=1
	v_and_b32_e32 v42, 0x7f, v40
	v_cmp_ne_u32_e32 vcc, s19, v42
	v_mov_b32_e32 v57, 0x7f800001
	s_and_saveexec_b64 s[16:17], vcc
	s_cbranch_execz .LBB651_267
; %bb.266:                              ;   in Loop: Header=BB651_215 Depth=1
	v_and_b32_e32 v58, 7, v40
	v_ffbh_u32_e32 v56, v58
	v_min_u32_e32 v60, 32, v56
	v_subrev_u32_e32 v56, 28, v60
	v_lshlrev_b64 v[56:57], v56, v[40:41]
	v_lshrrev_b32_e32 v59, 3, v42
	v_sub_u32_e32 v57, 29, v60
	v_and_b32_e32 v56, 7, v56
	v_cmp_gt_u32_e32 vcc, 8, v42
	v_cndmask_b32_e32 v42, v59, v57, vcc
	v_cndmask_b32_e32 v56, v58, v56, vcc
	v_lshlrev_b32_e32 v57, 24, v40
	v_lshlrev_b32_e32 v56, 20, v56
	v_and_b32_e32 v57, 0x80000000, v57
	v_lshl_add_u32 v42, v42, 23, v55
	v_or3_b32 v57, v57, v42, v56
.LBB651_267:                            ;   in Loop: Header=BB651_215 Depth=1
	s_or_b64 exec, exec, s[16:17]
.LBB651_268:                            ;   in Loop: Header=BB651_215 Depth=1
	s_or_b64 exec, exec, s[14:15]
.LBB651_269:                            ;   in Loop: Header=BB651_215 Depth=1
	s_or_b64 exec, exec, s[12:13]
	v_lshrrev_b16_e32 v42, 8, v40
	v_cmp_ne_u16_e32 vcc, 0, v42
	v_mov_b32_e32 v58, 0
	s_and_saveexec_b64 s[12:13], vcc
	s_cbranch_execz .LBB651_275
; %bb.270:                              ;   in Loop: Header=BB651_215 Depth=1
	v_cmp_ne_u16_e32 vcc, s9, v42
	v_bfrev_b32_e32 v58, 1
	s_and_saveexec_b64 s[14:15], vcc
	s_cbranch_execz .LBB651_274
; %bb.271:                              ;   in Loop: Header=BB651_215 Depth=1
	v_and_b32_e32 v56, 0x7f, v42
	v_cmp_ne_u32_e32 vcc, s19, v56
	v_mov_b32_e32 v58, 0x7f800001
	s_and_saveexec_b64 s[16:17], vcc
	s_cbranch_execz .LBB651_273
; %bb.272:                              ;   in Loop: Header=BB651_215 Depth=1
	v_and_b32_e32 v60, 7, v42
	v_ffbh_u32_e32 v58, v60
	v_min_u32_e32 v62, 32, v58
	v_subrev_u32_e32 v58, 28, v62
	v_lshlrev_b64 v[58:59], v58, v[42:43]
	v_lshrrev_b32_e32 v61, 3, v56
	v_sub_u32_e32 v42, 29, v62
	v_and_b32_e32 v58, 7, v58
	v_cmp_gt_u32_e32 vcc, 8, v56
	v_cndmask_b32_e32 v42, v61, v42, vcc
	v_cndmask_b32_e32 v56, v60, v58, vcc
	v_lshlrev_b32_e32 v58, 16, v40
	v_lshlrev_b32_e32 v56, 20, v56
	v_and_b32_e32 v58, 0x80000000, v58
	v_lshl_add_u32 v42, v42, 23, v55
	v_or3_b32 v58, v58, v42, v56
.LBB651_273:                            ;   in Loop: Header=BB651_215 Depth=1
	s_or_b64 exec, exec, s[16:17]
.LBB651_274:                            ;   in Loop: Header=BB651_215 Depth=1
	s_or_b64 exec, exec, s[14:15]
.LBB651_275:                            ;   in Loop: Header=BB651_215 Depth=1
	s_or_b64 exec, exec, s[12:13]
	v_lshrrev_b32_e32 v42, 16, v40
	v_cmp_ne_u16_sdwa s[14:15], v42, v54 src0_sel:BYTE_0 src1_sel:DWORD
	s_and_saveexec_b64 s[12:13], s[14:15]
	s_cbranch_execz .LBB651_281
; %bb.276:                              ;   in Loop: Header=BB651_215 Depth=1
	v_cmp_ne_u16_sdwa s[16:17], v42, s9 src0_sel:BYTE_0 src1_sel:DWORD
	v_bfrev_b32_e32 v44, 1
	s_and_saveexec_b64 s[14:15], s[16:17]
	s_cbranch_execz .LBB651_280
; %bb.277:                              ;   in Loop: Header=BB651_215 Depth=1
	v_bfe_u32 v56, v40, 16, 7
	v_cmp_ne_u32_e32 vcc, s19, v56
	v_mov_b32_e32 v44, 0x7f800001
	s_and_saveexec_b64 s[16:17], vcc
	s_cbranch_execz .LBB651_279
; %bb.278:                              ;   in Loop: Header=BB651_215 Depth=1
	v_and_b32_e32 v44, 7, v42
	v_ffbh_u32_e32 v60, v44
	v_min_u32_e32 v62, 32, v60
	v_subrev_u32_e32 v60, 28, v62
	v_lshlrev_b64 v[60:61], v60, v[42:43]
	v_lshrrev_b32_e32 v59, 3, v56
	v_sub_u32_e32 v61, 29, v62
	v_and_b32_e32 v60, 7, v60
	v_cmp_gt_u32_e32 vcc, 8, v56
	v_cndmask_b32_e32 v56, v59, v61, vcc
	v_cndmask_b32_e32 v44, v44, v60, vcc
	v_lshlrev_b32_e32 v42, 24, v42
	v_lshlrev_b32_e32 v44, 20, v44
	v_and_b32_e32 v42, 0x80000000, v42
	v_lshl_add_u32 v56, v56, 23, v55
	v_or3_b32 v44, v42, v56, v44
.LBB651_279:                            ;   in Loop: Header=BB651_215 Depth=1
	s_or_b64 exec, exec, s[16:17]
.LBB651_280:                            ;   in Loop: Header=BB651_215 Depth=1
	s_or_b64 exec, exec, s[14:15]
.LBB651_281:                            ;   in Loop: Header=BB651_215 Depth=1
	s_or_b64 exec, exec, s[12:13]
	v_cmp_lt_u32_e32 vcc, s20, v40
	v_mov_b32_e32 v59, 0
	v_mov_b32_e32 v60, 0
	s_and_saveexec_b64 s[12:13], vcc
	s_cbranch_execz .LBB651_287
; %bb.282:                              ;   in Loop: Header=BB651_215 Depth=1
	v_lshrrev_b32_e32 v42, 24, v40
	v_cmp_ne_u32_e32 vcc, s9, v42
	v_bfrev_b32_e32 v60, 1
	s_and_saveexec_b64 s[14:15], vcc
	s_cbranch_execz .LBB651_286
; %bb.283:                              ;   in Loop: Header=BB651_215 Depth=1
	v_bfe_u32 v40, v40, 24, 7
	v_cmp_ne_u32_e32 vcc, s19, v40
	v_mov_b32_e32 v60, 0x7f800001
	s_and_saveexec_b64 s[16:17], vcc
	s_cbranch_execz .LBB651_285
; %bb.284:                              ;   in Loop: Header=BB651_215 Depth=1
	v_and_b32_e32 v56, 7, v42
	v_ffbh_u32_e32 v60, v56
	v_min_u32_e32 v63, 32, v60
	v_subrev_u32_e32 v60, 28, v63
	v_lshlrev_b64 v[60:61], v60, v[42:43]
	v_lshrrev_b32_e32 v62, 3, v40
	v_sub_u32_e32 v61, 29, v63
	v_and_b32_e32 v60, 7, v60
	v_cmp_gt_u32_e32 vcc, 8, v40
	v_cndmask_b32_e32 v40, v62, v61, vcc
	v_cndmask_b32_e32 v56, v56, v60, vcc
	v_lshlrev_b32_e32 v42, 24, v42
	v_lshlrev_b32_e32 v56, 20, v56
	v_and_b32_e32 v42, 0x80000000, v42
	v_lshl_add_u32 v40, v40, 23, v55
	v_or3_b32 v60, v42, v40, v56
.LBB651_285:                            ;   in Loop: Header=BB651_215 Depth=1
	s_or_b64 exec, exec, s[16:17]
.LBB651_286:                            ;   in Loop: Header=BB651_215 Depth=1
	s_or_b64 exec, exec, s[14:15]
.LBB651_287:                            ;   in Loop: Header=BB651_215 Depth=1
	s_or_b64 exec, exec, s[12:13]
	s_waitcnt vmcnt(0)
	v_cmp_ne_u16_sdwa s[14:15], v38, v54 src0_sel:BYTE_0 src1_sel:DWORD
	s_and_saveexec_b64 s[12:13], s[14:15]
	s_cbranch_execz .LBB651_293
; %bb.288:                              ;   in Loop: Header=BB651_215 Depth=1
	v_cmp_ne_u16_sdwa s[16:17], v38, s9 src0_sel:BYTE_0 src1_sel:DWORD
	v_bfrev_b32_e32 v59, 1
	s_and_saveexec_b64 s[14:15], s[16:17]
	s_cbranch_execz .LBB651_292
; %bb.289:                              ;   in Loop: Header=BB651_215 Depth=1
	v_and_b32_e32 v40, 0x7f, v38
	v_cmp_ne_u32_e32 vcc, s19, v40
	v_mov_b32_e32 v59, 0x7f800001
	s_and_saveexec_b64 s[16:17], vcc
	s_cbranch_execz .LBB651_291
; %bb.290:                              ;   in Loop: Header=BB651_215 Depth=1
	v_and_b32_e32 v42, 7, v38
	v_ffbh_u32_e32 v59, v42
	v_min_u32_e32 v59, 32, v59
	v_subrev_u32_e32 v61, 28, v59
	v_lshlrev_b64 v[62:63], v61, v[38:39]
	v_lshrrev_b32_e32 v56, 3, v40
	v_sub_u32_e32 v59, 29, v59
	v_and_b32_e32 v61, 7, v62
	v_cmp_gt_u32_e32 vcc, 8, v40
	v_cndmask_b32_e32 v40, v56, v59, vcc
	v_cndmask_b32_e32 v42, v42, v61, vcc
	v_lshlrev_b32_e32 v56, 24, v38
	v_lshlrev_b32_e32 v42, 20, v42
	v_and_b32_e32 v56, 0x80000000, v56
	v_lshl_add_u32 v40, v40, 23, v55
	v_or3_b32 v59, v56, v40, v42
.LBB651_291:                            ;   in Loop: Header=BB651_215 Depth=1
	s_or_b64 exec, exec, s[16:17]
.LBB651_292:                            ;   in Loop: Header=BB651_215 Depth=1
	s_or_b64 exec, exec, s[14:15]
.LBB651_293:                            ;   in Loop: Header=BB651_215 Depth=1
	s_or_b64 exec, exec, s[12:13]
	v_lshrrev_b16_e32 v40, 8, v38
	v_cmp_ne_u16_e32 vcc, 0, v40
	v_mov_b32_e32 v61, 0
	v_mov_b32_e32 v62, 0
	s_and_saveexec_b64 s[12:13], vcc
	s_cbranch_execz .LBB651_299
; %bb.294:                              ;   in Loop: Header=BB651_215 Depth=1
	v_cmp_ne_u16_e32 vcc, s9, v40
	v_bfrev_b32_e32 v62, 1
	s_and_saveexec_b64 s[14:15], vcc
	s_cbranch_execz .LBB651_298
; %bb.295:                              ;   in Loop: Header=BB651_215 Depth=1
	v_and_b32_e32 v42, 0x7f, v40
	v_cmp_ne_u32_e32 vcc, s19, v42
	v_mov_b32_e32 v62, 0x7f800001
	s_and_saveexec_b64 s[16:17], vcc
	s_cbranch_execz .LBB651_297
; %bb.296:                              ;   in Loop: Header=BB651_215 Depth=1
	v_and_b32_e32 v56, 7, v40
	v_ffbh_u32_e32 v62, v56
	v_min_u32_e32 v65, 32, v62
	v_subrev_u32_e32 v62, 28, v65
	v_lshlrev_b64 v[62:63], v62, v[40:41]
	v_lshrrev_b32_e32 v64, 3, v42
	v_sub_u32_e32 v40, 29, v65
	v_and_b32_e32 v62, 7, v62
	v_cmp_gt_u32_e32 vcc, 8, v42
	v_cndmask_b32_e32 v40, v64, v40, vcc
	v_cndmask_b32_e32 v42, v56, v62, vcc
	v_lshlrev_b32_e32 v56, 16, v38
	v_lshlrev_b32_e32 v42, 20, v42
	v_and_b32_e32 v56, 0x80000000, v56
	v_lshl_add_u32 v40, v40, 23, v55
	v_or3_b32 v62, v56, v40, v42
.LBB651_297:                            ;   in Loop: Header=BB651_215 Depth=1
	s_or_b64 exec, exec, s[16:17]
.LBB651_298:                            ;   in Loop: Header=BB651_215 Depth=1
	s_or_b64 exec, exec, s[14:15]
.LBB651_299:                            ;   in Loop: Header=BB651_215 Depth=1
	s_or_b64 exec, exec, s[12:13]
	v_lshrrev_b32_e32 v40, 16, v38
	v_cmp_ne_u16_sdwa s[14:15], v40, v54 src0_sel:BYTE_0 src1_sel:DWORD
	s_and_saveexec_b64 s[12:13], s[14:15]
	s_cbranch_execz .LBB651_305
; %bb.300:                              ;   in Loop: Header=BB651_215 Depth=1
	v_cmp_ne_u16_sdwa s[16:17], v40, s9 src0_sel:BYTE_0 src1_sel:DWORD
	v_bfrev_b32_e32 v61, 1
	s_and_saveexec_b64 s[14:15], s[16:17]
	s_cbranch_execz .LBB651_304
; %bb.301:                              ;   in Loop: Header=BB651_215 Depth=1
	v_bfe_u32 v42, v38, 16, 7
	v_cmp_ne_u32_e32 vcc, s19, v42
	v_mov_b32_e32 v61, 0x7f800001
	s_and_saveexec_b64 s[16:17], vcc
	s_cbranch_execz .LBB651_303
; %bb.302:                              ;   in Loop: Header=BB651_215 Depth=1
	v_and_b32_e32 v56, 7, v40
	v_ffbh_u32_e32 v63, v56
	v_min_u32_e32 v63, 32, v63
	v_subrev_u32_e32 v64, 28, v63
	v_lshlrev_b64 v[64:65], v64, v[40:41]
	v_lshrrev_b32_e32 v61, 3, v42
	v_sub_u32_e32 v63, 29, v63
	v_and_b32_e32 v64, 7, v64
	v_cmp_gt_u32_e32 vcc, 8, v42
	v_cndmask_b32_e32 v42, v61, v63, vcc
	v_cndmask_b32_e32 v56, v56, v64, vcc
	v_lshlrev_b32_e32 v40, 24, v40
	v_lshlrev_b32_e32 v56, 20, v56
	v_and_b32_e32 v40, 0x80000000, v40
	v_lshl_add_u32 v42, v42, 23, v55
	v_or3_b32 v61, v40, v42, v56
.LBB651_303:                            ;   in Loop: Header=BB651_215 Depth=1
	s_or_b64 exec, exec, s[16:17]
.LBB651_304:                            ;   in Loop: Header=BB651_215 Depth=1
	s_or_b64 exec, exec, s[14:15]
.LBB651_305:                            ;   in Loop: Header=BB651_215 Depth=1
	s_or_b64 exec, exec, s[12:13]
	v_cmp_lt_u32_e32 vcc, s20, v38
	v_mov_b32_e32 v56, 0
	v_mov_b32_e32 v63, 0
	s_and_saveexec_b64 s[12:13], vcc
	s_cbranch_execz .LBB651_311
; %bb.306:                              ;   in Loop: Header=BB651_215 Depth=1
	v_lshrrev_b32_e32 v40, 24, v38
	v_cmp_ne_u32_e32 vcc, s9, v40
	v_bfrev_b32_e32 v63, 1
	s_and_saveexec_b64 s[14:15], vcc
	s_cbranch_execz .LBB651_310
; %bb.307:                              ;   in Loop: Header=BB651_215 Depth=1
	v_bfe_u32 v38, v38, 24, 7
	v_cmp_ne_u32_e32 vcc, s19, v38
	v_mov_b32_e32 v63, 0x7f800001
	s_and_saveexec_b64 s[16:17], vcc
	s_cbranch_execz .LBB651_309
; %bb.308:                              ;   in Loop: Header=BB651_215 Depth=1
	v_and_b32_e32 v42, 7, v40
	v_ffbh_u32_e32 v64, v42
	v_min_u32_e32 v66, 32, v64
	v_subrev_u32_e32 v64, 28, v66
	v_lshlrev_b64 v[64:65], v64, v[40:41]
	v_lshrrev_b32_e32 v63, 3, v38
	v_sub_u32_e32 v65, 29, v66
	v_and_b32_e32 v64, 7, v64
	v_cmp_gt_u32_e32 vcc, 8, v38
	v_cndmask_b32_e32 v38, v63, v65, vcc
	v_cndmask_b32_e32 v42, v42, v64, vcc
	v_lshlrev_b32_e32 v40, 24, v40
	v_lshlrev_b32_e32 v42, 20, v42
	v_and_b32_e32 v40, 0x80000000, v40
	v_lshl_add_u32 v38, v38, 23, v55
	v_or3_b32 v63, v40, v38, v42
.LBB651_309:                            ;   in Loop: Header=BB651_215 Depth=1
	s_or_b64 exec, exec, s[16:17]
.LBB651_310:                            ;   in Loop: Header=BB651_215 Depth=1
	s_or_b64 exec, exec, s[14:15]
.LBB651_311:                            ;   in Loop: Header=BB651_215 Depth=1
	s_or_b64 exec, exec, s[12:13]
	v_cvt_pkrtz_f16_f32 v65, v44, v60
	buffer_load_dword v44, v46, s[0:3], 0 offen
	buffer_load_dword v42, v46, s[0:3], 0 offen offset:4
	buffer_load_dword v40, v46, s[0:3], 0 offen offset:8
	buffer_load_dword v38, v46, s[0:3], 0 offen offset:12
	v_cvt_pkrtz_f16_f32 v64, v57, v58
	v_cvt_pkrtz_f16_f32 v58, v59, v62
	;; [unrolled: 1-line block ×3, first 2 shown]
	v_mfma_f32_16x16x16f16 v[34:37], v[64:65], v[6:7], v[34:37]
	s_waitcnt vmcnt(3)
	v_cmp_ne_u16_sdwa s[14:15], v44, v54 src0_sel:BYTE_0 src1_sel:DWORD
	v_mfma_f32_16x16x16f16 v[34:37], v[58:59], v[8:9], v[34:37]
	s_and_saveexec_b64 s[12:13], s[14:15]
	s_cbranch_execz .LBB651_317
; %bb.312:                              ;   in Loop: Header=BB651_215 Depth=1
	v_cmp_ne_u16_sdwa s[16:17], v44, s9 src0_sel:BYTE_0 src1_sel:DWORD
	v_bfrev_b32_e32 v56, 1
	s_and_saveexec_b64 s[14:15], s[16:17]
	s_cbranch_execz .LBB651_316
; %bb.313:                              ;   in Loop: Header=BB651_215 Depth=1
	v_and_b32_e32 v46, 0x7f, v44
	v_cmp_ne_u32_e32 vcc, s19, v46
	v_mov_b32_e32 v56, 0x7f800001
	s_and_saveexec_b64 s[16:17], vcc
	s_cbranch_execz .LBB651_315
; %bb.314:                              ;   in Loop: Header=BB651_215 Depth=1
	v_and_b32_e32 v58, 7, v44
	v_ffbh_u32_e32 v56, v58
	v_min_u32_e32 v60, 32, v56
	v_subrev_u32_e32 v56, 28, v60
	v_lshlrev_b64 v[56:57], v56, v[44:45]
	v_lshrrev_b32_e32 v59, 3, v46
	v_sub_u32_e32 v57, 29, v60
	v_and_b32_e32 v56, 7, v56
	v_cmp_gt_u32_e32 vcc, 8, v46
	v_cndmask_b32_e32 v46, v59, v57, vcc
	v_cndmask_b32_e32 v56, v58, v56, vcc
	v_lshlrev_b32_e32 v57, 24, v44
	v_lshlrev_b32_e32 v56, 20, v56
	v_and_b32_e32 v57, 0x80000000, v57
	v_lshl_add_u32 v46, v46, 23, v55
	v_or3_b32 v56, v57, v46, v56
.LBB651_315:                            ;   in Loop: Header=BB651_215 Depth=1
	s_or_b64 exec, exec, s[16:17]
.LBB651_316:                            ;   in Loop: Header=BB651_215 Depth=1
	s_or_b64 exec, exec, s[14:15]
.LBB651_317:                            ;   in Loop: Header=BB651_215 Depth=1
	s_or_b64 exec, exec, s[12:13]
	v_lshrrev_b16_e32 v46, 8, v44
	v_cmp_ne_u16_e32 vcc, 0, v46
	v_mov_b32_e32 v57, 0
	v_mov_b32_e32 v58, 0
	s_and_saveexec_b64 s[12:13], vcc
	s_cbranch_execz .LBB651_323
; %bb.318:                              ;   in Loop: Header=BB651_215 Depth=1
	v_cmp_ne_u16_e32 vcc, s9, v46
	v_bfrev_b32_e32 v58, 1
	s_and_saveexec_b64 s[14:15], vcc
	s_cbranch_execz .LBB651_322
; %bb.319:                              ;   in Loop: Header=BB651_215 Depth=1
	v_and_b32_e32 v59, 0x7f, v46
	v_cmp_ne_u32_e32 vcc, s19, v59
	v_mov_b32_e32 v58, 0x7f800001
	s_and_saveexec_b64 s[16:17], vcc
	s_cbranch_execz .LBB651_321
; %bb.320:                              ;   in Loop: Header=BB651_215 Depth=1
	v_and_b32_e32 v58, 7, v46
	v_ffbh_u32_e32 v60, v58
	v_min_u32_e32 v63, 32, v60
	v_subrev_u32_e32 v60, 28, v63
	v_lshlrev_b64 v[60:61], v60, v[46:47]
	v_lshrrev_b32_e32 v62, 3, v59
	v_sub_u32_e32 v46, 29, v63
	v_and_b32_e32 v60, 7, v60
	v_cmp_gt_u32_e32 vcc, 8, v59
	v_cndmask_b32_e32 v46, v62, v46, vcc
	v_cndmask_b32_e32 v58, v58, v60, vcc
	v_lshlrev_b32_e32 v59, 16, v44
	v_lshlrev_b32_e32 v58, 20, v58
	v_and_b32_e32 v59, 0x80000000, v59
	v_lshl_add_u32 v46, v46, 23, v55
	v_or3_b32 v58, v59, v46, v58
.LBB651_321:                            ;   in Loop: Header=BB651_215 Depth=1
	s_or_b64 exec, exec, s[16:17]
.LBB651_322:                            ;   in Loop: Header=BB651_215 Depth=1
	s_or_b64 exec, exec, s[14:15]
.LBB651_323:                            ;   in Loop: Header=BB651_215 Depth=1
	s_or_b64 exec, exec, s[12:13]
	v_lshrrev_b32_e32 v46, 16, v44
	v_cmp_ne_u16_sdwa s[14:15], v46, v54 src0_sel:BYTE_0 src1_sel:DWORD
	s_and_saveexec_b64 s[12:13], s[14:15]
	s_cbranch_execz .LBB651_329
; %bb.324:                              ;   in Loop: Header=BB651_215 Depth=1
	v_cmp_ne_u16_sdwa s[16:17], v46, s9 src0_sel:BYTE_0 src1_sel:DWORD
	v_bfrev_b32_e32 v57, 1
	s_and_saveexec_b64 s[14:15], s[16:17]
	s_cbranch_execz .LBB651_328
; %bb.325:                              ;   in Loop: Header=BB651_215 Depth=1
	v_bfe_u32 v59, v44, 16, 7
	v_cmp_ne_u32_e32 vcc, s19, v59
	v_mov_b32_e32 v57, 0x7f800001
	s_and_saveexec_b64 s[16:17], vcc
	s_cbranch_execz .LBB651_327
; %bb.326:                              ;   in Loop: Header=BB651_215 Depth=1
	v_and_b32_e32 v57, 7, v46
	v_ffbh_u32_e32 v60, v57
	v_min_u32_e32 v63, 32, v60
	v_subrev_u32_e32 v60, 28, v63
	v_lshlrev_b64 v[60:61], v60, v[46:47]
	v_lshrrev_b32_e32 v62, 3, v59
	v_sub_u32_e32 v61, 29, v63
	v_and_b32_e32 v60, 7, v60
	v_cmp_gt_u32_e32 vcc, 8, v59
	v_cndmask_b32_e32 v59, v62, v61, vcc
	v_cndmask_b32_e32 v57, v57, v60, vcc
	v_lshlrev_b32_e32 v46, 24, v46
	v_lshlrev_b32_e32 v57, 20, v57
	v_and_b32_e32 v46, 0x80000000, v46
	v_lshl_add_u32 v59, v59, 23, v55
	v_or3_b32 v57, v46, v59, v57
.LBB651_327:                            ;   in Loop: Header=BB651_215 Depth=1
	s_or_b64 exec, exec, s[16:17]
.LBB651_328:                            ;   in Loop: Header=BB651_215 Depth=1
	s_or_b64 exec, exec, s[14:15]
.LBB651_329:                            ;   in Loop: Header=BB651_215 Depth=1
	s_or_b64 exec, exec, s[12:13]
	v_cmp_lt_u32_e32 vcc, s20, v44
	v_mov_b32_e32 v59, 0
	v_mov_b32_e32 v60, 0
	s_and_saveexec_b64 s[12:13], vcc
	s_cbranch_execz .LBB651_335
; %bb.330:                              ;   in Loop: Header=BB651_215 Depth=1
	v_lshrrev_b32_e32 v46, 24, v44
	v_cmp_ne_u32_e32 vcc, s9, v46
	v_bfrev_b32_e32 v60, 1
	s_and_saveexec_b64 s[14:15], vcc
	s_cbranch_execz .LBB651_334
; %bb.331:                              ;   in Loop: Header=BB651_215 Depth=1
	v_bfe_u32 v44, v44, 24, 7
	v_cmp_ne_u32_e32 vcc, s19, v44
	v_mov_b32_e32 v60, 0x7f800001
	s_and_saveexec_b64 s[16:17], vcc
	s_cbranch_execz .LBB651_333
; %bb.332:                              ;   in Loop: Header=BB651_215 Depth=1
	v_and_b32_e32 v62, 7, v46
	v_ffbh_u32_e32 v60, v62
	v_min_u32_e32 v64, 32, v60
	v_subrev_u32_e32 v60, 28, v64
	v_lshlrev_b64 v[60:61], v60, v[46:47]
	v_lshrrev_b32_e32 v63, 3, v44
	v_sub_u32_e32 v61, 29, v64
	v_and_b32_e32 v60, 7, v60
	v_cmp_gt_u32_e32 vcc, 8, v44
	v_cndmask_b32_e32 v44, v63, v61, vcc
	v_cndmask_b32_e32 v60, v62, v60, vcc
	v_lshlrev_b32_e32 v46, 24, v46
	v_lshlrev_b32_e32 v60, 20, v60
	v_and_b32_e32 v46, 0x80000000, v46
	v_lshl_add_u32 v44, v44, 23, v55
	v_or3_b32 v60, v46, v44, v60
.LBB651_333:                            ;   in Loop: Header=BB651_215 Depth=1
	s_or_b64 exec, exec, s[16:17]
.LBB651_334:                            ;   in Loop: Header=BB651_215 Depth=1
	s_or_b64 exec, exec, s[14:15]
.LBB651_335:                            ;   in Loop: Header=BB651_215 Depth=1
	s_or_b64 exec, exec, s[12:13]
	s_waitcnt vmcnt(2)
	v_cmp_ne_u16_sdwa s[14:15], v42, v54 src0_sel:BYTE_0 src1_sel:DWORD
	s_and_saveexec_b64 s[12:13], s[14:15]
	s_cbranch_execz .LBB651_341
; %bb.336:                              ;   in Loop: Header=BB651_215 Depth=1
	v_cmp_ne_u16_sdwa s[16:17], v42, s9 src0_sel:BYTE_0 src1_sel:DWORD
	v_bfrev_b32_e32 v59, 1
	s_and_saveexec_b64 s[14:15], s[16:17]
	s_cbranch_execz .LBB651_340
; %bb.337:                              ;   in Loop: Header=BB651_215 Depth=1
	v_and_b32_e32 v44, 0x7f, v42
	v_cmp_ne_u32_e32 vcc, s19, v44
	v_mov_b32_e32 v59, 0x7f800001
	s_and_saveexec_b64 s[16:17], vcc
	s_cbranch_execz .LBB651_339
; %bb.338:                              ;   in Loop: Header=BB651_215 Depth=1
	v_and_b32_e32 v46, 7, v42
	v_ffbh_u32_e32 v61, v46
	v_min_u32_e32 v61, 32, v61
	v_subrev_u32_e32 v62, 28, v61
	v_lshlrev_b64 v[62:63], v62, v[42:43]
	v_lshrrev_b32_e32 v59, 3, v44
	v_sub_u32_e32 v61, 29, v61
	v_and_b32_e32 v62, 7, v62
	v_cmp_gt_u32_e32 vcc, 8, v44
	v_cndmask_b32_e32 v44, v59, v61, vcc
	v_cndmask_b32_e32 v46, v46, v62, vcc
	v_lshlrev_b32_e32 v59, 24, v42
	v_lshlrev_b32_e32 v46, 20, v46
	v_and_b32_e32 v59, 0x80000000, v59
	v_lshl_add_u32 v44, v44, 23, v55
	v_or3_b32 v59, v59, v44, v46
.LBB651_339:                            ;   in Loop: Header=BB651_215 Depth=1
	s_or_b64 exec, exec, s[16:17]
.LBB651_340:                            ;   in Loop: Header=BB651_215 Depth=1
	s_or_b64 exec, exec, s[14:15]
.LBB651_341:                            ;   in Loop: Header=BB651_215 Depth=1
	s_or_b64 exec, exec, s[12:13]
	v_lshrrev_b16_e32 v44, 8, v42
	v_cmp_ne_u16_e32 vcc, 0, v44
	v_mov_b32_e32 v61, 0
	v_mov_b32_e32 v62, 0
	s_and_saveexec_b64 s[12:13], vcc
	s_cbranch_execz .LBB651_347
; %bb.342:                              ;   in Loop: Header=BB651_215 Depth=1
	v_cmp_ne_u16_e32 vcc, s9, v44
	v_bfrev_b32_e32 v62, 1
	s_and_saveexec_b64 s[14:15], vcc
	s_cbranch_execz .LBB651_346
; %bb.343:                              ;   in Loop: Header=BB651_215 Depth=1
	v_and_b32_e32 v46, 0x7f, v44
	v_cmp_ne_u32_e32 vcc, s19, v46
	v_mov_b32_e32 v62, 0x7f800001
	s_and_saveexec_b64 s[16:17], vcc
	s_cbranch_execz .LBB651_345
; %bb.344:                              ;   in Loop: Header=BB651_215 Depth=1
	v_and_b32_e32 v64, 7, v44
	v_ffbh_u32_e32 v62, v64
	v_min_u32_e32 v66, 32, v62
	v_subrev_u32_e32 v62, 28, v66
	v_lshlrev_b64 v[62:63], v62, v[44:45]
	v_lshrrev_b32_e32 v65, 3, v46
	v_sub_u32_e32 v44, 29, v66
	v_and_b32_e32 v62, 7, v62
	v_cmp_gt_u32_e32 vcc, 8, v46
	v_cndmask_b32_e32 v44, v65, v44, vcc
	v_cndmask_b32_e32 v46, v64, v62, vcc
	v_lshlrev_b32_e32 v62, 16, v42
	v_lshlrev_b32_e32 v46, 20, v46
	v_and_b32_e32 v62, 0x80000000, v62
	v_lshl_add_u32 v44, v44, 23, v55
	v_or3_b32 v62, v62, v44, v46
.LBB651_345:                            ;   in Loop: Header=BB651_215 Depth=1
	s_or_b64 exec, exec, s[16:17]
.LBB651_346:                            ;   in Loop: Header=BB651_215 Depth=1
	s_or_b64 exec, exec, s[14:15]
.LBB651_347:                            ;   in Loop: Header=BB651_215 Depth=1
	s_or_b64 exec, exec, s[12:13]
	v_lshrrev_b32_e32 v44, 16, v42
	v_cmp_ne_u16_sdwa s[14:15], v44, v54 src0_sel:BYTE_0 src1_sel:DWORD
	s_and_saveexec_b64 s[12:13], s[14:15]
	s_cbranch_execz .LBB651_353
; %bb.348:                              ;   in Loop: Header=BB651_215 Depth=1
	v_cmp_ne_u16_sdwa s[16:17], v44, s9 src0_sel:BYTE_0 src1_sel:DWORD
	v_bfrev_b32_e32 v61, 1
	s_and_saveexec_b64 s[14:15], s[16:17]
	s_cbranch_execz .LBB651_352
; %bb.349:                              ;   in Loop: Header=BB651_215 Depth=1
	v_bfe_u32 v46, v42, 16, 7
	v_cmp_ne_u32_e32 vcc, s19, v46
	v_mov_b32_e32 v61, 0x7f800001
	s_and_saveexec_b64 s[16:17], vcc
	s_cbranch_execz .LBB651_351
; %bb.350:                              ;   in Loop: Header=BB651_215 Depth=1
	v_and_b32_e32 v61, 7, v44
	v_ffbh_u32_e32 v64, v61
	v_min_u32_e32 v66, 32, v64
	v_subrev_u32_e32 v64, 28, v66
	v_lshlrev_b64 v[64:65], v64, v[44:45]
	v_lshrrev_b32_e32 v63, 3, v46
	v_sub_u32_e32 v65, 29, v66
	v_and_b32_e32 v64, 7, v64
	v_cmp_gt_u32_e32 vcc, 8, v46
	v_cndmask_b32_e32 v46, v63, v65, vcc
	v_cndmask_b32_e32 v61, v61, v64, vcc
	v_lshlrev_b32_e32 v44, 24, v44
	v_lshlrev_b32_e32 v61, 20, v61
	v_and_b32_e32 v44, 0x80000000, v44
	v_lshl_add_u32 v46, v46, 23, v55
	v_or3_b32 v61, v44, v46, v61
.LBB651_351:                            ;   in Loop: Header=BB651_215 Depth=1
	s_or_b64 exec, exec, s[16:17]
.LBB651_352:                            ;   in Loop: Header=BB651_215 Depth=1
	s_or_b64 exec, exec, s[14:15]
.LBB651_353:                            ;   in Loop: Header=BB651_215 Depth=1
	s_or_b64 exec, exec, s[12:13]
	v_cmp_lt_u32_e32 vcc, s20, v42
	v_mov_b32_e32 v46, 0
	v_mov_b32_e32 v63, 0
	s_and_saveexec_b64 s[12:13], vcc
	s_cbranch_execz .LBB651_359
; %bb.354:                              ;   in Loop: Header=BB651_215 Depth=1
	v_lshrrev_b32_e32 v44, 24, v42
	v_cmp_ne_u32_e32 vcc, s9, v44
	v_bfrev_b32_e32 v63, 1
	s_and_saveexec_b64 s[14:15], vcc
	s_cbranch_execz .LBB651_358
; %bb.355:                              ;   in Loop: Header=BB651_215 Depth=1
	v_bfe_u32 v42, v42, 24, 7
	v_cmp_ne_u32_e32 vcc, s19, v42
	v_mov_b32_e32 v63, 0x7f800001
	s_and_saveexec_b64 s[16:17], vcc
	s_cbranch_execz .LBB651_357
; %bb.356:                              ;   in Loop: Header=BB651_215 Depth=1
	v_and_b32_e32 v63, 7, v44
	v_ffbh_u32_e32 v64, v63
	v_min_u32_e32 v67, 32, v64
	v_subrev_u32_e32 v64, 28, v67
	v_lshlrev_b64 v[64:65], v64, v[44:45]
	v_lshrrev_b32_e32 v66, 3, v42
	v_sub_u32_e32 v65, 29, v67
	v_and_b32_e32 v64, 7, v64
	v_cmp_gt_u32_e32 vcc, 8, v42
	v_cndmask_b32_e32 v42, v66, v65, vcc
	v_cndmask_b32_e32 v63, v63, v64, vcc
	v_lshlrev_b32_e32 v44, 24, v44
	v_lshlrev_b32_e32 v63, 20, v63
	v_and_b32_e32 v44, 0x80000000, v44
	v_lshl_add_u32 v42, v42, 23, v55
	v_or3_b32 v63, v44, v42, v63
.LBB651_357:                            ;   in Loop: Header=BB651_215 Depth=1
	s_or_b64 exec, exec, s[16:17]
.LBB651_358:                            ;   in Loop: Header=BB651_215 Depth=1
	s_or_b64 exec, exec, s[14:15]
.LBB651_359:                            ;   in Loop: Header=BB651_215 Depth=1
	s_or_b64 exec, exec, s[12:13]
	v_cvt_pkrtz_f16_f32 v56, v56, v58
	v_cvt_pkrtz_f16_f32 v57, v57, v60
	s_waitcnt vmcnt(1)
	v_cmp_ne_u16_sdwa s[14:15], v40, v54 src0_sel:BYTE_0 src1_sel:DWORD
	v_mfma_f32_16x16x16f16 v[34:37], v[56:57], v[10:11], v[34:37]
	v_cvt_pkrtz_f16_f32 v56, v59, v62
	v_cvt_pkrtz_f16_f32 v57, v61, v63
	s_nop 1
	v_mfma_f32_16x16x16f16 v[34:37], v[56:57], v[12:13], v[34:37]
	s_and_saveexec_b64 s[12:13], s[14:15]
	s_cbranch_execz .LBB651_365
; %bb.360:                              ;   in Loop: Header=BB651_215 Depth=1
	v_cmp_ne_u16_sdwa s[16:17], v40, s9 src0_sel:BYTE_0 src1_sel:DWORD
	v_bfrev_b32_e32 v46, 1
	s_and_saveexec_b64 s[14:15], s[16:17]
	s_cbranch_execz .LBB651_364
; %bb.361:                              ;   in Loop: Header=BB651_215 Depth=1
	v_and_b32_e32 v42, 0x7f, v40
	v_cmp_ne_u32_e32 vcc, s19, v42
	v_mov_b32_e32 v46, 0x7f800001
	s_and_saveexec_b64 s[16:17], vcc
	s_cbranch_execz .LBB651_363
; %bb.362:                              ;   in Loop: Header=BB651_215 Depth=1
	v_and_b32_e32 v44, 7, v40
	v_ffbh_u32_e32 v56, v44
	v_min_u32_e32 v58, 32, v56
	v_subrev_u32_e32 v56, 28, v58
	v_lshlrev_b64 v[56:57], v56, v[40:41]
	v_lshrrev_b32_e32 v46, 3, v42
	v_sub_u32_e32 v57, 29, v58
	v_and_b32_e32 v56, 7, v56
	v_cmp_gt_u32_e32 vcc, 8, v42
	v_cndmask_b32_e32 v42, v46, v57, vcc
	v_cndmask_b32_e32 v44, v44, v56, vcc
	v_lshlrev_b32_e32 v46, 24, v40
	v_lshlrev_b32_e32 v44, 20, v44
	v_and_b32_e32 v46, 0x80000000, v46
	v_lshl_add_u32 v42, v42, 23, v55
	v_or3_b32 v46, v46, v42, v44
.LBB651_363:                            ;   in Loop: Header=BB651_215 Depth=1
	s_or_b64 exec, exec, s[16:17]
.LBB651_364:                            ;   in Loop: Header=BB651_215 Depth=1
	s_or_b64 exec, exec, s[14:15]
.LBB651_365:                            ;   in Loop: Header=BB651_215 Depth=1
	s_or_b64 exec, exec, s[12:13]
	v_lshrrev_b16_e32 v42, 8, v40
	v_cmp_ne_u16_e32 vcc, 0, v42
	v_mov_b32_e32 v44, 0
	v_mov_b32_e32 v57, 0
	s_and_saveexec_b64 s[12:13], vcc
	s_cbranch_execz .LBB651_371
; %bb.366:                              ;   in Loop: Header=BB651_215 Depth=1
	v_cmp_ne_u16_e32 vcc, s9, v42
	v_bfrev_b32_e32 v57, 1
	s_and_saveexec_b64 s[14:15], vcc
	s_cbranch_execz .LBB651_370
; %bb.367:                              ;   in Loop: Header=BB651_215 Depth=1
	v_and_b32_e32 v56, 0x7f, v42
	v_cmp_ne_u32_e32 vcc, s19, v56
	v_mov_b32_e32 v57, 0x7f800001
	s_and_saveexec_b64 s[16:17], vcc
	s_cbranch_execz .LBB651_369
; %bb.368:                              ;   in Loop: Header=BB651_215 Depth=1
	v_and_b32_e32 v57, 7, v42
	v_ffbh_u32_e32 v58, v57
	v_min_u32_e32 v61, 32, v58
	v_subrev_u32_e32 v58, 28, v61
	v_lshlrev_b64 v[58:59], v58, v[42:43]
	v_lshrrev_b32_e32 v60, 3, v56
	v_sub_u32_e32 v42, 29, v61
	v_and_b32_e32 v58, 7, v58
	v_cmp_gt_u32_e32 vcc, 8, v56
	v_cndmask_b32_e32 v42, v60, v42, vcc
	v_cndmask_b32_e32 v56, v57, v58, vcc
	v_lshlrev_b32_e32 v57, 16, v40
	v_lshlrev_b32_e32 v56, 20, v56
	v_and_b32_e32 v57, 0x80000000, v57
	v_lshl_add_u32 v42, v42, 23, v55
	v_or3_b32 v57, v57, v42, v56
.LBB651_369:                            ;   in Loop: Header=BB651_215 Depth=1
	s_or_b64 exec, exec, s[16:17]
.LBB651_370:                            ;   in Loop: Header=BB651_215 Depth=1
	s_or_b64 exec, exec, s[14:15]
.LBB651_371:                            ;   in Loop: Header=BB651_215 Depth=1
	s_or_b64 exec, exec, s[12:13]
	v_lshrrev_b32_e32 v42, 16, v40
	v_cmp_ne_u16_sdwa s[14:15], v42, v54 src0_sel:BYTE_0 src1_sel:DWORD
	s_and_saveexec_b64 s[12:13], s[14:15]
	s_cbranch_execz .LBB651_377
; %bb.372:                              ;   in Loop: Header=BB651_215 Depth=1
	v_cmp_ne_u16_sdwa s[16:17], v42, s9 src0_sel:BYTE_0 src1_sel:DWORD
	v_bfrev_b32_e32 v44, 1
	s_and_saveexec_b64 s[14:15], s[16:17]
	s_cbranch_execz .LBB651_376
; %bb.373:                              ;   in Loop: Header=BB651_215 Depth=1
	v_bfe_u32 v56, v40, 16, 7
	v_cmp_ne_u32_e32 vcc, s19, v56
	v_mov_b32_e32 v44, 0x7f800001
	s_and_saveexec_b64 s[16:17], vcc
	s_cbranch_execz .LBB651_375
; %bb.374:                              ;   in Loop: Header=BB651_215 Depth=1
	v_and_b32_e32 v44, 7, v42
	v_ffbh_u32_e32 v58, v44
	v_min_u32_e32 v61, 32, v58
	v_subrev_u32_e32 v58, 28, v61
	v_lshlrev_b64 v[58:59], v58, v[42:43]
	v_lshrrev_b32_e32 v60, 3, v56
	v_sub_u32_e32 v59, 29, v61
	v_and_b32_e32 v58, 7, v58
	v_cmp_gt_u32_e32 vcc, 8, v56
	v_cndmask_b32_e32 v56, v60, v59, vcc
	v_cndmask_b32_e32 v44, v44, v58, vcc
	v_lshlrev_b32_e32 v42, 24, v42
	v_lshlrev_b32_e32 v44, 20, v44
	v_and_b32_e32 v42, 0x80000000, v42
	v_lshl_add_u32 v56, v56, 23, v55
	v_or3_b32 v44, v42, v56, v44
.LBB651_375:                            ;   in Loop: Header=BB651_215 Depth=1
	s_or_b64 exec, exec, s[16:17]
.LBB651_376:                            ;   in Loop: Header=BB651_215 Depth=1
	s_or_b64 exec, exec, s[14:15]
.LBB651_377:                            ;   in Loop: Header=BB651_215 Depth=1
	s_or_b64 exec, exec, s[12:13]
	v_cmp_lt_u32_e32 vcc, s20, v40
	v_mov_b32_e32 v58, 0
	v_mov_b32_e32 v59, 0
	s_and_saveexec_b64 s[12:13], vcc
	s_cbranch_execz .LBB651_383
; %bb.378:                              ;   in Loop: Header=BB651_215 Depth=1
	v_lshrrev_b32_e32 v42, 24, v40
	v_cmp_ne_u32_e32 vcc, s9, v42
	v_bfrev_b32_e32 v59, 1
	s_and_saveexec_b64 s[14:15], vcc
	s_cbranch_execz .LBB651_382
; %bb.379:                              ;   in Loop: Header=BB651_215 Depth=1
	v_bfe_u32 v40, v40, 24, 7
	v_cmp_ne_u32_e32 vcc, s19, v40
	v_mov_b32_e32 v59, 0x7f800001
	s_and_saveexec_b64 s[16:17], vcc
	s_cbranch_execz .LBB651_381
; %bb.380:                              ;   in Loop: Header=BB651_215 Depth=1
	v_and_b32_e32 v56, 7, v42
	v_ffbh_u32_e32 v60, v56
	v_min_u32_e32 v62, 32, v60
	v_subrev_u32_e32 v60, 28, v62
	v_lshlrev_b64 v[60:61], v60, v[42:43]
	v_lshrrev_b32_e32 v59, 3, v40
	v_sub_u32_e32 v61, 29, v62
	v_and_b32_e32 v60, 7, v60
	v_cmp_gt_u32_e32 vcc, 8, v40
	v_cndmask_b32_e32 v40, v59, v61, vcc
	v_cndmask_b32_e32 v56, v56, v60, vcc
	v_lshlrev_b32_e32 v42, 24, v42
	v_lshlrev_b32_e32 v56, 20, v56
	v_and_b32_e32 v42, 0x80000000, v42
	v_lshl_add_u32 v40, v40, 23, v55
	v_or3_b32 v59, v42, v40, v56
.LBB651_381:                            ;   in Loop: Header=BB651_215 Depth=1
	s_or_b64 exec, exec, s[16:17]
.LBB651_382:                            ;   in Loop: Header=BB651_215 Depth=1
	s_or_b64 exec, exec, s[14:15]
.LBB651_383:                            ;   in Loop: Header=BB651_215 Depth=1
	s_or_b64 exec, exec, s[12:13]
	s_waitcnt vmcnt(0)
	v_cmp_ne_u16_sdwa s[14:15], v38, v54 src0_sel:BYTE_0 src1_sel:DWORD
	s_and_saveexec_b64 s[12:13], s[14:15]
	s_cbranch_execz .LBB651_389
; %bb.384:                              ;   in Loop: Header=BB651_215 Depth=1
	v_cmp_ne_u16_sdwa s[16:17], v38, s9 src0_sel:BYTE_0 src1_sel:DWORD
	v_bfrev_b32_e32 v58, 1
	s_and_saveexec_b64 s[14:15], s[16:17]
	s_cbranch_execz .LBB651_388
; %bb.385:                              ;   in Loop: Header=BB651_215 Depth=1
	v_and_b32_e32 v40, 0x7f, v38
	v_cmp_ne_u32_e32 vcc, s19, v40
	v_mov_b32_e32 v58, 0x7f800001
	s_and_saveexec_b64 s[16:17], vcc
	s_cbranch_execz .LBB651_387
; %bb.386:                              ;   in Loop: Header=BB651_215 Depth=1
	v_and_b32_e32 v42, 7, v38
	v_ffbh_u32_e32 v58, v42
	v_min_u32_e32 v58, 32, v58
	v_subrev_u32_e32 v60, 28, v58
	v_lshlrev_b64 v[60:61], v60, v[38:39]
	v_lshrrev_b32_e32 v56, 3, v40
	v_sub_u32_e32 v58, 29, v58
	v_and_b32_e32 v60, 7, v60
	v_cmp_gt_u32_e32 vcc, 8, v40
	v_cndmask_b32_e32 v40, v56, v58, vcc
	v_cndmask_b32_e32 v42, v42, v60, vcc
	v_lshlrev_b32_e32 v56, 24, v38
	v_lshlrev_b32_e32 v42, 20, v42
	v_and_b32_e32 v56, 0x80000000, v56
	v_lshl_add_u32 v40, v40, 23, v55
	v_or3_b32 v58, v56, v40, v42
.LBB651_387:                            ;   in Loop: Header=BB651_215 Depth=1
	s_or_b64 exec, exec, s[16:17]
.LBB651_388:                            ;   in Loop: Header=BB651_215 Depth=1
	s_or_b64 exec, exec, s[14:15]
.LBB651_389:                            ;   in Loop: Header=BB651_215 Depth=1
	s_or_b64 exec, exec, s[12:13]
	v_lshrrev_b16_e32 v40, 8, v38
	v_cmp_ne_u16_e32 vcc, 0, v40
	v_mov_b32_e32 v60, 0
	v_mov_b32_e32 v61, 0
	s_and_saveexec_b64 s[12:13], vcc
	s_cbranch_execz .LBB651_395
; %bb.390:                              ;   in Loop: Header=BB651_215 Depth=1
	v_cmp_ne_u16_e32 vcc, s9, v40
	v_bfrev_b32_e32 v61, 1
	s_and_saveexec_b64 s[14:15], vcc
	s_cbranch_execz .LBB651_394
; %bb.391:                              ;   in Loop: Header=BB651_215 Depth=1
	v_and_b32_e32 v42, 0x7f, v40
	v_cmp_ne_u32_e32 vcc, s19, v42
	v_mov_b32_e32 v61, 0x7f800001
	s_and_saveexec_b64 s[16:17], vcc
	s_cbranch_execz .LBB651_393
; %bb.392:                              ;   in Loop: Header=BB651_215 Depth=1
	v_and_b32_e32 v56, 7, v40
	v_ffbh_u32_e32 v62, v56
	v_min_u32_e32 v64, 32, v62
	v_subrev_u32_e32 v62, 28, v64
	v_lshlrev_b64 v[62:63], v62, v[40:41]
	v_lshrrev_b32_e32 v61, 3, v42
	v_sub_u32_e32 v40, 29, v64
	v_and_b32_e32 v62, 7, v62
	v_cmp_gt_u32_e32 vcc, 8, v42
	v_cndmask_b32_e32 v40, v61, v40, vcc
	v_cndmask_b32_e32 v42, v56, v62, vcc
	v_lshlrev_b32_e32 v56, 16, v38
	v_lshlrev_b32_e32 v42, 20, v42
	v_and_b32_e32 v56, 0x80000000, v56
	v_lshl_add_u32 v40, v40, 23, v55
	v_or3_b32 v61, v56, v40, v42
.LBB651_393:                            ;   in Loop: Header=BB651_215 Depth=1
	s_or_b64 exec, exec, s[16:17]
.LBB651_394:                            ;   in Loop: Header=BB651_215 Depth=1
	s_or_b64 exec, exec, s[14:15]
.LBB651_395:                            ;   in Loop: Header=BB651_215 Depth=1
	s_or_b64 exec, exec, s[12:13]
	v_lshrrev_b32_e32 v40, 16, v38
	v_cmp_ne_u16_sdwa s[14:15], v40, v54 src0_sel:BYTE_0 src1_sel:DWORD
	s_and_saveexec_b64 s[12:13], s[14:15]
	s_cbranch_execz .LBB651_401
; %bb.396:                              ;   in Loop: Header=BB651_215 Depth=1
	v_cmp_ne_u16_sdwa s[16:17], v40, s9 src0_sel:BYTE_0 src1_sel:DWORD
	v_bfrev_b32_e32 v60, 1
	s_and_saveexec_b64 s[14:15], s[16:17]
	s_cbranch_execz .LBB651_400
; %bb.397:                              ;   in Loop: Header=BB651_215 Depth=1
	v_bfe_u32 v42, v38, 16, 7
	v_cmp_ne_u32_e32 vcc, s19, v42
	v_mov_b32_e32 v60, 0x7f800001
	s_and_saveexec_b64 s[16:17], vcc
	s_cbranch_execz .LBB651_399
; %bb.398:                              ;   in Loop: Header=BB651_215 Depth=1
	v_and_b32_e32 v56, 7, v40
	v_ffbh_u32_e32 v62, v56
	v_min_u32_e32 v64, 32, v62
	v_subrev_u32_e32 v62, 28, v64
	v_lshlrev_b64 v[62:63], v62, v[40:41]
	v_lshrrev_b32_e32 v60, 3, v42
	v_sub_u32_e32 v63, 29, v64
	v_and_b32_e32 v62, 7, v62
	v_cmp_gt_u32_e32 vcc, 8, v42
	v_cndmask_b32_e32 v42, v60, v63, vcc
	v_cndmask_b32_e32 v56, v56, v62, vcc
	v_lshlrev_b32_e32 v40, 24, v40
	v_lshlrev_b32_e32 v56, 20, v56
	v_and_b32_e32 v40, 0x80000000, v40
	v_lshl_add_u32 v42, v42, 23, v55
	v_or3_b32 v60, v40, v42, v56
.LBB651_399:                            ;   in Loop: Header=BB651_215 Depth=1
	s_or_b64 exec, exec, s[16:17]
.LBB651_400:                            ;   in Loop: Header=BB651_215 Depth=1
	s_or_b64 exec, exec, s[14:15]
.LBB651_401:                            ;   in Loop: Header=BB651_215 Depth=1
	s_or_b64 exec, exec, s[12:13]
	v_cmp_lt_u32_e32 vcc, s20, v38
	v_mov_b32_e32 v56, 0
	v_mov_b32_e32 v62, 0
	s_and_saveexec_b64 s[12:13], vcc
	s_cbranch_execz .LBB651_407
; %bb.402:                              ;   in Loop: Header=BB651_215 Depth=1
	v_lshrrev_b32_e32 v40, 24, v38
	v_cmp_ne_u32_e32 vcc, s9, v40
	v_bfrev_b32_e32 v62, 1
	s_and_saveexec_b64 s[14:15], vcc
	s_cbranch_execz .LBB651_406
; %bb.403:                              ;   in Loop: Header=BB651_215 Depth=1
	v_bfe_u32 v38, v38, 24, 7
	v_cmp_ne_u32_e32 vcc, s19, v38
	v_mov_b32_e32 v62, 0x7f800001
	s_and_saveexec_b64 s[16:17], vcc
	s_cbranch_execz .LBB651_405
; %bb.404:                              ;   in Loop: Header=BB651_215 Depth=1
	v_and_b32_e32 v42, 7, v40
	v_ffbh_u32_e32 v62, v42
	v_min_u32_e32 v65, 32, v62
	v_subrev_u32_e32 v62, 28, v65
	v_lshlrev_b64 v[62:63], v62, v[40:41]
	v_lshrrev_b32_e32 v64, 3, v38
	v_sub_u32_e32 v63, 29, v65
	v_and_b32_e32 v62, 7, v62
	v_cmp_gt_u32_e32 vcc, 8, v38
	v_cndmask_b32_e32 v38, v64, v63, vcc
	v_cndmask_b32_e32 v42, v42, v62, vcc
	v_lshlrev_b32_e32 v40, 24, v40
	v_lshlrev_b32_e32 v42, 20, v42
	v_and_b32_e32 v40, 0x80000000, v40
	v_lshl_add_u32 v38, v38, 23, v55
	v_or3_b32 v62, v40, v38, v42
.LBB651_405:                            ;   in Loop: Header=BB651_215 Depth=1
	s_or_b64 exec, exec, s[16:17]
.LBB651_406:                            ;   in Loop: Header=BB651_215 Depth=1
	s_or_b64 exec, exec, s[14:15]
.LBB651_407:                            ;   in Loop: Header=BB651_215 Depth=1
	s_or_b64 exec, exec, s[12:13]
	v_cvt_pkrtz_f16_f32 v65, v44, v59
	buffer_load_dword v44, v51, s[0:3], 0 offen
	buffer_load_dword v42, v51, s[0:3], 0 offen offset:4
	buffer_load_dword v40, v51, s[0:3], 0 offen offset:8
	;; [unrolled: 1-line block ×3, first 2 shown]
	v_cvt_pkrtz_f16_f32 v64, v46, v57
	v_cvt_pkrtz_f16_f32 v58, v58, v61
	;; [unrolled: 1-line block ×3, first 2 shown]
	v_mfma_f32_16x16x16f16 v[34:37], v[64:65], v[14:15], v[34:37]
	s_waitcnt vmcnt(3)
	v_cmp_ne_u16_sdwa s[14:15], v44, v54 src0_sel:BYTE_0 src1_sel:DWORD
	v_mfma_f32_16x16x16f16 v[34:37], v[58:59], v[16:17], v[34:37]
	s_and_saveexec_b64 s[12:13], s[14:15]
	s_cbranch_execz .LBB651_413
; %bb.408:                              ;   in Loop: Header=BB651_215 Depth=1
	v_cmp_ne_u16_sdwa s[16:17], v44, s9 src0_sel:BYTE_0 src1_sel:DWORD
	v_bfrev_b32_e32 v56, 1
	s_and_saveexec_b64 s[14:15], s[16:17]
	s_cbranch_execz .LBB651_412
; %bb.409:                              ;   in Loop: Header=BB651_215 Depth=1
	v_and_b32_e32 v46, 0x7f, v44
	v_cmp_ne_u32_e32 vcc, s19, v46
	v_mov_b32_e32 v56, 0x7f800001
	s_and_saveexec_b64 s[16:17], vcc
	s_cbranch_execz .LBB651_411
; %bb.410:                              ;   in Loop: Header=BB651_215 Depth=1
	v_and_b32_e32 v51, 7, v44
	v_ffbh_u32_e32 v56, v51
	v_min_u32_e32 v59, 32, v56
	v_subrev_u32_e32 v56, 28, v59
	v_lshlrev_b64 v[56:57], v56, v[44:45]
	v_lshrrev_b32_e32 v58, 3, v46
	v_sub_u32_e32 v57, 29, v59
	v_and_b32_e32 v56, 7, v56
	v_cmp_gt_u32_e32 vcc, 8, v46
	v_cndmask_b32_e32 v46, v58, v57, vcc
	v_cndmask_b32_e32 v51, v51, v56, vcc
	v_lshlrev_b32_e32 v56, 24, v44
	v_lshlrev_b32_e32 v51, 20, v51
	v_and_b32_e32 v56, 0x80000000, v56
	v_lshl_add_u32 v46, v46, 23, v55
	v_or3_b32 v56, v56, v46, v51
.LBB651_411:                            ;   in Loop: Header=BB651_215 Depth=1
	s_or_b64 exec, exec, s[16:17]
.LBB651_412:                            ;   in Loop: Header=BB651_215 Depth=1
	s_or_b64 exec, exec, s[14:15]
.LBB651_413:                            ;   in Loop: Header=BB651_215 Depth=1
	s_or_b64 exec, exec, s[12:13]
	v_lshrrev_b16_e32 v46, 8, v44
	v_cmp_ne_u16_e32 vcc, 0, v46
	v_mov_b32_e32 v51, 0
	v_mov_b32_e32 v57, 0
	s_and_saveexec_b64 s[12:13], vcc
	s_cbranch_execz .LBB651_419
; %bb.414:                              ;   in Loop: Header=BB651_215 Depth=1
	v_cmp_ne_u16_e32 vcc, s9, v46
	v_bfrev_b32_e32 v57, 1
	s_and_saveexec_b64 s[14:15], vcc
	s_cbranch_execz .LBB651_418
; %bb.415:                              ;   in Loop: Header=BB651_215 Depth=1
	v_and_b32_e32 v58, 0x7f, v46
	v_cmp_ne_u32_e32 vcc, s19, v58
	v_mov_b32_e32 v57, 0x7f800001
	s_and_saveexec_b64 s[16:17], vcc
	s_cbranch_execz .LBB651_417
; %bb.416:                              ;   in Loop: Header=BB651_215 Depth=1
	v_and_b32_e32 v57, 7, v46
	v_ffbh_u32_e32 v60, v57
	v_min_u32_e32 v62, 32, v60
	v_subrev_u32_e32 v60, 28, v62
	v_lshlrev_b64 v[60:61], v60, v[46:47]
	v_lshrrev_b32_e32 v59, 3, v58
	v_sub_u32_e32 v46, 29, v62
	v_and_b32_e32 v60, 7, v60
	v_cmp_gt_u32_e32 vcc, 8, v58
	v_cndmask_b32_e32 v46, v59, v46, vcc
	v_cndmask_b32_e32 v57, v57, v60, vcc
	v_lshlrev_b32_e32 v58, 16, v44
	v_lshlrev_b32_e32 v57, 20, v57
	v_and_b32_e32 v58, 0x80000000, v58
	v_lshl_add_u32 v46, v46, 23, v55
	v_or3_b32 v57, v58, v46, v57
.LBB651_417:                            ;   in Loop: Header=BB651_215 Depth=1
	s_or_b64 exec, exec, s[16:17]
.LBB651_418:                            ;   in Loop: Header=BB651_215 Depth=1
	s_or_b64 exec, exec, s[14:15]
.LBB651_419:                            ;   in Loop: Header=BB651_215 Depth=1
	s_or_b64 exec, exec, s[12:13]
	v_lshrrev_b32_e32 v46, 16, v44
	v_cmp_ne_u16_sdwa s[14:15], v46, v54 src0_sel:BYTE_0 src1_sel:DWORD
	s_and_saveexec_b64 s[12:13], s[14:15]
	s_cbranch_execz .LBB651_425
; %bb.420:                              ;   in Loop: Header=BB651_215 Depth=1
	v_cmp_ne_u16_sdwa s[16:17], v46, s9 src0_sel:BYTE_0 src1_sel:DWORD
	v_bfrev_b32_e32 v51, 1
	s_and_saveexec_b64 s[14:15], s[16:17]
	s_cbranch_execz .LBB651_424
; %bb.421:                              ;   in Loop: Header=BB651_215 Depth=1
	v_bfe_u32 v58, v44, 16, 7
	v_cmp_ne_u32_e32 vcc, s19, v58
	v_mov_b32_e32 v51, 0x7f800001
	s_and_saveexec_b64 s[16:17], vcc
	s_cbranch_execz .LBB651_423
; %bb.422:                              ;   in Loop: Header=BB651_215 Depth=1
	v_and_b32_e32 v51, 7, v46
	v_ffbh_u32_e32 v60, v51
	v_min_u32_e32 v62, 32, v60
	v_subrev_u32_e32 v60, 28, v62
	v_lshlrev_b64 v[60:61], v60, v[46:47]
	v_lshrrev_b32_e32 v59, 3, v58
	v_sub_u32_e32 v61, 29, v62
	v_and_b32_e32 v60, 7, v60
	v_cmp_gt_u32_e32 vcc, 8, v58
	v_cndmask_b32_e32 v58, v59, v61, vcc
	v_cndmask_b32_e32 v51, v51, v60, vcc
	v_lshlrev_b32_e32 v46, 24, v46
	v_lshlrev_b32_e32 v51, 20, v51
	v_and_b32_e32 v46, 0x80000000, v46
	v_lshl_add_u32 v58, v58, 23, v55
	v_or3_b32 v51, v46, v58, v51
.LBB651_423:                            ;   in Loop: Header=BB651_215 Depth=1
	s_or_b64 exec, exec, s[16:17]
.LBB651_424:                            ;   in Loop: Header=BB651_215 Depth=1
	s_or_b64 exec, exec, s[14:15]
.LBB651_425:                            ;   in Loop: Header=BB651_215 Depth=1
	s_or_b64 exec, exec, s[12:13]
	v_cmp_lt_u32_e32 vcc, s20, v44
	v_mov_b32_e32 v58, 0
	v_mov_b32_e32 v59, 0
	s_and_saveexec_b64 s[12:13], vcc
	s_cbranch_execz .LBB651_431
; %bb.426:                              ;   in Loop: Header=BB651_215 Depth=1
	v_lshrrev_b32_e32 v46, 24, v44
	v_cmp_ne_u32_e32 vcc, s9, v46
	v_bfrev_b32_e32 v59, 1
	s_and_saveexec_b64 s[14:15], vcc
	s_cbranch_execz .LBB651_430
; %bb.427:                              ;   in Loop: Header=BB651_215 Depth=1
	v_bfe_u32 v44, v44, 24, 7
	v_cmp_ne_u32_e32 vcc, s19, v44
	v_mov_b32_e32 v59, 0x7f800001
	s_and_saveexec_b64 s[16:17], vcc
	s_cbranch_execz .LBB651_429
; %bb.428:                              ;   in Loop: Header=BB651_215 Depth=1
	v_and_b32_e32 v59, 7, v46
	v_ffbh_u32_e32 v60, v59
	v_min_u32_e32 v63, 32, v60
	v_subrev_u32_e32 v60, 28, v63
	v_lshlrev_b64 v[60:61], v60, v[46:47]
	v_lshrrev_b32_e32 v62, 3, v44
	v_sub_u32_e32 v61, 29, v63
	v_and_b32_e32 v60, 7, v60
	v_cmp_gt_u32_e32 vcc, 8, v44
	v_cndmask_b32_e32 v44, v62, v61, vcc
	v_cndmask_b32_e32 v59, v59, v60, vcc
	v_lshlrev_b32_e32 v46, 24, v46
	v_lshlrev_b32_e32 v59, 20, v59
	v_and_b32_e32 v46, 0x80000000, v46
	v_lshl_add_u32 v44, v44, 23, v55
	v_or3_b32 v59, v46, v44, v59
.LBB651_429:                            ;   in Loop: Header=BB651_215 Depth=1
	s_or_b64 exec, exec, s[16:17]
.LBB651_430:                            ;   in Loop: Header=BB651_215 Depth=1
	s_or_b64 exec, exec, s[14:15]
.LBB651_431:                            ;   in Loop: Header=BB651_215 Depth=1
	s_or_b64 exec, exec, s[12:13]
	s_waitcnt vmcnt(2)
	v_cmp_ne_u16_sdwa s[14:15], v42, v54 src0_sel:BYTE_0 src1_sel:DWORD
	s_and_saveexec_b64 s[12:13], s[14:15]
	s_cbranch_execz .LBB651_437
; %bb.432:                              ;   in Loop: Header=BB651_215 Depth=1
	v_cmp_ne_u16_sdwa s[16:17], v42, s9 src0_sel:BYTE_0 src1_sel:DWORD
	v_bfrev_b32_e32 v58, 1
	s_and_saveexec_b64 s[14:15], s[16:17]
	s_cbranch_execz .LBB651_436
; %bb.433:                              ;   in Loop: Header=BB651_215 Depth=1
	v_and_b32_e32 v44, 0x7f, v42
	v_cmp_ne_u32_e32 vcc, s19, v44
	v_mov_b32_e32 v58, 0x7f800001
	s_and_saveexec_b64 s[16:17], vcc
	s_cbranch_execz .LBB651_435
; %bb.434:                              ;   in Loop: Header=BB651_215 Depth=1
	v_and_b32_e32 v46, 7, v42
	v_ffbh_u32_e32 v60, v46
	v_min_u32_e32 v62, 32, v60
	v_subrev_u32_e32 v60, 28, v62
	v_lshlrev_b64 v[60:61], v60, v[42:43]
	v_lshrrev_b32_e32 v58, 3, v44
	v_sub_u32_e32 v61, 29, v62
	v_and_b32_e32 v60, 7, v60
	v_cmp_gt_u32_e32 vcc, 8, v44
	v_cndmask_b32_e32 v44, v58, v61, vcc
	v_cndmask_b32_e32 v46, v46, v60, vcc
	v_lshlrev_b32_e32 v58, 24, v42
	v_lshlrev_b32_e32 v46, 20, v46
	v_and_b32_e32 v58, 0x80000000, v58
	v_lshl_add_u32 v44, v44, 23, v55
	v_or3_b32 v58, v58, v44, v46
.LBB651_435:                            ;   in Loop: Header=BB651_215 Depth=1
	s_or_b64 exec, exec, s[16:17]
.LBB651_436:                            ;   in Loop: Header=BB651_215 Depth=1
	s_or_b64 exec, exec, s[14:15]
.LBB651_437:                            ;   in Loop: Header=BB651_215 Depth=1
	s_or_b64 exec, exec, s[12:13]
	v_lshrrev_b16_e32 v44, 8, v42
	v_cmp_ne_u16_e32 vcc, 0, v44
	v_mov_b32_e32 v60, 0
	v_mov_b32_e32 v61, 0
	s_and_saveexec_b64 s[12:13], vcc
	s_cbranch_execz .LBB651_443
; %bb.438:                              ;   in Loop: Header=BB651_215 Depth=1
	v_cmp_ne_u16_e32 vcc, s9, v44
	v_bfrev_b32_e32 v61, 1
	s_and_saveexec_b64 s[14:15], vcc
	s_cbranch_execz .LBB651_442
; %bb.439:                              ;   in Loop: Header=BB651_215 Depth=1
	v_and_b32_e32 v46, 0x7f, v44
	v_cmp_ne_u32_e32 vcc, s19, v46
	v_mov_b32_e32 v61, 0x7f800001
	s_and_saveexec_b64 s[16:17], vcc
	s_cbranch_execz .LBB651_441
; %bb.440:                              ;   in Loop: Header=BB651_215 Depth=1
	v_and_b32_e32 v61, 7, v44
	v_ffbh_u32_e32 v62, v61
	v_min_u32_e32 v65, 32, v62
	v_subrev_u32_e32 v62, 28, v65
	v_lshlrev_b64 v[62:63], v62, v[44:45]
	v_lshrrev_b32_e32 v64, 3, v46
	v_sub_u32_e32 v44, 29, v65
	v_and_b32_e32 v62, 7, v62
	v_cmp_gt_u32_e32 vcc, 8, v46
	v_cndmask_b32_e32 v44, v64, v44, vcc
	v_cndmask_b32_e32 v46, v61, v62, vcc
	v_lshlrev_b32_e32 v61, 16, v42
	v_lshlrev_b32_e32 v46, 20, v46
	v_and_b32_e32 v61, 0x80000000, v61
	v_lshl_add_u32 v44, v44, 23, v55
	v_or3_b32 v61, v61, v44, v46
.LBB651_441:                            ;   in Loop: Header=BB651_215 Depth=1
	s_or_b64 exec, exec, s[16:17]
.LBB651_442:                            ;   in Loop: Header=BB651_215 Depth=1
	s_or_b64 exec, exec, s[14:15]
.LBB651_443:                            ;   in Loop: Header=BB651_215 Depth=1
	s_or_b64 exec, exec, s[12:13]
	v_lshrrev_b32_e32 v44, 16, v42
	v_cmp_ne_u16_sdwa s[14:15], v44, v54 src0_sel:BYTE_0 src1_sel:DWORD
	s_and_saveexec_b64 s[12:13], s[14:15]
	s_cbranch_execz .LBB651_449
; %bb.444:                              ;   in Loop: Header=BB651_215 Depth=1
	v_cmp_ne_u16_sdwa s[16:17], v44, s9 src0_sel:BYTE_0 src1_sel:DWORD
	v_bfrev_b32_e32 v60, 1
	s_and_saveexec_b64 s[14:15], s[16:17]
	s_cbranch_execz .LBB651_448
; %bb.445:                              ;   in Loop: Header=BB651_215 Depth=1
	v_bfe_u32 v46, v42, 16, 7
	v_cmp_ne_u32_e32 vcc, s19, v46
	v_mov_b32_e32 v60, 0x7f800001
	s_and_saveexec_b64 s[16:17], vcc
	s_cbranch_execz .LBB651_447
; %bb.446:                              ;   in Loop: Header=BB651_215 Depth=1
	v_and_b32_e32 v60, 7, v44
	v_ffbh_u32_e32 v62, v60
	v_min_u32_e32 v65, 32, v62
	v_subrev_u32_e32 v62, 28, v65
	v_lshlrev_b64 v[62:63], v62, v[44:45]
	v_lshrrev_b32_e32 v64, 3, v46
	v_sub_u32_e32 v63, 29, v65
	v_and_b32_e32 v62, 7, v62
	v_cmp_gt_u32_e32 vcc, 8, v46
	v_cndmask_b32_e32 v46, v64, v63, vcc
	v_cndmask_b32_e32 v60, v60, v62, vcc
	v_lshlrev_b32_e32 v44, 24, v44
	v_lshlrev_b32_e32 v60, 20, v60
	v_and_b32_e32 v44, 0x80000000, v44
	v_lshl_add_u32 v46, v46, 23, v55
	v_or3_b32 v60, v44, v46, v60
.LBB651_447:                            ;   in Loop: Header=BB651_215 Depth=1
	s_or_b64 exec, exec, s[16:17]
.LBB651_448:                            ;   in Loop: Header=BB651_215 Depth=1
	s_or_b64 exec, exec, s[14:15]
.LBB651_449:                            ;   in Loop: Header=BB651_215 Depth=1
	s_or_b64 exec, exec, s[12:13]
	v_cmp_lt_u32_e32 vcc, s20, v42
	v_mov_b32_e32 v46, 0
	v_mov_b32_e32 v62, 0
	s_and_saveexec_b64 s[12:13], vcc
	s_cbranch_execz .LBB651_455
; %bb.450:                              ;   in Loop: Header=BB651_215 Depth=1
	v_lshrrev_b32_e32 v44, 24, v42
	v_cmp_ne_u32_e32 vcc, s9, v44
	v_bfrev_b32_e32 v62, 1
	s_and_saveexec_b64 s[14:15], vcc
	s_cbranch_execz .LBB651_454
; %bb.451:                              ;   in Loop: Header=BB651_215 Depth=1
	v_bfe_u32 v42, v42, 24, 7
	v_cmp_ne_u32_e32 vcc, s19, v42
	v_mov_b32_e32 v62, 0x7f800001
	s_and_saveexec_b64 s[16:17], vcc
	s_cbranch_execz .LBB651_453
; %bb.452:                              ;   in Loop: Header=BB651_215 Depth=1
	v_and_b32_e32 v64, 7, v44
	v_ffbh_u32_e32 v62, v64
	v_min_u32_e32 v66, 32, v62
	v_subrev_u32_e32 v62, 28, v66
	v_lshlrev_b64 v[62:63], v62, v[44:45]
	v_lshrrev_b32_e32 v65, 3, v42
	v_sub_u32_e32 v63, 29, v66
	v_and_b32_e32 v62, 7, v62
	v_cmp_gt_u32_e32 vcc, 8, v42
	v_cndmask_b32_e32 v42, v65, v63, vcc
	v_cndmask_b32_e32 v62, v64, v62, vcc
	v_lshlrev_b32_e32 v44, 24, v44
	v_lshlrev_b32_e32 v62, 20, v62
	v_and_b32_e32 v44, 0x80000000, v44
	v_lshl_add_u32 v42, v42, 23, v55
	v_or3_b32 v62, v44, v42, v62
.LBB651_453:                            ;   in Loop: Header=BB651_215 Depth=1
	s_or_b64 exec, exec, s[16:17]
.LBB651_454:                            ;   in Loop: Header=BB651_215 Depth=1
	s_or_b64 exec, exec, s[14:15]
.LBB651_455:                            ;   in Loop: Header=BB651_215 Depth=1
	s_or_b64 exec, exec, s[12:13]
	v_cvt_pkrtz_f16_f32 v56, v56, v57
	v_cvt_pkrtz_f16_f32 v57, v51, v59
	s_waitcnt vmcnt(1)
	v_cmp_ne_u16_sdwa s[14:15], v40, v54 src0_sel:BYTE_0 src1_sel:DWORD
	v_mfma_f32_16x16x16f16 v[34:37], v[56:57], v[18:19], v[34:37]
	v_cvt_pkrtz_f16_f32 v56, v58, v61
	v_cvt_pkrtz_f16_f32 v57, v60, v62
	s_nop 1
	v_mfma_f32_16x16x16f16 v[34:37], v[56:57], v[20:21], v[34:37]
	s_and_saveexec_b64 s[12:13], s[14:15]
	s_cbranch_execz .LBB651_461
; %bb.456:                              ;   in Loop: Header=BB651_215 Depth=1
	v_cmp_ne_u16_sdwa s[16:17], v40, s9 src0_sel:BYTE_0 src1_sel:DWORD
	v_bfrev_b32_e32 v46, 1
	s_and_saveexec_b64 s[14:15], s[16:17]
	s_cbranch_execz .LBB651_460
; %bb.457:                              ;   in Loop: Header=BB651_215 Depth=1
	v_and_b32_e32 v42, 0x7f, v40
	v_cmp_ne_u32_e32 vcc, s19, v42
	v_mov_b32_e32 v46, 0x7f800001
	s_and_saveexec_b64 s[16:17], vcc
	s_cbranch_execz .LBB651_459
; %bb.458:                              ;   in Loop: Header=BB651_215 Depth=1
	v_and_b32_e32 v44, 7, v40
	v_ffbh_u32_e32 v51, v44
	v_min_u32_e32 v51, 32, v51
	v_subrev_u32_e32 v56, 28, v51
	v_lshlrev_b64 v[56:57], v56, v[40:41]
	v_lshrrev_b32_e32 v46, 3, v42
	v_sub_u32_e32 v51, 29, v51
	v_and_b32_e32 v56, 7, v56
	v_cmp_gt_u32_e32 vcc, 8, v42
	v_cndmask_b32_e32 v42, v46, v51, vcc
	v_cndmask_b32_e32 v44, v44, v56, vcc
	v_lshlrev_b32_e32 v46, 24, v40
	v_lshlrev_b32_e32 v44, 20, v44
	v_and_b32_e32 v46, 0x80000000, v46
	v_lshl_add_u32 v42, v42, 23, v55
	v_or3_b32 v46, v46, v42, v44
.LBB651_459:                            ;   in Loop: Header=BB651_215 Depth=1
	s_or_b64 exec, exec, s[16:17]
.LBB651_460:                            ;   in Loop: Header=BB651_215 Depth=1
	s_or_b64 exec, exec, s[14:15]
.LBB651_461:                            ;   in Loop: Header=BB651_215 Depth=1
	s_or_b64 exec, exec, s[12:13]
	v_lshrrev_b16_e32 v42, 8, v40
	v_cmp_ne_u16_e32 vcc, 0, v42
	v_mov_b32_e32 v44, 0
	v_mov_b32_e32 v56, 0
	s_and_saveexec_b64 s[12:13], vcc
	s_cbranch_execz .LBB651_467
; %bb.462:                              ;   in Loop: Header=BB651_215 Depth=1
	v_cmp_ne_u16_e32 vcc, s9, v42
	v_bfrev_b32_e32 v56, 1
	s_and_saveexec_b64 s[14:15], vcc
	s_cbranch_execz .LBB651_466
; %bb.463:                              ;   in Loop: Header=BB651_215 Depth=1
	v_and_b32_e32 v51, 0x7f, v42
	v_cmp_ne_u32_e32 vcc, s19, v51
	v_mov_b32_e32 v56, 0x7f800001
	s_and_saveexec_b64 s[16:17], vcc
	s_cbranch_execz .LBB651_465
; %bb.464:                              ;   in Loop: Header=BB651_215 Depth=1
	v_and_b32_e32 v58, 7, v42
	v_ffbh_u32_e32 v56, v58
	v_min_u32_e32 v60, 32, v56
	v_subrev_u32_e32 v56, 28, v60
	v_lshlrev_b64 v[56:57], v56, v[42:43]
	v_lshrrev_b32_e32 v59, 3, v51
	v_sub_u32_e32 v42, 29, v60
	v_and_b32_e32 v56, 7, v56
	v_cmp_gt_u32_e32 vcc, 8, v51
	v_cndmask_b32_e32 v42, v59, v42, vcc
	v_cndmask_b32_e32 v51, v58, v56, vcc
	v_lshlrev_b32_e32 v56, 16, v40
	v_lshlrev_b32_e32 v51, 20, v51
	v_and_b32_e32 v56, 0x80000000, v56
	v_lshl_add_u32 v42, v42, 23, v55
	v_or3_b32 v56, v56, v42, v51
.LBB651_465:                            ;   in Loop: Header=BB651_215 Depth=1
	s_or_b64 exec, exec, s[16:17]
.LBB651_466:                            ;   in Loop: Header=BB651_215 Depth=1
	s_or_b64 exec, exec, s[14:15]
.LBB651_467:                            ;   in Loop: Header=BB651_215 Depth=1
	s_or_b64 exec, exec, s[12:13]
	v_lshrrev_b32_e32 v42, 16, v40
	v_cmp_ne_u16_sdwa s[14:15], v42, v54 src0_sel:BYTE_0 src1_sel:DWORD
	s_and_saveexec_b64 s[12:13], s[14:15]
	s_cbranch_execz .LBB651_473
; %bb.468:                              ;   in Loop: Header=BB651_215 Depth=1
	v_cmp_ne_u16_sdwa s[16:17], v42, s9 src0_sel:BYTE_0 src1_sel:DWORD
	v_bfrev_b32_e32 v44, 1
	s_and_saveexec_b64 s[14:15], s[16:17]
	s_cbranch_execz .LBB651_472
; %bb.469:                              ;   in Loop: Header=BB651_215 Depth=1
	v_bfe_u32 v51, v40, 16, 7
	v_cmp_ne_u32_e32 vcc, s19, v51
	v_mov_b32_e32 v44, 0x7f800001
	s_and_saveexec_b64 s[16:17], vcc
	s_cbranch_execz .LBB651_471
; %bb.470:                              ;   in Loop: Header=BB651_215 Depth=1
	v_and_b32_e32 v44, 7, v42
	v_ffbh_u32_e32 v58, v44
	v_min_u32_e32 v60, 32, v58
	v_subrev_u32_e32 v58, 28, v60
	v_lshlrev_b64 v[58:59], v58, v[42:43]
	v_lshrrev_b32_e32 v57, 3, v51
	v_sub_u32_e32 v59, 29, v60
	v_and_b32_e32 v58, 7, v58
	v_cmp_gt_u32_e32 vcc, 8, v51
	v_cndmask_b32_e32 v51, v57, v59, vcc
	v_cndmask_b32_e32 v44, v44, v58, vcc
	v_lshlrev_b32_e32 v42, 24, v42
	v_lshlrev_b32_e32 v44, 20, v44
	v_and_b32_e32 v42, 0x80000000, v42
	v_lshl_add_u32 v51, v51, 23, v55
	v_or3_b32 v44, v42, v51, v44
.LBB651_471:                            ;   in Loop: Header=BB651_215 Depth=1
	s_or_b64 exec, exec, s[16:17]
.LBB651_472:                            ;   in Loop: Header=BB651_215 Depth=1
	s_or_b64 exec, exec, s[14:15]
.LBB651_473:                            ;   in Loop: Header=BB651_215 Depth=1
	s_or_b64 exec, exec, s[12:13]
	v_cmp_lt_u32_e32 vcc, s20, v40
	v_mov_b32_e32 v57, 0
	v_mov_b32_e32 v58, 0
	s_and_saveexec_b64 s[12:13], vcc
	s_cbranch_execz .LBB651_479
; %bb.474:                              ;   in Loop: Header=BB651_215 Depth=1
	v_lshrrev_b32_e32 v42, 24, v40
	v_cmp_ne_u32_e32 vcc, s9, v42
	v_bfrev_b32_e32 v58, 1
	s_and_saveexec_b64 s[14:15], vcc
	s_cbranch_execz .LBB651_478
; %bb.475:                              ;   in Loop: Header=BB651_215 Depth=1
	v_bfe_u32 v40, v40, 24, 7
	v_cmp_ne_u32_e32 vcc, s19, v40
	v_mov_b32_e32 v58, 0x7f800001
	s_and_saveexec_b64 s[16:17], vcc
	s_cbranch_execz .LBB651_477
; %bb.476:                              ;   in Loop: Header=BB651_215 Depth=1
	v_and_b32_e32 v51, 7, v42
	v_ffbh_u32_e32 v58, v51
	v_min_u32_e32 v61, 32, v58
	v_subrev_u32_e32 v58, 28, v61
	v_lshlrev_b64 v[58:59], v58, v[42:43]
	v_lshrrev_b32_e32 v60, 3, v40
	v_sub_u32_e32 v59, 29, v61
	v_and_b32_e32 v58, 7, v58
	v_cmp_gt_u32_e32 vcc, 8, v40
	v_cndmask_b32_e32 v40, v60, v59, vcc
	v_cndmask_b32_e32 v51, v51, v58, vcc
	v_lshlrev_b32_e32 v42, 24, v42
	v_lshlrev_b32_e32 v51, 20, v51
	v_and_b32_e32 v42, 0x80000000, v42
	v_lshl_add_u32 v40, v40, 23, v55
	v_or3_b32 v58, v42, v40, v51
.LBB651_477:                            ;   in Loop: Header=BB651_215 Depth=1
	s_or_b64 exec, exec, s[16:17]
.LBB651_478:                            ;   in Loop: Header=BB651_215 Depth=1
	s_or_b64 exec, exec, s[14:15]
.LBB651_479:                            ;   in Loop: Header=BB651_215 Depth=1
	s_or_b64 exec, exec, s[12:13]
	s_waitcnt vmcnt(0)
	v_cmp_ne_u16_sdwa s[14:15], v38, v54 src0_sel:BYTE_0 src1_sel:DWORD
	s_and_saveexec_b64 s[12:13], s[14:15]
	s_cbranch_execz .LBB651_485
; %bb.480:                              ;   in Loop: Header=BB651_215 Depth=1
	v_cmp_ne_u16_sdwa s[16:17], v38, s9 src0_sel:BYTE_0 src1_sel:DWORD
	v_bfrev_b32_e32 v57, 1
	s_and_saveexec_b64 s[14:15], s[16:17]
	s_cbranch_execz .LBB651_484
; %bb.481:                              ;   in Loop: Header=BB651_215 Depth=1
	v_and_b32_e32 v40, 0x7f, v38
	v_cmp_ne_u32_e32 vcc, s19, v40
	v_mov_b32_e32 v57, 0x7f800001
	s_and_saveexec_b64 s[16:17], vcc
	s_cbranch_execz .LBB651_483
; %bb.482:                              ;   in Loop: Header=BB651_215 Depth=1
	v_and_b32_e32 v42, 7, v38
	v_ffbh_u32_e32 v57, v42
	v_min_u32_e32 v57, 32, v57
	v_subrev_u32_e32 v59, 28, v57
	v_lshlrev_b64 v[60:61], v59, v[38:39]
	v_lshrrev_b32_e32 v51, 3, v40
	v_sub_u32_e32 v57, 29, v57
	v_and_b32_e32 v59, 7, v60
	v_cmp_gt_u32_e32 vcc, 8, v40
	v_cndmask_b32_e32 v40, v51, v57, vcc
	v_cndmask_b32_e32 v42, v42, v59, vcc
	v_lshlrev_b32_e32 v51, 24, v38
	v_lshlrev_b32_e32 v42, 20, v42
	v_and_b32_e32 v51, 0x80000000, v51
	v_lshl_add_u32 v40, v40, 23, v55
	v_or3_b32 v57, v51, v40, v42
.LBB651_483:                            ;   in Loop: Header=BB651_215 Depth=1
	s_or_b64 exec, exec, s[16:17]
.LBB651_484:                            ;   in Loop: Header=BB651_215 Depth=1
	s_or_b64 exec, exec, s[14:15]
.LBB651_485:                            ;   in Loop: Header=BB651_215 Depth=1
	s_or_b64 exec, exec, s[12:13]
	v_lshrrev_b16_e32 v40, 8, v38
	v_cmp_ne_u16_e32 vcc, 0, v40
	v_mov_b32_e32 v59, 0
	v_mov_b32_e32 v60, 0
	s_and_saveexec_b64 s[12:13], vcc
	s_cbranch_execz .LBB651_491
; %bb.486:                              ;   in Loop: Header=BB651_215 Depth=1
	v_cmp_ne_u16_e32 vcc, s9, v40
	v_bfrev_b32_e32 v60, 1
	s_and_saveexec_b64 s[14:15], vcc
	s_cbranch_execz .LBB651_490
; %bb.487:                              ;   in Loop: Header=BB651_215 Depth=1
	v_and_b32_e32 v42, 0x7f, v40
	v_cmp_ne_u32_e32 vcc, s19, v42
	v_mov_b32_e32 v60, 0x7f800001
	s_and_saveexec_b64 s[16:17], vcc
	s_cbranch_execz .LBB651_489
; %bb.488:                              ;   in Loop: Header=BB651_215 Depth=1
	v_and_b32_e32 v51, 7, v40
	v_ffbh_u32_e32 v60, v51
	v_min_u32_e32 v63, 32, v60
	v_subrev_u32_e32 v60, 28, v63
	v_lshlrev_b64 v[60:61], v60, v[40:41]
	v_lshrrev_b32_e32 v62, 3, v42
	v_sub_u32_e32 v40, 29, v63
	v_and_b32_e32 v60, 7, v60
	v_cmp_gt_u32_e32 vcc, 8, v42
	v_cndmask_b32_e32 v40, v62, v40, vcc
	v_cndmask_b32_e32 v42, v51, v60, vcc
	v_lshlrev_b32_e32 v51, 16, v38
	v_lshlrev_b32_e32 v42, 20, v42
	v_and_b32_e32 v51, 0x80000000, v51
	v_lshl_add_u32 v40, v40, 23, v55
	v_or3_b32 v60, v51, v40, v42
.LBB651_489:                            ;   in Loop: Header=BB651_215 Depth=1
	s_or_b64 exec, exec, s[16:17]
.LBB651_490:                            ;   in Loop: Header=BB651_215 Depth=1
	s_or_b64 exec, exec, s[14:15]
.LBB651_491:                            ;   in Loop: Header=BB651_215 Depth=1
	s_or_b64 exec, exec, s[12:13]
	v_lshrrev_b32_e32 v40, 16, v38
	v_cmp_ne_u16_sdwa s[14:15], v40, v54 src0_sel:BYTE_0 src1_sel:DWORD
	s_and_saveexec_b64 s[12:13], s[14:15]
	s_cbranch_execz .LBB651_497
; %bb.492:                              ;   in Loop: Header=BB651_215 Depth=1
	v_cmp_ne_u16_sdwa s[16:17], v40, s9 src0_sel:BYTE_0 src1_sel:DWORD
	v_bfrev_b32_e32 v59, 1
	s_and_saveexec_b64 s[14:15], s[16:17]
	s_cbranch_execz .LBB651_496
; %bb.493:                              ;   in Loop: Header=BB651_215 Depth=1
	v_bfe_u32 v42, v38, 16, 7
	v_cmp_ne_u32_e32 vcc, s19, v42
	v_mov_b32_e32 v59, 0x7f800001
	s_and_saveexec_b64 s[16:17], vcc
	s_cbranch_execz .LBB651_495
; %bb.494:                              ;   in Loop: Header=BB651_215 Depth=1
	v_and_b32_e32 v51, 7, v40
	v_ffbh_u32_e32 v61, v51
	v_min_u32_e32 v61, 32, v61
	v_subrev_u32_e32 v62, 28, v61
	v_lshlrev_b64 v[62:63], v62, v[40:41]
	v_lshrrev_b32_e32 v59, 3, v42
	v_sub_u32_e32 v61, 29, v61
	v_and_b32_e32 v62, 7, v62
	v_cmp_gt_u32_e32 vcc, 8, v42
	v_cndmask_b32_e32 v42, v59, v61, vcc
	v_cndmask_b32_e32 v51, v51, v62, vcc
	v_lshlrev_b32_e32 v40, 24, v40
	v_lshlrev_b32_e32 v51, 20, v51
	v_and_b32_e32 v40, 0x80000000, v40
	v_lshl_add_u32 v42, v42, 23, v55
	v_or3_b32 v59, v40, v42, v51
.LBB651_495:                            ;   in Loop: Header=BB651_215 Depth=1
	s_or_b64 exec, exec, s[16:17]
.LBB651_496:                            ;   in Loop: Header=BB651_215 Depth=1
	s_or_b64 exec, exec, s[14:15]
.LBB651_497:                            ;   in Loop: Header=BB651_215 Depth=1
	s_or_b64 exec, exec, s[12:13]
	v_cmp_lt_u32_e32 vcc, s20, v38
	v_mov_b32_e32 v51, 0
	v_mov_b32_e32 v61, 0
	s_and_saveexec_b64 s[12:13], vcc
	s_cbranch_execz .LBB651_503
; %bb.498:                              ;   in Loop: Header=BB651_215 Depth=1
	v_lshrrev_b32_e32 v40, 24, v38
	v_cmp_ne_u32_e32 vcc, s9, v40
	v_bfrev_b32_e32 v61, 1
	s_and_saveexec_b64 s[14:15], vcc
	s_cbranch_execz .LBB651_502
; %bb.499:                              ;   in Loop: Header=BB651_215 Depth=1
	v_bfe_u32 v38, v38, 24, 7
	v_cmp_ne_u32_e32 vcc, s19, v38
	v_mov_b32_e32 v61, 0x7f800001
	s_and_saveexec_b64 s[16:17], vcc
	s_cbranch_execz .LBB651_501
; %bb.500:                              ;   in Loop: Header=BB651_215 Depth=1
	v_and_b32_e32 v42, 7, v40
	v_ffbh_u32_e32 v62, v42
	v_min_u32_e32 v64, 32, v62
	v_subrev_u32_e32 v62, 28, v64
	v_lshlrev_b64 v[62:63], v62, v[40:41]
	v_lshrrev_b32_e32 v61, 3, v38
	v_sub_u32_e32 v63, 29, v64
	v_and_b32_e32 v62, 7, v62
	v_cmp_gt_u32_e32 vcc, 8, v38
	v_cndmask_b32_e32 v38, v61, v63, vcc
	v_cndmask_b32_e32 v42, v42, v62, vcc
	v_lshlrev_b32_e32 v40, 24, v40
	v_lshlrev_b32_e32 v42, 20, v42
	v_and_b32_e32 v40, 0x80000000, v40
	v_lshl_add_u32 v38, v38, 23, v55
	v_or3_b32 v61, v40, v38, v42
.LBB651_501:                            ;   in Loop: Header=BB651_215 Depth=1
	s_or_b64 exec, exec, s[16:17]
.LBB651_502:                            ;   in Loop: Header=BB651_215 Depth=1
	s_or_b64 exec, exec, s[14:15]
.LBB651_503:                            ;   in Loop: Header=BB651_215 Depth=1
	s_or_b64 exec, exec, s[12:13]
	v_cvt_pkrtz_f16_f32 v63, v44, v58
	buffer_load_dword v44, v50, s[0:3], 0 offen
	buffer_load_dword v42, v50, s[0:3], 0 offen offset:4
	buffer_load_dword v40, v50, s[0:3], 0 offen offset:8
	;; [unrolled: 1-line block ×3, first 2 shown]
	v_cvt_pkrtz_f16_f32 v62, v46, v56
	v_cvt_pkrtz_f16_f32 v56, v57, v60
	;; [unrolled: 1-line block ×3, first 2 shown]
	v_mfma_f32_16x16x16f16 v[34:37], v[62:63], v[22:23], v[34:37]
	s_waitcnt vmcnt(3)
	v_cmp_ne_u16_sdwa s[14:15], v44, v54 src0_sel:BYTE_0 src1_sel:DWORD
	v_mfma_f32_16x16x16f16 v[34:37], v[56:57], v[24:25], v[34:37]
	s_and_saveexec_b64 s[12:13], s[14:15]
	s_cbranch_execz .LBB651_509
; %bb.504:                              ;   in Loop: Header=BB651_215 Depth=1
	v_cmp_ne_u16_sdwa s[16:17], v44, s9 src0_sel:BYTE_0 src1_sel:DWORD
	v_bfrev_b32_e32 v51, 1
	s_and_saveexec_b64 s[14:15], s[16:17]
	s_cbranch_execz .LBB651_508
; %bb.505:                              ;   in Loop: Header=BB651_215 Depth=1
	v_and_b32_e32 v46, 0x7f, v44
	v_cmp_ne_u32_e32 vcc, s19, v46
	v_mov_b32_e32 v51, 0x7f800001
	s_and_saveexec_b64 s[16:17], vcc
	s_cbranch_execz .LBB651_507
; %bb.506:                              ;   in Loop: Header=BB651_215 Depth=1
	v_and_b32_e32 v56, 7, v44
	v_ffbh_u32_e32 v50, v56
	v_min_u32_e32 v58, 32, v50
	v_subrev_u32_e32 v50, 28, v58
	v_lshlrev_b64 v[50:51], v50, v[44:45]
	v_lshrrev_b32_e32 v57, 3, v46
	v_sub_u32_e32 v51, 29, v58
	v_and_b32_e32 v50, 7, v50
	v_cmp_gt_u32_e32 vcc, 8, v46
	v_cndmask_b32_e32 v46, v57, v51, vcc
	v_cndmask_b32_e32 v50, v56, v50, vcc
	v_lshlrev_b32_e32 v51, 24, v44
	v_lshlrev_b32_e32 v50, 20, v50
	v_and_b32_e32 v51, 0x80000000, v51
	v_lshl_add_u32 v46, v46, 23, v55
	v_or3_b32 v51, v51, v46, v50
.LBB651_507:                            ;   in Loop: Header=BB651_215 Depth=1
	s_or_b64 exec, exec, s[16:17]
.LBB651_508:                            ;   in Loop: Header=BB651_215 Depth=1
	s_or_b64 exec, exec, s[14:15]
.LBB651_509:                            ;   in Loop: Header=BB651_215 Depth=1
	s_or_b64 exec, exec, s[12:13]
	v_lshrrev_b16_e32 v46, 8, v44
	v_cmp_ne_u16_e32 vcc, 0, v46
	v_mov_b32_e32 v50, 0
	v_mov_b32_e32 v56, 0
	s_and_saveexec_b64 s[12:13], vcc
	s_cbranch_execz .LBB651_515
; %bb.510:                              ;   in Loop: Header=BB651_215 Depth=1
	v_cmp_ne_u16_e32 vcc, s9, v46
	v_bfrev_b32_e32 v56, 1
	s_and_saveexec_b64 s[14:15], vcc
	s_cbranch_execz .LBB651_514
; %bb.511:                              ;   in Loop: Header=BB651_215 Depth=1
	v_and_b32_e32 v57, 0x7f, v46
	v_cmp_ne_u32_e32 vcc, s19, v57
	v_mov_b32_e32 v56, 0x7f800001
	s_and_saveexec_b64 s[16:17], vcc
	s_cbranch_execz .LBB651_513
; %bb.512:                              ;   in Loop: Header=BB651_215 Depth=1
	v_and_b32_e32 v56, 7, v46
	v_ffbh_u32_e32 v58, v56
	v_min_u32_e32 v61, 32, v58
	v_subrev_u32_e32 v58, 28, v61
	v_lshlrev_b64 v[58:59], v58, v[46:47]
	v_lshrrev_b32_e32 v60, 3, v57
	v_sub_u32_e32 v46, 29, v61
	v_and_b32_e32 v58, 7, v58
	v_cmp_gt_u32_e32 vcc, 8, v57
	v_cndmask_b32_e32 v46, v60, v46, vcc
	v_cndmask_b32_e32 v56, v56, v58, vcc
	v_lshlrev_b32_e32 v57, 16, v44
	v_lshlrev_b32_e32 v56, 20, v56
	v_and_b32_e32 v57, 0x80000000, v57
	v_lshl_add_u32 v46, v46, 23, v55
	v_or3_b32 v56, v57, v46, v56
.LBB651_513:                            ;   in Loop: Header=BB651_215 Depth=1
	s_or_b64 exec, exec, s[16:17]
.LBB651_514:                            ;   in Loop: Header=BB651_215 Depth=1
	s_or_b64 exec, exec, s[14:15]
.LBB651_515:                            ;   in Loop: Header=BB651_215 Depth=1
	s_or_b64 exec, exec, s[12:13]
	v_lshrrev_b32_e32 v46, 16, v44
	v_cmp_ne_u16_sdwa s[14:15], v46, v54 src0_sel:BYTE_0 src1_sel:DWORD
	s_and_saveexec_b64 s[12:13], s[14:15]
	s_cbranch_execz .LBB651_521
; %bb.516:                              ;   in Loop: Header=BB651_215 Depth=1
	v_cmp_ne_u16_sdwa s[16:17], v46, s9 src0_sel:BYTE_0 src1_sel:DWORD
	v_bfrev_b32_e32 v50, 1
	s_and_saveexec_b64 s[14:15], s[16:17]
	s_cbranch_execz .LBB651_520
; %bb.517:                              ;   in Loop: Header=BB651_215 Depth=1
	v_bfe_u32 v57, v44, 16, 7
	v_cmp_ne_u32_e32 vcc, s19, v57
	v_mov_b32_e32 v50, 0x7f800001
	s_and_saveexec_b64 s[16:17], vcc
	s_cbranch_execz .LBB651_519
; %bb.518:                              ;   in Loop: Header=BB651_215 Depth=1
	v_and_b32_e32 v50, 7, v46
	v_ffbh_u32_e32 v58, v50
	v_min_u32_e32 v61, 32, v58
	v_subrev_u32_e32 v58, 28, v61
	v_lshlrev_b64 v[58:59], v58, v[46:47]
	v_lshrrev_b32_e32 v60, 3, v57
	v_sub_u32_e32 v59, 29, v61
	v_and_b32_e32 v58, 7, v58
	v_cmp_gt_u32_e32 vcc, 8, v57
	v_cndmask_b32_e32 v57, v60, v59, vcc
	v_cndmask_b32_e32 v50, v50, v58, vcc
	v_lshlrev_b32_e32 v46, 24, v46
	v_lshlrev_b32_e32 v50, 20, v50
	v_and_b32_e32 v46, 0x80000000, v46
	v_lshl_add_u32 v57, v57, 23, v55
	v_or3_b32 v50, v46, v57, v50
.LBB651_519:                            ;   in Loop: Header=BB651_215 Depth=1
	s_or_b64 exec, exec, s[16:17]
.LBB651_520:                            ;   in Loop: Header=BB651_215 Depth=1
	s_or_b64 exec, exec, s[14:15]
.LBB651_521:                            ;   in Loop: Header=BB651_215 Depth=1
	s_or_b64 exec, exec, s[12:13]
	v_cmp_lt_u32_e32 vcc, s20, v44
	v_mov_b32_e32 v57, 0
	v_mov_b32_e32 v58, 0
	s_and_saveexec_b64 s[12:13], vcc
	s_cbranch_execz .LBB651_527
; %bb.522:                              ;   in Loop: Header=BB651_215 Depth=1
	v_lshrrev_b32_e32 v46, 24, v44
	v_cmp_ne_u32_e32 vcc, s9, v46
	v_bfrev_b32_e32 v58, 1
	s_and_saveexec_b64 s[14:15], vcc
	s_cbranch_execz .LBB651_526
; %bb.523:                              ;   in Loop: Header=BB651_215 Depth=1
	v_bfe_u32 v44, v44, 24, 7
	v_cmp_ne_u32_e32 vcc, s19, v44
	v_mov_b32_e32 v58, 0x7f800001
	s_and_saveexec_b64 s[16:17], vcc
	s_cbranch_execz .LBB651_525
; %bb.524:                              ;   in Loop: Header=BB651_215 Depth=1
	v_and_b32_e32 v60, 7, v46
	v_ffbh_u32_e32 v58, v60
	v_min_u32_e32 v62, 32, v58
	v_subrev_u32_e32 v58, 28, v62
	v_lshlrev_b64 v[58:59], v58, v[46:47]
	v_lshrrev_b32_e32 v61, 3, v44
	v_sub_u32_e32 v59, 29, v62
	v_and_b32_e32 v58, 7, v58
	v_cmp_gt_u32_e32 vcc, 8, v44
	v_cndmask_b32_e32 v44, v61, v59, vcc
	v_cndmask_b32_e32 v58, v60, v58, vcc
	v_lshlrev_b32_e32 v46, 24, v46
	v_lshlrev_b32_e32 v58, 20, v58
	v_and_b32_e32 v46, 0x80000000, v46
	v_lshl_add_u32 v44, v44, 23, v55
	v_or3_b32 v58, v46, v44, v58
.LBB651_525:                            ;   in Loop: Header=BB651_215 Depth=1
	s_or_b64 exec, exec, s[16:17]
.LBB651_526:                            ;   in Loop: Header=BB651_215 Depth=1
	s_or_b64 exec, exec, s[14:15]
.LBB651_527:                            ;   in Loop: Header=BB651_215 Depth=1
	s_or_b64 exec, exec, s[12:13]
	s_waitcnt vmcnt(2)
	v_cmp_ne_u16_sdwa s[14:15], v42, v54 src0_sel:BYTE_0 src1_sel:DWORD
	s_and_saveexec_b64 s[12:13], s[14:15]
	s_cbranch_execz .LBB651_533
; %bb.528:                              ;   in Loop: Header=BB651_215 Depth=1
	v_cmp_ne_u16_sdwa s[16:17], v42, s9 src0_sel:BYTE_0 src1_sel:DWORD
	v_bfrev_b32_e32 v57, 1
	s_and_saveexec_b64 s[14:15], s[16:17]
	s_cbranch_execz .LBB651_532
; %bb.529:                              ;   in Loop: Header=BB651_215 Depth=1
	v_and_b32_e32 v44, 0x7f, v42
	v_cmp_ne_u32_e32 vcc, s19, v44
	v_mov_b32_e32 v57, 0x7f800001
	s_and_saveexec_b64 s[16:17], vcc
	s_cbranch_execz .LBB651_531
; %bb.530:                              ;   in Loop: Header=BB651_215 Depth=1
	v_and_b32_e32 v46, 7, v42
	v_ffbh_u32_e32 v59, v46
	v_min_u32_e32 v59, 32, v59
	v_subrev_u32_e32 v60, 28, v59
	v_lshlrev_b64 v[60:61], v60, v[42:43]
	v_lshrrev_b32_e32 v57, 3, v44
	v_sub_u32_e32 v59, 29, v59
	v_and_b32_e32 v60, 7, v60
	v_cmp_gt_u32_e32 vcc, 8, v44
	v_cndmask_b32_e32 v44, v57, v59, vcc
	v_cndmask_b32_e32 v46, v46, v60, vcc
	v_lshlrev_b32_e32 v57, 24, v42
	v_lshlrev_b32_e32 v46, 20, v46
	v_and_b32_e32 v57, 0x80000000, v57
	v_lshl_add_u32 v44, v44, 23, v55
	v_or3_b32 v57, v57, v44, v46
.LBB651_531:                            ;   in Loop: Header=BB651_215 Depth=1
	s_or_b64 exec, exec, s[16:17]
.LBB651_532:                            ;   in Loop: Header=BB651_215 Depth=1
	s_or_b64 exec, exec, s[14:15]
.LBB651_533:                            ;   in Loop: Header=BB651_215 Depth=1
	s_or_b64 exec, exec, s[12:13]
	v_lshrrev_b16_e32 v44, 8, v42
	v_cmp_ne_u16_e32 vcc, 0, v44
	v_mov_b32_e32 v59, 0
	v_mov_b32_e32 v60, 0
	s_and_saveexec_b64 s[12:13], vcc
	s_cbranch_execz .LBB651_539
; %bb.534:                              ;   in Loop: Header=BB651_215 Depth=1
	v_cmp_ne_u16_e32 vcc, s9, v44
	v_bfrev_b32_e32 v60, 1
	s_and_saveexec_b64 s[14:15], vcc
	s_cbranch_execz .LBB651_538
; %bb.535:                              ;   in Loop: Header=BB651_215 Depth=1
	v_and_b32_e32 v46, 0x7f, v44
	v_cmp_ne_u32_e32 vcc, s19, v46
	v_mov_b32_e32 v60, 0x7f800001
	s_and_saveexec_b64 s[16:17], vcc
	s_cbranch_execz .LBB651_537
; %bb.536:                              ;   in Loop: Header=BB651_215 Depth=1
	v_and_b32_e32 v62, 7, v44
	v_ffbh_u32_e32 v60, v62
	v_min_u32_e32 v64, 32, v60
	v_subrev_u32_e32 v60, 28, v64
	v_lshlrev_b64 v[60:61], v60, v[44:45]
	v_lshrrev_b32_e32 v63, 3, v46
	v_sub_u32_e32 v44, 29, v64
	v_and_b32_e32 v60, 7, v60
	v_cmp_gt_u32_e32 vcc, 8, v46
	v_cndmask_b32_e32 v44, v63, v44, vcc
	v_cndmask_b32_e32 v46, v62, v60, vcc
	v_lshlrev_b32_e32 v60, 16, v42
	v_lshlrev_b32_e32 v46, 20, v46
	v_and_b32_e32 v60, 0x80000000, v60
	v_lshl_add_u32 v44, v44, 23, v55
	v_or3_b32 v60, v60, v44, v46
.LBB651_537:                            ;   in Loop: Header=BB651_215 Depth=1
	s_or_b64 exec, exec, s[16:17]
.LBB651_538:                            ;   in Loop: Header=BB651_215 Depth=1
	s_or_b64 exec, exec, s[14:15]
.LBB651_539:                            ;   in Loop: Header=BB651_215 Depth=1
	s_or_b64 exec, exec, s[12:13]
	v_lshrrev_b32_e32 v44, 16, v42
	v_cmp_ne_u16_sdwa s[14:15], v44, v54 src0_sel:BYTE_0 src1_sel:DWORD
	s_and_saveexec_b64 s[12:13], s[14:15]
	s_cbranch_execz .LBB651_545
; %bb.540:                              ;   in Loop: Header=BB651_215 Depth=1
	v_cmp_ne_u16_sdwa s[16:17], v44, s9 src0_sel:BYTE_0 src1_sel:DWORD
	v_bfrev_b32_e32 v59, 1
	s_and_saveexec_b64 s[14:15], s[16:17]
	s_cbranch_execz .LBB651_544
; %bb.541:                              ;   in Loop: Header=BB651_215 Depth=1
	v_bfe_u32 v46, v42, 16, 7
	v_cmp_ne_u32_e32 vcc, s19, v46
	v_mov_b32_e32 v59, 0x7f800001
	s_and_saveexec_b64 s[16:17], vcc
	s_cbranch_execz .LBB651_543
; %bb.542:                              ;   in Loop: Header=BB651_215 Depth=1
	v_and_b32_e32 v59, 7, v44
	v_ffbh_u32_e32 v62, v59
	v_min_u32_e32 v64, 32, v62
	v_subrev_u32_e32 v62, 28, v64
	v_lshlrev_b64 v[62:63], v62, v[44:45]
	v_lshrrev_b32_e32 v61, 3, v46
	v_sub_u32_e32 v63, 29, v64
	v_and_b32_e32 v62, 7, v62
	v_cmp_gt_u32_e32 vcc, 8, v46
	v_cndmask_b32_e32 v46, v61, v63, vcc
	v_cndmask_b32_e32 v59, v59, v62, vcc
	v_lshlrev_b32_e32 v44, 24, v44
	v_lshlrev_b32_e32 v59, 20, v59
	v_and_b32_e32 v44, 0x80000000, v44
	v_lshl_add_u32 v46, v46, 23, v55
	v_or3_b32 v59, v44, v46, v59
.LBB651_543:                            ;   in Loop: Header=BB651_215 Depth=1
	s_or_b64 exec, exec, s[16:17]
.LBB651_544:                            ;   in Loop: Header=BB651_215 Depth=1
	s_or_b64 exec, exec, s[14:15]
.LBB651_545:                            ;   in Loop: Header=BB651_215 Depth=1
	s_or_b64 exec, exec, s[12:13]
	v_cmp_lt_u32_e32 vcc, s20, v42
	v_mov_b32_e32 v46, 0
	v_mov_b32_e32 v61, 0
	s_and_saveexec_b64 s[12:13], vcc
	s_cbranch_execz .LBB651_551
; %bb.546:                              ;   in Loop: Header=BB651_215 Depth=1
	v_lshrrev_b32_e32 v44, 24, v42
	v_cmp_ne_u32_e32 vcc, s9, v44
	v_bfrev_b32_e32 v61, 1
	s_and_saveexec_b64 s[14:15], vcc
	s_cbranch_execz .LBB651_550
; %bb.547:                              ;   in Loop: Header=BB651_215 Depth=1
	v_bfe_u32 v42, v42, 24, 7
	v_cmp_ne_u32_e32 vcc, s19, v42
	v_mov_b32_e32 v61, 0x7f800001
	s_and_saveexec_b64 s[16:17], vcc
	s_cbranch_execz .LBB651_549
; %bb.548:                              ;   in Loop: Header=BB651_215 Depth=1
	v_and_b32_e32 v61, 7, v44
	v_ffbh_u32_e32 v62, v61
	v_min_u32_e32 v65, 32, v62
	v_subrev_u32_e32 v62, 28, v65
	v_lshlrev_b64 v[62:63], v62, v[44:45]
	v_lshrrev_b32_e32 v64, 3, v42
	v_sub_u32_e32 v63, 29, v65
	v_and_b32_e32 v62, 7, v62
	v_cmp_gt_u32_e32 vcc, 8, v42
	v_cndmask_b32_e32 v42, v64, v63, vcc
	v_cndmask_b32_e32 v61, v61, v62, vcc
	v_lshlrev_b32_e32 v44, 24, v44
	v_lshlrev_b32_e32 v61, 20, v61
	v_and_b32_e32 v44, 0x80000000, v44
	v_lshl_add_u32 v42, v42, 23, v55
	v_or3_b32 v61, v44, v42, v61
.LBB651_549:                            ;   in Loop: Header=BB651_215 Depth=1
	s_or_b64 exec, exec, s[16:17]
.LBB651_550:                            ;   in Loop: Header=BB651_215 Depth=1
	s_or_b64 exec, exec, s[14:15]
.LBB651_551:                            ;   in Loop: Header=BB651_215 Depth=1
	s_or_b64 exec, exec, s[12:13]
	v_cvt_pkrtz_f16_f32 v62, v51, v56
	v_cvt_pkrtz_f16_f32 v63, v50, v58
	;; [unrolled: 1-line block ×4, first 2 shown]
	s_waitcnt vmcnt(1)
	v_cmp_ne_u16_sdwa s[14:15], v40, v54 src0_sel:BYTE_0 src1_sel:DWORD
	v_mfma_f32_16x16x16f16 v[34:37], v[62:63], v[26:27], v[34:37]
	v_mfma_f32_16x16x16f16 v[34:37], v[50:51], v[28:29], v[34:37]
	s_and_saveexec_b64 s[12:13], s[14:15]
	s_cbranch_execz .LBB651_557
; %bb.552:                              ;   in Loop: Header=BB651_215 Depth=1
	v_cmp_ne_u16_sdwa s[16:17], v40, s9 src0_sel:BYTE_0 src1_sel:DWORD
	v_bfrev_b32_e32 v46, 1
	s_and_saveexec_b64 s[14:15], s[16:17]
	s_cbranch_execz .LBB651_556
; %bb.553:                              ;   in Loop: Header=BB651_215 Depth=1
	v_and_b32_e32 v42, 0x7f, v40
	v_cmp_ne_u32_e32 vcc, s19, v42
	v_mov_b32_e32 v46, 0x7f800001
	s_and_saveexec_b64 s[16:17], vcc
	s_cbranch_execz .LBB651_555
; %bb.554:                              ;   in Loop: Header=BB651_215 Depth=1
	v_and_b32_e32 v44, 7, v40
	v_ffbh_u32_e32 v50, v44
	v_min_u32_e32 v56, 32, v50
	v_subrev_u32_e32 v50, 28, v56
	v_lshlrev_b64 v[50:51], v50, v[40:41]
	v_lshrrev_b32_e32 v46, 3, v42
	v_sub_u32_e32 v51, 29, v56
	v_and_b32_e32 v50, 7, v50
	v_cmp_gt_u32_e32 vcc, 8, v42
	v_cndmask_b32_e32 v42, v46, v51, vcc
	v_cndmask_b32_e32 v44, v44, v50, vcc
	v_lshlrev_b32_e32 v46, 24, v40
	v_lshlrev_b32_e32 v44, 20, v44
	v_and_b32_e32 v46, 0x80000000, v46
	v_lshl_add_u32 v42, v42, 23, v55
	v_or3_b32 v46, v46, v42, v44
.LBB651_555:                            ;   in Loop: Header=BB651_215 Depth=1
	s_or_b64 exec, exec, s[16:17]
.LBB651_556:                            ;   in Loop: Header=BB651_215 Depth=1
	s_or_b64 exec, exec, s[14:15]
.LBB651_557:                            ;   in Loop: Header=BB651_215 Depth=1
	s_or_b64 exec, exec, s[12:13]
	v_lshrrev_b16_e32 v42, 8, v40
	v_cmp_ne_u16_e32 vcc, 0, v42
	v_mov_b32_e32 v44, 0
	v_mov_b32_e32 v50, 0
	s_and_saveexec_b64 s[12:13], vcc
	s_cbranch_execz .LBB651_563
; %bb.558:                              ;   in Loop: Header=BB651_215 Depth=1
	v_cmp_ne_u16_e32 vcc, s9, v42
	v_bfrev_b32_e32 v50, 1
	s_and_saveexec_b64 s[14:15], vcc
	s_cbranch_execz .LBB651_562
; %bb.559:                              ;   in Loop: Header=BB651_215 Depth=1
	v_and_b32_e32 v51, 0x7f, v42
	v_cmp_ne_u32_e32 vcc, s19, v51
	v_mov_b32_e32 v50, 0x7f800001
	s_and_saveexec_b64 s[16:17], vcc
	s_cbranch_execz .LBB651_561
; %bb.560:                              ;   in Loop: Header=BB651_215 Depth=1
	v_and_b32_e32 v50, 7, v42
	v_ffbh_u32_e32 v56, v50
	v_min_u32_e32 v59, 32, v56
	v_subrev_u32_e32 v56, 28, v59
	v_lshlrev_b64 v[56:57], v56, v[42:43]
	v_lshrrev_b32_e32 v58, 3, v51
	v_sub_u32_e32 v42, 29, v59
	v_and_b32_e32 v56, 7, v56
	v_cmp_gt_u32_e32 vcc, 8, v51
	v_cndmask_b32_e32 v42, v58, v42, vcc
	v_cndmask_b32_e32 v50, v50, v56, vcc
	v_lshlrev_b32_e32 v51, 16, v40
	v_lshlrev_b32_e32 v50, 20, v50
	v_and_b32_e32 v51, 0x80000000, v51
	v_lshl_add_u32 v42, v42, 23, v55
	v_or3_b32 v50, v51, v42, v50
.LBB651_561:                            ;   in Loop: Header=BB651_215 Depth=1
	s_or_b64 exec, exec, s[16:17]
.LBB651_562:                            ;   in Loop: Header=BB651_215 Depth=1
	s_or_b64 exec, exec, s[14:15]
.LBB651_563:                            ;   in Loop: Header=BB651_215 Depth=1
	s_or_b64 exec, exec, s[12:13]
	v_lshrrev_b32_e32 v42, 16, v40
	v_cmp_ne_u16_sdwa s[14:15], v42, v54 src0_sel:BYTE_0 src1_sel:DWORD
	s_and_saveexec_b64 s[12:13], s[14:15]
	s_cbranch_execz .LBB651_569
; %bb.564:                              ;   in Loop: Header=BB651_215 Depth=1
	v_cmp_ne_u16_sdwa s[16:17], v42, s9 src0_sel:BYTE_0 src1_sel:DWORD
	v_bfrev_b32_e32 v44, 1
	s_and_saveexec_b64 s[14:15], s[16:17]
	s_cbranch_execz .LBB651_568
; %bb.565:                              ;   in Loop: Header=BB651_215 Depth=1
	v_bfe_u32 v51, v40, 16, 7
	v_cmp_ne_u32_e32 vcc, s19, v51
	v_mov_b32_e32 v44, 0x7f800001
	s_and_saveexec_b64 s[16:17], vcc
	s_cbranch_execz .LBB651_567
; %bb.566:                              ;   in Loop: Header=BB651_215 Depth=1
	v_and_b32_e32 v44, 7, v42
	v_ffbh_u32_e32 v56, v44
	v_min_u32_e32 v59, 32, v56
	v_subrev_u32_e32 v56, 28, v59
	v_lshlrev_b64 v[56:57], v56, v[42:43]
	v_lshrrev_b32_e32 v58, 3, v51
	v_sub_u32_e32 v57, 29, v59
	v_and_b32_e32 v56, 7, v56
	v_cmp_gt_u32_e32 vcc, 8, v51
	v_cndmask_b32_e32 v51, v58, v57, vcc
	v_cndmask_b32_e32 v44, v44, v56, vcc
	v_lshlrev_b32_e32 v42, 24, v42
	v_lshlrev_b32_e32 v44, 20, v44
	v_and_b32_e32 v42, 0x80000000, v42
	v_lshl_add_u32 v51, v51, 23, v55
	v_or3_b32 v44, v42, v51, v44
.LBB651_567:                            ;   in Loop: Header=BB651_215 Depth=1
	s_or_b64 exec, exec, s[16:17]
.LBB651_568:                            ;   in Loop: Header=BB651_215 Depth=1
	s_or_b64 exec, exec, s[14:15]
.LBB651_569:                            ;   in Loop: Header=BB651_215 Depth=1
	s_or_b64 exec, exec, s[12:13]
	v_cmp_lt_u32_e32 vcc, s20, v40
	v_mov_b32_e32 v51, 0
	v_mov_b32_e32 v56, 0
	s_and_saveexec_b64 s[12:13], vcc
	s_cbranch_execz .LBB651_575
; %bb.570:                              ;   in Loop: Header=BB651_215 Depth=1
	v_lshrrev_b32_e32 v42, 24, v40
	v_cmp_ne_u32_e32 vcc, s9, v42
	v_bfrev_b32_e32 v56, 1
	s_and_saveexec_b64 s[14:15], vcc
	s_cbranch_execz .LBB651_574
; %bb.571:                              ;   in Loop: Header=BB651_215 Depth=1
	v_bfe_u32 v40, v40, 24, 7
	v_cmp_ne_u32_e32 vcc, s19, v40
	v_mov_b32_e32 v56, 0x7f800001
	s_and_saveexec_b64 s[16:17], vcc
	s_cbranch_execz .LBB651_573
; %bb.572:                              ;   in Loop: Header=BB651_215 Depth=1
	v_and_b32_e32 v58, 7, v42
	v_ffbh_u32_e32 v56, v58
	v_min_u32_e32 v60, 32, v56
	v_subrev_u32_e32 v56, 28, v60
	v_lshlrev_b64 v[56:57], v56, v[42:43]
	v_lshrrev_b32_e32 v59, 3, v40
	v_sub_u32_e32 v57, 29, v60
	v_and_b32_e32 v56, 7, v56
	v_cmp_gt_u32_e32 vcc, 8, v40
	v_cndmask_b32_e32 v40, v59, v57, vcc
	v_cndmask_b32_e32 v56, v58, v56, vcc
	v_lshlrev_b32_e32 v42, 24, v42
	v_lshlrev_b32_e32 v56, 20, v56
	v_and_b32_e32 v42, 0x80000000, v42
	v_lshl_add_u32 v40, v40, 23, v55
	v_or3_b32 v56, v42, v40, v56
.LBB651_573:                            ;   in Loop: Header=BB651_215 Depth=1
	s_or_b64 exec, exec, s[16:17]
.LBB651_574:                            ;   in Loop: Header=BB651_215 Depth=1
	s_or_b64 exec, exec, s[14:15]
.LBB651_575:                            ;   in Loop: Header=BB651_215 Depth=1
	s_or_b64 exec, exec, s[12:13]
	s_waitcnt vmcnt(0)
	v_cmp_ne_u16_sdwa s[14:15], v38, v54 src0_sel:BYTE_0 src1_sel:DWORD
	s_and_saveexec_b64 s[12:13], s[14:15]
	s_cbranch_execz .LBB651_581
; %bb.576:                              ;   in Loop: Header=BB651_215 Depth=1
	v_cmp_ne_u16_sdwa s[16:17], v38, s9 src0_sel:BYTE_0 src1_sel:DWORD
	v_bfrev_b32_e32 v51, 1
	s_and_saveexec_b64 s[14:15], s[16:17]
	s_cbranch_execz .LBB651_580
; %bb.577:                              ;   in Loop: Header=BB651_215 Depth=1
	v_and_b32_e32 v40, 0x7f, v38
	v_cmp_ne_u32_e32 vcc, s19, v40
	v_mov_b32_e32 v51, 0x7f800001
	s_and_saveexec_b64 s[16:17], vcc
	s_cbranch_execz .LBB651_579
; %bb.578:                              ;   in Loop: Header=BB651_215 Depth=1
	v_and_b32_e32 v42, 7, v38
	v_ffbh_u32_e32 v57, v42
	v_min_u32_e32 v57, 32, v57
	v_subrev_u32_e32 v58, 28, v57
	v_lshlrev_b64 v[58:59], v58, v[38:39]
	v_lshrrev_b32_e32 v51, 3, v40
	v_sub_u32_e32 v57, 29, v57
	v_and_b32_e32 v58, 7, v58
	v_cmp_gt_u32_e32 vcc, 8, v40
	v_cndmask_b32_e32 v40, v51, v57, vcc
	v_cndmask_b32_e32 v42, v42, v58, vcc
	v_lshlrev_b32_e32 v51, 24, v38
	v_lshlrev_b32_e32 v42, 20, v42
	v_and_b32_e32 v51, 0x80000000, v51
	v_lshl_add_u32 v40, v40, 23, v55
	v_or3_b32 v51, v51, v40, v42
.LBB651_579:                            ;   in Loop: Header=BB651_215 Depth=1
	s_or_b64 exec, exec, s[16:17]
.LBB651_580:                            ;   in Loop: Header=BB651_215 Depth=1
	s_or_b64 exec, exec, s[14:15]
.LBB651_581:                            ;   in Loop: Header=BB651_215 Depth=1
	s_or_b64 exec, exec, s[12:13]
	v_lshrrev_b16_e32 v40, 8, v38
	v_cmp_ne_u16_e32 vcc, 0, v40
	v_mov_b32_e32 v42, 0
	v_mov_b32_e32 v57, 0
	s_and_saveexec_b64 s[12:13], vcc
	s_cbranch_execz .LBB651_587
; %bb.582:                              ;   in Loop: Header=BB651_215 Depth=1
	v_cmp_ne_u16_e32 vcc, s9, v40
	v_bfrev_b32_e32 v57, 1
	s_and_saveexec_b64 s[14:15], vcc
	s_cbranch_execz .LBB651_586
; %bb.583:                              ;   in Loop: Header=BB651_215 Depth=1
	v_and_b32_e32 v58, 0x7f, v40
	v_cmp_ne_u32_e32 vcc, s19, v58
	v_mov_b32_e32 v57, 0x7f800001
	s_and_saveexec_b64 s[16:17], vcc
	s_cbranch_execz .LBB651_585
; %bb.584:                              ;   in Loop: Header=BB651_215 Depth=1
	v_and_b32_e32 v57, 7, v40
	v_ffbh_u32_e32 v60, v57
	v_min_u32_e32 v62, 32, v60
	v_subrev_u32_e32 v60, 28, v62
	v_lshlrev_b64 v[60:61], v60, v[40:41]
	v_lshrrev_b32_e32 v59, 3, v58
	v_sub_u32_e32 v40, 29, v62
	v_and_b32_e32 v60, 7, v60
	v_cmp_gt_u32_e32 vcc, 8, v58
	v_cndmask_b32_e32 v40, v59, v40, vcc
	v_cndmask_b32_e32 v57, v57, v60, vcc
	v_lshlrev_b32_e32 v58, 16, v38
	v_lshlrev_b32_e32 v57, 20, v57
	v_and_b32_e32 v58, 0x80000000, v58
	v_lshl_add_u32 v40, v40, 23, v55
	v_or3_b32 v57, v58, v40, v57
.LBB651_585:                            ;   in Loop: Header=BB651_215 Depth=1
	s_or_b64 exec, exec, s[16:17]
.LBB651_586:                            ;   in Loop: Header=BB651_215 Depth=1
	s_or_b64 exec, exec, s[14:15]
.LBB651_587:                            ;   in Loop: Header=BB651_215 Depth=1
	s_or_b64 exec, exec, s[12:13]
	v_lshrrev_b32_e32 v40, 16, v38
	v_cmp_ne_u16_sdwa s[14:15], v40, v54 src0_sel:BYTE_0 src1_sel:DWORD
	s_and_saveexec_b64 s[12:13], s[14:15]
	s_cbranch_execz .LBB651_593
; %bb.588:                              ;   in Loop: Header=BB651_215 Depth=1
	v_cmp_ne_u16_sdwa s[16:17], v40, s9 src0_sel:BYTE_0 src1_sel:DWORD
	v_bfrev_b32_e32 v42, 1
	s_and_saveexec_b64 s[14:15], s[16:17]
	s_cbranch_execz .LBB651_592
; %bb.589:                              ;   in Loop: Header=BB651_215 Depth=1
	v_bfe_u32 v58, v38, 16, 7
	v_cmp_ne_u32_e32 vcc, s19, v58
	v_mov_b32_e32 v42, 0x7f800001
	s_and_saveexec_b64 s[16:17], vcc
	s_cbranch_execz .LBB651_591
; %bb.590:                              ;   in Loop: Header=BB651_215 Depth=1
	v_and_b32_e32 v42, 7, v40
	v_ffbh_u32_e32 v60, v42
	v_min_u32_e32 v62, 32, v60
	v_subrev_u32_e32 v60, 28, v62
	v_lshlrev_b64 v[60:61], v60, v[40:41]
	v_lshrrev_b32_e32 v59, 3, v58
	v_sub_u32_e32 v61, 29, v62
	v_and_b32_e32 v60, 7, v60
	v_cmp_gt_u32_e32 vcc, 8, v58
	v_cndmask_b32_e32 v58, v59, v61, vcc
	v_cndmask_b32_e32 v42, v42, v60, vcc
	v_lshlrev_b32_e32 v40, 24, v40
	v_lshlrev_b32_e32 v42, 20, v42
	v_and_b32_e32 v40, 0x80000000, v40
	v_lshl_add_u32 v58, v58, 23, v55
	v_or3_b32 v42, v40, v58, v42
.LBB651_591:                            ;   in Loop: Header=BB651_215 Depth=1
	s_or_b64 exec, exec, s[16:17]
.LBB651_592:                            ;   in Loop: Header=BB651_215 Depth=1
	s_or_b64 exec, exec, s[14:15]
.LBB651_593:                            ;   in Loop: Header=BB651_215 Depth=1
	s_or_b64 exec, exec, s[12:13]
	v_cmp_lt_u32_e32 vcc, s20, v38
	v_mov_b32_e32 v58, 0
	s_and_saveexec_b64 s[12:13], vcc
	s_cbranch_execz .LBB651_214
; %bb.594:                              ;   in Loop: Header=BB651_215 Depth=1
	v_lshrrev_b32_e32 v40, 24, v38
	v_cmp_ne_u32_e32 vcc, s9, v40
	v_bfrev_b32_e32 v58, 1
	s_and_saveexec_b64 s[14:15], vcc
	s_cbranch_execz .LBB651_213
; %bb.595:                              ;   in Loop: Header=BB651_215 Depth=1
	v_bfe_u32 v38, v38, 24, 7
	v_cmp_ne_u32_e32 vcc, s19, v38
	v_mov_b32_e32 v58, 0x7f800001
	s_and_saveexec_b64 s[16:17], vcc
	s_cbranch_execz .LBB651_212
; %bb.596:                              ;   in Loop: Header=BB651_215 Depth=1
	v_and_b32_e32 v60, 7, v40
	v_ffbh_u32_e32 v58, v60
	v_min_u32_e32 v62, 32, v58
	v_subrev_u32_e32 v58, 28, v62
	v_lshlrev_b64 v[58:59], v58, v[40:41]
	v_lshrrev_b32_e32 v61, 3, v38
	v_sub_u32_e32 v59, 29, v62
	v_and_b32_e32 v58, 7, v58
	v_cmp_gt_u32_e32 vcc, 8, v38
	v_cndmask_b32_e32 v38, v61, v59, vcc
	v_cndmask_b32_e32 v58, v60, v58, vcc
	v_lshlrev_b32_e32 v40, 24, v40
	v_lshlrev_b32_e32 v58, 20, v58
	v_and_b32_e32 v40, 0x80000000, v40
	v_lshl_add_u32 v38, v38, 23, v55
	v_or3_b32 v58, v40, v38, v58
	s_branch .LBB651_212
.LBB651_597:
	s_barrier
	buffer_load_dword v2, off, s[0:3], 0 offset:320
	buffer_load_dword v5, off, s[0:3], 0 offset:332
	;; [unrolled: 1-line block ×4, first 2 shown]
	v_cmp_gt_u32_e32 vcc, 64, v0
	s_waitcnt vmcnt(0)
	ds_write2st64_b64 v52, v[2:3], v[4:5] offset1:1
	s_waitcnt lgkmcnt(0)
	s_barrier
	s_and_saveexec_b64 s[4:5], vcc
	s_cbranch_execz .LBB651_600
; %bb.598:
	s_lshl_b32 s4, s48, 7
	s_mul_i32 s5, s18, s8
	s_mul_hi_u32 s9, s5, s4
	s_mul_i32 s8, s5, s4
	s_lshl_b64 s[8:9], s[8:9], 1
	v_lshlrev_b32_e32 v4, 6, v41
	s_add_u32 s5, s50, s8
	v_lshl_or_b32 v0, v0, 10, v4
	s_mov_b32 s7, 0
	s_addc_u32 s8, s51, s9
	s_lshl_b32 s6, s26, 7
	v_lshlrev_b32_e32 v2, 5, v1
	v_and_b32_e32 v3, 16, v43
	v_and_b32_e32 v0, 0x1a00, v0
	s_lshl_b64 s[6:7], s[6:7], 1
	v_or3_b32 v0, v0, v2, v3
	s_add_u32 s5, s5, s6
	ds_read_b128 v[6:9], v0 offset:256
	v_or_b32_e32 v2, 12, v1
	s_addc_u32 s6, s8, s7
	ds_read_b128 v[10:13], v0 offset:128
	ds_read_b128 v[14:17], v0
	v_add_u32_e32 v1, s27, v1
	v_mov_b32_e32 v4, s6
	v_add_co_u32_e32 v3, vcc, s5, v39
	v_mad_u64_u32 v[18:19], s[6:7], v1, s4, 0
	v_addc_co_u32_e32 v4, vcc, 0, v4, vcc
	v_lshlrev_b64 v[18:19], 1, v[18:19]
	v_add_co_u32_e32 v18, vcc, v3, v18
	v_addc_co_u32_e32 v19, vcc, v4, v19, vcc
	v_add_u32_e32 v5, 4, v1
	s_waitcnt lgkmcnt(0)
	global_store_dwordx4 v[18:19], v[14:17], off
	v_add_u32_e32 v1, 8, v1
	v_mad_u64_u32 v[14:15], s[6:7], v5, s4, 0
	v_lshlrev_b64 v[14:15], 1, v[14:15]
	v_add_co_u32_e32 v14, vcc, v3, v14
	v_addc_co_u32_e32 v15, vcc, v4, v15, vcc
	global_store_dwordx4 v[14:15], v[10:13], off
	s_nop 0
	v_mad_u64_u32 v[10:11], s[6:7], v1, s4, 0
	v_lshlrev_b64 v[10:11], 1, v[10:11]
	v_add_co_u32_e32 v10, vcc, v3, v10
	v_addc_co_u32_e32 v11, vcc, v4, v11, vcc
	v_cmp_gt_u32_e32 vcc, 14, v2
	global_store_dwordx4 v[10:11], v[6:9], off
	s_and_b64 exec, exec, vcc
	s_cbranch_execz .LBB651_600
; %bb.599:
	ds_read_b128 v[6:9], v0 offset:384
	v_add_u32_e32 v0, s27, v2
	v_mad_u64_u32 v[0:1], s[4:5], v0, s4, 0
	v_lshlrev_b64 v[0:1], 1, v[0:1]
	v_add_co_u32_e32 v0, vcc, v3, v0
	v_addc_co_u32_e32 v1, vcc, v4, v1, vcc
	s_waitcnt lgkmcnt(0)
	global_store_dwordx4 v[0:1], v[6:9], off
.LBB651_600:
	s_endpgm
	.section	.rodata,"a",@progbits
	.p2align	6, 0x0
	.amdhsa_kernel _Z39paged_attention_ll4mi_QKV_mfma16_kernelIDF16_hLN4vllm18Fp8KVCacheDataTypeE1EDF16_Li32ELi128ELi256ELb1ELi14EL8MFMAType0EEvPKT_PKT0_S8_ifPKiSA_SA_iPKfiiiPfSD_PS3_PT2_iSC_SC_
		.amdhsa_group_segment_fixed_size 8192
		.amdhsa_private_segment_fixed_size 352
		.amdhsa_kernarg_size 400
		.amdhsa_user_sgpr_count 8
		.amdhsa_user_sgpr_private_segment_buffer 1
		.amdhsa_user_sgpr_dispatch_ptr 0
		.amdhsa_user_sgpr_queue_ptr 0
		.amdhsa_user_sgpr_kernarg_segment_ptr 1
		.amdhsa_user_sgpr_dispatch_id 0
		.amdhsa_user_sgpr_flat_scratch_init 1
		.amdhsa_user_sgpr_kernarg_preload_length 0
		.amdhsa_user_sgpr_kernarg_preload_offset 0
		.amdhsa_user_sgpr_private_segment_size 0
		.amdhsa_uses_dynamic_stack 0
		.amdhsa_system_sgpr_private_segment_wavefront_offset 1
		.amdhsa_system_sgpr_workgroup_id_x 1
		.amdhsa_system_sgpr_workgroup_id_y 1
		.amdhsa_system_sgpr_workgroup_id_z 1
		.amdhsa_system_sgpr_workgroup_info 0
		.amdhsa_system_vgpr_workitem_id 0
		.amdhsa_next_free_vgpr 80
		.amdhsa_next_free_sgpr 53
		.amdhsa_accum_offset 80
		.amdhsa_reserve_vcc 1
		.amdhsa_reserve_flat_scratch 0
		.amdhsa_float_round_mode_32 0
		.amdhsa_float_round_mode_16_64 0
		.amdhsa_float_denorm_mode_32 3
		.amdhsa_float_denorm_mode_16_64 3
		.amdhsa_dx10_clamp 1
		.amdhsa_ieee_mode 1
		.amdhsa_fp16_overflow 0
		.amdhsa_tg_split 0
		.amdhsa_exception_fp_ieee_invalid_op 0
		.amdhsa_exception_fp_denorm_src 0
		.amdhsa_exception_fp_ieee_div_zero 0
		.amdhsa_exception_fp_ieee_overflow 0
		.amdhsa_exception_fp_ieee_underflow 0
		.amdhsa_exception_fp_ieee_inexact 0
		.amdhsa_exception_int_div_zero 0
	.end_amdhsa_kernel
	.section	.text._Z39paged_attention_ll4mi_QKV_mfma16_kernelIDF16_hLN4vllm18Fp8KVCacheDataTypeE1EDF16_Li32ELi128ELi256ELb1ELi14EL8MFMAType0EEvPKT_PKT0_S8_ifPKiSA_SA_iPKfiiiPfSD_PS3_PT2_iSC_SC_,"axG",@progbits,_Z39paged_attention_ll4mi_QKV_mfma16_kernelIDF16_hLN4vllm18Fp8KVCacheDataTypeE1EDF16_Li32ELi128ELi256ELb1ELi14EL8MFMAType0EEvPKT_PKT0_S8_ifPKiSA_SA_iPKfiiiPfSD_PS3_PT2_iSC_SC_,comdat
.Lfunc_end651:
	.size	_Z39paged_attention_ll4mi_QKV_mfma16_kernelIDF16_hLN4vllm18Fp8KVCacheDataTypeE1EDF16_Li32ELi128ELi256ELb1ELi14EL8MFMAType0EEvPKT_PKT0_S8_ifPKiSA_SA_iPKfiiiPfSD_PS3_PT2_iSC_SC_, .Lfunc_end651-_Z39paged_attention_ll4mi_QKV_mfma16_kernelIDF16_hLN4vllm18Fp8KVCacheDataTypeE1EDF16_Li32ELi128ELi256ELb1ELi14EL8MFMAType0EEvPKT_PKT0_S8_ifPKiSA_SA_iPKfiiiPfSD_PS3_PT2_iSC_SC_
                                        ; -- End function
	.section	.AMDGPU.csdata,"",@progbits
; Kernel info:
; codeLenInByte = 21572
; NumSgprs: 57
; NumVgprs: 80
; NumAgprs: 0
; TotalNumVgprs: 80
; ScratchSize: 352
; MemoryBound: 0
; FloatMode: 240
; IeeeMode: 1
; LDSByteSize: 8192 bytes/workgroup (compile time only)
; SGPRBlocks: 7
; VGPRBlocks: 9
; NumSGPRsForWavesPerEU: 57
; NumVGPRsForWavesPerEU: 80
; AccumOffset: 80
; Occupancy: 6
; WaveLimiterHint : 1
; COMPUTE_PGM_RSRC2:SCRATCH_EN: 1
; COMPUTE_PGM_RSRC2:USER_SGPR: 8
; COMPUTE_PGM_RSRC2:TRAP_HANDLER: 0
; COMPUTE_PGM_RSRC2:TGID_X_EN: 1
; COMPUTE_PGM_RSRC2:TGID_Y_EN: 1
; COMPUTE_PGM_RSRC2:TGID_Z_EN: 1
; COMPUTE_PGM_RSRC2:TIDIG_COMP_CNT: 0
; COMPUTE_PGM_RSRC3_GFX90A:ACCUM_OFFSET: 19
; COMPUTE_PGM_RSRC3_GFX90A:TG_SPLIT: 0
	.section	.text._Z39paged_attention_ll4mi_QKV_mfma16_kernelIDF16_hLN4vllm18Fp8KVCacheDataTypeE1EDF16_Li32ELi128ELi256ELb1ELi15EL8MFMAType0EEvPKT_PKT0_S8_ifPKiSA_SA_iPKfiiiPfSD_PS3_PT2_iSC_SC_,"axG",@progbits,_Z39paged_attention_ll4mi_QKV_mfma16_kernelIDF16_hLN4vllm18Fp8KVCacheDataTypeE1EDF16_Li32ELi128ELi256ELb1ELi15EL8MFMAType0EEvPKT_PKT0_S8_ifPKiSA_SA_iPKfiiiPfSD_PS3_PT2_iSC_SC_,comdat
	.protected	_Z39paged_attention_ll4mi_QKV_mfma16_kernelIDF16_hLN4vllm18Fp8KVCacheDataTypeE1EDF16_Li32ELi128ELi256ELb1ELi15EL8MFMAType0EEvPKT_PKT0_S8_ifPKiSA_SA_iPKfiiiPfSD_PS3_PT2_iSC_SC_ ; -- Begin function _Z39paged_attention_ll4mi_QKV_mfma16_kernelIDF16_hLN4vllm18Fp8KVCacheDataTypeE1EDF16_Li32ELi128ELi256ELb1ELi15EL8MFMAType0EEvPKT_PKT0_S8_ifPKiSA_SA_iPKfiiiPfSD_PS3_PT2_iSC_SC_
	.globl	_Z39paged_attention_ll4mi_QKV_mfma16_kernelIDF16_hLN4vllm18Fp8KVCacheDataTypeE1EDF16_Li32ELi128ELi256ELb1ELi15EL8MFMAType0EEvPKT_PKT0_S8_ifPKiSA_SA_iPKfiiiPfSD_PS3_PT2_iSC_SC_
	.p2align	8
	.type	_Z39paged_attention_ll4mi_QKV_mfma16_kernelIDF16_hLN4vllm18Fp8KVCacheDataTypeE1EDF16_Li32ELi128ELi256ELb1ELi15EL8MFMAType0EEvPKT_PKT0_S8_ifPKiSA_SA_iPKfiiiPfSD_PS3_PT2_iSC_SC_,@function
_Z39paged_attention_ll4mi_QKV_mfma16_kernelIDF16_hLN4vllm18Fp8KVCacheDataTypeE1EDF16_Li32ELi128ELi256ELb1ELi15EL8MFMAType0EEvPKT_PKT0_S8_ifPKiSA_SA_iPKfiiiPfSD_PS3_PT2_iSC_SC_: ; @_Z39paged_attention_ll4mi_QKV_mfma16_kernelIDF16_hLN4vllm18Fp8KVCacheDataTypeE1EDF16_Li32ELi128ELi256ELb1ELi15EL8MFMAType0EEvPKT_PKT0_S8_ifPKiSA_SA_iPKfiiiPfSD_PS3_PT2_iSC_SC_
; %bb.0:
	s_load_dwordx2 s[6:7], s[4:5], 0x30
	s_add_u32 s0, s0, s11
	s_addc_u32 s1, s1, 0
	s_mov_b32 s26, s9
	s_mov_b64 s[14:15], 0
	s_waitcnt lgkmcnt(0)
	s_cmp_lg_u64 s[6:7], 0
	s_cselect_b64 s[12:13], -1, 0
	s_and_b64 vcc, exec, s[12:13]
	s_cbranch_vccz .LBB652_7
; %bb.1:
	s_add_i32 s16, s8, 1
	s_mov_b32 s17, 0
	s_lshl_b64 s[18:19], s[16:17], 2
	s_add_u32 s18, s6, s18
	s_mov_b32 s9, s17
	s_addc_u32 s19, s7, s19
	s_lshl_b64 s[16:17], s[8:9], 2
	s_add_u32 s16, s6, s16
	s_addc_u32 s17, s7, s17
	s_load_dword s11, s[18:19], 0x0
	s_load_dword s20, s[16:17], 0x0
	s_waitcnt lgkmcnt(0)
	s_sub_i32 s11, s11, s20
	s_cmp_eq_u32 s11, 1
	s_cselect_b64 s[16:17], -1, 0
	s_andn2_b64 vcc, exec, s[14:15]
	s_cbranch_vccnz .LBB652_3
.LBB652_2:
	s_mov_b32 s9, 0
	s_mov_b64 s[16:17], -1
.LBB652_3:
	s_andn2_b64 vcc, exec, s[16:17]
	s_cbranch_vccnz .LBB652_600
; %bb.4:
	s_load_dwordx2 s[16:17], s[4:5], 0x28
	s_lshl_b64 s[14:15], s[8:9], 2
	s_waitcnt lgkmcnt(0)
	s_add_u32 s16, s16, s14
	s_addc_u32 s17, s17, s15
	s_load_dword s33, s[16:17], 0x0
	s_lshl_b32 s20, s26, 8
	s_waitcnt lgkmcnt(0)
	s_cmp_ge_i32 s20, s33
	s_cbranch_scc1 .LBB652_600
; %bb.5:
	s_add_i32 s18, s33, 31
	s_load_dwordx2 s[16:17], s[4:5], 0x20
	s_load_dword s11, s[4:5], 0x38
	s_ashr_i32 s19, s18, 31
	v_and_b32_e32 v1, 0xcf, v0
	s_lshr_b32 s19, s19, 27
	v_add_u32_e32 v1, s20, v1
	s_add_i32 s18, s18, s19
	v_ashrrev_i32_e32 v2, 31, v1
	s_ashr_i32 s23, s18, 5
	v_lshrrev_b32_e32 v4, 27, v2
	s_add_i32 s23, s23, -1
	v_add_u32_e32 v2, v1, v4
	s_waitcnt lgkmcnt(0)
	s_mul_i32 s18, s8, s11
	s_mov_b32 s19, 0
	v_ashrrev_i32_e32 v2, 5, v2
	v_mov_b32_e32 v5, s23
	v_cmp_gt_i32_e32 vcc, s33, v1
	s_lshl_b64 s[18:19], s[18:19], 2
	v_cndmask_b32_e32 v2, v5, v2, vcc
	s_add_u32 s21, s16, s18
	v_ashrrev_i32_e32 v3, 31, v2
	s_addc_u32 s22, s17, s19
	v_lshlrev_b64 v[2:3], 2, v[2:3]
	v_mov_b32_e32 v7, s22
	v_add_co_u32_e32 v6, vcc, s21, v2
	v_or_b32_e32 v2, 16, v1
	v_addc_co_u32_e32 v7, vcc, v7, v3, vcc
	v_add_u32_e32 v3, v2, v4
	v_ashrrev_i32_e32 v3, 5, v3
	v_cmp_gt_i32_e32 vcc, s33, v2
	v_cndmask_b32_e32 v2, v5, v3, vcc
	v_ashrrev_i32_e32 v3, 31, v2
	v_lshlrev_b64 v[2:3], 2, v[2:3]
	v_mov_b32_e32 v9, s22
	v_add_co_u32_e32 v8, vcc, s21, v2
	v_or_b32_e32 v2, 32, v1
	v_addc_co_u32_e32 v9, vcc, v9, v3, vcc
	v_add_u32_e32 v3, v2, v4
	v_ashrrev_i32_e32 v3, 5, v3
	v_cmp_gt_i32_e32 vcc, s33, v2
	v_cndmask_b32_e32 v2, v5, v3, vcc
	v_ashrrev_i32_e32 v3, 31, v2
	;; [unrolled: 10-line block ×3, first 2 shown]
	v_lshlrev_b64 v[2:3], 2, v[2:3]
	v_mov_b32_e32 v1, s22
	v_add_co_u32_e32 v12, vcc, s21, v2
	v_addc_co_u32_e32 v13, vcc, v1, v3, vcc
	global_load_dword v5, v[6:7], off
	global_load_dword v4, v[8:9], off
	;; [unrolled: 1-line block ×4, first 2 shown]
	s_load_dwordx2 s[16:17], s[4:5], 0x8
	s_andn2_b64 vcc, exec, s[12:13]
	s_cbranch_vccnz .LBB652_8
; %bb.6:
	s_add_u32 s6, s6, s14
	s_addc_u32 s7, s7, s15
	s_load_dword s11, s[6:7], 0x0
	s_branch .LBB652_9
.LBB652_7:
	s_mov_b64 s[16:17], 0
	s_branch .LBB652_2
.LBB652_8:
	s_mov_b32 s11, s8
.LBB652_9:
	s_load_dwordx2 s[6:7], s[4:5], 0x10
	s_load_dwordx4 s[12:15], s[4:5], 0x48
	v_lshrrev_b32_e32 v27, 6, v0
	v_bfe_u32 v1, v0, 4, 2
	v_and_b32_e32 v41, 15, v0
	v_lshl_or_b32 v6, v27, 2, v1
	v_lshlrev_b32_e32 v7, 3, v41
	s_mul_i32 s27, s10, 15
	v_cmp_gt_u32_e32 vcc, 15, v6
	v_lshlrev_b32_e32 v39, 1, v7
	v_lshlrev_b32_e32 v43, 4, v0
	s_and_saveexec_b64 s[18:19], vcc
	s_cbranch_execz .LBB652_11
; %bb.10:
	s_load_dwordx2 s[24:25], s[4:5], 0x0
	s_waitcnt lgkmcnt(0)
	s_ashr_i32 s15, s12, 31
	s_mul_hi_u32 s28, s11, s12
	s_mul_i32 s15, s11, s15
	s_add_i32 s29, s28, s15
	s_mul_i32 s28, s11, s12
	s_lshl_b64 s[28:29], s[28:29], 1
	v_add_lshl_u32 v8, v6, s27, 7
	s_add_u32 s11, s24, s28
	v_ashrrev_i32_e32 v9, 31, v8
	s_addc_u32 s12, s25, s29
	v_lshlrev_b64 v[8:9], 1, v[8:9]
	v_mov_b32_e32 v7, s12
	v_add_co_u32_e32 v8, vcc, s11, v8
	v_addc_co_u32_e32 v7, vcc, v7, v9, vcc
	v_add_co_u32_e32 v8, vcc, v8, v39
	v_addc_co_u32_e32 v9, vcc, 0, v7, vcc
	global_load_dwordx4 v[8:11], v[8:9], off
	v_lshlrev_b32_e32 v12, 8, v0
	v_lshlrev_b32_e32 v7, 8, v41
	v_and_b32_e32 v12, 0x600, v12
	s_movk_i32 s11, 0x800
	v_and_or_b32 v7, v7, s11, v12
	v_lshlrev_b32_e32 v6, 5, v6
	v_and_b32_e32 v12, 16, v43
	v_or3_b32 v6, v7, v6, v12
	s_waitcnt vmcnt(0)
	ds_write_b128 v6, v[8:11]
.LBB652_11:
	s_or_b64 exec, exec, s[18:19]
	s_waitcnt lgkmcnt(0)
	s_mul_i32 s14, s10, s14
	s_add_u32 s10, s16, s14
	s_addc_u32 s11, s17, 0
	v_pk_mov_b32 v[6:7], s[10:11], s[10:11] op_sel:[0,1]
	s_waitcnt vmcnt(3)
	v_mad_i64_i32 v[8:9], s[10:11], v5, s13, v[6:7]
	v_lshlrev_b32_e32 v11, 4, v41
	v_and_b32_e32 v18, 48, v0
	v_add_co_u32_e32 v5, vcc, v8, v11
	v_lshlrev_b32_e32 v10, 5, v18
	v_addc_co_u32_e32 v9, vcc, 0, v9, vcc
	v_add_co_u32_e32 v8, vcc, v5, v10
	v_addc_co_u32_e32 v9, vcc, 0, v9, vcc
	s_load_dwordx2 s[48:49], s[4:5], 0x94
	s_waitcnt lgkmcnt(0)
	s_barrier
	global_load_dwordx4 v[20:23], v[8:9], off
	global_load_dwordx4 v[28:31], v[8:9], off offset:2048
	s_waitcnt vmcnt(4)
	v_mad_i64_i32 v[4:5], s[10:11], v4, s13, v[6:7]
	v_or_b32_e32 v8, 0x100, v11
	v_add_co_u32_e32 v4, vcc, v4, v8
	v_addc_co_u32_e32 v5, vcc, 0, v5, vcc
	v_add_co_u32_e32 v4, vcc, v4, v10
	v_addc_co_u32_e32 v5, vcc, 0, v5, vcc
	global_load_dwordx4 v[32:35], v[4:5], off
	global_load_dwordx4 v[44:47], v[4:5], off offset:2048
	s_waitcnt vmcnt(5)
	v_mad_i64_i32 v[4:5], s[10:11], v3, s13, v[6:7]
	v_add_co_u32_e32 v3, vcc, v4, v11
	v_addc_co_u32_e32 v5, vcc, 0, v5, vcc
	v_add_co_u32_e32 v4, vcc, v3, v10
	v_addc_co_u32_e32 v5, vcc, 0, v5, vcc
	s_waitcnt vmcnt(4)
	v_mad_i64_i32 v[2:3], s[10:11], v2, s13, v[6:7]
	v_add_co_u32_e32 v2, vcc, v2, v8
	v_addc_co_u32_e32 v3, vcc, 0, v3, vcc
	v_add_co_u32_e32 v2, vcc, v2, v10
	v_addc_co_u32_e32 v3, vcc, 0, v3, vcc
	global_load_dwordx4 v[48:51], v[4:5], off
	global_load_dwordx4 v[52:55], v[4:5], off offset:2048
	global_load_dwordx4 v[56:59], v[2:3], off
	global_load_dwordx4 v[60:63], v[2:3], off offset:2048
	v_cmp_ne_u32_e32 vcc, 15, v41
	v_cndmask_b32_e32 v2, 0, v41, vcc
	v_lshlrev_b32_e32 v2, 5, v2
	v_lshl_or_b32 v14, v1, 9, v2
	s_load_dwordx2 s[50:51], s[4:5], 0x68
	s_load_dwordx4 s[44:47], s[4:5], 0x58
	ds_read_b128 v[2:5], v14
	ds_read_b128 v[6:9], v14 offset:16
	ds_read_b128 v[10:13], v14 offset:2048
	ds_read_b128 v[14:17], v14 offset:2064
	s_mov_b32 s12, 0
	s_waitcnt vmcnt(7)
	buffer_store_dword v23, off, s[0:3], 0 offset:12
	buffer_store_dword v22, off, s[0:3], 0 offset:8
	;; [unrolled: 1-line block ×3, first 2 shown]
	buffer_store_dword v20, off, s[0:3], 0
	s_waitcnt vmcnt(10)
	buffer_store_dword v31, off, s[0:3], 0 offset:28
	buffer_store_dword v30, off, s[0:3], 0 offset:24
	buffer_store_dword v29, off, s[0:3], 0 offset:20
	buffer_store_dword v28, off, s[0:3], 0 offset:16
	s_waitcnt vmcnt(13)
	buffer_store_dword v35, off, s[0:3], 0 offset:44
	buffer_store_dword v34, off, s[0:3], 0 offset:40
	buffer_store_dword v33, off, s[0:3], 0 offset:36
	buffer_store_dword v32, off, s[0:3], 0 offset:32
	;; [unrolled: 5-line block ×7, first 2 shown]
	v_mov_b32_e32 v35, 0
	v_mov_b32_e32 v31, 0
	s_and_saveexec_b64 s[10:11], vcc
	s_cbranch_execz .LBB652_13
; %bb.12:
	s_load_dwordx2 s[16:17], s[4:5], 0x40
	v_add_u32_e32 v20, s27, v41
	v_ashrrev_i32_e32 v21, 31, v20
	v_lshlrev_b64 v[20:21], 2, v[20:21]
	s_waitcnt lgkmcnt(0)
	v_mov_b32_e32 v19, s17
	v_add_co_u32_e32 v20, vcc, s16, v20
	v_addc_co_u32_e32 v21, vcc, v19, v21, vcc
	global_load_dword v31, v[20:21], off
.LBB652_13:
	s_or_b64 exec, exec, s[10:11]
	s_ashr_i32 s10, s20, 31
	v_or_b32_e32 v24, s20, v18
	s_lshr_b32 s10, s10, 27
	v_add_u32_e32 v18, s10, v24
	v_ashrrev_i32_e32 v18, 5, v18
	v_mov_b32_e32 v25, s23
	v_cmp_gt_i32_e32 vcc, s33, v24
	v_cndmask_b32_e32 v18, v25, v18, vcc
	v_ashrrev_i32_e32 v19, 31, v18
	v_lshlrev_b64 v[18:19], 2, v[18:19]
	v_mov_b32_e32 v20, s22
	v_add_co_u32_e32 v18, vcc, s21, v18
	v_addc_co_u32_e32 v19, vcc, v20, v19, vcc
	v_or_b32_e32 v20, 64, v24
	v_add_u32_e32 v21, s10, v20
	v_ashrrev_i32_e32 v21, 5, v21
	v_cmp_gt_i32_e32 vcc, s33, v20
	v_cndmask_b32_e32 v20, v25, v21, vcc
	v_ashrrev_i32_e32 v21, 31, v20
	v_lshlrev_b64 v[20:21], 2, v[20:21]
	v_mov_b32_e32 v22, s22
	v_add_co_u32_e32 v20, vcc, s21, v20
	v_addc_co_u32_e32 v21, vcc, v22, v21, vcc
	v_or_b32_e32 v22, 0x80, v24
	v_add_u32_e32 v23, s10, v22
	v_ashrrev_i32_e32 v23, 5, v23
	v_cmp_gt_i32_e32 vcc, s33, v22
	v_cndmask_b32_e32 v22, v25, v23, vcc
	v_ashrrev_i32_e32 v23, 31, v22
	v_lshlrev_b64 v[22:23], 2, v[22:23]
	v_mov_b32_e32 v26, s22
	v_add_co_u32_e32 v22, vcc, s21, v22
	v_addc_co_u32_e32 v23, vcc, v26, v23, vcc
	global_load_dword v26, v[18:19], off
	global_load_dword v28, v[20:21], off
	;; [unrolled: 1-line block ×3, first 2 shown]
	v_or_b32_e32 v18, 0xc0, v24
	v_add_u32_e32 v19, s10, v18
	v_ashrrev_i32_e32 v19, 5, v19
	v_cmp_gt_i32_e32 vcc, s33, v18
	v_cndmask_b32_e32 v18, v25, v19, vcc
	v_ashrrev_i32_e32 v19, 31, v18
	v_lshlrev_b64 v[18:19], 2, v[18:19]
	v_mov_b32_e32 v20, s22
	v_add_co_u32_e32 v18, vcc, s21, v18
	v_addc_co_u32_e32 v19, vcc, v20, v19, vcc
	global_load_dword v32, v[18:19], off
	s_add_u32 s6, s6, s14
	v_and_b32_e32 v18, 16, v0
	s_addc_u32 s7, s7, 0
	v_lshl_or_b32 v29, v27, 4, v41
	v_mov_b32_e32 v20, s7
	v_add_co_u32_e32 v34, vcc, s6, v18
	v_lshlrev_b32_e32 v19, 5, v29
	v_addc_co_u32_e32 v36, vcc, 0, v20, vcc
	v_add_co_u32_e32 v22, vcc, v34, v19
	v_addc_co_u32_e32 v23, vcc, 0, v36, vcc
	v_or_b32_e32 v33, 0x800, v19
	s_movk_i32 s14, 0x7f
	s_mov_b32 s15, 0xffffff
	v_mov_b32_e32 v37, 0x100
	v_bfrev_b32_e32 v38, 60
	s_waitcnt vmcnt(3)
	v_mad_i64_i32 v[18:19], s[6:7], v26, s13, v[22:23]
	s_waitcnt vmcnt(2)
	v_mad_i64_i32 v[24:25], s[6:7], v28, s13, v[22:23]
	global_load_dwordx4 v[18:21], v[18:19], off
	s_nop 0
	global_load_dwordx4 v[52:55], v[24:25], off
	s_waitcnt vmcnt(3)
	v_mad_i64_i32 v[24:25], s[6:7], v30, s13, v[22:23]
	s_waitcnt vmcnt(2)
	v_mad_i64_i32 v[22:23], s[6:7], v32, s13, v[22:23]
	global_load_dwordx4 v[56:59], v[24:25], off
	global_load_dwordx4 v[60:63], v[22:23], off
	v_add_co_u32_e32 v22, vcc, v34, v33
	v_addc_co_u32_e32 v23, vcc, 0, v36, vcc
	v_mad_i64_i32 v[24:25], s[6:7], v26, s13, v[22:23]
	global_load_dwordx4 v[64:67], v[24:25], off
	v_mad_i64_i32 v[24:25], s[6:7], v28, s13, v[22:23]
	global_load_dwordx4 v[68:71], v[24:25], off
	;; [unrolled: 2-line block ×4, first 2 shown]
	s_load_dword s6, s[4:5], 0x1c
	s_load_dwordx4 s[40:43], s[4:5], 0x80
	v_mov_b32_e32 v22, 0x80
	v_add_u32_e32 v45, 16, v22
	v_add_u32_e32 v46, 32, v22
	;; [unrolled: 1-line block ×3, first 2 shown]
	s_waitcnt lgkmcnt(0)
	s_load_dword s4, s[40:41], 0x0
	v_add_u32_e32 v51, 64, v22
	v_add_u32_e32 v48, 0x50, v22
	;; [unrolled: 1-line block ×4, first 2 shown]
	v_mov_b32_e32 v22, s6
	s_waitcnt lgkmcnt(0)
	v_mul_f32_e32 v22, s4, v22
	v_and_b32_e32 v33, 63, v0
	s_movk_i32 s13, 0x80
	v_mov_b32_e32 v36, 0
	v_mov_b32_e32 v24, v22
	;; [unrolled: 1-line block ×3, first 2 shown]
	s_waitcnt vmcnt(7)
	buffer_store_dword v21, off, s[0:3], 0 offset:140
	buffer_store_dword v20, off, s[0:3], 0 offset:136
	buffer_store_dword v19, off, s[0:3], 0 offset:132
	buffer_store_dword v18, off, s[0:3], 0 offset:128
	s_waitcnt vmcnt(10)
	buffer_store_dword v55, off, s[0:3], 0 offset:172
	buffer_store_dword v54, off, s[0:3], 0 offset:168
	buffer_store_dword v53, off, s[0:3], 0 offset:164
	buffer_store_dword v52, off, s[0:3], 0 offset:160
	s_waitcnt vmcnt(13)
	buffer_store_dword v59, off, s[0:3], 0 offset:204
	buffer_store_dword v58, off, s[0:3], 0 offset:200
	buffer_store_dword v57, off, s[0:3], 0 offset:196
	buffer_store_dword v56, off, s[0:3], 0 offset:192
	s_waitcnt vmcnt(16)
	buffer_store_dword v63, off, s[0:3], 0 offset:236
	buffer_store_dword v62, off, s[0:3], 0 offset:232
	buffer_store_dword v61, off, s[0:3], 0 offset:228
	buffer_store_dword v60, off, s[0:3], 0 offset:224
	s_waitcnt vmcnt(19)
	buffer_store_dword v67, off, s[0:3], 0 offset:156
	buffer_store_dword v66, off, s[0:3], 0 offset:152
	buffer_store_dword v65, off, s[0:3], 0 offset:148
	buffer_store_dword v64, off, s[0:3], 0 offset:144
	s_waitcnt vmcnt(22)
	buffer_store_dword v71, off, s[0:3], 0 offset:188
	buffer_store_dword v70, off, s[0:3], 0 offset:184
	buffer_store_dword v69, off, s[0:3], 0 offset:180
	buffer_store_dword v68, off, s[0:3], 0 offset:176
	s_waitcnt vmcnt(25)
	buffer_store_dword v75, off, s[0:3], 0 offset:220
	buffer_store_dword v74, off, s[0:3], 0 offset:216
	buffer_store_dword v73, off, s[0:3], 0 offset:212
	buffer_store_dword v72, off, s[0:3], 0 offset:208
	s_waitcnt vmcnt(28)
	buffer_store_dword v79, off, s[0:3], 0 offset:252
	buffer_store_dword v78, off, s[0:3], 0 offset:248
	buffer_store_dword v77, off, s[0:3], 0 offset:244
	buffer_store_dword v76, off, s[0:3], 0 offset:240
	s_branch .LBB652_17
.LBB652_14:                             ;   in Loop: Header=BB652_17 Depth=1
	s_or_b64 exec, exec, s[10:11]
.LBB652_15:                             ;   in Loop: Header=BB652_17 Depth=1
	s_or_b64 exec, exec, s[6:7]
.LBB652_16:                             ;   in Loop: Header=BB652_17 Depth=1
	s_or_b64 exec, exec, s[4:5]
	v_cvt_pkrtz_f16_f32 v54, v34, v32
	v_cvt_pkrtz_f16_f32 v55, v23, v42
	v_add_u32_e32 v26, s12, v37
	s_add_i32 s12, s12, 16
	v_mov_b32_e32 v23, v22
	v_mfma_f32_16x16x16f16 v[18:21], v[54:55], v[14:15], v[18:21]
	v_cvt_pkrtz_f16_f32 v54, v40, v44
	v_cvt_pkrtz_f16_f32 v55, v30, v52
	s_cmp_eq_u32 s12, 64
	v_add_u32_e32 v36, 32, v36
	v_mfma_f32_16x16x16f16 v[18:21], v[54:55], v[16:17], v[18:21]
	s_nop 7
	s_nop 2
	v_pk_mul_f32 v[18:19], v[24:25], v[18:19]
	v_pk_mul_f32 v[20:21], v[22:23], v[20:21]
	buffer_store_dword v19, v26, s[0:3], 0 offen offset:4
	buffer_store_dword v18, v26, s[0:3], 0 offen
	buffer_store_dword v21, v26, s[0:3], 0 offen offset:12
	buffer_store_dword v20, v26, s[0:3], 0 offen offset:8
	s_cbranch_scc1 .LBB652_207
.LBB652_17:                             ; =>This Inner Loop Header: Depth=1
	buffer_load_dword v20, v36, s[0:3], 0 offen
	buffer_load_dword v18, v36, s[0:3], 0 offen offset:4
	buffer_load_dword v28, v36, s[0:3], 0 offen offset:8
	;; [unrolled: 1-line block ×3, first 2 shown]
	v_mov_b32_e32 v19, 0
	v_mov_b32_e32 v21, 0
	s_waitcnt vmcnt(3)
	v_cmp_ne_u16_sdwa s[6:7], v20, v35 src0_sel:BYTE_0 src1_sel:DWORD
	s_and_saveexec_b64 s[4:5], s[6:7]
	s_cbranch_execz .LBB652_23
; %bb.18:                               ;   in Loop: Header=BB652_17 Depth=1
	v_cmp_ne_u16_sdwa s[10:11], v20, s13 src0_sel:BYTE_0 src1_sel:DWORD
	v_bfrev_b32_e32 v21, 1
	s_and_saveexec_b64 s[6:7], s[10:11]
	s_cbranch_execz .LBB652_22
; %bb.19:                               ;   in Loop: Header=BB652_17 Depth=1
	v_and_b32_e32 v23, 0x7f, v20
	v_cmp_ne_u32_e32 vcc, s14, v23
	v_mov_b32_e32 v21, 0x7f800001
	s_and_saveexec_b64 s[10:11], vcc
	s_cbranch_execz .LBB652_21
; %bb.20:                               ;   in Loop: Header=BB652_17 Depth=1
	v_and_b32_e32 v21, 7, v20
	v_ffbh_u32_e32 v32, v21
	v_min_u32_e32 v32, 32, v32
	v_subrev_u32_e32 v34, 28, v32
	v_lshlrev_b64 v[52:53], v34, v[20:21]
	v_lshrrev_b32_e32 v30, 3, v23
	v_sub_u32_e32 v32, 29, v32
	v_and_b32_e32 v34, 7, v52
	v_cmp_gt_u32_e32 vcc, 8, v23
	v_cndmask_b32_e32 v23, v30, v32, vcc
	v_cndmask_b32_e32 v21, v21, v34, vcc
	v_lshlrev_b32_e32 v30, 24, v20
	v_lshlrev_b32_e32 v21, 20, v21
	v_and_b32_e32 v30, 0x80000000, v30
	v_lshl_add_u32 v23, v23, 23, v38
	v_or3_b32 v21, v30, v23, v21
.LBB652_21:                             ;   in Loop: Header=BB652_17 Depth=1
	s_or_b64 exec, exec, s[10:11]
.LBB652_22:                             ;   in Loop: Header=BB652_17 Depth=1
	s_or_b64 exec, exec, s[6:7]
.LBB652_23:                             ;   in Loop: Header=BB652_17 Depth=1
	s_or_b64 exec, exec, s[4:5]
	v_lshrrev_b16_e32 v30, 8, v20
	v_cmp_ne_u16_e32 vcc, 0, v30
	s_and_saveexec_b64 s[4:5], vcc
	s_cbranch_execz .LBB652_29
; %bb.24:                               ;   in Loop: Header=BB652_17 Depth=1
	v_cmp_ne_u16_e32 vcc, s13, v30
	v_bfrev_b32_e32 v19, 1
	s_and_saveexec_b64 s[6:7], vcc
	s_cbranch_execz .LBB652_28
; %bb.25:                               ;   in Loop: Header=BB652_17 Depth=1
	v_and_b32_e32 v23, 0x7f, v30
	v_cmp_ne_u32_e32 vcc, s14, v23
	v_mov_b32_e32 v19, 0x7f800001
	s_and_saveexec_b64 s[10:11], vcc
	s_cbranch_execz .LBB652_27
; %bb.26:                               ;   in Loop: Header=BB652_17 Depth=1
	v_and_b32_e32 v19, 7, v30
	v_ffbh_u32_e32 v34, v19
	v_min_u32_e32 v34, 32, v34
	v_subrev_u32_e32 v40, 28, v34
	v_lshlrev_b64 v[52:53], v40, v[30:31]
	v_lshrrev_b32_e32 v32, 3, v23
	v_sub_u32_e32 v30, 29, v34
	v_and_b32_e32 v34, 7, v52
	v_cmp_gt_u32_e32 vcc, 8, v23
	v_cndmask_b32_e32 v23, v32, v30, vcc
	v_cndmask_b32_e32 v19, v19, v34, vcc
	v_lshlrev_b32_e32 v30, 16, v20
	v_lshlrev_b32_e32 v19, 20, v19
	v_and_b32_e32 v30, 0x80000000, v30
	v_lshl_add_u32 v23, v23, 23, v38
	v_or3_b32 v19, v30, v23, v19
.LBB652_27:                             ;   in Loop: Header=BB652_17 Depth=1
	s_or_b64 exec, exec, s[10:11]
.LBB652_28:                             ;   in Loop: Header=BB652_17 Depth=1
	s_or_b64 exec, exec, s[6:7]
.LBB652_29:                             ;   in Loop: Header=BB652_17 Depth=1
	s_or_b64 exec, exec, s[4:5]
	v_lshrrev_b32_e32 v30, 16, v20
	v_cmp_ne_u16_sdwa s[6:7], v30, v35 src0_sel:BYTE_0 src1_sel:DWORD
	v_mov_b32_e32 v32, 0
	v_mov_b32_e32 v23, 0
	s_and_saveexec_b64 s[4:5], s[6:7]
	s_cbranch_execz .LBB652_35
; %bb.30:                               ;   in Loop: Header=BB652_17 Depth=1
	v_cmp_ne_u16_sdwa s[10:11], v30, s13 src0_sel:BYTE_0 src1_sel:DWORD
	v_bfrev_b32_e32 v23, 1
	s_and_saveexec_b64 s[6:7], s[10:11]
	s_cbranch_execz .LBB652_34
; %bb.31:                               ;   in Loop: Header=BB652_17 Depth=1
	v_bfe_u32 v34, v20, 16, 7
	v_cmp_ne_u32_e32 vcc, s14, v34
	v_mov_b32_e32 v23, 0x7f800001
	s_and_saveexec_b64 s[10:11], vcc
	s_cbranch_execz .LBB652_33
; %bb.32:                               ;   in Loop: Header=BB652_17 Depth=1
	v_and_b32_e32 v23, 7, v30
	v_ffbh_u32_e32 v42, v23
	v_min_u32_e32 v42, 32, v42
	v_subrev_u32_e32 v44, 28, v42
	v_lshlrev_b64 v[52:53], v44, v[30:31]
	v_lshrrev_b32_e32 v40, 3, v34
	v_sub_u32_e32 v42, 29, v42
	v_and_b32_e32 v44, 7, v52
	v_cmp_gt_u32_e32 vcc, 8, v34
	v_cndmask_b32_e32 v34, v40, v42, vcc
	v_cndmask_b32_e32 v23, v23, v44, vcc
	v_lshlrev_b32_e32 v30, 24, v30
	v_lshlrev_b32_e32 v23, 20, v23
	v_and_b32_e32 v30, 0x80000000, v30
	v_lshl_add_u32 v34, v34, 23, v38
	v_or3_b32 v23, v30, v34, v23
.LBB652_33:                             ;   in Loop: Header=BB652_17 Depth=1
	s_or_b64 exec, exec, s[10:11]
.LBB652_34:                             ;   in Loop: Header=BB652_17 Depth=1
	s_or_b64 exec, exec, s[6:7]
.LBB652_35:                             ;   in Loop: Header=BB652_17 Depth=1
	s_or_b64 exec, exec, s[4:5]
	v_cmp_lt_u32_e32 vcc, s15, v20
	s_and_saveexec_b64 s[4:5], vcc
	s_cbranch_execz .LBB652_41
; %bb.36:                               ;   in Loop: Header=BB652_17 Depth=1
	v_lshrrev_b32_e32 v30, 24, v20
	v_cmp_ne_u32_e32 vcc, s13, v30
	v_bfrev_b32_e32 v32, 1
	s_and_saveexec_b64 s[6:7], vcc
	s_cbranch_execz .LBB652_40
; %bb.37:                               ;   in Loop: Header=BB652_17 Depth=1
	v_bfe_u32 v20, v20, 24, 7
	v_cmp_ne_u32_e32 vcc, s14, v20
	v_mov_b32_e32 v32, 0x7f800001
	s_and_saveexec_b64 s[10:11], vcc
	s_cbranch_execz .LBB652_39
; %bb.38:                               ;   in Loop: Header=BB652_17 Depth=1
	v_and_b32_e32 v32, 7, v30
	v_ffbh_u32_e32 v40, v32
	v_min_u32_e32 v40, 32, v40
	v_subrev_u32_e32 v42, 28, v40
	v_lshlrev_b64 v[52:53], v42, v[30:31]
	v_lshrrev_b32_e32 v34, 3, v20
	v_sub_u32_e32 v40, 29, v40
	v_and_b32_e32 v42, 7, v52
	v_cmp_gt_u32_e32 vcc, 8, v20
	v_cndmask_b32_e32 v20, v34, v40, vcc
	v_cndmask_b32_e32 v32, v32, v42, vcc
	v_lshlrev_b32_e32 v30, 24, v30
	v_lshlrev_b32_e32 v32, 20, v32
	v_and_b32_e32 v30, 0x80000000, v30
	v_lshl_add_u32 v20, v20, 23, v38
	v_or3_b32 v32, v30, v20, v32
.LBB652_39:                             ;   in Loop: Header=BB652_17 Depth=1
	s_or_b64 exec, exec, s[10:11]
.LBB652_40:                             ;   in Loop: Header=BB652_17 Depth=1
	s_or_b64 exec, exec, s[6:7]
.LBB652_41:                             ;   in Loop: Header=BB652_17 Depth=1
	s_or_b64 exec, exec, s[4:5]
	s_waitcnt vmcnt(2)
	v_cmp_ne_u16_sdwa s[6:7], v18, v35 src0_sel:BYTE_0 src1_sel:DWORD
	v_mov_b32_e32 v30, 0
	v_mov_b32_e32 v34, 0
	s_and_saveexec_b64 s[4:5], s[6:7]
	s_cbranch_execz .LBB652_47
; %bb.42:                               ;   in Loop: Header=BB652_17 Depth=1
	v_cmp_ne_u16_sdwa s[10:11], v18, s13 src0_sel:BYTE_0 src1_sel:DWORD
	v_bfrev_b32_e32 v34, 1
	s_and_saveexec_b64 s[6:7], s[10:11]
	s_cbranch_execz .LBB652_46
; %bb.43:                               ;   in Loop: Header=BB652_17 Depth=1
	v_and_b32_e32 v20, 0x7f, v18
	v_cmp_ne_u32_e32 vcc, s14, v20
	v_mov_b32_e32 v34, 0x7f800001
	s_and_saveexec_b64 s[10:11], vcc
	s_cbranch_execz .LBB652_45
; %bb.44:                               ;   in Loop: Header=BB652_17 Depth=1
	v_and_b32_e32 v34, 7, v18
	v_ffbh_u32_e32 v42, v34
	v_min_u32_e32 v42, 32, v42
	v_subrev_u32_e32 v44, 28, v42
	v_lshlrev_b64 v[52:53], v44, v[18:19]
	v_lshrrev_b32_e32 v40, 3, v20
	v_sub_u32_e32 v42, 29, v42
	v_and_b32_e32 v44, 7, v52
	v_cmp_gt_u32_e32 vcc, 8, v20
	v_cndmask_b32_e32 v20, v40, v42, vcc
	v_cndmask_b32_e32 v34, v34, v44, vcc
	v_lshlrev_b32_e32 v40, 24, v18
	v_lshlrev_b32_e32 v34, 20, v34
	v_and_b32_e32 v40, 0x80000000, v40
	v_lshl_add_u32 v20, v20, 23, v38
	v_or3_b32 v34, v40, v20, v34
.LBB652_45:                             ;   in Loop: Header=BB652_17 Depth=1
	s_or_b64 exec, exec, s[10:11]
.LBB652_46:                             ;   in Loop: Header=BB652_17 Depth=1
	s_or_b64 exec, exec, s[6:7]
.LBB652_47:                             ;   in Loop: Header=BB652_17 Depth=1
	s_or_b64 exec, exec, s[4:5]
	v_lshrrev_b16_e32 v20, 8, v18
	v_cmp_ne_u16_e32 vcc, 0, v20
	s_and_saveexec_b64 s[4:5], vcc
	s_cbranch_execz .LBB652_53
; %bb.48:                               ;   in Loop: Header=BB652_17 Depth=1
	v_cmp_ne_u16_e32 vcc, s13, v20
	v_bfrev_b32_e32 v30, 1
	s_and_saveexec_b64 s[6:7], vcc
	s_cbranch_execz .LBB652_52
; %bb.49:                               ;   in Loop: Header=BB652_17 Depth=1
	v_and_b32_e32 v40, 0x7f, v20
	v_cmp_ne_u32_e32 vcc, s14, v40
	v_mov_b32_e32 v30, 0x7f800001
	s_and_saveexec_b64 s[10:11], vcc
	s_cbranch_execz .LBB652_51
; %bb.50:                               ;   in Loop: Header=BB652_17 Depth=1
	v_and_b32_e32 v30, 7, v20
	v_ffbh_u32_e32 v44, v30
	v_min_u32_e32 v44, 32, v44
	v_subrev_u32_e32 v52, 28, v44
	v_lshlrev_b64 v[52:53], v52, v[20:21]
	v_lshrrev_b32_e32 v42, 3, v40
	v_sub_u32_e32 v20, 29, v44
	v_and_b32_e32 v44, 7, v52
	v_cmp_gt_u32_e32 vcc, 8, v40
	v_cndmask_b32_e32 v20, v42, v20, vcc
	v_cndmask_b32_e32 v30, v30, v44, vcc
	v_lshlrev_b32_e32 v40, 16, v18
	v_lshlrev_b32_e32 v30, 20, v30
	v_and_b32_e32 v40, 0x80000000, v40
	v_lshl_add_u32 v20, v20, 23, v38
	v_or3_b32 v30, v40, v20, v30
.LBB652_51:                             ;   in Loop: Header=BB652_17 Depth=1
	s_or_b64 exec, exec, s[10:11]
.LBB652_52:                             ;   in Loop: Header=BB652_17 Depth=1
	s_or_b64 exec, exec, s[6:7]
.LBB652_53:                             ;   in Loop: Header=BB652_17 Depth=1
	s_or_b64 exec, exec, s[4:5]
	v_lshrrev_b32_e32 v20, 16, v18
	v_cmp_ne_u16_sdwa s[6:7], v20, v35 src0_sel:BYTE_0 src1_sel:DWORD
	v_mov_b32_e32 v42, 0
	v_mov_b32_e32 v40, 0
	s_and_saveexec_b64 s[4:5], s[6:7]
	s_cbranch_execz .LBB652_59
; %bb.54:                               ;   in Loop: Header=BB652_17 Depth=1
	v_cmp_ne_u16_sdwa s[10:11], v20, s13 src0_sel:BYTE_0 src1_sel:DWORD
	v_bfrev_b32_e32 v40, 1
	s_and_saveexec_b64 s[6:7], s[10:11]
	s_cbranch_execz .LBB652_58
; %bb.55:                               ;   in Loop: Header=BB652_17 Depth=1
	v_bfe_u32 v44, v18, 16, 7
	v_cmp_ne_u32_e32 vcc, s14, v44
	v_mov_b32_e32 v40, 0x7f800001
	s_and_saveexec_b64 s[10:11], vcc
	s_cbranch_execz .LBB652_57
; %bb.56:                               ;   in Loop: Header=BB652_17 Depth=1
	v_and_b32_e32 v40, 7, v20
	v_ffbh_u32_e32 v52, v40
	v_min_u32_e32 v55, 32, v52
	v_subrev_u32_e32 v52, 28, v55
	v_lshlrev_b64 v[52:53], v52, v[20:21]
	v_lshrrev_b32_e32 v54, 3, v44
	v_sub_u32_e32 v53, 29, v55
	v_and_b32_e32 v52, 7, v52
	v_cmp_gt_u32_e32 vcc, 8, v44
	v_cndmask_b32_e32 v44, v54, v53, vcc
	v_cndmask_b32_e32 v40, v40, v52, vcc
	v_lshlrev_b32_e32 v20, 24, v20
	v_lshlrev_b32_e32 v40, 20, v40
	v_and_b32_e32 v20, 0x80000000, v20
	v_lshl_add_u32 v44, v44, 23, v38
	v_or3_b32 v40, v20, v44, v40
.LBB652_57:                             ;   in Loop: Header=BB652_17 Depth=1
	s_or_b64 exec, exec, s[10:11]
.LBB652_58:                             ;   in Loop: Header=BB652_17 Depth=1
	s_or_b64 exec, exec, s[6:7]
.LBB652_59:                             ;   in Loop: Header=BB652_17 Depth=1
	s_or_b64 exec, exec, s[4:5]
	v_cmp_lt_u32_e32 vcc, s15, v18
	s_and_saveexec_b64 s[4:5], vcc
	s_cbranch_execz .LBB652_65
; %bb.60:                               ;   in Loop: Header=BB652_17 Depth=1
	v_lshrrev_b32_e32 v20, 24, v18
	v_cmp_ne_u32_e32 vcc, s13, v20
	v_bfrev_b32_e32 v42, 1
	s_and_saveexec_b64 s[6:7], vcc
	s_cbranch_execz .LBB652_64
; %bb.61:                               ;   in Loop: Header=BB652_17 Depth=1
	v_bfe_u32 v18, v18, 24, 7
	v_cmp_ne_u32_e32 vcc, s14, v18
	v_mov_b32_e32 v42, 0x7f800001
	s_and_saveexec_b64 s[10:11], vcc
	s_cbranch_execz .LBB652_63
; %bb.62:                               ;   in Loop: Header=BB652_17 Depth=1
	v_and_b32_e32 v42, 7, v20
	v_ffbh_u32_e32 v52, v42
	v_min_u32_e32 v54, 32, v52
	v_subrev_u32_e32 v52, 28, v54
	v_lshlrev_b64 v[52:53], v52, v[20:21]
	v_lshrrev_b32_e32 v44, 3, v18
	v_sub_u32_e32 v53, 29, v54
	v_and_b32_e32 v52, 7, v52
	v_cmp_gt_u32_e32 vcc, 8, v18
	v_cndmask_b32_e32 v18, v44, v53, vcc
	v_cndmask_b32_e32 v42, v42, v52, vcc
	v_lshlrev_b32_e32 v20, 24, v20
	v_lshlrev_b32_e32 v42, 20, v42
	v_and_b32_e32 v20, 0x80000000, v20
	v_lshl_add_u32 v18, v18, 23, v38
	v_or3_b32 v42, v20, v18, v42
.LBB652_63:                             ;   in Loop: Header=BB652_17 Depth=1
	s_or_b64 exec, exec, s[10:11]
.LBB652_64:                             ;   in Loop: Header=BB652_17 Depth=1
	s_or_b64 exec, exec, s[6:7]
.LBB652_65:                             ;   in Loop: Header=BB652_17 Depth=1
	s_or_b64 exec, exec, s[4:5]
	v_cvt_pkrtz_f16_f32 v18, v21, v19
	v_cvt_pkrtz_f16_f32 v19, v23, v32
	;; [unrolled: 1-line block ×4, first 2 shown]
	v_mov_b32_e32 v32, 0
	v_mfma_f32_16x16x16f16 v[18:21], v[18:19], v[2:3], 0
	s_waitcnt vmcnt(1)
	v_cmp_ne_u16_sdwa s[6:7], v28, v35 src0_sel:BYTE_0 src1_sel:DWORD
	v_mov_b32_e32 v34, 0
	v_mfma_f32_16x16x16f16 v[18:21], v[52:53], v[4:5], v[18:21]
	s_and_saveexec_b64 s[4:5], s[6:7]
	s_cbranch_execz .LBB652_71
; %bb.66:                               ;   in Loop: Header=BB652_17 Depth=1
	v_cmp_ne_u16_sdwa s[10:11], v28, s13 src0_sel:BYTE_0 src1_sel:DWORD
	v_bfrev_b32_e32 v34, 1
	s_and_saveexec_b64 s[6:7], s[10:11]
	s_cbranch_execz .LBB652_70
; %bb.67:                               ;   in Loop: Header=BB652_17 Depth=1
	v_and_b32_e32 v23, 0x7f, v28
	v_cmp_ne_u32_e32 vcc, s14, v23
	v_mov_b32_e32 v34, 0x7f800001
	s_and_saveexec_b64 s[10:11], vcc
	s_cbranch_execz .LBB652_69
; %bb.68:                               ;   in Loop: Header=BB652_17 Depth=1
	v_and_b32_e32 v30, 7, v28
	v_ffbh_u32_e32 v40, v30
	v_min_u32_e32 v40, 32, v40
	v_subrev_u32_e32 v42, 28, v40
	v_lshlrev_b64 v[52:53], v42, v[28:29]
	v_lshrrev_b32_e32 v34, 3, v23
	v_sub_u32_e32 v40, 29, v40
	v_and_b32_e32 v42, 7, v52
	v_cmp_gt_u32_e32 vcc, 8, v23
	v_cndmask_b32_e32 v23, v34, v40, vcc
	v_cndmask_b32_e32 v30, v30, v42, vcc
	v_lshlrev_b32_e32 v34, 24, v28
	v_lshlrev_b32_e32 v30, 20, v30
	v_and_b32_e32 v34, 0x80000000, v34
	v_lshl_add_u32 v23, v23, 23, v38
	v_or3_b32 v34, v34, v23, v30
.LBB652_69:                             ;   in Loop: Header=BB652_17 Depth=1
	s_or_b64 exec, exec, s[10:11]
.LBB652_70:                             ;   in Loop: Header=BB652_17 Depth=1
	s_or_b64 exec, exec, s[6:7]
.LBB652_71:                             ;   in Loop: Header=BB652_17 Depth=1
	s_or_b64 exec, exec, s[4:5]
	v_lshrrev_b16_e32 v30, 8, v28
	v_cmp_ne_u16_e32 vcc, 0, v30
	v_mov_b32_e32 v40, 0
	s_and_saveexec_b64 s[4:5], vcc
	s_cbranch_execz .LBB652_77
; %bb.72:                               ;   in Loop: Header=BB652_17 Depth=1
	v_cmp_ne_u16_e32 vcc, s13, v30
	v_bfrev_b32_e32 v40, 1
	s_and_saveexec_b64 s[6:7], vcc
	s_cbranch_execz .LBB652_76
; %bb.73:                               ;   in Loop: Header=BB652_17 Depth=1
	v_and_b32_e32 v23, 0x7f, v30
	v_cmp_ne_u32_e32 vcc, s14, v23
	v_mov_b32_e32 v40, 0x7f800001
	s_and_saveexec_b64 s[10:11], vcc
	s_cbranch_execz .LBB652_75
; %bb.74:                               ;   in Loop: Header=BB652_17 Depth=1
	v_and_b32_e32 v40, 7, v30
	v_ffbh_u32_e32 v44, v40
	v_min_u32_e32 v44, 32, v44
	v_subrev_u32_e32 v52, 28, v44
	v_lshlrev_b64 v[52:53], v52, v[30:31]
	v_lshrrev_b32_e32 v42, 3, v23
	v_sub_u32_e32 v30, 29, v44
	v_and_b32_e32 v44, 7, v52
	v_cmp_gt_u32_e32 vcc, 8, v23
	v_cndmask_b32_e32 v23, v42, v30, vcc
	v_cndmask_b32_e32 v30, v40, v44, vcc
	v_lshlrev_b32_e32 v40, 16, v28
	v_lshlrev_b32_e32 v30, 20, v30
	v_and_b32_e32 v40, 0x80000000, v40
	v_lshl_add_u32 v23, v23, 23, v38
	v_or3_b32 v40, v40, v23, v30
.LBB652_75:                             ;   in Loop: Header=BB652_17 Depth=1
	s_or_b64 exec, exec, s[10:11]
.LBB652_76:                             ;   in Loop: Header=BB652_17 Depth=1
	s_or_b64 exec, exec, s[6:7]
.LBB652_77:                             ;   in Loop: Header=BB652_17 Depth=1
	s_or_b64 exec, exec, s[4:5]
	v_lshrrev_b32_e32 v30, 16, v28
	v_cmp_ne_u16_sdwa s[6:7], v30, v35 src0_sel:BYTE_0 src1_sel:DWORD
	s_and_saveexec_b64 s[4:5], s[6:7]
	s_cbranch_execz .LBB652_83
; %bb.78:                               ;   in Loop: Header=BB652_17 Depth=1
	v_cmp_ne_u16_sdwa s[10:11], v30, s13 src0_sel:BYTE_0 src1_sel:DWORD
	v_bfrev_b32_e32 v32, 1
	s_and_saveexec_b64 s[6:7], s[10:11]
	s_cbranch_execz .LBB652_82
; %bb.79:                               ;   in Loop: Header=BB652_17 Depth=1
	v_bfe_u32 v23, v28, 16, 7
	v_cmp_ne_u32_e32 vcc, s14, v23
	v_mov_b32_e32 v32, 0x7f800001
	s_and_saveexec_b64 s[10:11], vcc
	s_cbranch_execz .LBB652_81
; %bb.80:                               ;   in Loop: Header=BB652_17 Depth=1
	v_and_b32_e32 v32, 7, v30
	v_ffbh_u32_e32 v44, v32
	v_min_u32_e32 v44, 32, v44
	v_subrev_u32_e32 v52, 28, v44
	v_lshlrev_b64 v[52:53], v52, v[30:31]
	v_lshrrev_b32_e32 v42, 3, v23
	v_sub_u32_e32 v44, 29, v44
	v_and_b32_e32 v52, 7, v52
	v_cmp_gt_u32_e32 vcc, 8, v23
	v_cndmask_b32_e32 v23, v42, v44, vcc
	v_cndmask_b32_e32 v32, v32, v52, vcc
	v_lshlrev_b32_e32 v30, 24, v30
	v_lshlrev_b32_e32 v32, 20, v32
	v_and_b32_e32 v30, 0x80000000, v30
	v_lshl_add_u32 v23, v23, 23, v38
	v_or3_b32 v32, v30, v23, v32
.LBB652_81:                             ;   in Loop: Header=BB652_17 Depth=1
	s_or_b64 exec, exec, s[10:11]
.LBB652_82:                             ;   in Loop: Header=BB652_17 Depth=1
	s_or_b64 exec, exec, s[6:7]
.LBB652_83:                             ;   in Loop: Header=BB652_17 Depth=1
	s_or_b64 exec, exec, s[4:5]
	v_cmp_lt_u32_e32 vcc, s15, v28
	v_mov_b32_e32 v42, 0
	v_mov_b32_e32 v44, 0
	s_and_saveexec_b64 s[4:5], vcc
	s_cbranch_execz .LBB652_89
; %bb.84:                               ;   in Loop: Header=BB652_17 Depth=1
	v_lshrrev_b32_e32 v30, 24, v28
	v_cmp_ne_u32_e32 vcc, s13, v30
	v_bfrev_b32_e32 v44, 1
	s_and_saveexec_b64 s[6:7], vcc
	s_cbranch_execz .LBB652_88
; %bb.85:                               ;   in Loop: Header=BB652_17 Depth=1
	v_bfe_u32 v23, v28, 24, 7
	v_cmp_ne_u32_e32 vcc, s14, v23
	v_mov_b32_e32 v44, 0x7f800001
	s_and_saveexec_b64 s[10:11], vcc
	s_cbranch_execz .LBB652_87
; %bb.86:                               ;   in Loop: Header=BB652_17 Depth=1
	v_and_b32_e32 v28, 7, v30
	v_ffbh_u32_e32 v52, v28
	v_min_u32_e32 v54, 32, v52
	v_subrev_u32_e32 v52, 28, v54
	v_lshlrev_b64 v[52:53], v52, v[30:31]
	v_lshrrev_b32_e32 v44, 3, v23
	v_sub_u32_e32 v53, 29, v54
	v_and_b32_e32 v52, 7, v52
	v_cmp_gt_u32_e32 vcc, 8, v23
	v_cndmask_b32_e32 v23, v44, v53, vcc
	v_cndmask_b32_e32 v28, v28, v52, vcc
	v_lshlrev_b32_e32 v30, 24, v30
	v_lshlrev_b32_e32 v28, 20, v28
	v_and_b32_e32 v30, 0x80000000, v30
	v_lshl_add_u32 v23, v23, 23, v38
	v_or3_b32 v44, v30, v23, v28
.LBB652_87:                             ;   in Loop: Header=BB652_17 Depth=1
	s_or_b64 exec, exec, s[10:11]
.LBB652_88:                             ;   in Loop: Header=BB652_17 Depth=1
	s_or_b64 exec, exec, s[6:7]
.LBB652_89:                             ;   in Loop: Header=BB652_17 Depth=1
	s_or_b64 exec, exec, s[4:5]
	s_waitcnt vmcnt(0)
	v_cmp_ne_u16_sdwa s[6:7], v26, v35 src0_sel:BYTE_0 src1_sel:DWORD
	s_and_saveexec_b64 s[4:5], s[6:7]
	s_cbranch_execz .LBB652_95
; %bb.90:                               ;   in Loop: Header=BB652_17 Depth=1
	v_cmp_ne_u16_sdwa s[10:11], v26, s13 src0_sel:BYTE_0 src1_sel:DWORD
	v_bfrev_b32_e32 v42, 1
	s_and_saveexec_b64 s[6:7], s[10:11]
	s_cbranch_execz .LBB652_94
; %bb.91:                               ;   in Loop: Header=BB652_17 Depth=1
	v_and_b32_e32 v23, 0x7f, v26
	v_cmp_ne_u32_e32 vcc, s14, v23
	v_mov_b32_e32 v42, 0x7f800001
	s_and_saveexec_b64 s[10:11], vcc
	s_cbranch_execz .LBB652_93
; %bb.92:                               ;   in Loop: Header=BB652_17 Depth=1
	v_and_b32_e32 v28, 7, v26
	v_ffbh_u32_e32 v42, v28
	v_min_u32_e32 v42, 32, v42
	v_subrev_u32_e32 v52, 28, v42
	v_lshlrev_b64 v[52:53], v52, v[26:27]
	v_lshrrev_b32_e32 v30, 3, v23
	v_sub_u32_e32 v42, 29, v42
	v_and_b32_e32 v52, 7, v52
	v_cmp_gt_u32_e32 vcc, 8, v23
	v_cndmask_b32_e32 v23, v30, v42, vcc
	v_cndmask_b32_e32 v28, v28, v52, vcc
	v_lshlrev_b32_e32 v30, 24, v26
	v_lshlrev_b32_e32 v28, 20, v28
	v_and_b32_e32 v30, 0x80000000, v30
	v_lshl_add_u32 v23, v23, 23, v38
	v_or3_b32 v42, v30, v23, v28
.LBB652_93:                             ;   in Loop: Header=BB652_17 Depth=1
	s_or_b64 exec, exec, s[10:11]
.LBB652_94:                             ;   in Loop: Header=BB652_17 Depth=1
	s_or_b64 exec, exec, s[6:7]
.LBB652_95:                             ;   in Loop: Header=BB652_17 Depth=1
	s_or_b64 exec, exec, s[4:5]
	v_lshrrev_b16_e32 v28, 8, v26
	v_cmp_ne_u16_e32 vcc, 0, v28
	v_mov_b32_e32 v52, 0
	v_mov_b32_e32 v53, 0
	s_and_saveexec_b64 s[4:5], vcc
	s_cbranch_execz .LBB652_101
; %bb.96:                               ;   in Loop: Header=BB652_17 Depth=1
	v_cmp_ne_u16_e32 vcc, s13, v28
	v_bfrev_b32_e32 v53, 1
	s_and_saveexec_b64 s[6:7], vcc
	s_cbranch_execz .LBB652_100
; %bb.97:                               ;   in Loop: Header=BB652_17 Depth=1
	v_and_b32_e32 v23, 0x7f, v28
	v_cmp_ne_u32_e32 vcc, s14, v23
	v_mov_b32_e32 v53, 0x7f800001
	s_and_saveexec_b64 s[10:11], vcc
	s_cbranch_execz .LBB652_99
; %bb.98:                               ;   in Loop: Header=BB652_17 Depth=1
	v_and_b32_e32 v30, 7, v28
	v_ffbh_u32_e32 v54, v30
	v_min_u32_e32 v56, 32, v54
	v_subrev_u32_e32 v54, 28, v56
	v_lshlrev_b64 v[54:55], v54, v[28:29]
	v_lshrrev_b32_e32 v53, 3, v23
	v_sub_u32_e32 v28, 29, v56
	v_and_b32_e32 v54, 7, v54
	v_cmp_gt_u32_e32 vcc, 8, v23
	v_cndmask_b32_e32 v23, v53, v28, vcc
	v_cndmask_b32_e32 v28, v30, v54, vcc
	v_lshlrev_b32_e32 v30, 16, v26
	v_lshlrev_b32_e32 v28, 20, v28
	v_and_b32_e32 v30, 0x80000000, v30
	v_lshl_add_u32 v23, v23, 23, v38
	v_or3_b32 v53, v30, v23, v28
.LBB652_99:                             ;   in Loop: Header=BB652_17 Depth=1
	s_or_b64 exec, exec, s[10:11]
.LBB652_100:                            ;   in Loop: Header=BB652_17 Depth=1
	s_or_b64 exec, exec, s[6:7]
.LBB652_101:                            ;   in Loop: Header=BB652_17 Depth=1
	s_or_b64 exec, exec, s[4:5]
	v_lshrrev_b32_e32 v28, 16, v26
	v_cmp_ne_u16_sdwa s[6:7], v28, v35 src0_sel:BYTE_0 src1_sel:DWORD
	s_and_saveexec_b64 s[4:5], s[6:7]
	s_cbranch_execz .LBB652_107
; %bb.102:                              ;   in Loop: Header=BB652_17 Depth=1
	v_cmp_ne_u16_sdwa s[10:11], v28, s13 src0_sel:BYTE_0 src1_sel:DWORD
	v_bfrev_b32_e32 v52, 1
	s_and_saveexec_b64 s[6:7], s[10:11]
	s_cbranch_execz .LBB652_106
; %bb.103:                              ;   in Loop: Header=BB652_17 Depth=1
	v_bfe_u32 v23, v26, 16, 7
	v_cmp_ne_u32_e32 vcc, s14, v23
	v_mov_b32_e32 v52, 0x7f800001
	s_and_saveexec_b64 s[10:11], vcc
	s_cbranch_execz .LBB652_105
; %bb.104:                              ;   in Loop: Header=BB652_17 Depth=1
	v_and_b32_e32 v30, 7, v28
	v_ffbh_u32_e32 v54, v30
	v_min_u32_e32 v56, 32, v54
	v_subrev_u32_e32 v54, 28, v56
	v_lshlrev_b64 v[54:55], v54, v[28:29]
	v_lshrrev_b32_e32 v52, 3, v23
	v_sub_u32_e32 v55, 29, v56
	v_and_b32_e32 v54, 7, v54
	v_cmp_gt_u32_e32 vcc, 8, v23
	v_cndmask_b32_e32 v23, v52, v55, vcc
	v_cndmask_b32_e32 v30, v30, v54, vcc
	v_lshlrev_b32_e32 v28, 24, v28
	v_lshlrev_b32_e32 v30, 20, v30
	v_and_b32_e32 v28, 0x80000000, v28
	v_lshl_add_u32 v23, v23, 23, v38
	v_or3_b32 v52, v28, v23, v30
.LBB652_105:                            ;   in Loop: Header=BB652_17 Depth=1
	s_or_b64 exec, exec, s[10:11]
.LBB652_106:                            ;   in Loop: Header=BB652_17 Depth=1
	s_or_b64 exec, exec, s[6:7]
.LBB652_107:                            ;   in Loop: Header=BB652_17 Depth=1
	s_or_b64 exec, exec, s[4:5]
	v_cmp_lt_u32_e32 vcc, s15, v26
	v_mov_b32_e32 v23, 0
	v_mov_b32_e32 v54, 0
	s_and_saveexec_b64 s[4:5], vcc
	s_cbranch_execz .LBB652_113
; %bb.108:                              ;   in Loop: Header=BB652_17 Depth=1
	v_lshrrev_b32_e32 v28, 24, v26
	v_cmp_ne_u32_e32 vcc, s13, v28
	v_bfrev_b32_e32 v54, 1
	s_and_saveexec_b64 s[6:7], vcc
	s_cbranch_execz .LBB652_112
; %bb.109:                              ;   in Loop: Header=BB652_17 Depth=1
	v_bfe_u32 v26, v26, 24, 7
	v_cmp_ne_u32_e32 vcc, s14, v26
	v_mov_b32_e32 v54, 0x7f800001
	s_and_saveexec_b64 s[10:11], vcc
	s_cbranch_execz .LBB652_111
; %bb.110:                              ;   in Loop: Header=BB652_17 Depth=1
	v_and_b32_e32 v30, 7, v28
	v_ffbh_u32_e32 v54, v30
	v_min_u32_e32 v57, 32, v54
	v_subrev_u32_e32 v54, 28, v57
	v_lshlrev_b64 v[54:55], v54, v[28:29]
	v_lshrrev_b32_e32 v56, 3, v26
	v_sub_u32_e32 v55, 29, v57
	v_and_b32_e32 v54, 7, v54
	v_cmp_gt_u32_e32 vcc, 8, v26
	v_cndmask_b32_e32 v26, v56, v55, vcc
	v_cndmask_b32_e32 v30, v30, v54, vcc
	v_lshlrev_b32_e32 v28, 24, v28
	v_lshlrev_b32_e32 v30, 20, v30
	v_and_b32_e32 v28, 0x80000000, v28
	v_lshl_add_u32 v26, v26, 23, v38
	v_or3_b32 v54, v28, v26, v30
.LBB652_111:                            ;   in Loop: Header=BB652_17 Depth=1
	s_or_b64 exec, exec, s[10:11]
.LBB652_112:                            ;   in Loop: Header=BB652_17 Depth=1
	s_or_b64 exec, exec, s[6:7]
.LBB652_113:                            ;   in Loop: Header=BB652_17 Depth=1
	s_or_b64 exec, exec, s[4:5]
	v_cvt_pkrtz_f16_f32 v57, v32, v44
	buffer_load_dword v32, v36, s[0:3], 0 offen offset:16
	buffer_load_dword v30, v36, s[0:3], 0 offen offset:20
	;; [unrolled: 1-line block ×4, first 2 shown]
	v_cvt_pkrtz_f16_f32 v56, v34, v40
	s_waitcnt vmcnt(3)
	v_cmp_ne_u16_sdwa s[6:7], v32, v35 src0_sel:BYTE_0 src1_sel:DWORD
	v_mfma_f32_16x16x16f16 v[18:21], v[56:57], v[6:7], v[18:21]
	v_cvt_pkrtz_f16_f32 v56, v42, v53
	v_cvt_pkrtz_f16_f32 v57, v52, v54
	s_nop 1
	v_mfma_f32_16x16x16f16 v[18:21], v[56:57], v[8:9], v[18:21]
	s_and_saveexec_b64 s[4:5], s[6:7]
	s_cbranch_execz .LBB652_119
; %bb.114:                              ;   in Loop: Header=BB652_17 Depth=1
	v_cmp_ne_u16_sdwa s[10:11], v32, s13 src0_sel:BYTE_0 src1_sel:DWORD
	v_bfrev_b32_e32 v23, 1
	s_and_saveexec_b64 s[6:7], s[10:11]
	s_cbranch_execz .LBB652_118
; %bb.115:                              ;   in Loop: Header=BB652_17 Depth=1
	v_and_b32_e32 v34, 0x7f, v32
	v_cmp_ne_u32_e32 vcc, s14, v34
	v_mov_b32_e32 v23, 0x7f800001
	s_and_saveexec_b64 s[10:11], vcc
	s_cbranch_execz .LBB652_117
; %bb.116:                              ;   in Loop: Header=BB652_17 Depth=1
	v_and_b32_e32 v23, 7, v32
	v_ffbh_u32_e32 v42, v23
	v_min_u32_e32 v42, 32, v42
	v_subrev_u32_e32 v44, 28, v42
	v_lshlrev_b64 v[52:53], v44, v[32:33]
	v_lshrrev_b32_e32 v40, 3, v34
	v_sub_u32_e32 v42, 29, v42
	v_and_b32_e32 v44, 7, v52
	v_cmp_gt_u32_e32 vcc, 8, v34
	v_cndmask_b32_e32 v34, v40, v42, vcc
	v_cndmask_b32_e32 v23, v23, v44, vcc
	v_lshlrev_b32_e32 v40, 24, v32
	v_lshlrev_b32_e32 v23, 20, v23
	v_and_b32_e32 v40, 0x80000000, v40
	v_lshl_add_u32 v34, v34, 23, v38
	v_or3_b32 v23, v40, v34, v23
.LBB652_117:                            ;   in Loop: Header=BB652_17 Depth=1
	s_or_b64 exec, exec, s[10:11]
.LBB652_118:                            ;   in Loop: Header=BB652_17 Depth=1
	s_or_b64 exec, exec, s[6:7]
.LBB652_119:                            ;   in Loop: Header=BB652_17 Depth=1
	s_or_b64 exec, exec, s[4:5]
	v_lshrrev_b16_e32 v34, 8, v32
	v_cmp_ne_u16_e32 vcc, 0, v34
	v_mov_b32_e32 v40, 0
	v_mov_b32_e32 v42, 0
	s_and_saveexec_b64 s[4:5], vcc
	s_cbranch_execz .LBB652_125
; %bb.120:                              ;   in Loop: Header=BB652_17 Depth=1
	v_cmp_ne_u16_e32 vcc, s13, v34
	v_bfrev_b32_e32 v42, 1
	s_and_saveexec_b64 s[6:7], vcc
	s_cbranch_execz .LBB652_124
; %bb.121:                              ;   in Loop: Header=BB652_17 Depth=1
	v_and_b32_e32 v44, 0x7f, v34
	v_cmp_ne_u32_e32 vcc, s14, v44
	v_mov_b32_e32 v42, 0x7f800001
	s_and_saveexec_b64 s[10:11], vcc
	s_cbranch_execz .LBB652_123
; %bb.122:                              ;   in Loop: Header=BB652_17 Depth=1
	v_and_b32_e32 v42, 7, v34
	v_ffbh_u32_e32 v52, v42
	v_min_u32_e32 v55, 32, v52
	v_subrev_u32_e32 v52, 28, v55
	v_lshlrev_b64 v[52:53], v52, v[34:35]
	v_lshrrev_b32_e32 v54, 3, v44
	v_sub_u32_e32 v34, 29, v55
	v_and_b32_e32 v52, 7, v52
	v_cmp_gt_u32_e32 vcc, 8, v44
	v_cndmask_b32_e32 v34, v54, v34, vcc
	v_cndmask_b32_e32 v42, v42, v52, vcc
	v_lshlrev_b32_e32 v44, 16, v32
	v_lshlrev_b32_e32 v42, 20, v42
	v_and_b32_e32 v44, 0x80000000, v44
	v_lshl_add_u32 v34, v34, 23, v38
	v_or3_b32 v42, v44, v34, v42
.LBB652_123:                            ;   in Loop: Header=BB652_17 Depth=1
	s_or_b64 exec, exec, s[10:11]
.LBB652_124:                            ;   in Loop: Header=BB652_17 Depth=1
	s_or_b64 exec, exec, s[6:7]
.LBB652_125:                            ;   in Loop: Header=BB652_17 Depth=1
	s_or_b64 exec, exec, s[4:5]
	v_lshrrev_b32_e32 v34, 16, v32
	v_cmp_ne_u16_sdwa s[6:7], v34, v35 src0_sel:BYTE_0 src1_sel:DWORD
	s_and_saveexec_b64 s[4:5], s[6:7]
	s_cbranch_execz .LBB652_131
; %bb.126:                              ;   in Loop: Header=BB652_17 Depth=1
	v_cmp_ne_u16_sdwa s[10:11], v34, s13 src0_sel:BYTE_0 src1_sel:DWORD
	v_bfrev_b32_e32 v40, 1
	s_and_saveexec_b64 s[6:7], s[10:11]
	s_cbranch_execz .LBB652_130
; %bb.127:                              ;   in Loop: Header=BB652_17 Depth=1
	v_bfe_u32 v44, v32, 16, 7
	v_cmp_ne_u32_e32 vcc, s14, v44
	v_mov_b32_e32 v40, 0x7f800001
	s_and_saveexec_b64 s[10:11], vcc
	s_cbranch_execz .LBB652_129
; %bb.128:                              ;   in Loop: Header=BB652_17 Depth=1
	v_and_b32_e32 v40, 7, v34
	v_ffbh_u32_e32 v52, v40
	v_min_u32_e32 v55, 32, v52
	v_subrev_u32_e32 v52, 28, v55
	v_lshlrev_b64 v[52:53], v52, v[34:35]
	v_lshrrev_b32_e32 v54, 3, v44
	v_sub_u32_e32 v53, 29, v55
	v_and_b32_e32 v52, 7, v52
	v_cmp_gt_u32_e32 vcc, 8, v44
	v_cndmask_b32_e32 v44, v54, v53, vcc
	v_cndmask_b32_e32 v40, v40, v52, vcc
	v_lshlrev_b32_e32 v34, 24, v34
	v_lshlrev_b32_e32 v40, 20, v40
	v_and_b32_e32 v34, 0x80000000, v34
	v_lshl_add_u32 v44, v44, 23, v38
	v_or3_b32 v40, v34, v44, v40
.LBB652_129:                            ;   in Loop: Header=BB652_17 Depth=1
	s_or_b64 exec, exec, s[10:11]
.LBB652_130:                            ;   in Loop: Header=BB652_17 Depth=1
	s_or_b64 exec, exec, s[6:7]
.LBB652_131:                            ;   in Loop: Header=BB652_17 Depth=1
	s_or_b64 exec, exec, s[4:5]
	v_cmp_lt_u32_e32 vcc, s15, v32
	v_mov_b32_e32 v44, 0
	v_mov_b32_e32 v52, 0
	s_and_saveexec_b64 s[4:5], vcc
	s_cbranch_execz .LBB652_137
; %bb.132:                              ;   in Loop: Header=BB652_17 Depth=1
	v_lshrrev_b32_e32 v34, 24, v32
	v_cmp_ne_u32_e32 vcc, s13, v34
	v_bfrev_b32_e32 v52, 1
	s_and_saveexec_b64 s[6:7], vcc
	s_cbranch_execz .LBB652_136
; %bb.133:                              ;   in Loop: Header=BB652_17 Depth=1
	v_bfe_u32 v32, v32, 24, 7
	v_cmp_ne_u32_e32 vcc, s14, v32
	v_mov_b32_e32 v52, 0x7f800001
	s_and_saveexec_b64 s[10:11], vcc
	s_cbranch_execz .LBB652_135
; %bb.134:                              ;   in Loop: Header=BB652_17 Depth=1
	v_and_b32_e32 v54, 7, v34
	v_ffbh_u32_e32 v52, v54
	v_min_u32_e32 v56, 32, v52
	v_subrev_u32_e32 v52, 28, v56
	v_lshlrev_b64 v[52:53], v52, v[34:35]
	v_lshrrev_b32_e32 v55, 3, v32
	v_sub_u32_e32 v53, 29, v56
	v_and_b32_e32 v52, 7, v52
	v_cmp_gt_u32_e32 vcc, 8, v32
	v_cndmask_b32_e32 v32, v55, v53, vcc
	v_cndmask_b32_e32 v52, v54, v52, vcc
	v_lshlrev_b32_e32 v34, 24, v34
	v_lshlrev_b32_e32 v52, 20, v52
	v_and_b32_e32 v34, 0x80000000, v34
	v_lshl_add_u32 v32, v32, 23, v38
	v_or3_b32 v52, v34, v32, v52
.LBB652_135:                            ;   in Loop: Header=BB652_17 Depth=1
	s_or_b64 exec, exec, s[10:11]
.LBB652_136:                            ;   in Loop: Header=BB652_17 Depth=1
	s_or_b64 exec, exec, s[6:7]
.LBB652_137:                            ;   in Loop: Header=BB652_17 Depth=1
	s_or_b64 exec, exec, s[4:5]
	s_waitcnt vmcnt(2)
	v_cmp_ne_u16_sdwa s[6:7], v30, v35 src0_sel:BYTE_0 src1_sel:DWORD
	s_and_saveexec_b64 s[4:5], s[6:7]
	s_cbranch_execz .LBB652_143
; %bb.138:                              ;   in Loop: Header=BB652_17 Depth=1
	v_cmp_ne_u16_sdwa s[10:11], v30, s13 src0_sel:BYTE_0 src1_sel:DWORD
	v_bfrev_b32_e32 v44, 1
	s_and_saveexec_b64 s[6:7], s[10:11]
	s_cbranch_execz .LBB652_142
; %bb.139:                              ;   in Loop: Header=BB652_17 Depth=1
	v_and_b32_e32 v32, 0x7f, v30
	v_cmp_ne_u32_e32 vcc, s14, v32
	v_mov_b32_e32 v44, 0x7f800001
	s_and_saveexec_b64 s[10:11], vcc
	s_cbranch_execz .LBB652_141
; %bb.140:                              ;   in Loop: Header=BB652_17 Depth=1
	v_and_b32_e32 v34, 7, v30
	v_ffbh_u32_e32 v53, v34
	v_min_u32_e32 v53, 32, v53
	v_subrev_u32_e32 v54, 28, v53
	v_lshlrev_b64 v[54:55], v54, v[30:31]
	v_lshrrev_b32_e32 v44, 3, v32
	v_sub_u32_e32 v53, 29, v53
	v_and_b32_e32 v54, 7, v54
	v_cmp_gt_u32_e32 vcc, 8, v32
	v_cndmask_b32_e32 v32, v44, v53, vcc
	v_cndmask_b32_e32 v34, v34, v54, vcc
	v_lshlrev_b32_e32 v44, 24, v30
	v_lshlrev_b32_e32 v34, 20, v34
	v_and_b32_e32 v44, 0x80000000, v44
	v_lshl_add_u32 v32, v32, 23, v38
	v_or3_b32 v44, v44, v32, v34
.LBB652_141:                            ;   in Loop: Header=BB652_17 Depth=1
	s_or_b64 exec, exec, s[10:11]
.LBB652_142:                            ;   in Loop: Header=BB652_17 Depth=1
	s_or_b64 exec, exec, s[6:7]
.LBB652_143:                            ;   in Loop: Header=BB652_17 Depth=1
	s_or_b64 exec, exec, s[4:5]
	v_lshrrev_b16_e32 v32, 8, v30
	v_cmp_ne_u16_e32 vcc, 0, v32
	v_mov_b32_e32 v53, 0
	v_mov_b32_e32 v54, 0
	s_and_saveexec_b64 s[4:5], vcc
	s_cbranch_execz .LBB652_149
; %bb.144:                              ;   in Loop: Header=BB652_17 Depth=1
	v_cmp_ne_u16_e32 vcc, s13, v32
	v_bfrev_b32_e32 v54, 1
	s_and_saveexec_b64 s[6:7], vcc
	s_cbranch_execz .LBB652_148
; %bb.145:                              ;   in Loop: Header=BB652_17 Depth=1
	v_and_b32_e32 v34, 0x7f, v32
	v_cmp_ne_u32_e32 vcc, s14, v34
	v_mov_b32_e32 v54, 0x7f800001
	s_and_saveexec_b64 s[10:11], vcc
	s_cbranch_execz .LBB652_147
; %bb.146:                              ;   in Loop: Header=BB652_17 Depth=1
	v_and_b32_e32 v56, 7, v32
	v_ffbh_u32_e32 v54, v56
	v_min_u32_e32 v58, 32, v54
	v_subrev_u32_e32 v54, 28, v58
	v_lshlrev_b64 v[54:55], v54, v[32:33]
	v_lshrrev_b32_e32 v57, 3, v34
	v_sub_u32_e32 v32, 29, v58
	v_and_b32_e32 v54, 7, v54
	v_cmp_gt_u32_e32 vcc, 8, v34
	v_cndmask_b32_e32 v32, v57, v32, vcc
	v_cndmask_b32_e32 v34, v56, v54, vcc
	v_lshlrev_b32_e32 v54, 16, v30
	v_lshlrev_b32_e32 v34, 20, v34
	v_and_b32_e32 v54, 0x80000000, v54
	v_lshl_add_u32 v32, v32, 23, v38
	v_or3_b32 v54, v54, v32, v34
.LBB652_147:                            ;   in Loop: Header=BB652_17 Depth=1
	s_or_b64 exec, exec, s[10:11]
.LBB652_148:                            ;   in Loop: Header=BB652_17 Depth=1
	s_or_b64 exec, exec, s[6:7]
.LBB652_149:                            ;   in Loop: Header=BB652_17 Depth=1
	s_or_b64 exec, exec, s[4:5]
	v_lshrrev_b32_e32 v32, 16, v30
	v_cmp_ne_u16_sdwa s[6:7], v32, v35 src0_sel:BYTE_0 src1_sel:DWORD
	s_and_saveexec_b64 s[4:5], s[6:7]
	s_cbranch_execz .LBB652_155
; %bb.150:                              ;   in Loop: Header=BB652_17 Depth=1
	v_cmp_ne_u16_sdwa s[10:11], v32, s13 src0_sel:BYTE_0 src1_sel:DWORD
	v_bfrev_b32_e32 v53, 1
	s_and_saveexec_b64 s[6:7], s[10:11]
	s_cbranch_execz .LBB652_154
; %bb.151:                              ;   in Loop: Header=BB652_17 Depth=1
	v_bfe_u32 v34, v30, 16, 7
	v_cmp_ne_u32_e32 vcc, s14, v34
	v_mov_b32_e32 v53, 0x7f800001
	s_and_saveexec_b64 s[10:11], vcc
	s_cbranch_execz .LBB652_153
; %bb.152:                              ;   in Loop: Header=BB652_17 Depth=1
	v_and_b32_e32 v53, 7, v32
	v_ffbh_u32_e32 v56, v53
	v_min_u32_e32 v58, 32, v56
	v_subrev_u32_e32 v56, 28, v58
	v_lshlrev_b64 v[56:57], v56, v[32:33]
	v_lshrrev_b32_e32 v55, 3, v34
	v_sub_u32_e32 v57, 29, v58
	v_and_b32_e32 v56, 7, v56
	v_cmp_gt_u32_e32 vcc, 8, v34
	v_cndmask_b32_e32 v34, v55, v57, vcc
	v_cndmask_b32_e32 v53, v53, v56, vcc
	v_lshlrev_b32_e32 v32, 24, v32
	v_lshlrev_b32_e32 v53, 20, v53
	v_and_b32_e32 v32, 0x80000000, v32
	v_lshl_add_u32 v34, v34, 23, v38
	v_or3_b32 v53, v32, v34, v53
.LBB652_153:                            ;   in Loop: Header=BB652_17 Depth=1
	s_or_b64 exec, exec, s[10:11]
.LBB652_154:                            ;   in Loop: Header=BB652_17 Depth=1
	s_or_b64 exec, exec, s[6:7]
.LBB652_155:                            ;   in Loop: Header=BB652_17 Depth=1
	s_or_b64 exec, exec, s[4:5]
	v_cmp_lt_u32_e32 vcc, s15, v30
	v_mov_b32_e32 v34, 0
	v_mov_b32_e32 v55, 0
	s_and_saveexec_b64 s[4:5], vcc
	s_cbranch_execz .LBB652_161
; %bb.156:                              ;   in Loop: Header=BB652_17 Depth=1
	v_lshrrev_b32_e32 v32, 24, v30
	v_cmp_ne_u32_e32 vcc, s13, v32
	v_bfrev_b32_e32 v55, 1
	s_and_saveexec_b64 s[6:7], vcc
	s_cbranch_execz .LBB652_160
; %bb.157:                              ;   in Loop: Header=BB652_17 Depth=1
	v_bfe_u32 v30, v30, 24, 7
	v_cmp_ne_u32_e32 vcc, s14, v30
	v_mov_b32_e32 v55, 0x7f800001
	s_and_saveexec_b64 s[10:11], vcc
	s_cbranch_execz .LBB652_159
; %bb.158:                              ;   in Loop: Header=BB652_17 Depth=1
	v_and_b32_e32 v55, 7, v32
	v_ffbh_u32_e32 v56, v55
	v_min_u32_e32 v59, 32, v56
	v_subrev_u32_e32 v56, 28, v59
	v_lshlrev_b64 v[56:57], v56, v[32:33]
	v_lshrrev_b32_e32 v58, 3, v30
	v_sub_u32_e32 v57, 29, v59
	v_and_b32_e32 v56, 7, v56
	v_cmp_gt_u32_e32 vcc, 8, v30
	v_cndmask_b32_e32 v30, v58, v57, vcc
	v_cndmask_b32_e32 v55, v55, v56, vcc
	v_lshlrev_b32_e32 v32, 24, v32
	v_lshlrev_b32_e32 v55, 20, v55
	v_and_b32_e32 v32, 0x80000000, v32
	v_lshl_add_u32 v30, v30, 23, v38
	v_or3_b32 v55, v32, v30, v55
.LBB652_159:                            ;   in Loop: Header=BB652_17 Depth=1
	s_or_b64 exec, exec, s[10:11]
.LBB652_160:                            ;   in Loop: Header=BB652_17 Depth=1
	s_or_b64 exec, exec, s[6:7]
.LBB652_161:                            ;   in Loop: Header=BB652_17 Depth=1
	s_or_b64 exec, exec, s[4:5]
	v_cvt_pkrtz_f16_f32 v56, v23, v42
	v_cvt_pkrtz_f16_f32 v57, v40, v52
	;; [unrolled: 1-line block ×4, first 2 shown]
	s_waitcnt vmcnt(1)
	v_cmp_ne_u16_sdwa s[6:7], v28, v35 src0_sel:BYTE_0 src1_sel:DWORD
	v_mfma_f32_16x16x16f16 v[18:21], v[56:57], v[10:11], v[18:21]
	v_mfma_f32_16x16x16f16 v[18:21], v[52:53], v[12:13], v[18:21]
	s_and_saveexec_b64 s[4:5], s[6:7]
	s_cbranch_execz .LBB652_167
; %bb.162:                              ;   in Loop: Header=BB652_17 Depth=1
	v_cmp_ne_u16_sdwa s[10:11], v28, s13 src0_sel:BYTE_0 src1_sel:DWORD
	v_bfrev_b32_e32 v34, 1
	s_and_saveexec_b64 s[6:7], s[10:11]
	s_cbranch_execz .LBB652_166
; %bb.163:                              ;   in Loop: Header=BB652_17 Depth=1
	v_and_b32_e32 v23, 0x7f, v28
	v_cmp_ne_u32_e32 vcc, s14, v23
	v_mov_b32_e32 v34, 0x7f800001
	s_and_saveexec_b64 s[10:11], vcc
	s_cbranch_execz .LBB652_165
; %bb.164:                              ;   in Loop: Header=BB652_17 Depth=1
	v_and_b32_e32 v30, 7, v28
	v_ffbh_u32_e32 v34, v30
	v_min_u32_e32 v34, 32, v34
	v_subrev_u32_e32 v40, 28, v34
	v_lshlrev_b64 v[52:53], v40, v[28:29]
	v_lshrrev_b32_e32 v32, 3, v23
	v_sub_u32_e32 v34, 29, v34
	v_and_b32_e32 v40, 7, v52
	v_cmp_gt_u32_e32 vcc, 8, v23
	v_cndmask_b32_e32 v23, v32, v34, vcc
	v_cndmask_b32_e32 v30, v30, v40, vcc
	v_lshlrev_b32_e32 v32, 24, v28
	v_lshlrev_b32_e32 v30, 20, v30
	v_and_b32_e32 v32, 0x80000000, v32
	v_lshl_add_u32 v23, v23, 23, v38
	v_or3_b32 v34, v32, v23, v30
.LBB652_165:                            ;   in Loop: Header=BB652_17 Depth=1
	s_or_b64 exec, exec, s[10:11]
.LBB652_166:                            ;   in Loop: Header=BB652_17 Depth=1
	s_or_b64 exec, exec, s[6:7]
.LBB652_167:                            ;   in Loop: Header=BB652_17 Depth=1
	s_or_b64 exec, exec, s[4:5]
	v_lshrrev_b16_e32 v30, 8, v28
	v_cmp_ne_u16_e32 vcc, 0, v30
	v_mov_b32_e32 v23, 0
	v_mov_b32_e32 v32, 0
	s_and_saveexec_b64 s[4:5], vcc
	s_cbranch_execz .LBB652_173
; %bb.168:                              ;   in Loop: Header=BB652_17 Depth=1
	v_cmp_ne_u16_e32 vcc, s13, v30
	v_bfrev_b32_e32 v32, 1
	s_and_saveexec_b64 s[6:7], vcc
	s_cbranch_execz .LBB652_172
; %bb.169:                              ;   in Loop: Header=BB652_17 Depth=1
	v_and_b32_e32 v40, 0x7f, v30
	v_cmp_ne_u32_e32 vcc, s14, v40
	v_mov_b32_e32 v32, 0x7f800001
	s_and_saveexec_b64 s[10:11], vcc
	s_cbranch_execz .LBB652_171
; %bb.170:                              ;   in Loop: Header=BB652_17 Depth=1
	v_and_b32_e32 v32, 7, v30
	v_ffbh_u32_e32 v44, v32
	v_min_u32_e32 v44, 32, v44
	v_subrev_u32_e32 v52, 28, v44
	v_lshlrev_b64 v[52:53], v52, v[30:31]
	v_lshrrev_b32_e32 v42, 3, v40
	v_sub_u32_e32 v30, 29, v44
	v_and_b32_e32 v44, 7, v52
	v_cmp_gt_u32_e32 vcc, 8, v40
	v_cndmask_b32_e32 v30, v42, v30, vcc
	v_cndmask_b32_e32 v32, v32, v44, vcc
	v_lshlrev_b32_e32 v40, 16, v28
	v_lshlrev_b32_e32 v32, 20, v32
	v_and_b32_e32 v40, 0x80000000, v40
	v_lshl_add_u32 v30, v30, 23, v38
	v_or3_b32 v32, v40, v30, v32
.LBB652_171:                            ;   in Loop: Header=BB652_17 Depth=1
	s_or_b64 exec, exec, s[10:11]
.LBB652_172:                            ;   in Loop: Header=BB652_17 Depth=1
	s_or_b64 exec, exec, s[6:7]
.LBB652_173:                            ;   in Loop: Header=BB652_17 Depth=1
	s_or_b64 exec, exec, s[4:5]
	v_lshrrev_b32_e32 v30, 16, v28
	v_cmp_ne_u16_sdwa s[6:7], v30, v35 src0_sel:BYTE_0 src1_sel:DWORD
	s_and_saveexec_b64 s[4:5], s[6:7]
	s_cbranch_execz .LBB652_179
; %bb.174:                              ;   in Loop: Header=BB652_17 Depth=1
	v_cmp_ne_u16_sdwa s[10:11], v30, s13 src0_sel:BYTE_0 src1_sel:DWORD
	v_bfrev_b32_e32 v23, 1
	s_and_saveexec_b64 s[6:7], s[10:11]
	s_cbranch_execz .LBB652_178
; %bb.175:                              ;   in Loop: Header=BB652_17 Depth=1
	v_bfe_u32 v40, v28, 16, 7
	v_cmp_ne_u32_e32 vcc, s14, v40
	v_mov_b32_e32 v23, 0x7f800001
	s_and_saveexec_b64 s[10:11], vcc
	s_cbranch_execz .LBB652_177
; %bb.176:                              ;   in Loop: Header=BB652_17 Depth=1
	v_and_b32_e32 v23, 7, v30
	v_ffbh_u32_e32 v44, v23
	v_min_u32_e32 v44, 32, v44
	v_subrev_u32_e32 v52, 28, v44
	v_lshlrev_b64 v[52:53], v52, v[30:31]
	v_lshrrev_b32_e32 v42, 3, v40
	v_sub_u32_e32 v44, 29, v44
	v_and_b32_e32 v52, 7, v52
	v_cmp_gt_u32_e32 vcc, 8, v40
	v_cndmask_b32_e32 v40, v42, v44, vcc
	v_cndmask_b32_e32 v23, v23, v52, vcc
	v_lshlrev_b32_e32 v30, 24, v30
	v_lshlrev_b32_e32 v23, 20, v23
	v_and_b32_e32 v30, 0x80000000, v30
	v_lshl_add_u32 v40, v40, 23, v38
	v_or3_b32 v23, v30, v40, v23
.LBB652_177:                            ;   in Loop: Header=BB652_17 Depth=1
	s_or_b64 exec, exec, s[10:11]
.LBB652_178:                            ;   in Loop: Header=BB652_17 Depth=1
	s_or_b64 exec, exec, s[6:7]
.LBB652_179:                            ;   in Loop: Header=BB652_17 Depth=1
	s_or_b64 exec, exec, s[4:5]
	v_cmp_lt_u32_e32 vcc, s15, v28
	v_mov_b32_e32 v40, 0
	v_mov_b32_e32 v42, 0
	s_and_saveexec_b64 s[4:5], vcc
	s_cbranch_execz .LBB652_185
; %bb.180:                              ;   in Loop: Header=BB652_17 Depth=1
	v_lshrrev_b32_e32 v30, 24, v28
	v_cmp_ne_u32_e32 vcc, s13, v30
	v_bfrev_b32_e32 v42, 1
	s_and_saveexec_b64 s[6:7], vcc
	s_cbranch_execz .LBB652_184
; %bb.181:                              ;   in Loop: Header=BB652_17 Depth=1
	v_bfe_u32 v28, v28, 24, 7
	v_cmp_ne_u32_e32 vcc, s14, v28
	v_mov_b32_e32 v42, 0x7f800001
	s_and_saveexec_b64 s[10:11], vcc
	s_cbranch_execz .LBB652_183
; %bb.182:                              ;   in Loop: Header=BB652_17 Depth=1
	v_and_b32_e32 v42, 7, v30
	v_ffbh_u32_e32 v52, v42
	v_min_u32_e32 v54, 32, v52
	v_subrev_u32_e32 v52, 28, v54
	v_lshlrev_b64 v[52:53], v52, v[30:31]
	v_lshrrev_b32_e32 v44, 3, v28
	v_sub_u32_e32 v53, 29, v54
	v_and_b32_e32 v52, 7, v52
	v_cmp_gt_u32_e32 vcc, 8, v28
	v_cndmask_b32_e32 v28, v44, v53, vcc
	v_cndmask_b32_e32 v42, v42, v52, vcc
	v_lshlrev_b32_e32 v30, 24, v30
	v_lshlrev_b32_e32 v42, 20, v42
	v_and_b32_e32 v30, 0x80000000, v30
	v_lshl_add_u32 v28, v28, 23, v38
	v_or3_b32 v42, v30, v28, v42
.LBB652_183:                            ;   in Loop: Header=BB652_17 Depth=1
	s_or_b64 exec, exec, s[10:11]
.LBB652_184:                            ;   in Loop: Header=BB652_17 Depth=1
	s_or_b64 exec, exec, s[6:7]
.LBB652_185:                            ;   in Loop: Header=BB652_17 Depth=1
	s_or_b64 exec, exec, s[4:5]
	s_waitcnt vmcnt(0)
	v_cmp_ne_u16_sdwa s[6:7], v26, v35 src0_sel:BYTE_0 src1_sel:DWORD
	s_and_saveexec_b64 s[4:5], s[6:7]
	s_cbranch_execz .LBB652_191
; %bb.186:                              ;   in Loop: Header=BB652_17 Depth=1
	v_cmp_ne_u16_sdwa s[10:11], v26, s13 src0_sel:BYTE_0 src1_sel:DWORD
	v_bfrev_b32_e32 v40, 1
	s_and_saveexec_b64 s[6:7], s[10:11]
	s_cbranch_execz .LBB652_190
; %bb.187:                              ;   in Loop: Header=BB652_17 Depth=1
	v_and_b32_e32 v28, 0x7f, v26
	v_cmp_ne_u32_e32 vcc, s14, v28
	v_mov_b32_e32 v40, 0x7f800001
	s_and_saveexec_b64 s[10:11], vcc
	s_cbranch_execz .LBB652_189
; %bb.188:                              ;   in Loop: Header=BB652_17 Depth=1
	v_and_b32_e32 v30, 7, v26
	v_ffbh_u32_e32 v44, v30
	v_min_u32_e32 v44, 32, v44
	v_subrev_u32_e32 v52, 28, v44
	v_lshlrev_b64 v[52:53], v52, v[26:27]
	v_lshrrev_b32_e32 v40, 3, v28
	v_sub_u32_e32 v44, 29, v44
	v_and_b32_e32 v52, 7, v52
	v_cmp_gt_u32_e32 vcc, 8, v28
	v_cndmask_b32_e32 v28, v40, v44, vcc
	v_cndmask_b32_e32 v30, v30, v52, vcc
	v_lshlrev_b32_e32 v40, 24, v26
	v_lshlrev_b32_e32 v30, 20, v30
	v_and_b32_e32 v40, 0x80000000, v40
	v_lshl_add_u32 v28, v28, 23, v38
	v_or3_b32 v40, v40, v28, v30
.LBB652_189:                            ;   in Loop: Header=BB652_17 Depth=1
	s_or_b64 exec, exec, s[10:11]
.LBB652_190:                            ;   in Loop: Header=BB652_17 Depth=1
	s_or_b64 exec, exec, s[6:7]
.LBB652_191:                            ;   in Loop: Header=BB652_17 Depth=1
	s_or_b64 exec, exec, s[4:5]
	v_lshrrev_b16_e32 v28, 8, v26
	v_cmp_ne_u16_e32 vcc, 0, v28
	v_mov_b32_e32 v30, 0
	v_mov_b32_e32 v44, 0
	s_and_saveexec_b64 s[4:5], vcc
	s_cbranch_execz .LBB652_197
; %bb.192:                              ;   in Loop: Header=BB652_17 Depth=1
	v_cmp_ne_u16_e32 vcc, s13, v28
	v_bfrev_b32_e32 v44, 1
	s_and_saveexec_b64 s[6:7], vcc
	s_cbranch_execz .LBB652_196
; %bb.193:                              ;   in Loop: Header=BB652_17 Depth=1
	v_and_b32_e32 v52, 0x7f, v28
	v_cmp_ne_u32_e32 vcc, s14, v52
	v_mov_b32_e32 v44, 0x7f800001
	s_and_saveexec_b64 s[10:11], vcc
	s_cbranch_execz .LBB652_195
; %bb.194:                              ;   in Loop: Header=BB652_17 Depth=1
	v_and_b32_e32 v44, 7, v28
	v_ffbh_u32_e32 v54, v44
	v_min_u32_e32 v56, 32, v54
	v_subrev_u32_e32 v54, 28, v56
	v_lshlrev_b64 v[54:55], v54, v[28:29]
	v_lshrrev_b32_e32 v53, 3, v52
	v_sub_u32_e32 v28, 29, v56
	v_and_b32_e32 v54, 7, v54
	v_cmp_gt_u32_e32 vcc, 8, v52
	v_cndmask_b32_e32 v28, v53, v28, vcc
	v_cndmask_b32_e32 v44, v44, v54, vcc
	v_lshlrev_b32_e32 v52, 16, v26
	v_lshlrev_b32_e32 v44, 20, v44
	v_and_b32_e32 v52, 0x80000000, v52
	v_lshl_add_u32 v28, v28, 23, v38
	v_or3_b32 v44, v52, v28, v44
.LBB652_195:                            ;   in Loop: Header=BB652_17 Depth=1
	s_or_b64 exec, exec, s[10:11]
.LBB652_196:                            ;   in Loop: Header=BB652_17 Depth=1
	s_or_b64 exec, exec, s[6:7]
.LBB652_197:                            ;   in Loop: Header=BB652_17 Depth=1
	s_or_b64 exec, exec, s[4:5]
	v_lshrrev_b32_e32 v28, 16, v26
	v_cmp_ne_u16_sdwa s[6:7], v28, v35 src0_sel:BYTE_0 src1_sel:DWORD
	s_and_saveexec_b64 s[4:5], s[6:7]
	s_cbranch_execz .LBB652_203
; %bb.198:                              ;   in Loop: Header=BB652_17 Depth=1
	v_cmp_ne_u16_sdwa s[10:11], v28, s13 src0_sel:BYTE_0 src1_sel:DWORD
	v_bfrev_b32_e32 v30, 1
	s_and_saveexec_b64 s[6:7], s[10:11]
	s_cbranch_execz .LBB652_202
; %bb.199:                              ;   in Loop: Header=BB652_17 Depth=1
	v_bfe_u32 v52, v26, 16, 7
	v_cmp_ne_u32_e32 vcc, s14, v52
	v_mov_b32_e32 v30, 0x7f800001
	s_and_saveexec_b64 s[10:11], vcc
	s_cbranch_execz .LBB652_201
; %bb.200:                              ;   in Loop: Header=BB652_17 Depth=1
	v_and_b32_e32 v30, 7, v28
	v_ffbh_u32_e32 v54, v30
	v_min_u32_e32 v56, 32, v54
	v_subrev_u32_e32 v54, 28, v56
	v_lshlrev_b64 v[54:55], v54, v[28:29]
	v_lshrrev_b32_e32 v53, 3, v52
	v_sub_u32_e32 v55, 29, v56
	v_and_b32_e32 v54, 7, v54
	v_cmp_gt_u32_e32 vcc, 8, v52
	v_cndmask_b32_e32 v52, v53, v55, vcc
	v_cndmask_b32_e32 v30, v30, v54, vcc
	v_lshlrev_b32_e32 v28, 24, v28
	v_lshlrev_b32_e32 v30, 20, v30
	v_and_b32_e32 v28, 0x80000000, v28
	v_lshl_add_u32 v52, v52, 23, v38
	v_or3_b32 v30, v28, v52, v30
.LBB652_201:                            ;   in Loop: Header=BB652_17 Depth=1
	s_or_b64 exec, exec, s[10:11]
.LBB652_202:                            ;   in Loop: Header=BB652_17 Depth=1
	s_or_b64 exec, exec, s[6:7]
.LBB652_203:                            ;   in Loop: Header=BB652_17 Depth=1
	s_or_b64 exec, exec, s[4:5]
	v_cmp_lt_u32_e32 vcc, s15, v26
	v_mov_b32_e32 v52, 0
	s_and_saveexec_b64 s[4:5], vcc
	s_cbranch_execz .LBB652_16
; %bb.204:                              ;   in Loop: Header=BB652_17 Depth=1
	v_lshrrev_b32_e32 v28, 24, v26
	v_cmp_ne_u32_e32 vcc, s13, v28
	v_bfrev_b32_e32 v52, 1
	s_and_saveexec_b64 s[6:7], vcc
	s_cbranch_execz .LBB652_15
; %bb.205:                              ;   in Loop: Header=BB652_17 Depth=1
	v_bfe_u32 v26, v26, 24, 7
	v_cmp_ne_u32_e32 vcc, s14, v26
	v_mov_b32_e32 v52, 0x7f800001
	s_and_saveexec_b64 s[10:11], vcc
	s_cbranch_execz .LBB652_14
; %bb.206:                              ;   in Loop: Header=BB652_17 Depth=1
	v_and_b32_e32 v54, 7, v28
	v_ffbh_u32_e32 v52, v54
	v_min_u32_e32 v56, 32, v52
	v_subrev_u32_e32 v52, 28, v56
	v_lshlrev_b64 v[52:53], v52, v[28:29]
	v_lshrrev_b32_e32 v55, 3, v26
	v_sub_u32_e32 v53, 29, v56
	v_and_b32_e32 v52, 7, v52
	v_cmp_gt_u32_e32 vcc, 8, v26
	v_cndmask_b32_e32 v26, v55, v53, vcc
	v_cndmask_b32_e32 v52, v54, v52, vcc
	v_lshlrev_b32_e32 v28, 24, v28
	v_lshlrev_b32_e32 v52, 20, v52
	v_and_b32_e32 v28, 0x80000000, v28
	v_lshl_add_u32 v26, v26, 23, v38
	v_or3_b32 v52, v28, v26, v52
	s_branch .LBB652_14
.LBB652_207:
	buffer_load_dword v17, off, s[0:3], 0 offset:256
	buffer_load_dword v16, off, s[0:3], 0 offset:260
	;; [unrolled: 1-line block ×16, first 2 shown]
	v_and_b32_e32 v18, 0xc0, v0
	v_add_u32_e32 v18, s20, v18
	v_lshl_or_b32 v18, v1, 2, v18
	v_or_b32_e32 v20, 1, v18
	v_subrev_u32_e32 v24, s33, v20
	v_add_u32_e32 v26, 1, v24
	v_cvt_f32_i32_e32 v25, v24
	v_add_u32_e32 v28, 2, v24
	v_add_u32_e32 v30, 3, v24
	;; [unrolled: 1-line block ×14, first 2 shown]
	v_cvt_f32_i32_e32 v26, v26
	v_cvt_f32_i32_e32 v28, v28
	v_cvt_f32_i32_e32 v30, v30
	v_cvt_f32_i32_e32 v24, v24
	v_mov_b32_e32 v19, 0xff7fffff
	v_or_b32_e32 v21, 2, v18
	v_or_b32_e32 v22, 3, v18
	v_cvt_f32_i32_e32 v32, v32
	v_cvt_f32_i32_e32 v34, v34
	v_cmp_gt_i32_e64 s[28:29], s33, v18
	v_cmp_gt_i32_e64 s[30:31], s33, v20
	s_mov_b32 s52, 0xff7fffff
	v_cmp_gt_i32_e64 s[34:35], s33, v21
	v_cmp_gt_i32_e64 s[36:37], s33, v22
	v_or_b32_e32 v23, 16, v18
	v_cvt_f32_i32_e32 v35, v35
	v_cvt_f32_i32_e32 v36, v36
	v_cmp_gt_i32_e64 s[24:25], s33, v23
	v_cvt_f32_i32_e32 v37, v37
	v_cvt_f32_i32_e32 v38, v38
	;; [unrolled: 1-line block ×7, first 2 shown]
	s_waitcnt vmcnt(15)
	v_fmac_f32_e32 v17, v31, v25
	s_waitcnt vmcnt(14)
	v_fmac_f32_e32 v16, v31, v26
	;; [unrolled: 2-line block ×4, first 2 shown]
	v_cndmask_b32_e64 v20, v19, v16, s[30:31]
	v_cndmask_b32_e64 v21, v19, v15, s[34:35]
	v_cndmask_b32_e64 v22, v19, v14, s[36:37]
	s_waitcnt vmcnt(11)
	v_fmac_f32_e32 v13, v31, v32
	s_waitcnt vmcnt(10)
	v_fmac_f32_e32 v12, v31, v34
	;; [unrolled: 2-line block ×9, first 2 shown]
	v_cndmask_b32_e64 v24, v19, v17, s[28:29]
	v_max3_f32 v20, v24, s52, v20
	v_max3_f32 v20, v20, v21, v22
	v_or_b32_e32 v22, 17, v18
	v_cmp_gt_i32_e64 s[38:39], s33, v22
	v_cndmask_b32_e64 v21, v19, v13, s[24:25]
	v_cndmask_b32_e64 v22, v19, v12, s[38:39]
	v_max3_f32 v20, v20, v21, v22
	v_or_b32_e32 v21, 18, v18
	v_or_b32_e32 v22, 19, v18
	v_cmp_gt_i32_e64 s[20:21], s33, v21
	v_cmp_gt_i32_e64 s[22:23], s33, v22
	v_cndmask_b32_e64 v21, v19, v11, s[20:21]
	v_cndmask_b32_e64 v22, v19, v10, s[22:23]
	v_max3_f32 v20, v20, v21, v22
	v_or_b32_e32 v21, 32, v18
	v_or_b32_e32 v22, 33, v18
	v_cmp_gt_i32_e64 s[16:17], s33, v21
	;; [unrolled: 7-line block ×3, first 2 shown]
	v_cmp_gt_i32_e64 s[14:15], s33, v22
	v_cndmask_b32_e64 v21, v19, v7, s[12:13]
	v_cndmask_b32_e64 v22, v19, v6, s[14:15]
	v_max3_f32 v20, v20, v21, v22
	v_or_b32_e32 v21, 48, v18
	v_or_b32_e32 v22, 49, v18
	v_fmac_f32_e32 v5, v31, v44
	v_fmac_f32_e32 v4, v31, v52
	v_cmp_gt_i32_e64 s[6:7], s33, v21
	v_cmp_gt_i32_e64 s[10:11], s33, v22
	v_cndmask_b32_e64 v21, v19, v5, s[6:7]
	v_cndmask_b32_e64 v22, v19, v4, s[10:11]
	v_max3_f32 v20, v20, v21, v22
	v_or_b32_e32 v21, 50, v18
	v_or_b32_e32 v18, 51, v18
	v_fmac_f32_e32 v3, v31, v53
	v_cmp_gt_i32_e32 vcc, s33, v21
	v_cmp_gt_i32_e64 s[4:5], s33, v18
	v_cndmask_b32_e32 v21, v19, v3, vcc
	v_cndmask_b32_e64 v18, v19, v2, s[4:5]
	v_mbcnt_lo_u32_b32 v19, -1, 0
	v_mbcnt_hi_u32_b32 v19, -1, v19
	v_max3_f32 v18, v20, v21, v18
	v_and_b32_e32 v20, 64, v19
	v_add_u32_e32 v20, 64, v20
	v_xor_b32_e32 v21, 32, v19
	v_cmp_lt_i32_e64 s[40:41], v21, v20
	v_cndmask_b32_e64 v21, v19, v21, s[40:41]
	v_lshlrev_b32_e32 v21, 2, v21
	ds_bpermute_b32 v22, v21, v18
	s_waitcnt lgkmcnt(0)
	v_max_f32_e32 v22, v22, v22
	v_max_f32_e32 v18, v18, v22
	v_xor_b32_e32 v22, 16, v19
	v_cmp_lt_i32_e64 s[40:41], v22, v20
	v_cndmask_b32_e64 v19, v19, v22, s[40:41]
	v_lshlrev_b32_e32 v19, 2, v19
	ds_bpermute_b32 v20, v19, v18
	s_waitcnt lgkmcnt(0)
	v_max_f32_e32 v20, v20, v20
	v_max_f32_e32 v18, v18, v20
	v_sub_f32_e32 v17, v17, v18
	v_mul_f32_e32 v17, 0x3fb8aa3b, v17
	v_sub_f32_e32 v16, v16, v18
	v_exp_f32_e32 v17, v17
	v_mul_f32_e32 v16, 0x3fb8aa3b, v16
	v_sub_f32_e32 v15, v15, v18
	v_exp_f32_e32 v16, v16
	;; [unrolled: 3-line block ×4, first 2 shown]
	v_mul_f32_e32 v13, 0x3fb8aa3b, v13
	v_sub_f32_e32 v12, v12, v18
	v_cndmask_b32_e64 v17, 0, v17, s[28:29]
	v_exp_f32_e32 v13, v13
	v_mul_f32_e32 v12, 0x3fb8aa3b, v12
	v_sub_f32_e32 v11, v11, v18
	v_add_f32_e32 v20, 0, v17
	v_cndmask_b32_e64 v16, 0, v16, s[30:31]
	v_exp_f32_e32 v12, v12
	v_mul_f32_e32 v11, 0x3fb8aa3b, v11
	v_sub_f32_e32 v10, v10, v18
	v_add_f32_e32 v20, v20, v16
	;; [unrolled: 5-line block ×4, first 2 shown]
	v_cndmask_b32_e64 v13, 0, v13, s[24:25]
	v_exp_f32_e32 v9, v9
	v_mul_f32_e32 v8, 0x3fb8aa3b, v8
	v_sub_f32_e32 v7, v7, v18
	buffer_store_dword v17, off, s[0:3], 0 offset:256
	buffer_store_dword v16, off, s[0:3], 0 offset:260
	buffer_store_dword v15, off, s[0:3], 0 offset:264
	buffer_store_dword v14, off, s[0:3], 0 offset:268
	v_add_f32_e32 v14, v20, v13
	v_cndmask_b32_e64 v12, 0, v12, s[38:39]
	v_exp_f32_e32 v8, v8
	v_mul_f32_e32 v7, 0x3fb8aa3b, v7
	v_sub_f32_e32 v6, v6, v18
	v_add_f32_e32 v14, v14, v12
	v_cndmask_b32_e64 v11, 0, v11, s[20:21]
	v_exp_f32_e32 v7, v7
	v_mul_f32_e32 v6, 0x3fb8aa3b, v6
	v_sub_f32_e32 v5, v5, v18
	;; [unrolled: 5-line block ×4, first 2 shown]
	buffer_store_dword v13, off, s[0:3], 0 offset:272
	buffer_store_dword v12, off, s[0:3], 0 offset:276
	;; [unrolled: 1-line block ×4, first 2 shown]
	v_add_f32_e32 v10, v14, v9
	v_cndmask_b32_e64 v8, 0, v8, s[18:19]
	v_exp_f32_e32 v4, v4
	v_mul_f32_e32 v3, 0x3fb8aa3b, v3
	v_sub_f32_e32 v2, v2, v18
	v_add_f32_e32 v10, v10, v8
	v_cndmask_b32_e64 v7, 0, v7, s[12:13]
	v_exp_f32_e32 v3, v3
	v_mul_f32_e32 v2, 0x3fb8aa3b, v2
	v_add_f32_e32 v10, v10, v7
	v_cndmask_b32_e64 v6, 0, v6, s[14:15]
	v_exp_f32_e32 v2, v2
	v_add_f32_e32 v10, v10, v6
	v_cndmask_b32_e64 v5, 0, v5, s[6:7]
	buffer_store_dword v9, off, s[0:3], 0 offset:288
	buffer_store_dword v8, off, s[0:3], 0 offset:292
	;; [unrolled: 1-line block ×4, first 2 shown]
	v_add_f32_e32 v6, v10, v5
	v_cndmask_b32_e64 v4, 0, v4, s[10:11]
	v_add_f32_e32 v6, v6, v4
	v_cndmask_b32_e32 v3, 0, v3, vcc
	v_add_f32_e32 v6, v6, v3
	v_cndmask_b32_e64 v2, 0, v2, s[4:5]
	v_add_f32_e32 v6, v6, v2
	ds_bpermute_b32 v7, v21, v6
	buffer_store_dword v5, off, s[0:3], 0 offset:304
	buffer_store_dword v4, off, s[0:3], 0 offset:308
	;; [unrolled: 1-line block ×4, first 2 shown]
	v_cmp_gt_u32_e32 vcc, 16, v33
	s_waitcnt lgkmcnt(0)
	s_barrier
	v_add_f32_e32 v2, v6, v7
	ds_bpermute_b32 v3, v19, v2
	s_waitcnt lgkmcnt(0)
	s_and_saveexec_b64 s[4:5], vcc
	s_cbranch_execz .LBB652_209
; %bb.208:
	v_add_f32_e32 v2, v2, v3
	v_lshlrev_b32_e32 v3, 2, v29
	ds_write2st64_b32 v3, v18, v2 offset1:1
.LBB652_209:
	s_or_b64 exec, exec, s[4:5]
	v_lshlrev_b32_e32 v2, 2, v41
	s_waitcnt lgkmcnt(0)
	s_barrier
	ds_read2_b32 v[12:13], v2 offset1:16
	ds_read2_b32 v[14:15], v2 offset0:32 offset1:48
	ds_read2_b32 v[6:7], v2 offset0:64 offset1:80
	;; [unrolled: 1-line block ×3, first 2 shown]
	s_waitcnt lgkmcnt(0)
	s_barrier
	buffer_load_dword v20, off, s[0:3], 0 offset:256
	buffer_load_dword v21, off, s[0:3], 0 offset:260
	;; [unrolled: 1-line block ×16, first 2 shown]
	v_lshlrev_b32_e32 v19, 3, v1
	v_lshlrev_b32_e32 v18, 5, v41
	;; [unrolled: 1-line block ×3, first 2 shown]
	v_or3_b32 v52, v26, v18, v19
	v_max3_f32 v19, v12, s52, v13
	v_max3_f32 v19, v19, v14, v15
	v_sub_f32_e32 v12, v12, v19
	v_sub_f32_e32 v13, v13, v19
	v_mul_f32_e32 v12, 0x3fb8aa3b, v12
	v_sub_f32_e32 v14, v14, v19
	v_mul_f32_e32 v13, 0x3fb8aa3b, v13
	v_exp_f32_e32 v12, v12
	v_sub_f32_e32 v15, v15, v19
	v_mul_f32_e32 v14, 0x3fb8aa3b, v14
	v_exp_f32_e32 v13, v13
	v_mul_f32_e32 v15, 0x3fb8aa3b, v15
	v_exp_f32_e32 v14, v14
	v_exp_f32_e32 v15, v15
	v_fma_f32 v6, v12, v6, 0
	v_fmac_f32_e32 v6, v13, v7
	v_fmac_f32_e32 v6, v14, v10
	;; [unrolled: 1-line block ×3, first 2 shown]
	v_cmp_eq_u32_e32 vcc, 1, v27
	v_add_f32_e32 v10, 0x358637bd, v6
	v_cndmask_b32_e32 v12, v12, v13, vcc
	v_cmp_eq_u32_e32 vcc, 2, v27
	v_div_scale_f32 v11, s[4:5], v10, v10, 1.0
	v_cndmask_b32_e32 v7, v12, v14, vcc
	v_rcp_f32_e32 v12, v11
	v_cmp_eq_u32_e32 vcc, 3, v27
	v_cndmask_b32_e32 v7, v7, v15, vcc
	v_div_scale_f32 v13, vcc, 1.0, v10, 1.0
	v_fma_f32 v14, -v11, v12, 1.0
	v_fmac_f32_e32 v12, v14, v12
	v_mul_f32_e32 v14, v13, v12
	v_fma_f32 v15, -v11, v14, v13
	v_fmac_f32_e32 v14, v15, v12
	v_fma_f32 v11, -v11, v14, v13
	v_div_fmas_f32 v11, v11, v12, v14
	v_div_fixup_f32 v10, v11, v10, 1.0
	v_mul_f32_e32 v10, v7, v10
	s_mul_i32 s18, s49, 15
	v_cmp_gt_u32_e32 vcc, 15, v0
	s_waitcnt vmcnt(14)
	v_pk_mul_f32 v[14:15], v[10:11], v[20:21] op_sel_hi:[0,1]
	v_cvt_f16_f32_e32 v7, v14
	s_waitcnt vmcnt(12)
	v_pk_mul_f32 v[12:13], v[10:11], v[22:23] op_sel_hi:[0,1]
	buffer_store_dword v14, off, s[0:3], 0 offset:256
	buffer_store_dword v15, off, s[0:3], 0 offset:260
	;; [unrolled: 1-line block ×3, first 2 shown]
	s_waitcnt vmcnt(13)
	v_pk_mul_f32 v[20:21], v[10:11], v[24:25] op_sel_hi:[0,1]
	v_cvt_f16_f32_e32 v14, v12
	s_waitcnt vmcnt(11)
	v_pk_mul_f32 v[22:23], v[10:11], v[28:29] op_sel_hi:[0,1]
	v_cvt_f16_f32_e32 v11, v15
	v_cvt_f16_f32_e32 v15, v13
	buffer_store_dword v13, off, s[0:3], 0 offset:268
	buffer_store_dword v22, off, s[0:3], 0 offset:272
	buffer_store_dword v23, off, s[0:3], 0 offset:276
	v_pack_b32_f16 v12, v7, v11
	v_cvt_f16_f32_e32 v11, v23
	v_pack_b32_f16 v13, v14, v15
	v_cvt_f16_f32_e32 v7, v22
	v_cvt_f16_f32_e32 v15, v20
	;; [unrolled: 1-line block ×3, first 2 shown]
	s_waitcnt vmcnt(12)
	v_pk_mul_f32 v[4:5], v[10:11], v[4:5] op_sel_hi:[0,1]
	v_pack_b32_f16 v14, v7, v11
	s_waitcnt vmcnt(10)
	v_pk_mul_f32 v[2:3], v[10:11], v[2:3] op_sel_hi:[0,1]
	v_pack_b32_f16 v15, v15, v22
	v_cvt_f16_f32_e32 v11, v5
	buffer_store_dword v20, off, s[0:3], 0 offset:280
	buffer_store_dword v21, off, s[0:3], 0 offset:284
	ds_write2st64_b64 v52, v[12:13], v[14:15] offset1:1
	buffer_store_dword v2, off, s[0:3], 0 offset:288
	buffer_store_dword v3, off, s[0:3], 0 offset:292
	v_cvt_f16_f32_e32 v2, v2
	v_cvt_f16_f32_e32 v3, v3
	;; [unrolled: 1-line block ×3, first 2 shown]
	buffer_store_dword v4, off, s[0:3], 0 offset:296
	buffer_store_dword v5, off, s[0:3], 0 offset:300
	s_waitcnt vmcnt(12)
	v_pk_mul_f32 v[4:5], v[10:11], v[16:17] op_sel_hi:[0,1]
	v_pk_mul_f32 v[8:9], v[10:11], v[8:9] op_sel_hi:[0,1]
	v_pack_b32_f16 v2, v2, v3
	v_pack_b32_f16 v3, v7, v11
	buffer_store_dword v8, off, s[0:3], 0 offset:304
	buffer_store_dword v9, off, s[0:3], 0 offset:308
	v_cvt_f16_f32_e32 v7, v8
	v_cvt_f16_f32_e32 v8, v9
	;; [unrolled: 1-line block ×4, first 2 shown]
	buffer_store_dword v4, off, s[0:3], 0 offset:312
	buffer_store_dword v5, off, s[0:3], 0 offset:316
	v_pack_b32_f16 v4, v7, v8
	v_pack_b32_f16 v5, v9, v10
	ds_write2st64_b64 v52, v[2:3], v[4:5] offset0:2 offset1:3
	s_and_saveexec_b64 s[4:5], vcc
	s_cbranch_execz .LBB652_211
; %bb.210:
	v_add_co_u32_e32 v4, vcc, s27, v41
	v_addc_co_u32_e64 v5, s[6:7], 0, 0, vcc
	v_mov_b32_e32 v2, s18
	v_mad_u64_u32 v[4:5], s[6:7], s8, v2, v[4:5]
	v_mov_b32_e32 v3, 0
	s_mul_i32 s6, s9, s18
	v_mov_b32_e32 v2, s26
	v_add_u32_e32 v5, s6, v5
	v_mad_u64_u32 v[2:3], s[6:7], v4, s48, v[2:3]
	v_mov_b32_e32 v4, v3
	v_mad_u64_u32 v[4:5], s[6:7], v5, s48, v[4:5]
	v_mov_b32_e32 v3, v4
	v_lshlrev_b64 v[2:3], 2, v[2:3]
	v_mov_b32_e32 v5, s47
	v_add_co_u32_e32 v4, vcc, s46, v2
	v_addc_co_u32_e32 v5, vcc, v5, v3, vcc
	global_store_dword v[4:5], v19, off
	v_mov_b32_e32 v4, s45
	v_add_co_u32_e32 v2, vcc, s44, v2
	v_addc_co_u32_e32 v3, vcc, v4, v3, vcc
	global_store_dword v[2:3], v6, off
.LBB652_211:
	s_or_b64 exec, exec, s[4:5]
	v_lshl_or_b32 v30, v1, 9, v18
	s_waitcnt lgkmcnt(0)
	s_barrier
	s_load_dword s4, s[42:43], 0x0
	ds_read_b128 v[2:5], v30
	ds_read_b128 v[6:9], v30 offset:16
	ds_read_b128 v[10:13], v30 offset:2048
	;; [unrolled: 1-line block ×7, first 2 shown]
	v_mov_b32_e32 v35, 0x80
	v_mov_b32_e32 v53, 0x140
	s_mov_b64 s[10:11], -1
	s_waitcnt lgkmcnt(0)
	s_mov_b32 s5, s4
	s_mov_b32 s6, s4
	;; [unrolled: 1-line block ×3, first 2 shown]
	s_movk_i32 s9, 0x80
	s_movk_i32 s19, 0x7f
	s_mov_b32 s20, 0xffffff
	v_mov_b32_e32 v54, 0
	v_bfrev_b32_e32 v55, 60
	s_branch .LBB652_215
.LBB652_212:                            ;   in Loop: Header=BB652_215 Depth=1
	s_or_b64 exec, exec, s[16:17]
.LBB652_213:                            ;   in Loop: Header=BB652_215 Depth=1
	s_or_b64 exec, exec, s[14:15]
.LBB652_214:                            ;   in Loop: Header=BB652_215 Depth=1
	s_or_b64 exec, exec, s[12:13]
	v_cvt_pkrtz_f16_f32 v60, v46, v50
	v_cvt_pkrtz_f16_f32 v61, v44, v56
	s_xor_b64 s[12:13], s[10:11], -1
	s_mov_b64 s[10:11], 0
	v_mov_b32_e32 v46, v47
	v_mfma_f32_16x16x16f16 v[60:63], v[60:61], v[30:31], v[34:37]
	v_mov_b32_e32 v50, v49
	s_and_b64 vcc, exec, s[12:13]
	s_nop 4
	v_cvt_pkrtz_f16_f32 v36, v51, v57
	v_cvt_pkrtz_f16_f32 v37, v42, v58
	v_mov_b32_e32 v35, v45
	v_mov_b32_e32 v51, v48
	v_mfma_f32_16x16x16f16 v[56:59], v[36:37], v[32:33], v[60:63]
	s_nop 7
	s_nop 2
	v_pk_mul_f32 v[56:57], v[56:57], s[4:5]
	v_pk_mul_f32 v[36:37], v[58:59], s[6:7]
	v_cvt_f16_f32_e32 v34, v56
	v_cvt_f16_f32_e32 v38, v57
	v_cvt_f16_f32_e32 v36, v36
	v_cvt_f16_f32_e32 v37, v37
	v_pack_b32_f16 v34, v34, v38
	v_pack_b32_f16 v36, v36, v37
	buffer_store_dword v34, v53, s[0:3], 0 offen
	buffer_store_dword v36, v53, s[0:3], 0 offen offset:4
	v_mov_b32_e32 v53, 0x148
	s_cbranch_vccnz .LBB652_597
.LBB652_215:                            ; =>This Inner Loop Header: Depth=1
	buffer_load_dword v36, v35, s[0:3], 0 offen
	buffer_load_dword v34, v35, s[0:3], 0 offen offset:4
	buffer_load_dword v40, v35, s[0:3], 0 offen offset:8
	;; [unrolled: 1-line block ×3, first 2 shown]
	v_mov_b32_e32 v35, 0
	s_waitcnt vmcnt(3)
	v_cmp_ne_u16_sdwa s[14:15], v36, v54 src0_sel:BYTE_0 src1_sel:DWORD
	s_and_saveexec_b64 s[12:13], s[14:15]
	s_cbranch_execz .LBB652_221
; %bb.216:                              ;   in Loop: Header=BB652_215 Depth=1
	v_cmp_ne_u16_sdwa s[16:17], v36, s9 src0_sel:BYTE_0 src1_sel:DWORD
	v_bfrev_b32_e32 v35, 1
	s_and_saveexec_b64 s[14:15], s[16:17]
	s_cbranch_execz .LBB652_220
; %bb.217:                              ;   in Loop: Header=BB652_215 Depth=1
	v_and_b32_e32 v37, 0x7f, v36
	v_cmp_ne_u32_e32 vcc, s19, v37
	v_mov_b32_e32 v35, 0x7f800001
	s_and_saveexec_b64 s[16:17], vcc
	s_cbranch_execz .LBB652_219
; %bb.218:                              ;   in Loop: Header=BB652_215 Depth=1
	v_and_b32_e32 v35, 7, v36
	v_ffbh_u32_e32 v44, v35
	v_min_u32_e32 v44, 32, v44
	v_subrev_u32_e32 v56, 28, v44
	v_lshlrev_b64 v[56:57], v56, v[36:37]
	v_lshrrev_b32_e32 v42, 3, v37
	v_sub_u32_e32 v44, 29, v44
	v_and_b32_e32 v56, 7, v56
	v_cmp_gt_u32_e32 vcc, 8, v37
	v_cndmask_b32_e32 v37, v42, v44, vcc
	v_cndmask_b32_e32 v35, v35, v56, vcc
	v_lshlrev_b32_e32 v42, 24, v36
	v_lshlrev_b32_e32 v35, 20, v35
	v_and_b32_e32 v42, 0x80000000, v42
	v_lshl_add_u32 v37, v37, 23, v55
	v_or3_b32 v35, v42, v37, v35
.LBB652_219:                            ;   in Loop: Header=BB652_215 Depth=1
	s_or_b64 exec, exec, s[16:17]
.LBB652_220:                            ;   in Loop: Header=BB652_215 Depth=1
	s_or_b64 exec, exec, s[14:15]
.LBB652_221:                            ;   in Loop: Header=BB652_215 Depth=1
	s_or_b64 exec, exec, s[12:13]
	v_lshrrev_b16_e32 v42, 8, v36
	v_cmp_ne_u16_e32 vcc, 0, v42
	v_mov_b32_e32 v37, 0
	s_and_saveexec_b64 s[12:13], vcc
	s_cbranch_execz .LBB652_227
; %bb.222:                              ;   in Loop: Header=BB652_215 Depth=1
	v_cmp_ne_u16_e32 vcc, s9, v42
	v_bfrev_b32_e32 v37, 1
	s_and_saveexec_b64 s[14:15], vcc
	s_cbranch_execz .LBB652_226
; %bb.223:                              ;   in Loop: Header=BB652_215 Depth=1
	v_and_b32_e32 v44, 0x7f, v42
	v_cmp_ne_u32_e32 vcc, s19, v44
	v_mov_b32_e32 v37, 0x7f800001
	s_and_saveexec_b64 s[16:17], vcc
	s_cbranch_execz .LBB652_225
; %bb.224:                              ;   in Loop: Header=BB652_215 Depth=1
	v_and_b32_e32 v37, 7, v42
	v_ffbh_u32_e32 v56, v37
	v_min_u32_e32 v59, 32, v56
	v_subrev_u32_e32 v56, 28, v59
	v_lshlrev_b64 v[56:57], v56, v[42:43]
	v_lshrrev_b32_e32 v58, 3, v44
	v_sub_u32_e32 v42, 29, v59
	v_and_b32_e32 v56, 7, v56
	v_cmp_gt_u32_e32 vcc, 8, v44
	v_cndmask_b32_e32 v42, v58, v42, vcc
	v_cndmask_b32_e32 v37, v37, v56, vcc
	v_lshlrev_b32_e32 v44, 16, v36
	v_lshlrev_b32_e32 v37, 20, v37
	v_and_b32_e32 v44, 0x80000000, v44
	v_lshl_add_u32 v42, v42, 23, v55
	v_or3_b32 v37, v44, v42, v37
.LBB652_225:                            ;   in Loop: Header=BB652_215 Depth=1
	s_or_b64 exec, exec, s[16:17]
.LBB652_226:                            ;   in Loop: Header=BB652_215 Depth=1
	s_or_b64 exec, exec, s[14:15]
.LBB652_227:                            ;   in Loop: Header=BB652_215 Depth=1
	s_or_b64 exec, exec, s[12:13]
	v_lshrrev_b32_e32 v42, 16, v36
	v_cmp_ne_u16_sdwa s[14:15], v42, v54 src0_sel:BYTE_0 src1_sel:DWORD
	v_mov_b32_e32 v56, 0
	v_mov_b32_e32 v44, 0
	s_and_saveexec_b64 s[12:13], s[14:15]
	s_cbranch_execz .LBB652_233
; %bb.228:                              ;   in Loop: Header=BB652_215 Depth=1
	v_cmp_ne_u16_sdwa s[16:17], v42, s9 src0_sel:BYTE_0 src1_sel:DWORD
	v_bfrev_b32_e32 v44, 1
	s_and_saveexec_b64 s[14:15], s[16:17]
	s_cbranch_execz .LBB652_232
; %bb.229:                              ;   in Loop: Header=BB652_215 Depth=1
	v_bfe_u32 v57, v36, 16, 7
	v_cmp_ne_u32_e32 vcc, s19, v57
	v_mov_b32_e32 v44, 0x7f800001
	s_and_saveexec_b64 s[16:17], vcc
	s_cbranch_execz .LBB652_231
; %bb.230:                              ;   in Loop: Header=BB652_215 Depth=1
	v_and_b32_e32 v44, 7, v42
	v_ffbh_u32_e32 v58, v44
	v_min_u32_e32 v61, 32, v58
	v_subrev_u32_e32 v58, 28, v61
	v_lshlrev_b64 v[58:59], v58, v[42:43]
	v_lshrrev_b32_e32 v60, 3, v57
	v_sub_u32_e32 v59, 29, v61
	v_and_b32_e32 v58, 7, v58
	v_cmp_gt_u32_e32 vcc, 8, v57
	v_cndmask_b32_e32 v57, v60, v59, vcc
	v_cndmask_b32_e32 v44, v44, v58, vcc
	v_lshlrev_b32_e32 v42, 24, v42
	v_lshlrev_b32_e32 v44, 20, v44
	v_and_b32_e32 v42, 0x80000000, v42
	v_lshl_add_u32 v57, v57, 23, v55
	v_or3_b32 v44, v42, v57, v44
.LBB652_231:                            ;   in Loop: Header=BB652_215 Depth=1
	s_or_b64 exec, exec, s[16:17]
.LBB652_232:                            ;   in Loop: Header=BB652_215 Depth=1
	s_or_b64 exec, exec, s[14:15]
.LBB652_233:                            ;   in Loop: Header=BB652_215 Depth=1
	s_or_b64 exec, exec, s[12:13]
	v_cmp_lt_u32_e32 vcc, s20, v36
	s_and_saveexec_b64 s[12:13], vcc
	s_cbranch_execz .LBB652_239
; %bb.234:                              ;   in Loop: Header=BB652_215 Depth=1
	v_lshrrev_b32_e32 v42, 24, v36
	v_cmp_ne_u32_e32 vcc, s9, v42
	v_bfrev_b32_e32 v56, 1
	s_and_saveexec_b64 s[14:15], vcc
	s_cbranch_execz .LBB652_238
; %bb.235:                              ;   in Loop: Header=BB652_215 Depth=1
	v_bfe_u32 v36, v36, 24, 7
	v_cmp_ne_u32_e32 vcc, s19, v36
	v_mov_b32_e32 v56, 0x7f800001
	s_and_saveexec_b64 s[16:17], vcc
	s_cbranch_execz .LBB652_237
; %bb.236:                              ;   in Loop: Header=BB652_215 Depth=1
	v_and_b32_e32 v58, 7, v42
	v_ffbh_u32_e32 v56, v58
	v_min_u32_e32 v60, 32, v56
	v_subrev_u32_e32 v56, 28, v60
	v_lshlrev_b64 v[56:57], v56, v[42:43]
	v_lshrrev_b32_e32 v59, 3, v36
	v_sub_u32_e32 v57, 29, v60
	v_and_b32_e32 v56, 7, v56
	v_cmp_gt_u32_e32 vcc, 8, v36
	v_cndmask_b32_e32 v36, v59, v57, vcc
	v_cndmask_b32_e32 v56, v58, v56, vcc
	v_lshlrev_b32_e32 v42, 24, v42
	v_lshlrev_b32_e32 v56, 20, v56
	v_and_b32_e32 v42, 0x80000000, v42
	v_lshl_add_u32 v36, v36, 23, v55
	v_or3_b32 v56, v42, v36, v56
.LBB652_237:                            ;   in Loop: Header=BB652_215 Depth=1
	s_or_b64 exec, exec, s[16:17]
.LBB652_238:                            ;   in Loop: Header=BB652_215 Depth=1
	s_or_b64 exec, exec, s[14:15]
.LBB652_239:                            ;   in Loop: Header=BB652_215 Depth=1
	s_or_b64 exec, exec, s[12:13]
	s_waitcnt vmcnt(2)
	v_cmp_ne_u16_sdwa s[14:15], v34, v54 src0_sel:BYTE_0 src1_sel:DWORD
	v_mov_b32_e32 v42, 0
	v_mov_b32_e32 v57, 0
	s_and_saveexec_b64 s[12:13], s[14:15]
	s_cbranch_execz .LBB652_245
; %bb.240:                              ;   in Loop: Header=BB652_215 Depth=1
	v_cmp_ne_u16_sdwa s[16:17], v34, s9 src0_sel:BYTE_0 src1_sel:DWORD
	v_bfrev_b32_e32 v57, 1
	s_and_saveexec_b64 s[14:15], s[16:17]
	s_cbranch_execz .LBB652_244
; %bb.241:                              ;   in Loop: Header=BB652_215 Depth=1
	v_and_b32_e32 v36, 0x7f, v34
	v_cmp_ne_u32_e32 vcc, s19, v36
	v_mov_b32_e32 v57, 0x7f800001
	s_and_saveexec_b64 s[16:17], vcc
	s_cbranch_execz .LBB652_243
; %bb.242:                              ;   in Loop: Header=BB652_215 Depth=1
	v_and_b32_e32 v57, 7, v34
	v_ffbh_u32_e32 v58, v57
	v_min_u32_e32 v61, 32, v58
	v_subrev_u32_e32 v58, 28, v61
	v_lshlrev_b64 v[58:59], v58, v[34:35]
	v_lshrrev_b32_e32 v60, 3, v36
	v_sub_u32_e32 v59, 29, v61
	v_and_b32_e32 v58, 7, v58
	v_cmp_gt_u32_e32 vcc, 8, v36
	v_cndmask_b32_e32 v36, v60, v59, vcc
	v_cndmask_b32_e32 v57, v57, v58, vcc
	v_lshlrev_b32_e32 v58, 24, v34
	v_lshlrev_b32_e32 v57, 20, v57
	v_and_b32_e32 v58, 0x80000000, v58
	v_lshl_add_u32 v36, v36, 23, v55
	v_or3_b32 v57, v58, v36, v57
.LBB652_243:                            ;   in Loop: Header=BB652_215 Depth=1
	s_or_b64 exec, exec, s[16:17]
.LBB652_244:                            ;   in Loop: Header=BB652_215 Depth=1
	s_or_b64 exec, exec, s[14:15]
.LBB652_245:                            ;   in Loop: Header=BB652_215 Depth=1
	s_or_b64 exec, exec, s[12:13]
	v_lshrrev_b16_e32 v36, 8, v34
	v_cmp_ne_u16_e32 vcc, 0, v36
	s_and_saveexec_b64 s[12:13], vcc
	s_cbranch_execz .LBB652_251
; %bb.246:                              ;   in Loop: Header=BB652_215 Depth=1
	v_cmp_ne_u16_e32 vcc, s9, v36
	v_bfrev_b32_e32 v42, 1
	s_and_saveexec_b64 s[14:15], vcc
	s_cbranch_execz .LBB652_250
; %bb.247:                              ;   in Loop: Header=BB652_215 Depth=1
	v_and_b32_e32 v58, 0x7f, v36
	v_cmp_ne_u32_e32 vcc, s19, v58
	v_mov_b32_e32 v42, 0x7f800001
	s_and_saveexec_b64 s[16:17], vcc
	s_cbranch_execz .LBB652_249
; %bb.248:                              ;   in Loop: Header=BB652_215 Depth=1
	v_and_b32_e32 v42, 7, v36
	v_ffbh_u32_e32 v60, v42
	v_min_u32_e32 v62, 32, v60
	v_subrev_u32_e32 v60, 28, v62
	v_lshlrev_b64 v[60:61], v60, v[36:37]
	v_lshrrev_b32_e32 v59, 3, v58
	v_sub_u32_e32 v36, 29, v62
	v_and_b32_e32 v60, 7, v60
	v_cmp_gt_u32_e32 vcc, 8, v58
	v_cndmask_b32_e32 v36, v59, v36, vcc
	v_cndmask_b32_e32 v42, v42, v60, vcc
	v_lshlrev_b32_e32 v58, 16, v34
	v_lshlrev_b32_e32 v42, 20, v42
	v_and_b32_e32 v58, 0x80000000, v58
	v_lshl_add_u32 v36, v36, 23, v55
	v_or3_b32 v42, v58, v36, v42
.LBB652_249:                            ;   in Loop: Header=BB652_215 Depth=1
	s_or_b64 exec, exec, s[16:17]
.LBB652_250:                            ;   in Loop: Header=BB652_215 Depth=1
	s_or_b64 exec, exec, s[14:15]
.LBB652_251:                            ;   in Loop: Header=BB652_215 Depth=1
	s_or_b64 exec, exec, s[12:13]
	v_lshrrev_b32_e32 v36, 16, v34
	v_cmp_ne_u16_sdwa s[14:15], v36, v54 src0_sel:BYTE_0 src1_sel:DWORD
	v_mov_b32_e32 v59, 0
	v_mov_b32_e32 v58, 0
	s_and_saveexec_b64 s[12:13], s[14:15]
	s_cbranch_execz .LBB652_257
; %bb.252:                              ;   in Loop: Header=BB652_215 Depth=1
	v_cmp_ne_u16_sdwa s[16:17], v36, s9 src0_sel:BYTE_0 src1_sel:DWORD
	v_bfrev_b32_e32 v58, 1
	s_and_saveexec_b64 s[14:15], s[16:17]
	s_cbranch_execz .LBB652_256
; %bb.253:                              ;   in Loop: Header=BB652_215 Depth=1
	v_bfe_u32 v60, v34, 16, 7
	v_cmp_ne_u32_e32 vcc, s19, v60
	v_mov_b32_e32 v58, 0x7f800001
	s_and_saveexec_b64 s[16:17], vcc
	s_cbranch_execz .LBB652_255
; %bb.254:                              ;   in Loop: Header=BB652_215 Depth=1
	v_and_b32_e32 v58, 7, v36
	v_ffbh_u32_e32 v62, v58
	v_min_u32_e32 v64, 32, v62
	v_subrev_u32_e32 v62, 28, v64
	v_lshlrev_b64 v[62:63], v62, v[36:37]
	v_lshrrev_b32_e32 v61, 3, v60
	v_sub_u32_e32 v63, 29, v64
	v_and_b32_e32 v62, 7, v62
	v_cmp_gt_u32_e32 vcc, 8, v60
	v_cndmask_b32_e32 v60, v61, v63, vcc
	v_cndmask_b32_e32 v58, v58, v62, vcc
	v_lshlrev_b32_e32 v36, 24, v36
	v_lshlrev_b32_e32 v58, 20, v58
	v_and_b32_e32 v36, 0x80000000, v36
	v_lshl_add_u32 v60, v60, 23, v55
	v_or3_b32 v58, v36, v60, v58
.LBB652_255:                            ;   in Loop: Header=BB652_215 Depth=1
	s_or_b64 exec, exec, s[16:17]
.LBB652_256:                            ;   in Loop: Header=BB652_215 Depth=1
	s_or_b64 exec, exec, s[14:15]
.LBB652_257:                            ;   in Loop: Header=BB652_215 Depth=1
	s_or_b64 exec, exec, s[12:13]
	v_cmp_lt_u32_e32 vcc, s20, v34
	s_and_saveexec_b64 s[12:13], vcc
	s_cbranch_execz .LBB652_263
; %bb.258:                              ;   in Loop: Header=BB652_215 Depth=1
	v_lshrrev_b32_e32 v36, 24, v34
	v_cmp_ne_u32_e32 vcc, s9, v36
	v_bfrev_b32_e32 v59, 1
	s_and_saveexec_b64 s[14:15], vcc
	s_cbranch_execz .LBB652_262
; %bb.259:                              ;   in Loop: Header=BB652_215 Depth=1
	v_bfe_u32 v34, v34, 24, 7
	v_cmp_ne_u32_e32 vcc, s19, v34
	v_mov_b32_e32 v59, 0x7f800001
	s_and_saveexec_b64 s[16:17], vcc
	s_cbranch_execz .LBB652_261
; %bb.260:                              ;   in Loop: Header=BB652_215 Depth=1
	v_and_b32_e32 v59, 7, v36
	v_ffbh_u32_e32 v60, v59
	v_min_u32_e32 v63, 32, v60
	v_subrev_u32_e32 v60, 28, v63
	v_lshlrev_b64 v[60:61], v60, v[36:37]
	v_lshrrev_b32_e32 v62, 3, v34
	v_sub_u32_e32 v61, 29, v63
	v_and_b32_e32 v60, 7, v60
	v_cmp_gt_u32_e32 vcc, 8, v34
	v_cndmask_b32_e32 v34, v62, v61, vcc
	v_cndmask_b32_e32 v59, v59, v60, vcc
	v_lshlrev_b32_e32 v36, 24, v36
	v_lshlrev_b32_e32 v59, 20, v59
	v_and_b32_e32 v36, 0x80000000, v36
	v_lshl_add_u32 v34, v34, 23, v55
	v_or3_b32 v59, v36, v34, v59
.LBB652_261:                            ;   in Loop: Header=BB652_215 Depth=1
	s_or_b64 exec, exec, s[16:17]
.LBB652_262:                            ;   in Loop: Header=BB652_215 Depth=1
	s_or_b64 exec, exec, s[14:15]
.LBB652_263:                            ;   in Loop: Header=BB652_215 Depth=1
	s_or_b64 exec, exec, s[12:13]
	v_cvt_pkrtz_f16_f32 v34, v35, v37
	v_cvt_pkrtz_f16_f32 v35, v44, v56
	;; [unrolled: 1-line block ×4, first 2 shown]
	v_mov_b32_e32 v44, 0
	v_mfma_f32_16x16x16f16 v[34:37], v[34:35], v[2:3], 0
	s_waitcnt vmcnt(1)
	v_cmp_ne_u16_sdwa s[14:15], v40, v54 src0_sel:BYTE_0 src1_sel:DWORD
	v_mov_b32_e32 v57, 0
	v_mfma_f32_16x16x16f16 v[34:37], v[60:61], v[4:5], v[34:37]
	s_and_saveexec_b64 s[12:13], s[14:15]
	s_cbranch_execz .LBB652_269
; %bb.264:                              ;   in Loop: Header=BB652_215 Depth=1
	v_cmp_ne_u16_sdwa s[16:17], v40, s9 src0_sel:BYTE_0 src1_sel:DWORD
	v_bfrev_b32_e32 v57, 1
	s_and_saveexec_b64 s[14:15], s[16:17]
	s_cbranch_execz .LBB652_268
; %bb.265:                              ;   in Loop: Header=BB652_215 Depth=1
	v_and_b32_e32 v42, 0x7f, v40
	v_cmp_ne_u32_e32 vcc, s19, v42
	v_mov_b32_e32 v57, 0x7f800001
	s_and_saveexec_b64 s[16:17], vcc
	s_cbranch_execz .LBB652_267
; %bb.266:                              ;   in Loop: Header=BB652_215 Depth=1
	v_and_b32_e32 v58, 7, v40
	v_ffbh_u32_e32 v56, v58
	v_min_u32_e32 v60, 32, v56
	v_subrev_u32_e32 v56, 28, v60
	v_lshlrev_b64 v[56:57], v56, v[40:41]
	v_lshrrev_b32_e32 v59, 3, v42
	v_sub_u32_e32 v57, 29, v60
	v_and_b32_e32 v56, 7, v56
	v_cmp_gt_u32_e32 vcc, 8, v42
	v_cndmask_b32_e32 v42, v59, v57, vcc
	v_cndmask_b32_e32 v56, v58, v56, vcc
	v_lshlrev_b32_e32 v57, 24, v40
	v_lshlrev_b32_e32 v56, 20, v56
	v_and_b32_e32 v57, 0x80000000, v57
	v_lshl_add_u32 v42, v42, 23, v55
	v_or3_b32 v57, v57, v42, v56
.LBB652_267:                            ;   in Loop: Header=BB652_215 Depth=1
	s_or_b64 exec, exec, s[16:17]
.LBB652_268:                            ;   in Loop: Header=BB652_215 Depth=1
	s_or_b64 exec, exec, s[14:15]
.LBB652_269:                            ;   in Loop: Header=BB652_215 Depth=1
	s_or_b64 exec, exec, s[12:13]
	v_lshrrev_b16_e32 v42, 8, v40
	v_cmp_ne_u16_e32 vcc, 0, v42
	v_mov_b32_e32 v58, 0
	s_and_saveexec_b64 s[12:13], vcc
	s_cbranch_execz .LBB652_275
; %bb.270:                              ;   in Loop: Header=BB652_215 Depth=1
	v_cmp_ne_u16_e32 vcc, s9, v42
	v_bfrev_b32_e32 v58, 1
	s_and_saveexec_b64 s[14:15], vcc
	s_cbranch_execz .LBB652_274
; %bb.271:                              ;   in Loop: Header=BB652_215 Depth=1
	v_and_b32_e32 v56, 0x7f, v42
	v_cmp_ne_u32_e32 vcc, s19, v56
	v_mov_b32_e32 v58, 0x7f800001
	s_and_saveexec_b64 s[16:17], vcc
	s_cbranch_execz .LBB652_273
; %bb.272:                              ;   in Loop: Header=BB652_215 Depth=1
	v_and_b32_e32 v60, 7, v42
	v_ffbh_u32_e32 v58, v60
	v_min_u32_e32 v62, 32, v58
	v_subrev_u32_e32 v58, 28, v62
	v_lshlrev_b64 v[58:59], v58, v[42:43]
	v_lshrrev_b32_e32 v61, 3, v56
	v_sub_u32_e32 v42, 29, v62
	v_and_b32_e32 v58, 7, v58
	v_cmp_gt_u32_e32 vcc, 8, v56
	v_cndmask_b32_e32 v42, v61, v42, vcc
	v_cndmask_b32_e32 v56, v60, v58, vcc
	v_lshlrev_b32_e32 v58, 16, v40
	v_lshlrev_b32_e32 v56, 20, v56
	v_and_b32_e32 v58, 0x80000000, v58
	v_lshl_add_u32 v42, v42, 23, v55
	v_or3_b32 v58, v58, v42, v56
.LBB652_273:                            ;   in Loop: Header=BB652_215 Depth=1
	s_or_b64 exec, exec, s[16:17]
.LBB652_274:                            ;   in Loop: Header=BB652_215 Depth=1
	s_or_b64 exec, exec, s[14:15]
.LBB652_275:                            ;   in Loop: Header=BB652_215 Depth=1
	s_or_b64 exec, exec, s[12:13]
	v_lshrrev_b32_e32 v42, 16, v40
	v_cmp_ne_u16_sdwa s[14:15], v42, v54 src0_sel:BYTE_0 src1_sel:DWORD
	s_and_saveexec_b64 s[12:13], s[14:15]
	s_cbranch_execz .LBB652_281
; %bb.276:                              ;   in Loop: Header=BB652_215 Depth=1
	v_cmp_ne_u16_sdwa s[16:17], v42, s9 src0_sel:BYTE_0 src1_sel:DWORD
	v_bfrev_b32_e32 v44, 1
	s_and_saveexec_b64 s[14:15], s[16:17]
	s_cbranch_execz .LBB652_280
; %bb.277:                              ;   in Loop: Header=BB652_215 Depth=1
	v_bfe_u32 v56, v40, 16, 7
	v_cmp_ne_u32_e32 vcc, s19, v56
	v_mov_b32_e32 v44, 0x7f800001
	s_and_saveexec_b64 s[16:17], vcc
	s_cbranch_execz .LBB652_279
; %bb.278:                              ;   in Loop: Header=BB652_215 Depth=1
	v_and_b32_e32 v44, 7, v42
	v_ffbh_u32_e32 v60, v44
	v_min_u32_e32 v62, 32, v60
	v_subrev_u32_e32 v60, 28, v62
	v_lshlrev_b64 v[60:61], v60, v[42:43]
	v_lshrrev_b32_e32 v59, 3, v56
	v_sub_u32_e32 v61, 29, v62
	v_and_b32_e32 v60, 7, v60
	v_cmp_gt_u32_e32 vcc, 8, v56
	v_cndmask_b32_e32 v56, v59, v61, vcc
	v_cndmask_b32_e32 v44, v44, v60, vcc
	v_lshlrev_b32_e32 v42, 24, v42
	v_lshlrev_b32_e32 v44, 20, v44
	v_and_b32_e32 v42, 0x80000000, v42
	v_lshl_add_u32 v56, v56, 23, v55
	v_or3_b32 v44, v42, v56, v44
.LBB652_279:                            ;   in Loop: Header=BB652_215 Depth=1
	s_or_b64 exec, exec, s[16:17]
.LBB652_280:                            ;   in Loop: Header=BB652_215 Depth=1
	s_or_b64 exec, exec, s[14:15]
.LBB652_281:                            ;   in Loop: Header=BB652_215 Depth=1
	s_or_b64 exec, exec, s[12:13]
	v_cmp_lt_u32_e32 vcc, s20, v40
	v_mov_b32_e32 v59, 0
	v_mov_b32_e32 v60, 0
	s_and_saveexec_b64 s[12:13], vcc
	s_cbranch_execz .LBB652_287
; %bb.282:                              ;   in Loop: Header=BB652_215 Depth=1
	v_lshrrev_b32_e32 v42, 24, v40
	v_cmp_ne_u32_e32 vcc, s9, v42
	v_bfrev_b32_e32 v60, 1
	s_and_saveexec_b64 s[14:15], vcc
	s_cbranch_execz .LBB652_286
; %bb.283:                              ;   in Loop: Header=BB652_215 Depth=1
	v_bfe_u32 v40, v40, 24, 7
	v_cmp_ne_u32_e32 vcc, s19, v40
	v_mov_b32_e32 v60, 0x7f800001
	s_and_saveexec_b64 s[16:17], vcc
	s_cbranch_execz .LBB652_285
; %bb.284:                              ;   in Loop: Header=BB652_215 Depth=1
	v_and_b32_e32 v56, 7, v42
	v_ffbh_u32_e32 v60, v56
	v_min_u32_e32 v63, 32, v60
	v_subrev_u32_e32 v60, 28, v63
	v_lshlrev_b64 v[60:61], v60, v[42:43]
	v_lshrrev_b32_e32 v62, 3, v40
	v_sub_u32_e32 v61, 29, v63
	v_and_b32_e32 v60, 7, v60
	v_cmp_gt_u32_e32 vcc, 8, v40
	v_cndmask_b32_e32 v40, v62, v61, vcc
	v_cndmask_b32_e32 v56, v56, v60, vcc
	v_lshlrev_b32_e32 v42, 24, v42
	v_lshlrev_b32_e32 v56, 20, v56
	v_and_b32_e32 v42, 0x80000000, v42
	v_lshl_add_u32 v40, v40, 23, v55
	v_or3_b32 v60, v42, v40, v56
.LBB652_285:                            ;   in Loop: Header=BB652_215 Depth=1
	s_or_b64 exec, exec, s[16:17]
.LBB652_286:                            ;   in Loop: Header=BB652_215 Depth=1
	s_or_b64 exec, exec, s[14:15]
.LBB652_287:                            ;   in Loop: Header=BB652_215 Depth=1
	s_or_b64 exec, exec, s[12:13]
	s_waitcnt vmcnt(0)
	v_cmp_ne_u16_sdwa s[14:15], v38, v54 src0_sel:BYTE_0 src1_sel:DWORD
	s_and_saveexec_b64 s[12:13], s[14:15]
	s_cbranch_execz .LBB652_293
; %bb.288:                              ;   in Loop: Header=BB652_215 Depth=1
	v_cmp_ne_u16_sdwa s[16:17], v38, s9 src0_sel:BYTE_0 src1_sel:DWORD
	v_bfrev_b32_e32 v59, 1
	s_and_saveexec_b64 s[14:15], s[16:17]
	s_cbranch_execz .LBB652_292
; %bb.289:                              ;   in Loop: Header=BB652_215 Depth=1
	v_and_b32_e32 v40, 0x7f, v38
	v_cmp_ne_u32_e32 vcc, s19, v40
	v_mov_b32_e32 v59, 0x7f800001
	s_and_saveexec_b64 s[16:17], vcc
	s_cbranch_execz .LBB652_291
; %bb.290:                              ;   in Loop: Header=BB652_215 Depth=1
	v_and_b32_e32 v42, 7, v38
	v_ffbh_u32_e32 v59, v42
	v_min_u32_e32 v59, 32, v59
	v_subrev_u32_e32 v61, 28, v59
	v_lshlrev_b64 v[62:63], v61, v[38:39]
	v_lshrrev_b32_e32 v56, 3, v40
	v_sub_u32_e32 v59, 29, v59
	v_and_b32_e32 v61, 7, v62
	v_cmp_gt_u32_e32 vcc, 8, v40
	v_cndmask_b32_e32 v40, v56, v59, vcc
	v_cndmask_b32_e32 v42, v42, v61, vcc
	v_lshlrev_b32_e32 v56, 24, v38
	v_lshlrev_b32_e32 v42, 20, v42
	v_and_b32_e32 v56, 0x80000000, v56
	v_lshl_add_u32 v40, v40, 23, v55
	v_or3_b32 v59, v56, v40, v42
.LBB652_291:                            ;   in Loop: Header=BB652_215 Depth=1
	s_or_b64 exec, exec, s[16:17]
.LBB652_292:                            ;   in Loop: Header=BB652_215 Depth=1
	s_or_b64 exec, exec, s[14:15]
.LBB652_293:                            ;   in Loop: Header=BB652_215 Depth=1
	s_or_b64 exec, exec, s[12:13]
	v_lshrrev_b16_e32 v40, 8, v38
	v_cmp_ne_u16_e32 vcc, 0, v40
	v_mov_b32_e32 v61, 0
	v_mov_b32_e32 v62, 0
	s_and_saveexec_b64 s[12:13], vcc
	s_cbranch_execz .LBB652_299
; %bb.294:                              ;   in Loop: Header=BB652_215 Depth=1
	v_cmp_ne_u16_e32 vcc, s9, v40
	v_bfrev_b32_e32 v62, 1
	s_and_saveexec_b64 s[14:15], vcc
	s_cbranch_execz .LBB652_298
; %bb.295:                              ;   in Loop: Header=BB652_215 Depth=1
	v_and_b32_e32 v42, 0x7f, v40
	v_cmp_ne_u32_e32 vcc, s19, v42
	v_mov_b32_e32 v62, 0x7f800001
	s_and_saveexec_b64 s[16:17], vcc
	s_cbranch_execz .LBB652_297
; %bb.296:                              ;   in Loop: Header=BB652_215 Depth=1
	v_and_b32_e32 v56, 7, v40
	v_ffbh_u32_e32 v62, v56
	v_min_u32_e32 v65, 32, v62
	v_subrev_u32_e32 v62, 28, v65
	v_lshlrev_b64 v[62:63], v62, v[40:41]
	v_lshrrev_b32_e32 v64, 3, v42
	v_sub_u32_e32 v40, 29, v65
	v_and_b32_e32 v62, 7, v62
	v_cmp_gt_u32_e32 vcc, 8, v42
	v_cndmask_b32_e32 v40, v64, v40, vcc
	v_cndmask_b32_e32 v42, v56, v62, vcc
	v_lshlrev_b32_e32 v56, 16, v38
	v_lshlrev_b32_e32 v42, 20, v42
	v_and_b32_e32 v56, 0x80000000, v56
	v_lshl_add_u32 v40, v40, 23, v55
	v_or3_b32 v62, v56, v40, v42
.LBB652_297:                            ;   in Loop: Header=BB652_215 Depth=1
	s_or_b64 exec, exec, s[16:17]
.LBB652_298:                            ;   in Loop: Header=BB652_215 Depth=1
	s_or_b64 exec, exec, s[14:15]
.LBB652_299:                            ;   in Loop: Header=BB652_215 Depth=1
	s_or_b64 exec, exec, s[12:13]
	v_lshrrev_b32_e32 v40, 16, v38
	v_cmp_ne_u16_sdwa s[14:15], v40, v54 src0_sel:BYTE_0 src1_sel:DWORD
	s_and_saveexec_b64 s[12:13], s[14:15]
	s_cbranch_execz .LBB652_305
; %bb.300:                              ;   in Loop: Header=BB652_215 Depth=1
	v_cmp_ne_u16_sdwa s[16:17], v40, s9 src0_sel:BYTE_0 src1_sel:DWORD
	v_bfrev_b32_e32 v61, 1
	s_and_saveexec_b64 s[14:15], s[16:17]
	s_cbranch_execz .LBB652_304
; %bb.301:                              ;   in Loop: Header=BB652_215 Depth=1
	v_bfe_u32 v42, v38, 16, 7
	v_cmp_ne_u32_e32 vcc, s19, v42
	v_mov_b32_e32 v61, 0x7f800001
	s_and_saveexec_b64 s[16:17], vcc
	s_cbranch_execz .LBB652_303
; %bb.302:                              ;   in Loop: Header=BB652_215 Depth=1
	v_and_b32_e32 v56, 7, v40
	v_ffbh_u32_e32 v63, v56
	v_min_u32_e32 v63, 32, v63
	v_subrev_u32_e32 v64, 28, v63
	v_lshlrev_b64 v[64:65], v64, v[40:41]
	v_lshrrev_b32_e32 v61, 3, v42
	v_sub_u32_e32 v63, 29, v63
	v_and_b32_e32 v64, 7, v64
	v_cmp_gt_u32_e32 vcc, 8, v42
	v_cndmask_b32_e32 v42, v61, v63, vcc
	v_cndmask_b32_e32 v56, v56, v64, vcc
	v_lshlrev_b32_e32 v40, 24, v40
	v_lshlrev_b32_e32 v56, 20, v56
	v_and_b32_e32 v40, 0x80000000, v40
	v_lshl_add_u32 v42, v42, 23, v55
	v_or3_b32 v61, v40, v42, v56
.LBB652_303:                            ;   in Loop: Header=BB652_215 Depth=1
	s_or_b64 exec, exec, s[16:17]
.LBB652_304:                            ;   in Loop: Header=BB652_215 Depth=1
	s_or_b64 exec, exec, s[14:15]
.LBB652_305:                            ;   in Loop: Header=BB652_215 Depth=1
	s_or_b64 exec, exec, s[12:13]
	v_cmp_lt_u32_e32 vcc, s20, v38
	v_mov_b32_e32 v56, 0
	v_mov_b32_e32 v63, 0
	s_and_saveexec_b64 s[12:13], vcc
	s_cbranch_execz .LBB652_311
; %bb.306:                              ;   in Loop: Header=BB652_215 Depth=1
	v_lshrrev_b32_e32 v40, 24, v38
	v_cmp_ne_u32_e32 vcc, s9, v40
	v_bfrev_b32_e32 v63, 1
	s_and_saveexec_b64 s[14:15], vcc
	s_cbranch_execz .LBB652_310
; %bb.307:                              ;   in Loop: Header=BB652_215 Depth=1
	v_bfe_u32 v38, v38, 24, 7
	v_cmp_ne_u32_e32 vcc, s19, v38
	v_mov_b32_e32 v63, 0x7f800001
	s_and_saveexec_b64 s[16:17], vcc
	s_cbranch_execz .LBB652_309
; %bb.308:                              ;   in Loop: Header=BB652_215 Depth=1
	v_and_b32_e32 v42, 7, v40
	v_ffbh_u32_e32 v64, v42
	v_min_u32_e32 v66, 32, v64
	v_subrev_u32_e32 v64, 28, v66
	v_lshlrev_b64 v[64:65], v64, v[40:41]
	v_lshrrev_b32_e32 v63, 3, v38
	v_sub_u32_e32 v65, 29, v66
	v_and_b32_e32 v64, 7, v64
	v_cmp_gt_u32_e32 vcc, 8, v38
	v_cndmask_b32_e32 v38, v63, v65, vcc
	v_cndmask_b32_e32 v42, v42, v64, vcc
	v_lshlrev_b32_e32 v40, 24, v40
	v_lshlrev_b32_e32 v42, 20, v42
	v_and_b32_e32 v40, 0x80000000, v40
	v_lshl_add_u32 v38, v38, 23, v55
	v_or3_b32 v63, v40, v38, v42
.LBB652_309:                            ;   in Loop: Header=BB652_215 Depth=1
	s_or_b64 exec, exec, s[16:17]
.LBB652_310:                            ;   in Loop: Header=BB652_215 Depth=1
	s_or_b64 exec, exec, s[14:15]
.LBB652_311:                            ;   in Loop: Header=BB652_215 Depth=1
	s_or_b64 exec, exec, s[12:13]
	v_cvt_pkrtz_f16_f32 v65, v44, v60
	buffer_load_dword v44, v46, s[0:3], 0 offen
	buffer_load_dword v42, v46, s[0:3], 0 offen offset:4
	buffer_load_dword v40, v46, s[0:3], 0 offen offset:8
	;; [unrolled: 1-line block ×3, first 2 shown]
	v_cvt_pkrtz_f16_f32 v64, v57, v58
	v_cvt_pkrtz_f16_f32 v58, v59, v62
	;; [unrolled: 1-line block ×3, first 2 shown]
	v_mfma_f32_16x16x16f16 v[34:37], v[64:65], v[6:7], v[34:37]
	s_waitcnt vmcnt(3)
	v_cmp_ne_u16_sdwa s[14:15], v44, v54 src0_sel:BYTE_0 src1_sel:DWORD
	v_mfma_f32_16x16x16f16 v[34:37], v[58:59], v[8:9], v[34:37]
	s_and_saveexec_b64 s[12:13], s[14:15]
	s_cbranch_execz .LBB652_317
; %bb.312:                              ;   in Loop: Header=BB652_215 Depth=1
	v_cmp_ne_u16_sdwa s[16:17], v44, s9 src0_sel:BYTE_0 src1_sel:DWORD
	v_bfrev_b32_e32 v56, 1
	s_and_saveexec_b64 s[14:15], s[16:17]
	s_cbranch_execz .LBB652_316
; %bb.313:                              ;   in Loop: Header=BB652_215 Depth=1
	v_and_b32_e32 v46, 0x7f, v44
	v_cmp_ne_u32_e32 vcc, s19, v46
	v_mov_b32_e32 v56, 0x7f800001
	s_and_saveexec_b64 s[16:17], vcc
	s_cbranch_execz .LBB652_315
; %bb.314:                              ;   in Loop: Header=BB652_215 Depth=1
	v_and_b32_e32 v58, 7, v44
	v_ffbh_u32_e32 v56, v58
	v_min_u32_e32 v60, 32, v56
	v_subrev_u32_e32 v56, 28, v60
	v_lshlrev_b64 v[56:57], v56, v[44:45]
	v_lshrrev_b32_e32 v59, 3, v46
	v_sub_u32_e32 v57, 29, v60
	v_and_b32_e32 v56, 7, v56
	v_cmp_gt_u32_e32 vcc, 8, v46
	v_cndmask_b32_e32 v46, v59, v57, vcc
	v_cndmask_b32_e32 v56, v58, v56, vcc
	v_lshlrev_b32_e32 v57, 24, v44
	v_lshlrev_b32_e32 v56, 20, v56
	v_and_b32_e32 v57, 0x80000000, v57
	v_lshl_add_u32 v46, v46, 23, v55
	v_or3_b32 v56, v57, v46, v56
.LBB652_315:                            ;   in Loop: Header=BB652_215 Depth=1
	s_or_b64 exec, exec, s[16:17]
.LBB652_316:                            ;   in Loop: Header=BB652_215 Depth=1
	s_or_b64 exec, exec, s[14:15]
.LBB652_317:                            ;   in Loop: Header=BB652_215 Depth=1
	s_or_b64 exec, exec, s[12:13]
	v_lshrrev_b16_e32 v46, 8, v44
	v_cmp_ne_u16_e32 vcc, 0, v46
	v_mov_b32_e32 v57, 0
	v_mov_b32_e32 v58, 0
	s_and_saveexec_b64 s[12:13], vcc
	s_cbranch_execz .LBB652_323
; %bb.318:                              ;   in Loop: Header=BB652_215 Depth=1
	v_cmp_ne_u16_e32 vcc, s9, v46
	v_bfrev_b32_e32 v58, 1
	s_and_saveexec_b64 s[14:15], vcc
	s_cbranch_execz .LBB652_322
; %bb.319:                              ;   in Loop: Header=BB652_215 Depth=1
	v_and_b32_e32 v59, 0x7f, v46
	v_cmp_ne_u32_e32 vcc, s19, v59
	v_mov_b32_e32 v58, 0x7f800001
	s_and_saveexec_b64 s[16:17], vcc
	s_cbranch_execz .LBB652_321
; %bb.320:                              ;   in Loop: Header=BB652_215 Depth=1
	v_and_b32_e32 v58, 7, v46
	v_ffbh_u32_e32 v60, v58
	v_min_u32_e32 v63, 32, v60
	v_subrev_u32_e32 v60, 28, v63
	v_lshlrev_b64 v[60:61], v60, v[46:47]
	v_lshrrev_b32_e32 v62, 3, v59
	v_sub_u32_e32 v46, 29, v63
	v_and_b32_e32 v60, 7, v60
	v_cmp_gt_u32_e32 vcc, 8, v59
	v_cndmask_b32_e32 v46, v62, v46, vcc
	v_cndmask_b32_e32 v58, v58, v60, vcc
	v_lshlrev_b32_e32 v59, 16, v44
	v_lshlrev_b32_e32 v58, 20, v58
	v_and_b32_e32 v59, 0x80000000, v59
	v_lshl_add_u32 v46, v46, 23, v55
	v_or3_b32 v58, v59, v46, v58
.LBB652_321:                            ;   in Loop: Header=BB652_215 Depth=1
	s_or_b64 exec, exec, s[16:17]
.LBB652_322:                            ;   in Loop: Header=BB652_215 Depth=1
	s_or_b64 exec, exec, s[14:15]
.LBB652_323:                            ;   in Loop: Header=BB652_215 Depth=1
	s_or_b64 exec, exec, s[12:13]
	v_lshrrev_b32_e32 v46, 16, v44
	v_cmp_ne_u16_sdwa s[14:15], v46, v54 src0_sel:BYTE_0 src1_sel:DWORD
	s_and_saveexec_b64 s[12:13], s[14:15]
	s_cbranch_execz .LBB652_329
; %bb.324:                              ;   in Loop: Header=BB652_215 Depth=1
	v_cmp_ne_u16_sdwa s[16:17], v46, s9 src0_sel:BYTE_0 src1_sel:DWORD
	v_bfrev_b32_e32 v57, 1
	s_and_saveexec_b64 s[14:15], s[16:17]
	s_cbranch_execz .LBB652_328
; %bb.325:                              ;   in Loop: Header=BB652_215 Depth=1
	v_bfe_u32 v59, v44, 16, 7
	v_cmp_ne_u32_e32 vcc, s19, v59
	v_mov_b32_e32 v57, 0x7f800001
	s_and_saveexec_b64 s[16:17], vcc
	s_cbranch_execz .LBB652_327
; %bb.326:                              ;   in Loop: Header=BB652_215 Depth=1
	v_and_b32_e32 v57, 7, v46
	v_ffbh_u32_e32 v60, v57
	v_min_u32_e32 v63, 32, v60
	v_subrev_u32_e32 v60, 28, v63
	v_lshlrev_b64 v[60:61], v60, v[46:47]
	v_lshrrev_b32_e32 v62, 3, v59
	v_sub_u32_e32 v61, 29, v63
	v_and_b32_e32 v60, 7, v60
	v_cmp_gt_u32_e32 vcc, 8, v59
	v_cndmask_b32_e32 v59, v62, v61, vcc
	v_cndmask_b32_e32 v57, v57, v60, vcc
	v_lshlrev_b32_e32 v46, 24, v46
	v_lshlrev_b32_e32 v57, 20, v57
	v_and_b32_e32 v46, 0x80000000, v46
	v_lshl_add_u32 v59, v59, 23, v55
	v_or3_b32 v57, v46, v59, v57
.LBB652_327:                            ;   in Loop: Header=BB652_215 Depth=1
	s_or_b64 exec, exec, s[16:17]
.LBB652_328:                            ;   in Loop: Header=BB652_215 Depth=1
	s_or_b64 exec, exec, s[14:15]
.LBB652_329:                            ;   in Loop: Header=BB652_215 Depth=1
	s_or_b64 exec, exec, s[12:13]
	v_cmp_lt_u32_e32 vcc, s20, v44
	v_mov_b32_e32 v59, 0
	v_mov_b32_e32 v60, 0
	s_and_saveexec_b64 s[12:13], vcc
	s_cbranch_execz .LBB652_335
; %bb.330:                              ;   in Loop: Header=BB652_215 Depth=1
	v_lshrrev_b32_e32 v46, 24, v44
	v_cmp_ne_u32_e32 vcc, s9, v46
	v_bfrev_b32_e32 v60, 1
	s_and_saveexec_b64 s[14:15], vcc
	s_cbranch_execz .LBB652_334
; %bb.331:                              ;   in Loop: Header=BB652_215 Depth=1
	v_bfe_u32 v44, v44, 24, 7
	v_cmp_ne_u32_e32 vcc, s19, v44
	v_mov_b32_e32 v60, 0x7f800001
	s_and_saveexec_b64 s[16:17], vcc
	s_cbranch_execz .LBB652_333
; %bb.332:                              ;   in Loop: Header=BB652_215 Depth=1
	v_and_b32_e32 v62, 7, v46
	v_ffbh_u32_e32 v60, v62
	v_min_u32_e32 v64, 32, v60
	v_subrev_u32_e32 v60, 28, v64
	v_lshlrev_b64 v[60:61], v60, v[46:47]
	v_lshrrev_b32_e32 v63, 3, v44
	v_sub_u32_e32 v61, 29, v64
	v_and_b32_e32 v60, 7, v60
	v_cmp_gt_u32_e32 vcc, 8, v44
	v_cndmask_b32_e32 v44, v63, v61, vcc
	v_cndmask_b32_e32 v60, v62, v60, vcc
	v_lshlrev_b32_e32 v46, 24, v46
	v_lshlrev_b32_e32 v60, 20, v60
	v_and_b32_e32 v46, 0x80000000, v46
	v_lshl_add_u32 v44, v44, 23, v55
	v_or3_b32 v60, v46, v44, v60
.LBB652_333:                            ;   in Loop: Header=BB652_215 Depth=1
	s_or_b64 exec, exec, s[16:17]
.LBB652_334:                            ;   in Loop: Header=BB652_215 Depth=1
	s_or_b64 exec, exec, s[14:15]
.LBB652_335:                            ;   in Loop: Header=BB652_215 Depth=1
	s_or_b64 exec, exec, s[12:13]
	s_waitcnt vmcnt(2)
	v_cmp_ne_u16_sdwa s[14:15], v42, v54 src0_sel:BYTE_0 src1_sel:DWORD
	s_and_saveexec_b64 s[12:13], s[14:15]
	s_cbranch_execz .LBB652_341
; %bb.336:                              ;   in Loop: Header=BB652_215 Depth=1
	v_cmp_ne_u16_sdwa s[16:17], v42, s9 src0_sel:BYTE_0 src1_sel:DWORD
	v_bfrev_b32_e32 v59, 1
	s_and_saveexec_b64 s[14:15], s[16:17]
	s_cbranch_execz .LBB652_340
; %bb.337:                              ;   in Loop: Header=BB652_215 Depth=1
	v_and_b32_e32 v44, 0x7f, v42
	v_cmp_ne_u32_e32 vcc, s19, v44
	v_mov_b32_e32 v59, 0x7f800001
	s_and_saveexec_b64 s[16:17], vcc
	s_cbranch_execz .LBB652_339
; %bb.338:                              ;   in Loop: Header=BB652_215 Depth=1
	v_and_b32_e32 v46, 7, v42
	v_ffbh_u32_e32 v61, v46
	v_min_u32_e32 v61, 32, v61
	v_subrev_u32_e32 v62, 28, v61
	v_lshlrev_b64 v[62:63], v62, v[42:43]
	v_lshrrev_b32_e32 v59, 3, v44
	v_sub_u32_e32 v61, 29, v61
	v_and_b32_e32 v62, 7, v62
	v_cmp_gt_u32_e32 vcc, 8, v44
	v_cndmask_b32_e32 v44, v59, v61, vcc
	v_cndmask_b32_e32 v46, v46, v62, vcc
	v_lshlrev_b32_e32 v59, 24, v42
	v_lshlrev_b32_e32 v46, 20, v46
	v_and_b32_e32 v59, 0x80000000, v59
	v_lshl_add_u32 v44, v44, 23, v55
	v_or3_b32 v59, v59, v44, v46
.LBB652_339:                            ;   in Loop: Header=BB652_215 Depth=1
	s_or_b64 exec, exec, s[16:17]
.LBB652_340:                            ;   in Loop: Header=BB652_215 Depth=1
	s_or_b64 exec, exec, s[14:15]
.LBB652_341:                            ;   in Loop: Header=BB652_215 Depth=1
	s_or_b64 exec, exec, s[12:13]
	v_lshrrev_b16_e32 v44, 8, v42
	v_cmp_ne_u16_e32 vcc, 0, v44
	v_mov_b32_e32 v61, 0
	v_mov_b32_e32 v62, 0
	s_and_saveexec_b64 s[12:13], vcc
	s_cbranch_execz .LBB652_347
; %bb.342:                              ;   in Loop: Header=BB652_215 Depth=1
	v_cmp_ne_u16_e32 vcc, s9, v44
	v_bfrev_b32_e32 v62, 1
	s_and_saveexec_b64 s[14:15], vcc
	s_cbranch_execz .LBB652_346
; %bb.343:                              ;   in Loop: Header=BB652_215 Depth=1
	v_and_b32_e32 v46, 0x7f, v44
	v_cmp_ne_u32_e32 vcc, s19, v46
	v_mov_b32_e32 v62, 0x7f800001
	s_and_saveexec_b64 s[16:17], vcc
	s_cbranch_execz .LBB652_345
; %bb.344:                              ;   in Loop: Header=BB652_215 Depth=1
	v_and_b32_e32 v64, 7, v44
	v_ffbh_u32_e32 v62, v64
	v_min_u32_e32 v66, 32, v62
	v_subrev_u32_e32 v62, 28, v66
	v_lshlrev_b64 v[62:63], v62, v[44:45]
	v_lshrrev_b32_e32 v65, 3, v46
	v_sub_u32_e32 v44, 29, v66
	v_and_b32_e32 v62, 7, v62
	v_cmp_gt_u32_e32 vcc, 8, v46
	v_cndmask_b32_e32 v44, v65, v44, vcc
	v_cndmask_b32_e32 v46, v64, v62, vcc
	v_lshlrev_b32_e32 v62, 16, v42
	v_lshlrev_b32_e32 v46, 20, v46
	v_and_b32_e32 v62, 0x80000000, v62
	v_lshl_add_u32 v44, v44, 23, v55
	v_or3_b32 v62, v62, v44, v46
.LBB652_345:                            ;   in Loop: Header=BB652_215 Depth=1
	s_or_b64 exec, exec, s[16:17]
.LBB652_346:                            ;   in Loop: Header=BB652_215 Depth=1
	s_or_b64 exec, exec, s[14:15]
.LBB652_347:                            ;   in Loop: Header=BB652_215 Depth=1
	s_or_b64 exec, exec, s[12:13]
	v_lshrrev_b32_e32 v44, 16, v42
	v_cmp_ne_u16_sdwa s[14:15], v44, v54 src0_sel:BYTE_0 src1_sel:DWORD
	s_and_saveexec_b64 s[12:13], s[14:15]
	s_cbranch_execz .LBB652_353
; %bb.348:                              ;   in Loop: Header=BB652_215 Depth=1
	v_cmp_ne_u16_sdwa s[16:17], v44, s9 src0_sel:BYTE_0 src1_sel:DWORD
	v_bfrev_b32_e32 v61, 1
	s_and_saveexec_b64 s[14:15], s[16:17]
	s_cbranch_execz .LBB652_352
; %bb.349:                              ;   in Loop: Header=BB652_215 Depth=1
	v_bfe_u32 v46, v42, 16, 7
	v_cmp_ne_u32_e32 vcc, s19, v46
	v_mov_b32_e32 v61, 0x7f800001
	s_and_saveexec_b64 s[16:17], vcc
	s_cbranch_execz .LBB652_351
; %bb.350:                              ;   in Loop: Header=BB652_215 Depth=1
	v_and_b32_e32 v61, 7, v44
	v_ffbh_u32_e32 v64, v61
	v_min_u32_e32 v66, 32, v64
	v_subrev_u32_e32 v64, 28, v66
	v_lshlrev_b64 v[64:65], v64, v[44:45]
	v_lshrrev_b32_e32 v63, 3, v46
	v_sub_u32_e32 v65, 29, v66
	v_and_b32_e32 v64, 7, v64
	v_cmp_gt_u32_e32 vcc, 8, v46
	v_cndmask_b32_e32 v46, v63, v65, vcc
	v_cndmask_b32_e32 v61, v61, v64, vcc
	v_lshlrev_b32_e32 v44, 24, v44
	v_lshlrev_b32_e32 v61, 20, v61
	v_and_b32_e32 v44, 0x80000000, v44
	v_lshl_add_u32 v46, v46, 23, v55
	v_or3_b32 v61, v44, v46, v61
.LBB652_351:                            ;   in Loop: Header=BB652_215 Depth=1
	s_or_b64 exec, exec, s[16:17]
.LBB652_352:                            ;   in Loop: Header=BB652_215 Depth=1
	s_or_b64 exec, exec, s[14:15]
.LBB652_353:                            ;   in Loop: Header=BB652_215 Depth=1
	s_or_b64 exec, exec, s[12:13]
	v_cmp_lt_u32_e32 vcc, s20, v42
	v_mov_b32_e32 v46, 0
	v_mov_b32_e32 v63, 0
	s_and_saveexec_b64 s[12:13], vcc
	s_cbranch_execz .LBB652_359
; %bb.354:                              ;   in Loop: Header=BB652_215 Depth=1
	v_lshrrev_b32_e32 v44, 24, v42
	v_cmp_ne_u32_e32 vcc, s9, v44
	v_bfrev_b32_e32 v63, 1
	s_and_saveexec_b64 s[14:15], vcc
	s_cbranch_execz .LBB652_358
; %bb.355:                              ;   in Loop: Header=BB652_215 Depth=1
	v_bfe_u32 v42, v42, 24, 7
	v_cmp_ne_u32_e32 vcc, s19, v42
	v_mov_b32_e32 v63, 0x7f800001
	s_and_saveexec_b64 s[16:17], vcc
	s_cbranch_execz .LBB652_357
; %bb.356:                              ;   in Loop: Header=BB652_215 Depth=1
	v_and_b32_e32 v63, 7, v44
	v_ffbh_u32_e32 v64, v63
	v_min_u32_e32 v67, 32, v64
	v_subrev_u32_e32 v64, 28, v67
	v_lshlrev_b64 v[64:65], v64, v[44:45]
	v_lshrrev_b32_e32 v66, 3, v42
	v_sub_u32_e32 v65, 29, v67
	v_and_b32_e32 v64, 7, v64
	v_cmp_gt_u32_e32 vcc, 8, v42
	v_cndmask_b32_e32 v42, v66, v65, vcc
	v_cndmask_b32_e32 v63, v63, v64, vcc
	v_lshlrev_b32_e32 v44, 24, v44
	v_lshlrev_b32_e32 v63, 20, v63
	v_and_b32_e32 v44, 0x80000000, v44
	v_lshl_add_u32 v42, v42, 23, v55
	v_or3_b32 v63, v44, v42, v63
.LBB652_357:                            ;   in Loop: Header=BB652_215 Depth=1
	s_or_b64 exec, exec, s[16:17]
.LBB652_358:                            ;   in Loop: Header=BB652_215 Depth=1
	s_or_b64 exec, exec, s[14:15]
.LBB652_359:                            ;   in Loop: Header=BB652_215 Depth=1
	s_or_b64 exec, exec, s[12:13]
	v_cvt_pkrtz_f16_f32 v56, v56, v58
	v_cvt_pkrtz_f16_f32 v57, v57, v60
	s_waitcnt vmcnt(1)
	v_cmp_ne_u16_sdwa s[14:15], v40, v54 src0_sel:BYTE_0 src1_sel:DWORD
	v_mfma_f32_16x16x16f16 v[34:37], v[56:57], v[10:11], v[34:37]
	v_cvt_pkrtz_f16_f32 v56, v59, v62
	v_cvt_pkrtz_f16_f32 v57, v61, v63
	s_nop 1
	v_mfma_f32_16x16x16f16 v[34:37], v[56:57], v[12:13], v[34:37]
	s_and_saveexec_b64 s[12:13], s[14:15]
	s_cbranch_execz .LBB652_365
; %bb.360:                              ;   in Loop: Header=BB652_215 Depth=1
	v_cmp_ne_u16_sdwa s[16:17], v40, s9 src0_sel:BYTE_0 src1_sel:DWORD
	v_bfrev_b32_e32 v46, 1
	s_and_saveexec_b64 s[14:15], s[16:17]
	s_cbranch_execz .LBB652_364
; %bb.361:                              ;   in Loop: Header=BB652_215 Depth=1
	v_and_b32_e32 v42, 0x7f, v40
	v_cmp_ne_u32_e32 vcc, s19, v42
	v_mov_b32_e32 v46, 0x7f800001
	s_and_saveexec_b64 s[16:17], vcc
	s_cbranch_execz .LBB652_363
; %bb.362:                              ;   in Loop: Header=BB652_215 Depth=1
	v_and_b32_e32 v44, 7, v40
	v_ffbh_u32_e32 v56, v44
	v_min_u32_e32 v58, 32, v56
	v_subrev_u32_e32 v56, 28, v58
	v_lshlrev_b64 v[56:57], v56, v[40:41]
	v_lshrrev_b32_e32 v46, 3, v42
	v_sub_u32_e32 v57, 29, v58
	v_and_b32_e32 v56, 7, v56
	v_cmp_gt_u32_e32 vcc, 8, v42
	v_cndmask_b32_e32 v42, v46, v57, vcc
	v_cndmask_b32_e32 v44, v44, v56, vcc
	v_lshlrev_b32_e32 v46, 24, v40
	v_lshlrev_b32_e32 v44, 20, v44
	v_and_b32_e32 v46, 0x80000000, v46
	v_lshl_add_u32 v42, v42, 23, v55
	v_or3_b32 v46, v46, v42, v44
.LBB652_363:                            ;   in Loop: Header=BB652_215 Depth=1
	s_or_b64 exec, exec, s[16:17]
.LBB652_364:                            ;   in Loop: Header=BB652_215 Depth=1
	s_or_b64 exec, exec, s[14:15]
.LBB652_365:                            ;   in Loop: Header=BB652_215 Depth=1
	s_or_b64 exec, exec, s[12:13]
	v_lshrrev_b16_e32 v42, 8, v40
	v_cmp_ne_u16_e32 vcc, 0, v42
	v_mov_b32_e32 v44, 0
	v_mov_b32_e32 v57, 0
	s_and_saveexec_b64 s[12:13], vcc
	s_cbranch_execz .LBB652_371
; %bb.366:                              ;   in Loop: Header=BB652_215 Depth=1
	v_cmp_ne_u16_e32 vcc, s9, v42
	v_bfrev_b32_e32 v57, 1
	s_and_saveexec_b64 s[14:15], vcc
	s_cbranch_execz .LBB652_370
; %bb.367:                              ;   in Loop: Header=BB652_215 Depth=1
	v_and_b32_e32 v56, 0x7f, v42
	v_cmp_ne_u32_e32 vcc, s19, v56
	v_mov_b32_e32 v57, 0x7f800001
	s_and_saveexec_b64 s[16:17], vcc
	s_cbranch_execz .LBB652_369
; %bb.368:                              ;   in Loop: Header=BB652_215 Depth=1
	v_and_b32_e32 v57, 7, v42
	v_ffbh_u32_e32 v58, v57
	v_min_u32_e32 v61, 32, v58
	v_subrev_u32_e32 v58, 28, v61
	v_lshlrev_b64 v[58:59], v58, v[42:43]
	v_lshrrev_b32_e32 v60, 3, v56
	v_sub_u32_e32 v42, 29, v61
	v_and_b32_e32 v58, 7, v58
	v_cmp_gt_u32_e32 vcc, 8, v56
	v_cndmask_b32_e32 v42, v60, v42, vcc
	v_cndmask_b32_e32 v56, v57, v58, vcc
	v_lshlrev_b32_e32 v57, 16, v40
	v_lshlrev_b32_e32 v56, 20, v56
	v_and_b32_e32 v57, 0x80000000, v57
	v_lshl_add_u32 v42, v42, 23, v55
	v_or3_b32 v57, v57, v42, v56
.LBB652_369:                            ;   in Loop: Header=BB652_215 Depth=1
	s_or_b64 exec, exec, s[16:17]
.LBB652_370:                            ;   in Loop: Header=BB652_215 Depth=1
	s_or_b64 exec, exec, s[14:15]
.LBB652_371:                            ;   in Loop: Header=BB652_215 Depth=1
	s_or_b64 exec, exec, s[12:13]
	v_lshrrev_b32_e32 v42, 16, v40
	v_cmp_ne_u16_sdwa s[14:15], v42, v54 src0_sel:BYTE_0 src1_sel:DWORD
	s_and_saveexec_b64 s[12:13], s[14:15]
	s_cbranch_execz .LBB652_377
; %bb.372:                              ;   in Loop: Header=BB652_215 Depth=1
	v_cmp_ne_u16_sdwa s[16:17], v42, s9 src0_sel:BYTE_0 src1_sel:DWORD
	v_bfrev_b32_e32 v44, 1
	s_and_saveexec_b64 s[14:15], s[16:17]
	s_cbranch_execz .LBB652_376
; %bb.373:                              ;   in Loop: Header=BB652_215 Depth=1
	v_bfe_u32 v56, v40, 16, 7
	v_cmp_ne_u32_e32 vcc, s19, v56
	v_mov_b32_e32 v44, 0x7f800001
	s_and_saveexec_b64 s[16:17], vcc
	s_cbranch_execz .LBB652_375
; %bb.374:                              ;   in Loop: Header=BB652_215 Depth=1
	v_and_b32_e32 v44, 7, v42
	v_ffbh_u32_e32 v58, v44
	v_min_u32_e32 v61, 32, v58
	v_subrev_u32_e32 v58, 28, v61
	v_lshlrev_b64 v[58:59], v58, v[42:43]
	v_lshrrev_b32_e32 v60, 3, v56
	v_sub_u32_e32 v59, 29, v61
	v_and_b32_e32 v58, 7, v58
	v_cmp_gt_u32_e32 vcc, 8, v56
	v_cndmask_b32_e32 v56, v60, v59, vcc
	v_cndmask_b32_e32 v44, v44, v58, vcc
	v_lshlrev_b32_e32 v42, 24, v42
	v_lshlrev_b32_e32 v44, 20, v44
	v_and_b32_e32 v42, 0x80000000, v42
	v_lshl_add_u32 v56, v56, 23, v55
	v_or3_b32 v44, v42, v56, v44
.LBB652_375:                            ;   in Loop: Header=BB652_215 Depth=1
	s_or_b64 exec, exec, s[16:17]
.LBB652_376:                            ;   in Loop: Header=BB652_215 Depth=1
	s_or_b64 exec, exec, s[14:15]
.LBB652_377:                            ;   in Loop: Header=BB652_215 Depth=1
	s_or_b64 exec, exec, s[12:13]
	v_cmp_lt_u32_e32 vcc, s20, v40
	v_mov_b32_e32 v58, 0
	v_mov_b32_e32 v59, 0
	s_and_saveexec_b64 s[12:13], vcc
	s_cbranch_execz .LBB652_383
; %bb.378:                              ;   in Loop: Header=BB652_215 Depth=1
	v_lshrrev_b32_e32 v42, 24, v40
	v_cmp_ne_u32_e32 vcc, s9, v42
	v_bfrev_b32_e32 v59, 1
	s_and_saveexec_b64 s[14:15], vcc
	s_cbranch_execz .LBB652_382
; %bb.379:                              ;   in Loop: Header=BB652_215 Depth=1
	v_bfe_u32 v40, v40, 24, 7
	v_cmp_ne_u32_e32 vcc, s19, v40
	v_mov_b32_e32 v59, 0x7f800001
	s_and_saveexec_b64 s[16:17], vcc
	s_cbranch_execz .LBB652_381
; %bb.380:                              ;   in Loop: Header=BB652_215 Depth=1
	v_and_b32_e32 v56, 7, v42
	v_ffbh_u32_e32 v60, v56
	v_min_u32_e32 v62, 32, v60
	v_subrev_u32_e32 v60, 28, v62
	v_lshlrev_b64 v[60:61], v60, v[42:43]
	v_lshrrev_b32_e32 v59, 3, v40
	v_sub_u32_e32 v61, 29, v62
	v_and_b32_e32 v60, 7, v60
	v_cmp_gt_u32_e32 vcc, 8, v40
	v_cndmask_b32_e32 v40, v59, v61, vcc
	v_cndmask_b32_e32 v56, v56, v60, vcc
	v_lshlrev_b32_e32 v42, 24, v42
	v_lshlrev_b32_e32 v56, 20, v56
	v_and_b32_e32 v42, 0x80000000, v42
	v_lshl_add_u32 v40, v40, 23, v55
	v_or3_b32 v59, v42, v40, v56
.LBB652_381:                            ;   in Loop: Header=BB652_215 Depth=1
	s_or_b64 exec, exec, s[16:17]
.LBB652_382:                            ;   in Loop: Header=BB652_215 Depth=1
	s_or_b64 exec, exec, s[14:15]
.LBB652_383:                            ;   in Loop: Header=BB652_215 Depth=1
	s_or_b64 exec, exec, s[12:13]
	s_waitcnt vmcnt(0)
	v_cmp_ne_u16_sdwa s[14:15], v38, v54 src0_sel:BYTE_0 src1_sel:DWORD
	s_and_saveexec_b64 s[12:13], s[14:15]
	s_cbranch_execz .LBB652_389
; %bb.384:                              ;   in Loop: Header=BB652_215 Depth=1
	v_cmp_ne_u16_sdwa s[16:17], v38, s9 src0_sel:BYTE_0 src1_sel:DWORD
	v_bfrev_b32_e32 v58, 1
	s_and_saveexec_b64 s[14:15], s[16:17]
	s_cbranch_execz .LBB652_388
; %bb.385:                              ;   in Loop: Header=BB652_215 Depth=1
	v_and_b32_e32 v40, 0x7f, v38
	v_cmp_ne_u32_e32 vcc, s19, v40
	v_mov_b32_e32 v58, 0x7f800001
	s_and_saveexec_b64 s[16:17], vcc
	s_cbranch_execz .LBB652_387
; %bb.386:                              ;   in Loop: Header=BB652_215 Depth=1
	v_and_b32_e32 v42, 7, v38
	v_ffbh_u32_e32 v58, v42
	v_min_u32_e32 v58, 32, v58
	v_subrev_u32_e32 v60, 28, v58
	v_lshlrev_b64 v[60:61], v60, v[38:39]
	v_lshrrev_b32_e32 v56, 3, v40
	v_sub_u32_e32 v58, 29, v58
	v_and_b32_e32 v60, 7, v60
	v_cmp_gt_u32_e32 vcc, 8, v40
	v_cndmask_b32_e32 v40, v56, v58, vcc
	v_cndmask_b32_e32 v42, v42, v60, vcc
	v_lshlrev_b32_e32 v56, 24, v38
	v_lshlrev_b32_e32 v42, 20, v42
	v_and_b32_e32 v56, 0x80000000, v56
	v_lshl_add_u32 v40, v40, 23, v55
	v_or3_b32 v58, v56, v40, v42
.LBB652_387:                            ;   in Loop: Header=BB652_215 Depth=1
	s_or_b64 exec, exec, s[16:17]
.LBB652_388:                            ;   in Loop: Header=BB652_215 Depth=1
	s_or_b64 exec, exec, s[14:15]
.LBB652_389:                            ;   in Loop: Header=BB652_215 Depth=1
	s_or_b64 exec, exec, s[12:13]
	v_lshrrev_b16_e32 v40, 8, v38
	v_cmp_ne_u16_e32 vcc, 0, v40
	v_mov_b32_e32 v60, 0
	v_mov_b32_e32 v61, 0
	s_and_saveexec_b64 s[12:13], vcc
	s_cbranch_execz .LBB652_395
; %bb.390:                              ;   in Loop: Header=BB652_215 Depth=1
	v_cmp_ne_u16_e32 vcc, s9, v40
	v_bfrev_b32_e32 v61, 1
	s_and_saveexec_b64 s[14:15], vcc
	s_cbranch_execz .LBB652_394
; %bb.391:                              ;   in Loop: Header=BB652_215 Depth=1
	v_and_b32_e32 v42, 0x7f, v40
	v_cmp_ne_u32_e32 vcc, s19, v42
	v_mov_b32_e32 v61, 0x7f800001
	s_and_saveexec_b64 s[16:17], vcc
	s_cbranch_execz .LBB652_393
; %bb.392:                              ;   in Loop: Header=BB652_215 Depth=1
	v_and_b32_e32 v56, 7, v40
	v_ffbh_u32_e32 v62, v56
	v_min_u32_e32 v64, 32, v62
	v_subrev_u32_e32 v62, 28, v64
	v_lshlrev_b64 v[62:63], v62, v[40:41]
	v_lshrrev_b32_e32 v61, 3, v42
	v_sub_u32_e32 v40, 29, v64
	v_and_b32_e32 v62, 7, v62
	v_cmp_gt_u32_e32 vcc, 8, v42
	v_cndmask_b32_e32 v40, v61, v40, vcc
	v_cndmask_b32_e32 v42, v56, v62, vcc
	v_lshlrev_b32_e32 v56, 16, v38
	v_lshlrev_b32_e32 v42, 20, v42
	v_and_b32_e32 v56, 0x80000000, v56
	v_lshl_add_u32 v40, v40, 23, v55
	v_or3_b32 v61, v56, v40, v42
.LBB652_393:                            ;   in Loop: Header=BB652_215 Depth=1
	s_or_b64 exec, exec, s[16:17]
.LBB652_394:                            ;   in Loop: Header=BB652_215 Depth=1
	s_or_b64 exec, exec, s[14:15]
.LBB652_395:                            ;   in Loop: Header=BB652_215 Depth=1
	s_or_b64 exec, exec, s[12:13]
	v_lshrrev_b32_e32 v40, 16, v38
	v_cmp_ne_u16_sdwa s[14:15], v40, v54 src0_sel:BYTE_0 src1_sel:DWORD
	s_and_saveexec_b64 s[12:13], s[14:15]
	s_cbranch_execz .LBB652_401
; %bb.396:                              ;   in Loop: Header=BB652_215 Depth=1
	v_cmp_ne_u16_sdwa s[16:17], v40, s9 src0_sel:BYTE_0 src1_sel:DWORD
	v_bfrev_b32_e32 v60, 1
	s_and_saveexec_b64 s[14:15], s[16:17]
	s_cbranch_execz .LBB652_400
; %bb.397:                              ;   in Loop: Header=BB652_215 Depth=1
	v_bfe_u32 v42, v38, 16, 7
	v_cmp_ne_u32_e32 vcc, s19, v42
	v_mov_b32_e32 v60, 0x7f800001
	s_and_saveexec_b64 s[16:17], vcc
	s_cbranch_execz .LBB652_399
; %bb.398:                              ;   in Loop: Header=BB652_215 Depth=1
	v_and_b32_e32 v56, 7, v40
	v_ffbh_u32_e32 v62, v56
	v_min_u32_e32 v64, 32, v62
	v_subrev_u32_e32 v62, 28, v64
	v_lshlrev_b64 v[62:63], v62, v[40:41]
	v_lshrrev_b32_e32 v60, 3, v42
	v_sub_u32_e32 v63, 29, v64
	v_and_b32_e32 v62, 7, v62
	v_cmp_gt_u32_e32 vcc, 8, v42
	v_cndmask_b32_e32 v42, v60, v63, vcc
	v_cndmask_b32_e32 v56, v56, v62, vcc
	v_lshlrev_b32_e32 v40, 24, v40
	v_lshlrev_b32_e32 v56, 20, v56
	v_and_b32_e32 v40, 0x80000000, v40
	v_lshl_add_u32 v42, v42, 23, v55
	v_or3_b32 v60, v40, v42, v56
.LBB652_399:                            ;   in Loop: Header=BB652_215 Depth=1
	s_or_b64 exec, exec, s[16:17]
.LBB652_400:                            ;   in Loop: Header=BB652_215 Depth=1
	s_or_b64 exec, exec, s[14:15]
.LBB652_401:                            ;   in Loop: Header=BB652_215 Depth=1
	s_or_b64 exec, exec, s[12:13]
	v_cmp_lt_u32_e32 vcc, s20, v38
	v_mov_b32_e32 v56, 0
	v_mov_b32_e32 v62, 0
	s_and_saveexec_b64 s[12:13], vcc
	s_cbranch_execz .LBB652_407
; %bb.402:                              ;   in Loop: Header=BB652_215 Depth=1
	v_lshrrev_b32_e32 v40, 24, v38
	v_cmp_ne_u32_e32 vcc, s9, v40
	v_bfrev_b32_e32 v62, 1
	s_and_saveexec_b64 s[14:15], vcc
	s_cbranch_execz .LBB652_406
; %bb.403:                              ;   in Loop: Header=BB652_215 Depth=1
	v_bfe_u32 v38, v38, 24, 7
	v_cmp_ne_u32_e32 vcc, s19, v38
	v_mov_b32_e32 v62, 0x7f800001
	s_and_saveexec_b64 s[16:17], vcc
	s_cbranch_execz .LBB652_405
; %bb.404:                              ;   in Loop: Header=BB652_215 Depth=1
	v_and_b32_e32 v42, 7, v40
	v_ffbh_u32_e32 v62, v42
	v_min_u32_e32 v65, 32, v62
	v_subrev_u32_e32 v62, 28, v65
	v_lshlrev_b64 v[62:63], v62, v[40:41]
	v_lshrrev_b32_e32 v64, 3, v38
	v_sub_u32_e32 v63, 29, v65
	v_and_b32_e32 v62, 7, v62
	v_cmp_gt_u32_e32 vcc, 8, v38
	v_cndmask_b32_e32 v38, v64, v63, vcc
	v_cndmask_b32_e32 v42, v42, v62, vcc
	v_lshlrev_b32_e32 v40, 24, v40
	v_lshlrev_b32_e32 v42, 20, v42
	v_and_b32_e32 v40, 0x80000000, v40
	v_lshl_add_u32 v38, v38, 23, v55
	v_or3_b32 v62, v40, v38, v42
.LBB652_405:                            ;   in Loop: Header=BB652_215 Depth=1
	s_or_b64 exec, exec, s[16:17]
.LBB652_406:                            ;   in Loop: Header=BB652_215 Depth=1
	s_or_b64 exec, exec, s[14:15]
.LBB652_407:                            ;   in Loop: Header=BB652_215 Depth=1
	s_or_b64 exec, exec, s[12:13]
	v_cvt_pkrtz_f16_f32 v65, v44, v59
	buffer_load_dword v44, v51, s[0:3], 0 offen
	buffer_load_dword v42, v51, s[0:3], 0 offen offset:4
	buffer_load_dword v40, v51, s[0:3], 0 offen offset:8
	;; [unrolled: 1-line block ×3, first 2 shown]
	v_cvt_pkrtz_f16_f32 v64, v46, v57
	v_cvt_pkrtz_f16_f32 v58, v58, v61
	;; [unrolled: 1-line block ×3, first 2 shown]
	v_mfma_f32_16x16x16f16 v[34:37], v[64:65], v[14:15], v[34:37]
	s_waitcnt vmcnt(3)
	v_cmp_ne_u16_sdwa s[14:15], v44, v54 src0_sel:BYTE_0 src1_sel:DWORD
	v_mfma_f32_16x16x16f16 v[34:37], v[58:59], v[16:17], v[34:37]
	s_and_saveexec_b64 s[12:13], s[14:15]
	s_cbranch_execz .LBB652_413
; %bb.408:                              ;   in Loop: Header=BB652_215 Depth=1
	v_cmp_ne_u16_sdwa s[16:17], v44, s9 src0_sel:BYTE_0 src1_sel:DWORD
	v_bfrev_b32_e32 v56, 1
	s_and_saveexec_b64 s[14:15], s[16:17]
	s_cbranch_execz .LBB652_412
; %bb.409:                              ;   in Loop: Header=BB652_215 Depth=1
	v_and_b32_e32 v46, 0x7f, v44
	v_cmp_ne_u32_e32 vcc, s19, v46
	v_mov_b32_e32 v56, 0x7f800001
	s_and_saveexec_b64 s[16:17], vcc
	s_cbranch_execz .LBB652_411
; %bb.410:                              ;   in Loop: Header=BB652_215 Depth=1
	v_and_b32_e32 v51, 7, v44
	v_ffbh_u32_e32 v56, v51
	v_min_u32_e32 v59, 32, v56
	v_subrev_u32_e32 v56, 28, v59
	v_lshlrev_b64 v[56:57], v56, v[44:45]
	v_lshrrev_b32_e32 v58, 3, v46
	v_sub_u32_e32 v57, 29, v59
	v_and_b32_e32 v56, 7, v56
	v_cmp_gt_u32_e32 vcc, 8, v46
	v_cndmask_b32_e32 v46, v58, v57, vcc
	v_cndmask_b32_e32 v51, v51, v56, vcc
	v_lshlrev_b32_e32 v56, 24, v44
	v_lshlrev_b32_e32 v51, 20, v51
	v_and_b32_e32 v56, 0x80000000, v56
	v_lshl_add_u32 v46, v46, 23, v55
	v_or3_b32 v56, v56, v46, v51
.LBB652_411:                            ;   in Loop: Header=BB652_215 Depth=1
	s_or_b64 exec, exec, s[16:17]
.LBB652_412:                            ;   in Loop: Header=BB652_215 Depth=1
	s_or_b64 exec, exec, s[14:15]
.LBB652_413:                            ;   in Loop: Header=BB652_215 Depth=1
	s_or_b64 exec, exec, s[12:13]
	v_lshrrev_b16_e32 v46, 8, v44
	v_cmp_ne_u16_e32 vcc, 0, v46
	v_mov_b32_e32 v51, 0
	v_mov_b32_e32 v57, 0
	s_and_saveexec_b64 s[12:13], vcc
	s_cbranch_execz .LBB652_419
; %bb.414:                              ;   in Loop: Header=BB652_215 Depth=1
	v_cmp_ne_u16_e32 vcc, s9, v46
	v_bfrev_b32_e32 v57, 1
	s_and_saveexec_b64 s[14:15], vcc
	s_cbranch_execz .LBB652_418
; %bb.415:                              ;   in Loop: Header=BB652_215 Depth=1
	v_and_b32_e32 v58, 0x7f, v46
	v_cmp_ne_u32_e32 vcc, s19, v58
	v_mov_b32_e32 v57, 0x7f800001
	s_and_saveexec_b64 s[16:17], vcc
	s_cbranch_execz .LBB652_417
; %bb.416:                              ;   in Loop: Header=BB652_215 Depth=1
	v_and_b32_e32 v57, 7, v46
	v_ffbh_u32_e32 v60, v57
	v_min_u32_e32 v62, 32, v60
	v_subrev_u32_e32 v60, 28, v62
	v_lshlrev_b64 v[60:61], v60, v[46:47]
	v_lshrrev_b32_e32 v59, 3, v58
	v_sub_u32_e32 v46, 29, v62
	v_and_b32_e32 v60, 7, v60
	v_cmp_gt_u32_e32 vcc, 8, v58
	v_cndmask_b32_e32 v46, v59, v46, vcc
	v_cndmask_b32_e32 v57, v57, v60, vcc
	v_lshlrev_b32_e32 v58, 16, v44
	v_lshlrev_b32_e32 v57, 20, v57
	v_and_b32_e32 v58, 0x80000000, v58
	v_lshl_add_u32 v46, v46, 23, v55
	v_or3_b32 v57, v58, v46, v57
.LBB652_417:                            ;   in Loop: Header=BB652_215 Depth=1
	s_or_b64 exec, exec, s[16:17]
.LBB652_418:                            ;   in Loop: Header=BB652_215 Depth=1
	s_or_b64 exec, exec, s[14:15]
.LBB652_419:                            ;   in Loop: Header=BB652_215 Depth=1
	s_or_b64 exec, exec, s[12:13]
	v_lshrrev_b32_e32 v46, 16, v44
	v_cmp_ne_u16_sdwa s[14:15], v46, v54 src0_sel:BYTE_0 src1_sel:DWORD
	s_and_saveexec_b64 s[12:13], s[14:15]
	s_cbranch_execz .LBB652_425
; %bb.420:                              ;   in Loop: Header=BB652_215 Depth=1
	v_cmp_ne_u16_sdwa s[16:17], v46, s9 src0_sel:BYTE_0 src1_sel:DWORD
	v_bfrev_b32_e32 v51, 1
	s_and_saveexec_b64 s[14:15], s[16:17]
	s_cbranch_execz .LBB652_424
; %bb.421:                              ;   in Loop: Header=BB652_215 Depth=1
	v_bfe_u32 v58, v44, 16, 7
	v_cmp_ne_u32_e32 vcc, s19, v58
	v_mov_b32_e32 v51, 0x7f800001
	s_and_saveexec_b64 s[16:17], vcc
	s_cbranch_execz .LBB652_423
; %bb.422:                              ;   in Loop: Header=BB652_215 Depth=1
	v_and_b32_e32 v51, 7, v46
	v_ffbh_u32_e32 v60, v51
	v_min_u32_e32 v62, 32, v60
	v_subrev_u32_e32 v60, 28, v62
	v_lshlrev_b64 v[60:61], v60, v[46:47]
	v_lshrrev_b32_e32 v59, 3, v58
	v_sub_u32_e32 v61, 29, v62
	v_and_b32_e32 v60, 7, v60
	v_cmp_gt_u32_e32 vcc, 8, v58
	v_cndmask_b32_e32 v58, v59, v61, vcc
	v_cndmask_b32_e32 v51, v51, v60, vcc
	v_lshlrev_b32_e32 v46, 24, v46
	v_lshlrev_b32_e32 v51, 20, v51
	v_and_b32_e32 v46, 0x80000000, v46
	v_lshl_add_u32 v58, v58, 23, v55
	v_or3_b32 v51, v46, v58, v51
.LBB652_423:                            ;   in Loop: Header=BB652_215 Depth=1
	s_or_b64 exec, exec, s[16:17]
.LBB652_424:                            ;   in Loop: Header=BB652_215 Depth=1
	s_or_b64 exec, exec, s[14:15]
.LBB652_425:                            ;   in Loop: Header=BB652_215 Depth=1
	s_or_b64 exec, exec, s[12:13]
	v_cmp_lt_u32_e32 vcc, s20, v44
	v_mov_b32_e32 v58, 0
	v_mov_b32_e32 v59, 0
	s_and_saveexec_b64 s[12:13], vcc
	s_cbranch_execz .LBB652_431
; %bb.426:                              ;   in Loop: Header=BB652_215 Depth=1
	v_lshrrev_b32_e32 v46, 24, v44
	v_cmp_ne_u32_e32 vcc, s9, v46
	v_bfrev_b32_e32 v59, 1
	s_and_saveexec_b64 s[14:15], vcc
	s_cbranch_execz .LBB652_430
; %bb.427:                              ;   in Loop: Header=BB652_215 Depth=1
	v_bfe_u32 v44, v44, 24, 7
	v_cmp_ne_u32_e32 vcc, s19, v44
	v_mov_b32_e32 v59, 0x7f800001
	s_and_saveexec_b64 s[16:17], vcc
	s_cbranch_execz .LBB652_429
; %bb.428:                              ;   in Loop: Header=BB652_215 Depth=1
	v_and_b32_e32 v59, 7, v46
	v_ffbh_u32_e32 v60, v59
	v_min_u32_e32 v63, 32, v60
	v_subrev_u32_e32 v60, 28, v63
	v_lshlrev_b64 v[60:61], v60, v[46:47]
	v_lshrrev_b32_e32 v62, 3, v44
	v_sub_u32_e32 v61, 29, v63
	v_and_b32_e32 v60, 7, v60
	v_cmp_gt_u32_e32 vcc, 8, v44
	v_cndmask_b32_e32 v44, v62, v61, vcc
	v_cndmask_b32_e32 v59, v59, v60, vcc
	v_lshlrev_b32_e32 v46, 24, v46
	v_lshlrev_b32_e32 v59, 20, v59
	v_and_b32_e32 v46, 0x80000000, v46
	v_lshl_add_u32 v44, v44, 23, v55
	v_or3_b32 v59, v46, v44, v59
.LBB652_429:                            ;   in Loop: Header=BB652_215 Depth=1
	s_or_b64 exec, exec, s[16:17]
.LBB652_430:                            ;   in Loop: Header=BB652_215 Depth=1
	s_or_b64 exec, exec, s[14:15]
.LBB652_431:                            ;   in Loop: Header=BB652_215 Depth=1
	s_or_b64 exec, exec, s[12:13]
	s_waitcnt vmcnt(2)
	v_cmp_ne_u16_sdwa s[14:15], v42, v54 src0_sel:BYTE_0 src1_sel:DWORD
	s_and_saveexec_b64 s[12:13], s[14:15]
	s_cbranch_execz .LBB652_437
; %bb.432:                              ;   in Loop: Header=BB652_215 Depth=1
	v_cmp_ne_u16_sdwa s[16:17], v42, s9 src0_sel:BYTE_0 src1_sel:DWORD
	v_bfrev_b32_e32 v58, 1
	s_and_saveexec_b64 s[14:15], s[16:17]
	s_cbranch_execz .LBB652_436
; %bb.433:                              ;   in Loop: Header=BB652_215 Depth=1
	v_and_b32_e32 v44, 0x7f, v42
	v_cmp_ne_u32_e32 vcc, s19, v44
	v_mov_b32_e32 v58, 0x7f800001
	s_and_saveexec_b64 s[16:17], vcc
	s_cbranch_execz .LBB652_435
; %bb.434:                              ;   in Loop: Header=BB652_215 Depth=1
	v_and_b32_e32 v46, 7, v42
	v_ffbh_u32_e32 v60, v46
	v_min_u32_e32 v62, 32, v60
	v_subrev_u32_e32 v60, 28, v62
	v_lshlrev_b64 v[60:61], v60, v[42:43]
	v_lshrrev_b32_e32 v58, 3, v44
	v_sub_u32_e32 v61, 29, v62
	v_and_b32_e32 v60, 7, v60
	v_cmp_gt_u32_e32 vcc, 8, v44
	v_cndmask_b32_e32 v44, v58, v61, vcc
	v_cndmask_b32_e32 v46, v46, v60, vcc
	v_lshlrev_b32_e32 v58, 24, v42
	v_lshlrev_b32_e32 v46, 20, v46
	v_and_b32_e32 v58, 0x80000000, v58
	v_lshl_add_u32 v44, v44, 23, v55
	v_or3_b32 v58, v58, v44, v46
.LBB652_435:                            ;   in Loop: Header=BB652_215 Depth=1
	s_or_b64 exec, exec, s[16:17]
.LBB652_436:                            ;   in Loop: Header=BB652_215 Depth=1
	s_or_b64 exec, exec, s[14:15]
.LBB652_437:                            ;   in Loop: Header=BB652_215 Depth=1
	s_or_b64 exec, exec, s[12:13]
	v_lshrrev_b16_e32 v44, 8, v42
	v_cmp_ne_u16_e32 vcc, 0, v44
	v_mov_b32_e32 v60, 0
	v_mov_b32_e32 v61, 0
	s_and_saveexec_b64 s[12:13], vcc
	s_cbranch_execz .LBB652_443
; %bb.438:                              ;   in Loop: Header=BB652_215 Depth=1
	v_cmp_ne_u16_e32 vcc, s9, v44
	v_bfrev_b32_e32 v61, 1
	s_and_saveexec_b64 s[14:15], vcc
	s_cbranch_execz .LBB652_442
; %bb.439:                              ;   in Loop: Header=BB652_215 Depth=1
	v_and_b32_e32 v46, 0x7f, v44
	v_cmp_ne_u32_e32 vcc, s19, v46
	v_mov_b32_e32 v61, 0x7f800001
	s_and_saveexec_b64 s[16:17], vcc
	s_cbranch_execz .LBB652_441
; %bb.440:                              ;   in Loop: Header=BB652_215 Depth=1
	v_and_b32_e32 v61, 7, v44
	v_ffbh_u32_e32 v62, v61
	v_min_u32_e32 v65, 32, v62
	v_subrev_u32_e32 v62, 28, v65
	v_lshlrev_b64 v[62:63], v62, v[44:45]
	v_lshrrev_b32_e32 v64, 3, v46
	v_sub_u32_e32 v44, 29, v65
	v_and_b32_e32 v62, 7, v62
	v_cmp_gt_u32_e32 vcc, 8, v46
	v_cndmask_b32_e32 v44, v64, v44, vcc
	v_cndmask_b32_e32 v46, v61, v62, vcc
	v_lshlrev_b32_e32 v61, 16, v42
	v_lshlrev_b32_e32 v46, 20, v46
	v_and_b32_e32 v61, 0x80000000, v61
	v_lshl_add_u32 v44, v44, 23, v55
	v_or3_b32 v61, v61, v44, v46
.LBB652_441:                            ;   in Loop: Header=BB652_215 Depth=1
	s_or_b64 exec, exec, s[16:17]
.LBB652_442:                            ;   in Loop: Header=BB652_215 Depth=1
	s_or_b64 exec, exec, s[14:15]
.LBB652_443:                            ;   in Loop: Header=BB652_215 Depth=1
	s_or_b64 exec, exec, s[12:13]
	v_lshrrev_b32_e32 v44, 16, v42
	v_cmp_ne_u16_sdwa s[14:15], v44, v54 src0_sel:BYTE_0 src1_sel:DWORD
	s_and_saveexec_b64 s[12:13], s[14:15]
	s_cbranch_execz .LBB652_449
; %bb.444:                              ;   in Loop: Header=BB652_215 Depth=1
	v_cmp_ne_u16_sdwa s[16:17], v44, s9 src0_sel:BYTE_0 src1_sel:DWORD
	v_bfrev_b32_e32 v60, 1
	s_and_saveexec_b64 s[14:15], s[16:17]
	s_cbranch_execz .LBB652_448
; %bb.445:                              ;   in Loop: Header=BB652_215 Depth=1
	v_bfe_u32 v46, v42, 16, 7
	v_cmp_ne_u32_e32 vcc, s19, v46
	v_mov_b32_e32 v60, 0x7f800001
	s_and_saveexec_b64 s[16:17], vcc
	s_cbranch_execz .LBB652_447
; %bb.446:                              ;   in Loop: Header=BB652_215 Depth=1
	v_and_b32_e32 v60, 7, v44
	v_ffbh_u32_e32 v62, v60
	v_min_u32_e32 v65, 32, v62
	v_subrev_u32_e32 v62, 28, v65
	v_lshlrev_b64 v[62:63], v62, v[44:45]
	v_lshrrev_b32_e32 v64, 3, v46
	v_sub_u32_e32 v63, 29, v65
	v_and_b32_e32 v62, 7, v62
	v_cmp_gt_u32_e32 vcc, 8, v46
	v_cndmask_b32_e32 v46, v64, v63, vcc
	v_cndmask_b32_e32 v60, v60, v62, vcc
	v_lshlrev_b32_e32 v44, 24, v44
	v_lshlrev_b32_e32 v60, 20, v60
	v_and_b32_e32 v44, 0x80000000, v44
	v_lshl_add_u32 v46, v46, 23, v55
	v_or3_b32 v60, v44, v46, v60
.LBB652_447:                            ;   in Loop: Header=BB652_215 Depth=1
	s_or_b64 exec, exec, s[16:17]
.LBB652_448:                            ;   in Loop: Header=BB652_215 Depth=1
	s_or_b64 exec, exec, s[14:15]
.LBB652_449:                            ;   in Loop: Header=BB652_215 Depth=1
	s_or_b64 exec, exec, s[12:13]
	v_cmp_lt_u32_e32 vcc, s20, v42
	v_mov_b32_e32 v46, 0
	v_mov_b32_e32 v62, 0
	s_and_saveexec_b64 s[12:13], vcc
	s_cbranch_execz .LBB652_455
; %bb.450:                              ;   in Loop: Header=BB652_215 Depth=1
	v_lshrrev_b32_e32 v44, 24, v42
	v_cmp_ne_u32_e32 vcc, s9, v44
	v_bfrev_b32_e32 v62, 1
	s_and_saveexec_b64 s[14:15], vcc
	s_cbranch_execz .LBB652_454
; %bb.451:                              ;   in Loop: Header=BB652_215 Depth=1
	v_bfe_u32 v42, v42, 24, 7
	v_cmp_ne_u32_e32 vcc, s19, v42
	v_mov_b32_e32 v62, 0x7f800001
	s_and_saveexec_b64 s[16:17], vcc
	s_cbranch_execz .LBB652_453
; %bb.452:                              ;   in Loop: Header=BB652_215 Depth=1
	v_and_b32_e32 v64, 7, v44
	v_ffbh_u32_e32 v62, v64
	v_min_u32_e32 v66, 32, v62
	v_subrev_u32_e32 v62, 28, v66
	v_lshlrev_b64 v[62:63], v62, v[44:45]
	v_lshrrev_b32_e32 v65, 3, v42
	v_sub_u32_e32 v63, 29, v66
	v_and_b32_e32 v62, 7, v62
	v_cmp_gt_u32_e32 vcc, 8, v42
	v_cndmask_b32_e32 v42, v65, v63, vcc
	v_cndmask_b32_e32 v62, v64, v62, vcc
	v_lshlrev_b32_e32 v44, 24, v44
	v_lshlrev_b32_e32 v62, 20, v62
	v_and_b32_e32 v44, 0x80000000, v44
	v_lshl_add_u32 v42, v42, 23, v55
	v_or3_b32 v62, v44, v42, v62
.LBB652_453:                            ;   in Loop: Header=BB652_215 Depth=1
	s_or_b64 exec, exec, s[16:17]
.LBB652_454:                            ;   in Loop: Header=BB652_215 Depth=1
	s_or_b64 exec, exec, s[14:15]
.LBB652_455:                            ;   in Loop: Header=BB652_215 Depth=1
	s_or_b64 exec, exec, s[12:13]
	v_cvt_pkrtz_f16_f32 v56, v56, v57
	v_cvt_pkrtz_f16_f32 v57, v51, v59
	s_waitcnt vmcnt(1)
	v_cmp_ne_u16_sdwa s[14:15], v40, v54 src0_sel:BYTE_0 src1_sel:DWORD
	v_mfma_f32_16x16x16f16 v[34:37], v[56:57], v[18:19], v[34:37]
	v_cvt_pkrtz_f16_f32 v56, v58, v61
	v_cvt_pkrtz_f16_f32 v57, v60, v62
	s_nop 1
	v_mfma_f32_16x16x16f16 v[34:37], v[56:57], v[20:21], v[34:37]
	s_and_saveexec_b64 s[12:13], s[14:15]
	s_cbranch_execz .LBB652_461
; %bb.456:                              ;   in Loop: Header=BB652_215 Depth=1
	v_cmp_ne_u16_sdwa s[16:17], v40, s9 src0_sel:BYTE_0 src1_sel:DWORD
	v_bfrev_b32_e32 v46, 1
	s_and_saveexec_b64 s[14:15], s[16:17]
	s_cbranch_execz .LBB652_460
; %bb.457:                              ;   in Loop: Header=BB652_215 Depth=1
	v_and_b32_e32 v42, 0x7f, v40
	v_cmp_ne_u32_e32 vcc, s19, v42
	v_mov_b32_e32 v46, 0x7f800001
	s_and_saveexec_b64 s[16:17], vcc
	s_cbranch_execz .LBB652_459
; %bb.458:                              ;   in Loop: Header=BB652_215 Depth=1
	v_and_b32_e32 v44, 7, v40
	v_ffbh_u32_e32 v51, v44
	v_min_u32_e32 v51, 32, v51
	v_subrev_u32_e32 v56, 28, v51
	v_lshlrev_b64 v[56:57], v56, v[40:41]
	v_lshrrev_b32_e32 v46, 3, v42
	v_sub_u32_e32 v51, 29, v51
	v_and_b32_e32 v56, 7, v56
	v_cmp_gt_u32_e32 vcc, 8, v42
	v_cndmask_b32_e32 v42, v46, v51, vcc
	v_cndmask_b32_e32 v44, v44, v56, vcc
	v_lshlrev_b32_e32 v46, 24, v40
	v_lshlrev_b32_e32 v44, 20, v44
	v_and_b32_e32 v46, 0x80000000, v46
	v_lshl_add_u32 v42, v42, 23, v55
	v_or3_b32 v46, v46, v42, v44
.LBB652_459:                            ;   in Loop: Header=BB652_215 Depth=1
	s_or_b64 exec, exec, s[16:17]
.LBB652_460:                            ;   in Loop: Header=BB652_215 Depth=1
	s_or_b64 exec, exec, s[14:15]
.LBB652_461:                            ;   in Loop: Header=BB652_215 Depth=1
	s_or_b64 exec, exec, s[12:13]
	v_lshrrev_b16_e32 v42, 8, v40
	v_cmp_ne_u16_e32 vcc, 0, v42
	v_mov_b32_e32 v44, 0
	v_mov_b32_e32 v56, 0
	s_and_saveexec_b64 s[12:13], vcc
	s_cbranch_execz .LBB652_467
; %bb.462:                              ;   in Loop: Header=BB652_215 Depth=1
	v_cmp_ne_u16_e32 vcc, s9, v42
	v_bfrev_b32_e32 v56, 1
	s_and_saveexec_b64 s[14:15], vcc
	s_cbranch_execz .LBB652_466
; %bb.463:                              ;   in Loop: Header=BB652_215 Depth=1
	v_and_b32_e32 v51, 0x7f, v42
	v_cmp_ne_u32_e32 vcc, s19, v51
	v_mov_b32_e32 v56, 0x7f800001
	s_and_saveexec_b64 s[16:17], vcc
	s_cbranch_execz .LBB652_465
; %bb.464:                              ;   in Loop: Header=BB652_215 Depth=1
	v_and_b32_e32 v58, 7, v42
	v_ffbh_u32_e32 v56, v58
	v_min_u32_e32 v60, 32, v56
	v_subrev_u32_e32 v56, 28, v60
	v_lshlrev_b64 v[56:57], v56, v[42:43]
	v_lshrrev_b32_e32 v59, 3, v51
	v_sub_u32_e32 v42, 29, v60
	v_and_b32_e32 v56, 7, v56
	v_cmp_gt_u32_e32 vcc, 8, v51
	v_cndmask_b32_e32 v42, v59, v42, vcc
	v_cndmask_b32_e32 v51, v58, v56, vcc
	v_lshlrev_b32_e32 v56, 16, v40
	v_lshlrev_b32_e32 v51, 20, v51
	v_and_b32_e32 v56, 0x80000000, v56
	v_lshl_add_u32 v42, v42, 23, v55
	v_or3_b32 v56, v56, v42, v51
.LBB652_465:                            ;   in Loop: Header=BB652_215 Depth=1
	s_or_b64 exec, exec, s[16:17]
.LBB652_466:                            ;   in Loop: Header=BB652_215 Depth=1
	s_or_b64 exec, exec, s[14:15]
.LBB652_467:                            ;   in Loop: Header=BB652_215 Depth=1
	s_or_b64 exec, exec, s[12:13]
	v_lshrrev_b32_e32 v42, 16, v40
	v_cmp_ne_u16_sdwa s[14:15], v42, v54 src0_sel:BYTE_0 src1_sel:DWORD
	s_and_saveexec_b64 s[12:13], s[14:15]
	s_cbranch_execz .LBB652_473
; %bb.468:                              ;   in Loop: Header=BB652_215 Depth=1
	v_cmp_ne_u16_sdwa s[16:17], v42, s9 src0_sel:BYTE_0 src1_sel:DWORD
	v_bfrev_b32_e32 v44, 1
	s_and_saveexec_b64 s[14:15], s[16:17]
	s_cbranch_execz .LBB652_472
; %bb.469:                              ;   in Loop: Header=BB652_215 Depth=1
	v_bfe_u32 v51, v40, 16, 7
	v_cmp_ne_u32_e32 vcc, s19, v51
	v_mov_b32_e32 v44, 0x7f800001
	s_and_saveexec_b64 s[16:17], vcc
	s_cbranch_execz .LBB652_471
; %bb.470:                              ;   in Loop: Header=BB652_215 Depth=1
	v_and_b32_e32 v44, 7, v42
	v_ffbh_u32_e32 v58, v44
	v_min_u32_e32 v60, 32, v58
	v_subrev_u32_e32 v58, 28, v60
	v_lshlrev_b64 v[58:59], v58, v[42:43]
	v_lshrrev_b32_e32 v57, 3, v51
	v_sub_u32_e32 v59, 29, v60
	v_and_b32_e32 v58, 7, v58
	v_cmp_gt_u32_e32 vcc, 8, v51
	v_cndmask_b32_e32 v51, v57, v59, vcc
	v_cndmask_b32_e32 v44, v44, v58, vcc
	v_lshlrev_b32_e32 v42, 24, v42
	v_lshlrev_b32_e32 v44, 20, v44
	v_and_b32_e32 v42, 0x80000000, v42
	v_lshl_add_u32 v51, v51, 23, v55
	v_or3_b32 v44, v42, v51, v44
.LBB652_471:                            ;   in Loop: Header=BB652_215 Depth=1
	s_or_b64 exec, exec, s[16:17]
.LBB652_472:                            ;   in Loop: Header=BB652_215 Depth=1
	s_or_b64 exec, exec, s[14:15]
.LBB652_473:                            ;   in Loop: Header=BB652_215 Depth=1
	s_or_b64 exec, exec, s[12:13]
	v_cmp_lt_u32_e32 vcc, s20, v40
	v_mov_b32_e32 v57, 0
	v_mov_b32_e32 v58, 0
	s_and_saveexec_b64 s[12:13], vcc
	s_cbranch_execz .LBB652_479
; %bb.474:                              ;   in Loop: Header=BB652_215 Depth=1
	v_lshrrev_b32_e32 v42, 24, v40
	v_cmp_ne_u32_e32 vcc, s9, v42
	v_bfrev_b32_e32 v58, 1
	s_and_saveexec_b64 s[14:15], vcc
	s_cbranch_execz .LBB652_478
; %bb.475:                              ;   in Loop: Header=BB652_215 Depth=1
	v_bfe_u32 v40, v40, 24, 7
	v_cmp_ne_u32_e32 vcc, s19, v40
	v_mov_b32_e32 v58, 0x7f800001
	s_and_saveexec_b64 s[16:17], vcc
	s_cbranch_execz .LBB652_477
; %bb.476:                              ;   in Loop: Header=BB652_215 Depth=1
	v_and_b32_e32 v51, 7, v42
	v_ffbh_u32_e32 v58, v51
	v_min_u32_e32 v61, 32, v58
	v_subrev_u32_e32 v58, 28, v61
	v_lshlrev_b64 v[58:59], v58, v[42:43]
	v_lshrrev_b32_e32 v60, 3, v40
	v_sub_u32_e32 v59, 29, v61
	v_and_b32_e32 v58, 7, v58
	v_cmp_gt_u32_e32 vcc, 8, v40
	v_cndmask_b32_e32 v40, v60, v59, vcc
	v_cndmask_b32_e32 v51, v51, v58, vcc
	v_lshlrev_b32_e32 v42, 24, v42
	v_lshlrev_b32_e32 v51, 20, v51
	v_and_b32_e32 v42, 0x80000000, v42
	v_lshl_add_u32 v40, v40, 23, v55
	v_or3_b32 v58, v42, v40, v51
.LBB652_477:                            ;   in Loop: Header=BB652_215 Depth=1
	s_or_b64 exec, exec, s[16:17]
.LBB652_478:                            ;   in Loop: Header=BB652_215 Depth=1
	s_or_b64 exec, exec, s[14:15]
.LBB652_479:                            ;   in Loop: Header=BB652_215 Depth=1
	s_or_b64 exec, exec, s[12:13]
	s_waitcnt vmcnt(0)
	v_cmp_ne_u16_sdwa s[14:15], v38, v54 src0_sel:BYTE_0 src1_sel:DWORD
	s_and_saveexec_b64 s[12:13], s[14:15]
	s_cbranch_execz .LBB652_485
; %bb.480:                              ;   in Loop: Header=BB652_215 Depth=1
	v_cmp_ne_u16_sdwa s[16:17], v38, s9 src0_sel:BYTE_0 src1_sel:DWORD
	v_bfrev_b32_e32 v57, 1
	s_and_saveexec_b64 s[14:15], s[16:17]
	s_cbranch_execz .LBB652_484
; %bb.481:                              ;   in Loop: Header=BB652_215 Depth=1
	v_and_b32_e32 v40, 0x7f, v38
	v_cmp_ne_u32_e32 vcc, s19, v40
	v_mov_b32_e32 v57, 0x7f800001
	s_and_saveexec_b64 s[16:17], vcc
	s_cbranch_execz .LBB652_483
; %bb.482:                              ;   in Loop: Header=BB652_215 Depth=1
	v_and_b32_e32 v42, 7, v38
	v_ffbh_u32_e32 v57, v42
	v_min_u32_e32 v57, 32, v57
	v_subrev_u32_e32 v59, 28, v57
	v_lshlrev_b64 v[60:61], v59, v[38:39]
	v_lshrrev_b32_e32 v51, 3, v40
	v_sub_u32_e32 v57, 29, v57
	v_and_b32_e32 v59, 7, v60
	v_cmp_gt_u32_e32 vcc, 8, v40
	v_cndmask_b32_e32 v40, v51, v57, vcc
	v_cndmask_b32_e32 v42, v42, v59, vcc
	v_lshlrev_b32_e32 v51, 24, v38
	v_lshlrev_b32_e32 v42, 20, v42
	v_and_b32_e32 v51, 0x80000000, v51
	v_lshl_add_u32 v40, v40, 23, v55
	v_or3_b32 v57, v51, v40, v42
.LBB652_483:                            ;   in Loop: Header=BB652_215 Depth=1
	s_or_b64 exec, exec, s[16:17]
.LBB652_484:                            ;   in Loop: Header=BB652_215 Depth=1
	s_or_b64 exec, exec, s[14:15]
.LBB652_485:                            ;   in Loop: Header=BB652_215 Depth=1
	s_or_b64 exec, exec, s[12:13]
	v_lshrrev_b16_e32 v40, 8, v38
	v_cmp_ne_u16_e32 vcc, 0, v40
	v_mov_b32_e32 v59, 0
	v_mov_b32_e32 v60, 0
	s_and_saveexec_b64 s[12:13], vcc
	s_cbranch_execz .LBB652_491
; %bb.486:                              ;   in Loop: Header=BB652_215 Depth=1
	v_cmp_ne_u16_e32 vcc, s9, v40
	v_bfrev_b32_e32 v60, 1
	s_and_saveexec_b64 s[14:15], vcc
	s_cbranch_execz .LBB652_490
; %bb.487:                              ;   in Loop: Header=BB652_215 Depth=1
	v_and_b32_e32 v42, 0x7f, v40
	v_cmp_ne_u32_e32 vcc, s19, v42
	v_mov_b32_e32 v60, 0x7f800001
	s_and_saveexec_b64 s[16:17], vcc
	s_cbranch_execz .LBB652_489
; %bb.488:                              ;   in Loop: Header=BB652_215 Depth=1
	v_and_b32_e32 v51, 7, v40
	v_ffbh_u32_e32 v60, v51
	v_min_u32_e32 v63, 32, v60
	v_subrev_u32_e32 v60, 28, v63
	v_lshlrev_b64 v[60:61], v60, v[40:41]
	v_lshrrev_b32_e32 v62, 3, v42
	v_sub_u32_e32 v40, 29, v63
	v_and_b32_e32 v60, 7, v60
	v_cmp_gt_u32_e32 vcc, 8, v42
	v_cndmask_b32_e32 v40, v62, v40, vcc
	v_cndmask_b32_e32 v42, v51, v60, vcc
	v_lshlrev_b32_e32 v51, 16, v38
	v_lshlrev_b32_e32 v42, 20, v42
	v_and_b32_e32 v51, 0x80000000, v51
	v_lshl_add_u32 v40, v40, 23, v55
	v_or3_b32 v60, v51, v40, v42
.LBB652_489:                            ;   in Loop: Header=BB652_215 Depth=1
	s_or_b64 exec, exec, s[16:17]
.LBB652_490:                            ;   in Loop: Header=BB652_215 Depth=1
	s_or_b64 exec, exec, s[14:15]
.LBB652_491:                            ;   in Loop: Header=BB652_215 Depth=1
	s_or_b64 exec, exec, s[12:13]
	v_lshrrev_b32_e32 v40, 16, v38
	v_cmp_ne_u16_sdwa s[14:15], v40, v54 src0_sel:BYTE_0 src1_sel:DWORD
	s_and_saveexec_b64 s[12:13], s[14:15]
	s_cbranch_execz .LBB652_497
; %bb.492:                              ;   in Loop: Header=BB652_215 Depth=1
	v_cmp_ne_u16_sdwa s[16:17], v40, s9 src0_sel:BYTE_0 src1_sel:DWORD
	v_bfrev_b32_e32 v59, 1
	s_and_saveexec_b64 s[14:15], s[16:17]
	s_cbranch_execz .LBB652_496
; %bb.493:                              ;   in Loop: Header=BB652_215 Depth=1
	v_bfe_u32 v42, v38, 16, 7
	v_cmp_ne_u32_e32 vcc, s19, v42
	v_mov_b32_e32 v59, 0x7f800001
	s_and_saveexec_b64 s[16:17], vcc
	s_cbranch_execz .LBB652_495
; %bb.494:                              ;   in Loop: Header=BB652_215 Depth=1
	v_and_b32_e32 v51, 7, v40
	v_ffbh_u32_e32 v61, v51
	v_min_u32_e32 v61, 32, v61
	v_subrev_u32_e32 v62, 28, v61
	v_lshlrev_b64 v[62:63], v62, v[40:41]
	v_lshrrev_b32_e32 v59, 3, v42
	v_sub_u32_e32 v61, 29, v61
	v_and_b32_e32 v62, 7, v62
	v_cmp_gt_u32_e32 vcc, 8, v42
	v_cndmask_b32_e32 v42, v59, v61, vcc
	v_cndmask_b32_e32 v51, v51, v62, vcc
	v_lshlrev_b32_e32 v40, 24, v40
	v_lshlrev_b32_e32 v51, 20, v51
	v_and_b32_e32 v40, 0x80000000, v40
	v_lshl_add_u32 v42, v42, 23, v55
	v_or3_b32 v59, v40, v42, v51
.LBB652_495:                            ;   in Loop: Header=BB652_215 Depth=1
	s_or_b64 exec, exec, s[16:17]
.LBB652_496:                            ;   in Loop: Header=BB652_215 Depth=1
	s_or_b64 exec, exec, s[14:15]
.LBB652_497:                            ;   in Loop: Header=BB652_215 Depth=1
	s_or_b64 exec, exec, s[12:13]
	v_cmp_lt_u32_e32 vcc, s20, v38
	v_mov_b32_e32 v51, 0
	v_mov_b32_e32 v61, 0
	s_and_saveexec_b64 s[12:13], vcc
	s_cbranch_execz .LBB652_503
; %bb.498:                              ;   in Loop: Header=BB652_215 Depth=1
	v_lshrrev_b32_e32 v40, 24, v38
	v_cmp_ne_u32_e32 vcc, s9, v40
	v_bfrev_b32_e32 v61, 1
	s_and_saveexec_b64 s[14:15], vcc
	s_cbranch_execz .LBB652_502
; %bb.499:                              ;   in Loop: Header=BB652_215 Depth=1
	v_bfe_u32 v38, v38, 24, 7
	v_cmp_ne_u32_e32 vcc, s19, v38
	v_mov_b32_e32 v61, 0x7f800001
	s_and_saveexec_b64 s[16:17], vcc
	s_cbranch_execz .LBB652_501
; %bb.500:                              ;   in Loop: Header=BB652_215 Depth=1
	v_and_b32_e32 v42, 7, v40
	v_ffbh_u32_e32 v62, v42
	v_min_u32_e32 v64, 32, v62
	v_subrev_u32_e32 v62, 28, v64
	v_lshlrev_b64 v[62:63], v62, v[40:41]
	v_lshrrev_b32_e32 v61, 3, v38
	v_sub_u32_e32 v63, 29, v64
	v_and_b32_e32 v62, 7, v62
	v_cmp_gt_u32_e32 vcc, 8, v38
	v_cndmask_b32_e32 v38, v61, v63, vcc
	v_cndmask_b32_e32 v42, v42, v62, vcc
	v_lshlrev_b32_e32 v40, 24, v40
	v_lshlrev_b32_e32 v42, 20, v42
	v_and_b32_e32 v40, 0x80000000, v40
	v_lshl_add_u32 v38, v38, 23, v55
	v_or3_b32 v61, v40, v38, v42
.LBB652_501:                            ;   in Loop: Header=BB652_215 Depth=1
	s_or_b64 exec, exec, s[16:17]
.LBB652_502:                            ;   in Loop: Header=BB652_215 Depth=1
	s_or_b64 exec, exec, s[14:15]
.LBB652_503:                            ;   in Loop: Header=BB652_215 Depth=1
	s_or_b64 exec, exec, s[12:13]
	v_cvt_pkrtz_f16_f32 v63, v44, v58
	buffer_load_dword v44, v50, s[0:3], 0 offen
	buffer_load_dword v42, v50, s[0:3], 0 offen offset:4
	buffer_load_dword v40, v50, s[0:3], 0 offen offset:8
	;; [unrolled: 1-line block ×3, first 2 shown]
	v_cvt_pkrtz_f16_f32 v62, v46, v56
	v_cvt_pkrtz_f16_f32 v56, v57, v60
	;; [unrolled: 1-line block ×3, first 2 shown]
	v_mfma_f32_16x16x16f16 v[34:37], v[62:63], v[22:23], v[34:37]
	s_waitcnt vmcnt(3)
	v_cmp_ne_u16_sdwa s[14:15], v44, v54 src0_sel:BYTE_0 src1_sel:DWORD
	v_mfma_f32_16x16x16f16 v[34:37], v[56:57], v[24:25], v[34:37]
	s_and_saveexec_b64 s[12:13], s[14:15]
	s_cbranch_execz .LBB652_509
; %bb.504:                              ;   in Loop: Header=BB652_215 Depth=1
	v_cmp_ne_u16_sdwa s[16:17], v44, s9 src0_sel:BYTE_0 src1_sel:DWORD
	v_bfrev_b32_e32 v51, 1
	s_and_saveexec_b64 s[14:15], s[16:17]
	s_cbranch_execz .LBB652_508
; %bb.505:                              ;   in Loop: Header=BB652_215 Depth=1
	v_and_b32_e32 v46, 0x7f, v44
	v_cmp_ne_u32_e32 vcc, s19, v46
	v_mov_b32_e32 v51, 0x7f800001
	s_and_saveexec_b64 s[16:17], vcc
	s_cbranch_execz .LBB652_507
; %bb.506:                              ;   in Loop: Header=BB652_215 Depth=1
	v_and_b32_e32 v56, 7, v44
	v_ffbh_u32_e32 v50, v56
	v_min_u32_e32 v58, 32, v50
	v_subrev_u32_e32 v50, 28, v58
	v_lshlrev_b64 v[50:51], v50, v[44:45]
	v_lshrrev_b32_e32 v57, 3, v46
	v_sub_u32_e32 v51, 29, v58
	v_and_b32_e32 v50, 7, v50
	v_cmp_gt_u32_e32 vcc, 8, v46
	v_cndmask_b32_e32 v46, v57, v51, vcc
	v_cndmask_b32_e32 v50, v56, v50, vcc
	v_lshlrev_b32_e32 v51, 24, v44
	v_lshlrev_b32_e32 v50, 20, v50
	v_and_b32_e32 v51, 0x80000000, v51
	v_lshl_add_u32 v46, v46, 23, v55
	v_or3_b32 v51, v51, v46, v50
.LBB652_507:                            ;   in Loop: Header=BB652_215 Depth=1
	s_or_b64 exec, exec, s[16:17]
.LBB652_508:                            ;   in Loop: Header=BB652_215 Depth=1
	s_or_b64 exec, exec, s[14:15]
.LBB652_509:                            ;   in Loop: Header=BB652_215 Depth=1
	s_or_b64 exec, exec, s[12:13]
	v_lshrrev_b16_e32 v46, 8, v44
	v_cmp_ne_u16_e32 vcc, 0, v46
	v_mov_b32_e32 v50, 0
	v_mov_b32_e32 v56, 0
	s_and_saveexec_b64 s[12:13], vcc
	s_cbranch_execz .LBB652_515
; %bb.510:                              ;   in Loop: Header=BB652_215 Depth=1
	v_cmp_ne_u16_e32 vcc, s9, v46
	v_bfrev_b32_e32 v56, 1
	s_and_saveexec_b64 s[14:15], vcc
	s_cbranch_execz .LBB652_514
; %bb.511:                              ;   in Loop: Header=BB652_215 Depth=1
	v_and_b32_e32 v57, 0x7f, v46
	v_cmp_ne_u32_e32 vcc, s19, v57
	v_mov_b32_e32 v56, 0x7f800001
	s_and_saveexec_b64 s[16:17], vcc
	s_cbranch_execz .LBB652_513
; %bb.512:                              ;   in Loop: Header=BB652_215 Depth=1
	v_and_b32_e32 v56, 7, v46
	v_ffbh_u32_e32 v58, v56
	v_min_u32_e32 v61, 32, v58
	v_subrev_u32_e32 v58, 28, v61
	v_lshlrev_b64 v[58:59], v58, v[46:47]
	v_lshrrev_b32_e32 v60, 3, v57
	v_sub_u32_e32 v46, 29, v61
	v_and_b32_e32 v58, 7, v58
	v_cmp_gt_u32_e32 vcc, 8, v57
	v_cndmask_b32_e32 v46, v60, v46, vcc
	v_cndmask_b32_e32 v56, v56, v58, vcc
	v_lshlrev_b32_e32 v57, 16, v44
	v_lshlrev_b32_e32 v56, 20, v56
	v_and_b32_e32 v57, 0x80000000, v57
	v_lshl_add_u32 v46, v46, 23, v55
	v_or3_b32 v56, v57, v46, v56
.LBB652_513:                            ;   in Loop: Header=BB652_215 Depth=1
	s_or_b64 exec, exec, s[16:17]
.LBB652_514:                            ;   in Loop: Header=BB652_215 Depth=1
	s_or_b64 exec, exec, s[14:15]
.LBB652_515:                            ;   in Loop: Header=BB652_215 Depth=1
	s_or_b64 exec, exec, s[12:13]
	v_lshrrev_b32_e32 v46, 16, v44
	v_cmp_ne_u16_sdwa s[14:15], v46, v54 src0_sel:BYTE_0 src1_sel:DWORD
	s_and_saveexec_b64 s[12:13], s[14:15]
	s_cbranch_execz .LBB652_521
; %bb.516:                              ;   in Loop: Header=BB652_215 Depth=1
	v_cmp_ne_u16_sdwa s[16:17], v46, s9 src0_sel:BYTE_0 src1_sel:DWORD
	v_bfrev_b32_e32 v50, 1
	s_and_saveexec_b64 s[14:15], s[16:17]
	s_cbranch_execz .LBB652_520
; %bb.517:                              ;   in Loop: Header=BB652_215 Depth=1
	v_bfe_u32 v57, v44, 16, 7
	v_cmp_ne_u32_e32 vcc, s19, v57
	v_mov_b32_e32 v50, 0x7f800001
	s_and_saveexec_b64 s[16:17], vcc
	s_cbranch_execz .LBB652_519
; %bb.518:                              ;   in Loop: Header=BB652_215 Depth=1
	v_and_b32_e32 v50, 7, v46
	v_ffbh_u32_e32 v58, v50
	v_min_u32_e32 v61, 32, v58
	v_subrev_u32_e32 v58, 28, v61
	v_lshlrev_b64 v[58:59], v58, v[46:47]
	v_lshrrev_b32_e32 v60, 3, v57
	v_sub_u32_e32 v59, 29, v61
	v_and_b32_e32 v58, 7, v58
	v_cmp_gt_u32_e32 vcc, 8, v57
	v_cndmask_b32_e32 v57, v60, v59, vcc
	v_cndmask_b32_e32 v50, v50, v58, vcc
	v_lshlrev_b32_e32 v46, 24, v46
	v_lshlrev_b32_e32 v50, 20, v50
	v_and_b32_e32 v46, 0x80000000, v46
	v_lshl_add_u32 v57, v57, 23, v55
	v_or3_b32 v50, v46, v57, v50
.LBB652_519:                            ;   in Loop: Header=BB652_215 Depth=1
	s_or_b64 exec, exec, s[16:17]
.LBB652_520:                            ;   in Loop: Header=BB652_215 Depth=1
	s_or_b64 exec, exec, s[14:15]
.LBB652_521:                            ;   in Loop: Header=BB652_215 Depth=1
	s_or_b64 exec, exec, s[12:13]
	v_cmp_lt_u32_e32 vcc, s20, v44
	v_mov_b32_e32 v57, 0
	v_mov_b32_e32 v58, 0
	s_and_saveexec_b64 s[12:13], vcc
	s_cbranch_execz .LBB652_527
; %bb.522:                              ;   in Loop: Header=BB652_215 Depth=1
	v_lshrrev_b32_e32 v46, 24, v44
	v_cmp_ne_u32_e32 vcc, s9, v46
	v_bfrev_b32_e32 v58, 1
	s_and_saveexec_b64 s[14:15], vcc
	s_cbranch_execz .LBB652_526
; %bb.523:                              ;   in Loop: Header=BB652_215 Depth=1
	v_bfe_u32 v44, v44, 24, 7
	v_cmp_ne_u32_e32 vcc, s19, v44
	v_mov_b32_e32 v58, 0x7f800001
	s_and_saveexec_b64 s[16:17], vcc
	s_cbranch_execz .LBB652_525
; %bb.524:                              ;   in Loop: Header=BB652_215 Depth=1
	v_and_b32_e32 v60, 7, v46
	v_ffbh_u32_e32 v58, v60
	v_min_u32_e32 v62, 32, v58
	v_subrev_u32_e32 v58, 28, v62
	v_lshlrev_b64 v[58:59], v58, v[46:47]
	v_lshrrev_b32_e32 v61, 3, v44
	v_sub_u32_e32 v59, 29, v62
	v_and_b32_e32 v58, 7, v58
	v_cmp_gt_u32_e32 vcc, 8, v44
	v_cndmask_b32_e32 v44, v61, v59, vcc
	v_cndmask_b32_e32 v58, v60, v58, vcc
	v_lshlrev_b32_e32 v46, 24, v46
	v_lshlrev_b32_e32 v58, 20, v58
	v_and_b32_e32 v46, 0x80000000, v46
	v_lshl_add_u32 v44, v44, 23, v55
	v_or3_b32 v58, v46, v44, v58
.LBB652_525:                            ;   in Loop: Header=BB652_215 Depth=1
	s_or_b64 exec, exec, s[16:17]
.LBB652_526:                            ;   in Loop: Header=BB652_215 Depth=1
	s_or_b64 exec, exec, s[14:15]
.LBB652_527:                            ;   in Loop: Header=BB652_215 Depth=1
	s_or_b64 exec, exec, s[12:13]
	s_waitcnt vmcnt(2)
	v_cmp_ne_u16_sdwa s[14:15], v42, v54 src0_sel:BYTE_0 src1_sel:DWORD
	s_and_saveexec_b64 s[12:13], s[14:15]
	s_cbranch_execz .LBB652_533
; %bb.528:                              ;   in Loop: Header=BB652_215 Depth=1
	v_cmp_ne_u16_sdwa s[16:17], v42, s9 src0_sel:BYTE_0 src1_sel:DWORD
	v_bfrev_b32_e32 v57, 1
	s_and_saveexec_b64 s[14:15], s[16:17]
	s_cbranch_execz .LBB652_532
; %bb.529:                              ;   in Loop: Header=BB652_215 Depth=1
	v_and_b32_e32 v44, 0x7f, v42
	v_cmp_ne_u32_e32 vcc, s19, v44
	v_mov_b32_e32 v57, 0x7f800001
	s_and_saveexec_b64 s[16:17], vcc
	s_cbranch_execz .LBB652_531
; %bb.530:                              ;   in Loop: Header=BB652_215 Depth=1
	v_and_b32_e32 v46, 7, v42
	v_ffbh_u32_e32 v59, v46
	v_min_u32_e32 v59, 32, v59
	v_subrev_u32_e32 v60, 28, v59
	v_lshlrev_b64 v[60:61], v60, v[42:43]
	v_lshrrev_b32_e32 v57, 3, v44
	v_sub_u32_e32 v59, 29, v59
	v_and_b32_e32 v60, 7, v60
	v_cmp_gt_u32_e32 vcc, 8, v44
	v_cndmask_b32_e32 v44, v57, v59, vcc
	v_cndmask_b32_e32 v46, v46, v60, vcc
	v_lshlrev_b32_e32 v57, 24, v42
	v_lshlrev_b32_e32 v46, 20, v46
	v_and_b32_e32 v57, 0x80000000, v57
	v_lshl_add_u32 v44, v44, 23, v55
	v_or3_b32 v57, v57, v44, v46
.LBB652_531:                            ;   in Loop: Header=BB652_215 Depth=1
	s_or_b64 exec, exec, s[16:17]
.LBB652_532:                            ;   in Loop: Header=BB652_215 Depth=1
	s_or_b64 exec, exec, s[14:15]
.LBB652_533:                            ;   in Loop: Header=BB652_215 Depth=1
	s_or_b64 exec, exec, s[12:13]
	v_lshrrev_b16_e32 v44, 8, v42
	v_cmp_ne_u16_e32 vcc, 0, v44
	v_mov_b32_e32 v59, 0
	v_mov_b32_e32 v60, 0
	s_and_saveexec_b64 s[12:13], vcc
	s_cbranch_execz .LBB652_539
; %bb.534:                              ;   in Loop: Header=BB652_215 Depth=1
	v_cmp_ne_u16_e32 vcc, s9, v44
	v_bfrev_b32_e32 v60, 1
	s_and_saveexec_b64 s[14:15], vcc
	s_cbranch_execz .LBB652_538
; %bb.535:                              ;   in Loop: Header=BB652_215 Depth=1
	v_and_b32_e32 v46, 0x7f, v44
	v_cmp_ne_u32_e32 vcc, s19, v46
	v_mov_b32_e32 v60, 0x7f800001
	s_and_saveexec_b64 s[16:17], vcc
	s_cbranch_execz .LBB652_537
; %bb.536:                              ;   in Loop: Header=BB652_215 Depth=1
	v_and_b32_e32 v62, 7, v44
	v_ffbh_u32_e32 v60, v62
	v_min_u32_e32 v64, 32, v60
	v_subrev_u32_e32 v60, 28, v64
	v_lshlrev_b64 v[60:61], v60, v[44:45]
	v_lshrrev_b32_e32 v63, 3, v46
	v_sub_u32_e32 v44, 29, v64
	v_and_b32_e32 v60, 7, v60
	v_cmp_gt_u32_e32 vcc, 8, v46
	v_cndmask_b32_e32 v44, v63, v44, vcc
	v_cndmask_b32_e32 v46, v62, v60, vcc
	v_lshlrev_b32_e32 v60, 16, v42
	v_lshlrev_b32_e32 v46, 20, v46
	v_and_b32_e32 v60, 0x80000000, v60
	v_lshl_add_u32 v44, v44, 23, v55
	v_or3_b32 v60, v60, v44, v46
.LBB652_537:                            ;   in Loop: Header=BB652_215 Depth=1
	s_or_b64 exec, exec, s[16:17]
.LBB652_538:                            ;   in Loop: Header=BB652_215 Depth=1
	s_or_b64 exec, exec, s[14:15]
.LBB652_539:                            ;   in Loop: Header=BB652_215 Depth=1
	s_or_b64 exec, exec, s[12:13]
	v_lshrrev_b32_e32 v44, 16, v42
	v_cmp_ne_u16_sdwa s[14:15], v44, v54 src0_sel:BYTE_0 src1_sel:DWORD
	s_and_saveexec_b64 s[12:13], s[14:15]
	s_cbranch_execz .LBB652_545
; %bb.540:                              ;   in Loop: Header=BB652_215 Depth=1
	v_cmp_ne_u16_sdwa s[16:17], v44, s9 src0_sel:BYTE_0 src1_sel:DWORD
	v_bfrev_b32_e32 v59, 1
	s_and_saveexec_b64 s[14:15], s[16:17]
	s_cbranch_execz .LBB652_544
; %bb.541:                              ;   in Loop: Header=BB652_215 Depth=1
	v_bfe_u32 v46, v42, 16, 7
	v_cmp_ne_u32_e32 vcc, s19, v46
	v_mov_b32_e32 v59, 0x7f800001
	s_and_saveexec_b64 s[16:17], vcc
	s_cbranch_execz .LBB652_543
; %bb.542:                              ;   in Loop: Header=BB652_215 Depth=1
	v_and_b32_e32 v59, 7, v44
	v_ffbh_u32_e32 v62, v59
	v_min_u32_e32 v64, 32, v62
	v_subrev_u32_e32 v62, 28, v64
	v_lshlrev_b64 v[62:63], v62, v[44:45]
	v_lshrrev_b32_e32 v61, 3, v46
	v_sub_u32_e32 v63, 29, v64
	v_and_b32_e32 v62, 7, v62
	v_cmp_gt_u32_e32 vcc, 8, v46
	v_cndmask_b32_e32 v46, v61, v63, vcc
	v_cndmask_b32_e32 v59, v59, v62, vcc
	v_lshlrev_b32_e32 v44, 24, v44
	v_lshlrev_b32_e32 v59, 20, v59
	v_and_b32_e32 v44, 0x80000000, v44
	v_lshl_add_u32 v46, v46, 23, v55
	v_or3_b32 v59, v44, v46, v59
.LBB652_543:                            ;   in Loop: Header=BB652_215 Depth=1
	s_or_b64 exec, exec, s[16:17]
.LBB652_544:                            ;   in Loop: Header=BB652_215 Depth=1
	s_or_b64 exec, exec, s[14:15]
.LBB652_545:                            ;   in Loop: Header=BB652_215 Depth=1
	s_or_b64 exec, exec, s[12:13]
	v_cmp_lt_u32_e32 vcc, s20, v42
	v_mov_b32_e32 v46, 0
	v_mov_b32_e32 v61, 0
	s_and_saveexec_b64 s[12:13], vcc
	s_cbranch_execz .LBB652_551
; %bb.546:                              ;   in Loop: Header=BB652_215 Depth=1
	v_lshrrev_b32_e32 v44, 24, v42
	v_cmp_ne_u32_e32 vcc, s9, v44
	v_bfrev_b32_e32 v61, 1
	s_and_saveexec_b64 s[14:15], vcc
	s_cbranch_execz .LBB652_550
; %bb.547:                              ;   in Loop: Header=BB652_215 Depth=1
	v_bfe_u32 v42, v42, 24, 7
	v_cmp_ne_u32_e32 vcc, s19, v42
	v_mov_b32_e32 v61, 0x7f800001
	s_and_saveexec_b64 s[16:17], vcc
	s_cbranch_execz .LBB652_549
; %bb.548:                              ;   in Loop: Header=BB652_215 Depth=1
	v_and_b32_e32 v61, 7, v44
	v_ffbh_u32_e32 v62, v61
	v_min_u32_e32 v65, 32, v62
	v_subrev_u32_e32 v62, 28, v65
	v_lshlrev_b64 v[62:63], v62, v[44:45]
	v_lshrrev_b32_e32 v64, 3, v42
	v_sub_u32_e32 v63, 29, v65
	v_and_b32_e32 v62, 7, v62
	v_cmp_gt_u32_e32 vcc, 8, v42
	v_cndmask_b32_e32 v42, v64, v63, vcc
	v_cndmask_b32_e32 v61, v61, v62, vcc
	v_lshlrev_b32_e32 v44, 24, v44
	v_lshlrev_b32_e32 v61, 20, v61
	v_and_b32_e32 v44, 0x80000000, v44
	v_lshl_add_u32 v42, v42, 23, v55
	v_or3_b32 v61, v44, v42, v61
.LBB652_549:                            ;   in Loop: Header=BB652_215 Depth=1
	s_or_b64 exec, exec, s[16:17]
.LBB652_550:                            ;   in Loop: Header=BB652_215 Depth=1
	s_or_b64 exec, exec, s[14:15]
.LBB652_551:                            ;   in Loop: Header=BB652_215 Depth=1
	s_or_b64 exec, exec, s[12:13]
	v_cvt_pkrtz_f16_f32 v62, v51, v56
	v_cvt_pkrtz_f16_f32 v63, v50, v58
	;; [unrolled: 1-line block ×4, first 2 shown]
	s_waitcnt vmcnt(1)
	v_cmp_ne_u16_sdwa s[14:15], v40, v54 src0_sel:BYTE_0 src1_sel:DWORD
	v_mfma_f32_16x16x16f16 v[34:37], v[62:63], v[26:27], v[34:37]
	v_mfma_f32_16x16x16f16 v[34:37], v[50:51], v[28:29], v[34:37]
	s_and_saveexec_b64 s[12:13], s[14:15]
	s_cbranch_execz .LBB652_557
; %bb.552:                              ;   in Loop: Header=BB652_215 Depth=1
	v_cmp_ne_u16_sdwa s[16:17], v40, s9 src0_sel:BYTE_0 src1_sel:DWORD
	v_bfrev_b32_e32 v46, 1
	s_and_saveexec_b64 s[14:15], s[16:17]
	s_cbranch_execz .LBB652_556
; %bb.553:                              ;   in Loop: Header=BB652_215 Depth=1
	v_and_b32_e32 v42, 0x7f, v40
	v_cmp_ne_u32_e32 vcc, s19, v42
	v_mov_b32_e32 v46, 0x7f800001
	s_and_saveexec_b64 s[16:17], vcc
	s_cbranch_execz .LBB652_555
; %bb.554:                              ;   in Loop: Header=BB652_215 Depth=1
	v_and_b32_e32 v44, 7, v40
	v_ffbh_u32_e32 v50, v44
	v_min_u32_e32 v56, 32, v50
	v_subrev_u32_e32 v50, 28, v56
	v_lshlrev_b64 v[50:51], v50, v[40:41]
	v_lshrrev_b32_e32 v46, 3, v42
	v_sub_u32_e32 v51, 29, v56
	v_and_b32_e32 v50, 7, v50
	v_cmp_gt_u32_e32 vcc, 8, v42
	v_cndmask_b32_e32 v42, v46, v51, vcc
	v_cndmask_b32_e32 v44, v44, v50, vcc
	v_lshlrev_b32_e32 v46, 24, v40
	v_lshlrev_b32_e32 v44, 20, v44
	v_and_b32_e32 v46, 0x80000000, v46
	v_lshl_add_u32 v42, v42, 23, v55
	v_or3_b32 v46, v46, v42, v44
.LBB652_555:                            ;   in Loop: Header=BB652_215 Depth=1
	s_or_b64 exec, exec, s[16:17]
.LBB652_556:                            ;   in Loop: Header=BB652_215 Depth=1
	s_or_b64 exec, exec, s[14:15]
.LBB652_557:                            ;   in Loop: Header=BB652_215 Depth=1
	s_or_b64 exec, exec, s[12:13]
	v_lshrrev_b16_e32 v42, 8, v40
	v_cmp_ne_u16_e32 vcc, 0, v42
	v_mov_b32_e32 v44, 0
	v_mov_b32_e32 v50, 0
	s_and_saveexec_b64 s[12:13], vcc
	s_cbranch_execz .LBB652_563
; %bb.558:                              ;   in Loop: Header=BB652_215 Depth=1
	v_cmp_ne_u16_e32 vcc, s9, v42
	v_bfrev_b32_e32 v50, 1
	s_and_saveexec_b64 s[14:15], vcc
	s_cbranch_execz .LBB652_562
; %bb.559:                              ;   in Loop: Header=BB652_215 Depth=1
	v_and_b32_e32 v51, 0x7f, v42
	v_cmp_ne_u32_e32 vcc, s19, v51
	v_mov_b32_e32 v50, 0x7f800001
	s_and_saveexec_b64 s[16:17], vcc
	s_cbranch_execz .LBB652_561
; %bb.560:                              ;   in Loop: Header=BB652_215 Depth=1
	v_and_b32_e32 v50, 7, v42
	v_ffbh_u32_e32 v56, v50
	v_min_u32_e32 v59, 32, v56
	v_subrev_u32_e32 v56, 28, v59
	v_lshlrev_b64 v[56:57], v56, v[42:43]
	v_lshrrev_b32_e32 v58, 3, v51
	v_sub_u32_e32 v42, 29, v59
	v_and_b32_e32 v56, 7, v56
	v_cmp_gt_u32_e32 vcc, 8, v51
	v_cndmask_b32_e32 v42, v58, v42, vcc
	v_cndmask_b32_e32 v50, v50, v56, vcc
	v_lshlrev_b32_e32 v51, 16, v40
	v_lshlrev_b32_e32 v50, 20, v50
	v_and_b32_e32 v51, 0x80000000, v51
	v_lshl_add_u32 v42, v42, 23, v55
	v_or3_b32 v50, v51, v42, v50
.LBB652_561:                            ;   in Loop: Header=BB652_215 Depth=1
	s_or_b64 exec, exec, s[16:17]
.LBB652_562:                            ;   in Loop: Header=BB652_215 Depth=1
	s_or_b64 exec, exec, s[14:15]
.LBB652_563:                            ;   in Loop: Header=BB652_215 Depth=1
	s_or_b64 exec, exec, s[12:13]
	v_lshrrev_b32_e32 v42, 16, v40
	v_cmp_ne_u16_sdwa s[14:15], v42, v54 src0_sel:BYTE_0 src1_sel:DWORD
	s_and_saveexec_b64 s[12:13], s[14:15]
	s_cbranch_execz .LBB652_569
; %bb.564:                              ;   in Loop: Header=BB652_215 Depth=1
	v_cmp_ne_u16_sdwa s[16:17], v42, s9 src0_sel:BYTE_0 src1_sel:DWORD
	v_bfrev_b32_e32 v44, 1
	s_and_saveexec_b64 s[14:15], s[16:17]
	s_cbranch_execz .LBB652_568
; %bb.565:                              ;   in Loop: Header=BB652_215 Depth=1
	v_bfe_u32 v51, v40, 16, 7
	v_cmp_ne_u32_e32 vcc, s19, v51
	v_mov_b32_e32 v44, 0x7f800001
	s_and_saveexec_b64 s[16:17], vcc
	s_cbranch_execz .LBB652_567
; %bb.566:                              ;   in Loop: Header=BB652_215 Depth=1
	v_and_b32_e32 v44, 7, v42
	v_ffbh_u32_e32 v56, v44
	v_min_u32_e32 v59, 32, v56
	v_subrev_u32_e32 v56, 28, v59
	v_lshlrev_b64 v[56:57], v56, v[42:43]
	v_lshrrev_b32_e32 v58, 3, v51
	v_sub_u32_e32 v57, 29, v59
	v_and_b32_e32 v56, 7, v56
	v_cmp_gt_u32_e32 vcc, 8, v51
	v_cndmask_b32_e32 v51, v58, v57, vcc
	v_cndmask_b32_e32 v44, v44, v56, vcc
	v_lshlrev_b32_e32 v42, 24, v42
	v_lshlrev_b32_e32 v44, 20, v44
	v_and_b32_e32 v42, 0x80000000, v42
	v_lshl_add_u32 v51, v51, 23, v55
	v_or3_b32 v44, v42, v51, v44
.LBB652_567:                            ;   in Loop: Header=BB652_215 Depth=1
	s_or_b64 exec, exec, s[16:17]
.LBB652_568:                            ;   in Loop: Header=BB652_215 Depth=1
	s_or_b64 exec, exec, s[14:15]
.LBB652_569:                            ;   in Loop: Header=BB652_215 Depth=1
	s_or_b64 exec, exec, s[12:13]
	v_cmp_lt_u32_e32 vcc, s20, v40
	v_mov_b32_e32 v51, 0
	v_mov_b32_e32 v56, 0
	s_and_saveexec_b64 s[12:13], vcc
	s_cbranch_execz .LBB652_575
; %bb.570:                              ;   in Loop: Header=BB652_215 Depth=1
	v_lshrrev_b32_e32 v42, 24, v40
	v_cmp_ne_u32_e32 vcc, s9, v42
	v_bfrev_b32_e32 v56, 1
	s_and_saveexec_b64 s[14:15], vcc
	s_cbranch_execz .LBB652_574
; %bb.571:                              ;   in Loop: Header=BB652_215 Depth=1
	v_bfe_u32 v40, v40, 24, 7
	v_cmp_ne_u32_e32 vcc, s19, v40
	v_mov_b32_e32 v56, 0x7f800001
	s_and_saveexec_b64 s[16:17], vcc
	s_cbranch_execz .LBB652_573
; %bb.572:                              ;   in Loop: Header=BB652_215 Depth=1
	v_and_b32_e32 v58, 7, v42
	v_ffbh_u32_e32 v56, v58
	v_min_u32_e32 v60, 32, v56
	v_subrev_u32_e32 v56, 28, v60
	v_lshlrev_b64 v[56:57], v56, v[42:43]
	v_lshrrev_b32_e32 v59, 3, v40
	v_sub_u32_e32 v57, 29, v60
	v_and_b32_e32 v56, 7, v56
	v_cmp_gt_u32_e32 vcc, 8, v40
	v_cndmask_b32_e32 v40, v59, v57, vcc
	v_cndmask_b32_e32 v56, v58, v56, vcc
	v_lshlrev_b32_e32 v42, 24, v42
	v_lshlrev_b32_e32 v56, 20, v56
	v_and_b32_e32 v42, 0x80000000, v42
	v_lshl_add_u32 v40, v40, 23, v55
	v_or3_b32 v56, v42, v40, v56
.LBB652_573:                            ;   in Loop: Header=BB652_215 Depth=1
	s_or_b64 exec, exec, s[16:17]
.LBB652_574:                            ;   in Loop: Header=BB652_215 Depth=1
	s_or_b64 exec, exec, s[14:15]
.LBB652_575:                            ;   in Loop: Header=BB652_215 Depth=1
	s_or_b64 exec, exec, s[12:13]
	s_waitcnt vmcnt(0)
	v_cmp_ne_u16_sdwa s[14:15], v38, v54 src0_sel:BYTE_0 src1_sel:DWORD
	s_and_saveexec_b64 s[12:13], s[14:15]
	s_cbranch_execz .LBB652_581
; %bb.576:                              ;   in Loop: Header=BB652_215 Depth=1
	v_cmp_ne_u16_sdwa s[16:17], v38, s9 src0_sel:BYTE_0 src1_sel:DWORD
	v_bfrev_b32_e32 v51, 1
	s_and_saveexec_b64 s[14:15], s[16:17]
	s_cbranch_execz .LBB652_580
; %bb.577:                              ;   in Loop: Header=BB652_215 Depth=1
	v_and_b32_e32 v40, 0x7f, v38
	v_cmp_ne_u32_e32 vcc, s19, v40
	v_mov_b32_e32 v51, 0x7f800001
	s_and_saveexec_b64 s[16:17], vcc
	s_cbranch_execz .LBB652_579
; %bb.578:                              ;   in Loop: Header=BB652_215 Depth=1
	v_and_b32_e32 v42, 7, v38
	v_ffbh_u32_e32 v57, v42
	v_min_u32_e32 v57, 32, v57
	v_subrev_u32_e32 v58, 28, v57
	v_lshlrev_b64 v[58:59], v58, v[38:39]
	v_lshrrev_b32_e32 v51, 3, v40
	v_sub_u32_e32 v57, 29, v57
	v_and_b32_e32 v58, 7, v58
	v_cmp_gt_u32_e32 vcc, 8, v40
	v_cndmask_b32_e32 v40, v51, v57, vcc
	v_cndmask_b32_e32 v42, v42, v58, vcc
	v_lshlrev_b32_e32 v51, 24, v38
	v_lshlrev_b32_e32 v42, 20, v42
	v_and_b32_e32 v51, 0x80000000, v51
	v_lshl_add_u32 v40, v40, 23, v55
	v_or3_b32 v51, v51, v40, v42
.LBB652_579:                            ;   in Loop: Header=BB652_215 Depth=1
	s_or_b64 exec, exec, s[16:17]
.LBB652_580:                            ;   in Loop: Header=BB652_215 Depth=1
	s_or_b64 exec, exec, s[14:15]
.LBB652_581:                            ;   in Loop: Header=BB652_215 Depth=1
	s_or_b64 exec, exec, s[12:13]
	v_lshrrev_b16_e32 v40, 8, v38
	v_cmp_ne_u16_e32 vcc, 0, v40
	v_mov_b32_e32 v42, 0
	v_mov_b32_e32 v57, 0
	s_and_saveexec_b64 s[12:13], vcc
	s_cbranch_execz .LBB652_587
; %bb.582:                              ;   in Loop: Header=BB652_215 Depth=1
	v_cmp_ne_u16_e32 vcc, s9, v40
	v_bfrev_b32_e32 v57, 1
	s_and_saveexec_b64 s[14:15], vcc
	s_cbranch_execz .LBB652_586
; %bb.583:                              ;   in Loop: Header=BB652_215 Depth=1
	v_and_b32_e32 v58, 0x7f, v40
	v_cmp_ne_u32_e32 vcc, s19, v58
	v_mov_b32_e32 v57, 0x7f800001
	s_and_saveexec_b64 s[16:17], vcc
	s_cbranch_execz .LBB652_585
; %bb.584:                              ;   in Loop: Header=BB652_215 Depth=1
	v_and_b32_e32 v57, 7, v40
	v_ffbh_u32_e32 v60, v57
	v_min_u32_e32 v62, 32, v60
	v_subrev_u32_e32 v60, 28, v62
	v_lshlrev_b64 v[60:61], v60, v[40:41]
	v_lshrrev_b32_e32 v59, 3, v58
	v_sub_u32_e32 v40, 29, v62
	v_and_b32_e32 v60, 7, v60
	v_cmp_gt_u32_e32 vcc, 8, v58
	v_cndmask_b32_e32 v40, v59, v40, vcc
	v_cndmask_b32_e32 v57, v57, v60, vcc
	v_lshlrev_b32_e32 v58, 16, v38
	v_lshlrev_b32_e32 v57, 20, v57
	v_and_b32_e32 v58, 0x80000000, v58
	v_lshl_add_u32 v40, v40, 23, v55
	v_or3_b32 v57, v58, v40, v57
.LBB652_585:                            ;   in Loop: Header=BB652_215 Depth=1
	s_or_b64 exec, exec, s[16:17]
.LBB652_586:                            ;   in Loop: Header=BB652_215 Depth=1
	s_or_b64 exec, exec, s[14:15]
.LBB652_587:                            ;   in Loop: Header=BB652_215 Depth=1
	s_or_b64 exec, exec, s[12:13]
	v_lshrrev_b32_e32 v40, 16, v38
	v_cmp_ne_u16_sdwa s[14:15], v40, v54 src0_sel:BYTE_0 src1_sel:DWORD
	s_and_saveexec_b64 s[12:13], s[14:15]
	s_cbranch_execz .LBB652_593
; %bb.588:                              ;   in Loop: Header=BB652_215 Depth=1
	v_cmp_ne_u16_sdwa s[16:17], v40, s9 src0_sel:BYTE_0 src1_sel:DWORD
	v_bfrev_b32_e32 v42, 1
	s_and_saveexec_b64 s[14:15], s[16:17]
	s_cbranch_execz .LBB652_592
; %bb.589:                              ;   in Loop: Header=BB652_215 Depth=1
	v_bfe_u32 v58, v38, 16, 7
	v_cmp_ne_u32_e32 vcc, s19, v58
	v_mov_b32_e32 v42, 0x7f800001
	s_and_saveexec_b64 s[16:17], vcc
	s_cbranch_execz .LBB652_591
; %bb.590:                              ;   in Loop: Header=BB652_215 Depth=1
	v_and_b32_e32 v42, 7, v40
	v_ffbh_u32_e32 v60, v42
	v_min_u32_e32 v62, 32, v60
	v_subrev_u32_e32 v60, 28, v62
	v_lshlrev_b64 v[60:61], v60, v[40:41]
	v_lshrrev_b32_e32 v59, 3, v58
	v_sub_u32_e32 v61, 29, v62
	v_and_b32_e32 v60, 7, v60
	v_cmp_gt_u32_e32 vcc, 8, v58
	v_cndmask_b32_e32 v58, v59, v61, vcc
	v_cndmask_b32_e32 v42, v42, v60, vcc
	v_lshlrev_b32_e32 v40, 24, v40
	v_lshlrev_b32_e32 v42, 20, v42
	v_and_b32_e32 v40, 0x80000000, v40
	v_lshl_add_u32 v58, v58, 23, v55
	v_or3_b32 v42, v40, v58, v42
.LBB652_591:                            ;   in Loop: Header=BB652_215 Depth=1
	s_or_b64 exec, exec, s[16:17]
.LBB652_592:                            ;   in Loop: Header=BB652_215 Depth=1
	s_or_b64 exec, exec, s[14:15]
.LBB652_593:                            ;   in Loop: Header=BB652_215 Depth=1
	s_or_b64 exec, exec, s[12:13]
	v_cmp_lt_u32_e32 vcc, s20, v38
	v_mov_b32_e32 v58, 0
	s_and_saveexec_b64 s[12:13], vcc
	s_cbranch_execz .LBB652_214
; %bb.594:                              ;   in Loop: Header=BB652_215 Depth=1
	v_lshrrev_b32_e32 v40, 24, v38
	v_cmp_ne_u32_e32 vcc, s9, v40
	v_bfrev_b32_e32 v58, 1
	s_and_saveexec_b64 s[14:15], vcc
	s_cbranch_execz .LBB652_213
; %bb.595:                              ;   in Loop: Header=BB652_215 Depth=1
	v_bfe_u32 v38, v38, 24, 7
	v_cmp_ne_u32_e32 vcc, s19, v38
	v_mov_b32_e32 v58, 0x7f800001
	s_and_saveexec_b64 s[16:17], vcc
	s_cbranch_execz .LBB652_212
; %bb.596:                              ;   in Loop: Header=BB652_215 Depth=1
	v_and_b32_e32 v60, 7, v40
	v_ffbh_u32_e32 v58, v60
	v_min_u32_e32 v62, 32, v58
	v_subrev_u32_e32 v58, 28, v62
	v_lshlrev_b64 v[58:59], v58, v[40:41]
	v_lshrrev_b32_e32 v61, 3, v38
	v_sub_u32_e32 v59, 29, v62
	v_and_b32_e32 v58, 7, v58
	v_cmp_gt_u32_e32 vcc, 8, v38
	v_cndmask_b32_e32 v38, v61, v59, vcc
	v_cndmask_b32_e32 v58, v60, v58, vcc
	v_lshlrev_b32_e32 v40, 24, v40
	v_lshlrev_b32_e32 v58, 20, v58
	v_and_b32_e32 v40, 0x80000000, v40
	v_lshl_add_u32 v38, v38, 23, v55
	v_or3_b32 v58, v40, v38, v58
	s_branch .LBB652_212
.LBB652_597:
	s_barrier
	buffer_load_dword v2, off, s[0:3], 0 offset:320
	buffer_load_dword v5, off, s[0:3], 0 offset:332
	;; [unrolled: 1-line block ×4, first 2 shown]
	v_cmp_gt_u32_e32 vcc, 64, v0
	s_waitcnt vmcnt(0)
	ds_write2st64_b64 v52, v[2:3], v[4:5] offset1:1
	s_waitcnt lgkmcnt(0)
	s_barrier
	s_and_saveexec_b64 s[4:5], vcc
	s_cbranch_execz .LBB652_600
; %bb.598:
	s_lshl_b32 s4, s48, 7
	s_mul_i32 s5, s18, s8
	s_mul_hi_u32 s9, s5, s4
	s_mul_i32 s8, s5, s4
	s_lshl_b64 s[8:9], s[8:9], 1
	v_lshlrev_b32_e32 v4, 6, v41
	s_add_u32 s5, s50, s8
	v_lshl_or_b32 v0, v0, 10, v4
	s_mov_b32 s7, 0
	s_addc_u32 s8, s51, s9
	s_lshl_b32 s6, s26, 7
	v_lshlrev_b32_e32 v2, 5, v1
	v_and_b32_e32 v3, 16, v43
	v_and_b32_e32 v0, 0x1a00, v0
	s_lshl_b64 s[6:7], s[6:7], 1
	v_or3_b32 v0, v0, v2, v3
	s_add_u32 s5, s5, s6
	ds_read_b128 v[4:7], v0 offset:256
	s_addc_u32 s6, s8, s7
	ds_read_b128 v[8:11], v0 offset:128
	ds_read_b128 v[12:15], v0
	v_add_u32_e32 v18, s27, v1
	v_mov_b32_e32 v3, s6
	v_add_co_u32_e32 v2, vcc, s5, v39
	v_mad_u64_u32 v[16:17], s[6:7], v18, s4, 0
	v_addc_co_u32_e32 v3, vcc, 0, v3, vcc
	v_lshlrev_b64 v[16:17], 1, v[16:17]
	v_add_co_u32_e32 v16, vcc, v2, v16
	v_addc_co_u32_e32 v17, vcc, v3, v17, vcc
	s_waitcnt lgkmcnt(0)
	global_store_dwordx4 v[16:17], v[12:15], off
	s_nop 0
	v_add_u32_e32 v12, 4, v18
	v_mad_u64_u32 v[12:13], s[6:7], v12, s4, 0
	v_lshlrev_b64 v[12:13], 1, v[12:13]
	v_add_co_u32_e32 v12, vcc, v2, v12
	v_addc_co_u32_e32 v13, vcc, v3, v13, vcc
	global_store_dwordx4 v[12:13], v[8:11], off
	s_nop 0
	v_add_u32_e32 v8, 8, v18
	v_mad_u64_u32 v[8:9], s[6:7], v8, s4, 0
	v_lshlrev_b64 v[8:9], 1, v[8:9]
	v_add_co_u32_e32 v8, vcc, v2, v8
	v_addc_co_u32_e32 v9, vcc, v3, v9, vcc
	v_cmp_ne_u32_e32 vcc, 3, v1
	global_store_dwordx4 v[8:9], v[4:7], off
	s_and_b64 exec, exec, vcc
	s_cbranch_execz .LBB652_600
; %bb.599:
	ds_read_b128 v[4:7], v0 offset:384
	v_add3_u32 v0, s27, v1, 12
	v_mad_u64_u32 v[0:1], s[4:5], v0, s4, 0
	v_lshlrev_b64 v[0:1], 1, v[0:1]
	v_add_co_u32_e32 v0, vcc, v2, v0
	v_addc_co_u32_e32 v1, vcc, v3, v1, vcc
	s_waitcnt lgkmcnt(0)
	global_store_dwordx4 v[0:1], v[4:7], off
.LBB652_600:
	s_endpgm
	.section	.rodata,"a",@progbits
	.p2align	6, 0x0
	.amdhsa_kernel _Z39paged_attention_ll4mi_QKV_mfma16_kernelIDF16_hLN4vllm18Fp8KVCacheDataTypeE1EDF16_Li32ELi128ELi256ELb1ELi15EL8MFMAType0EEvPKT_PKT0_S8_ifPKiSA_SA_iPKfiiiPfSD_PS3_PT2_iSC_SC_
		.amdhsa_group_segment_fixed_size 8192
		.amdhsa_private_segment_fixed_size 352
		.amdhsa_kernarg_size 400
		.amdhsa_user_sgpr_count 8
		.amdhsa_user_sgpr_private_segment_buffer 1
		.amdhsa_user_sgpr_dispatch_ptr 0
		.amdhsa_user_sgpr_queue_ptr 0
		.amdhsa_user_sgpr_kernarg_segment_ptr 1
		.amdhsa_user_sgpr_dispatch_id 0
		.amdhsa_user_sgpr_flat_scratch_init 1
		.amdhsa_user_sgpr_kernarg_preload_length 0
		.amdhsa_user_sgpr_kernarg_preload_offset 0
		.amdhsa_user_sgpr_private_segment_size 0
		.amdhsa_uses_dynamic_stack 0
		.amdhsa_system_sgpr_private_segment_wavefront_offset 1
		.amdhsa_system_sgpr_workgroup_id_x 1
		.amdhsa_system_sgpr_workgroup_id_y 1
		.amdhsa_system_sgpr_workgroup_id_z 1
		.amdhsa_system_sgpr_workgroup_info 0
		.amdhsa_system_vgpr_workitem_id 0
		.amdhsa_next_free_vgpr 80
		.amdhsa_next_free_sgpr 53
		.amdhsa_accum_offset 80
		.amdhsa_reserve_vcc 1
		.amdhsa_reserve_flat_scratch 0
		.amdhsa_float_round_mode_32 0
		.amdhsa_float_round_mode_16_64 0
		.amdhsa_float_denorm_mode_32 3
		.amdhsa_float_denorm_mode_16_64 3
		.amdhsa_dx10_clamp 1
		.amdhsa_ieee_mode 1
		.amdhsa_fp16_overflow 0
		.amdhsa_tg_split 0
		.amdhsa_exception_fp_ieee_invalid_op 0
		.amdhsa_exception_fp_denorm_src 0
		.amdhsa_exception_fp_ieee_div_zero 0
		.amdhsa_exception_fp_ieee_overflow 0
		.amdhsa_exception_fp_ieee_underflow 0
		.amdhsa_exception_fp_ieee_inexact 0
		.amdhsa_exception_int_div_zero 0
	.end_amdhsa_kernel
	.section	.text._Z39paged_attention_ll4mi_QKV_mfma16_kernelIDF16_hLN4vllm18Fp8KVCacheDataTypeE1EDF16_Li32ELi128ELi256ELb1ELi15EL8MFMAType0EEvPKT_PKT0_S8_ifPKiSA_SA_iPKfiiiPfSD_PS3_PT2_iSC_SC_,"axG",@progbits,_Z39paged_attention_ll4mi_QKV_mfma16_kernelIDF16_hLN4vllm18Fp8KVCacheDataTypeE1EDF16_Li32ELi128ELi256ELb1ELi15EL8MFMAType0EEvPKT_PKT0_S8_ifPKiSA_SA_iPKfiiiPfSD_PS3_PT2_iSC_SC_,comdat
.Lfunc_end652:
	.size	_Z39paged_attention_ll4mi_QKV_mfma16_kernelIDF16_hLN4vllm18Fp8KVCacheDataTypeE1EDF16_Li32ELi128ELi256ELb1ELi15EL8MFMAType0EEvPKT_PKT0_S8_ifPKiSA_SA_iPKfiiiPfSD_PS3_PT2_iSC_SC_, .Lfunc_end652-_Z39paged_attention_ll4mi_QKV_mfma16_kernelIDF16_hLN4vllm18Fp8KVCacheDataTypeE1EDF16_Li32ELi128ELi256ELb1ELi15EL8MFMAType0EEvPKT_PKT0_S8_ifPKiSA_SA_iPKfiiiPfSD_PS3_PT2_iSC_SC_
                                        ; -- End function
	.section	.AMDGPU.csdata,"",@progbits
; Kernel info:
; codeLenInByte = 21572
; NumSgprs: 57
; NumVgprs: 80
; NumAgprs: 0
; TotalNumVgprs: 80
; ScratchSize: 352
; MemoryBound: 0
; FloatMode: 240
; IeeeMode: 1
; LDSByteSize: 8192 bytes/workgroup (compile time only)
; SGPRBlocks: 7
; VGPRBlocks: 9
; NumSGPRsForWavesPerEU: 57
; NumVGPRsForWavesPerEU: 80
; AccumOffset: 80
; Occupancy: 6
; WaveLimiterHint : 1
; COMPUTE_PGM_RSRC2:SCRATCH_EN: 1
; COMPUTE_PGM_RSRC2:USER_SGPR: 8
; COMPUTE_PGM_RSRC2:TRAP_HANDLER: 0
; COMPUTE_PGM_RSRC2:TGID_X_EN: 1
; COMPUTE_PGM_RSRC2:TGID_Y_EN: 1
; COMPUTE_PGM_RSRC2:TGID_Z_EN: 1
; COMPUTE_PGM_RSRC2:TIDIG_COMP_CNT: 0
; COMPUTE_PGM_RSRC3_GFX90A:ACCUM_OFFSET: 19
; COMPUTE_PGM_RSRC3_GFX90A:TG_SPLIT: 0
	.section	.text._Z39paged_attention_ll4mi_QKV_mfma16_kernelIDF16_hLN4vllm18Fp8KVCacheDataTypeE1EDF16_Li32ELi128ELi256ELb1ELi16EL8MFMAType0EEvPKT_PKT0_S8_ifPKiSA_SA_iPKfiiiPfSD_PS3_PT2_iSC_SC_,"axG",@progbits,_Z39paged_attention_ll4mi_QKV_mfma16_kernelIDF16_hLN4vllm18Fp8KVCacheDataTypeE1EDF16_Li32ELi128ELi256ELb1ELi16EL8MFMAType0EEvPKT_PKT0_S8_ifPKiSA_SA_iPKfiiiPfSD_PS3_PT2_iSC_SC_,comdat
	.protected	_Z39paged_attention_ll4mi_QKV_mfma16_kernelIDF16_hLN4vllm18Fp8KVCacheDataTypeE1EDF16_Li32ELi128ELi256ELb1ELi16EL8MFMAType0EEvPKT_PKT0_S8_ifPKiSA_SA_iPKfiiiPfSD_PS3_PT2_iSC_SC_ ; -- Begin function _Z39paged_attention_ll4mi_QKV_mfma16_kernelIDF16_hLN4vllm18Fp8KVCacheDataTypeE1EDF16_Li32ELi128ELi256ELb1ELi16EL8MFMAType0EEvPKT_PKT0_S8_ifPKiSA_SA_iPKfiiiPfSD_PS3_PT2_iSC_SC_
	.globl	_Z39paged_attention_ll4mi_QKV_mfma16_kernelIDF16_hLN4vllm18Fp8KVCacheDataTypeE1EDF16_Li32ELi128ELi256ELb1ELi16EL8MFMAType0EEvPKT_PKT0_S8_ifPKiSA_SA_iPKfiiiPfSD_PS3_PT2_iSC_SC_
	.p2align	8
	.type	_Z39paged_attention_ll4mi_QKV_mfma16_kernelIDF16_hLN4vllm18Fp8KVCacheDataTypeE1EDF16_Li32ELi128ELi256ELb1ELi16EL8MFMAType0EEvPKT_PKT0_S8_ifPKiSA_SA_iPKfiiiPfSD_PS3_PT2_iSC_SC_,@function
_Z39paged_attention_ll4mi_QKV_mfma16_kernelIDF16_hLN4vllm18Fp8KVCacheDataTypeE1EDF16_Li32ELi128ELi256ELb1ELi16EL8MFMAType0EEvPKT_PKT0_S8_ifPKiSA_SA_iPKfiiiPfSD_PS3_PT2_iSC_SC_: ; @_Z39paged_attention_ll4mi_QKV_mfma16_kernelIDF16_hLN4vllm18Fp8KVCacheDataTypeE1EDF16_Li32ELi128ELi256ELb1ELi16EL8MFMAType0EEvPKT_PKT0_S8_ifPKiSA_SA_iPKfiiiPfSD_PS3_PT2_iSC_SC_
; %bb.0:
	s_load_dwordx2 s[16:17], s[4:5], 0x30
	s_add_u32 s0, s0, s11
	s_addc_u32 s1, s1, 0
	s_mov_b32 s26, s9
	s_mov_b64 s[6:7], 0
	s_waitcnt lgkmcnt(0)
	s_cmp_lg_u64 s[16:17], 0
	s_cselect_b64 s[18:19], -1, 0
	s_and_b64 vcc, exec, s[18:19]
	s_cbranch_vccz .LBB653_7
; %bb.1:
	s_add_i32 s12, s8, 1
	s_mov_b32 s13, 0
	s_lshl_b64 s[14:15], s[12:13], 2
	s_add_u32 s14, s16, s14
	s_mov_b32 s9, s13
	s_addc_u32 s15, s17, s15
	s_lshl_b64 s[12:13], s[8:9], 2
	s_add_u32 s12, s16, s12
	s_addc_u32 s13, s17, s13
	s_load_dword s11, s[14:15], 0x0
	s_load_dword s20, s[12:13], 0x0
	s_waitcnt lgkmcnt(0)
	s_sub_i32 s11, s11, s20
	s_cmp_eq_u32 s11, 1
	s_cselect_b64 s[12:13], -1, 0
	s_andn2_b64 vcc, exec, s[6:7]
	s_cbranch_vccnz .LBB653_3
.LBB653_2:
	s_mov_b32 s9, 0
	s_mov_b64 s[12:13], -1
.LBB653_3:
	s_andn2_b64 vcc, exec, s[12:13]
	s_cbranch_vccnz .LBB653_597
; %bb.4:
	s_load_dwordx2 s[6:7], s[4:5], 0x28
	s_lshl_b64 s[20:21], s[8:9], 2
	s_waitcnt lgkmcnt(0)
	s_add_u32 s6, s6, s20
	s_addc_u32 s7, s7, s21
	s_load_dword s33, s[6:7], 0x0
	s_lshl_b32 s22, s26, 8
	s_waitcnt lgkmcnt(0)
	s_cmp_ge_i32 s22, s33
	s_cbranch_scc1 .LBB653_597
; %bb.5:
	s_add_i32 s12, s33, 31
	s_load_dwordx2 s[6:7], s[4:5], 0x20
	s_load_dword s11, s[4:5], 0x38
	s_ashr_i32 s13, s12, 31
	v_and_b32_e32 v1, 0xcf, v0
	s_lshr_b32 s13, s13, 27
	v_add_u32_e32 v1, s22, v1
	s_add_i32 s12, s12, s13
	v_ashrrev_i32_e32 v2, 31, v1
	s_ashr_i32 s24, s12, 5
	v_lshrrev_b32_e32 v10, 27, v2
	s_add_i32 s24, s24, -1
	v_add_u32_e32 v2, v1, v10
	s_waitcnt lgkmcnt(0)
	s_mul_i32 s12, s8, s11
	s_mov_b32 s13, 0
	v_ashrrev_i32_e32 v2, 5, v2
	v_mov_b32_e32 v11, s24
	v_cmp_gt_i32_e32 vcc, s33, v1
	s_lshl_b64 s[12:13], s[12:13], 2
	v_cndmask_b32_e32 v2, v11, v2, vcc
	s_add_u32 s11, s6, s12
	v_ashrrev_i32_e32 v3, 31, v2
	s_addc_u32 s23, s7, s13
	v_lshlrev_b64 v[2:3], 2, v[2:3]
	v_mov_b32_e32 v5, s23
	v_add_co_u32_e32 v4, vcc, s11, v2
	v_or_b32_e32 v2, 16, v1
	v_addc_co_u32_e32 v5, vcc, v5, v3, vcc
	v_add_u32_e32 v3, v2, v10
	v_ashrrev_i32_e32 v3, 5, v3
	v_cmp_gt_i32_e32 vcc, s33, v2
	v_cndmask_b32_e32 v2, v11, v3, vcc
	v_ashrrev_i32_e32 v3, 31, v2
	v_lshlrev_b64 v[2:3], 2, v[2:3]
	v_mov_b32_e32 v7, s23
	v_add_co_u32_e32 v6, vcc, s11, v2
	v_or_b32_e32 v2, 32, v1
	v_addc_co_u32_e32 v7, vcc, v7, v3, vcc
	v_add_u32_e32 v3, v2, v10
	v_ashrrev_i32_e32 v3, 5, v3
	v_cmp_gt_i32_e32 vcc, s33, v2
	v_cndmask_b32_e32 v2, v11, v3, vcc
	v_ashrrev_i32_e32 v3, 31, v2
	;; [unrolled: 10-line block ×3, first 2 shown]
	v_lshlrev_b64 v[2:3], 2, v[2:3]
	v_mov_b32_e32 v1, s23
	v_add_co_u32_e32 v14, vcc, s11, v2
	v_addc_co_u32_e32 v15, vcc, v1, v3, vcc
	global_load_dword v2, v[4:5], off
	global_load_dword v10, v[6:7], off
	;; [unrolled: 1-line block ×4, first 2 shown]
	s_load_dwordx2 s[6:7], s[4:5], 0x40
	s_load_dwordx4 s[12:15], s[4:5], 0x8
	s_andn2_b64 vcc, exec, s[18:19]
	s_cbranch_vccnz .LBB653_8
; %bb.6:
	s_add_u32 s16, s16, s20
	s_addc_u32 s17, s17, s21
	s_load_dword s18, s[16:17], 0x0
	s_branch .LBB653_9
.LBB653_7:
	s_mov_b64 s[12:13], 0
	s_branch .LBB653_2
.LBB653_8:
	s_mov_b32 s18, s8
.LBB653_9:
	s_load_dwordx2 s[48:49], s[4:5], 0x68
	s_load_dwordx8 s[40:47], s[4:5], 0x48
	v_and_b32_e32 v48, 15, v0
	v_lshlrev_b32_e32 v3, 3, v48
	s_movk_i32 s16, 0x100
	v_lshrrev_b32_e32 v56, 6, v0
	v_bfe_u32 v1, v0, 4, 2
	s_lshl_b32 s27, s10, 4
	v_cmp_gt_u32_e32 vcc, s16, v0
	v_lshlrev_b32_e32 v47, 1, v3
	v_lshlrev_b32_e32 v49, 4, v0
	s_and_saveexec_b64 s[16:17], vcc
	s_cbranch_execz .LBB653_11
; %bb.10:
	s_load_dwordx2 s[20:21], s[4:5], 0x0
	s_waitcnt lgkmcnt(0)
	s_ashr_i32 s19, s40, 31
	s_mul_hi_u32 s25, s18, s40
	s_mul_i32 s19, s18, s19
	v_lshl_or_b32 v3, v56, 2, v1
	s_add_i32 s19, s25, s19
	s_mul_i32 s18, s18, s40
	s_lshl_b64 s[18:19], s[18:19], 1
	v_add_lshl_u32 v4, v3, s27, 7
	s_add_u32 s18, s20, s18
	v_ashrrev_i32_e32 v5, 31, v4
	s_addc_u32 s19, s21, s19
	v_lshlrev_b64 v[4:5], 1, v[4:5]
	v_mov_b32_e32 v6, s19
	v_add_co_u32_e32 v4, vcc, s18, v4
	v_addc_co_u32_e32 v5, vcc, v6, v5, vcc
	v_add_co_u32_e32 v4, vcc, v4, v47
	v_addc_co_u32_e32 v5, vcc, 0, v5, vcc
	global_load_dwordx4 v[4:7], v[4:5], off
	v_lshlrev_b32_e32 v9, 8, v0
	v_lshlrev_b32_e32 v8, 8, v48
	v_and_b32_e32 v9, 0x600, v9
	s_movk_i32 s18, 0x800
	v_and_or_b32 v8, v8, s18, v9
	v_lshlrev_b32_e32 v3, 5, v3
	v_and_b32_e32 v9, 16, v49
	v_or3_b32 v3, v8, v3, v9
	s_waitcnt vmcnt(0)
	ds_write_b128 v3, v[4:7]
.LBB653_11:
	s_or_b64 exec, exec, s[16:17]
	s_waitcnt lgkmcnt(0)
	s_mul_i32 s10, s10, s42
	s_add_u32 s12, s12, s10
	s_addc_u32 s13, s13, 0
	v_pk_mov_b32 v[16:17], s[12:13], s[12:13] op_sel:[0,1]
	s_waitcnt vmcnt(3)
	v_mad_i64_i32 v[2:3], s[12:13], v2, s41, v[16:17]
	v_lshlrev_b32_e32 v13, 4, v48
	v_and_b32_e32 v11, 48, v0
	v_add_co_u32_e32 v2, vcc, v2, v13
	v_lshlrev_b32_e32 v19, 5, v11
	v_addc_co_u32_e32 v3, vcc, 0, v3, vcc
	v_add_co_u32_e32 v14, vcc, v2, v19
	s_ashr_i32 s12, s22, 31
	v_addc_co_u32_e32 v15, vcc, 0, v3, vcc
	v_or_b32_e32 v11, s22, v11
	s_lshr_b32 s12, s12, 27
	s_load_dwordx2 s[50:51], s[4:5], 0x94
	s_waitcnt lgkmcnt(0)
	s_barrier
	global_load_dwordx4 v[6:9], v[14:15], off
	global_load_dwordx4 v[2:5], v[14:15], off offset:2048
	v_add_u32_e32 v14, s12, v11
	v_ashrrev_i32_e32 v14, 5, v14
	v_mov_b32_e32 v24, s24
	v_cmp_gt_i32_e32 vcc, s33, v11
	v_cndmask_b32_e32 v14, v24, v14, vcc
	v_ashrrev_i32_e32 v15, 31, v14
	v_lshlrev_b64 v[14:15], 2, v[14:15]
	v_mov_b32_e32 v20, s23
	v_add_co_u32_e32 v14, vcc, s11, v14
	v_addc_co_u32_e32 v15, vcc, v20, v15, vcc
	v_or_b32_e32 v20, 64, v11
	v_add_u32_e32 v21, s12, v20
	v_ashrrev_i32_e32 v21, 5, v21
	v_cmp_gt_i32_e32 vcc, s33, v20
	v_cndmask_b32_e32 v20, v24, v21, vcc
	v_ashrrev_i32_e32 v21, 31, v20
	v_lshlrev_b64 v[20:21], 2, v[20:21]
	v_mov_b32_e32 v22, s23
	v_add_co_u32_e32 v20, vcc, s11, v20
	v_addc_co_u32_e32 v21, vcc, v22, v21, vcc
	v_or_b32_e32 v22, 0x80, v11
	v_add_u32_e32 v23, s12, v22
	v_ashrrev_i32_e32 v23, 5, v23
	v_cmp_gt_i32_e32 vcc, s33, v22
	v_cndmask_b32_e32 v22, v24, v23, vcc
	v_ashrrev_i32_e32 v23, 31, v22
	v_lshlrev_b64 v[22:23], 2, v[22:23]
	v_mov_b32_e32 v25, s23
	v_add_co_u32_e32 v22, vcc, s11, v22
	v_or_b32_e32 v11, 0xc0, v11
	v_addc_co_u32_e32 v23, vcc, v25, v23, vcc
	global_load_dword v46, v[14:15], off
	global_load_dword v52, v[20:21], off
	;; [unrolled: 1-line block ×3, first 2 shown]
	v_add_u32_e32 v14, s12, v11
	v_ashrrev_i32_e32 v14, 5, v14
	v_cmp_gt_i32_e32 vcc, s33, v11
	v_cndmask_b32_e32 v14, v24, v14, vcc
	v_ashrrev_i32_e32 v15, 31, v14
	v_lshlrev_b64 v[14:15], 2, v[14:15]
	v_mov_b32_e32 v11, s23
	v_add_co_u32_e32 v14, vcc, s11, v14
	v_addc_co_u32_e32 v15, vcc, v11, v15, vcc
	global_load_dword v54, v[14:15], off
	s_waitcnt vmcnt(8)
	v_mad_i64_i32 v[10:11], s[12:13], v10, s41, v[16:17]
	v_or_b32_e32 v22, 0x100, v13
	v_add_co_u32_e32 v10, vcc, v10, v22
	v_addc_co_u32_e32 v11, vcc, 0, v11, vcc
	v_add_co_u32_e32 v10, vcc, v10, v19
	v_addc_co_u32_e32 v11, vcc, 0, v11, vcc
	global_load_dwordx4 v[26:29], v[10:11], off
	s_add_u32 s10, s14, s10
	s_addc_u32 s11, s15, 0
	s_waitcnt vmcnt(6)
	buffer_store_dword v9, off, s[0:3], 0 offset:12
	buffer_store_dword v8, off, s[0:3], 0 offset:8
	;; [unrolled: 1-line block ×3, first 2 shown]
	buffer_store_dword v6, off, s[0:3], 0
	s_waitcnt vmcnt(9)
	buffer_store_dword v5, off, s[0:3], 0 offset:28
	buffer_store_dword v4, off, s[0:3], 0 offset:24
	v_mad_i64_i32 v[4:5], s[12:13], v12, s41, v[16:17]
	v_add_co_u32_e32 v4, vcc, v4, v13
	v_addc_co_u32_e32 v5, vcc, 0, v5, vcc
	v_add_co_u32_e32 v20, vcc, v4, v19
	v_addc_co_u32_e32 v21, vcc, 0, v5, vcc
	v_mad_i64_i32 v[16:17], s[12:13], v18, s41, v[16:17]
	v_add_co_u32_e32 v16, vcc, v16, v22
	v_addc_co_u32_e32 v17, vcc, 0, v17, vcc
	v_add_co_u32_e32 v16, vcc, v16, v19
	v_addc_co_u32_e32 v17, vcc, 0, v17, vcc
	global_load_dwordx4 v[8:11], v[10:11], off offset:2048
	s_nop 0
	global_load_dwordx4 v[12:15], v[20:21], off
	global_load_dwordx4 v[4:7], v[20:21], off offset:2048
	global_load_dwordx4 v[22:25], v[16:17], off
	s_nop 0
	global_load_dwordx4 v[18:21], v[16:17], off offset:2048
	v_and_b32_e32 v16, 16, v0
	v_mov_b32_e32 v17, s11
	v_add_co_u32_e32 v50, vcc, s10, v16
	v_lshl_or_b32 v58, v56, 4, v48
	v_addc_co_u32_e32 v51, vcc, 0, v17, vcc
	v_lshlrev_b32_e32 v55, 5, v58
	v_add_co_u32_e32 v16, vcc, v50, v55
	v_addc_co_u32_e32 v17, vcc, 0, v51, vcc
	s_waitcnt vmcnt(15)
	v_mad_i64_i32 v[30:31], s[10:11], v46, s41, v[16:17]
	global_load_dwordx4 v[34:37], v[30:31], off
	s_waitcnt vmcnt(15)
	v_mad_i64_i32 v[30:31], s[10:11], v52, s41, v[16:17]
	s_waitcnt vmcnt(14)
	v_mad_i64_i32 v[38:39], s[10:11], v53, s41, v[16:17]
	global_load_dwordx4 v[30:33], v[30:31], off
	s_mov_b32 s12, 0
	s_movk_i32 s13, 0x80
	s_movk_i32 s14, 0x7f
	s_mov_b32 s15, 0xffffff
	s_waitcnt vmcnt(14)
	v_mad_i64_i32 v[16:17], s[10:11], v54, s41, v[16:17]
	global_load_dwordx4 v[42:45], v[38:39], off
	s_nop 0
	global_load_dwordx4 v[38:41], v[16:17], off
	v_or_b32_e32 v16, 0x800, v55
	v_add_co_u32_e32 v16, vcc, v50, v16
	v_addc_co_u32_e32 v17, vcc, 0, v51, vcc
	v_mad_i64_i32 v[50:51], s[10:11], v46, s41, v[16:17]
	buffer_store_dword v3, off, s[0:3], 0 offset:20
	buffer_store_dword v2, off, s[0:3], 0 offset:16
	v_mad_i64_i32 v[2:3], s[10:11], v53, s41, v[16:17]
	global_load_dwordx4 v[60:63], v[50:51], off
	global_load_dwordx4 v[68:71], v[2:3], off
	v_mad_i64_i32 v[50:51], s[10:11], v52, s41, v[16:17]
	v_mad_i64_i32 v[2:3], s[10:11], v54, s41, v[16:17]
	global_load_dwordx4 v[64:67], v[50:51], off
	global_load_dwordx4 v[72:75], v[2:3], off
	v_mov_b32_e32 v16, s7
	s_waitcnt vmcnt(21)
	buffer_store_dword v29, off, s[0:3], 0 offset:44
	buffer_store_dword v28, off, s[0:3], 0 offset:40
	;; [unrolled: 1-line block ×4, first 2 shown]
	v_or_b32_e32 v26, s27, v48
	v_ashrrev_i32_e32 v27, 31, v26
	v_lshlrev_b64 v[2:3], 2, v[26:27]
	v_add_co_u32_e32 v2, vcc, s6, v2
	v_addc_co_u32_e32 v3, vcc, v16, v3, vcc
	global_load_dword v59, v[2:3], off
	s_waitcnt vmcnt(19)
	buffer_store_dword v11, off, s[0:3], 0 offset:60
	buffer_store_dword v10, off, s[0:3], 0 offset:56
	;; [unrolled: 1-line block ×4, first 2 shown]
	s_load_dword s6, s[4:5], 0x1c
	s_load_dwordx4 s[40:43], s[4:5], 0x80
	v_lshlrev_b32_e32 v27, 5, v48
	v_mov_b32_e32 v2, 0x80
	s_waitcnt vmcnt(22)
	buffer_store_dword v15, off, s[0:3], 0 offset:76
	buffer_store_dword v14, off, s[0:3], 0 offset:72
	;; [unrolled: 1-line block ×4, first 2 shown]
	s_waitcnt vmcnt(25)
	buffer_store_dword v7, off, s[0:3], 0 offset:92
	buffer_store_dword v6, off, s[0:3], 0 offset:88
	;; [unrolled: 1-line block ×4, first 2 shown]
	v_lshl_or_b32 v57, v1, 9, v27
	v_add_u32_e32 v50, 16, v2
	v_add_u32_e32 v46, 32, v2
	;; [unrolled: 1-line block ×7, first 2 shown]
	ds_read_b128 v[2:5], v57
	ds_read_b128 v[6:9], v57 offset:16
	ds_read_b128 v[10:13], v57 offset:2048
	;; [unrolled: 1-line block ×3, first 2 shown]
	s_waitcnt vmcnt(28)
	buffer_store_dword v25, off, s[0:3], 0 offset:108
	buffer_store_dword v24, off, s[0:3], 0 offset:104
	buffer_store_dword v23, off, s[0:3], 0 offset:100
	buffer_store_dword v22, off, s[0:3], 0 offset:96
	s_waitcnt vmcnt(31)
	buffer_store_dword v18, off, s[0:3], 0 offset:112
	buffer_store_dword v19, off, s[0:3], 0 offset:116
	buffer_store_dword v20, off, s[0:3], 0 offset:120
	buffer_store_dword v21, off, s[0:3], 0 offset:124
	;; [unrolled: 5-line block ×8, first 2 shown]
	buffer_store_dword v71, off, s[0:3], 0 offset:220
	buffer_store_dword v70, off, s[0:3], 0 offset:216
	;; [unrolled: 1-line block ×4, first 2 shown]
	s_waitcnt vmcnt(53)
	buffer_store_dword v75, off, s[0:3], 0 offset:252
	s_waitcnt lgkmcnt(0)
	s_load_dword s4, s[40:41], 0x0
	v_mov_b32_e32 v18, s6
	v_and_b32_e32 v29, 63, v0
	v_mov_b32_e32 v31, 0
	v_mov_b32_e32 v33, 0
	s_waitcnt lgkmcnt(0)
	v_mul_f32_e32 v22, s4, v18
	v_mov_b32_e32 v24, v22
	v_mov_b32_e32 v25, v22
	;; [unrolled: 1-line block ×3, first 2 shown]
	v_bfrev_b32_e32 v37, 60
	buffer_store_dword v74, off, s[0:3], 0 offset:248
	buffer_store_dword v73, off, s[0:3], 0 offset:244
	buffer_store_dword v72, off, s[0:3], 0 offset:240
	s_branch .LBB653_15
.LBB653_12:                             ;   in Loop: Header=BB653_15 Depth=1
	s_or_b64 exec, exec, s[10:11]
.LBB653_13:                             ;   in Loop: Header=BB653_15 Depth=1
	s_or_b64 exec, exec, s[6:7]
.LBB653_14:                             ;   in Loop: Header=BB653_15 Depth=1
	s_or_b64 exec, exec, s[4:5]
	v_cvt_pkrtz_f16_f32 v42, v36, v34
	v_cvt_pkrtz_f16_f32 v43, v23, v39
	;; [unrolled: 1-line block ×4, first 2 shown]
	v_add_u32_e32 v28, s12, v35
	v_mfma_f32_16x16x16f16 v[18:21], v[42:43], v[14:15], v[18:21]
	s_add_i32 s12, s12, 16
	v_mov_b32_e32 v23, v22
	s_cmp_eq_u32 s12, 64
	v_add_u32_e32 v31, 32, v31
	v_mfma_f32_16x16x16f16 v[18:21], v[38:39], v[16:17], v[18:21]
	s_nop 7
	s_nop 2
	v_pk_mul_f32 v[18:19], v[24:25], v[18:19]
	v_pk_mul_f32 v[20:21], v[22:23], v[20:21]
	buffer_store_dword v19, v28, s[0:3], 0 offen offset:4
	buffer_store_dword v18, v28, s[0:3], 0 offen
	buffer_store_dword v21, v28, s[0:3], 0 offen offset:12
	buffer_store_dword v20, v28, s[0:3], 0 offen offset:8
	s_cbranch_scc1 .LBB653_205
.LBB653_15:                             ; =>This Inner Loop Header: Depth=1
	buffer_load_dword v20, v31, s[0:3], 0 offen
	buffer_load_dword v18, v31, s[0:3], 0 offen offset:4
	buffer_load_dword v30, v31, s[0:3], 0 offen offset:8
	;; [unrolled: 1-line block ×3, first 2 shown]
	v_mov_b32_e32 v19, 0
	s_waitcnt vmcnt(3)
	v_cmp_ne_u16_sdwa s[6:7], v20, v33 src0_sel:BYTE_0 src1_sel:DWORD
	s_and_saveexec_b64 s[4:5], s[6:7]
	s_cbranch_execz .LBB653_21
; %bb.16:                               ;   in Loop: Header=BB653_15 Depth=1
	v_cmp_ne_u16_sdwa s[10:11], v20, s13 src0_sel:BYTE_0 src1_sel:DWORD
	v_bfrev_b32_e32 v19, 1
	s_and_saveexec_b64 s[6:7], s[10:11]
	s_cbranch_execz .LBB653_20
; %bb.17:                               ;   in Loop: Header=BB653_15 Depth=1
	v_and_b32_e32 v21, 0x7f, v20
	v_cmp_ne_u32_e32 vcc, s14, v21
	v_mov_b32_e32 v19, 0x7f800001
	s_and_saveexec_b64 s[10:11], vcc
	s_cbranch_execz .LBB653_19
; %bb.18:                               ;   in Loop: Header=BB653_15 Depth=1
	v_and_b32_e32 v19, 7, v20
	v_ffbh_u32_e32 v32, v19
	v_min_u32_e32 v32, 32, v32
	v_subrev_u32_e32 v34, 28, v32
	v_lshlrev_b64 v[38:39], v34, v[20:21]
	v_lshrrev_b32_e32 v23, 3, v21
	v_sub_u32_e32 v32, 29, v32
	v_and_b32_e32 v34, 7, v38
	v_cmp_gt_u32_e32 vcc, 8, v21
	v_cndmask_b32_e32 v21, v23, v32, vcc
	v_cndmask_b32_e32 v19, v19, v34, vcc
	v_lshlrev_b32_e32 v23, 24, v20
	v_lshlrev_b32_e32 v19, 20, v19
	v_and_b32_e32 v23, 0x80000000, v23
	v_lshl_add_u32 v21, v21, 23, v37
	v_or3_b32 v19, v23, v21, v19
.LBB653_19:                             ;   in Loop: Header=BB653_15 Depth=1
	s_or_b64 exec, exec, s[10:11]
.LBB653_20:                             ;   in Loop: Header=BB653_15 Depth=1
	s_or_b64 exec, exec, s[6:7]
.LBB653_21:                             ;   in Loop: Header=BB653_15 Depth=1
	s_or_b64 exec, exec, s[4:5]
	v_lshrrev_b16_e32 v32, 8, v20
	v_cmp_ne_u16_e32 vcc, 0, v32
	v_mov_b32_e32 v21, 0
	v_mov_b32_e32 v23, 0
	s_and_saveexec_b64 s[4:5], vcc
	s_cbranch_execz .LBB653_27
; %bb.22:                               ;   in Loop: Header=BB653_15 Depth=1
	v_cmp_ne_u16_e32 vcc, s13, v32
	v_bfrev_b32_e32 v23, 1
	s_and_saveexec_b64 s[6:7], vcc
	s_cbranch_execz .LBB653_26
; %bb.23:                               ;   in Loop: Header=BB653_15 Depth=1
	v_and_b32_e32 v34, 0x7f, v32
	v_cmp_ne_u32_e32 vcc, s14, v34
	v_mov_b32_e32 v23, 0x7f800001
	s_and_saveexec_b64 s[10:11], vcc
	s_cbranch_execz .LBB653_25
; %bb.24:                               ;   in Loop: Header=BB653_15 Depth=1
	v_and_b32_e32 v23, 7, v32
	v_ffbh_u32_e32 v38, v23
	v_min_u32_e32 v40, 32, v38
	v_subrev_u32_e32 v38, 28, v40
	v_lshlrev_b64 v[38:39], v38, v[32:33]
	v_lshrrev_b32_e32 v36, 3, v34
	v_sub_u32_e32 v32, 29, v40
	v_and_b32_e32 v38, 7, v38
	v_cmp_gt_u32_e32 vcc, 8, v34
	v_cndmask_b32_e32 v32, v36, v32, vcc
	v_cndmask_b32_e32 v23, v23, v38, vcc
	v_lshlrev_b32_e32 v34, 16, v20
	v_lshlrev_b32_e32 v23, 20, v23
	v_and_b32_e32 v34, 0x80000000, v34
	v_lshl_add_u32 v32, v32, 23, v37
	v_or3_b32 v23, v34, v32, v23
.LBB653_25:                             ;   in Loop: Header=BB653_15 Depth=1
	s_or_b64 exec, exec, s[10:11]
.LBB653_26:                             ;   in Loop: Header=BB653_15 Depth=1
	s_or_b64 exec, exec, s[6:7]
.LBB653_27:                             ;   in Loop: Header=BB653_15 Depth=1
	s_or_b64 exec, exec, s[4:5]
	v_lshrrev_b32_e32 v32, 16, v20
	v_cmp_ne_u16_sdwa s[6:7], v32, v33 src0_sel:BYTE_0 src1_sel:DWORD
	s_and_saveexec_b64 s[4:5], s[6:7]
	s_cbranch_execz .LBB653_33
; %bb.28:                               ;   in Loop: Header=BB653_15 Depth=1
	v_cmp_ne_u16_sdwa s[10:11], v32, s13 src0_sel:BYTE_0 src1_sel:DWORD
	v_bfrev_b32_e32 v21, 1
	s_and_saveexec_b64 s[6:7], s[10:11]
	s_cbranch_execz .LBB653_32
; %bb.29:                               ;   in Loop: Header=BB653_15 Depth=1
	v_bfe_u32 v34, v20, 16, 7
	v_cmp_ne_u32_e32 vcc, s14, v34
	v_mov_b32_e32 v21, 0x7f800001
	s_and_saveexec_b64 s[10:11], vcc
	s_cbranch_execz .LBB653_31
; %bb.30:                               ;   in Loop: Header=BB653_15 Depth=1
	v_and_b32_e32 v21, 7, v32
	v_ffbh_u32_e32 v38, v21
	v_min_u32_e32 v40, 32, v38
	v_subrev_u32_e32 v38, 28, v40
	v_lshlrev_b64 v[38:39], v38, v[32:33]
	v_lshrrev_b32_e32 v36, 3, v34
	v_sub_u32_e32 v39, 29, v40
	v_and_b32_e32 v38, 7, v38
	v_cmp_gt_u32_e32 vcc, 8, v34
	v_cndmask_b32_e32 v34, v36, v39, vcc
	v_cndmask_b32_e32 v21, v21, v38, vcc
	v_lshlrev_b32_e32 v32, 24, v32
	v_lshlrev_b32_e32 v21, 20, v21
	v_and_b32_e32 v32, 0x80000000, v32
	v_lshl_add_u32 v34, v34, 23, v37
	v_or3_b32 v21, v32, v34, v21
.LBB653_31:                             ;   in Loop: Header=BB653_15 Depth=1
	s_or_b64 exec, exec, s[10:11]
.LBB653_32:                             ;   in Loop: Header=BB653_15 Depth=1
	s_or_b64 exec, exec, s[6:7]
.LBB653_33:                             ;   in Loop: Header=BB653_15 Depth=1
	s_or_b64 exec, exec, s[4:5]
	v_cmp_lt_u32_e32 vcc, s15, v20
	v_mov_b32_e32 v36, 0
	v_mov_b32_e32 v38, 0
	s_and_saveexec_b64 s[4:5], vcc
	s_cbranch_execz .LBB653_39
; %bb.34:                               ;   in Loop: Header=BB653_15 Depth=1
	v_lshrrev_b32_e32 v32, 24, v20
	v_cmp_ne_u32_e32 vcc, s13, v32
	v_bfrev_b32_e32 v38, 1
	s_and_saveexec_b64 s[6:7], vcc
	s_cbranch_execz .LBB653_38
; %bb.35:                               ;   in Loop: Header=BB653_15 Depth=1
	v_bfe_u32 v20, v20, 24, 7
	v_cmp_ne_u32_e32 vcc, s14, v20
	v_mov_b32_e32 v38, 0x7f800001
	s_and_saveexec_b64 s[10:11], vcc
	s_cbranch_execz .LBB653_37
; %bb.36:                               ;   in Loop: Header=BB653_15 Depth=1
	v_and_b32_e32 v34, 7, v32
	v_ffbh_u32_e32 v38, v34
	v_min_u32_e32 v41, 32, v38
	v_subrev_u32_e32 v38, 28, v41
	v_lshlrev_b64 v[38:39], v38, v[32:33]
	v_lshrrev_b32_e32 v40, 3, v20
	v_sub_u32_e32 v39, 29, v41
	v_and_b32_e32 v38, 7, v38
	v_cmp_gt_u32_e32 vcc, 8, v20
	v_cndmask_b32_e32 v20, v40, v39, vcc
	v_cndmask_b32_e32 v34, v34, v38, vcc
	v_lshlrev_b32_e32 v32, 24, v32
	v_lshlrev_b32_e32 v34, 20, v34
	v_and_b32_e32 v32, 0x80000000, v32
	v_lshl_add_u32 v20, v20, 23, v37
	v_or3_b32 v38, v32, v20, v34
.LBB653_37:                             ;   in Loop: Header=BB653_15 Depth=1
	s_or_b64 exec, exec, s[10:11]
.LBB653_38:                             ;   in Loop: Header=BB653_15 Depth=1
	s_or_b64 exec, exec, s[6:7]
.LBB653_39:                             ;   in Loop: Header=BB653_15 Depth=1
	s_or_b64 exec, exec, s[4:5]
	s_waitcnt vmcnt(2)
	v_cmp_ne_u16_sdwa s[6:7], v18, v33 src0_sel:BYTE_0 src1_sel:DWORD
	s_and_saveexec_b64 s[4:5], s[6:7]
	s_cbranch_execz .LBB653_45
; %bb.40:                               ;   in Loop: Header=BB653_15 Depth=1
	v_cmp_ne_u16_sdwa s[10:11], v18, s13 src0_sel:BYTE_0 src1_sel:DWORD
	v_bfrev_b32_e32 v36, 1
	s_and_saveexec_b64 s[6:7], s[10:11]
	s_cbranch_execz .LBB653_44
; %bb.41:                               ;   in Loop: Header=BB653_15 Depth=1
	v_and_b32_e32 v20, 0x7f, v18
	v_cmp_ne_u32_e32 vcc, s14, v20
	v_mov_b32_e32 v36, 0x7f800001
	s_and_saveexec_b64 s[10:11], vcc
	s_cbranch_execz .LBB653_43
; %bb.42:                               ;   in Loop: Header=BB653_15 Depth=1
	v_and_b32_e32 v32, 7, v18
	v_ffbh_u32_e32 v36, v32
	v_min_u32_e32 v36, 32, v36
	v_subrev_u32_e32 v39, 28, v36
	v_lshlrev_b64 v[40:41], v39, v[18:19]
	v_lshrrev_b32_e32 v34, 3, v20
	v_sub_u32_e32 v36, 29, v36
	v_and_b32_e32 v39, 7, v40
	v_cmp_gt_u32_e32 vcc, 8, v20
	v_cndmask_b32_e32 v20, v34, v36, vcc
	v_cndmask_b32_e32 v32, v32, v39, vcc
	v_lshlrev_b32_e32 v34, 24, v18
	v_lshlrev_b32_e32 v32, 20, v32
	v_and_b32_e32 v34, 0x80000000, v34
	v_lshl_add_u32 v20, v20, 23, v37
	v_or3_b32 v36, v34, v20, v32
.LBB653_43:                             ;   in Loop: Header=BB653_15 Depth=1
	s_or_b64 exec, exec, s[10:11]
.LBB653_44:                             ;   in Loop: Header=BB653_15 Depth=1
	s_or_b64 exec, exec, s[6:7]
.LBB653_45:                             ;   in Loop: Header=BB653_15 Depth=1
	s_or_b64 exec, exec, s[4:5]
	v_lshrrev_b16_e32 v20, 8, v18
	v_cmp_ne_u16_e32 vcc, 0, v20
	v_mov_b32_e32 v32, 0
	v_mov_b32_e32 v39, 0
	s_and_saveexec_b64 s[4:5], vcc
	s_cbranch_execz .LBB653_51
; %bb.46:                               ;   in Loop: Header=BB653_15 Depth=1
	v_cmp_ne_u16_e32 vcc, s13, v20
	v_bfrev_b32_e32 v39, 1
	s_and_saveexec_b64 s[6:7], vcc
	s_cbranch_execz .LBB653_50
; %bb.47:                               ;   in Loop: Header=BB653_15 Depth=1
	v_and_b32_e32 v34, 0x7f, v20
	v_cmp_ne_u32_e32 vcc, s14, v34
	v_mov_b32_e32 v39, 0x7f800001
	s_and_saveexec_b64 s[10:11], vcc
	s_cbranch_execz .LBB653_49
; %bb.48:                               ;   in Loop: Header=BB653_15 Depth=1
	v_and_b32_e32 v39, 7, v20
	v_ffbh_u32_e32 v40, v39
	v_min_u32_e32 v43, 32, v40
	v_subrev_u32_e32 v40, 28, v43
	v_lshlrev_b64 v[40:41], v40, v[20:21]
	v_lshrrev_b32_e32 v42, 3, v34
	v_sub_u32_e32 v20, 29, v43
	v_and_b32_e32 v40, 7, v40
	v_cmp_gt_u32_e32 vcc, 8, v34
	v_cndmask_b32_e32 v20, v42, v20, vcc
	v_cndmask_b32_e32 v34, v39, v40, vcc
	v_lshlrev_b32_e32 v39, 16, v18
	v_lshlrev_b32_e32 v34, 20, v34
	v_and_b32_e32 v39, 0x80000000, v39
	v_lshl_add_u32 v20, v20, 23, v37
	v_or3_b32 v39, v39, v20, v34
.LBB653_49:                             ;   in Loop: Header=BB653_15 Depth=1
	s_or_b64 exec, exec, s[10:11]
.LBB653_50:                             ;   in Loop: Header=BB653_15 Depth=1
	s_or_b64 exec, exec, s[6:7]
.LBB653_51:                             ;   in Loop: Header=BB653_15 Depth=1
	s_or_b64 exec, exec, s[4:5]
	v_lshrrev_b32_e32 v20, 16, v18
	v_cmp_ne_u16_sdwa s[6:7], v20, v33 src0_sel:BYTE_0 src1_sel:DWORD
	s_and_saveexec_b64 s[4:5], s[6:7]
	s_cbranch_execz .LBB653_57
; %bb.52:                               ;   in Loop: Header=BB653_15 Depth=1
	v_cmp_ne_u16_sdwa s[10:11], v20, s13 src0_sel:BYTE_0 src1_sel:DWORD
	v_bfrev_b32_e32 v32, 1
	s_and_saveexec_b64 s[6:7], s[10:11]
	s_cbranch_execz .LBB653_56
; %bb.53:                               ;   in Loop: Header=BB653_15 Depth=1
	v_bfe_u32 v34, v18, 16, 7
	v_cmp_ne_u32_e32 vcc, s14, v34
	v_mov_b32_e32 v32, 0x7f800001
	s_and_saveexec_b64 s[10:11], vcc
	s_cbranch_execz .LBB653_55
; %bb.54:                               ;   in Loop: Header=BB653_15 Depth=1
	v_and_b32_e32 v32, 7, v20
	v_ffbh_u32_e32 v40, v32
	v_min_u32_e32 v43, 32, v40
	v_subrev_u32_e32 v40, 28, v43
	v_lshlrev_b64 v[40:41], v40, v[20:21]
	v_lshrrev_b32_e32 v42, 3, v34
	v_sub_u32_e32 v41, 29, v43
	v_and_b32_e32 v40, 7, v40
	v_cmp_gt_u32_e32 vcc, 8, v34
	v_cndmask_b32_e32 v34, v42, v41, vcc
	v_cndmask_b32_e32 v32, v32, v40, vcc
	v_lshlrev_b32_e32 v20, 24, v20
	v_lshlrev_b32_e32 v32, 20, v32
	v_and_b32_e32 v20, 0x80000000, v20
	v_lshl_add_u32 v34, v34, 23, v37
	v_or3_b32 v32, v20, v34, v32
.LBB653_55:                             ;   in Loop: Header=BB653_15 Depth=1
	s_or_b64 exec, exec, s[10:11]
.LBB653_56:                             ;   in Loop: Header=BB653_15 Depth=1
	s_or_b64 exec, exec, s[6:7]
.LBB653_57:                             ;   in Loop: Header=BB653_15 Depth=1
	s_or_b64 exec, exec, s[4:5]
	v_cmp_lt_u32_e32 vcc, s15, v18
	v_mov_b32_e32 v34, 0
	v_mov_b32_e32 v40, 0
	s_and_saveexec_b64 s[4:5], vcc
	s_cbranch_execz .LBB653_63
; %bb.58:                               ;   in Loop: Header=BB653_15 Depth=1
	v_lshrrev_b32_e32 v20, 24, v18
	v_cmp_ne_u32_e32 vcc, s13, v20
	v_bfrev_b32_e32 v40, 1
	s_and_saveexec_b64 s[6:7], vcc
	s_cbranch_execz .LBB653_62
; %bb.59:                               ;   in Loop: Header=BB653_15 Depth=1
	v_bfe_u32 v18, v18, 24, 7
	v_cmp_ne_u32_e32 vcc, s14, v18
	v_mov_b32_e32 v40, 0x7f800001
	s_and_saveexec_b64 s[10:11], vcc
	s_cbranch_execz .LBB653_61
; %bb.60:                               ;   in Loop: Header=BB653_15 Depth=1
	v_and_b32_e32 v42, 7, v20
	v_ffbh_u32_e32 v40, v42
	v_min_u32_e32 v44, 32, v40
	v_subrev_u32_e32 v40, 28, v44
	v_lshlrev_b64 v[40:41], v40, v[20:21]
	v_lshrrev_b32_e32 v43, 3, v18
	v_sub_u32_e32 v41, 29, v44
	v_and_b32_e32 v40, 7, v40
	v_cmp_gt_u32_e32 vcc, 8, v18
	v_cndmask_b32_e32 v18, v43, v41, vcc
	v_cndmask_b32_e32 v40, v42, v40, vcc
	v_lshlrev_b32_e32 v20, 24, v20
	v_lshlrev_b32_e32 v40, 20, v40
	v_and_b32_e32 v20, 0x80000000, v20
	v_lshl_add_u32 v18, v18, 23, v37
	v_or3_b32 v40, v20, v18, v40
.LBB653_61:                             ;   in Loop: Header=BB653_15 Depth=1
	s_or_b64 exec, exec, s[10:11]
.LBB653_62:                             ;   in Loop: Header=BB653_15 Depth=1
	s_or_b64 exec, exec, s[6:7]
.LBB653_63:                             ;   in Loop: Header=BB653_15 Depth=1
	s_or_b64 exec, exec, s[4:5]
	v_cvt_pkrtz_f16_f32 v18, v19, v23
	v_cvt_pkrtz_f16_f32 v19, v21, v38
	;; [unrolled: 1-line block ×4, first 2 shown]
	s_waitcnt vmcnt(1)
	v_cmp_ne_u16_sdwa s[6:7], v30, v33 src0_sel:BYTE_0 src1_sel:DWORD
	v_mfma_f32_16x16x16f16 v[18:21], v[18:19], v[2:3], 0
	v_mfma_f32_16x16x16f16 v[18:21], v[38:39], v[4:5], v[18:21]
	s_and_saveexec_b64 s[4:5], s[6:7]
	s_cbranch_execz .LBB653_69
; %bb.64:                               ;   in Loop: Header=BB653_15 Depth=1
	v_cmp_ne_u16_sdwa s[10:11], v30, s13 src0_sel:BYTE_0 src1_sel:DWORD
	v_bfrev_b32_e32 v34, 1
	s_and_saveexec_b64 s[6:7], s[10:11]
	s_cbranch_execz .LBB653_68
; %bb.65:                               ;   in Loop: Header=BB653_15 Depth=1
	v_and_b32_e32 v23, 0x7f, v30
	v_cmp_ne_u32_e32 vcc, s14, v23
	v_mov_b32_e32 v34, 0x7f800001
	s_and_saveexec_b64 s[10:11], vcc
	s_cbranch_execz .LBB653_67
; %bb.66:                               ;   in Loop: Header=BB653_15 Depth=1
	v_and_b32_e32 v32, 7, v30
	v_ffbh_u32_e32 v36, v32
	v_min_u32_e32 v36, 32, v36
	v_subrev_u32_e32 v38, 28, v36
	v_lshlrev_b64 v[38:39], v38, v[30:31]
	v_lshrrev_b32_e32 v34, 3, v23
	v_sub_u32_e32 v36, 29, v36
	v_and_b32_e32 v38, 7, v38
	v_cmp_gt_u32_e32 vcc, 8, v23
	v_cndmask_b32_e32 v23, v34, v36, vcc
	v_cndmask_b32_e32 v32, v32, v38, vcc
	v_lshlrev_b32_e32 v34, 24, v30
	v_lshlrev_b32_e32 v32, 20, v32
	v_and_b32_e32 v34, 0x80000000, v34
	v_lshl_add_u32 v23, v23, 23, v37
	v_or3_b32 v34, v34, v23, v32
.LBB653_67:                             ;   in Loop: Header=BB653_15 Depth=1
	s_or_b64 exec, exec, s[10:11]
.LBB653_68:                             ;   in Loop: Header=BB653_15 Depth=1
	s_or_b64 exec, exec, s[6:7]
.LBB653_69:                             ;   in Loop: Header=BB653_15 Depth=1
	s_or_b64 exec, exec, s[4:5]
	v_lshrrev_b16_e32 v32, 8, v30
	v_cmp_ne_u16_e32 vcc, 0, v32
	v_mov_b32_e32 v36, 0
	v_mov_b32_e32 v38, 0
	s_and_saveexec_b64 s[4:5], vcc
	s_cbranch_execz .LBB653_75
; %bb.70:                               ;   in Loop: Header=BB653_15 Depth=1
	v_cmp_ne_u16_e32 vcc, s13, v32
	v_bfrev_b32_e32 v38, 1
	s_and_saveexec_b64 s[6:7], vcc
	s_cbranch_execz .LBB653_74
; %bb.71:                               ;   in Loop: Header=BB653_15 Depth=1
	v_and_b32_e32 v23, 0x7f, v32
	v_cmp_ne_u32_e32 vcc, s14, v23
	v_mov_b32_e32 v38, 0x7f800001
	s_and_saveexec_b64 s[10:11], vcc
	s_cbranch_execz .LBB653_73
; %bb.72:                               ;   in Loop: Header=BB653_15 Depth=1
	v_and_b32_e32 v40, 7, v32
	v_ffbh_u32_e32 v38, v40
	v_min_u32_e32 v42, 32, v38
	v_subrev_u32_e32 v38, 28, v42
	v_lshlrev_b64 v[38:39], v38, v[32:33]
	v_lshrrev_b32_e32 v41, 3, v23
	v_sub_u32_e32 v32, 29, v42
	v_and_b32_e32 v38, 7, v38
	v_cmp_gt_u32_e32 vcc, 8, v23
	v_cndmask_b32_e32 v23, v41, v32, vcc
	v_cndmask_b32_e32 v32, v40, v38, vcc
	v_lshlrev_b32_e32 v38, 16, v30
	v_lshlrev_b32_e32 v32, 20, v32
	v_and_b32_e32 v38, 0x80000000, v38
	v_lshl_add_u32 v23, v23, 23, v37
	v_or3_b32 v38, v38, v23, v32
.LBB653_73:                             ;   in Loop: Header=BB653_15 Depth=1
	s_or_b64 exec, exec, s[10:11]
.LBB653_74:                             ;   in Loop: Header=BB653_15 Depth=1
	s_or_b64 exec, exec, s[6:7]
.LBB653_75:                             ;   in Loop: Header=BB653_15 Depth=1
	s_or_b64 exec, exec, s[4:5]
	v_lshrrev_b32_e32 v32, 16, v30
	v_cmp_ne_u16_sdwa s[6:7], v32, v33 src0_sel:BYTE_0 src1_sel:DWORD
	s_and_saveexec_b64 s[4:5], s[6:7]
	s_cbranch_execz .LBB653_81
; %bb.76:                               ;   in Loop: Header=BB653_15 Depth=1
	v_cmp_ne_u16_sdwa s[10:11], v32, s13 src0_sel:BYTE_0 src1_sel:DWORD
	v_bfrev_b32_e32 v36, 1
	s_and_saveexec_b64 s[6:7], s[10:11]
	s_cbranch_execz .LBB653_80
; %bb.77:                               ;   in Loop: Header=BB653_15 Depth=1
	v_bfe_u32 v23, v30, 16, 7
	v_cmp_ne_u32_e32 vcc, s14, v23
	v_mov_b32_e32 v36, 0x7f800001
	s_and_saveexec_b64 s[10:11], vcc
	s_cbranch_execz .LBB653_79
; %bb.78:                               ;   in Loop: Header=BB653_15 Depth=1
	v_and_b32_e32 v36, 7, v32
	v_ffbh_u32_e32 v40, v36
	v_min_u32_e32 v42, 32, v40
	v_subrev_u32_e32 v40, 28, v42
	v_lshlrev_b64 v[40:41], v40, v[32:33]
	v_lshrrev_b32_e32 v39, 3, v23
	v_sub_u32_e32 v41, 29, v42
	v_and_b32_e32 v40, 7, v40
	v_cmp_gt_u32_e32 vcc, 8, v23
	v_cndmask_b32_e32 v23, v39, v41, vcc
	v_cndmask_b32_e32 v36, v36, v40, vcc
	v_lshlrev_b32_e32 v32, 24, v32
	v_lshlrev_b32_e32 v36, 20, v36
	v_and_b32_e32 v32, 0x80000000, v32
	v_lshl_add_u32 v23, v23, 23, v37
	v_or3_b32 v36, v32, v23, v36
.LBB653_79:                             ;   in Loop: Header=BB653_15 Depth=1
	s_or_b64 exec, exec, s[10:11]
.LBB653_80:                             ;   in Loop: Header=BB653_15 Depth=1
	s_or_b64 exec, exec, s[6:7]
.LBB653_81:                             ;   in Loop: Header=BB653_15 Depth=1
	s_or_b64 exec, exec, s[4:5]
	v_cmp_lt_u32_e32 vcc, s15, v30
	v_mov_b32_e32 v39, 0
	v_mov_b32_e32 v40, 0
	s_and_saveexec_b64 s[4:5], vcc
	s_cbranch_execz .LBB653_87
; %bb.82:                               ;   in Loop: Header=BB653_15 Depth=1
	v_lshrrev_b32_e32 v32, 24, v30
	v_cmp_ne_u32_e32 vcc, s13, v32
	v_bfrev_b32_e32 v40, 1
	s_and_saveexec_b64 s[6:7], vcc
	s_cbranch_execz .LBB653_86
; %bb.83:                               ;   in Loop: Header=BB653_15 Depth=1
	v_bfe_u32 v23, v30, 24, 7
	v_cmp_ne_u32_e32 vcc, s14, v23
	v_mov_b32_e32 v40, 0x7f800001
	s_and_saveexec_b64 s[10:11], vcc
	s_cbranch_execz .LBB653_85
; %bb.84:                               ;   in Loop: Header=BB653_15 Depth=1
	v_and_b32_e32 v30, 7, v32
	v_ffbh_u32_e32 v40, v30
	v_min_u32_e32 v43, 32, v40
	v_subrev_u32_e32 v40, 28, v43
	v_lshlrev_b64 v[40:41], v40, v[32:33]
	v_lshrrev_b32_e32 v42, 3, v23
	v_sub_u32_e32 v41, 29, v43
	v_and_b32_e32 v40, 7, v40
	v_cmp_gt_u32_e32 vcc, 8, v23
	v_cndmask_b32_e32 v23, v42, v41, vcc
	v_cndmask_b32_e32 v30, v30, v40, vcc
	v_lshlrev_b32_e32 v32, 24, v32
	v_lshlrev_b32_e32 v30, 20, v30
	v_and_b32_e32 v32, 0x80000000, v32
	v_lshl_add_u32 v23, v23, 23, v37
	v_or3_b32 v40, v32, v23, v30
.LBB653_85:                             ;   in Loop: Header=BB653_15 Depth=1
	s_or_b64 exec, exec, s[10:11]
.LBB653_86:                             ;   in Loop: Header=BB653_15 Depth=1
	s_or_b64 exec, exec, s[6:7]
.LBB653_87:                             ;   in Loop: Header=BB653_15 Depth=1
	s_or_b64 exec, exec, s[4:5]
	s_waitcnt vmcnt(0)
	v_cmp_ne_u16_sdwa s[6:7], v28, v33 src0_sel:BYTE_0 src1_sel:DWORD
	s_and_saveexec_b64 s[4:5], s[6:7]
	s_cbranch_execz .LBB653_93
; %bb.88:                               ;   in Loop: Header=BB653_15 Depth=1
	v_cmp_ne_u16_sdwa s[10:11], v28, s13 src0_sel:BYTE_0 src1_sel:DWORD
	v_bfrev_b32_e32 v39, 1
	s_and_saveexec_b64 s[6:7], s[10:11]
	s_cbranch_execz .LBB653_92
; %bb.89:                               ;   in Loop: Header=BB653_15 Depth=1
	v_and_b32_e32 v23, 0x7f, v28
	v_cmp_ne_u32_e32 vcc, s14, v23
	v_mov_b32_e32 v39, 0x7f800001
	s_and_saveexec_b64 s[10:11], vcc
	s_cbranch_execz .LBB653_91
; %bb.90:                               ;   in Loop: Header=BB653_15 Depth=1
	v_and_b32_e32 v30, 7, v28
	v_ffbh_u32_e32 v39, v30
	v_min_u32_e32 v39, 32, v39
	v_subrev_u32_e32 v41, 28, v39
	v_lshlrev_b64 v[42:43], v41, v[28:29]
	v_lshrrev_b32_e32 v32, 3, v23
	v_sub_u32_e32 v39, 29, v39
	v_and_b32_e32 v41, 7, v42
	v_cmp_gt_u32_e32 vcc, 8, v23
	v_cndmask_b32_e32 v23, v32, v39, vcc
	v_cndmask_b32_e32 v30, v30, v41, vcc
	v_lshlrev_b32_e32 v32, 24, v28
	v_lshlrev_b32_e32 v30, 20, v30
	v_and_b32_e32 v32, 0x80000000, v32
	v_lshl_add_u32 v23, v23, 23, v37
	v_or3_b32 v39, v32, v23, v30
.LBB653_91:                             ;   in Loop: Header=BB653_15 Depth=1
	s_or_b64 exec, exec, s[10:11]
.LBB653_92:                             ;   in Loop: Header=BB653_15 Depth=1
	s_or_b64 exec, exec, s[6:7]
.LBB653_93:                             ;   in Loop: Header=BB653_15 Depth=1
	s_or_b64 exec, exec, s[4:5]
	v_lshrrev_b16_e32 v30, 8, v28
	v_cmp_ne_u16_e32 vcc, 0, v30
	v_mov_b32_e32 v41, 0
	v_mov_b32_e32 v42, 0
	s_and_saveexec_b64 s[4:5], vcc
	s_cbranch_execz .LBB653_99
; %bb.94:                               ;   in Loop: Header=BB653_15 Depth=1
	v_cmp_ne_u16_e32 vcc, s13, v30
	v_bfrev_b32_e32 v42, 1
	s_and_saveexec_b64 s[6:7], vcc
	s_cbranch_execz .LBB653_98
; %bb.95:                               ;   in Loop: Header=BB653_15 Depth=1
	v_and_b32_e32 v23, 0x7f, v30
	v_cmp_ne_u32_e32 vcc, s14, v23
	v_mov_b32_e32 v42, 0x7f800001
	s_and_saveexec_b64 s[10:11], vcc
	s_cbranch_execz .LBB653_97
; %bb.96:                               ;   in Loop: Header=BB653_15 Depth=1
	v_and_b32_e32 v32, 7, v30
	v_ffbh_u32_e32 v42, v32
	v_min_u32_e32 v45, 32, v42
	v_subrev_u32_e32 v42, 28, v45
	v_lshlrev_b64 v[42:43], v42, v[30:31]
	v_lshrrev_b32_e32 v44, 3, v23
	v_sub_u32_e32 v30, 29, v45
	v_and_b32_e32 v42, 7, v42
	v_cmp_gt_u32_e32 vcc, 8, v23
	v_cndmask_b32_e32 v23, v44, v30, vcc
	v_cndmask_b32_e32 v30, v32, v42, vcc
	v_lshlrev_b32_e32 v32, 16, v28
	v_lshlrev_b32_e32 v30, 20, v30
	v_and_b32_e32 v32, 0x80000000, v32
	v_lshl_add_u32 v23, v23, 23, v37
	v_or3_b32 v42, v32, v23, v30
.LBB653_97:                             ;   in Loop: Header=BB653_15 Depth=1
	s_or_b64 exec, exec, s[10:11]
.LBB653_98:                             ;   in Loop: Header=BB653_15 Depth=1
	s_or_b64 exec, exec, s[6:7]
.LBB653_99:                             ;   in Loop: Header=BB653_15 Depth=1
	s_or_b64 exec, exec, s[4:5]
	v_lshrrev_b32_e32 v30, 16, v28
	v_cmp_ne_u16_sdwa s[6:7], v30, v33 src0_sel:BYTE_0 src1_sel:DWORD
	s_and_saveexec_b64 s[4:5], s[6:7]
	s_cbranch_execz .LBB653_105
; %bb.100:                              ;   in Loop: Header=BB653_15 Depth=1
	v_cmp_ne_u16_sdwa s[10:11], v30, s13 src0_sel:BYTE_0 src1_sel:DWORD
	v_bfrev_b32_e32 v41, 1
	s_and_saveexec_b64 s[6:7], s[10:11]
	s_cbranch_execz .LBB653_104
; %bb.101:                              ;   in Loop: Header=BB653_15 Depth=1
	v_bfe_u32 v23, v28, 16, 7
	v_cmp_ne_u32_e32 vcc, s14, v23
	v_mov_b32_e32 v41, 0x7f800001
	s_and_saveexec_b64 s[10:11], vcc
	s_cbranch_execz .LBB653_103
; %bb.102:                              ;   in Loop: Header=BB653_15 Depth=1
	v_and_b32_e32 v32, 7, v30
	v_ffbh_u32_e32 v43, v32
	v_min_u32_e32 v43, 32, v43
	v_subrev_u32_e32 v44, 28, v43
	v_lshlrev_b64 v[44:45], v44, v[30:31]
	v_lshrrev_b32_e32 v41, 3, v23
	v_sub_u32_e32 v43, 29, v43
	v_and_b32_e32 v44, 7, v44
	v_cmp_gt_u32_e32 vcc, 8, v23
	v_cndmask_b32_e32 v23, v41, v43, vcc
	v_cndmask_b32_e32 v32, v32, v44, vcc
	v_lshlrev_b32_e32 v30, 24, v30
	v_lshlrev_b32_e32 v32, 20, v32
	v_and_b32_e32 v30, 0x80000000, v30
	v_lshl_add_u32 v23, v23, 23, v37
	v_or3_b32 v41, v30, v23, v32
.LBB653_103:                            ;   in Loop: Header=BB653_15 Depth=1
	s_or_b64 exec, exec, s[10:11]
.LBB653_104:                            ;   in Loop: Header=BB653_15 Depth=1
	s_or_b64 exec, exec, s[6:7]
.LBB653_105:                            ;   in Loop: Header=BB653_15 Depth=1
	s_or_b64 exec, exec, s[4:5]
	v_cmp_lt_u32_e32 vcc, s15, v28
	v_mov_b32_e32 v23, 0
	v_mov_b32_e32 v43, 0
	s_and_saveexec_b64 s[4:5], vcc
	s_cbranch_execz .LBB653_111
; %bb.106:                              ;   in Loop: Header=BB653_15 Depth=1
	v_lshrrev_b32_e32 v30, 24, v28
	v_cmp_ne_u32_e32 vcc, s13, v30
	v_bfrev_b32_e32 v43, 1
	s_and_saveexec_b64 s[6:7], vcc
	s_cbranch_execz .LBB653_110
; %bb.107:                              ;   in Loop: Header=BB653_15 Depth=1
	v_bfe_u32 v28, v28, 24, 7
	v_cmp_ne_u32_e32 vcc, s14, v28
	v_mov_b32_e32 v43, 0x7f800001
	s_and_saveexec_b64 s[10:11], vcc
	s_cbranch_execz .LBB653_109
; %bb.108:                              ;   in Loop: Header=BB653_15 Depth=1
	v_and_b32_e32 v32, 7, v30
	v_ffbh_u32_e32 v44, v32
	v_min_u32_e32 v60, 32, v44
	v_subrev_u32_e32 v44, 28, v60
	v_lshlrev_b64 v[44:45], v44, v[30:31]
	v_lshrrev_b32_e32 v43, 3, v28
	v_sub_u32_e32 v45, 29, v60
	v_and_b32_e32 v44, 7, v44
	v_cmp_gt_u32_e32 vcc, 8, v28
	v_cndmask_b32_e32 v28, v43, v45, vcc
	v_cndmask_b32_e32 v32, v32, v44, vcc
	v_lshlrev_b32_e32 v30, 24, v30
	v_lshlrev_b32_e32 v32, 20, v32
	v_and_b32_e32 v30, 0x80000000, v30
	v_lshl_add_u32 v28, v28, 23, v37
	v_or3_b32 v43, v30, v28, v32
.LBB653_109:                            ;   in Loop: Header=BB653_15 Depth=1
	s_or_b64 exec, exec, s[10:11]
.LBB653_110:                            ;   in Loop: Header=BB653_15 Depth=1
	s_or_b64 exec, exec, s[6:7]
.LBB653_111:                            ;   in Loop: Header=BB653_15 Depth=1
	s_or_b64 exec, exec, s[4:5]
	v_cvt_pkrtz_f16_f32 v44, v34, v38
	buffer_load_dword v34, v31, s[0:3], 0 offen offset:16
	buffer_load_dword v32, v31, s[0:3], 0 offen offset:20
	;; [unrolled: 1-line block ×4, first 2 shown]
	v_cvt_pkrtz_f16_f32 v45, v36, v40
	v_cvt_pkrtz_f16_f32 v38, v39, v42
	;; [unrolled: 1-line block ×3, first 2 shown]
	v_mfma_f32_16x16x16f16 v[18:21], v[44:45], v[6:7], v[18:21]
	s_waitcnt vmcnt(3)
	v_cmp_ne_u16_sdwa s[6:7], v34, v33 src0_sel:BYTE_0 src1_sel:DWORD
	v_mfma_f32_16x16x16f16 v[18:21], v[38:39], v[8:9], v[18:21]
	s_and_saveexec_b64 s[4:5], s[6:7]
	s_cbranch_execz .LBB653_117
; %bb.112:                              ;   in Loop: Header=BB653_15 Depth=1
	v_cmp_ne_u16_sdwa s[10:11], v34, s13 src0_sel:BYTE_0 src1_sel:DWORD
	v_bfrev_b32_e32 v23, 1
	s_and_saveexec_b64 s[6:7], s[10:11]
	s_cbranch_execz .LBB653_116
; %bb.113:                              ;   in Loop: Header=BB653_15 Depth=1
	v_and_b32_e32 v36, 0x7f, v34
	v_cmp_ne_u32_e32 vcc, s14, v36
	v_mov_b32_e32 v23, 0x7f800001
	s_and_saveexec_b64 s[10:11], vcc
	s_cbranch_execz .LBB653_115
; %bb.114:                              ;   in Loop: Header=BB653_15 Depth=1
	v_and_b32_e32 v23, 7, v34
	v_ffbh_u32_e32 v38, v23
	v_min_u32_e32 v41, 32, v38
	v_subrev_u32_e32 v38, 28, v41
	v_lshlrev_b64 v[38:39], v38, v[34:35]
	v_lshrrev_b32_e32 v40, 3, v36
	v_sub_u32_e32 v39, 29, v41
	v_and_b32_e32 v38, 7, v38
	v_cmp_gt_u32_e32 vcc, 8, v36
	v_cndmask_b32_e32 v36, v40, v39, vcc
	v_cndmask_b32_e32 v23, v23, v38, vcc
	v_lshlrev_b32_e32 v38, 24, v34
	v_lshlrev_b32_e32 v23, 20, v23
	v_and_b32_e32 v38, 0x80000000, v38
	v_lshl_add_u32 v36, v36, 23, v37
	v_or3_b32 v23, v38, v36, v23
.LBB653_115:                            ;   in Loop: Header=BB653_15 Depth=1
	s_or_b64 exec, exec, s[10:11]
.LBB653_116:                            ;   in Loop: Header=BB653_15 Depth=1
	s_or_b64 exec, exec, s[6:7]
.LBB653_117:                            ;   in Loop: Header=BB653_15 Depth=1
	s_or_b64 exec, exec, s[4:5]
	v_lshrrev_b16_e32 v36, 8, v34
	v_cmp_ne_u16_e32 vcc, 0, v36
	v_mov_b32_e32 v38, 0
	v_mov_b32_e32 v39, 0
	s_and_saveexec_b64 s[4:5], vcc
	s_cbranch_execz .LBB653_123
; %bb.118:                              ;   in Loop: Header=BB653_15 Depth=1
	v_cmp_ne_u16_e32 vcc, s13, v36
	v_bfrev_b32_e32 v39, 1
	s_and_saveexec_b64 s[6:7], vcc
	s_cbranch_execz .LBB653_122
; %bb.119:                              ;   in Loop: Header=BB653_15 Depth=1
	v_and_b32_e32 v40, 0x7f, v36
	v_cmp_ne_u32_e32 vcc, s14, v40
	v_mov_b32_e32 v39, 0x7f800001
	s_and_saveexec_b64 s[10:11], vcc
	s_cbranch_execz .LBB653_121
; %bb.120:                              ;   in Loop: Header=BB653_15 Depth=1
	v_and_b32_e32 v39, 7, v36
	v_ffbh_u32_e32 v42, v39
	v_min_u32_e32 v44, 32, v42
	v_subrev_u32_e32 v42, 28, v44
	v_lshlrev_b64 v[42:43], v42, v[36:37]
	v_lshrrev_b32_e32 v41, 3, v40
	v_sub_u32_e32 v36, 29, v44
	v_and_b32_e32 v42, 7, v42
	v_cmp_gt_u32_e32 vcc, 8, v40
	v_cndmask_b32_e32 v36, v41, v36, vcc
	v_cndmask_b32_e32 v39, v39, v42, vcc
	v_lshlrev_b32_e32 v40, 16, v34
	v_lshlrev_b32_e32 v39, 20, v39
	v_and_b32_e32 v40, 0x80000000, v40
	v_lshl_add_u32 v36, v36, 23, v37
	v_or3_b32 v39, v40, v36, v39
.LBB653_121:                            ;   in Loop: Header=BB653_15 Depth=1
	s_or_b64 exec, exec, s[10:11]
.LBB653_122:                            ;   in Loop: Header=BB653_15 Depth=1
	s_or_b64 exec, exec, s[6:7]
.LBB653_123:                            ;   in Loop: Header=BB653_15 Depth=1
	s_or_b64 exec, exec, s[4:5]
	v_lshrrev_b32_e32 v36, 16, v34
	v_cmp_ne_u16_sdwa s[6:7], v36, v33 src0_sel:BYTE_0 src1_sel:DWORD
	s_and_saveexec_b64 s[4:5], s[6:7]
	s_cbranch_execz .LBB653_129
; %bb.124:                              ;   in Loop: Header=BB653_15 Depth=1
	v_cmp_ne_u16_sdwa s[10:11], v36, s13 src0_sel:BYTE_0 src1_sel:DWORD
	v_bfrev_b32_e32 v38, 1
	s_and_saveexec_b64 s[6:7], s[10:11]
	s_cbranch_execz .LBB653_128
; %bb.125:                              ;   in Loop: Header=BB653_15 Depth=1
	v_bfe_u32 v40, v34, 16, 7
	v_cmp_ne_u32_e32 vcc, s14, v40
	v_mov_b32_e32 v38, 0x7f800001
	s_and_saveexec_b64 s[10:11], vcc
	s_cbranch_execz .LBB653_127
; %bb.126:                              ;   in Loop: Header=BB653_15 Depth=1
	v_and_b32_e32 v38, 7, v36
	v_ffbh_u32_e32 v42, v38
	v_min_u32_e32 v44, 32, v42
	v_subrev_u32_e32 v42, 28, v44
	v_lshlrev_b64 v[42:43], v42, v[36:37]
	v_lshrrev_b32_e32 v41, 3, v40
	v_sub_u32_e32 v43, 29, v44
	v_and_b32_e32 v42, 7, v42
	v_cmp_gt_u32_e32 vcc, 8, v40
	v_cndmask_b32_e32 v40, v41, v43, vcc
	v_cndmask_b32_e32 v38, v38, v42, vcc
	v_lshlrev_b32_e32 v36, 24, v36
	v_lshlrev_b32_e32 v38, 20, v38
	v_and_b32_e32 v36, 0x80000000, v36
	v_lshl_add_u32 v40, v40, 23, v37
	v_or3_b32 v38, v36, v40, v38
.LBB653_127:                            ;   in Loop: Header=BB653_15 Depth=1
	s_or_b64 exec, exec, s[10:11]
.LBB653_128:                            ;   in Loop: Header=BB653_15 Depth=1
	s_or_b64 exec, exec, s[6:7]
.LBB653_129:                            ;   in Loop: Header=BB653_15 Depth=1
	s_or_b64 exec, exec, s[4:5]
	v_cmp_lt_u32_e32 vcc, s15, v34
	v_mov_b32_e32 v40, 0
	v_mov_b32_e32 v41, 0
	s_and_saveexec_b64 s[4:5], vcc
	s_cbranch_execz .LBB653_135
; %bb.130:                              ;   in Loop: Header=BB653_15 Depth=1
	v_lshrrev_b32_e32 v36, 24, v34
	v_cmp_ne_u32_e32 vcc, s13, v36
	v_bfrev_b32_e32 v41, 1
	s_and_saveexec_b64 s[6:7], vcc
	s_cbranch_execz .LBB653_134
; %bb.131:                              ;   in Loop: Header=BB653_15 Depth=1
	v_bfe_u32 v34, v34, 24, 7
	v_cmp_ne_u32_e32 vcc, s14, v34
	v_mov_b32_e32 v41, 0x7f800001
	s_and_saveexec_b64 s[10:11], vcc
	s_cbranch_execz .LBB653_133
; %bb.132:                              ;   in Loop: Header=BB653_15 Depth=1
	v_and_b32_e32 v41, 7, v36
	v_ffbh_u32_e32 v42, v41
	v_min_u32_e32 v45, 32, v42
	v_subrev_u32_e32 v42, 28, v45
	v_lshlrev_b64 v[42:43], v42, v[36:37]
	v_lshrrev_b32_e32 v44, 3, v34
	v_sub_u32_e32 v43, 29, v45
	v_and_b32_e32 v42, 7, v42
	v_cmp_gt_u32_e32 vcc, 8, v34
	v_cndmask_b32_e32 v34, v44, v43, vcc
	v_cndmask_b32_e32 v41, v41, v42, vcc
	v_lshlrev_b32_e32 v36, 24, v36
	v_lshlrev_b32_e32 v41, 20, v41
	v_and_b32_e32 v36, 0x80000000, v36
	v_lshl_add_u32 v34, v34, 23, v37
	v_or3_b32 v41, v36, v34, v41
.LBB653_133:                            ;   in Loop: Header=BB653_15 Depth=1
	s_or_b64 exec, exec, s[10:11]
.LBB653_134:                            ;   in Loop: Header=BB653_15 Depth=1
	s_or_b64 exec, exec, s[6:7]
.LBB653_135:                            ;   in Loop: Header=BB653_15 Depth=1
	s_or_b64 exec, exec, s[4:5]
	s_waitcnt vmcnt(2)
	v_cmp_ne_u16_sdwa s[6:7], v32, v33 src0_sel:BYTE_0 src1_sel:DWORD
	s_and_saveexec_b64 s[4:5], s[6:7]
	s_cbranch_execz .LBB653_141
; %bb.136:                              ;   in Loop: Header=BB653_15 Depth=1
	v_cmp_ne_u16_sdwa s[10:11], v32, s13 src0_sel:BYTE_0 src1_sel:DWORD
	v_bfrev_b32_e32 v40, 1
	s_and_saveexec_b64 s[6:7], s[10:11]
	s_cbranch_execz .LBB653_140
; %bb.137:                              ;   in Loop: Header=BB653_15 Depth=1
	v_and_b32_e32 v34, 0x7f, v32
	v_cmp_ne_u32_e32 vcc, s14, v34
	v_mov_b32_e32 v40, 0x7f800001
	s_and_saveexec_b64 s[10:11], vcc
	s_cbranch_execz .LBB653_139
; %bb.138:                              ;   in Loop: Header=BB653_15 Depth=1
	v_and_b32_e32 v36, 7, v32
	v_ffbh_u32_e32 v42, v36
	v_min_u32_e32 v44, 32, v42
	v_subrev_u32_e32 v42, 28, v44
	v_lshlrev_b64 v[42:43], v42, v[32:33]
	v_lshrrev_b32_e32 v40, 3, v34
	v_sub_u32_e32 v43, 29, v44
	v_and_b32_e32 v42, 7, v42
	v_cmp_gt_u32_e32 vcc, 8, v34
	v_cndmask_b32_e32 v34, v40, v43, vcc
	v_cndmask_b32_e32 v36, v36, v42, vcc
	v_lshlrev_b32_e32 v40, 24, v32
	v_lshlrev_b32_e32 v36, 20, v36
	v_and_b32_e32 v40, 0x80000000, v40
	v_lshl_add_u32 v34, v34, 23, v37
	v_or3_b32 v40, v40, v34, v36
.LBB653_139:                            ;   in Loop: Header=BB653_15 Depth=1
	s_or_b64 exec, exec, s[10:11]
.LBB653_140:                            ;   in Loop: Header=BB653_15 Depth=1
	s_or_b64 exec, exec, s[6:7]
.LBB653_141:                            ;   in Loop: Header=BB653_15 Depth=1
	s_or_b64 exec, exec, s[4:5]
	v_lshrrev_b16_e32 v34, 8, v32
	v_cmp_ne_u16_e32 vcc, 0, v34
	v_mov_b32_e32 v42, 0
	v_mov_b32_e32 v43, 0
	s_and_saveexec_b64 s[4:5], vcc
	s_cbranch_execz .LBB653_147
; %bb.142:                              ;   in Loop: Header=BB653_15 Depth=1
	v_cmp_ne_u16_e32 vcc, s13, v34
	v_bfrev_b32_e32 v43, 1
	s_and_saveexec_b64 s[6:7], vcc
	s_cbranch_execz .LBB653_146
; %bb.143:                              ;   in Loop: Header=BB653_15 Depth=1
	v_and_b32_e32 v36, 0x7f, v34
	v_cmp_ne_u32_e32 vcc, s14, v36
	v_mov_b32_e32 v43, 0x7f800001
	s_and_saveexec_b64 s[10:11], vcc
	s_cbranch_execz .LBB653_145
; %bb.144:                              ;   in Loop: Header=BB653_15 Depth=1
	v_and_b32_e32 v43, 7, v34
	v_ffbh_u32_e32 v44, v43
	v_min_u32_e32 v61, 32, v44
	v_subrev_u32_e32 v44, 28, v61
	v_lshlrev_b64 v[44:45], v44, v[34:35]
	v_lshrrev_b32_e32 v60, 3, v36
	v_sub_u32_e32 v34, 29, v61
	v_and_b32_e32 v44, 7, v44
	v_cmp_gt_u32_e32 vcc, 8, v36
	v_cndmask_b32_e32 v34, v60, v34, vcc
	v_cndmask_b32_e32 v36, v43, v44, vcc
	v_lshlrev_b32_e32 v43, 16, v32
	v_lshlrev_b32_e32 v36, 20, v36
	v_and_b32_e32 v43, 0x80000000, v43
	v_lshl_add_u32 v34, v34, 23, v37
	v_or3_b32 v43, v43, v34, v36
.LBB653_145:                            ;   in Loop: Header=BB653_15 Depth=1
	s_or_b64 exec, exec, s[10:11]
.LBB653_146:                            ;   in Loop: Header=BB653_15 Depth=1
	s_or_b64 exec, exec, s[6:7]
.LBB653_147:                            ;   in Loop: Header=BB653_15 Depth=1
	s_or_b64 exec, exec, s[4:5]
	v_lshrrev_b32_e32 v34, 16, v32
	v_cmp_ne_u16_sdwa s[6:7], v34, v33 src0_sel:BYTE_0 src1_sel:DWORD
	s_and_saveexec_b64 s[4:5], s[6:7]
	s_cbranch_execz .LBB653_153
; %bb.148:                              ;   in Loop: Header=BB653_15 Depth=1
	v_cmp_ne_u16_sdwa s[10:11], v34, s13 src0_sel:BYTE_0 src1_sel:DWORD
	v_bfrev_b32_e32 v42, 1
	s_and_saveexec_b64 s[6:7], s[10:11]
	s_cbranch_execz .LBB653_152
; %bb.149:                              ;   in Loop: Header=BB653_15 Depth=1
	v_bfe_u32 v36, v32, 16, 7
	v_cmp_ne_u32_e32 vcc, s14, v36
	v_mov_b32_e32 v42, 0x7f800001
	s_and_saveexec_b64 s[10:11], vcc
	s_cbranch_execz .LBB653_151
; %bb.150:                              ;   in Loop: Header=BB653_15 Depth=1
	v_and_b32_e32 v42, 7, v34
	v_ffbh_u32_e32 v44, v42
	v_min_u32_e32 v61, 32, v44
	v_subrev_u32_e32 v44, 28, v61
	v_lshlrev_b64 v[44:45], v44, v[34:35]
	v_lshrrev_b32_e32 v60, 3, v36
	v_sub_u32_e32 v45, 29, v61
	v_and_b32_e32 v44, 7, v44
	v_cmp_gt_u32_e32 vcc, 8, v36
	v_cndmask_b32_e32 v36, v60, v45, vcc
	v_cndmask_b32_e32 v42, v42, v44, vcc
	v_lshlrev_b32_e32 v34, 24, v34
	v_lshlrev_b32_e32 v42, 20, v42
	v_and_b32_e32 v34, 0x80000000, v34
	v_lshl_add_u32 v36, v36, 23, v37
	v_or3_b32 v42, v34, v36, v42
.LBB653_151:                            ;   in Loop: Header=BB653_15 Depth=1
	s_or_b64 exec, exec, s[10:11]
.LBB653_152:                            ;   in Loop: Header=BB653_15 Depth=1
	s_or_b64 exec, exec, s[6:7]
.LBB653_153:                            ;   in Loop: Header=BB653_15 Depth=1
	s_or_b64 exec, exec, s[4:5]
	v_cmp_lt_u32_e32 vcc, s15, v32
	v_mov_b32_e32 v36, 0
	v_mov_b32_e32 v44, 0
	s_and_saveexec_b64 s[4:5], vcc
	s_cbranch_execz .LBB653_159
; %bb.154:                              ;   in Loop: Header=BB653_15 Depth=1
	v_lshrrev_b32_e32 v34, 24, v32
	v_cmp_ne_u32_e32 vcc, s13, v34
	v_bfrev_b32_e32 v44, 1
	s_and_saveexec_b64 s[6:7], vcc
	s_cbranch_execz .LBB653_158
; %bb.155:                              ;   in Loop: Header=BB653_15 Depth=1
	v_bfe_u32 v32, v32, 24, 7
	v_cmp_ne_u32_e32 vcc, s14, v32
	v_mov_b32_e32 v44, 0x7f800001
	s_and_saveexec_b64 s[10:11], vcc
	s_cbranch_execz .LBB653_157
; %bb.156:                              ;   in Loop: Header=BB653_15 Depth=1
	v_and_b32_e32 v60, 7, v34
	v_ffbh_u32_e32 v44, v60
	v_min_u32_e32 v62, 32, v44
	v_subrev_u32_e32 v44, 28, v62
	v_lshlrev_b64 v[44:45], v44, v[34:35]
	v_lshrrev_b32_e32 v61, 3, v32
	v_sub_u32_e32 v45, 29, v62
	v_and_b32_e32 v44, 7, v44
	v_cmp_gt_u32_e32 vcc, 8, v32
	v_cndmask_b32_e32 v32, v61, v45, vcc
	v_cndmask_b32_e32 v44, v60, v44, vcc
	v_lshlrev_b32_e32 v34, 24, v34
	v_lshlrev_b32_e32 v44, 20, v44
	v_and_b32_e32 v34, 0x80000000, v34
	v_lshl_add_u32 v32, v32, 23, v37
	v_or3_b32 v44, v34, v32, v44
.LBB653_157:                            ;   in Loop: Header=BB653_15 Depth=1
	s_or_b64 exec, exec, s[10:11]
.LBB653_158:                            ;   in Loop: Header=BB653_15 Depth=1
	s_or_b64 exec, exec, s[6:7]
.LBB653_159:                            ;   in Loop: Header=BB653_15 Depth=1
	s_or_b64 exec, exec, s[4:5]
	v_cvt_pkrtz_f16_f32 v60, v23, v39
	v_cvt_pkrtz_f16_f32 v61, v38, v41
	;; [unrolled: 1-line block ×4, first 2 shown]
	s_waitcnt vmcnt(1)
	v_cmp_ne_u16_sdwa s[6:7], v30, v33 src0_sel:BYTE_0 src1_sel:DWORD
	v_mfma_f32_16x16x16f16 v[18:21], v[60:61], v[10:11], v[18:21]
	v_mfma_f32_16x16x16f16 v[18:21], v[38:39], v[12:13], v[18:21]
	s_and_saveexec_b64 s[4:5], s[6:7]
	s_cbranch_execz .LBB653_165
; %bb.160:                              ;   in Loop: Header=BB653_15 Depth=1
	v_cmp_ne_u16_sdwa s[10:11], v30, s13 src0_sel:BYTE_0 src1_sel:DWORD
	v_bfrev_b32_e32 v36, 1
	s_and_saveexec_b64 s[6:7], s[10:11]
	s_cbranch_execz .LBB653_164
; %bb.161:                              ;   in Loop: Header=BB653_15 Depth=1
	v_and_b32_e32 v23, 0x7f, v30
	v_cmp_ne_u32_e32 vcc, s14, v23
	v_mov_b32_e32 v36, 0x7f800001
	s_and_saveexec_b64 s[10:11], vcc
	s_cbranch_execz .LBB653_163
; %bb.162:                              ;   in Loop: Header=BB653_15 Depth=1
	v_and_b32_e32 v32, 7, v30
	v_ffbh_u32_e32 v36, v32
	v_min_u32_e32 v36, 32, v36
	v_subrev_u32_e32 v38, 28, v36
	v_lshlrev_b64 v[38:39], v38, v[30:31]
	v_lshrrev_b32_e32 v34, 3, v23
	v_sub_u32_e32 v36, 29, v36
	v_and_b32_e32 v38, 7, v38
	v_cmp_gt_u32_e32 vcc, 8, v23
	v_cndmask_b32_e32 v23, v34, v36, vcc
	v_cndmask_b32_e32 v32, v32, v38, vcc
	v_lshlrev_b32_e32 v34, 24, v30
	v_lshlrev_b32_e32 v32, 20, v32
	v_and_b32_e32 v34, 0x80000000, v34
	v_lshl_add_u32 v23, v23, 23, v37
	v_or3_b32 v36, v34, v23, v32
.LBB653_163:                            ;   in Loop: Header=BB653_15 Depth=1
	s_or_b64 exec, exec, s[10:11]
.LBB653_164:                            ;   in Loop: Header=BB653_15 Depth=1
	s_or_b64 exec, exec, s[6:7]
.LBB653_165:                            ;   in Loop: Header=BB653_15 Depth=1
	s_or_b64 exec, exec, s[4:5]
	v_lshrrev_b16_e32 v32, 8, v30
	v_cmp_ne_u16_e32 vcc, 0, v32
	v_mov_b32_e32 v23, 0
	v_mov_b32_e32 v34, 0
	s_and_saveexec_b64 s[4:5], vcc
	s_cbranch_execz .LBB653_171
; %bb.166:                              ;   in Loop: Header=BB653_15 Depth=1
	v_cmp_ne_u16_e32 vcc, s13, v32
	v_bfrev_b32_e32 v34, 1
	s_and_saveexec_b64 s[6:7], vcc
	s_cbranch_execz .LBB653_170
; %bb.167:                              ;   in Loop: Header=BB653_15 Depth=1
	v_and_b32_e32 v38, 0x7f, v32
	v_cmp_ne_u32_e32 vcc, s14, v38
	v_mov_b32_e32 v34, 0x7f800001
	s_and_saveexec_b64 s[10:11], vcc
	s_cbranch_execz .LBB653_169
; %bb.168:                              ;   in Loop: Header=BB653_15 Depth=1
	v_and_b32_e32 v34, 7, v32
	v_ffbh_u32_e32 v40, v34
	v_min_u32_e32 v42, 32, v40
	v_subrev_u32_e32 v40, 28, v42
	v_lshlrev_b64 v[40:41], v40, v[32:33]
	v_lshrrev_b32_e32 v39, 3, v38
	v_sub_u32_e32 v32, 29, v42
	v_and_b32_e32 v40, 7, v40
	v_cmp_gt_u32_e32 vcc, 8, v38
	v_cndmask_b32_e32 v32, v39, v32, vcc
	v_cndmask_b32_e32 v34, v34, v40, vcc
	v_lshlrev_b32_e32 v38, 16, v30
	v_lshlrev_b32_e32 v34, 20, v34
	v_and_b32_e32 v38, 0x80000000, v38
	v_lshl_add_u32 v32, v32, 23, v37
	v_or3_b32 v34, v38, v32, v34
.LBB653_169:                            ;   in Loop: Header=BB653_15 Depth=1
	s_or_b64 exec, exec, s[10:11]
.LBB653_170:                            ;   in Loop: Header=BB653_15 Depth=1
	s_or_b64 exec, exec, s[6:7]
.LBB653_171:                            ;   in Loop: Header=BB653_15 Depth=1
	s_or_b64 exec, exec, s[4:5]
	v_lshrrev_b32_e32 v32, 16, v30
	v_cmp_ne_u16_sdwa s[6:7], v32, v33 src0_sel:BYTE_0 src1_sel:DWORD
	s_and_saveexec_b64 s[4:5], s[6:7]
	s_cbranch_execz .LBB653_177
; %bb.172:                              ;   in Loop: Header=BB653_15 Depth=1
	v_cmp_ne_u16_sdwa s[10:11], v32, s13 src0_sel:BYTE_0 src1_sel:DWORD
	v_bfrev_b32_e32 v23, 1
	s_and_saveexec_b64 s[6:7], s[10:11]
	s_cbranch_execz .LBB653_176
; %bb.173:                              ;   in Loop: Header=BB653_15 Depth=1
	v_bfe_u32 v38, v30, 16, 7
	v_cmp_ne_u32_e32 vcc, s14, v38
	v_mov_b32_e32 v23, 0x7f800001
	s_and_saveexec_b64 s[10:11], vcc
	s_cbranch_execz .LBB653_175
; %bb.174:                              ;   in Loop: Header=BB653_15 Depth=1
	v_and_b32_e32 v23, 7, v32
	v_ffbh_u32_e32 v40, v23
	v_min_u32_e32 v42, 32, v40
	v_subrev_u32_e32 v40, 28, v42
	v_lshlrev_b64 v[40:41], v40, v[32:33]
	v_lshrrev_b32_e32 v39, 3, v38
	v_sub_u32_e32 v41, 29, v42
	v_and_b32_e32 v40, 7, v40
	v_cmp_gt_u32_e32 vcc, 8, v38
	v_cndmask_b32_e32 v38, v39, v41, vcc
	v_cndmask_b32_e32 v23, v23, v40, vcc
	v_lshlrev_b32_e32 v32, 24, v32
	v_lshlrev_b32_e32 v23, 20, v23
	v_and_b32_e32 v32, 0x80000000, v32
	v_lshl_add_u32 v38, v38, 23, v37
	v_or3_b32 v23, v32, v38, v23
.LBB653_175:                            ;   in Loop: Header=BB653_15 Depth=1
	s_or_b64 exec, exec, s[10:11]
.LBB653_176:                            ;   in Loop: Header=BB653_15 Depth=1
	s_or_b64 exec, exec, s[6:7]
.LBB653_177:                            ;   in Loop: Header=BB653_15 Depth=1
	s_or_b64 exec, exec, s[4:5]
	v_cmp_lt_u32_e32 vcc, s15, v30
	v_mov_b32_e32 v38, 0
	v_mov_b32_e32 v39, 0
	s_and_saveexec_b64 s[4:5], vcc
	s_cbranch_execz .LBB653_183
; %bb.178:                              ;   in Loop: Header=BB653_15 Depth=1
	v_lshrrev_b32_e32 v32, 24, v30
	v_cmp_ne_u32_e32 vcc, s13, v32
	v_bfrev_b32_e32 v39, 1
	s_and_saveexec_b64 s[6:7], vcc
	s_cbranch_execz .LBB653_182
; %bb.179:                              ;   in Loop: Header=BB653_15 Depth=1
	v_bfe_u32 v30, v30, 24, 7
	v_cmp_ne_u32_e32 vcc, s14, v30
	v_mov_b32_e32 v39, 0x7f800001
	s_and_saveexec_b64 s[10:11], vcc
	s_cbranch_execz .LBB653_181
; %bb.180:                              ;   in Loop: Header=BB653_15 Depth=1
	v_and_b32_e32 v39, 7, v32
	v_ffbh_u32_e32 v40, v39
	v_min_u32_e32 v43, 32, v40
	v_subrev_u32_e32 v40, 28, v43
	v_lshlrev_b64 v[40:41], v40, v[32:33]
	v_lshrrev_b32_e32 v42, 3, v30
	v_sub_u32_e32 v41, 29, v43
	v_and_b32_e32 v40, 7, v40
	v_cmp_gt_u32_e32 vcc, 8, v30
	v_cndmask_b32_e32 v30, v42, v41, vcc
	v_cndmask_b32_e32 v39, v39, v40, vcc
	v_lshlrev_b32_e32 v32, 24, v32
	v_lshlrev_b32_e32 v39, 20, v39
	v_and_b32_e32 v32, 0x80000000, v32
	v_lshl_add_u32 v30, v30, 23, v37
	v_or3_b32 v39, v32, v30, v39
.LBB653_181:                            ;   in Loop: Header=BB653_15 Depth=1
	s_or_b64 exec, exec, s[10:11]
.LBB653_182:                            ;   in Loop: Header=BB653_15 Depth=1
	s_or_b64 exec, exec, s[6:7]
.LBB653_183:                            ;   in Loop: Header=BB653_15 Depth=1
	s_or_b64 exec, exec, s[4:5]
	s_waitcnt vmcnt(0)
	v_cmp_ne_u16_sdwa s[6:7], v28, v33 src0_sel:BYTE_0 src1_sel:DWORD
	s_and_saveexec_b64 s[4:5], s[6:7]
	s_cbranch_execz .LBB653_189
; %bb.184:                              ;   in Loop: Header=BB653_15 Depth=1
	v_cmp_ne_u16_sdwa s[10:11], v28, s13 src0_sel:BYTE_0 src1_sel:DWORD
	v_bfrev_b32_e32 v38, 1
	s_and_saveexec_b64 s[6:7], s[10:11]
	s_cbranch_execz .LBB653_188
; %bb.185:                              ;   in Loop: Header=BB653_15 Depth=1
	v_and_b32_e32 v30, 0x7f, v28
	v_cmp_ne_u32_e32 vcc, s14, v30
	v_mov_b32_e32 v38, 0x7f800001
	s_and_saveexec_b64 s[10:11], vcc
	s_cbranch_execz .LBB653_187
; %bb.186:                              ;   in Loop: Header=BB653_15 Depth=1
	v_and_b32_e32 v32, 7, v28
	v_ffbh_u32_e32 v40, v32
	v_min_u32_e32 v42, 32, v40
	v_subrev_u32_e32 v40, 28, v42
	v_lshlrev_b64 v[40:41], v40, v[28:29]
	v_lshrrev_b32_e32 v38, 3, v30
	v_sub_u32_e32 v41, 29, v42
	v_and_b32_e32 v40, 7, v40
	v_cmp_gt_u32_e32 vcc, 8, v30
	v_cndmask_b32_e32 v30, v38, v41, vcc
	v_cndmask_b32_e32 v32, v32, v40, vcc
	v_lshlrev_b32_e32 v38, 24, v28
	v_lshlrev_b32_e32 v32, 20, v32
	v_and_b32_e32 v38, 0x80000000, v38
	v_lshl_add_u32 v30, v30, 23, v37
	v_or3_b32 v38, v38, v30, v32
.LBB653_187:                            ;   in Loop: Header=BB653_15 Depth=1
	s_or_b64 exec, exec, s[10:11]
.LBB653_188:                            ;   in Loop: Header=BB653_15 Depth=1
	s_or_b64 exec, exec, s[6:7]
.LBB653_189:                            ;   in Loop: Header=BB653_15 Depth=1
	s_or_b64 exec, exec, s[4:5]
	v_lshrrev_b16_e32 v30, 8, v28
	v_cmp_ne_u16_e32 vcc, 0, v30
	v_mov_b32_e32 v32, 0
	v_mov_b32_e32 v40, 0
	s_and_saveexec_b64 s[4:5], vcc
	s_cbranch_execz .LBB653_195
; %bb.190:                              ;   in Loop: Header=BB653_15 Depth=1
	v_cmp_ne_u16_e32 vcc, s13, v30
	v_bfrev_b32_e32 v40, 1
	s_and_saveexec_b64 s[6:7], vcc
	s_cbranch_execz .LBB653_194
; %bb.191:                              ;   in Loop: Header=BB653_15 Depth=1
	v_and_b32_e32 v41, 0x7f, v30
	v_cmp_ne_u32_e32 vcc, s14, v41
	v_mov_b32_e32 v40, 0x7f800001
	s_and_saveexec_b64 s[10:11], vcc
	s_cbranch_execz .LBB653_193
; %bb.192:                              ;   in Loop: Header=BB653_15 Depth=1
	v_and_b32_e32 v40, 7, v30
	v_ffbh_u32_e32 v42, v40
	v_min_u32_e32 v45, 32, v42
	v_subrev_u32_e32 v42, 28, v45
	v_lshlrev_b64 v[42:43], v42, v[30:31]
	v_lshrrev_b32_e32 v44, 3, v41
	v_sub_u32_e32 v30, 29, v45
	v_and_b32_e32 v42, 7, v42
	v_cmp_gt_u32_e32 vcc, 8, v41
	v_cndmask_b32_e32 v30, v44, v30, vcc
	v_cndmask_b32_e32 v40, v40, v42, vcc
	v_lshlrev_b32_e32 v41, 16, v28
	v_lshlrev_b32_e32 v40, 20, v40
	v_and_b32_e32 v41, 0x80000000, v41
	v_lshl_add_u32 v30, v30, 23, v37
	v_or3_b32 v40, v41, v30, v40
.LBB653_193:                            ;   in Loop: Header=BB653_15 Depth=1
	s_or_b64 exec, exec, s[10:11]
.LBB653_194:                            ;   in Loop: Header=BB653_15 Depth=1
	s_or_b64 exec, exec, s[6:7]
.LBB653_195:                            ;   in Loop: Header=BB653_15 Depth=1
	s_or_b64 exec, exec, s[4:5]
	v_lshrrev_b32_e32 v30, 16, v28
	v_cmp_ne_u16_sdwa s[6:7], v30, v33 src0_sel:BYTE_0 src1_sel:DWORD
	s_and_saveexec_b64 s[4:5], s[6:7]
	s_cbranch_execz .LBB653_201
; %bb.196:                              ;   in Loop: Header=BB653_15 Depth=1
	v_cmp_ne_u16_sdwa s[10:11], v30, s13 src0_sel:BYTE_0 src1_sel:DWORD
	v_bfrev_b32_e32 v32, 1
	s_and_saveexec_b64 s[6:7], s[10:11]
	s_cbranch_execz .LBB653_200
; %bb.197:                              ;   in Loop: Header=BB653_15 Depth=1
	v_bfe_u32 v41, v28, 16, 7
	v_cmp_ne_u32_e32 vcc, s14, v41
	v_mov_b32_e32 v32, 0x7f800001
	s_and_saveexec_b64 s[10:11], vcc
	s_cbranch_execz .LBB653_199
; %bb.198:                              ;   in Loop: Header=BB653_15 Depth=1
	v_and_b32_e32 v32, 7, v30
	v_ffbh_u32_e32 v42, v32
	v_min_u32_e32 v45, 32, v42
	v_subrev_u32_e32 v42, 28, v45
	v_lshlrev_b64 v[42:43], v42, v[30:31]
	v_lshrrev_b32_e32 v44, 3, v41
	v_sub_u32_e32 v43, 29, v45
	v_and_b32_e32 v42, 7, v42
	v_cmp_gt_u32_e32 vcc, 8, v41
	v_cndmask_b32_e32 v41, v44, v43, vcc
	v_cndmask_b32_e32 v32, v32, v42, vcc
	v_lshlrev_b32_e32 v30, 24, v30
	v_lshlrev_b32_e32 v32, 20, v32
	v_and_b32_e32 v30, 0x80000000, v30
	v_lshl_add_u32 v41, v41, 23, v37
	v_or3_b32 v32, v30, v41, v32
.LBB653_199:                            ;   in Loop: Header=BB653_15 Depth=1
	s_or_b64 exec, exec, s[10:11]
.LBB653_200:                            ;   in Loop: Header=BB653_15 Depth=1
	s_or_b64 exec, exec, s[6:7]
.LBB653_201:                            ;   in Loop: Header=BB653_15 Depth=1
	s_or_b64 exec, exec, s[4:5]
	v_cmp_lt_u32_e32 vcc, s15, v28
	v_mov_b32_e32 v41, 0
	s_and_saveexec_b64 s[4:5], vcc
	s_cbranch_execz .LBB653_14
; %bb.202:                              ;   in Loop: Header=BB653_15 Depth=1
	v_lshrrev_b32_e32 v30, 24, v28
	v_cmp_ne_u32_e32 vcc, s13, v30
	v_bfrev_b32_e32 v41, 1
	s_and_saveexec_b64 s[6:7], vcc
	s_cbranch_execz .LBB653_13
; %bb.203:                              ;   in Loop: Header=BB653_15 Depth=1
	v_bfe_u32 v28, v28, 24, 7
	v_cmp_ne_u32_e32 vcc, s14, v28
	v_mov_b32_e32 v41, 0x7f800001
	s_and_saveexec_b64 s[10:11], vcc
	s_cbranch_execz .LBB653_12
; %bb.204:                              ;   in Loop: Header=BB653_15 Depth=1
	v_and_b32_e32 v41, 7, v30
	v_ffbh_u32_e32 v42, v41
	v_min_u32_e32 v45, 32, v42
	v_subrev_u32_e32 v42, 28, v45
	v_lshlrev_b64 v[42:43], v42, v[30:31]
	v_lshrrev_b32_e32 v44, 3, v28
	v_sub_u32_e32 v43, 29, v45
	v_and_b32_e32 v42, 7, v42
	v_cmp_gt_u32_e32 vcc, 8, v28
	v_cndmask_b32_e32 v28, v44, v43, vcc
	v_cndmask_b32_e32 v41, v41, v42, vcc
	v_lshlrev_b32_e32 v30, 24, v30
	v_lshlrev_b32_e32 v41, 20, v41
	v_and_b32_e32 v30, 0x80000000, v30
	v_lshl_add_u32 v28, v28, 23, v37
	v_or3_b32 v41, v30, v28, v41
	s_branch .LBB653_12
.LBB653_205:
	buffer_load_dword v17, off, s[0:3], 0 offset:256
	buffer_load_dword v16, off, s[0:3], 0 offset:260
	;; [unrolled: 1-line block ×16, first 2 shown]
	v_and_b32_e32 v18, 0xc0, v0
	v_add_u32_e32 v18, s22, v18
	v_lshl_or_b32 v18, v1, 2, v18
	v_or_b32_e32 v20, 1, v18
	v_subrev_u32_e32 v24, s33, v20
	v_add_u32_e32 v28, 1, v24
	v_cvt_f32_i32_e32 v25, v24
	v_add_u32_e32 v30, 2, v24
	v_add_u32_e32 v31, 3, v24
	;; [unrolled: 1-line block ×14, first 2 shown]
	v_cvt_f32_i32_e32 v28, v28
	v_cvt_f32_i32_e32 v30, v30
	;; [unrolled: 1-line block ×4, first 2 shown]
	v_mov_b32_e32 v19, 0xff7fffff
	v_or_b32_e32 v21, 2, v18
	v_or_b32_e32 v22, 3, v18
	v_cvt_f32_i32_e32 v32, v32
	v_cvt_f32_i32_e32 v33, v33
	v_cmp_gt_i32_e64 s[28:29], s33, v18
	v_cmp_gt_i32_e64 s[30:31], s33, v20
	s_mov_b32 s52, 0xff7fffff
	v_cmp_gt_i32_e64 s[34:35], s33, v21
	v_cmp_gt_i32_e64 s[36:37], s33, v22
	v_or_b32_e32 v23, 16, v18
	v_cvt_f32_i32_e32 v34, v34
	v_cvt_f32_i32_e32 v35, v35
	v_cmp_gt_i32_e64 s[24:25], s33, v23
	v_cvt_f32_i32_e32 v36, v36
	v_cvt_f32_i32_e32 v37, v37
	;; [unrolled: 1-line block ×7, first 2 shown]
	s_waitcnt vmcnt(15)
	v_fmac_f32_e32 v17, v59, v25
	s_waitcnt vmcnt(14)
	v_fmac_f32_e32 v16, v59, v28
	;; [unrolled: 2-line block ×4, first 2 shown]
	v_cndmask_b32_e64 v20, v19, v16, s[30:31]
	v_cndmask_b32_e64 v21, v19, v15, s[34:35]
	;; [unrolled: 1-line block ×3, first 2 shown]
	s_waitcnt vmcnt(11)
	v_fmac_f32_e32 v13, v59, v32
	s_waitcnt vmcnt(10)
	v_fmac_f32_e32 v12, v59, v33
	;; [unrolled: 2-line block ×9, first 2 shown]
	v_cndmask_b32_e64 v24, v19, v17, s[28:29]
	v_max3_f32 v20, v24, s52, v20
	v_max3_f32 v20, v20, v21, v22
	v_or_b32_e32 v22, 17, v18
	v_cmp_gt_i32_e64 s[38:39], s33, v22
	v_cndmask_b32_e64 v21, v19, v13, s[24:25]
	v_cndmask_b32_e64 v22, v19, v12, s[38:39]
	v_max3_f32 v20, v20, v21, v22
	v_or_b32_e32 v21, 18, v18
	v_or_b32_e32 v22, 19, v18
	v_cmp_gt_i32_e64 s[20:21], s33, v21
	v_cmp_gt_i32_e64 s[22:23], s33, v22
	v_cndmask_b32_e64 v21, v19, v11, s[20:21]
	v_cndmask_b32_e64 v22, v19, v10, s[22:23]
	v_max3_f32 v20, v20, v21, v22
	v_or_b32_e32 v21, 32, v18
	v_or_b32_e32 v22, 33, v18
	v_cmp_gt_i32_e64 s[16:17], s33, v21
	;; [unrolled: 7-line block ×3, first 2 shown]
	v_cmp_gt_i32_e64 s[14:15], s33, v22
	v_cndmask_b32_e64 v21, v19, v7, s[12:13]
	v_cndmask_b32_e64 v22, v19, v6, s[14:15]
	v_max3_f32 v20, v20, v21, v22
	v_or_b32_e32 v21, 48, v18
	v_or_b32_e32 v22, 49, v18
	v_fmac_f32_e32 v5, v59, v40
	v_fmac_f32_e32 v4, v59, v41
	v_cmp_gt_i32_e64 s[6:7], s33, v21
	v_cmp_gt_i32_e64 s[10:11], s33, v22
	v_cndmask_b32_e64 v21, v19, v5, s[6:7]
	v_cndmask_b32_e64 v22, v19, v4, s[10:11]
	v_max3_f32 v20, v20, v21, v22
	v_or_b32_e32 v21, 50, v18
	v_or_b32_e32 v18, 51, v18
	v_fmac_f32_e32 v3, v59, v42
	v_cmp_gt_i32_e32 vcc, s33, v21
	v_cmp_gt_i32_e64 s[4:5], s33, v18
	v_cndmask_b32_e32 v21, v19, v3, vcc
	v_cndmask_b32_e64 v18, v19, v2, s[4:5]
	v_mbcnt_lo_u32_b32 v19, -1, 0
	v_mbcnt_hi_u32_b32 v19, -1, v19
	v_max3_f32 v18, v20, v21, v18
	v_and_b32_e32 v20, 64, v19
	v_add_u32_e32 v20, 64, v20
	v_xor_b32_e32 v21, 32, v19
	v_cmp_lt_i32_e64 s[40:41], v21, v20
	v_cndmask_b32_e64 v21, v19, v21, s[40:41]
	v_lshlrev_b32_e32 v21, 2, v21
	ds_bpermute_b32 v22, v21, v18
	s_waitcnt lgkmcnt(0)
	v_max_f32_e32 v22, v22, v22
	v_max_f32_e32 v18, v18, v22
	v_xor_b32_e32 v22, 16, v19
	v_cmp_lt_i32_e64 s[40:41], v22, v20
	v_cndmask_b32_e64 v19, v19, v22, s[40:41]
	v_lshlrev_b32_e32 v19, 2, v19
	ds_bpermute_b32 v20, v19, v18
	s_waitcnt lgkmcnt(0)
	v_max_f32_e32 v20, v20, v20
	v_max_f32_e32 v18, v18, v20
	v_sub_f32_e32 v17, v17, v18
	v_mul_f32_e32 v17, 0x3fb8aa3b, v17
	v_sub_f32_e32 v16, v16, v18
	v_exp_f32_e32 v17, v17
	v_mul_f32_e32 v16, 0x3fb8aa3b, v16
	v_sub_f32_e32 v15, v15, v18
	v_exp_f32_e32 v16, v16
	;; [unrolled: 3-line block ×4, first 2 shown]
	v_mul_f32_e32 v13, 0x3fb8aa3b, v13
	v_sub_f32_e32 v12, v12, v18
	v_cndmask_b32_e64 v17, 0, v17, s[28:29]
	v_exp_f32_e32 v13, v13
	v_mul_f32_e32 v12, 0x3fb8aa3b, v12
	v_sub_f32_e32 v11, v11, v18
	v_add_f32_e32 v20, 0, v17
	v_cndmask_b32_e64 v16, 0, v16, s[30:31]
	v_exp_f32_e32 v12, v12
	v_mul_f32_e32 v11, 0x3fb8aa3b, v11
	v_sub_f32_e32 v10, v10, v18
	v_add_f32_e32 v20, v20, v16
	;; [unrolled: 5-line block ×4, first 2 shown]
	v_cndmask_b32_e64 v13, 0, v13, s[24:25]
	v_exp_f32_e32 v9, v9
	v_mul_f32_e32 v8, 0x3fb8aa3b, v8
	v_sub_f32_e32 v7, v7, v18
	buffer_store_dword v17, off, s[0:3], 0 offset:256
	buffer_store_dword v16, off, s[0:3], 0 offset:260
	;; [unrolled: 1-line block ×4, first 2 shown]
	v_add_f32_e32 v14, v20, v13
	v_cndmask_b32_e64 v12, 0, v12, s[38:39]
	v_exp_f32_e32 v8, v8
	v_mul_f32_e32 v7, 0x3fb8aa3b, v7
	v_sub_f32_e32 v6, v6, v18
	v_add_f32_e32 v14, v14, v12
	v_cndmask_b32_e64 v11, 0, v11, s[20:21]
	v_exp_f32_e32 v7, v7
	v_mul_f32_e32 v6, 0x3fb8aa3b, v6
	v_sub_f32_e32 v5, v5, v18
	;; [unrolled: 5-line block ×4, first 2 shown]
	buffer_store_dword v13, off, s[0:3], 0 offset:272
	buffer_store_dword v12, off, s[0:3], 0 offset:276
	;; [unrolled: 1-line block ×4, first 2 shown]
	v_add_f32_e32 v10, v14, v9
	v_cndmask_b32_e64 v8, 0, v8, s[18:19]
	v_exp_f32_e32 v4, v4
	v_mul_f32_e32 v3, 0x3fb8aa3b, v3
	v_sub_f32_e32 v2, v2, v18
	v_add_f32_e32 v10, v10, v8
	v_cndmask_b32_e64 v7, 0, v7, s[12:13]
	v_exp_f32_e32 v3, v3
	v_mul_f32_e32 v2, 0x3fb8aa3b, v2
	v_add_f32_e32 v10, v10, v7
	v_cndmask_b32_e64 v6, 0, v6, s[14:15]
	v_exp_f32_e32 v2, v2
	v_add_f32_e32 v10, v10, v6
	v_cndmask_b32_e64 v5, 0, v5, s[6:7]
	buffer_store_dword v9, off, s[0:3], 0 offset:288
	buffer_store_dword v8, off, s[0:3], 0 offset:292
	;; [unrolled: 1-line block ×4, first 2 shown]
	v_add_f32_e32 v6, v10, v5
	v_cndmask_b32_e64 v4, 0, v4, s[10:11]
	v_add_f32_e32 v6, v6, v4
	v_cndmask_b32_e32 v3, 0, v3, vcc
	v_add_f32_e32 v6, v6, v3
	v_cndmask_b32_e64 v2, 0, v2, s[4:5]
	v_add_f32_e32 v6, v6, v2
	ds_bpermute_b32 v7, v21, v6
	buffer_store_dword v5, off, s[0:3], 0 offset:304
	buffer_store_dword v4, off, s[0:3], 0 offset:308
	;; [unrolled: 1-line block ×4, first 2 shown]
	v_cmp_gt_u32_e32 vcc, 16, v29
	s_waitcnt lgkmcnt(0)
	s_barrier
	v_add_f32_e32 v2, v6, v7
	ds_bpermute_b32 v3, v19, v2
	s_waitcnt lgkmcnt(0)
	s_and_saveexec_b64 s[4:5], vcc
	s_cbranch_execz .LBB653_207
; %bb.206:
	v_add_f32_e32 v2, v2, v3
	v_lshlrev_b32_e32 v3, 2, v58
	ds_write2st64_b32 v3, v18, v2 offset1:1
.LBB653_207:
	s_or_b64 exec, exec, s[4:5]
	v_lshlrev_b32_e32 v2, 2, v48
	s_waitcnt lgkmcnt(0)
	s_barrier
	ds_read2_b32 v[12:13], v2 offset1:16
	ds_read2_b32 v[14:15], v2 offset0:32 offset1:48
	ds_read2_b32 v[6:7], v2 offset0:64 offset1:80
	;; [unrolled: 1-line block ×3, first 2 shown]
	s_waitcnt lgkmcnt(0)
	s_barrier
	buffer_load_dword v20, off, s[0:3], 0 offset:256
	buffer_load_dword v21, off, s[0:3], 0 offset:260
	;; [unrolled: 1-line block ×16, first 2 shown]
	v_lshlrev_b32_e32 v18, 3, v1
	v_lshlrev_b32_e32 v19, 11, v56
	v_or3_b32 v39, v19, v27, v18
	v_max3_f32 v18, v12, s52, v13
	v_max3_f32 v18, v18, v14, v15
	v_sub_f32_e32 v12, v12, v18
	v_sub_f32_e32 v13, v13, v18
	v_mul_f32_e32 v12, 0x3fb8aa3b, v12
	v_sub_f32_e32 v14, v14, v18
	v_mul_f32_e32 v13, 0x3fb8aa3b, v13
	v_exp_f32_e32 v12, v12
	v_sub_f32_e32 v15, v15, v18
	v_mul_f32_e32 v14, 0x3fb8aa3b, v14
	v_exp_f32_e32 v13, v13
	v_mul_f32_e32 v15, 0x3fb8aa3b, v15
	v_exp_f32_e32 v14, v14
	v_exp_f32_e32 v15, v15
	v_fma_f32 v6, v12, v6, 0
	v_fmac_f32_e32 v6, v13, v7
	v_fmac_f32_e32 v6, v14, v10
	;; [unrolled: 1-line block ×3, first 2 shown]
	v_cmp_eq_u32_e32 vcc, 1, v56
	v_add_f32_e32 v10, 0x358637bd, v6
	v_cndmask_b32_e32 v12, v12, v13, vcc
	v_cmp_eq_u32_e32 vcc, 2, v56
	v_div_scale_f32 v11, s[4:5], v10, v10, 1.0
	v_cndmask_b32_e32 v7, v12, v14, vcc
	v_rcp_f32_e32 v12, v11
	v_cmp_eq_u32_e32 vcc, 3, v56
	v_cndmask_b32_e32 v7, v7, v15, vcc
	v_div_scale_f32 v13, vcc, 1.0, v10, 1.0
	v_fma_f32 v14, -v11, v12, 1.0
	v_fmac_f32_e32 v12, v14, v12
	v_mul_f32_e32 v14, v13, v12
	v_fma_f32 v15, -v11, v14, v13
	v_fmac_f32_e32 v14, v15, v12
	v_fma_f32 v11, -v11, v14, v13
	v_div_fmas_f32 v11, v11, v12, v14
	v_div_fixup_f32 v10, v11, v10, 1.0
	v_mul_f32_e32 v10, v7, v10
	s_lshl_b32 s18, s51, 4
	v_cmp_gt_u32_e32 vcc, 16, v0
	s_waitcnt vmcnt(14)
	v_pk_mul_f32 v[14:15], v[10:11], v[20:21] op_sel_hi:[0,1]
	v_cvt_f16_f32_e32 v7, v14
	s_waitcnt vmcnt(12)
	v_pk_mul_f32 v[12:13], v[10:11], v[22:23] op_sel_hi:[0,1]
	buffer_store_dword v14, off, s[0:3], 0 offset:256
	buffer_store_dword v15, off, s[0:3], 0 offset:260
	;; [unrolled: 1-line block ×4, first 2 shown]
	s_waitcnt vmcnt(14)
	v_pk_mul_f32 v[20:21], v[10:11], v[24:25] op_sel_hi:[0,1]
	v_cvt_f16_f32_e32 v14, v12
	s_waitcnt vmcnt(12)
	v_pk_mul_f32 v[22:23], v[10:11], v[28:29] op_sel_hi:[0,1]
	v_cvt_f16_f32_e32 v11, v15
	v_cvt_f16_f32_e32 v13, v13
	;; [unrolled: 1-line block ×4, first 2 shown]
	v_pack_b32_f16 v12, v7, v11
	v_cvt_f16_f32_e32 v11, v23
	v_cvt_f16_f32_e32 v7, v22
	v_pack_b32_f16 v13, v14, v13
	v_pack_b32_f16 v15, v15, v19
	s_waitcnt vmcnt(10)
	v_pk_mul_f32 v[4:5], v[10:11], v[4:5] op_sel_hi:[0,1]
	v_pack_b32_f16 v14, v7, v11
	s_waitcnt vmcnt(8)
	v_pk_mul_f32 v[2:3], v[10:11], v[2:3] op_sel_hi:[0,1]
	v_cvt_f16_f32_e32 v11, v5
	buffer_store_dword v22, off, s[0:3], 0 offset:272
	buffer_store_dword v23, off, s[0:3], 0 offset:276
	buffer_store_dword v20, off, s[0:3], 0 offset:280
	buffer_store_dword v21, off, s[0:3], 0 offset:284
	ds_write2st64_b64 v39, v[12:13], v[14:15] offset1:1
	buffer_store_dword v2, off, s[0:3], 0 offset:288
	buffer_store_dword v3, off, s[0:3], 0 offset:292
	v_cvt_f16_f32_e32 v2, v2
	v_cvt_f16_f32_e32 v3, v3
	;; [unrolled: 1-line block ×3, first 2 shown]
	buffer_store_dword v4, off, s[0:3], 0 offset:296
	buffer_store_dword v5, off, s[0:3], 0 offset:300
	s_waitcnt vmcnt(12)
	v_pk_mul_f32 v[4:5], v[10:11], v[16:17] op_sel_hi:[0,1]
	v_pk_mul_f32 v[8:9], v[10:11], v[8:9] op_sel_hi:[0,1]
	v_pack_b32_f16 v2, v2, v3
	v_pack_b32_f16 v3, v7, v11
	buffer_store_dword v8, off, s[0:3], 0 offset:304
	buffer_store_dword v9, off, s[0:3], 0 offset:308
	v_cvt_f16_f32_e32 v7, v8
	v_cvt_f16_f32_e32 v8, v9
	;; [unrolled: 1-line block ×4, first 2 shown]
	buffer_store_dword v4, off, s[0:3], 0 offset:312
	buffer_store_dword v5, off, s[0:3], 0 offset:316
	v_pack_b32_f16 v4, v7, v8
	v_pack_b32_f16 v5, v9, v10
	ds_write2st64_b64 v39, v[2:3], v[4:5] offset0:2 offset1:3
	s_and_saveexec_b64 s[4:5], vcc
	s_cbranch_execz .LBB653_209
; %bb.208:
	v_mov_b32_e32 v27, 0
	v_mov_b32_e32 v2, s18
	s_mul_i32 s9, s9, s18
	v_mad_u64_u32 v[2:3], s[6:7], s8, v2, v[26:27]
	v_mov_b32_e32 v26, s26
	v_add_u32_e32 v5, s9, v3
	v_mad_u64_u32 v[2:3], s[6:7], v2, s50, v[26:27]
	v_mov_b32_e32 v4, v3
	v_mad_u64_u32 v[4:5], s[6:7], v5, s50, v[4:5]
	v_mov_b32_e32 v3, v4
	v_lshlrev_b64 v[2:3], 2, v[2:3]
	v_mov_b32_e32 v5, s47
	v_add_co_u32_e32 v4, vcc, s46, v2
	v_addc_co_u32_e32 v5, vcc, v5, v3, vcc
	global_store_dword v[4:5], v18, off
	v_mov_b32_e32 v4, s45
	v_add_co_u32_e32 v2, vcc, s44, v2
	v_addc_co_u32_e32 v3, vcc, v4, v3, vcc
	global_store_dword v[2:3], v6, off
.LBB653_209:
	s_or_b64 exec, exec, s[4:5]
	s_waitcnt lgkmcnt(0)
	s_barrier
	s_load_dword s4, s[42:43], 0x0
	ds_read_b128 v[2:5], v57
	ds_read_b128 v[6:9], v57 offset:16
	ds_read_b128 v[10:13], v57 offset:2048
	;; [unrolled: 1-line block ×7, first 2 shown]
	v_mov_b32_e32 v35, 0x80
	v_mov_b32_e32 v41, 0x140
	s_mov_b64 s[10:11], -1
	s_waitcnt lgkmcnt(0)
	s_mov_b32 s5, s4
	s_mov_b32 s6, s4
	;; [unrolled: 1-line block ×3, first 2 shown]
	s_movk_i32 s9, 0x80
	s_movk_i32 s19, 0x7f
	s_mov_b32 s20, 0xffffff
	v_mov_b32_e32 v43, 0
	v_bfrev_b32_e32 v45, 60
	s_branch .LBB653_213
.LBB653_210:                            ;   in Loop: Header=BB653_213 Depth=1
	s_or_b64 exec, exec, s[16:17]
.LBB653_211:                            ;   in Loop: Header=BB653_213 Depth=1
	s_or_b64 exec, exec, s[14:15]
.LBB653_212:                            ;   in Loop: Header=BB653_213 Depth=1
	s_or_b64 exec, exec, s[12:13]
	v_cvt_pkrtz_f16_f32 v60, v46, v54
	v_cvt_pkrtz_f16_f32 v61, v44, v56
	s_xor_b64 s[12:13], s[10:11], -1
	s_mov_b64 s[10:11], 0
	v_mov_b32_e32 v46, v51
	v_mfma_f32_16x16x16f16 v[60:63], v[60:61], v[30:31], v[34:37]
	v_mov_b32_e32 v54, v53
	s_and_b64 vcc, exec, s[12:13]
	s_nop 4
	v_cvt_pkrtz_f16_f32 v36, v55, v57
	v_cvt_pkrtz_f16_f32 v37, v42, v58
	v_mov_b32_e32 v35, v50
	v_mov_b32_e32 v55, v52
	v_mfma_f32_16x16x16f16 v[56:59], v[36:37], v[32:33], v[60:63]
	s_nop 7
	s_nop 2
	v_pk_mul_f32 v[56:57], v[56:57], s[4:5]
	v_pk_mul_f32 v[36:37], v[58:59], s[6:7]
	v_cvt_f16_f32_e32 v34, v56
	v_cvt_f16_f32_e32 v38, v57
	;; [unrolled: 1-line block ×4, first 2 shown]
	v_pack_b32_f16 v34, v34, v38
	v_pack_b32_f16 v36, v36, v37
	buffer_store_dword v34, v41, s[0:3], 0 offen
	buffer_store_dword v36, v41, s[0:3], 0 offen offset:4
	v_mov_b32_e32 v41, 0x148
	s_cbranch_vccnz .LBB653_595
.LBB653_213:                            ; =>This Inner Loop Header: Depth=1
	buffer_load_dword v36, v35, s[0:3], 0 offen
	buffer_load_dword v34, v35, s[0:3], 0 offen offset:4
	buffer_load_dword v40, v35, s[0:3], 0 offen offset:8
	;; [unrolled: 1-line block ×3, first 2 shown]
	v_mov_b32_e32 v35, 0
	s_waitcnt vmcnt(3)
	v_cmp_ne_u16_sdwa s[14:15], v36, v43 src0_sel:BYTE_0 src1_sel:DWORD
	s_and_saveexec_b64 s[12:13], s[14:15]
	s_cbranch_execz .LBB653_219
; %bb.214:                              ;   in Loop: Header=BB653_213 Depth=1
	v_cmp_ne_u16_sdwa s[16:17], v36, s9 src0_sel:BYTE_0 src1_sel:DWORD
	v_bfrev_b32_e32 v35, 1
	s_and_saveexec_b64 s[14:15], s[16:17]
	s_cbranch_execz .LBB653_218
; %bb.215:                              ;   in Loop: Header=BB653_213 Depth=1
	v_and_b32_e32 v37, 0x7f, v36
	v_cmp_ne_u32_e32 vcc, s19, v37
	v_mov_b32_e32 v35, 0x7f800001
	s_and_saveexec_b64 s[16:17], vcc
	s_cbranch_execz .LBB653_217
; %bb.216:                              ;   in Loop: Header=BB653_213 Depth=1
	v_and_b32_e32 v35, 7, v36
	v_ffbh_u32_e32 v44, v35
	v_min_u32_e32 v44, 32, v44
	v_subrev_u32_e32 v56, 28, v44
	v_lshlrev_b64 v[56:57], v56, v[36:37]
	v_lshrrev_b32_e32 v42, 3, v37
	v_sub_u32_e32 v44, 29, v44
	v_and_b32_e32 v56, 7, v56
	v_cmp_gt_u32_e32 vcc, 8, v37
	v_cndmask_b32_e32 v37, v42, v44, vcc
	v_cndmask_b32_e32 v35, v35, v56, vcc
	v_lshlrev_b32_e32 v42, 24, v36
	v_lshlrev_b32_e32 v35, 20, v35
	v_and_b32_e32 v42, 0x80000000, v42
	v_lshl_add_u32 v37, v37, 23, v45
	v_or3_b32 v35, v42, v37, v35
.LBB653_217:                            ;   in Loop: Header=BB653_213 Depth=1
	s_or_b64 exec, exec, s[16:17]
.LBB653_218:                            ;   in Loop: Header=BB653_213 Depth=1
	s_or_b64 exec, exec, s[14:15]
.LBB653_219:                            ;   in Loop: Header=BB653_213 Depth=1
	s_or_b64 exec, exec, s[12:13]
	v_lshrrev_b16_e32 v42, 8, v36
	v_cmp_ne_u16_e32 vcc, 0, v42
	v_mov_b32_e32 v37, 0
	s_and_saveexec_b64 s[12:13], vcc
	s_cbranch_execz .LBB653_225
; %bb.220:                              ;   in Loop: Header=BB653_213 Depth=1
	v_cmp_ne_u16_e32 vcc, s9, v42
	v_bfrev_b32_e32 v37, 1
	s_and_saveexec_b64 s[14:15], vcc
	s_cbranch_execz .LBB653_224
; %bb.221:                              ;   in Loop: Header=BB653_213 Depth=1
	v_and_b32_e32 v44, 0x7f, v42
	v_cmp_ne_u32_e32 vcc, s19, v44
	v_mov_b32_e32 v37, 0x7f800001
	s_and_saveexec_b64 s[16:17], vcc
	s_cbranch_execz .LBB653_223
; %bb.222:                              ;   in Loop: Header=BB653_213 Depth=1
	v_and_b32_e32 v37, 7, v42
	v_ffbh_u32_e32 v56, v37
	v_min_u32_e32 v59, 32, v56
	v_subrev_u32_e32 v56, 28, v59
	v_lshlrev_b64 v[56:57], v56, v[42:43]
	v_lshrrev_b32_e32 v58, 3, v44
	v_sub_u32_e32 v42, 29, v59
	v_and_b32_e32 v56, 7, v56
	v_cmp_gt_u32_e32 vcc, 8, v44
	v_cndmask_b32_e32 v42, v58, v42, vcc
	v_cndmask_b32_e32 v37, v37, v56, vcc
	v_lshlrev_b32_e32 v44, 16, v36
	v_lshlrev_b32_e32 v37, 20, v37
	v_and_b32_e32 v44, 0x80000000, v44
	v_lshl_add_u32 v42, v42, 23, v45
	v_or3_b32 v37, v44, v42, v37
.LBB653_223:                            ;   in Loop: Header=BB653_213 Depth=1
	s_or_b64 exec, exec, s[16:17]
.LBB653_224:                            ;   in Loop: Header=BB653_213 Depth=1
	s_or_b64 exec, exec, s[14:15]
.LBB653_225:                            ;   in Loop: Header=BB653_213 Depth=1
	s_or_b64 exec, exec, s[12:13]
	v_lshrrev_b32_e32 v42, 16, v36
	v_cmp_ne_u16_sdwa s[14:15], v42, v43 src0_sel:BYTE_0 src1_sel:DWORD
	v_mov_b32_e32 v56, 0
	v_mov_b32_e32 v44, 0
	s_and_saveexec_b64 s[12:13], s[14:15]
	s_cbranch_execz .LBB653_231
; %bb.226:                              ;   in Loop: Header=BB653_213 Depth=1
	v_cmp_ne_u16_sdwa s[16:17], v42, s9 src0_sel:BYTE_0 src1_sel:DWORD
	v_bfrev_b32_e32 v44, 1
	s_and_saveexec_b64 s[14:15], s[16:17]
	s_cbranch_execz .LBB653_230
; %bb.227:                              ;   in Loop: Header=BB653_213 Depth=1
	v_bfe_u32 v57, v36, 16, 7
	v_cmp_ne_u32_e32 vcc, s19, v57
	v_mov_b32_e32 v44, 0x7f800001
	s_and_saveexec_b64 s[16:17], vcc
	s_cbranch_execz .LBB653_229
; %bb.228:                              ;   in Loop: Header=BB653_213 Depth=1
	v_and_b32_e32 v44, 7, v42
	v_ffbh_u32_e32 v58, v44
	v_min_u32_e32 v61, 32, v58
	v_subrev_u32_e32 v58, 28, v61
	v_lshlrev_b64 v[58:59], v58, v[42:43]
	v_lshrrev_b32_e32 v60, 3, v57
	v_sub_u32_e32 v59, 29, v61
	v_and_b32_e32 v58, 7, v58
	v_cmp_gt_u32_e32 vcc, 8, v57
	v_cndmask_b32_e32 v57, v60, v59, vcc
	v_cndmask_b32_e32 v44, v44, v58, vcc
	v_lshlrev_b32_e32 v42, 24, v42
	v_lshlrev_b32_e32 v44, 20, v44
	v_and_b32_e32 v42, 0x80000000, v42
	v_lshl_add_u32 v57, v57, 23, v45
	v_or3_b32 v44, v42, v57, v44
.LBB653_229:                            ;   in Loop: Header=BB653_213 Depth=1
	s_or_b64 exec, exec, s[16:17]
.LBB653_230:                            ;   in Loop: Header=BB653_213 Depth=1
	s_or_b64 exec, exec, s[14:15]
.LBB653_231:                            ;   in Loop: Header=BB653_213 Depth=1
	s_or_b64 exec, exec, s[12:13]
	v_cmp_lt_u32_e32 vcc, s20, v36
	s_and_saveexec_b64 s[12:13], vcc
	s_cbranch_execz .LBB653_237
; %bb.232:                              ;   in Loop: Header=BB653_213 Depth=1
	v_lshrrev_b32_e32 v42, 24, v36
	v_cmp_ne_u32_e32 vcc, s9, v42
	v_bfrev_b32_e32 v56, 1
	s_and_saveexec_b64 s[14:15], vcc
	s_cbranch_execz .LBB653_236
; %bb.233:                              ;   in Loop: Header=BB653_213 Depth=1
	v_bfe_u32 v36, v36, 24, 7
	v_cmp_ne_u32_e32 vcc, s19, v36
	v_mov_b32_e32 v56, 0x7f800001
	s_and_saveexec_b64 s[16:17], vcc
	s_cbranch_execz .LBB653_235
; %bb.234:                              ;   in Loop: Header=BB653_213 Depth=1
	v_and_b32_e32 v58, 7, v42
	v_ffbh_u32_e32 v56, v58
	v_min_u32_e32 v60, 32, v56
	v_subrev_u32_e32 v56, 28, v60
	v_lshlrev_b64 v[56:57], v56, v[42:43]
	v_lshrrev_b32_e32 v59, 3, v36
	v_sub_u32_e32 v57, 29, v60
	v_and_b32_e32 v56, 7, v56
	v_cmp_gt_u32_e32 vcc, 8, v36
	v_cndmask_b32_e32 v36, v59, v57, vcc
	v_cndmask_b32_e32 v56, v58, v56, vcc
	v_lshlrev_b32_e32 v42, 24, v42
	v_lshlrev_b32_e32 v56, 20, v56
	v_and_b32_e32 v42, 0x80000000, v42
	v_lshl_add_u32 v36, v36, 23, v45
	v_or3_b32 v56, v42, v36, v56
.LBB653_235:                            ;   in Loop: Header=BB653_213 Depth=1
	s_or_b64 exec, exec, s[16:17]
.LBB653_236:                            ;   in Loop: Header=BB653_213 Depth=1
	s_or_b64 exec, exec, s[14:15]
.LBB653_237:                            ;   in Loop: Header=BB653_213 Depth=1
	s_or_b64 exec, exec, s[12:13]
	s_waitcnt vmcnt(2)
	v_cmp_ne_u16_sdwa s[14:15], v34, v43 src0_sel:BYTE_0 src1_sel:DWORD
	v_mov_b32_e32 v42, 0
	v_mov_b32_e32 v57, 0
	s_and_saveexec_b64 s[12:13], s[14:15]
	s_cbranch_execz .LBB653_243
; %bb.238:                              ;   in Loop: Header=BB653_213 Depth=1
	v_cmp_ne_u16_sdwa s[16:17], v34, s9 src0_sel:BYTE_0 src1_sel:DWORD
	v_bfrev_b32_e32 v57, 1
	s_and_saveexec_b64 s[14:15], s[16:17]
	s_cbranch_execz .LBB653_242
; %bb.239:                              ;   in Loop: Header=BB653_213 Depth=1
	v_and_b32_e32 v36, 0x7f, v34
	v_cmp_ne_u32_e32 vcc, s19, v36
	v_mov_b32_e32 v57, 0x7f800001
	s_and_saveexec_b64 s[16:17], vcc
	s_cbranch_execz .LBB653_241
; %bb.240:                              ;   in Loop: Header=BB653_213 Depth=1
	v_and_b32_e32 v57, 7, v34
	v_ffbh_u32_e32 v58, v57
	v_min_u32_e32 v61, 32, v58
	v_subrev_u32_e32 v58, 28, v61
	v_lshlrev_b64 v[58:59], v58, v[34:35]
	v_lshrrev_b32_e32 v60, 3, v36
	v_sub_u32_e32 v59, 29, v61
	v_and_b32_e32 v58, 7, v58
	v_cmp_gt_u32_e32 vcc, 8, v36
	v_cndmask_b32_e32 v36, v60, v59, vcc
	v_cndmask_b32_e32 v57, v57, v58, vcc
	v_lshlrev_b32_e32 v58, 24, v34
	v_lshlrev_b32_e32 v57, 20, v57
	v_and_b32_e32 v58, 0x80000000, v58
	v_lshl_add_u32 v36, v36, 23, v45
	v_or3_b32 v57, v58, v36, v57
.LBB653_241:                            ;   in Loop: Header=BB653_213 Depth=1
	s_or_b64 exec, exec, s[16:17]
.LBB653_242:                            ;   in Loop: Header=BB653_213 Depth=1
	s_or_b64 exec, exec, s[14:15]
.LBB653_243:                            ;   in Loop: Header=BB653_213 Depth=1
	s_or_b64 exec, exec, s[12:13]
	v_lshrrev_b16_e32 v36, 8, v34
	v_cmp_ne_u16_e32 vcc, 0, v36
	s_and_saveexec_b64 s[12:13], vcc
	s_cbranch_execz .LBB653_249
; %bb.244:                              ;   in Loop: Header=BB653_213 Depth=1
	v_cmp_ne_u16_e32 vcc, s9, v36
	v_bfrev_b32_e32 v42, 1
	s_and_saveexec_b64 s[14:15], vcc
	s_cbranch_execz .LBB653_248
; %bb.245:                              ;   in Loop: Header=BB653_213 Depth=1
	v_and_b32_e32 v58, 0x7f, v36
	v_cmp_ne_u32_e32 vcc, s19, v58
	v_mov_b32_e32 v42, 0x7f800001
	s_and_saveexec_b64 s[16:17], vcc
	s_cbranch_execz .LBB653_247
; %bb.246:                              ;   in Loop: Header=BB653_213 Depth=1
	v_and_b32_e32 v42, 7, v36
	v_ffbh_u32_e32 v60, v42
	v_min_u32_e32 v62, 32, v60
	v_subrev_u32_e32 v60, 28, v62
	v_lshlrev_b64 v[60:61], v60, v[36:37]
	v_lshrrev_b32_e32 v59, 3, v58
	v_sub_u32_e32 v36, 29, v62
	v_and_b32_e32 v60, 7, v60
	v_cmp_gt_u32_e32 vcc, 8, v58
	v_cndmask_b32_e32 v36, v59, v36, vcc
	v_cndmask_b32_e32 v42, v42, v60, vcc
	v_lshlrev_b32_e32 v58, 16, v34
	v_lshlrev_b32_e32 v42, 20, v42
	v_and_b32_e32 v58, 0x80000000, v58
	v_lshl_add_u32 v36, v36, 23, v45
	v_or3_b32 v42, v58, v36, v42
.LBB653_247:                            ;   in Loop: Header=BB653_213 Depth=1
	s_or_b64 exec, exec, s[16:17]
.LBB653_248:                            ;   in Loop: Header=BB653_213 Depth=1
	s_or_b64 exec, exec, s[14:15]
.LBB653_249:                            ;   in Loop: Header=BB653_213 Depth=1
	s_or_b64 exec, exec, s[12:13]
	v_lshrrev_b32_e32 v36, 16, v34
	v_cmp_ne_u16_sdwa s[14:15], v36, v43 src0_sel:BYTE_0 src1_sel:DWORD
	v_mov_b32_e32 v59, 0
	v_mov_b32_e32 v58, 0
	s_and_saveexec_b64 s[12:13], s[14:15]
	s_cbranch_execz .LBB653_255
; %bb.250:                              ;   in Loop: Header=BB653_213 Depth=1
	v_cmp_ne_u16_sdwa s[16:17], v36, s9 src0_sel:BYTE_0 src1_sel:DWORD
	v_bfrev_b32_e32 v58, 1
	s_and_saveexec_b64 s[14:15], s[16:17]
	s_cbranch_execz .LBB653_254
; %bb.251:                              ;   in Loop: Header=BB653_213 Depth=1
	v_bfe_u32 v60, v34, 16, 7
	v_cmp_ne_u32_e32 vcc, s19, v60
	v_mov_b32_e32 v58, 0x7f800001
	s_and_saveexec_b64 s[16:17], vcc
	s_cbranch_execz .LBB653_253
; %bb.252:                              ;   in Loop: Header=BB653_213 Depth=1
	v_and_b32_e32 v58, 7, v36
	v_ffbh_u32_e32 v62, v58
	v_min_u32_e32 v64, 32, v62
	v_subrev_u32_e32 v62, 28, v64
	v_lshlrev_b64 v[62:63], v62, v[36:37]
	v_lshrrev_b32_e32 v61, 3, v60
	v_sub_u32_e32 v63, 29, v64
	v_and_b32_e32 v62, 7, v62
	v_cmp_gt_u32_e32 vcc, 8, v60
	v_cndmask_b32_e32 v60, v61, v63, vcc
	v_cndmask_b32_e32 v58, v58, v62, vcc
	v_lshlrev_b32_e32 v36, 24, v36
	v_lshlrev_b32_e32 v58, 20, v58
	v_and_b32_e32 v36, 0x80000000, v36
	v_lshl_add_u32 v60, v60, 23, v45
	v_or3_b32 v58, v36, v60, v58
.LBB653_253:                            ;   in Loop: Header=BB653_213 Depth=1
	s_or_b64 exec, exec, s[16:17]
.LBB653_254:                            ;   in Loop: Header=BB653_213 Depth=1
	s_or_b64 exec, exec, s[14:15]
.LBB653_255:                            ;   in Loop: Header=BB653_213 Depth=1
	s_or_b64 exec, exec, s[12:13]
	v_cmp_lt_u32_e32 vcc, s20, v34
	s_and_saveexec_b64 s[12:13], vcc
	s_cbranch_execz .LBB653_261
; %bb.256:                              ;   in Loop: Header=BB653_213 Depth=1
	v_lshrrev_b32_e32 v36, 24, v34
	v_cmp_ne_u32_e32 vcc, s9, v36
	v_bfrev_b32_e32 v59, 1
	s_and_saveexec_b64 s[14:15], vcc
	s_cbranch_execz .LBB653_260
; %bb.257:                              ;   in Loop: Header=BB653_213 Depth=1
	v_bfe_u32 v34, v34, 24, 7
	v_cmp_ne_u32_e32 vcc, s19, v34
	v_mov_b32_e32 v59, 0x7f800001
	s_and_saveexec_b64 s[16:17], vcc
	s_cbranch_execz .LBB653_259
; %bb.258:                              ;   in Loop: Header=BB653_213 Depth=1
	v_and_b32_e32 v59, 7, v36
	v_ffbh_u32_e32 v60, v59
	v_min_u32_e32 v63, 32, v60
	v_subrev_u32_e32 v60, 28, v63
	v_lshlrev_b64 v[60:61], v60, v[36:37]
	v_lshrrev_b32_e32 v62, 3, v34
	v_sub_u32_e32 v61, 29, v63
	v_and_b32_e32 v60, 7, v60
	v_cmp_gt_u32_e32 vcc, 8, v34
	v_cndmask_b32_e32 v34, v62, v61, vcc
	v_cndmask_b32_e32 v59, v59, v60, vcc
	v_lshlrev_b32_e32 v36, 24, v36
	v_lshlrev_b32_e32 v59, 20, v59
	v_and_b32_e32 v36, 0x80000000, v36
	v_lshl_add_u32 v34, v34, 23, v45
	v_or3_b32 v59, v36, v34, v59
.LBB653_259:                            ;   in Loop: Header=BB653_213 Depth=1
	s_or_b64 exec, exec, s[16:17]
.LBB653_260:                            ;   in Loop: Header=BB653_213 Depth=1
	s_or_b64 exec, exec, s[14:15]
.LBB653_261:                            ;   in Loop: Header=BB653_213 Depth=1
	s_or_b64 exec, exec, s[12:13]
	v_cvt_pkrtz_f16_f32 v34, v35, v37
	v_cvt_pkrtz_f16_f32 v35, v44, v56
	;; [unrolled: 1-line block ×4, first 2 shown]
	v_mov_b32_e32 v44, 0
	v_mfma_f32_16x16x16f16 v[34:37], v[34:35], v[2:3], 0
	s_waitcnt vmcnt(1)
	v_cmp_ne_u16_sdwa s[14:15], v40, v43 src0_sel:BYTE_0 src1_sel:DWORD
	v_mov_b32_e32 v57, 0
	v_mfma_f32_16x16x16f16 v[34:37], v[60:61], v[4:5], v[34:37]
	s_and_saveexec_b64 s[12:13], s[14:15]
	s_cbranch_execz .LBB653_267
; %bb.262:                              ;   in Loop: Header=BB653_213 Depth=1
	v_cmp_ne_u16_sdwa s[16:17], v40, s9 src0_sel:BYTE_0 src1_sel:DWORD
	v_bfrev_b32_e32 v57, 1
	s_and_saveexec_b64 s[14:15], s[16:17]
	s_cbranch_execz .LBB653_266
; %bb.263:                              ;   in Loop: Header=BB653_213 Depth=1
	v_and_b32_e32 v42, 0x7f, v40
	v_cmp_ne_u32_e32 vcc, s19, v42
	v_mov_b32_e32 v57, 0x7f800001
	s_and_saveexec_b64 s[16:17], vcc
	s_cbranch_execz .LBB653_265
; %bb.264:                              ;   in Loop: Header=BB653_213 Depth=1
	v_and_b32_e32 v58, 7, v40
	v_ffbh_u32_e32 v56, v58
	v_min_u32_e32 v60, 32, v56
	v_subrev_u32_e32 v56, 28, v60
	v_lshlrev_b64 v[56:57], v56, v[40:41]
	v_lshrrev_b32_e32 v59, 3, v42
	v_sub_u32_e32 v57, 29, v60
	v_and_b32_e32 v56, 7, v56
	v_cmp_gt_u32_e32 vcc, 8, v42
	v_cndmask_b32_e32 v42, v59, v57, vcc
	v_cndmask_b32_e32 v56, v58, v56, vcc
	v_lshlrev_b32_e32 v57, 24, v40
	v_lshlrev_b32_e32 v56, 20, v56
	v_and_b32_e32 v57, 0x80000000, v57
	v_lshl_add_u32 v42, v42, 23, v45
	v_or3_b32 v57, v57, v42, v56
.LBB653_265:                            ;   in Loop: Header=BB653_213 Depth=1
	s_or_b64 exec, exec, s[16:17]
.LBB653_266:                            ;   in Loop: Header=BB653_213 Depth=1
	s_or_b64 exec, exec, s[14:15]
.LBB653_267:                            ;   in Loop: Header=BB653_213 Depth=1
	s_or_b64 exec, exec, s[12:13]
	v_lshrrev_b16_e32 v42, 8, v40
	v_cmp_ne_u16_e32 vcc, 0, v42
	v_mov_b32_e32 v58, 0
	s_and_saveexec_b64 s[12:13], vcc
	s_cbranch_execz .LBB653_273
; %bb.268:                              ;   in Loop: Header=BB653_213 Depth=1
	v_cmp_ne_u16_e32 vcc, s9, v42
	v_bfrev_b32_e32 v58, 1
	s_and_saveexec_b64 s[14:15], vcc
	s_cbranch_execz .LBB653_272
; %bb.269:                              ;   in Loop: Header=BB653_213 Depth=1
	v_and_b32_e32 v56, 0x7f, v42
	v_cmp_ne_u32_e32 vcc, s19, v56
	v_mov_b32_e32 v58, 0x7f800001
	s_and_saveexec_b64 s[16:17], vcc
	s_cbranch_execz .LBB653_271
; %bb.270:                              ;   in Loop: Header=BB653_213 Depth=1
	v_and_b32_e32 v60, 7, v42
	v_ffbh_u32_e32 v58, v60
	v_min_u32_e32 v62, 32, v58
	v_subrev_u32_e32 v58, 28, v62
	v_lshlrev_b64 v[58:59], v58, v[42:43]
	v_lshrrev_b32_e32 v61, 3, v56
	v_sub_u32_e32 v42, 29, v62
	v_and_b32_e32 v58, 7, v58
	v_cmp_gt_u32_e32 vcc, 8, v56
	v_cndmask_b32_e32 v42, v61, v42, vcc
	v_cndmask_b32_e32 v56, v60, v58, vcc
	v_lshlrev_b32_e32 v58, 16, v40
	v_lshlrev_b32_e32 v56, 20, v56
	v_and_b32_e32 v58, 0x80000000, v58
	v_lshl_add_u32 v42, v42, 23, v45
	v_or3_b32 v58, v58, v42, v56
.LBB653_271:                            ;   in Loop: Header=BB653_213 Depth=1
	s_or_b64 exec, exec, s[16:17]
.LBB653_272:                            ;   in Loop: Header=BB653_213 Depth=1
	s_or_b64 exec, exec, s[14:15]
.LBB653_273:                            ;   in Loop: Header=BB653_213 Depth=1
	s_or_b64 exec, exec, s[12:13]
	v_lshrrev_b32_e32 v42, 16, v40
	v_cmp_ne_u16_sdwa s[14:15], v42, v43 src0_sel:BYTE_0 src1_sel:DWORD
	s_and_saveexec_b64 s[12:13], s[14:15]
	s_cbranch_execz .LBB653_279
; %bb.274:                              ;   in Loop: Header=BB653_213 Depth=1
	v_cmp_ne_u16_sdwa s[16:17], v42, s9 src0_sel:BYTE_0 src1_sel:DWORD
	v_bfrev_b32_e32 v44, 1
	s_and_saveexec_b64 s[14:15], s[16:17]
	s_cbranch_execz .LBB653_278
; %bb.275:                              ;   in Loop: Header=BB653_213 Depth=1
	v_bfe_u32 v56, v40, 16, 7
	v_cmp_ne_u32_e32 vcc, s19, v56
	v_mov_b32_e32 v44, 0x7f800001
	s_and_saveexec_b64 s[16:17], vcc
	s_cbranch_execz .LBB653_277
; %bb.276:                              ;   in Loop: Header=BB653_213 Depth=1
	v_and_b32_e32 v44, 7, v42
	v_ffbh_u32_e32 v60, v44
	v_min_u32_e32 v62, 32, v60
	v_subrev_u32_e32 v60, 28, v62
	v_lshlrev_b64 v[60:61], v60, v[42:43]
	v_lshrrev_b32_e32 v59, 3, v56
	v_sub_u32_e32 v61, 29, v62
	v_and_b32_e32 v60, 7, v60
	v_cmp_gt_u32_e32 vcc, 8, v56
	v_cndmask_b32_e32 v56, v59, v61, vcc
	v_cndmask_b32_e32 v44, v44, v60, vcc
	v_lshlrev_b32_e32 v42, 24, v42
	v_lshlrev_b32_e32 v44, 20, v44
	v_and_b32_e32 v42, 0x80000000, v42
	v_lshl_add_u32 v56, v56, 23, v45
	v_or3_b32 v44, v42, v56, v44
.LBB653_277:                            ;   in Loop: Header=BB653_213 Depth=1
	s_or_b64 exec, exec, s[16:17]
.LBB653_278:                            ;   in Loop: Header=BB653_213 Depth=1
	s_or_b64 exec, exec, s[14:15]
.LBB653_279:                            ;   in Loop: Header=BB653_213 Depth=1
	s_or_b64 exec, exec, s[12:13]
	v_cmp_lt_u32_e32 vcc, s20, v40
	v_mov_b32_e32 v59, 0
	v_mov_b32_e32 v60, 0
	s_and_saveexec_b64 s[12:13], vcc
	s_cbranch_execz .LBB653_285
; %bb.280:                              ;   in Loop: Header=BB653_213 Depth=1
	v_lshrrev_b32_e32 v42, 24, v40
	v_cmp_ne_u32_e32 vcc, s9, v42
	v_bfrev_b32_e32 v60, 1
	s_and_saveexec_b64 s[14:15], vcc
	s_cbranch_execz .LBB653_284
; %bb.281:                              ;   in Loop: Header=BB653_213 Depth=1
	v_bfe_u32 v40, v40, 24, 7
	v_cmp_ne_u32_e32 vcc, s19, v40
	v_mov_b32_e32 v60, 0x7f800001
	s_and_saveexec_b64 s[16:17], vcc
	s_cbranch_execz .LBB653_283
; %bb.282:                              ;   in Loop: Header=BB653_213 Depth=1
	v_and_b32_e32 v56, 7, v42
	v_ffbh_u32_e32 v60, v56
	v_min_u32_e32 v63, 32, v60
	v_subrev_u32_e32 v60, 28, v63
	v_lshlrev_b64 v[60:61], v60, v[42:43]
	v_lshrrev_b32_e32 v62, 3, v40
	v_sub_u32_e32 v61, 29, v63
	v_and_b32_e32 v60, 7, v60
	v_cmp_gt_u32_e32 vcc, 8, v40
	v_cndmask_b32_e32 v40, v62, v61, vcc
	v_cndmask_b32_e32 v56, v56, v60, vcc
	v_lshlrev_b32_e32 v42, 24, v42
	v_lshlrev_b32_e32 v56, 20, v56
	v_and_b32_e32 v42, 0x80000000, v42
	v_lshl_add_u32 v40, v40, 23, v45
	v_or3_b32 v60, v42, v40, v56
.LBB653_283:                            ;   in Loop: Header=BB653_213 Depth=1
	s_or_b64 exec, exec, s[16:17]
.LBB653_284:                            ;   in Loop: Header=BB653_213 Depth=1
	s_or_b64 exec, exec, s[14:15]
.LBB653_285:                            ;   in Loop: Header=BB653_213 Depth=1
	s_or_b64 exec, exec, s[12:13]
	s_waitcnt vmcnt(0)
	v_cmp_ne_u16_sdwa s[14:15], v38, v43 src0_sel:BYTE_0 src1_sel:DWORD
	s_and_saveexec_b64 s[12:13], s[14:15]
	s_cbranch_execz .LBB653_291
; %bb.286:                              ;   in Loop: Header=BB653_213 Depth=1
	v_cmp_ne_u16_sdwa s[16:17], v38, s9 src0_sel:BYTE_0 src1_sel:DWORD
	v_bfrev_b32_e32 v59, 1
	s_and_saveexec_b64 s[14:15], s[16:17]
	s_cbranch_execz .LBB653_290
; %bb.287:                              ;   in Loop: Header=BB653_213 Depth=1
	v_and_b32_e32 v40, 0x7f, v38
	v_cmp_ne_u32_e32 vcc, s19, v40
	v_mov_b32_e32 v59, 0x7f800001
	s_and_saveexec_b64 s[16:17], vcc
	s_cbranch_execz .LBB653_289
; %bb.288:                              ;   in Loop: Header=BB653_213 Depth=1
	v_and_b32_e32 v42, 7, v38
	v_ffbh_u32_e32 v59, v42
	v_min_u32_e32 v59, 32, v59
	v_subrev_u32_e32 v61, 28, v59
	v_lshlrev_b64 v[62:63], v61, v[38:39]
	v_lshrrev_b32_e32 v56, 3, v40
	v_sub_u32_e32 v59, 29, v59
	v_and_b32_e32 v61, 7, v62
	v_cmp_gt_u32_e32 vcc, 8, v40
	v_cndmask_b32_e32 v40, v56, v59, vcc
	v_cndmask_b32_e32 v42, v42, v61, vcc
	v_lshlrev_b32_e32 v56, 24, v38
	v_lshlrev_b32_e32 v42, 20, v42
	v_and_b32_e32 v56, 0x80000000, v56
	v_lshl_add_u32 v40, v40, 23, v45
	v_or3_b32 v59, v56, v40, v42
.LBB653_289:                            ;   in Loop: Header=BB653_213 Depth=1
	s_or_b64 exec, exec, s[16:17]
.LBB653_290:                            ;   in Loop: Header=BB653_213 Depth=1
	s_or_b64 exec, exec, s[14:15]
.LBB653_291:                            ;   in Loop: Header=BB653_213 Depth=1
	s_or_b64 exec, exec, s[12:13]
	v_lshrrev_b16_e32 v40, 8, v38
	v_cmp_ne_u16_e32 vcc, 0, v40
	v_mov_b32_e32 v61, 0
	v_mov_b32_e32 v62, 0
	s_and_saveexec_b64 s[12:13], vcc
	s_cbranch_execz .LBB653_297
; %bb.292:                              ;   in Loop: Header=BB653_213 Depth=1
	v_cmp_ne_u16_e32 vcc, s9, v40
	v_bfrev_b32_e32 v62, 1
	s_and_saveexec_b64 s[14:15], vcc
	s_cbranch_execz .LBB653_296
; %bb.293:                              ;   in Loop: Header=BB653_213 Depth=1
	v_and_b32_e32 v42, 0x7f, v40
	v_cmp_ne_u32_e32 vcc, s19, v42
	v_mov_b32_e32 v62, 0x7f800001
	s_and_saveexec_b64 s[16:17], vcc
	s_cbranch_execz .LBB653_295
; %bb.294:                              ;   in Loop: Header=BB653_213 Depth=1
	v_and_b32_e32 v56, 7, v40
	v_ffbh_u32_e32 v62, v56
	v_min_u32_e32 v65, 32, v62
	v_subrev_u32_e32 v62, 28, v65
	v_lshlrev_b64 v[62:63], v62, v[40:41]
	v_lshrrev_b32_e32 v64, 3, v42
	v_sub_u32_e32 v40, 29, v65
	v_and_b32_e32 v62, 7, v62
	v_cmp_gt_u32_e32 vcc, 8, v42
	v_cndmask_b32_e32 v40, v64, v40, vcc
	v_cndmask_b32_e32 v42, v56, v62, vcc
	v_lshlrev_b32_e32 v56, 16, v38
	v_lshlrev_b32_e32 v42, 20, v42
	v_and_b32_e32 v56, 0x80000000, v56
	v_lshl_add_u32 v40, v40, 23, v45
	v_or3_b32 v62, v56, v40, v42
.LBB653_295:                            ;   in Loop: Header=BB653_213 Depth=1
	s_or_b64 exec, exec, s[16:17]
.LBB653_296:                            ;   in Loop: Header=BB653_213 Depth=1
	s_or_b64 exec, exec, s[14:15]
.LBB653_297:                            ;   in Loop: Header=BB653_213 Depth=1
	s_or_b64 exec, exec, s[12:13]
	v_lshrrev_b32_e32 v40, 16, v38
	v_cmp_ne_u16_sdwa s[14:15], v40, v43 src0_sel:BYTE_0 src1_sel:DWORD
	s_and_saveexec_b64 s[12:13], s[14:15]
	s_cbranch_execz .LBB653_303
; %bb.298:                              ;   in Loop: Header=BB653_213 Depth=1
	v_cmp_ne_u16_sdwa s[16:17], v40, s9 src0_sel:BYTE_0 src1_sel:DWORD
	v_bfrev_b32_e32 v61, 1
	s_and_saveexec_b64 s[14:15], s[16:17]
	s_cbranch_execz .LBB653_302
; %bb.299:                              ;   in Loop: Header=BB653_213 Depth=1
	v_bfe_u32 v42, v38, 16, 7
	v_cmp_ne_u32_e32 vcc, s19, v42
	v_mov_b32_e32 v61, 0x7f800001
	s_and_saveexec_b64 s[16:17], vcc
	s_cbranch_execz .LBB653_301
; %bb.300:                              ;   in Loop: Header=BB653_213 Depth=1
	v_and_b32_e32 v56, 7, v40
	v_ffbh_u32_e32 v63, v56
	v_min_u32_e32 v63, 32, v63
	v_subrev_u32_e32 v64, 28, v63
	v_lshlrev_b64 v[64:65], v64, v[40:41]
	v_lshrrev_b32_e32 v61, 3, v42
	v_sub_u32_e32 v63, 29, v63
	v_and_b32_e32 v64, 7, v64
	v_cmp_gt_u32_e32 vcc, 8, v42
	v_cndmask_b32_e32 v42, v61, v63, vcc
	v_cndmask_b32_e32 v56, v56, v64, vcc
	v_lshlrev_b32_e32 v40, 24, v40
	v_lshlrev_b32_e32 v56, 20, v56
	v_and_b32_e32 v40, 0x80000000, v40
	v_lshl_add_u32 v42, v42, 23, v45
	v_or3_b32 v61, v40, v42, v56
.LBB653_301:                            ;   in Loop: Header=BB653_213 Depth=1
	s_or_b64 exec, exec, s[16:17]
.LBB653_302:                            ;   in Loop: Header=BB653_213 Depth=1
	s_or_b64 exec, exec, s[14:15]
.LBB653_303:                            ;   in Loop: Header=BB653_213 Depth=1
	s_or_b64 exec, exec, s[12:13]
	v_cmp_lt_u32_e32 vcc, s20, v38
	v_mov_b32_e32 v56, 0
	v_mov_b32_e32 v63, 0
	s_and_saveexec_b64 s[12:13], vcc
	s_cbranch_execz .LBB653_309
; %bb.304:                              ;   in Loop: Header=BB653_213 Depth=1
	v_lshrrev_b32_e32 v40, 24, v38
	v_cmp_ne_u32_e32 vcc, s9, v40
	v_bfrev_b32_e32 v63, 1
	s_and_saveexec_b64 s[14:15], vcc
	s_cbranch_execz .LBB653_308
; %bb.305:                              ;   in Loop: Header=BB653_213 Depth=1
	v_bfe_u32 v38, v38, 24, 7
	v_cmp_ne_u32_e32 vcc, s19, v38
	v_mov_b32_e32 v63, 0x7f800001
	s_and_saveexec_b64 s[16:17], vcc
	s_cbranch_execz .LBB653_307
; %bb.306:                              ;   in Loop: Header=BB653_213 Depth=1
	v_and_b32_e32 v42, 7, v40
	v_ffbh_u32_e32 v64, v42
	v_min_u32_e32 v66, 32, v64
	v_subrev_u32_e32 v64, 28, v66
	v_lshlrev_b64 v[64:65], v64, v[40:41]
	v_lshrrev_b32_e32 v63, 3, v38
	v_sub_u32_e32 v65, 29, v66
	v_and_b32_e32 v64, 7, v64
	v_cmp_gt_u32_e32 vcc, 8, v38
	v_cndmask_b32_e32 v38, v63, v65, vcc
	v_cndmask_b32_e32 v42, v42, v64, vcc
	v_lshlrev_b32_e32 v40, 24, v40
	v_lshlrev_b32_e32 v42, 20, v42
	v_and_b32_e32 v40, 0x80000000, v40
	v_lshl_add_u32 v38, v38, 23, v45
	v_or3_b32 v63, v40, v38, v42
.LBB653_307:                            ;   in Loop: Header=BB653_213 Depth=1
	s_or_b64 exec, exec, s[16:17]
.LBB653_308:                            ;   in Loop: Header=BB653_213 Depth=1
	s_or_b64 exec, exec, s[14:15]
.LBB653_309:                            ;   in Loop: Header=BB653_213 Depth=1
	s_or_b64 exec, exec, s[12:13]
	v_cvt_pkrtz_f16_f32 v65, v44, v60
	buffer_load_dword v44, v46, s[0:3], 0 offen
	buffer_load_dword v42, v46, s[0:3], 0 offen offset:4
	buffer_load_dword v40, v46, s[0:3], 0 offen offset:8
	;; [unrolled: 1-line block ×3, first 2 shown]
	v_cvt_pkrtz_f16_f32 v64, v57, v58
	v_cvt_pkrtz_f16_f32 v58, v59, v62
	;; [unrolled: 1-line block ×3, first 2 shown]
	v_mfma_f32_16x16x16f16 v[34:37], v[64:65], v[6:7], v[34:37]
	s_waitcnt vmcnt(3)
	v_cmp_ne_u16_sdwa s[14:15], v44, v43 src0_sel:BYTE_0 src1_sel:DWORD
	v_mfma_f32_16x16x16f16 v[34:37], v[58:59], v[8:9], v[34:37]
	s_and_saveexec_b64 s[12:13], s[14:15]
	s_cbranch_execz .LBB653_315
; %bb.310:                              ;   in Loop: Header=BB653_213 Depth=1
	v_cmp_ne_u16_sdwa s[16:17], v44, s9 src0_sel:BYTE_0 src1_sel:DWORD
	v_bfrev_b32_e32 v56, 1
	s_and_saveexec_b64 s[14:15], s[16:17]
	s_cbranch_execz .LBB653_314
; %bb.311:                              ;   in Loop: Header=BB653_213 Depth=1
	v_and_b32_e32 v46, 0x7f, v44
	v_cmp_ne_u32_e32 vcc, s19, v46
	v_mov_b32_e32 v56, 0x7f800001
	s_and_saveexec_b64 s[16:17], vcc
	s_cbranch_execz .LBB653_313
; %bb.312:                              ;   in Loop: Header=BB653_213 Depth=1
	v_and_b32_e32 v58, 7, v44
	v_ffbh_u32_e32 v56, v58
	v_min_u32_e32 v60, 32, v56
	v_subrev_u32_e32 v56, 28, v60
	v_lshlrev_b64 v[56:57], v56, v[44:45]
	v_lshrrev_b32_e32 v59, 3, v46
	v_sub_u32_e32 v57, 29, v60
	v_and_b32_e32 v56, 7, v56
	v_cmp_gt_u32_e32 vcc, 8, v46
	v_cndmask_b32_e32 v46, v59, v57, vcc
	v_cndmask_b32_e32 v56, v58, v56, vcc
	v_lshlrev_b32_e32 v57, 24, v44
	v_lshlrev_b32_e32 v56, 20, v56
	v_and_b32_e32 v57, 0x80000000, v57
	v_lshl_add_u32 v46, v46, 23, v45
	v_or3_b32 v56, v57, v46, v56
.LBB653_313:                            ;   in Loop: Header=BB653_213 Depth=1
	s_or_b64 exec, exec, s[16:17]
.LBB653_314:                            ;   in Loop: Header=BB653_213 Depth=1
	s_or_b64 exec, exec, s[14:15]
.LBB653_315:                            ;   in Loop: Header=BB653_213 Depth=1
	s_or_b64 exec, exec, s[12:13]
	v_lshrrev_b16_e32 v46, 8, v44
	v_cmp_ne_u16_e32 vcc, 0, v46
	v_mov_b32_e32 v57, 0
	v_mov_b32_e32 v58, 0
	s_and_saveexec_b64 s[12:13], vcc
	s_cbranch_execz .LBB653_321
; %bb.316:                              ;   in Loop: Header=BB653_213 Depth=1
	v_cmp_ne_u16_e32 vcc, s9, v46
	v_bfrev_b32_e32 v58, 1
	s_and_saveexec_b64 s[14:15], vcc
	s_cbranch_execz .LBB653_320
; %bb.317:                              ;   in Loop: Header=BB653_213 Depth=1
	v_and_b32_e32 v59, 0x7f, v46
	v_cmp_ne_u32_e32 vcc, s19, v59
	v_mov_b32_e32 v58, 0x7f800001
	s_and_saveexec_b64 s[16:17], vcc
	s_cbranch_execz .LBB653_319
; %bb.318:                              ;   in Loop: Header=BB653_213 Depth=1
	v_and_b32_e32 v58, 7, v46
	v_ffbh_u32_e32 v60, v58
	v_min_u32_e32 v63, 32, v60
	v_subrev_u32_e32 v60, 28, v63
	v_lshlrev_b64 v[60:61], v60, v[46:47]
	v_lshrrev_b32_e32 v62, 3, v59
	v_sub_u32_e32 v46, 29, v63
	v_and_b32_e32 v60, 7, v60
	v_cmp_gt_u32_e32 vcc, 8, v59
	v_cndmask_b32_e32 v46, v62, v46, vcc
	v_cndmask_b32_e32 v58, v58, v60, vcc
	v_lshlrev_b32_e32 v59, 16, v44
	v_lshlrev_b32_e32 v58, 20, v58
	v_and_b32_e32 v59, 0x80000000, v59
	v_lshl_add_u32 v46, v46, 23, v45
	v_or3_b32 v58, v59, v46, v58
.LBB653_319:                            ;   in Loop: Header=BB653_213 Depth=1
	s_or_b64 exec, exec, s[16:17]
.LBB653_320:                            ;   in Loop: Header=BB653_213 Depth=1
	s_or_b64 exec, exec, s[14:15]
.LBB653_321:                            ;   in Loop: Header=BB653_213 Depth=1
	s_or_b64 exec, exec, s[12:13]
	v_lshrrev_b32_e32 v46, 16, v44
	v_cmp_ne_u16_sdwa s[14:15], v46, v43 src0_sel:BYTE_0 src1_sel:DWORD
	s_and_saveexec_b64 s[12:13], s[14:15]
	s_cbranch_execz .LBB653_327
; %bb.322:                              ;   in Loop: Header=BB653_213 Depth=1
	v_cmp_ne_u16_sdwa s[16:17], v46, s9 src0_sel:BYTE_0 src1_sel:DWORD
	v_bfrev_b32_e32 v57, 1
	s_and_saveexec_b64 s[14:15], s[16:17]
	s_cbranch_execz .LBB653_326
; %bb.323:                              ;   in Loop: Header=BB653_213 Depth=1
	v_bfe_u32 v59, v44, 16, 7
	v_cmp_ne_u32_e32 vcc, s19, v59
	v_mov_b32_e32 v57, 0x7f800001
	s_and_saveexec_b64 s[16:17], vcc
	s_cbranch_execz .LBB653_325
; %bb.324:                              ;   in Loop: Header=BB653_213 Depth=1
	v_and_b32_e32 v57, 7, v46
	v_ffbh_u32_e32 v60, v57
	v_min_u32_e32 v63, 32, v60
	v_subrev_u32_e32 v60, 28, v63
	v_lshlrev_b64 v[60:61], v60, v[46:47]
	v_lshrrev_b32_e32 v62, 3, v59
	v_sub_u32_e32 v61, 29, v63
	v_and_b32_e32 v60, 7, v60
	v_cmp_gt_u32_e32 vcc, 8, v59
	v_cndmask_b32_e32 v59, v62, v61, vcc
	v_cndmask_b32_e32 v57, v57, v60, vcc
	v_lshlrev_b32_e32 v46, 24, v46
	v_lshlrev_b32_e32 v57, 20, v57
	v_and_b32_e32 v46, 0x80000000, v46
	v_lshl_add_u32 v59, v59, 23, v45
	v_or3_b32 v57, v46, v59, v57
.LBB653_325:                            ;   in Loop: Header=BB653_213 Depth=1
	s_or_b64 exec, exec, s[16:17]
.LBB653_326:                            ;   in Loop: Header=BB653_213 Depth=1
	s_or_b64 exec, exec, s[14:15]
.LBB653_327:                            ;   in Loop: Header=BB653_213 Depth=1
	s_or_b64 exec, exec, s[12:13]
	v_cmp_lt_u32_e32 vcc, s20, v44
	v_mov_b32_e32 v59, 0
	v_mov_b32_e32 v60, 0
	s_and_saveexec_b64 s[12:13], vcc
	s_cbranch_execz .LBB653_333
; %bb.328:                              ;   in Loop: Header=BB653_213 Depth=1
	v_lshrrev_b32_e32 v46, 24, v44
	v_cmp_ne_u32_e32 vcc, s9, v46
	v_bfrev_b32_e32 v60, 1
	s_and_saveexec_b64 s[14:15], vcc
	s_cbranch_execz .LBB653_332
; %bb.329:                              ;   in Loop: Header=BB653_213 Depth=1
	v_bfe_u32 v44, v44, 24, 7
	v_cmp_ne_u32_e32 vcc, s19, v44
	v_mov_b32_e32 v60, 0x7f800001
	s_and_saveexec_b64 s[16:17], vcc
	s_cbranch_execz .LBB653_331
; %bb.330:                              ;   in Loop: Header=BB653_213 Depth=1
	v_and_b32_e32 v62, 7, v46
	v_ffbh_u32_e32 v60, v62
	v_min_u32_e32 v64, 32, v60
	v_subrev_u32_e32 v60, 28, v64
	v_lshlrev_b64 v[60:61], v60, v[46:47]
	v_lshrrev_b32_e32 v63, 3, v44
	v_sub_u32_e32 v61, 29, v64
	v_and_b32_e32 v60, 7, v60
	v_cmp_gt_u32_e32 vcc, 8, v44
	v_cndmask_b32_e32 v44, v63, v61, vcc
	v_cndmask_b32_e32 v60, v62, v60, vcc
	v_lshlrev_b32_e32 v46, 24, v46
	v_lshlrev_b32_e32 v60, 20, v60
	v_and_b32_e32 v46, 0x80000000, v46
	v_lshl_add_u32 v44, v44, 23, v45
	v_or3_b32 v60, v46, v44, v60
.LBB653_331:                            ;   in Loop: Header=BB653_213 Depth=1
	s_or_b64 exec, exec, s[16:17]
.LBB653_332:                            ;   in Loop: Header=BB653_213 Depth=1
	s_or_b64 exec, exec, s[14:15]
.LBB653_333:                            ;   in Loop: Header=BB653_213 Depth=1
	s_or_b64 exec, exec, s[12:13]
	s_waitcnt vmcnt(2)
	v_cmp_ne_u16_sdwa s[14:15], v42, v43 src0_sel:BYTE_0 src1_sel:DWORD
	s_and_saveexec_b64 s[12:13], s[14:15]
	s_cbranch_execz .LBB653_339
; %bb.334:                              ;   in Loop: Header=BB653_213 Depth=1
	v_cmp_ne_u16_sdwa s[16:17], v42, s9 src0_sel:BYTE_0 src1_sel:DWORD
	v_bfrev_b32_e32 v59, 1
	s_and_saveexec_b64 s[14:15], s[16:17]
	s_cbranch_execz .LBB653_338
; %bb.335:                              ;   in Loop: Header=BB653_213 Depth=1
	v_and_b32_e32 v44, 0x7f, v42
	v_cmp_ne_u32_e32 vcc, s19, v44
	v_mov_b32_e32 v59, 0x7f800001
	s_and_saveexec_b64 s[16:17], vcc
	s_cbranch_execz .LBB653_337
; %bb.336:                              ;   in Loop: Header=BB653_213 Depth=1
	v_and_b32_e32 v46, 7, v42
	v_ffbh_u32_e32 v61, v46
	v_min_u32_e32 v61, 32, v61
	v_subrev_u32_e32 v62, 28, v61
	v_lshlrev_b64 v[62:63], v62, v[42:43]
	v_lshrrev_b32_e32 v59, 3, v44
	v_sub_u32_e32 v61, 29, v61
	v_and_b32_e32 v62, 7, v62
	v_cmp_gt_u32_e32 vcc, 8, v44
	v_cndmask_b32_e32 v44, v59, v61, vcc
	v_cndmask_b32_e32 v46, v46, v62, vcc
	v_lshlrev_b32_e32 v59, 24, v42
	v_lshlrev_b32_e32 v46, 20, v46
	v_and_b32_e32 v59, 0x80000000, v59
	v_lshl_add_u32 v44, v44, 23, v45
	v_or3_b32 v59, v59, v44, v46
.LBB653_337:                            ;   in Loop: Header=BB653_213 Depth=1
	s_or_b64 exec, exec, s[16:17]
.LBB653_338:                            ;   in Loop: Header=BB653_213 Depth=1
	s_or_b64 exec, exec, s[14:15]
.LBB653_339:                            ;   in Loop: Header=BB653_213 Depth=1
	s_or_b64 exec, exec, s[12:13]
	v_lshrrev_b16_e32 v44, 8, v42
	v_cmp_ne_u16_e32 vcc, 0, v44
	v_mov_b32_e32 v61, 0
	v_mov_b32_e32 v62, 0
	s_and_saveexec_b64 s[12:13], vcc
	s_cbranch_execz .LBB653_345
; %bb.340:                              ;   in Loop: Header=BB653_213 Depth=1
	v_cmp_ne_u16_e32 vcc, s9, v44
	v_bfrev_b32_e32 v62, 1
	s_and_saveexec_b64 s[14:15], vcc
	s_cbranch_execz .LBB653_344
; %bb.341:                              ;   in Loop: Header=BB653_213 Depth=1
	v_and_b32_e32 v46, 0x7f, v44
	v_cmp_ne_u32_e32 vcc, s19, v46
	v_mov_b32_e32 v62, 0x7f800001
	s_and_saveexec_b64 s[16:17], vcc
	s_cbranch_execz .LBB653_343
; %bb.342:                              ;   in Loop: Header=BB653_213 Depth=1
	v_and_b32_e32 v64, 7, v44
	v_ffbh_u32_e32 v62, v64
	v_min_u32_e32 v66, 32, v62
	v_subrev_u32_e32 v62, 28, v66
	v_lshlrev_b64 v[62:63], v62, v[44:45]
	v_lshrrev_b32_e32 v65, 3, v46
	v_sub_u32_e32 v44, 29, v66
	v_and_b32_e32 v62, 7, v62
	v_cmp_gt_u32_e32 vcc, 8, v46
	v_cndmask_b32_e32 v44, v65, v44, vcc
	v_cndmask_b32_e32 v46, v64, v62, vcc
	v_lshlrev_b32_e32 v62, 16, v42
	v_lshlrev_b32_e32 v46, 20, v46
	v_and_b32_e32 v62, 0x80000000, v62
	v_lshl_add_u32 v44, v44, 23, v45
	v_or3_b32 v62, v62, v44, v46
.LBB653_343:                            ;   in Loop: Header=BB653_213 Depth=1
	s_or_b64 exec, exec, s[16:17]
.LBB653_344:                            ;   in Loop: Header=BB653_213 Depth=1
	s_or_b64 exec, exec, s[14:15]
.LBB653_345:                            ;   in Loop: Header=BB653_213 Depth=1
	s_or_b64 exec, exec, s[12:13]
	v_lshrrev_b32_e32 v44, 16, v42
	v_cmp_ne_u16_sdwa s[14:15], v44, v43 src0_sel:BYTE_0 src1_sel:DWORD
	s_and_saveexec_b64 s[12:13], s[14:15]
	s_cbranch_execz .LBB653_351
; %bb.346:                              ;   in Loop: Header=BB653_213 Depth=1
	v_cmp_ne_u16_sdwa s[16:17], v44, s9 src0_sel:BYTE_0 src1_sel:DWORD
	v_bfrev_b32_e32 v61, 1
	s_and_saveexec_b64 s[14:15], s[16:17]
	s_cbranch_execz .LBB653_350
; %bb.347:                              ;   in Loop: Header=BB653_213 Depth=1
	v_bfe_u32 v46, v42, 16, 7
	v_cmp_ne_u32_e32 vcc, s19, v46
	v_mov_b32_e32 v61, 0x7f800001
	s_and_saveexec_b64 s[16:17], vcc
	s_cbranch_execz .LBB653_349
; %bb.348:                              ;   in Loop: Header=BB653_213 Depth=1
	v_and_b32_e32 v61, 7, v44
	v_ffbh_u32_e32 v64, v61
	v_min_u32_e32 v66, 32, v64
	v_subrev_u32_e32 v64, 28, v66
	v_lshlrev_b64 v[64:65], v64, v[44:45]
	v_lshrrev_b32_e32 v63, 3, v46
	v_sub_u32_e32 v65, 29, v66
	v_and_b32_e32 v64, 7, v64
	v_cmp_gt_u32_e32 vcc, 8, v46
	v_cndmask_b32_e32 v46, v63, v65, vcc
	v_cndmask_b32_e32 v61, v61, v64, vcc
	v_lshlrev_b32_e32 v44, 24, v44
	v_lshlrev_b32_e32 v61, 20, v61
	v_and_b32_e32 v44, 0x80000000, v44
	v_lshl_add_u32 v46, v46, 23, v45
	v_or3_b32 v61, v44, v46, v61
.LBB653_349:                            ;   in Loop: Header=BB653_213 Depth=1
	s_or_b64 exec, exec, s[16:17]
.LBB653_350:                            ;   in Loop: Header=BB653_213 Depth=1
	s_or_b64 exec, exec, s[14:15]
.LBB653_351:                            ;   in Loop: Header=BB653_213 Depth=1
	s_or_b64 exec, exec, s[12:13]
	v_cmp_lt_u32_e32 vcc, s20, v42
	v_mov_b32_e32 v46, 0
	v_mov_b32_e32 v63, 0
	s_and_saveexec_b64 s[12:13], vcc
	s_cbranch_execz .LBB653_357
; %bb.352:                              ;   in Loop: Header=BB653_213 Depth=1
	v_lshrrev_b32_e32 v44, 24, v42
	v_cmp_ne_u32_e32 vcc, s9, v44
	v_bfrev_b32_e32 v63, 1
	s_and_saveexec_b64 s[14:15], vcc
	s_cbranch_execz .LBB653_356
; %bb.353:                              ;   in Loop: Header=BB653_213 Depth=1
	v_bfe_u32 v42, v42, 24, 7
	v_cmp_ne_u32_e32 vcc, s19, v42
	v_mov_b32_e32 v63, 0x7f800001
	s_and_saveexec_b64 s[16:17], vcc
	s_cbranch_execz .LBB653_355
; %bb.354:                              ;   in Loop: Header=BB653_213 Depth=1
	v_and_b32_e32 v63, 7, v44
	v_ffbh_u32_e32 v64, v63
	v_min_u32_e32 v67, 32, v64
	v_subrev_u32_e32 v64, 28, v67
	v_lshlrev_b64 v[64:65], v64, v[44:45]
	v_lshrrev_b32_e32 v66, 3, v42
	v_sub_u32_e32 v65, 29, v67
	v_and_b32_e32 v64, 7, v64
	v_cmp_gt_u32_e32 vcc, 8, v42
	v_cndmask_b32_e32 v42, v66, v65, vcc
	v_cndmask_b32_e32 v63, v63, v64, vcc
	v_lshlrev_b32_e32 v44, 24, v44
	v_lshlrev_b32_e32 v63, 20, v63
	v_and_b32_e32 v44, 0x80000000, v44
	v_lshl_add_u32 v42, v42, 23, v45
	v_or3_b32 v63, v44, v42, v63
.LBB653_355:                            ;   in Loop: Header=BB653_213 Depth=1
	s_or_b64 exec, exec, s[16:17]
.LBB653_356:                            ;   in Loop: Header=BB653_213 Depth=1
	s_or_b64 exec, exec, s[14:15]
.LBB653_357:                            ;   in Loop: Header=BB653_213 Depth=1
	s_or_b64 exec, exec, s[12:13]
	v_cvt_pkrtz_f16_f32 v56, v56, v58
	v_cvt_pkrtz_f16_f32 v57, v57, v60
	s_waitcnt vmcnt(1)
	v_cmp_ne_u16_sdwa s[14:15], v40, v43 src0_sel:BYTE_0 src1_sel:DWORD
	v_mfma_f32_16x16x16f16 v[34:37], v[56:57], v[10:11], v[34:37]
	v_cvt_pkrtz_f16_f32 v56, v59, v62
	v_cvt_pkrtz_f16_f32 v57, v61, v63
	s_nop 1
	v_mfma_f32_16x16x16f16 v[34:37], v[56:57], v[12:13], v[34:37]
	s_and_saveexec_b64 s[12:13], s[14:15]
	s_cbranch_execz .LBB653_363
; %bb.358:                              ;   in Loop: Header=BB653_213 Depth=1
	v_cmp_ne_u16_sdwa s[16:17], v40, s9 src0_sel:BYTE_0 src1_sel:DWORD
	v_bfrev_b32_e32 v46, 1
	s_and_saveexec_b64 s[14:15], s[16:17]
	s_cbranch_execz .LBB653_362
; %bb.359:                              ;   in Loop: Header=BB653_213 Depth=1
	v_and_b32_e32 v42, 0x7f, v40
	v_cmp_ne_u32_e32 vcc, s19, v42
	v_mov_b32_e32 v46, 0x7f800001
	s_and_saveexec_b64 s[16:17], vcc
	s_cbranch_execz .LBB653_361
; %bb.360:                              ;   in Loop: Header=BB653_213 Depth=1
	v_and_b32_e32 v44, 7, v40
	v_ffbh_u32_e32 v56, v44
	v_min_u32_e32 v58, 32, v56
	v_subrev_u32_e32 v56, 28, v58
	v_lshlrev_b64 v[56:57], v56, v[40:41]
	v_lshrrev_b32_e32 v46, 3, v42
	v_sub_u32_e32 v57, 29, v58
	v_and_b32_e32 v56, 7, v56
	v_cmp_gt_u32_e32 vcc, 8, v42
	v_cndmask_b32_e32 v42, v46, v57, vcc
	v_cndmask_b32_e32 v44, v44, v56, vcc
	v_lshlrev_b32_e32 v46, 24, v40
	v_lshlrev_b32_e32 v44, 20, v44
	v_and_b32_e32 v46, 0x80000000, v46
	v_lshl_add_u32 v42, v42, 23, v45
	v_or3_b32 v46, v46, v42, v44
.LBB653_361:                            ;   in Loop: Header=BB653_213 Depth=1
	s_or_b64 exec, exec, s[16:17]
.LBB653_362:                            ;   in Loop: Header=BB653_213 Depth=1
	s_or_b64 exec, exec, s[14:15]
.LBB653_363:                            ;   in Loop: Header=BB653_213 Depth=1
	s_or_b64 exec, exec, s[12:13]
	v_lshrrev_b16_e32 v42, 8, v40
	v_cmp_ne_u16_e32 vcc, 0, v42
	v_mov_b32_e32 v44, 0
	v_mov_b32_e32 v57, 0
	s_and_saveexec_b64 s[12:13], vcc
	s_cbranch_execz .LBB653_369
; %bb.364:                              ;   in Loop: Header=BB653_213 Depth=1
	v_cmp_ne_u16_e32 vcc, s9, v42
	v_bfrev_b32_e32 v57, 1
	s_and_saveexec_b64 s[14:15], vcc
	s_cbranch_execz .LBB653_368
; %bb.365:                              ;   in Loop: Header=BB653_213 Depth=1
	v_and_b32_e32 v56, 0x7f, v42
	v_cmp_ne_u32_e32 vcc, s19, v56
	v_mov_b32_e32 v57, 0x7f800001
	s_and_saveexec_b64 s[16:17], vcc
	s_cbranch_execz .LBB653_367
; %bb.366:                              ;   in Loop: Header=BB653_213 Depth=1
	v_and_b32_e32 v57, 7, v42
	v_ffbh_u32_e32 v58, v57
	v_min_u32_e32 v61, 32, v58
	v_subrev_u32_e32 v58, 28, v61
	v_lshlrev_b64 v[58:59], v58, v[42:43]
	v_lshrrev_b32_e32 v60, 3, v56
	v_sub_u32_e32 v42, 29, v61
	v_and_b32_e32 v58, 7, v58
	v_cmp_gt_u32_e32 vcc, 8, v56
	v_cndmask_b32_e32 v42, v60, v42, vcc
	v_cndmask_b32_e32 v56, v57, v58, vcc
	v_lshlrev_b32_e32 v57, 16, v40
	v_lshlrev_b32_e32 v56, 20, v56
	v_and_b32_e32 v57, 0x80000000, v57
	v_lshl_add_u32 v42, v42, 23, v45
	v_or3_b32 v57, v57, v42, v56
.LBB653_367:                            ;   in Loop: Header=BB653_213 Depth=1
	s_or_b64 exec, exec, s[16:17]
.LBB653_368:                            ;   in Loop: Header=BB653_213 Depth=1
	s_or_b64 exec, exec, s[14:15]
.LBB653_369:                            ;   in Loop: Header=BB653_213 Depth=1
	s_or_b64 exec, exec, s[12:13]
	v_lshrrev_b32_e32 v42, 16, v40
	v_cmp_ne_u16_sdwa s[14:15], v42, v43 src0_sel:BYTE_0 src1_sel:DWORD
	s_and_saveexec_b64 s[12:13], s[14:15]
	s_cbranch_execz .LBB653_375
; %bb.370:                              ;   in Loop: Header=BB653_213 Depth=1
	v_cmp_ne_u16_sdwa s[16:17], v42, s9 src0_sel:BYTE_0 src1_sel:DWORD
	v_bfrev_b32_e32 v44, 1
	s_and_saveexec_b64 s[14:15], s[16:17]
	s_cbranch_execz .LBB653_374
; %bb.371:                              ;   in Loop: Header=BB653_213 Depth=1
	v_bfe_u32 v56, v40, 16, 7
	v_cmp_ne_u32_e32 vcc, s19, v56
	v_mov_b32_e32 v44, 0x7f800001
	s_and_saveexec_b64 s[16:17], vcc
	s_cbranch_execz .LBB653_373
; %bb.372:                              ;   in Loop: Header=BB653_213 Depth=1
	v_and_b32_e32 v44, 7, v42
	v_ffbh_u32_e32 v58, v44
	v_min_u32_e32 v61, 32, v58
	v_subrev_u32_e32 v58, 28, v61
	v_lshlrev_b64 v[58:59], v58, v[42:43]
	v_lshrrev_b32_e32 v60, 3, v56
	v_sub_u32_e32 v59, 29, v61
	v_and_b32_e32 v58, 7, v58
	v_cmp_gt_u32_e32 vcc, 8, v56
	v_cndmask_b32_e32 v56, v60, v59, vcc
	v_cndmask_b32_e32 v44, v44, v58, vcc
	v_lshlrev_b32_e32 v42, 24, v42
	v_lshlrev_b32_e32 v44, 20, v44
	v_and_b32_e32 v42, 0x80000000, v42
	v_lshl_add_u32 v56, v56, 23, v45
	v_or3_b32 v44, v42, v56, v44
.LBB653_373:                            ;   in Loop: Header=BB653_213 Depth=1
	s_or_b64 exec, exec, s[16:17]
.LBB653_374:                            ;   in Loop: Header=BB653_213 Depth=1
	s_or_b64 exec, exec, s[14:15]
.LBB653_375:                            ;   in Loop: Header=BB653_213 Depth=1
	s_or_b64 exec, exec, s[12:13]
	v_cmp_lt_u32_e32 vcc, s20, v40
	v_mov_b32_e32 v58, 0
	v_mov_b32_e32 v59, 0
	s_and_saveexec_b64 s[12:13], vcc
	s_cbranch_execz .LBB653_381
; %bb.376:                              ;   in Loop: Header=BB653_213 Depth=1
	v_lshrrev_b32_e32 v42, 24, v40
	v_cmp_ne_u32_e32 vcc, s9, v42
	v_bfrev_b32_e32 v59, 1
	s_and_saveexec_b64 s[14:15], vcc
	s_cbranch_execz .LBB653_380
; %bb.377:                              ;   in Loop: Header=BB653_213 Depth=1
	v_bfe_u32 v40, v40, 24, 7
	v_cmp_ne_u32_e32 vcc, s19, v40
	v_mov_b32_e32 v59, 0x7f800001
	s_and_saveexec_b64 s[16:17], vcc
	s_cbranch_execz .LBB653_379
; %bb.378:                              ;   in Loop: Header=BB653_213 Depth=1
	v_and_b32_e32 v56, 7, v42
	v_ffbh_u32_e32 v60, v56
	v_min_u32_e32 v62, 32, v60
	v_subrev_u32_e32 v60, 28, v62
	v_lshlrev_b64 v[60:61], v60, v[42:43]
	v_lshrrev_b32_e32 v59, 3, v40
	v_sub_u32_e32 v61, 29, v62
	v_and_b32_e32 v60, 7, v60
	v_cmp_gt_u32_e32 vcc, 8, v40
	v_cndmask_b32_e32 v40, v59, v61, vcc
	v_cndmask_b32_e32 v56, v56, v60, vcc
	v_lshlrev_b32_e32 v42, 24, v42
	v_lshlrev_b32_e32 v56, 20, v56
	v_and_b32_e32 v42, 0x80000000, v42
	v_lshl_add_u32 v40, v40, 23, v45
	v_or3_b32 v59, v42, v40, v56
.LBB653_379:                            ;   in Loop: Header=BB653_213 Depth=1
	s_or_b64 exec, exec, s[16:17]
.LBB653_380:                            ;   in Loop: Header=BB653_213 Depth=1
	s_or_b64 exec, exec, s[14:15]
.LBB653_381:                            ;   in Loop: Header=BB653_213 Depth=1
	s_or_b64 exec, exec, s[12:13]
	s_waitcnt vmcnt(0)
	v_cmp_ne_u16_sdwa s[14:15], v38, v43 src0_sel:BYTE_0 src1_sel:DWORD
	s_and_saveexec_b64 s[12:13], s[14:15]
	s_cbranch_execz .LBB653_387
; %bb.382:                              ;   in Loop: Header=BB653_213 Depth=1
	v_cmp_ne_u16_sdwa s[16:17], v38, s9 src0_sel:BYTE_0 src1_sel:DWORD
	v_bfrev_b32_e32 v58, 1
	s_and_saveexec_b64 s[14:15], s[16:17]
	s_cbranch_execz .LBB653_386
; %bb.383:                              ;   in Loop: Header=BB653_213 Depth=1
	v_and_b32_e32 v40, 0x7f, v38
	v_cmp_ne_u32_e32 vcc, s19, v40
	v_mov_b32_e32 v58, 0x7f800001
	s_and_saveexec_b64 s[16:17], vcc
	s_cbranch_execz .LBB653_385
; %bb.384:                              ;   in Loop: Header=BB653_213 Depth=1
	v_and_b32_e32 v42, 7, v38
	v_ffbh_u32_e32 v58, v42
	v_min_u32_e32 v58, 32, v58
	v_subrev_u32_e32 v60, 28, v58
	v_lshlrev_b64 v[60:61], v60, v[38:39]
	v_lshrrev_b32_e32 v56, 3, v40
	v_sub_u32_e32 v58, 29, v58
	v_and_b32_e32 v60, 7, v60
	v_cmp_gt_u32_e32 vcc, 8, v40
	v_cndmask_b32_e32 v40, v56, v58, vcc
	v_cndmask_b32_e32 v42, v42, v60, vcc
	v_lshlrev_b32_e32 v56, 24, v38
	v_lshlrev_b32_e32 v42, 20, v42
	v_and_b32_e32 v56, 0x80000000, v56
	v_lshl_add_u32 v40, v40, 23, v45
	v_or3_b32 v58, v56, v40, v42
.LBB653_385:                            ;   in Loop: Header=BB653_213 Depth=1
	s_or_b64 exec, exec, s[16:17]
.LBB653_386:                            ;   in Loop: Header=BB653_213 Depth=1
	s_or_b64 exec, exec, s[14:15]
.LBB653_387:                            ;   in Loop: Header=BB653_213 Depth=1
	s_or_b64 exec, exec, s[12:13]
	v_lshrrev_b16_e32 v40, 8, v38
	v_cmp_ne_u16_e32 vcc, 0, v40
	v_mov_b32_e32 v60, 0
	v_mov_b32_e32 v61, 0
	s_and_saveexec_b64 s[12:13], vcc
	s_cbranch_execz .LBB653_393
; %bb.388:                              ;   in Loop: Header=BB653_213 Depth=1
	v_cmp_ne_u16_e32 vcc, s9, v40
	v_bfrev_b32_e32 v61, 1
	s_and_saveexec_b64 s[14:15], vcc
	s_cbranch_execz .LBB653_392
; %bb.389:                              ;   in Loop: Header=BB653_213 Depth=1
	v_and_b32_e32 v42, 0x7f, v40
	v_cmp_ne_u32_e32 vcc, s19, v42
	v_mov_b32_e32 v61, 0x7f800001
	s_and_saveexec_b64 s[16:17], vcc
	s_cbranch_execz .LBB653_391
; %bb.390:                              ;   in Loop: Header=BB653_213 Depth=1
	v_and_b32_e32 v56, 7, v40
	v_ffbh_u32_e32 v62, v56
	v_min_u32_e32 v64, 32, v62
	v_subrev_u32_e32 v62, 28, v64
	v_lshlrev_b64 v[62:63], v62, v[40:41]
	v_lshrrev_b32_e32 v61, 3, v42
	v_sub_u32_e32 v40, 29, v64
	v_and_b32_e32 v62, 7, v62
	v_cmp_gt_u32_e32 vcc, 8, v42
	v_cndmask_b32_e32 v40, v61, v40, vcc
	v_cndmask_b32_e32 v42, v56, v62, vcc
	v_lshlrev_b32_e32 v56, 16, v38
	v_lshlrev_b32_e32 v42, 20, v42
	v_and_b32_e32 v56, 0x80000000, v56
	v_lshl_add_u32 v40, v40, 23, v45
	v_or3_b32 v61, v56, v40, v42
.LBB653_391:                            ;   in Loop: Header=BB653_213 Depth=1
	s_or_b64 exec, exec, s[16:17]
.LBB653_392:                            ;   in Loop: Header=BB653_213 Depth=1
	s_or_b64 exec, exec, s[14:15]
.LBB653_393:                            ;   in Loop: Header=BB653_213 Depth=1
	s_or_b64 exec, exec, s[12:13]
	v_lshrrev_b32_e32 v40, 16, v38
	v_cmp_ne_u16_sdwa s[14:15], v40, v43 src0_sel:BYTE_0 src1_sel:DWORD
	s_and_saveexec_b64 s[12:13], s[14:15]
	s_cbranch_execz .LBB653_399
; %bb.394:                              ;   in Loop: Header=BB653_213 Depth=1
	v_cmp_ne_u16_sdwa s[16:17], v40, s9 src0_sel:BYTE_0 src1_sel:DWORD
	v_bfrev_b32_e32 v60, 1
	s_and_saveexec_b64 s[14:15], s[16:17]
	s_cbranch_execz .LBB653_398
; %bb.395:                              ;   in Loop: Header=BB653_213 Depth=1
	v_bfe_u32 v42, v38, 16, 7
	v_cmp_ne_u32_e32 vcc, s19, v42
	v_mov_b32_e32 v60, 0x7f800001
	s_and_saveexec_b64 s[16:17], vcc
	s_cbranch_execz .LBB653_397
; %bb.396:                              ;   in Loop: Header=BB653_213 Depth=1
	v_and_b32_e32 v56, 7, v40
	v_ffbh_u32_e32 v62, v56
	v_min_u32_e32 v64, 32, v62
	v_subrev_u32_e32 v62, 28, v64
	v_lshlrev_b64 v[62:63], v62, v[40:41]
	v_lshrrev_b32_e32 v60, 3, v42
	v_sub_u32_e32 v63, 29, v64
	v_and_b32_e32 v62, 7, v62
	v_cmp_gt_u32_e32 vcc, 8, v42
	v_cndmask_b32_e32 v42, v60, v63, vcc
	v_cndmask_b32_e32 v56, v56, v62, vcc
	v_lshlrev_b32_e32 v40, 24, v40
	v_lshlrev_b32_e32 v56, 20, v56
	v_and_b32_e32 v40, 0x80000000, v40
	v_lshl_add_u32 v42, v42, 23, v45
	v_or3_b32 v60, v40, v42, v56
.LBB653_397:                            ;   in Loop: Header=BB653_213 Depth=1
	s_or_b64 exec, exec, s[16:17]
.LBB653_398:                            ;   in Loop: Header=BB653_213 Depth=1
	s_or_b64 exec, exec, s[14:15]
.LBB653_399:                            ;   in Loop: Header=BB653_213 Depth=1
	s_or_b64 exec, exec, s[12:13]
	v_cmp_lt_u32_e32 vcc, s20, v38
	v_mov_b32_e32 v56, 0
	v_mov_b32_e32 v62, 0
	s_and_saveexec_b64 s[12:13], vcc
	s_cbranch_execz .LBB653_405
; %bb.400:                              ;   in Loop: Header=BB653_213 Depth=1
	v_lshrrev_b32_e32 v40, 24, v38
	v_cmp_ne_u32_e32 vcc, s9, v40
	v_bfrev_b32_e32 v62, 1
	s_and_saveexec_b64 s[14:15], vcc
	s_cbranch_execz .LBB653_404
; %bb.401:                              ;   in Loop: Header=BB653_213 Depth=1
	v_bfe_u32 v38, v38, 24, 7
	v_cmp_ne_u32_e32 vcc, s19, v38
	v_mov_b32_e32 v62, 0x7f800001
	s_and_saveexec_b64 s[16:17], vcc
	s_cbranch_execz .LBB653_403
; %bb.402:                              ;   in Loop: Header=BB653_213 Depth=1
	v_and_b32_e32 v42, 7, v40
	v_ffbh_u32_e32 v62, v42
	v_min_u32_e32 v65, 32, v62
	v_subrev_u32_e32 v62, 28, v65
	v_lshlrev_b64 v[62:63], v62, v[40:41]
	v_lshrrev_b32_e32 v64, 3, v38
	v_sub_u32_e32 v63, 29, v65
	v_and_b32_e32 v62, 7, v62
	v_cmp_gt_u32_e32 vcc, 8, v38
	v_cndmask_b32_e32 v38, v64, v63, vcc
	v_cndmask_b32_e32 v42, v42, v62, vcc
	v_lshlrev_b32_e32 v40, 24, v40
	v_lshlrev_b32_e32 v42, 20, v42
	v_and_b32_e32 v40, 0x80000000, v40
	v_lshl_add_u32 v38, v38, 23, v45
	v_or3_b32 v62, v40, v38, v42
.LBB653_403:                            ;   in Loop: Header=BB653_213 Depth=1
	s_or_b64 exec, exec, s[16:17]
.LBB653_404:                            ;   in Loop: Header=BB653_213 Depth=1
	s_or_b64 exec, exec, s[14:15]
.LBB653_405:                            ;   in Loop: Header=BB653_213 Depth=1
	s_or_b64 exec, exec, s[12:13]
	v_cvt_pkrtz_f16_f32 v65, v44, v59
	buffer_load_dword v44, v55, s[0:3], 0 offen
	buffer_load_dword v42, v55, s[0:3], 0 offen offset:4
	buffer_load_dword v40, v55, s[0:3], 0 offen offset:8
	;; [unrolled: 1-line block ×3, first 2 shown]
	v_cvt_pkrtz_f16_f32 v64, v46, v57
	v_cvt_pkrtz_f16_f32 v58, v58, v61
	;; [unrolled: 1-line block ×3, first 2 shown]
	v_mfma_f32_16x16x16f16 v[34:37], v[64:65], v[14:15], v[34:37]
	s_waitcnt vmcnt(3)
	v_cmp_ne_u16_sdwa s[14:15], v44, v43 src0_sel:BYTE_0 src1_sel:DWORD
	v_mfma_f32_16x16x16f16 v[34:37], v[58:59], v[16:17], v[34:37]
	s_and_saveexec_b64 s[12:13], s[14:15]
	s_cbranch_execz .LBB653_411
; %bb.406:                              ;   in Loop: Header=BB653_213 Depth=1
	v_cmp_ne_u16_sdwa s[16:17], v44, s9 src0_sel:BYTE_0 src1_sel:DWORD
	v_bfrev_b32_e32 v56, 1
	s_and_saveexec_b64 s[14:15], s[16:17]
	s_cbranch_execz .LBB653_410
; %bb.407:                              ;   in Loop: Header=BB653_213 Depth=1
	v_and_b32_e32 v46, 0x7f, v44
	v_cmp_ne_u32_e32 vcc, s19, v46
	v_mov_b32_e32 v56, 0x7f800001
	s_and_saveexec_b64 s[16:17], vcc
	s_cbranch_execz .LBB653_409
; %bb.408:                              ;   in Loop: Header=BB653_213 Depth=1
	v_and_b32_e32 v55, 7, v44
	v_ffbh_u32_e32 v56, v55
	v_min_u32_e32 v59, 32, v56
	v_subrev_u32_e32 v56, 28, v59
	v_lshlrev_b64 v[56:57], v56, v[44:45]
	v_lshrrev_b32_e32 v58, 3, v46
	v_sub_u32_e32 v57, 29, v59
	v_and_b32_e32 v56, 7, v56
	v_cmp_gt_u32_e32 vcc, 8, v46
	v_cndmask_b32_e32 v46, v58, v57, vcc
	v_cndmask_b32_e32 v55, v55, v56, vcc
	v_lshlrev_b32_e32 v56, 24, v44
	v_lshlrev_b32_e32 v55, 20, v55
	v_and_b32_e32 v56, 0x80000000, v56
	v_lshl_add_u32 v46, v46, 23, v45
	v_or3_b32 v56, v56, v46, v55
.LBB653_409:                            ;   in Loop: Header=BB653_213 Depth=1
	s_or_b64 exec, exec, s[16:17]
.LBB653_410:                            ;   in Loop: Header=BB653_213 Depth=1
	s_or_b64 exec, exec, s[14:15]
.LBB653_411:                            ;   in Loop: Header=BB653_213 Depth=1
	s_or_b64 exec, exec, s[12:13]
	v_lshrrev_b16_e32 v46, 8, v44
	v_cmp_ne_u16_e32 vcc, 0, v46
	v_mov_b32_e32 v55, 0
	v_mov_b32_e32 v57, 0
	s_and_saveexec_b64 s[12:13], vcc
	s_cbranch_execz .LBB653_417
; %bb.412:                              ;   in Loop: Header=BB653_213 Depth=1
	v_cmp_ne_u16_e32 vcc, s9, v46
	v_bfrev_b32_e32 v57, 1
	s_and_saveexec_b64 s[14:15], vcc
	s_cbranch_execz .LBB653_416
; %bb.413:                              ;   in Loop: Header=BB653_213 Depth=1
	v_and_b32_e32 v58, 0x7f, v46
	v_cmp_ne_u32_e32 vcc, s19, v58
	v_mov_b32_e32 v57, 0x7f800001
	s_and_saveexec_b64 s[16:17], vcc
	s_cbranch_execz .LBB653_415
; %bb.414:                              ;   in Loop: Header=BB653_213 Depth=1
	v_and_b32_e32 v57, 7, v46
	v_ffbh_u32_e32 v60, v57
	v_min_u32_e32 v62, 32, v60
	v_subrev_u32_e32 v60, 28, v62
	v_lshlrev_b64 v[60:61], v60, v[46:47]
	v_lshrrev_b32_e32 v59, 3, v58
	v_sub_u32_e32 v46, 29, v62
	v_and_b32_e32 v60, 7, v60
	v_cmp_gt_u32_e32 vcc, 8, v58
	v_cndmask_b32_e32 v46, v59, v46, vcc
	v_cndmask_b32_e32 v57, v57, v60, vcc
	v_lshlrev_b32_e32 v58, 16, v44
	v_lshlrev_b32_e32 v57, 20, v57
	v_and_b32_e32 v58, 0x80000000, v58
	v_lshl_add_u32 v46, v46, 23, v45
	v_or3_b32 v57, v58, v46, v57
.LBB653_415:                            ;   in Loop: Header=BB653_213 Depth=1
	s_or_b64 exec, exec, s[16:17]
.LBB653_416:                            ;   in Loop: Header=BB653_213 Depth=1
	s_or_b64 exec, exec, s[14:15]
.LBB653_417:                            ;   in Loop: Header=BB653_213 Depth=1
	s_or_b64 exec, exec, s[12:13]
	v_lshrrev_b32_e32 v46, 16, v44
	v_cmp_ne_u16_sdwa s[14:15], v46, v43 src0_sel:BYTE_0 src1_sel:DWORD
	s_and_saveexec_b64 s[12:13], s[14:15]
	s_cbranch_execz .LBB653_423
; %bb.418:                              ;   in Loop: Header=BB653_213 Depth=1
	v_cmp_ne_u16_sdwa s[16:17], v46, s9 src0_sel:BYTE_0 src1_sel:DWORD
	v_bfrev_b32_e32 v55, 1
	s_and_saveexec_b64 s[14:15], s[16:17]
	s_cbranch_execz .LBB653_422
; %bb.419:                              ;   in Loop: Header=BB653_213 Depth=1
	v_bfe_u32 v58, v44, 16, 7
	v_cmp_ne_u32_e32 vcc, s19, v58
	v_mov_b32_e32 v55, 0x7f800001
	s_and_saveexec_b64 s[16:17], vcc
	s_cbranch_execz .LBB653_421
; %bb.420:                              ;   in Loop: Header=BB653_213 Depth=1
	v_and_b32_e32 v55, 7, v46
	v_ffbh_u32_e32 v60, v55
	v_min_u32_e32 v62, 32, v60
	v_subrev_u32_e32 v60, 28, v62
	v_lshlrev_b64 v[60:61], v60, v[46:47]
	v_lshrrev_b32_e32 v59, 3, v58
	v_sub_u32_e32 v61, 29, v62
	v_and_b32_e32 v60, 7, v60
	v_cmp_gt_u32_e32 vcc, 8, v58
	v_cndmask_b32_e32 v58, v59, v61, vcc
	v_cndmask_b32_e32 v55, v55, v60, vcc
	v_lshlrev_b32_e32 v46, 24, v46
	v_lshlrev_b32_e32 v55, 20, v55
	v_and_b32_e32 v46, 0x80000000, v46
	v_lshl_add_u32 v58, v58, 23, v45
	v_or3_b32 v55, v46, v58, v55
.LBB653_421:                            ;   in Loop: Header=BB653_213 Depth=1
	s_or_b64 exec, exec, s[16:17]
.LBB653_422:                            ;   in Loop: Header=BB653_213 Depth=1
	s_or_b64 exec, exec, s[14:15]
.LBB653_423:                            ;   in Loop: Header=BB653_213 Depth=1
	s_or_b64 exec, exec, s[12:13]
	v_cmp_lt_u32_e32 vcc, s20, v44
	v_mov_b32_e32 v58, 0
	v_mov_b32_e32 v59, 0
	s_and_saveexec_b64 s[12:13], vcc
	s_cbranch_execz .LBB653_429
; %bb.424:                              ;   in Loop: Header=BB653_213 Depth=1
	v_lshrrev_b32_e32 v46, 24, v44
	v_cmp_ne_u32_e32 vcc, s9, v46
	v_bfrev_b32_e32 v59, 1
	s_and_saveexec_b64 s[14:15], vcc
	s_cbranch_execz .LBB653_428
; %bb.425:                              ;   in Loop: Header=BB653_213 Depth=1
	v_bfe_u32 v44, v44, 24, 7
	v_cmp_ne_u32_e32 vcc, s19, v44
	v_mov_b32_e32 v59, 0x7f800001
	s_and_saveexec_b64 s[16:17], vcc
	s_cbranch_execz .LBB653_427
; %bb.426:                              ;   in Loop: Header=BB653_213 Depth=1
	v_and_b32_e32 v59, 7, v46
	v_ffbh_u32_e32 v60, v59
	v_min_u32_e32 v63, 32, v60
	v_subrev_u32_e32 v60, 28, v63
	v_lshlrev_b64 v[60:61], v60, v[46:47]
	v_lshrrev_b32_e32 v62, 3, v44
	v_sub_u32_e32 v61, 29, v63
	v_and_b32_e32 v60, 7, v60
	v_cmp_gt_u32_e32 vcc, 8, v44
	v_cndmask_b32_e32 v44, v62, v61, vcc
	v_cndmask_b32_e32 v59, v59, v60, vcc
	v_lshlrev_b32_e32 v46, 24, v46
	v_lshlrev_b32_e32 v59, 20, v59
	v_and_b32_e32 v46, 0x80000000, v46
	v_lshl_add_u32 v44, v44, 23, v45
	v_or3_b32 v59, v46, v44, v59
.LBB653_427:                            ;   in Loop: Header=BB653_213 Depth=1
	s_or_b64 exec, exec, s[16:17]
.LBB653_428:                            ;   in Loop: Header=BB653_213 Depth=1
	s_or_b64 exec, exec, s[14:15]
.LBB653_429:                            ;   in Loop: Header=BB653_213 Depth=1
	s_or_b64 exec, exec, s[12:13]
	s_waitcnt vmcnt(2)
	v_cmp_ne_u16_sdwa s[14:15], v42, v43 src0_sel:BYTE_0 src1_sel:DWORD
	s_and_saveexec_b64 s[12:13], s[14:15]
	s_cbranch_execz .LBB653_435
; %bb.430:                              ;   in Loop: Header=BB653_213 Depth=1
	v_cmp_ne_u16_sdwa s[16:17], v42, s9 src0_sel:BYTE_0 src1_sel:DWORD
	v_bfrev_b32_e32 v58, 1
	s_and_saveexec_b64 s[14:15], s[16:17]
	s_cbranch_execz .LBB653_434
; %bb.431:                              ;   in Loop: Header=BB653_213 Depth=1
	v_and_b32_e32 v44, 0x7f, v42
	v_cmp_ne_u32_e32 vcc, s19, v44
	v_mov_b32_e32 v58, 0x7f800001
	s_and_saveexec_b64 s[16:17], vcc
	s_cbranch_execz .LBB653_433
; %bb.432:                              ;   in Loop: Header=BB653_213 Depth=1
	v_and_b32_e32 v46, 7, v42
	v_ffbh_u32_e32 v60, v46
	v_min_u32_e32 v62, 32, v60
	v_subrev_u32_e32 v60, 28, v62
	v_lshlrev_b64 v[60:61], v60, v[42:43]
	v_lshrrev_b32_e32 v58, 3, v44
	v_sub_u32_e32 v61, 29, v62
	v_and_b32_e32 v60, 7, v60
	v_cmp_gt_u32_e32 vcc, 8, v44
	v_cndmask_b32_e32 v44, v58, v61, vcc
	v_cndmask_b32_e32 v46, v46, v60, vcc
	v_lshlrev_b32_e32 v58, 24, v42
	v_lshlrev_b32_e32 v46, 20, v46
	v_and_b32_e32 v58, 0x80000000, v58
	v_lshl_add_u32 v44, v44, 23, v45
	v_or3_b32 v58, v58, v44, v46
.LBB653_433:                            ;   in Loop: Header=BB653_213 Depth=1
	s_or_b64 exec, exec, s[16:17]
.LBB653_434:                            ;   in Loop: Header=BB653_213 Depth=1
	s_or_b64 exec, exec, s[14:15]
.LBB653_435:                            ;   in Loop: Header=BB653_213 Depth=1
	s_or_b64 exec, exec, s[12:13]
	v_lshrrev_b16_e32 v44, 8, v42
	v_cmp_ne_u16_e32 vcc, 0, v44
	v_mov_b32_e32 v60, 0
	v_mov_b32_e32 v61, 0
	s_and_saveexec_b64 s[12:13], vcc
	s_cbranch_execz .LBB653_441
; %bb.436:                              ;   in Loop: Header=BB653_213 Depth=1
	v_cmp_ne_u16_e32 vcc, s9, v44
	v_bfrev_b32_e32 v61, 1
	s_and_saveexec_b64 s[14:15], vcc
	s_cbranch_execz .LBB653_440
; %bb.437:                              ;   in Loop: Header=BB653_213 Depth=1
	v_and_b32_e32 v46, 0x7f, v44
	v_cmp_ne_u32_e32 vcc, s19, v46
	v_mov_b32_e32 v61, 0x7f800001
	s_and_saveexec_b64 s[16:17], vcc
	s_cbranch_execz .LBB653_439
; %bb.438:                              ;   in Loop: Header=BB653_213 Depth=1
	v_and_b32_e32 v61, 7, v44
	v_ffbh_u32_e32 v62, v61
	v_min_u32_e32 v65, 32, v62
	v_subrev_u32_e32 v62, 28, v65
	v_lshlrev_b64 v[62:63], v62, v[44:45]
	v_lshrrev_b32_e32 v64, 3, v46
	v_sub_u32_e32 v44, 29, v65
	v_and_b32_e32 v62, 7, v62
	v_cmp_gt_u32_e32 vcc, 8, v46
	v_cndmask_b32_e32 v44, v64, v44, vcc
	v_cndmask_b32_e32 v46, v61, v62, vcc
	v_lshlrev_b32_e32 v61, 16, v42
	v_lshlrev_b32_e32 v46, 20, v46
	v_and_b32_e32 v61, 0x80000000, v61
	v_lshl_add_u32 v44, v44, 23, v45
	v_or3_b32 v61, v61, v44, v46
.LBB653_439:                            ;   in Loop: Header=BB653_213 Depth=1
	s_or_b64 exec, exec, s[16:17]
.LBB653_440:                            ;   in Loop: Header=BB653_213 Depth=1
	s_or_b64 exec, exec, s[14:15]
.LBB653_441:                            ;   in Loop: Header=BB653_213 Depth=1
	s_or_b64 exec, exec, s[12:13]
	v_lshrrev_b32_e32 v44, 16, v42
	v_cmp_ne_u16_sdwa s[14:15], v44, v43 src0_sel:BYTE_0 src1_sel:DWORD
	s_and_saveexec_b64 s[12:13], s[14:15]
	s_cbranch_execz .LBB653_447
; %bb.442:                              ;   in Loop: Header=BB653_213 Depth=1
	v_cmp_ne_u16_sdwa s[16:17], v44, s9 src0_sel:BYTE_0 src1_sel:DWORD
	v_bfrev_b32_e32 v60, 1
	s_and_saveexec_b64 s[14:15], s[16:17]
	s_cbranch_execz .LBB653_446
; %bb.443:                              ;   in Loop: Header=BB653_213 Depth=1
	v_bfe_u32 v46, v42, 16, 7
	v_cmp_ne_u32_e32 vcc, s19, v46
	v_mov_b32_e32 v60, 0x7f800001
	s_and_saveexec_b64 s[16:17], vcc
	s_cbranch_execz .LBB653_445
; %bb.444:                              ;   in Loop: Header=BB653_213 Depth=1
	v_and_b32_e32 v60, 7, v44
	v_ffbh_u32_e32 v62, v60
	v_min_u32_e32 v65, 32, v62
	v_subrev_u32_e32 v62, 28, v65
	v_lshlrev_b64 v[62:63], v62, v[44:45]
	v_lshrrev_b32_e32 v64, 3, v46
	v_sub_u32_e32 v63, 29, v65
	v_and_b32_e32 v62, 7, v62
	v_cmp_gt_u32_e32 vcc, 8, v46
	v_cndmask_b32_e32 v46, v64, v63, vcc
	v_cndmask_b32_e32 v60, v60, v62, vcc
	v_lshlrev_b32_e32 v44, 24, v44
	v_lshlrev_b32_e32 v60, 20, v60
	v_and_b32_e32 v44, 0x80000000, v44
	v_lshl_add_u32 v46, v46, 23, v45
	v_or3_b32 v60, v44, v46, v60
.LBB653_445:                            ;   in Loop: Header=BB653_213 Depth=1
	s_or_b64 exec, exec, s[16:17]
.LBB653_446:                            ;   in Loop: Header=BB653_213 Depth=1
	s_or_b64 exec, exec, s[14:15]
.LBB653_447:                            ;   in Loop: Header=BB653_213 Depth=1
	s_or_b64 exec, exec, s[12:13]
	v_cmp_lt_u32_e32 vcc, s20, v42
	v_mov_b32_e32 v46, 0
	v_mov_b32_e32 v62, 0
	s_and_saveexec_b64 s[12:13], vcc
	s_cbranch_execz .LBB653_453
; %bb.448:                              ;   in Loop: Header=BB653_213 Depth=1
	v_lshrrev_b32_e32 v44, 24, v42
	v_cmp_ne_u32_e32 vcc, s9, v44
	v_bfrev_b32_e32 v62, 1
	s_and_saveexec_b64 s[14:15], vcc
	s_cbranch_execz .LBB653_452
; %bb.449:                              ;   in Loop: Header=BB653_213 Depth=1
	v_bfe_u32 v42, v42, 24, 7
	v_cmp_ne_u32_e32 vcc, s19, v42
	v_mov_b32_e32 v62, 0x7f800001
	s_and_saveexec_b64 s[16:17], vcc
	s_cbranch_execz .LBB653_451
; %bb.450:                              ;   in Loop: Header=BB653_213 Depth=1
	v_and_b32_e32 v64, 7, v44
	v_ffbh_u32_e32 v62, v64
	v_min_u32_e32 v66, 32, v62
	v_subrev_u32_e32 v62, 28, v66
	v_lshlrev_b64 v[62:63], v62, v[44:45]
	v_lshrrev_b32_e32 v65, 3, v42
	v_sub_u32_e32 v63, 29, v66
	v_and_b32_e32 v62, 7, v62
	v_cmp_gt_u32_e32 vcc, 8, v42
	v_cndmask_b32_e32 v42, v65, v63, vcc
	v_cndmask_b32_e32 v62, v64, v62, vcc
	v_lshlrev_b32_e32 v44, 24, v44
	v_lshlrev_b32_e32 v62, 20, v62
	v_and_b32_e32 v44, 0x80000000, v44
	v_lshl_add_u32 v42, v42, 23, v45
	v_or3_b32 v62, v44, v42, v62
.LBB653_451:                            ;   in Loop: Header=BB653_213 Depth=1
	s_or_b64 exec, exec, s[16:17]
.LBB653_452:                            ;   in Loop: Header=BB653_213 Depth=1
	s_or_b64 exec, exec, s[14:15]
.LBB653_453:                            ;   in Loop: Header=BB653_213 Depth=1
	s_or_b64 exec, exec, s[12:13]
	v_cvt_pkrtz_f16_f32 v56, v56, v57
	v_cvt_pkrtz_f16_f32 v57, v55, v59
	s_waitcnt vmcnt(1)
	v_cmp_ne_u16_sdwa s[14:15], v40, v43 src0_sel:BYTE_0 src1_sel:DWORD
	v_mfma_f32_16x16x16f16 v[34:37], v[56:57], v[18:19], v[34:37]
	v_cvt_pkrtz_f16_f32 v56, v58, v61
	v_cvt_pkrtz_f16_f32 v57, v60, v62
	s_nop 1
	v_mfma_f32_16x16x16f16 v[34:37], v[56:57], v[20:21], v[34:37]
	s_and_saveexec_b64 s[12:13], s[14:15]
	s_cbranch_execz .LBB653_459
; %bb.454:                              ;   in Loop: Header=BB653_213 Depth=1
	v_cmp_ne_u16_sdwa s[16:17], v40, s9 src0_sel:BYTE_0 src1_sel:DWORD
	v_bfrev_b32_e32 v46, 1
	s_and_saveexec_b64 s[14:15], s[16:17]
	s_cbranch_execz .LBB653_458
; %bb.455:                              ;   in Loop: Header=BB653_213 Depth=1
	v_and_b32_e32 v42, 0x7f, v40
	v_cmp_ne_u32_e32 vcc, s19, v42
	v_mov_b32_e32 v46, 0x7f800001
	s_and_saveexec_b64 s[16:17], vcc
	s_cbranch_execz .LBB653_457
; %bb.456:                              ;   in Loop: Header=BB653_213 Depth=1
	v_and_b32_e32 v44, 7, v40
	v_ffbh_u32_e32 v55, v44
	v_min_u32_e32 v55, 32, v55
	v_subrev_u32_e32 v56, 28, v55
	v_lshlrev_b64 v[56:57], v56, v[40:41]
	v_lshrrev_b32_e32 v46, 3, v42
	v_sub_u32_e32 v55, 29, v55
	v_and_b32_e32 v56, 7, v56
	v_cmp_gt_u32_e32 vcc, 8, v42
	v_cndmask_b32_e32 v42, v46, v55, vcc
	v_cndmask_b32_e32 v44, v44, v56, vcc
	v_lshlrev_b32_e32 v46, 24, v40
	v_lshlrev_b32_e32 v44, 20, v44
	v_and_b32_e32 v46, 0x80000000, v46
	v_lshl_add_u32 v42, v42, 23, v45
	v_or3_b32 v46, v46, v42, v44
.LBB653_457:                            ;   in Loop: Header=BB653_213 Depth=1
	s_or_b64 exec, exec, s[16:17]
.LBB653_458:                            ;   in Loop: Header=BB653_213 Depth=1
	s_or_b64 exec, exec, s[14:15]
.LBB653_459:                            ;   in Loop: Header=BB653_213 Depth=1
	s_or_b64 exec, exec, s[12:13]
	v_lshrrev_b16_e32 v42, 8, v40
	v_cmp_ne_u16_e32 vcc, 0, v42
	v_mov_b32_e32 v44, 0
	v_mov_b32_e32 v56, 0
	s_and_saveexec_b64 s[12:13], vcc
	s_cbranch_execz .LBB653_465
; %bb.460:                              ;   in Loop: Header=BB653_213 Depth=1
	v_cmp_ne_u16_e32 vcc, s9, v42
	v_bfrev_b32_e32 v56, 1
	s_and_saveexec_b64 s[14:15], vcc
	s_cbranch_execz .LBB653_464
; %bb.461:                              ;   in Loop: Header=BB653_213 Depth=1
	v_and_b32_e32 v55, 0x7f, v42
	v_cmp_ne_u32_e32 vcc, s19, v55
	v_mov_b32_e32 v56, 0x7f800001
	s_and_saveexec_b64 s[16:17], vcc
	s_cbranch_execz .LBB653_463
; %bb.462:                              ;   in Loop: Header=BB653_213 Depth=1
	v_and_b32_e32 v58, 7, v42
	v_ffbh_u32_e32 v56, v58
	v_min_u32_e32 v60, 32, v56
	v_subrev_u32_e32 v56, 28, v60
	v_lshlrev_b64 v[56:57], v56, v[42:43]
	v_lshrrev_b32_e32 v59, 3, v55
	v_sub_u32_e32 v42, 29, v60
	v_and_b32_e32 v56, 7, v56
	v_cmp_gt_u32_e32 vcc, 8, v55
	v_cndmask_b32_e32 v42, v59, v42, vcc
	v_cndmask_b32_e32 v55, v58, v56, vcc
	v_lshlrev_b32_e32 v56, 16, v40
	v_lshlrev_b32_e32 v55, 20, v55
	v_and_b32_e32 v56, 0x80000000, v56
	v_lshl_add_u32 v42, v42, 23, v45
	v_or3_b32 v56, v56, v42, v55
.LBB653_463:                            ;   in Loop: Header=BB653_213 Depth=1
	s_or_b64 exec, exec, s[16:17]
.LBB653_464:                            ;   in Loop: Header=BB653_213 Depth=1
	s_or_b64 exec, exec, s[14:15]
.LBB653_465:                            ;   in Loop: Header=BB653_213 Depth=1
	s_or_b64 exec, exec, s[12:13]
	v_lshrrev_b32_e32 v42, 16, v40
	v_cmp_ne_u16_sdwa s[14:15], v42, v43 src0_sel:BYTE_0 src1_sel:DWORD
	s_and_saveexec_b64 s[12:13], s[14:15]
	s_cbranch_execz .LBB653_471
; %bb.466:                              ;   in Loop: Header=BB653_213 Depth=1
	v_cmp_ne_u16_sdwa s[16:17], v42, s9 src0_sel:BYTE_0 src1_sel:DWORD
	v_bfrev_b32_e32 v44, 1
	s_and_saveexec_b64 s[14:15], s[16:17]
	s_cbranch_execz .LBB653_470
; %bb.467:                              ;   in Loop: Header=BB653_213 Depth=1
	v_bfe_u32 v55, v40, 16, 7
	v_cmp_ne_u32_e32 vcc, s19, v55
	v_mov_b32_e32 v44, 0x7f800001
	s_and_saveexec_b64 s[16:17], vcc
	s_cbranch_execz .LBB653_469
; %bb.468:                              ;   in Loop: Header=BB653_213 Depth=1
	v_and_b32_e32 v44, 7, v42
	v_ffbh_u32_e32 v58, v44
	v_min_u32_e32 v60, 32, v58
	v_subrev_u32_e32 v58, 28, v60
	v_lshlrev_b64 v[58:59], v58, v[42:43]
	v_lshrrev_b32_e32 v57, 3, v55
	v_sub_u32_e32 v59, 29, v60
	v_and_b32_e32 v58, 7, v58
	v_cmp_gt_u32_e32 vcc, 8, v55
	v_cndmask_b32_e32 v55, v57, v59, vcc
	v_cndmask_b32_e32 v44, v44, v58, vcc
	v_lshlrev_b32_e32 v42, 24, v42
	v_lshlrev_b32_e32 v44, 20, v44
	v_and_b32_e32 v42, 0x80000000, v42
	v_lshl_add_u32 v55, v55, 23, v45
	v_or3_b32 v44, v42, v55, v44
.LBB653_469:                            ;   in Loop: Header=BB653_213 Depth=1
	s_or_b64 exec, exec, s[16:17]
.LBB653_470:                            ;   in Loop: Header=BB653_213 Depth=1
	s_or_b64 exec, exec, s[14:15]
.LBB653_471:                            ;   in Loop: Header=BB653_213 Depth=1
	s_or_b64 exec, exec, s[12:13]
	v_cmp_lt_u32_e32 vcc, s20, v40
	v_mov_b32_e32 v57, 0
	v_mov_b32_e32 v58, 0
	s_and_saveexec_b64 s[12:13], vcc
	s_cbranch_execz .LBB653_477
; %bb.472:                              ;   in Loop: Header=BB653_213 Depth=1
	v_lshrrev_b32_e32 v42, 24, v40
	v_cmp_ne_u32_e32 vcc, s9, v42
	v_bfrev_b32_e32 v58, 1
	s_and_saveexec_b64 s[14:15], vcc
	s_cbranch_execz .LBB653_476
; %bb.473:                              ;   in Loop: Header=BB653_213 Depth=1
	v_bfe_u32 v40, v40, 24, 7
	v_cmp_ne_u32_e32 vcc, s19, v40
	v_mov_b32_e32 v58, 0x7f800001
	s_and_saveexec_b64 s[16:17], vcc
	s_cbranch_execz .LBB653_475
; %bb.474:                              ;   in Loop: Header=BB653_213 Depth=1
	v_and_b32_e32 v55, 7, v42
	v_ffbh_u32_e32 v58, v55
	v_min_u32_e32 v61, 32, v58
	v_subrev_u32_e32 v58, 28, v61
	v_lshlrev_b64 v[58:59], v58, v[42:43]
	v_lshrrev_b32_e32 v60, 3, v40
	v_sub_u32_e32 v59, 29, v61
	v_and_b32_e32 v58, 7, v58
	v_cmp_gt_u32_e32 vcc, 8, v40
	v_cndmask_b32_e32 v40, v60, v59, vcc
	v_cndmask_b32_e32 v55, v55, v58, vcc
	v_lshlrev_b32_e32 v42, 24, v42
	v_lshlrev_b32_e32 v55, 20, v55
	v_and_b32_e32 v42, 0x80000000, v42
	v_lshl_add_u32 v40, v40, 23, v45
	v_or3_b32 v58, v42, v40, v55
.LBB653_475:                            ;   in Loop: Header=BB653_213 Depth=1
	s_or_b64 exec, exec, s[16:17]
.LBB653_476:                            ;   in Loop: Header=BB653_213 Depth=1
	s_or_b64 exec, exec, s[14:15]
.LBB653_477:                            ;   in Loop: Header=BB653_213 Depth=1
	s_or_b64 exec, exec, s[12:13]
	s_waitcnt vmcnt(0)
	v_cmp_ne_u16_sdwa s[14:15], v38, v43 src0_sel:BYTE_0 src1_sel:DWORD
	s_and_saveexec_b64 s[12:13], s[14:15]
	s_cbranch_execz .LBB653_483
; %bb.478:                              ;   in Loop: Header=BB653_213 Depth=1
	v_cmp_ne_u16_sdwa s[16:17], v38, s9 src0_sel:BYTE_0 src1_sel:DWORD
	v_bfrev_b32_e32 v57, 1
	s_and_saveexec_b64 s[14:15], s[16:17]
	s_cbranch_execz .LBB653_482
; %bb.479:                              ;   in Loop: Header=BB653_213 Depth=1
	v_and_b32_e32 v40, 0x7f, v38
	v_cmp_ne_u32_e32 vcc, s19, v40
	v_mov_b32_e32 v57, 0x7f800001
	s_and_saveexec_b64 s[16:17], vcc
	s_cbranch_execz .LBB653_481
; %bb.480:                              ;   in Loop: Header=BB653_213 Depth=1
	v_and_b32_e32 v42, 7, v38
	v_ffbh_u32_e32 v57, v42
	v_min_u32_e32 v57, 32, v57
	v_subrev_u32_e32 v59, 28, v57
	v_lshlrev_b64 v[60:61], v59, v[38:39]
	v_lshrrev_b32_e32 v55, 3, v40
	v_sub_u32_e32 v57, 29, v57
	v_and_b32_e32 v59, 7, v60
	v_cmp_gt_u32_e32 vcc, 8, v40
	v_cndmask_b32_e32 v40, v55, v57, vcc
	v_cndmask_b32_e32 v42, v42, v59, vcc
	v_lshlrev_b32_e32 v55, 24, v38
	v_lshlrev_b32_e32 v42, 20, v42
	v_and_b32_e32 v55, 0x80000000, v55
	v_lshl_add_u32 v40, v40, 23, v45
	v_or3_b32 v57, v55, v40, v42
.LBB653_481:                            ;   in Loop: Header=BB653_213 Depth=1
	s_or_b64 exec, exec, s[16:17]
.LBB653_482:                            ;   in Loop: Header=BB653_213 Depth=1
	s_or_b64 exec, exec, s[14:15]
.LBB653_483:                            ;   in Loop: Header=BB653_213 Depth=1
	s_or_b64 exec, exec, s[12:13]
	v_lshrrev_b16_e32 v40, 8, v38
	v_cmp_ne_u16_e32 vcc, 0, v40
	v_mov_b32_e32 v59, 0
	v_mov_b32_e32 v60, 0
	s_and_saveexec_b64 s[12:13], vcc
	s_cbranch_execz .LBB653_489
; %bb.484:                              ;   in Loop: Header=BB653_213 Depth=1
	v_cmp_ne_u16_e32 vcc, s9, v40
	v_bfrev_b32_e32 v60, 1
	s_and_saveexec_b64 s[14:15], vcc
	s_cbranch_execz .LBB653_488
; %bb.485:                              ;   in Loop: Header=BB653_213 Depth=1
	v_and_b32_e32 v42, 0x7f, v40
	v_cmp_ne_u32_e32 vcc, s19, v42
	v_mov_b32_e32 v60, 0x7f800001
	s_and_saveexec_b64 s[16:17], vcc
	s_cbranch_execz .LBB653_487
; %bb.486:                              ;   in Loop: Header=BB653_213 Depth=1
	v_and_b32_e32 v55, 7, v40
	v_ffbh_u32_e32 v60, v55
	v_min_u32_e32 v63, 32, v60
	v_subrev_u32_e32 v60, 28, v63
	v_lshlrev_b64 v[60:61], v60, v[40:41]
	v_lshrrev_b32_e32 v62, 3, v42
	v_sub_u32_e32 v40, 29, v63
	v_and_b32_e32 v60, 7, v60
	v_cmp_gt_u32_e32 vcc, 8, v42
	v_cndmask_b32_e32 v40, v62, v40, vcc
	v_cndmask_b32_e32 v42, v55, v60, vcc
	v_lshlrev_b32_e32 v55, 16, v38
	v_lshlrev_b32_e32 v42, 20, v42
	v_and_b32_e32 v55, 0x80000000, v55
	v_lshl_add_u32 v40, v40, 23, v45
	v_or3_b32 v60, v55, v40, v42
.LBB653_487:                            ;   in Loop: Header=BB653_213 Depth=1
	s_or_b64 exec, exec, s[16:17]
.LBB653_488:                            ;   in Loop: Header=BB653_213 Depth=1
	s_or_b64 exec, exec, s[14:15]
.LBB653_489:                            ;   in Loop: Header=BB653_213 Depth=1
	s_or_b64 exec, exec, s[12:13]
	v_lshrrev_b32_e32 v40, 16, v38
	v_cmp_ne_u16_sdwa s[14:15], v40, v43 src0_sel:BYTE_0 src1_sel:DWORD
	s_and_saveexec_b64 s[12:13], s[14:15]
	s_cbranch_execz .LBB653_495
; %bb.490:                              ;   in Loop: Header=BB653_213 Depth=1
	v_cmp_ne_u16_sdwa s[16:17], v40, s9 src0_sel:BYTE_0 src1_sel:DWORD
	v_bfrev_b32_e32 v59, 1
	s_and_saveexec_b64 s[14:15], s[16:17]
	s_cbranch_execz .LBB653_494
; %bb.491:                              ;   in Loop: Header=BB653_213 Depth=1
	v_bfe_u32 v42, v38, 16, 7
	v_cmp_ne_u32_e32 vcc, s19, v42
	v_mov_b32_e32 v59, 0x7f800001
	s_and_saveexec_b64 s[16:17], vcc
	s_cbranch_execz .LBB653_493
; %bb.492:                              ;   in Loop: Header=BB653_213 Depth=1
	v_and_b32_e32 v55, 7, v40
	v_ffbh_u32_e32 v61, v55
	v_min_u32_e32 v61, 32, v61
	v_subrev_u32_e32 v62, 28, v61
	v_lshlrev_b64 v[62:63], v62, v[40:41]
	v_lshrrev_b32_e32 v59, 3, v42
	v_sub_u32_e32 v61, 29, v61
	v_and_b32_e32 v62, 7, v62
	v_cmp_gt_u32_e32 vcc, 8, v42
	v_cndmask_b32_e32 v42, v59, v61, vcc
	v_cndmask_b32_e32 v55, v55, v62, vcc
	v_lshlrev_b32_e32 v40, 24, v40
	v_lshlrev_b32_e32 v55, 20, v55
	v_and_b32_e32 v40, 0x80000000, v40
	v_lshl_add_u32 v42, v42, 23, v45
	v_or3_b32 v59, v40, v42, v55
.LBB653_493:                            ;   in Loop: Header=BB653_213 Depth=1
	s_or_b64 exec, exec, s[16:17]
.LBB653_494:                            ;   in Loop: Header=BB653_213 Depth=1
	s_or_b64 exec, exec, s[14:15]
.LBB653_495:                            ;   in Loop: Header=BB653_213 Depth=1
	s_or_b64 exec, exec, s[12:13]
	v_cmp_lt_u32_e32 vcc, s20, v38
	v_mov_b32_e32 v55, 0
	v_mov_b32_e32 v61, 0
	s_and_saveexec_b64 s[12:13], vcc
	s_cbranch_execz .LBB653_501
; %bb.496:                              ;   in Loop: Header=BB653_213 Depth=1
	v_lshrrev_b32_e32 v40, 24, v38
	v_cmp_ne_u32_e32 vcc, s9, v40
	v_bfrev_b32_e32 v61, 1
	s_and_saveexec_b64 s[14:15], vcc
	s_cbranch_execz .LBB653_500
; %bb.497:                              ;   in Loop: Header=BB653_213 Depth=1
	v_bfe_u32 v38, v38, 24, 7
	v_cmp_ne_u32_e32 vcc, s19, v38
	v_mov_b32_e32 v61, 0x7f800001
	s_and_saveexec_b64 s[16:17], vcc
	s_cbranch_execz .LBB653_499
; %bb.498:                              ;   in Loop: Header=BB653_213 Depth=1
	v_and_b32_e32 v42, 7, v40
	v_ffbh_u32_e32 v62, v42
	v_min_u32_e32 v64, 32, v62
	v_subrev_u32_e32 v62, 28, v64
	v_lshlrev_b64 v[62:63], v62, v[40:41]
	v_lshrrev_b32_e32 v61, 3, v38
	v_sub_u32_e32 v63, 29, v64
	v_and_b32_e32 v62, 7, v62
	v_cmp_gt_u32_e32 vcc, 8, v38
	v_cndmask_b32_e32 v38, v61, v63, vcc
	v_cndmask_b32_e32 v42, v42, v62, vcc
	v_lshlrev_b32_e32 v40, 24, v40
	v_lshlrev_b32_e32 v42, 20, v42
	v_and_b32_e32 v40, 0x80000000, v40
	v_lshl_add_u32 v38, v38, 23, v45
	v_or3_b32 v61, v40, v38, v42
.LBB653_499:                            ;   in Loop: Header=BB653_213 Depth=1
	s_or_b64 exec, exec, s[16:17]
.LBB653_500:                            ;   in Loop: Header=BB653_213 Depth=1
	s_or_b64 exec, exec, s[14:15]
.LBB653_501:                            ;   in Loop: Header=BB653_213 Depth=1
	s_or_b64 exec, exec, s[12:13]
	v_cvt_pkrtz_f16_f32 v63, v44, v58
	buffer_load_dword v44, v54, s[0:3], 0 offen
	buffer_load_dword v42, v54, s[0:3], 0 offen offset:4
	buffer_load_dword v40, v54, s[0:3], 0 offen offset:8
	buffer_load_dword v38, v54, s[0:3], 0 offen offset:12
	v_cvt_pkrtz_f16_f32 v62, v46, v56
	v_cvt_pkrtz_f16_f32 v56, v57, v60
	v_cvt_pkrtz_f16_f32 v57, v59, v61
	v_mfma_f32_16x16x16f16 v[34:37], v[62:63], v[22:23], v[34:37]
	s_waitcnt vmcnt(3)
	v_cmp_ne_u16_sdwa s[14:15], v44, v43 src0_sel:BYTE_0 src1_sel:DWORD
	v_mfma_f32_16x16x16f16 v[34:37], v[56:57], v[24:25], v[34:37]
	s_and_saveexec_b64 s[12:13], s[14:15]
	s_cbranch_execz .LBB653_507
; %bb.502:                              ;   in Loop: Header=BB653_213 Depth=1
	v_cmp_ne_u16_sdwa s[16:17], v44, s9 src0_sel:BYTE_0 src1_sel:DWORD
	v_bfrev_b32_e32 v55, 1
	s_and_saveexec_b64 s[14:15], s[16:17]
	s_cbranch_execz .LBB653_506
; %bb.503:                              ;   in Loop: Header=BB653_213 Depth=1
	v_and_b32_e32 v46, 0x7f, v44
	v_cmp_ne_u32_e32 vcc, s19, v46
	v_mov_b32_e32 v55, 0x7f800001
	s_and_saveexec_b64 s[16:17], vcc
	s_cbranch_execz .LBB653_505
; %bb.504:                              ;   in Loop: Header=BB653_213 Depth=1
	v_and_b32_e32 v56, 7, v44
	v_ffbh_u32_e32 v54, v56
	v_min_u32_e32 v58, 32, v54
	v_subrev_u32_e32 v54, 28, v58
	v_lshlrev_b64 v[54:55], v54, v[44:45]
	v_lshrrev_b32_e32 v57, 3, v46
	v_sub_u32_e32 v55, 29, v58
	v_and_b32_e32 v54, 7, v54
	v_cmp_gt_u32_e32 vcc, 8, v46
	v_cndmask_b32_e32 v46, v57, v55, vcc
	v_cndmask_b32_e32 v54, v56, v54, vcc
	v_lshlrev_b32_e32 v55, 24, v44
	v_lshlrev_b32_e32 v54, 20, v54
	v_and_b32_e32 v55, 0x80000000, v55
	v_lshl_add_u32 v46, v46, 23, v45
	v_or3_b32 v55, v55, v46, v54
.LBB653_505:                            ;   in Loop: Header=BB653_213 Depth=1
	s_or_b64 exec, exec, s[16:17]
.LBB653_506:                            ;   in Loop: Header=BB653_213 Depth=1
	s_or_b64 exec, exec, s[14:15]
.LBB653_507:                            ;   in Loop: Header=BB653_213 Depth=1
	s_or_b64 exec, exec, s[12:13]
	v_lshrrev_b16_e32 v46, 8, v44
	v_cmp_ne_u16_e32 vcc, 0, v46
	v_mov_b32_e32 v54, 0
	v_mov_b32_e32 v56, 0
	s_and_saveexec_b64 s[12:13], vcc
	s_cbranch_execz .LBB653_513
; %bb.508:                              ;   in Loop: Header=BB653_213 Depth=1
	v_cmp_ne_u16_e32 vcc, s9, v46
	v_bfrev_b32_e32 v56, 1
	s_and_saveexec_b64 s[14:15], vcc
	s_cbranch_execz .LBB653_512
; %bb.509:                              ;   in Loop: Header=BB653_213 Depth=1
	v_and_b32_e32 v57, 0x7f, v46
	v_cmp_ne_u32_e32 vcc, s19, v57
	v_mov_b32_e32 v56, 0x7f800001
	s_and_saveexec_b64 s[16:17], vcc
	s_cbranch_execz .LBB653_511
; %bb.510:                              ;   in Loop: Header=BB653_213 Depth=1
	v_and_b32_e32 v56, 7, v46
	v_ffbh_u32_e32 v58, v56
	v_min_u32_e32 v61, 32, v58
	v_subrev_u32_e32 v58, 28, v61
	v_lshlrev_b64 v[58:59], v58, v[46:47]
	v_lshrrev_b32_e32 v60, 3, v57
	v_sub_u32_e32 v46, 29, v61
	v_and_b32_e32 v58, 7, v58
	v_cmp_gt_u32_e32 vcc, 8, v57
	v_cndmask_b32_e32 v46, v60, v46, vcc
	v_cndmask_b32_e32 v56, v56, v58, vcc
	v_lshlrev_b32_e32 v57, 16, v44
	v_lshlrev_b32_e32 v56, 20, v56
	v_and_b32_e32 v57, 0x80000000, v57
	v_lshl_add_u32 v46, v46, 23, v45
	v_or3_b32 v56, v57, v46, v56
.LBB653_511:                            ;   in Loop: Header=BB653_213 Depth=1
	s_or_b64 exec, exec, s[16:17]
.LBB653_512:                            ;   in Loop: Header=BB653_213 Depth=1
	s_or_b64 exec, exec, s[14:15]
.LBB653_513:                            ;   in Loop: Header=BB653_213 Depth=1
	s_or_b64 exec, exec, s[12:13]
	v_lshrrev_b32_e32 v46, 16, v44
	v_cmp_ne_u16_sdwa s[14:15], v46, v43 src0_sel:BYTE_0 src1_sel:DWORD
	s_and_saveexec_b64 s[12:13], s[14:15]
	s_cbranch_execz .LBB653_519
; %bb.514:                              ;   in Loop: Header=BB653_213 Depth=1
	v_cmp_ne_u16_sdwa s[16:17], v46, s9 src0_sel:BYTE_0 src1_sel:DWORD
	v_bfrev_b32_e32 v54, 1
	s_and_saveexec_b64 s[14:15], s[16:17]
	s_cbranch_execz .LBB653_518
; %bb.515:                              ;   in Loop: Header=BB653_213 Depth=1
	v_bfe_u32 v57, v44, 16, 7
	v_cmp_ne_u32_e32 vcc, s19, v57
	v_mov_b32_e32 v54, 0x7f800001
	s_and_saveexec_b64 s[16:17], vcc
	s_cbranch_execz .LBB653_517
; %bb.516:                              ;   in Loop: Header=BB653_213 Depth=1
	v_and_b32_e32 v54, 7, v46
	v_ffbh_u32_e32 v58, v54
	v_min_u32_e32 v61, 32, v58
	v_subrev_u32_e32 v58, 28, v61
	v_lshlrev_b64 v[58:59], v58, v[46:47]
	v_lshrrev_b32_e32 v60, 3, v57
	v_sub_u32_e32 v59, 29, v61
	v_and_b32_e32 v58, 7, v58
	v_cmp_gt_u32_e32 vcc, 8, v57
	v_cndmask_b32_e32 v57, v60, v59, vcc
	v_cndmask_b32_e32 v54, v54, v58, vcc
	v_lshlrev_b32_e32 v46, 24, v46
	v_lshlrev_b32_e32 v54, 20, v54
	v_and_b32_e32 v46, 0x80000000, v46
	v_lshl_add_u32 v57, v57, 23, v45
	v_or3_b32 v54, v46, v57, v54
.LBB653_517:                            ;   in Loop: Header=BB653_213 Depth=1
	s_or_b64 exec, exec, s[16:17]
.LBB653_518:                            ;   in Loop: Header=BB653_213 Depth=1
	s_or_b64 exec, exec, s[14:15]
.LBB653_519:                            ;   in Loop: Header=BB653_213 Depth=1
	s_or_b64 exec, exec, s[12:13]
	v_cmp_lt_u32_e32 vcc, s20, v44
	v_mov_b32_e32 v57, 0
	v_mov_b32_e32 v58, 0
	s_and_saveexec_b64 s[12:13], vcc
	s_cbranch_execz .LBB653_525
; %bb.520:                              ;   in Loop: Header=BB653_213 Depth=1
	v_lshrrev_b32_e32 v46, 24, v44
	v_cmp_ne_u32_e32 vcc, s9, v46
	v_bfrev_b32_e32 v58, 1
	s_and_saveexec_b64 s[14:15], vcc
	s_cbranch_execz .LBB653_524
; %bb.521:                              ;   in Loop: Header=BB653_213 Depth=1
	v_bfe_u32 v44, v44, 24, 7
	v_cmp_ne_u32_e32 vcc, s19, v44
	v_mov_b32_e32 v58, 0x7f800001
	s_and_saveexec_b64 s[16:17], vcc
	s_cbranch_execz .LBB653_523
; %bb.522:                              ;   in Loop: Header=BB653_213 Depth=1
	v_and_b32_e32 v60, 7, v46
	v_ffbh_u32_e32 v58, v60
	v_min_u32_e32 v62, 32, v58
	v_subrev_u32_e32 v58, 28, v62
	v_lshlrev_b64 v[58:59], v58, v[46:47]
	v_lshrrev_b32_e32 v61, 3, v44
	v_sub_u32_e32 v59, 29, v62
	v_and_b32_e32 v58, 7, v58
	v_cmp_gt_u32_e32 vcc, 8, v44
	v_cndmask_b32_e32 v44, v61, v59, vcc
	v_cndmask_b32_e32 v58, v60, v58, vcc
	v_lshlrev_b32_e32 v46, 24, v46
	v_lshlrev_b32_e32 v58, 20, v58
	v_and_b32_e32 v46, 0x80000000, v46
	v_lshl_add_u32 v44, v44, 23, v45
	v_or3_b32 v58, v46, v44, v58
.LBB653_523:                            ;   in Loop: Header=BB653_213 Depth=1
	s_or_b64 exec, exec, s[16:17]
.LBB653_524:                            ;   in Loop: Header=BB653_213 Depth=1
	s_or_b64 exec, exec, s[14:15]
.LBB653_525:                            ;   in Loop: Header=BB653_213 Depth=1
	s_or_b64 exec, exec, s[12:13]
	s_waitcnt vmcnt(2)
	v_cmp_ne_u16_sdwa s[14:15], v42, v43 src0_sel:BYTE_0 src1_sel:DWORD
	s_and_saveexec_b64 s[12:13], s[14:15]
	s_cbranch_execz .LBB653_531
; %bb.526:                              ;   in Loop: Header=BB653_213 Depth=1
	v_cmp_ne_u16_sdwa s[16:17], v42, s9 src0_sel:BYTE_0 src1_sel:DWORD
	v_bfrev_b32_e32 v57, 1
	s_and_saveexec_b64 s[14:15], s[16:17]
	s_cbranch_execz .LBB653_530
; %bb.527:                              ;   in Loop: Header=BB653_213 Depth=1
	v_and_b32_e32 v44, 0x7f, v42
	v_cmp_ne_u32_e32 vcc, s19, v44
	v_mov_b32_e32 v57, 0x7f800001
	s_and_saveexec_b64 s[16:17], vcc
	s_cbranch_execz .LBB653_529
; %bb.528:                              ;   in Loop: Header=BB653_213 Depth=1
	v_and_b32_e32 v46, 7, v42
	v_ffbh_u32_e32 v59, v46
	v_min_u32_e32 v59, 32, v59
	v_subrev_u32_e32 v60, 28, v59
	v_lshlrev_b64 v[60:61], v60, v[42:43]
	v_lshrrev_b32_e32 v57, 3, v44
	v_sub_u32_e32 v59, 29, v59
	v_and_b32_e32 v60, 7, v60
	v_cmp_gt_u32_e32 vcc, 8, v44
	v_cndmask_b32_e32 v44, v57, v59, vcc
	v_cndmask_b32_e32 v46, v46, v60, vcc
	v_lshlrev_b32_e32 v57, 24, v42
	v_lshlrev_b32_e32 v46, 20, v46
	v_and_b32_e32 v57, 0x80000000, v57
	v_lshl_add_u32 v44, v44, 23, v45
	v_or3_b32 v57, v57, v44, v46
.LBB653_529:                            ;   in Loop: Header=BB653_213 Depth=1
	s_or_b64 exec, exec, s[16:17]
.LBB653_530:                            ;   in Loop: Header=BB653_213 Depth=1
	s_or_b64 exec, exec, s[14:15]
.LBB653_531:                            ;   in Loop: Header=BB653_213 Depth=1
	s_or_b64 exec, exec, s[12:13]
	v_lshrrev_b16_e32 v44, 8, v42
	v_cmp_ne_u16_e32 vcc, 0, v44
	v_mov_b32_e32 v59, 0
	v_mov_b32_e32 v60, 0
	s_and_saveexec_b64 s[12:13], vcc
	s_cbranch_execz .LBB653_537
; %bb.532:                              ;   in Loop: Header=BB653_213 Depth=1
	v_cmp_ne_u16_e32 vcc, s9, v44
	v_bfrev_b32_e32 v60, 1
	s_and_saveexec_b64 s[14:15], vcc
	s_cbranch_execz .LBB653_536
; %bb.533:                              ;   in Loop: Header=BB653_213 Depth=1
	v_and_b32_e32 v46, 0x7f, v44
	v_cmp_ne_u32_e32 vcc, s19, v46
	v_mov_b32_e32 v60, 0x7f800001
	s_and_saveexec_b64 s[16:17], vcc
	s_cbranch_execz .LBB653_535
; %bb.534:                              ;   in Loop: Header=BB653_213 Depth=1
	v_and_b32_e32 v62, 7, v44
	v_ffbh_u32_e32 v60, v62
	v_min_u32_e32 v64, 32, v60
	v_subrev_u32_e32 v60, 28, v64
	v_lshlrev_b64 v[60:61], v60, v[44:45]
	v_lshrrev_b32_e32 v63, 3, v46
	v_sub_u32_e32 v44, 29, v64
	v_and_b32_e32 v60, 7, v60
	v_cmp_gt_u32_e32 vcc, 8, v46
	v_cndmask_b32_e32 v44, v63, v44, vcc
	v_cndmask_b32_e32 v46, v62, v60, vcc
	v_lshlrev_b32_e32 v60, 16, v42
	v_lshlrev_b32_e32 v46, 20, v46
	v_and_b32_e32 v60, 0x80000000, v60
	v_lshl_add_u32 v44, v44, 23, v45
	v_or3_b32 v60, v60, v44, v46
.LBB653_535:                            ;   in Loop: Header=BB653_213 Depth=1
	s_or_b64 exec, exec, s[16:17]
.LBB653_536:                            ;   in Loop: Header=BB653_213 Depth=1
	s_or_b64 exec, exec, s[14:15]
.LBB653_537:                            ;   in Loop: Header=BB653_213 Depth=1
	s_or_b64 exec, exec, s[12:13]
	v_lshrrev_b32_e32 v44, 16, v42
	v_cmp_ne_u16_sdwa s[14:15], v44, v43 src0_sel:BYTE_0 src1_sel:DWORD
	s_and_saveexec_b64 s[12:13], s[14:15]
	s_cbranch_execz .LBB653_543
; %bb.538:                              ;   in Loop: Header=BB653_213 Depth=1
	v_cmp_ne_u16_sdwa s[16:17], v44, s9 src0_sel:BYTE_0 src1_sel:DWORD
	v_bfrev_b32_e32 v59, 1
	s_and_saveexec_b64 s[14:15], s[16:17]
	s_cbranch_execz .LBB653_542
; %bb.539:                              ;   in Loop: Header=BB653_213 Depth=1
	v_bfe_u32 v46, v42, 16, 7
	v_cmp_ne_u32_e32 vcc, s19, v46
	v_mov_b32_e32 v59, 0x7f800001
	s_and_saveexec_b64 s[16:17], vcc
	s_cbranch_execz .LBB653_541
; %bb.540:                              ;   in Loop: Header=BB653_213 Depth=1
	v_and_b32_e32 v59, 7, v44
	v_ffbh_u32_e32 v62, v59
	v_min_u32_e32 v64, 32, v62
	v_subrev_u32_e32 v62, 28, v64
	v_lshlrev_b64 v[62:63], v62, v[44:45]
	v_lshrrev_b32_e32 v61, 3, v46
	v_sub_u32_e32 v63, 29, v64
	v_and_b32_e32 v62, 7, v62
	v_cmp_gt_u32_e32 vcc, 8, v46
	v_cndmask_b32_e32 v46, v61, v63, vcc
	v_cndmask_b32_e32 v59, v59, v62, vcc
	v_lshlrev_b32_e32 v44, 24, v44
	v_lshlrev_b32_e32 v59, 20, v59
	v_and_b32_e32 v44, 0x80000000, v44
	v_lshl_add_u32 v46, v46, 23, v45
	v_or3_b32 v59, v44, v46, v59
.LBB653_541:                            ;   in Loop: Header=BB653_213 Depth=1
	s_or_b64 exec, exec, s[16:17]
.LBB653_542:                            ;   in Loop: Header=BB653_213 Depth=1
	s_or_b64 exec, exec, s[14:15]
.LBB653_543:                            ;   in Loop: Header=BB653_213 Depth=1
	s_or_b64 exec, exec, s[12:13]
	v_cmp_lt_u32_e32 vcc, s20, v42
	v_mov_b32_e32 v46, 0
	v_mov_b32_e32 v61, 0
	s_and_saveexec_b64 s[12:13], vcc
	s_cbranch_execz .LBB653_549
; %bb.544:                              ;   in Loop: Header=BB653_213 Depth=1
	v_lshrrev_b32_e32 v44, 24, v42
	v_cmp_ne_u32_e32 vcc, s9, v44
	v_bfrev_b32_e32 v61, 1
	s_and_saveexec_b64 s[14:15], vcc
	s_cbranch_execz .LBB653_548
; %bb.545:                              ;   in Loop: Header=BB653_213 Depth=1
	v_bfe_u32 v42, v42, 24, 7
	v_cmp_ne_u32_e32 vcc, s19, v42
	v_mov_b32_e32 v61, 0x7f800001
	s_and_saveexec_b64 s[16:17], vcc
	s_cbranch_execz .LBB653_547
; %bb.546:                              ;   in Loop: Header=BB653_213 Depth=1
	v_and_b32_e32 v61, 7, v44
	v_ffbh_u32_e32 v62, v61
	v_min_u32_e32 v65, 32, v62
	v_subrev_u32_e32 v62, 28, v65
	v_lshlrev_b64 v[62:63], v62, v[44:45]
	v_lshrrev_b32_e32 v64, 3, v42
	v_sub_u32_e32 v63, 29, v65
	v_and_b32_e32 v62, 7, v62
	v_cmp_gt_u32_e32 vcc, 8, v42
	v_cndmask_b32_e32 v42, v64, v63, vcc
	v_cndmask_b32_e32 v61, v61, v62, vcc
	v_lshlrev_b32_e32 v44, 24, v44
	v_lshlrev_b32_e32 v61, 20, v61
	v_and_b32_e32 v44, 0x80000000, v44
	v_lshl_add_u32 v42, v42, 23, v45
	v_or3_b32 v61, v44, v42, v61
.LBB653_547:                            ;   in Loop: Header=BB653_213 Depth=1
	s_or_b64 exec, exec, s[16:17]
.LBB653_548:                            ;   in Loop: Header=BB653_213 Depth=1
	s_or_b64 exec, exec, s[14:15]
.LBB653_549:                            ;   in Loop: Header=BB653_213 Depth=1
	s_or_b64 exec, exec, s[12:13]
	v_cvt_pkrtz_f16_f32 v62, v55, v56
	v_cvt_pkrtz_f16_f32 v63, v54, v58
	;; [unrolled: 1-line block ×4, first 2 shown]
	s_waitcnt vmcnt(1)
	v_cmp_ne_u16_sdwa s[14:15], v40, v43 src0_sel:BYTE_0 src1_sel:DWORD
	v_mfma_f32_16x16x16f16 v[34:37], v[62:63], v[26:27], v[34:37]
	v_mfma_f32_16x16x16f16 v[34:37], v[54:55], v[28:29], v[34:37]
	s_and_saveexec_b64 s[12:13], s[14:15]
	s_cbranch_execz .LBB653_555
; %bb.550:                              ;   in Loop: Header=BB653_213 Depth=1
	v_cmp_ne_u16_sdwa s[16:17], v40, s9 src0_sel:BYTE_0 src1_sel:DWORD
	v_bfrev_b32_e32 v46, 1
	s_and_saveexec_b64 s[14:15], s[16:17]
	s_cbranch_execz .LBB653_554
; %bb.551:                              ;   in Loop: Header=BB653_213 Depth=1
	v_and_b32_e32 v42, 0x7f, v40
	v_cmp_ne_u32_e32 vcc, s19, v42
	v_mov_b32_e32 v46, 0x7f800001
	s_and_saveexec_b64 s[16:17], vcc
	s_cbranch_execz .LBB653_553
; %bb.552:                              ;   in Loop: Header=BB653_213 Depth=1
	v_and_b32_e32 v44, 7, v40
	v_ffbh_u32_e32 v54, v44
	v_min_u32_e32 v56, 32, v54
	v_subrev_u32_e32 v54, 28, v56
	v_lshlrev_b64 v[54:55], v54, v[40:41]
	v_lshrrev_b32_e32 v46, 3, v42
	v_sub_u32_e32 v55, 29, v56
	v_and_b32_e32 v54, 7, v54
	v_cmp_gt_u32_e32 vcc, 8, v42
	v_cndmask_b32_e32 v42, v46, v55, vcc
	v_cndmask_b32_e32 v44, v44, v54, vcc
	v_lshlrev_b32_e32 v46, 24, v40
	v_lshlrev_b32_e32 v44, 20, v44
	v_and_b32_e32 v46, 0x80000000, v46
	v_lshl_add_u32 v42, v42, 23, v45
	v_or3_b32 v46, v46, v42, v44
.LBB653_553:                            ;   in Loop: Header=BB653_213 Depth=1
	s_or_b64 exec, exec, s[16:17]
.LBB653_554:                            ;   in Loop: Header=BB653_213 Depth=1
	s_or_b64 exec, exec, s[14:15]
.LBB653_555:                            ;   in Loop: Header=BB653_213 Depth=1
	s_or_b64 exec, exec, s[12:13]
	v_lshrrev_b16_e32 v42, 8, v40
	v_cmp_ne_u16_e32 vcc, 0, v42
	v_mov_b32_e32 v44, 0
	v_mov_b32_e32 v54, 0
	s_and_saveexec_b64 s[12:13], vcc
	s_cbranch_execz .LBB653_561
; %bb.556:                              ;   in Loop: Header=BB653_213 Depth=1
	v_cmp_ne_u16_e32 vcc, s9, v42
	v_bfrev_b32_e32 v54, 1
	s_and_saveexec_b64 s[14:15], vcc
	s_cbranch_execz .LBB653_560
; %bb.557:                              ;   in Loop: Header=BB653_213 Depth=1
	v_and_b32_e32 v55, 0x7f, v42
	v_cmp_ne_u32_e32 vcc, s19, v55
	v_mov_b32_e32 v54, 0x7f800001
	s_and_saveexec_b64 s[16:17], vcc
	s_cbranch_execz .LBB653_559
; %bb.558:                              ;   in Loop: Header=BB653_213 Depth=1
	v_and_b32_e32 v54, 7, v42
	v_ffbh_u32_e32 v56, v54
	v_min_u32_e32 v59, 32, v56
	v_subrev_u32_e32 v56, 28, v59
	v_lshlrev_b64 v[56:57], v56, v[42:43]
	v_lshrrev_b32_e32 v58, 3, v55
	v_sub_u32_e32 v42, 29, v59
	v_and_b32_e32 v56, 7, v56
	v_cmp_gt_u32_e32 vcc, 8, v55
	v_cndmask_b32_e32 v42, v58, v42, vcc
	v_cndmask_b32_e32 v54, v54, v56, vcc
	v_lshlrev_b32_e32 v55, 16, v40
	v_lshlrev_b32_e32 v54, 20, v54
	v_and_b32_e32 v55, 0x80000000, v55
	v_lshl_add_u32 v42, v42, 23, v45
	v_or3_b32 v54, v55, v42, v54
.LBB653_559:                            ;   in Loop: Header=BB653_213 Depth=1
	s_or_b64 exec, exec, s[16:17]
.LBB653_560:                            ;   in Loop: Header=BB653_213 Depth=1
	s_or_b64 exec, exec, s[14:15]
.LBB653_561:                            ;   in Loop: Header=BB653_213 Depth=1
	s_or_b64 exec, exec, s[12:13]
	v_lshrrev_b32_e32 v42, 16, v40
	v_cmp_ne_u16_sdwa s[14:15], v42, v43 src0_sel:BYTE_0 src1_sel:DWORD
	s_and_saveexec_b64 s[12:13], s[14:15]
	s_cbranch_execz .LBB653_567
; %bb.562:                              ;   in Loop: Header=BB653_213 Depth=1
	v_cmp_ne_u16_sdwa s[16:17], v42, s9 src0_sel:BYTE_0 src1_sel:DWORD
	v_bfrev_b32_e32 v44, 1
	s_and_saveexec_b64 s[14:15], s[16:17]
	s_cbranch_execz .LBB653_566
; %bb.563:                              ;   in Loop: Header=BB653_213 Depth=1
	v_bfe_u32 v55, v40, 16, 7
	v_cmp_ne_u32_e32 vcc, s19, v55
	v_mov_b32_e32 v44, 0x7f800001
	s_and_saveexec_b64 s[16:17], vcc
	s_cbranch_execz .LBB653_565
; %bb.564:                              ;   in Loop: Header=BB653_213 Depth=1
	v_and_b32_e32 v44, 7, v42
	v_ffbh_u32_e32 v56, v44
	v_min_u32_e32 v59, 32, v56
	v_subrev_u32_e32 v56, 28, v59
	v_lshlrev_b64 v[56:57], v56, v[42:43]
	v_lshrrev_b32_e32 v58, 3, v55
	v_sub_u32_e32 v57, 29, v59
	v_and_b32_e32 v56, 7, v56
	v_cmp_gt_u32_e32 vcc, 8, v55
	v_cndmask_b32_e32 v55, v58, v57, vcc
	v_cndmask_b32_e32 v44, v44, v56, vcc
	v_lshlrev_b32_e32 v42, 24, v42
	v_lshlrev_b32_e32 v44, 20, v44
	v_and_b32_e32 v42, 0x80000000, v42
	v_lshl_add_u32 v55, v55, 23, v45
	v_or3_b32 v44, v42, v55, v44
.LBB653_565:                            ;   in Loop: Header=BB653_213 Depth=1
	s_or_b64 exec, exec, s[16:17]
.LBB653_566:                            ;   in Loop: Header=BB653_213 Depth=1
	s_or_b64 exec, exec, s[14:15]
.LBB653_567:                            ;   in Loop: Header=BB653_213 Depth=1
	s_or_b64 exec, exec, s[12:13]
	v_cmp_lt_u32_e32 vcc, s20, v40
	v_mov_b32_e32 v55, 0
	v_mov_b32_e32 v56, 0
	s_and_saveexec_b64 s[12:13], vcc
	s_cbranch_execz .LBB653_573
; %bb.568:                              ;   in Loop: Header=BB653_213 Depth=1
	v_lshrrev_b32_e32 v42, 24, v40
	v_cmp_ne_u32_e32 vcc, s9, v42
	v_bfrev_b32_e32 v56, 1
	s_and_saveexec_b64 s[14:15], vcc
	s_cbranch_execz .LBB653_572
; %bb.569:                              ;   in Loop: Header=BB653_213 Depth=1
	v_bfe_u32 v40, v40, 24, 7
	v_cmp_ne_u32_e32 vcc, s19, v40
	v_mov_b32_e32 v56, 0x7f800001
	s_and_saveexec_b64 s[16:17], vcc
	s_cbranch_execz .LBB653_571
; %bb.570:                              ;   in Loop: Header=BB653_213 Depth=1
	v_and_b32_e32 v58, 7, v42
	v_ffbh_u32_e32 v56, v58
	v_min_u32_e32 v60, 32, v56
	v_subrev_u32_e32 v56, 28, v60
	v_lshlrev_b64 v[56:57], v56, v[42:43]
	v_lshrrev_b32_e32 v59, 3, v40
	v_sub_u32_e32 v57, 29, v60
	v_and_b32_e32 v56, 7, v56
	v_cmp_gt_u32_e32 vcc, 8, v40
	v_cndmask_b32_e32 v40, v59, v57, vcc
	v_cndmask_b32_e32 v56, v58, v56, vcc
	v_lshlrev_b32_e32 v42, 24, v42
	v_lshlrev_b32_e32 v56, 20, v56
	v_and_b32_e32 v42, 0x80000000, v42
	v_lshl_add_u32 v40, v40, 23, v45
	v_or3_b32 v56, v42, v40, v56
.LBB653_571:                            ;   in Loop: Header=BB653_213 Depth=1
	s_or_b64 exec, exec, s[16:17]
.LBB653_572:                            ;   in Loop: Header=BB653_213 Depth=1
	s_or_b64 exec, exec, s[14:15]
.LBB653_573:                            ;   in Loop: Header=BB653_213 Depth=1
	s_or_b64 exec, exec, s[12:13]
	s_waitcnt vmcnt(0)
	v_cmp_ne_u16_sdwa s[14:15], v38, v43 src0_sel:BYTE_0 src1_sel:DWORD
	s_and_saveexec_b64 s[12:13], s[14:15]
	s_cbranch_execz .LBB653_579
; %bb.574:                              ;   in Loop: Header=BB653_213 Depth=1
	v_cmp_ne_u16_sdwa s[16:17], v38, s9 src0_sel:BYTE_0 src1_sel:DWORD
	v_bfrev_b32_e32 v55, 1
	s_and_saveexec_b64 s[14:15], s[16:17]
	s_cbranch_execz .LBB653_578
; %bb.575:                              ;   in Loop: Header=BB653_213 Depth=1
	v_and_b32_e32 v40, 0x7f, v38
	v_cmp_ne_u32_e32 vcc, s19, v40
	v_mov_b32_e32 v55, 0x7f800001
	s_and_saveexec_b64 s[16:17], vcc
	s_cbranch_execz .LBB653_577
; %bb.576:                              ;   in Loop: Header=BB653_213 Depth=1
	v_and_b32_e32 v42, 7, v38
	v_ffbh_u32_e32 v57, v42
	v_min_u32_e32 v57, 32, v57
	v_subrev_u32_e32 v58, 28, v57
	v_lshlrev_b64 v[58:59], v58, v[38:39]
	v_lshrrev_b32_e32 v55, 3, v40
	v_sub_u32_e32 v57, 29, v57
	v_and_b32_e32 v58, 7, v58
	v_cmp_gt_u32_e32 vcc, 8, v40
	v_cndmask_b32_e32 v40, v55, v57, vcc
	v_cndmask_b32_e32 v42, v42, v58, vcc
	v_lshlrev_b32_e32 v55, 24, v38
	v_lshlrev_b32_e32 v42, 20, v42
	v_and_b32_e32 v55, 0x80000000, v55
	v_lshl_add_u32 v40, v40, 23, v45
	v_or3_b32 v55, v55, v40, v42
.LBB653_577:                            ;   in Loop: Header=BB653_213 Depth=1
	s_or_b64 exec, exec, s[16:17]
.LBB653_578:                            ;   in Loop: Header=BB653_213 Depth=1
	s_or_b64 exec, exec, s[14:15]
.LBB653_579:                            ;   in Loop: Header=BB653_213 Depth=1
	s_or_b64 exec, exec, s[12:13]
	v_lshrrev_b16_e32 v40, 8, v38
	v_cmp_ne_u16_e32 vcc, 0, v40
	v_mov_b32_e32 v42, 0
	v_mov_b32_e32 v57, 0
	s_and_saveexec_b64 s[12:13], vcc
	s_cbranch_execz .LBB653_585
; %bb.580:                              ;   in Loop: Header=BB653_213 Depth=1
	v_cmp_ne_u16_e32 vcc, s9, v40
	v_bfrev_b32_e32 v57, 1
	s_and_saveexec_b64 s[14:15], vcc
	s_cbranch_execz .LBB653_584
; %bb.581:                              ;   in Loop: Header=BB653_213 Depth=1
	v_and_b32_e32 v58, 0x7f, v40
	v_cmp_ne_u32_e32 vcc, s19, v58
	v_mov_b32_e32 v57, 0x7f800001
	s_and_saveexec_b64 s[16:17], vcc
	s_cbranch_execz .LBB653_583
; %bb.582:                              ;   in Loop: Header=BB653_213 Depth=1
	v_and_b32_e32 v57, 7, v40
	v_ffbh_u32_e32 v60, v57
	v_min_u32_e32 v62, 32, v60
	v_subrev_u32_e32 v60, 28, v62
	v_lshlrev_b64 v[60:61], v60, v[40:41]
	v_lshrrev_b32_e32 v59, 3, v58
	v_sub_u32_e32 v40, 29, v62
	v_and_b32_e32 v60, 7, v60
	v_cmp_gt_u32_e32 vcc, 8, v58
	v_cndmask_b32_e32 v40, v59, v40, vcc
	v_cndmask_b32_e32 v57, v57, v60, vcc
	v_lshlrev_b32_e32 v58, 16, v38
	v_lshlrev_b32_e32 v57, 20, v57
	v_and_b32_e32 v58, 0x80000000, v58
	v_lshl_add_u32 v40, v40, 23, v45
	v_or3_b32 v57, v58, v40, v57
.LBB653_583:                            ;   in Loop: Header=BB653_213 Depth=1
	s_or_b64 exec, exec, s[16:17]
.LBB653_584:                            ;   in Loop: Header=BB653_213 Depth=1
	s_or_b64 exec, exec, s[14:15]
.LBB653_585:                            ;   in Loop: Header=BB653_213 Depth=1
	s_or_b64 exec, exec, s[12:13]
	v_lshrrev_b32_e32 v40, 16, v38
	v_cmp_ne_u16_sdwa s[14:15], v40, v43 src0_sel:BYTE_0 src1_sel:DWORD
	s_and_saveexec_b64 s[12:13], s[14:15]
	s_cbranch_execz .LBB653_591
; %bb.586:                              ;   in Loop: Header=BB653_213 Depth=1
	v_cmp_ne_u16_sdwa s[16:17], v40, s9 src0_sel:BYTE_0 src1_sel:DWORD
	v_bfrev_b32_e32 v42, 1
	s_and_saveexec_b64 s[14:15], s[16:17]
	s_cbranch_execz .LBB653_590
; %bb.587:                              ;   in Loop: Header=BB653_213 Depth=1
	v_bfe_u32 v58, v38, 16, 7
	v_cmp_ne_u32_e32 vcc, s19, v58
	v_mov_b32_e32 v42, 0x7f800001
	s_and_saveexec_b64 s[16:17], vcc
	s_cbranch_execz .LBB653_589
; %bb.588:                              ;   in Loop: Header=BB653_213 Depth=1
	v_and_b32_e32 v42, 7, v40
	v_ffbh_u32_e32 v60, v42
	v_min_u32_e32 v62, 32, v60
	v_subrev_u32_e32 v60, 28, v62
	v_lshlrev_b64 v[60:61], v60, v[40:41]
	v_lshrrev_b32_e32 v59, 3, v58
	v_sub_u32_e32 v61, 29, v62
	v_and_b32_e32 v60, 7, v60
	v_cmp_gt_u32_e32 vcc, 8, v58
	v_cndmask_b32_e32 v58, v59, v61, vcc
	v_cndmask_b32_e32 v42, v42, v60, vcc
	v_lshlrev_b32_e32 v40, 24, v40
	v_lshlrev_b32_e32 v42, 20, v42
	v_and_b32_e32 v40, 0x80000000, v40
	v_lshl_add_u32 v58, v58, 23, v45
	v_or3_b32 v42, v40, v58, v42
.LBB653_589:                            ;   in Loop: Header=BB653_213 Depth=1
	s_or_b64 exec, exec, s[16:17]
.LBB653_590:                            ;   in Loop: Header=BB653_213 Depth=1
	s_or_b64 exec, exec, s[14:15]
.LBB653_591:                            ;   in Loop: Header=BB653_213 Depth=1
	s_or_b64 exec, exec, s[12:13]
	v_cmp_lt_u32_e32 vcc, s20, v38
	v_mov_b32_e32 v58, 0
	s_and_saveexec_b64 s[12:13], vcc
	s_cbranch_execz .LBB653_212
; %bb.592:                              ;   in Loop: Header=BB653_213 Depth=1
	v_lshrrev_b32_e32 v40, 24, v38
	v_cmp_ne_u32_e32 vcc, s9, v40
	v_bfrev_b32_e32 v58, 1
	s_and_saveexec_b64 s[14:15], vcc
	s_cbranch_execz .LBB653_211
; %bb.593:                              ;   in Loop: Header=BB653_213 Depth=1
	v_bfe_u32 v38, v38, 24, 7
	v_cmp_ne_u32_e32 vcc, s19, v38
	v_mov_b32_e32 v58, 0x7f800001
	s_and_saveexec_b64 s[16:17], vcc
	s_cbranch_execz .LBB653_210
; %bb.594:                              ;   in Loop: Header=BB653_213 Depth=1
	v_and_b32_e32 v60, 7, v40
	v_ffbh_u32_e32 v58, v60
	v_min_u32_e32 v62, 32, v58
	v_subrev_u32_e32 v58, 28, v62
	v_lshlrev_b64 v[58:59], v58, v[40:41]
	v_lshrrev_b32_e32 v61, 3, v38
	v_sub_u32_e32 v59, 29, v62
	v_and_b32_e32 v58, 7, v58
	v_cmp_gt_u32_e32 vcc, 8, v38
	v_cndmask_b32_e32 v38, v61, v59, vcc
	v_cndmask_b32_e32 v58, v60, v58, vcc
	v_lshlrev_b32_e32 v40, 24, v40
	v_lshlrev_b32_e32 v58, 20, v58
	v_and_b32_e32 v40, 0x80000000, v40
	v_lshl_add_u32 v38, v38, 23, v45
	v_or3_b32 v58, v40, v38, v58
	s_branch .LBB653_210
.LBB653_595:
	s_barrier
	buffer_load_dword v2, off, s[0:3], 0 offset:320
	buffer_load_dword v5, off, s[0:3], 0 offset:332
	buffer_load_dword v3, off, s[0:3], 0 offset:324
	buffer_load_dword v4, off, s[0:3], 0 offset:328
	v_cmp_gt_u32_e32 vcc, 64, v0
	s_waitcnt vmcnt(0)
	ds_write2st64_b64 v39, v[2:3], v[4:5] offset1:1
	s_waitcnt lgkmcnt(0)
	s_barrier
	s_and_saveexec_b64 s[4:5], vcc
	s_cbranch_execz .LBB653_597
; %bb.596:
	s_lshl_b32 s6, s50, 7
	s_mul_i32 s4, s18, s8
	s_mul_hi_u32 s5, s4, s6
	s_mul_i32 s4, s4, s6
	s_lshl_b64 s[4:5], s[4:5], 1
	s_add_u32 s7, s48, s4
	v_lshlrev_b32_e32 v4, 6, v48
	s_addc_u32 s8, s49, s5
	s_lshl_b32 s4, s26, 7
	s_mov_b32 s5, 0
	v_lshl_or_b32 v0, v0, 10, v4
	s_lshl_b64 s[4:5], s[4:5], 1
	v_lshlrev_b32_e32 v2, 5, v1
	v_and_b32_e32 v3, 16, v49
	v_and_b32_e32 v0, 0x1a00, v0
	s_add_u32 s4, s7, s4
	v_or3_b32 v0, v0, v2, v3
	s_addc_u32 s5, s8, s5
	ds_read_b128 v[2:5], v0
	ds_read_b128 v[6:9], v0 offset:128
	ds_read_b128 v[10:13], v0 offset:256
	;; [unrolled: 1-line block ×3, first 2 shown]
	v_mov_b32_e32 v0, s5
	v_add_co_u32_e32 v18, vcc, s4, v47
	v_or_b32_e32 v20, s27, v1
	v_addc_co_u32_e32 v19, vcc, 0, v0, vcc
	v_mad_u64_u32 v[0:1], s[4:5], v20, s6, 0
	v_lshlrev_b64 v[0:1], 1, v[0:1]
	v_add_co_u32_e32 v0, vcc, v18, v0
	v_addc_co_u32_e32 v1, vcc, v19, v1, vcc
	s_waitcnt lgkmcnt(3)
	global_store_dwordx4 v[0:1], v[2:5], off
	v_or_b32_e32 v0, 4, v20
	v_mad_u64_u32 v[0:1], s[4:5], v0, s6, 0
	v_lshlrev_b64 v[0:1], 1, v[0:1]
	v_add_co_u32_e32 v0, vcc, v18, v0
	v_addc_co_u32_e32 v1, vcc, v19, v1, vcc
	s_waitcnt lgkmcnt(2)
	global_store_dwordx4 v[0:1], v[6:9], off
	v_or_b32_e32 v0, 8, v20
	;; [unrolled: 7-line block ×3, first 2 shown]
	v_mad_u64_u32 v[0:1], s[4:5], v0, s6, 0
	v_lshlrev_b64 v[0:1], 1, v[0:1]
	v_add_co_u32_e32 v0, vcc, v18, v0
	v_addc_co_u32_e32 v1, vcc, v19, v1, vcc
	s_waitcnt lgkmcnt(0)
	global_store_dwordx4 v[0:1], v[14:17], off
.LBB653_597:
	s_endpgm
	.section	.rodata,"a",@progbits
	.p2align	6, 0x0
	.amdhsa_kernel _Z39paged_attention_ll4mi_QKV_mfma16_kernelIDF16_hLN4vllm18Fp8KVCacheDataTypeE1EDF16_Li32ELi128ELi256ELb1ELi16EL8MFMAType0EEvPKT_PKT0_S8_ifPKiSA_SA_iPKfiiiPfSD_PS3_PT2_iSC_SC_
		.amdhsa_group_segment_fixed_size 8192
		.amdhsa_private_segment_fixed_size 352
		.amdhsa_kernarg_size 400
		.amdhsa_user_sgpr_count 8
		.amdhsa_user_sgpr_private_segment_buffer 1
		.amdhsa_user_sgpr_dispatch_ptr 0
		.amdhsa_user_sgpr_queue_ptr 0
		.amdhsa_user_sgpr_kernarg_segment_ptr 1
		.amdhsa_user_sgpr_dispatch_id 0
		.amdhsa_user_sgpr_flat_scratch_init 1
		.amdhsa_user_sgpr_kernarg_preload_length 0
		.amdhsa_user_sgpr_kernarg_preload_offset 0
		.amdhsa_user_sgpr_private_segment_size 0
		.amdhsa_uses_dynamic_stack 0
		.amdhsa_system_sgpr_private_segment_wavefront_offset 1
		.amdhsa_system_sgpr_workgroup_id_x 1
		.amdhsa_system_sgpr_workgroup_id_y 1
		.amdhsa_system_sgpr_workgroup_id_z 1
		.amdhsa_system_sgpr_workgroup_info 0
		.amdhsa_system_vgpr_workitem_id 0
		.amdhsa_next_free_vgpr 76
		.amdhsa_next_free_sgpr 53
		.amdhsa_accum_offset 76
		.amdhsa_reserve_vcc 1
		.amdhsa_reserve_flat_scratch 0
		.amdhsa_float_round_mode_32 0
		.amdhsa_float_round_mode_16_64 0
		.amdhsa_float_denorm_mode_32 3
		.amdhsa_float_denorm_mode_16_64 3
		.amdhsa_dx10_clamp 1
		.amdhsa_ieee_mode 1
		.amdhsa_fp16_overflow 0
		.amdhsa_tg_split 0
		.amdhsa_exception_fp_ieee_invalid_op 0
		.amdhsa_exception_fp_denorm_src 0
		.amdhsa_exception_fp_ieee_div_zero 0
		.amdhsa_exception_fp_ieee_overflow 0
		.amdhsa_exception_fp_ieee_underflow 0
		.amdhsa_exception_fp_ieee_inexact 0
		.amdhsa_exception_int_div_zero 0
	.end_amdhsa_kernel
	.section	.text._Z39paged_attention_ll4mi_QKV_mfma16_kernelIDF16_hLN4vllm18Fp8KVCacheDataTypeE1EDF16_Li32ELi128ELi256ELb1ELi16EL8MFMAType0EEvPKT_PKT0_S8_ifPKiSA_SA_iPKfiiiPfSD_PS3_PT2_iSC_SC_,"axG",@progbits,_Z39paged_attention_ll4mi_QKV_mfma16_kernelIDF16_hLN4vllm18Fp8KVCacheDataTypeE1EDF16_Li32ELi128ELi256ELb1ELi16EL8MFMAType0EEvPKT_PKT0_S8_ifPKiSA_SA_iPKfiiiPfSD_PS3_PT2_iSC_SC_,comdat
.Lfunc_end653:
	.size	_Z39paged_attention_ll4mi_QKV_mfma16_kernelIDF16_hLN4vllm18Fp8KVCacheDataTypeE1EDF16_Li32ELi128ELi256ELb1ELi16EL8MFMAType0EEvPKT_PKT0_S8_ifPKiSA_SA_iPKfiiiPfSD_PS3_PT2_iSC_SC_, .Lfunc_end653-_Z39paged_attention_ll4mi_QKV_mfma16_kernelIDF16_hLN4vllm18Fp8KVCacheDataTypeE1EDF16_Li32ELi128ELi256ELb1ELi16EL8MFMAType0EEvPKT_PKT0_S8_ifPKiSA_SA_iPKfiiiPfSD_PS3_PT2_iSC_SC_
                                        ; -- End function
	.section	.AMDGPU.csdata,"",@progbits
; Kernel info:
; codeLenInByte = 21484
; NumSgprs: 57
; NumVgprs: 76
; NumAgprs: 0
; TotalNumVgprs: 76
; ScratchSize: 352
; MemoryBound: 0
; FloatMode: 240
; IeeeMode: 1
; LDSByteSize: 8192 bytes/workgroup (compile time only)
; SGPRBlocks: 7
; VGPRBlocks: 9
; NumSGPRsForWavesPerEU: 57
; NumVGPRsForWavesPerEU: 76
; AccumOffset: 76
; Occupancy: 6
; WaveLimiterHint : 1
; COMPUTE_PGM_RSRC2:SCRATCH_EN: 1
; COMPUTE_PGM_RSRC2:USER_SGPR: 8
; COMPUTE_PGM_RSRC2:TRAP_HANDLER: 0
; COMPUTE_PGM_RSRC2:TGID_X_EN: 1
; COMPUTE_PGM_RSRC2:TGID_Y_EN: 1
; COMPUTE_PGM_RSRC2:TGID_Z_EN: 1
; COMPUTE_PGM_RSRC2:TIDIG_COMP_CNT: 0
; COMPUTE_PGM_RSRC3_GFX90A:ACCUM_OFFSET: 18
; COMPUTE_PGM_RSRC3_GFX90A:TG_SPLIT: 0
	.section	.text._Z39paged_attention_ll4mi_QKV_mfma16_kernelIDF16_hLN4vllm18Fp8KVCacheDataTypeE1EDF16_Li32ELi128ELi256ELb1ELi1EL8MFMAType0EEvPKT_PKT0_S8_ifPKiSA_SA_iPKfiiiPfSD_PS3_PT2_iSC_SC_,"axG",@progbits,_Z39paged_attention_ll4mi_QKV_mfma16_kernelIDF16_hLN4vllm18Fp8KVCacheDataTypeE1EDF16_Li32ELi128ELi256ELb1ELi1EL8MFMAType0EEvPKT_PKT0_S8_ifPKiSA_SA_iPKfiiiPfSD_PS3_PT2_iSC_SC_,comdat
	.protected	_Z39paged_attention_ll4mi_QKV_mfma16_kernelIDF16_hLN4vllm18Fp8KVCacheDataTypeE1EDF16_Li32ELi128ELi256ELb1ELi1EL8MFMAType0EEvPKT_PKT0_S8_ifPKiSA_SA_iPKfiiiPfSD_PS3_PT2_iSC_SC_ ; -- Begin function _Z39paged_attention_ll4mi_QKV_mfma16_kernelIDF16_hLN4vllm18Fp8KVCacheDataTypeE1EDF16_Li32ELi128ELi256ELb1ELi1EL8MFMAType0EEvPKT_PKT0_S8_ifPKiSA_SA_iPKfiiiPfSD_PS3_PT2_iSC_SC_
	.globl	_Z39paged_attention_ll4mi_QKV_mfma16_kernelIDF16_hLN4vllm18Fp8KVCacheDataTypeE1EDF16_Li32ELi128ELi256ELb1ELi1EL8MFMAType0EEvPKT_PKT0_S8_ifPKiSA_SA_iPKfiiiPfSD_PS3_PT2_iSC_SC_
	.p2align	8
	.type	_Z39paged_attention_ll4mi_QKV_mfma16_kernelIDF16_hLN4vllm18Fp8KVCacheDataTypeE1EDF16_Li32ELi128ELi256ELb1ELi1EL8MFMAType0EEvPKT_PKT0_S8_ifPKiSA_SA_iPKfiiiPfSD_PS3_PT2_iSC_SC_,@function
_Z39paged_attention_ll4mi_QKV_mfma16_kernelIDF16_hLN4vllm18Fp8KVCacheDataTypeE1EDF16_Li32ELi128ELi256ELb1ELi1EL8MFMAType0EEvPKT_PKT0_S8_ifPKiSA_SA_iPKfiiiPfSD_PS3_PT2_iSC_SC_: ; @_Z39paged_attention_ll4mi_QKV_mfma16_kernelIDF16_hLN4vllm18Fp8KVCacheDataTypeE1EDF16_Li32ELi128ELi256ELb1ELi1EL8MFMAType0EEvPKT_PKT0_S8_ifPKiSA_SA_iPKfiiiPfSD_PS3_PT2_iSC_SC_
; %bb.0:
	s_load_dwordx2 s[6:7], s[4:5], 0x30
	s_add_u32 s0, s0, s11
	s_addc_u32 s1, s1, 0
	s_mov_b32 s28, s9
	s_mov_b64 s[14:15], 0
	s_waitcnt lgkmcnt(0)
	s_cmp_lg_u64 s[6:7], 0
	s_cselect_b64 s[12:13], -1, 0
	s_and_b64 vcc, exec, s[12:13]
	s_cbranch_vccz .LBB654_7
; %bb.1:
	s_add_i32 s16, s8, 1
	s_mov_b32 s17, 0
	s_lshl_b64 s[18:19], s[16:17], 2
	s_add_u32 s18, s6, s18
	s_mov_b32 s9, s17
	s_addc_u32 s19, s7, s19
	s_lshl_b64 s[16:17], s[8:9], 2
	s_add_u32 s16, s6, s16
	s_addc_u32 s17, s7, s17
	s_load_dword s11, s[18:19], 0x0
	s_load_dword s20, s[16:17], 0x0
	s_waitcnt lgkmcnt(0)
	s_sub_i32 s11, s11, s20
	s_cmp_eq_u32 s11, 1
	s_cselect_b64 s[16:17], -1, 0
	s_andn2_b64 vcc, exec, s[14:15]
	s_cbranch_vccnz .LBB654_3
.LBB654_2:
	s_mov_b32 s9, 0
	s_mov_b64 s[16:17], -1
.LBB654_3:
	s_andn2_b64 vcc, exec, s[16:17]
	s_cbranch_vccnz .LBB654_599
; %bb.4:
	s_load_dwordx2 s[16:17], s[4:5], 0x28
	s_lshl_b64 s[14:15], s[8:9], 2
	s_waitcnt lgkmcnt(0)
	s_add_u32 s16, s16, s14
	s_addc_u32 s17, s17, s15
	s_load_dword s29, s[16:17], 0x0
	s_lshl_b32 s20, s28, 8
	s_waitcnt lgkmcnt(0)
	s_cmp_ge_i32 s20, s29
	s_cbranch_scc1 .LBB654_599
; %bb.5:
	s_add_i32 s18, s29, 31
	s_load_dwordx2 s[16:17], s[4:5], 0x20
	s_load_dword s11, s[4:5], 0x38
	s_ashr_i32 s19, s18, 31
	v_and_b32_e32 v1, 0xcf, v0
	s_lshr_b32 s19, s19, 27
	v_add_u32_e32 v1, s20, v1
	s_add_i32 s18, s18, s19
	v_ashrrev_i32_e32 v2, 31, v1
	s_ashr_i32 s23, s18, 5
	v_lshrrev_b32_e32 v4, 27, v2
	s_add_i32 s23, s23, -1
	v_add_u32_e32 v2, v1, v4
	s_waitcnt lgkmcnt(0)
	s_mul_i32 s18, s8, s11
	s_mov_b32 s19, 0
	v_ashrrev_i32_e32 v2, 5, v2
	v_mov_b32_e32 v5, s23
	v_cmp_gt_i32_e32 vcc, s29, v1
	s_lshl_b64 s[18:19], s[18:19], 2
	v_cndmask_b32_e32 v2, v5, v2, vcc
	s_add_u32 s21, s16, s18
	v_ashrrev_i32_e32 v3, 31, v2
	s_addc_u32 s22, s17, s19
	v_lshlrev_b64 v[2:3], 2, v[2:3]
	v_mov_b32_e32 v7, s22
	v_add_co_u32_e32 v6, vcc, s21, v2
	v_or_b32_e32 v2, 16, v1
	v_addc_co_u32_e32 v7, vcc, v7, v3, vcc
	v_add_u32_e32 v3, v2, v4
	v_ashrrev_i32_e32 v3, 5, v3
	v_cmp_gt_i32_e32 vcc, s29, v2
	v_cndmask_b32_e32 v2, v5, v3, vcc
	v_ashrrev_i32_e32 v3, 31, v2
	v_lshlrev_b64 v[2:3], 2, v[2:3]
	v_mov_b32_e32 v9, s22
	v_add_co_u32_e32 v8, vcc, s21, v2
	v_or_b32_e32 v2, 32, v1
	v_addc_co_u32_e32 v9, vcc, v9, v3, vcc
	v_add_u32_e32 v3, v2, v4
	v_ashrrev_i32_e32 v3, 5, v3
	v_cmp_gt_i32_e32 vcc, s29, v2
	v_cndmask_b32_e32 v2, v5, v3, vcc
	v_ashrrev_i32_e32 v3, 31, v2
	v_lshlrev_b64 v[2:3], 2, v[2:3]
	v_mov_b32_e32 v11, s22
	v_add_co_u32_e32 v10, vcc, s21, v2
	v_or_b32_e32 v1, 48, v1
	v_addc_co_u32_e32 v11, vcc, v11, v3, vcc
	v_add_u32_e32 v2, v1, v4
	v_ashrrev_i32_e32 v2, 5, v2
	v_cmp_gt_i32_e32 vcc, s29, v1
	v_cndmask_b32_e32 v2, v5, v2, vcc
	v_ashrrev_i32_e32 v3, 31, v2
	v_lshlrev_b64 v[2:3], 2, v[2:3]
	v_mov_b32_e32 v1, s22
	v_add_co_u32_e32 v12, vcc, s21, v2
	v_addc_co_u32_e32 v13, vcc, v1, v3, vcc
	global_load_dword v5, v[6:7], off
	global_load_dword v4, v[8:9], off
	;; [unrolled: 1-line block ×4, first 2 shown]
	s_load_dwordx2 s[16:17], s[4:5], 0x8
	s_andn2_b64 vcc, exec, s[12:13]
	s_cbranch_vccnz .LBB654_8
; %bb.6:
	s_add_u32 s6, s6, s14
	s_addc_u32 s7, s7, s15
	s_load_dword s11, s[6:7], 0x0
	s_branch .LBB654_9
.LBB654_7:
	s_mov_b64 s[16:17], 0
	s_branch .LBB654_2
.LBB654_8:
	s_mov_b32 s11, s8
.LBB654_9:
	s_load_dwordx2 s[6:7], s[4:5], 0x10
	s_load_dwordx4 s[12:15], s[4:5], 0x48
	v_lshrrev_b32_e32 v27, 6, v0
	v_bfe_u32 v39, v0, 4, 2
	v_and_b32_e32 v41, 15, v0
	v_lshl_or_b32 v1, v27, 2, v39
	v_lshlrev_b32_e32 v6, 3, v41
	v_cmp_eq_u32_e32 vcc, 0, v1
	v_lshlrev_b32_e32 v1, 1, v6
	v_lshlrev_b32_e32 v43, 4, v0
	s_and_saveexec_b64 s[18:19], vcc
	s_cbranch_execz .LBB654_11
; %bb.10:
	s_load_dwordx2 s[24:25], s[4:5], 0x0
	s_waitcnt lgkmcnt(0)
	s_ashr_i32 s15, s12, 31
	s_mul_hi_u32 s26, s11, s12
	s_mul_i32 s15, s11, s15
	s_add_i32 s27, s26, s15
	s_mul_i32 s26, s11, s12
	s_lshl_b64 s[26:27], s[26:27], 1
	s_add_u32 s11, s24, s26
	s_addc_u32 s12, s25, s27
	s_lshl_b32 s24, s10, 7
	s_ashr_i32 s25, s24, 31
	s_lshl_b64 s[24:25], s[24:25], 1
	s_add_u32 s24, s11, s24
	s_addc_u32 s25, s12, s25
	global_load_dwordx4 v[6:9], v1, s[24:25]
	v_lshlrev_b32_e32 v10, 8, v0
	v_lshlrev_b32_e32 v11, 8, v41
	v_and_b32_e32 v10, 0x600, v10
	v_and_b32_e32 v11, 0x800, v11
	;; [unrolled: 1-line block ×3, first 2 shown]
	v_or3_b32 v10, v11, v10, v12
	s_waitcnt vmcnt(0)
	ds_write_b128 v10, v[6:9]
.LBB654_11:
	s_or_b64 exec, exec, s[18:19]
	s_waitcnt lgkmcnt(0)
	s_mul_i32 s12, s10, s14
	s_add_u32 s14, s16, s12
	s_addc_u32 s15, s17, 0
	v_pk_mov_b32 v[6:7], s[14:15], s[14:15] op_sel:[0,1]
	s_waitcnt vmcnt(3)
	v_mad_i64_i32 v[8:9], s[14:15], v5, s13, v[6:7]
	v_lshlrev_b32_e32 v11, 4, v41
	v_and_b32_e32 v18, 48, v0
	v_add_co_u32_e32 v5, vcc, v8, v11
	v_lshlrev_b32_e32 v10, 5, v18
	v_addc_co_u32_e32 v9, vcc, 0, v9, vcc
	v_add_co_u32_e32 v8, vcc, v5, v10
	v_addc_co_u32_e32 v9, vcc, 0, v9, vcc
	s_load_dwordx2 s[52:53], s[4:5], 0x94
	s_waitcnt lgkmcnt(0)
	s_barrier
	global_load_dwordx4 v[20:23], v[8:9], off
	global_load_dwordx4 v[28:31], v[8:9], off offset:2048
	s_waitcnt vmcnt(4)
	v_mad_i64_i32 v[4:5], s[14:15], v4, s13, v[6:7]
	v_or_b32_e32 v8, 0x100, v11
	v_add_co_u32_e32 v4, vcc, v4, v8
	v_addc_co_u32_e32 v5, vcc, 0, v5, vcc
	v_add_co_u32_e32 v4, vcc, v4, v10
	v_addc_co_u32_e32 v5, vcc, 0, v5, vcc
	global_load_dwordx4 v[32:35], v[4:5], off
	global_load_dwordx4 v[44:47], v[4:5], off offset:2048
	s_waitcnt vmcnt(5)
	v_mad_i64_i32 v[4:5], s[14:15], v3, s13, v[6:7]
	v_add_co_u32_e32 v3, vcc, v4, v11
	v_addc_co_u32_e32 v5, vcc, 0, v5, vcc
	v_add_co_u32_e32 v4, vcc, v3, v10
	v_addc_co_u32_e32 v5, vcc, 0, v5, vcc
	s_waitcnt vmcnt(4)
	v_mad_i64_i32 v[2:3], s[14:15], v2, s13, v[6:7]
	v_add_co_u32_e32 v2, vcc, v2, v8
	v_addc_co_u32_e32 v3, vcc, 0, v3, vcc
	v_add_co_u32_e32 v2, vcc, v2, v10
	v_addc_co_u32_e32 v3, vcc, 0, v3, vcc
	global_load_dwordx4 v[48:51], v[4:5], off
	global_load_dwordx4 v[52:55], v[4:5], off offset:2048
	global_load_dwordx4 v[56:59], v[2:3], off
	global_load_dwordx4 v[60:63], v[2:3], off offset:2048
	v_lshlrev_b32_e32 v14, 9, v39
	s_load_dwordx2 s[54:55], s[4:5], 0x68
	s_load_dwordx4 s[44:47], s[4:5], 0x58
	ds_read_b128 v[2:5], v14
	ds_read_b128 v[6:9], v14 offset:16
	ds_read_b128 v[10:13], v14 offset:2048
	;; [unrolled: 1-line block ×3, first 2 shown]
	s_mov_b32 s16, 0
	v_cmp_eq_u32_e32 vcc, 0, v41
	s_waitcnt vmcnt(7)
	buffer_store_dword v23, off, s[0:3], 0 offset:12
	buffer_store_dword v22, off, s[0:3], 0 offset:8
	;; [unrolled: 1-line block ×3, first 2 shown]
	buffer_store_dword v20, off, s[0:3], 0
	s_waitcnt vmcnt(10)
	buffer_store_dword v31, off, s[0:3], 0 offset:28
	buffer_store_dword v30, off, s[0:3], 0 offset:24
	buffer_store_dword v29, off, s[0:3], 0 offset:20
	buffer_store_dword v28, off, s[0:3], 0 offset:16
	s_waitcnt vmcnt(13)
	buffer_store_dword v35, off, s[0:3], 0 offset:44
	buffer_store_dword v34, off, s[0:3], 0 offset:40
	buffer_store_dword v33, off, s[0:3], 0 offset:36
	buffer_store_dword v32, off, s[0:3], 0 offset:32
	;; [unrolled: 5-line block ×7, first 2 shown]
	v_mov_b32_e32 v35, 0
	v_mov_b32_e32 v31, 0
	s_and_saveexec_b64 s[14:15], vcc
	s_cbranch_execz .LBB654_13
; %bb.12:
	s_load_dwordx2 s[18:19], s[4:5], 0x40
	s_ashr_i32 s11, s10, 31
	s_lshl_b64 s[24:25], s[10:11], 2
	s_waitcnt lgkmcnt(0)
	s_add_u32 s18, s18, s24
	s_addc_u32 s19, s19, s25
	s_load_dword s11, s[18:19], 0x0
	s_waitcnt lgkmcnt(0)
	v_mov_b32_e32 v31, s11
.LBB654_13:
	s_or_b64 exec, exec, s[14:15]
	s_ashr_i32 s11, s20, 31
	v_or_b32_e32 v24, s20, v18
	s_lshr_b32 s11, s11, 27
	v_add_u32_e32 v18, s11, v24
	v_ashrrev_i32_e32 v18, 5, v18
	v_mov_b32_e32 v25, s23
	v_cmp_gt_i32_e32 vcc, s29, v24
	v_cndmask_b32_e32 v18, v25, v18, vcc
	v_ashrrev_i32_e32 v19, 31, v18
	v_lshlrev_b64 v[18:19], 2, v[18:19]
	v_mov_b32_e32 v20, s22
	v_add_co_u32_e32 v18, vcc, s21, v18
	v_addc_co_u32_e32 v19, vcc, v20, v19, vcc
	v_or_b32_e32 v20, 64, v24
	v_add_u32_e32 v21, s11, v20
	v_ashrrev_i32_e32 v21, 5, v21
	v_cmp_gt_i32_e32 vcc, s29, v20
	v_cndmask_b32_e32 v20, v25, v21, vcc
	v_ashrrev_i32_e32 v21, 31, v20
	v_lshlrev_b64 v[20:21], 2, v[20:21]
	v_mov_b32_e32 v22, s22
	v_add_co_u32_e32 v20, vcc, s21, v20
	v_addc_co_u32_e32 v21, vcc, v22, v21, vcc
	v_or_b32_e32 v22, 0x80, v24
	v_add_u32_e32 v23, s11, v22
	v_ashrrev_i32_e32 v23, 5, v23
	v_cmp_gt_i32_e32 vcc, s29, v22
	v_cndmask_b32_e32 v22, v25, v23, vcc
	v_ashrrev_i32_e32 v23, 31, v22
	v_lshlrev_b64 v[22:23], 2, v[22:23]
	v_mov_b32_e32 v26, s22
	v_add_co_u32_e32 v22, vcc, s21, v22
	v_addc_co_u32_e32 v23, vcc, v26, v23, vcc
	global_load_dword v26, v[18:19], off
	global_load_dword v28, v[20:21], off
	;; [unrolled: 1-line block ×3, first 2 shown]
	v_or_b32_e32 v18, 0xc0, v24
	v_add_u32_e32 v19, s11, v18
	v_ashrrev_i32_e32 v19, 5, v19
	v_cmp_gt_i32_e32 vcc, s29, v18
	v_cndmask_b32_e32 v18, v25, v19, vcc
	v_ashrrev_i32_e32 v19, 31, v18
	v_lshlrev_b64 v[18:19], 2, v[18:19]
	v_mov_b32_e32 v20, s22
	v_add_co_u32_e32 v18, vcc, s21, v18
	v_addc_co_u32_e32 v19, vcc, v20, v19, vcc
	global_load_dword v32, v[18:19], off
	s_add_u32 s6, s6, s12
	v_and_b32_e32 v18, 16, v0
	s_addc_u32 s7, s7, 0
	v_lshl_or_b32 v29, v27, 4, v41
	v_mov_b32_e32 v20, s7
	v_add_co_u32_e32 v34, vcc, s6, v18
	v_lshlrev_b32_e32 v19, 5, v29
	v_addc_co_u32_e32 v36, vcc, 0, v20, vcc
	v_add_co_u32_e32 v22, vcc, v34, v19
	v_addc_co_u32_e32 v23, vcc, 0, v36, vcc
	v_or_b32_e32 v33, 0x800, v19
	s_movk_i32 s11, 0x80
	s_movk_i32 s14, 0x7f
	s_mov_b32 s15, 0xffffff
	v_mov_b32_e32 v37, 0x100
	v_bfrev_b32_e32 v38, 60
	s_waitcnt vmcnt(3)
	v_mad_i64_i32 v[18:19], s[6:7], v26, s13, v[22:23]
	s_waitcnt vmcnt(2)
	v_mad_i64_i32 v[24:25], s[6:7], v28, s13, v[22:23]
	global_load_dwordx4 v[18:21], v[18:19], off
	s_nop 0
	global_load_dwordx4 v[52:55], v[24:25], off
	s_waitcnt vmcnt(3)
	v_mad_i64_i32 v[24:25], s[6:7], v30, s13, v[22:23]
	s_waitcnt vmcnt(2)
	v_mad_i64_i32 v[22:23], s[6:7], v32, s13, v[22:23]
	global_load_dwordx4 v[56:59], v[24:25], off
	global_load_dwordx4 v[60:63], v[22:23], off
	v_add_co_u32_e32 v22, vcc, v34, v33
	v_addc_co_u32_e32 v23, vcc, 0, v36, vcc
	v_mad_i64_i32 v[24:25], s[6:7], v26, s13, v[22:23]
	global_load_dwordx4 v[64:67], v[24:25], off
	v_mad_i64_i32 v[24:25], s[6:7], v28, s13, v[22:23]
	global_load_dwordx4 v[68:71], v[24:25], off
	;; [unrolled: 2-line block ×4, first 2 shown]
	s_load_dword s6, s[4:5], 0x1c
	s_load_dwordx4 s[48:51], s[4:5], 0x80
	v_mov_b32_e32 v22, 0x80
	v_add_u32_e32 v45, 16, v22
	v_add_u32_e32 v46, 32, v22
	v_add_u32_e32 v47, 48, v22
	s_waitcnt lgkmcnt(0)
	s_load_dword s4, s[48:49], 0x0
	v_add_u32_e32 v51, 64, v22
	v_add_u32_e32 v48, 0x50, v22
	;; [unrolled: 1-line block ×4, first 2 shown]
	v_mov_b32_e32 v22, s6
	s_waitcnt lgkmcnt(0)
	v_mul_f32_e32 v22, s4, v22
	v_and_b32_e32 v33, 63, v0
	v_mov_b32_e32 v36, 0
	v_mov_b32_e32 v24, v22
	;; [unrolled: 1-line block ×3, first 2 shown]
	s_waitcnt vmcnt(7)
	buffer_store_dword v21, off, s[0:3], 0 offset:140
	buffer_store_dword v20, off, s[0:3], 0 offset:136
	buffer_store_dword v19, off, s[0:3], 0 offset:132
	buffer_store_dword v18, off, s[0:3], 0 offset:128
	s_waitcnt vmcnt(10)
	buffer_store_dword v55, off, s[0:3], 0 offset:172
	buffer_store_dword v54, off, s[0:3], 0 offset:168
	buffer_store_dword v53, off, s[0:3], 0 offset:164
	buffer_store_dword v52, off, s[0:3], 0 offset:160
	;; [unrolled: 5-line block ×8, first 2 shown]
	s_branch .LBB654_17
.LBB654_14:                             ;   in Loop: Header=BB654_17 Depth=1
	s_or_b64 exec, exec, s[12:13]
.LBB654_15:                             ;   in Loop: Header=BB654_17 Depth=1
	s_or_b64 exec, exec, s[6:7]
.LBB654_16:                             ;   in Loop: Header=BB654_17 Depth=1
	s_or_b64 exec, exec, s[4:5]
	v_cvt_pkrtz_f16_f32 v54, v34, v32
	v_cvt_pkrtz_f16_f32 v55, v23, v42
	v_add_u32_e32 v26, s16, v37
	s_add_i32 s16, s16, 16
	v_mov_b32_e32 v23, v22
	v_mfma_f32_16x16x16f16 v[18:21], v[54:55], v[14:15], v[18:21]
	v_cvt_pkrtz_f16_f32 v54, v40, v44
	v_cvt_pkrtz_f16_f32 v55, v30, v52
	s_cmp_eq_u32 s16, 64
	v_add_u32_e32 v36, 32, v36
	v_mfma_f32_16x16x16f16 v[18:21], v[54:55], v[16:17], v[18:21]
	s_nop 7
	s_nop 2
	v_pk_mul_f32 v[18:19], v[24:25], v[18:19]
	v_pk_mul_f32 v[20:21], v[22:23], v[20:21]
	buffer_store_dword v19, v26, s[0:3], 0 offen offset:4
	buffer_store_dword v18, v26, s[0:3], 0 offen
	buffer_store_dword v21, v26, s[0:3], 0 offen offset:12
	buffer_store_dword v20, v26, s[0:3], 0 offen offset:8
	s_cbranch_scc1 .LBB654_207
.LBB654_17:                             ; =>This Inner Loop Header: Depth=1
	buffer_load_dword v20, v36, s[0:3], 0 offen
	buffer_load_dword v18, v36, s[0:3], 0 offen offset:4
	buffer_load_dword v28, v36, s[0:3], 0 offen offset:8
	buffer_load_dword v26, v36, s[0:3], 0 offen offset:12
	v_mov_b32_e32 v19, 0
	v_mov_b32_e32 v21, 0
	s_waitcnt vmcnt(3)
	v_cmp_ne_u16_sdwa s[6:7], v20, v35 src0_sel:BYTE_0 src1_sel:DWORD
	s_and_saveexec_b64 s[4:5], s[6:7]
	s_cbranch_execz .LBB654_23
; %bb.18:                               ;   in Loop: Header=BB654_17 Depth=1
	v_cmp_ne_u16_sdwa s[12:13], v20, s11 src0_sel:BYTE_0 src1_sel:DWORD
	v_bfrev_b32_e32 v21, 1
	s_and_saveexec_b64 s[6:7], s[12:13]
	s_cbranch_execz .LBB654_22
; %bb.19:                               ;   in Loop: Header=BB654_17 Depth=1
	v_and_b32_e32 v23, 0x7f, v20
	v_cmp_ne_u32_e32 vcc, s14, v23
	v_mov_b32_e32 v21, 0x7f800001
	s_and_saveexec_b64 s[12:13], vcc
	s_cbranch_execz .LBB654_21
; %bb.20:                               ;   in Loop: Header=BB654_17 Depth=1
	v_and_b32_e32 v21, 7, v20
	v_ffbh_u32_e32 v32, v21
	v_min_u32_e32 v32, 32, v32
	v_subrev_u32_e32 v34, 28, v32
	v_lshlrev_b64 v[52:53], v34, v[20:21]
	v_lshrrev_b32_e32 v30, 3, v23
	v_sub_u32_e32 v32, 29, v32
	v_and_b32_e32 v34, 7, v52
	v_cmp_gt_u32_e32 vcc, 8, v23
	v_cndmask_b32_e32 v23, v30, v32, vcc
	v_cndmask_b32_e32 v21, v21, v34, vcc
	v_lshlrev_b32_e32 v30, 24, v20
	v_lshlrev_b32_e32 v21, 20, v21
	v_and_b32_e32 v30, 0x80000000, v30
	v_lshl_add_u32 v23, v23, 23, v38
	v_or3_b32 v21, v30, v23, v21
.LBB654_21:                             ;   in Loop: Header=BB654_17 Depth=1
	s_or_b64 exec, exec, s[12:13]
.LBB654_22:                             ;   in Loop: Header=BB654_17 Depth=1
	s_or_b64 exec, exec, s[6:7]
.LBB654_23:                             ;   in Loop: Header=BB654_17 Depth=1
	s_or_b64 exec, exec, s[4:5]
	v_lshrrev_b16_e32 v30, 8, v20
	v_cmp_ne_u16_e32 vcc, 0, v30
	s_and_saveexec_b64 s[4:5], vcc
	s_cbranch_execz .LBB654_29
; %bb.24:                               ;   in Loop: Header=BB654_17 Depth=1
	v_cmp_ne_u16_e32 vcc, s11, v30
	v_bfrev_b32_e32 v19, 1
	s_and_saveexec_b64 s[6:7], vcc
	s_cbranch_execz .LBB654_28
; %bb.25:                               ;   in Loop: Header=BB654_17 Depth=1
	v_and_b32_e32 v23, 0x7f, v30
	v_cmp_ne_u32_e32 vcc, s14, v23
	v_mov_b32_e32 v19, 0x7f800001
	s_and_saveexec_b64 s[12:13], vcc
	s_cbranch_execz .LBB654_27
; %bb.26:                               ;   in Loop: Header=BB654_17 Depth=1
	v_and_b32_e32 v19, 7, v30
	v_ffbh_u32_e32 v34, v19
	v_min_u32_e32 v34, 32, v34
	v_subrev_u32_e32 v40, 28, v34
	v_lshlrev_b64 v[52:53], v40, v[30:31]
	v_lshrrev_b32_e32 v32, 3, v23
	v_sub_u32_e32 v30, 29, v34
	v_and_b32_e32 v34, 7, v52
	v_cmp_gt_u32_e32 vcc, 8, v23
	v_cndmask_b32_e32 v23, v32, v30, vcc
	v_cndmask_b32_e32 v19, v19, v34, vcc
	v_lshlrev_b32_e32 v30, 16, v20
	v_lshlrev_b32_e32 v19, 20, v19
	v_and_b32_e32 v30, 0x80000000, v30
	v_lshl_add_u32 v23, v23, 23, v38
	v_or3_b32 v19, v30, v23, v19
.LBB654_27:                             ;   in Loop: Header=BB654_17 Depth=1
	s_or_b64 exec, exec, s[12:13]
.LBB654_28:                             ;   in Loop: Header=BB654_17 Depth=1
	s_or_b64 exec, exec, s[6:7]
.LBB654_29:                             ;   in Loop: Header=BB654_17 Depth=1
	s_or_b64 exec, exec, s[4:5]
	v_lshrrev_b32_e32 v30, 16, v20
	v_cmp_ne_u16_sdwa s[6:7], v30, v35 src0_sel:BYTE_0 src1_sel:DWORD
	v_mov_b32_e32 v32, 0
	v_mov_b32_e32 v23, 0
	s_and_saveexec_b64 s[4:5], s[6:7]
	s_cbranch_execz .LBB654_35
; %bb.30:                               ;   in Loop: Header=BB654_17 Depth=1
	v_cmp_ne_u16_sdwa s[12:13], v30, s11 src0_sel:BYTE_0 src1_sel:DWORD
	v_bfrev_b32_e32 v23, 1
	s_and_saveexec_b64 s[6:7], s[12:13]
	s_cbranch_execz .LBB654_34
; %bb.31:                               ;   in Loop: Header=BB654_17 Depth=1
	v_bfe_u32 v34, v20, 16, 7
	v_cmp_ne_u32_e32 vcc, s14, v34
	v_mov_b32_e32 v23, 0x7f800001
	s_and_saveexec_b64 s[12:13], vcc
	s_cbranch_execz .LBB654_33
; %bb.32:                               ;   in Loop: Header=BB654_17 Depth=1
	v_and_b32_e32 v23, 7, v30
	v_ffbh_u32_e32 v42, v23
	v_min_u32_e32 v42, 32, v42
	v_subrev_u32_e32 v44, 28, v42
	v_lshlrev_b64 v[52:53], v44, v[30:31]
	v_lshrrev_b32_e32 v40, 3, v34
	v_sub_u32_e32 v42, 29, v42
	v_and_b32_e32 v44, 7, v52
	v_cmp_gt_u32_e32 vcc, 8, v34
	v_cndmask_b32_e32 v34, v40, v42, vcc
	v_cndmask_b32_e32 v23, v23, v44, vcc
	v_lshlrev_b32_e32 v30, 24, v30
	v_lshlrev_b32_e32 v23, 20, v23
	v_and_b32_e32 v30, 0x80000000, v30
	v_lshl_add_u32 v34, v34, 23, v38
	v_or3_b32 v23, v30, v34, v23
.LBB654_33:                             ;   in Loop: Header=BB654_17 Depth=1
	s_or_b64 exec, exec, s[12:13]
.LBB654_34:                             ;   in Loop: Header=BB654_17 Depth=1
	s_or_b64 exec, exec, s[6:7]
.LBB654_35:                             ;   in Loop: Header=BB654_17 Depth=1
	s_or_b64 exec, exec, s[4:5]
	v_cmp_lt_u32_e32 vcc, s15, v20
	s_and_saveexec_b64 s[4:5], vcc
	s_cbranch_execz .LBB654_41
; %bb.36:                               ;   in Loop: Header=BB654_17 Depth=1
	v_lshrrev_b32_e32 v30, 24, v20
	v_cmp_ne_u32_e32 vcc, s11, v30
	v_bfrev_b32_e32 v32, 1
	s_and_saveexec_b64 s[6:7], vcc
	s_cbranch_execz .LBB654_40
; %bb.37:                               ;   in Loop: Header=BB654_17 Depth=1
	v_bfe_u32 v20, v20, 24, 7
	v_cmp_ne_u32_e32 vcc, s14, v20
	v_mov_b32_e32 v32, 0x7f800001
	s_and_saveexec_b64 s[12:13], vcc
	s_cbranch_execz .LBB654_39
; %bb.38:                               ;   in Loop: Header=BB654_17 Depth=1
	v_and_b32_e32 v32, 7, v30
	v_ffbh_u32_e32 v40, v32
	v_min_u32_e32 v40, 32, v40
	v_subrev_u32_e32 v42, 28, v40
	v_lshlrev_b64 v[52:53], v42, v[30:31]
	v_lshrrev_b32_e32 v34, 3, v20
	v_sub_u32_e32 v40, 29, v40
	v_and_b32_e32 v42, 7, v52
	v_cmp_gt_u32_e32 vcc, 8, v20
	v_cndmask_b32_e32 v20, v34, v40, vcc
	v_cndmask_b32_e32 v32, v32, v42, vcc
	v_lshlrev_b32_e32 v30, 24, v30
	v_lshlrev_b32_e32 v32, 20, v32
	v_and_b32_e32 v30, 0x80000000, v30
	v_lshl_add_u32 v20, v20, 23, v38
	v_or3_b32 v32, v30, v20, v32
.LBB654_39:                             ;   in Loop: Header=BB654_17 Depth=1
	s_or_b64 exec, exec, s[12:13]
.LBB654_40:                             ;   in Loop: Header=BB654_17 Depth=1
	s_or_b64 exec, exec, s[6:7]
.LBB654_41:                             ;   in Loop: Header=BB654_17 Depth=1
	s_or_b64 exec, exec, s[4:5]
	s_waitcnt vmcnt(2)
	v_cmp_ne_u16_sdwa s[6:7], v18, v35 src0_sel:BYTE_0 src1_sel:DWORD
	v_mov_b32_e32 v30, 0
	v_mov_b32_e32 v34, 0
	s_and_saveexec_b64 s[4:5], s[6:7]
	s_cbranch_execz .LBB654_47
; %bb.42:                               ;   in Loop: Header=BB654_17 Depth=1
	v_cmp_ne_u16_sdwa s[12:13], v18, s11 src0_sel:BYTE_0 src1_sel:DWORD
	v_bfrev_b32_e32 v34, 1
	s_and_saveexec_b64 s[6:7], s[12:13]
	s_cbranch_execz .LBB654_46
; %bb.43:                               ;   in Loop: Header=BB654_17 Depth=1
	v_and_b32_e32 v20, 0x7f, v18
	v_cmp_ne_u32_e32 vcc, s14, v20
	v_mov_b32_e32 v34, 0x7f800001
	s_and_saveexec_b64 s[12:13], vcc
	s_cbranch_execz .LBB654_45
; %bb.44:                               ;   in Loop: Header=BB654_17 Depth=1
	v_and_b32_e32 v34, 7, v18
	v_ffbh_u32_e32 v42, v34
	v_min_u32_e32 v42, 32, v42
	v_subrev_u32_e32 v44, 28, v42
	v_lshlrev_b64 v[52:53], v44, v[18:19]
	v_lshrrev_b32_e32 v40, 3, v20
	v_sub_u32_e32 v42, 29, v42
	v_and_b32_e32 v44, 7, v52
	v_cmp_gt_u32_e32 vcc, 8, v20
	v_cndmask_b32_e32 v20, v40, v42, vcc
	v_cndmask_b32_e32 v34, v34, v44, vcc
	v_lshlrev_b32_e32 v40, 24, v18
	v_lshlrev_b32_e32 v34, 20, v34
	v_and_b32_e32 v40, 0x80000000, v40
	v_lshl_add_u32 v20, v20, 23, v38
	v_or3_b32 v34, v40, v20, v34
.LBB654_45:                             ;   in Loop: Header=BB654_17 Depth=1
	s_or_b64 exec, exec, s[12:13]
.LBB654_46:                             ;   in Loop: Header=BB654_17 Depth=1
	s_or_b64 exec, exec, s[6:7]
.LBB654_47:                             ;   in Loop: Header=BB654_17 Depth=1
	s_or_b64 exec, exec, s[4:5]
	v_lshrrev_b16_e32 v20, 8, v18
	v_cmp_ne_u16_e32 vcc, 0, v20
	s_and_saveexec_b64 s[4:5], vcc
	s_cbranch_execz .LBB654_53
; %bb.48:                               ;   in Loop: Header=BB654_17 Depth=1
	v_cmp_ne_u16_e32 vcc, s11, v20
	v_bfrev_b32_e32 v30, 1
	s_and_saveexec_b64 s[6:7], vcc
	s_cbranch_execz .LBB654_52
; %bb.49:                               ;   in Loop: Header=BB654_17 Depth=1
	v_and_b32_e32 v40, 0x7f, v20
	v_cmp_ne_u32_e32 vcc, s14, v40
	v_mov_b32_e32 v30, 0x7f800001
	s_and_saveexec_b64 s[12:13], vcc
	s_cbranch_execz .LBB654_51
; %bb.50:                               ;   in Loop: Header=BB654_17 Depth=1
	v_and_b32_e32 v30, 7, v20
	v_ffbh_u32_e32 v44, v30
	v_min_u32_e32 v44, 32, v44
	v_subrev_u32_e32 v52, 28, v44
	v_lshlrev_b64 v[52:53], v52, v[20:21]
	v_lshrrev_b32_e32 v42, 3, v40
	v_sub_u32_e32 v20, 29, v44
	v_and_b32_e32 v44, 7, v52
	v_cmp_gt_u32_e32 vcc, 8, v40
	v_cndmask_b32_e32 v20, v42, v20, vcc
	v_cndmask_b32_e32 v30, v30, v44, vcc
	v_lshlrev_b32_e32 v40, 16, v18
	v_lshlrev_b32_e32 v30, 20, v30
	v_and_b32_e32 v40, 0x80000000, v40
	v_lshl_add_u32 v20, v20, 23, v38
	v_or3_b32 v30, v40, v20, v30
.LBB654_51:                             ;   in Loop: Header=BB654_17 Depth=1
	s_or_b64 exec, exec, s[12:13]
.LBB654_52:                             ;   in Loop: Header=BB654_17 Depth=1
	s_or_b64 exec, exec, s[6:7]
.LBB654_53:                             ;   in Loop: Header=BB654_17 Depth=1
	s_or_b64 exec, exec, s[4:5]
	v_lshrrev_b32_e32 v20, 16, v18
	v_cmp_ne_u16_sdwa s[6:7], v20, v35 src0_sel:BYTE_0 src1_sel:DWORD
	v_mov_b32_e32 v42, 0
	v_mov_b32_e32 v40, 0
	s_and_saveexec_b64 s[4:5], s[6:7]
	s_cbranch_execz .LBB654_59
; %bb.54:                               ;   in Loop: Header=BB654_17 Depth=1
	v_cmp_ne_u16_sdwa s[12:13], v20, s11 src0_sel:BYTE_0 src1_sel:DWORD
	v_bfrev_b32_e32 v40, 1
	s_and_saveexec_b64 s[6:7], s[12:13]
	s_cbranch_execz .LBB654_58
; %bb.55:                               ;   in Loop: Header=BB654_17 Depth=1
	v_bfe_u32 v44, v18, 16, 7
	v_cmp_ne_u32_e32 vcc, s14, v44
	v_mov_b32_e32 v40, 0x7f800001
	s_and_saveexec_b64 s[12:13], vcc
	s_cbranch_execz .LBB654_57
; %bb.56:                               ;   in Loop: Header=BB654_17 Depth=1
	v_and_b32_e32 v40, 7, v20
	v_ffbh_u32_e32 v52, v40
	v_min_u32_e32 v55, 32, v52
	v_subrev_u32_e32 v52, 28, v55
	v_lshlrev_b64 v[52:53], v52, v[20:21]
	v_lshrrev_b32_e32 v54, 3, v44
	v_sub_u32_e32 v53, 29, v55
	v_and_b32_e32 v52, 7, v52
	v_cmp_gt_u32_e32 vcc, 8, v44
	v_cndmask_b32_e32 v44, v54, v53, vcc
	v_cndmask_b32_e32 v40, v40, v52, vcc
	v_lshlrev_b32_e32 v20, 24, v20
	v_lshlrev_b32_e32 v40, 20, v40
	v_and_b32_e32 v20, 0x80000000, v20
	v_lshl_add_u32 v44, v44, 23, v38
	v_or3_b32 v40, v20, v44, v40
.LBB654_57:                             ;   in Loop: Header=BB654_17 Depth=1
	s_or_b64 exec, exec, s[12:13]
.LBB654_58:                             ;   in Loop: Header=BB654_17 Depth=1
	s_or_b64 exec, exec, s[6:7]
.LBB654_59:                             ;   in Loop: Header=BB654_17 Depth=1
	s_or_b64 exec, exec, s[4:5]
	v_cmp_lt_u32_e32 vcc, s15, v18
	s_and_saveexec_b64 s[4:5], vcc
	s_cbranch_execz .LBB654_65
; %bb.60:                               ;   in Loop: Header=BB654_17 Depth=1
	v_lshrrev_b32_e32 v20, 24, v18
	v_cmp_ne_u32_e32 vcc, s11, v20
	v_bfrev_b32_e32 v42, 1
	s_and_saveexec_b64 s[6:7], vcc
	s_cbranch_execz .LBB654_64
; %bb.61:                               ;   in Loop: Header=BB654_17 Depth=1
	v_bfe_u32 v18, v18, 24, 7
	v_cmp_ne_u32_e32 vcc, s14, v18
	v_mov_b32_e32 v42, 0x7f800001
	s_and_saveexec_b64 s[12:13], vcc
	s_cbranch_execz .LBB654_63
; %bb.62:                               ;   in Loop: Header=BB654_17 Depth=1
	v_and_b32_e32 v42, 7, v20
	v_ffbh_u32_e32 v52, v42
	v_min_u32_e32 v54, 32, v52
	v_subrev_u32_e32 v52, 28, v54
	v_lshlrev_b64 v[52:53], v52, v[20:21]
	v_lshrrev_b32_e32 v44, 3, v18
	v_sub_u32_e32 v53, 29, v54
	v_and_b32_e32 v52, 7, v52
	v_cmp_gt_u32_e32 vcc, 8, v18
	v_cndmask_b32_e32 v18, v44, v53, vcc
	v_cndmask_b32_e32 v42, v42, v52, vcc
	v_lshlrev_b32_e32 v20, 24, v20
	v_lshlrev_b32_e32 v42, 20, v42
	v_and_b32_e32 v20, 0x80000000, v20
	v_lshl_add_u32 v18, v18, 23, v38
	v_or3_b32 v42, v20, v18, v42
.LBB654_63:                             ;   in Loop: Header=BB654_17 Depth=1
	s_or_b64 exec, exec, s[12:13]
.LBB654_64:                             ;   in Loop: Header=BB654_17 Depth=1
	s_or_b64 exec, exec, s[6:7]
.LBB654_65:                             ;   in Loop: Header=BB654_17 Depth=1
	s_or_b64 exec, exec, s[4:5]
	v_cvt_pkrtz_f16_f32 v18, v21, v19
	v_cvt_pkrtz_f16_f32 v19, v23, v32
	;; [unrolled: 1-line block ×4, first 2 shown]
	v_mov_b32_e32 v32, 0
	v_mfma_f32_16x16x16f16 v[18:21], v[18:19], v[2:3], 0
	s_waitcnt vmcnt(1)
	v_cmp_ne_u16_sdwa s[6:7], v28, v35 src0_sel:BYTE_0 src1_sel:DWORD
	v_mov_b32_e32 v34, 0
	v_mfma_f32_16x16x16f16 v[18:21], v[52:53], v[4:5], v[18:21]
	s_and_saveexec_b64 s[4:5], s[6:7]
	s_cbranch_execz .LBB654_71
; %bb.66:                               ;   in Loop: Header=BB654_17 Depth=1
	v_cmp_ne_u16_sdwa s[12:13], v28, s11 src0_sel:BYTE_0 src1_sel:DWORD
	v_bfrev_b32_e32 v34, 1
	s_and_saveexec_b64 s[6:7], s[12:13]
	s_cbranch_execz .LBB654_70
; %bb.67:                               ;   in Loop: Header=BB654_17 Depth=1
	v_and_b32_e32 v23, 0x7f, v28
	v_cmp_ne_u32_e32 vcc, s14, v23
	v_mov_b32_e32 v34, 0x7f800001
	s_and_saveexec_b64 s[12:13], vcc
	s_cbranch_execz .LBB654_69
; %bb.68:                               ;   in Loop: Header=BB654_17 Depth=1
	v_and_b32_e32 v30, 7, v28
	v_ffbh_u32_e32 v40, v30
	v_min_u32_e32 v40, 32, v40
	v_subrev_u32_e32 v42, 28, v40
	v_lshlrev_b64 v[52:53], v42, v[28:29]
	v_lshrrev_b32_e32 v34, 3, v23
	v_sub_u32_e32 v40, 29, v40
	v_and_b32_e32 v42, 7, v52
	v_cmp_gt_u32_e32 vcc, 8, v23
	v_cndmask_b32_e32 v23, v34, v40, vcc
	v_cndmask_b32_e32 v30, v30, v42, vcc
	v_lshlrev_b32_e32 v34, 24, v28
	v_lshlrev_b32_e32 v30, 20, v30
	v_and_b32_e32 v34, 0x80000000, v34
	v_lshl_add_u32 v23, v23, 23, v38
	v_or3_b32 v34, v34, v23, v30
.LBB654_69:                             ;   in Loop: Header=BB654_17 Depth=1
	s_or_b64 exec, exec, s[12:13]
.LBB654_70:                             ;   in Loop: Header=BB654_17 Depth=1
	s_or_b64 exec, exec, s[6:7]
.LBB654_71:                             ;   in Loop: Header=BB654_17 Depth=1
	s_or_b64 exec, exec, s[4:5]
	v_lshrrev_b16_e32 v30, 8, v28
	v_cmp_ne_u16_e32 vcc, 0, v30
	v_mov_b32_e32 v40, 0
	s_and_saveexec_b64 s[4:5], vcc
	s_cbranch_execz .LBB654_77
; %bb.72:                               ;   in Loop: Header=BB654_17 Depth=1
	v_cmp_ne_u16_e32 vcc, s11, v30
	v_bfrev_b32_e32 v40, 1
	s_and_saveexec_b64 s[6:7], vcc
	s_cbranch_execz .LBB654_76
; %bb.73:                               ;   in Loop: Header=BB654_17 Depth=1
	v_and_b32_e32 v23, 0x7f, v30
	v_cmp_ne_u32_e32 vcc, s14, v23
	v_mov_b32_e32 v40, 0x7f800001
	s_and_saveexec_b64 s[12:13], vcc
	s_cbranch_execz .LBB654_75
; %bb.74:                               ;   in Loop: Header=BB654_17 Depth=1
	v_and_b32_e32 v40, 7, v30
	v_ffbh_u32_e32 v44, v40
	v_min_u32_e32 v44, 32, v44
	v_subrev_u32_e32 v52, 28, v44
	v_lshlrev_b64 v[52:53], v52, v[30:31]
	v_lshrrev_b32_e32 v42, 3, v23
	v_sub_u32_e32 v30, 29, v44
	v_and_b32_e32 v44, 7, v52
	v_cmp_gt_u32_e32 vcc, 8, v23
	v_cndmask_b32_e32 v23, v42, v30, vcc
	v_cndmask_b32_e32 v30, v40, v44, vcc
	v_lshlrev_b32_e32 v40, 16, v28
	v_lshlrev_b32_e32 v30, 20, v30
	v_and_b32_e32 v40, 0x80000000, v40
	v_lshl_add_u32 v23, v23, 23, v38
	v_or3_b32 v40, v40, v23, v30
.LBB654_75:                             ;   in Loop: Header=BB654_17 Depth=1
	s_or_b64 exec, exec, s[12:13]
.LBB654_76:                             ;   in Loop: Header=BB654_17 Depth=1
	s_or_b64 exec, exec, s[6:7]
.LBB654_77:                             ;   in Loop: Header=BB654_17 Depth=1
	s_or_b64 exec, exec, s[4:5]
	v_lshrrev_b32_e32 v30, 16, v28
	v_cmp_ne_u16_sdwa s[6:7], v30, v35 src0_sel:BYTE_0 src1_sel:DWORD
	s_and_saveexec_b64 s[4:5], s[6:7]
	s_cbranch_execz .LBB654_83
; %bb.78:                               ;   in Loop: Header=BB654_17 Depth=1
	v_cmp_ne_u16_sdwa s[12:13], v30, s11 src0_sel:BYTE_0 src1_sel:DWORD
	v_bfrev_b32_e32 v32, 1
	s_and_saveexec_b64 s[6:7], s[12:13]
	s_cbranch_execz .LBB654_82
; %bb.79:                               ;   in Loop: Header=BB654_17 Depth=1
	v_bfe_u32 v23, v28, 16, 7
	v_cmp_ne_u32_e32 vcc, s14, v23
	v_mov_b32_e32 v32, 0x7f800001
	s_and_saveexec_b64 s[12:13], vcc
	s_cbranch_execz .LBB654_81
; %bb.80:                               ;   in Loop: Header=BB654_17 Depth=1
	v_and_b32_e32 v32, 7, v30
	v_ffbh_u32_e32 v44, v32
	v_min_u32_e32 v44, 32, v44
	v_subrev_u32_e32 v52, 28, v44
	v_lshlrev_b64 v[52:53], v52, v[30:31]
	v_lshrrev_b32_e32 v42, 3, v23
	v_sub_u32_e32 v44, 29, v44
	v_and_b32_e32 v52, 7, v52
	v_cmp_gt_u32_e32 vcc, 8, v23
	v_cndmask_b32_e32 v23, v42, v44, vcc
	v_cndmask_b32_e32 v32, v32, v52, vcc
	v_lshlrev_b32_e32 v30, 24, v30
	v_lshlrev_b32_e32 v32, 20, v32
	v_and_b32_e32 v30, 0x80000000, v30
	v_lshl_add_u32 v23, v23, 23, v38
	v_or3_b32 v32, v30, v23, v32
.LBB654_81:                             ;   in Loop: Header=BB654_17 Depth=1
	s_or_b64 exec, exec, s[12:13]
.LBB654_82:                             ;   in Loop: Header=BB654_17 Depth=1
	s_or_b64 exec, exec, s[6:7]
.LBB654_83:                             ;   in Loop: Header=BB654_17 Depth=1
	s_or_b64 exec, exec, s[4:5]
	v_cmp_lt_u32_e32 vcc, s15, v28
	v_mov_b32_e32 v42, 0
	v_mov_b32_e32 v44, 0
	s_and_saveexec_b64 s[4:5], vcc
	s_cbranch_execz .LBB654_89
; %bb.84:                               ;   in Loop: Header=BB654_17 Depth=1
	v_lshrrev_b32_e32 v30, 24, v28
	v_cmp_ne_u32_e32 vcc, s11, v30
	v_bfrev_b32_e32 v44, 1
	s_and_saveexec_b64 s[6:7], vcc
	s_cbranch_execz .LBB654_88
; %bb.85:                               ;   in Loop: Header=BB654_17 Depth=1
	v_bfe_u32 v23, v28, 24, 7
	v_cmp_ne_u32_e32 vcc, s14, v23
	v_mov_b32_e32 v44, 0x7f800001
	s_and_saveexec_b64 s[12:13], vcc
	s_cbranch_execz .LBB654_87
; %bb.86:                               ;   in Loop: Header=BB654_17 Depth=1
	v_and_b32_e32 v28, 7, v30
	v_ffbh_u32_e32 v52, v28
	v_min_u32_e32 v54, 32, v52
	v_subrev_u32_e32 v52, 28, v54
	v_lshlrev_b64 v[52:53], v52, v[30:31]
	v_lshrrev_b32_e32 v44, 3, v23
	v_sub_u32_e32 v53, 29, v54
	v_and_b32_e32 v52, 7, v52
	v_cmp_gt_u32_e32 vcc, 8, v23
	v_cndmask_b32_e32 v23, v44, v53, vcc
	v_cndmask_b32_e32 v28, v28, v52, vcc
	v_lshlrev_b32_e32 v30, 24, v30
	v_lshlrev_b32_e32 v28, 20, v28
	v_and_b32_e32 v30, 0x80000000, v30
	v_lshl_add_u32 v23, v23, 23, v38
	v_or3_b32 v44, v30, v23, v28
.LBB654_87:                             ;   in Loop: Header=BB654_17 Depth=1
	s_or_b64 exec, exec, s[12:13]
.LBB654_88:                             ;   in Loop: Header=BB654_17 Depth=1
	s_or_b64 exec, exec, s[6:7]
.LBB654_89:                             ;   in Loop: Header=BB654_17 Depth=1
	s_or_b64 exec, exec, s[4:5]
	s_waitcnt vmcnt(0)
	v_cmp_ne_u16_sdwa s[6:7], v26, v35 src0_sel:BYTE_0 src1_sel:DWORD
	s_and_saveexec_b64 s[4:5], s[6:7]
	s_cbranch_execz .LBB654_95
; %bb.90:                               ;   in Loop: Header=BB654_17 Depth=1
	v_cmp_ne_u16_sdwa s[12:13], v26, s11 src0_sel:BYTE_0 src1_sel:DWORD
	v_bfrev_b32_e32 v42, 1
	s_and_saveexec_b64 s[6:7], s[12:13]
	s_cbranch_execz .LBB654_94
; %bb.91:                               ;   in Loop: Header=BB654_17 Depth=1
	v_and_b32_e32 v23, 0x7f, v26
	v_cmp_ne_u32_e32 vcc, s14, v23
	v_mov_b32_e32 v42, 0x7f800001
	s_and_saveexec_b64 s[12:13], vcc
	s_cbranch_execz .LBB654_93
; %bb.92:                               ;   in Loop: Header=BB654_17 Depth=1
	v_and_b32_e32 v28, 7, v26
	v_ffbh_u32_e32 v42, v28
	v_min_u32_e32 v42, 32, v42
	v_subrev_u32_e32 v52, 28, v42
	v_lshlrev_b64 v[52:53], v52, v[26:27]
	v_lshrrev_b32_e32 v30, 3, v23
	v_sub_u32_e32 v42, 29, v42
	v_and_b32_e32 v52, 7, v52
	v_cmp_gt_u32_e32 vcc, 8, v23
	v_cndmask_b32_e32 v23, v30, v42, vcc
	v_cndmask_b32_e32 v28, v28, v52, vcc
	v_lshlrev_b32_e32 v30, 24, v26
	v_lshlrev_b32_e32 v28, 20, v28
	v_and_b32_e32 v30, 0x80000000, v30
	v_lshl_add_u32 v23, v23, 23, v38
	v_or3_b32 v42, v30, v23, v28
.LBB654_93:                             ;   in Loop: Header=BB654_17 Depth=1
	s_or_b64 exec, exec, s[12:13]
.LBB654_94:                             ;   in Loop: Header=BB654_17 Depth=1
	s_or_b64 exec, exec, s[6:7]
.LBB654_95:                             ;   in Loop: Header=BB654_17 Depth=1
	s_or_b64 exec, exec, s[4:5]
	v_lshrrev_b16_e32 v28, 8, v26
	v_cmp_ne_u16_e32 vcc, 0, v28
	v_mov_b32_e32 v52, 0
	v_mov_b32_e32 v53, 0
	s_and_saveexec_b64 s[4:5], vcc
	s_cbranch_execz .LBB654_101
; %bb.96:                               ;   in Loop: Header=BB654_17 Depth=1
	v_cmp_ne_u16_e32 vcc, s11, v28
	v_bfrev_b32_e32 v53, 1
	s_and_saveexec_b64 s[6:7], vcc
	s_cbranch_execz .LBB654_100
; %bb.97:                               ;   in Loop: Header=BB654_17 Depth=1
	v_and_b32_e32 v23, 0x7f, v28
	v_cmp_ne_u32_e32 vcc, s14, v23
	v_mov_b32_e32 v53, 0x7f800001
	s_and_saveexec_b64 s[12:13], vcc
	s_cbranch_execz .LBB654_99
; %bb.98:                               ;   in Loop: Header=BB654_17 Depth=1
	v_and_b32_e32 v30, 7, v28
	v_ffbh_u32_e32 v54, v30
	v_min_u32_e32 v56, 32, v54
	v_subrev_u32_e32 v54, 28, v56
	v_lshlrev_b64 v[54:55], v54, v[28:29]
	v_lshrrev_b32_e32 v53, 3, v23
	v_sub_u32_e32 v28, 29, v56
	v_and_b32_e32 v54, 7, v54
	v_cmp_gt_u32_e32 vcc, 8, v23
	v_cndmask_b32_e32 v23, v53, v28, vcc
	v_cndmask_b32_e32 v28, v30, v54, vcc
	v_lshlrev_b32_e32 v30, 16, v26
	v_lshlrev_b32_e32 v28, 20, v28
	v_and_b32_e32 v30, 0x80000000, v30
	v_lshl_add_u32 v23, v23, 23, v38
	v_or3_b32 v53, v30, v23, v28
.LBB654_99:                             ;   in Loop: Header=BB654_17 Depth=1
	s_or_b64 exec, exec, s[12:13]
.LBB654_100:                            ;   in Loop: Header=BB654_17 Depth=1
	s_or_b64 exec, exec, s[6:7]
.LBB654_101:                            ;   in Loop: Header=BB654_17 Depth=1
	s_or_b64 exec, exec, s[4:5]
	v_lshrrev_b32_e32 v28, 16, v26
	v_cmp_ne_u16_sdwa s[6:7], v28, v35 src0_sel:BYTE_0 src1_sel:DWORD
	s_and_saveexec_b64 s[4:5], s[6:7]
	s_cbranch_execz .LBB654_107
; %bb.102:                              ;   in Loop: Header=BB654_17 Depth=1
	v_cmp_ne_u16_sdwa s[12:13], v28, s11 src0_sel:BYTE_0 src1_sel:DWORD
	v_bfrev_b32_e32 v52, 1
	s_and_saveexec_b64 s[6:7], s[12:13]
	s_cbranch_execz .LBB654_106
; %bb.103:                              ;   in Loop: Header=BB654_17 Depth=1
	v_bfe_u32 v23, v26, 16, 7
	v_cmp_ne_u32_e32 vcc, s14, v23
	v_mov_b32_e32 v52, 0x7f800001
	s_and_saveexec_b64 s[12:13], vcc
	s_cbranch_execz .LBB654_105
; %bb.104:                              ;   in Loop: Header=BB654_17 Depth=1
	v_and_b32_e32 v30, 7, v28
	v_ffbh_u32_e32 v54, v30
	v_min_u32_e32 v56, 32, v54
	v_subrev_u32_e32 v54, 28, v56
	v_lshlrev_b64 v[54:55], v54, v[28:29]
	v_lshrrev_b32_e32 v52, 3, v23
	v_sub_u32_e32 v55, 29, v56
	v_and_b32_e32 v54, 7, v54
	v_cmp_gt_u32_e32 vcc, 8, v23
	v_cndmask_b32_e32 v23, v52, v55, vcc
	v_cndmask_b32_e32 v30, v30, v54, vcc
	v_lshlrev_b32_e32 v28, 24, v28
	v_lshlrev_b32_e32 v30, 20, v30
	v_and_b32_e32 v28, 0x80000000, v28
	v_lshl_add_u32 v23, v23, 23, v38
	v_or3_b32 v52, v28, v23, v30
.LBB654_105:                            ;   in Loop: Header=BB654_17 Depth=1
	s_or_b64 exec, exec, s[12:13]
.LBB654_106:                            ;   in Loop: Header=BB654_17 Depth=1
	s_or_b64 exec, exec, s[6:7]
.LBB654_107:                            ;   in Loop: Header=BB654_17 Depth=1
	s_or_b64 exec, exec, s[4:5]
	v_cmp_lt_u32_e32 vcc, s15, v26
	v_mov_b32_e32 v23, 0
	v_mov_b32_e32 v54, 0
	s_and_saveexec_b64 s[4:5], vcc
	s_cbranch_execz .LBB654_113
; %bb.108:                              ;   in Loop: Header=BB654_17 Depth=1
	v_lshrrev_b32_e32 v28, 24, v26
	v_cmp_ne_u32_e32 vcc, s11, v28
	v_bfrev_b32_e32 v54, 1
	s_and_saveexec_b64 s[6:7], vcc
	s_cbranch_execz .LBB654_112
; %bb.109:                              ;   in Loop: Header=BB654_17 Depth=1
	v_bfe_u32 v26, v26, 24, 7
	v_cmp_ne_u32_e32 vcc, s14, v26
	v_mov_b32_e32 v54, 0x7f800001
	s_and_saveexec_b64 s[12:13], vcc
	s_cbranch_execz .LBB654_111
; %bb.110:                              ;   in Loop: Header=BB654_17 Depth=1
	v_and_b32_e32 v30, 7, v28
	v_ffbh_u32_e32 v54, v30
	v_min_u32_e32 v57, 32, v54
	v_subrev_u32_e32 v54, 28, v57
	v_lshlrev_b64 v[54:55], v54, v[28:29]
	v_lshrrev_b32_e32 v56, 3, v26
	v_sub_u32_e32 v55, 29, v57
	v_and_b32_e32 v54, 7, v54
	v_cmp_gt_u32_e32 vcc, 8, v26
	v_cndmask_b32_e32 v26, v56, v55, vcc
	v_cndmask_b32_e32 v30, v30, v54, vcc
	v_lshlrev_b32_e32 v28, 24, v28
	v_lshlrev_b32_e32 v30, 20, v30
	v_and_b32_e32 v28, 0x80000000, v28
	v_lshl_add_u32 v26, v26, 23, v38
	v_or3_b32 v54, v28, v26, v30
.LBB654_111:                            ;   in Loop: Header=BB654_17 Depth=1
	s_or_b64 exec, exec, s[12:13]
.LBB654_112:                            ;   in Loop: Header=BB654_17 Depth=1
	s_or_b64 exec, exec, s[6:7]
.LBB654_113:                            ;   in Loop: Header=BB654_17 Depth=1
	s_or_b64 exec, exec, s[4:5]
	v_cvt_pkrtz_f16_f32 v57, v32, v44
	buffer_load_dword v32, v36, s[0:3], 0 offen offset:16
	buffer_load_dword v30, v36, s[0:3], 0 offen offset:20
	;; [unrolled: 1-line block ×4, first 2 shown]
	v_cvt_pkrtz_f16_f32 v56, v34, v40
	s_waitcnt vmcnt(3)
	v_cmp_ne_u16_sdwa s[6:7], v32, v35 src0_sel:BYTE_0 src1_sel:DWORD
	v_mfma_f32_16x16x16f16 v[18:21], v[56:57], v[6:7], v[18:21]
	v_cvt_pkrtz_f16_f32 v56, v42, v53
	v_cvt_pkrtz_f16_f32 v57, v52, v54
	s_nop 1
	v_mfma_f32_16x16x16f16 v[18:21], v[56:57], v[8:9], v[18:21]
	s_and_saveexec_b64 s[4:5], s[6:7]
	s_cbranch_execz .LBB654_119
; %bb.114:                              ;   in Loop: Header=BB654_17 Depth=1
	v_cmp_ne_u16_sdwa s[12:13], v32, s11 src0_sel:BYTE_0 src1_sel:DWORD
	v_bfrev_b32_e32 v23, 1
	s_and_saveexec_b64 s[6:7], s[12:13]
	s_cbranch_execz .LBB654_118
; %bb.115:                              ;   in Loop: Header=BB654_17 Depth=1
	v_and_b32_e32 v34, 0x7f, v32
	v_cmp_ne_u32_e32 vcc, s14, v34
	v_mov_b32_e32 v23, 0x7f800001
	s_and_saveexec_b64 s[12:13], vcc
	s_cbranch_execz .LBB654_117
; %bb.116:                              ;   in Loop: Header=BB654_17 Depth=1
	v_and_b32_e32 v23, 7, v32
	v_ffbh_u32_e32 v42, v23
	v_min_u32_e32 v42, 32, v42
	v_subrev_u32_e32 v44, 28, v42
	v_lshlrev_b64 v[52:53], v44, v[32:33]
	v_lshrrev_b32_e32 v40, 3, v34
	v_sub_u32_e32 v42, 29, v42
	v_and_b32_e32 v44, 7, v52
	v_cmp_gt_u32_e32 vcc, 8, v34
	v_cndmask_b32_e32 v34, v40, v42, vcc
	v_cndmask_b32_e32 v23, v23, v44, vcc
	v_lshlrev_b32_e32 v40, 24, v32
	v_lshlrev_b32_e32 v23, 20, v23
	v_and_b32_e32 v40, 0x80000000, v40
	v_lshl_add_u32 v34, v34, 23, v38
	v_or3_b32 v23, v40, v34, v23
.LBB654_117:                            ;   in Loop: Header=BB654_17 Depth=1
	s_or_b64 exec, exec, s[12:13]
.LBB654_118:                            ;   in Loop: Header=BB654_17 Depth=1
	s_or_b64 exec, exec, s[6:7]
.LBB654_119:                            ;   in Loop: Header=BB654_17 Depth=1
	s_or_b64 exec, exec, s[4:5]
	v_lshrrev_b16_e32 v34, 8, v32
	v_cmp_ne_u16_e32 vcc, 0, v34
	v_mov_b32_e32 v40, 0
	v_mov_b32_e32 v42, 0
	s_and_saveexec_b64 s[4:5], vcc
	s_cbranch_execz .LBB654_125
; %bb.120:                              ;   in Loop: Header=BB654_17 Depth=1
	v_cmp_ne_u16_e32 vcc, s11, v34
	v_bfrev_b32_e32 v42, 1
	s_and_saveexec_b64 s[6:7], vcc
	s_cbranch_execz .LBB654_124
; %bb.121:                              ;   in Loop: Header=BB654_17 Depth=1
	v_and_b32_e32 v44, 0x7f, v34
	v_cmp_ne_u32_e32 vcc, s14, v44
	v_mov_b32_e32 v42, 0x7f800001
	s_and_saveexec_b64 s[12:13], vcc
	s_cbranch_execz .LBB654_123
; %bb.122:                              ;   in Loop: Header=BB654_17 Depth=1
	v_and_b32_e32 v42, 7, v34
	v_ffbh_u32_e32 v52, v42
	v_min_u32_e32 v55, 32, v52
	v_subrev_u32_e32 v52, 28, v55
	v_lshlrev_b64 v[52:53], v52, v[34:35]
	v_lshrrev_b32_e32 v54, 3, v44
	v_sub_u32_e32 v34, 29, v55
	v_and_b32_e32 v52, 7, v52
	v_cmp_gt_u32_e32 vcc, 8, v44
	v_cndmask_b32_e32 v34, v54, v34, vcc
	v_cndmask_b32_e32 v42, v42, v52, vcc
	v_lshlrev_b32_e32 v44, 16, v32
	v_lshlrev_b32_e32 v42, 20, v42
	v_and_b32_e32 v44, 0x80000000, v44
	v_lshl_add_u32 v34, v34, 23, v38
	v_or3_b32 v42, v44, v34, v42
.LBB654_123:                            ;   in Loop: Header=BB654_17 Depth=1
	s_or_b64 exec, exec, s[12:13]
.LBB654_124:                            ;   in Loop: Header=BB654_17 Depth=1
	s_or_b64 exec, exec, s[6:7]
.LBB654_125:                            ;   in Loop: Header=BB654_17 Depth=1
	s_or_b64 exec, exec, s[4:5]
	v_lshrrev_b32_e32 v34, 16, v32
	v_cmp_ne_u16_sdwa s[6:7], v34, v35 src0_sel:BYTE_0 src1_sel:DWORD
	s_and_saveexec_b64 s[4:5], s[6:7]
	s_cbranch_execz .LBB654_131
; %bb.126:                              ;   in Loop: Header=BB654_17 Depth=1
	v_cmp_ne_u16_sdwa s[12:13], v34, s11 src0_sel:BYTE_0 src1_sel:DWORD
	v_bfrev_b32_e32 v40, 1
	s_and_saveexec_b64 s[6:7], s[12:13]
	s_cbranch_execz .LBB654_130
; %bb.127:                              ;   in Loop: Header=BB654_17 Depth=1
	v_bfe_u32 v44, v32, 16, 7
	v_cmp_ne_u32_e32 vcc, s14, v44
	v_mov_b32_e32 v40, 0x7f800001
	s_and_saveexec_b64 s[12:13], vcc
	s_cbranch_execz .LBB654_129
; %bb.128:                              ;   in Loop: Header=BB654_17 Depth=1
	v_and_b32_e32 v40, 7, v34
	v_ffbh_u32_e32 v52, v40
	v_min_u32_e32 v55, 32, v52
	v_subrev_u32_e32 v52, 28, v55
	v_lshlrev_b64 v[52:53], v52, v[34:35]
	v_lshrrev_b32_e32 v54, 3, v44
	v_sub_u32_e32 v53, 29, v55
	v_and_b32_e32 v52, 7, v52
	v_cmp_gt_u32_e32 vcc, 8, v44
	v_cndmask_b32_e32 v44, v54, v53, vcc
	v_cndmask_b32_e32 v40, v40, v52, vcc
	v_lshlrev_b32_e32 v34, 24, v34
	v_lshlrev_b32_e32 v40, 20, v40
	v_and_b32_e32 v34, 0x80000000, v34
	v_lshl_add_u32 v44, v44, 23, v38
	v_or3_b32 v40, v34, v44, v40
.LBB654_129:                            ;   in Loop: Header=BB654_17 Depth=1
	s_or_b64 exec, exec, s[12:13]
.LBB654_130:                            ;   in Loop: Header=BB654_17 Depth=1
	s_or_b64 exec, exec, s[6:7]
.LBB654_131:                            ;   in Loop: Header=BB654_17 Depth=1
	s_or_b64 exec, exec, s[4:5]
	v_cmp_lt_u32_e32 vcc, s15, v32
	v_mov_b32_e32 v44, 0
	v_mov_b32_e32 v52, 0
	s_and_saveexec_b64 s[4:5], vcc
	s_cbranch_execz .LBB654_137
; %bb.132:                              ;   in Loop: Header=BB654_17 Depth=1
	v_lshrrev_b32_e32 v34, 24, v32
	v_cmp_ne_u32_e32 vcc, s11, v34
	v_bfrev_b32_e32 v52, 1
	s_and_saveexec_b64 s[6:7], vcc
	s_cbranch_execz .LBB654_136
; %bb.133:                              ;   in Loop: Header=BB654_17 Depth=1
	v_bfe_u32 v32, v32, 24, 7
	v_cmp_ne_u32_e32 vcc, s14, v32
	v_mov_b32_e32 v52, 0x7f800001
	s_and_saveexec_b64 s[12:13], vcc
	s_cbranch_execz .LBB654_135
; %bb.134:                              ;   in Loop: Header=BB654_17 Depth=1
	v_and_b32_e32 v54, 7, v34
	v_ffbh_u32_e32 v52, v54
	v_min_u32_e32 v56, 32, v52
	v_subrev_u32_e32 v52, 28, v56
	v_lshlrev_b64 v[52:53], v52, v[34:35]
	v_lshrrev_b32_e32 v55, 3, v32
	v_sub_u32_e32 v53, 29, v56
	v_and_b32_e32 v52, 7, v52
	v_cmp_gt_u32_e32 vcc, 8, v32
	v_cndmask_b32_e32 v32, v55, v53, vcc
	v_cndmask_b32_e32 v52, v54, v52, vcc
	v_lshlrev_b32_e32 v34, 24, v34
	v_lshlrev_b32_e32 v52, 20, v52
	v_and_b32_e32 v34, 0x80000000, v34
	v_lshl_add_u32 v32, v32, 23, v38
	v_or3_b32 v52, v34, v32, v52
.LBB654_135:                            ;   in Loop: Header=BB654_17 Depth=1
	s_or_b64 exec, exec, s[12:13]
.LBB654_136:                            ;   in Loop: Header=BB654_17 Depth=1
	s_or_b64 exec, exec, s[6:7]
.LBB654_137:                            ;   in Loop: Header=BB654_17 Depth=1
	s_or_b64 exec, exec, s[4:5]
	s_waitcnt vmcnt(2)
	v_cmp_ne_u16_sdwa s[6:7], v30, v35 src0_sel:BYTE_0 src1_sel:DWORD
	s_and_saveexec_b64 s[4:5], s[6:7]
	s_cbranch_execz .LBB654_143
; %bb.138:                              ;   in Loop: Header=BB654_17 Depth=1
	v_cmp_ne_u16_sdwa s[12:13], v30, s11 src0_sel:BYTE_0 src1_sel:DWORD
	v_bfrev_b32_e32 v44, 1
	s_and_saveexec_b64 s[6:7], s[12:13]
	s_cbranch_execz .LBB654_142
; %bb.139:                              ;   in Loop: Header=BB654_17 Depth=1
	v_and_b32_e32 v32, 0x7f, v30
	v_cmp_ne_u32_e32 vcc, s14, v32
	v_mov_b32_e32 v44, 0x7f800001
	s_and_saveexec_b64 s[12:13], vcc
	s_cbranch_execz .LBB654_141
; %bb.140:                              ;   in Loop: Header=BB654_17 Depth=1
	v_and_b32_e32 v34, 7, v30
	v_ffbh_u32_e32 v53, v34
	v_min_u32_e32 v53, 32, v53
	v_subrev_u32_e32 v54, 28, v53
	v_lshlrev_b64 v[54:55], v54, v[30:31]
	v_lshrrev_b32_e32 v44, 3, v32
	v_sub_u32_e32 v53, 29, v53
	v_and_b32_e32 v54, 7, v54
	v_cmp_gt_u32_e32 vcc, 8, v32
	v_cndmask_b32_e32 v32, v44, v53, vcc
	v_cndmask_b32_e32 v34, v34, v54, vcc
	v_lshlrev_b32_e32 v44, 24, v30
	v_lshlrev_b32_e32 v34, 20, v34
	v_and_b32_e32 v44, 0x80000000, v44
	v_lshl_add_u32 v32, v32, 23, v38
	v_or3_b32 v44, v44, v32, v34
.LBB654_141:                            ;   in Loop: Header=BB654_17 Depth=1
	s_or_b64 exec, exec, s[12:13]
.LBB654_142:                            ;   in Loop: Header=BB654_17 Depth=1
	s_or_b64 exec, exec, s[6:7]
.LBB654_143:                            ;   in Loop: Header=BB654_17 Depth=1
	s_or_b64 exec, exec, s[4:5]
	v_lshrrev_b16_e32 v32, 8, v30
	v_cmp_ne_u16_e32 vcc, 0, v32
	v_mov_b32_e32 v53, 0
	v_mov_b32_e32 v54, 0
	s_and_saveexec_b64 s[4:5], vcc
	s_cbranch_execz .LBB654_149
; %bb.144:                              ;   in Loop: Header=BB654_17 Depth=1
	v_cmp_ne_u16_e32 vcc, s11, v32
	v_bfrev_b32_e32 v54, 1
	s_and_saveexec_b64 s[6:7], vcc
	s_cbranch_execz .LBB654_148
; %bb.145:                              ;   in Loop: Header=BB654_17 Depth=1
	v_and_b32_e32 v34, 0x7f, v32
	v_cmp_ne_u32_e32 vcc, s14, v34
	v_mov_b32_e32 v54, 0x7f800001
	s_and_saveexec_b64 s[12:13], vcc
	s_cbranch_execz .LBB654_147
; %bb.146:                              ;   in Loop: Header=BB654_17 Depth=1
	v_and_b32_e32 v56, 7, v32
	v_ffbh_u32_e32 v54, v56
	v_min_u32_e32 v58, 32, v54
	v_subrev_u32_e32 v54, 28, v58
	v_lshlrev_b64 v[54:55], v54, v[32:33]
	v_lshrrev_b32_e32 v57, 3, v34
	v_sub_u32_e32 v32, 29, v58
	v_and_b32_e32 v54, 7, v54
	v_cmp_gt_u32_e32 vcc, 8, v34
	v_cndmask_b32_e32 v32, v57, v32, vcc
	v_cndmask_b32_e32 v34, v56, v54, vcc
	v_lshlrev_b32_e32 v54, 16, v30
	v_lshlrev_b32_e32 v34, 20, v34
	v_and_b32_e32 v54, 0x80000000, v54
	v_lshl_add_u32 v32, v32, 23, v38
	v_or3_b32 v54, v54, v32, v34
.LBB654_147:                            ;   in Loop: Header=BB654_17 Depth=1
	s_or_b64 exec, exec, s[12:13]
.LBB654_148:                            ;   in Loop: Header=BB654_17 Depth=1
	s_or_b64 exec, exec, s[6:7]
.LBB654_149:                            ;   in Loop: Header=BB654_17 Depth=1
	s_or_b64 exec, exec, s[4:5]
	v_lshrrev_b32_e32 v32, 16, v30
	v_cmp_ne_u16_sdwa s[6:7], v32, v35 src0_sel:BYTE_0 src1_sel:DWORD
	s_and_saveexec_b64 s[4:5], s[6:7]
	s_cbranch_execz .LBB654_155
; %bb.150:                              ;   in Loop: Header=BB654_17 Depth=1
	v_cmp_ne_u16_sdwa s[12:13], v32, s11 src0_sel:BYTE_0 src1_sel:DWORD
	v_bfrev_b32_e32 v53, 1
	s_and_saveexec_b64 s[6:7], s[12:13]
	s_cbranch_execz .LBB654_154
; %bb.151:                              ;   in Loop: Header=BB654_17 Depth=1
	v_bfe_u32 v34, v30, 16, 7
	v_cmp_ne_u32_e32 vcc, s14, v34
	v_mov_b32_e32 v53, 0x7f800001
	s_and_saveexec_b64 s[12:13], vcc
	s_cbranch_execz .LBB654_153
; %bb.152:                              ;   in Loop: Header=BB654_17 Depth=1
	v_and_b32_e32 v53, 7, v32
	v_ffbh_u32_e32 v56, v53
	v_min_u32_e32 v58, 32, v56
	v_subrev_u32_e32 v56, 28, v58
	v_lshlrev_b64 v[56:57], v56, v[32:33]
	v_lshrrev_b32_e32 v55, 3, v34
	v_sub_u32_e32 v57, 29, v58
	v_and_b32_e32 v56, 7, v56
	v_cmp_gt_u32_e32 vcc, 8, v34
	v_cndmask_b32_e32 v34, v55, v57, vcc
	v_cndmask_b32_e32 v53, v53, v56, vcc
	v_lshlrev_b32_e32 v32, 24, v32
	v_lshlrev_b32_e32 v53, 20, v53
	v_and_b32_e32 v32, 0x80000000, v32
	v_lshl_add_u32 v34, v34, 23, v38
	v_or3_b32 v53, v32, v34, v53
.LBB654_153:                            ;   in Loop: Header=BB654_17 Depth=1
	s_or_b64 exec, exec, s[12:13]
.LBB654_154:                            ;   in Loop: Header=BB654_17 Depth=1
	s_or_b64 exec, exec, s[6:7]
.LBB654_155:                            ;   in Loop: Header=BB654_17 Depth=1
	s_or_b64 exec, exec, s[4:5]
	v_cmp_lt_u32_e32 vcc, s15, v30
	v_mov_b32_e32 v34, 0
	v_mov_b32_e32 v55, 0
	s_and_saveexec_b64 s[4:5], vcc
	s_cbranch_execz .LBB654_161
; %bb.156:                              ;   in Loop: Header=BB654_17 Depth=1
	v_lshrrev_b32_e32 v32, 24, v30
	v_cmp_ne_u32_e32 vcc, s11, v32
	v_bfrev_b32_e32 v55, 1
	s_and_saveexec_b64 s[6:7], vcc
	s_cbranch_execz .LBB654_160
; %bb.157:                              ;   in Loop: Header=BB654_17 Depth=1
	v_bfe_u32 v30, v30, 24, 7
	v_cmp_ne_u32_e32 vcc, s14, v30
	v_mov_b32_e32 v55, 0x7f800001
	s_and_saveexec_b64 s[12:13], vcc
	s_cbranch_execz .LBB654_159
; %bb.158:                              ;   in Loop: Header=BB654_17 Depth=1
	v_and_b32_e32 v55, 7, v32
	v_ffbh_u32_e32 v56, v55
	v_min_u32_e32 v59, 32, v56
	v_subrev_u32_e32 v56, 28, v59
	v_lshlrev_b64 v[56:57], v56, v[32:33]
	v_lshrrev_b32_e32 v58, 3, v30
	v_sub_u32_e32 v57, 29, v59
	v_and_b32_e32 v56, 7, v56
	v_cmp_gt_u32_e32 vcc, 8, v30
	v_cndmask_b32_e32 v30, v58, v57, vcc
	v_cndmask_b32_e32 v55, v55, v56, vcc
	v_lshlrev_b32_e32 v32, 24, v32
	v_lshlrev_b32_e32 v55, 20, v55
	v_and_b32_e32 v32, 0x80000000, v32
	v_lshl_add_u32 v30, v30, 23, v38
	v_or3_b32 v55, v32, v30, v55
.LBB654_159:                            ;   in Loop: Header=BB654_17 Depth=1
	s_or_b64 exec, exec, s[12:13]
.LBB654_160:                            ;   in Loop: Header=BB654_17 Depth=1
	s_or_b64 exec, exec, s[6:7]
.LBB654_161:                            ;   in Loop: Header=BB654_17 Depth=1
	s_or_b64 exec, exec, s[4:5]
	v_cvt_pkrtz_f16_f32 v56, v23, v42
	v_cvt_pkrtz_f16_f32 v57, v40, v52
	v_cvt_pkrtz_f16_f32 v52, v44, v54
	v_cvt_pkrtz_f16_f32 v53, v53, v55
	s_waitcnt vmcnt(1)
	v_cmp_ne_u16_sdwa s[6:7], v28, v35 src0_sel:BYTE_0 src1_sel:DWORD
	v_mfma_f32_16x16x16f16 v[18:21], v[56:57], v[10:11], v[18:21]
	v_mfma_f32_16x16x16f16 v[18:21], v[52:53], v[12:13], v[18:21]
	s_and_saveexec_b64 s[4:5], s[6:7]
	s_cbranch_execz .LBB654_167
; %bb.162:                              ;   in Loop: Header=BB654_17 Depth=1
	v_cmp_ne_u16_sdwa s[12:13], v28, s11 src0_sel:BYTE_0 src1_sel:DWORD
	v_bfrev_b32_e32 v34, 1
	s_and_saveexec_b64 s[6:7], s[12:13]
	s_cbranch_execz .LBB654_166
; %bb.163:                              ;   in Loop: Header=BB654_17 Depth=1
	v_and_b32_e32 v23, 0x7f, v28
	v_cmp_ne_u32_e32 vcc, s14, v23
	v_mov_b32_e32 v34, 0x7f800001
	s_and_saveexec_b64 s[12:13], vcc
	s_cbranch_execz .LBB654_165
; %bb.164:                              ;   in Loop: Header=BB654_17 Depth=1
	v_and_b32_e32 v30, 7, v28
	v_ffbh_u32_e32 v34, v30
	v_min_u32_e32 v34, 32, v34
	v_subrev_u32_e32 v40, 28, v34
	v_lshlrev_b64 v[52:53], v40, v[28:29]
	v_lshrrev_b32_e32 v32, 3, v23
	v_sub_u32_e32 v34, 29, v34
	v_and_b32_e32 v40, 7, v52
	v_cmp_gt_u32_e32 vcc, 8, v23
	v_cndmask_b32_e32 v23, v32, v34, vcc
	v_cndmask_b32_e32 v30, v30, v40, vcc
	v_lshlrev_b32_e32 v32, 24, v28
	v_lshlrev_b32_e32 v30, 20, v30
	v_and_b32_e32 v32, 0x80000000, v32
	v_lshl_add_u32 v23, v23, 23, v38
	v_or3_b32 v34, v32, v23, v30
.LBB654_165:                            ;   in Loop: Header=BB654_17 Depth=1
	s_or_b64 exec, exec, s[12:13]
.LBB654_166:                            ;   in Loop: Header=BB654_17 Depth=1
	s_or_b64 exec, exec, s[6:7]
.LBB654_167:                            ;   in Loop: Header=BB654_17 Depth=1
	s_or_b64 exec, exec, s[4:5]
	v_lshrrev_b16_e32 v30, 8, v28
	v_cmp_ne_u16_e32 vcc, 0, v30
	v_mov_b32_e32 v23, 0
	v_mov_b32_e32 v32, 0
	s_and_saveexec_b64 s[4:5], vcc
	s_cbranch_execz .LBB654_173
; %bb.168:                              ;   in Loop: Header=BB654_17 Depth=1
	v_cmp_ne_u16_e32 vcc, s11, v30
	v_bfrev_b32_e32 v32, 1
	s_and_saveexec_b64 s[6:7], vcc
	s_cbranch_execz .LBB654_172
; %bb.169:                              ;   in Loop: Header=BB654_17 Depth=1
	v_and_b32_e32 v40, 0x7f, v30
	v_cmp_ne_u32_e32 vcc, s14, v40
	v_mov_b32_e32 v32, 0x7f800001
	s_and_saveexec_b64 s[12:13], vcc
	s_cbranch_execz .LBB654_171
; %bb.170:                              ;   in Loop: Header=BB654_17 Depth=1
	v_and_b32_e32 v32, 7, v30
	v_ffbh_u32_e32 v44, v32
	v_min_u32_e32 v44, 32, v44
	v_subrev_u32_e32 v52, 28, v44
	v_lshlrev_b64 v[52:53], v52, v[30:31]
	v_lshrrev_b32_e32 v42, 3, v40
	v_sub_u32_e32 v30, 29, v44
	v_and_b32_e32 v44, 7, v52
	v_cmp_gt_u32_e32 vcc, 8, v40
	v_cndmask_b32_e32 v30, v42, v30, vcc
	v_cndmask_b32_e32 v32, v32, v44, vcc
	v_lshlrev_b32_e32 v40, 16, v28
	v_lshlrev_b32_e32 v32, 20, v32
	v_and_b32_e32 v40, 0x80000000, v40
	v_lshl_add_u32 v30, v30, 23, v38
	v_or3_b32 v32, v40, v30, v32
.LBB654_171:                            ;   in Loop: Header=BB654_17 Depth=1
	s_or_b64 exec, exec, s[12:13]
.LBB654_172:                            ;   in Loop: Header=BB654_17 Depth=1
	s_or_b64 exec, exec, s[6:7]
.LBB654_173:                            ;   in Loop: Header=BB654_17 Depth=1
	s_or_b64 exec, exec, s[4:5]
	v_lshrrev_b32_e32 v30, 16, v28
	v_cmp_ne_u16_sdwa s[6:7], v30, v35 src0_sel:BYTE_0 src1_sel:DWORD
	s_and_saveexec_b64 s[4:5], s[6:7]
	s_cbranch_execz .LBB654_179
; %bb.174:                              ;   in Loop: Header=BB654_17 Depth=1
	v_cmp_ne_u16_sdwa s[12:13], v30, s11 src0_sel:BYTE_0 src1_sel:DWORD
	v_bfrev_b32_e32 v23, 1
	s_and_saveexec_b64 s[6:7], s[12:13]
	s_cbranch_execz .LBB654_178
; %bb.175:                              ;   in Loop: Header=BB654_17 Depth=1
	v_bfe_u32 v40, v28, 16, 7
	v_cmp_ne_u32_e32 vcc, s14, v40
	v_mov_b32_e32 v23, 0x7f800001
	s_and_saveexec_b64 s[12:13], vcc
	s_cbranch_execz .LBB654_177
; %bb.176:                              ;   in Loop: Header=BB654_17 Depth=1
	v_and_b32_e32 v23, 7, v30
	v_ffbh_u32_e32 v44, v23
	v_min_u32_e32 v44, 32, v44
	v_subrev_u32_e32 v52, 28, v44
	v_lshlrev_b64 v[52:53], v52, v[30:31]
	v_lshrrev_b32_e32 v42, 3, v40
	v_sub_u32_e32 v44, 29, v44
	v_and_b32_e32 v52, 7, v52
	v_cmp_gt_u32_e32 vcc, 8, v40
	v_cndmask_b32_e32 v40, v42, v44, vcc
	v_cndmask_b32_e32 v23, v23, v52, vcc
	v_lshlrev_b32_e32 v30, 24, v30
	v_lshlrev_b32_e32 v23, 20, v23
	v_and_b32_e32 v30, 0x80000000, v30
	v_lshl_add_u32 v40, v40, 23, v38
	v_or3_b32 v23, v30, v40, v23
.LBB654_177:                            ;   in Loop: Header=BB654_17 Depth=1
	s_or_b64 exec, exec, s[12:13]
.LBB654_178:                            ;   in Loop: Header=BB654_17 Depth=1
	s_or_b64 exec, exec, s[6:7]
.LBB654_179:                            ;   in Loop: Header=BB654_17 Depth=1
	s_or_b64 exec, exec, s[4:5]
	v_cmp_lt_u32_e32 vcc, s15, v28
	v_mov_b32_e32 v40, 0
	v_mov_b32_e32 v42, 0
	s_and_saveexec_b64 s[4:5], vcc
	s_cbranch_execz .LBB654_185
; %bb.180:                              ;   in Loop: Header=BB654_17 Depth=1
	v_lshrrev_b32_e32 v30, 24, v28
	v_cmp_ne_u32_e32 vcc, s11, v30
	v_bfrev_b32_e32 v42, 1
	s_and_saveexec_b64 s[6:7], vcc
	s_cbranch_execz .LBB654_184
; %bb.181:                              ;   in Loop: Header=BB654_17 Depth=1
	v_bfe_u32 v28, v28, 24, 7
	v_cmp_ne_u32_e32 vcc, s14, v28
	v_mov_b32_e32 v42, 0x7f800001
	s_and_saveexec_b64 s[12:13], vcc
	s_cbranch_execz .LBB654_183
; %bb.182:                              ;   in Loop: Header=BB654_17 Depth=1
	v_and_b32_e32 v42, 7, v30
	v_ffbh_u32_e32 v52, v42
	v_min_u32_e32 v54, 32, v52
	v_subrev_u32_e32 v52, 28, v54
	v_lshlrev_b64 v[52:53], v52, v[30:31]
	v_lshrrev_b32_e32 v44, 3, v28
	v_sub_u32_e32 v53, 29, v54
	v_and_b32_e32 v52, 7, v52
	v_cmp_gt_u32_e32 vcc, 8, v28
	v_cndmask_b32_e32 v28, v44, v53, vcc
	v_cndmask_b32_e32 v42, v42, v52, vcc
	v_lshlrev_b32_e32 v30, 24, v30
	v_lshlrev_b32_e32 v42, 20, v42
	v_and_b32_e32 v30, 0x80000000, v30
	v_lshl_add_u32 v28, v28, 23, v38
	v_or3_b32 v42, v30, v28, v42
.LBB654_183:                            ;   in Loop: Header=BB654_17 Depth=1
	s_or_b64 exec, exec, s[12:13]
.LBB654_184:                            ;   in Loop: Header=BB654_17 Depth=1
	s_or_b64 exec, exec, s[6:7]
.LBB654_185:                            ;   in Loop: Header=BB654_17 Depth=1
	s_or_b64 exec, exec, s[4:5]
	s_waitcnt vmcnt(0)
	v_cmp_ne_u16_sdwa s[6:7], v26, v35 src0_sel:BYTE_0 src1_sel:DWORD
	s_and_saveexec_b64 s[4:5], s[6:7]
	s_cbranch_execz .LBB654_191
; %bb.186:                              ;   in Loop: Header=BB654_17 Depth=1
	v_cmp_ne_u16_sdwa s[12:13], v26, s11 src0_sel:BYTE_0 src1_sel:DWORD
	v_bfrev_b32_e32 v40, 1
	s_and_saveexec_b64 s[6:7], s[12:13]
	s_cbranch_execz .LBB654_190
; %bb.187:                              ;   in Loop: Header=BB654_17 Depth=1
	v_and_b32_e32 v28, 0x7f, v26
	v_cmp_ne_u32_e32 vcc, s14, v28
	v_mov_b32_e32 v40, 0x7f800001
	s_and_saveexec_b64 s[12:13], vcc
	s_cbranch_execz .LBB654_189
; %bb.188:                              ;   in Loop: Header=BB654_17 Depth=1
	v_and_b32_e32 v30, 7, v26
	v_ffbh_u32_e32 v44, v30
	v_min_u32_e32 v44, 32, v44
	v_subrev_u32_e32 v52, 28, v44
	v_lshlrev_b64 v[52:53], v52, v[26:27]
	v_lshrrev_b32_e32 v40, 3, v28
	v_sub_u32_e32 v44, 29, v44
	v_and_b32_e32 v52, 7, v52
	v_cmp_gt_u32_e32 vcc, 8, v28
	v_cndmask_b32_e32 v28, v40, v44, vcc
	v_cndmask_b32_e32 v30, v30, v52, vcc
	v_lshlrev_b32_e32 v40, 24, v26
	v_lshlrev_b32_e32 v30, 20, v30
	v_and_b32_e32 v40, 0x80000000, v40
	v_lshl_add_u32 v28, v28, 23, v38
	v_or3_b32 v40, v40, v28, v30
.LBB654_189:                            ;   in Loop: Header=BB654_17 Depth=1
	s_or_b64 exec, exec, s[12:13]
.LBB654_190:                            ;   in Loop: Header=BB654_17 Depth=1
	s_or_b64 exec, exec, s[6:7]
.LBB654_191:                            ;   in Loop: Header=BB654_17 Depth=1
	s_or_b64 exec, exec, s[4:5]
	v_lshrrev_b16_e32 v28, 8, v26
	v_cmp_ne_u16_e32 vcc, 0, v28
	v_mov_b32_e32 v30, 0
	v_mov_b32_e32 v44, 0
	s_and_saveexec_b64 s[4:5], vcc
	s_cbranch_execz .LBB654_197
; %bb.192:                              ;   in Loop: Header=BB654_17 Depth=1
	v_cmp_ne_u16_e32 vcc, s11, v28
	v_bfrev_b32_e32 v44, 1
	s_and_saveexec_b64 s[6:7], vcc
	s_cbranch_execz .LBB654_196
; %bb.193:                              ;   in Loop: Header=BB654_17 Depth=1
	v_and_b32_e32 v52, 0x7f, v28
	v_cmp_ne_u32_e32 vcc, s14, v52
	v_mov_b32_e32 v44, 0x7f800001
	s_and_saveexec_b64 s[12:13], vcc
	s_cbranch_execz .LBB654_195
; %bb.194:                              ;   in Loop: Header=BB654_17 Depth=1
	v_and_b32_e32 v44, 7, v28
	v_ffbh_u32_e32 v54, v44
	v_min_u32_e32 v56, 32, v54
	v_subrev_u32_e32 v54, 28, v56
	v_lshlrev_b64 v[54:55], v54, v[28:29]
	v_lshrrev_b32_e32 v53, 3, v52
	v_sub_u32_e32 v28, 29, v56
	v_and_b32_e32 v54, 7, v54
	v_cmp_gt_u32_e32 vcc, 8, v52
	v_cndmask_b32_e32 v28, v53, v28, vcc
	v_cndmask_b32_e32 v44, v44, v54, vcc
	v_lshlrev_b32_e32 v52, 16, v26
	v_lshlrev_b32_e32 v44, 20, v44
	v_and_b32_e32 v52, 0x80000000, v52
	v_lshl_add_u32 v28, v28, 23, v38
	v_or3_b32 v44, v52, v28, v44
.LBB654_195:                            ;   in Loop: Header=BB654_17 Depth=1
	s_or_b64 exec, exec, s[12:13]
.LBB654_196:                            ;   in Loop: Header=BB654_17 Depth=1
	s_or_b64 exec, exec, s[6:7]
.LBB654_197:                            ;   in Loop: Header=BB654_17 Depth=1
	s_or_b64 exec, exec, s[4:5]
	v_lshrrev_b32_e32 v28, 16, v26
	v_cmp_ne_u16_sdwa s[6:7], v28, v35 src0_sel:BYTE_0 src1_sel:DWORD
	s_and_saveexec_b64 s[4:5], s[6:7]
	s_cbranch_execz .LBB654_203
; %bb.198:                              ;   in Loop: Header=BB654_17 Depth=1
	v_cmp_ne_u16_sdwa s[12:13], v28, s11 src0_sel:BYTE_0 src1_sel:DWORD
	v_bfrev_b32_e32 v30, 1
	s_and_saveexec_b64 s[6:7], s[12:13]
	s_cbranch_execz .LBB654_202
; %bb.199:                              ;   in Loop: Header=BB654_17 Depth=1
	v_bfe_u32 v52, v26, 16, 7
	v_cmp_ne_u32_e32 vcc, s14, v52
	v_mov_b32_e32 v30, 0x7f800001
	s_and_saveexec_b64 s[12:13], vcc
	s_cbranch_execz .LBB654_201
; %bb.200:                              ;   in Loop: Header=BB654_17 Depth=1
	v_and_b32_e32 v30, 7, v28
	v_ffbh_u32_e32 v54, v30
	v_min_u32_e32 v56, 32, v54
	v_subrev_u32_e32 v54, 28, v56
	v_lshlrev_b64 v[54:55], v54, v[28:29]
	v_lshrrev_b32_e32 v53, 3, v52
	v_sub_u32_e32 v55, 29, v56
	v_and_b32_e32 v54, 7, v54
	v_cmp_gt_u32_e32 vcc, 8, v52
	v_cndmask_b32_e32 v52, v53, v55, vcc
	v_cndmask_b32_e32 v30, v30, v54, vcc
	v_lshlrev_b32_e32 v28, 24, v28
	v_lshlrev_b32_e32 v30, 20, v30
	v_and_b32_e32 v28, 0x80000000, v28
	v_lshl_add_u32 v52, v52, 23, v38
	v_or3_b32 v30, v28, v52, v30
.LBB654_201:                            ;   in Loop: Header=BB654_17 Depth=1
	s_or_b64 exec, exec, s[12:13]
.LBB654_202:                            ;   in Loop: Header=BB654_17 Depth=1
	s_or_b64 exec, exec, s[6:7]
.LBB654_203:                            ;   in Loop: Header=BB654_17 Depth=1
	s_or_b64 exec, exec, s[4:5]
	v_cmp_lt_u32_e32 vcc, s15, v26
	v_mov_b32_e32 v52, 0
	s_and_saveexec_b64 s[4:5], vcc
	s_cbranch_execz .LBB654_16
; %bb.204:                              ;   in Loop: Header=BB654_17 Depth=1
	v_lshrrev_b32_e32 v28, 24, v26
	v_cmp_ne_u32_e32 vcc, s11, v28
	v_bfrev_b32_e32 v52, 1
	s_and_saveexec_b64 s[6:7], vcc
	s_cbranch_execz .LBB654_15
; %bb.205:                              ;   in Loop: Header=BB654_17 Depth=1
	v_bfe_u32 v26, v26, 24, 7
	v_cmp_ne_u32_e32 vcc, s14, v26
	v_mov_b32_e32 v52, 0x7f800001
	s_and_saveexec_b64 s[12:13], vcc
	s_cbranch_execz .LBB654_14
; %bb.206:                              ;   in Loop: Header=BB654_17 Depth=1
	v_and_b32_e32 v54, 7, v28
	v_ffbh_u32_e32 v52, v54
	v_min_u32_e32 v56, 32, v52
	v_subrev_u32_e32 v52, 28, v56
	v_lshlrev_b64 v[52:53], v52, v[28:29]
	v_lshrrev_b32_e32 v55, 3, v26
	v_sub_u32_e32 v53, 29, v56
	v_and_b32_e32 v52, 7, v52
	v_cmp_gt_u32_e32 vcc, 8, v26
	v_cndmask_b32_e32 v26, v55, v53, vcc
	v_cndmask_b32_e32 v52, v54, v52, vcc
	v_lshlrev_b32_e32 v28, 24, v28
	v_lshlrev_b32_e32 v52, 20, v52
	v_and_b32_e32 v28, 0x80000000, v28
	v_lshl_add_u32 v26, v26, 23, v38
	v_or3_b32 v52, v28, v26, v52
	s_branch .LBB654_14
.LBB654_207:
	buffer_load_dword v17, off, s[0:3], 0 offset:256
	buffer_load_dword v16, off, s[0:3], 0 offset:260
	buffer_load_dword v15, off, s[0:3], 0 offset:264
	buffer_load_dword v14, off, s[0:3], 0 offset:268
	buffer_load_dword v13, off, s[0:3], 0 offset:272
	buffer_load_dword v12, off, s[0:3], 0 offset:276
	buffer_load_dword v11, off, s[0:3], 0 offset:280
	buffer_load_dword v10, off, s[0:3], 0 offset:284
	buffer_load_dword v9, off, s[0:3], 0 offset:288
	buffer_load_dword v8, off, s[0:3], 0 offset:292
	buffer_load_dword v7, off, s[0:3], 0 offset:296
	buffer_load_dword v6, off, s[0:3], 0 offset:300
	buffer_load_dword v5, off, s[0:3], 0 offset:304
	buffer_load_dword v4, off, s[0:3], 0 offset:308
	buffer_load_dword v3, off, s[0:3], 0 offset:312
	buffer_load_dword v2, off, s[0:3], 0 offset:316
	v_and_b32_e32 v18, 0xc0, v0
	v_add_u32_e32 v18, s20, v18
	v_lshl_or_b32 v18, v39, 2, v18
	v_or_b32_e32 v20, 1, v18
	v_subrev_u32_e32 v24, s29, v20
	v_add_u32_e32 v26, 1, v24
	v_cvt_f32_i32_e32 v25, v24
	v_add_u32_e32 v28, 2, v24
	v_add_u32_e32 v30, 3, v24
	;; [unrolled: 1-line block ×14, first 2 shown]
	v_cvt_f32_i32_e32 v26, v26
	v_cvt_f32_i32_e32 v28, v28
	;; [unrolled: 1-line block ×4, first 2 shown]
	v_mov_b32_e32 v19, 0xff7fffff
	v_or_b32_e32 v21, 2, v18
	v_or_b32_e32 v22, 3, v18
	v_cvt_f32_i32_e32 v32, v32
	v_cvt_f32_i32_e32 v34, v34
	v_cmp_gt_i32_e64 s[30:31], s29, v18
	v_cmp_gt_i32_e64 s[34:35], s29, v20
	s_mov_b32 s11, 0xff7fffff
	v_cmp_gt_i32_e64 s[36:37], s29, v21
	v_cmp_gt_i32_e64 s[38:39], s29, v22
	v_or_b32_e32 v23, 16, v18
	v_cvt_f32_i32_e32 v35, v35
	v_cvt_f32_i32_e32 v36, v36
	v_cmp_gt_i32_e64 s[26:27], s29, v23
	v_cvt_f32_i32_e32 v37, v37
	v_cvt_f32_i32_e32 v38, v38
	;; [unrolled: 1-line block ×7, first 2 shown]
	s_waitcnt vmcnt(15)
	v_fmac_f32_e32 v17, v31, v25
	s_waitcnt vmcnt(14)
	v_fmac_f32_e32 v16, v31, v26
	;; [unrolled: 2-line block ×4, first 2 shown]
	v_cndmask_b32_e64 v20, v19, v16, s[34:35]
	v_cndmask_b32_e64 v21, v19, v15, s[36:37]
	;; [unrolled: 1-line block ×3, first 2 shown]
	s_waitcnt vmcnt(11)
	v_fmac_f32_e32 v13, v31, v32
	s_waitcnt vmcnt(10)
	v_fmac_f32_e32 v12, v31, v34
	;; [unrolled: 2-line block ×9, first 2 shown]
	v_cndmask_b32_e64 v24, v19, v17, s[30:31]
	v_max3_f32 v20, v24, s11, v20
	v_max3_f32 v20, v20, v21, v22
	v_or_b32_e32 v22, 17, v18
	v_cmp_gt_i32_e64 s[40:41], s29, v22
	v_cndmask_b32_e64 v21, v19, v13, s[26:27]
	v_cndmask_b32_e64 v22, v19, v12, s[40:41]
	v_max3_f32 v20, v20, v21, v22
	v_or_b32_e32 v21, 18, v18
	v_or_b32_e32 v22, 19, v18
	v_cmp_gt_i32_e64 s[22:23], s29, v21
	v_cmp_gt_i32_e64 s[24:25], s29, v22
	v_cndmask_b32_e64 v21, v19, v11, s[22:23]
	v_cndmask_b32_e64 v22, v19, v10, s[24:25]
	v_max3_f32 v20, v20, v21, v22
	v_or_b32_e32 v21, 32, v18
	v_or_b32_e32 v22, 33, v18
	v_cmp_gt_i32_e64 s[18:19], s29, v21
	;; [unrolled: 7-line block ×3, first 2 shown]
	v_cmp_gt_i32_e64 s[16:17], s29, v22
	v_cndmask_b32_e64 v21, v19, v7, s[14:15]
	v_cndmask_b32_e64 v22, v19, v6, s[16:17]
	v_max3_f32 v20, v20, v21, v22
	v_or_b32_e32 v21, 48, v18
	v_or_b32_e32 v22, 49, v18
	v_fmac_f32_e32 v5, v31, v44
	v_fmac_f32_e32 v4, v31, v52
	v_cmp_gt_i32_e64 s[6:7], s29, v21
	v_cmp_gt_i32_e64 s[12:13], s29, v22
	v_cndmask_b32_e64 v21, v19, v5, s[6:7]
	v_cndmask_b32_e64 v22, v19, v4, s[12:13]
	v_max3_f32 v20, v20, v21, v22
	v_or_b32_e32 v21, 50, v18
	v_or_b32_e32 v18, 51, v18
	v_fmac_f32_e32 v3, v31, v53
	v_cmp_gt_i32_e32 vcc, s29, v21
	v_cmp_gt_i32_e64 s[4:5], s29, v18
	v_cndmask_b32_e32 v21, v19, v3, vcc
	v_cndmask_b32_e64 v18, v19, v2, s[4:5]
	v_mbcnt_lo_u32_b32 v19, -1, 0
	v_mbcnt_hi_u32_b32 v19, -1, v19
	v_max3_f32 v18, v20, v21, v18
	v_and_b32_e32 v20, 64, v19
	v_add_u32_e32 v20, 64, v20
	v_xor_b32_e32 v21, 32, v19
	v_cmp_lt_i32_e64 s[42:43], v21, v20
	v_cndmask_b32_e64 v21, v19, v21, s[42:43]
	v_lshlrev_b32_e32 v21, 2, v21
	ds_bpermute_b32 v22, v21, v18
	s_waitcnt lgkmcnt(0)
	v_max_f32_e32 v22, v22, v22
	v_max_f32_e32 v18, v18, v22
	v_xor_b32_e32 v22, 16, v19
	v_cmp_lt_i32_e64 s[42:43], v22, v20
	v_cndmask_b32_e64 v19, v19, v22, s[42:43]
	v_lshlrev_b32_e32 v19, 2, v19
	ds_bpermute_b32 v20, v19, v18
	s_waitcnt lgkmcnt(0)
	v_max_f32_e32 v20, v20, v20
	v_max_f32_e32 v18, v18, v20
	v_sub_f32_e32 v17, v17, v18
	v_mul_f32_e32 v17, 0x3fb8aa3b, v17
	v_sub_f32_e32 v16, v16, v18
	v_exp_f32_e32 v17, v17
	v_mul_f32_e32 v16, 0x3fb8aa3b, v16
	v_sub_f32_e32 v15, v15, v18
	v_exp_f32_e32 v16, v16
	;; [unrolled: 3-line block ×4, first 2 shown]
	v_mul_f32_e32 v13, 0x3fb8aa3b, v13
	v_sub_f32_e32 v12, v12, v18
	v_cndmask_b32_e64 v17, 0, v17, s[30:31]
	v_exp_f32_e32 v13, v13
	v_mul_f32_e32 v12, 0x3fb8aa3b, v12
	v_sub_f32_e32 v11, v11, v18
	v_add_f32_e32 v20, 0, v17
	v_cndmask_b32_e64 v16, 0, v16, s[34:35]
	v_exp_f32_e32 v12, v12
	v_mul_f32_e32 v11, 0x3fb8aa3b, v11
	v_sub_f32_e32 v10, v10, v18
	v_add_f32_e32 v20, v20, v16
	;; [unrolled: 5-line block ×4, first 2 shown]
	v_cndmask_b32_e64 v13, 0, v13, s[26:27]
	v_exp_f32_e32 v9, v9
	v_mul_f32_e32 v8, 0x3fb8aa3b, v8
	v_sub_f32_e32 v7, v7, v18
	buffer_store_dword v17, off, s[0:3], 0 offset:256
	buffer_store_dword v16, off, s[0:3], 0 offset:260
	;; [unrolled: 1-line block ×4, first 2 shown]
	v_add_f32_e32 v14, v20, v13
	v_cndmask_b32_e64 v12, 0, v12, s[40:41]
	v_exp_f32_e32 v8, v8
	v_mul_f32_e32 v7, 0x3fb8aa3b, v7
	v_sub_f32_e32 v6, v6, v18
	v_add_f32_e32 v14, v14, v12
	v_cndmask_b32_e64 v11, 0, v11, s[22:23]
	v_exp_f32_e32 v7, v7
	v_mul_f32_e32 v6, 0x3fb8aa3b, v6
	v_sub_f32_e32 v5, v5, v18
	;; [unrolled: 5-line block ×4, first 2 shown]
	buffer_store_dword v13, off, s[0:3], 0 offset:272
	buffer_store_dword v12, off, s[0:3], 0 offset:276
	;; [unrolled: 1-line block ×4, first 2 shown]
	v_add_f32_e32 v10, v14, v9
	v_cndmask_b32_e64 v8, 0, v8, s[20:21]
	v_exp_f32_e32 v4, v4
	v_mul_f32_e32 v3, 0x3fb8aa3b, v3
	v_sub_f32_e32 v2, v2, v18
	v_add_f32_e32 v10, v10, v8
	v_cndmask_b32_e64 v7, 0, v7, s[14:15]
	v_exp_f32_e32 v3, v3
	v_mul_f32_e32 v2, 0x3fb8aa3b, v2
	v_add_f32_e32 v10, v10, v7
	v_cndmask_b32_e64 v6, 0, v6, s[16:17]
	v_exp_f32_e32 v2, v2
	v_add_f32_e32 v10, v10, v6
	v_cndmask_b32_e64 v5, 0, v5, s[6:7]
	buffer_store_dword v9, off, s[0:3], 0 offset:288
	buffer_store_dword v8, off, s[0:3], 0 offset:292
	;; [unrolled: 1-line block ×4, first 2 shown]
	v_add_f32_e32 v6, v10, v5
	v_cndmask_b32_e64 v4, 0, v4, s[12:13]
	v_add_f32_e32 v6, v6, v4
	v_cndmask_b32_e32 v3, 0, v3, vcc
	v_add_f32_e32 v6, v6, v3
	v_cndmask_b32_e64 v2, 0, v2, s[4:5]
	v_add_f32_e32 v6, v6, v2
	ds_bpermute_b32 v7, v21, v6
	buffer_store_dword v5, off, s[0:3], 0 offset:304
	buffer_store_dword v4, off, s[0:3], 0 offset:308
	;; [unrolled: 1-line block ×4, first 2 shown]
	v_cmp_lt_u32_e64 s[4:5], 15, v33
	v_cmp_gt_u32_e32 vcc, 16, v33
	s_waitcnt lgkmcnt(0)
	v_add_f32_e32 v2, v6, v7
	ds_bpermute_b32 v3, v19, v2
	s_barrier
	s_waitcnt lgkmcnt(0)
	s_and_saveexec_b64 s[6:7], vcc
	s_cbranch_execz .LBB654_209
; %bb.208:
	v_add_f32_e32 v2, v2, v3
	v_lshlrev_b32_e32 v3, 2, v29
	ds_write2st64_b32 v3, v18, v2 offset1:1
.LBB654_209:
	s_or_b64 exec, exec, s[6:7]
	v_lshlrev_b32_e32 v2, 2, v41
	s_waitcnt lgkmcnt(0)
	s_barrier
	ds_read2_b32 v[10:11], v2 offset1:16
	ds_read2_b32 v[12:13], v2 offset0:32 offset1:48
	ds_read2_b32 v[6:7], v2 offset0:64 offset1:80
	;; [unrolled: 1-line block ×3, first 2 shown]
	s_waitcnt lgkmcnt(0)
	s_barrier
	buffer_load_dword v20, off, s[0:3], 0 offset:256
	buffer_load_dword v21, off, s[0:3], 0 offset:260
	;; [unrolled: 1-line block ×16, first 2 shown]
	v_lshlrev_b32_e32 v19, 3, v39
	v_lshlrev_b32_e32 v18, 5, v41
	;; [unrolled: 1-line block ×3, first 2 shown]
	v_or3_b32 v53, v26, v18, v19
	v_max3_f32 v19, v10, s11, v11
	v_max3_f32 v19, v19, v12, v13
	v_sub_f32_e32 v10, v10, v19
	v_sub_f32_e32 v11, v11, v19
	v_mul_f32_e32 v10, 0x3fb8aa3b, v10
	v_sub_f32_e32 v12, v12, v19
	v_mul_f32_e32 v11, 0x3fb8aa3b, v11
	v_exp_f32_e32 v10, v10
	v_sub_f32_e32 v13, v13, v19
	v_mul_f32_e32 v12, 0x3fb8aa3b, v12
	v_exp_f32_e32 v11, v11
	v_mul_f32_e32 v13, 0x3fb8aa3b, v13
	v_exp_f32_e32 v12, v12
	v_exp_f32_e32 v13, v13
	v_fma_f32 v6, v10, v6, 0
	v_fmac_f32_e32 v6, v11, v7
	v_cmp_eq_u32_e32 vcc, 1, v27
	v_fmac_f32_e32 v6, v12, v14
	v_cndmask_b32_e32 v10, v10, v11, vcc
	v_cmp_eq_u32_e32 vcc, 2, v27
	v_fmac_f32_e32 v6, v13, v15
	v_cndmask_b32_e32 v7, v10, v12, vcc
	v_add_f32_e32 v10, 0x358637bd, v6
	v_div_scale_f32 v11, s[6:7], v10, v10, 1.0
	v_rcp_f32_e32 v12, v11
	v_cmp_eq_u32_e32 vcc, 3, v27
	v_cndmask_b32_e32 v7, v7, v13, vcc
	v_div_scale_f32 v13, vcc, 1.0, v10, 1.0
	v_fma_f32 v14, -v11, v12, 1.0
	v_fmac_f32_e32 v12, v14, v12
	v_mul_f32_e32 v14, v13, v12
	v_fma_f32 v15, -v11, v14, v13
	v_fmac_f32_e32 v14, v15, v12
	v_fma_f32 v11, -v11, v14, v13
	v_div_fmas_f32 v11, v11, v12, v14
	v_div_fixup_f32 v10, v11, v10, 1.0
	v_mul_f32_e32 v10, v7, v10
	v_mov_b32_e32 v52, 0
	v_cmp_eq_u32_e32 vcc, 0, v0
	s_waitcnt vmcnt(14)
	v_pk_mul_f32 v[14:15], v[10:11], v[20:21] op_sel_hi:[0,1]
	v_cvt_f16_f32_e32 v7, v14
	s_waitcnt vmcnt(12)
	v_pk_mul_f32 v[12:13], v[10:11], v[22:23] op_sel_hi:[0,1]
	buffer_store_dword v14, off, s[0:3], 0 offset:256
	buffer_store_dword v15, off, s[0:3], 0 offset:260
	buffer_store_dword v12, off, s[0:3], 0 offset:264
	s_waitcnt vmcnt(13)
	v_pk_mul_f32 v[20:21], v[10:11], v[24:25] op_sel_hi:[0,1]
	v_cvt_f16_f32_e32 v14, v12
	s_waitcnt vmcnt(11)
	v_pk_mul_f32 v[22:23], v[10:11], v[28:29] op_sel_hi:[0,1]
	v_cvt_f16_f32_e32 v11, v15
	v_cvt_f16_f32_e32 v15, v13
	buffer_store_dword v13, off, s[0:3], 0 offset:268
	buffer_store_dword v22, off, s[0:3], 0 offset:272
	;; [unrolled: 1-line block ×3, first 2 shown]
	v_pack_b32_f16 v12, v7, v11
	v_cvt_f16_f32_e32 v11, v23
	v_pack_b32_f16 v13, v14, v15
	v_cvt_f16_f32_e32 v7, v22
	v_cvt_f16_f32_e32 v15, v20
	;; [unrolled: 1-line block ×3, first 2 shown]
	s_waitcnt vmcnt(12)
	v_pk_mul_f32 v[4:5], v[10:11], v[4:5] op_sel_hi:[0,1]
	v_pack_b32_f16 v14, v7, v11
	s_waitcnt vmcnt(10)
	v_pk_mul_f32 v[2:3], v[10:11], v[2:3] op_sel_hi:[0,1]
	v_pack_b32_f16 v15, v15, v22
	v_cvt_f16_f32_e32 v11, v5
	buffer_store_dword v20, off, s[0:3], 0 offset:280
	buffer_store_dword v21, off, s[0:3], 0 offset:284
	ds_write2st64_b64 v53, v[12:13], v[14:15] offset1:1
	buffer_store_dword v2, off, s[0:3], 0 offset:288
	buffer_store_dword v3, off, s[0:3], 0 offset:292
	v_cvt_f16_f32_e32 v2, v2
	v_cvt_f16_f32_e32 v3, v3
	;; [unrolled: 1-line block ×3, first 2 shown]
	buffer_store_dword v4, off, s[0:3], 0 offset:296
	buffer_store_dword v5, off, s[0:3], 0 offset:300
	s_waitcnt vmcnt(12)
	v_pk_mul_f32 v[4:5], v[10:11], v[16:17] op_sel_hi:[0,1]
	v_pk_mul_f32 v[8:9], v[10:11], v[8:9] op_sel_hi:[0,1]
	v_pack_b32_f16 v2, v2, v3
	v_pack_b32_f16 v3, v7, v11
	buffer_store_dword v8, off, s[0:3], 0 offset:304
	buffer_store_dword v9, off, s[0:3], 0 offset:308
	v_cvt_f16_f32_e32 v7, v8
	v_cvt_f16_f32_e32 v8, v9
	;; [unrolled: 1-line block ×4, first 2 shown]
	buffer_store_dword v4, off, s[0:3], 0 offset:312
	buffer_store_dword v5, off, s[0:3], 0 offset:316
	v_pack_b32_f16 v4, v7, v8
	v_pack_b32_f16 v5, v9, v10
	ds_write2st64_b64 v53, v[2:3], v[4:5] offset0:2 offset1:3
	s_and_saveexec_b64 s[6:7], vcc
	s_cbranch_execz .LBB654_211
; %bb.210:
	s_mul_i32 s9, s9, s53
	s_mul_hi_u32 s11, s8, s53
	s_add_i32 s11, s11, s9
	s_mul_i32 s9, s8, s53
	s_add_u32 s9, s9, s10
	s_addc_u32 s11, s11, 0
	s_mul_i32 s11, s11, s52
	s_mul_hi_u32 s12, s9, s52
	s_add_i32 s11, s12, s11
	s_mul_i32 s9, s9, s52
	s_add_u32 s12, s9, s28
	s_addc_u32 s13, s11, 0
	s_lshl_b64 s[12:13], s[12:13], 2
	s_add_u32 s14, s46, s12
	s_addc_u32 s15, s47, s13
	s_add_u32 s12, s44, s12
	s_addc_u32 s13, s45, s13
	global_store_dword v52, v19, s[14:15]
	global_store_dword v52, v6, s[12:13]
.LBB654_211:
	s_or_b64 exec, exec, s[6:7]
	v_lshl_or_b32 v30, v39, 9, v18
	s_waitcnt lgkmcnt(0)
	s_barrier
	s_load_dword s6, s[50:51], 0x0
	ds_read_b128 v[2:5], v30
	ds_read_b128 v[6:9], v30 offset:16
	ds_read_b128 v[10:13], v30 offset:2048
	;; [unrolled: 1-line block ×7, first 2 shown]
	v_mov_b32_e32 v35, 0x80
	v_mov_b32_e32 v54, 0x140
	s_mov_b64 s[14:15], -1
	s_waitcnt lgkmcnt(0)
	s_mov_b32 s7, s6
	s_mov_b32 s12, s6
	;; [unrolled: 1-line block ×3, first 2 shown]
	s_movk_i32 s9, 0x80
	s_movk_i32 s11, 0x7f
	s_mov_b32 s22, 0xffffff
	v_bfrev_b32_e32 v55, 60
	s_branch .LBB654_215
.LBB654_212:                            ;   in Loop: Header=BB654_215 Depth=1
	s_or_b64 exec, exec, s[20:21]
.LBB654_213:                            ;   in Loop: Header=BB654_215 Depth=1
	s_or_b64 exec, exec, s[18:19]
.LBB654_214:                            ;   in Loop: Header=BB654_215 Depth=1
	s_or_b64 exec, exec, s[16:17]
	v_cvt_pkrtz_f16_f32 v60, v46, v50
	v_cvt_pkrtz_f16_f32 v61, v44, v56
	s_xor_b64 s[16:17], s[14:15], -1
	s_mov_b64 s[14:15], 0
	v_mov_b32_e32 v46, v47
	v_mfma_f32_16x16x16f16 v[60:63], v[60:61], v[30:31], v[34:37]
	v_mov_b32_e32 v50, v49
	s_and_b64 vcc, exec, s[16:17]
	s_nop 4
	v_cvt_pkrtz_f16_f32 v36, v51, v57
	v_cvt_pkrtz_f16_f32 v37, v42, v58
	v_mov_b32_e32 v35, v45
	v_mov_b32_e32 v51, v48
	v_mfma_f32_16x16x16f16 v[56:59], v[36:37], v[32:33], v[60:63]
	s_nop 7
	s_nop 2
	v_pk_mul_f32 v[56:57], v[56:57], s[6:7]
	v_pk_mul_f32 v[36:37], v[58:59], s[12:13]
	v_cvt_f16_f32_e32 v34, v56
	v_cvt_f16_f32_e32 v38, v57
	;; [unrolled: 1-line block ×4, first 2 shown]
	v_pack_b32_f16 v34, v34, v38
	v_pack_b32_f16 v36, v36, v37
	buffer_store_dword v34, v54, s[0:3], 0 offen
	buffer_store_dword v36, v54, s[0:3], 0 offen offset:4
	v_mov_b32_e32 v54, 0x148
	s_cbranch_vccnz .LBB654_597
.LBB654_215:                            ; =>This Inner Loop Header: Depth=1
	buffer_load_dword v36, v35, s[0:3], 0 offen
	buffer_load_dword v34, v35, s[0:3], 0 offen offset:4
	buffer_load_dword v40, v35, s[0:3], 0 offen offset:8
	;; [unrolled: 1-line block ×3, first 2 shown]
	v_mov_b32_e32 v35, 0
	v_mov_b32_e32 v37, 0
	s_waitcnt vmcnt(3)
	v_cmp_ne_u16_sdwa s[18:19], v36, v52 src0_sel:BYTE_0 src1_sel:DWORD
	s_and_saveexec_b64 s[16:17], s[18:19]
	s_cbranch_execz .LBB654_221
; %bb.216:                              ;   in Loop: Header=BB654_215 Depth=1
	v_cmp_ne_u16_sdwa s[20:21], v36, s9 src0_sel:BYTE_0 src1_sel:DWORD
	v_bfrev_b32_e32 v37, 1
	s_and_saveexec_b64 s[18:19], s[20:21]
	s_cbranch_execz .LBB654_220
; %bb.217:                              ;   in Loop: Header=BB654_215 Depth=1
	v_and_b32_e32 v42, 0x7f, v36
	v_cmp_ne_u32_e32 vcc, s11, v42
	v_mov_b32_e32 v37, 0x7f800001
	s_and_saveexec_b64 s[20:21], vcc
	s_cbranch_execz .LBB654_219
; %bb.218:                              ;   in Loop: Header=BB654_215 Depth=1
	v_and_b32_e32 v37, 7, v36
	v_ffbh_u32_e32 v56, v37
	v_min_u32_e32 v58, 32, v56
	v_subrev_u32_e32 v56, 28, v58
	v_lshlrev_b64 v[56:57], v56, v[36:37]
	v_lshrrev_b32_e32 v44, 3, v42
	v_sub_u32_e32 v57, 29, v58
	v_and_b32_e32 v56, 7, v56
	v_cmp_gt_u32_e32 vcc, 8, v42
	v_cndmask_b32_e32 v42, v44, v57, vcc
	v_cndmask_b32_e32 v37, v37, v56, vcc
	v_lshlrev_b32_e32 v44, 24, v36
	v_lshlrev_b32_e32 v37, 20, v37
	v_and_b32_e32 v44, 0x80000000, v44
	v_lshl_add_u32 v42, v42, 23, v55
	v_or3_b32 v37, v44, v42, v37
.LBB654_219:                            ;   in Loop: Header=BB654_215 Depth=1
	s_or_b64 exec, exec, s[20:21]
.LBB654_220:                            ;   in Loop: Header=BB654_215 Depth=1
	s_or_b64 exec, exec, s[18:19]
.LBB654_221:                            ;   in Loop: Header=BB654_215 Depth=1
	s_or_b64 exec, exec, s[16:17]
	v_lshrrev_b16_e32 v42, 8, v36
	v_cmp_ne_u16_e32 vcc, 0, v42
	s_and_saveexec_b64 s[16:17], vcc
	s_cbranch_execz .LBB654_227
; %bb.222:                              ;   in Loop: Header=BB654_215 Depth=1
	v_cmp_ne_u16_e32 vcc, s9, v42
	v_bfrev_b32_e32 v35, 1
	s_and_saveexec_b64 s[18:19], vcc
	s_cbranch_execz .LBB654_226
; %bb.223:                              ;   in Loop: Header=BB654_215 Depth=1
	v_and_b32_e32 v44, 0x7f, v42
	v_cmp_ne_u32_e32 vcc, s11, v44
	v_mov_b32_e32 v35, 0x7f800001
	s_and_saveexec_b64 s[20:21], vcc
	s_cbranch_execz .LBB654_225
; %bb.224:                              ;   in Loop: Header=BB654_215 Depth=1
	v_and_b32_e32 v35, 7, v42
	v_ffbh_u32_e32 v56, v35
	v_min_u32_e32 v59, 32, v56
	v_subrev_u32_e32 v56, 28, v59
	v_lshlrev_b64 v[56:57], v56, v[42:43]
	v_lshrrev_b32_e32 v58, 3, v44
	v_sub_u32_e32 v42, 29, v59
	v_and_b32_e32 v56, 7, v56
	v_cmp_gt_u32_e32 vcc, 8, v44
	v_cndmask_b32_e32 v42, v58, v42, vcc
	v_cndmask_b32_e32 v35, v35, v56, vcc
	v_lshlrev_b32_e32 v44, 16, v36
	v_lshlrev_b32_e32 v35, 20, v35
	v_and_b32_e32 v44, 0x80000000, v44
	v_lshl_add_u32 v42, v42, 23, v55
	v_or3_b32 v35, v44, v42, v35
.LBB654_225:                            ;   in Loop: Header=BB654_215 Depth=1
	s_or_b64 exec, exec, s[20:21]
.LBB654_226:                            ;   in Loop: Header=BB654_215 Depth=1
	s_or_b64 exec, exec, s[18:19]
.LBB654_227:                            ;   in Loop: Header=BB654_215 Depth=1
	s_or_b64 exec, exec, s[16:17]
	v_lshrrev_b32_e32 v42, 16, v36
	v_cmp_ne_u16_sdwa s[18:19], v42, v52 src0_sel:BYTE_0 src1_sel:DWORD
	v_mov_b32_e32 v56, 0
	v_mov_b32_e32 v44, 0
	s_and_saveexec_b64 s[16:17], s[18:19]
	s_cbranch_execz .LBB654_233
; %bb.228:                              ;   in Loop: Header=BB654_215 Depth=1
	v_cmp_ne_u16_sdwa s[20:21], v42, s9 src0_sel:BYTE_0 src1_sel:DWORD
	v_bfrev_b32_e32 v44, 1
	s_and_saveexec_b64 s[18:19], s[20:21]
	s_cbranch_execz .LBB654_232
; %bb.229:                              ;   in Loop: Header=BB654_215 Depth=1
	v_bfe_u32 v57, v36, 16, 7
	v_cmp_ne_u32_e32 vcc, s11, v57
	v_mov_b32_e32 v44, 0x7f800001
	s_and_saveexec_b64 s[20:21], vcc
	s_cbranch_execz .LBB654_231
; %bb.230:                              ;   in Loop: Header=BB654_215 Depth=1
	v_and_b32_e32 v44, 7, v42
	v_ffbh_u32_e32 v58, v44
	v_min_u32_e32 v61, 32, v58
	v_subrev_u32_e32 v58, 28, v61
	v_lshlrev_b64 v[58:59], v58, v[42:43]
	v_lshrrev_b32_e32 v60, 3, v57
	v_sub_u32_e32 v59, 29, v61
	v_and_b32_e32 v58, 7, v58
	v_cmp_gt_u32_e32 vcc, 8, v57
	v_cndmask_b32_e32 v57, v60, v59, vcc
	v_cndmask_b32_e32 v44, v44, v58, vcc
	v_lshlrev_b32_e32 v42, 24, v42
	v_lshlrev_b32_e32 v44, 20, v44
	v_and_b32_e32 v42, 0x80000000, v42
	v_lshl_add_u32 v57, v57, 23, v55
	v_or3_b32 v44, v42, v57, v44
.LBB654_231:                            ;   in Loop: Header=BB654_215 Depth=1
	s_or_b64 exec, exec, s[20:21]
.LBB654_232:                            ;   in Loop: Header=BB654_215 Depth=1
	s_or_b64 exec, exec, s[18:19]
.LBB654_233:                            ;   in Loop: Header=BB654_215 Depth=1
	s_or_b64 exec, exec, s[16:17]
	v_cmp_lt_u32_e32 vcc, s22, v36
	s_and_saveexec_b64 s[16:17], vcc
	s_cbranch_execz .LBB654_239
; %bb.234:                              ;   in Loop: Header=BB654_215 Depth=1
	v_lshrrev_b32_e32 v42, 24, v36
	v_cmp_ne_u32_e32 vcc, s9, v42
	v_bfrev_b32_e32 v56, 1
	s_and_saveexec_b64 s[18:19], vcc
	s_cbranch_execz .LBB654_238
; %bb.235:                              ;   in Loop: Header=BB654_215 Depth=1
	v_bfe_u32 v36, v36, 24, 7
	v_cmp_ne_u32_e32 vcc, s11, v36
	v_mov_b32_e32 v56, 0x7f800001
	s_and_saveexec_b64 s[20:21], vcc
	s_cbranch_execz .LBB654_237
; %bb.236:                              ;   in Loop: Header=BB654_215 Depth=1
	v_and_b32_e32 v58, 7, v42
	v_ffbh_u32_e32 v56, v58
	v_min_u32_e32 v60, 32, v56
	v_subrev_u32_e32 v56, 28, v60
	v_lshlrev_b64 v[56:57], v56, v[42:43]
	v_lshrrev_b32_e32 v59, 3, v36
	v_sub_u32_e32 v57, 29, v60
	v_and_b32_e32 v56, 7, v56
	v_cmp_gt_u32_e32 vcc, 8, v36
	v_cndmask_b32_e32 v36, v59, v57, vcc
	v_cndmask_b32_e32 v56, v58, v56, vcc
	v_lshlrev_b32_e32 v42, 24, v42
	v_lshlrev_b32_e32 v56, 20, v56
	v_and_b32_e32 v42, 0x80000000, v42
	v_lshl_add_u32 v36, v36, 23, v55
	v_or3_b32 v56, v42, v36, v56
.LBB654_237:                            ;   in Loop: Header=BB654_215 Depth=1
	s_or_b64 exec, exec, s[20:21]
.LBB654_238:                            ;   in Loop: Header=BB654_215 Depth=1
	s_or_b64 exec, exec, s[18:19]
.LBB654_239:                            ;   in Loop: Header=BB654_215 Depth=1
	s_or_b64 exec, exec, s[16:17]
	s_waitcnt vmcnt(2)
	v_cmp_ne_u16_sdwa s[18:19], v34, v52 src0_sel:BYTE_0 src1_sel:DWORD
	v_mov_b32_e32 v42, 0
	v_mov_b32_e32 v57, 0
	s_and_saveexec_b64 s[16:17], s[18:19]
	s_cbranch_execz .LBB654_245
; %bb.240:                              ;   in Loop: Header=BB654_215 Depth=1
	v_cmp_ne_u16_sdwa s[20:21], v34, s9 src0_sel:BYTE_0 src1_sel:DWORD
	v_bfrev_b32_e32 v57, 1
	s_and_saveexec_b64 s[18:19], s[20:21]
	s_cbranch_execz .LBB654_244
; %bb.241:                              ;   in Loop: Header=BB654_215 Depth=1
	v_and_b32_e32 v36, 0x7f, v34
	v_cmp_ne_u32_e32 vcc, s11, v36
	v_mov_b32_e32 v57, 0x7f800001
	s_and_saveexec_b64 s[20:21], vcc
	s_cbranch_execz .LBB654_243
; %bb.242:                              ;   in Loop: Header=BB654_215 Depth=1
	v_and_b32_e32 v57, 7, v34
	v_ffbh_u32_e32 v58, v57
	v_min_u32_e32 v61, 32, v58
	v_subrev_u32_e32 v58, 28, v61
	v_lshlrev_b64 v[58:59], v58, v[34:35]
	v_lshrrev_b32_e32 v60, 3, v36
	v_sub_u32_e32 v59, 29, v61
	v_and_b32_e32 v58, 7, v58
	v_cmp_gt_u32_e32 vcc, 8, v36
	v_cndmask_b32_e32 v36, v60, v59, vcc
	v_cndmask_b32_e32 v57, v57, v58, vcc
	v_lshlrev_b32_e32 v58, 24, v34
	v_lshlrev_b32_e32 v57, 20, v57
	v_and_b32_e32 v58, 0x80000000, v58
	v_lshl_add_u32 v36, v36, 23, v55
	v_or3_b32 v57, v58, v36, v57
.LBB654_243:                            ;   in Loop: Header=BB654_215 Depth=1
	s_or_b64 exec, exec, s[20:21]
.LBB654_244:                            ;   in Loop: Header=BB654_215 Depth=1
	s_or_b64 exec, exec, s[18:19]
.LBB654_245:                            ;   in Loop: Header=BB654_215 Depth=1
	s_or_b64 exec, exec, s[16:17]
	v_lshrrev_b16_e32 v36, 8, v34
	v_cmp_ne_u16_e32 vcc, 0, v36
	s_and_saveexec_b64 s[16:17], vcc
	s_cbranch_execz .LBB654_251
; %bb.246:                              ;   in Loop: Header=BB654_215 Depth=1
	v_cmp_ne_u16_e32 vcc, s9, v36
	v_bfrev_b32_e32 v42, 1
	s_and_saveexec_b64 s[18:19], vcc
	s_cbranch_execz .LBB654_250
; %bb.247:                              ;   in Loop: Header=BB654_215 Depth=1
	v_and_b32_e32 v58, 0x7f, v36
	v_cmp_ne_u32_e32 vcc, s11, v58
	v_mov_b32_e32 v42, 0x7f800001
	s_and_saveexec_b64 s[20:21], vcc
	s_cbranch_execz .LBB654_249
; %bb.248:                              ;   in Loop: Header=BB654_215 Depth=1
	v_and_b32_e32 v42, 7, v36
	v_ffbh_u32_e32 v60, v42
	v_min_u32_e32 v62, 32, v60
	v_subrev_u32_e32 v60, 28, v62
	v_lshlrev_b64 v[60:61], v60, v[36:37]
	v_lshrrev_b32_e32 v59, 3, v58
	v_sub_u32_e32 v36, 29, v62
	v_and_b32_e32 v60, 7, v60
	v_cmp_gt_u32_e32 vcc, 8, v58
	v_cndmask_b32_e32 v36, v59, v36, vcc
	v_cndmask_b32_e32 v42, v42, v60, vcc
	v_lshlrev_b32_e32 v58, 16, v34
	v_lshlrev_b32_e32 v42, 20, v42
	v_and_b32_e32 v58, 0x80000000, v58
	v_lshl_add_u32 v36, v36, 23, v55
	v_or3_b32 v42, v58, v36, v42
.LBB654_249:                            ;   in Loop: Header=BB654_215 Depth=1
	s_or_b64 exec, exec, s[20:21]
.LBB654_250:                            ;   in Loop: Header=BB654_215 Depth=1
	s_or_b64 exec, exec, s[18:19]
.LBB654_251:                            ;   in Loop: Header=BB654_215 Depth=1
	s_or_b64 exec, exec, s[16:17]
	v_lshrrev_b32_e32 v36, 16, v34
	v_cmp_ne_u16_sdwa s[18:19], v36, v52 src0_sel:BYTE_0 src1_sel:DWORD
	v_mov_b32_e32 v59, 0
	v_mov_b32_e32 v58, 0
	s_and_saveexec_b64 s[16:17], s[18:19]
	s_cbranch_execz .LBB654_257
; %bb.252:                              ;   in Loop: Header=BB654_215 Depth=1
	v_cmp_ne_u16_sdwa s[20:21], v36, s9 src0_sel:BYTE_0 src1_sel:DWORD
	v_bfrev_b32_e32 v58, 1
	s_and_saveexec_b64 s[18:19], s[20:21]
	s_cbranch_execz .LBB654_256
; %bb.253:                              ;   in Loop: Header=BB654_215 Depth=1
	v_bfe_u32 v60, v34, 16, 7
	v_cmp_ne_u32_e32 vcc, s11, v60
	v_mov_b32_e32 v58, 0x7f800001
	s_and_saveexec_b64 s[20:21], vcc
	s_cbranch_execz .LBB654_255
; %bb.254:                              ;   in Loop: Header=BB654_215 Depth=1
	v_and_b32_e32 v58, 7, v36
	v_ffbh_u32_e32 v62, v58
	v_min_u32_e32 v64, 32, v62
	v_subrev_u32_e32 v62, 28, v64
	v_lshlrev_b64 v[62:63], v62, v[36:37]
	v_lshrrev_b32_e32 v61, 3, v60
	v_sub_u32_e32 v63, 29, v64
	v_and_b32_e32 v62, 7, v62
	v_cmp_gt_u32_e32 vcc, 8, v60
	v_cndmask_b32_e32 v60, v61, v63, vcc
	v_cndmask_b32_e32 v58, v58, v62, vcc
	v_lshlrev_b32_e32 v36, 24, v36
	v_lshlrev_b32_e32 v58, 20, v58
	v_and_b32_e32 v36, 0x80000000, v36
	v_lshl_add_u32 v60, v60, 23, v55
	v_or3_b32 v58, v36, v60, v58
.LBB654_255:                            ;   in Loop: Header=BB654_215 Depth=1
	s_or_b64 exec, exec, s[20:21]
.LBB654_256:                            ;   in Loop: Header=BB654_215 Depth=1
	s_or_b64 exec, exec, s[18:19]
.LBB654_257:                            ;   in Loop: Header=BB654_215 Depth=1
	s_or_b64 exec, exec, s[16:17]
	v_cmp_lt_u32_e32 vcc, s22, v34
	s_and_saveexec_b64 s[16:17], vcc
	s_cbranch_execz .LBB654_263
; %bb.258:                              ;   in Loop: Header=BB654_215 Depth=1
	v_lshrrev_b32_e32 v36, 24, v34
	v_cmp_ne_u32_e32 vcc, s9, v36
	v_bfrev_b32_e32 v59, 1
	s_and_saveexec_b64 s[18:19], vcc
	s_cbranch_execz .LBB654_262
; %bb.259:                              ;   in Loop: Header=BB654_215 Depth=1
	v_bfe_u32 v34, v34, 24, 7
	v_cmp_ne_u32_e32 vcc, s11, v34
	v_mov_b32_e32 v59, 0x7f800001
	s_and_saveexec_b64 s[20:21], vcc
	s_cbranch_execz .LBB654_261
; %bb.260:                              ;   in Loop: Header=BB654_215 Depth=1
	v_and_b32_e32 v59, 7, v36
	v_ffbh_u32_e32 v60, v59
	v_min_u32_e32 v63, 32, v60
	v_subrev_u32_e32 v60, 28, v63
	v_lshlrev_b64 v[60:61], v60, v[36:37]
	v_lshrrev_b32_e32 v62, 3, v34
	v_sub_u32_e32 v61, 29, v63
	v_and_b32_e32 v60, 7, v60
	v_cmp_gt_u32_e32 vcc, 8, v34
	v_cndmask_b32_e32 v34, v62, v61, vcc
	v_cndmask_b32_e32 v59, v59, v60, vcc
	v_lshlrev_b32_e32 v36, 24, v36
	v_lshlrev_b32_e32 v59, 20, v59
	v_and_b32_e32 v36, 0x80000000, v36
	v_lshl_add_u32 v34, v34, 23, v55
	v_or3_b32 v59, v36, v34, v59
.LBB654_261:                            ;   in Loop: Header=BB654_215 Depth=1
	s_or_b64 exec, exec, s[20:21]
.LBB654_262:                            ;   in Loop: Header=BB654_215 Depth=1
	s_or_b64 exec, exec, s[18:19]
.LBB654_263:                            ;   in Loop: Header=BB654_215 Depth=1
	s_or_b64 exec, exec, s[16:17]
	v_cvt_pkrtz_f16_f32 v34, v37, v35
	v_cvt_pkrtz_f16_f32 v35, v44, v56
	;; [unrolled: 1-line block ×4, first 2 shown]
	v_mov_b32_e32 v44, 0
	v_mfma_f32_16x16x16f16 v[34:37], v[34:35], v[2:3], 0
	s_waitcnt vmcnt(1)
	v_cmp_ne_u16_sdwa s[18:19], v40, v52 src0_sel:BYTE_0 src1_sel:DWORD
	v_mov_b32_e32 v57, 0
	v_mfma_f32_16x16x16f16 v[34:37], v[60:61], v[4:5], v[34:37]
	s_and_saveexec_b64 s[16:17], s[18:19]
	s_cbranch_execz .LBB654_269
; %bb.264:                              ;   in Loop: Header=BB654_215 Depth=1
	v_cmp_ne_u16_sdwa s[20:21], v40, s9 src0_sel:BYTE_0 src1_sel:DWORD
	v_bfrev_b32_e32 v57, 1
	s_and_saveexec_b64 s[18:19], s[20:21]
	s_cbranch_execz .LBB654_268
; %bb.265:                              ;   in Loop: Header=BB654_215 Depth=1
	v_and_b32_e32 v42, 0x7f, v40
	v_cmp_ne_u32_e32 vcc, s11, v42
	v_mov_b32_e32 v57, 0x7f800001
	s_and_saveexec_b64 s[20:21], vcc
	s_cbranch_execz .LBB654_267
; %bb.266:                              ;   in Loop: Header=BB654_215 Depth=1
	v_and_b32_e32 v58, 7, v40
	v_ffbh_u32_e32 v56, v58
	v_min_u32_e32 v60, 32, v56
	v_subrev_u32_e32 v56, 28, v60
	v_lshlrev_b64 v[56:57], v56, v[40:41]
	v_lshrrev_b32_e32 v59, 3, v42
	v_sub_u32_e32 v57, 29, v60
	v_and_b32_e32 v56, 7, v56
	v_cmp_gt_u32_e32 vcc, 8, v42
	v_cndmask_b32_e32 v42, v59, v57, vcc
	v_cndmask_b32_e32 v56, v58, v56, vcc
	v_lshlrev_b32_e32 v57, 24, v40
	v_lshlrev_b32_e32 v56, 20, v56
	v_and_b32_e32 v57, 0x80000000, v57
	v_lshl_add_u32 v42, v42, 23, v55
	v_or3_b32 v57, v57, v42, v56
.LBB654_267:                            ;   in Loop: Header=BB654_215 Depth=1
	s_or_b64 exec, exec, s[20:21]
.LBB654_268:                            ;   in Loop: Header=BB654_215 Depth=1
	s_or_b64 exec, exec, s[18:19]
.LBB654_269:                            ;   in Loop: Header=BB654_215 Depth=1
	s_or_b64 exec, exec, s[16:17]
	v_lshrrev_b16_e32 v42, 8, v40
	v_cmp_ne_u16_e32 vcc, 0, v42
	v_mov_b32_e32 v58, 0
	s_and_saveexec_b64 s[16:17], vcc
	s_cbranch_execz .LBB654_275
; %bb.270:                              ;   in Loop: Header=BB654_215 Depth=1
	v_cmp_ne_u16_e32 vcc, s9, v42
	v_bfrev_b32_e32 v58, 1
	s_and_saveexec_b64 s[18:19], vcc
	s_cbranch_execz .LBB654_274
; %bb.271:                              ;   in Loop: Header=BB654_215 Depth=1
	v_and_b32_e32 v56, 0x7f, v42
	v_cmp_ne_u32_e32 vcc, s11, v56
	v_mov_b32_e32 v58, 0x7f800001
	s_and_saveexec_b64 s[20:21], vcc
	s_cbranch_execz .LBB654_273
; %bb.272:                              ;   in Loop: Header=BB654_215 Depth=1
	v_and_b32_e32 v60, 7, v42
	v_ffbh_u32_e32 v58, v60
	v_min_u32_e32 v62, 32, v58
	v_subrev_u32_e32 v58, 28, v62
	v_lshlrev_b64 v[58:59], v58, v[42:43]
	v_lshrrev_b32_e32 v61, 3, v56
	v_sub_u32_e32 v42, 29, v62
	v_and_b32_e32 v58, 7, v58
	v_cmp_gt_u32_e32 vcc, 8, v56
	v_cndmask_b32_e32 v42, v61, v42, vcc
	v_cndmask_b32_e32 v56, v60, v58, vcc
	v_lshlrev_b32_e32 v58, 16, v40
	v_lshlrev_b32_e32 v56, 20, v56
	v_and_b32_e32 v58, 0x80000000, v58
	v_lshl_add_u32 v42, v42, 23, v55
	v_or3_b32 v58, v58, v42, v56
.LBB654_273:                            ;   in Loop: Header=BB654_215 Depth=1
	s_or_b64 exec, exec, s[20:21]
.LBB654_274:                            ;   in Loop: Header=BB654_215 Depth=1
	s_or_b64 exec, exec, s[18:19]
.LBB654_275:                            ;   in Loop: Header=BB654_215 Depth=1
	s_or_b64 exec, exec, s[16:17]
	v_lshrrev_b32_e32 v42, 16, v40
	v_cmp_ne_u16_sdwa s[18:19], v42, v52 src0_sel:BYTE_0 src1_sel:DWORD
	s_and_saveexec_b64 s[16:17], s[18:19]
	s_cbranch_execz .LBB654_281
; %bb.276:                              ;   in Loop: Header=BB654_215 Depth=1
	v_cmp_ne_u16_sdwa s[20:21], v42, s9 src0_sel:BYTE_0 src1_sel:DWORD
	v_bfrev_b32_e32 v44, 1
	s_and_saveexec_b64 s[18:19], s[20:21]
	s_cbranch_execz .LBB654_280
; %bb.277:                              ;   in Loop: Header=BB654_215 Depth=1
	v_bfe_u32 v56, v40, 16, 7
	v_cmp_ne_u32_e32 vcc, s11, v56
	v_mov_b32_e32 v44, 0x7f800001
	s_and_saveexec_b64 s[20:21], vcc
	s_cbranch_execz .LBB654_279
; %bb.278:                              ;   in Loop: Header=BB654_215 Depth=1
	v_and_b32_e32 v44, 7, v42
	v_ffbh_u32_e32 v60, v44
	v_min_u32_e32 v62, 32, v60
	v_subrev_u32_e32 v60, 28, v62
	v_lshlrev_b64 v[60:61], v60, v[42:43]
	v_lshrrev_b32_e32 v59, 3, v56
	v_sub_u32_e32 v61, 29, v62
	v_and_b32_e32 v60, 7, v60
	v_cmp_gt_u32_e32 vcc, 8, v56
	v_cndmask_b32_e32 v56, v59, v61, vcc
	v_cndmask_b32_e32 v44, v44, v60, vcc
	v_lshlrev_b32_e32 v42, 24, v42
	v_lshlrev_b32_e32 v44, 20, v44
	v_and_b32_e32 v42, 0x80000000, v42
	v_lshl_add_u32 v56, v56, 23, v55
	v_or3_b32 v44, v42, v56, v44
.LBB654_279:                            ;   in Loop: Header=BB654_215 Depth=1
	s_or_b64 exec, exec, s[20:21]
.LBB654_280:                            ;   in Loop: Header=BB654_215 Depth=1
	s_or_b64 exec, exec, s[18:19]
.LBB654_281:                            ;   in Loop: Header=BB654_215 Depth=1
	s_or_b64 exec, exec, s[16:17]
	v_cmp_lt_u32_e32 vcc, s22, v40
	v_mov_b32_e32 v59, 0
	v_mov_b32_e32 v60, 0
	s_and_saveexec_b64 s[16:17], vcc
	s_cbranch_execz .LBB654_287
; %bb.282:                              ;   in Loop: Header=BB654_215 Depth=1
	v_lshrrev_b32_e32 v42, 24, v40
	v_cmp_ne_u32_e32 vcc, s9, v42
	v_bfrev_b32_e32 v60, 1
	s_and_saveexec_b64 s[18:19], vcc
	s_cbranch_execz .LBB654_286
; %bb.283:                              ;   in Loop: Header=BB654_215 Depth=1
	v_bfe_u32 v40, v40, 24, 7
	v_cmp_ne_u32_e32 vcc, s11, v40
	v_mov_b32_e32 v60, 0x7f800001
	s_and_saveexec_b64 s[20:21], vcc
	s_cbranch_execz .LBB654_285
; %bb.284:                              ;   in Loop: Header=BB654_215 Depth=1
	v_and_b32_e32 v56, 7, v42
	v_ffbh_u32_e32 v60, v56
	v_min_u32_e32 v63, 32, v60
	v_subrev_u32_e32 v60, 28, v63
	v_lshlrev_b64 v[60:61], v60, v[42:43]
	v_lshrrev_b32_e32 v62, 3, v40
	v_sub_u32_e32 v61, 29, v63
	v_and_b32_e32 v60, 7, v60
	v_cmp_gt_u32_e32 vcc, 8, v40
	v_cndmask_b32_e32 v40, v62, v61, vcc
	v_cndmask_b32_e32 v56, v56, v60, vcc
	v_lshlrev_b32_e32 v42, 24, v42
	v_lshlrev_b32_e32 v56, 20, v56
	v_and_b32_e32 v42, 0x80000000, v42
	v_lshl_add_u32 v40, v40, 23, v55
	v_or3_b32 v60, v42, v40, v56
.LBB654_285:                            ;   in Loop: Header=BB654_215 Depth=1
	s_or_b64 exec, exec, s[20:21]
.LBB654_286:                            ;   in Loop: Header=BB654_215 Depth=1
	s_or_b64 exec, exec, s[18:19]
.LBB654_287:                            ;   in Loop: Header=BB654_215 Depth=1
	s_or_b64 exec, exec, s[16:17]
	s_waitcnt vmcnt(0)
	v_cmp_ne_u16_sdwa s[18:19], v38, v52 src0_sel:BYTE_0 src1_sel:DWORD
	s_and_saveexec_b64 s[16:17], s[18:19]
	s_cbranch_execz .LBB654_293
; %bb.288:                              ;   in Loop: Header=BB654_215 Depth=1
	v_cmp_ne_u16_sdwa s[20:21], v38, s9 src0_sel:BYTE_0 src1_sel:DWORD
	v_bfrev_b32_e32 v59, 1
	s_and_saveexec_b64 s[18:19], s[20:21]
	s_cbranch_execz .LBB654_292
; %bb.289:                              ;   in Loop: Header=BB654_215 Depth=1
	v_and_b32_e32 v40, 0x7f, v38
	v_cmp_ne_u32_e32 vcc, s11, v40
	v_mov_b32_e32 v59, 0x7f800001
	s_and_saveexec_b64 s[20:21], vcc
	s_cbranch_execz .LBB654_291
; %bb.290:                              ;   in Loop: Header=BB654_215 Depth=1
	v_and_b32_e32 v42, 7, v38
	v_ffbh_u32_e32 v59, v42
	v_min_u32_e32 v59, 32, v59
	v_subrev_u32_e32 v61, 28, v59
	v_lshlrev_b64 v[62:63], v61, v[38:39]
	v_lshrrev_b32_e32 v56, 3, v40
	v_sub_u32_e32 v59, 29, v59
	v_and_b32_e32 v61, 7, v62
	v_cmp_gt_u32_e32 vcc, 8, v40
	v_cndmask_b32_e32 v40, v56, v59, vcc
	v_cndmask_b32_e32 v42, v42, v61, vcc
	v_lshlrev_b32_e32 v56, 24, v38
	v_lshlrev_b32_e32 v42, 20, v42
	v_and_b32_e32 v56, 0x80000000, v56
	v_lshl_add_u32 v40, v40, 23, v55
	v_or3_b32 v59, v56, v40, v42
.LBB654_291:                            ;   in Loop: Header=BB654_215 Depth=1
	s_or_b64 exec, exec, s[20:21]
.LBB654_292:                            ;   in Loop: Header=BB654_215 Depth=1
	s_or_b64 exec, exec, s[18:19]
.LBB654_293:                            ;   in Loop: Header=BB654_215 Depth=1
	s_or_b64 exec, exec, s[16:17]
	v_lshrrev_b16_e32 v40, 8, v38
	v_cmp_ne_u16_e32 vcc, 0, v40
	v_mov_b32_e32 v61, 0
	v_mov_b32_e32 v62, 0
	s_and_saveexec_b64 s[16:17], vcc
	s_cbranch_execz .LBB654_299
; %bb.294:                              ;   in Loop: Header=BB654_215 Depth=1
	v_cmp_ne_u16_e32 vcc, s9, v40
	v_bfrev_b32_e32 v62, 1
	s_and_saveexec_b64 s[18:19], vcc
	s_cbranch_execz .LBB654_298
; %bb.295:                              ;   in Loop: Header=BB654_215 Depth=1
	v_and_b32_e32 v42, 0x7f, v40
	v_cmp_ne_u32_e32 vcc, s11, v42
	v_mov_b32_e32 v62, 0x7f800001
	s_and_saveexec_b64 s[20:21], vcc
	s_cbranch_execz .LBB654_297
; %bb.296:                              ;   in Loop: Header=BB654_215 Depth=1
	v_and_b32_e32 v56, 7, v40
	v_ffbh_u32_e32 v62, v56
	v_min_u32_e32 v65, 32, v62
	v_subrev_u32_e32 v62, 28, v65
	v_lshlrev_b64 v[62:63], v62, v[40:41]
	v_lshrrev_b32_e32 v64, 3, v42
	v_sub_u32_e32 v40, 29, v65
	v_and_b32_e32 v62, 7, v62
	v_cmp_gt_u32_e32 vcc, 8, v42
	v_cndmask_b32_e32 v40, v64, v40, vcc
	v_cndmask_b32_e32 v42, v56, v62, vcc
	v_lshlrev_b32_e32 v56, 16, v38
	v_lshlrev_b32_e32 v42, 20, v42
	v_and_b32_e32 v56, 0x80000000, v56
	v_lshl_add_u32 v40, v40, 23, v55
	v_or3_b32 v62, v56, v40, v42
.LBB654_297:                            ;   in Loop: Header=BB654_215 Depth=1
	s_or_b64 exec, exec, s[20:21]
.LBB654_298:                            ;   in Loop: Header=BB654_215 Depth=1
	s_or_b64 exec, exec, s[18:19]
.LBB654_299:                            ;   in Loop: Header=BB654_215 Depth=1
	s_or_b64 exec, exec, s[16:17]
	v_lshrrev_b32_e32 v40, 16, v38
	v_cmp_ne_u16_sdwa s[18:19], v40, v52 src0_sel:BYTE_0 src1_sel:DWORD
	s_and_saveexec_b64 s[16:17], s[18:19]
	s_cbranch_execz .LBB654_305
; %bb.300:                              ;   in Loop: Header=BB654_215 Depth=1
	v_cmp_ne_u16_sdwa s[20:21], v40, s9 src0_sel:BYTE_0 src1_sel:DWORD
	v_bfrev_b32_e32 v61, 1
	s_and_saveexec_b64 s[18:19], s[20:21]
	s_cbranch_execz .LBB654_304
; %bb.301:                              ;   in Loop: Header=BB654_215 Depth=1
	v_bfe_u32 v42, v38, 16, 7
	v_cmp_ne_u32_e32 vcc, s11, v42
	v_mov_b32_e32 v61, 0x7f800001
	s_and_saveexec_b64 s[20:21], vcc
	s_cbranch_execz .LBB654_303
; %bb.302:                              ;   in Loop: Header=BB654_215 Depth=1
	v_and_b32_e32 v56, 7, v40
	v_ffbh_u32_e32 v63, v56
	v_min_u32_e32 v63, 32, v63
	v_subrev_u32_e32 v64, 28, v63
	v_lshlrev_b64 v[64:65], v64, v[40:41]
	v_lshrrev_b32_e32 v61, 3, v42
	v_sub_u32_e32 v63, 29, v63
	v_and_b32_e32 v64, 7, v64
	v_cmp_gt_u32_e32 vcc, 8, v42
	v_cndmask_b32_e32 v42, v61, v63, vcc
	v_cndmask_b32_e32 v56, v56, v64, vcc
	v_lshlrev_b32_e32 v40, 24, v40
	v_lshlrev_b32_e32 v56, 20, v56
	v_and_b32_e32 v40, 0x80000000, v40
	v_lshl_add_u32 v42, v42, 23, v55
	v_or3_b32 v61, v40, v42, v56
.LBB654_303:                            ;   in Loop: Header=BB654_215 Depth=1
	s_or_b64 exec, exec, s[20:21]
.LBB654_304:                            ;   in Loop: Header=BB654_215 Depth=1
	s_or_b64 exec, exec, s[18:19]
.LBB654_305:                            ;   in Loop: Header=BB654_215 Depth=1
	s_or_b64 exec, exec, s[16:17]
	v_cmp_lt_u32_e32 vcc, s22, v38
	v_mov_b32_e32 v56, 0
	v_mov_b32_e32 v63, 0
	s_and_saveexec_b64 s[16:17], vcc
	s_cbranch_execz .LBB654_311
; %bb.306:                              ;   in Loop: Header=BB654_215 Depth=1
	v_lshrrev_b32_e32 v40, 24, v38
	v_cmp_ne_u32_e32 vcc, s9, v40
	v_bfrev_b32_e32 v63, 1
	s_and_saveexec_b64 s[18:19], vcc
	s_cbranch_execz .LBB654_310
; %bb.307:                              ;   in Loop: Header=BB654_215 Depth=1
	v_bfe_u32 v38, v38, 24, 7
	v_cmp_ne_u32_e32 vcc, s11, v38
	v_mov_b32_e32 v63, 0x7f800001
	s_and_saveexec_b64 s[20:21], vcc
	s_cbranch_execz .LBB654_309
; %bb.308:                              ;   in Loop: Header=BB654_215 Depth=1
	v_and_b32_e32 v42, 7, v40
	v_ffbh_u32_e32 v64, v42
	v_min_u32_e32 v66, 32, v64
	v_subrev_u32_e32 v64, 28, v66
	v_lshlrev_b64 v[64:65], v64, v[40:41]
	v_lshrrev_b32_e32 v63, 3, v38
	v_sub_u32_e32 v65, 29, v66
	v_and_b32_e32 v64, 7, v64
	v_cmp_gt_u32_e32 vcc, 8, v38
	v_cndmask_b32_e32 v38, v63, v65, vcc
	v_cndmask_b32_e32 v42, v42, v64, vcc
	v_lshlrev_b32_e32 v40, 24, v40
	v_lshlrev_b32_e32 v42, 20, v42
	v_and_b32_e32 v40, 0x80000000, v40
	v_lshl_add_u32 v38, v38, 23, v55
	v_or3_b32 v63, v40, v38, v42
.LBB654_309:                            ;   in Loop: Header=BB654_215 Depth=1
	s_or_b64 exec, exec, s[20:21]
.LBB654_310:                            ;   in Loop: Header=BB654_215 Depth=1
	s_or_b64 exec, exec, s[18:19]
.LBB654_311:                            ;   in Loop: Header=BB654_215 Depth=1
	s_or_b64 exec, exec, s[16:17]
	v_cvt_pkrtz_f16_f32 v65, v44, v60
	buffer_load_dword v44, v46, s[0:3], 0 offen
	buffer_load_dword v42, v46, s[0:3], 0 offen offset:4
	buffer_load_dword v40, v46, s[0:3], 0 offen offset:8
	;; [unrolled: 1-line block ×3, first 2 shown]
	v_cvt_pkrtz_f16_f32 v64, v57, v58
	v_cvt_pkrtz_f16_f32 v58, v59, v62
	;; [unrolled: 1-line block ×3, first 2 shown]
	v_mfma_f32_16x16x16f16 v[34:37], v[64:65], v[6:7], v[34:37]
	s_waitcnt vmcnt(3)
	v_cmp_ne_u16_sdwa s[18:19], v44, v52 src0_sel:BYTE_0 src1_sel:DWORD
	v_mfma_f32_16x16x16f16 v[34:37], v[58:59], v[8:9], v[34:37]
	s_and_saveexec_b64 s[16:17], s[18:19]
	s_cbranch_execz .LBB654_317
; %bb.312:                              ;   in Loop: Header=BB654_215 Depth=1
	v_cmp_ne_u16_sdwa s[20:21], v44, s9 src0_sel:BYTE_0 src1_sel:DWORD
	v_bfrev_b32_e32 v56, 1
	s_and_saveexec_b64 s[18:19], s[20:21]
	s_cbranch_execz .LBB654_316
; %bb.313:                              ;   in Loop: Header=BB654_215 Depth=1
	v_and_b32_e32 v46, 0x7f, v44
	v_cmp_ne_u32_e32 vcc, s11, v46
	v_mov_b32_e32 v56, 0x7f800001
	s_and_saveexec_b64 s[20:21], vcc
	s_cbranch_execz .LBB654_315
; %bb.314:                              ;   in Loop: Header=BB654_215 Depth=1
	v_and_b32_e32 v58, 7, v44
	v_ffbh_u32_e32 v56, v58
	v_min_u32_e32 v60, 32, v56
	v_subrev_u32_e32 v56, 28, v60
	v_lshlrev_b64 v[56:57], v56, v[44:45]
	v_lshrrev_b32_e32 v59, 3, v46
	v_sub_u32_e32 v57, 29, v60
	v_and_b32_e32 v56, 7, v56
	v_cmp_gt_u32_e32 vcc, 8, v46
	v_cndmask_b32_e32 v46, v59, v57, vcc
	v_cndmask_b32_e32 v56, v58, v56, vcc
	v_lshlrev_b32_e32 v57, 24, v44
	v_lshlrev_b32_e32 v56, 20, v56
	v_and_b32_e32 v57, 0x80000000, v57
	v_lshl_add_u32 v46, v46, 23, v55
	v_or3_b32 v56, v57, v46, v56
.LBB654_315:                            ;   in Loop: Header=BB654_215 Depth=1
	s_or_b64 exec, exec, s[20:21]
.LBB654_316:                            ;   in Loop: Header=BB654_215 Depth=1
	s_or_b64 exec, exec, s[18:19]
.LBB654_317:                            ;   in Loop: Header=BB654_215 Depth=1
	s_or_b64 exec, exec, s[16:17]
	v_lshrrev_b16_e32 v46, 8, v44
	v_cmp_ne_u16_e32 vcc, 0, v46
	v_mov_b32_e32 v57, 0
	v_mov_b32_e32 v58, 0
	s_and_saveexec_b64 s[16:17], vcc
	s_cbranch_execz .LBB654_323
; %bb.318:                              ;   in Loop: Header=BB654_215 Depth=1
	v_cmp_ne_u16_e32 vcc, s9, v46
	v_bfrev_b32_e32 v58, 1
	s_and_saveexec_b64 s[18:19], vcc
	s_cbranch_execz .LBB654_322
; %bb.319:                              ;   in Loop: Header=BB654_215 Depth=1
	v_and_b32_e32 v59, 0x7f, v46
	v_cmp_ne_u32_e32 vcc, s11, v59
	v_mov_b32_e32 v58, 0x7f800001
	s_and_saveexec_b64 s[20:21], vcc
	s_cbranch_execz .LBB654_321
; %bb.320:                              ;   in Loop: Header=BB654_215 Depth=1
	v_and_b32_e32 v58, 7, v46
	v_ffbh_u32_e32 v60, v58
	v_min_u32_e32 v63, 32, v60
	v_subrev_u32_e32 v60, 28, v63
	v_lshlrev_b64 v[60:61], v60, v[46:47]
	v_lshrrev_b32_e32 v62, 3, v59
	v_sub_u32_e32 v46, 29, v63
	v_and_b32_e32 v60, 7, v60
	v_cmp_gt_u32_e32 vcc, 8, v59
	v_cndmask_b32_e32 v46, v62, v46, vcc
	v_cndmask_b32_e32 v58, v58, v60, vcc
	v_lshlrev_b32_e32 v59, 16, v44
	v_lshlrev_b32_e32 v58, 20, v58
	v_and_b32_e32 v59, 0x80000000, v59
	v_lshl_add_u32 v46, v46, 23, v55
	v_or3_b32 v58, v59, v46, v58
.LBB654_321:                            ;   in Loop: Header=BB654_215 Depth=1
	s_or_b64 exec, exec, s[20:21]
.LBB654_322:                            ;   in Loop: Header=BB654_215 Depth=1
	s_or_b64 exec, exec, s[18:19]
.LBB654_323:                            ;   in Loop: Header=BB654_215 Depth=1
	s_or_b64 exec, exec, s[16:17]
	v_lshrrev_b32_e32 v46, 16, v44
	v_cmp_ne_u16_sdwa s[18:19], v46, v52 src0_sel:BYTE_0 src1_sel:DWORD
	s_and_saveexec_b64 s[16:17], s[18:19]
	s_cbranch_execz .LBB654_329
; %bb.324:                              ;   in Loop: Header=BB654_215 Depth=1
	v_cmp_ne_u16_sdwa s[20:21], v46, s9 src0_sel:BYTE_0 src1_sel:DWORD
	v_bfrev_b32_e32 v57, 1
	s_and_saveexec_b64 s[18:19], s[20:21]
	s_cbranch_execz .LBB654_328
; %bb.325:                              ;   in Loop: Header=BB654_215 Depth=1
	v_bfe_u32 v59, v44, 16, 7
	v_cmp_ne_u32_e32 vcc, s11, v59
	v_mov_b32_e32 v57, 0x7f800001
	s_and_saveexec_b64 s[20:21], vcc
	s_cbranch_execz .LBB654_327
; %bb.326:                              ;   in Loop: Header=BB654_215 Depth=1
	v_and_b32_e32 v57, 7, v46
	v_ffbh_u32_e32 v60, v57
	v_min_u32_e32 v63, 32, v60
	v_subrev_u32_e32 v60, 28, v63
	v_lshlrev_b64 v[60:61], v60, v[46:47]
	v_lshrrev_b32_e32 v62, 3, v59
	v_sub_u32_e32 v61, 29, v63
	v_and_b32_e32 v60, 7, v60
	v_cmp_gt_u32_e32 vcc, 8, v59
	v_cndmask_b32_e32 v59, v62, v61, vcc
	v_cndmask_b32_e32 v57, v57, v60, vcc
	v_lshlrev_b32_e32 v46, 24, v46
	v_lshlrev_b32_e32 v57, 20, v57
	v_and_b32_e32 v46, 0x80000000, v46
	v_lshl_add_u32 v59, v59, 23, v55
	v_or3_b32 v57, v46, v59, v57
.LBB654_327:                            ;   in Loop: Header=BB654_215 Depth=1
	s_or_b64 exec, exec, s[20:21]
.LBB654_328:                            ;   in Loop: Header=BB654_215 Depth=1
	s_or_b64 exec, exec, s[18:19]
.LBB654_329:                            ;   in Loop: Header=BB654_215 Depth=1
	s_or_b64 exec, exec, s[16:17]
	v_cmp_lt_u32_e32 vcc, s22, v44
	v_mov_b32_e32 v59, 0
	v_mov_b32_e32 v60, 0
	s_and_saveexec_b64 s[16:17], vcc
	s_cbranch_execz .LBB654_335
; %bb.330:                              ;   in Loop: Header=BB654_215 Depth=1
	v_lshrrev_b32_e32 v46, 24, v44
	v_cmp_ne_u32_e32 vcc, s9, v46
	v_bfrev_b32_e32 v60, 1
	s_and_saveexec_b64 s[18:19], vcc
	s_cbranch_execz .LBB654_334
; %bb.331:                              ;   in Loop: Header=BB654_215 Depth=1
	v_bfe_u32 v44, v44, 24, 7
	v_cmp_ne_u32_e32 vcc, s11, v44
	v_mov_b32_e32 v60, 0x7f800001
	s_and_saveexec_b64 s[20:21], vcc
	s_cbranch_execz .LBB654_333
; %bb.332:                              ;   in Loop: Header=BB654_215 Depth=1
	v_and_b32_e32 v62, 7, v46
	v_ffbh_u32_e32 v60, v62
	v_min_u32_e32 v64, 32, v60
	v_subrev_u32_e32 v60, 28, v64
	v_lshlrev_b64 v[60:61], v60, v[46:47]
	v_lshrrev_b32_e32 v63, 3, v44
	v_sub_u32_e32 v61, 29, v64
	v_and_b32_e32 v60, 7, v60
	v_cmp_gt_u32_e32 vcc, 8, v44
	v_cndmask_b32_e32 v44, v63, v61, vcc
	v_cndmask_b32_e32 v60, v62, v60, vcc
	v_lshlrev_b32_e32 v46, 24, v46
	v_lshlrev_b32_e32 v60, 20, v60
	v_and_b32_e32 v46, 0x80000000, v46
	v_lshl_add_u32 v44, v44, 23, v55
	v_or3_b32 v60, v46, v44, v60
.LBB654_333:                            ;   in Loop: Header=BB654_215 Depth=1
	s_or_b64 exec, exec, s[20:21]
.LBB654_334:                            ;   in Loop: Header=BB654_215 Depth=1
	s_or_b64 exec, exec, s[18:19]
.LBB654_335:                            ;   in Loop: Header=BB654_215 Depth=1
	s_or_b64 exec, exec, s[16:17]
	s_waitcnt vmcnt(2)
	v_cmp_ne_u16_sdwa s[18:19], v42, v52 src0_sel:BYTE_0 src1_sel:DWORD
	s_and_saveexec_b64 s[16:17], s[18:19]
	s_cbranch_execz .LBB654_341
; %bb.336:                              ;   in Loop: Header=BB654_215 Depth=1
	v_cmp_ne_u16_sdwa s[20:21], v42, s9 src0_sel:BYTE_0 src1_sel:DWORD
	v_bfrev_b32_e32 v59, 1
	s_and_saveexec_b64 s[18:19], s[20:21]
	s_cbranch_execz .LBB654_340
; %bb.337:                              ;   in Loop: Header=BB654_215 Depth=1
	v_and_b32_e32 v44, 0x7f, v42
	v_cmp_ne_u32_e32 vcc, s11, v44
	v_mov_b32_e32 v59, 0x7f800001
	s_and_saveexec_b64 s[20:21], vcc
	s_cbranch_execz .LBB654_339
; %bb.338:                              ;   in Loop: Header=BB654_215 Depth=1
	v_and_b32_e32 v46, 7, v42
	v_ffbh_u32_e32 v61, v46
	v_min_u32_e32 v61, 32, v61
	v_subrev_u32_e32 v62, 28, v61
	v_lshlrev_b64 v[62:63], v62, v[42:43]
	v_lshrrev_b32_e32 v59, 3, v44
	v_sub_u32_e32 v61, 29, v61
	v_and_b32_e32 v62, 7, v62
	v_cmp_gt_u32_e32 vcc, 8, v44
	v_cndmask_b32_e32 v44, v59, v61, vcc
	v_cndmask_b32_e32 v46, v46, v62, vcc
	v_lshlrev_b32_e32 v59, 24, v42
	v_lshlrev_b32_e32 v46, 20, v46
	v_and_b32_e32 v59, 0x80000000, v59
	v_lshl_add_u32 v44, v44, 23, v55
	v_or3_b32 v59, v59, v44, v46
.LBB654_339:                            ;   in Loop: Header=BB654_215 Depth=1
	s_or_b64 exec, exec, s[20:21]
.LBB654_340:                            ;   in Loop: Header=BB654_215 Depth=1
	s_or_b64 exec, exec, s[18:19]
.LBB654_341:                            ;   in Loop: Header=BB654_215 Depth=1
	s_or_b64 exec, exec, s[16:17]
	v_lshrrev_b16_e32 v44, 8, v42
	v_cmp_ne_u16_e32 vcc, 0, v44
	v_mov_b32_e32 v61, 0
	v_mov_b32_e32 v62, 0
	s_and_saveexec_b64 s[16:17], vcc
	s_cbranch_execz .LBB654_347
; %bb.342:                              ;   in Loop: Header=BB654_215 Depth=1
	v_cmp_ne_u16_e32 vcc, s9, v44
	v_bfrev_b32_e32 v62, 1
	s_and_saveexec_b64 s[18:19], vcc
	s_cbranch_execz .LBB654_346
; %bb.343:                              ;   in Loop: Header=BB654_215 Depth=1
	v_and_b32_e32 v46, 0x7f, v44
	v_cmp_ne_u32_e32 vcc, s11, v46
	v_mov_b32_e32 v62, 0x7f800001
	s_and_saveexec_b64 s[20:21], vcc
	s_cbranch_execz .LBB654_345
; %bb.344:                              ;   in Loop: Header=BB654_215 Depth=1
	v_and_b32_e32 v64, 7, v44
	v_ffbh_u32_e32 v62, v64
	v_min_u32_e32 v66, 32, v62
	v_subrev_u32_e32 v62, 28, v66
	v_lshlrev_b64 v[62:63], v62, v[44:45]
	v_lshrrev_b32_e32 v65, 3, v46
	v_sub_u32_e32 v44, 29, v66
	v_and_b32_e32 v62, 7, v62
	v_cmp_gt_u32_e32 vcc, 8, v46
	v_cndmask_b32_e32 v44, v65, v44, vcc
	v_cndmask_b32_e32 v46, v64, v62, vcc
	v_lshlrev_b32_e32 v62, 16, v42
	v_lshlrev_b32_e32 v46, 20, v46
	v_and_b32_e32 v62, 0x80000000, v62
	v_lshl_add_u32 v44, v44, 23, v55
	v_or3_b32 v62, v62, v44, v46
.LBB654_345:                            ;   in Loop: Header=BB654_215 Depth=1
	s_or_b64 exec, exec, s[20:21]
.LBB654_346:                            ;   in Loop: Header=BB654_215 Depth=1
	s_or_b64 exec, exec, s[18:19]
.LBB654_347:                            ;   in Loop: Header=BB654_215 Depth=1
	s_or_b64 exec, exec, s[16:17]
	v_lshrrev_b32_e32 v44, 16, v42
	v_cmp_ne_u16_sdwa s[18:19], v44, v52 src0_sel:BYTE_0 src1_sel:DWORD
	s_and_saveexec_b64 s[16:17], s[18:19]
	s_cbranch_execz .LBB654_353
; %bb.348:                              ;   in Loop: Header=BB654_215 Depth=1
	v_cmp_ne_u16_sdwa s[20:21], v44, s9 src0_sel:BYTE_0 src1_sel:DWORD
	v_bfrev_b32_e32 v61, 1
	s_and_saveexec_b64 s[18:19], s[20:21]
	s_cbranch_execz .LBB654_352
; %bb.349:                              ;   in Loop: Header=BB654_215 Depth=1
	v_bfe_u32 v46, v42, 16, 7
	v_cmp_ne_u32_e32 vcc, s11, v46
	v_mov_b32_e32 v61, 0x7f800001
	s_and_saveexec_b64 s[20:21], vcc
	s_cbranch_execz .LBB654_351
; %bb.350:                              ;   in Loop: Header=BB654_215 Depth=1
	v_and_b32_e32 v61, 7, v44
	v_ffbh_u32_e32 v64, v61
	v_min_u32_e32 v66, 32, v64
	v_subrev_u32_e32 v64, 28, v66
	v_lshlrev_b64 v[64:65], v64, v[44:45]
	v_lshrrev_b32_e32 v63, 3, v46
	v_sub_u32_e32 v65, 29, v66
	v_and_b32_e32 v64, 7, v64
	v_cmp_gt_u32_e32 vcc, 8, v46
	v_cndmask_b32_e32 v46, v63, v65, vcc
	v_cndmask_b32_e32 v61, v61, v64, vcc
	v_lshlrev_b32_e32 v44, 24, v44
	v_lshlrev_b32_e32 v61, 20, v61
	v_and_b32_e32 v44, 0x80000000, v44
	v_lshl_add_u32 v46, v46, 23, v55
	v_or3_b32 v61, v44, v46, v61
.LBB654_351:                            ;   in Loop: Header=BB654_215 Depth=1
	s_or_b64 exec, exec, s[20:21]
.LBB654_352:                            ;   in Loop: Header=BB654_215 Depth=1
	s_or_b64 exec, exec, s[18:19]
.LBB654_353:                            ;   in Loop: Header=BB654_215 Depth=1
	s_or_b64 exec, exec, s[16:17]
	v_cmp_lt_u32_e32 vcc, s22, v42
	v_mov_b32_e32 v46, 0
	v_mov_b32_e32 v63, 0
	s_and_saveexec_b64 s[16:17], vcc
	s_cbranch_execz .LBB654_359
; %bb.354:                              ;   in Loop: Header=BB654_215 Depth=1
	v_lshrrev_b32_e32 v44, 24, v42
	v_cmp_ne_u32_e32 vcc, s9, v44
	v_bfrev_b32_e32 v63, 1
	s_and_saveexec_b64 s[18:19], vcc
	s_cbranch_execz .LBB654_358
; %bb.355:                              ;   in Loop: Header=BB654_215 Depth=1
	v_bfe_u32 v42, v42, 24, 7
	v_cmp_ne_u32_e32 vcc, s11, v42
	v_mov_b32_e32 v63, 0x7f800001
	s_and_saveexec_b64 s[20:21], vcc
	s_cbranch_execz .LBB654_357
; %bb.356:                              ;   in Loop: Header=BB654_215 Depth=1
	v_and_b32_e32 v63, 7, v44
	v_ffbh_u32_e32 v64, v63
	v_min_u32_e32 v67, 32, v64
	v_subrev_u32_e32 v64, 28, v67
	v_lshlrev_b64 v[64:65], v64, v[44:45]
	v_lshrrev_b32_e32 v66, 3, v42
	v_sub_u32_e32 v65, 29, v67
	v_and_b32_e32 v64, 7, v64
	v_cmp_gt_u32_e32 vcc, 8, v42
	v_cndmask_b32_e32 v42, v66, v65, vcc
	v_cndmask_b32_e32 v63, v63, v64, vcc
	v_lshlrev_b32_e32 v44, 24, v44
	v_lshlrev_b32_e32 v63, 20, v63
	v_and_b32_e32 v44, 0x80000000, v44
	v_lshl_add_u32 v42, v42, 23, v55
	v_or3_b32 v63, v44, v42, v63
.LBB654_357:                            ;   in Loop: Header=BB654_215 Depth=1
	s_or_b64 exec, exec, s[20:21]
.LBB654_358:                            ;   in Loop: Header=BB654_215 Depth=1
	s_or_b64 exec, exec, s[18:19]
.LBB654_359:                            ;   in Loop: Header=BB654_215 Depth=1
	s_or_b64 exec, exec, s[16:17]
	v_cvt_pkrtz_f16_f32 v56, v56, v58
	v_cvt_pkrtz_f16_f32 v57, v57, v60
	s_waitcnt vmcnt(1)
	v_cmp_ne_u16_sdwa s[18:19], v40, v52 src0_sel:BYTE_0 src1_sel:DWORD
	v_mfma_f32_16x16x16f16 v[34:37], v[56:57], v[10:11], v[34:37]
	v_cvt_pkrtz_f16_f32 v56, v59, v62
	v_cvt_pkrtz_f16_f32 v57, v61, v63
	s_nop 1
	v_mfma_f32_16x16x16f16 v[34:37], v[56:57], v[12:13], v[34:37]
	s_and_saveexec_b64 s[16:17], s[18:19]
	s_cbranch_execz .LBB654_365
; %bb.360:                              ;   in Loop: Header=BB654_215 Depth=1
	v_cmp_ne_u16_sdwa s[20:21], v40, s9 src0_sel:BYTE_0 src1_sel:DWORD
	v_bfrev_b32_e32 v46, 1
	s_and_saveexec_b64 s[18:19], s[20:21]
	s_cbranch_execz .LBB654_364
; %bb.361:                              ;   in Loop: Header=BB654_215 Depth=1
	v_and_b32_e32 v42, 0x7f, v40
	v_cmp_ne_u32_e32 vcc, s11, v42
	v_mov_b32_e32 v46, 0x7f800001
	s_and_saveexec_b64 s[20:21], vcc
	s_cbranch_execz .LBB654_363
; %bb.362:                              ;   in Loop: Header=BB654_215 Depth=1
	v_and_b32_e32 v44, 7, v40
	v_ffbh_u32_e32 v56, v44
	v_min_u32_e32 v58, 32, v56
	v_subrev_u32_e32 v56, 28, v58
	v_lshlrev_b64 v[56:57], v56, v[40:41]
	v_lshrrev_b32_e32 v46, 3, v42
	v_sub_u32_e32 v57, 29, v58
	v_and_b32_e32 v56, 7, v56
	v_cmp_gt_u32_e32 vcc, 8, v42
	v_cndmask_b32_e32 v42, v46, v57, vcc
	v_cndmask_b32_e32 v44, v44, v56, vcc
	v_lshlrev_b32_e32 v46, 24, v40
	v_lshlrev_b32_e32 v44, 20, v44
	v_and_b32_e32 v46, 0x80000000, v46
	v_lshl_add_u32 v42, v42, 23, v55
	v_or3_b32 v46, v46, v42, v44
.LBB654_363:                            ;   in Loop: Header=BB654_215 Depth=1
	s_or_b64 exec, exec, s[20:21]
.LBB654_364:                            ;   in Loop: Header=BB654_215 Depth=1
	s_or_b64 exec, exec, s[18:19]
.LBB654_365:                            ;   in Loop: Header=BB654_215 Depth=1
	s_or_b64 exec, exec, s[16:17]
	v_lshrrev_b16_e32 v42, 8, v40
	v_cmp_ne_u16_e32 vcc, 0, v42
	v_mov_b32_e32 v44, 0
	v_mov_b32_e32 v57, 0
	s_and_saveexec_b64 s[16:17], vcc
	s_cbranch_execz .LBB654_371
; %bb.366:                              ;   in Loop: Header=BB654_215 Depth=1
	v_cmp_ne_u16_e32 vcc, s9, v42
	v_bfrev_b32_e32 v57, 1
	s_and_saveexec_b64 s[18:19], vcc
	s_cbranch_execz .LBB654_370
; %bb.367:                              ;   in Loop: Header=BB654_215 Depth=1
	v_and_b32_e32 v56, 0x7f, v42
	v_cmp_ne_u32_e32 vcc, s11, v56
	v_mov_b32_e32 v57, 0x7f800001
	s_and_saveexec_b64 s[20:21], vcc
	s_cbranch_execz .LBB654_369
; %bb.368:                              ;   in Loop: Header=BB654_215 Depth=1
	v_and_b32_e32 v57, 7, v42
	v_ffbh_u32_e32 v58, v57
	v_min_u32_e32 v61, 32, v58
	v_subrev_u32_e32 v58, 28, v61
	v_lshlrev_b64 v[58:59], v58, v[42:43]
	v_lshrrev_b32_e32 v60, 3, v56
	v_sub_u32_e32 v42, 29, v61
	v_and_b32_e32 v58, 7, v58
	v_cmp_gt_u32_e32 vcc, 8, v56
	v_cndmask_b32_e32 v42, v60, v42, vcc
	v_cndmask_b32_e32 v56, v57, v58, vcc
	v_lshlrev_b32_e32 v57, 16, v40
	v_lshlrev_b32_e32 v56, 20, v56
	v_and_b32_e32 v57, 0x80000000, v57
	v_lshl_add_u32 v42, v42, 23, v55
	v_or3_b32 v57, v57, v42, v56
.LBB654_369:                            ;   in Loop: Header=BB654_215 Depth=1
	s_or_b64 exec, exec, s[20:21]
.LBB654_370:                            ;   in Loop: Header=BB654_215 Depth=1
	s_or_b64 exec, exec, s[18:19]
.LBB654_371:                            ;   in Loop: Header=BB654_215 Depth=1
	s_or_b64 exec, exec, s[16:17]
	v_lshrrev_b32_e32 v42, 16, v40
	v_cmp_ne_u16_sdwa s[18:19], v42, v52 src0_sel:BYTE_0 src1_sel:DWORD
	s_and_saveexec_b64 s[16:17], s[18:19]
	s_cbranch_execz .LBB654_377
; %bb.372:                              ;   in Loop: Header=BB654_215 Depth=1
	v_cmp_ne_u16_sdwa s[20:21], v42, s9 src0_sel:BYTE_0 src1_sel:DWORD
	v_bfrev_b32_e32 v44, 1
	s_and_saveexec_b64 s[18:19], s[20:21]
	s_cbranch_execz .LBB654_376
; %bb.373:                              ;   in Loop: Header=BB654_215 Depth=1
	v_bfe_u32 v56, v40, 16, 7
	v_cmp_ne_u32_e32 vcc, s11, v56
	v_mov_b32_e32 v44, 0x7f800001
	s_and_saveexec_b64 s[20:21], vcc
	s_cbranch_execz .LBB654_375
; %bb.374:                              ;   in Loop: Header=BB654_215 Depth=1
	v_and_b32_e32 v44, 7, v42
	v_ffbh_u32_e32 v58, v44
	v_min_u32_e32 v61, 32, v58
	v_subrev_u32_e32 v58, 28, v61
	v_lshlrev_b64 v[58:59], v58, v[42:43]
	v_lshrrev_b32_e32 v60, 3, v56
	v_sub_u32_e32 v59, 29, v61
	v_and_b32_e32 v58, 7, v58
	v_cmp_gt_u32_e32 vcc, 8, v56
	v_cndmask_b32_e32 v56, v60, v59, vcc
	v_cndmask_b32_e32 v44, v44, v58, vcc
	v_lshlrev_b32_e32 v42, 24, v42
	v_lshlrev_b32_e32 v44, 20, v44
	v_and_b32_e32 v42, 0x80000000, v42
	v_lshl_add_u32 v56, v56, 23, v55
	v_or3_b32 v44, v42, v56, v44
.LBB654_375:                            ;   in Loop: Header=BB654_215 Depth=1
	s_or_b64 exec, exec, s[20:21]
.LBB654_376:                            ;   in Loop: Header=BB654_215 Depth=1
	s_or_b64 exec, exec, s[18:19]
.LBB654_377:                            ;   in Loop: Header=BB654_215 Depth=1
	s_or_b64 exec, exec, s[16:17]
	v_cmp_lt_u32_e32 vcc, s22, v40
	v_mov_b32_e32 v58, 0
	v_mov_b32_e32 v59, 0
	s_and_saveexec_b64 s[16:17], vcc
	s_cbranch_execz .LBB654_383
; %bb.378:                              ;   in Loop: Header=BB654_215 Depth=1
	v_lshrrev_b32_e32 v42, 24, v40
	v_cmp_ne_u32_e32 vcc, s9, v42
	v_bfrev_b32_e32 v59, 1
	s_and_saveexec_b64 s[18:19], vcc
	s_cbranch_execz .LBB654_382
; %bb.379:                              ;   in Loop: Header=BB654_215 Depth=1
	v_bfe_u32 v40, v40, 24, 7
	v_cmp_ne_u32_e32 vcc, s11, v40
	v_mov_b32_e32 v59, 0x7f800001
	s_and_saveexec_b64 s[20:21], vcc
	s_cbranch_execz .LBB654_381
; %bb.380:                              ;   in Loop: Header=BB654_215 Depth=1
	v_and_b32_e32 v56, 7, v42
	v_ffbh_u32_e32 v60, v56
	v_min_u32_e32 v62, 32, v60
	v_subrev_u32_e32 v60, 28, v62
	v_lshlrev_b64 v[60:61], v60, v[42:43]
	v_lshrrev_b32_e32 v59, 3, v40
	v_sub_u32_e32 v61, 29, v62
	v_and_b32_e32 v60, 7, v60
	v_cmp_gt_u32_e32 vcc, 8, v40
	v_cndmask_b32_e32 v40, v59, v61, vcc
	v_cndmask_b32_e32 v56, v56, v60, vcc
	v_lshlrev_b32_e32 v42, 24, v42
	v_lshlrev_b32_e32 v56, 20, v56
	v_and_b32_e32 v42, 0x80000000, v42
	v_lshl_add_u32 v40, v40, 23, v55
	v_or3_b32 v59, v42, v40, v56
.LBB654_381:                            ;   in Loop: Header=BB654_215 Depth=1
	s_or_b64 exec, exec, s[20:21]
.LBB654_382:                            ;   in Loop: Header=BB654_215 Depth=1
	s_or_b64 exec, exec, s[18:19]
.LBB654_383:                            ;   in Loop: Header=BB654_215 Depth=1
	s_or_b64 exec, exec, s[16:17]
	s_waitcnt vmcnt(0)
	v_cmp_ne_u16_sdwa s[18:19], v38, v52 src0_sel:BYTE_0 src1_sel:DWORD
	s_and_saveexec_b64 s[16:17], s[18:19]
	s_cbranch_execz .LBB654_389
; %bb.384:                              ;   in Loop: Header=BB654_215 Depth=1
	v_cmp_ne_u16_sdwa s[20:21], v38, s9 src0_sel:BYTE_0 src1_sel:DWORD
	v_bfrev_b32_e32 v58, 1
	s_and_saveexec_b64 s[18:19], s[20:21]
	s_cbranch_execz .LBB654_388
; %bb.385:                              ;   in Loop: Header=BB654_215 Depth=1
	v_and_b32_e32 v40, 0x7f, v38
	v_cmp_ne_u32_e32 vcc, s11, v40
	v_mov_b32_e32 v58, 0x7f800001
	s_and_saveexec_b64 s[20:21], vcc
	s_cbranch_execz .LBB654_387
; %bb.386:                              ;   in Loop: Header=BB654_215 Depth=1
	v_and_b32_e32 v42, 7, v38
	v_ffbh_u32_e32 v58, v42
	v_min_u32_e32 v58, 32, v58
	v_subrev_u32_e32 v60, 28, v58
	v_lshlrev_b64 v[60:61], v60, v[38:39]
	v_lshrrev_b32_e32 v56, 3, v40
	v_sub_u32_e32 v58, 29, v58
	v_and_b32_e32 v60, 7, v60
	v_cmp_gt_u32_e32 vcc, 8, v40
	v_cndmask_b32_e32 v40, v56, v58, vcc
	v_cndmask_b32_e32 v42, v42, v60, vcc
	v_lshlrev_b32_e32 v56, 24, v38
	v_lshlrev_b32_e32 v42, 20, v42
	v_and_b32_e32 v56, 0x80000000, v56
	v_lshl_add_u32 v40, v40, 23, v55
	v_or3_b32 v58, v56, v40, v42
.LBB654_387:                            ;   in Loop: Header=BB654_215 Depth=1
	s_or_b64 exec, exec, s[20:21]
.LBB654_388:                            ;   in Loop: Header=BB654_215 Depth=1
	s_or_b64 exec, exec, s[18:19]
.LBB654_389:                            ;   in Loop: Header=BB654_215 Depth=1
	s_or_b64 exec, exec, s[16:17]
	v_lshrrev_b16_e32 v40, 8, v38
	v_cmp_ne_u16_e32 vcc, 0, v40
	v_mov_b32_e32 v60, 0
	v_mov_b32_e32 v61, 0
	s_and_saveexec_b64 s[16:17], vcc
	s_cbranch_execz .LBB654_395
; %bb.390:                              ;   in Loop: Header=BB654_215 Depth=1
	v_cmp_ne_u16_e32 vcc, s9, v40
	v_bfrev_b32_e32 v61, 1
	s_and_saveexec_b64 s[18:19], vcc
	s_cbranch_execz .LBB654_394
; %bb.391:                              ;   in Loop: Header=BB654_215 Depth=1
	v_and_b32_e32 v42, 0x7f, v40
	v_cmp_ne_u32_e32 vcc, s11, v42
	v_mov_b32_e32 v61, 0x7f800001
	s_and_saveexec_b64 s[20:21], vcc
	s_cbranch_execz .LBB654_393
; %bb.392:                              ;   in Loop: Header=BB654_215 Depth=1
	v_and_b32_e32 v56, 7, v40
	v_ffbh_u32_e32 v62, v56
	v_min_u32_e32 v64, 32, v62
	v_subrev_u32_e32 v62, 28, v64
	v_lshlrev_b64 v[62:63], v62, v[40:41]
	v_lshrrev_b32_e32 v61, 3, v42
	v_sub_u32_e32 v40, 29, v64
	v_and_b32_e32 v62, 7, v62
	v_cmp_gt_u32_e32 vcc, 8, v42
	v_cndmask_b32_e32 v40, v61, v40, vcc
	v_cndmask_b32_e32 v42, v56, v62, vcc
	v_lshlrev_b32_e32 v56, 16, v38
	v_lshlrev_b32_e32 v42, 20, v42
	v_and_b32_e32 v56, 0x80000000, v56
	v_lshl_add_u32 v40, v40, 23, v55
	v_or3_b32 v61, v56, v40, v42
.LBB654_393:                            ;   in Loop: Header=BB654_215 Depth=1
	s_or_b64 exec, exec, s[20:21]
.LBB654_394:                            ;   in Loop: Header=BB654_215 Depth=1
	s_or_b64 exec, exec, s[18:19]
.LBB654_395:                            ;   in Loop: Header=BB654_215 Depth=1
	s_or_b64 exec, exec, s[16:17]
	v_lshrrev_b32_e32 v40, 16, v38
	v_cmp_ne_u16_sdwa s[18:19], v40, v52 src0_sel:BYTE_0 src1_sel:DWORD
	s_and_saveexec_b64 s[16:17], s[18:19]
	s_cbranch_execz .LBB654_401
; %bb.396:                              ;   in Loop: Header=BB654_215 Depth=1
	v_cmp_ne_u16_sdwa s[20:21], v40, s9 src0_sel:BYTE_0 src1_sel:DWORD
	v_bfrev_b32_e32 v60, 1
	s_and_saveexec_b64 s[18:19], s[20:21]
	s_cbranch_execz .LBB654_400
; %bb.397:                              ;   in Loop: Header=BB654_215 Depth=1
	v_bfe_u32 v42, v38, 16, 7
	v_cmp_ne_u32_e32 vcc, s11, v42
	v_mov_b32_e32 v60, 0x7f800001
	s_and_saveexec_b64 s[20:21], vcc
	s_cbranch_execz .LBB654_399
; %bb.398:                              ;   in Loop: Header=BB654_215 Depth=1
	v_and_b32_e32 v56, 7, v40
	v_ffbh_u32_e32 v62, v56
	v_min_u32_e32 v64, 32, v62
	v_subrev_u32_e32 v62, 28, v64
	v_lshlrev_b64 v[62:63], v62, v[40:41]
	v_lshrrev_b32_e32 v60, 3, v42
	v_sub_u32_e32 v63, 29, v64
	v_and_b32_e32 v62, 7, v62
	v_cmp_gt_u32_e32 vcc, 8, v42
	v_cndmask_b32_e32 v42, v60, v63, vcc
	v_cndmask_b32_e32 v56, v56, v62, vcc
	v_lshlrev_b32_e32 v40, 24, v40
	v_lshlrev_b32_e32 v56, 20, v56
	v_and_b32_e32 v40, 0x80000000, v40
	v_lshl_add_u32 v42, v42, 23, v55
	v_or3_b32 v60, v40, v42, v56
.LBB654_399:                            ;   in Loop: Header=BB654_215 Depth=1
	s_or_b64 exec, exec, s[20:21]
.LBB654_400:                            ;   in Loop: Header=BB654_215 Depth=1
	s_or_b64 exec, exec, s[18:19]
.LBB654_401:                            ;   in Loop: Header=BB654_215 Depth=1
	s_or_b64 exec, exec, s[16:17]
	v_cmp_lt_u32_e32 vcc, s22, v38
	v_mov_b32_e32 v56, 0
	v_mov_b32_e32 v62, 0
	s_and_saveexec_b64 s[16:17], vcc
	s_cbranch_execz .LBB654_407
; %bb.402:                              ;   in Loop: Header=BB654_215 Depth=1
	v_lshrrev_b32_e32 v40, 24, v38
	v_cmp_ne_u32_e32 vcc, s9, v40
	v_bfrev_b32_e32 v62, 1
	s_and_saveexec_b64 s[18:19], vcc
	s_cbranch_execz .LBB654_406
; %bb.403:                              ;   in Loop: Header=BB654_215 Depth=1
	v_bfe_u32 v38, v38, 24, 7
	v_cmp_ne_u32_e32 vcc, s11, v38
	v_mov_b32_e32 v62, 0x7f800001
	s_and_saveexec_b64 s[20:21], vcc
	s_cbranch_execz .LBB654_405
; %bb.404:                              ;   in Loop: Header=BB654_215 Depth=1
	v_and_b32_e32 v42, 7, v40
	v_ffbh_u32_e32 v62, v42
	v_min_u32_e32 v65, 32, v62
	v_subrev_u32_e32 v62, 28, v65
	v_lshlrev_b64 v[62:63], v62, v[40:41]
	v_lshrrev_b32_e32 v64, 3, v38
	v_sub_u32_e32 v63, 29, v65
	v_and_b32_e32 v62, 7, v62
	v_cmp_gt_u32_e32 vcc, 8, v38
	v_cndmask_b32_e32 v38, v64, v63, vcc
	v_cndmask_b32_e32 v42, v42, v62, vcc
	v_lshlrev_b32_e32 v40, 24, v40
	v_lshlrev_b32_e32 v42, 20, v42
	v_and_b32_e32 v40, 0x80000000, v40
	v_lshl_add_u32 v38, v38, 23, v55
	v_or3_b32 v62, v40, v38, v42
.LBB654_405:                            ;   in Loop: Header=BB654_215 Depth=1
	s_or_b64 exec, exec, s[20:21]
.LBB654_406:                            ;   in Loop: Header=BB654_215 Depth=1
	s_or_b64 exec, exec, s[18:19]
.LBB654_407:                            ;   in Loop: Header=BB654_215 Depth=1
	s_or_b64 exec, exec, s[16:17]
	v_cvt_pkrtz_f16_f32 v65, v44, v59
	buffer_load_dword v44, v51, s[0:3], 0 offen
	buffer_load_dword v42, v51, s[0:3], 0 offen offset:4
	buffer_load_dword v40, v51, s[0:3], 0 offen offset:8
	;; [unrolled: 1-line block ×3, first 2 shown]
	v_cvt_pkrtz_f16_f32 v64, v46, v57
	v_cvt_pkrtz_f16_f32 v58, v58, v61
	;; [unrolled: 1-line block ×3, first 2 shown]
	v_mfma_f32_16x16x16f16 v[34:37], v[64:65], v[14:15], v[34:37]
	s_waitcnt vmcnt(3)
	v_cmp_ne_u16_sdwa s[18:19], v44, v52 src0_sel:BYTE_0 src1_sel:DWORD
	v_mfma_f32_16x16x16f16 v[34:37], v[58:59], v[16:17], v[34:37]
	s_and_saveexec_b64 s[16:17], s[18:19]
	s_cbranch_execz .LBB654_413
; %bb.408:                              ;   in Loop: Header=BB654_215 Depth=1
	v_cmp_ne_u16_sdwa s[20:21], v44, s9 src0_sel:BYTE_0 src1_sel:DWORD
	v_bfrev_b32_e32 v56, 1
	s_and_saveexec_b64 s[18:19], s[20:21]
	s_cbranch_execz .LBB654_412
; %bb.409:                              ;   in Loop: Header=BB654_215 Depth=1
	v_and_b32_e32 v46, 0x7f, v44
	v_cmp_ne_u32_e32 vcc, s11, v46
	v_mov_b32_e32 v56, 0x7f800001
	s_and_saveexec_b64 s[20:21], vcc
	s_cbranch_execz .LBB654_411
; %bb.410:                              ;   in Loop: Header=BB654_215 Depth=1
	v_and_b32_e32 v51, 7, v44
	v_ffbh_u32_e32 v56, v51
	v_min_u32_e32 v59, 32, v56
	v_subrev_u32_e32 v56, 28, v59
	v_lshlrev_b64 v[56:57], v56, v[44:45]
	v_lshrrev_b32_e32 v58, 3, v46
	v_sub_u32_e32 v57, 29, v59
	v_and_b32_e32 v56, 7, v56
	v_cmp_gt_u32_e32 vcc, 8, v46
	v_cndmask_b32_e32 v46, v58, v57, vcc
	v_cndmask_b32_e32 v51, v51, v56, vcc
	v_lshlrev_b32_e32 v56, 24, v44
	v_lshlrev_b32_e32 v51, 20, v51
	v_and_b32_e32 v56, 0x80000000, v56
	v_lshl_add_u32 v46, v46, 23, v55
	v_or3_b32 v56, v56, v46, v51
.LBB654_411:                            ;   in Loop: Header=BB654_215 Depth=1
	s_or_b64 exec, exec, s[20:21]
.LBB654_412:                            ;   in Loop: Header=BB654_215 Depth=1
	s_or_b64 exec, exec, s[18:19]
.LBB654_413:                            ;   in Loop: Header=BB654_215 Depth=1
	s_or_b64 exec, exec, s[16:17]
	v_lshrrev_b16_e32 v46, 8, v44
	v_cmp_ne_u16_e32 vcc, 0, v46
	v_mov_b32_e32 v51, 0
	v_mov_b32_e32 v57, 0
	s_and_saveexec_b64 s[16:17], vcc
	s_cbranch_execz .LBB654_419
; %bb.414:                              ;   in Loop: Header=BB654_215 Depth=1
	v_cmp_ne_u16_e32 vcc, s9, v46
	v_bfrev_b32_e32 v57, 1
	s_and_saveexec_b64 s[18:19], vcc
	s_cbranch_execz .LBB654_418
; %bb.415:                              ;   in Loop: Header=BB654_215 Depth=1
	v_and_b32_e32 v58, 0x7f, v46
	v_cmp_ne_u32_e32 vcc, s11, v58
	v_mov_b32_e32 v57, 0x7f800001
	s_and_saveexec_b64 s[20:21], vcc
	s_cbranch_execz .LBB654_417
; %bb.416:                              ;   in Loop: Header=BB654_215 Depth=1
	v_and_b32_e32 v57, 7, v46
	v_ffbh_u32_e32 v60, v57
	v_min_u32_e32 v62, 32, v60
	v_subrev_u32_e32 v60, 28, v62
	v_lshlrev_b64 v[60:61], v60, v[46:47]
	v_lshrrev_b32_e32 v59, 3, v58
	v_sub_u32_e32 v46, 29, v62
	v_and_b32_e32 v60, 7, v60
	v_cmp_gt_u32_e32 vcc, 8, v58
	v_cndmask_b32_e32 v46, v59, v46, vcc
	v_cndmask_b32_e32 v57, v57, v60, vcc
	v_lshlrev_b32_e32 v58, 16, v44
	v_lshlrev_b32_e32 v57, 20, v57
	v_and_b32_e32 v58, 0x80000000, v58
	v_lshl_add_u32 v46, v46, 23, v55
	v_or3_b32 v57, v58, v46, v57
.LBB654_417:                            ;   in Loop: Header=BB654_215 Depth=1
	s_or_b64 exec, exec, s[20:21]
.LBB654_418:                            ;   in Loop: Header=BB654_215 Depth=1
	s_or_b64 exec, exec, s[18:19]
.LBB654_419:                            ;   in Loop: Header=BB654_215 Depth=1
	s_or_b64 exec, exec, s[16:17]
	v_lshrrev_b32_e32 v46, 16, v44
	v_cmp_ne_u16_sdwa s[18:19], v46, v52 src0_sel:BYTE_0 src1_sel:DWORD
	s_and_saveexec_b64 s[16:17], s[18:19]
	s_cbranch_execz .LBB654_425
; %bb.420:                              ;   in Loop: Header=BB654_215 Depth=1
	v_cmp_ne_u16_sdwa s[20:21], v46, s9 src0_sel:BYTE_0 src1_sel:DWORD
	v_bfrev_b32_e32 v51, 1
	s_and_saveexec_b64 s[18:19], s[20:21]
	s_cbranch_execz .LBB654_424
; %bb.421:                              ;   in Loop: Header=BB654_215 Depth=1
	v_bfe_u32 v58, v44, 16, 7
	v_cmp_ne_u32_e32 vcc, s11, v58
	v_mov_b32_e32 v51, 0x7f800001
	s_and_saveexec_b64 s[20:21], vcc
	s_cbranch_execz .LBB654_423
; %bb.422:                              ;   in Loop: Header=BB654_215 Depth=1
	v_and_b32_e32 v51, 7, v46
	v_ffbh_u32_e32 v60, v51
	v_min_u32_e32 v62, 32, v60
	v_subrev_u32_e32 v60, 28, v62
	v_lshlrev_b64 v[60:61], v60, v[46:47]
	v_lshrrev_b32_e32 v59, 3, v58
	v_sub_u32_e32 v61, 29, v62
	v_and_b32_e32 v60, 7, v60
	v_cmp_gt_u32_e32 vcc, 8, v58
	v_cndmask_b32_e32 v58, v59, v61, vcc
	v_cndmask_b32_e32 v51, v51, v60, vcc
	v_lshlrev_b32_e32 v46, 24, v46
	v_lshlrev_b32_e32 v51, 20, v51
	v_and_b32_e32 v46, 0x80000000, v46
	v_lshl_add_u32 v58, v58, 23, v55
	v_or3_b32 v51, v46, v58, v51
.LBB654_423:                            ;   in Loop: Header=BB654_215 Depth=1
	s_or_b64 exec, exec, s[20:21]
.LBB654_424:                            ;   in Loop: Header=BB654_215 Depth=1
	s_or_b64 exec, exec, s[18:19]
.LBB654_425:                            ;   in Loop: Header=BB654_215 Depth=1
	s_or_b64 exec, exec, s[16:17]
	v_cmp_lt_u32_e32 vcc, s22, v44
	v_mov_b32_e32 v58, 0
	v_mov_b32_e32 v59, 0
	s_and_saveexec_b64 s[16:17], vcc
	s_cbranch_execz .LBB654_431
; %bb.426:                              ;   in Loop: Header=BB654_215 Depth=1
	v_lshrrev_b32_e32 v46, 24, v44
	v_cmp_ne_u32_e32 vcc, s9, v46
	v_bfrev_b32_e32 v59, 1
	s_and_saveexec_b64 s[18:19], vcc
	s_cbranch_execz .LBB654_430
; %bb.427:                              ;   in Loop: Header=BB654_215 Depth=1
	v_bfe_u32 v44, v44, 24, 7
	v_cmp_ne_u32_e32 vcc, s11, v44
	v_mov_b32_e32 v59, 0x7f800001
	s_and_saveexec_b64 s[20:21], vcc
	s_cbranch_execz .LBB654_429
; %bb.428:                              ;   in Loop: Header=BB654_215 Depth=1
	v_and_b32_e32 v59, 7, v46
	v_ffbh_u32_e32 v60, v59
	v_min_u32_e32 v63, 32, v60
	v_subrev_u32_e32 v60, 28, v63
	v_lshlrev_b64 v[60:61], v60, v[46:47]
	v_lshrrev_b32_e32 v62, 3, v44
	v_sub_u32_e32 v61, 29, v63
	v_and_b32_e32 v60, 7, v60
	v_cmp_gt_u32_e32 vcc, 8, v44
	v_cndmask_b32_e32 v44, v62, v61, vcc
	v_cndmask_b32_e32 v59, v59, v60, vcc
	v_lshlrev_b32_e32 v46, 24, v46
	v_lshlrev_b32_e32 v59, 20, v59
	v_and_b32_e32 v46, 0x80000000, v46
	v_lshl_add_u32 v44, v44, 23, v55
	v_or3_b32 v59, v46, v44, v59
.LBB654_429:                            ;   in Loop: Header=BB654_215 Depth=1
	s_or_b64 exec, exec, s[20:21]
.LBB654_430:                            ;   in Loop: Header=BB654_215 Depth=1
	s_or_b64 exec, exec, s[18:19]
.LBB654_431:                            ;   in Loop: Header=BB654_215 Depth=1
	s_or_b64 exec, exec, s[16:17]
	s_waitcnt vmcnt(2)
	v_cmp_ne_u16_sdwa s[18:19], v42, v52 src0_sel:BYTE_0 src1_sel:DWORD
	s_and_saveexec_b64 s[16:17], s[18:19]
	s_cbranch_execz .LBB654_437
; %bb.432:                              ;   in Loop: Header=BB654_215 Depth=1
	v_cmp_ne_u16_sdwa s[20:21], v42, s9 src0_sel:BYTE_0 src1_sel:DWORD
	v_bfrev_b32_e32 v58, 1
	s_and_saveexec_b64 s[18:19], s[20:21]
	s_cbranch_execz .LBB654_436
; %bb.433:                              ;   in Loop: Header=BB654_215 Depth=1
	v_and_b32_e32 v44, 0x7f, v42
	v_cmp_ne_u32_e32 vcc, s11, v44
	v_mov_b32_e32 v58, 0x7f800001
	s_and_saveexec_b64 s[20:21], vcc
	s_cbranch_execz .LBB654_435
; %bb.434:                              ;   in Loop: Header=BB654_215 Depth=1
	v_and_b32_e32 v46, 7, v42
	v_ffbh_u32_e32 v60, v46
	v_min_u32_e32 v62, 32, v60
	v_subrev_u32_e32 v60, 28, v62
	v_lshlrev_b64 v[60:61], v60, v[42:43]
	v_lshrrev_b32_e32 v58, 3, v44
	v_sub_u32_e32 v61, 29, v62
	v_and_b32_e32 v60, 7, v60
	v_cmp_gt_u32_e32 vcc, 8, v44
	v_cndmask_b32_e32 v44, v58, v61, vcc
	v_cndmask_b32_e32 v46, v46, v60, vcc
	v_lshlrev_b32_e32 v58, 24, v42
	v_lshlrev_b32_e32 v46, 20, v46
	v_and_b32_e32 v58, 0x80000000, v58
	v_lshl_add_u32 v44, v44, 23, v55
	v_or3_b32 v58, v58, v44, v46
.LBB654_435:                            ;   in Loop: Header=BB654_215 Depth=1
	s_or_b64 exec, exec, s[20:21]
.LBB654_436:                            ;   in Loop: Header=BB654_215 Depth=1
	s_or_b64 exec, exec, s[18:19]
.LBB654_437:                            ;   in Loop: Header=BB654_215 Depth=1
	s_or_b64 exec, exec, s[16:17]
	v_lshrrev_b16_e32 v44, 8, v42
	v_cmp_ne_u16_e32 vcc, 0, v44
	v_mov_b32_e32 v60, 0
	v_mov_b32_e32 v61, 0
	s_and_saveexec_b64 s[16:17], vcc
	s_cbranch_execz .LBB654_443
; %bb.438:                              ;   in Loop: Header=BB654_215 Depth=1
	v_cmp_ne_u16_e32 vcc, s9, v44
	v_bfrev_b32_e32 v61, 1
	s_and_saveexec_b64 s[18:19], vcc
	s_cbranch_execz .LBB654_442
; %bb.439:                              ;   in Loop: Header=BB654_215 Depth=1
	v_and_b32_e32 v46, 0x7f, v44
	v_cmp_ne_u32_e32 vcc, s11, v46
	v_mov_b32_e32 v61, 0x7f800001
	s_and_saveexec_b64 s[20:21], vcc
	s_cbranch_execz .LBB654_441
; %bb.440:                              ;   in Loop: Header=BB654_215 Depth=1
	v_and_b32_e32 v61, 7, v44
	v_ffbh_u32_e32 v62, v61
	v_min_u32_e32 v65, 32, v62
	v_subrev_u32_e32 v62, 28, v65
	v_lshlrev_b64 v[62:63], v62, v[44:45]
	v_lshrrev_b32_e32 v64, 3, v46
	v_sub_u32_e32 v44, 29, v65
	v_and_b32_e32 v62, 7, v62
	v_cmp_gt_u32_e32 vcc, 8, v46
	v_cndmask_b32_e32 v44, v64, v44, vcc
	v_cndmask_b32_e32 v46, v61, v62, vcc
	v_lshlrev_b32_e32 v61, 16, v42
	v_lshlrev_b32_e32 v46, 20, v46
	v_and_b32_e32 v61, 0x80000000, v61
	v_lshl_add_u32 v44, v44, 23, v55
	v_or3_b32 v61, v61, v44, v46
.LBB654_441:                            ;   in Loop: Header=BB654_215 Depth=1
	s_or_b64 exec, exec, s[20:21]
.LBB654_442:                            ;   in Loop: Header=BB654_215 Depth=1
	s_or_b64 exec, exec, s[18:19]
.LBB654_443:                            ;   in Loop: Header=BB654_215 Depth=1
	s_or_b64 exec, exec, s[16:17]
	v_lshrrev_b32_e32 v44, 16, v42
	v_cmp_ne_u16_sdwa s[18:19], v44, v52 src0_sel:BYTE_0 src1_sel:DWORD
	s_and_saveexec_b64 s[16:17], s[18:19]
	s_cbranch_execz .LBB654_449
; %bb.444:                              ;   in Loop: Header=BB654_215 Depth=1
	v_cmp_ne_u16_sdwa s[20:21], v44, s9 src0_sel:BYTE_0 src1_sel:DWORD
	v_bfrev_b32_e32 v60, 1
	s_and_saveexec_b64 s[18:19], s[20:21]
	s_cbranch_execz .LBB654_448
; %bb.445:                              ;   in Loop: Header=BB654_215 Depth=1
	v_bfe_u32 v46, v42, 16, 7
	v_cmp_ne_u32_e32 vcc, s11, v46
	v_mov_b32_e32 v60, 0x7f800001
	s_and_saveexec_b64 s[20:21], vcc
	s_cbranch_execz .LBB654_447
; %bb.446:                              ;   in Loop: Header=BB654_215 Depth=1
	v_and_b32_e32 v60, 7, v44
	v_ffbh_u32_e32 v62, v60
	v_min_u32_e32 v65, 32, v62
	v_subrev_u32_e32 v62, 28, v65
	v_lshlrev_b64 v[62:63], v62, v[44:45]
	v_lshrrev_b32_e32 v64, 3, v46
	v_sub_u32_e32 v63, 29, v65
	v_and_b32_e32 v62, 7, v62
	v_cmp_gt_u32_e32 vcc, 8, v46
	v_cndmask_b32_e32 v46, v64, v63, vcc
	v_cndmask_b32_e32 v60, v60, v62, vcc
	v_lshlrev_b32_e32 v44, 24, v44
	v_lshlrev_b32_e32 v60, 20, v60
	v_and_b32_e32 v44, 0x80000000, v44
	v_lshl_add_u32 v46, v46, 23, v55
	v_or3_b32 v60, v44, v46, v60
.LBB654_447:                            ;   in Loop: Header=BB654_215 Depth=1
	s_or_b64 exec, exec, s[20:21]
.LBB654_448:                            ;   in Loop: Header=BB654_215 Depth=1
	s_or_b64 exec, exec, s[18:19]
.LBB654_449:                            ;   in Loop: Header=BB654_215 Depth=1
	s_or_b64 exec, exec, s[16:17]
	v_cmp_lt_u32_e32 vcc, s22, v42
	v_mov_b32_e32 v46, 0
	v_mov_b32_e32 v62, 0
	s_and_saveexec_b64 s[16:17], vcc
	s_cbranch_execz .LBB654_455
; %bb.450:                              ;   in Loop: Header=BB654_215 Depth=1
	v_lshrrev_b32_e32 v44, 24, v42
	v_cmp_ne_u32_e32 vcc, s9, v44
	v_bfrev_b32_e32 v62, 1
	s_and_saveexec_b64 s[18:19], vcc
	s_cbranch_execz .LBB654_454
; %bb.451:                              ;   in Loop: Header=BB654_215 Depth=1
	v_bfe_u32 v42, v42, 24, 7
	v_cmp_ne_u32_e32 vcc, s11, v42
	v_mov_b32_e32 v62, 0x7f800001
	s_and_saveexec_b64 s[20:21], vcc
	s_cbranch_execz .LBB654_453
; %bb.452:                              ;   in Loop: Header=BB654_215 Depth=1
	v_and_b32_e32 v64, 7, v44
	v_ffbh_u32_e32 v62, v64
	v_min_u32_e32 v66, 32, v62
	v_subrev_u32_e32 v62, 28, v66
	v_lshlrev_b64 v[62:63], v62, v[44:45]
	v_lshrrev_b32_e32 v65, 3, v42
	v_sub_u32_e32 v63, 29, v66
	v_and_b32_e32 v62, 7, v62
	v_cmp_gt_u32_e32 vcc, 8, v42
	v_cndmask_b32_e32 v42, v65, v63, vcc
	v_cndmask_b32_e32 v62, v64, v62, vcc
	v_lshlrev_b32_e32 v44, 24, v44
	v_lshlrev_b32_e32 v62, 20, v62
	v_and_b32_e32 v44, 0x80000000, v44
	v_lshl_add_u32 v42, v42, 23, v55
	v_or3_b32 v62, v44, v42, v62
.LBB654_453:                            ;   in Loop: Header=BB654_215 Depth=1
	s_or_b64 exec, exec, s[20:21]
.LBB654_454:                            ;   in Loop: Header=BB654_215 Depth=1
	s_or_b64 exec, exec, s[18:19]
.LBB654_455:                            ;   in Loop: Header=BB654_215 Depth=1
	s_or_b64 exec, exec, s[16:17]
	v_cvt_pkrtz_f16_f32 v56, v56, v57
	v_cvt_pkrtz_f16_f32 v57, v51, v59
	s_waitcnt vmcnt(1)
	v_cmp_ne_u16_sdwa s[18:19], v40, v52 src0_sel:BYTE_0 src1_sel:DWORD
	v_mfma_f32_16x16x16f16 v[34:37], v[56:57], v[18:19], v[34:37]
	v_cvt_pkrtz_f16_f32 v56, v58, v61
	v_cvt_pkrtz_f16_f32 v57, v60, v62
	s_nop 1
	v_mfma_f32_16x16x16f16 v[34:37], v[56:57], v[20:21], v[34:37]
	s_and_saveexec_b64 s[16:17], s[18:19]
	s_cbranch_execz .LBB654_461
; %bb.456:                              ;   in Loop: Header=BB654_215 Depth=1
	v_cmp_ne_u16_sdwa s[20:21], v40, s9 src0_sel:BYTE_0 src1_sel:DWORD
	v_bfrev_b32_e32 v46, 1
	s_and_saveexec_b64 s[18:19], s[20:21]
	s_cbranch_execz .LBB654_460
; %bb.457:                              ;   in Loop: Header=BB654_215 Depth=1
	v_and_b32_e32 v42, 0x7f, v40
	v_cmp_ne_u32_e32 vcc, s11, v42
	v_mov_b32_e32 v46, 0x7f800001
	s_and_saveexec_b64 s[20:21], vcc
	s_cbranch_execz .LBB654_459
; %bb.458:                              ;   in Loop: Header=BB654_215 Depth=1
	v_and_b32_e32 v44, 7, v40
	v_ffbh_u32_e32 v51, v44
	v_min_u32_e32 v51, 32, v51
	v_subrev_u32_e32 v56, 28, v51
	v_lshlrev_b64 v[56:57], v56, v[40:41]
	v_lshrrev_b32_e32 v46, 3, v42
	v_sub_u32_e32 v51, 29, v51
	v_and_b32_e32 v56, 7, v56
	v_cmp_gt_u32_e32 vcc, 8, v42
	v_cndmask_b32_e32 v42, v46, v51, vcc
	v_cndmask_b32_e32 v44, v44, v56, vcc
	v_lshlrev_b32_e32 v46, 24, v40
	v_lshlrev_b32_e32 v44, 20, v44
	v_and_b32_e32 v46, 0x80000000, v46
	v_lshl_add_u32 v42, v42, 23, v55
	v_or3_b32 v46, v46, v42, v44
.LBB654_459:                            ;   in Loop: Header=BB654_215 Depth=1
	s_or_b64 exec, exec, s[20:21]
.LBB654_460:                            ;   in Loop: Header=BB654_215 Depth=1
	s_or_b64 exec, exec, s[18:19]
.LBB654_461:                            ;   in Loop: Header=BB654_215 Depth=1
	s_or_b64 exec, exec, s[16:17]
	v_lshrrev_b16_e32 v42, 8, v40
	v_cmp_ne_u16_e32 vcc, 0, v42
	v_mov_b32_e32 v44, 0
	v_mov_b32_e32 v56, 0
	s_and_saveexec_b64 s[16:17], vcc
	s_cbranch_execz .LBB654_467
; %bb.462:                              ;   in Loop: Header=BB654_215 Depth=1
	v_cmp_ne_u16_e32 vcc, s9, v42
	v_bfrev_b32_e32 v56, 1
	s_and_saveexec_b64 s[18:19], vcc
	s_cbranch_execz .LBB654_466
; %bb.463:                              ;   in Loop: Header=BB654_215 Depth=1
	v_and_b32_e32 v51, 0x7f, v42
	v_cmp_ne_u32_e32 vcc, s11, v51
	v_mov_b32_e32 v56, 0x7f800001
	s_and_saveexec_b64 s[20:21], vcc
	s_cbranch_execz .LBB654_465
; %bb.464:                              ;   in Loop: Header=BB654_215 Depth=1
	v_and_b32_e32 v58, 7, v42
	v_ffbh_u32_e32 v56, v58
	v_min_u32_e32 v60, 32, v56
	v_subrev_u32_e32 v56, 28, v60
	v_lshlrev_b64 v[56:57], v56, v[42:43]
	v_lshrrev_b32_e32 v59, 3, v51
	v_sub_u32_e32 v42, 29, v60
	v_and_b32_e32 v56, 7, v56
	v_cmp_gt_u32_e32 vcc, 8, v51
	v_cndmask_b32_e32 v42, v59, v42, vcc
	v_cndmask_b32_e32 v51, v58, v56, vcc
	v_lshlrev_b32_e32 v56, 16, v40
	v_lshlrev_b32_e32 v51, 20, v51
	v_and_b32_e32 v56, 0x80000000, v56
	v_lshl_add_u32 v42, v42, 23, v55
	v_or3_b32 v56, v56, v42, v51
.LBB654_465:                            ;   in Loop: Header=BB654_215 Depth=1
	s_or_b64 exec, exec, s[20:21]
.LBB654_466:                            ;   in Loop: Header=BB654_215 Depth=1
	s_or_b64 exec, exec, s[18:19]
.LBB654_467:                            ;   in Loop: Header=BB654_215 Depth=1
	s_or_b64 exec, exec, s[16:17]
	v_lshrrev_b32_e32 v42, 16, v40
	v_cmp_ne_u16_sdwa s[18:19], v42, v52 src0_sel:BYTE_0 src1_sel:DWORD
	s_and_saveexec_b64 s[16:17], s[18:19]
	s_cbranch_execz .LBB654_473
; %bb.468:                              ;   in Loop: Header=BB654_215 Depth=1
	v_cmp_ne_u16_sdwa s[20:21], v42, s9 src0_sel:BYTE_0 src1_sel:DWORD
	v_bfrev_b32_e32 v44, 1
	s_and_saveexec_b64 s[18:19], s[20:21]
	s_cbranch_execz .LBB654_472
; %bb.469:                              ;   in Loop: Header=BB654_215 Depth=1
	v_bfe_u32 v51, v40, 16, 7
	v_cmp_ne_u32_e32 vcc, s11, v51
	v_mov_b32_e32 v44, 0x7f800001
	s_and_saveexec_b64 s[20:21], vcc
	s_cbranch_execz .LBB654_471
; %bb.470:                              ;   in Loop: Header=BB654_215 Depth=1
	v_and_b32_e32 v44, 7, v42
	v_ffbh_u32_e32 v58, v44
	v_min_u32_e32 v60, 32, v58
	v_subrev_u32_e32 v58, 28, v60
	v_lshlrev_b64 v[58:59], v58, v[42:43]
	v_lshrrev_b32_e32 v57, 3, v51
	v_sub_u32_e32 v59, 29, v60
	v_and_b32_e32 v58, 7, v58
	v_cmp_gt_u32_e32 vcc, 8, v51
	v_cndmask_b32_e32 v51, v57, v59, vcc
	v_cndmask_b32_e32 v44, v44, v58, vcc
	v_lshlrev_b32_e32 v42, 24, v42
	v_lshlrev_b32_e32 v44, 20, v44
	v_and_b32_e32 v42, 0x80000000, v42
	v_lshl_add_u32 v51, v51, 23, v55
	v_or3_b32 v44, v42, v51, v44
.LBB654_471:                            ;   in Loop: Header=BB654_215 Depth=1
	s_or_b64 exec, exec, s[20:21]
.LBB654_472:                            ;   in Loop: Header=BB654_215 Depth=1
	s_or_b64 exec, exec, s[18:19]
.LBB654_473:                            ;   in Loop: Header=BB654_215 Depth=1
	s_or_b64 exec, exec, s[16:17]
	v_cmp_lt_u32_e32 vcc, s22, v40
	v_mov_b32_e32 v57, 0
	v_mov_b32_e32 v58, 0
	s_and_saveexec_b64 s[16:17], vcc
	s_cbranch_execz .LBB654_479
; %bb.474:                              ;   in Loop: Header=BB654_215 Depth=1
	v_lshrrev_b32_e32 v42, 24, v40
	v_cmp_ne_u32_e32 vcc, s9, v42
	v_bfrev_b32_e32 v58, 1
	s_and_saveexec_b64 s[18:19], vcc
	s_cbranch_execz .LBB654_478
; %bb.475:                              ;   in Loop: Header=BB654_215 Depth=1
	v_bfe_u32 v40, v40, 24, 7
	v_cmp_ne_u32_e32 vcc, s11, v40
	v_mov_b32_e32 v58, 0x7f800001
	s_and_saveexec_b64 s[20:21], vcc
	s_cbranch_execz .LBB654_477
; %bb.476:                              ;   in Loop: Header=BB654_215 Depth=1
	v_and_b32_e32 v51, 7, v42
	v_ffbh_u32_e32 v58, v51
	v_min_u32_e32 v61, 32, v58
	v_subrev_u32_e32 v58, 28, v61
	v_lshlrev_b64 v[58:59], v58, v[42:43]
	v_lshrrev_b32_e32 v60, 3, v40
	v_sub_u32_e32 v59, 29, v61
	v_and_b32_e32 v58, 7, v58
	v_cmp_gt_u32_e32 vcc, 8, v40
	v_cndmask_b32_e32 v40, v60, v59, vcc
	v_cndmask_b32_e32 v51, v51, v58, vcc
	v_lshlrev_b32_e32 v42, 24, v42
	v_lshlrev_b32_e32 v51, 20, v51
	v_and_b32_e32 v42, 0x80000000, v42
	v_lshl_add_u32 v40, v40, 23, v55
	v_or3_b32 v58, v42, v40, v51
.LBB654_477:                            ;   in Loop: Header=BB654_215 Depth=1
	s_or_b64 exec, exec, s[20:21]
.LBB654_478:                            ;   in Loop: Header=BB654_215 Depth=1
	s_or_b64 exec, exec, s[18:19]
.LBB654_479:                            ;   in Loop: Header=BB654_215 Depth=1
	s_or_b64 exec, exec, s[16:17]
	s_waitcnt vmcnt(0)
	v_cmp_ne_u16_sdwa s[18:19], v38, v52 src0_sel:BYTE_0 src1_sel:DWORD
	s_and_saveexec_b64 s[16:17], s[18:19]
	s_cbranch_execz .LBB654_485
; %bb.480:                              ;   in Loop: Header=BB654_215 Depth=1
	v_cmp_ne_u16_sdwa s[20:21], v38, s9 src0_sel:BYTE_0 src1_sel:DWORD
	v_bfrev_b32_e32 v57, 1
	s_and_saveexec_b64 s[18:19], s[20:21]
	s_cbranch_execz .LBB654_484
; %bb.481:                              ;   in Loop: Header=BB654_215 Depth=1
	v_and_b32_e32 v40, 0x7f, v38
	v_cmp_ne_u32_e32 vcc, s11, v40
	v_mov_b32_e32 v57, 0x7f800001
	s_and_saveexec_b64 s[20:21], vcc
	s_cbranch_execz .LBB654_483
; %bb.482:                              ;   in Loop: Header=BB654_215 Depth=1
	v_and_b32_e32 v42, 7, v38
	v_ffbh_u32_e32 v57, v42
	v_min_u32_e32 v57, 32, v57
	v_subrev_u32_e32 v59, 28, v57
	v_lshlrev_b64 v[60:61], v59, v[38:39]
	v_lshrrev_b32_e32 v51, 3, v40
	v_sub_u32_e32 v57, 29, v57
	v_and_b32_e32 v59, 7, v60
	v_cmp_gt_u32_e32 vcc, 8, v40
	v_cndmask_b32_e32 v40, v51, v57, vcc
	v_cndmask_b32_e32 v42, v42, v59, vcc
	v_lshlrev_b32_e32 v51, 24, v38
	v_lshlrev_b32_e32 v42, 20, v42
	v_and_b32_e32 v51, 0x80000000, v51
	v_lshl_add_u32 v40, v40, 23, v55
	v_or3_b32 v57, v51, v40, v42
.LBB654_483:                            ;   in Loop: Header=BB654_215 Depth=1
	s_or_b64 exec, exec, s[20:21]
.LBB654_484:                            ;   in Loop: Header=BB654_215 Depth=1
	s_or_b64 exec, exec, s[18:19]
.LBB654_485:                            ;   in Loop: Header=BB654_215 Depth=1
	s_or_b64 exec, exec, s[16:17]
	v_lshrrev_b16_e32 v40, 8, v38
	v_cmp_ne_u16_e32 vcc, 0, v40
	v_mov_b32_e32 v59, 0
	v_mov_b32_e32 v60, 0
	s_and_saveexec_b64 s[16:17], vcc
	s_cbranch_execz .LBB654_491
; %bb.486:                              ;   in Loop: Header=BB654_215 Depth=1
	v_cmp_ne_u16_e32 vcc, s9, v40
	v_bfrev_b32_e32 v60, 1
	s_and_saveexec_b64 s[18:19], vcc
	s_cbranch_execz .LBB654_490
; %bb.487:                              ;   in Loop: Header=BB654_215 Depth=1
	v_and_b32_e32 v42, 0x7f, v40
	v_cmp_ne_u32_e32 vcc, s11, v42
	v_mov_b32_e32 v60, 0x7f800001
	s_and_saveexec_b64 s[20:21], vcc
	s_cbranch_execz .LBB654_489
; %bb.488:                              ;   in Loop: Header=BB654_215 Depth=1
	v_and_b32_e32 v51, 7, v40
	v_ffbh_u32_e32 v60, v51
	v_min_u32_e32 v63, 32, v60
	v_subrev_u32_e32 v60, 28, v63
	v_lshlrev_b64 v[60:61], v60, v[40:41]
	v_lshrrev_b32_e32 v62, 3, v42
	v_sub_u32_e32 v40, 29, v63
	v_and_b32_e32 v60, 7, v60
	v_cmp_gt_u32_e32 vcc, 8, v42
	v_cndmask_b32_e32 v40, v62, v40, vcc
	v_cndmask_b32_e32 v42, v51, v60, vcc
	v_lshlrev_b32_e32 v51, 16, v38
	v_lshlrev_b32_e32 v42, 20, v42
	v_and_b32_e32 v51, 0x80000000, v51
	v_lshl_add_u32 v40, v40, 23, v55
	v_or3_b32 v60, v51, v40, v42
.LBB654_489:                            ;   in Loop: Header=BB654_215 Depth=1
	s_or_b64 exec, exec, s[20:21]
.LBB654_490:                            ;   in Loop: Header=BB654_215 Depth=1
	s_or_b64 exec, exec, s[18:19]
.LBB654_491:                            ;   in Loop: Header=BB654_215 Depth=1
	s_or_b64 exec, exec, s[16:17]
	v_lshrrev_b32_e32 v40, 16, v38
	v_cmp_ne_u16_sdwa s[18:19], v40, v52 src0_sel:BYTE_0 src1_sel:DWORD
	s_and_saveexec_b64 s[16:17], s[18:19]
	s_cbranch_execz .LBB654_497
; %bb.492:                              ;   in Loop: Header=BB654_215 Depth=1
	v_cmp_ne_u16_sdwa s[20:21], v40, s9 src0_sel:BYTE_0 src1_sel:DWORD
	v_bfrev_b32_e32 v59, 1
	s_and_saveexec_b64 s[18:19], s[20:21]
	s_cbranch_execz .LBB654_496
; %bb.493:                              ;   in Loop: Header=BB654_215 Depth=1
	v_bfe_u32 v42, v38, 16, 7
	v_cmp_ne_u32_e32 vcc, s11, v42
	v_mov_b32_e32 v59, 0x7f800001
	s_and_saveexec_b64 s[20:21], vcc
	s_cbranch_execz .LBB654_495
; %bb.494:                              ;   in Loop: Header=BB654_215 Depth=1
	v_and_b32_e32 v51, 7, v40
	v_ffbh_u32_e32 v61, v51
	v_min_u32_e32 v61, 32, v61
	v_subrev_u32_e32 v62, 28, v61
	v_lshlrev_b64 v[62:63], v62, v[40:41]
	v_lshrrev_b32_e32 v59, 3, v42
	v_sub_u32_e32 v61, 29, v61
	v_and_b32_e32 v62, 7, v62
	v_cmp_gt_u32_e32 vcc, 8, v42
	v_cndmask_b32_e32 v42, v59, v61, vcc
	v_cndmask_b32_e32 v51, v51, v62, vcc
	v_lshlrev_b32_e32 v40, 24, v40
	v_lshlrev_b32_e32 v51, 20, v51
	v_and_b32_e32 v40, 0x80000000, v40
	v_lshl_add_u32 v42, v42, 23, v55
	v_or3_b32 v59, v40, v42, v51
.LBB654_495:                            ;   in Loop: Header=BB654_215 Depth=1
	s_or_b64 exec, exec, s[20:21]
.LBB654_496:                            ;   in Loop: Header=BB654_215 Depth=1
	s_or_b64 exec, exec, s[18:19]
.LBB654_497:                            ;   in Loop: Header=BB654_215 Depth=1
	s_or_b64 exec, exec, s[16:17]
	v_cmp_lt_u32_e32 vcc, s22, v38
	v_mov_b32_e32 v51, 0
	v_mov_b32_e32 v61, 0
	s_and_saveexec_b64 s[16:17], vcc
	s_cbranch_execz .LBB654_503
; %bb.498:                              ;   in Loop: Header=BB654_215 Depth=1
	v_lshrrev_b32_e32 v40, 24, v38
	v_cmp_ne_u32_e32 vcc, s9, v40
	v_bfrev_b32_e32 v61, 1
	s_and_saveexec_b64 s[18:19], vcc
	s_cbranch_execz .LBB654_502
; %bb.499:                              ;   in Loop: Header=BB654_215 Depth=1
	v_bfe_u32 v38, v38, 24, 7
	v_cmp_ne_u32_e32 vcc, s11, v38
	v_mov_b32_e32 v61, 0x7f800001
	s_and_saveexec_b64 s[20:21], vcc
	s_cbranch_execz .LBB654_501
; %bb.500:                              ;   in Loop: Header=BB654_215 Depth=1
	v_and_b32_e32 v42, 7, v40
	v_ffbh_u32_e32 v62, v42
	v_min_u32_e32 v64, 32, v62
	v_subrev_u32_e32 v62, 28, v64
	v_lshlrev_b64 v[62:63], v62, v[40:41]
	v_lshrrev_b32_e32 v61, 3, v38
	v_sub_u32_e32 v63, 29, v64
	v_and_b32_e32 v62, 7, v62
	v_cmp_gt_u32_e32 vcc, 8, v38
	v_cndmask_b32_e32 v38, v61, v63, vcc
	v_cndmask_b32_e32 v42, v42, v62, vcc
	v_lshlrev_b32_e32 v40, 24, v40
	v_lshlrev_b32_e32 v42, 20, v42
	v_and_b32_e32 v40, 0x80000000, v40
	v_lshl_add_u32 v38, v38, 23, v55
	v_or3_b32 v61, v40, v38, v42
.LBB654_501:                            ;   in Loop: Header=BB654_215 Depth=1
	s_or_b64 exec, exec, s[20:21]
.LBB654_502:                            ;   in Loop: Header=BB654_215 Depth=1
	s_or_b64 exec, exec, s[18:19]
.LBB654_503:                            ;   in Loop: Header=BB654_215 Depth=1
	s_or_b64 exec, exec, s[16:17]
	v_cvt_pkrtz_f16_f32 v63, v44, v58
	buffer_load_dword v44, v50, s[0:3], 0 offen
	buffer_load_dword v42, v50, s[0:3], 0 offen offset:4
	buffer_load_dword v40, v50, s[0:3], 0 offen offset:8
	;; [unrolled: 1-line block ×3, first 2 shown]
	v_cvt_pkrtz_f16_f32 v62, v46, v56
	v_cvt_pkrtz_f16_f32 v56, v57, v60
	;; [unrolled: 1-line block ×3, first 2 shown]
	v_mfma_f32_16x16x16f16 v[34:37], v[62:63], v[22:23], v[34:37]
	s_waitcnt vmcnt(3)
	v_cmp_ne_u16_sdwa s[18:19], v44, v52 src0_sel:BYTE_0 src1_sel:DWORD
	v_mfma_f32_16x16x16f16 v[34:37], v[56:57], v[24:25], v[34:37]
	s_and_saveexec_b64 s[16:17], s[18:19]
	s_cbranch_execz .LBB654_509
; %bb.504:                              ;   in Loop: Header=BB654_215 Depth=1
	v_cmp_ne_u16_sdwa s[20:21], v44, s9 src0_sel:BYTE_0 src1_sel:DWORD
	v_bfrev_b32_e32 v51, 1
	s_and_saveexec_b64 s[18:19], s[20:21]
	s_cbranch_execz .LBB654_508
; %bb.505:                              ;   in Loop: Header=BB654_215 Depth=1
	v_and_b32_e32 v46, 0x7f, v44
	v_cmp_ne_u32_e32 vcc, s11, v46
	v_mov_b32_e32 v51, 0x7f800001
	s_and_saveexec_b64 s[20:21], vcc
	s_cbranch_execz .LBB654_507
; %bb.506:                              ;   in Loop: Header=BB654_215 Depth=1
	v_and_b32_e32 v56, 7, v44
	v_ffbh_u32_e32 v50, v56
	v_min_u32_e32 v58, 32, v50
	v_subrev_u32_e32 v50, 28, v58
	v_lshlrev_b64 v[50:51], v50, v[44:45]
	v_lshrrev_b32_e32 v57, 3, v46
	v_sub_u32_e32 v51, 29, v58
	v_and_b32_e32 v50, 7, v50
	v_cmp_gt_u32_e32 vcc, 8, v46
	v_cndmask_b32_e32 v46, v57, v51, vcc
	v_cndmask_b32_e32 v50, v56, v50, vcc
	v_lshlrev_b32_e32 v51, 24, v44
	v_lshlrev_b32_e32 v50, 20, v50
	v_and_b32_e32 v51, 0x80000000, v51
	v_lshl_add_u32 v46, v46, 23, v55
	v_or3_b32 v51, v51, v46, v50
.LBB654_507:                            ;   in Loop: Header=BB654_215 Depth=1
	s_or_b64 exec, exec, s[20:21]
.LBB654_508:                            ;   in Loop: Header=BB654_215 Depth=1
	s_or_b64 exec, exec, s[18:19]
.LBB654_509:                            ;   in Loop: Header=BB654_215 Depth=1
	s_or_b64 exec, exec, s[16:17]
	v_lshrrev_b16_e32 v46, 8, v44
	v_cmp_ne_u16_e32 vcc, 0, v46
	v_mov_b32_e32 v50, 0
	v_mov_b32_e32 v56, 0
	s_and_saveexec_b64 s[16:17], vcc
	s_cbranch_execz .LBB654_515
; %bb.510:                              ;   in Loop: Header=BB654_215 Depth=1
	v_cmp_ne_u16_e32 vcc, s9, v46
	v_bfrev_b32_e32 v56, 1
	s_and_saveexec_b64 s[18:19], vcc
	s_cbranch_execz .LBB654_514
; %bb.511:                              ;   in Loop: Header=BB654_215 Depth=1
	v_and_b32_e32 v57, 0x7f, v46
	v_cmp_ne_u32_e32 vcc, s11, v57
	v_mov_b32_e32 v56, 0x7f800001
	s_and_saveexec_b64 s[20:21], vcc
	s_cbranch_execz .LBB654_513
; %bb.512:                              ;   in Loop: Header=BB654_215 Depth=1
	v_and_b32_e32 v56, 7, v46
	v_ffbh_u32_e32 v58, v56
	v_min_u32_e32 v61, 32, v58
	v_subrev_u32_e32 v58, 28, v61
	v_lshlrev_b64 v[58:59], v58, v[46:47]
	v_lshrrev_b32_e32 v60, 3, v57
	v_sub_u32_e32 v46, 29, v61
	v_and_b32_e32 v58, 7, v58
	v_cmp_gt_u32_e32 vcc, 8, v57
	v_cndmask_b32_e32 v46, v60, v46, vcc
	v_cndmask_b32_e32 v56, v56, v58, vcc
	v_lshlrev_b32_e32 v57, 16, v44
	v_lshlrev_b32_e32 v56, 20, v56
	v_and_b32_e32 v57, 0x80000000, v57
	v_lshl_add_u32 v46, v46, 23, v55
	v_or3_b32 v56, v57, v46, v56
.LBB654_513:                            ;   in Loop: Header=BB654_215 Depth=1
	s_or_b64 exec, exec, s[20:21]
.LBB654_514:                            ;   in Loop: Header=BB654_215 Depth=1
	s_or_b64 exec, exec, s[18:19]
.LBB654_515:                            ;   in Loop: Header=BB654_215 Depth=1
	s_or_b64 exec, exec, s[16:17]
	v_lshrrev_b32_e32 v46, 16, v44
	v_cmp_ne_u16_sdwa s[18:19], v46, v52 src0_sel:BYTE_0 src1_sel:DWORD
	s_and_saveexec_b64 s[16:17], s[18:19]
	s_cbranch_execz .LBB654_521
; %bb.516:                              ;   in Loop: Header=BB654_215 Depth=1
	v_cmp_ne_u16_sdwa s[20:21], v46, s9 src0_sel:BYTE_0 src1_sel:DWORD
	v_bfrev_b32_e32 v50, 1
	s_and_saveexec_b64 s[18:19], s[20:21]
	s_cbranch_execz .LBB654_520
; %bb.517:                              ;   in Loop: Header=BB654_215 Depth=1
	v_bfe_u32 v57, v44, 16, 7
	v_cmp_ne_u32_e32 vcc, s11, v57
	v_mov_b32_e32 v50, 0x7f800001
	s_and_saveexec_b64 s[20:21], vcc
	s_cbranch_execz .LBB654_519
; %bb.518:                              ;   in Loop: Header=BB654_215 Depth=1
	v_and_b32_e32 v50, 7, v46
	v_ffbh_u32_e32 v58, v50
	v_min_u32_e32 v61, 32, v58
	v_subrev_u32_e32 v58, 28, v61
	v_lshlrev_b64 v[58:59], v58, v[46:47]
	v_lshrrev_b32_e32 v60, 3, v57
	v_sub_u32_e32 v59, 29, v61
	v_and_b32_e32 v58, 7, v58
	v_cmp_gt_u32_e32 vcc, 8, v57
	v_cndmask_b32_e32 v57, v60, v59, vcc
	v_cndmask_b32_e32 v50, v50, v58, vcc
	v_lshlrev_b32_e32 v46, 24, v46
	v_lshlrev_b32_e32 v50, 20, v50
	v_and_b32_e32 v46, 0x80000000, v46
	v_lshl_add_u32 v57, v57, 23, v55
	v_or3_b32 v50, v46, v57, v50
.LBB654_519:                            ;   in Loop: Header=BB654_215 Depth=1
	s_or_b64 exec, exec, s[20:21]
.LBB654_520:                            ;   in Loop: Header=BB654_215 Depth=1
	s_or_b64 exec, exec, s[18:19]
.LBB654_521:                            ;   in Loop: Header=BB654_215 Depth=1
	s_or_b64 exec, exec, s[16:17]
	v_cmp_lt_u32_e32 vcc, s22, v44
	v_mov_b32_e32 v57, 0
	v_mov_b32_e32 v58, 0
	s_and_saveexec_b64 s[16:17], vcc
	s_cbranch_execz .LBB654_527
; %bb.522:                              ;   in Loop: Header=BB654_215 Depth=1
	v_lshrrev_b32_e32 v46, 24, v44
	v_cmp_ne_u32_e32 vcc, s9, v46
	v_bfrev_b32_e32 v58, 1
	s_and_saveexec_b64 s[18:19], vcc
	s_cbranch_execz .LBB654_526
; %bb.523:                              ;   in Loop: Header=BB654_215 Depth=1
	v_bfe_u32 v44, v44, 24, 7
	v_cmp_ne_u32_e32 vcc, s11, v44
	v_mov_b32_e32 v58, 0x7f800001
	s_and_saveexec_b64 s[20:21], vcc
	s_cbranch_execz .LBB654_525
; %bb.524:                              ;   in Loop: Header=BB654_215 Depth=1
	v_and_b32_e32 v60, 7, v46
	v_ffbh_u32_e32 v58, v60
	v_min_u32_e32 v62, 32, v58
	v_subrev_u32_e32 v58, 28, v62
	v_lshlrev_b64 v[58:59], v58, v[46:47]
	v_lshrrev_b32_e32 v61, 3, v44
	v_sub_u32_e32 v59, 29, v62
	v_and_b32_e32 v58, 7, v58
	v_cmp_gt_u32_e32 vcc, 8, v44
	v_cndmask_b32_e32 v44, v61, v59, vcc
	v_cndmask_b32_e32 v58, v60, v58, vcc
	v_lshlrev_b32_e32 v46, 24, v46
	v_lshlrev_b32_e32 v58, 20, v58
	v_and_b32_e32 v46, 0x80000000, v46
	v_lshl_add_u32 v44, v44, 23, v55
	v_or3_b32 v58, v46, v44, v58
.LBB654_525:                            ;   in Loop: Header=BB654_215 Depth=1
	s_or_b64 exec, exec, s[20:21]
.LBB654_526:                            ;   in Loop: Header=BB654_215 Depth=1
	s_or_b64 exec, exec, s[18:19]
.LBB654_527:                            ;   in Loop: Header=BB654_215 Depth=1
	s_or_b64 exec, exec, s[16:17]
	s_waitcnt vmcnt(2)
	v_cmp_ne_u16_sdwa s[18:19], v42, v52 src0_sel:BYTE_0 src1_sel:DWORD
	s_and_saveexec_b64 s[16:17], s[18:19]
	s_cbranch_execz .LBB654_533
; %bb.528:                              ;   in Loop: Header=BB654_215 Depth=1
	v_cmp_ne_u16_sdwa s[20:21], v42, s9 src0_sel:BYTE_0 src1_sel:DWORD
	v_bfrev_b32_e32 v57, 1
	s_and_saveexec_b64 s[18:19], s[20:21]
	s_cbranch_execz .LBB654_532
; %bb.529:                              ;   in Loop: Header=BB654_215 Depth=1
	v_and_b32_e32 v44, 0x7f, v42
	v_cmp_ne_u32_e32 vcc, s11, v44
	v_mov_b32_e32 v57, 0x7f800001
	s_and_saveexec_b64 s[20:21], vcc
	s_cbranch_execz .LBB654_531
; %bb.530:                              ;   in Loop: Header=BB654_215 Depth=1
	v_and_b32_e32 v46, 7, v42
	v_ffbh_u32_e32 v59, v46
	v_min_u32_e32 v59, 32, v59
	v_subrev_u32_e32 v60, 28, v59
	v_lshlrev_b64 v[60:61], v60, v[42:43]
	v_lshrrev_b32_e32 v57, 3, v44
	v_sub_u32_e32 v59, 29, v59
	v_and_b32_e32 v60, 7, v60
	v_cmp_gt_u32_e32 vcc, 8, v44
	v_cndmask_b32_e32 v44, v57, v59, vcc
	v_cndmask_b32_e32 v46, v46, v60, vcc
	v_lshlrev_b32_e32 v57, 24, v42
	v_lshlrev_b32_e32 v46, 20, v46
	v_and_b32_e32 v57, 0x80000000, v57
	v_lshl_add_u32 v44, v44, 23, v55
	v_or3_b32 v57, v57, v44, v46
.LBB654_531:                            ;   in Loop: Header=BB654_215 Depth=1
	s_or_b64 exec, exec, s[20:21]
.LBB654_532:                            ;   in Loop: Header=BB654_215 Depth=1
	s_or_b64 exec, exec, s[18:19]
.LBB654_533:                            ;   in Loop: Header=BB654_215 Depth=1
	s_or_b64 exec, exec, s[16:17]
	v_lshrrev_b16_e32 v44, 8, v42
	v_cmp_ne_u16_e32 vcc, 0, v44
	v_mov_b32_e32 v59, 0
	v_mov_b32_e32 v60, 0
	s_and_saveexec_b64 s[16:17], vcc
	s_cbranch_execz .LBB654_539
; %bb.534:                              ;   in Loop: Header=BB654_215 Depth=1
	v_cmp_ne_u16_e32 vcc, s9, v44
	v_bfrev_b32_e32 v60, 1
	s_and_saveexec_b64 s[18:19], vcc
	s_cbranch_execz .LBB654_538
; %bb.535:                              ;   in Loop: Header=BB654_215 Depth=1
	v_and_b32_e32 v46, 0x7f, v44
	v_cmp_ne_u32_e32 vcc, s11, v46
	v_mov_b32_e32 v60, 0x7f800001
	s_and_saveexec_b64 s[20:21], vcc
	s_cbranch_execz .LBB654_537
; %bb.536:                              ;   in Loop: Header=BB654_215 Depth=1
	v_and_b32_e32 v62, 7, v44
	v_ffbh_u32_e32 v60, v62
	v_min_u32_e32 v64, 32, v60
	v_subrev_u32_e32 v60, 28, v64
	v_lshlrev_b64 v[60:61], v60, v[44:45]
	v_lshrrev_b32_e32 v63, 3, v46
	v_sub_u32_e32 v44, 29, v64
	v_and_b32_e32 v60, 7, v60
	v_cmp_gt_u32_e32 vcc, 8, v46
	v_cndmask_b32_e32 v44, v63, v44, vcc
	v_cndmask_b32_e32 v46, v62, v60, vcc
	v_lshlrev_b32_e32 v60, 16, v42
	v_lshlrev_b32_e32 v46, 20, v46
	v_and_b32_e32 v60, 0x80000000, v60
	v_lshl_add_u32 v44, v44, 23, v55
	v_or3_b32 v60, v60, v44, v46
.LBB654_537:                            ;   in Loop: Header=BB654_215 Depth=1
	s_or_b64 exec, exec, s[20:21]
.LBB654_538:                            ;   in Loop: Header=BB654_215 Depth=1
	s_or_b64 exec, exec, s[18:19]
.LBB654_539:                            ;   in Loop: Header=BB654_215 Depth=1
	s_or_b64 exec, exec, s[16:17]
	v_lshrrev_b32_e32 v44, 16, v42
	v_cmp_ne_u16_sdwa s[18:19], v44, v52 src0_sel:BYTE_0 src1_sel:DWORD
	s_and_saveexec_b64 s[16:17], s[18:19]
	s_cbranch_execz .LBB654_545
; %bb.540:                              ;   in Loop: Header=BB654_215 Depth=1
	v_cmp_ne_u16_sdwa s[20:21], v44, s9 src0_sel:BYTE_0 src1_sel:DWORD
	v_bfrev_b32_e32 v59, 1
	s_and_saveexec_b64 s[18:19], s[20:21]
	s_cbranch_execz .LBB654_544
; %bb.541:                              ;   in Loop: Header=BB654_215 Depth=1
	v_bfe_u32 v46, v42, 16, 7
	v_cmp_ne_u32_e32 vcc, s11, v46
	v_mov_b32_e32 v59, 0x7f800001
	s_and_saveexec_b64 s[20:21], vcc
	s_cbranch_execz .LBB654_543
; %bb.542:                              ;   in Loop: Header=BB654_215 Depth=1
	v_and_b32_e32 v59, 7, v44
	v_ffbh_u32_e32 v62, v59
	v_min_u32_e32 v64, 32, v62
	v_subrev_u32_e32 v62, 28, v64
	v_lshlrev_b64 v[62:63], v62, v[44:45]
	v_lshrrev_b32_e32 v61, 3, v46
	v_sub_u32_e32 v63, 29, v64
	v_and_b32_e32 v62, 7, v62
	v_cmp_gt_u32_e32 vcc, 8, v46
	v_cndmask_b32_e32 v46, v61, v63, vcc
	v_cndmask_b32_e32 v59, v59, v62, vcc
	v_lshlrev_b32_e32 v44, 24, v44
	v_lshlrev_b32_e32 v59, 20, v59
	v_and_b32_e32 v44, 0x80000000, v44
	v_lshl_add_u32 v46, v46, 23, v55
	v_or3_b32 v59, v44, v46, v59
.LBB654_543:                            ;   in Loop: Header=BB654_215 Depth=1
	s_or_b64 exec, exec, s[20:21]
.LBB654_544:                            ;   in Loop: Header=BB654_215 Depth=1
	s_or_b64 exec, exec, s[18:19]
.LBB654_545:                            ;   in Loop: Header=BB654_215 Depth=1
	s_or_b64 exec, exec, s[16:17]
	v_cmp_lt_u32_e32 vcc, s22, v42
	v_mov_b32_e32 v46, 0
	v_mov_b32_e32 v61, 0
	s_and_saveexec_b64 s[16:17], vcc
	s_cbranch_execz .LBB654_551
; %bb.546:                              ;   in Loop: Header=BB654_215 Depth=1
	v_lshrrev_b32_e32 v44, 24, v42
	v_cmp_ne_u32_e32 vcc, s9, v44
	v_bfrev_b32_e32 v61, 1
	s_and_saveexec_b64 s[18:19], vcc
	s_cbranch_execz .LBB654_550
; %bb.547:                              ;   in Loop: Header=BB654_215 Depth=1
	v_bfe_u32 v42, v42, 24, 7
	v_cmp_ne_u32_e32 vcc, s11, v42
	v_mov_b32_e32 v61, 0x7f800001
	s_and_saveexec_b64 s[20:21], vcc
	s_cbranch_execz .LBB654_549
; %bb.548:                              ;   in Loop: Header=BB654_215 Depth=1
	v_and_b32_e32 v61, 7, v44
	v_ffbh_u32_e32 v62, v61
	v_min_u32_e32 v65, 32, v62
	v_subrev_u32_e32 v62, 28, v65
	v_lshlrev_b64 v[62:63], v62, v[44:45]
	v_lshrrev_b32_e32 v64, 3, v42
	v_sub_u32_e32 v63, 29, v65
	v_and_b32_e32 v62, 7, v62
	v_cmp_gt_u32_e32 vcc, 8, v42
	v_cndmask_b32_e32 v42, v64, v63, vcc
	v_cndmask_b32_e32 v61, v61, v62, vcc
	v_lshlrev_b32_e32 v44, 24, v44
	v_lshlrev_b32_e32 v61, 20, v61
	v_and_b32_e32 v44, 0x80000000, v44
	v_lshl_add_u32 v42, v42, 23, v55
	v_or3_b32 v61, v44, v42, v61
.LBB654_549:                            ;   in Loop: Header=BB654_215 Depth=1
	s_or_b64 exec, exec, s[20:21]
.LBB654_550:                            ;   in Loop: Header=BB654_215 Depth=1
	s_or_b64 exec, exec, s[18:19]
.LBB654_551:                            ;   in Loop: Header=BB654_215 Depth=1
	s_or_b64 exec, exec, s[16:17]
	v_cvt_pkrtz_f16_f32 v62, v51, v56
	v_cvt_pkrtz_f16_f32 v63, v50, v58
	;; [unrolled: 1-line block ×4, first 2 shown]
	s_waitcnt vmcnt(1)
	v_cmp_ne_u16_sdwa s[18:19], v40, v52 src0_sel:BYTE_0 src1_sel:DWORD
	v_mfma_f32_16x16x16f16 v[34:37], v[62:63], v[26:27], v[34:37]
	v_mfma_f32_16x16x16f16 v[34:37], v[50:51], v[28:29], v[34:37]
	s_and_saveexec_b64 s[16:17], s[18:19]
	s_cbranch_execz .LBB654_557
; %bb.552:                              ;   in Loop: Header=BB654_215 Depth=1
	v_cmp_ne_u16_sdwa s[20:21], v40, s9 src0_sel:BYTE_0 src1_sel:DWORD
	v_bfrev_b32_e32 v46, 1
	s_and_saveexec_b64 s[18:19], s[20:21]
	s_cbranch_execz .LBB654_556
; %bb.553:                              ;   in Loop: Header=BB654_215 Depth=1
	v_and_b32_e32 v42, 0x7f, v40
	v_cmp_ne_u32_e32 vcc, s11, v42
	v_mov_b32_e32 v46, 0x7f800001
	s_and_saveexec_b64 s[20:21], vcc
	s_cbranch_execz .LBB654_555
; %bb.554:                              ;   in Loop: Header=BB654_215 Depth=1
	v_and_b32_e32 v44, 7, v40
	v_ffbh_u32_e32 v50, v44
	v_min_u32_e32 v56, 32, v50
	v_subrev_u32_e32 v50, 28, v56
	v_lshlrev_b64 v[50:51], v50, v[40:41]
	v_lshrrev_b32_e32 v46, 3, v42
	v_sub_u32_e32 v51, 29, v56
	v_and_b32_e32 v50, 7, v50
	v_cmp_gt_u32_e32 vcc, 8, v42
	v_cndmask_b32_e32 v42, v46, v51, vcc
	v_cndmask_b32_e32 v44, v44, v50, vcc
	v_lshlrev_b32_e32 v46, 24, v40
	v_lshlrev_b32_e32 v44, 20, v44
	v_and_b32_e32 v46, 0x80000000, v46
	v_lshl_add_u32 v42, v42, 23, v55
	v_or3_b32 v46, v46, v42, v44
.LBB654_555:                            ;   in Loop: Header=BB654_215 Depth=1
	s_or_b64 exec, exec, s[20:21]
.LBB654_556:                            ;   in Loop: Header=BB654_215 Depth=1
	s_or_b64 exec, exec, s[18:19]
.LBB654_557:                            ;   in Loop: Header=BB654_215 Depth=1
	s_or_b64 exec, exec, s[16:17]
	v_lshrrev_b16_e32 v42, 8, v40
	v_cmp_ne_u16_e32 vcc, 0, v42
	v_mov_b32_e32 v44, 0
	v_mov_b32_e32 v50, 0
	s_and_saveexec_b64 s[16:17], vcc
	s_cbranch_execz .LBB654_563
; %bb.558:                              ;   in Loop: Header=BB654_215 Depth=1
	v_cmp_ne_u16_e32 vcc, s9, v42
	v_bfrev_b32_e32 v50, 1
	s_and_saveexec_b64 s[18:19], vcc
	s_cbranch_execz .LBB654_562
; %bb.559:                              ;   in Loop: Header=BB654_215 Depth=1
	v_and_b32_e32 v51, 0x7f, v42
	v_cmp_ne_u32_e32 vcc, s11, v51
	v_mov_b32_e32 v50, 0x7f800001
	s_and_saveexec_b64 s[20:21], vcc
	s_cbranch_execz .LBB654_561
; %bb.560:                              ;   in Loop: Header=BB654_215 Depth=1
	v_and_b32_e32 v50, 7, v42
	v_ffbh_u32_e32 v56, v50
	v_min_u32_e32 v59, 32, v56
	v_subrev_u32_e32 v56, 28, v59
	v_lshlrev_b64 v[56:57], v56, v[42:43]
	v_lshrrev_b32_e32 v58, 3, v51
	v_sub_u32_e32 v42, 29, v59
	v_and_b32_e32 v56, 7, v56
	v_cmp_gt_u32_e32 vcc, 8, v51
	v_cndmask_b32_e32 v42, v58, v42, vcc
	v_cndmask_b32_e32 v50, v50, v56, vcc
	v_lshlrev_b32_e32 v51, 16, v40
	v_lshlrev_b32_e32 v50, 20, v50
	v_and_b32_e32 v51, 0x80000000, v51
	v_lshl_add_u32 v42, v42, 23, v55
	v_or3_b32 v50, v51, v42, v50
.LBB654_561:                            ;   in Loop: Header=BB654_215 Depth=1
	s_or_b64 exec, exec, s[20:21]
.LBB654_562:                            ;   in Loop: Header=BB654_215 Depth=1
	s_or_b64 exec, exec, s[18:19]
.LBB654_563:                            ;   in Loop: Header=BB654_215 Depth=1
	s_or_b64 exec, exec, s[16:17]
	v_lshrrev_b32_e32 v42, 16, v40
	v_cmp_ne_u16_sdwa s[18:19], v42, v52 src0_sel:BYTE_0 src1_sel:DWORD
	s_and_saveexec_b64 s[16:17], s[18:19]
	s_cbranch_execz .LBB654_569
; %bb.564:                              ;   in Loop: Header=BB654_215 Depth=1
	v_cmp_ne_u16_sdwa s[20:21], v42, s9 src0_sel:BYTE_0 src1_sel:DWORD
	v_bfrev_b32_e32 v44, 1
	s_and_saveexec_b64 s[18:19], s[20:21]
	s_cbranch_execz .LBB654_568
; %bb.565:                              ;   in Loop: Header=BB654_215 Depth=1
	v_bfe_u32 v51, v40, 16, 7
	v_cmp_ne_u32_e32 vcc, s11, v51
	v_mov_b32_e32 v44, 0x7f800001
	s_and_saveexec_b64 s[20:21], vcc
	s_cbranch_execz .LBB654_567
; %bb.566:                              ;   in Loop: Header=BB654_215 Depth=1
	v_and_b32_e32 v44, 7, v42
	v_ffbh_u32_e32 v56, v44
	v_min_u32_e32 v59, 32, v56
	v_subrev_u32_e32 v56, 28, v59
	v_lshlrev_b64 v[56:57], v56, v[42:43]
	v_lshrrev_b32_e32 v58, 3, v51
	v_sub_u32_e32 v57, 29, v59
	v_and_b32_e32 v56, 7, v56
	v_cmp_gt_u32_e32 vcc, 8, v51
	v_cndmask_b32_e32 v51, v58, v57, vcc
	v_cndmask_b32_e32 v44, v44, v56, vcc
	v_lshlrev_b32_e32 v42, 24, v42
	v_lshlrev_b32_e32 v44, 20, v44
	v_and_b32_e32 v42, 0x80000000, v42
	v_lshl_add_u32 v51, v51, 23, v55
	v_or3_b32 v44, v42, v51, v44
.LBB654_567:                            ;   in Loop: Header=BB654_215 Depth=1
	s_or_b64 exec, exec, s[20:21]
.LBB654_568:                            ;   in Loop: Header=BB654_215 Depth=1
	s_or_b64 exec, exec, s[18:19]
.LBB654_569:                            ;   in Loop: Header=BB654_215 Depth=1
	s_or_b64 exec, exec, s[16:17]
	v_cmp_lt_u32_e32 vcc, s22, v40
	v_mov_b32_e32 v51, 0
	v_mov_b32_e32 v56, 0
	s_and_saveexec_b64 s[16:17], vcc
	s_cbranch_execz .LBB654_575
; %bb.570:                              ;   in Loop: Header=BB654_215 Depth=1
	v_lshrrev_b32_e32 v42, 24, v40
	v_cmp_ne_u32_e32 vcc, s9, v42
	v_bfrev_b32_e32 v56, 1
	s_and_saveexec_b64 s[18:19], vcc
	s_cbranch_execz .LBB654_574
; %bb.571:                              ;   in Loop: Header=BB654_215 Depth=1
	v_bfe_u32 v40, v40, 24, 7
	v_cmp_ne_u32_e32 vcc, s11, v40
	v_mov_b32_e32 v56, 0x7f800001
	s_and_saveexec_b64 s[20:21], vcc
	s_cbranch_execz .LBB654_573
; %bb.572:                              ;   in Loop: Header=BB654_215 Depth=1
	v_and_b32_e32 v58, 7, v42
	v_ffbh_u32_e32 v56, v58
	v_min_u32_e32 v60, 32, v56
	v_subrev_u32_e32 v56, 28, v60
	v_lshlrev_b64 v[56:57], v56, v[42:43]
	v_lshrrev_b32_e32 v59, 3, v40
	v_sub_u32_e32 v57, 29, v60
	v_and_b32_e32 v56, 7, v56
	v_cmp_gt_u32_e32 vcc, 8, v40
	v_cndmask_b32_e32 v40, v59, v57, vcc
	v_cndmask_b32_e32 v56, v58, v56, vcc
	v_lshlrev_b32_e32 v42, 24, v42
	v_lshlrev_b32_e32 v56, 20, v56
	v_and_b32_e32 v42, 0x80000000, v42
	v_lshl_add_u32 v40, v40, 23, v55
	v_or3_b32 v56, v42, v40, v56
.LBB654_573:                            ;   in Loop: Header=BB654_215 Depth=1
	s_or_b64 exec, exec, s[20:21]
.LBB654_574:                            ;   in Loop: Header=BB654_215 Depth=1
	s_or_b64 exec, exec, s[18:19]
.LBB654_575:                            ;   in Loop: Header=BB654_215 Depth=1
	s_or_b64 exec, exec, s[16:17]
	s_waitcnt vmcnt(0)
	v_cmp_ne_u16_sdwa s[18:19], v38, v52 src0_sel:BYTE_0 src1_sel:DWORD
	s_and_saveexec_b64 s[16:17], s[18:19]
	s_cbranch_execz .LBB654_581
; %bb.576:                              ;   in Loop: Header=BB654_215 Depth=1
	v_cmp_ne_u16_sdwa s[20:21], v38, s9 src0_sel:BYTE_0 src1_sel:DWORD
	v_bfrev_b32_e32 v51, 1
	s_and_saveexec_b64 s[18:19], s[20:21]
	s_cbranch_execz .LBB654_580
; %bb.577:                              ;   in Loop: Header=BB654_215 Depth=1
	v_and_b32_e32 v40, 0x7f, v38
	v_cmp_ne_u32_e32 vcc, s11, v40
	v_mov_b32_e32 v51, 0x7f800001
	s_and_saveexec_b64 s[20:21], vcc
	s_cbranch_execz .LBB654_579
; %bb.578:                              ;   in Loop: Header=BB654_215 Depth=1
	v_and_b32_e32 v42, 7, v38
	v_ffbh_u32_e32 v57, v42
	v_min_u32_e32 v57, 32, v57
	v_subrev_u32_e32 v58, 28, v57
	v_lshlrev_b64 v[58:59], v58, v[38:39]
	v_lshrrev_b32_e32 v51, 3, v40
	v_sub_u32_e32 v57, 29, v57
	v_and_b32_e32 v58, 7, v58
	v_cmp_gt_u32_e32 vcc, 8, v40
	v_cndmask_b32_e32 v40, v51, v57, vcc
	v_cndmask_b32_e32 v42, v42, v58, vcc
	v_lshlrev_b32_e32 v51, 24, v38
	v_lshlrev_b32_e32 v42, 20, v42
	v_and_b32_e32 v51, 0x80000000, v51
	v_lshl_add_u32 v40, v40, 23, v55
	v_or3_b32 v51, v51, v40, v42
.LBB654_579:                            ;   in Loop: Header=BB654_215 Depth=1
	s_or_b64 exec, exec, s[20:21]
.LBB654_580:                            ;   in Loop: Header=BB654_215 Depth=1
	s_or_b64 exec, exec, s[18:19]
.LBB654_581:                            ;   in Loop: Header=BB654_215 Depth=1
	s_or_b64 exec, exec, s[16:17]
	v_lshrrev_b16_e32 v40, 8, v38
	v_cmp_ne_u16_e32 vcc, 0, v40
	v_mov_b32_e32 v42, 0
	v_mov_b32_e32 v57, 0
	s_and_saveexec_b64 s[16:17], vcc
	s_cbranch_execz .LBB654_587
; %bb.582:                              ;   in Loop: Header=BB654_215 Depth=1
	v_cmp_ne_u16_e32 vcc, s9, v40
	v_bfrev_b32_e32 v57, 1
	s_and_saveexec_b64 s[18:19], vcc
	s_cbranch_execz .LBB654_586
; %bb.583:                              ;   in Loop: Header=BB654_215 Depth=1
	v_and_b32_e32 v58, 0x7f, v40
	v_cmp_ne_u32_e32 vcc, s11, v58
	v_mov_b32_e32 v57, 0x7f800001
	s_and_saveexec_b64 s[20:21], vcc
	s_cbranch_execz .LBB654_585
; %bb.584:                              ;   in Loop: Header=BB654_215 Depth=1
	v_and_b32_e32 v57, 7, v40
	v_ffbh_u32_e32 v60, v57
	v_min_u32_e32 v62, 32, v60
	v_subrev_u32_e32 v60, 28, v62
	v_lshlrev_b64 v[60:61], v60, v[40:41]
	v_lshrrev_b32_e32 v59, 3, v58
	v_sub_u32_e32 v40, 29, v62
	v_and_b32_e32 v60, 7, v60
	v_cmp_gt_u32_e32 vcc, 8, v58
	v_cndmask_b32_e32 v40, v59, v40, vcc
	v_cndmask_b32_e32 v57, v57, v60, vcc
	v_lshlrev_b32_e32 v58, 16, v38
	v_lshlrev_b32_e32 v57, 20, v57
	v_and_b32_e32 v58, 0x80000000, v58
	v_lshl_add_u32 v40, v40, 23, v55
	v_or3_b32 v57, v58, v40, v57
.LBB654_585:                            ;   in Loop: Header=BB654_215 Depth=1
	s_or_b64 exec, exec, s[20:21]
.LBB654_586:                            ;   in Loop: Header=BB654_215 Depth=1
	s_or_b64 exec, exec, s[18:19]
.LBB654_587:                            ;   in Loop: Header=BB654_215 Depth=1
	s_or_b64 exec, exec, s[16:17]
	v_lshrrev_b32_e32 v40, 16, v38
	v_cmp_ne_u16_sdwa s[18:19], v40, v52 src0_sel:BYTE_0 src1_sel:DWORD
	s_and_saveexec_b64 s[16:17], s[18:19]
	s_cbranch_execz .LBB654_593
; %bb.588:                              ;   in Loop: Header=BB654_215 Depth=1
	v_cmp_ne_u16_sdwa s[20:21], v40, s9 src0_sel:BYTE_0 src1_sel:DWORD
	v_bfrev_b32_e32 v42, 1
	s_and_saveexec_b64 s[18:19], s[20:21]
	s_cbranch_execz .LBB654_592
; %bb.589:                              ;   in Loop: Header=BB654_215 Depth=1
	v_bfe_u32 v58, v38, 16, 7
	v_cmp_ne_u32_e32 vcc, s11, v58
	v_mov_b32_e32 v42, 0x7f800001
	s_and_saveexec_b64 s[20:21], vcc
	s_cbranch_execz .LBB654_591
; %bb.590:                              ;   in Loop: Header=BB654_215 Depth=1
	v_and_b32_e32 v42, 7, v40
	v_ffbh_u32_e32 v60, v42
	v_min_u32_e32 v62, 32, v60
	v_subrev_u32_e32 v60, 28, v62
	v_lshlrev_b64 v[60:61], v60, v[40:41]
	v_lshrrev_b32_e32 v59, 3, v58
	v_sub_u32_e32 v61, 29, v62
	v_and_b32_e32 v60, 7, v60
	v_cmp_gt_u32_e32 vcc, 8, v58
	v_cndmask_b32_e32 v58, v59, v61, vcc
	v_cndmask_b32_e32 v42, v42, v60, vcc
	v_lshlrev_b32_e32 v40, 24, v40
	v_lshlrev_b32_e32 v42, 20, v42
	v_and_b32_e32 v40, 0x80000000, v40
	v_lshl_add_u32 v58, v58, 23, v55
	v_or3_b32 v42, v40, v58, v42
.LBB654_591:                            ;   in Loop: Header=BB654_215 Depth=1
	s_or_b64 exec, exec, s[20:21]
.LBB654_592:                            ;   in Loop: Header=BB654_215 Depth=1
	s_or_b64 exec, exec, s[18:19]
.LBB654_593:                            ;   in Loop: Header=BB654_215 Depth=1
	s_or_b64 exec, exec, s[16:17]
	v_cmp_lt_u32_e32 vcc, s22, v38
	v_mov_b32_e32 v58, 0
	s_and_saveexec_b64 s[16:17], vcc
	s_cbranch_execz .LBB654_214
; %bb.594:                              ;   in Loop: Header=BB654_215 Depth=1
	v_lshrrev_b32_e32 v40, 24, v38
	v_cmp_ne_u32_e32 vcc, s9, v40
	v_bfrev_b32_e32 v58, 1
	s_and_saveexec_b64 s[18:19], vcc
	s_cbranch_execz .LBB654_213
; %bb.595:                              ;   in Loop: Header=BB654_215 Depth=1
	v_bfe_u32 v38, v38, 24, 7
	v_cmp_ne_u32_e32 vcc, s11, v38
	v_mov_b32_e32 v58, 0x7f800001
	s_and_saveexec_b64 s[20:21], vcc
	s_cbranch_execz .LBB654_212
; %bb.596:                              ;   in Loop: Header=BB654_215 Depth=1
	v_and_b32_e32 v60, 7, v40
	v_ffbh_u32_e32 v58, v60
	v_min_u32_e32 v62, 32, v58
	v_subrev_u32_e32 v58, 28, v62
	v_lshlrev_b64 v[58:59], v58, v[40:41]
	v_lshrrev_b32_e32 v61, 3, v38
	v_sub_u32_e32 v59, 29, v62
	v_and_b32_e32 v58, 7, v58
	v_cmp_gt_u32_e32 vcc, 8, v38
	v_cndmask_b32_e32 v38, v61, v59, vcc
	v_cndmask_b32_e32 v58, v60, v58, vcc
	v_lshlrev_b32_e32 v40, 24, v40
	v_lshlrev_b32_e32 v58, 20, v58
	v_and_b32_e32 v40, 0x80000000, v40
	v_lshl_add_u32 v38, v38, 23, v55
	v_or3_b32 v58, v40, v38, v58
	s_branch .LBB654_212
.LBB654_597:
	s_barrier
	buffer_load_dword v2, off, s[0:3], 0 offset:320
	buffer_load_dword v5, off, s[0:3], 0 offset:332
	;; [unrolled: 1-line block ×4, first 2 shown]
	v_cmp_gt_u32_e32 vcc, 64, v0
	s_xor_b64 s[4:5], s[4:5], -1
	s_and_b64 s[4:5], vcc, s[4:5]
	s_waitcnt vmcnt(0)
	ds_write2st64_b64 v53, v[2:3], v[4:5] offset1:1
	s_waitcnt lgkmcnt(0)
	s_barrier
	s_and_saveexec_b64 s[6:7], s[4:5]
	s_cbranch_execz .LBB654_599
; %bb.598:
	s_mul_i32 s4, s53, s8
	s_lshl_b32 s6, s52, 7
	s_mul_hi_u32 s5, s4, s6
	s_mul_i32 s4, s4, s6
	v_lshlrev_b32_e32 v4, 6, v41
	s_lshl_b64 s[4:5], s[4:5], 1
	v_lshl_or_b32 v0, v0, 10, v4
	s_add_u32 s7, s54, s4
	v_lshlrev_b32_e32 v2, 5, v39
	v_and_b32_e32 v3, 16, v43
	v_and_b32_e32 v0, 0x1a00, v0
	s_addc_u32 s8, s55, s5
	s_lshl_b32 s4, s28, 7
	s_mov_b32 s5, 0
	v_or3_b32 v0, v0, v2, v3
	s_lshl_b64 s[4:5], s[4:5], 1
	ds_read_b128 v[2:5], v0
	s_add_u32 s7, s7, s4
	s_addc_u32 s8, s8, s5
	s_mul_hi_u32 s5, s6, s10
	s_mul_i32 s4, s6, s10
	s_lshl_b64 s[4:5], s[4:5], 1
	s_add_u32 s4, s7, s4
	s_addc_u32 s5, s8, s5
	s_waitcnt lgkmcnt(0)
	global_store_dwordx4 v1, v[2:5], s[4:5]
.LBB654_599:
	s_endpgm
	.section	.rodata,"a",@progbits
	.p2align	6, 0x0
	.amdhsa_kernel _Z39paged_attention_ll4mi_QKV_mfma16_kernelIDF16_hLN4vllm18Fp8KVCacheDataTypeE1EDF16_Li32ELi128ELi256ELb1ELi1EL8MFMAType0EEvPKT_PKT0_S8_ifPKiSA_SA_iPKfiiiPfSD_PS3_PT2_iSC_SC_
		.amdhsa_group_segment_fixed_size 8192
		.amdhsa_private_segment_fixed_size 352
		.amdhsa_kernarg_size 400
		.amdhsa_user_sgpr_count 8
		.amdhsa_user_sgpr_private_segment_buffer 1
		.amdhsa_user_sgpr_dispatch_ptr 0
		.amdhsa_user_sgpr_queue_ptr 0
		.amdhsa_user_sgpr_kernarg_segment_ptr 1
		.amdhsa_user_sgpr_dispatch_id 0
		.amdhsa_user_sgpr_flat_scratch_init 1
		.amdhsa_user_sgpr_kernarg_preload_length 0
		.amdhsa_user_sgpr_kernarg_preload_offset 0
		.amdhsa_user_sgpr_private_segment_size 0
		.amdhsa_uses_dynamic_stack 0
		.amdhsa_system_sgpr_private_segment_wavefront_offset 1
		.amdhsa_system_sgpr_workgroup_id_x 1
		.amdhsa_system_sgpr_workgroup_id_y 1
		.amdhsa_system_sgpr_workgroup_id_z 1
		.amdhsa_system_sgpr_workgroup_info 0
		.amdhsa_system_vgpr_workitem_id 0
		.amdhsa_next_free_vgpr 80
		.amdhsa_next_free_sgpr 56
		.amdhsa_accum_offset 80
		.amdhsa_reserve_vcc 1
		.amdhsa_reserve_flat_scratch 0
		.amdhsa_float_round_mode_32 0
		.amdhsa_float_round_mode_16_64 0
		.amdhsa_float_denorm_mode_32 3
		.amdhsa_float_denorm_mode_16_64 3
		.amdhsa_dx10_clamp 1
		.amdhsa_ieee_mode 1
		.amdhsa_fp16_overflow 0
		.amdhsa_tg_split 0
		.amdhsa_exception_fp_ieee_invalid_op 0
		.amdhsa_exception_fp_denorm_src 0
		.amdhsa_exception_fp_ieee_div_zero 0
		.amdhsa_exception_fp_ieee_overflow 0
		.amdhsa_exception_fp_ieee_underflow 0
		.amdhsa_exception_fp_ieee_inexact 0
		.amdhsa_exception_int_div_zero 0
	.end_amdhsa_kernel
	.section	.text._Z39paged_attention_ll4mi_QKV_mfma16_kernelIDF16_hLN4vllm18Fp8KVCacheDataTypeE1EDF16_Li32ELi128ELi256ELb1ELi1EL8MFMAType0EEvPKT_PKT0_S8_ifPKiSA_SA_iPKfiiiPfSD_PS3_PT2_iSC_SC_,"axG",@progbits,_Z39paged_attention_ll4mi_QKV_mfma16_kernelIDF16_hLN4vllm18Fp8KVCacheDataTypeE1EDF16_Li32ELi128ELi256ELb1ELi1EL8MFMAType0EEvPKT_PKT0_S8_ifPKiSA_SA_iPKfiiiPfSD_PS3_PT2_iSC_SC_,comdat
.Lfunc_end654:
	.size	_Z39paged_attention_ll4mi_QKV_mfma16_kernelIDF16_hLN4vllm18Fp8KVCacheDataTypeE1EDF16_Li32ELi128ELi256ELb1ELi1EL8MFMAType0EEvPKT_PKT0_S8_ifPKiSA_SA_iPKfiiiPfSD_PS3_PT2_iSC_SC_, .Lfunc_end654-_Z39paged_attention_ll4mi_QKV_mfma16_kernelIDF16_hLN4vllm18Fp8KVCacheDataTypeE1EDF16_Li32ELi128ELi256ELb1ELi1EL8MFMAType0EEvPKT_PKT0_S8_ifPKiSA_SA_iPKfiiiPfSD_PS3_PT2_iSC_SC_
                                        ; -- End function
	.section	.AMDGPU.csdata,"",@progbits
; Kernel info:
; codeLenInByte = 21328
; NumSgprs: 60
; NumVgprs: 80
; NumAgprs: 0
; TotalNumVgprs: 80
; ScratchSize: 352
; MemoryBound: 0
; FloatMode: 240
; IeeeMode: 1
; LDSByteSize: 8192 bytes/workgroup (compile time only)
; SGPRBlocks: 7
; VGPRBlocks: 9
; NumSGPRsForWavesPerEU: 60
; NumVGPRsForWavesPerEU: 80
; AccumOffset: 80
; Occupancy: 6
; WaveLimiterHint : 1
; COMPUTE_PGM_RSRC2:SCRATCH_EN: 1
; COMPUTE_PGM_RSRC2:USER_SGPR: 8
; COMPUTE_PGM_RSRC2:TRAP_HANDLER: 0
; COMPUTE_PGM_RSRC2:TGID_X_EN: 1
; COMPUTE_PGM_RSRC2:TGID_Y_EN: 1
; COMPUTE_PGM_RSRC2:TGID_Z_EN: 1
; COMPUTE_PGM_RSRC2:TIDIG_COMP_CNT: 0
; COMPUTE_PGM_RSRC3_GFX90A:ACCUM_OFFSET: 19
; COMPUTE_PGM_RSRC3_GFX90A:TG_SPLIT: 0
	.section	.text._Z39paged_attention_ll4mi_QKV_mfma16_kernelIDF16_hLN4vllm18Fp8KVCacheDataTypeE1EDF16_Li32ELi128ELi256ELb1ELi2EL8MFMAType0EEvPKT_PKT0_S8_ifPKiSA_SA_iPKfiiiPfSD_PS3_PT2_iSC_SC_,"axG",@progbits,_Z39paged_attention_ll4mi_QKV_mfma16_kernelIDF16_hLN4vllm18Fp8KVCacheDataTypeE1EDF16_Li32ELi128ELi256ELb1ELi2EL8MFMAType0EEvPKT_PKT0_S8_ifPKiSA_SA_iPKfiiiPfSD_PS3_PT2_iSC_SC_,comdat
	.protected	_Z39paged_attention_ll4mi_QKV_mfma16_kernelIDF16_hLN4vllm18Fp8KVCacheDataTypeE1EDF16_Li32ELi128ELi256ELb1ELi2EL8MFMAType0EEvPKT_PKT0_S8_ifPKiSA_SA_iPKfiiiPfSD_PS3_PT2_iSC_SC_ ; -- Begin function _Z39paged_attention_ll4mi_QKV_mfma16_kernelIDF16_hLN4vllm18Fp8KVCacheDataTypeE1EDF16_Li32ELi128ELi256ELb1ELi2EL8MFMAType0EEvPKT_PKT0_S8_ifPKiSA_SA_iPKfiiiPfSD_PS3_PT2_iSC_SC_
	.globl	_Z39paged_attention_ll4mi_QKV_mfma16_kernelIDF16_hLN4vllm18Fp8KVCacheDataTypeE1EDF16_Li32ELi128ELi256ELb1ELi2EL8MFMAType0EEvPKT_PKT0_S8_ifPKiSA_SA_iPKfiiiPfSD_PS3_PT2_iSC_SC_
	.p2align	8
	.type	_Z39paged_attention_ll4mi_QKV_mfma16_kernelIDF16_hLN4vllm18Fp8KVCacheDataTypeE1EDF16_Li32ELi128ELi256ELb1ELi2EL8MFMAType0EEvPKT_PKT0_S8_ifPKiSA_SA_iPKfiiiPfSD_PS3_PT2_iSC_SC_,@function
_Z39paged_attention_ll4mi_QKV_mfma16_kernelIDF16_hLN4vllm18Fp8KVCacheDataTypeE1EDF16_Li32ELi128ELi256ELb1ELi2EL8MFMAType0EEvPKT_PKT0_S8_ifPKiSA_SA_iPKfiiiPfSD_PS3_PT2_iSC_SC_: ; @_Z39paged_attention_ll4mi_QKV_mfma16_kernelIDF16_hLN4vllm18Fp8KVCacheDataTypeE1EDF16_Li32ELi128ELi256ELb1ELi2EL8MFMAType0EEvPKT_PKT0_S8_ifPKiSA_SA_iPKfiiiPfSD_PS3_PT2_iSC_SC_
; %bb.0:
	s_load_dwordx2 s[6:7], s[4:5], 0x30
	s_add_u32 s0, s0, s11
	s_addc_u32 s1, s1, 0
	s_mov_b32 s26, s9
	s_mov_b64 s[14:15], 0
	s_waitcnt lgkmcnt(0)
	s_cmp_lg_u64 s[6:7], 0
	s_cselect_b64 s[12:13], -1, 0
	s_and_b64 vcc, exec, s[12:13]
	s_cbranch_vccz .LBB655_7
; %bb.1:
	s_add_i32 s16, s8, 1
	s_mov_b32 s17, 0
	s_lshl_b64 s[18:19], s[16:17], 2
	s_add_u32 s18, s6, s18
	s_mov_b32 s9, s17
	s_addc_u32 s19, s7, s19
	s_lshl_b64 s[16:17], s[8:9], 2
	s_add_u32 s16, s6, s16
	s_addc_u32 s17, s7, s17
	s_load_dword s11, s[18:19], 0x0
	s_load_dword s20, s[16:17], 0x0
	s_waitcnt lgkmcnt(0)
	s_sub_i32 s11, s11, s20
	s_cmp_eq_u32 s11, 1
	s_cselect_b64 s[16:17], -1, 0
	s_andn2_b64 vcc, exec, s[14:15]
	s_cbranch_vccnz .LBB655_3
.LBB655_2:
	s_mov_b32 s9, 0
	s_mov_b64 s[16:17], -1
.LBB655_3:
	s_andn2_b64 vcc, exec, s[16:17]
	s_cbranch_vccnz .LBB655_599
; %bb.4:
	s_load_dwordx2 s[16:17], s[4:5], 0x28
	s_lshl_b64 s[14:15], s[8:9], 2
	s_waitcnt lgkmcnt(0)
	s_add_u32 s16, s16, s14
	s_addc_u32 s17, s17, s15
	s_load_dword s33, s[16:17], 0x0
	s_lshl_b32 s20, s26, 8
	s_waitcnt lgkmcnt(0)
	s_cmp_ge_i32 s20, s33
	s_cbranch_scc1 .LBB655_599
; %bb.5:
	s_add_i32 s18, s33, 31
	s_load_dwordx2 s[16:17], s[4:5], 0x20
	s_load_dword s11, s[4:5], 0x38
	s_ashr_i32 s19, s18, 31
	v_and_b32_e32 v1, 0xcf, v0
	s_lshr_b32 s19, s19, 27
	v_add_u32_e32 v1, s20, v1
	s_add_i32 s18, s18, s19
	v_ashrrev_i32_e32 v2, 31, v1
	s_ashr_i32 s23, s18, 5
	v_lshrrev_b32_e32 v4, 27, v2
	s_add_i32 s23, s23, -1
	v_add_u32_e32 v2, v1, v4
	s_waitcnt lgkmcnt(0)
	s_mul_i32 s18, s8, s11
	s_mov_b32 s19, 0
	v_ashrrev_i32_e32 v2, 5, v2
	v_mov_b32_e32 v5, s23
	v_cmp_gt_i32_e32 vcc, s33, v1
	s_lshl_b64 s[18:19], s[18:19], 2
	v_cndmask_b32_e32 v2, v5, v2, vcc
	s_add_u32 s21, s16, s18
	v_ashrrev_i32_e32 v3, 31, v2
	s_addc_u32 s22, s17, s19
	v_lshlrev_b64 v[2:3], 2, v[2:3]
	v_mov_b32_e32 v7, s22
	v_add_co_u32_e32 v6, vcc, s21, v2
	v_or_b32_e32 v2, 16, v1
	v_addc_co_u32_e32 v7, vcc, v7, v3, vcc
	v_add_u32_e32 v3, v2, v4
	v_ashrrev_i32_e32 v3, 5, v3
	v_cmp_gt_i32_e32 vcc, s33, v2
	v_cndmask_b32_e32 v2, v5, v3, vcc
	v_ashrrev_i32_e32 v3, 31, v2
	v_lshlrev_b64 v[2:3], 2, v[2:3]
	v_mov_b32_e32 v9, s22
	v_add_co_u32_e32 v8, vcc, s21, v2
	v_or_b32_e32 v2, 32, v1
	v_addc_co_u32_e32 v9, vcc, v9, v3, vcc
	v_add_u32_e32 v3, v2, v4
	v_ashrrev_i32_e32 v3, 5, v3
	v_cmp_gt_i32_e32 vcc, s33, v2
	v_cndmask_b32_e32 v2, v5, v3, vcc
	v_ashrrev_i32_e32 v3, 31, v2
	;; [unrolled: 10-line block ×3, first 2 shown]
	v_lshlrev_b64 v[2:3], 2, v[2:3]
	v_mov_b32_e32 v1, s22
	v_add_co_u32_e32 v12, vcc, s21, v2
	v_addc_co_u32_e32 v13, vcc, v1, v3, vcc
	global_load_dword v5, v[6:7], off
	global_load_dword v4, v[8:9], off
	;; [unrolled: 1-line block ×4, first 2 shown]
	s_load_dwordx2 s[16:17], s[4:5], 0x8
	s_andn2_b64 vcc, exec, s[12:13]
	s_cbranch_vccnz .LBB655_8
; %bb.6:
	s_add_u32 s6, s6, s14
	s_addc_u32 s7, s7, s15
	s_load_dword s11, s[6:7], 0x0
	s_branch .LBB655_9
.LBB655_7:
	s_mov_b64 s[16:17], 0
	s_branch .LBB655_2
.LBB655_8:
	s_mov_b32 s11, s8
.LBB655_9:
	s_load_dwordx2 s[6:7], s[4:5], 0x10
	s_load_dwordx4 s[12:15], s[4:5], 0x48
	v_lshrrev_b32_e32 v27, 6, v0
	v_bfe_u32 v39, v0, 4, 2
	v_and_b32_e32 v41, 15, v0
	v_lshl_or_b32 v6, v27, 2, v39
	v_lshlrev_b32_e32 v1, 3, v41
	s_lshl_b32 s27, s10, 1
	v_cmp_gt_u32_e32 vcc, 2, v6
	v_lshlrev_b32_e32 v1, 1, v1
	v_lshlrev_b32_e32 v43, 4, v0
	s_and_saveexec_b64 s[18:19], vcc
	s_cbranch_execz .LBB655_11
; %bb.10:
	s_load_dwordx2 s[24:25], s[4:5], 0x0
	s_waitcnt lgkmcnt(0)
	s_ashr_i32 s15, s12, 31
	s_mul_hi_u32 s28, s11, s12
	s_mul_i32 s15, s11, s15
	s_add_i32 s29, s28, s15
	s_mul_i32 s28, s11, s12
	s_lshl_b64 s[28:29], s[28:29], 1
	v_add_lshl_u32 v8, v39, s27, 7
	s_add_u32 s11, s24, s28
	v_ashrrev_i32_e32 v9, 31, v8
	s_addc_u32 s12, s25, s29
	v_lshlrev_b64 v[8:9], 1, v[8:9]
	v_mov_b32_e32 v7, s12
	v_add_co_u32_e32 v8, vcc, s11, v8
	v_addc_co_u32_e32 v7, vcc, v7, v9, vcc
	v_add_co_u32_e32 v8, vcc, v8, v1
	v_addc_co_u32_e32 v9, vcc, 0, v7, vcc
	global_load_dwordx4 v[8:11], v[8:9], off
	v_lshlrev_b32_e32 v12, 8, v0
	v_lshlrev_b32_e32 v7, 8, v41
	v_and_b32_e32 v12, 0x600, v12
	s_movk_i32 s11, 0x800
	v_and_or_b32 v7, v7, s11, v12
	v_lshlrev_b32_e32 v6, 5, v6
	v_and_b32_e32 v12, 16, v43
	v_or3_b32 v6, v7, v6, v12
	s_waitcnt vmcnt(0)
	ds_write_b128 v6, v[8:11]
.LBB655_11:
	s_or_b64 exec, exec, s[18:19]
	s_waitcnt lgkmcnt(0)
	s_mul_i32 s14, s10, s14
	s_add_u32 s10, s16, s14
	s_addc_u32 s11, s17, 0
	v_pk_mov_b32 v[6:7], s[10:11], s[10:11] op_sel:[0,1]
	s_waitcnt vmcnt(3)
	v_mad_i64_i32 v[8:9], s[10:11], v5, s13, v[6:7]
	v_lshlrev_b32_e32 v11, 4, v41
	v_and_b32_e32 v18, 48, v0
	v_add_co_u32_e32 v5, vcc, v8, v11
	v_lshlrev_b32_e32 v10, 5, v18
	v_addc_co_u32_e32 v9, vcc, 0, v9, vcc
	v_add_co_u32_e32 v8, vcc, v5, v10
	v_addc_co_u32_e32 v9, vcc, 0, v9, vcc
	s_load_dwordx2 s[48:49], s[4:5], 0x94
	s_waitcnt lgkmcnt(0)
	s_barrier
	global_load_dwordx4 v[20:23], v[8:9], off
	global_load_dwordx4 v[28:31], v[8:9], off offset:2048
	s_waitcnt vmcnt(4)
	v_mad_i64_i32 v[4:5], s[10:11], v4, s13, v[6:7]
	v_or_b32_e32 v8, 0x100, v11
	v_add_co_u32_e32 v4, vcc, v4, v8
	v_addc_co_u32_e32 v5, vcc, 0, v5, vcc
	v_add_co_u32_e32 v4, vcc, v4, v10
	v_addc_co_u32_e32 v5, vcc, 0, v5, vcc
	global_load_dwordx4 v[32:35], v[4:5], off
	global_load_dwordx4 v[44:47], v[4:5], off offset:2048
	s_waitcnt vmcnt(5)
	v_mad_i64_i32 v[4:5], s[10:11], v3, s13, v[6:7]
	v_add_co_u32_e32 v3, vcc, v4, v11
	v_addc_co_u32_e32 v5, vcc, 0, v5, vcc
	v_add_co_u32_e32 v4, vcc, v3, v10
	v_addc_co_u32_e32 v5, vcc, 0, v5, vcc
	s_waitcnt vmcnt(4)
	v_mad_i64_i32 v[2:3], s[10:11], v2, s13, v[6:7]
	v_add_co_u32_e32 v2, vcc, v2, v8
	v_addc_co_u32_e32 v3, vcc, 0, v3, vcc
	v_add_co_u32_e32 v2, vcc, v2, v10
	v_addc_co_u32_e32 v3, vcc, 0, v3, vcc
	global_load_dwordx4 v[48:51], v[4:5], off
	global_load_dwordx4 v[52:55], v[4:5], off offset:2048
	global_load_dwordx4 v[56:59], v[2:3], off
	global_load_dwordx4 v[60:63], v[2:3], off offset:2048
	v_and_b32_e32 v2, 1, v0
	v_lshlrev_b32_e32 v2, 5, v2
	v_lshl_or_b32 v14, v39, 9, v2
	s_load_dwordx2 s[50:51], s[4:5], 0x68
	s_load_dwordx4 s[44:47], s[4:5], 0x58
	ds_read_b128 v[2:5], v14
	ds_read_b128 v[6:9], v14 offset:16
	ds_read_b128 v[10:13], v14 offset:2048
	ds_read_b128 v[14:17], v14 offset:2064
	s_mov_b32 s12, 0
	v_cmp_gt_u32_e32 vcc, 2, v41
	s_waitcnt vmcnt(7)
	buffer_store_dword v23, off, s[0:3], 0 offset:12
	buffer_store_dword v22, off, s[0:3], 0 offset:8
	;; [unrolled: 1-line block ×3, first 2 shown]
	buffer_store_dword v20, off, s[0:3], 0
	s_waitcnt vmcnt(10)
	buffer_store_dword v31, off, s[0:3], 0 offset:28
	buffer_store_dword v30, off, s[0:3], 0 offset:24
	buffer_store_dword v29, off, s[0:3], 0 offset:20
	buffer_store_dword v28, off, s[0:3], 0 offset:16
	s_waitcnt vmcnt(13)
	buffer_store_dword v35, off, s[0:3], 0 offset:44
	buffer_store_dword v34, off, s[0:3], 0 offset:40
	buffer_store_dword v33, off, s[0:3], 0 offset:36
	buffer_store_dword v32, off, s[0:3], 0 offset:32
	;; [unrolled: 5-line block ×7, first 2 shown]
	v_mov_b32_e32 v33, 0
	v_mov_b32_e32 v31, 0
	s_and_saveexec_b64 s[10:11], vcc
	s_cbranch_execz .LBB655_13
; %bb.12:
	s_load_dwordx2 s[16:17], s[4:5], 0x40
	v_or_b32_e32 v20, s27, v41
	v_ashrrev_i32_e32 v21, 31, v20
	v_lshlrev_b64 v[20:21], 2, v[20:21]
	s_waitcnt lgkmcnt(0)
	v_mov_b32_e32 v19, s17
	v_add_co_u32_e32 v20, vcc, s16, v20
	v_addc_co_u32_e32 v21, vcc, v19, v21, vcc
	global_load_dword v31, v[20:21], off
.LBB655_13:
	s_or_b64 exec, exec, s[10:11]
	s_ashr_i32 s10, s20, 31
	v_or_b32_e32 v24, s20, v18
	s_lshr_b32 s10, s10, 27
	v_add_u32_e32 v18, s10, v24
	v_ashrrev_i32_e32 v18, 5, v18
	v_mov_b32_e32 v25, s23
	v_cmp_gt_i32_e32 vcc, s33, v24
	v_cndmask_b32_e32 v18, v25, v18, vcc
	v_ashrrev_i32_e32 v19, 31, v18
	v_lshlrev_b64 v[18:19], 2, v[18:19]
	v_mov_b32_e32 v20, s22
	v_add_co_u32_e32 v18, vcc, s21, v18
	v_addc_co_u32_e32 v19, vcc, v20, v19, vcc
	v_or_b32_e32 v20, 64, v24
	v_add_u32_e32 v21, s10, v20
	v_ashrrev_i32_e32 v21, 5, v21
	v_cmp_gt_i32_e32 vcc, s33, v20
	v_cndmask_b32_e32 v20, v25, v21, vcc
	v_ashrrev_i32_e32 v21, 31, v20
	v_lshlrev_b64 v[20:21], 2, v[20:21]
	v_mov_b32_e32 v22, s22
	v_add_co_u32_e32 v20, vcc, s21, v20
	v_addc_co_u32_e32 v21, vcc, v22, v21, vcc
	v_or_b32_e32 v22, 0x80, v24
	v_add_u32_e32 v23, s10, v22
	v_ashrrev_i32_e32 v23, 5, v23
	v_cmp_gt_i32_e32 vcc, s33, v22
	v_cndmask_b32_e32 v22, v25, v23, vcc
	v_ashrrev_i32_e32 v23, 31, v22
	v_lshlrev_b64 v[22:23], 2, v[22:23]
	v_mov_b32_e32 v26, s22
	v_add_co_u32_e32 v22, vcc, s21, v22
	v_addc_co_u32_e32 v23, vcc, v26, v23, vcc
	global_load_dword v26, v[18:19], off
	global_load_dword v28, v[20:21], off
	;; [unrolled: 1-line block ×3, first 2 shown]
	v_or_b32_e32 v18, 0xc0, v24
	v_add_u32_e32 v19, s10, v18
	v_ashrrev_i32_e32 v19, 5, v19
	v_cmp_gt_i32_e32 vcc, s33, v18
	v_cndmask_b32_e32 v18, v25, v19, vcc
	v_ashrrev_i32_e32 v19, 31, v18
	v_lshlrev_b64 v[18:19], 2, v[18:19]
	v_mov_b32_e32 v20, s22
	v_add_co_u32_e32 v18, vcc, s21, v18
	v_addc_co_u32_e32 v19, vcc, v20, v19, vcc
	global_load_dword v32, v[18:19], off
	s_add_u32 s6, s6, s14
	v_and_b32_e32 v18, 16, v0
	s_addc_u32 s7, s7, 0
	v_lshl_or_b32 v29, v27, 4, v41
	v_mov_b32_e32 v20, s7
	v_add_co_u32_e32 v35, vcc, s6, v18
	v_lshlrev_b32_e32 v19, 5, v29
	v_addc_co_u32_e32 v36, vcc, 0, v20, vcc
	v_add_co_u32_e32 v22, vcc, v35, v19
	v_addc_co_u32_e32 v23, vcc, 0, v36, vcc
	v_or_b32_e32 v34, 0x800, v19
	v_and_b32_e32 v45, 63, v0
	s_movk_i32 s14, 0x7f
	s_mov_b32 s15, 0xffffff
	v_bfrev_b32_e32 v37, 60
	s_waitcnt vmcnt(3)
	v_mad_i64_i32 v[18:19], s[6:7], v26, s13, v[22:23]
	s_waitcnt vmcnt(2)
	v_mad_i64_i32 v[24:25], s[6:7], v28, s13, v[22:23]
	global_load_dwordx4 v[18:21], v[18:19], off
	s_nop 0
	global_load_dwordx4 v[54:57], v[24:25], off
	s_waitcnt vmcnt(3)
	v_mad_i64_i32 v[24:25], s[6:7], v30, s13, v[22:23]
	s_waitcnt vmcnt(2)
	v_mad_i64_i32 v[22:23], s[6:7], v32, s13, v[22:23]
	global_load_dwordx4 v[58:61], v[24:25], off
	global_load_dwordx4 v[62:65], v[22:23], off
	v_add_co_u32_e32 v22, vcc, v35, v34
	v_addc_co_u32_e32 v23, vcc, 0, v36, vcc
	v_mad_i64_i32 v[24:25], s[6:7], v26, s13, v[22:23]
	global_load_dwordx4 v[66:69], v[24:25], off
	v_mad_i64_i32 v[24:25], s[6:7], v28, s13, v[22:23]
	global_load_dwordx4 v[70:73], v[24:25], off
	;; [unrolled: 2-line block ×4, first 2 shown]
	s_load_dword s6, s[4:5], 0x1c
	s_load_dwordx4 s[40:43], s[4:5], 0x80
	v_mov_b32_e32 v22, 0x80
	v_add_u32_e32 v47, 16, v22
	v_add_u32_e32 v46, 32, v22
	;; [unrolled: 1-line block ×3, first 2 shown]
	s_waitcnt lgkmcnt(0)
	s_load_dword s4, s[40:41], 0x0
	v_add_u32_e32 v52, 64, v22
	v_add_u32_e32 v49, 0x50, v22
	;; [unrolled: 1-line block ×4, first 2 shown]
	v_mov_b32_e32 v22, s6
	s_waitcnt lgkmcnt(0)
	v_mul_f32_e32 v22, s4, v22
	s_movk_i32 s13, 0x80
	v_mov_b32_e32 v35, 0
	v_mov_b32_e32 v36, 0x100
	;; [unrolled: 1-line block ×4, first 2 shown]
	s_waitcnt vmcnt(7)
	buffer_store_dword v21, off, s[0:3], 0 offset:140
	buffer_store_dword v20, off, s[0:3], 0 offset:136
	buffer_store_dword v19, off, s[0:3], 0 offset:132
	buffer_store_dword v18, off, s[0:3], 0 offset:128
	s_waitcnt vmcnt(10)
	buffer_store_dword v57, off, s[0:3], 0 offset:172
	buffer_store_dword v56, off, s[0:3], 0 offset:168
	buffer_store_dword v55, off, s[0:3], 0 offset:164
	buffer_store_dword v54, off, s[0:3], 0 offset:160
	;; [unrolled: 5-line block ×8, first 2 shown]
	s_branch .LBB655_17
.LBB655_14:                             ;   in Loop: Header=BB655_17 Depth=1
	s_or_b64 exec, exec, s[10:11]
.LBB655_15:                             ;   in Loop: Header=BB655_17 Depth=1
	s_or_b64 exec, exec, s[6:7]
.LBB655_16:                             ;   in Loop: Header=BB655_17 Depth=1
	s_or_b64 exec, exec, s[4:5]
	v_cvt_pkrtz_f16_f32 v54, v34, v32
	v_cvt_pkrtz_f16_f32 v55, v23, v40
	v_add_u32_e32 v26, s12, v36
	s_add_i32 s12, s12, 16
	v_mov_b32_e32 v23, v22
	v_mfma_f32_16x16x16f16 v[18:21], v[54:55], v[14:15], v[18:21]
	v_cvt_pkrtz_f16_f32 v54, v38, v42
	v_cvt_pkrtz_f16_f32 v55, v30, v44
	s_cmp_eq_u32 s12, 64
	v_add_u32_e32 v35, 32, v35
	v_mfma_f32_16x16x16f16 v[18:21], v[54:55], v[16:17], v[18:21]
	s_nop 7
	s_nop 2
	v_pk_mul_f32 v[18:19], v[24:25], v[18:19]
	v_pk_mul_f32 v[20:21], v[22:23], v[20:21]
	buffer_store_dword v19, v26, s[0:3], 0 offen offset:4
	buffer_store_dword v18, v26, s[0:3], 0 offen
	buffer_store_dword v21, v26, s[0:3], 0 offen offset:12
	buffer_store_dword v20, v26, s[0:3], 0 offen offset:8
	s_cbranch_scc1 .LBB655_207
.LBB655_17:                             ; =>This Inner Loop Header: Depth=1
	buffer_load_dword v20, v35, s[0:3], 0 offen
	buffer_load_dword v18, v35, s[0:3], 0 offen offset:4
	buffer_load_dword v28, v35, s[0:3], 0 offen offset:8
	;; [unrolled: 1-line block ×3, first 2 shown]
	v_mov_b32_e32 v19, 0
	v_mov_b32_e32 v21, 0
	s_waitcnt vmcnt(3)
	v_cmp_ne_u16_sdwa s[6:7], v20, v33 src0_sel:BYTE_0 src1_sel:DWORD
	s_and_saveexec_b64 s[4:5], s[6:7]
	s_cbranch_execz .LBB655_23
; %bb.18:                               ;   in Loop: Header=BB655_17 Depth=1
	v_cmp_ne_u16_sdwa s[10:11], v20, s13 src0_sel:BYTE_0 src1_sel:DWORD
	v_bfrev_b32_e32 v21, 1
	s_and_saveexec_b64 s[6:7], s[10:11]
	s_cbranch_execz .LBB655_22
; %bb.19:                               ;   in Loop: Header=BB655_17 Depth=1
	v_and_b32_e32 v23, 0x7f, v20
	v_cmp_ne_u32_e32 vcc, s14, v23
	v_mov_b32_e32 v21, 0x7f800001
	s_and_saveexec_b64 s[10:11], vcc
	s_cbranch_execz .LBB655_21
; %bb.20:                               ;   in Loop: Header=BB655_17 Depth=1
	v_and_b32_e32 v21, 7, v20
	v_ffbh_u32_e32 v32, v21
	v_min_u32_e32 v32, 32, v32
	v_subrev_u32_e32 v34, 28, v32
	v_lshlrev_b64 v[54:55], v34, v[20:21]
	v_lshrrev_b32_e32 v30, 3, v23
	v_sub_u32_e32 v32, 29, v32
	v_and_b32_e32 v34, 7, v54
	v_cmp_gt_u32_e32 vcc, 8, v23
	v_cndmask_b32_e32 v23, v30, v32, vcc
	v_cndmask_b32_e32 v21, v21, v34, vcc
	v_lshlrev_b32_e32 v30, 24, v20
	v_lshlrev_b32_e32 v21, 20, v21
	v_and_b32_e32 v30, 0x80000000, v30
	v_lshl_add_u32 v23, v23, 23, v37
	v_or3_b32 v21, v30, v23, v21
.LBB655_21:                             ;   in Loop: Header=BB655_17 Depth=1
	s_or_b64 exec, exec, s[10:11]
.LBB655_22:                             ;   in Loop: Header=BB655_17 Depth=1
	s_or_b64 exec, exec, s[6:7]
.LBB655_23:                             ;   in Loop: Header=BB655_17 Depth=1
	s_or_b64 exec, exec, s[4:5]
	v_lshrrev_b16_e32 v30, 8, v20
	v_cmp_ne_u16_e32 vcc, 0, v30
	s_and_saveexec_b64 s[4:5], vcc
	s_cbranch_execz .LBB655_29
; %bb.24:                               ;   in Loop: Header=BB655_17 Depth=1
	v_cmp_ne_u16_e32 vcc, s13, v30
	v_bfrev_b32_e32 v19, 1
	s_and_saveexec_b64 s[6:7], vcc
	s_cbranch_execz .LBB655_28
; %bb.25:                               ;   in Loop: Header=BB655_17 Depth=1
	v_and_b32_e32 v23, 0x7f, v30
	v_cmp_ne_u32_e32 vcc, s14, v23
	v_mov_b32_e32 v19, 0x7f800001
	s_and_saveexec_b64 s[10:11], vcc
	s_cbranch_execz .LBB655_27
; %bb.26:                               ;   in Loop: Header=BB655_17 Depth=1
	v_and_b32_e32 v19, 7, v30
	v_ffbh_u32_e32 v34, v19
	v_min_u32_e32 v34, 32, v34
	v_subrev_u32_e32 v38, 28, v34
	v_lshlrev_b64 v[54:55], v38, v[30:31]
	v_lshrrev_b32_e32 v32, 3, v23
	v_sub_u32_e32 v30, 29, v34
	v_and_b32_e32 v34, 7, v54
	v_cmp_gt_u32_e32 vcc, 8, v23
	v_cndmask_b32_e32 v23, v32, v30, vcc
	v_cndmask_b32_e32 v19, v19, v34, vcc
	v_lshlrev_b32_e32 v30, 16, v20
	v_lshlrev_b32_e32 v19, 20, v19
	v_and_b32_e32 v30, 0x80000000, v30
	v_lshl_add_u32 v23, v23, 23, v37
	v_or3_b32 v19, v30, v23, v19
.LBB655_27:                             ;   in Loop: Header=BB655_17 Depth=1
	s_or_b64 exec, exec, s[10:11]
.LBB655_28:                             ;   in Loop: Header=BB655_17 Depth=1
	s_or_b64 exec, exec, s[6:7]
.LBB655_29:                             ;   in Loop: Header=BB655_17 Depth=1
	s_or_b64 exec, exec, s[4:5]
	v_lshrrev_b32_e32 v30, 16, v20
	v_cmp_ne_u16_sdwa s[6:7], v30, v33 src0_sel:BYTE_0 src1_sel:DWORD
	v_mov_b32_e32 v32, 0
	v_mov_b32_e32 v23, 0
	s_and_saveexec_b64 s[4:5], s[6:7]
	s_cbranch_execz .LBB655_35
; %bb.30:                               ;   in Loop: Header=BB655_17 Depth=1
	v_cmp_ne_u16_sdwa s[10:11], v30, s13 src0_sel:BYTE_0 src1_sel:DWORD
	v_bfrev_b32_e32 v23, 1
	s_and_saveexec_b64 s[6:7], s[10:11]
	s_cbranch_execz .LBB655_34
; %bb.31:                               ;   in Loop: Header=BB655_17 Depth=1
	v_bfe_u32 v34, v20, 16, 7
	v_cmp_ne_u32_e32 vcc, s14, v34
	v_mov_b32_e32 v23, 0x7f800001
	s_and_saveexec_b64 s[10:11], vcc
	s_cbranch_execz .LBB655_33
; %bb.32:                               ;   in Loop: Header=BB655_17 Depth=1
	v_and_b32_e32 v23, 7, v30
	v_ffbh_u32_e32 v40, v23
	v_min_u32_e32 v40, 32, v40
	v_subrev_u32_e32 v42, 28, v40
	v_lshlrev_b64 v[54:55], v42, v[30:31]
	v_lshrrev_b32_e32 v38, 3, v34
	v_sub_u32_e32 v40, 29, v40
	v_and_b32_e32 v42, 7, v54
	v_cmp_gt_u32_e32 vcc, 8, v34
	v_cndmask_b32_e32 v34, v38, v40, vcc
	v_cndmask_b32_e32 v23, v23, v42, vcc
	v_lshlrev_b32_e32 v30, 24, v30
	v_lshlrev_b32_e32 v23, 20, v23
	v_and_b32_e32 v30, 0x80000000, v30
	v_lshl_add_u32 v34, v34, 23, v37
	v_or3_b32 v23, v30, v34, v23
.LBB655_33:                             ;   in Loop: Header=BB655_17 Depth=1
	s_or_b64 exec, exec, s[10:11]
.LBB655_34:                             ;   in Loop: Header=BB655_17 Depth=1
	s_or_b64 exec, exec, s[6:7]
.LBB655_35:                             ;   in Loop: Header=BB655_17 Depth=1
	s_or_b64 exec, exec, s[4:5]
	v_cmp_lt_u32_e32 vcc, s15, v20
	s_and_saveexec_b64 s[4:5], vcc
	s_cbranch_execz .LBB655_41
; %bb.36:                               ;   in Loop: Header=BB655_17 Depth=1
	v_lshrrev_b32_e32 v30, 24, v20
	v_cmp_ne_u32_e32 vcc, s13, v30
	v_bfrev_b32_e32 v32, 1
	s_and_saveexec_b64 s[6:7], vcc
	s_cbranch_execz .LBB655_40
; %bb.37:                               ;   in Loop: Header=BB655_17 Depth=1
	v_bfe_u32 v20, v20, 24, 7
	v_cmp_ne_u32_e32 vcc, s14, v20
	v_mov_b32_e32 v32, 0x7f800001
	s_and_saveexec_b64 s[10:11], vcc
	s_cbranch_execz .LBB655_39
; %bb.38:                               ;   in Loop: Header=BB655_17 Depth=1
	v_and_b32_e32 v32, 7, v30
	v_ffbh_u32_e32 v38, v32
	v_min_u32_e32 v38, 32, v38
	v_subrev_u32_e32 v40, 28, v38
	v_lshlrev_b64 v[54:55], v40, v[30:31]
	v_lshrrev_b32_e32 v34, 3, v20
	v_sub_u32_e32 v38, 29, v38
	v_and_b32_e32 v40, 7, v54
	v_cmp_gt_u32_e32 vcc, 8, v20
	v_cndmask_b32_e32 v20, v34, v38, vcc
	v_cndmask_b32_e32 v32, v32, v40, vcc
	v_lshlrev_b32_e32 v30, 24, v30
	v_lshlrev_b32_e32 v32, 20, v32
	v_and_b32_e32 v30, 0x80000000, v30
	v_lshl_add_u32 v20, v20, 23, v37
	v_or3_b32 v32, v30, v20, v32
.LBB655_39:                             ;   in Loop: Header=BB655_17 Depth=1
	s_or_b64 exec, exec, s[10:11]
.LBB655_40:                             ;   in Loop: Header=BB655_17 Depth=1
	s_or_b64 exec, exec, s[6:7]
.LBB655_41:                             ;   in Loop: Header=BB655_17 Depth=1
	s_or_b64 exec, exec, s[4:5]
	s_waitcnt vmcnt(2)
	v_cmp_ne_u16_sdwa s[6:7], v18, v33 src0_sel:BYTE_0 src1_sel:DWORD
	v_mov_b32_e32 v30, 0
	v_mov_b32_e32 v34, 0
	s_and_saveexec_b64 s[4:5], s[6:7]
	s_cbranch_execz .LBB655_47
; %bb.42:                               ;   in Loop: Header=BB655_17 Depth=1
	v_cmp_ne_u16_sdwa s[10:11], v18, s13 src0_sel:BYTE_0 src1_sel:DWORD
	v_bfrev_b32_e32 v34, 1
	s_and_saveexec_b64 s[6:7], s[10:11]
	s_cbranch_execz .LBB655_46
; %bb.43:                               ;   in Loop: Header=BB655_17 Depth=1
	v_and_b32_e32 v20, 0x7f, v18
	v_cmp_ne_u32_e32 vcc, s14, v20
	v_mov_b32_e32 v34, 0x7f800001
	s_and_saveexec_b64 s[10:11], vcc
	s_cbranch_execz .LBB655_45
; %bb.44:                               ;   in Loop: Header=BB655_17 Depth=1
	v_and_b32_e32 v34, 7, v18
	v_ffbh_u32_e32 v40, v34
	v_min_u32_e32 v40, 32, v40
	v_subrev_u32_e32 v42, 28, v40
	v_lshlrev_b64 v[54:55], v42, v[18:19]
	v_lshrrev_b32_e32 v38, 3, v20
	v_sub_u32_e32 v40, 29, v40
	v_and_b32_e32 v42, 7, v54
	v_cmp_gt_u32_e32 vcc, 8, v20
	v_cndmask_b32_e32 v20, v38, v40, vcc
	v_cndmask_b32_e32 v34, v34, v42, vcc
	v_lshlrev_b32_e32 v38, 24, v18
	v_lshlrev_b32_e32 v34, 20, v34
	v_and_b32_e32 v38, 0x80000000, v38
	v_lshl_add_u32 v20, v20, 23, v37
	v_or3_b32 v34, v38, v20, v34
.LBB655_45:                             ;   in Loop: Header=BB655_17 Depth=1
	s_or_b64 exec, exec, s[10:11]
.LBB655_46:                             ;   in Loop: Header=BB655_17 Depth=1
	s_or_b64 exec, exec, s[6:7]
.LBB655_47:                             ;   in Loop: Header=BB655_17 Depth=1
	s_or_b64 exec, exec, s[4:5]
	v_lshrrev_b16_e32 v20, 8, v18
	v_cmp_ne_u16_e32 vcc, 0, v20
	s_and_saveexec_b64 s[4:5], vcc
	s_cbranch_execz .LBB655_53
; %bb.48:                               ;   in Loop: Header=BB655_17 Depth=1
	v_cmp_ne_u16_e32 vcc, s13, v20
	v_bfrev_b32_e32 v30, 1
	s_and_saveexec_b64 s[6:7], vcc
	s_cbranch_execz .LBB655_52
; %bb.49:                               ;   in Loop: Header=BB655_17 Depth=1
	v_and_b32_e32 v38, 0x7f, v20
	v_cmp_ne_u32_e32 vcc, s14, v38
	v_mov_b32_e32 v30, 0x7f800001
	s_and_saveexec_b64 s[10:11], vcc
	s_cbranch_execz .LBB655_51
; %bb.50:                               ;   in Loop: Header=BB655_17 Depth=1
	v_and_b32_e32 v30, 7, v20
	v_ffbh_u32_e32 v42, v30
	v_min_u32_e32 v42, 32, v42
	v_subrev_u32_e32 v44, 28, v42
	v_lshlrev_b64 v[54:55], v44, v[20:21]
	v_lshrrev_b32_e32 v40, 3, v38
	v_sub_u32_e32 v20, 29, v42
	v_and_b32_e32 v42, 7, v54
	v_cmp_gt_u32_e32 vcc, 8, v38
	v_cndmask_b32_e32 v20, v40, v20, vcc
	v_cndmask_b32_e32 v30, v30, v42, vcc
	v_lshlrev_b32_e32 v38, 16, v18
	v_lshlrev_b32_e32 v30, 20, v30
	v_and_b32_e32 v38, 0x80000000, v38
	v_lshl_add_u32 v20, v20, 23, v37
	v_or3_b32 v30, v38, v20, v30
.LBB655_51:                             ;   in Loop: Header=BB655_17 Depth=1
	s_or_b64 exec, exec, s[10:11]
.LBB655_52:                             ;   in Loop: Header=BB655_17 Depth=1
	s_or_b64 exec, exec, s[6:7]
.LBB655_53:                             ;   in Loop: Header=BB655_17 Depth=1
	s_or_b64 exec, exec, s[4:5]
	v_lshrrev_b32_e32 v20, 16, v18
	v_cmp_ne_u16_sdwa s[6:7], v20, v33 src0_sel:BYTE_0 src1_sel:DWORD
	v_mov_b32_e32 v40, 0
	v_mov_b32_e32 v38, 0
	s_and_saveexec_b64 s[4:5], s[6:7]
	s_cbranch_execz .LBB655_59
; %bb.54:                               ;   in Loop: Header=BB655_17 Depth=1
	v_cmp_ne_u16_sdwa s[10:11], v20, s13 src0_sel:BYTE_0 src1_sel:DWORD
	v_bfrev_b32_e32 v38, 1
	s_and_saveexec_b64 s[6:7], s[10:11]
	s_cbranch_execz .LBB655_58
; %bb.55:                               ;   in Loop: Header=BB655_17 Depth=1
	v_bfe_u32 v42, v18, 16, 7
	v_cmp_ne_u32_e32 vcc, s14, v42
	v_mov_b32_e32 v38, 0x7f800001
	s_and_saveexec_b64 s[10:11], vcc
	s_cbranch_execz .LBB655_57
; %bb.56:                               ;   in Loop: Header=BB655_17 Depth=1
	v_and_b32_e32 v38, 7, v20
	v_ffbh_u32_e32 v53, v38
	v_min_u32_e32 v53, 32, v53
	v_subrev_u32_e32 v54, 28, v53
	v_lshlrev_b64 v[54:55], v54, v[20:21]
	v_lshrrev_b32_e32 v44, 3, v42
	v_sub_u32_e32 v53, 29, v53
	v_and_b32_e32 v54, 7, v54
	v_cmp_gt_u32_e32 vcc, 8, v42
	v_cndmask_b32_e32 v42, v44, v53, vcc
	v_cndmask_b32_e32 v38, v38, v54, vcc
	v_lshlrev_b32_e32 v20, 24, v20
	v_lshlrev_b32_e32 v38, 20, v38
	v_and_b32_e32 v20, 0x80000000, v20
	v_lshl_add_u32 v42, v42, 23, v37
	v_or3_b32 v38, v20, v42, v38
.LBB655_57:                             ;   in Loop: Header=BB655_17 Depth=1
	s_or_b64 exec, exec, s[10:11]
.LBB655_58:                             ;   in Loop: Header=BB655_17 Depth=1
	s_or_b64 exec, exec, s[6:7]
.LBB655_59:                             ;   in Loop: Header=BB655_17 Depth=1
	s_or_b64 exec, exec, s[4:5]
	v_cmp_lt_u32_e32 vcc, s15, v18
	s_and_saveexec_b64 s[4:5], vcc
	s_cbranch_execz .LBB655_65
; %bb.60:                               ;   in Loop: Header=BB655_17 Depth=1
	v_lshrrev_b32_e32 v20, 24, v18
	v_cmp_ne_u32_e32 vcc, s13, v20
	v_bfrev_b32_e32 v40, 1
	s_and_saveexec_b64 s[6:7], vcc
	s_cbranch_execz .LBB655_64
; %bb.61:                               ;   in Loop: Header=BB655_17 Depth=1
	v_bfe_u32 v18, v18, 24, 7
	v_cmp_ne_u32_e32 vcc, s14, v18
	v_mov_b32_e32 v40, 0x7f800001
	s_and_saveexec_b64 s[10:11], vcc
	s_cbranch_execz .LBB655_63
; %bb.62:                               ;   in Loop: Header=BB655_17 Depth=1
	v_and_b32_e32 v40, 7, v20
	v_ffbh_u32_e32 v44, v40
	v_min_u32_e32 v44, 32, v44
	v_subrev_u32_e32 v53, 28, v44
	v_lshlrev_b64 v[54:55], v53, v[20:21]
	v_lshrrev_b32_e32 v42, 3, v18
	v_sub_u32_e32 v44, 29, v44
	v_and_b32_e32 v53, 7, v54
	v_cmp_gt_u32_e32 vcc, 8, v18
	v_cndmask_b32_e32 v18, v42, v44, vcc
	v_cndmask_b32_e32 v40, v40, v53, vcc
	v_lshlrev_b32_e32 v20, 24, v20
	v_lshlrev_b32_e32 v40, 20, v40
	v_and_b32_e32 v20, 0x80000000, v20
	v_lshl_add_u32 v18, v18, 23, v37
	v_or3_b32 v40, v20, v18, v40
.LBB655_63:                             ;   in Loop: Header=BB655_17 Depth=1
	s_or_b64 exec, exec, s[10:11]
.LBB655_64:                             ;   in Loop: Header=BB655_17 Depth=1
	s_or_b64 exec, exec, s[6:7]
.LBB655_65:                             ;   in Loop: Header=BB655_17 Depth=1
	s_or_b64 exec, exec, s[4:5]
	v_cvt_pkrtz_f16_f32 v18, v21, v19
	v_cvt_pkrtz_f16_f32 v19, v23, v32
	;; [unrolled: 1-line block ×4, first 2 shown]
	v_mov_b32_e32 v32, 0
	v_mfma_f32_16x16x16f16 v[18:21], v[18:19], v[2:3], 0
	s_waitcnt vmcnt(1)
	v_cmp_ne_u16_sdwa s[6:7], v28, v33 src0_sel:BYTE_0 src1_sel:DWORD
	v_mov_b32_e32 v34, 0
	v_mfma_f32_16x16x16f16 v[18:21], v[54:55], v[4:5], v[18:21]
	s_and_saveexec_b64 s[4:5], s[6:7]
	s_cbranch_execz .LBB655_71
; %bb.66:                               ;   in Loop: Header=BB655_17 Depth=1
	v_cmp_ne_u16_sdwa s[10:11], v28, s13 src0_sel:BYTE_0 src1_sel:DWORD
	v_bfrev_b32_e32 v34, 1
	s_and_saveexec_b64 s[6:7], s[10:11]
	s_cbranch_execz .LBB655_70
; %bb.67:                               ;   in Loop: Header=BB655_17 Depth=1
	v_and_b32_e32 v23, 0x7f, v28
	v_cmp_ne_u32_e32 vcc, s14, v23
	v_mov_b32_e32 v34, 0x7f800001
	s_and_saveexec_b64 s[10:11], vcc
	s_cbranch_execz .LBB655_69
; %bb.68:                               ;   in Loop: Header=BB655_17 Depth=1
	v_and_b32_e32 v30, 7, v28
	v_ffbh_u32_e32 v38, v30
	v_min_u32_e32 v38, 32, v38
	v_subrev_u32_e32 v40, 28, v38
	v_lshlrev_b64 v[54:55], v40, v[28:29]
	v_lshrrev_b32_e32 v34, 3, v23
	v_sub_u32_e32 v38, 29, v38
	v_and_b32_e32 v40, 7, v54
	v_cmp_gt_u32_e32 vcc, 8, v23
	v_cndmask_b32_e32 v23, v34, v38, vcc
	v_cndmask_b32_e32 v30, v30, v40, vcc
	v_lshlrev_b32_e32 v34, 24, v28
	v_lshlrev_b32_e32 v30, 20, v30
	v_and_b32_e32 v34, 0x80000000, v34
	v_lshl_add_u32 v23, v23, 23, v37
	v_or3_b32 v34, v34, v23, v30
.LBB655_69:                             ;   in Loop: Header=BB655_17 Depth=1
	s_or_b64 exec, exec, s[10:11]
.LBB655_70:                             ;   in Loop: Header=BB655_17 Depth=1
	s_or_b64 exec, exec, s[6:7]
.LBB655_71:                             ;   in Loop: Header=BB655_17 Depth=1
	s_or_b64 exec, exec, s[4:5]
	v_lshrrev_b16_e32 v30, 8, v28
	v_cmp_ne_u16_e32 vcc, 0, v30
	v_mov_b32_e32 v38, 0
	s_and_saveexec_b64 s[4:5], vcc
	s_cbranch_execz .LBB655_77
; %bb.72:                               ;   in Loop: Header=BB655_17 Depth=1
	v_cmp_ne_u16_e32 vcc, s13, v30
	v_bfrev_b32_e32 v38, 1
	s_and_saveexec_b64 s[6:7], vcc
	s_cbranch_execz .LBB655_76
; %bb.73:                               ;   in Loop: Header=BB655_17 Depth=1
	v_and_b32_e32 v23, 0x7f, v30
	v_cmp_ne_u32_e32 vcc, s14, v23
	v_mov_b32_e32 v38, 0x7f800001
	s_and_saveexec_b64 s[10:11], vcc
	s_cbranch_execz .LBB655_75
; %bb.74:                               ;   in Loop: Header=BB655_17 Depth=1
	v_and_b32_e32 v38, 7, v30
	v_ffbh_u32_e32 v42, v38
	v_min_u32_e32 v42, 32, v42
	v_subrev_u32_e32 v44, 28, v42
	v_lshlrev_b64 v[54:55], v44, v[30:31]
	v_lshrrev_b32_e32 v40, 3, v23
	v_sub_u32_e32 v30, 29, v42
	v_and_b32_e32 v42, 7, v54
	v_cmp_gt_u32_e32 vcc, 8, v23
	v_cndmask_b32_e32 v23, v40, v30, vcc
	v_cndmask_b32_e32 v30, v38, v42, vcc
	v_lshlrev_b32_e32 v38, 16, v28
	v_lshlrev_b32_e32 v30, 20, v30
	v_and_b32_e32 v38, 0x80000000, v38
	v_lshl_add_u32 v23, v23, 23, v37
	v_or3_b32 v38, v38, v23, v30
.LBB655_75:                             ;   in Loop: Header=BB655_17 Depth=1
	s_or_b64 exec, exec, s[10:11]
.LBB655_76:                             ;   in Loop: Header=BB655_17 Depth=1
	s_or_b64 exec, exec, s[6:7]
.LBB655_77:                             ;   in Loop: Header=BB655_17 Depth=1
	s_or_b64 exec, exec, s[4:5]
	v_lshrrev_b32_e32 v30, 16, v28
	v_cmp_ne_u16_sdwa s[6:7], v30, v33 src0_sel:BYTE_0 src1_sel:DWORD
	s_and_saveexec_b64 s[4:5], s[6:7]
	s_cbranch_execz .LBB655_83
; %bb.78:                               ;   in Loop: Header=BB655_17 Depth=1
	v_cmp_ne_u16_sdwa s[10:11], v30, s13 src0_sel:BYTE_0 src1_sel:DWORD
	v_bfrev_b32_e32 v32, 1
	s_and_saveexec_b64 s[6:7], s[10:11]
	s_cbranch_execz .LBB655_82
; %bb.79:                               ;   in Loop: Header=BB655_17 Depth=1
	v_bfe_u32 v23, v28, 16, 7
	v_cmp_ne_u32_e32 vcc, s14, v23
	v_mov_b32_e32 v32, 0x7f800001
	s_and_saveexec_b64 s[10:11], vcc
	s_cbranch_execz .LBB655_81
; %bb.80:                               ;   in Loop: Header=BB655_17 Depth=1
	v_and_b32_e32 v32, 7, v30
	v_ffbh_u32_e32 v42, v32
	v_min_u32_e32 v42, 32, v42
	v_subrev_u32_e32 v44, 28, v42
	v_lshlrev_b64 v[54:55], v44, v[30:31]
	v_lshrrev_b32_e32 v40, 3, v23
	v_sub_u32_e32 v42, 29, v42
	v_and_b32_e32 v44, 7, v54
	v_cmp_gt_u32_e32 vcc, 8, v23
	v_cndmask_b32_e32 v23, v40, v42, vcc
	v_cndmask_b32_e32 v32, v32, v44, vcc
	v_lshlrev_b32_e32 v30, 24, v30
	v_lshlrev_b32_e32 v32, 20, v32
	v_and_b32_e32 v30, 0x80000000, v30
	v_lshl_add_u32 v23, v23, 23, v37
	v_or3_b32 v32, v30, v23, v32
.LBB655_81:                             ;   in Loop: Header=BB655_17 Depth=1
	s_or_b64 exec, exec, s[10:11]
.LBB655_82:                             ;   in Loop: Header=BB655_17 Depth=1
	s_or_b64 exec, exec, s[6:7]
.LBB655_83:                             ;   in Loop: Header=BB655_17 Depth=1
	s_or_b64 exec, exec, s[4:5]
	v_cmp_lt_u32_e32 vcc, s15, v28
	v_mov_b32_e32 v40, 0
	v_mov_b32_e32 v42, 0
	s_and_saveexec_b64 s[4:5], vcc
	s_cbranch_execz .LBB655_89
; %bb.84:                               ;   in Loop: Header=BB655_17 Depth=1
	v_lshrrev_b32_e32 v30, 24, v28
	v_cmp_ne_u32_e32 vcc, s13, v30
	v_bfrev_b32_e32 v42, 1
	s_and_saveexec_b64 s[6:7], vcc
	s_cbranch_execz .LBB655_88
; %bb.85:                               ;   in Loop: Header=BB655_17 Depth=1
	v_bfe_u32 v23, v28, 24, 7
	v_cmp_ne_u32_e32 vcc, s14, v23
	v_mov_b32_e32 v42, 0x7f800001
	s_and_saveexec_b64 s[10:11], vcc
	s_cbranch_execz .LBB655_87
; %bb.86:                               ;   in Loop: Header=BB655_17 Depth=1
	v_and_b32_e32 v28, 7, v30
	v_ffbh_u32_e32 v44, v28
	v_min_u32_e32 v44, 32, v44
	v_subrev_u32_e32 v53, 28, v44
	v_lshlrev_b64 v[54:55], v53, v[30:31]
	v_lshrrev_b32_e32 v42, 3, v23
	v_sub_u32_e32 v44, 29, v44
	v_and_b32_e32 v53, 7, v54
	v_cmp_gt_u32_e32 vcc, 8, v23
	v_cndmask_b32_e32 v23, v42, v44, vcc
	v_cndmask_b32_e32 v28, v28, v53, vcc
	v_lshlrev_b32_e32 v30, 24, v30
	v_lshlrev_b32_e32 v28, 20, v28
	v_and_b32_e32 v30, 0x80000000, v30
	v_lshl_add_u32 v23, v23, 23, v37
	v_or3_b32 v42, v30, v23, v28
.LBB655_87:                             ;   in Loop: Header=BB655_17 Depth=1
	s_or_b64 exec, exec, s[10:11]
.LBB655_88:                             ;   in Loop: Header=BB655_17 Depth=1
	s_or_b64 exec, exec, s[6:7]
.LBB655_89:                             ;   in Loop: Header=BB655_17 Depth=1
	s_or_b64 exec, exec, s[4:5]
	s_waitcnt vmcnt(0)
	v_cmp_ne_u16_sdwa s[6:7], v26, v33 src0_sel:BYTE_0 src1_sel:DWORD
	s_and_saveexec_b64 s[4:5], s[6:7]
	s_cbranch_execz .LBB655_95
; %bb.90:                               ;   in Loop: Header=BB655_17 Depth=1
	v_cmp_ne_u16_sdwa s[10:11], v26, s13 src0_sel:BYTE_0 src1_sel:DWORD
	v_bfrev_b32_e32 v40, 1
	s_and_saveexec_b64 s[6:7], s[10:11]
	s_cbranch_execz .LBB655_94
; %bb.91:                               ;   in Loop: Header=BB655_17 Depth=1
	v_and_b32_e32 v23, 0x7f, v26
	v_cmp_ne_u32_e32 vcc, s14, v23
	v_mov_b32_e32 v40, 0x7f800001
	s_and_saveexec_b64 s[10:11], vcc
	s_cbranch_execz .LBB655_93
; %bb.92:                               ;   in Loop: Header=BB655_17 Depth=1
	v_and_b32_e32 v28, 7, v26
	v_ffbh_u32_e32 v40, v28
	v_min_u32_e32 v40, 32, v40
	v_subrev_u32_e32 v44, 28, v40
	v_lshlrev_b64 v[54:55], v44, v[26:27]
	v_lshrrev_b32_e32 v30, 3, v23
	v_sub_u32_e32 v40, 29, v40
	v_and_b32_e32 v44, 7, v54
	v_cmp_gt_u32_e32 vcc, 8, v23
	v_cndmask_b32_e32 v23, v30, v40, vcc
	v_cndmask_b32_e32 v28, v28, v44, vcc
	v_lshlrev_b32_e32 v30, 24, v26
	v_lshlrev_b32_e32 v28, 20, v28
	v_and_b32_e32 v30, 0x80000000, v30
	v_lshl_add_u32 v23, v23, 23, v37
	v_or3_b32 v40, v30, v23, v28
.LBB655_93:                             ;   in Loop: Header=BB655_17 Depth=1
	s_or_b64 exec, exec, s[10:11]
.LBB655_94:                             ;   in Loop: Header=BB655_17 Depth=1
	s_or_b64 exec, exec, s[6:7]
.LBB655_95:                             ;   in Loop: Header=BB655_17 Depth=1
	s_or_b64 exec, exec, s[4:5]
	v_lshrrev_b16_e32 v28, 8, v26
	v_cmp_ne_u16_e32 vcc, 0, v28
	v_mov_b32_e32 v44, 0
	v_mov_b32_e32 v53, 0
	s_and_saveexec_b64 s[4:5], vcc
	s_cbranch_execz .LBB655_101
; %bb.96:                               ;   in Loop: Header=BB655_17 Depth=1
	v_cmp_ne_u16_e32 vcc, s13, v28
	v_bfrev_b32_e32 v53, 1
	s_and_saveexec_b64 s[6:7], vcc
	s_cbranch_execz .LBB655_100
; %bb.97:                               ;   in Loop: Header=BB655_17 Depth=1
	v_and_b32_e32 v23, 0x7f, v28
	v_cmp_ne_u32_e32 vcc, s14, v23
	v_mov_b32_e32 v53, 0x7f800001
	s_and_saveexec_b64 s[10:11], vcc
	s_cbranch_execz .LBB655_99
; %bb.98:                               ;   in Loop: Header=BB655_17 Depth=1
	v_and_b32_e32 v30, 7, v28
	v_ffbh_u32_e32 v54, v30
	v_min_u32_e32 v56, 32, v54
	v_subrev_u32_e32 v54, 28, v56
	v_lshlrev_b64 v[54:55], v54, v[28:29]
	v_lshrrev_b32_e32 v53, 3, v23
	v_sub_u32_e32 v28, 29, v56
	v_and_b32_e32 v54, 7, v54
	v_cmp_gt_u32_e32 vcc, 8, v23
	v_cndmask_b32_e32 v23, v53, v28, vcc
	v_cndmask_b32_e32 v28, v30, v54, vcc
	v_lshlrev_b32_e32 v30, 16, v26
	v_lshlrev_b32_e32 v28, 20, v28
	v_and_b32_e32 v30, 0x80000000, v30
	v_lshl_add_u32 v23, v23, 23, v37
	v_or3_b32 v53, v30, v23, v28
.LBB655_99:                             ;   in Loop: Header=BB655_17 Depth=1
	s_or_b64 exec, exec, s[10:11]
.LBB655_100:                            ;   in Loop: Header=BB655_17 Depth=1
	s_or_b64 exec, exec, s[6:7]
.LBB655_101:                            ;   in Loop: Header=BB655_17 Depth=1
	s_or_b64 exec, exec, s[4:5]
	v_lshrrev_b32_e32 v28, 16, v26
	v_cmp_ne_u16_sdwa s[6:7], v28, v33 src0_sel:BYTE_0 src1_sel:DWORD
	s_and_saveexec_b64 s[4:5], s[6:7]
	s_cbranch_execz .LBB655_107
; %bb.102:                              ;   in Loop: Header=BB655_17 Depth=1
	v_cmp_ne_u16_sdwa s[10:11], v28, s13 src0_sel:BYTE_0 src1_sel:DWORD
	v_bfrev_b32_e32 v44, 1
	s_and_saveexec_b64 s[6:7], s[10:11]
	s_cbranch_execz .LBB655_106
; %bb.103:                              ;   in Loop: Header=BB655_17 Depth=1
	v_bfe_u32 v23, v26, 16, 7
	v_cmp_ne_u32_e32 vcc, s14, v23
	v_mov_b32_e32 v44, 0x7f800001
	s_and_saveexec_b64 s[10:11], vcc
	s_cbranch_execz .LBB655_105
; %bb.104:                              ;   in Loop: Header=BB655_17 Depth=1
	v_and_b32_e32 v30, 7, v28
	v_ffbh_u32_e32 v54, v30
	v_min_u32_e32 v56, 32, v54
	v_subrev_u32_e32 v54, 28, v56
	v_lshlrev_b64 v[54:55], v54, v[28:29]
	v_lshrrev_b32_e32 v44, 3, v23
	v_sub_u32_e32 v55, 29, v56
	v_and_b32_e32 v54, 7, v54
	v_cmp_gt_u32_e32 vcc, 8, v23
	v_cndmask_b32_e32 v23, v44, v55, vcc
	v_cndmask_b32_e32 v30, v30, v54, vcc
	v_lshlrev_b32_e32 v28, 24, v28
	v_lshlrev_b32_e32 v30, 20, v30
	v_and_b32_e32 v28, 0x80000000, v28
	v_lshl_add_u32 v23, v23, 23, v37
	v_or3_b32 v44, v28, v23, v30
.LBB655_105:                            ;   in Loop: Header=BB655_17 Depth=1
	s_or_b64 exec, exec, s[10:11]
.LBB655_106:                            ;   in Loop: Header=BB655_17 Depth=1
	s_or_b64 exec, exec, s[6:7]
.LBB655_107:                            ;   in Loop: Header=BB655_17 Depth=1
	s_or_b64 exec, exec, s[4:5]
	v_cmp_lt_u32_e32 vcc, s15, v26
	v_mov_b32_e32 v23, 0
	v_mov_b32_e32 v54, 0
	s_and_saveexec_b64 s[4:5], vcc
	s_cbranch_execz .LBB655_113
; %bb.108:                              ;   in Loop: Header=BB655_17 Depth=1
	v_lshrrev_b32_e32 v28, 24, v26
	v_cmp_ne_u32_e32 vcc, s13, v28
	v_bfrev_b32_e32 v54, 1
	s_and_saveexec_b64 s[6:7], vcc
	s_cbranch_execz .LBB655_112
; %bb.109:                              ;   in Loop: Header=BB655_17 Depth=1
	v_bfe_u32 v26, v26, 24, 7
	v_cmp_ne_u32_e32 vcc, s14, v26
	v_mov_b32_e32 v54, 0x7f800001
	s_and_saveexec_b64 s[10:11], vcc
	s_cbranch_execz .LBB655_111
; %bb.110:                              ;   in Loop: Header=BB655_17 Depth=1
	v_and_b32_e32 v30, 7, v28
	v_ffbh_u32_e32 v54, v30
	v_min_u32_e32 v57, 32, v54
	v_subrev_u32_e32 v54, 28, v57
	v_lshlrev_b64 v[54:55], v54, v[28:29]
	v_lshrrev_b32_e32 v56, 3, v26
	v_sub_u32_e32 v55, 29, v57
	v_and_b32_e32 v54, 7, v54
	v_cmp_gt_u32_e32 vcc, 8, v26
	v_cndmask_b32_e32 v26, v56, v55, vcc
	v_cndmask_b32_e32 v30, v30, v54, vcc
	v_lshlrev_b32_e32 v28, 24, v28
	v_lshlrev_b32_e32 v30, 20, v30
	v_and_b32_e32 v28, 0x80000000, v28
	v_lshl_add_u32 v26, v26, 23, v37
	v_or3_b32 v54, v28, v26, v30
.LBB655_111:                            ;   in Loop: Header=BB655_17 Depth=1
	s_or_b64 exec, exec, s[10:11]
.LBB655_112:                            ;   in Loop: Header=BB655_17 Depth=1
	s_or_b64 exec, exec, s[6:7]
.LBB655_113:                            ;   in Loop: Header=BB655_17 Depth=1
	s_or_b64 exec, exec, s[4:5]
	v_cvt_pkrtz_f16_f32 v57, v32, v42
	buffer_load_dword v32, v35, s[0:3], 0 offen offset:16
	buffer_load_dword v30, v35, s[0:3], 0 offen offset:20
	;; [unrolled: 1-line block ×4, first 2 shown]
	v_cvt_pkrtz_f16_f32 v56, v34, v38
	s_waitcnt vmcnt(3)
	v_cmp_ne_u16_sdwa s[6:7], v32, v33 src0_sel:BYTE_0 src1_sel:DWORD
	v_mfma_f32_16x16x16f16 v[18:21], v[56:57], v[6:7], v[18:21]
	v_cvt_pkrtz_f16_f32 v56, v40, v53
	v_cvt_pkrtz_f16_f32 v57, v44, v54
	s_nop 1
	v_mfma_f32_16x16x16f16 v[18:21], v[56:57], v[8:9], v[18:21]
	s_and_saveexec_b64 s[4:5], s[6:7]
	s_cbranch_execz .LBB655_119
; %bb.114:                              ;   in Loop: Header=BB655_17 Depth=1
	v_cmp_ne_u16_sdwa s[10:11], v32, s13 src0_sel:BYTE_0 src1_sel:DWORD
	v_bfrev_b32_e32 v23, 1
	s_and_saveexec_b64 s[6:7], s[10:11]
	s_cbranch_execz .LBB655_118
; %bb.115:                              ;   in Loop: Header=BB655_17 Depth=1
	v_and_b32_e32 v34, 0x7f, v32
	v_cmp_ne_u32_e32 vcc, s14, v34
	v_mov_b32_e32 v23, 0x7f800001
	s_and_saveexec_b64 s[10:11], vcc
	s_cbranch_execz .LBB655_117
; %bb.116:                              ;   in Loop: Header=BB655_17 Depth=1
	v_and_b32_e32 v23, 7, v32
	v_ffbh_u32_e32 v40, v23
	v_min_u32_e32 v40, 32, v40
	v_subrev_u32_e32 v42, 28, v40
	v_lshlrev_b64 v[54:55], v42, v[32:33]
	v_lshrrev_b32_e32 v38, 3, v34
	v_sub_u32_e32 v40, 29, v40
	v_and_b32_e32 v42, 7, v54
	v_cmp_gt_u32_e32 vcc, 8, v34
	v_cndmask_b32_e32 v34, v38, v40, vcc
	v_cndmask_b32_e32 v23, v23, v42, vcc
	v_lshlrev_b32_e32 v38, 24, v32
	v_lshlrev_b32_e32 v23, 20, v23
	v_and_b32_e32 v38, 0x80000000, v38
	v_lshl_add_u32 v34, v34, 23, v37
	v_or3_b32 v23, v38, v34, v23
.LBB655_117:                            ;   in Loop: Header=BB655_17 Depth=1
	s_or_b64 exec, exec, s[10:11]
.LBB655_118:                            ;   in Loop: Header=BB655_17 Depth=1
	s_or_b64 exec, exec, s[6:7]
.LBB655_119:                            ;   in Loop: Header=BB655_17 Depth=1
	s_or_b64 exec, exec, s[4:5]
	v_lshrrev_b16_e32 v34, 8, v32
	v_cmp_ne_u16_e32 vcc, 0, v34
	v_mov_b32_e32 v38, 0
	v_mov_b32_e32 v40, 0
	s_and_saveexec_b64 s[4:5], vcc
	s_cbranch_execz .LBB655_125
; %bb.120:                              ;   in Loop: Header=BB655_17 Depth=1
	v_cmp_ne_u16_e32 vcc, s13, v34
	v_bfrev_b32_e32 v40, 1
	s_and_saveexec_b64 s[6:7], vcc
	s_cbranch_execz .LBB655_124
; %bb.121:                              ;   in Loop: Header=BB655_17 Depth=1
	v_and_b32_e32 v42, 0x7f, v34
	v_cmp_ne_u32_e32 vcc, s14, v42
	v_mov_b32_e32 v40, 0x7f800001
	s_and_saveexec_b64 s[10:11], vcc
	s_cbranch_execz .LBB655_123
; %bb.122:                              ;   in Loop: Header=BB655_17 Depth=1
	v_and_b32_e32 v40, 7, v34
	v_ffbh_u32_e32 v53, v40
	v_min_u32_e32 v53, 32, v53
	v_subrev_u32_e32 v54, 28, v53
	v_lshlrev_b64 v[54:55], v54, v[34:35]
	v_lshrrev_b32_e32 v44, 3, v42
	v_sub_u32_e32 v34, 29, v53
	v_and_b32_e32 v53, 7, v54
	v_cmp_gt_u32_e32 vcc, 8, v42
	v_cndmask_b32_e32 v34, v44, v34, vcc
	v_cndmask_b32_e32 v40, v40, v53, vcc
	v_lshlrev_b32_e32 v42, 16, v32
	v_lshlrev_b32_e32 v40, 20, v40
	v_and_b32_e32 v42, 0x80000000, v42
	v_lshl_add_u32 v34, v34, 23, v37
	v_or3_b32 v40, v42, v34, v40
.LBB655_123:                            ;   in Loop: Header=BB655_17 Depth=1
	s_or_b64 exec, exec, s[10:11]
.LBB655_124:                            ;   in Loop: Header=BB655_17 Depth=1
	s_or_b64 exec, exec, s[6:7]
.LBB655_125:                            ;   in Loop: Header=BB655_17 Depth=1
	s_or_b64 exec, exec, s[4:5]
	v_lshrrev_b32_e32 v34, 16, v32
	v_cmp_ne_u16_sdwa s[6:7], v34, v33 src0_sel:BYTE_0 src1_sel:DWORD
	s_and_saveexec_b64 s[4:5], s[6:7]
	s_cbranch_execz .LBB655_131
; %bb.126:                              ;   in Loop: Header=BB655_17 Depth=1
	v_cmp_ne_u16_sdwa s[10:11], v34, s13 src0_sel:BYTE_0 src1_sel:DWORD
	v_bfrev_b32_e32 v38, 1
	s_and_saveexec_b64 s[6:7], s[10:11]
	s_cbranch_execz .LBB655_130
; %bb.127:                              ;   in Loop: Header=BB655_17 Depth=1
	v_bfe_u32 v42, v32, 16, 7
	v_cmp_ne_u32_e32 vcc, s14, v42
	v_mov_b32_e32 v38, 0x7f800001
	s_and_saveexec_b64 s[10:11], vcc
	s_cbranch_execz .LBB655_129
; %bb.128:                              ;   in Loop: Header=BB655_17 Depth=1
	v_and_b32_e32 v38, 7, v34
	v_ffbh_u32_e32 v53, v38
	v_min_u32_e32 v53, 32, v53
	v_subrev_u32_e32 v54, 28, v53
	v_lshlrev_b64 v[54:55], v54, v[34:35]
	v_lshrrev_b32_e32 v44, 3, v42
	v_sub_u32_e32 v53, 29, v53
	v_and_b32_e32 v54, 7, v54
	v_cmp_gt_u32_e32 vcc, 8, v42
	v_cndmask_b32_e32 v42, v44, v53, vcc
	v_cndmask_b32_e32 v38, v38, v54, vcc
	v_lshlrev_b32_e32 v34, 24, v34
	v_lshlrev_b32_e32 v38, 20, v38
	v_and_b32_e32 v34, 0x80000000, v34
	v_lshl_add_u32 v42, v42, 23, v37
	v_or3_b32 v38, v34, v42, v38
.LBB655_129:                            ;   in Loop: Header=BB655_17 Depth=1
	s_or_b64 exec, exec, s[10:11]
.LBB655_130:                            ;   in Loop: Header=BB655_17 Depth=1
	s_or_b64 exec, exec, s[6:7]
.LBB655_131:                            ;   in Loop: Header=BB655_17 Depth=1
	s_or_b64 exec, exec, s[4:5]
	v_cmp_lt_u32_e32 vcc, s15, v32
	v_mov_b32_e32 v42, 0
	v_mov_b32_e32 v44, 0
	s_and_saveexec_b64 s[4:5], vcc
	s_cbranch_execz .LBB655_137
; %bb.132:                              ;   in Loop: Header=BB655_17 Depth=1
	v_lshrrev_b32_e32 v34, 24, v32
	v_cmp_ne_u32_e32 vcc, s13, v34
	v_bfrev_b32_e32 v44, 1
	s_and_saveexec_b64 s[6:7], vcc
	s_cbranch_execz .LBB655_136
; %bb.133:                              ;   in Loop: Header=BB655_17 Depth=1
	v_bfe_u32 v32, v32, 24, 7
	v_cmp_ne_u32_e32 vcc, s14, v32
	v_mov_b32_e32 v44, 0x7f800001
	s_and_saveexec_b64 s[10:11], vcc
	s_cbranch_execz .LBB655_135
; %bb.134:                              ;   in Loop: Header=BB655_17 Depth=1
	v_and_b32_e32 v44, 7, v34
	v_ffbh_u32_e32 v54, v44
	v_min_u32_e32 v56, 32, v54
	v_subrev_u32_e32 v54, 28, v56
	v_lshlrev_b64 v[54:55], v54, v[34:35]
	v_lshrrev_b32_e32 v53, 3, v32
	v_sub_u32_e32 v55, 29, v56
	v_and_b32_e32 v54, 7, v54
	v_cmp_gt_u32_e32 vcc, 8, v32
	v_cndmask_b32_e32 v32, v53, v55, vcc
	v_cndmask_b32_e32 v44, v44, v54, vcc
	v_lshlrev_b32_e32 v34, 24, v34
	v_lshlrev_b32_e32 v44, 20, v44
	v_and_b32_e32 v34, 0x80000000, v34
	v_lshl_add_u32 v32, v32, 23, v37
	v_or3_b32 v44, v34, v32, v44
.LBB655_135:                            ;   in Loop: Header=BB655_17 Depth=1
	s_or_b64 exec, exec, s[10:11]
.LBB655_136:                            ;   in Loop: Header=BB655_17 Depth=1
	s_or_b64 exec, exec, s[6:7]
.LBB655_137:                            ;   in Loop: Header=BB655_17 Depth=1
	s_or_b64 exec, exec, s[4:5]
	s_waitcnt vmcnt(2)
	v_cmp_ne_u16_sdwa s[6:7], v30, v33 src0_sel:BYTE_0 src1_sel:DWORD
	s_and_saveexec_b64 s[4:5], s[6:7]
	s_cbranch_execz .LBB655_143
; %bb.138:                              ;   in Loop: Header=BB655_17 Depth=1
	v_cmp_ne_u16_sdwa s[10:11], v30, s13 src0_sel:BYTE_0 src1_sel:DWORD
	v_bfrev_b32_e32 v42, 1
	s_and_saveexec_b64 s[6:7], s[10:11]
	s_cbranch_execz .LBB655_142
; %bb.139:                              ;   in Loop: Header=BB655_17 Depth=1
	v_and_b32_e32 v32, 0x7f, v30
	v_cmp_ne_u32_e32 vcc, s14, v32
	v_mov_b32_e32 v42, 0x7f800001
	s_and_saveexec_b64 s[10:11], vcc
	s_cbranch_execz .LBB655_141
; %bb.140:                              ;   in Loop: Header=BB655_17 Depth=1
	v_and_b32_e32 v34, 7, v30
	v_ffbh_u32_e32 v53, v34
	v_min_u32_e32 v53, 32, v53
	v_subrev_u32_e32 v54, 28, v53
	v_lshlrev_b64 v[54:55], v54, v[30:31]
	v_lshrrev_b32_e32 v42, 3, v32
	v_sub_u32_e32 v53, 29, v53
	v_and_b32_e32 v54, 7, v54
	v_cmp_gt_u32_e32 vcc, 8, v32
	v_cndmask_b32_e32 v32, v42, v53, vcc
	v_cndmask_b32_e32 v34, v34, v54, vcc
	v_lshlrev_b32_e32 v42, 24, v30
	v_lshlrev_b32_e32 v34, 20, v34
	v_and_b32_e32 v42, 0x80000000, v42
	v_lshl_add_u32 v32, v32, 23, v37
	v_or3_b32 v42, v42, v32, v34
.LBB655_141:                            ;   in Loop: Header=BB655_17 Depth=1
	s_or_b64 exec, exec, s[10:11]
.LBB655_142:                            ;   in Loop: Header=BB655_17 Depth=1
	s_or_b64 exec, exec, s[6:7]
.LBB655_143:                            ;   in Loop: Header=BB655_17 Depth=1
	s_or_b64 exec, exec, s[4:5]
	v_lshrrev_b16_e32 v32, 8, v30
	v_cmp_ne_u16_e32 vcc, 0, v32
	v_mov_b32_e32 v53, 0
	v_mov_b32_e32 v54, 0
	s_and_saveexec_b64 s[4:5], vcc
	s_cbranch_execz .LBB655_149
; %bb.144:                              ;   in Loop: Header=BB655_17 Depth=1
	v_cmp_ne_u16_e32 vcc, s13, v32
	v_bfrev_b32_e32 v54, 1
	s_and_saveexec_b64 s[6:7], vcc
	s_cbranch_execz .LBB655_148
; %bb.145:                              ;   in Loop: Header=BB655_17 Depth=1
	v_and_b32_e32 v34, 0x7f, v32
	v_cmp_ne_u32_e32 vcc, s14, v34
	v_mov_b32_e32 v54, 0x7f800001
	s_and_saveexec_b64 s[10:11], vcc
	s_cbranch_execz .LBB655_147
; %bb.146:                              ;   in Loop: Header=BB655_17 Depth=1
	v_and_b32_e32 v56, 7, v32
	v_ffbh_u32_e32 v54, v56
	v_min_u32_e32 v58, 32, v54
	v_subrev_u32_e32 v54, 28, v58
	v_lshlrev_b64 v[54:55], v54, v[32:33]
	v_lshrrev_b32_e32 v57, 3, v34
	v_sub_u32_e32 v32, 29, v58
	v_and_b32_e32 v54, 7, v54
	v_cmp_gt_u32_e32 vcc, 8, v34
	v_cndmask_b32_e32 v32, v57, v32, vcc
	v_cndmask_b32_e32 v34, v56, v54, vcc
	v_lshlrev_b32_e32 v54, 16, v30
	v_lshlrev_b32_e32 v34, 20, v34
	v_and_b32_e32 v54, 0x80000000, v54
	v_lshl_add_u32 v32, v32, 23, v37
	v_or3_b32 v54, v54, v32, v34
.LBB655_147:                            ;   in Loop: Header=BB655_17 Depth=1
	s_or_b64 exec, exec, s[10:11]
.LBB655_148:                            ;   in Loop: Header=BB655_17 Depth=1
	s_or_b64 exec, exec, s[6:7]
.LBB655_149:                            ;   in Loop: Header=BB655_17 Depth=1
	s_or_b64 exec, exec, s[4:5]
	v_lshrrev_b32_e32 v32, 16, v30
	v_cmp_ne_u16_sdwa s[6:7], v32, v33 src0_sel:BYTE_0 src1_sel:DWORD
	s_and_saveexec_b64 s[4:5], s[6:7]
	s_cbranch_execz .LBB655_155
; %bb.150:                              ;   in Loop: Header=BB655_17 Depth=1
	v_cmp_ne_u16_sdwa s[10:11], v32, s13 src0_sel:BYTE_0 src1_sel:DWORD
	v_bfrev_b32_e32 v53, 1
	s_and_saveexec_b64 s[6:7], s[10:11]
	s_cbranch_execz .LBB655_154
; %bb.151:                              ;   in Loop: Header=BB655_17 Depth=1
	v_bfe_u32 v34, v30, 16, 7
	v_cmp_ne_u32_e32 vcc, s14, v34
	v_mov_b32_e32 v53, 0x7f800001
	s_and_saveexec_b64 s[10:11], vcc
	s_cbranch_execz .LBB655_153
; %bb.152:                              ;   in Loop: Header=BB655_17 Depth=1
	v_and_b32_e32 v53, 7, v32
	v_ffbh_u32_e32 v56, v53
	v_min_u32_e32 v58, 32, v56
	v_subrev_u32_e32 v56, 28, v58
	v_lshlrev_b64 v[56:57], v56, v[32:33]
	v_lshrrev_b32_e32 v55, 3, v34
	v_sub_u32_e32 v57, 29, v58
	v_and_b32_e32 v56, 7, v56
	v_cmp_gt_u32_e32 vcc, 8, v34
	v_cndmask_b32_e32 v34, v55, v57, vcc
	v_cndmask_b32_e32 v53, v53, v56, vcc
	v_lshlrev_b32_e32 v32, 24, v32
	v_lshlrev_b32_e32 v53, 20, v53
	v_and_b32_e32 v32, 0x80000000, v32
	v_lshl_add_u32 v34, v34, 23, v37
	v_or3_b32 v53, v32, v34, v53
.LBB655_153:                            ;   in Loop: Header=BB655_17 Depth=1
	s_or_b64 exec, exec, s[10:11]
.LBB655_154:                            ;   in Loop: Header=BB655_17 Depth=1
	s_or_b64 exec, exec, s[6:7]
.LBB655_155:                            ;   in Loop: Header=BB655_17 Depth=1
	s_or_b64 exec, exec, s[4:5]
	v_cmp_lt_u32_e32 vcc, s15, v30
	v_mov_b32_e32 v34, 0
	v_mov_b32_e32 v55, 0
	s_and_saveexec_b64 s[4:5], vcc
	s_cbranch_execz .LBB655_161
; %bb.156:                              ;   in Loop: Header=BB655_17 Depth=1
	v_lshrrev_b32_e32 v32, 24, v30
	v_cmp_ne_u32_e32 vcc, s13, v32
	v_bfrev_b32_e32 v55, 1
	s_and_saveexec_b64 s[6:7], vcc
	s_cbranch_execz .LBB655_160
; %bb.157:                              ;   in Loop: Header=BB655_17 Depth=1
	v_bfe_u32 v30, v30, 24, 7
	v_cmp_ne_u32_e32 vcc, s14, v30
	v_mov_b32_e32 v55, 0x7f800001
	s_and_saveexec_b64 s[10:11], vcc
	s_cbranch_execz .LBB655_159
; %bb.158:                              ;   in Loop: Header=BB655_17 Depth=1
	v_and_b32_e32 v55, 7, v32
	v_ffbh_u32_e32 v56, v55
	v_min_u32_e32 v59, 32, v56
	v_subrev_u32_e32 v56, 28, v59
	v_lshlrev_b64 v[56:57], v56, v[32:33]
	v_lshrrev_b32_e32 v58, 3, v30
	v_sub_u32_e32 v57, 29, v59
	v_and_b32_e32 v56, 7, v56
	v_cmp_gt_u32_e32 vcc, 8, v30
	v_cndmask_b32_e32 v30, v58, v57, vcc
	v_cndmask_b32_e32 v55, v55, v56, vcc
	v_lshlrev_b32_e32 v32, 24, v32
	v_lshlrev_b32_e32 v55, 20, v55
	v_and_b32_e32 v32, 0x80000000, v32
	v_lshl_add_u32 v30, v30, 23, v37
	v_or3_b32 v55, v32, v30, v55
.LBB655_159:                            ;   in Loop: Header=BB655_17 Depth=1
	s_or_b64 exec, exec, s[10:11]
.LBB655_160:                            ;   in Loop: Header=BB655_17 Depth=1
	s_or_b64 exec, exec, s[6:7]
.LBB655_161:                            ;   in Loop: Header=BB655_17 Depth=1
	s_or_b64 exec, exec, s[4:5]
	v_cvt_pkrtz_f16_f32 v56, v23, v40
	v_cvt_pkrtz_f16_f32 v57, v38, v44
	;; [unrolled: 1-line block ×4, first 2 shown]
	s_waitcnt vmcnt(1)
	v_cmp_ne_u16_sdwa s[6:7], v28, v33 src0_sel:BYTE_0 src1_sel:DWORD
	v_mfma_f32_16x16x16f16 v[18:21], v[56:57], v[10:11], v[18:21]
	v_mfma_f32_16x16x16f16 v[18:21], v[54:55], v[12:13], v[18:21]
	s_and_saveexec_b64 s[4:5], s[6:7]
	s_cbranch_execz .LBB655_167
; %bb.162:                              ;   in Loop: Header=BB655_17 Depth=1
	v_cmp_ne_u16_sdwa s[10:11], v28, s13 src0_sel:BYTE_0 src1_sel:DWORD
	v_bfrev_b32_e32 v34, 1
	s_and_saveexec_b64 s[6:7], s[10:11]
	s_cbranch_execz .LBB655_166
; %bb.163:                              ;   in Loop: Header=BB655_17 Depth=1
	v_and_b32_e32 v23, 0x7f, v28
	v_cmp_ne_u32_e32 vcc, s14, v23
	v_mov_b32_e32 v34, 0x7f800001
	s_and_saveexec_b64 s[10:11], vcc
	s_cbranch_execz .LBB655_165
; %bb.164:                              ;   in Loop: Header=BB655_17 Depth=1
	v_and_b32_e32 v30, 7, v28
	v_ffbh_u32_e32 v34, v30
	v_min_u32_e32 v34, 32, v34
	v_subrev_u32_e32 v38, 28, v34
	v_lshlrev_b64 v[54:55], v38, v[28:29]
	v_lshrrev_b32_e32 v32, 3, v23
	v_sub_u32_e32 v34, 29, v34
	v_and_b32_e32 v38, 7, v54
	v_cmp_gt_u32_e32 vcc, 8, v23
	v_cndmask_b32_e32 v23, v32, v34, vcc
	v_cndmask_b32_e32 v30, v30, v38, vcc
	v_lshlrev_b32_e32 v32, 24, v28
	v_lshlrev_b32_e32 v30, 20, v30
	v_and_b32_e32 v32, 0x80000000, v32
	v_lshl_add_u32 v23, v23, 23, v37
	v_or3_b32 v34, v32, v23, v30
.LBB655_165:                            ;   in Loop: Header=BB655_17 Depth=1
	s_or_b64 exec, exec, s[10:11]
.LBB655_166:                            ;   in Loop: Header=BB655_17 Depth=1
	s_or_b64 exec, exec, s[6:7]
.LBB655_167:                            ;   in Loop: Header=BB655_17 Depth=1
	s_or_b64 exec, exec, s[4:5]
	v_lshrrev_b16_e32 v30, 8, v28
	v_cmp_ne_u16_e32 vcc, 0, v30
	v_mov_b32_e32 v23, 0
	v_mov_b32_e32 v32, 0
	s_and_saveexec_b64 s[4:5], vcc
	s_cbranch_execz .LBB655_173
; %bb.168:                              ;   in Loop: Header=BB655_17 Depth=1
	v_cmp_ne_u16_e32 vcc, s13, v30
	v_bfrev_b32_e32 v32, 1
	s_and_saveexec_b64 s[6:7], vcc
	s_cbranch_execz .LBB655_172
; %bb.169:                              ;   in Loop: Header=BB655_17 Depth=1
	v_and_b32_e32 v38, 0x7f, v30
	v_cmp_ne_u32_e32 vcc, s14, v38
	v_mov_b32_e32 v32, 0x7f800001
	s_and_saveexec_b64 s[10:11], vcc
	s_cbranch_execz .LBB655_171
; %bb.170:                              ;   in Loop: Header=BB655_17 Depth=1
	v_and_b32_e32 v32, 7, v30
	v_ffbh_u32_e32 v42, v32
	v_min_u32_e32 v42, 32, v42
	v_subrev_u32_e32 v44, 28, v42
	v_lshlrev_b64 v[54:55], v44, v[30:31]
	v_lshrrev_b32_e32 v40, 3, v38
	v_sub_u32_e32 v30, 29, v42
	v_and_b32_e32 v42, 7, v54
	v_cmp_gt_u32_e32 vcc, 8, v38
	v_cndmask_b32_e32 v30, v40, v30, vcc
	v_cndmask_b32_e32 v32, v32, v42, vcc
	v_lshlrev_b32_e32 v38, 16, v28
	v_lshlrev_b32_e32 v32, 20, v32
	v_and_b32_e32 v38, 0x80000000, v38
	v_lshl_add_u32 v30, v30, 23, v37
	v_or3_b32 v32, v38, v30, v32
.LBB655_171:                            ;   in Loop: Header=BB655_17 Depth=1
	s_or_b64 exec, exec, s[10:11]
.LBB655_172:                            ;   in Loop: Header=BB655_17 Depth=1
	s_or_b64 exec, exec, s[6:7]
.LBB655_173:                            ;   in Loop: Header=BB655_17 Depth=1
	s_or_b64 exec, exec, s[4:5]
	v_lshrrev_b32_e32 v30, 16, v28
	v_cmp_ne_u16_sdwa s[6:7], v30, v33 src0_sel:BYTE_0 src1_sel:DWORD
	s_and_saveexec_b64 s[4:5], s[6:7]
	s_cbranch_execz .LBB655_179
; %bb.174:                              ;   in Loop: Header=BB655_17 Depth=1
	v_cmp_ne_u16_sdwa s[10:11], v30, s13 src0_sel:BYTE_0 src1_sel:DWORD
	v_bfrev_b32_e32 v23, 1
	s_and_saveexec_b64 s[6:7], s[10:11]
	s_cbranch_execz .LBB655_178
; %bb.175:                              ;   in Loop: Header=BB655_17 Depth=1
	v_bfe_u32 v38, v28, 16, 7
	v_cmp_ne_u32_e32 vcc, s14, v38
	v_mov_b32_e32 v23, 0x7f800001
	s_and_saveexec_b64 s[10:11], vcc
	s_cbranch_execz .LBB655_177
; %bb.176:                              ;   in Loop: Header=BB655_17 Depth=1
	v_and_b32_e32 v23, 7, v30
	v_ffbh_u32_e32 v42, v23
	v_min_u32_e32 v42, 32, v42
	v_subrev_u32_e32 v44, 28, v42
	v_lshlrev_b64 v[54:55], v44, v[30:31]
	v_lshrrev_b32_e32 v40, 3, v38
	v_sub_u32_e32 v42, 29, v42
	v_and_b32_e32 v44, 7, v54
	v_cmp_gt_u32_e32 vcc, 8, v38
	v_cndmask_b32_e32 v38, v40, v42, vcc
	v_cndmask_b32_e32 v23, v23, v44, vcc
	v_lshlrev_b32_e32 v30, 24, v30
	v_lshlrev_b32_e32 v23, 20, v23
	v_and_b32_e32 v30, 0x80000000, v30
	v_lshl_add_u32 v38, v38, 23, v37
	v_or3_b32 v23, v30, v38, v23
.LBB655_177:                            ;   in Loop: Header=BB655_17 Depth=1
	s_or_b64 exec, exec, s[10:11]
.LBB655_178:                            ;   in Loop: Header=BB655_17 Depth=1
	s_or_b64 exec, exec, s[6:7]
.LBB655_179:                            ;   in Loop: Header=BB655_17 Depth=1
	s_or_b64 exec, exec, s[4:5]
	v_cmp_lt_u32_e32 vcc, s15, v28
	v_mov_b32_e32 v38, 0
	v_mov_b32_e32 v40, 0
	s_and_saveexec_b64 s[4:5], vcc
	s_cbranch_execz .LBB655_185
; %bb.180:                              ;   in Loop: Header=BB655_17 Depth=1
	v_lshrrev_b32_e32 v30, 24, v28
	v_cmp_ne_u32_e32 vcc, s13, v30
	v_bfrev_b32_e32 v40, 1
	s_and_saveexec_b64 s[6:7], vcc
	s_cbranch_execz .LBB655_184
; %bb.181:                              ;   in Loop: Header=BB655_17 Depth=1
	v_bfe_u32 v28, v28, 24, 7
	v_cmp_ne_u32_e32 vcc, s14, v28
	v_mov_b32_e32 v40, 0x7f800001
	s_and_saveexec_b64 s[10:11], vcc
	s_cbranch_execz .LBB655_183
; %bb.182:                              ;   in Loop: Header=BB655_17 Depth=1
	v_and_b32_e32 v40, 7, v30
	v_ffbh_u32_e32 v44, v40
	v_min_u32_e32 v44, 32, v44
	v_subrev_u32_e32 v53, 28, v44
	v_lshlrev_b64 v[54:55], v53, v[30:31]
	v_lshrrev_b32_e32 v42, 3, v28
	v_sub_u32_e32 v44, 29, v44
	v_and_b32_e32 v53, 7, v54
	v_cmp_gt_u32_e32 vcc, 8, v28
	v_cndmask_b32_e32 v28, v42, v44, vcc
	v_cndmask_b32_e32 v40, v40, v53, vcc
	v_lshlrev_b32_e32 v30, 24, v30
	v_lshlrev_b32_e32 v40, 20, v40
	v_and_b32_e32 v30, 0x80000000, v30
	v_lshl_add_u32 v28, v28, 23, v37
	v_or3_b32 v40, v30, v28, v40
.LBB655_183:                            ;   in Loop: Header=BB655_17 Depth=1
	s_or_b64 exec, exec, s[10:11]
.LBB655_184:                            ;   in Loop: Header=BB655_17 Depth=1
	s_or_b64 exec, exec, s[6:7]
.LBB655_185:                            ;   in Loop: Header=BB655_17 Depth=1
	s_or_b64 exec, exec, s[4:5]
	s_waitcnt vmcnt(0)
	v_cmp_ne_u16_sdwa s[6:7], v26, v33 src0_sel:BYTE_0 src1_sel:DWORD
	s_and_saveexec_b64 s[4:5], s[6:7]
	s_cbranch_execz .LBB655_191
; %bb.186:                              ;   in Loop: Header=BB655_17 Depth=1
	v_cmp_ne_u16_sdwa s[10:11], v26, s13 src0_sel:BYTE_0 src1_sel:DWORD
	v_bfrev_b32_e32 v38, 1
	s_and_saveexec_b64 s[6:7], s[10:11]
	s_cbranch_execz .LBB655_190
; %bb.187:                              ;   in Loop: Header=BB655_17 Depth=1
	v_and_b32_e32 v28, 0x7f, v26
	v_cmp_ne_u32_e32 vcc, s14, v28
	v_mov_b32_e32 v38, 0x7f800001
	s_and_saveexec_b64 s[10:11], vcc
	s_cbranch_execz .LBB655_189
; %bb.188:                              ;   in Loop: Header=BB655_17 Depth=1
	v_and_b32_e32 v30, 7, v26
	v_ffbh_u32_e32 v42, v30
	v_min_u32_e32 v42, 32, v42
	v_subrev_u32_e32 v44, 28, v42
	v_lshlrev_b64 v[54:55], v44, v[26:27]
	v_lshrrev_b32_e32 v38, 3, v28
	v_sub_u32_e32 v42, 29, v42
	v_and_b32_e32 v44, 7, v54
	v_cmp_gt_u32_e32 vcc, 8, v28
	v_cndmask_b32_e32 v28, v38, v42, vcc
	v_cndmask_b32_e32 v30, v30, v44, vcc
	v_lshlrev_b32_e32 v38, 24, v26
	v_lshlrev_b32_e32 v30, 20, v30
	v_and_b32_e32 v38, 0x80000000, v38
	v_lshl_add_u32 v28, v28, 23, v37
	v_or3_b32 v38, v38, v28, v30
.LBB655_189:                            ;   in Loop: Header=BB655_17 Depth=1
	s_or_b64 exec, exec, s[10:11]
.LBB655_190:                            ;   in Loop: Header=BB655_17 Depth=1
	s_or_b64 exec, exec, s[6:7]
.LBB655_191:                            ;   in Loop: Header=BB655_17 Depth=1
	s_or_b64 exec, exec, s[4:5]
	v_lshrrev_b16_e32 v28, 8, v26
	v_cmp_ne_u16_e32 vcc, 0, v28
	v_mov_b32_e32 v30, 0
	v_mov_b32_e32 v42, 0
	s_and_saveexec_b64 s[4:5], vcc
	s_cbranch_execz .LBB655_197
; %bb.192:                              ;   in Loop: Header=BB655_17 Depth=1
	v_cmp_ne_u16_e32 vcc, s13, v28
	v_bfrev_b32_e32 v42, 1
	s_and_saveexec_b64 s[6:7], vcc
	s_cbranch_execz .LBB655_196
; %bb.193:                              ;   in Loop: Header=BB655_17 Depth=1
	v_and_b32_e32 v44, 0x7f, v28
	v_cmp_ne_u32_e32 vcc, s14, v44
	v_mov_b32_e32 v42, 0x7f800001
	s_and_saveexec_b64 s[10:11], vcc
	s_cbranch_execz .LBB655_195
; %bb.194:                              ;   in Loop: Header=BB655_17 Depth=1
	v_and_b32_e32 v42, 7, v28
	v_ffbh_u32_e32 v54, v42
	v_min_u32_e32 v56, 32, v54
	v_subrev_u32_e32 v54, 28, v56
	v_lshlrev_b64 v[54:55], v54, v[28:29]
	v_lshrrev_b32_e32 v53, 3, v44
	v_sub_u32_e32 v28, 29, v56
	v_and_b32_e32 v54, 7, v54
	v_cmp_gt_u32_e32 vcc, 8, v44
	v_cndmask_b32_e32 v28, v53, v28, vcc
	v_cndmask_b32_e32 v42, v42, v54, vcc
	v_lshlrev_b32_e32 v44, 16, v26
	v_lshlrev_b32_e32 v42, 20, v42
	v_and_b32_e32 v44, 0x80000000, v44
	v_lshl_add_u32 v28, v28, 23, v37
	v_or3_b32 v42, v44, v28, v42
.LBB655_195:                            ;   in Loop: Header=BB655_17 Depth=1
	s_or_b64 exec, exec, s[10:11]
.LBB655_196:                            ;   in Loop: Header=BB655_17 Depth=1
	s_or_b64 exec, exec, s[6:7]
.LBB655_197:                            ;   in Loop: Header=BB655_17 Depth=1
	s_or_b64 exec, exec, s[4:5]
	v_lshrrev_b32_e32 v28, 16, v26
	v_cmp_ne_u16_sdwa s[6:7], v28, v33 src0_sel:BYTE_0 src1_sel:DWORD
	s_and_saveexec_b64 s[4:5], s[6:7]
	s_cbranch_execz .LBB655_203
; %bb.198:                              ;   in Loop: Header=BB655_17 Depth=1
	v_cmp_ne_u16_sdwa s[10:11], v28, s13 src0_sel:BYTE_0 src1_sel:DWORD
	v_bfrev_b32_e32 v30, 1
	s_and_saveexec_b64 s[6:7], s[10:11]
	s_cbranch_execz .LBB655_202
; %bb.199:                              ;   in Loop: Header=BB655_17 Depth=1
	v_bfe_u32 v44, v26, 16, 7
	v_cmp_ne_u32_e32 vcc, s14, v44
	v_mov_b32_e32 v30, 0x7f800001
	s_and_saveexec_b64 s[10:11], vcc
	s_cbranch_execz .LBB655_201
; %bb.200:                              ;   in Loop: Header=BB655_17 Depth=1
	v_and_b32_e32 v30, 7, v28
	v_ffbh_u32_e32 v54, v30
	v_min_u32_e32 v56, 32, v54
	v_subrev_u32_e32 v54, 28, v56
	v_lshlrev_b64 v[54:55], v54, v[28:29]
	v_lshrrev_b32_e32 v53, 3, v44
	v_sub_u32_e32 v55, 29, v56
	v_and_b32_e32 v54, 7, v54
	v_cmp_gt_u32_e32 vcc, 8, v44
	v_cndmask_b32_e32 v44, v53, v55, vcc
	v_cndmask_b32_e32 v30, v30, v54, vcc
	v_lshlrev_b32_e32 v28, 24, v28
	v_lshlrev_b32_e32 v30, 20, v30
	v_and_b32_e32 v28, 0x80000000, v28
	v_lshl_add_u32 v44, v44, 23, v37
	v_or3_b32 v30, v28, v44, v30
.LBB655_201:                            ;   in Loop: Header=BB655_17 Depth=1
	s_or_b64 exec, exec, s[10:11]
.LBB655_202:                            ;   in Loop: Header=BB655_17 Depth=1
	s_or_b64 exec, exec, s[6:7]
.LBB655_203:                            ;   in Loop: Header=BB655_17 Depth=1
	s_or_b64 exec, exec, s[4:5]
	v_cmp_lt_u32_e32 vcc, s15, v26
	v_mov_b32_e32 v44, 0
	s_and_saveexec_b64 s[4:5], vcc
	s_cbranch_execz .LBB655_16
; %bb.204:                              ;   in Loop: Header=BB655_17 Depth=1
	v_lshrrev_b32_e32 v28, 24, v26
	v_cmp_ne_u32_e32 vcc, s13, v28
	v_bfrev_b32_e32 v44, 1
	s_and_saveexec_b64 s[6:7], vcc
	s_cbranch_execz .LBB655_15
; %bb.205:                              ;   in Loop: Header=BB655_17 Depth=1
	v_bfe_u32 v26, v26, 24, 7
	v_cmp_ne_u32_e32 vcc, s14, v26
	v_mov_b32_e32 v44, 0x7f800001
	s_and_saveexec_b64 s[10:11], vcc
	s_cbranch_execz .LBB655_14
; %bb.206:                              ;   in Loop: Header=BB655_17 Depth=1
	v_and_b32_e32 v44, 7, v28
	v_ffbh_u32_e32 v54, v44
	v_min_u32_e32 v56, 32, v54
	v_subrev_u32_e32 v54, 28, v56
	v_lshlrev_b64 v[54:55], v54, v[28:29]
	v_lshrrev_b32_e32 v53, 3, v26
	v_sub_u32_e32 v55, 29, v56
	v_and_b32_e32 v54, 7, v54
	v_cmp_gt_u32_e32 vcc, 8, v26
	v_cndmask_b32_e32 v26, v53, v55, vcc
	v_cndmask_b32_e32 v44, v44, v54, vcc
	v_lshlrev_b32_e32 v28, 24, v28
	v_lshlrev_b32_e32 v44, 20, v44
	v_and_b32_e32 v28, 0x80000000, v28
	v_lshl_add_u32 v26, v26, 23, v37
	v_or3_b32 v44, v28, v26, v44
	s_branch .LBB655_14
.LBB655_207:
	buffer_load_dword v17, off, s[0:3], 0 offset:256
	buffer_load_dword v16, off, s[0:3], 0 offset:260
	;; [unrolled: 1-line block ×16, first 2 shown]
	v_and_b32_e32 v18, 0xc0, v0
	v_add_u32_e32 v18, s20, v18
	v_lshl_or_b32 v18, v39, 2, v18
	v_or_b32_e32 v20, 1, v18
	v_subrev_u32_e32 v24, s33, v20
	v_add_u32_e32 v26, 1, v24
	v_cvt_f32_i32_e32 v25, v24
	v_add_u32_e32 v28, 2, v24
	v_add_u32_e32 v30, 3, v24
	;; [unrolled: 1-line block ×14, first 2 shown]
	v_cvt_f32_i32_e32 v26, v26
	v_cvt_f32_i32_e32 v28, v28
	;; [unrolled: 1-line block ×4, first 2 shown]
	v_mov_b32_e32 v19, 0xff7fffff
	v_or_b32_e32 v21, 2, v18
	v_or_b32_e32 v22, 3, v18
	v_cvt_f32_i32_e32 v32, v32
	v_cvt_f32_i32_e32 v33, v33
	v_cmp_gt_i32_e64 s[28:29], s33, v18
	v_cmp_gt_i32_e64 s[30:31], s33, v20
	s_mov_b32 s52, 0xff7fffff
	v_cmp_gt_i32_e64 s[34:35], s33, v21
	v_cmp_gt_i32_e64 s[36:37], s33, v22
	v_or_b32_e32 v23, 16, v18
	v_cvt_f32_i32_e32 v34, v34
	v_cvt_f32_i32_e32 v35, v35
	v_cmp_gt_i32_e64 s[24:25], s33, v23
	v_cvt_f32_i32_e32 v36, v36
	v_cvt_f32_i32_e32 v37, v37
	;; [unrolled: 1-line block ×7, first 2 shown]
	s_waitcnt vmcnt(15)
	v_fmac_f32_e32 v17, v31, v25
	s_waitcnt vmcnt(14)
	v_fmac_f32_e32 v16, v31, v26
	;; [unrolled: 2-line block ×4, first 2 shown]
	v_cndmask_b32_e64 v20, v19, v16, s[30:31]
	v_cndmask_b32_e64 v21, v19, v15, s[34:35]
	;; [unrolled: 1-line block ×3, first 2 shown]
	s_waitcnt vmcnt(11)
	v_fmac_f32_e32 v13, v31, v32
	s_waitcnt vmcnt(10)
	v_fmac_f32_e32 v12, v31, v33
	;; [unrolled: 2-line block ×9, first 2 shown]
	v_cndmask_b32_e64 v24, v19, v17, s[28:29]
	v_max3_f32 v20, v24, s52, v20
	v_max3_f32 v20, v20, v21, v22
	v_or_b32_e32 v22, 17, v18
	v_cmp_gt_i32_e64 s[38:39], s33, v22
	v_cndmask_b32_e64 v21, v19, v13, s[24:25]
	v_cndmask_b32_e64 v22, v19, v12, s[38:39]
	v_max3_f32 v20, v20, v21, v22
	v_or_b32_e32 v21, 18, v18
	v_or_b32_e32 v22, 19, v18
	v_cmp_gt_i32_e64 s[20:21], s33, v21
	v_cmp_gt_i32_e64 s[22:23], s33, v22
	v_cndmask_b32_e64 v21, v19, v11, s[20:21]
	v_cndmask_b32_e64 v22, v19, v10, s[22:23]
	v_max3_f32 v20, v20, v21, v22
	v_or_b32_e32 v21, 32, v18
	v_or_b32_e32 v22, 33, v18
	v_cmp_gt_i32_e64 s[16:17], s33, v21
	;; [unrolled: 7-line block ×3, first 2 shown]
	v_cmp_gt_i32_e64 s[14:15], s33, v22
	v_cndmask_b32_e64 v21, v19, v7, s[12:13]
	v_cndmask_b32_e64 v22, v19, v6, s[14:15]
	v_max3_f32 v20, v20, v21, v22
	v_or_b32_e32 v21, 48, v18
	v_or_b32_e32 v22, 49, v18
	v_fmac_f32_e32 v5, v31, v42
	v_fmac_f32_e32 v4, v31, v44
	v_cmp_gt_i32_e64 s[6:7], s33, v21
	v_cmp_gt_i32_e64 s[10:11], s33, v22
	v_cndmask_b32_e64 v21, v19, v5, s[6:7]
	v_cndmask_b32_e64 v22, v19, v4, s[10:11]
	v_max3_f32 v20, v20, v21, v22
	v_or_b32_e32 v21, 50, v18
	v_or_b32_e32 v18, 51, v18
	v_fmac_f32_e32 v3, v31, v53
	v_cmp_gt_i32_e32 vcc, s33, v21
	v_cmp_gt_i32_e64 s[4:5], s33, v18
	v_cndmask_b32_e32 v21, v19, v3, vcc
	v_cndmask_b32_e64 v18, v19, v2, s[4:5]
	v_mbcnt_lo_u32_b32 v19, -1, 0
	v_mbcnt_hi_u32_b32 v19, -1, v19
	v_max3_f32 v18, v20, v21, v18
	v_and_b32_e32 v20, 64, v19
	v_add_u32_e32 v20, 64, v20
	v_xor_b32_e32 v21, 32, v19
	v_cmp_lt_i32_e64 s[40:41], v21, v20
	v_cndmask_b32_e64 v21, v19, v21, s[40:41]
	v_lshlrev_b32_e32 v21, 2, v21
	ds_bpermute_b32 v22, v21, v18
	s_waitcnt lgkmcnt(0)
	v_max_f32_e32 v22, v22, v22
	v_max_f32_e32 v18, v18, v22
	v_xor_b32_e32 v22, 16, v19
	v_cmp_lt_i32_e64 s[40:41], v22, v20
	v_cndmask_b32_e64 v19, v19, v22, s[40:41]
	v_lshlrev_b32_e32 v19, 2, v19
	ds_bpermute_b32 v20, v19, v18
	s_waitcnt lgkmcnt(0)
	v_max_f32_e32 v20, v20, v20
	v_max_f32_e32 v18, v18, v20
	v_sub_f32_e32 v17, v17, v18
	v_mul_f32_e32 v17, 0x3fb8aa3b, v17
	v_sub_f32_e32 v16, v16, v18
	v_exp_f32_e32 v17, v17
	v_mul_f32_e32 v16, 0x3fb8aa3b, v16
	v_sub_f32_e32 v15, v15, v18
	v_exp_f32_e32 v16, v16
	;; [unrolled: 3-line block ×4, first 2 shown]
	v_mul_f32_e32 v13, 0x3fb8aa3b, v13
	v_sub_f32_e32 v12, v12, v18
	v_cndmask_b32_e64 v17, 0, v17, s[28:29]
	v_exp_f32_e32 v13, v13
	v_mul_f32_e32 v12, 0x3fb8aa3b, v12
	v_sub_f32_e32 v11, v11, v18
	v_add_f32_e32 v20, 0, v17
	v_cndmask_b32_e64 v16, 0, v16, s[30:31]
	v_exp_f32_e32 v12, v12
	v_mul_f32_e32 v11, 0x3fb8aa3b, v11
	v_sub_f32_e32 v10, v10, v18
	v_add_f32_e32 v20, v20, v16
	;; [unrolled: 5-line block ×4, first 2 shown]
	v_cndmask_b32_e64 v13, 0, v13, s[24:25]
	v_exp_f32_e32 v9, v9
	v_mul_f32_e32 v8, 0x3fb8aa3b, v8
	v_sub_f32_e32 v7, v7, v18
	buffer_store_dword v17, off, s[0:3], 0 offset:256
	buffer_store_dword v16, off, s[0:3], 0 offset:260
	;; [unrolled: 1-line block ×4, first 2 shown]
	v_add_f32_e32 v14, v20, v13
	v_cndmask_b32_e64 v12, 0, v12, s[38:39]
	v_exp_f32_e32 v8, v8
	v_mul_f32_e32 v7, 0x3fb8aa3b, v7
	v_sub_f32_e32 v6, v6, v18
	v_add_f32_e32 v14, v14, v12
	v_cndmask_b32_e64 v11, 0, v11, s[20:21]
	v_exp_f32_e32 v7, v7
	v_mul_f32_e32 v6, 0x3fb8aa3b, v6
	v_sub_f32_e32 v5, v5, v18
	;; [unrolled: 5-line block ×4, first 2 shown]
	buffer_store_dword v13, off, s[0:3], 0 offset:272
	buffer_store_dword v12, off, s[0:3], 0 offset:276
	;; [unrolled: 1-line block ×4, first 2 shown]
	v_add_f32_e32 v10, v14, v9
	v_cndmask_b32_e64 v8, 0, v8, s[18:19]
	v_exp_f32_e32 v4, v4
	v_mul_f32_e32 v3, 0x3fb8aa3b, v3
	v_sub_f32_e32 v2, v2, v18
	v_add_f32_e32 v10, v10, v8
	v_cndmask_b32_e64 v7, 0, v7, s[12:13]
	v_exp_f32_e32 v3, v3
	v_mul_f32_e32 v2, 0x3fb8aa3b, v2
	v_add_f32_e32 v10, v10, v7
	v_cndmask_b32_e64 v6, 0, v6, s[14:15]
	v_exp_f32_e32 v2, v2
	v_add_f32_e32 v10, v10, v6
	v_cndmask_b32_e64 v5, 0, v5, s[6:7]
	buffer_store_dword v9, off, s[0:3], 0 offset:288
	buffer_store_dword v8, off, s[0:3], 0 offset:292
	;; [unrolled: 1-line block ×4, first 2 shown]
	v_add_f32_e32 v6, v10, v5
	v_cndmask_b32_e64 v4, 0, v4, s[10:11]
	v_add_f32_e32 v6, v6, v4
	v_cndmask_b32_e32 v3, 0, v3, vcc
	v_add_f32_e32 v6, v6, v3
	v_cndmask_b32_e64 v2, 0, v2, s[4:5]
	v_add_f32_e32 v6, v6, v2
	ds_bpermute_b32 v7, v21, v6
	buffer_store_dword v5, off, s[0:3], 0 offset:304
	buffer_store_dword v4, off, s[0:3], 0 offset:308
	;; [unrolled: 1-line block ×4, first 2 shown]
	v_cmp_gt_u32_e32 vcc, 16, v45
	s_waitcnt lgkmcnt(0)
	s_barrier
	v_add_f32_e32 v2, v6, v7
	ds_bpermute_b32 v3, v19, v2
	s_waitcnt lgkmcnt(0)
	s_and_saveexec_b64 s[4:5], vcc
	s_cbranch_execz .LBB655_209
; %bb.208:
	v_add_f32_e32 v2, v2, v3
	v_lshlrev_b32_e32 v3, 2, v29
	ds_write2st64_b32 v3, v18, v2 offset1:1
.LBB655_209:
	s_or_b64 exec, exec, s[4:5]
	v_lshlrev_b32_e32 v2, 2, v41
	s_waitcnt lgkmcnt(0)
	s_barrier
	ds_read2_b32 v[12:13], v2 offset1:16
	ds_read2_b32 v[14:15], v2 offset0:32 offset1:48
	ds_read2_b32 v[6:7], v2 offset0:64 offset1:80
	;; [unrolled: 1-line block ×3, first 2 shown]
	s_waitcnt lgkmcnt(0)
	s_barrier
	buffer_load_dword v20, off, s[0:3], 0 offset:256
	buffer_load_dword v21, off, s[0:3], 0 offset:260
	;; [unrolled: 1-line block ×16, first 2 shown]
	v_lshlrev_b32_e32 v19, 3, v39
	v_lshlrev_b32_e32 v18, 5, v41
	;; [unrolled: 1-line block ×3, first 2 shown]
	v_or3_b32 v53, v26, v18, v19
	v_max3_f32 v19, v12, s52, v13
	v_max3_f32 v19, v19, v14, v15
	v_sub_f32_e32 v12, v12, v19
	v_sub_f32_e32 v13, v13, v19
	v_mul_f32_e32 v12, 0x3fb8aa3b, v12
	v_sub_f32_e32 v14, v14, v19
	v_mul_f32_e32 v13, 0x3fb8aa3b, v13
	v_exp_f32_e32 v12, v12
	v_sub_f32_e32 v15, v15, v19
	v_mul_f32_e32 v14, 0x3fb8aa3b, v14
	v_exp_f32_e32 v13, v13
	v_mul_f32_e32 v15, 0x3fb8aa3b, v15
	v_exp_f32_e32 v14, v14
	v_exp_f32_e32 v15, v15
	v_fma_f32 v6, v12, v6, 0
	v_fmac_f32_e32 v6, v13, v7
	v_fmac_f32_e32 v6, v14, v10
	;; [unrolled: 1-line block ×3, first 2 shown]
	v_cmp_eq_u32_e32 vcc, 1, v27
	v_add_f32_e32 v10, 0x358637bd, v6
	v_cndmask_b32_e32 v12, v12, v13, vcc
	v_cmp_eq_u32_e32 vcc, 2, v27
	v_div_scale_f32 v11, s[4:5], v10, v10, 1.0
	v_cndmask_b32_e32 v7, v12, v14, vcc
	v_rcp_f32_e32 v12, v11
	v_cmp_eq_u32_e32 vcc, 3, v27
	v_cndmask_b32_e32 v7, v7, v15, vcc
	v_div_scale_f32 v13, vcc, 1.0, v10, 1.0
	v_fma_f32 v14, -v11, v12, 1.0
	v_fmac_f32_e32 v12, v14, v12
	v_mul_f32_e32 v14, v13, v12
	v_fma_f32 v15, -v11, v14, v13
	v_fmac_f32_e32 v14, v15, v12
	v_fma_f32 v11, -v11, v14, v13
	v_div_fmas_f32 v11, v11, v12, v14
	v_div_fixup_f32 v10, v11, v10, 1.0
	v_mul_f32_e32 v10, v7, v10
	s_lshl_b32 s18, s49, 1
	v_cmp_gt_u32_e32 vcc, 2, v0
	s_waitcnt vmcnt(14)
	v_pk_mul_f32 v[14:15], v[10:11], v[20:21] op_sel_hi:[0,1]
	v_cvt_f16_f32_e32 v7, v14
	s_waitcnt vmcnt(12)
	v_pk_mul_f32 v[12:13], v[10:11], v[22:23] op_sel_hi:[0,1]
	buffer_store_dword v14, off, s[0:3], 0 offset:256
	buffer_store_dword v15, off, s[0:3], 0 offset:260
	;; [unrolled: 1-line block ×3, first 2 shown]
	s_waitcnt vmcnt(13)
	v_pk_mul_f32 v[20:21], v[10:11], v[24:25] op_sel_hi:[0,1]
	v_cvt_f16_f32_e32 v14, v12
	s_waitcnt vmcnt(11)
	v_pk_mul_f32 v[22:23], v[10:11], v[28:29] op_sel_hi:[0,1]
	v_cvt_f16_f32_e32 v11, v15
	v_cvt_f16_f32_e32 v15, v13
	buffer_store_dword v13, off, s[0:3], 0 offset:268
	buffer_store_dword v22, off, s[0:3], 0 offset:272
	buffer_store_dword v23, off, s[0:3], 0 offset:276
	v_pack_b32_f16 v12, v7, v11
	v_cvt_f16_f32_e32 v11, v23
	v_pack_b32_f16 v13, v14, v15
	v_cvt_f16_f32_e32 v7, v22
	v_cvt_f16_f32_e32 v15, v20
	;; [unrolled: 1-line block ×3, first 2 shown]
	s_waitcnt vmcnt(12)
	v_pk_mul_f32 v[4:5], v[10:11], v[4:5] op_sel_hi:[0,1]
	v_pack_b32_f16 v14, v7, v11
	s_waitcnt vmcnt(10)
	v_pk_mul_f32 v[2:3], v[10:11], v[2:3] op_sel_hi:[0,1]
	v_pack_b32_f16 v15, v15, v22
	v_cvt_f16_f32_e32 v11, v5
	buffer_store_dword v20, off, s[0:3], 0 offset:280
	buffer_store_dword v21, off, s[0:3], 0 offset:284
	ds_write2st64_b64 v53, v[12:13], v[14:15] offset1:1
	buffer_store_dword v2, off, s[0:3], 0 offset:288
	buffer_store_dword v3, off, s[0:3], 0 offset:292
	v_cvt_f16_f32_e32 v2, v2
	v_cvt_f16_f32_e32 v3, v3
	;; [unrolled: 1-line block ×3, first 2 shown]
	buffer_store_dword v4, off, s[0:3], 0 offset:296
	buffer_store_dword v5, off, s[0:3], 0 offset:300
	s_waitcnt vmcnt(12)
	v_pk_mul_f32 v[4:5], v[10:11], v[16:17] op_sel_hi:[0,1]
	v_pk_mul_f32 v[8:9], v[10:11], v[8:9] op_sel_hi:[0,1]
	v_pack_b32_f16 v2, v2, v3
	v_pack_b32_f16 v3, v7, v11
	buffer_store_dword v8, off, s[0:3], 0 offset:304
	buffer_store_dword v9, off, s[0:3], 0 offset:308
	v_cvt_f16_f32_e32 v7, v8
	v_cvt_f16_f32_e32 v8, v9
	;; [unrolled: 1-line block ×4, first 2 shown]
	buffer_store_dword v4, off, s[0:3], 0 offset:312
	buffer_store_dword v5, off, s[0:3], 0 offset:316
	v_pack_b32_f16 v4, v7, v8
	v_pack_b32_f16 v5, v9, v10
	ds_write2st64_b64 v53, v[2:3], v[4:5] offset0:2 offset1:3
	s_and_saveexec_b64 s[4:5], vcc
	s_cbranch_execz .LBB655_211
; %bb.210:
	v_or_b32_e32 v2, s27, v0
	v_mov_b32_e32 v3, 0
	v_mov_b32_e32 v4, s18
	v_mad_u64_u32 v[4:5], s[6:7], s8, v4, v[2:3]
	v_mov_b32_e32 v2, s26
	s_mul_i32 s9, s9, s18
	v_mad_u64_u32 v[2:3], s[6:7], v4, s48, v[2:3]
	v_add_u32_e32 v5, s9, v5
	v_mov_b32_e32 v4, v3
	v_mad_u64_u32 v[4:5], s[6:7], v5, s48, v[4:5]
	v_mov_b32_e32 v3, v4
	v_lshlrev_b64 v[2:3], 2, v[2:3]
	v_mov_b32_e32 v5, s47
	v_add_co_u32_e32 v4, vcc, s46, v2
	v_addc_co_u32_e32 v5, vcc, v5, v3, vcc
	global_store_dword v[4:5], v19, off
	v_mov_b32_e32 v4, s45
	v_add_co_u32_e32 v2, vcc, s44, v2
	v_addc_co_u32_e32 v3, vcc, v4, v3, vcc
	global_store_dword v[2:3], v6, off
.LBB655_211:
	s_or_b64 exec, exec, s[4:5]
	v_lshl_or_b32 v30, v39, 9, v18
	s_waitcnt lgkmcnt(0)
	s_barrier
	s_load_dword s4, s[42:43], 0x0
	ds_read_b128 v[2:5], v30
	ds_read_b128 v[6:9], v30 offset:16
	ds_read_b128 v[10:13], v30 offset:2048
	;; [unrolled: 1-line block ×7, first 2 shown]
	v_mov_b32_e32 v35, 0x80
	v_mov_b32_e32 v54, 0x140
	s_mov_b64 s[10:11], -1
	s_waitcnt lgkmcnt(0)
	s_mov_b32 s5, s4
	s_mov_b32 s6, s4
	;; [unrolled: 1-line block ×3, first 2 shown]
	s_movk_i32 s9, 0x80
	s_movk_i32 s19, 0x7f
	s_mov_b32 s20, 0xffffff
	v_mov_b32_e32 v55, 0
	v_bfrev_b32_e32 v56, 60
	s_branch .LBB655_215
.LBB655_212:                            ;   in Loop: Header=BB655_215 Depth=1
	s_or_b64 exec, exec, s[16:17]
.LBB655_213:                            ;   in Loop: Header=BB655_215 Depth=1
	s_or_b64 exec, exec, s[14:15]
.LBB655_214:                            ;   in Loop: Header=BB655_215 Depth=1
	s_or_b64 exec, exec, s[12:13]
	v_cvt_pkrtz_f16_f32 v60, v46, v51
	v_cvt_pkrtz_f16_f32 v61, v44, v57
	s_xor_b64 s[12:13], s[10:11], -1
	s_mov_b64 s[10:11], 0
	v_mov_b32_e32 v46, v48
	v_mfma_f32_16x16x16f16 v[60:63], v[60:61], v[30:31], v[34:37]
	v_mov_b32_e32 v51, v50
	s_and_b64 vcc, exec, s[12:13]
	s_nop 4
	v_cvt_pkrtz_f16_f32 v36, v52, v58
	v_cvt_pkrtz_f16_f32 v37, v42, v59
	v_mov_b32_e32 v35, v47
	v_mov_b32_e32 v52, v49
	v_mfma_f32_16x16x16f16 v[58:61], v[36:37], v[32:33], v[60:63]
	s_nop 7
	s_nop 2
	v_pk_mul_f32 v[58:59], v[58:59], s[4:5]
	v_pk_mul_f32 v[36:37], v[60:61], s[6:7]
	v_cvt_f16_f32_e32 v34, v58
	v_cvt_f16_f32_e32 v38, v59
	;; [unrolled: 1-line block ×4, first 2 shown]
	v_pack_b32_f16 v34, v34, v38
	v_pack_b32_f16 v36, v36, v37
	buffer_store_dword v34, v54, s[0:3], 0 offen
	buffer_store_dword v36, v54, s[0:3], 0 offen offset:4
	v_mov_b32_e32 v54, 0x148
	s_cbranch_vccnz .LBB655_597
.LBB655_215:                            ; =>This Inner Loop Header: Depth=1
	buffer_load_dword v36, v35, s[0:3], 0 offen
	buffer_load_dword v34, v35, s[0:3], 0 offen offset:4
	buffer_load_dword v40, v35, s[0:3], 0 offen offset:8
	;; [unrolled: 1-line block ×3, first 2 shown]
	v_mov_b32_e32 v35, 0
	s_waitcnt vmcnt(3)
	v_cmp_ne_u16_sdwa s[14:15], v36, v55 src0_sel:BYTE_0 src1_sel:DWORD
	s_and_saveexec_b64 s[12:13], s[14:15]
	s_cbranch_execz .LBB655_221
; %bb.216:                              ;   in Loop: Header=BB655_215 Depth=1
	v_cmp_ne_u16_sdwa s[16:17], v36, s9 src0_sel:BYTE_0 src1_sel:DWORD
	v_bfrev_b32_e32 v35, 1
	s_and_saveexec_b64 s[14:15], s[16:17]
	s_cbranch_execz .LBB655_220
; %bb.217:                              ;   in Loop: Header=BB655_215 Depth=1
	v_and_b32_e32 v37, 0x7f, v36
	v_cmp_ne_u32_e32 vcc, s19, v37
	v_mov_b32_e32 v35, 0x7f800001
	s_and_saveexec_b64 s[16:17], vcc
	s_cbranch_execz .LBB655_219
; %bb.218:                              ;   in Loop: Header=BB655_215 Depth=1
	v_and_b32_e32 v35, 7, v36
	v_ffbh_u32_e32 v44, v35
	v_min_u32_e32 v44, 32, v44
	v_subrev_u32_e32 v57, 28, v44
	v_lshlrev_b64 v[58:59], v57, v[36:37]
	v_lshrrev_b32_e32 v42, 3, v37
	v_sub_u32_e32 v44, 29, v44
	v_and_b32_e32 v57, 7, v58
	v_cmp_gt_u32_e32 vcc, 8, v37
	v_cndmask_b32_e32 v37, v42, v44, vcc
	v_cndmask_b32_e32 v35, v35, v57, vcc
	v_lshlrev_b32_e32 v42, 24, v36
	v_lshlrev_b32_e32 v35, 20, v35
	v_and_b32_e32 v42, 0x80000000, v42
	v_lshl_add_u32 v37, v37, 23, v56
	v_or3_b32 v35, v42, v37, v35
.LBB655_219:                            ;   in Loop: Header=BB655_215 Depth=1
	s_or_b64 exec, exec, s[16:17]
.LBB655_220:                            ;   in Loop: Header=BB655_215 Depth=1
	s_or_b64 exec, exec, s[14:15]
.LBB655_221:                            ;   in Loop: Header=BB655_215 Depth=1
	s_or_b64 exec, exec, s[12:13]
	v_lshrrev_b16_e32 v42, 8, v36
	v_cmp_ne_u16_e32 vcc, 0, v42
	v_mov_b32_e32 v37, 0
	s_and_saveexec_b64 s[12:13], vcc
	s_cbranch_execz .LBB655_227
; %bb.222:                              ;   in Loop: Header=BB655_215 Depth=1
	v_cmp_ne_u16_e32 vcc, s9, v42
	v_bfrev_b32_e32 v37, 1
	s_and_saveexec_b64 s[14:15], vcc
	s_cbranch_execz .LBB655_226
; %bb.223:                              ;   in Loop: Header=BB655_215 Depth=1
	v_and_b32_e32 v44, 0x7f, v42
	v_cmp_ne_u32_e32 vcc, s19, v44
	v_mov_b32_e32 v37, 0x7f800001
	s_and_saveexec_b64 s[16:17], vcc
	s_cbranch_execz .LBB655_225
; %bb.224:                              ;   in Loop: Header=BB655_215 Depth=1
	v_and_b32_e32 v37, 7, v42
	v_ffbh_u32_e32 v58, v37
	v_min_u32_e32 v60, 32, v58
	v_subrev_u32_e32 v58, 28, v60
	v_lshlrev_b64 v[58:59], v58, v[42:43]
	v_lshrrev_b32_e32 v57, 3, v44
	v_sub_u32_e32 v42, 29, v60
	v_and_b32_e32 v58, 7, v58
	v_cmp_gt_u32_e32 vcc, 8, v44
	v_cndmask_b32_e32 v42, v57, v42, vcc
	v_cndmask_b32_e32 v37, v37, v58, vcc
	v_lshlrev_b32_e32 v44, 16, v36
	v_lshlrev_b32_e32 v37, 20, v37
	v_and_b32_e32 v44, 0x80000000, v44
	v_lshl_add_u32 v42, v42, 23, v56
	v_or3_b32 v37, v44, v42, v37
.LBB655_225:                            ;   in Loop: Header=BB655_215 Depth=1
	s_or_b64 exec, exec, s[16:17]
.LBB655_226:                            ;   in Loop: Header=BB655_215 Depth=1
	s_or_b64 exec, exec, s[14:15]
.LBB655_227:                            ;   in Loop: Header=BB655_215 Depth=1
	s_or_b64 exec, exec, s[12:13]
	v_lshrrev_b32_e32 v42, 16, v36
	v_cmp_ne_u16_sdwa s[14:15], v42, v55 src0_sel:BYTE_0 src1_sel:DWORD
	v_mov_b32_e32 v57, 0
	v_mov_b32_e32 v44, 0
	s_and_saveexec_b64 s[12:13], s[14:15]
	s_cbranch_execz .LBB655_233
; %bb.228:                              ;   in Loop: Header=BB655_215 Depth=1
	v_cmp_ne_u16_sdwa s[16:17], v42, s9 src0_sel:BYTE_0 src1_sel:DWORD
	v_bfrev_b32_e32 v44, 1
	s_and_saveexec_b64 s[14:15], s[16:17]
	s_cbranch_execz .LBB655_232
; %bb.229:                              ;   in Loop: Header=BB655_215 Depth=1
	v_bfe_u32 v58, v36, 16, 7
	v_cmp_ne_u32_e32 vcc, s19, v58
	v_mov_b32_e32 v44, 0x7f800001
	s_and_saveexec_b64 s[16:17], vcc
	s_cbranch_execz .LBB655_231
; %bb.230:                              ;   in Loop: Header=BB655_215 Depth=1
	v_and_b32_e32 v44, 7, v42
	v_ffbh_u32_e32 v60, v44
	v_min_u32_e32 v62, 32, v60
	v_subrev_u32_e32 v60, 28, v62
	v_lshlrev_b64 v[60:61], v60, v[42:43]
	v_lshrrev_b32_e32 v59, 3, v58
	v_sub_u32_e32 v61, 29, v62
	v_and_b32_e32 v60, 7, v60
	v_cmp_gt_u32_e32 vcc, 8, v58
	v_cndmask_b32_e32 v58, v59, v61, vcc
	v_cndmask_b32_e32 v44, v44, v60, vcc
	v_lshlrev_b32_e32 v42, 24, v42
	v_lshlrev_b32_e32 v44, 20, v44
	v_and_b32_e32 v42, 0x80000000, v42
	v_lshl_add_u32 v58, v58, 23, v56
	v_or3_b32 v44, v42, v58, v44
.LBB655_231:                            ;   in Loop: Header=BB655_215 Depth=1
	s_or_b64 exec, exec, s[16:17]
.LBB655_232:                            ;   in Loop: Header=BB655_215 Depth=1
	s_or_b64 exec, exec, s[14:15]
.LBB655_233:                            ;   in Loop: Header=BB655_215 Depth=1
	s_or_b64 exec, exec, s[12:13]
	v_cmp_lt_u32_e32 vcc, s20, v36
	s_and_saveexec_b64 s[12:13], vcc
	s_cbranch_execz .LBB655_239
; %bb.234:                              ;   in Loop: Header=BB655_215 Depth=1
	v_lshrrev_b32_e32 v42, 24, v36
	v_cmp_ne_u32_e32 vcc, s9, v42
	v_bfrev_b32_e32 v57, 1
	s_and_saveexec_b64 s[14:15], vcc
	s_cbranch_execz .LBB655_238
; %bb.235:                              ;   in Loop: Header=BB655_215 Depth=1
	v_bfe_u32 v36, v36, 24, 7
	v_cmp_ne_u32_e32 vcc, s19, v36
	v_mov_b32_e32 v57, 0x7f800001
	s_and_saveexec_b64 s[16:17], vcc
	s_cbranch_execz .LBB655_237
; %bb.236:                              ;   in Loop: Header=BB655_215 Depth=1
	v_and_b32_e32 v57, 7, v42
	v_ffbh_u32_e32 v58, v57
	v_min_u32_e32 v61, 32, v58
	v_subrev_u32_e32 v58, 28, v61
	v_lshlrev_b64 v[58:59], v58, v[42:43]
	v_lshrrev_b32_e32 v60, 3, v36
	v_sub_u32_e32 v59, 29, v61
	v_and_b32_e32 v58, 7, v58
	v_cmp_gt_u32_e32 vcc, 8, v36
	v_cndmask_b32_e32 v36, v60, v59, vcc
	v_cndmask_b32_e32 v57, v57, v58, vcc
	v_lshlrev_b32_e32 v42, 24, v42
	v_lshlrev_b32_e32 v57, 20, v57
	v_and_b32_e32 v42, 0x80000000, v42
	v_lshl_add_u32 v36, v36, 23, v56
	v_or3_b32 v57, v42, v36, v57
.LBB655_237:                            ;   in Loop: Header=BB655_215 Depth=1
	s_or_b64 exec, exec, s[16:17]
.LBB655_238:                            ;   in Loop: Header=BB655_215 Depth=1
	s_or_b64 exec, exec, s[14:15]
.LBB655_239:                            ;   in Loop: Header=BB655_215 Depth=1
	s_or_b64 exec, exec, s[12:13]
	s_waitcnt vmcnt(2)
	v_cmp_ne_u16_sdwa s[14:15], v34, v55 src0_sel:BYTE_0 src1_sel:DWORD
	v_mov_b32_e32 v42, 0
	v_mov_b32_e32 v58, 0
	s_and_saveexec_b64 s[12:13], s[14:15]
	s_cbranch_execz .LBB655_245
; %bb.240:                              ;   in Loop: Header=BB655_215 Depth=1
	v_cmp_ne_u16_sdwa s[16:17], v34, s9 src0_sel:BYTE_0 src1_sel:DWORD
	v_bfrev_b32_e32 v58, 1
	s_and_saveexec_b64 s[14:15], s[16:17]
	s_cbranch_execz .LBB655_244
; %bb.241:                              ;   in Loop: Header=BB655_215 Depth=1
	v_and_b32_e32 v36, 0x7f, v34
	v_cmp_ne_u32_e32 vcc, s19, v36
	v_mov_b32_e32 v58, 0x7f800001
	s_and_saveexec_b64 s[16:17], vcc
	s_cbranch_execz .LBB655_243
; %bb.242:                              ;   in Loop: Header=BB655_215 Depth=1
	v_and_b32_e32 v60, 7, v34
	v_ffbh_u32_e32 v58, v60
	v_min_u32_e32 v62, 32, v58
	v_subrev_u32_e32 v58, 28, v62
	v_lshlrev_b64 v[58:59], v58, v[34:35]
	v_lshrrev_b32_e32 v61, 3, v36
	v_sub_u32_e32 v59, 29, v62
	v_and_b32_e32 v58, 7, v58
	v_cmp_gt_u32_e32 vcc, 8, v36
	v_cndmask_b32_e32 v36, v61, v59, vcc
	v_cndmask_b32_e32 v58, v60, v58, vcc
	v_lshlrev_b32_e32 v59, 24, v34
	v_lshlrev_b32_e32 v58, 20, v58
	v_and_b32_e32 v59, 0x80000000, v59
	v_lshl_add_u32 v36, v36, 23, v56
	v_or3_b32 v58, v59, v36, v58
.LBB655_243:                            ;   in Loop: Header=BB655_215 Depth=1
	s_or_b64 exec, exec, s[16:17]
.LBB655_244:                            ;   in Loop: Header=BB655_215 Depth=1
	s_or_b64 exec, exec, s[14:15]
.LBB655_245:                            ;   in Loop: Header=BB655_215 Depth=1
	s_or_b64 exec, exec, s[12:13]
	v_lshrrev_b16_e32 v36, 8, v34
	v_cmp_ne_u16_e32 vcc, 0, v36
	s_and_saveexec_b64 s[12:13], vcc
	s_cbranch_execz .LBB655_251
; %bb.246:                              ;   in Loop: Header=BB655_215 Depth=1
	v_cmp_ne_u16_e32 vcc, s9, v36
	v_bfrev_b32_e32 v42, 1
	s_and_saveexec_b64 s[14:15], vcc
	s_cbranch_execz .LBB655_250
; %bb.247:                              ;   in Loop: Header=BB655_215 Depth=1
	v_and_b32_e32 v59, 0x7f, v36
	v_cmp_ne_u32_e32 vcc, s19, v59
	v_mov_b32_e32 v42, 0x7f800001
	s_and_saveexec_b64 s[16:17], vcc
	s_cbranch_execz .LBB655_249
; %bb.248:                              ;   in Loop: Header=BB655_215 Depth=1
	v_and_b32_e32 v42, 7, v36
	v_ffbh_u32_e32 v60, v42
	v_min_u32_e32 v63, 32, v60
	v_subrev_u32_e32 v60, 28, v63
	v_lshlrev_b64 v[60:61], v60, v[36:37]
	v_lshrrev_b32_e32 v62, 3, v59
	v_sub_u32_e32 v36, 29, v63
	v_and_b32_e32 v60, 7, v60
	v_cmp_gt_u32_e32 vcc, 8, v59
	v_cndmask_b32_e32 v36, v62, v36, vcc
	v_cndmask_b32_e32 v42, v42, v60, vcc
	v_lshlrev_b32_e32 v59, 16, v34
	v_lshlrev_b32_e32 v42, 20, v42
	v_and_b32_e32 v59, 0x80000000, v59
	v_lshl_add_u32 v36, v36, 23, v56
	v_or3_b32 v42, v59, v36, v42
.LBB655_249:                            ;   in Loop: Header=BB655_215 Depth=1
	s_or_b64 exec, exec, s[16:17]
.LBB655_250:                            ;   in Loop: Header=BB655_215 Depth=1
	s_or_b64 exec, exec, s[14:15]
.LBB655_251:                            ;   in Loop: Header=BB655_215 Depth=1
	s_or_b64 exec, exec, s[12:13]
	v_lshrrev_b32_e32 v36, 16, v34
	v_cmp_ne_u16_sdwa s[14:15], v36, v55 src0_sel:BYTE_0 src1_sel:DWORD
	v_mov_b32_e32 v60, 0
	v_mov_b32_e32 v59, 0
	s_and_saveexec_b64 s[12:13], s[14:15]
	s_cbranch_execz .LBB655_257
; %bb.252:                              ;   in Loop: Header=BB655_215 Depth=1
	v_cmp_ne_u16_sdwa s[16:17], v36, s9 src0_sel:BYTE_0 src1_sel:DWORD
	v_bfrev_b32_e32 v59, 1
	s_and_saveexec_b64 s[14:15], s[16:17]
	s_cbranch_execz .LBB655_256
; %bb.253:                              ;   in Loop: Header=BB655_215 Depth=1
	v_bfe_u32 v61, v34, 16, 7
	v_cmp_ne_u32_e32 vcc, s19, v61
	v_mov_b32_e32 v59, 0x7f800001
	s_and_saveexec_b64 s[16:17], vcc
	s_cbranch_execz .LBB655_255
; %bb.254:                              ;   in Loop: Header=BB655_215 Depth=1
	v_and_b32_e32 v59, 7, v36
	v_ffbh_u32_e32 v62, v59
	v_min_u32_e32 v65, 32, v62
	v_subrev_u32_e32 v62, 28, v65
	v_lshlrev_b64 v[62:63], v62, v[36:37]
	v_lshrrev_b32_e32 v64, 3, v61
	v_sub_u32_e32 v63, 29, v65
	v_and_b32_e32 v62, 7, v62
	v_cmp_gt_u32_e32 vcc, 8, v61
	v_cndmask_b32_e32 v61, v64, v63, vcc
	v_cndmask_b32_e32 v59, v59, v62, vcc
	v_lshlrev_b32_e32 v36, 24, v36
	v_lshlrev_b32_e32 v59, 20, v59
	v_and_b32_e32 v36, 0x80000000, v36
	v_lshl_add_u32 v61, v61, 23, v56
	v_or3_b32 v59, v36, v61, v59
.LBB655_255:                            ;   in Loop: Header=BB655_215 Depth=1
	s_or_b64 exec, exec, s[16:17]
.LBB655_256:                            ;   in Loop: Header=BB655_215 Depth=1
	s_or_b64 exec, exec, s[14:15]
.LBB655_257:                            ;   in Loop: Header=BB655_215 Depth=1
	s_or_b64 exec, exec, s[12:13]
	v_cmp_lt_u32_e32 vcc, s20, v34
	s_and_saveexec_b64 s[12:13], vcc
	s_cbranch_execz .LBB655_263
; %bb.258:                              ;   in Loop: Header=BB655_215 Depth=1
	v_lshrrev_b32_e32 v36, 24, v34
	v_cmp_ne_u32_e32 vcc, s9, v36
	v_bfrev_b32_e32 v60, 1
	s_and_saveexec_b64 s[14:15], vcc
	s_cbranch_execz .LBB655_262
; %bb.259:                              ;   in Loop: Header=BB655_215 Depth=1
	v_bfe_u32 v34, v34, 24, 7
	v_cmp_ne_u32_e32 vcc, s19, v34
	v_mov_b32_e32 v60, 0x7f800001
	s_and_saveexec_b64 s[16:17], vcc
	s_cbranch_execz .LBB655_261
; %bb.260:                              ;   in Loop: Header=BB655_215 Depth=1
	v_and_b32_e32 v62, 7, v36
	v_ffbh_u32_e32 v60, v62
	v_min_u32_e32 v64, 32, v60
	v_subrev_u32_e32 v60, 28, v64
	v_lshlrev_b64 v[60:61], v60, v[36:37]
	v_lshrrev_b32_e32 v63, 3, v34
	v_sub_u32_e32 v61, 29, v64
	v_and_b32_e32 v60, 7, v60
	v_cmp_gt_u32_e32 vcc, 8, v34
	v_cndmask_b32_e32 v34, v63, v61, vcc
	v_cndmask_b32_e32 v60, v62, v60, vcc
	v_lshlrev_b32_e32 v36, 24, v36
	v_lshlrev_b32_e32 v60, 20, v60
	v_and_b32_e32 v36, 0x80000000, v36
	v_lshl_add_u32 v34, v34, 23, v56
	v_or3_b32 v60, v36, v34, v60
.LBB655_261:                            ;   in Loop: Header=BB655_215 Depth=1
	s_or_b64 exec, exec, s[16:17]
.LBB655_262:                            ;   in Loop: Header=BB655_215 Depth=1
	s_or_b64 exec, exec, s[14:15]
.LBB655_263:                            ;   in Loop: Header=BB655_215 Depth=1
	s_or_b64 exec, exec, s[12:13]
	v_cvt_pkrtz_f16_f32 v34, v35, v37
	v_cvt_pkrtz_f16_f32 v35, v44, v57
	;; [unrolled: 1-line block ×4, first 2 shown]
	v_mov_b32_e32 v44, 0
	v_mfma_f32_16x16x16f16 v[34:37], v[34:35], v[2:3], 0
	s_waitcnt vmcnt(1)
	v_cmp_ne_u16_sdwa s[14:15], v40, v55 src0_sel:BYTE_0 src1_sel:DWORD
	v_mov_b32_e32 v58, 0
	v_mfma_f32_16x16x16f16 v[34:37], v[62:63], v[4:5], v[34:37]
	s_and_saveexec_b64 s[12:13], s[14:15]
	s_cbranch_execz .LBB655_269
; %bb.264:                              ;   in Loop: Header=BB655_215 Depth=1
	v_cmp_ne_u16_sdwa s[16:17], v40, s9 src0_sel:BYTE_0 src1_sel:DWORD
	v_bfrev_b32_e32 v58, 1
	s_and_saveexec_b64 s[14:15], s[16:17]
	s_cbranch_execz .LBB655_268
; %bb.265:                              ;   in Loop: Header=BB655_215 Depth=1
	v_and_b32_e32 v42, 0x7f, v40
	v_cmp_ne_u32_e32 vcc, s19, v42
	v_mov_b32_e32 v58, 0x7f800001
	s_and_saveexec_b64 s[16:17], vcc
	s_cbranch_execz .LBB655_267
; %bb.266:                              ;   in Loop: Header=BB655_215 Depth=1
	v_and_b32_e32 v57, 7, v40
	v_ffbh_u32_e32 v58, v57
	v_min_u32_e32 v61, 32, v58
	v_subrev_u32_e32 v58, 28, v61
	v_lshlrev_b64 v[58:59], v58, v[40:41]
	v_lshrrev_b32_e32 v60, 3, v42
	v_sub_u32_e32 v59, 29, v61
	v_and_b32_e32 v58, 7, v58
	v_cmp_gt_u32_e32 vcc, 8, v42
	v_cndmask_b32_e32 v42, v60, v59, vcc
	v_cndmask_b32_e32 v57, v57, v58, vcc
	v_lshlrev_b32_e32 v58, 24, v40
	v_lshlrev_b32_e32 v57, 20, v57
	v_and_b32_e32 v58, 0x80000000, v58
	v_lshl_add_u32 v42, v42, 23, v56
	v_or3_b32 v58, v58, v42, v57
.LBB655_267:                            ;   in Loop: Header=BB655_215 Depth=1
	s_or_b64 exec, exec, s[16:17]
.LBB655_268:                            ;   in Loop: Header=BB655_215 Depth=1
	s_or_b64 exec, exec, s[14:15]
.LBB655_269:                            ;   in Loop: Header=BB655_215 Depth=1
	s_or_b64 exec, exec, s[12:13]
	v_lshrrev_b16_e32 v42, 8, v40
	v_cmp_ne_u16_e32 vcc, 0, v42
	v_mov_b32_e32 v59, 0
	s_and_saveexec_b64 s[12:13], vcc
	s_cbranch_execz .LBB655_275
; %bb.270:                              ;   in Loop: Header=BB655_215 Depth=1
	v_cmp_ne_u16_e32 vcc, s9, v42
	v_bfrev_b32_e32 v59, 1
	s_and_saveexec_b64 s[14:15], vcc
	s_cbranch_execz .LBB655_274
; %bb.271:                              ;   in Loop: Header=BB655_215 Depth=1
	v_and_b32_e32 v57, 0x7f, v42
	v_cmp_ne_u32_e32 vcc, s19, v57
	v_mov_b32_e32 v59, 0x7f800001
	s_and_saveexec_b64 s[16:17], vcc
	s_cbranch_execz .LBB655_273
; %bb.272:                              ;   in Loop: Header=BB655_215 Depth=1
	v_and_b32_e32 v59, 7, v42
	v_ffbh_u32_e32 v60, v59
	v_min_u32_e32 v63, 32, v60
	v_subrev_u32_e32 v60, 28, v63
	v_lshlrev_b64 v[60:61], v60, v[42:43]
	v_lshrrev_b32_e32 v62, 3, v57
	v_sub_u32_e32 v42, 29, v63
	v_and_b32_e32 v60, 7, v60
	v_cmp_gt_u32_e32 vcc, 8, v57
	v_cndmask_b32_e32 v42, v62, v42, vcc
	v_cndmask_b32_e32 v57, v59, v60, vcc
	v_lshlrev_b32_e32 v59, 16, v40
	v_lshlrev_b32_e32 v57, 20, v57
	v_and_b32_e32 v59, 0x80000000, v59
	v_lshl_add_u32 v42, v42, 23, v56
	v_or3_b32 v59, v59, v42, v57
.LBB655_273:                            ;   in Loop: Header=BB655_215 Depth=1
	s_or_b64 exec, exec, s[16:17]
.LBB655_274:                            ;   in Loop: Header=BB655_215 Depth=1
	s_or_b64 exec, exec, s[14:15]
.LBB655_275:                            ;   in Loop: Header=BB655_215 Depth=1
	s_or_b64 exec, exec, s[12:13]
	v_lshrrev_b32_e32 v42, 16, v40
	v_cmp_ne_u16_sdwa s[14:15], v42, v55 src0_sel:BYTE_0 src1_sel:DWORD
	s_and_saveexec_b64 s[12:13], s[14:15]
	s_cbranch_execz .LBB655_281
; %bb.276:                              ;   in Loop: Header=BB655_215 Depth=1
	v_cmp_ne_u16_sdwa s[16:17], v42, s9 src0_sel:BYTE_0 src1_sel:DWORD
	v_bfrev_b32_e32 v44, 1
	s_and_saveexec_b64 s[14:15], s[16:17]
	s_cbranch_execz .LBB655_280
; %bb.277:                              ;   in Loop: Header=BB655_215 Depth=1
	v_bfe_u32 v57, v40, 16, 7
	v_cmp_ne_u32_e32 vcc, s19, v57
	v_mov_b32_e32 v44, 0x7f800001
	s_and_saveexec_b64 s[16:17], vcc
	s_cbranch_execz .LBB655_279
; %bb.278:                              ;   in Loop: Header=BB655_215 Depth=1
	v_and_b32_e32 v44, 7, v42
	v_ffbh_u32_e32 v60, v44
	v_min_u32_e32 v63, 32, v60
	v_subrev_u32_e32 v60, 28, v63
	v_lshlrev_b64 v[60:61], v60, v[42:43]
	v_lshrrev_b32_e32 v62, 3, v57
	v_sub_u32_e32 v61, 29, v63
	v_and_b32_e32 v60, 7, v60
	v_cmp_gt_u32_e32 vcc, 8, v57
	v_cndmask_b32_e32 v57, v62, v61, vcc
	v_cndmask_b32_e32 v44, v44, v60, vcc
	v_lshlrev_b32_e32 v42, 24, v42
	v_lshlrev_b32_e32 v44, 20, v44
	v_and_b32_e32 v42, 0x80000000, v42
	v_lshl_add_u32 v57, v57, 23, v56
	v_or3_b32 v44, v42, v57, v44
.LBB655_279:                            ;   in Loop: Header=BB655_215 Depth=1
	s_or_b64 exec, exec, s[16:17]
.LBB655_280:                            ;   in Loop: Header=BB655_215 Depth=1
	s_or_b64 exec, exec, s[14:15]
.LBB655_281:                            ;   in Loop: Header=BB655_215 Depth=1
	s_or_b64 exec, exec, s[12:13]
	v_cmp_lt_u32_e32 vcc, s20, v40
	v_mov_b32_e32 v60, 0
	v_mov_b32_e32 v61, 0
	s_and_saveexec_b64 s[12:13], vcc
	s_cbranch_execz .LBB655_287
; %bb.282:                              ;   in Loop: Header=BB655_215 Depth=1
	v_lshrrev_b32_e32 v42, 24, v40
	v_cmp_ne_u32_e32 vcc, s9, v42
	v_bfrev_b32_e32 v61, 1
	s_and_saveexec_b64 s[14:15], vcc
	s_cbranch_execz .LBB655_286
; %bb.283:                              ;   in Loop: Header=BB655_215 Depth=1
	v_bfe_u32 v40, v40, 24, 7
	v_cmp_ne_u32_e32 vcc, s19, v40
	v_mov_b32_e32 v61, 0x7f800001
	s_and_saveexec_b64 s[16:17], vcc
	s_cbranch_execz .LBB655_285
; %bb.284:                              ;   in Loop: Header=BB655_215 Depth=1
	v_and_b32_e32 v57, 7, v42
	v_ffbh_u32_e32 v62, v57
	v_min_u32_e32 v64, 32, v62
	v_subrev_u32_e32 v62, 28, v64
	v_lshlrev_b64 v[62:63], v62, v[42:43]
	v_lshrrev_b32_e32 v61, 3, v40
	v_sub_u32_e32 v63, 29, v64
	v_and_b32_e32 v62, 7, v62
	v_cmp_gt_u32_e32 vcc, 8, v40
	v_cndmask_b32_e32 v40, v61, v63, vcc
	v_cndmask_b32_e32 v57, v57, v62, vcc
	v_lshlrev_b32_e32 v42, 24, v42
	v_lshlrev_b32_e32 v57, 20, v57
	v_and_b32_e32 v42, 0x80000000, v42
	v_lshl_add_u32 v40, v40, 23, v56
	v_or3_b32 v61, v42, v40, v57
.LBB655_285:                            ;   in Loop: Header=BB655_215 Depth=1
	s_or_b64 exec, exec, s[16:17]
.LBB655_286:                            ;   in Loop: Header=BB655_215 Depth=1
	s_or_b64 exec, exec, s[14:15]
.LBB655_287:                            ;   in Loop: Header=BB655_215 Depth=1
	s_or_b64 exec, exec, s[12:13]
	s_waitcnt vmcnt(0)
	v_cmp_ne_u16_sdwa s[14:15], v38, v55 src0_sel:BYTE_0 src1_sel:DWORD
	s_and_saveexec_b64 s[12:13], s[14:15]
	s_cbranch_execz .LBB655_293
; %bb.288:                              ;   in Loop: Header=BB655_215 Depth=1
	v_cmp_ne_u16_sdwa s[16:17], v38, s9 src0_sel:BYTE_0 src1_sel:DWORD
	v_bfrev_b32_e32 v60, 1
	s_and_saveexec_b64 s[14:15], s[16:17]
	s_cbranch_execz .LBB655_292
; %bb.289:                              ;   in Loop: Header=BB655_215 Depth=1
	v_and_b32_e32 v40, 0x7f, v38
	v_cmp_ne_u32_e32 vcc, s19, v40
	v_mov_b32_e32 v60, 0x7f800001
	s_and_saveexec_b64 s[16:17], vcc
	s_cbranch_execz .LBB655_291
; %bb.290:                              ;   in Loop: Header=BB655_215 Depth=1
	v_and_b32_e32 v42, 7, v38
	v_ffbh_u32_e32 v60, v42
	v_min_u32_e32 v60, 32, v60
	v_subrev_u32_e32 v62, 28, v60
	v_lshlrev_b64 v[62:63], v62, v[38:39]
	v_lshrrev_b32_e32 v57, 3, v40
	v_sub_u32_e32 v60, 29, v60
	v_and_b32_e32 v62, 7, v62
	v_cmp_gt_u32_e32 vcc, 8, v40
	v_cndmask_b32_e32 v40, v57, v60, vcc
	v_cndmask_b32_e32 v42, v42, v62, vcc
	v_lshlrev_b32_e32 v57, 24, v38
	v_lshlrev_b32_e32 v42, 20, v42
	v_and_b32_e32 v57, 0x80000000, v57
	v_lshl_add_u32 v40, v40, 23, v56
	v_or3_b32 v60, v57, v40, v42
.LBB655_291:                            ;   in Loop: Header=BB655_215 Depth=1
	s_or_b64 exec, exec, s[16:17]
.LBB655_292:                            ;   in Loop: Header=BB655_215 Depth=1
	s_or_b64 exec, exec, s[14:15]
.LBB655_293:                            ;   in Loop: Header=BB655_215 Depth=1
	s_or_b64 exec, exec, s[12:13]
	v_lshrrev_b16_e32 v40, 8, v38
	v_cmp_ne_u16_e32 vcc, 0, v40
	v_mov_b32_e32 v62, 0
	v_mov_b32_e32 v63, 0
	s_and_saveexec_b64 s[12:13], vcc
	s_cbranch_execz .LBB655_299
; %bb.294:                              ;   in Loop: Header=BB655_215 Depth=1
	v_cmp_ne_u16_e32 vcc, s9, v40
	v_bfrev_b32_e32 v63, 1
	s_and_saveexec_b64 s[14:15], vcc
	s_cbranch_execz .LBB655_298
; %bb.295:                              ;   in Loop: Header=BB655_215 Depth=1
	v_and_b32_e32 v42, 0x7f, v40
	v_cmp_ne_u32_e32 vcc, s19, v42
	v_mov_b32_e32 v63, 0x7f800001
	s_and_saveexec_b64 s[16:17], vcc
	s_cbranch_execz .LBB655_297
; %bb.296:                              ;   in Loop: Header=BB655_215 Depth=1
	v_and_b32_e32 v57, 7, v40
	v_ffbh_u32_e32 v64, v57
	v_min_u32_e32 v66, 32, v64
	v_subrev_u32_e32 v64, 28, v66
	v_lshlrev_b64 v[64:65], v64, v[40:41]
	v_lshrrev_b32_e32 v63, 3, v42
	v_sub_u32_e32 v40, 29, v66
	v_and_b32_e32 v64, 7, v64
	v_cmp_gt_u32_e32 vcc, 8, v42
	v_cndmask_b32_e32 v40, v63, v40, vcc
	v_cndmask_b32_e32 v42, v57, v64, vcc
	v_lshlrev_b32_e32 v57, 16, v38
	v_lshlrev_b32_e32 v42, 20, v42
	v_and_b32_e32 v57, 0x80000000, v57
	v_lshl_add_u32 v40, v40, 23, v56
	v_or3_b32 v63, v57, v40, v42
.LBB655_297:                            ;   in Loop: Header=BB655_215 Depth=1
	s_or_b64 exec, exec, s[16:17]
.LBB655_298:                            ;   in Loop: Header=BB655_215 Depth=1
	s_or_b64 exec, exec, s[14:15]
.LBB655_299:                            ;   in Loop: Header=BB655_215 Depth=1
	s_or_b64 exec, exec, s[12:13]
	v_lshrrev_b32_e32 v40, 16, v38
	v_cmp_ne_u16_sdwa s[14:15], v40, v55 src0_sel:BYTE_0 src1_sel:DWORD
	s_and_saveexec_b64 s[12:13], s[14:15]
	s_cbranch_execz .LBB655_305
; %bb.300:                              ;   in Loop: Header=BB655_215 Depth=1
	v_cmp_ne_u16_sdwa s[16:17], v40, s9 src0_sel:BYTE_0 src1_sel:DWORD
	v_bfrev_b32_e32 v62, 1
	s_and_saveexec_b64 s[14:15], s[16:17]
	s_cbranch_execz .LBB655_304
; %bb.301:                              ;   in Loop: Header=BB655_215 Depth=1
	v_bfe_u32 v42, v38, 16, 7
	v_cmp_ne_u32_e32 vcc, s19, v42
	v_mov_b32_e32 v62, 0x7f800001
	s_and_saveexec_b64 s[16:17], vcc
	s_cbranch_execz .LBB655_303
; %bb.302:                              ;   in Loop: Header=BB655_215 Depth=1
	v_and_b32_e32 v57, 7, v40
	v_ffbh_u32_e32 v64, v57
	v_min_u32_e32 v66, 32, v64
	v_subrev_u32_e32 v64, 28, v66
	v_lshlrev_b64 v[64:65], v64, v[40:41]
	v_lshrrev_b32_e32 v62, 3, v42
	v_sub_u32_e32 v65, 29, v66
	v_and_b32_e32 v64, 7, v64
	v_cmp_gt_u32_e32 vcc, 8, v42
	v_cndmask_b32_e32 v42, v62, v65, vcc
	v_cndmask_b32_e32 v57, v57, v64, vcc
	v_lshlrev_b32_e32 v40, 24, v40
	v_lshlrev_b32_e32 v57, 20, v57
	v_and_b32_e32 v40, 0x80000000, v40
	v_lshl_add_u32 v42, v42, 23, v56
	v_or3_b32 v62, v40, v42, v57
.LBB655_303:                            ;   in Loop: Header=BB655_215 Depth=1
	s_or_b64 exec, exec, s[16:17]
.LBB655_304:                            ;   in Loop: Header=BB655_215 Depth=1
	s_or_b64 exec, exec, s[14:15]
.LBB655_305:                            ;   in Loop: Header=BB655_215 Depth=1
	s_or_b64 exec, exec, s[12:13]
	v_cmp_lt_u32_e32 vcc, s20, v38
	v_mov_b32_e32 v57, 0
	v_mov_b32_e32 v64, 0
	s_and_saveexec_b64 s[12:13], vcc
	s_cbranch_execz .LBB655_311
; %bb.306:                              ;   in Loop: Header=BB655_215 Depth=1
	v_lshrrev_b32_e32 v40, 24, v38
	v_cmp_ne_u32_e32 vcc, s9, v40
	v_bfrev_b32_e32 v64, 1
	s_and_saveexec_b64 s[14:15], vcc
	s_cbranch_execz .LBB655_310
; %bb.307:                              ;   in Loop: Header=BB655_215 Depth=1
	v_bfe_u32 v38, v38, 24, 7
	v_cmp_ne_u32_e32 vcc, s19, v38
	v_mov_b32_e32 v64, 0x7f800001
	s_and_saveexec_b64 s[16:17], vcc
	s_cbranch_execz .LBB655_309
; %bb.308:                              ;   in Loop: Header=BB655_215 Depth=1
	v_and_b32_e32 v42, 7, v40
	v_ffbh_u32_e32 v64, v42
	v_min_u32_e32 v67, 32, v64
	v_subrev_u32_e32 v64, 28, v67
	v_lshlrev_b64 v[64:65], v64, v[40:41]
	v_lshrrev_b32_e32 v66, 3, v38
	v_sub_u32_e32 v65, 29, v67
	v_and_b32_e32 v64, 7, v64
	v_cmp_gt_u32_e32 vcc, 8, v38
	v_cndmask_b32_e32 v38, v66, v65, vcc
	v_cndmask_b32_e32 v42, v42, v64, vcc
	v_lshlrev_b32_e32 v40, 24, v40
	v_lshlrev_b32_e32 v42, 20, v42
	v_and_b32_e32 v40, 0x80000000, v40
	v_lshl_add_u32 v38, v38, 23, v56
	v_or3_b32 v64, v40, v38, v42
.LBB655_309:                            ;   in Loop: Header=BB655_215 Depth=1
	s_or_b64 exec, exec, s[16:17]
.LBB655_310:                            ;   in Loop: Header=BB655_215 Depth=1
	s_or_b64 exec, exec, s[14:15]
.LBB655_311:                            ;   in Loop: Header=BB655_215 Depth=1
	s_or_b64 exec, exec, s[12:13]
	v_cvt_pkrtz_f16_f32 v58, v58, v59
	v_cvt_pkrtz_f16_f32 v59, v44, v61
	buffer_load_dword v44, v46, s[0:3], 0 offen
	buffer_load_dword v42, v46, s[0:3], 0 offen offset:4
	buffer_load_dword v40, v46, s[0:3], 0 offen offset:8
	;; [unrolled: 1-line block ×3, first 2 shown]
	v_mfma_f32_16x16x16f16 v[34:37], v[58:59], v[6:7], v[34:37]
	v_cvt_pkrtz_f16_f32 v58, v60, v63
	v_cvt_pkrtz_f16_f32 v59, v62, v64
	s_waitcnt vmcnt(3)
	v_cmp_ne_u16_sdwa s[14:15], v44, v55 src0_sel:BYTE_0 src1_sel:DWORD
	v_mfma_f32_16x16x16f16 v[34:37], v[58:59], v[8:9], v[34:37]
	s_and_saveexec_b64 s[12:13], s[14:15]
	s_cbranch_execz .LBB655_317
; %bb.312:                              ;   in Loop: Header=BB655_215 Depth=1
	v_cmp_ne_u16_sdwa s[16:17], v44, s9 src0_sel:BYTE_0 src1_sel:DWORD
	v_bfrev_b32_e32 v57, 1
	s_and_saveexec_b64 s[14:15], s[16:17]
	s_cbranch_execz .LBB655_316
; %bb.313:                              ;   in Loop: Header=BB655_215 Depth=1
	v_and_b32_e32 v46, 0x7f, v44
	v_cmp_ne_u32_e32 vcc, s19, v46
	v_mov_b32_e32 v57, 0x7f800001
	s_and_saveexec_b64 s[16:17], vcc
	s_cbranch_execz .LBB655_315
; %bb.314:                              ;   in Loop: Header=BB655_215 Depth=1
	v_and_b32_e32 v57, 7, v44
	v_ffbh_u32_e32 v58, v57
	v_min_u32_e32 v61, 32, v58
	v_subrev_u32_e32 v58, 28, v61
	v_lshlrev_b64 v[58:59], v58, v[44:45]
	v_lshrrev_b32_e32 v60, 3, v46
	v_sub_u32_e32 v59, 29, v61
	v_and_b32_e32 v58, 7, v58
	v_cmp_gt_u32_e32 vcc, 8, v46
	v_cndmask_b32_e32 v46, v60, v59, vcc
	v_cndmask_b32_e32 v57, v57, v58, vcc
	v_lshlrev_b32_e32 v58, 24, v44
	v_lshlrev_b32_e32 v57, 20, v57
	v_and_b32_e32 v58, 0x80000000, v58
	v_lshl_add_u32 v46, v46, 23, v56
	v_or3_b32 v57, v58, v46, v57
.LBB655_315:                            ;   in Loop: Header=BB655_215 Depth=1
	s_or_b64 exec, exec, s[16:17]
.LBB655_316:                            ;   in Loop: Header=BB655_215 Depth=1
	s_or_b64 exec, exec, s[14:15]
.LBB655_317:                            ;   in Loop: Header=BB655_215 Depth=1
	s_or_b64 exec, exec, s[12:13]
	v_lshrrev_b16_e32 v46, 8, v44
	v_cmp_ne_u16_e32 vcc, 0, v46
	v_mov_b32_e32 v58, 0
	v_mov_b32_e32 v59, 0
	s_and_saveexec_b64 s[12:13], vcc
	s_cbranch_execz .LBB655_323
; %bb.318:                              ;   in Loop: Header=BB655_215 Depth=1
	v_cmp_ne_u16_e32 vcc, s9, v46
	v_bfrev_b32_e32 v59, 1
	s_and_saveexec_b64 s[14:15], vcc
	s_cbranch_execz .LBB655_322
; %bb.319:                              ;   in Loop: Header=BB655_215 Depth=1
	v_and_b32_e32 v60, 0x7f, v46
	v_cmp_ne_u32_e32 vcc, s19, v60
	v_mov_b32_e32 v59, 0x7f800001
	s_and_saveexec_b64 s[16:17], vcc
	s_cbranch_execz .LBB655_321
; %bb.320:                              ;   in Loop: Header=BB655_215 Depth=1
	v_and_b32_e32 v59, 7, v46
	v_ffbh_u32_e32 v62, v59
	v_min_u32_e32 v64, 32, v62
	v_subrev_u32_e32 v62, 28, v64
	v_lshlrev_b64 v[62:63], v62, v[46:47]
	v_lshrrev_b32_e32 v61, 3, v60
	v_sub_u32_e32 v46, 29, v64
	v_and_b32_e32 v62, 7, v62
	v_cmp_gt_u32_e32 vcc, 8, v60
	v_cndmask_b32_e32 v46, v61, v46, vcc
	v_cndmask_b32_e32 v59, v59, v62, vcc
	v_lshlrev_b32_e32 v60, 16, v44
	v_lshlrev_b32_e32 v59, 20, v59
	v_and_b32_e32 v60, 0x80000000, v60
	v_lshl_add_u32 v46, v46, 23, v56
	v_or3_b32 v59, v60, v46, v59
.LBB655_321:                            ;   in Loop: Header=BB655_215 Depth=1
	s_or_b64 exec, exec, s[16:17]
.LBB655_322:                            ;   in Loop: Header=BB655_215 Depth=1
	s_or_b64 exec, exec, s[14:15]
.LBB655_323:                            ;   in Loop: Header=BB655_215 Depth=1
	s_or_b64 exec, exec, s[12:13]
	v_lshrrev_b32_e32 v46, 16, v44
	v_cmp_ne_u16_sdwa s[14:15], v46, v55 src0_sel:BYTE_0 src1_sel:DWORD
	s_and_saveexec_b64 s[12:13], s[14:15]
	s_cbranch_execz .LBB655_329
; %bb.324:                              ;   in Loop: Header=BB655_215 Depth=1
	v_cmp_ne_u16_sdwa s[16:17], v46, s9 src0_sel:BYTE_0 src1_sel:DWORD
	v_bfrev_b32_e32 v58, 1
	s_and_saveexec_b64 s[14:15], s[16:17]
	s_cbranch_execz .LBB655_328
; %bb.325:                              ;   in Loop: Header=BB655_215 Depth=1
	v_bfe_u32 v60, v44, 16, 7
	v_cmp_ne_u32_e32 vcc, s19, v60
	v_mov_b32_e32 v58, 0x7f800001
	s_and_saveexec_b64 s[16:17], vcc
	s_cbranch_execz .LBB655_327
; %bb.326:                              ;   in Loop: Header=BB655_215 Depth=1
	v_and_b32_e32 v58, 7, v46
	v_ffbh_u32_e32 v62, v58
	v_min_u32_e32 v64, 32, v62
	v_subrev_u32_e32 v62, 28, v64
	v_lshlrev_b64 v[62:63], v62, v[46:47]
	v_lshrrev_b32_e32 v61, 3, v60
	v_sub_u32_e32 v63, 29, v64
	v_and_b32_e32 v62, 7, v62
	v_cmp_gt_u32_e32 vcc, 8, v60
	v_cndmask_b32_e32 v60, v61, v63, vcc
	v_cndmask_b32_e32 v58, v58, v62, vcc
	v_lshlrev_b32_e32 v46, 24, v46
	v_lshlrev_b32_e32 v58, 20, v58
	v_and_b32_e32 v46, 0x80000000, v46
	v_lshl_add_u32 v60, v60, 23, v56
	v_or3_b32 v58, v46, v60, v58
.LBB655_327:                            ;   in Loop: Header=BB655_215 Depth=1
	s_or_b64 exec, exec, s[16:17]
.LBB655_328:                            ;   in Loop: Header=BB655_215 Depth=1
	s_or_b64 exec, exec, s[14:15]
.LBB655_329:                            ;   in Loop: Header=BB655_215 Depth=1
	s_or_b64 exec, exec, s[12:13]
	v_cmp_lt_u32_e32 vcc, s20, v44
	v_mov_b32_e32 v60, 0
	v_mov_b32_e32 v61, 0
	s_and_saveexec_b64 s[12:13], vcc
	s_cbranch_execz .LBB655_335
; %bb.330:                              ;   in Loop: Header=BB655_215 Depth=1
	v_lshrrev_b32_e32 v46, 24, v44
	v_cmp_ne_u32_e32 vcc, s9, v46
	v_bfrev_b32_e32 v61, 1
	s_and_saveexec_b64 s[14:15], vcc
	s_cbranch_execz .LBB655_334
; %bb.331:                              ;   in Loop: Header=BB655_215 Depth=1
	v_bfe_u32 v44, v44, 24, 7
	v_cmp_ne_u32_e32 vcc, s19, v44
	v_mov_b32_e32 v61, 0x7f800001
	s_and_saveexec_b64 s[16:17], vcc
	s_cbranch_execz .LBB655_333
; %bb.332:                              ;   in Loop: Header=BB655_215 Depth=1
	v_and_b32_e32 v61, 7, v46
	v_ffbh_u32_e32 v62, v61
	v_min_u32_e32 v65, 32, v62
	v_subrev_u32_e32 v62, 28, v65
	v_lshlrev_b64 v[62:63], v62, v[46:47]
	v_lshrrev_b32_e32 v64, 3, v44
	v_sub_u32_e32 v63, 29, v65
	v_and_b32_e32 v62, 7, v62
	v_cmp_gt_u32_e32 vcc, 8, v44
	v_cndmask_b32_e32 v44, v64, v63, vcc
	v_cndmask_b32_e32 v61, v61, v62, vcc
	v_lshlrev_b32_e32 v46, 24, v46
	v_lshlrev_b32_e32 v61, 20, v61
	v_and_b32_e32 v46, 0x80000000, v46
	v_lshl_add_u32 v44, v44, 23, v56
	v_or3_b32 v61, v46, v44, v61
.LBB655_333:                            ;   in Loop: Header=BB655_215 Depth=1
	s_or_b64 exec, exec, s[16:17]
.LBB655_334:                            ;   in Loop: Header=BB655_215 Depth=1
	s_or_b64 exec, exec, s[14:15]
.LBB655_335:                            ;   in Loop: Header=BB655_215 Depth=1
	s_or_b64 exec, exec, s[12:13]
	s_waitcnt vmcnt(2)
	v_cmp_ne_u16_sdwa s[14:15], v42, v55 src0_sel:BYTE_0 src1_sel:DWORD
	s_and_saveexec_b64 s[12:13], s[14:15]
	s_cbranch_execz .LBB655_341
; %bb.336:                              ;   in Loop: Header=BB655_215 Depth=1
	v_cmp_ne_u16_sdwa s[16:17], v42, s9 src0_sel:BYTE_0 src1_sel:DWORD
	v_bfrev_b32_e32 v60, 1
	s_and_saveexec_b64 s[14:15], s[16:17]
	s_cbranch_execz .LBB655_340
; %bb.337:                              ;   in Loop: Header=BB655_215 Depth=1
	v_and_b32_e32 v44, 0x7f, v42
	v_cmp_ne_u32_e32 vcc, s19, v44
	v_mov_b32_e32 v60, 0x7f800001
	s_and_saveexec_b64 s[16:17], vcc
	s_cbranch_execz .LBB655_339
; %bb.338:                              ;   in Loop: Header=BB655_215 Depth=1
	v_and_b32_e32 v46, 7, v42
	v_ffbh_u32_e32 v62, v46
	v_min_u32_e32 v64, 32, v62
	v_subrev_u32_e32 v62, 28, v64
	v_lshlrev_b64 v[62:63], v62, v[42:43]
	v_lshrrev_b32_e32 v60, 3, v44
	v_sub_u32_e32 v63, 29, v64
	v_and_b32_e32 v62, 7, v62
	v_cmp_gt_u32_e32 vcc, 8, v44
	v_cndmask_b32_e32 v44, v60, v63, vcc
	v_cndmask_b32_e32 v46, v46, v62, vcc
	v_lshlrev_b32_e32 v60, 24, v42
	v_lshlrev_b32_e32 v46, 20, v46
	v_and_b32_e32 v60, 0x80000000, v60
	v_lshl_add_u32 v44, v44, 23, v56
	v_or3_b32 v60, v60, v44, v46
.LBB655_339:                            ;   in Loop: Header=BB655_215 Depth=1
	s_or_b64 exec, exec, s[16:17]
.LBB655_340:                            ;   in Loop: Header=BB655_215 Depth=1
	s_or_b64 exec, exec, s[14:15]
.LBB655_341:                            ;   in Loop: Header=BB655_215 Depth=1
	s_or_b64 exec, exec, s[12:13]
	v_lshrrev_b16_e32 v44, 8, v42
	v_cmp_ne_u16_e32 vcc, 0, v44
	v_mov_b32_e32 v62, 0
	v_mov_b32_e32 v63, 0
	s_and_saveexec_b64 s[12:13], vcc
	s_cbranch_execz .LBB655_347
; %bb.342:                              ;   in Loop: Header=BB655_215 Depth=1
	v_cmp_ne_u16_e32 vcc, s9, v44
	v_bfrev_b32_e32 v63, 1
	s_and_saveexec_b64 s[14:15], vcc
	s_cbranch_execz .LBB655_346
; %bb.343:                              ;   in Loop: Header=BB655_215 Depth=1
	v_and_b32_e32 v46, 0x7f, v44
	v_cmp_ne_u32_e32 vcc, s19, v46
	v_mov_b32_e32 v63, 0x7f800001
	s_and_saveexec_b64 s[16:17], vcc
	s_cbranch_execz .LBB655_345
; %bb.344:                              ;   in Loop: Header=BB655_215 Depth=1
	v_and_b32_e32 v63, 7, v44
	v_ffbh_u32_e32 v64, v63
	v_min_u32_e32 v67, 32, v64
	v_subrev_u32_e32 v64, 28, v67
	v_lshlrev_b64 v[64:65], v64, v[44:45]
	v_lshrrev_b32_e32 v66, 3, v46
	v_sub_u32_e32 v44, 29, v67
	v_and_b32_e32 v64, 7, v64
	v_cmp_gt_u32_e32 vcc, 8, v46
	v_cndmask_b32_e32 v44, v66, v44, vcc
	v_cndmask_b32_e32 v46, v63, v64, vcc
	v_lshlrev_b32_e32 v63, 16, v42
	v_lshlrev_b32_e32 v46, 20, v46
	v_and_b32_e32 v63, 0x80000000, v63
	v_lshl_add_u32 v44, v44, 23, v56
	v_or3_b32 v63, v63, v44, v46
.LBB655_345:                            ;   in Loop: Header=BB655_215 Depth=1
	s_or_b64 exec, exec, s[16:17]
.LBB655_346:                            ;   in Loop: Header=BB655_215 Depth=1
	s_or_b64 exec, exec, s[14:15]
.LBB655_347:                            ;   in Loop: Header=BB655_215 Depth=1
	s_or_b64 exec, exec, s[12:13]
	v_lshrrev_b32_e32 v44, 16, v42
	v_cmp_ne_u16_sdwa s[14:15], v44, v55 src0_sel:BYTE_0 src1_sel:DWORD
	s_and_saveexec_b64 s[12:13], s[14:15]
	s_cbranch_execz .LBB655_353
; %bb.348:                              ;   in Loop: Header=BB655_215 Depth=1
	v_cmp_ne_u16_sdwa s[16:17], v44, s9 src0_sel:BYTE_0 src1_sel:DWORD
	v_bfrev_b32_e32 v62, 1
	s_and_saveexec_b64 s[14:15], s[16:17]
	s_cbranch_execz .LBB655_352
; %bb.349:                              ;   in Loop: Header=BB655_215 Depth=1
	v_bfe_u32 v46, v42, 16, 7
	v_cmp_ne_u32_e32 vcc, s19, v46
	v_mov_b32_e32 v62, 0x7f800001
	s_and_saveexec_b64 s[16:17], vcc
	s_cbranch_execz .LBB655_351
; %bb.350:                              ;   in Loop: Header=BB655_215 Depth=1
	v_and_b32_e32 v62, 7, v44
	v_ffbh_u32_e32 v64, v62
	v_min_u32_e32 v67, 32, v64
	v_subrev_u32_e32 v64, 28, v67
	v_lshlrev_b64 v[64:65], v64, v[44:45]
	v_lshrrev_b32_e32 v66, 3, v46
	v_sub_u32_e32 v65, 29, v67
	v_and_b32_e32 v64, 7, v64
	v_cmp_gt_u32_e32 vcc, 8, v46
	v_cndmask_b32_e32 v46, v66, v65, vcc
	v_cndmask_b32_e32 v62, v62, v64, vcc
	v_lshlrev_b32_e32 v44, 24, v44
	v_lshlrev_b32_e32 v62, 20, v62
	v_and_b32_e32 v44, 0x80000000, v44
	v_lshl_add_u32 v46, v46, 23, v56
	v_or3_b32 v62, v44, v46, v62
.LBB655_351:                            ;   in Loop: Header=BB655_215 Depth=1
	s_or_b64 exec, exec, s[16:17]
.LBB655_352:                            ;   in Loop: Header=BB655_215 Depth=1
	s_or_b64 exec, exec, s[14:15]
.LBB655_353:                            ;   in Loop: Header=BB655_215 Depth=1
	s_or_b64 exec, exec, s[12:13]
	v_cmp_lt_u32_e32 vcc, s20, v42
	v_mov_b32_e32 v46, 0
	v_mov_b32_e32 v64, 0
	s_and_saveexec_b64 s[12:13], vcc
	s_cbranch_execz .LBB655_359
; %bb.354:                              ;   in Loop: Header=BB655_215 Depth=1
	v_lshrrev_b32_e32 v44, 24, v42
	v_cmp_ne_u32_e32 vcc, s9, v44
	v_bfrev_b32_e32 v64, 1
	s_and_saveexec_b64 s[14:15], vcc
	s_cbranch_execz .LBB655_358
; %bb.355:                              ;   in Loop: Header=BB655_215 Depth=1
	v_bfe_u32 v42, v42, 24, 7
	v_cmp_ne_u32_e32 vcc, s19, v42
	v_mov_b32_e32 v64, 0x7f800001
	s_and_saveexec_b64 s[16:17], vcc
	s_cbranch_execz .LBB655_357
; %bb.356:                              ;   in Loop: Header=BB655_215 Depth=1
	v_and_b32_e32 v66, 7, v44
	v_ffbh_u32_e32 v64, v66
	v_min_u32_e32 v68, 32, v64
	v_subrev_u32_e32 v64, 28, v68
	v_lshlrev_b64 v[64:65], v64, v[44:45]
	v_lshrrev_b32_e32 v67, 3, v42
	v_sub_u32_e32 v65, 29, v68
	v_and_b32_e32 v64, 7, v64
	v_cmp_gt_u32_e32 vcc, 8, v42
	v_cndmask_b32_e32 v42, v67, v65, vcc
	v_cndmask_b32_e32 v64, v66, v64, vcc
	v_lshlrev_b32_e32 v44, 24, v44
	v_lshlrev_b32_e32 v64, 20, v64
	v_and_b32_e32 v44, 0x80000000, v44
	v_lshl_add_u32 v42, v42, 23, v56
	v_or3_b32 v64, v44, v42, v64
.LBB655_357:                            ;   in Loop: Header=BB655_215 Depth=1
	s_or_b64 exec, exec, s[16:17]
.LBB655_358:                            ;   in Loop: Header=BB655_215 Depth=1
	s_or_b64 exec, exec, s[14:15]
.LBB655_359:                            ;   in Loop: Header=BB655_215 Depth=1
	s_or_b64 exec, exec, s[12:13]
	v_cvt_pkrtz_f16_f32 v66, v57, v59
	v_cvt_pkrtz_f16_f32 v67, v58, v61
	;; [unrolled: 1-line block ×4, first 2 shown]
	s_waitcnt vmcnt(1)
	v_cmp_ne_u16_sdwa s[14:15], v40, v55 src0_sel:BYTE_0 src1_sel:DWORD
	v_mfma_f32_16x16x16f16 v[34:37], v[66:67], v[10:11], v[34:37]
	v_mfma_f32_16x16x16f16 v[34:37], v[58:59], v[12:13], v[34:37]
	s_and_saveexec_b64 s[12:13], s[14:15]
	s_cbranch_execz .LBB655_365
; %bb.360:                              ;   in Loop: Header=BB655_215 Depth=1
	v_cmp_ne_u16_sdwa s[16:17], v40, s9 src0_sel:BYTE_0 src1_sel:DWORD
	v_bfrev_b32_e32 v46, 1
	s_and_saveexec_b64 s[14:15], s[16:17]
	s_cbranch_execz .LBB655_364
; %bb.361:                              ;   in Loop: Header=BB655_215 Depth=1
	v_and_b32_e32 v42, 0x7f, v40
	v_cmp_ne_u32_e32 vcc, s19, v42
	v_mov_b32_e32 v46, 0x7f800001
	s_and_saveexec_b64 s[16:17], vcc
	s_cbranch_execz .LBB655_363
; %bb.362:                              ;   in Loop: Header=BB655_215 Depth=1
	v_and_b32_e32 v44, 7, v40
	v_ffbh_u32_e32 v57, v44
	v_min_u32_e32 v57, 32, v57
	v_subrev_u32_e32 v58, 28, v57
	v_lshlrev_b64 v[58:59], v58, v[40:41]
	v_lshrrev_b32_e32 v46, 3, v42
	v_sub_u32_e32 v57, 29, v57
	v_and_b32_e32 v58, 7, v58
	v_cmp_gt_u32_e32 vcc, 8, v42
	v_cndmask_b32_e32 v42, v46, v57, vcc
	v_cndmask_b32_e32 v44, v44, v58, vcc
	v_lshlrev_b32_e32 v46, 24, v40
	v_lshlrev_b32_e32 v44, 20, v44
	v_and_b32_e32 v46, 0x80000000, v46
	v_lshl_add_u32 v42, v42, 23, v56
	v_or3_b32 v46, v46, v42, v44
.LBB655_363:                            ;   in Loop: Header=BB655_215 Depth=1
	s_or_b64 exec, exec, s[16:17]
.LBB655_364:                            ;   in Loop: Header=BB655_215 Depth=1
	s_or_b64 exec, exec, s[14:15]
.LBB655_365:                            ;   in Loop: Header=BB655_215 Depth=1
	s_or_b64 exec, exec, s[12:13]
	v_lshrrev_b16_e32 v42, 8, v40
	v_cmp_ne_u16_e32 vcc, 0, v42
	v_mov_b32_e32 v44, 0
	v_mov_b32_e32 v58, 0
	s_and_saveexec_b64 s[12:13], vcc
	s_cbranch_execz .LBB655_371
; %bb.366:                              ;   in Loop: Header=BB655_215 Depth=1
	v_cmp_ne_u16_e32 vcc, s9, v42
	v_bfrev_b32_e32 v58, 1
	s_and_saveexec_b64 s[14:15], vcc
	s_cbranch_execz .LBB655_370
; %bb.367:                              ;   in Loop: Header=BB655_215 Depth=1
	v_and_b32_e32 v57, 0x7f, v42
	v_cmp_ne_u32_e32 vcc, s19, v57
	v_mov_b32_e32 v58, 0x7f800001
	s_and_saveexec_b64 s[16:17], vcc
	s_cbranch_execz .LBB655_369
; %bb.368:                              ;   in Loop: Header=BB655_215 Depth=1
	v_and_b32_e32 v60, 7, v42
	v_ffbh_u32_e32 v58, v60
	v_min_u32_e32 v62, 32, v58
	v_subrev_u32_e32 v58, 28, v62
	v_lshlrev_b64 v[58:59], v58, v[42:43]
	v_lshrrev_b32_e32 v61, 3, v57
	v_sub_u32_e32 v42, 29, v62
	v_and_b32_e32 v58, 7, v58
	v_cmp_gt_u32_e32 vcc, 8, v57
	v_cndmask_b32_e32 v42, v61, v42, vcc
	v_cndmask_b32_e32 v57, v60, v58, vcc
	v_lshlrev_b32_e32 v58, 16, v40
	v_lshlrev_b32_e32 v57, 20, v57
	v_and_b32_e32 v58, 0x80000000, v58
	v_lshl_add_u32 v42, v42, 23, v56
	v_or3_b32 v58, v58, v42, v57
.LBB655_369:                            ;   in Loop: Header=BB655_215 Depth=1
	s_or_b64 exec, exec, s[16:17]
.LBB655_370:                            ;   in Loop: Header=BB655_215 Depth=1
	s_or_b64 exec, exec, s[14:15]
.LBB655_371:                            ;   in Loop: Header=BB655_215 Depth=1
	s_or_b64 exec, exec, s[12:13]
	v_lshrrev_b32_e32 v42, 16, v40
	v_cmp_ne_u16_sdwa s[14:15], v42, v55 src0_sel:BYTE_0 src1_sel:DWORD
	s_and_saveexec_b64 s[12:13], s[14:15]
	s_cbranch_execz .LBB655_377
; %bb.372:                              ;   in Loop: Header=BB655_215 Depth=1
	v_cmp_ne_u16_sdwa s[16:17], v42, s9 src0_sel:BYTE_0 src1_sel:DWORD
	v_bfrev_b32_e32 v44, 1
	s_and_saveexec_b64 s[14:15], s[16:17]
	s_cbranch_execz .LBB655_376
; %bb.373:                              ;   in Loop: Header=BB655_215 Depth=1
	v_bfe_u32 v57, v40, 16, 7
	v_cmp_ne_u32_e32 vcc, s19, v57
	v_mov_b32_e32 v44, 0x7f800001
	s_and_saveexec_b64 s[16:17], vcc
	s_cbranch_execz .LBB655_375
; %bb.374:                              ;   in Loop: Header=BB655_215 Depth=1
	v_and_b32_e32 v44, 7, v42
	v_ffbh_u32_e32 v60, v44
	v_min_u32_e32 v62, 32, v60
	v_subrev_u32_e32 v60, 28, v62
	v_lshlrev_b64 v[60:61], v60, v[42:43]
	v_lshrrev_b32_e32 v59, 3, v57
	v_sub_u32_e32 v61, 29, v62
	v_and_b32_e32 v60, 7, v60
	v_cmp_gt_u32_e32 vcc, 8, v57
	v_cndmask_b32_e32 v57, v59, v61, vcc
	v_cndmask_b32_e32 v44, v44, v60, vcc
	v_lshlrev_b32_e32 v42, 24, v42
	v_lshlrev_b32_e32 v44, 20, v44
	v_and_b32_e32 v42, 0x80000000, v42
	v_lshl_add_u32 v57, v57, 23, v56
	v_or3_b32 v44, v42, v57, v44
.LBB655_375:                            ;   in Loop: Header=BB655_215 Depth=1
	s_or_b64 exec, exec, s[16:17]
.LBB655_376:                            ;   in Loop: Header=BB655_215 Depth=1
	s_or_b64 exec, exec, s[14:15]
.LBB655_377:                            ;   in Loop: Header=BB655_215 Depth=1
	s_or_b64 exec, exec, s[12:13]
	v_cmp_lt_u32_e32 vcc, s20, v40
	v_mov_b32_e32 v59, 0
	v_mov_b32_e32 v60, 0
	s_and_saveexec_b64 s[12:13], vcc
	s_cbranch_execz .LBB655_383
; %bb.378:                              ;   in Loop: Header=BB655_215 Depth=1
	v_lshrrev_b32_e32 v42, 24, v40
	v_cmp_ne_u32_e32 vcc, s9, v42
	v_bfrev_b32_e32 v60, 1
	s_and_saveexec_b64 s[14:15], vcc
	s_cbranch_execz .LBB655_382
; %bb.379:                              ;   in Loop: Header=BB655_215 Depth=1
	v_bfe_u32 v40, v40, 24, 7
	v_cmp_ne_u32_e32 vcc, s19, v40
	v_mov_b32_e32 v60, 0x7f800001
	s_and_saveexec_b64 s[16:17], vcc
	s_cbranch_execz .LBB655_381
; %bb.380:                              ;   in Loop: Header=BB655_215 Depth=1
	v_and_b32_e32 v57, 7, v42
	v_ffbh_u32_e32 v60, v57
	v_min_u32_e32 v63, 32, v60
	v_subrev_u32_e32 v60, 28, v63
	v_lshlrev_b64 v[60:61], v60, v[42:43]
	v_lshrrev_b32_e32 v62, 3, v40
	v_sub_u32_e32 v61, 29, v63
	v_and_b32_e32 v60, 7, v60
	v_cmp_gt_u32_e32 vcc, 8, v40
	v_cndmask_b32_e32 v40, v62, v61, vcc
	v_cndmask_b32_e32 v57, v57, v60, vcc
	v_lshlrev_b32_e32 v42, 24, v42
	v_lshlrev_b32_e32 v57, 20, v57
	v_and_b32_e32 v42, 0x80000000, v42
	v_lshl_add_u32 v40, v40, 23, v56
	v_or3_b32 v60, v42, v40, v57
.LBB655_381:                            ;   in Loop: Header=BB655_215 Depth=1
	s_or_b64 exec, exec, s[16:17]
.LBB655_382:                            ;   in Loop: Header=BB655_215 Depth=1
	s_or_b64 exec, exec, s[14:15]
.LBB655_383:                            ;   in Loop: Header=BB655_215 Depth=1
	s_or_b64 exec, exec, s[12:13]
	s_waitcnt vmcnt(0)
	v_cmp_ne_u16_sdwa s[14:15], v38, v55 src0_sel:BYTE_0 src1_sel:DWORD
	s_and_saveexec_b64 s[12:13], s[14:15]
	s_cbranch_execz .LBB655_389
; %bb.384:                              ;   in Loop: Header=BB655_215 Depth=1
	v_cmp_ne_u16_sdwa s[16:17], v38, s9 src0_sel:BYTE_0 src1_sel:DWORD
	v_bfrev_b32_e32 v59, 1
	s_and_saveexec_b64 s[14:15], s[16:17]
	s_cbranch_execz .LBB655_388
; %bb.385:                              ;   in Loop: Header=BB655_215 Depth=1
	v_and_b32_e32 v40, 0x7f, v38
	v_cmp_ne_u32_e32 vcc, s19, v40
	v_mov_b32_e32 v59, 0x7f800001
	s_and_saveexec_b64 s[16:17], vcc
	s_cbranch_execz .LBB655_387
; %bb.386:                              ;   in Loop: Header=BB655_215 Depth=1
	v_and_b32_e32 v42, 7, v38
	v_ffbh_u32_e32 v59, v42
	v_min_u32_e32 v59, 32, v59
	v_subrev_u32_e32 v61, 28, v59
	v_lshlrev_b64 v[62:63], v61, v[38:39]
	v_lshrrev_b32_e32 v57, 3, v40
	v_sub_u32_e32 v59, 29, v59
	v_and_b32_e32 v61, 7, v62
	v_cmp_gt_u32_e32 vcc, 8, v40
	v_cndmask_b32_e32 v40, v57, v59, vcc
	v_cndmask_b32_e32 v42, v42, v61, vcc
	v_lshlrev_b32_e32 v57, 24, v38
	v_lshlrev_b32_e32 v42, 20, v42
	v_and_b32_e32 v57, 0x80000000, v57
	v_lshl_add_u32 v40, v40, 23, v56
	v_or3_b32 v59, v57, v40, v42
.LBB655_387:                            ;   in Loop: Header=BB655_215 Depth=1
	s_or_b64 exec, exec, s[16:17]
.LBB655_388:                            ;   in Loop: Header=BB655_215 Depth=1
	s_or_b64 exec, exec, s[14:15]
.LBB655_389:                            ;   in Loop: Header=BB655_215 Depth=1
	s_or_b64 exec, exec, s[12:13]
	v_lshrrev_b16_e32 v40, 8, v38
	v_cmp_ne_u16_e32 vcc, 0, v40
	v_mov_b32_e32 v61, 0
	v_mov_b32_e32 v62, 0
	s_and_saveexec_b64 s[12:13], vcc
	s_cbranch_execz .LBB655_395
; %bb.390:                              ;   in Loop: Header=BB655_215 Depth=1
	v_cmp_ne_u16_e32 vcc, s9, v40
	v_bfrev_b32_e32 v62, 1
	s_and_saveexec_b64 s[14:15], vcc
	s_cbranch_execz .LBB655_394
; %bb.391:                              ;   in Loop: Header=BB655_215 Depth=1
	v_and_b32_e32 v42, 0x7f, v40
	v_cmp_ne_u32_e32 vcc, s19, v42
	v_mov_b32_e32 v62, 0x7f800001
	s_and_saveexec_b64 s[16:17], vcc
	s_cbranch_execz .LBB655_393
; %bb.392:                              ;   in Loop: Header=BB655_215 Depth=1
	v_and_b32_e32 v57, 7, v40
	v_ffbh_u32_e32 v62, v57
	v_min_u32_e32 v65, 32, v62
	v_subrev_u32_e32 v62, 28, v65
	v_lshlrev_b64 v[62:63], v62, v[40:41]
	v_lshrrev_b32_e32 v64, 3, v42
	v_sub_u32_e32 v40, 29, v65
	v_and_b32_e32 v62, 7, v62
	v_cmp_gt_u32_e32 vcc, 8, v42
	v_cndmask_b32_e32 v40, v64, v40, vcc
	v_cndmask_b32_e32 v42, v57, v62, vcc
	v_lshlrev_b32_e32 v57, 16, v38
	v_lshlrev_b32_e32 v42, 20, v42
	v_and_b32_e32 v57, 0x80000000, v57
	v_lshl_add_u32 v40, v40, 23, v56
	v_or3_b32 v62, v57, v40, v42
.LBB655_393:                            ;   in Loop: Header=BB655_215 Depth=1
	s_or_b64 exec, exec, s[16:17]
.LBB655_394:                            ;   in Loop: Header=BB655_215 Depth=1
	s_or_b64 exec, exec, s[14:15]
.LBB655_395:                            ;   in Loop: Header=BB655_215 Depth=1
	s_or_b64 exec, exec, s[12:13]
	v_lshrrev_b32_e32 v40, 16, v38
	v_cmp_ne_u16_sdwa s[14:15], v40, v55 src0_sel:BYTE_0 src1_sel:DWORD
	s_and_saveexec_b64 s[12:13], s[14:15]
	s_cbranch_execz .LBB655_401
; %bb.396:                              ;   in Loop: Header=BB655_215 Depth=1
	v_cmp_ne_u16_sdwa s[16:17], v40, s9 src0_sel:BYTE_0 src1_sel:DWORD
	v_bfrev_b32_e32 v61, 1
	s_and_saveexec_b64 s[14:15], s[16:17]
	s_cbranch_execz .LBB655_400
; %bb.397:                              ;   in Loop: Header=BB655_215 Depth=1
	v_bfe_u32 v42, v38, 16, 7
	v_cmp_ne_u32_e32 vcc, s19, v42
	v_mov_b32_e32 v61, 0x7f800001
	s_and_saveexec_b64 s[16:17], vcc
	s_cbranch_execz .LBB655_399
; %bb.398:                              ;   in Loop: Header=BB655_215 Depth=1
	v_and_b32_e32 v57, 7, v40
	v_ffbh_u32_e32 v63, v57
	v_min_u32_e32 v63, 32, v63
	v_subrev_u32_e32 v64, 28, v63
	v_lshlrev_b64 v[64:65], v64, v[40:41]
	v_lshrrev_b32_e32 v61, 3, v42
	v_sub_u32_e32 v63, 29, v63
	v_and_b32_e32 v64, 7, v64
	v_cmp_gt_u32_e32 vcc, 8, v42
	v_cndmask_b32_e32 v42, v61, v63, vcc
	v_cndmask_b32_e32 v57, v57, v64, vcc
	v_lshlrev_b32_e32 v40, 24, v40
	v_lshlrev_b32_e32 v57, 20, v57
	v_and_b32_e32 v40, 0x80000000, v40
	v_lshl_add_u32 v42, v42, 23, v56
	v_or3_b32 v61, v40, v42, v57
.LBB655_399:                            ;   in Loop: Header=BB655_215 Depth=1
	s_or_b64 exec, exec, s[16:17]
.LBB655_400:                            ;   in Loop: Header=BB655_215 Depth=1
	s_or_b64 exec, exec, s[14:15]
.LBB655_401:                            ;   in Loop: Header=BB655_215 Depth=1
	s_or_b64 exec, exec, s[12:13]
	v_cmp_lt_u32_e32 vcc, s20, v38
	v_mov_b32_e32 v57, 0
	v_mov_b32_e32 v63, 0
	s_and_saveexec_b64 s[12:13], vcc
	s_cbranch_execz .LBB655_407
; %bb.402:                              ;   in Loop: Header=BB655_215 Depth=1
	v_lshrrev_b32_e32 v40, 24, v38
	v_cmp_ne_u32_e32 vcc, s9, v40
	v_bfrev_b32_e32 v63, 1
	s_and_saveexec_b64 s[14:15], vcc
	s_cbranch_execz .LBB655_406
; %bb.403:                              ;   in Loop: Header=BB655_215 Depth=1
	v_bfe_u32 v38, v38, 24, 7
	v_cmp_ne_u32_e32 vcc, s19, v38
	v_mov_b32_e32 v63, 0x7f800001
	s_and_saveexec_b64 s[16:17], vcc
	s_cbranch_execz .LBB655_405
; %bb.404:                              ;   in Loop: Header=BB655_215 Depth=1
	v_and_b32_e32 v42, 7, v40
	v_ffbh_u32_e32 v64, v42
	v_min_u32_e32 v66, 32, v64
	v_subrev_u32_e32 v64, 28, v66
	v_lshlrev_b64 v[64:65], v64, v[40:41]
	v_lshrrev_b32_e32 v63, 3, v38
	v_sub_u32_e32 v65, 29, v66
	v_and_b32_e32 v64, 7, v64
	v_cmp_gt_u32_e32 vcc, 8, v38
	v_cndmask_b32_e32 v38, v63, v65, vcc
	v_cndmask_b32_e32 v42, v42, v64, vcc
	v_lshlrev_b32_e32 v40, 24, v40
	v_lshlrev_b32_e32 v42, 20, v42
	v_and_b32_e32 v40, 0x80000000, v40
	v_lshl_add_u32 v38, v38, 23, v56
	v_or3_b32 v63, v40, v38, v42
.LBB655_405:                            ;   in Loop: Header=BB655_215 Depth=1
	s_or_b64 exec, exec, s[16:17]
.LBB655_406:                            ;   in Loop: Header=BB655_215 Depth=1
	s_or_b64 exec, exec, s[14:15]
.LBB655_407:                            ;   in Loop: Header=BB655_215 Depth=1
	s_or_b64 exec, exec, s[12:13]
	v_cvt_pkrtz_f16_f32 v65, v44, v60
	buffer_load_dword v44, v52, s[0:3], 0 offen
	buffer_load_dword v42, v52, s[0:3], 0 offen offset:4
	buffer_load_dword v40, v52, s[0:3], 0 offen offset:8
	;; [unrolled: 1-line block ×3, first 2 shown]
	v_cvt_pkrtz_f16_f32 v64, v46, v58
	v_cvt_pkrtz_f16_f32 v58, v59, v62
	v_cvt_pkrtz_f16_f32 v59, v61, v63
	v_mfma_f32_16x16x16f16 v[34:37], v[64:65], v[14:15], v[34:37]
	s_waitcnt vmcnt(3)
	v_cmp_ne_u16_sdwa s[14:15], v44, v55 src0_sel:BYTE_0 src1_sel:DWORD
	v_mfma_f32_16x16x16f16 v[34:37], v[58:59], v[16:17], v[34:37]
	s_and_saveexec_b64 s[12:13], s[14:15]
	s_cbranch_execz .LBB655_413
; %bb.408:                              ;   in Loop: Header=BB655_215 Depth=1
	v_cmp_ne_u16_sdwa s[16:17], v44, s9 src0_sel:BYTE_0 src1_sel:DWORD
	v_bfrev_b32_e32 v57, 1
	s_and_saveexec_b64 s[14:15], s[16:17]
	s_cbranch_execz .LBB655_412
; %bb.409:                              ;   in Loop: Header=BB655_215 Depth=1
	v_and_b32_e32 v46, 0x7f, v44
	v_cmp_ne_u32_e32 vcc, s19, v46
	v_mov_b32_e32 v57, 0x7f800001
	s_and_saveexec_b64 s[16:17], vcc
	s_cbranch_execz .LBB655_411
; %bb.410:                              ;   in Loop: Header=BB655_215 Depth=1
	v_and_b32_e32 v52, 7, v44
	v_ffbh_u32_e32 v58, v52
	v_min_u32_e32 v60, 32, v58
	v_subrev_u32_e32 v58, 28, v60
	v_lshlrev_b64 v[58:59], v58, v[44:45]
	v_lshrrev_b32_e32 v57, 3, v46
	v_sub_u32_e32 v59, 29, v60
	v_and_b32_e32 v58, 7, v58
	v_cmp_gt_u32_e32 vcc, 8, v46
	v_cndmask_b32_e32 v46, v57, v59, vcc
	v_cndmask_b32_e32 v52, v52, v58, vcc
	v_lshlrev_b32_e32 v57, 24, v44
	v_lshlrev_b32_e32 v52, 20, v52
	v_and_b32_e32 v57, 0x80000000, v57
	v_lshl_add_u32 v46, v46, 23, v56
	v_or3_b32 v57, v57, v46, v52
.LBB655_411:                            ;   in Loop: Header=BB655_215 Depth=1
	s_or_b64 exec, exec, s[16:17]
.LBB655_412:                            ;   in Loop: Header=BB655_215 Depth=1
	s_or_b64 exec, exec, s[14:15]
.LBB655_413:                            ;   in Loop: Header=BB655_215 Depth=1
	s_or_b64 exec, exec, s[12:13]
	v_lshrrev_b16_e32 v46, 8, v44
	v_cmp_ne_u16_e32 vcc, 0, v46
	v_mov_b32_e32 v52, 0
	v_mov_b32_e32 v58, 0
	s_and_saveexec_b64 s[12:13], vcc
	s_cbranch_execz .LBB655_419
; %bb.414:                              ;   in Loop: Header=BB655_215 Depth=1
	v_cmp_ne_u16_e32 vcc, s9, v46
	v_bfrev_b32_e32 v58, 1
	s_and_saveexec_b64 s[14:15], vcc
	s_cbranch_execz .LBB655_418
; %bb.415:                              ;   in Loop: Header=BB655_215 Depth=1
	v_and_b32_e32 v59, 0x7f, v46
	v_cmp_ne_u32_e32 vcc, s19, v59
	v_mov_b32_e32 v58, 0x7f800001
	s_and_saveexec_b64 s[16:17], vcc
	s_cbranch_execz .LBB655_417
; %bb.416:                              ;   in Loop: Header=BB655_215 Depth=1
	v_and_b32_e32 v58, 7, v46
	v_ffbh_u32_e32 v60, v58
	v_min_u32_e32 v63, 32, v60
	v_subrev_u32_e32 v60, 28, v63
	v_lshlrev_b64 v[60:61], v60, v[46:47]
	v_lshrrev_b32_e32 v62, 3, v59
	v_sub_u32_e32 v46, 29, v63
	v_and_b32_e32 v60, 7, v60
	v_cmp_gt_u32_e32 vcc, 8, v59
	v_cndmask_b32_e32 v46, v62, v46, vcc
	v_cndmask_b32_e32 v58, v58, v60, vcc
	v_lshlrev_b32_e32 v59, 16, v44
	v_lshlrev_b32_e32 v58, 20, v58
	v_and_b32_e32 v59, 0x80000000, v59
	v_lshl_add_u32 v46, v46, 23, v56
	v_or3_b32 v58, v59, v46, v58
.LBB655_417:                            ;   in Loop: Header=BB655_215 Depth=1
	s_or_b64 exec, exec, s[16:17]
.LBB655_418:                            ;   in Loop: Header=BB655_215 Depth=1
	s_or_b64 exec, exec, s[14:15]
.LBB655_419:                            ;   in Loop: Header=BB655_215 Depth=1
	s_or_b64 exec, exec, s[12:13]
	v_lshrrev_b32_e32 v46, 16, v44
	v_cmp_ne_u16_sdwa s[14:15], v46, v55 src0_sel:BYTE_0 src1_sel:DWORD
	s_and_saveexec_b64 s[12:13], s[14:15]
	s_cbranch_execz .LBB655_425
; %bb.420:                              ;   in Loop: Header=BB655_215 Depth=1
	v_cmp_ne_u16_sdwa s[16:17], v46, s9 src0_sel:BYTE_0 src1_sel:DWORD
	v_bfrev_b32_e32 v52, 1
	s_and_saveexec_b64 s[14:15], s[16:17]
	s_cbranch_execz .LBB655_424
; %bb.421:                              ;   in Loop: Header=BB655_215 Depth=1
	v_bfe_u32 v59, v44, 16, 7
	v_cmp_ne_u32_e32 vcc, s19, v59
	v_mov_b32_e32 v52, 0x7f800001
	s_and_saveexec_b64 s[16:17], vcc
	s_cbranch_execz .LBB655_423
; %bb.422:                              ;   in Loop: Header=BB655_215 Depth=1
	v_and_b32_e32 v52, 7, v46
	v_ffbh_u32_e32 v60, v52
	v_min_u32_e32 v63, 32, v60
	v_subrev_u32_e32 v60, 28, v63
	v_lshlrev_b64 v[60:61], v60, v[46:47]
	v_lshrrev_b32_e32 v62, 3, v59
	v_sub_u32_e32 v61, 29, v63
	v_and_b32_e32 v60, 7, v60
	v_cmp_gt_u32_e32 vcc, 8, v59
	v_cndmask_b32_e32 v59, v62, v61, vcc
	v_cndmask_b32_e32 v52, v52, v60, vcc
	v_lshlrev_b32_e32 v46, 24, v46
	v_lshlrev_b32_e32 v52, 20, v52
	v_and_b32_e32 v46, 0x80000000, v46
	v_lshl_add_u32 v59, v59, 23, v56
	v_or3_b32 v52, v46, v59, v52
.LBB655_423:                            ;   in Loop: Header=BB655_215 Depth=1
	s_or_b64 exec, exec, s[16:17]
.LBB655_424:                            ;   in Loop: Header=BB655_215 Depth=1
	s_or_b64 exec, exec, s[14:15]
.LBB655_425:                            ;   in Loop: Header=BB655_215 Depth=1
	s_or_b64 exec, exec, s[12:13]
	v_cmp_lt_u32_e32 vcc, s20, v44
	v_mov_b32_e32 v59, 0
	v_mov_b32_e32 v60, 0
	s_and_saveexec_b64 s[12:13], vcc
	s_cbranch_execz .LBB655_431
; %bb.426:                              ;   in Loop: Header=BB655_215 Depth=1
	v_lshrrev_b32_e32 v46, 24, v44
	v_cmp_ne_u32_e32 vcc, s9, v46
	v_bfrev_b32_e32 v60, 1
	s_and_saveexec_b64 s[14:15], vcc
	s_cbranch_execz .LBB655_430
; %bb.427:                              ;   in Loop: Header=BB655_215 Depth=1
	v_bfe_u32 v44, v44, 24, 7
	v_cmp_ne_u32_e32 vcc, s19, v44
	v_mov_b32_e32 v60, 0x7f800001
	s_and_saveexec_b64 s[16:17], vcc
	s_cbranch_execz .LBB655_429
; %bb.428:                              ;   in Loop: Header=BB655_215 Depth=1
	v_and_b32_e32 v62, 7, v46
	v_ffbh_u32_e32 v60, v62
	v_min_u32_e32 v64, 32, v60
	v_subrev_u32_e32 v60, 28, v64
	v_lshlrev_b64 v[60:61], v60, v[46:47]
	v_lshrrev_b32_e32 v63, 3, v44
	v_sub_u32_e32 v61, 29, v64
	v_and_b32_e32 v60, 7, v60
	v_cmp_gt_u32_e32 vcc, 8, v44
	v_cndmask_b32_e32 v44, v63, v61, vcc
	v_cndmask_b32_e32 v60, v62, v60, vcc
	v_lshlrev_b32_e32 v46, 24, v46
	v_lshlrev_b32_e32 v60, 20, v60
	v_and_b32_e32 v46, 0x80000000, v46
	v_lshl_add_u32 v44, v44, 23, v56
	v_or3_b32 v60, v46, v44, v60
.LBB655_429:                            ;   in Loop: Header=BB655_215 Depth=1
	s_or_b64 exec, exec, s[16:17]
.LBB655_430:                            ;   in Loop: Header=BB655_215 Depth=1
	s_or_b64 exec, exec, s[14:15]
.LBB655_431:                            ;   in Loop: Header=BB655_215 Depth=1
	s_or_b64 exec, exec, s[12:13]
	s_waitcnt vmcnt(2)
	v_cmp_ne_u16_sdwa s[14:15], v42, v55 src0_sel:BYTE_0 src1_sel:DWORD
	s_and_saveexec_b64 s[12:13], s[14:15]
	s_cbranch_execz .LBB655_437
; %bb.432:                              ;   in Loop: Header=BB655_215 Depth=1
	v_cmp_ne_u16_sdwa s[16:17], v42, s9 src0_sel:BYTE_0 src1_sel:DWORD
	v_bfrev_b32_e32 v59, 1
	s_and_saveexec_b64 s[14:15], s[16:17]
	s_cbranch_execz .LBB655_436
; %bb.433:                              ;   in Loop: Header=BB655_215 Depth=1
	v_and_b32_e32 v44, 0x7f, v42
	v_cmp_ne_u32_e32 vcc, s19, v44
	v_mov_b32_e32 v59, 0x7f800001
	s_and_saveexec_b64 s[16:17], vcc
	s_cbranch_execz .LBB655_435
; %bb.434:                              ;   in Loop: Header=BB655_215 Depth=1
	v_and_b32_e32 v46, 7, v42
	v_ffbh_u32_e32 v61, v46
	v_min_u32_e32 v61, 32, v61
	v_subrev_u32_e32 v62, 28, v61
	v_lshlrev_b64 v[62:63], v62, v[42:43]
	v_lshrrev_b32_e32 v59, 3, v44
	v_sub_u32_e32 v61, 29, v61
	v_and_b32_e32 v62, 7, v62
	v_cmp_gt_u32_e32 vcc, 8, v44
	v_cndmask_b32_e32 v44, v59, v61, vcc
	v_cndmask_b32_e32 v46, v46, v62, vcc
	v_lshlrev_b32_e32 v59, 24, v42
	v_lshlrev_b32_e32 v46, 20, v46
	v_and_b32_e32 v59, 0x80000000, v59
	v_lshl_add_u32 v44, v44, 23, v56
	v_or3_b32 v59, v59, v44, v46
.LBB655_435:                            ;   in Loop: Header=BB655_215 Depth=1
	s_or_b64 exec, exec, s[16:17]
.LBB655_436:                            ;   in Loop: Header=BB655_215 Depth=1
	s_or_b64 exec, exec, s[14:15]
.LBB655_437:                            ;   in Loop: Header=BB655_215 Depth=1
	s_or_b64 exec, exec, s[12:13]
	v_lshrrev_b16_e32 v44, 8, v42
	v_cmp_ne_u16_e32 vcc, 0, v44
	v_mov_b32_e32 v61, 0
	v_mov_b32_e32 v62, 0
	s_and_saveexec_b64 s[12:13], vcc
	s_cbranch_execz .LBB655_443
; %bb.438:                              ;   in Loop: Header=BB655_215 Depth=1
	v_cmp_ne_u16_e32 vcc, s9, v44
	v_bfrev_b32_e32 v62, 1
	s_and_saveexec_b64 s[14:15], vcc
	s_cbranch_execz .LBB655_442
; %bb.439:                              ;   in Loop: Header=BB655_215 Depth=1
	v_and_b32_e32 v46, 0x7f, v44
	v_cmp_ne_u32_e32 vcc, s19, v46
	v_mov_b32_e32 v62, 0x7f800001
	s_and_saveexec_b64 s[16:17], vcc
	s_cbranch_execz .LBB655_441
; %bb.440:                              ;   in Loop: Header=BB655_215 Depth=1
	v_and_b32_e32 v64, 7, v44
	v_ffbh_u32_e32 v62, v64
	v_min_u32_e32 v66, 32, v62
	v_subrev_u32_e32 v62, 28, v66
	v_lshlrev_b64 v[62:63], v62, v[44:45]
	v_lshrrev_b32_e32 v65, 3, v46
	v_sub_u32_e32 v44, 29, v66
	v_and_b32_e32 v62, 7, v62
	v_cmp_gt_u32_e32 vcc, 8, v46
	v_cndmask_b32_e32 v44, v65, v44, vcc
	v_cndmask_b32_e32 v46, v64, v62, vcc
	v_lshlrev_b32_e32 v62, 16, v42
	v_lshlrev_b32_e32 v46, 20, v46
	v_and_b32_e32 v62, 0x80000000, v62
	v_lshl_add_u32 v44, v44, 23, v56
	v_or3_b32 v62, v62, v44, v46
.LBB655_441:                            ;   in Loop: Header=BB655_215 Depth=1
	s_or_b64 exec, exec, s[16:17]
.LBB655_442:                            ;   in Loop: Header=BB655_215 Depth=1
	s_or_b64 exec, exec, s[14:15]
.LBB655_443:                            ;   in Loop: Header=BB655_215 Depth=1
	s_or_b64 exec, exec, s[12:13]
	v_lshrrev_b32_e32 v44, 16, v42
	v_cmp_ne_u16_sdwa s[14:15], v44, v55 src0_sel:BYTE_0 src1_sel:DWORD
	s_and_saveexec_b64 s[12:13], s[14:15]
	s_cbranch_execz .LBB655_449
; %bb.444:                              ;   in Loop: Header=BB655_215 Depth=1
	v_cmp_ne_u16_sdwa s[16:17], v44, s9 src0_sel:BYTE_0 src1_sel:DWORD
	v_bfrev_b32_e32 v61, 1
	s_and_saveexec_b64 s[14:15], s[16:17]
	s_cbranch_execz .LBB655_448
; %bb.445:                              ;   in Loop: Header=BB655_215 Depth=1
	v_bfe_u32 v46, v42, 16, 7
	v_cmp_ne_u32_e32 vcc, s19, v46
	v_mov_b32_e32 v61, 0x7f800001
	s_and_saveexec_b64 s[16:17], vcc
	s_cbranch_execz .LBB655_447
; %bb.446:                              ;   in Loop: Header=BB655_215 Depth=1
	v_and_b32_e32 v61, 7, v44
	v_ffbh_u32_e32 v64, v61
	v_min_u32_e32 v66, 32, v64
	v_subrev_u32_e32 v64, 28, v66
	v_lshlrev_b64 v[64:65], v64, v[44:45]
	v_lshrrev_b32_e32 v63, 3, v46
	v_sub_u32_e32 v65, 29, v66
	v_and_b32_e32 v64, 7, v64
	v_cmp_gt_u32_e32 vcc, 8, v46
	v_cndmask_b32_e32 v46, v63, v65, vcc
	v_cndmask_b32_e32 v61, v61, v64, vcc
	v_lshlrev_b32_e32 v44, 24, v44
	v_lshlrev_b32_e32 v61, 20, v61
	v_and_b32_e32 v44, 0x80000000, v44
	v_lshl_add_u32 v46, v46, 23, v56
	v_or3_b32 v61, v44, v46, v61
.LBB655_447:                            ;   in Loop: Header=BB655_215 Depth=1
	s_or_b64 exec, exec, s[16:17]
.LBB655_448:                            ;   in Loop: Header=BB655_215 Depth=1
	s_or_b64 exec, exec, s[14:15]
.LBB655_449:                            ;   in Loop: Header=BB655_215 Depth=1
	s_or_b64 exec, exec, s[12:13]
	v_cmp_lt_u32_e32 vcc, s20, v42
	v_mov_b32_e32 v46, 0
	v_mov_b32_e32 v63, 0
	s_and_saveexec_b64 s[12:13], vcc
	s_cbranch_execz .LBB655_455
; %bb.450:                              ;   in Loop: Header=BB655_215 Depth=1
	v_lshrrev_b32_e32 v44, 24, v42
	v_cmp_ne_u32_e32 vcc, s9, v44
	v_bfrev_b32_e32 v63, 1
	s_and_saveexec_b64 s[14:15], vcc
	s_cbranch_execz .LBB655_454
; %bb.451:                              ;   in Loop: Header=BB655_215 Depth=1
	v_bfe_u32 v42, v42, 24, 7
	v_cmp_ne_u32_e32 vcc, s19, v42
	v_mov_b32_e32 v63, 0x7f800001
	s_and_saveexec_b64 s[16:17], vcc
	s_cbranch_execz .LBB655_453
; %bb.452:                              ;   in Loop: Header=BB655_215 Depth=1
	v_and_b32_e32 v63, 7, v44
	v_ffbh_u32_e32 v64, v63
	v_min_u32_e32 v67, 32, v64
	v_subrev_u32_e32 v64, 28, v67
	v_lshlrev_b64 v[64:65], v64, v[44:45]
	v_lshrrev_b32_e32 v66, 3, v42
	v_sub_u32_e32 v65, 29, v67
	v_and_b32_e32 v64, 7, v64
	v_cmp_gt_u32_e32 vcc, 8, v42
	v_cndmask_b32_e32 v42, v66, v65, vcc
	v_cndmask_b32_e32 v63, v63, v64, vcc
	v_lshlrev_b32_e32 v44, 24, v44
	v_lshlrev_b32_e32 v63, 20, v63
	v_and_b32_e32 v44, 0x80000000, v44
	v_lshl_add_u32 v42, v42, 23, v56
	v_or3_b32 v63, v44, v42, v63
.LBB655_453:                            ;   in Loop: Header=BB655_215 Depth=1
	s_or_b64 exec, exec, s[16:17]
.LBB655_454:                            ;   in Loop: Header=BB655_215 Depth=1
	s_or_b64 exec, exec, s[14:15]
.LBB655_455:                            ;   in Loop: Header=BB655_215 Depth=1
	s_or_b64 exec, exec, s[12:13]
	v_cvt_pkrtz_f16_f32 v64, v57, v58
	v_cvt_pkrtz_f16_f32 v65, v52, v60
	;; [unrolled: 1-line block ×4, first 2 shown]
	s_waitcnt vmcnt(1)
	v_cmp_ne_u16_sdwa s[14:15], v40, v55 src0_sel:BYTE_0 src1_sel:DWORD
	v_mfma_f32_16x16x16f16 v[34:37], v[64:65], v[18:19], v[34:37]
	v_mfma_f32_16x16x16f16 v[34:37], v[58:59], v[20:21], v[34:37]
	s_and_saveexec_b64 s[12:13], s[14:15]
	s_cbranch_execz .LBB655_461
; %bb.456:                              ;   in Loop: Header=BB655_215 Depth=1
	v_cmp_ne_u16_sdwa s[16:17], v40, s9 src0_sel:BYTE_0 src1_sel:DWORD
	v_bfrev_b32_e32 v46, 1
	s_and_saveexec_b64 s[14:15], s[16:17]
	s_cbranch_execz .LBB655_460
; %bb.457:                              ;   in Loop: Header=BB655_215 Depth=1
	v_and_b32_e32 v42, 0x7f, v40
	v_cmp_ne_u32_e32 vcc, s19, v42
	v_mov_b32_e32 v46, 0x7f800001
	s_and_saveexec_b64 s[16:17], vcc
	s_cbranch_execz .LBB655_459
; %bb.458:                              ;   in Loop: Header=BB655_215 Depth=1
	v_and_b32_e32 v44, 7, v40
	v_ffbh_u32_e32 v52, v44
	v_min_u32_e32 v52, 32, v52
	v_subrev_u32_e32 v57, 28, v52
	v_lshlrev_b64 v[58:59], v57, v[40:41]
	v_lshrrev_b32_e32 v46, 3, v42
	v_sub_u32_e32 v52, 29, v52
	v_and_b32_e32 v57, 7, v58
	v_cmp_gt_u32_e32 vcc, 8, v42
	v_cndmask_b32_e32 v42, v46, v52, vcc
	v_cndmask_b32_e32 v44, v44, v57, vcc
	v_lshlrev_b32_e32 v46, 24, v40
	v_lshlrev_b32_e32 v44, 20, v44
	v_and_b32_e32 v46, 0x80000000, v46
	v_lshl_add_u32 v42, v42, 23, v56
	v_or3_b32 v46, v46, v42, v44
.LBB655_459:                            ;   in Loop: Header=BB655_215 Depth=1
	s_or_b64 exec, exec, s[16:17]
.LBB655_460:                            ;   in Loop: Header=BB655_215 Depth=1
	s_or_b64 exec, exec, s[14:15]
.LBB655_461:                            ;   in Loop: Header=BB655_215 Depth=1
	s_or_b64 exec, exec, s[12:13]
	v_lshrrev_b16_e32 v42, 8, v40
	v_cmp_ne_u16_e32 vcc, 0, v42
	v_mov_b32_e32 v44, 0
	v_mov_b32_e32 v57, 0
	s_and_saveexec_b64 s[12:13], vcc
	s_cbranch_execz .LBB655_467
; %bb.462:                              ;   in Loop: Header=BB655_215 Depth=1
	v_cmp_ne_u16_e32 vcc, s9, v42
	v_bfrev_b32_e32 v57, 1
	s_and_saveexec_b64 s[14:15], vcc
	s_cbranch_execz .LBB655_466
; %bb.463:                              ;   in Loop: Header=BB655_215 Depth=1
	v_and_b32_e32 v52, 0x7f, v42
	v_cmp_ne_u32_e32 vcc, s19, v52
	v_mov_b32_e32 v57, 0x7f800001
	s_and_saveexec_b64 s[16:17], vcc
	s_cbranch_execz .LBB655_465
; %bb.464:                              ;   in Loop: Header=BB655_215 Depth=1
	v_and_b32_e32 v57, 7, v42
	v_ffbh_u32_e32 v58, v57
	v_min_u32_e32 v61, 32, v58
	v_subrev_u32_e32 v58, 28, v61
	v_lshlrev_b64 v[58:59], v58, v[42:43]
	v_lshrrev_b32_e32 v60, 3, v52
	v_sub_u32_e32 v42, 29, v61
	v_and_b32_e32 v58, 7, v58
	v_cmp_gt_u32_e32 vcc, 8, v52
	v_cndmask_b32_e32 v42, v60, v42, vcc
	v_cndmask_b32_e32 v52, v57, v58, vcc
	v_lshlrev_b32_e32 v57, 16, v40
	v_lshlrev_b32_e32 v52, 20, v52
	v_and_b32_e32 v57, 0x80000000, v57
	v_lshl_add_u32 v42, v42, 23, v56
	v_or3_b32 v57, v57, v42, v52
.LBB655_465:                            ;   in Loop: Header=BB655_215 Depth=1
	s_or_b64 exec, exec, s[16:17]
.LBB655_466:                            ;   in Loop: Header=BB655_215 Depth=1
	s_or_b64 exec, exec, s[14:15]
.LBB655_467:                            ;   in Loop: Header=BB655_215 Depth=1
	s_or_b64 exec, exec, s[12:13]
	v_lshrrev_b32_e32 v42, 16, v40
	v_cmp_ne_u16_sdwa s[14:15], v42, v55 src0_sel:BYTE_0 src1_sel:DWORD
	s_and_saveexec_b64 s[12:13], s[14:15]
	s_cbranch_execz .LBB655_473
; %bb.468:                              ;   in Loop: Header=BB655_215 Depth=1
	v_cmp_ne_u16_sdwa s[16:17], v42, s9 src0_sel:BYTE_0 src1_sel:DWORD
	v_bfrev_b32_e32 v44, 1
	s_and_saveexec_b64 s[14:15], s[16:17]
	s_cbranch_execz .LBB655_472
; %bb.469:                              ;   in Loop: Header=BB655_215 Depth=1
	v_bfe_u32 v52, v40, 16, 7
	v_cmp_ne_u32_e32 vcc, s19, v52
	v_mov_b32_e32 v44, 0x7f800001
	s_and_saveexec_b64 s[16:17], vcc
	s_cbranch_execz .LBB655_471
; %bb.470:                              ;   in Loop: Header=BB655_215 Depth=1
	v_and_b32_e32 v44, 7, v42
	v_ffbh_u32_e32 v58, v44
	v_min_u32_e32 v61, 32, v58
	v_subrev_u32_e32 v58, 28, v61
	v_lshlrev_b64 v[58:59], v58, v[42:43]
	v_lshrrev_b32_e32 v60, 3, v52
	v_sub_u32_e32 v59, 29, v61
	v_and_b32_e32 v58, 7, v58
	v_cmp_gt_u32_e32 vcc, 8, v52
	v_cndmask_b32_e32 v52, v60, v59, vcc
	v_cndmask_b32_e32 v44, v44, v58, vcc
	v_lshlrev_b32_e32 v42, 24, v42
	v_lshlrev_b32_e32 v44, 20, v44
	v_and_b32_e32 v42, 0x80000000, v42
	v_lshl_add_u32 v52, v52, 23, v56
	v_or3_b32 v44, v42, v52, v44
.LBB655_471:                            ;   in Loop: Header=BB655_215 Depth=1
	s_or_b64 exec, exec, s[16:17]
.LBB655_472:                            ;   in Loop: Header=BB655_215 Depth=1
	s_or_b64 exec, exec, s[14:15]
.LBB655_473:                            ;   in Loop: Header=BB655_215 Depth=1
	s_or_b64 exec, exec, s[12:13]
	v_cmp_lt_u32_e32 vcc, s20, v40
	v_mov_b32_e32 v58, 0
	v_mov_b32_e32 v59, 0
	s_and_saveexec_b64 s[12:13], vcc
	s_cbranch_execz .LBB655_479
; %bb.474:                              ;   in Loop: Header=BB655_215 Depth=1
	v_lshrrev_b32_e32 v42, 24, v40
	v_cmp_ne_u32_e32 vcc, s9, v42
	v_bfrev_b32_e32 v59, 1
	s_and_saveexec_b64 s[14:15], vcc
	s_cbranch_execz .LBB655_478
; %bb.475:                              ;   in Loop: Header=BB655_215 Depth=1
	v_bfe_u32 v40, v40, 24, 7
	v_cmp_ne_u32_e32 vcc, s19, v40
	v_mov_b32_e32 v59, 0x7f800001
	s_and_saveexec_b64 s[16:17], vcc
	s_cbranch_execz .LBB655_477
; %bb.476:                              ;   in Loop: Header=BB655_215 Depth=1
	v_and_b32_e32 v52, 7, v42
	v_ffbh_u32_e32 v60, v52
	v_min_u32_e32 v62, 32, v60
	v_subrev_u32_e32 v60, 28, v62
	v_lshlrev_b64 v[60:61], v60, v[42:43]
	v_lshrrev_b32_e32 v59, 3, v40
	v_sub_u32_e32 v61, 29, v62
	v_and_b32_e32 v60, 7, v60
	v_cmp_gt_u32_e32 vcc, 8, v40
	v_cndmask_b32_e32 v40, v59, v61, vcc
	v_cndmask_b32_e32 v52, v52, v60, vcc
	v_lshlrev_b32_e32 v42, 24, v42
	v_lshlrev_b32_e32 v52, 20, v52
	v_and_b32_e32 v42, 0x80000000, v42
	v_lshl_add_u32 v40, v40, 23, v56
	v_or3_b32 v59, v42, v40, v52
.LBB655_477:                            ;   in Loop: Header=BB655_215 Depth=1
	s_or_b64 exec, exec, s[16:17]
.LBB655_478:                            ;   in Loop: Header=BB655_215 Depth=1
	s_or_b64 exec, exec, s[14:15]
.LBB655_479:                            ;   in Loop: Header=BB655_215 Depth=1
	s_or_b64 exec, exec, s[12:13]
	s_waitcnt vmcnt(0)
	v_cmp_ne_u16_sdwa s[14:15], v38, v55 src0_sel:BYTE_0 src1_sel:DWORD
	s_and_saveexec_b64 s[12:13], s[14:15]
	s_cbranch_execz .LBB655_485
; %bb.480:                              ;   in Loop: Header=BB655_215 Depth=1
	v_cmp_ne_u16_sdwa s[16:17], v38, s9 src0_sel:BYTE_0 src1_sel:DWORD
	v_bfrev_b32_e32 v58, 1
	s_and_saveexec_b64 s[14:15], s[16:17]
	s_cbranch_execz .LBB655_484
; %bb.481:                              ;   in Loop: Header=BB655_215 Depth=1
	v_and_b32_e32 v40, 0x7f, v38
	v_cmp_ne_u32_e32 vcc, s19, v40
	v_mov_b32_e32 v58, 0x7f800001
	s_and_saveexec_b64 s[16:17], vcc
	s_cbranch_execz .LBB655_483
; %bb.482:                              ;   in Loop: Header=BB655_215 Depth=1
	v_and_b32_e32 v42, 7, v38
	v_ffbh_u32_e32 v58, v42
	v_min_u32_e32 v58, 32, v58
	v_subrev_u32_e32 v60, 28, v58
	v_lshlrev_b64 v[60:61], v60, v[38:39]
	v_lshrrev_b32_e32 v52, 3, v40
	v_sub_u32_e32 v58, 29, v58
	v_and_b32_e32 v60, 7, v60
	v_cmp_gt_u32_e32 vcc, 8, v40
	v_cndmask_b32_e32 v40, v52, v58, vcc
	v_cndmask_b32_e32 v42, v42, v60, vcc
	v_lshlrev_b32_e32 v52, 24, v38
	v_lshlrev_b32_e32 v42, 20, v42
	v_and_b32_e32 v52, 0x80000000, v52
	v_lshl_add_u32 v40, v40, 23, v56
	v_or3_b32 v58, v52, v40, v42
.LBB655_483:                            ;   in Loop: Header=BB655_215 Depth=1
	s_or_b64 exec, exec, s[16:17]
.LBB655_484:                            ;   in Loop: Header=BB655_215 Depth=1
	s_or_b64 exec, exec, s[14:15]
.LBB655_485:                            ;   in Loop: Header=BB655_215 Depth=1
	s_or_b64 exec, exec, s[12:13]
	v_lshrrev_b16_e32 v40, 8, v38
	v_cmp_ne_u16_e32 vcc, 0, v40
	v_mov_b32_e32 v60, 0
	v_mov_b32_e32 v61, 0
	s_and_saveexec_b64 s[12:13], vcc
	s_cbranch_execz .LBB655_491
; %bb.486:                              ;   in Loop: Header=BB655_215 Depth=1
	v_cmp_ne_u16_e32 vcc, s9, v40
	v_bfrev_b32_e32 v61, 1
	s_and_saveexec_b64 s[14:15], vcc
	s_cbranch_execz .LBB655_490
; %bb.487:                              ;   in Loop: Header=BB655_215 Depth=1
	v_and_b32_e32 v42, 0x7f, v40
	v_cmp_ne_u32_e32 vcc, s19, v42
	v_mov_b32_e32 v61, 0x7f800001
	s_and_saveexec_b64 s[16:17], vcc
	s_cbranch_execz .LBB655_489
; %bb.488:                              ;   in Loop: Header=BB655_215 Depth=1
	v_and_b32_e32 v52, 7, v40
	v_ffbh_u32_e32 v62, v52
	v_min_u32_e32 v64, 32, v62
	v_subrev_u32_e32 v62, 28, v64
	v_lshlrev_b64 v[62:63], v62, v[40:41]
	v_lshrrev_b32_e32 v61, 3, v42
	v_sub_u32_e32 v40, 29, v64
	v_and_b32_e32 v62, 7, v62
	v_cmp_gt_u32_e32 vcc, 8, v42
	v_cndmask_b32_e32 v40, v61, v40, vcc
	v_cndmask_b32_e32 v42, v52, v62, vcc
	v_lshlrev_b32_e32 v52, 16, v38
	v_lshlrev_b32_e32 v42, 20, v42
	v_and_b32_e32 v52, 0x80000000, v52
	v_lshl_add_u32 v40, v40, 23, v56
	v_or3_b32 v61, v52, v40, v42
.LBB655_489:                            ;   in Loop: Header=BB655_215 Depth=1
	s_or_b64 exec, exec, s[16:17]
.LBB655_490:                            ;   in Loop: Header=BB655_215 Depth=1
	s_or_b64 exec, exec, s[14:15]
.LBB655_491:                            ;   in Loop: Header=BB655_215 Depth=1
	s_or_b64 exec, exec, s[12:13]
	v_lshrrev_b32_e32 v40, 16, v38
	v_cmp_ne_u16_sdwa s[14:15], v40, v55 src0_sel:BYTE_0 src1_sel:DWORD
	s_and_saveexec_b64 s[12:13], s[14:15]
	s_cbranch_execz .LBB655_497
; %bb.492:                              ;   in Loop: Header=BB655_215 Depth=1
	v_cmp_ne_u16_sdwa s[16:17], v40, s9 src0_sel:BYTE_0 src1_sel:DWORD
	v_bfrev_b32_e32 v60, 1
	s_and_saveexec_b64 s[14:15], s[16:17]
	s_cbranch_execz .LBB655_496
; %bb.493:                              ;   in Loop: Header=BB655_215 Depth=1
	v_bfe_u32 v42, v38, 16, 7
	v_cmp_ne_u32_e32 vcc, s19, v42
	v_mov_b32_e32 v60, 0x7f800001
	s_and_saveexec_b64 s[16:17], vcc
	s_cbranch_execz .LBB655_495
; %bb.494:                              ;   in Loop: Header=BB655_215 Depth=1
	v_and_b32_e32 v52, 7, v40
	v_ffbh_u32_e32 v62, v52
	v_min_u32_e32 v64, 32, v62
	v_subrev_u32_e32 v62, 28, v64
	v_lshlrev_b64 v[62:63], v62, v[40:41]
	v_lshrrev_b32_e32 v60, 3, v42
	v_sub_u32_e32 v63, 29, v64
	v_and_b32_e32 v62, 7, v62
	v_cmp_gt_u32_e32 vcc, 8, v42
	v_cndmask_b32_e32 v42, v60, v63, vcc
	v_cndmask_b32_e32 v52, v52, v62, vcc
	v_lshlrev_b32_e32 v40, 24, v40
	v_lshlrev_b32_e32 v52, 20, v52
	v_and_b32_e32 v40, 0x80000000, v40
	v_lshl_add_u32 v42, v42, 23, v56
	v_or3_b32 v60, v40, v42, v52
.LBB655_495:                            ;   in Loop: Header=BB655_215 Depth=1
	s_or_b64 exec, exec, s[16:17]
.LBB655_496:                            ;   in Loop: Header=BB655_215 Depth=1
	s_or_b64 exec, exec, s[14:15]
.LBB655_497:                            ;   in Loop: Header=BB655_215 Depth=1
	s_or_b64 exec, exec, s[12:13]
	v_cmp_lt_u32_e32 vcc, s20, v38
	v_mov_b32_e32 v52, 0
	v_mov_b32_e32 v62, 0
	s_and_saveexec_b64 s[12:13], vcc
	s_cbranch_execz .LBB655_503
; %bb.498:                              ;   in Loop: Header=BB655_215 Depth=1
	v_lshrrev_b32_e32 v40, 24, v38
	v_cmp_ne_u32_e32 vcc, s9, v40
	v_bfrev_b32_e32 v62, 1
	s_and_saveexec_b64 s[14:15], vcc
	s_cbranch_execz .LBB655_502
; %bb.499:                              ;   in Loop: Header=BB655_215 Depth=1
	v_bfe_u32 v38, v38, 24, 7
	v_cmp_ne_u32_e32 vcc, s19, v38
	v_mov_b32_e32 v62, 0x7f800001
	s_and_saveexec_b64 s[16:17], vcc
	s_cbranch_execz .LBB655_501
; %bb.500:                              ;   in Loop: Header=BB655_215 Depth=1
	v_and_b32_e32 v42, 7, v40
	v_ffbh_u32_e32 v62, v42
	v_min_u32_e32 v65, 32, v62
	v_subrev_u32_e32 v62, 28, v65
	v_lshlrev_b64 v[62:63], v62, v[40:41]
	v_lshrrev_b32_e32 v64, 3, v38
	v_sub_u32_e32 v63, 29, v65
	v_and_b32_e32 v62, 7, v62
	v_cmp_gt_u32_e32 vcc, 8, v38
	v_cndmask_b32_e32 v38, v64, v63, vcc
	v_cndmask_b32_e32 v42, v42, v62, vcc
	v_lshlrev_b32_e32 v40, 24, v40
	v_lshlrev_b32_e32 v42, 20, v42
	v_and_b32_e32 v40, 0x80000000, v40
	v_lshl_add_u32 v38, v38, 23, v56
	v_or3_b32 v62, v40, v38, v42
.LBB655_501:                            ;   in Loop: Header=BB655_215 Depth=1
	s_or_b64 exec, exec, s[16:17]
.LBB655_502:                            ;   in Loop: Header=BB655_215 Depth=1
	s_or_b64 exec, exec, s[14:15]
.LBB655_503:                            ;   in Loop: Header=BB655_215 Depth=1
	s_or_b64 exec, exec, s[12:13]
	v_cvt_pkrtz_f16_f32 v65, v44, v59
	buffer_load_dword v44, v51, s[0:3], 0 offen
	buffer_load_dword v42, v51, s[0:3], 0 offen offset:4
	buffer_load_dword v40, v51, s[0:3], 0 offen offset:8
	buffer_load_dword v38, v51, s[0:3], 0 offen offset:12
	v_cvt_pkrtz_f16_f32 v64, v46, v57
	v_cvt_pkrtz_f16_f32 v58, v58, v61
	;; [unrolled: 1-line block ×3, first 2 shown]
	v_mfma_f32_16x16x16f16 v[34:37], v[64:65], v[22:23], v[34:37]
	s_waitcnt vmcnt(3)
	v_cmp_ne_u16_sdwa s[14:15], v44, v55 src0_sel:BYTE_0 src1_sel:DWORD
	v_mfma_f32_16x16x16f16 v[34:37], v[58:59], v[24:25], v[34:37]
	s_and_saveexec_b64 s[12:13], s[14:15]
	s_cbranch_execz .LBB655_509
; %bb.504:                              ;   in Loop: Header=BB655_215 Depth=1
	v_cmp_ne_u16_sdwa s[16:17], v44, s9 src0_sel:BYTE_0 src1_sel:DWORD
	v_bfrev_b32_e32 v52, 1
	s_and_saveexec_b64 s[14:15], s[16:17]
	s_cbranch_execz .LBB655_508
; %bb.505:                              ;   in Loop: Header=BB655_215 Depth=1
	v_and_b32_e32 v46, 0x7f, v44
	v_cmp_ne_u32_e32 vcc, s19, v46
	v_mov_b32_e32 v52, 0x7f800001
	s_and_saveexec_b64 s[16:17], vcc
	s_cbranch_execz .LBB655_507
; %bb.506:                              ;   in Loop: Header=BB655_215 Depth=1
	v_and_b32_e32 v51, 7, v44
	v_ffbh_u32_e32 v57, v51
	v_min_u32_e32 v57, 32, v57
	v_subrev_u32_e32 v58, 28, v57
	v_lshlrev_b64 v[58:59], v58, v[44:45]
	v_lshrrev_b32_e32 v52, 3, v46
	v_sub_u32_e32 v57, 29, v57
	v_and_b32_e32 v58, 7, v58
	v_cmp_gt_u32_e32 vcc, 8, v46
	v_cndmask_b32_e32 v46, v52, v57, vcc
	v_cndmask_b32_e32 v51, v51, v58, vcc
	v_lshlrev_b32_e32 v52, 24, v44
	v_lshlrev_b32_e32 v51, 20, v51
	v_and_b32_e32 v52, 0x80000000, v52
	v_lshl_add_u32 v46, v46, 23, v56
	v_or3_b32 v52, v52, v46, v51
.LBB655_507:                            ;   in Loop: Header=BB655_215 Depth=1
	s_or_b64 exec, exec, s[16:17]
.LBB655_508:                            ;   in Loop: Header=BB655_215 Depth=1
	s_or_b64 exec, exec, s[14:15]
.LBB655_509:                            ;   in Loop: Header=BB655_215 Depth=1
	s_or_b64 exec, exec, s[12:13]
	v_lshrrev_b16_e32 v46, 8, v44
	v_cmp_ne_u16_e32 vcc, 0, v46
	v_mov_b32_e32 v51, 0
	v_mov_b32_e32 v57, 0
	s_and_saveexec_b64 s[12:13], vcc
	s_cbranch_execz .LBB655_515
; %bb.510:                              ;   in Loop: Header=BB655_215 Depth=1
	v_cmp_ne_u16_e32 vcc, s9, v46
	v_bfrev_b32_e32 v57, 1
	s_and_saveexec_b64 s[14:15], vcc
	s_cbranch_execz .LBB655_514
; %bb.511:                              ;   in Loop: Header=BB655_215 Depth=1
	v_and_b32_e32 v58, 0x7f, v46
	v_cmp_ne_u32_e32 vcc, s19, v58
	v_mov_b32_e32 v57, 0x7f800001
	s_and_saveexec_b64 s[16:17], vcc
	s_cbranch_execz .LBB655_513
; %bb.512:                              ;   in Loop: Header=BB655_215 Depth=1
	v_and_b32_e32 v57, 7, v46
	v_ffbh_u32_e32 v60, v57
	v_min_u32_e32 v62, 32, v60
	v_subrev_u32_e32 v60, 28, v62
	v_lshlrev_b64 v[60:61], v60, v[46:47]
	v_lshrrev_b32_e32 v59, 3, v58
	v_sub_u32_e32 v46, 29, v62
	v_and_b32_e32 v60, 7, v60
	v_cmp_gt_u32_e32 vcc, 8, v58
	v_cndmask_b32_e32 v46, v59, v46, vcc
	v_cndmask_b32_e32 v57, v57, v60, vcc
	v_lshlrev_b32_e32 v58, 16, v44
	v_lshlrev_b32_e32 v57, 20, v57
	v_and_b32_e32 v58, 0x80000000, v58
	v_lshl_add_u32 v46, v46, 23, v56
	v_or3_b32 v57, v58, v46, v57
.LBB655_513:                            ;   in Loop: Header=BB655_215 Depth=1
	s_or_b64 exec, exec, s[16:17]
.LBB655_514:                            ;   in Loop: Header=BB655_215 Depth=1
	s_or_b64 exec, exec, s[14:15]
.LBB655_515:                            ;   in Loop: Header=BB655_215 Depth=1
	s_or_b64 exec, exec, s[12:13]
	v_lshrrev_b32_e32 v46, 16, v44
	v_cmp_ne_u16_sdwa s[14:15], v46, v55 src0_sel:BYTE_0 src1_sel:DWORD
	s_and_saveexec_b64 s[12:13], s[14:15]
	s_cbranch_execz .LBB655_521
; %bb.516:                              ;   in Loop: Header=BB655_215 Depth=1
	v_cmp_ne_u16_sdwa s[16:17], v46, s9 src0_sel:BYTE_0 src1_sel:DWORD
	v_bfrev_b32_e32 v51, 1
	s_and_saveexec_b64 s[14:15], s[16:17]
	s_cbranch_execz .LBB655_520
; %bb.517:                              ;   in Loop: Header=BB655_215 Depth=1
	v_bfe_u32 v58, v44, 16, 7
	v_cmp_ne_u32_e32 vcc, s19, v58
	v_mov_b32_e32 v51, 0x7f800001
	s_and_saveexec_b64 s[16:17], vcc
	s_cbranch_execz .LBB655_519
; %bb.518:                              ;   in Loop: Header=BB655_215 Depth=1
	v_and_b32_e32 v51, 7, v46
	v_ffbh_u32_e32 v60, v51
	v_min_u32_e32 v62, 32, v60
	v_subrev_u32_e32 v60, 28, v62
	v_lshlrev_b64 v[60:61], v60, v[46:47]
	v_lshrrev_b32_e32 v59, 3, v58
	v_sub_u32_e32 v61, 29, v62
	v_and_b32_e32 v60, 7, v60
	v_cmp_gt_u32_e32 vcc, 8, v58
	v_cndmask_b32_e32 v58, v59, v61, vcc
	v_cndmask_b32_e32 v51, v51, v60, vcc
	v_lshlrev_b32_e32 v46, 24, v46
	v_lshlrev_b32_e32 v51, 20, v51
	v_and_b32_e32 v46, 0x80000000, v46
	v_lshl_add_u32 v58, v58, 23, v56
	v_or3_b32 v51, v46, v58, v51
.LBB655_519:                            ;   in Loop: Header=BB655_215 Depth=1
	s_or_b64 exec, exec, s[16:17]
.LBB655_520:                            ;   in Loop: Header=BB655_215 Depth=1
	s_or_b64 exec, exec, s[14:15]
.LBB655_521:                            ;   in Loop: Header=BB655_215 Depth=1
	s_or_b64 exec, exec, s[12:13]
	v_cmp_lt_u32_e32 vcc, s20, v44
	v_mov_b32_e32 v58, 0
	v_mov_b32_e32 v59, 0
	s_and_saveexec_b64 s[12:13], vcc
	s_cbranch_execz .LBB655_527
; %bb.522:                              ;   in Loop: Header=BB655_215 Depth=1
	v_lshrrev_b32_e32 v46, 24, v44
	v_cmp_ne_u32_e32 vcc, s9, v46
	v_bfrev_b32_e32 v59, 1
	s_and_saveexec_b64 s[14:15], vcc
	s_cbranch_execz .LBB655_526
; %bb.523:                              ;   in Loop: Header=BB655_215 Depth=1
	v_bfe_u32 v44, v44, 24, 7
	v_cmp_ne_u32_e32 vcc, s19, v44
	v_mov_b32_e32 v59, 0x7f800001
	s_and_saveexec_b64 s[16:17], vcc
	s_cbranch_execz .LBB655_525
; %bb.524:                              ;   in Loop: Header=BB655_215 Depth=1
	v_and_b32_e32 v59, 7, v46
	v_ffbh_u32_e32 v60, v59
	v_min_u32_e32 v63, 32, v60
	v_subrev_u32_e32 v60, 28, v63
	v_lshlrev_b64 v[60:61], v60, v[46:47]
	v_lshrrev_b32_e32 v62, 3, v44
	v_sub_u32_e32 v61, 29, v63
	v_and_b32_e32 v60, 7, v60
	v_cmp_gt_u32_e32 vcc, 8, v44
	v_cndmask_b32_e32 v44, v62, v61, vcc
	v_cndmask_b32_e32 v59, v59, v60, vcc
	v_lshlrev_b32_e32 v46, 24, v46
	v_lshlrev_b32_e32 v59, 20, v59
	v_and_b32_e32 v46, 0x80000000, v46
	v_lshl_add_u32 v44, v44, 23, v56
	v_or3_b32 v59, v46, v44, v59
.LBB655_525:                            ;   in Loop: Header=BB655_215 Depth=1
	s_or_b64 exec, exec, s[16:17]
.LBB655_526:                            ;   in Loop: Header=BB655_215 Depth=1
	s_or_b64 exec, exec, s[14:15]
.LBB655_527:                            ;   in Loop: Header=BB655_215 Depth=1
	s_or_b64 exec, exec, s[12:13]
	s_waitcnt vmcnt(2)
	v_cmp_ne_u16_sdwa s[14:15], v42, v55 src0_sel:BYTE_0 src1_sel:DWORD
	s_and_saveexec_b64 s[12:13], s[14:15]
	s_cbranch_execz .LBB655_533
; %bb.528:                              ;   in Loop: Header=BB655_215 Depth=1
	v_cmp_ne_u16_sdwa s[16:17], v42, s9 src0_sel:BYTE_0 src1_sel:DWORD
	v_bfrev_b32_e32 v58, 1
	s_and_saveexec_b64 s[14:15], s[16:17]
	s_cbranch_execz .LBB655_532
; %bb.529:                              ;   in Loop: Header=BB655_215 Depth=1
	v_and_b32_e32 v44, 0x7f, v42
	v_cmp_ne_u32_e32 vcc, s19, v44
	v_mov_b32_e32 v58, 0x7f800001
	s_and_saveexec_b64 s[16:17], vcc
	s_cbranch_execz .LBB655_531
; %bb.530:                              ;   in Loop: Header=BB655_215 Depth=1
	v_and_b32_e32 v46, 7, v42
	v_ffbh_u32_e32 v60, v46
	v_min_u32_e32 v62, 32, v60
	v_subrev_u32_e32 v60, 28, v62
	v_lshlrev_b64 v[60:61], v60, v[42:43]
	v_lshrrev_b32_e32 v58, 3, v44
	v_sub_u32_e32 v61, 29, v62
	v_and_b32_e32 v60, 7, v60
	v_cmp_gt_u32_e32 vcc, 8, v44
	v_cndmask_b32_e32 v44, v58, v61, vcc
	v_cndmask_b32_e32 v46, v46, v60, vcc
	v_lshlrev_b32_e32 v58, 24, v42
	v_lshlrev_b32_e32 v46, 20, v46
	v_and_b32_e32 v58, 0x80000000, v58
	v_lshl_add_u32 v44, v44, 23, v56
	v_or3_b32 v58, v58, v44, v46
.LBB655_531:                            ;   in Loop: Header=BB655_215 Depth=1
	s_or_b64 exec, exec, s[16:17]
.LBB655_532:                            ;   in Loop: Header=BB655_215 Depth=1
	s_or_b64 exec, exec, s[14:15]
.LBB655_533:                            ;   in Loop: Header=BB655_215 Depth=1
	s_or_b64 exec, exec, s[12:13]
	v_lshrrev_b16_e32 v44, 8, v42
	v_cmp_ne_u16_e32 vcc, 0, v44
	v_mov_b32_e32 v60, 0
	v_mov_b32_e32 v61, 0
	s_and_saveexec_b64 s[12:13], vcc
	s_cbranch_execz .LBB655_539
; %bb.534:                              ;   in Loop: Header=BB655_215 Depth=1
	v_cmp_ne_u16_e32 vcc, s9, v44
	v_bfrev_b32_e32 v61, 1
	s_and_saveexec_b64 s[14:15], vcc
	s_cbranch_execz .LBB655_538
; %bb.535:                              ;   in Loop: Header=BB655_215 Depth=1
	v_and_b32_e32 v46, 0x7f, v44
	v_cmp_ne_u32_e32 vcc, s19, v46
	v_mov_b32_e32 v61, 0x7f800001
	s_and_saveexec_b64 s[16:17], vcc
	s_cbranch_execz .LBB655_537
; %bb.536:                              ;   in Loop: Header=BB655_215 Depth=1
	v_and_b32_e32 v61, 7, v44
	v_ffbh_u32_e32 v62, v61
	v_min_u32_e32 v65, 32, v62
	v_subrev_u32_e32 v62, 28, v65
	v_lshlrev_b64 v[62:63], v62, v[44:45]
	v_lshrrev_b32_e32 v64, 3, v46
	v_sub_u32_e32 v44, 29, v65
	v_and_b32_e32 v62, 7, v62
	v_cmp_gt_u32_e32 vcc, 8, v46
	v_cndmask_b32_e32 v44, v64, v44, vcc
	v_cndmask_b32_e32 v46, v61, v62, vcc
	v_lshlrev_b32_e32 v61, 16, v42
	v_lshlrev_b32_e32 v46, 20, v46
	v_and_b32_e32 v61, 0x80000000, v61
	v_lshl_add_u32 v44, v44, 23, v56
	v_or3_b32 v61, v61, v44, v46
.LBB655_537:                            ;   in Loop: Header=BB655_215 Depth=1
	s_or_b64 exec, exec, s[16:17]
.LBB655_538:                            ;   in Loop: Header=BB655_215 Depth=1
	s_or_b64 exec, exec, s[14:15]
.LBB655_539:                            ;   in Loop: Header=BB655_215 Depth=1
	s_or_b64 exec, exec, s[12:13]
	v_lshrrev_b32_e32 v44, 16, v42
	v_cmp_ne_u16_sdwa s[14:15], v44, v55 src0_sel:BYTE_0 src1_sel:DWORD
	s_and_saveexec_b64 s[12:13], s[14:15]
	s_cbranch_execz .LBB655_545
; %bb.540:                              ;   in Loop: Header=BB655_215 Depth=1
	v_cmp_ne_u16_sdwa s[16:17], v44, s9 src0_sel:BYTE_0 src1_sel:DWORD
	v_bfrev_b32_e32 v60, 1
	s_and_saveexec_b64 s[14:15], s[16:17]
	s_cbranch_execz .LBB655_544
; %bb.541:                              ;   in Loop: Header=BB655_215 Depth=1
	v_bfe_u32 v46, v42, 16, 7
	v_cmp_ne_u32_e32 vcc, s19, v46
	v_mov_b32_e32 v60, 0x7f800001
	s_and_saveexec_b64 s[16:17], vcc
	s_cbranch_execz .LBB655_543
; %bb.542:                              ;   in Loop: Header=BB655_215 Depth=1
	v_and_b32_e32 v60, 7, v44
	v_ffbh_u32_e32 v62, v60
	v_min_u32_e32 v65, 32, v62
	v_subrev_u32_e32 v62, 28, v65
	v_lshlrev_b64 v[62:63], v62, v[44:45]
	v_lshrrev_b32_e32 v64, 3, v46
	v_sub_u32_e32 v63, 29, v65
	v_and_b32_e32 v62, 7, v62
	v_cmp_gt_u32_e32 vcc, 8, v46
	v_cndmask_b32_e32 v46, v64, v63, vcc
	v_cndmask_b32_e32 v60, v60, v62, vcc
	v_lshlrev_b32_e32 v44, 24, v44
	v_lshlrev_b32_e32 v60, 20, v60
	v_and_b32_e32 v44, 0x80000000, v44
	v_lshl_add_u32 v46, v46, 23, v56
	v_or3_b32 v60, v44, v46, v60
.LBB655_543:                            ;   in Loop: Header=BB655_215 Depth=1
	s_or_b64 exec, exec, s[16:17]
.LBB655_544:                            ;   in Loop: Header=BB655_215 Depth=1
	s_or_b64 exec, exec, s[14:15]
.LBB655_545:                            ;   in Loop: Header=BB655_215 Depth=1
	s_or_b64 exec, exec, s[12:13]
	v_cmp_lt_u32_e32 vcc, s20, v42
	v_mov_b32_e32 v46, 0
	v_mov_b32_e32 v62, 0
	s_and_saveexec_b64 s[12:13], vcc
	s_cbranch_execz .LBB655_551
; %bb.546:                              ;   in Loop: Header=BB655_215 Depth=1
	v_lshrrev_b32_e32 v44, 24, v42
	v_cmp_ne_u32_e32 vcc, s9, v44
	v_bfrev_b32_e32 v62, 1
	s_and_saveexec_b64 s[14:15], vcc
	s_cbranch_execz .LBB655_550
; %bb.547:                              ;   in Loop: Header=BB655_215 Depth=1
	v_bfe_u32 v42, v42, 24, 7
	v_cmp_ne_u32_e32 vcc, s19, v42
	v_mov_b32_e32 v62, 0x7f800001
	s_and_saveexec_b64 s[16:17], vcc
	s_cbranch_execz .LBB655_549
; %bb.548:                              ;   in Loop: Header=BB655_215 Depth=1
	v_and_b32_e32 v64, 7, v44
	v_ffbh_u32_e32 v62, v64
	v_min_u32_e32 v66, 32, v62
	v_subrev_u32_e32 v62, 28, v66
	v_lshlrev_b64 v[62:63], v62, v[44:45]
	v_lshrrev_b32_e32 v65, 3, v42
	v_sub_u32_e32 v63, 29, v66
	v_and_b32_e32 v62, 7, v62
	v_cmp_gt_u32_e32 vcc, 8, v42
	v_cndmask_b32_e32 v42, v65, v63, vcc
	v_cndmask_b32_e32 v62, v64, v62, vcc
	v_lshlrev_b32_e32 v44, 24, v44
	v_lshlrev_b32_e32 v62, 20, v62
	v_and_b32_e32 v44, 0x80000000, v44
	v_lshl_add_u32 v42, v42, 23, v56
	v_or3_b32 v62, v44, v42, v62
.LBB655_549:                            ;   in Loop: Header=BB655_215 Depth=1
	s_or_b64 exec, exec, s[16:17]
.LBB655_550:                            ;   in Loop: Header=BB655_215 Depth=1
	s_or_b64 exec, exec, s[14:15]
.LBB655_551:                            ;   in Loop: Header=BB655_215 Depth=1
	s_or_b64 exec, exec, s[12:13]
	v_cvt_pkrtz_f16_f32 v64, v52, v57
	v_cvt_pkrtz_f16_f32 v65, v51, v59
	v_cvt_pkrtz_f16_f32 v58, v58, v61
	v_cvt_pkrtz_f16_f32 v59, v60, v62
	s_waitcnt vmcnt(1)
	v_cmp_ne_u16_sdwa s[14:15], v40, v55 src0_sel:BYTE_0 src1_sel:DWORD
	v_mfma_f32_16x16x16f16 v[34:37], v[64:65], v[26:27], v[34:37]
	v_mfma_f32_16x16x16f16 v[34:37], v[58:59], v[28:29], v[34:37]
	s_and_saveexec_b64 s[12:13], s[14:15]
	s_cbranch_execz .LBB655_557
; %bb.552:                              ;   in Loop: Header=BB655_215 Depth=1
	v_cmp_ne_u16_sdwa s[16:17], v40, s9 src0_sel:BYTE_0 src1_sel:DWORD
	v_bfrev_b32_e32 v46, 1
	s_and_saveexec_b64 s[14:15], s[16:17]
	s_cbranch_execz .LBB655_556
; %bb.553:                              ;   in Loop: Header=BB655_215 Depth=1
	v_and_b32_e32 v42, 0x7f, v40
	v_cmp_ne_u32_e32 vcc, s19, v42
	v_mov_b32_e32 v46, 0x7f800001
	s_and_saveexec_b64 s[16:17], vcc
	s_cbranch_execz .LBB655_555
; %bb.554:                              ;   in Loop: Header=BB655_215 Depth=1
	v_and_b32_e32 v44, 7, v40
	v_ffbh_u32_e32 v51, v44
	v_min_u32_e32 v51, 32, v51
	v_subrev_u32_e32 v52, 28, v51
	v_lshlrev_b64 v[58:59], v52, v[40:41]
	v_lshrrev_b32_e32 v46, 3, v42
	v_sub_u32_e32 v51, 29, v51
	v_and_b32_e32 v52, 7, v58
	v_cmp_gt_u32_e32 vcc, 8, v42
	v_cndmask_b32_e32 v42, v46, v51, vcc
	v_cndmask_b32_e32 v44, v44, v52, vcc
	v_lshlrev_b32_e32 v46, 24, v40
	v_lshlrev_b32_e32 v44, 20, v44
	v_and_b32_e32 v46, 0x80000000, v46
	v_lshl_add_u32 v42, v42, 23, v56
	v_or3_b32 v46, v46, v42, v44
.LBB655_555:                            ;   in Loop: Header=BB655_215 Depth=1
	s_or_b64 exec, exec, s[16:17]
.LBB655_556:                            ;   in Loop: Header=BB655_215 Depth=1
	s_or_b64 exec, exec, s[14:15]
.LBB655_557:                            ;   in Loop: Header=BB655_215 Depth=1
	s_or_b64 exec, exec, s[12:13]
	v_lshrrev_b16_e32 v42, 8, v40
	v_cmp_ne_u16_e32 vcc, 0, v42
	v_mov_b32_e32 v44, 0
	v_mov_b32_e32 v51, 0
	s_and_saveexec_b64 s[12:13], vcc
	s_cbranch_execz .LBB655_563
; %bb.558:                              ;   in Loop: Header=BB655_215 Depth=1
	v_cmp_ne_u16_e32 vcc, s9, v42
	v_bfrev_b32_e32 v51, 1
	s_and_saveexec_b64 s[14:15], vcc
	s_cbranch_execz .LBB655_562
; %bb.559:                              ;   in Loop: Header=BB655_215 Depth=1
	v_and_b32_e32 v52, 0x7f, v42
	v_cmp_ne_u32_e32 vcc, s19, v52
	v_mov_b32_e32 v51, 0x7f800001
	s_and_saveexec_b64 s[16:17], vcc
	s_cbranch_execz .LBB655_561
; %bb.560:                              ;   in Loop: Header=BB655_215 Depth=1
	v_and_b32_e32 v51, 7, v42
	v_ffbh_u32_e32 v58, v51
	v_min_u32_e32 v60, 32, v58
	v_subrev_u32_e32 v58, 28, v60
	v_lshlrev_b64 v[58:59], v58, v[42:43]
	v_lshrrev_b32_e32 v57, 3, v52
	v_sub_u32_e32 v42, 29, v60
	v_and_b32_e32 v58, 7, v58
	v_cmp_gt_u32_e32 vcc, 8, v52
	v_cndmask_b32_e32 v42, v57, v42, vcc
	v_cndmask_b32_e32 v51, v51, v58, vcc
	v_lshlrev_b32_e32 v52, 16, v40
	v_lshlrev_b32_e32 v51, 20, v51
	v_and_b32_e32 v52, 0x80000000, v52
	v_lshl_add_u32 v42, v42, 23, v56
	v_or3_b32 v51, v52, v42, v51
.LBB655_561:                            ;   in Loop: Header=BB655_215 Depth=1
	s_or_b64 exec, exec, s[16:17]
.LBB655_562:                            ;   in Loop: Header=BB655_215 Depth=1
	s_or_b64 exec, exec, s[14:15]
.LBB655_563:                            ;   in Loop: Header=BB655_215 Depth=1
	s_or_b64 exec, exec, s[12:13]
	v_lshrrev_b32_e32 v42, 16, v40
	v_cmp_ne_u16_sdwa s[14:15], v42, v55 src0_sel:BYTE_0 src1_sel:DWORD
	s_and_saveexec_b64 s[12:13], s[14:15]
	s_cbranch_execz .LBB655_569
; %bb.564:                              ;   in Loop: Header=BB655_215 Depth=1
	v_cmp_ne_u16_sdwa s[16:17], v42, s9 src0_sel:BYTE_0 src1_sel:DWORD
	v_bfrev_b32_e32 v44, 1
	s_and_saveexec_b64 s[14:15], s[16:17]
	s_cbranch_execz .LBB655_568
; %bb.565:                              ;   in Loop: Header=BB655_215 Depth=1
	v_bfe_u32 v52, v40, 16, 7
	v_cmp_ne_u32_e32 vcc, s19, v52
	v_mov_b32_e32 v44, 0x7f800001
	s_and_saveexec_b64 s[16:17], vcc
	s_cbranch_execz .LBB655_567
; %bb.566:                              ;   in Loop: Header=BB655_215 Depth=1
	v_and_b32_e32 v44, 7, v42
	v_ffbh_u32_e32 v58, v44
	v_min_u32_e32 v60, 32, v58
	v_subrev_u32_e32 v58, 28, v60
	v_lshlrev_b64 v[58:59], v58, v[42:43]
	v_lshrrev_b32_e32 v57, 3, v52
	v_sub_u32_e32 v59, 29, v60
	v_and_b32_e32 v58, 7, v58
	v_cmp_gt_u32_e32 vcc, 8, v52
	v_cndmask_b32_e32 v52, v57, v59, vcc
	v_cndmask_b32_e32 v44, v44, v58, vcc
	v_lshlrev_b32_e32 v42, 24, v42
	v_lshlrev_b32_e32 v44, 20, v44
	v_and_b32_e32 v42, 0x80000000, v42
	v_lshl_add_u32 v52, v52, 23, v56
	v_or3_b32 v44, v42, v52, v44
.LBB655_567:                            ;   in Loop: Header=BB655_215 Depth=1
	s_or_b64 exec, exec, s[16:17]
.LBB655_568:                            ;   in Loop: Header=BB655_215 Depth=1
	s_or_b64 exec, exec, s[14:15]
.LBB655_569:                            ;   in Loop: Header=BB655_215 Depth=1
	s_or_b64 exec, exec, s[12:13]
	v_cmp_lt_u32_e32 vcc, s20, v40
	v_mov_b32_e32 v52, 0
	v_mov_b32_e32 v57, 0
	s_and_saveexec_b64 s[12:13], vcc
	s_cbranch_execz .LBB655_575
; %bb.570:                              ;   in Loop: Header=BB655_215 Depth=1
	v_lshrrev_b32_e32 v42, 24, v40
	v_cmp_ne_u32_e32 vcc, s9, v42
	v_bfrev_b32_e32 v57, 1
	s_and_saveexec_b64 s[14:15], vcc
	s_cbranch_execz .LBB655_574
; %bb.571:                              ;   in Loop: Header=BB655_215 Depth=1
	v_bfe_u32 v40, v40, 24, 7
	v_cmp_ne_u32_e32 vcc, s19, v40
	v_mov_b32_e32 v57, 0x7f800001
	s_and_saveexec_b64 s[16:17], vcc
	s_cbranch_execz .LBB655_573
; %bb.572:                              ;   in Loop: Header=BB655_215 Depth=1
	v_and_b32_e32 v57, 7, v42
	v_ffbh_u32_e32 v58, v57
	v_min_u32_e32 v61, 32, v58
	v_subrev_u32_e32 v58, 28, v61
	v_lshlrev_b64 v[58:59], v58, v[42:43]
	v_lshrrev_b32_e32 v60, 3, v40
	v_sub_u32_e32 v59, 29, v61
	v_and_b32_e32 v58, 7, v58
	v_cmp_gt_u32_e32 vcc, 8, v40
	v_cndmask_b32_e32 v40, v60, v59, vcc
	v_cndmask_b32_e32 v57, v57, v58, vcc
	v_lshlrev_b32_e32 v42, 24, v42
	v_lshlrev_b32_e32 v57, 20, v57
	v_and_b32_e32 v42, 0x80000000, v42
	v_lshl_add_u32 v40, v40, 23, v56
	v_or3_b32 v57, v42, v40, v57
.LBB655_573:                            ;   in Loop: Header=BB655_215 Depth=1
	s_or_b64 exec, exec, s[16:17]
.LBB655_574:                            ;   in Loop: Header=BB655_215 Depth=1
	s_or_b64 exec, exec, s[14:15]
.LBB655_575:                            ;   in Loop: Header=BB655_215 Depth=1
	s_or_b64 exec, exec, s[12:13]
	s_waitcnt vmcnt(0)
	v_cmp_ne_u16_sdwa s[14:15], v38, v55 src0_sel:BYTE_0 src1_sel:DWORD
	s_and_saveexec_b64 s[12:13], s[14:15]
	s_cbranch_execz .LBB655_581
; %bb.576:                              ;   in Loop: Header=BB655_215 Depth=1
	v_cmp_ne_u16_sdwa s[16:17], v38, s9 src0_sel:BYTE_0 src1_sel:DWORD
	v_bfrev_b32_e32 v52, 1
	s_and_saveexec_b64 s[14:15], s[16:17]
	s_cbranch_execz .LBB655_580
; %bb.577:                              ;   in Loop: Header=BB655_215 Depth=1
	v_and_b32_e32 v40, 0x7f, v38
	v_cmp_ne_u32_e32 vcc, s19, v40
	v_mov_b32_e32 v52, 0x7f800001
	s_and_saveexec_b64 s[16:17], vcc
	s_cbranch_execz .LBB655_579
; %bb.578:                              ;   in Loop: Header=BB655_215 Depth=1
	v_and_b32_e32 v42, 7, v38
	v_ffbh_u32_e32 v58, v42
	v_min_u32_e32 v60, 32, v58
	v_subrev_u32_e32 v58, 28, v60
	v_lshlrev_b64 v[58:59], v58, v[38:39]
	v_lshrrev_b32_e32 v52, 3, v40
	v_sub_u32_e32 v59, 29, v60
	v_and_b32_e32 v58, 7, v58
	v_cmp_gt_u32_e32 vcc, 8, v40
	v_cndmask_b32_e32 v40, v52, v59, vcc
	v_cndmask_b32_e32 v42, v42, v58, vcc
	v_lshlrev_b32_e32 v52, 24, v38
	v_lshlrev_b32_e32 v42, 20, v42
	v_and_b32_e32 v52, 0x80000000, v52
	v_lshl_add_u32 v40, v40, 23, v56
	v_or3_b32 v52, v52, v40, v42
.LBB655_579:                            ;   in Loop: Header=BB655_215 Depth=1
	s_or_b64 exec, exec, s[16:17]
.LBB655_580:                            ;   in Loop: Header=BB655_215 Depth=1
	s_or_b64 exec, exec, s[14:15]
.LBB655_581:                            ;   in Loop: Header=BB655_215 Depth=1
	s_or_b64 exec, exec, s[12:13]
	v_lshrrev_b16_e32 v40, 8, v38
	v_cmp_ne_u16_e32 vcc, 0, v40
	v_mov_b32_e32 v42, 0
	v_mov_b32_e32 v58, 0
	s_and_saveexec_b64 s[12:13], vcc
	s_cbranch_execz .LBB655_587
; %bb.582:                              ;   in Loop: Header=BB655_215 Depth=1
	v_cmp_ne_u16_e32 vcc, s9, v40
	v_bfrev_b32_e32 v58, 1
	s_and_saveexec_b64 s[14:15], vcc
	s_cbranch_execz .LBB655_586
; %bb.583:                              ;   in Loop: Header=BB655_215 Depth=1
	v_and_b32_e32 v59, 0x7f, v40
	v_cmp_ne_u32_e32 vcc, s19, v59
	v_mov_b32_e32 v58, 0x7f800001
	s_and_saveexec_b64 s[16:17], vcc
	s_cbranch_execz .LBB655_585
; %bb.584:                              ;   in Loop: Header=BB655_215 Depth=1
	v_and_b32_e32 v58, 7, v40
	v_ffbh_u32_e32 v60, v58
	v_min_u32_e32 v63, 32, v60
	v_subrev_u32_e32 v60, 28, v63
	v_lshlrev_b64 v[60:61], v60, v[40:41]
	v_lshrrev_b32_e32 v62, 3, v59
	v_sub_u32_e32 v40, 29, v63
	v_and_b32_e32 v60, 7, v60
	v_cmp_gt_u32_e32 vcc, 8, v59
	v_cndmask_b32_e32 v40, v62, v40, vcc
	v_cndmask_b32_e32 v58, v58, v60, vcc
	v_lshlrev_b32_e32 v59, 16, v38
	v_lshlrev_b32_e32 v58, 20, v58
	v_and_b32_e32 v59, 0x80000000, v59
	v_lshl_add_u32 v40, v40, 23, v56
	v_or3_b32 v58, v59, v40, v58
.LBB655_585:                            ;   in Loop: Header=BB655_215 Depth=1
	s_or_b64 exec, exec, s[16:17]
.LBB655_586:                            ;   in Loop: Header=BB655_215 Depth=1
	s_or_b64 exec, exec, s[14:15]
.LBB655_587:                            ;   in Loop: Header=BB655_215 Depth=1
	s_or_b64 exec, exec, s[12:13]
	v_lshrrev_b32_e32 v40, 16, v38
	v_cmp_ne_u16_sdwa s[14:15], v40, v55 src0_sel:BYTE_0 src1_sel:DWORD
	s_and_saveexec_b64 s[12:13], s[14:15]
	s_cbranch_execz .LBB655_593
; %bb.588:                              ;   in Loop: Header=BB655_215 Depth=1
	v_cmp_ne_u16_sdwa s[16:17], v40, s9 src0_sel:BYTE_0 src1_sel:DWORD
	v_bfrev_b32_e32 v42, 1
	s_and_saveexec_b64 s[14:15], s[16:17]
	s_cbranch_execz .LBB655_592
; %bb.589:                              ;   in Loop: Header=BB655_215 Depth=1
	v_bfe_u32 v59, v38, 16, 7
	v_cmp_ne_u32_e32 vcc, s19, v59
	v_mov_b32_e32 v42, 0x7f800001
	s_and_saveexec_b64 s[16:17], vcc
	s_cbranch_execz .LBB655_591
; %bb.590:                              ;   in Loop: Header=BB655_215 Depth=1
	v_and_b32_e32 v42, 7, v40
	v_ffbh_u32_e32 v60, v42
	v_min_u32_e32 v63, 32, v60
	v_subrev_u32_e32 v60, 28, v63
	v_lshlrev_b64 v[60:61], v60, v[40:41]
	v_lshrrev_b32_e32 v62, 3, v59
	v_sub_u32_e32 v61, 29, v63
	v_and_b32_e32 v60, 7, v60
	v_cmp_gt_u32_e32 vcc, 8, v59
	v_cndmask_b32_e32 v59, v62, v61, vcc
	v_cndmask_b32_e32 v42, v42, v60, vcc
	v_lshlrev_b32_e32 v40, 24, v40
	v_lshlrev_b32_e32 v42, 20, v42
	v_and_b32_e32 v40, 0x80000000, v40
	v_lshl_add_u32 v59, v59, 23, v56
	v_or3_b32 v42, v40, v59, v42
.LBB655_591:                            ;   in Loop: Header=BB655_215 Depth=1
	s_or_b64 exec, exec, s[16:17]
.LBB655_592:                            ;   in Loop: Header=BB655_215 Depth=1
	s_or_b64 exec, exec, s[14:15]
.LBB655_593:                            ;   in Loop: Header=BB655_215 Depth=1
	s_or_b64 exec, exec, s[12:13]
	v_cmp_lt_u32_e32 vcc, s20, v38
	v_mov_b32_e32 v59, 0
	s_and_saveexec_b64 s[12:13], vcc
	s_cbranch_execz .LBB655_214
; %bb.594:                              ;   in Loop: Header=BB655_215 Depth=1
	v_lshrrev_b32_e32 v40, 24, v38
	v_cmp_ne_u32_e32 vcc, s9, v40
	v_bfrev_b32_e32 v59, 1
	s_and_saveexec_b64 s[14:15], vcc
	s_cbranch_execz .LBB655_213
; %bb.595:                              ;   in Loop: Header=BB655_215 Depth=1
	v_bfe_u32 v38, v38, 24, 7
	v_cmp_ne_u32_e32 vcc, s19, v38
	v_mov_b32_e32 v59, 0x7f800001
	s_and_saveexec_b64 s[16:17], vcc
	s_cbranch_execz .LBB655_212
; %bb.596:                              ;   in Loop: Header=BB655_215 Depth=1
	v_and_b32_e32 v59, 7, v40
	v_ffbh_u32_e32 v60, v59
	v_min_u32_e32 v63, 32, v60
	v_subrev_u32_e32 v60, 28, v63
	v_lshlrev_b64 v[60:61], v60, v[40:41]
	v_lshrrev_b32_e32 v62, 3, v38
	v_sub_u32_e32 v61, 29, v63
	v_and_b32_e32 v60, 7, v60
	v_cmp_gt_u32_e32 vcc, 8, v38
	v_cndmask_b32_e32 v38, v62, v61, vcc
	v_cndmask_b32_e32 v59, v59, v60, vcc
	v_lshlrev_b32_e32 v40, 24, v40
	v_lshlrev_b32_e32 v59, 20, v59
	v_and_b32_e32 v40, 0x80000000, v40
	v_lshl_add_u32 v38, v38, 23, v56
	v_or3_b32 v59, v40, v38, v59
	s_branch .LBB655_212
.LBB655_597:
	s_barrier
	buffer_load_dword v2, off, s[0:3], 0 offset:320
	buffer_load_dword v5, off, s[0:3], 0 offset:332
	;; [unrolled: 1-line block ×4, first 2 shown]
	v_cmp_gt_u32_e32 vcc, 64, v0
	v_cmp_gt_u32_e64 s[4:5], 32, v45
	s_and_b64 s[4:5], vcc, s[4:5]
	s_waitcnt vmcnt(0)
	ds_write2st64_b64 v53, v[2:3], v[4:5] offset1:1
	s_waitcnt lgkmcnt(0)
	s_barrier
	s_and_saveexec_b64 s[6:7], s[4:5]
	s_cbranch_execz .LBB655_599
; %bb.598:
	s_mul_i32 s4, s18, s8
	s_lshl_b32 s6, s48, 7
	s_mul_hi_u32 s5, s4, s6
	s_mul_i32 s4, s4, s6
	v_lshlrev_b32_e32 v4, 6, v41
	s_lshl_b64 s[4:5], s[4:5], 1
	v_lshl_or_b32 v0, v0, 10, v4
	s_add_u32 s7, s50, s4
	v_lshlrev_b32_e32 v2, 5, v39
	v_and_b32_e32 v3, 16, v43
	v_and_b32_e32 v0, 0x1a00, v0
	s_addc_u32 s8, s51, s5
	s_lshl_b32 s4, s26, 7
	s_mov_b32 s5, 0
	v_or3_b32 v0, v0, v2, v3
	s_lshl_b64 s[4:5], s[4:5], 1
	ds_read_b128 v[2:5], v0
	s_add_u32 s7, s7, s4
	v_or_b32_e32 v0, s27, v39
	s_addc_u32 s8, s8, s5
	v_mad_u64_u32 v[6:7], s[4:5], s6, v0, 0
	v_lshlrev_b64 v[6:7], 1, v[6:7]
	v_mov_b32_e32 v0, s8
	v_add_co_u32_e32 v6, vcc, s7, v6
	v_addc_co_u32_e32 v7, vcc, v0, v7, vcc
	v_add_co_u32_e32 v0, vcc, v6, v1
	v_addc_co_u32_e32 v1, vcc, 0, v7, vcc
	s_waitcnt lgkmcnt(0)
	global_store_dwordx4 v[0:1], v[2:5], off
.LBB655_599:
	s_endpgm
	.section	.rodata,"a",@progbits
	.p2align	6, 0x0
	.amdhsa_kernel _Z39paged_attention_ll4mi_QKV_mfma16_kernelIDF16_hLN4vllm18Fp8KVCacheDataTypeE1EDF16_Li32ELi128ELi256ELb1ELi2EL8MFMAType0EEvPKT_PKT0_S8_ifPKiSA_SA_iPKfiiiPfSD_PS3_PT2_iSC_SC_
		.amdhsa_group_segment_fixed_size 8192
		.amdhsa_private_segment_fixed_size 352
		.amdhsa_kernarg_size 400
		.amdhsa_user_sgpr_count 8
		.amdhsa_user_sgpr_private_segment_buffer 1
		.amdhsa_user_sgpr_dispatch_ptr 0
		.amdhsa_user_sgpr_queue_ptr 0
		.amdhsa_user_sgpr_kernarg_segment_ptr 1
		.amdhsa_user_sgpr_dispatch_id 0
		.amdhsa_user_sgpr_flat_scratch_init 1
		.amdhsa_user_sgpr_kernarg_preload_length 0
		.amdhsa_user_sgpr_kernarg_preload_offset 0
		.amdhsa_user_sgpr_private_segment_size 0
		.amdhsa_uses_dynamic_stack 0
		.amdhsa_system_sgpr_private_segment_wavefront_offset 1
		.amdhsa_system_sgpr_workgroup_id_x 1
		.amdhsa_system_sgpr_workgroup_id_y 1
		.amdhsa_system_sgpr_workgroup_id_z 1
		.amdhsa_system_sgpr_workgroup_info 0
		.amdhsa_system_vgpr_workitem_id 0
		.amdhsa_next_free_vgpr 82
		.amdhsa_next_free_sgpr 53
		.amdhsa_accum_offset 84
		.amdhsa_reserve_vcc 1
		.amdhsa_reserve_flat_scratch 0
		.amdhsa_float_round_mode_32 0
		.amdhsa_float_round_mode_16_64 0
		.amdhsa_float_denorm_mode_32 3
		.amdhsa_float_denorm_mode_16_64 3
		.amdhsa_dx10_clamp 1
		.amdhsa_ieee_mode 1
		.amdhsa_fp16_overflow 0
		.amdhsa_tg_split 0
		.amdhsa_exception_fp_ieee_invalid_op 0
		.amdhsa_exception_fp_denorm_src 0
		.amdhsa_exception_fp_ieee_div_zero 0
		.amdhsa_exception_fp_ieee_overflow 0
		.amdhsa_exception_fp_ieee_underflow 0
		.amdhsa_exception_fp_ieee_inexact 0
		.amdhsa_exception_int_div_zero 0
	.end_amdhsa_kernel
	.section	.text._Z39paged_attention_ll4mi_QKV_mfma16_kernelIDF16_hLN4vllm18Fp8KVCacheDataTypeE1EDF16_Li32ELi128ELi256ELb1ELi2EL8MFMAType0EEvPKT_PKT0_S8_ifPKiSA_SA_iPKfiiiPfSD_PS3_PT2_iSC_SC_,"axG",@progbits,_Z39paged_attention_ll4mi_QKV_mfma16_kernelIDF16_hLN4vllm18Fp8KVCacheDataTypeE1EDF16_Li32ELi128ELi256ELb1ELi2EL8MFMAType0EEvPKT_PKT0_S8_ifPKiSA_SA_iPKfiiiPfSD_PS3_PT2_iSC_SC_,comdat
.Lfunc_end655:
	.size	_Z39paged_attention_ll4mi_QKV_mfma16_kernelIDF16_hLN4vllm18Fp8KVCacheDataTypeE1EDF16_Li32ELi128ELi256ELb1ELi2EL8MFMAType0EEvPKT_PKT0_S8_ifPKiSA_SA_iPKfiiiPfSD_PS3_PT2_iSC_SC_, .Lfunc_end655-_Z39paged_attention_ll4mi_QKV_mfma16_kernelIDF16_hLN4vllm18Fp8KVCacheDataTypeE1EDF16_Li32ELi128ELi256ELb1ELi2EL8MFMAType0EEvPKT_PKT0_S8_ifPKiSA_SA_iPKfiiiPfSD_PS3_PT2_iSC_SC_
                                        ; -- End function
	.section	.AMDGPU.csdata,"",@progbits
; Kernel info:
; codeLenInByte = 21408
; NumSgprs: 57
; NumVgprs: 82
; NumAgprs: 0
; TotalNumVgprs: 82
; ScratchSize: 352
; MemoryBound: 0
; FloatMode: 240
; IeeeMode: 1
; LDSByteSize: 8192 bytes/workgroup (compile time only)
; SGPRBlocks: 7
; VGPRBlocks: 10
; NumSGPRsForWavesPerEU: 57
; NumVGPRsForWavesPerEU: 82
; AccumOffset: 84
; Occupancy: 5
; WaveLimiterHint : 1
; COMPUTE_PGM_RSRC2:SCRATCH_EN: 1
; COMPUTE_PGM_RSRC2:USER_SGPR: 8
; COMPUTE_PGM_RSRC2:TRAP_HANDLER: 0
; COMPUTE_PGM_RSRC2:TGID_X_EN: 1
; COMPUTE_PGM_RSRC2:TGID_Y_EN: 1
; COMPUTE_PGM_RSRC2:TGID_Z_EN: 1
; COMPUTE_PGM_RSRC2:TIDIG_COMP_CNT: 0
; COMPUTE_PGM_RSRC3_GFX90A:ACCUM_OFFSET: 20
; COMPUTE_PGM_RSRC3_GFX90A:TG_SPLIT: 0
	.section	.text._Z39paged_attention_ll4mi_QKV_mfma16_kernelIDF16_hLN4vllm18Fp8KVCacheDataTypeE1EDF16_Li32ELi128ELi256ELb1ELi3EL8MFMAType0EEvPKT_PKT0_S8_ifPKiSA_SA_iPKfiiiPfSD_PS3_PT2_iSC_SC_,"axG",@progbits,_Z39paged_attention_ll4mi_QKV_mfma16_kernelIDF16_hLN4vllm18Fp8KVCacheDataTypeE1EDF16_Li32ELi128ELi256ELb1ELi3EL8MFMAType0EEvPKT_PKT0_S8_ifPKiSA_SA_iPKfiiiPfSD_PS3_PT2_iSC_SC_,comdat
	.protected	_Z39paged_attention_ll4mi_QKV_mfma16_kernelIDF16_hLN4vllm18Fp8KVCacheDataTypeE1EDF16_Li32ELi128ELi256ELb1ELi3EL8MFMAType0EEvPKT_PKT0_S8_ifPKiSA_SA_iPKfiiiPfSD_PS3_PT2_iSC_SC_ ; -- Begin function _Z39paged_attention_ll4mi_QKV_mfma16_kernelIDF16_hLN4vllm18Fp8KVCacheDataTypeE1EDF16_Li32ELi128ELi256ELb1ELi3EL8MFMAType0EEvPKT_PKT0_S8_ifPKiSA_SA_iPKfiiiPfSD_PS3_PT2_iSC_SC_
	.globl	_Z39paged_attention_ll4mi_QKV_mfma16_kernelIDF16_hLN4vllm18Fp8KVCacheDataTypeE1EDF16_Li32ELi128ELi256ELb1ELi3EL8MFMAType0EEvPKT_PKT0_S8_ifPKiSA_SA_iPKfiiiPfSD_PS3_PT2_iSC_SC_
	.p2align	8
	.type	_Z39paged_attention_ll4mi_QKV_mfma16_kernelIDF16_hLN4vllm18Fp8KVCacheDataTypeE1EDF16_Li32ELi128ELi256ELb1ELi3EL8MFMAType0EEvPKT_PKT0_S8_ifPKiSA_SA_iPKfiiiPfSD_PS3_PT2_iSC_SC_,@function
_Z39paged_attention_ll4mi_QKV_mfma16_kernelIDF16_hLN4vllm18Fp8KVCacheDataTypeE1EDF16_Li32ELi128ELi256ELb1ELi3EL8MFMAType0EEvPKT_PKT0_S8_ifPKiSA_SA_iPKfiiiPfSD_PS3_PT2_iSC_SC_: ; @_Z39paged_attention_ll4mi_QKV_mfma16_kernelIDF16_hLN4vllm18Fp8KVCacheDataTypeE1EDF16_Li32ELi128ELi256ELb1ELi3EL8MFMAType0EEvPKT_PKT0_S8_ifPKiSA_SA_iPKfiiiPfSD_PS3_PT2_iSC_SC_
; %bb.0:
	s_load_dwordx2 s[6:7], s[4:5], 0x30
	s_add_u32 s0, s0, s11
	s_addc_u32 s1, s1, 0
	s_mov_b32 s26, s9
	s_mov_b64 s[14:15], 0
	s_waitcnt lgkmcnt(0)
	s_cmp_lg_u64 s[6:7], 0
	s_cselect_b64 s[12:13], -1, 0
	s_and_b64 vcc, exec, s[12:13]
	s_cbranch_vccz .LBB656_7
; %bb.1:
	s_add_i32 s16, s8, 1
	s_mov_b32 s17, 0
	s_lshl_b64 s[18:19], s[16:17], 2
	s_add_u32 s18, s6, s18
	s_mov_b32 s9, s17
	s_addc_u32 s19, s7, s19
	s_lshl_b64 s[16:17], s[8:9], 2
	s_add_u32 s16, s6, s16
	s_addc_u32 s17, s7, s17
	s_load_dword s11, s[18:19], 0x0
	s_load_dword s20, s[16:17], 0x0
	s_waitcnt lgkmcnt(0)
	s_sub_i32 s11, s11, s20
	s_cmp_eq_u32 s11, 1
	s_cselect_b64 s[16:17], -1, 0
	s_andn2_b64 vcc, exec, s[14:15]
	s_cbranch_vccnz .LBB656_3
.LBB656_2:
	s_mov_b32 s9, 0
	s_mov_b64 s[16:17], -1
.LBB656_3:
	s_andn2_b64 vcc, exec, s[16:17]
	s_cbranch_vccnz .LBB656_599
; %bb.4:
	s_load_dwordx2 s[16:17], s[4:5], 0x28
	s_lshl_b64 s[14:15], s[8:9], 2
	s_waitcnt lgkmcnt(0)
	s_add_u32 s16, s16, s14
	s_addc_u32 s17, s17, s15
	s_load_dword s33, s[16:17], 0x0
	s_lshl_b32 s20, s26, 8
	s_waitcnt lgkmcnt(0)
	s_cmp_ge_i32 s20, s33
	s_cbranch_scc1 .LBB656_599
; %bb.5:
	s_add_i32 s18, s33, 31
	s_load_dwordx2 s[16:17], s[4:5], 0x20
	s_load_dword s11, s[4:5], 0x38
	s_ashr_i32 s19, s18, 31
	v_and_b32_e32 v1, 0xcf, v0
	s_lshr_b32 s19, s19, 27
	v_add_u32_e32 v1, s20, v1
	s_add_i32 s18, s18, s19
	v_ashrrev_i32_e32 v2, 31, v1
	s_ashr_i32 s23, s18, 5
	v_lshrrev_b32_e32 v4, 27, v2
	s_add_i32 s23, s23, -1
	v_add_u32_e32 v2, v1, v4
	s_waitcnt lgkmcnt(0)
	s_mul_i32 s18, s8, s11
	s_mov_b32 s19, 0
	v_ashrrev_i32_e32 v2, 5, v2
	v_mov_b32_e32 v5, s23
	v_cmp_gt_i32_e32 vcc, s33, v1
	s_lshl_b64 s[18:19], s[18:19], 2
	v_cndmask_b32_e32 v2, v5, v2, vcc
	s_add_u32 s21, s16, s18
	v_ashrrev_i32_e32 v3, 31, v2
	s_addc_u32 s22, s17, s19
	v_lshlrev_b64 v[2:3], 2, v[2:3]
	v_mov_b32_e32 v7, s22
	v_add_co_u32_e32 v6, vcc, s21, v2
	v_or_b32_e32 v2, 16, v1
	v_addc_co_u32_e32 v7, vcc, v7, v3, vcc
	v_add_u32_e32 v3, v2, v4
	v_ashrrev_i32_e32 v3, 5, v3
	v_cmp_gt_i32_e32 vcc, s33, v2
	v_cndmask_b32_e32 v2, v5, v3, vcc
	v_ashrrev_i32_e32 v3, 31, v2
	v_lshlrev_b64 v[2:3], 2, v[2:3]
	v_mov_b32_e32 v9, s22
	v_add_co_u32_e32 v8, vcc, s21, v2
	v_or_b32_e32 v2, 32, v1
	v_addc_co_u32_e32 v9, vcc, v9, v3, vcc
	v_add_u32_e32 v3, v2, v4
	v_ashrrev_i32_e32 v3, 5, v3
	v_cmp_gt_i32_e32 vcc, s33, v2
	v_cndmask_b32_e32 v2, v5, v3, vcc
	v_ashrrev_i32_e32 v3, 31, v2
	;; [unrolled: 10-line block ×3, first 2 shown]
	v_lshlrev_b64 v[2:3], 2, v[2:3]
	v_mov_b32_e32 v1, s22
	v_add_co_u32_e32 v12, vcc, s21, v2
	v_addc_co_u32_e32 v13, vcc, v1, v3, vcc
	global_load_dword v5, v[6:7], off
	global_load_dword v4, v[8:9], off
	;; [unrolled: 1-line block ×4, first 2 shown]
	s_load_dwordx2 s[16:17], s[4:5], 0x8
	s_andn2_b64 vcc, exec, s[12:13]
	s_cbranch_vccnz .LBB656_8
; %bb.6:
	s_add_u32 s6, s6, s14
	s_addc_u32 s7, s7, s15
	s_load_dword s11, s[6:7], 0x0
	s_branch .LBB656_9
.LBB656_7:
	s_mov_b64 s[16:17], 0
	s_branch .LBB656_2
.LBB656_8:
	s_mov_b32 s11, s8
.LBB656_9:
	s_load_dwordx2 s[6:7], s[4:5], 0x10
	s_load_dwordx4 s[12:15], s[4:5], 0x48
	v_lshrrev_b32_e32 v27, 6, v0
	v_bfe_u32 v41, v0, 4, 2
	v_and_b32_e32 v43, 15, v0
	s_mul_i32 s27, s10, 3
	v_lshl_or_b32 v6, v27, 2, v41
	v_lshlrev_b32_e32 v1, 3, v43
	v_add_u32_e32 v39, s27, v41
	v_cmp_gt_u32_e32 vcc, 3, v6
	v_lshlrev_b32_e32 v1, 1, v1
	v_lshlrev_b32_e32 v45, 4, v0
	s_and_saveexec_b64 s[18:19], vcc
	s_cbranch_execz .LBB656_11
; %bb.10:
	s_load_dwordx2 s[24:25], s[4:5], 0x0
	s_waitcnt lgkmcnt(0)
	s_ashr_i32 s15, s12, 31
	s_mul_hi_u32 s28, s11, s12
	s_mul_i32 s15, s11, s15
	s_add_i32 s29, s28, s15
	s_mul_i32 s28, s11, s12
	s_lshl_b64 s[28:29], s[28:29], 1
	v_lshlrev_b32_e32 v8, 7, v39
	s_add_u32 s11, s24, s28
	v_ashrrev_i32_e32 v9, 31, v8
	s_addc_u32 s12, s25, s29
	v_lshlrev_b64 v[8:9], 1, v[8:9]
	v_mov_b32_e32 v7, s12
	v_add_co_u32_e32 v8, vcc, s11, v8
	v_addc_co_u32_e32 v7, vcc, v7, v9, vcc
	v_add_co_u32_e32 v8, vcc, v8, v1
	v_addc_co_u32_e32 v9, vcc, 0, v7, vcc
	global_load_dwordx4 v[8:11], v[8:9], off
	v_lshlrev_b32_e32 v12, 8, v0
	v_lshlrev_b32_e32 v7, 8, v43
	v_and_b32_e32 v12, 0x600, v12
	s_movk_i32 s11, 0x800
	v_and_or_b32 v7, v7, s11, v12
	v_lshlrev_b32_e32 v6, 5, v6
	v_and_b32_e32 v12, 16, v45
	v_or3_b32 v6, v7, v6, v12
	s_waitcnt vmcnt(0)
	ds_write_b128 v6, v[8:11]
.LBB656_11:
	s_or_b64 exec, exec, s[18:19]
	s_waitcnt lgkmcnt(0)
	s_mul_i32 s14, s10, s14
	s_add_u32 s10, s16, s14
	s_addc_u32 s11, s17, 0
	v_pk_mov_b32 v[6:7], s[10:11], s[10:11] op_sel:[0,1]
	s_waitcnt vmcnt(3)
	v_mad_i64_i32 v[8:9], s[10:11], v5, s13, v[6:7]
	v_lshlrev_b32_e32 v11, 4, v43
	v_and_b32_e32 v18, 48, v0
	v_add_co_u32_e32 v5, vcc, v8, v11
	v_lshlrev_b32_e32 v10, 5, v18
	v_addc_co_u32_e32 v9, vcc, 0, v9, vcc
	v_add_co_u32_e32 v8, vcc, v5, v10
	v_addc_co_u32_e32 v9, vcc, 0, v9, vcc
	s_load_dwordx2 s[48:49], s[4:5], 0x94
	s_waitcnt lgkmcnt(0)
	s_barrier
	global_load_dwordx4 v[20:23], v[8:9], off
	global_load_dwordx4 v[28:31], v[8:9], off offset:2048
	s_waitcnt vmcnt(4)
	v_mad_i64_i32 v[4:5], s[10:11], v4, s13, v[6:7]
	v_or_b32_e32 v8, 0x100, v11
	v_add_co_u32_e32 v4, vcc, v4, v8
	v_addc_co_u32_e32 v5, vcc, 0, v5, vcc
	v_add_co_u32_e32 v4, vcc, v4, v10
	v_addc_co_u32_e32 v5, vcc, 0, v5, vcc
	global_load_dwordx4 v[32:35], v[4:5], off
	global_load_dwordx4 v[46:49], v[4:5], off offset:2048
	s_waitcnt vmcnt(5)
	v_mad_i64_i32 v[4:5], s[10:11], v3, s13, v[6:7]
	v_add_co_u32_e32 v3, vcc, v4, v11
	v_addc_co_u32_e32 v5, vcc, 0, v5, vcc
	v_add_co_u32_e32 v4, vcc, v3, v10
	v_addc_co_u32_e32 v5, vcc, 0, v5, vcc
	s_waitcnt vmcnt(4)
	v_mad_i64_i32 v[2:3], s[10:11], v2, s13, v[6:7]
	v_add_co_u32_e32 v2, vcc, v2, v8
	v_addc_co_u32_e32 v3, vcc, 0, v3, vcc
	v_add_co_u32_e32 v2, vcc, v2, v10
	v_addc_co_u32_e32 v3, vcc, 0, v3, vcc
	global_load_dwordx4 v[50:53], v[4:5], off
	global_load_dwordx4 v[54:57], v[4:5], off offset:2048
	global_load_dwordx4 v[58:61], v[2:3], off
	global_load_dwordx4 v[62:65], v[2:3], off offset:2048
	v_mul_lo_u16_e32 v2, 0x56, v43
	v_mov_b32_e32 v3, 3
	v_mul_lo_u16_sdwa v2, v2, v3 dst_sel:DWORD dst_unused:UNUSED_PAD src0_sel:BYTE_1 src1_sel:DWORD
	v_mov_b32_e32 v4, 5
	v_sub_u16_e32 v2, v43, v2
	v_lshlrev_b32_sdwa v2, v4, v2 dst_sel:DWORD dst_unused:UNUSED_PAD src0_sel:DWORD src1_sel:BYTE_0
	v_lshl_add_u32 v14, v41, 9, v2
	s_load_dwordx2 s[50:51], s[4:5], 0x68
	s_load_dwordx4 s[44:47], s[4:5], 0x58
	ds_read_b128 v[2:5], v14
	ds_read_b128 v[6:9], v14 offset:16
	ds_read_b128 v[10:13], v14 offset:2048
	;; [unrolled: 1-line block ×3, first 2 shown]
	s_mov_b32 s12, 0
	v_cmp_gt_u32_e32 vcc, 3, v43
	s_waitcnt vmcnt(7)
	buffer_store_dword v23, off, s[0:3], 0 offset:12
	buffer_store_dword v22, off, s[0:3], 0 offset:8
	;; [unrolled: 1-line block ×3, first 2 shown]
	buffer_store_dword v20, off, s[0:3], 0
	s_waitcnt vmcnt(10)
	buffer_store_dword v31, off, s[0:3], 0 offset:28
	buffer_store_dword v30, off, s[0:3], 0 offset:24
	buffer_store_dword v29, off, s[0:3], 0 offset:20
	buffer_store_dword v28, off, s[0:3], 0 offset:16
	s_waitcnt vmcnt(13)
	buffer_store_dword v35, off, s[0:3], 0 offset:44
	buffer_store_dword v34, off, s[0:3], 0 offset:40
	buffer_store_dword v33, off, s[0:3], 0 offset:36
	buffer_store_dword v32, off, s[0:3], 0 offset:32
	;; [unrolled: 5-line block ×7, first 2 shown]
	v_mov_b32_e32 v35, 0
	v_mov_b32_e32 v31, 0
	s_and_saveexec_b64 s[10:11], vcc
	s_cbranch_execz .LBB656_13
; %bb.12:
	s_load_dwordx2 s[16:17], s[4:5], 0x40
	v_add_u32_e32 v20, s27, v43
	v_ashrrev_i32_e32 v21, 31, v20
	v_lshlrev_b64 v[20:21], 2, v[20:21]
	s_waitcnt lgkmcnt(0)
	v_mov_b32_e32 v19, s17
	v_add_co_u32_e32 v20, vcc, s16, v20
	v_addc_co_u32_e32 v21, vcc, v19, v21, vcc
	global_load_dword v31, v[20:21], off
.LBB656_13:
	s_or_b64 exec, exec, s[10:11]
	s_ashr_i32 s10, s20, 31
	v_or_b32_e32 v24, s20, v18
	s_lshr_b32 s10, s10, 27
	v_add_u32_e32 v18, s10, v24
	v_ashrrev_i32_e32 v18, 5, v18
	v_mov_b32_e32 v25, s23
	v_cmp_gt_i32_e32 vcc, s33, v24
	v_cndmask_b32_e32 v18, v25, v18, vcc
	v_ashrrev_i32_e32 v19, 31, v18
	v_lshlrev_b64 v[18:19], 2, v[18:19]
	v_mov_b32_e32 v20, s22
	v_add_co_u32_e32 v18, vcc, s21, v18
	v_addc_co_u32_e32 v19, vcc, v20, v19, vcc
	v_or_b32_e32 v20, 64, v24
	v_add_u32_e32 v21, s10, v20
	v_ashrrev_i32_e32 v21, 5, v21
	v_cmp_gt_i32_e32 vcc, s33, v20
	v_cndmask_b32_e32 v20, v25, v21, vcc
	v_ashrrev_i32_e32 v21, 31, v20
	v_lshlrev_b64 v[20:21], 2, v[20:21]
	v_mov_b32_e32 v22, s22
	v_add_co_u32_e32 v20, vcc, s21, v20
	v_addc_co_u32_e32 v21, vcc, v22, v21, vcc
	v_or_b32_e32 v22, 0x80, v24
	v_add_u32_e32 v23, s10, v22
	v_ashrrev_i32_e32 v23, 5, v23
	v_cmp_gt_i32_e32 vcc, s33, v22
	v_cndmask_b32_e32 v22, v25, v23, vcc
	v_ashrrev_i32_e32 v23, 31, v22
	v_lshlrev_b64 v[22:23], 2, v[22:23]
	v_mov_b32_e32 v26, s22
	v_add_co_u32_e32 v22, vcc, s21, v22
	v_addc_co_u32_e32 v23, vcc, v26, v23, vcc
	global_load_dword v26, v[18:19], off
	global_load_dword v28, v[20:21], off
	;; [unrolled: 1-line block ×3, first 2 shown]
	v_or_b32_e32 v18, 0xc0, v24
	v_add_u32_e32 v19, s10, v18
	v_ashrrev_i32_e32 v19, 5, v19
	v_cmp_gt_i32_e32 vcc, s33, v18
	v_cndmask_b32_e32 v18, v25, v19, vcc
	v_ashrrev_i32_e32 v19, 31, v18
	v_lshlrev_b64 v[18:19], 2, v[18:19]
	v_mov_b32_e32 v20, s22
	v_add_co_u32_e32 v18, vcc, s21, v18
	v_addc_co_u32_e32 v19, vcc, v20, v19, vcc
	global_load_dword v32, v[18:19], off
	s_add_u32 s6, s6, s14
	v_and_b32_e32 v18, 16, v0
	s_addc_u32 s7, s7, 0
	v_lshl_or_b32 v29, v27, 4, v43
	v_mov_b32_e32 v20, s7
	v_add_co_u32_e32 v34, vcc, s6, v18
	v_lshlrev_b32_e32 v19, 5, v29
	v_addc_co_u32_e32 v36, vcc, 0, v20, vcc
	v_add_co_u32_e32 v22, vcc, v34, v19
	v_addc_co_u32_e32 v23, vcc, 0, v36, vcc
	v_or_b32_e32 v33, 0x800, v19
	s_movk_i32 s14, 0x7f
	s_mov_b32 s15, 0xffffff
	v_mov_b32_e32 v37, 0x100
	v_bfrev_b32_e32 v38, 60
	s_waitcnt vmcnt(3)
	v_mad_i64_i32 v[18:19], s[6:7], v26, s13, v[22:23]
	s_waitcnt vmcnt(2)
	v_mad_i64_i32 v[24:25], s[6:7], v28, s13, v[22:23]
	global_load_dwordx4 v[18:21], v[18:19], off
	s_nop 0
	global_load_dwordx4 v[54:57], v[24:25], off
	s_waitcnt vmcnt(3)
	v_mad_i64_i32 v[24:25], s[6:7], v30, s13, v[22:23]
	s_waitcnt vmcnt(2)
	v_mad_i64_i32 v[22:23], s[6:7], v32, s13, v[22:23]
	global_load_dwordx4 v[58:61], v[24:25], off
	global_load_dwordx4 v[62:65], v[22:23], off
	v_add_co_u32_e32 v22, vcc, v34, v33
	v_addc_co_u32_e32 v23, vcc, 0, v36, vcc
	v_mad_i64_i32 v[24:25], s[6:7], v26, s13, v[22:23]
	global_load_dwordx4 v[66:69], v[24:25], off
	v_mad_i64_i32 v[24:25], s[6:7], v28, s13, v[22:23]
	global_load_dwordx4 v[70:73], v[24:25], off
	;; [unrolled: 2-line block ×4, first 2 shown]
	s_load_dword s6, s[4:5], 0x1c
	s_load_dwordx4 s[40:43], s[4:5], 0x80
	v_mov_b32_e32 v22, 0x80
	v_add_u32_e32 v47, 16, v22
	v_add_u32_e32 v46, 32, v22
	;; [unrolled: 1-line block ×3, first 2 shown]
	s_waitcnt lgkmcnt(0)
	s_load_dword s4, s[40:41], 0x0
	v_add_u32_e32 v52, 64, v22
	v_add_u32_e32 v49, 0x50, v22
	;; [unrolled: 1-line block ×4, first 2 shown]
	v_mov_b32_e32 v22, s6
	s_waitcnt lgkmcnt(0)
	v_mul_f32_e32 v22, s4, v22
	v_and_b32_e32 v33, 63, v0
	s_movk_i32 s13, 0x80
	v_mov_b32_e32 v36, 0
	v_mov_b32_e32 v24, v22
	v_mov_b32_e32 v25, v22
	s_waitcnt vmcnt(7)
	buffer_store_dword v21, off, s[0:3], 0 offset:140
	buffer_store_dword v20, off, s[0:3], 0 offset:136
	buffer_store_dword v19, off, s[0:3], 0 offset:132
	buffer_store_dword v18, off, s[0:3], 0 offset:128
	s_waitcnt vmcnt(10)
	buffer_store_dword v57, off, s[0:3], 0 offset:172
	buffer_store_dword v56, off, s[0:3], 0 offset:168
	buffer_store_dword v55, off, s[0:3], 0 offset:164
	buffer_store_dword v54, off, s[0:3], 0 offset:160
	;; [unrolled: 5-line block ×8, first 2 shown]
	s_branch .LBB656_17
.LBB656_14:                             ;   in Loop: Header=BB656_17 Depth=1
	s_or_b64 exec, exec, s[10:11]
.LBB656_15:                             ;   in Loop: Header=BB656_17 Depth=1
	s_or_b64 exec, exec, s[6:7]
.LBB656_16:                             ;   in Loop: Header=BB656_17 Depth=1
	s_or_b64 exec, exec, s[4:5]
	v_cvt_pkrtz_f16_f32 v54, v34, v32
	v_cvt_pkrtz_f16_f32 v55, v23, v42
	v_add_u32_e32 v26, s12, v37
	s_add_i32 s12, s12, 16
	v_mov_b32_e32 v23, v22
	v_mfma_f32_16x16x16f16 v[18:21], v[54:55], v[14:15], v[18:21]
	v_cvt_pkrtz_f16_f32 v54, v40, v44
	v_cvt_pkrtz_f16_f32 v55, v30, v53
	s_cmp_eq_u32 s12, 64
	v_add_u32_e32 v36, 32, v36
	v_mfma_f32_16x16x16f16 v[18:21], v[54:55], v[16:17], v[18:21]
	s_nop 7
	s_nop 2
	v_pk_mul_f32 v[18:19], v[24:25], v[18:19]
	v_pk_mul_f32 v[20:21], v[22:23], v[20:21]
	buffer_store_dword v19, v26, s[0:3], 0 offen offset:4
	buffer_store_dword v18, v26, s[0:3], 0 offen
	buffer_store_dword v21, v26, s[0:3], 0 offen offset:12
	buffer_store_dword v20, v26, s[0:3], 0 offen offset:8
	s_cbranch_scc1 .LBB656_207
.LBB656_17:                             ; =>This Inner Loop Header: Depth=1
	buffer_load_dword v20, v36, s[0:3], 0 offen
	buffer_load_dword v18, v36, s[0:3], 0 offen offset:4
	buffer_load_dword v28, v36, s[0:3], 0 offen offset:8
	;; [unrolled: 1-line block ×3, first 2 shown]
	v_mov_b32_e32 v19, 0
	v_mov_b32_e32 v21, 0
	s_waitcnt vmcnt(3)
	v_cmp_ne_u16_sdwa s[6:7], v20, v35 src0_sel:BYTE_0 src1_sel:DWORD
	s_and_saveexec_b64 s[4:5], s[6:7]
	s_cbranch_execz .LBB656_23
; %bb.18:                               ;   in Loop: Header=BB656_17 Depth=1
	v_cmp_ne_u16_sdwa s[10:11], v20, s13 src0_sel:BYTE_0 src1_sel:DWORD
	v_bfrev_b32_e32 v21, 1
	s_and_saveexec_b64 s[6:7], s[10:11]
	s_cbranch_execz .LBB656_22
; %bb.19:                               ;   in Loop: Header=BB656_17 Depth=1
	v_and_b32_e32 v23, 0x7f, v20
	v_cmp_ne_u32_e32 vcc, s14, v23
	v_mov_b32_e32 v21, 0x7f800001
	s_and_saveexec_b64 s[10:11], vcc
	s_cbranch_execz .LBB656_21
; %bb.20:                               ;   in Loop: Header=BB656_17 Depth=1
	v_and_b32_e32 v21, 7, v20
	v_ffbh_u32_e32 v32, v21
	v_min_u32_e32 v32, 32, v32
	v_subrev_u32_e32 v34, 28, v32
	v_lshlrev_b64 v[54:55], v34, v[20:21]
	v_lshrrev_b32_e32 v30, 3, v23
	v_sub_u32_e32 v32, 29, v32
	v_and_b32_e32 v34, 7, v54
	v_cmp_gt_u32_e32 vcc, 8, v23
	v_cndmask_b32_e32 v23, v30, v32, vcc
	v_cndmask_b32_e32 v21, v21, v34, vcc
	v_lshlrev_b32_e32 v30, 24, v20
	v_lshlrev_b32_e32 v21, 20, v21
	v_and_b32_e32 v30, 0x80000000, v30
	v_lshl_add_u32 v23, v23, 23, v38
	v_or3_b32 v21, v30, v23, v21
.LBB656_21:                             ;   in Loop: Header=BB656_17 Depth=1
	s_or_b64 exec, exec, s[10:11]
.LBB656_22:                             ;   in Loop: Header=BB656_17 Depth=1
	s_or_b64 exec, exec, s[6:7]
.LBB656_23:                             ;   in Loop: Header=BB656_17 Depth=1
	s_or_b64 exec, exec, s[4:5]
	v_lshrrev_b16_e32 v30, 8, v20
	v_cmp_ne_u16_e32 vcc, 0, v30
	s_and_saveexec_b64 s[4:5], vcc
	s_cbranch_execz .LBB656_29
; %bb.24:                               ;   in Loop: Header=BB656_17 Depth=1
	v_cmp_ne_u16_e32 vcc, s13, v30
	v_bfrev_b32_e32 v19, 1
	s_and_saveexec_b64 s[6:7], vcc
	s_cbranch_execz .LBB656_28
; %bb.25:                               ;   in Loop: Header=BB656_17 Depth=1
	v_and_b32_e32 v23, 0x7f, v30
	v_cmp_ne_u32_e32 vcc, s14, v23
	v_mov_b32_e32 v19, 0x7f800001
	s_and_saveexec_b64 s[10:11], vcc
	s_cbranch_execz .LBB656_27
; %bb.26:                               ;   in Loop: Header=BB656_17 Depth=1
	v_and_b32_e32 v19, 7, v30
	v_ffbh_u32_e32 v34, v19
	v_min_u32_e32 v34, 32, v34
	v_subrev_u32_e32 v40, 28, v34
	v_lshlrev_b64 v[54:55], v40, v[30:31]
	v_lshrrev_b32_e32 v32, 3, v23
	v_sub_u32_e32 v30, 29, v34
	v_and_b32_e32 v34, 7, v54
	v_cmp_gt_u32_e32 vcc, 8, v23
	v_cndmask_b32_e32 v23, v32, v30, vcc
	v_cndmask_b32_e32 v19, v19, v34, vcc
	v_lshlrev_b32_e32 v30, 16, v20
	v_lshlrev_b32_e32 v19, 20, v19
	v_and_b32_e32 v30, 0x80000000, v30
	v_lshl_add_u32 v23, v23, 23, v38
	v_or3_b32 v19, v30, v23, v19
.LBB656_27:                             ;   in Loop: Header=BB656_17 Depth=1
	s_or_b64 exec, exec, s[10:11]
.LBB656_28:                             ;   in Loop: Header=BB656_17 Depth=1
	s_or_b64 exec, exec, s[6:7]
.LBB656_29:                             ;   in Loop: Header=BB656_17 Depth=1
	s_or_b64 exec, exec, s[4:5]
	v_lshrrev_b32_e32 v30, 16, v20
	v_cmp_ne_u16_sdwa s[6:7], v30, v35 src0_sel:BYTE_0 src1_sel:DWORD
	v_mov_b32_e32 v32, 0
	v_mov_b32_e32 v23, 0
	s_and_saveexec_b64 s[4:5], s[6:7]
	s_cbranch_execz .LBB656_35
; %bb.30:                               ;   in Loop: Header=BB656_17 Depth=1
	v_cmp_ne_u16_sdwa s[10:11], v30, s13 src0_sel:BYTE_0 src1_sel:DWORD
	v_bfrev_b32_e32 v23, 1
	s_and_saveexec_b64 s[6:7], s[10:11]
	s_cbranch_execz .LBB656_34
; %bb.31:                               ;   in Loop: Header=BB656_17 Depth=1
	v_bfe_u32 v34, v20, 16, 7
	v_cmp_ne_u32_e32 vcc, s14, v34
	v_mov_b32_e32 v23, 0x7f800001
	s_and_saveexec_b64 s[10:11], vcc
	s_cbranch_execz .LBB656_33
; %bb.32:                               ;   in Loop: Header=BB656_17 Depth=1
	v_and_b32_e32 v23, 7, v30
	v_ffbh_u32_e32 v42, v23
	v_min_u32_e32 v42, 32, v42
	v_subrev_u32_e32 v44, 28, v42
	v_lshlrev_b64 v[54:55], v44, v[30:31]
	v_lshrrev_b32_e32 v40, 3, v34
	v_sub_u32_e32 v42, 29, v42
	v_and_b32_e32 v44, 7, v54
	v_cmp_gt_u32_e32 vcc, 8, v34
	v_cndmask_b32_e32 v34, v40, v42, vcc
	v_cndmask_b32_e32 v23, v23, v44, vcc
	v_lshlrev_b32_e32 v30, 24, v30
	v_lshlrev_b32_e32 v23, 20, v23
	v_and_b32_e32 v30, 0x80000000, v30
	v_lshl_add_u32 v34, v34, 23, v38
	v_or3_b32 v23, v30, v34, v23
.LBB656_33:                             ;   in Loop: Header=BB656_17 Depth=1
	s_or_b64 exec, exec, s[10:11]
.LBB656_34:                             ;   in Loop: Header=BB656_17 Depth=1
	s_or_b64 exec, exec, s[6:7]
.LBB656_35:                             ;   in Loop: Header=BB656_17 Depth=1
	s_or_b64 exec, exec, s[4:5]
	v_cmp_lt_u32_e32 vcc, s15, v20
	s_and_saveexec_b64 s[4:5], vcc
	s_cbranch_execz .LBB656_41
; %bb.36:                               ;   in Loop: Header=BB656_17 Depth=1
	v_lshrrev_b32_e32 v30, 24, v20
	v_cmp_ne_u32_e32 vcc, s13, v30
	v_bfrev_b32_e32 v32, 1
	s_and_saveexec_b64 s[6:7], vcc
	s_cbranch_execz .LBB656_40
; %bb.37:                               ;   in Loop: Header=BB656_17 Depth=1
	v_bfe_u32 v20, v20, 24, 7
	v_cmp_ne_u32_e32 vcc, s14, v20
	v_mov_b32_e32 v32, 0x7f800001
	s_and_saveexec_b64 s[10:11], vcc
	s_cbranch_execz .LBB656_39
; %bb.38:                               ;   in Loop: Header=BB656_17 Depth=1
	v_and_b32_e32 v32, 7, v30
	v_ffbh_u32_e32 v40, v32
	v_min_u32_e32 v40, 32, v40
	v_subrev_u32_e32 v42, 28, v40
	v_lshlrev_b64 v[54:55], v42, v[30:31]
	v_lshrrev_b32_e32 v34, 3, v20
	v_sub_u32_e32 v40, 29, v40
	v_and_b32_e32 v42, 7, v54
	v_cmp_gt_u32_e32 vcc, 8, v20
	v_cndmask_b32_e32 v20, v34, v40, vcc
	v_cndmask_b32_e32 v32, v32, v42, vcc
	v_lshlrev_b32_e32 v30, 24, v30
	v_lshlrev_b32_e32 v32, 20, v32
	v_and_b32_e32 v30, 0x80000000, v30
	v_lshl_add_u32 v20, v20, 23, v38
	v_or3_b32 v32, v30, v20, v32
.LBB656_39:                             ;   in Loop: Header=BB656_17 Depth=1
	s_or_b64 exec, exec, s[10:11]
.LBB656_40:                             ;   in Loop: Header=BB656_17 Depth=1
	s_or_b64 exec, exec, s[6:7]
.LBB656_41:                             ;   in Loop: Header=BB656_17 Depth=1
	s_or_b64 exec, exec, s[4:5]
	s_waitcnt vmcnt(2)
	v_cmp_ne_u16_sdwa s[6:7], v18, v35 src0_sel:BYTE_0 src1_sel:DWORD
	v_mov_b32_e32 v30, 0
	v_mov_b32_e32 v34, 0
	s_and_saveexec_b64 s[4:5], s[6:7]
	s_cbranch_execz .LBB656_47
; %bb.42:                               ;   in Loop: Header=BB656_17 Depth=1
	v_cmp_ne_u16_sdwa s[10:11], v18, s13 src0_sel:BYTE_0 src1_sel:DWORD
	v_bfrev_b32_e32 v34, 1
	s_and_saveexec_b64 s[6:7], s[10:11]
	s_cbranch_execz .LBB656_46
; %bb.43:                               ;   in Loop: Header=BB656_17 Depth=1
	v_and_b32_e32 v20, 0x7f, v18
	v_cmp_ne_u32_e32 vcc, s14, v20
	v_mov_b32_e32 v34, 0x7f800001
	s_and_saveexec_b64 s[10:11], vcc
	s_cbranch_execz .LBB656_45
; %bb.44:                               ;   in Loop: Header=BB656_17 Depth=1
	v_and_b32_e32 v34, 7, v18
	v_ffbh_u32_e32 v42, v34
	v_min_u32_e32 v42, 32, v42
	v_subrev_u32_e32 v44, 28, v42
	v_lshlrev_b64 v[54:55], v44, v[18:19]
	v_lshrrev_b32_e32 v40, 3, v20
	v_sub_u32_e32 v42, 29, v42
	v_and_b32_e32 v44, 7, v54
	v_cmp_gt_u32_e32 vcc, 8, v20
	v_cndmask_b32_e32 v20, v40, v42, vcc
	v_cndmask_b32_e32 v34, v34, v44, vcc
	v_lshlrev_b32_e32 v40, 24, v18
	v_lshlrev_b32_e32 v34, 20, v34
	v_and_b32_e32 v40, 0x80000000, v40
	v_lshl_add_u32 v20, v20, 23, v38
	v_or3_b32 v34, v40, v20, v34
.LBB656_45:                             ;   in Loop: Header=BB656_17 Depth=1
	s_or_b64 exec, exec, s[10:11]
.LBB656_46:                             ;   in Loop: Header=BB656_17 Depth=1
	s_or_b64 exec, exec, s[6:7]
.LBB656_47:                             ;   in Loop: Header=BB656_17 Depth=1
	s_or_b64 exec, exec, s[4:5]
	v_lshrrev_b16_e32 v20, 8, v18
	v_cmp_ne_u16_e32 vcc, 0, v20
	s_and_saveexec_b64 s[4:5], vcc
	s_cbranch_execz .LBB656_53
; %bb.48:                               ;   in Loop: Header=BB656_17 Depth=1
	v_cmp_ne_u16_e32 vcc, s13, v20
	v_bfrev_b32_e32 v30, 1
	s_and_saveexec_b64 s[6:7], vcc
	s_cbranch_execz .LBB656_52
; %bb.49:                               ;   in Loop: Header=BB656_17 Depth=1
	v_and_b32_e32 v40, 0x7f, v20
	v_cmp_ne_u32_e32 vcc, s14, v40
	v_mov_b32_e32 v30, 0x7f800001
	s_and_saveexec_b64 s[10:11], vcc
	s_cbranch_execz .LBB656_51
; %bb.50:                               ;   in Loop: Header=BB656_17 Depth=1
	v_and_b32_e32 v30, 7, v20
	v_ffbh_u32_e32 v44, v30
	v_min_u32_e32 v44, 32, v44
	v_subrev_u32_e32 v53, 28, v44
	v_lshlrev_b64 v[54:55], v53, v[20:21]
	v_lshrrev_b32_e32 v42, 3, v40
	v_sub_u32_e32 v20, 29, v44
	v_and_b32_e32 v44, 7, v54
	v_cmp_gt_u32_e32 vcc, 8, v40
	v_cndmask_b32_e32 v20, v42, v20, vcc
	v_cndmask_b32_e32 v30, v30, v44, vcc
	v_lshlrev_b32_e32 v40, 16, v18
	v_lshlrev_b32_e32 v30, 20, v30
	v_and_b32_e32 v40, 0x80000000, v40
	v_lshl_add_u32 v20, v20, 23, v38
	v_or3_b32 v30, v40, v20, v30
.LBB656_51:                             ;   in Loop: Header=BB656_17 Depth=1
	s_or_b64 exec, exec, s[10:11]
.LBB656_52:                             ;   in Loop: Header=BB656_17 Depth=1
	s_or_b64 exec, exec, s[6:7]
.LBB656_53:                             ;   in Loop: Header=BB656_17 Depth=1
	s_or_b64 exec, exec, s[4:5]
	v_lshrrev_b32_e32 v20, 16, v18
	v_cmp_ne_u16_sdwa s[6:7], v20, v35 src0_sel:BYTE_0 src1_sel:DWORD
	v_mov_b32_e32 v42, 0
	v_mov_b32_e32 v40, 0
	s_and_saveexec_b64 s[4:5], s[6:7]
	s_cbranch_execz .LBB656_59
; %bb.54:                               ;   in Loop: Header=BB656_17 Depth=1
	v_cmp_ne_u16_sdwa s[10:11], v20, s13 src0_sel:BYTE_0 src1_sel:DWORD
	v_bfrev_b32_e32 v40, 1
	s_and_saveexec_b64 s[6:7], s[10:11]
	s_cbranch_execz .LBB656_58
; %bb.55:                               ;   in Loop: Header=BB656_17 Depth=1
	v_bfe_u32 v44, v18, 16, 7
	v_cmp_ne_u32_e32 vcc, s14, v44
	v_mov_b32_e32 v40, 0x7f800001
	s_and_saveexec_b64 s[10:11], vcc
	s_cbranch_execz .LBB656_57
; %bb.56:                               ;   in Loop: Header=BB656_17 Depth=1
	v_and_b32_e32 v40, 7, v20
	v_ffbh_u32_e32 v54, v40
	v_min_u32_e32 v56, 32, v54
	v_subrev_u32_e32 v54, 28, v56
	v_lshlrev_b64 v[54:55], v54, v[20:21]
	v_lshrrev_b32_e32 v53, 3, v44
	v_sub_u32_e32 v55, 29, v56
	v_and_b32_e32 v54, 7, v54
	v_cmp_gt_u32_e32 vcc, 8, v44
	v_cndmask_b32_e32 v44, v53, v55, vcc
	v_cndmask_b32_e32 v40, v40, v54, vcc
	v_lshlrev_b32_e32 v20, 24, v20
	v_lshlrev_b32_e32 v40, 20, v40
	v_and_b32_e32 v20, 0x80000000, v20
	v_lshl_add_u32 v44, v44, 23, v38
	v_or3_b32 v40, v20, v44, v40
.LBB656_57:                             ;   in Loop: Header=BB656_17 Depth=1
	s_or_b64 exec, exec, s[10:11]
.LBB656_58:                             ;   in Loop: Header=BB656_17 Depth=1
	s_or_b64 exec, exec, s[6:7]
.LBB656_59:                             ;   in Loop: Header=BB656_17 Depth=1
	s_or_b64 exec, exec, s[4:5]
	v_cmp_lt_u32_e32 vcc, s15, v18
	s_and_saveexec_b64 s[4:5], vcc
	s_cbranch_execz .LBB656_65
; %bb.60:                               ;   in Loop: Header=BB656_17 Depth=1
	v_lshrrev_b32_e32 v20, 24, v18
	v_cmp_ne_u32_e32 vcc, s13, v20
	v_bfrev_b32_e32 v42, 1
	s_and_saveexec_b64 s[6:7], vcc
	s_cbranch_execz .LBB656_64
; %bb.61:                               ;   in Loop: Header=BB656_17 Depth=1
	v_bfe_u32 v18, v18, 24, 7
	v_cmp_ne_u32_e32 vcc, s14, v18
	v_mov_b32_e32 v42, 0x7f800001
	s_and_saveexec_b64 s[10:11], vcc
	s_cbranch_execz .LBB656_63
; %bb.62:                               ;   in Loop: Header=BB656_17 Depth=1
	v_and_b32_e32 v42, 7, v20
	v_ffbh_u32_e32 v53, v42
	v_min_u32_e32 v53, 32, v53
	v_subrev_u32_e32 v54, 28, v53
	v_lshlrev_b64 v[54:55], v54, v[20:21]
	v_lshrrev_b32_e32 v44, 3, v18
	v_sub_u32_e32 v53, 29, v53
	v_and_b32_e32 v54, 7, v54
	v_cmp_gt_u32_e32 vcc, 8, v18
	v_cndmask_b32_e32 v18, v44, v53, vcc
	v_cndmask_b32_e32 v42, v42, v54, vcc
	v_lshlrev_b32_e32 v20, 24, v20
	v_lshlrev_b32_e32 v42, 20, v42
	v_and_b32_e32 v20, 0x80000000, v20
	v_lshl_add_u32 v18, v18, 23, v38
	v_or3_b32 v42, v20, v18, v42
.LBB656_63:                             ;   in Loop: Header=BB656_17 Depth=1
	s_or_b64 exec, exec, s[10:11]
.LBB656_64:                             ;   in Loop: Header=BB656_17 Depth=1
	s_or_b64 exec, exec, s[6:7]
.LBB656_65:                             ;   in Loop: Header=BB656_17 Depth=1
	s_or_b64 exec, exec, s[4:5]
	v_cvt_pkrtz_f16_f32 v18, v21, v19
	v_cvt_pkrtz_f16_f32 v19, v23, v32
	;; [unrolled: 1-line block ×4, first 2 shown]
	v_mov_b32_e32 v32, 0
	v_mfma_f32_16x16x16f16 v[18:21], v[18:19], v[2:3], 0
	s_waitcnt vmcnt(1)
	v_cmp_ne_u16_sdwa s[6:7], v28, v35 src0_sel:BYTE_0 src1_sel:DWORD
	v_mov_b32_e32 v34, 0
	v_mfma_f32_16x16x16f16 v[18:21], v[54:55], v[4:5], v[18:21]
	s_and_saveexec_b64 s[4:5], s[6:7]
	s_cbranch_execz .LBB656_71
; %bb.66:                               ;   in Loop: Header=BB656_17 Depth=1
	v_cmp_ne_u16_sdwa s[10:11], v28, s13 src0_sel:BYTE_0 src1_sel:DWORD
	v_bfrev_b32_e32 v34, 1
	s_and_saveexec_b64 s[6:7], s[10:11]
	s_cbranch_execz .LBB656_70
; %bb.67:                               ;   in Loop: Header=BB656_17 Depth=1
	v_and_b32_e32 v23, 0x7f, v28
	v_cmp_ne_u32_e32 vcc, s14, v23
	v_mov_b32_e32 v34, 0x7f800001
	s_and_saveexec_b64 s[10:11], vcc
	s_cbranch_execz .LBB656_69
; %bb.68:                               ;   in Loop: Header=BB656_17 Depth=1
	v_and_b32_e32 v30, 7, v28
	v_ffbh_u32_e32 v40, v30
	v_min_u32_e32 v40, 32, v40
	v_subrev_u32_e32 v42, 28, v40
	v_lshlrev_b64 v[54:55], v42, v[28:29]
	v_lshrrev_b32_e32 v34, 3, v23
	v_sub_u32_e32 v40, 29, v40
	v_and_b32_e32 v42, 7, v54
	v_cmp_gt_u32_e32 vcc, 8, v23
	v_cndmask_b32_e32 v23, v34, v40, vcc
	v_cndmask_b32_e32 v30, v30, v42, vcc
	v_lshlrev_b32_e32 v34, 24, v28
	v_lshlrev_b32_e32 v30, 20, v30
	v_and_b32_e32 v34, 0x80000000, v34
	v_lshl_add_u32 v23, v23, 23, v38
	v_or3_b32 v34, v34, v23, v30
.LBB656_69:                             ;   in Loop: Header=BB656_17 Depth=1
	s_or_b64 exec, exec, s[10:11]
.LBB656_70:                             ;   in Loop: Header=BB656_17 Depth=1
	s_or_b64 exec, exec, s[6:7]
.LBB656_71:                             ;   in Loop: Header=BB656_17 Depth=1
	s_or_b64 exec, exec, s[4:5]
	v_lshrrev_b16_e32 v30, 8, v28
	v_cmp_ne_u16_e32 vcc, 0, v30
	v_mov_b32_e32 v40, 0
	s_and_saveexec_b64 s[4:5], vcc
	s_cbranch_execz .LBB656_77
; %bb.72:                               ;   in Loop: Header=BB656_17 Depth=1
	v_cmp_ne_u16_e32 vcc, s13, v30
	v_bfrev_b32_e32 v40, 1
	s_and_saveexec_b64 s[6:7], vcc
	s_cbranch_execz .LBB656_76
; %bb.73:                               ;   in Loop: Header=BB656_17 Depth=1
	v_and_b32_e32 v23, 0x7f, v30
	v_cmp_ne_u32_e32 vcc, s14, v23
	v_mov_b32_e32 v40, 0x7f800001
	s_and_saveexec_b64 s[10:11], vcc
	s_cbranch_execz .LBB656_75
; %bb.74:                               ;   in Loop: Header=BB656_17 Depth=1
	v_and_b32_e32 v40, 7, v30
	v_ffbh_u32_e32 v44, v40
	v_min_u32_e32 v44, 32, v44
	v_subrev_u32_e32 v53, 28, v44
	v_lshlrev_b64 v[54:55], v53, v[30:31]
	v_lshrrev_b32_e32 v42, 3, v23
	v_sub_u32_e32 v30, 29, v44
	v_and_b32_e32 v44, 7, v54
	v_cmp_gt_u32_e32 vcc, 8, v23
	v_cndmask_b32_e32 v23, v42, v30, vcc
	v_cndmask_b32_e32 v30, v40, v44, vcc
	v_lshlrev_b32_e32 v40, 16, v28
	v_lshlrev_b32_e32 v30, 20, v30
	v_and_b32_e32 v40, 0x80000000, v40
	v_lshl_add_u32 v23, v23, 23, v38
	v_or3_b32 v40, v40, v23, v30
.LBB656_75:                             ;   in Loop: Header=BB656_17 Depth=1
	s_or_b64 exec, exec, s[10:11]
.LBB656_76:                             ;   in Loop: Header=BB656_17 Depth=1
	s_or_b64 exec, exec, s[6:7]
.LBB656_77:                             ;   in Loop: Header=BB656_17 Depth=1
	s_or_b64 exec, exec, s[4:5]
	v_lshrrev_b32_e32 v30, 16, v28
	v_cmp_ne_u16_sdwa s[6:7], v30, v35 src0_sel:BYTE_0 src1_sel:DWORD
	s_and_saveexec_b64 s[4:5], s[6:7]
	s_cbranch_execz .LBB656_83
; %bb.78:                               ;   in Loop: Header=BB656_17 Depth=1
	v_cmp_ne_u16_sdwa s[10:11], v30, s13 src0_sel:BYTE_0 src1_sel:DWORD
	v_bfrev_b32_e32 v32, 1
	s_and_saveexec_b64 s[6:7], s[10:11]
	s_cbranch_execz .LBB656_82
; %bb.79:                               ;   in Loop: Header=BB656_17 Depth=1
	v_bfe_u32 v23, v28, 16, 7
	v_cmp_ne_u32_e32 vcc, s14, v23
	v_mov_b32_e32 v32, 0x7f800001
	s_and_saveexec_b64 s[10:11], vcc
	s_cbranch_execz .LBB656_81
; %bb.80:                               ;   in Loop: Header=BB656_17 Depth=1
	v_and_b32_e32 v32, 7, v30
	v_ffbh_u32_e32 v44, v32
	v_min_u32_e32 v44, 32, v44
	v_subrev_u32_e32 v53, 28, v44
	v_lshlrev_b64 v[54:55], v53, v[30:31]
	v_lshrrev_b32_e32 v42, 3, v23
	v_sub_u32_e32 v44, 29, v44
	v_and_b32_e32 v53, 7, v54
	v_cmp_gt_u32_e32 vcc, 8, v23
	v_cndmask_b32_e32 v23, v42, v44, vcc
	v_cndmask_b32_e32 v32, v32, v53, vcc
	v_lshlrev_b32_e32 v30, 24, v30
	v_lshlrev_b32_e32 v32, 20, v32
	v_and_b32_e32 v30, 0x80000000, v30
	v_lshl_add_u32 v23, v23, 23, v38
	v_or3_b32 v32, v30, v23, v32
.LBB656_81:                             ;   in Loop: Header=BB656_17 Depth=1
	s_or_b64 exec, exec, s[10:11]
.LBB656_82:                             ;   in Loop: Header=BB656_17 Depth=1
	s_or_b64 exec, exec, s[6:7]
.LBB656_83:                             ;   in Loop: Header=BB656_17 Depth=1
	s_or_b64 exec, exec, s[4:5]
	v_cmp_lt_u32_e32 vcc, s15, v28
	v_mov_b32_e32 v42, 0
	v_mov_b32_e32 v44, 0
	s_and_saveexec_b64 s[4:5], vcc
	s_cbranch_execz .LBB656_89
; %bb.84:                               ;   in Loop: Header=BB656_17 Depth=1
	v_lshrrev_b32_e32 v30, 24, v28
	v_cmp_ne_u32_e32 vcc, s13, v30
	v_bfrev_b32_e32 v44, 1
	s_and_saveexec_b64 s[6:7], vcc
	s_cbranch_execz .LBB656_88
; %bb.85:                               ;   in Loop: Header=BB656_17 Depth=1
	v_bfe_u32 v23, v28, 24, 7
	v_cmp_ne_u32_e32 vcc, s14, v23
	v_mov_b32_e32 v44, 0x7f800001
	s_and_saveexec_b64 s[10:11], vcc
	s_cbranch_execz .LBB656_87
; %bb.86:                               ;   in Loop: Header=BB656_17 Depth=1
	v_and_b32_e32 v28, 7, v30
	v_ffbh_u32_e32 v53, v28
	v_min_u32_e32 v53, 32, v53
	v_subrev_u32_e32 v54, 28, v53
	v_lshlrev_b64 v[54:55], v54, v[30:31]
	v_lshrrev_b32_e32 v44, 3, v23
	v_sub_u32_e32 v53, 29, v53
	v_and_b32_e32 v54, 7, v54
	v_cmp_gt_u32_e32 vcc, 8, v23
	v_cndmask_b32_e32 v23, v44, v53, vcc
	v_cndmask_b32_e32 v28, v28, v54, vcc
	v_lshlrev_b32_e32 v30, 24, v30
	v_lshlrev_b32_e32 v28, 20, v28
	v_and_b32_e32 v30, 0x80000000, v30
	v_lshl_add_u32 v23, v23, 23, v38
	v_or3_b32 v44, v30, v23, v28
.LBB656_87:                             ;   in Loop: Header=BB656_17 Depth=1
	s_or_b64 exec, exec, s[10:11]
.LBB656_88:                             ;   in Loop: Header=BB656_17 Depth=1
	s_or_b64 exec, exec, s[6:7]
.LBB656_89:                             ;   in Loop: Header=BB656_17 Depth=1
	s_or_b64 exec, exec, s[4:5]
	s_waitcnt vmcnt(0)
	v_cmp_ne_u16_sdwa s[6:7], v26, v35 src0_sel:BYTE_0 src1_sel:DWORD
	s_and_saveexec_b64 s[4:5], s[6:7]
	s_cbranch_execz .LBB656_95
; %bb.90:                               ;   in Loop: Header=BB656_17 Depth=1
	v_cmp_ne_u16_sdwa s[10:11], v26, s13 src0_sel:BYTE_0 src1_sel:DWORD
	v_bfrev_b32_e32 v42, 1
	s_and_saveexec_b64 s[6:7], s[10:11]
	s_cbranch_execz .LBB656_94
; %bb.91:                               ;   in Loop: Header=BB656_17 Depth=1
	v_and_b32_e32 v23, 0x7f, v26
	v_cmp_ne_u32_e32 vcc, s14, v23
	v_mov_b32_e32 v42, 0x7f800001
	s_and_saveexec_b64 s[10:11], vcc
	s_cbranch_execz .LBB656_93
; %bb.92:                               ;   in Loop: Header=BB656_17 Depth=1
	v_and_b32_e32 v28, 7, v26
	v_ffbh_u32_e32 v42, v28
	v_min_u32_e32 v42, 32, v42
	v_subrev_u32_e32 v53, 28, v42
	v_lshlrev_b64 v[54:55], v53, v[26:27]
	v_lshrrev_b32_e32 v30, 3, v23
	v_sub_u32_e32 v42, 29, v42
	v_and_b32_e32 v53, 7, v54
	v_cmp_gt_u32_e32 vcc, 8, v23
	v_cndmask_b32_e32 v23, v30, v42, vcc
	v_cndmask_b32_e32 v28, v28, v53, vcc
	v_lshlrev_b32_e32 v30, 24, v26
	v_lshlrev_b32_e32 v28, 20, v28
	v_and_b32_e32 v30, 0x80000000, v30
	v_lshl_add_u32 v23, v23, 23, v38
	v_or3_b32 v42, v30, v23, v28
.LBB656_93:                             ;   in Loop: Header=BB656_17 Depth=1
	s_or_b64 exec, exec, s[10:11]
.LBB656_94:                             ;   in Loop: Header=BB656_17 Depth=1
	s_or_b64 exec, exec, s[6:7]
.LBB656_95:                             ;   in Loop: Header=BB656_17 Depth=1
	s_or_b64 exec, exec, s[4:5]
	v_lshrrev_b16_e32 v28, 8, v26
	v_cmp_ne_u16_e32 vcc, 0, v28
	v_mov_b32_e32 v53, 0
	v_mov_b32_e32 v54, 0
	s_and_saveexec_b64 s[4:5], vcc
	s_cbranch_execz .LBB656_101
; %bb.96:                               ;   in Loop: Header=BB656_17 Depth=1
	v_cmp_ne_u16_e32 vcc, s13, v28
	v_bfrev_b32_e32 v54, 1
	s_and_saveexec_b64 s[6:7], vcc
	s_cbranch_execz .LBB656_100
; %bb.97:                               ;   in Loop: Header=BB656_17 Depth=1
	v_and_b32_e32 v23, 0x7f, v28
	v_cmp_ne_u32_e32 vcc, s14, v23
	v_mov_b32_e32 v54, 0x7f800001
	s_and_saveexec_b64 s[10:11], vcc
	s_cbranch_execz .LBB656_99
; %bb.98:                               ;   in Loop: Header=BB656_17 Depth=1
	v_and_b32_e32 v30, 7, v28
	v_ffbh_u32_e32 v54, v30
	v_min_u32_e32 v57, 32, v54
	v_subrev_u32_e32 v54, 28, v57
	v_lshlrev_b64 v[54:55], v54, v[28:29]
	v_lshrrev_b32_e32 v56, 3, v23
	v_sub_u32_e32 v28, 29, v57
	v_and_b32_e32 v54, 7, v54
	v_cmp_gt_u32_e32 vcc, 8, v23
	v_cndmask_b32_e32 v23, v56, v28, vcc
	v_cndmask_b32_e32 v28, v30, v54, vcc
	v_lshlrev_b32_e32 v30, 16, v26
	v_lshlrev_b32_e32 v28, 20, v28
	v_and_b32_e32 v30, 0x80000000, v30
	v_lshl_add_u32 v23, v23, 23, v38
	v_or3_b32 v54, v30, v23, v28
.LBB656_99:                             ;   in Loop: Header=BB656_17 Depth=1
	s_or_b64 exec, exec, s[10:11]
.LBB656_100:                            ;   in Loop: Header=BB656_17 Depth=1
	s_or_b64 exec, exec, s[6:7]
.LBB656_101:                            ;   in Loop: Header=BB656_17 Depth=1
	s_or_b64 exec, exec, s[4:5]
	v_lshrrev_b32_e32 v28, 16, v26
	v_cmp_ne_u16_sdwa s[6:7], v28, v35 src0_sel:BYTE_0 src1_sel:DWORD
	s_and_saveexec_b64 s[4:5], s[6:7]
	s_cbranch_execz .LBB656_107
; %bb.102:                              ;   in Loop: Header=BB656_17 Depth=1
	v_cmp_ne_u16_sdwa s[10:11], v28, s13 src0_sel:BYTE_0 src1_sel:DWORD
	v_bfrev_b32_e32 v53, 1
	s_and_saveexec_b64 s[6:7], s[10:11]
	s_cbranch_execz .LBB656_106
; %bb.103:                              ;   in Loop: Header=BB656_17 Depth=1
	v_bfe_u32 v23, v26, 16, 7
	v_cmp_ne_u32_e32 vcc, s14, v23
	v_mov_b32_e32 v53, 0x7f800001
	s_and_saveexec_b64 s[10:11], vcc
	s_cbranch_execz .LBB656_105
; %bb.104:                              ;   in Loop: Header=BB656_17 Depth=1
	v_and_b32_e32 v30, 7, v28
	v_ffbh_u32_e32 v55, v30
	v_min_u32_e32 v55, 32, v55
	v_subrev_u32_e32 v56, 28, v55
	v_lshlrev_b64 v[56:57], v56, v[28:29]
	v_lshrrev_b32_e32 v53, 3, v23
	v_sub_u32_e32 v55, 29, v55
	v_and_b32_e32 v56, 7, v56
	v_cmp_gt_u32_e32 vcc, 8, v23
	v_cndmask_b32_e32 v23, v53, v55, vcc
	v_cndmask_b32_e32 v30, v30, v56, vcc
	v_lshlrev_b32_e32 v28, 24, v28
	v_lshlrev_b32_e32 v30, 20, v30
	v_and_b32_e32 v28, 0x80000000, v28
	v_lshl_add_u32 v23, v23, 23, v38
	v_or3_b32 v53, v28, v23, v30
.LBB656_105:                            ;   in Loop: Header=BB656_17 Depth=1
	s_or_b64 exec, exec, s[10:11]
.LBB656_106:                            ;   in Loop: Header=BB656_17 Depth=1
	s_or_b64 exec, exec, s[6:7]
.LBB656_107:                            ;   in Loop: Header=BB656_17 Depth=1
	s_or_b64 exec, exec, s[4:5]
	v_cmp_lt_u32_e32 vcc, s15, v26
	v_mov_b32_e32 v23, 0
	v_mov_b32_e32 v55, 0
	s_and_saveexec_b64 s[4:5], vcc
	s_cbranch_execz .LBB656_113
; %bb.108:                              ;   in Loop: Header=BB656_17 Depth=1
	v_lshrrev_b32_e32 v28, 24, v26
	v_cmp_ne_u32_e32 vcc, s13, v28
	v_bfrev_b32_e32 v55, 1
	s_and_saveexec_b64 s[6:7], vcc
	s_cbranch_execz .LBB656_112
; %bb.109:                              ;   in Loop: Header=BB656_17 Depth=1
	v_bfe_u32 v26, v26, 24, 7
	v_cmp_ne_u32_e32 vcc, s14, v26
	v_mov_b32_e32 v55, 0x7f800001
	s_and_saveexec_b64 s[10:11], vcc
	s_cbranch_execz .LBB656_111
; %bb.110:                              ;   in Loop: Header=BB656_17 Depth=1
	v_and_b32_e32 v30, 7, v28
	v_ffbh_u32_e32 v56, v30
	v_min_u32_e32 v58, 32, v56
	v_subrev_u32_e32 v56, 28, v58
	v_lshlrev_b64 v[56:57], v56, v[28:29]
	v_lshrrev_b32_e32 v55, 3, v26
	v_sub_u32_e32 v57, 29, v58
	v_and_b32_e32 v56, 7, v56
	v_cmp_gt_u32_e32 vcc, 8, v26
	v_cndmask_b32_e32 v26, v55, v57, vcc
	v_cndmask_b32_e32 v30, v30, v56, vcc
	v_lshlrev_b32_e32 v28, 24, v28
	v_lshlrev_b32_e32 v30, 20, v30
	v_and_b32_e32 v28, 0x80000000, v28
	v_lshl_add_u32 v26, v26, 23, v38
	v_or3_b32 v55, v28, v26, v30
.LBB656_111:                            ;   in Loop: Header=BB656_17 Depth=1
	s_or_b64 exec, exec, s[10:11]
.LBB656_112:                            ;   in Loop: Header=BB656_17 Depth=1
	s_or_b64 exec, exec, s[6:7]
.LBB656_113:                            ;   in Loop: Header=BB656_17 Depth=1
	s_or_b64 exec, exec, s[4:5]
	v_cvt_pkrtz_f16_f32 v57, v32, v44
	buffer_load_dword v32, v36, s[0:3], 0 offen offset:16
	buffer_load_dword v30, v36, s[0:3], 0 offen offset:20
	buffer_load_dword v28, v36, s[0:3], 0 offen offset:24
	buffer_load_dword v26, v36, s[0:3], 0 offen offset:28
	v_cvt_pkrtz_f16_f32 v56, v34, v40
	v_cvt_pkrtz_f16_f32 v54, v42, v54
	;; [unrolled: 1-line block ×3, first 2 shown]
	v_mfma_f32_16x16x16f16 v[18:21], v[56:57], v[6:7], v[18:21]
	s_waitcnt vmcnt(3)
	v_cmp_ne_u16_sdwa s[6:7], v32, v35 src0_sel:BYTE_0 src1_sel:DWORD
	v_mfma_f32_16x16x16f16 v[18:21], v[54:55], v[8:9], v[18:21]
	s_and_saveexec_b64 s[4:5], s[6:7]
	s_cbranch_execz .LBB656_119
; %bb.114:                              ;   in Loop: Header=BB656_17 Depth=1
	v_cmp_ne_u16_sdwa s[10:11], v32, s13 src0_sel:BYTE_0 src1_sel:DWORD
	v_bfrev_b32_e32 v23, 1
	s_and_saveexec_b64 s[6:7], s[10:11]
	s_cbranch_execz .LBB656_118
; %bb.115:                              ;   in Loop: Header=BB656_17 Depth=1
	v_and_b32_e32 v34, 0x7f, v32
	v_cmp_ne_u32_e32 vcc, s14, v34
	v_mov_b32_e32 v23, 0x7f800001
	s_and_saveexec_b64 s[10:11], vcc
	s_cbranch_execz .LBB656_117
; %bb.116:                              ;   in Loop: Header=BB656_17 Depth=1
	v_and_b32_e32 v23, 7, v32
	v_ffbh_u32_e32 v42, v23
	v_min_u32_e32 v42, 32, v42
	v_subrev_u32_e32 v44, 28, v42
	v_lshlrev_b64 v[54:55], v44, v[32:33]
	v_lshrrev_b32_e32 v40, 3, v34
	v_sub_u32_e32 v42, 29, v42
	v_and_b32_e32 v44, 7, v54
	v_cmp_gt_u32_e32 vcc, 8, v34
	v_cndmask_b32_e32 v34, v40, v42, vcc
	v_cndmask_b32_e32 v23, v23, v44, vcc
	v_lshlrev_b32_e32 v40, 24, v32
	v_lshlrev_b32_e32 v23, 20, v23
	v_and_b32_e32 v40, 0x80000000, v40
	v_lshl_add_u32 v34, v34, 23, v38
	v_or3_b32 v23, v40, v34, v23
.LBB656_117:                            ;   in Loop: Header=BB656_17 Depth=1
	s_or_b64 exec, exec, s[10:11]
.LBB656_118:                            ;   in Loop: Header=BB656_17 Depth=1
	s_or_b64 exec, exec, s[6:7]
.LBB656_119:                            ;   in Loop: Header=BB656_17 Depth=1
	s_or_b64 exec, exec, s[4:5]
	v_lshrrev_b16_e32 v34, 8, v32
	v_cmp_ne_u16_e32 vcc, 0, v34
	v_mov_b32_e32 v40, 0
	v_mov_b32_e32 v42, 0
	s_and_saveexec_b64 s[4:5], vcc
	s_cbranch_execz .LBB656_125
; %bb.120:                              ;   in Loop: Header=BB656_17 Depth=1
	v_cmp_ne_u16_e32 vcc, s13, v34
	v_bfrev_b32_e32 v42, 1
	s_and_saveexec_b64 s[6:7], vcc
	s_cbranch_execz .LBB656_124
; %bb.121:                              ;   in Loop: Header=BB656_17 Depth=1
	v_and_b32_e32 v44, 0x7f, v34
	v_cmp_ne_u32_e32 vcc, s14, v44
	v_mov_b32_e32 v42, 0x7f800001
	s_and_saveexec_b64 s[10:11], vcc
	s_cbranch_execz .LBB656_123
; %bb.122:                              ;   in Loop: Header=BB656_17 Depth=1
	v_and_b32_e32 v42, 7, v34
	v_ffbh_u32_e32 v54, v42
	v_min_u32_e32 v56, 32, v54
	v_subrev_u32_e32 v54, 28, v56
	v_lshlrev_b64 v[54:55], v54, v[34:35]
	v_lshrrev_b32_e32 v53, 3, v44
	v_sub_u32_e32 v34, 29, v56
	v_and_b32_e32 v54, 7, v54
	v_cmp_gt_u32_e32 vcc, 8, v44
	v_cndmask_b32_e32 v34, v53, v34, vcc
	v_cndmask_b32_e32 v42, v42, v54, vcc
	v_lshlrev_b32_e32 v44, 16, v32
	v_lshlrev_b32_e32 v42, 20, v42
	v_and_b32_e32 v44, 0x80000000, v44
	v_lshl_add_u32 v34, v34, 23, v38
	v_or3_b32 v42, v44, v34, v42
.LBB656_123:                            ;   in Loop: Header=BB656_17 Depth=1
	s_or_b64 exec, exec, s[10:11]
.LBB656_124:                            ;   in Loop: Header=BB656_17 Depth=1
	s_or_b64 exec, exec, s[6:7]
.LBB656_125:                            ;   in Loop: Header=BB656_17 Depth=1
	s_or_b64 exec, exec, s[4:5]
	v_lshrrev_b32_e32 v34, 16, v32
	v_cmp_ne_u16_sdwa s[6:7], v34, v35 src0_sel:BYTE_0 src1_sel:DWORD
	s_and_saveexec_b64 s[4:5], s[6:7]
	s_cbranch_execz .LBB656_131
; %bb.126:                              ;   in Loop: Header=BB656_17 Depth=1
	v_cmp_ne_u16_sdwa s[10:11], v34, s13 src0_sel:BYTE_0 src1_sel:DWORD
	v_bfrev_b32_e32 v40, 1
	s_and_saveexec_b64 s[6:7], s[10:11]
	s_cbranch_execz .LBB656_130
; %bb.127:                              ;   in Loop: Header=BB656_17 Depth=1
	v_bfe_u32 v44, v32, 16, 7
	v_cmp_ne_u32_e32 vcc, s14, v44
	v_mov_b32_e32 v40, 0x7f800001
	s_and_saveexec_b64 s[10:11], vcc
	s_cbranch_execz .LBB656_129
; %bb.128:                              ;   in Loop: Header=BB656_17 Depth=1
	v_and_b32_e32 v40, 7, v34
	v_ffbh_u32_e32 v54, v40
	v_min_u32_e32 v56, 32, v54
	v_subrev_u32_e32 v54, 28, v56
	v_lshlrev_b64 v[54:55], v54, v[34:35]
	v_lshrrev_b32_e32 v53, 3, v44
	v_sub_u32_e32 v55, 29, v56
	v_and_b32_e32 v54, 7, v54
	v_cmp_gt_u32_e32 vcc, 8, v44
	v_cndmask_b32_e32 v44, v53, v55, vcc
	v_cndmask_b32_e32 v40, v40, v54, vcc
	v_lshlrev_b32_e32 v34, 24, v34
	v_lshlrev_b32_e32 v40, 20, v40
	v_and_b32_e32 v34, 0x80000000, v34
	v_lshl_add_u32 v44, v44, 23, v38
	v_or3_b32 v40, v34, v44, v40
.LBB656_129:                            ;   in Loop: Header=BB656_17 Depth=1
	s_or_b64 exec, exec, s[10:11]
.LBB656_130:                            ;   in Loop: Header=BB656_17 Depth=1
	s_or_b64 exec, exec, s[6:7]
.LBB656_131:                            ;   in Loop: Header=BB656_17 Depth=1
	s_or_b64 exec, exec, s[4:5]
	v_cmp_lt_u32_e32 vcc, s15, v32
	v_mov_b32_e32 v44, 0
	v_mov_b32_e32 v53, 0
	s_and_saveexec_b64 s[4:5], vcc
	s_cbranch_execz .LBB656_137
; %bb.132:                              ;   in Loop: Header=BB656_17 Depth=1
	v_lshrrev_b32_e32 v34, 24, v32
	v_cmp_ne_u32_e32 vcc, s13, v34
	v_bfrev_b32_e32 v53, 1
	s_and_saveexec_b64 s[6:7], vcc
	s_cbranch_execz .LBB656_136
; %bb.133:                              ;   in Loop: Header=BB656_17 Depth=1
	v_bfe_u32 v32, v32, 24, 7
	v_cmp_ne_u32_e32 vcc, s14, v32
	v_mov_b32_e32 v53, 0x7f800001
	s_and_saveexec_b64 s[10:11], vcc
	s_cbranch_execz .LBB656_135
; %bb.134:                              ;   in Loop: Header=BB656_17 Depth=1
	v_and_b32_e32 v53, 7, v34
	v_ffbh_u32_e32 v54, v53
	v_min_u32_e32 v57, 32, v54
	v_subrev_u32_e32 v54, 28, v57
	v_lshlrev_b64 v[54:55], v54, v[34:35]
	v_lshrrev_b32_e32 v56, 3, v32
	v_sub_u32_e32 v55, 29, v57
	v_and_b32_e32 v54, 7, v54
	v_cmp_gt_u32_e32 vcc, 8, v32
	v_cndmask_b32_e32 v32, v56, v55, vcc
	v_cndmask_b32_e32 v53, v53, v54, vcc
	v_lshlrev_b32_e32 v34, 24, v34
	v_lshlrev_b32_e32 v53, 20, v53
	v_and_b32_e32 v34, 0x80000000, v34
	v_lshl_add_u32 v32, v32, 23, v38
	v_or3_b32 v53, v34, v32, v53
.LBB656_135:                            ;   in Loop: Header=BB656_17 Depth=1
	s_or_b64 exec, exec, s[10:11]
.LBB656_136:                            ;   in Loop: Header=BB656_17 Depth=1
	s_or_b64 exec, exec, s[6:7]
.LBB656_137:                            ;   in Loop: Header=BB656_17 Depth=1
	s_or_b64 exec, exec, s[4:5]
	s_waitcnt vmcnt(2)
	v_cmp_ne_u16_sdwa s[6:7], v30, v35 src0_sel:BYTE_0 src1_sel:DWORD
	s_and_saveexec_b64 s[4:5], s[6:7]
	s_cbranch_execz .LBB656_143
; %bb.138:                              ;   in Loop: Header=BB656_17 Depth=1
	v_cmp_ne_u16_sdwa s[10:11], v30, s13 src0_sel:BYTE_0 src1_sel:DWORD
	v_bfrev_b32_e32 v44, 1
	s_and_saveexec_b64 s[6:7], s[10:11]
	s_cbranch_execz .LBB656_142
; %bb.139:                              ;   in Loop: Header=BB656_17 Depth=1
	v_and_b32_e32 v32, 0x7f, v30
	v_cmp_ne_u32_e32 vcc, s14, v32
	v_mov_b32_e32 v44, 0x7f800001
	s_and_saveexec_b64 s[10:11], vcc
	s_cbranch_execz .LBB656_141
; %bb.140:                              ;   in Loop: Header=BB656_17 Depth=1
	v_and_b32_e32 v34, 7, v30
	v_ffbh_u32_e32 v54, v34
	v_min_u32_e32 v56, 32, v54
	v_subrev_u32_e32 v54, 28, v56
	v_lshlrev_b64 v[54:55], v54, v[30:31]
	v_lshrrev_b32_e32 v44, 3, v32
	v_sub_u32_e32 v55, 29, v56
	v_and_b32_e32 v54, 7, v54
	v_cmp_gt_u32_e32 vcc, 8, v32
	v_cndmask_b32_e32 v32, v44, v55, vcc
	v_cndmask_b32_e32 v34, v34, v54, vcc
	v_lshlrev_b32_e32 v44, 24, v30
	v_lshlrev_b32_e32 v34, 20, v34
	v_and_b32_e32 v44, 0x80000000, v44
	v_lshl_add_u32 v32, v32, 23, v38
	v_or3_b32 v44, v44, v32, v34
.LBB656_141:                            ;   in Loop: Header=BB656_17 Depth=1
	s_or_b64 exec, exec, s[10:11]
.LBB656_142:                            ;   in Loop: Header=BB656_17 Depth=1
	s_or_b64 exec, exec, s[6:7]
.LBB656_143:                            ;   in Loop: Header=BB656_17 Depth=1
	s_or_b64 exec, exec, s[4:5]
	v_lshrrev_b16_e32 v32, 8, v30
	v_cmp_ne_u16_e32 vcc, 0, v32
	v_mov_b32_e32 v54, 0
	v_mov_b32_e32 v55, 0
	s_and_saveexec_b64 s[4:5], vcc
	s_cbranch_execz .LBB656_149
; %bb.144:                              ;   in Loop: Header=BB656_17 Depth=1
	v_cmp_ne_u16_e32 vcc, s13, v32
	v_bfrev_b32_e32 v55, 1
	s_and_saveexec_b64 s[6:7], vcc
	s_cbranch_execz .LBB656_148
; %bb.145:                              ;   in Loop: Header=BB656_17 Depth=1
	v_and_b32_e32 v34, 0x7f, v32
	v_cmp_ne_u32_e32 vcc, s14, v34
	v_mov_b32_e32 v55, 0x7f800001
	s_and_saveexec_b64 s[10:11], vcc
	s_cbranch_execz .LBB656_147
; %bb.146:                              ;   in Loop: Header=BB656_17 Depth=1
	v_and_b32_e32 v55, 7, v32
	v_ffbh_u32_e32 v56, v55
	v_min_u32_e32 v59, 32, v56
	v_subrev_u32_e32 v56, 28, v59
	v_lshlrev_b64 v[56:57], v56, v[32:33]
	v_lshrrev_b32_e32 v58, 3, v34
	v_sub_u32_e32 v32, 29, v59
	v_and_b32_e32 v56, 7, v56
	v_cmp_gt_u32_e32 vcc, 8, v34
	v_cndmask_b32_e32 v32, v58, v32, vcc
	v_cndmask_b32_e32 v34, v55, v56, vcc
	v_lshlrev_b32_e32 v55, 16, v30
	v_lshlrev_b32_e32 v34, 20, v34
	v_and_b32_e32 v55, 0x80000000, v55
	v_lshl_add_u32 v32, v32, 23, v38
	v_or3_b32 v55, v55, v32, v34
.LBB656_147:                            ;   in Loop: Header=BB656_17 Depth=1
	s_or_b64 exec, exec, s[10:11]
.LBB656_148:                            ;   in Loop: Header=BB656_17 Depth=1
	s_or_b64 exec, exec, s[6:7]
.LBB656_149:                            ;   in Loop: Header=BB656_17 Depth=1
	s_or_b64 exec, exec, s[4:5]
	v_lshrrev_b32_e32 v32, 16, v30
	v_cmp_ne_u16_sdwa s[6:7], v32, v35 src0_sel:BYTE_0 src1_sel:DWORD
	s_and_saveexec_b64 s[4:5], s[6:7]
	s_cbranch_execz .LBB656_155
; %bb.150:                              ;   in Loop: Header=BB656_17 Depth=1
	v_cmp_ne_u16_sdwa s[10:11], v32, s13 src0_sel:BYTE_0 src1_sel:DWORD
	v_bfrev_b32_e32 v54, 1
	s_and_saveexec_b64 s[6:7], s[10:11]
	s_cbranch_execz .LBB656_154
; %bb.151:                              ;   in Loop: Header=BB656_17 Depth=1
	v_bfe_u32 v34, v30, 16, 7
	v_cmp_ne_u32_e32 vcc, s14, v34
	v_mov_b32_e32 v54, 0x7f800001
	s_and_saveexec_b64 s[10:11], vcc
	s_cbranch_execz .LBB656_153
; %bb.152:                              ;   in Loop: Header=BB656_17 Depth=1
	v_and_b32_e32 v54, 7, v32
	v_ffbh_u32_e32 v56, v54
	v_min_u32_e32 v59, 32, v56
	v_subrev_u32_e32 v56, 28, v59
	v_lshlrev_b64 v[56:57], v56, v[32:33]
	v_lshrrev_b32_e32 v58, 3, v34
	v_sub_u32_e32 v57, 29, v59
	v_and_b32_e32 v56, 7, v56
	v_cmp_gt_u32_e32 vcc, 8, v34
	v_cndmask_b32_e32 v34, v58, v57, vcc
	v_cndmask_b32_e32 v54, v54, v56, vcc
	v_lshlrev_b32_e32 v32, 24, v32
	v_lshlrev_b32_e32 v54, 20, v54
	v_and_b32_e32 v32, 0x80000000, v32
	v_lshl_add_u32 v34, v34, 23, v38
	v_or3_b32 v54, v32, v34, v54
.LBB656_153:                            ;   in Loop: Header=BB656_17 Depth=1
	s_or_b64 exec, exec, s[10:11]
.LBB656_154:                            ;   in Loop: Header=BB656_17 Depth=1
	s_or_b64 exec, exec, s[6:7]
.LBB656_155:                            ;   in Loop: Header=BB656_17 Depth=1
	s_or_b64 exec, exec, s[4:5]
	v_cmp_lt_u32_e32 vcc, s15, v30
	v_mov_b32_e32 v34, 0
	v_mov_b32_e32 v56, 0
	s_and_saveexec_b64 s[4:5], vcc
	s_cbranch_execz .LBB656_161
; %bb.156:                              ;   in Loop: Header=BB656_17 Depth=1
	v_lshrrev_b32_e32 v32, 24, v30
	v_cmp_ne_u32_e32 vcc, s13, v32
	v_bfrev_b32_e32 v56, 1
	s_and_saveexec_b64 s[6:7], vcc
	s_cbranch_execz .LBB656_160
; %bb.157:                              ;   in Loop: Header=BB656_17 Depth=1
	v_bfe_u32 v30, v30, 24, 7
	v_cmp_ne_u32_e32 vcc, s14, v30
	v_mov_b32_e32 v56, 0x7f800001
	s_and_saveexec_b64 s[10:11], vcc
	s_cbranch_execz .LBB656_159
; %bb.158:                              ;   in Loop: Header=BB656_17 Depth=1
	v_and_b32_e32 v58, 7, v32
	v_ffbh_u32_e32 v56, v58
	v_min_u32_e32 v60, 32, v56
	v_subrev_u32_e32 v56, 28, v60
	v_lshlrev_b64 v[56:57], v56, v[32:33]
	v_lshrrev_b32_e32 v59, 3, v30
	v_sub_u32_e32 v57, 29, v60
	v_and_b32_e32 v56, 7, v56
	v_cmp_gt_u32_e32 vcc, 8, v30
	v_cndmask_b32_e32 v30, v59, v57, vcc
	v_cndmask_b32_e32 v56, v58, v56, vcc
	v_lshlrev_b32_e32 v32, 24, v32
	v_lshlrev_b32_e32 v56, 20, v56
	v_and_b32_e32 v32, 0x80000000, v32
	v_lshl_add_u32 v30, v30, 23, v38
	v_or3_b32 v56, v32, v30, v56
.LBB656_159:                            ;   in Loop: Header=BB656_17 Depth=1
	s_or_b64 exec, exec, s[10:11]
.LBB656_160:                            ;   in Loop: Header=BB656_17 Depth=1
	s_or_b64 exec, exec, s[6:7]
.LBB656_161:                            ;   in Loop: Header=BB656_17 Depth=1
	s_or_b64 exec, exec, s[4:5]
	v_cvt_pkrtz_f16_f32 v58, v23, v42
	v_cvt_pkrtz_f16_f32 v59, v40, v53
	s_waitcnt vmcnt(1)
	v_cmp_ne_u16_sdwa s[6:7], v28, v35 src0_sel:BYTE_0 src1_sel:DWORD
	v_mfma_f32_16x16x16f16 v[18:21], v[58:59], v[10:11], v[18:21]
	v_cvt_pkrtz_f16_f32 v58, v44, v55
	v_cvt_pkrtz_f16_f32 v59, v54, v56
	s_nop 1
	v_mfma_f32_16x16x16f16 v[18:21], v[58:59], v[12:13], v[18:21]
	s_and_saveexec_b64 s[4:5], s[6:7]
	s_cbranch_execz .LBB656_167
; %bb.162:                              ;   in Loop: Header=BB656_17 Depth=1
	v_cmp_ne_u16_sdwa s[10:11], v28, s13 src0_sel:BYTE_0 src1_sel:DWORD
	v_bfrev_b32_e32 v34, 1
	s_and_saveexec_b64 s[6:7], s[10:11]
	s_cbranch_execz .LBB656_166
; %bb.163:                              ;   in Loop: Header=BB656_17 Depth=1
	v_and_b32_e32 v23, 0x7f, v28
	v_cmp_ne_u32_e32 vcc, s14, v23
	v_mov_b32_e32 v34, 0x7f800001
	s_and_saveexec_b64 s[10:11], vcc
	s_cbranch_execz .LBB656_165
; %bb.164:                              ;   in Loop: Header=BB656_17 Depth=1
	v_and_b32_e32 v30, 7, v28
	v_ffbh_u32_e32 v34, v30
	v_min_u32_e32 v34, 32, v34
	v_subrev_u32_e32 v40, 28, v34
	v_lshlrev_b64 v[54:55], v40, v[28:29]
	v_lshrrev_b32_e32 v32, 3, v23
	v_sub_u32_e32 v34, 29, v34
	v_and_b32_e32 v40, 7, v54
	v_cmp_gt_u32_e32 vcc, 8, v23
	v_cndmask_b32_e32 v23, v32, v34, vcc
	v_cndmask_b32_e32 v30, v30, v40, vcc
	v_lshlrev_b32_e32 v32, 24, v28
	v_lshlrev_b32_e32 v30, 20, v30
	v_and_b32_e32 v32, 0x80000000, v32
	v_lshl_add_u32 v23, v23, 23, v38
	v_or3_b32 v34, v32, v23, v30
.LBB656_165:                            ;   in Loop: Header=BB656_17 Depth=1
	s_or_b64 exec, exec, s[10:11]
.LBB656_166:                            ;   in Loop: Header=BB656_17 Depth=1
	s_or_b64 exec, exec, s[6:7]
.LBB656_167:                            ;   in Loop: Header=BB656_17 Depth=1
	s_or_b64 exec, exec, s[4:5]
	v_lshrrev_b16_e32 v30, 8, v28
	v_cmp_ne_u16_e32 vcc, 0, v30
	v_mov_b32_e32 v23, 0
	v_mov_b32_e32 v32, 0
	s_and_saveexec_b64 s[4:5], vcc
	s_cbranch_execz .LBB656_173
; %bb.168:                              ;   in Loop: Header=BB656_17 Depth=1
	v_cmp_ne_u16_e32 vcc, s13, v30
	v_bfrev_b32_e32 v32, 1
	s_and_saveexec_b64 s[6:7], vcc
	s_cbranch_execz .LBB656_172
; %bb.169:                              ;   in Loop: Header=BB656_17 Depth=1
	v_and_b32_e32 v40, 0x7f, v30
	v_cmp_ne_u32_e32 vcc, s14, v40
	v_mov_b32_e32 v32, 0x7f800001
	s_and_saveexec_b64 s[10:11], vcc
	s_cbranch_execz .LBB656_171
; %bb.170:                              ;   in Loop: Header=BB656_17 Depth=1
	v_and_b32_e32 v32, 7, v30
	v_ffbh_u32_e32 v44, v32
	v_min_u32_e32 v44, 32, v44
	v_subrev_u32_e32 v53, 28, v44
	v_lshlrev_b64 v[54:55], v53, v[30:31]
	v_lshrrev_b32_e32 v42, 3, v40
	v_sub_u32_e32 v30, 29, v44
	v_and_b32_e32 v44, 7, v54
	v_cmp_gt_u32_e32 vcc, 8, v40
	v_cndmask_b32_e32 v30, v42, v30, vcc
	v_cndmask_b32_e32 v32, v32, v44, vcc
	v_lshlrev_b32_e32 v40, 16, v28
	v_lshlrev_b32_e32 v32, 20, v32
	v_and_b32_e32 v40, 0x80000000, v40
	v_lshl_add_u32 v30, v30, 23, v38
	v_or3_b32 v32, v40, v30, v32
.LBB656_171:                            ;   in Loop: Header=BB656_17 Depth=1
	s_or_b64 exec, exec, s[10:11]
.LBB656_172:                            ;   in Loop: Header=BB656_17 Depth=1
	s_or_b64 exec, exec, s[6:7]
.LBB656_173:                            ;   in Loop: Header=BB656_17 Depth=1
	s_or_b64 exec, exec, s[4:5]
	v_lshrrev_b32_e32 v30, 16, v28
	v_cmp_ne_u16_sdwa s[6:7], v30, v35 src0_sel:BYTE_0 src1_sel:DWORD
	s_and_saveexec_b64 s[4:5], s[6:7]
	s_cbranch_execz .LBB656_179
; %bb.174:                              ;   in Loop: Header=BB656_17 Depth=1
	v_cmp_ne_u16_sdwa s[10:11], v30, s13 src0_sel:BYTE_0 src1_sel:DWORD
	v_bfrev_b32_e32 v23, 1
	s_and_saveexec_b64 s[6:7], s[10:11]
	s_cbranch_execz .LBB656_178
; %bb.175:                              ;   in Loop: Header=BB656_17 Depth=1
	v_bfe_u32 v40, v28, 16, 7
	v_cmp_ne_u32_e32 vcc, s14, v40
	v_mov_b32_e32 v23, 0x7f800001
	s_and_saveexec_b64 s[10:11], vcc
	s_cbranch_execz .LBB656_177
; %bb.176:                              ;   in Loop: Header=BB656_17 Depth=1
	v_and_b32_e32 v23, 7, v30
	v_ffbh_u32_e32 v44, v23
	v_min_u32_e32 v44, 32, v44
	v_subrev_u32_e32 v53, 28, v44
	v_lshlrev_b64 v[54:55], v53, v[30:31]
	v_lshrrev_b32_e32 v42, 3, v40
	v_sub_u32_e32 v44, 29, v44
	v_and_b32_e32 v53, 7, v54
	v_cmp_gt_u32_e32 vcc, 8, v40
	v_cndmask_b32_e32 v40, v42, v44, vcc
	v_cndmask_b32_e32 v23, v23, v53, vcc
	v_lshlrev_b32_e32 v30, 24, v30
	v_lshlrev_b32_e32 v23, 20, v23
	v_and_b32_e32 v30, 0x80000000, v30
	v_lshl_add_u32 v40, v40, 23, v38
	v_or3_b32 v23, v30, v40, v23
.LBB656_177:                            ;   in Loop: Header=BB656_17 Depth=1
	s_or_b64 exec, exec, s[10:11]
.LBB656_178:                            ;   in Loop: Header=BB656_17 Depth=1
	s_or_b64 exec, exec, s[6:7]
.LBB656_179:                            ;   in Loop: Header=BB656_17 Depth=1
	s_or_b64 exec, exec, s[4:5]
	v_cmp_lt_u32_e32 vcc, s15, v28
	v_mov_b32_e32 v40, 0
	v_mov_b32_e32 v42, 0
	s_and_saveexec_b64 s[4:5], vcc
	s_cbranch_execz .LBB656_185
; %bb.180:                              ;   in Loop: Header=BB656_17 Depth=1
	v_lshrrev_b32_e32 v30, 24, v28
	v_cmp_ne_u32_e32 vcc, s13, v30
	v_bfrev_b32_e32 v42, 1
	s_and_saveexec_b64 s[6:7], vcc
	s_cbranch_execz .LBB656_184
; %bb.181:                              ;   in Loop: Header=BB656_17 Depth=1
	v_bfe_u32 v28, v28, 24, 7
	v_cmp_ne_u32_e32 vcc, s14, v28
	v_mov_b32_e32 v42, 0x7f800001
	s_and_saveexec_b64 s[10:11], vcc
	s_cbranch_execz .LBB656_183
; %bb.182:                              ;   in Loop: Header=BB656_17 Depth=1
	v_and_b32_e32 v42, 7, v30
	v_ffbh_u32_e32 v53, v42
	v_min_u32_e32 v53, 32, v53
	v_subrev_u32_e32 v54, 28, v53
	v_lshlrev_b64 v[54:55], v54, v[30:31]
	v_lshrrev_b32_e32 v44, 3, v28
	v_sub_u32_e32 v53, 29, v53
	v_and_b32_e32 v54, 7, v54
	v_cmp_gt_u32_e32 vcc, 8, v28
	v_cndmask_b32_e32 v28, v44, v53, vcc
	v_cndmask_b32_e32 v42, v42, v54, vcc
	v_lshlrev_b32_e32 v30, 24, v30
	v_lshlrev_b32_e32 v42, 20, v42
	v_and_b32_e32 v30, 0x80000000, v30
	v_lshl_add_u32 v28, v28, 23, v38
	v_or3_b32 v42, v30, v28, v42
.LBB656_183:                            ;   in Loop: Header=BB656_17 Depth=1
	s_or_b64 exec, exec, s[10:11]
.LBB656_184:                            ;   in Loop: Header=BB656_17 Depth=1
	s_or_b64 exec, exec, s[6:7]
.LBB656_185:                            ;   in Loop: Header=BB656_17 Depth=1
	s_or_b64 exec, exec, s[4:5]
	s_waitcnt vmcnt(0)
	v_cmp_ne_u16_sdwa s[6:7], v26, v35 src0_sel:BYTE_0 src1_sel:DWORD
	s_and_saveexec_b64 s[4:5], s[6:7]
	s_cbranch_execz .LBB656_191
; %bb.186:                              ;   in Loop: Header=BB656_17 Depth=1
	v_cmp_ne_u16_sdwa s[10:11], v26, s13 src0_sel:BYTE_0 src1_sel:DWORD
	v_bfrev_b32_e32 v40, 1
	s_and_saveexec_b64 s[6:7], s[10:11]
	s_cbranch_execz .LBB656_190
; %bb.187:                              ;   in Loop: Header=BB656_17 Depth=1
	v_and_b32_e32 v28, 0x7f, v26
	v_cmp_ne_u32_e32 vcc, s14, v28
	v_mov_b32_e32 v40, 0x7f800001
	s_and_saveexec_b64 s[10:11], vcc
	s_cbranch_execz .LBB656_189
; %bb.188:                              ;   in Loop: Header=BB656_17 Depth=1
	v_and_b32_e32 v30, 7, v26
	v_ffbh_u32_e32 v44, v30
	v_min_u32_e32 v44, 32, v44
	v_subrev_u32_e32 v53, 28, v44
	v_lshlrev_b64 v[54:55], v53, v[26:27]
	v_lshrrev_b32_e32 v40, 3, v28
	v_sub_u32_e32 v44, 29, v44
	v_and_b32_e32 v53, 7, v54
	v_cmp_gt_u32_e32 vcc, 8, v28
	v_cndmask_b32_e32 v28, v40, v44, vcc
	v_cndmask_b32_e32 v30, v30, v53, vcc
	v_lshlrev_b32_e32 v40, 24, v26
	v_lshlrev_b32_e32 v30, 20, v30
	v_and_b32_e32 v40, 0x80000000, v40
	v_lshl_add_u32 v28, v28, 23, v38
	v_or3_b32 v40, v40, v28, v30
.LBB656_189:                            ;   in Loop: Header=BB656_17 Depth=1
	s_or_b64 exec, exec, s[10:11]
.LBB656_190:                            ;   in Loop: Header=BB656_17 Depth=1
	s_or_b64 exec, exec, s[6:7]
.LBB656_191:                            ;   in Loop: Header=BB656_17 Depth=1
	s_or_b64 exec, exec, s[4:5]
	v_lshrrev_b16_e32 v28, 8, v26
	v_cmp_ne_u16_e32 vcc, 0, v28
	v_mov_b32_e32 v30, 0
	v_mov_b32_e32 v44, 0
	s_and_saveexec_b64 s[4:5], vcc
	s_cbranch_execz .LBB656_197
; %bb.192:                              ;   in Loop: Header=BB656_17 Depth=1
	v_cmp_ne_u16_e32 vcc, s13, v28
	v_bfrev_b32_e32 v44, 1
	s_and_saveexec_b64 s[6:7], vcc
	s_cbranch_execz .LBB656_196
; %bb.193:                              ;   in Loop: Header=BB656_17 Depth=1
	v_and_b32_e32 v53, 0x7f, v28
	v_cmp_ne_u32_e32 vcc, s14, v53
	v_mov_b32_e32 v44, 0x7f800001
	s_and_saveexec_b64 s[10:11], vcc
	s_cbranch_execz .LBB656_195
; %bb.194:                              ;   in Loop: Header=BB656_17 Depth=1
	v_and_b32_e32 v44, 7, v28
	v_ffbh_u32_e32 v54, v44
	v_min_u32_e32 v57, 32, v54
	v_subrev_u32_e32 v54, 28, v57
	v_lshlrev_b64 v[54:55], v54, v[28:29]
	v_lshrrev_b32_e32 v56, 3, v53
	v_sub_u32_e32 v28, 29, v57
	v_and_b32_e32 v54, 7, v54
	v_cmp_gt_u32_e32 vcc, 8, v53
	v_cndmask_b32_e32 v28, v56, v28, vcc
	v_cndmask_b32_e32 v44, v44, v54, vcc
	v_lshlrev_b32_e32 v53, 16, v26
	v_lshlrev_b32_e32 v44, 20, v44
	v_and_b32_e32 v53, 0x80000000, v53
	v_lshl_add_u32 v28, v28, 23, v38
	v_or3_b32 v44, v53, v28, v44
.LBB656_195:                            ;   in Loop: Header=BB656_17 Depth=1
	s_or_b64 exec, exec, s[10:11]
.LBB656_196:                            ;   in Loop: Header=BB656_17 Depth=1
	s_or_b64 exec, exec, s[6:7]
.LBB656_197:                            ;   in Loop: Header=BB656_17 Depth=1
	s_or_b64 exec, exec, s[4:5]
	v_lshrrev_b32_e32 v28, 16, v26
	v_cmp_ne_u16_sdwa s[6:7], v28, v35 src0_sel:BYTE_0 src1_sel:DWORD
	s_and_saveexec_b64 s[4:5], s[6:7]
	s_cbranch_execz .LBB656_203
; %bb.198:                              ;   in Loop: Header=BB656_17 Depth=1
	v_cmp_ne_u16_sdwa s[10:11], v28, s13 src0_sel:BYTE_0 src1_sel:DWORD
	v_bfrev_b32_e32 v30, 1
	s_and_saveexec_b64 s[6:7], s[10:11]
	s_cbranch_execz .LBB656_202
; %bb.199:                              ;   in Loop: Header=BB656_17 Depth=1
	v_bfe_u32 v53, v26, 16, 7
	v_cmp_ne_u32_e32 vcc, s14, v53
	v_mov_b32_e32 v30, 0x7f800001
	s_and_saveexec_b64 s[10:11], vcc
	s_cbranch_execz .LBB656_201
; %bb.200:                              ;   in Loop: Header=BB656_17 Depth=1
	v_and_b32_e32 v30, 7, v28
	v_ffbh_u32_e32 v54, v30
	v_min_u32_e32 v57, 32, v54
	v_subrev_u32_e32 v54, 28, v57
	v_lshlrev_b64 v[54:55], v54, v[28:29]
	v_lshrrev_b32_e32 v56, 3, v53
	v_sub_u32_e32 v55, 29, v57
	v_and_b32_e32 v54, 7, v54
	v_cmp_gt_u32_e32 vcc, 8, v53
	v_cndmask_b32_e32 v53, v56, v55, vcc
	v_cndmask_b32_e32 v30, v30, v54, vcc
	v_lshlrev_b32_e32 v28, 24, v28
	v_lshlrev_b32_e32 v30, 20, v30
	v_and_b32_e32 v28, 0x80000000, v28
	v_lshl_add_u32 v53, v53, 23, v38
	v_or3_b32 v30, v28, v53, v30
.LBB656_201:                            ;   in Loop: Header=BB656_17 Depth=1
	s_or_b64 exec, exec, s[10:11]
.LBB656_202:                            ;   in Loop: Header=BB656_17 Depth=1
	s_or_b64 exec, exec, s[6:7]
.LBB656_203:                            ;   in Loop: Header=BB656_17 Depth=1
	s_or_b64 exec, exec, s[4:5]
	v_cmp_lt_u32_e32 vcc, s15, v26
	v_mov_b32_e32 v53, 0
	s_and_saveexec_b64 s[4:5], vcc
	s_cbranch_execz .LBB656_16
; %bb.204:                              ;   in Loop: Header=BB656_17 Depth=1
	v_lshrrev_b32_e32 v28, 24, v26
	v_cmp_ne_u32_e32 vcc, s13, v28
	v_bfrev_b32_e32 v53, 1
	s_and_saveexec_b64 s[6:7], vcc
	s_cbranch_execz .LBB656_15
; %bb.205:                              ;   in Loop: Header=BB656_17 Depth=1
	v_bfe_u32 v26, v26, 24, 7
	v_cmp_ne_u32_e32 vcc, s14, v26
	v_mov_b32_e32 v53, 0x7f800001
	s_and_saveexec_b64 s[10:11], vcc
	s_cbranch_execz .LBB656_14
; %bb.206:                              ;   in Loop: Header=BB656_17 Depth=1
	v_and_b32_e32 v53, 7, v28
	v_ffbh_u32_e32 v54, v53
	v_min_u32_e32 v57, 32, v54
	v_subrev_u32_e32 v54, 28, v57
	v_lshlrev_b64 v[54:55], v54, v[28:29]
	v_lshrrev_b32_e32 v56, 3, v26
	v_sub_u32_e32 v55, 29, v57
	v_and_b32_e32 v54, 7, v54
	v_cmp_gt_u32_e32 vcc, 8, v26
	v_cndmask_b32_e32 v26, v56, v55, vcc
	v_cndmask_b32_e32 v53, v53, v54, vcc
	v_lshlrev_b32_e32 v28, 24, v28
	v_lshlrev_b32_e32 v53, 20, v53
	v_and_b32_e32 v28, 0x80000000, v28
	v_lshl_add_u32 v26, v26, 23, v38
	v_or3_b32 v53, v28, v26, v53
	s_branch .LBB656_14
.LBB656_207:
	buffer_load_dword v17, off, s[0:3], 0 offset:256
	buffer_load_dword v16, off, s[0:3], 0 offset:260
	;; [unrolled: 1-line block ×16, first 2 shown]
	v_and_b32_e32 v18, 0xc0, v0
	v_add_u32_e32 v18, s20, v18
	v_lshl_or_b32 v18, v41, 2, v18
	v_or_b32_e32 v20, 1, v18
	v_subrev_u32_e32 v24, s33, v20
	v_add_u32_e32 v26, 1, v24
	v_cvt_f32_i32_e32 v25, v24
	v_add_u32_e32 v28, 2, v24
	v_add_u32_e32 v30, 3, v24
	;; [unrolled: 1-line block ×14, first 2 shown]
	v_cvt_f32_i32_e32 v26, v26
	v_cvt_f32_i32_e32 v28, v28
	;; [unrolled: 1-line block ×4, first 2 shown]
	v_mov_b32_e32 v19, 0xff7fffff
	v_or_b32_e32 v21, 2, v18
	v_or_b32_e32 v22, 3, v18
	v_cvt_f32_i32_e32 v32, v32
	v_cvt_f32_i32_e32 v34, v34
	v_cmp_gt_i32_e64 s[28:29], s33, v18
	v_cmp_gt_i32_e64 s[30:31], s33, v20
	s_mov_b32 s52, 0xff7fffff
	v_cmp_gt_i32_e64 s[34:35], s33, v21
	v_cmp_gt_i32_e64 s[36:37], s33, v22
	v_or_b32_e32 v23, 16, v18
	v_cvt_f32_i32_e32 v35, v35
	v_cvt_f32_i32_e32 v36, v36
	v_cmp_gt_i32_e64 s[24:25], s33, v23
	v_cvt_f32_i32_e32 v37, v37
	v_cvt_f32_i32_e32 v38, v38
	;; [unrolled: 1-line block ×7, first 2 shown]
	s_waitcnt vmcnt(15)
	v_fmac_f32_e32 v17, v31, v25
	s_waitcnt vmcnt(14)
	v_fmac_f32_e32 v16, v31, v26
	;; [unrolled: 2-line block ×4, first 2 shown]
	v_cndmask_b32_e64 v20, v19, v16, s[30:31]
	v_cndmask_b32_e64 v21, v19, v15, s[34:35]
	;; [unrolled: 1-line block ×3, first 2 shown]
	s_waitcnt vmcnt(11)
	v_fmac_f32_e32 v13, v31, v32
	s_waitcnt vmcnt(10)
	v_fmac_f32_e32 v12, v31, v34
	;; [unrolled: 2-line block ×9, first 2 shown]
	v_cndmask_b32_e64 v24, v19, v17, s[28:29]
	v_max3_f32 v20, v24, s52, v20
	v_max3_f32 v20, v20, v21, v22
	v_or_b32_e32 v22, 17, v18
	v_cmp_gt_i32_e64 s[38:39], s33, v22
	v_cndmask_b32_e64 v21, v19, v13, s[24:25]
	v_cndmask_b32_e64 v22, v19, v12, s[38:39]
	v_max3_f32 v20, v20, v21, v22
	v_or_b32_e32 v21, 18, v18
	v_or_b32_e32 v22, 19, v18
	v_cmp_gt_i32_e64 s[20:21], s33, v21
	v_cmp_gt_i32_e64 s[22:23], s33, v22
	v_cndmask_b32_e64 v21, v19, v11, s[20:21]
	v_cndmask_b32_e64 v22, v19, v10, s[22:23]
	v_max3_f32 v20, v20, v21, v22
	v_or_b32_e32 v21, 32, v18
	v_or_b32_e32 v22, 33, v18
	v_cmp_gt_i32_e64 s[16:17], s33, v21
	v_cmp_gt_i32_e64 s[18:19], s33, v22
	v_cndmask_b32_e64 v21, v19, v9, s[16:17]
	v_cndmask_b32_e64 v22, v19, v8, s[18:19]
	v_max3_f32 v20, v20, v21, v22
	v_or_b32_e32 v21, 34, v18
	v_or_b32_e32 v22, 35, v18
	v_cmp_gt_i32_e64 s[12:13], s33, v21
	v_cmp_gt_i32_e64 s[14:15], s33, v22
	v_cndmask_b32_e64 v21, v19, v7, s[12:13]
	v_cndmask_b32_e64 v22, v19, v6, s[14:15]
	v_max3_f32 v20, v20, v21, v22
	v_or_b32_e32 v21, 48, v18
	v_or_b32_e32 v22, 49, v18
	v_fmac_f32_e32 v5, v31, v44
	v_fmac_f32_e32 v4, v31, v53
	v_cmp_gt_i32_e64 s[6:7], s33, v21
	v_cmp_gt_i32_e64 s[10:11], s33, v22
	v_cndmask_b32_e64 v21, v19, v5, s[6:7]
	v_cndmask_b32_e64 v22, v19, v4, s[10:11]
	v_max3_f32 v20, v20, v21, v22
	v_or_b32_e32 v21, 50, v18
	v_or_b32_e32 v18, 51, v18
	v_fmac_f32_e32 v3, v31, v54
	v_cmp_gt_i32_e32 vcc, s33, v21
	v_cmp_gt_i32_e64 s[4:5], s33, v18
	v_cndmask_b32_e32 v21, v19, v3, vcc
	v_cndmask_b32_e64 v18, v19, v2, s[4:5]
	v_mbcnt_lo_u32_b32 v19, -1, 0
	v_mbcnt_hi_u32_b32 v19, -1, v19
	v_max3_f32 v18, v20, v21, v18
	v_and_b32_e32 v20, 64, v19
	v_add_u32_e32 v20, 64, v20
	v_xor_b32_e32 v21, 32, v19
	v_cmp_lt_i32_e64 s[40:41], v21, v20
	v_cndmask_b32_e64 v21, v19, v21, s[40:41]
	v_lshlrev_b32_e32 v21, 2, v21
	ds_bpermute_b32 v22, v21, v18
	s_waitcnt lgkmcnt(0)
	v_max_f32_e32 v22, v22, v22
	v_max_f32_e32 v18, v18, v22
	v_xor_b32_e32 v22, 16, v19
	v_cmp_lt_i32_e64 s[40:41], v22, v20
	v_cndmask_b32_e64 v19, v19, v22, s[40:41]
	v_lshlrev_b32_e32 v19, 2, v19
	ds_bpermute_b32 v20, v19, v18
	s_waitcnt lgkmcnt(0)
	v_max_f32_e32 v20, v20, v20
	v_max_f32_e32 v18, v18, v20
	v_sub_f32_e32 v17, v17, v18
	v_mul_f32_e32 v17, 0x3fb8aa3b, v17
	v_sub_f32_e32 v16, v16, v18
	v_exp_f32_e32 v17, v17
	v_mul_f32_e32 v16, 0x3fb8aa3b, v16
	v_sub_f32_e32 v15, v15, v18
	v_exp_f32_e32 v16, v16
	;; [unrolled: 3-line block ×4, first 2 shown]
	v_mul_f32_e32 v13, 0x3fb8aa3b, v13
	v_sub_f32_e32 v12, v12, v18
	v_cndmask_b32_e64 v17, 0, v17, s[28:29]
	v_exp_f32_e32 v13, v13
	v_mul_f32_e32 v12, 0x3fb8aa3b, v12
	v_sub_f32_e32 v11, v11, v18
	v_add_f32_e32 v20, 0, v17
	v_cndmask_b32_e64 v16, 0, v16, s[30:31]
	v_exp_f32_e32 v12, v12
	v_mul_f32_e32 v11, 0x3fb8aa3b, v11
	v_sub_f32_e32 v10, v10, v18
	v_add_f32_e32 v20, v20, v16
	;; [unrolled: 5-line block ×4, first 2 shown]
	v_cndmask_b32_e64 v13, 0, v13, s[24:25]
	v_exp_f32_e32 v9, v9
	v_mul_f32_e32 v8, 0x3fb8aa3b, v8
	v_sub_f32_e32 v7, v7, v18
	buffer_store_dword v17, off, s[0:3], 0 offset:256
	buffer_store_dword v16, off, s[0:3], 0 offset:260
	;; [unrolled: 1-line block ×4, first 2 shown]
	v_add_f32_e32 v14, v20, v13
	v_cndmask_b32_e64 v12, 0, v12, s[38:39]
	v_exp_f32_e32 v8, v8
	v_mul_f32_e32 v7, 0x3fb8aa3b, v7
	v_sub_f32_e32 v6, v6, v18
	v_add_f32_e32 v14, v14, v12
	v_cndmask_b32_e64 v11, 0, v11, s[20:21]
	v_exp_f32_e32 v7, v7
	v_mul_f32_e32 v6, 0x3fb8aa3b, v6
	v_sub_f32_e32 v5, v5, v18
	;; [unrolled: 5-line block ×4, first 2 shown]
	buffer_store_dword v13, off, s[0:3], 0 offset:272
	buffer_store_dword v12, off, s[0:3], 0 offset:276
	;; [unrolled: 1-line block ×4, first 2 shown]
	v_add_f32_e32 v10, v14, v9
	v_cndmask_b32_e64 v8, 0, v8, s[18:19]
	v_exp_f32_e32 v4, v4
	v_mul_f32_e32 v3, 0x3fb8aa3b, v3
	v_sub_f32_e32 v2, v2, v18
	v_add_f32_e32 v10, v10, v8
	v_cndmask_b32_e64 v7, 0, v7, s[12:13]
	v_exp_f32_e32 v3, v3
	v_mul_f32_e32 v2, 0x3fb8aa3b, v2
	v_add_f32_e32 v10, v10, v7
	v_cndmask_b32_e64 v6, 0, v6, s[14:15]
	v_exp_f32_e32 v2, v2
	v_add_f32_e32 v10, v10, v6
	v_cndmask_b32_e64 v5, 0, v5, s[6:7]
	buffer_store_dword v9, off, s[0:3], 0 offset:288
	buffer_store_dword v8, off, s[0:3], 0 offset:292
	;; [unrolled: 1-line block ×4, first 2 shown]
	v_add_f32_e32 v6, v10, v5
	v_cndmask_b32_e64 v4, 0, v4, s[10:11]
	v_add_f32_e32 v6, v6, v4
	v_cndmask_b32_e32 v3, 0, v3, vcc
	v_add_f32_e32 v6, v6, v3
	v_cndmask_b32_e64 v2, 0, v2, s[4:5]
	v_add_f32_e32 v6, v6, v2
	ds_bpermute_b32 v7, v21, v6
	buffer_store_dword v5, off, s[0:3], 0 offset:304
	buffer_store_dword v4, off, s[0:3], 0 offset:308
	;; [unrolled: 1-line block ×4, first 2 shown]
	v_cmp_gt_u32_e32 vcc, 16, v33
	s_waitcnt lgkmcnt(0)
	s_barrier
	v_add_f32_e32 v2, v6, v7
	ds_bpermute_b32 v3, v19, v2
	s_waitcnt lgkmcnt(0)
	s_and_saveexec_b64 s[4:5], vcc
	s_cbranch_execz .LBB656_209
; %bb.208:
	v_add_f32_e32 v2, v2, v3
	v_lshlrev_b32_e32 v3, 2, v29
	ds_write2st64_b32 v3, v18, v2 offset1:1
.LBB656_209:
	s_or_b64 exec, exec, s[4:5]
	v_lshlrev_b32_e32 v2, 2, v43
	s_waitcnt lgkmcnt(0)
	s_barrier
	ds_read2_b32 v[12:13], v2 offset1:16
	ds_read2_b32 v[14:15], v2 offset0:32 offset1:48
	ds_read2_b32 v[6:7], v2 offset0:64 offset1:80
	;; [unrolled: 1-line block ×3, first 2 shown]
	s_waitcnt lgkmcnt(0)
	s_barrier
	buffer_load_dword v20, off, s[0:3], 0 offset:256
	buffer_load_dword v21, off, s[0:3], 0 offset:260
	;; [unrolled: 1-line block ×16, first 2 shown]
	v_lshlrev_b32_e32 v19, 3, v41
	v_lshlrev_b32_e32 v18, 5, v43
	;; [unrolled: 1-line block ×3, first 2 shown]
	v_or3_b32 v53, v26, v18, v19
	v_max3_f32 v19, v12, s52, v13
	v_max3_f32 v19, v19, v14, v15
	v_sub_f32_e32 v12, v12, v19
	v_sub_f32_e32 v13, v13, v19
	v_mul_f32_e32 v12, 0x3fb8aa3b, v12
	v_sub_f32_e32 v14, v14, v19
	v_mul_f32_e32 v13, 0x3fb8aa3b, v13
	v_exp_f32_e32 v12, v12
	v_sub_f32_e32 v15, v15, v19
	v_mul_f32_e32 v14, 0x3fb8aa3b, v14
	v_exp_f32_e32 v13, v13
	v_mul_f32_e32 v15, 0x3fb8aa3b, v15
	v_exp_f32_e32 v14, v14
	v_exp_f32_e32 v15, v15
	v_fma_f32 v6, v12, v6, 0
	v_fmac_f32_e32 v6, v13, v7
	v_fmac_f32_e32 v6, v14, v10
	v_fmac_f32_e32 v6, v15, v11
	v_cmp_eq_u32_e32 vcc, 1, v27
	v_add_f32_e32 v10, 0x358637bd, v6
	v_cndmask_b32_e32 v12, v12, v13, vcc
	v_cmp_eq_u32_e32 vcc, 2, v27
	v_div_scale_f32 v11, s[4:5], v10, v10, 1.0
	v_cndmask_b32_e32 v7, v12, v14, vcc
	v_rcp_f32_e32 v12, v11
	v_cmp_eq_u32_e32 vcc, 3, v27
	v_cndmask_b32_e32 v7, v7, v15, vcc
	v_div_scale_f32 v13, vcc, 1.0, v10, 1.0
	v_fma_f32 v14, -v11, v12, 1.0
	v_fmac_f32_e32 v12, v14, v12
	v_mul_f32_e32 v14, v13, v12
	v_fma_f32 v15, -v11, v14, v13
	v_fmac_f32_e32 v14, v15, v12
	v_fma_f32 v11, -v11, v14, v13
	v_div_fmas_f32 v11, v11, v12, v14
	v_div_fixup_f32 v10, v11, v10, 1.0
	v_mul_f32_e32 v10, v7, v10
	s_mul_i32 s18, s49, 3
	v_cmp_gt_u32_e32 vcc, 3, v0
	s_waitcnt vmcnt(14)
	v_pk_mul_f32 v[14:15], v[10:11], v[20:21] op_sel_hi:[0,1]
	v_cvt_f16_f32_e32 v7, v14
	s_waitcnt vmcnt(12)
	v_pk_mul_f32 v[12:13], v[10:11], v[22:23] op_sel_hi:[0,1]
	buffer_store_dword v14, off, s[0:3], 0 offset:256
	buffer_store_dword v15, off, s[0:3], 0 offset:260
	;; [unrolled: 1-line block ×3, first 2 shown]
	s_waitcnt vmcnt(13)
	v_pk_mul_f32 v[20:21], v[10:11], v[24:25] op_sel_hi:[0,1]
	v_cvt_f16_f32_e32 v14, v12
	s_waitcnt vmcnt(11)
	v_pk_mul_f32 v[22:23], v[10:11], v[28:29] op_sel_hi:[0,1]
	v_cvt_f16_f32_e32 v11, v15
	v_cvt_f16_f32_e32 v15, v13
	buffer_store_dword v13, off, s[0:3], 0 offset:268
	buffer_store_dword v22, off, s[0:3], 0 offset:272
	;; [unrolled: 1-line block ×3, first 2 shown]
	v_pack_b32_f16 v12, v7, v11
	v_cvt_f16_f32_e32 v11, v23
	v_pack_b32_f16 v13, v14, v15
	v_cvt_f16_f32_e32 v7, v22
	v_cvt_f16_f32_e32 v15, v20
	;; [unrolled: 1-line block ×3, first 2 shown]
	s_waitcnt vmcnt(12)
	v_pk_mul_f32 v[4:5], v[10:11], v[4:5] op_sel_hi:[0,1]
	v_pack_b32_f16 v14, v7, v11
	s_waitcnt vmcnt(10)
	v_pk_mul_f32 v[2:3], v[10:11], v[2:3] op_sel_hi:[0,1]
	v_pack_b32_f16 v15, v15, v22
	v_cvt_f16_f32_e32 v11, v5
	buffer_store_dword v20, off, s[0:3], 0 offset:280
	buffer_store_dword v21, off, s[0:3], 0 offset:284
	ds_write2st64_b64 v53, v[12:13], v[14:15] offset1:1
	buffer_store_dword v2, off, s[0:3], 0 offset:288
	buffer_store_dword v3, off, s[0:3], 0 offset:292
	v_cvt_f16_f32_e32 v2, v2
	v_cvt_f16_f32_e32 v3, v3
	;; [unrolled: 1-line block ×3, first 2 shown]
	buffer_store_dword v4, off, s[0:3], 0 offset:296
	buffer_store_dword v5, off, s[0:3], 0 offset:300
	s_waitcnt vmcnt(12)
	v_pk_mul_f32 v[4:5], v[10:11], v[16:17] op_sel_hi:[0,1]
	v_pk_mul_f32 v[8:9], v[10:11], v[8:9] op_sel_hi:[0,1]
	v_pack_b32_f16 v2, v2, v3
	v_pack_b32_f16 v3, v7, v11
	buffer_store_dword v8, off, s[0:3], 0 offset:304
	buffer_store_dword v9, off, s[0:3], 0 offset:308
	v_cvt_f16_f32_e32 v7, v8
	v_cvt_f16_f32_e32 v8, v9
	;; [unrolled: 1-line block ×4, first 2 shown]
	buffer_store_dword v4, off, s[0:3], 0 offset:312
	buffer_store_dword v5, off, s[0:3], 0 offset:316
	v_pack_b32_f16 v4, v7, v8
	v_pack_b32_f16 v5, v9, v10
	ds_write2st64_b64 v53, v[2:3], v[4:5] offset0:2 offset1:3
	s_and_saveexec_b64 s[4:5], vcc
	s_cbranch_execz .LBB656_211
; %bb.210:
	v_add_co_u32_e32 v4, vcc, s27, v43
	v_addc_co_u32_e64 v5, s[6:7], 0, 0, vcc
	v_mov_b32_e32 v2, s18
	v_mad_u64_u32 v[4:5], s[6:7], s8, v2, v[4:5]
	v_mov_b32_e32 v3, 0
	s_mul_i32 s6, s9, s18
	v_mov_b32_e32 v2, s26
	v_add_u32_e32 v5, s6, v5
	v_mad_u64_u32 v[2:3], s[6:7], v4, s48, v[2:3]
	v_mov_b32_e32 v4, v3
	v_mad_u64_u32 v[4:5], s[6:7], v5, s48, v[4:5]
	v_mov_b32_e32 v3, v4
	v_lshlrev_b64 v[2:3], 2, v[2:3]
	v_mov_b32_e32 v5, s47
	v_add_co_u32_e32 v4, vcc, s46, v2
	v_addc_co_u32_e32 v5, vcc, v5, v3, vcc
	global_store_dword v[4:5], v19, off
	v_mov_b32_e32 v4, s45
	v_add_co_u32_e32 v2, vcc, s44, v2
	v_addc_co_u32_e32 v3, vcc, v4, v3, vcc
	global_store_dword v[2:3], v6, off
.LBB656_211:
	s_or_b64 exec, exec, s[4:5]
	v_lshl_or_b32 v30, v41, 9, v18
	s_waitcnt lgkmcnt(0)
	s_barrier
	s_load_dword s4, s[42:43], 0x0
	ds_read_b128 v[2:5], v30
	ds_read_b128 v[6:9], v30 offset:16
	ds_read_b128 v[10:13], v30 offset:2048
	;; [unrolled: 1-line block ×7, first 2 shown]
	v_mov_b32_e32 v35, 0x80
	v_mov_b32_e32 v54, 0x140
	s_mov_b64 s[10:11], -1
	s_waitcnt lgkmcnt(0)
	s_mov_b32 s5, s4
	s_mov_b32 s6, s4
	;; [unrolled: 1-line block ×3, first 2 shown]
	s_movk_i32 s9, 0x80
	s_movk_i32 s19, 0x7f
	s_mov_b32 s20, 0xffffff
	v_mov_b32_e32 v55, 0
	v_bfrev_b32_e32 v56, 60
	s_branch .LBB656_215
.LBB656_212:                            ;   in Loop: Header=BB656_215 Depth=1
	s_or_b64 exec, exec, s[16:17]
.LBB656_213:                            ;   in Loop: Header=BB656_215 Depth=1
	s_or_b64 exec, exec, s[14:15]
.LBB656_214:                            ;   in Loop: Header=BB656_215 Depth=1
	s_or_b64 exec, exec, s[12:13]
	v_cvt_pkrtz_f16_f32 v60, v46, v51
	v_cvt_pkrtz_f16_f32 v61, v44, v57
	s_xor_b64 s[12:13], s[10:11], -1
	s_mov_b64 s[10:11], 0
	v_mov_b32_e32 v46, v48
	v_mfma_f32_16x16x16f16 v[60:63], v[60:61], v[30:31], v[34:37]
	v_mov_b32_e32 v51, v50
	s_and_b64 vcc, exec, s[12:13]
	s_nop 4
	v_cvt_pkrtz_f16_f32 v36, v52, v58
	v_cvt_pkrtz_f16_f32 v37, v42, v59
	v_mov_b32_e32 v35, v47
	v_mov_b32_e32 v52, v49
	v_mfma_f32_16x16x16f16 v[58:61], v[36:37], v[32:33], v[60:63]
	s_nop 7
	s_nop 2
	v_pk_mul_f32 v[58:59], v[58:59], s[4:5]
	v_pk_mul_f32 v[36:37], v[60:61], s[6:7]
	v_cvt_f16_f32_e32 v34, v58
	v_cvt_f16_f32_e32 v38, v59
	;; [unrolled: 1-line block ×4, first 2 shown]
	v_pack_b32_f16 v34, v34, v38
	v_pack_b32_f16 v36, v36, v37
	buffer_store_dword v34, v54, s[0:3], 0 offen
	buffer_store_dword v36, v54, s[0:3], 0 offen offset:4
	v_mov_b32_e32 v54, 0x148
	s_cbranch_vccnz .LBB656_597
.LBB656_215:                            ; =>This Inner Loop Header: Depth=1
	buffer_load_dword v36, v35, s[0:3], 0 offen
	buffer_load_dword v34, v35, s[0:3], 0 offen offset:4
	buffer_load_dword v40, v35, s[0:3], 0 offen offset:8
	;; [unrolled: 1-line block ×3, first 2 shown]
	v_mov_b32_e32 v35, 0
	s_waitcnt vmcnt(3)
	v_cmp_ne_u16_sdwa s[14:15], v36, v55 src0_sel:BYTE_0 src1_sel:DWORD
	s_and_saveexec_b64 s[12:13], s[14:15]
	s_cbranch_execz .LBB656_221
; %bb.216:                              ;   in Loop: Header=BB656_215 Depth=1
	v_cmp_ne_u16_sdwa s[16:17], v36, s9 src0_sel:BYTE_0 src1_sel:DWORD
	v_bfrev_b32_e32 v35, 1
	s_and_saveexec_b64 s[14:15], s[16:17]
	s_cbranch_execz .LBB656_220
; %bb.217:                              ;   in Loop: Header=BB656_215 Depth=1
	v_and_b32_e32 v37, 0x7f, v36
	v_cmp_ne_u32_e32 vcc, s19, v37
	v_mov_b32_e32 v35, 0x7f800001
	s_and_saveexec_b64 s[16:17], vcc
	s_cbranch_execz .LBB656_219
; %bb.218:                              ;   in Loop: Header=BB656_215 Depth=1
	v_and_b32_e32 v35, 7, v36
	v_ffbh_u32_e32 v44, v35
	v_min_u32_e32 v44, 32, v44
	v_subrev_u32_e32 v57, 28, v44
	v_lshlrev_b64 v[58:59], v57, v[36:37]
	v_lshrrev_b32_e32 v42, 3, v37
	v_sub_u32_e32 v44, 29, v44
	v_and_b32_e32 v57, 7, v58
	v_cmp_gt_u32_e32 vcc, 8, v37
	v_cndmask_b32_e32 v37, v42, v44, vcc
	v_cndmask_b32_e32 v35, v35, v57, vcc
	v_lshlrev_b32_e32 v42, 24, v36
	v_lshlrev_b32_e32 v35, 20, v35
	v_and_b32_e32 v42, 0x80000000, v42
	v_lshl_add_u32 v37, v37, 23, v56
	v_or3_b32 v35, v42, v37, v35
.LBB656_219:                            ;   in Loop: Header=BB656_215 Depth=1
	s_or_b64 exec, exec, s[16:17]
.LBB656_220:                            ;   in Loop: Header=BB656_215 Depth=1
	s_or_b64 exec, exec, s[14:15]
.LBB656_221:                            ;   in Loop: Header=BB656_215 Depth=1
	s_or_b64 exec, exec, s[12:13]
	v_lshrrev_b16_e32 v42, 8, v36
	v_cmp_ne_u16_e32 vcc, 0, v42
	v_mov_b32_e32 v37, 0
	s_and_saveexec_b64 s[12:13], vcc
	s_cbranch_execz .LBB656_227
; %bb.222:                              ;   in Loop: Header=BB656_215 Depth=1
	v_cmp_ne_u16_e32 vcc, s9, v42
	v_bfrev_b32_e32 v37, 1
	s_and_saveexec_b64 s[14:15], vcc
	s_cbranch_execz .LBB656_226
; %bb.223:                              ;   in Loop: Header=BB656_215 Depth=1
	v_and_b32_e32 v44, 0x7f, v42
	v_cmp_ne_u32_e32 vcc, s19, v44
	v_mov_b32_e32 v37, 0x7f800001
	s_and_saveexec_b64 s[16:17], vcc
	s_cbranch_execz .LBB656_225
; %bb.224:                              ;   in Loop: Header=BB656_215 Depth=1
	v_and_b32_e32 v37, 7, v42
	v_ffbh_u32_e32 v58, v37
	v_min_u32_e32 v60, 32, v58
	v_subrev_u32_e32 v58, 28, v60
	v_lshlrev_b64 v[58:59], v58, v[42:43]
	v_lshrrev_b32_e32 v57, 3, v44
	v_sub_u32_e32 v42, 29, v60
	v_and_b32_e32 v58, 7, v58
	v_cmp_gt_u32_e32 vcc, 8, v44
	v_cndmask_b32_e32 v42, v57, v42, vcc
	v_cndmask_b32_e32 v37, v37, v58, vcc
	v_lshlrev_b32_e32 v44, 16, v36
	v_lshlrev_b32_e32 v37, 20, v37
	v_and_b32_e32 v44, 0x80000000, v44
	v_lshl_add_u32 v42, v42, 23, v56
	v_or3_b32 v37, v44, v42, v37
.LBB656_225:                            ;   in Loop: Header=BB656_215 Depth=1
	s_or_b64 exec, exec, s[16:17]
.LBB656_226:                            ;   in Loop: Header=BB656_215 Depth=1
	s_or_b64 exec, exec, s[14:15]
.LBB656_227:                            ;   in Loop: Header=BB656_215 Depth=1
	s_or_b64 exec, exec, s[12:13]
	v_lshrrev_b32_e32 v42, 16, v36
	v_cmp_ne_u16_sdwa s[14:15], v42, v55 src0_sel:BYTE_0 src1_sel:DWORD
	v_mov_b32_e32 v57, 0
	v_mov_b32_e32 v44, 0
	s_and_saveexec_b64 s[12:13], s[14:15]
	s_cbranch_execz .LBB656_233
; %bb.228:                              ;   in Loop: Header=BB656_215 Depth=1
	v_cmp_ne_u16_sdwa s[16:17], v42, s9 src0_sel:BYTE_0 src1_sel:DWORD
	v_bfrev_b32_e32 v44, 1
	s_and_saveexec_b64 s[14:15], s[16:17]
	s_cbranch_execz .LBB656_232
; %bb.229:                              ;   in Loop: Header=BB656_215 Depth=1
	v_bfe_u32 v58, v36, 16, 7
	v_cmp_ne_u32_e32 vcc, s19, v58
	v_mov_b32_e32 v44, 0x7f800001
	s_and_saveexec_b64 s[16:17], vcc
	s_cbranch_execz .LBB656_231
; %bb.230:                              ;   in Loop: Header=BB656_215 Depth=1
	v_and_b32_e32 v44, 7, v42
	v_ffbh_u32_e32 v60, v44
	v_min_u32_e32 v62, 32, v60
	v_subrev_u32_e32 v60, 28, v62
	v_lshlrev_b64 v[60:61], v60, v[42:43]
	v_lshrrev_b32_e32 v59, 3, v58
	v_sub_u32_e32 v61, 29, v62
	v_and_b32_e32 v60, 7, v60
	v_cmp_gt_u32_e32 vcc, 8, v58
	v_cndmask_b32_e32 v58, v59, v61, vcc
	v_cndmask_b32_e32 v44, v44, v60, vcc
	v_lshlrev_b32_e32 v42, 24, v42
	v_lshlrev_b32_e32 v44, 20, v44
	v_and_b32_e32 v42, 0x80000000, v42
	v_lshl_add_u32 v58, v58, 23, v56
	v_or3_b32 v44, v42, v58, v44
.LBB656_231:                            ;   in Loop: Header=BB656_215 Depth=1
	s_or_b64 exec, exec, s[16:17]
.LBB656_232:                            ;   in Loop: Header=BB656_215 Depth=1
	s_or_b64 exec, exec, s[14:15]
.LBB656_233:                            ;   in Loop: Header=BB656_215 Depth=1
	s_or_b64 exec, exec, s[12:13]
	v_cmp_lt_u32_e32 vcc, s20, v36
	s_and_saveexec_b64 s[12:13], vcc
	s_cbranch_execz .LBB656_239
; %bb.234:                              ;   in Loop: Header=BB656_215 Depth=1
	v_lshrrev_b32_e32 v42, 24, v36
	v_cmp_ne_u32_e32 vcc, s9, v42
	v_bfrev_b32_e32 v57, 1
	s_and_saveexec_b64 s[14:15], vcc
	s_cbranch_execz .LBB656_238
; %bb.235:                              ;   in Loop: Header=BB656_215 Depth=1
	v_bfe_u32 v36, v36, 24, 7
	v_cmp_ne_u32_e32 vcc, s19, v36
	v_mov_b32_e32 v57, 0x7f800001
	s_and_saveexec_b64 s[16:17], vcc
	s_cbranch_execz .LBB656_237
; %bb.236:                              ;   in Loop: Header=BB656_215 Depth=1
	v_and_b32_e32 v57, 7, v42
	v_ffbh_u32_e32 v58, v57
	v_min_u32_e32 v61, 32, v58
	v_subrev_u32_e32 v58, 28, v61
	v_lshlrev_b64 v[58:59], v58, v[42:43]
	v_lshrrev_b32_e32 v60, 3, v36
	v_sub_u32_e32 v59, 29, v61
	v_and_b32_e32 v58, 7, v58
	v_cmp_gt_u32_e32 vcc, 8, v36
	v_cndmask_b32_e32 v36, v60, v59, vcc
	v_cndmask_b32_e32 v57, v57, v58, vcc
	v_lshlrev_b32_e32 v42, 24, v42
	v_lshlrev_b32_e32 v57, 20, v57
	v_and_b32_e32 v42, 0x80000000, v42
	v_lshl_add_u32 v36, v36, 23, v56
	v_or3_b32 v57, v42, v36, v57
.LBB656_237:                            ;   in Loop: Header=BB656_215 Depth=1
	s_or_b64 exec, exec, s[16:17]
.LBB656_238:                            ;   in Loop: Header=BB656_215 Depth=1
	s_or_b64 exec, exec, s[14:15]
.LBB656_239:                            ;   in Loop: Header=BB656_215 Depth=1
	s_or_b64 exec, exec, s[12:13]
	s_waitcnt vmcnt(2)
	v_cmp_ne_u16_sdwa s[14:15], v34, v55 src0_sel:BYTE_0 src1_sel:DWORD
	v_mov_b32_e32 v42, 0
	v_mov_b32_e32 v58, 0
	s_and_saveexec_b64 s[12:13], s[14:15]
	s_cbranch_execz .LBB656_245
; %bb.240:                              ;   in Loop: Header=BB656_215 Depth=1
	v_cmp_ne_u16_sdwa s[16:17], v34, s9 src0_sel:BYTE_0 src1_sel:DWORD
	v_bfrev_b32_e32 v58, 1
	s_and_saveexec_b64 s[14:15], s[16:17]
	s_cbranch_execz .LBB656_244
; %bb.241:                              ;   in Loop: Header=BB656_215 Depth=1
	v_and_b32_e32 v36, 0x7f, v34
	v_cmp_ne_u32_e32 vcc, s19, v36
	v_mov_b32_e32 v58, 0x7f800001
	s_and_saveexec_b64 s[16:17], vcc
	s_cbranch_execz .LBB656_243
; %bb.242:                              ;   in Loop: Header=BB656_215 Depth=1
	v_and_b32_e32 v60, 7, v34
	v_ffbh_u32_e32 v58, v60
	v_min_u32_e32 v62, 32, v58
	v_subrev_u32_e32 v58, 28, v62
	v_lshlrev_b64 v[58:59], v58, v[34:35]
	v_lshrrev_b32_e32 v61, 3, v36
	v_sub_u32_e32 v59, 29, v62
	v_and_b32_e32 v58, 7, v58
	v_cmp_gt_u32_e32 vcc, 8, v36
	v_cndmask_b32_e32 v36, v61, v59, vcc
	v_cndmask_b32_e32 v58, v60, v58, vcc
	v_lshlrev_b32_e32 v59, 24, v34
	v_lshlrev_b32_e32 v58, 20, v58
	v_and_b32_e32 v59, 0x80000000, v59
	v_lshl_add_u32 v36, v36, 23, v56
	v_or3_b32 v58, v59, v36, v58
.LBB656_243:                            ;   in Loop: Header=BB656_215 Depth=1
	s_or_b64 exec, exec, s[16:17]
.LBB656_244:                            ;   in Loop: Header=BB656_215 Depth=1
	s_or_b64 exec, exec, s[14:15]
.LBB656_245:                            ;   in Loop: Header=BB656_215 Depth=1
	s_or_b64 exec, exec, s[12:13]
	v_lshrrev_b16_e32 v36, 8, v34
	v_cmp_ne_u16_e32 vcc, 0, v36
	s_and_saveexec_b64 s[12:13], vcc
	s_cbranch_execz .LBB656_251
; %bb.246:                              ;   in Loop: Header=BB656_215 Depth=1
	v_cmp_ne_u16_e32 vcc, s9, v36
	v_bfrev_b32_e32 v42, 1
	s_and_saveexec_b64 s[14:15], vcc
	s_cbranch_execz .LBB656_250
; %bb.247:                              ;   in Loop: Header=BB656_215 Depth=1
	v_and_b32_e32 v59, 0x7f, v36
	v_cmp_ne_u32_e32 vcc, s19, v59
	v_mov_b32_e32 v42, 0x7f800001
	s_and_saveexec_b64 s[16:17], vcc
	s_cbranch_execz .LBB656_249
; %bb.248:                              ;   in Loop: Header=BB656_215 Depth=1
	v_and_b32_e32 v42, 7, v36
	v_ffbh_u32_e32 v60, v42
	v_min_u32_e32 v63, 32, v60
	v_subrev_u32_e32 v60, 28, v63
	v_lshlrev_b64 v[60:61], v60, v[36:37]
	v_lshrrev_b32_e32 v62, 3, v59
	v_sub_u32_e32 v36, 29, v63
	v_and_b32_e32 v60, 7, v60
	v_cmp_gt_u32_e32 vcc, 8, v59
	v_cndmask_b32_e32 v36, v62, v36, vcc
	v_cndmask_b32_e32 v42, v42, v60, vcc
	v_lshlrev_b32_e32 v59, 16, v34
	v_lshlrev_b32_e32 v42, 20, v42
	v_and_b32_e32 v59, 0x80000000, v59
	v_lshl_add_u32 v36, v36, 23, v56
	v_or3_b32 v42, v59, v36, v42
.LBB656_249:                            ;   in Loop: Header=BB656_215 Depth=1
	s_or_b64 exec, exec, s[16:17]
.LBB656_250:                            ;   in Loop: Header=BB656_215 Depth=1
	s_or_b64 exec, exec, s[14:15]
.LBB656_251:                            ;   in Loop: Header=BB656_215 Depth=1
	s_or_b64 exec, exec, s[12:13]
	v_lshrrev_b32_e32 v36, 16, v34
	v_cmp_ne_u16_sdwa s[14:15], v36, v55 src0_sel:BYTE_0 src1_sel:DWORD
	v_mov_b32_e32 v60, 0
	v_mov_b32_e32 v59, 0
	s_and_saveexec_b64 s[12:13], s[14:15]
	s_cbranch_execz .LBB656_257
; %bb.252:                              ;   in Loop: Header=BB656_215 Depth=1
	v_cmp_ne_u16_sdwa s[16:17], v36, s9 src0_sel:BYTE_0 src1_sel:DWORD
	v_bfrev_b32_e32 v59, 1
	s_and_saveexec_b64 s[14:15], s[16:17]
	s_cbranch_execz .LBB656_256
; %bb.253:                              ;   in Loop: Header=BB656_215 Depth=1
	v_bfe_u32 v61, v34, 16, 7
	v_cmp_ne_u32_e32 vcc, s19, v61
	v_mov_b32_e32 v59, 0x7f800001
	s_and_saveexec_b64 s[16:17], vcc
	s_cbranch_execz .LBB656_255
; %bb.254:                              ;   in Loop: Header=BB656_215 Depth=1
	v_and_b32_e32 v59, 7, v36
	v_ffbh_u32_e32 v62, v59
	v_min_u32_e32 v65, 32, v62
	v_subrev_u32_e32 v62, 28, v65
	v_lshlrev_b64 v[62:63], v62, v[36:37]
	v_lshrrev_b32_e32 v64, 3, v61
	v_sub_u32_e32 v63, 29, v65
	v_and_b32_e32 v62, 7, v62
	v_cmp_gt_u32_e32 vcc, 8, v61
	v_cndmask_b32_e32 v61, v64, v63, vcc
	v_cndmask_b32_e32 v59, v59, v62, vcc
	v_lshlrev_b32_e32 v36, 24, v36
	v_lshlrev_b32_e32 v59, 20, v59
	v_and_b32_e32 v36, 0x80000000, v36
	v_lshl_add_u32 v61, v61, 23, v56
	v_or3_b32 v59, v36, v61, v59
.LBB656_255:                            ;   in Loop: Header=BB656_215 Depth=1
	s_or_b64 exec, exec, s[16:17]
.LBB656_256:                            ;   in Loop: Header=BB656_215 Depth=1
	s_or_b64 exec, exec, s[14:15]
.LBB656_257:                            ;   in Loop: Header=BB656_215 Depth=1
	s_or_b64 exec, exec, s[12:13]
	v_cmp_lt_u32_e32 vcc, s20, v34
	s_and_saveexec_b64 s[12:13], vcc
	s_cbranch_execz .LBB656_263
; %bb.258:                              ;   in Loop: Header=BB656_215 Depth=1
	v_lshrrev_b32_e32 v36, 24, v34
	v_cmp_ne_u32_e32 vcc, s9, v36
	v_bfrev_b32_e32 v60, 1
	s_and_saveexec_b64 s[14:15], vcc
	s_cbranch_execz .LBB656_262
; %bb.259:                              ;   in Loop: Header=BB656_215 Depth=1
	v_bfe_u32 v34, v34, 24, 7
	v_cmp_ne_u32_e32 vcc, s19, v34
	v_mov_b32_e32 v60, 0x7f800001
	s_and_saveexec_b64 s[16:17], vcc
	s_cbranch_execz .LBB656_261
; %bb.260:                              ;   in Loop: Header=BB656_215 Depth=1
	v_and_b32_e32 v62, 7, v36
	v_ffbh_u32_e32 v60, v62
	v_min_u32_e32 v64, 32, v60
	v_subrev_u32_e32 v60, 28, v64
	v_lshlrev_b64 v[60:61], v60, v[36:37]
	v_lshrrev_b32_e32 v63, 3, v34
	v_sub_u32_e32 v61, 29, v64
	v_and_b32_e32 v60, 7, v60
	v_cmp_gt_u32_e32 vcc, 8, v34
	v_cndmask_b32_e32 v34, v63, v61, vcc
	v_cndmask_b32_e32 v60, v62, v60, vcc
	v_lshlrev_b32_e32 v36, 24, v36
	v_lshlrev_b32_e32 v60, 20, v60
	v_and_b32_e32 v36, 0x80000000, v36
	v_lshl_add_u32 v34, v34, 23, v56
	v_or3_b32 v60, v36, v34, v60
.LBB656_261:                            ;   in Loop: Header=BB656_215 Depth=1
	s_or_b64 exec, exec, s[16:17]
.LBB656_262:                            ;   in Loop: Header=BB656_215 Depth=1
	s_or_b64 exec, exec, s[14:15]
.LBB656_263:                            ;   in Loop: Header=BB656_215 Depth=1
	s_or_b64 exec, exec, s[12:13]
	v_cvt_pkrtz_f16_f32 v34, v35, v37
	v_cvt_pkrtz_f16_f32 v35, v44, v57
	;; [unrolled: 1-line block ×4, first 2 shown]
	v_mov_b32_e32 v44, 0
	v_mfma_f32_16x16x16f16 v[34:37], v[34:35], v[2:3], 0
	s_waitcnt vmcnt(1)
	v_cmp_ne_u16_sdwa s[14:15], v40, v55 src0_sel:BYTE_0 src1_sel:DWORD
	v_mov_b32_e32 v58, 0
	v_mfma_f32_16x16x16f16 v[34:37], v[62:63], v[4:5], v[34:37]
	s_and_saveexec_b64 s[12:13], s[14:15]
	s_cbranch_execz .LBB656_269
; %bb.264:                              ;   in Loop: Header=BB656_215 Depth=1
	v_cmp_ne_u16_sdwa s[16:17], v40, s9 src0_sel:BYTE_0 src1_sel:DWORD
	v_bfrev_b32_e32 v58, 1
	s_and_saveexec_b64 s[14:15], s[16:17]
	s_cbranch_execz .LBB656_268
; %bb.265:                              ;   in Loop: Header=BB656_215 Depth=1
	v_and_b32_e32 v42, 0x7f, v40
	v_cmp_ne_u32_e32 vcc, s19, v42
	v_mov_b32_e32 v58, 0x7f800001
	s_and_saveexec_b64 s[16:17], vcc
	s_cbranch_execz .LBB656_267
; %bb.266:                              ;   in Loop: Header=BB656_215 Depth=1
	v_and_b32_e32 v57, 7, v40
	v_ffbh_u32_e32 v58, v57
	v_min_u32_e32 v61, 32, v58
	v_subrev_u32_e32 v58, 28, v61
	v_lshlrev_b64 v[58:59], v58, v[40:41]
	v_lshrrev_b32_e32 v60, 3, v42
	v_sub_u32_e32 v59, 29, v61
	v_and_b32_e32 v58, 7, v58
	v_cmp_gt_u32_e32 vcc, 8, v42
	v_cndmask_b32_e32 v42, v60, v59, vcc
	v_cndmask_b32_e32 v57, v57, v58, vcc
	v_lshlrev_b32_e32 v58, 24, v40
	v_lshlrev_b32_e32 v57, 20, v57
	v_and_b32_e32 v58, 0x80000000, v58
	v_lshl_add_u32 v42, v42, 23, v56
	v_or3_b32 v58, v58, v42, v57
.LBB656_267:                            ;   in Loop: Header=BB656_215 Depth=1
	s_or_b64 exec, exec, s[16:17]
.LBB656_268:                            ;   in Loop: Header=BB656_215 Depth=1
	s_or_b64 exec, exec, s[14:15]
.LBB656_269:                            ;   in Loop: Header=BB656_215 Depth=1
	s_or_b64 exec, exec, s[12:13]
	v_lshrrev_b16_e32 v42, 8, v40
	v_cmp_ne_u16_e32 vcc, 0, v42
	v_mov_b32_e32 v59, 0
	s_and_saveexec_b64 s[12:13], vcc
	s_cbranch_execz .LBB656_275
; %bb.270:                              ;   in Loop: Header=BB656_215 Depth=1
	v_cmp_ne_u16_e32 vcc, s9, v42
	v_bfrev_b32_e32 v59, 1
	s_and_saveexec_b64 s[14:15], vcc
	s_cbranch_execz .LBB656_274
; %bb.271:                              ;   in Loop: Header=BB656_215 Depth=1
	v_and_b32_e32 v57, 0x7f, v42
	v_cmp_ne_u32_e32 vcc, s19, v57
	v_mov_b32_e32 v59, 0x7f800001
	s_and_saveexec_b64 s[16:17], vcc
	s_cbranch_execz .LBB656_273
; %bb.272:                              ;   in Loop: Header=BB656_215 Depth=1
	v_and_b32_e32 v59, 7, v42
	v_ffbh_u32_e32 v60, v59
	v_min_u32_e32 v63, 32, v60
	v_subrev_u32_e32 v60, 28, v63
	v_lshlrev_b64 v[60:61], v60, v[42:43]
	v_lshrrev_b32_e32 v62, 3, v57
	v_sub_u32_e32 v42, 29, v63
	v_and_b32_e32 v60, 7, v60
	v_cmp_gt_u32_e32 vcc, 8, v57
	v_cndmask_b32_e32 v42, v62, v42, vcc
	v_cndmask_b32_e32 v57, v59, v60, vcc
	v_lshlrev_b32_e32 v59, 16, v40
	v_lshlrev_b32_e32 v57, 20, v57
	v_and_b32_e32 v59, 0x80000000, v59
	v_lshl_add_u32 v42, v42, 23, v56
	v_or3_b32 v59, v59, v42, v57
.LBB656_273:                            ;   in Loop: Header=BB656_215 Depth=1
	s_or_b64 exec, exec, s[16:17]
.LBB656_274:                            ;   in Loop: Header=BB656_215 Depth=1
	s_or_b64 exec, exec, s[14:15]
.LBB656_275:                            ;   in Loop: Header=BB656_215 Depth=1
	s_or_b64 exec, exec, s[12:13]
	v_lshrrev_b32_e32 v42, 16, v40
	v_cmp_ne_u16_sdwa s[14:15], v42, v55 src0_sel:BYTE_0 src1_sel:DWORD
	s_and_saveexec_b64 s[12:13], s[14:15]
	s_cbranch_execz .LBB656_281
; %bb.276:                              ;   in Loop: Header=BB656_215 Depth=1
	v_cmp_ne_u16_sdwa s[16:17], v42, s9 src0_sel:BYTE_0 src1_sel:DWORD
	v_bfrev_b32_e32 v44, 1
	s_and_saveexec_b64 s[14:15], s[16:17]
	s_cbranch_execz .LBB656_280
; %bb.277:                              ;   in Loop: Header=BB656_215 Depth=1
	v_bfe_u32 v57, v40, 16, 7
	v_cmp_ne_u32_e32 vcc, s19, v57
	v_mov_b32_e32 v44, 0x7f800001
	s_and_saveexec_b64 s[16:17], vcc
	s_cbranch_execz .LBB656_279
; %bb.278:                              ;   in Loop: Header=BB656_215 Depth=1
	v_and_b32_e32 v44, 7, v42
	v_ffbh_u32_e32 v60, v44
	v_min_u32_e32 v63, 32, v60
	v_subrev_u32_e32 v60, 28, v63
	v_lshlrev_b64 v[60:61], v60, v[42:43]
	v_lshrrev_b32_e32 v62, 3, v57
	v_sub_u32_e32 v61, 29, v63
	v_and_b32_e32 v60, 7, v60
	v_cmp_gt_u32_e32 vcc, 8, v57
	v_cndmask_b32_e32 v57, v62, v61, vcc
	v_cndmask_b32_e32 v44, v44, v60, vcc
	v_lshlrev_b32_e32 v42, 24, v42
	v_lshlrev_b32_e32 v44, 20, v44
	v_and_b32_e32 v42, 0x80000000, v42
	v_lshl_add_u32 v57, v57, 23, v56
	v_or3_b32 v44, v42, v57, v44
.LBB656_279:                            ;   in Loop: Header=BB656_215 Depth=1
	s_or_b64 exec, exec, s[16:17]
.LBB656_280:                            ;   in Loop: Header=BB656_215 Depth=1
	s_or_b64 exec, exec, s[14:15]
.LBB656_281:                            ;   in Loop: Header=BB656_215 Depth=1
	s_or_b64 exec, exec, s[12:13]
	v_cmp_lt_u32_e32 vcc, s20, v40
	v_mov_b32_e32 v60, 0
	v_mov_b32_e32 v61, 0
	s_and_saveexec_b64 s[12:13], vcc
	s_cbranch_execz .LBB656_287
; %bb.282:                              ;   in Loop: Header=BB656_215 Depth=1
	v_lshrrev_b32_e32 v42, 24, v40
	v_cmp_ne_u32_e32 vcc, s9, v42
	v_bfrev_b32_e32 v61, 1
	s_and_saveexec_b64 s[14:15], vcc
	s_cbranch_execz .LBB656_286
; %bb.283:                              ;   in Loop: Header=BB656_215 Depth=1
	v_bfe_u32 v40, v40, 24, 7
	v_cmp_ne_u32_e32 vcc, s19, v40
	v_mov_b32_e32 v61, 0x7f800001
	s_and_saveexec_b64 s[16:17], vcc
	s_cbranch_execz .LBB656_285
; %bb.284:                              ;   in Loop: Header=BB656_215 Depth=1
	v_and_b32_e32 v57, 7, v42
	v_ffbh_u32_e32 v62, v57
	v_min_u32_e32 v64, 32, v62
	v_subrev_u32_e32 v62, 28, v64
	v_lshlrev_b64 v[62:63], v62, v[42:43]
	v_lshrrev_b32_e32 v61, 3, v40
	v_sub_u32_e32 v63, 29, v64
	v_and_b32_e32 v62, 7, v62
	v_cmp_gt_u32_e32 vcc, 8, v40
	v_cndmask_b32_e32 v40, v61, v63, vcc
	v_cndmask_b32_e32 v57, v57, v62, vcc
	v_lshlrev_b32_e32 v42, 24, v42
	v_lshlrev_b32_e32 v57, 20, v57
	v_and_b32_e32 v42, 0x80000000, v42
	v_lshl_add_u32 v40, v40, 23, v56
	v_or3_b32 v61, v42, v40, v57
.LBB656_285:                            ;   in Loop: Header=BB656_215 Depth=1
	s_or_b64 exec, exec, s[16:17]
.LBB656_286:                            ;   in Loop: Header=BB656_215 Depth=1
	s_or_b64 exec, exec, s[14:15]
.LBB656_287:                            ;   in Loop: Header=BB656_215 Depth=1
	s_or_b64 exec, exec, s[12:13]
	s_waitcnt vmcnt(0)
	v_cmp_ne_u16_sdwa s[14:15], v38, v55 src0_sel:BYTE_0 src1_sel:DWORD
	s_and_saveexec_b64 s[12:13], s[14:15]
	s_cbranch_execz .LBB656_293
; %bb.288:                              ;   in Loop: Header=BB656_215 Depth=1
	v_cmp_ne_u16_sdwa s[16:17], v38, s9 src0_sel:BYTE_0 src1_sel:DWORD
	v_bfrev_b32_e32 v60, 1
	s_and_saveexec_b64 s[14:15], s[16:17]
	s_cbranch_execz .LBB656_292
; %bb.289:                              ;   in Loop: Header=BB656_215 Depth=1
	v_and_b32_e32 v40, 0x7f, v38
	v_cmp_ne_u32_e32 vcc, s19, v40
	v_mov_b32_e32 v60, 0x7f800001
	s_and_saveexec_b64 s[16:17], vcc
	s_cbranch_execz .LBB656_291
; %bb.290:                              ;   in Loop: Header=BB656_215 Depth=1
	v_and_b32_e32 v42, 7, v38
	v_ffbh_u32_e32 v60, v42
	v_min_u32_e32 v60, 32, v60
	v_subrev_u32_e32 v62, 28, v60
	v_lshlrev_b64 v[62:63], v62, v[38:39]
	v_lshrrev_b32_e32 v57, 3, v40
	v_sub_u32_e32 v60, 29, v60
	v_and_b32_e32 v62, 7, v62
	v_cmp_gt_u32_e32 vcc, 8, v40
	v_cndmask_b32_e32 v40, v57, v60, vcc
	v_cndmask_b32_e32 v42, v42, v62, vcc
	v_lshlrev_b32_e32 v57, 24, v38
	v_lshlrev_b32_e32 v42, 20, v42
	v_and_b32_e32 v57, 0x80000000, v57
	v_lshl_add_u32 v40, v40, 23, v56
	v_or3_b32 v60, v57, v40, v42
.LBB656_291:                            ;   in Loop: Header=BB656_215 Depth=1
	s_or_b64 exec, exec, s[16:17]
.LBB656_292:                            ;   in Loop: Header=BB656_215 Depth=1
	s_or_b64 exec, exec, s[14:15]
.LBB656_293:                            ;   in Loop: Header=BB656_215 Depth=1
	s_or_b64 exec, exec, s[12:13]
	v_lshrrev_b16_e32 v40, 8, v38
	v_cmp_ne_u16_e32 vcc, 0, v40
	v_mov_b32_e32 v62, 0
	v_mov_b32_e32 v63, 0
	s_and_saveexec_b64 s[12:13], vcc
	s_cbranch_execz .LBB656_299
; %bb.294:                              ;   in Loop: Header=BB656_215 Depth=1
	v_cmp_ne_u16_e32 vcc, s9, v40
	v_bfrev_b32_e32 v63, 1
	s_and_saveexec_b64 s[14:15], vcc
	s_cbranch_execz .LBB656_298
; %bb.295:                              ;   in Loop: Header=BB656_215 Depth=1
	v_and_b32_e32 v42, 0x7f, v40
	v_cmp_ne_u32_e32 vcc, s19, v42
	v_mov_b32_e32 v63, 0x7f800001
	s_and_saveexec_b64 s[16:17], vcc
	s_cbranch_execz .LBB656_297
; %bb.296:                              ;   in Loop: Header=BB656_215 Depth=1
	v_and_b32_e32 v57, 7, v40
	v_ffbh_u32_e32 v64, v57
	v_min_u32_e32 v66, 32, v64
	v_subrev_u32_e32 v64, 28, v66
	v_lshlrev_b64 v[64:65], v64, v[40:41]
	v_lshrrev_b32_e32 v63, 3, v42
	v_sub_u32_e32 v40, 29, v66
	v_and_b32_e32 v64, 7, v64
	v_cmp_gt_u32_e32 vcc, 8, v42
	v_cndmask_b32_e32 v40, v63, v40, vcc
	v_cndmask_b32_e32 v42, v57, v64, vcc
	v_lshlrev_b32_e32 v57, 16, v38
	v_lshlrev_b32_e32 v42, 20, v42
	v_and_b32_e32 v57, 0x80000000, v57
	v_lshl_add_u32 v40, v40, 23, v56
	v_or3_b32 v63, v57, v40, v42
.LBB656_297:                            ;   in Loop: Header=BB656_215 Depth=1
	s_or_b64 exec, exec, s[16:17]
.LBB656_298:                            ;   in Loop: Header=BB656_215 Depth=1
	s_or_b64 exec, exec, s[14:15]
.LBB656_299:                            ;   in Loop: Header=BB656_215 Depth=1
	s_or_b64 exec, exec, s[12:13]
	v_lshrrev_b32_e32 v40, 16, v38
	v_cmp_ne_u16_sdwa s[14:15], v40, v55 src0_sel:BYTE_0 src1_sel:DWORD
	s_and_saveexec_b64 s[12:13], s[14:15]
	s_cbranch_execz .LBB656_305
; %bb.300:                              ;   in Loop: Header=BB656_215 Depth=1
	v_cmp_ne_u16_sdwa s[16:17], v40, s9 src0_sel:BYTE_0 src1_sel:DWORD
	v_bfrev_b32_e32 v62, 1
	s_and_saveexec_b64 s[14:15], s[16:17]
	s_cbranch_execz .LBB656_304
; %bb.301:                              ;   in Loop: Header=BB656_215 Depth=1
	v_bfe_u32 v42, v38, 16, 7
	v_cmp_ne_u32_e32 vcc, s19, v42
	v_mov_b32_e32 v62, 0x7f800001
	s_and_saveexec_b64 s[16:17], vcc
	s_cbranch_execz .LBB656_303
; %bb.302:                              ;   in Loop: Header=BB656_215 Depth=1
	v_and_b32_e32 v57, 7, v40
	v_ffbh_u32_e32 v64, v57
	v_min_u32_e32 v66, 32, v64
	v_subrev_u32_e32 v64, 28, v66
	v_lshlrev_b64 v[64:65], v64, v[40:41]
	v_lshrrev_b32_e32 v62, 3, v42
	v_sub_u32_e32 v65, 29, v66
	v_and_b32_e32 v64, 7, v64
	v_cmp_gt_u32_e32 vcc, 8, v42
	v_cndmask_b32_e32 v42, v62, v65, vcc
	v_cndmask_b32_e32 v57, v57, v64, vcc
	v_lshlrev_b32_e32 v40, 24, v40
	v_lshlrev_b32_e32 v57, 20, v57
	v_and_b32_e32 v40, 0x80000000, v40
	v_lshl_add_u32 v42, v42, 23, v56
	v_or3_b32 v62, v40, v42, v57
.LBB656_303:                            ;   in Loop: Header=BB656_215 Depth=1
	s_or_b64 exec, exec, s[16:17]
.LBB656_304:                            ;   in Loop: Header=BB656_215 Depth=1
	s_or_b64 exec, exec, s[14:15]
.LBB656_305:                            ;   in Loop: Header=BB656_215 Depth=1
	s_or_b64 exec, exec, s[12:13]
	v_cmp_lt_u32_e32 vcc, s20, v38
	v_mov_b32_e32 v57, 0
	v_mov_b32_e32 v64, 0
	s_and_saveexec_b64 s[12:13], vcc
	s_cbranch_execz .LBB656_311
; %bb.306:                              ;   in Loop: Header=BB656_215 Depth=1
	v_lshrrev_b32_e32 v40, 24, v38
	v_cmp_ne_u32_e32 vcc, s9, v40
	v_bfrev_b32_e32 v64, 1
	s_and_saveexec_b64 s[14:15], vcc
	s_cbranch_execz .LBB656_310
; %bb.307:                              ;   in Loop: Header=BB656_215 Depth=1
	v_bfe_u32 v38, v38, 24, 7
	v_cmp_ne_u32_e32 vcc, s19, v38
	v_mov_b32_e32 v64, 0x7f800001
	s_and_saveexec_b64 s[16:17], vcc
	s_cbranch_execz .LBB656_309
; %bb.308:                              ;   in Loop: Header=BB656_215 Depth=1
	v_and_b32_e32 v42, 7, v40
	v_ffbh_u32_e32 v64, v42
	v_min_u32_e32 v67, 32, v64
	v_subrev_u32_e32 v64, 28, v67
	v_lshlrev_b64 v[64:65], v64, v[40:41]
	v_lshrrev_b32_e32 v66, 3, v38
	v_sub_u32_e32 v65, 29, v67
	v_and_b32_e32 v64, 7, v64
	v_cmp_gt_u32_e32 vcc, 8, v38
	v_cndmask_b32_e32 v38, v66, v65, vcc
	v_cndmask_b32_e32 v42, v42, v64, vcc
	v_lshlrev_b32_e32 v40, 24, v40
	v_lshlrev_b32_e32 v42, 20, v42
	v_and_b32_e32 v40, 0x80000000, v40
	v_lshl_add_u32 v38, v38, 23, v56
	v_or3_b32 v64, v40, v38, v42
.LBB656_309:                            ;   in Loop: Header=BB656_215 Depth=1
	s_or_b64 exec, exec, s[16:17]
.LBB656_310:                            ;   in Loop: Header=BB656_215 Depth=1
	s_or_b64 exec, exec, s[14:15]
.LBB656_311:                            ;   in Loop: Header=BB656_215 Depth=1
	s_or_b64 exec, exec, s[12:13]
	v_cvt_pkrtz_f16_f32 v58, v58, v59
	v_cvt_pkrtz_f16_f32 v59, v44, v61
	buffer_load_dword v44, v46, s[0:3], 0 offen
	buffer_load_dword v42, v46, s[0:3], 0 offen offset:4
	buffer_load_dword v40, v46, s[0:3], 0 offen offset:8
	;; [unrolled: 1-line block ×3, first 2 shown]
	v_mfma_f32_16x16x16f16 v[34:37], v[58:59], v[6:7], v[34:37]
	v_cvt_pkrtz_f16_f32 v58, v60, v63
	v_cvt_pkrtz_f16_f32 v59, v62, v64
	s_waitcnt vmcnt(3)
	v_cmp_ne_u16_sdwa s[14:15], v44, v55 src0_sel:BYTE_0 src1_sel:DWORD
	v_mfma_f32_16x16x16f16 v[34:37], v[58:59], v[8:9], v[34:37]
	s_and_saveexec_b64 s[12:13], s[14:15]
	s_cbranch_execz .LBB656_317
; %bb.312:                              ;   in Loop: Header=BB656_215 Depth=1
	v_cmp_ne_u16_sdwa s[16:17], v44, s9 src0_sel:BYTE_0 src1_sel:DWORD
	v_bfrev_b32_e32 v57, 1
	s_and_saveexec_b64 s[14:15], s[16:17]
	s_cbranch_execz .LBB656_316
; %bb.313:                              ;   in Loop: Header=BB656_215 Depth=1
	v_and_b32_e32 v46, 0x7f, v44
	v_cmp_ne_u32_e32 vcc, s19, v46
	v_mov_b32_e32 v57, 0x7f800001
	s_and_saveexec_b64 s[16:17], vcc
	s_cbranch_execz .LBB656_315
; %bb.314:                              ;   in Loop: Header=BB656_215 Depth=1
	v_and_b32_e32 v57, 7, v44
	v_ffbh_u32_e32 v58, v57
	v_min_u32_e32 v61, 32, v58
	v_subrev_u32_e32 v58, 28, v61
	v_lshlrev_b64 v[58:59], v58, v[44:45]
	v_lshrrev_b32_e32 v60, 3, v46
	v_sub_u32_e32 v59, 29, v61
	v_and_b32_e32 v58, 7, v58
	v_cmp_gt_u32_e32 vcc, 8, v46
	v_cndmask_b32_e32 v46, v60, v59, vcc
	v_cndmask_b32_e32 v57, v57, v58, vcc
	v_lshlrev_b32_e32 v58, 24, v44
	v_lshlrev_b32_e32 v57, 20, v57
	v_and_b32_e32 v58, 0x80000000, v58
	v_lshl_add_u32 v46, v46, 23, v56
	v_or3_b32 v57, v58, v46, v57
.LBB656_315:                            ;   in Loop: Header=BB656_215 Depth=1
	s_or_b64 exec, exec, s[16:17]
.LBB656_316:                            ;   in Loop: Header=BB656_215 Depth=1
	s_or_b64 exec, exec, s[14:15]
.LBB656_317:                            ;   in Loop: Header=BB656_215 Depth=1
	s_or_b64 exec, exec, s[12:13]
	v_lshrrev_b16_e32 v46, 8, v44
	v_cmp_ne_u16_e32 vcc, 0, v46
	v_mov_b32_e32 v58, 0
	v_mov_b32_e32 v59, 0
	s_and_saveexec_b64 s[12:13], vcc
	s_cbranch_execz .LBB656_323
; %bb.318:                              ;   in Loop: Header=BB656_215 Depth=1
	v_cmp_ne_u16_e32 vcc, s9, v46
	v_bfrev_b32_e32 v59, 1
	s_and_saveexec_b64 s[14:15], vcc
	s_cbranch_execz .LBB656_322
; %bb.319:                              ;   in Loop: Header=BB656_215 Depth=1
	v_and_b32_e32 v60, 0x7f, v46
	v_cmp_ne_u32_e32 vcc, s19, v60
	v_mov_b32_e32 v59, 0x7f800001
	s_and_saveexec_b64 s[16:17], vcc
	s_cbranch_execz .LBB656_321
; %bb.320:                              ;   in Loop: Header=BB656_215 Depth=1
	v_and_b32_e32 v59, 7, v46
	v_ffbh_u32_e32 v62, v59
	v_min_u32_e32 v64, 32, v62
	v_subrev_u32_e32 v62, 28, v64
	v_lshlrev_b64 v[62:63], v62, v[46:47]
	v_lshrrev_b32_e32 v61, 3, v60
	v_sub_u32_e32 v46, 29, v64
	v_and_b32_e32 v62, 7, v62
	v_cmp_gt_u32_e32 vcc, 8, v60
	v_cndmask_b32_e32 v46, v61, v46, vcc
	v_cndmask_b32_e32 v59, v59, v62, vcc
	v_lshlrev_b32_e32 v60, 16, v44
	v_lshlrev_b32_e32 v59, 20, v59
	v_and_b32_e32 v60, 0x80000000, v60
	v_lshl_add_u32 v46, v46, 23, v56
	v_or3_b32 v59, v60, v46, v59
.LBB656_321:                            ;   in Loop: Header=BB656_215 Depth=1
	s_or_b64 exec, exec, s[16:17]
.LBB656_322:                            ;   in Loop: Header=BB656_215 Depth=1
	s_or_b64 exec, exec, s[14:15]
.LBB656_323:                            ;   in Loop: Header=BB656_215 Depth=1
	s_or_b64 exec, exec, s[12:13]
	v_lshrrev_b32_e32 v46, 16, v44
	v_cmp_ne_u16_sdwa s[14:15], v46, v55 src0_sel:BYTE_0 src1_sel:DWORD
	s_and_saveexec_b64 s[12:13], s[14:15]
	s_cbranch_execz .LBB656_329
; %bb.324:                              ;   in Loop: Header=BB656_215 Depth=1
	v_cmp_ne_u16_sdwa s[16:17], v46, s9 src0_sel:BYTE_0 src1_sel:DWORD
	v_bfrev_b32_e32 v58, 1
	s_and_saveexec_b64 s[14:15], s[16:17]
	s_cbranch_execz .LBB656_328
; %bb.325:                              ;   in Loop: Header=BB656_215 Depth=1
	v_bfe_u32 v60, v44, 16, 7
	v_cmp_ne_u32_e32 vcc, s19, v60
	v_mov_b32_e32 v58, 0x7f800001
	s_and_saveexec_b64 s[16:17], vcc
	s_cbranch_execz .LBB656_327
; %bb.326:                              ;   in Loop: Header=BB656_215 Depth=1
	v_and_b32_e32 v58, 7, v46
	v_ffbh_u32_e32 v62, v58
	v_min_u32_e32 v64, 32, v62
	v_subrev_u32_e32 v62, 28, v64
	v_lshlrev_b64 v[62:63], v62, v[46:47]
	v_lshrrev_b32_e32 v61, 3, v60
	v_sub_u32_e32 v63, 29, v64
	v_and_b32_e32 v62, 7, v62
	v_cmp_gt_u32_e32 vcc, 8, v60
	v_cndmask_b32_e32 v60, v61, v63, vcc
	v_cndmask_b32_e32 v58, v58, v62, vcc
	v_lshlrev_b32_e32 v46, 24, v46
	v_lshlrev_b32_e32 v58, 20, v58
	v_and_b32_e32 v46, 0x80000000, v46
	v_lshl_add_u32 v60, v60, 23, v56
	v_or3_b32 v58, v46, v60, v58
.LBB656_327:                            ;   in Loop: Header=BB656_215 Depth=1
	s_or_b64 exec, exec, s[16:17]
.LBB656_328:                            ;   in Loop: Header=BB656_215 Depth=1
	s_or_b64 exec, exec, s[14:15]
.LBB656_329:                            ;   in Loop: Header=BB656_215 Depth=1
	s_or_b64 exec, exec, s[12:13]
	v_cmp_lt_u32_e32 vcc, s20, v44
	v_mov_b32_e32 v60, 0
	v_mov_b32_e32 v61, 0
	s_and_saveexec_b64 s[12:13], vcc
	s_cbranch_execz .LBB656_335
; %bb.330:                              ;   in Loop: Header=BB656_215 Depth=1
	v_lshrrev_b32_e32 v46, 24, v44
	v_cmp_ne_u32_e32 vcc, s9, v46
	v_bfrev_b32_e32 v61, 1
	s_and_saveexec_b64 s[14:15], vcc
	s_cbranch_execz .LBB656_334
; %bb.331:                              ;   in Loop: Header=BB656_215 Depth=1
	v_bfe_u32 v44, v44, 24, 7
	v_cmp_ne_u32_e32 vcc, s19, v44
	v_mov_b32_e32 v61, 0x7f800001
	s_and_saveexec_b64 s[16:17], vcc
	s_cbranch_execz .LBB656_333
; %bb.332:                              ;   in Loop: Header=BB656_215 Depth=1
	v_and_b32_e32 v61, 7, v46
	v_ffbh_u32_e32 v62, v61
	v_min_u32_e32 v65, 32, v62
	v_subrev_u32_e32 v62, 28, v65
	v_lshlrev_b64 v[62:63], v62, v[46:47]
	v_lshrrev_b32_e32 v64, 3, v44
	v_sub_u32_e32 v63, 29, v65
	v_and_b32_e32 v62, 7, v62
	v_cmp_gt_u32_e32 vcc, 8, v44
	v_cndmask_b32_e32 v44, v64, v63, vcc
	v_cndmask_b32_e32 v61, v61, v62, vcc
	v_lshlrev_b32_e32 v46, 24, v46
	v_lshlrev_b32_e32 v61, 20, v61
	v_and_b32_e32 v46, 0x80000000, v46
	v_lshl_add_u32 v44, v44, 23, v56
	v_or3_b32 v61, v46, v44, v61
.LBB656_333:                            ;   in Loop: Header=BB656_215 Depth=1
	s_or_b64 exec, exec, s[16:17]
.LBB656_334:                            ;   in Loop: Header=BB656_215 Depth=1
	s_or_b64 exec, exec, s[14:15]
.LBB656_335:                            ;   in Loop: Header=BB656_215 Depth=1
	s_or_b64 exec, exec, s[12:13]
	s_waitcnt vmcnt(2)
	v_cmp_ne_u16_sdwa s[14:15], v42, v55 src0_sel:BYTE_0 src1_sel:DWORD
	s_and_saveexec_b64 s[12:13], s[14:15]
	s_cbranch_execz .LBB656_341
; %bb.336:                              ;   in Loop: Header=BB656_215 Depth=1
	v_cmp_ne_u16_sdwa s[16:17], v42, s9 src0_sel:BYTE_0 src1_sel:DWORD
	v_bfrev_b32_e32 v60, 1
	s_and_saveexec_b64 s[14:15], s[16:17]
	s_cbranch_execz .LBB656_340
; %bb.337:                              ;   in Loop: Header=BB656_215 Depth=1
	v_and_b32_e32 v44, 0x7f, v42
	v_cmp_ne_u32_e32 vcc, s19, v44
	v_mov_b32_e32 v60, 0x7f800001
	s_and_saveexec_b64 s[16:17], vcc
	s_cbranch_execz .LBB656_339
; %bb.338:                              ;   in Loop: Header=BB656_215 Depth=1
	v_and_b32_e32 v46, 7, v42
	v_ffbh_u32_e32 v62, v46
	v_min_u32_e32 v64, 32, v62
	v_subrev_u32_e32 v62, 28, v64
	v_lshlrev_b64 v[62:63], v62, v[42:43]
	v_lshrrev_b32_e32 v60, 3, v44
	v_sub_u32_e32 v63, 29, v64
	v_and_b32_e32 v62, 7, v62
	v_cmp_gt_u32_e32 vcc, 8, v44
	v_cndmask_b32_e32 v44, v60, v63, vcc
	v_cndmask_b32_e32 v46, v46, v62, vcc
	v_lshlrev_b32_e32 v60, 24, v42
	v_lshlrev_b32_e32 v46, 20, v46
	v_and_b32_e32 v60, 0x80000000, v60
	v_lshl_add_u32 v44, v44, 23, v56
	v_or3_b32 v60, v60, v44, v46
.LBB656_339:                            ;   in Loop: Header=BB656_215 Depth=1
	s_or_b64 exec, exec, s[16:17]
.LBB656_340:                            ;   in Loop: Header=BB656_215 Depth=1
	s_or_b64 exec, exec, s[14:15]
.LBB656_341:                            ;   in Loop: Header=BB656_215 Depth=1
	s_or_b64 exec, exec, s[12:13]
	v_lshrrev_b16_e32 v44, 8, v42
	v_cmp_ne_u16_e32 vcc, 0, v44
	v_mov_b32_e32 v62, 0
	v_mov_b32_e32 v63, 0
	s_and_saveexec_b64 s[12:13], vcc
	s_cbranch_execz .LBB656_347
; %bb.342:                              ;   in Loop: Header=BB656_215 Depth=1
	v_cmp_ne_u16_e32 vcc, s9, v44
	v_bfrev_b32_e32 v63, 1
	s_and_saveexec_b64 s[14:15], vcc
	s_cbranch_execz .LBB656_346
; %bb.343:                              ;   in Loop: Header=BB656_215 Depth=1
	v_and_b32_e32 v46, 0x7f, v44
	v_cmp_ne_u32_e32 vcc, s19, v46
	v_mov_b32_e32 v63, 0x7f800001
	s_and_saveexec_b64 s[16:17], vcc
	s_cbranch_execz .LBB656_345
; %bb.344:                              ;   in Loop: Header=BB656_215 Depth=1
	v_and_b32_e32 v63, 7, v44
	v_ffbh_u32_e32 v64, v63
	v_min_u32_e32 v67, 32, v64
	v_subrev_u32_e32 v64, 28, v67
	v_lshlrev_b64 v[64:65], v64, v[44:45]
	v_lshrrev_b32_e32 v66, 3, v46
	v_sub_u32_e32 v44, 29, v67
	v_and_b32_e32 v64, 7, v64
	v_cmp_gt_u32_e32 vcc, 8, v46
	v_cndmask_b32_e32 v44, v66, v44, vcc
	v_cndmask_b32_e32 v46, v63, v64, vcc
	v_lshlrev_b32_e32 v63, 16, v42
	v_lshlrev_b32_e32 v46, 20, v46
	v_and_b32_e32 v63, 0x80000000, v63
	v_lshl_add_u32 v44, v44, 23, v56
	v_or3_b32 v63, v63, v44, v46
.LBB656_345:                            ;   in Loop: Header=BB656_215 Depth=1
	s_or_b64 exec, exec, s[16:17]
.LBB656_346:                            ;   in Loop: Header=BB656_215 Depth=1
	s_or_b64 exec, exec, s[14:15]
.LBB656_347:                            ;   in Loop: Header=BB656_215 Depth=1
	s_or_b64 exec, exec, s[12:13]
	v_lshrrev_b32_e32 v44, 16, v42
	v_cmp_ne_u16_sdwa s[14:15], v44, v55 src0_sel:BYTE_0 src1_sel:DWORD
	s_and_saveexec_b64 s[12:13], s[14:15]
	s_cbranch_execz .LBB656_353
; %bb.348:                              ;   in Loop: Header=BB656_215 Depth=1
	v_cmp_ne_u16_sdwa s[16:17], v44, s9 src0_sel:BYTE_0 src1_sel:DWORD
	v_bfrev_b32_e32 v62, 1
	s_and_saveexec_b64 s[14:15], s[16:17]
	s_cbranch_execz .LBB656_352
; %bb.349:                              ;   in Loop: Header=BB656_215 Depth=1
	v_bfe_u32 v46, v42, 16, 7
	v_cmp_ne_u32_e32 vcc, s19, v46
	v_mov_b32_e32 v62, 0x7f800001
	s_and_saveexec_b64 s[16:17], vcc
	s_cbranch_execz .LBB656_351
; %bb.350:                              ;   in Loop: Header=BB656_215 Depth=1
	v_and_b32_e32 v62, 7, v44
	v_ffbh_u32_e32 v64, v62
	v_min_u32_e32 v67, 32, v64
	v_subrev_u32_e32 v64, 28, v67
	v_lshlrev_b64 v[64:65], v64, v[44:45]
	v_lshrrev_b32_e32 v66, 3, v46
	v_sub_u32_e32 v65, 29, v67
	v_and_b32_e32 v64, 7, v64
	v_cmp_gt_u32_e32 vcc, 8, v46
	v_cndmask_b32_e32 v46, v66, v65, vcc
	v_cndmask_b32_e32 v62, v62, v64, vcc
	v_lshlrev_b32_e32 v44, 24, v44
	v_lshlrev_b32_e32 v62, 20, v62
	v_and_b32_e32 v44, 0x80000000, v44
	v_lshl_add_u32 v46, v46, 23, v56
	v_or3_b32 v62, v44, v46, v62
.LBB656_351:                            ;   in Loop: Header=BB656_215 Depth=1
	s_or_b64 exec, exec, s[16:17]
.LBB656_352:                            ;   in Loop: Header=BB656_215 Depth=1
	s_or_b64 exec, exec, s[14:15]
.LBB656_353:                            ;   in Loop: Header=BB656_215 Depth=1
	s_or_b64 exec, exec, s[12:13]
	v_cmp_lt_u32_e32 vcc, s20, v42
	v_mov_b32_e32 v46, 0
	v_mov_b32_e32 v64, 0
	s_and_saveexec_b64 s[12:13], vcc
	s_cbranch_execz .LBB656_359
; %bb.354:                              ;   in Loop: Header=BB656_215 Depth=1
	v_lshrrev_b32_e32 v44, 24, v42
	v_cmp_ne_u32_e32 vcc, s9, v44
	v_bfrev_b32_e32 v64, 1
	s_and_saveexec_b64 s[14:15], vcc
	s_cbranch_execz .LBB656_358
; %bb.355:                              ;   in Loop: Header=BB656_215 Depth=1
	v_bfe_u32 v42, v42, 24, 7
	v_cmp_ne_u32_e32 vcc, s19, v42
	v_mov_b32_e32 v64, 0x7f800001
	s_and_saveexec_b64 s[16:17], vcc
	s_cbranch_execz .LBB656_357
; %bb.356:                              ;   in Loop: Header=BB656_215 Depth=1
	v_and_b32_e32 v66, 7, v44
	v_ffbh_u32_e32 v64, v66
	v_min_u32_e32 v68, 32, v64
	v_subrev_u32_e32 v64, 28, v68
	v_lshlrev_b64 v[64:65], v64, v[44:45]
	v_lshrrev_b32_e32 v67, 3, v42
	v_sub_u32_e32 v65, 29, v68
	v_and_b32_e32 v64, 7, v64
	v_cmp_gt_u32_e32 vcc, 8, v42
	v_cndmask_b32_e32 v42, v67, v65, vcc
	v_cndmask_b32_e32 v64, v66, v64, vcc
	v_lshlrev_b32_e32 v44, 24, v44
	v_lshlrev_b32_e32 v64, 20, v64
	v_and_b32_e32 v44, 0x80000000, v44
	v_lshl_add_u32 v42, v42, 23, v56
	v_or3_b32 v64, v44, v42, v64
.LBB656_357:                            ;   in Loop: Header=BB656_215 Depth=1
	s_or_b64 exec, exec, s[16:17]
.LBB656_358:                            ;   in Loop: Header=BB656_215 Depth=1
	s_or_b64 exec, exec, s[14:15]
.LBB656_359:                            ;   in Loop: Header=BB656_215 Depth=1
	s_or_b64 exec, exec, s[12:13]
	v_cvt_pkrtz_f16_f32 v66, v57, v59
	v_cvt_pkrtz_f16_f32 v67, v58, v61
	v_cvt_pkrtz_f16_f32 v58, v60, v63
	v_cvt_pkrtz_f16_f32 v59, v62, v64
	s_waitcnt vmcnt(1)
	v_cmp_ne_u16_sdwa s[14:15], v40, v55 src0_sel:BYTE_0 src1_sel:DWORD
	v_mfma_f32_16x16x16f16 v[34:37], v[66:67], v[10:11], v[34:37]
	v_mfma_f32_16x16x16f16 v[34:37], v[58:59], v[12:13], v[34:37]
	s_and_saveexec_b64 s[12:13], s[14:15]
	s_cbranch_execz .LBB656_365
; %bb.360:                              ;   in Loop: Header=BB656_215 Depth=1
	v_cmp_ne_u16_sdwa s[16:17], v40, s9 src0_sel:BYTE_0 src1_sel:DWORD
	v_bfrev_b32_e32 v46, 1
	s_and_saveexec_b64 s[14:15], s[16:17]
	s_cbranch_execz .LBB656_364
; %bb.361:                              ;   in Loop: Header=BB656_215 Depth=1
	v_and_b32_e32 v42, 0x7f, v40
	v_cmp_ne_u32_e32 vcc, s19, v42
	v_mov_b32_e32 v46, 0x7f800001
	s_and_saveexec_b64 s[16:17], vcc
	s_cbranch_execz .LBB656_363
; %bb.362:                              ;   in Loop: Header=BB656_215 Depth=1
	v_and_b32_e32 v44, 7, v40
	v_ffbh_u32_e32 v57, v44
	v_min_u32_e32 v57, 32, v57
	v_subrev_u32_e32 v58, 28, v57
	v_lshlrev_b64 v[58:59], v58, v[40:41]
	v_lshrrev_b32_e32 v46, 3, v42
	v_sub_u32_e32 v57, 29, v57
	v_and_b32_e32 v58, 7, v58
	v_cmp_gt_u32_e32 vcc, 8, v42
	v_cndmask_b32_e32 v42, v46, v57, vcc
	v_cndmask_b32_e32 v44, v44, v58, vcc
	v_lshlrev_b32_e32 v46, 24, v40
	v_lshlrev_b32_e32 v44, 20, v44
	v_and_b32_e32 v46, 0x80000000, v46
	v_lshl_add_u32 v42, v42, 23, v56
	v_or3_b32 v46, v46, v42, v44
.LBB656_363:                            ;   in Loop: Header=BB656_215 Depth=1
	s_or_b64 exec, exec, s[16:17]
.LBB656_364:                            ;   in Loop: Header=BB656_215 Depth=1
	s_or_b64 exec, exec, s[14:15]
.LBB656_365:                            ;   in Loop: Header=BB656_215 Depth=1
	s_or_b64 exec, exec, s[12:13]
	v_lshrrev_b16_e32 v42, 8, v40
	v_cmp_ne_u16_e32 vcc, 0, v42
	v_mov_b32_e32 v44, 0
	v_mov_b32_e32 v58, 0
	s_and_saveexec_b64 s[12:13], vcc
	s_cbranch_execz .LBB656_371
; %bb.366:                              ;   in Loop: Header=BB656_215 Depth=1
	v_cmp_ne_u16_e32 vcc, s9, v42
	v_bfrev_b32_e32 v58, 1
	s_and_saveexec_b64 s[14:15], vcc
	s_cbranch_execz .LBB656_370
; %bb.367:                              ;   in Loop: Header=BB656_215 Depth=1
	v_and_b32_e32 v57, 0x7f, v42
	v_cmp_ne_u32_e32 vcc, s19, v57
	v_mov_b32_e32 v58, 0x7f800001
	s_and_saveexec_b64 s[16:17], vcc
	s_cbranch_execz .LBB656_369
; %bb.368:                              ;   in Loop: Header=BB656_215 Depth=1
	v_and_b32_e32 v60, 7, v42
	v_ffbh_u32_e32 v58, v60
	v_min_u32_e32 v62, 32, v58
	v_subrev_u32_e32 v58, 28, v62
	v_lshlrev_b64 v[58:59], v58, v[42:43]
	v_lshrrev_b32_e32 v61, 3, v57
	v_sub_u32_e32 v42, 29, v62
	v_and_b32_e32 v58, 7, v58
	v_cmp_gt_u32_e32 vcc, 8, v57
	v_cndmask_b32_e32 v42, v61, v42, vcc
	v_cndmask_b32_e32 v57, v60, v58, vcc
	v_lshlrev_b32_e32 v58, 16, v40
	v_lshlrev_b32_e32 v57, 20, v57
	v_and_b32_e32 v58, 0x80000000, v58
	v_lshl_add_u32 v42, v42, 23, v56
	v_or3_b32 v58, v58, v42, v57
.LBB656_369:                            ;   in Loop: Header=BB656_215 Depth=1
	s_or_b64 exec, exec, s[16:17]
.LBB656_370:                            ;   in Loop: Header=BB656_215 Depth=1
	s_or_b64 exec, exec, s[14:15]
.LBB656_371:                            ;   in Loop: Header=BB656_215 Depth=1
	s_or_b64 exec, exec, s[12:13]
	v_lshrrev_b32_e32 v42, 16, v40
	v_cmp_ne_u16_sdwa s[14:15], v42, v55 src0_sel:BYTE_0 src1_sel:DWORD
	s_and_saveexec_b64 s[12:13], s[14:15]
	s_cbranch_execz .LBB656_377
; %bb.372:                              ;   in Loop: Header=BB656_215 Depth=1
	v_cmp_ne_u16_sdwa s[16:17], v42, s9 src0_sel:BYTE_0 src1_sel:DWORD
	v_bfrev_b32_e32 v44, 1
	s_and_saveexec_b64 s[14:15], s[16:17]
	s_cbranch_execz .LBB656_376
; %bb.373:                              ;   in Loop: Header=BB656_215 Depth=1
	v_bfe_u32 v57, v40, 16, 7
	v_cmp_ne_u32_e32 vcc, s19, v57
	v_mov_b32_e32 v44, 0x7f800001
	s_and_saveexec_b64 s[16:17], vcc
	s_cbranch_execz .LBB656_375
; %bb.374:                              ;   in Loop: Header=BB656_215 Depth=1
	v_and_b32_e32 v44, 7, v42
	v_ffbh_u32_e32 v60, v44
	v_min_u32_e32 v62, 32, v60
	v_subrev_u32_e32 v60, 28, v62
	v_lshlrev_b64 v[60:61], v60, v[42:43]
	v_lshrrev_b32_e32 v59, 3, v57
	v_sub_u32_e32 v61, 29, v62
	v_and_b32_e32 v60, 7, v60
	v_cmp_gt_u32_e32 vcc, 8, v57
	v_cndmask_b32_e32 v57, v59, v61, vcc
	v_cndmask_b32_e32 v44, v44, v60, vcc
	v_lshlrev_b32_e32 v42, 24, v42
	v_lshlrev_b32_e32 v44, 20, v44
	v_and_b32_e32 v42, 0x80000000, v42
	v_lshl_add_u32 v57, v57, 23, v56
	v_or3_b32 v44, v42, v57, v44
.LBB656_375:                            ;   in Loop: Header=BB656_215 Depth=1
	s_or_b64 exec, exec, s[16:17]
.LBB656_376:                            ;   in Loop: Header=BB656_215 Depth=1
	s_or_b64 exec, exec, s[14:15]
.LBB656_377:                            ;   in Loop: Header=BB656_215 Depth=1
	s_or_b64 exec, exec, s[12:13]
	v_cmp_lt_u32_e32 vcc, s20, v40
	v_mov_b32_e32 v59, 0
	v_mov_b32_e32 v60, 0
	s_and_saveexec_b64 s[12:13], vcc
	s_cbranch_execz .LBB656_383
; %bb.378:                              ;   in Loop: Header=BB656_215 Depth=1
	v_lshrrev_b32_e32 v42, 24, v40
	v_cmp_ne_u32_e32 vcc, s9, v42
	v_bfrev_b32_e32 v60, 1
	s_and_saveexec_b64 s[14:15], vcc
	s_cbranch_execz .LBB656_382
; %bb.379:                              ;   in Loop: Header=BB656_215 Depth=1
	v_bfe_u32 v40, v40, 24, 7
	v_cmp_ne_u32_e32 vcc, s19, v40
	v_mov_b32_e32 v60, 0x7f800001
	s_and_saveexec_b64 s[16:17], vcc
	s_cbranch_execz .LBB656_381
; %bb.380:                              ;   in Loop: Header=BB656_215 Depth=1
	v_and_b32_e32 v57, 7, v42
	v_ffbh_u32_e32 v60, v57
	v_min_u32_e32 v63, 32, v60
	v_subrev_u32_e32 v60, 28, v63
	v_lshlrev_b64 v[60:61], v60, v[42:43]
	v_lshrrev_b32_e32 v62, 3, v40
	v_sub_u32_e32 v61, 29, v63
	v_and_b32_e32 v60, 7, v60
	v_cmp_gt_u32_e32 vcc, 8, v40
	v_cndmask_b32_e32 v40, v62, v61, vcc
	v_cndmask_b32_e32 v57, v57, v60, vcc
	v_lshlrev_b32_e32 v42, 24, v42
	v_lshlrev_b32_e32 v57, 20, v57
	v_and_b32_e32 v42, 0x80000000, v42
	v_lshl_add_u32 v40, v40, 23, v56
	v_or3_b32 v60, v42, v40, v57
.LBB656_381:                            ;   in Loop: Header=BB656_215 Depth=1
	s_or_b64 exec, exec, s[16:17]
.LBB656_382:                            ;   in Loop: Header=BB656_215 Depth=1
	s_or_b64 exec, exec, s[14:15]
.LBB656_383:                            ;   in Loop: Header=BB656_215 Depth=1
	s_or_b64 exec, exec, s[12:13]
	s_waitcnt vmcnt(0)
	v_cmp_ne_u16_sdwa s[14:15], v38, v55 src0_sel:BYTE_0 src1_sel:DWORD
	s_and_saveexec_b64 s[12:13], s[14:15]
	s_cbranch_execz .LBB656_389
; %bb.384:                              ;   in Loop: Header=BB656_215 Depth=1
	v_cmp_ne_u16_sdwa s[16:17], v38, s9 src0_sel:BYTE_0 src1_sel:DWORD
	v_bfrev_b32_e32 v59, 1
	s_and_saveexec_b64 s[14:15], s[16:17]
	s_cbranch_execz .LBB656_388
; %bb.385:                              ;   in Loop: Header=BB656_215 Depth=1
	v_and_b32_e32 v40, 0x7f, v38
	v_cmp_ne_u32_e32 vcc, s19, v40
	v_mov_b32_e32 v59, 0x7f800001
	s_and_saveexec_b64 s[16:17], vcc
	s_cbranch_execz .LBB656_387
; %bb.386:                              ;   in Loop: Header=BB656_215 Depth=1
	v_and_b32_e32 v42, 7, v38
	v_ffbh_u32_e32 v59, v42
	v_min_u32_e32 v59, 32, v59
	v_subrev_u32_e32 v61, 28, v59
	v_lshlrev_b64 v[62:63], v61, v[38:39]
	v_lshrrev_b32_e32 v57, 3, v40
	v_sub_u32_e32 v59, 29, v59
	v_and_b32_e32 v61, 7, v62
	v_cmp_gt_u32_e32 vcc, 8, v40
	v_cndmask_b32_e32 v40, v57, v59, vcc
	v_cndmask_b32_e32 v42, v42, v61, vcc
	v_lshlrev_b32_e32 v57, 24, v38
	v_lshlrev_b32_e32 v42, 20, v42
	v_and_b32_e32 v57, 0x80000000, v57
	v_lshl_add_u32 v40, v40, 23, v56
	v_or3_b32 v59, v57, v40, v42
.LBB656_387:                            ;   in Loop: Header=BB656_215 Depth=1
	s_or_b64 exec, exec, s[16:17]
.LBB656_388:                            ;   in Loop: Header=BB656_215 Depth=1
	s_or_b64 exec, exec, s[14:15]
.LBB656_389:                            ;   in Loop: Header=BB656_215 Depth=1
	s_or_b64 exec, exec, s[12:13]
	v_lshrrev_b16_e32 v40, 8, v38
	v_cmp_ne_u16_e32 vcc, 0, v40
	v_mov_b32_e32 v61, 0
	v_mov_b32_e32 v62, 0
	s_and_saveexec_b64 s[12:13], vcc
	s_cbranch_execz .LBB656_395
; %bb.390:                              ;   in Loop: Header=BB656_215 Depth=1
	v_cmp_ne_u16_e32 vcc, s9, v40
	v_bfrev_b32_e32 v62, 1
	s_and_saveexec_b64 s[14:15], vcc
	s_cbranch_execz .LBB656_394
; %bb.391:                              ;   in Loop: Header=BB656_215 Depth=1
	v_and_b32_e32 v42, 0x7f, v40
	v_cmp_ne_u32_e32 vcc, s19, v42
	v_mov_b32_e32 v62, 0x7f800001
	s_and_saveexec_b64 s[16:17], vcc
	s_cbranch_execz .LBB656_393
; %bb.392:                              ;   in Loop: Header=BB656_215 Depth=1
	v_and_b32_e32 v57, 7, v40
	v_ffbh_u32_e32 v62, v57
	v_min_u32_e32 v65, 32, v62
	v_subrev_u32_e32 v62, 28, v65
	v_lshlrev_b64 v[62:63], v62, v[40:41]
	v_lshrrev_b32_e32 v64, 3, v42
	v_sub_u32_e32 v40, 29, v65
	v_and_b32_e32 v62, 7, v62
	v_cmp_gt_u32_e32 vcc, 8, v42
	v_cndmask_b32_e32 v40, v64, v40, vcc
	v_cndmask_b32_e32 v42, v57, v62, vcc
	v_lshlrev_b32_e32 v57, 16, v38
	v_lshlrev_b32_e32 v42, 20, v42
	v_and_b32_e32 v57, 0x80000000, v57
	v_lshl_add_u32 v40, v40, 23, v56
	v_or3_b32 v62, v57, v40, v42
.LBB656_393:                            ;   in Loop: Header=BB656_215 Depth=1
	s_or_b64 exec, exec, s[16:17]
.LBB656_394:                            ;   in Loop: Header=BB656_215 Depth=1
	s_or_b64 exec, exec, s[14:15]
.LBB656_395:                            ;   in Loop: Header=BB656_215 Depth=1
	s_or_b64 exec, exec, s[12:13]
	v_lshrrev_b32_e32 v40, 16, v38
	v_cmp_ne_u16_sdwa s[14:15], v40, v55 src0_sel:BYTE_0 src1_sel:DWORD
	s_and_saveexec_b64 s[12:13], s[14:15]
	s_cbranch_execz .LBB656_401
; %bb.396:                              ;   in Loop: Header=BB656_215 Depth=1
	v_cmp_ne_u16_sdwa s[16:17], v40, s9 src0_sel:BYTE_0 src1_sel:DWORD
	v_bfrev_b32_e32 v61, 1
	s_and_saveexec_b64 s[14:15], s[16:17]
	s_cbranch_execz .LBB656_400
; %bb.397:                              ;   in Loop: Header=BB656_215 Depth=1
	v_bfe_u32 v42, v38, 16, 7
	v_cmp_ne_u32_e32 vcc, s19, v42
	v_mov_b32_e32 v61, 0x7f800001
	s_and_saveexec_b64 s[16:17], vcc
	s_cbranch_execz .LBB656_399
; %bb.398:                              ;   in Loop: Header=BB656_215 Depth=1
	v_and_b32_e32 v57, 7, v40
	v_ffbh_u32_e32 v63, v57
	v_min_u32_e32 v63, 32, v63
	v_subrev_u32_e32 v64, 28, v63
	v_lshlrev_b64 v[64:65], v64, v[40:41]
	v_lshrrev_b32_e32 v61, 3, v42
	v_sub_u32_e32 v63, 29, v63
	v_and_b32_e32 v64, 7, v64
	v_cmp_gt_u32_e32 vcc, 8, v42
	v_cndmask_b32_e32 v42, v61, v63, vcc
	v_cndmask_b32_e32 v57, v57, v64, vcc
	v_lshlrev_b32_e32 v40, 24, v40
	v_lshlrev_b32_e32 v57, 20, v57
	v_and_b32_e32 v40, 0x80000000, v40
	v_lshl_add_u32 v42, v42, 23, v56
	v_or3_b32 v61, v40, v42, v57
.LBB656_399:                            ;   in Loop: Header=BB656_215 Depth=1
	s_or_b64 exec, exec, s[16:17]
.LBB656_400:                            ;   in Loop: Header=BB656_215 Depth=1
	s_or_b64 exec, exec, s[14:15]
.LBB656_401:                            ;   in Loop: Header=BB656_215 Depth=1
	s_or_b64 exec, exec, s[12:13]
	v_cmp_lt_u32_e32 vcc, s20, v38
	v_mov_b32_e32 v57, 0
	v_mov_b32_e32 v63, 0
	s_and_saveexec_b64 s[12:13], vcc
	s_cbranch_execz .LBB656_407
; %bb.402:                              ;   in Loop: Header=BB656_215 Depth=1
	v_lshrrev_b32_e32 v40, 24, v38
	v_cmp_ne_u32_e32 vcc, s9, v40
	v_bfrev_b32_e32 v63, 1
	s_and_saveexec_b64 s[14:15], vcc
	s_cbranch_execz .LBB656_406
; %bb.403:                              ;   in Loop: Header=BB656_215 Depth=1
	v_bfe_u32 v38, v38, 24, 7
	v_cmp_ne_u32_e32 vcc, s19, v38
	v_mov_b32_e32 v63, 0x7f800001
	s_and_saveexec_b64 s[16:17], vcc
	s_cbranch_execz .LBB656_405
; %bb.404:                              ;   in Loop: Header=BB656_215 Depth=1
	v_and_b32_e32 v42, 7, v40
	v_ffbh_u32_e32 v64, v42
	v_min_u32_e32 v66, 32, v64
	v_subrev_u32_e32 v64, 28, v66
	v_lshlrev_b64 v[64:65], v64, v[40:41]
	v_lshrrev_b32_e32 v63, 3, v38
	v_sub_u32_e32 v65, 29, v66
	v_and_b32_e32 v64, 7, v64
	v_cmp_gt_u32_e32 vcc, 8, v38
	v_cndmask_b32_e32 v38, v63, v65, vcc
	v_cndmask_b32_e32 v42, v42, v64, vcc
	v_lshlrev_b32_e32 v40, 24, v40
	v_lshlrev_b32_e32 v42, 20, v42
	v_and_b32_e32 v40, 0x80000000, v40
	v_lshl_add_u32 v38, v38, 23, v56
	v_or3_b32 v63, v40, v38, v42
.LBB656_405:                            ;   in Loop: Header=BB656_215 Depth=1
	s_or_b64 exec, exec, s[16:17]
.LBB656_406:                            ;   in Loop: Header=BB656_215 Depth=1
	s_or_b64 exec, exec, s[14:15]
.LBB656_407:                            ;   in Loop: Header=BB656_215 Depth=1
	s_or_b64 exec, exec, s[12:13]
	v_cvt_pkrtz_f16_f32 v65, v44, v60
	buffer_load_dword v44, v52, s[0:3], 0 offen
	buffer_load_dword v42, v52, s[0:3], 0 offen offset:4
	buffer_load_dword v40, v52, s[0:3], 0 offen offset:8
	;; [unrolled: 1-line block ×3, first 2 shown]
	v_cvt_pkrtz_f16_f32 v64, v46, v58
	v_cvt_pkrtz_f16_f32 v58, v59, v62
	;; [unrolled: 1-line block ×3, first 2 shown]
	v_mfma_f32_16x16x16f16 v[34:37], v[64:65], v[14:15], v[34:37]
	s_waitcnt vmcnt(3)
	v_cmp_ne_u16_sdwa s[14:15], v44, v55 src0_sel:BYTE_0 src1_sel:DWORD
	v_mfma_f32_16x16x16f16 v[34:37], v[58:59], v[16:17], v[34:37]
	s_and_saveexec_b64 s[12:13], s[14:15]
	s_cbranch_execz .LBB656_413
; %bb.408:                              ;   in Loop: Header=BB656_215 Depth=1
	v_cmp_ne_u16_sdwa s[16:17], v44, s9 src0_sel:BYTE_0 src1_sel:DWORD
	v_bfrev_b32_e32 v57, 1
	s_and_saveexec_b64 s[14:15], s[16:17]
	s_cbranch_execz .LBB656_412
; %bb.409:                              ;   in Loop: Header=BB656_215 Depth=1
	v_and_b32_e32 v46, 0x7f, v44
	v_cmp_ne_u32_e32 vcc, s19, v46
	v_mov_b32_e32 v57, 0x7f800001
	s_and_saveexec_b64 s[16:17], vcc
	s_cbranch_execz .LBB656_411
; %bb.410:                              ;   in Loop: Header=BB656_215 Depth=1
	v_and_b32_e32 v52, 7, v44
	v_ffbh_u32_e32 v58, v52
	v_min_u32_e32 v60, 32, v58
	v_subrev_u32_e32 v58, 28, v60
	v_lshlrev_b64 v[58:59], v58, v[44:45]
	v_lshrrev_b32_e32 v57, 3, v46
	v_sub_u32_e32 v59, 29, v60
	v_and_b32_e32 v58, 7, v58
	v_cmp_gt_u32_e32 vcc, 8, v46
	v_cndmask_b32_e32 v46, v57, v59, vcc
	v_cndmask_b32_e32 v52, v52, v58, vcc
	v_lshlrev_b32_e32 v57, 24, v44
	v_lshlrev_b32_e32 v52, 20, v52
	v_and_b32_e32 v57, 0x80000000, v57
	v_lshl_add_u32 v46, v46, 23, v56
	v_or3_b32 v57, v57, v46, v52
.LBB656_411:                            ;   in Loop: Header=BB656_215 Depth=1
	s_or_b64 exec, exec, s[16:17]
.LBB656_412:                            ;   in Loop: Header=BB656_215 Depth=1
	s_or_b64 exec, exec, s[14:15]
.LBB656_413:                            ;   in Loop: Header=BB656_215 Depth=1
	s_or_b64 exec, exec, s[12:13]
	v_lshrrev_b16_e32 v46, 8, v44
	v_cmp_ne_u16_e32 vcc, 0, v46
	v_mov_b32_e32 v52, 0
	v_mov_b32_e32 v58, 0
	s_and_saveexec_b64 s[12:13], vcc
	s_cbranch_execz .LBB656_419
; %bb.414:                              ;   in Loop: Header=BB656_215 Depth=1
	v_cmp_ne_u16_e32 vcc, s9, v46
	v_bfrev_b32_e32 v58, 1
	s_and_saveexec_b64 s[14:15], vcc
	s_cbranch_execz .LBB656_418
; %bb.415:                              ;   in Loop: Header=BB656_215 Depth=1
	v_and_b32_e32 v59, 0x7f, v46
	v_cmp_ne_u32_e32 vcc, s19, v59
	v_mov_b32_e32 v58, 0x7f800001
	s_and_saveexec_b64 s[16:17], vcc
	s_cbranch_execz .LBB656_417
; %bb.416:                              ;   in Loop: Header=BB656_215 Depth=1
	v_and_b32_e32 v58, 7, v46
	v_ffbh_u32_e32 v60, v58
	v_min_u32_e32 v63, 32, v60
	v_subrev_u32_e32 v60, 28, v63
	v_lshlrev_b64 v[60:61], v60, v[46:47]
	v_lshrrev_b32_e32 v62, 3, v59
	v_sub_u32_e32 v46, 29, v63
	v_and_b32_e32 v60, 7, v60
	v_cmp_gt_u32_e32 vcc, 8, v59
	v_cndmask_b32_e32 v46, v62, v46, vcc
	v_cndmask_b32_e32 v58, v58, v60, vcc
	v_lshlrev_b32_e32 v59, 16, v44
	v_lshlrev_b32_e32 v58, 20, v58
	v_and_b32_e32 v59, 0x80000000, v59
	v_lshl_add_u32 v46, v46, 23, v56
	v_or3_b32 v58, v59, v46, v58
.LBB656_417:                            ;   in Loop: Header=BB656_215 Depth=1
	s_or_b64 exec, exec, s[16:17]
.LBB656_418:                            ;   in Loop: Header=BB656_215 Depth=1
	s_or_b64 exec, exec, s[14:15]
.LBB656_419:                            ;   in Loop: Header=BB656_215 Depth=1
	s_or_b64 exec, exec, s[12:13]
	v_lshrrev_b32_e32 v46, 16, v44
	v_cmp_ne_u16_sdwa s[14:15], v46, v55 src0_sel:BYTE_0 src1_sel:DWORD
	s_and_saveexec_b64 s[12:13], s[14:15]
	s_cbranch_execz .LBB656_425
; %bb.420:                              ;   in Loop: Header=BB656_215 Depth=1
	v_cmp_ne_u16_sdwa s[16:17], v46, s9 src0_sel:BYTE_0 src1_sel:DWORD
	v_bfrev_b32_e32 v52, 1
	s_and_saveexec_b64 s[14:15], s[16:17]
	s_cbranch_execz .LBB656_424
; %bb.421:                              ;   in Loop: Header=BB656_215 Depth=1
	v_bfe_u32 v59, v44, 16, 7
	v_cmp_ne_u32_e32 vcc, s19, v59
	v_mov_b32_e32 v52, 0x7f800001
	s_and_saveexec_b64 s[16:17], vcc
	s_cbranch_execz .LBB656_423
; %bb.422:                              ;   in Loop: Header=BB656_215 Depth=1
	v_and_b32_e32 v52, 7, v46
	v_ffbh_u32_e32 v60, v52
	v_min_u32_e32 v63, 32, v60
	v_subrev_u32_e32 v60, 28, v63
	v_lshlrev_b64 v[60:61], v60, v[46:47]
	v_lshrrev_b32_e32 v62, 3, v59
	v_sub_u32_e32 v61, 29, v63
	v_and_b32_e32 v60, 7, v60
	v_cmp_gt_u32_e32 vcc, 8, v59
	v_cndmask_b32_e32 v59, v62, v61, vcc
	v_cndmask_b32_e32 v52, v52, v60, vcc
	v_lshlrev_b32_e32 v46, 24, v46
	v_lshlrev_b32_e32 v52, 20, v52
	v_and_b32_e32 v46, 0x80000000, v46
	v_lshl_add_u32 v59, v59, 23, v56
	v_or3_b32 v52, v46, v59, v52
.LBB656_423:                            ;   in Loop: Header=BB656_215 Depth=1
	s_or_b64 exec, exec, s[16:17]
.LBB656_424:                            ;   in Loop: Header=BB656_215 Depth=1
	s_or_b64 exec, exec, s[14:15]
.LBB656_425:                            ;   in Loop: Header=BB656_215 Depth=1
	s_or_b64 exec, exec, s[12:13]
	v_cmp_lt_u32_e32 vcc, s20, v44
	v_mov_b32_e32 v59, 0
	v_mov_b32_e32 v60, 0
	s_and_saveexec_b64 s[12:13], vcc
	s_cbranch_execz .LBB656_431
; %bb.426:                              ;   in Loop: Header=BB656_215 Depth=1
	v_lshrrev_b32_e32 v46, 24, v44
	v_cmp_ne_u32_e32 vcc, s9, v46
	v_bfrev_b32_e32 v60, 1
	s_and_saveexec_b64 s[14:15], vcc
	s_cbranch_execz .LBB656_430
; %bb.427:                              ;   in Loop: Header=BB656_215 Depth=1
	v_bfe_u32 v44, v44, 24, 7
	v_cmp_ne_u32_e32 vcc, s19, v44
	v_mov_b32_e32 v60, 0x7f800001
	s_and_saveexec_b64 s[16:17], vcc
	s_cbranch_execz .LBB656_429
; %bb.428:                              ;   in Loop: Header=BB656_215 Depth=1
	v_and_b32_e32 v62, 7, v46
	v_ffbh_u32_e32 v60, v62
	v_min_u32_e32 v64, 32, v60
	v_subrev_u32_e32 v60, 28, v64
	v_lshlrev_b64 v[60:61], v60, v[46:47]
	v_lshrrev_b32_e32 v63, 3, v44
	v_sub_u32_e32 v61, 29, v64
	v_and_b32_e32 v60, 7, v60
	v_cmp_gt_u32_e32 vcc, 8, v44
	v_cndmask_b32_e32 v44, v63, v61, vcc
	v_cndmask_b32_e32 v60, v62, v60, vcc
	v_lshlrev_b32_e32 v46, 24, v46
	v_lshlrev_b32_e32 v60, 20, v60
	v_and_b32_e32 v46, 0x80000000, v46
	v_lshl_add_u32 v44, v44, 23, v56
	v_or3_b32 v60, v46, v44, v60
.LBB656_429:                            ;   in Loop: Header=BB656_215 Depth=1
	s_or_b64 exec, exec, s[16:17]
.LBB656_430:                            ;   in Loop: Header=BB656_215 Depth=1
	s_or_b64 exec, exec, s[14:15]
.LBB656_431:                            ;   in Loop: Header=BB656_215 Depth=1
	s_or_b64 exec, exec, s[12:13]
	s_waitcnt vmcnt(2)
	v_cmp_ne_u16_sdwa s[14:15], v42, v55 src0_sel:BYTE_0 src1_sel:DWORD
	s_and_saveexec_b64 s[12:13], s[14:15]
	s_cbranch_execz .LBB656_437
; %bb.432:                              ;   in Loop: Header=BB656_215 Depth=1
	v_cmp_ne_u16_sdwa s[16:17], v42, s9 src0_sel:BYTE_0 src1_sel:DWORD
	v_bfrev_b32_e32 v59, 1
	s_and_saveexec_b64 s[14:15], s[16:17]
	s_cbranch_execz .LBB656_436
; %bb.433:                              ;   in Loop: Header=BB656_215 Depth=1
	v_and_b32_e32 v44, 0x7f, v42
	v_cmp_ne_u32_e32 vcc, s19, v44
	v_mov_b32_e32 v59, 0x7f800001
	s_and_saveexec_b64 s[16:17], vcc
	s_cbranch_execz .LBB656_435
; %bb.434:                              ;   in Loop: Header=BB656_215 Depth=1
	v_and_b32_e32 v46, 7, v42
	v_ffbh_u32_e32 v61, v46
	v_min_u32_e32 v61, 32, v61
	v_subrev_u32_e32 v62, 28, v61
	v_lshlrev_b64 v[62:63], v62, v[42:43]
	v_lshrrev_b32_e32 v59, 3, v44
	v_sub_u32_e32 v61, 29, v61
	v_and_b32_e32 v62, 7, v62
	v_cmp_gt_u32_e32 vcc, 8, v44
	v_cndmask_b32_e32 v44, v59, v61, vcc
	v_cndmask_b32_e32 v46, v46, v62, vcc
	v_lshlrev_b32_e32 v59, 24, v42
	v_lshlrev_b32_e32 v46, 20, v46
	v_and_b32_e32 v59, 0x80000000, v59
	v_lshl_add_u32 v44, v44, 23, v56
	v_or3_b32 v59, v59, v44, v46
.LBB656_435:                            ;   in Loop: Header=BB656_215 Depth=1
	s_or_b64 exec, exec, s[16:17]
.LBB656_436:                            ;   in Loop: Header=BB656_215 Depth=1
	s_or_b64 exec, exec, s[14:15]
.LBB656_437:                            ;   in Loop: Header=BB656_215 Depth=1
	s_or_b64 exec, exec, s[12:13]
	v_lshrrev_b16_e32 v44, 8, v42
	v_cmp_ne_u16_e32 vcc, 0, v44
	v_mov_b32_e32 v61, 0
	v_mov_b32_e32 v62, 0
	s_and_saveexec_b64 s[12:13], vcc
	s_cbranch_execz .LBB656_443
; %bb.438:                              ;   in Loop: Header=BB656_215 Depth=1
	v_cmp_ne_u16_e32 vcc, s9, v44
	v_bfrev_b32_e32 v62, 1
	s_and_saveexec_b64 s[14:15], vcc
	s_cbranch_execz .LBB656_442
; %bb.439:                              ;   in Loop: Header=BB656_215 Depth=1
	v_and_b32_e32 v46, 0x7f, v44
	v_cmp_ne_u32_e32 vcc, s19, v46
	v_mov_b32_e32 v62, 0x7f800001
	s_and_saveexec_b64 s[16:17], vcc
	s_cbranch_execz .LBB656_441
; %bb.440:                              ;   in Loop: Header=BB656_215 Depth=1
	v_and_b32_e32 v64, 7, v44
	v_ffbh_u32_e32 v62, v64
	v_min_u32_e32 v66, 32, v62
	v_subrev_u32_e32 v62, 28, v66
	v_lshlrev_b64 v[62:63], v62, v[44:45]
	v_lshrrev_b32_e32 v65, 3, v46
	v_sub_u32_e32 v44, 29, v66
	v_and_b32_e32 v62, 7, v62
	v_cmp_gt_u32_e32 vcc, 8, v46
	v_cndmask_b32_e32 v44, v65, v44, vcc
	v_cndmask_b32_e32 v46, v64, v62, vcc
	v_lshlrev_b32_e32 v62, 16, v42
	v_lshlrev_b32_e32 v46, 20, v46
	v_and_b32_e32 v62, 0x80000000, v62
	v_lshl_add_u32 v44, v44, 23, v56
	v_or3_b32 v62, v62, v44, v46
.LBB656_441:                            ;   in Loop: Header=BB656_215 Depth=1
	s_or_b64 exec, exec, s[16:17]
.LBB656_442:                            ;   in Loop: Header=BB656_215 Depth=1
	s_or_b64 exec, exec, s[14:15]
.LBB656_443:                            ;   in Loop: Header=BB656_215 Depth=1
	s_or_b64 exec, exec, s[12:13]
	v_lshrrev_b32_e32 v44, 16, v42
	v_cmp_ne_u16_sdwa s[14:15], v44, v55 src0_sel:BYTE_0 src1_sel:DWORD
	s_and_saveexec_b64 s[12:13], s[14:15]
	s_cbranch_execz .LBB656_449
; %bb.444:                              ;   in Loop: Header=BB656_215 Depth=1
	v_cmp_ne_u16_sdwa s[16:17], v44, s9 src0_sel:BYTE_0 src1_sel:DWORD
	v_bfrev_b32_e32 v61, 1
	s_and_saveexec_b64 s[14:15], s[16:17]
	s_cbranch_execz .LBB656_448
; %bb.445:                              ;   in Loop: Header=BB656_215 Depth=1
	v_bfe_u32 v46, v42, 16, 7
	v_cmp_ne_u32_e32 vcc, s19, v46
	v_mov_b32_e32 v61, 0x7f800001
	s_and_saveexec_b64 s[16:17], vcc
	s_cbranch_execz .LBB656_447
; %bb.446:                              ;   in Loop: Header=BB656_215 Depth=1
	v_and_b32_e32 v61, 7, v44
	v_ffbh_u32_e32 v64, v61
	v_min_u32_e32 v66, 32, v64
	v_subrev_u32_e32 v64, 28, v66
	v_lshlrev_b64 v[64:65], v64, v[44:45]
	v_lshrrev_b32_e32 v63, 3, v46
	v_sub_u32_e32 v65, 29, v66
	v_and_b32_e32 v64, 7, v64
	v_cmp_gt_u32_e32 vcc, 8, v46
	v_cndmask_b32_e32 v46, v63, v65, vcc
	v_cndmask_b32_e32 v61, v61, v64, vcc
	v_lshlrev_b32_e32 v44, 24, v44
	v_lshlrev_b32_e32 v61, 20, v61
	v_and_b32_e32 v44, 0x80000000, v44
	v_lshl_add_u32 v46, v46, 23, v56
	v_or3_b32 v61, v44, v46, v61
.LBB656_447:                            ;   in Loop: Header=BB656_215 Depth=1
	s_or_b64 exec, exec, s[16:17]
.LBB656_448:                            ;   in Loop: Header=BB656_215 Depth=1
	s_or_b64 exec, exec, s[14:15]
.LBB656_449:                            ;   in Loop: Header=BB656_215 Depth=1
	s_or_b64 exec, exec, s[12:13]
	v_cmp_lt_u32_e32 vcc, s20, v42
	v_mov_b32_e32 v46, 0
	v_mov_b32_e32 v63, 0
	s_and_saveexec_b64 s[12:13], vcc
	s_cbranch_execz .LBB656_455
; %bb.450:                              ;   in Loop: Header=BB656_215 Depth=1
	v_lshrrev_b32_e32 v44, 24, v42
	v_cmp_ne_u32_e32 vcc, s9, v44
	v_bfrev_b32_e32 v63, 1
	s_and_saveexec_b64 s[14:15], vcc
	s_cbranch_execz .LBB656_454
; %bb.451:                              ;   in Loop: Header=BB656_215 Depth=1
	v_bfe_u32 v42, v42, 24, 7
	v_cmp_ne_u32_e32 vcc, s19, v42
	v_mov_b32_e32 v63, 0x7f800001
	s_and_saveexec_b64 s[16:17], vcc
	s_cbranch_execz .LBB656_453
; %bb.452:                              ;   in Loop: Header=BB656_215 Depth=1
	v_and_b32_e32 v63, 7, v44
	v_ffbh_u32_e32 v64, v63
	v_min_u32_e32 v67, 32, v64
	v_subrev_u32_e32 v64, 28, v67
	v_lshlrev_b64 v[64:65], v64, v[44:45]
	v_lshrrev_b32_e32 v66, 3, v42
	v_sub_u32_e32 v65, 29, v67
	v_and_b32_e32 v64, 7, v64
	v_cmp_gt_u32_e32 vcc, 8, v42
	v_cndmask_b32_e32 v42, v66, v65, vcc
	v_cndmask_b32_e32 v63, v63, v64, vcc
	v_lshlrev_b32_e32 v44, 24, v44
	v_lshlrev_b32_e32 v63, 20, v63
	v_and_b32_e32 v44, 0x80000000, v44
	v_lshl_add_u32 v42, v42, 23, v56
	v_or3_b32 v63, v44, v42, v63
.LBB656_453:                            ;   in Loop: Header=BB656_215 Depth=1
	s_or_b64 exec, exec, s[16:17]
.LBB656_454:                            ;   in Loop: Header=BB656_215 Depth=1
	s_or_b64 exec, exec, s[14:15]
.LBB656_455:                            ;   in Loop: Header=BB656_215 Depth=1
	s_or_b64 exec, exec, s[12:13]
	v_cvt_pkrtz_f16_f32 v64, v57, v58
	v_cvt_pkrtz_f16_f32 v65, v52, v60
	;; [unrolled: 1-line block ×4, first 2 shown]
	s_waitcnt vmcnt(1)
	v_cmp_ne_u16_sdwa s[14:15], v40, v55 src0_sel:BYTE_0 src1_sel:DWORD
	v_mfma_f32_16x16x16f16 v[34:37], v[64:65], v[18:19], v[34:37]
	v_mfma_f32_16x16x16f16 v[34:37], v[58:59], v[20:21], v[34:37]
	s_and_saveexec_b64 s[12:13], s[14:15]
	s_cbranch_execz .LBB656_461
; %bb.456:                              ;   in Loop: Header=BB656_215 Depth=1
	v_cmp_ne_u16_sdwa s[16:17], v40, s9 src0_sel:BYTE_0 src1_sel:DWORD
	v_bfrev_b32_e32 v46, 1
	s_and_saveexec_b64 s[14:15], s[16:17]
	s_cbranch_execz .LBB656_460
; %bb.457:                              ;   in Loop: Header=BB656_215 Depth=1
	v_and_b32_e32 v42, 0x7f, v40
	v_cmp_ne_u32_e32 vcc, s19, v42
	v_mov_b32_e32 v46, 0x7f800001
	s_and_saveexec_b64 s[16:17], vcc
	s_cbranch_execz .LBB656_459
; %bb.458:                              ;   in Loop: Header=BB656_215 Depth=1
	v_and_b32_e32 v44, 7, v40
	v_ffbh_u32_e32 v52, v44
	v_min_u32_e32 v52, 32, v52
	v_subrev_u32_e32 v57, 28, v52
	v_lshlrev_b64 v[58:59], v57, v[40:41]
	v_lshrrev_b32_e32 v46, 3, v42
	v_sub_u32_e32 v52, 29, v52
	v_and_b32_e32 v57, 7, v58
	v_cmp_gt_u32_e32 vcc, 8, v42
	v_cndmask_b32_e32 v42, v46, v52, vcc
	v_cndmask_b32_e32 v44, v44, v57, vcc
	v_lshlrev_b32_e32 v46, 24, v40
	v_lshlrev_b32_e32 v44, 20, v44
	v_and_b32_e32 v46, 0x80000000, v46
	v_lshl_add_u32 v42, v42, 23, v56
	v_or3_b32 v46, v46, v42, v44
.LBB656_459:                            ;   in Loop: Header=BB656_215 Depth=1
	s_or_b64 exec, exec, s[16:17]
.LBB656_460:                            ;   in Loop: Header=BB656_215 Depth=1
	s_or_b64 exec, exec, s[14:15]
.LBB656_461:                            ;   in Loop: Header=BB656_215 Depth=1
	s_or_b64 exec, exec, s[12:13]
	v_lshrrev_b16_e32 v42, 8, v40
	v_cmp_ne_u16_e32 vcc, 0, v42
	v_mov_b32_e32 v44, 0
	v_mov_b32_e32 v57, 0
	s_and_saveexec_b64 s[12:13], vcc
	s_cbranch_execz .LBB656_467
; %bb.462:                              ;   in Loop: Header=BB656_215 Depth=1
	v_cmp_ne_u16_e32 vcc, s9, v42
	v_bfrev_b32_e32 v57, 1
	s_and_saveexec_b64 s[14:15], vcc
	s_cbranch_execz .LBB656_466
; %bb.463:                              ;   in Loop: Header=BB656_215 Depth=1
	v_and_b32_e32 v52, 0x7f, v42
	v_cmp_ne_u32_e32 vcc, s19, v52
	v_mov_b32_e32 v57, 0x7f800001
	s_and_saveexec_b64 s[16:17], vcc
	s_cbranch_execz .LBB656_465
; %bb.464:                              ;   in Loop: Header=BB656_215 Depth=1
	v_and_b32_e32 v57, 7, v42
	v_ffbh_u32_e32 v58, v57
	v_min_u32_e32 v61, 32, v58
	v_subrev_u32_e32 v58, 28, v61
	v_lshlrev_b64 v[58:59], v58, v[42:43]
	v_lshrrev_b32_e32 v60, 3, v52
	v_sub_u32_e32 v42, 29, v61
	v_and_b32_e32 v58, 7, v58
	v_cmp_gt_u32_e32 vcc, 8, v52
	v_cndmask_b32_e32 v42, v60, v42, vcc
	v_cndmask_b32_e32 v52, v57, v58, vcc
	v_lshlrev_b32_e32 v57, 16, v40
	v_lshlrev_b32_e32 v52, 20, v52
	v_and_b32_e32 v57, 0x80000000, v57
	v_lshl_add_u32 v42, v42, 23, v56
	v_or3_b32 v57, v57, v42, v52
.LBB656_465:                            ;   in Loop: Header=BB656_215 Depth=1
	s_or_b64 exec, exec, s[16:17]
.LBB656_466:                            ;   in Loop: Header=BB656_215 Depth=1
	s_or_b64 exec, exec, s[14:15]
.LBB656_467:                            ;   in Loop: Header=BB656_215 Depth=1
	s_or_b64 exec, exec, s[12:13]
	v_lshrrev_b32_e32 v42, 16, v40
	v_cmp_ne_u16_sdwa s[14:15], v42, v55 src0_sel:BYTE_0 src1_sel:DWORD
	s_and_saveexec_b64 s[12:13], s[14:15]
	s_cbranch_execz .LBB656_473
; %bb.468:                              ;   in Loop: Header=BB656_215 Depth=1
	v_cmp_ne_u16_sdwa s[16:17], v42, s9 src0_sel:BYTE_0 src1_sel:DWORD
	v_bfrev_b32_e32 v44, 1
	s_and_saveexec_b64 s[14:15], s[16:17]
	s_cbranch_execz .LBB656_472
; %bb.469:                              ;   in Loop: Header=BB656_215 Depth=1
	v_bfe_u32 v52, v40, 16, 7
	v_cmp_ne_u32_e32 vcc, s19, v52
	v_mov_b32_e32 v44, 0x7f800001
	s_and_saveexec_b64 s[16:17], vcc
	s_cbranch_execz .LBB656_471
; %bb.470:                              ;   in Loop: Header=BB656_215 Depth=1
	v_and_b32_e32 v44, 7, v42
	v_ffbh_u32_e32 v58, v44
	v_min_u32_e32 v61, 32, v58
	v_subrev_u32_e32 v58, 28, v61
	v_lshlrev_b64 v[58:59], v58, v[42:43]
	v_lshrrev_b32_e32 v60, 3, v52
	v_sub_u32_e32 v59, 29, v61
	v_and_b32_e32 v58, 7, v58
	v_cmp_gt_u32_e32 vcc, 8, v52
	v_cndmask_b32_e32 v52, v60, v59, vcc
	v_cndmask_b32_e32 v44, v44, v58, vcc
	v_lshlrev_b32_e32 v42, 24, v42
	v_lshlrev_b32_e32 v44, 20, v44
	v_and_b32_e32 v42, 0x80000000, v42
	v_lshl_add_u32 v52, v52, 23, v56
	v_or3_b32 v44, v42, v52, v44
.LBB656_471:                            ;   in Loop: Header=BB656_215 Depth=1
	s_or_b64 exec, exec, s[16:17]
.LBB656_472:                            ;   in Loop: Header=BB656_215 Depth=1
	s_or_b64 exec, exec, s[14:15]
.LBB656_473:                            ;   in Loop: Header=BB656_215 Depth=1
	s_or_b64 exec, exec, s[12:13]
	v_cmp_lt_u32_e32 vcc, s20, v40
	v_mov_b32_e32 v58, 0
	v_mov_b32_e32 v59, 0
	s_and_saveexec_b64 s[12:13], vcc
	s_cbranch_execz .LBB656_479
; %bb.474:                              ;   in Loop: Header=BB656_215 Depth=1
	v_lshrrev_b32_e32 v42, 24, v40
	v_cmp_ne_u32_e32 vcc, s9, v42
	v_bfrev_b32_e32 v59, 1
	s_and_saveexec_b64 s[14:15], vcc
	s_cbranch_execz .LBB656_478
; %bb.475:                              ;   in Loop: Header=BB656_215 Depth=1
	v_bfe_u32 v40, v40, 24, 7
	v_cmp_ne_u32_e32 vcc, s19, v40
	v_mov_b32_e32 v59, 0x7f800001
	s_and_saveexec_b64 s[16:17], vcc
	s_cbranch_execz .LBB656_477
; %bb.476:                              ;   in Loop: Header=BB656_215 Depth=1
	v_and_b32_e32 v52, 7, v42
	v_ffbh_u32_e32 v60, v52
	v_min_u32_e32 v62, 32, v60
	v_subrev_u32_e32 v60, 28, v62
	v_lshlrev_b64 v[60:61], v60, v[42:43]
	v_lshrrev_b32_e32 v59, 3, v40
	v_sub_u32_e32 v61, 29, v62
	v_and_b32_e32 v60, 7, v60
	v_cmp_gt_u32_e32 vcc, 8, v40
	v_cndmask_b32_e32 v40, v59, v61, vcc
	v_cndmask_b32_e32 v52, v52, v60, vcc
	v_lshlrev_b32_e32 v42, 24, v42
	v_lshlrev_b32_e32 v52, 20, v52
	v_and_b32_e32 v42, 0x80000000, v42
	v_lshl_add_u32 v40, v40, 23, v56
	v_or3_b32 v59, v42, v40, v52
.LBB656_477:                            ;   in Loop: Header=BB656_215 Depth=1
	s_or_b64 exec, exec, s[16:17]
.LBB656_478:                            ;   in Loop: Header=BB656_215 Depth=1
	s_or_b64 exec, exec, s[14:15]
.LBB656_479:                            ;   in Loop: Header=BB656_215 Depth=1
	s_or_b64 exec, exec, s[12:13]
	s_waitcnt vmcnt(0)
	v_cmp_ne_u16_sdwa s[14:15], v38, v55 src0_sel:BYTE_0 src1_sel:DWORD
	s_and_saveexec_b64 s[12:13], s[14:15]
	s_cbranch_execz .LBB656_485
; %bb.480:                              ;   in Loop: Header=BB656_215 Depth=1
	v_cmp_ne_u16_sdwa s[16:17], v38, s9 src0_sel:BYTE_0 src1_sel:DWORD
	v_bfrev_b32_e32 v58, 1
	s_and_saveexec_b64 s[14:15], s[16:17]
	s_cbranch_execz .LBB656_484
; %bb.481:                              ;   in Loop: Header=BB656_215 Depth=1
	v_and_b32_e32 v40, 0x7f, v38
	v_cmp_ne_u32_e32 vcc, s19, v40
	v_mov_b32_e32 v58, 0x7f800001
	s_and_saveexec_b64 s[16:17], vcc
	s_cbranch_execz .LBB656_483
; %bb.482:                              ;   in Loop: Header=BB656_215 Depth=1
	v_and_b32_e32 v42, 7, v38
	v_ffbh_u32_e32 v58, v42
	v_min_u32_e32 v58, 32, v58
	v_subrev_u32_e32 v60, 28, v58
	v_lshlrev_b64 v[60:61], v60, v[38:39]
	v_lshrrev_b32_e32 v52, 3, v40
	v_sub_u32_e32 v58, 29, v58
	v_and_b32_e32 v60, 7, v60
	v_cmp_gt_u32_e32 vcc, 8, v40
	v_cndmask_b32_e32 v40, v52, v58, vcc
	v_cndmask_b32_e32 v42, v42, v60, vcc
	v_lshlrev_b32_e32 v52, 24, v38
	v_lshlrev_b32_e32 v42, 20, v42
	v_and_b32_e32 v52, 0x80000000, v52
	v_lshl_add_u32 v40, v40, 23, v56
	v_or3_b32 v58, v52, v40, v42
.LBB656_483:                            ;   in Loop: Header=BB656_215 Depth=1
	s_or_b64 exec, exec, s[16:17]
.LBB656_484:                            ;   in Loop: Header=BB656_215 Depth=1
	s_or_b64 exec, exec, s[14:15]
.LBB656_485:                            ;   in Loop: Header=BB656_215 Depth=1
	s_or_b64 exec, exec, s[12:13]
	v_lshrrev_b16_e32 v40, 8, v38
	v_cmp_ne_u16_e32 vcc, 0, v40
	v_mov_b32_e32 v60, 0
	v_mov_b32_e32 v61, 0
	s_and_saveexec_b64 s[12:13], vcc
	s_cbranch_execz .LBB656_491
; %bb.486:                              ;   in Loop: Header=BB656_215 Depth=1
	v_cmp_ne_u16_e32 vcc, s9, v40
	v_bfrev_b32_e32 v61, 1
	s_and_saveexec_b64 s[14:15], vcc
	s_cbranch_execz .LBB656_490
; %bb.487:                              ;   in Loop: Header=BB656_215 Depth=1
	v_and_b32_e32 v42, 0x7f, v40
	v_cmp_ne_u32_e32 vcc, s19, v42
	v_mov_b32_e32 v61, 0x7f800001
	s_and_saveexec_b64 s[16:17], vcc
	s_cbranch_execz .LBB656_489
; %bb.488:                              ;   in Loop: Header=BB656_215 Depth=1
	v_and_b32_e32 v52, 7, v40
	v_ffbh_u32_e32 v62, v52
	v_min_u32_e32 v64, 32, v62
	v_subrev_u32_e32 v62, 28, v64
	v_lshlrev_b64 v[62:63], v62, v[40:41]
	v_lshrrev_b32_e32 v61, 3, v42
	v_sub_u32_e32 v40, 29, v64
	v_and_b32_e32 v62, 7, v62
	v_cmp_gt_u32_e32 vcc, 8, v42
	v_cndmask_b32_e32 v40, v61, v40, vcc
	v_cndmask_b32_e32 v42, v52, v62, vcc
	v_lshlrev_b32_e32 v52, 16, v38
	v_lshlrev_b32_e32 v42, 20, v42
	v_and_b32_e32 v52, 0x80000000, v52
	v_lshl_add_u32 v40, v40, 23, v56
	v_or3_b32 v61, v52, v40, v42
.LBB656_489:                            ;   in Loop: Header=BB656_215 Depth=1
	s_or_b64 exec, exec, s[16:17]
.LBB656_490:                            ;   in Loop: Header=BB656_215 Depth=1
	s_or_b64 exec, exec, s[14:15]
.LBB656_491:                            ;   in Loop: Header=BB656_215 Depth=1
	s_or_b64 exec, exec, s[12:13]
	v_lshrrev_b32_e32 v40, 16, v38
	v_cmp_ne_u16_sdwa s[14:15], v40, v55 src0_sel:BYTE_0 src1_sel:DWORD
	s_and_saveexec_b64 s[12:13], s[14:15]
	s_cbranch_execz .LBB656_497
; %bb.492:                              ;   in Loop: Header=BB656_215 Depth=1
	v_cmp_ne_u16_sdwa s[16:17], v40, s9 src0_sel:BYTE_0 src1_sel:DWORD
	v_bfrev_b32_e32 v60, 1
	s_and_saveexec_b64 s[14:15], s[16:17]
	s_cbranch_execz .LBB656_496
; %bb.493:                              ;   in Loop: Header=BB656_215 Depth=1
	v_bfe_u32 v42, v38, 16, 7
	v_cmp_ne_u32_e32 vcc, s19, v42
	v_mov_b32_e32 v60, 0x7f800001
	s_and_saveexec_b64 s[16:17], vcc
	s_cbranch_execz .LBB656_495
; %bb.494:                              ;   in Loop: Header=BB656_215 Depth=1
	v_and_b32_e32 v52, 7, v40
	v_ffbh_u32_e32 v62, v52
	v_min_u32_e32 v64, 32, v62
	v_subrev_u32_e32 v62, 28, v64
	v_lshlrev_b64 v[62:63], v62, v[40:41]
	v_lshrrev_b32_e32 v60, 3, v42
	v_sub_u32_e32 v63, 29, v64
	v_and_b32_e32 v62, 7, v62
	v_cmp_gt_u32_e32 vcc, 8, v42
	v_cndmask_b32_e32 v42, v60, v63, vcc
	v_cndmask_b32_e32 v52, v52, v62, vcc
	v_lshlrev_b32_e32 v40, 24, v40
	v_lshlrev_b32_e32 v52, 20, v52
	v_and_b32_e32 v40, 0x80000000, v40
	v_lshl_add_u32 v42, v42, 23, v56
	v_or3_b32 v60, v40, v42, v52
.LBB656_495:                            ;   in Loop: Header=BB656_215 Depth=1
	s_or_b64 exec, exec, s[16:17]
.LBB656_496:                            ;   in Loop: Header=BB656_215 Depth=1
	s_or_b64 exec, exec, s[14:15]
.LBB656_497:                            ;   in Loop: Header=BB656_215 Depth=1
	s_or_b64 exec, exec, s[12:13]
	v_cmp_lt_u32_e32 vcc, s20, v38
	v_mov_b32_e32 v52, 0
	v_mov_b32_e32 v62, 0
	s_and_saveexec_b64 s[12:13], vcc
	s_cbranch_execz .LBB656_503
; %bb.498:                              ;   in Loop: Header=BB656_215 Depth=1
	v_lshrrev_b32_e32 v40, 24, v38
	v_cmp_ne_u32_e32 vcc, s9, v40
	v_bfrev_b32_e32 v62, 1
	s_and_saveexec_b64 s[14:15], vcc
	s_cbranch_execz .LBB656_502
; %bb.499:                              ;   in Loop: Header=BB656_215 Depth=1
	v_bfe_u32 v38, v38, 24, 7
	v_cmp_ne_u32_e32 vcc, s19, v38
	v_mov_b32_e32 v62, 0x7f800001
	s_and_saveexec_b64 s[16:17], vcc
	s_cbranch_execz .LBB656_501
; %bb.500:                              ;   in Loop: Header=BB656_215 Depth=1
	v_and_b32_e32 v42, 7, v40
	v_ffbh_u32_e32 v62, v42
	v_min_u32_e32 v65, 32, v62
	v_subrev_u32_e32 v62, 28, v65
	v_lshlrev_b64 v[62:63], v62, v[40:41]
	v_lshrrev_b32_e32 v64, 3, v38
	v_sub_u32_e32 v63, 29, v65
	v_and_b32_e32 v62, 7, v62
	v_cmp_gt_u32_e32 vcc, 8, v38
	v_cndmask_b32_e32 v38, v64, v63, vcc
	v_cndmask_b32_e32 v42, v42, v62, vcc
	v_lshlrev_b32_e32 v40, 24, v40
	v_lshlrev_b32_e32 v42, 20, v42
	v_and_b32_e32 v40, 0x80000000, v40
	v_lshl_add_u32 v38, v38, 23, v56
	v_or3_b32 v62, v40, v38, v42
.LBB656_501:                            ;   in Loop: Header=BB656_215 Depth=1
	s_or_b64 exec, exec, s[16:17]
.LBB656_502:                            ;   in Loop: Header=BB656_215 Depth=1
	s_or_b64 exec, exec, s[14:15]
.LBB656_503:                            ;   in Loop: Header=BB656_215 Depth=1
	s_or_b64 exec, exec, s[12:13]
	v_cvt_pkrtz_f16_f32 v65, v44, v59
	buffer_load_dword v44, v51, s[0:3], 0 offen
	buffer_load_dword v42, v51, s[0:3], 0 offen offset:4
	buffer_load_dword v40, v51, s[0:3], 0 offen offset:8
	;; [unrolled: 1-line block ×3, first 2 shown]
	v_cvt_pkrtz_f16_f32 v64, v46, v57
	v_cvt_pkrtz_f16_f32 v58, v58, v61
	v_cvt_pkrtz_f16_f32 v59, v60, v62
	v_mfma_f32_16x16x16f16 v[34:37], v[64:65], v[22:23], v[34:37]
	s_waitcnt vmcnt(3)
	v_cmp_ne_u16_sdwa s[14:15], v44, v55 src0_sel:BYTE_0 src1_sel:DWORD
	v_mfma_f32_16x16x16f16 v[34:37], v[58:59], v[24:25], v[34:37]
	s_and_saveexec_b64 s[12:13], s[14:15]
	s_cbranch_execz .LBB656_509
; %bb.504:                              ;   in Loop: Header=BB656_215 Depth=1
	v_cmp_ne_u16_sdwa s[16:17], v44, s9 src0_sel:BYTE_0 src1_sel:DWORD
	v_bfrev_b32_e32 v52, 1
	s_and_saveexec_b64 s[14:15], s[16:17]
	s_cbranch_execz .LBB656_508
; %bb.505:                              ;   in Loop: Header=BB656_215 Depth=1
	v_and_b32_e32 v46, 0x7f, v44
	v_cmp_ne_u32_e32 vcc, s19, v46
	v_mov_b32_e32 v52, 0x7f800001
	s_and_saveexec_b64 s[16:17], vcc
	s_cbranch_execz .LBB656_507
; %bb.506:                              ;   in Loop: Header=BB656_215 Depth=1
	v_and_b32_e32 v51, 7, v44
	v_ffbh_u32_e32 v57, v51
	v_min_u32_e32 v57, 32, v57
	v_subrev_u32_e32 v58, 28, v57
	v_lshlrev_b64 v[58:59], v58, v[44:45]
	v_lshrrev_b32_e32 v52, 3, v46
	v_sub_u32_e32 v57, 29, v57
	v_and_b32_e32 v58, 7, v58
	v_cmp_gt_u32_e32 vcc, 8, v46
	v_cndmask_b32_e32 v46, v52, v57, vcc
	v_cndmask_b32_e32 v51, v51, v58, vcc
	v_lshlrev_b32_e32 v52, 24, v44
	v_lshlrev_b32_e32 v51, 20, v51
	v_and_b32_e32 v52, 0x80000000, v52
	v_lshl_add_u32 v46, v46, 23, v56
	v_or3_b32 v52, v52, v46, v51
.LBB656_507:                            ;   in Loop: Header=BB656_215 Depth=1
	s_or_b64 exec, exec, s[16:17]
.LBB656_508:                            ;   in Loop: Header=BB656_215 Depth=1
	s_or_b64 exec, exec, s[14:15]
.LBB656_509:                            ;   in Loop: Header=BB656_215 Depth=1
	s_or_b64 exec, exec, s[12:13]
	v_lshrrev_b16_e32 v46, 8, v44
	v_cmp_ne_u16_e32 vcc, 0, v46
	v_mov_b32_e32 v51, 0
	v_mov_b32_e32 v57, 0
	s_and_saveexec_b64 s[12:13], vcc
	s_cbranch_execz .LBB656_515
; %bb.510:                              ;   in Loop: Header=BB656_215 Depth=1
	v_cmp_ne_u16_e32 vcc, s9, v46
	v_bfrev_b32_e32 v57, 1
	s_and_saveexec_b64 s[14:15], vcc
	s_cbranch_execz .LBB656_514
; %bb.511:                              ;   in Loop: Header=BB656_215 Depth=1
	v_and_b32_e32 v58, 0x7f, v46
	v_cmp_ne_u32_e32 vcc, s19, v58
	v_mov_b32_e32 v57, 0x7f800001
	s_and_saveexec_b64 s[16:17], vcc
	s_cbranch_execz .LBB656_513
; %bb.512:                              ;   in Loop: Header=BB656_215 Depth=1
	v_and_b32_e32 v57, 7, v46
	v_ffbh_u32_e32 v60, v57
	v_min_u32_e32 v62, 32, v60
	v_subrev_u32_e32 v60, 28, v62
	v_lshlrev_b64 v[60:61], v60, v[46:47]
	v_lshrrev_b32_e32 v59, 3, v58
	v_sub_u32_e32 v46, 29, v62
	v_and_b32_e32 v60, 7, v60
	v_cmp_gt_u32_e32 vcc, 8, v58
	v_cndmask_b32_e32 v46, v59, v46, vcc
	v_cndmask_b32_e32 v57, v57, v60, vcc
	v_lshlrev_b32_e32 v58, 16, v44
	v_lshlrev_b32_e32 v57, 20, v57
	v_and_b32_e32 v58, 0x80000000, v58
	v_lshl_add_u32 v46, v46, 23, v56
	v_or3_b32 v57, v58, v46, v57
.LBB656_513:                            ;   in Loop: Header=BB656_215 Depth=1
	s_or_b64 exec, exec, s[16:17]
.LBB656_514:                            ;   in Loop: Header=BB656_215 Depth=1
	s_or_b64 exec, exec, s[14:15]
.LBB656_515:                            ;   in Loop: Header=BB656_215 Depth=1
	s_or_b64 exec, exec, s[12:13]
	v_lshrrev_b32_e32 v46, 16, v44
	v_cmp_ne_u16_sdwa s[14:15], v46, v55 src0_sel:BYTE_0 src1_sel:DWORD
	s_and_saveexec_b64 s[12:13], s[14:15]
	s_cbranch_execz .LBB656_521
; %bb.516:                              ;   in Loop: Header=BB656_215 Depth=1
	v_cmp_ne_u16_sdwa s[16:17], v46, s9 src0_sel:BYTE_0 src1_sel:DWORD
	v_bfrev_b32_e32 v51, 1
	s_and_saveexec_b64 s[14:15], s[16:17]
	s_cbranch_execz .LBB656_520
; %bb.517:                              ;   in Loop: Header=BB656_215 Depth=1
	v_bfe_u32 v58, v44, 16, 7
	v_cmp_ne_u32_e32 vcc, s19, v58
	v_mov_b32_e32 v51, 0x7f800001
	s_and_saveexec_b64 s[16:17], vcc
	s_cbranch_execz .LBB656_519
; %bb.518:                              ;   in Loop: Header=BB656_215 Depth=1
	v_and_b32_e32 v51, 7, v46
	v_ffbh_u32_e32 v60, v51
	v_min_u32_e32 v62, 32, v60
	v_subrev_u32_e32 v60, 28, v62
	v_lshlrev_b64 v[60:61], v60, v[46:47]
	v_lshrrev_b32_e32 v59, 3, v58
	v_sub_u32_e32 v61, 29, v62
	v_and_b32_e32 v60, 7, v60
	v_cmp_gt_u32_e32 vcc, 8, v58
	v_cndmask_b32_e32 v58, v59, v61, vcc
	v_cndmask_b32_e32 v51, v51, v60, vcc
	v_lshlrev_b32_e32 v46, 24, v46
	v_lshlrev_b32_e32 v51, 20, v51
	v_and_b32_e32 v46, 0x80000000, v46
	v_lshl_add_u32 v58, v58, 23, v56
	v_or3_b32 v51, v46, v58, v51
.LBB656_519:                            ;   in Loop: Header=BB656_215 Depth=1
	s_or_b64 exec, exec, s[16:17]
.LBB656_520:                            ;   in Loop: Header=BB656_215 Depth=1
	s_or_b64 exec, exec, s[14:15]
.LBB656_521:                            ;   in Loop: Header=BB656_215 Depth=1
	s_or_b64 exec, exec, s[12:13]
	v_cmp_lt_u32_e32 vcc, s20, v44
	v_mov_b32_e32 v58, 0
	v_mov_b32_e32 v59, 0
	s_and_saveexec_b64 s[12:13], vcc
	s_cbranch_execz .LBB656_527
; %bb.522:                              ;   in Loop: Header=BB656_215 Depth=1
	v_lshrrev_b32_e32 v46, 24, v44
	v_cmp_ne_u32_e32 vcc, s9, v46
	v_bfrev_b32_e32 v59, 1
	s_and_saveexec_b64 s[14:15], vcc
	s_cbranch_execz .LBB656_526
; %bb.523:                              ;   in Loop: Header=BB656_215 Depth=1
	v_bfe_u32 v44, v44, 24, 7
	v_cmp_ne_u32_e32 vcc, s19, v44
	v_mov_b32_e32 v59, 0x7f800001
	s_and_saveexec_b64 s[16:17], vcc
	s_cbranch_execz .LBB656_525
; %bb.524:                              ;   in Loop: Header=BB656_215 Depth=1
	v_and_b32_e32 v59, 7, v46
	v_ffbh_u32_e32 v60, v59
	v_min_u32_e32 v63, 32, v60
	v_subrev_u32_e32 v60, 28, v63
	v_lshlrev_b64 v[60:61], v60, v[46:47]
	v_lshrrev_b32_e32 v62, 3, v44
	v_sub_u32_e32 v61, 29, v63
	v_and_b32_e32 v60, 7, v60
	v_cmp_gt_u32_e32 vcc, 8, v44
	v_cndmask_b32_e32 v44, v62, v61, vcc
	v_cndmask_b32_e32 v59, v59, v60, vcc
	v_lshlrev_b32_e32 v46, 24, v46
	v_lshlrev_b32_e32 v59, 20, v59
	v_and_b32_e32 v46, 0x80000000, v46
	v_lshl_add_u32 v44, v44, 23, v56
	v_or3_b32 v59, v46, v44, v59
.LBB656_525:                            ;   in Loop: Header=BB656_215 Depth=1
	s_or_b64 exec, exec, s[16:17]
.LBB656_526:                            ;   in Loop: Header=BB656_215 Depth=1
	s_or_b64 exec, exec, s[14:15]
.LBB656_527:                            ;   in Loop: Header=BB656_215 Depth=1
	s_or_b64 exec, exec, s[12:13]
	s_waitcnt vmcnt(2)
	v_cmp_ne_u16_sdwa s[14:15], v42, v55 src0_sel:BYTE_0 src1_sel:DWORD
	s_and_saveexec_b64 s[12:13], s[14:15]
	s_cbranch_execz .LBB656_533
; %bb.528:                              ;   in Loop: Header=BB656_215 Depth=1
	v_cmp_ne_u16_sdwa s[16:17], v42, s9 src0_sel:BYTE_0 src1_sel:DWORD
	v_bfrev_b32_e32 v58, 1
	s_and_saveexec_b64 s[14:15], s[16:17]
	s_cbranch_execz .LBB656_532
; %bb.529:                              ;   in Loop: Header=BB656_215 Depth=1
	v_and_b32_e32 v44, 0x7f, v42
	v_cmp_ne_u32_e32 vcc, s19, v44
	v_mov_b32_e32 v58, 0x7f800001
	s_and_saveexec_b64 s[16:17], vcc
	s_cbranch_execz .LBB656_531
; %bb.530:                              ;   in Loop: Header=BB656_215 Depth=1
	v_and_b32_e32 v46, 7, v42
	v_ffbh_u32_e32 v60, v46
	v_min_u32_e32 v62, 32, v60
	v_subrev_u32_e32 v60, 28, v62
	v_lshlrev_b64 v[60:61], v60, v[42:43]
	v_lshrrev_b32_e32 v58, 3, v44
	v_sub_u32_e32 v61, 29, v62
	v_and_b32_e32 v60, 7, v60
	v_cmp_gt_u32_e32 vcc, 8, v44
	v_cndmask_b32_e32 v44, v58, v61, vcc
	v_cndmask_b32_e32 v46, v46, v60, vcc
	v_lshlrev_b32_e32 v58, 24, v42
	v_lshlrev_b32_e32 v46, 20, v46
	v_and_b32_e32 v58, 0x80000000, v58
	v_lshl_add_u32 v44, v44, 23, v56
	v_or3_b32 v58, v58, v44, v46
.LBB656_531:                            ;   in Loop: Header=BB656_215 Depth=1
	s_or_b64 exec, exec, s[16:17]
.LBB656_532:                            ;   in Loop: Header=BB656_215 Depth=1
	s_or_b64 exec, exec, s[14:15]
.LBB656_533:                            ;   in Loop: Header=BB656_215 Depth=1
	s_or_b64 exec, exec, s[12:13]
	v_lshrrev_b16_e32 v44, 8, v42
	v_cmp_ne_u16_e32 vcc, 0, v44
	v_mov_b32_e32 v60, 0
	v_mov_b32_e32 v61, 0
	s_and_saveexec_b64 s[12:13], vcc
	s_cbranch_execz .LBB656_539
; %bb.534:                              ;   in Loop: Header=BB656_215 Depth=1
	v_cmp_ne_u16_e32 vcc, s9, v44
	v_bfrev_b32_e32 v61, 1
	s_and_saveexec_b64 s[14:15], vcc
	s_cbranch_execz .LBB656_538
; %bb.535:                              ;   in Loop: Header=BB656_215 Depth=1
	v_and_b32_e32 v46, 0x7f, v44
	v_cmp_ne_u32_e32 vcc, s19, v46
	v_mov_b32_e32 v61, 0x7f800001
	s_and_saveexec_b64 s[16:17], vcc
	s_cbranch_execz .LBB656_537
; %bb.536:                              ;   in Loop: Header=BB656_215 Depth=1
	v_and_b32_e32 v61, 7, v44
	v_ffbh_u32_e32 v62, v61
	v_min_u32_e32 v65, 32, v62
	v_subrev_u32_e32 v62, 28, v65
	v_lshlrev_b64 v[62:63], v62, v[44:45]
	v_lshrrev_b32_e32 v64, 3, v46
	v_sub_u32_e32 v44, 29, v65
	v_and_b32_e32 v62, 7, v62
	v_cmp_gt_u32_e32 vcc, 8, v46
	v_cndmask_b32_e32 v44, v64, v44, vcc
	v_cndmask_b32_e32 v46, v61, v62, vcc
	v_lshlrev_b32_e32 v61, 16, v42
	v_lshlrev_b32_e32 v46, 20, v46
	v_and_b32_e32 v61, 0x80000000, v61
	v_lshl_add_u32 v44, v44, 23, v56
	v_or3_b32 v61, v61, v44, v46
.LBB656_537:                            ;   in Loop: Header=BB656_215 Depth=1
	s_or_b64 exec, exec, s[16:17]
.LBB656_538:                            ;   in Loop: Header=BB656_215 Depth=1
	s_or_b64 exec, exec, s[14:15]
.LBB656_539:                            ;   in Loop: Header=BB656_215 Depth=1
	s_or_b64 exec, exec, s[12:13]
	v_lshrrev_b32_e32 v44, 16, v42
	v_cmp_ne_u16_sdwa s[14:15], v44, v55 src0_sel:BYTE_0 src1_sel:DWORD
	s_and_saveexec_b64 s[12:13], s[14:15]
	s_cbranch_execz .LBB656_545
; %bb.540:                              ;   in Loop: Header=BB656_215 Depth=1
	v_cmp_ne_u16_sdwa s[16:17], v44, s9 src0_sel:BYTE_0 src1_sel:DWORD
	v_bfrev_b32_e32 v60, 1
	s_and_saveexec_b64 s[14:15], s[16:17]
	s_cbranch_execz .LBB656_544
; %bb.541:                              ;   in Loop: Header=BB656_215 Depth=1
	v_bfe_u32 v46, v42, 16, 7
	v_cmp_ne_u32_e32 vcc, s19, v46
	v_mov_b32_e32 v60, 0x7f800001
	s_and_saveexec_b64 s[16:17], vcc
	s_cbranch_execz .LBB656_543
; %bb.542:                              ;   in Loop: Header=BB656_215 Depth=1
	v_and_b32_e32 v60, 7, v44
	v_ffbh_u32_e32 v62, v60
	v_min_u32_e32 v65, 32, v62
	v_subrev_u32_e32 v62, 28, v65
	v_lshlrev_b64 v[62:63], v62, v[44:45]
	v_lshrrev_b32_e32 v64, 3, v46
	v_sub_u32_e32 v63, 29, v65
	v_and_b32_e32 v62, 7, v62
	v_cmp_gt_u32_e32 vcc, 8, v46
	v_cndmask_b32_e32 v46, v64, v63, vcc
	v_cndmask_b32_e32 v60, v60, v62, vcc
	v_lshlrev_b32_e32 v44, 24, v44
	v_lshlrev_b32_e32 v60, 20, v60
	v_and_b32_e32 v44, 0x80000000, v44
	v_lshl_add_u32 v46, v46, 23, v56
	v_or3_b32 v60, v44, v46, v60
.LBB656_543:                            ;   in Loop: Header=BB656_215 Depth=1
	s_or_b64 exec, exec, s[16:17]
.LBB656_544:                            ;   in Loop: Header=BB656_215 Depth=1
	s_or_b64 exec, exec, s[14:15]
.LBB656_545:                            ;   in Loop: Header=BB656_215 Depth=1
	s_or_b64 exec, exec, s[12:13]
	v_cmp_lt_u32_e32 vcc, s20, v42
	v_mov_b32_e32 v46, 0
	v_mov_b32_e32 v62, 0
	s_and_saveexec_b64 s[12:13], vcc
	s_cbranch_execz .LBB656_551
; %bb.546:                              ;   in Loop: Header=BB656_215 Depth=1
	v_lshrrev_b32_e32 v44, 24, v42
	v_cmp_ne_u32_e32 vcc, s9, v44
	v_bfrev_b32_e32 v62, 1
	s_and_saveexec_b64 s[14:15], vcc
	s_cbranch_execz .LBB656_550
; %bb.547:                              ;   in Loop: Header=BB656_215 Depth=1
	v_bfe_u32 v42, v42, 24, 7
	v_cmp_ne_u32_e32 vcc, s19, v42
	v_mov_b32_e32 v62, 0x7f800001
	s_and_saveexec_b64 s[16:17], vcc
	s_cbranch_execz .LBB656_549
; %bb.548:                              ;   in Loop: Header=BB656_215 Depth=1
	v_and_b32_e32 v64, 7, v44
	v_ffbh_u32_e32 v62, v64
	v_min_u32_e32 v66, 32, v62
	v_subrev_u32_e32 v62, 28, v66
	v_lshlrev_b64 v[62:63], v62, v[44:45]
	v_lshrrev_b32_e32 v65, 3, v42
	v_sub_u32_e32 v63, 29, v66
	v_and_b32_e32 v62, 7, v62
	v_cmp_gt_u32_e32 vcc, 8, v42
	v_cndmask_b32_e32 v42, v65, v63, vcc
	v_cndmask_b32_e32 v62, v64, v62, vcc
	v_lshlrev_b32_e32 v44, 24, v44
	v_lshlrev_b32_e32 v62, 20, v62
	v_and_b32_e32 v44, 0x80000000, v44
	v_lshl_add_u32 v42, v42, 23, v56
	v_or3_b32 v62, v44, v42, v62
.LBB656_549:                            ;   in Loop: Header=BB656_215 Depth=1
	s_or_b64 exec, exec, s[16:17]
.LBB656_550:                            ;   in Loop: Header=BB656_215 Depth=1
	s_or_b64 exec, exec, s[14:15]
.LBB656_551:                            ;   in Loop: Header=BB656_215 Depth=1
	s_or_b64 exec, exec, s[12:13]
	v_cvt_pkrtz_f16_f32 v64, v52, v57
	v_cvt_pkrtz_f16_f32 v65, v51, v59
	;; [unrolled: 1-line block ×4, first 2 shown]
	s_waitcnt vmcnt(1)
	v_cmp_ne_u16_sdwa s[14:15], v40, v55 src0_sel:BYTE_0 src1_sel:DWORD
	v_mfma_f32_16x16x16f16 v[34:37], v[64:65], v[26:27], v[34:37]
	v_mfma_f32_16x16x16f16 v[34:37], v[58:59], v[28:29], v[34:37]
	s_and_saveexec_b64 s[12:13], s[14:15]
	s_cbranch_execz .LBB656_557
; %bb.552:                              ;   in Loop: Header=BB656_215 Depth=1
	v_cmp_ne_u16_sdwa s[16:17], v40, s9 src0_sel:BYTE_0 src1_sel:DWORD
	v_bfrev_b32_e32 v46, 1
	s_and_saveexec_b64 s[14:15], s[16:17]
	s_cbranch_execz .LBB656_556
; %bb.553:                              ;   in Loop: Header=BB656_215 Depth=1
	v_and_b32_e32 v42, 0x7f, v40
	v_cmp_ne_u32_e32 vcc, s19, v42
	v_mov_b32_e32 v46, 0x7f800001
	s_and_saveexec_b64 s[16:17], vcc
	s_cbranch_execz .LBB656_555
; %bb.554:                              ;   in Loop: Header=BB656_215 Depth=1
	v_and_b32_e32 v44, 7, v40
	v_ffbh_u32_e32 v51, v44
	v_min_u32_e32 v51, 32, v51
	v_subrev_u32_e32 v52, 28, v51
	v_lshlrev_b64 v[58:59], v52, v[40:41]
	v_lshrrev_b32_e32 v46, 3, v42
	v_sub_u32_e32 v51, 29, v51
	v_and_b32_e32 v52, 7, v58
	v_cmp_gt_u32_e32 vcc, 8, v42
	v_cndmask_b32_e32 v42, v46, v51, vcc
	v_cndmask_b32_e32 v44, v44, v52, vcc
	v_lshlrev_b32_e32 v46, 24, v40
	v_lshlrev_b32_e32 v44, 20, v44
	v_and_b32_e32 v46, 0x80000000, v46
	v_lshl_add_u32 v42, v42, 23, v56
	v_or3_b32 v46, v46, v42, v44
.LBB656_555:                            ;   in Loop: Header=BB656_215 Depth=1
	s_or_b64 exec, exec, s[16:17]
.LBB656_556:                            ;   in Loop: Header=BB656_215 Depth=1
	s_or_b64 exec, exec, s[14:15]
.LBB656_557:                            ;   in Loop: Header=BB656_215 Depth=1
	s_or_b64 exec, exec, s[12:13]
	v_lshrrev_b16_e32 v42, 8, v40
	v_cmp_ne_u16_e32 vcc, 0, v42
	v_mov_b32_e32 v44, 0
	v_mov_b32_e32 v51, 0
	s_and_saveexec_b64 s[12:13], vcc
	s_cbranch_execz .LBB656_563
; %bb.558:                              ;   in Loop: Header=BB656_215 Depth=1
	v_cmp_ne_u16_e32 vcc, s9, v42
	v_bfrev_b32_e32 v51, 1
	s_and_saveexec_b64 s[14:15], vcc
	s_cbranch_execz .LBB656_562
; %bb.559:                              ;   in Loop: Header=BB656_215 Depth=1
	v_and_b32_e32 v52, 0x7f, v42
	v_cmp_ne_u32_e32 vcc, s19, v52
	v_mov_b32_e32 v51, 0x7f800001
	s_and_saveexec_b64 s[16:17], vcc
	s_cbranch_execz .LBB656_561
; %bb.560:                              ;   in Loop: Header=BB656_215 Depth=1
	v_and_b32_e32 v51, 7, v42
	v_ffbh_u32_e32 v58, v51
	v_min_u32_e32 v60, 32, v58
	v_subrev_u32_e32 v58, 28, v60
	v_lshlrev_b64 v[58:59], v58, v[42:43]
	v_lshrrev_b32_e32 v57, 3, v52
	v_sub_u32_e32 v42, 29, v60
	v_and_b32_e32 v58, 7, v58
	v_cmp_gt_u32_e32 vcc, 8, v52
	v_cndmask_b32_e32 v42, v57, v42, vcc
	v_cndmask_b32_e32 v51, v51, v58, vcc
	v_lshlrev_b32_e32 v52, 16, v40
	v_lshlrev_b32_e32 v51, 20, v51
	v_and_b32_e32 v52, 0x80000000, v52
	v_lshl_add_u32 v42, v42, 23, v56
	v_or3_b32 v51, v52, v42, v51
.LBB656_561:                            ;   in Loop: Header=BB656_215 Depth=1
	s_or_b64 exec, exec, s[16:17]
.LBB656_562:                            ;   in Loop: Header=BB656_215 Depth=1
	s_or_b64 exec, exec, s[14:15]
.LBB656_563:                            ;   in Loop: Header=BB656_215 Depth=1
	s_or_b64 exec, exec, s[12:13]
	v_lshrrev_b32_e32 v42, 16, v40
	v_cmp_ne_u16_sdwa s[14:15], v42, v55 src0_sel:BYTE_0 src1_sel:DWORD
	s_and_saveexec_b64 s[12:13], s[14:15]
	s_cbranch_execz .LBB656_569
; %bb.564:                              ;   in Loop: Header=BB656_215 Depth=1
	v_cmp_ne_u16_sdwa s[16:17], v42, s9 src0_sel:BYTE_0 src1_sel:DWORD
	v_bfrev_b32_e32 v44, 1
	s_and_saveexec_b64 s[14:15], s[16:17]
	s_cbranch_execz .LBB656_568
; %bb.565:                              ;   in Loop: Header=BB656_215 Depth=1
	v_bfe_u32 v52, v40, 16, 7
	v_cmp_ne_u32_e32 vcc, s19, v52
	v_mov_b32_e32 v44, 0x7f800001
	s_and_saveexec_b64 s[16:17], vcc
	s_cbranch_execz .LBB656_567
; %bb.566:                              ;   in Loop: Header=BB656_215 Depth=1
	v_and_b32_e32 v44, 7, v42
	v_ffbh_u32_e32 v58, v44
	v_min_u32_e32 v60, 32, v58
	v_subrev_u32_e32 v58, 28, v60
	v_lshlrev_b64 v[58:59], v58, v[42:43]
	v_lshrrev_b32_e32 v57, 3, v52
	v_sub_u32_e32 v59, 29, v60
	v_and_b32_e32 v58, 7, v58
	v_cmp_gt_u32_e32 vcc, 8, v52
	v_cndmask_b32_e32 v52, v57, v59, vcc
	v_cndmask_b32_e32 v44, v44, v58, vcc
	v_lshlrev_b32_e32 v42, 24, v42
	v_lshlrev_b32_e32 v44, 20, v44
	v_and_b32_e32 v42, 0x80000000, v42
	v_lshl_add_u32 v52, v52, 23, v56
	v_or3_b32 v44, v42, v52, v44
.LBB656_567:                            ;   in Loop: Header=BB656_215 Depth=1
	s_or_b64 exec, exec, s[16:17]
.LBB656_568:                            ;   in Loop: Header=BB656_215 Depth=1
	s_or_b64 exec, exec, s[14:15]
.LBB656_569:                            ;   in Loop: Header=BB656_215 Depth=1
	s_or_b64 exec, exec, s[12:13]
	v_cmp_lt_u32_e32 vcc, s20, v40
	v_mov_b32_e32 v52, 0
	v_mov_b32_e32 v57, 0
	s_and_saveexec_b64 s[12:13], vcc
	s_cbranch_execz .LBB656_575
; %bb.570:                              ;   in Loop: Header=BB656_215 Depth=1
	v_lshrrev_b32_e32 v42, 24, v40
	v_cmp_ne_u32_e32 vcc, s9, v42
	v_bfrev_b32_e32 v57, 1
	s_and_saveexec_b64 s[14:15], vcc
	s_cbranch_execz .LBB656_574
; %bb.571:                              ;   in Loop: Header=BB656_215 Depth=1
	v_bfe_u32 v40, v40, 24, 7
	v_cmp_ne_u32_e32 vcc, s19, v40
	v_mov_b32_e32 v57, 0x7f800001
	s_and_saveexec_b64 s[16:17], vcc
	s_cbranch_execz .LBB656_573
; %bb.572:                              ;   in Loop: Header=BB656_215 Depth=1
	v_and_b32_e32 v57, 7, v42
	v_ffbh_u32_e32 v58, v57
	v_min_u32_e32 v61, 32, v58
	v_subrev_u32_e32 v58, 28, v61
	v_lshlrev_b64 v[58:59], v58, v[42:43]
	v_lshrrev_b32_e32 v60, 3, v40
	v_sub_u32_e32 v59, 29, v61
	v_and_b32_e32 v58, 7, v58
	v_cmp_gt_u32_e32 vcc, 8, v40
	v_cndmask_b32_e32 v40, v60, v59, vcc
	v_cndmask_b32_e32 v57, v57, v58, vcc
	v_lshlrev_b32_e32 v42, 24, v42
	v_lshlrev_b32_e32 v57, 20, v57
	v_and_b32_e32 v42, 0x80000000, v42
	v_lshl_add_u32 v40, v40, 23, v56
	v_or3_b32 v57, v42, v40, v57
.LBB656_573:                            ;   in Loop: Header=BB656_215 Depth=1
	s_or_b64 exec, exec, s[16:17]
.LBB656_574:                            ;   in Loop: Header=BB656_215 Depth=1
	s_or_b64 exec, exec, s[14:15]
.LBB656_575:                            ;   in Loop: Header=BB656_215 Depth=1
	s_or_b64 exec, exec, s[12:13]
	s_waitcnt vmcnt(0)
	v_cmp_ne_u16_sdwa s[14:15], v38, v55 src0_sel:BYTE_0 src1_sel:DWORD
	s_and_saveexec_b64 s[12:13], s[14:15]
	s_cbranch_execz .LBB656_581
; %bb.576:                              ;   in Loop: Header=BB656_215 Depth=1
	v_cmp_ne_u16_sdwa s[16:17], v38, s9 src0_sel:BYTE_0 src1_sel:DWORD
	v_bfrev_b32_e32 v52, 1
	s_and_saveexec_b64 s[14:15], s[16:17]
	s_cbranch_execz .LBB656_580
; %bb.577:                              ;   in Loop: Header=BB656_215 Depth=1
	v_and_b32_e32 v40, 0x7f, v38
	v_cmp_ne_u32_e32 vcc, s19, v40
	v_mov_b32_e32 v52, 0x7f800001
	s_and_saveexec_b64 s[16:17], vcc
	s_cbranch_execz .LBB656_579
; %bb.578:                              ;   in Loop: Header=BB656_215 Depth=1
	v_and_b32_e32 v42, 7, v38
	v_ffbh_u32_e32 v58, v42
	v_min_u32_e32 v60, 32, v58
	v_subrev_u32_e32 v58, 28, v60
	v_lshlrev_b64 v[58:59], v58, v[38:39]
	v_lshrrev_b32_e32 v52, 3, v40
	v_sub_u32_e32 v59, 29, v60
	v_and_b32_e32 v58, 7, v58
	v_cmp_gt_u32_e32 vcc, 8, v40
	v_cndmask_b32_e32 v40, v52, v59, vcc
	v_cndmask_b32_e32 v42, v42, v58, vcc
	v_lshlrev_b32_e32 v52, 24, v38
	v_lshlrev_b32_e32 v42, 20, v42
	v_and_b32_e32 v52, 0x80000000, v52
	v_lshl_add_u32 v40, v40, 23, v56
	v_or3_b32 v52, v52, v40, v42
.LBB656_579:                            ;   in Loop: Header=BB656_215 Depth=1
	s_or_b64 exec, exec, s[16:17]
.LBB656_580:                            ;   in Loop: Header=BB656_215 Depth=1
	s_or_b64 exec, exec, s[14:15]
.LBB656_581:                            ;   in Loop: Header=BB656_215 Depth=1
	s_or_b64 exec, exec, s[12:13]
	v_lshrrev_b16_e32 v40, 8, v38
	v_cmp_ne_u16_e32 vcc, 0, v40
	v_mov_b32_e32 v42, 0
	v_mov_b32_e32 v58, 0
	s_and_saveexec_b64 s[12:13], vcc
	s_cbranch_execz .LBB656_587
; %bb.582:                              ;   in Loop: Header=BB656_215 Depth=1
	v_cmp_ne_u16_e32 vcc, s9, v40
	v_bfrev_b32_e32 v58, 1
	s_and_saveexec_b64 s[14:15], vcc
	s_cbranch_execz .LBB656_586
; %bb.583:                              ;   in Loop: Header=BB656_215 Depth=1
	v_and_b32_e32 v59, 0x7f, v40
	v_cmp_ne_u32_e32 vcc, s19, v59
	v_mov_b32_e32 v58, 0x7f800001
	s_and_saveexec_b64 s[16:17], vcc
	s_cbranch_execz .LBB656_585
; %bb.584:                              ;   in Loop: Header=BB656_215 Depth=1
	v_and_b32_e32 v58, 7, v40
	v_ffbh_u32_e32 v60, v58
	v_min_u32_e32 v63, 32, v60
	v_subrev_u32_e32 v60, 28, v63
	v_lshlrev_b64 v[60:61], v60, v[40:41]
	v_lshrrev_b32_e32 v62, 3, v59
	v_sub_u32_e32 v40, 29, v63
	v_and_b32_e32 v60, 7, v60
	v_cmp_gt_u32_e32 vcc, 8, v59
	v_cndmask_b32_e32 v40, v62, v40, vcc
	v_cndmask_b32_e32 v58, v58, v60, vcc
	v_lshlrev_b32_e32 v59, 16, v38
	v_lshlrev_b32_e32 v58, 20, v58
	v_and_b32_e32 v59, 0x80000000, v59
	v_lshl_add_u32 v40, v40, 23, v56
	v_or3_b32 v58, v59, v40, v58
.LBB656_585:                            ;   in Loop: Header=BB656_215 Depth=1
	s_or_b64 exec, exec, s[16:17]
.LBB656_586:                            ;   in Loop: Header=BB656_215 Depth=1
	s_or_b64 exec, exec, s[14:15]
.LBB656_587:                            ;   in Loop: Header=BB656_215 Depth=1
	s_or_b64 exec, exec, s[12:13]
	v_lshrrev_b32_e32 v40, 16, v38
	v_cmp_ne_u16_sdwa s[14:15], v40, v55 src0_sel:BYTE_0 src1_sel:DWORD
	s_and_saveexec_b64 s[12:13], s[14:15]
	s_cbranch_execz .LBB656_593
; %bb.588:                              ;   in Loop: Header=BB656_215 Depth=1
	v_cmp_ne_u16_sdwa s[16:17], v40, s9 src0_sel:BYTE_0 src1_sel:DWORD
	v_bfrev_b32_e32 v42, 1
	s_and_saveexec_b64 s[14:15], s[16:17]
	s_cbranch_execz .LBB656_592
; %bb.589:                              ;   in Loop: Header=BB656_215 Depth=1
	v_bfe_u32 v59, v38, 16, 7
	v_cmp_ne_u32_e32 vcc, s19, v59
	v_mov_b32_e32 v42, 0x7f800001
	s_and_saveexec_b64 s[16:17], vcc
	s_cbranch_execz .LBB656_591
; %bb.590:                              ;   in Loop: Header=BB656_215 Depth=1
	v_and_b32_e32 v42, 7, v40
	v_ffbh_u32_e32 v60, v42
	v_min_u32_e32 v63, 32, v60
	v_subrev_u32_e32 v60, 28, v63
	v_lshlrev_b64 v[60:61], v60, v[40:41]
	v_lshrrev_b32_e32 v62, 3, v59
	v_sub_u32_e32 v61, 29, v63
	v_and_b32_e32 v60, 7, v60
	v_cmp_gt_u32_e32 vcc, 8, v59
	v_cndmask_b32_e32 v59, v62, v61, vcc
	v_cndmask_b32_e32 v42, v42, v60, vcc
	v_lshlrev_b32_e32 v40, 24, v40
	v_lshlrev_b32_e32 v42, 20, v42
	v_and_b32_e32 v40, 0x80000000, v40
	v_lshl_add_u32 v59, v59, 23, v56
	v_or3_b32 v42, v40, v59, v42
.LBB656_591:                            ;   in Loop: Header=BB656_215 Depth=1
	s_or_b64 exec, exec, s[16:17]
.LBB656_592:                            ;   in Loop: Header=BB656_215 Depth=1
	s_or_b64 exec, exec, s[14:15]
.LBB656_593:                            ;   in Loop: Header=BB656_215 Depth=1
	s_or_b64 exec, exec, s[12:13]
	v_cmp_lt_u32_e32 vcc, s20, v38
	v_mov_b32_e32 v59, 0
	s_and_saveexec_b64 s[12:13], vcc
	s_cbranch_execz .LBB656_214
; %bb.594:                              ;   in Loop: Header=BB656_215 Depth=1
	v_lshrrev_b32_e32 v40, 24, v38
	v_cmp_ne_u32_e32 vcc, s9, v40
	v_bfrev_b32_e32 v59, 1
	s_and_saveexec_b64 s[14:15], vcc
	s_cbranch_execz .LBB656_213
; %bb.595:                              ;   in Loop: Header=BB656_215 Depth=1
	v_bfe_u32 v38, v38, 24, 7
	v_cmp_ne_u32_e32 vcc, s19, v38
	v_mov_b32_e32 v59, 0x7f800001
	s_and_saveexec_b64 s[16:17], vcc
	s_cbranch_execz .LBB656_212
; %bb.596:                              ;   in Loop: Header=BB656_215 Depth=1
	v_and_b32_e32 v59, 7, v40
	v_ffbh_u32_e32 v60, v59
	v_min_u32_e32 v63, 32, v60
	v_subrev_u32_e32 v60, 28, v63
	v_lshlrev_b64 v[60:61], v60, v[40:41]
	v_lshrrev_b32_e32 v62, 3, v38
	v_sub_u32_e32 v61, 29, v63
	v_and_b32_e32 v60, 7, v60
	v_cmp_gt_u32_e32 vcc, 8, v38
	v_cndmask_b32_e32 v38, v62, v61, vcc
	v_cndmask_b32_e32 v59, v59, v60, vcc
	v_lshlrev_b32_e32 v40, 24, v40
	v_lshlrev_b32_e32 v59, 20, v59
	v_and_b32_e32 v40, 0x80000000, v40
	v_lshl_add_u32 v38, v38, 23, v56
	v_or3_b32 v59, v40, v38, v59
	s_branch .LBB656_212
.LBB656_597:
	s_barrier
	buffer_load_dword v2, off, s[0:3], 0 offset:320
	buffer_load_dword v5, off, s[0:3], 0 offset:332
	;; [unrolled: 1-line block ×4, first 2 shown]
	v_cmp_gt_u32_e32 vcc, 64, v0
	v_cmp_ne_u32_e64 s[4:5], 3, v41
	s_and_b64 s[4:5], vcc, s[4:5]
	s_waitcnt vmcnt(0)
	ds_write2st64_b64 v53, v[2:3], v[4:5] offset1:1
	s_waitcnt lgkmcnt(0)
	s_barrier
	s_and_saveexec_b64 s[6:7], s[4:5]
	s_cbranch_execz .LBB656_599
; %bb.598:
	s_mul_i32 s4, s18, s8
	s_lshl_b32 s6, s48, 7
	s_mul_hi_u32 s5, s4, s6
	s_mul_i32 s4, s4, s6
	s_lshl_b64 s[4:5], s[4:5], 1
	s_add_u32 s7, s50, s4
	v_lshlrev_b32_e32 v4, 6, v43
	s_addc_u32 s8, s51, s5
	s_lshl_b32 s4, s26, 7
	s_mov_b32 s5, 0
	v_lshl_or_b32 v0, v0, 10, v4
	s_lshl_b64 s[4:5], s[4:5], 1
	v_lshlrev_b32_e32 v2, 5, v41
	v_and_b32_e32 v3, 16, v45
	v_and_b32_e32 v0, 0x1a00, v0
	s_add_u32 s7, s7, s4
	v_or3_b32 v0, v0, v2, v3
	s_addc_u32 s8, s8, s5
	v_mad_u64_u32 v[6:7], s[4:5], s6, v39, 0
	ds_read_b128 v[2:5], v0
	v_lshlrev_b64 v[6:7], 1, v[6:7]
	v_mov_b32_e32 v0, s8
	v_add_co_u32_e32 v6, vcc, s7, v6
	v_addc_co_u32_e32 v7, vcc, v0, v7, vcc
	v_add_co_u32_e32 v0, vcc, v6, v1
	v_addc_co_u32_e32 v1, vcc, 0, v7, vcc
	s_waitcnt lgkmcnt(0)
	global_store_dwordx4 v[0:1], v[2:5], off
.LBB656_599:
	s_endpgm
	.section	.rodata,"a",@progbits
	.p2align	6, 0x0
	.amdhsa_kernel _Z39paged_attention_ll4mi_QKV_mfma16_kernelIDF16_hLN4vllm18Fp8KVCacheDataTypeE1EDF16_Li32ELi128ELi256ELb1ELi3EL8MFMAType0EEvPKT_PKT0_S8_ifPKiSA_SA_iPKfiiiPfSD_PS3_PT2_iSC_SC_
		.amdhsa_group_segment_fixed_size 8192
		.amdhsa_private_segment_fixed_size 352
		.amdhsa_kernarg_size 400
		.amdhsa_user_sgpr_count 8
		.amdhsa_user_sgpr_private_segment_buffer 1
		.amdhsa_user_sgpr_dispatch_ptr 0
		.amdhsa_user_sgpr_queue_ptr 0
		.amdhsa_user_sgpr_kernarg_segment_ptr 1
		.amdhsa_user_sgpr_dispatch_id 0
		.amdhsa_user_sgpr_flat_scratch_init 1
		.amdhsa_user_sgpr_kernarg_preload_length 0
		.amdhsa_user_sgpr_kernarg_preload_offset 0
		.amdhsa_user_sgpr_private_segment_size 0
		.amdhsa_uses_dynamic_stack 0
		.amdhsa_system_sgpr_private_segment_wavefront_offset 1
		.amdhsa_system_sgpr_workgroup_id_x 1
		.amdhsa_system_sgpr_workgroup_id_y 1
		.amdhsa_system_sgpr_workgroup_id_z 1
		.amdhsa_system_sgpr_workgroup_info 0
		.amdhsa_system_vgpr_workitem_id 0
		.amdhsa_next_free_vgpr 82
		.amdhsa_next_free_sgpr 53
		.amdhsa_accum_offset 84
		.amdhsa_reserve_vcc 1
		.amdhsa_reserve_flat_scratch 0
		.amdhsa_float_round_mode_32 0
		.amdhsa_float_round_mode_16_64 0
		.amdhsa_float_denorm_mode_32 3
		.amdhsa_float_denorm_mode_16_64 3
		.amdhsa_dx10_clamp 1
		.amdhsa_ieee_mode 1
		.amdhsa_fp16_overflow 0
		.amdhsa_tg_split 0
		.amdhsa_exception_fp_ieee_invalid_op 0
		.amdhsa_exception_fp_denorm_src 0
		.amdhsa_exception_fp_ieee_div_zero 0
		.amdhsa_exception_fp_ieee_overflow 0
		.amdhsa_exception_fp_ieee_underflow 0
		.amdhsa_exception_fp_ieee_inexact 0
		.amdhsa_exception_int_div_zero 0
	.end_amdhsa_kernel
	.section	.text._Z39paged_attention_ll4mi_QKV_mfma16_kernelIDF16_hLN4vllm18Fp8KVCacheDataTypeE1EDF16_Li32ELi128ELi256ELb1ELi3EL8MFMAType0EEvPKT_PKT0_S8_ifPKiSA_SA_iPKfiiiPfSD_PS3_PT2_iSC_SC_,"axG",@progbits,_Z39paged_attention_ll4mi_QKV_mfma16_kernelIDF16_hLN4vllm18Fp8KVCacheDataTypeE1EDF16_Li32ELi128ELi256ELb1ELi3EL8MFMAType0EEvPKT_PKT0_S8_ifPKiSA_SA_iPKfiiiPfSD_PS3_PT2_iSC_SC_,comdat
.Lfunc_end656:
	.size	_Z39paged_attention_ll4mi_QKV_mfma16_kernelIDF16_hLN4vllm18Fp8KVCacheDataTypeE1EDF16_Li32ELi128ELi256ELb1ELi3EL8MFMAType0EEvPKT_PKT0_S8_ifPKiSA_SA_iPKfiiiPfSD_PS3_PT2_iSC_SC_, .Lfunc_end656-_Z39paged_attention_ll4mi_QKV_mfma16_kernelIDF16_hLN4vllm18Fp8KVCacheDataTypeE1EDF16_Li32ELi128ELi256ELb1ELi3EL8MFMAType0EEvPKT_PKT0_S8_ifPKiSA_SA_iPKfiiiPfSD_PS3_PT2_iSC_SC_
                                        ; -- End function
	.section	.AMDGPU.csdata,"",@progbits
; Kernel info:
; codeLenInByte = 21440
; NumSgprs: 57
; NumVgprs: 82
; NumAgprs: 0
; TotalNumVgprs: 82
; ScratchSize: 352
; MemoryBound: 0
; FloatMode: 240
; IeeeMode: 1
; LDSByteSize: 8192 bytes/workgroup (compile time only)
; SGPRBlocks: 7
; VGPRBlocks: 10
; NumSGPRsForWavesPerEU: 57
; NumVGPRsForWavesPerEU: 82
; AccumOffset: 84
; Occupancy: 5
; WaveLimiterHint : 1
; COMPUTE_PGM_RSRC2:SCRATCH_EN: 1
; COMPUTE_PGM_RSRC2:USER_SGPR: 8
; COMPUTE_PGM_RSRC2:TRAP_HANDLER: 0
; COMPUTE_PGM_RSRC2:TGID_X_EN: 1
; COMPUTE_PGM_RSRC2:TGID_Y_EN: 1
; COMPUTE_PGM_RSRC2:TGID_Z_EN: 1
; COMPUTE_PGM_RSRC2:TIDIG_COMP_CNT: 0
; COMPUTE_PGM_RSRC3_GFX90A:ACCUM_OFFSET: 20
; COMPUTE_PGM_RSRC3_GFX90A:TG_SPLIT: 0
	.section	.text._Z39paged_attention_ll4mi_QKV_mfma16_kernelIDF16_hLN4vllm18Fp8KVCacheDataTypeE1EDF16_Li32ELi128ELi256ELb1ELi4EL8MFMAType0EEvPKT_PKT0_S8_ifPKiSA_SA_iPKfiiiPfSD_PS3_PT2_iSC_SC_,"axG",@progbits,_Z39paged_attention_ll4mi_QKV_mfma16_kernelIDF16_hLN4vllm18Fp8KVCacheDataTypeE1EDF16_Li32ELi128ELi256ELb1ELi4EL8MFMAType0EEvPKT_PKT0_S8_ifPKiSA_SA_iPKfiiiPfSD_PS3_PT2_iSC_SC_,comdat
	.protected	_Z39paged_attention_ll4mi_QKV_mfma16_kernelIDF16_hLN4vllm18Fp8KVCacheDataTypeE1EDF16_Li32ELi128ELi256ELb1ELi4EL8MFMAType0EEvPKT_PKT0_S8_ifPKiSA_SA_iPKfiiiPfSD_PS3_PT2_iSC_SC_ ; -- Begin function _Z39paged_attention_ll4mi_QKV_mfma16_kernelIDF16_hLN4vllm18Fp8KVCacheDataTypeE1EDF16_Li32ELi128ELi256ELb1ELi4EL8MFMAType0EEvPKT_PKT0_S8_ifPKiSA_SA_iPKfiiiPfSD_PS3_PT2_iSC_SC_
	.globl	_Z39paged_attention_ll4mi_QKV_mfma16_kernelIDF16_hLN4vllm18Fp8KVCacheDataTypeE1EDF16_Li32ELi128ELi256ELb1ELi4EL8MFMAType0EEvPKT_PKT0_S8_ifPKiSA_SA_iPKfiiiPfSD_PS3_PT2_iSC_SC_
	.p2align	8
	.type	_Z39paged_attention_ll4mi_QKV_mfma16_kernelIDF16_hLN4vllm18Fp8KVCacheDataTypeE1EDF16_Li32ELi128ELi256ELb1ELi4EL8MFMAType0EEvPKT_PKT0_S8_ifPKiSA_SA_iPKfiiiPfSD_PS3_PT2_iSC_SC_,@function
_Z39paged_attention_ll4mi_QKV_mfma16_kernelIDF16_hLN4vllm18Fp8KVCacheDataTypeE1EDF16_Li32ELi128ELi256ELb1ELi4EL8MFMAType0EEvPKT_PKT0_S8_ifPKiSA_SA_iPKfiiiPfSD_PS3_PT2_iSC_SC_: ; @_Z39paged_attention_ll4mi_QKV_mfma16_kernelIDF16_hLN4vllm18Fp8KVCacheDataTypeE1EDF16_Li32ELi128ELi256ELb1ELi4EL8MFMAType0EEvPKT_PKT0_S8_ifPKiSA_SA_iPKfiiiPfSD_PS3_PT2_iSC_SC_
; %bb.0:
	s_load_dwordx2 s[6:7], s[4:5], 0x30
	s_add_u32 s0, s0, s11
	s_addc_u32 s1, s1, 0
	s_mov_b32 s28, s9
	s_mov_b64 s[14:15], 0
	s_waitcnt lgkmcnt(0)
	s_cmp_lg_u64 s[6:7], 0
	s_cselect_b64 s[12:13], -1, 0
	s_and_b64 vcc, exec, s[12:13]
	s_cbranch_vccz .LBB657_7
; %bb.1:
	s_add_i32 s16, s8, 1
	s_mov_b32 s17, 0
	s_lshl_b64 s[18:19], s[16:17], 2
	s_add_u32 s18, s6, s18
	s_mov_b32 s9, s17
	s_addc_u32 s19, s7, s19
	s_lshl_b64 s[16:17], s[8:9], 2
	s_add_u32 s16, s6, s16
	s_addc_u32 s17, s7, s17
	s_load_dword s11, s[18:19], 0x0
	s_load_dword s20, s[16:17], 0x0
	s_waitcnt lgkmcnt(0)
	s_sub_i32 s11, s11, s20
	s_cmp_eq_u32 s11, 1
	s_cselect_b64 s[16:17], -1, 0
	s_andn2_b64 vcc, exec, s[14:15]
	s_cbranch_vccnz .LBB657_3
.LBB657_2:
	s_mov_b32 s9, 0
	s_mov_b64 s[16:17], -1
.LBB657_3:
	s_andn2_b64 vcc, exec, s[16:17]
	s_cbranch_vccnz .LBB657_599
; %bb.4:
	s_load_dwordx2 s[16:17], s[4:5], 0x28
	s_lshl_b64 s[14:15], s[8:9], 2
	s_waitcnt lgkmcnt(0)
	s_add_u32 s16, s16, s14
	s_addc_u32 s17, s17, s15
	s_load_dword s33, s[16:17], 0x0
	s_lshl_b32 s22, s28, 8
	s_waitcnt lgkmcnt(0)
	s_cmp_ge_i32 s22, s33
	s_cbranch_scc1 .LBB657_599
; %bb.5:
	s_add_i32 s18, s33, 31
	s_load_dwordx2 s[16:17], s[4:5], 0x20
	s_load_dword s11, s[4:5], 0x38
	s_ashr_i32 s19, s18, 31
	v_and_b32_e32 v1, 0xcf, v0
	s_lshr_b32 s19, s19, 27
	v_add_u32_e32 v1, s22, v1
	s_add_i32 s18, s18, s19
	v_ashrrev_i32_e32 v2, 31, v1
	s_ashr_i32 s25, s18, 5
	v_lshrrev_b32_e32 v4, 27, v2
	s_add_i32 s25, s25, -1
	v_add_u32_e32 v2, v1, v4
	s_waitcnt lgkmcnt(0)
	s_mul_i32 s18, s8, s11
	s_mov_b32 s19, 0
	v_ashrrev_i32_e32 v2, 5, v2
	v_mov_b32_e32 v5, s25
	v_cmp_gt_i32_e32 vcc, s33, v1
	s_lshl_b64 s[18:19], s[18:19], 2
	v_cndmask_b32_e32 v2, v5, v2, vcc
	s_add_u32 s23, s16, s18
	v_ashrrev_i32_e32 v3, 31, v2
	s_addc_u32 s24, s17, s19
	v_lshlrev_b64 v[2:3], 2, v[2:3]
	v_mov_b32_e32 v7, s24
	v_add_co_u32_e32 v6, vcc, s23, v2
	v_or_b32_e32 v2, 16, v1
	v_addc_co_u32_e32 v7, vcc, v7, v3, vcc
	v_add_u32_e32 v3, v2, v4
	v_ashrrev_i32_e32 v3, 5, v3
	v_cmp_gt_i32_e32 vcc, s33, v2
	v_cndmask_b32_e32 v2, v5, v3, vcc
	v_ashrrev_i32_e32 v3, 31, v2
	v_lshlrev_b64 v[2:3], 2, v[2:3]
	v_mov_b32_e32 v9, s24
	v_add_co_u32_e32 v8, vcc, s23, v2
	v_or_b32_e32 v2, 32, v1
	v_addc_co_u32_e32 v9, vcc, v9, v3, vcc
	v_add_u32_e32 v3, v2, v4
	v_ashrrev_i32_e32 v3, 5, v3
	v_cmp_gt_i32_e32 vcc, s33, v2
	v_cndmask_b32_e32 v2, v5, v3, vcc
	v_ashrrev_i32_e32 v3, 31, v2
	;; [unrolled: 10-line block ×3, first 2 shown]
	v_lshlrev_b64 v[2:3], 2, v[2:3]
	v_mov_b32_e32 v1, s24
	v_add_co_u32_e32 v12, vcc, s23, v2
	v_addc_co_u32_e32 v13, vcc, v1, v3, vcc
	global_load_dword v5, v[6:7], off
	global_load_dword v4, v[8:9], off
	;; [unrolled: 1-line block ×4, first 2 shown]
	s_load_dwordx2 s[18:19], s[4:5], 0x8
	s_andn2_b64 vcc, exec, s[12:13]
	s_cbranch_vccnz .LBB657_8
; %bb.6:
	s_add_u32 s6, s6, s14
	s_addc_u32 s7, s7, s15
	s_load_dword s11, s[6:7], 0x0
	s_branch .LBB657_9
.LBB657_7:
	s_mov_b64 s[16:17], 0
	s_branch .LBB657_2
.LBB657_8:
	s_mov_b32 s11, s8
.LBB657_9:
	s_load_dwordx2 s[16:17], s[4:5], 0x10
	s_load_dwordx4 s[12:15], s[4:5], 0x48
	v_and_b32_e32 v41, 15, v0
	v_bfe_u32 v27, v0, 4, 2
	s_lshl_b32 s29, s10, 2
	v_lshlrev_b32_e32 v1, 3, v41
	v_lshrrev_b32_e32 v29, 6, v0
	v_or_b32_e32 v39, s29, v27
	v_cmp_gt_u32_e64 s[6:7], 64, v0
	v_lshlrev_b32_e32 v1, 1, v1
	v_lshlrev_b32_e32 v43, 5, v27
	;; [unrolled: 1-line block ×3, first 2 shown]
	s_and_saveexec_b64 s[20:21], s[6:7]
	s_cbranch_execz .LBB657_11
; %bb.10:
	s_load_dwordx2 s[26:27], s[4:5], 0x0
	s_waitcnt lgkmcnt(0)
	s_ashr_i32 s15, s12, 31
	s_mul_hi_u32 s30, s11, s12
	s_mul_i32 s15, s11, s15
	s_add_i32 s31, s30, s15
	s_mul_i32 s30, s11, s12
	s_lshl_b64 s[30:31], s[30:31], 1
	v_lshlrev_b32_e32 v6, 7, v39
	s_add_u32 s11, s26, s30
	v_ashrrev_i32_e32 v7, 31, v6
	s_addc_u32 s12, s27, s31
	v_lshlrev_b64 v[6:7], 1, v[6:7]
	v_mov_b32_e32 v8, s12
	v_add_co_u32_e32 v6, vcc, s11, v6
	v_addc_co_u32_e32 v7, vcc, v8, v7, vcc
	v_add_co_u32_e32 v6, vcc, v6, v1
	v_addc_co_u32_e32 v7, vcc, 0, v7, vcc
	global_load_dwordx4 v[6:9], v[6:7], off
	v_lshlrev_b32_e32 v11, 8, v0
	v_lshlrev_b32_e32 v10, 8, v41
	v_and_b32_e32 v11, 0x600, v11
	s_movk_i32 s11, 0x800
	v_and_or_b32 v10, v10, s11, v11
	v_lshl_or_b32 v11, v29, 7, v43
	v_and_b32_e32 v12, 16, v45
	v_or3_b32 v10, v10, v11, v12
	s_waitcnt vmcnt(0)
	ds_write_b128 v10, v[6:9]
.LBB657_11:
	s_or_b64 exec, exec, s[20:21]
	s_waitcnt lgkmcnt(0)
	s_mul_i32 s12, s10, s14
	s_add_u32 s10, s18, s12
	s_addc_u32 s11, s19, 0
	v_pk_mov_b32 v[6:7], s[10:11], s[10:11] op_sel:[0,1]
	s_waitcnt vmcnt(3)
	v_mad_i64_i32 v[8:9], s[10:11], v5, s13, v[6:7]
	v_lshlrev_b32_e32 v11, 4, v41
	v_and_b32_e32 v18, 48, v0
	v_add_co_u32_e32 v5, vcc, v8, v11
	v_lshlrev_b32_e32 v10, 5, v18
	v_addc_co_u32_e32 v9, vcc, 0, v9, vcc
	v_add_co_u32_e32 v8, vcc, v5, v10
	v_addc_co_u32_e32 v9, vcc, 0, v9, vcc
	s_load_dwordx2 s[52:53], s[4:5], 0x94
	s_waitcnt lgkmcnt(0)
	s_barrier
	global_load_dwordx4 v[20:23], v[8:9], off
	global_load_dwordx4 v[30:33], v[8:9], off offset:2048
	s_waitcnt vmcnt(4)
	v_mad_i64_i32 v[4:5], s[10:11], v4, s13, v[6:7]
	v_or_b32_e32 v8, 0x100, v11
	v_add_co_u32_e32 v4, vcc, v4, v8
	v_addc_co_u32_e32 v5, vcc, 0, v5, vcc
	v_add_co_u32_e32 v4, vcc, v4, v10
	v_addc_co_u32_e32 v5, vcc, 0, v5, vcc
	global_load_dwordx4 v[34:37], v[4:5], off
	global_load_dwordx4 v[46:49], v[4:5], off offset:2048
	s_waitcnt vmcnt(5)
	v_mad_i64_i32 v[4:5], s[10:11], v3, s13, v[6:7]
	v_add_co_u32_e32 v3, vcc, v4, v11
	v_addc_co_u32_e32 v5, vcc, 0, v5, vcc
	v_add_co_u32_e32 v4, vcc, v3, v10
	v_addc_co_u32_e32 v5, vcc, 0, v5, vcc
	s_waitcnt vmcnt(4)
	v_mad_i64_i32 v[2:3], s[10:11], v2, s13, v[6:7]
	v_add_co_u32_e32 v2, vcc, v2, v8
	v_addc_co_u32_e32 v3, vcc, 0, v3, vcc
	v_add_co_u32_e32 v2, vcc, v2, v10
	v_addc_co_u32_e32 v3, vcc, 0, v3, vcc
	global_load_dwordx4 v[50:53], v[4:5], off
	global_load_dwordx4 v[54:57], v[4:5], off offset:2048
	global_load_dwordx4 v[58:61], v[2:3], off
	global_load_dwordx4 v[62:65], v[2:3], off offset:2048
	v_and_b32_e32 v2, 3, v0
	v_lshlrev_b32_e32 v2, 5, v2
	v_lshl_or_b32 v14, v27, 9, v2
	s_load_dwordx2 s[54:55], s[4:5], 0x68
	s_load_dwordx4 s[44:47], s[4:5], 0x58
	ds_read_b128 v[2:5], v14
	ds_read_b128 v[6:9], v14 offset:16
	ds_read_b128 v[10:13], v14 offset:2048
	;; [unrolled: 1-line block ×3, first 2 shown]
	s_mov_b32 s14, 0
	v_cmp_gt_u32_e32 vcc, 4, v41
	s_waitcnt vmcnt(7)
	buffer_store_dword v23, off, s[0:3], 0 offset:12
	buffer_store_dword v22, off, s[0:3], 0 offset:8
	;; [unrolled: 1-line block ×3, first 2 shown]
	buffer_store_dword v20, off, s[0:3], 0
	s_waitcnt vmcnt(10)
	buffer_store_dword v33, off, s[0:3], 0 offset:28
	buffer_store_dword v32, off, s[0:3], 0 offset:24
	buffer_store_dword v31, off, s[0:3], 0 offset:20
	buffer_store_dword v30, off, s[0:3], 0 offset:16
	s_waitcnt vmcnt(13)
	buffer_store_dword v37, off, s[0:3], 0 offset:44
	buffer_store_dword v36, off, s[0:3], 0 offset:40
	buffer_store_dword v35, off, s[0:3], 0 offset:36
	buffer_store_dword v34, off, s[0:3], 0 offset:32
	;; [unrolled: 5-line block ×7, first 2 shown]
	v_mov_b32_e32 v36, 0
	v_mov_b32_e32 v33, 0
	s_and_saveexec_b64 s[10:11], vcc
	s_cbranch_execz .LBB657_13
; %bb.12:
	s_load_dwordx2 s[18:19], s[4:5], 0x40
	v_or_b32_e32 v20, s29, v41
	v_ashrrev_i32_e32 v21, 31, v20
	v_lshlrev_b64 v[20:21], 2, v[20:21]
	s_waitcnt lgkmcnt(0)
	v_mov_b32_e32 v19, s19
	v_add_co_u32_e32 v20, vcc, s18, v20
	v_addc_co_u32_e32 v21, vcc, v19, v21, vcc
	global_load_dword v33, v[20:21], off
.LBB657_13:
	s_or_b64 exec, exec, s[10:11]
	s_ashr_i32 s10, s22, 31
	v_or_b32_e32 v24, s22, v18
	s_lshr_b32 s10, s10, 27
	v_add_u32_e32 v18, s10, v24
	v_ashrrev_i32_e32 v18, 5, v18
	v_mov_b32_e32 v25, s25
	v_cmp_gt_i32_e32 vcc, s33, v24
	v_cndmask_b32_e32 v18, v25, v18, vcc
	v_ashrrev_i32_e32 v19, 31, v18
	v_lshlrev_b64 v[18:19], 2, v[18:19]
	v_mov_b32_e32 v20, s24
	v_add_co_u32_e32 v18, vcc, s23, v18
	v_addc_co_u32_e32 v19, vcc, v20, v19, vcc
	v_or_b32_e32 v20, 64, v24
	v_add_u32_e32 v21, s10, v20
	v_ashrrev_i32_e32 v21, 5, v21
	v_cmp_gt_i32_e32 vcc, s33, v20
	v_cndmask_b32_e32 v20, v25, v21, vcc
	v_ashrrev_i32_e32 v21, 31, v20
	v_lshlrev_b64 v[20:21], 2, v[20:21]
	v_mov_b32_e32 v22, s24
	v_add_co_u32_e32 v20, vcc, s23, v20
	v_addc_co_u32_e32 v21, vcc, v22, v21, vcc
	v_or_b32_e32 v22, 0x80, v24
	v_add_u32_e32 v23, s10, v22
	v_ashrrev_i32_e32 v23, 5, v23
	v_cmp_gt_i32_e32 vcc, s33, v22
	v_cndmask_b32_e32 v22, v25, v23, vcc
	v_ashrrev_i32_e32 v23, 31, v22
	v_lshlrev_b64 v[22:23], 2, v[22:23]
	v_mov_b32_e32 v26, s24
	v_add_co_u32_e32 v22, vcc, s23, v22
	v_addc_co_u32_e32 v23, vcc, v26, v23, vcc
	global_load_dword v26, v[18:19], off
	global_load_dword v28, v[20:21], off
	;; [unrolled: 1-line block ×3, first 2 shown]
	v_or_b32_e32 v18, 0xc0, v24
	v_add_u32_e32 v19, s10, v18
	v_ashrrev_i32_e32 v19, 5, v19
	v_cmp_gt_i32_e32 vcc, s33, v18
	v_cndmask_b32_e32 v18, v25, v19, vcc
	v_ashrrev_i32_e32 v19, 31, v18
	v_lshlrev_b64 v[18:19], 2, v[18:19]
	v_mov_b32_e32 v20, s24
	v_add_co_u32_e32 v18, vcc, s23, v18
	v_addc_co_u32_e32 v19, vcc, v20, v19, vcc
	global_load_dword v32, v[18:19], off
	s_add_u32 s10, s16, s12
	v_and_b32_e32 v18, 16, v0
	s_addc_u32 s11, s17, 0
	v_lshl_or_b32 v31, v29, 4, v41
	v_mov_b32_e32 v20, s11
	v_add_co_u32_e32 v35, vcc, s10, v18
	v_lshlrev_b32_e32 v19, 5, v31
	v_addc_co_u32_e32 v37, vcc, 0, v20, vcc
	v_add_co_u32_e32 v22, vcc, v35, v19
	v_addc_co_u32_e32 v23, vcc, 0, v37, vcc
	v_or_b32_e32 v34, 0x800, v19
	s_movk_i32 s15, 0x80
	s_movk_i32 s16, 0x7f
	s_mov_b32 s17, 0xffffff
	v_mov_b32_e32 v38, 0x100
	v_bfrev_b32_e32 v40, 60
	s_waitcnt vmcnt(3)
	v_mad_i64_i32 v[18:19], s[10:11], v26, s13, v[22:23]
	s_waitcnt vmcnt(2)
	v_mad_i64_i32 v[24:25], s[10:11], v28, s13, v[22:23]
	global_load_dwordx4 v[18:21], v[18:19], off
	s_nop 0
	global_load_dwordx4 v[54:57], v[24:25], off
	s_waitcnt vmcnt(3)
	v_mad_i64_i32 v[24:25], s[10:11], v30, s13, v[22:23]
	s_waitcnt vmcnt(2)
	v_mad_i64_i32 v[22:23], s[10:11], v32, s13, v[22:23]
	global_load_dwordx4 v[58:61], v[24:25], off
	global_load_dwordx4 v[62:65], v[22:23], off
	v_add_co_u32_e32 v22, vcc, v35, v34
	v_addc_co_u32_e32 v23, vcc, 0, v37, vcc
	v_mad_i64_i32 v[24:25], s[10:11], v26, s13, v[22:23]
	global_load_dwordx4 v[66:69], v[24:25], off
	v_mad_i64_i32 v[24:25], s[10:11], v28, s13, v[22:23]
	global_load_dwordx4 v[70:73], v[24:25], off
	;; [unrolled: 2-line block ×4, first 2 shown]
	s_load_dword s10, s[4:5], 0x1c
	s_load_dwordx4 s[48:51], s[4:5], 0x80
	v_mov_b32_e32 v22, 0x80
	v_add_u32_e32 v47, 16, v22
	v_add_u32_e32 v46, 32, v22
	;; [unrolled: 1-line block ×3, first 2 shown]
	s_waitcnt lgkmcnt(0)
	s_load_dword s4, s[48:49], 0x0
	v_add_u32_e32 v52, 64, v22
	v_add_u32_e32 v49, 0x50, v22
	;; [unrolled: 1-line block ×4, first 2 shown]
	v_mov_b32_e32 v22, s10
	s_waitcnt lgkmcnt(0)
	v_mul_f32_e32 v22, s4, v22
	v_and_b32_e32 v35, 63, v0
	v_mov_b32_e32 v37, 0
	v_mov_b32_e32 v24, v22
	;; [unrolled: 1-line block ×3, first 2 shown]
	s_waitcnt vmcnt(7)
	buffer_store_dword v21, off, s[0:3], 0 offset:140
	buffer_store_dword v20, off, s[0:3], 0 offset:136
	buffer_store_dword v19, off, s[0:3], 0 offset:132
	buffer_store_dword v18, off, s[0:3], 0 offset:128
	s_waitcnt vmcnt(10)
	buffer_store_dword v57, off, s[0:3], 0 offset:172
	buffer_store_dword v56, off, s[0:3], 0 offset:168
	buffer_store_dword v55, off, s[0:3], 0 offset:164
	buffer_store_dword v54, off, s[0:3], 0 offset:160
	;; [unrolled: 5-line block ×8, first 2 shown]
	s_branch .LBB657_17
.LBB657_14:                             ;   in Loop: Header=BB657_17 Depth=1
	s_or_b64 exec, exec, s[12:13]
.LBB657_15:                             ;   in Loop: Header=BB657_17 Depth=1
	s_or_b64 exec, exec, s[10:11]
.LBB657_16:                             ;   in Loop: Header=BB657_17 Depth=1
	s_or_b64 exec, exec, s[4:5]
	v_cvt_pkrtz_f16_f32 v56, v34, v32
	v_cvt_pkrtz_f16_f32 v57, v23, v44
	v_add_u32_e32 v26, s14, v38
	s_add_i32 s14, s14, 16
	v_mov_b32_e32 v23, v22
	v_mfma_f32_16x16x16f16 v[18:21], v[56:57], v[14:15], v[18:21]
	v_cvt_pkrtz_f16_f32 v56, v42, v53
	v_cvt_pkrtz_f16_f32 v57, v30, v54
	s_cmp_eq_u32 s14, 64
	v_add_u32_e32 v37, 32, v37
	v_mfma_f32_16x16x16f16 v[18:21], v[56:57], v[16:17], v[18:21]
	s_nop 7
	s_nop 2
	v_pk_mul_f32 v[18:19], v[24:25], v[18:19]
	v_pk_mul_f32 v[20:21], v[22:23], v[20:21]
	buffer_store_dword v19, v26, s[0:3], 0 offen offset:4
	buffer_store_dword v18, v26, s[0:3], 0 offen
	buffer_store_dword v21, v26, s[0:3], 0 offen offset:12
	buffer_store_dword v20, v26, s[0:3], 0 offen offset:8
	s_cbranch_scc1 .LBB657_207
.LBB657_17:                             ; =>This Inner Loop Header: Depth=1
	buffer_load_dword v20, v37, s[0:3], 0 offen
	buffer_load_dword v18, v37, s[0:3], 0 offen offset:4
	buffer_load_dword v28, v37, s[0:3], 0 offen offset:8
	;; [unrolled: 1-line block ×3, first 2 shown]
	v_mov_b32_e32 v19, 0
	v_mov_b32_e32 v21, 0
	s_waitcnt vmcnt(3)
	v_cmp_ne_u16_sdwa s[10:11], v20, v36 src0_sel:BYTE_0 src1_sel:DWORD
	s_and_saveexec_b64 s[4:5], s[10:11]
	s_cbranch_execz .LBB657_23
; %bb.18:                               ;   in Loop: Header=BB657_17 Depth=1
	v_cmp_ne_u16_sdwa s[12:13], v20, s15 src0_sel:BYTE_0 src1_sel:DWORD
	v_bfrev_b32_e32 v21, 1
	s_and_saveexec_b64 s[10:11], s[12:13]
	s_cbranch_execz .LBB657_22
; %bb.19:                               ;   in Loop: Header=BB657_17 Depth=1
	v_and_b32_e32 v23, 0x7f, v20
	v_cmp_ne_u32_e32 vcc, s16, v23
	v_mov_b32_e32 v21, 0x7f800001
	s_and_saveexec_b64 s[12:13], vcc
	s_cbranch_execz .LBB657_21
; %bb.20:                               ;   in Loop: Header=BB657_17 Depth=1
	v_and_b32_e32 v21, 7, v20
	v_ffbh_u32_e32 v32, v21
	v_min_u32_e32 v32, 32, v32
	v_subrev_u32_e32 v34, 28, v32
	v_lshlrev_b64 v[54:55], v34, v[20:21]
	v_lshrrev_b32_e32 v30, 3, v23
	v_sub_u32_e32 v32, 29, v32
	v_and_b32_e32 v34, 7, v54
	v_cmp_gt_u32_e32 vcc, 8, v23
	v_cndmask_b32_e32 v23, v30, v32, vcc
	v_cndmask_b32_e32 v21, v21, v34, vcc
	v_lshlrev_b32_e32 v30, 24, v20
	v_lshlrev_b32_e32 v21, 20, v21
	v_and_b32_e32 v30, 0x80000000, v30
	v_lshl_add_u32 v23, v23, 23, v40
	v_or3_b32 v21, v30, v23, v21
.LBB657_21:                             ;   in Loop: Header=BB657_17 Depth=1
	s_or_b64 exec, exec, s[12:13]
.LBB657_22:                             ;   in Loop: Header=BB657_17 Depth=1
	s_or_b64 exec, exec, s[10:11]
.LBB657_23:                             ;   in Loop: Header=BB657_17 Depth=1
	s_or_b64 exec, exec, s[4:5]
	v_lshrrev_b16_e32 v30, 8, v20
	v_cmp_ne_u16_e32 vcc, 0, v30
	s_and_saveexec_b64 s[4:5], vcc
	s_cbranch_execz .LBB657_29
; %bb.24:                               ;   in Loop: Header=BB657_17 Depth=1
	v_cmp_ne_u16_e32 vcc, s15, v30
	v_bfrev_b32_e32 v19, 1
	s_and_saveexec_b64 s[10:11], vcc
	s_cbranch_execz .LBB657_28
; %bb.25:                               ;   in Loop: Header=BB657_17 Depth=1
	v_and_b32_e32 v23, 0x7f, v30
	v_cmp_ne_u32_e32 vcc, s16, v23
	v_mov_b32_e32 v19, 0x7f800001
	s_and_saveexec_b64 s[12:13], vcc
	s_cbranch_execz .LBB657_27
; %bb.26:                               ;   in Loop: Header=BB657_17 Depth=1
	v_and_b32_e32 v19, 7, v30
	v_ffbh_u32_e32 v34, v19
	v_min_u32_e32 v34, 32, v34
	v_subrev_u32_e32 v42, 28, v34
	v_lshlrev_b64 v[54:55], v42, v[30:31]
	v_lshrrev_b32_e32 v32, 3, v23
	v_sub_u32_e32 v30, 29, v34
	v_and_b32_e32 v34, 7, v54
	v_cmp_gt_u32_e32 vcc, 8, v23
	v_cndmask_b32_e32 v23, v32, v30, vcc
	v_cndmask_b32_e32 v19, v19, v34, vcc
	v_lshlrev_b32_e32 v30, 16, v20
	v_lshlrev_b32_e32 v19, 20, v19
	v_and_b32_e32 v30, 0x80000000, v30
	v_lshl_add_u32 v23, v23, 23, v40
	v_or3_b32 v19, v30, v23, v19
.LBB657_27:                             ;   in Loop: Header=BB657_17 Depth=1
	s_or_b64 exec, exec, s[12:13]
.LBB657_28:                             ;   in Loop: Header=BB657_17 Depth=1
	s_or_b64 exec, exec, s[10:11]
.LBB657_29:                             ;   in Loop: Header=BB657_17 Depth=1
	s_or_b64 exec, exec, s[4:5]
	v_lshrrev_b32_e32 v30, 16, v20
	v_cmp_ne_u16_sdwa s[10:11], v30, v36 src0_sel:BYTE_0 src1_sel:DWORD
	v_mov_b32_e32 v32, 0
	v_mov_b32_e32 v23, 0
	s_and_saveexec_b64 s[4:5], s[10:11]
	s_cbranch_execz .LBB657_35
; %bb.30:                               ;   in Loop: Header=BB657_17 Depth=1
	v_cmp_ne_u16_sdwa s[12:13], v30, s15 src0_sel:BYTE_0 src1_sel:DWORD
	v_bfrev_b32_e32 v23, 1
	s_and_saveexec_b64 s[10:11], s[12:13]
	s_cbranch_execz .LBB657_34
; %bb.31:                               ;   in Loop: Header=BB657_17 Depth=1
	v_bfe_u32 v34, v20, 16, 7
	v_cmp_ne_u32_e32 vcc, s16, v34
	v_mov_b32_e32 v23, 0x7f800001
	s_and_saveexec_b64 s[12:13], vcc
	s_cbranch_execz .LBB657_33
; %bb.32:                               ;   in Loop: Header=BB657_17 Depth=1
	v_and_b32_e32 v23, 7, v30
	v_ffbh_u32_e32 v44, v23
	v_min_u32_e32 v44, 32, v44
	v_subrev_u32_e32 v53, 28, v44
	v_lshlrev_b64 v[54:55], v53, v[30:31]
	v_lshrrev_b32_e32 v42, 3, v34
	v_sub_u32_e32 v44, 29, v44
	v_and_b32_e32 v53, 7, v54
	v_cmp_gt_u32_e32 vcc, 8, v34
	v_cndmask_b32_e32 v34, v42, v44, vcc
	v_cndmask_b32_e32 v23, v23, v53, vcc
	v_lshlrev_b32_e32 v30, 24, v30
	v_lshlrev_b32_e32 v23, 20, v23
	v_and_b32_e32 v30, 0x80000000, v30
	v_lshl_add_u32 v34, v34, 23, v40
	v_or3_b32 v23, v30, v34, v23
.LBB657_33:                             ;   in Loop: Header=BB657_17 Depth=1
	s_or_b64 exec, exec, s[12:13]
.LBB657_34:                             ;   in Loop: Header=BB657_17 Depth=1
	s_or_b64 exec, exec, s[10:11]
.LBB657_35:                             ;   in Loop: Header=BB657_17 Depth=1
	s_or_b64 exec, exec, s[4:5]
	v_cmp_lt_u32_e32 vcc, s17, v20
	s_and_saveexec_b64 s[4:5], vcc
	s_cbranch_execz .LBB657_41
; %bb.36:                               ;   in Loop: Header=BB657_17 Depth=1
	v_lshrrev_b32_e32 v30, 24, v20
	v_cmp_ne_u32_e32 vcc, s15, v30
	v_bfrev_b32_e32 v32, 1
	s_and_saveexec_b64 s[10:11], vcc
	s_cbranch_execz .LBB657_40
; %bb.37:                               ;   in Loop: Header=BB657_17 Depth=1
	v_bfe_u32 v20, v20, 24, 7
	v_cmp_ne_u32_e32 vcc, s16, v20
	v_mov_b32_e32 v32, 0x7f800001
	s_and_saveexec_b64 s[12:13], vcc
	s_cbranch_execz .LBB657_39
; %bb.38:                               ;   in Loop: Header=BB657_17 Depth=1
	v_and_b32_e32 v32, 7, v30
	v_ffbh_u32_e32 v42, v32
	v_min_u32_e32 v42, 32, v42
	v_subrev_u32_e32 v44, 28, v42
	v_lshlrev_b64 v[54:55], v44, v[30:31]
	v_lshrrev_b32_e32 v34, 3, v20
	v_sub_u32_e32 v42, 29, v42
	v_and_b32_e32 v44, 7, v54
	v_cmp_gt_u32_e32 vcc, 8, v20
	v_cndmask_b32_e32 v20, v34, v42, vcc
	v_cndmask_b32_e32 v32, v32, v44, vcc
	v_lshlrev_b32_e32 v30, 24, v30
	v_lshlrev_b32_e32 v32, 20, v32
	v_and_b32_e32 v30, 0x80000000, v30
	v_lshl_add_u32 v20, v20, 23, v40
	v_or3_b32 v32, v30, v20, v32
.LBB657_39:                             ;   in Loop: Header=BB657_17 Depth=1
	s_or_b64 exec, exec, s[12:13]
.LBB657_40:                             ;   in Loop: Header=BB657_17 Depth=1
	s_or_b64 exec, exec, s[10:11]
.LBB657_41:                             ;   in Loop: Header=BB657_17 Depth=1
	s_or_b64 exec, exec, s[4:5]
	s_waitcnt vmcnt(2)
	v_cmp_ne_u16_sdwa s[10:11], v18, v36 src0_sel:BYTE_0 src1_sel:DWORD
	v_mov_b32_e32 v30, 0
	v_mov_b32_e32 v34, 0
	s_and_saveexec_b64 s[4:5], s[10:11]
	s_cbranch_execz .LBB657_47
; %bb.42:                               ;   in Loop: Header=BB657_17 Depth=1
	v_cmp_ne_u16_sdwa s[12:13], v18, s15 src0_sel:BYTE_0 src1_sel:DWORD
	v_bfrev_b32_e32 v34, 1
	s_and_saveexec_b64 s[10:11], s[12:13]
	s_cbranch_execz .LBB657_46
; %bb.43:                               ;   in Loop: Header=BB657_17 Depth=1
	v_and_b32_e32 v20, 0x7f, v18
	v_cmp_ne_u32_e32 vcc, s16, v20
	v_mov_b32_e32 v34, 0x7f800001
	s_and_saveexec_b64 s[12:13], vcc
	s_cbranch_execz .LBB657_45
; %bb.44:                               ;   in Loop: Header=BB657_17 Depth=1
	v_and_b32_e32 v34, 7, v18
	v_ffbh_u32_e32 v44, v34
	v_min_u32_e32 v44, 32, v44
	v_subrev_u32_e32 v53, 28, v44
	v_lshlrev_b64 v[54:55], v53, v[18:19]
	v_lshrrev_b32_e32 v42, 3, v20
	v_sub_u32_e32 v44, 29, v44
	v_and_b32_e32 v53, 7, v54
	v_cmp_gt_u32_e32 vcc, 8, v20
	v_cndmask_b32_e32 v20, v42, v44, vcc
	v_cndmask_b32_e32 v34, v34, v53, vcc
	v_lshlrev_b32_e32 v42, 24, v18
	v_lshlrev_b32_e32 v34, 20, v34
	v_and_b32_e32 v42, 0x80000000, v42
	v_lshl_add_u32 v20, v20, 23, v40
	v_or3_b32 v34, v42, v20, v34
.LBB657_45:                             ;   in Loop: Header=BB657_17 Depth=1
	s_or_b64 exec, exec, s[12:13]
.LBB657_46:                             ;   in Loop: Header=BB657_17 Depth=1
	s_or_b64 exec, exec, s[10:11]
.LBB657_47:                             ;   in Loop: Header=BB657_17 Depth=1
	s_or_b64 exec, exec, s[4:5]
	v_lshrrev_b16_e32 v20, 8, v18
	v_cmp_ne_u16_e32 vcc, 0, v20
	s_and_saveexec_b64 s[4:5], vcc
	s_cbranch_execz .LBB657_53
; %bb.48:                               ;   in Loop: Header=BB657_17 Depth=1
	v_cmp_ne_u16_e32 vcc, s15, v20
	v_bfrev_b32_e32 v30, 1
	s_and_saveexec_b64 s[10:11], vcc
	s_cbranch_execz .LBB657_52
; %bb.49:                               ;   in Loop: Header=BB657_17 Depth=1
	v_and_b32_e32 v42, 0x7f, v20
	v_cmp_ne_u32_e32 vcc, s16, v42
	v_mov_b32_e32 v30, 0x7f800001
	s_and_saveexec_b64 s[12:13], vcc
	s_cbranch_execz .LBB657_51
; %bb.50:                               ;   in Loop: Header=BB657_17 Depth=1
	v_and_b32_e32 v30, 7, v20
	v_ffbh_u32_e32 v53, v30
	v_min_u32_e32 v53, 32, v53
	v_subrev_u32_e32 v54, 28, v53
	v_lshlrev_b64 v[54:55], v54, v[20:21]
	v_lshrrev_b32_e32 v44, 3, v42
	v_sub_u32_e32 v20, 29, v53
	v_and_b32_e32 v53, 7, v54
	v_cmp_gt_u32_e32 vcc, 8, v42
	v_cndmask_b32_e32 v20, v44, v20, vcc
	v_cndmask_b32_e32 v30, v30, v53, vcc
	v_lshlrev_b32_e32 v42, 16, v18
	v_lshlrev_b32_e32 v30, 20, v30
	v_and_b32_e32 v42, 0x80000000, v42
	v_lshl_add_u32 v20, v20, 23, v40
	v_or3_b32 v30, v42, v20, v30
.LBB657_51:                             ;   in Loop: Header=BB657_17 Depth=1
	s_or_b64 exec, exec, s[12:13]
.LBB657_52:                             ;   in Loop: Header=BB657_17 Depth=1
	s_or_b64 exec, exec, s[10:11]
.LBB657_53:                             ;   in Loop: Header=BB657_17 Depth=1
	s_or_b64 exec, exec, s[4:5]
	v_lshrrev_b32_e32 v20, 16, v18
	v_cmp_ne_u16_sdwa s[10:11], v20, v36 src0_sel:BYTE_0 src1_sel:DWORD
	v_mov_b32_e32 v44, 0
	v_mov_b32_e32 v42, 0
	s_and_saveexec_b64 s[4:5], s[10:11]
	s_cbranch_execz .LBB657_59
; %bb.54:                               ;   in Loop: Header=BB657_17 Depth=1
	v_cmp_ne_u16_sdwa s[12:13], v20, s15 src0_sel:BYTE_0 src1_sel:DWORD
	v_bfrev_b32_e32 v42, 1
	s_and_saveexec_b64 s[10:11], s[12:13]
	s_cbranch_execz .LBB657_58
; %bb.55:                               ;   in Loop: Header=BB657_17 Depth=1
	v_bfe_u32 v53, v18, 16, 7
	v_cmp_ne_u32_e32 vcc, s16, v53
	v_mov_b32_e32 v42, 0x7f800001
	s_and_saveexec_b64 s[12:13], vcc
	s_cbranch_execz .LBB657_57
; %bb.56:                               ;   in Loop: Header=BB657_17 Depth=1
	v_and_b32_e32 v42, 7, v20
	v_ffbh_u32_e32 v54, v42
	v_min_u32_e32 v57, 32, v54
	v_subrev_u32_e32 v54, 28, v57
	v_lshlrev_b64 v[54:55], v54, v[20:21]
	v_lshrrev_b32_e32 v56, 3, v53
	v_sub_u32_e32 v55, 29, v57
	v_and_b32_e32 v54, 7, v54
	v_cmp_gt_u32_e32 vcc, 8, v53
	v_cndmask_b32_e32 v53, v56, v55, vcc
	v_cndmask_b32_e32 v42, v42, v54, vcc
	v_lshlrev_b32_e32 v20, 24, v20
	v_lshlrev_b32_e32 v42, 20, v42
	v_and_b32_e32 v20, 0x80000000, v20
	v_lshl_add_u32 v53, v53, 23, v40
	v_or3_b32 v42, v20, v53, v42
.LBB657_57:                             ;   in Loop: Header=BB657_17 Depth=1
	s_or_b64 exec, exec, s[12:13]
.LBB657_58:                             ;   in Loop: Header=BB657_17 Depth=1
	s_or_b64 exec, exec, s[10:11]
.LBB657_59:                             ;   in Loop: Header=BB657_17 Depth=1
	s_or_b64 exec, exec, s[4:5]
	v_cmp_lt_u32_e32 vcc, s17, v18
	s_and_saveexec_b64 s[4:5], vcc
	s_cbranch_execz .LBB657_65
; %bb.60:                               ;   in Loop: Header=BB657_17 Depth=1
	v_lshrrev_b32_e32 v20, 24, v18
	v_cmp_ne_u32_e32 vcc, s15, v20
	v_bfrev_b32_e32 v44, 1
	s_and_saveexec_b64 s[10:11], vcc
	s_cbranch_execz .LBB657_64
; %bb.61:                               ;   in Loop: Header=BB657_17 Depth=1
	v_bfe_u32 v18, v18, 24, 7
	v_cmp_ne_u32_e32 vcc, s16, v18
	v_mov_b32_e32 v44, 0x7f800001
	s_and_saveexec_b64 s[12:13], vcc
	s_cbranch_execz .LBB657_63
; %bb.62:                               ;   in Loop: Header=BB657_17 Depth=1
	v_and_b32_e32 v44, 7, v20
	v_ffbh_u32_e32 v54, v44
	v_min_u32_e32 v56, 32, v54
	v_subrev_u32_e32 v54, 28, v56
	v_lshlrev_b64 v[54:55], v54, v[20:21]
	v_lshrrev_b32_e32 v53, 3, v18
	v_sub_u32_e32 v55, 29, v56
	v_and_b32_e32 v54, 7, v54
	v_cmp_gt_u32_e32 vcc, 8, v18
	v_cndmask_b32_e32 v18, v53, v55, vcc
	v_cndmask_b32_e32 v44, v44, v54, vcc
	v_lshlrev_b32_e32 v20, 24, v20
	v_lshlrev_b32_e32 v44, 20, v44
	v_and_b32_e32 v20, 0x80000000, v20
	v_lshl_add_u32 v18, v18, 23, v40
	v_or3_b32 v44, v20, v18, v44
.LBB657_63:                             ;   in Loop: Header=BB657_17 Depth=1
	s_or_b64 exec, exec, s[12:13]
.LBB657_64:                             ;   in Loop: Header=BB657_17 Depth=1
	s_or_b64 exec, exec, s[10:11]
.LBB657_65:                             ;   in Loop: Header=BB657_17 Depth=1
	s_or_b64 exec, exec, s[4:5]
	v_cvt_pkrtz_f16_f32 v18, v21, v19
	v_cvt_pkrtz_f16_f32 v19, v23, v32
	;; [unrolled: 1-line block ×4, first 2 shown]
	v_mov_b32_e32 v32, 0
	v_mfma_f32_16x16x16f16 v[18:21], v[18:19], v[2:3], 0
	s_waitcnt vmcnt(1)
	v_cmp_ne_u16_sdwa s[10:11], v28, v36 src0_sel:BYTE_0 src1_sel:DWORD
	v_mov_b32_e32 v34, 0
	v_mfma_f32_16x16x16f16 v[18:21], v[54:55], v[4:5], v[18:21]
	s_and_saveexec_b64 s[4:5], s[10:11]
	s_cbranch_execz .LBB657_71
; %bb.66:                               ;   in Loop: Header=BB657_17 Depth=1
	v_cmp_ne_u16_sdwa s[12:13], v28, s15 src0_sel:BYTE_0 src1_sel:DWORD
	v_bfrev_b32_e32 v34, 1
	s_and_saveexec_b64 s[10:11], s[12:13]
	s_cbranch_execz .LBB657_70
; %bb.67:                               ;   in Loop: Header=BB657_17 Depth=1
	v_and_b32_e32 v23, 0x7f, v28
	v_cmp_ne_u32_e32 vcc, s16, v23
	v_mov_b32_e32 v34, 0x7f800001
	s_and_saveexec_b64 s[12:13], vcc
	s_cbranch_execz .LBB657_69
; %bb.68:                               ;   in Loop: Header=BB657_17 Depth=1
	v_and_b32_e32 v30, 7, v28
	v_ffbh_u32_e32 v42, v30
	v_min_u32_e32 v42, 32, v42
	v_subrev_u32_e32 v44, 28, v42
	v_lshlrev_b64 v[54:55], v44, v[28:29]
	v_lshrrev_b32_e32 v34, 3, v23
	v_sub_u32_e32 v42, 29, v42
	v_and_b32_e32 v44, 7, v54
	v_cmp_gt_u32_e32 vcc, 8, v23
	v_cndmask_b32_e32 v23, v34, v42, vcc
	v_cndmask_b32_e32 v30, v30, v44, vcc
	v_lshlrev_b32_e32 v34, 24, v28
	v_lshlrev_b32_e32 v30, 20, v30
	v_and_b32_e32 v34, 0x80000000, v34
	v_lshl_add_u32 v23, v23, 23, v40
	v_or3_b32 v34, v34, v23, v30
.LBB657_69:                             ;   in Loop: Header=BB657_17 Depth=1
	s_or_b64 exec, exec, s[12:13]
.LBB657_70:                             ;   in Loop: Header=BB657_17 Depth=1
	s_or_b64 exec, exec, s[10:11]
.LBB657_71:                             ;   in Loop: Header=BB657_17 Depth=1
	s_or_b64 exec, exec, s[4:5]
	v_lshrrev_b16_e32 v30, 8, v28
	v_cmp_ne_u16_e32 vcc, 0, v30
	v_mov_b32_e32 v42, 0
	s_and_saveexec_b64 s[4:5], vcc
	s_cbranch_execz .LBB657_77
; %bb.72:                               ;   in Loop: Header=BB657_17 Depth=1
	v_cmp_ne_u16_e32 vcc, s15, v30
	v_bfrev_b32_e32 v42, 1
	s_and_saveexec_b64 s[10:11], vcc
	s_cbranch_execz .LBB657_76
; %bb.73:                               ;   in Loop: Header=BB657_17 Depth=1
	v_and_b32_e32 v23, 0x7f, v30
	v_cmp_ne_u32_e32 vcc, s16, v23
	v_mov_b32_e32 v42, 0x7f800001
	s_and_saveexec_b64 s[12:13], vcc
	s_cbranch_execz .LBB657_75
; %bb.74:                               ;   in Loop: Header=BB657_17 Depth=1
	v_and_b32_e32 v42, 7, v30
	v_ffbh_u32_e32 v53, v42
	v_min_u32_e32 v53, 32, v53
	v_subrev_u32_e32 v54, 28, v53
	v_lshlrev_b64 v[54:55], v54, v[30:31]
	v_lshrrev_b32_e32 v44, 3, v23
	v_sub_u32_e32 v30, 29, v53
	v_and_b32_e32 v53, 7, v54
	v_cmp_gt_u32_e32 vcc, 8, v23
	v_cndmask_b32_e32 v23, v44, v30, vcc
	v_cndmask_b32_e32 v30, v42, v53, vcc
	v_lshlrev_b32_e32 v42, 16, v28
	v_lshlrev_b32_e32 v30, 20, v30
	v_and_b32_e32 v42, 0x80000000, v42
	v_lshl_add_u32 v23, v23, 23, v40
	v_or3_b32 v42, v42, v23, v30
.LBB657_75:                             ;   in Loop: Header=BB657_17 Depth=1
	s_or_b64 exec, exec, s[12:13]
.LBB657_76:                             ;   in Loop: Header=BB657_17 Depth=1
	s_or_b64 exec, exec, s[10:11]
.LBB657_77:                             ;   in Loop: Header=BB657_17 Depth=1
	s_or_b64 exec, exec, s[4:5]
	v_lshrrev_b32_e32 v30, 16, v28
	v_cmp_ne_u16_sdwa s[10:11], v30, v36 src0_sel:BYTE_0 src1_sel:DWORD
	s_and_saveexec_b64 s[4:5], s[10:11]
	s_cbranch_execz .LBB657_83
; %bb.78:                               ;   in Loop: Header=BB657_17 Depth=1
	v_cmp_ne_u16_sdwa s[12:13], v30, s15 src0_sel:BYTE_0 src1_sel:DWORD
	v_bfrev_b32_e32 v32, 1
	s_and_saveexec_b64 s[10:11], s[12:13]
	s_cbranch_execz .LBB657_82
; %bb.79:                               ;   in Loop: Header=BB657_17 Depth=1
	v_bfe_u32 v23, v28, 16, 7
	v_cmp_ne_u32_e32 vcc, s16, v23
	v_mov_b32_e32 v32, 0x7f800001
	s_and_saveexec_b64 s[12:13], vcc
	s_cbranch_execz .LBB657_81
; %bb.80:                               ;   in Loop: Header=BB657_17 Depth=1
	v_and_b32_e32 v32, 7, v30
	v_ffbh_u32_e32 v53, v32
	v_min_u32_e32 v53, 32, v53
	v_subrev_u32_e32 v54, 28, v53
	v_lshlrev_b64 v[54:55], v54, v[30:31]
	v_lshrrev_b32_e32 v44, 3, v23
	v_sub_u32_e32 v53, 29, v53
	v_and_b32_e32 v54, 7, v54
	v_cmp_gt_u32_e32 vcc, 8, v23
	v_cndmask_b32_e32 v23, v44, v53, vcc
	v_cndmask_b32_e32 v32, v32, v54, vcc
	v_lshlrev_b32_e32 v30, 24, v30
	v_lshlrev_b32_e32 v32, 20, v32
	v_and_b32_e32 v30, 0x80000000, v30
	v_lshl_add_u32 v23, v23, 23, v40
	v_or3_b32 v32, v30, v23, v32
.LBB657_81:                             ;   in Loop: Header=BB657_17 Depth=1
	s_or_b64 exec, exec, s[12:13]
.LBB657_82:                             ;   in Loop: Header=BB657_17 Depth=1
	s_or_b64 exec, exec, s[10:11]
.LBB657_83:                             ;   in Loop: Header=BB657_17 Depth=1
	s_or_b64 exec, exec, s[4:5]
	v_cmp_lt_u32_e32 vcc, s17, v28
	v_mov_b32_e32 v44, 0
	v_mov_b32_e32 v53, 0
	s_and_saveexec_b64 s[4:5], vcc
	s_cbranch_execz .LBB657_89
; %bb.84:                               ;   in Loop: Header=BB657_17 Depth=1
	v_lshrrev_b32_e32 v30, 24, v28
	v_cmp_ne_u32_e32 vcc, s15, v30
	v_bfrev_b32_e32 v53, 1
	s_and_saveexec_b64 s[10:11], vcc
	s_cbranch_execz .LBB657_88
; %bb.85:                               ;   in Loop: Header=BB657_17 Depth=1
	v_bfe_u32 v23, v28, 24, 7
	v_cmp_ne_u32_e32 vcc, s16, v23
	v_mov_b32_e32 v53, 0x7f800001
	s_and_saveexec_b64 s[12:13], vcc
	s_cbranch_execz .LBB657_87
; %bb.86:                               ;   in Loop: Header=BB657_17 Depth=1
	v_and_b32_e32 v28, 7, v30
	v_ffbh_u32_e32 v54, v28
	v_min_u32_e32 v56, 32, v54
	v_subrev_u32_e32 v54, 28, v56
	v_lshlrev_b64 v[54:55], v54, v[30:31]
	v_lshrrev_b32_e32 v53, 3, v23
	v_sub_u32_e32 v55, 29, v56
	v_and_b32_e32 v54, 7, v54
	v_cmp_gt_u32_e32 vcc, 8, v23
	v_cndmask_b32_e32 v23, v53, v55, vcc
	v_cndmask_b32_e32 v28, v28, v54, vcc
	v_lshlrev_b32_e32 v30, 24, v30
	v_lshlrev_b32_e32 v28, 20, v28
	v_and_b32_e32 v30, 0x80000000, v30
	v_lshl_add_u32 v23, v23, 23, v40
	v_or3_b32 v53, v30, v23, v28
.LBB657_87:                             ;   in Loop: Header=BB657_17 Depth=1
	s_or_b64 exec, exec, s[12:13]
.LBB657_88:                             ;   in Loop: Header=BB657_17 Depth=1
	s_or_b64 exec, exec, s[10:11]
.LBB657_89:                             ;   in Loop: Header=BB657_17 Depth=1
	s_or_b64 exec, exec, s[4:5]
	s_waitcnt vmcnt(0)
	v_cmp_ne_u16_sdwa s[10:11], v26, v36 src0_sel:BYTE_0 src1_sel:DWORD
	s_and_saveexec_b64 s[4:5], s[10:11]
	s_cbranch_execz .LBB657_95
; %bb.90:                               ;   in Loop: Header=BB657_17 Depth=1
	v_cmp_ne_u16_sdwa s[12:13], v26, s15 src0_sel:BYTE_0 src1_sel:DWORD
	v_bfrev_b32_e32 v44, 1
	s_and_saveexec_b64 s[10:11], s[12:13]
	s_cbranch_execz .LBB657_94
; %bb.91:                               ;   in Loop: Header=BB657_17 Depth=1
	v_and_b32_e32 v23, 0x7f, v26
	v_cmp_ne_u32_e32 vcc, s16, v23
	v_mov_b32_e32 v44, 0x7f800001
	s_and_saveexec_b64 s[12:13], vcc
	s_cbranch_execz .LBB657_93
; %bb.92:                               ;   in Loop: Header=BB657_17 Depth=1
	v_and_b32_e32 v28, 7, v26
	v_ffbh_u32_e32 v44, v28
	v_min_u32_e32 v44, 32, v44
	v_subrev_u32_e32 v54, 28, v44
	v_lshlrev_b64 v[54:55], v54, v[26:27]
	v_lshrrev_b32_e32 v30, 3, v23
	v_sub_u32_e32 v44, 29, v44
	v_and_b32_e32 v54, 7, v54
	v_cmp_gt_u32_e32 vcc, 8, v23
	v_cndmask_b32_e32 v23, v30, v44, vcc
	v_cndmask_b32_e32 v28, v28, v54, vcc
	v_lshlrev_b32_e32 v30, 24, v26
	v_lshlrev_b32_e32 v28, 20, v28
	v_and_b32_e32 v30, 0x80000000, v30
	v_lshl_add_u32 v23, v23, 23, v40
	v_or3_b32 v44, v30, v23, v28
.LBB657_93:                             ;   in Loop: Header=BB657_17 Depth=1
	s_or_b64 exec, exec, s[12:13]
.LBB657_94:                             ;   in Loop: Header=BB657_17 Depth=1
	s_or_b64 exec, exec, s[10:11]
.LBB657_95:                             ;   in Loop: Header=BB657_17 Depth=1
	s_or_b64 exec, exec, s[4:5]
	v_lshrrev_b16_e32 v28, 8, v26
	v_cmp_ne_u16_e32 vcc, 0, v28
	v_mov_b32_e32 v54, 0
	v_mov_b32_e32 v55, 0
	s_and_saveexec_b64 s[4:5], vcc
	s_cbranch_execz .LBB657_101
; %bb.96:                               ;   in Loop: Header=BB657_17 Depth=1
	v_cmp_ne_u16_e32 vcc, s15, v28
	v_bfrev_b32_e32 v55, 1
	s_and_saveexec_b64 s[10:11], vcc
	s_cbranch_execz .LBB657_100
; %bb.97:                               ;   in Loop: Header=BB657_17 Depth=1
	v_and_b32_e32 v23, 0x7f, v28
	v_cmp_ne_u32_e32 vcc, s16, v23
	v_mov_b32_e32 v55, 0x7f800001
	s_and_saveexec_b64 s[12:13], vcc
	s_cbranch_execz .LBB657_99
; %bb.98:                               ;   in Loop: Header=BB657_17 Depth=1
	v_and_b32_e32 v30, 7, v28
	v_ffbh_u32_e32 v56, v30
	v_min_u32_e32 v58, 32, v56
	v_subrev_u32_e32 v56, 28, v58
	v_lshlrev_b64 v[56:57], v56, v[28:29]
	v_lshrrev_b32_e32 v55, 3, v23
	v_sub_u32_e32 v28, 29, v58
	v_and_b32_e32 v56, 7, v56
	v_cmp_gt_u32_e32 vcc, 8, v23
	v_cndmask_b32_e32 v23, v55, v28, vcc
	v_cndmask_b32_e32 v28, v30, v56, vcc
	v_lshlrev_b32_e32 v30, 16, v26
	v_lshlrev_b32_e32 v28, 20, v28
	v_and_b32_e32 v30, 0x80000000, v30
	v_lshl_add_u32 v23, v23, 23, v40
	v_or3_b32 v55, v30, v23, v28
.LBB657_99:                             ;   in Loop: Header=BB657_17 Depth=1
	s_or_b64 exec, exec, s[12:13]
.LBB657_100:                            ;   in Loop: Header=BB657_17 Depth=1
	s_or_b64 exec, exec, s[10:11]
.LBB657_101:                            ;   in Loop: Header=BB657_17 Depth=1
	s_or_b64 exec, exec, s[4:5]
	v_lshrrev_b32_e32 v28, 16, v26
	v_cmp_ne_u16_sdwa s[10:11], v28, v36 src0_sel:BYTE_0 src1_sel:DWORD
	s_and_saveexec_b64 s[4:5], s[10:11]
	s_cbranch_execz .LBB657_107
; %bb.102:                              ;   in Loop: Header=BB657_17 Depth=1
	v_cmp_ne_u16_sdwa s[12:13], v28, s15 src0_sel:BYTE_0 src1_sel:DWORD
	v_bfrev_b32_e32 v54, 1
	s_and_saveexec_b64 s[10:11], s[12:13]
	s_cbranch_execz .LBB657_106
; %bb.103:                              ;   in Loop: Header=BB657_17 Depth=1
	v_bfe_u32 v23, v26, 16, 7
	v_cmp_ne_u32_e32 vcc, s16, v23
	v_mov_b32_e32 v54, 0x7f800001
	s_and_saveexec_b64 s[12:13], vcc
	s_cbranch_execz .LBB657_105
; %bb.104:                              ;   in Loop: Header=BB657_17 Depth=1
	v_and_b32_e32 v30, 7, v28
	v_ffbh_u32_e32 v56, v30
	v_min_u32_e32 v58, 32, v56
	v_subrev_u32_e32 v56, 28, v58
	v_lshlrev_b64 v[56:57], v56, v[28:29]
	v_lshrrev_b32_e32 v54, 3, v23
	v_sub_u32_e32 v57, 29, v58
	v_and_b32_e32 v56, 7, v56
	v_cmp_gt_u32_e32 vcc, 8, v23
	v_cndmask_b32_e32 v23, v54, v57, vcc
	v_cndmask_b32_e32 v30, v30, v56, vcc
	v_lshlrev_b32_e32 v28, 24, v28
	v_lshlrev_b32_e32 v30, 20, v30
	v_and_b32_e32 v28, 0x80000000, v28
	v_lshl_add_u32 v23, v23, 23, v40
	v_or3_b32 v54, v28, v23, v30
.LBB657_105:                            ;   in Loop: Header=BB657_17 Depth=1
	s_or_b64 exec, exec, s[12:13]
.LBB657_106:                            ;   in Loop: Header=BB657_17 Depth=1
	s_or_b64 exec, exec, s[10:11]
.LBB657_107:                            ;   in Loop: Header=BB657_17 Depth=1
	s_or_b64 exec, exec, s[4:5]
	v_cmp_lt_u32_e32 vcc, s17, v26
	v_mov_b32_e32 v23, 0
	v_mov_b32_e32 v56, 0
	s_and_saveexec_b64 s[4:5], vcc
	s_cbranch_execz .LBB657_113
; %bb.108:                              ;   in Loop: Header=BB657_17 Depth=1
	v_lshrrev_b32_e32 v28, 24, v26
	v_cmp_ne_u32_e32 vcc, s15, v28
	v_bfrev_b32_e32 v56, 1
	s_and_saveexec_b64 s[10:11], vcc
	s_cbranch_execz .LBB657_112
; %bb.109:                              ;   in Loop: Header=BB657_17 Depth=1
	v_bfe_u32 v26, v26, 24, 7
	v_cmp_ne_u32_e32 vcc, s16, v26
	v_mov_b32_e32 v56, 0x7f800001
	s_and_saveexec_b64 s[12:13], vcc
	s_cbranch_execz .LBB657_111
; %bb.110:                              ;   in Loop: Header=BB657_17 Depth=1
	v_and_b32_e32 v30, 7, v28
	v_ffbh_u32_e32 v56, v30
	v_min_u32_e32 v59, 32, v56
	v_subrev_u32_e32 v56, 28, v59
	v_lshlrev_b64 v[56:57], v56, v[28:29]
	v_lshrrev_b32_e32 v58, 3, v26
	v_sub_u32_e32 v57, 29, v59
	v_and_b32_e32 v56, 7, v56
	v_cmp_gt_u32_e32 vcc, 8, v26
	v_cndmask_b32_e32 v26, v58, v57, vcc
	v_cndmask_b32_e32 v30, v30, v56, vcc
	v_lshlrev_b32_e32 v28, 24, v28
	v_lshlrev_b32_e32 v30, 20, v30
	v_and_b32_e32 v28, 0x80000000, v28
	v_lshl_add_u32 v26, v26, 23, v40
	v_or3_b32 v56, v28, v26, v30
.LBB657_111:                            ;   in Loop: Header=BB657_17 Depth=1
	s_or_b64 exec, exec, s[12:13]
.LBB657_112:                            ;   in Loop: Header=BB657_17 Depth=1
	s_or_b64 exec, exec, s[10:11]
.LBB657_113:                            ;   in Loop: Header=BB657_17 Depth=1
	s_or_b64 exec, exec, s[4:5]
	v_cvt_pkrtz_f16_f32 v59, v32, v53
	buffer_load_dword v32, v37, s[0:3], 0 offen offset:16
	buffer_load_dword v30, v37, s[0:3], 0 offen offset:20
	;; [unrolled: 1-line block ×4, first 2 shown]
	v_cvt_pkrtz_f16_f32 v58, v34, v42
	s_waitcnt vmcnt(3)
	v_cmp_ne_u16_sdwa s[10:11], v32, v36 src0_sel:BYTE_0 src1_sel:DWORD
	v_mfma_f32_16x16x16f16 v[18:21], v[58:59], v[6:7], v[18:21]
	v_cvt_pkrtz_f16_f32 v58, v44, v55
	v_cvt_pkrtz_f16_f32 v59, v54, v56
	s_nop 1
	v_mfma_f32_16x16x16f16 v[18:21], v[58:59], v[8:9], v[18:21]
	s_and_saveexec_b64 s[4:5], s[10:11]
	s_cbranch_execz .LBB657_119
; %bb.114:                              ;   in Loop: Header=BB657_17 Depth=1
	v_cmp_ne_u16_sdwa s[12:13], v32, s15 src0_sel:BYTE_0 src1_sel:DWORD
	v_bfrev_b32_e32 v23, 1
	s_and_saveexec_b64 s[10:11], s[12:13]
	s_cbranch_execz .LBB657_118
; %bb.115:                              ;   in Loop: Header=BB657_17 Depth=1
	v_and_b32_e32 v34, 0x7f, v32
	v_cmp_ne_u32_e32 vcc, s16, v34
	v_mov_b32_e32 v23, 0x7f800001
	s_and_saveexec_b64 s[12:13], vcc
	s_cbranch_execz .LBB657_117
; %bb.116:                              ;   in Loop: Header=BB657_17 Depth=1
	v_and_b32_e32 v23, 7, v32
	v_ffbh_u32_e32 v44, v23
	v_min_u32_e32 v44, 32, v44
	v_subrev_u32_e32 v53, 28, v44
	v_lshlrev_b64 v[54:55], v53, v[32:33]
	v_lshrrev_b32_e32 v42, 3, v34
	v_sub_u32_e32 v44, 29, v44
	v_and_b32_e32 v53, 7, v54
	v_cmp_gt_u32_e32 vcc, 8, v34
	v_cndmask_b32_e32 v34, v42, v44, vcc
	v_cndmask_b32_e32 v23, v23, v53, vcc
	v_lshlrev_b32_e32 v42, 24, v32
	v_lshlrev_b32_e32 v23, 20, v23
	v_and_b32_e32 v42, 0x80000000, v42
	v_lshl_add_u32 v34, v34, 23, v40
	v_or3_b32 v23, v42, v34, v23
.LBB657_117:                            ;   in Loop: Header=BB657_17 Depth=1
	s_or_b64 exec, exec, s[12:13]
.LBB657_118:                            ;   in Loop: Header=BB657_17 Depth=1
	s_or_b64 exec, exec, s[10:11]
.LBB657_119:                            ;   in Loop: Header=BB657_17 Depth=1
	s_or_b64 exec, exec, s[4:5]
	v_lshrrev_b16_e32 v34, 8, v32
	v_cmp_ne_u16_e32 vcc, 0, v34
	v_mov_b32_e32 v42, 0
	v_mov_b32_e32 v44, 0
	s_and_saveexec_b64 s[4:5], vcc
	s_cbranch_execz .LBB657_125
; %bb.120:                              ;   in Loop: Header=BB657_17 Depth=1
	v_cmp_ne_u16_e32 vcc, s15, v34
	v_bfrev_b32_e32 v44, 1
	s_and_saveexec_b64 s[10:11], vcc
	s_cbranch_execz .LBB657_124
; %bb.121:                              ;   in Loop: Header=BB657_17 Depth=1
	v_and_b32_e32 v53, 0x7f, v34
	v_cmp_ne_u32_e32 vcc, s16, v53
	v_mov_b32_e32 v44, 0x7f800001
	s_and_saveexec_b64 s[12:13], vcc
	s_cbranch_execz .LBB657_123
; %bb.122:                              ;   in Loop: Header=BB657_17 Depth=1
	v_and_b32_e32 v44, 7, v34
	v_ffbh_u32_e32 v54, v44
	v_min_u32_e32 v57, 32, v54
	v_subrev_u32_e32 v54, 28, v57
	v_lshlrev_b64 v[54:55], v54, v[34:35]
	v_lshrrev_b32_e32 v56, 3, v53
	v_sub_u32_e32 v34, 29, v57
	v_and_b32_e32 v54, 7, v54
	v_cmp_gt_u32_e32 vcc, 8, v53
	v_cndmask_b32_e32 v34, v56, v34, vcc
	v_cndmask_b32_e32 v44, v44, v54, vcc
	v_lshlrev_b32_e32 v53, 16, v32
	v_lshlrev_b32_e32 v44, 20, v44
	v_and_b32_e32 v53, 0x80000000, v53
	v_lshl_add_u32 v34, v34, 23, v40
	v_or3_b32 v44, v53, v34, v44
.LBB657_123:                            ;   in Loop: Header=BB657_17 Depth=1
	s_or_b64 exec, exec, s[12:13]
.LBB657_124:                            ;   in Loop: Header=BB657_17 Depth=1
	s_or_b64 exec, exec, s[10:11]
.LBB657_125:                            ;   in Loop: Header=BB657_17 Depth=1
	s_or_b64 exec, exec, s[4:5]
	v_lshrrev_b32_e32 v34, 16, v32
	v_cmp_ne_u16_sdwa s[10:11], v34, v36 src0_sel:BYTE_0 src1_sel:DWORD
	s_and_saveexec_b64 s[4:5], s[10:11]
	s_cbranch_execz .LBB657_131
; %bb.126:                              ;   in Loop: Header=BB657_17 Depth=1
	v_cmp_ne_u16_sdwa s[12:13], v34, s15 src0_sel:BYTE_0 src1_sel:DWORD
	v_bfrev_b32_e32 v42, 1
	s_and_saveexec_b64 s[10:11], s[12:13]
	s_cbranch_execz .LBB657_130
; %bb.127:                              ;   in Loop: Header=BB657_17 Depth=1
	v_bfe_u32 v53, v32, 16, 7
	v_cmp_ne_u32_e32 vcc, s16, v53
	v_mov_b32_e32 v42, 0x7f800001
	s_and_saveexec_b64 s[12:13], vcc
	s_cbranch_execz .LBB657_129
; %bb.128:                              ;   in Loop: Header=BB657_17 Depth=1
	v_and_b32_e32 v42, 7, v34
	v_ffbh_u32_e32 v54, v42
	v_min_u32_e32 v57, 32, v54
	v_subrev_u32_e32 v54, 28, v57
	v_lshlrev_b64 v[54:55], v54, v[34:35]
	v_lshrrev_b32_e32 v56, 3, v53
	v_sub_u32_e32 v55, 29, v57
	v_and_b32_e32 v54, 7, v54
	v_cmp_gt_u32_e32 vcc, 8, v53
	v_cndmask_b32_e32 v53, v56, v55, vcc
	v_cndmask_b32_e32 v42, v42, v54, vcc
	v_lshlrev_b32_e32 v34, 24, v34
	v_lshlrev_b32_e32 v42, 20, v42
	v_and_b32_e32 v34, 0x80000000, v34
	v_lshl_add_u32 v53, v53, 23, v40
	v_or3_b32 v42, v34, v53, v42
.LBB657_129:                            ;   in Loop: Header=BB657_17 Depth=1
	s_or_b64 exec, exec, s[12:13]
.LBB657_130:                            ;   in Loop: Header=BB657_17 Depth=1
	s_or_b64 exec, exec, s[10:11]
.LBB657_131:                            ;   in Loop: Header=BB657_17 Depth=1
	s_or_b64 exec, exec, s[4:5]
	v_cmp_lt_u32_e32 vcc, s17, v32
	v_mov_b32_e32 v53, 0
	v_mov_b32_e32 v54, 0
	s_and_saveexec_b64 s[4:5], vcc
	s_cbranch_execz .LBB657_137
; %bb.132:                              ;   in Loop: Header=BB657_17 Depth=1
	v_lshrrev_b32_e32 v34, 24, v32
	v_cmp_ne_u32_e32 vcc, s15, v34
	v_bfrev_b32_e32 v54, 1
	s_and_saveexec_b64 s[10:11], vcc
	s_cbranch_execz .LBB657_136
; %bb.133:                              ;   in Loop: Header=BB657_17 Depth=1
	v_bfe_u32 v32, v32, 24, 7
	v_cmp_ne_u32_e32 vcc, s16, v32
	v_mov_b32_e32 v54, 0x7f800001
	s_and_saveexec_b64 s[12:13], vcc
	s_cbranch_execz .LBB657_135
; %bb.134:                              ;   in Loop: Header=BB657_17 Depth=1
	v_and_b32_e32 v56, 7, v34
	v_ffbh_u32_e32 v54, v56
	v_min_u32_e32 v58, 32, v54
	v_subrev_u32_e32 v54, 28, v58
	v_lshlrev_b64 v[54:55], v54, v[34:35]
	v_lshrrev_b32_e32 v57, 3, v32
	v_sub_u32_e32 v55, 29, v58
	v_and_b32_e32 v54, 7, v54
	v_cmp_gt_u32_e32 vcc, 8, v32
	v_cndmask_b32_e32 v32, v57, v55, vcc
	v_cndmask_b32_e32 v54, v56, v54, vcc
	v_lshlrev_b32_e32 v34, 24, v34
	v_lshlrev_b32_e32 v54, 20, v54
	v_and_b32_e32 v34, 0x80000000, v34
	v_lshl_add_u32 v32, v32, 23, v40
	v_or3_b32 v54, v34, v32, v54
.LBB657_135:                            ;   in Loop: Header=BB657_17 Depth=1
	s_or_b64 exec, exec, s[12:13]
.LBB657_136:                            ;   in Loop: Header=BB657_17 Depth=1
	s_or_b64 exec, exec, s[10:11]
.LBB657_137:                            ;   in Loop: Header=BB657_17 Depth=1
	s_or_b64 exec, exec, s[4:5]
	s_waitcnt vmcnt(2)
	v_cmp_ne_u16_sdwa s[10:11], v30, v36 src0_sel:BYTE_0 src1_sel:DWORD
	s_and_saveexec_b64 s[4:5], s[10:11]
	s_cbranch_execz .LBB657_143
; %bb.138:                              ;   in Loop: Header=BB657_17 Depth=1
	v_cmp_ne_u16_sdwa s[12:13], v30, s15 src0_sel:BYTE_0 src1_sel:DWORD
	v_bfrev_b32_e32 v53, 1
	s_and_saveexec_b64 s[10:11], s[12:13]
	s_cbranch_execz .LBB657_142
; %bb.139:                              ;   in Loop: Header=BB657_17 Depth=1
	v_and_b32_e32 v32, 0x7f, v30
	v_cmp_ne_u32_e32 vcc, s16, v32
	v_mov_b32_e32 v53, 0x7f800001
	s_and_saveexec_b64 s[12:13], vcc
	s_cbranch_execz .LBB657_141
; %bb.140:                              ;   in Loop: Header=BB657_17 Depth=1
	v_and_b32_e32 v34, 7, v30
	v_ffbh_u32_e32 v55, v34
	v_min_u32_e32 v55, 32, v55
	v_subrev_u32_e32 v56, 28, v55
	v_lshlrev_b64 v[56:57], v56, v[30:31]
	v_lshrrev_b32_e32 v53, 3, v32
	v_sub_u32_e32 v55, 29, v55
	v_and_b32_e32 v56, 7, v56
	v_cmp_gt_u32_e32 vcc, 8, v32
	v_cndmask_b32_e32 v32, v53, v55, vcc
	v_cndmask_b32_e32 v34, v34, v56, vcc
	v_lshlrev_b32_e32 v53, 24, v30
	v_lshlrev_b32_e32 v34, 20, v34
	v_and_b32_e32 v53, 0x80000000, v53
	v_lshl_add_u32 v32, v32, 23, v40
	v_or3_b32 v53, v53, v32, v34
.LBB657_141:                            ;   in Loop: Header=BB657_17 Depth=1
	s_or_b64 exec, exec, s[12:13]
.LBB657_142:                            ;   in Loop: Header=BB657_17 Depth=1
	s_or_b64 exec, exec, s[10:11]
.LBB657_143:                            ;   in Loop: Header=BB657_17 Depth=1
	s_or_b64 exec, exec, s[4:5]
	v_lshrrev_b16_e32 v32, 8, v30
	v_cmp_ne_u16_e32 vcc, 0, v32
	v_mov_b32_e32 v55, 0
	v_mov_b32_e32 v56, 0
	s_and_saveexec_b64 s[4:5], vcc
	s_cbranch_execz .LBB657_149
; %bb.144:                              ;   in Loop: Header=BB657_17 Depth=1
	v_cmp_ne_u16_e32 vcc, s15, v32
	v_bfrev_b32_e32 v56, 1
	s_and_saveexec_b64 s[10:11], vcc
	s_cbranch_execz .LBB657_148
; %bb.145:                              ;   in Loop: Header=BB657_17 Depth=1
	v_and_b32_e32 v34, 0x7f, v32
	v_cmp_ne_u32_e32 vcc, s16, v34
	v_mov_b32_e32 v56, 0x7f800001
	s_and_saveexec_b64 s[12:13], vcc
	s_cbranch_execz .LBB657_147
; %bb.146:                              ;   in Loop: Header=BB657_17 Depth=1
	v_and_b32_e32 v58, 7, v32
	v_ffbh_u32_e32 v56, v58
	v_min_u32_e32 v60, 32, v56
	v_subrev_u32_e32 v56, 28, v60
	v_lshlrev_b64 v[56:57], v56, v[32:33]
	v_lshrrev_b32_e32 v59, 3, v34
	v_sub_u32_e32 v32, 29, v60
	v_and_b32_e32 v56, 7, v56
	v_cmp_gt_u32_e32 vcc, 8, v34
	v_cndmask_b32_e32 v32, v59, v32, vcc
	v_cndmask_b32_e32 v34, v58, v56, vcc
	v_lshlrev_b32_e32 v56, 16, v30
	v_lshlrev_b32_e32 v34, 20, v34
	v_and_b32_e32 v56, 0x80000000, v56
	v_lshl_add_u32 v32, v32, 23, v40
	v_or3_b32 v56, v56, v32, v34
.LBB657_147:                            ;   in Loop: Header=BB657_17 Depth=1
	s_or_b64 exec, exec, s[12:13]
.LBB657_148:                            ;   in Loop: Header=BB657_17 Depth=1
	s_or_b64 exec, exec, s[10:11]
.LBB657_149:                            ;   in Loop: Header=BB657_17 Depth=1
	s_or_b64 exec, exec, s[4:5]
	v_lshrrev_b32_e32 v32, 16, v30
	v_cmp_ne_u16_sdwa s[10:11], v32, v36 src0_sel:BYTE_0 src1_sel:DWORD
	s_and_saveexec_b64 s[4:5], s[10:11]
	s_cbranch_execz .LBB657_155
; %bb.150:                              ;   in Loop: Header=BB657_17 Depth=1
	v_cmp_ne_u16_sdwa s[12:13], v32, s15 src0_sel:BYTE_0 src1_sel:DWORD
	v_bfrev_b32_e32 v55, 1
	s_and_saveexec_b64 s[10:11], s[12:13]
	s_cbranch_execz .LBB657_154
; %bb.151:                              ;   in Loop: Header=BB657_17 Depth=1
	v_bfe_u32 v34, v30, 16, 7
	v_cmp_ne_u32_e32 vcc, s16, v34
	v_mov_b32_e32 v55, 0x7f800001
	s_and_saveexec_b64 s[12:13], vcc
	s_cbranch_execz .LBB657_153
; %bb.152:                              ;   in Loop: Header=BB657_17 Depth=1
	v_and_b32_e32 v55, 7, v32
	v_ffbh_u32_e32 v58, v55
	v_min_u32_e32 v60, 32, v58
	v_subrev_u32_e32 v58, 28, v60
	v_lshlrev_b64 v[58:59], v58, v[32:33]
	v_lshrrev_b32_e32 v57, 3, v34
	v_sub_u32_e32 v59, 29, v60
	v_and_b32_e32 v58, 7, v58
	v_cmp_gt_u32_e32 vcc, 8, v34
	v_cndmask_b32_e32 v34, v57, v59, vcc
	v_cndmask_b32_e32 v55, v55, v58, vcc
	v_lshlrev_b32_e32 v32, 24, v32
	v_lshlrev_b32_e32 v55, 20, v55
	v_and_b32_e32 v32, 0x80000000, v32
	v_lshl_add_u32 v34, v34, 23, v40
	v_or3_b32 v55, v32, v34, v55
.LBB657_153:                            ;   in Loop: Header=BB657_17 Depth=1
	s_or_b64 exec, exec, s[12:13]
.LBB657_154:                            ;   in Loop: Header=BB657_17 Depth=1
	s_or_b64 exec, exec, s[10:11]
.LBB657_155:                            ;   in Loop: Header=BB657_17 Depth=1
	s_or_b64 exec, exec, s[4:5]
	v_cmp_lt_u32_e32 vcc, s17, v30
	v_mov_b32_e32 v34, 0
	v_mov_b32_e32 v57, 0
	s_and_saveexec_b64 s[4:5], vcc
	s_cbranch_execz .LBB657_161
; %bb.156:                              ;   in Loop: Header=BB657_17 Depth=1
	v_lshrrev_b32_e32 v32, 24, v30
	v_cmp_ne_u32_e32 vcc, s15, v32
	v_bfrev_b32_e32 v57, 1
	s_and_saveexec_b64 s[10:11], vcc
	s_cbranch_execz .LBB657_160
; %bb.157:                              ;   in Loop: Header=BB657_17 Depth=1
	v_bfe_u32 v30, v30, 24, 7
	v_cmp_ne_u32_e32 vcc, s16, v30
	v_mov_b32_e32 v57, 0x7f800001
	s_and_saveexec_b64 s[12:13], vcc
	s_cbranch_execz .LBB657_159
; %bb.158:                              ;   in Loop: Header=BB657_17 Depth=1
	v_and_b32_e32 v57, 7, v32
	v_ffbh_u32_e32 v58, v57
	v_min_u32_e32 v61, 32, v58
	v_subrev_u32_e32 v58, 28, v61
	v_lshlrev_b64 v[58:59], v58, v[32:33]
	v_lshrrev_b32_e32 v60, 3, v30
	v_sub_u32_e32 v59, 29, v61
	v_and_b32_e32 v58, 7, v58
	v_cmp_gt_u32_e32 vcc, 8, v30
	v_cndmask_b32_e32 v30, v60, v59, vcc
	v_cndmask_b32_e32 v57, v57, v58, vcc
	v_lshlrev_b32_e32 v32, 24, v32
	v_lshlrev_b32_e32 v57, 20, v57
	v_and_b32_e32 v32, 0x80000000, v32
	v_lshl_add_u32 v30, v30, 23, v40
	v_or3_b32 v57, v32, v30, v57
.LBB657_159:                            ;   in Loop: Header=BB657_17 Depth=1
	s_or_b64 exec, exec, s[12:13]
.LBB657_160:                            ;   in Loop: Header=BB657_17 Depth=1
	s_or_b64 exec, exec, s[10:11]
.LBB657_161:                            ;   in Loop: Header=BB657_17 Depth=1
	s_or_b64 exec, exec, s[4:5]
	v_cvt_pkrtz_f16_f32 v58, v23, v44
	v_cvt_pkrtz_f16_f32 v59, v42, v54
	;; [unrolled: 1-line block ×4, first 2 shown]
	s_waitcnt vmcnt(1)
	v_cmp_ne_u16_sdwa s[10:11], v28, v36 src0_sel:BYTE_0 src1_sel:DWORD
	v_mfma_f32_16x16x16f16 v[18:21], v[58:59], v[10:11], v[18:21]
	v_mfma_f32_16x16x16f16 v[18:21], v[54:55], v[12:13], v[18:21]
	s_and_saveexec_b64 s[4:5], s[10:11]
	s_cbranch_execz .LBB657_167
; %bb.162:                              ;   in Loop: Header=BB657_17 Depth=1
	v_cmp_ne_u16_sdwa s[12:13], v28, s15 src0_sel:BYTE_0 src1_sel:DWORD
	v_bfrev_b32_e32 v34, 1
	s_and_saveexec_b64 s[10:11], s[12:13]
	s_cbranch_execz .LBB657_166
; %bb.163:                              ;   in Loop: Header=BB657_17 Depth=1
	v_and_b32_e32 v23, 0x7f, v28
	v_cmp_ne_u32_e32 vcc, s16, v23
	v_mov_b32_e32 v34, 0x7f800001
	s_and_saveexec_b64 s[12:13], vcc
	s_cbranch_execz .LBB657_165
; %bb.164:                              ;   in Loop: Header=BB657_17 Depth=1
	v_and_b32_e32 v30, 7, v28
	v_ffbh_u32_e32 v34, v30
	v_min_u32_e32 v34, 32, v34
	v_subrev_u32_e32 v42, 28, v34
	v_lshlrev_b64 v[54:55], v42, v[28:29]
	v_lshrrev_b32_e32 v32, 3, v23
	v_sub_u32_e32 v34, 29, v34
	v_and_b32_e32 v42, 7, v54
	v_cmp_gt_u32_e32 vcc, 8, v23
	v_cndmask_b32_e32 v23, v32, v34, vcc
	v_cndmask_b32_e32 v30, v30, v42, vcc
	v_lshlrev_b32_e32 v32, 24, v28
	v_lshlrev_b32_e32 v30, 20, v30
	v_and_b32_e32 v32, 0x80000000, v32
	v_lshl_add_u32 v23, v23, 23, v40
	v_or3_b32 v34, v32, v23, v30
.LBB657_165:                            ;   in Loop: Header=BB657_17 Depth=1
	s_or_b64 exec, exec, s[12:13]
.LBB657_166:                            ;   in Loop: Header=BB657_17 Depth=1
	s_or_b64 exec, exec, s[10:11]
.LBB657_167:                            ;   in Loop: Header=BB657_17 Depth=1
	s_or_b64 exec, exec, s[4:5]
	v_lshrrev_b16_e32 v30, 8, v28
	v_cmp_ne_u16_e32 vcc, 0, v30
	v_mov_b32_e32 v23, 0
	v_mov_b32_e32 v32, 0
	s_and_saveexec_b64 s[4:5], vcc
	s_cbranch_execz .LBB657_173
; %bb.168:                              ;   in Loop: Header=BB657_17 Depth=1
	v_cmp_ne_u16_e32 vcc, s15, v30
	v_bfrev_b32_e32 v32, 1
	s_and_saveexec_b64 s[10:11], vcc
	s_cbranch_execz .LBB657_172
; %bb.169:                              ;   in Loop: Header=BB657_17 Depth=1
	v_and_b32_e32 v42, 0x7f, v30
	v_cmp_ne_u32_e32 vcc, s16, v42
	v_mov_b32_e32 v32, 0x7f800001
	s_and_saveexec_b64 s[12:13], vcc
	s_cbranch_execz .LBB657_171
; %bb.170:                              ;   in Loop: Header=BB657_17 Depth=1
	v_and_b32_e32 v32, 7, v30
	v_ffbh_u32_e32 v53, v32
	v_min_u32_e32 v53, 32, v53
	v_subrev_u32_e32 v54, 28, v53
	v_lshlrev_b64 v[54:55], v54, v[30:31]
	v_lshrrev_b32_e32 v44, 3, v42
	v_sub_u32_e32 v30, 29, v53
	v_and_b32_e32 v53, 7, v54
	v_cmp_gt_u32_e32 vcc, 8, v42
	v_cndmask_b32_e32 v30, v44, v30, vcc
	v_cndmask_b32_e32 v32, v32, v53, vcc
	v_lshlrev_b32_e32 v42, 16, v28
	v_lshlrev_b32_e32 v32, 20, v32
	v_and_b32_e32 v42, 0x80000000, v42
	v_lshl_add_u32 v30, v30, 23, v40
	v_or3_b32 v32, v42, v30, v32
.LBB657_171:                            ;   in Loop: Header=BB657_17 Depth=1
	s_or_b64 exec, exec, s[12:13]
.LBB657_172:                            ;   in Loop: Header=BB657_17 Depth=1
	s_or_b64 exec, exec, s[10:11]
.LBB657_173:                            ;   in Loop: Header=BB657_17 Depth=1
	s_or_b64 exec, exec, s[4:5]
	v_lshrrev_b32_e32 v30, 16, v28
	v_cmp_ne_u16_sdwa s[10:11], v30, v36 src0_sel:BYTE_0 src1_sel:DWORD
	s_and_saveexec_b64 s[4:5], s[10:11]
	s_cbranch_execz .LBB657_179
; %bb.174:                              ;   in Loop: Header=BB657_17 Depth=1
	v_cmp_ne_u16_sdwa s[12:13], v30, s15 src0_sel:BYTE_0 src1_sel:DWORD
	v_bfrev_b32_e32 v23, 1
	s_and_saveexec_b64 s[10:11], s[12:13]
	s_cbranch_execz .LBB657_178
; %bb.175:                              ;   in Loop: Header=BB657_17 Depth=1
	v_bfe_u32 v42, v28, 16, 7
	v_cmp_ne_u32_e32 vcc, s16, v42
	v_mov_b32_e32 v23, 0x7f800001
	s_and_saveexec_b64 s[12:13], vcc
	s_cbranch_execz .LBB657_177
; %bb.176:                              ;   in Loop: Header=BB657_17 Depth=1
	v_and_b32_e32 v23, 7, v30
	v_ffbh_u32_e32 v53, v23
	v_min_u32_e32 v53, 32, v53
	v_subrev_u32_e32 v54, 28, v53
	v_lshlrev_b64 v[54:55], v54, v[30:31]
	v_lshrrev_b32_e32 v44, 3, v42
	v_sub_u32_e32 v53, 29, v53
	v_and_b32_e32 v54, 7, v54
	v_cmp_gt_u32_e32 vcc, 8, v42
	v_cndmask_b32_e32 v42, v44, v53, vcc
	v_cndmask_b32_e32 v23, v23, v54, vcc
	v_lshlrev_b32_e32 v30, 24, v30
	v_lshlrev_b32_e32 v23, 20, v23
	v_and_b32_e32 v30, 0x80000000, v30
	v_lshl_add_u32 v42, v42, 23, v40
	v_or3_b32 v23, v30, v42, v23
.LBB657_177:                            ;   in Loop: Header=BB657_17 Depth=1
	s_or_b64 exec, exec, s[12:13]
.LBB657_178:                            ;   in Loop: Header=BB657_17 Depth=1
	s_or_b64 exec, exec, s[10:11]
.LBB657_179:                            ;   in Loop: Header=BB657_17 Depth=1
	s_or_b64 exec, exec, s[4:5]
	v_cmp_lt_u32_e32 vcc, s17, v28
	v_mov_b32_e32 v42, 0
	v_mov_b32_e32 v44, 0
	s_and_saveexec_b64 s[4:5], vcc
	s_cbranch_execz .LBB657_185
; %bb.180:                              ;   in Loop: Header=BB657_17 Depth=1
	v_lshrrev_b32_e32 v30, 24, v28
	v_cmp_ne_u32_e32 vcc, s15, v30
	v_bfrev_b32_e32 v44, 1
	s_and_saveexec_b64 s[10:11], vcc
	s_cbranch_execz .LBB657_184
; %bb.181:                              ;   in Loop: Header=BB657_17 Depth=1
	v_bfe_u32 v28, v28, 24, 7
	v_cmp_ne_u32_e32 vcc, s16, v28
	v_mov_b32_e32 v44, 0x7f800001
	s_and_saveexec_b64 s[12:13], vcc
	s_cbranch_execz .LBB657_183
; %bb.182:                              ;   in Loop: Header=BB657_17 Depth=1
	v_and_b32_e32 v44, 7, v30
	v_ffbh_u32_e32 v54, v44
	v_min_u32_e32 v56, 32, v54
	v_subrev_u32_e32 v54, 28, v56
	v_lshlrev_b64 v[54:55], v54, v[30:31]
	v_lshrrev_b32_e32 v53, 3, v28
	v_sub_u32_e32 v55, 29, v56
	v_and_b32_e32 v54, 7, v54
	v_cmp_gt_u32_e32 vcc, 8, v28
	v_cndmask_b32_e32 v28, v53, v55, vcc
	v_cndmask_b32_e32 v44, v44, v54, vcc
	v_lshlrev_b32_e32 v30, 24, v30
	v_lshlrev_b32_e32 v44, 20, v44
	v_and_b32_e32 v30, 0x80000000, v30
	v_lshl_add_u32 v28, v28, 23, v40
	v_or3_b32 v44, v30, v28, v44
.LBB657_183:                            ;   in Loop: Header=BB657_17 Depth=1
	s_or_b64 exec, exec, s[12:13]
.LBB657_184:                            ;   in Loop: Header=BB657_17 Depth=1
	s_or_b64 exec, exec, s[10:11]
.LBB657_185:                            ;   in Loop: Header=BB657_17 Depth=1
	s_or_b64 exec, exec, s[4:5]
	s_waitcnt vmcnt(0)
	v_cmp_ne_u16_sdwa s[10:11], v26, v36 src0_sel:BYTE_0 src1_sel:DWORD
	s_and_saveexec_b64 s[4:5], s[10:11]
	s_cbranch_execz .LBB657_191
; %bb.186:                              ;   in Loop: Header=BB657_17 Depth=1
	v_cmp_ne_u16_sdwa s[12:13], v26, s15 src0_sel:BYTE_0 src1_sel:DWORD
	v_bfrev_b32_e32 v42, 1
	s_and_saveexec_b64 s[10:11], s[12:13]
	s_cbranch_execz .LBB657_190
; %bb.187:                              ;   in Loop: Header=BB657_17 Depth=1
	v_and_b32_e32 v28, 0x7f, v26
	v_cmp_ne_u32_e32 vcc, s16, v28
	v_mov_b32_e32 v42, 0x7f800001
	s_and_saveexec_b64 s[12:13], vcc
	s_cbranch_execz .LBB657_189
; %bb.188:                              ;   in Loop: Header=BB657_17 Depth=1
	v_and_b32_e32 v30, 7, v26
	v_ffbh_u32_e32 v53, v30
	v_min_u32_e32 v53, 32, v53
	v_subrev_u32_e32 v54, 28, v53
	v_lshlrev_b64 v[54:55], v54, v[26:27]
	v_lshrrev_b32_e32 v42, 3, v28
	v_sub_u32_e32 v53, 29, v53
	v_and_b32_e32 v54, 7, v54
	v_cmp_gt_u32_e32 vcc, 8, v28
	v_cndmask_b32_e32 v28, v42, v53, vcc
	v_cndmask_b32_e32 v30, v30, v54, vcc
	v_lshlrev_b32_e32 v42, 24, v26
	v_lshlrev_b32_e32 v30, 20, v30
	v_and_b32_e32 v42, 0x80000000, v42
	v_lshl_add_u32 v28, v28, 23, v40
	v_or3_b32 v42, v42, v28, v30
.LBB657_189:                            ;   in Loop: Header=BB657_17 Depth=1
	s_or_b64 exec, exec, s[12:13]
.LBB657_190:                            ;   in Loop: Header=BB657_17 Depth=1
	s_or_b64 exec, exec, s[10:11]
.LBB657_191:                            ;   in Loop: Header=BB657_17 Depth=1
	s_or_b64 exec, exec, s[4:5]
	v_lshrrev_b16_e32 v28, 8, v26
	v_cmp_ne_u16_e32 vcc, 0, v28
	v_mov_b32_e32 v30, 0
	v_mov_b32_e32 v53, 0
	s_and_saveexec_b64 s[4:5], vcc
	s_cbranch_execz .LBB657_197
; %bb.192:                              ;   in Loop: Header=BB657_17 Depth=1
	v_cmp_ne_u16_e32 vcc, s15, v28
	v_bfrev_b32_e32 v53, 1
	s_and_saveexec_b64 s[10:11], vcc
	s_cbranch_execz .LBB657_196
; %bb.193:                              ;   in Loop: Header=BB657_17 Depth=1
	v_and_b32_e32 v54, 0x7f, v28
	v_cmp_ne_u32_e32 vcc, s16, v54
	v_mov_b32_e32 v53, 0x7f800001
	s_and_saveexec_b64 s[12:13], vcc
	s_cbranch_execz .LBB657_195
; %bb.194:                              ;   in Loop: Header=BB657_17 Depth=1
	v_and_b32_e32 v53, 7, v28
	v_ffbh_u32_e32 v56, v53
	v_min_u32_e32 v58, 32, v56
	v_subrev_u32_e32 v56, 28, v58
	v_lshlrev_b64 v[56:57], v56, v[28:29]
	v_lshrrev_b32_e32 v55, 3, v54
	v_sub_u32_e32 v28, 29, v58
	v_and_b32_e32 v56, 7, v56
	v_cmp_gt_u32_e32 vcc, 8, v54
	v_cndmask_b32_e32 v28, v55, v28, vcc
	v_cndmask_b32_e32 v53, v53, v56, vcc
	v_lshlrev_b32_e32 v54, 16, v26
	v_lshlrev_b32_e32 v53, 20, v53
	v_and_b32_e32 v54, 0x80000000, v54
	v_lshl_add_u32 v28, v28, 23, v40
	v_or3_b32 v53, v54, v28, v53
.LBB657_195:                            ;   in Loop: Header=BB657_17 Depth=1
	s_or_b64 exec, exec, s[12:13]
.LBB657_196:                            ;   in Loop: Header=BB657_17 Depth=1
	s_or_b64 exec, exec, s[10:11]
.LBB657_197:                            ;   in Loop: Header=BB657_17 Depth=1
	s_or_b64 exec, exec, s[4:5]
	v_lshrrev_b32_e32 v28, 16, v26
	v_cmp_ne_u16_sdwa s[10:11], v28, v36 src0_sel:BYTE_0 src1_sel:DWORD
	s_and_saveexec_b64 s[4:5], s[10:11]
	s_cbranch_execz .LBB657_203
; %bb.198:                              ;   in Loop: Header=BB657_17 Depth=1
	v_cmp_ne_u16_sdwa s[12:13], v28, s15 src0_sel:BYTE_0 src1_sel:DWORD
	v_bfrev_b32_e32 v30, 1
	s_and_saveexec_b64 s[10:11], s[12:13]
	s_cbranch_execz .LBB657_202
; %bb.199:                              ;   in Loop: Header=BB657_17 Depth=1
	v_bfe_u32 v54, v26, 16, 7
	v_cmp_ne_u32_e32 vcc, s16, v54
	v_mov_b32_e32 v30, 0x7f800001
	s_and_saveexec_b64 s[12:13], vcc
	s_cbranch_execz .LBB657_201
; %bb.200:                              ;   in Loop: Header=BB657_17 Depth=1
	v_and_b32_e32 v30, 7, v28
	v_ffbh_u32_e32 v56, v30
	v_min_u32_e32 v58, 32, v56
	v_subrev_u32_e32 v56, 28, v58
	v_lshlrev_b64 v[56:57], v56, v[28:29]
	v_lshrrev_b32_e32 v55, 3, v54
	v_sub_u32_e32 v57, 29, v58
	v_and_b32_e32 v56, 7, v56
	v_cmp_gt_u32_e32 vcc, 8, v54
	v_cndmask_b32_e32 v54, v55, v57, vcc
	v_cndmask_b32_e32 v30, v30, v56, vcc
	v_lshlrev_b32_e32 v28, 24, v28
	v_lshlrev_b32_e32 v30, 20, v30
	v_and_b32_e32 v28, 0x80000000, v28
	v_lshl_add_u32 v54, v54, 23, v40
	v_or3_b32 v30, v28, v54, v30
.LBB657_201:                            ;   in Loop: Header=BB657_17 Depth=1
	s_or_b64 exec, exec, s[12:13]
.LBB657_202:                            ;   in Loop: Header=BB657_17 Depth=1
	s_or_b64 exec, exec, s[10:11]
.LBB657_203:                            ;   in Loop: Header=BB657_17 Depth=1
	s_or_b64 exec, exec, s[4:5]
	v_cmp_lt_u32_e32 vcc, s17, v26
	v_mov_b32_e32 v54, 0
	s_and_saveexec_b64 s[4:5], vcc
	s_cbranch_execz .LBB657_16
; %bb.204:                              ;   in Loop: Header=BB657_17 Depth=1
	v_lshrrev_b32_e32 v28, 24, v26
	v_cmp_ne_u32_e32 vcc, s15, v28
	v_bfrev_b32_e32 v54, 1
	s_and_saveexec_b64 s[10:11], vcc
	s_cbranch_execz .LBB657_15
; %bb.205:                              ;   in Loop: Header=BB657_17 Depth=1
	v_bfe_u32 v26, v26, 24, 7
	v_cmp_ne_u32_e32 vcc, s16, v26
	v_mov_b32_e32 v54, 0x7f800001
	s_and_saveexec_b64 s[12:13], vcc
	s_cbranch_execz .LBB657_14
; %bb.206:                              ;   in Loop: Header=BB657_17 Depth=1
	v_and_b32_e32 v56, 7, v28
	v_ffbh_u32_e32 v54, v56
	v_min_u32_e32 v58, 32, v54
	v_subrev_u32_e32 v54, 28, v58
	v_lshlrev_b64 v[54:55], v54, v[28:29]
	v_lshrrev_b32_e32 v57, 3, v26
	v_sub_u32_e32 v55, 29, v58
	v_and_b32_e32 v54, 7, v54
	v_cmp_gt_u32_e32 vcc, 8, v26
	v_cndmask_b32_e32 v26, v57, v55, vcc
	v_cndmask_b32_e32 v54, v56, v54, vcc
	v_lshlrev_b32_e32 v28, 24, v28
	v_lshlrev_b32_e32 v54, 20, v54
	v_and_b32_e32 v28, 0x80000000, v28
	v_lshl_add_u32 v26, v26, 23, v40
	v_or3_b32 v54, v28, v26, v54
	s_branch .LBB657_14
.LBB657_207:
	buffer_load_dword v17, off, s[0:3], 0 offset:256
	buffer_load_dword v16, off, s[0:3], 0 offset:260
	;; [unrolled: 1-line block ×16, first 2 shown]
	v_and_b32_e32 v18, 0xc0, v0
	v_add_u32_e32 v18, s22, v18
	v_lshl_or_b32 v18, v27, 2, v18
	v_or_b32_e32 v20, 1, v18
	v_subrev_u32_e32 v24, s33, v20
	v_add_u32_e32 v26, 1, v24
	v_cvt_f32_i32_e32 v25, v24
	v_add_u32_e32 v28, 2, v24
	v_add_u32_e32 v30, 3, v24
	;; [unrolled: 1-line block ×14, first 2 shown]
	v_cvt_f32_i32_e32 v26, v26
	v_cvt_f32_i32_e32 v28, v28
	;; [unrolled: 1-line block ×4, first 2 shown]
	v_mov_b32_e32 v19, 0xff7fffff
	v_or_b32_e32 v21, 2, v18
	v_or_b32_e32 v22, 3, v18
	v_cvt_f32_i32_e32 v32, v32
	v_cvt_f32_i32_e32 v34, v34
	v_cmp_gt_i32_e64 s[30:31], s33, v18
	v_cmp_gt_i32_e64 s[34:35], s33, v20
	s_mov_b32 s48, 0xff7fffff
	v_cmp_gt_i32_e64 s[36:37], s33, v21
	v_cmp_gt_i32_e64 s[38:39], s33, v22
	v_or_b32_e32 v23, 16, v18
	v_cvt_f32_i32_e32 v36, v36
	v_cvt_f32_i32_e32 v37, v37
	v_cmp_gt_i32_e64 s[26:27], s33, v23
	v_cvt_f32_i32_e32 v38, v38
	v_cvt_f32_i32_e32 v40, v40
	;; [unrolled: 1-line block ×7, first 2 shown]
	s_waitcnt vmcnt(15)
	v_fmac_f32_e32 v17, v33, v25
	s_waitcnt vmcnt(14)
	v_fmac_f32_e32 v16, v33, v26
	;; [unrolled: 2-line block ×4, first 2 shown]
	v_cndmask_b32_e64 v20, v19, v16, s[34:35]
	v_cndmask_b32_e64 v21, v19, v15, s[36:37]
	;; [unrolled: 1-line block ×3, first 2 shown]
	s_waitcnt vmcnt(11)
	v_fmac_f32_e32 v13, v33, v32
	s_waitcnt vmcnt(10)
	v_fmac_f32_e32 v12, v33, v34
	;; [unrolled: 2-line block ×9, first 2 shown]
	v_cndmask_b32_e64 v24, v19, v17, s[30:31]
	v_max3_f32 v20, v24, s48, v20
	v_max3_f32 v20, v20, v21, v22
	v_or_b32_e32 v22, 17, v18
	v_cmp_gt_i32_e64 s[40:41], s33, v22
	v_cndmask_b32_e64 v21, v19, v13, s[26:27]
	v_cndmask_b32_e64 v22, v19, v12, s[40:41]
	v_max3_f32 v20, v20, v21, v22
	v_or_b32_e32 v21, 18, v18
	v_or_b32_e32 v22, 19, v18
	v_cmp_gt_i32_e64 s[22:23], s33, v21
	v_cmp_gt_i32_e64 s[24:25], s33, v22
	v_cndmask_b32_e64 v21, v19, v11, s[22:23]
	v_cndmask_b32_e64 v22, v19, v10, s[24:25]
	v_max3_f32 v20, v20, v21, v22
	v_or_b32_e32 v21, 32, v18
	v_or_b32_e32 v22, 33, v18
	v_cmp_gt_i32_e64 s[18:19], s33, v21
	v_cmp_gt_i32_e64 s[20:21], s33, v22
	v_cndmask_b32_e64 v21, v19, v9, s[18:19]
	v_cndmask_b32_e64 v22, v19, v8, s[20:21]
	v_max3_f32 v20, v20, v21, v22
	v_or_b32_e32 v21, 34, v18
	v_or_b32_e32 v22, 35, v18
	v_cmp_gt_i32_e64 s[14:15], s33, v21
	v_cmp_gt_i32_e64 s[16:17], s33, v22
	v_cndmask_b32_e64 v21, v19, v7, s[14:15]
	v_cndmask_b32_e64 v22, v19, v6, s[16:17]
	v_max3_f32 v20, v20, v21, v22
	v_or_b32_e32 v21, 48, v18
	v_or_b32_e32 v22, 49, v18
	v_fmac_f32_e32 v5, v33, v53
	v_fmac_f32_e32 v4, v33, v54
	v_cmp_gt_i32_e64 s[10:11], s33, v21
	v_cmp_gt_i32_e64 s[12:13], s33, v22
	v_cndmask_b32_e64 v21, v19, v5, s[10:11]
	v_cndmask_b32_e64 v22, v19, v4, s[12:13]
	v_max3_f32 v20, v20, v21, v22
	v_or_b32_e32 v21, 50, v18
	v_or_b32_e32 v18, 51, v18
	v_fmac_f32_e32 v3, v33, v55
	v_cmp_gt_i32_e32 vcc, s33, v21
	v_cmp_gt_i32_e64 s[4:5], s33, v18
	v_cndmask_b32_e32 v21, v19, v3, vcc
	v_cndmask_b32_e64 v18, v19, v2, s[4:5]
	v_mbcnt_lo_u32_b32 v19, -1, 0
	v_mbcnt_hi_u32_b32 v19, -1, v19
	v_max3_f32 v18, v20, v21, v18
	v_and_b32_e32 v20, 64, v19
	v_add_u32_e32 v20, 64, v20
	v_xor_b32_e32 v21, 32, v19
	v_cmp_lt_i32_e64 s[42:43], v21, v20
	v_cndmask_b32_e64 v21, v19, v21, s[42:43]
	v_lshlrev_b32_e32 v21, 2, v21
	ds_bpermute_b32 v22, v21, v18
	s_waitcnt lgkmcnt(0)
	v_max_f32_e32 v22, v22, v22
	v_max_f32_e32 v18, v18, v22
	v_xor_b32_e32 v22, 16, v19
	v_cmp_lt_i32_e64 s[42:43], v22, v20
	v_cndmask_b32_e64 v19, v19, v22, s[42:43]
	v_lshlrev_b32_e32 v19, 2, v19
	ds_bpermute_b32 v20, v19, v18
	s_waitcnt lgkmcnt(0)
	v_max_f32_e32 v20, v20, v20
	v_max_f32_e32 v18, v18, v20
	v_sub_f32_e32 v17, v17, v18
	v_mul_f32_e32 v17, 0x3fb8aa3b, v17
	v_sub_f32_e32 v16, v16, v18
	v_exp_f32_e32 v17, v17
	v_mul_f32_e32 v16, 0x3fb8aa3b, v16
	v_sub_f32_e32 v15, v15, v18
	v_exp_f32_e32 v16, v16
	v_mul_f32_e32 v15, 0x3fb8aa3b, v15
	v_sub_f32_e32 v14, v14, v18
	v_exp_f32_e32 v15, v15
	v_mul_f32_e32 v14, 0x3fb8aa3b, v14
	v_sub_f32_e32 v13, v13, v18
	v_exp_f32_e32 v14, v14
	v_mul_f32_e32 v13, 0x3fb8aa3b, v13
	v_sub_f32_e32 v12, v12, v18
	v_cndmask_b32_e64 v17, 0, v17, s[30:31]
	v_exp_f32_e32 v13, v13
	v_mul_f32_e32 v12, 0x3fb8aa3b, v12
	v_sub_f32_e32 v11, v11, v18
	v_add_f32_e32 v20, 0, v17
	v_cndmask_b32_e64 v16, 0, v16, s[34:35]
	v_exp_f32_e32 v12, v12
	v_mul_f32_e32 v11, 0x3fb8aa3b, v11
	v_sub_f32_e32 v10, v10, v18
	v_add_f32_e32 v20, v20, v16
	;; [unrolled: 5-line block ×4, first 2 shown]
	v_cndmask_b32_e64 v13, 0, v13, s[26:27]
	v_exp_f32_e32 v9, v9
	v_mul_f32_e32 v8, 0x3fb8aa3b, v8
	v_sub_f32_e32 v7, v7, v18
	buffer_store_dword v17, off, s[0:3], 0 offset:256
	buffer_store_dword v16, off, s[0:3], 0 offset:260
	;; [unrolled: 1-line block ×4, first 2 shown]
	v_add_f32_e32 v14, v20, v13
	v_cndmask_b32_e64 v12, 0, v12, s[40:41]
	v_exp_f32_e32 v8, v8
	v_mul_f32_e32 v7, 0x3fb8aa3b, v7
	v_sub_f32_e32 v6, v6, v18
	v_add_f32_e32 v14, v14, v12
	v_cndmask_b32_e64 v11, 0, v11, s[22:23]
	v_exp_f32_e32 v7, v7
	v_mul_f32_e32 v6, 0x3fb8aa3b, v6
	v_sub_f32_e32 v5, v5, v18
	;; [unrolled: 5-line block ×4, first 2 shown]
	buffer_store_dword v13, off, s[0:3], 0 offset:272
	buffer_store_dword v12, off, s[0:3], 0 offset:276
	;; [unrolled: 1-line block ×4, first 2 shown]
	v_add_f32_e32 v10, v14, v9
	v_cndmask_b32_e64 v8, 0, v8, s[20:21]
	v_exp_f32_e32 v4, v4
	v_mul_f32_e32 v3, 0x3fb8aa3b, v3
	v_sub_f32_e32 v2, v2, v18
	v_add_f32_e32 v10, v10, v8
	v_cndmask_b32_e64 v7, 0, v7, s[14:15]
	v_exp_f32_e32 v3, v3
	v_mul_f32_e32 v2, 0x3fb8aa3b, v2
	v_add_f32_e32 v10, v10, v7
	v_cndmask_b32_e64 v6, 0, v6, s[16:17]
	v_exp_f32_e32 v2, v2
	v_add_f32_e32 v10, v10, v6
	v_cndmask_b32_e64 v5, 0, v5, s[10:11]
	buffer_store_dword v9, off, s[0:3], 0 offset:288
	buffer_store_dword v8, off, s[0:3], 0 offset:292
	;; [unrolled: 1-line block ×4, first 2 shown]
	v_add_f32_e32 v6, v10, v5
	v_cndmask_b32_e64 v4, 0, v4, s[12:13]
	v_add_f32_e32 v6, v6, v4
	v_cndmask_b32_e32 v3, 0, v3, vcc
	v_add_f32_e32 v6, v6, v3
	v_cndmask_b32_e64 v2, 0, v2, s[4:5]
	v_add_f32_e32 v6, v6, v2
	ds_bpermute_b32 v7, v21, v6
	buffer_store_dword v5, off, s[0:3], 0 offset:304
	buffer_store_dword v4, off, s[0:3], 0 offset:308
	;; [unrolled: 1-line block ×4, first 2 shown]
	v_cmp_gt_u32_e32 vcc, 16, v35
	s_waitcnt lgkmcnt(0)
	s_barrier
	v_add_f32_e32 v2, v6, v7
	ds_bpermute_b32 v3, v19, v2
	s_waitcnt lgkmcnt(0)
	s_and_saveexec_b64 s[4:5], vcc
	s_cbranch_execz .LBB657_209
; %bb.208:
	v_add_f32_e32 v2, v2, v3
	v_lshlrev_b32_e32 v3, 2, v31
	ds_write2st64_b32 v3, v18, v2 offset1:1
.LBB657_209:
	s_or_b64 exec, exec, s[4:5]
	v_lshlrev_b32_e32 v2, 2, v41
	s_waitcnt lgkmcnt(0)
	s_barrier
	ds_read2_b32 v[12:13], v2 offset1:16
	ds_read2_b32 v[14:15], v2 offset0:32 offset1:48
	ds_read2_b32 v[6:7], v2 offset0:64 offset1:80
	;; [unrolled: 1-line block ×3, first 2 shown]
	s_waitcnt lgkmcnt(0)
	s_barrier
	buffer_load_dword v20, off, s[0:3], 0 offset:256
	buffer_load_dword v21, off, s[0:3], 0 offset:260
	;; [unrolled: 1-line block ×16, first 2 shown]
	v_lshlrev_b32_e32 v19, 3, v27
	v_lshlrev_b32_e32 v18, 5, v41
	v_lshlrev_b32_e32 v26, 11, v29
	v_or3_b32 v53, v26, v18, v19
	v_max3_f32 v19, v12, s48, v13
	v_max3_f32 v19, v19, v14, v15
	v_sub_f32_e32 v12, v12, v19
	v_sub_f32_e32 v13, v13, v19
	v_mul_f32_e32 v12, 0x3fb8aa3b, v12
	v_sub_f32_e32 v14, v14, v19
	v_mul_f32_e32 v13, 0x3fb8aa3b, v13
	v_exp_f32_e32 v12, v12
	v_sub_f32_e32 v15, v15, v19
	v_mul_f32_e32 v14, 0x3fb8aa3b, v14
	v_exp_f32_e32 v13, v13
	v_mul_f32_e32 v15, 0x3fb8aa3b, v15
	v_exp_f32_e32 v14, v14
	v_exp_f32_e32 v15, v15
	v_fma_f32 v6, v12, v6, 0
	v_fmac_f32_e32 v6, v13, v7
	v_fmac_f32_e32 v6, v14, v10
	;; [unrolled: 1-line block ×3, first 2 shown]
	v_cmp_eq_u32_e32 vcc, 1, v29
	v_add_f32_e32 v10, 0x358637bd, v6
	v_cndmask_b32_e32 v12, v12, v13, vcc
	v_cmp_eq_u32_e32 vcc, 2, v29
	v_div_scale_f32 v11, s[4:5], v10, v10, 1.0
	v_cndmask_b32_e32 v7, v12, v14, vcc
	v_rcp_f32_e32 v12, v11
	v_cmp_eq_u32_e32 vcc, 3, v29
	v_cndmask_b32_e32 v7, v7, v15, vcc
	v_div_scale_f32 v13, vcc, 1.0, v10, 1.0
	v_fma_f32 v14, -v11, v12, 1.0
	v_fmac_f32_e32 v12, v14, v12
	v_mul_f32_e32 v14, v13, v12
	v_fma_f32 v15, -v11, v14, v13
	v_fmac_f32_e32 v14, v15, v12
	v_fma_f32 v11, -v11, v14, v13
	v_div_fmas_f32 v11, v11, v12, v14
	v_div_fixup_f32 v10, v11, v10, 1.0
	v_mul_f32_e32 v10, v7, v10
	s_lshl_b32 s20, s53, 2
	v_cmp_gt_u32_e32 vcc, 4, v0
	s_waitcnt vmcnt(14)
	v_pk_mul_f32 v[14:15], v[10:11], v[20:21] op_sel_hi:[0,1]
	v_cvt_f16_f32_e32 v7, v14
	s_waitcnt vmcnt(12)
	v_pk_mul_f32 v[12:13], v[10:11], v[22:23] op_sel_hi:[0,1]
	buffer_store_dword v14, off, s[0:3], 0 offset:256
	buffer_store_dword v15, off, s[0:3], 0 offset:260
	;; [unrolled: 1-line block ×3, first 2 shown]
	s_waitcnt vmcnt(13)
	v_pk_mul_f32 v[20:21], v[10:11], v[24:25] op_sel_hi:[0,1]
	v_cvt_f16_f32_e32 v14, v12
	s_waitcnt vmcnt(11)
	v_pk_mul_f32 v[22:23], v[10:11], v[30:31] op_sel_hi:[0,1]
	v_cvt_f16_f32_e32 v11, v15
	v_cvt_f16_f32_e32 v15, v13
	buffer_store_dword v13, off, s[0:3], 0 offset:268
	buffer_store_dword v22, off, s[0:3], 0 offset:272
	;; [unrolled: 1-line block ×3, first 2 shown]
	v_pack_b32_f16 v12, v7, v11
	v_cvt_f16_f32_e32 v11, v23
	v_pack_b32_f16 v13, v14, v15
	v_cvt_f16_f32_e32 v7, v22
	v_cvt_f16_f32_e32 v15, v20
	;; [unrolled: 1-line block ×3, first 2 shown]
	s_waitcnt vmcnt(12)
	v_pk_mul_f32 v[4:5], v[10:11], v[4:5] op_sel_hi:[0,1]
	v_pack_b32_f16 v14, v7, v11
	s_waitcnt vmcnt(10)
	v_pk_mul_f32 v[2:3], v[10:11], v[2:3] op_sel_hi:[0,1]
	v_pack_b32_f16 v15, v15, v22
	v_cvt_f16_f32_e32 v11, v5
	buffer_store_dword v20, off, s[0:3], 0 offset:280
	buffer_store_dword v21, off, s[0:3], 0 offset:284
	ds_write2st64_b64 v53, v[12:13], v[14:15] offset1:1
	buffer_store_dword v2, off, s[0:3], 0 offset:288
	buffer_store_dword v3, off, s[0:3], 0 offset:292
	v_cvt_f16_f32_e32 v2, v2
	v_cvt_f16_f32_e32 v3, v3
	;; [unrolled: 1-line block ×3, first 2 shown]
	buffer_store_dword v4, off, s[0:3], 0 offset:296
	buffer_store_dword v5, off, s[0:3], 0 offset:300
	s_waitcnt vmcnt(12)
	v_pk_mul_f32 v[4:5], v[10:11], v[16:17] op_sel_hi:[0,1]
	v_pk_mul_f32 v[8:9], v[10:11], v[8:9] op_sel_hi:[0,1]
	v_pack_b32_f16 v2, v2, v3
	v_pack_b32_f16 v3, v7, v11
	buffer_store_dword v8, off, s[0:3], 0 offset:304
	buffer_store_dword v9, off, s[0:3], 0 offset:308
	v_cvt_f16_f32_e32 v7, v8
	v_cvt_f16_f32_e32 v8, v9
	;; [unrolled: 1-line block ×4, first 2 shown]
	buffer_store_dword v4, off, s[0:3], 0 offset:312
	buffer_store_dword v5, off, s[0:3], 0 offset:316
	v_pack_b32_f16 v4, v7, v8
	v_pack_b32_f16 v5, v9, v10
	ds_write2st64_b64 v53, v[2:3], v[4:5] offset0:2 offset1:3
	s_and_saveexec_b64 s[4:5], vcc
	s_cbranch_execz .LBB657_211
; %bb.210:
	v_or_b32_e32 v2, s29, v0
	v_mov_b32_e32 v3, 0
	v_mov_b32_e32 v4, s20
	v_mad_u64_u32 v[4:5], s[10:11], s8, v4, v[2:3]
	v_mov_b32_e32 v2, s28
	s_mul_i32 s9, s9, s20
	v_mad_u64_u32 v[2:3], s[10:11], v4, s52, v[2:3]
	v_add_u32_e32 v5, s9, v5
	v_mov_b32_e32 v4, v3
	v_mad_u64_u32 v[4:5], s[10:11], v5, s52, v[4:5]
	v_mov_b32_e32 v3, v4
	v_lshlrev_b64 v[2:3], 2, v[2:3]
	v_mov_b32_e32 v5, s47
	v_add_co_u32_e32 v4, vcc, s46, v2
	v_addc_co_u32_e32 v5, vcc, v5, v3, vcc
	global_store_dword v[4:5], v19, off
	v_mov_b32_e32 v4, s45
	v_add_co_u32_e32 v2, vcc, s44, v2
	v_addc_co_u32_e32 v3, vcc, v4, v3, vcc
	global_store_dword v[2:3], v6, off
.LBB657_211:
	s_or_b64 exec, exec, s[4:5]
	v_lshl_or_b32 v30, v27, 9, v18
	s_waitcnt lgkmcnt(0)
	s_barrier
	s_load_dword s4, s[50:51], 0x0
	ds_read_b128 v[2:5], v30
	ds_read_b128 v[6:9], v30 offset:16
	ds_read_b128 v[10:13], v30 offset:2048
	;; [unrolled: 1-line block ×7, first 2 shown]
	v_mov_b32_e32 v35, 0x80
	v_mov_b32_e32 v54, 0x140
	s_mov_b64 s[12:13], -1
	s_waitcnt lgkmcnt(0)
	s_mov_b32 s5, s4
	s_mov_b32 s10, s4
	s_mov_b32 s11, s4
	s_movk_i32 s9, 0x80
	s_movk_i32 s21, 0x7f
	s_mov_b32 s22, 0xffffff
	v_mov_b32_e32 v55, 0
	v_bfrev_b32_e32 v56, 60
	s_branch .LBB657_215
.LBB657_212:                            ;   in Loop: Header=BB657_215 Depth=1
	s_or_b64 exec, exec, s[18:19]
.LBB657_213:                            ;   in Loop: Header=BB657_215 Depth=1
	s_or_b64 exec, exec, s[16:17]
.LBB657_214:                            ;   in Loop: Header=BB657_215 Depth=1
	s_or_b64 exec, exec, s[14:15]
	v_cvt_pkrtz_f16_f32 v60, v46, v51
	v_cvt_pkrtz_f16_f32 v61, v44, v57
	s_xor_b64 s[14:15], s[12:13], -1
	s_mov_b64 s[12:13], 0
	v_mov_b32_e32 v46, v48
	v_mfma_f32_16x16x16f16 v[60:63], v[60:61], v[30:31], v[34:37]
	v_mov_b32_e32 v51, v50
	s_and_b64 vcc, exec, s[14:15]
	s_nop 4
	v_cvt_pkrtz_f16_f32 v36, v52, v58
	v_cvt_pkrtz_f16_f32 v37, v42, v59
	v_mov_b32_e32 v35, v47
	v_mov_b32_e32 v52, v49
	v_mfma_f32_16x16x16f16 v[58:61], v[36:37], v[32:33], v[60:63]
	s_nop 7
	s_nop 2
	v_pk_mul_f32 v[58:59], v[58:59], s[4:5]
	v_pk_mul_f32 v[36:37], v[60:61], s[10:11]
	v_cvt_f16_f32_e32 v34, v58
	v_cvt_f16_f32_e32 v38, v59
	;; [unrolled: 1-line block ×4, first 2 shown]
	v_pack_b32_f16 v34, v34, v38
	v_pack_b32_f16 v36, v36, v37
	buffer_store_dword v34, v54, s[0:3], 0 offen
	buffer_store_dword v36, v54, s[0:3], 0 offen offset:4
	v_mov_b32_e32 v54, 0x148
	s_cbranch_vccnz .LBB657_597
.LBB657_215:                            ; =>This Inner Loop Header: Depth=1
	buffer_load_dword v36, v35, s[0:3], 0 offen
	buffer_load_dword v34, v35, s[0:3], 0 offen offset:4
	buffer_load_dword v40, v35, s[0:3], 0 offen offset:8
	;; [unrolled: 1-line block ×3, first 2 shown]
	v_mov_b32_e32 v35, 0
	s_waitcnt vmcnt(3)
	v_cmp_ne_u16_sdwa s[16:17], v36, v55 src0_sel:BYTE_0 src1_sel:DWORD
	s_and_saveexec_b64 s[14:15], s[16:17]
	s_cbranch_execz .LBB657_221
; %bb.216:                              ;   in Loop: Header=BB657_215 Depth=1
	v_cmp_ne_u16_sdwa s[18:19], v36, s9 src0_sel:BYTE_0 src1_sel:DWORD
	v_bfrev_b32_e32 v35, 1
	s_and_saveexec_b64 s[16:17], s[18:19]
	s_cbranch_execz .LBB657_220
; %bb.217:                              ;   in Loop: Header=BB657_215 Depth=1
	v_and_b32_e32 v37, 0x7f, v36
	v_cmp_ne_u32_e32 vcc, s21, v37
	v_mov_b32_e32 v35, 0x7f800001
	s_and_saveexec_b64 s[18:19], vcc
	s_cbranch_execz .LBB657_219
; %bb.218:                              ;   in Loop: Header=BB657_215 Depth=1
	v_and_b32_e32 v35, 7, v36
	v_ffbh_u32_e32 v44, v35
	v_min_u32_e32 v44, 32, v44
	v_subrev_u32_e32 v57, 28, v44
	v_lshlrev_b64 v[58:59], v57, v[36:37]
	v_lshrrev_b32_e32 v42, 3, v37
	v_sub_u32_e32 v44, 29, v44
	v_and_b32_e32 v57, 7, v58
	v_cmp_gt_u32_e32 vcc, 8, v37
	v_cndmask_b32_e32 v37, v42, v44, vcc
	v_cndmask_b32_e32 v35, v35, v57, vcc
	v_lshlrev_b32_e32 v42, 24, v36
	v_lshlrev_b32_e32 v35, 20, v35
	v_and_b32_e32 v42, 0x80000000, v42
	v_lshl_add_u32 v37, v37, 23, v56
	v_or3_b32 v35, v42, v37, v35
.LBB657_219:                            ;   in Loop: Header=BB657_215 Depth=1
	s_or_b64 exec, exec, s[18:19]
.LBB657_220:                            ;   in Loop: Header=BB657_215 Depth=1
	s_or_b64 exec, exec, s[16:17]
.LBB657_221:                            ;   in Loop: Header=BB657_215 Depth=1
	s_or_b64 exec, exec, s[14:15]
	v_lshrrev_b16_e32 v42, 8, v36
	v_cmp_ne_u16_e32 vcc, 0, v42
	v_mov_b32_e32 v37, 0
	s_and_saveexec_b64 s[14:15], vcc
	s_cbranch_execz .LBB657_227
; %bb.222:                              ;   in Loop: Header=BB657_215 Depth=1
	v_cmp_ne_u16_e32 vcc, s9, v42
	v_bfrev_b32_e32 v37, 1
	s_and_saveexec_b64 s[16:17], vcc
	s_cbranch_execz .LBB657_226
; %bb.223:                              ;   in Loop: Header=BB657_215 Depth=1
	v_and_b32_e32 v44, 0x7f, v42
	v_cmp_ne_u32_e32 vcc, s21, v44
	v_mov_b32_e32 v37, 0x7f800001
	s_and_saveexec_b64 s[18:19], vcc
	s_cbranch_execz .LBB657_225
; %bb.224:                              ;   in Loop: Header=BB657_215 Depth=1
	v_and_b32_e32 v37, 7, v42
	v_ffbh_u32_e32 v58, v37
	v_min_u32_e32 v60, 32, v58
	v_subrev_u32_e32 v58, 28, v60
	v_lshlrev_b64 v[58:59], v58, v[42:43]
	v_lshrrev_b32_e32 v57, 3, v44
	v_sub_u32_e32 v42, 29, v60
	v_and_b32_e32 v58, 7, v58
	v_cmp_gt_u32_e32 vcc, 8, v44
	v_cndmask_b32_e32 v42, v57, v42, vcc
	v_cndmask_b32_e32 v37, v37, v58, vcc
	v_lshlrev_b32_e32 v44, 16, v36
	v_lshlrev_b32_e32 v37, 20, v37
	v_and_b32_e32 v44, 0x80000000, v44
	v_lshl_add_u32 v42, v42, 23, v56
	v_or3_b32 v37, v44, v42, v37
.LBB657_225:                            ;   in Loop: Header=BB657_215 Depth=1
	s_or_b64 exec, exec, s[18:19]
.LBB657_226:                            ;   in Loop: Header=BB657_215 Depth=1
	s_or_b64 exec, exec, s[16:17]
.LBB657_227:                            ;   in Loop: Header=BB657_215 Depth=1
	s_or_b64 exec, exec, s[14:15]
	v_lshrrev_b32_e32 v42, 16, v36
	v_cmp_ne_u16_sdwa s[16:17], v42, v55 src0_sel:BYTE_0 src1_sel:DWORD
	v_mov_b32_e32 v57, 0
	v_mov_b32_e32 v44, 0
	s_and_saveexec_b64 s[14:15], s[16:17]
	s_cbranch_execz .LBB657_233
; %bb.228:                              ;   in Loop: Header=BB657_215 Depth=1
	v_cmp_ne_u16_sdwa s[18:19], v42, s9 src0_sel:BYTE_0 src1_sel:DWORD
	v_bfrev_b32_e32 v44, 1
	s_and_saveexec_b64 s[16:17], s[18:19]
	s_cbranch_execz .LBB657_232
; %bb.229:                              ;   in Loop: Header=BB657_215 Depth=1
	v_bfe_u32 v58, v36, 16, 7
	v_cmp_ne_u32_e32 vcc, s21, v58
	v_mov_b32_e32 v44, 0x7f800001
	s_and_saveexec_b64 s[18:19], vcc
	s_cbranch_execz .LBB657_231
; %bb.230:                              ;   in Loop: Header=BB657_215 Depth=1
	v_and_b32_e32 v44, 7, v42
	v_ffbh_u32_e32 v60, v44
	v_min_u32_e32 v62, 32, v60
	v_subrev_u32_e32 v60, 28, v62
	v_lshlrev_b64 v[60:61], v60, v[42:43]
	v_lshrrev_b32_e32 v59, 3, v58
	v_sub_u32_e32 v61, 29, v62
	v_and_b32_e32 v60, 7, v60
	v_cmp_gt_u32_e32 vcc, 8, v58
	v_cndmask_b32_e32 v58, v59, v61, vcc
	v_cndmask_b32_e32 v44, v44, v60, vcc
	v_lshlrev_b32_e32 v42, 24, v42
	v_lshlrev_b32_e32 v44, 20, v44
	v_and_b32_e32 v42, 0x80000000, v42
	v_lshl_add_u32 v58, v58, 23, v56
	v_or3_b32 v44, v42, v58, v44
.LBB657_231:                            ;   in Loop: Header=BB657_215 Depth=1
	s_or_b64 exec, exec, s[18:19]
.LBB657_232:                            ;   in Loop: Header=BB657_215 Depth=1
	s_or_b64 exec, exec, s[16:17]
.LBB657_233:                            ;   in Loop: Header=BB657_215 Depth=1
	s_or_b64 exec, exec, s[14:15]
	v_cmp_lt_u32_e32 vcc, s22, v36
	s_and_saveexec_b64 s[14:15], vcc
	s_cbranch_execz .LBB657_239
; %bb.234:                              ;   in Loop: Header=BB657_215 Depth=1
	v_lshrrev_b32_e32 v42, 24, v36
	v_cmp_ne_u32_e32 vcc, s9, v42
	v_bfrev_b32_e32 v57, 1
	s_and_saveexec_b64 s[16:17], vcc
	s_cbranch_execz .LBB657_238
; %bb.235:                              ;   in Loop: Header=BB657_215 Depth=1
	v_bfe_u32 v36, v36, 24, 7
	v_cmp_ne_u32_e32 vcc, s21, v36
	v_mov_b32_e32 v57, 0x7f800001
	s_and_saveexec_b64 s[18:19], vcc
	s_cbranch_execz .LBB657_237
; %bb.236:                              ;   in Loop: Header=BB657_215 Depth=1
	v_and_b32_e32 v57, 7, v42
	v_ffbh_u32_e32 v58, v57
	v_min_u32_e32 v61, 32, v58
	v_subrev_u32_e32 v58, 28, v61
	v_lshlrev_b64 v[58:59], v58, v[42:43]
	v_lshrrev_b32_e32 v60, 3, v36
	v_sub_u32_e32 v59, 29, v61
	v_and_b32_e32 v58, 7, v58
	v_cmp_gt_u32_e32 vcc, 8, v36
	v_cndmask_b32_e32 v36, v60, v59, vcc
	v_cndmask_b32_e32 v57, v57, v58, vcc
	v_lshlrev_b32_e32 v42, 24, v42
	v_lshlrev_b32_e32 v57, 20, v57
	v_and_b32_e32 v42, 0x80000000, v42
	v_lshl_add_u32 v36, v36, 23, v56
	v_or3_b32 v57, v42, v36, v57
.LBB657_237:                            ;   in Loop: Header=BB657_215 Depth=1
	s_or_b64 exec, exec, s[18:19]
.LBB657_238:                            ;   in Loop: Header=BB657_215 Depth=1
	s_or_b64 exec, exec, s[16:17]
.LBB657_239:                            ;   in Loop: Header=BB657_215 Depth=1
	s_or_b64 exec, exec, s[14:15]
	s_waitcnt vmcnt(2)
	v_cmp_ne_u16_sdwa s[16:17], v34, v55 src0_sel:BYTE_0 src1_sel:DWORD
	v_mov_b32_e32 v42, 0
	v_mov_b32_e32 v58, 0
	s_and_saveexec_b64 s[14:15], s[16:17]
	s_cbranch_execz .LBB657_245
; %bb.240:                              ;   in Loop: Header=BB657_215 Depth=1
	v_cmp_ne_u16_sdwa s[18:19], v34, s9 src0_sel:BYTE_0 src1_sel:DWORD
	v_bfrev_b32_e32 v58, 1
	s_and_saveexec_b64 s[16:17], s[18:19]
	s_cbranch_execz .LBB657_244
; %bb.241:                              ;   in Loop: Header=BB657_215 Depth=1
	v_and_b32_e32 v36, 0x7f, v34
	v_cmp_ne_u32_e32 vcc, s21, v36
	v_mov_b32_e32 v58, 0x7f800001
	s_and_saveexec_b64 s[18:19], vcc
	s_cbranch_execz .LBB657_243
; %bb.242:                              ;   in Loop: Header=BB657_215 Depth=1
	v_and_b32_e32 v60, 7, v34
	v_ffbh_u32_e32 v58, v60
	v_min_u32_e32 v62, 32, v58
	v_subrev_u32_e32 v58, 28, v62
	v_lshlrev_b64 v[58:59], v58, v[34:35]
	v_lshrrev_b32_e32 v61, 3, v36
	v_sub_u32_e32 v59, 29, v62
	v_and_b32_e32 v58, 7, v58
	v_cmp_gt_u32_e32 vcc, 8, v36
	v_cndmask_b32_e32 v36, v61, v59, vcc
	v_cndmask_b32_e32 v58, v60, v58, vcc
	v_lshlrev_b32_e32 v59, 24, v34
	v_lshlrev_b32_e32 v58, 20, v58
	v_and_b32_e32 v59, 0x80000000, v59
	v_lshl_add_u32 v36, v36, 23, v56
	v_or3_b32 v58, v59, v36, v58
.LBB657_243:                            ;   in Loop: Header=BB657_215 Depth=1
	s_or_b64 exec, exec, s[18:19]
.LBB657_244:                            ;   in Loop: Header=BB657_215 Depth=1
	s_or_b64 exec, exec, s[16:17]
.LBB657_245:                            ;   in Loop: Header=BB657_215 Depth=1
	s_or_b64 exec, exec, s[14:15]
	v_lshrrev_b16_e32 v36, 8, v34
	v_cmp_ne_u16_e32 vcc, 0, v36
	s_and_saveexec_b64 s[14:15], vcc
	s_cbranch_execz .LBB657_251
; %bb.246:                              ;   in Loop: Header=BB657_215 Depth=1
	v_cmp_ne_u16_e32 vcc, s9, v36
	v_bfrev_b32_e32 v42, 1
	s_and_saveexec_b64 s[16:17], vcc
	s_cbranch_execz .LBB657_250
; %bb.247:                              ;   in Loop: Header=BB657_215 Depth=1
	v_and_b32_e32 v59, 0x7f, v36
	v_cmp_ne_u32_e32 vcc, s21, v59
	v_mov_b32_e32 v42, 0x7f800001
	s_and_saveexec_b64 s[18:19], vcc
	s_cbranch_execz .LBB657_249
; %bb.248:                              ;   in Loop: Header=BB657_215 Depth=1
	v_and_b32_e32 v42, 7, v36
	v_ffbh_u32_e32 v60, v42
	v_min_u32_e32 v63, 32, v60
	v_subrev_u32_e32 v60, 28, v63
	v_lshlrev_b64 v[60:61], v60, v[36:37]
	v_lshrrev_b32_e32 v62, 3, v59
	v_sub_u32_e32 v36, 29, v63
	v_and_b32_e32 v60, 7, v60
	v_cmp_gt_u32_e32 vcc, 8, v59
	v_cndmask_b32_e32 v36, v62, v36, vcc
	v_cndmask_b32_e32 v42, v42, v60, vcc
	v_lshlrev_b32_e32 v59, 16, v34
	v_lshlrev_b32_e32 v42, 20, v42
	v_and_b32_e32 v59, 0x80000000, v59
	v_lshl_add_u32 v36, v36, 23, v56
	v_or3_b32 v42, v59, v36, v42
.LBB657_249:                            ;   in Loop: Header=BB657_215 Depth=1
	s_or_b64 exec, exec, s[18:19]
.LBB657_250:                            ;   in Loop: Header=BB657_215 Depth=1
	s_or_b64 exec, exec, s[16:17]
.LBB657_251:                            ;   in Loop: Header=BB657_215 Depth=1
	s_or_b64 exec, exec, s[14:15]
	v_lshrrev_b32_e32 v36, 16, v34
	v_cmp_ne_u16_sdwa s[16:17], v36, v55 src0_sel:BYTE_0 src1_sel:DWORD
	v_mov_b32_e32 v60, 0
	v_mov_b32_e32 v59, 0
	s_and_saveexec_b64 s[14:15], s[16:17]
	s_cbranch_execz .LBB657_257
; %bb.252:                              ;   in Loop: Header=BB657_215 Depth=1
	v_cmp_ne_u16_sdwa s[18:19], v36, s9 src0_sel:BYTE_0 src1_sel:DWORD
	v_bfrev_b32_e32 v59, 1
	s_and_saveexec_b64 s[16:17], s[18:19]
	s_cbranch_execz .LBB657_256
; %bb.253:                              ;   in Loop: Header=BB657_215 Depth=1
	v_bfe_u32 v61, v34, 16, 7
	v_cmp_ne_u32_e32 vcc, s21, v61
	v_mov_b32_e32 v59, 0x7f800001
	s_and_saveexec_b64 s[18:19], vcc
	s_cbranch_execz .LBB657_255
; %bb.254:                              ;   in Loop: Header=BB657_215 Depth=1
	v_and_b32_e32 v59, 7, v36
	v_ffbh_u32_e32 v62, v59
	v_min_u32_e32 v65, 32, v62
	v_subrev_u32_e32 v62, 28, v65
	v_lshlrev_b64 v[62:63], v62, v[36:37]
	v_lshrrev_b32_e32 v64, 3, v61
	v_sub_u32_e32 v63, 29, v65
	v_and_b32_e32 v62, 7, v62
	v_cmp_gt_u32_e32 vcc, 8, v61
	v_cndmask_b32_e32 v61, v64, v63, vcc
	v_cndmask_b32_e32 v59, v59, v62, vcc
	v_lshlrev_b32_e32 v36, 24, v36
	v_lshlrev_b32_e32 v59, 20, v59
	v_and_b32_e32 v36, 0x80000000, v36
	v_lshl_add_u32 v61, v61, 23, v56
	v_or3_b32 v59, v36, v61, v59
.LBB657_255:                            ;   in Loop: Header=BB657_215 Depth=1
	s_or_b64 exec, exec, s[18:19]
.LBB657_256:                            ;   in Loop: Header=BB657_215 Depth=1
	s_or_b64 exec, exec, s[16:17]
.LBB657_257:                            ;   in Loop: Header=BB657_215 Depth=1
	s_or_b64 exec, exec, s[14:15]
	v_cmp_lt_u32_e32 vcc, s22, v34
	s_and_saveexec_b64 s[14:15], vcc
	s_cbranch_execz .LBB657_263
; %bb.258:                              ;   in Loop: Header=BB657_215 Depth=1
	v_lshrrev_b32_e32 v36, 24, v34
	v_cmp_ne_u32_e32 vcc, s9, v36
	v_bfrev_b32_e32 v60, 1
	s_and_saveexec_b64 s[16:17], vcc
	s_cbranch_execz .LBB657_262
; %bb.259:                              ;   in Loop: Header=BB657_215 Depth=1
	v_bfe_u32 v34, v34, 24, 7
	v_cmp_ne_u32_e32 vcc, s21, v34
	v_mov_b32_e32 v60, 0x7f800001
	s_and_saveexec_b64 s[18:19], vcc
	s_cbranch_execz .LBB657_261
; %bb.260:                              ;   in Loop: Header=BB657_215 Depth=1
	v_and_b32_e32 v62, 7, v36
	v_ffbh_u32_e32 v60, v62
	v_min_u32_e32 v64, 32, v60
	v_subrev_u32_e32 v60, 28, v64
	v_lshlrev_b64 v[60:61], v60, v[36:37]
	v_lshrrev_b32_e32 v63, 3, v34
	v_sub_u32_e32 v61, 29, v64
	v_and_b32_e32 v60, 7, v60
	v_cmp_gt_u32_e32 vcc, 8, v34
	v_cndmask_b32_e32 v34, v63, v61, vcc
	v_cndmask_b32_e32 v60, v62, v60, vcc
	v_lshlrev_b32_e32 v36, 24, v36
	v_lshlrev_b32_e32 v60, 20, v60
	v_and_b32_e32 v36, 0x80000000, v36
	v_lshl_add_u32 v34, v34, 23, v56
	v_or3_b32 v60, v36, v34, v60
.LBB657_261:                            ;   in Loop: Header=BB657_215 Depth=1
	s_or_b64 exec, exec, s[18:19]
.LBB657_262:                            ;   in Loop: Header=BB657_215 Depth=1
	s_or_b64 exec, exec, s[16:17]
.LBB657_263:                            ;   in Loop: Header=BB657_215 Depth=1
	s_or_b64 exec, exec, s[14:15]
	v_cvt_pkrtz_f16_f32 v34, v35, v37
	v_cvt_pkrtz_f16_f32 v35, v44, v57
	;; [unrolled: 1-line block ×4, first 2 shown]
	v_mov_b32_e32 v44, 0
	v_mfma_f32_16x16x16f16 v[34:37], v[34:35], v[2:3], 0
	s_waitcnt vmcnt(1)
	v_cmp_ne_u16_sdwa s[16:17], v40, v55 src0_sel:BYTE_0 src1_sel:DWORD
	v_mov_b32_e32 v58, 0
	v_mfma_f32_16x16x16f16 v[34:37], v[62:63], v[4:5], v[34:37]
	s_and_saveexec_b64 s[14:15], s[16:17]
	s_cbranch_execz .LBB657_269
; %bb.264:                              ;   in Loop: Header=BB657_215 Depth=1
	v_cmp_ne_u16_sdwa s[18:19], v40, s9 src0_sel:BYTE_0 src1_sel:DWORD
	v_bfrev_b32_e32 v58, 1
	s_and_saveexec_b64 s[16:17], s[18:19]
	s_cbranch_execz .LBB657_268
; %bb.265:                              ;   in Loop: Header=BB657_215 Depth=1
	v_and_b32_e32 v42, 0x7f, v40
	v_cmp_ne_u32_e32 vcc, s21, v42
	v_mov_b32_e32 v58, 0x7f800001
	s_and_saveexec_b64 s[18:19], vcc
	s_cbranch_execz .LBB657_267
; %bb.266:                              ;   in Loop: Header=BB657_215 Depth=1
	v_and_b32_e32 v57, 7, v40
	v_ffbh_u32_e32 v58, v57
	v_min_u32_e32 v61, 32, v58
	v_subrev_u32_e32 v58, 28, v61
	v_lshlrev_b64 v[58:59], v58, v[40:41]
	v_lshrrev_b32_e32 v60, 3, v42
	v_sub_u32_e32 v59, 29, v61
	v_and_b32_e32 v58, 7, v58
	v_cmp_gt_u32_e32 vcc, 8, v42
	v_cndmask_b32_e32 v42, v60, v59, vcc
	v_cndmask_b32_e32 v57, v57, v58, vcc
	v_lshlrev_b32_e32 v58, 24, v40
	v_lshlrev_b32_e32 v57, 20, v57
	v_and_b32_e32 v58, 0x80000000, v58
	v_lshl_add_u32 v42, v42, 23, v56
	v_or3_b32 v58, v58, v42, v57
.LBB657_267:                            ;   in Loop: Header=BB657_215 Depth=1
	s_or_b64 exec, exec, s[18:19]
.LBB657_268:                            ;   in Loop: Header=BB657_215 Depth=1
	s_or_b64 exec, exec, s[16:17]
.LBB657_269:                            ;   in Loop: Header=BB657_215 Depth=1
	s_or_b64 exec, exec, s[14:15]
	v_lshrrev_b16_e32 v42, 8, v40
	v_cmp_ne_u16_e32 vcc, 0, v42
	v_mov_b32_e32 v59, 0
	s_and_saveexec_b64 s[14:15], vcc
	s_cbranch_execz .LBB657_275
; %bb.270:                              ;   in Loop: Header=BB657_215 Depth=1
	v_cmp_ne_u16_e32 vcc, s9, v42
	v_bfrev_b32_e32 v59, 1
	s_and_saveexec_b64 s[16:17], vcc
	s_cbranch_execz .LBB657_274
; %bb.271:                              ;   in Loop: Header=BB657_215 Depth=1
	v_and_b32_e32 v57, 0x7f, v42
	v_cmp_ne_u32_e32 vcc, s21, v57
	v_mov_b32_e32 v59, 0x7f800001
	s_and_saveexec_b64 s[18:19], vcc
	s_cbranch_execz .LBB657_273
; %bb.272:                              ;   in Loop: Header=BB657_215 Depth=1
	v_and_b32_e32 v59, 7, v42
	v_ffbh_u32_e32 v60, v59
	v_min_u32_e32 v63, 32, v60
	v_subrev_u32_e32 v60, 28, v63
	v_lshlrev_b64 v[60:61], v60, v[42:43]
	v_lshrrev_b32_e32 v62, 3, v57
	v_sub_u32_e32 v42, 29, v63
	v_and_b32_e32 v60, 7, v60
	v_cmp_gt_u32_e32 vcc, 8, v57
	v_cndmask_b32_e32 v42, v62, v42, vcc
	v_cndmask_b32_e32 v57, v59, v60, vcc
	v_lshlrev_b32_e32 v59, 16, v40
	v_lshlrev_b32_e32 v57, 20, v57
	v_and_b32_e32 v59, 0x80000000, v59
	v_lshl_add_u32 v42, v42, 23, v56
	v_or3_b32 v59, v59, v42, v57
.LBB657_273:                            ;   in Loop: Header=BB657_215 Depth=1
	s_or_b64 exec, exec, s[18:19]
.LBB657_274:                            ;   in Loop: Header=BB657_215 Depth=1
	s_or_b64 exec, exec, s[16:17]
.LBB657_275:                            ;   in Loop: Header=BB657_215 Depth=1
	s_or_b64 exec, exec, s[14:15]
	v_lshrrev_b32_e32 v42, 16, v40
	v_cmp_ne_u16_sdwa s[16:17], v42, v55 src0_sel:BYTE_0 src1_sel:DWORD
	s_and_saveexec_b64 s[14:15], s[16:17]
	s_cbranch_execz .LBB657_281
; %bb.276:                              ;   in Loop: Header=BB657_215 Depth=1
	v_cmp_ne_u16_sdwa s[18:19], v42, s9 src0_sel:BYTE_0 src1_sel:DWORD
	v_bfrev_b32_e32 v44, 1
	s_and_saveexec_b64 s[16:17], s[18:19]
	s_cbranch_execz .LBB657_280
; %bb.277:                              ;   in Loop: Header=BB657_215 Depth=1
	v_bfe_u32 v57, v40, 16, 7
	v_cmp_ne_u32_e32 vcc, s21, v57
	v_mov_b32_e32 v44, 0x7f800001
	s_and_saveexec_b64 s[18:19], vcc
	s_cbranch_execz .LBB657_279
; %bb.278:                              ;   in Loop: Header=BB657_215 Depth=1
	v_and_b32_e32 v44, 7, v42
	v_ffbh_u32_e32 v60, v44
	v_min_u32_e32 v63, 32, v60
	v_subrev_u32_e32 v60, 28, v63
	v_lshlrev_b64 v[60:61], v60, v[42:43]
	v_lshrrev_b32_e32 v62, 3, v57
	v_sub_u32_e32 v61, 29, v63
	v_and_b32_e32 v60, 7, v60
	v_cmp_gt_u32_e32 vcc, 8, v57
	v_cndmask_b32_e32 v57, v62, v61, vcc
	v_cndmask_b32_e32 v44, v44, v60, vcc
	v_lshlrev_b32_e32 v42, 24, v42
	v_lshlrev_b32_e32 v44, 20, v44
	v_and_b32_e32 v42, 0x80000000, v42
	v_lshl_add_u32 v57, v57, 23, v56
	v_or3_b32 v44, v42, v57, v44
.LBB657_279:                            ;   in Loop: Header=BB657_215 Depth=1
	s_or_b64 exec, exec, s[18:19]
.LBB657_280:                            ;   in Loop: Header=BB657_215 Depth=1
	s_or_b64 exec, exec, s[16:17]
.LBB657_281:                            ;   in Loop: Header=BB657_215 Depth=1
	s_or_b64 exec, exec, s[14:15]
	v_cmp_lt_u32_e32 vcc, s22, v40
	v_mov_b32_e32 v60, 0
	v_mov_b32_e32 v61, 0
	s_and_saveexec_b64 s[14:15], vcc
	s_cbranch_execz .LBB657_287
; %bb.282:                              ;   in Loop: Header=BB657_215 Depth=1
	v_lshrrev_b32_e32 v42, 24, v40
	v_cmp_ne_u32_e32 vcc, s9, v42
	v_bfrev_b32_e32 v61, 1
	s_and_saveexec_b64 s[16:17], vcc
	s_cbranch_execz .LBB657_286
; %bb.283:                              ;   in Loop: Header=BB657_215 Depth=1
	v_bfe_u32 v40, v40, 24, 7
	v_cmp_ne_u32_e32 vcc, s21, v40
	v_mov_b32_e32 v61, 0x7f800001
	s_and_saveexec_b64 s[18:19], vcc
	s_cbranch_execz .LBB657_285
; %bb.284:                              ;   in Loop: Header=BB657_215 Depth=1
	v_and_b32_e32 v57, 7, v42
	v_ffbh_u32_e32 v62, v57
	v_min_u32_e32 v64, 32, v62
	v_subrev_u32_e32 v62, 28, v64
	v_lshlrev_b64 v[62:63], v62, v[42:43]
	v_lshrrev_b32_e32 v61, 3, v40
	v_sub_u32_e32 v63, 29, v64
	v_and_b32_e32 v62, 7, v62
	v_cmp_gt_u32_e32 vcc, 8, v40
	v_cndmask_b32_e32 v40, v61, v63, vcc
	v_cndmask_b32_e32 v57, v57, v62, vcc
	v_lshlrev_b32_e32 v42, 24, v42
	v_lshlrev_b32_e32 v57, 20, v57
	v_and_b32_e32 v42, 0x80000000, v42
	v_lshl_add_u32 v40, v40, 23, v56
	v_or3_b32 v61, v42, v40, v57
.LBB657_285:                            ;   in Loop: Header=BB657_215 Depth=1
	s_or_b64 exec, exec, s[18:19]
.LBB657_286:                            ;   in Loop: Header=BB657_215 Depth=1
	s_or_b64 exec, exec, s[16:17]
.LBB657_287:                            ;   in Loop: Header=BB657_215 Depth=1
	s_or_b64 exec, exec, s[14:15]
	s_waitcnt vmcnt(0)
	v_cmp_ne_u16_sdwa s[16:17], v38, v55 src0_sel:BYTE_0 src1_sel:DWORD
	s_and_saveexec_b64 s[14:15], s[16:17]
	s_cbranch_execz .LBB657_293
; %bb.288:                              ;   in Loop: Header=BB657_215 Depth=1
	v_cmp_ne_u16_sdwa s[18:19], v38, s9 src0_sel:BYTE_0 src1_sel:DWORD
	v_bfrev_b32_e32 v60, 1
	s_and_saveexec_b64 s[16:17], s[18:19]
	s_cbranch_execz .LBB657_292
; %bb.289:                              ;   in Loop: Header=BB657_215 Depth=1
	v_and_b32_e32 v40, 0x7f, v38
	v_cmp_ne_u32_e32 vcc, s21, v40
	v_mov_b32_e32 v60, 0x7f800001
	s_and_saveexec_b64 s[18:19], vcc
	s_cbranch_execz .LBB657_291
; %bb.290:                              ;   in Loop: Header=BB657_215 Depth=1
	v_and_b32_e32 v42, 7, v38
	v_ffbh_u32_e32 v60, v42
	v_min_u32_e32 v60, 32, v60
	v_subrev_u32_e32 v62, 28, v60
	v_lshlrev_b64 v[62:63], v62, v[38:39]
	v_lshrrev_b32_e32 v57, 3, v40
	v_sub_u32_e32 v60, 29, v60
	v_and_b32_e32 v62, 7, v62
	v_cmp_gt_u32_e32 vcc, 8, v40
	v_cndmask_b32_e32 v40, v57, v60, vcc
	v_cndmask_b32_e32 v42, v42, v62, vcc
	v_lshlrev_b32_e32 v57, 24, v38
	v_lshlrev_b32_e32 v42, 20, v42
	v_and_b32_e32 v57, 0x80000000, v57
	v_lshl_add_u32 v40, v40, 23, v56
	v_or3_b32 v60, v57, v40, v42
.LBB657_291:                            ;   in Loop: Header=BB657_215 Depth=1
	s_or_b64 exec, exec, s[18:19]
.LBB657_292:                            ;   in Loop: Header=BB657_215 Depth=1
	s_or_b64 exec, exec, s[16:17]
.LBB657_293:                            ;   in Loop: Header=BB657_215 Depth=1
	s_or_b64 exec, exec, s[14:15]
	v_lshrrev_b16_e32 v40, 8, v38
	v_cmp_ne_u16_e32 vcc, 0, v40
	v_mov_b32_e32 v62, 0
	v_mov_b32_e32 v63, 0
	s_and_saveexec_b64 s[14:15], vcc
	s_cbranch_execz .LBB657_299
; %bb.294:                              ;   in Loop: Header=BB657_215 Depth=1
	v_cmp_ne_u16_e32 vcc, s9, v40
	v_bfrev_b32_e32 v63, 1
	s_and_saveexec_b64 s[16:17], vcc
	s_cbranch_execz .LBB657_298
; %bb.295:                              ;   in Loop: Header=BB657_215 Depth=1
	v_and_b32_e32 v42, 0x7f, v40
	v_cmp_ne_u32_e32 vcc, s21, v42
	v_mov_b32_e32 v63, 0x7f800001
	s_and_saveexec_b64 s[18:19], vcc
	s_cbranch_execz .LBB657_297
; %bb.296:                              ;   in Loop: Header=BB657_215 Depth=1
	v_and_b32_e32 v57, 7, v40
	v_ffbh_u32_e32 v64, v57
	v_min_u32_e32 v66, 32, v64
	v_subrev_u32_e32 v64, 28, v66
	v_lshlrev_b64 v[64:65], v64, v[40:41]
	v_lshrrev_b32_e32 v63, 3, v42
	v_sub_u32_e32 v40, 29, v66
	v_and_b32_e32 v64, 7, v64
	v_cmp_gt_u32_e32 vcc, 8, v42
	v_cndmask_b32_e32 v40, v63, v40, vcc
	v_cndmask_b32_e32 v42, v57, v64, vcc
	v_lshlrev_b32_e32 v57, 16, v38
	v_lshlrev_b32_e32 v42, 20, v42
	v_and_b32_e32 v57, 0x80000000, v57
	v_lshl_add_u32 v40, v40, 23, v56
	v_or3_b32 v63, v57, v40, v42
.LBB657_297:                            ;   in Loop: Header=BB657_215 Depth=1
	s_or_b64 exec, exec, s[18:19]
.LBB657_298:                            ;   in Loop: Header=BB657_215 Depth=1
	s_or_b64 exec, exec, s[16:17]
.LBB657_299:                            ;   in Loop: Header=BB657_215 Depth=1
	s_or_b64 exec, exec, s[14:15]
	v_lshrrev_b32_e32 v40, 16, v38
	v_cmp_ne_u16_sdwa s[16:17], v40, v55 src0_sel:BYTE_0 src1_sel:DWORD
	s_and_saveexec_b64 s[14:15], s[16:17]
	s_cbranch_execz .LBB657_305
; %bb.300:                              ;   in Loop: Header=BB657_215 Depth=1
	v_cmp_ne_u16_sdwa s[18:19], v40, s9 src0_sel:BYTE_0 src1_sel:DWORD
	v_bfrev_b32_e32 v62, 1
	s_and_saveexec_b64 s[16:17], s[18:19]
	s_cbranch_execz .LBB657_304
; %bb.301:                              ;   in Loop: Header=BB657_215 Depth=1
	v_bfe_u32 v42, v38, 16, 7
	v_cmp_ne_u32_e32 vcc, s21, v42
	v_mov_b32_e32 v62, 0x7f800001
	s_and_saveexec_b64 s[18:19], vcc
	s_cbranch_execz .LBB657_303
; %bb.302:                              ;   in Loop: Header=BB657_215 Depth=1
	v_and_b32_e32 v57, 7, v40
	v_ffbh_u32_e32 v64, v57
	v_min_u32_e32 v66, 32, v64
	v_subrev_u32_e32 v64, 28, v66
	v_lshlrev_b64 v[64:65], v64, v[40:41]
	v_lshrrev_b32_e32 v62, 3, v42
	v_sub_u32_e32 v65, 29, v66
	v_and_b32_e32 v64, 7, v64
	v_cmp_gt_u32_e32 vcc, 8, v42
	v_cndmask_b32_e32 v42, v62, v65, vcc
	v_cndmask_b32_e32 v57, v57, v64, vcc
	v_lshlrev_b32_e32 v40, 24, v40
	v_lshlrev_b32_e32 v57, 20, v57
	v_and_b32_e32 v40, 0x80000000, v40
	v_lshl_add_u32 v42, v42, 23, v56
	v_or3_b32 v62, v40, v42, v57
.LBB657_303:                            ;   in Loop: Header=BB657_215 Depth=1
	s_or_b64 exec, exec, s[18:19]
.LBB657_304:                            ;   in Loop: Header=BB657_215 Depth=1
	s_or_b64 exec, exec, s[16:17]
.LBB657_305:                            ;   in Loop: Header=BB657_215 Depth=1
	s_or_b64 exec, exec, s[14:15]
	v_cmp_lt_u32_e32 vcc, s22, v38
	v_mov_b32_e32 v57, 0
	v_mov_b32_e32 v64, 0
	s_and_saveexec_b64 s[14:15], vcc
	s_cbranch_execz .LBB657_311
; %bb.306:                              ;   in Loop: Header=BB657_215 Depth=1
	v_lshrrev_b32_e32 v40, 24, v38
	v_cmp_ne_u32_e32 vcc, s9, v40
	v_bfrev_b32_e32 v64, 1
	s_and_saveexec_b64 s[16:17], vcc
	s_cbranch_execz .LBB657_310
; %bb.307:                              ;   in Loop: Header=BB657_215 Depth=1
	v_bfe_u32 v38, v38, 24, 7
	v_cmp_ne_u32_e32 vcc, s21, v38
	v_mov_b32_e32 v64, 0x7f800001
	s_and_saveexec_b64 s[18:19], vcc
	s_cbranch_execz .LBB657_309
; %bb.308:                              ;   in Loop: Header=BB657_215 Depth=1
	v_and_b32_e32 v42, 7, v40
	v_ffbh_u32_e32 v64, v42
	v_min_u32_e32 v67, 32, v64
	v_subrev_u32_e32 v64, 28, v67
	v_lshlrev_b64 v[64:65], v64, v[40:41]
	v_lshrrev_b32_e32 v66, 3, v38
	v_sub_u32_e32 v65, 29, v67
	v_and_b32_e32 v64, 7, v64
	v_cmp_gt_u32_e32 vcc, 8, v38
	v_cndmask_b32_e32 v38, v66, v65, vcc
	v_cndmask_b32_e32 v42, v42, v64, vcc
	v_lshlrev_b32_e32 v40, 24, v40
	v_lshlrev_b32_e32 v42, 20, v42
	v_and_b32_e32 v40, 0x80000000, v40
	v_lshl_add_u32 v38, v38, 23, v56
	v_or3_b32 v64, v40, v38, v42
.LBB657_309:                            ;   in Loop: Header=BB657_215 Depth=1
	s_or_b64 exec, exec, s[18:19]
.LBB657_310:                            ;   in Loop: Header=BB657_215 Depth=1
	s_or_b64 exec, exec, s[16:17]
.LBB657_311:                            ;   in Loop: Header=BB657_215 Depth=1
	s_or_b64 exec, exec, s[14:15]
	v_cvt_pkrtz_f16_f32 v58, v58, v59
	v_cvt_pkrtz_f16_f32 v59, v44, v61
	buffer_load_dword v44, v46, s[0:3], 0 offen
	buffer_load_dword v42, v46, s[0:3], 0 offen offset:4
	buffer_load_dword v40, v46, s[0:3], 0 offen offset:8
	;; [unrolled: 1-line block ×3, first 2 shown]
	v_mfma_f32_16x16x16f16 v[34:37], v[58:59], v[6:7], v[34:37]
	v_cvt_pkrtz_f16_f32 v58, v60, v63
	v_cvt_pkrtz_f16_f32 v59, v62, v64
	s_waitcnt vmcnt(3)
	v_cmp_ne_u16_sdwa s[16:17], v44, v55 src0_sel:BYTE_0 src1_sel:DWORD
	v_mfma_f32_16x16x16f16 v[34:37], v[58:59], v[8:9], v[34:37]
	s_and_saveexec_b64 s[14:15], s[16:17]
	s_cbranch_execz .LBB657_317
; %bb.312:                              ;   in Loop: Header=BB657_215 Depth=1
	v_cmp_ne_u16_sdwa s[18:19], v44, s9 src0_sel:BYTE_0 src1_sel:DWORD
	v_bfrev_b32_e32 v57, 1
	s_and_saveexec_b64 s[16:17], s[18:19]
	s_cbranch_execz .LBB657_316
; %bb.313:                              ;   in Loop: Header=BB657_215 Depth=1
	v_and_b32_e32 v46, 0x7f, v44
	v_cmp_ne_u32_e32 vcc, s21, v46
	v_mov_b32_e32 v57, 0x7f800001
	s_and_saveexec_b64 s[18:19], vcc
	s_cbranch_execz .LBB657_315
; %bb.314:                              ;   in Loop: Header=BB657_215 Depth=1
	v_and_b32_e32 v57, 7, v44
	v_ffbh_u32_e32 v58, v57
	v_min_u32_e32 v61, 32, v58
	v_subrev_u32_e32 v58, 28, v61
	v_lshlrev_b64 v[58:59], v58, v[44:45]
	v_lshrrev_b32_e32 v60, 3, v46
	v_sub_u32_e32 v59, 29, v61
	v_and_b32_e32 v58, 7, v58
	v_cmp_gt_u32_e32 vcc, 8, v46
	v_cndmask_b32_e32 v46, v60, v59, vcc
	v_cndmask_b32_e32 v57, v57, v58, vcc
	v_lshlrev_b32_e32 v58, 24, v44
	v_lshlrev_b32_e32 v57, 20, v57
	v_and_b32_e32 v58, 0x80000000, v58
	v_lshl_add_u32 v46, v46, 23, v56
	v_or3_b32 v57, v58, v46, v57
.LBB657_315:                            ;   in Loop: Header=BB657_215 Depth=1
	s_or_b64 exec, exec, s[18:19]
.LBB657_316:                            ;   in Loop: Header=BB657_215 Depth=1
	s_or_b64 exec, exec, s[16:17]
.LBB657_317:                            ;   in Loop: Header=BB657_215 Depth=1
	s_or_b64 exec, exec, s[14:15]
	v_lshrrev_b16_e32 v46, 8, v44
	v_cmp_ne_u16_e32 vcc, 0, v46
	v_mov_b32_e32 v58, 0
	v_mov_b32_e32 v59, 0
	s_and_saveexec_b64 s[14:15], vcc
	s_cbranch_execz .LBB657_323
; %bb.318:                              ;   in Loop: Header=BB657_215 Depth=1
	v_cmp_ne_u16_e32 vcc, s9, v46
	v_bfrev_b32_e32 v59, 1
	s_and_saveexec_b64 s[16:17], vcc
	s_cbranch_execz .LBB657_322
; %bb.319:                              ;   in Loop: Header=BB657_215 Depth=1
	v_and_b32_e32 v60, 0x7f, v46
	v_cmp_ne_u32_e32 vcc, s21, v60
	v_mov_b32_e32 v59, 0x7f800001
	s_and_saveexec_b64 s[18:19], vcc
	s_cbranch_execz .LBB657_321
; %bb.320:                              ;   in Loop: Header=BB657_215 Depth=1
	v_and_b32_e32 v59, 7, v46
	v_ffbh_u32_e32 v62, v59
	v_min_u32_e32 v64, 32, v62
	v_subrev_u32_e32 v62, 28, v64
	v_lshlrev_b64 v[62:63], v62, v[46:47]
	v_lshrrev_b32_e32 v61, 3, v60
	v_sub_u32_e32 v46, 29, v64
	v_and_b32_e32 v62, 7, v62
	v_cmp_gt_u32_e32 vcc, 8, v60
	v_cndmask_b32_e32 v46, v61, v46, vcc
	v_cndmask_b32_e32 v59, v59, v62, vcc
	v_lshlrev_b32_e32 v60, 16, v44
	v_lshlrev_b32_e32 v59, 20, v59
	v_and_b32_e32 v60, 0x80000000, v60
	v_lshl_add_u32 v46, v46, 23, v56
	v_or3_b32 v59, v60, v46, v59
.LBB657_321:                            ;   in Loop: Header=BB657_215 Depth=1
	s_or_b64 exec, exec, s[18:19]
.LBB657_322:                            ;   in Loop: Header=BB657_215 Depth=1
	s_or_b64 exec, exec, s[16:17]
.LBB657_323:                            ;   in Loop: Header=BB657_215 Depth=1
	s_or_b64 exec, exec, s[14:15]
	v_lshrrev_b32_e32 v46, 16, v44
	v_cmp_ne_u16_sdwa s[16:17], v46, v55 src0_sel:BYTE_0 src1_sel:DWORD
	s_and_saveexec_b64 s[14:15], s[16:17]
	s_cbranch_execz .LBB657_329
; %bb.324:                              ;   in Loop: Header=BB657_215 Depth=1
	v_cmp_ne_u16_sdwa s[18:19], v46, s9 src0_sel:BYTE_0 src1_sel:DWORD
	v_bfrev_b32_e32 v58, 1
	s_and_saveexec_b64 s[16:17], s[18:19]
	s_cbranch_execz .LBB657_328
; %bb.325:                              ;   in Loop: Header=BB657_215 Depth=1
	v_bfe_u32 v60, v44, 16, 7
	v_cmp_ne_u32_e32 vcc, s21, v60
	v_mov_b32_e32 v58, 0x7f800001
	s_and_saveexec_b64 s[18:19], vcc
	s_cbranch_execz .LBB657_327
; %bb.326:                              ;   in Loop: Header=BB657_215 Depth=1
	v_and_b32_e32 v58, 7, v46
	v_ffbh_u32_e32 v62, v58
	v_min_u32_e32 v64, 32, v62
	v_subrev_u32_e32 v62, 28, v64
	v_lshlrev_b64 v[62:63], v62, v[46:47]
	v_lshrrev_b32_e32 v61, 3, v60
	v_sub_u32_e32 v63, 29, v64
	v_and_b32_e32 v62, 7, v62
	v_cmp_gt_u32_e32 vcc, 8, v60
	v_cndmask_b32_e32 v60, v61, v63, vcc
	v_cndmask_b32_e32 v58, v58, v62, vcc
	v_lshlrev_b32_e32 v46, 24, v46
	v_lshlrev_b32_e32 v58, 20, v58
	v_and_b32_e32 v46, 0x80000000, v46
	v_lshl_add_u32 v60, v60, 23, v56
	v_or3_b32 v58, v46, v60, v58
.LBB657_327:                            ;   in Loop: Header=BB657_215 Depth=1
	s_or_b64 exec, exec, s[18:19]
.LBB657_328:                            ;   in Loop: Header=BB657_215 Depth=1
	s_or_b64 exec, exec, s[16:17]
.LBB657_329:                            ;   in Loop: Header=BB657_215 Depth=1
	s_or_b64 exec, exec, s[14:15]
	v_cmp_lt_u32_e32 vcc, s22, v44
	v_mov_b32_e32 v60, 0
	v_mov_b32_e32 v61, 0
	s_and_saveexec_b64 s[14:15], vcc
	s_cbranch_execz .LBB657_335
; %bb.330:                              ;   in Loop: Header=BB657_215 Depth=1
	v_lshrrev_b32_e32 v46, 24, v44
	v_cmp_ne_u32_e32 vcc, s9, v46
	v_bfrev_b32_e32 v61, 1
	s_and_saveexec_b64 s[16:17], vcc
	s_cbranch_execz .LBB657_334
; %bb.331:                              ;   in Loop: Header=BB657_215 Depth=1
	v_bfe_u32 v44, v44, 24, 7
	v_cmp_ne_u32_e32 vcc, s21, v44
	v_mov_b32_e32 v61, 0x7f800001
	s_and_saveexec_b64 s[18:19], vcc
	s_cbranch_execz .LBB657_333
; %bb.332:                              ;   in Loop: Header=BB657_215 Depth=1
	v_and_b32_e32 v61, 7, v46
	v_ffbh_u32_e32 v62, v61
	v_min_u32_e32 v65, 32, v62
	v_subrev_u32_e32 v62, 28, v65
	v_lshlrev_b64 v[62:63], v62, v[46:47]
	v_lshrrev_b32_e32 v64, 3, v44
	v_sub_u32_e32 v63, 29, v65
	v_and_b32_e32 v62, 7, v62
	v_cmp_gt_u32_e32 vcc, 8, v44
	v_cndmask_b32_e32 v44, v64, v63, vcc
	v_cndmask_b32_e32 v61, v61, v62, vcc
	v_lshlrev_b32_e32 v46, 24, v46
	v_lshlrev_b32_e32 v61, 20, v61
	v_and_b32_e32 v46, 0x80000000, v46
	v_lshl_add_u32 v44, v44, 23, v56
	v_or3_b32 v61, v46, v44, v61
.LBB657_333:                            ;   in Loop: Header=BB657_215 Depth=1
	s_or_b64 exec, exec, s[18:19]
.LBB657_334:                            ;   in Loop: Header=BB657_215 Depth=1
	s_or_b64 exec, exec, s[16:17]
.LBB657_335:                            ;   in Loop: Header=BB657_215 Depth=1
	s_or_b64 exec, exec, s[14:15]
	s_waitcnt vmcnt(2)
	v_cmp_ne_u16_sdwa s[16:17], v42, v55 src0_sel:BYTE_0 src1_sel:DWORD
	s_and_saveexec_b64 s[14:15], s[16:17]
	s_cbranch_execz .LBB657_341
; %bb.336:                              ;   in Loop: Header=BB657_215 Depth=1
	v_cmp_ne_u16_sdwa s[18:19], v42, s9 src0_sel:BYTE_0 src1_sel:DWORD
	v_bfrev_b32_e32 v60, 1
	s_and_saveexec_b64 s[16:17], s[18:19]
	s_cbranch_execz .LBB657_340
; %bb.337:                              ;   in Loop: Header=BB657_215 Depth=1
	v_and_b32_e32 v44, 0x7f, v42
	v_cmp_ne_u32_e32 vcc, s21, v44
	v_mov_b32_e32 v60, 0x7f800001
	s_and_saveexec_b64 s[18:19], vcc
	s_cbranch_execz .LBB657_339
; %bb.338:                              ;   in Loop: Header=BB657_215 Depth=1
	v_and_b32_e32 v46, 7, v42
	v_ffbh_u32_e32 v62, v46
	v_min_u32_e32 v64, 32, v62
	v_subrev_u32_e32 v62, 28, v64
	v_lshlrev_b64 v[62:63], v62, v[42:43]
	v_lshrrev_b32_e32 v60, 3, v44
	v_sub_u32_e32 v63, 29, v64
	v_and_b32_e32 v62, 7, v62
	v_cmp_gt_u32_e32 vcc, 8, v44
	v_cndmask_b32_e32 v44, v60, v63, vcc
	v_cndmask_b32_e32 v46, v46, v62, vcc
	v_lshlrev_b32_e32 v60, 24, v42
	v_lshlrev_b32_e32 v46, 20, v46
	v_and_b32_e32 v60, 0x80000000, v60
	v_lshl_add_u32 v44, v44, 23, v56
	v_or3_b32 v60, v60, v44, v46
.LBB657_339:                            ;   in Loop: Header=BB657_215 Depth=1
	s_or_b64 exec, exec, s[18:19]
.LBB657_340:                            ;   in Loop: Header=BB657_215 Depth=1
	s_or_b64 exec, exec, s[16:17]
.LBB657_341:                            ;   in Loop: Header=BB657_215 Depth=1
	s_or_b64 exec, exec, s[14:15]
	v_lshrrev_b16_e32 v44, 8, v42
	v_cmp_ne_u16_e32 vcc, 0, v44
	v_mov_b32_e32 v62, 0
	v_mov_b32_e32 v63, 0
	s_and_saveexec_b64 s[14:15], vcc
	s_cbranch_execz .LBB657_347
; %bb.342:                              ;   in Loop: Header=BB657_215 Depth=1
	v_cmp_ne_u16_e32 vcc, s9, v44
	v_bfrev_b32_e32 v63, 1
	s_and_saveexec_b64 s[16:17], vcc
	s_cbranch_execz .LBB657_346
; %bb.343:                              ;   in Loop: Header=BB657_215 Depth=1
	v_and_b32_e32 v46, 0x7f, v44
	v_cmp_ne_u32_e32 vcc, s21, v46
	v_mov_b32_e32 v63, 0x7f800001
	s_and_saveexec_b64 s[18:19], vcc
	s_cbranch_execz .LBB657_345
; %bb.344:                              ;   in Loop: Header=BB657_215 Depth=1
	v_and_b32_e32 v63, 7, v44
	v_ffbh_u32_e32 v64, v63
	v_min_u32_e32 v67, 32, v64
	v_subrev_u32_e32 v64, 28, v67
	v_lshlrev_b64 v[64:65], v64, v[44:45]
	v_lshrrev_b32_e32 v66, 3, v46
	v_sub_u32_e32 v44, 29, v67
	v_and_b32_e32 v64, 7, v64
	v_cmp_gt_u32_e32 vcc, 8, v46
	v_cndmask_b32_e32 v44, v66, v44, vcc
	v_cndmask_b32_e32 v46, v63, v64, vcc
	v_lshlrev_b32_e32 v63, 16, v42
	v_lshlrev_b32_e32 v46, 20, v46
	v_and_b32_e32 v63, 0x80000000, v63
	v_lshl_add_u32 v44, v44, 23, v56
	v_or3_b32 v63, v63, v44, v46
.LBB657_345:                            ;   in Loop: Header=BB657_215 Depth=1
	s_or_b64 exec, exec, s[18:19]
.LBB657_346:                            ;   in Loop: Header=BB657_215 Depth=1
	s_or_b64 exec, exec, s[16:17]
.LBB657_347:                            ;   in Loop: Header=BB657_215 Depth=1
	s_or_b64 exec, exec, s[14:15]
	v_lshrrev_b32_e32 v44, 16, v42
	v_cmp_ne_u16_sdwa s[16:17], v44, v55 src0_sel:BYTE_0 src1_sel:DWORD
	s_and_saveexec_b64 s[14:15], s[16:17]
	s_cbranch_execz .LBB657_353
; %bb.348:                              ;   in Loop: Header=BB657_215 Depth=1
	v_cmp_ne_u16_sdwa s[18:19], v44, s9 src0_sel:BYTE_0 src1_sel:DWORD
	v_bfrev_b32_e32 v62, 1
	s_and_saveexec_b64 s[16:17], s[18:19]
	s_cbranch_execz .LBB657_352
; %bb.349:                              ;   in Loop: Header=BB657_215 Depth=1
	v_bfe_u32 v46, v42, 16, 7
	v_cmp_ne_u32_e32 vcc, s21, v46
	v_mov_b32_e32 v62, 0x7f800001
	s_and_saveexec_b64 s[18:19], vcc
	s_cbranch_execz .LBB657_351
; %bb.350:                              ;   in Loop: Header=BB657_215 Depth=1
	v_and_b32_e32 v62, 7, v44
	v_ffbh_u32_e32 v64, v62
	v_min_u32_e32 v67, 32, v64
	v_subrev_u32_e32 v64, 28, v67
	v_lshlrev_b64 v[64:65], v64, v[44:45]
	v_lshrrev_b32_e32 v66, 3, v46
	v_sub_u32_e32 v65, 29, v67
	v_and_b32_e32 v64, 7, v64
	v_cmp_gt_u32_e32 vcc, 8, v46
	v_cndmask_b32_e32 v46, v66, v65, vcc
	v_cndmask_b32_e32 v62, v62, v64, vcc
	v_lshlrev_b32_e32 v44, 24, v44
	v_lshlrev_b32_e32 v62, 20, v62
	v_and_b32_e32 v44, 0x80000000, v44
	v_lshl_add_u32 v46, v46, 23, v56
	v_or3_b32 v62, v44, v46, v62
.LBB657_351:                            ;   in Loop: Header=BB657_215 Depth=1
	s_or_b64 exec, exec, s[18:19]
.LBB657_352:                            ;   in Loop: Header=BB657_215 Depth=1
	s_or_b64 exec, exec, s[16:17]
.LBB657_353:                            ;   in Loop: Header=BB657_215 Depth=1
	s_or_b64 exec, exec, s[14:15]
	v_cmp_lt_u32_e32 vcc, s22, v42
	v_mov_b32_e32 v46, 0
	v_mov_b32_e32 v64, 0
	s_and_saveexec_b64 s[14:15], vcc
	s_cbranch_execz .LBB657_359
; %bb.354:                              ;   in Loop: Header=BB657_215 Depth=1
	v_lshrrev_b32_e32 v44, 24, v42
	v_cmp_ne_u32_e32 vcc, s9, v44
	v_bfrev_b32_e32 v64, 1
	s_and_saveexec_b64 s[16:17], vcc
	s_cbranch_execz .LBB657_358
; %bb.355:                              ;   in Loop: Header=BB657_215 Depth=1
	v_bfe_u32 v42, v42, 24, 7
	v_cmp_ne_u32_e32 vcc, s21, v42
	v_mov_b32_e32 v64, 0x7f800001
	s_and_saveexec_b64 s[18:19], vcc
	s_cbranch_execz .LBB657_357
; %bb.356:                              ;   in Loop: Header=BB657_215 Depth=1
	v_and_b32_e32 v66, 7, v44
	v_ffbh_u32_e32 v64, v66
	v_min_u32_e32 v68, 32, v64
	v_subrev_u32_e32 v64, 28, v68
	v_lshlrev_b64 v[64:65], v64, v[44:45]
	v_lshrrev_b32_e32 v67, 3, v42
	v_sub_u32_e32 v65, 29, v68
	v_and_b32_e32 v64, 7, v64
	v_cmp_gt_u32_e32 vcc, 8, v42
	v_cndmask_b32_e32 v42, v67, v65, vcc
	v_cndmask_b32_e32 v64, v66, v64, vcc
	v_lshlrev_b32_e32 v44, 24, v44
	v_lshlrev_b32_e32 v64, 20, v64
	v_and_b32_e32 v44, 0x80000000, v44
	v_lshl_add_u32 v42, v42, 23, v56
	v_or3_b32 v64, v44, v42, v64
.LBB657_357:                            ;   in Loop: Header=BB657_215 Depth=1
	s_or_b64 exec, exec, s[18:19]
.LBB657_358:                            ;   in Loop: Header=BB657_215 Depth=1
	s_or_b64 exec, exec, s[16:17]
.LBB657_359:                            ;   in Loop: Header=BB657_215 Depth=1
	s_or_b64 exec, exec, s[14:15]
	v_cvt_pkrtz_f16_f32 v66, v57, v59
	v_cvt_pkrtz_f16_f32 v67, v58, v61
	v_cvt_pkrtz_f16_f32 v58, v60, v63
	v_cvt_pkrtz_f16_f32 v59, v62, v64
	s_waitcnt vmcnt(1)
	v_cmp_ne_u16_sdwa s[16:17], v40, v55 src0_sel:BYTE_0 src1_sel:DWORD
	v_mfma_f32_16x16x16f16 v[34:37], v[66:67], v[10:11], v[34:37]
	v_mfma_f32_16x16x16f16 v[34:37], v[58:59], v[12:13], v[34:37]
	s_and_saveexec_b64 s[14:15], s[16:17]
	s_cbranch_execz .LBB657_365
; %bb.360:                              ;   in Loop: Header=BB657_215 Depth=1
	v_cmp_ne_u16_sdwa s[18:19], v40, s9 src0_sel:BYTE_0 src1_sel:DWORD
	v_bfrev_b32_e32 v46, 1
	s_and_saveexec_b64 s[16:17], s[18:19]
	s_cbranch_execz .LBB657_364
; %bb.361:                              ;   in Loop: Header=BB657_215 Depth=1
	v_and_b32_e32 v42, 0x7f, v40
	v_cmp_ne_u32_e32 vcc, s21, v42
	v_mov_b32_e32 v46, 0x7f800001
	s_and_saveexec_b64 s[18:19], vcc
	s_cbranch_execz .LBB657_363
; %bb.362:                              ;   in Loop: Header=BB657_215 Depth=1
	v_and_b32_e32 v44, 7, v40
	v_ffbh_u32_e32 v57, v44
	v_min_u32_e32 v57, 32, v57
	v_subrev_u32_e32 v58, 28, v57
	v_lshlrev_b64 v[58:59], v58, v[40:41]
	v_lshrrev_b32_e32 v46, 3, v42
	v_sub_u32_e32 v57, 29, v57
	v_and_b32_e32 v58, 7, v58
	v_cmp_gt_u32_e32 vcc, 8, v42
	v_cndmask_b32_e32 v42, v46, v57, vcc
	v_cndmask_b32_e32 v44, v44, v58, vcc
	v_lshlrev_b32_e32 v46, 24, v40
	v_lshlrev_b32_e32 v44, 20, v44
	v_and_b32_e32 v46, 0x80000000, v46
	v_lshl_add_u32 v42, v42, 23, v56
	v_or3_b32 v46, v46, v42, v44
.LBB657_363:                            ;   in Loop: Header=BB657_215 Depth=1
	s_or_b64 exec, exec, s[18:19]
.LBB657_364:                            ;   in Loop: Header=BB657_215 Depth=1
	s_or_b64 exec, exec, s[16:17]
.LBB657_365:                            ;   in Loop: Header=BB657_215 Depth=1
	s_or_b64 exec, exec, s[14:15]
	v_lshrrev_b16_e32 v42, 8, v40
	v_cmp_ne_u16_e32 vcc, 0, v42
	v_mov_b32_e32 v44, 0
	v_mov_b32_e32 v58, 0
	s_and_saveexec_b64 s[14:15], vcc
	s_cbranch_execz .LBB657_371
; %bb.366:                              ;   in Loop: Header=BB657_215 Depth=1
	v_cmp_ne_u16_e32 vcc, s9, v42
	v_bfrev_b32_e32 v58, 1
	s_and_saveexec_b64 s[16:17], vcc
	s_cbranch_execz .LBB657_370
; %bb.367:                              ;   in Loop: Header=BB657_215 Depth=1
	v_and_b32_e32 v57, 0x7f, v42
	v_cmp_ne_u32_e32 vcc, s21, v57
	v_mov_b32_e32 v58, 0x7f800001
	s_and_saveexec_b64 s[18:19], vcc
	s_cbranch_execz .LBB657_369
; %bb.368:                              ;   in Loop: Header=BB657_215 Depth=1
	v_and_b32_e32 v60, 7, v42
	v_ffbh_u32_e32 v58, v60
	v_min_u32_e32 v62, 32, v58
	v_subrev_u32_e32 v58, 28, v62
	v_lshlrev_b64 v[58:59], v58, v[42:43]
	v_lshrrev_b32_e32 v61, 3, v57
	v_sub_u32_e32 v42, 29, v62
	v_and_b32_e32 v58, 7, v58
	v_cmp_gt_u32_e32 vcc, 8, v57
	v_cndmask_b32_e32 v42, v61, v42, vcc
	v_cndmask_b32_e32 v57, v60, v58, vcc
	v_lshlrev_b32_e32 v58, 16, v40
	v_lshlrev_b32_e32 v57, 20, v57
	v_and_b32_e32 v58, 0x80000000, v58
	v_lshl_add_u32 v42, v42, 23, v56
	v_or3_b32 v58, v58, v42, v57
.LBB657_369:                            ;   in Loop: Header=BB657_215 Depth=1
	s_or_b64 exec, exec, s[18:19]
.LBB657_370:                            ;   in Loop: Header=BB657_215 Depth=1
	s_or_b64 exec, exec, s[16:17]
.LBB657_371:                            ;   in Loop: Header=BB657_215 Depth=1
	s_or_b64 exec, exec, s[14:15]
	v_lshrrev_b32_e32 v42, 16, v40
	v_cmp_ne_u16_sdwa s[16:17], v42, v55 src0_sel:BYTE_0 src1_sel:DWORD
	s_and_saveexec_b64 s[14:15], s[16:17]
	s_cbranch_execz .LBB657_377
; %bb.372:                              ;   in Loop: Header=BB657_215 Depth=1
	v_cmp_ne_u16_sdwa s[18:19], v42, s9 src0_sel:BYTE_0 src1_sel:DWORD
	v_bfrev_b32_e32 v44, 1
	s_and_saveexec_b64 s[16:17], s[18:19]
	s_cbranch_execz .LBB657_376
; %bb.373:                              ;   in Loop: Header=BB657_215 Depth=1
	v_bfe_u32 v57, v40, 16, 7
	v_cmp_ne_u32_e32 vcc, s21, v57
	v_mov_b32_e32 v44, 0x7f800001
	s_and_saveexec_b64 s[18:19], vcc
	s_cbranch_execz .LBB657_375
; %bb.374:                              ;   in Loop: Header=BB657_215 Depth=1
	v_and_b32_e32 v44, 7, v42
	v_ffbh_u32_e32 v60, v44
	v_min_u32_e32 v62, 32, v60
	v_subrev_u32_e32 v60, 28, v62
	v_lshlrev_b64 v[60:61], v60, v[42:43]
	v_lshrrev_b32_e32 v59, 3, v57
	v_sub_u32_e32 v61, 29, v62
	v_and_b32_e32 v60, 7, v60
	v_cmp_gt_u32_e32 vcc, 8, v57
	v_cndmask_b32_e32 v57, v59, v61, vcc
	v_cndmask_b32_e32 v44, v44, v60, vcc
	v_lshlrev_b32_e32 v42, 24, v42
	v_lshlrev_b32_e32 v44, 20, v44
	v_and_b32_e32 v42, 0x80000000, v42
	v_lshl_add_u32 v57, v57, 23, v56
	v_or3_b32 v44, v42, v57, v44
.LBB657_375:                            ;   in Loop: Header=BB657_215 Depth=1
	s_or_b64 exec, exec, s[18:19]
.LBB657_376:                            ;   in Loop: Header=BB657_215 Depth=1
	s_or_b64 exec, exec, s[16:17]
.LBB657_377:                            ;   in Loop: Header=BB657_215 Depth=1
	s_or_b64 exec, exec, s[14:15]
	v_cmp_lt_u32_e32 vcc, s22, v40
	v_mov_b32_e32 v59, 0
	v_mov_b32_e32 v60, 0
	s_and_saveexec_b64 s[14:15], vcc
	s_cbranch_execz .LBB657_383
; %bb.378:                              ;   in Loop: Header=BB657_215 Depth=1
	v_lshrrev_b32_e32 v42, 24, v40
	v_cmp_ne_u32_e32 vcc, s9, v42
	v_bfrev_b32_e32 v60, 1
	s_and_saveexec_b64 s[16:17], vcc
	s_cbranch_execz .LBB657_382
; %bb.379:                              ;   in Loop: Header=BB657_215 Depth=1
	v_bfe_u32 v40, v40, 24, 7
	v_cmp_ne_u32_e32 vcc, s21, v40
	v_mov_b32_e32 v60, 0x7f800001
	s_and_saveexec_b64 s[18:19], vcc
	s_cbranch_execz .LBB657_381
; %bb.380:                              ;   in Loop: Header=BB657_215 Depth=1
	v_and_b32_e32 v57, 7, v42
	v_ffbh_u32_e32 v60, v57
	v_min_u32_e32 v63, 32, v60
	v_subrev_u32_e32 v60, 28, v63
	v_lshlrev_b64 v[60:61], v60, v[42:43]
	v_lshrrev_b32_e32 v62, 3, v40
	v_sub_u32_e32 v61, 29, v63
	v_and_b32_e32 v60, 7, v60
	v_cmp_gt_u32_e32 vcc, 8, v40
	v_cndmask_b32_e32 v40, v62, v61, vcc
	v_cndmask_b32_e32 v57, v57, v60, vcc
	v_lshlrev_b32_e32 v42, 24, v42
	v_lshlrev_b32_e32 v57, 20, v57
	v_and_b32_e32 v42, 0x80000000, v42
	v_lshl_add_u32 v40, v40, 23, v56
	v_or3_b32 v60, v42, v40, v57
.LBB657_381:                            ;   in Loop: Header=BB657_215 Depth=1
	s_or_b64 exec, exec, s[18:19]
.LBB657_382:                            ;   in Loop: Header=BB657_215 Depth=1
	s_or_b64 exec, exec, s[16:17]
.LBB657_383:                            ;   in Loop: Header=BB657_215 Depth=1
	s_or_b64 exec, exec, s[14:15]
	s_waitcnt vmcnt(0)
	v_cmp_ne_u16_sdwa s[16:17], v38, v55 src0_sel:BYTE_0 src1_sel:DWORD
	s_and_saveexec_b64 s[14:15], s[16:17]
	s_cbranch_execz .LBB657_389
; %bb.384:                              ;   in Loop: Header=BB657_215 Depth=1
	v_cmp_ne_u16_sdwa s[18:19], v38, s9 src0_sel:BYTE_0 src1_sel:DWORD
	v_bfrev_b32_e32 v59, 1
	s_and_saveexec_b64 s[16:17], s[18:19]
	s_cbranch_execz .LBB657_388
; %bb.385:                              ;   in Loop: Header=BB657_215 Depth=1
	v_and_b32_e32 v40, 0x7f, v38
	v_cmp_ne_u32_e32 vcc, s21, v40
	v_mov_b32_e32 v59, 0x7f800001
	s_and_saveexec_b64 s[18:19], vcc
	s_cbranch_execz .LBB657_387
; %bb.386:                              ;   in Loop: Header=BB657_215 Depth=1
	v_and_b32_e32 v42, 7, v38
	v_ffbh_u32_e32 v59, v42
	v_min_u32_e32 v59, 32, v59
	v_subrev_u32_e32 v61, 28, v59
	v_lshlrev_b64 v[62:63], v61, v[38:39]
	v_lshrrev_b32_e32 v57, 3, v40
	v_sub_u32_e32 v59, 29, v59
	v_and_b32_e32 v61, 7, v62
	v_cmp_gt_u32_e32 vcc, 8, v40
	v_cndmask_b32_e32 v40, v57, v59, vcc
	v_cndmask_b32_e32 v42, v42, v61, vcc
	v_lshlrev_b32_e32 v57, 24, v38
	v_lshlrev_b32_e32 v42, 20, v42
	v_and_b32_e32 v57, 0x80000000, v57
	v_lshl_add_u32 v40, v40, 23, v56
	v_or3_b32 v59, v57, v40, v42
.LBB657_387:                            ;   in Loop: Header=BB657_215 Depth=1
	s_or_b64 exec, exec, s[18:19]
.LBB657_388:                            ;   in Loop: Header=BB657_215 Depth=1
	s_or_b64 exec, exec, s[16:17]
.LBB657_389:                            ;   in Loop: Header=BB657_215 Depth=1
	s_or_b64 exec, exec, s[14:15]
	v_lshrrev_b16_e32 v40, 8, v38
	v_cmp_ne_u16_e32 vcc, 0, v40
	v_mov_b32_e32 v61, 0
	v_mov_b32_e32 v62, 0
	s_and_saveexec_b64 s[14:15], vcc
	s_cbranch_execz .LBB657_395
; %bb.390:                              ;   in Loop: Header=BB657_215 Depth=1
	v_cmp_ne_u16_e32 vcc, s9, v40
	v_bfrev_b32_e32 v62, 1
	s_and_saveexec_b64 s[16:17], vcc
	s_cbranch_execz .LBB657_394
; %bb.391:                              ;   in Loop: Header=BB657_215 Depth=1
	v_and_b32_e32 v42, 0x7f, v40
	v_cmp_ne_u32_e32 vcc, s21, v42
	v_mov_b32_e32 v62, 0x7f800001
	s_and_saveexec_b64 s[18:19], vcc
	s_cbranch_execz .LBB657_393
; %bb.392:                              ;   in Loop: Header=BB657_215 Depth=1
	v_and_b32_e32 v57, 7, v40
	v_ffbh_u32_e32 v62, v57
	v_min_u32_e32 v65, 32, v62
	v_subrev_u32_e32 v62, 28, v65
	v_lshlrev_b64 v[62:63], v62, v[40:41]
	v_lshrrev_b32_e32 v64, 3, v42
	v_sub_u32_e32 v40, 29, v65
	v_and_b32_e32 v62, 7, v62
	v_cmp_gt_u32_e32 vcc, 8, v42
	v_cndmask_b32_e32 v40, v64, v40, vcc
	v_cndmask_b32_e32 v42, v57, v62, vcc
	v_lshlrev_b32_e32 v57, 16, v38
	v_lshlrev_b32_e32 v42, 20, v42
	v_and_b32_e32 v57, 0x80000000, v57
	v_lshl_add_u32 v40, v40, 23, v56
	v_or3_b32 v62, v57, v40, v42
.LBB657_393:                            ;   in Loop: Header=BB657_215 Depth=1
	s_or_b64 exec, exec, s[18:19]
.LBB657_394:                            ;   in Loop: Header=BB657_215 Depth=1
	s_or_b64 exec, exec, s[16:17]
.LBB657_395:                            ;   in Loop: Header=BB657_215 Depth=1
	s_or_b64 exec, exec, s[14:15]
	v_lshrrev_b32_e32 v40, 16, v38
	v_cmp_ne_u16_sdwa s[16:17], v40, v55 src0_sel:BYTE_0 src1_sel:DWORD
	s_and_saveexec_b64 s[14:15], s[16:17]
	s_cbranch_execz .LBB657_401
; %bb.396:                              ;   in Loop: Header=BB657_215 Depth=1
	v_cmp_ne_u16_sdwa s[18:19], v40, s9 src0_sel:BYTE_0 src1_sel:DWORD
	v_bfrev_b32_e32 v61, 1
	s_and_saveexec_b64 s[16:17], s[18:19]
	s_cbranch_execz .LBB657_400
; %bb.397:                              ;   in Loop: Header=BB657_215 Depth=1
	v_bfe_u32 v42, v38, 16, 7
	v_cmp_ne_u32_e32 vcc, s21, v42
	v_mov_b32_e32 v61, 0x7f800001
	s_and_saveexec_b64 s[18:19], vcc
	s_cbranch_execz .LBB657_399
; %bb.398:                              ;   in Loop: Header=BB657_215 Depth=1
	v_and_b32_e32 v57, 7, v40
	v_ffbh_u32_e32 v63, v57
	v_min_u32_e32 v63, 32, v63
	v_subrev_u32_e32 v64, 28, v63
	v_lshlrev_b64 v[64:65], v64, v[40:41]
	v_lshrrev_b32_e32 v61, 3, v42
	v_sub_u32_e32 v63, 29, v63
	v_and_b32_e32 v64, 7, v64
	v_cmp_gt_u32_e32 vcc, 8, v42
	v_cndmask_b32_e32 v42, v61, v63, vcc
	v_cndmask_b32_e32 v57, v57, v64, vcc
	v_lshlrev_b32_e32 v40, 24, v40
	v_lshlrev_b32_e32 v57, 20, v57
	v_and_b32_e32 v40, 0x80000000, v40
	v_lshl_add_u32 v42, v42, 23, v56
	v_or3_b32 v61, v40, v42, v57
.LBB657_399:                            ;   in Loop: Header=BB657_215 Depth=1
	s_or_b64 exec, exec, s[18:19]
.LBB657_400:                            ;   in Loop: Header=BB657_215 Depth=1
	s_or_b64 exec, exec, s[16:17]
.LBB657_401:                            ;   in Loop: Header=BB657_215 Depth=1
	s_or_b64 exec, exec, s[14:15]
	v_cmp_lt_u32_e32 vcc, s22, v38
	v_mov_b32_e32 v57, 0
	v_mov_b32_e32 v63, 0
	s_and_saveexec_b64 s[14:15], vcc
	s_cbranch_execz .LBB657_407
; %bb.402:                              ;   in Loop: Header=BB657_215 Depth=1
	v_lshrrev_b32_e32 v40, 24, v38
	v_cmp_ne_u32_e32 vcc, s9, v40
	v_bfrev_b32_e32 v63, 1
	s_and_saveexec_b64 s[16:17], vcc
	s_cbranch_execz .LBB657_406
; %bb.403:                              ;   in Loop: Header=BB657_215 Depth=1
	v_bfe_u32 v38, v38, 24, 7
	v_cmp_ne_u32_e32 vcc, s21, v38
	v_mov_b32_e32 v63, 0x7f800001
	s_and_saveexec_b64 s[18:19], vcc
	s_cbranch_execz .LBB657_405
; %bb.404:                              ;   in Loop: Header=BB657_215 Depth=1
	v_and_b32_e32 v42, 7, v40
	v_ffbh_u32_e32 v64, v42
	v_min_u32_e32 v66, 32, v64
	v_subrev_u32_e32 v64, 28, v66
	v_lshlrev_b64 v[64:65], v64, v[40:41]
	v_lshrrev_b32_e32 v63, 3, v38
	v_sub_u32_e32 v65, 29, v66
	v_and_b32_e32 v64, 7, v64
	v_cmp_gt_u32_e32 vcc, 8, v38
	v_cndmask_b32_e32 v38, v63, v65, vcc
	v_cndmask_b32_e32 v42, v42, v64, vcc
	v_lshlrev_b32_e32 v40, 24, v40
	v_lshlrev_b32_e32 v42, 20, v42
	v_and_b32_e32 v40, 0x80000000, v40
	v_lshl_add_u32 v38, v38, 23, v56
	v_or3_b32 v63, v40, v38, v42
.LBB657_405:                            ;   in Loop: Header=BB657_215 Depth=1
	s_or_b64 exec, exec, s[18:19]
.LBB657_406:                            ;   in Loop: Header=BB657_215 Depth=1
	s_or_b64 exec, exec, s[16:17]
.LBB657_407:                            ;   in Loop: Header=BB657_215 Depth=1
	s_or_b64 exec, exec, s[14:15]
	v_cvt_pkrtz_f16_f32 v65, v44, v60
	buffer_load_dword v44, v52, s[0:3], 0 offen
	buffer_load_dword v42, v52, s[0:3], 0 offen offset:4
	buffer_load_dword v40, v52, s[0:3], 0 offen offset:8
	;; [unrolled: 1-line block ×3, first 2 shown]
	v_cvt_pkrtz_f16_f32 v64, v46, v58
	v_cvt_pkrtz_f16_f32 v58, v59, v62
	;; [unrolled: 1-line block ×3, first 2 shown]
	v_mfma_f32_16x16x16f16 v[34:37], v[64:65], v[14:15], v[34:37]
	s_waitcnt vmcnt(3)
	v_cmp_ne_u16_sdwa s[16:17], v44, v55 src0_sel:BYTE_0 src1_sel:DWORD
	v_mfma_f32_16x16x16f16 v[34:37], v[58:59], v[16:17], v[34:37]
	s_and_saveexec_b64 s[14:15], s[16:17]
	s_cbranch_execz .LBB657_413
; %bb.408:                              ;   in Loop: Header=BB657_215 Depth=1
	v_cmp_ne_u16_sdwa s[18:19], v44, s9 src0_sel:BYTE_0 src1_sel:DWORD
	v_bfrev_b32_e32 v57, 1
	s_and_saveexec_b64 s[16:17], s[18:19]
	s_cbranch_execz .LBB657_412
; %bb.409:                              ;   in Loop: Header=BB657_215 Depth=1
	v_and_b32_e32 v46, 0x7f, v44
	v_cmp_ne_u32_e32 vcc, s21, v46
	v_mov_b32_e32 v57, 0x7f800001
	s_and_saveexec_b64 s[18:19], vcc
	s_cbranch_execz .LBB657_411
; %bb.410:                              ;   in Loop: Header=BB657_215 Depth=1
	v_and_b32_e32 v52, 7, v44
	v_ffbh_u32_e32 v58, v52
	v_min_u32_e32 v60, 32, v58
	v_subrev_u32_e32 v58, 28, v60
	v_lshlrev_b64 v[58:59], v58, v[44:45]
	v_lshrrev_b32_e32 v57, 3, v46
	v_sub_u32_e32 v59, 29, v60
	v_and_b32_e32 v58, 7, v58
	v_cmp_gt_u32_e32 vcc, 8, v46
	v_cndmask_b32_e32 v46, v57, v59, vcc
	v_cndmask_b32_e32 v52, v52, v58, vcc
	v_lshlrev_b32_e32 v57, 24, v44
	v_lshlrev_b32_e32 v52, 20, v52
	v_and_b32_e32 v57, 0x80000000, v57
	v_lshl_add_u32 v46, v46, 23, v56
	v_or3_b32 v57, v57, v46, v52
.LBB657_411:                            ;   in Loop: Header=BB657_215 Depth=1
	s_or_b64 exec, exec, s[18:19]
.LBB657_412:                            ;   in Loop: Header=BB657_215 Depth=1
	s_or_b64 exec, exec, s[16:17]
.LBB657_413:                            ;   in Loop: Header=BB657_215 Depth=1
	s_or_b64 exec, exec, s[14:15]
	v_lshrrev_b16_e32 v46, 8, v44
	v_cmp_ne_u16_e32 vcc, 0, v46
	v_mov_b32_e32 v52, 0
	v_mov_b32_e32 v58, 0
	s_and_saveexec_b64 s[14:15], vcc
	s_cbranch_execz .LBB657_419
; %bb.414:                              ;   in Loop: Header=BB657_215 Depth=1
	v_cmp_ne_u16_e32 vcc, s9, v46
	v_bfrev_b32_e32 v58, 1
	s_and_saveexec_b64 s[16:17], vcc
	s_cbranch_execz .LBB657_418
; %bb.415:                              ;   in Loop: Header=BB657_215 Depth=1
	v_and_b32_e32 v59, 0x7f, v46
	v_cmp_ne_u32_e32 vcc, s21, v59
	v_mov_b32_e32 v58, 0x7f800001
	s_and_saveexec_b64 s[18:19], vcc
	s_cbranch_execz .LBB657_417
; %bb.416:                              ;   in Loop: Header=BB657_215 Depth=1
	v_and_b32_e32 v58, 7, v46
	v_ffbh_u32_e32 v60, v58
	v_min_u32_e32 v63, 32, v60
	v_subrev_u32_e32 v60, 28, v63
	v_lshlrev_b64 v[60:61], v60, v[46:47]
	v_lshrrev_b32_e32 v62, 3, v59
	v_sub_u32_e32 v46, 29, v63
	v_and_b32_e32 v60, 7, v60
	v_cmp_gt_u32_e32 vcc, 8, v59
	v_cndmask_b32_e32 v46, v62, v46, vcc
	v_cndmask_b32_e32 v58, v58, v60, vcc
	v_lshlrev_b32_e32 v59, 16, v44
	v_lshlrev_b32_e32 v58, 20, v58
	v_and_b32_e32 v59, 0x80000000, v59
	v_lshl_add_u32 v46, v46, 23, v56
	v_or3_b32 v58, v59, v46, v58
.LBB657_417:                            ;   in Loop: Header=BB657_215 Depth=1
	s_or_b64 exec, exec, s[18:19]
.LBB657_418:                            ;   in Loop: Header=BB657_215 Depth=1
	s_or_b64 exec, exec, s[16:17]
.LBB657_419:                            ;   in Loop: Header=BB657_215 Depth=1
	s_or_b64 exec, exec, s[14:15]
	v_lshrrev_b32_e32 v46, 16, v44
	v_cmp_ne_u16_sdwa s[16:17], v46, v55 src0_sel:BYTE_0 src1_sel:DWORD
	s_and_saveexec_b64 s[14:15], s[16:17]
	s_cbranch_execz .LBB657_425
; %bb.420:                              ;   in Loop: Header=BB657_215 Depth=1
	v_cmp_ne_u16_sdwa s[18:19], v46, s9 src0_sel:BYTE_0 src1_sel:DWORD
	v_bfrev_b32_e32 v52, 1
	s_and_saveexec_b64 s[16:17], s[18:19]
	s_cbranch_execz .LBB657_424
; %bb.421:                              ;   in Loop: Header=BB657_215 Depth=1
	v_bfe_u32 v59, v44, 16, 7
	v_cmp_ne_u32_e32 vcc, s21, v59
	v_mov_b32_e32 v52, 0x7f800001
	s_and_saveexec_b64 s[18:19], vcc
	s_cbranch_execz .LBB657_423
; %bb.422:                              ;   in Loop: Header=BB657_215 Depth=1
	v_and_b32_e32 v52, 7, v46
	v_ffbh_u32_e32 v60, v52
	v_min_u32_e32 v63, 32, v60
	v_subrev_u32_e32 v60, 28, v63
	v_lshlrev_b64 v[60:61], v60, v[46:47]
	v_lshrrev_b32_e32 v62, 3, v59
	v_sub_u32_e32 v61, 29, v63
	v_and_b32_e32 v60, 7, v60
	v_cmp_gt_u32_e32 vcc, 8, v59
	v_cndmask_b32_e32 v59, v62, v61, vcc
	v_cndmask_b32_e32 v52, v52, v60, vcc
	v_lshlrev_b32_e32 v46, 24, v46
	v_lshlrev_b32_e32 v52, 20, v52
	v_and_b32_e32 v46, 0x80000000, v46
	v_lshl_add_u32 v59, v59, 23, v56
	v_or3_b32 v52, v46, v59, v52
.LBB657_423:                            ;   in Loop: Header=BB657_215 Depth=1
	s_or_b64 exec, exec, s[18:19]
.LBB657_424:                            ;   in Loop: Header=BB657_215 Depth=1
	s_or_b64 exec, exec, s[16:17]
.LBB657_425:                            ;   in Loop: Header=BB657_215 Depth=1
	s_or_b64 exec, exec, s[14:15]
	v_cmp_lt_u32_e32 vcc, s22, v44
	v_mov_b32_e32 v59, 0
	v_mov_b32_e32 v60, 0
	s_and_saveexec_b64 s[14:15], vcc
	s_cbranch_execz .LBB657_431
; %bb.426:                              ;   in Loop: Header=BB657_215 Depth=1
	v_lshrrev_b32_e32 v46, 24, v44
	v_cmp_ne_u32_e32 vcc, s9, v46
	v_bfrev_b32_e32 v60, 1
	s_and_saveexec_b64 s[16:17], vcc
	s_cbranch_execz .LBB657_430
; %bb.427:                              ;   in Loop: Header=BB657_215 Depth=1
	v_bfe_u32 v44, v44, 24, 7
	v_cmp_ne_u32_e32 vcc, s21, v44
	v_mov_b32_e32 v60, 0x7f800001
	s_and_saveexec_b64 s[18:19], vcc
	s_cbranch_execz .LBB657_429
; %bb.428:                              ;   in Loop: Header=BB657_215 Depth=1
	v_and_b32_e32 v62, 7, v46
	v_ffbh_u32_e32 v60, v62
	v_min_u32_e32 v64, 32, v60
	v_subrev_u32_e32 v60, 28, v64
	v_lshlrev_b64 v[60:61], v60, v[46:47]
	v_lshrrev_b32_e32 v63, 3, v44
	v_sub_u32_e32 v61, 29, v64
	v_and_b32_e32 v60, 7, v60
	v_cmp_gt_u32_e32 vcc, 8, v44
	v_cndmask_b32_e32 v44, v63, v61, vcc
	v_cndmask_b32_e32 v60, v62, v60, vcc
	v_lshlrev_b32_e32 v46, 24, v46
	v_lshlrev_b32_e32 v60, 20, v60
	v_and_b32_e32 v46, 0x80000000, v46
	v_lshl_add_u32 v44, v44, 23, v56
	v_or3_b32 v60, v46, v44, v60
.LBB657_429:                            ;   in Loop: Header=BB657_215 Depth=1
	s_or_b64 exec, exec, s[18:19]
.LBB657_430:                            ;   in Loop: Header=BB657_215 Depth=1
	s_or_b64 exec, exec, s[16:17]
.LBB657_431:                            ;   in Loop: Header=BB657_215 Depth=1
	s_or_b64 exec, exec, s[14:15]
	s_waitcnt vmcnt(2)
	v_cmp_ne_u16_sdwa s[16:17], v42, v55 src0_sel:BYTE_0 src1_sel:DWORD
	s_and_saveexec_b64 s[14:15], s[16:17]
	s_cbranch_execz .LBB657_437
; %bb.432:                              ;   in Loop: Header=BB657_215 Depth=1
	v_cmp_ne_u16_sdwa s[18:19], v42, s9 src0_sel:BYTE_0 src1_sel:DWORD
	v_bfrev_b32_e32 v59, 1
	s_and_saveexec_b64 s[16:17], s[18:19]
	s_cbranch_execz .LBB657_436
; %bb.433:                              ;   in Loop: Header=BB657_215 Depth=1
	v_and_b32_e32 v44, 0x7f, v42
	v_cmp_ne_u32_e32 vcc, s21, v44
	v_mov_b32_e32 v59, 0x7f800001
	s_and_saveexec_b64 s[18:19], vcc
	s_cbranch_execz .LBB657_435
; %bb.434:                              ;   in Loop: Header=BB657_215 Depth=1
	v_and_b32_e32 v46, 7, v42
	v_ffbh_u32_e32 v61, v46
	v_min_u32_e32 v61, 32, v61
	v_subrev_u32_e32 v62, 28, v61
	v_lshlrev_b64 v[62:63], v62, v[42:43]
	v_lshrrev_b32_e32 v59, 3, v44
	v_sub_u32_e32 v61, 29, v61
	v_and_b32_e32 v62, 7, v62
	v_cmp_gt_u32_e32 vcc, 8, v44
	v_cndmask_b32_e32 v44, v59, v61, vcc
	v_cndmask_b32_e32 v46, v46, v62, vcc
	v_lshlrev_b32_e32 v59, 24, v42
	v_lshlrev_b32_e32 v46, 20, v46
	v_and_b32_e32 v59, 0x80000000, v59
	v_lshl_add_u32 v44, v44, 23, v56
	v_or3_b32 v59, v59, v44, v46
.LBB657_435:                            ;   in Loop: Header=BB657_215 Depth=1
	s_or_b64 exec, exec, s[18:19]
.LBB657_436:                            ;   in Loop: Header=BB657_215 Depth=1
	s_or_b64 exec, exec, s[16:17]
.LBB657_437:                            ;   in Loop: Header=BB657_215 Depth=1
	s_or_b64 exec, exec, s[14:15]
	v_lshrrev_b16_e32 v44, 8, v42
	v_cmp_ne_u16_e32 vcc, 0, v44
	v_mov_b32_e32 v61, 0
	v_mov_b32_e32 v62, 0
	s_and_saveexec_b64 s[14:15], vcc
	s_cbranch_execz .LBB657_443
; %bb.438:                              ;   in Loop: Header=BB657_215 Depth=1
	v_cmp_ne_u16_e32 vcc, s9, v44
	v_bfrev_b32_e32 v62, 1
	s_and_saveexec_b64 s[16:17], vcc
	s_cbranch_execz .LBB657_442
; %bb.439:                              ;   in Loop: Header=BB657_215 Depth=1
	v_and_b32_e32 v46, 0x7f, v44
	v_cmp_ne_u32_e32 vcc, s21, v46
	v_mov_b32_e32 v62, 0x7f800001
	s_and_saveexec_b64 s[18:19], vcc
	s_cbranch_execz .LBB657_441
; %bb.440:                              ;   in Loop: Header=BB657_215 Depth=1
	v_and_b32_e32 v64, 7, v44
	v_ffbh_u32_e32 v62, v64
	v_min_u32_e32 v66, 32, v62
	v_subrev_u32_e32 v62, 28, v66
	v_lshlrev_b64 v[62:63], v62, v[44:45]
	v_lshrrev_b32_e32 v65, 3, v46
	v_sub_u32_e32 v44, 29, v66
	v_and_b32_e32 v62, 7, v62
	v_cmp_gt_u32_e32 vcc, 8, v46
	v_cndmask_b32_e32 v44, v65, v44, vcc
	v_cndmask_b32_e32 v46, v64, v62, vcc
	v_lshlrev_b32_e32 v62, 16, v42
	v_lshlrev_b32_e32 v46, 20, v46
	v_and_b32_e32 v62, 0x80000000, v62
	v_lshl_add_u32 v44, v44, 23, v56
	v_or3_b32 v62, v62, v44, v46
.LBB657_441:                            ;   in Loop: Header=BB657_215 Depth=1
	s_or_b64 exec, exec, s[18:19]
.LBB657_442:                            ;   in Loop: Header=BB657_215 Depth=1
	s_or_b64 exec, exec, s[16:17]
.LBB657_443:                            ;   in Loop: Header=BB657_215 Depth=1
	s_or_b64 exec, exec, s[14:15]
	v_lshrrev_b32_e32 v44, 16, v42
	v_cmp_ne_u16_sdwa s[16:17], v44, v55 src0_sel:BYTE_0 src1_sel:DWORD
	s_and_saveexec_b64 s[14:15], s[16:17]
	s_cbranch_execz .LBB657_449
; %bb.444:                              ;   in Loop: Header=BB657_215 Depth=1
	v_cmp_ne_u16_sdwa s[18:19], v44, s9 src0_sel:BYTE_0 src1_sel:DWORD
	v_bfrev_b32_e32 v61, 1
	s_and_saveexec_b64 s[16:17], s[18:19]
	s_cbranch_execz .LBB657_448
; %bb.445:                              ;   in Loop: Header=BB657_215 Depth=1
	v_bfe_u32 v46, v42, 16, 7
	v_cmp_ne_u32_e32 vcc, s21, v46
	v_mov_b32_e32 v61, 0x7f800001
	s_and_saveexec_b64 s[18:19], vcc
	s_cbranch_execz .LBB657_447
; %bb.446:                              ;   in Loop: Header=BB657_215 Depth=1
	v_and_b32_e32 v61, 7, v44
	v_ffbh_u32_e32 v64, v61
	v_min_u32_e32 v66, 32, v64
	v_subrev_u32_e32 v64, 28, v66
	v_lshlrev_b64 v[64:65], v64, v[44:45]
	v_lshrrev_b32_e32 v63, 3, v46
	v_sub_u32_e32 v65, 29, v66
	v_and_b32_e32 v64, 7, v64
	v_cmp_gt_u32_e32 vcc, 8, v46
	v_cndmask_b32_e32 v46, v63, v65, vcc
	v_cndmask_b32_e32 v61, v61, v64, vcc
	v_lshlrev_b32_e32 v44, 24, v44
	v_lshlrev_b32_e32 v61, 20, v61
	v_and_b32_e32 v44, 0x80000000, v44
	v_lshl_add_u32 v46, v46, 23, v56
	v_or3_b32 v61, v44, v46, v61
.LBB657_447:                            ;   in Loop: Header=BB657_215 Depth=1
	s_or_b64 exec, exec, s[18:19]
.LBB657_448:                            ;   in Loop: Header=BB657_215 Depth=1
	s_or_b64 exec, exec, s[16:17]
.LBB657_449:                            ;   in Loop: Header=BB657_215 Depth=1
	s_or_b64 exec, exec, s[14:15]
	v_cmp_lt_u32_e32 vcc, s22, v42
	v_mov_b32_e32 v46, 0
	v_mov_b32_e32 v63, 0
	s_and_saveexec_b64 s[14:15], vcc
	s_cbranch_execz .LBB657_455
; %bb.450:                              ;   in Loop: Header=BB657_215 Depth=1
	v_lshrrev_b32_e32 v44, 24, v42
	v_cmp_ne_u32_e32 vcc, s9, v44
	v_bfrev_b32_e32 v63, 1
	s_and_saveexec_b64 s[16:17], vcc
	s_cbranch_execz .LBB657_454
; %bb.451:                              ;   in Loop: Header=BB657_215 Depth=1
	v_bfe_u32 v42, v42, 24, 7
	v_cmp_ne_u32_e32 vcc, s21, v42
	v_mov_b32_e32 v63, 0x7f800001
	s_and_saveexec_b64 s[18:19], vcc
	s_cbranch_execz .LBB657_453
; %bb.452:                              ;   in Loop: Header=BB657_215 Depth=1
	v_and_b32_e32 v63, 7, v44
	v_ffbh_u32_e32 v64, v63
	v_min_u32_e32 v67, 32, v64
	v_subrev_u32_e32 v64, 28, v67
	v_lshlrev_b64 v[64:65], v64, v[44:45]
	v_lshrrev_b32_e32 v66, 3, v42
	v_sub_u32_e32 v65, 29, v67
	v_and_b32_e32 v64, 7, v64
	v_cmp_gt_u32_e32 vcc, 8, v42
	v_cndmask_b32_e32 v42, v66, v65, vcc
	v_cndmask_b32_e32 v63, v63, v64, vcc
	v_lshlrev_b32_e32 v44, 24, v44
	v_lshlrev_b32_e32 v63, 20, v63
	v_and_b32_e32 v44, 0x80000000, v44
	v_lshl_add_u32 v42, v42, 23, v56
	v_or3_b32 v63, v44, v42, v63
.LBB657_453:                            ;   in Loop: Header=BB657_215 Depth=1
	s_or_b64 exec, exec, s[18:19]
.LBB657_454:                            ;   in Loop: Header=BB657_215 Depth=1
	s_or_b64 exec, exec, s[16:17]
.LBB657_455:                            ;   in Loop: Header=BB657_215 Depth=1
	s_or_b64 exec, exec, s[14:15]
	v_cvt_pkrtz_f16_f32 v64, v57, v58
	v_cvt_pkrtz_f16_f32 v65, v52, v60
	;; [unrolled: 1-line block ×4, first 2 shown]
	s_waitcnt vmcnt(1)
	v_cmp_ne_u16_sdwa s[16:17], v40, v55 src0_sel:BYTE_0 src1_sel:DWORD
	v_mfma_f32_16x16x16f16 v[34:37], v[64:65], v[18:19], v[34:37]
	v_mfma_f32_16x16x16f16 v[34:37], v[58:59], v[20:21], v[34:37]
	s_and_saveexec_b64 s[14:15], s[16:17]
	s_cbranch_execz .LBB657_461
; %bb.456:                              ;   in Loop: Header=BB657_215 Depth=1
	v_cmp_ne_u16_sdwa s[18:19], v40, s9 src0_sel:BYTE_0 src1_sel:DWORD
	v_bfrev_b32_e32 v46, 1
	s_and_saveexec_b64 s[16:17], s[18:19]
	s_cbranch_execz .LBB657_460
; %bb.457:                              ;   in Loop: Header=BB657_215 Depth=1
	v_and_b32_e32 v42, 0x7f, v40
	v_cmp_ne_u32_e32 vcc, s21, v42
	v_mov_b32_e32 v46, 0x7f800001
	s_and_saveexec_b64 s[18:19], vcc
	s_cbranch_execz .LBB657_459
; %bb.458:                              ;   in Loop: Header=BB657_215 Depth=1
	v_and_b32_e32 v44, 7, v40
	v_ffbh_u32_e32 v52, v44
	v_min_u32_e32 v52, 32, v52
	v_subrev_u32_e32 v57, 28, v52
	v_lshlrev_b64 v[58:59], v57, v[40:41]
	v_lshrrev_b32_e32 v46, 3, v42
	v_sub_u32_e32 v52, 29, v52
	v_and_b32_e32 v57, 7, v58
	v_cmp_gt_u32_e32 vcc, 8, v42
	v_cndmask_b32_e32 v42, v46, v52, vcc
	v_cndmask_b32_e32 v44, v44, v57, vcc
	v_lshlrev_b32_e32 v46, 24, v40
	v_lshlrev_b32_e32 v44, 20, v44
	v_and_b32_e32 v46, 0x80000000, v46
	v_lshl_add_u32 v42, v42, 23, v56
	v_or3_b32 v46, v46, v42, v44
.LBB657_459:                            ;   in Loop: Header=BB657_215 Depth=1
	s_or_b64 exec, exec, s[18:19]
.LBB657_460:                            ;   in Loop: Header=BB657_215 Depth=1
	s_or_b64 exec, exec, s[16:17]
.LBB657_461:                            ;   in Loop: Header=BB657_215 Depth=1
	s_or_b64 exec, exec, s[14:15]
	v_lshrrev_b16_e32 v42, 8, v40
	v_cmp_ne_u16_e32 vcc, 0, v42
	v_mov_b32_e32 v44, 0
	v_mov_b32_e32 v57, 0
	s_and_saveexec_b64 s[14:15], vcc
	s_cbranch_execz .LBB657_467
; %bb.462:                              ;   in Loop: Header=BB657_215 Depth=1
	v_cmp_ne_u16_e32 vcc, s9, v42
	v_bfrev_b32_e32 v57, 1
	s_and_saveexec_b64 s[16:17], vcc
	s_cbranch_execz .LBB657_466
; %bb.463:                              ;   in Loop: Header=BB657_215 Depth=1
	v_and_b32_e32 v52, 0x7f, v42
	v_cmp_ne_u32_e32 vcc, s21, v52
	v_mov_b32_e32 v57, 0x7f800001
	s_and_saveexec_b64 s[18:19], vcc
	s_cbranch_execz .LBB657_465
; %bb.464:                              ;   in Loop: Header=BB657_215 Depth=1
	v_and_b32_e32 v57, 7, v42
	v_ffbh_u32_e32 v58, v57
	v_min_u32_e32 v61, 32, v58
	v_subrev_u32_e32 v58, 28, v61
	v_lshlrev_b64 v[58:59], v58, v[42:43]
	v_lshrrev_b32_e32 v60, 3, v52
	v_sub_u32_e32 v42, 29, v61
	v_and_b32_e32 v58, 7, v58
	v_cmp_gt_u32_e32 vcc, 8, v52
	v_cndmask_b32_e32 v42, v60, v42, vcc
	v_cndmask_b32_e32 v52, v57, v58, vcc
	v_lshlrev_b32_e32 v57, 16, v40
	v_lshlrev_b32_e32 v52, 20, v52
	v_and_b32_e32 v57, 0x80000000, v57
	v_lshl_add_u32 v42, v42, 23, v56
	v_or3_b32 v57, v57, v42, v52
.LBB657_465:                            ;   in Loop: Header=BB657_215 Depth=1
	s_or_b64 exec, exec, s[18:19]
.LBB657_466:                            ;   in Loop: Header=BB657_215 Depth=1
	s_or_b64 exec, exec, s[16:17]
.LBB657_467:                            ;   in Loop: Header=BB657_215 Depth=1
	s_or_b64 exec, exec, s[14:15]
	v_lshrrev_b32_e32 v42, 16, v40
	v_cmp_ne_u16_sdwa s[16:17], v42, v55 src0_sel:BYTE_0 src1_sel:DWORD
	s_and_saveexec_b64 s[14:15], s[16:17]
	s_cbranch_execz .LBB657_473
; %bb.468:                              ;   in Loop: Header=BB657_215 Depth=1
	v_cmp_ne_u16_sdwa s[18:19], v42, s9 src0_sel:BYTE_0 src1_sel:DWORD
	v_bfrev_b32_e32 v44, 1
	s_and_saveexec_b64 s[16:17], s[18:19]
	s_cbranch_execz .LBB657_472
; %bb.469:                              ;   in Loop: Header=BB657_215 Depth=1
	v_bfe_u32 v52, v40, 16, 7
	v_cmp_ne_u32_e32 vcc, s21, v52
	v_mov_b32_e32 v44, 0x7f800001
	s_and_saveexec_b64 s[18:19], vcc
	s_cbranch_execz .LBB657_471
; %bb.470:                              ;   in Loop: Header=BB657_215 Depth=1
	v_and_b32_e32 v44, 7, v42
	v_ffbh_u32_e32 v58, v44
	v_min_u32_e32 v61, 32, v58
	v_subrev_u32_e32 v58, 28, v61
	v_lshlrev_b64 v[58:59], v58, v[42:43]
	v_lshrrev_b32_e32 v60, 3, v52
	v_sub_u32_e32 v59, 29, v61
	v_and_b32_e32 v58, 7, v58
	v_cmp_gt_u32_e32 vcc, 8, v52
	v_cndmask_b32_e32 v52, v60, v59, vcc
	v_cndmask_b32_e32 v44, v44, v58, vcc
	v_lshlrev_b32_e32 v42, 24, v42
	v_lshlrev_b32_e32 v44, 20, v44
	v_and_b32_e32 v42, 0x80000000, v42
	v_lshl_add_u32 v52, v52, 23, v56
	v_or3_b32 v44, v42, v52, v44
.LBB657_471:                            ;   in Loop: Header=BB657_215 Depth=1
	s_or_b64 exec, exec, s[18:19]
.LBB657_472:                            ;   in Loop: Header=BB657_215 Depth=1
	s_or_b64 exec, exec, s[16:17]
.LBB657_473:                            ;   in Loop: Header=BB657_215 Depth=1
	s_or_b64 exec, exec, s[14:15]
	v_cmp_lt_u32_e32 vcc, s22, v40
	v_mov_b32_e32 v58, 0
	v_mov_b32_e32 v59, 0
	s_and_saveexec_b64 s[14:15], vcc
	s_cbranch_execz .LBB657_479
; %bb.474:                              ;   in Loop: Header=BB657_215 Depth=1
	v_lshrrev_b32_e32 v42, 24, v40
	v_cmp_ne_u32_e32 vcc, s9, v42
	v_bfrev_b32_e32 v59, 1
	s_and_saveexec_b64 s[16:17], vcc
	s_cbranch_execz .LBB657_478
; %bb.475:                              ;   in Loop: Header=BB657_215 Depth=1
	v_bfe_u32 v40, v40, 24, 7
	v_cmp_ne_u32_e32 vcc, s21, v40
	v_mov_b32_e32 v59, 0x7f800001
	s_and_saveexec_b64 s[18:19], vcc
	s_cbranch_execz .LBB657_477
; %bb.476:                              ;   in Loop: Header=BB657_215 Depth=1
	v_and_b32_e32 v52, 7, v42
	v_ffbh_u32_e32 v60, v52
	v_min_u32_e32 v62, 32, v60
	v_subrev_u32_e32 v60, 28, v62
	v_lshlrev_b64 v[60:61], v60, v[42:43]
	v_lshrrev_b32_e32 v59, 3, v40
	v_sub_u32_e32 v61, 29, v62
	v_and_b32_e32 v60, 7, v60
	v_cmp_gt_u32_e32 vcc, 8, v40
	v_cndmask_b32_e32 v40, v59, v61, vcc
	v_cndmask_b32_e32 v52, v52, v60, vcc
	v_lshlrev_b32_e32 v42, 24, v42
	v_lshlrev_b32_e32 v52, 20, v52
	v_and_b32_e32 v42, 0x80000000, v42
	v_lshl_add_u32 v40, v40, 23, v56
	v_or3_b32 v59, v42, v40, v52
.LBB657_477:                            ;   in Loop: Header=BB657_215 Depth=1
	s_or_b64 exec, exec, s[18:19]
.LBB657_478:                            ;   in Loop: Header=BB657_215 Depth=1
	s_or_b64 exec, exec, s[16:17]
.LBB657_479:                            ;   in Loop: Header=BB657_215 Depth=1
	s_or_b64 exec, exec, s[14:15]
	s_waitcnt vmcnt(0)
	v_cmp_ne_u16_sdwa s[16:17], v38, v55 src0_sel:BYTE_0 src1_sel:DWORD
	s_and_saveexec_b64 s[14:15], s[16:17]
	s_cbranch_execz .LBB657_485
; %bb.480:                              ;   in Loop: Header=BB657_215 Depth=1
	v_cmp_ne_u16_sdwa s[18:19], v38, s9 src0_sel:BYTE_0 src1_sel:DWORD
	v_bfrev_b32_e32 v58, 1
	s_and_saveexec_b64 s[16:17], s[18:19]
	s_cbranch_execz .LBB657_484
; %bb.481:                              ;   in Loop: Header=BB657_215 Depth=1
	v_and_b32_e32 v40, 0x7f, v38
	v_cmp_ne_u32_e32 vcc, s21, v40
	v_mov_b32_e32 v58, 0x7f800001
	s_and_saveexec_b64 s[18:19], vcc
	s_cbranch_execz .LBB657_483
; %bb.482:                              ;   in Loop: Header=BB657_215 Depth=1
	v_and_b32_e32 v42, 7, v38
	v_ffbh_u32_e32 v58, v42
	v_min_u32_e32 v58, 32, v58
	v_subrev_u32_e32 v60, 28, v58
	v_lshlrev_b64 v[60:61], v60, v[38:39]
	v_lshrrev_b32_e32 v52, 3, v40
	v_sub_u32_e32 v58, 29, v58
	v_and_b32_e32 v60, 7, v60
	v_cmp_gt_u32_e32 vcc, 8, v40
	v_cndmask_b32_e32 v40, v52, v58, vcc
	v_cndmask_b32_e32 v42, v42, v60, vcc
	v_lshlrev_b32_e32 v52, 24, v38
	v_lshlrev_b32_e32 v42, 20, v42
	v_and_b32_e32 v52, 0x80000000, v52
	v_lshl_add_u32 v40, v40, 23, v56
	v_or3_b32 v58, v52, v40, v42
.LBB657_483:                            ;   in Loop: Header=BB657_215 Depth=1
	s_or_b64 exec, exec, s[18:19]
.LBB657_484:                            ;   in Loop: Header=BB657_215 Depth=1
	s_or_b64 exec, exec, s[16:17]
.LBB657_485:                            ;   in Loop: Header=BB657_215 Depth=1
	s_or_b64 exec, exec, s[14:15]
	v_lshrrev_b16_e32 v40, 8, v38
	v_cmp_ne_u16_e32 vcc, 0, v40
	v_mov_b32_e32 v60, 0
	v_mov_b32_e32 v61, 0
	s_and_saveexec_b64 s[14:15], vcc
	s_cbranch_execz .LBB657_491
; %bb.486:                              ;   in Loop: Header=BB657_215 Depth=1
	v_cmp_ne_u16_e32 vcc, s9, v40
	v_bfrev_b32_e32 v61, 1
	s_and_saveexec_b64 s[16:17], vcc
	s_cbranch_execz .LBB657_490
; %bb.487:                              ;   in Loop: Header=BB657_215 Depth=1
	v_and_b32_e32 v42, 0x7f, v40
	v_cmp_ne_u32_e32 vcc, s21, v42
	v_mov_b32_e32 v61, 0x7f800001
	s_and_saveexec_b64 s[18:19], vcc
	s_cbranch_execz .LBB657_489
; %bb.488:                              ;   in Loop: Header=BB657_215 Depth=1
	v_and_b32_e32 v52, 7, v40
	v_ffbh_u32_e32 v62, v52
	v_min_u32_e32 v64, 32, v62
	v_subrev_u32_e32 v62, 28, v64
	v_lshlrev_b64 v[62:63], v62, v[40:41]
	v_lshrrev_b32_e32 v61, 3, v42
	v_sub_u32_e32 v40, 29, v64
	v_and_b32_e32 v62, 7, v62
	v_cmp_gt_u32_e32 vcc, 8, v42
	v_cndmask_b32_e32 v40, v61, v40, vcc
	v_cndmask_b32_e32 v42, v52, v62, vcc
	v_lshlrev_b32_e32 v52, 16, v38
	v_lshlrev_b32_e32 v42, 20, v42
	v_and_b32_e32 v52, 0x80000000, v52
	v_lshl_add_u32 v40, v40, 23, v56
	v_or3_b32 v61, v52, v40, v42
.LBB657_489:                            ;   in Loop: Header=BB657_215 Depth=1
	s_or_b64 exec, exec, s[18:19]
.LBB657_490:                            ;   in Loop: Header=BB657_215 Depth=1
	s_or_b64 exec, exec, s[16:17]
.LBB657_491:                            ;   in Loop: Header=BB657_215 Depth=1
	s_or_b64 exec, exec, s[14:15]
	v_lshrrev_b32_e32 v40, 16, v38
	v_cmp_ne_u16_sdwa s[16:17], v40, v55 src0_sel:BYTE_0 src1_sel:DWORD
	s_and_saveexec_b64 s[14:15], s[16:17]
	s_cbranch_execz .LBB657_497
; %bb.492:                              ;   in Loop: Header=BB657_215 Depth=1
	v_cmp_ne_u16_sdwa s[18:19], v40, s9 src0_sel:BYTE_0 src1_sel:DWORD
	v_bfrev_b32_e32 v60, 1
	s_and_saveexec_b64 s[16:17], s[18:19]
	s_cbranch_execz .LBB657_496
; %bb.493:                              ;   in Loop: Header=BB657_215 Depth=1
	v_bfe_u32 v42, v38, 16, 7
	v_cmp_ne_u32_e32 vcc, s21, v42
	v_mov_b32_e32 v60, 0x7f800001
	s_and_saveexec_b64 s[18:19], vcc
	s_cbranch_execz .LBB657_495
; %bb.494:                              ;   in Loop: Header=BB657_215 Depth=1
	v_and_b32_e32 v52, 7, v40
	v_ffbh_u32_e32 v62, v52
	v_min_u32_e32 v64, 32, v62
	v_subrev_u32_e32 v62, 28, v64
	v_lshlrev_b64 v[62:63], v62, v[40:41]
	v_lshrrev_b32_e32 v60, 3, v42
	v_sub_u32_e32 v63, 29, v64
	v_and_b32_e32 v62, 7, v62
	v_cmp_gt_u32_e32 vcc, 8, v42
	v_cndmask_b32_e32 v42, v60, v63, vcc
	v_cndmask_b32_e32 v52, v52, v62, vcc
	v_lshlrev_b32_e32 v40, 24, v40
	v_lshlrev_b32_e32 v52, 20, v52
	v_and_b32_e32 v40, 0x80000000, v40
	v_lshl_add_u32 v42, v42, 23, v56
	v_or3_b32 v60, v40, v42, v52
.LBB657_495:                            ;   in Loop: Header=BB657_215 Depth=1
	s_or_b64 exec, exec, s[18:19]
.LBB657_496:                            ;   in Loop: Header=BB657_215 Depth=1
	s_or_b64 exec, exec, s[16:17]
.LBB657_497:                            ;   in Loop: Header=BB657_215 Depth=1
	s_or_b64 exec, exec, s[14:15]
	v_cmp_lt_u32_e32 vcc, s22, v38
	v_mov_b32_e32 v52, 0
	v_mov_b32_e32 v62, 0
	s_and_saveexec_b64 s[14:15], vcc
	s_cbranch_execz .LBB657_503
; %bb.498:                              ;   in Loop: Header=BB657_215 Depth=1
	v_lshrrev_b32_e32 v40, 24, v38
	v_cmp_ne_u32_e32 vcc, s9, v40
	v_bfrev_b32_e32 v62, 1
	s_and_saveexec_b64 s[16:17], vcc
	s_cbranch_execz .LBB657_502
; %bb.499:                              ;   in Loop: Header=BB657_215 Depth=1
	v_bfe_u32 v38, v38, 24, 7
	v_cmp_ne_u32_e32 vcc, s21, v38
	v_mov_b32_e32 v62, 0x7f800001
	s_and_saveexec_b64 s[18:19], vcc
	s_cbranch_execz .LBB657_501
; %bb.500:                              ;   in Loop: Header=BB657_215 Depth=1
	v_and_b32_e32 v42, 7, v40
	v_ffbh_u32_e32 v62, v42
	v_min_u32_e32 v65, 32, v62
	v_subrev_u32_e32 v62, 28, v65
	v_lshlrev_b64 v[62:63], v62, v[40:41]
	v_lshrrev_b32_e32 v64, 3, v38
	v_sub_u32_e32 v63, 29, v65
	v_and_b32_e32 v62, 7, v62
	v_cmp_gt_u32_e32 vcc, 8, v38
	v_cndmask_b32_e32 v38, v64, v63, vcc
	v_cndmask_b32_e32 v42, v42, v62, vcc
	v_lshlrev_b32_e32 v40, 24, v40
	v_lshlrev_b32_e32 v42, 20, v42
	v_and_b32_e32 v40, 0x80000000, v40
	v_lshl_add_u32 v38, v38, 23, v56
	v_or3_b32 v62, v40, v38, v42
.LBB657_501:                            ;   in Loop: Header=BB657_215 Depth=1
	s_or_b64 exec, exec, s[18:19]
.LBB657_502:                            ;   in Loop: Header=BB657_215 Depth=1
	s_or_b64 exec, exec, s[16:17]
.LBB657_503:                            ;   in Loop: Header=BB657_215 Depth=1
	s_or_b64 exec, exec, s[14:15]
	v_cvt_pkrtz_f16_f32 v65, v44, v59
	buffer_load_dword v44, v51, s[0:3], 0 offen
	buffer_load_dword v42, v51, s[0:3], 0 offen offset:4
	buffer_load_dword v40, v51, s[0:3], 0 offen offset:8
	;; [unrolled: 1-line block ×3, first 2 shown]
	v_cvt_pkrtz_f16_f32 v64, v46, v57
	v_cvt_pkrtz_f16_f32 v58, v58, v61
	;; [unrolled: 1-line block ×3, first 2 shown]
	v_mfma_f32_16x16x16f16 v[34:37], v[64:65], v[22:23], v[34:37]
	s_waitcnt vmcnt(3)
	v_cmp_ne_u16_sdwa s[16:17], v44, v55 src0_sel:BYTE_0 src1_sel:DWORD
	v_mfma_f32_16x16x16f16 v[34:37], v[58:59], v[24:25], v[34:37]
	s_and_saveexec_b64 s[14:15], s[16:17]
	s_cbranch_execz .LBB657_509
; %bb.504:                              ;   in Loop: Header=BB657_215 Depth=1
	v_cmp_ne_u16_sdwa s[18:19], v44, s9 src0_sel:BYTE_0 src1_sel:DWORD
	v_bfrev_b32_e32 v52, 1
	s_and_saveexec_b64 s[16:17], s[18:19]
	s_cbranch_execz .LBB657_508
; %bb.505:                              ;   in Loop: Header=BB657_215 Depth=1
	v_and_b32_e32 v46, 0x7f, v44
	v_cmp_ne_u32_e32 vcc, s21, v46
	v_mov_b32_e32 v52, 0x7f800001
	s_and_saveexec_b64 s[18:19], vcc
	s_cbranch_execz .LBB657_507
; %bb.506:                              ;   in Loop: Header=BB657_215 Depth=1
	v_and_b32_e32 v51, 7, v44
	v_ffbh_u32_e32 v57, v51
	v_min_u32_e32 v57, 32, v57
	v_subrev_u32_e32 v58, 28, v57
	v_lshlrev_b64 v[58:59], v58, v[44:45]
	v_lshrrev_b32_e32 v52, 3, v46
	v_sub_u32_e32 v57, 29, v57
	v_and_b32_e32 v58, 7, v58
	v_cmp_gt_u32_e32 vcc, 8, v46
	v_cndmask_b32_e32 v46, v52, v57, vcc
	v_cndmask_b32_e32 v51, v51, v58, vcc
	v_lshlrev_b32_e32 v52, 24, v44
	v_lshlrev_b32_e32 v51, 20, v51
	v_and_b32_e32 v52, 0x80000000, v52
	v_lshl_add_u32 v46, v46, 23, v56
	v_or3_b32 v52, v52, v46, v51
.LBB657_507:                            ;   in Loop: Header=BB657_215 Depth=1
	s_or_b64 exec, exec, s[18:19]
.LBB657_508:                            ;   in Loop: Header=BB657_215 Depth=1
	s_or_b64 exec, exec, s[16:17]
.LBB657_509:                            ;   in Loop: Header=BB657_215 Depth=1
	s_or_b64 exec, exec, s[14:15]
	v_lshrrev_b16_e32 v46, 8, v44
	v_cmp_ne_u16_e32 vcc, 0, v46
	v_mov_b32_e32 v51, 0
	v_mov_b32_e32 v57, 0
	s_and_saveexec_b64 s[14:15], vcc
	s_cbranch_execz .LBB657_515
; %bb.510:                              ;   in Loop: Header=BB657_215 Depth=1
	v_cmp_ne_u16_e32 vcc, s9, v46
	v_bfrev_b32_e32 v57, 1
	s_and_saveexec_b64 s[16:17], vcc
	s_cbranch_execz .LBB657_514
; %bb.511:                              ;   in Loop: Header=BB657_215 Depth=1
	v_and_b32_e32 v58, 0x7f, v46
	v_cmp_ne_u32_e32 vcc, s21, v58
	v_mov_b32_e32 v57, 0x7f800001
	s_and_saveexec_b64 s[18:19], vcc
	s_cbranch_execz .LBB657_513
; %bb.512:                              ;   in Loop: Header=BB657_215 Depth=1
	v_and_b32_e32 v57, 7, v46
	v_ffbh_u32_e32 v60, v57
	v_min_u32_e32 v62, 32, v60
	v_subrev_u32_e32 v60, 28, v62
	v_lshlrev_b64 v[60:61], v60, v[46:47]
	v_lshrrev_b32_e32 v59, 3, v58
	v_sub_u32_e32 v46, 29, v62
	v_and_b32_e32 v60, 7, v60
	v_cmp_gt_u32_e32 vcc, 8, v58
	v_cndmask_b32_e32 v46, v59, v46, vcc
	v_cndmask_b32_e32 v57, v57, v60, vcc
	v_lshlrev_b32_e32 v58, 16, v44
	v_lshlrev_b32_e32 v57, 20, v57
	v_and_b32_e32 v58, 0x80000000, v58
	v_lshl_add_u32 v46, v46, 23, v56
	v_or3_b32 v57, v58, v46, v57
.LBB657_513:                            ;   in Loop: Header=BB657_215 Depth=1
	s_or_b64 exec, exec, s[18:19]
.LBB657_514:                            ;   in Loop: Header=BB657_215 Depth=1
	s_or_b64 exec, exec, s[16:17]
.LBB657_515:                            ;   in Loop: Header=BB657_215 Depth=1
	s_or_b64 exec, exec, s[14:15]
	v_lshrrev_b32_e32 v46, 16, v44
	v_cmp_ne_u16_sdwa s[16:17], v46, v55 src0_sel:BYTE_0 src1_sel:DWORD
	s_and_saveexec_b64 s[14:15], s[16:17]
	s_cbranch_execz .LBB657_521
; %bb.516:                              ;   in Loop: Header=BB657_215 Depth=1
	v_cmp_ne_u16_sdwa s[18:19], v46, s9 src0_sel:BYTE_0 src1_sel:DWORD
	v_bfrev_b32_e32 v51, 1
	s_and_saveexec_b64 s[16:17], s[18:19]
	s_cbranch_execz .LBB657_520
; %bb.517:                              ;   in Loop: Header=BB657_215 Depth=1
	v_bfe_u32 v58, v44, 16, 7
	v_cmp_ne_u32_e32 vcc, s21, v58
	v_mov_b32_e32 v51, 0x7f800001
	s_and_saveexec_b64 s[18:19], vcc
	s_cbranch_execz .LBB657_519
; %bb.518:                              ;   in Loop: Header=BB657_215 Depth=1
	v_and_b32_e32 v51, 7, v46
	v_ffbh_u32_e32 v60, v51
	v_min_u32_e32 v62, 32, v60
	v_subrev_u32_e32 v60, 28, v62
	v_lshlrev_b64 v[60:61], v60, v[46:47]
	v_lshrrev_b32_e32 v59, 3, v58
	v_sub_u32_e32 v61, 29, v62
	v_and_b32_e32 v60, 7, v60
	v_cmp_gt_u32_e32 vcc, 8, v58
	v_cndmask_b32_e32 v58, v59, v61, vcc
	v_cndmask_b32_e32 v51, v51, v60, vcc
	v_lshlrev_b32_e32 v46, 24, v46
	v_lshlrev_b32_e32 v51, 20, v51
	v_and_b32_e32 v46, 0x80000000, v46
	v_lshl_add_u32 v58, v58, 23, v56
	v_or3_b32 v51, v46, v58, v51
.LBB657_519:                            ;   in Loop: Header=BB657_215 Depth=1
	s_or_b64 exec, exec, s[18:19]
.LBB657_520:                            ;   in Loop: Header=BB657_215 Depth=1
	s_or_b64 exec, exec, s[16:17]
.LBB657_521:                            ;   in Loop: Header=BB657_215 Depth=1
	s_or_b64 exec, exec, s[14:15]
	v_cmp_lt_u32_e32 vcc, s22, v44
	v_mov_b32_e32 v58, 0
	v_mov_b32_e32 v59, 0
	s_and_saveexec_b64 s[14:15], vcc
	s_cbranch_execz .LBB657_527
; %bb.522:                              ;   in Loop: Header=BB657_215 Depth=1
	v_lshrrev_b32_e32 v46, 24, v44
	v_cmp_ne_u32_e32 vcc, s9, v46
	v_bfrev_b32_e32 v59, 1
	s_and_saveexec_b64 s[16:17], vcc
	s_cbranch_execz .LBB657_526
; %bb.523:                              ;   in Loop: Header=BB657_215 Depth=1
	v_bfe_u32 v44, v44, 24, 7
	v_cmp_ne_u32_e32 vcc, s21, v44
	v_mov_b32_e32 v59, 0x7f800001
	s_and_saveexec_b64 s[18:19], vcc
	s_cbranch_execz .LBB657_525
; %bb.524:                              ;   in Loop: Header=BB657_215 Depth=1
	v_and_b32_e32 v59, 7, v46
	v_ffbh_u32_e32 v60, v59
	v_min_u32_e32 v63, 32, v60
	v_subrev_u32_e32 v60, 28, v63
	v_lshlrev_b64 v[60:61], v60, v[46:47]
	v_lshrrev_b32_e32 v62, 3, v44
	v_sub_u32_e32 v61, 29, v63
	v_and_b32_e32 v60, 7, v60
	v_cmp_gt_u32_e32 vcc, 8, v44
	v_cndmask_b32_e32 v44, v62, v61, vcc
	v_cndmask_b32_e32 v59, v59, v60, vcc
	v_lshlrev_b32_e32 v46, 24, v46
	v_lshlrev_b32_e32 v59, 20, v59
	v_and_b32_e32 v46, 0x80000000, v46
	v_lshl_add_u32 v44, v44, 23, v56
	v_or3_b32 v59, v46, v44, v59
.LBB657_525:                            ;   in Loop: Header=BB657_215 Depth=1
	s_or_b64 exec, exec, s[18:19]
.LBB657_526:                            ;   in Loop: Header=BB657_215 Depth=1
	s_or_b64 exec, exec, s[16:17]
.LBB657_527:                            ;   in Loop: Header=BB657_215 Depth=1
	s_or_b64 exec, exec, s[14:15]
	s_waitcnt vmcnt(2)
	v_cmp_ne_u16_sdwa s[16:17], v42, v55 src0_sel:BYTE_0 src1_sel:DWORD
	s_and_saveexec_b64 s[14:15], s[16:17]
	s_cbranch_execz .LBB657_533
; %bb.528:                              ;   in Loop: Header=BB657_215 Depth=1
	v_cmp_ne_u16_sdwa s[18:19], v42, s9 src0_sel:BYTE_0 src1_sel:DWORD
	v_bfrev_b32_e32 v58, 1
	s_and_saveexec_b64 s[16:17], s[18:19]
	s_cbranch_execz .LBB657_532
; %bb.529:                              ;   in Loop: Header=BB657_215 Depth=1
	v_and_b32_e32 v44, 0x7f, v42
	v_cmp_ne_u32_e32 vcc, s21, v44
	v_mov_b32_e32 v58, 0x7f800001
	s_and_saveexec_b64 s[18:19], vcc
	s_cbranch_execz .LBB657_531
; %bb.530:                              ;   in Loop: Header=BB657_215 Depth=1
	v_and_b32_e32 v46, 7, v42
	v_ffbh_u32_e32 v60, v46
	v_min_u32_e32 v62, 32, v60
	v_subrev_u32_e32 v60, 28, v62
	v_lshlrev_b64 v[60:61], v60, v[42:43]
	v_lshrrev_b32_e32 v58, 3, v44
	v_sub_u32_e32 v61, 29, v62
	v_and_b32_e32 v60, 7, v60
	v_cmp_gt_u32_e32 vcc, 8, v44
	v_cndmask_b32_e32 v44, v58, v61, vcc
	v_cndmask_b32_e32 v46, v46, v60, vcc
	v_lshlrev_b32_e32 v58, 24, v42
	v_lshlrev_b32_e32 v46, 20, v46
	v_and_b32_e32 v58, 0x80000000, v58
	v_lshl_add_u32 v44, v44, 23, v56
	v_or3_b32 v58, v58, v44, v46
.LBB657_531:                            ;   in Loop: Header=BB657_215 Depth=1
	s_or_b64 exec, exec, s[18:19]
.LBB657_532:                            ;   in Loop: Header=BB657_215 Depth=1
	s_or_b64 exec, exec, s[16:17]
.LBB657_533:                            ;   in Loop: Header=BB657_215 Depth=1
	s_or_b64 exec, exec, s[14:15]
	v_lshrrev_b16_e32 v44, 8, v42
	v_cmp_ne_u16_e32 vcc, 0, v44
	v_mov_b32_e32 v60, 0
	v_mov_b32_e32 v61, 0
	s_and_saveexec_b64 s[14:15], vcc
	s_cbranch_execz .LBB657_539
; %bb.534:                              ;   in Loop: Header=BB657_215 Depth=1
	v_cmp_ne_u16_e32 vcc, s9, v44
	v_bfrev_b32_e32 v61, 1
	s_and_saveexec_b64 s[16:17], vcc
	s_cbranch_execz .LBB657_538
; %bb.535:                              ;   in Loop: Header=BB657_215 Depth=1
	v_and_b32_e32 v46, 0x7f, v44
	v_cmp_ne_u32_e32 vcc, s21, v46
	v_mov_b32_e32 v61, 0x7f800001
	s_and_saveexec_b64 s[18:19], vcc
	s_cbranch_execz .LBB657_537
; %bb.536:                              ;   in Loop: Header=BB657_215 Depth=1
	v_and_b32_e32 v61, 7, v44
	v_ffbh_u32_e32 v62, v61
	v_min_u32_e32 v65, 32, v62
	v_subrev_u32_e32 v62, 28, v65
	v_lshlrev_b64 v[62:63], v62, v[44:45]
	v_lshrrev_b32_e32 v64, 3, v46
	v_sub_u32_e32 v44, 29, v65
	v_and_b32_e32 v62, 7, v62
	v_cmp_gt_u32_e32 vcc, 8, v46
	v_cndmask_b32_e32 v44, v64, v44, vcc
	v_cndmask_b32_e32 v46, v61, v62, vcc
	v_lshlrev_b32_e32 v61, 16, v42
	v_lshlrev_b32_e32 v46, 20, v46
	v_and_b32_e32 v61, 0x80000000, v61
	v_lshl_add_u32 v44, v44, 23, v56
	v_or3_b32 v61, v61, v44, v46
.LBB657_537:                            ;   in Loop: Header=BB657_215 Depth=1
	s_or_b64 exec, exec, s[18:19]
.LBB657_538:                            ;   in Loop: Header=BB657_215 Depth=1
	s_or_b64 exec, exec, s[16:17]
.LBB657_539:                            ;   in Loop: Header=BB657_215 Depth=1
	s_or_b64 exec, exec, s[14:15]
	v_lshrrev_b32_e32 v44, 16, v42
	v_cmp_ne_u16_sdwa s[16:17], v44, v55 src0_sel:BYTE_0 src1_sel:DWORD
	s_and_saveexec_b64 s[14:15], s[16:17]
	s_cbranch_execz .LBB657_545
; %bb.540:                              ;   in Loop: Header=BB657_215 Depth=1
	v_cmp_ne_u16_sdwa s[18:19], v44, s9 src0_sel:BYTE_0 src1_sel:DWORD
	v_bfrev_b32_e32 v60, 1
	s_and_saveexec_b64 s[16:17], s[18:19]
	s_cbranch_execz .LBB657_544
; %bb.541:                              ;   in Loop: Header=BB657_215 Depth=1
	v_bfe_u32 v46, v42, 16, 7
	v_cmp_ne_u32_e32 vcc, s21, v46
	v_mov_b32_e32 v60, 0x7f800001
	s_and_saveexec_b64 s[18:19], vcc
	s_cbranch_execz .LBB657_543
; %bb.542:                              ;   in Loop: Header=BB657_215 Depth=1
	v_and_b32_e32 v60, 7, v44
	v_ffbh_u32_e32 v62, v60
	v_min_u32_e32 v65, 32, v62
	v_subrev_u32_e32 v62, 28, v65
	v_lshlrev_b64 v[62:63], v62, v[44:45]
	v_lshrrev_b32_e32 v64, 3, v46
	v_sub_u32_e32 v63, 29, v65
	v_and_b32_e32 v62, 7, v62
	v_cmp_gt_u32_e32 vcc, 8, v46
	v_cndmask_b32_e32 v46, v64, v63, vcc
	v_cndmask_b32_e32 v60, v60, v62, vcc
	v_lshlrev_b32_e32 v44, 24, v44
	v_lshlrev_b32_e32 v60, 20, v60
	v_and_b32_e32 v44, 0x80000000, v44
	v_lshl_add_u32 v46, v46, 23, v56
	v_or3_b32 v60, v44, v46, v60
.LBB657_543:                            ;   in Loop: Header=BB657_215 Depth=1
	s_or_b64 exec, exec, s[18:19]
.LBB657_544:                            ;   in Loop: Header=BB657_215 Depth=1
	s_or_b64 exec, exec, s[16:17]
.LBB657_545:                            ;   in Loop: Header=BB657_215 Depth=1
	s_or_b64 exec, exec, s[14:15]
	v_cmp_lt_u32_e32 vcc, s22, v42
	v_mov_b32_e32 v46, 0
	v_mov_b32_e32 v62, 0
	s_and_saveexec_b64 s[14:15], vcc
	s_cbranch_execz .LBB657_551
; %bb.546:                              ;   in Loop: Header=BB657_215 Depth=1
	v_lshrrev_b32_e32 v44, 24, v42
	v_cmp_ne_u32_e32 vcc, s9, v44
	v_bfrev_b32_e32 v62, 1
	s_and_saveexec_b64 s[16:17], vcc
	s_cbranch_execz .LBB657_550
; %bb.547:                              ;   in Loop: Header=BB657_215 Depth=1
	v_bfe_u32 v42, v42, 24, 7
	v_cmp_ne_u32_e32 vcc, s21, v42
	v_mov_b32_e32 v62, 0x7f800001
	s_and_saveexec_b64 s[18:19], vcc
	s_cbranch_execz .LBB657_549
; %bb.548:                              ;   in Loop: Header=BB657_215 Depth=1
	v_and_b32_e32 v64, 7, v44
	v_ffbh_u32_e32 v62, v64
	v_min_u32_e32 v66, 32, v62
	v_subrev_u32_e32 v62, 28, v66
	v_lshlrev_b64 v[62:63], v62, v[44:45]
	v_lshrrev_b32_e32 v65, 3, v42
	v_sub_u32_e32 v63, 29, v66
	v_and_b32_e32 v62, 7, v62
	v_cmp_gt_u32_e32 vcc, 8, v42
	v_cndmask_b32_e32 v42, v65, v63, vcc
	v_cndmask_b32_e32 v62, v64, v62, vcc
	v_lshlrev_b32_e32 v44, 24, v44
	v_lshlrev_b32_e32 v62, 20, v62
	v_and_b32_e32 v44, 0x80000000, v44
	v_lshl_add_u32 v42, v42, 23, v56
	v_or3_b32 v62, v44, v42, v62
.LBB657_549:                            ;   in Loop: Header=BB657_215 Depth=1
	s_or_b64 exec, exec, s[18:19]
.LBB657_550:                            ;   in Loop: Header=BB657_215 Depth=1
	s_or_b64 exec, exec, s[16:17]
.LBB657_551:                            ;   in Loop: Header=BB657_215 Depth=1
	s_or_b64 exec, exec, s[14:15]
	v_cvt_pkrtz_f16_f32 v64, v52, v57
	v_cvt_pkrtz_f16_f32 v65, v51, v59
	;; [unrolled: 1-line block ×4, first 2 shown]
	s_waitcnt vmcnt(1)
	v_cmp_ne_u16_sdwa s[16:17], v40, v55 src0_sel:BYTE_0 src1_sel:DWORD
	v_mfma_f32_16x16x16f16 v[34:37], v[64:65], v[26:27], v[34:37]
	v_mfma_f32_16x16x16f16 v[34:37], v[58:59], v[28:29], v[34:37]
	s_and_saveexec_b64 s[14:15], s[16:17]
	s_cbranch_execz .LBB657_557
; %bb.552:                              ;   in Loop: Header=BB657_215 Depth=1
	v_cmp_ne_u16_sdwa s[18:19], v40, s9 src0_sel:BYTE_0 src1_sel:DWORD
	v_bfrev_b32_e32 v46, 1
	s_and_saveexec_b64 s[16:17], s[18:19]
	s_cbranch_execz .LBB657_556
; %bb.553:                              ;   in Loop: Header=BB657_215 Depth=1
	v_and_b32_e32 v42, 0x7f, v40
	v_cmp_ne_u32_e32 vcc, s21, v42
	v_mov_b32_e32 v46, 0x7f800001
	s_and_saveexec_b64 s[18:19], vcc
	s_cbranch_execz .LBB657_555
; %bb.554:                              ;   in Loop: Header=BB657_215 Depth=1
	v_and_b32_e32 v44, 7, v40
	v_ffbh_u32_e32 v51, v44
	v_min_u32_e32 v51, 32, v51
	v_subrev_u32_e32 v52, 28, v51
	v_lshlrev_b64 v[58:59], v52, v[40:41]
	v_lshrrev_b32_e32 v46, 3, v42
	v_sub_u32_e32 v51, 29, v51
	v_and_b32_e32 v52, 7, v58
	v_cmp_gt_u32_e32 vcc, 8, v42
	v_cndmask_b32_e32 v42, v46, v51, vcc
	v_cndmask_b32_e32 v44, v44, v52, vcc
	v_lshlrev_b32_e32 v46, 24, v40
	v_lshlrev_b32_e32 v44, 20, v44
	v_and_b32_e32 v46, 0x80000000, v46
	v_lshl_add_u32 v42, v42, 23, v56
	v_or3_b32 v46, v46, v42, v44
.LBB657_555:                            ;   in Loop: Header=BB657_215 Depth=1
	s_or_b64 exec, exec, s[18:19]
.LBB657_556:                            ;   in Loop: Header=BB657_215 Depth=1
	s_or_b64 exec, exec, s[16:17]
.LBB657_557:                            ;   in Loop: Header=BB657_215 Depth=1
	s_or_b64 exec, exec, s[14:15]
	v_lshrrev_b16_e32 v42, 8, v40
	v_cmp_ne_u16_e32 vcc, 0, v42
	v_mov_b32_e32 v44, 0
	v_mov_b32_e32 v51, 0
	s_and_saveexec_b64 s[14:15], vcc
	s_cbranch_execz .LBB657_563
; %bb.558:                              ;   in Loop: Header=BB657_215 Depth=1
	v_cmp_ne_u16_e32 vcc, s9, v42
	v_bfrev_b32_e32 v51, 1
	s_and_saveexec_b64 s[16:17], vcc
	s_cbranch_execz .LBB657_562
; %bb.559:                              ;   in Loop: Header=BB657_215 Depth=1
	v_and_b32_e32 v52, 0x7f, v42
	v_cmp_ne_u32_e32 vcc, s21, v52
	v_mov_b32_e32 v51, 0x7f800001
	s_and_saveexec_b64 s[18:19], vcc
	s_cbranch_execz .LBB657_561
; %bb.560:                              ;   in Loop: Header=BB657_215 Depth=1
	v_and_b32_e32 v51, 7, v42
	v_ffbh_u32_e32 v58, v51
	v_min_u32_e32 v60, 32, v58
	v_subrev_u32_e32 v58, 28, v60
	v_lshlrev_b64 v[58:59], v58, v[42:43]
	v_lshrrev_b32_e32 v57, 3, v52
	v_sub_u32_e32 v42, 29, v60
	v_and_b32_e32 v58, 7, v58
	v_cmp_gt_u32_e32 vcc, 8, v52
	v_cndmask_b32_e32 v42, v57, v42, vcc
	v_cndmask_b32_e32 v51, v51, v58, vcc
	v_lshlrev_b32_e32 v52, 16, v40
	v_lshlrev_b32_e32 v51, 20, v51
	v_and_b32_e32 v52, 0x80000000, v52
	v_lshl_add_u32 v42, v42, 23, v56
	v_or3_b32 v51, v52, v42, v51
.LBB657_561:                            ;   in Loop: Header=BB657_215 Depth=1
	s_or_b64 exec, exec, s[18:19]
.LBB657_562:                            ;   in Loop: Header=BB657_215 Depth=1
	s_or_b64 exec, exec, s[16:17]
.LBB657_563:                            ;   in Loop: Header=BB657_215 Depth=1
	s_or_b64 exec, exec, s[14:15]
	v_lshrrev_b32_e32 v42, 16, v40
	v_cmp_ne_u16_sdwa s[16:17], v42, v55 src0_sel:BYTE_0 src1_sel:DWORD
	s_and_saveexec_b64 s[14:15], s[16:17]
	s_cbranch_execz .LBB657_569
; %bb.564:                              ;   in Loop: Header=BB657_215 Depth=1
	v_cmp_ne_u16_sdwa s[18:19], v42, s9 src0_sel:BYTE_0 src1_sel:DWORD
	v_bfrev_b32_e32 v44, 1
	s_and_saveexec_b64 s[16:17], s[18:19]
	s_cbranch_execz .LBB657_568
; %bb.565:                              ;   in Loop: Header=BB657_215 Depth=1
	v_bfe_u32 v52, v40, 16, 7
	v_cmp_ne_u32_e32 vcc, s21, v52
	v_mov_b32_e32 v44, 0x7f800001
	s_and_saveexec_b64 s[18:19], vcc
	s_cbranch_execz .LBB657_567
; %bb.566:                              ;   in Loop: Header=BB657_215 Depth=1
	v_and_b32_e32 v44, 7, v42
	v_ffbh_u32_e32 v58, v44
	v_min_u32_e32 v60, 32, v58
	v_subrev_u32_e32 v58, 28, v60
	v_lshlrev_b64 v[58:59], v58, v[42:43]
	v_lshrrev_b32_e32 v57, 3, v52
	v_sub_u32_e32 v59, 29, v60
	v_and_b32_e32 v58, 7, v58
	v_cmp_gt_u32_e32 vcc, 8, v52
	v_cndmask_b32_e32 v52, v57, v59, vcc
	v_cndmask_b32_e32 v44, v44, v58, vcc
	v_lshlrev_b32_e32 v42, 24, v42
	v_lshlrev_b32_e32 v44, 20, v44
	v_and_b32_e32 v42, 0x80000000, v42
	v_lshl_add_u32 v52, v52, 23, v56
	v_or3_b32 v44, v42, v52, v44
.LBB657_567:                            ;   in Loop: Header=BB657_215 Depth=1
	s_or_b64 exec, exec, s[18:19]
.LBB657_568:                            ;   in Loop: Header=BB657_215 Depth=1
	s_or_b64 exec, exec, s[16:17]
.LBB657_569:                            ;   in Loop: Header=BB657_215 Depth=1
	s_or_b64 exec, exec, s[14:15]
	v_cmp_lt_u32_e32 vcc, s22, v40
	v_mov_b32_e32 v52, 0
	v_mov_b32_e32 v57, 0
	s_and_saveexec_b64 s[14:15], vcc
	s_cbranch_execz .LBB657_575
; %bb.570:                              ;   in Loop: Header=BB657_215 Depth=1
	v_lshrrev_b32_e32 v42, 24, v40
	v_cmp_ne_u32_e32 vcc, s9, v42
	v_bfrev_b32_e32 v57, 1
	s_and_saveexec_b64 s[16:17], vcc
	s_cbranch_execz .LBB657_574
; %bb.571:                              ;   in Loop: Header=BB657_215 Depth=1
	v_bfe_u32 v40, v40, 24, 7
	v_cmp_ne_u32_e32 vcc, s21, v40
	v_mov_b32_e32 v57, 0x7f800001
	s_and_saveexec_b64 s[18:19], vcc
	s_cbranch_execz .LBB657_573
; %bb.572:                              ;   in Loop: Header=BB657_215 Depth=1
	v_and_b32_e32 v57, 7, v42
	v_ffbh_u32_e32 v58, v57
	v_min_u32_e32 v61, 32, v58
	v_subrev_u32_e32 v58, 28, v61
	v_lshlrev_b64 v[58:59], v58, v[42:43]
	v_lshrrev_b32_e32 v60, 3, v40
	v_sub_u32_e32 v59, 29, v61
	v_and_b32_e32 v58, 7, v58
	v_cmp_gt_u32_e32 vcc, 8, v40
	v_cndmask_b32_e32 v40, v60, v59, vcc
	v_cndmask_b32_e32 v57, v57, v58, vcc
	v_lshlrev_b32_e32 v42, 24, v42
	v_lshlrev_b32_e32 v57, 20, v57
	v_and_b32_e32 v42, 0x80000000, v42
	v_lshl_add_u32 v40, v40, 23, v56
	v_or3_b32 v57, v42, v40, v57
.LBB657_573:                            ;   in Loop: Header=BB657_215 Depth=1
	s_or_b64 exec, exec, s[18:19]
.LBB657_574:                            ;   in Loop: Header=BB657_215 Depth=1
	s_or_b64 exec, exec, s[16:17]
.LBB657_575:                            ;   in Loop: Header=BB657_215 Depth=1
	s_or_b64 exec, exec, s[14:15]
	s_waitcnt vmcnt(0)
	v_cmp_ne_u16_sdwa s[16:17], v38, v55 src0_sel:BYTE_0 src1_sel:DWORD
	s_and_saveexec_b64 s[14:15], s[16:17]
	s_cbranch_execz .LBB657_581
; %bb.576:                              ;   in Loop: Header=BB657_215 Depth=1
	v_cmp_ne_u16_sdwa s[18:19], v38, s9 src0_sel:BYTE_0 src1_sel:DWORD
	v_bfrev_b32_e32 v52, 1
	s_and_saveexec_b64 s[16:17], s[18:19]
	s_cbranch_execz .LBB657_580
; %bb.577:                              ;   in Loop: Header=BB657_215 Depth=1
	v_and_b32_e32 v40, 0x7f, v38
	v_cmp_ne_u32_e32 vcc, s21, v40
	v_mov_b32_e32 v52, 0x7f800001
	s_and_saveexec_b64 s[18:19], vcc
	s_cbranch_execz .LBB657_579
; %bb.578:                              ;   in Loop: Header=BB657_215 Depth=1
	v_and_b32_e32 v42, 7, v38
	v_ffbh_u32_e32 v58, v42
	v_min_u32_e32 v60, 32, v58
	v_subrev_u32_e32 v58, 28, v60
	v_lshlrev_b64 v[58:59], v58, v[38:39]
	v_lshrrev_b32_e32 v52, 3, v40
	v_sub_u32_e32 v59, 29, v60
	v_and_b32_e32 v58, 7, v58
	v_cmp_gt_u32_e32 vcc, 8, v40
	v_cndmask_b32_e32 v40, v52, v59, vcc
	v_cndmask_b32_e32 v42, v42, v58, vcc
	v_lshlrev_b32_e32 v52, 24, v38
	v_lshlrev_b32_e32 v42, 20, v42
	v_and_b32_e32 v52, 0x80000000, v52
	v_lshl_add_u32 v40, v40, 23, v56
	v_or3_b32 v52, v52, v40, v42
.LBB657_579:                            ;   in Loop: Header=BB657_215 Depth=1
	s_or_b64 exec, exec, s[18:19]
.LBB657_580:                            ;   in Loop: Header=BB657_215 Depth=1
	s_or_b64 exec, exec, s[16:17]
.LBB657_581:                            ;   in Loop: Header=BB657_215 Depth=1
	s_or_b64 exec, exec, s[14:15]
	v_lshrrev_b16_e32 v40, 8, v38
	v_cmp_ne_u16_e32 vcc, 0, v40
	v_mov_b32_e32 v42, 0
	v_mov_b32_e32 v58, 0
	s_and_saveexec_b64 s[14:15], vcc
	s_cbranch_execz .LBB657_587
; %bb.582:                              ;   in Loop: Header=BB657_215 Depth=1
	v_cmp_ne_u16_e32 vcc, s9, v40
	v_bfrev_b32_e32 v58, 1
	s_and_saveexec_b64 s[16:17], vcc
	s_cbranch_execz .LBB657_586
; %bb.583:                              ;   in Loop: Header=BB657_215 Depth=1
	v_and_b32_e32 v59, 0x7f, v40
	v_cmp_ne_u32_e32 vcc, s21, v59
	v_mov_b32_e32 v58, 0x7f800001
	s_and_saveexec_b64 s[18:19], vcc
	s_cbranch_execz .LBB657_585
; %bb.584:                              ;   in Loop: Header=BB657_215 Depth=1
	v_and_b32_e32 v58, 7, v40
	v_ffbh_u32_e32 v60, v58
	v_min_u32_e32 v63, 32, v60
	v_subrev_u32_e32 v60, 28, v63
	v_lshlrev_b64 v[60:61], v60, v[40:41]
	v_lshrrev_b32_e32 v62, 3, v59
	v_sub_u32_e32 v40, 29, v63
	v_and_b32_e32 v60, 7, v60
	v_cmp_gt_u32_e32 vcc, 8, v59
	v_cndmask_b32_e32 v40, v62, v40, vcc
	v_cndmask_b32_e32 v58, v58, v60, vcc
	v_lshlrev_b32_e32 v59, 16, v38
	v_lshlrev_b32_e32 v58, 20, v58
	v_and_b32_e32 v59, 0x80000000, v59
	v_lshl_add_u32 v40, v40, 23, v56
	v_or3_b32 v58, v59, v40, v58
.LBB657_585:                            ;   in Loop: Header=BB657_215 Depth=1
	s_or_b64 exec, exec, s[18:19]
.LBB657_586:                            ;   in Loop: Header=BB657_215 Depth=1
	s_or_b64 exec, exec, s[16:17]
.LBB657_587:                            ;   in Loop: Header=BB657_215 Depth=1
	s_or_b64 exec, exec, s[14:15]
	v_lshrrev_b32_e32 v40, 16, v38
	v_cmp_ne_u16_sdwa s[16:17], v40, v55 src0_sel:BYTE_0 src1_sel:DWORD
	s_and_saveexec_b64 s[14:15], s[16:17]
	s_cbranch_execz .LBB657_593
; %bb.588:                              ;   in Loop: Header=BB657_215 Depth=1
	v_cmp_ne_u16_sdwa s[18:19], v40, s9 src0_sel:BYTE_0 src1_sel:DWORD
	v_bfrev_b32_e32 v42, 1
	s_and_saveexec_b64 s[16:17], s[18:19]
	s_cbranch_execz .LBB657_592
; %bb.589:                              ;   in Loop: Header=BB657_215 Depth=1
	v_bfe_u32 v59, v38, 16, 7
	v_cmp_ne_u32_e32 vcc, s21, v59
	v_mov_b32_e32 v42, 0x7f800001
	s_and_saveexec_b64 s[18:19], vcc
	s_cbranch_execz .LBB657_591
; %bb.590:                              ;   in Loop: Header=BB657_215 Depth=1
	v_and_b32_e32 v42, 7, v40
	v_ffbh_u32_e32 v60, v42
	v_min_u32_e32 v63, 32, v60
	v_subrev_u32_e32 v60, 28, v63
	v_lshlrev_b64 v[60:61], v60, v[40:41]
	v_lshrrev_b32_e32 v62, 3, v59
	v_sub_u32_e32 v61, 29, v63
	v_and_b32_e32 v60, 7, v60
	v_cmp_gt_u32_e32 vcc, 8, v59
	v_cndmask_b32_e32 v59, v62, v61, vcc
	v_cndmask_b32_e32 v42, v42, v60, vcc
	v_lshlrev_b32_e32 v40, 24, v40
	v_lshlrev_b32_e32 v42, 20, v42
	v_and_b32_e32 v40, 0x80000000, v40
	v_lshl_add_u32 v59, v59, 23, v56
	v_or3_b32 v42, v40, v59, v42
.LBB657_591:                            ;   in Loop: Header=BB657_215 Depth=1
	s_or_b64 exec, exec, s[18:19]
.LBB657_592:                            ;   in Loop: Header=BB657_215 Depth=1
	s_or_b64 exec, exec, s[16:17]
.LBB657_593:                            ;   in Loop: Header=BB657_215 Depth=1
	s_or_b64 exec, exec, s[14:15]
	v_cmp_lt_u32_e32 vcc, s22, v38
	v_mov_b32_e32 v59, 0
	s_and_saveexec_b64 s[14:15], vcc
	s_cbranch_execz .LBB657_214
; %bb.594:                              ;   in Loop: Header=BB657_215 Depth=1
	v_lshrrev_b32_e32 v40, 24, v38
	v_cmp_ne_u32_e32 vcc, s9, v40
	v_bfrev_b32_e32 v59, 1
	s_and_saveexec_b64 s[16:17], vcc
	s_cbranch_execz .LBB657_213
; %bb.595:                              ;   in Loop: Header=BB657_215 Depth=1
	v_bfe_u32 v38, v38, 24, 7
	v_cmp_ne_u32_e32 vcc, s21, v38
	v_mov_b32_e32 v59, 0x7f800001
	s_and_saveexec_b64 s[18:19], vcc
	s_cbranch_execz .LBB657_212
; %bb.596:                              ;   in Loop: Header=BB657_215 Depth=1
	v_and_b32_e32 v59, 7, v40
	v_ffbh_u32_e32 v60, v59
	v_min_u32_e32 v63, 32, v60
	v_subrev_u32_e32 v60, 28, v63
	v_lshlrev_b64 v[60:61], v60, v[40:41]
	v_lshrrev_b32_e32 v62, 3, v38
	v_sub_u32_e32 v61, 29, v63
	v_and_b32_e32 v60, 7, v60
	v_cmp_gt_u32_e32 vcc, 8, v38
	v_cndmask_b32_e32 v38, v62, v61, vcc
	v_cndmask_b32_e32 v59, v59, v60, vcc
	v_lshlrev_b32_e32 v40, 24, v40
	v_lshlrev_b32_e32 v59, 20, v59
	v_and_b32_e32 v40, 0x80000000, v40
	v_lshl_add_u32 v38, v38, 23, v56
	v_or3_b32 v59, v40, v38, v59
	s_branch .LBB657_212
.LBB657_597:
	s_barrier
	buffer_load_dword v2, off, s[0:3], 0 offset:320
	buffer_load_dword v5, off, s[0:3], 0 offset:332
	;; [unrolled: 1-line block ×4, first 2 shown]
	s_waitcnt vmcnt(0)
	ds_write2st64_b64 v53, v[2:3], v[4:5] offset1:1
	s_waitcnt lgkmcnt(0)
	s_barrier
	s_and_saveexec_b64 s[4:5], s[6:7]
	s_cbranch_execz .LBB657_599
; %bb.598:
	s_lshl_b32 s6, s52, 7
	s_mul_i32 s4, s20, s8
	s_mul_hi_u32 s5, s4, s6
	s_mul_i32 s4, s4, s6
	s_lshl_b64 s[4:5], s[4:5], 1
	s_add_u32 s7, s54, s4
	v_lshlrev_b32_e32 v3, 6, v41
	s_addc_u32 s8, s55, s5
	s_lshl_b32 s4, s28, 7
	s_mov_b32 s5, 0
	v_lshl_or_b32 v0, v0, 10, v3
	s_lshl_b64 s[4:5], s[4:5], 1
	v_and_b32_e32 v2, 16, v45
	v_and_b32_e32 v0, 0x1a00, v0
	s_add_u32 s7, s7, s4
	v_or3_b32 v0, v0, v43, v2
	s_addc_u32 s8, s8, s5
	v_mad_u64_u32 v[6:7], s[4:5], s6, v39, 0
	ds_read_b128 v[2:5], v0
	v_lshlrev_b64 v[6:7], 1, v[6:7]
	v_mov_b32_e32 v0, s8
	v_add_co_u32_e32 v6, vcc, s7, v6
	v_addc_co_u32_e32 v7, vcc, v0, v7, vcc
	v_add_co_u32_e32 v0, vcc, v6, v1
	v_addc_co_u32_e32 v1, vcc, 0, v7, vcc
	s_waitcnt lgkmcnt(0)
	global_store_dwordx4 v[0:1], v[2:5], off
.LBB657_599:
	s_endpgm
	.section	.rodata,"a",@progbits
	.p2align	6, 0x0
	.amdhsa_kernel _Z39paged_attention_ll4mi_QKV_mfma16_kernelIDF16_hLN4vllm18Fp8KVCacheDataTypeE1EDF16_Li32ELi128ELi256ELb1ELi4EL8MFMAType0EEvPKT_PKT0_S8_ifPKiSA_SA_iPKfiiiPfSD_PS3_PT2_iSC_SC_
		.amdhsa_group_segment_fixed_size 8192
		.amdhsa_private_segment_fixed_size 352
		.amdhsa_kernarg_size 400
		.amdhsa_user_sgpr_count 8
		.amdhsa_user_sgpr_private_segment_buffer 1
		.amdhsa_user_sgpr_dispatch_ptr 0
		.amdhsa_user_sgpr_queue_ptr 0
		.amdhsa_user_sgpr_kernarg_segment_ptr 1
		.amdhsa_user_sgpr_dispatch_id 0
		.amdhsa_user_sgpr_flat_scratch_init 1
		.amdhsa_user_sgpr_kernarg_preload_length 0
		.amdhsa_user_sgpr_kernarg_preload_offset 0
		.amdhsa_user_sgpr_private_segment_size 0
		.amdhsa_uses_dynamic_stack 0
		.amdhsa_system_sgpr_private_segment_wavefront_offset 1
		.amdhsa_system_sgpr_workgroup_id_x 1
		.amdhsa_system_sgpr_workgroup_id_y 1
		.amdhsa_system_sgpr_workgroup_id_z 1
		.amdhsa_system_sgpr_workgroup_info 0
		.amdhsa_system_vgpr_workitem_id 0
		.amdhsa_next_free_vgpr 82
		.amdhsa_next_free_sgpr 56
		.amdhsa_accum_offset 84
		.amdhsa_reserve_vcc 1
		.amdhsa_reserve_flat_scratch 0
		.amdhsa_float_round_mode_32 0
		.amdhsa_float_round_mode_16_64 0
		.amdhsa_float_denorm_mode_32 3
		.amdhsa_float_denorm_mode_16_64 3
		.amdhsa_dx10_clamp 1
		.amdhsa_ieee_mode 1
		.amdhsa_fp16_overflow 0
		.amdhsa_tg_split 0
		.amdhsa_exception_fp_ieee_invalid_op 0
		.amdhsa_exception_fp_denorm_src 0
		.amdhsa_exception_fp_ieee_div_zero 0
		.amdhsa_exception_fp_ieee_overflow 0
		.amdhsa_exception_fp_ieee_underflow 0
		.amdhsa_exception_fp_ieee_inexact 0
		.amdhsa_exception_int_div_zero 0
	.end_amdhsa_kernel
	.section	.text._Z39paged_attention_ll4mi_QKV_mfma16_kernelIDF16_hLN4vllm18Fp8KVCacheDataTypeE1EDF16_Li32ELi128ELi256ELb1ELi4EL8MFMAType0EEvPKT_PKT0_S8_ifPKiSA_SA_iPKfiiiPfSD_PS3_PT2_iSC_SC_,"axG",@progbits,_Z39paged_attention_ll4mi_QKV_mfma16_kernelIDF16_hLN4vllm18Fp8KVCacheDataTypeE1EDF16_Li32ELi128ELi256ELb1ELi4EL8MFMAType0EEvPKT_PKT0_S8_ifPKiSA_SA_iPKfiiiPfSD_PS3_PT2_iSC_SC_,comdat
.Lfunc_end657:
	.size	_Z39paged_attention_ll4mi_QKV_mfma16_kernelIDF16_hLN4vllm18Fp8KVCacheDataTypeE1EDF16_Li32ELi128ELi256ELb1ELi4EL8MFMAType0EEvPKT_PKT0_S8_ifPKiSA_SA_iPKfiiiPfSD_PS3_PT2_iSC_SC_, .Lfunc_end657-_Z39paged_attention_ll4mi_QKV_mfma16_kernelIDF16_hLN4vllm18Fp8KVCacheDataTypeE1EDF16_Li32ELi128ELi256ELb1ELi4EL8MFMAType0EEvPKT_PKT0_S8_ifPKiSA_SA_iPKfiiiPfSD_PS3_PT2_iSC_SC_
                                        ; -- End function
	.section	.AMDGPU.csdata,"",@progbits
; Kernel info:
; codeLenInByte = 21388
; NumSgprs: 60
; NumVgprs: 82
; NumAgprs: 0
; TotalNumVgprs: 82
; ScratchSize: 352
; MemoryBound: 0
; FloatMode: 240
; IeeeMode: 1
; LDSByteSize: 8192 bytes/workgroup (compile time only)
; SGPRBlocks: 7
; VGPRBlocks: 10
; NumSGPRsForWavesPerEU: 60
; NumVGPRsForWavesPerEU: 82
; AccumOffset: 84
; Occupancy: 5
; WaveLimiterHint : 1
; COMPUTE_PGM_RSRC2:SCRATCH_EN: 1
; COMPUTE_PGM_RSRC2:USER_SGPR: 8
; COMPUTE_PGM_RSRC2:TRAP_HANDLER: 0
; COMPUTE_PGM_RSRC2:TGID_X_EN: 1
; COMPUTE_PGM_RSRC2:TGID_Y_EN: 1
; COMPUTE_PGM_RSRC2:TGID_Z_EN: 1
; COMPUTE_PGM_RSRC2:TIDIG_COMP_CNT: 0
; COMPUTE_PGM_RSRC3_GFX90A:ACCUM_OFFSET: 20
; COMPUTE_PGM_RSRC3_GFX90A:TG_SPLIT: 0
	.section	.text._Z39paged_attention_ll4mi_QKV_mfma16_kernelIDF16_hLN4vllm18Fp8KVCacheDataTypeE1EDF16_Li32ELi128ELi256ELb0ELi5EL8MFMAType0EEvPKT_PKT0_S8_ifPKiSA_SA_iPKfiiiPfSD_PS3_PT2_iSC_SC_,"axG",@progbits,_Z39paged_attention_ll4mi_QKV_mfma16_kernelIDF16_hLN4vllm18Fp8KVCacheDataTypeE1EDF16_Li32ELi128ELi256ELb0ELi5EL8MFMAType0EEvPKT_PKT0_S8_ifPKiSA_SA_iPKfiiiPfSD_PS3_PT2_iSC_SC_,comdat
	.protected	_Z39paged_attention_ll4mi_QKV_mfma16_kernelIDF16_hLN4vllm18Fp8KVCacheDataTypeE1EDF16_Li32ELi128ELi256ELb0ELi5EL8MFMAType0EEvPKT_PKT0_S8_ifPKiSA_SA_iPKfiiiPfSD_PS3_PT2_iSC_SC_ ; -- Begin function _Z39paged_attention_ll4mi_QKV_mfma16_kernelIDF16_hLN4vllm18Fp8KVCacheDataTypeE1EDF16_Li32ELi128ELi256ELb0ELi5EL8MFMAType0EEvPKT_PKT0_S8_ifPKiSA_SA_iPKfiiiPfSD_PS3_PT2_iSC_SC_
	.globl	_Z39paged_attention_ll4mi_QKV_mfma16_kernelIDF16_hLN4vllm18Fp8KVCacheDataTypeE1EDF16_Li32ELi128ELi256ELb0ELi5EL8MFMAType0EEvPKT_PKT0_S8_ifPKiSA_SA_iPKfiiiPfSD_PS3_PT2_iSC_SC_
	.p2align	8
	.type	_Z39paged_attention_ll4mi_QKV_mfma16_kernelIDF16_hLN4vllm18Fp8KVCacheDataTypeE1EDF16_Li32ELi128ELi256ELb0ELi5EL8MFMAType0EEvPKT_PKT0_S8_ifPKiSA_SA_iPKfiiiPfSD_PS3_PT2_iSC_SC_,@function
_Z39paged_attention_ll4mi_QKV_mfma16_kernelIDF16_hLN4vllm18Fp8KVCacheDataTypeE1EDF16_Li32ELi128ELi256ELb0ELi5EL8MFMAType0EEvPKT_PKT0_S8_ifPKiSA_SA_iPKfiiiPfSD_PS3_PT2_iSC_SC_: ; @_Z39paged_attention_ll4mi_QKV_mfma16_kernelIDF16_hLN4vllm18Fp8KVCacheDataTypeE1EDF16_Li32ELi128ELi256ELb0ELi5EL8MFMAType0EEvPKT_PKT0_S8_ifPKiSA_SA_iPKfiiiPfSD_PS3_PT2_iSC_SC_
; %bb.0:
	s_load_dwordx2 s[6:7], s[4:5], 0x30
	s_add_u32 s0, s0, s11
	s_addc_u32 s1, s1, 0
	s_mov_b32 s24, s9
	s_mov_b64 s[12:13], 0
	s_waitcnt lgkmcnt(0)
	s_cmp_lg_u64 s[6:7], 0
	s_cselect_b64 s[16:17], -1, 0
	s_and_b64 vcc, exec, s[16:17]
	s_cbranch_vccz .LBB658_7
; %bb.1:
	s_add_i32 s14, s8, 1
	s_mov_b32 s15, 0
	s_lshl_b64 s[18:19], s[14:15], 2
	s_add_u32 s18, s6, s18
	s_mov_b32 s9, s15
	s_addc_u32 s19, s7, s19
	s_lshl_b64 s[14:15], s[8:9], 2
	s_add_u32 s14, s6, s14
	s_addc_u32 s15, s7, s15
	s_load_dword s11, s[18:19], 0x0
	s_load_dword s20, s[14:15], 0x0
	s_waitcnt lgkmcnt(0)
	s_sub_i32 s11, s11, s20
	s_cmp_eq_u32 s11, 1
	s_cselect_b64 s[14:15], -1, 0
	s_andn2_b64 vcc, exec, s[12:13]
	s_cbranch_vccnz .LBB658_3
.LBB658_2:
	s_mov_b32 s9, 0
	s_mov_b64 s[14:15], -1
.LBB658_3:
	s_andn2_b64 vcc, exec, s[14:15]
	s_cbranch_vccnz .LBB658_598
; %bb.4:
	s_load_dwordx2 s[12:13], s[4:5], 0x28
	s_lshl_b64 s[18:19], s[8:9], 2
	s_waitcnt lgkmcnt(0)
	s_add_u32 s12, s12, s18
	s_addc_u32 s13, s13, s19
	s_load_dword s33, s[12:13], 0x0
	s_lshl_b32 s20, s24, 8
	s_waitcnt lgkmcnt(0)
	s_cmp_ge_i32 s20, s33
	s_cbranch_scc1 .LBB658_598
; %bb.5:
	s_add_i32 s14, s33, 31
	s_load_dwordx2 s[12:13], s[4:5], 0x20
	s_load_dword s11, s[4:5], 0x38
	s_ashr_i32 s15, s14, 31
	v_and_b32_e32 v1, 0xcf, v0
	s_lshr_b32 s15, s15, 27
	v_add_u32_e32 v1, s20, v1
	s_add_i32 s14, s14, s15
	v_ashrrev_i32_e32 v2, 31, v1
	s_ashr_i32 s22, s14, 5
	v_lshrrev_b32_e32 v10, 27, v2
	s_add_i32 s22, s22, -1
	v_add_u32_e32 v2, v1, v10
	s_waitcnt lgkmcnt(0)
	s_mul_i32 s14, s8, s11
	s_mov_b32 s15, 0
	v_ashrrev_i32_e32 v2, 5, v2
	v_mov_b32_e32 v11, s22
	v_cmp_gt_i32_e32 vcc, s33, v1
	s_lshl_b64 s[14:15], s[14:15], 2
	v_cndmask_b32_e32 v2, v11, v2, vcc
	s_add_u32 s11, s12, s14
	v_ashrrev_i32_e32 v3, 31, v2
	s_addc_u32 s21, s13, s15
	v_lshlrev_b64 v[2:3], 2, v[2:3]
	v_mov_b32_e32 v5, s21
	v_add_co_u32_e32 v4, vcc, s11, v2
	v_or_b32_e32 v2, 16, v1
	v_addc_co_u32_e32 v5, vcc, v5, v3, vcc
	v_add_u32_e32 v3, v2, v10
	v_ashrrev_i32_e32 v3, 5, v3
	v_cmp_gt_i32_e32 vcc, s33, v2
	v_cndmask_b32_e32 v2, v11, v3, vcc
	v_ashrrev_i32_e32 v3, 31, v2
	v_lshlrev_b64 v[2:3], 2, v[2:3]
	v_mov_b32_e32 v7, s21
	v_add_co_u32_e32 v6, vcc, s11, v2
	v_or_b32_e32 v2, 32, v1
	v_addc_co_u32_e32 v7, vcc, v7, v3, vcc
	v_add_u32_e32 v3, v2, v10
	v_ashrrev_i32_e32 v3, 5, v3
	v_cmp_gt_i32_e32 vcc, s33, v2
	v_cndmask_b32_e32 v2, v11, v3, vcc
	v_ashrrev_i32_e32 v3, 31, v2
	;; [unrolled: 10-line block ×3, first 2 shown]
	v_lshlrev_b64 v[2:3], 2, v[2:3]
	v_mov_b32_e32 v1, s21
	v_add_co_u32_e32 v10, vcc, s11, v2
	v_addc_co_u32_e32 v11, vcc, v1, v3, vcc
	global_load_dword v2, v[4:5], off
	global_load_dword v13, v[6:7], off
	;; [unrolled: 1-line block ×4, first 2 shown]
	s_load_dwordx4 s[12:15], s[4:5], 0x8
	s_andn2_b64 vcc, exec, s[16:17]
	s_cbranch_vccnz .LBB658_8
; %bb.6:
	s_add_u32 s6, s6, s18
	s_addc_u32 s7, s7, s19
	s_load_dword s16, s[6:7], 0x0
	s_branch .LBB658_9
.LBB658_7:
	s_mov_b64 s[14:15], 0
	s_branch .LBB658_2
.LBB658_8:
	s_mov_b32 s16, s8
.LBB658_9:
	s_load_dwordx2 s[48:49], s[4:5], 0x68
	s_load_dwordx8 s[40:47], s[4:5], 0x48
	v_lshrrev_b32_e32 v62, 6, v0
	v_bfe_u32 v1, v0, 4, 2
	v_and_b32_e32 v55, 15, v0
	v_lshl_or_b32 v3, v62, 2, v1
	v_lshlrev_b32_e32 v4, 3, v55
	s_mul_i32 s25, s10, 5
	v_cmp_gt_u32_e32 vcc, 5, v3
	v_lshlrev_b32_e32 v54, 1, v4
	v_lshlrev_b32_e32 v56, 4, v0
	s_and_saveexec_b64 s[6:7], vcc
	s_cbranch_execz .LBB658_11
; %bb.10:
	s_load_dwordx2 s[18:19], s[4:5], 0x0
	s_waitcnt lgkmcnt(0)
	s_ashr_i32 s17, s40, 31
	s_mul_hi_u32 s23, s16, s40
	s_mul_i32 s17, s16, s17
	s_add_i32 s17, s23, s17
	s_mul_i32 s16, s16, s40
	s_lshl_b64 s[16:17], s[16:17], 1
	v_add_lshl_u32 v4, v3, s25, 7
	s_add_u32 s16, s18, s16
	v_ashrrev_i32_e32 v5, 31, v4
	s_addc_u32 s17, s19, s17
	v_lshlrev_b64 v[4:5], 1, v[4:5]
	v_mov_b32_e32 v6, s17
	v_add_co_u32_e32 v4, vcc, s16, v4
	v_addc_co_u32_e32 v5, vcc, v6, v5, vcc
	v_add_co_u32_e32 v4, vcc, v4, v54
	v_addc_co_u32_e32 v5, vcc, 0, v5, vcc
	global_load_dwordx4 v[4:7], v[4:5], off
	v_lshlrev_b32_e32 v9, 8, v0
	v_lshlrev_b32_e32 v8, 8, v55
	v_and_b32_e32 v9, 0x600, v9
	s_movk_i32 s16, 0x800
	v_and_or_b32 v8, v8, s16, v9
	v_lshlrev_b32_e32 v3, 5, v3
	v_and_b32_e32 v9, 16, v56
	v_or3_b32 v3, v8, v3, v9
	s_waitcnt vmcnt(0)
	ds_write_b128 v3, v[4:7]
.LBB658_11:
	s_or_b64 exec, exec, s[6:7]
	s_waitcnt lgkmcnt(0)
	s_mul_i32 s10, s10, s42
	s_add_u32 s6, s12, s10
	s_addc_u32 s7, s13, 0
	v_pk_mov_b32 v[22:23], s[6:7], s[6:7] op_sel:[0,1]
	s_waitcnt vmcnt(3)
	v_mad_i64_i32 v[2:3], s[6:7], v2, s41, v[22:23]
	v_lshlrev_b32_e32 v18, 4, v55
	v_and_b32_e32 v6, 48, v0
	v_add_co_u32_e32 v2, vcc, v2, v18
	v_lshlrev_b32_e32 v25, 5, v6
	v_addc_co_u32_e32 v3, vcc, 0, v3, vcc
	s_ashr_i32 s6, s20, 31
	v_add_co_u32_e32 v10, vcc, v2, v25
	v_or_b32_e32 v16, s20, v6
	s_lshr_b32 s6, s6, 27
	v_addc_co_u32_e32 v11, vcc, 0, v3, vcc
	v_add_u32_e32 v6, s6, v16
	v_ashrrev_i32_e32 v6, 5, v6
	v_mov_b32_e32 v17, s22
	v_cmp_gt_i32_e32 vcc, s33, v16
	v_cndmask_b32_e32 v6, v17, v6, vcc
	v_ashrrev_i32_e32 v7, 31, v6
	v_lshlrev_b64 v[6:7], 2, v[6:7]
	v_mov_b32_e32 v8, s21
	v_add_co_u32_e32 v6, vcc, s11, v6
	v_addc_co_u32_e32 v7, vcc, v8, v7, vcc
	v_or_b32_e32 v8, 64, v16
	v_add_u32_e32 v9, s6, v8
	v_ashrrev_i32_e32 v9, 5, v9
	v_cmp_gt_i32_e32 vcc, s33, v8
	v_cndmask_b32_e32 v8, v17, v9, vcc
	v_ashrrev_i32_e32 v9, 31, v8
	v_lshlrev_b64 v[8:9], 2, v[8:9]
	v_mov_b32_e32 v14, s21
	v_add_co_u32_e32 v8, vcc, s11, v8
	v_addc_co_u32_e32 v9, vcc, v14, v9, vcc
	v_or_b32_e32 v14, 0x80, v16
	v_add_u32_e32 v15, s6, v14
	s_load_dwordx2 s[50:51], s[4:5], 0x94
	s_waitcnt lgkmcnt(0)
	s_barrier
	global_load_dwordx4 v[2:5], v[10:11], off
	v_ashrrev_i32_e32 v15, 5, v15
	v_cmp_gt_i32_e32 vcc, s33, v14
	v_cndmask_b32_e32 v14, v17, v15, vcc
	v_ashrrev_i32_e32 v15, 31, v14
	v_lshlrev_b64 v[14:15], 2, v[14:15]
	v_mov_b32_e32 v19, s21
	v_add_co_u32_e32 v14, vcc, s11, v14
	v_addc_co_u32_e32 v15, vcc, v19, v15, vcc
	global_load_dword v50, v[6:7], off
	global_load_dword v57, v[8:9], off
	;; [unrolled: 1-line block ×3, first 2 shown]
	v_or_b32_e32 v6, 0xc0, v16
	v_add_u32_e32 v7, s6, v6
	v_ashrrev_i32_e32 v7, 5, v7
	v_cmp_gt_i32_e32 vcc, s33, v6
	v_cndmask_b32_e32 v6, v17, v7, vcc
	v_ashrrev_i32_e32 v7, 31, v6
	v_lshlrev_b64 v[6:7], 2, v[6:7]
	v_mov_b32_e32 v8, s21
	v_add_co_u32_e32 v14, vcc, s11, v6
	v_addc_co_u32_e32 v15, vcc, v8, v7, vcc
	global_load_dword v61, v[14:15], off
	global_load_dwordx4 v[6:9], v[10:11], off offset:2048
	s_waitcnt vmcnt(8)
	v_mad_i64_i32 v[10:11], s[6:7], v13, s41, v[22:23]
	v_or_b32_e32 v28, 0x100, v18
	v_add_co_u32_e32 v10, vcc, v10, v28
	v_addc_co_u32_e32 v11, vcc, 0, v11, vcc
	v_add_co_u32_e32 v10, vcc, v10, v25
	v_addc_co_u32_e32 v11, vcc, 0, v11, vcc
	global_load_dwordx4 v[14:17], v[10:11], off
	global_load_dwordx4 v[38:41], v[10:11], off offset:2048
	s_waitcnt vmcnt(9)
	v_mad_i64_i32 v[10:11], s[6:7], v12, s41, v[22:23]
	s_waitcnt vmcnt(8)
	v_mad_i64_i32 v[22:23], s[6:7], v24, s41, v[22:23]
	s_add_u32 s6, s14, s10
	s_addc_u32 s7, s15, 0
	v_lshl_or_b32 v63, v62, 4, v55
	v_lshlrev_b32_e32 v52, 5, v63
	v_and_b32_e32 v64, 63, v0
	s_mov_b32 s12, 0
	s_movk_i32 s13, 0x80
	s_movk_i32 s14, 0x7f
	s_mov_b32 s15, 0xffffff
	s_waitcnt vmcnt(7)
	buffer_store_dword v5, off, s[0:3], 0 offset:12
	v_add_co_u32_e32 v5, vcc, v10, v18
	v_addc_co_u32_e32 v10, vcc, 0, v11, vcc
	v_add_co_u32_e32 v26, vcc, v5, v25
	v_addc_co_u32_e32 v27, vcc, 0, v10, vcc
	;; [unrolled: 2-line block ×4, first 2 shown]
	v_and_b32_e32 v5, 16, v0
	global_load_dwordx4 v[10:13], v[26:27], off
	global_load_dwordx4 v[18:21], v[26:27], off offset:2048
	s_nop 0
	global_load_dwordx4 v[26:29], v[30:31], off
	global_load_dwordx4 v[22:25], v[30:31], off offset:2048
	v_mov_b32_e32 v30, s7
	v_add_co_u32_e32 v5, vcc, s6, v5
	v_addc_co_u32_e32 v51, vcc, 0, v30, vcc
	v_add_co_u32_e32 v42, vcc, v5, v52
	v_addc_co_u32_e32 v43, vcc, 0, v51, vcc
	s_waitcnt vmcnt(11)
	v_mad_i64_i32 v[30:31], s[6:7], v50, s41, v[42:43]
	s_waitcnt vmcnt(10)
	v_mad_i64_i32 v[34:35], s[6:7], v57, s41, v[42:43]
	;; [unrolled: 2-line block ×4, first 2 shown]
	global_load_dwordx4 v[30:33], v[30:31], off
	v_or_b32_e32 v52, 0x800, v52
	global_load_dwordx4 v[34:37], v[34:35], off
	s_nop 0
	global_load_dwordx4 v[46:49], v[44:45], off
	s_nop 0
	global_load_dwordx4 v[42:45], v[42:43], off
	v_add_co_u32_e32 v58, vcc, v5, v52
	v_addc_co_u32_e32 v59, vcc, 0, v51, vcc
	buffer_store_dword v4, off, s[0:3], 0 offset:8
	v_mad_i64_i32 v[4:5], s[6:7], v57, s41, v[58:59]
	buffer_store_dword v3, off, s[0:3], 0 offset:4
	buffer_store_dword v2, off, s[0:3], 0
	v_mad_i64_i32 v[2:3], s[6:7], v61, s41, v[58:59]
	global_load_dwordx4 v[66:69], v[4:5], off
	global_load_dwordx4 v[74:77], v[2:3], off
	v_mad_i64_i32 v[50:51], s[6:7], v50, s41, v[58:59]
	global_load_dwordx4 v[50:53], v[50:51], off
	v_mad_i64_i32 v[4:5], s[6:7], v60, s41, v[58:59]
	global_load_dwordx4 v[70:73], v[4:5], off
	s_waitcnt vmcnt(18)
	buffer_store_dword v9, off, s[0:3], 0 offset:28
	buffer_store_dword v8, off, s[0:3], 0 offset:24
	;; [unrolled: 1-line block ×4, first 2 shown]
	s_waitcnt vmcnt(21)
	buffer_store_dword v17, off, s[0:3], 0 offset:44
	buffer_store_dword v16, off, s[0:3], 0 offset:40
	;; [unrolled: 1-line block ×4, first 2 shown]
	v_mov_b32_e32 v2, 0x80
	s_load_dword s6, s[4:5], 0x1c
	s_load_dwordx4 s[40:43], s[4:5], 0x80
	v_add_u32_e32 v57, 16, v2
	s_waitcnt vmcnt(24)
	buffer_store_dword v41, off, s[0:3], 0 offset:60
	buffer_store_dword v40, off, s[0:3], 0 offset:56
	;; [unrolled: 1-line block ×4, first 2 shown]
	v_add_u32_e32 v61, 32, v2
	v_add_u32_e32 v39, 48, v2
	;; [unrolled: 1-line block ×6, first 2 shown]
	v_mul_lo_u16_e32 v2, 52, v55
	v_mov_b32_e32 v3, 5
	v_mul_lo_u16_sdwa v2, v2, v3 dst_sel:DWORD dst_unused:UNUSED_PAD src0_sel:BYTE_1 src1_sel:DWORD
	v_sub_u16_e32 v2, v55, v2
	v_lshlrev_b32_sdwa v2, v3, v2 dst_sel:DWORD dst_unused:UNUSED_PAD src0_sel:DWORD src1_sel:BYTE_0
	s_waitcnt vmcnt(26)
	buffer_store_dword v13, off, s[0:3], 0 offset:76
	buffer_store_dword v12, off, s[0:3], 0 offset:72
	;; [unrolled: 1-line block ×4, first 2 shown]
	v_lshl_add_u32 v14, v1, 9, v2
	ds_read_b128 v[2:5], v14
	ds_read_b128 v[6:9], v14 offset:16
	ds_read_b128 v[10:13], v14 offset:2048
	;; [unrolled: 1-line block ×3, first 2 shown]
	s_waitcnt vmcnt(29)
	buffer_store_dword v21, off, s[0:3], 0 offset:92
	buffer_store_dword v20, off, s[0:3], 0 offset:88
	buffer_store_dword v19, off, s[0:3], 0 offset:84
	buffer_store_dword v18, off, s[0:3], 0 offset:80
	s_waitcnt vmcnt(32)
	buffer_store_dword v29, off, s[0:3], 0 offset:108
	buffer_store_dword v28, off, s[0:3], 0 offset:104
	buffer_store_dword v27, off, s[0:3], 0 offset:100
	buffer_store_dword v26, off, s[0:3], 0 offset:96
	;; [unrolled: 5-line block ×8, first 2 shown]
	buffer_store_dword v69, off, s[0:3], 0 offset:188
	buffer_store_dword v68, off, s[0:3], 0 offset:184
	;; [unrolled: 1-line block ×4, first 2 shown]
	s_waitcnt vmcnt(52)
	buffer_store_dword v73, off, s[0:3], 0 offset:220
	buffer_store_dword v72, off, s[0:3], 0 offset:216
	;; [unrolled: 1-line block ×5, first 2 shown]
	s_waitcnt lgkmcnt(0)
	s_load_dword s4, s[40:41], 0x0
	v_mov_b32_e32 v18, s6
	v_mov_b32_e32 v27, 0
	;; [unrolled: 1-line block ×4, first 2 shown]
	s_waitcnt lgkmcnt(0)
	v_mul_f32_e32 v22, s4, v18
	v_mov_b32_e32 v24, v22
	v_mov_b32_e32 v25, v22
	v_bfrev_b32_e32 v33, 60
	buffer_store_dword v76, off, s[0:3], 0 offset:248
	buffer_store_dword v75, off, s[0:3], 0 offset:244
	buffer_store_dword v74, off, s[0:3], 0 offset:240
	s_branch .LBB658_15
.LBB658_12:                             ;   in Loop: Header=BB658_15 Depth=1
	s_or_b64 exec, exec, s[10:11]
.LBB658_13:                             ;   in Loop: Header=BB658_15 Depth=1
	s_or_b64 exec, exec, s[6:7]
.LBB658_14:                             ;   in Loop: Header=BB658_15 Depth=1
	s_or_b64 exec, exec, s[4:5]
	v_cvt_pkrtz_f16_f32 v42, v34, v32
	v_cvt_pkrtz_f16_f32 v43, v23, v36
	v_cvt_pkrtz_f16_f32 v34, v35, v37
	v_cvt_pkrtz_f16_f32 v35, v30, v38
	v_add_u32_e32 v26, s12, v31
	v_mfma_f32_16x16x16f16 v[18:21], v[42:43], v[14:15], v[18:21]
	s_add_i32 s12, s12, 16
	v_mov_b32_e32 v23, v22
	s_cmp_eq_u32 s12, 64
	v_add_u32_e32 v27, 32, v27
	v_mfma_f32_16x16x16f16 v[18:21], v[34:35], v[16:17], v[18:21]
	s_nop 7
	s_nop 2
	v_pk_mul_f32 v[18:19], v[24:25], v[18:19]
	v_pk_mul_f32 v[20:21], v[22:23], v[20:21]
	buffer_store_dword v19, v26, s[0:3], 0 offen offset:4
	buffer_store_dword v18, v26, s[0:3], 0 offen
	buffer_store_dword v21, v26, s[0:3], 0 offen offset:12
	buffer_store_dword v20, v26, s[0:3], 0 offen offset:8
	s_cbranch_scc1 .LBB658_205
.LBB658_15:                             ; =>This Inner Loop Header: Depth=1
	buffer_load_dword v20, v27, s[0:3], 0 offen
	buffer_load_dword v18, v27, s[0:3], 0 offen offset:4
	buffer_load_dword v28, v27, s[0:3], 0 offen offset:8
	;; [unrolled: 1-line block ×3, first 2 shown]
	v_mov_b32_e32 v19, 0
	s_waitcnt vmcnt(3)
	v_cmp_ne_u16_sdwa s[6:7], v20, v29 src0_sel:BYTE_0 src1_sel:DWORD
	s_and_saveexec_b64 s[4:5], s[6:7]
	s_cbranch_execz .LBB658_21
; %bb.16:                               ;   in Loop: Header=BB658_15 Depth=1
	v_cmp_ne_u16_sdwa s[10:11], v20, s13 src0_sel:BYTE_0 src1_sel:DWORD
	v_bfrev_b32_e32 v19, 1
	s_and_saveexec_b64 s[6:7], s[10:11]
	s_cbranch_execz .LBB658_20
; %bb.17:                               ;   in Loop: Header=BB658_15 Depth=1
	v_and_b32_e32 v21, 0x7f, v20
	v_cmp_ne_u32_e32 vcc, s14, v21
	v_mov_b32_e32 v19, 0x7f800001
	s_and_saveexec_b64 s[10:11], vcc
	s_cbranch_execz .LBB658_19
; %bb.18:                               ;   in Loop: Header=BB658_15 Depth=1
	v_and_b32_e32 v19, 7, v20
	v_ffbh_u32_e32 v30, v19
	v_min_u32_e32 v30, 32, v30
	v_subrev_u32_e32 v32, 28, v30
	v_lshlrev_b64 v[34:35], v32, v[20:21]
	v_lshrrev_b32_e32 v23, 3, v21
	v_sub_u32_e32 v30, 29, v30
	v_and_b32_e32 v32, 7, v34
	v_cmp_gt_u32_e32 vcc, 8, v21
	v_cndmask_b32_e32 v21, v23, v30, vcc
	v_cndmask_b32_e32 v19, v19, v32, vcc
	v_lshlrev_b32_e32 v23, 24, v20
	v_lshlrev_b32_e32 v19, 20, v19
	v_and_b32_e32 v23, 0x80000000, v23
	v_lshl_add_u32 v21, v21, 23, v33
	v_or3_b32 v19, v23, v21, v19
.LBB658_19:                             ;   in Loop: Header=BB658_15 Depth=1
	s_or_b64 exec, exec, s[10:11]
.LBB658_20:                             ;   in Loop: Header=BB658_15 Depth=1
	s_or_b64 exec, exec, s[6:7]
.LBB658_21:                             ;   in Loop: Header=BB658_15 Depth=1
	s_or_b64 exec, exec, s[4:5]
	v_lshrrev_b16_e32 v30, 8, v20
	v_cmp_ne_u16_e32 vcc, 0, v30
	v_mov_b32_e32 v21, 0
	v_mov_b32_e32 v23, 0
	s_and_saveexec_b64 s[4:5], vcc
	s_cbranch_execz .LBB658_27
; %bb.22:                               ;   in Loop: Header=BB658_15 Depth=1
	v_cmp_ne_u16_e32 vcc, s13, v30
	v_bfrev_b32_e32 v23, 1
	s_and_saveexec_b64 s[6:7], vcc
	s_cbranch_execz .LBB658_26
; %bb.23:                               ;   in Loop: Header=BB658_15 Depth=1
	v_and_b32_e32 v32, 0x7f, v30
	v_cmp_ne_u32_e32 vcc, s14, v32
	v_mov_b32_e32 v23, 0x7f800001
	s_and_saveexec_b64 s[10:11], vcc
	s_cbranch_execz .LBB658_25
; %bb.24:                               ;   in Loop: Header=BB658_15 Depth=1
	v_and_b32_e32 v23, 7, v30
	v_ffbh_u32_e32 v34, v23
	v_min_u32_e32 v37, 32, v34
	v_subrev_u32_e32 v34, 28, v37
	v_lshlrev_b64 v[34:35], v34, v[30:31]
	v_lshrrev_b32_e32 v36, 3, v32
	v_sub_u32_e32 v30, 29, v37
	v_and_b32_e32 v34, 7, v34
	v_cmp_gt_u32_e32 vcc, 8, v32
	v_cndmask_b32_e32 v30, v36, v30, vcc
	v_cndmask_b32_e32 v23, v23, v34, vcc
	v_lshlrev_b32_e32 v32, 16, v20
	v_lshlrev_b32_e32 v23, 20, v23
	v_and_b32_e32 v32, 0x80000000, v32
	v_lshl_add_u32 v30, v30, 23, v33
	v_or3_b32 v23, v32, v30, v23
.LBB658_25:                             ;   in Loop: Header=BB658_15 Depth=1
	s_or_b64 exec, exec, s[10:11]
.LBB658_26:                             ;   in Loop: Header=BB658_15 Depth=1
	s_or_b64 exec, exec, s[6:7]
.LBB658_27:                             ;   in Loop: Header=BB658_15 Depth=1
	s_or_b64 exec, exec, s[4:5]
	v_lshrrev_b32_e32 v30, 16, v20
	v_cmp_ne_u16_sdwa s[6:7], v30, v29 src0_sel:BYTE_0 src1_sel:DWORD
	s_and_saveexec_b64 s[4:5], s[6:7]
	s_cbranch_execz .LBB658_33
; %bb.28:                               ;   in Loop: Header=BB658_15 Depth=1
	v_cmp_ne_u16_sdwa s[10:11], v30, s13 src0_sel:BYTE_0 src1_sel:DWORD
	v_bfrev_b32_e32 v21, 1
	s_and_saveexec_b64 s[6:7], s[10:11]
	s_cbranch_execz .LBB658_32
; %bb.29:                               ;   in Loop: Header=BB658_15 Depth=1
	v_bfe_u32 v32, v20, 16, 7
	v_cmp_ne_u32_e32 vcc, s14, v32
	v_mov_b32_e32 v21, 0x7f800001
	s_and_saveexec_b64 s[10:11], vcc
	s_cbranch_execz .LBB658_31
; %bb.30:                               ;   in Loop: Header=BB658_15 Depth=1
	v_and_b32_e32 v21, 7, v30
	v_ffbh_u32_e32 v34, v21
	v_min_u32_e32 v37, 32, v34
	v_subrev_u32_e32 v34, 28, v37
	v_lshlrev_b64 v[34:35], v34, v[30:31]
	v_lshrrev_b32_e32 v36, 3, v32
	v_sub_u32_e32 v35, 29, v37
	v_and_b32_e32 v34, 7, v34
	v_cmp_gt_u32_e32 vcc, 8, v32
	v_cndmask_b32_e32 v32, v36, v35, vcc
	v_cndmask_b32_e32 v21, v21, v34, vcc
	v_lshlrev_b32_e32 v30, 24, v30
	v_lshlrev_b32_e32 v21, 20, v21
	v_and_b32_e32 v30, 0x80000000, v30
	v_lshl_add_u32 v32, v32, 23, v33
	v_or3_b32 v21, v30, v32, v21
.LBB658_31:                             ;   in Loop: Header=BB658_15 Depth=1
	s_or_b64 exec, exec, s[10:11]
.LBB658_32:                             ;   in Loop: Header=BB658_15 Depth=1
	s_or_b64 exec, exec, s[6:7]
.LBB658_33:                             ;   in Loop: Header=BB658_15 Depth=1
	s_or_b64 exec, exec, s[4:5]
	v_cmp_lt_u32_e32 vcc, s15, v20
	v_mov_b32_e32 v34, 0
	v_mov_b32_e32 v35, 0
	s_and_saveexec_b64 s[4:5], vcc
	s_cbranch_execz .LBB658_39
; %bb.34:                               ;   in Loop: Header=BB658_15 Depth=1
	v_lshrrev_b32_e32 v30, 24, v20
	v_cmp_ne_u32_e32 vcc, s13, v30
	v_bfrev_b32_e32 v35, 1
	s_and_saveexec_b64 s[6:7], vcc
	s_cbranch_execz .LBB658_38
; %bb.35:                               ;   in Loop: Header=BB658_15 Depth=1
	v_bfe_u32 v20, v20, 24, 7
	v_cmp_ne_u32_e32 vcc, s14, v20
	v_mov_b32_e32 v35, 0x7f800001
	s_and_saveexec_b64 s[10:11], vcc
	s_cbranch_execz .LBB658_37
; %bb.36:                               ;   in Loop: Header=BB658_15 Depth=1
	v_and_b32_e32 v32, 7, v30
	v_ffbh_u32_e32 v36, v32
	v_min_u32_e32 v38, 32, v36
	v_subrev_u32_e32 v36, 28, v38
	v_lshlrev_b64 v[36:37], v36, v[30:31]
	v_lshrrev_b32_e32 v35, 3, v20
	v_sub_u32_e32 v37, 29, v38
	v_and_b32_e32 v36, 7, v36
	v_cmp_gt_u32_e32 vcc, 8, v20
	v_cndmask_b32_e32 v20, v35, v37, vcc
	v_cndmask_b32_e32 v32, v32, v36, vcc
	v_lshlrev_b32_e32 v30, 24, v30
	v_lshlrev_b32_e32 v32, 20, v32
	v_and_b32_e32 v30, 0x80000000, v30
	v_lshl_add_u32 v20, v20, 23, v33
	v_or3_b32 v35, v30, v20, v32
.LBB658_37:                             ;   in Loop: Header=BB658_15 Depth=1
	s_or_b64 exec, exec, s[10:11]
.LBB658_38:                             ;   in Loop: Header=BB658_15 Depth=1
	s_or_b64 exec, exec, s[6:7]
.LBB658_39:                             ;   in Loop: Header=BB658_15 Depth=1
	s_or_b64 exec, exec, s[4:5]
	s_waitcnt vmcnt(2)
	v_cmp_ne_u16_sdwa s[6:7], v18, v29 src0_sel:BYTE_0 src1_sel:DWORD
	s_and_saveexec_b64 s[4:5], s[6:7]
	s_cbranch_execz .LBB658_45
; %bb.40:                               ;   in Loop: Header=BB658_15 Depth=1
	v_cmp_ne_u16_sdwa s[10:11], v18, s13 src0_sel:BYTE_0 src1_sel:DWORD
	v_bfrev_b32_e32 v34, 1
	s_and_saveexec_b64 s[6:7], s[10:11]
	s_cbranch_execz .LBB658_44
; %bb.41:                               ;   in Loop: Header=BB658_15 Depth=1
	v_and_b32_e32 v20, 0x7f, v18
	v_cmp_ne_u32_e32 vcc, s14, v20
	v_mov_b32_e32 v34, 0x7f800001
	s_and_saveexec_b64 s[10:11], vcc
	s_cbranch_execz .LBB658_43
; %bb.42:                               ;   in Loop: Header=BB658_15 Depth=1
	v_and_b32_e32 v30, 7, v18
	v_ffbh_u32_e32 v34, v30
	v_min_u32_e32 v34, 32, v34
	v_subrev_u32_e32 v36, 28, v34
	v_lshlrev_b64 v[36:37], v36, v[18:19]
	v_lshrrev_b32_e32 v32, 3, v20
	v_sub_u32_e32 v34, 29, v34
	v_and_b32_e32 v36, 7, v36
	v_cmp_gt_u32_e32 vcc, 8, v20
	v_cndmask_b32_e32 v20, v32, v34, vcc
	v_cndmask_b32_e32 v30, v30, v36, vcc
	v_lshlrev_b32_e32 v32, 24, v18
	v_lshlrev_b32_e32 v30, 20, v30
	v_and_b32_e32 v32, 0x80000000, v32
	v_lshl_add_u32 v20, v20, 23, v33
	v_or3_b32 v34, v32, v20, v30
.LBB658_43:                             ;   in Loop: Header=BB658_15 Depth=1
	s_or_b64 exec, exec, s[10:11]
.LBB658_44:                             ;   in Loop: Header=BB658_15 Depth=1
	s_or_b64 exec, exec, s[6:7]
.LBB658_45:                             ;   in Loop: Header=BB658_15 Depth=1
	s_or_b64 exec, exec, s[4:5]
	v_lshrrev_b16_e32 v20, 8, v18
	v_cmp_ne_u16_e32 vcc, 0, v20
	v_mov_b32_e32 v30, 0
	v_mov_b32_e32 v36, 0
	s_and_saveexec_b64 s[4:5], vcc
	s_cbranch_execz .LBB658_51
; %bb.46:                               ;   in Loop: Header=BB658_15 Depth=1
	v_cmp_ne_u16_e32 vcc, s13, v20
	v_bfrev_b32_e32 v36, 1
	s_and_saveexec_b64 s[6:7], vcc
	s_cbranch_execz .LBB658_50
; %bb.47:                               ;   in Loop: Header=BB658_15 Depth=1
	v_and_b32_e32 v32, 0x7f, v20
	v_cmp_ne_u32_e32 vcc, s14, v32
	v_mov_b32_e32 v36, 0x7f800001
	s_and_saveexec_b64 s[10:11], vcc
	s_cbranch_execz .LBB658_49
; %bb.48:                               ;   in Loop: Header=BB658_15 Depth=1
	v_and_b32_e32 v38, 7, v20
	v_ffbh_u32_e32 v36, v38
	v_min_u32_e32 v42, 32, v36
	v_subrev_u32_e32 v36, 28, v42
	v_lshlrev_b64 v[36:37], v36, v[20:21]
	v_lshrrev_b32_e32 v40, 3, v32
	v_sub_u32_e32 v20, 29, v42
	v_and_b32_e32 v36, 7, v36
	v_cmp_gt_u32_e32 vcc, 8, v32
	v_cndmask_b32_e32 v20, v40, v20, vcc
	v_cndmask_b32_e32 v32, v38, v36, vcc
	v_lshlrev_b32_e32 v36, 16, v18
	v_lshlrev_b32_e32 v32, 20, v32
	v_and_b32_e32 v36, 0x80000000, v36
	v_lshl_add_u32 v20, v20, 23, v33
	v_or3_b32 v36, v36, v20, v32
.LBB658_49:                             ;   in Loop: Header=BB658_15 Depth=1
	s_or_b64 exec, exec, s[10:11]
.LBB658_50:                             ;   in Loop: Header=BB658_15 Depth=1
	s_or_b64 exec, exec, s[6:7]
.LBB658_51:                             ;   in Loop: Header=BB658_15 Depth=1
	s_or_b64 exec, exec, s[4:5]
	v_lshrrev_b32_e32 v20, 16, v18
	v_cmp_ne_u16_sdwa s[6:7], v20, v29 src0_sel:BYTE_0 src1_sel:DWORD
	s_and_saveexec_b64 s[4:5], s[6:7]
	s_cbranch_execz .LBB658_57
; %bb.52:                               ;   in Loop: Header=BB658_15 Depth=1
	v_cmp_ne_u16_sdwa s[10:11], v20, s13 src0_sel:BYTE_0 src1_sel:DWORD
	v_bfrev_b32_e32 v30, 1
	s_and_saveexec_b64 s[6:7], s[10:11]
	s_cbranch_execz .LBB658_56
; %bb.53:                               ;   in Loop: Header=BB658_15 Depth=1
	v_bfe_u32 v32, v18, 16, 7
	v_cmp_ne_u32_e32 vcc, s14, v32
	v_mov_b32_e32 v30, 0x7f800001
	s_and_saveexec_b64 s[10:11], vcc
	s_cbranch_execz .LBB658_55
; %bb.54:                               ;   in Loop: Header=BB658_15 Depth=1
	v_and_b32_e32 v30, 7, v20
	v_ffbh_u32_e32 v38, v30
	v_min_u32_e32 v38, 32, v38
	v_subrev_u32_e32 v40, 28, v38
	v_lshlrev_b64 v[42:43], v40, v[20:21]
	v_lshrrev_b32_e32 v37, 3, v32
	v_sub_u32_e32 v38, 29, v38
	v_and_b32_e32 v40, 7, v42
	v_cmp_gt_u32_e32 vcc, 8, v32
	v_cndmask_b32_e32 v32, v37, v38, vcc
	v_cndmask_b32_e32 v30, v30, v40, vcc
	v_lshlrev_b32_e32 v20, 24, v20
	v_lshlrev_b32_e32 v30, 20, v30
	v_and_b32_e32 v20, 0x80000000, v20
	v_lshl_add_u32 v32, v32, 23, v33
	v_or3_b32 v30, v20, v32, v30
.LBB658_55:                             ;   in Loop: Header=BB658_15 Depth=1
	s_or_b64 exec, exec, s[10:11]
.LBB658_56:                             ;   in Loop: Header=BB658_15 Depth=1
	s_or_b64 exec, exec, s[6:7]
.LBB658_57:                             ;   in Loop: Header=BB658_15 Depth=1
	s_or_b64 exec, exec, s[4:5]
	v_cmp_lt_u32_e32 vcc, s15, v18
	v_mov_b32_e32 v32, 0
	v_mov_b32_e32 v37, 0
	s_and_saveexec_b64 s[4:5], vcc
	s_cbranch_execz .LBB658_63
; %bb.58:                               ;   in Loop: Header=BB658_15 Depth=1
	v_lshrrev_b32_e32 v20, 24, v18
	v_cmp_ne_u32_e32 vcc, s13, v20
	v_bfrev_b32_e32 v37, 1
	s_and_saveexec_b64 s[6:7], vcc
	s_cbranch_execz .LBB658_62
; %bb.59:                               ;   in Loop: Header=BB658_15 Depth=1
	v_bfe_u32 v18, v18, 24, 7
	v_cmp_ne_u32_e32 vcc, s14, v18
	v_mov_b32_e32 v37, 0x7f800001
	s_and_saveexec_b64 s[10:11], vcc
	s_cbranch_execz .LBB658_61
; %bb.60:                               ;   in Loop: Header=BB658_15 Depth=1
	v_and_b32_e32 v37, 7, v20
	v_ffbh_u32_e32 v40, v37
	v_min_u32_e32 v40, 32, v40
	v_subrev_u32_e32 v42, 28, v40
	v_lshlrev_b64 v[42:43], v42, v[20:21]
	v_lshrrev_b32_e32 v38, 3, v18
	v_sub_u32_e32 v40, 29, v40
	v_and_b32_e32 v42, 7, v42
	v_cmp_gt_u32_e32 vcc, 8, v18
	v_cndmask_b32_e32 v18, v38, v40, vcc
	v_cndmask_b32_e32 v37, v37, v42, vcc
	v_lshlrev_b32_e32 v20, 24, v20
	v_lshlrev_b32_e32 v37, 20, v37
	v_and_b32_e32 v20, 0x80000000, v20
	v_lshl_add_u32 v18, v18, 23, v33
	v_or3_b32 v37, v20, v18, v37
.LBB658_61:                             ;   in Loop: Header=BB658_15 Depth=1
	s_or_b64 exec, exec, s[10:11]
.LBB658_62:                             ;   in Loop: Header=BB658_15 Depth=1
	s_or_b64 exec, exec, s[6:7]
.LBB658_63:                             ;   in Loop: Header=BB658_15 Depth=1
	s_or_b64 exec, exec, s[4:5]
	v_cvt_pkrtz_f16_f32 v18, v19, v23
	v_cvt_pkrtz_f16_f32 v19, v21, v35
	;; [unrolled: 1-line block ×4, first 2 shown]
	s_waitcnt vmcnt(1)
	v_cmp_ne_u16_sdwa s[6:7], v28, v29 src0_sel:BYTE_0 src1_sel:DWORD
	v_mfma_f32_16x16x16f16 v[18:21], v[18:19], v[2:3], 0
	v_mfma_f32_16x16x16f16 v[18:21], v[34:35], v[4:5], v[18:21]
	s_and_saveexec_b64 s[4:5], s[6:7]
	s_cbranch_execz .LBB658_69
; %bb.64:                               ;   in Loop: Header=BB658_15 Depth=1
	v_cmp_ne_u16_sdwa s[10:11], v28, s13 src0_sel:BYTE_0 src1_sel:DWORD
	v_bfrev_b32_e32 v32, 1
	s_and_saveexec_b64 s[6:7], s[10:11]
	s_cbranch_execz .LBB658_68
; %bb.65:                               ;   in Loop: Header=BB658_15 Depth=1
	v_and_b32_e32 v23, 0x7f, v28
	v_cmp_ne_u32_e32 vcc, s14, v23
	v_mov_b32_e32 v32, 0x7f800001
	s_and_saveexec_b64 s[10:11], vcc
	s_cbranch_execz .LBB658_67
; %bb.66:                               ;   in Loop: Header=BB658_15 Depth=1
	v_and_b32_e32 v30, 7, v28
	v_ffbh_u32_e32 v34, v30
	v_min_u32_e32 v36, 32, v34
	v_subrev_u32_e32 v34, 28, v36
	v_lshlrev_b64 v[34:35], v34, v[28:29]
	v_lshrrev_b32_e32 v32, 3, v23
	v_sub_u32_e32 v35, 29, v36
	v_and_b32_e32 v34, 7, v34
	v_cmp_gt_u32_e32 vcc, 8, v23
	v_cndmask_b32_e32 v23, v32, v35, vcc
	v_cndmask_b32_e32 v30, v30, v34, vcc
	v_lshlrev_b32_e32 v32, 24, v28
	v_lshlrev_b32_e32 v30, 20, v30
	v_and_b32_e32 v32, 0x80000000, v32
	v_lshl_add_u32 v23, v23, 23, v33
	v_or3_b32 v32, v32, v23, v30
.LBB658_67:                             ;   in Loop: Header=BB658_15 Depth=1
	s_or_b64 exec, exec, s[10:11]
.LBB658_68:                             ;   in Loop: Header=BB658_15 Depth=1
	s_or_b64 exec, exec, s[6:7]
.LBB658_69:                             ;   in Loop: Header=BB658_15 Depth=1
	s_or_b64 exec, exec, s[4:5]
	v_lshrrev_b16_e32 v30, 8, v28
	v_cmp_ne_u16_e32 vcc, 0, v30
	v_mov_b32_e32 v34, 0
	v_mov_b32_e32 v35, 0
	s_and_saveexec_b64 s[4:5], vcc
	s_cbranch_execz .LBB658_75
; %bb.70:                               ;   in Loop: Header=BB658_15 Depth=1
	v_cmp_ne_u16_e32 vcc, s13, v30
	v_bfrev_b32_e32 v35, 1
	s_and_saveexec_b64 s[6:7], vcc
	s_cbranch_execz .LBB658_74
; %bb.71:                               ;   in Loop: Header=BB658_15 Depth=1
	v_and_b32_e32 v23, 0x7f, v30
	v_cmp_ne_u32_e32 vcc, s14, v23
	v_mov_b32_e32 v35, 0x7f800001
	s_and_saveexec_b64 s[10:11], vcc
	s_cbranch_execz .LBB658_73
; %bb.72:                               ;   in Loop: Header=BB658_15 Depth=1
	v_and_b32_e32 v35, 7, v30
	v_ffbh_u32_e32 v36, v35
	v_min_u32_e32 v40, 32, v36
	v_subrev_u32_e32 v36, 28, v40
	v_lshlrev_b64 v[36:37], v36, v[30:31]
	v_lshrrev_b32_e32 v38, 3, v23
	v_sub_u32_e32 v30, 29, v40
	v_and_b32_e32 v36, 7, v36
	v_cmp_gt_u32_e32 vcc, 8, v23
	v_cndmask_b32_e32 v23, v38, v30, vcc
	v_cndmask_b32_e32 v30, v35, v36, vcc
	v_lshlrev_b32_e32 v35, 16, v28
	v_lshlrev_b32_e32 v30, 20, v30
	v_and_b32_e32 v35, 0x80000000, v35
	v_lshl_add_u32 v23, v23, 23, v33
	v_or3_b32 v35, v35, v23, v30
.LBB658_73:                             ;   in Loop: Header=BB658_15 Depth=1
	s_or_b64 exec, exec, s[10:11]
.LBB658_74:                             ;   in Loop: Header=BB658_15 Depth=1
	s_or_b64 exec, exec, s[6:7]
.LBB658_75:                             ;   in Loop: Header=BB658_15 Depth=1
	s_or_b64 exec, exec, s[4:5]
	v_lshrrev_b32_e32 v30, 16, v28
	v_cmp_ne_u16_sdwa s[6:7], v30, v29 src0_sel:BYTE_0 src1_sel:DWORD
	s_and_saveexec_b64 s[4:5], s[6:7]
	s_cbranch_execz .LBB658_81
; %bb.76:                               ;   in Loop: Header=BB658_15 Depth=1
	v_cmp_ne_u16_sdwa s[10:11], v30, s13 src0_sel:BYTE_0 src1_sel:DWORD
	v_bfrev_b32_e32 v34, 1
	s_and_saveexec_b64 s[6:7], s[10:11]
	s_cbranch_execz .LBB658_80
; %bb.77:                               ;   in Loop: Header=BB658_15 Depth=1
	v_bfe_u32 v23, v28, 16, 7
	v_cmp_ne_u32_e32 vcc, s14, v23
	v_mov_b32_e32 v34, 0x7f800001
	s_and_saveexec_b64 s[10:11], vcc
	s_cbranch_execz .LBB658_79
; %bb.78:                               ;   in Loop: Header=BB658_15 Depth=1
	v_and_b32_e32 v34, 7, v30
	v_ffbh_u32_e32 v36, v34
	v_min_u32_e32 v40, 32, v36
	v_subrev_u32_e32 v36, 28, v40
	v_lshlrev_b64 v[36:37], v36, v[30:31]
	v_lshrrev_b32_e32 v38, 3, v23
	v_sub_u32_e32 v37, 29, v40
	v_and_b32_e32 v36, 7, v36
	v_cmp_gt_u32_e32 vcc, 8, v23
	v_cndmask_b32_e32 v23, v38, v37, vcc
	v_cndmask_b32_e32 v34, v34, v36, vcc
	v_lshlrev_b32_e32 v30, 24, v30
	v_lshlrev_b32_e32 v34, 20, v34
	v_and_b32_e32 v30, 0x80000000, v30
	v_lshl_add_u32 v23, v23, 23, v33
	v_or3_b32 v34, v30, v23, v34
.LBB658_79:                             ;   in Loop: Header=BB658_15 Depth=1
	s_or_b64 exec, exec, s[10:11]
.LBB658_80:                             ;   in Loop: Header=BB658_15 Depth=1
	s_or_b64 exec, exec, s[6:7]
.LBB658_81:                             ;   in Loop: Header=BB658_15 Depth=1
	s_or_b64 exec, exec, s[4:5]
	v_cmp_lt_u32_e32 vcc, s15, v28
	v_mov_b32_e32 v36, 0
	v_mov_b32_e32 v37, 0
	s_and_saveexec_b64 s[4:5], vcc
	s_cbranch_execz .LBB658_87
; %bb.82:                               ;   in Loop: Header=BB658_15 Depth=1
	v_lshrrev_b32_e32 v30, 24, v28
	v_cmp_ne_u32_e32 vcc, s13, v30
	v_bfrev_b32_e32 v37, 1
	s_and_saveexec_b64 s[6:7], vcc
	s_cbranch_execz .LBB658_86
; %bb.83:                               ;   in Loop: Header=BB658_15 Depth=1
	v_bfe_u32 v23, v28, 24, 7
	v_cmp_ne_u32_e32 vcc, s14, v23
	v_mov_b32_e32 v37, 0x7f800001
	s_and_saveexec_b64 s[10:11], vcc
	s_cbranch_execz .LBB658_85
; %bb.84:                               ;   in Loop: Header=BB658_15 Depth=1
	v_and_b32_e32 v28, 7, v30
	v_ffbh_u32_e32 v38, v28
	v_min_u32_e32 v38, 32, v38
	v_subrev_u32_e32 v40, 28, v38
	v_lshlrev_b64 v[42:43], v40, v[30:31]
	v_lshrrev_b32_e32 v37, 3, v23
	v_sub_u32_e32 v38, 29, v38
	v_and_b32_e32 v40, 7, v42
	v_cmp_gt_u32_e32 vcc, 8, v23
	v_cndmask_b32_e32 v23, v37, v38, vcc
	v_cndmask_b32_e32 v28, v28, v40, vcc
	v_lshlrev_b32_e32 v30, 24, v30
	v_lshlrev_b32_e32 v28, 20, v28
	v_and_b32_e32 v30, 0x80000000, v30
	v_lshl_add_u32 v23, v23, 23, v33
	v_or3_b32 v37, v30, v23, v28
.LBB658_85:                             ;   in Loop: Header=BB658_15 Depth=1
	s_or_b64 exec, exec, s[10:11]
.LBB658_86:                             ;   in Loop: Header=BB658_15 Depth=1
	s_or_b64 exec, exec, s[6:7]
.LBB658_87:                             ;   in Loop: Header=BB658_15 Depth=1
	s_or_b64 exec, exec, s[4:5]
	s_waitcnt vmcnt(0)
	v_cmp_ne_u16_sdwa s[6:7], v26, v29 src0_sel:BYTE_0 src1_sel:DWORD
	s_and_saveexec_b64 s[4:5], s[6:7]
	s_cbranch_execz .LBB658_93
; %bb.88:                               ;   in Loop: Header=BB658_15 Depth=1
	v_cmp_ne_u16_sdwa s[10:11], v26, s13 src0_sel:BYTE_0 src1_sel:DWORD
	v_bfrev_b32_e32 v36, 1
	s_and_saveexec_b64 s[6:7], s[10:11]
	s_cbranch_execz .LBB658_92
; %bb.89:                               ;   in Loop: Header=BB658_15 Depth=1
	v_and_b32_e32 v23, 0x7f, v26
	v_cmp_ne_u32_e32 vcc, s14, v23
	v_mov_b32_e32 v36, 0x7f800001
	s_and_saveexec_b64 s[10:11], vcc
	s_cbranch_execz .LBB658_91
; %bb.90:                               ;   in Loop: Header=BB658_15 Depth=1
	v_and_b32_e32 v28, 7, v26
	v_ffbh_u32_e32 v36, v28
	v_min_u32_e32 v36, 32, v36
	v_subrev_u32_e32 v38, 28, v36
	v_lshlrev_b64 v[42:43], v38, v[26:27]
	v_lshrrev_b32_e32 v30, 3, v23
	v_sub_u32_e32 v36, 29, v36
	v_and_b32_e32 v38, 7, v42
	v_cmp_gt_u32_e32 vcc, 8, v23
	v_cndmask_b32_e32 v23, v30, v36, vcc
	v_cndmask_b32_e32 v28, v28, v38, vcc
	v_lshlrev_b32_e32 v30, 24, v26
	v_lshlrev_b32_e32 v28, 20, v28
	v_and_b32_e32 v30, 0x80000000, v30
	v_lshl_add_u32 v23, v23, 23, v33
	v_or3_b32 v36, v30, v23, v28
.LBB658_91:                             ;   in Loop: Header=BB658_15 Depth=1
	s_or_b64 exec, exec, s[10:11]
.LBB658_92:                             ;   in Loop: Header=BB658_15 Depth=1
	s_or_b64 exec, exec, s[6:7]
.LBB658_93:                             ;   in Loop: Header=BB658_15 Depth=1
	s_or_b64 exec, exec, s[4:5]
	v_lshrrev_b16_e32 v28, 8, v26
	v_cmp_ne_u16_e32 vcc, 0, v28
	v_mov_b32_e32 v38, 0
	v_mov_b32_e32 v40, 0
	s_and_saveexec_b64 s[4:5], vcc
	s_cbranch_execz .LBB658_99
; %bb.94:                               ;   in Loop: Header=BB658_15 Depth=1
	v_cmp_ne_u16_e32 vcc, s13, v28
	v_bfrev_b32_e32 v40, 1
	s_and_saveexec_b64 s[6:7], vcc
	s_cbranch_execz .LBB658_98
; %bb.95:                               ;   in Loop: Header=BB658_15 Depth=1
	v_and_b32_e32 v23, 0x7f, v28
	v_cmp_ne_u32_e32 vcc, s14, v23
	v_mov_b32_e32 v40, 0x7f800001
	s_and_saveexec_b64 s[10:11], vcc
	s_cbranch_execz .LBB658_97
; %bb.96:                               ;   in Loop: Header=BB658_15 Depth=1
	v_and_b32_e32 v30, 7, v28
	v_ffbh_u32_e32 v42, v30
	v_min_u32_e32 v44, 32, v42
	v_subrev_u32_e32 v42, 28, v44
	v_lshlrev_b64 v[42:43], v42, v[28:29]
	v_lshrrev_b32_e32 v40, 3, v23
	v_sub_u32_e32 v28, 29, v44
	v_and_b32_e32 v42, 7, v42
	v_cmp_gt_u32_e32 vcc, 8, v23
	v_cndmask_b32_e32 v23, v40, v28, vcc
	v_cndmask_b32_e32 v28, v30, v42, vcc
	v_lshlrev_b32_e32 v30, 16, v26
	v_lshlrev_b32_e32 v28, 20, v28
	v_and_b32_e32 v30, 0x80000000, v30
	v_lshl_add_u32 v23, v23, 23, v33
	v_or3_b32 v40, v30, v23, v28
.LBB658_97:                             ;   in Loop: Header=BB658_15 Depth=1
	s_or_b64 exec, exec, s[10:11]
.LBB658_98:                             ;   in Loop: Header=BB658_15 Depth=1
	s_or_b64 exec, exec, s[6:7]
.LBB658_99:                             ;   in Loop: Header=BB658_15 Depth=1
	s_or_b64 exec, exec, s[4:5]
	v_lshrrev_b32_e32 v28, 16, v26
	v_cmp_ne_u16_sdwa s[6:7], v28, v29 src0_sel:BYTE_0 src1_sel:DWORD
	s_and_saveexec_b64 s[4:5], s[6:7]
	s_cbranch_execz .LBB658_105
; %bb.100:                              ;   in Loop: Header=BB658_15 Depth=1
	v_cmp_ne_u16_sdwa s[10:11], v28, s13 src0_sel:BYTE_0 src1_sel:DWORD
	v_bfrev_b32_e32 v38, 1
	s_and_saveexec_b64 s[6:7], s[10:11]
	s_cbranch_execz .LBB658_104
; %bb.101:                              ;   in Loop: Header=BB658_15 Depth=1
	v_bfe_u32 v23, v26, 16, 7
	v_cmp_ne_u32_e32 vcc, s14, v23
	v_mov_b32_e32 v38, 0x7f800001
	s_and_saveexec_b64 s[10:11], vcc
	s_cbranch_execz .LBB658_103
; %bb.102:                              ;   in Loop: Header=BB658_15 Depth=1
	v_and_b32_e32 v30, 7, v28
	v_ffbh_u32_e32 v42, v30
	v_min_u32_e32 v44, 32, v42
	v_subrev_u32_e32 v42, 28, v44
	v_lshlrev_b64 v[42:43], v42, v[28:29]
	v_lshrrev_b32_e32 v38, 3, v23
	v_sub_u32_e32 v43, 29, v44
	v_and_b32_e32 v42, 7, v42
	v_cmp_gt_u32_e32 vcc, 8, v23
	v_cndmask_b32_e32 v23, v38, v43, vcc
	v_cndmask_b32_e32 v30, v30, v42, vcc
	v_lshlrev_b32_e32 v28, 24, v28
	v_lshlrev_b32_e32 v30, 20, v30
	v_and_b32_e32 v28, 0x80000000, v28
	v_lshl_add_u32 v23, v23, 23, v33
	v_or3_b32 v38, v28, v23, v30
.LBB658_103:                            ;   in Loop: Header=BB658_15 Depth=1
	s_or_b64 exec, exec, s[10:11]
.LBB658_104:                            ;   in Loop: Header=BB658_15 Depth=1
	s_or_b64 exec, exec, s[6:7]
.LBB658_105:                            ;   in Loop: Header=BB658_15 Depth=1
	s_or_b64 exec, exec, s[4:5]
	v_cmp_lt_u32_e32 vcc, s15, v26
	v_mov_b32_e32 v23, 0
	v_mov_b32_e32 v42, 0
	s_and_saveexec_b64 s[4:5], vcc
	s_cbranch_execz .LBB658_111
; %bb.106:                              ;   in Loop: Header=BB658_15 Depth=1
	v_lshrrev_b32_e32 v28, 24, v26
	v_cmp_ne_u32_e32 vcc, s13, v28
	v_bfrev_b32_e32 v42, 1
	s_and_saveexec_b64 s[6:7], vcc
	s_cbranch_execz .LBB658_110
; %bb.107:                              ;   in Loop: Header=BB658_15 Depth=1
	v_bfe_u32 v26, v26, 24, 7
	v_cmp_ne_u32_e32 vcc, s14, v26
	v_mov_b32_e32 v42, 0x7f800001
	s_and_saveexec_b64 s[10:11], vcc
	s_cbranch_execz .LBB658_109
; %bb.108:                              ;   in Loop: Header=BB658_15 Depth=1
	v_and_b32_e32 v30, 7, v28
	v_ffbh_u32_e32 v42, v30
	v_min_u32_e32 v45, 32, v42
	v_subrev_u32_e32 v42, 28, v45
	v_lshlrev_b64 v[42:43], v42, v[28:29]
	v_lshrrev_b32_e32 v44, 3, v26
	v_sub_u32_e32 v43, 29, v45
	v_and_b32_e32 v42, 7, v42
	v_cmp_gt_u32_e32 vcc, 8, v26
	v_cndmask_b32_e32 v26, v44, v43, vcc
	v_cndmask_b32_e32 v30, v30, v42, vcc
	v_lshlrev_b32_e32 v28, 24, v28
	v_lshlrev_b32_e32 v30, 20, v30
	v_and_b32_e32 v28, 0x80000000, v28
	v_lshl_add_u32 v26, v26, 23, v33
	v_or3_b32 v42, v28, v26, v30
.LBB658_109:                            ;   in Loop: Header=BB658_15 Depth=1
	s_or_b64 exec, exec, s[10:11]
.LBB658_110:                            ;   in Loop: Header=BB658_15 Depth=1
	s_or_b64 exec, exec, s[6:7]
.LBB658_111:                            ;   in Loop: Header=BB658_15 Depth=1
	s_or_b64 exec, exec, s[4:5]
	v_cvt_pkrtz_f16_f32 v44, v32, v35
	buffer_load_dword v32, v27, s[0:3], 0 offen offset:16
	buffer_load_dword v30, v27, s[0:3], 0 offen offset:20
	;; [unrolled: 1-line block ×4, first 2 shown]
	v_cvt_pkrtz_f16_f32 v45, v34, v37
	v_cvt_pkrtz_f16_f32 v34, v36, v40
	;; [unrolled: 1-line block ×3, first 2 shown]
	v_mfma_f32_16x16x16f16 v[18:21], v[44:45], v[6:7], v[18:21]
	s_waitcnt vmcnt(3)
	v_cmp_ne_u16_sdwa s[6:7], v32, v29 src0_sel:BYTE_0 src1_sel:DWORD
	v_mfma_f32_16x16x16f16 v[18:21], v[34:35], v[8:9], v[18:21]
	s_and_saveexec_b64 s[4:5], s[6:7]
	s_cbranch_execz .LBB658_117
; %bb.112:                              ;   in Loop: Header=BB658_15 Depth=1
	v_cmp_ne_u16_sdwa s[10:11], v32, s13 src0_sel:BYTE_0 src1_sel:DWORD
	v_bfrev_b32_e32 v23, 1
	s_and_saveexec_b64 s[6:7], s[10:11]
	s_cbranch_execz .LBB658_116
; %bb.113:                              ;   in Loop: Header=BB658_15 Depth=1
	v_and_b32_e32 v34, 0x7f, v32
	v_cmp_ne_u32_e32 vcc, s14, v34
	v_mov_b32_e32 v23, 0x7f800001
	s_and_saveexec_b64 s[10:11], vcc
	s_cbranch_execz .LBB658_115
; %bb.114:                              ;   in Loop: Header=BB658_15 Depth=1
	v_and_b32_e32 v23, 7, v32
	v_ffbh_u32_e32 v36, v23
	v_min_u32_e32 v38, 32, v36
	v_subrev_u32_e32 v36, 28, v38
	v_lshlrev_b64 v[36:37], v36, v[32:33]
	v_lshrrev_b32_e32 v35, 3, v34
	v_sub_u32_e32 v37, 29, v38
	v_and_b32_e32 v36, 7, v36
	v_cmp_gt_u32_e32 vcc, 8, v34
	v_cndmask_b32_e32 v34, v35, v37, vcc
	v_cndmask_b32_e32 v23, v23, v36, vcc
	v_lshlrev_b32_e32 v35, 24, v32
	v_lshlrev_b32_e32 v23, 20, v23
	v_and_b32_e32 v35, 0x80000000, v35
	v_lshl_add_u32 v34, v34, 23, v33
	v_or3_b32 v23, v35, v34, v23
.LBB658_115:                            ;   in Loop: Header=BB658_15 Depth=1
	s_or_b64 exec, exec, s[10:11]
.LBB658_116:                            ;   in Loop: Header=BB658_15 Depth=1
	s_or_b64 exec, exec, s[6:7]
.LBB658_117:                            ;   in Loop: Header=BB658_15 Depth=1
	s_or_b64 exec, exec, s[4:5]
	v_lshrrev_b16_e32 v34, 8, v32
	v_cmp_ne_u16_e32 vcc, 0, v34
	v_mov_b32_e32 v35, 0
	v_mov_b32_e32 v36, 0
	s_and_saveexec_b64 s[4:5], vcc
	s_cbranch_execz .LBB658_123
; %bb.118:                              ;   in Loop: Header=BB658_15 Depth=1
	v_cmp_ne_u16_e32 vcc, s13, v34
	v_bfrev_b32_e32 v36, 1
	s_and_saveexec_b64 s[6:7], vcc
	s_cbranch_execz .LBB658_122
; %bb.119:                              ;   in Loop: Header=BB658_15 Depth=1
	v_and_b32_e32 v37, 0x7f, v34
	v_cmp_ne_u32_e32 vcc, s14, v37
	v_mov_b32_e32 v36, 0x7f800001
	s_and_saveexec_b64 s[10:11], vcc
	s_cbranch_execz .LBB658_121
; %bb.120:                              ;   in Loop: Header=BB658_15 Depth=1
	v_and_b32_e32 v36, 7, v34
	v_ffbh_u32_e32 v40, v36
	v_min_u32_e32 v40, 32, v40
	v_subrev_u32_e32 v42, 28, v40
	v_lshlrev_b64 v[42:43], v42, v[34:35]
	v_lshrrev_b32_e32 v38, 3, v37
	v_sub_u32_e32 v34, 29, v40
	v_and_b32_e32 v40, 7, v42
	v_cmp_gt_u32_e32 vcc, 8, v37
	v_cndmask_b32_e32 v34, v38, v34, vcc
	v_cndmask_b32_e32 v36, v36, v40, vcc
	v_lshlrev_b32_e32 v37, 16, v32
	v_lshlrev_b32_e32 v36, 20, v36
	v_and_b32_e32 v37, 0x80000000, v37
	v_lshl_add_u32 v34, v34, 23, v33
	v_or3_b32 v36, v37, v34, v36
.LBB658_121:                            ;   in Loop: Header=BB658_15 Depth=1
	s_or_b64 exec, exec, s[10:11]
.LBB658_122:                            ;   in Loop: Header=BB658_15 Depth=1
	s_or_b64 exec, exec, s[6:7]
.LBB658_123:                            ;   in Loop: Header=BB658_15 Depth=1
	s_or_b64 exec, exec, s[4:5]
	v_lshrrev_b32_e32 v34, 16, v32
	v_cmp_ne_u16_sdwa s[6:7], v34, v29 src0_sel:BYTE_0 src1_sel:DWORD
	s_and_saveexec_b64 s[4:5], s[6:7]
	s_cbranch_execz .LBB658_129
; %bb.124:                              ;   in Loop: Header=BB658_15 Depth=1
	v_cmp_ne_u16_sdwa s[10:11], v34, s13 src0_sel:BYTE_0 src1_sel:DWORD
	v_bfrev_b32_e32 v35, 1
	s_and_saveexec_b64 s[6:7], s[10:11]
	s_cbranch_execz .LBB658_128
; %bb.125:                              ;   in Loop: Header=BB658_15 Depth=1
	v_bfe_u32 v37, v32, 16, 7
	v_cmp_ne_u32_e32 vcc, s14, v37
	v_mov_b32_e32 v35, 0x7f800001
	s_and_saveexec_b64 s[10:11], vcc
	s_cbranch_execz .LBB658_127
; %bb.126:                              ;   in Loop: Header=BB658_15 Depth=1
	v_and_b32_e32 v35, 7, v34
	v_ffbh_u32_e32 v40, v35
	v_min_u32_e32 v40, 32, v40
	v_subrev_u32_e32 v42, 28, v40
	v_lshlrev_b64 v[42:43], v42, v[34:35]
	v_lshrrev_b32_e32 v38, 3, v37
	v_sub_u32_e32 v40, 29, v40
	v_and_b32_e32 v42, 7, v42
	v_cmp_gt_u32_e32 vcc, 8, v37
	v_cndmask_b32_e32 v37, v38, v40, vcc
	v_cndmask_b32_e32 v35, v35, v42, vcc
	v_lshlrev_b32_e32 v34, 24, v34
	v_lshlrev_b32_e32 v35, 20, v35
	v_and_b32_e32 v34, 0x80000000, v34
	v_lshl_add_u32 v37, v37, 23, v33
	v_or3_b32 v35, v34, v37, v35
.LBB658_127:                            ;   in Loop: Header=BB658_15 Depth=1
	s_or_b64 exec, exec, s[10:11]
.LBB658_128:                            ;   in Loop: Header=BB658_15 Depth=1
	s_or_b64 exec, exec, s[6:7]
.LBB658_129:                            ;   in Loop: Header=BB658_15 Depth=1
	s_or_b64 exec, exec, s[4:5]
	v_cmp_lt_u32_e32 vcc, s15, v32
	v_mov_b32_e32 v37, 0
	v_mov_b32_e32 v38, 0
	s_and_saveexec_b64 s[4:5], vcc
	s_cbranch_execz .LBB658_135
; %bb.130:                              ;   in Loop: Header=BB658_15 Depth=1
	v_lshrrev_b32_e32 v34, 24, v32
	v_cmp_ne_u32_e32 vcc, s13, v34
	v_bfrev_b32_e32 v38, 1
	s_and_saveexec_b64 s[6:7], vcc
	s_cbranch_execz .LBB658_134
; %bb.131:                              ;   in Loop: Header=BB658_15 Depth=1
	v_bfe_u32 v32, v32, 24, 7
	v_cmp_ne_u32_e32 vcc, s14, v32
	v_mov_b32_e32 v38, 0x7f800001
	s_and_saveexec_b64 s[10:11], vcc
	s_cbranch_execz .LBB658_133
; %bb.132:                              ;   in Loop: Header=BB658_15 Depth=1
	v_and_b32_e32 v38, 7, v34
	v_ffbh_u32_e32 v42, v38
	v_min_u32_e32 v44, 32, v42
	v_subrev_u32_e32 v42, 28, v44
	v_lshlrev_b64 v[42:43], v42, v[34:35]
	v_lshrrev_b32_e32 v40, 3, v32
	v_sub_u32_e32 v43, 29, v44
	v_and_b32_e32 v42, 7, v42
	v_cmp_gt_u32_e32 vcc, 8, v32
	v_cndmask_b32_e32 v32, v40, v43, vcc
	v_cndmask_b32_e32 v38, v38, v42, vcc
	v_lshlrev_b32_e32 v34, 24, v34
	v_lshlrev_b32_e32 v38, 20, v38
	v_and_b32_e32 v34, 0x80000000, v34
	v_lshl_add_u32 v32, v32, 23, v33
	v_or3_b32 v38, v34, v32, v38
.LBB658_133:                            ;   in Loop: Header=BB658_15 Depth=1
	s_or_b64 exec, exec, s[10:11]
.LBB658_134:                            ;   in Loop: Header=BB658_15 Depth=1
	s_or_b64 exec, exec, s[6:7]
.LBB658_135:                            ;   in Loop: Header=BB658_15 Depth=1
	s_or_b64 exec, exec, s[4:5]
	s_waitcnt vmcnt(2)
	v_cmp_ne_u16_sdwa s[6:7], v30, v29 src0_sel:BYTE_0 src1_sel:DWORD
	s_and_saveexec_b64 s[4:5], s[6:7]
	s_cbranch_execz .LBB658_141
; %bb.136:                              ;   in Loop: Header=BB658_15 Depth=1
	v_cmp_ne_u16_sdwa s[10:11], v30, s13 src0_sel:BYTE_0 src1_sel:DWORD
	v_bfrev_b32_e32 v37, 1
	s_and_saveexec_b64 s[6:7], s[10:11]
	s_cbranch_execz .LBB658_140
; %bb.137:                              ;   in Loop: Header=BB658_15 Depth=1
	v_and_b32_e32 v32, 0x7f, v30
	v_cmp_ne_u32_e32 vcc, s14, v32
	v_mov_b32_e32 v37, 0x7f800001
	s_and_saveexec_b64 s[10:11], vcc
	s_cbranch_execz .LBB658_139
; %bb.138:                              ;   in Loop: Header=BB658_15 Depth=1
	v_and_b32_e32 v34, 7, v30
	v_ffbh_u32_e32 v40, v34
	v_min_u32_e32 v40, 32, v40
	v_subrev_u32_e32 v42, 28, v40
	v_lshlrev_b64 v[42:43], v42, v[30:31]
	v_lshrrev_b32_e32 v37, 3, v32
	v_sub_u32_e32 v40, 29, v40
	v_and_b32_e32 v42, 7, v42
	v_cmp_gt_u32_e32 vcc, 8, v32
	v_cndmask_b32_e32 v32, v37, v40, vcc
	v_cndmask_b32_e32 v34, v34, v42, vcc
	v_lshlrev_b32_e32 v37, 24, v30
	v_lshlrev_b32_e32 v34, 20, v34
	v_and_b32_e32 v37, 0x80000000, v37
	v_lshl_add_u32 v32, v32, 23, v33
	v_or3_b32 v37, v37, v32, v34
.LBB658_139:                            ;   in Loop: Header=BB658_15 Depth=1
	s_or_b64 exec, exec, s[10:11]
.LBB658_140:                            ;   in Loop: Header=BB658_15 Depth=1
	s_or_b64 exec, exec, s[6:7]
.LBB658_141:                            ;   in Loop: Header=BB658_15 Depth=1
	s_or_b64 exec, exec, s[4:5]
	v_lshrrev_b16_e32 v32, 8, v30
	v_cmp_ne_u16_e32 vcc, 0, v32
	v_mov_b32_e32 v40, 0
	v_mov_b32_e32 v42, 0
	s_and_saveexec_b64 s[4:5], vcc
	s_cbranch_execz .LBB658_147
; %bb.142:                              ;   in Loop: Header=BB658_15 Depth=1
	v_cmp_ne_u16_e32 vcc, s13, v32
	v_bfrev_b32_e32 v42, 1
	s_and_saveexec_b64 s[6:7], vcc
	s_cbranch_execz .LBB658_146
; %bb.143:                              ;   in Loop: Header=BB658_15 Depth=1
	v_and_b32_e32 v34, 0x7f, v32
	v_cmp_ne_u32_e32 vcc, s14, v34
	v_mov_b32_e32 v42, 0x7f800001
	s_and_saveexec_b64 s[10:11], vcc
	s_cbranch_execz .LBB658_145
; %bb.144:                              ;   in Loop: Header=BB658_15 Depth=1
	v_and_b32_e32 v44, 7, v32
	v_ffbh_u32_e32 v42, v44
	v_min_u32_e32 v46, 32, v42
	v_subrev_u32_e32 v42, 28, v46
	v_lshlrev_b64 v[42:43], v42, v[32:33]
	v_lshrrev_b32_e32 v45, 3, v34
	v_sub_u32_e32 v32, 29, v46
	v_and_b32_e32 v42, 7, v42
	v_cmp_gt_u32_e32 vcc, 8, v34
	v_cndmask_b32_e32 v32, v45, v32, vcc
	v_cndmask_b32_e32 v34, v44, v42, vcc
	v_lshlrev_b32_e32 v42, 16, v30
	v_lshlrev_b32_e32 v34, 20, v34
	v_and_b32_e32 v42, 0x80000000, v42
	v_lshl_add_u32 v32, v32, 23, v33
	v_or3_b32 v42, v42, v32, v34
.LBB658_145:                            ;   in Loop: Header=BB658_15 Depth=1
	s_or_b64 exec, exec, s[10:11]
.LBB658_146:                            ;   in Loop: Header=BB658_15 Depth=1
	s_or_b64 exec, exec, s[6:7]
.LBB658_147:                            ;   in Loop: Header=BB658_15 Depth=1
	s_or_b64 exec, exec, s[4:5]
	v_lshrrev_b32_e32 v32, 16, v30
	v_cmp_ne_u16_sdwa s[6:7], v32, v29 src0_sel:BYTE_0 src1_sel:DWORD
	s_and_saveexec_b64 s[4:5], s[6:7]
	s_cbranch_execz .LBB658_153
; %bb.148:                              ;   in Loop: Header=BB658_15 Depth=1
	v_cmp_ne_u16_sdwa s[10:11], v32, s13 src0_sel:BYTE_0 src1_sel:DWORD
	v_bfrev_b32_e32 v40, 1
	s_and_saveexec_b64 s[6:7], s[10:11]
	s_cbranch_execz .LBB658_152
; %bb.149:                              ;   in Loop: Header=BB658_15 Depth=1
	v_bfe_u32 v34, v30, 16, 7
	v_cmp_ne_u32_e32 vcc, s14, v34
	v_mov_b32_e32 v40, 0x7f800001
	s_and_saveexec_b64 s[10:11], vcc
	s_cbranch_execz .LBB658_151
; %bb.150:                              ;   in Loop: Header=BB658_15 Depth=1
	v_and_b32_e32 v40, 7, v32
	v_ffbh_u32_e32 v44, v40
	v_min_u32_e32 v46, 32, v44
	v_subrev_u32_e32 v44, 28, v46
	v_lshlrev_b64 v[44:45], v44, v[32:33]
	v_lshrrev_b32_e32 v43, 3, v34
	v_sub_u32_e32 v45, 29, v46
	v_and_b32_e32 v44, 7, v44
	v_cmp_gt_u32_e32 vcc, 8, v34
	v_cndmask_b32_e32 v34, v43, v45, vcc
	v_cndmask_b32_e32 v40, v40, v44, vcc
	v_lshlrev_b32_e32 v32, 24, v32
	v_lshlrev_b32_e32 v40, 20, v40
	v_and_b32_e32 v32, 0x80000000, v32
	v_lshl_add_u32 v34, v34, 23, v33
	v_or3_b32 v40, v32, v34, v40
.LBB658_151:                            ;   in Loop: Header=BB658_15 Depth=1
	s_or_b64 exec, exec, s[10:11]
.LBB658_152:                            ;   in Loop: Header=BB658_15 Depth=1
	s_or_b64 exec, exec, s[6:7]
.LBB658_153:                            ;   in Loop: Header=BB658_15 Depth=1
	s_or_b64 exec, exec, s[4:5]
	v_cmp_lt_u32_e32 vcc, s15, v30
	v_mov_b32_e32 v34, 0
	v_mov_b32_e32 v43, 0
	s_and_saveexec_b64 s[4:5], vcc
	s_cbranch_execz .LBB658_159
; %bb.154:                              ;   in Loop: Header=BB658_15 Depth=1
	v_lshrrev_b32_e32 v32, 24, v30
	v_cmp_ne_u32_e32 vcc, s13, v32
	v_bfrev_b32_e32 v43, 1
	s_and_saveexec_b64 s[6:7], vcc
	s_cbranch_execz .LBB658_158
; %bb.155:                              ;   in Loop: Header=BB658_15 Depth=1
	v_bfe_u32 v30, v30, 24, 7
	v_cmp_ne_u32_e32 vcc, s14, v30
	v_mov_b32_e32 v43, 0x7f800001
	s_and_saveexec_b64 s[10:11], vcc
	s_cbranch_execz .LBB658_157
; %bb.156:                              ;   in Loop: Header=BB658_15 Depth=1
	v_and_b32_e32 v43, 7, v32
	v_ffbh_u32_e32 v44, v43
	v_min_u32_e32 v47, 32, v44
	v_subrev_u32_e32 v44, 28, v47
	v_lshlrev_b64 v[44:45], v44, v[32:33]
	v_lshrrev_b32_e32 v46, 3, v30
	v_sub_u32_e32 v45, 29, v47
	v_and_b32_e32 v44, 7, v44
	v_cmp_gt_u32_e32 vcc, 8, v30
	v_cndmask_b32_e32 v30, v46, v45, vcc
	v_cndmask_b32_e32 v43, v43, v44, vcc
	v_lshlrev_b32_e32 v32, 24, v32
	v_lshlrev_b32_e32 v43, 20, v43
	v_and_b32_e32 v32, 0x80000000, v32
	v_lshl_add_u32 v30, v30, 23, v33
	v_or3_b32 v43, v32, v30, v43
.LBB658_157:                            ;   in Loop: Header=BB658_15 Depth=1
	s_or_b64 exec, exec, s[10:11]
.LBB658_158:                            ;   in Loop: Header=BB658_15 Depth=1
	s_or_b64 exec, exec, s[6:7]
.LBB658_159:                            ;   in Loop: Header=BB658_15 Depth=1
	s_or_b64 exec, exec, s[4:5]
	v_cvt_pkrtz_f16_f32 v44, v23, v36
	v_cvt_pkrtz_f16_f32 v45, v35, v38
	;; [unrolled: 1-line block ×4, first 2 shown]
	s_waitcnt vmcnt(1)
	v_cmp_ne_u16_sdwa s[6:7], v28, v29 src0_sel:BYTE_0 src1_sel:DWORD
	v_mfma_f32_16x16x16f16 v[18:21], v[44:45], v[10:11], v[18:21]
	v_mfma_f32_16x16x16f16 v[18:21], v[36:37], v[12:13], v[18:21]
	s_and_saveexec_b64 s[4:5], s[6:7]
	s_cbranch_execz .LBB658_165
; %bb.160:                              ;   in Loop: Header=BB658_15 Depth=1
	v_cmp_ne_u16_sdwa s[10:11], v28, s13 src0_sel:BYTE_0 src1_sel:DWORD
	v_bfrev_b32_e32 v34, 1
	s_and_saveexec_b64 s[6:7], s[10:11]
	s_cbranch_execz .LBB658_164
; %bb.161:                              ;   in Loop: Header=BB658_15 Depth=1
	v_and_b32_e32 v23, 0x7f, v28
	v_cmp_ne_u32_e32 vcc, s14, v23
	v_mov_b32_e32 v34, 0x7f800001
	s_and_saveexec_b64 s[10:11], vcc
	s_cbranch_execz .LBB658_163
; %bb.162:                              ;   in Loop: Header=BB658_15 Depth=1
	v_and_b32_e32 v30, 7, v28
	v_ffbh_u32_e32 v34, v30
	v_min_u32_e32 v36, 32, v34
	v_subrev_u32_e32 v34, 28, v36
	v_lshlrev_b64 v[34:35], v34, v[28:29]
	v_lshrrev_b32_e32 v32, 3, v23
	v_sub_u32_e32 v35, 29, v36
	v_and_b32_e32 v34, 7, v34
	v_cmp_gt_u32_e32 vcc, 8, v23
	v_cndmask_b32_e32 v23, v32, v35, vcc
	v_cndmask_b32_e32 v30, v30, v34, vcc
	v_lshlrev_b32_e32 v32, 24, v28
	v_lshlrev_b32_e32 v30, 20, v30
	v_and_b32_e32 v32, 0x80000000, v32
	v_lshl_add_u32 v23, v23, 23, v33
	v_or3_b32 v34, v32, v23, v30
.LBB658_163:                            ;   in Loop: Header=BB658_15 Depth=1
	s_or_b64 exec, exec, s[10:11]
.LBB658_164:                            ;   in Loop: Header=BB658_15 Depth=1
	s_or_b64 exec, exec, s[6:7]
.LBB658_165:                            ;   in Loop: Header=BB658_15 Depth=1
	s_or_b64 exec, exec, s[4:5]
	v_lshrrev_b16_e32 v30, 8, v28
	v_cmp_ne_u16_e32 vcc, 0, v30
	v_mov_b32_e32 v23, 0
	v_mov_b32_e32 v32, 0
	s_and_saveexec_b64 s[4:5], vcc
	s_cbranch_execz .LBB658_171
; %bb.166:                              ;   in Loop: Header=BB658_15 Depth=1
	v_cmp_ne_u16_e32 vcc, s13, v30
	v_bfrev_b32_e32 v32, 1
	s_and_saveexec_b64 s[6:7], vcc
	s_cbranch_execz .LBB658_170
; %bb.167:                              ;   in Loop: Header=BB658_15 Depth=1
	v_and_b32_e32 v35, 0x7f, v30
	v_cmp_ne_u32_e32 vcc, s14, v35
	v_mov_b32_e32 v32, 0x7f800001
	s_and_saveexec_b64 s[10:11], vcc
	s_cbranch_execz .LBB658_169
; %bb.168:                              ;   in Loop: Header=BB658_15 Depth=1
	v_and_b32_e32 v32, 7, v30
	v_ffbh_u32_e32 v36, v32
	v_min_u32_e32 v40, 32, v36
	v_subrev_u32_e32 v36, 28, v40
	v_lshlrev_b64 v[36:37], v36, v[30:31]
	v_lshrrev_b32_e32 v38, 3, v35
	v_sub_u32_e32 v30, 29, v40
	v_and_b32_e32 v36, 7, v36
	v_cmp_gt_u32_e32 vcc, 8, v35
	v_cndmask_b32_e32 v30, v38, v30, vcc
	v_cndmask_b32_e32 v32, v32, v36, vcc
	v_lshlrev_b32_e32 v35, 16, v28
	v_lshlrev_b32_e32 v32, 20, v32
	v_and_b32_e32 v35, 0x80000000, v35
	v_lshl_add_u32 v30, v30, 23, v33
	v_or3_b32 v32, v35, v30, v32
.LBB658_169:                            ;   in Loop: Header=BB658_15 Depth=1
	s_or_b64 exec, exec, s[10:11]
.LBB658_170:                            ;   in Loop: Header=BB658_15 Depth=1
	s_or_b64 exec, exec, s[6:7]
.LBB658_171:                            ;   in Loop: Header=BB658_15 Depth=1
	s_or_b64 exec, exec, s[4:5]
	v_lshrrev_b32_e32 v30, 16, v28
	v_cmp_ne_u16_sdwa s[6:7], v30, v29 src0_sel:BYTE_0 src1_sel:DWORD
	s_and_saveexec_b64 s[4:5], s[6:7]
	s_cbranch_execz .LBB658_177
; %bb.172:                              ;   in Loop: Header=BB658_15 Depth=1
	v_cmp_ne_u16_sdwa s[10:11], v30, s13 src0_sel:BYTE_0 src1_sel:DWORD
	v_bfrev_b32_e32 v23, 1
	s_and_saveexec_b64 s[6:7], s[10:11]
	s_cbranch_execz .LBB658_176
; %bb.173:                              ;   in Loop: Header=BB658_15 Depth=1
	v_bfe_u32 v35, v28, 16, 7
	v_cmp_ne_u32_e32 vcc, s14, v35
	v_mov_b32_e32 v23, 0x7f800001
	s_and_saveexec_b64 s[10:11], vcc
	s_cbranch_execz .LBB658_175
; %bb.174:                              ;   in Loop: Header=BB658_15 Depth=1
	v_and_b32_e32 v23, 7, v30
	v_ffbh_u32_e32 v36, v23
	v_min_u32_e32 v40, 32, v36
	v_subrev_u32_e32 v36, 28, v40
	v_lshlrev_b64 v[36:37], v36, v[30:31]
	v_lshrrev_b32_e32 v38, 3, v35
	v_sub_u32_e32 v37, 29, v40
	v_and_b32_e32 v36, 7, v36
	v_cmp_gt_u32_e32 vcc, 8, v35
	v_cndmask_b32_e32 v35, v38, v37, vcc
	v_cndmask_b32_e32 v23, v23, v36, vcc
	v_lshlrev_b32_e32 v30, 24, v30
	v_lshlrev_b32_e32 v23, 20, v23
	v_and_b32_e32 v30, 0x80000000, v30
	v_lshl_add_u32 v35, v35, 23, v33
	v_or3_b32 v23, v30, v35, v23
.LBB658_175:                            ;   in Loop: Header=BB658_15 Depth=1
	s_or_b64 exec, exec, s[10:11]
.LBB658_176:                            ;   in Loop: Header=BB658_15 Depth=1
	s_or_b64 exec, exec, s[6:7]
.LBB658_177:                            ;   in Loop: Header=BB658_15 Depth=1
	s_or_b64 exec, exec, s[4:5]
	v_cmp_lt_u32_e32 vcc, s15, v28
	v_mov_b32_e32 v35, 0
	v_mov_b32_e32 v36, 0
	s_and_saveexec_b64 s[4:5], vcc
	s_cbranch_execz .LBB658_183
; %bb.178:                              ;   in Loop: Header=BB658_15 Depth=1
	v_lshrrev_b32_e32 v30, 24, v28
	v_cmp_ne_u32_e32 vcc, s13, v30
	v_bfrev_b32_e32 v36, 1
	s_and_saveexec_b64 s[6:7], vcc
	s_cbranch_execz .LBB658_182
; %bb.179:                              ;   in Loop: Header=BB658_15 Depth=1
	v_bfe_u32 v28, v28, 24, 7
	v_cmp_ne_u32_e32 vcc, s14, v28
	v_mov_b32_e32 v36, 0x7f800001
	s_and_saveexec_b64 s[10:11], vcc
	s_cbranch_execz .LBB658_181
; %bb.180:                              ;   in Loop: Header=BB658_15 Depth=1
	v_and_b32_e32 v38, 7, v30
	v_ffbh_u32_e32 v36, v38
	v_min_u32_e32 v42, 32, v36
	v_subrev_u32_e32 v36, 28, v42
	v_lshlrev_b64 v[36:37], v36, v[30:31]
	v_lshrrev_b32_e32 v40, 3, v28
	v_sub_u32_e32 v37, 29, v42
	v_and_b32_e32 v36, 7, v36
	v_cmp_gt_u32_e32 vcc, 8, v28
	v_cndmask_b32_e32 v28, v40, v37, vcc
	v_cndmask_b32_e32 v36, v38, v36, vcc
	v_lshlrev_b32_e32 v30, 24, v30
	v_lshlrev_b32_e32 v36, 20, v36
	v_and_b32_e32 v30, 0x80000000, v30
	v_lshl_add_u32 v28, v28, 23, v33
	v_or3_b32 v36, v30, v28, v36
.LBB658_181:                            ;   in Loop: Header=BB658_15 Depth=1
	s_or_b64 exec, exec, s[10:11]
.LBB658_182:                            ;   in Loop: Header=BB658_15 Depth=1
	s_or_b64 exec, exec, s[6:7]
.LBB658_183:                            ;   in Loop: Header=BB658_15 Depth=1
	s_or_b64 exec, exec, s[4:5]
	s_waitcnt vmcnt(0)
	v_cmp_ne_u16_sdwa s[6:7], v26, v29 src0_sel:BYTE_0 src1_sel:DWORD
	s_and_saveexec_b64 s[4:5], s[6:7]
	s_cbranch_execz .LBB658_189
; %bb.184:                              ;   in Loop: Header=BB658_15 Depth=1
	v_cmp_ne_u16_sdwa s[10:11], v26, s13 src0_sel:BYTE_0 src1_sel:DWORD
	v_bfrev_b32_e32 v35, 1
	s_and_saveexec_b64 s[6:7], s[10:11]
	s_cbranch_execz .LBB658_188
; %bb.185:                              ;   in Loop: Header=BB658_15 Depth=1
	v_and_b32_e32 v28, 0x7f, v26
	v_cmp_ne_u32_e32 vcc, s14, v28
	v_mov_b32_e32 v35, 0x7f800001
	s_and_saveexec_b64 s[10:11], vcc
	s_cbranch_execz .LBB658_187
; %bb.186:                              ;   in Loop: Header=BB658_15 Depth=1
	v_and_b32_e32 v30, 7, v26
	v_ffbh_u32_e32 v37, v30
	v_min_u32_e32 v37, 32, v37
	v_subrev_u32_e32 v38, 28, v37
	v_lshlrev_b64 v[42:43], v38, v[26:27]
	v_lshrrev_b32_e32 v35, 3, v28
	v_sub_u32_e32 v37, 29, v37
	v_and_b32_e32 v38, 7, v42
	v_cmp_gt_u32_e32 vcc, 8, v28
	v_cndmask_b32_e32 v28, v35, v37, vcc
	v_cndmask_b32_e32 v30, v30, v38, vcc
	v_lshlrev_b32_e32 v35, 24, v26
	v_lshlrev_b32_e32 v30, 20, v30
	v_and_b32_e32 v35, 0x80000000, v35
	v_lshl_add_u32 v28, v28, 23, v33
	v_or3_b32 v35, v35, v28, v30
.LBB658_187:                            ;   in Loop: Header=BB658_15 Depth=1
	s_or_b64 exec, exec, s[10:11]
.LBB658_188:                            ;   in Loop: Header=BB658_15 Depth=1
	s_or_b64 exec, exec, s[6:7]
.LBB658_189:                            ;   in Loop: Header=BB658_15 Depth=1
	s_or_b64 exec, exec, s[4:5]
	v_lshrrev_b16_e32 v28, 8, v26
	v_cmp_ne_u16_e32 vcc, 0, v28
	v_mov_b32_e32 v30, 0
	v_mov_b32_e32 v37, 0
	s_and_saveexec_b64 s[4:5], vcc
	s_cbranch_execz .LBB658_195
; %bb.190:                              ;   in Loop: Header=BB658_15 Depth=1
	v_cmp_ne_u16_e32 vcc, s13, v28
	v_bfrev_b32_e32 v37, 1
	s_and_saveexec_b64 s[6:7], vcc
	s_cbranch_execz .LBB658_194
; %bb.191:                              ;   in Loop: Header=BB658_15 Depth=1
	v_and_b32_e32 v38, 0x7f, v28
	v_cmp_ne_u32_e32 vcc, s14, v38
	v_mov_b32_e32 v37, 0x7f800001
	s_and_saveexec_b64 s[10:11], vcc
	s_cbranch_execz .LBB658_193
; %bb.192:                              ;   in Loop: Header=BB658_15 Depth=1
	v_and_b32_e32 v37, 7, v28
	v_ffbh_u32_e32 v42, v37
	v_min_u32_e32 v44, 32, v42
	v_subrev_u32_e32 v42, 28, v44
	v_lshlrev_b64 v[42:43], v42, v[28:29]
	v_lshrrev_b32_e32 v40, 3, v38
	v_sub_u32_e32 v28, 29, v44
	v_and_b32_e32 v42, 7, v42
	v_cmp_gt_u32_e32 vcc, 8, v38
	v_cndmask_b32_e32 v28, v40, v28, vcc
	v_cndmask_b32_e32 v37, v37, v42, vcc
	v_lshlrev_b32_e32 v38, 16, v26
	v_lshlrev_b32_e32 v37, 20, v37
	v_and_b32_e32 v38, 0x80000000, v38
	v_lshl_add_u32 v28, v28, 23, v33
	v_or3_b32 v37, v38, v28, v37
.LBB658_193:                            ;   in Loop: Header=BB658_15 Depth=1
	s_or_b64 exec, exec, s[10:11]
.LBB658_194:                            ;   in Loop: Header=BB658_15 Depth=1
	s_or_b64 exec, exec, s[6:7]
.LBB658_195:                            ;   in Loop: Header=BB658_15 Depth=1
	s_or_b64 exec, exec, s[4:5]
	v_lshrrev_b32_e32 v28, 16, v26
	v_cmp_ne_u16_sdwa s[6:7], v28, v29 src0_sel:BYTE_0 src1_sel:DWORD
	s_and_saveexec_b64 s[4:5], s[6:7]
	s_cbranch_execz .LBB658_201
; %bb.196:                              ;   in Loop: Header=BB658_15 Depth=1
	v_cmp_ne_u16_sdwa s[10:11], v28, s13 src0_sel:BYTE_0 src1_sel:DWORD
	v_bfrev_b32_e32 v30, 1
	s_and_saveexec_b64 s[6:7], s[10:11]
	s_cbranch_execz .LBB658_200
; %bb.197:                              ;   in Loop: Header=BB658_15 Depth=1
	v_bfe_u32 v38, v26, 16, 7
	v_cmp_ne_u32_e32 vcc, s14, v38
	v_mov_b32_e32 v30, 0x7f800001
	s_and_saveexec_b64 s[10:11], vcc
	s_cbranch_execz .LBB658_199
; %bb.198:                              ;   in Loop: Header=BB658_15 Depth=1
	v_and_b32_e32 v30, 7, v28
	v_ffbh_u32_e32 v42, v30
	v_min_u32_e32 v44, 32, v42
	v_subrev_u32_e32 v42, 28, v44
	v_lshlrev_b64 v[42:43], v42, v[28:29]
	v_lshrrev_b32_e32 v40, 3, v38
	v_sub_u32_e32 v43, 29, v44
	v_and_b32_e32 v42, 7, v42
	v_cmp_gt_u32_e32 vcc, 8, v38
	v_cndmask_b32_e32 v38, v40, v43, vcc
	v_cndmask_b32_e32 v30, v30, v42, vcc
	v_lshlrev_b32_e32 v28, 24, v28
	v_lshlrev_b32_e32 v30, 20, v30
	v_and_b32_e32 v28, 0x80000000, v28
	v_lshl_add_u32 v38, v38, 23, v33
	v_or3_b32 v30, v28, v38, v30
.LBB658_199:                            ;   in Loop: Header=BB658_15 Depth=1
	s_or_b64 exec, exec, s[10:11]
.LBB658_200:                            ;   in Loop: Header=BB658_15 Depth=1
	s_or_b64 exec, exec, s[6:7]
.LBB658_201:                            ;   in Loop: Header=BB658_15 Depth=1
	s_or_b64 exec, exec, s[4:5]
	v_cmp_lt_u32_e32 vcc, s15, v26
	v_mov_b32_e32 v38, 0
	s_and_saveexec_b64 s[4:5], vcc
	s_cbranch_execz .LBB658_14
; %bb.202:                              ;   in Loop: Header=BB658_15 Depth=1
	v_lshrrev_b32_e32 v28, 24, v26
	v_cmp_ne_u32_e32 vcc, s13, v28
	v_bfrev_b32_e32 v38, 1
	s_and_saveexec_b64 s[6:7], vcc
	s_cbranch_execz .LBB658_13
; %bb.203:                              ;   in Loop: Header=BB658_15 Depth=1
	v_bfe_u32 v26, v26, 24, 7
	v_cmp_ne_u32_e32 vcc, s14, v26
	v_mov_b32_e32 v38, 0x7f800001
	s_and_saveexec_b64 s[10:11], vcc
	s_cbranch_execz .LBB658_12
; %bb.204:                              ;   in Loop: Header=BB658_15 Depth=1
	v_and_b32_e32 v38, 7, v28
	v_ffbh_u32_e32 v42, v38
	v_min_u32_e32 v44, 32, v42
	v_subrev_u32_e32 v42, 28, v44
	v_lshlrev_b64 v[42:43], v42, v[28:29]
	v_lshrrev_b32_e32 v40, 3, v26
	v_sub_u32_e32 v43, 29, v44
	v_and_b32_e32 v42, 7, v42
	v_cmp_gt_u32_e32 vcc, 8, v26
	v_cndmask_b32_e32 v26, v40, v43, vcc
	v_cndmask_b32_e32 v38, v38, v42, vcc
	v_lshlrev_b32_e32 v28, 24, v28
	v_lshlrev_b32_e32 v38, 20, v38
	v_and_b32_e32 v28, 0x80000000, v28
	v_lshl_add_u32 v26, v26, 23, v33
	v_or3_b32 v38, v28, v26, v38
	s_branch .LBB658_12
.LBB658_205:
	buffer_load_dword v13, off, s[0:3], 0 offset:256
	buffer_load_dword v14, off, s[0:3], 0 offset:260
	;; [unrolled: 1-line block ×16, first 2 shown]
	v_and_b32_e32 v12, 0xc0, v0
	v_add_u32_e32 v12, s20, v12
	v_lshl_or_b32 v12, v1, 2, v12
	v_or_b32_e32 v23, 1, v12
	v_mov_b32_e32 v19, 0xff7fffff
	v_or_b32_e32 v24, 2, v12
	v_or_b32_e32 v25, 3, v12
	v_cmp_gt_i32_e64 s[26:27], s33, v12
	v_cmp_gt_i32_e64 s[28:29], s33, v23
	s_mov_b32 s52, 0xff7fffff
	v_or_b32_e32 v26, 16, v12
	v_or_b32_e32 v27, 17, v12
	;; [unrolled: 1-line block ×12, first 2 shown]
	v_cmp_gt_i32_e64 s[30:31], s33, v24
	v_cmp_gt_i32_e64 s[34:35], s33, v25
	v_mbcnt_lo_u32_b32 v20, -1, 0
	v_cmp_gt_i32_e64 s[36:37], s33, v26
	v_cmp_gt_i32_e64 s[38:39], s33, v27
	v_mbcnt_hi_u32_b32 v20, -1, v20
	v_cmp_gt_i32_e64 s[20:21], s33, v28
	v_cmp_gt_i32_e64 s[22:23], s33, v29
	v_and_b32_e32 v21, 64, v20
	v_cmp_gt_i32_e64 s[16:17], s33, v30
	v_cmp_gt_i32_e64 s[18:19], s33, v31
	v_xor_b32_e32 v22, 32, v20
	v_add_u32_e32 v21, 64, v21
	v_cmp_gt_i32_e64 s[12:13], s33, v32
	v_cmp_gt_i32_e64 s[14:15], s33, v33
	v_cmp_lt_i32_e32 vcc, v22, v21
	v_cmp_gt_i32_e64 s[6:7], s33, v34
	v_cmp_gt_i32_e64 s[10:11], s33, v35
	v_cndmask_b32_e32 v22, v20, v22, vcc
	v_cmp_gt_i32_e32 vcc, s33, v36
	v_cmp_gt_i32_e64 s[4:5], s33, v37
	v_lshlrev_b32_e32 v22, 2, v22
	s_waitcnt vmcnt(15)
	v_cndmask_b32_e64 v12, v19, v13, s[26:27]
	s_waitcnt vmcnt(14)
	v_cndmask_b32_e64 v23, v19, v14, s[28:29]
	;; [unrolled: 2-line block ×4, first 2 shown]
	v_max3_f32 v12, v12, s52, v23
	s_waitcnt vmcnt(11)
	v_cndmask_b32_e64 v26, v19, v17, s[36:37]
	s_waitcnt vmcnt(10)
	v_cndmask_b32_e64 v27, v19, v18, s[38:39]
	v_max3_f32 v12, v12, v24, v25
	s_waitcnt vmcnt(9)
	v_cndmask_b32_e64 v28, v19, v11, s[20:21]
	s_waitcnt vmcnt(8)
	v_cndmask_b32_e64 v29, v19, v10, s[22:23]
	;; [unrolled: 5-line block ×5, first 2 shown]
	v_max3_f32 v12, v12, v32, v33
	s_waitcnt vmcnt(1)
	v_cndmask_b32_e32 v36, v19, v3, vcc
	s_waitcnt vmcnt(0)
	v_cndmask_b32_e64 v19, v19, v2, s[4:5]
	v_max3_f32 v12, v12, v34, v35
	v_max3_f32 v12, v12, v36, v19
	ds_bpermute_b32 v19, v22, v12
	v_xor_b32_e32 v23, 16, v20
	v_cmp_lt_i32_e64 s[40:41], v23, v21
	v_cndmask_b32_e64 v20, v20, v23, s[40:41]
	v_lshlrev_b32_e32 v20, 2, v20
	s_waitcnt lgkmcnt(0)
	v_max_f32_e32 v19, v19, v19
	v_max_f32_e32 v12, v12, v19
	ds_bpermute_b32 v19, v20, v12
	s_waitcnt lgkmcnt(0)
	v_max_f32_e32 v19, v19, v19
	v_max_f32_e32 v12, v12, v19
	v_sub_f32_e32 v13, v13, v12
	v_sub_f32_e32 v14, v14, v12
	;; [unrolled: 1-line block ×3, first 2 shown]
	v_mul_f32_e32 v13, 0x3fb8aa3b, v13
	v_mul_f32_e32 v14, 0x3fb8aa3b, v14
	;; [unrolled: 1-line block ×3, first 2 shown]
	v_exp_f32_e32 v13, v13
	v_exp_f32_e32 v14, v14
	;; [unrolled: 1-line block ×3, first 2 shown]
	v_sub_f32_e32 v16, v16, v12
	v_cndmask_b32_e64 v13, 0, v13, s[26:27]
	v_mul_f32_e32 v16, 0x3fb8aa3b, v16
	v_cndmask_b32_e64 v14, 0, v14, s[28:29]
	v_cndmask_b32_e64 v15, 0, v15, s[30:31]
	v_add_f32_e32 v19, 0, v13
	buffer_store_dword v13, off, s[0:3], 0 offset:256
	buffer_store_dword v14, off, s[0:3], 0 offset:260
	;; [unrolled: 1-line block ×3, first 2 shown]
	v_sub_f32_e32 v13, v17, v12
	v_exp_f32_e32 v16, v16
	v_add_f32_e32 v19, v19, v14
	v_mul_f32_e32 v13, 0x3fb8aa3b, v13
	v_sub_f32_e32 v14, v18, v12
	v_exp_f32_e32 v13, v13
	v_mul_f32_e32 v14, 0x3fb8aa3b, v14
	v_sub_f32_e32 v11, v11, v12
	v_exp_f32_e32 v14, v14
	;; [unrolled: 3-line block ×3, first 2 shown]
	v_mul_f32_e32 v10, 0x3fb8aa3b, v10
	v_sub_f32_e32 v9, v9, v12
	v_cndmask_b32_e64 v16, 0, v16, s[34:35]
	v_add_f32_e32 v19, v19, v15
	v_exp_f32_e32 v10, v10
	v_mul_f32_e32 v9, 0x3fb8aa3b, v9
	v_sub_f32_e32 v8, v8, v12
	v_add_f32_e32 v19, v19, v16
	v_cndmask_b32_e64 v13, 0, v13, s[36:37]
	v_exp_f32_e32 v9, v9
	v_mul_f32_e32 v8, 0x3fb8aa3b, v8
	v_sub_f32_e32 v7, v7, v12
	v_add_f32_e32 v15, v19, v13
	v_cndmask_b32_e64 v14, 0, v14, s[38:39]
	;; [unrolled: 5-line block ×5, first 2 shown]
	v_exp_f32_e32 v5, v5
	v_mul_f32_e32 v4, 0x3fb8aa3b, v4
	v_sub_f32_e32 v3, v3, v12
	buffer_store_dword v16, off, s[0:3], 0 offset:268
	buffer_store_dword v13, off, s[0:3], 0 offset:272
	;; [unrolled: 1-line block ×5, first 2 shown]
	v_add_f32_e32 v10, v15, v9
	v_cndmask_b32_e64 v8, 0, v8, s[18:19]
	v_exp_f32_e32 v4, v4
	v_mul_f32_e32 v3, 0x3fb8aa3b, v3
	v_sub_f32_e32 v2, v2, v12
	v_add_f32_e32 v10, v10, v8
	v_cndmask_b32_e64 v7, 0, v7, s[12:13]
	v_exp_f32_e32 v3, v3
	v_mul_f32_e32 v2, 0x3fb8aa3b, v2
	v_add_f32_e32 v10, v10, v7
	v_cndmask_b32_e64 v6, 0, v6, s[14:15]
	v_exp_f32_e32 v2, v2
	v_add_f32_e32 v10, v10, v6
	v_cndmask_b32_e64 v5, 0, v5, s[6:7]
	buffer_store_dword v9, off, s[0:3], 0 offset:288
	buffer_store_dword v8, off, s[0:3], 0 offset:292
	;; [unrolled: 1-line block ×4, first 2 shown]
	v_add_f32_e32 v6, v10, v5
	v_cndmask_b32_e64 v4, 0, v4, s[10:11]
	v_add_f32_e32 v6, v6, v4
	v_cndmask_b32_e32 v3, 0, v3, vcc
	v_add_f32_e32 v6, v6, v3
	v_cndmask_b32_e64 v2, 0, v2, s[4:5]
	v_add_f32_e32 v6, v6, v2
	ds_bpermute_b32 v7, v22, v6
	buffer_store_dword v5, off, s[0:3], 0 offset:304
	buffer_store_dword v4, off, s[0:3], 0 offset:308
	;; [unrolled: 1-line block ×4, first 2 shown]
	v_cmp_gt_u32_e64 s[4:5], 16, v64
	s_waitcnt lgkmcnt(0)
	s_barrier
	v_add_f32_e32 v2, v6, v7
	ds_bpermute_b32 v3, v20, v2
	s_waitcnt lgkmcnt(0)
	s_and_saveexec_b64 s[6:7], s[4:5]
	s_cbranch_execz .LBB658_207
; %bb.206:
	v_add_f32_e32 v2, v2, v3
	v_lshlrev_b32_e32 v3, 2, v63
	ds_write2st64_b32 v3, v12, v2 offset1:1
.LBB658_207:
	s_or_b64 exec, exec, s[6:7]
	v_lshlrev_b32_e32 v2, 2, v55
	s_waitcnt lgkmcnt(0)
	s_barrier
	ds_read2_b32 v[12:13], v2 offset1:16
	ds_read2_b32 v[14:15], v2 offset0:32 offset1:48
	ds_read2_b32 v[6:7], v2 offset0:64 offset1:80
	;; [unrolled: 1-line block ×3, first 2 shown]
	s_waitcnt lgkmcnt(0)
	s_barrier
	buffer_load_dword v20, off, s[0:3], 0 offset:256
	buffer_load_dword v21, off, s[0:3], 0 offset:260
	;; [unrolled: 1-line block ×16, first 2 shown]
	v_lshlrev_b32_e32 v19, 3, v1
	v_lshlrev_b32_e32 v18, 5, v55
	v_lshlrev_b32_e32 v28, 11, v62
	v_or3_b32 v43, v28, v18, v19
	v_max3_f32 v19, v12, s52, v13
	v_max3_f32 v19, v19, v14, v15
	v_sub_f32_e32 v12, v12, v19
	v_sub_f32_e32 v13, v13, v19
	v_mul_f32_e32 v12, 0x3fb8aa3b, v12
	v_sub_f32_e32 v14, v14, v19
	v_mul_f32_e32 v13, 0x3fb8aa3b, v13
	v_exp_f32_e32 v12, v12
	v_sub_f32_e32 v15, v15, v19
	v_mul_f32_e32 v14, 0x3fb8aa3b, v14
	v_exp_f32_e32 v13, v13
	v_mul_f32_e32 v15, 0x3fb8aa3b, v15
	v_exp_f32_e32 v14, v14
	v_exp_f32_e32 v15, v15
	v_fma_f32 v6, v12, v6, 0
	v_fmac_f32_e32 v6, v13, v7
	v_fmac_f32_e32 v6, v14, v10
	;; [unrolled: 1-line block ×3, first 2 shown]
	v_cmp_eq_u32_e32 vcc, 1, v62
	v_add_f32_e32 v10, 0x358637bd, v6
	v_cndmask_b32_e32 v12, v12, v13, vcc
	v_cmp_eq_u32_e32 vcc, 2, v62
	v_div_scale_f32 v11, s[6:7], v10, v10, 1.0
	v_cndmask_b32_e32 v7, v12, v14, vcc
	v_rcp_f32_e32 v12, v11
	v_cmp_eq_u32_e32 vcc, 3, v62
	v_cndmask_b32_e32 v7, v7, v15, vcc
	v_div_scale_f32 v13, vcc, 1.0, v10, 1.0
	v_fma_f32 v14, -v11, v12, 1.0
	v_fmac_f32_e32 v12, v14, v12
	v_mul_f32_e32 v14, v13, v12
	v_fma_f32 v15, -v11, v14, v13
	v_fmac_f32_e32 v14, v15, v12
	v_fma_f32 v11, -v11, v14, v13
	v_div_fmas_f32 v11, v11, v12, v14
	v_div_fixup_f32 v10, v11, v10, 1.0
	v_mul_f32_e32 v10, v7, v10
	s_mul_i32 s20, s51, 5
	v_cmp_gt_u32_e32 vcc, 5, v0
	s_waitcnt vmcnt(14)
	v_pk_mul_f32 v[14:15], v[10:11], v[20:21] op_sel_hi:[0,1]
	v_cvt_f16_f32_e32 v7, v14
	s_waitcnt vmcnt(12)
	v_pk_mul_f32 v[12:13], v[10:11], v[22:23] op_sel_hi:[0,1]
	buffer_store_dword v14, off, s[0:3], 0 offset:256
	buffer_store_dword v15, off, s[0:3], 0 offset:260
	;; [unrolled: 1-line block ×3, first 2 shown]
	s_waitcnt vmcnt(13)
	v_pk_mul_f32 v[20:21], v[10:11], v[24:25] op_sel_hi:[0,1]
	v_cvt_f16_f32_e32 v14, v12
	s_waitcnt vmcnt(11)
	v_pk_mul_f32 v[22:23], v[10:11], v[26:27] op_sel_hi:[0,1]
	v_cvt_f16_f32_e32 v11, v15
	v_cvt_f16_f32_e32 v15, v13
	buffer_store_dword v13, off, s[0:3], 0 offset:268
	buffer_store_dword v22, off, s[0:3], 0 offset:272
	;; [unrolled: 1-line block ×3, first 2 shown]
	v_pack_b32_f16 v12, v7, v11
	v_cvt_f16_f32_e32 v11, v23
	v_pack_b32_f16 v13, v14, v15
	v_cvt_f16_f32_e32 v7, v22
	v_cvt_f16_f32_e32 v15, v20
	;; [unrolled: 1-line block ×3, first 2 shown]
	s_waitcnt vmcnt(12)
	v_pk_mul_f32 v[4:5], v[10:11], v[4:5] op_sel_hi:[0,1]
	v_pack_b32_f16 v14, v7, v11
	s_waitcnt vmcnt(10)
	v_pk_mul_f32 v[2:3], v[10:11], v[2:3] op_sel_hi:[0,1]
	v_pack_b32_f16 v15, v15, v22
	v_cvt_f16_f32_e32 v11, v5
	buffer_store_dword v20, off, s[0:3], 0 offset:280
	buffer_store_dword v21, off, s[0:3], 0 offset:284
	ds_write2st64_b64 v43, v[12:13], v[14:15] offset1:1
	buffer_store_dword v2, off, s[0:3], 0 offset:288
	buffer_store_dword v3, off, s[0:3], 0 offset:292
	v_cvt_f16_f32_e32 v2, v2
	v_cvt_f16_f32_e32 v3, v3
	;; [unrolled: 1-line block ×3, first 2 shown]
	buffer_store_dword v4, off, s[0:3], 0 offset:296
	buffer_store_dword v5, off, s[0:3], 0 offset:300
	s_waitcnt vmcnt(12)
	v_pk_mul_f32 v[4:5], v[10:11], v[16:17] op_sel_hi:[0,1]
	v_pk_mul_f32 v[8:9], v[10:11], v[8:9] op_sel_hi:[0,1]
	v_pack_b32_f16 v2, v2, v3
	v_pack_b32_f16 v3, v7, v11
	buffer_store_dword v8, off, s[0:3], 0 offset:304
	buffer_store_dword v9, off, s[0:3], 0 offset:308
	v_cvt_f16_f32_e32 v7, v8
	v_cvt_f16_f32_e32 v8, v9
	;; [unrolled: 1-line block ×4, first 2 shown]
	buffer_store_dword v4, off, s[0:3], 0 offset:312
	buffer_store_dword v5, off, s[0:3], 0 offset:316
	v_pack_b32_f16 v4, v7, v8
	v_pack_b32_f16 v5, v9, v10
	ds_write2st64_b64 v43, v[2:3], v[4:5] offset0:2 offset1:3
	s_and_saveexec_b64 s[6:7], vcc
	s_cbranch_execz .LBB658_209
; %bb.208:
	v_add_co_u32_e32 v4, vcc, s25, v55
	v_addc_co_u32_e64 v5, s[10:11], 0, 0, vcc
	v_mov_b32_e32 v2, s20
	v_mov_b32_e32 v3, 0
	v_mad_u64_u32 v[4:5], s[10:11], s8, v2, v[4:5]
	v_mov_b32_e32 v2, s24
	s_mul_i32 s9, s9, s20
	v_mad_u64_u32 v[2:3], s[10:11], v4, s50, v[2:3]
	v_add_u32_e32 v5, s9, v5
	v_mov_b32_e32 v4, v3
	v_mad_u64_u32 v[4:5], s[10:11], v5, s50, v[4:5]
	v_mov_b32_e32 v3, v4
	v_lshlrev_b64 v[2:3], 2, v[2:3]
	v_mov_b32_e32 v5, s47
	v_add_co_u32_e32 v4, vcc, s46, v2
	v_addc_co_u32_e32 v5, vcc, v5, v3, vcc
	global_store_dword v[4:5], v19, off
	v_mov_b32_e32 v4, s45
	v_add_co_u32_e32 v2, vcc, s44, v2
	v_addc_co_u32_e32 v3, vcc, v4, v3, vcc
	global_store_dword v[2:3], v6, off
.LBB658_209:
	s_or_b64 exec, exec, s[6:7]
	v_lshl_or_b32 v30, v1, 9, v18
	s_waitcnt lgkmcnt(0)
	s_barrier
	s_load_dword s6, s[42:43], 0x0
	ds_read_b128 v[2:5], v30
	ds_read_b128 v[6:9], v30 offset:16
	ds_read_b128 v[10:13], v30 offset:2048
	;; [unrolled: 1-line block ×7, first 2 shown]
	v_mov_b32_e32 v35, 0x80
	v_mov_b32_e32 v45, 0x140
	s_mov_b64 s[12:13], -1
	s_waitcnt lgkmcnt(0)
	s_mov_b32 s7, s6
	s_mov_b32 s10, s6
	;; [unrolled: 1-line block ×3, first 2 shown]
	s_movk_i32 s9, 0x80
	s_movk_i32 s21, 0x7f
	s_mov_b32 s22, 0xffffff
	v_mov_b32_e32 v47, 0
	v_bfrev_b32_e32 v48, 60
	s_branch .LBB658_213
.LBB658_210:                            ;   in Loop: Header=BB658_213 Depth=1
	s_or_b64 exec, exec, s[18:19]
.LBB658_211:                            ;   in Loop: Header=BB658_213 Depth=1
	s_or_b64 exec, exec, s[16:17]
.LBB658_212:                            ;   in Loop: Header=BB658_213 Depth=1
	s_or_b64 exec, exec, s[14:15]
	v_cvt_pkrtz_f16_f32 v60, v46, v49
	v_cvt_pkrtz_f16_f32 v61, v44, v51
	s_xor_b64 s[14:15], s[12:13], -1
	s_mov_b64 s[12:13], 0
	v_mov_b32_e32 v59, v58
	v_mfma_f32_16x16x16f16 v[62:65], v[60:61], v[30:31], v[34:37]
	v_mov_b32_e32 v61, v39
	v_mov_b32_e32 v60, v41
	s_and_b64 vcc, exec, s[14:15]
	s_nop 3
	v_cvt_pkrtz_f16_f32 v36, v50, v52
	v_cvt_pkrtz_f16_f32 v37, v42, v53
	v_mov_b32_e32 v35, v57
	s_nop 0
	v_mfma_f32_16x16x16f16 v[50:53], v[36:37], v[32:33], v[62:65]
	s_nop 7
	s_nop 2
	v_pk_mul_f32 v[50:51], v[50:51], s[6:7]
	v_pk_mul_f32 v[36:37], v[52:53], s[10:11]
	v_cvt_f16_f32_e32 v34, v50
	v_cvt_f16_f32_e32 v38, v51
	;; [unrolled: 1-line block ×4, first 2 shown]
	v_pack_b32_f16 v34, v34, v38
	v_pack_b32_f16 v36, v36, v37
	buffer_store_dword v34, v45, s[0:3], 0 offen
	buffer_store_dword v36, v45, s[0:3], 0 offen offset:4
	v_mov_b32_e32 v45, 0x148
	s_cbranch_vccnz .LBB658_595
.LBB658_213:                            ; =>This Inner Loop Header: Depth=1
	buffer_load_dword v36, v35, s[0:3], 0 offen
	buffer_load_dword v34, v35, s[0:3], 0 offen offset:4
	buffer_load_dword v40, v35, s[0:3], 0 offen offset:8
	buffer_load_dword v38, v35, s[0:3], 0 offen offset:12
	v_mov_b32_e32 v35, 0
	s_waitcnt vmcnt(3)
	v_cmp_ne_u16_sdwa s[16:17], v36, v47 src0_sel:BYTE_0 src1_sel:DWORD
	s_and_saveexec_b64 s[14:15], s[16:17]
	s_cbranch_execz .LBB658_219
; %bb.214:                              ;   in Loop: Header=BB658_213 Depth=1
	v_cmp_ne_u16_sdwa s[18:19], v36, s9 src0_sel:BYTE_0 src1_sel:DWORD
	v_bfrev_b32_e32 v35, 1
	s_and_saveexec_b64 s[16:17], s[18:19]
	s_cbranch_execz .LBB658_218
; %bb.215:                              ;   in Loop: Header=BB658_213 Depth=1
	v_and_b32_e32 v37, 0x7f, v36
	v_cmp_ne_u32_e32 vcc, s21, v37
	v_mov_b32_e32 v35, 0x7f800001
	s_and_saveexec_b64 s[18:19], vcc
	s_cbranch_execz .LBB658_217
; %bb.216:                              ;   in Loop: Header=BB658_213 Depth=1
	v_and_b32_e32 v35, 7, v36
	v_ffbh_u32_e32 v44, v35
	v_min_u32_e32 v44, 32, v44
	v_subrev_u32_e32 v46, 28, v44
	v_lshlrev_b64 v[50:51], v46, v[36:37]
	v_lshrrev_b32_e32 v42, 3, v37
	v_sub_u32_e32 v44, 29, v44
	v_and_b32_e32 v46, 7, v50
	v_cmp_gt_u32_e32 vcc, 8, v37
	v_cndmask_b32_e32 v37, v42, v44, vcc
	v_cndmask_b32_e32 v35, v35, v46, vcc
	v_lshlrev_b32_e32 v42, 24, v36
	v_lshlrev_b32_e32 v35, 20, v35
	v_and_b32_e32 v42, 0x80000000, v42
	v_lshl_add_u32 v37, v37, 23, v48
	v_or3_b32 v35, v42, v37, v35
.LBB658_217:                            ;   in Loop: Header=BB658_213 Depth=1
	s_or_b64 exec, exec, s[18:19]
.LBB658_218:                            ;   in Loop: Header=BB658_213 Depth=1
	s_or_b64 exec, exec, s[16:17]
.LBB658_219:                            ;   in Loop: Header=BB658_213 Depth=1
	s_or_b64 exec, exec, s[14:15]
	v_lshrrev_b16_e32 v42, 8, v36
	v_cmp_ne_u16_e32 vcc, 0, v42
	v_mov_b32_e32 v37, 0
	s_and_saveexec_b64 s[14:15], vcc
	s_cbranch_execz .LBB658_225
; %bb.220:                              ;   in Loop: Header=BB658_213 Depth=1
	v_cmp_ne_u16_e32 vcc, s9, v42
	v_bfrev_b32_e32 v37, 1
	s_and_saveexec_b64 s[16:17], vcc
	s_cbranch_execz .LBB658_224
; %bb.221:                              ;   in Loop: Header=BB658_213 Depth=1
	v_and_b32_e32 v44, 0x7f, v42
	v_cmp_ne_u32_e32 vcc, s21, v44
	v_mov_b32_e32 v37, 0x7f800001
	s_and_saveexec_b64 s[18:19], vcc
	s_cbranch_execz .LBB658_223
; %bb.222:                              ;   in Loop: Header=BB658_213 Depth=1
	v_and_b32_e32 v37, 7, v42
	v_ffbh_u32_e32 v49, v37
	v_min_u32_e32 v49, 32, v49
	v_subrev_u32_e32 v50, 28, v49
	v_lshlrev_b64 v[50:51], v50, v[42:43]
	v_lshrrev_b32_e32 v46, 3, v44
	v_sub_u32_e32 v42, 29, v49
	v_and_b32_e32 v49, 7, v50
	v_cmp_gt_u32_e32 vcc, 8, v44
	v_cndmask_b32_e32 v42, v46, v42, vcc
	v_cndmask_b32_e32 v37, v37, v49, vcc
	v_lshlrev_b32_e32 v44, 16, v36
	v_lshlrev_b32_e32 v37, 20, v37
	v_and_b32_e32 v44, 0x80000000, v44
	v_lshl_add_u32 v42, v42, 23, v48
	v_or3_b32 v37, v44, v42, v37
.LBB658_223:                            ;   in Loop: Header=BB658_213 Depth=1
	s_or_b64 exec, exec, s[18:19]
.LBB658_224:                            ;   in Loop: Header=BB658_213 Depth=1
	s_or_b64 exec, exec, s[16:17]
.LBB658_225:                            ;   in Loop: Header=BB658_213 Depth=1
	s_or_b64 exec, exec, s[14:15]
	v_lshrrev_b32_e32 v42, 16, v36
	v_cmp_ne_u16_sdwa s[16:17], v42, v47 src0_sel:BYTE_0 src1_sel:DWORD
	v_mov_b32_e32 v46, 0
	v_mov_b32_e32 v44, 0
	s_and_saveexec_b64 s[14:15], s[16:17]
	s_cbranch_execz .LBB658_231
; %bb.226:                              ;   in Loop: Header=BB658_213 Depth=1
	v_cmp_ne_u16_sdwa s[18:19], v42, s9 src0_sel:BYTE_0 src1_sel:DWORD
	v_bfrev_b32_e32 v44, 1
	s_and_saveexec_b64 s[16:17], s[18:19]
	s_cbranch_execz .LBB658_230
; %bb.227:                              ;   in Loop: Header=BB658_213 Depth=1
	v_bfe_u32 v49, v36, 16, 7
	v_cmp_ne_u32_e32 vcc, s21, v49
	v_mov_b32_e32 v44, 0x7f800001
	s_and_saveexec_b64 s[18:19], vcc
	s_cbranch_execz .LBB658_229
; %bb.228:                              ;   in Loop: Header=BB658_213 Depth=1
	v_and_b32_e32 v44, 7, v42
	v_ffbh_u32_e32 v50, v44
	v_min_u32_e32 v53, 32, v50
	v_subrev_u32_e32 v50, 28, v53
	v_lshlrev_b64 v[50:51], v50, v[42:43]
	v_lshrrev_b32_e32 v52, 3, v49
	v_sub_u32_e32 v51, 29, v53
	v_and_b32_e32 v50, 7, v50
	v_cmp_gt_u32_e32 vcc, 8, v49
	v_cndmask_b32_e32 v49, v52, v51, vcc
	v_cndmask_b32_e32 v44, v44, v50, vcc
	v_lshlrev_b32_e32 v42, 24, v42
	v_lshlrev_b32_e32 v44, 20, v44
	v_and_b32_e32 v42, 0x80000000, v42
	v_lshl_add_u32 v49, v49, 23, v48
	v_or3_b32 v44, v42, v49, v44
.LBB658_229:                            ;   in Loop: Header=BB658_213 Depth=1
	s_or_b64 exec, exec, s[18:19]
.LBB658_230:                            ;   in Loop: Header=BB658_213 Depth=1
	s_or_b64 exec, exec, s[16:17]
.LBB658_231:                            ;   in Loop: Header=BB658_213 Depth=1
	s_or_b64 exec, exec, s[14:15]
	v_cmp_lt_u32_e32 vcc, s22, v36
	s_and_saveexec_b64 s[14:15], vcc
	s_cbranch_execz .LBB658_237
; %bb.232:                              ;   in Loop: Header=BB658_213 Depth=1
	v_lshrrev_b32_e32 v42, 24, v36
	v_cmp_ne_u32_e32 vcc, s9, v42
	v_bfrev_b32_e32 v46, 1
	s_and_saveexec_b64 s[16:17], vcc
	s_cbranch_execz .LBB658_236
; %bb.233:                              ;   in Loop: Header=BB658_213 Depth=1
	v_bfe_u32 v36, v36, 24, 7
	v_cmp_ne_u32_e32 vcc, s21, v36
	v_mov_b32_e32 v46, 0x7f800001
	s_and_saveexec_b64 s[18:19], vcc
	s_cbranch_execz .LBB658_235
; %bb.234:                              ;   in Loop: Header=BB658_213 Depth=1
	v_and_b32_e32 v46, 7, v42
	v_ffbh_u32_e32 v50, v46
	v_min_u32_e32 v52, 32, v50
	v_subrev_u32_e32 v50, 28, v52
	v_lshlrev_b64 v[50:51], v50, v[42:43]
	v_lshrrev_b32_e32 v49, 3, v36
	v_sub_u32_e32 v51, 29, v52
	v_and_b32_e32 v50, 7, v50
	v_cmp_gt_u32_e32 vcc, 8, v36
	v_cndmask_b32_e32 v36, v49, v51, vcc
	v_cndmask_b32_e32 v46, v46, v50, vcc
	v_lshlrev_b32_e32 v42, 24, v42
	v_lshlrev_b32_e32 v46, 20, v46
	v_and_b32_e32 v42, 0x80000000, v42
	v_lshl_add_u32 v36, v36, 23, v48
	v_or3_b32 v46, v42, v36, v46
.LBB658_235:                            ;   in Loop: Header=BB658_213 Depth=1
	s_or_b64 exec, exec, s[18:19]
.LBB658_236:                            ;   in Loop: Header=BB658_213 Depth=1
	s_or_b64 exec, exec, s[16:17]
.LBB658_237:                            ;   in Loop: Header=BB658_213 Depth=1
	s_or_b64 exec, exec, s[14:15]
	s_waitcnt vmcnt(2)
	v_cmp_ne_u16_sdwa s[16:17], v34, v47 src0_sel:BYTE_0 src1_sel:DWORD
	v_mov_b32_e32 v42, 0
	v_mov_b32_e32 v49, 0
	s_and_saveexec_b64 s[14:15], s[16:17]
	s_cbranch_execz .LBB658_243
; %bb.238:                              ;   in Loop: Header=BB658_213 Depth=1
	v_cmp_ne_u16_sdwa s[18:19], v34, s9 src0_sel:BYTE_0 src1_sel:DWORD
	v_bfrev_b32_e32 v49, 1
	s_and_saveexec_b64 s[16:17], s[18:19]
	s_cbranch_execz .LBB658_242
; %bb.239:                              ;   in Loop: Header=BB658_213 Depth=1
	v_and_b32_e32 v36, 0x7f, v34
	v_cmp_ne_u32_e32 vcc, s21, v36
	v_mov_b32_e32 v49, 0x7f800001
	s_and_saveexec_b64 s[18:19], vcc
	s_cbranch_execz .LBB658_241
; %bb.240:                              ;   in Loop: Header=BB658_213 Depth=1
	v_and_b32_e32 v49, 7, v34
	v_ffbh_u32_e32 v50, v49
	v_min_u32_e32 v53, 32, v50
	v_subrev_u32_e32 v50, 28, v53
	v_lshlrev_b64 v[50:51], v50, v[34:35]
	v_lshrrev_b32_e32 v52, 3, v36
	v_sub_u32_e32 v51, 29, v53
	v_and_b32_e32 v50, 7, v50
	v_cmp_gt_u32_e32 vcc, 8, v36
	v_cndmask_b32_e32 v36, v52, v51, vcc
	v_cndmask_b32_e32 v49, v49, v50, vcc
	v_lshlrev_b32_e32 v50, 24, v34
	v_lshlrev_b32_e32 v49, 20, v49
	v_and_b32_e32 v50, 0x80000000, v50
	v_lshl_add_u32 v36, v36, 23, v48
	v_or3_b32 v49, v50, v36, v49
.LBB658_241:                            ;   in Loop: Header=BB658_213 Depth=1
	s_or_b64 exec, exec, s[18:19]
.LBB658_242:                            ;   in Loop: Header=BB658_213 Depth=1
	s_or_b64 exec, exec, s[16:17]
.LBB658_243:                            ;   in Loop: Header=BB658_213 Depth=1
	s_or_b64 exec, exec, s[14:15]
	v_lshrrev_b16_e32 v36, 8, v34
	v_cmp_ne_u16_e32 vcc, 0, v36
	s_and_saveexec_b64 s[14:15], vcc
	s_cbranch_execz .LBB658_249
; %bb.244:                              ;   in Loop: Header=BB658_213 Depth=1
	v_cmp_ne_u16_e32 vcc, s9, v36
	v_bfrev_b32_e32 v42, 1
	s_and_saveexec_b64 s[16:17], vcc
	s_cbranch_execz .LBB658_248
; %bb.245:                              ;   in Loop: Header=BB658_213 Depth=1
	v_and_b32_e32 v50, 0x7f, v36
	v_cmp_ne_u32_e32 vcc, s21, v50
	v_mov_b32_e32 v42, 0x7f800001
	s_and_saveexec_b64 s[18:19], vcc
	s_cbranch_execz .LBB658_247
; %bb.246:                              ;   in Loop: Header=BB658_213 Depth=1
	v_and_b32_e32 v42, 7, v36
	v_ffbh_u32_e32 v52, v42
	v_min_u32_e32 v62, 32, v52
	v_subrev_u32_e32 v52, 28, v62
	v_lshlrev_b64 v[52:53], v52, v[36:37]
	v_lshrrev_b32_e32 v51, 3, v50
	v_sub_u32_e32 v36, 29, v62
	v_and_b32_e32 v52, 7, v52
	v_cmp_gt_u32_e32 vcc, 8, v50
	v_cndmask_b32_e32 v36, v51, v36, vcc
	v_cndmask_b32_e32 v42, v42, v52, vcc
	v_lshlrev_b32_e32 v50, 16, v34
	v_lshlrev_b32_e32 v42, 20, v42
	v_and_b32_e32 v50, 0x80000000, v50
	v_lshl_add_u32 v36, v36, 23, v48
	v_or3_b32 v42, v50, v36, v42
.LBB658_247:                            ;   in Loop: Header=BB658_213 Depth=1
	s_or_b64 exec, exec, s[18:19]
.LBB658_248:                            ;   in Loop: Header=BB658_213 Depth=1
	s_or_b64 exec, exec, s[16:17]
.LBB658_249:                            ;   in Loop: Header=BB658_213 Depth=1
	s_or_b64 exec, exec, s[14:15]
	v_lshrrev_b32_e32 v36, 16, v34
	v_cmp_ne_u16_sdwa s[16:17], v36, v47 src0_sel:BYTE_0 src1_sel:DWORD
	v_mov_b32_e32 v51, 0
	v_mov_b32_e32 v50, 0
	s_and_saveexec_b64 s[14:15], s[16:17]
	s_cbranch_execz .LBB658_255
; %bb.250:                              ;   in Loop: Header=BB658_213 Depth=1
	v_cmp_ne_u16_sdwa s[18:19], v36, s9 src0_sel:BYTE_0 src1_sel:DWORD
	v_bfrev_b32_e32 v50, 1
	s_and_saveexec_b64 s[16:17], s[18:19]
	s_cbranch_execz .LBB658_254
; %bb.251:                              ;   in Loop: Header=BB658_213 Depth=1
	v_bfe_u32 v52, v34, 16, 7
	v_cmp_ne_u32_e32 vcc, s21, v52
	v_mov_b32_e32 v50, 0x7f800001
	s_and_saveexec_b64 s[18:19], vcc
	s_cbranch_execz .LBB658_253
; %bb.252:                              ;   in Loop: Header=BB658_213 Depth=1
	v_and_b32_e32 v50, 7, v36
	v_ffbh_u32_e32 v62, v50
	v_min_u32_e32 v64, 32, v62
	v_subrev_u32_e32 v62, 28, v64
	v_lshlrev_b64 v[62:63], v62, v[36:37]
	v_lshrrev_b32_e32 v53, 3, v52
	v_sub_u32_e32 v63, 29, v64
	v_and_b32_e32 v62, 7, v62
	v_cmp_gt_u32_e32 vcc, 8, v52
	v_cndmask_b32_e32 v52, v53, v63, vcc
	v_cndmask_b32_e32 v50, v50, v62, vcc
	v_lshlrev_b32_e32 v36, 24, v36
	v_lshlrev_b32_e32 v50, 20, v50
	v_and_b32_e32 v36, 0x80000000, v36
	v_lshl_add_u32 v52, v52, 23, v48
	v_or3_b32 v50, v36, v52, v50
.LBB658_253:                            ;   in Loop: Header=BB658_213 Depth=1
	s_or_b64 exec, exec, s[18:19]
.LBB658_254:                            ;   in Loop: Header=BB658_213 Depth=1
	s_or_b64 exec, exec, s[16:17]
.LBB658_255:                            ;   in Loop: Header=BB658_213 Depth=1
	s_or_b64 exec, exec, s[14:15]
	v_cmp_lt_u32_e32 vcc, s22, v34
	s_and_saveexec_b64 s[14:15], vcc
	s_cbranch_execz .LBB658_261
; %bb.256:                              ;   in Loop: Header=BB658_213 Depth=1
	v_lshrrev_b32_e32 v36, 24, v34
	v_cmp_ne_u32_e32 vcc, s9, v36
	v_bfrev_b32_e32 v51, 1
	s_and_saveexec_b64 s[16:17], vcc
	s_cbranch_execz .LBB658_260
; %bb.257:                              ;   in Loop: Header=BB658_213 Depth=1
	v_bfe_u32 v34, v34, 24, 7
	v_cmp_ne_u32_e32 vcc, s21, v34
	v_mov_b32_e32 v51, 0x7f800001
	s_and_saveexec_b64 s[18:19], vcc
	s_cbranch_execz .LBB658_259
; %bb.258:                              ;   in Loop: Header=BB658_213 Depth=1
	v_and_b32_e32 v51, 7, v36
	v_ffbh_u32_e32 v52, v51
	v_min_u32_e32 v63, 32, v52
	v_subrev_u32_e32 v52, 28, v63
	v_lshlrev_b64 v[52:53], v52, v[36:37]
	v_lshrrev_b32_e32 v62, 3, v34
	v_sub_u32_e32 v53, 29, v63
	v_and_b32_e32 v52, 7, v52
	v_cmp_gt_u32_e32 vcc, 8, v34
	v_cndmask_b32_e32 v34, v62, v53, vcc
	v_cndmask_b32_e32 v51, v51, v52, vcc
	v_lshlrev_b32_e32 v36, 24, v36
	v_lshlrev_b32_e32 v51, 20, v51
	v_and_b32_e32 v36, 0x80000000, v36
	v_lshl_add_u32 v34, v34, 23, v48
	v_or3_b32 v51, v36, v34, v51
.LBB658_259:                            ;   in Loop: Header=BB658_213 Depth=1
	s_or_b64 exec, exec, s[18:19]
.LBB658_260:                            ;   in Loop: Header=BB658_213 Depth=1
	s_or_b64 exec, exec, s[16:17]
.LBB658_261:                            ;   in Loop: Header=BB658_213 Depth=1
	s_or_b64 exec, exec, s[14:15]
	v_cvt_pkrtz_f16_f32 v34, v35, v37
	v_cvt_pkrtz_f16_f32 v35, v44, v46
	;; [unrolled: 1-line block ×4, first 2 shown]
	v_mov_b32_e32 v44, 0
	v_mfma_f32_16x16x16f16 v[34:37], v[34:35], v[2:3], 0
	s_waitcnt vmcnt(1)
	v_cmp_ne_u16_sdwa s[16:17], v40, v47 src0_sel:BYTE_0 src1_sel:DWORD
	v_mov_b32_e32 v46, 0
	v_mfma_f32_16x16x16f16 v[34:37], v[52:53], v[4:5], v[34:37]
	s_and_saveexec_b64 s[14:15], s[16:17]
	s_cbranch_execz .LBB658_267
; %bb.262:                              ;   in Loop: Header=BB658_213 Depth=1
	v_cmp_ne_u16_sdwa s[18:19], v40, s9 src0_sel:BYTE_0 src1_sel:DWORD
	v_bfrev_b32_e32 v46, 1
	s_and_saveexec_b64 s[16:17], s[18:19]
	s_cbranch_execz .LBB658_266
; %bb.263:                              ;   in Loop: Header=BB658_213 Depth=1
	v_and_b32_e32 v42, 0x7f, v40
	v_cmp_ne_u32_e32 vcc, s21, v42
	v_mov_b32_e32 v46, 0x7f800001
	s_and_saveexec_b64 s[18:19], vcc
	s_cbranch_execz .LBB658_265
; %bb.264:                              ;   in Loop: Header=BB658_213 Depth=1
	v_and_b32_e32 v46, 7, v40
	v_ffbh_u32_e32 v50, v46
	v_min_u32_e32 v52, 32, v50
	v_subrev_u32_e32 v50, 28, v52
	v_lshlrev_b64 v[50:51], v50, v[40:41]
	v_lshrrev_b32_e32 v49, 3, v42
	v_sub_u32_e32 v51, 29, v52
	v_and_b32_e32 v50, 7, v50
	v_cmp_gt_u32_e32 vcc, 8, v42
	v_cndmask_b32_e32 v42, v49, v51, vcc
	v_cndmask_b32_e32 v46, v46, v50, vcc
	v_lshlrev_b32_e32 v49, 24, v40
	v_lshlrev_b32_e32 v46, 20, v46
	v_and_b32_e32 v49, 0x80000000, v49
	v_lshl_add_u32 v42, v42, 23, v48
	v_or3_b32 v46, v49, v42, v46
.LBB658_265:                            ;   in Loop: Header=BB658_213 Depth=1
	s_or_b64 exec, exec, s[18:19]
.LBB658_266:                            ;   in Loop: Header=BB658_213 Depth=1
	s_or_b64 exec, exec, s[16:17]
.LBB658_267:                            ;   in Loop: Header=BB658_213 Depth=1
	s_or_b64 exec, exec, s[14:15]
	v_lshrrev_b16_e32 v42, 8, v40
	v_cmp_ne_u16_e32 vcc, 0, v42
	v_mov_b32_e32 v50, 0
	s_and_saveexec_b64 s[14:15], vcc
	s_cbranch_execz .LBB658_273
; %bb.268:                              ;   in Loop: Header=BB658_213 Depth=1
	v_cmp_ne_u16_e32 vcc, s9, v42
	v_bfrev_b32_e32 v50, 1
	s_and_saveexec_b64 s[16:17], vcc
	s_cbranch_execz .LBB658_272
; %bb.269:                              ;   in Loop: Header=BB658_213 Depth=1
	v_and_b32_e32 v49, 0x7f, v42
	v_cmp_ne_u32_e32 vcc, s21, v49
	v_mov_b32_e32 v50, 0x7f800001
	s_and_saveexec_b64 s[18:19], vcc
	s_cbranch_execz .LBB658_271
; %bb.270:                              ;   in Loop: Header=BB658_213 Depth=1
	v_and_b32_e32 v52, 7, v42
	v_ffbh_u32_e32 v50, v52
	v_min_u32_e32 v62, 32, v50
	v_subrev_u32_e32 v50, 28, v62
	v_lshlrev_b64 v[50:51], v50, v[42:43]
	v_lshrrev_b32_e32 v53, 3, v49
	v_sub_u32_e32 v42, 29, v62
	v_and_b32_e32 v50, 7, v50
	v_cmp_gt_u32_e32 vcc, 8, v49
	v_cndmask_b32_e32 v42, v53, v42, vcc
	v_cndmask_b32_e32 v49, v52, v50, vcc
	v_lshlrev_b32_e32 v50, 16, v40
	v_lshlrev_b32_e32 v49, 20, v49
	v_and_b32_e32 v50, 0x80000000, v50
	v_lshl_add_u32 v42, v42, 23, v48
	v_or3_b32 v50, v50, v42, v49
.LBB658_271:                            ;   in Loop: Header=BB658_213 Depth=1
	s_or_b64 exec, exec, s[18:19]
.LBB658_272:                            ;   in Loop: Header=BB658_213 Depth=1
	s_or_b64 exec, exec, s[16:17]
.LBB658_273:                            ;   in Loop: Header=BB658_213 Depth=1
	s_or_b64 exec, exec, s[14:15]
	v_lshrrev_b32_e32 v42, 16, v40
	v_cmp_ne_u16_sdwa s[16:17], v42, v47 src0_sel:BYTE_0 src1_sel:DWORD
	s_and_saveexec_b64 s[14:15], s[16:17]
	s_cbranch_execz .LBB658_279
; %bb.274:                              ;   in Loop: Header=BB658_213 Depth=1
	v_cmp_ne_u16_sdwa s[18:19], v42, s9 src0_sel:BYTE_0 src1_sel:DWORD
	v_bfrev_b32_e32 v44, 1
	s_and_saveexec_b64 s[16:17], s[18:19]
	s_cbranch_execz .LBB658_278
; %bb.275:                              ;   in Loop: Header=BB658_213 Depth=1
	v_bfe_u32 v49, v40, 16, 7
	v_cmp_ne_u32_e32 vcc, s21, v49
	v_mov_b32_e32 v44, 0x7f800001
	s_and_saveexec_b64 s[18:19], vcc
	s_cbranch_execz .LBB658_277
; %bb.276:                              ;   in Loop: Header=BB658_213 Depth=1
	v_and_b32_e32 v44, 7, v42
	v_ffbh_u32_e32 v52, v44
	v_min_u32_e32 v62, 32, v52
	v_subrev_u32_e32 v52, 28, v62
	v_lshlrev_b64 v[52:53], v52, v[42:43]
	v_lshrrev_b32_e32 v51, 3, v49
	v_sub_u32_e32 v53, 29, v62
	v_and_b32_e32 v52, 7, v52
	v_cmp_gt_u32_e32 vcc, 8, v49
	v_cndmask_b32_e32 v49, v51, v53, vcc
	v_cndmask_b32_e32 v44, v44, v52, vcc
	v_lshlrev_b32_e32 v42, 24, v42
	v_lshlrev_b32_e32 v44, 20, v44
	v_and_b32_e32 v42, 0x80000000, v42
	v_lshl_add_u32 v49, v49, 23, v48
	v_or3_b32 v44, v42, v49, v44
.LBB658_277:                            ;   in Loop: Header=BB658_213 Depth=1
	s_or_b64 exec, exec, s[18:19]
.LBB658_278:                            ;   in Loop: Header=BB658_213 Depth=1
	s_or_b64 exec, exec, s[16:17]
.LBB658_279:                            ;   in Loop: Header=BB658_213 Depth=1
	s_or_b64 exec, exec, s[14:15]
	v_cmp_lt_u32_e32 vcc, s22, v40
	v_mov_b32_e32 v51, 0
	v_mov_b32_e32 v52, 0
	s_and_saveexec_b64 s[14:15], vcc
	s_cbranch_execz .LBB658_285
; %bb.280:                              ;   in Loop: Header=BB658_213 Depth=1
	v_lshrrev_b32_e32 v42, 24, v40
	v_cmp_ne_u32_e32 vcc, s9, v42
	v_bfrev_b32_e32 v52, 1
	s_and_saveexec_b64 s[16:17], vcc
	s_cbranch_execz .LBB658_284
; %bb.281:                              ;   in Loop: Header=BB658_213 Depth=1
	v_bfe_u32 v40, v40, 24, 7
	v_cmp_ne_u32_e32 vcc, s21, v40
	v_mov_b32_e32 v52, 0x7f800001
	s_and_saveexec_b64 s[18:19], vcc
	s_cbranch_execz .LBB658_283
; %bb.282:                              ;   in Loop: Header=BB658_213 Depth=1
	v_and_b32_e32 v49, 7, v42
	v_ffbh_u32_e32 v52, v49
	v_min_u32_e32 v63, 32, v52
	v_subrev_u32_e32 v52, 28, v63
	v_lshlrev_b64 v[52:53], v52, v[42:43]
	v_lshrrev_b32_e32 v62, 3, v40
	v_sub_u32_e32 v53, 29, v63
	v_and_b32_e32 v52, 7, v52
	v_cmp_gt_u32_e32 vcc, 8, v40
	v_cndmask_b32_e32 v40, v62, v53, vcc
	v_cndmask_b32_e32 v49, v49, v52, vcc
	v_lshlrev_b32_e32 v42, 24, v42
	v_lshlrev_b32_e32 v49, 20, v49
	v_and_b32_e32 v42, 0x80000000, v42
	v_lshl_add_u32 v40, v40, 23, v48
	v_or3_b32 v52, v42, v40, v49
.LBB658_283:                            ;   in Loop: Header=BB658_213 Depth=1
	s_or_b64 exec, exec, s[18:19]
.LBB658_284:                            ;   in Loop: Header=BB658_213 Depth=1
	s_or_b64 exec, exec, s[16:17]
.LBB658_285:                            ;   in Loop: Header=BB658_213 Depth=1
	s_or_b64 exec, exec, s[14:15]
	s_waitcnt vmcnt(0)
	v_cmp_ne_u16_sdwa s[16:17], v38, v47 src0_sel:BYTE_0 src1_sel:DWORD
	s_and_saveexec_b64 s[14:15], s[16:17]
	s_cbranch_execz .LBB658_291
; %bb.286:                              ;   in Loop: Header=BB658_213 Depth=1
	v_cmp_ne_u16_sdwa s[18:19], v38, s9 src0_sel:BYTE_0 src1_sel:DWORD
	v_bfrev_b32_e32 v51, 1
	s_and_saveexec_b64 s[16:17], s[18:19]
	s_cbranch_execz .LBB658_290
; %bb.287:                              ;   in Loop: Header=BB658_213 Depth=1
	v_and_b32_e32 v40, 0x7f, v38
	v_cmp_ne_u32_e32 vcc, s21, v40
	v_mov_b32_e32 v51, 0x7f800001
	s_and_saveexec_b64 s[18:19], vcc
	s_cbranch_execz .LBB658_289
; %bb.288:                              ;   in Loop: Header=BB658_213 Depth=1
	v_and_b32_e32 v42, 7, v38
	v_ffbh_u32_e32 v51, v42
	v_min_u32_e32 v51, 32, v51
	v_subrev_u32_e32 v53, 28, v51
	v_lshlrev_b64 v[62:63], v53, v[38:39]
	v_lshrrev_b32_e32 v49, 3, v40
	v_sub_u32_e32 v51, 29, v51
	v_and_b32_e32 v53, 7, v62
	v_cmp_gt_u32_e32 vcc, 8, v40
	v_cndmask_b32_e32 v40, v49, v51, vcc
	v_cndmask_b32_e32 v42, v42, v53, vcc
	v_lshlrev_b32_e32 v49, 24, v38
	v_lshlrev_b32_e32 v42, 20, v42
	v_and_b32_e32 v49, 0x80000000, v49
	v_lshl_add_u32 v40, v40, 23, v48
	v_or3_b32 v51, v49, v40, v42
.LBB658_289:                            ;   in Loop: Header=BB658_213 Depth=1
	s_or_b64 exec, exec, s[18:19]
.LBB658_290:                            ;   in Loop: Header=BB658_213 Depth=1
	s_or_b64 exec, exec, s[16:17]
.LBB658_291:                            ;   in Loop: Header=BB658_213 Depth=1
	s_or_b64 exec, exec, s[14:15]
	v_lshrrev_b16_e32 v40, 8, v38
	v_cmp_ne_u16_e32 vcc, 0, v40
	v_mov_b32_e32 v53, 0
	v_mov_b32_e32 v62, 0
	s_and_saveexec_b64 s[14:15], vcc
	s_cbranch_execz .LBB658_297
; %bb.292:                              ;   in Loop: Header=BB658_213 Depth=1
	v_cmp_ne_u16_e32 vcc, s9, v40
	v_bfrev_b32_e32 v62, 1
	s_and_saveexec_b64 s[16:17], vcc
	s_cbranch_execz .LBB658_296
; %bb.293:                              ;   in Loop: Header=BB658_213 Depth=1
	v_and_b32_e32 v42, 0x7f, v40
	v_cmp_ne_u32_e32 vcc, s21, v42
	v_mov_b32_e32 v62, 0x7f800001
	s_and_saveexec_b64 s[18:19], vcc
	s_cbranch_execz .LBB658_295
; %bb.294:                              ;   in Loop: Header=BB658_213 Depth=1
	v_and_b32_e32 v49, 7, v40
	v_ffbh_u32_e32 v62, v49
	v_min_u32_e32 v65, 32, v62
	v_subrev_u32_e32 v62, 28, v65
	v_lshlrev_b64 v[62:63], v62, v[40:41]
	v_lshrrev_b32_e32 v64, 3, v42
	v_sub_u32_e32 v40, 29, v65
	v_and_b32_e32 v62, 7, v62
	v_cmp_gt_u32_e32 vcc, 8, v42
	v_cndmask_b32_e32 v40, v64, v40, vcc
	v_cndmask_b32_e32 v42, v49, v62, vcc
	v_lshlrev_b32_e32 v49, 16, v38
	v_lshlrev_b32_e32 v42, 20, v42
	v_and_b32_e32 v49, 0x80000000, v49
	v_lshl_add_u32 v40, v40, 23, v48
	v_or3_b32 v62, v49, v40, v42
.LBB658_295:                            ;   in Loop: Header=BB658_213 Depth=1
	s_or_b64 exec, exec, s[18:19]
.LBB658_296:                            ;   in Loop: Header=BB658_213 Depth=1
	s_or_b64 exec, exec, s[16:17]
.LBB658_297:                            ;   in Loop: Header=BB658_213 Depth=1
	s_or_b64 exec, exec, s[14:15]
	v_lshrrev_b32_e32 v40, 16, v38
	v_cmp_ne_u16_sdwa s[16:17], v40, v47 src0_sel:BYTE_0 src1_sel:DWORD
	s_and_saveexec_b64 s[14:15], s[16:17]
	s_cbranch_execz .LBB658_303
; %bb.298:                              ;   in Loop: Header=BB658_213 Depth=1
	v_cmp_ne_u16_sdwa s[18:19], v40, s9 src0_sel:BYTE_0 src1_sel:DWORD
	v_bfrev_b32_e32 v53, 1
	s_and_saveexec_b64 s[16:17], s[18:19]
	s_cbranch_execz .LBB658_302
; %bb.299:                              ;   in Loop: Header=BB658_213 Depth=1
	v_bfe_u32 v42, v38, 16, 7
	v_cmp_ne_u32_e32 vcc, s21, v42
	v_mov_b32_e32 v53, 0x7f800001
	s_and_saveexec_b64 s[18:19], vcc
	s_cbranch_execz .LBB658_301
; %bb.300:                              ;   in Loop: Header=BB658_213 Depth=1
	v_and_b32_e32 v49, 7, v40
	v_ffbh_u32_e32 v63, v49
	v_min_u32_e32 v63, 32, v63
	v_subrev_u32_e32 v64, 28, v63
	v_lshlrev_b64 v[64:65], v64, v[40:41]
	v_lshrrev_b32_e32 v53, 3, v42
	v_sub_u32_e32 v63, 29, v63
	v_and_b32_e32 v64, 7, v64
	v_cmp_gt_u32_e32 vcc, 8, v42
	v_cndmask_b32_e32 v42, v53, v63, vcc
	v_cndmask_b32_e32 v49, v49, v64, vcc
	v_lshlrev_b32_e32 v40, 24, v40
	v_lshlrev_b32_e32 v49, 20, v49
	v_and_b32_e32 v40, 0x80000000, v40
	v_lshl_add_u32 v42, v42, 23, v48
	v_or3_b32 v53, v40, v42, v49
.LBB658_301:                            ;   in Loop: Header=BB658_213 Depth=1
	s_or_b64 exec, exec, s[18:19]
.LBB658_302:                            ;   in Loop: Header=BB658_213 Depth=1
	s_or_b64 exec, exec, s[16:17]
.LBB658_303:                            ;   in Loop: Header=BB658_213 Depth=1
	s_or_b64 exec, exec, s[14:15]
	v_cmp_lt_u32_e32 vcc, s22, v38
	v_mov_b32_e32 v49, 0
	v_mov_b32_e32 v63, 0
	s_and_saveexec_b64 s[14:15], vcc
	s_cbranch_execz .LBB658_309
; %bb.304:                              ;   in Loop: Header=BB658_213 Depth=1
	v_lshrrev_b32_e32 v40, 24, v38
	v_cmp_ne_u32_e32 vcc, s9, v40
	v_bfrev_b32_e32 v63, 1
	s_and_saveexec_b64 s[16:17], vcc
	s_cbranch_execz .LBB658_308
; %bb.305:                              ;   in Loop: Header=BB658_213 Depth=1
	v_bfe_u32 v38, v38, 24, 7
	v_cmp_ne_u32_e32 vcc, s21, v38
	v_mov_b32_e32 v63, 0x7f800001
	s_and_saveexec_b64 s[18:19], vcc
	s_cbranch_execz .LBB658_307
; %bb.306:                              ;   in Loop: Header=BB658_213 Depth=1
	v_and_b32_e32 v42, 7, v40
	v_ffbh_u32_e32 v64, v42
	v_min_u32_e32 v66, 32, v64
	v_subrev_u32_e32 v64, 28, v66
	v_lshlrev_b64 v[64:65], v64, v[40:41]
	v_lshrrev_b32_e32 v63, 3, v38
	v_sub_u32_e32 v65, 29, v66
	v_and_b32_e32 v64, 7, v64
	v_cmp_gt_u32_e32 vcc, 8, v38
	v_cndmask_b32_e32 v38, v63, v65, vcc
	v_cndmask_b32_e32 v42, v42, v64, vcc
	v_lshlrev_b32_e32 v40, 24, v40
	v_lshlrev_b32_e32 v42, 20, v42
	v_and_b32_e32 v40, 0x80000000, v40
	v_lshl_add_u32 v38, v38, 23, v48
	v_or3_b32 v63, v40, v38, v42
.LBB658_307:                            ;   in Loop: Header=BB658_213 Depth=1
	s_or_b64 exec, exec, s[18:19]
.LBB658_308:                            ;   in Loop: Header=BB658_213 Depth=1
	s_or_b64 exec, exec, s[16:17]
.LBB658_309:                            ;   in Loop: Header=BB658_213 Depth=1
	s_or_b64 exec, exec, s[14:15]
	v_cvt_pkrtz_f16_f32 v65, v44, v52
	buffer_load_dword v44, v61, s[0:3], 0 offen
	buffer_load_dword v42, v61, s[0:3], 0 offen offset:4
	buffer_load_dword v40, v61, s[0:3], 0 offen offset:8
	;; [unrolled: 1-line block ×3, first 2 shown]
	v_cvt_pkrtz_f16_f32 v64, v46, v50
	v_cvt_pkrtz_f16_f32 v50, v51, v62
	;; [unrolled: 1-line block ×3, first 2 shown]
	v_mfma_f32_16x16x16f16 v[34:37], v[64:65], v[6:7], v[34:37]
	s_waitcnt vmcnt(3)
	v_cmp_ne_u16_sdwa s[16:17], v44, v47 src0_sel:BYTE_0 src1_sel:DWORD
	v_mfma_f32_16x16x16f16 v[34:37], v[50:51], v[8:9], v[34:37]
	s_and_saveexec_b64 s[14:15], s[16:17]
	s_cbranch_execz .LBB658_315
; %bb.310:                              ;   in Loop: Header=BB658_213 Depth=1
	v_cmp_ne_u16_sdwa s[18:19], v44, s9 src0_sel:BYTE_0 src1_sel:DWORD
	v_bfrev_b32_e32 v49, 1
	s_and_saveexec_b64 s[16:17], s[18:19]
	s_cbranch_execz .LBB658_314
; %bb.311:                              ;   in Loop: Header=BB658_213 Depth=1
	v_and_b32_e32 v46, 0x7f, v44
	v_cmp_ne_u32_e32 vcc, s21, v46
	v_mov_b32_e32 v49, 0x7f800001
	s_and_saveexec_b64 s[18:19], vcc
	s_cbranch_execz .LBB658_313
; %bb.312:                              ;   in Loop: Header=BB658_213 Depth=1
	v_and_b32_e32 v49, 7, v44
	v_ffbh_u32_e32 v50, v49
	v_min_u32_e32 v53, 32, v50
	v_subrev_u32_e32 v50, 28, v53
	v_lshlrev_b64 v[50:51], v50, v[44:45]
	v_lshrrev_b32_e32 v52, 3, v46
	v_sub_u32_e32 v51, 29, v53
	v_and_b32_e32 v50, 7, v50
	v_cmp_gt_u32_e32 vcc, 8, v46
	v_cndmask_b32_e32 v46, v52, v51, vcc
	v_cndmask_b32_e32 v49, v49, v50, vcc
	v_lshlrev_b32_e32 v50, 24, v44
	v_lshlrev_b32_e32 v49, 20, v49
	v_and_b32_e32 v50, 0x80000000, v50
	v_lshl_add_u32 v46, v46, 23, v48
	v_or3_b32 v49, v50, v46, v49
.LBB658_313:                            ;   in Loop: Header=BB658_213 Depth=1
	s_or_b64 exec, exec, s[18:19]
.LBB658_314:                            ;   in Loop: Header=BB658_213 Depth=1
	s_or_b64 exec, exec, s[16:17]
.LBB658_315:                            ;   in Loop: Header=BB658_213 Depth=1
	s_or_b64 exec, exec, s[14:15]
	v_lshrrev_b16_e32 v46, 8, v44
	v_cmp_ne_u16_e32 vcc, 0, v46
	v_mov_b32_e32 v50, 0
	v_mov_b32_e32 v51, 0
	s_and_saveexec_b64 s[14:15], vcc
	s_cbranch_execz .LBB658_321
; %bb.316:                              ;   in Loop: Header=BB658_213 Depth=1
	v_cmp_ne_u16_e32 vcc, s9, v46
	v_bfrev_b32_e32 v51, 1
	s_and_saveexec_b64 s[16:17], vcc
	s_cbranch_execz .LBB658_320
; %bb.317:                              ;   in Loop: Header=BB658_213 Depth=1
	v_and_b32_e32 v52, 0x7f, v46
	v_cmp_ne_u32_e32 vcc, s21, v52
	v_mov_b32_e32 v51, 0x7f800001
	s_and_saveexec_b64 s[18:19], vcc
	s_cbranch_execz .LBB658_319
; %bb.318:                              ;   in Loop: Header=BB658_213 Depth=1
	v_and_b32_e32 v51, 7, v46
	v_ffbh_u32_e32 v61, v51
	v_min_u32_e32 v61, 32, v61
	v_subrev_u32_e32 v62, 28, v61
	v_lshlrev_b64 v[62:63], v62, v[46:47]
	v_lshrrev_b32_e32 v53, 3, v52
	v_sub_u32_e32 v46, 29, v61
	v_and_b32_e32 v61, 7, v62
	v_cmp_gt_u32_e32 vcc, 8, v52
	v_cndmask_b32_e32 v46, v53, v46, vcc
	v_cndmask_b32_e32 v51, v51, v61, vcc
	v_lshlrev_b32_e32 v52, 16, v44
	v_lshlrev_b32_e32 v51, 20, v51
	v_and_b32_e32 v52, 0x80000000, v52
	v_lshl_add_u32 v46, v46, 23, v48
	v_or3_b32 v51, v52, v46, v51
.LBB658_319:                            ;   in Loop: Header=BB658_213 Depth=1
	s_or_b64 exec, exec, s[18:19]
.LBB658_320:                            ;   in Loop: Header=BB658_213 Depth=1
	s_or_b64 exec, exec, s[16:17]
.LBB658_321:                            ;   in Loop: Header=BB658_213 Depth=1
	s_or_b64 exec, exec, s[14:15]
	v_lshrrev_b32_e32 v46, 16, v44
	v_cmp_ne_u16_sdwa s[16:17], v46, v47 src0_sel:BYTE_0 src1_sel:DWORD
	s_and_saveexec_b64 s[14:15], s[16:17]
	s_cbranch_execz .LBB658_327
; %bb.322:                              ;   in Loop: Header=BB658_213 Depth=1
	v_cmp_ne_u16_sdwa s[18:19], v46, s9 src0_sel:BYTE_0 src1_sel:DWORD
	v_bfrev_b32_e32 v50, 1
	s_and_saveexec_b64 s[16:17], s[18:19]
	s_cbranch_execz .LBB658_326
; %bb.323:                              ;   in Loop: Header=BB658_213 Depth=1
	v_bfe_u32 v52, v44, 16, 7
	v_cmp_ne_u32_e32 vcc, s21, v52
	v_mov_b32_e32 v50, 0x7f800001
	s_and_saveexec_b64 s[18:19], vcc
	s_cbranch_execz .LBB658_325
; %bb.324:                              ;   in Loop: Header=BB658_213 Depth=1
	v_and_b32_e32 v50, 7, v46
	v_ffbh_u32_e32 v61, v50
	v_min_u32_e32 v61, 32, v61
	v_subrev_u32_e32 v62, 28, v61
	v_lshlrev_b64 v[62:63], v62, v[46:47]
	v_lshrrev_b32_e32 v53, 3, v52
	v_sub_u32_e32 v61, 29, v61
	v_and_b32_e32 v62, 7, v62
	v_cmp_gt_u32_e32 vcc, 8, v52
	v_cndmask_b32_e32 v52, v53, v61, vcc
	v_cndmask_b32_e32 v50, v50, v62, vcc
	v_lshlrev_b32_e32 v46, 24, v46
	v_lshlrev_b32_e32 v50, 20, v50
	v_and_b32_e32 v46, 0x80000000, v46
	v_lshl_add_u32 v52, v52, 23, v48
	v_or3_b32 v50, v46, v52, v50
.LBB658_325:                            ;   in Loop: Header=BB658_213 Depth=1
	s_or_b64 exec, exec, s[18:19]
.LBB658_326:                            ;   in Loop: Header=BB658_213 Depth=1
	s_or_b64 exec, exec, s[16:17]
.LBB658_327:                            ;   in Loop: Header=BB658_213 Depth=1
	s_or_b64 exec, exec, s[14:15]
	v_cmp_lt_u32_e32 vcc, s22, v44
	v_mov_b32_e32 v52, 0
	v_mov_b32_e32 v53, 0
	s_and_saveexec_b64 s[14:15], vcc
	s_cbranch_execz .LBB658_333
; %bb.328:                              ;   in Loop: Header=BB658_213 Depth=1
	v_lshrrev_b32_e32 v46, 24, v44
	v_cmp_ne_u32_e32 vcc, s9, v46
	v_bfrev_b32_e32 v53, 1
	s_and_saveexec_b64 s[16:17], vcc
	s_cbranch_execz .LBB658_332
; %bb.329:                              ;   in Loop: Header=BB658_213 Depth=1
	v_bfe_u32 v44, v44, 24, 7
	v_cmp_ne_u32_e32 vcc, s21, v44
	v_mov_b32_e32 v53, 0x7f800001
	s_and_saveexec_b64 s[18:19], vcc
	s_cbranch_execz .LBB658_331
; %bb.330:                              ;   in Loop: Header=BB658_213 Depth=1
	v_and_b32_e32 v53, 7, v46
	v_ffbh_u32_e32 v62, v53
	v_min_u32_e32 v64, 32, v62
	v_subrev_u32_e32 v62, 28, v64
	v_lshlrev_b64 v[62:63], v62, v[46:47]
	v_lshrrev_b32_e32 v61, 3, v44
	v_sub_u32_e32 v63, 29, v64
	v_and_b32_e32 v62, 7, v62
	v_cmp_gt_u32_e32 vcc, 8, v44
	v_cndmask_b32_e32 v44, v61, v63, vcc
	v_cndmask_b32_e32 v53, v53, v62, vcc
	v_lshlrev_b32_e32 v46, 24, v46
	v_lshlrev_b32_e32 v53, 20, v53
	v_and_b32_e32 v46, 0x80000000, v46
	v_lshl_add_u32 v44, v44, 23, v48
	v_or3_b32 v53, v46, v44, v53
.LBB658_331:                            ;   in Loop: Header=BB658_213 Depth=1
	s_or_b64 exec, exec, s[18:19]
.LBB658_332:                            ;   in Loop: Header=BB658_213 Depth=1
	s_or_b64 exec, exec, s[16:17]
.LBB658_333:                            ;   in Loop: Header=BB658_213 Depth=1
	s_or_b64 exec, exec, s[14:15]
	s_waitcnt vmcnt(2)
	v_cmp_ne_u16_sdwa s[16:17], v42, v47 src0_sel:BYTE_0 src1_sel:DWORD
	s_and_saveexec_b64 s[14:15], s[16:17]
	s_cbranch_execz .LBB658_339
; %bb.334:                              ;   in Loop: Header=BB658_213 Depth=1
	v_cmp_ne_u16_sdwa s[18:19], v42, s9 src0_sel:BYTE_0 src1_sel:DWORD
	v_bfrev_b32_e32 v52, 1
	s_and_saveexec_b64 s[16:17], s[18:19]
	s_cbranch_execz .LBB658_338
; %bb.335:                              ;   in Loop: Header=BB658_213 Depth=1
	v_and_b32_e32 v44, 0x7f, v42
	v_cmp_ne_u32_e32 vcc, s21, v44
	v_mov_b32_e32 v52, 0x7f800001
	s_and_saveexec_b64 s[18:19], vcc
	s_cbranch_execz .LBB658_337
; %bb.336:                              ;   in Loop: Header=BB658_213 Depth=1
	v_and_b32_e32 v46, 7, v42
	v_ffbh_u32_e32 v61, v46
	v_min_u32_e32 v61, 32, v61
	v_subrev_u32_e32 v62, 28, v61
	v_lshlrev_b64 v[62:63], v62, v[42:43]
	v_lshrrev_b32_e32 v52, 3, v44
	v_sub_u32_e32 v61, 29, v61
	v_and_b32_e32 v62, 7, v62
	v_cmp_gt_u32_e32 vcc, 8, v44
	v_cndmask_b32_e32 v44, v52, v61, vcc
	v_cndmask_b32_e32 v46, v46, v62, vcc
	v_lshlrev_b32_e32 v52, 24, v42
	v_lshlrev_b32_e32 v46, 20, v46
	v_and_b32_e32 v52, 0x80000000, v52
	v_lshl_add_u32 v44, v44, 23, v48
	v_or3_b32 v52, v52, v44, v46
.LBB658_337:                            ;   in Loop: Header=BB658_213 Depth=1
	s_or_b64 exec, exec, s[18:19]
.LBB658_338:                            ;   in Loop: Header=BB658_213 Depth=1
	s_or_b64 exec, exec, s[16:17]
.LBB658_339:                            ;   in Loop: Header=BB658_213 Depth=1
	s_or_b64 exec, exec, s[14:15]
	v_lshrrev_b16_e32 v44, 8, v42
	v_cmp_ne_u16_e32 vcc, 0, v44
	v_mov_b32_e32 v61, 0
	v_mov_b32_e32 v62, 0
	s_and_saveexec_b64 s[14:15], vcc
	s_cbranch_execz .LBB658_345
; %bb.340:                              ;   in Loop: Header=BB658_213 Depth=1
	v_cmp_ne_u16_e32 vcc, s9, v44
	v_bfrev_b32_e32 v62, 1
	s_and_saveexec_b64 s[16:17], vcc
	s_cbranch_execz .LBB658_344
; %bb.341:                              ;   in Loop: Header=BB658_213 Depth=1
	v_and_b32_e32 v46, 0x7f, v44
	v_cmp_ne_u32_e32 vcc, s21, v46
	v_mov_b32_e32 v62, 0x7f800001
	s_and_saveexec_b64 s[18:19], vcc
	s_cbranch_execz .LBB658_343
; %bb.342:                              ;   in Loop: Header=BB658_213 Depth=1
	v_and_b32_e32 v64, 7, v44
	v_ffbh_u32_e32 v62, v64
	v_min_u32_e32 v66, 32, v62
	v_subrev_u32_e32 v62, 28, v66
	v_lshlrev_b64 v[62:63], v62, v[44:45]
	v_lshrrev_b32_e32 v65, 3, v46
	v_sub_u32_e32 v44, 29, v66
	v_and_b32_e32 v62, 7, v62
	v_cmp_gt_u32_e32 vcc, 8, v46
	v_cndmask_b32_e32 v44, v65, v44, vcc
	v_cndmask_b32_e32 v46, v64, v62, vcc
	v_lshlrev_b32_e32 v62, 16, v42
	v_lshlrev_b32_e32 v46, 20, v46
	v_and_b32_e32 v62, 0x80000000, v62
	v_lshl_add_u32 v44, v44, 23, v48
	v_or3_b32 v62, v62, v44, v46
.LBB658_343:                            ;   in Loop: Header=BB658_213 Depth=1
	s_or_b64 exec, exec, s[18:19]
.LBB658_344:                            ;   in Loop: Header=BB658_213 Depth=1
	s_or_b64 exec, exec, s[16:17]
.LBB658_345:                            ;   in Loop: Header=BB658_213 Depth=1
	s_or_b64 exec, exec, s[14:15]
	v_lshrrev_b32_e32 v44, 16, v42
	v_cmp_ne_u16_sdwa s[16:17], v44, v47 src0_sel:BYTE_0 src1_sel:DWORD
	s_and_saveexec_b64 s[14:15], s[16:17]
	s_cbranch_execz .LBB658_351
; %bb.346:                              ;   in Loop: Header=BB658_213 Depth=1
	v_cmp_ne_u16_sdwa s[18:19], v44, s9 src0_sel:BYTE_0 src1_sel:DWORD
	v_bfrev_b32_e32 v61, 1
	s_and_saveexec_b64 s[16:17], s[18:19]
	s_cbranch_execz .LBB658_350
; %bb.347:                              ;   in Loop: Header=BB658_213 Depth=1
	v_bfe_u32 v46, v42, 16, 7
	v_cmp_ne_u32_e32 vcc, s21, v46
	v_mov_b32_e32 v61, 0x7f800001
	s_and_saveexec_b64 s[18:19], vcc
	s_cbranch_execz .LBB658_349
; %bb.348:                              ;   in Loop: Header=BB658_213 Depth=1
	v_and_b32_e32 v61, 7, v44
	v_ffbh_u32_e32 v64, v61
	v_min_u32_e32 v66, 32, v64
	v_subrev_u32_e32 v64, 28, v66
	v_lshlrev_b64 v[64:65], v64, v[44:45]
	v_lshrrev_b32_e32 v63, 3, v46
	v_sub_u32_e32 v65, 29, v66
	v_and_b32_e32 v64, 7, v64
	v_cmp_gt_u32_e32 vcc, 8, v46
	v_cndmask_b32_e32 v46, v63, v65, vcc
	v_cndmask_b32_e32 v61, v61, v64, vcc
	v_lshlrev_b32_e32 v44, 24, v44
	v_lshlrev_b32_e32 v61, 20, v61
	v_and_b32_e32 v44, 0x80000000, v44
	v_lshl_add_u32 v46, v46, 23, v48
	v_or3_b32 v61, v44, v46, v61
.LBB658_349:                            ;   in Loop: Header=BB658_213 Depth=1
	s_or_b64 exec, exec, s[18:19]
.LBB658_350:                            ;   in Loop: Header=BB658_213 Depth=1
	s_or_b64 exec, exec, s[16:17]
.LBB658_351:                            ;   in Loop: Header=BB658_213 Depth=1
	s_or_b64 exec, exec, s[14:15]
	v_cmp_lt_u32_e32 vcc, s22, v42
	v_mov_b32_e32 v46, 0
	v_mov_b32_e32 v63, 0
	s_and_saveexec_b64 s[14:15], vcc
	s_cbranch_execz .LBB658_357
; %bb.352:                              ;   in Loop: Header=BB658_213 Depth=1
	v_lshrrev_b32_e32 v44, 24, v42
	v_cmp_ne_u32_e32 vcc, s9, v44
	v_bfrev_b32_e32 v63, 1
	s_and_saveexec_b64 s[16:17], vcc
	s_cbranch_execz .LBB658_356
; %bb.353:                              ;   in Loop: Header=BB658_213 Depth=1
	v_bfe_u32 v42, v42, 24, 7
	v_cmp_ne_u32_e32 vcc, s21, v42
	v_mov_b32_e32 v63, 0x7f800001
	s_and_saveexec_b64 s[18:19], vcc
	s_cbranch_execz .LBB658_355
; %bb.354:                              ;   in Loop: Header=BB658_213 Depth=1
	v_and_b32_e32 v63, 7, v44
	v_ffbh_u32_e32 v64, v63
	v_min_u32_e32 v67, 32, v64
	v_subrev_u32_e32 v64, 28, v67
	v_lshlrev_b64 v[64:65], v64, v[44:45]
	v_lshrrev_b32_e32 v66, 3, v42
	v_sub_u32_e32 v65, 29, v67
	v_and_b32_e32 v64, 7, v64
	v_cmp_gt_u32_e32 vcc, 8, v42
	v_cndmask_b32_e32 v42, v66, v65, vcc
	v_cndmask_b32_e32 v63, v63, v64, vcc
	v_lshlrev_b32_e32 v44, 24, v44
	v_lshlrev_b32_e32 v63, 20, v63
	v_and_b32_e32 v44, 0x80000000, v44
	v_lshl_add_u32 v42, v42, 23, v48
	v_or3_b32 v63, v44, v42, v63
.LBB658_355:                            ;   in Loop: Header=BB658_213 Depth=1
	s_or_b64 exec, exec, s[18:19]
.LBB658_356:                            ;   in Loop: Header=BB658_213 Depth=1
	s_or_b64 exec, exec, s[16:17]
.LBB658_357:                            ;   in Loop: Header=BB658_213 Depth=1
	s_or_b64 exec, exec, s[14:15]
	v_cvt_pkrtz_f16_f32 v64, v49, v51
	v_cvt_pkrtz_f16_f32 v65, v50, v53
	;; [unrolled: 1-line block ×4, first 2 shown]
	s_waitcnt vmcnt(1)
	v_cmp_ne_u16_sdwa s[16:17], v40, v47 src0_sel:BYTE_0 src1_sel:DWORD
	v_mfma_f32_16x16x16f16 v[34:37], v[64:65], v[10:11], v[34:37]
	v_mfma_f32_16x16x16f16 v[34:37], v[50:51], v[12:13], v[34:37]
	s_and_saveexec_b64 s[14:15], s[16:17]
	s_cbranch_execz .LBB658_363
; %bb.358:                              ;   in Loop: Header=BB658_213 Depth=1
	v_cmp_ne_u16_sdwa s[18:19], v40, s9 src0_sel:BYTE_0 src1_sel:DWORD
	v_bfrev_b32_e32 v46, 1
	s_and_saveexec_b64 s[16:17], s[18:19]
	s_cbranch_execz .LBB658_362
; %bb.359:                              ;   in Loop: Header=BB658_213 Depth=1
	v_and_b32_e32 v42, 0x7f, v40
	v_cmp_ne_u32_e32 vcc, s21, v42
	v_mov_b32_e32 v46, 0x7f800001
	s_and_saveexec_b64 s[18:19], vcc
	s_cbranch_execz .LBB658_361
; %bb.360:                              ;   in Loop: Header=BB658_213 Depth=1
	v_and_b32_e32 v44, 7, v40
	v_ffbh_u32_e32 v49, v44
	v_min_u32_e32 v49, 32, v49
	v_subrev_u32_e32 v50, 28, v49
	v_lshlrev_b64 v[50:51], v50, v[40:41]
	v_lshrrev_b32_e32 v46, 3, v42
	v_sub_u32_e32 v49, 29, v49
	v_and_b32_e32 v50, 7, v50
	v_cmp_gt_u32_e32 vcc, 8, v42
	v_cndmask_b32_e32 v42, v46, v49, vcc
	v_cndmask_b32_e32 v44, v44, v50, vcc
	v_lshlrev_b32_e32 v46, 24, v40
	v_lshlrev_b32_e32 v44, 20, v44
	v_and_b32_e32 v46, 0x80000000, v46
	v_lshl_add_u32 v42, v42, 23, v48
	v_or3_b32 v46, v46, v42, v44
.LBB658_361:                            ;   in Loop: Header=BB658_213 Depth=1
	s_or_b64 exec, exec, s[18:19]
.LBB658_362:                            ;   in Loop: Header=BB658_213 Depth=1
	s_or_b64 exec, exec, s[16:17]
.LBB658_363:                            ;   in Loop: Header=BB658_213 Depth=1
	s_or_b64 exec, exec, s[14:15]
	v_lshrrev_b16_e32 v42, 8, v40
	v_cmp_ne_u16_e32 vcc, 0, v42
	v_mov_b32_e32 v44, 0
	v_mov_b32_e32 v50, 0
	s_and_saveexec_b64 s[14:15], vcc
	s_cbranch_execz .LBB658_369
; %bb.364:                              ;   in Loop: Header=BB658_213 Depth=1
	v_cmp_ne_u16_e32 vcc, s9, v42
	v_bfrev_b32_e32 v50, 1
	s_and_saveexec_b64 s[16:17], vcc
	s_cbranch_execz .LBB658_368
; %bb.365:                              ;   in Loop: Header=BB658_213 Depth=1
	v_and_b32_e32 v49, 0x7f, v42
	v_cmp_ne_u32_e32 vcc, s21, v49
	v_mov_b32_e32 v50, 0x7f800001
	s_and_saveexec_b64 s[18:19], vcc
	s_cbranch_execz .LBB658_367
; %bb.366:                              ;   in Loop: Header=BB658_213 Depth=1
	v_and_b32_e32 v52, 7, v42
	v_ffbh_u32_e32 v50, v52
	v_min_u32_e32 v61, 32, v50
	v_subrev_u32_e32 v50, 28, v61
	v_lshlrev_b64 v[50:51], v50, v[42:43]
	v_lshrrev_b32_e32 v53, 3, v49
	v_sub_u32_e32 v42, 29, v61
	v_and_b32_e32 v50, 7, v50
	v_cmp_gt_u32_e32 vcc, 8, v49
	v_cndmask_b32_e32 v42, v53, v42, vcc
	v_cndmask_b32_e32 v49, v52, v50, vcc
	v_lshlrev_b32_e32 v50, 16, v40
	v_lshlrev_b32_e32 v49, 20, v49
	v_and_b32_e32 v50, 0x80000000, v50
	v_lshl_add_u32 v42, v42, 23, v48
	v_or3_b32 v50, v50, v42, v49
.LBB658_367:                            ;   in Loop: Header=BB658_213 Depth=1
	s_or_b64 exec, exec, s[18:19]
.LBB658_368:                            ;   in Loop: Header=BB658_213 Depth=1
	s_or_b64 exec, exec, s[16:17]
.LBB658_369:                            ;   in Loop: Header=BB658_213 Depth=1
	s_or_b64 exec, exec, s[14:15]
	v_lshrrev_b32_e32 v42, 16, v40
	v_cmp_ne_u16_sdwa s[16:17], v42, v47 src0_sel:BYTE_0 src1_sel:DWORD
	s_and_saveexec_b64 s[14:15], s[16:17]
	s_cbranch_execz .LBB658_375
; %bb.370:                              ;   in Loop: Header=BB658_213 Depth=1
	v_cmp_ne_u16_sdwa s[18:19], v42, s9 src0_sel:BYTE_0 src1_sel:DWORD
	v_bfrev_b32_e32 v44, 1
	s_and_saveexec_b64 s[16:17], s[18:19]
	s_cbranch_execz .LBB658_374
; %bb.371:                              ;   in Loop: Header=BB658_213 Depth=1
	v_bfe_u32 v49, v40, 16, 7
	v_cmp_ne_u32_e32 vcc, s21, v49
	v_mov_b32_e32 v44, 0x7f800001
	s_and_saveexec_b64 s[18:19], vcc
	s_cbranch_execz .LBB658_373
; %bb.372:                              ;   in Loop: Header=BB658_213 Depth=1
	v_and_b32_e32 v44, 7, v42
	v_ffbh_u32_e32 v52, v44
	v_min_u32_e32 v61, 32, v52
	v_subrev_u32_e32 v52, 28, v61
	v_lshlrev_b64 v[52:53], v52, v[42:43]
	v_lshrrev_b32_e32 v51, 3, v49
	v_sub_u32_e32 v53, 29, v61
	v_and_b32_e32 v52, 7, v52
	v_cmp_gt_u32_e32 vcc, 8, v49
	v_cndmask_b32_e32 v49, v51, v53, vcc
	v_cndmask_b32_e32 v44, v44, v52, vcc
	v_lshlrev_b32_e32 v42, 24, v42
	v_lshlrev_b32_e32 v44, 20, v44
	v_and_b32_e32 v42, 0x80000000, v42
	v_lshl_add_u32 v49, v49, 23, v48
	v_or3_b32 v44, v42, v49, v44
.LBB658_373:                            ;   in Loop: Header=BB658_213 Depth=1
	s_or_b64 exec, exec, s[18:19]
.LBB658_374:                            ;   in Loop: Header=BB658_213 Depth=1
	s_or_b64 exec, exec, s[16:17]
.LBB658_375:                            ;   in Loop: Header=BB658_213 Depth=1
	s_or_b64 exec, exec, s[14:15]
	v_cmp_lt_u32_e32 vcc, s22, v40
	v_mov_b32_e32 v51, 0
	v_mov_b32_e32 v52, 0
	s_and_saveexec_b64 s[14:15], vcc
	s_cbranch_execz .LBB658_381
; %bb.376:                              ;   in Loop: Header=BB658_213 Depth=1
	v_lshrrev_b32_e32 v42, 24, v40
	v_cmp_ne_u32_e32 vcc, s9, v42
	v_bfrev_b32_e32 v52, 1
	s_and_saveexec_b64 s[16:17], vcc
	s_cbranch_execz .LBB658_380
; %bb.377:                              ;   in Loop: Header=BB658_213 Depth=1
	v_bfe_u32 v40, v40, 24, 7
	v_cmp_ne_u32_e32 vcc, s21, v40
	v_mov_b32_e32 v52, 0x7f800001
	s_and_saveexec_b64 s[18:19], vcc
	s_cbranch_execz .LBB658_379
; %bb.378:                              ;   in Loop: Header=BB658_213 Depth=1
	v_and_b32_e32 v49, 7, v42
	v_ffbh_u32_e32 v52, v49
	v_min_u32_e32 v62, 32, v52
	v_subrev_u32_e32 v52, 28, v62
	v_lshlrev_b64 v[52:53], v52, v[42:43]
	v_lshrrev_b32_e32 v61, 3, v40
	v_sub_u32_e32 v53, 29, v62
	v_and_b32_e32 v52, 7, v52
	v_cmp_gt_u32_e32 vcc, 8, v40
	v_cndmask_b32_e32 v40, v61, v53, vcc
	v_cndmask_b32_e32 v49, v49, v52, vcc
	v_lshlrev_b32_e32 v42, 24, v42
	v_lshlrev_b32_e32 v49, 20, v49
	v_and_b32_e32 v42, 0x80000000, v42
	v_lshl_add_u32 v40, v40, 23, v48
	v_or3_b32 v52, v42, v40, v49
.LBB658_379:                            ;   in Loop: Header=BB658_213 Depth=1
	s_or_b64 exec, exec, s[18:19]
.LBB658_380:                            ;   in Loop: Header=BB658_213 Depth=1
	s_or_b64 exec, exec, s[16:17]
.LBB658_381:                            ;   in Loop: Header=BB658_213 Depth=1
	s_or_b64 exec, exec, s[14:15]
	s_waitcnt vmcnt(0)
	v_cmp_ne_u16_sdwa s[16:17], v38, v47 src0_sel:BYTE_0 src1_sel:DWORD
	s_and_saveexec_b64 s[14:15], s[16:17]
	s_cbranch_execz .LBB658_387
; %bb.382:                              ;   in Loop: Header=BB658_213 Depth=1
	v_cmp_ne_u16_sdwa s[18:19], v38, s9 src0_sel:BYTE_0 src1_sel:DWORD
	v_bfrev_b32_e32 v51, 1
	s_and_saveexec_b64 s[16:17], s[18:19]
	s_cbranch_execz .LBB658_386
; %bb.383:                              ;   in Loop: Header=BB658_213 Depth=1
	v_and_b32_e32 v40, 0x7f, v38
	v_cmp_ne_u32_e32 vcc, s21, v40
	v_mov_b32_e32 v51, 0x7f800001
	s_and_saveexec_b64 s[18:19], vcc
	s_cbranch_execz .LBB658_385
; %bb.384:                              ;   in Loop: Header=BB658_213 Depth=1
	v_and_b32_e32 v42, 7, v38
	v_ffbh_u32_e32 v51, v42
	v_min_u32_e32 v51, 32, v51
	v_subrev_u32_e32 v53, 28, v51
	v_lshlrev_b64 v[62:63], v53, v[38:39]
	v_lshrrev_b32_e32 v49, 3, v40
	v_sub_u32_e32 v51, 29, v51
	v_and_b32_e32 v53, 7, v62
	v_cmp_gt_u32_e32 vcc, 8, v40
	v_cndmask_b32_e32 v40, v49, v51, vcc
	v_cndmask_b32_e32 v42, v42, v53, vcc
	v_lshlrev_b32_e32 v49, 24, v38
	v_lshlrev_b32_e32 v42, 20, v42
	v_and_b32_e32 v49, 0x80000000, v49
	v_lshl_add_u32 v40, v40, 23, v48
	v_or3_b32 v51, v49, v40, v42
.LBB658_385:                            ;   in Loop: Header=BB658_213 Depth=1
	s_or_b64 exec, exec, s[18:19]
.LBB658_386:                            ;   in Loop: Header=BB658_213 Depth=1
	s_or_b64 exec, exec, s[16:17]
.LBB658_387:                            ;   in Loop: Header=BB658_213 Depth=1
	s_or_b64 exec, exec, s[14:15]
	v_lshrrev_b16_e32 v40, 8, v38
	v_cmp_ne_u16_e32 vcc, 0, v40
	v_mov_b32_e32 v53, 0
	v_mov_b32_e32 v61, 0
	s_and_saveexec_b64 s[14:15], vcc
	s_cbranch_execz .LBB658_393
; %bb.388:                              ;   in Loop: Header=BB658_213 Depth=1
	v_cmp_ne_u16_e32 vcc, s9, v40
	v_bfrev_b32_e32 v61, 1
	s_and_saveexec_b64 s[16:17], vcc
	s_cbranch_execz .LBB658_392
; %bb.389:                              ;   in Loop: Header=BB658_213 Depth=1
	v_and_b32_e32 v42, 0x7f, v40
	v_cmp_ne_u32_e32 vcc, s21, v42
	v_mov_b32_e32 v61, 0x7f800001
	s_and_saveexec_b64 s[18:19], vcc
	s_cbranch_execz .LBB658_391
; %bb.390:                              ;   in Loop: Header=BB658_213 Depth=1
	v_and_b32_e32 v49, 7, v40
	v_ffbh_u32_e32 v62, v49
	v_min_u32_e32 v64, 32, v62
	v_subrev_u32_e32 v62, 28, v64
	v_lshlrev_b64 v[62:63], v62, v[40:41]
	v_lshrrev_b32_e32 v61, 3, v42
	v_sub_u32_e32 v40, 29, v64
	v_and_b32_e32 v62, 7, v62
	v_cmp_gt_u32_e32 vcc, 8, v42
	v_cndmask_b32_e32 v40, v61, v40, vcc
	v_cndmask_b32_e32 v42, v49, v62, vcc
	v_lshlrev_b32_e32 v49, 16, v38
	v_lshlrev_b32_e32 v42, 20, v42
	v_and_b32_e32 v49, 0x80000000, v49
	v_lshl_add_u32 v40, v40, 23, v48
	v_or3_b32 v61, v49, v40, v42
.LBB658_391:                            ;   in Loop: Header=BB658_213 Depth=1
	s_or_b64 exec, exec, s[18:19]
.LBB658_392:                            ;   in Loop: Header=BB658_213 Depth=1
	s_or_b64 exec, exec, s[16:17]
.LBB658_393:                            ;   in Loop: Header=BB658_213 Depth=1
	s_or_b64 exec, exec, s[14:15]
	v_lshrrev_b32_e32 v40, 16, v38
	v_cmp_ne_u16_sdwa s[16:17], v40, v47 src0_sel:BYTE_0 src1_sel:DWORD
	s_and_saveexec_b64 s[14:15], s[16:17]
	s_cbranch_execz .LBB658_399
; %bb.394:                              ;   in Loop: Header=BB658_213 Depth=1
	v_cmp_ne_u16_sdwa s[18:19], v40, s9 src0_sel:BYTE_0 src1_sel:DWORD
	v_bfrev_b32_e32 v53, 1
	s_and_saveexec_b64 s[16:17], s[18:19]
	s_cbranch_execz .LBB658_398
; %bb.395:                              ;   in Loop: Header=BB658_213 Depth=1
	v_bfe_u32 v42, v38, 16, 7
	v_cmp_ne_u32_e32 vcc, s21, v42
	v_mov_b32_e32 v53, 0x7f800001
	s_and_saveexec_b64 s[18:19], vcc
	s_cbranch_execz .LBB658_397
; %bb.396:                              ;   in Loop: Header=BB658_213 Depth=1
	v_and_b32_e32 v49, 7, v40
	v_ffbh_u32_e32 v62, v49
	v_min_u32_e32 v64, 32, v62
	v_subrev_u32_e32 v62, 28, v64
	v_lshlrev_b64 v[62:63], v62, v[40:41]
	v_lshrrev_b32_e32 v53, 3, v42
	v_sub_u32_e32 v63, 29, v64
	v_and_b32_e32 v62, 7, v62
	v_cmp_gt_u32_e32 vcc, 8, v42
	v_cndmask_b32_e32 v42, v53, v63, vcc
	v_cndmask_b32_e32 v49, v49, v62, vcc
	v_lshlrev_b32_e32 v40, 24, v40
	v_lshlrev_b32_e32 v49, 20, v49
	v_and_b32_e32 v40, 0x80000000, v40
	v_lshl_add_u32 v42, v42, 23, v48
	v_or3_b32 v53, v40, v42, v49
.LBB658_397:                            ;   in Loop: Header=BB658_213 Depth=1
	s_or_b64 exec, exec, s[18:19]
.LBB658_398:                            ;   in Loop: Header=BB658_213 Depth=1
	s_or_b64 exec, exec, s[16:17]
.LBB658_399:                            ;   in Loop: Header=BB658_213 Depth=1
	s_or_b64 exec, exec, s[14:15]
	v_cmp_lt_u32_e32 vcc, s22, v38
	v_mov_b32_e32 v49, 0
	v_mov_b32_e32 v62, 0
	s_and_saveexec_b64 s[14:15], vcc
	s_cbranch_execz .LBB658_405
; %bb.400:                              ;   in Loop: Header=BB658_213 Depth=1
	v_lshrrev_b32_e32 v40, 24, v38
	v_cmp_ne_u32_e32 vcc, s9, v40
	v_bfrev_b32_e32 v62, 1
	s_and_saveexec_b64 s[16:17], vcc
	s_cbranch_execz .LBB658_404
; %bb.401:                              ;   in Loop: Header=BB658_213 Depth=1
	v_bfe_u32 v38, v38, 24, 7
	v_cmp_ne_u32_e32 vcc, s21, v38
	v_mov_b32_e32 v62, 0x7f800001
	s_and_saveexec_b64 s[18:19], vcc
	s_cbranch_execz .LBB658_403
; %bb.402:                              ;   in Loop: Header=BB658_213 Depth=1
	v_and_b32_e32 v42, 7, v40
	v_ffbh_u32_e32 v62, v42
	v_min_u32_e32 v65, 32, v62
	v_subrev_u32_e32 v62, 28, v65
	v_lshlrev_b64 v[62:63], v62, v[40:41]
	v_lshrrev_b32_e32 v64, 3, v38
	v_sub_u32_e32 v63, 29, v65
	v_and_b32_e32 v62, 7, v62
	v_cmp_gt_u32_e32 vcc, 8, v38
	v_cndmask_b32_e32 v38, v64, v63, vcc
	v_cndmask_b32_e32 v42, v42, v62, vcc
	v_lshlrev_b32_e32 v40, 24, v40
	v_lshlrev_b32_e32 v42, 20, v42
	v_and_b32_e32 v40, 0x80000000, v40
	v_lshl_add_u32 v38, v38, 23, v48
	v_or3_b32 v62, v40, v38, v42
.LBB658_403:                            ;   in Loop: Header=BB658_213 Depth=1
	s_or_b64 exec, exec, s[18:19]
.LBB658_404:                            ;   in Loop: Header=BB658_213 Depth=1
	s_or_b64 exec, exec, s[16:17]
.LBB658_405:                            ;   in Loop: Header=BB658_213 Depth=1
	s_or_b64 exec, exec, s[14:15]
	v_cvt_pkrtz_f16_f32 v65, v44, v52
	buffer_load_dword v44, v60, s[0:3], 0 offen
	buffer_load_dword v42, v60, s[0:3], 0 offen offset:4
	buffer_load_dword v40, v60, s[0:3], 0 offen offset:8
	;; [unrolled: 1-line block ×3, first 2 shown]
	v_cvt_pkrtz_f16_f32 v64, v46, v50
	v_cvt_pkrtz_f16_f32 v50, v51, v61
	;; [unrolled: 1-line block ×3, first 2 shown]
	v_mfma_f32_16x16x16f16 v[34:37], v[64:65], v[14:15], v[34:37]
	s_waitcnt vmcnt(3)
	v_cmp_ne_u16_sdwa s[16:17], v44, v47 src0_sel:BYTE_0 src1_sel:DWORD
	v_mfma_f32_16x16x16f16 v[34:37], v[50:51], v[16:17], v[34:37]
	s_and_saveexec_b64 s[14:15], s[16:17]
	s_cbranch_execz .LBB658_411
; %bb.406:                              ;   in Loop: Header=BB658_213 Depth=1
	v_cmp_ne_u16_sdwa s[18:19], v44, s9 src0_sel:BYTE_0 src1_sel:DWORD
	v_bfrev_b32_e32 v49, 1
	s_and_saveexec_b64 s[16:17], s[18:19]
	s_cbranch_execz .LBB658_410
; %bb.407:                              ;   in Loop: Header=BB658_213 Depth=1
	v_and_b32_e32 v46, 0x7f, v44
	v_cmp_ne_u32_e32 vcc, s21, v46
	v_mov_b32_e32 v49, 0x7f800001
	s_and_saveexec_b64 s[18:19], vcc
	s_cbranch_execz .LBB658_409
; %bb.408:                              ;   in Loop: Header=BB658_213 Depth=1
	v_and_b32_e32 v49, 7, v44
	v_ffbh_u32_e32 v50, v49
	v_min_u32_e32 v53, 32, v50
	v_subrev_u32_e32 v50, 28, v53
	v_lshlrev_b64 v[50:51], v50, v[44:45]
	v_lshrrev_b32_e32 v52, 3, v46
	v_sub_u32_e32 v51, 29, v53
	v_and_b32_e32 v50, 7, v50
	v_cmp_gt_u32_e32 vcc, 8, v46
	v_cndmask_b32_e32 v46, v52, v51, vcc
	v_cndmask_b32_e32 v49, v49, v50, vcc
	v_lshlrev_b32_e32 v50, 24, v44
	v_lshlrev_b32_e32 v49, 20, v49
	v_and_b32_e32 v50, 0x80000000, v50
	v_lshl_add_u32 v46, v46, 23, v48
	v_or3_b32 v49, v50, v46, v49
.LBB658_409:                            ;   in Loop: Header=BB658_213 Depth=1
	s_or_b64 exec, exec, s[18:19]
.LBB658_410:                            ;   in Loop: Header=BB658_213 Depth=1
	s_or_b64 exec, exec, s[16:17]
.LBB658_411:                            ;   in Loop: Header=BB658_213 Depth=1
	s_or_b64 exec, exec, s[14:15]
	v_lshrrev_b16_e32 v46, 8, v44
	v_cmp_ne_u16_e32 vcc, 0, v46
	v_mov_b32_e32 v50, 0
	v_mov_b32_e32 v51, 0
	s_and_saveexec_b64 s[14:15], vcc
	s_cbranch_execz .LBB658_417
; %bb.412:                              ;   in Loop: Header=BB658_213 Depth=1
	v_cmp_ne_u16_e32 vcc, s9, v46
	v_bfrev_b32_e32 v51, 1
	s_and_saveexec_b64 s[16:17], vcc
	s_cbranch_execz .LBB658_416
; %bb.413:                              ;   in Loop: Header=BB658_213 Depth=1
	v_and_b32_e32 v52, 0x7f, v46
	v_cmp_ne_u32_e32 vcc, s21, v52
	v_mov_b32_e32 v51, 0x7f800001
	s_and_saveexec_b64 s[18:19], vcc
	s_cbranch_execz .LBB658_415
; %bb.414:                              ;   in Loop: Header=BB658_213 Depth=1
	v_and_b32_e32 v51, 7, v46
	v_ffbh_u32_e32 v60, v51
	v_min_u32_e32 v62, 32, v60
	v_subrev_u32_e32 v60, 28, v62
	v_lshlrev_b64 v[60:61], v60, v[46:47]
	v_lshrrev_b32_e32 v53, 3, v52
	v_sub_u32_e32 v46, 29, v62
	v_and_b32_e32 v60, 7, v60
	v_cmp_gt_u32_e32 vcc, 8, v52
	v_cndmask_b32_e32 v46, v53, v46, vcc
	v_cndmask_b32_e32 v51, v51, v60, vcc
	v_lshlrev_b32_e32 v52, 16, v44
	v_lshlrev_b32_e32 v51, 20, v51
	v_and_b32_e32 v52, 0x80000000, v52
	v_lshl_add_u32 v46, v46, 23, v48
	v_or3_b32 v51, v52, v46, v51
.LBB658_415:                            ;   in Loop: Header=BB658_213 Depth=1
	s_or_b64 exec, exec, s[18:19]
.LBB658_416:                            ;   in Loop: Header=BB658_213 Depth=1
	s_or_b64 exec, exec, s[16:17]
.LBB658_417:                            ;   in Loop: Header=BB658_213 Depth=1
	s_or_b64 exec, exec, s[14:15]
	v_lshrrev_b32_e32 v46, 16, v44
	v_cmp_ne_u16_sdwa s[16:17], v46, v47 src0_sel:BYTE_0 src1_sel:DWORD
	s_and_saveexec_b64 s[14:15], s[16:17]
	s_cbranch_execz .LBB658_423
; %bb.418:                              ;   in Loop: Header=BB658_213 Depth=1
	v_cmp_ne_u16_sdwa s[18:19], v46, s9 src0_sel:BYTE_0 src1_sel:DWORD
	v_bfrev_b32_e32 v50, 1
	s_and_saveexec_b64 s[16:17], s[18:19]
	s_cbranch_execz .LBB658_422
; %bb.419:                              ;   in Loop: Header=BB658_213 Depth=1
	v_bfe_u32 v52, v44, 16, 7
	v_cmp_ne_u32_e32 vcc, s21, v52
	v_mov_b32_e32 v50, 0x7f800001
	s_and_saveexec_b64 s[18:19], vcc
	s_cbranch_execz .LBB658_421
; %bb.420:                              ;   in Loop: Header=BB658_213 Depth=1
	v_and_b32_e32 v50, 7, v46
	v_ffbh_u32_e32 v60, v50
	v_min_u32_e32 v62, 32, v60
	v_subrev_u32_e32 v60, 28, v62
	v_lshlrev_b64 v[60:61], v60, v[46:47]
	v_lshrrev_b32_e32 v53, 3, v52
	v_sub_u32_e32 v61, 29, v62
	v_and_b32_e32 v60, 7, v60
	v_cmp_gt_u32_e32 vcc, 8, v52
	v_cndmask_b32_e32 v52, v53, v61, vcc
	v_cndmask_b32_e32 v50, v50, v60, vcc
	v_lshlrev_b32_e32 v46, 24, v46
	v_lshlrev_b32_e32 v50, 20, v50
	v_and_b32_e32 v46, 0x80000000, v46
	v_lshl_add_u32 v52, v52, 23, v48
	v_or3_b32 v50, v46, v52, v50
.LBB658_421:                            ;   in Loop: Header=BB658_213 Depth=1
	s_or_b64 exec, exec, s[18:19]
.LBB658_422:                            ;   in Loop: Header=BB658_213 Depth=1
	s_or_b64 exec, exec, s[16:17]
.LBB658_423:                            ;   in Loop: Header=BB658_213 Depth=1
	s_or_b64 exec, exec, s[14:15]
	v_cmp_lt_u32_e32 vcc, s22, v44
	v_mov_b32_e32 v52, 0
	v_mov_b32_e32 v53, 0
	s_and_saveexec_b64 s[14:15], vcc
	s_cbranch_execz .LBB658_429
; %bb.424:                              ;   in Loop: Header=BB658_213 Depth=1
	v_lshrrev_b32_e32 v46, 24, v44
	v_cmp_ne_u32_e32 vcc, s9, v46
	v_bfrev_b32_e32 v53, 1
	s_and_saveexec_b64 s[16:17], vcc
	s_cbranch_execz .LBB658_428
; %bb.425:                              ;   in Loop: Header=BB658_213 Depth=1
	v_bfe_u32 v44, v44, 24, 7
	v_cmp_ne_u32_e32 vcc, s21, v44
	v_mov_b32_e32 v53, 0x7f800001
	s_and_saveexec_b64 s[18:19], vcc
	s_cbranch_execz .LBB658_427
; %bb.426:                              ;   in Loop: Header=BB658_213 Depth=1
	v_and_b32_e32 v53, 7, v46
	v_ffbh_u32_e32 v60, v53
	v_min_u32_e32 v63, 32, v60
	v_subrev_u32_e32 v60, 28, v63
	v_lshlrev_b64 v[60:61], v60, v[46:47]
	v_lshrrev_b32_e32 v62, 3, v44
	v_sub_u32_e32 v61, 29, v63
	v_and_b32_e32 v60, 7, v60
	v_cmp_gt_u32_e32 vcc, 8, v44
	v_cndmask_b32_e32 v44, v62, v61, vcc
	v_cndmask_b32_e32 v53, v53, v60, vcc
	v_lshlrev_b32_e32 v46, 24, v46
	v_lshlrev_b32_e32 v53, 20, v53
	v_and_b32_e32 v46, 0x80000000, v46
	v_lshl_add_u32 v44, v44, 23, v48
	v_or3_b32 v53, v46, v44, v53
.LBB658_427:                            ;   in Loop: Header=BB658_213 Depth=1
	s_or_b64 exec, exec, s[18:19]
.LBB658_428:                            ;   in Loop: Header=BB658_213 Depth=1
	s_or_b64 exec, exec, s[16:17]
.LBB658_429:                            ;   in Loop: Header=BB658_213 Depth=1
	s_or_b64 exec, exec, s[14:15]
	s_waitcnt vmcnt(2)
	v_cmp_ne_u16_sdwa s[16:17], v42, v47 src0_sel:BYTE_0 src1_sel:DWORD
	s_and_saveexec_b64 s[14:15], s[16:17]
	s_cbranch_execz .LBB658_435
; %bb.430:                              ;   in Loop: Header=BB658_213 Depth=1
	v_cmp_ne_u16_sdwa s[18:19], v42, s9 src0_sel:BYTE_0 src1_sel:DWORD
	v_bfrev_b32_e32 v52, 1
	s_and_saveexec_b64 s[16:17], s[18:19]
	s_cbranch_execz .LBB658_434
; %bb.431:                              ;   in Loop: Header=BB658_213 Depth=1
	v_and_b32_e32 v44, 0x7f, v42
	v_cmp_ne_u32_e32 vcc, s21, v44
	v_mov_b32_e32 v52, 0x7f800001
	s_and_saveexec_b64 s[18:19], vcc
	s_cbranch_execz .LBB658_433
; %bb.432:                              ;   in Loop: Header=BB658_213 Depth=1
	v_and_b32_e32 v46, 7, v42
	v_ffbh_u32_e32 v60, v46
	v_min_u32_e32 v62, 32, v60
	v_subrev_u32_e32 v60, 28, v62
	v_lshlrev_b64 v[60:61], v60, v[42:43]
	v_lshrrev_b32_e32 v52, 3, v44
	v_sub_u32_e32 v61, 29, v62
	v_and_b32_e32 v60, 7, v60
	v_cmp_gt_u32_e32 vcc, 8, v44
	v_cndmask_b32_e32 v44, v52, v61, vcc
	v_cndmask_b32_e32 v46, v46, v60, vcc
	v_lshlrev_b32_e32 v52, 24, v42
	v_lshlrev_b32_e32 v46, 20, v46
	v_and_b32_e32 v52, 0x80000000, v52
	v_lshl_add_u32 v44, v44, 23, v48
	v_or3_b32 v52, v52, v44, v46
.LBB658_433:                            ;   in Loop: Header=BB658_213 Depth=1
	s_or_b64 exec, exec, s[18:19]
.LBB658_434:                            ;   in Loop: Header=BB658_213 Depth=1
	s_or_b64 exec, exec, s[16:17]
.LBB658_435:                            ;   in Loop: Header=BB658_213 Depth=1
	s_or_b64 exec, exec, s[14:15]
	v_lshrrev_b16_e32 v44, 8, v42
	v_cmp_ne_u16_e32 vcc, 0, v44
	v_mov_b32_e32 v60, 0
	v_mov_b32_e32 v61, 0
	s_and_saveexec_b64 s[14:15], vcc
	s_cbranch_execz .LBB658_441
; %bb.436:                              ;   in Loop: Header=BB658_213 Depth=1
	v_cmp_ne_u16_e32 vcc, s9, v44
	v_bfrev_b32_e32 v61, 1
	s_and_saveexec_b64 s[16:17], vcc
	s_cbranch_execz .LBB658_440
; %bb.437:                              ;   in Loop: Header=BB658_213 Depth=1
	v_and_b32_e32 v46, 0x7f, v44
	v_cmp_ne_u32_e32 vcc, s21, v46
	v_mov_b32_e32 v61, 0x7f800001
	s_and_saveexec_b64 s[18:19], vcc
	s_cbranch_execz .LBB658_439
; %bb.438:                              ;   in Loop: Header=BB658_213 Depth=1
	v_and_b32_e32 v61, 7, v44
	v_ffbh_u32_e32 v62, v61
	v_min_u32_e32 v65, 32, v62
	v_subrev_u32_e32 v62, 28, v65
	v_lshlrev_b64 v[62:63], v62, v[44:45]
	v_lshrrev_b32_e32 v64, 3, v46
	v_sub_u32_e32 v44, 29, v65
	v_and_b32_e32 v62, 7, v62
	v_cmp_gt_u32_e32 vcc, 8, v46
	v_cndmask_b32_e32 v44, v64, v44, vcc
	v_cndmask_b32_e32 v46, v61, v62, vcc
	v_lshlrev_b32_e32 v61, 16, v42
	v_lshlrev_b32_e32 v46, 20, v46
	v_and_b32_e32 v61, 0x80000000, v61
	v_lshl_add_u32 v44, v44, 23, v48
	v_or3_b32 v61, v61, v44, v46
.LBB658_439:                            ;   in Loop: Header=BB658_213 Depth=1
	s_or_b64 exec, exec, s[18:19]
.LBB658_440:                            ;   in Loop: Header=BB658_213 Depth=1
	s_or_b64 exec, exec, s[16:17]
.LBB658_441:                            ;   in Loop: Header=BB658_213 Depth=1
	s_or_b64 exec, exec, s[14:15]
	v_lshrrev_b32_e32 v44, 16, v42
	v_cmp_ne_u16_sdwa s[16:17], v44, v47 src0_sel:BYTE_0 src1_sel:DWORD
	s_and_saveexec_b64 s[14:15], s[16:17]
	s_cbranch_execz .LBB658_447
; %bb.442:                              ;   in Loop: Header=BB658_213 Depth=1
	v_cmp_ne_u16_sdwa s[18:19], v44, s9 src0_sel:BYTE_0 src1_sel:DWORD
	v_bfrev_b32_e32 v60, 1
	s_and_saveexec_b64 s[16:17], s[18:19]
	s_cbranch_execz .LBB658_446
; %bb.443:                              ;   in Loop: Header=BB658_213 Depth=1
	v_bfe_u32 v46, v42, 16, 7
	v_cmp_ne_u32_e32 vcc, s21, v46
	v_mov_b32_e32 v60, 0x7f800001
	s_and_saveexec_b64 s[18:19], vcc
	s_cbranch_execz .LBB658_445
; %bb.444:                              ;   in Loop: Header=BB658_213 Depth=1
	v_and_b32_e32 v60, 7, v44
	v_ffbh_u32_e32 v62, v60
	v_min_u32_e32 v65, 32, v62
	v_subrev_u32_e32 v62, 28, v65
	v_lshlrev_b64 v[62:63], v62, v[44:45]
	v_lshrrev_b32_e32 v64, 3, v46
	v_sub_u32_e32 v63, 29, v65
	v_and_b32_e32 v62, 7, v62
	v_cmp_gt_u32_e32 vcc, 8, v46
	v_cndmask_b32_e32 v46, v64, v63, vcc
	v_cndmask_b32_e32 v60, v60, v62, vcc
	v_lshlrev_b32_e32 v44, 24, v44
	v_lshlrev_b32_e32 v60, 20, v60
	v_and_b32_e32 v44, 0x80000000, v44
	v_lshl_add_u32 v46, v46, 23, v48
	v_or3_b32 v60, v44, v46, v60
.LBB658_445:                            ;   in Loop: Header=BB658_213 Depth=1
	s_or_b64 exec, exec, s[18:19]
.LBB658_446:                            ;   in Loop: Header=BB658_213 Depth=1
	s_or_b64 exec, exec, s[16:17]
.LBB658_447:                            ;   in Loop: Header=BB658_213 Depth=1
	s_or_b64 exec, exec, s[14:15]
	v_cmp_lt_u32_e32 vcc, s22, v42
	v_mov_b32_e32 v46, 0
	v_mov_b32_e32 v62, 0
	s_and_saveexec_b64 s[14:15], vcc
	s_cbranch_execz .LBB658_453
; %bb.448:                              ;   in Loop: Header=BB658_213 Depth=1
	v_lshrrev_b32_e32 v44, 24, v42
	v_cmp_ne_u32_e32 vcc, s9, v44
	v_bfrev_b32_e32 v62, 1
	s_and_saveexec_b64 s[16:17], vcc
	s_cbranch_execz .LBB658_452
; %bb.449:                              ;   in Loop: Header=BB658_213 Depth=1
	v_bfe_u32 v42, v42, 24, 7
	v_cmp_ne_u32_e32 vcc, s21, v42
	v_mov_b32_e32 v62, 0x7f800001
	s_and_saveexec_b64 s[18:19], vcc
	s_cbranch_execz .LBB658_451
; %bb.450:                              ;   in Loop: Header=BB658_213 Depth=1
	v_and_b32_e32 v64, 7, v44
	v_ffbh_u32_e32 v62, v64
	v_min_u32_e32 v66, 32, v62
	v_subrev_u32_e32 v62, 28, v66
	v_lshlrev_b64 v[62:63], v62, v[44:45]
	v_lshrrev_b32_e32 v65, 3, v42
	v_sub_u32_e32 v63, 29, v66
	v_and_b32_e32 v62, 7, v62
	v_cmp_gt_u32_e32 vcc, 8, v42
	v_cndmask_b32_e32 v42, v65, v63, vcc
	v_cndmask_b32_e32 v62, v64, v62, vcc
	v_lshlrev_b32_e32 v44, 24, v44
	v_lshlrev_b32_e32 v62, 20, v62
	v_and_b32_e32 v44, 0x80000000, v44
	v_lshl_add_u32 v42, v42, 23, v48
	v_or3_b32 v62, v44, v42, v62
.LBB658_451:                            ;   in Loop: Header=BB658_213 Depth=1
	s_or_b64 exec, exec, s[18:19]
.LBB658_452:                            ;   in Loop: Header=BB658_213 Depth=1
	s_or_b64 exec, exec, s[16:17]
.LBB658_453:                            ;   in Loop: Header=BB658_213 Depth=1
	s_or_b64 exec, exec, s[14:15]
	v_cvt_pkrtz_f16_f32 v64, v49, v51
	v_cvt_pkrtz_f16_f32 v65, v50, v53
	;; [unrolled: 1-line block ×4, first 2 shown]
	s_waitcnt vmcnt(1)
	v_cmp_ne_u16_sdwa s[16:17], v40, v47 src0_sel:BYTE_0 src1_sel:DWORD
	v_mfma_f32_16x16x16f16 v[34:37], v[64:65], v[18:19], v[34:37]
	v_mfma_f32_16x16x16f16 v[34:37], v[50:51], v[20:21], v[34:37]
	s_and_saveexec_b64 s[14:15], s[16:17]
	s_cbranch_execz .LBB658_459
; %bb.454:                              ;   in Loop: Header=BB658_213 Depth=1
	v_cmp_ne_u16_sdwa s[18:19], v40, s9 src0_sel:BYTE_0 src1_sel:DWORD
	v_bfrev_b32_e32 v46, 1
	s_and_saveexec_b64 s[16:17], s[18:19]
	s_cbranch_execz .LBB658_458
; %bb.455:                              ;   in Loop: Header=BB658_213 Depth=1
	v_and_b32_e32 v42, 0x7f, v40
	v_cmp_ne_u32_e32 vcc, s21, v42
	v_mov_b32_e32 v46, 0x7f800001
	s_and_saveexec_b64 s[18:19], vcc
	s_cbranch_execz .LBB658_457
; %bb.456:                              ;   in Loop: Header=BB658_213 Depth=1
	v_and_b32_e32 v44, 7, v40
	v_ffbh_u32_e32 v49, v44
	v_min_u32_e32 v49, 32, v49
	v_subrev_u32_e32 v50, 28, v49
	v_lshlrev_b64 v[50:51], v50, v[40:41]
	v_lshrrev_b32_e32 v46, 3, v42
	v_sub_u32_e32 v49, 29, v49
	v_and_b32_e32 v50, 7, v50
	v_cmp_gt_u32_e32 vcc, 8, v42
	v_cndmask_b32_e32 v42, v46, v49, vcc
	v_cndmask_b32_e32 v44, v44, v50, vcc
	v_lshlrev_b32_e32 v46, 24, v40
	v_lshlrev_b32_e32 v44, 20, v44
	v_and_b32_e32 v46, 0x80000000, v46
	v_lshl_add_u32 v42, v42, 23, v48
	v_or3_b32 v46, v46, v42, v44
.LBB658_457:                            ;   in Loop: Header=BB658_213 Depth=1
	s_or_b64 exec, exec, s[18:19]
.LBB658_458:                            ;   in Loop: Header=BB658_213 Depth=1
	s_or_b64 exec, exec, s[16:17]
.LBB658_459:                            ;   in Loop: Header=BB658_213 Depth=1
	s_or_b64 exec, exec, s[14:15]
	v_lshrrev_b16_e32 v42, 8, v40
	v_cmp_ne_u16_e32 vcc, 0, v42
	v_mov_b32_e32 v44, 0
	v_mov_b32_e32 v50, 0
	s_and_saveexec_b64 s[14:15], vcc
	s_cbranch_execz .LBB658_465
; %bb.460:                              ;   in Loop: Header=BB658_213 Depth=1
	v_cmp_ne_u16_e32 vcc, s9, v42
	v_bfrev_b32_e32 v50, 1
	s_and_saveexec_b64 s[16:17], vcc
	s_cbranch_execz .LBB658_464
; %bb.461:                              ;   in Loop: Header=BB658_213 Depth=1
	v_and_b32_e32 v49, 0x7f, v42
	v_cmp_ne_u32_e32 vcc, s21, v49
	v_mov_b32_e32 v50, 0x7f800001
	s_and_saveexec_b64 s[18:19], vcc
	s_cbranch_execz .LBB658_463
; %bb.462:                              ;   in Loop: Header=BB658_213 Depth=1
	v_and_b32_e32 v52, 7, v42
	v_ffbh_u32_e32 v50, v52
	v_min_u32_e32 v60, 32, v50
	v_subrev_u32_e32 v50, 28, v60
	v_lshlrev_b64 v[50:51], v50, v[42:43]
	v_lshrrev_b32_e32 v53, 3, v49
	v_sub_u32_e32 v42, 29, v60
	v_and_b32_e32 v50, 7, v50
	v_cmp_gt_u32_e32 vcc, 8, v49
	v_cndmask_b32_e32 v42, v53, v42, vcc
	v_cndmask_b32_e32 v49, v52, v50, vcc
	v_lshlrev_b32_e32 v50, 16, v40
	v_lshlrev_b32_e32 v49, 20, v49
	v_and_b32_e32 v50, 0x80000000, v50
	v_lshl_add_u32 v42, v42, 23, v48
	v_or3_b32 v50, v50, v42, v49
.LBB658_463:                            ;   in Loop: Header=BB658_213 Depth=1
	s_or_b64 exec, exec, s[18:19]
.LBB658_464:                            ;   in Loop: Header=BB658_213 Depth=1
	s_or_b64 exec, exec, s[16:17]
.LBB658_465:                            ;   in Loop: Header=BB658_213 Depth=1
	s_or_b64 exec, exec, s[14:15]
	v_lshrrev_b32_e32 v42, 16, v40
	v_cmp_ne_u16_sdwa s[16:17], v42, v47 src0_sel:BYTE_0 src1_sel:DWORD
	s_and_saveexec_b64 s[14:15], s[16:17]
	s_cbranch_execz .LBB658_471
; %bb.466:                              ;   in Loop: Header=BB658_213 Depth=1
	v_cmp_ne_u16_sdwa s[18:19], v42, s9 src0_sel:BYTE_0 src1_sel:DWORD
	v_bfrev_b32_e32 v44, 1
	s_and_saveexec_b64 s[16:17], s[18:19]
	s_cbranch_execz .LBB658_470
; %bb.467:                              ;   in Loop: Header=BB658_213 Depth=1
	v_bfe_u32 v49, v40, 16, 7
	v_cmp_ne_u32_e32 vcc, s21, v49
	v_mov_b32_e32 v44, 0x7f800001
	s_and_saveexec_b64 s[18:19], vcc
	s_cbranch_execz .LBB658_469
; %bb.468:                              ;   in Loop: Header=BB658_213 Depth=1
	v_and_b32_e32 v44, 7, v42
	v_ffbh_u32_e32 v52, v44
	v_min_u32_e32 v60, 32, v52
	v_subrev_u32_e32 v52, 28, v60
	v_lshlrev_b64 v[52:53], v52, v[42:43]
	v_lshrrev_b32_e32 v51, 3, v49
	v_sub_u32_e32 v53, 29, v60
	v_and_b32_e32 v52, 7, v52
	v_cmp_gt_u32_e32 vcc, 8, v49
	v_cndmask_b32_e32 v49, v51, v53, vcc
	v_cndmask_b32_e32 v44, v44, v52, vcc
	v_lshlrev_b32_e32 v42, 24, v42
	v_lshlrev_b32_e32 v44, 20, v44
	v_and_b32_e32 v42, 0x80000000, v42
	v_lshl_add_u32 v49, v49, 23, v48
	v_or3_b32 v44, v42, v49, v44
.LBB658_469:                            ;   in Loop: Header=BB658_213 Depth=1
	s_or_b64 exec, exec, s[18:19]
.LBB658_470:                            ;   in Loop: Header=BB658_213 Depth=1
	s_or_b64 exec, exec, s[16:17]
.LBB658_471:                            ;   in Loop: Header=BB658_213 Depth=1
	s_or_b64 exec, exec, s[14:15]
	v_cmp_lt_u32_e32 vcc, s22, v40
	v_mov_b32_e32 v51, 0
	v_mov_b32_e32 v52, 0
	s_and_saveexec_b64 s[14:15], vcc
	s_cbranch_execz .LBB658_477
; %bb.472:                              ;   in Loop: Header=BB658_213 Depth=1
	v_lshrrev_b32_e32 v42, 24, v40
	v_cmp_ne_u32_e32 vcc, s9, v42
	v_bfrev_b32_e32 v52, 1
	s_and_saveexec_b64 s[16:17], vcc
	s_cbranch_execz .LBB658_476
; %bb.473:                              ;   in Loop: Header=BB658_213 Depth=1
	v_bfe_u32 v40, v40, 24, 7
	v_cmp_ne_u32_e32 vcc, s21, v40
	v_mov_b32_e32 v52, 0x7f800001
	s_and_saveexec_b64 s[18:19], vcc
	s_cbranch_execz .LBB658_475
; %bb.474:                              ;   in Loop: Header=BB658_213 Depth=1
	v_and_b32_e32 v49, 7, v42
	v_ffbh_u32_e32 v52, v49
	v_min_u32_e32 v61, 32, v52
	v_subrev_u32_e32 v52, 28, v61
	v_lshlrev_b64 v[52:53], v52, v[42:43]
	v_lshrrev_b32_e32 v60, 3, v40
	v_sub_u32_e32 v53, 29, v61
	v_and_b32_e32 v52, 7, v52
	v_cmp_gt_u32_e32 vcc, 8, v40
	v_cndmask_b32_e32 v40, v60, v53, vcc
	v_cndmask_b32_e32 v49, v49, v52, vcc
	v_lshlrev_b32_e32 v42, 24, v42
	v_lshlrev_b32_e32 v49, 20, v49
	v_and_b32_e32 v42, 0x80000000, v42
	v_lshl_add_u32 v40, v40, 23, v48
	v_or3_b32 v52, v42, v40, v49
.LBB658_475:                            ;   in Loop: Header=BB658_213 Depth=1
	s_or_b64 exec, exec, s[18:19]
.LBB658_476:                            ;   in Loop: Header=BB658_213 Depth=1
	s_or_b64 exec, exec, s[16:17]
.LBB658_477:                            ;   in Loop: Header=BB658_213 Depth=1
	s_or_b64 exec, exec, s[14:15]
	s_waitcnt vmcnt(0)
	v_cmp_ne_u16_sdwa s[16:17], v38, v47 src0_sel:BYTE_0 src1_sel:DWORD
	s_and_saveexec_b64 s[14:15], s[16:17]
	s_cbranch_execz .LBB658_483
; %bb.478:                              ;   in Loop: Header=BB658_213 Depth=1
	v_cmp_ne_u16_sdwa s[18:19], v38, s9 src0_sel:BYTE_0 src1_sel:DWORD
	v_bfrev_b32_e32 v51, 1
	s_and_saveexec_b64 s[16:17], s[18:19]
	s_cbranch_execz .LBB658_482
; %bb.479:                              ;   in Loop: Header=BB658_213 Depth=1
	v_and_b32_e32 v40, 0x7f, v38
	v_cmp_ne_u32_e32 vcc, s21, v40
	v_mov_b32_e32 v51, 0x7f800001
	s_and_saveexec_b64 s[18:19], vcc
	s_cbranch_execz .LBB658_481
; %bb.480:                              ;   in Loop: Header=BB658_213 Depth=1
	v_and_b32_e32 v42, 7, v38
	v_ffbh_u32_e32 v51, v42
	v_min_u32_e32 v51, 32, v51
	v_subrev_u32_e32 v53, 28, v51
	v_lshlrev_b64 v[60:61], v53, v[38:39]
	v_lshrrev_b32_e32 v49, 3, v40
	v_sub_u32_e32 v51, 29, v51
	v_and_b32_e32 v53, 7, v60
	v_cmp_gt_u32_e32 vcc, 8, v40
	v_cndmask_b32_e32 v40, v49, v51, vcc
	v_cndmask_b32_e32 v42, v42, v53, vcc
	v_lshlrev_b32_e32 v49, 24, v38
	v_lshlrev_b32_e32 v42, 20, v42
	v_and_b32_e32 v49, 0x80000000, v49
	v_lshl_add_u32 v40, v40, 23, v48
	v_or3_b32 v51, v49, v40, v42
.LBB658_481:                            ;   in Loop: Header=BB658_213 Depth=1
	s_or_b64 exec, exec, s[18:19]
.LBB658_482:                            ;   in Loop: Header=BB658_213 Depth=1
	s_or_b64 exec, exec, s[16:17]
.LBB658_483:                            ;   in Loop: Header=BB658_213 Depth=1
	s_or_b64 exec, exec, s[14:15]
	v_lshrrev_b16_e32 v40, 8, v38
	v_cmp_ne_u16_e32 vcc, 0, v40
	v_mov_b32_e32 v53, 0
	v_mov_b32_e32 v60, 0
	s_and_saveexec_b64 s[14:15], vcc
	s_cbranch_execz .LBB658_489
; %bb.484:                              ;   in Loop: Header=BB658_213 Depth=1
	v_cmp_ne_u16_e32 vcc, s9, v40
	v_bfrev_b32_e32 v60, 1
	s_and_saveexec_b64 s[16:17], vcc
	s_cbranch_execz .LBB658_488
; %bb.485:                              ;   in Loop: Header=BB658_213 Depth=1
	v_and_b32_e32 v42, 0x7f, v40
	v_cmp_ne_u32_e32 vcc, s21, v42
	v_mov_b32_e32 v60, 0x7f800001
	s_and_saveexec_b64 s[18:19], vcc
	s_cbranch_execz .LBB658_487
; %bb.486:                              ;   in Loop: Header=BB658_213 Depth=1
	v_and_b32_e32 v49, 7, v40
	v_ffbh_u32_e32 v60, v49
	v_min_u32_e32 v63, 32, v60
	v_subrev_u32_e32 v60, 28, v63
	v_lshlrev_b64 v[60:61], v60, v[40:41]
	v_lshrrev_b32_e32 v62, 3, v42
	v_sub_u32_e32 v40, 29, v63
	v_and_b32_e32 v60, 7, v60
	v_cmp_gt_u32_e32 vcc, 8, v42
	v_cndmask_b32_e32 v40, v62, v40, vcc
	v_cndmask_b32_e32 v42, v49, v60, vcc
	v_lshlrev_b32_e32 v49, 16, v38
	v_lshlrev_b32_e32 v42, 20, v42
	v_and_b32_e32 v49, 0x80000000, v49
	v_lshl_add_u32 v40, v40, 23, v48
	v_or3_b32 v60, v49, v40, v42
.LBB658_487:                            ;   in Loop: Header=BB658_213 Depth=1
	s_or_b64 exec, exec, s[18:19]
.LBB658_488:                            ;   in Loop: Header=BB658_213 Depth=1
	s_or_b64 exec, exec, s[16:17]
.LBB658_489:                            ;   in Loop: Header=BB658_213 Depth=1
	s_or_b64 exec, exec, s[14:15]
	v_lshrrev_b32_e32 v40, 16, v38
	v_cmp_ne_u16_sdwa s[16:17], v40, v47 src0_sel:BYTE_0 src1_sel:DWORD
	s_and_saveexec_b64 s[14:15], s[16:17]
	s_cbranch_execz .LBB658_495
; %bb.490:                              ;   in Loop: Header=BB658_213 Depth=1
	v_cmp_ne_u16_sdwa s[18:19], v40, s9 src0_sel:BYTE_0 src1_sel:DWORD
	v_bfrev_b32_e32 v53, 1
	s_and_saveexec_b64 s[16:17], s[18:19]
	s_cbranch_execz .LBB658_494
; %bb.491:                              ;   in Loop: Header=BB658_213 Depth=1
	v_bfe_u32 v42, v38, 16, 7
	v_cmp_ne_u32_e32 vcc, s21, v42
	v_mov_b32_e32 v53, 0x7f800001
	s_and_saveexec_b64 s[18:19], vcc
	s_cbranch_execz .LBB658_493
; %bb.492:                              ;   in Loop: Header=BB658_213 Depth=1
	v_and_b32_e32 v49, 7, v40
	v_ffbh_u32_e32 v61, v49
	v_min_u32_e32 v61, 32, v61
	v_subrev_u32_e32 v62, 28, v61
	v_lshlrev_b64 v[62:63], v62, v[40:41]
	v_lshrrev_b32_e32 v53, 3, v42
	v_sub_u32_e32 v61, 29, v61
	v_and_b32_e32 v62, 7, v62
	v_cmp_gt_u32_e32 vcc, 8, v42
	v_cndmask_b32_e32 v42, v53, v61, vcc
	v_cndmask_b32_e32 v49, v49, v62, vcc
	v_lshlrev_b32_e32 v40, 24, v40
	v_lshlrev_b32_e32 v49, 20, v49
	v_and_b32_e32 v40, 0x80000000, v40
	v_lshl_add_u32 v42, v42, 23, v48
	v_or3_b32 v53, v40, v42, v49
.LBB658_493:                            ;   in Loop: Header=BB658_213 Depth=1
	s_or_b64 exec, exec, s[18:19]
.LBB658_494:                            ;   in Loop: Header=BB658_213 Depth=1
	s_or_b64 exec, exec, s[16:17]
.LBB658_495:                            ;   in Loop: Header=BB658_213 Depth=1
	s_or_b64 exec, exec, s[14:15]
	v_cmp_lt_u32_e32 vcc, s22, v38
	v_mov_b32_e32 v49, 0
	v_mov_b32_e32 v61, 0
	s_and_saveexec_b64 s[14:15], vcc
	s_cbranch_execz .LBB658_501
; %bb.496:                              ;   in Loop: Header=BB658_213 Depth=1
	v_lshrrev_b32_e32 v40, 24, v38
	v_cmp_ne_u32_e32 vcc, s9, v40
	v_bfrev_b32_e32 v61, 1
	s_and_saveexec_b64 s[16:17], vcc
	s_cbranch_execz .LBB658_500
; %bb.497:                              ;   in Loop: Header=BB658_213 Depth=1
	v_bfe_u32 v38, v38, 24, 7
	v_cmp_ne_u32_e32 vcc, s21, v38
	v_mov_b32_e32 v61, 0x7f800001
	s_and_saveexec_b64 s[18:19], vcc
	s_cbranch_execz .LBB658_499
; %bb.498:                              ;   in Loop: Header=BB658_213 Depth=1
	v_and_b32_e32 v42, 7, v40
	v_ffbh_u32_e32 v62, v42
	v_min_u32_e32 v64, 32, v62
	v_subrev_u32_e32 v62, 28, v64
	v_lshlrev_b64 v[62:63], v62, v[40:41]
	v_lshrrev_b32_e32 v61, 3, v38
	v_sub_u32_e32 v63, 29, v64
	v_and_b32_e32 v62, 7, v62
	v_cmp_gt_u32_e32 vcc, 8, v38
	v_cndmask_b32_e32 v38, v61, v63, vcc
	v_cndmask_b32_e32 v42, v42, v62, vcc
	v_lshlrev_b32_e32 v40, 24, v40
	v_lshlrev_b32_e32 v42, 20, v42
	v_and_b32_e32 v40, 0x80000000, v40
	v_lshl_add_u32 v38, v38, 23, v48
	v_or3_b32 v61, v40, v38, v42
.LBB658_499:                            ;   in Loop: Header=BB658_213 Depth=1
	s_or_b64 exec, exec, s[18:19]
.LBB658_500:                            ;   in Loop: Header=BB658_213 Depth=1
	s_or_b64 exec, exec, s[16:17]
.LBB658_501:                            ;   in Loop: Header=BB658_213 Depth=1
	s_or_b64 exec, exec, s[14:15]
	v_cvt_pkrtz_f16_f32 v63, v44, v52
	buffer_load_dword v44, v59, s[0:3], 0 offen
	buffer_load_dword v42, v59, s[0:3], 0 offen offset:4
	buffer_load_dword v40, v59, s[0:3], 0 offen offset:8
	;; [unrolled: 1-line block ×3, first 2 shown]
	v_cvt_pkrtz_f16_f32 v62, v46, v50
	v_cvt_pkrtz_f16_f32 v50, v51, v60
	;; [unrolled: 1-line block ×3, first 2 shown]
	v_mfma_f32_16x16x16f16 v[34:37], v[62:63], v[22:23], v[34:37]
	s_waitcnt vmcnt(3)
	v_cmp_ne_u16_sdwa s[16:17], v44, v47 src0_sel:BYTE_0 src1_sel:DWORD
	v_mfma_f32_16x16x16f16 v[34:37], v[50:51], v[24:25], v[34:37]
	s_and_saveexec_b64 s[14:15], s[16:17]
	s_cbranch_execz .LBB658_507
; %bb.502:                              ;   in Loop: Header=BB658_213 Depth=1
	v_cmp_ne_u16_sdwa s[18:19], v44, s9 src0_sel:BYTE_0 src1_sel:DWORD
	v_bfrev_b32_e32 v49, 1
	s_and_saveexec_b64 s[16:17], s[18:19]
	s_cbranch_execz .LBB658_506
; %bb.503:                              ;   in Loop: Header=BB658_213 Depth=1
	v_and_b32_e32 v46, 0x7f, v44
	v_cmp_ne_u32_e32 vcc, s21, v46
	v_mov_b32_e32 v49, 0x7f800001
	s_and_saveexec_b64 s[18:19], vcc
	s_cbranch_execz .LBB658_505
; %bb.504:                              ;   in Loop: Header=BB658_213 Depth=1
	v_and_b32_e32 v49, 7, v44
	v_ffbh_u32_e32 v50, v49
	v_min_u32_e32 v53, 32, v50
	v_subrev_u32_e32 v50, 28, v53
	v_lshlrev_b64 v[50:51], v50, v[44:45]
	v_lshrrev_b32_e32 v52, 3, v46
	v_sub_u32_e32 v51, 29, v53
	v_and_b32_e32 v50, 7, v50
	v_cmp_gt_u32_e32 vcc, 8, v46
	v_cndmask_b32_e32 v46, v52, v51, vcc
	v_cndmask_b32_e32 v49, v49, v50, vcc
	v_lshlrev_b32_e32 v50, 24, v44
	v_lshlrev_b32_e32 v49, 20, v49
	v_and_b32_e32 v50, 0x80000000, v50
	v_lshl_add_u32 v46, v46, 23, v48
	v_or3_b32 v49, v50, v46, v49
.LBB658_505:                            ;   in Loop: Header=BB658_213 Depth=1
	s_or_b64 exec, exec, s[18:19]
.LBB658_506:                            ;   in Loop: Header=BB658_213 Depth=1
	s_or_b64 exec, exec, s[16:17]
.LBB658_507:                            ;   in Loop: Header=BB658_213 Depth=1
	s_or_b64 exec, exec, s[14:15]
	v_lshrrev_b16_e32 v46, 8, v44
	v_cmp_ne_u16_e32 vcc, 0, v46
	v_mov_b32_e32 v50, 0
	v_mov_b32_e32 v51, 0
	s_and_saveexec_b64 s[14:15], vcc
	s_cbranch_execz .LBB658_513
; %bb.508:                              ;   in Loop: Header=BB658_213 Depth=1
	v_cmp_ne_u16_e32 vcc, s9, v46
	v_bfrev_b32_e32 v51, 1
	s_and_saveexec_b64 s[16:17], vcc
	s_cbranch_execz .LBB658_512
; %bb.509:                              ;   in Loop: Header=BB658_213 Depth=1
	v_and_b32_e32 v52, 0x7f, v46
	v_cmp_ne_u32_e32 vcc, s21, v52
	v_mov_b32_e32 v51, 0x7f800001
	s_and_saveexec_b64 s[18:19], vcc
	s_cbranch_execz .LBB658_511
; %bb.510:                              ;   in Loop: Header=BB658_213 Depth=1
	v_and_b32_e32 v51, 7, v46
	v_ffbh_u32_e32 v59, v51
	v_min_u32_e32 v59, 32, v59
	v_subrev_u32_e32 v60, 28, v59
	v_lshlrev_b64 v[60:61], v60, v[46:47]
	v_lshrrev_b32_e32 v53, 3, v52
	v_sub_u32_e32 v46, 29, v59
	v_and_b32_e32 v59, 7, v60
	v_cmp_gt_u32_e32 vcc, 8, v52
	v_cndmask_b32_e32 v46, v53, v46, vcc
	v_cndmask_b32_e32 v51, v51, v59, vcc
	v_lshlrev_b32_e32 v52, 16, v44
	v_lshlrev_b32_e32 v51, 20, v51
	v_and_b32_e32 v52, 0x80000000, v52
	v_lshl_add_u32 v46, v46, 23, v48
	v_or3_b32 v51, v52, v46, v51
.LBB658_511:                            ;   in Loop: Header=BB658_213 Depth=1
	s_or_b64 exec, exec, s[18:19]
.LBB658_512:                            ;   in Loop: Header=BB658_213 Depth=1
	s_or_b64 exec, exec, s[16:17]
.LBB658_513:                            ;   in Loop: Header=BB658_213 Depth=1
	s_or_b64 exec, exec, s[14:15]
	v_lshrrev_b32_e32 v46, 16, v44
	v_cmp_ne_u16_sdwa s[16:17], v46, v47 src0_sel:BYTE_0 src1_sel:DWORD
	s_and_saveexec_b64 s[14:15], s[16:17]
	s_cbranch_execz .LBB658_519
; %bb.514:                              ;   in Loop: Header=BB658_213 Depth=1
	v_cmp_ne_u16_sdwa s[18:19], v46, s9 src0_sel:BYTE_0 src1_sel:DWORD
	v_bfrev_b32_e32 v50, 1
	s_and_saveexec_b64 s[16:17], s[18:19]
	s_cbranch_execz .LBB658_518
; %bb.515:                              ;   in Loop: Header=BB658_213 Depth=1
	v_bfe_u32 v52, v44, 16, 7
	v_cmp_ne_u32_e32 vcc, s21, v52
	v_mov_b32_e32 v50, 0x7f800001
	s_and_saveexec_b64 s[18:19], vcc
	s_cbranch_execz .LBB658_517
; %bb.516:                              ;   in Loop: Header=BB658_213 Depth=1
	v_and_b32_e32 v50, 7, v46
	v_ffbh_u32_e32 v59, v50
	v_min_u32_e32 v59, 32, v59
	v_subrev_u32_e32 v60, 28, v59
	v_lshlrev_b64 v[60:61], v60, v[46:47]
	v_lshrrev_b32_e32 v53, 3, v52
	v_sub_u32_e32 v59, 29, v59
	v_and_b32_e32 v60, 7, v60
	v_cmp_gt_u32_e32 vcc, 8, v52
	v_cndmask_b32_e32 v52, v53, v59, vcc
	v_cndmask_b32_e32 v50, v50, v60, vcc
	v_lshlrev_b32_e32 v46, 24, v46
	v_lshlrev_b32_e32 v50, 20, v50
	v_and_b32_e32 v46, 0x80000000, v46
	v_lshl_add_u32 v52, v52, 23, v48
	v_or3_b32 v50, v46, v52, v50
.LBB658_517:                            ;   in Loop: Header=BB658_213 Depth=1
	s_or_b64 exec, exec, s[18:19]
.LBB658_518:                            ;   in Loop: Header=BB658_213 Depth=1
	s_or_b64 exec, exec, s[16:17]
.LBB658_519:                            ;   in Loop: Header=BB658_213 Depth=1
	s_or_b64 exec, exec, s[14:15]
	v_cmp_lt_u32_e32 vcc, s22, v44
	v_mov_b32_e32 v52, 0
	v_mov_b32_e32 v53, 0
	s_and_saveexec_b64 s[14:15], vcc
	s_cbranch_execz .LBB658_525
; %bb.520:                              ;   in Loop: Header=BB658_213 Depth=1
	v_lshrrev_b32_e32 v46, 24, v44
	v_cmp_ne_u32_e32 vcc, s9, v46
	v_bfrev_b32_e32 v53, 1
	s_and_saveexec_b64 s[16:17], vcc
	s_cbranch_execz .LBB658_524
; %bb.521:                              ;   in Loop: Header=BB658_213 Depth=1
	v_bfe_u32 v44, v44, 24, 7
	v_cmp_ne_u32_e32 vcc, s21, v44
	v_mov_b32_e32 v53, 0x7f800001
	s_and_saveexec_b64 s[18:19], vcc
	s_cbranch_execz .LBB658_523
; %bb.522:                              ;   in Loop: Header=BB658_213 Depth=1
	v_and_b32_e32 v53, 7, v46
	v_ffbh_u32_e32 v60, v53
	v_min_u32_e32 v62, 32, v60
	v_subrev_u32_e32 v60, 28, v62
	v_lshlrev_b64 v[60:61], v60, v[46:47]
	v_lshrrev_b32_e32 v59, 3, v44
	v_sub_u32_e32 v61, 29, v62
	v_and_b32_e32 v60, 7, v60
	v_cmp_gt_u32_e32 vcc, 8, v44
	v_cndmask_b32_e32 v44, v59, v61, vcc
	v_cndmask_b32_e32 v53, v53, v60, vcc
	v_lshlrev_b32_e32 v46, 24, v46
	v_lshlrev_b32_e32 v53, 20, v53
	v_and_b32_e32 v46, 0x80000000, v46
	v_lshl_add_u32 v44, v44, 23, v48
	v_or3_b32 v53, v46, v44, v53
.LBB658_523:                            ;   in Loop: Header=BB658_213 Depth=1
	s_or_b64 exec, exec, s[18:19]
.LBB658_524:                            ;   in Loop: Header=BB658_213 Depth=1
	s_or_b64 exec, exec, s[16:17]
.LBB658_525:                            ;   in Loop: Header=BB658_213 Depth=1
	s_or_b64 exec, exec, s[14:15]
	s_waitcnt vmcnt(2)
	v_cmp_ne_u16_sdwa s[16:17], v42, v47 src0_sel:BYTE_0 src1_sel:DWORD
	s_and_saveexec_b64 s[14:15], s[16:17]
	s_cbranch_execz .LBB658_531
; %bb.526:                              ;   in Loop: Header=BB658_213 Depth=1
	v_cmp_ne_u16_sdwa s[18:19], v42, s9 src0_sel:BYTE_0 src1_sel:DWORD
	v_bfrev_b32_e32 v52, 1
	s_and_saveexec_b64 s[16:17], s[18:19]
	s_cbranch_execz .LBB658_530
; %bb.527:                              ;   in Loop: Header=BB658_213 Depth=1
	v_and_b32_e32 v44, 0x7f, v42
	v_cmp_ne_u32_e32 vcc, s21, v44
	v_mov_b32_e32 v52, 0x7f800001
	s_and_saveexec_b64 s[18:19], vcc
	s_cbranch_execz .LBB658_529
; %bb.528:                              ;   in Loop: Header=BB658_213 Depth=1
	v_and_b32_e32 v46, 7, v42
	v_ffbh_u32_e32 v59, v46
	v_min_u32_e32 v59, 32, v59
	v_subrev_u32_e32 v60, 28, v59
	v_lshlrev_b64 v[60:61], v60, v[42:43]
	v_lshrrev_b32_e32 v52, 3, v44
	v_sub_u32_e32 v59, 29, v59
	v_and_b32_e32 v60, 7, v60
	v_cmp_gt_u32_e32 vcc, 8, v44
	v_cndmask_b32_e32 v44, v52, v59, vcc
	v_cndmask_b32_e32 v46, v46, v60, vcc
	v_lshlrev_b32_e32 v52, 24, v42
	v_lshlrev_b32_e32 v46, 20, v46
	v_and_b32_e32 v52, 0x80000000, v52
	v_lshl_add_u32 v44, v44, 23, v48
	v_or3_b32 v52, v52, v44, v46
.LBB658_529:                            ;   in Loop: Header=BB658_213 Depth=1
	s_or_b64 exec, exec, s[18:19]
.LBB658_530:                            ;   in Loop: Header=BB658_213 Depth=1
	s_or_b64 exec, exec, s[16:17]
.LBB658_531:                            ;   in Loop: Header=BB658_213 Depth=1
	s_or_b64 exec, exec, s[14:15]
	v_lshrrev_b16_e32 v44, 8, v42
	v_cmp_ne_u16_e32 vcc, 0, v44
	v_mov_b32_e32 v59, 0
	v_mov_b32_e32 v60, 0
	s_and_saveexec_b64 s[14:15], vcc
	s_cbranch_execz .LBB658_537
; %bb.532:                              ;   in Loop: Header=BB658_213 Depth=1
	v_cmp_ne_u16_e32 vcc, s9, v44
	v_bfrev_b32_e32 v60, 1
	s_and_saveexec_b64 s[16:17], vcc
	s_cbranch_execz .LBB658_536
; %bb.533:                              ;   in Loop: Header=BB658_213 Depth=1
	v_and_b32_e32 v46, 0x7f, v44
	v_cmp_ne_u32_e32 vcc, s21, v46
	v_mov_b32_e32 v60, 0x7f800001
	s_and_saveexec_b64 s[18:19], vcc
	s_cbranch_execz .LBB658_535
; %bb.534:                              ;   in Loop: Header=BB658_213 Depth=1
	v_and_b32_e32 v62, 7, v44
	v_ffbh_u32_e32 v60, v62
	v_min_u32_e32 v64, 32, v60
	v_subrev_u32_e32 v60, 28, v64
	v_lshlrev_b64 v[60:61], v60, v[44:45]
	v_lshrrev_b32_e32 v63, 3, v46
	v_sub_u32_e32 v44, 29, v64
	v_and_b32_e32 v60, 7, v60
	v_cmp_gt_u32_e32 vcc, 8, v46
	v_cndmask_b32_e32 v44, v63, v44, vcc
	v_cndmask_b32_e32 v46, v62, v60, vcc
	v_lshlrev_b32_e32 v60, 16, v42
	v_lshlrev_b32_e32 v46, 20, v46
	v_and_b32_e32 v60, 0x80000000, v60
	v_lshl_add_u32 v44, v44, 23, v48
	v_or3_b32 v60, v60, v44, v46
.LBB658_535:                            ;   in Loop: Header=BB658_213 Depth=1
	s_or_b64 exec, exec, s[18:19]
.LBB658_536:                            ;   in Loop: Header=BB658_213 Depth=1
	s_or_b64 exec, exec, s[16:17]
.LBB658_537:                            ;   in Loop: Header=BB658_213 Depth=1
	s_or_b64 exec, exec, s[14:15]
	v_lshrrev_b32_e32 v44, 16, v42
	v_cmp_ne_u16_sdwa s[16:17], v44, v47 src0_sel:BYTE_0 src1_sel:DWORD
	s_and_saveexec_b64 s[14:15], s[16:17]
	s_cbranch_execz .LBB658_543
; %bb.538:                              ;   in Loop: Header=BB658_213 Depth=1
	v_cmp_ne_u16_sdwa s[18:19], v44, s9 src0_sel:BYTE_0 src1_sel:DWORD
	v_bfrev_b32_e32 v59, 1
	s_and_saveexec_b64 s[16:17], s[18:19]
	s_cbranch_execz .LBB658_542
; %bb.539:                              ;   in Loop: Header=BB658_213 Depth=1
	v_bfe_u32 v46, v42, 16, 7
	v_cmp_ne_u32_e32 vcc, s21, v46
	v_mov_b32_e32 v59, 0x7f800001
	s_and_saveexec_b64 s[18:19], vcc
	s_cbranch_execz .LBB658_541
; %bb.540:                              ;   in Loop: Header=BB658_213 Depth=1
	v_and_b32_e32 v59, 7, v44
	v_ffbh_u32_e32 v62, v59
	v_min_u32_e32 v64, 32, v62
	v_subrev_u32_e32 v62, 28, v64
	v_lshlrev_b64 v[62:63], v62, v[44:45]
	v_lshrrev_b32_e32 v61, 3, v46
	v_sub_u32_e32 v63, 29, v64
	v_and_b32_e32 v62, 7, v62
	v_cmp_gt_u32_e32 vcc, 8, v46
	v_cndmask_b32_e32 v46, v61, v63, vcc
	v_cndmask_b32_e32 v59, v59, v62, vcc
	v_lshlrev_b32_e32 v44, 24, v44
	v_lshlrev_b32_e32 v59, 20, v59
	v_and_b32_e32 v44, 0x80000000, v44
	v_lshl_add_u32 v46, v46, 23, v48
	v_or3_b32 v59, v44, v46, v59
.LBB658_541:                            ;   in Loop: Header=BB658_213 Depth=1
	s_or_b64 exec, exec, s[18:19]
.LBB658_542:                            ;   in Loop: Header=BB658_213 Depth=1
	s_or_b64 exec, exec, s[16:17]
.LBB658_543:                            ;   in Loop: Header=BB658_213 Depth=1
	s_or_b64 exec, exec, s[14:15]
	v_cmp_lt_u32_e32 vcc, s22, v42
	v_mov_b32_e32 v46, 0
	v_mov_b32_e32 v61, 0
	s_and_saveexec_b64 s[14:15], vcc
	s_cbranch_execz .LBB658_549
; %bb.544:                              ;   in Loop: Header=BB658_213 Depth=1
	v_lshrrev_b32_e32 v44, 24, v42
	v_cmp_ne_u32_e32 vcc, s9, v44
	v_bfrev_b32_e32 v61, 1
	s_and_saveexec_b64 s[16:17], vcc
	s_cbranch_execz .LBB658_548
; %bb.545:                              ;   in Loop: Header=BB658_213 Depth=1
	v_bfe_u32 v42, v42, 24, 7
	v_cmp_ne_u32_e32 vcc, s21, v42
	v_mov_b32_e32 v61, 0x7f800001
	s_and_saveexec_b64 s[18:19], vcc
	s_cbranch_execz .LBB658_547
; %bb.546:                              ;   in Loop: Header=BB658_213 Depth=1
	v_and_b32_e32 v61, 7, v44
	v_ffbh_u32_e32 v62, v61
	v_min_u32_e32 v65, 32, v62
	v_subrev_u32_e32 v62, 28, v65
	v_lshlrev_b64 v[62:63], v62, v[44:45]
	v_lshrrev_b32_e32 v64, 3, v42
	v_sub_u32_e32 v63, 29, v65
	v_and_b32_e32 v62, 7, v62
	v_cmp_gt_u32_e32 vcc, 8, v42
	v_cndmask_b32_e32 v42, v64, v63, vcc
	v_cndmask_b32_e32 v61, v61, v62, vcc
	v_lshlrev_b32_e32 v44, 24, v44
	v_lshlrev_b32_e32 v61, 20, v61
	v_and_b32_e32 v44, 0x80000000, v44
	v_lshl_add_u32 v42, v42, 23, v48
	v_or3_b32 v61, v44, v42, v61
.LBB658_547:                            ;   in Loop: Header=BB658_213 Depth=1
	s_or_b64 exec, exec, s[18:19]
.LBB658_548:                            ;   in Loop: Header=BB658_213 Depth=1
	s_or_b64 exec, exec, s[16:17]
.LBB658_549:                            ;   in Loop: Header=BB658_213 Depth=1
	s_or_b64 exec, exec, s[14:15]
	v_cvt_pkrtz_f16_f32 v62, v49, v51
	v_cvt_pkrtz_f16_f32 v63, v50, v53
	;; [unrolled: 1-line block ×4, first 2 shown]
	s_waitcnt vmcnt(1)
	v_cmp_ne_u16_sdwa s[16:17], v40, v47 src0_sel:BYTE_0 src1_sel:DWORD
	v_mfma_f32_16x16x16f16 v[34:37], v[62:63], v[26:27], v[34:37]
	v_mfma_f32_16x16x16f16 v[34:37], v[50:51], v[28:29], v[34:37]
	s_and_saveexec_b64 s[14:15], s[16:17]
	s_cbranch_execz .LBB658_555
; %bb.550:                              ;   in Loop: Header=BB658_213 Depth=1
	v_cmp_ne_u16_sdwa s[18:19], v40, s9 src0_sel:BYTE_0 src1_sel:DWORD
	v_bfrev_b32_e32 v46, 1
	s_and_saveexec_b64 s[16:17], s[18:19]
	s_cbranch_execz .LBB658_554
; %bb.551:                              ;   in Loop: Header=BB658_213 Depth=1
	v_and_b32_e32 v42, 0x7f, v40
	v_cmp_ne_u32_e32 vcc, s21, v42
	v_mov_b32_e32 v46, 0x7f800001
	s_and_saveexec_b64 s[18:19], vcc
	s_cbranch_execz .LBB658_553
; %bb.552:                              ;   in Loop: Header=BB658_213 Depth=1
	v_and_b32_e32 v44, 7, v40
	v_ffbh_u32_e32 v49, v44
	v_min_u32_e32 v49, 32, v49
	v_subrev_u32_e32 v50, 28, v49
	v_lshlrev_b64 v[50:51], v50, v[40:41]
	v_lshrrev_b32_e32 v46, 3, v42
	v_sub_u32_e32 v49, 29, v49
	v_and_b32_e32 v50, 7, v50
	v_cmp_gt_u32_e32 vcc, 8, v42
	v_cndmask_b32_e32 v42, v46, v49, vcc
	v_cndmask_b32_e32 v44, v44, v50, vcc
	v_lshlrev_b32_e32 v46, 24, v40
	v_lshlrev_b32_e32 v44, 20, v44
	v_and_b32_e32 v46, 0x80000000, v46
	v_lshl_add_u32 v42, v42, 23, v48
	v_or3_b32 v46, v46, v42, v44
.LBB658_553:                            ;   in Loop: Header=BB658_213 Depth=1
	s_or_b64 exec, exec, s[18:19]
.LBB658_554:                            ;   in Loop: Header=BB658_213 Depth=1
	s_or_b64 exec, exec, s[16:17]
.LBB658_555:                            ;   in Loop: Header=BB658_213 Depth=1
	s_or_b64 exec, exec, s[14:15]
	v_lshrrev_b16_e32 v42, 8, v40
	v_cmp_ne_u16_e32 vcc, 0, v42
	v_mov_b32_e32 v44, 0
	v_mov_b32_e32 v49, 0
	s_and_saveexec_b64 s[14:15], vcc
	s_cbranch_execz .LBB658_561
; %bb.556:                              ;   in Loop: Header=BB658_213 Depth=1
	v_cmp_ne_u16_e32 vcc, s9, v42
	v_bfrev_b32_e32 v49, 1
	s_and_saveexec_b64 s[16:17], vcc
	s_cbranch_execz .LBB658_560
; %bb.557:                              ;   in Loop: Header=BB658_213 Depth=1
	v_and_b32_e32 v50, 0x7f, v42
	v_cmp_ne_u32_e32 vcc, s21, v50
	v_mov_b32_e32 v49, 0x7f800001
	s_and_saveexec_b64 s[18:19], vcc
	s_cbranch_execz .LBB658_559
; %bb.558:                              ;   in Loop: Header=BB658_213 Depth=1
	v_and_b32_e32 v49, 7, v42
	v_ffbh_u32_e32 v52, v49
	v_min_u32_e32 v59, 32, v52
	v_subrev_u32_e32 v52, 28, v59
	v_lshlrev_b64 v[52:53], v52, v[42:43]
	v_lshrrev_b32_e32 v51, 3, v50
	v_sub_u32_e32 v42, 29, v59
	v_and_b32_e32 v52, 7, v52
	v_cmp_gt_u32_e32 vcc, 8, v50
	v_cndmask_b32_e32 v42, v51, v42, vcc
	v_cndmask_b32_e32 v49, v49, v52, vcc
	v_lshlrev_b32_e32 v50, 16, v40
	v_lshlrev_b32_e32 v49, 20, v49
	v_and_b32_e32 v50, 0x80000000, v50
	v_lshl_add_u32 v42, v42, 23, v48
	v_or3_b32 v49, v50, v42, v49
.LBB658_559:                            ;   in Loop: Header=BB658_213 Depth=1
	s_or_b64 exec, exec, s[18:19]
.LBB658_560:                            ;   in Loop: Header=BB658_213 Depth=1
	s_or_b64 exec, exec, s[16:17]
.LBB658_561:                            ;   in Loop: Header=BB658_213 Depth=1
	s_or_b64 exec, exec, s[14:15]
	v_lshrrev_b32_e32 v42, 16, v40
	v_cmp_ne_u16_sdwa s[16:17], v42, v47 src0_sel:BYTE_0 src1_sel:DWORD
	s_and_saveexec_b64 s[14:15], s[16:17]
	s_cbranch_execz .LBB658_567
; %bb.562:                              ;   in Loop: Header=BB658_213 Depth=1
	v_cmp_ne_u16_sdwa s[18:19], v42, s9 src0_sel:BYTE_0 src1_sel:DWORD
	v_bfrev_b32_e32 v44, 1
	s_and_saveexec_b64 s[16:17], s[18:19]
	s_cbranch_execz .LBB658_566
; %bb.563:                              ;   in Loop: Header=BB658_213 Depth=1
	v_bfe_u32 v50, v40, 16, 7
	v_cmp_ne_u32_e32 vcc, s21, v50
	v_mov_b32_e32 v44, 0x7f800001
	s_and_saveexec_b64 s[18:19], vcc
	s_cbranch_execz .LBB658_565
; %bb.564:                              ;   in Loop: Header=BB658_213 Depth=1
	v_and_b32_e32 v44, 7, v42
	v_ffbh_u32_e32 v52, v44
	v_min_u32_e32 v59, 32, v52
	v_subrev_u32_e32 v52, 28, v59
	v_lshlrev_b64 v[52:53], v52, v[42:43]
	v_lshrrev_b32_e32 v51, 3, v50
	v_sub_u32_e32 v53, 29, v59
	v_and_b32_e32 v52, 7, v52
	v_cmp_gt_u32_e32 vcc, 8, v50
	v_cndmask_b32_e32 v50, v51, v53, vcc
	v_cndmask_b32_e32 v44, v44, v52, vcc
	v_lshlrev_b32_e32 v42, 24, v42
	v_lshlrev_b32_e32 v44, 20, v44
	v_and_b32_e32 v42, 0x80000000, v42
	v_lshl_add_u32 v50, v50, 23, v48
	v_or3_b32 v44, v42, v50, v44
.LBB658_565:                            ;   in Loop: Header=BB658_213 Depth=1
	s_or_b64 exec, exec, s[18:19]
.LBB658_566:                            ;   in Loop: Header=BB658_213 Depth=1
	s_or_b64 exec, exec, s[16:17]
.LBB658_567:                            ;   in Loop: Header=BB658_213 Depth=1
	s_or_b64 exec, exec, s[14:15]
	v_cmp_lt_u32_e32 vcc, s22, v40
	v_mov_b32_e32 v50, 0
	v_mov_b32_e32 v51, 0
	s_and_saveexec_b64 s[14:15], vcc
	s_cbranch_execz .LBB658_573
; %bb.568:                              ;   in Loop: Header=BB658_213 Depth=1
	v_lshrrev_b32_e32 v42, 24, v40
	v_cmp_ne_u32_e32 vcc, s9, v42
	v_bfrev_b32_e32 v51, 1
	s_and_saveexec_b64 s[16:17], vcc
	s_cbranch_execz .LBB658_572
; %bb.569:                              ;   in Loop: Header=BB658_213 Depth=1
	v_bfe_u32 v40, v40, 24, 7
	v_cmp_ne_u32_e32 vcc, s21, v40
	v_mov_b32_e32 v51, 0x7f800001
	s_and_saveexec_b64 s[18:19], vcc
	s_cbranch_execz .LBB658_571
; %bb.570:                              ;   in Loop: Header=BB658_213 Depth=1
	v_and_b32_e32 v51, 7, v42
	v_ffbh_u32_e32 v52, v51
	v_min_u32_e32 v60, 32, v52
	v_subrev_u32_e32 v52, 28, v60
	v_lshlrev_b64 v[52:53], v52, v[42:43]
	v_lshrrev_b32_e32 v59, 3, v40
	v_sub_u32_e32 v53, 29, v60
	v_and_b32_e32 v52, 7, v52
	v_cmp_gt_u32_e32 vcc, 8, v40
	v_cndmask_b32_e32 v40, v59, v53, vcc
	v_cndmask_b32_e32 v51, v51, v52, vcc
	v_lshlrev_b32_e32 v42, 24, v42
	v_lshlrev_b32_e32 v51, 20, v51
	v_and_b32_e32 v42, 0x80000000, v42
	v_lshl_add_u32 v40, v40, 23, v48
	v_or3_b32 v51, v42, v40, v51
.LBB658_571:                            ;   in Loop: Header=BB658_213 Depth=1
	s_or_b64 exec, exec, s[18:19]
.LBB658_572:                            ;   in Loop: Header=BB658_213 Depth=1
	s_or_b64 exec, exec, s[16:17]
.LBB658_573:                            ;   in Loop: Header=BB658_213 Depth=1
	s_or_b64 exec, exec, s[14:15]
	s_waitcnt vmcnt(0)
	v_cmp_ne_u16_sdwa s[16:17], v38, v47 src0_sel:BYTE_0 src1_sel:DWORD
	s_and_saveexec_b64 s[14:15], s[16:17]
	s_cbranch_execz .LBB658_579
; %bb.574:                              ;   in Loop: Header=BB658_213 Depth=1
	v_cmp_ne_u16_sdwa s[18:19], v38, s9 src0_sel:BYTE_0 src1_sel:DWORD
	v_bfrev_b32_e32 v50, 1
	s_and_saveexec_b64 s[16:17], s[18:19]
	s_cbranch_execz .LBB658_578
; %bb.575:                              ;   in Loop: Header=BB658_213 Depth=1
	v_and_b32_e32 v40, 0x7f, v38
	v_cmp_ne_u32_e32 vcc, s21, v40
	v_mov_b32_e32 v50, 0x7f800001
	s_and_saveexec_b64 s[18:19], vcc
	s_cbranch_execz .LBB658_577
; %bb.576:                              ;   in Loop: Header=BB658_213 Depth=1
	v_and_b32_e32 v42, 7, v38
	v_ffbh_u32_e32 v52, v42
	v_min_u32_e32 v59, 32, v52
	v_subrev_u32_e32 v52, 28, v59
	v_lshlrev_b64 v[52:53], v52, v[38:39]
	v_lshrrev_b32_e32 v50, 3, v40
	v_sub_u32_e32 v53, 29, v59
	v_and_b32_e32 v52, 7, v52
	v_cmp_gt_u32_e32 vcc, 8, v40
	v_cndmask_b32_e32 v40, v50, v53, vcc
	v_cndmask_b32_e32 v42, v42, v52, vcc
	v_lshlrev_b32_e32 v50, 24, v38
	v_lshlrev_b32_e32 v42, 20, v42
	v_and_b32_e32 v50, 0x80000000, v50
	v_lshl_add_u32 v40, v40, 23, v48
	v_or3_b32 v50, v50, v40, v42
.LBB658_577:                            ;   in Loop: Header=BB658_213 Depth=1
	s_or_b64 exec, exec, s[18:19]
.LBB658_578:                            ;   in Loop: Header=BB658_213 Depth=1
	s_or_b64 exec, exec, s[16:17]
.LBB658_579:                            ;   in Loop: Header=BB658_213 Depth=1
	s_or_b64 exec, exec, s[14:15]
	v_lshrrev_b16_e32 v40, 8, v38
	v_cmp_ne_u16_e32 vcc, 0, v40
	v_mov_b32_e32 v42, 0
	v_mov_b32_e32 v52, 0
	s_and_saveexec_b64 s[14:15], vcc
	s_cbranch_execz .LBB658_585
; %bb.580:                              ;   in Loop: Header=BB658_213 Depth=1
	v_cmp_ne_u16_e32 vcc, s9, v40
	v_bfrev_b32_e32 v52, 1
	s_and_saveexec_b64 s[16:17], vcc
	s_cbranch_execz .LBB658_584
; %bb.581:                              ;   in Loop: Header=BB658_213 Depth=1
	v_and_b32_e32 v53, 0x7f, v40
	v_cmp_ne_u32_e32 vcc, s21, v53
	v_mov_b32_e32 v52, 0x7f800001
	s_and_saveexec_b64 s[18:19], vcc
	s_cbranch_execz .LBB658_583
; %bb.582:                              ;   in Loop: Header=BB658_213 Depth=1
	v_and_b32_e32 v52, 7, v40
	v_ffbh_u32_e32 v60, v52
	v_min_u32_e32 v62, 32, v60
	v_subrev_u32_e32 v60, 28, v62
	v_lshlrev_b64 v[60:61], v60, v[40:41]
	v_lshrrev_b32_e32 v59, 3, v53
	v_sub_u32_e32 v40, 29, v62
	v_and_b32_e32 v60, 7, v60
	v_cmp_gt_u32_e32 vcc, 8, v53
	v_cndmask_b32_e32 v40, v59, v40, vcc
	v_cndmask_b32_e32 v52, v52, v60, vcc
	v_lshlrev_b32_e32 v53, 16, v38
	v_lshlrev_b32_e32 v52, 20, v52
	v_and_b32_e32 v53, 0x80000000, v53
	v_lshl_add_u32 v40, v40, 23, v48
	v_or3_b32 v52, v53, v40, v52
.LBB658_583:                            ;   in Loop: Header=BB658_213 Depth=1
	s_or_b64 exec, exec, s[18:19]
.LBB658_584:                            ;   in Loop: Header=BB658_213 Depth=1
	s_or_b64 exec, exec, s[16:17]
.LBB658_585:                            ;   in Loop: Header=BB658_213 Depth=1
	s_or_b64 exec, exec, s[14:15]
	v_lshrrev_b32_e32 v40, 16, v38
	v_cmp_ne_u16_sdwa s[16:17], v40, v47 src0_sel:BYTE_0 src1_sel:DWORD
	s_and_saveexec_b64 s[14:15], s[16:17]
	s_cbranch_execz .LBB658_591
; %bb.586:                              ;   in Loop: Header=BB658_213 Depth=1
	v_cmp_ne_u16_sdwa s[18:19], v40, s9 src0_sel:BYTE_0 src1_sel:DWORD
	v_bfrev_b32_e32 v42, 1
	s_and_saveexec_b64 s[16:17], s[18:19]
	s_cbranch_execz .LBB658_590
; %bb.587:                              ;   in Loop: Header=BB658_213 Depth=1
	v_bfe_u32 v53, v38, 16, 7
	v_cmp_ne_u32_e32 vcc, s21, v53
	v_mov_b32_e32 v42, 0x7f800001
	s_and_saveexec_b64 s[18:19], vcc
	s_cbranch_execz .LBB658_589
; %bb.588:                              ;   in Loop: Header=BB658_213 Depth=1
	v_and_b32_e32 v42, 7, v40
	v_ffbh_u32_e32 v60, v42
	v_min_u32_e32 v62, 32, v60
	v_subrev_u32_e32 v60, 28, v62
	v_lshlrev_b64 v[60:61], v60, v[40:41]
	v_lshrrev_b32_e32 v59, 3, v53
	v_sub_u32_e32 v61, 29, v62
	v_and_b32_e32 v60, 7, v60
	v_cmp_gt_u32_e32 vcc, 8, v53
	v_cndmask_b32_e32 v53, v59, v61, vcc
	v_cndmask_b32_e32 v42, v42, v60, vcc
	v_lshlrev_b32_e32 v40, 24, v40
	v_lshlrev_b32_e32 v42, 20, v42
	v_and_b32_e32 v40, 0x80000000, v40
	v_lshl_add_u32 v53, v53, 23, v48
	v_or3_b32 v42, v40, v53, v42
.LBB658_589:                            ;   in Loop: Header=BB658_213 Depth=1
	s_or_b64 exec, exec, s[18:19]
.LBB658_590:                            ;   in Loop: Header=BB658_213 Depth=1
	s_or_b64 exec, exec, s[16:17]
.LBB658_591:                            ;   in Loop: Header=BB658_213 Depth=1
	s_or_b64 exec, exec, s[14:15]
	v_cmp_lt_u32_e32 vcc, s22, v38
	v_mov_b32_e32 v53, 0
	s_and_saveexec_b64 s[14:15], vcc
	s_cbranch_execz .LBB658_212
; %bb.592:                              ;   in Loop: Header=BB658_213 Depth=1
	v_lshrrev_b32_e32 v40, 24, v38
	v_cmp_ne_u32_e32 vcc, s9, v40
	v_bfrev_b32_e32 v53, 1
	s_and_saveexec_b64 s[16:17], vcc
	s_cbranch_execz .LBB658_211
; %bb.593:                              ;   in Loop: Header=BB658_213 Depth=1
	v_bfe_u32 v38, v38, 24, 7
	v_cmp_ne_u32_e32 vcc, s21, v38
	v_mov_b32_e32 v53, 0x7f800001
	s_and_saveexec_b64 s[18:19], vcc
	s_cbranch_execz .LBB658_210
; %bb.594:                              ;   in Loop: Header=BB658_213 Depth=1
	v_and_b32_e32 v53, 7, v40
	v_ffbh_u32_e32 v60, v53
	v_min_u32_e32 v62, 32, v60
	v_subrev_u32_e32 v60, 28, v62
	v_lshlrev_b64 v[60:61], v60, v[40:41]
	v_lshrrev_b32_e32 v59, 3, v38
	v_sub_u32_e32 v61, 29, v62
	v_and_b32_e32 v60, 7, v60
	v_cmp_gt_u32_e32 vcc, 8, v38
	v_cndmask_b32_e32 v38, v59, v61, vcc
	v_cndmask_b32_e32 v53, v53, v60, vcc
	v_lshlrev_b32_e32 v40, 24, v40
	v_lshlrev_b32_e32 v53, 20, v53
	v_and_b32_e32 v40, 0x80000000, v40
	v_lshl_add_u32 v38, v38, 23, v48
	v_or3_b32 v53, v40, v38, v53
	s_branch .LBB658_210
.LBB658_595:
	s_barrier
	buffer_load_dword v2, off, s[0:3], 0 offset:320
	buffer_load_dword v5, off, s[0:3], 0 offset:332
	;; [unrolled: 1-line block ×4, first 2 shown]
	v_cmp_gt_u32_e32 vcc, 64, v0
	s_waitcnt vmcnt(0)
	ds_write2st64_b64 v43, v[2:3], v[4:5] offset1:1
	s_waitcnt lgkmcnt(0)
	s_barrier
	s_and_saveexec_b64 s[6:7], vcc
	s_cbranch_execz .LBB658_598
; %bb.596:
	s_lshl_b32 s6, s50, 7
	s_mul_i32 s7, s20, s8
	s_mul_hi_u32 s11, s7, s6
	s_mul_i32 s10, s7, s6
	s_lshl_b64 s[10:11], s[10:11], 1
	v_lshlrev_b32_e32 v4, 6, v55
	s_add_u32 s7, s48, s10
	v_lshl_or_b32 v0, v0, 10, v4
	s_mov_b32 s9, 0
	s_addc_u32 s10, s49, s11
	s_lshl_b32 s8, s24, 7
	v_lshlrev_b32_e32 v2, 5, v1
	v_and_b32_e32 v3, 16, v56
	v_and_b32_e32 v0, 0x1a00, v0
	s_lshl_b64 s[8:9], s[8:9], 1
	v_or3_b32 v0, v0, v2, v3
	s_add_u32 s7, s7, s8
	s_addc_u32 s8, s10, s9
	ds_read_b128 v[4:7], v0
	v_add_u32_e32 v8, s25, v1
	v_mov_b32_e32 v3, s8
	v_add_co_u32_e32 v2, vcc, s7, v54
	v_mad_u64_u32 v[8:9], s[8:9], v8, s6, 0
	v_addc_co_u32_e32 v3, vcc, 0, v3, vcc
	v_lshlrev_b64 v[8:9], 1, v[8:9]
	v_add_co_u32_e32 v8, vcc, v2, v8
	v_addc_co_u32_e32 v9, vcc, v3, v9, vcc
	s_waitcnt lgkmcnt(0)
	global_store_dwordx4 v[8:9], v[4:7], off
	s_and_b64 exec, exec, s[4:5]
	s_cbranch_execz .LBB658_598
; %bb.597:
	ds_read_b128 v[4:7], v0 offset:128
	v_add3_u32 v0, s25, v1, 4
	v_mad_u64_u32 v[0:1], s[4:5], v0, s6, 0
	v_lshlrev_b64 v[0:1], 1, v[0:1]
	v_add_co_u32_e32 v0, vcc, v2, v0
	v_addc_co_u32_e32 v1, vcc, v3, v1, vcc
	s_waitcnt lgkmcnt(0)
	global_store_dwordx4 v[0:1], v[4:7], off
.LBB658_598:
	s_endpgm
	.section	.rodata,"a",@progbits
	.p2align	6, 0x0
	.amdhsa_kernel _Z39paged_attention_ll4mi_QKV_mfma16_kernelIDF16_hLN4vllm18Fp8KVCacheDataTypeE1EDF16_Li32ELi128ELi256ELb0ELi5EL8MFMAType0EEvPKT_PKT0_S8_ifPKiSA_SA_iPKfiiiPfSD_PS3_PT2_iSC_SC_
		.amdhsa_group_segment_fixed_size 8192
		.amdhsa_private_segment_fixed_size 352
		.amdhsa_kernarg_size 400
		.amdhsa_user_sgpr_count 8
		.amdhsa_user_sgpr_private_segment_buffer 1
		.amdhsa_user_sgpr_dispatch_ptr 0
		.amdhsa_user_sgpr_queue_ptr 0
		.amdhsa_user_sgpr_kernarg_segment_ptr 1
		.amdhsa_user_sgpr_dispatch_id 0
		.amdhsa_user_sgpr_flat_scratch_init 1
		.amdhsa_user_sgpr_kernarg_preload_length 0
		.amdhsa_user_sgpr_kernarg_preload_offset 0
		.amdhsa_user_sgpr_private_segment_size 0
		.amdhsa_uses_dynamic_stack 0
		.amdhsa_system_sgpr_private_segment_wavefront_offset 1
		.amdhsa_system_sgpr_workgroup_id_x 1
		.amdhsa_system_sgpr_workgroup_id_y 1
		.amdhsa_system_sgpr_workgroup_id_z 1
		.amdhsa_system_sgpr_workgroup_info 0
		.amdhsa_system_vgpr_workitem_id 0
		.amdhsa_next_free_vgpr 78
		.amdhsa_next_free_sgpr 53
		.amdhsa_accum_offset 80
		.amdhsa_reserve_vcc 1
		.amdhsa_reserve_flat_scratch 0
		.amdhsa_float_round_mode_32 0
		.amdhsa_float_round_mode_16_64 0
		.amdhsa_float_denorm_mode_32 3
		.amdhsa_float_denorm_mode_16_64 3
		.amdhsa_dx10_clamp 1
		.amdhsa_ieee_mode 1
		.amdhsa_fp16_overflow 0
		.amdhsa_tg_split 0
		.amdhsa_exception_fp_ieee_invalid_op 0
		.amdhsa_exception_fp_denorm_src 0
		.amdhsa_exception_fp_ieee_div_zero 0
		.amdhsa_exception_fp_ieee_overflow 0
		.amdhsa_exception_fp_ieee_underflow 0
		.amdhsa_exception_fp_ieee_inexact 0
		.amdhsa_exception_int_div_zero 0
	.end_amdhsa_kernel
	.section	.text._Z39paged_attention_ll4mi_QKV_mfma16_kernelIDF16_hLN4vllm18Fp8KVCacheDataTypeE1EDF16_Li32ELi128ELi256ELb0ELi5EL8MFMAType0EEvPKT_PKT0_S8_ifPKiSA_SA_iPKfiiiPfSD_PS3_PT2_iSC_SC_,"axG",@progbits,_Z39paged_attention_ll4mi_QKV_mfma16_kernelIDF16_hLN4vllm18Fp8KVCacheDataTypeE1EDF16_Li32ELi128ELi256ELb0ELi5EL8MFMAType0EEvPKT_PKT0_S8_ifPKiSA_SA_iPKfiiiPfSD_PS3_PT2_iSC_SC_,comdat
.Lfunc_end658:
	.size	_Z39paged_attention_ll4mi_QKV_mfma16_kernelIDF16_hLN4vllm18Fp8KVCacheDataTypeE1EDF16_Li32ELi128ELi256ELb0ELi5EL8MFMAType0EEvPKT_PKT0_S8_ifPKiSA_SA_iPKfiiiPfSD_PS3_PT2_iSC_SC_, .Lfunc_end658-_Z39paged_attention_ll4mi_QKV_mfma16_kernelIDF16_hLN4vllm18Fp8KVCacheDataTypeE1EDF16_Li32ELi128ELi256ELb0ELi5EL8MFMAType0EEvPKT_PKT0_S8_ifPKiSA_SA_iPKfiiiPfSD_PS3_PT2_iSC_SC_
                                        ; -- End function
	.section	.AMDGPU.csdata,"",@progbits
; Kernel info:
; codeLenInByte = 21216
; NumSgprs: 57
; NumVgprs: 78
; NumAgprs: 0
; TotalNumVgprs: 78
; ScratchSize: 352
; MemoryBound: 0
; FloatMode: 240
; IeeeMode: 1
; LDSByteSize: 8192 bytes/workgroup (compile time only)
; SGPRBlocks: 7
; VGPRBlocks: 9
; NumSGPRsForWavesPerEU: 57
; NumVGPRsForWavesPerEU: 78
; AccumOffset: 80
; Occupancy: 6
; WaveLimiterHint : 1
; COMPUTE_PGM_RSRC2:SCRATCH_EN: 1
; COMPUTE_PGM_RSRC2:USER_SGPR: 8
; COMPUTE_PGM_RSRC2:TRAP_HANDLER: 0
; COMPUTE_PGM_RSRC2:TGID_X_EN: 1
; COMPUTE_PGM_RSRC2:TGID_Y_EN: 1
; COMPUTE_PGM_RSRC2:TGID_Z_EN: 1
; COMPUTE_PGM_RSRC2:TIDIG_COMP_CNT: 0
; COMPUTE_PGM_RSRC3_GFX90A:ACCUM_OFFSET: 19
; COMPUTE_PGM_RSRC3_GFX90A:TG_SPLIT: 0
	.section	.text._Z39paged_attention_ll4mi_QKV_mfma16_kernelIDF16_hLN4vllm18Fp8KVCacheDataTypeE1EDF16_Li32ELi128ELi256ELb0ELi6EL8MFMAType0EEvPKT_PKT0_S8_ifPKiSA_SA_iPKfiiiPfSD_PS3_PT2_iSC_SC_,"axG",@progbits,_Z39paged_attention_ll4mi_QKV_mfma16_kernelIDF16_hLN4vllm18Fp8KVCacheDataTypeE1EDF16_Li32ELi128ELi256ELb0ELi6EL8MFMAType0EEvPKT_PKT0_S8_ifPKiSA_SA_iPKfiiiPfSD_PS3_PT2_iSC_SC_,comdat
	.protected	_Z39paged_attention_ll4mi_QKV_mfma16_kernelIDF16_hLN4vllm18Fp8KVCacheDataTypeE1EDF16_Li32ELi128ELi256ELb0ELi6EL8MFMAType0EEvPKT_PKT0_S8_ifPKiSA_SA_iPKfiiiPfSD_PS3_PT2_iSC_SC_ ; -- Begin function _Z39paged_attention_ll4mi_QKV_mfma16_kernelIDF16_hLN4vllm18Fp8KVCacheDataTypeE1EDF16_Li32ELi128ELi256ELb0ELi6EL8MFMAType0EEvPKT_PKT0_S8_ifPKiSA_SA_iPKfiiiPfSD_PS3_PT2_iSC_SC_
	.globl	_Z39paged_attention_ll4mi_QKV_mfma16_kernelIDF16_hLN4vllm18Fp8KVCacheDataTypeE1EDF16_Li32ELi128ELi256ELb0ELi6EL8MFMAType0EEvPKT_PKT0_S8_ifPKiSA_SA_iPKfiiiPfSD_PS3_PT2_iSC_SC_
	.p2align	8
	.type	_Z39paged_attention_ll4mi_QKV_mfma16_kernelIDF16_hLN4vllm18Fp8KVCacheDataTypeE1EDF16_Li32ELi128ELi256ELb0ELi6EL8MFMAType0EEvPKT_PKT0_S8_ifPKiSA_SA_iPKfiiiPfSD_PS3_PT2_iSC_SC_,@function
_Z39paged_attention_ll4mi_QKV_mfma16_kernelIDF16_hLN4vllm18Fp8KVCacheDataTypeE1EDF16_Li32ELi128ELi256ELb0ELi6EL8MFMAType0EEvPKT_PKT0_S8_ifPKiSA_SA_iPKfiiiPfSD_PS3_PT2_iSC_SC_: ; @_Z39paged_attention_ll4mi_QKV_mfma16_kernelIDF16_hLN4vllm18Fp8KVCacheDataTypeE1EDF16_Li32ELi128ELi256ELb0ELi6EL8MFMAType0EEvPKT_PKT0_S8_ifPKiSA_SA_iPKfiiiPfSD_PS3_PT2_iSC_SC_
; %bb.0:
	s_load_dwordx2 s[6:7], s[4:5], 0x30
	s_add_u32 s0, s0, s11
	s_addc_u32 s1, s1, 0
	s_mov_b32 s24, s9
	s_mov_b64 s[12:13], 0
	s_waitcnt lgkmcnt(0)
	s_cmp_lg_u64 s[6:7], 0
	s_cselect_b64 s[16:17], -1, 0
	s_and_b64 vcc, exec, s[16:17]
	s_cbranch_vccz .LBB659_7
; %bb.1:
	s_add_i32 s14, s8, 1
	s_mov_b32 s15, 0
	s_lshl_b64 s[18:19], s[14:15], 2
	s_add_u32 s18, s6, s18
	s_mov_b32 s9, s15
	s_addc_u32 s19, s7, s19
	s_lshl_b64 s[14:15], s[8:9], 2
	s_add_u32 s14, s6, s14
	s_addc_u32 s15, s7, s15
	s_load_dword s11, s[18:19], 0x0
	s_load_dword s20, s[14:15], 0x0
	s_waitcnt lgkmcnt(0)
	s_sub_i32 s11, s11, s20
	s_cmp_eq_u32 s11, 1
	s_cselect_b64 s[14:15], -1, 0
	s_andn2_b64 vcc, exec, s[12:13]
	s_cbranch_vccnz .LBB659_3
.LBB659_2:
	s_mov_b32 s9, 0
	s_mov_b64 s[14:15], -1
.LBB659_3:
	s_andn2_b64 vcc, exec, s[14:15]
	s_cbranch_vccnz .LBB659_598
; %bb.4:
	s_load_dwordx2 s[12:13], s[4:5], 0x28
	s_lshl_b64 s[18:19], s[8:9], 2
	s_waitcnt lgkmcnt(0)
	s_add_u32 s12, s12, s18
	s_addc_u32 s13, s13, s19
	s_load_dword s33, s[12:13], 0x0
	s_lshl_b32 s20, s24, 8
	s_waitcnt lgkmcnt(0)
	s_cmp_ge_i32 s20, s33
	s_cbranch_scc1 .LBB659_598
; %bb.5:
	s_add_i32 s14, s33, 31
	s_load_dwordx2 s[12:13], s[4:5], 0x20
	s_load_dword s11, s[4:5], 0x38
	s_ashr_i32 s15, s14, 31
	v_and_b32_e32 v1, 0xcf, v0
	s_lshr_b32 s15, s15, 27
	v_add_u32_e32 v1, s20, v1
	s_add_i32 s14, s14, s15
	v_ashrrev_i32_e32 v2, 31, v1
	s_ashr_i32 s22, s14, 5
	v_lshrrev_b32_e32 v10, 27, v2
	s_add_i32 s22, s22, -1
	v_add_u32_e32 v2, v1, v10
	s_waitcnt lgkmcnt(0)
	s_mul_i32 s14, s8, s11
	s_mov_b32 s15, 0
	v_ashrrev_i32_e32 v2, 5, v2
	v_mov_b32_e32 v11, s22
	v_cmp_gt_i32_e32 vcc, s33, v1
	s_lshl_b64 s[14:15], s[14:15], 2
	v_cndmask_b32_e32 v2, v11, v2, vcc
	s_add_u32 s11, s12, s14
	v_ashrrev_i32_e32 v3, 31, v2
	s_addc_u32 s21, s13, s15
	v_lshlrev_b64 v[2:3], 2, v[2:3]
	v_mov_b32_e32 v5, s21
	v_add_co_u32_e32 v4, vcc, s11, v2
	v_or_b32_e32 v2, 16, v1
	v_addc_co_u32_e32 v5, vcc, v5, v3, vcc
	v_add_u32_e32 v3, v2, v10
	v_ashrrev_i32_e32 v3, 5, v3
	v_cmp_gt_i32_e32 vcc, s33, v2
	v_cndmask_b32_e32 v2, v11, v3, vcc
	v_ashrrev_i32_e32 v3, 31, v2
	v_lshlrev_b64 v[2:3], 2, v[2:3]
	v_mov_b32_e32 v7, s21
	v_add_co_u32_e32 v6, vcc, s11, v2
	v_or_b32_e32 v2, 32, v1
	v_addc_co_u32_e32 v7, vcc, v7, v3, vcc
	v_add_u32_e32 v3, v2, v10
	v_ashrrev_i32_e32 v3, 5, v3
	v_cmp_gt_i32_e32 vcc, s33, v2
	v_cndmask_b32_e32 v2, v11, v3, vcc
	v_ashrrev_i32_e32 v3, 31, v2
	;; [unrolled: 10-line block ×3, first 2 shown]
	v_lshlrev_b64 v[2:3], 2, v[2:3]
	v_mov_b32_e32 v1, s21
	v_add_co_u32_e32 v10, vcc, s11, v2
	v_addc_co_u32_e32 v11, vcc, v1, v3, vcc
	global_load_dword v2, v[4:5], off
	global_load_dword v13, v[6:7], off
	;; [unrolled: 1-line block ×4, first 2 shown]
	s_load_dwordx4 s[12:15], s[4:5], 0x8
	s_andn2_b64 vcc, exec, s[16:17]
	s_cbranch_vccnz .LBB659_8
; %bb.6:
	s_add_u32 s6, s6, s18
	s_addc_u32 s7, s7, s19
	s_load_dword s16, s[6:7], 0x0
	s_branch .LBB659_9
.LBB659_7:
	s_mov_b64 s[14:15], 0
	s_branch .LBB659_2
.LBB659_8:
	s_mov_b32 s16, s8
.LBB659_9:
	s_load_dwordx2 s[48:49], s[4:5], 0x68
	s_load_dwordx8 s[40:47], s[4:5], 0x48
	v_lshrrev_b32_e32 v62, 6, v0
	v_bfe_u32 v1, v0, 4, 2
	v_and_b32_e32 v55, 15, v0
	v_lshl_or_b32 v3, v62, 2, v1
	v_lshlrev_b32_e32 v4, 3, v55
	s_mul_i32 s25, s10, 6
	v_cmp_gt_u32_e32 vcc, 6, v3
	v_lshlrev_b32_e32 v54, 1, v4
	v_lshlrev_b32_e32 v56, 4, v0
	s_and_saveexec_b64 s[6:7], vcc
	s_cbranch_execz .LBB659_11
; %bb.10:
	s_load_dwordx2 s[18:19], s[4:5], 0x0
	s_waitcnt lgkmcnt(0)
	s_ashr_i32 s17, s40, 31
	s_mul_hi_u32 s23, s16, s40
	s_mul_i32 s17, s16, s17
	s_add_i32 s17, s23, s17
	s_mul_i32 s16, s16, s40
	s_lshl_b64 s[16:17], s[16:17], 1
	v_add_lshl_u32 v4, v3, s25, 7
	s_add_u32 s16, s18, s16
	v_ashrrev_i32_e32 v5, 31, v4
	s_addc_u32 s17, s19, s17
	v_lshlrev_b64 v[4:5], 1, v[4:5]
	v_mov_b32_e32 v6, s17
	v_add_co_u32_e32 v4, vcc, s16, v4
	v_addc_co_u32_e32 v5, vcc, v6, v5, vcc
	v_add_co_u32_e32 v4, vcc, v4, v54
	v_addc_co_u32_e32 v5, vcc, 0, v5, vcc
	global_load_dwordx4 v[4:7], v[4:5], off
	v_lshlrev_b32_e32 v9, 8, v0
	v_lshlrev_b32_e32 v8, 8, v55
	v_and_b32_e32 v9, 0x600, v9
	s_movk_i32 s16, 0x800
	v_and_or_b32 v8, v8, s16, v9
	v_lshlrev_b32_e32 v3, 5, v3
	v_and_b32_e32 v9, 16, v56
	v_or3_b32 v3, v8, v3, v9
	s_waitcnt vmcnt(0)
	ds_write_b128 v3, v[4:7]
.LBB659_11:
	s_or_b64 exec, exec, s[6:7]
	s_waitcnt lgkmcnt(0)
	s_mul_i32 s10, s10, s42
	s_add_u32 s6, s12, s10
	s_addc_u32 s7, s13, 0
	v_pk_mov_b32 v[22:23], s[6:7], s[6:7] op_sel:[0,1]
	s_waitcnt vmcnt(3)
	v_mad_i64_i32 v[2:3], s[6:7], v2, s41, v[22:23]
	v_lshlrev_b32_e32 v18, 4, v55
	v_and_b32_e32 v6, 48, v0
	v_add_co_u32_e32 v2, vcc, v2, v18
	v_lshlrev_b32_e32 v25, 5, v6
	v_addc_co_u32_e32 v3, vcc, 0, v3, vcc
	s_ashr_i32 s6, s20, 31
	v_add_co_u32_e32 v10, vcc, v2, v25
	v_or_b32_e32 v16, s20, v6
	s_lshr_b32 s6, s6, 27
	v_addc_co_u32_e32 v11, vcc, 0, v3, vcc
	v_add_u32_e32 v6, s6, v16
	v_ashrrev_i32_e32 v6, 5, v6
	v_mov_b32_e32 v17, s22
	v_cmp_gt_i32_e32 vcc, s33, v16
	v_cndmask_b32_e32 v6, v17, v6, vcc
	v_ashrrev_i32_e32 v7, 31, v6
	v_lshlrev_b64 v[6:7], 2, v[6:7]
	v_mov_b32_e32 v8, s21
	v_add_co_u32_e32 v6, vcc, s11, v6
	v_addc_co_u32_e32 v7, vcc, v8, v7, vcc
	v_or_b32_e32 v8, 64, v16
	v_add_u32_e32 v9, s6, v8
	v_ashrrev_i32_e32 v9, 5, v9
	v_cmp_gt_i32_e32 vcc, s33, v8
	v_cndmask_b32_e32 v8, v17, v9, vcc
	v_ashrrev_i32_e32 v9, 31, v8
	s_load_dwordx2 s[50:51], s[4:5], 0x94
	s_waitcnt lgkmcnt(0)
	s_barrier
	global_load_dwordx4 v[2:5], v[10:11], off
	v_lshlrev_b64 v[8:9], 2, v[8:9]
	v_mov_b32_e32 v14, s21
	v_add_co_u32_e32 v8, vcc, s11, v8
	v_addc_co_u32_e32 v9, vcc, v14, v9, vcc
	v_or_b32_e32 v14, 0x80, v16
	v_add_u32_e32 v15, s6, v14
	v_ashrrev_i32_e32 v15, 5, v15
	v_cmp_gt_i32_e32 vcc, s33, v14
	v_cndmask_b32_e32 v14, v17, v15, vcc
	v_ashrrev_i32_e32 v15, 31, v14
	v_lshlrev_b64 v[14:15], 2, v[14:15]
	v_mov_b32_e32 v19, s21
	v_add_co_u32_e32 v14, vcc, s11, v14
	v_addc_co_u32_e32 v15, vcc, v19, v15, vcc
	global_load_dword v50, v[6:7], off
	global_load_dword v57, v[8:9], off
	;; [unrolled: 1-line block ×3, first 2 shown]
	v_or_b32_e32 v6, 0xc0, v16
	v_add_u32_e32 v7, s6, v6
	v_ashrrev_i32_e32 v7, 5, v7
	v_cmp_gt_i32_e32 vcc, s33, v6
	v_cndmask_b32_e32 v6, v17, v7, vcc
	v_ashrrev_i32_e32 v7, 31, v6
	v_lshlrev_b64 v[6:7], 2, v[6:7]
	v_mov_b32_e32 v8, s21
	v_add_co_u32_e32 v14, vcc, s11, v6
	v_addc_co_u32_e32 v15, vcc, v8, v7, vcc
	global_load_dword v61, v[14:15], off
	global_load_dwordx4 v[6:9], v[10:11], off offset:2048
	s_waitcnt vmcnt(8)
	v_mad_i64_i32 v[10:11], s[6:7], v13, s41, v[22:23]
	v_or_b32_e32 v26, 0x100, v18
	v_add_co_u32_e32 v10, vcc, v10, v26
	v_addc_co_u32_e32 v11, vcc, 0, v11, vcc
	v_add_co_u32_e32 v10, vcc, v10, v25
	v_addc_co_u32_e32 v11, vcc, 0, v11, vcc
	global_load_dwordx4 v[14:17], v[10:11], off
	v_lshl_or_b32 v63, v62, 4, v55
	v_lshlrev_b32_e32 v53, 5, v63
	s_waitcnt vmcnt(6)
	buffer_store_dword v5, off, s[0:3], 0 offset:12
	buffer_store_dword v4, off, s[0:3], 0 offset:8
	v_mad_i64_i32 v[4:5], s[6:7], v12, s41, v[22:23]
	v_add_co_u32_e32 v4, vcc, v4, v18
	v_addc_co_u32_e32 v5, vcc, 0, v5, vcc
	v_add_co_u32_e32 v4, vcc, v4, v25
	v_addc_co_u32_e32 v5, vcc, 0, v5, vcc
	global_load_dwordx4 v[38:41], v[10:11], off offset:2048
	s_nop 0
	global_load_dwordx4 v[10:13], v[4:5], off
	global_load_dwordx4 v[18:21], v[4:5], off offset:2048
	v_mad_i64_i32 v[4:5], s[6:7], v24, s41, v[22:23]
	v_add_co_u32_e32 v4, vcc, v4, v26
	v_addc_co_u32_e32 v5, vcc, 0, v5, vcc
	v_add_co_u32_e32 v4, vcc, v4, v25
	v_addc_co_u32_e32 v5, vcc, 0, v5, vcc
	s_add_u32 s6, s14, s10
	global_load_dwordx4 v[26:29], v[4:5], off
	global_load_dwordx4 v[22:25], v[4:5], off offset:2048
	s_addc_u32 s7, s15, 0
	v_and_b32_e32 v4, 16, v0
	v_mov_b32_e32 v5, s7
	v_add_co_u32_e32 v51, vcc, s6, v4
	v_addc_co_u32_e32 v52, vcc, 0, v5, vcc
	v_add_co_u32_e32 v4, vcc, v51, v53
	v_addc_co_u32_e32 v5, vcc, 0, v52, vcc
	s_waitcnt vmcnt(12)
	v_mad_i64_i32 v[30:31], s[6:7], v50, s41, v[4:5]
	s_waitcnt vmcnt(11)
	v_mad_i64_i32 v[34:35], s[6:7], v57, s41, v[4:5]
	;; [unrolled: 2-line block ×3, first 2 shown]
	global_load_dwordx4 v[30:33], v[30:31], off
	s_waitcnt vmcnt(10)
	v_mad_i64_i32 v[4:5], s[6:7], v61, s41, v[4:5]
	global_load_dwordx4 v[34:37], v[34:35], off
	s_nop 0
	global_load_dwordx4 v[46:49], v[42:43], off
	s_nop 0
	global_load_dwordx4 v[42:45], v[4:5], off
	v_or_b32_e32 v4, 0x800, v53
	v_add_co_u32_e32 v4, vcc, v51, v4
	v_addc_co_u32_e32 v5, vcc, 0, v52, vcc
	v_mad_i64_i32 v[50:51], s[6:7], v50, s41, v[4:5]
	buffer_store_dword v3, off, s[0:3], 0 offset:4
	buffer_store_dword v2, off, s[0:3], 0
	v_mad_i64_i32 v[2:3], s[6:7], v60, s41, v[4:5]
	global_load_dwordx4 v[50:53], v[50:51], off
	v_mad_i64_i32 v[58:59], s[6:7], v57, s41, v[4:5]
	global_load_dwordx4 v[70:73], v[2:3], off
	;; [unrolled: 2-line block ×3, first 2 shown]
	global_load_dwordx4 v[74:77], v[2:3], off
	v_mov_b32_e32 v2, 0x80
	s_waitcnt vmcnt(18)
	buffer_store_dword v9, off, s[0:3], 0 offset:28
	buffer_store_dword v8, off, s[0:3], 0 offset:24
	buffer_store_dword v7, off, s[0:3], 0 offset:20
	buffer_store_dword v6, off, s[0:3], 0 offset:16
	s_waitcnt vmcnt(21)
	buffer_store_dword v17, off, s[0:3], 0 offset:44
	buffer_store_dword v16, off, s[0:3], 0 offset:40
	;; [unrolled: 1-line block ×4, first 2 shown]
	s_load_dword s6, s[4:5], 0x1c
	s_load_dwordx4 s[40:43], s[4:5], 0x80
	v_add_u32_e32 v57, 16, v2
	s_waitcnt vmcnt(22)
	buffer_store_dword v41, off, s[0:3], 0 offset:60
	buffer_store_dword v40, off, s[0:3], 0 offset:56
	;; [unrolled: 1-line block ×4, first 2 shown]
	v_add_u32_e32 v61, 32, v2
	v_add_u32_e32 v39, 48, v2
	;; [unrolled: 1-line block ×6, first 2 shown]
	v_mul_lo_u16_e32 v2, 43, v55
	v_mov_b32_e32 v3, 6
	v_mul_lo_u16_sdwa v2, v2, v3 dst_sel:DWORD dst_unused:UNUSED_PAD src0_sel:BYTE_1 src1_sel:DWORD
	v_sub_u16_e32 v2, v55, v2
	v_mov_b32_e32 v3, 5
	v_lshlrev_b32_sdwa v2, v3, v2 dst_sel:DWORD dst_unused:UNUSED_PAD src0_sel:DWORD src1_sel:BYTE_0
	s_waitcnt vmcnt(25)
	buffer_store_dword v13, off, s[0:3], 0 offset:76
	buffer_store_dword v12, off, s[0:3], 0 offset:72
	;; [unrolled: 1-line block ×4, first 2 shown]
	v_lshl_add_u32 v14, v1, 9, v2
	ds_read_b128 v[2:5], v14
	ds_read_b128 v[6:9], v14 offset:16
	ds_read_b128 v[10:13], v14 offset:2048
	;; [unrolled: 1-line block ×3, first 2 shown]
	s_waitcnt vmcnt(28)
	buffer_store_dword v21, off, s[0:3], 0 offset:92
	buffer_store_dword v20, off, s[0:3], 0 offset:88
	buffer_store_dword v19, off, s[0:3], 0 offset:84
	buffer_store_dword v18, off, s[0:3], 0 offset:80
	s_waitcnt vmcnt(31)
	buffer_store_dword v29, off, s[0:3], 0 offset:108
	buffer_store_dword v28, off, s[0:3], 0 offset:104
	buffer_store_dword v27, off, s[0:3], 0 offset:100
	buffer_store_dword v26, off, s[0:3], 0 offset:96
	;; [unrolled: 5-line block ×9, first 2 shown]
	buffer_store_dword v73, off, s[0:3], 0 offset:220
	buffer_store_dword v72, off, s[0:3], 0 offset:216
	;; [unrolled: 1-line block ×4, first 2 shown]
	s_waitcnt vmcnt(56)
	buffer_store_dword v77, off, s[0:3], 0 offset:252
	s_waitcnt lgkmcnt(0)
	s_load_dword s4, s[40:41], 0x0
	v_mov_b32_e32 v18, s6
	v_and_b32_e32 v64, 63, v0
	s_mov_b32 s12, 0
	s_movk_i32 s13, 0x80
	s_waitcnt lgkmcnt(0)
	v_mul_f32_e32 v22, s4, v18
	v_mov_b32_e32 v24, v22
	v_mov_b32_e32 v25, v22
	;; [unrolled: 1-line block ×3, first 2 shown]
	s_movk_i32 s14, 0x7f
	s_mov_b32 s15, 0xffffff
	v_mov_b32_e32 v29, 0
	v_mov_b32_e32 v31, 0x100
	v_bfrev_b32_e32 v33, 60
	buffer_store_dword v76, off, s[0:3], 0 offset:248
	buffer_store_dword v75, off, s[0:3], 0 offset:244
	;; [unrolled: 1-line block ×3, first 2 shown]
	s_branch .LBB659_15
.LBB659_12:                             ;   in Loop: Header=BB659_15 Depth=1
	s_or_b64 exec, exec, s[10:11]
.LBB659_13:                             ;   in Loop: Header=BB659_15 Depth=1
	s_or_b64 exec, exec, s[6:7]
.LBB659_14:                             ;   in Loop: Header=BB659_15 Depth=1
	s_or_b64 exec, exec, s[4:5]
	v_cvt_pkrtz_f16_f32 v42, v34, v32
	v_cvt_pkrtz_f16_f32 v43, v23, v36
	;; [unrolled: 1-line block ×4, first 2 shown]
	v_add_u32_e32 v26, s12, v31
	v_mfma_f32_16x16x16f16 v[18:21], v[42:43], v[14:15], v[18:21]
	s_add_i32 s12, s12, 16
	v_mov_b32_e32 v23, v22
	s_cmp_eq_u32 s12, 64
	v_add_u32_e32 v27, 32, v27
	v_mfma_f32_16x16x16f16 v[18:21], v[34:35], v[16:17], v[18:21]
	s_nop 7
	s_nop 2
	v_pk_mul_f32 v[18:19], v[24:25], v[18:19]
	v_pk_mul_f32 v[20:21], v[22:23], v[20:21]
	buffer_store_dword v19, v26, s[0:3], 0 offen offset:4
	buffer_store_dword v18, v26, s[0:3], 0 offen
	buffer_store_dword v21, v26, s[0:3], 0 offen offset:12
	buffer_store_dword v20, v26, s[0:3], 0 offen offset:8
	s_cbranch_scc1 .LBB659_205
.LBB659_15:                             ; =>This Inner Loop Header: Depth=1
	buffer_load_dword v20, v27, s[0:3], 0 offen
	buffer_load_dword v18, v27, s[0:3], 0 offen offset:4
	buffer_load_dword v28, v27, s[0:3], 0 offen offset:8
	;; [unrolled: 1-line block ×3, first 2 shown]
	v_mov_b32_e32 v19, 0
	s_waitcnt vmcnt(3)
	v_cmp_ne_u16_sdwa s[6:7], v20, v29 src0_sel:BYTE_0 src1_sel:DWORD
	s_and_saveexec_b64 s[4:5], s[6:7]
	s_cbranch_execz .LBB659_21
; %bb.16:                               ;   in Loop: Header=BB659_15 Depth=1
	v_cmp_ne_u16_sdwa s[10:11], v20, s13 src0_sel:BYTE_0 src1_sel:DWORD
	v_bfrev_b32_e32 v19, 1
	s_and_saveexec_b64 s[6:7], s[10:11]
	s_cbranch_execz .LBB659_20
; %bb.17:                               ;   in Loop: Header=BB659_15 Depth=1
	v_and_b32_e32 v21, 0x7f, v20
	v_cmp_ne_u32_e32 vcc, s14, v21
	v_mov_b32_e32 v19, 0x7f800001
	s_and_saveexec_b64 s[10:11], vcc
	s_cbranch_execz .LBB659_19
; %bb.18:                               ;   in Loop: Header=BB659_15 Depth=1
	v_and_b32_e32 v19, 7, v20
	v_ffbh_u32_e32 v30, v19
	v_min_u32_e32 v30, 32, v30
	v_subrev_u32_e32 v32, 28, v30
	v_lshlrev_b64 v[34:35], v32, v[20:21]
	v_lshrrev_b32_e32 v23, 3, v21
	v_sub_u32_e32 v30, 29, v30
	v_and_b32_e32 v32, 7, v34
	v_cmp_gt_u32_e32 vcc, 8, v21
	v_cndmask_b32_e32 v21, v23, v30, vcc
	v_cndmask_b32_e32 v19, v19, v32, vcc
	v_lshlrev_b32_e32 v23, 24, v20
	v_lshlrev_b32_e32 v19, 20, v19
	v_and_b32_e32 v23, 0x80000000, v23
	v_lshl_add_u32 v21, v21, 23, v33
	v_or3_b32 v19, v23, v21, v19
.LBB659_19:                             ;   in Loop: Header=BB659_15 Depth=1
	s_or_b64 exec, exec, s[10:11]
.LBB659_20:                             ;   in Loop: Header=BB659_15 Depth=1
	s_or_b64 exec, exec, s[6:7]
.LBB659_21:                             ;   in Loop: Header=BB659_15 Depth=1
	s_or_b64 exec, exec, s[4:5]
	v_lshrrev_b16_e32 v30, 8, v20
	v_cmp_ne_u16_e32 vcc, 0, v30
	v_mov_b32_e32 v21, 0
	v_mov_b32_e32 v23, 0
	s_and_saveexec_b64 s[4:5], vcc
	s_cbranch_execz .LBB659_27
; %bb.22:                               ;   in Loop: Header=BB659_15 Depth=1
	v_cmp_ne_u16_e32 vcc, s13, v30
	v_bfrev_b32_e32 v23, 1
	s_and_saveexec_b64 s[6:7], vcc
	s_cbranch_execz .LBB659_26
; %bb.23:                               ;   in Loop: Header=BB659_15 Depth=1
	v_and_b32_e32 v32, 0x7f, v30
	v_cmp_ne_u32_e32 vcc, s14, v32
	v_mov_b32_e32 v23, 0x7f800001
	s_and_saveexec_b64 s[10:11], vcc
	s_cbranch_execz .LBB659_25
; %bb.24:                               ;   in Loop: Header=BB659_15 Depth=1
	v_and_b32_e32 v23, 7, v30
	v_ffbh_u32_e32 v34, v23
	v_min_u32_e32 v37, 32, v34
	v_subrev_u32_e32 v34, 28, v37
	v_lshlrev_b64 v[34:35], v34, v[30:31]
	v_lshrrev_b32_e32 v36, 3, v32
	v_sub_u32_e32 v30, 29, v37
	v_and_b32_e32 v34, 7, v34
	v_cmp_gt_u32_e32 vcc, 8, v32
	v_cndmask_b32_e32 v30, v36, v30, vcc
	v_cndmask_b32_e32 v23, v23, v34, vcc
	v_lshlrev_b32_e32 v32, 16, v20
	v_lshlrev_b32_e32 v23, 20, v23
	v_and_b32_e32 v32, 0x80000000, v32
	v_lshl_add_u32 v30, v30, 23, v33
	v_or3_b32 v23, v32, v30, v23
.LBB659_25:                             ;   in Loop: Header=BB659_15 Depth=1
	s_or_b64 exec, exec, s[10:11]
.LBB659_26:                             ;   in Loop: Header=BB659_15 Depth=1
	s_or_b64 exec, exec, s[6:7]
.LBB659_27:                             ;   in Loop: Header=BB659_15 Depth=1
	s_or_b64 exec, exec, s[4:5]
	v_lshrrev_b32_e32 v30, 16, v20
	v_cmp_ne_u16_sdwa s[6:7], v30, v29 src0_sel:BYTE_0 src1_sel:DWORD
	s_and_saveexec_b64 s[4:5], s[6:7]
	s_cbranch_execz .LBB659_33
; %bb.28:                               ;   in Loop: Header=BB659_15 Depth=1
	v_cmp_ne_u16_sdwa s[10:11], v30, s13 src0_sel:BYTE_0 src1_sel:DWORD
	v_bfrev_b32_e32 v21, 1
	s_and_saveexec_b64 s[6:7], s[10:11]
	s_cbranch_execz .LBB659_32
; %bb.29:                               ;   in Loop: Header=BB659_15 Depth=1
	v_bfe_u32 v32, v20, 16, 7
	v_cmp_ne_u32_e32 vcc, s14, v32
	v_mov_b32_e32 v21, 0x7f800001
	s_and_saveexec_b64 s[10:11], vcc
	s_cbranch_execz .LBB659_31
; %bb.30:                               ;   in Loop: Header=BB659_15 Depth=1
	v_and_b32_e32 v21, 7, v30
	v_ffbh_u32_e32 v34, v21
	v_min_u32_e32 v37, 32, v34
	v_subrev_u32_e32 v34, 28, v37
	v_lshlrev_b64 v[34:35], v34, v[30:31]
	v_lshrrev_b32_e32 v36, 3, v32
	v_sub_u32_e32 v35, 29, v37
	v_and_b32_e32 v34, 7, v34
	v_cmp_gt_u32_e32 vcc, 8, v32
	v_cndmask_b32_e32 v32, v36, v35, vcc
	v_cndmask_b32_e32 v21, v21, v34, vcc
	v_lshlrev_b32_e32 v30, 24, v30
	v_lshlrev_b32_e32 v21, 20, v21
	v_and_b32_e32 v30, 0x80000000, v30
	v_lshl_add_u32 v32, v32, 23, v33
	v_or3_b32 v21, v30, v32, v21
.LBB659_31:                             ;   in Loop: Header=BB659_15 Depth=1
	s_or_b64 exec, exec, s[10:11]
.LBB659_32:                             ;   in Loop: Header=BB659_15 Depth=1
	s_or_b64 exec, exec, s[6:7]
.LBB659_33:                             ;   in Loop: Header=BB659_15 Depth=1
	s_or_b64 exec, exec, s[4:5]
	v_cmp_lt_u32_e32 vcc, s15, v20
	v_mov_b32_e32 v34, 0
	v_mov_b32_e32 v35, 0
	s_and_saveexec_b64 s[4:5], vcc
	s_cbranch_execz .LBB659_39
; %bb.34:                               ;   in Loop: Header=BB659_15 Depth=1
	v_lshrrev_b32_e32 v30, 24, v20
	v_cmp_ne_u32_e32 vcc, s13, v30
	v_bfrev_b32_e32 v35, 1
	s_and_saveexec_b64 s[6:7], vcc
	s_cbranch_execz .LBB659_38
; %bb.35:                               ;   in Loop: Header=BB659_15 Depth=1
	v_bfe_u32 v20, v20, 24, 7
	v_cmp_ne_u32_e32 vcc, s14, v20
	v_mov_b32_e32 v35, 0x7f800001
	s_and_saveexec_b64 s[10:11], vcc
	s_cbranch_execz .LBB659_37
; %bb.36:                               ;   in Loop: Header=BB659_15 Depth=1
	v_and_b32_e32 v32, 7, v30
	v_ffbh_u32_e32 v36, v32
	v_min_u32_e32 v38, 32, v36
	v_subrev_u32_e32 v36, 28, v38
	v_lshlrev_b64 v[36:37], v36, v[30:31]
	v_lshrrev_b32_e32 v35, 3, v20
	v_sub_u32_e32 v37, 29, v38
	v_and_b32_e32 v36, 7, v36
	v_cmp_gt_u32_e32 vcc, 8, v20
	v_cndmask_b32_e32 v20, v35, v37, vcc
	v_cndmask_b32_e32 v32, v32, v36, vcc
	v_lshlrev_b32_e32 v30, 24, v30
	v_lshlrev_b32_e32 v32, 20, v32
	v_and_b32_e32 v30, 0x80000000, v30
	v_lshl_add_u32 v20, v20, 23, v33
	v_or3_b32 v35, v30, v20, v32
.LBB659_37:                             ;   in Loop: Header=BB659_15 Depth=1
	s_or_b64 exec, exec, s[10:11]
.LBB659_38:                             ;   in Loop: Header=BB659_15 Depth=1
	s_or_b64 exec, exec, s[6:7]
.LBB659_39:                             ;   in Loop: Header=BB659_15 Depth=1
	s_or_b64 exec, exec, s[4:5]
	s_waitcnt vmcnt(2)
	v_cmp_ne_u16_sdwa s[6:7], v18, v29 src0_sel:BYTE_0 src1_sel:DWORD
	s_and_saveexec_b64 s[4:5], s[6:7]
	s_cbranch_execz .LBB659_45
; %bb.40:                               ;   in Loop: Header=BB659_15 Depth=1
	v_cmp_ne_u16_sdwa s[10:11], v18, s13 src0_sel:BYTE_0 src1_sel:DWORD
	v_bfrev_b32_e32 v34, 1
	s_and_saveexec_b64 s[6:7], s[10:11]
	s_cbranch_execz .LBB659_44
; %bb.41:                               ;   in Loop: Header=BB659_15 Depth=1
	v_and_b32_e32 v20, 0x7f, v18
	v_cmp_ne_u32_e32 vcc, s14, v20
	v_mov_b32_e32 v34, 0x7f800001
	s_and_saveexec_b64 s[10:11], vcc
	s_cbranch_execz .LBB659_43
; %bb.42:                               ;   in Loop: Header=BB659_15 Depth=1
	v_and_b32_e32 v30, 7, v18
	v_ffbh_u32_e32 v34, v30
	v_min_u32_e32 v34, 32, v34
	v_subrev_u32_e32 v36, 28, v34
	v_lshlrev_b64 v[36:37], v36, v[18:19]
	v_lshrrev_b32_e32 v32, 3, v20
	v_sub_u32_e32 v34, 29, v34
	v_and_b32_e32 v36, 7, v36
	v_cmp_gt_u32_e32 vcc, 8, v20
	v_cndmask_b32_e32 v20, v32, v34, vcc
	v_cndmask_b32_e32 v30, v30, v36, vcc
	v_lshlrev_b32_e32 v32, 24, v18
	v_lshlrev_b32_e32 v30, 20, v30
	v_and_b32_e32 v32, 0x80000000, v32
	v_lshl_add_u32 v20, v20, 23, v33
	v_or3_b32 v34, v32, v20, v30
.LBB659_43:                             ;   in Loop: Header=BB659_15 Depth=1
	s_or_b64 exec, exec, s[10:11]
.LBB659_44:                             ;   in Loop: Header=BB659_15 Depth=1
	s_or_b64 exec, exec, s[6:7]
.LBB659_45:                             ;   in Loop: Header=BB659_15 Depth=1
	s_or_b64 exec, exec, s[4:5]
	v_lshrrev_b16_e32 v20, 8, v18
	v_cmp_ne_u16_e32 vcc, 0, v20
	v_mov_b32_e32 v30, 0
	v_mov_b32_e32 v36, 0
	s_and_saveexec_b64 s[4:5], vcc
	s_cbranch_execz .LBB659_51
; %bb.46:                               ;   in Loop: Header=BB659_15 Depth=1
	v_cmp_ne_u16_e32 vcc, s13, v20
	v_bfrev_b32_e32 v36, 1
	s_and_saveexec_b64 s[6:7], vcc
	s_cbranch_execz .LBB659_50
; %bb.47:                               ;   in Loop: Header=BB659_15 Depth=1
	v_and_b32_e32 v32, 0x7f, v20
	v_cmp_ne_u32_e32 vcc, s14, v32
	v_mov_b32_e32 v36, 0x7f800001
	s_and_saveexec_b64 s[10:11], vcc
	s_cbranch_execz .LBB659_49
; %bb.48:                               ;   in Loop: Header=BB659_15 Depth=1
	v_and_b32_e32 v38, 7, v20
	v_ffbh_u32_e32 v36, v38
	v_min_u32_e32 v42, 32, v36
	v_subrev_u32_e32 v36, 28, v42
	v_lshlrev_b64 v[36:37], v36, v[20:21]
	v_lshrrev_b32_e32 v40, 3, v32
	v_sub_u32_e32 v20, 29, v42
	v_and_b32_e32 v36, 7, v36
	v_cmp_gt_u32_e32 vcc, 8, v32
	v_cndmask_b32_e32 v20, v40, v20, vcc
	v_cndmask_b32_e32 v32, v38, v36, vcc
	v_lshlrev_b32_e32 v36, 16, v18
	v_lshlrev_b32_e32 v32, 20, v32
	v_and_b32_e32 v36, 0x80000000, v36
	v_lshl_add_u32 v20, v20, 23, v33
	v_or3_b32 v36, v36, v20, v32
.LBB659_49:                             ;   in Loop: Header=BB659_15 Depth=1
	s_or_b64 exec, exec, s[10:11]
.LBB659_50:                             ;   in Loop: Header=BB659_15 Depth=1
	s_or_b64 exec, exec, s[6:7]
.LBB659_51:                             ;   in Loop: Header=BB659_15 Depth=1
	s_or_b64 exec, exec, s[4:5]
	v_lshrrev_b32_e32 v20, 16, v18
	v_cmp_ne_u16_sdwa s[6:7], v20, v29 src0_sel:BYTE_0 src1_sel:DWORD
	s_and_saveexec_b64 s[4:5], s[6:7]
	s_cbranch_execz .LBB659_57
; %bb.52:                               ;   in Loop: Header=BB659_15 Depth=1
	v_cmp_ne_u16_sdwa s[10:11], v20, s13 src0_sel:BYTE_0 src1_sel:DWORD
	v_bfrev_b32_e32 v30, 1
	s_and_saveexec_b64 s[6:7], s[10:11]
	s_cbranch_execz .LBB659_56
; %bb.53:                               ;   in Loop: Header=BB659_15 Depth=1
	v_bfe_u32 v32, v18, 16, 7
	v_cmp_ne_u32_e32 vcc, s14, v32
	v_mov_b32_e32 v30, 0x7f800001
	s_and_saveexec_b64 s[10:11], vcc
	s_cbranch_execz .LBB659_55
; %bb.54:                               ;   in Loop: Header=BB659_15 Depth=1
	v_and_b32_e32 v30, 7, v20
	v_ffbh_u32_e32 v38, v30
	v_min_u32_e32 v38, 32, v38
	v_subrev_u32_e32 v40, 28, v38
	v_lshlrev_b64 v[42:43], v40, v[20:21]
	v_lshrrev_b32_e32 v37, 3, v32
	v_sub_u32_e32 v38, 29, v38
	v_and_b32_e32 v40, 7, v42
	v_cmp_gt_u32_e32 vcc, 8, v32
	v_cndmask_b32_e32 v32, v37, v38, vcc
	v_cndmask_b32_e32 v30, v30, v40, vcc
	v_lshlrev_b32_e32 v20, 24, v20
	v_lshlrev_b32_e32 v30, 20, v30
	v_and_b32_e32 v20, 0x80000000, v20
	v_lshl_add_u32 v32, v32, 23, v33
	v_or3_b32 v30, v20, v32, v30
.LBB659_55:                             ;   in Loop: Header=BB659_15 Depth=1
	s_or_b64 exec, exec, s[10:11]
.LBB659_56:                             ;   in Loop: Header=BB659_15 Depth=1
	s_or_b64 exec, exec, s[6:7]
.LBB659_57:                             ;   in Loop: Header=BB659_15 Depth=1
	s_or_b64 exec, exec, s[4:5]
	v_cmp_lt_u32_e32 vcc, s15, v18
	v_mov_b32_e32 v32, 0
	v_mov_b32_e32 v37, 0
	s_and_saveexec_b64 s[4:5], vcc
	s_cbranch_execz .LBB659_63
; %bb.58:                               ;   in Loop: Header=BB659_15 Depth=1
	v_lshrrev_b32_e32 v20, 24, v18
	v_cmp_ne_u32_e32 vcc, s13, v20
	v_bfrev_b32_e32 v37, 1
	s_and_saveexec_b64 s[6:7], vcc
	s_cbranch_execz .LBB659_62
; %bb.59:                               ;   in Loop: Header=BB659_15 Depth=1
	v_bfe_u32 v18, v18, 24, 7
	v_cmp_ne_u32_e32 vcc, s14, v18
	v_mov_b32_e32 v37, 0x7f800001
	s_and_saveexec_b64 s[10:11], vcc
	s_cbranch_execz .LBB659_61
; %bb.60:                               ;   in Loop: Header=BB659_15 Depth=1
	v_and_b32_e32 v37, 7, v20
	v_ffbh_u32_e32 v40, v37
	v_min_u32_e32 v40, 32, v40
	v_subrev_u32_e32 v42, 28, v40
	v_lshlrev_b64 v[42:43], v42, v[20:21]
	v_lshrrev_b32_e32 v38, 3, v18
	v_sub_u32_e32 v40, 29, v40
	v_and_b32_e32 v42, 7, v42
	v_cmp_gt_u32_e32 vcc, 8, v18
	v_cndmask_b32_e32 v18, v38, v40, vcc
	v_cndmask_b32_e32 v37, v37, v42, vcc
	v_lshlrev_b32_e32 v20, 24, v20
	v_lshlrev_b32_e32 v37, 20, v37
	v_and_b32_e32 v20, 0x80000000, v20
	v_lshl_add_u32 v18, v18, 23, v33
	v_or3_b32 v37, v20, v18, v37
.LBB659_61:                             ;   in Loop: Header=BB659_15 Depth=1
	s_or_b64 exec, exec, s[10:11]
.LBB659_62:                             ;   in Loop: Header=BB659_15 Depth=1
	s_or_b64 exec, exec, s[6:7]
.LBB659_63:                             ;   in Loop: Header=BB659_15 Depth=1
	s_or_b64 exec, exec, s[4:5]
	v_cvt_pkrtz_f16_f32 v18, v19, v23
	v_cvt_pkrtz_f16_f32 v19, v21, v35
	;; [unrolled: 1-line block ×4, first 2 shown]
	s_waitcnt vmcnt(1)
	v_cmp_ne_u16_sdwa s[6:7], v28, v29 src0_sel:BYTE_0 src1_sel:DWORD
	v_mfma_f32_16x16x16f16 v[18:21], v[18:19], v[2:3], 0
	v_mfma_f32_16x16x16f16 v[18:21], v[34:35], v[4:5], v[18:21]
	s_and_saveexec_b64 s[4:5], s[6:7]
	s_cbranch_execz .LBB659_69
; %bb.64:                               ;   in Loop: Header=BB659_15 Depth=1
	v_cmp_ne_u16_sdwa s[10:11], v28, s13 src0_sel:BYTE_0 src1_sel:DWORD
	v_bfrev_b32_e32 v32, 1
	s_and_saveexec_b64 s[6:7], s[10:11]
	s_cbranch_execz .LBB659_68
; %bb.65:                               ;   in Loop: Header=BB659_15 Depth=1
	v_and_b32_e32 v23, 0x7f, v28
	v_cmp_ne_u32_e32 vcc, s14, v23
	v_mov_b32_e32 v32, 0x7f800001
	s_and_saveexec_b64 s[10:11], vcc
	s_cbranch_execz .LBB659_67
; %bb.66:                               ;   in Loop: Header=BB659_15 Depth=1
	v_and_b32_e32 v30, 7, v28
	v_ffbh_u32_e32 v34, v30
	v_min_u32_e32 v36, 32, v34
	v_subrev_u32_e32 v34, 28, v36
	v_lshlrev_b64 v[34:35], v34, v[28:29]
	v_lshrrev_b32_e32 v32, 3, v23
	v_sub_u32_e32 v35, 29, v36
	v_and_b32_e32 v34, 7, v34
	v_cmp_gt_u32_e32 vcc, 8, v23
	v_cndmask_b32_e32 v23, v32, v35, vcc
	v_cndmask_b32_e32 v30, v30, v34, vcc
	v_lshlrev_b32_e32 v32, 24, v28
	v_lshlrev_b32_e32 v30, 20, v30
	v_and_b32_e32 v32, 0x80000000, v32
	v_lshl_add_u32 v23, v23, 23, v33
	v_or3_b32 v32, v32, v23, v30
.LBB659_67:                             ;   in Loop: Header=BB659_15 Depth=1
	s_or_b64 exec, exec, s[10:11]
.LBB659_68:                             ;   in Loop: Header=BB659_15 Depth=1
	s_or_b64 exec, exec, s[6:7]
.LBB659_69:                             ;   in Loop: Header=BB659_15 Depth=1
	s_or_b64 exec, exec, s[4:5]
	v_lshrrev_b16_e32 v30, 8, v28
	v_cmp_ne_u16_e32 vcc, 0, v30
	v_mov_b32_e32 v34, 0
	v_mov_b32_e32 v35, 0
	s_and_saveexec_b64 s[4:5], vcc
	s_cbranch_execz .LBB659_75
; %bb.70:                               ;   in Loop: Header=BB659_15 Depth=1
	v_cmp_ne_u16_e32 vcc, s13, v30
	v_bfrev_b32_e32 v35, 1
	s_and_saveexec_b64 s[6:7], vcc
	s_cbranch_execz .LBB659_74
; %bb.71:                               ;   in Loop: Header=BB659_15 Depth=1
	v_and_b32_e32 v23, 0x7f, v30
	v_cmp_ne_u32_e32 vcc, s14, v23
	v_mov_b32_e32 v35, 0x7f800001
	s_and_saveexec_b64 s[10:11], vcc
	s_cbranch_execz .LBB659_73
; %bb.72:                               ;   in Loop: Header=BB659_15 Depth=1
	v_and_b32_e32 v35, 7, v30
	v_ffbh_u32_e32 v36, v35
	v_min_u32_e32 v40, 32, v36
	v_subrev_u32_e32 v36, 28, v40
	v_lshlrev_b64 v[36:37], v36, v[30:31]
	v_lshrrev_b32_e32 v38, 3, v23
	v_sub_u32_e32 v30, 29, v40
	v_and_b32_e32 v36, 7, v36
	v_cmp_gt_u32_e32 vcc, 8, v23
	v_cndmask_b32_e32 v23, v38, v30, vcc
	v_cndmask_b32_e32 v30, v35, v36, vcc
	v_lshlrev_b32_e32 v35, 16, v28
	v_lshlrev_b32_e32 v30, 20, v30
	v_and_b32_e32 v35, 0x80000000, v35
	v_lshl_add_u32 v23, v23, 23, v33
	v_or3_b32 v35, v35, v23, v30
.LBB659_73:                             ;   in Loop: Header=BB659_15 Depth=1
	s_or_b64 exec, exec, s[10:11]
.LBB659_74:                             ;   in Loop: Header=BB659_15 Depth=1
	s_or_b64 exec, exec, s[6:7]
.LBB659_75:                             ;   in Loop: Header=BB659_15 Depth=1
	s_or_b64 exec, exec, s[4:5]
	v_lshrrev_b32_e32 v30, 16, v28
	v_cmp_ne_u16_sdwa s[6:7], v30, v29 src0_sel:BYTE_0 src1_sel:DWORD
	s_and_saveexec_b64 s[4:5], s[6:7]
	s_cbranch_execz .LBB659_81
; %bb.76:                               ;   in Loop: Header=BB659_15 Depth=1
	v_cmp_ne_u16_sdwa s[10:11], v30, s13 src0_sel:BYTE_0 src1_sel:DWORD
	v_bfrev_b32_e32 v34, 1
	s_and_saveexec_b64 s[6:7], s[10:11]
	s_cbranch_execz .LBB659_80
; %bb.77:                               ;   in Loop: Header=BB659_15 Depth=1
	v_bfe_u32 v23, v28, 16, 7
	v_cmp_ne_u32_e32 vcc, s14, v23
	v_mov_b32_e32 v34, 0x7f800001
	s_and_saveexec_b64 s[10:11], vcc
	s_cbranch_execz .LBB659_79
; %bb.78:                               ;   in Loop: Header=BB659_15 Depth=1
	v_and_b32_e32 v34, 7, v30
	v_ffbh_u32_e32 v36, v34
	v_min_u32_e32 v40, 32, v36
	v_subrev_u32_e32 v36, 28, v40
	v_lshlrev_b64 v[36:37], v36, v[30:31]
	v_lshrrev_b32_e32 v38, 3, v23
	v_sub_u32_e32 v37, 29, v40
	v_and_b32_e32 v36, 7, v36
	v_cmp_gt_u32_e32 vcc, 8, v23
	v_cndmask_b32_e32 v23, v38, v37, vcc
	v_cndmask_b32_e32 v34, v34, v36, vcc
	v_lshlrev_b32_e32 v30, 24, v30
	v_lshlrev_b32_e32 v34, 20, v34
	v_and_b32_e32 v30, 0x80000000, v30
	v_lshl_add_u32 v23, v23, 23, v33
	v_or3_b32 v34, v30, v23, v34
.LBB659_79:                             ;   in Loop: Header=BB659_15 Depth=1
	s_or_b64 exec, exec, s[10:11]
.LBB659_80:                             ;   in Loop: Header=BB659_15 Depth=1
	s_or_b64 exec, exec, s[6:7]
.LBB659_81:                             ;   in Loop: Header=BB659_15 Depth=1
	s_or_b64 exec, exec, s[4:5]
	v_cmp_lt_u32_e32 vcc, s15, v28
	v_mov_b32_e32 v36, 0
	v_mov_b32_e32 v37, 0
	s_and_saveexec_b64 s[4:5], vcc
	s_cbranch_execz .LBB659_87
; %bb.82:                               ;   in Loop: Header=BB659_15 Depth=1
	v_lshrrev_b32_e32 v30, 24, v28
	v_cmp_ne_u32_e32 vcc, s13, v30
	v_bfrev_b32_e32 v37, 1
	s_and_saveexec_b64 s[6:7], vcc
	s_cbranch_execz .LBB659_86
; %bb.83:                               ;   in Loop: Header=BB659_15 Depth=1
	v_bfe_u32 v23, v28, 24, 7
	v_cmp_ne_u32_e32 vcc, s14, v23
	v_mov_b32_e32 v37, 0x7f800001
	s_and_saveexec_b64 s[10:11], vcc
	s_cbranch_execz .LBB659_85
; %bb.84:                               ;   in Loop: Header=BB659_15 Depth=1
	v_and_b32_e32 v28, 7, v30
	v_ffbh_u32_e32 v38, v28
	v_min_u32_e32 v38, 32, v38
	v_subrev_u32_e32 v40, 28, v38
	v_lshlrev_b64 v[42:43], v40, v[30:31]
	v_lshrrev_b32_e32 v37, 3, v23
	v_sub_u32_e32 v38, 29, v38
	v_and_b32_e32 v40, 7, v42
	v_cmp_gt_u32_e32 vcc, 8, v23
	v_cndmask_b32_e32 v23, v37, v38, vcc
	v_cndmask_b32_e32 v28, v28, v40, vcc
	v_lshlrev_b32_e32 v30, 24, v30
	v_lshlrev_b32_e32 v28, 20, v28
	v_and_b32_e32 v30, 0x80000000, v30
	v_lshl_add_u32 v23, v23, 23, v33
	v_or3_b32 v37, v30, v23, v28
.LBB659_85:                             ;   in Loop: Header=BB659_15 Depth=1
	s_or_b64 exec, exec, s[10:11]
.LBB659_86:                             ;   in Loop: Header=BB659_15 Depth=1
	s_or_b64 exec, exec, s[6:7]
.LBB659_87:                             ;   in Loop: Header=BB659_15 Depth=1
	s_or_b64 exec, exec, s[4:5]
	s_waitcnt vmcnt(0)
	v_cmp_ne_u16_sdwa s[6:7], v26, v29 src0_sel:BYTE_0 src1_sel:DWORD
	s_and_saveexec_b64 s[4:5], s[6:7]
	s_cbranch_execz .LBB659_93
; %bb.88:                               ;   in Loop: Header=BB659_15 Depth=1
	v_cmp_ne_u16_sdwa s[10:11], v26, s13 src0_sel:BYTE_0 src1_sel:DWORD
	v_bfrev_b32_e32 v36, 1
	s_and_saveexec_b64 s[6:7], s[10:11]
	s_cbranch_execz .LBB659_92
; %bb.89:                               ;   in Loop: Header=BB659_15 Depth=1
	v_and_b32_e32 v23, 0x7f, v26
	v_cmp_ne_u32_e32 vcc, s14, v23
	v_mov_b32_e32 v36, 0x7f800001
	s_and_saveexec_b64 s[10:11], vcc
	s_cbranch_execz .LBB659_91
; %bb.90:                               ;   in Loop: Header=BB659_15 Depth=1
	v_and_b32_e32 v28, 7, v26
	v_ffbh_u32_e32 v36, v28
	v_min_u32_e32 v36, 32, v36
	v_subrev_u32_e32 v38, 28, v36
	v_lshlrev_b64 v[42:43], v38, v[26:27]
	v_lshrrev_b32_e32 v30, 3, v23
	v_sub_u32_e32 v36, 29, v36
	v_and_b32_e32 v38, 7, v42
	v_cmp_gt_u32_e32 vcc, 8, v23
	v_cndmask_b32_e32 v23, v30, v36, vcc
	v_cndmask_b32_e32 v28, v28, v38, vcc
	v_lshlrev_b32_e32 v30, 24, v26
	v_lshlrev_b32_e32 v28, 20, v28
	v_and_b32_e32 v30, 0x80000000, v30
	v_lshl_add_u32 v23, v23, 23, v33
	v_or3_b32 v36, v30, v23, v28
.LBB659_91:                             ;   in Loop: Header=BB659_15 Depth=1
	s_or_b64 exec, exec, s[10:11]
.LBB659_92:                             ;   in Loop: Header=BB659_15 Depth=1
	s_or_b64 exec, exec, s[6:7]
.LBB659_93:                             ;   in Loop: Header=BB659_15 Depth=1
	s_or_b64 exec, exec, s[4:5]
	v_lshrrev_b16_e32 v28, 8, v26
	v_cmp_ne_u16_e32 vcc, 0, v28
	v_mov_b32_e32 v38, 0
	v_mov_b32_e32 v40, 0
	s_and_saveexec_b64 s[4:5], vcc
	s_cbranch_execz .LBB659_99
; %bb.94:                               ;   in Loop: Header=BB659_15 Depth=1
	v_cmp_ne_u16_e32 vcc, s13, v28
	v_bfrev_b32_e32 v40, 1
	s_and_saveexec_b64 s[6:7], vcc
	s_cbranch_execz .LBB659_98
; %bb.95:                               ;   in Loop: Header=BB659_15 Depth=1
	v_and_b32_e32 v23, 0x7f, v28
	v_cmp_ne_u32_e32 vcc, s14, v23
	v_mov_b32_e32 v40, 0x7f800001
	s_and_saveexec_b64 s[10:11], vcc
	s_cbranch_execz .LBB659_97
; %bb.96:                               ;   in Loop: Header=BB659_15 Depth=1
	v_and_b32_e32 v30, 7, v28
	v_ffbh_u32_e32 v42, v30
	v_min_u32_e32 v44, 32, v42
	v_subrev_u32_e32 v42, 28, v44
	v_lshlrev_b64 v[42:43], v42, v[28:29]
	v_lshrrev_b32_e32 v40, 3, v23
	v_sub_u32_e32 v28, 29, v44
	v_and_b32_e32 v42, 7, v42
	v_cmp_gt_u32_e32 vcc, 8, v23
	v_cndmask_b32_e32 v23, v40, v28, vcc
	v_cndmask_b32_e32 v28, v30, v42, vcc
	v_lshlrev_b32_e32 v30, 16, v26
	v_lshlrev_b32_e32 v28, 20, v28
	v_and_b32_e32 v30, 0x80000000, v30
	v_lshl_add_u32 v23, v23, 23, v33
	v_or3_b32 v40, v30, v23, v28
.LBB659_97:                             ;   in Loop: Header=BB659_15 Depth=1
	s_or_b64 exec, exec, s[10:11]
.LBB659_98:                             ;   in Loop: Header=BB659_15 Depth=1
	s_or_b64 exec, exec, s[6:7]
.LBB659_99:                             ;   in Loop: Header=BB659_15 Depth=1
	s_or_b64 exec, exec, s[4:5]
	v_lshrrev_b32_e32 v28, 16, v26
	v_cmp_ne_u16_sdwa s[6:7], v28, v29 src0_sel:BYTE_0 src1_sel:DWORD
	s_and_saveexec_b64 s[4:5], s[6:7]
	s_cbranch_execz .LBB659_105
; %bb.100:                              ;   in Loop: Header=BB659_15 Depth=1
	v_cmp_ne_u16_sdwa s[10:11], v28, s13 src0_sel:BYTE_0 src1_sel:DWORD
	v_bfrev_b32_e32 v38, 1
	s_and_saveexec_b64 s[6:7], s[10:11]
	s_cbranch_execz .LBB659_104
; %bb.101:                              ;   in Loop: Header=BB659_15 Depth=1
	v_bfe_u32 v23, v26, 16, 7
	v_cmp_ne_u32_e32 vcc, s14, v23
	v_mov_b32_e32 v38, 0x7f800001
	s_and_saveexec_b64 s[10:11], vcc
	s_cbranch_execz .LBB659_103
; %bb.102:                              ;   in Loop: Header=BB659_15 Depth=1
	v_and_b32_e32 v30, 7, v28
	v_ffbh_u32_e32 v42, v30
	v_min_u32_e32 v44, 32, v42
	v_subrev_u32_e32 v42, 28, v44
	v_lshlrev_b64 v[42:43], v42, v[28:29]
	v_lshrrev_b32_e32 v38, 3, v23
	v_sub_u32_e32 v43, 29, v44
	v_and_b32_e32 v42, 7, v42
	v_cmp_gt_u32_e32 vcc, 8, v23
	v_cndmask_b32_e32 v23, v38, v43, vcc
	v_cndmask_b32_e32 v30, v30, v42, vcc
	v_lshlrev_b32_e32 v28, 24, v28
	v_lshlrev_b32_e32 v30, 20, v30
	v_and_b32_e32 v28, 0x80000000, v28
	v_lshl_add_u32 v23, v23, 23, v33
	v_or3_b32 v38, v28, v23, v30
.LBB659_103:                            ;   in Loop: Header=BB659_15 Depth=1
	s_or_b64 exec, exec, s[10:11]
.LBB659_104:                            ;   in Loop: Header=BB659_15 Depth=1
	s_or_b64 exec, exec, s[6:7]
.LBB659_105:                            ;   in Loop: Header=BB659_15 Depth=1
	s_or_b64 exec, exec, s[4:5]
	v_cmp_lt_u32_e32 vcc, s15, v26
	v_mov_b32_e32 v23, 0
	v_mov_b32_e32 v42, 0
	s_and_saveexec_b64 s[4:5], vcc
	s_cbranch_execz .LBB659_111
; %bb.106:                              ;   in Loop: Header=BB659_15 Depth=1
	v_lshrrev_b32_e32 v28, 24, v26
	v_cmp_ne_u32_e32 vcc, s13, v28
	v_bfrev_b32_e32 v42, 1
	s_and_saveexec_b64 s[6:7], vcc
	s_cbranch_execz .LBB659_110
; %bb.107:                              ;   in Loop: Header=BB659_15 Depth=1
	v_bfe_u32 v26, v26, 24, 7
	v_cmp_ne_u32_e32 vcc, s14, v26
	v_mov_b32_e32 v42, 0x7f800001
	s_and_saveexec_b64 s[10:11], vcc
	s_cbranch_execz .LBB659_109
; %bb.108:                              ;   in Loop: Header=BB659_15 Depth=1
	v_and_b32_e32 v30, 7, v28
	v_ffbh_u32_e32 v42, v30
	v_min_u32_e32 v45, 32, v42
	v_subrev_u32_e32 v42, 28, v45
	v_lshlrev_b64 v[42:43], v42, v[28:29]
	v_lshrrev_b32_e32 v44, 3, v26
	v_sub_u32_e32 v43, 29, v45
	v_and_b32_e32 v42, 7, v42
	v_cmp_gt_u32_e32 vcc, 8, v26
	v_cndmask_b32_e32 v26, v44, v43, vcc
	v_cndmask_b32_e32 v30, v30, v42, vcc
	v_lshlrev_b32_e32 v28, 24, v28
	v_lshlrev_b32_e32 v30, 20, v30
	v_and_b32_e32 v28, 0x80000000, v28
	v_lshl_add_u32 v26, v26, 23, v33
	v_or3_b32 v42, v28, v26, v30
.LBB659_109:                            ;   in Loop: Header=BB659_15 Depth=1
	s_or_b64 exec, exec, s[10:11]
.LBB659_110:                            ;   in Loop: Header=BB659_15 Depth=1
	s_or_b64 exec, exec, s[6:7]
.LBB659_111:                            ;   in Loop: Header=BB659_15 Depth=1
	s_or_b64 exec, exec, s[4:5]
	v_cvt_pkrtz_f16_f32 v44, v32, v35
	buffer_load_dword v32, v27, s[0:3], 0 offen offset:16
	buffer_load_dword v30, v27, s[0:3], 0 offen offset:20
	;; [unrolled: 1-line block ×4, first 2 shown]
	v_cvt_pkrtz_f16_f32 v45, v34, v37
	v_cvt_pkrtz_f16_f32 v34, v36, v40
	;; [unrolled: 1-line block ×3, first 2 shown]
	v_mfma_f32_16x16x16f16 v[18:21], v[44:45], v[6:7], v[18:21]
	s_waitcnt vmcnt(3)
	v_cmp_ne_u16_sdwa s[6:7], v32, v29 src0_sel:BYTE_0 src1_sel:DWORD
	v_mfma_f32_16x16x16f16 v[18:21], v[34:35], v[8:9], v[18:21]
	s_and_saveexec_b64 s[4:5], s[6:7]
	s_cbranch_execz .LBB659_117
; %bb.112:                              ;   in Loop: Header=BB659_15 Depth=1
	v_cmp_ne_u16_sdwa s[10:11], v32, s13 src0_sel:BYTE_0 src1_sel:DWORD
	v_bfrev_b32_e32 v23, 1
	s_and_saveexec_b64 s[6:7], s[10:11]
	s_cbranch_execz .LBB659_116
; %bb.113:                              ;   in Loop: Header=BB659_15 Depth=1
	v_and_b32_e32 v34, 0x7f, v32
	v_cmp_ne_u32_e32 vcc, s14, v34
	v_mov_b32_e32 v23, 0x7f800001
	s_and_saveexec_b64 s[10:11], vcc
	s_cbranch_execz .LBB659_115
; %bb.114:                              ;   in Loop: Header=BB659_15 Depth=1
	v_and_b32_e32 v23, 7, v32
	v_ffbh_u32_e32 v36, v23
	v_min_u32_e32 v38, 32, v36
	v_subrev_u32_e32 v36, 28, v38
	v_lshlrev_b64 v[36:37], v36, v[32:33]
	v_lshrrev_b32_e32 v35, 3, v34
	v_sub_u32_e32 v37, 29, v38
	v_and_b32_e32 v36, 7, v36
	v_cmp_gt_u32_e32 vcc, 8, v34
	v_cndmask_b32_e32 v34, v35, v37, vcc
	v_cndmask_b32_e32 v23, v23, v36, vcc
	v_lshlrev_b32_e32 v35, 24, v32
	v_lshlrev_b32_e32 v23, 20, v23
	v_and_b32_e32 v35, 0x80000000, v35
	v_lshl_add_u32 v34, v34, 23, v33
	v_or3_b32 v23, v35, v34, v23
.LBB659_115:                            ;   in Loop: Header=BB659_15 Depth=1
	s_or_b64 exec, exec, s[10:11]
.LBB659_116:                            ;   in Loop: Header=BB659_15 Depth=1
	s_or_b64 exec, exec, s[6:7]
.LBB659_117:                            ;   in Loop: Header=BB659_15 Depth=1
	s_or_b64 exec, exec, s[4:5]
	v_lshrrev_b16_e32 v34, 8, v32
	v_cmp_ne_u16_e32 vcc, 0, v34
	v_mov_b32_e32 v35, 0
	v_mov_b32_e32 v36, 0
	s_and_saveexec_b64 s[4:5], vcc
	s_cbranch_execz .LBB659_123
; %bb.118:                              ;   in Loop: Header=BB659_15 Depth=1
	v_cmp_ne_u16_e32 vcc, s13, v34
	v_bfrev_b32_e32 v36, 1
	s_and_saveexec_b64 s[6:7], vcc
	s_cbranch_execz .LBB659_122
; %bb.119:                              ;   in Loop: Header=BB659_15 Depth=1
	v_and_b32_e32 v37, 0x7f, v34
	v_cmp_ne_u32_e32 vcc, s14, v37
	v_mov_b32_e32 v36, 0x7f800001
	s_and_saveexec_b64 s[10:11], vcc
	s_cbranch_execz .LBB659_121
; %bb.120:                              ;   in Loop: Header=BB659_15 Depth=1
	v_and_b32_e32 v36, 7, v34
	v_ffbh_u32_e32 v40, v36
	v_min_u32_e32 v40, 32, v40
	v_subrev_u32_e32 v42, 28, v40
	v_lshlrev_b64 v[42:43], v42, v[34:35]
	v_lshrrev_b32_e32 v38, 3, v37
	v_sub_u32_e32 v34, 29, v40
	v_and_b32_e32 v40, 7, v42
	v_cmp_gt_u32_e32 vcc, 8, v37
	v_cndmask_b32_e32 v34, v38, v34, vcc
	v_cndmask_b32_e32 v36, v36, v40, vcc
	v_lshlrev_b32_e32 v37, 16, v32
	v_lshlrev_b32_e32 v36, 20, v36
	v_and_b32_e32 v37, 0x80000000, v37
	v_lshl_add_u32 v34, v34, 23, v33
	v_or3_b32 v36, v37, v34, v36
.LBB659_121:                            ;   in Loop: Header=BB659_15 Depth=1
	s_or_b64 exec, exec, s[10:11]
.LBB659_122:                            ;   in Loop: Header=BB659_15 Depth=1
	s_or_b64 exec, exec, s[6:7]
.LBB659_123:                            ;   in Loop: Header=BB659_15 Depth=1
	s_or_b64 exec, exec, s[4:5]
	v_lshrrev_b32_e32 v34, 16, v32
	v_cmp_ne_u16_sdwa s[6:7], v34, v29 src0_sel:BYTE_0 src1_sel:DWORD
	s_and_saveexec_b64 s[4:5], s[6:7]
	s_cbranch_execz .LBB659_129
; %bb.124:                              ;   in Loop: Header=BB659_15 Depth=1
	v_cmp_ne_u16_sdwa s[10:11], v34, s13 src0_sel:BYTE_0 src1_sel:DWORD
	v_bfrev_b32_e32 v35, 1
	s_and_saveexec_b64 s[6:7], s[10:11]
	s_cbranch_execz .LBB659_128
; %bb.125:                              ;   in Loop: Header=BB659_15 Depth=1
	v_bfe_u32 v37, v32, 16, 7
	v_cmp_ne_u32_e32 vcc, s14, v37
	v_mov_b32_e32 v35, 0x7f800001
	s_and_saveexec_b64 s[10:11], vcc
	s_cbranch_execz .LBB659_127
; %bb.126:                              ;   in Loop: Header=BB659_15 Depth=1
	v_and_b32_e32 v35, 7, v34
	v_ffbh_u32_e32 v40, v35
	v_min_u32_e32 v40, 32, v40
	v_subrev_u32_e32 v42, 28, v40
	v_lshlrev_b64 v[42:43], v42, v[34:35]
	v_lshrrev_b32_e32 v38, 3, v37
	v_sub_u32_e32 v40, 29, v40
	v_and_b32_e32 v42, 7, v42
	v_cmp_gt_u32_e32 vcc, 8, v37
	v_cndmask_b32_e32 v37, v38, v40, vcc
	v_cndmask_b32_e32 v35, v35, v42, vcc
	v_lshlrev_b32_e32 v34, 24, v34
	v_lshlrev_b32_e32 v35, 20, v35
	v_and_b32_e32 v34, 0x80000000, v34
	v_lshl_add_u32 v37, v37, 23, v33
	v_or3_b32 v35, v34, v37, v35
.LBB659_127:                            ;   in Loop: Header=BB659_15 Depth=1
	s_or_b64 exec, exec, s[10:11]
.LBB659_128:                            ;   in Loop: Header=BB659_15 Depth=1
	s_or_b64 exec, exec, s[6:7]
.LBB659_129:                            ;   in Loop: Header=BB659_15 Depth=1
	s_or_b64 exec, exec, s[4:5]
	v_cmp_lt_u32_e32 vcc, s15, v32
	v_mov_b32_e32 v37, 0
	v_mov_b32_e32 v38, 0
	s_and_saveexec_b64 s[4:5], vcc
	s_cbranch_execz .LBB659_135
; %bb.130:                              ;   in Loop: Header=BB659_15 Depth=1
	v_lshrrev_b32_e32 v34, 24, v32
	v_cmp_ne_u32_e32 vcc, s13, v34
	v_bfrev_b32_e32 v38, 1
	s_and_saveexec_b64 s[6:7], vcc
	s_cbranch_execz .LBB659_134
; %bb.131:                              ;   in Loop: Header=BB659_15 Depth=1
	v_bfe_u32 v32, v32, 24, 7
	v_cmp_ne_u32_e32 vcc, s14, v32
	v_mov_b32_e32 v38, 0x7f800001
	s_and_saveexec_b64 s[10:11], vcc
	s_cbranch_execz .LBB659_133
; %bb.132:                              ;   in Loop: Header=BB659_15 Depth=1
	v_and_b32_e32 v38, 7, v34
	v_ffbh_u32_e32 v42, v38
	v_min_u32_e32 v44, 32, v42
	v_subrev_u32_e32 v42, 28, v44
	v_lshlrev_b64 v[42:43], v42, v[34:35]
	v_lshrrev_b32_e32 v40, 3, v32
	v_sub_u32_e32 v43, 29, v44
	v_and_b32_e32 v42, 7, v42
	v_cmp_gt_u32_e32 vcc, 8, v32
	v_cndmask_b32_e32 v32, v40, v43, vcc
	v_cndmask_b32_e32 v38, v38, v42, vcc
	v_lshlrev_b32_e32 v34, 24, v34
	v_lshlrev_b32_e32 v38, 20, v38
	v_and_b32_e32 v34, 0x80000000, v34
	v_lshl_add_u32 v32, v32, 23, v33
	v_or3_b32 v38, v34, v32, v38
.LBB659_133:                            ;   in Loop: Header=BB659_15 Depth=1
	s_or_b64 exec, exec, s[10:11]
.LBB659_134:                            ;   in Loop: Header=BB659_15 Depth=1
	s_or_b64 exec, exec, s[6:7]
.LBB659_135:                            ;   in Loop: Header=BB659_15 Depth=1
	s_or_b64 exec, exec, s[4:5]
	s_waitcnt vmcnt(2)
	v_cmp_ne_u16_sdwa s[6:7], v30, v29 src0_sel:BYTE_0 src1_sel:DWORD
	s_and_saveexec_b64 s[4:5], s[6:7]
	s_cbranch_execz .LBB659_141
; %bb.136:                              ;   in Loop: Header=BB659_15 Depth=1
	v_cmp_ne_u16_sdwa s[10:11], v30, s13 src0_sel:BYTE_0 src1_sel:DWORD
	v_bfrev_b32_e32 v37, 1
	s_and_saveexec_b64 s[6:7], s[10:11]
	s_cbranch_execz .LBB659_140
; %bb.137:                              ;   in Loop: Header=BB659_15 Depth=1
	v_and_b32_e32 v32, 0x7f, v30
	v_cmp_ne_u32_e32 vcc, s14, v32
	v_mov_b32_e32 v37, 0x7f800001
	s_and_saveexec_b64 s[10:11], vcc
	s_cbranch_execz .LBB659_139
; %bb.138:                              ;   in Loop: Header=BB659_15 Depth=1
	v_and_b32_e32 v34, 7, v30
	v_ffbh_u32_e32 v40, v34
	v_min_u32_e32 v40, 32, v40
	v_subrev_u32_e32 v42, 28, v40
	v_lshlrev_b64 v[42:43], v42, v[30:31]
	v_lshrrev_b32_e32 v37, 3, v32
	v_sub_u32_e32 v40, 29, v40
	v_and_b32_e32 v42, 7, v42
	v_cmp_gt_u32_e32 vcc, 8, v32
	v_cndmask_b32_e32 v32, v37, v40, vcc
	v_cndmask_b32_e32 v34, v34, v42, vcc
	v_lshlrev_b32_e32 v37, 24, v30
	v_lshlrev_b32_e32 v34, 20, v34
	v_and_b32_e32 v37, 0x80000000, v37
	v_lshl_add_u32 v32, v32, 23, v33
	v_or3_b32 v37, v37, v32, v34
.LBB659_139:                            ;   in Loop: Header=BB659_15 Depth=1
	s_or_b64 exec, exec, s[10:11]
.LBB659_140:                            ;   in Loop: Header=BB659_15 Depth=1
	s_or_b64 exec, exec, s[6:7]
.LBB659_141:                            ;   in Loop: Header=BB659_15 Depth=1
	s_or_b64 exec, exec, s[4:5]
	v_lshrrev_b16_e32 v32, 8, v30
	v_cmp_ne_u16_e32 vcc, 0, v32
	v_mov_b32_e32 v40, 0
	v_mov_b32_e32 v42, 0
	s_and_saveexec_b64 s[4:5], vcc
	s_cbranch_execz .LBB659_147
; %bb.142:                              ;   in Loop: Header=BB659_15 Depth=1
	v_cmp_ne_u16_e32 vcc, s13, v32
	v_bfrev_b32_e32 v42, 1
	s_and_saveexec_b64 s[6:7], vcc
	s_cbranch_execz .LBB659_146
; %bb.143:                              ;   in Loop: Header=BB659_15 Depth=1
	v_and_b32_e32 v34, 0x7f, v32
	v_cmp_ne_u32_e32 vcc, s14, v34
	v_mov_b32_e32 v42, 0x7f800001
	s_and_saveexec_b64 s[10:11], vcc
	s_cbranch_execz .LBB659_145
; %bb.144:                              ;   in Loop: Header=BB659_15 Depth=1
	v_and_b32_e32 v44, 7, v32
	v_ffbh_u32_e32 v42, v44
	v_min_u32_e32 v46, 32, v42
	v_subrev_u32_e32 v42, 28, v46
	v_lshlrev_b64 v[42:43], v42, v[32:33]
	v_lshrrev_b32_e32 v45, 3, v34
	v_sub_u32_e32 v32, 29, v46
	v_and_b32_e32 v42, 7, v42
	v_cmp_gt_u32_e32 vcc, 8, v34
	v_cndmask_b32_e32 v32, v45, v32, vcc
	v_cndmask_b32_e32 v34, v44, v42, vcc
	v_lshlrev_b32_e32 v42, 16, v30
	v_lshlrev_b32_e32 v34, 20, v34
	v_and_b32_e32 v42, 0x80000000, v42
	v_lshl_add_u32 v32, v32, 23, v33
	v_or3_b32 v42, v42, v32, v34
.LBB659_145:                            ;   in Loop: Header=BB659_15 Depth=1
	s_or_b64 exec, exec, s[10:11]
.LBB659_146:                            ;   in Loop: Header=BB659_15 Depth=1
	s_or_b64 exec, exec, s[6:7]
.LBB659_147:                            ;   in Loop: Header=BB659_15 Depth=1
	s_or_b64 exec, exec, s[4:5]
	v_lshrrev_b32_e32 v32, 16, v30
	v_cmp_ne_u16_sdwa s[6:7], v32, v29 src0_sel:BYTE_0 src1_sel:DWORD
	s_and_saveexec_b64 s[4:5], s[6:7]
	s_cbranch_execz .LBB659_153
; %bb.148:                              ;   in Loop: Header=BB659_15 Depth=1
	v_cmp_ne_u16_sdwa s[10:11], v32, s13 src0_sel:BYTE_0 src1_sel:DWORD
	v_bfrev_b32_e32 v40, 1
	s_and_saveexec_b64 s[6:7], s[10:11]
	s_cbranch_execz .LBB659_152
; %bb.149:                              ;   in Loop: Header=BB659_15 Depth=1
	v_bfe_u32 v34, v30, 16, 7
	v_cmp_ne_u32_e32 vcc, s14, v34
	v_mov_b32_e32 v40, 0x7f800001
	s_and_saveexec_b64 s[10:11], vcc
	s_cbranch_execz .LBB659_151
; %bb.150:                              ;   in Loop: Header=BB659_15 Depth=1
	v_and_b32_e32 v40, 7, v32
	v_ffbh_u32_e32 v44, v40
	v_min_u32_e32 v46, 32, v44
	v_subrev_u32_e32 v44, 28, v46
	v_lshlrev_b64 v[44:45], v44, v[32:33]
	v_lshrrev_b32_e32 v43, 3, v34
	v_sub_u32_e32 v45, 29, v46
	v_and_b32_e32 v44, 7, v44
	v_cmp_gt_u32_e32 vcc, 8, v34
	v_cndmask_b32_e32 v34, v43, v45, vcc
	v_cndmask_b32_e32 v40, v40, v44, vcc
	v_lshlrev_b32_e32 v32, 24, v32
	v_lshlrev_b32_e32 v40, 20, v40
	v_and_b32_e32 v32, 0x80000000, v32
	v_lshl_add_u32 v34, v34, 23, v33
	v_or3_b32 v40, v32, v34, v40
.LBB659_151:                            ;   in Loop: Header=BB659_15 Depth=1
	s_or_b64 exec, exec, s[10:11]
.LBB659_152:                            ;   in Loop: Header=BB659_15 Depth=1
	s_or_b64 exec, exec, s[6:7]
.LBB659_153:                            ;   in Loop: Header=BB659_15 Depth=1
	s_or_b64 exec, exec, s[4:5]
	v_cmp_lt_u32_e32 vcc, s15, v30
	v_mov_b32_e32 v34, 0
	v_mov_b32_e32 v43, 0
	s_and_saveexec_b64 s[4:5], vcc
	s_cbranch_execz .LBB659_159
; %bb.154:                              ;   in Loop: Header=BB659_15 Depth=1
	v_lshrrev_b32_e32 v32, 24, v30
	v_cmp_ne_u32_e32 vcc, s13, v32
	v_bfrev_b32_e32 v43, 1
	s_and_saveexec_b64 s[6:7], vcc
	s_cbranch_execz .LBB659_158
; %bb.155:                              ;   in Loop: Header=BB659_15 Depth=1
	v_bfe_u32 v30, v30, 24, 7
	v_cmp_ne_u32_e32 vcc, s14, v30
	v_mov_b32_e32 v43, 0x7f800001
	s_and_saveexec_b64 s[10:11], vcc
	s_cbranch_execz .LBB659_157
; %bb.156:                              ;   in Loop: Header=BB659_15 Depth=1
	v_and_b32_e32 v43, 7, v32
	v_ffbh_u32_e32 v44, v43
	v_min_u32_e32 v47, 32, v44
	v_subrev_u32_e32 v44, 28, v47
	v_lshlrev_b64 v[44:45], v44, v[32:33]
	v_lshrrev_b32_e32 v46, 3, v30
	v_sub_u32_e32 v45, 29, v47
	v_and_b32_e32 v44, 7, v44
	v_cmp_gt_u32_e32 vcc, 8, v30
	v_cndmask_b32_e32 v30, v46, v45, vcc
	v_cndmask_b32_e32 v43, v43, v44, vcc
	v_lshlrev_b32_e32 v32, 24, v32
	v_lshlrev_b32_e32 v43, 20, v43
	v_and_b32_e32 v32, 0x80000000, v32
	v_lshl_add_u32 v30, v30, 23, v33
	v_or3_b32 v43, v32, v30, v43
.LBB659_157:                            ;   in Loop: Header=BB659_15 Depth=1
	s_or_b64 exec, exec, s[10:11]
.LBB659_158:                            ;   in Loop: Header=BB659_15 Depth=1
	s_or_b64 exec, exec, s[6:7]
.LBB659_159:                            ;   in Loop: Header=BB659_15 Depth=1
	s_or_b64 exec, exec, s[4:5]
	v_cvt_pkrtz_f16_f32 v44, v23, v36
	v_cvt_pkrtz_f16_f32 v45, v35, v38
	;; [unrolled: 1-line block ×4, first 2 shown]
	s_waitcnt vmcnt(1)
	v_cmp_ne_u16_sdwa s[6:7], v28, v29 src0_sel:BYTE_0 src1_sel:DWORD
	v_mfma_f32_16x16x16f16 v[18:21], v[44:45], v[10:11], v[18:21]
	v_mfma_f32_16x16x16f16 v[18:21], v[36:37], v[12:13], v[18:21]
	s_and_saveexec_b64 s[4:5], s[6:7]
	s_cbranch_execz .LBB659_165
; %bb.160:                              ;   in Loop: Header=BB659_15 Depth=1
	v_cmp_ne_u16_sdwa s[10:11], v28, s13 src0_sel:BYTE_0 src1_sel:DWORD
	v_bfrev_b32_e32 v34, 1
	s_and_saveexec_b64 s[6:7], s[10:11]
	s_cbranch_execz .LBB659_164
; %bb.161:                              ;   in Loop: Header=BB659_15 Depth=1
	v_and_b32_e32 v23, 0x7f, v28
	v_cmp_ne_u32_e32 vcc, s14, v23
	v_mov_b32_e32 v34, 0x7f800001
	s_and_saveexec_b64 s[10:11], vcc
	s_cbranch_execz .LBB659_163
; %bb.162:                              ;   in Loop: Header=BB659_15 Depth=1
	v_and_b32_e32 v30, 7, v28
	v_ffbh_u32_e32 v34, v30
	v_min_u32_e32 v36, 32, v34
	v_subrev_u32_e32 v34, 28, v36
	v_lshlrev_b64 v[34:35], v34, v[28:29]
	v_lshrrev_b32_e32 v32, 3, v23
	v_sub_u32_e32 v35, 29, v36
	v_and_b32_e32 v34, 7, v34
	v_cmp_gt_u32_e32 vcc, 8, v23
	v_cndmask_b32_e32 v23, v32, v35, vcc
	v_cndmask_b32_e32 v30, v30, v34, vcc
	v_lshlrev_b32_e32 v32, 24, v28
	v_lshlrev_b32_e32 v30, 20, v30
	v_and_b32_e32 v32, 0x80000000, v32
	v_lshl_add_u32 v23, v23, 23, v33
	v_or3_b32 v34, v32, v23, v30
.LBB659_163:                            ;   in Loop: Header=BB659_15 Depth=1
	s_or_b64 exec, exec, s[10:11]
.LBB659_164:                            ;   in Loop: Header=BB659_15 Depth=1
	s_or_b64 exec, exec, s[6:7]
.LBB659_165:                            ;   in Loop: Header=BB659_15 Depth=1
	s_or_b64 exec, exec, s[4:5]
	v_lshrrev_b16_e32 v30, 8, v28
	v_cmp_ne_u16_e32 vcc, 0, v30
	v_mov_b32_e32 v23, 0
	v_mov_b32_e32 v32, 0
	s_and_saveexec_b64 s[4:5], vcc
	s_cbranch_execz .LBB659_171
; %bb.166:                              ;   in Loop: Header=BB659_15 Depth=1
	v_cmp_ne_u16_e32 vcc, s13, v30
	v_bfrev_b32_e32 v32, 1
	s_and_saveexec_b64 s[6:7], vcc
	s_cbranch_execz .LBB659_170
; %bb.167:                              ;   in Loop: Header=BB659_15 Depth=1
	v_and_b32_e32 v35, 0x7f, v30
	v_cmp_ne_u32_e32 vcc, s14, v35
	v_mov_b32_e32 v32, 0x7f800001
	s_and_saveexec_b64 s[10:11], vcc
	s_cbranch_execz .LBB659_169
; %bb.168:                              ;   in Loop: Header=BB659_15 Depth=1
	v_and_b32_e32 v32, 7, v30
	v_ffbh_u32_e32 v36, v32
	v_min_u32_e32 v40, 32, v36
	v_subrev_u32_e32 v36, 28, v40
	v_lshlrev_b64 v[36:37], v36, v[30:31]
	v_lshrrev_b32_e32 v38, 3, v35
	v_sub_u32_e32 v30, 29, v40
	v_and_b32_e32 v36, 7, v36
	v_cmp_gt_u32_e32 vcc, 8, v35
	v_cndmask_b32_e32 v30, v38, v30, vcc
	v_cndmask_b32_e32 v32, v32, v36, vcc
	v_lshlrev_b32_e32 v35, 16, v28
	v_lshlrev_b32_e32 v32, 20, v32
	v_and_b32_e32 v35, 0x80000000, v35
	v_lshl_add_u32 v30, v30, 23, v33
	v_or3_b32 v32, v35, v30, v32
.LBB659_169:                            ;   in Loop: Header=BB659_15 Depth=1
	s_or_b64 exec, exec, s[10:11]
.LBB659_170:                            ;   in Loop: Header=BB659_15 Depth=1
	s_or_b64 exec, exec, s[6:7]
.LBB659_171:                            ;   in Loop: Header=BB659_15 Depth=1
	s_or_b64 exec, exec, s[4:5]
	v_lshrrev_b32_e32 v30, 16, v28
	v_cmp_ne_u16_sdwa s[6:7], v30, v29 src0_sel:BYTE_0 src1_sel:DWORD
	s_and_saveexec_b64 s[4:5], s[6:7]
	s_cbranch_execz .LBB659_177
; %bb.172:                              ;   in Loop: Header=BB659_15 Depth=1
	v_cmp_ne_u16_sdwa s[10:11], v30, s13 src0_sel:BYTE_0 src1_sel:DWORD
	v_bfrev_b32_e32 v23, 1
	s_and_saveexec_b64 s[6:7], s[10:11]
	s_cbranch_execz .LBB659_176
; %bb.173:                              ;   in Loop: Header=BB659_15 Depth=1
	v_bfe_u32 v35, v28, 16, 7
	v_cmp_ne_u32_e32 vcc, s14, v35
	v_mov_b32_e32 v23, 0x7f800001
	s_and_saveexec_b64 s[10:11], vcc
	s_cbranch_execz .LBB659_175
; %bb.174:                              ;   in Loop: Header=BB659_15 Depth=1
	v_and_b32_e32 v23, 7, v30
	v_ffbh_u32_e32 v36, v23
	v_min_u32_e32 v40, 32, v36
	v_subrev_u32_e32 v36, 28, v40
	v_lshlrev_b64 v[36:37], v36, v[30:31]
	v_lshrrev_b32_e32 v38, 3, v35
	v_sub_u32_e32 v37, 29, v40
	v_and_b32_e32 v36, 7, v36
	v_cmp_gt_u32_e32 vcc, 8, v35
	v_cndmask_b32_e32 v35, v38, v37, vcc
	v_cndmask_b32_e32 v23, v23, v36, vcc
	v_lshlrev_b32_e32 v30, 24, v30
	v_lshlrev_b32_e32 v23, 20, v23
	v_and_b32_e32 v30, 0x80000000, v30
	v_lshl_add_u32 v35, v35, 23, v33
	v_or3_b32 v23, v30, v35, v23
.LBB659_175:                            ;   in Loop: Header=BB659_15 Depth=1
	s_or_b64 exec, exec, s[10:11]
.LBB659_176:                            ;   in Loop: Header=BB659_15 Depth=1
	s_or_b64 exec, exec, s[6:7]
.LBB659_177:                            ;   in Loop: Header=BB659_15 Depth=1
	s_or_b64 exec, exec, s[4:5]
	v_cmp_lt_u32_e32 vcc, s15, v28
	v_mov_b32_e32 v35, 0
	v_mov_b32_e32 v36, 0
	s_and_saveexec_b64 s[4:5], vcc
	s_cbranch_execz .LBB659_183
; %bb.178:                              ;   in Loop: Header=BB659_15 Depth=1
	v_lshrrev_b32_e32 v30, 24, v28
	v_cmp_ne_u32_e32 vcc, s13, v30
	v_bfrev_b32_e32 v36, 1
	s_and_saveexec_b64 s[6:7], vcc
	s_cbranch_execz .LBB659_182
; %bb.179:                              ;   in Loop: Header=BB659_15 Depth=1
	v_bfe_u32 v28, v28, 24, 7
	v_cmp_ne_u32_e32 vcc, s14, v28
	v_mov_b32_e32 v36, 0x7f800001
	s_and_saveexec_b64 s[10:11], vcc
	s_cbranch_execz .LBB659_181
; %bb.180:                              ;   in Loop: Header=BB659_15 Depth=1
	v_and_b32_e32 v38, 7, v30
	v_ffbh_u32_e32 v36, v38
	v_min_u32_e32 v42, 32, v36
	v_subrev_u32_e32 v36, 28, v42
	v_lshlrev_b64 v[36:37], v36, v[30:31]
	v_lshrrev_b32_e32 v40, 3, v28
	v_sub_u32_e32 v37, 29, v42
	v_and_b32_e32 v36, 7, v36
	v_cmp_gt_u32_e32 vcc, 8, v28
	v_cndmask_b32_e32 v28, v40, v37, vcc
	v_cndmask_b32_e32 v36, v38, v36, vcc
	v_lshlrev_b32_e32 v30, 24, v30
	v_lshlrev_b32_e32 v36, 20, v36
	v_and_b32_e32 v30, 0x80000000, v30
	v_lshl_add_u32 v28, v28, 23, v33
	v_or3_b32 v36, v30, v28, v36
.LBB659_181:                            ;   in Loop: Header=BB659_15 Depth=1
	s_or_b64 exec, exec, s[10:11]
.LBB659_182:                            ;   in Loop: Header=BB659_15 Depth=1
	s_or_b64 exec, exec, s[6:7]
.LBB659_183:                            ;   in Loop: Header=BB659_15 Depth=1
	s_or_b64 exec, exec, s[4:5]
	s_waitcnt vmcnt(0)
	v_cmp_ne_u16_sdwa s[6:7], v26, v29 src0_sel:BYTE_0 src1_sel:DWORD
	s_and_saveexec_b64 s[4:5], s[6:7]
	s_cbranch_execz .LBB659_189
; %bb.184:                              ;   in Loop: Header=BB659_15 Depth=1
	v_cmp_ne_u16_sdwa s[10:11], v26, s13 src0_sel:BYTE_0 src1_sel:DWORD
	v_bfrev_b32_e32 v35, 1
	s_and_saveexec_b64 s[6:7], s[10:11]
	s_cbranch_execz .LBB659_188
; %bb.185:                              ;   in Loop: Header=BB659_15 Depth=1
	v_and_b32_e32 v28, 0x7f, v26
	v_cmp_ne_u32_e32 vcc, s14, v28
	v_mov_b32_e32 v35, 0x7f800001
	s_and_saveexec_b64 s[10:11], vcc
	s_cbranch_execz .LBB659_187
; %bb.186:                              ;   in Loop: Header=BB659_15 Depth=1
	v_and_b32_e32 v30, 7, v26
	v_ffbh_u32_e32 v37, v30
	v_min_u32_e32 v37, 32, v37
	v_subrev_u32_e32 v38, 28, v37
	v_lshlrev_b64 v[42:43], v38, v[26:27]
	v_lshrrev_b32_e32 v35, 3, v28
	v_sub_u32_e32 v37, 29, v37
	v_and_b32_e32 v38, 7, v42
	v_cmp_gt_u32_e32 vcc, 8, v28
	v_cndmask_b32_e32 v28, v35, v37, vcc
	v_cndmask_b32_e32 v30, v30, v38, vcc
	v_lshlrev_b32_e32 v35, 24, v26
	v_lshlrev_b32_e32 v30, 20, v30
	v_and_b32_e32 v35, 0x80000000, v35
	v_lshl_add_u32 v28, v28, 23, v33
	v_or3_b32 v35, v35, v28, v30
.LBB659_187:                            ;   in Loop: Header=BB659_15 Depth=1
	s_or_b64 exec, exec, s[10:11]
.LBB659_188:                            ;   in Loop: Header=BB659_15 Depth=1
	s_or_b64 exec, exec, s[6:7]
.LBB659_189:                            ;   in Loop: Header=BB659_15 Depth=1
	s_or_b64 exec, exec, s[4:5]
	v_lshrrev_b16_e32 v28, 8, v26
	v_cmp_ne_u16_e32 vcc, 0, v28
	v_mov_b32_e32 v30, 0
	v_mov_b32_e32 v37, 0
	s_and_saveexec_b64 s[4:5], vcc
	s_cbranch_execz .LBB659_195
; %bb.190:                              ;   in Loop: Header=BB659_15 Depth=1
	v_cmp_ne_u16_e32 vcc, s13, v28
	v_bfrev_b32_e32 v37, 1
	s_and_saveexec_b64 s[6:7], vcc
	s_cbranch_execz .LBB659_194
; %bb.191:                              ;   in Loop: Header=BB659_15 Depth=1
	v_and_b32_e32 v38, 0x7f, v28
	v_cmp_ne_u32_e32 vcc, s14, v38
	v_mov_b32_e32 v37, 0x7f800001
	s_and_saveexec_b64 s[10:11], vcc
	s_cbranch_execz .LBB659_193
; %bb.192:                              ;   in Loop: Header=BB659_15 Depth=1
	v_and_b32_e32 v37, 7, v28
	v_ffbh_u32_e32 v42, v37
	v_min_u32_e32 v44, 32, v42
	v_subrev_u32_e32 v42, 28, v44
	v_lshlrev_b64 v[42:43], v42, v[28:29]
	v_lshrrev_b32_e32 v40, 3, v38
	v_sub_u32_e32 v28, 29, v44
	v_and_b32_e32 v42, 7, v42
	v_cmp_gt_u32_e32 vcc, 8, v38
	v_cndmask_b32_e32 v28, v40, v28, vcc
	v_cndmask_b32_e32 v37, v37, v42, vcc
	v_lshlrev_b32_e32 v38, 16, v26
	v_lshlrev_b32_e32 v37, 20, v37
	v_and_b32_e32 v38, 0x80000000, v38
	v_lshl_add_u32 v28, v28, 23, v33
	v_or3_b32 v37, v38, v28, v37
.LBB659_193:                            ;   in Loop: Header=BB659_15 Depth=1
	s_or_b64 exec, exec, s[10:11]
.LBB659_194:                            ;   in Loop: Header=BB659_15 Depth=1
	s_or_b64 exec, exec, s[6:7]
.LBB659_195:                            ;   in Loop: Header=BB659_15 Depth=1
	s_or_b64 exec, exec, s[4:5]
	v_lshrrev_b32_e32 v28, 16, v26
	v_cmp_ne_u16_sdwa s[6:7], v28, v29 src0_sel:BYTE_0 src1_sel:DWORD
	s_and_saveexec_b64 s[4:5], s[6:7]
	s_cbranch_execz .LBB659_201
; %bb.196:                              ;   in Loop: Header=BB659_15 Depth=1
	v_cmp_ne_u16_sdwa s[10:11], v28, s13 src0_sel:BYTE_0 src1_sel:DWORD
	v_bfrev_b32_e32 v30, 1
	s_and_saveexec_b64 s[6:7], s[10:11]
	s_cbranch_execz .LBB659_200
; %bb.197:                              ;   in Loop: Header=BB659_15 Depth=1
	v_bfe_u32 v38, v26, 16, 7
	v_cmp_ne_u32_e32 vcc, s14, v38
	v_mov_b32_e32 v30, 0x7f800001
	s_and_saveexec_b64 s[10:11], vcc
	s_cbranch_execz .LBB659_199
; %bb.198:                              ;   in Loop: Header=BB659_15 Depth=1
	v_and_b32_e32 v30, 7, v28
	v_ffbh_u32_e32 v42, v30
	v_min_u32_e32 v44, 32, v42
	v_subrev_u32_e32 v42, 28, v44
	v_lshlrev_b64 v[42:43], v42, v[28:29]
	v_lshrrev_b32_e32 v40, 3, v38
	v_sub_u32_e32 v43, 29, v44
	v_and_b32_e32 v42, 7, v42
	v_cmp_gt_u32_e32 vcc, 8, v38
	v_cndmask_b32_e32 v38, v40, v43, vcc
	v_cndmask_b32_e32 v30, v30, v42, vcc
	v_lshlrev_b32_e32 v28, 24, v28
	v_lshlrev_b32_e32 v30, 20, v30
	v_and_b32_e32 v28, 0x80000000, v28
	v_lshl_add_u32 v38, v38, 23, v33
	v_or3_b32 v30, v28, v38, v30
.LBB659_199:                            ;   in Loop: Header=BB659_15 Depth=1
	s_or_b64 exec, exec, s[10:11]
.LBB659_200:                            ;   in Loop: Header=BB659_15 Depth=1
	s_or_b64 exec, exec, s[6:7]
.LBB659_201:                            ;   in Loop: Header=BB659_15 Depth=1
	s_or_b64 exec, exec, s[4:5]
	v_cmp_lt_u32_e32 vcc, s15, v26
	v_mov_b32_e32 v38, 0
	s_and_saveexec_b64 s[4:5], vcc
	s_cbranch_execz .LBB659_14
; %bb.202:                              ;   in Loop: Header=BB659_15 Depth=1
	v_lshrrev_b32_e32 v28, 24, v26
	v_cmp_ne_u32_e32 vcc, s13, v28
	v_bfrev_b32_e32 v38, 1
	s_and_saveexec_b64 s[6:7], vcc
	s_cbranch_execz .LBB659_13
; %bb.203:                              ;   in Loop: Header=BB659_15 Depth=1
	v_bfe_u32 v26, v26, 24, 7
	v_cmp_ne_u32_e32 vcc, s14, v26
	v_mov_b32_e32 v38, 0x7f800001
	s_and_saveexec_b64 s[10:11], vcc
	s_cbranch_execz .LBB659_12
; %bb.204:                              ;   in Loop: Header=BB659_15 Depth=1
	v_and_b32_e32 v38, 7, v28
	v_ffbh_u32_e32 v42, v38
	v_min_u32_e32 v44, 32, v42
	v_subrev_u32_e32 v42, 28, v44
	v_lshlrev_b64 v[42:43], v42, v[28:29]
	v_lshrrev_b32_e32 v40, 3, v26
	v_sub_u32_e32 v43, 29, v44
	v_and_b32_e32 v42, 7, v42
	v_cmp_gt_u32_e32 vcc, 8, v26
	v_cndmask_b32_e32 v26, v40, v43, vcc
	v_cndmask_b32_e32 v38, v38, v42, vcc
	v_lshlrev_b32_e32 v28, 24, v28
	v_lshlrev_b32_e32 v38, 20, v38
	v_and_b32_e32 v28, 0x80000000, v28
	v_lshl_add_u32 v26, v26, 23, v33
	v_or3_b32 v38, v28, v26, v38
	s_branch .LBB659_12
.LBB659_205:
	buffer_load_dword v13, off, s[0:3], 0 offset:256
	buffer_load_dword v14, off, s[0:3], 0 offset:260
	;; [unrolled: 1-line block ×16, first 2 shown]
	v_and_b32_e32 v12, 0xc0, v0
	v_add_u32_e32 v12, s20, v12
	v_lshl_or_b32 v12, v1, 2, v12
	v_or_b32_e32 v23, 1, v12
	v_mov_b32_e32 v19, 0xff7fffff
	v_or_b32_e32 v24, 2, v12
	v_or_b32_e32 v25, 3, v12
	v_cmp_gt_i32_e64 s[26:27], s33, v12
	v_cmp_gt_i32_e64 s[28:29], s33, v23
	s_mov_b32 s52, 0xff7fffff
	v_or_b32_e32 v26, 16, v12
	v_or_b32_e32 v27, 17, v12
	;; [unrolled: 1-line block ×12, first 2 shown]
	v_cmp_gt_i32_e64 s[30:31], s33, v24
	v_cmp_gt_i32_e64 s[34:35], s33, v25
	v_mbcnt_lo_u32_b32 v20, -1, 0
	v_cmp_gt_i32_e64 s[36:37], s33, v26
	v_cmp_gt_i32_e64 s[38:39], s33, v27
	v_mbcnt_hi_u32_b32 v20, -1, v20
	v_cmp_gt_i32_e64 s[20:21], s33, v28
	v_cmp_gt_i32_e64 s[22:23], s33, v29
	v_and_b32_e32 v21, 64, v20
	v_cmp_gt_i32_e64 s[16:17], s33, v30
	v_cmp_gt_i32_e64 s[18:19], s33, v31
	v_xor_b32_e32 v22, 32, v20
	v_add_u32_e32 v21, 64, v21
	v_cmp_gt_i32_e64 s[12:13], s33, v32
	v_cmp_gt_i32_e64 s[14:15], s33, v33
	v_cmp_lt_i32_e32 vcc, v22, v21
	v_cmp_gt_i32_e64 s[6:7], s33, v34
	v_cmp_gt_i32_e64 s[10:11], s33, v35
	v_cndmask_b32_e32 v22, v20, v22, vcc
	v_cmp_gt_i32_e32 vcc, s33, v36
	v_cmp_gt_i32_e64 s[4:5], s33, v37
	v_lshlrev_b32_e32 v22, 2, v22
	s_waitcnt vmcnt(15)
	v_cndmask_b32_e64 v12, v19, v13, s[26:27]
	s_waitcnt vmcnt(14)
	v_cndmask_b32_e64 v23, v19, v14, s[28:29]
	;; [unrolled: 2-line block ×4, first 2 shown]
	v_max3_f32 v12, v12, s52, v23
	s_waitcnt vmcnt(11)
	v_cndmask_b32_e64 v26, v19, v17, s[36:37]
	s_waitcnt vmcnt(10)
	v_cndmask_b32_e64 v27, v19, v18, s[38:39]
	v_max3_f32 v12, v12, v24, v25
	s_waitcnt vmcnt(9)
	v_cndmask_b32_e64 v28, v19, v11, s[20:21]
	s_waitcnt vmcnt(8)
	v_cndmask_b32_e64 v29, v19, v10, s[22:23]
	;; [unrolled: 5-line block ×5, first 2 shown]
	v_max3_f32 v12, v12, v32, v33
	s_waitcnt vmcnt(1)
	v_cndmask_b32_e32 v36, v19, v3, vcc
	s_waitcnt vmcnt(0)
	v_cndmask_b32_e64 v19, v19, v2, s[4:5]
	v_max3_f32 v12, v12, v34, v35
	v_max3_f32 v12, v12, v36, v19
	ds_bpermute_b32 v19, v22, v12
	v_xor_b32_e32 v23, 16, v20
	v_cmp_lt_i32_e64 s[40:41], v23, v21
	v_cndmask_b32_e64 v20, v20, v23, s[40:41]
	v_lshlrev_b32_e32 v20, 2, v20
	s_waitcnt lgkmcnt(0)
	v_max_f32_e32 v19, v19, v19
	v_max_f32_e32 v12, v12, v19
	ds_bpermute_b32 v19, v20, v12
	s_waitcnt lgkmcnt(0)
	v_max_f32_e32 v19, v19, v19
	v_max_f32_e32 v12, v12, v19
	v_sub_f32_e32 v13, v13, v12
	v_sub_f32_e32 v14, v14, v12
	;; [unrolled: 1-line block ×3, first 2 shown]
	v_mul_f32_e32 v13, 0x3fb8aa3b, v13
	v_mul_f32_e32 v14, 0x3fb8aa3b, v14
	;; [unrolled: 1-line block ×3, first 2 shown]
	v_exp_f32_e32 v13, v13
	v_exp_f32_e32 v14, v14
	v_exp_f32_e32 v15, v15
	v_sub_f32_e32 v16, v16, v12
	v_cndmask_b32_e64 v13, 0, v13, s[26:27]
	v_mul_f32_e32 v16, 0x3fb8aa3b, v16
	v_cndmask_b32_e64 v14, 0, v14, s[28:29]
	v_cndmask_b32_e64 v15, 0, v15, s[30:31]
	v_add_f32_e32 v19, 0, v13
	buffer_store_dword v13, off, s[0:3], 0 offset:256
	buffer_store_dword v14, off, s[0:3], 0 offset:260
	;; [unrolled: 1-line block ×3, first 2 shown]
	v_sub_f32_e32 v13, v17, v12
	v_exp_f32_e32 v16, v16
	v_add_f32_e32 v19, v19, v14
	v_mul_f32_e32 v13, 0x3fb8aa3b, v13
	v_sub_f32_e32 v14, v18, v12
	v_exp_f32_e32 v13, v13
	v_mul_f32_e32 v14, 0x3fb8aa3b, v14
	v_sub_f32_e32 v11, v11, v12
	v_exp_f32_e32 v14, v14
	;; [unrolled: 3-line block ×3, first 2 shown]
	v_mul_f32_e32 v10, 0x3fb8aa3b, v10
	v_sub_f32_e32 v9, v9, v12
	v_cndmask_b32_e64 v16, 0, v16, s[34:35]
	v_add_f32_e32 v19, v19, v15
	v_exp_f32_e32 v10, v10
	v_mul_f32_e32 v9, 0x3fb8aa3b, v9
	v_sub_f32_e32 v8, v8, v12
	v_add_f32_e32 v19, v19, v16
	v_cndmask_b32_e64 v13, 0, v13, s[36:37]
	v_exp_f32_e32 v9, v9
	v_mul_f32_e32 v8, 0x3fb8aa3b, v8
	v_sub_f32_e32 v7, v7, v12
	v_add_f32_e32 v15, v19, v13
	v_cndmask_b32_e64 v14, 0, v14, s[38:39]
	;; [unrolled: 5-line block ×5, first 2 shown]
	v_exp_f32_e32 v5, v5
	v_mul_f32_e32 v4, 0x3fb8aa3b, v4
	v_sub_f32_e32 v3, v3, v12
	buffer_store_dword v16, off, s[0:3], 0 offset:268
	buffer_store_dword v13, off, s[0:3], 0 offset:272
	;; [unrolled: 1-line block ×5, first 2 shown]
	v_add_f32_e32 v10, v15, v9
	v_cndmask_b32_e64 v8, 0, v8, s[18:19]
	v_exp_f32_e32 v4, v4
	v_mul_f32_e32 v3, 0x3fb8aa3b, v3
	v_sub_f32_e32 v2, v2, v12
	v_add_f32_e32 v10, v10, v8
	v_cndmask_b32_e64 v7, 0, v7, s[12:13]
	v_exp_f32_e32 v3, v3
	v_mul_f32_e32 v2, 0x3fb8aa3b, v2
	v_add_f32_e32 v10, v10, v7
	v_cndmask_b32_e64 v6, 0, v6, s[14:15]
	v_exp_f32_e32 v2, v2
	v_add_f32_e32 v10, v10, v6
	v_cndmask_b32_e64 v5, 0, v5, s[6:7]
	buffer_store_dword v9, off, s[0:3], 0 offset:288
	buffer_store_dword v8, off, s[0:3], 0 offset:292
	;; [unrolled: 1-line block ×4, first 2 shown]
	v_add_f32_e32 v6, v10, v5
	v_cndmask_b32_e64 v4, 0, v4, s[10:11]
	v_add_f32_e32 v6, v6, v4
	v_cndmask_b32_e32 v3, 0, v3, vcc
	v_add_f32_e32 v6, v6, v3
	v_cndmask_b32_e64 v2, 0, v2, s[4:5]
	v_add_f32_e32 v6, v6, v2
	ds_bpermute_b32 v7, v22, v6
	buffer_store_dword v5, off, s[0:3], 0 offset:304
	buffer_store_dword v4, off, s[0:3], 0 offset:308
	;; [unrolled: 1-line block ×4, first 2 shown]
	v_cmp_gt_u32_e32 vcc, 16, v64
	s_waitcnt lgkmcnt(0)
	s_barrier
	v_add_f32_e32 v2, v6, v7
	ds_bpermute_b32 v3, v20, v2
	s_waitcnt lgkmcnt(0)
	s_and_saveexec_b64 s[4:5], vcc
	s_cbranch_execz .LBB659_207
; %bb.206:
	v_add_f32_e32 v2, v2, v3
	v_lshlrev_b32_e32 v3, 2, v63
	ds_write2st64_b32 v3, v12, v2 offset1:1
.LBB659_207:
	s_or_b64 exec, exec, s[4:5]
	v_lshlrev_b32_e32 v2, 2, v55
	s_waitcnt lgkmcnt(0)
	s_barrier
	ds_read2_b32 v[12:13], v2 offset1:16
	ds_read2_b32 v[14:15], v2 offset0:32 offset1:48
	ds_read2_b32 v[6:7], v2 offset0:64 offset1:80
	;; [unrolled: 1-line block ×3, first 2 shown]
	s_waitcnt lgkmcnt(0)
	s_barrier
	buffer_load_dword v20, off, s[0:3], 0 offset:256
	buffer_load_dword v21, off, s[0:3], 0 offset:260
	;; [unrolled: 1-line block ×16, first 2 shown]
	v_lshlrev_b32_e32 v19, 3, v1
	v_lshlrev_b32_e32 v18, 5, v55
	;; [unrolled: 1-line block ×3, first 2 shown]
	v_or3_b32 v43, v28, v18, v19
	v_max3_f32 v19, v12, s52, v13
	v_max3_f32 v19, v19, v14, v15
	v_sub_f32_e32 v12, v12, v19
	v_sub_f32_e32 v13, v13, v19
	v_mul_f32_e32 v12, 0x3fb8aa3b, v12
	v_sub_f32_e32 v14, v14, v19
	v_mul_f32_e32 v13, 0x3fb8aa3b, v13
	v_exp_f32_e32 v12, v12
	v_sub_f32_e32 v15, v15, v19
	v_mul_f32_e32 v14, 0x3fb8aa3b, v14
	v_exp_f32_e32 v13, v13
	v_mul_f32_e32 v15, 0x3fb8aa3b, v15
	v_exp_f32_e32 v14, v14
	v_exp_f32_e32 v15, v15
	v_fma_f32 v6, v12, v6, 0
	v_fmac_f32_e32 v6, v13, v7
	v_fmac_f32_e32 v6, v14, v10
	;; [unrolled: 1-line block ×3, first 2 shown]
	v_cmp_eq_u32_e32 vcc, 1, v62
	v_add_f32_e32 v10, 0x358637bd, v6
	v_cndmask_b32_e32 v12, v12, v13, vcc
	v_cmp_eq_u32_e32 vcc, 2, v62
	v_div_scale_f32 v11, s[4:5], v10, v10, 1.0
	v_cndmask_b32_e32 v7, v12, v14, vcc
	v_rcp_f32_e32 v12, v11
	v_cmp_eq_u32_e32 vcc, 3, v62
	v_cndmask_b32_e32 v7, v7, v15, vcc
	v_div_scale_f32 v13, vcc, 1.0, v10, 1.0
	v_fma_f32 v14, -v11, v12, 1.0
	v_fmac_f32_e32 v12, v14, v12
	v_mul_f32_e32 v14, v13, v12
	v_fma_f32 v15, -v11, v14, v13
	v_fmac_f32_e32 v14, v15, v12
	v_fma_f32 v11, -v11, v14, v13
	v_div_fmas_f32 v11, v11, v12, v14
	v_div_fixup_f32 v10, v11, v10, 1.0
	v_mul_f32_e32 v10, v7, v10
	s_mul_i32 s18, s51, 6
	v_cmp_gt_u32_e32 vcc, 6, v0
	s_waitcnt vmcnt(14)
	v_pk_mul_f32 v[14:15], v[10:11], v[20:21] op_sel_hi:[0,1]
	v_cvt_f16_f32_e32 v7, v14
	s_waitcnt vmcnt(12)
	v_pk_mul_f32 v[12:13], v[10:11], v[22:23] op_sel_hi:[0,1]
	buffer_store_dword v14, off, s[0:3], 0 offset:256
	buffer_store_dword v15, off, s[0:3], 0 offset:260
	;; [unrolled: 1-line block ×3, first 2 shown]
	s_waitcnt vmcnt(13)
	v_pk_mul_f32 v[20:21], v[10:11], v[24:25] op_sel_hi:[0,1]
	v_cvt_f16_f32_e32 v14, v12
	s_waitcnt vmcnt(11)
	v_pk_mul_f32 v[22:23], v[10:11], v[26:27] op_sel_hi:[0,1]
	v_cvt_f16_f32_e32 v11, v15
	v_cvt_f16_f32_e32 v15, v13
	buffer_store_dword v13, off, s[0:3], 0 offset:268
	buffer_store_dword v22, off, s[0:3], 0 offset:272
	;; [unrolled: 1-line block ×3, first 2 shown]
	v_pack_b32_f16 v12, v7, v11
	v_cvt_f16_f32_e32 v11, v23
	v_pack_b32_f16 v13, v14, v15
	v_cvt_f16_f32_e32 v7, v22
	v_cvt_f16_f32_e32 v15, v20
	;; [unrolled: 1-line block ×3, first 2 shown]
	s_waitcnt vmcnt(12)
	v_pk_mul_f32 v[4:5], v[10:11], v[4:5] op_sel_hi:[0,1]
	v_pack_b32_f16 v14, v7, v11
	s_waitcnt vmcnt(10)
	v_pk_mul_f32 v[2:3], v[10:11], v[2:3] op_sel_hi:[0,1]
	v_pack_b32_f16 v15, v15, v22
	v_cvt_f16_f32_e32 v11, v5
	buffer_store_dword v20, off, s[0:3], 0 offset:280
	buffer_store_dword v21, off, s[0:3], 0 offset:284
	ds_write2st64_b64 v43, v[12:13], v[14:15] offset1:1
	buffer_store_dword v2, off, s[0:3], 0 offset:288
	buffer_store_dword v3, off, s[0:3], 0 offset:292
	v_cvt_f16_f32_e32 v2, v2
	v_cvt_f16_f32_e32 v3, v3
	;; [unrolled: 1-line block ×3, first 2 shown]
	buffer_store_dword v4, off, s[0:3], 0 offset:296
	buffer_store_dword v5, off, s[0:3], 0 offset:300
	s_waitcnt vmcnt(12)
	v_pk_mul_f32 v[4:5], v[10:11], v[16:17] op_sel_hi:[0,1]
	v_pk_mul_f32 v[8:9], v[10:11], v[8:9] op_sel_hi:[0,1]
	v_pack_b32_f16 v2, v2, v3
	v_pack_b32_f16 v3, v7, v11
	buffer_store_dword v8, off, s[0:3], 0 offset:304
	buffer_store_dword v9, off, s[0:3], 0 offset:308
	v_cvt_f16_f32_e32 v7, v8
	v_cvt_f16_f32_e32 v8, v9
	;; [unrolled: 1-line block ×4, first 2 shown]
	buffer_store_dword v4, off, s[0:3], 0 offset:312
	buffer_store_dword v5, off, s[0:3], 0 offset:316
	v_pack_b32_f16 v4, v7, v8
	v_pack_b32_f16 v5, v9, v10
	ds_write2st64_b64 v43, v[2:3], v[4:5] offset0:2 offset1:3
	s_and_saveexec_b64 s[4:5], vcc
	s_cbranch_execz .LBB659_209
; %bb.208:
	v_add_co_u32_e32 v4, vcc, s25, v55
	v_addc_co_u32_e64 v5, s[6:7], 0, 0, vcc
	v_mov_b32_e32 v2, s18
	v_mad_u64_u32 v[4:5], s[6:7], s8, v2, v[4:5]
	v_mov_b32_e32 v3, 0
	s_mul_i32 s6, s9, s18
	v_mov_b32_e32 v2, s24
	v_add_u32_e32 v5, s6, v5
	v_mad_u64_u32 v[2:3], s[6:7], v4, s50, v[2:3]
	v_mov_b32_e32 v4, v3
	v_mad_u64_u32 v[4:5], s[6:7], v5, s50, v[4:5]
	v_mov_b32_e32 v3, v4
	v_lshlrev_b64 v[2:3], 2, v[2:3]
	v_mov_b32_e32 v5, s47
	v_add_co_u32_e32 v4, vcc, s46, v2
	v_addc_co_u32_e32 v5, vcc, v5, v3, vcc
	global_store_dword v[4:5], v19, off
	v_mov_b32_e32 v4, s45
	v_add_co_u32_e32 v2, vcc, s44, v2
	v_addc_co_u32_e32 v3, vcc, v4, v3, vcc
	global_store_dword v[2:3], v6, off
.LBB659_209:
	s_or_b64 exec, exec, s[4:5]
	v_lshl_or_b32 v30, v1, 9, v18
	s_waitcnt lgkmcnt(0)
	s_barrier
	s_load_dword s4, s[42:43], 0x0
	ds_read_b128 v[2:5], v30
	ds_read_b128 v[6:9], v30 offset:16
	ds_read_b128 v[10:13], v30 offset:2048
	;; [unrolled: 1-line block ×7, first 2 shown]
	v_mov_b32_e32 v35, 0x80
	v_mov_b32_e32 v45, 0x140
	s_mov_b64 s[10:11], -1
	s_waitcnt lgkmcnt(0)
	s_mov_b32 s5, s4
	s_mov_b32 s6, s4
	;; [unrolled: 1-line block ×3, first 2 shown]
	s_movk_i32 s9, 0x80
	s_movk_i32 s19, 0x7f
	s_mov_b32 s20, 0xffffff
	v_mov_b32_e32 v47, 0
	v_bfrev_b32_e32 v48, 60
	s_branch .LBB659_213
.LBB659_210:                            ;   in Loop: Header=BB659_213 Depth=1
	s_or_b64 exec, exec, s[16:17]
.LBB659_211:                            ;   in Loop: Header=BB659_213 Depth=1
	s_or_b64 exec, exec, s[14:15]
.LBB659_212:                            ;   in Loop: Header=BB659_213 Depth=1
	s_or_b64 exec, exec, s[12:13]
	v_cvt_pkrtz_f16_f32 v60, v46, v49
	v_cvt_pkrtz_f16_f32 v61, v44, v51
	s_xor_b64 s[12:13], s[10:11], -1
	s_mov_b64 s[10:11], 0
	v_mov_b32_e32 v59, v58
	v_mfma_f32_16x16x16f16 v[62:65], v[60:61], v[30:31], v[34:37]
	v_mov_b32_e32 v61, v39
	v_mov_b32_e32 v60, v41
	s_and_b64 vcc, exec, s[12:13]
	s_nop 3
	v_cvt_pkrtz_f16_f32 v36, v50, v52
	v_cvt_pkrtz_f16_f32 v37, v42, v53
	v_mov_b32_e32 v35, v57
	s_nop 0
	v_mfma_f32_16x16x16f16 v[50:53], v[36:37], v[32:33], v[62:65]
	s_nop 7
	s_nop 2
	v_pk_mul_f32 v[50:51], v[50:51], s[4:5]
	v_pk_mul_f32 v[36:37], v[52:53], s[6:7]
	v_cvt_f16_f32_e32 v34, v50
	v_cvt_f16_f32_e32 v38, v51
	;; [unrolled: 1-line block ×4, first 2 shown]
	v_pack_b32_f16 v34, v34, v38
	v_pack_b32_f16 v36, v36, v37
	buffer_store_dword v34, v45, s[0:3], 0 offen
	buffer_store_dword v36, v45, s[0:3], 0 offen offset:4
	v_mov_b32_e32 v45, 0x148
	s_cbranch_vccnz .LBB659_595
.LBB659_213:                            ; =>This Inner Loop Header: Depth=1
	buffer_load_dword v36, v35, s[0:3], 0 offen
	buffer_load_dword v34, v35, s[0:3], 0 offen offset:4
	buffer_load_dword v40, v35, s[0:3], 0 offen offset:8
	;; [unrolled: 1-line block ×3, first 2 shown]
	v_mov_b32_e32 v35, 0
	s_waitcnt vmcnt(3)
	v_cmp_ne_u16_sdwa s[14:15], v36, v47 src0_sel:BYTE_0 src1_sel:DWORD
	s_and_saveexec_b64 s[12:13], s[14:15]
	s_cbranch_execz .LBB659_219
; %bb.214:                              ;   in Loop: Header=BB659_213 Depth=1
	v_cmp_ne_u16_sdwa s[16:17], v36, s9 src0_sel:BYTE_0 src1_sel:DWORD
	v_bfrev_b32_e32 v35, 1
	s_and_saveexec_b64 s[14:15], s[16:17]
	s_cbranch_execz .LBB659_218
; %bb.215:                              ;   in Loop: Header=BB659_213 Depth=1
	v_and_b32_e32 v37, 0x7f, v36
	v_cmp_ne_u32_e32 vcc, s19, v37
	v_mov_b32_e32 v35, 0x7f800001
	s_and_saveexec_b64 s[16:17], vcc
	s_cbranch_execz .LBB659_217
; %bb.216:                              ;   in Loop: Header=BB659_213 Depth=1
	v_and_b32_e32 v35, 7, v36
	v_ffbh_u32_e32 v44, v35
	v_min_u32_e32 v44, 32, v44
	v_subrev_u32_e32 v46, 28, v44
	v_lshlrev_b64 v[50:51], v46, v[36:37]
	v_lshrrev_b32_e32 v42, 3, v37
	v_sub_u32_e32 v44, 29, v44
	v_and_b32_e32 v46, 7, v50
	v_cmp_gt_u32_e32 vcc, 8, v37
	v_cndmask_b32_e32 v37, v42, v44, vcc
	v_cndmask_b32_e32 v35, v35, v46, vcc
	v_lshlrev_b32_e32 v42, 24, v36
	v_lshlrev_b32_e32 v35, 20, v35
	v_and_b32_e32 v42, 0x80000000, v42
	v_lshl_add_u32 v37, v37, 23, v48
	v_or3_b32 v35, v42, v37, v35
.LBB659_217:                            ;   in Loop: Header=BB659_213 Depth=1
	s_or_b64 exec, exec, s[16:17]
.LBB659_218:                            ;   in Loop: Header=BB659_213 Depth=1
	s_or_b64 exec, exec, s[14:15]
.LBB659_219:                            ;   in Loop: Header=BB659_213 Depth=1
	s_or_b64 exec, exec, s[12:13]
	v_lshrrev_b16_e32 v42, 8, v36
	v_cmp_ne_u16_e32 vcc, 0, v42
	v_mov_b32_e32 v37, 0
	s_and_saveexec_b64 s[12:13], vcc
	s_cbranch_execz .LBB659_225
; %bb.220:                              ;   in Loop: Header=BB659_213 Depth=1
	v_cmp_ne_u16_e32 vcc, s9, v42
	v_bfrev_b32_e32 v37, 1
	s_and_saveexec_b64 s[14:15], vcc
	s_cbranch_execz .LBB659_224
; %bb.221:                              ;   in Loop: Header=BB659_213 Depth=1
	v_and_b32_e32 v44, 0x7f, v42
	v_cmp_ne_u32_e32 vcc, s19, v44
	v_mov_b32_e32 v37, 0x7f800001
	s_and_saveexec_b64 s[16:17], vcc
	s_cbranch_execz .LBB659_223
; %bb.222:                              ;   in Loop: Header=BB659_213 Depth=1
	v_and_b32_e32 v37, 7, v42
	v_ffbh_u32_e32 v49, v37
	v_min_u32_e32 v49, 32, v49
	v_subrev_u32_e32 v50, 28, v49
	v_lshlrev_b64 v[50:51], v50, v[42:43]
	v_lshrrev_b32_e32 v46, 3, v44
	v_sub_u32_e32 v42, 29, v49
	v_and_b32_e32 v49, 7, v50
	v_cmp_gt_u32_e32 vcc, 8, v44
	v_cndmask_b32_e32 v42, v46, v42, vcc
	v_cndmask_b32_e32 v37, v37, v49, vcc
	v_lshlrev_b32_e32 v44, 16, v36
	v_lshlrev_b32_e32 v37, 20, v37
	v_and_b32_e32 v44, 0x80000000, v44
	v_lshl_add_u32 v42, v42, 23, v48
	v_or3_b32 v37, v44, v42, v37
.LBB659_223:                            ;   in Loop: Header=BB659_213 Depth=1
	s_or_b64 exec, exec, s[16:17]
.LBB659_224:                            ;   in Loop: Header=BB659_213 Depth=1
	s_or_b64 exec, exec, s[14:15]
.LBB659_225:                            ;   in Loop: Header=BB659_213 Depth=1
	s_or_b64 exec, exec, s[12:13]
	v_lshrrev_b32_e32 v42, 16, v36
	v_cmp_ne_u16_sdwa s[14:15], v42, v47 src0_sel:BYTE_0 src1_sel:DWORD
	v_mov_b32_e32 v46, 0
	v_mov_b32_e32 v44, 0
	s_and_saveexec_b64 s[12:13], s[14:15]
	s_cbranch_execz .LBB659_231
; %bb.226:                              ;   in Loop: Header=BB659_213 Depth=1
	v_cmp_ne_u16_sdwa s[16:17], v42, s9 src0_sel:BYTE_0 src1_sel:DWORD
	v_bfrev_b32_e32 v44, 1
	s_and_saveexec_b64 s[14:15], s[16:17]
	s_cbranch_execz .LBB659_230
; %bb.227:                              ;   in Loop: Header=BB659_213 Depth=1
	v_bfe_u32 v49, v36, 16, 7
	v_cmp_ne_u32_e32 vcc, s19, v49
	v_mov_b32_e32 v44, 0x7f800001
	s_and_saveexec_b64 s[16:17], vcc
	s_cbranch_execz .LBB659_229
; %bb.228:                              ;   in Loop: Header=BB659_213 Depth=1
	v_and_b32_e32 v44, 7, v42
	v_ffbh_u32_e32 v50, v44
	v_min_u32_e32 v53, 32, v50
	v_subrev_u32_e32 v50, 28, v53
	v_lshlrev_b64 v[50:51], v50, v[42:43]
	v_lshrrev_b32_e32 v52, 3, v49
	v_sub_u32_e32 v51, 29, v53
	v_and_b32_e32 v50, 7, v50
	v_cmp_gt_u32_e32 vcc, 8, v49
	v_cndmask_b32_e32 v49, v52, v51, vcc
	v_cndmask_b32_e32 v44, v44, v50, vcc
	v_lshlrev_b32_e32 v42, 24, v42
	v_lshlrev_b32_e32 v44, 20, v44
	v_and_b32_e32 v42, 0x80000000, v42
	v_lshl_add_u32 v49, v49, 23, v48
	v_or3_b32 v44, v42, v49, v44
.LBB659_229:                            ;   in Loop: Header=BB659_213 Depth=1
	s_or_b64 exec, exec, s[16:17]
.LBB659_230:                            ;   in Loop: Header=BB659_213 Depth=1
	s_or_b64 exec, exec, s[14:15]
.LBB659_231:                            ;   in Loop: Header=BB659_213 Depth=1
	s_or_b64 exec, exec, s[12:13]
	v_cmp_lt_u32_e32 vcc, s20, v36
	s_and_saveexec_b64 s[12:13], vcc
	s_cbranch_execz .LBB659_237
; %bb.232:                              ;   in Loop: Header=BB659_213 Depth=1
	v_lshrrev_b32_e32 v42, 24, v36
	v_cmp_ne_u32_e32 vcc, s9, v42
	v_bfrev_b32_e32 v46, 1
	s_and_saveexec_b64 s[14:15], vcc
	s_cbranch_execz .LBB659_236
; %bb.233:                              ;   in Loop: Header=BB659_213 Depth=1
	v_bfe_u32 v36, v36, 24, 7
	v_cmp_ne_u32_e32 vcc, s19, v36
	v_mov_b32_e32 v46, 0x7f800001
	s_and_saveexec_b64 s[16:17], vcc
	s_cbranch_execz .LBB659_235
; %bb.234:                              ;   in Loop: Header=BB659_213 Depth=1
	v_and_b32_e32 v46, 7, v42
	v_ffbh_u32_e32 v50, v46
	v_min_u32_e32 v52, 32, v50
	v_subrev_u32_e32 v50, 28, v52
	v_lshlrev_b64 v[50:51], v50, v[42:43]
	v_lshrrev_b32_e32 v49, 3, v36
	v_sub_u32_e32 v51, 29, v52
	v_and_b32_e32 v50, 7, v50
	v_cmp_gt_u32_e32 vcc, 8, v36
	v_cndmask_b32_e32 v36, v49, v51, vcc
	v_cndmask_b32_e32 v46, v46, v50, vcc
	v_lshlrev_b32_e32 v42, 24, v42
	v_lshlrev_b32_e32 v46, 20, v46
	v_and_b32_e32 v42, 0x80000000, v42
	v_lshl_add_u32 v36, v36, 23, v48
	v_or3_b32 v46, v42, v36, v46
.LBB659_235:                            ;   in Loop: Header=BB659_213 Depth=1
	s_or_b64 exec, exec, s[16:17]
.LBB659_236:                            ;   in Loop: Header=BB659_213 Depth=1
	s_or_b64 exec, exec, s[14:15]
.LBB659_237:                            ;   in Loop: Header=BB659_213 Depth=1
	s_or_b64 exec, exec, s[12:13]
	s_waitcnt vmcnt(2)
	v_cmp_ne_u16_sdwa s[14:15], v34, v47 src0_sel:BYTE_0 src1_sel:DWORD
	v_mov_b32_e32 v42, 0
	v_mov_b32_e32 v49, 0
	s_and_saveexec_b64 s[12:13], s[14:15]
	s_cbranch_execz .LBB659_243
; %bb.238:                              ;   in Loop: Header=BB659_213 Depth=1
	v_cmp_ne_u16_sdwa s[16:17], v34, s9 src0_sel:BYTE_0 src1_sel:DWORD
	v_bfrev_b32_e32 v49, 1
	s_and_saveexec_b64 s[14:15], s[16:17]
	s_cbranch_execz .LBB659_242
; %bb.239:                              ;   in Loop: Header=BB659_213 Depth=1
	v_and_b32_e32 v36, 0x7f, v34
	v_cmp_ne_u32_e32 vcc, s19, v36
	v_mov_b32_e32 v49, 0x7f800001
	s_and_saveexec_b64 s[16:17], vcc
	s_cbranch_execz .LBB659_241
; %bb.240:                              ;   in Loop: Header=BB659_213 Depth=1
	v_and_b32_e32 v49, 7, v34
	v_ffbh_u32_e32 v50, v49
	v_min_u32_e32 v53, 32, v50
	v_subrev_u32_e32 v50, 28, v53
	v_lshlrev_b64 v[50:51], v50, v[34:35]
	v_lshrrev_b32_e32 v52, 3, v36
	v_sub_u32_e32 v51, 29, v53
	v_and_b32_e32 v50, 7, v50
	v_cmp_gt_u32_e32 vcc, 8, v36
	v_cndmask_b32_e32 v36, v52, v51, vcc
	v_cndmask_b32_e32 v49, v49, v50, vcc
	v_lshlrev_b32_e32 v50, 24, v34
	v_lshlrev_b32_e32 v49, 20, v49
	v_and_b32_e32 v50, 0x80000000, v50
	v_lshl_add_u32 v36, v36, 23, v48
	v_or3_b32 v49, v50, v36, v49
.LBB659_241:                            ;   in Loop: Header=BB659_213 Depth=1
	s_or_b64 exec, exec, s[16:17]
.LBB659_242:                            ;   in Loop: Header=BB659_213 Depth=1
	s_or_b64 exec, exec, s[14:15]
.LBB659_243:                            ;   in Loop: Header=BB659_213 Depth=1
	s_or_b64 exec, exec, s[12:13]
	v_lshrrev_b16_e32 v36, 8, v34
	v_cmp_ne_u16_e32 vcc, 0, v36
	s_and_saveexec_b64 s[12:13], vcc
	s_cbranch_execz .LBB659_249
; %bb.244:                              ;   in Loop: Header=BB659_213 Depth=1
	v_cmp_ne_u16_e32 vcc, s9, v36
	v_bfrev_b32_e32 v42, 1
	s_and_saveexec_b64 s[14:15], vcc
	s_cbranch_execz .LBB659_248
; %bb.245:                              ;   in Loop: Header=BB659_213 Depth=1
	v_and_b32_e32 v50, 0x7f, v36
	v_cmp_ne_u32_e32 vcc, s19, v50
	v_mov_b32_e32 v42, 0x7f800001
	s_and_saveexec_b64 s[16:17], vcc
	s_cbranch_execz .LBB659_247
; %bb.246:                              ;   in Loop: Header=BB659_213 Depth=1
	v_and_b32_e32 v42, 7, v36
	v_ffbh_u32_e32 v52, v42
	v_min_u32_e32 v62, 32, v52
	v_subrev_u32_e32 v52, 28, v62
	v_lshlrev_b64 v[52:53], v52, v[36:37]
	v_lshrrev_b32_e32 v51, 3, v50
	v_sub_u32_e32 v36, 29, v62
	v_and_b32_e32 v52, 7, v52
	v_cmp_gt_u32_e32 vcc, 8, v50
	v_cndmask_b32_e32 v36, v51, v36, vcc
	v_cndmask_b32_e32 v42, v42, v52, vcc
	v_lshlrev_b32_e32 v50, 16, v34
	v_lshlrev_b32_e32 v42, 20, v42
	v_and_b32_e32 v50, 0x80000000, v50
	v_lshl_add_u32 v36, v36, 23, v48
	v_or3_b32 v42, v50, v36, v42
.LBB659_247:                            ;   in Loop: Header=BB659_213 Depth=1
	s_or_b64 exec, exec, s[16:17]
.LBB659_248:                            ;   in Loop: Header=BB659_213 Depth=1
	s_or_b64 exec, exec, s[14:15]
.LBB659_249:                            ;   in Loop: Header=BB659_213 Depth=1
	s_or_b64 exec, exec, s[12:13]
	v_lshrrev_b32_e32 v36, 16, v34
	v_cmp_ne_u16_sdwa s[14:15], v36, v47 src0_sel:BYTE_0 src1_sel:DWORD
	v_mov_b32_e32 v51, 0
	v_mov_b32_e32 v50, 0
	s_and_saveexec_b64 s[12:13], s[14:15]
	s_cbranch_execz .LBB659_255
; %bb.250:                              ;   in Loop: Header=BB659_213 Depth=1
	v_cmp_ne_u16_sdwa s[16:17], v36, s9 src0_sel:BYTE_0 src1_sel:DWORD
	v_bfrev_b32_e32 v50, 1
	s_and_saveexec_b64 s[14:15], s[16:17]
	s_cbranch_execz .LBB659_254
; %bb.251:                              ;   in Loop: Header=BB659_213 Depth=1
	v_bfe_u32 v52, v34, 16, 7
	v_cmp_ne_u32_e32 vcc, s19, v52
	v_mov_b32_e32 v50, 0x7f800001
	s_and_saveexec_b64 s[16:17], vcc
	s_cbranch_execz .LBB659_253
; %bb.252:                              ;   in Loop: Header=BB659_213 Depth=1
	v_and_b32_e32 v50, 7, v36
	v_ffbh_u32_e32 v62, v50
	v_min_u32_e32 v64, 32, v62
	v_subrev_u32_e32 v62, 28, v64
	v_lshlrev_b64 v[62:63], v62, v[36:37]
	v_lshrrev_b32_e32 v53, 3, v52
	v_sub_u32_e32 v63, 29, v64
	v_and_b32_e32 v62, 7, v62
	v_cmp_gt_u32_e32 vcc, 8, v52
	v_cndmask_b32_e32 v52, v53, v63, vcc
	v_cndmask_b32_e32 v50, v50, v62, vcc
	v_lshlrev_b32_e32 v36, 24, v36
	v_lshlrev_b32_e32 v50, 20, v50
	v_and_b32_e32 v36, 0x80000000, v36
	v_lshl_add_u32 v52, v52, 23, v48
	v_or3_b32 v50, v36, v52, v50
.LBB659_253:                            ;   in Loop: Header=BB659_213 Depth=1
	s_or_b64 exec, exec, s[16:17]
.LBB659_254:                            ;   in Loop: Header=BB659_213 Depth=1
	s_or_b64 exec, exec, s[14:15]
.LBB659_255:                            ;   in Loop: Header=BB659_213 Depth=1
	s_or_b64 exec, exec, s[12:13]
	v_cmp_lt_u32_e32 vcc, s20, v34
	s_and_saveexec_b64 s[12:13], vcc
	s_cbranch_execz .LBB659_261
; %bb.256:                              ;   in Loop: Header=BB659_213 Depth=1
	v_lshrrev_b32_e32 v36, 24, v34
	v_cmp_ne_u32_e32 vcc, s9, v36
	v_bfrev_b32_e32 v51, 1
	s_and_saveexec_b64 s[14:15], vcc
	s_cbranch_execz .LBB659_260
; %bb.257:                              ;   in Loop: Header=BB659_213 Depth=1
	v_bfe_u32 v34, v34, 24, 7
	v_cmp_ne_u32_e32 vcc, s19, v34
	v_mov_b32_e32 v51, 0x7f800001
	s_and_saveexec_b64 s[16:17], vcc
	s_cbranch_execz .LBB659_259
; %bb.258:                              ;   in Loop: Header=BB659_213 Depth=1
	v_and_b32_e32 v51, 7, v36
	v_ffbh_u32_e32 v52, v51
	v_min_u32_e32 v63, 32, v52
	v_subrev_u32_e32 v52, 28, v63
	v_lshlrev_b64 v[52:53], v52, v[36:37]
	v_lshrrev_b32_e32 v62, 3, v34
	v_sub_u32_e32 v53, 29, v63
	v_and_b32_e32 v52, 7, v52
	v_cmp_gt_u32_e32 vcc, 8, v34
	v_cndmask_b32_e32 v34, v62, v53, vcc
	v_cndmask_b32_e32 v51, v51, v52, vcc
	v_lshlrev_b32_e32 v36, 24, v36
	v_lshlrev_b32_e32 v51, 20, v51
	v_and_b32_e32 v36, 0x80000000, v36
	v_lshl_add_u32 v34, v34, 23, v48
	v_or3_b32 v51, v36, v34, v51
.LBB659_259:                            ;   in Loop: Header=BB659_213 Depth=1
	s_or_b64 exec, exec, s[16:17]
.LBB659_260:                            ;   in Loop: Header=BB659_213 Depth=1
	s_or_b64 exec, exec, s[14:15]
.LBB659_261:                            ;   in Loop: Header=BB659_213 Depth=1
	s_or_b64 exec, exec, s[12:13]
	v_cvt_pkrtz_f16_f32 v34, v35, v37
	v_cvt_pkrtz_f16_f32 v35, v44, v46
	;; [unrolled: 1-line block ×4, first 2 shown]
	v_mov_b32_e32 v44, 0
	v_mfma_f32_16x16x16f16 v[34:37], v[34:35], v[2:3], 0
	s_waitcnt vmcnt(1)
	v_cmp_ne_u16_sdwa s[14:15], v40, v47 src0_sel:BYTE_0 src1_sel:DWORD
	v_mov_b32_e32 v46, 0
	v_mfma_f32_16x16x16f16 v[34:37], v[52:53], v[4:5], v[34:37]
	s_and_saveexec_b64 s[12:13], s[14:15]
	s_cbranch_execz .LBB659_267
; %bb.262:                              ;   in Loop: Header=BB659_213 Depth=1
	v_cmp_ne_u16_sdwa s[16:17], v40, s9 src0_sel:BYTE_0 src1_sel:DWORD
	v_bfrev_b32_e32 v46, 1
	s_and_saveexec_b64 s[14:15], s[16:17]
	s_cbranch_execz .LBB659_266
; %bb.263:                              ;   in Loop: Header=BB659_213 Depth=1
	v_and_b32_e32 v42, 0x7f, v40
	v_cmp_ne_u32_e32 vcc, s19, v42
	v_mov_b32_e32 v46, 0x7f800001
	s_and_saveexec_b64 s[16:17], vcc
	s_cbranch_execz .LBB659_265
; %bb.264:                              ;   in Loop: Header=BB659_213 Depth=1
	v_and_b32_e32 v46, 7, v40
	v_ffbh_u32_e32 v50, v46
	v_min_u32_e32 v52, 32, v50
	v_subrev_u32_e32 v50, 28, v52
	v_lshlrev_b64 v[50:51], v50, v[40:41]
	v_lshrrev_b32_e32 v49, 3, v42
	v_sub_u32_e32 v51, 29, v52
	v_and_b32_e32 v50, 7, v50
	v_cmp_gt_u32_e32 vcc, 8, v42
	v_cndmask_b32_e32 v42, v49, v51, vcc
	v_cndmask_b32_e32 v46, v46, v50, vcc
	v_lshlrev_b32_e32 v49, 24, v40
	v_lshlrev_b32_e32 v46, 20, v46
	v_and_b32_e32 v49, 0x80000000, v49
	v_lshl_add_u32 v42, v42, 23, v48
	v_or3_b32 v46, v49, v42, v46
.LBB659_265:                            ;   in Loop: Header=BB659_213 Depth=1
	s_or_b64 exec, exec, s[16:17]
.LBB659_266:                            ;   in Loop: Header=BB659_213 Depth=1
	s_or_b64 exec, exec, s[14:15]
.LBB659_267:                            ;   in Loop: Header=BB659_213 Depth=1
	s_or_b64 exec, exec, s[12:13]
	v_lshrrev_b16_e32 v42, 8, v40
	v_cmp_ne_u16_e32 vcc, 0, v42
	v_mov_b32_e32 v50, 0
	s_and_saveexec_b64 s[12:13], vcc
	s_cbranch_execz .LBB659_273
; %bb.268:                              ;   in Loop: Header=BB659_213 Depth=1
	v_cmp_ne_u16_e32 vcc, s9, v42
	v_bfrev_b32_e32 v50, 1
	s_and_saveexec_b64 s[14:15], vcc
	s_cbranch_execz .LBB659_272
; %bb.269:                              ;   in Loop: Header=BB659_213 Depth=1
	v_and_b32_e32 v49, 0x7f, v42
	v_cmp_ne_u32_e32 vcc, s19, v49
	v_mov_b32_e32 v50, 0x7f800001
	s_and_saveexec_b64 s[16:17], vcc
	s_cbranch_execz .LBB659_271
; %bb.270:                              ;   in Loop: Header=BB659_213 Depth=1
	v_and_b32_e32 v52, 7, v42
	v_ffbh_u32_e32 v50, v52
	v_min_u32_e32 v62, 32, v50
	v_subrev_u32_e32 v50, 28, v62
	v_lshlrev_b64 v[50:51], v50, v[42:43]
	v_lshrrev_b32_e32 v53, 3, v49
	v_sub_u32_e32 v42, 29, v62
	v_and_b32_e32 v50, 7, v50
	v_cmp_gt_u32_e32 vcc, 8, v49
	v_cndmask_b32_e32 v42, v53, v42, vcc
	v_cndmask_b32_e32 v49, v52, v50, vcc
	v_lshlrev_b32_e32 v50, 16, v40
	v_lshlrev_b32_e32 v49, 20, v49
	v_and_b32_e32 v50, 0x80000000, v50
	v_lshl_add_u32 v42, v42, 23, v48
	v_or3_b32 v50, v50, v42, v49
.LBB659_271:                            ;   in Loop: Header=BB659_213 Depth=1
	s_or_b64 exec, exec, s[16:17]
.LBB659_272:                            ;   in Loop: Header=BB659_213 Depth=1
	s_or_b64 exec, exec, s[14:15]
.LBB659_273:                            ;   in Loop: Header=BB659_213 Depth=1
	s_or_b64 exec, exec, s[12:13]
	v_lshrrev_b32_e32 v42, 16, v40
	v_cmp_ne_u16_sdwa s[14:15], v42, v47 src0_sel:BYTE_0 src1_sel:DWORD
	s_and_saveexec_b64 s[12:13], s[14:15]
	s_cbranch_execz .LBB659_279
; %bb.274:                              ;   in Loop: Header=BB659_213 Depth=1
	v_cmp_ne_u16_sdwa s[16:17], v42, s9 src0_sel:BYTE_0 src1_sel:DWORD
	v_bfrev_b32_e32 v44, 1
	s_and_saveexec_b64 s[14:15], s[16:17]
	s_cbranch_execz .LBB659_278
; %bb.275:                              ;   in Loop: Header=BB659_213 Depth=1
	v_bfe_u32 v49, v40, 16, 7
	v_cmp_ne_u32_e32 vcc, s19, v49
	v_mov_b32_e32 v44, 0x7f800001
	s_and_saveexec_b64 s[16:17], vcc
	s_cbranch_execz .LBB659_277
; %bb.276:                              ;   in Loop: Header=BB659_213 Depth=1
	v_and_b32_e32 v44, 7, v42
	v_ffbh_u32_e32 v52, v44
	v_min_u32_e32 v62, 32, v52
	v_subrev_u32_e32 v52, 28, v62
	v_lshlrev_b64 v[52:53], v52, v[42:43]
	v_lshrrev_b32_e32 v51, 3, v49
	v_sub_u32_e32 v53, 29, v62
	v_and_b32_e32 v52, 7, v52
	v_cmp_gt_u32_e32 vcc, 8, v49
	v_cndmask_b32_e32 v49, v51, v53, vcc
	v_cndmask_b32_e32 v44, v44, v52, vcc
	v_lshlrev_b32_e32 v42, 24, v42
	v_lshlrev_b32_e32 v44, 20, v44
	v_and_b32_e32 v42, 0x80000000, v42
	v_lshl_add_u32 v49, v49, 23, v48
	v_or3_b32 v44, v42, v49, v44
.LBB659_277:                            ;   in Loop: Header=BB659_213 Depth=1
	s_or_b64 exec, exec, s[16:17]
.LBB659_278:                            ;   in Loop: Header=BB659_213 Depth=1
	s_or_b64 exec, exec, s[14:15]
.LBB659_279:                            ;   in Loop: Header=BB659_213 Depth=1
	s_or_b64 exec, exec, s[12:13]
	v_cmp_lt_u32_e32 vcc, s20, v40
	v_mov_b32_e32 v51, 0
	v_mov_b32_e32 v52, 0
	s_and_saveexec_b64 s[12:13], vcc
	s_cbranch_execz .LBB659_285
; %bb.280:                              ;   in Loop: Header=BB659_213 Depth=1
	v_lshrrev_b32_e32 v42, 24, v40
	v_cmp_ne_u32_e32 vcc, s9, v42
	v_bfrev_b32_e32 v52, 1
	s_and_saveexec_b64 s[14:15], vcc
	s_cbranch_execz .LBB659_284
; %bb.281:                              ;   in Loop: Header=BB659_213 Depth=1
	v_bfe_u32 v40, v40, 24, 7
	v_cmp_ne_u32_e32 vcc, s19, v40
	v_mov_b32_e32 v52, 0x7f800001
	s_and_saveexec_b64 s[16:17], vcc
	s_cbranch_execz .LBB659_283
; %bb.282:                              ;   in Loop: Header=BB659_213 Depth=1
	v_and_b32_e32 v49, 7, v42
	v_ffbh_u32_e32 v52, v49
	v_min_u32_e32 v63, 32, v52
	v_subrev_u32_e32 v52, 28, v63
	v_lshlrev_b64 v[52:53], v52, v[42:43]
	v_lshrrev_b32_e32 v62, 3, v40
	v_sub_u32_e32 v53, 29, v63
	v_and_b32_e32 v52, 7, v52
	v_cmp_gt_u32_e32 vcc, 8, v40
	v_cndmask_b32_e32 v40, v62, v53, vcc
	v_cndmask_b32_e32 v49, v49, v52, vcc
	v_lshlrev_b32_e32 v42, 24, v42
	v_lshlrev_b32_e32 v49, 20, v49
	v_and_b32_e32 v42, 0x80000000, v42
	v_lshl_add_u32 v40, v40, 23, v48
	v_or3_b32 v52, v42, v40, v49
.LBB659_283:                            ;   in Loop: Header=BB659_213 Depth=1
	s_or_b64 exec, exec, s[16:17]
.LBB659_284:                            ;   in Loop: Header=BB659_213 Depth=1
	s_or_b64 exec, exec, s[14:15]
.LBB659_285:                            ;   in Loop: Header=BB659_213 Depth=1
	s_or_b64 exec, exec, s[12:13]
	s_waitcnt vmcnt(0)
	v_cmp_ne_u16_sdwa s[14:15], v38, v47 src0_sel:BYTE_0 src1_sel:DWORD
	s_and_saveexec_b64 s[12:13], s[14:15]
	s_cbranch_execz .LBB659_291
; %bb.286:                              ;   in Loop: Header=BB659_213 Depth=1
	v_cmp_ne_u16_sdwa s[16:17], v38, s9 src0_sel:BYTE_0 src1_sel:DWORD
	v_bfrev_b32_e32 v51, 1
	s_and_saveexec_b64 s[14:15], s[16:17]
	s_cbranch_execz .LBB659_290
; %bb.287:                              ;   in Loop: Header=BB659_213 Depth=1
	v_and_b32_e32 v40, 0x7f, v38
	v_cmp_ne_u32_e32 vcc, s19, v40
	v_mov_b32_e32 v51, 0x7f800001
	s_and_saveexec_b64 s[16:17], vcc
	s_cbranch_execz .LBB659_289
; %bb.288:                              ;   in Loop: Header=BB659_213 Depth=1
	v_and_b32_e32 v42, 7, v38
	v_ffbh_u32_e32 v51, v42
	v_min_u32_e32 v51, 32, v51
	v_subrev_u32_e32 v53, 28, v51
	v_lshlrev_b64 v[62:63], v53, v[38:39]
	v_lshrrev_b32_e32 v49, 3, v40
	v_sub_u32_e32 v51, 29, v51
	v_and_b32_e32 v53, 7, v62
	v_cmp_gt_u32_e32 vcc, 8, v40
	v_cndmask_b32_e32 v40, v49, v51, vcc
	v_cndmask_b32_e32 v42, v42, v53, vcc
	v_lshlrev_b32_e32 v49, 24, v38
	v_lshlrev_b32_e32 v42, 20, v42
	v_and_b32_e32 v49, 0x80000000, v49
	v_lshl_add_u32 v40, v40, 23, v48
	v_or3_b32 v51, v49, v40, v42
.LBB659_289:                            ;   in Loop: Header=BB659_213 Depth=1
	s_or_b64 exec, exec, s[16:17]
.LBB659_290:                            ;   in Loop: Header=BB659_213 Depth=1
	s_or_b64 exec, exec, s[14:15]
.LBB659_291:                            ;   in Loop: Header=BB659_213 Depth=1
	s_or_b64 exec, exec, s[12:13]
	v_lshrrev_b16_e32 v40, 8, v38
	v_cmp_ne_u16_e32 vcc, 0, v40
	v_mov_b32_e32 v53, 0
	v_mov_b32_e32 v62, 0
	s_and_saveexec_b64 s[12:13], vcc
	s_cbranch_execz .LBB659_297
; %bb.292:                              ;   in Loop: Header=BB659_213 Depth=1
	v_cmp_ne_u16_e32 vcc, s9, v40
	v_bfrev_b32_e32 v62, 1
	s_and_saveexec_b64 s[14:15], vcc
	s_cbranch_execz .LBB659_296
; %bb.293:                              ;   in Loop: Header=BB659_213 Depth=1
	v_and_b32_e32 v42, 0x7f, v40
	v_cmp_ne_u32_e32 vcc, s19, v42
	v_mov_b32_e32 v62, 0x7f800001
	s_and_saveexec_b64 s[16:17], vcc
	s_cbranch_execz .LBB659_295
; %bb.294:                              ;   in Loop: Header=BB659_213 Depth=1
	v_and_b32_e32 v49, 7, v40
	v_ffbh_u32_e32 v62, v49
	v_min_u32_e32 v65, 32, v62
	v_subrev_u32_e32 v62, 28, v65
	v_lshlrev_b64 v[62:63], v62, v[40:41]
	v_lshrrev_b32_e32 v64, 3, v42
	v_sub_u32_e32 v40, 29, v65
	v_and_b32_e32 v62, 7, v62
	v_cmp_gt_u32_e32 vcc, 8, v42
	v_cndmask_b32_e32 v40, v64, v40, vcc
	v_cndmask_b32_e32 v42, v49, v62, vcc
	v_lshlrev_b32_e32 v49, 16, v38
	v_lshlrev_b32_e32 v42, 20, v42
	v_and_b32_e32 v49, 0x80000000, v49
	v_lshl_add_u32 v40, v40, 23, v48
	v_or3_b32 v62, v49, v40, v42
.LBB659_295:                            ;   in Loop: Header=BB659_213 Depth=1
	s_or_b64 exec, exec, s[16:17]
.LBB659_296:                            ;   in Loop: Header=BB659_213 Depth=1
	s_or_b64 exec, exec, s[14:15]
.LBB659_297:                            ;   in Loop: Header=BB659_213 Depth=1
	s_or_b64 exec, exec, s[12:13]
	v_lshrrev_b32_e32 v40, 16, v38
	v_cmp_ne_u16_sdwa s[14:15], v40, v47 src0_sel:BYTE_0 src1_sel:DWORD
	s_and_saveexec_b64 s[12:13], s[14:15]
	s_cbranch_execz .LBB659_303
; %bb.298:                              ;   in Loop: Header=BB659_213 Depth=1
	v_cmp_ne_u16_sdwa s[16:17], v40, s9 src0_sel:BYTE_0 src1_sel:DWORD
	v_bfrev_b32_e32 v53, 1
	s_and_saveexec_b64 s[14:15], s[16:17]
	s_cbranch_execz .LBB659_302
; %bb.299:                              ;   in Loop: Header=BB659_213 Depth=1
	v_bfe_u32 v42, v38, 16, 7
	v_cmp_ne_u32_e32 vcc, s19, v42
	v_mov_b32_e32 v53, 0x7f800001
	s_and_saveexec_b64 s[16:17], vcc
	s_cbranch_execz .LBB659_301
; %bb.300:                              ;   in Loop: Header=BB659_213 Depth=1
	v_and_b32_e32 v49, 7, v40
	v_ffbh_u32_e32 v63, v49
	v_min_u32_e32 v63, 32, v63
	v_subrev_u32_e32 v64, 28, v63
	v_lshlrev_b64 v[64:65], v64, v[40:41]
	v_lshrrev_b32_e32 v53, 3, v42
	v_sub_u32_e32 v63, 29, v63
	v_and_b32_e32 v64, 7, v64
	v_cmp_gt_u32_e32 vcc, 8, v42
	v_cndmask_b32_e32 v42, v53, v63, vcc
	v_cndmask_b32_e32 v49, v49, v64, vcc
	v_lshlrev_b32_e32 v40, 24, v40
	v_lshlrev_b32_e32 v49, 20, v49
	v_and_b32_e32 v40, 0x80000000, v40
	v_lshl_add_u32 v42, v42, 23, v48
	v_or3_b32 v53, v40, v42, v49
.LBB659_301:                            ;   in Loop: Header=BB659_213 Depth=1
	s_or_b64 exec, exec, s[16:17]
.LBB659_302:                            ;   in Loop: Header=BB659_213 Depth=1
	s_or_b64 exec, exec, s[14:15]
.LBB659_303:                            ;   in Loop: Header=BB659_213 Depth=1
	s_or_b64 exec, exec, s[12:13]
	v_cmp_lt_u32_e32 vcc, s20, v38
	v_mov_b32_e32 v49, 0
	v_mov_b32_e32 v63, 0
	s_and_saveexec_b64 s[12:13], vcc
	s_cbranch_execz .LBB659_309
; %bb.304:                              ;   in Loop: Header=BB659_213 Depth=1
	v_lshrrev_b32_e32 v40, 24, v38
	v_cmp_ne_u32_e32 vcc, s9, v40
	v_bfrev_b32_e32 v63, 1
	s_and_saveexec_b64 s[14:15], vcc
	s_cbranch_execz .LBB659_308
; %bb.305:                              ;   in Loop: Header=BB659_213 Depth=1
	v_bfe_u32 v38, v38, 24, 7
	v_cmp_ne_u32_e32 vcc, s19, v38
	v_mov_b32_e32 v63, 0x7f800001
	s_and_saveexec_b64 s[16:17], vcc
	s_cbranch_execz .LBB659_307
; %bb.306:                              ;   in Loop: Header=BB659_213 Depth=1
	v_and_b32_e32 v42, 7, v40
	v_ffbh_u32_e32 v64, v42
	v_min_u32_e32 v66, 32, v64
	v_subrev_u32_e32 v64, 28, v66
	v_lshlrev_b64 v[64:65], v64, v[40:41]
	v_lshrrev_b32_e32 v63, 3, v38
	v_sub_u32_e32 v65, 29, v66
	v_and_b32_e32 v64, 7, v64
	v_cmp_gt_u32_e32 vcc, 8, v38
	v_cndmask_b32_e32 v38, v63, v65, vcc
	v_cndmask_b32_e32 v42, v42, v64, vcc
	v_lshlrev_b32_e32 v40, 24, v40
	v_lshlrev_b32_e32 v42, 20, v42
	v_and_b32_e32 v40, 0x80000000, v40
	v_lshl_add_u32 v38, v38, 23, v48
	v_or3_b32 v63, v40, v38, v42
.LBB659_307:                            ;   in Loop: Header=BB659_213 Depth=1
	s_or_b64 exec, exec, s[16:17]
.LBB659_308:                            ;   in Loop: Header=BB659_213 Depth=1
	s_or_b64 exec, exec, s[14:15]
.LBB659_309:                            ;   in Loop: Header=BB659_213 Depth=1
	s_or_b64 exec, exec, s[12:13]
	v_cvt_pkrtz_f16_f32 v65, v44, v52
	buffer_load_dword v44, v61, s[0:3], 0 offen
	buffer_load_dword v42, v61, s[0:3], 0 offen offset:4
	buffer_load_dword v40, v61, s[0:3], 0 offen offset:8
	;; [unrolled: 1-line block ×3, first 2 shown]
	v_cvt_pkrtz_f16_f32 v64, v46, v50
	v_cvt_pkrtz_f16_f32 v50, v51, v62
	;; [unrolled: 1-line block ×3, first 2 shown]
	v_mfma_f32_16x16x16f16 v[34:37], v[64:65], v[6:7], v[34:37]
	s_waitcnt vmcnt(3)
	v_cmp_ne_u16_sdwa s[14:15], v44, v47 src0_sel:BYTE_0 src1_sel:DWORD
	v_mfma_f32_16x16x16f16 v[34:37], v[50:51], v[8:9], v[34:37]
	s_and_saveexec_b64 s[12:13], s[14:15]
	s_cbranch_execz .LBB659_315
; %bb.310:                              ;   in Loop: Header=BB659_213 Depth=1
	v_cmp_ne_u16_sdwa s[16:17], v44, s9 src0_sel:BYTE_0 src1_sel:DWORD
	v_bfrev_b32_e32 v49, 1
	s_and_saveexec_b64 s[14:15], s[16:17]
	s_cbranch_execz .LBB659_314
; %bb.311:                              ;   in Loop: Header=BB659_213 Depth=1
	v_and_b32_e32 v46, 0x7f, v44
	v_cmp_ne_u32_e32 vcc, s19, v46
	v_mov_b32_e32 v49, 0x7f800001
	s_and_saveexec_b64 s[16:17], vcc
	s_cbranch_execz .LBB659_313
; %bb.312:                              ;   in Loop: Header=BB659_213 Depth=1
	v_and_b32_e32 v49, 7, v44
	v_ffbh_u32_e32 v50, v49
	v_min_u32_e32 v53, 32, v50
	v_subrev_u32_e32 v50, 28, v53
	v_lshlrev_b64 v[50:51], v50, v[44:45]
	v_lshrrev_b32_e32 v52, 3, v46
	v_sub_u32_e32 v51, 29, v53
	v_and_b32_e32 v50, 7, v50
	v_cmp_gt_u32_e32 vcc, 8, v46
	v_cndmask_b32_e32 v46, v52, v51, vcc
	v_cndmask_b32_e32 v49, v49, v50, vcc
	v_lshlrev_b32_e32 v50, 24, v44
	v_lshlrev_b32_e32 v49, 20, v49
	v_and_b32_e32 v50, 0x80000000, v50
	v_lshl_add_u32 v46, v46, 23, v48
	v_or3_b32 v49, v50, v46, v49
.LBB659_313:                            ;   in Loop: Header=BB659_213 Depth=1
	s_or_b64 exec, exec, s[16:17]
.LBB659_314:                            ;   in Loop: Header=BB659_213 Depth=1
	s_or_b64 exec, exec, s[14:15]
.LBB659_315:                            ;   in Loop: Header=BB659_213 Depth=1
	s_or_b64 exec, exec, s[12:13]
	v_lshrrev_b16_e32 v46, 8, v44
	v_cmp_ne_u16_e32 vcc, 0, v46
	v_mov_b32_e32 v50, 0
	v_mov_b32_e32 v51, 0
	s_and_saveexec_b64 s[12:13], vcc
	s_cbranch_execz .LBB659_321
; %bb.316:                              ;   in Loop: Header=BB659_213 Depth=1
	v_cmp_ne_u16_e32 vcc, s9, v46
	v_bfrev_b32_e32 v51, 1
	s_and_saveexec_b64 s[14:15], vcc
	s_cbranch_execz .LBB659_320
; %bb.317:                              ;   in Loop: Header=BB659_213 Depth=1
	v_and_b32_e32 v52, 0x7f, v46
	v_cmp_ne_u32_e32 vcc, s19, v52
	v_mov_b32_e32 v51, 0x7f800001
	s_and_saveexec_b64 s[16:17], vcc
	s_cbranch_execz .LBB659_319
; %bb.318:                              ;   in Loop: Header=BB659_213 Depth=1
	v_and_b32_e32 v51, 7, v46
	v_ffbh_u32_e32 v61, v51
	v_min_u32_e32 v61, 32, v61
	v_subrev_u32_e32 v62, 28, v61
	v_lshlrev_b64 v[62:63], v62, v[46:47]
	v_lshrrev_b32_e32 v53, 3, v52
	v_sub_u32_e32 v46, 29, v61
	v_and_b32_e32 v61, 7, v62
	v_cmp_gt_u32_e32 vcc, 8, v52
	v_cndmask_b32_e32 v46, v53, v46, vcc
	v_cndmask_b32_e32 v51, v51, v61, vcc
	v_lshlrev_b32_e32 v52, 16, v44
	v_lshlrev_b32_e32 v51, 20, v51
	v_and_b32_e32 v52, 0x80000000, v52
	v_lshl_add_u32 v46, v46, 23, v48
	v_or3_b32 v51, v52, v46, v51
.LBB659_319:                            ;   in Loop: Header=BB659_213 Depth=1
	s_or_b64 exec, exec, s[16:17]
.LBB659_320:                            ;   in Loop: Header=BB659_213 Depth=1
	s_or_b64 exec, exec, s[14:15]
.LBB659_321:                            ;   in Loop: Header=BB659_213 Depth=1
	s_or_b64 exec, exec, s[12:13]
	v_lshrrev_b32_e32 v46, 16, v44
	v_cmp_ne_u16_sdwa s[14:15], v46, v47 src0_sel:BYTE_0 src1_sel:DWORD
	s_and_saveexec_b64 s[12:13], s[14:15]
	s_cbranch_execz .LBB659_327
; %bb.322:                              ;   in Loop: Header=BB659_213 Depth=1
	v_cmp_ne_u16_sdwa s[16:17], v46, s9 src0_sel:BYTE_0 src1_sel:DWORD
	v_bfrev_b32_e32 v50, 1
	s_and_saveexec_b64 s[14:15], s[16:17]
	s_cbranch_execz .LBB659_326
; %bb.323:                              ;   in Loop: Header=BB659_213 Depth=1
	v_bfe_u32 v52, v44, 16, 7
	v_cmp_ne_u32_e32 vcc, s19, v52
	v_mov_b32_e32 v50, 0x7f800001
	s_and_saveexec_b64 s[16:17], vcc
	s_cbranch_execz .LBB659_325
; %bb.324:                              ;   in Loop: Header=BB659_213 Depth=1
	v_and_b32_e32 v50, 7, v46
	v_ffbh_u32_e32 v61, v50
	v_min_u32_e32 v61, 32, v61
	v_subrev_u32_e32 v62, 28, v61
	v_lshlrev_b64 v[62:63], v62, v[46:47]
	v_lshrrev_b32_e32 v53, 3, v52
	v_sub_u32_e32 v61, 29, v61
	v_and_b32_e32 v62, 7, v62
	v_cmp_gt_u32_e32 vcc, 8, v52
	v_cndmask_b32_e32 v52, v53, v61, vcc
	v_cndmask_b32_e32 v50, v50, v62, vcc
	v_lshlrev_b32_e32 v46, 24, v46
	v_lshlrev_b32_e32 v50, 20, v50
	v_and_b32_e32 v46, 0x80000000, v46
	v_lshl_add_u32 v52, v52, 23, v48
	v_or3_b32 v50, v46, v52, v50
.LBB659_325:                            ;   in Loop: Header=BB659_213 Depth=1
	s_or_b64 exec, exec, s[16:17]
.LBB659_326:                            ;   in Loop: Header=BB659_213 Depth=1
	s_or_b64 exec, exec, s[14:15]
.LBB659_327:                            ;   in Loop: Header=BB659_213 Depth=1
	s_or_b64 exec, exec, s[12:13]
	v_cmp_lt_u32_e32 vcc, s20, v44
	v_mov_b32_e32 v52, 0
	v_mov_b32_e32 v53, 0
	s_and_saveexec_b64 s[12:13], vcc
	s_cbranch_execz .LBB659_333
; %bb.328:                              ;   in Loop: Header=BB659_213 Depth=1
	v_lshrrev_b32_e32 v46, 24, v44
	v_cmp_ne_u32_e32 vcc, s9, v46
	v_bfrev_b32_e32 v53, 1
	s_and_saveexec_b64 s[14:15], vcc
	s_cbranch_execz .LBB659_332
; %bb.329:                              ;   in Loop: Header=BB659_213 Depth=1
	v_bfe_u32 v44, v44, 24, 7
	v_cmp_ne_u32_e32 vcc, s19, v44
	v_mov_b32_e32 v53, 0x7f800001
	s_and_saveexec_b64 s[16:17], vcc
	s_cbranch_execz .LBB659_331
; %bb.330:                              ;   in Loop: Header=BB659_213 Depth=1
	v_and_b32_e32 v53, 7, v46
	v_ffbh_u32_e32 v62, v53
	v_min_u32_e32 v64, 32, v62
	v_subrev_u32_e32 v62, 28, v64
	v_lshlrev_b64 v[62:63], v62, v[46:47]
	v_lshrrev_b32_e32 v61, 3, v44
	v_sub_u32_e32 v63, 29, v64
	v_and_b32_e32 v62, 7, v62
	v_cmp_gt_u32_e32 vcc, 8, v44
	v_cndmask_b32_e32 v44, v61, v63, vcc
	v_cndmask_b32_e32 v53, v53, v62, vcc
	v_lshlrev_b32_e32 v46, 24, v46
	v_lshlrev_b32_e32 v53, 20, v53
	v_and_b32_e32 v46, 0x80000000, v46
	v_lshl_add_u32 v44, v44, 23, v48
	v_or3_b32 v53, v46, v44, v53
.LBB659_331:                            ;   in Loop: Header=BB659_213 Depth=1
	s_or_b64 exec, exec, s[16:17]
.LBB659_332:                            ;   in Loop: Header=BB659_213 Depth=1
	s_or_b64 exec, exec, s[14:15]
.LBB659_333:                            ;   in Loop: Header=BB659_213 Depth=1
	s_or_b64 exec, exec, s[12:13]
	s_waitcnt vmcnt(2)
	v_cmp_ne_u16_sdwa s[14:15], v42, v47 src0_sel:BYTE_0 src1_sel:DWORD
	s_and_saveexec_b64 s[12:13], s[14:15]
	s_cbranch_execz .LBB659_339
; %bb.334:                              ;   in Loop: Header=BB659_213 Depth=1
	v_cmp_ne_u16_sdwa s[16:17], v42, s9 src0_sel:BYTE_0 src1_sel:DWORD
	v_bfrev_b32_e32 v52, 1
	s_and_saveexec_b64 s[14:15], s[16:17]
	s_cbranch_execz .LBB659_338
; %bb.335:                              ;   in Loop: Header=BB659_213 Depth=1
	v_and_b32_e32 v44, 0x7f, v42
	v_cmp_ne_u32_e32 vcc, s19, v44
	v_mov_b32_e32 v52, 0x7f800001
	s_and_saveexec_b64 s[16:17], vcc
	s_cbranch_execz .LBB659_337
; %bb.336:                              ;   in Loop: Header=BB659_213 Depth=1
	v_and_b32_e32 v46, 7, v42
	v_ffbh_u32_e32 v61, v46
	v_min_u32_e32 v61, 32, v61
	v_subrev_u32_e32 v62, 28, v61
	v_lshlrev_b64 v[62:63], v62, v[42:43]
	v_lshrrev_b32_e32 v52, 3, v44
	v_sub_u32_e32 v61, 29, v61
	v_and_b32_e32 v62, 7, v62
	v_cmp_gt_u32_e32 vcc, 8, v44
	v_cndmask_b32_e32 v44, v52, v61, vcc
	v_cndmask_b32_e32 v46, v46, v62, vcc
	v_lshlrev_b32_e32 v52, 24, v42
	v_lshlrev_b32_e32 v46, 20, v46
	v_and_b32_e32 v52, 0x80000000, v52
	v_lshl_add_u32 v44, v44, 23, v48
	v_or3_b32 v52, v52, v44, v46
.LBB659_337:                            ;   in Loop: Header=BB659_213 Depth=1
	s_or_b64 exec, exec, s[16:17]
.LBB659_338:                            ;   in Loop: Header=BB659_213 Depth=1
	s_or_b64 exec, exec, s[14:15]
.LBB659_339:                            ;   in Loop: Header=BB659_213 Depth=1
	s_or_b64 exec, exec, s[12:13]
	v_lshrrev_b16_e32 v44, 8, v42
	v_cmp_ne_u16_e32 vcc, 0, v44
	v_mov_b32_e32 v61, 0
	v_mov_b32_e32 v62, 0
	s_and_saveexec_b64 s[12:13], vcc
	s_cbranch_execz .LBB659_345
; %bb.340:                              ;   in Loop: Header=BB659_213 Depth=1
	v_cmp_ne_u16_e32 vcc, s9, v44
	v_bfrev_b32_e32 v62, 1
	s_and_saveexec_b64 s[14:15], vcc
	s_cbranch_execz .LBB659_344
; %bb.341:                              ;   in Loop: Header=BB659_213 Depth=1
	v_and_b32_e32 v46, 0x7f, v44
	v_cmp_ne_u32_e32 vcc, s19, v46
	v_mov_b32_e32 v62, 0x7f800001
	s_and_saveexec_b64 s[16:17], vcc
	s_cbranch_execz .LBB659_343
; %bb.342:                              ;   in Loop: Header=BB659_213 Depth=1
	v_and_b32_e32 v64, 7, v44
	v_ffbh_u32_e32 v62, v64
	v_min_u32_e32 v66, 32, v62
	v_subrev_u32_e32 v62, 28, v66
	v_lshlrev_b64 v[62:63], v62, v[44:45]
	v_lshrrev_b32_e32 v65, 3, v46
	v_sub_u32_e32 v44, 29, v66
	v_and_b32_e32 v62, 7, v62
	v_cmp_gt_u32_e32 vcc, 8, v46
	v_cndmask_b32_e32 v44, v65, v44, vcc
	v_cndmask_b32_e32 v46, v64, v62, vcc
	v_lshlrev_b32_e32 v62, 16, v42
	v_lshlrev_b32_e32 v46, 20, v46
	v_and_b32_e32 v62, 0x80000000, v62
	v_lshl_add_u32 v44, v44, 23, v48
	v_or3_b32 v62, v62, v44, v46
.LBB659_343:                            ;   in Loop: Header=BB659_213 Depth=1
	s_or_b64 exec, exec, s[16:17]
.LBB659_344:                            ;   in Loop: Header=BB659_213 Depth=1
	s_or_b64 exec, exec, s[14:15]
.LBB659_345:                            ;   in Loop: Header=BB659_213 Depth=1
	s_or_b64 exec, exec, s[12:13]
	v_lshrrev_b32_e32 v44, 16, v42
	v_cmp_ne_u16_sdwa s[14:15], v44, v47 src0_sel:BYTE_0 src1_sel:DWORD
	s_and_saveexec_b64 s[12:13], s[14:15]
	s_cbranch_execz .LBB659_351
; %bb.346:                              ;   in Loop: Header=BB659_213 Depth=1
	v_cmp_ne_u16_sdwa s[16:17], v44, s9 src0_sel:BYTE_0 src1_sel:DWORD
	v_bfrev_b32_e32 v61, 1
	s_and_saveexec_b64 s[14:15], s[16:17]
	s_cbranch_execz .LBB659_350
; %bb.347:                              ;   in Loop: Header=BB659_213 Depth=1
	v_bfe_u32 v46, v42, 16, 7
	v_cmp_ne_u32_e32 vcc, s19, v46
	v_mov_b32_e32 v61, 0x7f800001
	s_and_saveexec_b64 s[16:17], vcc
	s_cbranch_execz .LBB659_349
; %bb.348:                              ;   in Loop: Header=BB659_213 Depth=1
	v_and_b32_e32 v61, 7, v44
	v_ffbh_u32_e32 v64, v61
	v_min_u32_e32 v66, 32, v64
	v_subrev_u32_e32 v64, 28, v66
	v_lshlrev_b64 v[64:65], v64, v[44:45]
	v_lshrrev_b32_e32 v63, 3, v46
	v_sub_u32_e32 v65, 29, v66
	v_and_b32_e32 v64, 7, v64
	v_cmp_gt_u32_e32 vcc, 8, v46
	v_cndmask_b32_e32 v46, v63, v65, vcc
	v_cndmask_b32_e32 v61, v61, v64, vcc
	v_lshlrev_b32_e32 v44, 24, v44
	v_lshlrev_b32_e32 v61, 20, v61
	v_and_b32_e32 v44, 0x80000000, v44
	v_lshl_add_u32 v46, v46, 23, v48
	v_or3_b32 v61, v44, v46, v61
.LBB659_349:                            ;   in Loop: Header=BB659_213 Depth=1
	s_or_b64 exec, exec, s[16:17]
.LBB659_350:                            ;   in Loop: Header=BB659_213 Depth=1
	s_or_b64 exec, exec, s[14:15]
.LBB659_351:                            ;   in Loop: Header=BB659_213 Depth=1
	s_or_b64 exec, exec, s[12:13]
	v_cmp_lt_u32_e32 vcc, s20, v42
	v_mov_b32_e32 v46, 0
	v_mov_b32_e32 v63, 0
	s_and_saveexec_b64 s[12:13], vcc
	s_cbranch_execz .LBB659_357
; %bb.352:                              ;   in Loop: Header=BB659_213 Depth=1
	v_lshrrev_b32_e32 v44, 24, v42
	v_cmp_ne_u32_e32 vcc, s9, v44
	v_bfrev_b32_e32 v63, 1
	s_and_saveexec_b64 s[14:15], vcc
	s_cbranch_execz .LBB659_356
; %bb.353:                              ;   in Loop: Header=BB659_213 Depth=1
	v_bfe_u32 v42, v42, 24, 7
	v_cmp_ne_u32_e32 vcc, s19, v42
	v_mov_b32_e32 v63, 0x7f800001
	s_and_saveexec_b64 s[16:17], vcc
	s_cbranch_execz .LBB659_355
; %bb.354:                              ;   in Loop: Header=BB659_213 Depth=1
	v_and_b32_e32 v63, 7, v44
	v_ffbh_u32_e32 v64, v63
	v_min_u32_e32 v67, 32, v64
	v_subrev_u32_e32 v64, 28, v67
	v_lshlrev_b64 v[64:65], v64, v[44:45]
	v_lshrrev_b32_e32 v66, 3, v42
	v_sub_u32_e32 v65, 29, v67
	v_and_b32_e32 v64, 7, v64
	v_cmp_gt_u32_e32 vcc, 8, v42
	v_cndmask_b32_e32 v42, v66, v65, vcc
	v_cndmask_b32_e32 v63, v63, v64, vcc
	v_lshlrev_b32_e32 v44, 24, v44
	v_lshlrev_b32_e32 v63, 20, v63
	v_and_b32_e32 v44, 0x80000000, v44
	v_lshl_add_u32 v42, v42, 23, v48
	v_or3_b32 v63, v44, v42, v63
.LBB659_355:                            ;   in Loop: Header=BB659_213 Depth=1
	s_or_b64 exec, exec, s[16:17]
.LBB659_356:                            ;   in Loop: Header=BB659_213 Depth=1
	s_or_b64 exec, exec, s[14:15]
.LBB659_357:                            ;   in Loop: Header=BB659_213 Depth=1
	s_or_b64 exec, exec, s[12:13]
	v_cvt_pkrtz_f16_f32 v64, v49, v51
	v_cvt_pkrtz_f16_f32 v65, v50, v53
	;; [unrolled: 1-line block ×4, first 2 shown]
	s_waitcnt vmcnt(1)
	v_cmp_ne_u16_sdwa s[14:15], v40, v47 src0_sel:BYTE_0 src1_sel:DWORD
	v_mfma_f32_16x16x16f16 v[34:37], v[64:65], v[10:11], v[34:37]
	v_mfma_f32_16x16x16f16 v[34:37], v[50:51], v[12:13], v[34:37]
	s_and_saveexec_b64 s[12:13], s[14:15]
	s_cbranch_execz .LBB659_363
; %bb.358:                              ;   in Loop: Header=BB659_213 Depth=1
	v_cmp_ne_u16_sdwa s[16:17], v40, s9 src0_sel:BYTE_0 src1_sel:DWORD
	v_bfrev_b32_e32 v46, 1
	s_and_saveexec_b64 s[14:15], s[16:17]
	s_cbranch_execz .LBB659_362
; %bb.359:                              ;   in Loop: Header=BB659_213 Depth=1
	v_and_b32_e32 v42, 0x7f, v40
	v_cmp_ne_u32_e32 vcc, s19, v42
	v_mov_b32_e32 v46, 0x7f800001
	s_and_saveexec_b64 s[16:17], vcc
	s_cbranch_execz .LBB659_361
; %bb.360:                              ;   in Loop: Header=BB659_213 Depth=1
	v_and_b32_e32 v44, 7, v40
	v_ffbh_u32_e32 v49, v44
	v_min_u32_e32 v49, 32, v49
	v_subrev_u32_e32 v50, 28, v49
	v_lshlrev_b64 v[50:51], v50, v[40:41]
	v_lshrrev_b32_e32 v46, 3, v42
	v_sub_u32_e32 v49, 29, v49
	v_and_b32_e32 v50, 7, v50
	v_cmp_gt_u32_e32 vcc, 8, v42
	v_cndmask_b32_e32 v42, v46, v49, vcc
	v_cndmask_b32_e32 v44, v44, v50, vcc
	v_lshlrev_b32_e32 v46, 24, v40
	v_lshlrev_b32_e32 v44, 20, v44
	v_and_b32_e32 v46, 0x80000000, v46
	v_lshl_add_u32 v42, v42, 23, v48
	v_or3_b32 v46, v46, v42, v44
.LBB659_361:                            ;   in Loop: Header=BB659_213 Depth=1
	s_or_b64 exec, exec, s[16:17]
.LBB659_362:                            ;   in Loop: Header=BB659_213 Depth=1
	s_or_b64 exec, exec, s[14:15]
.LBB659_363:                            ;   in Loop: Header=BB659_213 Depth=1
	s_or_b64 exec, exec, s[12:13]
	v_lshrrev_b16_e32 v42, 8, v40
	v_cmp_ne_u16_e32 vcc, 0, v42
	v_mov_b32_e32 v44, 0
	v_mov_b32_e32 v50, 0
	s_and_saveexec_b64 s[12:13], vcc
	s_cbranch_execz .LBB659_369
; %bb.364:                              ;   in Loop: Header=BB659_213 Depth=1
	v_cmp_ne_u16_e32 vcc, s9, v42
	v_bfrev_b32_e32 v50, 1
	s_and_saveexec_b64 s[14:15], vcc
	s_cbranch_execz .LBB659_368
; %bb.365:                              ;   in Loop: Header=BB659_213 Depth=1
	v_and_b32_e32 v49, 0x7f, v42
	v_cmp_ne_u32_e32 vcc, s19, v49
	v_mov_b32_e32 v50, 0x7f800001
	s_and_saveexec_b64 s[16:17], vcc
	s_cbranch_execz .LBB659_367
; %bb.366:                              ;   in Loop: Header=BB659_213 Depth=1
	v_and_b32_e32 v52, 7, v42
	v_ffbh_u32_e32 v50, v52
	v_min_u32_e32 v61, 32, v50
	v_subrev_u32_e32 v50, 28, v61
	v_lshlrev_b64 v[50:51], v50, v[42:43]
	v_lshrrev_b32_e32 v53, 3, v49
	v_sub_u32_e32 v42, 29, v61
	v_and_b32_e32 v50, 7, v50
	v_cmp_gt_u32_e32 vcc, 8, v49
	v_cndmask_b32_e32 v42, v53, v42, vcc
	v_cndmask_b32_e32 v49, v52, v50, vcc
	v_lshlrev_b32_e32 v50, 16, v40
	v_lshlrev_b32_e32 v49, 20, v49
	v_and_b32_e32 v50, 0x80000000, v50
	v_lshl_add_u32 v42, v42, 23, v48
	v_or3_b32 v50, v50, v42, v49
.LBB659_367:                            ;   in Loop: Header=BB659_213 Depth=1
	s_or_b64 exec, exec, s[16:17]
.LBB659_368:                            ;   in Loop: Header=BB659_213 Depth=1
	s_or_b64 exec, exec, s[14:15]
.LBB659_369:                            ;   in Loop: Header=BB659_213 Depth=1
	s_or_b64 exec, exec, s[12:13]
	v_lshrrev_b32_e32 v42, 16, v40
	v_cmp_ne_u16_sdwa s[14:15], v42, v47 src0_sel:BYTE_0 src1_sel:DWORD
	s_and_saveexec_b64 s[12:13], s[14:15]
	s_cbranch_execz .LBB659_375
; %bb.370:                              ;   in Loop: Header=BB659_213 Depth=1
	v_cmp_ne_u16_sdwa s[16:17], v42, s9 src0_sel:BYTE_0 src1_sel:DWORD
	v_bfrev_b32_e32 v44, 1
	s_and_saveexec_b64 s[14:15], s[16:17]
	s_cbranch_execz .LBB659_374
; %bb.371:                              ;   in Loop: Header=BB659_213 Depth=1
	v_bfe_u32 v49, v40, 16, 7
	v_cmp_ne_u32_e32 vcc, s19, v49
	v_mov_b32_e32 v44, 0x7f800001
	s_and_saveexec_b64 s[16:17], vcc
	s_cbranch_execz .LBB659_373
; %bb.372:                              ;   in Loop: Header=BB659_213 Depth=1
	v_and_b32_e32 v44, 7, v42
	v_ffbh_u32_e32 v52, v44
	v_min_u32_e32 v61, 32, v52
	v_subrev_u32_e32 v52, 28, v61
	v_lshlrev_b64 v[52:53], v52, v[42:43]
	v_lshrrev_b32_e32 v51, 3, v49
	v_sub_u32_e32 v53, 29, v61
	v_and_b32_e32 v52, 7, v52
	v_cmp_gt_u32_e32 vcc, 8, v49
	v_cndmask_b32_e32 v49, v51, v53, vcc
	v_cndmask_b32_e32 v44, v44, v52, vcc
	v_lshlrev_b32_e32 v42, 24, v42
	v_lshlrev_b32_e32 v44, 20, v44
	v_and_b32_e32 v42, 0x80000000, v42
	v_lshl_add_u32 v49, v49, 23, v48
	v_or3_b32 v44, v42, v49, v44
.LBB659_373:                            ;   in Loop: Header=BB659_213 Depth=1
	s_or_b64 exec, exec, s[16:17]
.LBB659_374:                            ;   in Loop: Header=BB659_213 Depth=1
	s_or_b64 exec, exec, s[14:15]
.LBB659_375:                            ;   in Loop: Header=BB659_213 Depth=1
	s_or_b64 exec, exec, s[12:13]
	v_cmp_lt_u32_e32 vcc, s20, v40
	v_mov_b32_e32 v51, 0
	v_mov_b32_e32 v52, 0
	s_and_saveexec_b64 s[12:13], vcc
	s_cbranch_execz .LBB659_381
; %bb.376:                              ;   in Loop: Header=BB659_213 Depth=1
	v_lshrrev_b32_e32 v42, 24, v40
	v_cmp_ne_u32_e32 vcc, s9, v42
	v_bfrev_b32_e32 v52, 1
	s_and_saveexec_b64 s[14:15], vcc
	s_cbranch_execz .LBB659_380
; %bb.377:                              ;   in Loop: Header=BB659_213 Depth=1
	v_bfe_u32 v40, v40, 24, 7
	v_cmp_ne_u32_e32 vcc, s19, v40
	v_mov_b32_e32 v52, 0x7f800001
	s_and_saveexec_b64 s[16:17], vcc
	s_cbranch_execz .LBB659_379
; %bb.378:                              ;   in Loop: Header=BB659_213 Depth=1
	v_and_b32_e32 v49, 7, v42
	v_ffbh_u32_e32 v52, v49
	v_min_u32_e32 v62, 32, v52
	v_subrev_u32_e32 v52, 28, v62
	v_lshlrev_b64 v[52:53], v52, v[42:43]
	v_lshrrev_b32_e32 v61, 3, v40
	v_sub_u32_e32 v53, 29, v62
	v_and_b32_e32 v52, 7, v52
	v_cmp_gt_u32_e32 vcc, 8, v40
	v_cndmask_b32_e32 v40, v61, v53, vcc
	v_cndmask_b32_e32 v49, v49, v52, vcc
	v_lshlrev_b32_e32 v42, 24, v42
	v_lshlrev_b32_e32 v49, 20, v49
	v_and_b32_e32 v42, 0x80000000, v42
	v_lshl_add_u32 v40, v40, 23, v48
	v_or3_b32 v52, v42, v40, v49
.LBB659_379:                            ;   in Loop: Header=BB659_213 Depth=1
	s_or_b64 exec, exec, s[16:17]
.LBB659_380:                            ;   in Loop: Header=BB659_213 Depth=1
	s_or_b64 exec, exec, s[14:15]
.LBB659_381:                            ;   in Loop: Header=BB659_213 Depth=1
	s_or_b64 exec, exec, s[12:13]
	s_waitcnt vmcnt(0)
	v_cmp_ne_u16_sdwa s[14:15], v38, v47 src0_sel:BYTE_0 src1_sel:DWORD
	s_and_saveexec_b64 s[12:13], s[14:15]
	s_cbranch_execz .LBB659_387
; %bb.382:                              ;   in Loop: Header=BB659_213 Depth=1
	v_cmp_ne_u16_sdwa s[16:17], v38, s9 src0_sel:BYTE_0 src1_sel:DWORD
	v_bfrev_b32_e32 v51, 1
	s_and_saveexec_b64 s[14:15], s[16:17]
	s_cbranch_execz .LBB659_386
; %bb.383:                              ;   in Loop: Header=BB659_213 Depth=1
	v_and_b32_e32 v40, 0x7f, v38
	v_cmp_ne_u32_e32 vcc, s19, v40
	v_mov_b32_e32 v51, 0x7f800001
	s_and_saveexec_b64 s[16:17], vcc
	s_cbranch_execz .LBB659_385
; %bb.384:                              ;   in Loop: Header=BB659_213 Depth=1
	v_and_b32_e32 v42, 7, v38
	v_ffbh_u32_e32 v51, v42
	v_min_u32_e32 v51, 32, v51
	v_subrev_u32_e32 v53, 28, v51
	v_lshlrev_b64 v[62:63], v53, v[38:39]
	v_lshrrev_b32_e32 v49, 3, v40
	v_sub_u32_e32 v51, 29, v51
	v_and_b32_e32 v53, 7, v62
	v_cmp_gt_u32_e32 vcc, 8, v40
	v_cndmask_b32_e32 v40, v49, v51, vcc
	v_cndmask_b32_e32 v42, v42, v53, vcc
	v_lshlrev_b32_e32 v49, 24, v38
	v_lshlrev_b32_e32 v42, 20, v42
	v_and_b32_e32 v49, 0x80000000, v49
	v_lshl_add_u32 v40, v40, 23, v48
	v_or3_b32 v51, v49, v40, v42
.LBB659_385:                            ;   in Loop: Header=BB659_213 Depth=1
	s_or_b64 exec, exec, s[16:17]
.LBB659_386:                            ;   in Loop: Header=BB659_213 Depth=1
	s_or_b64 exec, exec, s[14:15]
.LBB659_387:                            ;   in Loop: Header=BB659_213 Depth=1
	s_or_b64 exec, exec, s[12:13]
	v_lshrrev_b16_e32 v40, 8, v38
	v_cmp_ne_u16_e32 vcc, 0, v40
	v_mov_b32_e32 v53, 0
	v_mov_b32_e32 v61, 0
	s_and_saveexec_b64 s[12:13], vcc
	s_cbranch_execz .LBB659_393
; %bb.388:                              ;   in Loop: Header=BB659_213 Depth=1
	v_cmp_ne_u16_e32 vcc, s9, v40
	v_bfrev_b32_e32 v61, 1
	s_and_saveexec_b64 s[14:15], vcc
	s_cbranch_execz .LBB659_392
; %bb.389:                              ;   in Loop: Header=BB659_213 Depth=1
	v_and_b32_e32 v42, 0x7f, v40
	v_cmp_ne_u32_e32 vcc, s19, v42
	v_mov_b32_e32 v61, 0x7f800001
	s_and_saveexec_b64 s[16:17], vcc
	s_cbranch_execz .LBB659_391
; %bb.390:                              ;   in Loop: Header=BB659_213 Depth=1
	v_and_b32_e32 v49, 7, v40
	v_ffbh_u32_e32 v62, v49
	v_min_u32_e32 v64, 32, v62
	v_subrev_u32_e32 v62, 28, v64
	v_lshlrev_b64 v[62:63], v62, v[40:41]
	v_lshrrev_b32_e32 v61, 3, v42
	v_sub_u32_e32 v40, 29, v64
	v_and_b32_e32 v62, 7, v62
	v_cmp_gt_u32_e32 vcc, 8, v42
	v_cndmask_b32_e32 v40, v61, v40, vcc
	v_cndmask_b32_e32 v42, v49, v62, vcc
	v_lshlrev_b32_e32 v49, 16, v38
	v_lshlrev_b32_e32 v42, 20, v42
	v_and_b32_e32 v49, 0x80000000, v49
	v_lshl_add_u32 v40, v40, 23, v48
	v_or3_b32 v61, v49, v40, v42
.LBB659_391:                            ;   in Loop: Header=BB659_213 Depth=1
	s_or_b64 exec, exec, s[16:17]
.LBB659_392:                            ;   in Loop: Header=BB659_213 Depth=1
	s_or_b64 exec, exec, s[14:15]
.LBB659_393:                            ;   in Loop: Header=BB659_213 Depth=1
	s_or_b64 exec, exec, s[12:13]
	v_lshrrev_b32_e32 v40, 16, v38
	v_cmp_ne_u16_sdwa s[14:15], v40, v47 src0_sel:BYTE_0 src1_sel:DWORD
	s_and_saveexec_b64 s[12:13], s[14:15]
	s_cbranch_execz .LBB659_399
; %bb.394:                              ;   in Loop: Header=BB659_213 Depth=1
	v_cmp_ne_u16_sdwa s[16:17], v40, s9 src0_sel:BYTE_0 src1_sel:DWORD
	v_bfrev_b32_e32 v53, 1
	s_and_saveexec_b64 s[14:15], s[16:17]
	s_cbranch_execz .LBB659_398
; %bb.395:                              ;   in Loop: Header=BB659_213 Depth=1
	v_bfe_u32 v42, v38, 16, 7
	v_cmp_ne_u32_e32 vcc, s19, v42
	v_mov_b32_e32 v53, 0x7f800001
	s_and_saveexec_b64 s[16:17], vcc
	s_cbranch_execz .LBB659_397
; %bb.396:                              ;   in Loop: Header=BB659_213 Depth=1
	v_and_b32_e32 v49, 7, v40
	v_ffbh_u32_e32 v62, v49
	v_min_u32_e32 v64, 32, v62
	v_subrev_u32_e32 v62, 28, v64
	v_lshlrev_b64 v[62:63], v62, v[40:41]
	v_lshrrev_b32_e32 v53, 3, v42
	v_sub_u32_e32 v63, 29, v64
	v_and_b32_e32 v62, 7, v62
	v_cmp_gt_u32_e32 vcc, 8, v42
	v_cndmask_b32_e32 v42, v53, v63, vcc
	v_cndmask_b32_e32 v49, v49, v62, vcc
	v_lshlrev_b32_e32 v40, 24, v40
	v_lshlrev_b32_e32 v49, 20, v49
	v_and_b32_e32 v40, 0x80000000, v40
	v_lshl_add_u32 v42, v42, 23, v48
	v_or3_b32 v53, v40, v42, v49
.LBB659_397:                            ;   in Loop: Header=BB659_213 Depth=1
	s_or_b64 exec, exec, s[16:17]
.LBB659_398:                            ;   in Loop: Header=BB659_213 Depth=1
	s_or_b64 exec, exec, s[14:15]
.LBB659_399:                            ;   in Loop: Header=BB659_213 Depth=1
	s_or_b64 exec, exec, s[12:13]
	v_cmp_lt_u32_e32 vcc, s20, v38
	v_mov_b32_e32 v49, 0
	v_mov_b32_e32 v62, 0
	s_and_saveexec_b64 s[12:13], vcc
	s_cbranch_execz .LBB659_405
; %bb.400:                              ;   in Loop: Header=BB659_213 Depth=1
	v_lshrrev_b32_e32 v40, 24, v38
	v_cmp_ne_u32_e32 vcc, s9, v40
	v_bfrev_b32_e32 v62, 1
	s_and_saveexec_b64 s[14:15], vcc
	s_cbranch_execz .LBB659_404
; %bb.401:                              ;   in Loop: Header=BB659_213 Depth=1
	v_bfe_u32 v38, v38, 24, 7
	v_cmp_ne_u32_e32 vcc, s19, v38
	v_mov_b32_e32 v62, 0x7f800001
	s_and_saveexec_b64 s[16:17], vcc
	s_cbranch_execz .LBB659_403
; %bb.402:                              ;   in Loop: Header=BB659_213 Depth=1
	v_and_b32_e32 v42, 7, v40
	v_ffbh_u32_e32 v62, v42
	v_min_u32_e32 v65, 32, v62
	v_subrev_u32_e32 v62, 28, v65
	v_lshlrev_b64 v[62:63], v62, v[40:41]
	v_lshrrev_b32_e32 v64, 3, v38
	v_sub_u32_e32 v63, 29, v65
	v_and_b32_e32 v62, 7, v62
	v_cmp_gt_u32_e32 vcc, 8, v38
	v_cndmask_b32_e32 v38, v64, v63, vcc
	v_cndmask_b32_e32 v42, v42, v62, vcc
	v_lshlrev_b32_e32 v40, 24, v40
	v_lshlrev_b32_e32 v42, 20, v42
	v_and_b32_e32 v40, 0x80000000, v40
	v_lshl_add_u32 v38, v38, 23, v48
	v_or3_b32 v62, v40, v38, v42
.LBB659_403:                            ;   in Loop: Header=BB659_213 Depth=1
	s_or_b64 exec, exec, s[16:17]
.LBB659_404:                            ;   in Loop: Header=BB659_213 Depth=1
	s_or_b64 exec, exec, s[14:15]
.LBB659_405:                            ;   in Loop: Header=BB659_213 Depth=1
	s_or_b64 exec, exec, s[12:13]
	v_cvt_pkrtz_f16_f32 v65, v44, v52
	buffer_load_dword v44, v60, s[0:3], 0 offen
	buffer_load_dword v42, v60, s[0:3], 0 offen offset:4
	buffer_load_dword v40, v60, s[0:3], 0 offen offset:8
	buffer_load_dword v38, v60, s[0:3], 0 offen offset:12
	v_cvt_pkrtz_f16_f32 v64, v46, v50
	v_cvt_pkrtz_f16_f32 v50, v51, v61
	;; [unrolled: 1-line block ×3, first 2 shown]
	v_mfma_f32_16x16x16f16 v[34:37], v[64:65], v[14:15], v[34:37]
	s_waitcnt vmcnt(3)
	v_cmp_ne_u16_sdwa s[14:15], v44, v47 src0_sel:BYTE_0 src1_sel:DWORD
	v_mfma_f32_16x16x16f16 v[34:37], v[50:51], v[16:17], v[34:37]
	s_and_saveexec_b64 s[12:13], s[14:15]
	s_cbranch_execz .LBB659_411
; %bb.406:                              ;   in Loop: Header=BB659_213 Depth=1
	v_cmp_ne_u16_sdwa s[16:17], v44, s9 src0_sel:BYTE_0 src1_sel:DWORD
	v_bfrev_b32_e32 v49, 1
	s_and_saveexec_b64 s[14:15], s[16:17]
	s_cbranch_execz .LBB659_410
; %bb.407:                              ;   in Loop: Header=BB659_213 Depth=1
	v_and_b32_e32 v46, 0x7f, v44
	v_cmp_ne_u32_e32 vcc, s19, v46
	v_mov_b32_e32 v49, 0x7f800001
	s_and_saveexec_b64 s[16:17], vcc
	s_cbranch_execz .LBB659_409
; %bb.408:                              ;   in Loop: Header=BB659_213 Depth=1
	v_and_b32_e32 v49, 7, v44
	v_ffbh_u32_e32 v50, v49
	v_min_u32_e32 v53, 32, v50
	v_subrev_u32_e32 v50, 28, v53
	v_lshlrev_b64 v[50:51], v50, v[44:45]
	v_lshrrev_b32_e32 v52, 3, v46
	v_sub_u32_e32 v51, 29, v53
	v_and_b32_e32 v50, 7, v50
	v_cmp_gt_u32_e32 vcc, 8, v46
	v_cndmask_b32_e32 v46, v52, v51, vcc
	v_cndmask_b32_e32 v49, v49, v50, vcc
	v_lshlrev_b32_e32 v50, 24, v44
	v_lshlrev_b32_e32 v49, 20, v49
	v_and_b32_e32 v50, 0x80000000, v50
	v_lshl_add_u32 v46, v46, 23, v48
	v_or3_b32 v49, v50, v46, v49
.LBB659_409:                            ;   in Loop: Header=BB659_213 Depth=1
	s_or_b64 exec, exec, s[16:17]
.LBB659_410:                            ;   in Loop: Header=BB659_213 Depth=1
	s_or_b64 exec, exec, s[14:15]
.LBB659_411:                            ;   in Loop: Header=BB659_213 Depth=1
	s_or_b64 exec, exec, s[12:13]
	v_lshrrev_b16_e32 v46, 8, v44
	v_cmp_ne_u16_e32 vcc, 0, v46
	v_mov_b32_e32 v50, 0
	v_mov_b32_e32 v51, 0
	s_and_saveexec_b64 s[12:13], vcc
	s_cbranch_execz .LBB659_417
; %bb.412:                              ;   in Loop: Header=BB659_213 Depth=1
	v_cmp_ne_u16_e32 vcc, s9, v46
	v_bfrev_b32_e32 v51, 1
	s_and_saveexec_b64 s[14:15], vcc
	s_cbranch_execz .LBB659_416
; %bb.413:                              ;   in Loop: Header=BB659_213 Depth=1
	v_and_b32_e32 v52, 0x7f, v46
	v_cmp_ne_u32_e32 vcc, s19, v52
	v_mov_b32_e32 v51, 0x7f800001
	s_and_saveexec_b64 s[16:17], vcc
	s_cbranch_execz .LBB659_415
; %bb.414:                              ;   in Loop: Header=BB659_213 Depth=1
	v_and_b32_e32 v51, 7, v46
	v_ffbh_u32_e32 v60, v51
	v_min_u32_e32 v62, 32, v60
	v_subrev_u32_e32 v60, 28, v62
	v_lshlrev_b64 v[60:61], v60, v[46:47]
	v_lshrrev_b32_e32 v53, 3, v52
	v_sub_u32_e32 v46, 29, v62
	v_and_b32_e32 v60, 7, v60
	v_cmp_gt_u32_e32 vcc, 8, v52
	v_cndmask_b32_e32 v46, v53, v46, vcc
	v_cndmask_b32_e32 v51, v51, v60, vcc
	v_lshlrev_b32_e32 v52, 16, v44
	v_lshlrev_b32_e32 v51, 20, v51
	v_and_b32_e32 v52, 0x80000000, v52
	v_lshl_add_u32 v46, v46, 23, v48
	v_or3_b32 v51, v52, v46, v51
.LBB659_415:                            ;   in Loop: Header=BB659_213 Depth=1
	s_or_b64 exec, exec, s[16:17]
.LBB659_416:                            ;   in Loop: Header=BB659_213 Depth=1
	s_or_b64 exec, exec, s[14:15]
.LBB659_417:                            ;   in Loop: Header=BB659_213 Depth=1
	s_or_b64 exec, exec, s[12:13]
	v_lshrrev_b32_e32 v46, 16, v44
	v_cmp_ne_u16_sdwa s[14:15], v46, v47 src0_sel:BYTE_0 src1_sel:DWORD
	s_and_saveexec_b64 s[12:13], s[14:15]
	s_cbranch_execz .LBB659_423
; %bb.418:                              ;   in Loop: Header=BB659_213 Depth=1
	v_cmp_ne_u16_sdwa s[16:17], v46, s9 src0_sel:BYTE_0 src1_sel:DWORD
	v_bfrev_b32_e32 v50, 1
	s_and_saveexec_b64 s[14:15], s[16:17]
	s_cbranch_execz .LBB659_422
; %bb.419:                              ;   in Loop: Header=BB659_213 Depth=1
	v_bfe_u32 v52, v44, 16, 7
	v_cmp_ne_u32_e32 vcc, s19, v52
	v_mov_b32_e32 v50, 0x7f800001
	s_and_saveexec_b64 s[16:17], vcc
	s_cbranch_execz .LBB659_421
; %bb.420:                              ;   in Loop: Header=BB659_213 Depth=1
	v_and_b32_e32 v50, 7, v46
	v_ffbh_u32_e32 v60, v50
	v_min_u32_e32 v62, 32, v60
	v_subrev_u32_e32 v60, 28, v62
	v_lshlrev_b64 v[60:61], v60, v[46:47]
	v_lshrrev_b32_e32 v53, 3, v52
	v_sub_u32_e32 v61, 29, v62
	v_and_b32_e32 v60, 7, v60
	v_cmp_gt_u32_e32 vcc, 8, v52
	v_cndmask_b32_e32 v52, v53, v61, vcc
	v_cndmask_b32_e32 v50, v50, v60, vcc
	v_lshlrev_b32_e32 v46, 24, v46
	v_lshlrev_b32_e32 v50, 20, v50
	v_and_b32_e32 v46, 0x80000000, v46
	v_lshl_add_u32 v52, v52, 23, v48
	v_or3_b32 v50, v46, v52, v50
.LBB659_421:                            ;   in Loop: Header=BB659_213 Depth=1
	s_or_b64 exec, exec, s[16:17]
.LBB659_422:                            ;   in Loop: Header=BB659_213 Depth=1
	s_or_b64 exec, exec, s[14:15]
.LBB659_423:                            ;   in Loop: Header=BB659_213 Depth=1
	s_or_b64 exec, exec, s[12:13]
	v_cmp_lt_u32_e32 vcc, s20, v44
	v_mov_b32_e32 v52, 0
	v_mov_b32_e32 v53, 0
	s_and_saveexec_b64 s[12:13], vcc
	s_cbranch_execz .LBB659_429
; %bb.424:                              ;   in Loop: Header=BB659_213 Depth=1
	v_lshrrev_b32_e32 v46, 24, v44
	v_cmp_ne_u32_e32 vcc, s9, v46
	v_bfrev_b32_e32 v53, 1
	s_and_saveexec_b64 s[14:15], vcc
	s_cbranch_execz .LBB659_428
; %bb.425:                              ;   in Loop: Header=BB659_213 Depth=1
	v_bfe_u32 v44, v44, 24, 7
	v_cmp_ne_u32_e32 vcc, s19, v44
	v_mov_b32_e32 v53, 0x7f800001
	s_and_saveexec_b64 s[16:17], vcc
	s_cbranch_execz .LBB659_427
; %bb.426:                              ;   in Loop: Header=BB659_213 Depth=1
	v_and_b32_e32 v53, 7, v46
	v_ffbh_u32_e32 v60, v53
	v_min_u32_e32 v63, 32, v60
	v_subrev_u32_e32 v60, 28, v63
	v_lshlrev_b64 v[60:61], v60, v[46:47]
	v_lshrrev_b32_e32 v62, 3, v44
	v_sub_u32_e32 v61, 29, v63
	v_and_b32_e32 v60, 7, v60
	v_cmp_gt_u32_e32 vcc, 8, v44
	v_cndmask_b32_e32 v44, v62, v61, vcc
	v_cndmask_b32_e32 v53, v53, v60, vcc
	v_lshlrev_b32_e32 v46, 24, v46
	v_lshlrev_b32_e32 v53, 20, v53
	v_and_b32_e32 v46, 0x80000000, v46
	v_lshl_add_u32 v44, v44, 23, v48
	v_or3_b32 v53, v46, v44, v53
.LBB659_427:                            ;   in Loop: Header=BB659_213 Depth=1
	s_or_b64 exec, exec, s[16:17]
.LBB659_428:                            ;   in Loop: Header=BB659_213 Depth=1
	s_or_b64 exec, exec, s[14:15]
.LBB659_429:                            ;   in Loop: Header=BB659_213 Depth=1
	s_or_b64 exec, exec, s[12:13]
	s_waitcnt vmcnt(2)
	v_cmp_ne_u16_sdwa s[14:15], v42, v47 src0_sel:BYTE_0 src1_sel:DWORD
	s_and_saveexec_b64 s[12:13], s[14:15]
	s_cbranch_execz .LBB659_435
; %bb.430:                              ;   in Loop: Header=BB659_213 Depth=1
	v_cmp_ne_u16_sdwa s[16:17], v42, s9 src0_sel:BYTE_0 src1_sel:DWORD
	v_bfrev_b32_e32 v52, 1
	s_and_saveexec_b64 s[14:15], s[16:17]
	s_cbranch_execz .LBB659_434
; %bb.431:                              ;   in Loop: Header=BB659_213 Depth=1
	v_and_b32_e32 v44, 0x7f, v42
	v_cmp_ne_u32_e32 vcc, s19, v44
	v_mov_b32_e32 v52, 0x7f800001
	s_and_saveexec_b64 s[16:17], vcc
	s_cbranch_execz .LBB659_433
; %bb.432:                              ;   in Loop: Header=BB659_213 Depth=1
	v_and_b32_e32 v46, 7, v42
	v_ffbh_u32_e32 v60, v46
	v_min_u32_e32 v62, 32, v60
	v_subrev_u32_e32 v60, 28, v62
	v_lshlrev_b64 v[60:61], v60, v[42:43]
	v_lshrrev_b32_e32 v52, 3, v44
	v_sub_u32_e32 v61, 29, v62
	v_and_b32_e32 v60, 7, v60
	v_cmp_gt_u32_e32 vcc, 8, v44
	v_cndmask_b32_e32 v44, v52, v61, vcc
	v_cndmask_b32_e32 v46, v46, v60, vcc
	v_lshlrev_b32_e32 v52, 24, v42
	v_lshlrev_b32_e32 v46, 20, v46
	v_and_b32_e32 v52, 0x80000000, v52
	v_lshl_add_u32 v44, v44, 23, v48
	v_or3_b32 v52, v52, v44, v46
.LBB659_433:                            ;   in Loop: Header=BB659_213 Depth=1
	s_or_b64 exec, exec, s[16:17]
.LBB659_434:                            ;   in Loop: Header=BB659_213 Depth=1
	s_or_b64 exec, exec, s[14:15]
.LBB659_435:                            ;   in Loop: Header=BB659_213 Depth=1
	s_or_b64 exec, exec, s[12:13]
	v_lshrrev_b16_e32 v44, 8, v42
	v_cmp_ne_u16_e32 vcc, 0, v44
	v_mov_b32_e32 v60, 0
	v_mov_b32_e32 v61, 0
	s_and_saveexec_b64 s[12:13], vcc
	s_cbranch_execz .LBB659_441
; %bb.436:                              ;   in Loop: Header=BB659_213 Depth=1
	v_cmp_ne_u16_e32 vcc, s9, v44
	v_bfrev_b32_e32 v61, 1
	s_and_saveexec_b64 s[14:15], vcc
	s_cbranch_execz .LBB659_440
; %bb.437:                              ;   in Loop: Header=BB659_213 Depth=1
	v_and_b32_e32 v46, 0x7f, v44
	v_cmp_ne_u32_e32 vcc, s19, v46
	v_mov_b32_e32 v61, 0x7f800001
	s_and_saveexec_b64 s[16:17], vcc
	s_cbranch_execz .LBB659_439
; %bb.438:                              ;   in Loop: Header=BB659_213 Depth=1
	v_and_b32_e32 v61, 7, v44
	v_ffbh_u32_e32 v62, v61
	v_min_u32_e32 v65, 32, v62
	v_subrev_u32_e32 v62, 28, v65
	v_lshlrev_b64 v[62:63], v62, v[44:45]
	v_lshrrev_b32_e32 v64, 3, v46
	v_sub_u32_e32 v44, 29, v65
	v_and_b32_e32 v62, 7, v62
	v_cmp_gt_u32_e32 vcc, 8, v46
	v_cndmask_b32_e32 v44, v64, v44, vcc
	v_cndmask_b32_e32 v46, v61, v62, vcc
	v_lshlrev_b32_e32 v61, 16, v42
	v_lshlrev_b32_e32 v46, 20, v46
	v_and_b32_e32 v61, 0x80000000, v61
	v_lshl_add_u32 v44, v44, 23, v48
	v_or3_b32 v61, v61, v44, v46
.LBB659_439:                            ;   in Loop: Header=BB659_213 Depth=1
	s_or_b64 exec, exec, s[16:17]
.LBB659_440:                            ;   in Loop: Header=BB659_213 Depth=1
	s_or_b64 exec, exec, s[14:15]
.LBB659_441:                            ;   in Loop: Header=BB659_213 Depth=1
	s_or_b64 exec, exec, s[12:13]
	v_lshrrev_b32_e32 v44, 16, v42
	v_cmp_ne_u16_sdwa s[14:15], v44, v47 src0_sel:BYTE_0 src1_sel:DWORD
	s_and_saveexec_b64 s[12:13], s[14:15]
	s_cbranch_execz .LBB659_447
; %bb.442:                              ;   in Loop: Header=BB659_213 Depth=1
	v_cmp_ne_u16_sdwa s[16:17], v44, s9 src0_sel:BYTE_0 src1_sel:DWORD
	v_bfrev_b32_e32 v60, 1
	s_and_saveexec_b64 s[14:15], s[16:17]
	s_cbranch_execz .LBB659_446
; %bb.443:                              ;   in Loop: Header=BB659_213 Depth=1
	v_bfe_u32 v46, v42, 16, 7
	v_cmp_ne_u32_e32 vcc, s19, v46
	v_mov_b32_e32 v60, 0x7f800001
	s_and_saveexec_b64 s[16:17], vcc
	s_cbranch_execz .LBB659_445
; %bb.444:                              ;   in Loop: Header=BB659_213 Depth=1
	v_and_b32_e32 v60, 7, v44
	v_ffbh_u32_e32 v62, v60
	v_min_u32_e32 v65, 32, v62
	v_subrev_u32_e32 v62, 28, v65
	v_lshlrev_b64 v[62:63], v62, v[44:45]
	v_lshrrev_b32_e32 v64, 3, v46
	v_sub_u32_e32 v63, 29, v65
	v_and_b32_e32 v62, 7, v62
	v_cmp_gt_u32_e32 vcc, 8, v46
	v_cndmask_b32_e32 v46, v64, v63, vcc
	v_cndmask_b32_e32 v60, v60, v62, vcc
	v_lshlrev_b32_e32 v44, 24, v44
	v_lshlrev_b32_e32 v60, 20, v60
	v_and_b32_e32 v44, 0x80000000, v44
	v_lshl_add_u32 v46, v46, 23, v48
	v_or3_b32 v60, v44, v46, v60
.LBB659_445:                            ;   in Loop: Header=BB659_213 Depth=1
	s_or_b64 exec, exec, s[16:17]
.LBB659_446:                            ;   in Loop: Header=BB659_213 Depth=1
	s_or_b64 exec, exec, s[14:15]
.LBB659_447:                            ;   in Loop: Header=BB659_213 Depth=1
	s_or_b64 exec, exec, s[12:13]
	v_cmp_lt_u32_e32 vcc, s20, v42
	v_mov_b32_e32 v46, 0
	v_mov_b32_e32 v62, 0
	s_and_saveexec_b64 s[12:13], vcc
	s_cbranch_execz .LBB659_453
; %bb.448:                              ;   in Loop: Header=BB659_213 Depth=1
	v_lshrrev_b32_e32 v44, 24, v42
	v_cmp_ne_u32_e32 vcc, s9, v44
	v_bfrev_b32_e32 v62, 1
	s_and_saveexec_b64 s[14:15], vcc
	s_cbranch_execz .LBB659_452
; %bb.449:                              ;   in Loop: Header=BB659_213 Depth=1
	v_bfe_u32 v42, v42, 24, 7
	v_cmp_ne_u32_e32 vcc, s19, v42
	v_mov_b32_e32 v62, 0x7f800001
	s_and_saveexec_b64 s[16:17], vcc
	s_cbranch_execz .LBB659_451
; %bb.450:                              ;   in Loop: Header=BB659_213 Depth=1
	v_and_b32_e32 v64, 7, v44
	v_ffbh_u32_e32 v62, v64
	v_min_u32_e32 v66, 32, v62
	v_subrev_u32_e32 v62, 28, v66
	v_lshlrev_b64 v[62:63], v62, v[44:45]
	v_lshrrev_b32_e32 v65, 3, v42
	v_sub_u32_e32 v63, 29, v66
	v_and_b32_e32 v62, 7, v62
	v_cmp_gt_u32_e32 vcc, 8, v42
	v_cndmask_b32_e32 v42, v65, v63, vcc
	v_cndmask_b32_e32 v62, v64, v62, vcc
	v_lshlrev_b32_e32 v44, 24, v44
	v_lshlrev_b32_e32 v62, 20, v62
	v_and_b32_e32 v44, 0x80000000, v44
	v_lshl_add_u32 v42, v42, 23, v48
	v_or3_b32 v62, v44, v42, v62
.LBB659_451:                            ;   in Loop: Header=BB659_213 Depth=1
	s_or_b64 exec, exec, s[16:17]
.LBB659_452:                            ;   in Loop: Header=BB659_213 Depth=1
	s_or_b64 exec, exec, s[14:15]
.LBB659_453:                            ;   in Loop: Header=BB659_213 Depth=1
	s_or_b64 exec, exec, s[12:13]
	v_cvt_pkrtz_f16_f32 v64, v49, v51
	v_cvt_pkrtz_f16_f32 v65, v50, v53
	;; [unrolled: 1-line block ×4, first 2 shown]
	s_waitcnt vmcnt(1)
	v_cmp_ne_u16_sdwa s[14:15], v40, v47 src0_sel:BYTE_0 src1_sel:DWORD
	v_mfma_f32_16x16x16f16 v[34:37], v[64:65], v[18:19], v[34:37]
	v_mfma_f32_16x16x16f16 v[34:37], v[50:51], v[20:21], v[34:37]
	s_and_saveexec_b64 s[12:13], s[14:15]
	s_cbranch_execz .LBB659_459
; %bb.454:                              ;   in Loop: Header=BB659_213 Depth=1
	v_cmp_ne_u16_sdwa s[16:17], v40, s9 src0_sel:BYTE_0 src1_sel:DWORD
	v_bfrev_b32_e32 v46, 1
	s_and_saveexec_b64 s[14:15], s[16:17]
	s_cbranch_execz .LBB659_458
; %bb.455:                              ;   in Loop: Header=BB659_213 Depth=1
	v_and_b32_e32 v42, 0x7f, v40
	v_cmp_ne_u32_e32 vcc, s19, v42
	v_mov_b32_e32 v46, 0x7f800001
	s_and_saveexec_b64 s[16:17], vcc
	s_cbranch_execz .LBB659_457
; %bb.456:                              ;   in Loop: Header=BB659_213 Depth=1
	v_and_b32_e32 v44, 7, v40
	v_ffbh_u32_e32 v49, v44
	v_min_u32_e32 v49, 32, v49
	v_subrev_u32_e32 v50, 28, v49
	v_lshlrev_b64 v[50:51], v50, v[40:41]
	v_lshrrev_b32_e32 v46, 3, v42
	v_sub_u32_e32 v49, 29, v49
	v_and_b32_e32 v50, 7, v50
	v_cmp_gt_u32_e32 vcc, 8, v42
	v_cndmask_b32_e32 v42, v46, v49, vcc
	v_cndmask_b32_e32 v44, v44, v50, vcc
	v_lshlrev_b32_e32 v46, 24, v40
	v_lshlrev_b32_e32 v44, 20, v44
	v_and_b32_e32 v46, 0x80000000, v46
	v_lshl_add_u32 v42, v42, 23, v48
	v_or3_b32 v46, v46, v42, v44
.LBB659_457:                            ;   in Loop: Header=BB659_213 Depth=1
	s_or_b64 exec, exec, s[16:17]
.LBB659_458:                            ;   in Loop: Header=BB659_213 Depth=1
	s_or_b64 exec, exec, s[14:15]
.LBB659_459:                            ;   in Loop: Header=BB659_213 Depth=1
	s_or_b64 exec, exec, s[12:13]
	v_lshrrev_b16_e32 v42, 8, v40
	v_cmp_ne_u16_e32 vcc, 0, v42
	v_mov_b32_e32 v44, 0
	v_mov_b32_e32 v50, 0
	s_and_saveexec_b64 s[12:13], vcc
	s_cbranch_execz .LBB659_465
; %bb.460:                              ;   in Loop: Header=BB659_213 Depth=1
	v_cmp_ne_u16_e32 vcc, s9, v42
	v_bfrev_b32_e32 v50, 1
	s_and_saveexec_b64 s[14:15], vcc
	s_cbranch_execz .LBB659_464
; %bb.461:                              ;   in Loop: Header=BB659_213 Depth=1
	v_and_b32_e32 v49, 0x7f, v42
	v_cmp_ne_u32_e32 vcc, s19, v49
	v_mov_b32_e32 v50, 0x7f800001
	s_and_saveexec_b64 s[16:17], vcc
	s_cbranch_execz .LBB659_463
; %bb.462:                              ;   in Loop: Header=BB659_213 Depth=1
	v_and_b32_e32 v52, 7, v42
	v_ffbh_u32_e32 v50, v52
	v_min_u32_e32 v60, 32, v50
	v_subrev_u32_e32 v50, 28, v60
	v_lshlrev_b64 v[50:51], v50, v[42:43]
	v_lshrrev_b32_e32 v53, 3, v49
	v_sub_u32_e32 v42, 29, v60
	v_and_b32_e32 v50, 7, v50
	v_cmp_gt_u32_e32 vcc, 8, v49
	v_cndmask_b32_e32 v42, v53, v42, vcc
	v_cndmask_b32_e32 v49, v52, v50, vcc
	v_lshlrev_b32_e32 v50, 16, v40
	v_lshlrev_b32_e32 v49, 20, v49
	v_and_b32_e32 v50, 0x80000000, v50
	v_lshl_add_u32 v42, v42, 23, v48
	v_or3_b32 v50, v50, v42, v49
.LBB659_463:                            ;   in Loop: Header=BB659_213 Depth=1
	s_or_b64 exec, exec, s[16:17]
.LBB659_464:                            ;   in Loop: Header=BB659_213 Depth=1
	s_or_b64 exec, exec, s[14:15]
.LBB659_465:                            ;   in Loop: Header=BB659_213 Depth=1
	s_or_b64 exec, exec, s[12:13]
	v_lshrrev_b32_e32 v42, 16, v40
	v_cmp_ne_u16_sdwa s[14:15], v42, v47 src0_sel:BYTE_0 src1_sel:DWORD
	s_and_saveexec_b64 s[12:13], s[14:15]
	s_cbranch_execz .LBB659_471
; %bb.466:                              ;   in Loop: Header=BB659_213 Depth=1
	v_cmp_ne_u16_sdwa s[16:17], v42, s9 src0_sel:BYTE_0 src1_sel:DWORD
	v_bfrev_b32_e32 v44, 1
	s_and_saveexec_b64 s[14:15], s[16:17]
	s_cbranch_execz .LBB659_470
; %bb.467:                              ;   in Loop: Header=BB659_213 Depth=1
	v_bfe_u32 v49, v40, 16, 7
	v_cmp_ne_u32_e32 vcc, s19, v49
	v_mov_b32_e32 v44, 0x7f800001
	s_and_saveexec_b64 s[16:17], vcc
	s_cbranch_execz .LBB659_469
; %bb.468:                              ;   in Loop: Header=BB659_213 Depth=1
	v_and_b32_e32 v44, 7, v42
	v_ffbh_u32_e32 v52, v44
	v_min_u32_e32 v60, 32, v52
	v_subrev_u32_e32 v52, 28, v60
	v_lshlrev_b64 v[52:53], v52, v[42:43]
	v_lshrrev_b32_e32 v51, 3, v49
	v_sub_u32_e32 v53, 29, v60
	v_and_b32_e32 v52, 7, v52
	v_cmp_gt_u32_e32 vcc, 8, v49
	v_cndmask_b32_e32 v49, v51, v53, vcc
	v_cndmask_b32_e32 v44, v44, v52, vcc
	v_lshlrev_b32_e32 v42, 24, v42
	v_lshlrev_b32_e32 v44, 20, v44
	v_and_b32_e32 v42, 0x80000000, v42
	v_lshl_add_u32 v49, v49, 23, v48
	v_or3_b32 v44, v42, v49, v44
.LBB659_469:                            ;   in Loop: Header=BB659_213 Depth=1
	s_or_b64 exec, exec, s[16:17]
.LBB659_470:                            ;   in Loop: Header=BB659_213 Depth=1
	s_or_b64 exec, exec, s[14:15]
.LBB659_471:                            ;   in Loop: Header=BB659_213 Depth=1
	s_or_b64 exec, exec, s[12:13]
	v_cmp_lt_u32_e32 vcc, s20, v40
	v_mov_b32_e32 v51, 0
	v_mov_b32_e32 v52, 0
	s_and_saveexec_b64 s[12:13], vcc
	s_cbranch_execz .LBB659_477
; %bb.472:                              ;   in Loop: Header=BB659_213 Depth=1
	v_lshrrev_b32_e32 v42, 24, v40
	v_cmp_ne_u32_e32 vcc, s9, v42
	v_bfrev_b32_e32 v52, 1
	s_and_saveexec_b64 s[14:15], vcc
	s_cbranch_execz .LBB659_476
; %bb.473:                              ;   in Loop: Header=BB659_213 Depth=1
	v_bfe_u32 v40, v40, 24, 7
	v_cmp_ne_u32_e32 vcc, s19, v40
	v_mov_b32_e32 v52, 0x7f800001
	s_and_saveexec_b64 s[16:17], vcc
	s_cbranch_execz .LBB659_475
; %bb.474:                              ;   in Loop: Header=BB659_213 Depth=1
	v_and_b32_e32 v49, 7, v42
	v_ffbh_u32_e32 v52, v49
	v_min_u32_e32 v61, 32, v52
	v_subrev_u32_e32 v52, 28, v61
	v_lshlrev_b64 v[52:53], v52, v[42:43]
	v_lshrrev_b32_e32 v60, 3, v40
	v_sub_u32_e32 v53, 29, v61
	v_and_b32_e32 v52, 7, v52
	v_cmp_gt_u32_e32 vcc, 8, v40
	v_cndmask_b32_e32 v40, v60, v53, vcc
	v_cndmask_b32_e32 v49, v49, v52, vcc
	v_lshlrev_b32_e32 v42, 24, v42
	v_lshlrev_b32_e32 v49, 20, v49
	v_and_b32_e32 v42, 0x80000000, v42
	v_lshl_add_u32 v40, v40, 23, v48
	v_or3_b32 v52, v42, v40, v49
.LBB659_475:                            ;   in Loop: Header=BB659_213 Depth=1
	s_or_b64 exec, exec, s[16:17]
.LBB659_476:                            ;   in Loop: Header=BB659_213 Depth=1
	s_or_b64 exec, exec, s[14:15]
.LBB659_477:                            ;   in Loop: Header=BB659_213 Depth=1
	s_or_b64 exec, exec, s[12:13]
	s_waitcnt vmcnt(0)
	v_cmp_ne_u16_sdwa s[14:15], v38, v47 src0_sel:BYTE_0 src1_sel:DWORD
	s_and_saveexec_b64 s[12:13], s[14:15]
	s_cbranch_execz .LBB659_483
; %bb.478:                              ;   in Loop: Header=BB659_213 Depth=1
	v_cmp_ne_u16_sdwa s[16:17], v38, s9 src0_sel:BYTE_0 src1_sel:DWORD
	v_bfrev_b32_e32 v51, 1
	s_and_saveexec_b64 s[14:15], s[16:17]
	s_cbranch_execz .LBB659_482
; %bb.479:                              ;   in Loop: Header=BB659_213 Depth=1
	v_and_b32_e32 v40, 0x7f, v38
	v_cmp_ne_u32_e32 vcc, s19, v40
	v_mov_b32_e32 v51, 0x7f800001
	s_and_saveexec_b64 s[16:17], vcc
	s_cbranch_execz .LBB659_481
; %bb.480:                              ;   in Loop: Header=BB659_213 Depth=1
	v_and_b32_e32 v42, 7, v38
	v_ffbh_u32_e32 v51, v42
	v_min_u32_e32 v51, 32, v51
	v_subrev_u32_e32 v53, 28, v51
	v_lshlrev_b64 v[60:61], v53, v[38:39]
	v_lshrrev_b32_e32 v49, 3, v40
	v_sub_u32_e32 v51, 29, v51
	v_and_b32_e32 v53, 7, v60
	v_cmp_gt_u32_e32 vcc, 8, v40
	v_cndmask_b32_e32 v40, v49, v51, vcc
	v_cndmask_b32_e32 v42, v42, v53, vcc
	v_lshlrev_b32_e32 v49, 24, v38
	v_lshlrev_b32_e32 v42, 20, v42
	v_and_b32_e32 v49, 0x80000000, v49
	v_lshl_add_u32 v40, v40, 23, v48
	v_or3_b32 v51, v49, v40, v42
.LBB659_481:                            ;   in Loop: Header=BB659_213 Depth=1
	s_or_b64 exec, exec, s[16:17]
.LBB659_482:                            ;   in Loop: Header=BB659_213 Depth=1
	s_or_b64 exec, exec, s[14:15]
.LBB659_483:                            ;   in Loop: Header=BB659_213 Depth=1
	s_or_b64 exec, exec, s[12:13]
	v_lshrrev_b16_e32 v40, 8, v38
	v_cmp_ne_u16_e32 vcc, 0, v40
	v_mov_b32_e32 v53, 0
	v_mov_b32_e32 v60, 0
	s_and_saveexec_b64 s[12:13], vcc
	s_cbranch_execz .LBB659_489
; %bb.484:                              ;   in Loop: Header=BB659_213 Depth=1
	v_cmp_ne_u16_e32 vcc, s9, v40
	v_bfrev_b32_e32 v60, 1
	s_and_saveexec_b64 s[14:15], vcc
	s_cbranch_execz .LBB659_488
; %bb.485:                              ;   in Loop: Header=BB659_213 Depth=1
	v_and_b32_e32 v42, 0x7f, v40
	v_cmp_ne_u32_e32 vcc, s19, v42
	v_mov_b32_e32 v60, 0x7f800001
	s_and_saveexec_b64 s[16:17], vcc
	s_cbranch_execz .LBB659_487
; %bb.486:                              ;   in Loop: Header=BB659_213 Depth=1
	v_and_b32_e32 v49, 7, v40
	v_ffbh_u32_e32 v60, v49
	v_min_u32_e32 v63, 32, v60
	v_subrev_u32_e32 v60, 28, v63
	v_lshlrev_b64 v[60:61], v60, v[40:41]
	v_lshrrev_b32_e32 v62, 3, v42
	v_sub_u32_e32 v40, 29, v63
	v_and_b32_e32 v60, 7, v60
	v_cmp_gt_u32_e32 vcc, 8, v42
	v_cndmask_b32_e32 v40, v62, v40, vcc
	v_cndmask_b32_e32 v42, v49, v60, vcc
	v_lshlrev_b32_e32 v49, 16, v38
	v_lshlrev_b32_e32 v42, 20, v42
	v_and_b32_e32 v49, 0x80000000, v49
	v_lshl_add_u32 v40, v40, 23, v48
	v_or3_b32 v60, v49, v40, v42
.LBB659_487:                            ;   in Loop: Header=BB659_213 Depth=1
	s_or_b64 exec, exec, s[16:17]
.LBB659_488:                            ;   in Loop: Header=BB659_213 Depth=1
	s_or_b64 exec, exec, s[14:15]
.LBB659_489:                            ;   in Loop: Header=BB659_213 Depth=1
	s_or_b64 exec, exec, s[12:13]
	v_lshrrev_b32_e32 v40, 16, v38
	v_cmp_ne_u16_sdwa s[14:15], v40, v47 src0_sel:BYTE_0 src1_sel:DWORD
	s_and_saveexec_b64 s[12:13], s[14:15]
	s_cbranch_execz .LBB659_495
; %bb.490:                              ;   in Loop: Header=BB659_213 Depth=1
	v_cmp_ne_u16_sdwa s[16:17], v40, s9 src0_sel:BYTE_0 src1_sel:DWORD
	v_bfrev_b32_e32 v53, 1
	s_and_saveexec_b64 s[14:15], s[16:17]
	s_cbranch_execz .LBB659_494
; %bb.491:                              ;   in Loop: Header=BB659_213 Depth=1
	v_bfe_u32 v42, v38, 16, 7
	v_cmp_ne_u32_e32 vcc, s19, v42
	v_mov_b32_e32 v53, 0x7f800001
	s_and_saveexec_b64 s[16:17], vcc
	s_cbranch_execz .LBB659_493
; %bb.492:                              ;   in Loop: Header=BB659_213 Depth=1
	v_and_b32_e32 v49, 7, v40
	v_ffbh_u32_e32 v61, v49
	v_min_u32_e32 v61, 32, v61
	v_subrev_u32_e32 v62, 28, v61
	v_lshlrev_b64 v[62:63], v62, v[40:41]
	v_lshrrev_b32_e32 v53, 3, v42
	v_sub_u32_e32 v61, 29, v61
	v_and_b32_e32 v62, 7, v62
	v_cmp_gt_u32_e32 vcc, 8, v42
	v_cndmask_b32_e32 v42, v53, v61, vcc
	v_cndmask_b32_e32 v49, v49, v62, vcc
	v_lshlrev_b32_e32 v40, 24, v40
	v_lshlrev_b32_e32 v49, 20, v49
	v_and_b32_e32 v40, 0x80000000, v40
	v_lshl_add_u32 v42, v42, 23, v48
	v_or3_b32 v53, v40, v42, v49
.LBB659_493:                            ;   in Loop: Header=BB659_213 Depth=1
	s_or_b64 exec, exec, s[16:17]
.LBB659_494:                            ;   in Loop: Header=BB659_213 Depth=1
	s_or_b64 exec, exec, s[14:15]
.LBB659_495:                            ;   in Loop: Header=BB659_213 Depth=1
	s_or_b64 exec, exec, s[12:13]
	v_cmp_lt_u32_e32 vcc, s20, v38
	v_mov_b32_e32 v49, 0
	v_mov_b32_e32 v61, 0
	s_and_saveexec_b64 s[12:13], vcc
	s_cbranch_execz .LBB659_501
; %bb.496:                              ;   in Loop: Header=BB659_213 Depth=1
	v_lshrrev_b32_e32 v40, 24, v38
	v_cmp_ne_u32_e32 vcc, s9, v40
	v_bfrev_b32_e32 v61, 1
	s_and_saveexec_b64 s[14:15], vcc
	s_cbranch_execz .LBB659_500
; %bb.497:                              ;   in Loop: Header=BB659_213 Depth=1
	v_bfe_u32 v38, v38, 24, 7
	v_cmp_ne_u32_e32 vcc, s19, v38
	v_mov_b32_e32 v61, 0x7f800001
	s_and_saveexec_b64 s[16:17], vcc
	s_cbranch_execz .LBB659_499
; %bb.498:                              ;   in Loop: Header=BB659_213 Depth=1
	v_and_b32_e32 v42, 7, v40
	v_ffbh_u32_e32 v62, v42
	v_min_u32_e32 v64, 32, v62
	v_subrev_u32_e32 v62, 28, v64
	v_lshlrev_b64 v[62:63], v62, v[40:41]
	v_lshrrev_b32_e32 v61, 3, v38
	v_sub_u32_e32 v63, 29, v64
	v_and_b32_e32 v62, 7, v62
	v_cmp_gt_u32_e32 vcc, 8, v38
	v_cndmask_b32_e32 v38, v61, v63, vcc
	v_cndmask_b32_e32 v42, v42, v62, vcc
	v_lshlrev_b32_e32 v40, 24, v40
	v_lshlrev_b32_e32 v42, 20, v42
	v_and_b32_e32 v40, 0x80000000, v40
	v_lshl_add_u32 v38, v38, 23, v48
	v_or3_b32 v61, v40, v38, v42
.LBB659_499:                            ;   in Loop: Header=BB659_213 Depth=1
	s_or_b64 exec, exec, s[16:17]
.LBB659_500:                            ;   in Loop: Header=BB659_213 Depth=1
	s_or_b64 exec, exec, s[14:15]
.LBB659_501:                            ;   in Loop: Header=BB659_213 Depth=1
	s_or_b64 exec, exec, s[12:13]
	v_cvt_pkrtz_f16_f32 v63, v44, v52
	buffer_load_dword v44, v59, s[0:3], 0 offen
	buffer_load_dword v42, v59, s[0:3], 0 offen offset:4
	buffer_load_dword v40, v59, s[0:3], 0 offen offset:8
	;; [unrolled: 1-line block ×3, first 2 shown]
	v_cvt_pkrtz_f16_f32 v62, v46, v50
	v_cvt_pkrtz_f16_f32 v50, v51, v60
	;; [unrolled: 1-line block ×3, first 2 shown]
	v_mfma_f32_16x16x16f16 v[34:37], v[62:63], v[22:23], v[34:37]
	s_waitcnt vmcnt(3)
	v_cmp_ne_u16_sdwa s[14:15], v44, v47 src0_sel:BYTE_0 src1_sel:DWORD
	v_mfma_f32_16x16x16f16 v[34:37], v[50:51], v[24:25], v[34:37]
	s_and_saveexec_b64 s[12:13], s[14:15]
	s_cbranch_execz .LBB659_507
; %bb.502:                              ;   in Loop: Header=BB659_213 Depth=1
	v_cmp_ne_u16_sdwa s[16:17], v44, s9 src0_sel:BYTE_0 src1_sel:DWORD
	v_bfrev_b32_e32 v49, 1
	s_and_saveexec_b64 s[14:15], s[16:17]
	s_cbranch_execz .LBB659_506
; %bb.503:                              ;   in Loop: Header=BB659_213 Depth=1
	v_and_b32_e32 v46, 0x7f, v44
	v_cmp_ne_u32_e32 vcc, s19, v46
	v_mov_b32_e32 v49, 0x7f800001
	s_and_saveexec_b64 s[16:17], vcc
	s_cbranch_execz .LBB659_505
; %bb.504:                              ;   in Loop: Header=BB659_213 Depth=1
	v_and_b32_e32 v49, 7, v44
	v_ffbh_u32_e32 v50, v49
	v_min_u32_e32 v53, 32, v50
	v_subrev_u32_e32 v50, 28, v53
	v_lshlrev_b64 v[50:51], v50, v[44:45]
	v_lshrrev_b32_e32 v52, 3, v46
	v_sub_u32_e32 v51, 29, v53
	v_and_b32_e32 v50, 7, v50
	v_cmp_gt_u32_e32 vcc, 8, v46
	v_cndmask_b32_e32 v46, v52, v51, vcc
	v_cndmask_b32_e32 v49, v49, v50, vcc
	v_lshlrev_b32_e32 v50, 24, v44
	v_lshlrev_b32_e32 v49, 20, v49
	v_and_b32_e32 v50, 0x80000000, v50
	v_lshl_add_u32 v46, v46, 23, v48
	v_or3_b32 v49, v50, v46, v49
.LBB659_505:                            ;   in Loop: Header=BB659_213 Depth=1
	s_or_b64 exec, exec, s[16:17]
.LBB659_506:                            ;   in Loop: Header=BB659_213 Depth=1
	s_or_b64 exec, exec, s[14:15]
.LBB659_507:                            ;   in Loop: Header=BB659_213 Depth=1
	s_or_b64 exec, exec, s[12:13]
	v_lshrrev_b16_e32 v46, 8, v44
	v_cmp_ne_u16_e32 vcc, 0, v46
	v_mov_b32_e32 v50, 0
	v_mov_b32_e32 v51, 0
	s_and_saveexec_b64 s[12:13], vcc
	s_cbranch_execz .LBB659_513
; %bb.508:                              ;   in Loop: Header=BB659_213 Depth=1
	v_cmp_ne_u16_e32 vcc, s9, v46
	v_bfrev_b32_e32 v51, 1
	s_and_saveexec_b64 s[14:15], vcc
	s_cbranch_execz .LBB659_512
; %bb.509:                              ;   in Loop: Header=BB659_213 Depth=1
	v_and_b32_e32 v52, 0x7f, v46
	v_cmp_ne_u32_e32 vcc, s19, v52
	v_mov_b32_e32 v51, 0x7f800001
	s_and_saveexec_b64 s[16:17], vcc
	s_cbranch_execz .LBB659_511
; %bb.510:                              ;   in Loop: Header=BB659_213 Depth=1
	v_and_b32_e32 v51, 7, v46
	v_ffbh_u32_e32 v59, v51
	v_min_u32_e32 v59, 32, v59
	v_subrev_u32_e32 v60, 28, v59
	v_lshlrev_b64 v[60:61], v60, v[46:47]
	v_lshrrev_b32_e32 v53, 3, v52
	v_sub_u32_e32 v46, 29, v59
	v_and_b32_e32 v59, 7, v60
	v_cmp_gt_u32_e32 vcc, 8, v52
	v_cndmask_b32_e32 v46, v53, v46, vcc
	v_cndmask_b32_e32 v51, v51, v59, vcc
	v_lshlrev_b32_e32 v52, 16, v44
	v_lshlrev_b32_e32 v51, 20, v51
	v_and_b32_e32 v52, 0x80000000, v52
	v_lshl_add_u32 v46, v46, 23, v48
	v_or3_b32 v51, v52, v46, v51
.LBB659_511:                            ;   in Loop: Header=BB659_213 Depth=1
	s_or_b64 exec, exec, s[16:17]
.LBB659_512:                            ;   in Loop: Header=BB659_213 Depth=1
	s_or_b64 exec, exec, s[14:15]
.LBB659_513:                            ;   in Loop: Header=BB659_213 Depth=1
	s_or_b64 exec, exec, s[12:13]
	v_lshrrev_b32_e32 v46, 16, v44
	v_cmp_ne_u16_sdwa s[14:15], v46, v47 src0_sel:BYTE_0 src1_sel:DWORD
	s_and_saveexec_b64 s[12:13], s[14:15]
	s_cbranch_execz .LBB659_519
; %bb.514:                              ;   in Loop: Header=BB659_213 Depth=1
	v_cmp_ne_u16_sdwa s[16:17], v46, s9 src0_sel:BYTE_0 src1_sel:DWORD
	v_bfrev_b32_e32 v50, 1
	s_and_saveexec_b64 s[14:15], s[16:17]
	s_cbranch_execz .LBB659_518
; %bb.515:                              ;   in Loop: Header=BB659_213 Depth=1
	v_bfe_u32 v52, v44, 16, 7
	v_cmp_ne_u32_e32 vcc, s19, v52
	v_mov_b32_e32 v50, 0x7f800001
	s_and_saveexec_b64 s[16:17], vcc
	s_cbranch_execz .LBB659_517
; %bb.516:                              ;   in Loop: Header=BB659_213 Depth=1
	v_and_b32_e32 v50, 7, v46
	v_ffbh_u32_e32 v59, v50
	v_min_u32_e32 v59, 32, v59
	v_subrev_u32_e32 v60, 28, v59
	v_lshlrev_b64 v[60:61], v60, v[46:47]
	v_lshrrev_b32_e32 v53, 3, v52
	v_sub_u32_e32 v59, 29, v59
	v_and_b32_e32 v60, 7, v60
	v_cmp_gt_u32_e32 vcc, 8, v52
	v_cndmask_b32_e32 v52, v53, v59, vcc
	v_cndmask_b32_e32 v50, v50, v60, vcc
	v_lshlrev_b32_e32 v46, 24, v46
	v_lshlrev_b32_e32 v50, 20, v50
	v_and_b32_e32 v46, 0x80000000, v46
	v_lshl_add_u32 v52, v52, 23, v48
	v_or3_b32 v50, v46, v52, v50
.LBB659_517:                            ;   in Loop: Header=BB659_213 Depth=1
	s_or_b64 exec, exec, s[16:17]
.LBB659_518:                            ;   in Loop: Header=BB659_213 Depth=1
	s_or_b64 exec, exec, s[14:15]
.LBB659_519:                            ;   in Loop: Header=BB659_213 Depth=1
	s_or_b64 exec, exec, s[12:13]
	v_cmp_lt_u32_e32 vcc, s20, v44
	v_mov_b32_e32 v52, 0
	v_mov_b32_e32 v53, 0
	s_and_saveexec_b64 s[12:13], vcc
	s_cbranch_execz .LBB659_525
; %bb.520:                              ;   in Loop: Header=BB659_213 Depth=1
	v_lshrrev_b32_e32 v46, 24, v44
	v_cmp_ne_u32_e32 vcc, s9, v46
	v_bfrev_b32_e32 v53, 1
	s_and_saveexec_b64 s[14:15], vcc
	s_cbranch_execz .LBB659_524
; %bb.521:                              ;   in Loop: Header=BB659_213 Depth=1
	v_bfe_u32 v44, v44, 24, 7
	v_cmp_ne_u32_e32 vcc, s19, v44
	v_mov_b32_e32 v53, 0x7f800001
	s_and_saveexec_b64 s[16:17], vcc
	s_cbranch_execz .LBB659_523
; %bb.522:                              ;   in Loop: Header=BB659_213 Depth=1
	v_and_b32_e32 v53, 7, v46
	v_ffbh_u32_e32 v60, v53
	v_min_u32_e32 v62, 32, v60
	v_subrev_u32_e32 v60, 28, v62
	v_lshlrev_b64 v[60:61], v60, v[46:47]
	v_lshrrev_b32_e32 v59, 3, v44
	v_sub_u32_e32 v61, 29, v62
	v_and_b32_e32 v60, 7, v60
	v_cmp_gt_u32_e32 vcc, 8, v44
	v_cndmask_b32_e32 v44, v59, v61, vcc
	v_cndmask_b32_e32 v53, v53, v60, vcc
	v_lshlrev_b32_e32 v46, 24, v46
	v_lshlrev_b32_e32 v53, 20, v53
	v_and_b32_e32 v46, 0x80000000, v46
	v_lshl_add_u32 v44, v44, 23, v48
	v_or3_b32 v53, v46, v44, v53
.LBB659_523:                            ;   in Loop: Header=BB659_213 Depth=1
	s_or_b64 exec, exec, s[16:17]
.LBB659_524:                            ;   in Loop: Header=BB659_213 Depth=1
	s_or_b64 exec, exec, s[14:15]
.LBB659_525:                            ;   in Loop: Header=BB659_213 Depth=1
	s_or_b64 exec, exec, s[12:13]
	s_waitcnt vmcnt(2)
	v_cmp_ne_u16_sdwa s[14:15], v42, v47 src0_sel:BYTE_0 src1_sel:DWORD
	s_and_saveexec_b64 s[12:13], s[14:15]
	s_cbranch_execz .LBB659_531
; %bb.526:                              ;   in Loop: Header=BB659_213 Depth=1
	v_cmp_ne_u16_sdwa s[16:17], v42, s9 src0_sel:BYTE_0 src1_sel:DWORD
	v_bfrev_b32_e32 v52, 1
	s_and_saveexec_b64 s[14:15], s[16:17]
	s_cbranch_execz .LBB659_530
; %bb.527:                              ;   in Loop: Header=BB659_213 Depth=1
	v_and_b32_e32 v44, 0x7f, v42
	v_cmp_ne_u32_e32 vcc, s19, v44
	v_mov_b32_e32 v52, 0x7f800001
	s_and_saveexec_b64 s[16:17], vcc
	s_cbranch_execz .LBB659_529
; %bb.528:                              ;   in Loop: Header=BB659_213 Depth=1
	v_and_b32_e32 v46, 7, v42
	v_ffbh_u32_e32 v59, v46
	v_min_u32_e32 v59, 32, v59
	v_subrev_u32_e32 v60, 28, v59
	v_lshlrev_b64 v[60:61], v60, v[42:43]
	v_lshrrev_b32_e32 v52, 3, v44
	v_sub_u32_e32 v59, 29, v59
	v_and_b32_e32 v60, 7, v60
	v_cmp_gt_u32_e32 vcc, 8, v44
	v_cndmask_b32_e32 v44, v52, v59, vcc
	v_cndmask_b32_e32 v46, v46, v60, vcc
	v_lshlrev_b32_e32 v52, 24, v42
	v_lshlrev_b32_e32 v46, 20, v46
	v_and_b32_e32 v52, 0x80000000, v52
	v_lshl_add_u32 v44, v44, 23, v48
	v_or3_b32 v52, v52, v44, v46
.LBB659_529:                            ;   in Loop: Header=BB659_213 Depth=1
	s_or_b64 exec, exec, s[16:17]
.LBB659_530:                            ;   in Loop: Header=BB659_213 Depth=1
	s_or_b64 exec, exec, s[14:15]
.LBB659_531:                            ;   in Loop: Header=BB659_213 Depth=1
	s_or_b64 exec, exec, s[12:13]
	v_lshrrev_b16_e32 v44, 8, v42
	v_cmp_ne_u16_e32 vcc, 0, v44
	v_mov_b32_e32 v59, 0
	v_mov_b32_e32 v60, 0
	s_and_saveexec_b64 s[12:13], vcc
	s_cbranch_execz .LBB659_537
; %bb.532:                              ;   in Loop: Header=BB659_213 Depth=1
	v_cmp_ne_u16_e32 vcc, s9, v44
	v_bfrev_b32_e32 v60, 1
	s_and_saveexec_b64 s[14:15], vcc
	s_cbranch_execz .LBB659_536
; %bb.533:                              ;   in Loop: Header=BB659_213 Depth=1
	v_and_b32_e32 v46, 0x7f, v44
	v_cmp_ne_u32_e32 vcc, s19, v46
	v_mov_b32_e32 v60, 0x7f800001
	s_and_saveexec_b64 s[16:17], vcc
	s_cbranch_execz .LBB659_535
; %bb.534:                              ;   in Loop: Header=BB659_213 Depth=1
	v_and_b32_e32 v62, 7, v44
	v_ffbh_u32_e32 v60, v62
	v_min_u32_e32 v64, 32, v60
	v_subrev_u32_e32 v60, 28, v64
	v_lshlrev_b64 v[60:61], v60, v[44:45]
	v_lshrrev_b32_e32 v63, 3, v46
	v_sub_u32_e32 v44, 29, v64
	v_and_b32_e32 v60, 7, v60
	v_cmp_gt_u32_e32 vcc, 8, v46
	v_cndmask_b32_e32 v44, v63, v44, vcc
	v_cndmask_b32_e32 v46, v62, v60, vcc
	v_lshlrev_b32_e32 v60, 16, v42
	v_lshlrev_b32_e32 v46, 20, v46
	v_and_b32_e32 v60, 0x80000000, v60
	v_lshl_add_u32 v44, v44, 23, v48
	v_or3_b32 v60, v60, v44, v46
.LBB659_535:                            ;   in Loop: Header=BB659_213 Depth=1
	s_or_b64 exec, exec, s[16:17]
.LBB659_536:                            ;   in Loop: Header=BB659_213 Depth=1
	s_or_b64 exec, exec, s[14:15]
.LBB659_537:                            ;   in Loop: Header=BB659_213 Depth=1
	s_or_b64 exec, exec, s[12:13]
	v_lshrrev_b32_e32 v44, 16, v42
	v_cmp_ne_u16_sdwa s[14:15], v44, v47 src0_sel:BYTE_0 src1_sel:DWORD
	s_and_saveexec_b64 s[12:13], s[14:15]
	s_cbranch_execz .LBB659_543
; %bb.538:                              ;   in Loop: Header=BB659_213 Depth=1
	v_cmp_ne_u16_sdwa s[16:17], v44, s9 src0_sel:BYTE_0 src1_sel:DWORD
	v_bfrev_b32_e32 v59, 1
	s_and_saveexec_b64 s[14:15], s[16:17]
	s_cbranch_execz .LBB659_542
; %bb.539:                              ;   in Loop: Header=BB659_213 Depth=1
	v_bfe_u32 v46, v42, 16, 7
	v_cmp_ne_u32_e32 vcc, s19, v46
	v_mov_b32_e32 v59, 0x7f800001
	s_and_saveexec_b64 s[16:17], vcc
	s_cbranch_execz .LBB659_541
; %bb.540:                              ;   in Loop: Header=BB659_213 Depth=1
	v_and_b32_e32 v59, 7, v44
	v_ffbh_u32_e32 v62, v59
	v_min_u32_e32 v64, 32, v62
	v_subrev_u32_e32 v62, 28, v64
	v_lshlrev_b64 v[62:63], v62, v[44:45]
	v_lshrrev_b32_e32 v61, 3, v46
	v_sub_u32_e32 v63, 29, v64
	v_and_b32_e32 v62, 7, v62
	v_cmp_gt_u32_e32 vcc, 8, v46
	v_cndmask_b32_e32 v46, v61, v63, vcc
	v_cndmask_b32_e32 v59, v59, v62, vcc
	v_lshlrev_b32_e32 v44, 24, v44
	v_lshlrev_b32_e32 v59, 20, v59
	v_and_b32_e32 v44, 0x80000000, v44
	v_lshl_add_u32 v46, v46, 23, v48
	v_or3_b32 v59, v44, v46, v59
.LBB659_541:                            ;   in Loop: Header=BB659_213 Depth=1
	s_or_b64 exec, exec, s[16:17]
.LBB659_542:                            ;   in Loop: Header=BB659_213 Depth=1
	s_or_b64 exec, exec, s[14:15]
.LBB659_543:                            ;   in Loop: Header=BB659_213 Depth=1
	s_or_b64 exec, exec, s[12:13]
	v_cmp_lt_u32_e32 vcc, s20, v42
	v_mov_b32_e32 v46, 0
	v_mov_b32_e32 v61, 0
	s_and_saveexec_b64 s[12:13], vcc
	s_cbranch_execz .LBB659_549
; %bb.544:                              ;   in Loop: Header=BB659_213 Depth=1
	v_lshrrev_b32_e32 v44, 24, v42
	v_cmp_ne_u32_e32 vcc, s9, v44
	v_bfrev_b32_e32 v61, 1
	s_and_saveexec_b64 s[14:15], vcc
	s_cbranch_execz .LBB659_548
; %bb.545:                              ;   in Loop: Header=BB659_213 Depth=1
	v_bfe_u32 v42, v42, 24, 7
	v_cmp_ne_u32_e32 vcc, s19, v42
	v_mov_b32_e32 v61, 0x7f800001
	s_and_saveexec_b64 s[16:17], vcc
	s_cbranch_execz .LBB659_547
; %bb.546:                              ;   in Loop: Header=BB659_213 Depth=1
	v_and_b32_e32 v61, 7, v44
	v_ffbh_u32_e32 v62, v61
	v_min_u32_e32 v65, 32, v62
	v_subrev_u32_e32 v62, 28, v65
	v_lshlrev_b64 v[62:63], v62, v[44:45]
	v_lshrrev_b32_e32 v64, 3, v42
	v_sub_u32_e32 v63, 29, v65
	v_and_b32_e32 v62, 7, v62
	v_cmp_gt_u32_e32 vcc, 8, v42
	v_cndmask_b32_e32 v42, v64, v63, vcc
	v_cndmask_b32_e32 v61, v61, v62, vcc
	v_lshlrev_b32_e32 v44, 24, v44
	v_lshlrev_b32_e32 v61, 20, v61
	v_and_b32_e32 v44, 0x80000000, v44
	v_lshl_add_u32 v42, v42, 23, v48
	v_or3_b32 v61, v44, v42, v61
.LBB659_547:                            ;   in Loop: Header=BB659_213 Depth=1
	s_or_b64 exec, exec, s[16:17]
.LBB659_548:                            ;   in Loop: Header=BB659_213 Depth=1
	s_or_b64 exec, exec, s[14:15]
.LBB659_549:                            ;   in Loop: Header=BB659_213 Depth=1
	s_or_b64 exec, exec, s[12:13]
	v_cvt_pkrtz_f16_f32 v62, v49, v51
	v_cvt_pkrtz_f16_f32 v63, v50, v53
	;; [unrolled: 1-line block ×4, first 2 shown]
	s_waitcnt vmcnt(1)
	v_cmp_ne_u16_sdwa s[14:15], v40, v47 src0_sel:BYTE_0 src1_sel:DWORD
	v_mfma_f32_16x16x16f16 v[34:37], v[62:63], v[26:27], v[34:37]
	v_mfma_f32_16x16x16f16 v[34:37], v[50:51], v[28:29], v[34:37]
	s_and_saveexec_b64 s[12:13], s[14:15]
	s_cbranch_execz .LBB659_555
; %bb.550:                              ;   in Loop: Header=BB659_213 Depth=1
	v_cmp_ne_u16_sdwa s[16:17], v40, s9 src0_sel:BYTE_0 src1_sel:DWORD
	v_bfrev_b32_e32 v46, 1
	s_and_saveexec_b64 s[14:15], s[16:17]
	s_cbranch_execz .LBB659_554
; %bb.551:                              ;   in Loop: Header=BB659_213 Depth=1
	v_and_b32_e32 v42, 0x7f, v40
	v_cmp_ne_u32_e32 vcc, s19, v42
	v_mov_b32_e32 v46, 0x7f800001
	s_and_saveexec_b64 s[16:17], vcc
	s_cbranch_execz .LBB659_553
; %bb.552:                              ;   in Loop: Header=BB659_213 Depth=1
	v_and_b32_e32 v44, 7, v40
	v_ffbh_u32_e32 v49, v44
	v_min_u32_e32 v49, 32, v49
	v_subrev_u32_e32 v50, 28, v49
	v_lshlrev_b64 v[50:51], v50, v[40:41]
	v_lshrrev_b32_e32 v46, 3, v42
	v_sub_u32_e32 v49, 29, v49
	v_and_b32_e32 v50, 7, v50
	v_cmp_gt_u32_e32 vcc, 8, v42
	v_cndmask_b32_e32 v42, v46, v49, vcc
	v_cndmask_b32_e32 v44, v44, v50, vcc
	v_lshlrev_b32_e32 v46, 24, v40
	v_lshlrev_b32_e32 v44, 20, v44
	v_and_b32_e32 v46, 0x80000000, v46
	v_lshl_add_u32 v42, v42, 23, v48
	v_or3_b32 v46, v46, v42, v44
.LBB659_553:                            ;   in Loop: Header=BB659_213 Depth=1
	s_or_b64 exec, exec, s[16:17]
.LBB659_554:                            ;   in Loop: Header=BB659_213 Depth=1
	s_or_b64 exec, exec, s[14:15]
.LBB659_555:                            ;   in Loop: Header=BB659_213 Depth=1
	s_or_b64 exec, exec, s[12:13]
	v_lshrrev_b16_e32 v42, 8, v40
	v_cmp_ne_u16_e32 vcc, 0, v42
	v_mov_b32_e32 v44, 0
	v_mov_b32_e32 v49, 0
	s_and_saveexec_b64 s[12:13], vcc
	s_cbranch_execz .LBB659_561
; %bb.556:                              ;   in Loop: Header=BB659_213 Depth=1
	v_cmp_ne_u16_e32 vcc, s9, v42
	v_bfrev_b32_e32 v49, 1
	s_and_saveexec_b64 s[14:15], vcc
	s_cbranch_execz .LBB659_560
; %bb.557:                              ;   in Loop: Header=BB659_213 Depth=1
	v_and_b32_e32 v50, 0x7f, v42
	v_cmp_ne_u32_e32 vcc, s19, v50
	v_mov_b32_e32 v49, 0x7f800001
	s_and_saveexec_b64 s[16:17], vcc
	s_cbranch_execz .LBB659_559
; %bb.558:                              ;   in Loop: Header=BB659_213 Depth=1
	v_and_b32_e32 v49, 7, v42
	v_ffbh_u32_e32 v52, v49
	v_min_u32_e32 v59, 32, v52
	v_subrev_u32_e32 v52, 28, v59
	v_lshlrev_b64 v[52:53], v52, v[42:43]
	v_lshrrev_b32_e32 v51, 3, v50
	v_sub_u32_e32 v42, 29, v59
	v_and_b32_e32 v52, 7, v52
	v_cmp_gt_u32_e32 vcc, 8, v50
	v_cndmask_b32_e32 v42, v51, v42, vcc
	v_cndmask_b32_e32 v49, v49, v52, vcc
	v_lshlrev_b32_e32 v50, 16, v40
	v_lshlrev_b32_e32 v49, 20, v49
	v_and_b32_e32 v50, 0x80000000, v50
	v_lshl_add_u32 v42, v42, 23, v48
	v_or3_b32 v49, v50, v42, v49
.LBB659_559:                            ;   in Loop: Header=BB659_213 Depth=1
	s_or_b64 exec, exec, s[16:17]
.LBB659_560:                            ;   in Loop: Header=BB659_213 Depth=1
	s_or_b64 exec, exec, s[14:15]
.LBB659_561:                            ;   in Loop: Header=BB659_213 Depth=1
	s_or_b64 exec, exec, s[12:13]
	v_lshrrev_b32_e32 v42, 16, v40
	v_cmp_ne_u16_sdwa s[14:15], v42, v47 src0_sel:BYTE_0 src1_sel:DWORD
	s_and_saveexec_b64 s[12:13], s[14:15]
	s_cbranch_execz .LBB659_567
; %bb.562:                              ;   in Loop: Header=BB659_213 Depth=1
	v_cmp_ne_u16_sdwa s[16:17], v42, s9 src0_sel:BYTE_0 src1_sel:DWORD
	v_bfrev_b32_e32 v44, 1
	s_and_saveexec_b64 s[14:15], s[16:17]
	s_cbranch_execz .LBB659_566
; %bb.563:                              ;   in Loop: Header=BB659_213 Depth=1
	v_bfe_u32 v50, v40, 16, 7
	v_cmp_ne_u32_e32 vcc, s19, v50
	v_mov_b32_e32 v44, 0x7f800001
	s_and_saveexec_b64 s[16:17], vcc
	s_cbranch_execz .LBB659_565
; %bb.564:                              ;   in Loop: Header=BB659_213 Depth=1
	v_and_b32_e32 v44, 7, v42
	v_ffbh_u32_e32 v52, v44
	v_min_u32_e32 v59, 32, v52
	v_subrev_u32_e32 v52, 28, v59
	v_lshlrev_b64 v[52:53], v52, v[42:43]
	v_lshrrev_b32_e32 v51, 3, v50
	v_sub_u32_e32 v53, 29, v59
	v_and_b32_e32 v52, 7, v52
	v_cmp_gt_u32_e32 vcc, 8, v50
	v_cndmask_b32_e32 v50, v51, v53, vcc
	v_cndmask_b32_e32 v44, v44, v52, vcc
	v_lshlrev_b32_e32 v42, 24, v42
	v_lshlrev_b32_e32 v44, 20, v44
	v_and_b32_e32 v42, 0x80000000, v42
	v_lshl_add_u32 v50, v50, 23, v48
	v_or3_b32 v44, v42, v50, v44
.LBB659_565:                            ;   in Loop: Header=BB659_213 Depth=1
	s_or_b64 exec, exec, s[16:17]
.LBB659_566:                            ;   in Loop: Header=BB659_213 Depth=1
	s_or_b64 exec, exec, s[14:15]
.LBB659_567:                            ;   in Loop: Header=BB659_213 Depth=1
	s_or_b64 exec, exec, s[12:13]
	v_cmp_lt_u32_e32 vcc, s20, v40
	v_mov_b32_e32 v50, 0
	v_mov_b32_e32 v51, 0
	s_and_saveexec_b64 s[12:13], vcc
	s_cbranch_execz .LBB659_573
; %bb.568:                              ;   in Loop: Header=BB659_213 Depth=1
	v_lshrrev_b32_e32 v42, 24, v40
	v_cmp_ne_u32_e32 vcc, s9, v42
	v_bfrev_b32_e32 v51, 1
	s_and_saveexec_b64 s[14:15], vcc
	s_cbranch_execz .LBB659_572
; %bb.569:                              ;   in Loop: Header=BB659_213 Depth=1
	v_bfe_u32 v40, v40, 24, 7
	v_cmp_ne_u32_e32 vcc, s19, v40
	v_mov_b32_e32 v51, 0x7f800001
	s_and_saveexec_b64 s[16:17], vcc
	s_cbranch_execz .LBB659_571
; %bb.570:                              ;   in Loop: Header=BB659_213 Depth=1
	v_and_b32_e32 v51, 7, v42
	v_ffbh_u32_e32 v52, v51
	v_min_u32_e32 v60, 32, v52
	v_subrev_u32_e32 v52, 28, v60
	v_lshlrev_b64 v[52:53], v52, v[42:43]
	v_lshrrev_b32_e32 v59, 3, v40
	v_sub_u32_e32 v53, 29, v60
	v_and_b32_e32 v52, 7, v52
	v_cmp_gt_u32_e32 vcc, 8, v40
	v_cndmask_b32_e32 v40, v59, v53, vcc
	v_cndmask_b32_e32 v51, v51, v52, vcc
	v_lshlrev_b32_e32 v42, 24, v42
	v_lshlrev_b32_e32 v51, 20, v51
	v_and_b32_e32 v42, 0x80000000, v42
	v_lshl_add_u32 v40, v40, 23, v48
	v_or3_b32 v51, v42, v40, v51
.LBB659_571:                            ;   in Loop: Header=BB659_213 Depth=1
	s_or_b64 exec, exec, s[16:17]
.LBB659_572:                            ;   in Loop: Header=BB659_213 Depth=1
	s_or_b64 exec, exec, s[14:15]
.LBB659_573:                            ;   in Loop: Header=BB659_213 Depth=1
	s_or_b64 exec, exec, s[12:13]
	s_waitcnt vmcnt(0)
	v_cmp_ne_u16_sdwa s[14:15], v38, v47 src0_sel:BYTE_0 src1_sel:DWORD
	s_and_saveexec_b64 s[12:13], s[14:15]
	s_cbranch_execz .LBB659_579
; %bb.574:                              ;   in Loop: Header=BB659_213 Depth=1
	v_cmp_ne_u16_sdwa s[16:17], v38, s9 src0_sel:BYTE_0 src1_sel:DWORD
	v_bfrev_b32_e32 v50, 1
	s_and_saveexec_b64 s[14:15], s[16:17]
	s_cbranch_execz .LBB659_578
; %bb.575:                              ;   in Loop: Header=BB659_213 Depth=1
	v_and_b32_e32 v40, 0x7f, v38
	v_cmp_ne_u32_e32 vcc, s19, v40
	v_mov_b32_e32 v50, 0x7f800001
	s_and_saveexec_b64 s[16:17], vcc
	s_cbranch_execz .LBB659_577
; %bb.576:                              ;   in Loop: Header=BB659_213 Depth=1
	v_and_b32_e32 v42, 7, v38
	v_ffbh_u32_e32 v52, v42
	v_min_u32_e32 v59, 32, v52
	v_subrev_u32_e32 v52, 28, v59
	v_lshlrev_b64 v[52:53], v52, v[38:39]
	v_lshrrev_b32_e32 v50, 3, v40
	v_sub_u32_e32 v53, 29, v59
	v_and_b32_e32 v52, 7, v52
	v_cmp_gt_u32_e32 vcc, 8, v40
	v_cndmask_b32_e32 v40, v50, v53, vcc
	v_cndmask_b32_e32 v42, v42, v52, vcc
	v_lshlrev_b32_e32 v50, 24, v38
	v_lshlrev_b32_e32 v42, 20, v42
	v_and_b32_e32 v50, 0x80000000, v50
	v_lshl_add_u32 v40, v40, 23, v48
	v_or3_b32 v50, v50, v40, v42
.LBB659_577:                            ;   in Loop: Header=BB659_213 Depth=1
	s_or_b64 exec, exec, s[16:17]
.LBB659_578:                            ;   in Loop: Header=BB659_213 Depth=1
	s_or_b64 exec, exec, s[14:15]
.LBB659_579:                            ;   in Loop: Header=BB659_213 Depth=1
	s_or_b64 exec, exec, s[12:13]
	v_lshrrev_b16_e32 v40, 8, v38
	v_cmp_ne_u16_e32 vcc, 0, v40
	v_mov_b32_e32 v42, 0
	v_mov_b32_e32 v52, 0
	s_and_saveexec_b64 s[12:13], vcc
	s_cbranch_execz .LBB659_585
; %bb.580:                              ;   in Loop: Header=BB659_213 Depth=1
	v_cmp_ne_u16_e32 vcc, s9, v40
	v_bfrev_b32_e32 v52, 1
	s_and_saveexec_b64 s[14:15], vcc
	s_cbranch_execz .LBB659_584
; %bb.581:                              ;   in Loop: Header=BB659_213 Depth=1
	v_and_b32_e32 v53, 0x7f, v40
	v_cmp_ne_u32_e32 vcc, s19, v53
	v_mov_b32_e32 v52, 0x7f800001
	s_and_saveexec_b64 s[16:17], vcc
	s_cbranch_execz .LBB659_583
; %bb.582:                              ;   in Loop: Header=BB659_213 Depth=1
	v_and_b32_e32 v52, 7, v40
	v_ffbh_u32_e32 v60, v52
	v_min_u32_e32 v62, 32, v60
	v_subrev_u32_e32 v60, 28, v62
	v_lshlrev_b64 v[60:61], v60, v[40:41]
	v_lshrrev_b32_e32 v59, 3, v53
	v_sub_u32_e32 v40, 29, v62
	v_and_b32_e32 v60, 7, v60
	v_cmp_gt_u32_e32 vcc, 8, v53
	v_cndmask_b32_e32 v40, v59, v40, vcc
	v_cndmask_b32_e32 v52, v52, v60, vcc
	v_lshlrev_b32_e32 v53, 16, v38
	v_lshlrev_b32_e32 v52, 20, v52
	v_and_b32_e32 v53, 0x80000000, v53
	v_lshl_add_u32 v40, v40, 23, v48
	v_or3_b32 v52, v53, v40, v52
.LBB659_583:                            ;   in Loop: Header=BB659_213 Depth=1
	s_or_b64 exec, exec, s[16:17]
.LBB659_584:                            ;   in Loop: Header=BB659_213 Depth=1
	s_or_b64 exec, exec, s[14:15]
.LBB659_585:                            ;   in Loop: Header=BB659_213 Depth=1
	s_or_b64 exec, exec, s[12:13]
	v_lshrrev_b32_e32 v40, 16, v38
	v_cmp_ne_u16_sdwa s[14:15], v40, v47 src0_sel:BYTE_0 src1_sel:DWORD
	s_and_saveexec_b64 s[12:13], s[14:15]
	s_cbranch_execz .LBB659_591
; %bb.586:                              ;   in Loop: Header=BB659_213 Depth=1
	v_cmp_ne_u16_sdwa s[16:17], v40, s9 src0_sel:BYTE_0 src1_sel:DWORD
	v_bfrev_b32_e32 v42, 1
	s_and_saveexec_b64 s[14:15], s[16:17]
	s_cbranch_execz .LBB659_590
; %bb.587:                              ;   in Loop: Header=BB659_213 Depth=1
	v_bfe_u32 v53, v38, 16, 7
	v_cmp_ne_u32_e32 vcc, s19, v53
	v_mov_b32_e32 v42, 0x7f800001
	s_and_saveexec_b64 s[16:17], vcc
	s_cbranch_execz .LBB659_589
; %bb.588:                              ;   in Loop: Header=BB659_213 Depth=1
	v_and_b32_e32 v42, 7, v40
	v_ffbh_u32_e32 v60, v42
	v_min_u32_e32 v62, 32, v60
	v_subrev_u32_e32 v60, 28, v62
	v_lshlrev_b64 v[60:61], v60, v[40:41]
	v_lshrrev_b32_e32 v59, 3, v53
	v_sub_u32_e32 v61, 29, v62
	v_and_b32_e32 v60, 7, v60
	v_cmp_gt_u32_e32 vcc, 8, v53
	v_cndmask_b32_e32 v53, v59, v61, vcc
	v_cndmask_b32_e32 v42, v42, v60, vcc
	v_lshlrev_b32_e32 v40, 24, v40
	v_lshlrev_b32_e32 v42, 20, v42
	v_and_b32_e32 v40, 0x80000000, v40
	v_lshl_add_u32 v53, v53, 23, v48
	v_or3_b32 v42, v40, v53, v42
.LBB659_589:                            ;   in Loop: Header=BB659_213 Depth=1
	s_or_b64 exec, exec, s[16:17]
.LBB659_590:                            ;   in Loop: Header=BB659_213 Depth=1
	s_or_b64 exec, exec, s[14:15]
.LBB659_591:                            ;   in Loop: Header=BB659_213 Depth=1
	s_or_b64 exec, exec, s[12:13]
	v_cmp_lt_u32_e32 vcc, s20, v38
	v_mov_b32_e32 v53, 0
	s_and_saveexec_b64 s[12:13], vcc
	s_cbranch_execz .LBB659_212
; %bb.592:                              ;   in Loop: Header=BB659_213 Depth=1
	v_lshrrev_b32_e32 v40, 24, v38
	v_cmp_ne_u32_e32 vcc, s9, v40
	v_bfrev_b32_e32 v53, 1
	s_and_saveexec_b64 s[14:15], vcc
	s_cbranch_execz .LBB659_211
; %bb.593:                              ;   in Loop: Header=BB659_213 Depth=1
	v_bfe_u32 v38, v38, 24, 7
	v_cmp_ne_u32_e32 vcc, s19, v38
	v_mov_b32_e32 v53, 0x7f800001
	s_and_saveexec_b64 s[16:17], vcc
	s_cbranch_execz .LBB659_210
; %bb.594:                              ;   in Loop: Header=BB659_213 Depth=1
	v_and_b32_e32 v53, 7, v40
	v_ffbh_u32_e32 v60, v53
	v_min_u32_e32 v62, 32, v60
	v_subrev_u32_e32 v60, 28, v62
	v_lshlrev_b64 v[60:61], v60, v[40:41]
	v_lshrrev_b32_e32 v59, 3, v38
	v_sub_u32_e32 v61, 29, v62
	v_and_b32_e32 v60, 7, v60
	v_cmp_gt_u32_e32 vcc, 8, v38
	v_cndmask_b32_e32 v38, v59, v61, vcc
	v_cndmask_b32_e32 v53, v53, v60, vcc
	v_lshlrev_b32_e32 v40, 24, v40
	v_lshlrev_b32_e32 v53, 20, v53
	v_and_b32_e32 v40, 0x80000000, v40
	v_lshl_add_u32 v38, v38, 23, v48
	v_or3_b32 v53, v40, v38, v53
	s_branch .LBB659_210
.LBB659_595:
	s_barrier
	buffer_load_dword v2, off, s[0:3], 0 offset:320
	buffer_load_dword v5, off, s[0:3], 0 offset:332
	;; [unrolled: 1-line block ×4, first 2 shown]
	v_cmp_gt_u32_e32 vcc, 64, v0
	s_waitcnt vmcnt(0)
	ds_write2st64_b64 v43, v[2:3], v[4:5] offset1:1
	s_waitcnt lgkmcnt(0)
	s_barrier
	s_and_saveexec_b64 s[4:5], vcc
	s_cbranch_execz .LBB659_598
; %bb.596:
	s_lshl_b32 s4, s50, 7
	s_mul_i32 s5, s18, s8
	s_mul_hi_u32 s9, s5, s4
	s_mul_i32 s8, s5, s4
	s_lshl_b64 s[8:9], s[8:9], 1
	s_add_u32 s5, s48, s8
	v_lshlrev_b32_e32 v5, 6, v55
	s_mov_b32 s7, 0
	s_addc_u32 s8, s49, s9
	s_lshl_b32 s6, s24, 7
	v_lshl_or_b32 v0, v0, 10, v5
	s_lshl_b64 s[6:7], s[6:7], 1
	v_lshlrev_b32_e32 v3, 5, v1
	v_and_b32_e32 v4, 16, v56
	v_and_b32_e32 v0, 0x1a00, v0
	s_add_u32 s5, s5, s6
	v_or_b32_e32 v2, 4, v1
	v_or3_b32 v0, v0, v3, v4
	s_addc_u32 s6, s8, s7
	v_add_u32_e32 v1, s25, v1
	v_mov_b32_e32 v4, s6
	v_add_co_u32_e32 v3, vcc, s5, v54
	ds_read_b128 v[6:9], v0
	v_mad_u64_u32 v[10:11], s[6:7], v1, s4, 0
	v_addc_co_u32_e32 v4, vcc, 0, v4, vcc
	v_lshlrev_b64 v[10:11], 1, v[10:11]
	v_add_co_u32_e32 v10, vcc, v3, v10
	v_addc_co_u32_e32 v11, vcc, v4, v11, vcc
	v_cmp_gt_u32_e32 vcc, 6, v2
	s_waitcnt lgkmcnt(0)
	global_store_dwordx4 v[10:11], v[6:9], off
	s_and_b64 exec, exec, vcc
	s_cbranch_execz .LBB659_598
; %bb.597:
	ds_read_b128 v[6:9], v0 offset:128
	v_add_u32_e32 v0, s25, v2
	v_mad_u64_u32 v[0:1], s[4:5], v0, s4, 0
	v_lshlrev_b64 v[0:1], 1, v[0:1]
	v_add_co_u32_e32 v0, vcc, v3, v0
	v_addc_co_u32_e32 v1, vcc, v4, v1, vcc
	s_waitcnt lgkmcnt(0)
	global_store_dwordx4 v[0:1], v[6:9], off
.LBB659_598:
	s_endpgm
	.section	.rodata,"a",@progbits
	.p2align	6, 0x0
	.amdhsa_kernel _Z39paged_attention_ll4mi_QKV_mfma16_kernelIDF16_hLN4vllm18Fp8KVCacheDataTypeE1EDF16_Li32ELi128ELi256ELb0ELi6EL8MFMAType0EEvPKT_PKT0_S8_ifPKiSA_SA_iPKfiiiPfSD_PS3_PT2_iSC_SC_
		.amdhsa_group_segment_fixed_size 8192
		.amdhsa_private_segment_fixed_size 352
		.amdhsa_kernarg_size 400
		.amdhsa_user_sgpr_count 8
		.amdhsa_user_sgpr_private_segment_buffer 1
		.amdhsa_user_sgpr_dispatch_ptr 0
		.amdhsa_user_sgpr_queue_ptr 0
		.amdhsa_user_sgpr_kernarg_segment_ptr 1
		.amdhsa_user_sgpr_dispatch_id 0
		.amdhsa_user_sgpr_flat_scratch_init 1
		.amdhsa_user_sgpr_kernarg_preload_length 0
		.amdhsa_user_sgpr_kernarg_preload_offset 0
		.amdhsa_user_sgpr_private_segment_size 0
		.amdhsa_uses_dynamic_stack 0
		.amdhsa_system_sgpr_private_segment_wavefront_offset 1
		.amdhsa_system_sgpr_workgroup_id_x 1
		.amdhsa_system_sgpr_workgroup_id_y 1
		.amdhsa_system_sgpr_workgroup_id_z 1
		.amdhsa_system_sgpr_workgroup_info 0
		.amdhsa_system_vgpr_workitem_id 0
		.amdhsa_next_free_vgpr 78
		.amdhsa_next_free_sgpr 53
		.amdhsa_accum_offset 80
		.amdhsa_reserve_vcc 1
		.amdhsa_reserve_flat_scratch 0
		.amdhsa_float_round_mode_32 0
		.amdhsa_float_round_mode_16_64 0
		.amdhsa_float_denorm_mode_32 3
		.amdhsa_float_denorm_mode_16_64 3
		.amdhsa_dx10_clamp 1
		.amdhsa_ieee_mode 1
		.amdhsa_fp16_overflow 0
		.amdhsa_tg_split 0
		.amdhsa_exception_fp_ieee_invalid_op 0
		.amdhsa_exception_fp_denorm_src 0
		.amdhsa_exception_fp_ieee_div_zero 0
		.amdhsa_exception_fp_ieee_overflow 0
		.amdhsa_exception_fp_ieee_underflow 0
		.amdhsa_exception_fp_ieee_inexact 0
		.amdhsa_exception_int_div_zero 0
	.end_amdhsa_kernel
	.section	.text._Z39paged_attention_ll4mi_QKV_mfma16_kernelIDF16_hLN4vllm18Fp8KVCacheDataTypeE1EDF16_Li32ELi128ELi256ELb0ELi6EL8MFMAType0EEvPKT_PKT0_S8_ifPKiSA_SA_iPKfiiiPfSD_PS3_PT2_iSC_SC_,"axG",@progbits,_Z39paged_attention_ll4mi_QKV_mfma16_kernelIDF16_hLN4vllm18Fp8KVCacheDataTypeE1EDF16_Li32ELi128ELi256ELb0ELi6EL8MFMAType0EEvPKT_PKT0_S8_ifPKiSA_SA_iPKfiiiPfSD_PS3_PT2_iSC_SC_,comdat
.Lfunc_end659:
	.size	_Z39paged_attention_ll4mi_QKV_mfma16_kernelIDF16_hLN4vllm18Fp8KVCacheDataTypeE1EDF16_Li32ELi128ELi256ELb0ELi6EL8MFMAType0EEvPKT_PKT0_S8_ifPKiSA_SA_iPKfiiiPfSD_PS3_PT2_iSC_SC_, .Lfunc_end659-_Z39paged_attention_ll4mi_QKV_mfma16_kernelIDF16_hLN4vllm18Fp8KVCacheDataTypeE1EDF16_Li32ELi128ELi256ELb0ELi6EL8MFMAType0EEvPKT_PKT0_S8_ifPKiSA_SA_iPKfiiiPfSD_PS3_PT2_iSC_SC_
                                        ; -- End function
	.section	.AMDGPU.csdata,"",@progbits
; Kernel info:
; codeLenInByte = 21216
; NumSgprs: 57
; NumVgprs: 78
; NumAgprs: 0
; TotalNumVgprs: 78
; ScratchSize: 352
; MemoryBound: 0
; FloatMode: 240
; IeeeMode: 1
; LDSByteSize: 8192 bytes/workgroup (compile time only)
; SGPRBlocks: 7
; VGPRBlocks: 9
; NumSGPRsForWavesPerEU: 57
; NumVGPRsForWavesPerEU: 78
; AccumOffset: 80
; Occupancy: 6
; WaveLimiterHint : 1
; COMPUTE_PGM_RSRC2:SCRATCH_EN: 1
; COMPUTE_PGM_RSRC2:USER_SGPR: 8
; COMPUTE_PGM_RSRC2:TRAP_HANDLER: 0
; COMPUTE_PGM_RSRC2:TGID_X_EN: 1
; COMPUTE_PGM_RSRC2:TGID_Y_EN: 1
; COMPUTE_PGM_RSRC2:TGID_Z_EN: 1
; COMPUTE_PGM_RSRC2:TIDIG_COMP_CNT: 0
; COMPUTE_PGM_RSRC3_GFX90A:ACCUM_OFFSET: 19
; COMPUTE_PGM_RSRC3_GFX90A:TG_SPLIT: 0
	.section	.text._Z39paged_attention_ll4mi_QKV_mfma16_kernelIDF16_hLN4vllm18Fp8KVCacheDataTypeE1EDF16_Li32ELi128ELi256ELb0ELi7EL8MFMAType0EEvPKT_PKT0_S8_ifPKiSA_SA_iPKfiiiPfSD_PS3_PT2_iSC_SC_,"axG",@progbits,_Z39paged_attention_ll4mi_QKV_mfma16_kernelIDF16_hLN4vllm18Fp8KVCacheDataTypeE1EDF16_Li32ELi128ELi256ELb0ELi7EL8MFMAType0EEvPKT_PKT0_S8_ifPKiSA_SA_iPKfiiiPfSD_PS3_PT2_iSC_SC_,comdat
	.protected	_Z39paged_attention_ll4mi_QKV_mfma16_kernelIDF16_hLN4vllm18Fp8KVCacheDataTypeE1EDF16_Li32ELi128ELi256ELb0ELi7EL8MFMAType0EEvPKT_PKT0_S8_ifPKiSA_SA_iPKfiiiPfSD_PS3_PT2_iSC_SC_ ; -- Begin function _Z39paged_attention_ll4mi_QKV_mfma16_kernelIDF16_hLN4vllm18Fp8KVCacheDataTypeE1EDF16_Li32ELi128ELi256ELb0ELi7EL8MFMAType0EEvPKT_PKT0_S8_ifPKiSA_SA_iPKfiiiPfSD_PS3_PT2_iSC_SC_
	.globl	_Z39paged_attention_ll4mi_QKV_mfma16_kernelIDF16_hLN4vllm18Fp8KVCacheDataTypeE1EDF16_Li32ELi128ELi256ELb0ELi7EL8MFMAType0EEvPKT_PKT0_S8_ifPKiSA_SA_iPKfiiiPfSD_PS3_PT2_iSC_SC_
	.p2align	8
	.type	_Z39paged_attention_ll4mi_QKV_mfma16_kernelIDF16_hLN4vllm18Fp8KVCacheDataTypeE1EDF16_Li32ELi128ELi256ELb0ELi7EL8MFMAType0EEvPKT_PKT0_S8_ifPKiSA_SA_iPKfiiiPfSD_PS3_PT2_iSC_SC_,@function
_Z39paged_attention_ll4mi_QKV_mfma16_kernelIDF16_hLN4vllm18Fp8KVCacheDataTypeE1EDF16_Li32ELi128ELi256ELb0ELi7EL8MFMAType0EEvPKT_PKT0_S8_ifPKiSA_SA_iPKfiiiPfSD_PS3_PT2_iSC_SC_: ; @_Z39paged_attention_ll4mi_QKV_mfma16_kernelIDF16_hLN4vllm18Fp8KVCacheDataTypeE1EDF16_Li32ELi128ELi256ELb0ELi7EL8MFMAType0EEvPKT_PKT0_S8_ifPKiSA_SA_iPKfiiiPfSD_PS3_PT2_iSC_SC_
; %bb.0:
	s_load_dwordx2 s[6:7], s[4:5], 0x30
	s_add_u32 s0, s0, s11
	s_addc_u32 s1, s1, 0
	s_mov_b32 s24, s9
	s_mov_b64 s[12:13], 0
	s_waitcnt lgkmcnt(0)
	s_cmp_lg_u64 s[6:7], 0
	s_cselect_b64 s[16:17], -1, 0
	s_and_b64 vcc, exec, s[16:17]
	s_cbranch_vccz .LBB660_7
; %bb.1:
	s_add_i32 s14, s8, 1
	s_mov_b32 s15, 0
	s_lshl_b64 s[18:19], s[14:15], 2
	s_add_u32 s18, s6, s18
	s_mov_b32 s9, s15
	s_addc_u32 s19, s7, s19
	s_lshl_b64 s[14:15], s[8:9], 2
	s_add_u32 s14, s6, s14
	s_addc_u32 s15, s7, s15
	s_load_dword s11, s[18:19], 0x0
	s_load_dword s20, s[14:15], 0x0
	s_waitcnt lgkmcnt(0)
	s_sub_i32 s11, s11, s20
	s_cmp_eq_u32 s11, 1
	s_cselect_b64 s[14:15], -1, 0
	s_andn2_b64 vcc, exec, s[12:13]
	s_cbranch_vccnz .LBB660_3
.LBB660_2:
	s_mov_b32 s9, 0
	s_mov_b64 s[14:15], -1
.LBB660_3:
	s_andn2_b64 vcc, exec, s[14:15]
	s_cbranch_vccnz .LBB660_598
; %bb.4:
	s_load_dwordx2 s[12:13], s[4:5], 0x28
	s_lshl_b64 s[18:19], s[8:9], 2
	s_waitcnt lgkmcnt(0)
	s_add_u32 s12, s12, s18
	s_addc_u32 s13, s13, s19
	s_load_dword s33, s[12:13], 0x0
	s_lshl_b32 s20, s24, 8
	s_waitcnt lgkmcnt(0)
	s_cmp_ge_i32 s20, s33
	s_cbranch_scc1 .LBB660_598
; %bb.5:
	s_add_i32 s14, s33, 31
	s_load_dwordx2 s[12:13], s[4:5], 0x20
	s_load_dword s11, s[4:5], 0x38
	s_ashr_i32 s15, s14, 31
	v_and_b32_e32 v1, 0xcf, v0
	s_lshr_b32 s15, s15, 27
	v_add_u32_e32 v1, s20, v1
	s_add_i32 s14, s14, s15
	v_ashrrev_i32_e32 v2, 31, v1
	s_ashr_i32 s22, s14, 5
	v_lshrrev_b32_e32 v10, 27, v2
	s_add_i32 s22, s22, -1
	v_add_u32_e32 v2, v1, v10
	s_waitcnt lgkmcnt(0)
	s_mul_i32 s14, s8, s11
	s_mov_b32 s15, 0
	v_ashrrev_i32_e32 v2, 5, v2
	v_mov_b32_e32 v11, s22
	v_cmp_gt_i32_e32 vcc, s33, v1
	s_lshl_b64 s[14:15], s[14:15], 2
	v_cndmask_b32_e32 v2, v11, v2, vcc
	s_add_u32 s11, s12, s14
	v_ashrrev_i32_e32 v3, 31, v2
	s_addc_u32 s21, s13, s15
	v_lshlrev_b64 v[2:3], 2, v[2:3]
	v_mov_b32_e32 v5, s21
	v_add_co_u32_e32 v4, vcc, s11, v2
	v_or_b32_e32 v2, 16, v1
	v_addc_co_u32_e32 v5, vcc, v5, v3, vcc
	v_add_u32_e32 v3, v2, v10
	v_ashrrev_i32_e32 v3, 5, v3
	v_cmp_gt_i32_e32 vcc, s33, v2
	v_cndmask_b32_e32 v2, v11, v3, vcc
	v_ashrrev_i32_e32 v3, 31, v2
	v_lshlrev_b64 v[2:3], 2, v[2:3]
	v_mov_b32_e32 v7, s21
	v_add_co_u32_e32 v6, vcc, s11, v2
	v_or_b32_e32 v2, 32, v1
	v_addc_co_u32_e32 v7, vcc, v7, v3, vcc
	v_add_u32_e32 v3, v2, v10
	v_ashrrev_i32_e32 v3, 5, v3
	v_cmp_gt_i32_e32 vcc, s33, v2
	v_cndmask_b32_e32 v2, v11, v3, vcc
	v_ashrrev_i32_e32 v3, 31, v2
	;; [unrolled: 10-line block ×3, first 2 shown]
	v_lshlrev_b64 v[2:3], 2, v[2:3]
	v_mov_b32_e32 v1, s21
	v_add_co_u32_e32 v10, vcc, s11, v2
	v_addc_co_u32_e32 v11, vcc, v1, v3, vcc
	global_load_dword v2, v[4:5], off
	global_load_dword v13, v[6:7], off
	;; [unrolled: 1-line block ×4, first 2 shown]
	s_load_dwordx4 s[12:15], s[4:5], 0x8
	s_andn2_b64 vcc, exec, s[16:17]
	s_cbranch_vccnz .LBB660_8
; %bb.6:
	s_add_u32 s6, s6, s18
	s_addc_u32 s7, s7, s19
	s_load_dword s16, s[6:7], 0x0
	s_branch .LBB660_9
.LBB660_7:
	s_mov_b64 s[14:15], 0
	s_branch .LBB660_2
.LBB660_8:
	s_mov_b32 s16, s8
.LBB660_9:
	s_load_dwordx2 s[48:49], s[4:5], 0x68
	s_load_dwordx8 s[40:47], s[4:5], 0x48
	v_lshrrev_b32_e32 v62, 6, v0
	v_bfe_u32 v1, v0, 4, 2
	v_and_b32_e32 v55, 15, v0
	v_lshl_or_b32 v3, v62, 2, v1
	v_lshlrev_b32_e32 v4, 3, v55
	s_mul_i32 s25, s10, 7
	v_cmp_gt_u32_e32 vcc, 7, v3
	v_lshlrev_b32_e32 v54, 1, v4
	v_lshlrev_b32_e32 v56, 4, v0
	s_and_saveexec_b64 s[6:7], vcc
	s_cbranch_execz .LBB660_11
; %bb.10:
	s_load_dwordx2 s[18:19], s[4:5], 0x0
	s_waitcnt lgkmcnt(0)
	s_ashr_i32 s17, s40, 31
	s_mul_hi_u32 s23, s16, s40
	s_mul_i32 s17, s16, s17
	s_add_i32 s17, s23, s17
	s_mul_i32 s16, s16, s40
	s_lshl_b64 s[16:17], s[16:17], 1
	v_add_lshl_u32 v4, v3, s25, 7
	s_add_u32 s16, s18, s16
	v_ashrrev_i32_e32 v5, 31, v4
	s_addc_u32 s17, s19, s17
	v_lshlrev_b64 v[4:5], 1, v[4:5]
	v_mov_b32_e32 v6, s17
	v_add_co_u32_e32 v4, vcc, s16, v4
	v_addc_co_u32_e32 v5, vcc, v6, v5, vcc
	v_add_co_u32_e32 v4, vcc, v4, v54
	v_addc_co_u32_e32 v5, vcc, 0, v5, vcc
	global_load_dwordx4 v[4:7], v[4:5], off
	v_lshlrev_b32_e32 v9, 8, v0
	v_lshlrev_b32_e32 v8, 8, v55
	v_and_b32_e32 v9, 0x600, v9
	s_movk_i32 s16, 0x800
	v_and_or_b32 v8, v8, s16, v9
	v_lshlrev_b32_e32 v3, 5, v3
	v_and_b32_e32 v9, 16, v56
	v_or3_b32 v3, v8, v3, v9
	s_waitcnt vmcnt(0)
	ds_write_b128 v3, v[4:7]
.LBB660_11:
	s_or_b64 exec, exec, s[6:7]
	s_waitcnt lgkmcnt(0)
	s_mul_i32 s10, s10, s42
	s_add_u32 s6, s12, s10
	s_addc_u32 s7, s13, 0
	v_pk_mov_b32 v[22:23], s[6:7], s[6:7] op_sel:[0,1]
	s_waitcnt vmcnt(3)
	v_mad_i64_i32 v[2:3], s[6:7], v2, s41, v[22:23]
	v_lshlrev_b32_e32 v18, 4, v55
	v_and_b32_e32 v6, 48, v0
	v_add_co_u32_e32 v2, vcc, v2, v18
	v_lshlrev_b32_e32 v25, 5, v6
	v_addc_co_u32_e32 v3, vcc, 0, v3, vcc
	s_ashr_i32 s6, s20, 31
	v_add_co_u32_e32 v10, vcc, v2, v25
	v_or_b32_e32 v16, s20, v6
	s_lshr_b32 s6, s6, 27
	v_addc_co_u32_e32 v11, vcc, 0, v3, vcc
	v_add_u32_e32 v6, s6, v16
	v_ashrrev_i32_e32 v6, 5, v6
	v_mov_b32_e32 v17, s22
	v_cmp_gt_i32_e32 vcc, s33, v16
	v_cndmask_b32_e32 v6, v17, v6, vcc
	v_ashrrev_i32_e32 v7, 31, v6
	v_lshlrev_b64 v[6:7], 2, v[6:7]
	v_mov_b32_e32 v8, s21
	v_add_co_u32_e32 v6, vcc, s11, v6
	v_addc_co_u32_e32 v7, vcc, v8, v7, vcc
	v_or_b32_e32 v8, 64, v16
	v_add_u32_e32 v9, s6, v8
	v_ashrrev_i32_e32 v9, 5, v9
	v_cmp_gt_i32_e32 vcc, s33, v8
	v_cndmask_b32_e32 v8, v17, v9, vcc
	v_ashrrev_i32_e32 v9, 31, v8
	s_load_dwordx2 s[50:51], s[4:5], 0x94
	s_waitcnt lgkmcnt(0)
	s_barrier
	global_load_dwordx4 v[2:5], v[10:11], off
	v_lshlrev_b64 v[8:9], 2, v[8:9]
	v_mov_b32_e32 v14, s21
	v_add_co_u32_e32 v8, vcc, s11, v8
	v_addc_co_u32_e32 v9, vcc, v14, v9, vcc
	v_or_b32_e32 v14, 0x80, v16
	v_add_u32_e32 v15, s6, v14
	v_ashrrev_i32_e32 v15, 5, v15
	v_cmp_gt_i32_e32 vcc, s33, v14
	v_cndmask_b32_e32 v14, v17, v15, vcc
	v_ashrrev_i32_e32 v15, 31, v14
	v_lshlrev_b64 v[14:15], 2, v[14:15]
	v_mov_b32_e32 v19, s21
	v_add_co_u32_e32 v14, vcc, s11, v14
	v_addc_co_u32_e32 v15, vcc, v19, v15, vcc
	global_load_dword v50, v[6:7], off
	global_load_dword v57, v[8:9], off
	;; [unrolled: 1-line block ×3, first 2 shown]
	v_or_b32_e32 v6, 0xc0, v16
	v_add_u32_e32 v7, s6, v6
	v_ashrrev_i32_e32 v7, 5, v7
	v_cmp_gt_i32_e32 vcc, s33, v6
	v_cndmask_b32_e32 v6, v17, v7, vcc
	v_ashrrev_i32_e32 v7, 31, v6
	v_lshlrev_b64 v[6:7], 2, v[6:7]
	v_mov_b32_e32 v8, s21
	v_add_co_u32_e32 v14, vcc, s11, v6
	v_addc_co_u32_e32 v15, vcc, v8, v7, vcc
	global_load_dword v61, v[14:15], off
	global_load_dwordx4 v[6:9], v[10:11], off offset:2048
	s_waitcnt vmcnt(8)
	v_mad_i64_i32 v[10:11], s[6:7], v13, s41, v[22:23]
	v_or_b32_e32 v26, 0x100, v18
	v_add_co_u32_e32 v10, vcc, v10, v26
	v_addc_co_u32_e32 v11, vcc, 0, v11, vcc
	v_add_co_u32_e32 v10, vcc, v10, v25
	v_addc_co_u32_e32 v11, vcc, 0, v11, vcc
	global_load_dwordx4 v[14:17], v[10:11], off
	v_lshl_or_b32 v63, v62, 4, v55
	v_lshlrev_b32_e32 v53, 5, v63
	s_waitcnt vmcnt(6)
	buffer_store_dword v5, off, s[0:3], 0 offset:12
	buffer_store_dword v4, off, s[0:3], 0 offset:8
	v_mad_i64_i32 v[4:5], s[6:7], v12, s41, v[22:23]
	v_add_co_u32_e32 v4, vcc, v4, v18
	v_addc_co_u32_e32 v5, vcc, 0, v5, vcc
	v_add_co_u32_e32 v4, vcc, v4, v25
	v_addc_co_u32_e32 v5, vcc, 0, v5, vcc
	global_load_dwordx4 v[38:41], v[10:11], off offset:2048
	s_nop 0
	global_load_dwordx4 v[10:13], v[4:5], off
	global_load_dwordx4 v[18:21], v[4:5], off offset:2048
	v_mad_i64_i32 v[4:5], s[6:7], v24, s41, v[22:23]
	v_add_co_u32_e32 v4, vcc, v4, v26
	v_addc_co_u32_e32 v5, vcc, 0, v5, vcc
	v_add_co_u32_e32 v4, vcc, v4, v25
	v_addc_co_u32_e32 v5, vcc, 0, v5, vcc
	s_add_u32 s6, s14, s10
	global_load_dwordx4 v[26:29], v[4:5], off
	global_load_dwordx4 v[22:25], v[4:5], off offset:2048
	s_addc_u32 s7, s15, 0
	v_and_b32_e32 v4, 16, v0
	v_mov_b32_e32 v5, s7
	v_add_co_u32_e32 v51, vcc, s6, v4
	v_addc_co_u32_e32 v52, vcc, 0, v5, vcc
	v_add_co_u32_e32 v4, vcc, v51, v53
	v_addc_co_u32_e32 v5, vcc, 0, v52, vcc
	s_waitcnt vmcnt(12)
	v_mad_i64_i32 v[30:31], s[6:7], v50, s41, v[4:5]
	s_waitcnt vmcnt(11)
	v_mad_i64_i32 v[34:35], s[6:7], v57, s41, v[4:5]
	;; [unrolled: 2-line block ×3, first 2 shown]
	global_load_dwordx4 v[30:33], v[30:31], off
	s_waitcnt vmcnt(10)
	v_mad_i64_i32 v[4:5], s[6:7], v61, s41, v[4:5]
	global_load_dwordx4 v[34:37], v[34:35], off
	s_nop 0
	global_load_dwordx4 v[46:49], v[42:43], off
	s_nop 0
	global_load_dwordx4 v[42:45], v[4:5], off
	v_or_b32_e32 v4, 0x800, v53
	v_add_co_u32_e32 v4, vcc, v51, v4
	v_addc_co_u32_e32 v5, vcc, 0, v52, vcc
	v_mad_i64_i32 v[50:51], s[6:7], v50, s41, v[4:5]
	buffer_store_dword v3, off, s[0:3], 0 offset:4
	buffer_store_dword v2, off, s[0:3], 0
	v_mad_i64_i32 v[2:3], s[6:7], v60, s41, v[4:5]
	global_load_dwordx4 v[50:53], v[50:51], off
	v_mad_i64_i32 v[58:59], s[6:7], v57, s41, v[4:5]
	global_load_dwordx4 v[70:73], v[2:3], off
	v_mad_i64_i32 v[2:3], s[6:7], v61, s41, v[4:5]
	global_load_dwordx4 v[66:69], v[58:59], off
	global_load_dwordx4 v[74:77], v[2:3], off
	v_mov_b32_e32 v2, 0x80
	s_waitcnt vmcnt(18)
	buffer_store_dword v9, off, s[0:3], 0 offset:28
	buffer_store_dword v8, off, s[0:3], 0 offset:24
	;; [unrolled: 1-line block ×4, first 2 shown]
	s_waitcnt vmcnt(21)
	buffer_store_dword v17, off, s[0:3], 0 offset:44
	buffer_store_dword v16, off, s[0:3], 0 offset:40
	buffer_store_dword v15, off, s[0:3], 0 offset:36
	buffer_store_dword v14, off, s[0:3], 0 offset:32
	s_load_dword s6, s[4:5], 0x1c
	s_load_dwordx4 s[40:43], s[4:5], 0x80
	v_add_u32_e32 v57, 16, v2
	s_waitcnt vmcnt(22)
	buffer_store_dword v41, off, s[0:3], 0 offset:60
	buffer_store_dword v40, off, s[0:3], 0 offset:56
	buffer_store_dword v39, off, s[0:3], 0 offset:52
	buffer_store_dword v38, off, s[0:3], 0 offset:48
	v_add_u32_e32 v61, 32, v2
	v_add_u32_e32 v39, 48, v2
	v_add_u32_e32 v60, 64, v2
	v_add_u32_e32 v41, 0x50, v2
	v_add_u32_e32 v59, 0x60, v2
	v_add_u32_e32 v58, 0x70, v2
	v_mul_lo_u16_e32 v2, 37, v55
	v_mov_b32_e32 v3, 7
	v_mul_lo_u16_sdwa v2, v2, v3 dst_sel:DWORD dst_unused:UNUSED_PAD src0_sel:BYTE_1 src1_sel:DWORD
	v_sub_u16_e32 v2, v55, v2
	v_mov_b32_e32 v3, 5
	v_lshlrev_b32_sdwa v2, v3, v2 dst_sel:DWORD dst_unused:UNUSED_PAD src0_sel:DWORD src1_sel:BYTE_0
	s_waitcnt vmcnt(25)
	buffer_store_dword v13, off, s[0:3], 0 offset:76
	buffer_store_dword v12, off, s[0:3], 0 offset:72
	;; [unrolled: 1-line block ×4, first 2 shown]
	v_lshl_add_u32 v14, v1, 9, v2
	ds_read_b128 v[2:5], v14
	ds_read_b128 v[6:9], v14 offset:16
	ds_read_b128 v[10:13], v14 offset:2048
	;; [unrolled: 1-line block ×3, first 2 shown]
	s_waitcnt vmcnt(28)
	buffer_store_dword v21, off, s[0:3], 0 offset:92
	buffer_store_dword v20, off, s[0:3], 0 offset:88
	buffer_store_dword v19, off, s[0:3], 0 offset:84
	buffer_store_dword v18, off, s[0:3], 0 offset:80
	s_waitcnt vmcnt(31)
	buffer_store_dword v29, off, s[0:3], 0 offset:108
	buffer_store_dword v28, off, s[0:3], 0 offset:104
	buffer_store_dword v27, off, s[0:3], 0 offset:100
	buffer_store_dword v26, off, s[0:3], 0 offset:96
	;; [unrolled: 5-line block ×9, first 2 shown]
	buffer_store_dword v73, off, s[0:3], 0 offset:220
	buffer_store_dword v72, off, s[0:3], 0 offset:216
	;; [unrolled: 1-line block ×4, first 2 shown]
	s_waitcnt vmcnt(56)
	buffer_store_dword v77, off, s[0:3], 0 offset:252
	s_waitcnt lgkmcnt(0)
	s_load_dword s4, s[40:41], 0x0
	v_mov_b32_e32 v18, s6
	v_and_b32_e32 v64, 63, v0
	s_mov_b32 s12, 0
	s_movk_i32 s13, 0x80
	s_waitcnt lgkmcnt(0)
	v_mul_f32_e32 v22, s4, v18
	v_mov_b32_e32 v24, v22
	v_mov_b32_e32 v25, v22
	;; [unrolled: 1-line block ×3, first 2 shown]
	s_movk_i32 s14, 0x7f
	s_mov_b32 s15, 0xffffff
	v_mov_b32_e32 v29, 0
	v_mov_b32_e32 v31, 0x100
	v_bfrev_b32_e32 v33, 60
	buffer_store_dword v76, off, s[0:3], 0 offset:248
	buffer_store_dword v75, off, s[0:3], 0 offset:244
	;; [unrolled: 1-line block ×3, first 2 shown]
	s_branch .LBB660_15
.LBB660_12:                             ;   in Loop: Header=BB660_15 Depth=1
	s_or_b64 exec, exec, s[10:11]
.LBB660_13:                             ;   in Loop: Header=BB660_15 Depth=1
	s_or_b64 exec, exec, s[6:7]
.LBB660_14:                             ;   in Loop: Header=BB660_15 Depth=1
	s_or_b64 exec, exec, s[4:5]
	v_cvt_pkrtz_f16_f32 v42, v34, v32
	v_cvt_pkrtz_f16_f32 v43, v23, v36
	;; [unrolled: 1-line block ×4, first 2 shown]
	v_add_u32_e32 v26, s12, v31
	v_mfma_f32_16x16x16f16 v[18:21], v[42:43], v[14:15], v[18:21]
	s_add_i32 s12, s12, 16
	v_mov_b32_e32 v23, v22
	s_cmp_eq_u32 s12, 64
	v_add_u32_e32 v27, 32, v27
	v_mfma_f32_16x16x16f16 v[18:21], v[34:35], v[16:17], v[18:21]
	s_nop 7
	s_nop 2
	v_pk_mul_f32 v[18:19], v[24:25], v[18:19]
	v_pk_mul_f32 v[20:21], v[22:23], v[20:21]
	buffer_store_dword v19, v26, s[0:3], 0 offen offset:4
	buffer_store_dword v18, v26, s[0:3], 0 offen
	buffer_store_dword v21, v26, s[0:3], 0 offen offset:12
	buffer_store_dword v20, v26, s[0:3], 0 offen offset:8
	s_cbranch_scc1 .LBB660_205
.LBB660_15:                             ; =>This Inner Loop Header: Depth=1
	buffer_load_dword v20, v27, s[0:3], 0 offen
	buffer_load_dword v18, v27, s[0:3], 0 offen offset:4
	buffer_load_dword v28, v27, s[0:3], 0 offen offset:8
	;; [unrolled: 1-line block ×3, first 2 shown]
	v_mov_b32_e32 v19, 0
	s_waitcnt vmcnt(3)
	v_cmp_ne_u16_sdwa s[6:7], v20, v29 src0_sel:BYTE_0 src1_sel:DWORD
	s_and_saveexec_b64 s[4:5], s[6:7]
	s_cbranch_execz .LBB660_21
; %bb.16:                               ;   in Loop: Header=BB660_15 Depth=1
	v_cmp_ne_u16_sdwa s[10:11], v20, s13 src0_sel:BYTE_0 src1_sel:DWORD
	v_bfrev_b32_e32 v19, 1
	s_and_saveexec_b64 s[6:7], s[10:11]
	s_cbranch_execz .LBB660_20
; %bb.17:                               ;   in Loop: Header=BB660_15 Depth=1
	v_and_b32_e32 v21, 0x7f, v20
	v_cmp_ne_u32_e32 vcc, s14, v21
	v_mov_b32_e32 v19, 0x7f800001
	s_and_saveexec_b64 s[10:11], vcc
	s_cbranch_execz .LBB660_19
; %bb.18:                               ;   in Loop: Header=BB660_15 Depth=1
	v_and_b32_e32 v19, 7, v20
	v_ffbh_u32_e32 v30, v19
	v_min_u32_e32 v30, 32, v30
	v_subrev_u32_e32 v32, 28, v30
	v_lshlrev_b64 v[34:35], v32, v[20:21]
	v_lshrrev_b32_e32 v23, 3, v21
	v_sub_u32_e32 v30, 29, v30
	v_and_b32_e32 v32, 7, v34
	v_cmp_gt_u32_e32 vcc, 8, v21
	v_cndmask_b32_e32 v21, v23, v30, vcc
	v_cndmask_b32_e32 v19, v19, v32, vcc
	v_lshlrev_b32_e32 v23, 24, v20
	v_lshlrev_b32_e32 v19, 20, v19
	v_and_b32_e32 v23, 0x80000000, v23
	v_lshl_add_u32 v21, v21, 23, v33
	v_or3_b32 v19, v23, v21, v19
.LBB660_19:                             ;   in Loop: Header=BB660_15 Depth=1
	s_or_b64 exec, exec, s[10:11]
.LBB660_20:                             ;   in Loop: Header=BB660_15 Depth=1
	s_or_b64 exec, exec, s[6:7]
.LBB660_21:                             ;   in Loop: Header=BB660_15 Depth=1
	s_or_b64 exec, exec, s[4:5]
	v_lshrrev_b16_e32 v30, 8, v20
	v_cmp_ne_u16_e32 vcc, 0, v30
	v_mov_b32_e32 v21, 0
	v_mov_b32_e32 v23, 0
	s_and_saveexec_b64 s[4:5], vcc
	s_cbranch_execz .LBB660_27
; %bb.22:                               ;   in Loop: Header=BB660_15 Depth=1
	v_cmp_ne_u16_e32 vcc, s13, v30
	v_bfrev_b32_e32 v23, 1
	s_and_saveexec_b64 s[6:7], vcc
	s_cbranch_execz .LBB660_26
; %bb.23:                               ;   in Loop: Header=BB660_15 Depth=1
	v_and_b32_e32 v32, 0x7f, v30
	v_cmp_ne_u32_e32 vcc, s14, v32
	v_mov_b32_e32 v23, 0x7f800001
	s_and_saveexec_b64 s[10:11], vcc
	s_cbranch_execz .LBB660_25
; %bb.24:                               ;   in Loop: Header=BB660_15 Depth=1
	v_and_b32_e32 v23, 7, v30
	v_ffbh_u32_e32 v34, v23
	v_min_u32_e32 v37, 32, v34
	v_subrev_u32_e32 v34, 28, v37
	v_lshlrev_b64 v[34:35], v34, v[30:31]
	v_lshrrev_b32_e32 v36, 3, v32
	v_sub_u32_e32 v30, 29, v37
	v_and_b32_e32 v34, 7, v34
	v_cmp_gt_u32_e32 vcc, 8, v32
	v_cndmask_b32_e32 v30, v36, v30, vcc
	v_cndmask_b32_e32 v23, v23, v34, vcc
	v_lshlrev_b32_e32 v32, 16, v20
	v_lshlrev_b32_e32 v23, 20, v23
	v_and_b32_e32 v32, 0x80000000, v32
	v_lshl_add_u32 v30, v30, 23, v33
	v_or3_b32 v23, v32, v30, v23
.LBB660_25:                             ;   in Loop: Header=BB660_15 Depth=1
	s_or_b64 exec, exec, s[10:11]
.LBB660_26:                             ;   in Loop: Header=BB660_15 Depth=1
	s_or_b64 exec, exec, s[6:7]
.LBB660_27:                             ;   in Loop: Header=BB660_15 Depth=1
	s_or_b64 exec, exec, s[4:5]
	v_lshrrev_b32_e32 v30, 16, v20
	v_cmp_ne_u16_sdwa s[6:7], v30, v29 src0_sel:BYTE_0 src1_sel:DWORD
	s_and_saveexec_b64 s[4:5], s[6:7]
	s_cbranch_execz .LBB660_33
; %bb.28:                               ;   in Loop: Header=BB660_15 Depth=1
	v_cmp_ne_u16_sdwa s[10:11], v30, s13 src0_sel:BYTE_0 src1_sel:DWORD
	v_bfrev_b32_e32 v21, 1
	s_and_saveexec_b64 s[6:7], s[10:11]
	s_cbranch_execz .LBB660_32
; %bb.29:                               ;   in Loop: Header=BB660_15 Depth=1
	v_bfe_u32 v32, v20, 16, 7
	v_cmp_ne_u32_e32 vcc, s14, v32
	v_mov_b32_e32 v21, 0x7f800001
	s_and_saveexec_b64 s[10:11], vcc
	s_cbranch_execz .LBB660_31
; %bb.30:                               ;   in Loop: Header=BB660_15 Depth=1
	v_and_b32_e32 v21, 7, v30
	v_ffbh_u32_e32 v34, v21
	v_min_u32_e32 v37, 32, v34
	v_subrev_u32_e32 v34, 28, v37
	v_lshlrev_b64 v[34:35], v34, v[30:31]
	v_lshrrev_b32_e32 v36, 3, v32
	v_sub_u32_e32 v35, 29, v37
	v_and_b32_e32 v34, 7, v34
	v_cmp_gt_u32_e32 vcc, 8, v32
	v_cndmask_b32_e32 v32, v36, v35, vcc
	v_cndmask_b32_e32 v21, v21, v34, vcc
	v_lshlrev_b32_e32 v30, 24, v30
	v_lshlrev_b32_e32 v21, 20, v21
	v_and_b32_e32 v30, 0x80000000, v30
	v_lshl_add_u32 v32, v32, 23, v33
	v_or3_b32 v21, v30, v32, v21
.LBB660_31:                             ;   in Loop: Header=BB660_15 Depth=1
	s_or_b64 exec, exec, s[10:11]
.LBB660_32:                             ;   in Loop: Header=BB660_15 Depth=1
	s_or_b64 exec, exec, s[6:7]
.LBB660_33:                             ;   in Loop: Header=BB660_15 Depth=1
	s_or_b64 exec, exec, s[4:5]
	v_cmp_lt_u32_e32 vcc, s15, v20
	v_mov_b32_e32 v34, 0
	v_mov_b32_e32 v35, 0
	s_and_saveexec_b64 s[4:5], vcc
	s_cbranch_execz .LBB660_39
; %bb.34:                               ;   in Loop: Header=BB660_15 Depth=1
	v_lshrrev_b32_e32 v30, 24, v20
	v_cmp_ne_u32_e32 vcc, s13, v30
	v_bfrev_b32_e32 v35, 1
	s_and_saveexec_b64 s[6:7], vcc
	s_cbranch_execz .LBB660_38
; %bb.35:                               ;   in Loop: Header=BB660_15 Depth=1
	v_bfe_u32 v20, v20, 24, 7
	v_cmp_ne_u32_e32 vcc, s14, v20
	v_mov_b32_e32 v35, 0x7f800001
	s_and_saveexec_b64 s[10:11], vcc
	s_cbranch_execz .LBB660_37
; %bb.36:                               ;   in Loop: Header=BB660_15 Depth=1
	v_and_b32_e32 v32, 7, v30
	v_ffbh_u32_e32 v36, v32
	v_min_u32_e32 v38, 32, v36
	v_subrev_u32_e32 v36, 28, v38
	v_lshlrev_b64 v[36:37], v36, v[30:31]
	v_lshrrev_b32_e32 v35, 3, v20
	v_sub_u32_e32 v37, 29, v38
	v_and_b32_e32 v36, 7, v36
	v_cmp_gt_u32_e32 vcc, 8, v20
	v_cndmask_b32_e32 v20, v35, v37, vcc
	v_cndmask_b32_e32 v32, v32, v36, vcc
	v_lshlrev_b32_e32 v30, 24, v30
	v_lshlrev_b32_e32 v32, 20, v32
	v_and_b32_e32 v30, 0x80000000, v30
	v_lshl_add_u32 v20, v20, 23, v33
	v_or3_b32 v35, v30, v20, v32
.LBB660_37:                             ;   in Loop: Header=BB660_15 Depth=1
	s_or_b64 exec, exec, s[10:11]
.LBB660_38:                             ;   in Loop: Header=BB660_15 Depth=1
	s_or_b64 exec, exec, s[6:7]
.LBB660_39:                             ;   in Loop: Header=BB660_15 Depth=1
	s_or_b64 exec, exec, s[4:5]
	s_waitcnt vmcnt(2)
	v_cmp_ne_u16_sdwa s[6:7], v18, v29 src0_sel:BYTE_0 src1_sel:DWORD
	s_and_saveexec_b64 s[4:5], s[6:7]
	s_cbranch_execz .LBB660_45
; %bb.40:                               ;   in Loop: Header=BB660_15 Depth=1
	v_cmp_ne_u16_sdwa s[10:11], v18, s13 src0_sel:BYTE_0 src1_sel:DWORD
	v_bfrev_b32_e32 v34, 1
	s_and_saveexec_b64 s[6:7], s[10:11]
	s_cbranch_execz .LBB660_44
; %bb.41:                               ;   in Loop: Header=BB660_15 Depth=1
	v_and_b32_e32 v20, 0x7f, v18
	v_cmp_ne_u32_e32 vcc, s14, v20
	v_mov_b32_e32 v34, 0x7f800001
	s_and_saveexec_b64 s[10:11], vcc
	s_cbranch_execz .LBB660_43
; %bb.42:                               ;   in Loop: Header=BB660_15 Depth=1
	v_and_b32_e32 v30, 7, v18
	v_ffbh_u32_e32 v34, v30
	v_min_u32_e32 v34, 32, v34
	v_subrev_u32_e32 v36, 28, v34
	v_lshlrev_b64 v[36:37], v36, v[18:19]
	v_lshrrev_b32_e32 v32, 3, v20
	v_sub_u32_e32 v34, 29, v34
	v_and_b32_e32 v36, 7, v36
	v_cmp_gt_u32_e32 vcc, 8, v20
	v_cndmask_b32_e32 v20, v32, v34, vcc
	v_cndmask_b32_e32 v30, v30, v36, vcc
	v_lshlrev_b32_e32 v32, 24, v18
	v_lshlrev_b32_e32 v30, 20, v30
	v_and_b32_e32 v32, 0x80000000, v32
	v_lshl_add_u32 v20, v20, 23, v33
	v_or3_b32 v34, v32, v20, v30
.LBB660_43:                             ;   in Loop: Header=BB660_15 Depth=1
	s_or_b64 exec, exec, s[10:11]
.LBB660_44:                             ;   in Loop: Header=BB660_15 Depth=1
	s_or_b64 exec, exec, s[6:7]
.LBB660_45:                             ;   in Loop: Header=BB660_15 Depth=1
	s_or_b64 exec, exec, s[4:5]
	v_lshrrev_b16_e32 v20, 8, v18
	v_cmp_ne_u16_e32 vcc, 0, v20
	v_mov_b32_e32 v30, 0
	v_mov_b32_e32 v36, 0
	s_and_saveexec_b64 s[4:5], vcc
	s_cbranch_execz .LBB660_51
; %bb.46:                               ;   in Loop: Header=BB660_15 Depth=1
	v_cmp_ne_u16_e32 vcc, s13, v20
	v_bfrev_b32_e32 v36, 1
	s_and_saveexec_b64 s[6:7], vcc
	s_cbranch_execz .LBB660_50
; %bb.47:                               ;   in Loop: Header=BB660_15 Depth=1
	v_and_b32_e32 v32, 0x7f, v20
	v_cmp_ne_u32_e32 vcc, s14, v32
	v_mov_b32_e32 v36, 0x7f800001
	s_and_saveexec_b64 s[10:11], vcc
	s_cbranch_execz .LBB660_49
; %bb.48:                               ;   in Loop: Header=BB660_15 Depth=1
	v_and_b32_e32 v38, 7, v20
	v_ffbh_u32_e32 v36, v38
	v_min_u32_e32 v42, 32, v36
	v_subrev_u32_e32 v36, 28, v42
	v_lshlrev_b64 v[36:37], v36, v[20:21]
	v_lshrrev_b32_e32 v40, 3, v32
	v_sub_u32_e32 v20, 29, v42
	v_and_b32_e32 v36, 7, v36
	v_cmp_gt_u32_e32 vcc, 8, v32
	v_cndmask_b32_e32 v20, v40, v20, vcc
	v_cndmask_b32_e32 v32, v38, v36, vcc
	v_lshlrev_b32_e32 v36, 16, v18
	v_lshlrev_b32_e32 v32, 20, v32
	v_and_b32_e32 v36, 0x80000000, v36
	v_lshl_add_u32 v20, v20, 23, v33
	v_or3_b32 v36, v36, v20, v32
.LBB660_49:                             ;   in Loop: Header=BB660_15 Depth=1
	s_or_b64 exec, exec, s[10:11]
.LBB660_50:                             ;   in Loop: Header=BB660_15 Depth=1
	s_or_b64 exec, exec, s[6:7]
.LBB660_51:                             ;   in Loop: Header=BB660_15 Depth=1
	s_or_b64 exec, exec, s[4:5]
	v_lshrrev_b32_e32 v20, 16, v18
	v_cmp_ne_u16_sdwa s[6:7], v20, v29 src0_sel:BYTE_0 src1_sel:DWORD
	s_and_saveexec_b64 s[4:5], s[6:7]
	s_cbranch_execz .LBB660_57
; %bb.52:                               ;   in Loop: Header=BB660_15 Depth=1
	v_cmp_ne_u16_sdwa s[10:11], v20, s13 src0_sel:BYTE_0 src1_sel:DWORD
	v_bfrev_b32_e32 v30, 1
	s_and_saveexec_b64 s[6:7], s[10:11]
	s_cbranch_execz .LBB660_56
; %bb.53:                               ;   in Loop: Header=BB660_15 Depth=1
	v_bfe_u32 v32, v18, 16, 7
	v_cmp_ne_u32_e32 vcc, s14, v32
	v_mov_b32_e32 v30, 0x7f800001
	s_and_saveexec_b64 s[10:11], vcc
	s_cbranch_execz .LBB660_55
; %bb.54:                               ;   in Loop: Header=BB660_15 Depth=1
	v_and_b32_e32 v30, 7, v20
	v_ffbh_u32_e32 v38, v30
	v_min_u32_e32 v38, 32, v38
	v_subrev_u32_e32 v40, 28, v38
	v_lshlrev_b64 v[42:43], v40, v[20:21]
	v_lshrrev_b32_e32 v37, 3, v32
	v_sub_u32_e32 v38, 29, v38
	v_and_b32_e32 v40, 7, v42
	v_cmp_gt_u32_e32 vcc, 8, v32
	v_cndmask_b32_e32 v32, v37, v38, vcc
	v_cndmask_b32_e32 v30, v30, v40, vcc
	v_lshlrev_b32_e32 v20, 24, v20
	v_lshlrev_b32_e32 v30, 20, v30
	v_and_b32_e32 v20, 0x80000000, v20
	v_lshl_add_u32 v32, v32, 23, v33
	v_or3_b32 v30, v20, v32, v30
.LBB660_55:                             ;   in Loop: Header=BB660_15 Depth=1
	s_or_b64 exec, exec, s[10:11]
.LBB660_56:                             ;   in Loop: Header=BB660_15 Depth=1
	s_or_b64 exec, exec, s[6:7]
.LBB660_57:                             ;   in Loop: Header=BB660_15 Depth=1
	s_or_b64 exec, exec, s[4:5]
	v_cmp_lt_u32_e32 vcc, s15, v18
	v_mov_b32_e32 v32, 0
	v_mov_b32_e32 v37, 0
	s_and_saveexec_b64 s[4:5], vcc
	s_cbranch_execz .LBB660_63
; %bb.58:                               ;   in Loop: Header=BB660_15 Depth=1
	v_lshrrev_b32_e32 v20, 24, v18
	v_cmp_ne_u32_e32 vcc, s13, v20
	v_bfrev_b32_e32 v37, 1
	s_and_saveexec_b64 s[6:7], vcc
	s_cbranch_execz .LBB660_62
; %bb.59:                               ;   in Loop: Header=BB660_15 Depth=1
	v_bfe_u32 v18, v18, 24, 7
	v_cmp_ne_u32_e32 vcc, s14, v18
	v_mov_b32_e32 v37, 0x7f800001
	s_and_saveexec_b64 s[10:11], vcc
	s_cbranch_execz .LBB660_61
; %bb.60:                               ;   in Loop: Header=BB660_15 Depth=1
	v_and_b32_e32 v37, 7, v20
	v_ffbh_u32_e32 v40, v37
	v_min_u32_e32 v40, 32, v40
	v_subrev_u32_e32 v42, 28, v40
	v_lshlrev_b64 v[42:43], v42, v[20:21]
	v_lshrrev_b32_e32 v38, 3, v18
	v_sub_u32_e32 v40, 29, v40
	v_and_b32_e32 v42, 7, v42
	v_cmp_gt_u32_e32 vcc, 8, v18
	v_cndmask_b32_e32 v18, v38, v40, vcc
	v_cndmask_b32_e32 v37, v37, v42, vcc
	v_lshlrev_b32_e32 v20, 24, v20
	v_lshlrev_b32_e32 v37, 20, v37
	v_and_b32_e32 v20, 0x80000000, v20
	v_lshl_add_u32 v18, v18, 23, v33
	v_or3_b32 v37, v20, v18, v37
.LBB660_61:                             ;   in Loop: Header=BB660_15 Depth=1
	s_or_b64 exec, exec, s[10:11]
.LBB660_62:                             ;   in Loop: Header=BB660_15 Depth=1
	s_or_b64 exec, exec, s[6:7]
.LBB660_63:                             ;   in Loop: Header=BB660_15 Depth=1
	s_or_b64 exec, exec, s[4:5]
	v_cvt_pkrtz_f16_f32 v18, v19, v23
	v_cvt_pkrtz_f16_f32 v19, v21, v35
	;; [unrolled: 1-line block ×4, first 2 shown]
	s_waitcnt vmcnt(1)
	v_cmp_ne_u16_sdwa s[6:7], v28, v29 src0_sel:BYTE_0 src1_sel:DWORD
	v_mfma_f32_16x16x16f16 v[18:21], v[18:19], v[2:3], 0
	v_mfma_f32_16x16x16f16 v[18:21], v[34:35], v[4:5], v[18:21]
	s_and_saveexec_b64 s[4:5], s[6:7]
	s_cbranch_execz .LBB660_69
; %bb.64:                               ;   in Loop: Header=BB660_15 Depth=1
	v_cmp_ne_u16_sdwa s[10:11], v28, s13 src0_sel:BYTE_0 src1_sel:DWORD
	v_bfrev_b32_e32 v32, 1
	s_and_saveexec_b64 s[6:7], s[10:11]
	s_cbranch_execz .LBB660_68
; %bb.65:                               ;   in Loop: Header=BB660_15 Depth=1
	v_and_b32_e32 v23, 0x7f, v28
	v_cmp_ne_u32_e32 vcc, s14, v23
	v_mov_b32_e32 v32, 0x7f800001
	s_and_saveexec_b64 s[10:11], vcc
	s_cbranch_execz .LBB660_67
; %bb.66:                               ;   in Loop: Header=BB660_15 Depth=1
	v_and_b32_e32 v30, 7, v28
	v_ffbh_u32_e32 v34, v30
	v_min_u32_e32 v36, 32, v34
	v_subrev_u32_e32 v34, 28, v36
	v_lshlrev_b64 v[34:35], v34, v[28:29]
	v_lshrrev_b32_e32 v32, 3, v23
	v_sub_u32_e32 v35, 29, v36
	v_and_b32_e32 v34, 7, v34
	v_cmp_gt_u32_e32 vcc, 8, v23
	v_cndmask_b32_e32 v23, v32, v35, vcc
	v_cndmask_b32_e32 v30, v30, v34, vcc
	v_lshlrev_b32_e32 v32, 24, v28
	v_lshlrev_b32_e32 v30, 20, v30
	v_and_b32_e32 v32, 0x80000000, v32
	v_lshl_add_u32 v23, v23, 23, v33
	v_or3_b32 v32, v32, v23, v30
.LBB660_67:                             ;   in Loop: Header=BB660_15 Depth=1
	s_or_b64 exec, exec, s[10:11]
.LBB660_68:                             ;   in Loop: Header=BB660_15 Depth=1
	s_or_b64 exec, exec, s[6:7]
.LBB660_69:                             ;   in Loop: Header=BB660_15 Depth=1
	s_or_b64 exec, exec, s[4:5]
	v_lshrrev_b16_e32 v30, 8, v28
	v_cmp_ne_u16_e32 vcc, 0, v30
	v_mov_b32_e32 v34, 0
	v_mov_b32_e32 v35, 0
	s_and_saveexec_b64 s[4:5], vcc
	s_cbranch_execz .LBB660_75
; %bb.70:                               ;   in Loop: Header=BB660_15 Depth=1
	v_cmp_ne_u16_e32 vcc, s13, v30
	v_bfrev_b32_e32 v35, 1
	s_and_saveexec_b64 s[6:7], vcc
	s_cbranch_execz .LBB660_74
; %bb.71:                               ;   in Loop: Header=BB660_15 Depth=1
	v_and_b32_e32 v23, 0x7f, v30
	v_cmp_ne_u32_e32 vcc, s14, v23
	v_mov_b32_e32 v35, 0x7f800001
	s_and_saveexec_b64 s[10:11], vcc
	s_cbranch_execz .LBB660_73
; %bb.72:                               ;   in Loop: Header=BB660_15 Depth=1
	v_and_b32_e32 v35, 7, v30
	v_ffbh_u32_e32 v36, v35
	v_min_u32_e32 v40, 32, v36
	v_subrev_u32_e32 v36, 28, v40
	v_lshlrev_b64 v[36:37], v36, v[30:31]
	v_lshrrev_b32_e32 v38, 3, v23
	v_sub_u32_e32 v30, 29, v40
	v_and_b32_e32 v36, 7, v36
	v_cmp_gt_u32_e32 vcc, 8, v23
	v_cndmask_b32_e32 v23, v38, v30, vcc
	v_cndmask_b32_e32 v30, v35, v36, vcc
	v_lshlrev_b32_e32 v35, 16, v28
	v_lshlrev_b32_e32 v30, 20, v30
	v_and_b32_e32 v35, 0x80000000, v35
	v_lshl_add_u32 v23, v23, 23, v33
	v_or3_b32 v35, v35, v23, v30
.LBB660_73:                             ;   in Loop: Header=BB660_15 Depth=1
	s_or_b64 exec, exec, s[10:11]
.LBB660_74:                             ;   in Loop: Header=BB660_15 Depth=1
	s_or_b64 exec, exec, s[6:7]
.LBB660_75:                             ;   in Loop: Header=BB660_15 Depth=1
	s_or_b64 exec, exec, s[4:5]
	v_lshrrev_b32_e32 v30, 16, v28
	v_cmp_ne_u16_sdwa s[6:7], v30, v29 src0_sel:BYTE_0 src1_sel:DWORD
	s_and_saveexec_b64 s[4:5], s[6:7]
	s_cbranch_execz .LBB660_81
; %bb.76:                               ;   in Loop: Header=BB660_15 Depth=1
	v_cmp_ne_u16_sdwa s[10:11], v30, s13 src0_sel:BYTE_0 src1_sel:DWORD
	v_bfrev_b32_e32 v34, 1
	s_and_saveexec_b64 s[6:7], s[10:11]
	s_cbranch_execz .LBB660_80
; %bb.77:                               ;   in Loop: Header=BB660_15 Depth=1
	v_bfe_u32 v23, v28, 16, 7
	v_cmp_ne_u32_e32 vcc, s14, v23
	v_mov_b32_e32 v34, 0x7f800001
	s_and_saveexec_b64 s[10:11], vcc
	s_cbranch_execz .LBB660_79
; %bb.78:                               ;   in Loop: Header=BB660_15 Depth=1
	v_and_b32_e32 v34, 7, v30
	v_ffbh_u32_e32 v36, v34
	v_min_u32_e32 v40, 32, v36
	v_subrev_u32_e32 v36, 28, v40
	v_lshlrev_b64 v[36:37], v36, v[30:31]
	v_lshrrev_b32_e32 v38, 3, v23
	v_sub_u32_e32 v37, 29, v40
	v_and_b32_e32 v36, 7, v36
	v_cmp_gt_u32_e32 vcc, 8, v23
	v_cndmask_b32_e32 v23, v38, v37, vcc
	v_cndmask_b32_e32 v34, v34, v36, vcc
	v_lshlrev_b32_e32 v30, 24, v30
	v_lshlrev_b32_e32 v34, 20, v34
	v_and_b32_e32 v30, 0x80000000, v30
	v_lshl_add_u32 v23, v23, 23, v33
	v_or3_b32 v34, v30, v23, v34
.LBB660_79:                             ;   in Loop: Header=BB660_15 Depth=1
	s_or_b64 exec, exec, s[10:11]
.LBB660_80:                             ;   in Loop: Header=BB660_15 Depth=1
	s_or_b64 exec, exec, s[6:7]
.LBB660_81:                             ;   in Loop: Header=BB660_15 Depth=1
	s_or_b64 exec, exec, s[4:5]
	v_cmp_lt_u32_e32 vcc, s15, v28
	v_mov_b32_e32 v36, 0
	v_mov_b32_e32 v37, 0
	s_and_saveexec_b64 s[4:5], vcc
	s_cbranch_execz .LBB660_87
; %bb.82:                               ;   in Loop: Header=BB660_15 Depth=1
	v_lshrrev_b32_e32 v30, 24, v28
	v_cmp_ne_u32_e32 vcc, s13, v30
	v_bfrev_b32_e32 v37, 1
	s_and_saveexec_b64 s[6:7], vcc
	s_cbranch_execz .LBB660_86
; %bb.83:                               ;   in Loop: Header=BB660_15 Depth=1
	v_bfe_u32 v23, v28, 24, 7
	v_cmp_ne_u32_e32 vcc, s14, v23
	v_mov_b32_e32 v37, 0x7f800001
	s_and_saveexec_b64 s[10:11], vcc
	s_cbranch_execz .LBB660_85
; %bb.84:                               ;   in Loop: Header=BB660_15 Depth=1
	v_and_b32_e32 v28, 7, v30
	v_ffbh_u32_e32 v38, v28
	v_min_u32_e32 v38, 32, v38
	v_subrev_u32_e32 v40, 28, v38
	v_lshlrev_b64 v[42:43], v40, v[30:31]
	v_lshrrev_b32_e32 v37, 3, v23
	v_sub_u32_e32 v38, 29, v38
	v_and_b32_e32 v40, 7, v42
	v_cmp_gt_u32_e32 vcc, 8, v23
	v_cndmask_b32_e32 v23, v37, v38, vcc
	v_cndmask_b32_e32 v28, v28, v40, vcc
	v_lshlrev_b32_e32 v30, 24, v30
	v_lshlrev_b32_e32 v28, 20, v28
	v_and_b32_e32 v30, 0x80000000, v30
	v_lshl_add_u32 v23, v23, 23, v33
	v_or3_b32 v37, v30, v23, v28
.LBB660_85:                             ;   in Loop: Header=BB660_15 Depth=1
	s_or_b64 exec, exec, s[10:11]
.LBB660_86:                             ;   in Loop: Header=BB660_15 Depth=1
	s_or_b64 exec, exec, s[6:7]
.LBB660_87:                             ;   in Loop: Header=BB660_15 Depth=1
	s_or_b64 exec, exec, s[4:5]
	s_waitcnt vmcnt(0)
	v_cmp_ne_u16_sdwa s[6:7], v26, v29 src0_sel:BYTE_0 src1_sel:DWORD
	s_and_saveexec_b64 s[4:5], s[6:7]
	s_cbranch_execz .LBB660_93
; %bb.88:                               ;   in Loop: Header=BB660_15 Depth=1
	v_cmp_ne_u16_sdwa s[10:11], v26, s13 src0_sel:BYTE_0 src1_sel:DWORD
	v_bfrev_b32_e32 v36, 1
	s_and_saveexec_b64 s[6:7], s[10:11]
	s_cbranch_execz .LBB660_92
; %bb.89:                               ;   in Loop: Header=BB660_15 Depth=1
	v_and_b32_e32 v23, 0x7f, v26
	v_cmp_ne_u32_e32 vcc, s14, v23
	v_mov_b32_e32 v36, 0x7f800001
	s_and_saveexec_b64 s[10:11], vcc
	s_cbranch_execz .LBB660_91
; %bb.90:                               ;   in Loop: Header=BB660_15 Depth=1
	v_and_b32_e32 v28, 7, v26
	v_ffbh_u32_e32 v36, v28
	v_min_u32_e32 v36, 32, v36
	v_subrev_u32_e32 v38, 28, v36
	v_lshlrev_b64 v[42:43], v38, v[26:27]
	v_lshrrev_b32_e32 v30, 3, v23
	v_sub_u32_e32 v36, 29, v36
	v_and_b32_e32 v38, 7, v42
	v_cmp_gt_u32_e32 vcc, 8, v23
	v_cndmask_b32_e32 v23, v30, v36, vcc
	v_cndmask_b32_e32 v28, v28, v38, vcc
	v_lshlrev_b32_e32 v30, 24, v26
	v_lshlrev_b32_e32 v28, 20, v28
	v_and_b32_e32 v30, 0x80000000, v30
	v_lshl_add_u32 v23, v23, 23, v33
	v_or3_b32 v36, v30, v23, v28
.LBB660_91:                             ;   in Loop: Header=BB660_15 Depth=1
	s_or_b64 exec, exec, s[10:11]
.LBB660_92:                             ;   in Loop: Header=BB660_15 Depth=1
	s_or_b64 exec, exec, s[6:7]
.LBB660_93:                             ;   in Loop: Header=BB660_15 Depth=1
	s_or_b64 exec, exec, s[4:5]
	v_lshrrev_b16_e32 v28, 8, v26
	v_cmp_ne_u16_e32 vcc, 0, v28
	v_mov_b32_e32 v38, 0
	v_mov_b32_e32 v40, 0
	s_and_saveexec_b64 s[4:5], vcc
	s_cbranch_execz .LBB660_99
; %bb.94:                               ;   in Loop: Header=BB660_15 Depth=1
	v_cmp_ne_u16_e32 vcc, s13, v28
	v_bfrev_b32_e32 v40, 1
	s_and_saveexec_b64 s[6:7], vcc
	s_cbranch_execz .LBB660_98
; %bb.95:                               ;   in Loop: Header=BB660_15 Depth=1
	v_and_b32_e32 v23, 0x7f, v28
	v_cmp_ne_u32_e32 vcc, s14, v23
	v_mov_b32_e32 v40, 0x7f800001
	s_and_saveexec_b64 s[10:11], vcc
	s_cbranch_execz .LBB660_97
; %bb.96:                               ;   in Loop: Header=BB660_15 Depth=1
	v_and_b32_e32 v30, 7, v28
	v_ffbh_u32_e32 v42, v30
	v_min_u32_e32 v44, 32, v42
	v_subrev_u32_e32 v42, 28, v44
	v_lshlrev_b64 v[42:43], v42, v[28:29]
	v_lshrrev_b32_e32 v40, 3, v23
	v_sub_u32_e32 v28, 29, v44
	v_and_b32_e32 v42, 7, v42
	v_cmp_gt_u32_e32 vcc, 8, v23
	v_cndmask_b32_e32 v23, v40, v28, vcc
	v_cndmask_b32_e32 v28, v30, v42, vcc
	v_lshlrev_b32_e32 v30, 16, v26
	v_lshlrev_b32_e32 v28, 20, v28
	v_and_b32_e32 v30, 0x80000000, v30
	v_lshl_add_u32 v23, v23, 23, v33
	v_or3_b32 v40, v30, v23, v28
.LBB660_97:                             ;   in Loop: Header=BB660_15 Depth=1
	s_or_b64 exec, exec, s[10:11]
.LBB660_98:                             ;   in Loop: Header=BB660_15 Depth=1
	s_or_b64 exec, exec, s[6:7]
.LBB660_99:                             ;   in Loop: Header=BB660_15 Depth=1
	s_or_b64 exec, exec, s[4:5]
	v_lshrrev_b32_e32 v28, 16, v26
	v_cmp_ne_u16_sdwa s[6:7], v28, v29 src0_sel:BYTE_0 src1_sel:DWORD
	s_and_saveexec_b64 s[4:5], s[6:7]
	s_cbranch_execz .LBB660_105
; %bb.100:                              ;   in Loop: Header=BB660_15 Depth=1
	v_cmp_ne_u16_sdwa s[10:11], v28, s13 src0_sel:BYTE_0 src1_sel:DWORD
	v_bfrev_b32_e32 v38, 1
	s_and_saveexec_b64 s[6:7], s[10:11]
	s_cbranch_execz .LBB660_104
; %bb.101:                              ;   in Loop: Header=BB660_15 Depth=1
	v_bfe_u32 v23, v26, 16, 7
	v_cmp_ne_u32_e32 vcc, s14, v23
	v_mov_b32_e32 v38, 0x7f800001
	s_and_saveexec_b64 s[10:11], vcc
	s_cbranch_execz .LBB660_103
; %bb.102:                              ;   in Loop: Header=BB660_15 Depth=1
	v_and_b32_e32 v30, 7, v28
	v_ffbh_u32_e32 v42, v30
	v_min_u32_e32 v44, 32, v42
	v_subrev_u32_e32 v42, 28, v44
	v_lshlrev_b64 v[42:43], v42, v[28:29]
	v_lshrrev_b32_e32 v38, 3, v23
	v_sub_u32_e32 v43, 29, v44
	v_and_b32_e32 v42, 7, v42
	v_cmp_gt_u32_e32 vcc, 8, v23
	v_cndmask_b32_e32 v23, v38, v43, vcc
	v_cndmask_b32_e32 v30, v30, v42, vcc
	v_lshlrev_b32_e32 v28, 24, v28
	v_lshlrev_b32_e32 v30, 20, v30
	v_and_b32_e32 v28, 0x80000000, v28
	v_lshl_add_u32 v23, v23, 23, v33
	v_or3_b32 v38, v28, v23, v30
.LBB660_103:                            ;   in Loop: Header=BB660_15 Depth=1
	s_or_b64 exec, exec, s[10:11]
.LBB660_104:                            ;   in Loop: Header=BB660_15 Depth=1
	s_or_b64 exec, exec, s[6:7]
.LBB660_105:                            ;   in Loop: Header=BB660_15 Depth=1
	s_or_b64 exec, exec, s[4:5]
	v_cmp_lt_u32_e32 vcc, s15, v26
	v_mov_b32_e32 v23, 0
	v_mov_b32_e32 v42, 0
	s_and_saveexec_b64 s[4:5], vcc
	s_cbranch_execz .LBB660_111
; %bb.106:                              ;   in Loop: Header=BB660_15 Depth=1
	v_lshrrev_b32_e32 v28, 24, v26
	v_cmp_ne_u32_e32 vcc, s13, v28
	v_bfrev_b32_e32 v42, 1
	s_and_saveexec_b64 s[6:7], vcc
	s_cbranch_execz .LBB660_110
; %bb.107:                              ;   in Loop: Header=BB660_15 Depth=1
	v_bfe_u32 v26, v26, 24, 7
	v_cmp_ne_u32_e32 vcc, s14, v26
	v_mov_b32_e32 v42, 0x7f800001
	s_and_saveexec_b64 s[10:11], vcc
	s_cbranch_execz .LBB660_109
; %bb.108:                              ;   in Loop: Header=BB660_15 Depth=1
	v_and_b32_e32 v30, 7, v28
	v_ffbh_u32_e32 v42, v30
	v_min_u32_e32 v45, 32, v42
	v_subrev_u32_e32 v42, 28, v45
	v_lshlrev_b64 v[42:43], v42, v[28:29]
	v_lshrrev_b32_e32 v44, 3, v26
	v_sub_u32_e32 v43, 29, v45
	v_and_b32_e32 v42, 7, v42
	v_cmp_gt_u32_e32 vcc, 8, v26
	v_cndmask_b32_e32 v26, v44, v43, vcc
	v_cndmask_b32_e32 v30, v30, v42, vcc
	v_lshlrev_b32_e32 v28, 24, v28
	v_lshlrev_b32_e32 v30, 20, v30
	v_and_b32_e32 v28, 0x80000000, v28
	v_lshl_add_u32 v26, v26, 23, v33
	v_or3_b32 v42, v28, v26, v30
.LBB660_109:                            ;   in Loop: Header=BB660_15 Depth=1
	s_or_b64 exec, exec, s[10:11]
.LBB660_110:                            ;   in Loop: Header=BB660_15 Depth=1
	s_or_b64 exec, exec, s[6:7]
.LBB660_111:                            ;   in Loop: Header=BB660_15 Depth=1
	s_or_b64 exec, exec, s[4:5]
	v_cvt_pkrtz_f16_f32 v44, v32, v35
	buffer_load_dword v32, v27, s[0:3], 0 offen offset:16
	buffer_load_dword v30, v27, s[0:3], 0 offen offset:20
	;; [unrolled: 1-line block ×4, first 2 shown]
	v_cvt_pkrtz_f16_f32 v45, v34, v37
	v_cvt_pkrtz_f16_f32 v34, v36, v40
	v_cvt_pkrtz_f16_f32 v35, v38, v42
	v_mfma_f32_16x16x16f16 v[18:21], v[44:45], v[6:7], v[18:21]
	s_waitcnt vmcnt(3)
	v_cmp_ne_u16_sdwa s[6:7], v32, v29 src0_sel:BYTE_0 src1_sel:DWORD
	v_mfma_f32_16x16x16f16 v[18:21], v[34:35], v[8:9], v[18:21]
	s_and_saveexec_b64 s[4:5], s[6:7]
	s_cbranch_execz .LBB660_117
; %bb.112:                              ;   in Loop: Header=BB660_15 Depth=1
	v_cmp_ne_u16_sdwa s[10:11], v32, s13 src0_sel:BYTE_0 src1_sel:DWORD
	v_bfrev_b32_e32 v23, 1
	s_and_saveexec_b64 s[6:7], s[10:11]
	s_cbranch_execz .LBB660_116
; %bb.113:                              ;   in Loop: Header=BB660_15 Depth=1
	v_and_b32_e32 v34, 0x7f, v32
	v_cmp_ne_u32_e32 vcc, s14, v34
	v_mov_b32_e32 v23, 0x7f800001
	s_and_saveexec_b64 s[10:11], vcc
	s_cbranch_execz .LBB660_115
; %bb.114:                              ;   in Loop: Header=BB660_15 Depth=1
	v_and_b32_e32 v23, 7, v32
	v_ffbh_u32_e32 v36, v23
	v_min_u32_e32 v38, 32, v36
	v_subrev_u32_e32 v36, 28, v38
	v_lshlrev_b64 v[36:37], v36, v[32:33]
	v_lshrrev_b32_e32 v35, 3, v34
	v_sub_u32_e32 v37, 29, v38
	v_and_b32_e32 v36, 7, v36
	v_cmp_gt_u32_e32 vcc, 8, v34
	v_cndmask_b32_e32 v34, v35, v37, vcc
	v_cndmask_b32_e32 v23, v23, v36, vcc
	v_lshlrev_b32_e32 v35, 24, v32
	v_lshlrev_b32_e32 v23, 20, v23
	v_and_b32_e32 v35, 0x80000000, v35
	v_lshl_add_u32 v34, v34, 23, v33
	v_or3_b32 v23, v35, v34, v23
.LBB660_115:                            ;   in Loop: Header=BB660_15 Depth=1
	s_or_b64 exec, exec, s[10:11]
.LBB660_116:                            ;   in Loop: Header=BB660_15 Depth=1
	s_or_b64 exec, exec, s[6:7]
.LBB660_117:                            ;   in Loop: Header=BB660_15 Depth=1
	s_or_b64 exec, exec, s[4:5]
	v_lshrrev_b16_e32 v34, 8, v32
	v_cmp_ne_u16_e32 vcc, 0, v34
	v_mov_b32_e32 v35, 0
	v_mov_b32_e32 v36, 0
	s_and_saveexec_b64 s[4:5], vcc
	s_cbranch_execz .LBB660_123
; %bb.118:                              ;   in Loop: Header=BB660_15 Depth=1
	v_cmp_ne_u16_e32 vcc, s13, v34
	v_bfrev_b32_e32 v36, 1
	s_and_saveexec_b64 s[6:7], vcc
	s_cbranch_execz .LBB660_122
; %bb.119:                              ;   in Loop: Header=BB660_15 Depth=1
	v_and_b32_e32 v37, 0x7f, v34
	v_cmp_ne_u32_e32 vcc, s14, v37
	v_mov_b32_e32 v36, 0x7f800001
	s_and_saveexec_b64 s[10:11], vcc
	s_cbranch_execz .LBB660_121
; %bb.120:                              ;   in Loop: Header=BB660_15 Depth=1
	v_and_b32_e32 v36, 7, v34
	v_ffbh_u32_e32 v40, v36
	v_min_u32_e32 v40, 32, v40
	v_subrev_u32_e32 v42, 28, v40
	v_lshlrev_b64 v[42:43], v42, v[34:35]
	v_lshrrev_b32_e32 v38, 3, v37
	v_sub_u32_e32 v34, 29, v40
	v_and_b32_e32 v40, 7, v42
	v_cmp_gt_u32_e32 vcc, 8, v37
	v_cndmask_b32_e32 v34, v38, v34, vcc
	v_cndmask_b32_e32 v36, v36, v40, vcc
	v_lshlrev_b32_e32 v37, 16, v32
	v_lshlrev_b32_e32 v36, 20, v36
	v_and_b32_e32 v37, 0x80000000, v37
	v_lshl_add_u32 v34, v34, 23, v33
	v_or3_b32 v36, v37, v34, v36
.LBB660_121:                            ;   in Loop: Header=BB660_15 Depth=1
	s_or_b64 exec, exec, s[10:11]
.LBB660_122:                            ;   in Loop: Header=BB660_15 Depth=1
	s_or_b64 exec, exec, s[6:7]
.LBB660_123:                            ;   in Loop: Header=BB660_15 Depth=1
	s_or_b64 exec, exec, s[4:5]
	v_lshrrev_b32_e32 v34, 16, v32
	v_cmp_ne_u16_sdwa s[6:7], v34, v29 src0_sel:BYTE_0 src1_sel:DWORD
	s_and_saveexec_b64 s[4:5], s[6:7]
	s_cbranch_execz .LBB660_129
; %bb.124:                              ;   in Loop: Header=BB660_15 Depth=1
	v_cmp_ne_u16_sdwa s[10:11], v34, s13 src0_sel:BYTE_0 src1_sel:DWORD
	v_bfrev_b32_e32 v35, 1
	s_and_saveexec_b64 s[6:7], s[10:11]
	s_cbranch_execz .LBB660_128
; %bb.125:                              ;   in Loop: Header=BB660_15 Depth=1
	v_bfe_u32 v37, v32, 16, 7
	v_cmp_ne_u32_e32 vcc, s14, v37
	v_mov_b32_e32 v35, 0x7f800001
	s_and_saveexec_b64 s[10:11], vcc
	s_cbranch_execz .LBB660_127
; %bb.126:                              ;   in Loop: Header=BB660_15 Depth=1
	v_and_b32_e32 v35, 7, v34
	v_ffbh_u32_e32 v40, v35
	v_min_u32_e32 v40, 32, v40
	v_subrev_u32_e32 v42, 28, v40
	v_lshlrev_b64 v[42:43], v42, v[34:35]
	v_lshrrev_b32_e32 v38, 3, v37
	v_sub_u32_e32 v40, 29, v40
	v_and_b32_e32 v42, 7, v42
	v_cmp_gt_u32_e32 vcc, 8, v37
	v_cndmask_b32_e32 v37, v38, v40, vcc
	v_cndmask_b32_e32 v35, v35, v42, vcc
	v_lshlrev_b32_e32 v34, 24, v34
	v_lshlrev_b32_e32 v35, 20, v35
	v_and_b32_e32 v34, 0x80000000, v34
	v_lshl_add_u32 v37, v37, 23, v33
	v_or3_b32 v35, v34, v37, v35
.LBB660_127:                            ;   in Loop: Header=BB660_15 Depth=1
	s_or_b64 exec, exec, s[10:11]
.LBB660_128:                            ;   in Loop: Header=BB660_15 Depth=1
	s_or_b64 exec, exec, s[6:7]
.LBB660_129:                            ;   in Loop: Header=BB660_15 Depth=1
	s_or_b64 exec, exec, s[4:5]
	v_cmp_lt_u32_e32 vcc, s15, v32
	v_mov_b32_e32 v37, 0
	v_mov_b32_e32 v38, 0
	s_and_saveexec_b64 s[4:5], vcc
	s_cbranch_execz .LBB660_135
; %bb.130:                              ;   in Loop: Header=BB660_15 Depth=1
	v_lshrrev_b32_e32 v34, 24, v32
	v_cmp_ne_u32_e32 vcc, s13, v34
	v_bfrev_b32_e32 v38, 1
	s_and_saveexec_b64 s[6:7], vcc
	s_cbranch_execz .LBB660_134
; %bb.131:                              ;   in Loop: Header=BB660_15 Depth=1
	v_bfe_u32 v32, v32, 24, 7
	v_cmp_ne_u32_e32 vcc, s14, v32
	v_mov_b32_e32 v38, 0x7f800001
	s_and_saveexec_b64 s[10:11], vcc
	s_cbranch_execz .LBB660_133
; %bb.132:                              ;   in Loop: Header=BB660_15 Depth=1
	v_and_b32_e32 v38, 7, v34
	v_ffbh_u32_e32 v42, v38
	v_min_u32_e32 v44, 32, v42
	v_subrev_u32_e32 v42, 28, v44
	v_lshlrev_b64 v[42:43], v42, v[34:35]
	v_lshrrev_b32_e32 v40, 3, v32
	v_sub_u32_e32 v43, 29, v44
	v_and_b32_e32 v42, 7, v42
	v_cmp_gt_u32_e32 vcc, 8, v32
	v_cndmask_b32_e32 v32, v40, v43, vcc
	v_cndmask_b32_e32 v38, v38, v42, vcc
	v_lshlrev_b32_e32 v34, 24, v34
	v_lshlrev_b32_e32 v38, 20, v38
	v_and_b32_e32 v34, 0x80000000, v34
	v_lshl_add_u32 v32, v32, 23, v33
	v_or3_b32 v38, v34, v32, v38
.LBB660_133:                            ;   in Loop: Header=BB660_15 Depth=1
	s_or_b64 exec, exec, s[10:11]
.LBB660_134:                            ;   in Loop: Header=BB660_15 Depth=1
	s_or_b64 exec, exec, s[6:7]
.LBB660_135:                            ;   in Loop: Header=BB660_15 Depth=1
	s_or_b64 exec, exec, s[4:5]
	s_waitcnt vmcnt(2)
	v_cmp_ne_u16_sdwa s[6:7], v30, v29 src0_sel:BYTE_0 src1_sel:DWORD
	s_and_saveexec_b64 s[4:5], s[6:7]
	s_cbranch_execz .LBB660_141
; %bb.136:                              ;   in Loop: Header=BB660_15 Depth=1
	v_cmp_ne_u16_sdwa s[10:11], v30, s13 src0_sel:BYTE_0 src1_sel:DWORD
	v_bfrev_b32_e32 v37, 1
	s_and_saveexec_b64 s[6:7], s[10:11]
	s_cbranch_execz .LBB660_140
; %bb.137:                              ;   in Loop: Header=BB660_15 Depth=1
	v_and_b32_e32 v32, 0x7f, v30
	v_cmp_ne_u32_e32 vcc, s14, v32
	v_mov_b32_e32 v37, 0x7f800001
	s_and_saveexec_b64 s[10:11], vcc
	s_cbranch_execz .LBB660_139
; %bb.138:                              ;   in Loop: Header=BB660_15 Depth=1
	v_and_b32_e32 v34, 7, v30
	v_ffbh_u32_e32 v40, v34
	v_min_u32_e32 v40, 32, v40
	v_subrev_u32_e32 v42, 28, v40
	v_lshlrev_b64 v[42:43], v42, v[30:31]
	v_lshrrev_b32_e32 v37, 3, v32
	v_sub_u32_e32 v40, 29, v40
	v_and_b32_e32 v42, 7, v42
	v_cmp_gt_u32_e32 vcc, 8, v32
	v_cndmask_b32_e32 v32, v37, v40, vcc
	v_cndmask_b32_e32 v34, v34, v42, vcc
	v_lshlrev_b32_e32 v37, 24, v30
	v_lshlrev_b32_e32 v34, 20, v34
	v_and_b32_e32 v37, 0x80000000, v37
	v_lshl_add_u32 v32, v32, 23, v33
	v_or3_b32 v37, v37, v32, v34
.LBB660_139:                            ;   in Loop: Header=BB660_15 Depth=1
	s_or_b64 exec, exec, s[10:11]
.LBB660_140:                            ;   in Loop: Header=BB660_15 Depth=1
	s_or_b64 exec, exec, s[6:7]
.LBB660_141:                            ;   in Loop: Header=BB660_15 Depth=1
	s_or_b64 exec, exec, s[4:5]
	v_lshrrev_b16_e32 v32, 8, v30
	v_cmp_ne_u16_e32 vcc, 0, v32
	v_mov_b32_e32 v40, 0
	v_mov_b32_e32 v42, 0
	s_and_saveexec_b64 s[4:5], vcc
	s_cbranch_execz .LBB660_147
; %bb.142:                              ;   in Loop: Header=BB660_15 Depth=1
	v_cmp_ne_u16_e32 vcc, s13, v32
	v_bfrev_b32_e32 v42, 1
	s_and_saveexec_b64 s[6:7], vcc
	s_cbranch_execz .LBB660_146
; %bb.143:                              ;   in Loop: Header=BB660_15 Depth=1
	v_and_b32_e32 v34, 0x7f, v32
	v_cmp_ne_u32_e32 vcc, s14, v34
	v_mov_b32_e32 v42, 0x7f800001
	s_and_saveexec_b64 s[10:11], vcc
	s_cbranch_execz .LBB660_145
; %bb.144:                              ;   in Loop: Header=BB660_15 Depth=1
	v_and_b32_e32 v44, 7, v32
	v_ffbh_u32_e32 v42, v44
	v_min_u32_e32 v46, 32, v42
	v_subrev_u32_e32 v42, 28, v46
	v_lshlrev_b64 v[42:43], v42, v[32:33]
	v_lshrrev_b32_e32 v45, 3, v34
	v_sub_u32_e32 v32, 29, v46
	v_and_b32_e32 v42, 7, v42
	v_cmp_gt_u32_e32 vcc, 8, v34
	v_cndmask_b32_e32 v32, v45, v32, vcc
	v_cndmask_b32_e32 v34, v44, v42, vcc
	v_lshlrev_b32_e32 v42, 16, v30
	v_lshlrev_b32_e32 v34, 20, v34
	v_and_b32_e32 v42, 0x80000000, v42
	v_lshl_add_u32 v32, v32, 23, v33
	v_or3_b32 v42, v42, v32, v34
.LBB660_145:                            ;   in Loop: Header=BB660_15 Depth=1
	s_or_b64 exec, exec, s[10:11]
.LBB660_146:                            ;   in Loop: Header=BB660_15 Depth=1
	s_or_b64 exec, exec, s[6:7]
.LBB660_147:                            ;   in Loop: Header=BB660_15 Depth=1
	s_or_b64 exec, exec, s[4:5]
	v_lshrrev_b32_e32 v32, 16, v30
	v_cmp_ne_u16_sdwa s[6:7], v32, v29 src0_sel:BYTE_0 src1_sel:DWORD
	s_and_saveexec_b64 s[4:5], s[6:7]
	s_cbranch_execz .LBB660_153
; %bb.148:                              ;   in Loop: Header=BB660_15 Depth=1
	v_cmp_ne_u16_sdwa s[10:11], v32, s13 src0_sel:BYTE_0 src1_sel:DWORD
	v_bfrev_b32_e32 v40, 1
	s_and_saveexec_b64 s[6:7], s[10:11]
	s_cbranch_execz .LBB660_152
; %bb.149:                              ;   in Loop: Header=BB660_15 Depth=1
	v_bfe_u32 v34, v30, 16, 7
	v_cmp_ne_u32_e32 vcc, s14, v34
	v_mov_b32_e32 v40, 0x7f800001
	s_and_saveexec_b64 s[10:11], vcc
	s_cbranch_execz .LBB660_151
; %bb.150:                              ;   in Loop: Header=BB660_15 Depth=1
	v_and_b32_e32 v40, 7, v32
	v_ffbh_u32_e32 v44, v40
	v_min_u32_e32 v46, 32, v44
	v_subrev_u32_e32 v44, 28, v46
	v_lshlrev_b64 v[44:45], v44, v[32:33]
	v_lshrrev_b32_e32 v43, 3, v34
	v_sub_u32_e32 v45, 29, v46
	v_and_b32_e32 v44, 7, v44
	v_cmp_gt_u32_e32 vcc, 8, v34
	v_cndmask_b32_e32 v34, v43, v45, vcc
	v_cndmask_b32_e32 v40, v40, v44, vcc
	v_lshlrev_b32_e32 v32, 24, v32
	v_lshlrev_b32_e32 v40, 20, v40
	v_and_b32_e32 v32, 0x80000000, v32
	v_lshl_add_u32 v34, v34, 23, v33
	v_or3_b32 v40, v32, v34, v40
.LBB660_151:                            ;   in Loop: Header=BB660_15 Depth=1
	s_or_b64 exec, exec, s[10:11]
.LBB660_152:                            ;   in Loop: Header=BB660_15 Depth=1
	s_or_b64 exec, exec, s[6:7]
.LBB660_153:                            ;   in Loop: Header=BB660_15 Depth=1
	s_or_b64 exec, exec, s[4:5]
	v_cmp_lt_u32_e32 vcc, s15, v30
	v_mov_b32_e32 v34, 0
	v_mov_b32_e32 v43, 0
	s_and_saveexec_b64 s[4:5], vcc
	s_cbranch_execz .LBB660_159
; %bb.154:                              ;   in Loop: Header=BB660_15 Depth=1
	v_lshrrev_b32_e32 v32, 24, v30
	v_cmp_ne_u32_e32 vcc, s13, v32
	v_bfrev_b32_e32 v43, 1
	s_and_saveexec_b64 s[6:7], vcc
	s_cbranch_execz .LBB660_158
; %bb.155:                              ;   in Loop: Header=BB660_15 Depth=1
	v_bfe_u32 v30, v30, 24, 7
	v_cmp_ne_u32_e32 vcc, s14, v30
	v_mov_b32_e32 v43, 0x7f800001
	s_and_saveexec_b64 s[10:11], vcc
	s_cbranch_execz .LBB660_157
; %bb.156:                              ;   in Loop: Header=BB660_15 Depth=1
	v_and_b32_e32 v43, 7, v32
	v_ffbh_u32_e32 v44, v43
	v_min_u32_e32 v47, 32, v44
	v_subrev_u32_e32 v44, 28, v47
	v_lshlrev_b64 v[44:45], v44, v[32:33]
	v_lshrrev_b32_e32 v46, 3, v30
	v_sub_u32_e32 v45, 29, v47
	v_and_b32_e32 v44, 7, v44
	v_cmp_gt_u32_e32 vcc, 8, v30
	v_cndmask_b32_e32 v30, v46, v45, vcc
	v_cndmask_b32_e32 v43, v43, v44, vcc
	v_lshlrev_b32_e32 v32, 24, v32
	v_lshlrev_b32_e32 v43, 20, v43
	v_and_b32_e32 v32, 0x80000000, v32
	v_lshl_add_u32 v30, v30, 23, v33
	v_or3_b32 v43, v32, v30, v43
.LBB660_157:                            ;   in Loop: Header=BB660_15 Depth=1
	s_or_b64 exec, exec, s[10:11]
.LBB660_158:                            ;   in Loop: Header=BB660_15 Depth=1
	s_or_b64 exec, exec, s[6:7]
.LBB660_159:                            ;   in Loop: Header=BB660_15 Depth=1
	s_or_b64 exec, exec, s[4:5]
	v_cvt_pkrtz_f16_f32 v44, v23, v36
	v_cvt_pkrtz_f16_f32 v45, v35, v38
	;; [unrolled: 1-line block ×4, first 2 shown]
	s_waitcnt vmcnt(1)
	v_cmp_ne_u16_sdwa s[6:7], v28, v29 src0_sel:BYTE_0 src1_sel:DWORD
	v_mfma_f32_16x16x16f16 v[18:21], v[44:45], v[10:11], v[18:21]
	v_mfma_f32_16x16x16f16 v[18:21], v[36:37], v[12:13], v[18:21]
	s_and_saveexec_b64 s[4:5], s[6:7]
	s_cbranch_execz .LBB660_165
; %bb.160:                              ;   in Loop: Header=BB660_15 Depth=1
	v_cmp_ne_u16_sdwa s[10:11], v28, s13 src0_sel:BYTE_0 src1_sel:DWORD
	v_bfrev_b32_e32 v34, 1
	s_and_saveexec_b64 s[6:7], s[10:11]
	s_cbranch_execz .LBB660_164
; %bb.161:                              ;   in Loop: Header=BB660_15 Depth=1
	v_and_b32_e32 v23, 0x7f, v28
	v_cmp_ne_u32_e32 vcc, s14, v23
	v_mov_b32_e32 v34, 0x7f800001
	s_and_saveexec_b64 s[10:11], vcc
	s_cbranch_execz .LBB660_163
; %bb.162:                              ;   in Loop: Header=BB660_15 Depth=1
	v_and_b32_e32 v30, 7, v28
	v_ffbh_u32_e32 v34, v30
	v_min_u32_e32 v36, 32, v34
	v_subrev_u32_e32 v34, 28, v36
	v_lshlrev_b64 v[34:35], v34, v[28:29]
	v_lshrrev_b32_e32 v32, 3, v23
	v_sub_u32_e32 v35, 29, v36
	v_and_b32_e32 v34, 7, v34
	v_cmp_gt_u32_e32 vcc, 8, v23
	v_cndmask_b32_e32 v23, v32, v35, vcc
	v_cndmask_b32_e32 v30, v30, v34, vcc
	v_lshlrev_b32_e32 v32, 24, v28
	v_lshlrev_b32_e32 v30, 20, v30
	v_and_b32_e32 v32, 0x80000000, v32
	v_lshl_add_u32 v23, v23, 23, v33
	v_or3_b32 v34, v32, v23, v30
.LBB660_163:                            ;   in Loop: Header=BB660_15 Depth=1
	s_or_b64 exec, exec, s[10:11]
.LBB660_164:                            ;   in Loop: Header=BB660_15 Depth=1
	s_or_b64 exec, exec, s[6:7]
.LBB660_165:                            ;   in Loop: Header=BB660_15 Depth=1
	s_or_b64 exec, exec, s[4:5]
	v_lshrrev_b16_e32 v30, 8, v28
	v_cmp_ne_u16_e32 vcc, 0, v30
	v_mov_b32_e32 v23, 0
	v_mov_b32_e32 v32, 0
	s_and_saveexec_b64 s[4:5], vcc
	s_cbranch_execz .LBB660_171
; %bb.166:                              ;   in Loop: Header=BB660_15 Depth=1
	v_cmp_ne_u16_e32 vcc, s13, v30
	v_bfrev_b32_e32 v32, 1
	s_and_saveexec_b64 s[6:7], vcc
	s_cbranch_execz .LBB660_170
; %bb.167:                              ;   in Loop: Header=BB660_15 Depth=1
	v_and_b32_e32 v35, 0x7f, v30
	v_cmp_ne_u32_e32 vcc, s14, v35
	v_mov_b32_e32 v32, 0x7f800001
	s_and_saveexec_b64 s[10:11], vcc
	s_cbranch_execz .LBB660_169
; %bb.168:                              ;   in Loop: Header=BB660_15 Depth=1
	v_and_b32_e32 v32, 7, v30
	v_ffbh_u32_e32 v36, v32
	v_min_u32_e32 v40, 32, v36
	v_subrev_u32_e32 v36, 28, v40
	v_lshlrev_b64 v[36:37], v36, v[30:31]
	v_lshrrev_b32_e32 v38, 3, v35
	v_sub_u32_e32 v30, 29, v40
	v_and_b32_e32 v36, 7, v36
	v_cmp_gt_u32_e32 vcc, 8, v35
	v_cndmask_b32_e32 v30, v38, v30, vcc
	v_cndmask_b32_e32 v32, v32, v36, vcc
	v_lshlrev_b32_e32 v35, 16, v28
	v_lshlrev_b32_e32 v32, 20, v32
	v_and_b32_e32 v35, 0x80000000, v35
	v_lshl_add_u32 v30, v30, 23, v33
	v_or3_b32 v32, v35, v30, v32
.LBB660_169:                            ;   in Loop: Header=BB660_15 Depth=1
	s_or_b64 exec, exec, s[10:11]
.LBB660_170:                            ;   in Loop: Header=BB660_15 Depth=1
	s_or_b64 exec, exec, s[6:7]
.LBB660_171:                            ;   in Loop: Header=BB660_15 Depth=1
	s_or_b64 exec, exec, s[4:5]
	v_lshrrev_b32_e32 v30, 16, v28
	v_cmp_ne_u16_sdwa s[6:7], v30, v29 src0_sel:BYTE_0 src1_sel:DWORD
	s_and_saveexec_b64 s[4:5], s[6:7]
	s_cbranch_execz .LBB660_177
; %bb.172:                              ;   in Loop: Header=BB660_15 Depth=1
	v_cmp_ne_u16_sdwa s[10:11], v30, s13 src0_sel:BYTE_0 src1_sel:DWORD
	v_bfrev_b32_e32 v23, 1
	s_and_saveexec_b64 s[6:7], s[10:11]
	s_cbranch_execz .LBB660_176
; %bb.173:                              ;   in Loop: Header=BB660_15 Depth=1
	v_bfe_u32 v35, v28, 16, 7
	v_cmp_ne_u32_e32 vcc, s14, v35
	v_mov_b32_e32 v23, 0x7f800001
	s_and_saveexec_b64 s[10:11], vcc
	s_cbranch_execz .LBB660_175
; %bb.174:                              ;   in Loop: Header=BB660_15 Depth=1
	v_and_b32_e32 v23, 7, v30
	v_ffbh_u32_e32 v36, v23
	v_min_u32_e32 v40, 32, v36
	v_subrev_u32_e32 v36, 28, v40
	v_lshlrev_b64 v[36:37], v36, v[30:31]
	v_lshrrev_b32_e32 v38, 3, v35
	v_sub_u32_e32 v37, 29, v40
	v_and_b32_e32 v36, 7, v36
	v_cmp_gt_u32_e32 vcc, 8, v35
	v_cndmask_b32_e32 v35, v38, v37, vcc
	v_cndmask_b32_e32 v23, v23, v36, vcc
	v_lshlrev_b32_e32 v30, 24, v30
	v_lshlrev_b32_e32 v23, 20, v23
	v_and_b32_e32 v30, 0x80000000, v30
	v_lshl_add_u32 v35, v35, 23, v33
	v_or3_b32 v23, v30, v35, v23
.LBB660_175:                            ;   in Loop: Header=BB660_15 Depth=1
	s_or_b64 exec, exec, s[10:11]
.LBB660_176:                            ;   in Loop: Header=BB660_15 Depth=1
	s_or_b64 exec, exec, s[6:7]
.LBB660_177:                            ;   in Loop: Header=BB660_15 Depth=1
	s_or_b64 exec, exec, s[4:5]
	v_cmp_lt_u32_e32 vcc, s15, v28
	v_mov_b32_e32 v35, 0
	v_mov_b32_e32 v36, 0
	s_and_saveexec_b64 s[4:5], vcc
	s_cbranch_execz .LBB660_183
; %bb.178:                              ;   in Loop: Header=BB660_15 Depth=1
	v_lshrrev_b32_e32 v30, 24, v28
	v_cmp_ne_u32_e32 vcc, s13, v30
	v_bfrev_b32_e32 v36, 1
	s_and_saveexec_b64 s[6:7], vcc
	s_cbranch_execz .LBB660_182
; %bb.179:                              ;   in Loop: Header=BB660_15 Depth=1
	v_bfe_u32 v28, v28, 24, 7
	v_cmp_ne_u32_e32 vcc, s14, v28
	v_mov_b32_e32 v36, 0x7f800001
	s_and_saveexec_b64 s[10:11], vcc
	s_cbranch_execz .LBB660_181
; %bb.180:                              ;   in Loop: Header=BB660_15 Depth=1
	v_and_b32_e32 v38, 7, v30
	v_ffbh_u32_e32 v36, v38
	v_min_u32_e32 v42, 32, v36
	v_subrev_u32_e32 v36, 28, v42
	v_lshlrev_b64 v[36:37], v36, v[30:31]
	v_lshrrev_b32_e32 v40, 3, v28
	v_sub_u32_e32 v37, 29, v42
	v_and_b32_e32 v36, 7, v36
	v_cmp_gt_u32_e32 vcc, 8, v28
	v_cndmask_b32_e32 v28, v40, v37, vcc
	v_cndmask_b32_e32 v36, v38, v36, vcc
	v_lshlrev_b32_e32 v30, 24, v30
	v_lshlrev_b32_e32 v36, 20, v36
	v_and_b32_e32 v30, 0x80000000, v30
	v_lshl_add_u32 v28, v28, 23, v33
	v_or3_b32 v36, v30, v28, v36
.LBB660_181:                            ;   in Loop: Header=BB660_15 Depth=1
	s_or_b64 exec, exec, s[10:11]
.LBB660_182:                            ;   in Loop: Header=BB660_15 Depth=1
	s_or_b64 exec, exec, s[6:7]
.LBB660_183:                            ;   in Loop: Header=BB660_15 Depth=1
	s_or_b64 exec, exec, s[4:5]
	s_waitcnt vmcnt(0)
	v_cmp_ne_u16_sdwa s[6:7], v26, v29 src0_sel:BYTE_0 src1_sel:DWORD
	s_and_saveexec_b64 s[4:5], s[6:7]
	s_cbranch_execz .LBB660_189
; %bb.184:                              ;   in Loop: Header=BB660_15 Depth=1
	v_cmp_ne_u16_sdwa s[10:11], v26, s13 src0_sel:BYTE_0 src1_sel:DWORD
	v_bfrev_b32_e32 v35, 1
	s_and_saveexec_b64 s[6:7], s[10:11]
	s_cbranch_execz .LBB660_188
; %bb.185:                              ;   in Loop: Header=BB660_15 Depth=1
	v_and_b32_e32 v28, 0x7f, v26
	v_cmp_ne_u32_e32 vcc, s14, v28
	v_mov_b32_e32 v35, 0x7f800001
	s_and_saveexec_b64 s[10:11], vcc
	s_cbranch_execz .LBB660_187
; %bb.186:                              ;   in Loop: Header=BB660_15 Depth=1
	v_and_b32_e32 v30, 7, v26
	v_ffbh_u32_e32 v37, v30
	v_min_u32_e32 v37, 32, v37
	v_subrev_u32_e32 v38, 28, v37
	v_lshlrev_b64 v[42:43], v38, v[26:27]
	v_lshrrev_b32_e32 v35, 3, v28
	v_sub_u32_e32 v37, 29, v37
	v_and_b32_e32 v38, 7, v42
	v_cmp_gt_u32_e32 vcc, 8, v28
	v_cndmask_b32_e32 v28, v35, v37, vcc
	v_cndmask_b32_e32 v30, v30, v38, vcc
	v_lshlrev_b32_e32 v35, 24, v26
	v_lshlrev_b32_e32 v30, 20, v30
	v_and_b32_e32 v35, 0x80000000, v35
	v_lshl_add_u32 v28, v28, 23, v33
	v_or3_b32 v35, v35, v28, v30
.LBB660_187:                            ;   in Loop: Header=BB660_15 Depth=1
	s_or_b64 exec, exec, s[10:11]
.LBB660_188:                            ;   in Loop: Header=BB660_15 Depth=1
	s_or_b64 exec, exec, s[6:7]
.LBB660_189:                            ;   in Loop: Header=BB660_15 Depth=1
	s_or_b64 exec, exec, s[4:5]
	v_lshrrev_b16_e32 v28, 8, v26
	v_cmp_ne_u16_e32 vcc, 0, v28
	v_mov_b32_e32 v30, 0
	v_mov_b32_e32 v37, 0
	s_and_saveexec_b64 s[4:5], vcc
	s_cbranch_execz .LBB660_195
; %bb.190:                              ;   in Loop: Header=BB660_15 Depth=1
	v_cmp_ne_u16_e32 vcc, s13, v28
	v_bfrev_b32_e32 v37, 1
	s_and_saveexec_b64 s[6:7], vcc
	s_cbranch_execz .LBB660_194
; %bb.191:                              ;   in Loop: Header=BB660_15 Depth=1
	v_and_b32_e32 v38, 0x7f, v28
	v_cmp_ne_u32_e32 vcc, s14, v38
	v_mov_b32_e32 v37, 0x7f800001
	s_and_saveexec_b64 s[10:11], vcc
	s_cbranch_execz .LBB660_193
; %bb.192:                              ;   in Loop: Header=BB660_15 Depth=1
	v_and_b32_e32 v37, 7, v28
	v_ffbh_u32_e32 v42, v37
	v_min_u32_e32 v44, 32, v42
	v_subrev_u32_e32 v42, 28, v44
	v_lshlrev_b64 v[42:43], v42, v[28:29]
	v_lshrrev_b32_e32 v40, 3, v38
	v_sub_u32_e32 v28, 29, v44
	v_and_b32_e32 v42, 7, v42
	v_cmp_gt_u32_e32 vcc, 8, v38
	v_cndmask_b32_e32 v28, v40, v28, vcc
	v_cndmask_b32_e32 v37, v37, v42, vcc
	v_lshlrev_b32_e32 v38, 16, v26
	v_lshlrev_b32_e32 v37, 20, v37
	v_and_b32_e32 v38, 0x80000000, v38
	v_lshl_add_u32 v28, v28, 23, v33
	v_or3_b32 v37, v38, v28, v37
.LBB660_193:                            ;   in Loop: Header=BB660_15 Depth=1
	s_or_b64 exec, exec, s[10:11]
.LBB660_194:                            ;   in Loop: Header=BB660_15 Depth=1
	s_or_b64 exec, exec, s[6:7]
.LBB660_195:                            ;   in Loop: Header=BB660_15 Depth=1
	s_or_b64 exec, exec, s[4:5]
	v_lshrrev_b32_e32 v28, 16, v26
	v_cmp_ne_u16_sdwa s[6:7], v28, v29 src0_sel:BYTE_0 src1_sel:DWORD
	s_and_saveexec_b64 s[4:5], s[6:7]
	s_cbranch_execz .LBB660_201
; %bb.196:                              ;   in Loop: Header=BB660_15 Depth=1
	v_cmp_ne_u16_sdwa s[10:11], v28, s13 src0_sel:BYTE_0 src1_sel:DWORD
	v_bfrev_b32_e32 v30, 1
	s_and_saveexec_b64 s[6:7], s[10:11]
	s_cbranch_execz .LBB660_200
; %bb.197:                              ;   in Loop: Header=BB660_15 Depth=1
	v_bfe_u32 v38, v26, 16, 7
	v_cmp_ne_u32_e32 vcc, s14, v38
	v_mov_b32_e32 v30, 0x7f800001
	s_and_saveexec_b64 s[10:11], vcc
	s_cbranch_execz .LBB660_199
; %bb.198:                              ;   in Loop: Header=BB660_15 Depth=1
	v_and_b32_e32 v30, 7, v28
	v_ffbh_u32_e32 v42, v30
	v_min_u32_e32 v44, 32, v42
	v_subrev_u32_e32 v42, 28, v44
	v_lshlrev_b64 v[42:43], v42, v[28:29]
	v_lshrrev_b32_e32 v40, 3, v38
	v_sub_u32_e32 v43, 29, v44
	v_and_b32_e32 v42, 7, v42
	v_cmp_gt_u32_e32 vcc, 8, v38
	v_cndmask_b32_e32 v38, v40, v43, vcc
	v_cndmask_b32_e32 v30, v30, v42, vcc
	v_lshlrev_b32_e32 v28, 24, v28
	v_lshlrev_b32_e32 v30, 20, v30
	v_and_b32_e32 v28, 0x80000000, v28
	v_lshl_add_u32 v38, v38, 23, v33
	v_or3_b32 v30, v28, v38, v30
.LBB660_199:                            ;   in Loop: Header=BB660_15 Depth=1
	s_or_b64 exec, exec, s[10:11]
.LBB660_200:                            ;   in Loop: Header=BB660_15 Depth=1
	s_or_b64 exec, exec, s[6:7]
.LBB660_201:                            ;   in Loop: Header=BB660_15 Depth=1
	s_or_b64 exec, exec, s[4:5]
	v_cmp_lt_u32_e32 vcc, s15, v26
	v_mov_b32_e32 v38, 0
	s_and_saveexec_b64 s[4:5], vcc
	s_cbranch_execz .LBB660_14
; %bb.202:                              ;   in Loop: Header=BB660_15 Depth=1
	v_lshrrev_b32_e32 v28, 24, v26
	v_cmp_ne_u32_e32 vcc, s13, v28
	v_bfrev_b32_e32 v38, 1
	s_and_saveexec_b64 s[6:7], vcc
	s_cbranch_execz .LBB660_13
; %bb.203:                              ;   in Loop: Header=BB660_15 Depth=1
	v_bfe_u32 v26, v26, 24, 7
	v_cmp_ne_u32_e32 vcc, s14, v26
	v_mov_b32_e32 v38, 0x7f800001
	s_and_saveexec_b64 s[10:11], vcc
	s_cbranch_execz .LBB660_12
; %bb.204:                              ;   in Loop: Header=BB660_15 Depth=1
	v_and_b32_e32 v38, 7, v28
	v_ffbh_u32_e32 v42, v38
	v_min_u32_e32 v44, 32, v42
	v_subrev_u32_e32 v42, 28, v44
	v_lshlrev_b64 v[42:43], v42, v[28:29]
	v_lshrrev_b32_e32 v40, 3, v26
	v_sub_u32_e32 v43, 29, v44
	v_and_b32_e32 v42, 7, v42
	v_cmp_gt_u32_e32 vcc, 8, v26
	v_cndmask_b32_e32 v26, v40, v43, vcc
	v_cndmask_b32_e32 v38, v38, v42, vcc
	v_lshlrev_b32_e32 v28, 24, v28
	v_lshlrev_b32_e32 v38, 20, v38
	v_and_b32_e32 v28, 0x80000000, v28
	v_lshl_add_u32 v26, v26, 23, v33
	v_or3_b32 v38, v28, v26, v38
	s_branch .LBB660_12
.LBB660_205:
	buffer_load_dword v13, off, s[0:3], 0 offset:256
	buffer_load_dword v14, off, s[0:3], 0 offset:260
	;; [unrolled: 1-line block ×16, first 2 shown]
	v_and_b32_e32 v12, 0xc0, v0
	v_add_u32_e32 v12, s20, v12
	v_lshl_or_b32 v12, v1, 2, v12
	v_or_b32_e32 v23, 1, v12
	v_mov_b32_e32 v19, 0xff7fffff
	v_or_b32_e32 v24, 2, v12
	v_or_b32_e32 v25, 3, v12
	v_cmp_gt_i32_e64 s[26:27], s33, v12
	v_cmp_gt_i32_e64 s[28:29], s33, v23
	s_mov_b32 s52, 0xff7fffff
	v_or_b32_e32 v26, 16, v12
	v_or_b32_e32 v27, 17, v12
	;; [unrolled: 1-line block ×12, first 2 shown]
	v_cmp_gt_i32_e64 s[30:31], s33, v24
	v_cmp_gt_i32_e64 s[34:35], s33, v25
	v_mbcnt_lo_u32_b32 v20, -1, 0
	v_cmp_gt_i32_e64 s[36:37], s33, v26
	v_cmp_gt_i32_e64 s[38:39], s33, v27
	v_mbcnt_hi_u32_b32 v20, -1, v20
	v_cmp_gt_i32_e64 s[20:21], s33, v28
	v_cmp_gt_i32_e64 s[22:23], s33, v29
	v_and_b32_e32 v21, 64, v20
	v_cmp_gt_i32_e64 s[16:17], s33, v30
	v_cmp_gt_i32_e64 s[18:19], s33, v31
	v_xor_b32_e32 v22, 32, v20
	v_add_u32_e32 v21, 64, v21
	v_cmp_gt_i32_e64 s[12:13], s33, v32
	v_cmp_gt_i32_e64 s[14:15], s33, v33
	v_cmp_lt_i32_e32 vcc, v22, v21
	v_cmp_gt_i32_e64 s[6:7], s33, v34
	v_cmp_gt_i32_e64 s[10:11], s33, v35
	v_cndmask_b32_e32 v22, v20, v22, vcc
	v_cmp_gt_i32_e32 vcc, s33, v36
	v_cmp_gt_i32_e64 s[4:5], s33, v37
	v_lshlrev_b32_e32 v22, 2, v22
	s_waitcnt vmcnt(15)
	v_cndmask_b32_e64 v12, v19, v13, s[26:27]
	s_waitcnt vmcnt(14)
	v_cndmask_b32_e64 v23, v19, v14, s[28:29]
	;; [unrolled: 2-line block ×4, first 2 shown]
	v_max3_f32 v12, v12, s52, v23
	s_waitcnt vmcnt(11)
	v_cndmask_b32_e64 v26, v19, v17, s[36:37]
	s_waitcnt vmcnt(10)
	v_cndmask_b32_e64 v27, v19, v18, s[38:39]
	v_max3_f32 v12, v12, v24, v25
	s_waitcnt vmcnt(9)
	v_cndmask_b32_e64 v28, v19, v11, s[20:21]
	s_waitcnt vmcnt(8)
	v_cndmask_b32_e64 v29, v19, v10, s[22:23]
	;; [unrolled: 5-line block ×5, first 2 shown]
	v_max3_f32 v12, v12, v32, v33
	s_waitcnt vmcnt(1)
	v_cndmask_b32_e32 v36, v19, v3, vcc
	s_waitcnt vmcnt(0)
	v_cndmask_b32_e64 v19, v19, v2, s[4:5]
	v_max3_f32 v12, v12, v34, v35
	v_max3_f32 v12, v12, v36, v19
	ds_bpermute_b32 v19, v22, v12
	v_xor_b32_e32 v23, 16, v20
	v_cmp_lt_i32_e64 s[40:41], v23, v21
	v_cndmask_b32_e64 v20, v20, v23, s[40:41]
	v_lshlrev_b32_e32 v20, 2, v20
	s_waitcnt lgkmcnt(0)
	v_max_f32_e32 v19, v19, v19
	v_max_f32_e32 v12, v12, v19
	ds_bpermute_b32 v19, v20, v12
	s_waitcnt lgkmcnt(0)
	v_max_f32_e32 v19, v19, v19
	v_max_f32_e32 v12, v12, v19
	v_sub_f32_e32 v13, v13, v12
	v_sub_f32_e32 v14, v14, v12
	;; [unrolled: 1-line block ×3, first 2 shown]
	v_mul_f32_e32 v13, 0x3fb8aa3b, v13
	v_mul_f32_e32 v14, 0x3fb8aa3b, v14
	;; [unrolled: 1-line block ×3, first 2 shown]
	v_exp_f32_e32 v13, v13
	v_exp_f32_e32 v14, v14
	;; [unrolled: 1-line block ×3, first 2 shown]
	v_sub_f32_e32 v16, v16, v12
	v_cndmask_b32_e64 v13, 0, v13, s[26:27]
	v_mul_f32_e32 v16, 0x3fb8aa3b, v16
	v_cndmask_b32_e64 v14, 0, v14, s[28:29]
	v_cndmask_b32_e64 v15, 0, v15, s[30:31]
	v_add_f32_e32 v19, 0, v13
	buffer_store_dword v13, off, s[0:3], 0 offset:256
	buffer_store_dword v14, off, s[0:3], 0 offset:260
	;; [unrolled: 1-line block ×3, first 2 shown]
	v_sub_f32_e32 v13, v17, v12
	v_exp_f32_e32 v16, v16
	v_add_f32_e32 v19, v19, v14
	v_mul_f32_e32 v13, 0x3fb8aa3b, v13
	v_sub_f32_e32 v14, v18, v12
	v_exp_f32_e32 v13, v13
	v_mul_f32_e32 v14, 0x3fb8aa3b, v14
	v_sub_f32_e32 v11, v11, v12
	v_exp_f32_e32 v14, v14
	;; [unrolled: 3-line block ×3, first 2 shown]
	v_mul_f32_e32 v10, 0x3fb8aa3b, v10
	v_sub_f32_e32 v9, v9, v12
	v_cndmask_b32_e64 v16, 0, v16, s[34:35]
	v_add_f32_e32 v19, v19, v15
	v_exp_f32_e32 v10, v10
	v_mul_f32_e32 v9, 0x3fb8aa3b, v9
	v_sub_f32_e32 v8, v8, v12
	v_add_f32_e32 v19, v19, v16
	v_cndmask_b32_e64 v13, 0, v13, s[36:37]
	v_exp_f32_e32 v9, v9
	v_mul_f32_e32 v8, 0x3fb8aa3b, v8
	v_sub_f32_e32 v7, v7, v12
	v_add_f32_e32 v15, v19, v13
	v_cndmask_b32_e64 v14, 0, v14, s[38:39]
	;; [unrolled: 5-line block ×5, first 2 shown]
	v_exp_f32_e32 v5, v5
	v_mul_f32_e32 v4, 0x3fb8aa3b, v4
	v_sub_f32_e32 v3, v3, v12
	buffer_store_dword v16, off, s[0:3], 0 offset:268
	buffer_store_dword v13, off, s[0:3], 0 offset:272
	;; [unrolled: 1-line block ×5, first 2 shown]
	v_add_f32_e32 v10, v15, v9
	v_cndmask_b32_e64 v8, 0, v8, s[18:19]
	v_exp_f32_e32 v4, v4
	v_mul_f32_e32 v3, 0x3fb8aa3b, v3
	v_sub_f32_e32 v2, v2, v12
	v_add_f32_e32 v10, v10, v8
	v_cndmask_b32_e64 v7, 0, v7, s[12:13]
	v_exp_f32_e32 v3, v3
	v_mul_f32_e32 v2, 0x3fb8aa3b, v2
	v_add_f32_e32 v10, v10, v7
	v_cndmask_b32_e64 v6, 0, v6, s[14:15]
	v_exp_f32_e32 v2, v2
	v_add_f32_e32 v10, v10, v6
	v_cndmask_b32_e64 v5, 0, v5, s[6:7]
	buffer_store_dword v9, off, s[0:3], 0 offset:288
	buffer_store_dword v8, off, s[0:3], 0 offset:292
	;; [unrolled: 1-line block ×4, first 2 shown]
	v_add_f32_e32 v6, v10, v5
	v_cndmask_b32_e64 v4, 0, v4, s[10:11]
	v_add_f32_e32 v6, v6, v4
	v_cndmask_b32_e32 v3, 0, v3, vcc
	v_add_f32_e32 v6, v6, v3
	v_cndmask_b32_e64 v2, 0, v2, s[4:5]
	v_add_f32_e32 v6, v6, v2
	ds_bpermute_b32 v7, v22, v6
	buffer_store_dword v5, off, s[0:3], 0 offset:304
	buffer_store_dword v4, off, s[0:3], 0 offset:308
	;; [unrolled: 1-line block ×4, first 2 shown]
	v_cmp_gt_u32_e32 vcc, 16, v64
	s_waitcnt lgkmcnt(0)
	s_barrier
	v_add_f32_e32 v2, v6, v7
	ds_bpermute_b32 v3, v20, v2
	s_waitcnt lgkmcnt(0)
	s_and_saveexec_b64 s[4:5], vcc
	s_cbranch_execz .LBB660_207
; %bb.206:
	v_add_f32_e32 v2, v2, v3
	v_lshlrev_b32_e32 v3, 2, v63
	ds_write2st64_b32 v3, v12, v2 offset1:1
.LBB660_207:
	s_or_b64 exec, exec, s[4:5]
	v_lshlrev_b32_e32 v2, 2, v55
	s_waitcnt lgkmcnt(0)
	s_barrier
	ds_read2_b32 v[12:13], v2 offset1:16
	ds_read2_b32 v[14:15], v2 offset0:32 offset1:48
	ds_read2_b32 v[6:7], v2 offset0:64 offset1:80
	;; [unrolled: 1-line block ×3, first 2 shown]
	s_waitcnt lgkmcnt(0)
	s_barrier
	buffer_load_dword v20, off, s[0:3], 0 offset:256
	buffer_load_dword v21, off, s[0:3], 0 offset:260
	;; [unrolled: 1-line block ×16, first 2 shown]
	v_lshlrev_b32_e32 v19, 3, v1
	v_lshlrev_b32_e32 v18, 5, v55
	;; [unrolled: 1-line block ×3, first 2 shown]
	v_or3_b32 v43, v28, v18, v19
	v_max3_f32 v19, v12, s52, v13
	v_max3_f32 v19, v19, v14, v15
	v_sub_f32_e32 v12, v12, v19
	v_sub_f32_e32 v13, v13, v19
	v_mul_f32_e32 v12, 0x3fb8aa3b, v12
	v_sub_f32_e32 v14, v14, v19
	v_mul_f32_e32 v13, 0x3fb8aa3b, v13
	v_exp_f32_e32 v12, v12
	v_sub_f32_e32 v15, v15, v19
	v_mul_f32_e32 v14, 0x3fb8aa3b, v14
	v_exp_f32_e32 v13, v13
	v_mul_f32_e32 v15, 0x3fb8aa3b, v15
	v_exp_f32_e32 v14, v14
	v_exp_f32_e32 v15, v15
	v_fma_f32 v6, v12, v6, 0
	v_fmac_f32_e32 v6, v13, v7
	v_fmac_f32_e32 v6, v14, v10
	;; [unrolled: 1-line block ×3, first 2 shown]
	v_cmp_eq_u32_e32 vcc, 1, v62
	v_add_f32_e32 v10, 0x358637bd, v6
	v_cndmask_b32_e32 v12, v12, v13, vcc
	v_cmp_eq_u32_e32 vcc, 2, v62
	v_div_scale_f32 v11, s[4:5], v10, v10, 1.0
	v_cndmask_b32_e32 v7, v12, v14, vcc
	v_rcp_f32_e32 v12, v11
	v_cmp_eq_u32_e32 vcc, 3, v62
	v_cndmask_b32_e32 v7, v7, v15, vcc
	v_div_scale_f32 v13, vcc, 1.0, v10, 1.0
	v_fma_f32 v14, -v11, v12, 1.0
	v_fmac_f32_e32 v12, v14, v12
	v_mul_f32_e32 v14, v13, v12
	v_fma_f32 v15, -v11, v14, v13
	v_fmac_f32_e32 v14, v15, v12
	v_fma_f32 v11, -v11, v14, v13
	v_div_fmas_f32 v11, v11, v12, v14
	v_div_fixup_f32 v10, v11, v10, 1.0
	v_mul_f32_e32 v10, v7, v10
	s_mul_i32 s18, s51, 7
	v_cmp_gt_u32_e32 vcc, 7, v0
	s_waitcnt vmcnt(14)
	v_pk_mul_f32 v[14:15], v[10:11], v[20:21] op_sel_hi:[0,1]
	v_cvt_f16_f32_e32 v7, v14
	s_waitcnt vmcnt(12)
	v_pk_mul_f32 v[12:13], v[10:11], v[22:23] op_sel_hi:[0,1]
	buffer_store_dword v14, off, s[0:3], 0 offset:256
	buffer_store_dword v15, off, s[0:3], 0 offset:260
	;; [unrolled: 1-line block ×3, first 2 shown]
	s_waitcnt vmcnt(13)
	v_pk_mul_f32 v[20:21], v[10:11], v[24:25] op_sel_hi:[0,1]
	v_cvt_f16_f32_e32 v14, v12
	s_waitcnt vmcnt(11)
	v_pk_mul_f32 v[22:23], v[10:11], v[26:27] op_sel_hi:[0,1]
	v_cvt_f16_f32_e32 v11, v15
	v_cvt_f16_f32_e32 v15, v13
	buffer_store_dword v13, off, s[0:3], 0 offset:268
	buffer_store_dword v22, off, s[0:3], 0 offset:272
	;; [unrolled: 1-line block ×3, first 2 shown]
	v_pack_b32_f16 v12, v7, v11
	v_cvt_f16_f32_e32 v11, v23
	v_pack_b32_f16 v13, v14, v15
	v_cvt_f16_f32_e32 v7, v22
	v_cvt_f16_f32_e32 v15, v20
	;; [unrolled: 1-line block ×3, first 2 shown]
	s_waitcnt vmcnt(12)
	v_pk_mul_f32 v[4:5], v[10:11], v[4:5] op_sel_hi:[0,1]
	v_pack_b32_f16 v14, v7, v11
	s_waitcnt vmcnt(10)
	v_pk_mul_f32 v[2:3], v[10:11], v[2:3] op_sel_hi:[0,1]
	v_pack_b32_f16 v15, v15, v22
	v_cvt_f16_f32_e32 v11, v5
	buffer_store_dword v20, off, s[0:3], 0 offset:280
	buffer_store_dword v21, off, s[0:3], 0 offset:284
	ds_write2st64_b64 v43, v[12:13], v[14:15] offset1:1
	buffer_store_dword v2, off, s[0:3], 0 offset:288
	buffer_store_dword v3, off, s[0:3], 0 offset:292
	v_cvt_f16_f32_e32 v2, v2
	v_cvt_f16_f32_e32 v3, v3
	;; [unrolled: 1-line block ×3, first 2 shown]
	buffer_store_dword v4, off, s[0:3], 0 offset:296
	buffer_store_dword v5, off, s[0:3], 0 offset:300
	s_waitcnt vmcnt(12)
	v_pk_mul_f32 v[4:5], v[10:11], v[16:17] op_sel_hi:[0,1]
	v_pk_mul_f32 v[8:9], v[10:11], v[8:9] op_sel_hi:[0,1]
	v_pack_b32_f16 v2, v2, v3
	v_pack_b32_f16 v3, v7, v11
	buffer_store_dword v8, off, s[0:3], 0 offset:304
	buffer_store_dword v9, off, s[0:3], 0 offset:308
	v_cvt_f16_f32_e32 v7, v8
	v_cvt_f16_f32_e32 v8, v9
	;; [unrolled: 1-line block ×4, first 2 shown]
	buffer_store_dword v4, off, s[0:3], 0 offset:312
	buffer_store_dword v5, off, s[0:3], 0 offset:316
	v_pack_b32_f16 v4, v7, v8
	v_pack_b32_f16 v5, v9, v10
	ds_write2st64_b64 v43, v[2:3], v[4:5] offset0:2 offset1:3
	s_and_saveexec_b64 s[4:5], vcc
	s_cbranch_execz .LBB660_209
; %bb.208:
	v_add_co_u32_e32 v4, vcc, s25, v55
	v_addc_co_u32_e64 v5, s[6:7], 0, 0, vcc
	v_mov_b32_e32 v2, s18
	v_mad_u64_u32 v[4:5], s[6:7], s8, v2, v[4:5]
	v_mov_b32_e32 v3, 0
	s_mul_i32 s6, s9, s18
	v_mov_b32_e32 v2, s24
	v_add_u32_e32 v5, s6, v5
	v_mad_u64_u32 v[2:3], s[6:7], v4, s50, v[2:3]
	v_mov_b32_e32 v4, v3
	v_mad_u64_u32 v[4:5], s[6:7], v5, s50, v[4:5]
	v_mov_b32_e32 v3, v4
	v_lshlrev_b64 v[2:3], 2, v[2:3]
	v_mov_b32_e32 v5, s47
	v_add_co_u32_e32 v4, vcc, s46, v2
	v_addc_co_u32_e32 v5, vcc, v5, v3, vcc
	global_store_dword v[4:5], v19, off
	v_mov_b32_e32 v4, s45
	v_add_co_u32_e32 v2, vcc, s44, v2
	v_addc_co_u32_e32 v3, vcc, v4, v3, vcc
	global_store_dword v[2:3], v6, off
.LBB660_209:
	s_or_b64 exec, exec, s[4:5]
	v_lshl_or_b32 v30, v1, 9, v18
	s_waitcnt lgkmcnt(0)
	s_barrier
	s_load_dword s4, s[42:43], 0x0
	ds_read_b128 v[2:5], v30
	ds_read_b128 v[6:9], v30 offset:16
	ds_read_b128 v[10:13], v30 offset:2048
	;; [unrolled: 1-line block ×7, first 2 shown]
	v_mov_b32_e32 v35, 0x80
	v_mov_b32_e32 v45, 0x140
	s_mov_b64 s[10:11], -1
	s_waitcnt lgkmcnt(0)
	s_mov_b32 s5, s4
	s_mov_b32 s6, s4
	s_mov_b32 s7, s4
	s_movk_i32 s9, 0x80
	s_movk_i32 s19, 0x7f
	s_mov_b32 s20, 0xffffff
	v_mov_b32_e32 v47, 0
	v_bfrev_b32_e32 v48, 60
	s_branch .LBB660_213
.LBB660_210:                            ;   in Loop: Header=BB660_213 Depth=1
	s_or_b64 exec, exec, s[16:17]
.LBB660_211:                            ;   in Loop: Header=BB660_213 Depth=1
	s_or_b64 exec, exec, s[14:15]
.LBB660_212:                            ;   in Loop: Header=BB660_213 Depth=1
	s_or_b64 exec, exec, s[12:13]
	v_cvt_pkrtz_f16_f32 v60, v46, v49
	v_cvt_pkrtz_f16_f32 v61, v44, v51
	s_xor_b64 s[12:13], s[10:11], -1
	s_mov_b64 s[10:11], 0
	v_mov_b32_e32 v59, v58
	v_mfma_f32_16x16x16f16 v[62:65], v[60:61], v[30:31], v[34:37]
	v_mov_b32_e32 v61, v39
	v_mov_b32_e32 v60, v41
	s_and_b64 vcc, exec, s[12:13]
	s_nop 3
	v_cvt_pkrtz_f16_f32 v36, v50, v52
	v_cvt_pkrtz_f16_f32 v37, v42, v53
	v_mov_b32_e32 v35, v57
	s_nop 0
	v_mfma_f32_16x16x16f16 v[50:53], v[36:37], v[32:33], v[62:65]
	s_nop 7
	s_nop 2
	v_pk_mul_f32 v[50:51], v[50:51], s[4:5]
	v_pk_mul_f32 v[36:37], v[52:53], s[6:7]
	v_cvt_f16_f32_e32 v34, v50
	v_cvt_f16_f32_e32 v38, v51
	;; [unrolled: 1-line block ×4, first 2 shown]
	v_pack_b32_f16 v34, v34, v38
	v_pack_b32_f16 v36, v36, v37
	buffer_store_dword v34, v45, s[0:3], 0 offen
	buffer_store_dword v36, v45, s[0:3], 0 offen offset:4
	v_mov_b32_e32 v45, 0x148
	s_cbranch_vccnz .LBB660_595
.LBB660_213:                            ; =>This Inner Loop Header: Depth=1
	buffer_load_dword v36, v35, s[0:3], 0 offen
	buffer_load_dword v34, v35, s[0:3], 0 offen offset:4
	buffer_load_dword v40, v35, s[0:3], 0 offen offset:8
	;; [unrolled: 1-line block ×3, first 2 shown]
	v_mov_b32_e32 v35, 0
	s_waitcnt vmcnt(3)
	v_cmp_ne_u16_sdwa s[14:15], v36, v47 src0_sel:BYTE_0 src1_sel:DWORD
	s_and_saveexec_b64 s[12:13], s[14:15]
	s_cbranch_execz .LBB660_219
; %bb.214:                              ;   in Loop: Header=BB660_213 Depth=1
	v_cmp_ne_u16_sdwa s[16:17], v36, s9 src0_sel:BYTE_0 src1_sel:DWORD
	v_bfrev_b32_e32 v35, 1
	s_and_saveexec_b64 s[14:15], s[16:17]
	s_cbranch_execz .LBB660_218
; %bb.215:                              ;   in Loop: Header=BB660_213 Depth=1
	v_and_b32_e32 v37, 0x7f, v36
	v_cmp_ne_u32_e32 vcc, s19, v37
	v_mov_b32_e32 v35, 0x7f800001
	s_and_saveexec_b64 s[16:17], vcc
	s_cbranch_execz .LBB660_217
; %bb.216:                              ;   in Loop: Header=BB660_213 Depth=1
	v_and_b32_e32 v35, 7, v36
	v_ffbh_u32_e32 v44, v35
	v_min_u32_e32 v44, 32, v44
	v_subrev_u32_e32 v46, 28, v44
	v_lshlrev_b64 v[50:51], v46, v[36:37]
	v_lshrrev_b32_e32 v42, 3, v37
	v_sub_u32_e32 v44, 29, v44
	v_and_b32_e32 v46, 7, v50
	v_cmp_gt_u32_e32 vcc, 8, v37
	v_cndmask_b32_e32 v37, v42, v44, vcc
	v_cndmask_b32_e32 v35, v35, v46, vcc
	v_lshlrev_b32_e32 v42, 24, v36
	v_lshlrev_b32_e32 v35, 20, v35
	v_and_b32_e32 v42, 0x80000000, v42
	v_lshl_add_u32 v37, v37, 23, v48
	v_or3_b32 v35, v42, v37, v35
.LBB660_217:                            ;   in Loop: Header=BB660_213 Depth=1
	s_or_b64 exec, exec, s[16:17]
.LBB660_218:                            ;   in Loop: Header=BB660_213 Depth=1
	s_or_b64 exec, exec, s[14:15]
.LBB660_219:                            ;   in Loop: Header=BB660_213 Depth=1
	s_or_b64 exec, exec, s[12:13]
	v_lshrrev_b16_e32 v42, 8, v36
	v_cmp_ne_u16_e32 vcc, 0, v42
	v_mov_b32_e32 v37, 0
	s_and_saveexec_b64 s[12:13], vcc
	s_cbranch_execz .LBB660_225
; %bb.220:                              ;   in Loop: Header=BB660_213 Depth=1
	v_cmp_ne_u16_e32 vcc, s9, v42
	v_bfrev_b32_e32 v37, 1
	s_and_saveexec_b64 s[14:15], vcc
	s_cbranch_execz .LBB660_224
; %bb.221:                              ;   in Loop: Header=BB660_213 Depth=1
	v_and_b32_e32 v44, 0x7f, v42
	v_cmp_ne_u32_e32 vcc, s19, v44
	v_mov_b32_e32 v37, 0x7f800001
	s_and_saveexec_b64 s[16:17], vcc
	s_cbranch_execz .LBB660_223
; %bb.222:                              ;   in Loop: Header=BB660_213 Depth=1
	v_and_b32_e32 v37, 7, v42
	v_ffbh_u32_e32 v49, v37
	v_min_u32_e32 v49, 32, v49
	v_subrev_u32_e32 v50, 28, v49
	v_lshlrev_b64 v[50:51], v50, v[42:43]
	v_lshrrev_b32_e32 v46, 3, v44
	v_sub_u32_e32 v42, 29, v49
	v_and_b32_e32 v49, 7, v50
	v_cmp_gt_u32_e32 vcc, 8, v44
	v_cndmask_b32_e32 v42, v46, v42, vcc
	v_cndmask_b32_e32 v37, v37, v49, vcc
	v_lshlrev_b32_e32 v44, 16, v36
	v_lshlrev_b32_e32 v37, 20, v37
	v_and_b32_e32 v44, 0x80000000, v44
	v_lshl_add_u32 v42, v42, 23, v48
	v_or3_b32 v37, v44, v42, v37
.LBB660_223:                            ;   in Loop: Header=BB660_213 Depth=1
	s_or_b64 exec, exec, s[16:17]
.LBB660_224:                            ;   in Loop: Header=BB660_213 Depth=1
	s_or_b64 exec, exec, s[14:15]
.LBB660_225:                            ;   in Loop: Header=BB660_213 Depth=1
	s_or_b64 exec, exec, s[12:13]
	v_lshrrev_b32_e32 v42, 16, v36
	v_cmp_ne_u16_sdwa s[14:15], v42, v47 src0_sel:BYTE_0 src1_sel:DWORD
	v_mov_b32_e32 v46, 0
	v_mov_b32_e32 v44, 0
	s_and_saveexec_b64 s[12:13], s[14:15]
	s_cbranch_execz .LBB660_231
; %bb.226:                              ;   in Loop: Header=BB660_213 Depth=1
	v_cmp_ne_u16_sdwa s[16:17], v42, s9 src0_sel:BYTE_0 src1_sel:DWORD
	v_bfrev_b32_e32 v44, 1
	s_and_saveexec_b64 s[14:15], s[16:17]
	s_cbranch_execz .LBB660_230
; %bb.227:                              ;   in Loop: Header=BB660_213 Depth=1
	v_bfe_u32 v49, v36, 16, 7
	v_cmp_ne_u32_e32 vcc, s19, v49
	v_mov_b32_e32 v44, 0x7f800001
	s_and_saveexec_b64 s[16:17], vcc
	s_cbranch_execz .LBB660_229
; %bb.228:                              ;   in Loop: Header=BB660_213 Depth=1
	v_and_b32_e32 v44, 7, v42
	v_ffbh_u32_e32 v50, v44
	v_min_u32_e32 v53, 32, v50
	v_subrev_u32_e32 v50, 28, v53
	v_lshlrev_b64 v[50:51], v50, v[42:43]
	v_lshrrev_b32_e32 v52, 3, v49
	v_sub_u32_e32 v51, 29, v53
	v_and_b32_e32 v50, 7, v50
	v_cmp_gt_u32_e32 vcc, 8, v49
	v_cndmask_b32_e32 v49, v52, v51, vcc
	v_cndmask_b32_e32 v44, v44, v50, vcc
	v_lshlrev_b32_e32 v42, 24, v42
	v_lshlrev_b32_e32 v44, 20, v44
	v_and_b32_e32 v42, 0x80000000, v42
	v_lshl_add_u32 v49, v49, 23, v48
	v_or3_b32 v44, v42, v49, v44
.LBB660_229:                            ;   in Loop: Header=BB660_213 Depth=1
	s_or_b64 exec, exec, s[16:17]
.LBB660_230:                            ;   in Loop: Header=BB660_213 Depth=1
	s_or_b64 exec, exec, s[14:15]
.LBB660_231:                            ;   in Loop: Header=BB660_213 Depth=1
	s_or_b64 exec, exec, s[12:13]
	v_cmp_lt_u32_e32 vcc, s20, v36
	s_and_saveexec_b64 s[12:13], vcc
	s_cbranch_execz .LBB660_237
; %bb.232:                              ;   in Loop: Header=BB660_213 Depth=1
	v_lshrrev_b32_e32 v42, 24, v36
	v_cmp_ne_u32_e32 vcc, s9, v42
	v_bfrev_b32_e32 v46, 1
	s_and_saveexec_b64 s[14:15], vcc
	s_cbranch_execz .LBB660_236
; %bb.233:                              ;   in Loop: Header=BB660_213 Depth=1
	v_bfe_u32 v36, v36, 24, 7
	v_cmp_ne_u32_e32 vcc, s19, v36
	v_mov_b32_e32 v46, 0x7f800001
	s_and_saveexec_b64 s[16:17], vcc
	s_cbranch_execz .LBB660_235
; %bb.234:                              ;   in Loop: Header=BB660_213 Depth=1
	v_and_b32_e32 v46, 7, v42
	v_ffbh_u32_e32 v50, v46
	v_min_u32_e32 v52, 32, v50
	v_subrev_u32_e32 v50, 28, v52
	v_lshlrev_b64 v[50:51], v50, v[42:43]
	v_lshrrev_b32_e32 v49, 3, v36
	v_sub_u32_e32 v51, 29, v52
	v_and_b32_e32 v50, 7, v50
	v_cmp_gt_u32_e32 vcc, 8, v36
	v_cndmask_b32_e32 v36, v49, v51, vcc
	v_cndmask_b32_e32 v46, v46, v50, vcc
	v_lshlrev_b32_e32 v42, 24, v42
	v_lshlrev_b32_e32 v46, 20, v46
	v_and_b32_e32 v42, 0x80000000, v42
	v_lshl_add_u32 v36, v36, 23, v48
	v_or3_b32 v46, v42, v36, v46
.LBB660_235:                            ;   in Loop: Header=BB660_213 Depth=1
	s_or_b64 exec, exec, s[16:17]
.LBB660_236:                            ;   in Loop: Header=BB660_213 Depth=1
	s_or_b64 exec, exec, s[14:15]
.LBB660_237:                            ;   in Loop: Header=BB660_213 Depth=1
	s_or_b64 exec, exec, s[12:13]
	s_waitcnt vmcnt(2)
	v_cmp_ne_u16_sdwa s[14:15], v34, v47 src0_sel:BYTE_0 src1_sel:DWORD
	v_mov_b32_e32 v42, 0
	v_mov_b32_e32 v49, 0
	s_and_saveexec_b64 s[12:13], s[14:15]
	s_cbranch_execz .LBB660_243
; %bb.238:                              ;   in Loop: Header=BB660_213 Depth=1
	v_cmp_ne_u16_sdwa s[16:17], v34, s9 src0_sel:BYTE_0 src1_sel:DWORD
	v_bfrev_b32_e32 v49, 1
	s_and_saveexec_b64 s[14:15], s[16:17]
	s_cbranch_execz .LBB660_242
; %bb.239:                              ;   in Loop: Header=BB660_213 Depth=1
	v_and_b32_e32 v36, 0x7f, v34
	v_cmp_ne_u32_e32 vcc, s19, v36
	v_mov_b32_e32 v49, 0x7f800001
	s_and_saveexec_b64 s[16:17], vcc
	s_cbranch_execz .LBB660_241
; %bb.240:                              ;   in Loop: Header=BB660_213 Depth=1
	v_and_b32_e32 v49, 7, v34
	v_ffbh_u32_e32 v50, v49
	v_min_u32_e32 v53, 32, v50
	v_subrev_u32_e32 v50, 28, v53
	v_lshlrev_b64 v[50:51], v50, v[34:35]
	v_lshrrev_b32_e32 v52, 3, v36
	v_sub_u32_e32 v51, 29, v53
	v_and_b32_e32 v50, 7, v50
	v_cmp_gt_u32_e32 vcc, 8, v36
	v_cndmask_b32_e32 v36, v52, v51, vcc
	v_cndmask_b32_e32 v49, v49, v50, vcc
	v_lshlrev_b32_e32 v50, 24, v34
	v_lshlrev_b32_e32 v49, 20, v49
	v_and_b32_e32 v50, 0x80000000, v50
	v_lshl_add_u32 v36, v36, 23, v48
	v_or3_b32 v49, v50, v36, v49
.LBB660_241:                            ;   in Loop: Header=BB660_213 Depth=1
	s_or_b64 exec, exec, s[16:17]
.LBB660_242:                            ;   in Loop: Header=BB660_213 Depth=1
	s_or_b64 exec, exec, s[14:15]
.LBB660_243:                            ;   in Loop: Header=BB660_213 Depth=1
	s_or_b64 exec, exec, s[12:13]
	v_lshrrev_b16_e32 v36, 8, v34
	v_cmp_ne_u16_e32 vcc, 0, v36
	s_and_saveexec_b64 s[12:13], vcc
	s_cbranch_execz .LBB660_249
; %bb.244:                              ;   in Loop: Header=BB660_213 Depth=1
	v_cmp_ne_u16_e32 vcc, s9, v36
	v_bfrev_b32_e32 v42, 1
	s_and_saveexec_b64 s[14:15], vcc
	s_cbranch_execz .LBB660_248
; %bb.245:                              ;   in Loop: Header=BB660_213 Depth=1
	v_and_b32_e32 v50, 0x7f, v36
	v_cmp_ne_u32_e32 vcc, s19, v50
	v_mov_b32_e32 v42, 0x7f800001
	s_and_saveexec_b64 s[16:17], vcc
	s_cbranch_execz .LBB660_247
; %bb.246:                              ;   in Loop: Header=BB660_213 Depth=1
	v_and_b32_e32 v42, 7, v36
	v_ffbh_u32_e32 v52, v42
	v_min_u32_e32 v62, 32, v52
	v_subrev_u32_e32 v52, 28, v62
	v_lshlrev_b64 v[52:53], v52, v[36:37]
	v_lshrrev_b32_e32 v51, 3, v50
	v_sub_u32_e32 v36, 29, v62
	v_and_b32_e32 v52, 7, v52
	v_cmp_gt_u32_e32 vcc, 8, v50
	v_cndmask_b32_e32 v36, v51, v36, vcc
	v_cndmask_b32_e32 v42, v42, v52, vcc
	v_lshlrev_b32_e32 v50, 16, v34
	v_lshlrev_b32_e32 v42, 20, v42
	v_and_b32_e32 v50, 0x80000000, v50
	v_lshl_add_u32 v36, v36, 23, v48
	v_or3_b32 v42, v50, v36, v42
.LBB660_247:                            ;   in Loop: Header=BB660_213 Depth=1
	s_or_b64 exec, exec, s[16:17]
.LBB660_248:                            ;   in Loop: Header=BB660_213 Depth=1
	s_or_b64 exec, exec, s[14:15]
.LBB660_249:                            ;   in Loop: Header=BB660_213 Depth=1
	s_or_b64 exec, exec, s[12:13]
	v_lshrrev_b32_e32 v36, 16, v34
	v_cmp_ne_u16_sdwa s[14:15], v36, v47 src0_sel:BYTE_0 src1_sel:DWORD
	v_mov_b32_e32 v51, 0
	v_mov_b32_e32 v50, 0
	s_and_saveexec_b64 s[12:13], s[14:15]
	s_cbranch_execz .LBB660_255
; %bb.250:                              ;   in Loop: Header=BB660_213 Depth=1
	v_cmp_ne_u16_sdwa s[16:17], v36, s9 src0_sel:BYTE_0 src1_sel:DWORD
	v_bfrev_b32_e32 v50, 1
	s_and_saveexec_b64 s[14:15], s[16:17]
	s_cbranch_execz .LBB660_254
; %bb.251:                              ;   in Loop: Header=BB660_213 Depth=1
	v_bfe_u32 v52, v34, 16, 7
	v_cmp_ne_u32_e32 vcc, s19, v52
	v_mov_b32_e32 v50, 0x7f800001
	s_and_saveexec_b64 s[16:17], vcc
	s_cbranch_execz .LBB660_253
; %bb.252:                              ;   in Loop: Header=BB660_213 Depth=1
	v_and_b32_e32 v50, 7, v36
	v_ffbh_u32_e32 v62, v50
	v_min_u32_e32 v64, 32, v62
	v_subrev_u32_e32 v62, 28, v64
	v_lshlrev_b64 v[62:63], v62, v[36:37]
	v_lshrrev_b32_e32 v53, 3, v52
	v_sub_u32_e32 v63, 29, v64
	v_and_b32_e32 v62, 7, v62
	v_cmp_gt_u32_e32 vcc, 8, v52
	v_cndmask_b32_e32 v52, v53, v63, vcc
	v_cndmask_b32_e32 v50, v50, v62, vcc
	v_lshlrev_b32_e32 v36, 24, v36
	v_lshlrev_b32_e32 v50, 20, v50
	v_and_b32_e32 v36, 0x80000000, v36
	v_lshl_add_u32 v52, v52, 23, v48
	v_or3_b32 v50, v36, v52, v50
.LBB660_253:                            ;   in Loop: Header=BB660_213 Depth=1
	s_or_b64 exec, exec, s[16:17]
.LBB660_254:                            ;   in Loop: Header=BB660_213 Depth=1
	s_or_b64 exec, exec, s[14:15]
.LBB660_255:                            ;   in Loop: Header=BB660_213 Depth=1
	s_or_b64 exec, exec, s[12:13]
	v_cmp_lt_u32_e32 vcc, s20, v34
	s_and_saveexec_b64 s[12:13], vcc
	s_cbranch_execz .LBB660_261
; %bb.256:                              ;   in Loop: Header=BB660_213 Depth=1
	v_lshrrev_b32_e32 v36, 24, v34
	v_cmp_ne_u32_e32 vcc, s9, v36
	v_bfrev_b32_e32 v51, 1
	s_and_saveexec_b64 s[14:15], vcc
	s_cbranch_execz .LBB660_260
; %bb.257:                              ;   in Loop: Header=BB660_213 Depth=1
	v_bfe_u32 v34, v34, 24, 7
	v_cmp_ne_u32_e32 vcc, s19, v34
	v_mov_b32_e32 v51, 0x7f800001
	s_and_saveexec_b64 s[16:17], vcc
	s_cbranch_execz .LBB660_259
; %bb.258:                              ;   in Loop: Header=BB660_213 Depth=1
	v_and_b32_e32 v51, 7, v36
	v_ffbh_u32_e32 v52, v51
	v_min_u32_e32 v63, 32, v52
	v_subrev_u32_e32 v52, 28, v63
	v_lshlrev_b64 v[52:53], v52, v[36:37]
	v_lshrrev_b32_e32 v62, 3, v34
	v_sub_u32_e32 v53, 29, v63
	v_and_b32_e32 v52, 7, v52
	v_cmp_gt_u32_e32 vcc, 8, v34
	v_cndmask_b32_e32 v34, v62, v53, vcc
	v_cndmask_b32_e32 v51, v51, v52, vcc
	v_lshlrev_b32_e32 v36, 24, v36
	v_lshlrev_b32_e32 v51, 20, v51
	v_and_b32_e32 v36, 0x80000000, v36
	v_lshl_add_u32 v34, v34, 23, v48
	v_or3_b32 v51, v36, v34, v51
.LBB660_259:                            ;   in Loop: Header=BB660_213 Depth=1
	s_or_b64 exec, exec, s[16:17]
.LBB660_260:                            ;   in Loop: Header=BB660_213 Depth=1
	s_or_b64 exec, exec, s[14:15]
.LBB660_261:                            ;   in Loop: Header=BB660_213 Depth=1
	s_or_b64 exec, exec, s[12:13]
	v_cvt_pkrtz_f16_f32 v34, v35, v37
	v_cvt_pkrtz_f16_f32 v35, v44, v46
	;; [unrolled: 1-line block ×4, first 2 shown]
	v_mov_b32_e32 v44, 0
	v_mfma_f32_16x16x16f16 v[34:37], v[34:35], v[2:3], 0
	s_waitcnt vmcnt(1)
	v_cmp_ne_u16_sdwa s[14:15], v40, v47 src0_sel:BYTE_0 src1_sel:DWORD
	v_mov_b32_e32 v46, 0
	v_mfma_f32_16x16x16f16 v[34:37], v[52:53], v[4:5], v[34:37]
	s_and_saveexec_b64 s[12:13], s[14:15]
	s_cbranch_execz .LBB660_267
; %bb.262:                              ;   in Loop: Header=BB660_213 Depth=1
	v_cmp_ne_u16_sdwa s[16:17], v40, s9 src0_sel:BYTE_0 src1_sel:DWORD
	v_bfrev_b32_e32 v46, 1
	s_and_saveexec_b64 s[14:15], s[16:17]
	s_cbranch_execz .LBB660_266
; %bb.263:                              ;   in Loop: Header=BB660_213 Depth=1
	v_and_b32_e32 v42, 0x7f, v40
	v_cmp_ne_u32_e32 vcc, s19, v42
	v_mov_b32_e32 v46, 0x7f800001
	s_and_saveexec_b64 s[16:17], vcc
	s_cbranch_execz .LBB660_265
; %bb.264:                              ;   in Loop: Header=BB660_213 Depth=1
	v_and_b32_e32 v46, 7, v40
	v_ffbh_u32_e32 v50, v46
	v_min_u32_e32 v52, 32, v50
	v_subrev_u32_e32 v50, 28, v52
	v_lshlrev_b64 v[50:51], v50, v[40:41]
	v_lshrrev_b32_e32 v49, 3, v42
	v_sub_u32_e32 v51, 29, v52
	v_and_b32_e32 v50, 7, v50
	v_cmp_gt_u32_e32 vcc, 8, v42
	v_cndmask_b32_e32 v42, v49, v51, vcc
	v_cndmask_b32_e32 v46, v46, v50, vcc
	v_lshlrev_b32_e32 v49, 24, v40
	v_lshlrev_b32_e32 v46, 20, v46
	v_and_b32_e32 v49, 0x80000000, v49
	v_lshl_add_u32 v42, v42, 23, v48
	v_or3_b32 v46, v49, v42, v46
.LBB660_265:                            ;   in Loop: Header=BB660_213 Depth=1
	s_or_b64 exec, exec, s[16:17]
.LBB660_266:                            ;   in Loop: Header=BB660_213 Depth=1
	s_or_b64 exec, exec, s[14:15]
.LBB660_267:                            ;   in Loop: Header=BB660_213 Depth=1
	s_or_b64 exec, exec, s[12:13]
	v_lshrrev_b16_e32 v42, 8, v40
	v_cmp_ne_u16_e32 vcc, 0, v42
	v_mov_b32_e32 v50, 0
	s_and_saveexec_b64 s[12:13], vcc
	s_cbranch_execz .LBB660_273
; %bb.268:                              ;   in Loop: Header=BB660_213 Depth=1
	v_cmp_ne_u16_e32 vcc, s9, v42
	v_bfrev_b32_e32 v50, 1
	s_and_saveexec_b64 s[14:15], vcc
	s_cbranch_execz .LBB660_272
; %bb.269:                              ;   in Loop: Header=BB660_213 Depth=1
	v_and_b32_e32 v49, 0x7f, v42
	v_cmp_ne_u32_e32 vcc, s19, v49
	v_mov_b32_e32 v50, 0x7f800001
	s_and_saveexec_b64 s[16:17], vcc
	s_cbranch_execz .LBB660_271
; %bb.270:                              ;   in Loop: Header=BB660_213 Depth=1
	v_and_b32_e32 v52, 7, v42
	v_ffbh_u32_e32 v50, v52
	v_min_u32_e32 v62, 32, v50
	v_subrev_u32_e32 v50, 28, v62
	v_lshlrev_b64 v[50:51], v50, v[42:43]
	v_lshrrev_b32_e32 v53, 3, v49
	v_sub_u32_e32 v42, 29, v62
	v_and_b32_e32 v50, 7, v50
	v_cmp_gt_u32_e32 vcc, 8, v49
	v_cndmask_b32_e32 v42, v53, v42, vcc
	v_cndmask_b32_e32 v49, v52, v50, vcc
	v_lshlrev_b32_e32 v50, 16, v40
	v_lshlrev_b32_e32 v49, 20, v49
	v_and_b32_e32 v50, 0x80000000, v50
	v_lshl_add_u32 v42, v42, 23, v48
	v_or3_b32 v50, v50, v42, v49
.LBB660_271:                            ;   in Loop: Header=BB660_213 Depth=1
	s_or_b64 exec, exec, s[16:17]
.LBB660_272:                            ;   in Loop: Header=BB660_213 Depth=1
	s_or_b64 exec, exec, s[14:15]
.LBB660_273:                            ;   in Loop: Header=BB660_213 Depth=1
	s_or_b64 exec, exec, s[12:13]
	v_lshrrev_b32_e32 v42, 16, v40
	v_cmp_ne_u16_sdwa s[14:15], v42, v47 src0_sel:BYTE_0 src1_sel:DWORD
	s_and_saveexec_b64 s[12:13], s[14:15]
	s_cbranch_execz .LBB660_279
; %bb.274:                              ;   in Loop: Header=BB660_213 Depth=1
	v_cmp_ne_u16_sdwa s[16:17], v42, s9 src0_sel:BYTE_0 src1_sel:DWORD
	v_bfrev_b32_e32 v44, 1
	s_and_saveexec_b64 s[14:15], s[16:17]
	s_cbranch_execz .LBB660_278
; %bb.275:                              ;   in Loop: Header=BB660_213 Depth=1
	v_bfe_u32 v49, v40, 16, 7
	v_cmp_ne_u32_e32 vcc, s19, v49
	v_mov_b32_e32 v44, 0x7f800001
	s_and_saveexec_b64 s[16:17], vcc
	s_cbranch_execz .LBB660_277
; %bb.276:                              ;   in Loop: Header=BB660_213 Depth=1
	v_and_b32_e32 v44, 7, v42
	v_ffbh_u32_e32 v52, v44
	v_min_u32_e32 v62, 32, v52
	v_subrev_u32_e32 v52, 28, v62
	v_lshlrev_b64 v[52:53], v52, v[42:43]
	v_lshrrev_b32_e32 v51, 3, v49
	v_sub_u32_e32 v53, 29, v62
	v_and_b32_e32 v52, 7, v52
	v_cmp_gt_u32_e32 vcc, 8, v49
	v_cndmask_b32_e32 v49, v51, v53, vcc
	v_cndmask_b32_e32 v44, v44, v52, vcc
	v_lshlrev_b32_e32 v42, 24, v42
	v_lshlrev_b32_e32 v44, 20, v44
	v_and_b32_e32 v42, 0x80000000, v42
	v_lshl_add_u32 v49, v49, 23, v48
	v_or3_b32 v44, v42, v49, v44
.LBB660_277:                            ;   in Loop: Header=BB660_213 Depth=1
	s_or_b64 exec, exec, s[16:17]
.LBB660_278:                            ;   in Loop: Header=BB660_213 Depth=1
	s_or_b64 exec, exec, s[14:15]
.LBB660_279:                            ;   in Loop: Header=BB660_213 Depth=1
	s_or_b64 exec, exec, s[12:13]
	v_cmp_lt_u32_e32 vcc, s20, v40
	v_mov_b32_e32 v51, 0
	v_mov_b32_e32 v52, 0
	s_and_saveexec_b64 s[12:13], vcc
	s_cbranch_execz .LBB660_285
; %bb.280:                              ;   in Loop: Header=BB660_213 Depth=1
	v_lshrrev_b32_e32 v42, 24, v40
	v_cmp_ne_u32_e32 vcc, s9, v42
	v_bfrev_b32_e32 v52, 1
	s_and_saveexec_b64 s[14:15], vcc
	s_cbranch_execz .LBB660_284
; %bb.281:                              ;   in Loop: Header=BB660_213 Depth=1
	v_bfe_u32 v40, v40, 24, 7
	v_cmp_ne_u32_e32 vcc, s19, v40
	v_mov_b32_e32 v52, 0x7f800001
	s_and_saveexec_b64 s[16:17], vcc
	s_cbranch_execz .LBB660_283
; %bb.282:                              ;   in Loop: Header=BB660_213 Depth=1
	v_and_b32_e32 v49, 7, v42
	v_ffbh_u32_e32 v52, v49
	v_min_u32_e32 v63, 32, v52
	v_subrev_u32_e32 v52, 28, v63
	v_lshlrev_b64 v[52:53], v52, v[42:43]
	v_lshrrev_b32_e32 v62, 3, v40
	v_sub_u32_e32 v53, 29, v63
	v_and_b32_e32 v52, 7, v52
	v_cmp_gt_u32_e32 vcc, 8, v40
	v_cndmask_b32_e32 v40, v62, v53, vcc
	v_cndmask_b32_e32 v49, v49, v52, vcc
	v_lshlrev_b32_e32 v42, 24, v42
	v_lshlrev_b32_e32 v49, 20, v49
	v_and_b32_e32 v42, 0x80000000, v42
	v_lshl_add_u32 v40, v40, 23, v48
	v_or3_b32 v52, v42, v40, v49
.LBB660_283:                            ;   in Loop: Header=BB660_213 Depth=1
	s_or_b64 exec, exec, s[16:17]
.LBB660_284:                            ;   in Loop: Header=BB660_213 Depth=1
	s_or_b64 exec, exec, s[14:15]
.LBB660_285:                            ;   in Loop: Header=BB660_213 Depth=1
	s_or_b64 exec, exec, s[12:13]
	s_waitcnt vmcnt(0)
	v_cmp_ne_u16_sdwa s[14:15], v38, v47 src0_sel:BYTE_0 src1_sel:DWORD
	s_and_saveexec_b64 s[12:13], s[14:15]
	s_cbranch_execz .LBB660_291
; %bb.286:                              ;   in Loop: Header=BB660_213 Depth=1
	v_cmp_ne_u16_sdwa s[16:17], v38, s9 src0_sel:BYTE_0 src1_sel:DWORD
	v_bfrev_b32_e32 v51, 1
	s_and_saveexec_b64 s[14:15], s[16:17]
	s_cbranch_execz .LBB660_290
; %bb.287:                              ;   in Loop: Header=BB660_213 Depth=1
	v_and_b32_e32 v40, 0x7f, v38
	v_cmp_ne_u32_e32 vcc, s19, v40
	v_mov_b32_e32 v51, 0x7f800001
	s_and_saveexec_b64 s[16:17], vcc
	s_cbranch_execz .LBB660_289
; %bb.288:                              ;   in Loop: Header=BB660_213 Depth=1
	v_and_b32_e32 v42, 7, v38
	v_ffbh_u32_e32 v51, v42
	v_min_u32_e32 v51, 32, v51
	v_subrev_u32_e32 v53, 28, v51
	v_lshlrev_b64 v[62:63], v53, v[38:39]
	v_lshrrev_b32_e32 v49, 3, v40
	v_sub_u32_e32 v51, 29, v51
	v_and_b32_e32 v53, 7, v62
	v_cmp_gt_u32_e32 vcc, 8, v40
	v_cndmask_b32_e32 v40, v49, v51, vcc
	v_cndmask_b32_e32 v42, v42, v53, vcc
	v_lshlrev_b32_e32 v49, 24, v38
	v_lshlrev_b32_e32 v42, 20, v42
	v_and_b32_e32 v49, 0x80000000, v49
	v_lshl_add_u32 v40, v40, 23, v48
	v_or3_b32 v51, v49, v40, v42
.LBB660_289:                            ;   in Loop: Header=BB660_213 Depth=1
	s_or_b64 exec, exec, s[16:17]
.LBB660_290:                            ;   in Loop: Header=BB660_213 Depth=1
	s_or_b64 exec, exec, s[14:15]
.LBB660_291:                            ;   in Loop: Header=BB660_213 Depth=1
	s_or_b64 exec, exec, s[12:13]
	v_lshrrev_b16_e32 v40, 8, v38
	v_cmp_ne_u16_e32 vcc, 0, v40
	v_mov_b32_e32 v53, 0
	v_mov_b32_e32 v62, 0
	s_and_saveexec_b64 s[12:13], vcc
	s_cbranch_execz .LBB660_297
; %bb.292:                              ;   in Loop: Header=BB660_213 Depth=1
	v_cmp_ne_u16_e32 vcc, s9, v40
	v_bfrev_b32_e32 v62, 1
	s_and_saveexec_b64 s[14:15], vcc
	s_cbranch_execz .LBB660_296
; %bb.293:                              ;   in Loop: Header=BB660_213 Depth=1
	v_and_b32_e32 v42, 0x7f, v40
	v_cmp_ne_u32_e32 vcc, s19, v42
	v_mov_b32_e32 v62, 0x7f800001
	s_and_saveexec_b64 s[16:17], vcc
	s_cbranch_execz .LBB660_295
; %bb.294:                              ;   in Loop: Header=BB660_213 Depth=1
	v_and_b32_e32 v49, 7, v40
	v_ffbh_u32_e32 v62, v49
	v_min_u32_e32 v65, 32, v62
	v_subrev_u32_e32 v62, 28, v65
	v_lshlrev_b64 v[62:63], v62, v[40:41]
	v_lshrrev_b32_e32 v64, 3, v42
	v_sub_u32_e32 v40, 29, v65
	v_and_b32_e32 v62, 7, v62
	v_cmp_gt_u32_e32 vcc, 8, v42
	v_cndmask_b32_e32 v40, v64, v40, vcc
	v_cndmask_b32_e32 v42, v49, v62, vcc
	v_lshlrev_b32_e32 v49, 16, v38
	v_lshlrev_b32_e32 v42, 20, v42
	v_and_b32_e32 v49, 0x80000000, v49
	v_lshl_add_u32 v40, v40, 23, v48
	v_or3_b32 v62, v49, v40, v42
.LBB660_295:                            ;   in Loop: Header=BB660_213 Depth=1
	s_or_b64 exec, exec, s[16:17]
.LBB660_296:                            ;   in Loop: Header=BB660_213 Depth=1
	s_or_b64 exec, exec, s[14:15]
.LBB660_297:                            ;   in Loop: Header=BB660_213 Depth=1
	s_or_b64 exec, exec, s[12:13]
	v_lshrrev_b32_e32 v40, 16, v38
	v_cmp_ne_u16_sdwa s[14:15], v40, v47 src0_sel:BYTE_0 src1_sel:DWORD
	s_and_saveexec_b64 s[12:13], s[14:15]
	s_cbranch_execz .LBB660_303
; %bb.298:                              ;   in Loop: Header=BB660_213 Depth=1
	v_cmp_ne_u16_sdwa s[16:17], v40, s9 src0_sel:BYTE_0 src1_sel:DWORD
	v_bfrev_b32_e32 v53, 1
	s_and_saveexec_b64 s[14:15], s[16:17]
	s_cbranch_execz .LBB660_302
; %bb.299:                              ;   in Loop: Header=BB660_213 Depth=1
	v_bfe_u32 v42, v38, 16, 7
	v_cmp_ne_u32_e32 vcc, s19, v42
	v_mov_b32_e32 v53, 0x7f800001
	s_and_saveexec_b64 s[16:17], vcc
	s_cbranch_execz .LBB660_301
; %bb.300:                              ;   in Loop: Header=BB660_213 Depth=1
	v_and_b32_e32 v49, 7, v40
	v_ffbh_u32_e32 v63, v49
	v_min_u32_e32 v63, 32, v63
	v_subrev_u32_e32 v64, 28, v63
	v_lshlrev_b64 v[64:65], v64, v[40:41]
	v_lshrrev_b32_e32 v53, 3, v42
	v_sub_u32_e32 v63, 29, v63
	v_and_b32_e32 v64, 7, v64
	v_cmp_gt_u32_e32 vcc, 8, v42
	v_cndmask_b32_e32 v42, v53, v63, vcc
	v_cndmask_b32_e32 v49, v49, v64, vcc
	v_lshlrev_b32_e32 v40, 24, v40
	v_lshlrev_b32_e32 v49, 20, v49
	v_and_b32_e32 v40, 0x80000000, v40
	v_lshl_add_u32 v42, v42, 23, v48
	v_or3_b32 v53, v40, v42, v49
.LBB660_301:                            ;   in Loop: Header=BB660_213 Depth=1
	s_or_b64 exec, exec, s[16:17]
.LBB660_302:                            ;   in Loop: Header=BB660_213 Depth=1
	s_or_b64 exec, exec, s[14:15]
.LBB660_303:                            ;   in Loop: Header=BB660_213 Depth=1
	s_or_b64 exec, exec, s[12:13]
	v_cmp_lt_u32_e32 vcc, s20, v38
	v_mov_b32_e32 v49, 0
	v_mov_b32_e32 v63, 0
	s_and_saveexec_b64 s[12:13], vcc
	s_cbranch_execz .LBB660_309
; %bb.304:                              ;   in Loop: Header=BB660_213 Depth=1
	v_lshrrev_b32_e32 v40, 24, v38
	v_cmp_ne_u32_e32 vcc, s9, v40
	v_bfrev_b32_e32 v63, 1
	s_and_saveexec_b64 s[14:15], vcc
	s_cbranch_execz .LBB660_308
; %bb.305:                              ;   in Loop: Header=BB660_213 Depth=1
	v_bfe_u32 v38, v38, 24, 7
	v_cmp_ne_u32_e32 vcc, s19, v38
	v_mov_b32_e32 v63, 0x7f800001
	s_and_saveexec_b64 s[16:17], vcc
	s_cbranch_execz .LBB660_307
; %bb.306:                              ;   in Loop: Header=BB660_213 Depth=1
	v_and_b32_e32 v42, 7, v40
	v_ffbh_u32_e32 v64, v42
	v_min_u32_e32 v66, 32, v64
	v_subrev_u32_e32 v64, 28, v66
	v_lshlrev_b64 v[64:65], v64, v[40:41]
	v_lshrrev_b32_e32 v63, 3, v38
	v_sub_u32_e32 v65, 29, v66
	v_and_b32_e32 v64, 7, v64
	v_cmp_gt_u32_e32 vcc, 8, v38
	v_cndmask_b32_e32 v38, v63, v65, vcc
	v_cndmask_b32_e32 v42, v42, v64, vcc
	v_lshlrev_b32_e32 v40, 24, v40
	v_lshlrev_b32_e32 v42, 20, v42
	v_and_b32_e32 v40, 0x80000000, v40
	v_lshl_add_u32 v38, v38, 23, v48
	v_or3_b32 v63, v40, v38, v42
.LBB660_307:                            ;   in Loop: Header=BB660_213 Depth=1
	s_or_b64 exec, exec, s[16:17]
.LBB660_308:                            ;   in Loop: Header=BB660_213 Depth=1
	s_or_b64 exec, exec, s[14:15]
.LBB660_309:                            ;   in Loop: Header=BB660_213 Depth=1
	s_or_b64 exec, exec, s[12:13]
	v_cvt_pkrtz_f16_f32 v65, v44, v52
	buffer_load_dword v44, v61, s[0:3], 0 offen
	buffer_load_dword v42, v61, s[0:3], 0 offen offset:4
	buffer_load_dword v40, v61, s[0:3], 0 offen offset:8
	;; [unrolled: 1-line block ×3, first 2 shown]
	v_cvt_pkrtz_f16_f32 v64, v46, v50
	v_cvt_pkrtz_f16_f32 v50, v51, v62
	;; [unrolled: 1-line block ×3, first 2 shown]
	v_mfma_f32_16x16x16f16 v[34:37], v[64:65], v[6:7], v[34:37]
	s_waitcnt vmcnt(3)
	v_cmp_ne_u16_sdwa s[14:15], v44, v47 src0_sel:BYTE_0 src1_sel:DWORD
	v_mfma_f32_16x16x16f16 v[34:37], v[50:51], v[8:9], v[34:37]
	s_and_saveexec_b64 s[12:13], s[14:15]
	s_cbranch_execz .LBB660_315
; %bb.310:                              ;   in Loop: Header=BB660_213 Depth=1
	v_cmp_ne_u16_sdwa s[16:17], v44, s9 src0_sel:BYTE_0 src1_sel:DWORD
	v_bfrev_b32_e32 v49, 1
	s_and_saveexec_b64 s[14:15], s[16:17]
	s_cbranch_execz .LBB660_314
; %bb.311:                              ;   in Loop: Header=BB660_213 Depth=1
	v_and_b32_e32 v46, 0x7f, v44
	v_cmp_ne_u32_e32 vcc, s19, v46
	v_mov_b32_e32 v49, 0x7f800001
	s_and_saveexec_b64 s[16:17], vcc
	s_cbranch_execz .LBB660_313
; %bb.312:                              ;   in Loop: Header=BB660_213 Depth=1
	v_and_b32_e32 v49, 7, v44
	v_ffbh_u32_e32 v50, v49
	v_min_u32_e32 v53, 32, v50
	v_subrev_u32_e32 v50, 28, v53
	v_lshlrev_b64 v[50:51], v50, v[44:45]
	v_lshrrev_b32_e32 v52, 3, v46
	v_sub_u32_e32 v51, 29, v53
	v_and_b32_e32 v50, 7, v50
	v_cmp_gt_u32_e32 vcc, 8, v46
	v_cndmask_b32_e32 v46, v52, v51, vcc
	v_cndmask_b32_e32 v49, v49, v50, vcc
	v_lshlrev_b32_e32 v50, 24, v44
	v_lshlrev_b32_e32 v49, 20, v49
	v_and_b32_e32 v50, 0x80000000, v50
	v_lshl_add_u32 v46, v46, 23, v48
	v_or3_b32 v49, v50, v46, v49
.LBB660_313:                            ;   in Loop: Header=BB660_213 Depth=1
	s_or_b64 exec, exec, s[16:17]
.LBB660_314:                            ;   in Loop: Header=BB660_213 Depth=1
	s_or_b64 exec, exec, s[14:15]
.LBB660_315:                            ;   in Loop: Header=BB660_213 Depth=1
	s_or_b64 exec, exec, s[12:13]
	v_lshrrev_b16_e32 v46, 8, v44
	v_cmp_ne_u16_e32 vcc, 0, v46
	v_mov_b32_e32 v50, 0
	v_mov_b32_e32 v51, 0
	s_and_saveexec_b64 s[12:13], vcc
	s_cbranch_execz .LBB660_321
; %bb.316:                              ;   in Loop: Header=BB660_213 Depth=1
	v_cmp_ne_u16_e32 vcc, s9, v46
	v_bfrev_b32_e32 v51, 1
	s_and_saveexec_b64 s[14:15], vcc
	s_cbranch_execz .LBB660_320
; %bb.317:                              ;   in Loop: Header=BB660_213 Depth=1
	v_and_b32_e32 v52, 0x7f, v46
	v_cmp_ne_u32_e32 vcc, s19, v52
	v_mov_b32_e32 v51, 0x7f800001
	s_and_saveexec_b64 s[16:17], vcc
	s_cbranch_execz .LBB660_319
; %bb.318:                              ;   in Loop: Header=BB660_213 Depth=1
	v_and_b32_e32 v51, 7, v46
	v_ffbh_u32_e32 v61, v51
	v_min_u32_e32 v61, 32, v61
	v_subrev_u32_e32 v62, 28, v61
	v_lshlrev_b64 v[62:63], v62, v[46:47]
	v_lshrrev_b32_e32 v53, 3, v52
	v_sub_u32_e32 v46, 29, v61
	v_and_b32_e32 v61, 7, v62
	v_cmp_gt_u32_e32 vcc, 8, v52
	v_cndmask_b32_e32 v46, v53, v46, vcc
	v_cndmask_b32_e32 v51, v51, v61, vcc
	v_lshlrev_b32_e32 v52, 16, v44
	v_lshlrev_b32_e32 v51, 20, v51
	v_and_b32_e32 v52, 0x80000000, v52
	v_lshl_add_u32 v46, v46, 23, v48
	v_or3_b32 v51, v52, v46, v51
.LBB660_319:                            ;   in Loop: Header=BB660_213 Depth=1
	s_or_b64 exec, exec, s[16:17]
.LBB660_320:                            ;   in Loop: Header=BB660_213 Depth=1
	s_or_b64 exec, exec, s[14:15]
.LBB660_321:                            ;   in Loop: Header=BB660_213 Depth=1
	s_or_b64 exec, exec, s[12:13]
	v_lshrrev_b32_e32 v46, 16, v44
	v_cmp_ne_u16_sdwa s[14:15], v46, v47 src0_sel:BYTE_0 src1_sel:DWORD
	s_and_saveexec_b64 s[12:13], s[14:15]
	s_cbranch_execz .LBB660_327
; %bb.322:                              ;   in Loop: Header=BB660_213 Depth=1
	v_cmp_ne_u16_sdwa s[16:17], v46, s9 src0_sel:BYTE_0 src1_sel:DWORD
	v_bfrev_b32_e32 v50, 1
	s_and_saveexec_b64 s[14:15], s[16:17]
	s_cbranch_execz .LBB660_326
; %bb.323:                              ;   in Loop: Header=BB660_213 Depth=1
	v_bfe_u32 v52, v44, 16, 7
	v_cmp_ne_u32_e32 vcc, s19, v52
	v_mov_b32_e32 v50, 0x7f800001
	s_and_saveexec_b64 s[16:17], vcc
	s_cbranch_execz .LBB660_325
; %bb.324:                              ;   in Loop: Header=BB660_213 Depth=1
	v_and_b32_e32 v50, 7, v46
	v_ffbh_u32_e32 v61, v50
	v_min_u32_e32 v61, 32, v61
	v_subrev_u32_e32 v62, 28, v61
	v_lshlrev_b64 v[62:63], v62, v[46:47]
	v_lshrrev_b32_e32 v53, 3, v52
	v_sub_u32_e32 v61, 29, v61
	v_and_b32_e32 v62, 7, v62
	v_cmp_gt_u32_e32 vcc, 8, v52
	v_cndmask_b32_e32 v52, v53, v61, vcc
	v_cndmask_b32_e32 v50, v50, v62, vcc
	v_lshlrev_b32_e32 v46, 24, v46
	v_lshlrev_b32_e32 v50, 20, v50
	v_and_b32_e32 v46, 0x80000000, v46
	v_lshl_add_u32 v52, v52, 23, v48
	v_or3_b32 v50, v46, v52, v50
.LBB660_325:                            ;   in Loop: Header=BB660_213 Depth=1
	s_or_b64 exec, exec, s[16:17]
.LBB660_326:                            ;   in Loop: Header=BB660_213 Depth=1
	s_or_b64 exec, exec, s[14:15]
.LBB660_327:                            ;   in Loop: Header=BB660_213 Depth=1
	s_or_b64 exec, exec, s[12:13]
	v_cmp_lt_u32_e32 vcc, s20, v44
	v_mov_b32_e32 v52, 0
	v_mov_b32_e32 v53, 0
	s_and_saveexec_b64 s[12:13], vcc
	s_cbranch_execz .LBB660_333
; %bb.328:                              ;   in Loop: Header=BB660_213 Depth=1
	v_lshrrev_b32_e32 v46, 24, v44
	v_cmp_ne_u32_e32 vcc, s9, v46
	v_bfrev_b32_e32 v53, 1
	s_and_saveexec_b64 s[14:15], vcc
	s_cbranch_execz .LBB660_332
; %bb.329:                              ;   in Loop: Header=BB660_213 Depth=1
	v_bfe_u32 v44, v44, 24, 7
	v_cmp_ne_u32_e32 vcc, s19, v44
	v_mov_b32_e32 v53, 0x7f800001
	s_and_saveexec_b64 s[16:17], vcc
	s_cbranch_execz .LBB660_331
; %bb.330:                              ;   in Loop: Header=BB660_213 Depth=1
	v_and_b32_e32 v53, 7, v46
	v_ffbh_u32_e32 v62, v53
	v_min_u32_e32 v64, 32, v62
	v_subrev_u32_e32 v62, 28, v64
	v_lshlrev_b64 v[62:63], v62, v[46:47]
	v_lshrrev_b32_e32 v61, 3, v44
	v_sub_u32_e32 v63, 29, v64
	v_and_b32_e32 v62, 7, v62
	v_cmp_gt_u32_e32 vcc, 8, v44
	v_cndmask_b32_e32 v44, v61, v63, vcc
	v_cndmask_b32_e32 v53, v53, v62, vcc
	v_lshlrev_b32_e32 v46, 24, v46
	v_lshlrev_b32_e32 v53, 20, v53
	v_and_b32_e32 v46, 0x80000000, v46
	v_lshl_add_u32 v44, v44, 23, v48
	v_or3_b32 v53, v46, v44, v53
.LBB660_331:                            ;   in Loop: Header=BB660_213 Depth=1
	s_or_b64 exec, exec, s[16:17]
.LBB660_332:                            ;   in Loop: Header=BB660_213 Depth=1
	s_or_b64 exec, exec, s[14:15]
.LBB660_333:                            ;   in Loop: Header=BB660_213 Depth=1
	s_or_b64 exec, exec, s[12:13]
	s_waitcnt vmcnt(2)
	v_cmp_ne_u16_sdwa s[14:15], v42, v47 src0_sel:BYTE_0 src1_sel:DWORD
	s_and_saveexec_b64 s[12:13], s[14:15]
	s_cbranch_execz .LBB660_339
; %bb.334:                              ;   in Loop: Header=BB660_213 Depth=1
	v_cmp_ne_u16_sdwa s[16:17], v42, s9 src0_sel:BYTE_0 src1_sel:DWORD
	v_bfrev_b32_e32 v52, 1
	s_and_saveexec_b64 s[14:15], s[16:17]
	s_cbranch_execz .LBB660_338
; %bb.335:                              ;   in Loop: Header=BB660_213 Depth=1
	v_and_b32_e32 v44, 0x7f, v42
	v_cmp_ne_u32_e32 vcc, s19, v44
	v_mov_b32_e32 v52, 0x7f800001
	s_and_saveexec_b64 s[16:17], vcc
	s_cbranch_execz .LBB660_337
; %bb.336:                              ;   in Loop: Header=BB660_213 Depth=1
	v_and_b32_e32 v46, 7, v42
	v_ffbh_u32_e32 v61, v46
	v_min_u32_e32 v61, 32, v61
	v_subrev_u32_e32 v62, 28, v61
	v_lshlrev_b64 v[62:63], v62, v[42:43]
	v_lshrrev_b32_e32 v52, 3, v44
	v_sub_u32_e32 v61, 29, v61
	v_and_b32_e32 v62, 7, v62
	v_cmp_gt_u32_e32 vcc, 8, v44
	v_cndmask_b32_e32 v44, v52, v61, vcc
	v_cndmask_b32_e32 v46, v46, v62, vcc
	v_lshlrev_b32_e32 v52, 24, v42
	v_lshlrev_b32_e32 v46, 20, v46
	v_and_b32_e32 v52, 0x80000000, v52
	v_lshl_add_u32 v44, v44, 23, v48
	v_or3_b32 v52, v52, v44, v46
.LBB660_337:                            ;   in Loop: Header=BB660_213 Depth=1
	s_or_b64 exec, exec, s[16:17]
.LBB660_338:                            ;   in Loop: Header=BB660_213 Depth=1
	s_or_b64 exec, exec, s[14:15]
.LBB660_339:                            ;   in Loop: Header=BB660_213 Depth=1
	s_or_b64 exec, exec, s[12:13]
	v_lshrrev_b16_e32 v44, 8, v42
	v_cmp_ne_u16_e32 vcc, 0, v44
	v_mov_b32_e32 v61, 0
	v_mov_b32_e32 v62, 0
	s_and_saveexec_b64 s[12:13], vcc
	s_cbranch_execz .LBB660_345
; %bb.340:                              ;   in Loop: Header=BB660_213 Depth=1
	v_cmp_ne_u16_e32 vcc, s9, v44
	v_bfrev_b32_e32 v62, 1
	s_and_saveexec_b64 s[14:15], vcc
	s_cbranch_execz .LBB660_344
; %bb.341:                              ;   in Loop: Header=BB660_213 Depth=1
	v_and_b32_e32 v46, 0x7f, v44
	v_cmp_ne_u32_e32 vcc, s19, v46
	v_mov_b32_e32 v62, 0x7f800001
	s_and_saveexec_b64 s[16:17], vcc
	s_cbranch_execz .LBB660_343
; %bb.342:                              ;   in Loop: Header=BB660_213 Depth=1
	v_and_b32_e32 v64, 7, v44
	v_ffbh_u32_e32 v62, v64
	v_min_u32_e32 v66, 32, v62
	v_subrev_u32_e32 v62, 28, v66
	v_lshlrev_b64 v[62:63], v62, v[44:45]
	v_lshrrev_b32_e32 v65, 3, v46
	v_sub_u32_e32 v44, 29, v66
	v_and_b32_e32 v62, 7, v62
	v_cmp_gt_u32_e32 vcc, 8, v46
	v_cndmask_b32_e32 v44, v65, v44, vcc
	v_cndmask_b32_e32 v46, v64, v62, vcc
	v_lshlrev_b32_e32 v62, 16, v42
	v_lshlrev_b32_e32 v46, 20, v46
	v_and_b32_e32 v62, 0x80000000, v62
	v_lshl_add_u32 v44, v44, 23, v48
	v_or3_b32 v62, v62, v44, v46
.LBB660_343:                            ;   in Loop: Header=BB660_213 Depth=1
	s_or_b64 exec, exec, s[16:17]
.LBB660_344:                            ;   in Loop: Header=BB660_213 Depth=1
	s_or_b64 exec, exec, s[14:15]
.LBB660_345:                            ;   in Loop: Header=BB660_213 Depth=1
	s_or_b64 exec, exec, s[12:13]
	v_lshrrev_b32_e32 v44, 16, v42
	v_cmp_ne_u16_sdwa s[14:15], v44, v47 src0_sel:BYTE_0 src1_sel:DWORD
	s_and_saveexec_b64 s[12:13], s[14:15]
	s_cbranch_execz .LBB660_351
; %bb.346:                              ;   in Loop: Header=BB660_213 Depth=1
	v_cmp_ne_u16_sdwa s[16:17], v44, s9 src0_sel:BYTE_0 src1_sel:DWORD
	v_bfrev_b32_e32 v61, 1
	s_and_saveexec_b64 s[14:15], s[16:17]
	s_cbranch_execz .LBB660_350
; %bb.347:                              ;   in Loop: Header=BB660_213 Depth=1
	v_bfe_u32 v46, v42, 16, 7
	v_cmp_ne_u32_e32 vcc, s19, v46
	v_mov_b32_e32 v61, 0x7f800001
	s_and_saveexec_b64 s[16:17], vcc
	s_cbranch_execz .LBB660_349
; %bb.348:                              ;   in Loop: Header=BB660_213 Depth=1
	v_and_b32_e32 v61, 7, v44
	v_ffbh_u32_e32 v64, v61
	v_min_u32_e32 v66, 32, v64
	v_subrev_u32_e32 v64, 28, v66
	v_lshlrev_b64 v[64:65], v64, v[44:45]
	v_lshrrev_b32_e32 v63, 3, v46
	v_sub_u32_e32 v65, 29, v66
	v_and_b32_e32 v64, 7, v64
	v_cmp_gt_u32_e32 vcc, 8, v46
	v_cndmask_b32_e32 v46, v63, v65, vcc
	v_cndmask_b32_e32 v61, v61, v64, vcc
	v_lshlrev_b32_e32 v44, 24, v44
	v_lshlrev_b32_e32 v61, 20, v61
	v_and_b32_e32 v44, 0x80000000, v44
	v_lshl_add_u32 v46, v46, 23, v48
	v_or3_b32 v61, v44, v46, v61
.LBB660_349:                            ;   in Loop: Header=BB660_213 Depth=1
	s_or_b64 exec, exec, s[16:17]
.LBB660_350:                            ;   in Loop: Header=BB660_213 Depth=1
	s_or_b64 exec, exec, s[14:15]
.LBB660_351:                            ;   in Loop: Header=BB660_213 Depth=1
	s_or_b64 exec, exec, s[12:13]
	v_cmp_lt_u32_e32 vcc, s20, v42
	v_mov_b32_e32 v46, 0
	v_mov_b32_e32 v63, 0
	s_and_saveexec_b64 s[12:13], vcc
	s_cbranch_execz .LBB660_357
; %bb.352:                              ;   in Loop: Header=BB660_213 Depth=1
	v_lshrrev_b32_e32 v44, 24, v42
	v_cmp_ne_u32_e32 vcc, s9, v44
	v_bfrev_b32_e32 v63, 1
	s_and_saveexec_b64 s[14:15], vcc
	s_cbranch_execz .LBB660_356
; %bb.353:                              ;   in Loop: Header=BB660_213 Depth=1
	v_bfe_u32 v42, v42, 24, 7
	v_cmp_ne_u32_e32 vcc, s19, v42
	v_mov_b32_e32 v63, 0x7f800001
	s_and_saveexec_b64 s[16:17], vcc
	s_cbranch_execz .LBB660_355
; %bb.354:                              ;   in Loop: Header=BB660_213 Depth=1
	v_and_b32_e32 v63, 7, v44
	v_ffbh_u32_e32 v64, v63
	v_min_u32_e32 v67, 32, v64
	v_subrev_u32_e32 v64, 28, v67
	v_lshlrev_b64 v[64:65], v64, v[44:45]
	v_lshrrev_b32_e32 v66, 3, v42
	v_sub_u32_e32 v65, 29, v67
	v_and_b32_e32 v64, 7, v64
	v_cmp_gt_u32_e32 vcc, 8, v42
	v_cndmask_b32_e32 v42, v66, v65, vcc
	v_cndmask_b32_e32 v63, v63, v64, vcc
	v_lshlrev_b32_e32 v44, 24, v44
	v_lshlrev_b32_e32 v63, 20, v63
	v_and_b32_e32 v44, 0x80000000, v44
	v_lshl_add_u32 v42, v42, 23, v48
	v_or3_b32 v63, v44, v42, v63
.LBB660_355:                            ;   in Loop: Header=BB660_213 Depth=1
	s_or_b64 exec, exec, s[16:17]
.LBB660_356:                            ;   in Loop: Header=BB660_213 Depth=1
	s_or_b64 exec, exec, s[14:15]
.LBB660_357:                            ;   in Loop: Header=BB660_213 Depth=1
	s_or_b64 exec, exec, s[12:13]
	v_cvt_pkrtz_f16_f32 v64, v49, v51
	v_cvt_pkrtz_f16_f32 v65, v50, v53
	;; [unrolled: 1-line block ×4, first 2 shown]
	s_waitcnt vmcnt(1)
	v_cmp_ne_u16_sdwa s[14:15], v40, v47 src0_sel:BYTE_0 src1_sel:DWORD
	v_mfma_f32_16x16x16f16 v[34:37], v[64:65], v[10:11], v[34:37]
	v_mfma_f32_16x16x16f16 v[34:37], v[50:51], v[12:13], v[34:37]
	s_and_saveexec_b64 s[12:13], s[14:15]
	s_cbranch_execz .LBB660_363
; %bb.358:                              ;   in Loop: Header=BB660_213 Depth=1
	v_cmp_ne_u16_sdwa s[16:17], v40, s9 src0_sel:BYTE_0 src1_sel:DWORD
	v_bfrev_b32_e32 v46, 1
	s_and_saveexec_b64 s[14:15], s[16:17]
	s_cbranch_execz .LBB660_362
; %bb.359:                              ;   in Loop: Header=BB660_213 Depth=1
	v_and_b32_e32 v42, 0x7f, v40
	v_cmp_ne_u32_e32 vcc, s19, v42
	v_mov_b32_e32 v46, 0x7f800001
	s_and_saveexec_b64 s[16:17], vcc
	s_cbranch_execz .LBB660_361
; %bb.360:                              ;   in Loop: Header=BB660_213 Depth=1
	v_and_b32_e32 v44, 7, v40
	v_ffbh_u32_e32 v49, v44
	v_min_u32_e32 v49, 32, v49
	v_subrev_u32_e32 v50, 28, v49
	v_lshlrev_b64 v[50:51], v50, v[40:41]
	v_lshrrev_b32_e32 v46, 3, v42
	v_sub_u32_e32 v49, 29, v49
	v_and_b32_e32 v50, 7, v50
	v_cmp_gt_u32_e32 vcc, 8, v42
	v_cndmask_b32_e32 v42, v46, v49, vcc
	v_cndmask_b32_e32 v44, v44, v50, vcc
	v_lshlrev_b32_e32 v46, 24, v40
	v_lshlrev_b32_e32 v44, 20, v44
	v_and_b32_e32 v46, 0x80000000, v46
	v_lshl_add_u32 v42, v42, 23, v48
	v_or3_b32 v46, v46, v42, v44
.LBB660_361:                            ;   in Loop: Header=BB660_213 Depth=1
	s_or_b64 exec, exec, s[16:17]
.LBB660_362:                            ;   in Loop: Header=BB660_213 Depth=1
	s_or_b64 exec, exec, s[14:15]
.LBB660_363:                            ;   in Loop: Header=BB660_213 Depth=1
	s_or_b64 exec, exec, s[12:13]
	v_lshrrev_b16_e32 v42, 8, v40
	v_cmp_ne_u16_e32 vcc, 0, v42
	v_mov_b32_e32 v44, 0
	v_mov_b32_e32 v50, 0
	s_and_saveexec_b64 s[12:13], vcc
	s_cbranch_execz .LBB660_369
; %bb.364:                              ;   in Loop: Header=BB660_213 Depth=1
	v_cmp_ne_u16_e32 vcc, s9, v42
	v_bfrev_b32_e32 v50, 1
	s_and_saveexec_b64 s[14:15], vcc
	s_cbranch_execz .LBB660_368
; %bb.365:                              ;   in Loop: Header=BB660_213 Depth=1
	v_and_b32_e32 v49, 0x7f, v42
	v_cmp_ne_u32_e32 vcc, s19, v49
	v_mov_b32_e32 v50, 0x7f800001
	s_and_saveexec_b64 s[16:17], vcc
	s_cbranch_execz .LBB660_367
; %bb.366:                              ;   in Loop: Header=BB660_213 Depth=1
	v_and_b32_e32 v52, 7, v42
	v_ffbh_u32_e32 v50, v52
	v_min_u32_e32 v61, 32, v50
	v_subrev_u32_e32 v50, 28, v61
	v_lshlrev_b64 v[50:51], v50, v[42:43]
	v_lshrrev_b32_e32 v53, 3, v49
	v_sub_u32_e32 v42, 29, v61
	v_and_b32_e32 v50, 7, v50
	v_cmp_gt_u32_e32 vcc, 8, v49
	v_cndmask_b32_e32 v42, v53, v42, vcc
	v_cndmask_b32_e32 v49, v52, v50, vcc
	v_lshlrev_b32_e32 v50, 16, v40
	v_lshlrev_b32_e32 v49, 20, v49
	v_and_b32_e32 v50, 0x80000000, v50
	v_lshl_add_u32 v42, v42, 23, v48
	v_or3_b32 v50, v50, v42, v49
.LBB660_367:                            ;   in Loop: Header=BB660_213 Depth=1
	s_or_b64 exec, exec, s[16:17]
.LBB660_368:                            ;   in Loop: Header=BB660_213 Depth=1
	s_or_b64 exec, exec, s[14:15]
.LBB660_369:                            ;   in Loop: Header=BB660_213 Depth=1
	s_or_b64 exec, exec, s[12:13]
	v_lshrrev_b32_e32 v42, 16, v40
	v_cmp_ne_u16_sdwa s[14:15], v42, v47 src0_sel:BYTE_0 src1_sel:DWORD
	s_and_saveexec_b64 s[12:13], s[14:15]
	s_cbranch_execz .LBB660_375
; %bb.370:                              ;   in Loop: Header=BB660_213 Depth=1
	v_cmp_ne_u16_sdwa s[16:17], v42, s9 src0_sel:BYTE_0 src1_sel:DWORD
	v_bfrev_b32_e32 v44, 1
	s_and_saveexec_b64 s[14:15], s[16:17]
	s_cbranch_execz .LBB660_374
; %bb.371:                              ;   in Loop: Header=BB660_213 Depth=1
	v_bfe_u32 v49, v40, 16, 7
	v_cmp_ne_u32_e32 vcc, s19, v49
	v_mov_b32_e32 v44, 0x7f800001
	s_and_saveexec_b64 s[16:17], vcc
	s_cbranch_execz .LBB660_373
; %bb.372:                              ;   in Loop: Header=BB660_213 Depth=1
	v_and_b32_e32 v44, 7, v42
	v_ffbh_u32_e32 v52, v44
	v_min_u32_e32 v61, 32, v52
	v_subrev_u32_e32 v52, 28, v61
	v_lshlrev_b64 v[52:53], v52, v[42:43]
	v_lshrrev_b32_e32 v51, 3, v49
	v_sub_u32_e32 v53, 29, v61
	v_and_b32_e32 v52, 7, v52
	v_cmp_gt_u32_e32 vcc, 8, v49
	v_cndmask_b32_e32 v49, v51, v53, vcc
	v_cndmask_b32_e32 v44, v44, v52, vcc
	v_lshlrev_b32_e32 v42, 24, v42
	v_lshlrev_b32_e32 v44, 20, v44
	v_and_b32_e32 v42, 0x80000000, v42
	v_lshl_add_u32 v49, v49, 23, v48
	v_or3_b32 v44, v42, v49, v44
.LBB660_373:                            ;   in Loop: Header=BB660_213 Depth=1
	s_or_b64 exec, exec, s[16:17]
.LBB660_374:                            ;   in Loop: Header=BB660_213 Depth=1
	s_or_b64 exec, exec, s[14:15]
.LBB660_375:                            ;   in Loop: Header=BB660_213 Depth=1
	s_or_b64 exec, exec, s[12:13]
	v_cmp_lt_u32_e32 vcc, s20, v40
	v_mov_b32_e32 v51, 0
	v_mov_b32_e32 v52, 0
	s_and_saveexec_b64 s[12:13], vcc
	s_cbranch_execz .LBB660_381
; %bb.376:                              ;   in Loop: Header=BB660_213 Depth=1
	v_lshrrev_b32_e32 v42, 24, v40
	v_cmp_ne_u32_e32 vcc, s9, v42
	v_bfrev_b32_e32 v52, 1
	s_and_saveexec_b64 s[14:15], vcc
	s_cbranch_execz .LBB660_380
; %bb.377:                              ;   in Loop: Header=BB660_213 Depth=1
	v_bfe_u32 v40, v40, 24, 7
	v_cmp_ne_u32_e32 vcc, s19, v40
	v_mov_b32_e32 v52, 0x7f800001
	s_and_saveexec_b64 s[16:17], vcc
	s_cbranch_execz .LBB660_379
; %bb.378:                              ;   in Loop: Header=BB660_213 Depth=1
	v_and_b32_e32 v49, 7, v42
	v_ffbh_u32_e32 v52, v49
	v_min_u32_e32 v62, 32, v52
	v_subrev_u32_e32 v52, 28, v62
	v_lshlrev_b64 v[52:53], v52, v[42:43]
	v_lshrrev_b32_e32 v61, 3, v40
	v_sub_u32_e32 v53, 29, v62
	v_and_b32_e32 v52, 7, v52
	v_cmp_gt_u32_e32 vcc, 8, v40
	v_cndmask_b32_e32 v40, v61, v53, vcc
	v_cndmask_b32_e32 v49, v49, v52, vcc
	v_lshlrev_b32_e32 v42, 24, v42
	v_lshlrev_b32_e32 v49, 20, v49
	v_and_b32_e32 v42, 0x80000000, v42
	v_lshl_add_u32 v40, v40, 23, v48
	v_or3_b32 v52, v42, v40, v49
.LBB660_379:                            ;   in Loop: Header=BB660_213 Depth=1
	s_or_b64 exec, exec, s[16:17]
.LBB660_380:                            ;   in Loop: Header=BB660_213 Depth=1
	s_or_b64 exec, exec, s[14:15]
.LBB660_381:                            ;   in Loop: Header=BB660_213 Depth=1
	s_or_b64 exec, exec, s[12:13]
	s_waitcnt vmcnt(0)
	v_cmp_ne_u16_sdwa s[14:15], v38, v47 src0_sel:BYTE_0 src1_sel:DWORD
	s_and_saveexec_b64 s[12:13], s[14:15]
	s_cbranch_execz .LBB660_387
; %bb.382:                              ;   in Loop: Header=BB660_213 Depth=1
	v_cmp_ne_u16_sdwa s[16:17], v38, s9 src0_sel:BYTE_0 src1_sel:DWORD
	v_bfrev_b32_e32 v51, 1
	s_and_saveexec_b64 s[14:15], s[16:17]
	s_cbranch_execz .LBB660_386
; %bb.383:                              ;   in Loop: Header=BB660_213 Depth=1
	v_and_b32_e32 v40, 0x7f, v38
	v_cmp_ne_u32_e32 vcc, s19, v40
	v_mov_b32_e32 v51, 0x7f800001
	s_and_saveexec_b64 s[16:17], vcc
	s_cbranch_execz .LBB660_385
; %bb.384:                              ;   in Loop: Header=BB660_213 Depth=1
	v_and_b32_e32 v42, 7, v38
	v_ffbh_u32_e32 v51, v42
	v_min_u32_e32 v51, 32, v51
	v_subrev_u32_e32 v53, 28, v51
	v_lshlrev_b64 v[62:63], v53, v[38:39]
	v_lshrrev_b32_e32 v49, 3, v40
	v_sub_u32_e32 v51, 29, v51
	v_and_b32_e32 v53, 7, v62
	v_cmp_gt_u32_e32 vcc, 8, v40
	v_cndmask_b32_e32 v40, v49, v51, vcc
	v_cndmask_b32_e32 v42, v42, v53, vcc
	v_lshlrev_b32_e32 v49, 24, v38
	v_lshlrev_b32_e32 v42, 20, v42
	v_and_b32_e32 v49, 0x80000000, v49
	v_lshl_add_u32 v40, v40, 23, v48
	v_or3_b32 v51, v49, v40, v42
.LBB660_385:                            ;   in Loop: Header=BB660_213 Depth=1
	s_or_b64 exec, exec, s[16:17]
.LBB660_386:                            ;   in Loop: Header=BB660_213 Depth=1
	s_or_b64 exec, exec, s[14:15]
.LBB660_387:                            ;   in Loop: Header=BB660_213 Depth=1
	s_or_b64 exec, exec, s[12:13]
	v_lshrrev_b16_e32 v40, 8, v38
	v_cmp_ne_u16_e32 vcc, 0, v40
	v_mov_b32_e32 v53, 0
	v_mov_b32_e32 v61, 0
	s_and_saveexec_b64 s[12:13], vcc
	s_cbranch_execz .LBB660_393
; %bb.388:                              ;   in Loop: Header=BB660_213 Depth=1
	v_cmp_ne_u16_e32 vcc, s9, v40
	v_bfrev_b32_e32 v61, 1
	s_and_saveexec_b64 s[14:15], vcc
	s_cbranch_execz .LBB660_392
; %bb.389:                              ;   in Loop: Header=BB660_213 Depth=1
	v_and_b32_e32 v42, 0x7f, v40
	v_cmp_ne_u32_e32 vcc, s19, v42
	v_mov_b32_e32 v61, 0x7f800001
	s_and_saveexec_b64 s[16:17], vcc
	s_cbranch_execz .LBB660_391
; %bb.390:                              ;   in Loop: Header=BB660_213 Depth=1
	v_and_b32_e32 v49, 7, v40
	v_ffbh_u32_e32 v62, v49
	v_min_u32_e32 v64, 32, v62
	v_subrev_u32_e32 v62, 28, v64
	v_lshlrev_b64 v[62:63], v62, v[40:41]
	v_lshrrev_b32_e32 v61, 3, v42
	v_sub_u32_e32 v40, 29, v64
	v_and_b32_e32 v62, 7, v62
	v_cmp_gt_u32_e32 vcc, 8, v42
	v_cndmask_b32_e32 v40, v61, v40, vcc
	v_cndmask_b32_e32 v42, v49, v62, vcc
	v_lshlrev_b32_e32 v49, 16, v38
	v_lshlrev_b32_e32 v42, 20, v42
	v_and_b32_e32 v49, 0x80000000, v49
	v_lshl_add_u32 v40, v40, 23, v48
	v_or3_b32 v61, v49, v40, v42
.LBB660_391:                            ;   in Loop: Header=BB660_213 Depth=1
	s_or_b64 exec, exec, s[16:17]
.LBB660_392:                            ;   in Loop: Header=BB660_213 Depth=1
	s_or_b64 exec, exec, s[14:15]
.LBB660_393:                            ;   in Loop: Header=BB660_213 Depth=1
	s_or_b64 exec, exec, s[12:13]
	v_lshrrev_b32_e32 v40, 16, v38
	v_cmp_ne_u16_sdwa s[14:15], v40, v47 src0_sel:BYTE_0 src1_sel:DWORD
	s_and_saveexec_b64 s[12:13], s[14:15]
	s_cbranch_execz .LBB660_399
; %bb.394:                              ;   in Loop: Header=BB660_213 Depth=1
	v_cmp_ne_u16_sdwa s[16:17], v40, s9 src0_sel:BYTE_0 src1_sel:DWORD
	v_bfrev_b32_e32 v53, 1
	s_and_saveexec_b64 s[14:15], s[16:17]
	s_cbranch_execz .LBB660_398
; %bb.395:                              ;   in Loop: Header=BB660_213 Depth=1
	v_bfe_u32 v42, v38, 16, 7
	v_cmp_ne_u32_e32 vcc, s19, v42
	v_mov_b32_e32 v53, 0x7f800001
	s_and_saveexec_b64 s[16:17], vcc
	s_cbranch_execz .LBB660_397
; %bb.396:                              ;   in Loop: Header=BB660_213 Depth=1
	v_and_b32_e32 v49, 7, v40
	v_ffbh_u32_e32 v62, v49
	v_min_u32_e32 v64, 32, v62
	v_subrev_u32_e32 v62, 28, v64
	v_lshlrev_b64 v[62:63], v62, v[40:41]
	v_lshrrev_b32_e32 v53, 3, v42
	v_sub_u32_e32 v63, 29, v64
	v_and_b32_e32 v62, 7, v62
	v_cmp_gt_u32_e32 vcc, 8, v42
	v_cndmask_b32_e32 v42, v53, v63, vcc
	v_cndmask_b32_e32 v49, v49, v62, vcc
	v_lshlrev_b32_e32 v40, 24, v40
	v_lshlrev_b32_e32 v49, 20, v49
	v_and_b32_e32 v40, 0x80000000, v40
	v_lshl_add_u32 v42, v42, 23, v48
	v_or3_b32 v53, v40, v42, v49
.LBB660_397:                            ;   in Loop: Header=BB660_213 Depth=1
	s_or_b64 exec, exec, s[16:17]
.LBB660_398:                            ;   in Loop: Header=BB660_213 Depth=1
	s_or_b64 exec, exec, s[14:15]
.LBB660_399:                            ;   in Loop: Header=BB660_213 Depth=1
	s_or_b64 exec, exec, s[12:13]
	v_cmp_lt_u32_e32 vcc, s20, v38
	v_mov_b32_e32 v49, 0
	v_mov_b32_e32 v62, 0
	s_and_saveexec_b64 s[12:13], vcc
	s_cbranch_execz .LBB660_405
; %bb.400:                              ;   in Loop: Header=BB660_213 Depth=1
	v_lshrrev_b32_e32 v40, 24, v38
	v_cmp_ne_u32_e32 vcc, s9, v40
	v_bfrev_b32_e32 v62, 1
	s_and_saveexec_b64 s[14:15], vcc
	s_cbranch_execz .LBB660_404
; %bb.401:                              ;   in Loop: Header=BB660_213 Depth=1
	v_bfe_u32 v38, v38, 24, 7
	v_cmp_ne_u32_e32 vcc, s19, v38
	v_mov_b32_e32 v62, 0x7f800001
	s_and_saveexec_b64 s[16:17], vcc
	s_cbranch_execz .LBB660_403
; %bb.402:                              ;   in Loop: Header=BB660_213 Depth=1
	v_and_b32_e32 v42, 7, v40
	v_ffbh_u32_e32 v62, v42
	v_min_u32_e32 v65, 32, v62
	v_subrev_u32_e32 v62, 28, v65
	v_lshlrev_b64 v[62:63], v62, v[40:41]
	v_lshrrev_b32_e32 v64, 3, v38
	v_sub_u32_e32 v63, 29, v65
	v_and_b32_e32 v62, 7, v62
	v_cmp_gt_u32_e32 vcc, 8, v38
	v_cndmask_b32_e32 v38, v64, v63, vcc
	v_cndmask_b32_e32 v42, v42, v62, vcc
	v_lshlrev_b32_e32 v40, 24, v40
	v_lshlrev_b32_e32 v42, 20, v42
	v_and_b32_e32 v40, 0x80000000, v40
	v_lshl_add_u32 v38, v38, 23, v48
	v_or3_b32 v62, v40, v38, v42
.LBB660_403:                            ;   in Loop: Header=BB660_213 Depth=1
	s_or_b64 exec, exec, s[16:17]
.LBB660_404:                            ;   in Loop: Header=BB660_213 Depth=1
	s_or_b64 exec, exec, s[14:15]
.LBB660_405:                            ;   in Loop: Header=BB660_213 Depth=1
	s_or_b64 exec, exec, s[12:13]
	v_cvt_pkrtz_f16_f32 v65, v44, v52
	buffer_load_dword v44, v60, s[0:3], 0 offen
	buffer_load_dword v42, v60, s[0:3], 0 offen offset:4
	buffer_load_dword v40, v60, s[0:3], 0 offen offset:8
	;; [unrolled: 1-line block ×3, first 2 shown]
	v_cvt_pkrtz_f16_f32 v64, v46, v50
	v_cvt_pkrtz_f16_f32 v50, v51, v61
	;; [unrolled: 1-line block ×3, first 2 shown]
	v_mfma_f32_16x16x16f16 v[34:37], v[64:65], v[14:15], v[34:37]
	s_waitcnt vmcnt(3)
	v_cmp_ne_u16_sdwa s[14:15], v44, v47 src0_sel:BYTE_0 src1_sel:DWORD
	v_mfma_f32_16x16x16f16 v[34:37], v[50:51], v[16:17], v[34:37]
	s_and_saveexec_b64 s[12:13], s[14:15]
	s_cbranch_execz .LBB660_411
; %bb.406:                              ;   in Loop: Header=BB660_213 Depth=1
	v_cmp_ne_u16_sdwa s[16:17], v44, s9 src0_sel:BYTE_0 src1_sel:DWORD
	v_bfrev_b32_e32 v49, 1
	s_and_saveexec_b64 s[14:15], s[16:17]
	s_cbranch_execz .LBB660_410
; %bb.407:                              ;   in Loop: Header=BB660_213 Depth=1
	v_and_b32_e32 v46, 0x7f, v44
	v_cmp_ne_u32_e32 vcc, s19, v46
	v_mov_b32_e32 v49, 0x7f800001
	s_and_saveexec_b64 s[16:17], vcc
	s_cbranch_execz .LBB660_409
; %bb.408:                              ;   in Loop: Header=BB660_213 Depth=1
	v_and_b32_e32 v49, 7, v44
	v_ffbh_u32_e32 v50, v49
	v_min_u32_e32 v53, 32, v50
	v_subrev_u32_e32 v50, 28, v53
	v_lshlrev_b64 v[50:51], v50, v[44:45]
	v_lshrrev_b32_e32 v52, 3, v46
	v_sub_u32_e32 v51, 29, v53
	v_and_b32_e32 v50, 7, v50
	v_cmp_gt_u32_e32 vcc, 8, v46
	v_cndmask_b32_e32 v46, v52, v51, vcc
	v_cndmask_b32_e32 v49, v49, v50, vcc
	v_lshlrev_b32_e32 v50, 24, v44
	v_lshlrev_b32_e32 v49, 20, v49
	v_and_b32_e32 v50, 0x80000000, v50
	v_lshl_add_u32 v46, v46, 23, v48
	v_or3_b32 v49, v50, v46, v49
.LBB660_409:                            ;   in Loop: Header=BB660_213 Depth=1
	s_or_b64 exec, exec, s[16:17]
.LBB660_410:                            ;   in Loop: Header=BB660_213 Depth=1
	s_or_b64 exec, exec, s[14:15]
.LBB660_411:                            ;   in Loop: Header=BB660_213 Depth=1
	s_or_b64 exec, exec, s[12:13]
	v_lshrrev_b16_e32 v46, 8, v44
	v_cmp_ne_u16_e32 vcc, 0, v46
	v_mov_b32_e32 v50, 0
	v_mov_b32_e32 v51, 0
	s_and_saveexec_b64 s[12:13], vcc
	s_cbranch_execz .LBB660_417
; %bb.412:                              ;   in Loop: Header=BB660_213 Depth=1
	v_cmp_ne_u16_e32 vcc, s9, v46
	v_bfrev_b32_e32 v51, 1
	s_and_saveexec_b64 s[14:15], vcc
	s_cbranch_execz .LBB660_416
; %bb.413:                              ;   in Loop: Header=BB660_213 Depth=1
	v_and_b32_e32 v52, 0x7f, v46
	v_cmp_ne_u32_e32 vcc, s19, v52
	v_mov_b32_e32 v51, 0x7f800001
	s_and_saveexec_b64 s[16:17], vcc
	s_cbranch_execz .LBB660_415
; %bb.414:                              ;   in Loop: Header=BB660_213 Depth=1
	v_and_b32_e32 v51, 7, v46
	v_ffbh_u32_e32 v60, v51
	v_min_u32_e32 v62, 32, v60
	v_subrev_u32_e32 v60, 28, v62
	v_lshlrev_b64 v[60:61], v60, v[46:47]
	v_lshrrev_b32_e32 v53, 3, v52
	v_sub_u32_e32 v46, 29, v62
	v_and_b32_e32 v60, 7, v60
	v_cmp_gt_u32_e32 vcc, 8, v52
	v_cndmask_b32_e32 v46, v53, v46, vcc
	v_cndmask_b32_e32 v51, v51, v60, vcc
	v_lshlrev_b32_e32 v52, 16, v44
	v_lshlrev_b32_e32 v51, 20, v51
	v_and_b32_e32 v52, 0x80000000, v52
	v_lshl_add_u32 v46, v46, 23, v48
	v_or3_b32 v51, v52, v46, v51
.LBB660_415:                            ;   in Loop: Header=BB660_213 Depth=1
	s_or_b64 exec, exec, s[16:17]
.LBB660_416:                            ;   in Loop: Header=BB660_213 Depth=1
	s_or_b64 exec, exec, s[14:15]
.LBB660_417:                            ;   in Loop: Header=BB660_213 Depth=1
	s_or_b64 exec, exec, s[12:13]
	v_lshrrev_b32_e32 v46, 16, v44
	v_cmp_ne_u16_sdwa s[14:15], v46, v47 src0_sel:BYTE_0 src1_sel:DWORD
	s_and_saveexec_b64 s[12:13], s[14:15]
	s_cbranch_execz .LBB660_423
; %bb.418:                              ;   in Loop: Header=BB660_213 Depth=1
	v_cmp_ne_u16_sdwa s[16:17], v46, s9 src0_sel:BYTE_0 src1_sel:DWORD
	v_bfrev_b32_e32 v50, 1
	s_and_saveexec_b64 s[14:15], s[16:17]
	s_cbranch_execz .LBB660_422
; %bb.419:                              ;   in Loop: Header=BB660_213 Depth=1
	v_bfe_u32 v52, v44, 16, 7
	v_cmp_ne_u32_e32 vcc, s19, v52
	v_mov_b32_e32 v50, 0x7f800001
	s_and_saveexec_b64 s[16:17], vcc
	s_cbranch_execz .LBB660_421
; %bb.420:                              ;   in Loop: Header=BB660_213 Depth=1
	v_and_b32_e32 v50, 7, v46
	v_ffbh_u32_e32 v60, v50
	v_min_u32_e32 v62, 32, v60
	v_subrev_u32_e32 v60, 28, v62
	v_lshlrev_b64 v[60:61], v60, v[46:47]
	v_lshrrev_b32_e32 v53, 3, v52
	v_sub_u32_e32 v61, 29, v62
	v_and_b32_e32 v60, 7, v60
	v_cmp_gt_u32_e32 vcc, 8, v52
	v_cndmask_b32_e32 v52, v53, v61, vcc
	v_cndmask_b32_e32 v50, v50, v60, vcc
	v_lshlrev_b32_e32 v46, 24, v46
	v_lshlrev_b32_e32 v50, 20, v50
	v_and_b32_e32 v46, 0x80000000, v46
	v_lshl_add_u32 v52, v52, 23, v48
	v_or3_b32 v50, v46, v52, v50
.LBB660_421:                            ;   in Loop: Header=BB660_213 Depth=1
	s_or_b64 exec, exec, s[16:17]
.LBB660_422:                            ;   in Loop: Header=BB660_213 Depth=1
	s_or_b64 exec, exec, s[14:15]
.LBB660_423:                            ;   in Loop: Header=BB660_213 Depth=1
	s_or_b64 exec, exec, s[12:13]
	v_cmp_lt_u32_e32 vcc, s20, v44
	v_mov_b32_e32 v52, 0
	v_mov_b32_e32 v53, 0
	s_and_saveexec_b64 s[12:13], vcc
	s_cbranch_execz .LBB660_429
; %bb.424:                              ;   in Loop: Header=BB660_213 Depth=1
	v_lshrrev_b32_e32 v46, 24, v44
	v_cmp_ne_u32_e32 vcc, s9, v46
	v_bfrev_b32_e32 v53, 1
	s_and_saveexec_b64 s[14:15], vcc
	s_cbranch_execz .LBB660_428
; %bb.425:                              ;   in Loop: Header=BB660_213 Depth=1
	v_bfe_u32 v44, v44, 24, 7
	v_cmp_ne_u32_e32 vcc, s19, v44
	v_mov_b32_e32 v53, 0x7f800001
	s_and_saveexec_b64 s[16:17], vcc
	s_cbranch_execz .LBB660_427
; %bb.426:                              ;   in Loop: Header=BB660_213 Depth=1
	v_and_b32_e32 v53, 7, v46
	v_ffbh_u32_e32 v60, v53
	v_min_u32_e32 v63, 32, v60
	v_subrev_u32_e32 v60, 28, v63
	v_lshlrev_b64 v[60:61], v60, v[46:47]
	v_lshrrev_b32_e32 v62, 3, v44
	v_sub_u32_e32 v61, 29, v63
	v_and_b32_e32 v60, 7, v60
	v_cmp_gt_u32_e32 vcc, 8, v44
	v_cndmask_b32_e32 v44, v62, v61, vcc
	v_cndmask_b32_e32 v53, v53, v60, vcc
	v_lshlrev_b32_e32 v46, 24, v46
	v_lshlrev_b32_e32 v53, 20, v53
	v_and_b32_e32 v46, 0x80000000, v46
	v_lshl_add_u32 v44, v44, 23, v48
	v_or3_b32 v53, v46, v44, v53
.LBB660_427:                            ;   in Loop: Header=BB660_213 Depth=1
	s_or_b64 exec, exec, s[16:17]
.LBB660_428:                            ;   in Loop: Header=BB660_213 Depth=1
	s_or_b64 exec, exec, s[14:15]
.LBB660_429:                            ;   in Loop: Header=BB660_213 Depth=1
	s_or_b64 exec, exec, s[12:13]
	s_waitcnt vmcnt(2)
	v_cmp_ne_u16_sdwa s[14:15], v42, v47 src0_sel:BYTE_0 src1_sel:DWORD
	s_and_saveexec_b64 s[12:13], s[14:15]
	s_cbranch_execz .LBB660_435
; %bb.430:                              ;   in Loop: Header=BB660_213 Depth=1
	v_cmp_ne_u16_sdwa s[16:17], v42, s9 src0_sel:BYTE_0 src1_sel:DWORD
	v_bfrev_b32_e32 v52, 1
	s_and_saveexec_b64 s[14:15], s[16:17]
	s_cbranch_execz .LBB660_434
; %bb.431:                              ;   in Loop: Header=BB660_213 Depth=1
	v_and_b32_e32 v44, 0x7f, v42
	v_cmp_ne_u32_e32 vcc, s19, v44
	v_mov_b32_e32 v52, 0x7f800001
	s_and_saveexec_b64 s[16:17], vcc
	s_cbranch_execz .LBB660_433
; %bb.432:                              ;   in Loop: Header=BB660_213 Depth=1
	v_and_b32_e32 v46, 7, v42
	v_ffbh_u32_e32 v60, v46
	v_min_u32_e32 v62, 32, v60
	v_subrev_u32_e32 v60, 28, v62
	v_lshlrev_b64 v[60:61], v60, v[42:43]
	v_lshrrev_b32_e32 v52, 3, v44
	v_sub_u32_e32 v61, 29, v62
	v_and_b32_e32 v60, 7, v60
	v_cmp_gt_u32_e32 vcc, 8, v44
	v_cndmask_b32_e32 v44, v52, v61, vcc
	v_cndmask_b32_e32 v46, v46, v60, vcc
	v_lshlrev_b32_e32 v52, 24, v42
	v_lshlrev_b32_e32 v46, 20, v46
	v_and_b32_e32 v52, 0x80000000, v52
	v_lshl_add_u32 v44, v44, 23, v48
	v_or3_b32 v52, v52, v44, v46
.LBB660_433:                            ;   in Loop: Header=BB660_213 Depth=1
	s_or_b64 exec, exec, s[16:17]
.LBB660_434:                            ;   in Loop: Header=BB660_213 Depth=1
	s_or_b64 exec, exec, s[14:15]
.LBB660_435:                            ;   in Loop: Header=BB660_213 Depth=1
	s_or_b64 exec, exec, s[12:13]
	v_lshrrev_b16_e32 v44, 8, v42
	v_cmp_ne_u16_e32 vcc, 0, v44
	v_mov_b32_e32 v60, 0
	v_mov_b32_e32 v61, 0
	s_and_saveexec_b64 s[12:13], vcc
	s_cbranch_execz .LBB660_441
; %bb.436:                              ;   in Loop: Header=BB660_213 Depth=1
	v_cmp_ne_u16_e32 vcc, s9, v44
	v_bfrev_b32_e32 v61, 1
	s_and_saveexec_b64 s[14:15], vcc
	s_cbranch_execz .LBB660_440
; %bb.437:                              ;   in Loop: Header=BB660_213 Depth=1
	v_and_b32_e32 v46, 0x7f, v44
	v_cmp_ne_u32_e32 vcc, s19, v46
	v_mov_b32_e32 v61, 0x7f800001
	s_and_saveexec_b64 s[16:17], vcc
	s_cbranch_execz .LBB660_439
; %bb.438:                              ;   in Loop: Header=BB660_213 Depth=1
	v_and_b32_e32 v61, 7, v44
	v_ffbh_u32_e32 v62, v61
	v_min_u32_e32 v65, 32, v62
	v_subrev_u32_e32 v62, 28, v65
	v_lshlrev_b64 v[62:63], v62, v[44:45]
	v_lshrrev_b32_e32 v64, 3, v46
	v_sub_u32_e32 v44, 29, v65
	v_and_b32_e32 v62, 7, v62
	v_cmp_gt_u32_e32 vcc, 8, v46
	v_cndmask_b32_e32 v44, v64, v44, vcc
	v_cndmask_b32_e32 v46, v61, v62, vcc
	v_lshlrev_b32_e32 v61, 16, v42
	v_lshlrev_b32_e32 v46, 20, v46
	v_and_b32_e32 v61, 0x80000000, v61
	v_lshl_add_u32 v44, v44, 23, v48
	v_or3_b32 v61, v61, v44, v46
.LBB660_439:                            ;   in Loop: Header=BB660_213 Depth=1
	s_or_b64 exec, exec, s[16:17]
.LBB660_440:                            ;   in Loop: Header=BB660_213 Depth=1
	s_or_b64 exec, exec, s[14:15]
.LBB660_441:                            ;   in Loop: Header=BB660_213 Depth=1
	s_or_b64 exec, exec, s[12:13]
	v_lshrrev_b32_e32 v44, 16, v42
	v_cmp_ne_u16_sdwa s[14:15], v44, v47 src0_sel:BYTE_0 src1_sel:DWORD
	s_and_saveexec_b64 s[12:13], s[14:15]
	s_cbranch_execz .LBB660_447
; %bb.442:                              ;   in Loop: Header=BB660_213 Depth=1
	v_cmp_ne_u16_sdwa s[16:17], v44, s9 src0_sel:BYTE_0 src1_sel:DWORD
	v_bfrev_b32_e32 v60, 1
	s_and_saveexec_b64 s[14:15], s[16:17]
	s_cbranch_execz .LBB660_446
; %bb.443:                              ;   in Loop: Header=BB660_213 Depth=1
	v_bfe_u32 v46, v42, 16, 7
	v_cmp_ne_u32_e32 vcc, s19, v46
	v_mov_b32_e32 v60, 0x7f800001
	s_and_saveexec_b64 s[16:17], vcc
	s_cbranch_execz .LBB660_445
; %bb.444:                              ;   in Loop: Header=BB660_213 Depth=1
	v_and_b32_e32 v60, 7, v44
	v_ffbh_u32_e32 v62, v60
	v_min_u32_e32 v65, 32, v62
	v_subrev_u32_e32 v62, 28, v65
	v_lshlrev_b64 v[62:63], v62, v[44:45]
	v_lshrrev_b32_e32 v64, 3, v46
	v_sub_u32_e32 v63, 29, v65
	v_and_b32_e32 v62, 7, v62
	v_cmp_gt_u32_e32 vcc, 8, v46
	v_cndmask_b32_e32 v46, v64, v63, vcc
	v_cndmask_b32_e32 v60, v60, v62, vcc
	v_lshlrev_b32_e32 v44, 24, v44
	v_lshlrev_b32_e32 v60, 20, v60
	v_and_b32_e32 v44, 0x80000000, v44
	v_lshl_add_u32 v46, v46, 23, v48
	v_or3_b32 v60, v44, v46, v60
.LBB660_445:                            ;   in Loop: Header=BB660_213 Depth=1
	s_or_b64 exec, exec, s[16:17]
.LBB660_446:                            ;   in Loop: Header=BB660_213 Depth=1
	s_or_b64 exec, exec, s[14:15]
.LBB660_447:                            ;   in Loop: Header=BB660_213 Depth=1
	s_or_b64 exec, exec, s[12:13]
	v_cmp_lt_u32_e32 vcc, s20, v42
	v_mov_b32_e32 v46, 0
	v_mov_b32_e32 v62, 0
	s_and_saveexec_b64 s[12:13], vcc
	s_cbranch_execz .LBB660_453
; %bb.448:                              ;   in Loop: Header=BB660_213 Depth=1
	v_lshrrev_b32_e32 v44, 24, v42
	v_cmp_ne_u32_e32 vcc, s9, v44
	v_bfrev_b32_e32 v62, 1
	s_and_saveexec_b64 s[14:15], vcc
	s_cbranch_execz .LBB660_452
; %bb.449:                              ;   in Loop: Header=BB660_213 Depth=1
	v_bfe_u32 v42, v42, 24, 7
	v_cmp_ne_u32_e32 vcc, s19, v42
	v_mov_b32_e32 v62, 0x7f800001
	s_and_saveexec_b64 s[16:17], vcc
	s_cbranch_execz .LBB660_451
; %bb.450:                              ;   in Loop: Header=BB660_213 Depth=1
	v_and_b32_e32 v64, 7, v44
	v_ffbh_u32_e32 v62, v64
	v_min_u32_e32 v66, 32, v62
	v_subrev_u32_e32 v62, 28, v66
	v_lshlrev_b64 v[62:63], v62, v[44:45]
	v_lshrrev_b32_e32 v65, 3, v42
	v_sub_u32_e32 v63, 29, v66
	v_and_b32_e32 v62, 7, v62
	v_cmp_gt_u32_e32 vcc, 8, v42
	v_cndmask_b32_e32 v42, v65, v63, vcc
	v_cndmask_b32_e32 v62, v64, v62, vcc
	v_lshlrev_b32_e32 v44, 24, v44
	v_lshlrev_b32_e32 v62, 20, v62
	v_and_b32_e32 v44, 0x80000000, v44
	v_lshl_add_u32 v42, v42, 23, v48
	v_or3_b32 v62, v44, v42, v62
.LBB660_451:                            ;   in Loop: Header=BB660_213 Depth=1
	s_or_b64 exec, exec, s[16:17]
.LBB660_452:                            ;   in Loop: Header=BB660_213 Depth=1
	s_or_b64 exec, exec, s[14:15]
.LBB660_453:                            ;   in Loop: Header=BB660_213 Depth=1
	s_or_b64 exec, exec, s[12:13]
	v_cvt_pkrtz_f16_f32 v64, v49, v51
	v_cvt_pkrtz_f16_f32 v65, v50, v53
	;; [unrolled: 1-line block ×4, first 2 shown]
	s_waitcnt vmcnt(1)
	v_cmp_ne_u16_sdwa s[14:15], v40, v47 src0_sel:BYTE_0 src1_sel:DWORD
	v_mfma_f32_16x16x16f16 v[34:37], v[64:65], v[18:19], v[34:37]
	v_mfma_f32_16x16x16f16 v[34:37], v[50:51], v[20:21], v[34:37]
	s_and_saveexec_b64 s[12:13], s[14:15]
	s_cbranch_execz .LBB660_459
; %bb.454:                              ;   in Loop: Header=BB660_213 Depth=1
	v_cmp_ne_u16_sdwa s[16:17], v40, s9 src0_sel:BYTE_0 src1_sel:DWORD
	v_bfrev_b32_e32 v46, 1
	s_and_saveexec_b64 s[14:15], s[16:17]
	s_cbranch_execz .LBB660_458
; %bb.455:                              ;   in Loop: Header=BB660_213 Depth=1
	v_and_b32_e32 v42, 0x7f, v40
	v_cmp_ne_u32_e32 vcc, s19, v42
	v_mov_b32_e32 v46, 0x7f800001
	s_and_saveexec_b64 s[16:17], vcc
	s_cbranch_execz .LBB660_457
; %bb.456:                              ;   in Loop: Header=BB660_213 Depth=1
	v_and_b32_e32 v44, 7, v40
	v_ffbh_u32_e32 v49, v44
	v_min_u32_e32 v49, 32, v49
	v_subrev_u32_e32 v50, 28, v49
	v_lshlrev_b64 v[50:51], v50, v[40:41]
	v_lshrrev_b32_e32 v46, 3, v42
	v_sub_u32_e32 v49, 29, v49
	v_and_b32_e32 v50, 7, v50
	v_cmp_gt_u32_e32 vcc, 8, v42
	v_cndmask_b32_e32 v42, v46, v49, vcc
	v_cndmask_b32_e32 v44, v44, v50, vcc
	v_lshlrev_b32_e32 v46, 24, v40
	v_lshlrev_b32_e32 v44, 20, v44
	v_and_b32_e32 v46, 0x80000000, v46
	v_lshl_add_u32 v42, v42, 23, v48
	v_or3_b32 v46, v46, v42, v44
.LBB660_457:                            ;   in Loop: Header=BB660_213 Depth=1
	s_or_b64 exec, exec, s[16:17]
.LBB660_458:                            ;   in Loop: Header=BB660_213 Depth=1
	s_or_b64 exec, exec, s[14:15]
.LBB660_459:                            ;   in Loop: Header=BB660_213 Depth=1
	s_or_b64 exec, exec, s[12:13]
	v_lshrrev_b16_e32 v42, 8, v40
	v_cmp_ne_u16_e32 vcc, 0, v42
	v_mov_b32_e32 v44, 0
	v_mov_b32_e32 v50, 0
	s_and_saveexec_b64 s[12:13], vcc
	s_cbranch_execz .LBB660_465
; %bb.460:                              ;   in Loop: Header=BB660_213 Depth=1
	v_cmp_ne_u16_e32 vcc, s9, v42
	v_bfrev_b32_e32 v50, 1
	s_and_saveexec_b64 s[14:15], vcc
	s_cbranch_execz .LBB660_464
; %bb.461:                              ;   in Loop: Header=BB660_213 Depth=1
	v_and_b32_e32 v49, 0x7f, v42
	v_cmp_ne_u32_e32 vcc, s19, v49
	v_mov_b32_e32 v50, 0x7f800001
	s_and_saveexec_b64 s[16:17], vcc
	s_cbranch_execz .LBB660_463
; %bb.462:                              ;   in Loop: Header=BB660_213 Depth=1
	v_and_b32_e32 v52, 7, v42
	v_ffbh_u32_e32 v50, v52
	v_min_u32_e32 v60, 32, v50
	v_subrev_u32_e32 v50, 28, v60
	v_lshlrev_b64 v[50:51], v50, v[42:43]
	v_lshrrev_b32_e32 v53, 3, v49
	v_sub_u32_e32 v42, 29, v60
	v_and_b32_e32 v50, 7, v50
	v_cmp_gt_u32_e32 vcc, 8, v49
	v_cndmask_b32_e32 v42, v53, v42, vcc
	v_cndmask_b32_e32 v49, v52, v50, vcc
	v_lshlrev_b32_e32 v50, 16, v40
	v_lshlrev_b32_e32 v49, 20, v49
	v_and_b32_e32 v50, 0x80000000, v50
	v_lshl_add_u32 v42, v42, 23, v48
	v_or3_b32 v50, v50, v42, v49
.LBB660_463:                            ;   in Loop: Header=BB660_213 Depth=1
	s_or_b64 exec, exec, s[16:17]
.LBB660_464:                            ;   in Loop: Header=BB660_213 Depth=1
	s_or_b64 exec, exec, s[14:15]
.LBB660_465:                            ;   in Loop: Header=BB660_213 Depth=1
	s_or_b64 exec, exec, s[12:13]
	v_lshrrev_b32_e32 v42, 16, v40
	v_cmp_ne_u16_sdwa s[14:15], v42, v47 src0_sel:BYTE_0 src1_sel:DWORD
	s_and_saveexec_b64 s[12:13], s[14:15]
	s_cbranch_execz .LBB660_471
; %bb.466:                              ;   in Loop: Header=BB660_213 Depth=1
	v_cmp_ne_u16_sdwa s[16:17], v42, s9 src0_sel:BYTE_0 src1_sel:DWORD
	v_bfrev_b32_e32 v44, 1
	s_and_saveexec_b64 s[14:15], s[16:17]
	s_cbranch_execz .LBB660_470
; %bb.467:                              ;   in Loop: Header=BB660_213 Depth=1
	v_bfe_u32 v49, v40, 16, 7
	v_cmp_ne_u32_e32 vcc, s19, v49
	v_mov_b32_e32 v44, 0x7f800001
	s_and_saveexec_b64 s[16:17], vcc
	s_cbranch_execz .LBB660_469
; %bb.468:                              ;   in Loop: Header=BB660_213 Depth=1
	v_and_b32_e32 v44, 7, v42
	v_ffbh_u32_e32 v52, v44
	v_min_u32_e32 v60, 32, v52
	v_subrev_u32_e32 v52, 28, v60
	v_lshlrev_b64 v[52:53], v52, v[42:43]
	v_lshrrev_b32_e32 v51, 3, v49
	v_sub_u32_e32 v53, 29, v60
	v_and_b32_e32 v52, 7, v52
	v_cmp_gt_u32_e32 vcc, 8, v49
	v_cndmask_b32_e32 v49, v51, v53, vcc
	v_cndmask_b32_e32 v44, v44, v52, vcc
	v_lshlrev_b32_e32 v42, 24, v42
	v_lshlrev_b32_e32 v44, 20, v44
	v_and_b32_e32 v42, 0x80000000, v42
	v_lshl_add_u32 v49, v49, 23, v48
	v_or3_b32 v44, v42, v49, v44
.LBB660_469:                            ;   in Loop: Header=BB660_213 Depth=1
	s_or_b64 exec, exec, s[16:17]
.LBB660_470:                            ;   in Loop: Header=BB660_213 Depth=1
	s_or_b64 exec, exec, s[14:15]
.LBB660_471:                            ;   in Loop: Header=BB660_213 Depth=1
	s_or_b64 exec, exec, s[12:13]
	v_cmp_lt_u32_e32 vcc, s20, v40
	v_mov_b32_e32 v51, 0
	v_mov_b32_e32 v52, 0
	s_and_saveexec_b64 s[12:13], vcc
	s_cbranch_execz .LBB660_477
; %bb.472:                              ;   in Loop: Header=BB660_213 Depth=1
	v_lshrrev_b32_e32 v42, 24, v40
	v_cmp_ne_u32_e32 vcc, s9, v42
	v_bfrev_b32_e32 v52, 1
	s_and_saveexec_b64 s[14:15], vcc
	s_cbranch_execz .LBB660_476
; %bb.473:                              ;   in Loop: Header=BB660_213 Depth=1
	v_bfe_u32 v40, v40, 24, 7
	v_cmp_ne_u32_e32 vcc, s19, v40
	v_mov_b32_e32 v52, 0x7f800001
	s_and_saveexec_b64 s[16:17], vcc
	s_cbranch_execz .LBB660_475
; %bb.474:                              ;   in Loop: Header=BB660_213 Depth=1
	v_and_b32_e32 v49, 7, v42
	v_ffbh_u32_e32 v52, v49
	v_min_u32_e32 v61, 32, v52
	v_subrev_u32_e32 v52, 28, v61
	v_lshlrev_b64 v[52:53], v52, v[42:43]
	v_lshrrev_b32_e32 v60, 3, v40
	v_sub_u32_e32 v53, 29, v61
	v_and_b32_e32 v52, 7, v52
	v_cmp_gt_u32_e32 vcc, 8, v40
	v_cndmask_b32_e32 v40, v60, v53, vcc
	v_cndmask_b32_e32 v49, v49, v52, vcc
	v_lshlrev_b32_e32 v42, 24, v42
	v_lshlrev_b32_e32 v49, 20, v49
	v_and_b32_e32 v42, 0x80000000, v42
	v_lshl_add_u32 v40, v40, 23, v48
	v_or3_b32 v52, v42, v40, v49
.LBB660_475:                            ;   in Loop: Header=BB660_213 Depth=1
	s_or_b64 exec, exec, s[16:17]
.LBB660_476:                            ;   in Loop: Header=BB660_213 Depth=1
	s_or_b64 exec, exec, s[14:15]
.LBB660_477:                            ;   in Loop: Header=BB660_213 Depth=1
	s_or_b64 exec, exec, s[12:13]
	s_waitcnt vmcnt(0)
	v_cmp_ne_u16_sdwa s[14:15], v38, v47 src0_sel:BYTE_0 src1_sel:DWORD
	s_and_saveexec_b64 s[12:13], s[14:15]
	s_cbranch_execz .LBB660_483
; %bb.478:                              ;   in Loop: Header=BB660_213 Depth=1
	v_cmp_ne_u16_sdwa s[16:17], v38, s9 src0_sel:BYTE_0 src1_sel:DWORD
	v_bfrev_b32_e32 v51, 1
	s_and_saveexec_b64 s[14:15], s[16:17]
	s_cbranch_execz .LBB660_482
; %bb.479:                              ;   in Loop: Header=BB660_213 Depth=1
	v_and_b32_e32 v40, 0x7f, v38
	v_cmp_ne_u32_e32 vcc, s19, v40
	v_mov_b32_e32 v51, 0x7f800001
	s_and_saveexec_b64 s[16:17], vcc
	s_cbranch_execz .LBB660_481
; %bb.480:                              ;   in Loop: Header=BB660_213 Depth=1
	v_and_b32_e32 v42, 7, v38
	v_ffbh_u32_e32 v51, v42
	v_min_u32_e32 v51, 32, v51
	v_subrev_u32_e32 v53, 28, v51
	v_lshlrev_b64 v[60:61], v53, v[38:39]
	v_lshrrev_b32_e32 v49, 3, v40
	v_sub_u32_e32 v51, 29, v51
	v_and_b32_e32 v53, 7, v60
	v_cmp_gt_u32_e32 vcc, 8, v40
	v_cndmask_b32_e32 v40, v49, v51, vcc
	v_cndmask_b32_e32 v42, v42, v53, vcc
	v_lshlrev_b32_e32 v49, 24, v38
	v_lshlrev_b32_e32 v42, 20, v42
	v_and_b32_e32 v49, 0x80000000, v49
	v_lshl_add_u32 v40, v40, 23, v48
	v_or3_b32 v51, v49, v40, v42
.LBB660_481:                            ;   in Loop: Header=BB660_213 Depth=1
	s_or_b64 exec, exec, s[16:17]
.LBB660_482:                            ;   in Loop: Header=BB660_213 Depth=1
	s_or_b64 exec, exec, s[14:15]
.LBB660_483:                            ;   in Loop: Header=BB660_213 Depth=1
	s_or_b64 exec, exec, s[12:13]
	v_lshrrev_b16_e32 v40, 8, v38
	v_cmp_ne_u16_e32 vcc, 0, v40
	v_mov_b32_e32 v53, 0
	v_mov_b32_e32 v60, 0
	s_and_saveexec_b64 s[12:13], vcc
	s_cbranch_execz .LBB660_489
; %bb.484:                              ;   in Loop: Header=BB660_213 Depth=1
	v_cmp_ne_u16_e32 vcc, s9, v40
	v_bfrev_b32_e32 v60, 1
	s_and_saveexec_b64 s[14:15], vcc
	s_cbranch_execz .LBB660_488
; %bb.485:                              ;   in Loop: Header=BB660_213 Depth=1
	v_and_b32_e32 v42, 0x7f, v40
	v_cmp_ne_u32_e32 vcc, s19, v42
	v_mov_b32_e32 v60, 0x7f800001
	s_and_saveexec_b64 s[16:17], vcc
	s_cbranch_execz .LBB660_487
; %bb.486:                              ;   in Loop: Header=BB660_213 Depth=1
	v_and_b32_e32 v49, 7, v40
	v_ffbh_u32_e32 v60, v49
	v_min_u32_e32 v63, 32, v60
	v_subrev_u32_e32 v60, 28, v63
	v_lshlrev_b64 v[60:61], v60, v[40:41]
	v_lshrrev_b32_e32 v62, 3, v42
	v_sub_u32_e32 v40, 29, v63
	v_and_b32_e32 v60, 7, v60
	v_cmp_gt_u32_e32 vcc, 8, v42
	v_cndmask_b32_e32 v40, v62, v40, vcc
	v_cndmask_b32_e32 v42, v49, v60, vcc
	v_lshlrev_b32_e32 v49, 16, v38
	v_lshlrev_b32_e32 v42, 20, v42
	v_and_b32_e32 v49, 0x80000000, v49
	v_lshl_add_u32 v40, v40, 23, v48
	v_or3_b32 v60, v49, v40, v42
.LBB660_487:                            ;   in Loop: Header=BB660_213 Depth=1
	s_or_b64 exec, exec, s[16:17]
.LBB660_488:                            ;   in Loop: Header=BB660_213 Depth=1
	s_or_b64 exec, exec, s[14:15]
.LBB660_489:                            ;   in Loop: Header=BB660_213 Depth=1
	s_or_b64 exec, exec, s[12:13]
	v_lshrrev_b32_e32 v40, 16, v38
	v_cmp_ne_u16_sdwa s[14:15], v40, v47 src0_sel:BYTE_0 src1_sel:DWORD
	s_and_saveexec_b64 s[12:13], s[14:15]
	s_cbranch_execz .LBB660_495
; %bb.490:                              ;   in Loop: Header=BB660_213 Depth=1
	v_cmp_ne_u16_sdwa s[16:17], v40, s9 src0_sel:BYTE_0 src1_sel:DWORD
	v_bfrev_b32_e32 v53, 1
	s_and_saveexec_b64 s[14:15], s[16:17]
	s_cbranch_execz .LBB660_494
; %bb.491:                              ;   in Loop: Header=BB660_213 Depth=1
	v_bfe_u32 v42, v38, 16, 7
	v_cmp_ne_u32_e32 vcc, s19, v42
	v_mov_b32_e32 v53, 0x7f800001
	s_and_saveexec_b64 s[16:17], vcc
	s_cbranch_execz .LBB660_493
; %bb.492:                              ;   in Loop: Header=BB660_213 Depth=1
	v_and_b32_e32 v49, 7, v40
	v_ffbh_u32_e32 v61, v49
	v_min_u32_e32 v61, 32, v61
	v_subrev_u32_e32 v62, 28, v61
	v_lshlrev_b64 v[62:63], v62, v[40:41]
	v_lshrrev_b32_e32 v53, 3, v42
	v_sub_u32_e32 v61, 29, v61
	v_and_b32_e32 v62, 7, v62
	v_cmp_gt_u32_e32 vcc, 8, v42
	v_cndmask_b32_e32 v42, v53, v61, vcc
	v_cndmask_b32_e32 v49, v49, v62, vcc
	v_lshlrev_b32_e32 v40, 24, v40
	v_lshlrev_b32_e32 v49, 20, v49
	v_and_b32_e32 v40, 0x80000000, v40
	v_lshl_add_u32 v42, v42, 23, v48
	v_or3_b32 v53, v40, v42, v49
.LBB660_493:                            ;   in Loop: Header=BB660_213 Depth=1
	s_or_b64 exec, exec, s[16:17]
.LBB660_494:                            ;   in Loop: Header=BB660_213 Depth=1
	s_or_b64 exec, exec, s[14:15]
.LBB660_495:                            ;   in Loop: Header=BB660_213 Depth=1
	s_or_b64 exec, exec, s[12:13]
	v_cmp_lt_u32_e32 vcc, s20, v38
	v_mov_b32_e32 v49, 0
	v_mov_b32_e32 v61, 0
	s_and_saveexec_b64 s[12:13], vcc
	s_cbranch_execz .LBB660_501
; %bb.496:                              ;   in Loop: Header=BB660_213 Depth=1
	v_lshrrev_b32_e32 v40, 24, v38
	v_cmp_ne_u32_e32 vcc, s9, v40
	v_bfrev_b32_e32 v61, 1
	s_and_saveexec_b64 s[14:15], vcc
	s_cbranch_execz .LBB660_500
; %bb.497:                              ;   in Loop: Header=BB660_213 Depth=1
	v_bfe_u32 v38, v38, 24, 7
	v_cmp_ne_u32_e32 vcc, s19, v38
	v_mov_b32_e32 v61, 0x7f800001
	s_and_saveexec_b64 s[16:17], vcc
	s_cbranch_execz .LBB660_499
; %bb.498:                              ;   in Loop: Header=BB660_213 Depth=1
	v_and_b32_e32 v42, 7, v40
	v_ffbh_u32_e32 v62, v42
	v_min_u32_e32 v64, 32, v62
	v_subrev_u32_e32 v62, 28, v64
	v_lshlrev_b64 v[62:63], v62, v[40:41]
	v_lshrrev_b32_e32 v61, 3, v38
	v_sub_u32_e32 v63, 29, v64
	v_and_b32_e32 v62, 7, v62
	v_cmp_gt_u32_e32 vcc, 8, v38
	v_cndmask_b32_e32 v38, v61, v63, vcc
	v_cndmask_b32_e32 v42, v42, v62, vcc
	v_lshlrev_b32_e32 v40, 24, v40
	v_lshlrev_b32_e32 v42, 20, v42
	v_and_b32_e32 v40, 0x80000000, v40
	v_lshl_add_u32 v38, v38, 23, v48
	v_or3_b32 v61, v40, v38, v42
.LBB660_499:                            ;   in Loop: Header=BB660_213 Depth=1
	s_or_b64 exec, exec, s[16:17]
.LBB660_500:                            ;   in Loop: Header=BB660_213 Depth=1
	s_or_b64 exec, exec, s[14:15]
.LBB660_501:                            ;   in Loop: Header=BB660_213 Depth=1
	s_or_b64 exec, exec, s[12:13]
	v_cvt_pkrtz_f16_f32 v63, v44, v52
	buffer_load_dword v44, v59, s[0:3], 0 offen
	buffer_load_dword v42, v59, s[0:3], 0 offen offset:4
	buffer_load_dword v40, v59, s[0:3], 0 offen offset:8
	buffer_load_dword v38, v59, s[0:3], 0 offen offset:12
	v_cvt_pkrtz_f16_f32 v62, v46, v50
	v_cvt_pkrtz_f16_f32 v50, v51, v60
	;; [unrolled: 1-line block ×3, first 2 shown]
	v_mfma_f32_16x16x16f16 v[34:37], v[62:63], v[22:23], v[34:37]
	s_waitcnt vmcnt(3)
	v_cmp_ne_u16_sdwa s[14:15], v44, v47 src0_sel:BYTE_0 src1_sel:DWORD
	v_mfma_f32_16x16x16f16 v[34:37], v[50:51], v[24:25], v[34:37]
	s_and_saveexec_b64 s[12:13], s[14:15]
	s_cbranch_execz .LBB660_507
; %bb.502:                              ;   in Loop: Header=BB660_213 Depth=1
	v_cmp_ne_u16_sdwa s[16:17], v44, s9 src0_sel:BYTE_0 src1_sel:DWORD
	v_bfrev_b32_e32 v49, 1
	s_and_saveexec_b64 s[14:15], s[16:17]
	s_cbranch_execz .LBB660_506
; %bb.503:                              ;   in Loop: Header=BB660_213 Depth=1
	v_and_b32_e32 v46, 0x7f, v44
	v_cmp_ne_u32_e32 vcc, s19, v46
	v_mov_b32_e32 v49, 0x7f800001
	s_and_saveexec_b64 s[16:17], vcc
	s_cbranch_execz .LBB660_505
; %bb.504:                              ;   in Loop: Header=BB660_213 Depth=1
	v_and_b32_e32 v49, 7, v44
	v_ffbh_u32_e32 v50, v49
	v_min_u32_e32 v53, 32, v50
	v_subrev_u32_e32 v50, 28, v53
	v_lshlrev_b64 v[50:51], v50, v[44:45]
	v_lshrrev_b32_e32 v52, 3, v46
	v_sub_u32_e32 v51, 29, v53
	v_and_b32_e32 v50, 7, v50
	v_cmp_gt_u32_e32 vcc, 8, v46
	v_cndmask_b32_e32 v46, v52, v51, vcc
	v_cndmask_b32_e32 v49, v49, v50, vcc
	v_lshlrev_b32_e32 v50, 24, v44
	v_lshlrev_b32_e32 v49, 20, v49
	v_and_b32_e32 v50, 0x80000000, v50
	v_lshl_add_u32 v46, v46, 23, v48
	v_or3_b32 v49, v50, v46, v49
.LBB660_505:                            ;   in Loop: Header=BB660_213 Depth=1
	s_or_b64 exec, exec, s[16:17]
.LBB660_506:                            ;   in Loop: Header=BB660_213 Depth=1
	s_or_b64 exec, exec, s[14:15]
.LBB660_507:                            ;   in Loop: Header=BB660_213 Depth=1
	s_or_b64 exec, exec, s[12:13]
	v_lshrrev_b16_e32 v46, 8, v44
	v_cmp_ne_u16_e32 vcc, 0, v46
	v_mov_b32_e32 v50, 0
	v_mov_b32_e32 v51, 0
	s_and_saveexec_b64 s[12:13], vcc
	s_cbranch_execz .LBB660_513
; %bb.508:                              ;   in Loop: Header=BB660_213 Depth=1
	v_cmp_ne_u16_e32 vcc, s9, v46
	v_bfrev_b32_e32 v51, 1
	s_and_saveexec_b64 s[14:15], vcc
	s_cbranch_execz .LBB660_512
; %bb.509:                              ;   in Loop: Header=BB660_213 Depth=1
	v_and_b32_e32 v52, 0x7f, v46
	v_cmp_ne_u32_e32 vcc, s19, v52
	v_mov_b32_e32 v51, 0x7f800001
	s_and_saveexec_b64 s[16:17], vcc
	s_cbranch_execz .LBB660_511
; %bb.510:                              ;   in Loop: Header=BB660_213 Depth=1
	v_and_b32_e32 v51, 7, v46
	v_ffbh_u32_e32 v59, v51
	v_min_u32_e32 v59, 32, v59
	v_subrev_u32_e32 v60, 28, v59
	v_lshlrev_b64 v[60:61], v60, v[46:47]
	v_lshrrev_b32_e32 v53, 3, v52
	v_sub_u32_e32 v46, 29, v59
	v_and_b32_e32 v59, 7, v60
	v_cmp_gt_u32_e32 vcc, 8, v52
	v_cndmask_b32_e32 v46, v53, v46, vcc
	v_cndmask_b32_e32 v51, v51, v59, vcc
	v_lshlrev_b32_e32 v52, 16, v44
	v_lshlrev_b32_e32 v51, 20, v51
	v_and_b32_e32 v52, 0x80000000, v52
	v_lshl_add_u32 v46, v46, 23, v48
	v_or3_b32 v51, v52, v46, v51
.LBB660_511:                            ;   in Loop: Header=BB660_213 Depth=1
	s_or_b64 exec, exec, s[16:17]
.LBB660_512:                            ;   in Loop: Header=BB660_213 Depth=1
	s_or_b64 exec, exec, s[14:15]
.LBB660_513:                            ;   in Loop: Header=BB660_213 Depth=1
	s_or_b64 exec, exec, s[12:13]
	v_lshrrev_b32_e32 v46, 16, v44
	v_cmp_ne_u16_sdwa s[14:15], v46, v47 src0_sel:BYTE_0 src1_sel:DWORD
	s_and_saveexec_b64 s[12:13], s[14:15]
	s_cbranch_execz .LBB660_519
; %bb.514:                              ;   in Loop: Header=BB660_213 Depth=1
	v_cmp_ne_u16_sdwa s[16:17], v46, s9 src0_sel:BYTE_0 src1_sel:DWORD
	v_bfrev_b32_e32 v50, 1
	s_and_saveexec_b64 s[14:15], s[16:17]
	s_cbranch_execz .LBB660_518
; %bb.515:                              ;   in Loop: Header=BB660_213 Depth=1
	v_bfe_u32 v52, v44, 16, 7
	v_cmp_ne_u32_e32 vcc, s19, v52
	v_mov_b32_e32 v50, 0x7f800001
	s_and_saveexec_b64 s[16:17], vcc
	s_cbranch_execz .LBB660_517
; %bb.516:                              ;   in Loop: Header=BB660_213 Depth=1
	v_and_b32_e32 v50, 7, v46
	v_ffbh_u32_e32 v59, v50
	v_min_u32_e32 v59, 32, v59
	v_subrev_u32_e32 v60, 28, v59
	v_lshlrev_b64 v[60:61], v60, v[46:47]
	v_lshrrev_b32_e32 v53, 3, v52
	v_sub_u32_e32 v59, 29, v59
	v_and_b32_e32 v60, 7, v60
	v_cmp_gt_u32_e32 vcc, 8, v52
	v_cndmask_b32_e32 v52, v53, v59, vcc
	v_cndmask_b32_e32 v50, v50, v60, vcc
	v_lshlrev_b32_e32 v46, 24, v46
	v_lshlrev_b32_e32 v50, 20, v50
	v_and_b32_e32 v46, 0x80000000, v46
	v_lshl_add_u32 v52, v52, 23, v48
	v_or3_b32 v50, v46, v52, v50
.LBB660_517:                            ;   in Loop: Header=BB660_213 Depth=1
	s_or_b64 exec, exec, s[16:17]
.LBB660_518:                            ;   in Loop: Header=BB660_213 Depth=1
	s_or_b64 exec, exec, s[14:15]
.LBB660_519:                            ;   in Loop: Header=BB660_213 Depth=1
	s_or_b64 exec, exec, s[12:13]
	v_cmp_lt_u32_e32 vcc, s20, v44
	v_mov_b32_e32 v52, 0
	v_mov_b32_e32 v53, 0
	s_and_saveexec_b64 s[12:13], vcc
	s_cbranch_execz .LBB660_525
; %bb.520:                              ;   in Loop: Header=BB660_213 Depth=1
	v_lshrrev_b32_e32 v46, 24, v44
	v_cmp_ne_u32_e32 vcc, s9, v46
	v_bfrev_b32_e32 v53, 1
	s_and_saveexec_b64 s[14:15], vcc
	s_cbranch_execz .LBB660_524
; %bb.521:                              ;   in Loop: Header=BB660_213 Depth=1
	v_bfe_u32 v44, v44, 24, 7
	v_cmp_ne_u32_e32 vcc, s19, v44
	v_mov_b32_e32 v53, 0x7f800001
	s_and_saveexec_b64 s[16:17], vcc
	s_cbranch_execz .LBB660_523
; %bb.522:                              ;   in Loop: Header=BB660_213 Depth=1
	v_and_b32_e32 v53, 7, v46
	v_ffbh_u32_e32 v60, v53
	v_min_u32_e32 v62, 32, v60
	v_subrev_u32_e32 v60, 28, v62
	v_lshlrev_b64 v[60:61], v60, v[46:47]
	v_lshrrev_b32_e32 v59, 3, v44
	v_sub_u32_e32 v61, 29, v62
	v_and_b32_e32 v60, 7, v60
	v_cmp_gt_u32_e32 vcc, 8, v44
	v_cndmask_b32_e32 v44, v59, v61, vcc
	v_cndmask_b32_e32 v53, v53, v60, vcc
	v_lshlrev_b32_e32 v46, 24, v46
	v_lshlrev_b32_e32 v53, 20, v53
	v_and_b32_e32 v46, 0x80000000, v46
	v_lshl_add_u32 v44, v44, 23, v48
	v_or3_b32 v53, v46, v44, v53
.LBB660_523:                            ;   in Loop: Header=BB660_213 Depth=1
	s_or_b64 exec, exec, s[16:17]
.LBB660_524:                            ;   in Loop: Header=BB660_213 Depth=1
	s_or_b64 exec, exec, s[14:15]
.LBB660_525:                            ;   in Loop: Header=BB660_213 Depth=1
	s_or_b64 exec, exec, s[12:13]
	s_waitcnt vmcnt(2)
	v_cmp_ne_u16_sdwa s[14:15], v42, v47 src0_sel:BYTE_0 src1_sel:DWORD
	s_and_saveexec_b64 s[12:13], s[14:15]
	s_cbranch_execz .LBB660_531
; %bb.526:                              ;   in Loop: Header=BB660_213 Depth=1
	v_cmp_ne_u16_sdwa s[16:17], v42, s9 src0_sel:BYTE_0 src1_sel:DWORD
	v_bfrev_b32_e32 v52, 1
	s_and_saveexec_b64 s[14:15], s[16:17]
	s_cbranch_execz .LBB660_530
; %bb.527:                              ;   in Loop: Header=BB660_213 Depth=1
	v_and_b32_e32 v44, 0x7f, v42
	v_cmp_ne_u32_e32 vcc, s19, v44
	v_mov_b32_e32 v52, 0x7f800001
	s_and_saveexec_b64 s[16:17], vcc
	s_cbranch_execz .LBB660_529
; %bb.528:                              ;   in Loop: Header=BB660_213 Depth=1
	v_and_b32_e32 v46, 7, v42
	v_ffbh_u32_e32 v59, v46
	v_min_u32_e32 v59, 32, v59
	v_subrev_u32_e32 v60, 28, v59
	v_lshlrev_b64 v[60:61], v60, v[42:43]
	v_lshrrev_b32_e32 v52, 3, v44
	v_sub_u32_e32 v59, 29, v59
	v_and_b32_e32 v60, 7, v60
	v_cmp_gt_u32_e32 vcc, 8, v44
	v_cndmask_b32_e32 v44, v52, v59, vcc
	v_cndmask_b32_e32 v46, v46, v60, vcc
	v_lshlrev_b32_e32 v52, 24, v42
	v_lshlrev_b32_e32 v46, 20, v46
	v_and_b32_e32 v52, 0x80000000, v52
	v_lshl_add_u32 v44, v44, 23, v48
	v_or3_b32 v52, v52, v44, v46
.LBB660_529:                            ;   in Loop: Header=BB660_213 Depth=1
	s_or_b64 exec, exec, s[16:17]
.LBB660_530:                            ;   in Loop: Header=BB660_213 Depth=1
	s_or_b64 exec, exec, s[14:15]
.LBB660_531:                            ;   in Loop: Header=BB660_213 Depth=1
	s_or_b64 exec, exec, s[12:13]
	v_lshrrev_b16_e32 v44, 8, v42
	v_cmp_ne_u16_e32 vcc, 0, v44
	v_mov_b32_e32 v59, 0
	v_mov_b32_e32 v60, 0
	s_and_saveexec_b64 s[12:13], vcc
	s_cbranch_execz .LBB660_537
; %bb.532:                              ;   in Loop: Header=BB660_213 Depth=1
	v_cmp_ne_u16_e32 vcc, s9, v44
	v_bfrev_b32_e32 v60, 1
	s_and_saveexec_b64 s[14:15], vcc
	s_cbranch_execz .LBB660_536
; %bb.533:                              ;   in Loop: Header=BB660_213 Depth=1
	v_and_b32_e32 v46, 0x7f, v44
	v_cmp_ne_u32_e32 vcc, s19, v46
	v_mov_b32_e32 v60, 0x7f800001
	s_and_saveexec_b64 s[16:17], vcc
	s_cbranch_execz .LBB660_535
; %bb.534:                              ;   in Loop: Header=BB660_213 Depth=1
	v_and_b32_e32 v62, 7, v44
	v_ffbh_u32_e32 v60, v62
	v_min_u32_e32 v64, 32, v60
	v_subrev_u32_e32 v60, 28, v64
	v_lshlrev_b64 v[60:61], v60, v[44:45]
	v_lshrrev_b32_e32 v63, 3, v46
	v_sub_u32_e32 v44, 29, v64
	v_and_b32_e32 v60, 7, v60
	v_cmp_gt_u32_e32 vcc, 8, v46
	v_cndmask_b32_e32 v44, v63, v44, vcc
	v_cndmask_b32_e32 v46, v62, v60, vcc
	v_lshlrev_b32_e32 v60, 16, v42
	v_lshlrev_b32_e32 v46, 20, v46
	v_and_b32_e32 v60, 0x80000000, v60
	v_lshl_add_u32 v44, v44, 23, v48
	v_or3_b32 v60, v60, v44, v46
.LBB660_535:                            ;   in Loop: Header=BB660_213 Depth=1
	s_or_b64 exec, exec, s[16:17]
.LBB660_536:                            ;   in Loop: Header=BB660_213 Depth=1
	s_or_b64 exec, exec, s[14:15]
.LBB660_537:                            ;   in Loop: Header=BB660_213 Depth=1
	s_or_b64 exec, exec, s[12:13]
	v_lshrrev_b32_e32 v44, 16, v42
	v_cmp_ne_u16_sdwa s[14:15], v44, v47 src0_sel:BYTE_0 src1_sel:DWORD
	s_and_saveexec_b64 s[12:13], s[14:15]
	s_cbranch_execz .LBB660_543
; %bb.538:                              ;   in Loop: Header=BB660_213 Depth=1
	v_cmp_ne_u16_sdwa s[16:17], v44, s9 src0_sel:BYTE_0 src1_sel:DWORD
	v_bfrev_b32_e32 v59, 1
	s_and_saveexec_b64 s[14:15], s[16:17]
	s_cbranch_execz .LBB660_542
; %bb.539:                              ;   in Loop: Header=BB660_213 Depth=1
	v_bfe_u32 v46, v42, 16, 7
	v_cmp_ne_u32_e32 vcc, s19, v46
	v_mov_b32_e32 v59, 0x7f800001
	s_and_saveexec_b64 s[16:17], vcc
	s_cbranch_execz .LBB660_541
; %bb.540:                              ;   in Loop: Header=BB660_213 Depth=1
	v_and_b32_e32 v59, 7, v44
	v_ffbh_u32_e32 v62, v59
	v_min_u32_e32 v64, 32, v62
	v_subrev_u32_e32 v62, 28, v64
	v_lshlrev_b64 v[62:63], v62, v[44:45]
	v_lshrrev_b32_e32 v61, 3, v46
	v_sub_u32_e32 v63, 29, v64
	v_and_b32_e32 v62, 7, v62
	v_cmp_gt_u32_e32 vcc, 8, v46
	v_cndmask_b32_e32 v46, v61, v63, vcc
	v_cndmask_b32_e32 v59, v59, v62, vcc
	v_lshlrev_b32_e32 v44, 24, v44
	v_lshlrev_b32_e32 v59, 20, v59
	v_and_b32_e32 v44, 0x80000000, v44
	v_lshl_add_u32 v46, v46, 23, v48
	v_or3_b32 v59, v44, v46, v59
.LBB660_541:                            ;   in Loop: Header=BB660_213 Depth=1
	s_or_b64 exec, exec, s[16:17]
.LBB660_542:                            ;   in Loop: Header=BB660_213 Depth=1
	s_or_b64 exec, exec, s[14:15]
.LBB660_543:                            ;   in Loop: Header=BB660_213 Depth=1
	s_or_b64 exec, exec, s[12:13]
	v_cmp_lt_u32_e32 vcc, s20, v42
	v_mov_b32_e32 v46, 0
	v_mov_b32_e32 v61, 0
	s_and_saveexec_b64 s[12:13], vcc
	s_cbranch_execz .LBB660_549
; %bb.544:                              ;   in Loop: Header=BB660_213 Depth=1
	v_lshrrev_b32_e32 v44, 24, v42
	v_cmp_ne_u32_e32 vcc, s9, v44
	v_bfrev_b32_e32 v61, 1
	s_and_saveexec_b64 s[14:15], vcc
	s_cbranch_execz .LBB660_548
; %bb.545:                              ;   in Loop: Header=BB660_213 Depth=1
	v_bfe_u32 v42, v42, 24, 7
	v_cmp_ne_u32_e32 vcc, s19, v42
	v_mov_b32_e32 v61, 0x7f800001
	s_and_saveexec_b64 s[16:17], vcc
	s_cbranch_execz .LBB660_547
; %bb.546:                              ;   in Loop: Header=BB660_213 Depth=1
	v_and_b32_e32 v61, 7, v44
	v_ffbh_u32_e32 v62, v61
	v_min_u32_e32 v65, 32, v62
	v_subrev_u32_e32 v62, 28, v65
	v_lshlrev_b64 v[62:63], v62, v[44:45]
	v_lshrrev_b32_e32 v64, 3, v42
	v_sub_u32_e32 v63, 29, v65
	v_and_b32_e32 v62, 7, v62
	v_cmp_gt_u32_e32 vcc, 8, v42
	v_cndmask_b32_e32 v42, v64, v63, vcc
	v_cndmask_b32_e32 v61, v61, v62, vcc
	v_lshlrev_b32_e32 v44, 24, v44
	v_lshlrev_b32_e32 v61, 20, v61
	v_and_b32_e32 v44, 0x80000000, v44
	v_lshl_add_u32 v42, v42, 23, v48
	v_or3_b32 v61, v44, v42, v61
.LBB660_547:                            ;   in Loop: Header=BB660_213 Depth=1
	s_or_b64 exec, exec, s[16:17]
.LBB660_548:                            ;   in Loop: Header=BB660_213 Depth=1
	s_or_b64 exec, exec, s[14:15]
.LBB660_549:                            ;   in Loop: Header=BB660_213 Depth=1
	s_or_b64 exec, exec, s[12:13]
	v_cvt_pkrtz_f16_f32 v62, v49, v51
	v_cvt_pkrtz_f16_f32 v63, v50, v53
	;; [unrolled: 1-line block ×4, first 2 shown]
	s_waitcnt vmcnt(1)
	v_cmp_ne_u16_sdwa s[14:15], v40, v47 src0_sel:BYTE_0 src1_sel:DWORD
	v_mfma_f32_16x16x16f16 v[34:37], v[62:63], v[26:27], v[34:37]
	v_mfma_f32_16x16x16f16 v[34:37], v[50:51], v[28:29], v[34:37]
	s_and_saveexec_b64 s[12:13], s[14:15]
	s_cbranch_execz .LBB660_555
; %bb.550:                              ;   in Loop: Header=BB660_213 Depth=1
	v_cmp_ne_u16_sdwa s[16:17], v40, s9 src0_sel:BYTE_0 src1_sel:DWORD
	v_bfrev_b32_e32 v46, 1
	s_and_saveexec_b64 s[14:15], s[16:17]
	s_cbranch_execz .LBB660_554
; %bb.551:                              ;   in Loop: Header=BB660_213 Depth=1
	v_and_b32_e32 v42, 0x7f, v40
	v_cmp_ne_u32_e32 vcc, s19, v42
	v_mov_b32_e32 v46, 0x7f800001
	s_and_saveexec_b64 s[16:17], vcc
	s_cbranch_execz .LBB660_553
; %bb.552:                              ;   in Loop: Header=BB660_213 Depth=1
	v_and_b32_e32 v44, 7, v40
	v_ffbh_u32_e32 v49, v44
	v_min_u32_e32 v49, 32, v49
	v_subrev_u32_e32 v50, 28, v49
	v_lshlrev_b64 v[50:51], v50, v[40:41]
	v_lshrrev_b32_e32 v46, 3, v42
	v_sub_u32_e32 v49, 29, v49
	v_and_b32_e32 v50, 7, v50
	v_cmp_gt_u32_e32 vcc, 8, v42
	v_cndmask_b32_e32 v42, v46, v49, vcc
	v_cndmask_b32_e32 v44, v44, v50, vcc
	v_lshlrev_b32_e32 v46, 24, v40
	v_lshlrev_b32_e32 v44, 20, v44
	v_and_b32_e32 v46, 0x80000000, v46
	v_lshl_add_u32 v42, v42, 23, v48
	v_or3_b32 v46, v46, v42, v44
.LBB660_553:                            ;   in Loop: Header=BB660_213 Depth=1
	s_or_b64 exec, exec, s[16:17]
.LBB660_554:                            ;   in Loop: Header=BB660_213 Depth=1
	s_or_b64 exec, exec, s[14:15]
.LBB660_555:                            ;   in Loop: Header=BB660_213 Depth=1
	s_or_b64 exec, exec, s[12:13]
	v_lshrrev_b16_e32 v42, 8, v40
	v_cmp_ne_u16_e32 vcc, 0, v42
	v_mov_b32_e32 v44, 0
	v_mov_b32_e32 v49, 0
	s_and_saveexec_b64 s[12:13], vcc
	s_cbranch_execz .LBB660_561
; %bb.556:                              ;   in Loop: Header=BB660_213 Depth=1
	v_cmp_ne_u16_e32 vcc, s9, v42
	v_bfrev_b32_e32 v49, 1
	s_and_saveexec_b64 s[14:15], vcc
	s_cbranch_execz .LBB660_560
; %bb.557:                              ;   in Loop: Header=BB660_213 Depth=1
	v_and_b32_e32 v50, 0x7f, v42
	v_cmp_ne_u32_e32 vcc, s19, v50
	v_mov_b32_e32 v49, 0x7f800001
	s_and_saveexec_b64 s[16:17], vcc
	s_cbranch_execz .LBB660_559
; %bb.558:                              ;   in Loop: Header=BB660_213 Depth=1
	v_and_b32_e32 v49, 7, v42
	v_ffbh_u32_e32 v52, v49
	v_min_u32_e32 v59, 32, v52
	v_subrev_u32_e32 v52, 28, v59
	v_lshlrev_b64 v[52:53], v52, v[42:43]
	v_lshrrev_b32_e32 v51, 3, v50
	v_sub_u32_e32 v42, 29, v59
	v_and_b32_e32 v52, 7, v52
	v_cmp_gt_u32_e32 vcc, 8, v50
	v_cndmask_b32_e32 v42, v51, v42, vcc
	v_cndmask_b32_e32 v49, v49, v52, vcc
	v_lshlrev_b32_e32 v50, 16, v40
	v_lshlrev_b32_e32 v49, 20, v49
	v_and_b32_e32 v50, 0x80000000, v50
	v_lshl_add_u32 v42, v42, 23, v48
	v_or3_b32 v49, v50, v42, v49
.LBB660_559:                            ;   in Loop: Header=BB660_213 Depth=1
	s_or_b64 exec, exec, s[16:17]
.LBB660_560:                            ;   in Loop: Header=BB660_213 Depth=1
	s_or_b64 exec, exec, s[14:15]
.LBB660_561:                            ;   in Loop: Header=BB660_213 Depth=1
	s_or_b64 exec, exec, s[12:13]
	v_lshrrev_b32_e32 v42, 16, v40
	v_cmp_ne_u16_sdwa s[14:15], v42, v47 src0_sel:BYTE_0 src1_sel:DWORD
	s_and_saveexec_b64 s[12:13], s[14:15]
	s_cbranch_execz .LBB660_567
; %bb.562:                              ;   in Loop: Header=BB660_213 Depth=1
	v_cmp_ne_u16_sdwa s[16:17], v42, s9 src0_sel:BYTE_0 src1_sel:DWORD
	v_bfrev_b32_e32 v44, 1
	s_and_saveexec_b64 s[14:15], s[16:17]
	s_cbranch_execz .LBB660_566
; %bb.563:                              ;   in Loop: Header=BB660_213 Depth=1
	v_bfe_u32 v50, v40, 16, 7
	v_cmp_ne_u32_e32 vcc, s19, v50
	v_mov_b32_e32 v44, 0x7f800001
	s_and_saveexec_b64 s[16:17], vcc
	s_cbranch_execz .LBB660_565
; %bb.564:                              ;   in Loop: Header=BB660_213 Depth=1
	v_and_b32_e32 v44, 7, v42
	v_ffbh_u32_e32 v52, v44
	v_min_u32_e32 v59, 32, v52
	v_subrev_u32_e32 v52, 28, v59
	v_lshlrev_b64 v[52:53], v52, v[42:43]
	v_lshrrev_b32_e32 v51, 3, v50
	v_sub_u32_e32 v53, 29, v59
	v_and_b32_e32 v52, 7, v52
	v_cmp_gt_u32_e32 vcc, 8, v50
	v_cndmask_b32_e32 v50, v51, v53, vcc
	v_cndmask_b32_e32 v44, v44, v52, vcc
	v_lshlrev_b32_e32 v42, 24, v42
	v_lshlrev_b32_e32 v44, 20, v44
	v_and_b32_e32 v42, 0x80000000, v42
	v_lshl_add_u32 v50, v50, 23, v48
	v_or3_b32 v44, v42, v50, v44
.LBB660_565:                            ;   in Loop: Header=BB660_213 Depth=1
	s_or_b64 exec, exec, s[16:17]
.LBB660_566:                            ;   in Loop: Header=BB660_213 Depth=1
	s_or_b64 exec, exec, s[14:15]
.LBB660_567:                            ;   in Loop: Header=BB660_213 Depth=1
	s_or_b64 exec, exec, s[12:13]
	v_cmp_lt_u32_e32 vcc, s20, v40
	v_mov_b32_e32 v50, 0
	v_mov_b32_e32 v51, 0
	s_and_saveexec_b64 s[12:13], vcc
	s_cbranch_execz .LBB660_573
; %bb.568:                              ;   in Loop: Header=BB660_213 Depth=1
	v_lshrrev_b32_e32 v42, 24, v40
	v_cmp_ne_u32_e32 vcc, s9, v42
	v_bfrev_b32_e32 v51, 1
	s_and_saveexec_b64 s[14:15], vcc
	s_cbranch_execz .LBB660_572
; %bb.569:                              ;   in Loop: Header=BB660_213 Depth=1
	v_bfe_u32 v40, v40, 24, 7
	v_cmp_ne_u32_e32 vcc, s19, v40
	v_mov_b32_e32 v51, 0x7f800001
	s_and_saveexec_b64 s[16:17], vcc
	s_cbranch_execz .LBB660_571
; %bb.570:                              ;   in Loop: Header=BB660_213 Depth=1
	v_and_b32_e32 v51, 7, v42
	v_ffbh_u32_e32 v52, v51
	v_min_u32_e32 v60, 32, v52
	v_subrev_u32_e32 v52, 28, v60
	v_lshlrev_b64 v[52:53], v52, v[42:43]
	v_lshrrev_b32_e32 v59, 3, v40
	v_sub_u32_e32 v53, 29, v60
	v_and_b32_e32 v52, 7, v52
	v_cmp_gt_u32_e32 vcc, 8, v40
	v_cndmask_b32_e32 v40, v59, v53, vcc
	v_cndmask_b32_e32 v51, v51, v52, vcc
	v_lshlrev_b32_e32 v42, 24, v42
	v_lshlrev_b32_e32 v51, 20, v51
	v_and_b32_e32 v42, 0x80000000, v42
	v_lshl_add_u32 v40, v40, 23, v48
	v_or3_b32 v51, v42, v40, v51
.LBB660_571:                            ;   in Loop: Header=BB660_213 Depth=1
	s_or_b64 exec, exec, s[16:17]
.LBB660_572:                            ;   in Loop: Header=BB660_213 Depth=1
	s_or_b64 exec, exec, s[14:15]
.LBB660_573:                            ;   in Loop: Header=BB660_213 Depth=1
	s_or_b64 exec, exec, s[12:13]
	s_waitcnt vmcnt(0)
	v_cmp_ne_u16_sdwa s[14:15], v38, v47 src0_sel:BYTE_0 src1_sel:DWORD
	s_and_saveexec_b64 s[12:13], s[14:15]
	s_cbranch_execz .LBB660_579
; %bb.574:                              ;   in Loop: Header=BB660_213 Depth=1
	v_cmp_ne_u16_sdwa s[16:17], v38, s9 src0_sel:BYTE_0 src1_sel:DWORD
	v_bfrev_b32_e32 v50, 1
	s_and_saveexec_b64 s[14:15], s[16:17]
	s_cbranch_execz .LBB660_578
; %bb.575:                              ;   in Loop: Header=BB660_213 Depth=1
	v_and_b32_e32 v40, 0x7f, v38
	v_cmp_ne_u32_e32 vcc, s19, v40
	v_mov_b32_e32 v50, 0x7f800001
	s_and_saveexec_b64 s[16:17], vcc
	s_cbranch_execz .LBB660_577
; %bb.576:                              ;   in Loop: Header=BB660_213 Depth=1
	v_and_b32_e32 v42, 7, v38
	v_ffbh_u32_e32 v52, v42
	v_min_u32_e32 v59, 32, v52
	v_subrev_u32_e32 v52, 28, v59
	v_lshlrev_b64 v[52:53], v52, v[38:39]
	v_lshrrev_b32_e32 v50, 3, v40
	v_sub_u32_e32 v53, 29, v59
	v_and_b32_e32 v52, 7, v52
	v_cmp_gt_u32_e32 vcc, 8, v40
	v_cndmask_b32_e32 v40, v50, v53, vcc
	v_cndmask_b32_e32 v42, v42, v52, vcc
	v_lshlrev_b32_e32 v50, 24, v38
	v_lshlrev_b32_e32 v42, 20, v42
	v_and_b32_e32 v50, 0x80000000, v50
	v_lshl_add_u32 v40, v40, 23, v48
	v_or3_b32 v50, v50, v40, v42
.LBB660_577:                            ;   in Loop: Header=BB660_213 Depth=1
	s_or_b64 exec, exec, s[16:17]
.LBB660_578:                            ;   in Loop: Header=BB660_213 Depth=1
	s_or_b64 exec, exec, s[14:15]
.LBB660_579:                            ;   in Loop: Header=BB660_213 Depth=1
	s_or_b64 exec, exec, s[12:13]
	v_lshrrev_b16_e32 v40, 8, v38
	v_cmp_ne_u16_e32 vcc, 0, v40
	v_mov_b32_e32 v42, 0
	v_mov_b32_e32 v52, 0
	s_and_saveexec_b64 s[12:13], vcc
	s_cbranch_execz .LBB660_585
; %bb.580:                              ;   in Loop: Header=BB660_213 Depth=1
	v_cmp_ne_u16_e32 vcc, s9, v40
	v_bfrev_b32_e32 v52, 1
	s_and_saveexec_b64 s[14:15], vcc
	s_cbranch_execz .LBB660_584
; %bb.581:                              ;   in Loop: Header=BB660_213 Depth=1
	v_and_b32_e32 v53, 0x7f, v40
	v_cmp_ne_u32_e32 vcc, s19, v53
	v_mov_b32_e32 v52, 0x7f800001
	s_and_saveexec_b64 s[16:17], vcc
	s_cbranch_execz .LBB660_583
; %bb.582:                              ;   in Loop: Header=BB660_213 Depth=1
	v_and_b32_e32 v52, 7, v40
	v_ffbh_u32_e32 v60, v52
	v_min_u32_e32 v62, 32, v60
	v_subrev_u32_e32 v60, 28, v62
	v_lshlrev_b64 v[60:61], v60, v[40:41]
	v_lshrrev_b32_e32 v59, 3, v53
	v_sub_u32_e32 v40, 29, v62
	v_and_b32_e32 v60, 7, v60
	v_cmp_gt_u32_e32 vcc, 8, v53
	v_cndmask_b32_e32 v40, v59, v40, vcc
	v_cndmask_b32_e32 v52, v52, v60, vcc
	v_lshlrev_b32_e32 v53, 16, v38
	v_lshlrev_b32_e32 v52, 20, v52
	v_and_b32_e32 v53, 0x80000000, v53
	v_lshl_add_u32 v40, v40, 23, v48
	v_or3_b32 v52, v53, v40, v52
.LBB660_583:                            ;   in Loop: Header=BB660_213 Depth=1
	s_or_b64 exec, exec, s[16:17]
.LBB660_584:                            ;   in Loop: Header=BB660_213 Depth=1
	s_or_b64 exec, exec, s[14:15]
.LBB660_585:                            ;   in Loop: Header=BB660_213 Depth=1
	s_or_b64 exec, exec, s[12:13]
	v_lshrrev_b32_e32 v40, 16, v38
	v_cmp_ne_u16_sdwa s[14:15], v40, v47 src0_sel:BYTE_0 src1_sel:DWORD
	s_and_saveexec_b64 s[12:13], s[14:15]
	s_cbranch_execz .LBB660_591
; %bb.586:                              ;   in Loop: Header=BB660_213 Depth=1
	v_cmp_ne_u16_sdwa s[16:17], v40, s9 src0_sel:BYTE_0 src1_sel:DWORD
	v_bfrev_b32_e32 v42, 1
	s_and_saveexec_b64 s[14:15], s[16:17]
	s_cbranch_execz .LBB660_590
; %bb.587:                              ;   in Loop: Header=BB660_213 Depth=1
	v_bfe_u32 v53, v38, 16, 7
	v_cmp_ne_u32_e32 vcc, s19, v53
	v_mov_b32_e32 v42, 0x7f800001
	s_and_saveexec_b64 s[16:17], vcc
	s_cbranch_execz .LBB660_589
; %bb.588:                              ;   in Loop: Header=BB660_213 Depth=1
	v_and_b32_e32 v42, 7, v40
	v_ffbh_u32_e32 v60, v42
	v_min_u32_e32 v62, 32, v60
	v_subrev_u32_e32 v60, 28, v62
	v_lshlrev_b64 v[60:61], v60, v[40:41]
	v_lshrrev_b32_e32 v59, 3, v53
	v_sub_u32_e32 v61, 29, v62
	v_and_b32_e32 v60, 7, v60
	v_cmp_gt_u32_e32 vcc, 8, v53
	v_cndmask_b32_e32 v53, v59, v61, vcc
	v_cndmask_b32_e32 v42, v42, v60, vcc
	v_lshlrev_b32_e32 v40, 24, v40
	v_lshlrev_b32_e32 v42, 20, v42
	v_and_b32_e32 v40, 0x80000000, v40
	v_lshl_add_u32 v53, v53, 23, v48
	v_or3_b32 v42, v40, v53, v42
.LBB660_589:                            ;   in Loop: Header=BB660_213 Depth=1
	s_or_b64 exec, exec, s[16:17]
.LBB660_590:                            ;   in Loop: Header=BB660_213 Depth=1
	s_or_b64 exec, exec, s[14:15]
.LBB660_591:                            ;   in Loop: Header=BB660_213 Depth=1
	s_or_b64 exec, exec, s[12:13]
	v_cmp_lt_u32_e32 vcc, s20, v38
	v_mov_b32_e32 v53, 0
	s_and_saveexec_b64 s[12:13], vcc
	s_cbranch_execz .LBB660_212
; %bb.592:                              ;   in Loop: Header=BB660_213 Depth=1
	v_lshrrev_b32_e32 v40, 24, v38
	v_cmp_ne_u32_e32 vcc, s9, v40
	v_bfrev_b32_e32 v53, 1
	s_and_saveexec_b64 s[14:15], vcc
	s_cbranch_execz .LBB660_211
; %bb.593:                              ;   in Loop: Header=BB660_213 Depth=1
	v_bfe_u32 v38, v38, 24, 7
	v_cmp_ne_u32_e32 vcc, s19, v38
	v_mov_b32_e32 v53, 0x7f800001
	s_and_saveexec_b64 s[16:17], vcc
	s_cbranch_execz .LBB660_210
; %bb.594:                              ;   in Loop: Header=BB660_213 Depth=1
	v_and_b32_e32 v53, 7, v40
	v_ffbh_u32_e32 v60, v53
	v_min_u32_e32 v62, 32, v60
	v_subrev_u32_e32 v60, 28, v62
	v_lshlrev_b64 v[60:61], v60, v[40:41]
	v_lshrrev_b32_e32 v59, 3, v38
	v_sub_u32_e32 v61, 29, v62
	v_and_b32_e32 v60, 7, v60
	v_cmp_gt_u32_e32 vcc, 8, v38
	v_cndmask_b32_e32 v38, v59, v61, vcc
	v_cndmask_b32_e32 v53, v53, v60, vcc
	v_lshlrev_b32_e32 v40, 24, v40
	v_lshlrev_b32_e32 v53, 20, v53
	v_and_b32_e32 v40, 0x80000000, v40
	v_lshl_add_u32 v38, v38, 23, v48
	v_or3_b32 v53, v40, v38, v53
	s_branch .LBB660_210
.LBB660_595:
	s_barrier
	buffer_load_dword v2, off, s[0:3], 0 offset:320
	buffer_load_dword v5, off, s[0:3], 0 offset:332
	;; [unrolled: 1-line block ×4, first 2 shown]
	v_cmp_gt_u32_e32 vcc, 64, v0
	s_waitcnt vmcnt(0)
	ds_write2st64_b64 v43, v[2:3], v[4:5] offset1:1
	s_waitcnt lgkmcnt(0)
	s_barrier
	s_and_saveexec_b64 s[4:5], vcc
	s_cbranch_execz .LBB660_598
; %bb.596:
	s_lshl_b32 s4, s50, 7
	s_mul_i32 s5, s18, s8
	s_mul_hi_u32 s9, s5, s4
	s_mul_i32 s8, s5, s4
	s_lshl_b64 s[8:9], s[8:9], 1
	s_add_u32 s5, s48, s8
	v_lshlrev_b32_e32 v4, 6, v55
	s_mov_b32 s7, 0
	s_addc_u32 s8, s49, s9
	s_lshl_b32 s6, s24, 7
	v_lshl_or_b32 v0, v0, 10, v4
	s_lshl_b64 s[6:7], s[6:7], 1
	v_lshlrev_b32_e32 v2, 5, v1
	v_and_b32_e32 v3, 16, v56
	v_and_b32_e32 v0, 0x1a00, v0
	s_add_u32 s5, s5, s6
	v_or3_b32 v0, v0, v2, v3
	s_addc_u32 s6, s8, s7
	v_add_u32_e32 v8, s25, v1
	v_mov_b32_e32 v3, s6
	v_add_co_u32_e32 v2, vcc, s5, v54
	ds_read_b128 v[4:7], v0
	v_mad_u64_u32 v[8:9], s[6:7], v8, s4, 0
	v_addc_co_u32_e32 v3, vcc, 0, v3, vcc
	v_lshlrev_b64 v[8:9], 1, v[8:9]
	v_add_co_u32_e32 v8, vcc, v2, v8
	v_addc_co_u32_e32 v9, vcc, v3, v9, vcc
	v_cmp_ne_u32_e32 vcc, 3, v1
	s_waitcnt lgkmcnt(0)
	global_store_dwordx4 v[8:9], v[4:7], off
	s_and_b64 exec, exec, vcc
	s_cbranch_execz .LBB660_598
; %bb.597:
	ds_read_b128 v[4:7], v0 offset:128
	v_add3_u32 v0, s25, v1, 4
	v_mad_u64_u32 v[0:1], s[4:5], v0, s4, 0
	v_lshlrev_b64 v[0:1], 1, v[0:1]
	v_add_co_u32_e32 v0, vcc, v2, v0
	v_addc_co_u32_e32 v1, vcc, v3, v1, vcc
	s_waitcnt lgkmcnt(0)
	global_store_dwordx4 v[0:1], v[4:7], off
.LBB660_598:
	s_endpgm
	.section	.rodata,"a",@progbits
	.p2align	6, 0x0
	.amdhsa_kernel _Z39paged_attention_ll4mi_QKV_mfma16_kernelIDF16_hLN4vllm18Fp8KVCacheDataTypeE1EDF16_Li32ELi128ELi256ELb0ELi7EL8MFMAType0EEvPKT_PKT0_S8_ifPKiSA_SA_iPKfiiiPfSD_PS3_PT2_iSC_SC_
		.amdhsa_group_segment_fixed_size 8192
		.amdhsa_private_segment_fixed_size 352
		.amdhsa_kernarg_size 400
		.amdhsa_user_sgpr_count 8
		.amdhsa_user_sgpr_private_segment_buffer 1
		.amdhsa_user_sgpr_dispatch_ptr 0
		.amdhsa_user_sgpr_queue_ptr 0
		.amdhsa_user_sgpr_kernarg_segment_ptr 1
		.amdhsa_user_sgpr_dispatch_id 0
		.amdhsa_user_sgpr_flat_scratch_init 1
		.amdhsa_user_sgpr_kernarg_preload_length 0
		.amdhsa_user_sgpr_kernarg_preload_offset 0
		.amdhsa_user_sgpr_private_segment_size 0
		.amdhsa_uses_dynamic_stack 0
		.amdhsa_system_sgpr_private_segment_wavefront_offset 1
		.amdhsa_system_sgpr_workgroup_id_x 1
		.amdhsa_system_sgpr_workgroup_id_y 1
		.amdhsa_system_sgpr_workgroup_id_z 1
		.amdhsa_system_sgpr_workgroup_info 0
		.amdhsa_system_vgpr_workitem_id 0
		.amdhsa_next_free_vgpr 78
		.amdhsa_next_free_sgpr 53
		.amdhsa_accum_offset 80
		.amdhsa_reserve_vcc 1
		.amdhsa_reserve_flat_scratch 0
		.amdhsa_float_round_mode_32 0
		.amdhsa_float_round_mode_16_64 0
		.amdhsa_float_denorm_mode_32 3
		.amdhsa_float_denorm_mode_16_64 3
		.amdhsa_dx10_clamp 1
		.amdhsa_ieee_mode 1
		.amdhsa_fp16_overflow 0
		.amdhsa_tg_split 0
		.amdhsa_exception_fp_ieee_invalid_op 0
		.amdhsa_exception_fp_denorm_src 0
		.amdhsa_exception_fp_ieee_div_zero 0
		.amdhsa_exception_fp_ieee_overflow 0
		.amdhsa_exception_fp_ieee_underflow 0
		.amdhsa_exception_fp_ieee_inexact 0
		.amdhsa_exception_int_div_zero 0
	.end_amdhsa_kernel
	.section	.text._Z39paged_attention_ll4mi_QKV_mfma16_kernelIDF16_hLN4vllm18Fp8KVCacheDataTypeE1EDF16_Li32ELi128ELi256ELb0ELi7EL8MFMAType0EEvPKT_PKT0_S8_ifPKiSA_SA_iPKfiiiPfSD_PS3_PT2_iSC_SC_,"axG",@progbits,_Z39paged_attention_ll4mi_QKV_mfma16_kernelIDF16_hLN4vllm18Fp8KVCacheDataTypeE1EDF16_Li32ELi128ELi256ELb0ELi7EL8MFMAType0EEvPKT_PKT0_S8_ifPKiSA_SA_iPKfiiiPfSD_PS3_PT2_iSC_SC_,comdat
.Lfunc_end660:
	.size	_Z39paged_attention_ll4mi_QKV_mfma16_kernelIDF16_hLN4vllm18Fp8KVCacheDataTypeE1EDF16_Li32ELi128ELi256ELb0ELi7EL8MFMAType0EEvPKT_PKT0_S8_ifPKiSA_SA_iPKfiiiPfSD_PS3_PT2_iSC_SC_, .Lfunc_end660-_Z39paged_attention_ll4mi_QKV_mfma16_kernelIDF16_hLN4vllm18Fp8KVCacheDataTypeE1EDF16_Li32ELi128ELi256ELb0ELi7EL8MFMAType0EEvPKT_PKT0_S8_ifPKiSA_SA_iPKfiiiPfSD_PS3_PT2_iSC_SC_
                                        ; -- End function
	.section	.AMDGPU.csdata,"",@progbits
; Kernel info:
; codeLenInByte = 21216
; NumSgprs: 57
; NumVgprs: 78
; NumAgprs: 0
; TotalNumVgprs: 78
; ScratchSize: 352
; MemoryBound: 0
; FloatMode: 240
; IeeeMode: 1
; LDSByteSize: 8192 bytes/workgroup (compile time only)
; SGPRBlocks: 7
; VGPRBlocks: 9
; NumSGPRsForWavesPerEU: 57
; NumVGPRsForWavesPerEU: 78
; AccumOffset: 80
; Occupancy: 6
; WaveLimiterHint : 1
; COMPUTE_PGM_RSRC2:SCRATCH_EN: 1
; COMPUTE_PGM_RSRC2:USER_SGPR: 8
; COMPUTE_PGM_RSRC2:TRAP_HANDLER: 0
; COMPUTE_PGM_RSRC2:TGID_X_EN: 1
; COMPUTE_PGM_RSRC2:TGID_Y_EN: 1
; COMPUTE_PGM_RSRC2:TGID_Z_EN: 1
; COMPUTE_PGM_RSRC2:TIDIG_COMP_CNT: 0
; COMPUTE_PGM_RSRC3_GFX90A:ACCUM_OFFSET: 19
; COMPUTE_PGM_RSRC3_GFX90A:TG_SPLIT: 0
	.section	.text._Z39paged_attention_ll4mi_QKV_mfma16_kernelIDF16_hLN4vllm18Fp8KVCacheDataTypeE1EDF16_Li32ELi128ELi256ELb0ELi8EL8MFMAType0EEvPKT_PKT0_S8_ifPKiSA_SA_iPKfiiiPfSD_PS3_PT2_iSC_SC_,"axG",@progbits,_Z39paged_attention_ll4mi_QKV_mfma16_kernelIDF16_hLN4vllm18Fp8KVCacheDataTypeE1EDF16_Li32ELi128ELi256ELb0ELi8EL8MFMAType0EEvPKT_PKT0_S8_ifPKiSA_SA_iPKfiiiPfSD_PS3_PT2_iSC_SC_,comdat
	.protected	_Z39paged_attention_ll4mi_QKV_mfma16_kernelIDF16_hLN4vllm18Fp8KVCacheDataTypeE1EDF16_Li32ELi128ELi256ELb0ELi8EL8MFMAType0EEvPKT_PKT0_S8_ifPKiSA_SA_iPKfiiiPfSD_PS3_PT2_iSC_SC_ ; -- Begin function _Z39paged_attention_ll4mi_QKV_mfma16_kernelIDF16_hLN4vllm18Fp8KVCacheDataTypeE1EDF16_Li32ELi128ELi256ELb0ELi8EL8MFMAType0EEvPKT_PKT0_S8_ifPKiSA_SA_iPKfiiiPfSD_PS3_PT2_iSC_SC_
	.globl	_Z39paged_attention_ll4mi_QKV_mfma16_kernelIDF16_hLN4vllm18Fp8KVCacheDataTypeE1EDF16_Li32ELi128ELi256ELb0ELi8EL8MFMAType0EEvPKT_PKT0_S8_ifPKiSA_SA_iPKfiiiPfSD_PS3_PT2_iSC_SC_
	.p2align	8
	.type	_Z39paged_attention_ll4mi_QKV_mfma16_kernelIDF16_hLN4vllm18Fp8KVCacheDataTypeE1EDF16_Li32ELi128ELi256ELb0ELi8EL8MFMAType0EEvPKT_PKT0_S8_ifPKiSA_SA_iPKfiiiPfSD_PS3_PT2_iSC_SC_,@function
_Z39paged_attention_ll4mi_QKV_mfma16_kernelIDF16_hLN4vllm18Fp8KVCacheDataTypeE1EDF16_Li32ELi128ELi256ELb0ELi8EL8MFMAType0EEvPKT_PKT0_S8_ifPKiSA_SA_iPKfiiiPfSD_PS3_PT2_iSC_SC_: ; @_Z39paged_attention_ll4mi_QKV_mfma16_kernelIDF16_hLN4vllm18Fp8KVCacheDataTypeE1EDF16_Li32ELi128ELi256ELb0ELi8EL8MFMAType0EEvPKT_PKT0_S8_ifPKiSA_SA_iPKfiiiPfSD_PS3_PT2_iSC_SC_
; %bb.0:
	s_load_dwordx2 s[6:7], s[4:5], 0x30
	s_add_u32 s0, s0, s11
	s_addc_u32 s1, s1, 0
	s_mov_b32 s24, s9
	s_mov_b64 s[12:13], 0
	s_waitcnt lgkmcnt(0)
	s_cmp_lg_u64 s[6:7], 0
	s_cselect_b64 s[16:17], -1, 0
	s_and_b64 vcc, exec, s[16:17]
	s_cbranch_vccz .LBB661_7
; %bb.1:
	s_add_i32 s14, s8, 1
	s_mov_b32 s15, 0
	s_lshl_b64 s[18:19], s[14:15], 2
	s_add_u32 s18, s6, s18
	s_mov_b32 s9, s15
	s_addc_u32 s19, s7, s19
	s_lshl_b64 s[14:15], s[8:9], 2
	s_add_u32 s14, s6, s14
	s_addc_u32 s15, s7, s15
	s_load_dword s11, s[18:19], 0x0
	s_load_dword s20, s[14:15], 0x0
	s_waitcnt lgkmcnt(0)
	s_sub_i32 s11, s11, s20
	s_cmp_eq_u32 s11, 1
	s_cselect_b64 s[14:15], -1, 0
	s_andn2_b64 vcc, exec, s[12:13]
	s_cbranch_vccnz .LBB661_3
.LBB661_2:
	s_mov_b32 s9, 0
	s_mov_b64 s[14:15], -1
.LBB661_3:
	s_andn2_b64 vcc, exec, s[14:15]
	s_cbranch_vccnz .LBB661_597
; %bb.4:
	s_load_dwordx2 s[12:13], s[4:5], 0x28
	s_lshl_b64 s[18:19], s[8:9], 2
	s_waitcnt lgkmcnt(0)
	s_add_u32 s12, s12, s18
	s_addc_u32 s13, s13, s19
	s_load_dword s33, s[12:13], 0x0
	s_lshl_b32 s20, s24, 8
	s_waitcnt lgkmcnt(0)
	s_cmp_ge_i32 s20, s33
	s_cbranch_scc1 .LBB661_597
; %bb.5:
	s_add_i32 s14, s33, 31
	s_load_dwordx2 s[12:13], s[4:5], 0x20
	s_load_dword s11, s[4:5], 0x38
	s_ashr_i32 s15, s14, 31
	v_and_b32_e32 v1, 0xcf, v0
	s_lshr_b32 s15, s15, 27
	v_add_u32_e32 v1, s20, v1
	s_add_i32 s14, s14, s15
	v_ashrrev_i32_e32 v2, 31, v1
	s_ashr_i32 s22, s14, 5
	v_lshrrev_b32_e32 v10, 27, v2
	s_add_i32 s22, s22, -1
	v_add_u32_e32 v2, v1, v10
	s_waitcnt lgkmcnt(0)
	s_mul_i32 s14, s8, s11
	s_mov_b32 s15, 0
	v_ashrrev_i32_e32 v2, 5, v2
	v_mov_b32_e32 v11, s22
	v_cmp_gt_i32_e32 vcc, s33, v1
	s_lshl_b64 s[14:15], s[14:15], 2
	v_cndmask_b32_e32 v2, v11, v2, vcc
	s_add_u32 s11, s12, s14
	v_ashrrev_i32_e32 v3, 31, v2
	s_addc_u32 s21, s13, s15
	v_lshlrev_b64 v[2:3], 2, v[2:3]
	v_mov_b32_e32 v5, s21
	v_add_co_u32_e32 v4, vcc, s11, v2
	v_or_b32_e32 v2, 16, v1
	v_addc_co_u32_e32 v5, vcc, v5, v3, vcc
	v_add_u32_e32 v3, v2, v10
	v_ashrrev_i32_e32 v3, 5, v3
	v_cmp_gt_i32_e32 vcc, s33, v2
	v_cndmask_b32_e32 v2, v11, v3, vcc
	v_ashrrev_i32_e32 v3, 31, v2
	v_lshlrev_b64 v[2:3], 2, v[2:3]
	v_mov_b32_e32 v7, s21
	v_add_co_u32_e32 v6, vcc, s11, v2
	v_or_b32_e32 v2, 32, v1
	v_addc_co_u32_e32 v7, vcc, v7, v3, vcc
	v_add_u32_e32 v3, v2, v10
	v_ashrrev_i32_e32 v3, 5, v3
	v_cmp_gt_i32_e32 vcc, s33, v2
	v_cndmask_b32_e32 v2, v11, v3, vcc
	v_ashrrev_i32_e32 v3, 31, v2
	;; [unrolled: 10-line block ×3, first 2 shown]
	v_lshlrev_b64 v[2:3], 2, v[2:3]
	v_mov_b32_e32 v1, s21
	v_add_co_u32_e32 v12, vcc, s11, v2
	v_addc_co_u32_e32 v13, vcc, v1, v3, vcc
	global_load_dword v2, v[4:5], off
	global_load_dword v10, v[6:7], off
	;; [unrolled: 1-line block ×4, first 2 shown]
	s_load_dwordx4 s[12:15], s[4:5], 0x8
	s_andn2_b64 vcc, exec, s[16:17]
	s_cbranch_vccnz .LBB661_8
; %bb.6:
	s_add_u32 s6, s6, s18
	s_addc_u32 s7, s7, s19
	s_load_dword s17, s[6:7], 0x0
	s_branch .LBB661_9
.LBB661_7:
	s_mov_b64 s[14:15], 0
	s_branch .LBB661_2
.LBB661_8:
	s_mov_b32 s17, s8
.LBB661_9:
	s_load_dwordx2 s[48:49], s[4:5], 0x68
	s_load_dwordx8 s[40:47], s[4:5], 0x48
	v_and_b32_e32 v51, 15, v0
	v_lshlrev_b32_e32 v3, 3, v51
	s_movk_i32 s16, 0x80
	v_lshrrev_b32_e32 v60, 6, v0
	v_bfe_u32 v1, v0, 4, 2
	s_lshl_b32 s25, s10, 3
	v_cmp_gt_u32_e32 vcc, s16, v0
	v_lshlrev_b32_e32 v50, 1, v3
	v_lshlrev_b32_e32 v52, 4, v0
	s_and_saveexec_b64 s[6:7], vcc
	s_cbranch_execz .LBB661_11
; %bb.10:
	s_load_dwordx2 s[18:19], s[4:5], 0x0
	s_waitcnt lgkmcnt(0)
	s_ashr_i32 s23, s40, 31
	s_mul_hi_u32 s26, s17, s40
	s_mul_i32 s23, s17, s23
	v_lshl_or_b32 v3, v60, 2, v1
	s_add_i32 s27, s26, s23
	s_mul_i32 s26, s17, s40
	s_lshl_b64 s[26:27], s[26:27], 1
	v_add_lshl_u32 v4, v3, s25, 7
	s_add_u32 s17, s18, s26
	v_ashrrev_i32_e32 v5, 31, v4
	s_addc_u32 s18, s19, s27
	v_lshlrev_b64 v[4:5], 1, v[4:5]
	v_mov_b32_e32 v6, s18
	v_add_co_u32_e32 v4, vcc, s17, v4
	v_addc_co_u32_e32 v5, vcc, v6, v5, vcc
	v_add_co_u32_e32 v4, vcc, v4, v50
	v_addc_co_u32_e32 v5, vcc, 0, v5, vcc
	global_load_dwordx4 v[4:7], v[4:5], off
	v_lshlrev_b32_e32 v9, 8, v0
	v_lshlrev_b32_e32 v8, 8, v51
	v_and_b32_e32 v9, 0x600, v9
	s_movk_i32 s17, 0x800
	v_and_or_b32 v8, v8, s17, v9
	v_lshlrev_b32_e32 v3, 5, v3
	v_and_b32_e32 v9, 16, v52
	v_or3_b32 v3, v8, v3, v9
	s_waitcnt vmcnt(0)
	ds_write_b128 v3, v[4:7]
.LBB661_11:
	s_or_b64 exec, exec, s[6:7]
	s_waitcnt lgkmcnt(0)
	s_mul_i32 s10, s10, s42
	s_add_u32 s6, s12, s10
	s_addc_u32 s7, s13, 0
	v_and_b32_e32 v3, 48, v0
	s_ashr_i32 s12, s20, 31
	v_or_b32_e32 v11, s20, v3
	s_lshr_b32 s12, s12, 27
	v_add_u32_e32 v4, s12, v11
	v_ashrrev_i32_e32 v4, 5, v4
	v_mov_b32_e32 v12, s22
	v_cmp_gt_i32_e32 vcc, s33, v11
	v_cndmask_b32_e32 v4, v12, v4, vcc
	v_ashrrev_i32_e32 v5, 31, v4
	v_lshlrev_b64 v[4:5], 2, v[4:5]
	v_mov_b32_e32 v6, s21
	v_add_co_u32_e32 v4, vcc, s11, v4
	v_addc_co_u32_e32 v5, vcc, v6, v5, vcc
	v_or_b32_e32 v6, 64, v11
	v_add_u32_e32 v7, s12, v6
	v_ashrrev_i32_e32 v7, 5, v7
	v_cmp_gt_i32_e32 vcc, s33, v6
	v_cndmask_b32_e32 v6, v12, v7, vcc
	v_ashrrev_i32_e32 v7, 31, v6
	v_lshlrev_b64 v[6:7], 2, v[6:7]
	v_mov_b32_e32 v8, s21
	v_add_co_u32_e32 v6, vcc, s11, v6
	v_addc_co_u32_e32 v7, vcc, v8, v7, vcc
	v_or_b32_e32 v8, 0x80, v11
	v_add_u32_e32 v9, s12, v8
	v_ashrrev_i32_e32 v9, 5, v9
	v_cmp_gt_i32_e32 vcc, s33, v8
	v_cndmask_b32_e32 v8, v12, v9, vcc
	v_ashrrev_i32_e32 v9, 31, v8
	v_lshlrev_b64 v[8:9], 2, v[8:9]
	v_mov_b32_e32 v13, s21
	v_add_co_u32_e32 v8, vcc, s11, v8
	s_load_dwordx2 s[50:51], s[4:5], 0x94
	s_waitcnt lgkmcnt(0)
	s_barrier
	v_addc_co_u32_e32 v9, vcc, v13, v9, vcc
	global_load_dword v53, v[4:5], off
	global_load_dword v58, v[6:7], off
	global_load_dword v59, v[8:9], off
	v_or_b32_e32 v4, 0xc0, v11
	v_add_u32_e32 v5, s12, v4
	v_ashrrev_i32_e32 v5, 5, v5
	v_cmp_gt_i32_e32 vcc, s33, v4
	v_cndmask_b32_e32 v4, v12, v5, vcc
	v_ashrrev_i32_e32 v5, 31, v4
	v_lshlrev_b64 v[4:5], 2, v[4:5]
	v_mov_b32_e32 v6, s21
	v_add_co_u32_e32 v4, vcc, s11, v4
	v_addc_co_u32_e32 v5, vcc, v6, v5, vcc
	global_load_dword v62, v[4:5], off
	v_pk_mov_b32 v[24:25], s[6:7], s[6:7] op_sel:[0,1]
	v_lshlrev_b32_e32 v28, 5, v3
	s_waitcnt vmcnt(7)
	v_mad_i64_i32 v[2:3], s[6:7], v2, s41, v[24:25]
	v_lshlrev_b32_e32 v23, 4, v51
	v_add_co_u32_e32 v2, vcc, v2, v23
	v_addc_co_u32_e32 v3, vcc, 0, v3, vcc
	v_add_co_u32_e32 v12, vcc, v2, v28
	v_addc_co_u32_e32 v13, vcc, 0, v3, vcc
	s_waitcnt vmcnt(6)
	v_mad_i64_i32 v[10:11], s[6:7], v10, s41, v[24:25]
	v_or_b32_e32 v29, 0x100, v23
	v_add_co_u32_e32 v10, vcc, v10, v29
	v_addc_co_u32_e32 v11, vcc, 0, v11, vcc
	v_add_co_u32_e32 v20, vcc, v10, v28
	v_addc_co_u32_e32 v21, vcc, 0, v11, vcc
	s_waitcnt vmcnt(5)
	v_mad_i64_i32 v[18:19], s[6:7], v18, s41, v[24:25]
	v_add_co_u32_e32 v18, vcc, v18, v23
	v_addc_co_u32_e32 v19, vcc, 0, v19, vcc
	v_add_co_u32_e32 v26, vcc, v18, v28
	v_addc_co_u32_e32 v27, vcc, 0, v19, vcc
	s_waitcnt vmcnt(4)
	v_mad_i64_i32 v[22:23], s[6:7], v22, s41, v[24:25]
	v_add_co_u32_e32 v22, vcc, v22, v29
	v_addc_co_u32_e32 v23, vcc, 0, v23, vcc
	v_add_co_u32_e32 v30, vcc, v22, v28
	v_addc_co_u32_e32 v31, vcc, 0, v23, vcc
	s_add_u32 s6, s14, s10
	global_load_dwordx4 v[6:9], v[12:13], off
	global_load_dwordx4 v[2:5], v[12:13], off offset:2048
	s_nop 0
	global_load_dwordx4 v[10:13], v[20:21], off
	global_load_dwordx4 v[14:17], v[20:21], off offset:2048
	global_load_dwordx4 v[34:37], v[26:27], off
	s_nop 0
	global_load_dwordx4 v[18:21], v[26:27], off offset:2048
	s_nop 0
	global_load_dwordx4 v[26:29], v[30:31], off
	global_load_dwordx4 v[22:25], v[30:31], off offset:2048
	s_addc_u32 s7, s15, 0
	v_and_b32_e32 v30, 16, v0
	v_mov_b32_e32 v31, s7
	v_add_co_u32_e32 v54, vcc, s6, v30
	v_lshl_or_b32 v61, v60, 4, v51
	v_addc_co_u32_e32 v55, vcc, 0, v31, vcc
	v_lshlrev_b32_e32 v56, 5, v61
	v_add_co_u32_e32 v42, vcc, v54, v56
	v_addc_co_u32_e32 v43, vcc, 0, v55, vcc
	v_or_b32_e32 v56, 0x800, v56
	v_add_co_u32_e32 v54, vcc, v54, v56
	s_waitcnt vmcnt(11)
	v_mad_i64_i32 v[30:31], s[6:7], v53, s41, v[42:43]
	s_waitcnt vmcnt(10)
	v_mad_i64_i32 v[38:39], s[6:7], v58, s41, v[42:43]
	;; [unrolled: 2-line block ×3, first 2 shown]
	global_load_dwordx4 v[30:33], v[30:31], off
	v_addc_co_u32_e32 v55, vcc, 0, v55, vcc
	global_load_dwordx4 v[38:41], v[38:39], off
	v_mad_i64_i32 v[56:57], s[6:7], v53, s41, v[54:55]
	s_mov_b32 s12, 0
	s_movk_i32 s13, 0x7f
	s_waitcnt vmcnt(10)
	v_mad_i64_i32 v[42:43], s[6:7], v62, s41, v[42:43]
	global_load_dwordx4 v[46:49], v[44:45], off
	s_nop 0
	global_load_dwordx4 v[42:45], v[42:43], off
	s_mov_b32 s14, 0xffffff
	global_load_dwordx4 v[64:67], v[56:57], off
	v_mad_i64_i32 v[56:57], s[6:7], v58, s41, v[54:55]
	global_load_dwordx4 v[68:71], v[56:57], off
	v_mad_i64_i32 v[56:57], s[6:7], v59, s41, v[54:55]
	v_mad_i64_i32 v[54:55], s[6:7], v62, s41, v[54:55]
	global_load_dwordx4 v[72:75], v[56:57], off
	global_load_dwordx4 v[76:79], v[54:55], off
	s_waitcnt vmcnt(15)
	buffer_store_dword v9, off, s[0:3], 0 offset:12
	buffer_store_dword v8, off, s[0:3], 0 offset:8
	buffer_store_dword v7, off, s[0:3], 0 offset:4
	buffer_store_dword v6, off, s[0:3], 0
	s_waitcnt vmcnt(18)
	buffer_store_dword v5, off, s[0:3], 0 offset:28
	buffer_store_dword v4, off, s[0:3], 0 offset:24
	;; [unrolled: 1-line block ×4, first 2 shown]
	s_waitcnt vmcnt(21)
	buffer_store_dword v13, off, s[0:3], 0 offset:44
	buffer_store_dword v12, off, s[0:3], 0 offset:40
	;; [unrolled: 1-line block ×4, first 2 shown]
	s_load_dword s6, s[4:5], 0x1c
	s_load_dwordx4 s[40:43], s[4:5], 0x80
	v_mov_b32_e32 v2, 0x80
	v_add_u32_e32 v53, 16, v2
	v_add_u32_e32 v59, 32, v2
	v_add_u32_e32 v54, 48, v2
	v_add_u32_e32 v58, 64, v2
	v_add_u32_e32 v55, 0x50, v2
	v_add_u32_e32 v57, 0x60, v2
	v_add_u32_e32 v56, 0x70, v2
	v_and_b32_e32 v2, 7, v0
	v_lshlrev_b32_e32 v2, 5, v2
	s_waitcnt vmcnt(24)
	buffer_store_dword v17, off, s[0:3], 0 offset:60
	buffer_store_dword v16, off, s[0:3], 0 offset:56
	;; [unrolled: 1-line block ×4, first 2 shown]
	s_waitcnt vmcnt(27)
	buffer_store_dword v37, off, s[0:3], 0 offset:76
	buffer_store_dword v36, off, s[0:3], 0 offset:72
	;; [unrolled: 1-line block ×4, first 2 shown]
	v_lshl_or_b32 v14, v1, 9, v2
	ds_read_b128 v[2:5], v14
	ds_read_b128 v[6:9], v14 offset:16
	ds_read_b128 v[10:13], v14 offset:2048
	;; [unrolled: 1-line block ×3, first 2 shown]
	s_waitcnt vmcnt(30)
	buffer_store_dword v21, off, s[0:3], 0 offset:92
	buffer_store_dword v20, off, s[0:3], 0 offset:88
	buffer_store_dword v19, off, s[0:3], 0 offset:84
	buffer_store_dword v18, off, s[0:3], 0 offset:80
	s_waitcnt vmcnt(33)
	buffer_store_dword v29, off, s[0:3], 0 offset:108
	buffer_store_dword v28, off, s[0:3], 0 offset:104
	buffer_store_dword v27, off, s[0:3], 0 offset:100
	buffer_store_dword v26, off, s[0:3], 0 offset:96
	;; [unrolled: 5-line block ×10, first 2 shown]
	s_waitcnt vmcnt(60)
	buffer_store_dword v79, off, s[0:3], 0 offset:252
	s_waitcnt lgkmcnt(0)
	s_load_dword s4, s[40:41], 0x0
	v_mov_b32_e32 v18, s6
	v_and_b32_e32 v62, 63, v0
	v_mov_b32_e32 v27, 0
	v_mov_b32_e32 v29, 0
	s_waitcnt lgkmcnt(0)
	v_mul_f32_e32 v22, s4, v18
	v_mov_b32_e32 v24, v22
	v_mov_b32_e32 v25, v22
	v_mov_b32_e32 v31, 0x100
	v_bfrev_b32_e32 v33, 60
	buffer_store_dword v78, off, s[0:3], 0 offset:248
	buffer_store_dword v77, off, s[0:3], 0 offset:244
	;; [unrolled: 1-line block ×3, first 2 shown]
	s_branch .LBB661_15
.LBB661_12:                             ;   in Loop: Header=BB661_15 Depth=1
	s_or_b64 exec, exec, s[10:11]
.LBB661_13:                             ;   in Loop: Header=BB661_15 Depth=1
	s_or_b64 exec, exec, s[6:7]
.LBB661_14:                             ;   in Loop: Header=BB661_15 Depth=1
	s_or_b64 exec, exec, s[4:5]
	v_cvt_pkrtz_f16_f32 v40, v34, v32
	v_cvt_pkrtz_f16_f32 v41, v23, v36
	;; [unrolled: 1-line block ×4, first 2 shown]
	v_add_u32_e32 v26, s12, v31
	v_mfma_f32_16x16x16f16 v[18:21], v[40:41], v[14:15], v[18:21]
	s_add_i32 s12, s12, 16
	v_mov_b32_e32 v23, v22
	s_cmp_eq_u32 s12, 64
	v_add_u32_e32 v27, 32, v27
	v_mfma_f32_16x16x16f16 v[18:21], v[34:35], v[16:17], v[18:21]
	s_nop 7
	s_nop 2
	v_pk_mul_f32 v[18:19], v[24:25], v[18:19]
	v_pk_mul_f32 v[20:21], v[22:23], v[20:21]
	buffer_store_dword v19, v26, s[0:3], 0 offen offset:4
	buffer_store_dword v18, v26, s[0:3], 0 offen
	buffer_store_dword v21, v26, s[0:3], 0 offen offset:12
	buffer_store_dword v20, v26, s[0:3], 0 offen offset:8
	s_cbranch_scc1 .LBB661_205
.LBB661_15:                             ; =>This Inner Loop Header: Depth=1
	buffer_load_dword v20, v27, s[0:3], 0 offen
	buffer_load_dword v18, v27, s[0:3], 0 offen offset:4
	buffer_load_dword v28, v27, s[0:3], 0 offen offset:8
	;; [unrolled: 1-line block ×3, first 2 shown]
	v_mov_b32_e32 v19, 0
	s_waitcnt vmcnt(3)
	v_cmp_ne_u16_sdwa s[6:7], v20, v29 src0_sel:BYTE_0 src1_sel:DWORD
	s_and_saveexec_b64 s[4:5], s[6:7]
	s_cbranch_execz .LBB661_21
; %bb.16:                               ;   in Loop: Header=BB661_15 Depth=1
	v_cmp_ne_u16_sdwa s[10:11], v20, s16 src0_sel:BYTE_0 src1_sel:DWORD
	v_bfrev_b32_e32 v19, 1
	s_and_saveexec_b64 s[6:7], s[10:11]
	s_cbranch_execz .LBB661_20
; %bb.17:                               ;   in Loop: Header=BB661_15 Depth=1
	v_and_b32_e32 v21, 0x7f, v20
	v_cmp_ne_u32_e32 vcc, s13, v21
	v_mov_b32_e32 v19, 0x7f800001
	s_and_saveexec_b64 s[10:11], vcc
	s_cbranch_execz .LBB661_19
; %bb.18:                               ;   in Loop: Header=BB661_15 Depth=1
	v_and_b32_e32 v19, 7, v20
	v_ffbh_u32_e32 v30, v19
	v_min_u32_e32 v30, 32, v30
	v_subrev_u32_e32 v32, 28, v30
	v_lshlrev_b64 v[34:35], v32, v[20:21]
	v_lshrrev_b32_e32 v23, 3, v21
	v_sub_u32_e32 v30, 29, v30
	v_and_b32_e32 v32, 7, v34
	v_cmp_gt_u32_e32 vcc, 8, v21
	v_cndmask_b32_e32 v21, v23, v30, vcc
	v_cndmask_b32_e32 v19, v19, v32, vcc
	v_lshlrev_b32_e32 v23, 24, v20
	v_lshlrev_b32_e32 v19, 20, v19
	v_and_b32_e32 v23, 0x80000000, v23
	v_lshl_add_u32 v21, v21, 23, v33
	v_or3_b32 v19, v23, v21, v19
.LBB661_19:                             ;   in Loop: Header=BB661_15 Depth=1
	s_or_b64 exec, exec, s[10:11]
.LBB661_20:                             ;   in Loop: Header=BB661_15 Depth=1
	s_or_b64 exec, exec, s[6:7]
.LBB661_21:                             ;   in Loop: Header=BB661_15 Depth=1
	s_or_b64 exec, exec, s[4:5]
	v_lshrrev_b16_e32 v30, 8, v20
	v_cmp_ne_u16_e32 vcc, 0, v30
	v_mov_b32_e32 v21, 0
	v_mov_b32_e32 v23, 0
	s_and_saveexec_b64 s[4:5], vcc
	s_cbranch_execz .LBB661_27
; %bb.22:                               ;   in Loop: Header=BB661_15 Depth=1
	v_cmp_ne_u16_e32 vcc, s16, v30
	v_bfrev_b32_e32 v23, 1
	s_and_saveexec_b64 s[6:7], vcc
	s_cbranch_execz .LBB661_26
; %bb.23:                               ;   in Loop: Header=BB661_15 Depth=1
	v_and_b32_e32 v32, 0x7f, v30
	v_cmp_ne_u32_e32 vcc, s13, v32
	v_mov_b32_e32 v23, 0x7f800001
	s_and_saveexec_b64 s[10:11], vcc
	s_cbranch_execz .LBB661_25
; %bb.24:                               ;   in Loop: Header=BB661_15 Depth=1
	v_and_b32_e32 v23, 7, v30
	v_ffbh_u32_e32 v34, v23
	v_min_u32_e32 v37, 32, v34
	v_subrev_u32_e32 v34, 28, v37
	v_lshlrev_b64 v[34:35], v34, v[30:31]
	v_lshrrev_b32_e32 v36, 3, v32
	v_sub_u32_e32 v30, 29, v37
	v_and_b32_e32 v34, 7, v34
	v_cmp_gt_u32_e32 vcc, 8, v32
	v_cndmask_b32_e32 v30, v36, v30, vcc
	v_cndmask_b32_e32 v23, v23, v34, vcc
	v_lshlrev_b32_e32 v32, 16, v20
	v_lshlrev_b32_e32 v23, 20, v23
	v_and_b32_e32 v32, 0x80000000, v32
	v_lshl_add_u32 v30, v30, 23, v33
	v_or3_b32 v23, v32, v30, v23
.LBB661_25:                             ;   in Loop: Header=BB661_15 Depth=1
	s_or_b64 exec, exec, s[10:11]
.LBB661_26:                             ;   in Loop: Header=BB661_15 Depth=1
	s_or_b64 exec, exec, s[6:7]
.LBB661_27:                             ;   in Loop: Header=BB661_15 Depth=1
	s_or_b64 exec, exec, s[4:5]
	v_lshrrev_b32_e32 v30, 16, v20
	v_cmp_ne_u16_sdwa s[6:7], v30, v29 src0_sel:BYTE_0 src1_sel:DWORD
	s_and_saveexec_b64 s[4:5], s[6:7]
	s_cbranch_execz .LBB661_33
; %bb.28:                               ;   in Loop: Header=BB661_15 Depth=1
	v_cmp_ne_u16_sdwa s[10:11], v30, s16 src0_sel:BYTE_0 src1_sel:DWORD
	v_bfrev_b32_e32 v21, 1
	s_and_saveexec_b64 s[6:7], s[10:11]
	s_cbranch_execz .LBB661_32
; %bb.29:                               ;   in Loop: Header=BB661_15 Depth=1
	v_bfe_u32 v32, v20, 16, 7
	v_cmp_ne_u32_e32 vcc, s13, v32
	v_mov_b32_e32 v21, 0x7f800001
	s_and_saveexec_b64 s[10:11], vcc
	s_cbranch_execz .LBB661_31
; %bb.30:                               ;   in Loop: Header=BB661_15 Depth=1
	v_and_b32_e32 v21, 7, v30
	v_ffbh_u32_e32 v34, v21
	v_min_u32_e32 v37, 32, v34
	v_subrev_u32_e32 v34, 28, v37
	v_lshlrev_b64 v[34:35], v34, v[30:31]
	v_lshrrev_b32_e32 v36, 3, v32
	v_sub_u32_e32 v35, 29, v37
	v_and_b32_e32 v34, 7, v34
	v_cmp_gt_u32_e32 vcc, 8, v32
	v_cndmask_b32_e32 v32, v36, v35, vcc
	v_cndmask_b32_e32 v21, v21, v34, vcc
	v_lshlrev_b32_e32 v30, 24, v30
	v_lshlrev_b32_e32 v21, 20, v21
	v_and_b32_e32 v30, 0x80000000, v30
	v_lshl_add_u32 v32, v32, 23, v33
	v_or3_b32 v21, v30, v32, v21
.LBB661_31:                             ;   in Loop: Header=BB661_15 Depth=1
	s_or_b64 exec, exec, s[10:11]
.LBB661_32:                             ;   in Loop: Header=BB661_15 Depth=1
	s_or_b64 exec, exec, s[6:7]
.LBB661_33:                             ;   in Loop: Header=BB661_15 Depth=1
	s_or_b64 exec, exec, s[4:5]
	v_cmp_lt_u32_e32 vcc, s14, v20
	v_mov_b32_e32 v34, 0
	v_mov_b32_e32 v35, 0
	s_and_saveexec_b64 s[4:5], vcc
	s_cbranch_execz .LBB661_39
; %bb.34:                               ;   in Loop: Header=BB661_15 Depth=1
	v_lshrrev_b32_e32 v30, 24, v20
	v_cmp_ne_u32_e32 vcc, s16, v30
	v_bfrev_b32_e32 v35, 1
	s_and_saveexec_b64 s[6:7], vcc
	s_cbranch_execz .LBB661_38
; %bb.35:                               ;   in Loop: Header=BB661_15 Depth=1
	v_bfe_u32 v20, v20, 24, 7
	v_cmp_ne_u32_e32 vcc, s13, v20
	v_mov_b32_e32 v35, 0x7f800001
	s_and_saveexec_b64 s[10:11], vcc
	s_cbranch_execz .LBB661_37
; %bb.36:                               ;   in Loop: Header=BB661_15 Depth=1
	v_and_b32_e32 v32, 7, v30
	v_ffbh_u32_e32 v36, v32
	v_min_u32_e32 v38, 32, v36
	v_subrev_u32_e32 v36, 28, v38
	v_lshlrev_b64 v[36:37], v36, v[30:31]
	v_lshrrev_b32_e32 v35, 3, v20
	v_sub_u32_e32 v37, 29, v38
	v_and_b32_e32 v36, 7, v36
	v_cmp_gt_u32_e32 vcc, 8, v20
	v_cndmask_b32_e32 v20, v35, v37, vcc
	v_cndmask_b32_e32 v32, v32, v36, vcc
	v_lshlrev_b32_e32 v30, 24, v30
	v_lshlrev_b32_e32 v32, 20, v32
	v_and_b32_e32 v30, 0x80000000, v30
	v_lshl_add_u32 v20, v20, 23, v33
	v_or3_b32 v35, v30, v20, v32
.LBB661_37:                             ;   in Loop: Header=BB661_15 Depth=1
	s_or_b64 exec, exec, s[10:11]
.LBB661_38:                             ;   in Loop: Header=BB661_15 Depth=1
	s_or_b64 exec, exec, s[6:7]
.LBB661_39:                             ;   in Loop: Header=BB661_15 Depth=1
	s_or_b64 exec, exec, s[4:5]
	s_waitcnt vmcnt(2)
	v_cmp_ne_u16_sdwa s[6:7], v18, v29 src0_sel:BYTE_0 src1_sel:DWORD
	s_and_saveexec_b64 s[4:5], s[6:7]
	s_cbranch_execz .LBB661_45
; %bb.40:                               ;   in Loop: Header=BB661_15 Depth=1
	v_cmp_ne_u16_sdwa s[10:11], v18, s16 src0_sel:BYTE_0 src1_sel:DWORD
	v_bfrev_b32_e32 v34, 1
	s_and_saveexec_b64 s[6:7], s[10:11]
	s_cbranch_execz .LBB661_44
; %bb.41:                               ;   in Loop: Header=BB661_15 Depth=1
	v_and_b32_e32 v20, 0x7f, v18
	v_cmp_ne_u32_e32 vcc, s13, v20
	v_mov_b32_e32 v34, 0x7f800001
	s_and_saveexec_b64 s[10:11], vcc
	s_cbranch_execz .LBB661_43
; %bb.42:                               ;   in Loop: Header=BB661_15 Depth=1
	v_and_b32_e32 v30, 7, v18
	v_ffbh_u32_e32 v34, v30
	v_min_u32_e32 v34, 32, v34
	v_subrev_u32_e32 v36, 28, v34
	v_lshlrev_b64 v[36:37], v36, v[18:19]
	v_lshrrev_b32_e32 v32, 3, v20
	v_sub_u32_e32 v34, 29, v34
	v_and_b32_e32 v36, 7, v36
	v_cmp_gt_u32_e32 vcc, 8, v20
	v_cndmask_b32_e32 v20, v32, v34, vcc
	v_cndmask_b32_e32 v30, v30, v36, vcc
	v_lshlrev_b32_e32 v32, 24, v18
	v_lshlrev_b32_e32 v30, 20, v30
	v_and_b32_e32 v32, 0x80000000, v32
	v_lshl_add_u32 v20, v20, 23, v33
	v_or3_b32 v34, v32, v20, v30
.LBB661_43:                             ;   in Loop: Header=BB661_15 Depth=1
	s_or_b64 exec, exec, s[10:11]
.LBB661_44:                             ;   in Loop: Header=BB661_15 Depth=1
	s_or_b64 exec, exec, s[6:7]
.LBB661_45:                             ;   in Loop: Header=BB661_15 Depth=1
	s_or_b64 exec, exec, s[4:5]
	v_lshrrev_b16_e32 v20, 8, v18
	v_cmp_ne_u16_e32 vcc, 0, v20
	v_mov_b32_e32 v30, 0
	v_mov_b32_e32 v36, 0
	s_and_saveexec_b64 s[4:5], vcc
	s_cbranch_execz .LBB661_51
; %bb.46:                               ;   in Loop: Header=BB661_15 Depth=1
	v_cmp_ne_u16_e32 vcc, s16, v20
	v_bfrev_b32_e32 v36, 1
	s_and_saveexec_b64 s[6:7], vcc
	s_cbranch_execz .LBB661_50
; %bb.47:                               ;   in Loop: Header=BB661_15 Depth=1
	v_and_b32_e32 v32, 0x7f, v20
	v_cmp_ne_u32_e32 vcc, s13, v32
	v_mov_b32_e32 v36, 0x7f800001
	s_and_saveexec_b64 s[10:11], vcc
	s_cbranch_execz .LBB661_49
; %bb.48:                               ;   in Loop: Header=BB661_15 Depth=1
	v_and_b32_e32 v38, 7, v20
	v_ffbh_u32_e32 v36, v38
	v_min_u32_e32 v40, 32, v36
	v_subrev_u32_e32 v36, 28, v40
	v_lshlrev_b64 v[36:37], v36, v[20:21]
	v_lshrrev_b32_e32 v39, 3, v32
	v_sub_u32_e32 v20, 29, v40
	v_and_b32_e32 v36, 7, v36
	v_cmp_gt_u32_e32 vcc, 8, v32
	v_cndmask_b32_e32 v20, v39, v20, vcc
	v_cndmask_b32_e32 v32, v38, v36, vcc
	v_lshlrev_b32_e32 v36, 16, v18
	v_lshlrev_b32_e32 v32, 20, v32
	v_and_b32_e32 v36, 0x80000000, v36
	v_lshl_add_u32 v20, v20, 23, v33
	v_or3_b32 v36, v36, v20, v32
.LBB661_49:                             ;   in Loop: Header=BB661_15 Depth=1
	s_or_b64 exec, exec, s[10:11]
.LBB661_50:                             ;   in Loop: Header=BB661_15 Depth=1
	s_or_b64 exec, exec, s[6:7]
.LBB661_51:                             ;   in Loop: Header=BB661_15 Depth=1
	s_or_b64 exec, exec, s[4:5]
	v_lshrrev_b32_e32 v20, 16, v18
	v_cmp_ne_u16_sdwa s[6:7], v20, v29 src0_sel:BYTE_0 src1_sel:DWORD
	s_and_saveexec_b64 s[4:5], s[6:7]
	s_cbranch_execz .LBB661_57
; %bb.52:                               ;   in Loop: Header=BB661_15 Depth=1
	v_cmp_ne_u16_sdwa s[10:11], v20, s16 src0_sel:BYTE_0 src1_sel:DWORD
	v_bfrev_b32_e32 v30, 1
	s_and_saveexec_b64 s[6:7], s[10:11]
	s_cbranch_execz .LBB661_56
; %bb.53:                               ;   in Loop: Header=BB661_15 Depth=1
	v_bfe_u32 v32, v18, 16, 7
	v_cmp_ne_u32_e32 vcc, s13, v32
	v_mov_b32_e32 v30, 0x7f800001
	s_and_saveexec_b64 s[10:11], vcc
	s_cbranch_execz .LBB661_55
; %bb.54:                               ;   in Loop: Header=BB661_15 Depth=1
	v_and_b32_e32 v30, 7, v20
	v_ffbh_u32_e32 v38, v30
	v_min_u32_e32 v40, 32, v38
	v_subrev_u32_e32 v38, 28, v40
	v_lshlrev_b64 v[38:39], v38, v[20:21]
	v_lshrrev_b32_e32 v37, 3, v32
	v_sub_u32_e32 v39, 29, v40
	v_and_b32_e32 v38, 7, v38
	v_cmp_gt_u32_e32 vcc, 8, v32
	v_cndmask_b32_e32 v32, v37, v39, vcc
	v_cndmask_b32_e32 v30, v30, v38, vcc
	v_lshlrev_b32_e32 v20, 24, v20
	v_lshlrev_b32_e32 v30, 20, v30
	v_and_b32_e32 v20, 0x80000000, v20
	v_lshl_add_u32 v32, v32, 23, v33
	v_or3_b32 v30, v20, v32, v30
.LBB661_55:                             ;   in Loop: Header=BB661_15 Depth=1
	s_or_b64 exec, exec, s[10:11]
.LBB661_56:                             ;   in Loop: Header=BB661_15 Depth=1
	s_or_b64 exec, exec, s[6:7]
.LBB661_57:                             ;   in Loop: Header=BB661_15 Depth=1
	s_or_b64 exec, exec, s[4:5]
	v_cmp_lt_u32_e32 vcc, s14, v18
	v_mov_b32_e32 v32, 0
	v_mov_b32_e32 v37, 0
	s_and_saveexec_b64 s[4:5], vcc
	s_cbranch_execz .LBB661_63
; %bb.58:                               ;   in Loop: Header=BB661_15 Depth=1
	v_lshrrev_b32_e32 v20, 24, v18
	v_cmp_ne_u32_e32 vcc, s16, v20
	v_bfrev_b32_e32 v37, 1
	s_and_saveexec_b64 s[6:7], vcc
	s_cbranch_execz .LBB661_62
; %bb.59:                               ;   in Loop: Header=BB661_15 Depth=1
	v_bfe_u32 v18, v18, 24, 7
	v_cmp_ne_u32_e32 vcc, s13, v18
	v_mov_b32_e32 v37, 0x7f800001
	s_and_saveexec_b64 s[10:11], vcc
	s_cbranch_execz .LBB661_61
; %bb.60:                               ;   in Loop: Header=BB661_15 Depth=1
	v_and_b32_e32 v37, 7, v20
	v_ffbh_u32_e32 v38, v37
	v_min_u32_e32 v41, 32, v38
	v_subrev_u32_e32 v38, 28, v41
	v_lshlrev_b64 v[38:39], v38, v[20:21]
	v_lshrrev_b32_e32 v40, 3, v18
	v_sub_u32_e32 v39, 29, v41
	v_and_b32_e32 v38, 7, v38
	v_cmp_gt_u32_e32 vcc, 8, v18
	v_cndmask_b32_e32 v18, v40, v39, vcc
	v_cndmask_b32_e32 v37, v37, v38, vcc
	v_lshlrev_b32_e32 v20, 24, v20
	v_lshlrev_b32_e32 v37, 20, v37
	v_and_b32_e32 v20, 0x80000000, v20
	v_lshl_add_u32 v18, v18, 23, v33
	v_or3_b32 v37, v20, v18, v37
.LBB661_61:                             ;   in Loop: Header=BB661_15 Depth=1
	s_or_b64 exec, exec, s[10:11]
.LBB661_62:                             ;   in Loop: Header=BB661_15 Depth=1
	s_or_b64 exec, exec, s[6:7]
.LBB661_63:                             ;   in Loop: Header=BB661_15 Depth=1
	s_or_b64 exec, exec, s[4:5]
	v_cvt_pkrtz_f16_f32 v18, v19, v23
	v_cvt_pkrtz_f16_f32 v19, v21, v35
	;; [unrolled: 1-line block ×4, first 2 shown]
	s_waitcnt vmcnt(1)
	v_cmp_ne_u16_sdwa s[6:7], v28, v29 src0_sel:BYTE_0 src1_sel:DWORD
	v_mfma_f32_16x16x16f16 v[18:21], v[18:19], v[2:3], 0
	v_mfma_f32_16x16x16f16 v[18:21], v[34:35], v[4:5], v[18:21]
	s_and_saveexec_b64 s[4:5], s[6:7]
	s_cbranch_execz .LBB661_69
; %bb.64:                               ;   in Loop: Header=BB661_15 Depth=1
	v_cmp_ne_u16_sdwa s[10:11], v28, s16 src0_sel:BYTE_0 src1_sel:DWORD
	v_bfrev_b32_e32 v32, 1
	s_and_saveexec_b64 s[6:7], s[10:11]
	s_cbranch_execz .LBB661_68
; %bb.65:                               ;   in Loop: Header=BB661_15 Depth=1
	v_and_b32_e32 v23, 0x7f, v28
	v_cmp_ne_u32_e32 vcc, s13, v23
	v_mov_b32_e32 v32, 0x7f800001
	s_and_saveexec_b64 s[10:11], vcc
	s_cbranch_execz .LBB661_67
; %bb.66:                               ;   in Loop: Header=BB661_15 Depth=1
	v_and_b32_e32 v30, 7, v28
	v_ffbh_u32_e32 v34, v30
	v_min_u32_e32 v36, 32, v34
	v_subrev_u32_e32 v34, 28, v36
	v_lshlrev_b64 v[34:35], v34, v[28:29]
	v_lshrrev_b32_e32 v32, 3, v23
	v_sub_u32_e32 v35, 29, v36
	v_and_b32_e32 v34, 7, v34
	v_cmp_gt_u32_e32 vcc, 8, v23
	v_cndmask_b32_e32 v23, v32, v35, vcc
	v_cndmask_b32_e32 v30, v30, v34, vcc
	v_lshlrev_b32_e32 v32, 24, v28
	v_lshlrev_b32_e32 v30, 20, v30
	v_and_b32_e32 v32, 0x80000000, v32
	v_lshl_add_u32 v23, v23, 23, v33
	v_or3_b32 v32, v32, v23, v30
.LBB661_67:                             ;   in Loop: Header=BB661_15 Depth=1
	s_or_b64 exec, exec, s[10:11]
.LBB661_68:                             ;   in Loop: Header=BB661_15 Depth=1
	s_or_b64 exec, exec, s[6:7]
.LBB661_69:                             ;   in Loop: Header=BB661_15 Depth=1
	s_or_b64 exec, exec, s[4:5]
	v_lshrrev_b16_e32 v30, 8, v28
	v_cmp_ne_u16_e32 vcc, 0, v30
	v_mov_b32_e32 v34, 0
	v_mov_b32_e32 v35, 0
	s_and_saveexec_b64 s[4:5], vcc
	s_cbranch_execz .LBB661_75
; %bb.70:                               ;   in Loop: Header=BB661_15 Depth=1
	v_cmp_ne_u16_e32 vcc, s16, v30
	v_bfrev_b32_e32 v35, 1
	s_and_saveexec_b64 s[6:7], vcc
	s_cbranch_execz .LBB661_74
; %bb.71:                               ;   in Loop: Header=BB661_15 Depth=1
	v_and_b32_e32 v23, 0x7f, v30
	v_cmp_ne_u32_e32 vcc, s13, v23
	v_mov_b32_e32 v35, 0x7f800001
	s_and_saveexec_b64 s[10:11], vcc
	s_cbranch_execz .LBB661_73
; %bb.72:                               ;   in Loop: Header=BB661_15 Depth=1
	v_and_b32_e32 v35, 7, v30
	v_ffbh_u32_e32 v36, v35
	v_min_u32_e32 v39, 32, v36
	v_subrev_u32_e32 v36, 28, v39
	v_lshlrev_b64 v[36:37], v36, v[30:31]
	v_lshrrev_b32_e32 v38, 3, v23
	v_sub_u32_e32 v30, 29, v39
	v_and_b32_e32 v36, 7, v36
	v_cmp_gt_u32_e32 vcc, 8, v23
	v_cndmask_b32_e32 v23, v38, v30, vcc
	v_cndmask_b32_e32 v30, v35, v36, vcc
	v_lshlrev_b32_e32 v35, 16, v28
	v_lshlrev_b32_e32 v30, 20, v30
	v_and_b32_e32 v35, 0x80000000, v35
	v_lshl_add_u32 v23, v23, 23, v33
	v_or3_b32 v35, v35, v23, v30
.LBB661_73:                             ;   in Loop: Header=BB661_15 Depth=1
	s_or_b64 exec, exec, s[10:11]
.LBB661_74:                             ;   in Loop: Header=BB661_15 Depth=1
	s_or_b64 exec, exec, s[6:7]
.LBB661_75:                             ;   in Loop: Header=BB661_15 Depth=1
	s_or_b64 exec, exec, s[4:5]
	v_lshrrev_b32_e32 v30, 16, v28
	v_cmp_ne_u16_sdwa s[6:7], v30, v29 src0_sel:BYTE_0 src1_sel:DWORD
	s_and_saveexec_b64 s[4:5], s[6:7]
	s_cbranch_execz .LBB661_81
; %bb.76:                               ;   in Loop: Header=BB661_15 Depth=1
	v_cmp_ne_u16_sdwa s[10:11], v30, s16 src0_sel:BYTE_0 src1_sel:DWORD
	v_bfrev_b32_e32 v34, 1
	s_and_saveexec_b64 s[6:7], s[10:11]
	s_cbranch_execz .LBB661_80
; %bb.77:                               ;   in Loop: Header=BB661_15 Depth=1
	v_bfe_u32 v23, v28, 16, 7
	v_cmp_ne_u32_e32 vcc, s13, v23
	v_mov_b32_e32 v34, 0x7f800001
	s_and_saveexec_b64 s[10:11], vcc
	s_cbranch_execz .LBB661_79
; %bb.78:                               ;   in Loop: Header=BB661_15 Depth=1
	v_and_b32_e32 v34, 7, v30
	v_ffbh_u32_e32 v36, v34
	v_min_u32_e32 v39, 32, v36
	v_subrev_u32_e32 v36, 28, v39
	v_lshlrev_b64 v[36:37], v36, v[30:31]
	v_lshrrev_b32_e32 v38, 3, v23
	v_sub_u32_e32 v37, 29, v39
	v_and_b32_e32 v36, 7, v36
	v_cmp_gt_u32_e32 vcc, 8, v23
	v_cndmask_b32_e32 v23, v38, v37, vcc
	v_cndmask_b32_e32 v34, v34, v36, vcc
	v_lshlrev_b32_e32 v30, 24, v30
	v_lshlrev_b32_e32 v34, 20, v34
	v_and_b32_e32 v30, 0x80000000, v30
	v_lshl_add_u32 v23, v23, 23, v33
	v_or3_b32 v34, v30, v23, v34
.LBB661_79:                             ;   in Loop: Header=BB661_15 Depth=1
	s_or_b64 exec, exec, s[10:11]
.LBB661_80:                             ;   in Loop: Header=BB661_15 Depth=1
	s_or_b64 exec, exec, s[6:7]
.LBB661_81:                             ;   in Loop: Header=BB661_15 Depth=1
	s_or_b64 exec, exec, s[4:5]
	v_cmp_lt_u32_e32 vcc, s14, v28
	v_mov_b32_e32 v36, 0
	v_mov_b32_e32 v37, 0
	s_and_saveexec_b64 s[4:5], vcc
	s_cbranch_execz .LBB661_87
; %bb.82:                               ;   in Loop: Header=BB661_15 Depth=1
	v_lshrrev_b32_e32 v30, 24, v28
	v_cmp_ne_u32_e32 vcc, s16, v30
	v_bfrev_b32_e32 v37, 1
	s_and_saveexec_b64 s[6:7], vcc
	s_cbranch_execz .LBB661_86
; %bb.83:                               ;   in Loop: Header=BB661_15 Depth=1
	v_bfe_u32 v23, v28, 24, 7
	v_cmp_ne_u32_e32 vcc, s13, v23
	v_mov_b32_e32 v37, 0x7f800001
	s_and_saveexec_b64 s[10:11], vcc
	s_cbranch_execz .LBB661_85
; %bb.84:                               ;   in Loop: Header=BB661_15 Depth=1
	v_and_b32_e32 v28, 7, v30
	v_ffbh_u32_e32 v38, v28
	v_min_u32_e32 v40, 32, v38
	v_subrev_u32_e32 v38, 28, v40
	v_lshlrev_b64 v[38:39], v38, v[30:31]
	v_lshrrev_b32_e32 v37, 3, v23
	v_sub_u32_e32 v39, 29, v40
	v_and_b32_e32 v38, 7, v38
	v_cmp_gt_u32_e32 vcc, 8, v23
	v_cndmask_b32_e32 v23, v37, v39, vcc
	v_cndmask_b32_e32 v28, v28, v38, vcc
	v_lshlrev_b32_e32 v30, 24, v30
	v_lshlrev_b32_e32 v28, 20, v28
	v_and_b32_e32 v30, 0x80000000, v30
	v_lshl_add_u32 v23, v23, 23, v33
	v_or3_b32 v37, v30, v23, v28
.LBB661_85:                             ;   in Loop: Header=BB661_15 Depth=1
	s_or_b64 exec, exec, s[10:11]
.LBB661_86:                             ;   in Loop: Header=BB661_15 Depth=1
	s_or_b64 exec, exec, s[6:7]
.LBB661_87:                             ;   in Loop: Header=BB661_15 Depth=1
	s_or_b64 exec, exec, s[4:5]
	s_waitcnt vmcnt(0)
	v_cmp_ne_u16_sdwa s[6:7], v26, v29 src0_sel:BYTE_0 src1_sel:DWORD
	s_and_saveexec_b64 s[4:5], s[6:7]
	s_cbranch_execz .LBB661_93
; %bb.88:                               ;   in Loop: Header=BB661_15 Depth=1
	v_cmp_ne_u16_sdwa s[10:11], v26, s16 src0_sel:BYTE_0 src1_sel:DWORD
	v_bfrev_b32_e32 v36, 1
	s_and_saveexec_b64 s[6:7], s[10:11]
	s_cbranch_execz .LBB661_92
; %bb.89:                               ;   in Loop: Header=BB661_15 Depth=1
	v_and_b32_e32 v23, 0x7f, v26
	v_cmp_ne_u32_e32 vcc, s13, v23
	v_mov_b32_e32 v36, 0x7f800001
	s_and_saveexec_b64 s[10:11], vcc
	s_cbranch_execz .LBB661_91
; %bb.90:                               ;   in Loop: Header=BB661_15 Depth=1
	v_and_b32_e32 v28, 7, v26
	v_ffbh_u32_e32 v36, v28
	v_min_u32_e32 v36, 32, v36
	v_subrev_u32_e32 v38, 28, v36
	v_lshlrev_b64 v[38:39], v38, v[26:27]
	v_lshrrev_b32_e32 v30, 3, v23
	v_sub_u32_e32 v36, 29, v36
	v_and_b32_e32 v38, 7, v38
	v_cmp_gt_u32_e32 vcc, 8, v23
	v_cndmask_b32_e32 v23, v30, v36, vcc
	v_cndmask_b32_e32 v28, v28, v38, vcc
	v_lshlrev_b32_e32 v30, 24, v26
	v_lshlrev_b32_e32 v28, 20, v28
	v_and_b32_e32 v30, 0x80000000, v30
	v_lshl_add_u32 v23, v23, 23, v33
	v_or3_b32 v36, v30, v23, v28
.LBB661_91:                             ;   in Loop: Header=BB661_15 Depth=1
	s_or_b64 exec, exec, s[10:11]
.LBB661_92:                             ;   in Loop: Header=BB661_15 Depth=1
	s_or_b64 exec, exec, s[6:7]
.LBB661_93:                             ;   in Loop: Header=BB661_15 Depth=1
	s_or_b64 exec, exec, s[4:5]
	v_lshrrev_b16_e32 v28, 8, v26
	v_cmp_ne_u16_e32 vcc, 0, v28
	v_mov_b32_e32 v38, 0
	v_mov_b32_e32 v39, 0
	s_and_saveexec_b64 s[4:5], vcc
	s_cbranch_execz .LBB661_99
; %bb.94:                               ;   in Loop: Header=BB661_15 Depth=1
	v_cmp_ne_u16_e32 vcc, s16, v28
	v_bfrev_b32_e32 v39, 1
	s_and_saveexec_b64 s[6:7], vcc
	s_cbranch_execz .LBB661_98
; %bb.95:                               ;   in Loop: Header=BB661_15 Depth=1
	v_and_b32_e32 v23, 0x7f, v28
	v_cmp_ne_u32_e32 vcc, s13, v23
	v_mov_b32_e32 v39, 0x7f800001
	s_and_saveexec_b64 s[10:11], vcc
	s_cbranch_execz .LBB661_97
; %bb.96:                               ;   in Loop: Header=BB661_15 Depth=1
	v_and_b32_e32 v30, 7, v28
	v_ffbh_u32_e32 v40, v30
	v_min_u32_e32 v42, 32, v40
	v_subrev_u32_e32 v40, 28, v42
	v_lshlrev_b64 v[40:41], v40, v[28:29]
	v_lshrrev_b32_e32 v39, 3, v23
	v_sub_u32_e32 v28, 29, v42
	v_and_b32_e32 v40, 7, v40
	v_cmp_gt_u32_e32 vcc, 8, v23
	v_cndmask_b32_e32 v23, v39, v28, vcc
	v_cndmask_b32_e32 v28, v30, v40, vcc
	v_lshlrev_b32_e32 v30, 16, v26
	v_lshlrev_b32_e32 v28, 20, v28
	v_and_b32_e32 v30, 0x80000000, v30
	v_lshl_add_u32 v23, v23, 23, v33
	v_or3_b32 v39, v30, v23, v28
.LBB661_97:                             ;   in Loop: Header=BB661_15 Depth=1
	s_or_b64 exec, exec, s[10:11]
.LBB661_98:                             ;   in Loop: Header=BB661_15 Depth=1
	s_or_b64 exec, exec, s[6:7]
.LBB661_99:                             ;   in Loop: Header=BB661_15 Depth=1
	s_or_b64 exec, exec, s[4:5]
	v_lshrrev_b32_e32 v28, 16, v26
	v_cmp_ne_u16_sdwa s[6:7], v28, v29 src0_sel:BYTE_0 src1_sel:DWORD
	s_and_saveexec_b64 s[4:5], s[6:7]
	s_cbranch_execz .LBB661_105
; %bb.100:                              ;   in Loop: Header=BB661_15 Depth=1
	v_cmp_ne_u16_sdwa s[10:11], v28, s16 src0_sel:BYTE_0 src1_sel:DWORD
	v_bfrev_b32_e32 v38, 1
	s_and_saveexec_b64 s[6:7], s[10:11]
	s_cbranch_execz .LBB661_104
; %bb.101:                              ;   in Loop: Header=BB661_15 Depth=1
	v_bfe_u32 v23, v26, 16, 7
	v_cmp_ne_u32_e32 vcc, s13, v23
	v_mov_b32_e32 v38, 0x7f800001
	s_and_saveexec_b64 s[10:11], vcc
	s_cbranch_execz .LBB661_103
; %bb.102:                              ;   in Loop: Header=BB661_15 Depth=1
	v_and_b32_e32 v30, 7, v28
	v_ffbh_u32_e32 v40, v30
	v_min_u32_e32 v42, 32, v40
	v_subrev_u32_e32 v40, 28, v42
	v_lshlrev_b64 v[40:41], v40, v[28:29]
	v_lshrrev_b32_e32 v38, 3, v23
	v_sub_u32_e32 v41, 29, v42
	v_and_b32_e32 v40, 7, v40
	v_cmp_gt_u32_e32 vcc, 8, v23
	v_cndmask_b32_e32 v23, v38, v41, vcc
	v_cndmask_b32_e32 v30, v30, v40, vcc
	v_lshlrev_b32_e32 v28, 24, v28
	v_lshlrev_b32_e32 v30, 20, v30
	v_and_b32_e32 v28, 0x80000000, v28
	v_lshl_add_u32 v23, v23, 23, v33
	v_or3_b32 v38, v28, v23, v30
.LBB661_103:                            ;   in Loop: Header=BB661_15 Depth=1
	s_or_b64 exec, exec, s[10:11]
.LBB661_104:                            ;   in Loop: Header=BB661_15 Depth=1
	s_or_b64 exec, exec, s[6:7]
.LBB661_105:                            ;   in Loop: Header=BB661_15 Depth=1
	s_or_b64 exec, exec, s[4:5]
	v_cmp_lt_u32_e32 vcc, s14, v26
	v_mov_b32_e32 v23, 0
	v_mov_b32_e32 v40, 0
	s_and_saveexec_b64 s[4:5], vcc
	s_cbranch_execz .LBB661_111
; %bb.106:                              ;   in Loop: Header=BB661_15 Depth=1
	v_lshrrev_b32_e32 v28, 24, v26
	v_cmp_ne_u32_e32 vcc, s16, v28
	v_bfrev_b32_e32 v40, 1
	s_and_saveexec_b64 s[6:7], vcc
	s_cbranch_execz .LBB661_110
; %bb.107:                              ;   in Loop: Header=BB661_15 Depth=1
	v_bfe_u32 v26, v26, 24, 7
	v_cmp_ne_u32_e32 vcc, s13, v26
	v_mov_b32_e32 v40, 0x7f800001
	s_and_saveexec_b64 s[10:11], vcc
	s_cbranch_execz .LBB661_109
; %bb.108:                              ;   in Loop: Header=BB661_15 Depth=1
	v_and_b32_e32 v30, 7, v28
	v_ffbh_u32_e32 v40, v30
	v_min_u32_e32 v43, 32, v40
	v_subrev_u32_e32 v40, 28, v43
	v_lshlrev_b64 v[40:41], v40, v[28:29]
	v_lshrrev_b32_e32 v42, 3, v26
	v_sub_u32_e32 v41, 29, v43
	v_and_b32_e32 v40, 7, v40
	v_cmp_gt_u32_e32 vcc, 8, v26
	v_cndmask_b32_e32 v26, v42, v41, vcc
	v_cndmask_b32_e32 v30, v30, v40, vcc
	v_lshlrev_b32_e32 v28, 24, v28
	v_lshlrev_b32_e32 v30, 20, v30
	v_and_b32_e32 v28, 0x80000000, v28
	v_lshl_add_u32 v26, v26, 23, v33
	v_or3_b32 v40, v28, v26, v30
.LBB661_109:                            ;   in Loop: Header=BB661_15 Depth=1
	s_or_b64 exec, exec, s[10:11]
.LBB661_110:                            ;   in Loop: Header=BB661_15 Depth=1
	s_or_b64 exec, exec, s[6:7]
.LBB661_111:                            ;   in Loop: Header=BB661_15 Depth=1
	s_or_b64 exec, exec, s[4:5]
	v_cvt_pkrtz_f16_f32 v42, v32, v35
	buffer_load_dword v32, v27, s[0:3], 0 offen offset:16
	buffer_load_dword v30, v27, s[0:3], 0 offen offset:20
	;; [unrolled: 1-line block ×4, first 2 shown]
	v_cvt_pkrtz_f16_f32 v43, v34, v37
	v_cvt_pkrtz_f16_f32 v34, v36, v39
	;; [unrolled: 1-line block ×3, first 2 shown]
	v_mfma_f32_16x16x16f16 v[18:21], v[42:43], v[6:7], v[18:21]
	s_waitcnt vmcnt(3)
	v_cmp_ne_u16_sdwa s[6:7], v32, v29 src0_sel:BYTE_0 src1_sel:DWORD
	v_mfma_f32_16x16x16f16 v[18:21], v[34:35], v[8:9], v[18:21]
	s_and_saveexec_b64 s[4:5], s[6:7]
	s_cbranch_execz .LBB661_117
; %bb.112:                              ;   in Loop: Header=BB661_15 Depth=1
	v_cmp_ne_u16_sdwa s[10:11], v32, s16 src0_sel:BYTE_0 src1_sel:DWORD
	v_bfrev_b32_e32 v23, 1
	s_and_saveexec_b64 s[6:7], s[10:11]
	s_cbranch_execz .LBB661_116
; %bb.113:                              ;   in Loop: Header=BB661_15 Depth=1
	v_and_b32_e32 v34, 0x7f, v32
	v_cmp_ne_u32_e32 vcc, s13, v34
	v_mov_b32_e32 v23, 0x7f800001
	s_and_saveexec_b64 s[10:11], vcc
	s_cbranch_execz .LBB661_115
; %bb.114:                              ;   in Loop: Header=BB661_15 Depth=1
	v_and_b32_e32 v23, 7, v32
	v_ffbh_u32_e32 v36, v23
	v_min_u32_e32 v38, 32, v36
	v_subrev_u32_e32 v36, 28, v38
	v_lshlrev_b64 v[36:37], v36, v[32:33]
	v_lshrrev_b32_e32 v35, 3, v34
	v_sub_u32_e32 v37, 29, v38
	v_and_b32_e32 v36, 7, v36
	v_cmp_gt_u32_e32 vcc, 8, v34
	v_cndmask_b32_e32 v34, v35, v37, vcc
	v_cndmask_b32_e32 v23, v23, v36, vcc
	v_lshlrev_b32_e32 v35, 24, v32
	v_lshlrev_b32_e32 v23, 20, v23
	v_and_b32_e32 v35, 0x80000000, v35
	v_lshl_add_u32 v34, v34, 23, v33
	v_or3_b32 v23, v35, v34, v23
.LBB661_115:                            ;   in Loop: Header=BB661_15 Depth=1
	s_or_b64 exec, exec, s[10:11]
.LBB661_116:                            ;   in Loop: Header=BB661_15 Depth=1
	s_or_b64 exec, exec, s[6:7]
.LBB661_117:                            ;   in Loop: Header=BB661_15 Depth=1
	s_or_b64 exec, exec, s[4:5]
	v_lshrrev_b16_e32 v34, 8, v32
	v_cmp_ne_u16_e32 vcc, 0, v34
	v_mov_b32_e32 v35, 0
	v_mov_b32_e32 v36, 0
	s_and_saveexec_b64 s[4:5], vcc
	s_cbranch_execz .LBB661_123
; %bb.118:                              ;   in Loop: Header=BB661_15 Depth=1
	v_cmp_ne_u16_e32 vcc, s16, v34
	v_bfrev_b32_e32 v36, 1
	s_and_saveexec_b64 s[6:7], vcc
	s_cbranch_execz .LBB661_122
; %bb.119:                              ;   in Loop: Header=BB661_15 Depth=1
	v_and_b32_e32 v37, 0x7f, v34
	v_cmp_ne_u32_e32 vcc, s13, v37
	v_mov_b32_e32 v36, 0x7f800001
	s_and_saveexec_b64 s[10:11], vcc
	s_cbranch_execz .LBB661_121
; %bb.120:                              ;   in Loop: Header=BB661_15 Depth=1
	v_and_b32_e32 v36, 7, v34
	v_ffbh_u32_e32 v38, v36
	v_min_u32_e32 v41, 32, v38
	v_subrev_u32_e32 v38, 28, v41
	v_lshlrev_b64 v[38:39], v38, v[34:35]
	v_lshrrev_b32_e32 v40, 3, v37
	v_sub_u32_e32 v34, 29, v41
	v_and_b32_e32 v38, 7, v38
	v_cmp_gt_u32_e32 vcc, 8, v37
	v_cndmask_b32_e32 v34, v40, v34, vcc
	v_cndmask_b32_e32 v36, v36, v38, vcc
	v_lshlrev_b32_e32 v37, 16, v32
	v_lshlrev_b32_e32 v36, 20, v36
	v_and_b32_e32 v37, 0x80000000, v37
	v_lshl_add_u32 v34, v34, 23, v33
	v_or3_b32 v36, v37, v34, v36
.LBB661_121:                            ;   in Loop: Header=BB661_15 Depth=1
	s_or_b64 exec, exec, s[10:11]
.LBB661_122:                            ;   in Loop: Header=BB661_15 Depth=1
	s_or_b64 exec, exec, s[6:7]
.LBB661_123:                            ;   in Loop: Header=BB661_15 Depth=1
	s_or_b64 exec, exec, s[4:5]
	v_lshrrev_b32_e32 v34, 16, v32
	v_cmp_ne_u16_sdwa s[6:7], v34, v29 src0_sel:BYTE_0 src1_sel:DWORD
	s_and_saveexec_b64 s[4:5], s[6:7]
	s_cbranch_execz .LBB661_129
; %bb.124:                              ;   in Loop: Header=BB661_15 Depth=1
	v_cmp_ne_u16_sdwa s[10:11], v34, s16 src0_sel:BYTE_0 src1_sel:DWORD
	v_bfrev_b32_e32 v35, 1
	s_and_saveexec_b64 s[6:7], s[10:11]
	s_cbranch_execz .LBB661_128
; %bb.125:                              ;   in Loop: Header=BB661_15 Depth=1
	v_bfe_u32 v37, v32, 16, 7
	v_cmp_ne_u32_e32 vcc, s13, v37
	v_mov_b32_e32 v35, 0x7f800001
	s_and_saveexec_b64 s[10:11], vcc
	s_cbranch_execz .LBB661_127
; %bb.126:                              ;   in Loop: Header=BB661_15 Depth=1
	v_and_b32_e32 v35, 7, v34
	v_ffbh_u32_e32 v38, v35
	v_min_u32_e32 v41, 32, v38
	v_subrev_u32_e32 v38, 28, v41
	v_lshlrev_b64 v[38:39], v38, v[34:35]
	v_lshrrev_b32_e32 v40, 3, v37
	v_sub_u32_e32 v39, 29, v41
	v_and_b32_e32 v38, 7, v38
	v_cmp_gt_u32_e32 vcc, 8, v37
	v_cndmask_b32_e32 v37, v40, v39, vcc
	v_cndmask_b32_e32 v35, v35, v38, vcc
	v_lshlrev_b32_e32 v34, 24, v34
	v_lshlrev_b32_e32 v35, 20, v35
	v_and_b32_e32 v34, 0x80000000, v34
	v_lshl_add_u32 v37, v37, 23, v33
	v_or3_b32 v35, v34, v37, v35
.LBB661_127:                            ;   in Loop: Header=BB661_15 Depth=1
	s_or_b64 exec, exec, s[10:11]
.LBB661_128:                            ;   in Loop: Header=BB661_15 Depth=1
	s_or_b64 exec, exec, s[6:7]
.LBB661_129:                            ;   in Loop: Header=BB661_15 Depth=1
	s_or_b64 exec, exec, s[4:5]
	v_cmp_lt_u32_e32 vcc, s14, v32
	v_mov_b32_e32 v37, 0
	v_mov_b32_e32 v38, 0
	s_and_saveexec_b64 s[4:5], vcc
	s_cbranch_execz .LBB661_135
; %bb.130:                              ;   in Loop: Header=BB661_15 Depth=1
	v_lshrrev_b32_e32 v34, 24, v32
	v_cmp_ne_u32_e32 vcc, s16, v34
	v_bfrev_b32_e32 v38, 1
	s_and_saveexec_b64 s[6:7], vcc
	s_cbranch_execz .LBB661_134
; %bb.131:                              ;   in Loop: Header=BB661_15 Depth=1
	v_bfe_u32 v32, v32, 24, 7
	v_cmp_ne_u32_e32 vcc, s13, v32
	v_mov_b32_e32 v38, 0x7f800001
	s_and_saveexec_b64 s[10:11], vcc
	s_cbranch_execz .LBB661_133
; %bb.132:                              ;   in Loop: Header=BB661_15 Depth=1
	v_and_b32_e32 v40, 7, v34
	v_ffbh_u32_e32 v38, v40
	v_min_u32_e32 v42, 32, v38
	v_subrev_u32_e32 v38, 28, v42
	v_lshlrev_b64 v[38:39], v38, v[34:35]
	v_lshrrev_b32_e32 v41, 3, v32
	v_sub_u32_e32 v39, 29, v42
	v_and_b32_e32 v38, 7, v38
	v_cmp_gt_u32_e32 vcc, 8, v32
	v_cndmask_b32_e32 v32, v41, v39, vcc
	v_cndmask_b32_e32 v38, v40, v38, vcc
	v_lshlrev_b32_e32 v34, 24, v34
	v_lshlrev_b32_e32 v38, 20, v38
	v_and_b32_e32 v34, 0x80000000, v34
	v_lshl_add_u32 v32, v32, 23, v33
	v_or3_b32 v38, v34, v32, v38
.LBB661_133:                            ;   in Loop: Header=BB661_15 Depth=1
	s_or_b64 exec, exec, s[10:11]
.LBB661_134:                            ;   in Loop: Header=BB661_15 Depth=1
	s_or_b64 exec, exec, s[6:7]
.LBB661_135:                            ;   in Loop: Header=BB661_15 Depth=1
	s_or_b64 exec, exec, s[4:5]
	s_waitcnt vmcnt(2)
	v_cmp_ne_u16_sdwa s[6:7], v30, v29 src0_sel:BYTE_0 src1_sel:DWORD
	s_and_saveexec_b64 s[4:5], s[6:7]
	s_cbranch_execz .LBB661_141
; %bb.136:                              ;   in Loop: Header=BB661_15 Depth=1
	v_cmp_ne_u16_sdwa s[10:11], v30, s16 src0_sel:BYTE_0 src1_sel:DWORD
	v_bfrev_b32_e32 v37, 1
	s_and_saveexec_b64 s[6:7], s[10:11]
	s_cbranch_execz .LBB661_140
; %bb.137:                              ;   in Loop: Header=BB661_15 Depth=1
	v_and_b32_e32 v32, 0x7f, v30
	v_cmp_ne_u32_e32 vcc, s13, v32
	v_mov_b32_e32 v37, 0x7f800001
	s_and_saveexec_b64 s[10:11], vcc
	s_cbranch_execz .LBB661_139
; %bb.138:                              ;   in Loop: Header=BB661_15 Depth=1
	v_and_b32_e32 v34, 7, v30
	v_ffbh_u32_e32 v39, v34
	v_min_u32_e32 v39, 32, v39
	v_subrev_u32_e32 v40, 28, v39
	v_lshlrev_b64 v[40:41], v40, v[30:31]
	v_lshrrev_b32_e32 v37, 3, v32
	v_sub_u32_e32 v39, 29, v39
	v_and_b32_e32 v40, 7, v40
	v_cmp_gt_u32_e32 vcc, 8, v32
	v_cndmask_b32_e32 v32, v37, v39, vcc
	v_cndmask_b32_e32 v34, v34, v40, vcc
	v_lshlrev_b32_e32 v37, 24, v30
	v_lshlrev_b32_e32 v34, 20, v34
	v_and_b32_e32 v37, 0x80000000, v37
	v_lshl_add_u32 v32, v32, 23, v33
	v_or3_b32 v37, v37, v32, v34
.LBB661_139:                            ;   in Loop: Header=BB661_15 Depth=1
	s_or_b64 exec, exec, s[10:11]
.LBB661_140:                            ;   in Loop: Header=BB661_15 Depth=1
	s_or_b64 exec, exec, s[6:7]
.LBB661_141:                            ;   in Loop: Header=BB661_15 Depth=1
	s_or_b64 exec, exec, s[4:5]
	v_lshrrev_b16_e32 v32, 8, v30
	v_cmp_ne_u16_e32 vcc, 0, v32
	v_mov_b32_e32 v39, 0
	v_mov_b32_e32 v40, 0
	s_and_saveexec_b64 s[4:5], vcc
	s_cbranch_execz .LBB661_147
; %bb.142:                              ;   in Loop: Header=BB661_15 Depth=1
	v_cmp_ne_u16_e32 vcc, s16, v32
	v_bfrev_b32_e32 v40, 1
	s_and_saveexec_b64 s[6:7], vcc
	s_cbranch_execz .LBB661_146
; %bb.143:                              ;   in Loop: Header=BB661_15 Depth=1
	v_and_b32_e32 v34, 0x7f, v32
	v_cmp_ne_u32_e32 vcc, s13, v34
	v_mov_b32_e32 v40, 0x7f800001
	s_and_saveexec_b64 s[10:11], vcc
	s_cbranch_execz .LBB661_145
; %bb.144:                              ;   in Loop: Header=BB661_15 Depth=1
	v_and_b32_e32 v42, 7, v32
	v_ffbh_u32_e32 v40, v42
	v_min_u32_e32 v44, 32, v40
	v_subrev_u32_e32 v40, 28, v44
	v_lshlrev_b64 v[40:41], v40, v[32:33]
	v_lshrrev_b32_e32 v43, 3, v34
	v_sub_u32_e32 v32, 29, v44
	v_and_b32_e32 v40, 7, v40
	v_cmp_gt_u32_e32 vcc, 8, v34
	v_cndmask_b32_e32 v32, v43, v32, vcc
	v_cndmask_b32_e32 v34, v42, v40, vcc
	v_lshlrev_b32_e32 v40, 16, v30
	v_lshlrev_b32_e32 v34, 20, v34
	v_and_b32_e32 v40, 0x80000000, v40
	v_lshl_add_u32 v32, v32, 23, v33
	v_or3_b32 v40, v40, v32, v34
.LBB661_145:                            ;   in Loop: Header=BB661_15 Depth=1
	s_or_b64 exec, exec, s[10:11]
.LBB661_146:                            ;   in Loop: Header=BB661_15 Depth=1
	s_or_b64 exec, exec, s[6:7]
.LBB661_147:                            ;   in Loop: Header=BB661_15 Depth=1
	s_or_b64 exec, exec, s[4:5]
	v_lshrrev_b32_e32 v32, 16, v30
	v_cmp_ne_u16_sdwa s[6:7], v32, v29 src0_sel:BYTE_0 src1_sel:DWORD
	s_and_saveexec_b64 s[4:5], s[6:7]
	s_cbranch_execz .LBB661_153
; %bb.148:                              ;   in Loop: Header=BB661_15 Depth=1
	v_cmp_ne_u16_sdwa s[10:11], v32, s16 src0_sel:BYTE_0 src1_sel:DWORD
	v_bfrev_b32_e32 v39, 1
	s_and_saveexec_b64 s[6:7], s[10:11]
	s_cbranch_execz .LBB661_152
; %bb.149:                              ;   in Loop: Header=BB661_15 Depth=1
	v_bfe_u32 v34, v30, 16, 7
	v_cmp_ne_u32_e32 vcc, s13, v34
	v_mov_b32_e32 v39, 0x7f800001
	s_and_saveexec_b64 s[10:11], vcc
	s_cbranch_execz .LBB661_151
; %bb.150:                              ;   in Loop: Header=BB661_15 Depth=1
	v_and_b32_e32 v39, 7, v32
	v_ffbh_u32_e32 v42, v39
	v_min_u32_e32 v44, 32, v42
	v_subrev_u32_e32 v42, 28, v44
	v_lshlrev_b64 v[42:43], v42, v[32:33]
	v_lshrrev_b32_e32 v41, 3, v34
	v_sub_u32_e32 v43, 29, v44
	v_and_b32_e32 v42, 7, v42
	v_cmp_gt_u32_e32 vcc, 8, v34
	v_cndmask_b32_e32 v34, v41, v43, vcc
	v_cndmask_b32_e32 v39, v39, v42, vcc
	v_lshlrev_b32_e32 v32, 24, v32
	v_lshlrev_b32_e32 v39, 20, v39
	v_and_b32_e32 v32, 0x80000000, v32
	v_lshl_add_u32 v34, v34, 23, v33
	v_or3_b32 v39, v32, v34, v39
.LBB661_151:                            ;   in Loop: Header=BB661_15 Depth=1
	s_or_b64 exec, exec, s[10:11]
.LBB661_152:                            ;   in Loop: Header=BB661_15 Depth=1
	s_or_b64 exec, exec, s[6:7]
.LBB661_153:                            ;   in Loop: Header=BB661_15 Depth=1
	s_or_b64 exec, exec, s[4:5]
	v_cmp_lt_u32_e32 vcc, s14, v30
	v_mov_b32_e32 v34, 0
	v_mov_b32_e32 v41, 0
	s_and_saveexec_b64 s[4:5], vcc
	s_cbranch_execz .LBB661_159
; %bb.154:                              ;   in Loop: Header=BB661_15 Depth=1
	v_lshrrev_b32_e32 v32, 24, v30
	v_cmp_ne_u32_e32 vcc, s16, v32
	v_bfrev_b32_e32 v41, 1
	s_and_saveexec_b64 s[6:7], vcc
	s_cbranch_execz .LBB661_158
; %bb.155:                              ;   in Loop: Header=BB661_15 Depth=1
	v_bfe_u32 v30, v30, 24, 7
	v_cmp_ne_u32_e32 vcc, s13, v30
	v_mov_b32_e32 v41, 0x7f800001
	s_and_saveexec_b64 s[10:11], vcc
	s_cbranch_execz .LBB661_157
; %bb.156:                              ;   in Loop: Header=BB661_15 Depth=1
	v_and_b32_e32 v41, 7, v32
	v_ffbh_u32_e32 v42, v41
	v_min_u32_e32 v45, 32, v42
	v_subrev_u32_e32 v42, 28, v45
	v_lshlrev_b64 v[42:43], v42, v[32:33]
	v_lshrrev_b32_e32 v44, 3, v30
	v_sub_u32_e32 v43, 29, v45
	v_and_b32_e32 v42, 7, v42
	v_cmp_gt_u32_e32 vcc, 8, v30
	v_cndmask_b32_e32 v30, v44, v43, vcc
	v_cndmask_b32_e32 v41, v41, v42, vcc
	v_lshlrev_b32_e32 v32, 24, v32
	v_lshlrev_b32_e32 v41, 20, v41
	v_and_b32_e32 v32, 0x80000000, v32
	v_lshl_add_u32 v30, v30, 23, v33
	v_or3_b32 v41, v32, v30, v41
.LBB661_157:                            ;   in Loop: Header=BB661_15 Depth=1
	s_or_b64 exec, exec, s[10:11]
.LBB661_158:                            ;   in Loop: Header=BB661_15 Depth=1
	s_or_b64 exec, exec, s[6:7]
.LBB661_159:                            ;   in Loop: Header=BB661_15 Depth=1
	s_or_b64 exec, exec, s[4:5]
	v_cvt_pkrtz_f16_f32 v42, v23, v36
	v_cvt_pkrtz_f16_f32 v43, v35, v38
	;; [unrolled: 1-line block ×4, first 2 shown]
	s_waitcnt vmcnt(1)
	v_cmp_ne_u16_sdwa s[6:7], v28, v29 src0_sel:BYTE_0 src1_sel:DWORD
	v_mfma_f32_16x16x16f16 v[18:21], v[42:43], v[10:11], v[18:21]
	v_mfma_f32_16x16x16f16 v[18:21], v[36:37], v[12:13], v[18:21]
	s_and_saveexec_b64 s[4:5], s[6:7]
	s_cbranch_execz .LBB661_165
; %bb.160:                              ;   in Loop: Header=BB661_15 Depth=1
	v_cmp_ne_u16_sdwa s[10:11], v28, s16 src0_sel:BYTE_0 src1_sel:DWORD
	v_bfrev_b32_e32 v34, 1
	s_and_saveexec_b64 s[6:7], s[10:11]
	s_cbranch_execz .LBB661_164
; %bb.161:                              ;   in Loop: Header=BB661_15 Depth=1
	v_and_b32_e32 v23, 0x7f, v28
	v_cmp_ne_u32_e32 vcc, s13, v23
	v_mov_b32_e32 v34, 0x7f800001
	s_and_saveexec_b64 s[10:11], vcc
	s_cbranch_execz .LBB661_163
; %bb.162:                              ;   in Loop: Header=BB661_15 Depth=1
	v_and_b32_e32 v30, 7, v28
	v_ffbh_u32_e32 v34, v30
	v_min_u32_e32 v36, 32, v34
	v_subrev_u32_e32 v34, 28, v36
	v_lshlrev_b64 v[34:35], v34, v[28:29]
	v_lshrrev_b32_e32 v32, 3, v23
	v_sub_u32_e32 v35, 29, v36
	v_and_b32_e32 v34, 7, v34
	v_cmp_gt_u32_e32 vcc, 8, v23
	v_cndmask_b32_e32 v23, v32, v35, vcc
	v_cndmask_b32_e32 v30, v30, v34, vcc
	v_lshlrev_b32_e32 v32, 24, v28
	v_lshlrev_b32_e32 v30, 20, v30
	v_and_b32_e32 v32, 0x80000000, v32
	v_lshl_add_u32 v23, v23, 23, v33
	v_or3_b32 v34, v32, v23, v30
.LBB661_163:                            ;   in Loop: Header=BB661_15 Depth=1
	s_or_b64 exec, exec, s[10:11]
.LBB661_164:                            ;   in Loop: Header=BB661_15 Depth=1
	s_or_b64 exec, exec, s[6:7]
.LBB661_165:                            ;   in Loop: Header=BB661_15 Depth=1
	s_or_b64 exec, exec, s[4:5]
	v_lshrrev_b16_e32 v30, 8, v28
	v_cmp_ne_u16_e32 vcc, 0, v30
	v_mov_b32_e32 v23, 0
	v_mov_b32_e32 v32, 0
	s_and_saveexec_b64 s[4:5], vcc
	s_cbranch_execz .LBB661_171
; %bb.166:                              ;   in Loop: Header=BB661_15 Depth=1
	v_cmp_ne_u16_e32 vcc, s16, v30
	v_bfrev_b32_e32 v32, 1
	s_and_saveexec_b64 s[6:7], vcc
	s_cbranch_execz .LBB661_170
; %bb.167:                              ;   in Loop: Header=BB661_15 Depth=1
	v_and_b32_e32 v35, 0x7f, v30
	v_cmp_ne_u32_e32 vcc, s13, v35
	v_mov_b32_e32 v32, 0x7f800001
	s_and_saveexec_b64 s[10:11], vcc
	s_cbranch_execz .LBB661_169
; %bb.168:                              ;   in Loop: Header=BB661_15 Depth=1
	v_and_b32_e32 v32, 7, v30
	v_ffbh_u32_e32 v36, v32
	v_min_u32_e32 v39, 32, v36
	v_subrev_u32_e32 v36, 28, v39
	v_lshlrev_b64 v[36:37], v36, v[30:31]
	v_lshrrev_b32_e32 v38, 3, v35
	v_sub_u32_e32 v30, 29, v39
	v_and_b32_e32 v36, 7, v36
	v_cmp_gt_u32_e32 vcc, 8, v35
	v_cndmask_b32_e32 v30, v38, v30, vcc
	v_cndmask_b32_e32 v32, v32, v36, vcc
	v_lshlrev_b32_e32 v35, 16, v28
	v_lshlrev_b32_e32 v32, 20, v32
	v_and_b32_e32 v35, 0x80000000, v35
	v_lshl_add_u32 v30, v30, 23, v33
	v_or3_b32 v32, v35, v30, v32
.LBB661_169:                            ;   in Loop: Header=BB661_15 Depth=1
	s_or_b64 exec, exec, s[10:11]
.LBB661_170:                            ;   in Loop: Header=BB661_15 Depth=1
	s_or_b64 exec, exec, s[6:7]
.LBB661_171:                            ;   in Loop: Header=BB661_15 Depth=1
	s_or_b64 exec, exec, s[4:5]
	v_lshrrev_b32_e32 v30, 16, v28
	v_cmp_ne_u16_sdwa s[6:7], v30, v29 src0_sel:BYTE_0 src1_sel:DWORD
	s_and_saveexec_b64 s[4:5], s[6:7]
	s_cbranch_execz .LBB661_177
; %bb.172:                              ;   in Loop: Header=BB661_15 Depth=1
	v_cmp_ne_u16_sdwa s[10:11], v30, s16 src0_sel:BYTE_0 src1_sel:DWORD
	v_bfrev_b32_e32 v23, 1
	s_and_saveexec_b64 s[6:7], s[10:11]
	s_cbranch_execz .LBB661_176
; %bb.173:                              ;   in Loop: Header=BB661_15 Depth=1
	v_bfe_u32 v35, v28, 16, 7
	v_cmp_ne_u32_e32 vcc, s13, v35
	v_mov_b32_e32 v23, 0x7f800001
	s_and_saveexec_b64 s[10:11], vcc
	s_cbranch_execz .LBB661_175
; %bb.174:                              ;   in Loop: Header=BB661_15 Depth=1
	v_and_b32_e32 v23, 7, v30
	v_ffbh_u32_e32 v36, v23
	v_min_u32_e32 v39, 32, v36
	v_subrev_u32_e32 v36, 28, v39
	v_lshlrev_b64 v[36:37], v36, v[30:31]
	v_lshrrev_b32_e32 v38, 3, v35
	v_sub_u32_e32 v37, 29, v39
	v_and_b32_e32 v36, 7, v36
	v_cmp_gt_u32_e32 vcc, 8, v35
	v_cndmask_b32_e32 v35, v38, v37, vcc
	v_cndmask_b32_e32 v23, v23, v36, vcc
	v_lshlrev_b32_e32 v30, 24, v30
	v_lshlrev_b32_e32 v23, 20, v23
	v_and_b32_e32 v30, 0x80000000, v30
	v_lshl_add_u32 v35, v35, 23, v33
	v_or3_b32 v23, v30, v35, v23
.LBB661_175:                            ;   in Loop: Header=BB661_15 Depth=1
	s_or_b64 exec, exec, s[10:11]
.LBB661_176:                            ;   in Loop: Header=BB661_15 Depth=1
	s_or_b64 exec, exec, s[6:7]
.LBB661_177:                            ;   in Loop: Header=BB661_15 Depth=1
	s_or_b64 exec, exec, s[4:5]
	v_cmp_lt_u32_e32 vcc, s14, v28
	v_mov_b32_e32 v35, 0
	v_mov_b32_e32 v36, 0
	s_and_saveexec_b64 s[4:5], vcc
	s_cbranch_execz .LBB661_183
; %bb.178:                              ;   in Loop: Header=BB661_15 Depth=1
	v_lshrrev_b32_e32 v30, 24, v28
	v_cmp_ne_u32_e32 vcc, s16, v30
	v_bfrev_b32_e32 v36, 1
	s_and_saveexec_b64 s[6:7], vcc
	s_cbranch_execz .LBB661_182
; %bb.179:                              ;   in Loop: Header=BB661_15 Depth=1
	v_bfe_u32 v28, v28, 24, 7
	v_cmp_ne_u32_e32 vcc, s13, v28
	v_mov_b32_e32 v36, 0x7f800001
	s_and_saveexec_b64 s[10:11], vcc
	s_cbranch_execz .LBB661_181
; %bb.180:                              ;   in Loop: Header=BB661_15 Depth=1
	v_and_b32_e32 v38, 7, v30
	v_ffbh_u32_e32 v36, v38
	v_min_u32_e32 v40, 32, v36
	v_subrev_u32_e32 v36, 28, v40
	v_lshlrev_b64 v[36:37], v36, v[30:31]
	v_lshrrev_b32_e32 v39, 3, v28
	v_sub_u32_e32 v37, 29, v40
	v_and_b32_e32 v36, 7, v36
	v_cmp_gt_u32_e32 vcc, 8, v28
	v_cndmask_b32_e32 v28, v39, v37, vcc
	v_cndmask_b32_e32 v36, v38, v36, vcc
	v_lshlrev_b32_e32 v30, 24, v30
	v_lshlrev_b32_e32 v36, 20, v36
	v_and_b32_e32 v30, 0x80000000, v30
	v_lshl_add_u32 v28, v28, 23, v33
	v_or3_b32 v36, v30, v28, v36
.LBB661_181:                            ;   in Loop: Header=BB661_15 Depth=1
	s_or_b64 exec, exec, s[10:11]
.LBB661_182:                            ;   in Loop: Header=BB661_15 Depth=1
	s_or_b64 exec, exec, s[6:7]
.LBB661_183:                            ;   in Loop: Header=BB661_15 Depth=1
	s_or_b64 exec, exec, s[4:5]
	s_waitcnt vmcnt(0)
	v_cmp_ne_u16_sdwa s[6:7], v26, v29 src0_sel:BYTE_0 src1_sel:DWORD
	s_and_saveexec_b64 s[4:5], s[6:7]
	s_cbranch_execz .LBB661_189
; %bb.184:                              ;   in Loop: Header=BB661_15 Depth=1
	v_cmp_ne_u16_sdwa s[10:11], v26, s16 src0_sel:BYTE_0 src1_sel:DWORD
	v_bfrev_b32_e32 v35, 1
	s_and_saveexec_b64 s[6:7], s[10:11]
	s_cbranch_execz .LBB661_188
; %bb.185:                              ;   in Loop: Header=BB661_15 Depth=1
	v_and_b32_e32 v28, 0x7f, v26
	v_cmp_ne_u32_e32 vcc, s13, v28
	v_mov_b32_e32 v35, 0x7f800001
	s_and_saveexec_b64 s[10:11], vcc
	s_cbranch_execz .LBB661_187
; %bb.186:                              ;   in Loop: Header=BB661_15 Depth=1
	v_and_b32_e32 v30, 7, v26
	v_ffbh_u32_e32 v37, v30
	v_min_u32_e32 v37, 32, v37
	v_subrev_u32_e32 v38, 28, v37
	v_lshlrev_b64 v[38:39], v38, v[26:27]
	v_lshrrev_b32_e32 v35, 3, v28
	v_sub_u32_e32 v37, 29, v37
	v_and_b32_e32 v38, 7, v38
	v_cmp_gt_u32_e32 vcc, 8, v28
	v_cndmask_b32_e32 v28, v35, v37, vcc
	v_cndmask_b32_e32 v30, v30, v38, vcc
	v_lshlrev_b32_e32 v35, 24, v26
	v_lshlrev_b32_e32 v30, 20, v30
	v_and_b32_e32 v35, 0x80000000, v35
	v_lshl_add_u32 v28, v28, 23, v33
	v_or3_b32 v35, v35, v28, v30
.LBB661_187:                            ;   in Loop: Header=BB661_15 Depth=1
	s_or_b64 exec, exec, s[10:11]
.LBB661_188:                            ;   in Loop: Header=BB661_15 Depth=1
	s_or_b64 exec, exec, s[6:7]
.LBB661_189:                            ;   in Loop: Header=BB661_15 Depth=1
	s_or_b64 exec, exec, s[4:5]
	v_lshrrev_b16_e32 v28, 8, v26
	v_cmp_ne_u16_e32 vcc, 0, v28
	v_mov_b32_e32 v30, 0
	v_mov_b32_e32 v37, 0
	s_and_saveexec_b64 s[4:5], vcc
	s_cbranch_execz .LBB661_195
; %bb.190:                              ;   in Loop: Header=BB661_15 Depth=1
	v_cmp_ne_u16_e32 vcc, s16, v28
	v_bfrev_b32_e32 v37, 1
	s_and_saveexec_b64 s[6:7], vcc
	s_cbranch_execz .LBB661_194
; %bb.191:                              ;   in Loop: Header=BB661_15 Depth=1
	v_and_b32_e32 v38, 0x7f, v28
	v_cmp_ne_u32_e32 vcc, s13, v38
	v_mov_b32_e32 v37, 0x7f800001
	s_and_saveexec_b64 s[10:11], vcc
	s_cbranch_execz .LBB661_193
; %bb.192:                              ;   in Loop: Header=BB661_15 Depth=1
	v_and_b32_e32 v37, 7, v28
	v_ffbh_u32_e32 v40, v37
	v_min_u32_e32 v42, 32, v40
	v_subrev_u32_e32 v40, 28, v42
	v_lshlrev_b64 v[40:41], v40, v[28:29]
	v_lshrrev_b32_e32 v39, 3, v38
	v_sub_u32_e32 v28, 29, v42
	v_and_b32_e32 v40, 7, v40
	v_cmp_gt_u32_e32 vcc, 8, v38
	v_cndmask_b32_e32 v28, v39, v28, vcc
	v_cndmask_b32_e32 v37, v37, v40, vcc
	v_lshlrev_b32_e32 v38, 16, v26
	v_lshlrev_b32_e32 v37, 20, v37
	v_and_b32_e32 v38, 0x80000000, v38
	v_lshl_add_u32 v28, v28, 23, v33
	v_or3_b32 v37, v38, v28, v37
.LBB661_193:                            ;   in Loop: Header=BB661_15 Depth=1
	s_or_b64 exec, exec, s[10:11]
.LBB661_194:                            ;   in Loop: Header=BB661_15 Depth=1
	s_or_b64 exec, exec, s[6:7]
.LBB661_195:                            ;   in Loop: Header=BB661_15 Depth=1
	s_or_b64 exec, exec, s[4:5]
	v_lshrrev_b32_e32 v28, 16, v26
	v_cmp_ne_u16_sdwa s[6:7], v28, v29 src0_sel:BYTE_0 src1_sel:DWORD
	s_and_saveexec_b64 s[4:5], s[6:7]
	s_cbranch_execz .LBB661_201
; %bb.196:                              ;   in Loop: Header=BB661_15 Depth=1
	v_cmp_ne_u16_sdwa s[10:11], v28, s16 src0_sel:BYTE_0 src1_sel:DWORD
	v_bfrev_b32_e32 v30, 1
	s_and_saveexec_b64 s[6:7], s[10:11]
	s_cbranch_execz .LBB661_200
; %bb.197:                              ;   in Loop: Header=BB661_15 Depth=1
	v_bfe_u32 v38, v26, 16, 7
	v_cmp_ne_u32_e32 vcc, s13, v38
	v_mov_b32_e32 v30, 0x7f800001
	s_and_saveexec_b64 s[10:11], vcc
	s_cbranch_execz .LBB661_199
; %bb.198:                              ;   in Loop: Header=BB661_15 Depth=1
	v_and_b32_e32 v30, 7, v28
	v_ffbh_u32_e32 v40, v30
	v_min_u32_e32 v42, 32, v40
	v_subrev_u32_e32 v40, 28, v42
	v_lshlrev_b64 v[40:41], v40, v[28:29]
	v_lshrrev_b32_e32 v39, 3, v38
	v_sub_u32_e32 v41, 29, v42
	v_and_b32_e32 v40, 7, v40
	v_cmp_gt_u32_e32 vcc, 8, v38
	v_cndmask_b32_e32 v38, v39, v41, vcc
	v_cndmask_b32_e32 v30, v30, v40, vcc
	v_lshlrev_b32_e32 v28, 24, v28
	v_lshlrev_b32_e32 v30, 20, v30
	v_and_b32_e32 v28, 0x80000000, v28
	v_lshl_add_u32 v38, v38, 23, v33
	v_or3_b32 v30, v28, v38, v30
.LBB661_199:                            ;   in Loop: Header=BB661_15 Depth=1
	s_or_b64 exec, exec, s[10:11]
.LBB661_200:                            ;   in Loop: Header=BB661_15 Depth=1
	s_or_b64 exec, exec, s[6:7]
.LBB661_201:                            ;   in Loop: Header=BB661_15 Depth=1
	s_or_b64 exec, exec, s[4:5]
	v_cmp_lt_u32_e32 vcc, s14, v26
	v_mov_b32_e32 v38, 0
	s_and_saveexec_b64 s[4:5], vcc
	s_cbranch_execz .LBB661_14
; %bb.202:                              ;   in Loop: Header=BB661_15 Depth=1
	v_lshrrev_b32_e32 v28, 24, v26
	v_cmp_ne_u32_e32 vcc, s16, v28
	v_bfrev_b32_e32 v38, 1
	s_and_saveexec_b64 s[6:7], vcc
	s_cbranch_execz .LBB661_13
; %bb.203:                              ;   in Loop: Header=BB661_15 Depth=1
	v_bfe_u32 v26, v26, 24, 7
	v_cmp_ne_u32_e32 vcc, s13, v26
	v_mov_b32_e32 v38, 0x7f800001
	s_and_saveexec_b64 s[10:11], vcc
	s_cbranch_execz .LBB661_12
; %bb.204:                              ;   in Loop: Header=BB661_15 Depth=1
	v_and_b32_e32 v40, 7, v28
	v_ffbh_u32_e32 v38, v40
	v_min_u32_e32 v42, 32, v38
	v_subrev_u32_e32 v38, 28, v42
	v_lshlrev_b64 v[38:39], v38, v[28:29]
	v_lshrrev_b32_e32 v41, 3, v26
	v_sub_u32_e32 v39, 29, v42
	v_and_b32_e32 v38, 7, v38
	v_cmp_gt_u32_e32 vcc, 8, v26
	v_cndmask_b32_e32 v26, v41, v39, vcc
	v_cndmask_b32_e32 v38, v40, v38, vcc
	v_lshlrev_b32_e32 v28, 24, v28
	v_lshlrev_b32_e32 v38, 20, v38
	v_and_b32_e32 v28, 0x80000000, v28
	v_lshl_add_u32 v26, v26, 23, v33
	v_or3_b32 v38, v28, v26, v38
	s_branch .LBB661_12
.LBB661_205:
	buffer_load_dword v13, off, s[0:3], 0 offset:256
	buffer_load_dword v14, off, s[0:3], 0 offset:260
	;; [unrolled: 1-line block ×16, first 2 shown]
	v_and_b32_e32 v12, 0xc0, v0
	v_add_u32_e32 v12, s20, v12
	v_lshl_or_b32 v12, v1, 2, v12
	v_or_b32_e32 v23, 1, v12
	v_mov_b32_e32 v19, 0xff7fffff
	v_or_b32_e32 v24, 2, v12
	v_or_b32_e32 v25, 3, v12
	v_cmp_gt_i32_e64 s[26:27], s33, v12
	v_cmp_gt_i32_e64 s[28:29], s33, v23
	s_mov_b32 s52, 0xff7fffff
	v_or_b32_e32 v26, 16, v12
	v_or_b32_e32 v27, 17, v12
	;; [unrolled: 1-line block ×12, first 2 shown]
	v_cmp_gt_i32_e64 s[30:31], s33, v24
	v_cmp_gt_i32_e64 s[34:35], s33, v25
	v_mbcnt_lo_u32_b32 v20, -1, 0
	v_cmp_gt_i32_e64 s[36:37], s33, v26
	v_cmp_gt_i32_e64 s[38:39], s33, v27
	v_mbcnt_hi_u32_b32 v20, -1, v20
	v_cmp_gt_i32_e64 s[20:21], s33, v28
	v_cmp_gt_i32_e64 s[22:23], s33, v29
	v_and_b32_e32 v21, 64, v20
	v_cmp_gt_i32_e64 s[16:17], s33, v30
	v_cmp_gt_i32_e64 s[18:19], s33, v31
	v_xor_b32_e32 v22, 32, v20
	v_add_u32_e32 v21, 64, v21
	v_cmp_gt_i32_e64 s[12:13], s33, v32
	v_cmp_gt_i32_e64 s[14:15], s33, v33
	v_cmp_lt_i32_e32 vcc, v22, v21
	v_cmp_gt_i32_e64 s[6:7], s33, v34
	v_cmp_gt_i32_e64 s[10:11], s33, v35
	v_cndmask_b32_e32 v22, v20, v22, vcc
	v_cmp_gt_i32_e32 vcc, s33, v36
	v_cmp_gt_i32_e64 s[4:5], s33, v37
	v_lshlrev_b32_e32 v22, 2, v22
	s_waitcnt vmcnt(15)
	v_cndmask_b32_e64 v12, v19, v13, s[26:27]
	s_waitcnt vmcnt(14)
	v_cndmask_b32_e64 v23, v19, v14, s[28:29]
	;; [unrolled: 2-line block ×4, first 2 shown]
	v_max3_f32 v12, v12, s52, v23
	s_waitcnt vmcnt(11)
	v_cndmask_b32_e64 v26, v19, v17, s[36:37]
	s_waitcnt vmcnt(10)
	v_cndmask_b32_e64 v27, v19, v18, s[38:39]
	v_max3_f32 v12, v12, v24, v25
	s_waitcnt vmcnt(9)
	v_cndmask_b32_e64 v28, v19, v11, s[20:21]
	s_waitcnt vmcnt(8)
	v_cndmask_b32_e64 v29, v19, v10, s[22:23]
	;; [unrolled: 5-line block ×5, first 2 shown]
	v_max3_f32 v12, v12, v32, v33
	s_waitcnt vmcnt(1)
	v_cndmask_b32_e32 v36, v19, v3, vcc
	s_waitcnt vmcnt(0)
	v_cndmask_b32_e64 v19, v19, v2, s[4:5]
	v_max3_f32 v12, v12, v34, v35
	v_max3_f32 v12, v12, v36, v19
	ds_bpermute_b32 v19, v22, v12
	v_xor_b32_e32 v23, 16, v20
	v_cmp_lt_i32_e64 s[40:41], v23, v21
	v_cndmask_b32_e64 v20, v20, v23, s[40:41]
	v_lshlrev_b32_e32 v20, 2, v20
	s_waitcnt lgkmcnt(0)
	v_max_f32_e32 v19, v19, v19
	v_max_f32_e32 v12, v12, v19
	ds_bpermute_b32 v19, v20, v12
	s_waitcnt lgkmcnt(0)
	v_max_f32_e32 v19, v19, v19
	v_max_f32_e32 v12, v12, v19
	v_sub_f32_e32 v13, v13, v12
	v_sub_f32_e32 v14, v14, v12
	;; [unrolled: 1-line block ×3, first 2 shown]
	v_mul_f32_e32 v13, 0x3fb8aa3b, v13
	v_mul_f32_e32 v14, 0x3fb8aa3b, v14
	;; [unrolled: 1-line block ×3, first 2 shown]
	v_exp_f32_e32 v13, v13
	v_exp_f32_e32 v14, v14
	;; [unrolled: 1-line block ×3, first 2 shown]
	v_sub_f32_e32 v16, v16, v12
	v_cndmask_b32_e64 v13, 0, v13, s[26:27]
	v_mul_f32_e32 v16, 0x3fb8aa3b, v16
	v_cndmask_b32_e64 v14, 0, v14, s[28:29]
	v_cndmask_b32_e64 v15, 0, v15, s[30:31]
	v_add_f32_e32 v19, 0, v13
	buffer_store_dword v13, off, s[0:3], 0 offset:256
	buffer_store_dword v14, off, s[0:3], 0 offset:260
	;; [unrolled: 1-line block ×3, first 2 shown]
	v_sub_f32_e32 v13, v17, v12
	v_exp_f32_e32 v16, v16
	v_add_f32_e32 v19, v19, v14
	v_mul_f32_e32 v13, 0x3fb8aa3b, v13
	v_sub_f32_e32 v14, v18, v12
	v_exp_f32_e32 v13, v13
	v_mul_f32_e32 v14, 0x3fb8aa3b, v14
	v_sub_f32_e32 v11, v11, v12
	v_exp_f32_e32 v14, v14
	;; [unrolled: 3-line block ×3, first 2 shown]
	v_mul_f32_e32 v10, 0x3fb8aa3b, v10
	v_sub_f32_e32 v9, v9, v12
	v_cndmask_b32_e64 v16, 0, v16, s[34:35]
	v_add_f32_e32 v19, v19, v15
	v_exp_f32_e32 v10, v10
	v_mul_f32_e32 v9, 0x3fb8aa3b, v9
	v_sub_f32_e32 v8, v8, v12
	v_add_f32_e32 v19, v19, v16
	v_cndmask_b32_e64 v13, 0, v13, s[36:37]
	v_exp_f32_e32 v9, v9
	v_mul_f32_e32 v8, 0x3fb8aa3b, v8
	v_sub_f32_e32 v7, v7, v12
	v_add_f32_e32 v15, v19, v13
	v_cndmask_b32_e64 v14, 0, v14, s[38:39]
	;; [unrolled: 5-line block ×5, first 2 shown]
	v_exp_f32_e32 v5, v5
	v_mul_f32_e32 v4, 0x3fb8aa3b, v4
	v_sub_f32_e32 v3, v3, v12
	buffer_store_dword v16, off, s[0:3], 0 offset:268
	buffer_store_dword v13, off, s[0:3], 0 offset:272
	;; [unrolled: 1-line block ×5, first 2 shown]
	v_add_f32_e32 v10, v15, v9
	v_cndmask_b32_e64 v8, 0, v8, s[18:19]
	v_exp_f32_e32 v4, v4
	v_mul_f32_e32 v3, 0x3fb8aa3b, v3
	v_sub_f32_e32 v2, v2, v12
	v_add_f32_e32 v10, v10, v8
	v_cndmask_b32_e64 v7, 0, v7, s[12:13]
	v_exp_f32_e32 v3, v3
	v_mul_f32_e32 v2, 0x3fb8aa3b, v2
	v_add_f32_e32 v10, v10, v7
	v_cndmask_b32_e64 v6, 0, v6, s[14:15]
	v_exp_f32_e32 v2, v2
	v_add_f32_e32 v10, v10, v6
	v_cndmask_b32_e64 v5, 0, v5, s[6:7]
	buffer_store_dword v9, off, s[0:3], 0 offset:288
	buffer_store_dword v8, off, s[0:3], 0 offset:292
	;; [unrolled: 1-line block ×4, first 2 shown]
	v_add_f32_e32 v6, v10, v5
	v_cndmask_b32_e64 v4, 0, v4, s[10:11]
	v_add_f32_e32 v6, v6, v4
	v_cndmask_b32_e32 v3, 0, v3, vcc
	v_add_f32_e32 v6, v6, v3
	v_cndmask_b32_e64 v2, 0, v2, s[4:5]
	v_add_f32_e32 v6, v6, v2
	ds_bpermute_b32 v7, v22, v6
	buffer_store_dword v5, off, s[0:3], 0 offset:304
	buffer_store_dword v4, off, s[0:3], 0 offset:308
	;; [unrolled: 1-line block ×4, first 2 shown]
	v_cmp_gt_u32_e32 vcc, 16, v62
	s_waitcnt lgkmcnt(0)
	s_barrier
	v_add_f32_e32 v2, v6, v7
	ds_bpermute_b32 v3, v20, v2
	s_waitcnt lgkmcnt(0)
	s_and_saveexec_b64 s[4:5], vcc
	s_cbranch_execz .LBB661_207
; %bb.206:
	v_add_f32_e32 v2, v2, v3
	v_lshlrev_b32_e32 v3, 2, v61
	ds_write2st64_b32 v3, v12, v2 offset1:1
.LBB661_207:
	s_or_b64 exec, exec, s[4:5]
	v_lshlrev_b32_e32 v2, 2, v51
	s_waitcnt lgkmcnt(0)
	s_barrier
	ds_read2_b32 v[12:13], v2 offset1:16
	ds_read2_b32 v[14:15], v2 offset0:32 offset1:48
	ds_read2_b32 v[6:7], v2 offset0:64 offset1:80
	;; [unrolled: 1-line block ×3, first 2 shown]
	s_waitcnt lgkmcnt(0)
	s_barrier
	buffer_load_dword v20, off, s[0:3], 0 offset:256
	buffer_load_dword v21, off, s[0:3], 0 offset:260
	;; [unrolled: 1-line block ×16, first 2 shown]
	v_lshlrev_b32_e32 v19, 3, v1
	v_lshlrev_b32_e32 v18, 5, v51
	;; [unrolled: 1-line block ×3, first 2 shown]
	v_or3_b32 v39, v28, v18, v19
	v_max3_f32 v19, v12, s52, v13
	v_max3_f32 v19, v19, v14, v15
	v_sub_f32_e32 v12, v12, v19
	v_sub_f32_e32 v13, v13, v19
	v_mul_f32_e32 v12, 0x3fb8aa3b, v12
	v_sub_f32_e32 v14, v14, v19
	v_mul_f32_e32 v13, 0x3fb8aa3b, v13
	v_exp_f32_e32 v12, v12
	v_sub_f32_e32 v15, v15, v19
	v_mul_f32_e32 v14, 0x3fb8aa3b, v14
	v_exp_f32_e32 v13, v13
	v_mul_f32_e32 v15, 0x3fb8aa3b, v15
	v_exp_f32_e32 v14, v14
	v_exp_f32_e32 v15, v15
	v_fma_f32 v6, v12, v6, 0
	v_fmac_f32_e32 v6, v13, v7
	v_fmac_f32_e32 v6, v14, v10
	v_fmac_f32_e32 v6, v15, v11
	v_cmp_eq_u32_e32 vcc, 1, v60
	v_add_f32_e32 v10, 0x358637bd, v6
	v_cndmask_b32_e32 v12, v12, v13, vcc
	v_cmp_eq_u32_e32 vcc, 2, v60
	v_div_scale_f32 v11, s[4:5], v10, v10, 1.0
	v_cndmask_b32_e32 v7, v12, v14, vcc
	v_rcp_f32_e32 v12, v11
	v_cmp_eq_u32_e32 vcc, 3, v60
	v_cndmask_b32_e32 v7, v7, v15, vcc
	v_div_scale_f32 v13, vcc, 1.0, v10, 1.0
	v_fma_f32 v14, -v11, v12, 1.0
	v_fmac_f32_e32 v12, v14, v12
	v_mul_f32_e32 v14, v13, v12
	v_fma_f32 v15, -v11, v14, v13
	v_fmac_f32_e32 v14, v15, v12
	v_fma_f32 v11, -v11, v14, v13
	v_div_fmas_f32 v11, v11, v12, v14
	v_div_fixup_f32 v10, v11, v10, 1.0
	v_mul_f32_e32 v10, v7, v10
	s_lshl_b32 s18, s51, 3
	v_cmp_gt_u32_e32 vcc, 8, v0
	s_waitcnt vmcnt(14)
	v_pk_mul_f32 v[14:15], v[10:11], v[20:21] op_sel_hi:[0,1]
	v_cvt_f16_f32_e32 v7, v14
	s_waitcnt vmcnt(12)
	v_pk_mul_f32 v[12:13], v[10:11], v[22:23] op_sel_hi:[0,1]
	buffer_store_dword v14, off, s[0:3], 0 offset:256
	buffer_store_dword v15, off, s[0:3], 0 offset:260
	;; [unrolled: 1-line block ×3, first 2 shown]
	s_waitcnt vmcnt(13)
	v_pk_mul_f32 v[20:21], v[10:11], v[24:25] op_sel_hi:[0,1]
	v_cvt_f16_f32_e32 v14, v12
	s_waitcnt vmcnt(11)
	v_pk_mul_f32 v[22:23], v[10:11], v[26:27] op_sel_hi:[0,1]
	v_cvt_f16_f32_e32 v11, v15
	v_cvt_f16_f32_e32 v15, v13
	buffer_store_dword v13, off, s[0:3], 0 offset:268
	buffer_store_dword v22, off, s[0:3], 0 offset:272
	;; [unrolled: 1-line block ×3, first 2 shown]
	v_pack_b32_f16 v12, v7, v11
	v_cvt_f16_f32_e32 v11, v23
	v_pack_b32_f16 v13, v14, v15
	v_cvt_f16_f32_e32 v7, v22
	v_cvt_f16_f32_e32 v15, v20
	;; [unrolled: 1-line block ×3, first 2 shown]
	s_waitcnt vmcnt(12)
	v_pk_mul_f32 v[4:5], v[10:11], v[4:5] op_sel_hi:[0,1]
	v_pack_b32_f16 v14, v7, v11
	s_waitcnt vmcnt(10)
	v_pk_mul_f32 v[2:3], v[10:11], v[2:3] op_sel_hi:[0,1]
	v_pack_b32_f16 v15, v15, v22
	v_cvt_f16_f32_e32 v11, v5
	buffer_store_dword v20, off, s[0:3], 0 offset:280
	buffer_store_dword v21, off, s[0:3], 0 offset:284
	ds_write2st64_b64 v39, v[12:13], v[14:15] offset1:1
	buffer_store_dword v2, off, s[0:3], 0 offset:288
	buffer_store_dword v3, off, s[0:3], 0 offset:292
	v_cvt_f16_f32_e32 v2, v2
	v_cvt_f16_f32_e32 v3, v3
	;; [unrolled: 1-line block ×3, first 2 shown]
	buffer_store_dword v4, off, s[0:3], 0 offset:296
	buffer_store_dword v5, off, s[0:3], 0 offset:300
	s_waitcnt vmcnt(12)
	v_pk_mul_f32 v[4:5], v[10:11], v[16:17] op_sel_hi:[0,1]
	v_pk_mul_f32 v[8:9], v[10:11], v[8:9] op_sel_hi:[0,1]
	v_pack_b32_f16 v2, v2, v3
	v_pack_b32_f16 v3, v7, v11
	buffer_store_dword v8, off, s[0:3], 0 offset:304
	buffer_store_dword v9, off, s[0:3], 0 offset:308
	v_cvt_f16_f32_e32 v7, v8
	v_cvt_f16_f32_e32 v8, v9
	v_cvt_f16_f32_e32 v9, v4
	v_cvt_f16_f32_e32 v10, v5
	buffer_store_dword v4, off, s[0:3], 0 offset:312
	buffer_store_dword v5, off, s[0:3], 0 offset:316
	v_pack_b32_f16 v4, v7, v8
	v_pack_b32_f16 v5, v9, v10
	ds_write2st64_b64 v39, v[2:3], v[4:5] offset0:2 offset1:3
	s_and_saveexec_b64 s[4:5], vcc
	s_cbranch_execz .LBB661_209
; %bb.208:
	v_or_b32_e32 v2, s25, v0
	v_mov_b32_e32 v3, 0
	v_mov_b32_e32 v4, s18
	v_mad_u64_u32 v[4:5], s[6:7], s8, v4, v[2:3]
	v_mov_b32_e32 v2, s24
	s_mul_i32 s9, s9, s18
	v_mad_u64_u32 v[2:3], s[6:7], v4, s50, v[2:3]
	v_add_u32_e32 v5, s9, v5
	v_mov_b32_e32 v4, v3
	v_mad_u64_u32 v[4:5], s[6:7], v5, s50, v[4:5]
	v_mov_b32_e32 v3, v4
	v_lshlrev_b64 v[2:3], 2, v[2:3]
	v_mov_b32_e32 v5, s47
	v_add_co_u32_e32 v4, vcc, s46, v2
	v_addc_co_u32_e32 v5, vcc, v5, v3, vcc
	global_store_dword v[4:5], v19, off
	v_mov_b32_e32 v4, s45
	v_add_co_u32_e32 v2, vcc, s44, v2
	v_addc_co_u32_e32 v3, vcc, v4, v3, vcc
	global_store_dword v[2:3], v6, off
.LBB661_209:
	s_or_b64 exec, exec, s[4:5]
	v_lshl_or_b32 v30, v1, 9, v18
	s_waitcnt lgkmcnt(0)
	s_barrier
	s_load_dword s4, s[42:43], 0x0
	ds_read_b128 v[2:5], v30
	ds_read_b128 v[6:9], v30 offset:16
	ds_read_b128 v[10:13], v30 offset:2048
	;; [unrolled: 1-line block ×7, first 2 shown]
	v_mov_b32_e32 v35, 0x80
	v_mov_b32_e32 v41, 0x140
	s_mov_b64 s[10:11], -1
	s_waitcnt lgkmcnt(0)
	s_mov_b32 s5, s4
	s_mov_b32 s6, s4
	;; [unrolled: 1-line block ×3, first 2 shown]
	s_movk_i32 s9, 0x80
	s_movk_i32 s19, 0x7f
	s_mov_b32 s20, 0xffffff
	v_mov_b32_e32 v43, 0
	v_bfrev_b32_e32 v45, 60
	s_branch .LBB661_213
.LBB661_210:                            ;   in Loop: Header=BB661_213 Depth=1
	s_or_b64 exec, exec, s[16:17]
.LBB661_211:                            ;   in Loop: Header=BB661_213 Depth=1
	s_or_b64 exec, exec, s[14:15]
.LBB661_212:                            ;   in Loop: Header=BB661_213 Depth=1
	s_or_b64 exec, exec, s[12:13]
	v_cvt_pkrtz_f16_f32 v46, v46, v47
	v_cvt_pkrtz_f16_f32 v47, v44, v49
	s_xor_b64 s[12:13], s[10:11], -1
	s_mov_b64 s[10:11], 0
	v_mov_b32_e32 v59, v54
	v_mfma_f32_16x16x16f16 v[60:63], v[46:47], v[30:31], v[34:37]
	s_and_b64 vcc, exec, s[12:13]
	s_nop 5
	v_cvt_pkrtz_f16_f32 v36, v48, v57
	v_cvt_pkrtz_f16_f32 v37, v42, v58
	v_mov_b32_e32 v35, v53
	v_mov_b32_e32 v58, v55
	v_mfma_f32_16x16x16f16 v[46:49], v[36:37], v[32:33], v[60:63]
	v_mov_b32_e32 v57, v56
	s_nop 7
	s_nop 1
	v_pk_mul_f32 v[46:47], v[46:47], s[4:5]
	v_pk_mul_f32 v[36:37], v[48:49], s[6:7]
	v_cvt_f16_f32_e32 v34, v46
	v_cvt_f16_f32_e32 v38, v47
	;; [unrolled: 1-line block ×4, first 2 shown]
	v_pack_b32_f16 v34, v34, v38
	v_pack_b32_f16 v36, v36, v37
	buffer_store_dword v34, v41, s[0:3], 0 offen
	buffer_store_dword v36, v41, s[0:3], 0 offen offset:4
	v_mov_b32_e32 v41, 0x148
	s_cbranch_vccnz .LBB661_595
.LBB661_213:                            ; =>This Inner Loop Header: Depth=1
	buffer_load_dword v36, v35, s[0:3], 0 offen
	buffer_load_dword v34, v35, s[0:3], 0 offen offset:4
	buffer_load_dword v40, v35, s[0:3], 0 offen offset:8
	;; [unrolled: 1-line block ×3, first 2 shown]
	v_mov_b32_e32 v35, 0
	s_waitcnt vmcnt(3)
	v_cmp_ne_u16_sdwa s[14:15], v36, v43 src0_sel:BYTE_0 src1_sel:DWORD
	s_and_saveexec_b64 s[12:13], s[14:15]
	s_cbranch_execz .LBB661_219
; %bb.214:                              ;   in Loop: Header=BB661_213 Depth=1
	v_cmp_ne_u16_sdwa s[16:17], v36, s9 src0_sel:BYTE_0 src1_sel:DWORD
	v_bfrev_b32_e32 v35, 1
	s_and_saveexec_b64 s[14:15], s[16:17]
	s_cbranch_execz .LBB661_218
; %bb.215:                              ;   in Loop: Header=BB661_213 Depth=1
	v_and_b32_e32 v37, 0x7f, v36
	v_cmp_ne_u32_e32 vcc, s19, v37
	v_mov_b32_e32 v35, 0x7f800001
	s_and_saveexec_b64 s[16:17], vcc
	s_cbranch_execz .LBB661_217
; %bb.216:                              ;   in Loop: Header=BB661_213 Depth=1
	v_and_b32_e32 v35, 7, v36
	v_ffbh_u32_e32 v44, v35
	v_min_u32_e32 v44, 32, v44
	v_subrev_u32_e32 v46, 28, v44
	v_lshlrev_b64 v[46:47], v46, v[36:37]
	v_lshrrev_b32_e32 v42, 3, v37
	v_sub_u32_e32 v44, 29, v44
	v_and_b32_e32 v46, 7, v46
	v_cmp_gt_u32_e32 vcc, 8, v37
	v_cndmask_b32_e32 v37, v42, v44, vcc
	v_cndmask_b32_e32 v35, v35, v46, vcc
	v_lshlrev_b32_e32 v42, 24, v36
	v_lshlrev_b32_e32 v35, 20, v35
	v_and_b32_e32 v42, 0x80000000, v42
	v_lshl_add_u32 v37, v37, 23, v45
	v_or3_b32 v35, v42, v37, v35
.LBB661_217:                            ;   in Loop: Header=BB661_213 Depth=1
	s_or_b64 exec, exec, s[16:17]
.LBB661_218:                            ;   in Loop: Header=BB661_213 Depth=1
	s_or_b64 exec, exec, s[14:15]
.LBB661_219:                            ;   in Loop: Header=BB661_213 Depth=1
	s_or_b64 exec, exec, s[12:13]
	v_lshrrev_b16_e32 v42, 8, v36
	v_cmp_ne_u16_e32 vcc, 0, v42
	v_mov_b32_e32 v37, 0
	s_and_saveexec_b64 s[12:13], vcc
	s_cbranch_execz .LBB661_225
; %bb.220:                              ;   in Loop: Header=BB661_213 Depth=1
	v_cmp_ne_u16_e32 vcc, s9, v42
	v_bfrev_b32_e32 v37, 1
	s_and_saveexec_b64 s[14:15], vcc
	s_cbranch_execz .LBB661_224
; %bb.221:                              ;   in Loop: Header=BB661_213 Depth=1
	v_and_b32_e32 v44, 0x7f, v42
	v_cmp_ne_u32_e32 vcc, s19, v44
	v_mov_b32_e32 v37, 0x7f800001
	s_and_saveexec_b64 s[16:17], vcc
	s_cbranch_execz .LBB661_223
; %bb.222:                              ;   in Loop: Header=BB661_213 Depth=1
	v_and_b32_e32 v37, 7, v42
	v_ffbh_u32_e32 v46, v37
	v_min_u32_e32 v49, 32, v46
	v_subrev_u32_e32 v46, 28, v49
	v_lshlrev_b64 v[46:47], v46, v[42:43]
	v_lshrrev_b32_e32 v48, 3, v44
	v_sub_u32_e32 v42, 29, v49
	v_and_b32_e32 v46, 7, v46
	v_cmp_gt_u32_e32 vcc, 8, v44
	v_cndmask_b32_e32 v42, v48, v42, vcc
	v_cndmask_b32_e32 v37, v37, v46, vcc
	v_lshlrev_b32_e32 v44, 16, v36
	v_lshlrev_b32_e32 v37, 20, v37
	v_and_b32_e32 v44, 0x80000000, v44
	v_lshl_add_u32 v42, v42, 23, v45
	v_or3_b32 v37, v44, v42, v37
.LBB661_223:                            ;   in Loop: Header=BB661_213 Depth=1
	s_or_b64 exec, exec, s[16:17]
.LBB661_224:                            ;   in Loop: Header=BB661_213 Depth=1
	s_or_b64 exec, exec, s[14:15]
.LBB661_225:                            ;   in Loop: Header=BB661_213 Depth=1
	s_or_b64 exec, exec, s[12:13]
	v_lshrrev_b32_e32 v42, 16, v36
	v_cmp_ne_u16_sdwa s[14:15], v42, v43 src0_sel:BYTE_0 src1_sel:DWORD
	v_mov_b32_e32 v46, 0
	v_mov_b32_e32 v44, 0
	s_and_saveexec_b64 s[12:13], s[14:15]
	s_cbranch_execz .LBB661_231
; %bb.226:                              ;   in Loop: Header=BB661_213 Depth=1
	v_cmp_ne_u16_sdwa s[16:17], v42, s9 src0_sel:BYTE_0 src1_sel:DWORD
	v_bfrev_b32_e32 v44, 1
	s_and_saveexec_b64 s[14:15], s[16:17]
	s_cbranch_execz .LBB661_230
; %bb.227:                              ;   in Loop: Header=BB661_213 Depth=1
	v_bfe_u32 v47, v36, 16, 7
	v_cmp_ne_u32_e32 vcc, s19, v47
	v_mov_b32_e32 v44, 0x7f800001
	s_and_saveexec_b64 s[16:17], vcc
	s_cbranch_execz .LBB661_229
; %bb.228:                              ;   in Loop: Header=BB661_213 Depth=1
	v_and_b32_e32 v44, 7, v42
	v_ffbh_u32_e32 v48, v44
	v_min_u32_e32 v61, 32, v48
	v_subrev_u32_e32 v48, 28, v61
	v_lshlrev_b64 v[48:49], v48, v[42:43]
	v_lshrrev_b32_e32 v60, 3, v47
	v_sub_u32_e32 v49, 29, v61
	v_and_b32_e32 v48, 7, v48
	v_cmp_gt_u32_e32 vcc, 8, v47
	v_cndmask_b32_e32 v47, v60, v49, vcc
	v_cndmask_b32_e32 v44, v44, v48, vcc
	v_lshlrev_b32_e32 v42, 24, v42
	v_lshlrev_b32_e32 v44, 20, v44
	v_and_b32_e32 v42, 0x80000000, v42
	v_lshl_add_u32 v47, v47, 23, v45
	v_or3_b32 v44, v42, v47, v44
.LBB661_229:                            ;   in Loop: Header=BB661_213 Depth=1
	s_or_b64 exec, exec, s[16:17]
.LBB661_230:                            ;   in Loop: Header=BB661_213 Depth=1
	s_or_b64 exec, exec, s[14:15]
.LBB661_231:                            ;   in Loop: Header=BB661_213 Depth=1
	s_or_b64 exec, exec, s[12:13]
	v_cmp_lt_u32_e32 vcc, s20, v36
	s_and_saveexec_b64 s[12:13], vcc
	s_cbranch_execz .LBB661_237
; %bb.232:                              ;   in Loop: Header=BB661_213 Depth=1
	v_lshrrev_b32_e32 v42, 24, v36
	v_cmp_ne_u32_e32 vcc, s9, v42
	v_bfrev_b32_e32 v46, 1
	s_and_saveexec_b64 s[14:15], vcc
	s_cbranch_execz .LBB661_236
; %bb.233:                              ;   in Loop: Header=BB661_213 Depth=1
	v_bfe_u32 v36, v36, 24, 7
	v_cmp_ne_u32_e32 vcc, s19, v36
	v_mov_b32_e32 v46, 0x7f800001
	s_and_saveexec_b64 s[16:17], vcc
	s_cbranch_execz .LBB661_235
; %bb.234:                              ;   in Loop: Header=BB661_213 Depth=1
	v_and_b32_e32 v48, 7, v42
	v_ffbh_u32_e32 v46, v48
	v_min_u32_e32 v60, 32, v46
	v_subrev_u32_e32 v46, 28, v60
	v_lshlrev_b64 v[46:47], v46, v[42:43]
	v_lshrrev_b32_e32 v49, 3, v36
	v_sub_u32_e32 v47, 29, v60
	v_and_b32_e32 v46, 7, v46
	v_cmp_gt_u32_e32 vcc, 8, v36
	v_cndmask_b32_e32 v36, v49, v47, vcc
	v_cndmask_b32_e32 v46, v48, v46, vcc
	v_lshlrev_b32_e32 v42, 24, v42
	v_lshlrev_b32_e32 v46, 20, v46
	v_and_b32_e32 v42, 0x80000000, v42
	v_lshl_add_u32 v36, v36, 23, v45
	v_or3_b32 v46, v42, v36, v46
.LBB661_235:                            ;   in Loop: Header=BB661_213 Depth=1
	s_or_b64 exec, exec, s[16:17]
.LBB661_236:                            ;   in Loop: Header=BB661_213 Depth=1
	s_or_b64 exec, exec, s[14:15]
.LBB661_237:                            ;   in Loop: Header=BB661_213 Depth=1
	s_or_b64 exec, exec, s[12:13]
	s_waitcnt vmcnt(2)
	v_cmp_ne_u16_sdwa s[14:15], v34, v43 src0_sel:BYTE_0 src1_sel:DWORD
	v_mov_b32_e32 v42, 0
	v_mov_b32_e32 v47, 0
	s_and_saveexec_b64 s[12:13], s[14:15]
	s_cbranch_execz .LBB661_243
; %bb.238:                              ;   in Loop: Header=BB661_213 Depth=1
	v_cmp_ne_u16_sdwa s[16:17], v34, s9 src0_sel:BYTE_0 src1_sel:DWORD
	v_bfrev_b32_e32 v47, 1
	s_and_saveexec_b64 s[14:15], s[16:17]
	s_cbranch_execz .LBB661_242
; %bb.239:                              ;   in Loop: Header=BB661_213 Depth=1
	v_and_b32_e32 v36, 0x7f, v34
	v_cmp_ne_u32_e32 vcc, s19, v36
	v_mov_b32_e32 v47, 0x7f800001
	s_and_saveexec_b64 s[16:17], vcc
	s_cbranch_execz .LBB661_241
; %bb.240:                              ;   in Loop: Header=BB661_213 Depth=1
	v_and_b32_e32 v47, 7, v34
	v_ffbh_u32_e32 v48, v47
	v_min_u32_e32 v61, 32, v48
	v_subrev_u32_e32 v48, 28, v61
	v_lshlrev_b64 v[48:49], v48, v[34:35]
	v_lshrrev_b32_e32 v60, 3, v36
	v_sub_u32_e32 v49, 29, v61
	v_and_b32_e32 v48, 7, v48
	v_cmp_gt_u32_e32 vcc, 8, v36
	v_cndmask_b32_e32 v36, v60, v49, vcc
	v_cndmask_b32_e32 v47, v47, v48, vcc
	v_lshlrev_b32_e32 v48, 24, v34
	v_lshlrev_b32_e32 v47, 20, v47
	v_and_b32_e32 v48, 0x80000000, v48
	v_lshl_add_u32 v36, v36, 23, v45
	v_or3_b32 v47, v48, v36, v47
.LBB661_241:                            ;   in Loop: Header=BB661_213 Depth=1
	s_or_b64 exec, exec, s[16:17]
.LBB661_242:                            ;   in Loop: Header=BB661_213 Depth=1
	s_or_b64 exec, exec, s[14:15]
.LBB661_243:                            ;   in Loop: Header=BB661_213 Depth=1
	s_or_b64 exec, exec, s[12:13]
	v_lshrrev_b16_e32 v36, 8, v34
	v_cmp_ne_u16_e32 vcc, 0, v36
	s_and_saveexec_b64 s[12:13], vcc
	s_cbranch_execz .LBB661_249
; %bb.244:                              ;   in Loop: Header=BB661_213 Depth=1
	v_cmp_ne_u16_e32 vcc, s9, v36
	v_bfrev_b32_e32 v42, 1
	s_and_saveexec_b64 s[14:15], vcc
	s_cbranch_execz .LBB661_248
; %bb.245:                              ;   in Loop: Header=BB661_213 Depth=1
	v_and_b32_e32 v48, 0x7f, v36
	v_cmp_ne_u32_e32 vcc, s19, v48
	v_mov_b32_e32 v42, 0x7f800001
	s_and_saveexec_b64 s[16:17], vcc
	s_cbranch_execz .LBB661_247
; %bb.246:                              ;   in Loop: Header=BB661_213 Depth=1
	v_and_b32_e32 v42, 7, v36
	v_ffbh_u32_e32 v60, v42
	v_min_u32_e32 v62, 32, v60
	v_subrev_u32_e32 v60, 28, v62
	v_lshlrev_b64 v[60:61], v60, v[36:37]
	v_lshrrev_b32_e32 v49, 3, v48
	v_sub_u32_e32 v36, 29, v62
	v_and_b32_e32 v60, 7, v60
	v_cmp_gt_u32_e32 vcc, 8, v48
	v_cndmask_b32_e32 v36, v49, v36, vcc
	v_cndmask_b32_e32 v42, v42, v60, vcc
	v_lshlrev_b32_e32 v48, 16, v34
	v_lshlrev_b32_e32 v42, 20, v42
	v_and_b32_e32 v48, 0x80000000, v48
	v_lshl_add_u32 v36, v36, 23, v45
	v_or3_b32 v42, v48, v36, v42
.LBB661_247:                            ;   in Loop: Header=BB661_213 Depth=1
	s_or_b64 exec, exec, s[16:17]
.LBB661_248:                            ;   in Loop: Header=BB661_213 Depth=1
	s_or_b64 exec, exec, s[14:15]
.LBB661_249:                            ;   in Loop: Header=BB661_213 Depth=1
	s_or_b64 exec, exec, s[12:13]
	v_lshrrev_b32_e32 v36, 16, v34
	v_cmp_ne_u16_sdwa s[14:15], v36, v43 src0_sel:BYTE_0 src1_sel:DWORD
	v_mov_b32_e32 v49, 0
	v_mov_b32_e32 v48, 0
	s_and_saveexec_b64 s[12:13], s[14:15]
	s_cbranch_execz .LBB661_255
; %bb.250:                              ;   in Loop: Header=BB661_213 Depth=1
	v_cmp_ne_u16_sdwa s[16:17], v36, s9 src0_sel:BYTE_0 src1_sel:DWORD
	v_bfrev_b32_e32 v48, 1
	s_and_saveexec_b64 s[14:15], s[16:17]
	s_cbranch_execz .LBB661_254
; %bb.251:                              ;   in Loop: Header=BB661_213 Depth=1
	v_bfe_u32 v60, v34, 16, 7
	v_cmp_ne_u32_e32 vcc, s19, v60
	v_mov_b32_e32 v48, 0x7f800001
	s_and_saveexec_b64 s[16:17], vcc
	s_cbranch_execz .LBB661_253
; %bb.252:                              ;   in Loop: Header=BB661_213 Depth=1
	v_and_b32_e32 v48, 7, v36
	v_ffbh_u32_e32 v62, v48
	v_min_u32_e32 v64, 32, v62
	v_subrev_u32_e32 v62, 28, v64
	v_lshlrev_b64 v[62:63], v62, v[36:37]
	v_lshrrev_b32_e32 v61, 3, v60
	v_sub_u32_e32 v63, 29, v64
	v_and_b32_e32 v62, 7, v62
	v_cmp_gt_u32_e32 vcc, 8, v60
	v_cndmask_b32_e32 v60, v61, v63, vcc
	v_cndmask_b32_e32 v48, v48, v62, vcc
	v_lshlrev_b32_e32 v36, 24, v36
	v_lshlrev_b32_e32 v48, 20, v48
	v_and_b32_e32 v36, 0x80000000, v36
	v_lshl_add_u32 v60, v60, 23, v45
	v_or3_b32 v48, v36, v60, v48
.LBB661_253:                            ;   in Loop: Header=BB661_213 Depth=1
	s_or_b64 exec, exec, s[16:17]
.LBB661_254:                            ;   in Loop: Header=BB661_213 Depth=1
	s_or_b64 exec, exec, s[14:15]
.LBB661_255:                            ;   in Loop: Header=BB661_213 Depth=1
	s_or_b64 exec, exec, s[12:13]
	v_cmp_lt_u32_e32 vcc, s20, v34
	s_and_saveexec_b64 s[12:13], vcc
	s_cbranch_execz .LBB661_261
; %bb.256:                              ;   in Loop: Header=BB661_213 Depth=1
	v_lshrrev_b32_e32 v36, 24, v34
	v_cmp_ne_u32_e32 vcc, s9, v36
	v_bfrev_b32_e32 v49, 1
	s_and_saveexec_b64 s[14:15], vcc
	s_cbranch_execz .LBB661_260
; %bb.257:                              ;   in Loop: Header=BB661_213 Depth=1
	v_bfe_u32 v34, v34, 24, 7
	v_cmp_ne_u32_e32 vcc, s19, v34
	v_mov_b32_e32 v49, 0x7f800001
	s_and_saveexec_b64 s[16:17], vcc
	s_cbranch_execz .LBB661_259
; %bb.258:                              ;   in Loop: Header=BB661_213 Depth=1
	v_and_b32_e32 v49, 7, v36
	v_ffbh_u32_e32 v60, v49
	v_min_u32_e32 v63, 32, v60
	v_subrev_u32_e32 v60, 28, v63
	v_lshlrev_b64 v[60:61], v60, v[36:37]
	v_lshrrev_b32_e32 v62, 3, v34
	v_sub_u32_e32 v61, 29, v63
	v_and_b32_e32 v60, 7, v60
	v_cmp_gt_u32_e32 vcc, 8, v34
	v_cndmask_b32_e32 v34, v62, v61, vcc
	v_cndmask_b32_e32 v49, v49, v60, vcc
	v_lshlrev_b32_e32 v36, 24, v36
	v_lshlrev_b32_e32 v49, 20, v49
	v_and_b32_e32 v36, 0x80000000, v36
	v_lshl_add_u32 v34, v34, 23, v45
	v_or3_b32 v49, v36, v34, v49
.LBB661_259:                            ;   in Loop: Header=BB661_213 Depth=1
	s_or_b64 exec, exec, s[16:17]
.LBB661_260:                            ;   in Loop: Header=BB661_213 Depth=1
	s_or_b64 exec, exec, s[14:15]
.LBB661_261:                            ;   in Loop: Header=BB661_213 Depth=1
	s_or_b64 exec, exec, s[12:13]
	v_cvt_pkrtz_f16_f32 v34, v35, v37
	v_cvt_pkrtz_f16_f32 v35, v44, v46
	;; [unrolled: 1-line block ×4, first 2 shown]
	v_mov_b32_e32 v44, 0
	v_mfma_f32_16x16x16f16 v[34:37], v[34:35], v[2:3], 0
	s_waitcnt vmcnt(1)
	v_cmp_ne_u16_sdwa s[14:15], v40, v43 src0_sel:BYTE_0 src1_sel:DWORD
	v_mov_b32_e32 v46, 0
	v_mfma_f32_16x16x16f16 v[34:37], v[60:61], v[4:5], v[34:37]
	s_and_saveexec_b64 s[12:13], s[14:15]
	s_cbranch_execz .LBB661_267
; %bb.262:                              ;   in Loop: Header=BB661_213 Depth=1
	v_cmp_ne_u16_sdwa s[16:17], v40, s9 src0_sel:BYTE_0 src1_sel:DWORD
	v_bfrev_b32_e32 v46, 1
	s_and_saveexec_b64 s[14:15], s[16:17]
	s_cbranch_execz .LBB661_266
; %bb.263:                              ;   in Loop: Header=BB661_213 Depth=1
	v_and_b32_e32 v42, 0x7f, v40
	v_cmp_ne_u32_e32 vcc, s19, v42
	v_mov_b32_e32 v46, 0x7f800001
	s_and_saveexec_b64 s[16:17], vcc
	s_cbranch_execz .LBB661_265
; %bb.264:                              ;   in Loop: Header=BB661_213 Depth=1
	v_and_b32_e32 v48, 7, v40
	v_ffbh_u32_e32 v46, v48
	v_min_u32_e32 v60, 32, v46
	v_subrev_u32_e32 v46, 28, v60
	v_lshlrev_b64 v[46:47], v46, v[40:41]
	v_lshrrev_b32_e32 v49, 3, v42
	v_sub_u32_e32 v47, 29, v60
	v_and_b32_e32 v46, 7, v46
	v_cmp_gt_u32_e32 vcc, 8, v42
	v_cndmask_b32_e32 v42, v49, v47, vcc
	v_cndmask_b32_e32 v46, v48, v46, vcc
	v_lshlrev_b32_e32 v47, 24, v40
	v_lshlrev_b32_e32 v46, 20, v46
	v_and_b32_e32 v47, 0x80000000, v47
	v_lshl_add_u32 v42, v42, 23, v45
	v_or3_b32 v46, v47, v42, v46
.LBB661_265:                            ;   in Loop: Header=BB661_213 Depth=1
	s_or_b64 exec, exec, s[16:17]
.LBB661_266:                            ;   in Loop: Header=BB661_213 Depth=1
	s_or_b64 exec, exec, s[14:15]
.LBB661_267:                            ;   in Loop: Header=BB661_213 Depth=1
	s_or_b64 exec, exec, s[12:13]
	v_lshrrev_b16_e32 v42, 8, v40
	v_cmp_ne_u16_e32 vcc, 0, v42
	v_mov_b32_e32 v48, 0
	s_and_saveexec_b64 s[12:13], vcc
	s_cbranch_execz .LBB661_273
; %bb.268:                              ;   in Loop: Header=BB661_213 Depth=1
	v_cmp_ne_u16_e32 vcc, s9, v42
	v_bfrev_b32_e32 v48, 1
	s_and_saveexec_b64 s[14:15], vcc
	s_cbranch_execz .LBB661_272
; %bb.269:                              ;   in Loop: Header=BB661_213 Depth=1
	v_and_b32_e32 v47, 0x7f, v42
	v_cmp_ne_u32_e32 vcc, s19, v47
	v_mov_b32_e32 v48, 0x7f800001
	s_and_saveexec_b64 s[16:17], vcc
	s_cbranch_execz .LBB661_271
; %bb.270:                              ;   in Loop: Header=BB661_213 Depth=1
	v_and_b32_e32 v60, 7, v42
	v_ffbh_u32_e32 v48, v60
	v_min_u32_e32 v62, 32, v48
	v_subrev_u32_e32 v48, 28, v62
	v_lshlrev_b64 v[48:49], v48, v[42:43]
	v_lshrrev_b32_e32 v61, 3, v47
	v_sub_u32_e32 v42, 29, v62
	v_and_b32_e32 v48, 7, v48
	v_cmp_gt_u32_e32 vcc, 8, v47
	v_cndmask_b32_e32 v42, v61, v42, vcc
	v_cndmask_b32_e32 v47, v60, v48, vcc
	v_lshlrev_b32_e32 v48, 16, v40
	v_lshlrev_b32_e32 v47, 20, v47
	v_and_b32_e32 v48, 0x80000000, v48
	v_lshl_add_u32 v42, v42, 23, v45
	v_or3_b32 v48, v48, v42, v47
.LBB661_271:                            ;   in Loop: Header=BB661_213 Depth=1
	s_or_b64 exec, exec, s[16:17]
.LBB661_272:                            ;   in Loop: Header=BB661_213 Depth=1
	s_or_b64 exec, exec, s[14:15]
.LBB661_273:                            ;   in Loop: Header=BB661_213 Depth=1
	s_or_b64 exec, exec, s[12:13]
	v_lshrrev_b32_e32 v42, 16, v40
	v_cmp_ne_u16_sdwa s[14:15], v42, v43 src0_sel:BYTE_0 src1_sel:DWORD
	s_and_saveexec_b64 s[12:13], s[14:15]
	s_cbranch_execz .LBB661_279
; %bb.274:                              ;   in Loop: Header=BB661_213 Depth=1
	v_cmp_ne_u16_sdwa s[16:17], v42, s9 src0_sel:BYTE_0 src1_sel:DWORD
	v_bfrev_b32_e32 v44, 1
	s_and_saveexec_b64 s[14:15], s[16:17]
	s_cbranch_execz .LBB661_278
; %bb.275:                              ;   in Loop: Header=BB661_213 Depth=1
	v_bfe_u32 v47, v40, 16, 7
	v_cmp_ne_u32_e32 vcc, s19, v47
	v_mov_b32_e32 v44, 0x7f800001
	s_and_saveexec_b64 s[16:17], vcc
	s_cbranch_execz .LBB661_277
; %bb.276:                              ;   in Loop: Header=BB661_213 Depth=1
	v_and_b32_e32 v44, 7, v42
	v_ffbh_u32_e32 v60, v44
	v_min_u32_e32 v62, 32, v60
	v_subrev_u32_e32 v60, 28, v62
	v_lshlrev_b64 v[60:61], v60, v[42:43]
	v_lshrrev_b32_e32 v49, 3, v47
	v_sub_u32_e32 v61, 29, v62
	v_and_b32_e32 v60, 7, v60
	v_cmp_gt_u32_e32 vcc, 8, v47
	v_cndmask_b32_e32 v47, v49, v61, vcc
	v_cndmask_b32_e32 v44, v44, v60, vcc
	v_lshlrev_b32_e32 v42, 24, v42
	v_lshlrev_b32_e32 v44, 20, v44
	v_and_b32_e32 v42, 0x80000000, v42
	v_lshl_add_u32 v47, v47, 23, v45
	v_or3_b32 v44, v42, v47, v44
.LBB661_277:                            ;   in Loop: Header=BB661_213 Depth=1
	s_or_b64 exec, exec, s[16:17]
.LBB661_278:                            ;   in Loop: Header=BB661_213 Depth=1
	s_or_b64 exec, exec, s[14:15]
.LBB661_279:                            ;   in Loop: Header=BB661_213 Depth=1
	s_or_b64 exec, exec, s[12:13]
	v_cmp_lt_u32_e32 vcc, s20, v40
	v_mov_b32_e32 v49, 0
	v_mov_b32_e32 v60, 0
	s_and_saveexec_b64 s[12:13], vcc
	s_cbranch_execz .LBB661_285
; %bb.280:                              ;   in Loop: Header=BB661_213 Depth=1
	v_lshrrev_b32_e32 v42, 24, v40
	v_cmp_ne_u32_e32 vcc, s9, v42
	v_bfrev_b32_e32 v60, 1
	s_and_saveexec_b64 s[14:15], vcc
	s_cbranch_execz .LBB661_284
; %bb.281:                              ;   in Loop: Header=BB661_213 Depth=1
	v_bfe_u32 v40, v40, 24, 7
	v_cmp_ne_u32_e32 vcc, s19, v40
	v_mov_b32_e32 v60, 0x7f800001
	s_and_saveexec_b64 s[16:17], vcc
	s_cbranch_execz .LBB661_283
; %bb.282:                              ;   in Loop: Header=BB661_213 Depth=1
	v_and_b32_e32 v47, 7, v42
	v_ffbh_u32_e32 v60, v47
	v_min_u32_e32 v63, 32, v60
	v_subrev_u32_e32 v60, 28, v63
	v_lshlrev_b64 v[60:61], v60, v[42:43]
	v_lshrrev_b32_e32 v62, 3, v40
	v_sub_u32_e32 v61, 29, v63
	v_and_b32_e32 v60, 7, v60
	v_cmp_gt_u32_e32 vcc, 8, v40
	v_cndmask_b32_e32 v40, v62, v61, vcc
	v_cndmask_b32_e32 v47, v47, v60, vcc
	v_lshlrev_b32_e32 v42, 24, v42
	v_lshlrev_b32_e32 v47, 20, v47
	v_and_b32_e32 v42, 0x80000000, v42
	v_lshl_add_u32 v40, v40, 23, v45
	v_or3_b32 v60, v42, v40, v47
.LBB661_283:                            ;   in Loop: Header=BB661_213 Depth=1
	s_or_b64 exec, exec, s[16:17]
.LBB661_284:                            ;   in Loop: Header=BB661_213 Depth=1
	s_or_b64 exec, exec, s[14:15]
.LBB661_285:                            ;   in Loop: Header=BB661_213 Depth=1
	s_or_b64 exec, exec, s[12:13]
	s_waitcnt vmcnt(0)
	v_cmp_ne_u16_sdwa s[14:15], v38, v43 src0_sel:BYTE_0 src1_sel:DWORD
	s_and_saveexec_b64 s[12:13], s[14:15]
	s_cbranch_execz .LBB661_291
; %bb.286:                              ;   in Loop: Header=BB661_213 Depth=1
	v_cmp_ne_u16_sdwa s[16:17], v38, s9 src0_sel:BYTE_0 src1_sel:DWORD
	v_bfrev_b32_e32 v49, 1
	s_and_saveexec_b64 s[14:15], s[16:17]
	s_cbranch_execz .LBB661_290
; %bb.287:                              ;   in Loop: Header=BB661_213 Depth=1
	v_and_b32_e32 v40, 0x7f, v38
	v_cmp_ne_u32_e32 vcc, s19, v40
	v_mov_b32_e32 v49, 0x7f800001
	s_and_saveexec_b64 s[16:17], vcc
	s_cbranch_execz .LBB661_289
; %bb.288:                              ;   in Loop: Header=BB661_213 Depth=1
	v_and_b32_e32 v42, 7, v38
	v_ffbh_u32_e32 v49, v42
	v_min_u32_e32 v49, 32, v49
	v_subrev_u32_e32 v61, 28, v49
	v_lshlrev_b64 v[62:63], v61, v[38:39]
	v_lshrrev_b32_e32 v47, 3, v40
	v_sub_u32_e32 v49, 29, v49
	v_and_b32_e32 v61, 7, v62
	v_cmp_gt_u32_e32 vcc, 8, v40
	v_cndmask_b32_e32 v40, v47, v49, vcc
	v_cndmask_b32_e32 v42, v42, v61, vcc
	v_lshlrev_b32_e32 v47, 24, v38
	v_lshlrev_b32_e32 v42, 20, v42
	v_and_b32_e32 v47, 0x80000000, v47
	v_lshl_add_u32 v40, v40, 23, v45
	v_or3_b32 v49, v47, v40, v42
.LBB661_289:                            ;   in Loop: Header=BB661_213 Depth=1
	s_or_b64 exec, exec, s[16:17]
.LBB661_290:                            ;   in Loop: Header=BB661_213 Depth=1
	s_or_b64 exec, exec, s[14:15]
.LBB661_291:                            ;   in Loop: Header=BB661_213 Depth=1
	s_or_b64 exec, exec, s[12:13]
	v_lshrrev_b16_e32 v40, 8, v38
	v_cmp_ne_u16_e32 vcc, 0, v40
	v_mov_b32_e32 v61, 0
	v_mov_b32_e32 v62, 0
	s_and_saveexec_b64 s[12:13], vcc
	s_cbranch_execz .LBB661_297
; %bb.292:                              ;   in Loop: Header=BB661_213 Depth=1
	v_cmp_ne_u16_e32 vcc, s9, v40
	v_bfrev_b32_e32 v62, 1
	s_and_saveexec_b64 s[14:15], vcc
	s_cbranch_execz .LBB661_296
; %bb.293:                              ;   in Loop: Header=BB661_213 Depth=1
	v_and_b32_e32 v42, 0x7f, v40
	v_cmp_ne_u32_e32 vcc, s19, v42
	v_mov_b32_e32 v62, 0x7f800001
	s_and_saveexec_b64 s[16:17], vcc
	s_cbranch_execz .LBB661_295
; %bb.294:                              ;   in Loop: Header=BB661_213 Depth=1
	v_and_b32_e32 v47, 7, v40
	v_ffbh_u32_e32 v62, v47
	v_min_u32_e32 v65, 32, v62
	v_subrev_u32_e32 v62, 28, v65
	v_lshlrev_b64 v[62:63], v62, v[40:41]
	v_lshrrev_b32_e32 v64, 3, v42
	v_sub_u32_e32 v40, 29, v65
	v_and_b32_e32 v62, 7, v62
	v_cmp_gt_u32_e32 vcc, 8, v42
	v_cndmask_b32_e32 v40, v64, v40, vcc
	v_cndmask_b32_e32 v42, v47, v62, vcc
	v_lshlrev_b32_e32 v47, 16, v38
	v_lshlrev_b32_e32 v42, 20, v42
	v_and_b32_e32 v47, 0x80000000, v47
	v_lshl_add_u32 v40, v40, 23, v45
	v_or3_b32 v62, v47, v40, v42
.LBB661_295:                            ;   in Loop: Header=BB661_213 Depth=1
	s_or_b64 exec, exec, s[16:17]
.LBB661_296:                            ;   in Loop: Header=BB661_213 Depth=1
	s_or_b64 exec, exec, s[14:15]
.LBB661_297:                            ;   in Loop: Header=BB661_213 Depth=1
	s_or_b64 exec, exec, s[12:13]
	v_lshrrev_b32_e32 v40, 16, v38
	v_cmp_ne_u16_sdwa s[14:15], v40, v43 src0_sel:BYTE_0 src1_sel:DWORD
	s_and_saveexec_b64 s[12:13], s[14:15]
	s_cbranch_execz .LBB661_303
; %bb.298:                              ;   in Loop: Header=BB661_213 Depth=1
	v_cmp_ne_u16_sdwa s[16:17], v40, s9 src0_sel:BYTE_0 src1_sel:DWORD
	v_bfrev_b32_e32 v61, 1
	s_and_saveexec_b64 s[14:15], s[16:17]
	s_cbranch_execz .LBB661_302
; %bb.299:                              ;   in Loop: Header=BB661_213 Depth=1
	v_bfe_u32 v42, v38, 16, 7
	v_cmp_ne_u32_e32 vcc, s19, v42
	v_mov_b32_e32 v61, 0x7f800001
	s_and_saveexec_b64 s[16:17], vcc
	s_cbranch_execz .LBB661_301
; %bb.300:                              ;   in Loop: Header=BB661_213 Depth=1
	v_and_b32_e32 v47, 7, v40
	v_ffbh_u32_e32 v63, v47
	v_min_u32_e32 v63, 32, v63
	v_subrev_u32_e32 v64, 28, v63
	v_lshlrev_b64 v[64:65], v64, v[40:41]
	v_lshrrev_b32_e32 v61, 3, v42
	v_sub_u32_e32 v63, 29, v63
	v_and_b32_e32 v64, 7, v64
	v_cmp_gt_u32_e32 vcc, 8, v42
	v_cndmask_b32_e32 v42, v61, v63, vcc
	v_cndmask_b32_e32 v47, v47, v64, vcc
	v_lshlrev_b32_e32 v40, 24, v40
	v_lshlrev_b32_e32 v47, 20, v47
	v_and_b32_e32 v40, 0x80000000, v40
	v_lshl_add_u32 v42, v42, 23, v45
	v_or3_b32 v61, v40, v42, v47
.LBB661_301:                            ;   in Loop: Header=BB661_213 Depth=1
	s_or_b64 exec, exec, s[16:17]
.LBB661_302:                            ;   in Loop: Header=BB661_213 Depth=1
	s_or_b64 exec, exec, s[14:15]
.LBB661_303:                            ;   in Loop: Header=BB661_213 Depth=1
	s_or_b64 exec, exec, s[12:13]
	v_cmp_lt_u32_e32 vcc, s20, v38
	v_mov_b32_e32 v47, 0
	v_mov_b32_e32 v63, 0
	s_and_saveexec_b64 s[12:13], vcc
	s_cbranch_execz .LBB661_309
; %bb.304:                              ;   in Loop: Header=BB661_213 Depth=1
	v_lshrrev_b32_e32 v40, 24, v38
	v_cmp_ne_u32_e32 vcc, s9, v40
	v_bfrev_b32_e32 v63, 1
	s_and_saveexec_b64 s[14:15], vcc
	s_cbranch_execz .LBB661_308
; %bb.305:                              ;   in Loop: Header=BB661_213 Depth=1
	v_bfe_u32 v38, v38, 24, 7
	v_cmp_ne_u32_e32 vcc, s19, v38
	v_mov_b32_e32 v63, 0x7f800001
	s_and_saveexec_b64 s[16:17], vcc
	s_cbranch_execz .LBB661_307
; %bb.306:                              ;   in Loop: Header=BB661_213 Depth=1
	v_and_b32_e32 v42, 7, v40
	v_ffbh_u32_e32 v64, v42
	v_min_u32_e32 v66, 32, v64
	v_subrev_u32_e32 v64, 28, v66
	v_lshlrev_b64 v[64:65], v64, v[40:41]
	v_lshrrev_b32_e32 v63, 3, v38
	v_sub_u32_e32 v65, 29, v66
	v_and_b32_e32 v64, 7, v64
	v_cmp_gt_u32_e32 vcc, 8, v38
	v_cndmask_b32_e32 v38, v63, v65, vcc
	v_cndmask_b32_e32 v42, v42, v64, vcc
	v_lshlrev_b32_e32 v40, 24, v40
	v_lshlrev_b32_e32 v42, 20, v42
	v_and_b32_e32 v40, 0x80000000, v40
	v_lshl_add_u32 v38, v38, 23, v45
	v_or3_b32 v63, v40, v38, v42
.LBB661_307:                            ;   in Loop: Header=BB661_213 Depth=1
	s_or_b64 exec, exec, s[16:17]
.LBB661_308:                            ;   in Loop: Header=BB661_213 Depth=1
	s_or_b64 exec, exec, s[14:15]
.LBB661_309:                            ;   in Loop: Header=BB661_213 Depth=1
	s_or_b64 exec, exec, s[12:13]
	v_cvt_pkrtz_f16_f32 v65, v44, v60
	buffer_load_dword v44, v59, s[0:3], 0 offen
	buffer_load_dword v42, v59, s[0:3], 0 offen offset:4
	buffer_load_dword v40, v59, s[0:3], 0 offen offset:8
	;; [unrolled: 1-line block ×3, first 2 shown]
	v_cvt_pkrtz_f16_f32 v64, v46, v48
	v_cvt_pkrtz_f16_f32 v48, v49, v62
	;; [unrolled: 1-line block ×3, first 2 shown]
	v_mfma_f32_16x16x16f16 v[34:37], v[64:65], v[6:7], v[34:37]
	s_waitcnt vmcnt(3)
	v_cmp_ne_u16_sdwa s[14:15], v44, v43 src0_sel:BYTE_0 src1_sel:DWORD
	v_mfma_f32_16x16x16f16 v[34:37], v[48:49], v[8:9], v[34:37]
	s_and_saveexec_b64 s[12:13], s[14:15]
	s_cbranch_execz .LBB661_315
; %bb.310:                              ;   in Loop: Header=BB661_213 Depth=1
	v_cmp_ne_u16_sdwa s[16:17], v44, s9 src0_sel:BYTE_0 src1_sel:DWORD
	v_bfrev_b32_e32 v47, 1
	s_and_saveexec_b64 s[14:15], s[16:17]
	s_cbranch_execz .LBB661_314
; %bb.311:                              ;   in Loop: Header=BB661_213 Depth=1
	v_and_b32_e32 v46, 0x7f, v44
	v_cmp_ne_u32_e32 vcc, s19, v46
	v_mov_b32_e32 v47, 0x7f800001
	s_and_saveexec_b64 s[16:17], vcc
	s_cbranch_execz .LBB661_313
; %bb.312:                              ;   in Loop: Header=BB661_213 Depth=1
	v_and_b32_e32 v47, 7, v44
	v_ffbh_u32_e32 v48, v47
	v_min_u32_e32 v60, 32, v48
	v_subrev_u32_e32 v48, 28, v60
	v_lshlrev_b64 v[48:49], v48, v[44:45]
	v_lshrrev_b32_e32 v59, 3, v46
	v_sub_u32_e32 v49, 29, v60
	v_and_b32_e32 v48, 7, v48
	v_cmp_gt_u32_e32 vcc, 8, v46
	v_cndmask_b32_e32 v46, v59, v49, vcc
	v_cndmask_b32_e32 v47, v47, v48, vcc
	v_lshlrev_b32_e32 v48, 24, v44
	v_lshlrev_b32_e32 v47, 20, v47
	v_and_b32_e32 v48, 0x80000000, v48
	v_lshl_add_u32 v46, v46, 23, v45
	v_or3_b32 v47, v48, v46, v47
.LBB661_313:                            ;   in Loop: Header=BB661_213 Depth=1
	s_or_b64 exec, exec, s[16:17]
.LBB661_314:                            ;   in Loop: Header=BB661_213 Depth=1
	s_or_b64 exec, exec, s[14:15]
.LBB661_315:                            ;   in Loop: Header=BB661_213 Depth=1
	s_or_b64 exec, exec, s[12:13]
	v_lshrrev_b16_e32 v46, 8, v44
	v_cmp_ne_u16_e32 vcc, 0, v46
	v_mov_b32_e32 v48, 0
	v_mov_b32_e32 v49, 0
	s_and_saveexec_b64 s[12:13], vcc
	s_cbranch_execz .LBB661_321
; %bb.316:                              ;   in Loop: Header=BB661_213 Depth=1
	v_cmp_ne_u16_e32 vcc, s9, v46
	v_bfrev_b32_e32 v49, 1
	s_and_saveexec_b64 s[14:15], vcc
	s_cbranch_execz .LBB661_320
; %bb.317:                              ;   in Loop: Header=BB661_213 Depth=1
	v_and_b32_e32 v59, 0x7f, v46
	v_cmp_ne_u32_e32 vcc, s19, v59
	v_mov_b32_e32 v49, 0x7f800001
	s_and_saveexec_b64 s[16:17], vcc
	s_cbranch_execz .LBB661_319
; %bb.318:                              ;   in Loop: Header=BB661_213 Depth=1
	v_and_b32_e32 v49, 7, v46
	v_ffbh_u32_e32 v60, v49
	v_min_u32_e32 v63, 32, v60
	v_subrev_u32_e32 v60, 28, v63
	v_lshlrev_b64 v[60:61], v60, v[46:47]
	v_lshrrev_b32_e32 v62, 3, v59
	v_sub_u32_e32 v46, 29, v63
	v_and_b32_e32 v60, 7, v60
	v_cmp_gt_u32_e32 vcc, 8, v59
	v_cndmask_b32_e32 v46, v62, v46, vcc
	v_cndmask_b32_e32 v49, v49, v60, vcc
	v_lshlrev_b32_e32 v59, 16, v44
	v_lshlrev_b32_e32 v49, 20, v49
	v_and_b32_e32 v59, 0x80000000, v59
	v_lshl_add_u32 v46, v46, 23, v45
	v_or3_b32 v49, v59, v46, v49
.LBB661_319:                            ;   in Loop: Header=BB661_213 Depth=1
	s_or_b64 exec, exec, s[16:17]
.LBB661_320:                            ;   in Loop: Header=BB661_213 Depth=1
	s_or_b64 exec, exec, s[14:15]
.LBB661_321:                            ;   in Loop: Header=BB661_213 Depth=1
	s_or_b64 exec, exec, s[12:13]
	v_lshrrev_b32_e32 v46, 16, v44
	v_cmp_ne_u16_sdwa s[14:15], v46, v43 src0_sel:BYTE_0 src1_sel:DWORD
	s_and_saveexec_b64 s[12:13], s[14:15]
	s_cbranch_execz .LBB661_327
; %bb.322:                              ;   in Loop: Header=BB661_213 Depth=1
	v_cmp_ne_u16_sdwa s[16:17], v46, s9 src0_sel:BYTE_0 src1_sel:DWORD
	v_bfrev_b32_e32 v48, 1
	s_and_saveexec_b64 s[14:15], s[16:17]
	s_cbranch_execz .LBB661_326
; %bb.323:                              ;   in Loop: Header=BB661_213 Depth=1
	v_bfe_u32 v59, v44, 16, 7
	v_cmp_ne_u32_e32 vcc, s19, v59
	v_mov_b32_e32 v48, 0x7f800001
	s_and_saveexec_b64 s[16:17], vcc
	s_cbranch_execz .LBB661_325
; %bb.324:                              ;   in Loop: Header=BB661_213 Depth=1
	v_and_b32_e32 v48, 7, v46
	v_ffbh_u32_e32 v60, v48
	v_min_u32_e32 v63, 32, v60
	v_subrev_u32_e32 v60, 28, v63
	v_lshlrev_b64 v[60:61], v60, v[46:47]
	v_lshrrev_b32_e32 v62, 3, v59
	v_sub_u32_e32 v61, 29, v63
	v_and_b32_e32 v60, 7, v60
	v_cmp_gt_u32_e32 vcc, 8, v59
	v_cndmask_b32_e32 v59, v62, v61, vcc
	v_cndmask_b32_e32 v48, v48, v60, vcc
	v_lshlrev_b32_e32 v46, 24, v46
	v_lshlrev_b32_e32 v48, 20, v48
	v_and_b32_e32 v46, 0x80000000, v46
	v_lshl_add_u32 v59, v59, 23, v45
	v_or3_b32 v48, v46, v59, v48
.LBB661_325:                            ;   in Loop: Header=BB661_213 Depth=1
	s_or_b64 exec, exec, s[16:17]
.LBB661_326:                            ;   in Loop: Header=BB661_213 Depth=1
	s_or_b64 exec, exec, s[14:15]
.LBB661_327:                            ;   in Loop: Header=BB661_213 Depth=1
	s_or_b64 exec, exec, s[12:13]
	v_cmp_lt_u32_e32 vcc, s20, v44
	v_mov_b32_e32 v59, 0
	v_mov_b32_e32 v60, 0
	s_and_saveexec_b64 s[12:13], vcc
	s_cbranch_execz .LBB661_333
; %bb.328:                              ;   in Loop: Header=BB661_213 Depth=1
	v_lshrrev_b32_e32 v46, 24, v44
	v_cmp_ne_u32_e32 vcc, s9, v46
	v_bfrev_b32_e32 v60, 1
	s_and_saveexec_b64 s[14:15], vcc
	s_cbranch_execz .LBB661_332
; %bb.329:                              ;   in Loop: Header=BB661_213 Depth=1
	v_bfe_u32 v44, v44, 24, 7
	v_cmp_ne_u32_e32 vcc, s19, v44
	v_mov_b32_e32 v60, 0x7f800001
	s_and_saveexec_b64 s[16:17], vcc
	s_cbranch_execz .LBB661_331
; %bb.330:                              ;   in Loop: Header=BB661_213 Depth=1
	v_and_b32_e32 v62, 7, v46
	v_ffbh_u32_e32 v60, v62
	v_min_u32_e32 v64, 32, v60
	v_subrev_u32_e32 v60, 28, v64
	v_lshlrev_b64 v[60:61], v60, v[46:47]
	v_lshrrev_b32_e32 v63, 3, v44
	v_sub_u32_e32 v61, 29, v64
	v_and_b32_e32 v60, 7, v60
	v_cmp_gt_u32_e32 vcc, 8, v44
	v_cndmask_b32_e32 v44, v63, v61, vcc
	v_cndmask_b32_e32 v60, v62, v60, vcc
	v_lshlrev_b32_e32 v46, 24, v46
	v_lshlrev_b32_e32 v60, 20, v60
	v_and_b32_e32 v46, 0x80000000, v46
	v_lshl_add_u32 v44, v44, 23, v45
	v_or3_b32 v60, v46, v44, v60
.LBB661_331:                            ;   in Loop: Header=BB661_213 Depth=1
	s_or_b64 exec, exec, s[16:17]
.LBB661_332:                            ;   in Loop: Header=BB661_213 Depth=1
	s_or_b64 exec, exec, s[14:15]
.LBB661_333:                            ;   in Loop: Header=BB661_213 Depth=1
	s_or_b64 exec, exec, s[12:13]
	s_waitcnt vmcnt(2)
	v_cmp_ne_u16_sdwa s[14:15], v42, v43 src0_sel:BYTE_0 src1_sel:DWORD
	s_and_saveexec_b64 s[12:13], s[14:15]
	s_cbranch_execz .LBB661_339
; %bb.334:                              ;   in Loop: Header=BB661_213 Depth=1
	v_cmp_ne_u16_sdwa s[16:17], v42, s9 src0_sel:BYTE_0 src1_sel:DWORD
	v_bfrev_b32_e32 v59, 1
	s_and_saveexec_b64 s[14:15], s[16:17]
	s_cbranch_execz .LBB661_338
; %bb.335:                              ;   in Loop: Header=BB661_213 Depth=1
	v_and_b32_e32 v44, 0x7f, v42
	v_cmp_ne_u32_e32 vcc, s19, v44
	v_mov_b32_e32 v59, 0x7f800001
	s_and_saveexec_b64 s[16:17], vcc
	s_cbranch_execz .LBB661_337
; %bb.336:                              ;   in Loop: Header=BB661_213 Depth=1
	v_and_b32_e32 v46, 7, v42
	v_ffbh_u32_e32 v61, v46
	v_min_u32_e32 v61, 32, v61
	v_subrev_u32_e32 v62, 28, v61
	v_lshlrev_b64 v[62:63], v62, v[42:43]
	v_lshrrev_b32_e32 v59, 3, v44
	v_sub_u32_e32 v61, 29, v61
	v_and_b32_e32 v62, 7, v62
	v_cmp_gt_u32_e32 vcc, 8, v44
	v_cndmask_b32_e32 v44, v59, v61, vcc
	v_cndmask_b32_e32 v46, v46, v62, vcc
	v_lshlrev_b32_e32 v59, 24, v42
	v_lshlrev_b32_e32 v46, 20, v46
	v_and_b32_e32 v59, 0x80000000, v59
	v_lshl_add_u32 v44, v44, 23, v45
	v_or3_b32 v59, v59, v44, v46
.LBB661_337:                            ;   in Loop: Header=BB661_213 Depth=1
	s_or_b64 exec, exec, s[16:17]
.LBB661_338:                            ;   in Loop: Header=BB661_213 Depth=1
	s_or_b64 exec, exec, s[14:15]
.LBB661_339:                            ;   in Loop: Header=BB661_213 Depth=1
	s_or_b64 exec, exec, s[12:13]
	v_lshrrev_b16_e32 v44, 8, v42
	v_cmp_ne_u16_e32 vcc, 0, v44
	v_mov_b32_e32 v61, 0
	v_mov_b32_e32 v62, 0
	s_and_saveexec_b64 s[12:13], vcc
	s_cbranch_execz .LBB661_345
; %bb.340:                              ;   in Loop: Header=BB661_213 Depth=1
	v_cmp_ne_u16_e32 vcc, s9, v44
	v_bfrev_b32_e32 v62, 1
	s_and_saveexec_b64 s[14:15], vcc
	s_cbranch_execz .LBB661_344
; %bb.341:                              ;   in Loop: Header=BB661_213 Depth=1
	v_and_b32_e32 v46, 0x7f, v44
	v_cmp_ne_u32_e32 vcc, s19, v46
	v_mov_b32_e32 v62, 0x7f800001
	s_and_saveexec_b64 s[16:17], vcc
	s_cbranch_execz .LBB661_343
; %bb.342:                              ;   in Loop: Header=BB661_213 Depth=1
	v_and_b32_e32 v64, 7, v44
	v_ffbh_u32_e32 v62, v64
	v_min_u32_e32 v66, 32, v62
	v_subrev_u32_e32 v62, 28, v66
	v_lshlrev_b64 v[62:63], v62, v[44:45]
	v_lshrrev_b32_e32 v65, 3, v46
	v_sub_u32_e32 v44, 29, v66
	v_and_b32_e32 v62, 7, v62
	v_cmp_gt_u32_e32 vcc, 8, v46
	v_cndmask_b32_e32 v44, v65, v44, vcc
	v_cndmask_b32_e32 v46, v64, v62, vcc
	v_lshlrev_b32_e32 v62, 16, v42
	v_lshlrev_b32_e32 v46, 20, v46
	v_and_b32_e32 v62, 0x80000000, v62
	v_lshl_add_u32 v44, v44, 23, v45
	v_or3_b32 v62, v62, v44, v46
.LBB661_343:                            ;   in Loop: Header=BB661_213 Depth=1
	s_or_b64 exec, exec, s[16:17]
.LBB661_344:                            ;   in Loop: Header=BB661_213 Depth=1
	s_or_b64 exec, exec, s[14:15]
.LBB661_345:                            ;   in Loop: Header=BB661_213 Depth=1
	s_or_b64 exec, exec, s[12:13]
	v_lshrrev_b32_e32 v44, 16, v42
	v_cmp_ne_u16_sdwa s[14:15], v44, v43 src0_sel:BYTE_0 src1_sel:DWORD
	s_and_saveexec_b64 s[12:13], s[14:15]
	s_cbranch_execz .LBB661_351
; %bb.346:                              ;   in Loop: Header=BB661_213 Depth=1
	v_cmp_ne_u16_sdwa s[16:17], v44, s9 src0_sel:BYTE_0 src1_sel:DWORD
	v_bfrev_b32_e32 v61, 1
	s_and_saveexec_b64 s[14:15], s[16:17]
	s_cbranch_execz .LBB661_350
; %bb.347:                              ;   in Loop: Header=BB661_213 Depth=1
	v_bfe_u32 v46, v42, 16, 7
	v_cmp_ne_u32_e32 vcc, s19, v46
	v_mov_b32_e32 v61, 0x7f800001
	s_and_saveexec_b64 s[16:17], vcc
	s_cbranch_execz .LBB661_349
; %bb.348:                              ;   in Loop: Header=BB661_213 Depth=1
	v_and_b32_e32 v61, 7, v44
	v_ffbh_u32_e32 v64, v61
	v_min_u32_e32 v66, 32, v64
	v_subrev_u32_e32 v64, 28, v66
	v_lshlrev_b64 v[64:65], v64, v[44:45]
	v_lshrrev_b32_e32 v63, 3, v46
	v_sub_u32_e32 v65, 29, v66
	v_and_b32_e32 v64, 7, v64
	v_cmp_gt_u32_e32 vcc, 8, v46
	v_cndmask_b32_e32 v46, v63, v65, vcc
	v_cndmask_b32_e32 v61, v61, v64, vcc
	v_lshlrev_b32_e32 v44, 24, v44
	v_lshlrev_b32_e32 v61, 20, v61
	v_and_b32_e32 v44, 0x80000000, v44
	v_lshl_add_u32 v46, v46, 23, v45
	v_or3_b32 v61, v44, v46, v61
.LBB661_349:                            ;   in Loop: Header=BB661_213 Depth=1
	s_or_b64 exec, exec, s[16:17]
.LBB661_350:                            ;   in Loop: Header=BB661_213 Depth=1
	s_or_b64 exec, exec, s[14:15]
.LBB661_351:                            ;   in Loop: Header=BB661_213 Depth=1
	s_or_b64 exec, exec, s[12:13]
	v_cmp_lt_u32_e32 vcc, s20, v42
	v_mov_b32_e32 v46, 0
	v_mov_b32_e32 v63, 0
	s_and_saveexec_b64 s[12:13], vcc
	s_cbranch_execz .LBB661_357
; %bb.352:                              ;   in Loop: Header=BB661_213 Depth=1
	v_lshrrev_b32_e32 v44, 24, v42
	v_cmp_ne_u32_e32 vcc, s9, v44
	v_bfrev_b32_e32 v63, 1
	s_and_saveexec_b64 s[14:15], vcc
	s_cbranch_execz .LBB661_356
; %bb.353:                              ;   in Loop: Header=BB661_213 Depth=1
	v_bfe_u32 v42, v42, 24, 7
	v_cmp_ne_u32_e32 vcc, s19, v42
	v_mov_b32_e32 v63, 0x7f800001
	s_and_saveexec_b64 s[16:17], vcc
	s_cbranch_execz .LBB661_355
; %bb.354:                              ;   in Loop: Header=BB661_213 Depth=1
	v_and_b32_e32 v63, 7, v44
	v_ffbh_u32_e32 v64, v63
	v_min_u32_e32 v67, 32, v64
	v_subrev_u32_e32 v64, 28, v67
	v_lshlrev_b64 v[64:65], v64, v[44:45]
	v_lshrrev_b32_e32 v66, 3, v42
	v_sub_u32_e32 v65, 29, v67
	v_and_b32_e32 v64, 7, v64
	v_cmp_gt_u32_e32 vcc, 8, v42
	v_cndmask_b32_e32 v42, v66, v65, vcc
	v_cndmask_b32_e32 v63, v63, v64, vcc
	v_lshlrev_b32_e32 v44, 24, v44
	v_lshlrev_b32_e32 v63, 20, v63
	v_and_b32_e32 v44, 0x80000000, v44
	v_lshl_add_u32 v42, v42, 23, v45
	v_or3_b32 v63, v44, v42, v63
.LBB661_355:                            ;   in Loop: Header=BB661_213 Depth=1
	s_or_b64 exec, exec, s[16:17]
.LBB661_356:                            ;   in Loop: Header=BB661_213 Depth=1
	s_or_b64 exec, exec, s[14:15]
.LBB661_357:                            ;   in Loop: Header=BB661_213 Depth=1
	s_or_b64 exec, exec, s[12:13]
	v_cvt_pkrtz_f16_f32 v64, v47, v49
	v_cvt_pkrtz_f16_f32 v65, v48, v60
	;; [unrolled: 1-line block ×4, first 2 shown]
	s_waitcnt vmcnt(1)
	v_cmp_ne_u16_sdwa s[14:15], v40, v43 src0_sel:BYTE_0 src1_sel:DWORD
	v_mfma_f32_16x16x16f16 v[34:37], v[64:65], v[10:11], v[34:37]
	v_mfma_f32_16x16x16f16 v[34:37], v[48:49], v[12:13], v[34:37]
	s_and_saveexec_b64 s[12:13], s[14:15]
	s_cbranch_execz .LBB661_363
; %bb.358:                              ;   in Loop: Header=BB661_213 Depth=1
	v_cmp_ne_u16_sdwa s[16:17], v40, s9 src0_sel:BYTE_0 src1_sel:DWORD
	v_bfrev_b32_e32 v46, 1
	s_and_saveexec_b64 s[14:15], s[16:17]
	s_cbranch_execz .LBB661_362
; %bb.359:                              ;   in Loop: Header=BB661_213 Depth=1
	v_and_b32_e32 v42, 0x7f, v40
	v_cmp_ne_u32_e32 vcc, s19, v42
	v_mov_b32_e32 v46, 0x7f800001
	s_and_saveexec_b64 s[16:17], vcc
	s_cbranch_execz .LBB661_361
; %bb.360:                              ;   in Loop: Header=BB661_213 Depth=1
	v_and_b32_e32 v44, 7, v40
	v_ffbh_u32_e32 v46, v44
	v_min_u32_e32 v49, 32, v46
	v_subrev_u32_e32 v46, 28, v49
	v_lshlrev_b64 v[46:47], v46, v[40:41]
	v_lshrrev_b32_e32 v48, 3, v42
	v_sub_u32_e32 v47, 29, v49
	v_and_b32_e32 v46, 7, v46
	v_cmp_gt_u32_e32 vcc, 8, v42
	v_cndmask_b32_e32 v42, v48, v47, vcc
	v_cndmask_b32_e32 v44, v44, v46, vcc
	v_lshlrev_b32_e32 v46, 24, v40
	v_lshlrev_b32_e32 v44, 20, v44
	v_and_b32_e32 v46, 0x80000000, v46
	v_lshl_add_u32 v42, v42, 23, v45
	v_or3_b32 v46, v46, v42, v44
.LBB661_361:                            ;   in Loop: Header=BB661_213 Depth=1
	s_or_b64 exec, exec, s[16:17]
.LBB661_362:                            ;   in Loop: Header=BB661_213 Depth=1
	s_or_b64 exec, exec, s[14:15]
.LBB661_363:                            ;   in Loop: Header=BB661_213 Depth=1
	s_or_b64 exec, exec, s[12:13]
	v_lshrrev_b16_e32 v42, 8, v40
	v_cmp_ne_u16_e32 vcc, 0, v42
	v_mov_b32_e32 v44, 0
	v_mov_b32_e32 v48, 0
	s_and_saveexec_b64 s[12:13], vcc
	s_cbranch_execz .LBB661_369
; %bb.364:                              ;   in Loop: Header=BB661_213 Depth=1
	v_cmp_ne_u16_e32 vcc, s9, v42
	v_bfrev_b32_e32 v48, 1
	s_and_saveexec_b64 s[14:15], vcc
	s_cbranch_execz .LBB661_368
; %bb.365:                              ;   in Loop: Header=BB661_213 Depth=1
	v_and_b32_e32 v47, 0x7f, v42
	v_cmp_ne_u32_e32 vcc, s19, v47
	v_mov_b32_e32 v48, 0x7f800001
	s_and_saveexec_b64 s[16:17], vcc
	s_cbranch_execz .LBB661_367
; %bb.366:                              ;   in Loop: Header=BB661_213 Depth=1
	v_and_b32_e32 v59, 7, v42
	v_ffbh_u32_e32 v48, v59
	v_min_u32_e32 v61, 32, v48
	v_subrev_u32_e32 v48, 28, v61
	v_lshlrev_b64 v[48:49], v48, v[42:43]
	v_lshrrev_b32_e32 v60, 3, v47
	v_sub_u32_e32 v42, 29, v61
	v_and_b32_e32 v48, 7, v48
	v_cmp_gt_u32_e32 vcc, 8, v47
	v_cndmask_b32_e32 v42, v60, v42, vcc
	v_cndmask_b32_e32 v47, v59, v48, vcc
	v_lshlrev_b32_e32 v48, 16, v40
	v_lshlrev_b32_e32 v47, 20, v47
	v_and_b32_e32 v48, 0x80000000, v48
	v_lshl_add_u32 v42, v42, 23, v45
	v_or3_b32 v48, v48, v42, v47
.LBB661_367:                            ;   in Loop: Header=BB661_213 Depth=1
	s_or_b64 exec, exec, s[16:17]
.LBB661_368:                            ;   in Loop: Header=BB661_213 Depth=1
	s_or_b64 exec, exec, s[14:15]
.LBB661_369:                            ;   in Loop: Header=BB661_213 Depth=1
	s_or_b64 exec, exec, s[12:13]
	v_lshrrev_b32_e32 v42, 16, v40
	v_cmp_ne_u16_sdwa s[14:15], v42, v43 src0_sel:BYTE_0 src1_sel:DWORD
	s_and_saveexec_b64 s[12:13], s[14:15]
	s_cbranch_execz .LBB661_375
; %bb.370:                              ;   in Loop: Header=BB661_213 Depth=1
	v_cmp_ne_u16_sdwa s[16:17], v42, s9 src0_sel:BYTE_0 src1_sel:DWORD
	v_bfrev_b32_e32 v44, 1
	s_and_saveexec_b64 s[14:15], s[16:17]
	s_cbranch_execz .LBB661_374
; %bb.371:                              ;   in Loop: Header=BB661_213 Depth=1
	v_bfe_u32 v47, v40, 16, 7
	v_cmp_ne_u32_e32 vcc, s19, v47
	v_mov_b32_e32 v44, 0x7f800001
	s_and_saveexec_b64 s[16:17], vcc
	s_cbranch_execz .LBB661_373
; %bb.372:                              ;   in Loop: Header=BB661_213 Depth=1
	v_and_b32_e32 v44, 7, v42
	v_ffbh_u32_e32 v59, v44
	v_min_u32_e32 v59, 32, v59
	v_subrev_u32_e32 v60, 28, v59
	v_lshlrev_b64 v[60:61], v60, v[42:43]
	v_lshrrev_b32_e32 v49, 3, v47
	v_sub_u32_e32 v59, 29, v59
	v_and_b32_e32 v60, 7, v60
	v_cmp_gt_u32_e32 vcc, 8, v47
	v_cndmask_b32_e32 v47, v49, v59, vcc
	v_cndmask_b32_e32 v44, v44, v60, vcc
	v_lshlrev_b32_e32 v42, 24, v42
	v_lshlrev_b32_e32 v44, 20, v44
	v_and_b32_e32 v42, 0x80000000, v42
	v_lshl_add_u32 v47, v47, 23, v45
	v_or3_b32 v44, v42, v47, v44
.LBB661_373:                            ;   in Loop: Header=BB661_213 Depth=1
	s_or_b64 exec, exec, s[16:17]
.LBB661_374:                            ;   in Loop: Header=BB661_213 Depth=1
	s_or_b64 exec, exec, s[14:15]
.LBB661_375:                            ;   in Loop: Header=BB661_213 Depth=1
	s_or_b64 exec, exec, s[12:13]
	v_cmp_lt_u32_e32 vcc, s20, v40
	v_mov_b32_e32 v49, 0
	v_mov_b32_e32 v59, 0
	s_and_saveexec_b64 s[12:13], vcc
	s_cbranch_execz .LBB661_381
; %bb.376:                              ;   in Loop: Header=BB661_213 Depth=1
	v_lshrrev_b32_e32 v42, 24, v40
	v_cmp_ne_u32_e32 vcc, s9, v42
	v_bfrev_b32_e32 v59, 1
	s_and_saveexec_b64 s[14:15], vcc
	s_cbranch_execz .LBB661_380
; %bb.377:                              ;   in Loop: Header=BB661_213 Depth=1
	v_bfe_u32 v40, v40, 24, 7
	v_cmp_ne_u32_e32 vcc, s19, v40
	v_mov_b32_e32 v59, 0x7f800001
	s_and_saveexec_b64 s[16:17], vcc
	s_cbranch_execz .LBB661_379
; %bb.378:                              ;   in Loop: Header=BB661_213 Depth=1
	v_and_b32_e32 v47, 7, v42
	v_ffbh_u32_e32 v60, v47
	v_min_u32_e32 v62, 32, v60
	v_subrev_u32_e32 v60, 28, v62
	v_lshlrev_b64 v[60:61], v60, v[42:43]
	v_lshrrev_b32_e32 v59, 3, v40
	v_sub_u32_e32 v61, 29, v62
	v_and_b32_e32 v60, 7, v60
	v_cmp_gt_u32_e32 vcc, 8, v40
	v_cndmask_b32_e32 v40, v59, v61, vcc
	v_cndmask_b32_e32 v47, v47, v60, vcc
	v_lshlrev_b32_e32 v42, 24, v42
	v_lshlrev_b32_e32 v47, 20, v47
	v_and_b32_e32 v42, 0x80000000, v42
	v_lshl_add_u32 v40, v40, 23, v45
	v_or3_b32 v59, v42, v40, v47
.LBB661_379:                            ;   in Loop: Header=BB661_213 Depth=1
	s_or_b64 exec, exec, s[16:17]
.LBB661_380:                            ;   in Loop: Header=BB661_213 Depth=1
	s_or_b64 exec, exec, s[14:15]
.LBB661_381:                            ;   in Loop: Header=BB661_213 Depth=1
	s_or_b64 exec, exec, s[12:13]
	s_waitcnt vmcnt(0)
	v_cmp_ne_u16_sdwa s[14:15], v38, v43 src0_sel:BYTE_0 src1_sel:DWORD
	s_and_saveexec_b64 s[12:13], s[14:15]
	s_cbranch_execz .LBB661_387
; %bb.382:                              ;   in Loop: Header=BB661_213 Depth=1
	v_cmp_ne_u16_sdwa s[16:17], v38, s9 src0_sel:BYTE_0 src1_sel:DWORD
	v_bfrev_b32_e32 v49, 1
	s_and_saveexec_b64 s[14:15], s[16:17]
	s_cbranch_execz .LBB661_386
; %bb.383:                              ;   in Loop: Header=BB661_213 Depth=1
	v_and_b32_e32 v40, 0x7f, v38
	v_cmp_ne_u32_e32 vcc, s19, v40
	v_mov_b32_e32 v49, 0x7f800001
	s_and_saveexec_b64 s[16:17], vcc
	s_cbranch_execz .LBB661_385
; %bb.384:                              ;   in Loop: Header=BB661_213 Depth=1
	v_and_b32_e32 v42, 7, v38
	v_ffbh_u32_e32 v49, v42
	v_min_u32_e32 v49, 32, v49
	v_subrev_u32_e32 v60, 28, v49
	v_lshlrev_b64 v[60:61], v60, v[38:39]
	v_lshrrev_b32_e32 v47, 3, v40
	v_sub_u32_e32 v49, 29, v49
	v_and_b32_e32 v60, 7, v60
	v_cmp_gt_u32_e32 vcc, 8, v40
	v_cndmask_b32_e32 v40, v47, v49, vcc
	v_cndmask_b32_e32 v42, v42, v60, vcc
	v_lshlrev_b32_e32 v47, 24, v38
	v_lshlrev_b32_e32 v42, 20, v42
	v_and_b32_e32 v47, 0x80000000, v47
	v_lshl_add_u32 v40, v40, 23, v45
	v_or3_b32 v49, v47, v40, v42
.LBB661_385:                            ;   in Loop: Header=BB661_213 Depth=1
	s_or_b64 exec, exec, s[16:17]
.LBB661_386:                            ;   in Loop: Header=BB661_213 Depth=1
	s_or_b64 exec, exec, s[14:15]
.LBB661_387:                            ;   in Loop: Header=BB661_213 Depth=1
	s_or_b64 exec, exec, s[12:13]
	v_lshrrev_b16_e32 v40, 8, v38
	v_cmp_ne_u16_e32 vcc, 0, v40
	v_mov_b32_e32 v60, 0
	v_mov_b32_e32 v61, 0
	s_and_saveexec_b64 s[12:13], vcc
	s_cbranch_execz .LBB661_393
; %bb.388:                              ;   in Loop: Header=BB661_213 Depth=1
	v_cmp_ne_u16_e32 vcc, s9, v40
	v_bfrev_b32_e32 v61, 1
	s_and_saveexec_b64 s[14:15], vcc
	s_cbranch_execz .LBB661_392
; %bb.389:                              ;   in Loop: Header=BB661_213 Depth=1
	v_and_b32_e32 v42, 0x7f, v40
	v_cmp_ne_u32_e32 vcc, s19, v42
	v_mov_b32_e32 v61, 0x7f800001
	s_and_saveexec_b64 s[16:17], vcc
	s_cbranch_execz .LBB661_391
; %bb.390:                              ;   in Loop: Header=BB661_213 Depth=1
	v_and_b32_e32 v47, 7, v40
	v_ffbh_u32_e32 v62, v47
	v_min_u32_e32 v64, 32, v62
	v_subrev_u32_e32 v62, 28, v64
	v_lshlrev_b64 v[62:63], v62, v[40:41]
	v_lshrrev_b32_e32 v61, 3, v42
	v_sub_u32_e32 v40, 29, v64
	v_and_b32_e32 v62, 7, v62
	v_cmp_gt_u32_e32 vcc, 8, v42
	v_cndmask_b32_e32 v40, v61, v40, vcc
	v_cndmask_b32_e32 v42, v47, v62, vcc
	v_lshlrev_b32_e32 v47, 16, v38
	v_lshlrev_b32_e32 v42, 20, v42
	v_and_b32_e32 v47, 0x80000000, v47
	v_lshl_add_u32 v40, v40, 23, v45
	v_or3_b32 v61, v47, v40, v42
.LBB661_391:                            ;   in Loop: Header=BB661_213 Depth=1
	s_or_b64 exec, exec, s[16:17]
.LBB661_392:                            ;   in Loop: Header=BB661_213 Depth=1
	s_or_b64 exec, exec, s[14:15]
.LBB661_393:                            ;   in Loop: Header=BB661_213 Depth=1
	s_or_b64 exec, exec, s[12:13]
	v_lshrrev_b32_e32 v40, 16, v38
	v_cmp_ne_u16_sdwa s[14:15], v40, v43 src0_sel:BYTE_0 src1_sel:DWORD
	s_and_saveexec_b64 s[12:13], s[14:15]
	s_cbranch_execz .LBB661_399
; %bb.394:                              ;   in Loop: Header=BB661_213 Depth=1
	v_cmp_ne_u16_sdwa s[16:17], v40, s9 src0_sel:BYTE_0 src1_sel:DWORD
	v_bfrev_b32_e32 v60, 1
	s_and_saveexec_b64 s[14:15], s[16:17]
	s_cbranch_execz .LBB661_398
; %bb.395:                              ;   in Loop: Header=BB661_213 Depth=1
	v_bfe_u32 v42, v38, 16, 7
	v_cmp_ne_u32_e32 vcc, s19, v42
	v_mov_b32_e32 v60, 0x7f800001
	s_and_saveexec_b64 s[16:17], vcc
	s_cbranch_execz .LBB661_397
; %bb.396:                              ;   in Loop: Header=BB661_213 Depth=1
	v_and_b32_e32 v47, 7, v40
	v_ffbh_u32_e32 v62, v47
	v_min_u32_e32 v64, 32, v62
	v_subrev_u32_e32 v62, 28, v64
	v_lshlrev_b64 v[62:63], v62, v[40:41]
	v_lshrrev_b32_e32 v60, 3, v42
	v_sub_u32_e32 v63, 29, v64
	v_and_b32_e32 v62, 7, v62
	v_cmp_gt_u32_e32 vcc, 8, v42
	v_cndmask_b32_e32 v42, v60, v63, vcc
	v_cndmask_b32_e32 v47, v47, v62, vcc
	v_lshlrev_b32_e32 v40, 24, v40
	v_lshlrev_b32_e32 v47, 20, v47
	v_and_b32_e32 v40, 0x80000000, v40
	v_lshl_add_u32 v42, v42, 23, v45
	v_or3_b32 v60, v40, v42, v47
.LBB661_397:                            ;   in Loop: Header=BB661_213 Depth=1
	s_or_b64 exec, exec, s[16:17]
.LBB661_398:                            ;   in Loop: Header=BB661_213 Depth=1
	s_or_b64 exec, exec, s[14:15]
.LBB661_399:                            ;   in Loop: Header=BB661_213 Depth=1
	s_or_b64 exec, exec, s[12:13]
	v_cmp_lt_u32_e32 vcc, s20, v38
	v_mov_b32_e32 v47, 0
	v_mov_b32_e32 v62, 0
	s_and_saveexec_b64 s[12:13], vcc
	s_cbranch_execz .LBB661_405
; %bb.400:                              ;   in Loop: Header=BB661_213 Depth=1
	v_lshrrev_b32_e32 v40, 24, v38
	v_cmp_ne_u32_e32 vcc, s9, v40
	v_bfrev_b32_e32 v62, 1
	s_and_saveexec_b64 s[14:15], vcc
	s_cbranch_execz .LBB661_404
; %bb.401:                              ;   in Loop: Header=BB661_213 Depth=1
	v_bfe_u32 v38, v38, 24, 7
	v_cmp_ne_u32_e32 vcc, s19, v38
	v_mov_b32_e32 v62, 0x7f800001
	s_and_saveexec_b64 s[16:17], vcc
	s_cbranch_execz .LBB661_403
; %bb.402:                              ;   in Loop: Header=BB661_213 Depth=1
	v_and_b32_e32 v42, 7, v40
	v_ffbh_u32_e32 v62, v42
	v_min_u32_e32 v65, 32, v62
	v_subrev_u32_e32 v62, 28, v65
	v_lshlrev_b64 v[62:63], v62, v[40:41]
	v_lshrrev_b32_e32 v64, 3, v38
	v_sub_u32_e32 v63, 29, v65
	v_and_b32_e32 v62, 7, v62
	v_cmp_gt_u32_e32 vcc, 8, v38
	v_cndmask_b32_e32 v38, v64, v63, vcc
	v_cndmask_b32_e32 v42, v42, v62, vcc
	v_lshlrev_b32_e32 v40, 24, v40
	v_lshlrev_b32_e32 v42, 20, v42
	v_and_b32_e32 v40, 0x80000000, v40
	v_lshl_add_u32 v38, v38, 23, v45
	v_or3_b32 v62, v40, v38, v42
.LBB661_403:                            ;   in Loop: Header=BB661_213 Depth=1
	s_or_b64 exec, exec, s[16:17]
.LBB661_404:                            ;   in Loop: Header=BB661_213 Depth=1
	s_or_b64 exec, exec, s[14:15]
.LBB661_405:                            ;   in Loop: Header=BB661_213 Depth=1
	s_or_b64 exec, exec, s[12:13]
	v_cvt_pkrtz_f16_f32 v65, v44, v59
	buffer_load_dword v44, v58, s[0:3], 0 offen
	buffer_load_dword v42, v58, s[0:3], 0 offen offset:4
	buffer_load_dword v40, v58, s[0:3], 0 offen offset:8
	;; [unrolled: 1-line block ×3, first 2 shown]
	v_cvt_pkrtz_f16_f32 v64, v46, v48
	v_cvt_pkrtz_f16_f32 v48, v49, v61
	;; [unrolled: 1-line block ×3, first 2 shown]
	v_mfma_f32_16x16x16f16 v[34:37], v[64:65], v[14:15], v[34:37]
	s_waitcnt vmcnt(3)
	v_cmp_ne_u16_sdwa s[14:15], v44, v43 src0_sel:BYTE_0 src1_sel:DWORD
	v_mfma_f32_16x16x16f16 v[34:37], v[48:49], v[16:17], v[34:37]
	s_and_saveexec_b64 s[12:13], s[14:15]
	s_cbranch_execz .LBB661_411
; %bb.406:                              ;   in Loop: Header=BB661_213 Depth=1
	v_cmp_ne_u16_sdwa s[16:17], v44, s9 src0_sel:BYTE_0 src1_sel:DWORD
	v_bfrev_b32_e32 v47, 1
	s_and_saveexec_b64 s[14:15], s[16:17]
	s_cbranch_execz .LBB661_410
; %bb.407:                              ;   in Loop: Header=BB661_213 Depth=1
	v_and_b32_e32 v46, 0x7f, v44
	v_cmp_ne_u32_e32 vcc, s19, v46
	v_mov_b32_e32 v47, 0x7f800001
	s_and_saveexec_b64 s[16:17], vcc
	s_cbranch_execz .LBB661_409
; %bb.408:                              ;   in Loop: Header=BB661_213 Depth=1
	v_and_b32_e32 v47, 7, v44
	v_ffbh_u32_e32 v48, v47
	v_min_u32_e32 v59, 32, v48
	v_subrev_u32_e32 v48, 28, v59
	v_lshlrev_b64 v[48:49], v48, v[44:45]
	v_lshrrev_b32_e32 v58, 3, v46
	v_sub_u32_e32 v49, 29, v59
	v_and_b32_e32 v48, 7, v48
	v_cmp_gt_u32_e32 vcc, 8, v46
	v_cndmask_b32_e32 v46, v58, v49, vcc
	v_cndmask_b32_e32 v47, v47, v48, vcc
	v_lshlrev_b32_e32 v48, 24, v44
	v_lshlrev_b32_e32 v47, 20, v47
	v_and_b32_e32 v48, 0x80000000, v48
	v_lshl_add_u32 v46, v46, 23, v45
	v_or3_b32 v47, v48, v46, v47
.LBB661_409:                            ;   in Loop: Header=BB661_213 Depth=1
	s_or_b64 exec, exec, s[16:17]
.LBB661_410:                            ;   in Loop: Header=BB661_213 Depth=1
	s_or_b64 exec, exec, s[14:15]
.LBB661_411:                            ;   in Loop: Header=BB661_213 Depth=1
	s_or_b64 exec, exec, s[12:13]
	v_lshrrev_b16_e32 v46, 8, v44
	v_cmp_ne_u16_e32 vcc, 0, v46
	v_mov_b32_e32 v48, 0
	v_mov_b32_e32 v49, 0
	s_and_saveexec_b64 s[12:13], vcc
	s_cbranch_execz .LBB661_417
; %bb.412:                              ;   in Loop: Header=BB661_213 Depth=1
	v_cmp_ne_u16_e32 vcc, s9, v46
	v_bfrev_b32_e32 v49, 1
	s_and_saveexec_b64 s[14:15], vcc
	s_cbranch_execz .LBB661_416
; %bb.413:                              ;   in Loop: Header=BB661_213 Depth=1
	v_and_b32_e32 v58, 0x7f, v46
	v_cmp_ne_u32_e32 vcc, s19, v58
	v_mov_b32_e32 v49, 0x7f800001
	s_and_saveexec_b64 s[16:17], vcc
	s_cbranch_execz .LBB661_415
; %bb.414:                              ;   in Loop: Header=BB661_213 Depth=1
	v_and_b32_e32 v49, 7, v46
	v_ffbh_u32_e32 v60, v49
	v_min_u32_e32 v62, 32, v60
	v_subrev_u32_e32 v60, 28, v62
	v_lshlrev_b64 v[60:61], v60, v[46:47]
	v_lshrrev_b32_e32 v59, 3, v58
	v_sub_u32_e32 v46, 29, v62
	v_and_b32_e32 v60, 7, v60
	v_cmp_gt_u32_e32 vcc, 8, v58
	v_cndmask_b32_e32 v46, v59, v46, vcc
	v_cndmask_b32_e32 v49, v49, v60, vcc
	v_lshlrev_b32_e32 v58, 16, v44
	v_lshlrev_b32_e32 v49, 20, v49
	v_and_b32_e32 v58, 0x80000000, v58
	v_lshl_add_u32 v46, v46, 23, v45
	v_or3_b32 v49, v58, v46, v49
.LBB661_415:                            ;   in Loop: Header=BB661_213 Depth=1
	s_or_b64 exec, exec, s[16:17]
.LBB661_416:                            ;   in Loop: Header=BB661_213 Depth=1
	s_or_b64 exec, exec, s[14:15]
.LBB661_417:                            ;   in Loop: Header=BB661_213 Depth=1
	s_or_b64 exec, exec, s[12:13]
	v_lshrrev_b32_e32 v46, 16, v44
	v_cmp_ne_u16_sdwa s[14:15], v46, v43 src0_sel:BYTE_0 src1_sel:DWORD
	s_and_saveexec_b64 s[12:13], s[14:15]
	s_cbranch_execz .LBB661_423
; %bb.418:                              ;   in Loop: Header=BB661_213 Depth=1
	v_cmp_ne_u16_sdwa s[16:17], v46, s9 src0_sel:BYTE_0 src1_sel:DWORD
	v_bfrev_b32_e32 v48, 1
	s_and_saveexec_b64 s[14:15], s[16:17]
	s_cbranch_execz .LBB661_422
; %bb.419:                              ;   in Loop: Header=BB661_213 Depth=1
	v_bfe_u32 v58, v44, 16, 7
	v_cmp_ne_u32_e32 vcc, s19, v58
	v_mov_b32_e32 v48, 0x7f800001
	s_and_saveexec_b64 s[16:17], vcc
	s_cbranch_execz .LBB661_421
; %bb.420:                              ;   in Loop: Header=BB661_213 Depth=1
	v_and_b32_e32 v48, 7, v46
	v_ffbh_u32_e32 v60, v48
	v_min_u32_e32 v62, 32, v60
	v_subrev_u32_e32 v60, 28, v62
	v_lshlrev_b64 v[60:61], v60, v[46:47]
	v_lshrrev_b32_e32 v59, 3, v58
	v_sub_u32_e32 v61, 29, v62
	v_and_b32_e32 v60, 7, v60
	v_cmp_gt_u32_e32 vcc, 8, v58
	v_cndmask_b32_e32 v58, v59, v61, vcc
	v_cndmask_b32_e32 v48, v48, v60, vcc
	v_lshlrev_b32_e32 v46, 24, v46
	v_lshlrev_b32_e32 v48, 20, v48
	v_and_b32_e32 v46, 0x80000000, v46
	v_lshl_add_u32 v58, v58, 23, v45
	v_or3_b32 v48, v46, v58, v48
.LBB661_421:                            ;   in Loop: Header=BB661_213 Depth=1
	s_or_b64 exec, exec, s[16:17]
.LBB661_422:                            ;   in Loop: Header=BB661_213 Depth=1
	s_or_b64 exec, exec, s[14:15]
.LBB661_423:                            ;   in Loop: Header=BB661_213 Depth=1
	s_or_b64 exec, exec, s[12:13]
	v_cmp_lt_u32_e32 vcc, s20, v44
	v_mov_b32_e32 v58, 0
	v_mov_b32_e32 v59, 0
	s_and_saveexec_b64 s[12:13], vcc
	s_cbranch_execz .LBB661_429
; %bb.424:                              ;   in Loop: Header=BB661_213 Depth=1
	v_lshrrev_b32_e32 v46, 24, v44
	v_cmp_ne_u32_e32 vcc, s9, v46
	v_bfrev_b32_e32 v59, 1
	s_and_saveexec_b64 s[14:15], vcc
	s_cbranch_execz .LBB661_428
; %bb.425:                              ;   in Loop: Header=BB661_213 Depth=1
	v_bfe_u32 v44, v44, 24, 7
	v_cmp_ne_u32_e32 vcc, s19, v44
	v_mov_b32_e32 v59, 0x7f800001
	s_and_saveexec_b64 s[16:17], vcc
	s_cbranch_execz .LBB661_427
; %bb.426:                              ;   in Loop: Header=BB661_213 Depth=1
	v_and_b32_e32 v59, 7, v46
	v_ffbh_u32_e32 v60, v59
	v_min_u32_e32 v63, 32, v60
	v_subrev_u32_e32 v60, 28, v63
	v_lshlrev_b64 v[60:61], v60, v[46:47]
	v_lshrrev_b32_e32 v62, 3, v44
	v_sub_u32_e32 v61, 29, v63
	v_and_b32_e32 v60, 7, v60
	v_cmp_gt_u32_e32 vcc, 8, v44
	v_cndmask_b32_e32 v44, v62, v61, vcc
	v_cndmask_b32_e32 v59, v59, v60, vcc
	v_lshlrev_b32_e32 v46, 24, v46
	v_lshlrev_b32_e32 v59, 20, v59
	v_and_b32_e32 v46, 0x80000000, v46
	v_lshl_add_u32 v44, v44, 23, v45
	v_or3_b32 v59, v46, v44, v59
.LBB661_427:                            ;   in Loop: Header=BB661_213 Depth=1
	s_or_b64 exec, exec, s[16:17]
.LBB661_428:                            ;   in Loop: Header=BB661_213 Depth=1
	s_or_b64 exec, exec, s[14:15]
.LBB661_429:                            ;   in Loop: Header=BB661_213 Depth=1
	s_or_b64 exec, exec, s[12:13]
	s_waitcnt vmcnt(2)
	v_cmp_ne_u16_sdwa s[14:15], v42, v43 src0_sel:BYTE_0 src1_sel:DWORD
	s_and_saveexec_b64 s[12:13], s[14:15]
	s_cbranch_execz .LBB661_435
; %bb.430:                              ;   in Loop: Header=BB661_213 Depth=1
	v_cmp_ne_u16_sdwa s[16:17], v42, s9 src0_sel:BYTE_0 src1_sel:DWORD
	v_bfrev_b32_e32 v58, 1
	s_and_saveexec_b64 s[14:15], s[16:17]
	s_cbranch_execz .LBB661_434
; %bb.431:                              ;   in Loop: Header=BB661_213 Depth=1
	v_and_b32_e32 v44, 0x7f, v42
	v_cmp_ne_u32_e32 vcc, s19, v44
	v_mov_b32_e32 v58, 0x7f800001
	s_and_saveexec_b64 s[16:17], vcc
	s_cbranch_execz .LBB661_433
; %bb.432:                              ;   in Loop: Header=BB661_213 Depth=1
	v_and_b32_e32 v46, 7, v42
	v_ffbh_u32_e32 v60, v46
	v_min_u32_e32 v62, 32, v60
	v_subrev_u32_e32 v60, 28, v62
	v_lshlrev_b64 v[60:61], v60, v[42:43]
	v_lshrrev_b32_e32 v58, 3, v44
	v_sub_u32_e32 v61, 29, v62
	v_and_b32_e32 v60, 7, v60
	v_cmp_gt_u32_e32 vcc, 8, v44
	v_cndmask_b32_e32 v44, v58, v61, vcc
	v_cndmask_b32_e32 v46, v46, v60, vcc
	v_lshlrev_b32_e32 v58, 24, v42
	v_lshlrev_b32_e32 v46, 20, v46
	v_and_b32_e32 v58, 0x80000000, v58
	v_lshl_add_u32 v44, v44, 23, v45
	v_or3_b32 v58, v58, v44, v46
.LBB661_433:                            ;   in Loop: Header=BB661_213 Depth=1
	s_or_b64 exec, exec, s[16:17]
.LBB661_434:                            ;   in Loop: Header=BB661_213 Depth=1
	s_or_b64 exec, exec, s[14:15]
.LBB661_435:                            ;   in Loop: Header=BB661_213 Depth=1
	s_or_b64 exec, exec, s[12:13]
	v_lshrrev_b16_e32 v44, 8, v42
	v_cmp_ne_u16_e32 vcc, 0, v44
	v_mov_b32_e32 v60, 0
	v_mov_b32_e32 v61, 0
	s_and_saveexec_b64 s[12:13], vcc
	s_cbranch_execz .LBB661_441
; %bb.436:                              ;   in Loop: Header=BB661_213 Depth=1
	v_cmp_ne_u16_e32 vcc, s9, v44
	v_bfrev_b32_e32 v61, 1
	s_and_saveexec_b64 s[14:15], vcc
	s_cbranch_execz .LBB661_440
; %bb.437:                              ;   in Loop: Header=BB661_213 Depth=1
	v_and_b32_e32 v46, 0x7f, v44
	v_cmp_ne_u32_e32 vcc, s19, v46
	v_mov_b32_e32 v61, 0x7f800001
	s_and_saveexec_b64 s[16:17], vcc
	s_cbranch_execz .LBB661_439
; %bb.438:                              ;   in Loop: Header=BB661_213 Depth=1
	v_and_b32_e32 v61, 7, v44
	v_ffbh_u32_e32 v62, v61
	v_min_u32_e32 v65, 32, v62
	v_subrev_u32_e32 v62, 28, v65
	v_lshlrev_b64 v[62:63], v62, v[44:45]
	v_lshrrev_b32_e32 v64, 3, v46
	v_sub_u32_e32 v44, 29, v65
	v_and_b32_e32 v62, 7, v62
	v_cmp_gt_u32_e32 vcc, 8, v46
	v_cndmask_b32_e32 v44, v64, v44, vcc
	v_cndmask_b32_e32 v46, v61, v62, vcc
	v_lshlrev_b32_e32 v61, 16, v42
	v_lshlrev_b32_e32 v46, 20, v46
	v_and_b32_e32 v61, 0x80000000, v61
	v_lshl_add_u32 v44, v44, 23, v45
	v_or3_b32 v61, v61, v44, v46
.LBB661_439:                            ;   in Loop: Header=BB661_213 Depth=1
	s_or_b64 exec, exec, s[16:17]
.LBB661_440:                            ;   in Loop: Header=BB661_213 Depth=1
	s_or_b64 exec, exec, s[14:15]
.LBB661_441:                            ;   in Loop: Header=BB661_213 Depth=1
	s_or_b64 exec, exec, s[12:13]
	v_lshrrev_b32_e32 v44, 16, v42
	v_cmp_ne_u16_sdwa s[14:15], v44, v43 src0_sel:BYTE_0 src1_sel:DWORD
	s_and_saveexec_b64 s[12:13], s[14:15]
	s_cbranch_execz .LBB661_447
; %bb.442:                              ;   in Loop: Header=BB661_213 Depth=1
	v_cmp_ne_u16_sdwa s[16:17], v44, s9 src0_sel:BYTE_0 src1_sel:DWORD
	v_bfrev_b32_e32 v60, 1
	s_and_saveexec_b64 s[14:15], s[16:17]
	s_cbranch_execz .LBB661_446
; %bb.443:                              ;   in Loop: Header=BB661_213 Depth=1
	v_bfe_u32 v46, v42, 16, 7
	v_cmp_ne_u32_e32 vcc, s19, v46
	v_mov_b32_e32 v60, 0x7f800001
	s_and_saveexec_b64 s[16:17], vcc
	s_cbranch_execz .LBB661_445
; %bb.444:                              ;   in Loop: Header=BB661_213 Depth=1
	v_and_b32_e32 v60, 7, v44
	v_ffbh_u32_e32 v62, v60
	v_min_u32_e32 v65, 32, v62
	v_subrev_u32_e32 v62, 28, v65
	v_lshlrev_b64 v[62:63], v62, v[44:45]
	v_lshrrev_b32_e32 v64, 3, v46
	v_sub_u32_e32 v63, 29, v65
	v_and_b32_e32 v62, 7, v62
	v_cmp_gt_u32_e32 vcc, 8, v46
	v_cndmask_b32_e32 v46, v64, v63, vcc
	v_cndmask_b32_e32 v60, v60, v62, vcc
	v_lshlrev_b32_e32 v44, 24, v44
	v_lshlrev_b32_e32 v60, 20, v60
	v_and_b32_e32 v44, 0x80000000, v44
	v_lshl_add_u32 v46, v46, 23, v45
	v_or3_b32 v60, v44, v46, v60
.LBB661_445:                            ;   in Loop: Header=BB661_213 Depth=1
	s_or_b64 exec, exec, s[16:17]
.LBB661_446:                            ;   in Loop: Header=BB661_213 Depth=1
	s_or_b64 exec, exec, s[14:15]
.LBB661_447:                            ;   in Loop: Header=BB661_213 Depth=1
	s_or_b64 exec, exec, s[12:13]
	v_cmp_lt_u32_e32 vcc, s20, v42
	v_mov_b32_e32 v46, 0
	v_mov_b32_e32 v62, 0
	s_and_saveexec_b64 s[12:13], vcc
	s_cbranch_execz .LBB661_453
; %bb.448:                              ;   in Loop: Header=BB661_213 Depth=1
	v_lshrrev_b32_e32 v44, 24, v42
	v_cmp_ne_u32_e32 vcc, s9, v44
	v_bfrev_b32_e32 v62, 1
	s_and_saveexec_b64 s[14:15], vcc
	s_cbranch_execz .LBB661_452
; %bb.449:                              ;   in Loop: Header=BB661_213 Depth=1
	v_bfe_u32 v42, v42, 24, 7
	v_cmp_ne_u32_e32 vcc, s19, v42
	v_mov_b32_e32 v62, 0x7f800001
	s_and_saveexec_b64 s[16:17], vcc
	s_cbranch_execz .LBB661_451
; %bb.450:                              ;   in Loop: Header=BB661_213 Depth=1
	v_and_b32_e32 v64, 7, v44
	v_ffbh_u32_e32 v62, v64
	v_min_u32_e32 v66, 32, v62
	v_subrev_u32_e32 v62, 28, v66
	v_lshlrev_b64 v[62:63], v62, v[44:45]
	v_lshrrev_b32_e32 v65, 3, v42
	v_sub_u32_e32 v63, 29, v66
	v_and_b32_e32 v62, 7, v62
	v_cmp_gt_u32_e32 vcc, 8, v42
	v_cndmask_b32_e32 v42, v65, v63, vcc
	v_cndmask_b32_e32 v62, v64, v62, vcc
	v_lshlrev_b32_e32 v44, 24, v44
	v_lshlrev_b32_e32 v62, 20, v62
	v_and_b32_e32 v44, 0x80000000, v44
	v_lshl_add_u32 v42, v42, 23, v45
	v_or3_b32 v62, v44, v42, v62
.LBB661_451:                            ;   in Loop: Header=BB661_213 Depth=1
	s_or_b64 exec, exec, s[16:17]
.LBB661_452:                            ;   in Loop: Header=BB661_213 Depth=1
	s_or_b64 exec, exec, s[14:15]
.LBB661_453:                            ;   in Loop: Header=BB661_213 Depth=1
	s_or_b64 exec, exec, s[12:13]
	v_cvt_pkrtz_f16_f32 v64, v47, v49
	v_cvt_pkrtz_f16_f32 v65, v48, v59
	;; [unrolled: 1-line block ×4, first 2 shown]
	s_waitcnt vmcnt(1)
	v_cmp_ne_u16_sdwa s[14:15], v40, v43 src0_sel:BYTE_0 src1_sel:DWORD
	v_mfma_f32_16x16x16f16 v[34:37], v[64:65], v[18:19], v[34:37]
	v_mfma_f32_16x16x16f16 v[34:37], v[48:49], v[20:21], v[34:37]
	s_and_saveexec_b64 s[12:13], s[14:15]
	s_cbranch_execz .LBB661_459
; %bb.454:                              ;   in Loop: Header=BB661_213 Depth=1
	v_cmp_ne_u16_sdwa s[16:17], v40, s9 src0_sel:BYTE_0 src1_sel:DWORD
	v_bfrev_b32_e32 v46, 1
	s_and_saveexec_b64 s[14:15], s[16:17]
	s_cbranch_execz .LBB661_458
; %bb.455:                              ;   in Loop: Header=BB661_213 Depth=1
	v_and_b32_e32 v42, 0x7f, v40
	v_cmp_ne_u32_e32 vcc, s19, v42
	v_mov_b32_e32 v46, 0x7f800001
	s_and_saveexec_b64 s[16:17], vcc
	s_cbranch_execz .LBB661_457
; %bb.456:                              ;   in Loop: Header=BB661_213 Depth=1
	v_and_b32_e32 v44, 7, v40
	v_ffbh_u32_e32 v46, v44
	v_min_u32_e32 v49, 32, v46
	v_subrev_u32_e32 v46, 28, v49
	v_lshlrev_b64 v[46:47], v46, v[40:41]
	v_lshrrev_b32_e32 v48, 3, v42
	v_sub_u32_e32 v47, 29, v49
	v_and_b32_e32 v46, 7, v46
	v_cmp_gt_u32_e32 vcc, 8, v42
	v_cndmask_b32_e32 v42, v48, v47, vcc
	v_cndmask_b32_e32 v44, v44, v46, vcc
	v_lshlrev_b32_e32 v46, 24, v40
	v_lshlrev_b32_e32 v44, 20, v44
	v_and_b32_e32 v46, 0x80000000, v46
	v_lshl_add_u32 v42, v42, 23, v45
	v_or3_b32 v46, v46, v42, v44
.LBB661_457:                            ;   in Loop: Header=BB661_213 Depth=1
	s_or_b64 exec, exec, s[16:17]
.LBB661_458:                            ;   in Loop: Header=BB661_213 Depth=1
	s_or_b64 exec, exec, s[14:15]
.LBB661_459:                            ;   in Loop: Header=BB661_213 Depth=1
	s_or_b64 exec, exec, s[12:13]
	v_lshrrev_b16_e32 v42, 8, v40
	v_cmp_ne_u16_e32 vcc, 0, v42
	v_mov_b32_e32 v44, 0
	v_mov_b32_e32 v48, 0
	s_and_saveexec_b64 s[12:13], vcc
	s_cbranch_execz .LBB661_465
; %bb.460:                              ;   in Loop: Header=BB661_213 Depth=1
	v_cmp_ne_u16_e32 vcc, s9, v42
	v_bfrev_b32_e32 v48, 1
	s_and_saveexec_b64 s[14:15], vcc
	s_cbranch_execz .LBB661_464
; %bb.461:                              ;   in Loop: Header=BB661_213 Depth=1
	v_and_b32_e32 v47, 0x7f, v42
	v_cmp_ne_u32_e32 vcc, s19, v47
	v_mov_b32_e32 v48, 0x7f800001
	s_and_saveexec_b64 s[16:17], vcc
	s_cbranch_execz .LBB661_463
; %bb.462:                              ;   in Loop: Header=BB661_213 Depth=1
	v_and_b32_e32 v58, 7, v42
	v_ffbh_u32_e32 v48, v58
	v_min_u32_e32 v60, 32, v48
	v_subrev_u32_e32 v48, 28, v60
	v_lshlrev_b64 v[48:49], v48, v[42:43]
	v_lshrrev_b32_e32 v59, 3, v47
	v_sub_u32_e32 v42, 29, v60
	v_and_b32_e32 v48, 7, v48
	v_cmp_gt_u32_e32 vcc, 8, v47
	v_cndmask_b32_e32 v42, v59, v42, vcc
	v_cndmask_b32_e32 v47, v58, v48, vcc
	v_lshlrev_b32_e32 v48, 16, v40
	v_lshlrev_b32_e32 v47, 20, v47
	v_and_b32_e32 v48, 0x80000000, v48
	v_lshl_add_u32 v42, v42, 23, v45
	v_or3_b32 v48, v48, v42, v47
.LBB661_463:                            ;   in Loop: Header=BB661_213 Depth=1
	s_or_b64 exec, exec, s[16:17]
.LBB661_464:                            ;   in Loop: Header=BB661_213 Depth=1
	s_or_b64 exec, exec, s[14:15]
.LBB661_465:                            ;   in Loop: Header=BB661_213 Depth=1
	s_or_b64 exec, exec, s[12:13]
	v_lshrrev_b32_e32 v42, 16, v40
	v_cmp_ne_u16_sdwa s[14:15], v42, v43 src0_sel:BYTE_0 src1_sel:DWORD
	s_and_saveexec_b64 s[12:13], s[14:15]
	s_cbranch_execz .LBB661_471
; %bb.466:                              ;   in Loop: Header=BB661_213 Depth=1
	v_cmp_ne_u16_sdwa s[16:17], v42, s9 src0_sel:BYTE_0 src1_sel:DWORD
	v_bfrev_b32_e32 v44, 1
	s_and_saveexec_b64 s[14:15], s[16:17]
	s_cbranch_execz .LBB661_470
; %bb.467:                              ;   in Loop: Header=BB661_213 Depth=1
	v_bfe_u32 v47, v40, 16, 7
	v_cmp_ne_u32_e32 vcc, s19, v47
	v_mov_b32_e32 v44, 0x7f800001
	s_and_saveexec_b64 s[16:17], vcc
	s_cbranch_execz .LBB661_469
; %bb.468:                              ;   in Loop: Header=BB661_213 Depth=1
	v_and_b32_e32 v44, 7, v42
	v_ffbh_u32_e32 v58, v44
	v_min_u32_e32 v60, 32, v58
	v_subrev_u32_e32 v58, 28, v60
	v_lshlrev_b64 v[58:59], v58, v[42:43]
	v_lshrrev_b32_e32 v49, 3, v47
	v_sub_u32_e32 v59, 29, v60
	v_and_b32_e32 v58, 7, v58
	v_cmp_gt_u32_e32 vcc, 8, v47
	v_cndmask_b32_e32 v47, v49, v59, vcc
	v_cndmask_b32_e32 v44, v44, v58, vcc
	v_lshlrev_b32_e32 v42, 24, v42
	v_lshlrev_b32_e32 v44, 20, v44
	v_and_b32_e32 v42, 0x80000000, v42
	v_lshl_add_u32 v47, v47, 23, v45
	v_or3_b32 v44, v42, v47, v44
.LBB661_469:                            ;   in Loop: Header=BB661_213 Depth=1
	s_or_b64 exec, exec, s[16:17]
.LBB661_470:                            ;   in Loop: Header=BB661_213 Depth=1
	s_or_b64 exec, exec, s[14:15]
.LBB661_471:                            ;   in Loop: Header=BB661_213 Depth=1
	s_or_b64 exec, exec, s[12:13]
	v_cmp_lt_u32_e32 vcc, s20, v40
	v_mov_b32_e32 v49, 0
	v_mov_b32_e32 v58, 0
	s_and_saveexec_b64 s[12:13], vcc
	s_cbranch_execz .LBB661_477
; %bb.472:                              ;   in Loop: Header=BB661_213 Depth=1
	v_lshrrev_b32_e32 v42, 24, v40
	v_cmp_ne_u32_e32 vcc, s9, v42
	v_bfrev_b32_e32 v58, 1
	s_and_saveexec_b64 s[14:15], vcc
	s_cbranch_execz .LBB661_476
; %bb.473:                              ;   in Loop: Header=BB661_213 Depth=1
	v_bfe_u32 v40, v40, 24, 7
	v_cmp_ne_u32_e32 vcc, s19, v40
	v_mov_b32_e32 v58, 0x7f800001
	s_and_saveexec_b64 s[16:17], vcc
	s_cbranch_execz .LBB661_475
; %bb.474:                              ;   in Loop: Header=BB661_213 Depth=1
	v_and_b32_e32 v47, 7, v42
	v_ffbh_u32_e32 v58, v47
	v_min_u32_e32 v61, 32, v58
	v_subrev_u32_e32 v58, 28, v61
	v_lshlrev_b64 v[58:59], v58, v[42:43]
	v_lshrrev_b32_e32 v60, 3, v40
	v_sub_u32_e32 v59, 29, v61
	v_and_b32_e32 v58, 7, v58
	v_cmp_gt_u32_e32 vcc, 8, v40
	v_cndmask_b32_e32 v40, v60, v59, vcc
	v_cndmask_b32_e32 v47, v47, v58, vcc
	v_lshlrev_b32_e32 v42, 24, v42
	v_lshlrev_b32_e32 v47, 20, v47
	v_and_b32_e32 v42, 0x80000000, v42
	v_lshl_add_u32 v40, v40, 23, v45
	v_or3_b32 v58, v42, v40, v47
.LBB661_475:                            ;   in Loop: Header=BB661_213 Depth=1
	s_or_b64 exec, exec, s[16:17]
.LBB661_476:                            ;   in Loop: Header=BB661_213 Depth=1
	s_or_b64 exec, exec, s[14:15]
.LBB661_477:                            ;   in Loop: Header=BB661_213 Depth=1
	s_or_b64 exec, exec, s[12:13]
	s_waitcnt vmcnt(0)
	v_cmp_ne_u16_sdwa s[14:15], v38, v43 src0_sel:BYTE_0 src1_sel:DWORD
	s_and_saveexec_b64 s[12:13], s[14:15]
	s_cbranch_execz .LBB661_483
; %bb.478:                              ;   in Loop: Header=BB661_213 Depth=1
	v_cmp_ne_u16_sdwa s[16:17], v38, s9 src0_sel:BYTE_0 src1_sel:DWORD
	v_bfrev_b32_e32 v49, 1
	s_and_saveexec_b64 s[14:15], s[16:17]
	s_cbranch_execz .LBB661_482
; %bb.479:                              ;   in Loop: Header=BB661_213 Depth=1
	v_and_b32_e32 v40, 0x7f, v38
	v_cmp_ne_u32_e32 vcc, s19, v40
	v_mov_b32_e32 v49, 0x7f800001
	s_and_saveexec_b64 s[16:17], vcc
	s_cbranch_execz .LBB661_481
; %bb.480:                              ;   in Loop: Header=BB661_213 Depth=1
	v_and_b32_e32 v42, 7, v38
	v_ffbh_u32_e32 v49, v42
	v_min_u32_e32 v49, 32, v49
	v_subrev_u32_e32 v59, 28, v49
	v_lshlrev_b64 v[60:61], v59, v[38:39]
	v_lshrrev_b32_e32 v47, 3, v40
	v_sub_u32_e32 v49, 29, v49
	v_and_b32_e32 v59, 7, v60
	v_cmp_gt_u32_e32 vcc, 8, v40
	v_cndmask_b32_e32 v40, v47, v49, vcc
	v_cndmask_b32_e32 v42, v42, v59, vcc
	v_lshlrev_b32_e32 v47, 24, v38
	v_lshlrev_b32_e32 v42, 20, v42
	v_and_b32_e32 v47, 0x80000000, v47
	v_lshl_add_u32 v40, v40, 23, v45
	v_or3_b32 v49, v47, v40, v42
.LBB661_481:                            ;   in Loop: Header=BB661_213 Depth=1
	s_or_b64 exec, exec, s[16:17]
.LBB661_482:                            ;   in Loop: Header=BB661_213 Depth=1
	s_or_b64 exec, exec, s[14:15]
.LBB661_483:                            ;   in Loop: Header=BB661_213 Depth=1
	s_or_b64 exec, exec, s[12:13]
	v_lshrrev_b16_e32 v40, 8, v38
	v_cmp_ne_u16_e32 vcc, 0, v40
	v_mov_b32_e32 v59, 0
	v_mov_b32_e32 v60, 0
	s_and_saveexec_b64 s[12:13], vcc
	s_cbranch_execz .LBB661_489
; %bb.484:                              ;   in Loop: Header=BB661_213 Depth=1
	v_cmp_ne_u16_e32 vcc, s9, v40
	v_bfrev_b32_e32 v60, 1
	s_and_saveexec_b64 s[14:15], vcc
	s_cbranch_execz .LBB661_488
; %bb.485:                              ;   in Loop: Header=BB661_213 Depth=1
	v_and_b32_e32 v42, 0x7f, v40
	v_cmp_ne_u32_e32 vcc, s19, v42
	v_mov_b32_e32 v60, 0x7f800001
	s_and_saveexec_b64 s[16:17], vcc
	s_cbranch_execz .LBB661_487
; %bb.486:                              ;   in Loop: Header=BB661_213 Depth=1
	v_and_b32_e32 v47, 7, v40
	v_ffbh_u32_e32 v60, v47
	v_min_u32_e32 v63, 32, v60
	v_subrev_u32_e32 v60, 28, v63
	v_lshlrev_b64 v[60:61], v60, v[40:41]
	v_lshrrev_b32_e32 v62, 3, v42
	v_sub_u32_e32 v40, 29, v63
	v_and_b32_e32 v60, 7, v60
	v_cmp_gt_u32_e32 vcc, 8, v42
	v_cndmask_b32_e32 v40, v62, v40, vcc
	v_cndmask_b32_e32 v42, v47, v60, vcc
	v_lshlrev_b32_e32 v47, 16, v38
	v_lshlrev_b32_e32 v42, 20, v42
	v_and_b32_e32 v47, 0x80000000, v47
	v_lshl_add_u32 v40, v40, 23, v45
	v_or3_b32 v60, v47, v40, v42
.LBB661_487:                            ;   in Loop: Header=BB661_213 Depth=1
	s_or_b64 exec, exec, s[16:17]
.LBB661_488:                            ;   in Loop: Header=BB661_213 Depth=1
	s_or_b64 exec, exec, s[14:15]
.LBB661_489:                            ;   in Loop: Header=BB661_213 Depth=1
	s_or_b64 exec, exec, s[12:13]
	v_lshrrev_b32_e32 v40, 16, v38
	v_cmp_ne_u16_sdwa s[14:15], v40, v43 src0_sel:BYTE_0 src1_sel:DWORD
	s_and_saveexec_b64 s[12:13], s[14:15]
	s_cbranch_execz .LBB661_495
; %bb.490:                              ;   in Loop: Header=BB661_213 Depth=1
	v_cmp_ne_u16_sdwa s[16:17], v40, s9 src0_sel:BYTE_0 src1_sel:DWORD
	v_bfrev_b32_e32 v59, 1
	s_and_saveexec_b64 s[14:15], s[16:17]
	s_cbranch_execz .LBB661_494
; %bb.491:                              ;   in Loop: Header=BB661_213 Depth=1
	v_bfe_u32 v42, v38, 16, 7
	v_cmp_ne_u32_e32 vcc, s19, v42
	v_mov_b32_e32 v59, 0x7f800001
	s_and_saveexec_b64 s[16:17], vcc
	s_cbranch_execz .LBB661_493
; %bb.492:                              ;   in Loop: Header=BB661_213 Depth=1
	v_and_b32_e32 v47, 7, v40
	v_ffbh_u32_e32 v61, v47
	v_min_u32_e32 v61, 32, v61
	v_subrev_u32_e32 v62, 28, v61
	v_lshlrev_b64 v[62:63], v62, v[40:41]
	v_lshrrev_b32_e32 v59, 3, v42
	v_sub_u32_e32 v61, 29, v61
	v_and_b32_e32 v62, 7, v62
	v_cmp_gt_u32_e32 vcc, 8, v42
	v_cndmask_b32_e32 v42, v59, v61, vcc
	v_cndmask_b32_e32 v47, v47, v62, vcc
	v_lshlrev_b32_e32 v40, 24, v40
	v_lshlrev_b32_e32 v47, 20, v47
	v_and_b32_e32 v40, 0x80000000, v40
	v_lshl_add_u32 v42, v42, 23, v45
	v_or3_b32 v59, v40, v42, v47
.LBB661_493:                            ;   in Loop: Header=BB661_213 Depth=1
	s_or_b64 exec, exec, s[16:17]
.LBB661_494:                            ;   in Loop: Header=BB661_213 Depth=1
	s_or_b64 exec, exec, s[14:15]
.LBB661_495:                            ;   in Loop: Header=BB661_213 Depth=1
	s_or_b64 exec, exec, s[12:13]
	v_cmp_lt_u32_e32 vcc, s20, v38
	v_mov_b32_e32 v47, 0
	v_mov_b32_e32 v61, 0
	s_and_saveexec_b64 s[12:13], vcc
	s_cbranch_execz .LBB661_501
; %bb.496:                              ;   in Loop: Header=BB661_213 Depth=1
	v_lshrrev_b32_e32 v40, 24, v38
	v_cmp_ne_u32_e32 vcc, s9, v40
	v_bfrev_b32_e32 v61, 1
	s_and_saveexec_b64 s[14:15], vcc
	s_cbranch_execz .LBB661_500
; %bb.497:                              ;   in Loop: Header=BB661_213 Depth=1
	v_bfe_u32 v38, v38, 24, 7
	v_cmp_ne_u32_e32 vcc, s19, v38
	v_mov_b32_e32 v61, 0x7f800001
	s_and_saveexec_b64 s[16:17], vcc
	s_cbranch_execz .LBB661_499
; %bb.498:                              ;   in Loop: Header=BB661_213 Depth=1
	v_and_b32_e32 v42, 7, v40
	v_ffbh_u32_e32 v62, v42
	v_min_u32_e32 v64, 32, v62
	v_subrev_u32_e32 v62, 28, v64
	v_lshlrev_b64 v[62:63], v62, v[40:41]
	v_lshrrev_b32_e32 v61, 3, v38
	v_sub_u32_e32 v63, 29, v64
	v_and_b32_e32 v62, 7, v62
	v_cmp_gt_u32_e32 vcc, 8, v38
	v_cndmask_b32_e32 v38, v61, v63, vcc
	v_cndmask_b32_e32 v42, v42, v62, vcc
	v_lshlrev_b32_e32 v40, 24, v40
	v_lshlrev_b32_e32 v42, 20, v42
	v_and_b32_e32 v40, 0x80000000, v40
	v_lshl_add_u32 v38, v38, 23, v45
	v_or3_b32 v61, v40, v38, v42
.LBB661_499:                            ;   in Loop: Header=BB661_213 Depth=1
	s_or_b64 exec, exec, s[16:17]
.LBB661_500:                            ;   in Loop: Header=BB661_213 Depth=1
	s_or_b64 exec, exec, s[14:15]
.LBB661_501:                            ;   in Loop: Header=BB661_213 Depth=1
	s_or_b64 exec, exec, s[12:13]
	v_cvt_pkrtz_f16_f32 v63, v44, v58
	buffer_load_dword v44, v57, s[0:3], 0 offen
	buffer_load_dword v42, v57, s[0:3], 0 offen offset:4
	buffer_load_dword v40, v57, s[0:3], 0 offen offset:8
	;; [unrolled: 1-line block ×3, first 2 shown]
	v_cvt_pkrtz_f16_f32 v62, v46, v48
	v_cvt_pkrtz_f16_f32 v48, v49, v60
	v_cvt_pkrtz_f16_f32 v49, v59, v61
	v_mfma_f32_16x16x16f16 v[34:37], v[62:63], v[22:23], v[34:37]
	s_waitcnt vmcnt(3)
	v_cmp_ne_u16_sdwa s[14:15], v44, v43 src0_sel:BYTE_0 src1_sel:DWORD
	v_mfma_f32_16x16x16f16 v[34:37], v[48:49], v[24:25], v[34:37]
	s_and_saveexec_b64 s[12:13], s[14:15]
	s_cbranch_execz .LBB661_507
; %bb.502:                              ;   in Loop: Header=BB661_213 Depth=1
	v_cmp_ne_u16_sdwa s[16:17], v44, s9 src0_sel:BYTE_0 src1_sel:DWORD
	v_bfrev_b32_e32 v47, 1
	s_and_saveexec_b64 s[14:15], s[16:17]
	s_cbranch_execz .LBB661_506
; %bb.503:                              ;   in Loop: Header=BB661_213 Depth=1
	v_and_b32_e32 v46, 0x7f, v44
	v_cmp_ne_u32_e32 vcc, s19, v46
	v_mov_b32_e32 v47, 0x7f800001
	s_and_saveexec_b64 s[16:17], vcc
	s_cbranch_execz .LBB661_505
; %bb.504:                              ;   in Loop: Header=BB661_213 Depth=1
	v_and_b32_e32 v47, 7, v44
	v_ffbh_u32_e32 v48, v47
	v_min_u32_e32 v58, 32, v48
	v_subrev_u32_e32 v48, 28, v58
	v_lshlrev_b64 v[48:49], v48, v[44:45]
	v_lshrrev_b32_e32 v57, 3, v46
	v_sub_u32_e32 v49, 29, v58
	v_and_b32_e32 v48, 7, v48
	v_cmp_gt_u32_e32 vcc, 8, v46
	v_cndmask_b32_e32 v46, v57, v49, vcc
	v_cndmask_b32_e32 v47, v47, v48, vcc
	v_lshlrev_b32_e32 v48, 24, v44
	v_lshlrev_b32_e32 v47, 20, v47
	v_and_b32_e32 v48, 0x80000000, v48
	v_lshl_add_u32 v46, v46, 23, v45
	v_or3_b32 v47, v48, v46, v47
.LBB661_505:                            ;   in Loop: Header=BB661_213 Depth=1
	s_or_b64 exec, exec, s[16:17]
.LBB661_506:                            ;   in Loop: Header=BB661_213 Depth=1
	s_or_b64 exec, exec, s[14:15]
.LBB661_507:                            ;   in Loop: Header=BB661_213 Depth=1
	s_or_b64 exec, exec, s[12:13]
	v_lshrrev_b16_e32 v46, 8, v44
	v_cmp_ne_u16_e32 vcc, 0, v46
	v_mov_b32_e32 v48, 0
	v_mov_b32_e32 v49, 0
	s_and_saveexec_b64 s[12:13], vcc
	s_cbranch_execz .LBB661_513
; %bb.508:                              ;   in Loop: Header=BB661_213 Depth=1
	v_cmp_ne_u16_e32 vcc, s9, v46
	v_bfrev_b32_e32 v49, 1
	s_and_saveexec_b64 s[14:15], vcc
	s_cbranch_execz .LBB661_512
; %bb.509:                              ;   in Loop: Header=BB661_213 Depth=1
	v_and_b32_e32 v57, 0x7f, v46
	v_cmp_ne_u32_e32 vcc, s19, v57
	v_mov_b32_e32 v49, 0x7f800001
	s_and_saveexec_b64 s[16:17], vcc
	s_cbranch_execz .LBB661_511
; %bb.510:                              ;   in Loop: Header=BB661_213 Depth=1
	v_and_b32_e32 v49, 7, v46
	v_ffbh_u32_e32 v58, v49
	v_min_u32_e32 v61, 32, v58
	v_subrev_u32_e32 v58, 28, v61
	v_lshlrev_b64 v[58:59], v58, v[46:47]
	v_lshrrev_b32_e32 v60, 3, v57
	v_sub_u32_e32 v46, 29, v61
	v_and_b32_e32 v58, 7, v58
	v_cmp_gt_u32_e32 vcc, 8, v57
	v_cndmask_b32_e32 v46, v60, v46, vcc
	v_cndmask_b32_e32 v49, v49, v58, vcc
	v_lshlrev_b32_e32 v57, 16, v44
	v_lshlrev_b32_e32 v49, 20, v49
	v_and_b32_e32 v57, 0x80000000, v57
	v_lshl_add_u32 v46, v46, 23, v45
	v_or3_b32 v49, v57, v46, v49
.LBB661_511:                            ;   in Loop: Header=BB661_213 Depth=1
	s_or_b64 exec, exec, s[16:17]
.LBB661_512:                            ;   in Loop: Header=BB661_213 Depth=1
	s_or_b64 exec, exec, s[14:15]
.LBB661_513:                            ;   in Loop: Header=BB661_213 Depth=1
	s_or_b64 exec, exec, s[12:13]
	v_lshrrev_b32_e32 v46, 16, v44
	v_cmp_ne_u16_sdwa s[14:15], v46, v43 src0_sel:BYTE_0 src1_sel:DWORD
	s_and_saveexec_b64 s[12:13], s[14:15]
	s_cbranch_execz .LBB661_519
; %bb.514:                              ;   in Loop: Header=BB661_213 Depth=1
	v_cmp_ne_u16_sdwa s[16:17], v46, s9 src0_sel:BYTE_0 src1_sel:DWORD
	v_bfrev_b32_e32 v48, 1
	s_and_saveexec_b64 s[14:15], s[16:17]
	s_cbranch_execz .LBB661_518
; %bb.515:                              ;   in Loop: Header=BB661_213 Depth=1
	v_bfe_u32 v57, v44, 16, 7
	v_cmp_ne_u32_e32 vcc, s19, v57
	v_mov_b32_e32 v48, 0x7f800001
	s_and_saveexec_b64 s[16:17], vcc
	s_cbranch_execz .LBB661_517
; %bb.516:                              ;   in Loop: Header=BB661_213 Depth=1
	v_and_b32_e32 v48, 7, v46
	v_ffbh_u32_e32 v58, v48
	v_min_u32_e32 v61, 32, v58
	v_subrev_u32_e32 v58, 28, v61
	v_lshlrev_b64 v[58:59], v58, v[46:47]
	v_lshrrev_b32_e32 v60, 3, v57
	v_sub_u32_e32 v59, 29, v61
	v_and_b32_e32 v58, 7, v58
	v_cmp_gt_u32_e32 vcc, 8, v57
	v_cndmask_b32_e32 v57, v60, v59, vcc
	v_cndmask_b32_e32 v48, v48, v58, vcc
	v_lshlrev_b32_e32 v46, 24, v46
	v_lshlrev_b32_e32 v48, 20, v48
	v_and_b32_e32 v46, 0x80000000, v46
	v_lshl_add_u32 v57, v57, 23, v45
	v_or3_b32 v48, v46, v57, v48
.LBB661_517:                            ;   in Loop: Header=BB661_213 Depth=1
	s_or_b64 exec, exec, s[16:17]
.LBB661_518:                            ;   in Loop: Header=BB661_213 Depth=1
	s_or_b64 exec, exec, s[14:15]
.LBB661_519:                            ;   in Loop: Header=BB661_213 Depth=1
	s_or_b64 exec, exec, s[12:13]
	v_cmp_lt_u32_e32 vcc, s20, v44
	v_mov_b32_e32 v57, 0
	v_mov_b32_e32 v58, 0
	s_and_saveexec_b64 s[12:13], vcc
	s_cbranch_execz .LBB661_525
; %bb.520:                              ;   in Loop: Header=BB661_213 Depth=1
	v_lshrrev_b32_e32 v46, 24, v44
	v_cmp_ne_u32_e32 vcc, s9, v46
	v_bfrev_b32_e32 v58, 1
	s_and_saveexec_b64 s[14:15], vcc
	s_cbranch_execz .LBB661_524
; %bb.521:                              ;   in Loop: Header=BB661_213 Depth=1
	v_bfe_u32 v44, v44, 24, 7
	v_cmp_ne_u32_e32 vcc, s19, v44
	v_mov_b32_e32 v58, 0x7f800001
	s_and_saveexec_b64 s[16:17], vcc
	s_cbranch_execz .LBB661_523
; %bb.522:                              ;   in Loop: Header=BB661_213 Depth=1
	v_and_b32_e32 v60, 7, v46
	v_ffbh_u32_e32 v58, v60
	v_min_u32_e32 v62, 32, v58
	v_subrev_u32_e32 v58, 28, v62
	v_lshlrev_b64 v[58:59], v58, v[46:47]
	v_lshrrev_b32_e32 v61, 3, v44
	v_sub_u32_e32 v59, 29, v62
	v_and_b32_e32 v58, 7, v58
	v_cmp_gt_u32_e32 vcc, 8, v44
	v_cndmask_b32_e32 v44, v61, v59, vcc
	v_cndmask_b32_e32 v58, v60, v58, vcc
	v_lshlrev_b32_e32 v46, 24, v46
	v_lshlrev_b32_e32 v58, 20, v58
	v_and_b32_e32 v46, 0x80000000, v46
	v_lshl_add_u32 v44, v44, 23, v45
	v_or3_b32 v58, v46, v44, v58
.LBB661_523:                            ;   in Loop: Header=BB661_213 Depth=1
	s_or_b64 exec, exec, s[16:17]
.LBB661_524:                            ;   in Loop: Header=BB661_213 Depth=1
	s_or_b64 exec, exec, s[14:15]
.LBB661_525:                            ;   in Loop: Header=BB661_213 Depth=1
	s_or_b64 exec, exec, s[12:13]
	s_waitcnt vmcnt(2)
	v_cmp_ne_u16_sdwa s[14:15], v42, v43 src0_sel:BYTE_0 src1_sel:DWORD
	s_and_saveexec_b64 s[12:13], s[14:15]
	s_cbranch_execz .LBB661_531
; %bb.526:                              ;   in Loop: Header=BB661_213 Depth=1
	v_cmp_ne_u16_sdwa s[16:17], v42, s9 src0_sel:BYTE_0 src1_sel:DWORD
	v_bfrev_b32_e32 v57, 1
	s_and_saveexec_b64 s[14:15], s[16:17]
	s_cbranch_execz .LBB661_530
; %bb.527:                              ;   in Loop: Header=BB661_213 Depth=1
	v_and_b32_e32 v44, 0x7f, v42
	v_cmp_ne_u32_e32 vcc, s19, v44
	v_mov_b32_e32 v57, 0x7f800001
	s_and_saveexec_b64 s[16:17], vcc
	s_cbranch_execz .LBB661_529
; %bb.528:                              ;   in Loop: Header=BB661_213 Depth=1
	v_and_b32_e32 v46, 7, v42
	v_ffbh_u32_e32 v59, v46
	v_min_u32_e32 v59, 32, v59
	v_subrev_u32_e32 v60, 28, v59
	v_lshlrev_b64 v[60:61], v60, v[42:43]
	v_lshrrev_b32_e32 v57, 3, v44
	v_sub_u32_e32 v59, 29, v59
	v_and_b32_e32 v60, 7, v60
	v_cmp_gt_u32_e32 vcc, 8, v44
	v_cndmask_b32_e32 v44, v57, v59, vcc
	v_cndmask_b32_e32 v46, v46, v60, vcc
	v_lshlrev_b32_e32 v57, 24, v42
	v_lshlrev_b32_e32 v46, 20, v46
	v_and_b32_e32 v57, 0x80000000, v57
	v_lshl_add_u32 v44, v44, 23, v45
	v_or3_b32 v57, v57, v44, v46
.LBB661_529:                            ;   in Loop: Header=BB661_213 Depth=1
	s_or_b64 exec, exec, s[16:17]
.LBB661_530:                            ;   in Loop: Header=BB661_213 Depth=1
	s_or_b64 exec, exec, s[14:15]
.LBB661_531:                            ;   in Loop: Header=BB661_213 Depth=1
	s_or_b64 exec, exec, s[12:13]
	v_lshrrev_b16_e32 v44, 8, v42
	v_cmp_ne_u16_e32 vcc, 0, v44
	v_mov_b32_e32 v59, 0
	v_mov_b32_e32 v60, 0
	s_and_saveexec_b64 s[12:13], vcc
	s_cbranch_execz .LBB661_537
; %bb.532:                              ;   in Loop: Header=BB661_213 Depth=1
	v_cmp_ne_u16_e32 vcc, s9, v44
	v_bfrev_b32_e32 v60, 1
	s_and_saveexec_b64 s[14:15], vcc
	s_cbranch_execz .LBB661_536
; %bb.533:                              ;   in Loop: Header=BB661_213 Depth=1
	v_and_b32_e32 v46, 0x7f, v44
	v_cmp_ne_u32_e32 vcc, s19, v46
	v_mov_b32_e32 v60, 0x7f800001
	s_and_saveexec_b64 s[16:17], vcc
	s_cbranch_execz .LBB661_535
; %bb.534:                              ;   in Loop: Header=BB661_213 Depth=1
	v_and_b32_e32 v62, 7, v44
	v_ffbh_u32_e32 v60, v62
	v_min_u32_e32 v64, 32, v60
	v_subrev_u32_e32 v60, 28, v64
	v_lshlrev_b64 v[60:61], v60, v[44:45]
	v_lshrrev_b32_e32 v63, 3, v46
	v_sub_u32_e32 v44, 29, v64
	v_and_b32_e32 v60, 7, v60
	v_cmp_gt_u32_e32 vcc, 8, v46
	v_cndmask_b32_e32 v44, v63, v44, vcc
	v_cndmask_b32_e32 v46, v62, v60, vcc
	v_lshlrev_b32_e32 v60, 16, v42
	v_lshlrev_b32_e32 v46, 20, v46
	v_and_b32_e32 v60, 0x80000000, v60
	v_lshl_add_u32 v44, v44, 23, v45
	v_or3_b32 v60, v60, v44, v46
.LBB661_535:                            ;   in Loop: Header=BB661_213 Depth=1
	s_or_b64 exec, exec, s[16:17]
.LBB661_536:                            ;   in Loop: Header=BB661_213 Depth=1
	s_or_b64 exec, exec, s[14:15]
.LBB661_537:                            ;   in Loop: Header=BB661_213 Depth=1
	s_or_b64 exec, exec, s[12:13]
	v_lshrrev_b32_e32 v44, 16, v42
	v_cmp_ne_u16_sdwa s[14:15], v44, v43 src0_sel:BYTE_0 src1_sel:DWORD
	s_and_saveexec_b64 s[12:13], s[14:15]
	s_cbranch_execz .LBB661_543
; %bb.538:                              ;   in Loop: Header=BB661_213 Depth=1
	v_cmp_ne_u16_sdwa s[16:17], v44, s9 src0_sel:BYTE_0 src1_sel:DWORD
	v_bfrev_b32_e32 v59, 1
	s_and_saveexec_b64 s[14:15], s[16:17]
	s_cbranch_execz .LBB661_542
; %bb.539:                              ;   in Loop: Header=BB661_213 Depth=1
	v_bfe_u32 v46, v42, 16, 7
	v_cmp_ne_u32_e32 vcc, s19, v46
	v_mov_b32_e32 v59, 0x7f800001
	s_and_saveexec_b64 s[16:17], vcc
	s_cbranch_execz .LBB661_541
; %bb.540:                              ;   in Loop: Header=BB661_213 Depth=1
	v_and_b32_e32 v59, 7, v44
	v_ffbh_u32_e32 v62, v59
	v_min_u32_e32 v64, 32, v62
	v_subrev_u32_e32 v62, 28, v64
	v_lshlrev_b64 v[62:63], v62, v[44:45]
	v_lshrrev_b32_e32 v61, 3, v46
	v_sub_u32_e32 v63, 29, v64
	v_and_b32_e32 v62, 7, v62
	v_cmp_gt_u32_e32 vcc, 8, v46
	v_cndmask_b32_e32 v46, v61, v63, vcc
	v_cndmask_b32_e32 v59, v59, v62, vcc
	v_lshlrev_b32_e32 v44, 24, v44
	v_lshlrev_b32_e32 v59, 20, v59
	v_and_b32_e32 v44, 0x80000000, v44
	v_lshl_add_u32 v46, v46, 23, v45
	v_or3_b32 v59, v44, v46, v59
.LBB661_541:                            ;   in Loop: Header=BB661_213 Depth=1
	s_or_b64 exec, exec, s[16:17]
.LBB661_542:                            ;   in Loop: Header=BB661_213 Depth=1
	s_or_b64 exec, exec, s[14:15]
.LBB661_543:                            ;   in Loop: Header=BB661_213 Depth=1
	s_or_b64 exec, exec, s[12:13]
	v_cmp_lt_u32_e32 vcc, s20, v42
	v_mov_b32_e32 v46, 0
	v_mov_b32_e32 v61, 0
	s_and_saveexec_b64 s[12:13], vcc
	s_cbranch_execz .LBB661_549
; %bb.544:                              ;   in Loop: Header=BB661_213 Depth=1
	v_lshrrev_b32_e32 v44, 24, v42
	v_cmp_ne_u32_e32 vcc, s9, v44
	v_bfrev_b32_e32 v61, 1
	s_and_saveexec_b64 s[14:15], vcc
	s_cbranch_execz .LBB661_548
; %bb.545:                              ;   in Loop: Header=BB661_213 Depth=1
	v_bfe_u32 v42, v42, 24, 7
	v_cmp_ne_u32_e32 vcc, s19, v42
	v_mov_b32_e32 v61, 0x7f800001
	s_and_saveexec_b64 s[16:17], vcc
	s_cbranch_execz .LBB661_547
; %bb.546:                              ;   in Loop: Header=BB661_213 Depth=1
	v_and_b32_e32 v61, 7, v44
	v_ffbh_u32_e32 v62, v61
	v_min_u32_e32 v65, 32, v62
	v_subrev_u32_e32 v62, 28, v65
	v_lshlrev_b64 v[62:63], v62, v[44:45]
	v_lshrrev_b32_e32 v64, 3, v42
	v_sub_u32_e32 v63, 29, v65
	v_and_b32_e32 v62, 7, v62
	v_cmp_gt_u32_e32 vcc, 8, v42
	v_cndmask_b32_e32 v42, v64, v63, vcc
	v_cndmask_b32_e32 v61, v61, v62, vcc
	v_lshlrev_b32_e32 v44, 24, v44
	v_lshlrev_b32_e32 v61, 20, v61
	v_and_b32_e32 v44, 0x80000000, v44
	v_lshl_add_u32 v42, v42, 23, v45
	v_or3_b32 v61, v44, v42, v61
.LBB661_547:                            ;   in Loop: Header=BB661_213 Depth=1
	s_or_b64 exec, exec, s[16:17]
.LBB661_548:                            ;   in Loop: Header=BB661_213 Depth=1
	s_or_b64 exec, exec, s[14:15]
.LBB661_549:                            ;   in Loop: Header=BB661_213 Depth=1
	s_or_b64 exec, exec, s[12:13]
	v_cvt_pkrtz_f16_f32 v62, v47, v49
	v_cvt_pkrtz_f16_f32 v63, v48, v58
	;; [unrolled: 1-line block ×4, first 2 shown]
	s_waitcnt vmcnt(1)
	v_cmp_ne_u16_sdwa s[14:15], v40, v43 src0_sel:BYTE_0 src1_sel:DWORD
	v_mfma_f32_16x16x16f16 v[34:37], v[62:63], v[26:27], v[34:37]
	v_mfma_f32_16x16x16f16 v[34:37], v[48:49], v[28:29], v[34:37]
	s_and_saveexec_b64 s[12:13], s[14:15]
	s_cbranch_execz .LBB661_555
; %bb.550:                              ;   in Loop: Header=BB661_213 Depth=1
	v_cmp_ne_u16_sdwa s[16:17], v40, s9 src0_sel:BYTE_0 src1_sel:DWORD
	v_bfrev_b32_e32 v46, 1
	s_and_saveexec_b64 s[14:15], s[16:17]
	s_cbranch_execz .LBB661_554
; %bb.551:                              ;   in Loop: Header=BB661_213 Depth=1
	v_and_b32_e32 v42, 0x7f, v40
	v_cmp_ne_u32_e32 vcc, s19, v42
	v_mov_b32_e32 v46, 0x7f800001
	s_and_saveexec_b64 s[16:17], vcc
	s_cbranch_execz .LBB661_553
; %bb.552:                              ;   in Loop: Header=BB661_213 Depth=1
	v_and_b32_e32 v44, 7, v40
	v_ffbh_u32_e32 v46, v44
	v_min_u32_e32 v49, 32, v46
	v_subrev_u32_e32 v46, 28, v49
	v_lshlrev_b64 v[46:47], v46, v[40:41]
	v_lshrrev_b32_e32 v48, 3, v42
	v_sub_u32_e32 v47, 29, v49
	v_and_b32_e32 v46, 7, v46
	v_cmp_gt_u32_e32 vcc, 8, v42
	v_cndmask_b32_e32 v42, v48, v47, vcc
	v_cndmask_b32_e32 v44, v44, v46, vcc
	v_lshlrev_b32_e32 v46, 24, v40
	v_lshlrev_b32_e32 v44, 20, v44
	v_and_b32_e32 v46, 0x80000000, v46
	v_lshl_add_u32 v42, v42, 23, v45
	v_or3_b32 v46, v46, v42, v44
.LBB661_553:                            ;   in Loop: Header=BB661_213 Depth=1
	s_or_b64 exec, exec, s[16:17]
.LBB661_554:                            ;   in Loop: Header=BB661_213 Depth=1
	s_or_b64 exec, exec, s[14:15]
.LBB661_555:                            ;   in Loop: Header=BB661_213 Depth=1
	s_or_b64 exec, exec, s[12:13]
	v_lshrrev_b16_e32 v42, 8, v40
	v_cmp_ne_u16_e32 vcc, 0, v42
	v_mov_b32_e32 v44, 0
	v_mov_b32_e32 v47, 0
	s_and_saveexec_b64 s[12:13], vcc
	s_cbranch_execz .LBB661_561
; %bb.556:                              ;   in Loop: Header=BB661_213 Depth=1
	v_cmp_ne_u16_e32 vcc, s9, v42
	v_bfrev_b32_e32 v47, 1
	s_and_saveexec_b64 s[14:15], vcc
	s_cbranch_execz .LBB661_560
; %bb.557:                              ;   in Loop: Header=BB661_213 Depth=1
	v_and_b32_e32 v48, 0x7f, v42
	v_cmp_ne_u32_e32 vcc, s19, v48
	v_mov_b32_e32 v47, 0x7f800001
	s_and_saveexec_b64 s[16:17], vcc
	s_cbranch_execz .LBB661_559
; %bb.558:                              ;   in Loop: Header=BB661_213 Depth=1
	v_and_b32_e32 v47, 7, v42
	v_ffbh_u32_e32 v57, v47
	v_min_u32_e32 v57, 32, v57
	v_subrev_u32_e32 v58, 28, v57
	v_lshlrev_b64 v[58:59], v58, v[42:43]
	v_lshrrev_b32_e32 v49, 3, v48
	v_sub_u32_e32 v42, 29, v57
	v_and_b32_e32 v57, 7, v58
	v_cmp_gt_u32_e32 vcc, 8, v48
	v_cndmask_b32_e32 v42, v49, v42, vcc
	v_cndmask_b32_e32 v47, v47, v57, vcc
	v_lshlrev_b32_e32 v48, 16, v40
	v_lshlrev_b32_e32 v47, 20, v47
	v_and_b32_e32 v48, 0x80000000, v48
	v_lshl_add_u32 v42, v42, 23, v45
	v_or3_b32 v47, v48, v42, v47
.LBB661_559:                            ;   in Loop: Header=BB661_213 Depth=1
	s_or_b64 exec, exec, s[16:17]
.LBB661_560:                            ;   in Loop: Header=BB661_213 Depth=1
	s_or_b64 exec, exec, s[14:15]
.LBB661_561:                            ;   in Loop: Header=BB661_213 Depth=1
	s_or_b64 exec, exec, s[12:13]
	v_lshrrev_b32_e32 v42, 16, v40
	v_cmp_ne_u16_sdwa s[14:15], v42, v43 src0_sel:BYTE_0 src1_sel:DWORD
	s_and_saveexec_b64 s[12:13], s[14:15]
	s_cbranch_execz .LBB661_567
; %bb.562:                              ;   in Loop: Header=BB661_213 Depth=1
	v_cmp_ne_u16_sdwa s[16:17], v42, s9 src0_sel:BYTE_0 src1_sel:DWORD
	v_bfrev_b32_e32 v44, 1
	s_and_saveexec_b64 s[14:15], s[16:17]
	s_cbranch_execz .LBB661_566
; %bb.563:                              ;   in Loop: Header=BB661_213 Depth=1
	v_bfe_u32 v48, v40, 16, 7
	v_cmp_ne_u32_e32 vcc, s19, v48
	v_mov_b32_e32 v44, 0x7f800001
	s_and_saveexec_b64 s[16:17], vcc
	s_cbranch_execz .LBB661_565
; %bb.564:                              ;   in Loop: Header=BB661_213 Depth=1
	v_and_b32_e32 v44, 7, v42
	v_ffbh_u32_e32 v57, v44
	v_min_u32_e32 v57, 32, v57
	v_subrev_u32_e32 v58, 28, v57
	v_lshlrev_b64 v[58:59], v58, v[42:43]
	v_lshrrev_b32_e32 v49, 3, v48
	v_sub_u32_e32 v57, 29, v57
	v_and_b32_e32 v58, 7, v58
	v_cmp_gt_u32_e32 vcc, 8, v48
	v_cndmask_b32_e32 v48, v49, v57, vcc
	v_cndmask_b32_e32 v44, v44, v58, vcc
	v_lshlrev_b32_e32 v42, 24, v42
	v_lshlrev_b32_e32 v44, 20, v44
	v_and_b32_e32 v42, 0x80000000, v42
	v_lshl_add_u32 v48, v48, 23, v45
	v_or3_b32 v44, v42, v48, v44
.LBB661_565:                            ;   in Loop: Header=BB661_213 Depth=1
	s_or_b64 exec, exec, s[16:17]
.LBB661_566:                            ;   in Loop: Header=BB661_213 Depth=1
	s_or_b64 exec, exec, s[14:15]
.LBB661_567:                            ;   in Loop: Header=BB661_213 Depth=1
	s_or_b64 exec, exec, s[12:13]
	v_cmp_lt_u32_e32 vcc, s20, v40
	v_mov_b32_e32 v48, 0
	v_mov_b32_e32 v49, 0
	s_and_saveexec_b64 s[12:13], vcc
	s_cbranch_execz .LBB661_573
; %bb.568:                              ;   in Loop: Header=BB661_213 Depth=1
	v_lshrrev_b32_e32 v42, 24, v40
	v_cmp_ne_u32_e32 vcc, s9, v42
	v_bfrev_b32_e32 v49, 1
	s_and_saveexec_b64 s[14:15], vcc
	s_cbranch_execz .LBB661_572
; %bb.569:                              ;   in Loop: Header=BB661_213 Depth=1
	v_bfe_u32 v40, v40, 24, 7
	v_cmp_ne_u32_e32 vcc, s19, v40
	v_mov_b32_e32 v49, 0x7f800001
	s_and_saveexec_b64 s[16:17], vcc
	s_cbranch_execz .LBB661_571
; %bb.570:                              ;   in Loop: Header=BB661_213 Depth=1
	v_and_b32_e32 v49, 7, v42
	v_ffbh_u32_e32 v58, v49
	v_min_u32_e32 v60, 32, v58
	v_subrev_u32_e32 v58, 28, v60
	v_lshlrev_b64 v[58:59], v58, v[42:43]
	v_lshrrev_b32_e32 v57, 3, v40
	v_sub_u32_e32 v59, 29, v60
	v_and_b32_e32 v58, 7, v58
	v_cmp_gt_u32_e32 vcc, 8, v40
	v_cndmask_b32_e32 v40, v57, v59, vcc
	v_cndmask_b32_e32 v49, v49, v58, vcc
	v_lshlrev_b32_e32 v42, 24, v42
	v_lshlrev_b32_e32 v49, 20, v49
	v_and_b32_e32 v42, 0x80000000, v42
	v_lshl_add_u32 v40, v40, 23, v45
	v_or3_b32 v49, v42, v40, v49
.LBB661_571:                            ;   in Loop: Header=BB661_213 Depth=1
	s_or_b64 exec, exec, s[16:17]
.LBB661_572:                            ;   in Loop: Header=BB661_213 Depth=1
	s_or_b64 exec, exec, s[14:15]
.LBB661_573:                            ;   in Loop: Header=BB661_213 Depth=1
	s_or_b64 exec, exec, s[12:13]
	s_waitcnt vmcnt(0)
	v_cmp_ne_u16_sdwa s[14:15], v38, v43 src0_sel:BYTE_0 src1_sel:DWORD
	s_and_saveexec_b64 s[12:13], s[14:15]
	s_cbranch_execz .LBB661_579
; %bb.574:                              ;   in Loop: Header=BB661_213 Depth=1
	v_cmp_ne_u16_sdwa s[16:17], v38, s9 src0_sel:BYTE_0 src1_sel:DWORD
	v_bfrev_b32_e32 v48, 1
	s_and_saveexec_b64 s[14:15], s[16:17]
	s_cbranch_execz .LBB661_578
; %bb.575:                              ;   in Loop: Header=BB661_213 Depth=1
	v_and_b32_e32 v40, 0x7f, v38
	v_cmp_ne_u32_e32 vcc, s19, v40
	v_mov_b32_e32 v48, 0x7f800001
	s_and_saveexec_b64 s[16:17], vcc
	s_cbranch_execz .LBB661_577
; %bb.576:                              ;   in Loop: Header=BB661_213 Depth=1
	v_and_b32_e32 v42, 7, v38
	v_ffbh_u32_e32 v57, v42
	v_min_u32_e32 v57, 32, v57
	v_subrev_u32_e32 v58, 28, v57
	v_lshlrev_b64 v[58:59], v58, v[38:39]
	v_lshrrev_b32_e32 v48, 3, v40
	v_sub_u32_e32 v57, 29, v57
	v_and_b32_e32 v58, 7, v58
	v_cmp_gt_u32_e32 vcc, 8, v40
	v_cndmask_b32_e32 v40, v48, v57, vcc
	v_cndmask_b32_e32 v42, v42, v58, vcc
	v_lshlrev_b32_e32 v48, 24, v38
	v_lshlrev_b32_e32 v42, 20, v42
	v_and_b32_e32 v48, 0x80000000, v48
	v_lshl_add_u32 v40, v40, 23, v45
	v_or3_b32 v48, v48, v40, v42
.LBB661_577:                            ;   in Loop: Header=BB661_213 Depth=1
	s_or_b64 exec, exec, s[16:17]
.LBB661_578:                            ;   in Loop: Header=BB661_213 Depth=1
	s_or_b64 exec, exec, s[14:15]
.LBB661_579:                            ;   in Loop: Header=BB661_213 Depth=1
	s_or_b64 exec, exec, s[12:13]
	v_lshrrev_b16_e32 v40, 8, v38
	v_cmp_ne_u16_e32 vcc, 0, v40
	v_mov_b32_e32 v42, 0
	v_mov_b32_e32 v57, 0
	s_and_saveexec_b64 s[12:13], vcc
	s_cbranch_execz .LBB661_585
; %bb.580:                              ;   in Loop: Header=BB661_213 Depth=1
	v_cmp_ne_u16_e32 vcc, s9, v40
	v_bfrev_b32_e32 v57, 1
	s_and_saveexec_b64 s[14:15], vcc
	s_cbranch_execz .LBB661_584
; %bb.581:                              ;   in Loop: Header=BB661_213 Depth=1
	v_and_b32_e32 v58, 0x7f, v40
	v_cmp_ne_u32_e32 vcc, s19, v58
	v_mov_b32_e32 v57, 0x7f800001
	s_and_saveexec_b64 s[16:17], vcc
	s_cbranch_execz .LBB661_583
; %bb.582:                              ;   in Loop: Header=BB661_213 Depth=1
	v_and_b32_e32 v57, 7, v40
	v_ffbh_u32_e32 v60, v57
	v_min_u32_e32 v62, 32, v60
	v_subrev_u32_e32 v60, 28, v62
	v_lshlrev_b64 v[60:61], v60, v[40:41]
	v_lshrrev_b32_e32 v59, 3, v58
	v_sub_u32_e32 v40, 29, v62
	v_and_b32_e32 v60, 7, v60
	v_cmp_gt_u32_e32 vcc, 8, v58
	v_cndmask_b32_e32 v40, v59, v40, vcc
	v_cndmask_b32_e32 v57, v57, v60, vcc
	v_lshlrev_b32_e32 v58, 16, v38
	v_lshlrev_b32_e32 v57, 20, v57
	v_and_b32_e32 v58, 0x80000000, v58
	v_lshl_add_u32 v40, v40, 23, v45
	v_or3_b32 v57, v58, v40, v57
.LBB661_583:                            ;   in Loop: Header=BB661_213 Depth=1
	s_or_b64 exec, exec, s[16:17]
.LBB661_584:                            ;   in Loop: Header=BB661_213 Depth=1
	s_or_b64 exec, exec, s[14:15]
.LBB661_585:                            ;   in Loop: Header=BB661_213 Depth=1
	s_or_b64 exec, exec, s[12:13]
	v_lshrrev_b32_e32 v40, 16, v38
	v_cmp_ne_u16_sdwa s[14:15], v40, v43 src0_sel:BYTE_0 src1_sel:DWORD
	s_and_saveexec_b64 s[12:13], s[14:15]
	s_cbranch_execz .LBB661_591
; %bb.586:                              ;   in Loop: Header=BB661_213 Depth=1
	v_cmp_ne_u16_sdwa s[16:17], v40, s9 src0_sel:BYTE_0 src1_sel:DWORD
	v_bfrev_b32_e32 v42, 1
	s_and_saveexec_b64 s[14:15], s[16:17]
	s_cbranch_execz .LBB661_590
; %bb.587:                              ;   in Loop: Header=BB661_213 Depth=1
	v_bfe_u32 v58, v38, 16, 7
	v_cmp_ne_u32_e32 vcc, s19, v58
	v_mov_b32_e32 v42, 0x7f800001
	s_and_saveexec_b64 s[16:17], vcc
	s_cbranch_execz .LBB661_589
; %bb.588:                              ;   in Loop: Header=BB661_213 Depth=1
	v_and_b32_e32 v42, 7, v40
	v_ffbh_u32_e32 v60, v42
	v_min_u32_e32 v62, 32, v60
	v_subrev_u32_e32 v60, 28, v62
	v_lshlrev_b64 v[60:61], v60, v[40:41]
	v_lshrrev_b32_e32 v59, 3, v58
	v_sub_u32_e32 v61, 29, v62
	v_and_b32_e32 v60, 7, v60
	v_cmp_gt_u32_e32 vcc, 8, v58
	v_cndmask_b32_e32 v58, v59, v61, vcc
	v_cndmask_b32_e32 v42, v42, v60, vcc
	v_lshlrev_b32_e32 v40, 24, v40
	v_lshlrev_b32_e32 v42, 20, v42
	v_and_b32_e32 v40, 0x80000000, v40
	v_lshl_add_u32 v58, v58, 23, v45
	v_or3_b32 v42, v40, v58, v42
.LBB661_589:                            ;   in Loop: Header=BB661_213 Depth=1
	s_or_b64 exec, exec, s[16:17]
.LBB661_590:                            ;   in Loop: Header=BB661_213 Depth=1
	s_or_b64 exec, exec, s[14:15]
.LBB661_591:                            ;   in Loop: Header=BB661_213 Depth=1
	s_or_b64 exec, exec, s[12:13]
	v_cmp_lt_u32_e32 vcc, s20, v38
	v_mov_b32_e32 v58, 0
	s_and_saveexec_b64 s[12:13], vcc
	s_cbranch_execz .LBB661_212
; %bb.592:                              ;   in Loop: Header=BB661_213 Depth=1
	v_lshrrev_b32_e32 v40, 24, v38
	v_cmp_ne_u32_e32 vcc, s9, v40
	v_bfrev_b32_e32 v58, 1
	s_and_saveexec_b64 s[14:15], vcc
	s_cbranch_execz .LBB661_211
; %bb.593:                              ;   in Loop: Header=BB661_213 Depth=1
	v_bfe_u32 v38, v38, 24, 7
	v_cmp_ne_u32_e32 vcc, s19, v38
	v_mov_b32_e32 v58, 0x7f800001
	s_and_saveexec_b64 s[16:17], vcc
	s_cbranch_execz .LBB661_210
; %bb.594:                              ;   in Loop: Header=BB661_213 Depth=1
	v_and_b32_e32 v60, 7, v40
	v_ffbh_u32_e32 v58, v60
	v_min_u32_e32 v62, 32, v58
	v_subrev_u32_e32 v58, 28, v62
	v_lshlrev_b64 v[58:59], v58, v[40:41]
	v_lshrrev_b32_e32 v61, 3, v38
	v_sub_u32_e32 v59, 29, v62
	v_and_b32_e32 v58, 7, v58
	v_cmp_gt_u32_e32 vcc, 8, v38
	v_cndmask_b32_e32 v38, v61, v59, vcc
	v_cndmask_b32_e32 v58, v60, v58, vcc
	v_lshlrev_b32_e32 v40, 24, v40
	v_lshlrev_b32_e32 v58, 20, v58
	v_and_b32_e32 v40, 0x80000000, v40
	v_lshl_add_u32 v38, v38, 23, v45
	v_or3_b32 v58, v40, v38, v58
	s_branch .LBB661_210
.LBB661_595:
	s_barrier
	buffer_load_dword v2, off, s[0:3], 0 offset:320
	buffer_load_dword v5, off, s[0:3], 0 offset:332
	;; [unrolled: 1-line block ×4, first 2 shown]
	v_cmp_gt_u32_e32 vcc, 64, v0
	s_waitcnt vmcnt(0)
	ds_write2st64_b64 v39, v[2:3], v[4:5] offset1:1
	s_waitcnt lgkmcnt(0)
	s_barrier
	s_and_saveexec_b64 s[4:5], vcc
	s_cbranch_execz .LBB661_597
; %bb.596:
	s_lshl_b32 s6, s50, 7
	s_mul_i32 s4, s18, s8
	s_mul_hi_u32 s5, s4, s6
	s_mul_i32 s4, s4, s6
	s_lshl_b64 s[4:5], s[4:5], 1
	s_add_u32 s7, s48, s4
	v_lshlrev_b32_e32 v4, 6, v51
	s_addc_u32 s8, s49, s5
	s_lshl_b32 s4, s24, 7
	s_mov_b32 s5, 0
	v_lshl_or_b32 v0, v0, 10, v4
	s_lshl_b64 s[4:5], s[4:5], 1
	v_lshlrev_b32_e32 v2, 5, v1
	v_and_b32_e32 v3, 16, v52
	v_and_b32_e32 v0, 0x1a00, v0
	s_add_u32 s4, s7, s4
	v_or3_b32 v0, v0, v2, v3
	s_addc_u32 s5, s8, s5
	ds_read_b128 v[2:5], v0
	ds_read_b128 v[6:9], v0 offset:128
	v_mov_b32_e32 v0, s5
	v_add_co_u32_e32 v10, vcc, s4, v50
	v_or_b32_e32 v12, s25, v1
	v_addc_co_u32_e32 v11, vcc, 0, v0, vcc
	v_mad_u64_u32 v[0:1], s[4:5], v12, s6, 0
	v_lshlrev_b64 v[0:1], 1, v[0:1]
	v_add_co_u32_e32 v0, vcc, v10, v0
	v_addc_co_u32_e32 v1, vcc, v11, v1, vcc
	s_waitcnt lgkmcnt(1)
	global_store_dwordx4 v[0:1], v[2:5], off
	v_or_b32_e32 v0, 4, v12
	v_mad_u64_u32 v[0:1], s[4:5], v0, s6, 0
	v_lshlrev_b64 v[0:1], 1, v[0:1]
	v_add_co_u32_e32 v0, vcc, v10, v0
	v_addc_co_u32_e32 v1, vcc, v11, v1, vcc
	s_waitcnt lgkmcnt(0)
	global_store_dwordx4 v[0:1], v[6:9], off
.LBB661_597:
	s_endpgm
	.section	.rodata,"a",@progbits
	.p2align	6, 0x0
	.amdhsa_kernel _Z39paged_attention_ll4mi_QKV_mfma16_kernelIDF16_hLN4vllm18Fp8KVCacheDataTypeE1EDF16_Li32ELi128ELi256ELb0ELi8EL8MFMAType0EEvPKT_PKT0_S8_ifPKiSA_SA_iPKfiiiPfSD_PS3_PT2_iSC_SC_
		.amdhsa_group_segment_fixed_size 8192
		.amdhsa_private_segment_fixed_size 352
		.amdhsa_kernarg_size 400
		.amdhsa_user_sgpr_count 8
		.amdhsa_user_sgpr_private_segment_buffer 1
		.amdhsa_user_sgpr_dispatch_ptr 0
		.amdhsa_user_sgpr_queue_ptr 0
		.amdhsa_user_sgpr_kernarg_segment_ptr 1
		.amdhsa_user_sgpr_dispatch_id 0
		.amdhsa_user_sgpr_flat_scratch_init 1
		.amdhsa_user_sgpr_kernarg_preload_length 0
		.amdhsa_user_sgpr_kernarg_preload_offset 0
		.amdhsa_user_sgpr_private_segment_size 0
		.amdhsa_uses_dynamic_stack 0
		.amdhsa_system_sgpr_private_segment_wavefront_offset 1
		.amdhsa_system_sgpr_workgroup_id_x 1
		.amdhsa_system_sgpr_workgroup_id_y 1
		.amdhsa_system_sgpr_workgroup_id_z 1
		.amdhsa_system_sgpr_workgroup_info 0
		.amdhsa_system_vgpr_workitem_id 0
		.amdhsa_next_free_vgpr 80
		.amdhsa_next_free_sgpr 53
		.amdhsa_accum_offset 80
		.amdhsa_reserve_vcc 1
		.amdhsa_reserve_flat_scratch 0
		.amdhsa_float_round_mode_32 0
		.amdhsa_float_round_mode_16_64 0
		.amdhsa_float_denorm_mode_32 3
		.amdhsa_float_denorm_mode_16_64 3
		.amdhsa_dx10_clamp 1
		.amdhsa_ieee_mode 1
		.amdhsa_fp16_overflow 0
		.amdhsa_tg_split 0
		.amdhsa_exception_fp_ieee_invalid_op 0
		.amdhsa_exception_fp_denorm_src 0
		.amdhsa_exception_fp_ieee_div_zero 0
		.amdhsa_exception_fp_ieee_overflow 0
		.amdhsa_exception_fp_ieee_underflow 0
		.amdhsa_exception_fp_ieee_inexact 0
		.amdhsa_exception_int_div_zero 0
	.end_amdhsa_kernel
	.section	.text._Z39paged_attention_ll4mi_QKV_mfma16_kernelIDF16_hLN4vllm18Fp8KVCacheDataTypeE1EDF16_Li32ELi128ELi256ELb0ELi8EL8MFMAType0EEvPKT_PKT0_S8_ifPKiSA_SA_iPKfiiiPfSD_PS3_PT2_iSC_SC_,"axG",@progbits,_Z39paged_attention_ll4mi_QKV_mfma16_kernelIDF16_hLN4vllm18Fp8KVCacheDataTypeE1EDF16_Li32ELi128ELi256ELb0ELi8EL8MFMAType0EEvPKT_PKT0_S8_ifPKiSA_SA_iPKfiiiPfSD_PS3_PT2_iSC_SC_,comdat
.Lfunc_end661:
	.size	_Z39paged_attention_ll4mi_QKV_mfma16_kernelIDF16_hLN4vllm18Fp8KVCacheDataTypeE1EDF16_Li32ELi128ELi256ELb0ELi8EL8MFMAType0EEvPKT_PKT0_S8_ifPKiSA_SA_iPKfiiiPfSD_PS3_PT2_iSC_SC_, .Lfunc_end661-_Z39paged_attention_ll4mi_QKV_mfma16_kernelIDF16_hLN4vllm18Fp8KVCacheDataTypeE1EDF16_Li32ELi128ELi256ELb0ELi8EL8MFMAType0EEvPKT_PKT0_S8_ifPKiSA_SA_iPKfiiiPfSD_PS3_PT2_iSC_SC_
                                        ; -- End function
	.section	.AMDGPU.csdata,"",@progbits
; Kernel info:
; codeLenInByte = 21180
; NumSgprs: 57
; NumVgprs: 80
; NumAgprs: 0
; TotalNumVgprs: 80
; ScratchSize: 352
; MemoryBound: 0
; FloatMode: 240
; IeeeMode: 1
; LDSByteSize: 8192 bytes/workgroup (compile time only)
; SGPRBlocks: 7
; VGPRBlocks: 9
; NumSGPRsForWavesPerEU: 57
; NumVGPRsForWavesPerEU: 80
; AccumOffset: 80
; Occupancy: 6
; WaveLimiterHint : 1
; COMPUTE_PGM_RSRC2:SCRATCH_EN: 1
; COMPUTE_PGM_RSRC2:USER_SGPR: 8
; COMPUTE_PGM_RSRC2:TRAP_HANDLER: 0
; COMPUTE_PGM_RSRC2:TGID_X_EN: 1
; COMPUTE_PGM_RSRC2:TGID_Y_EN: 1
; COMPUTE_PGM_RSRC2:TGID_Z_EN: 1
; COMPUTE_PGM_RSRC2:TIDIG_COMP_CNT: 0
; COMPUTE_PGM_RSRC3_GFX90A:ACCUM_OFFSET: 19
; COMPUTE_PGM_RSRC3_GFX90A:TG_SPLIT: 0
	.section	.text._Z39paged_attention_ll4mi_QKV_mfma16_kernelIDF16_hLN4vllm18Fp8KVCacheDataTypeE1EDF16_Li32ELi128ELi256ELb0ELi9EL8MFMAType0EEvPKT_PKT0_S8_ifPKiSA_SA_iPKfiiiPfSD_PS3_PT2_iSC_SC_,"axG",@progbits,_Z39paged_attention_ll4mi_QKV_mfma16_kernelIDF16_hLN4vllm18Fp8KVCacheDataTypeE1EDF16_Li32ELi128ELi256ELb0ELi9EL8MFMAType0EEvPKT_PKT0_S8_ifPKiSA_SA_iPKfiiiPfSD_PS3_PT2_iSC_SC_,comdat
	.protected	_Z39paged_attention_ll4mi_QKV_mfma16_kernelIDF16_hLN4vllm18Fp8KVCacheDataTypeE1EDF16_Li32ELi128ELi256ELb0ELi9EL8MFMAType0EEvPKT_PKT0_S8_ifPKiSA_SA_iPKfiiiPfSD_PS3_PT2_iSC_SC_ ; -- Begin function _Z39paged_attention_ll4mi_QKV_mfma16_kernelIDF16_hLN4vllm18Fp8KVCacheDataTypeE1EDF16_Li32ELi128ELi256ELb0ELi9EL8MFMAType0EEvPKT_PKT0_S8_ifPKiSA_SA_iPKfiiiPfSD_PS3_PT2_iSC_SC_
	.globl	_Z39paged_attention_ll4mi_QKV_mfma16_kernelIDF16_hLN4vllm18Fp8KVCacheDataTypeE1EDF16_Li32ELi128ELi256ELb0ELi9EL8MFMAType0EEvPKT_PKT0_S8_ifPKiSA_SA_iPKfiiiPfSD_PS3_PT2_iSC_SC_
	.p2align	8
	.type	_Z39paged_attention_ll4mi_QKV_mfma16_kernelIDF16_hLN4vllm18Fp8KVCacheDataTypeE1EDF16_Li32ELi128ELi256ELb0ELi9EL8MFMAType0EEvPKT_PKT0_S8_ifPKiSA_SA_iPKfiiiPfSD_PS3_PT2_iSC_SC_,@function
_Z39paged_attention_ll4mi_QKV_mfma16_kernelIDF16_hLN4vllm18Fp8KVCacheDataTypeE1EDF16_Li32ELi128ELi256ELb0ELi9EL8MFMAType0EEvPKT_PKT0_S8_ifPKiSA_SA_iPKfiiiPfSD_PS3_PT2_iSC_SC_: ; @_Z39paged_attention_ll4mi_QKV_mfma16_kernelIDF16_hLN4vllm18Fp8KVCacheDataTypeE1EDF16_Li32ELi128ELi256ELb0ELi9EL8MFMAType0EEvPKT_PKT0_S8_ifPKiSA_SA_iPKfiiiPfSD_PS3_PT2_iSC_SC_
; %bb.0:
	s_load_dwordx2 s[6:7], s[4:5], 0x30
	s_add_u32 s0, s0, s11
	s_addc_u32 s1, s1, 0
	s_mov_b32 s24, s9
	s_mov_b64 s[12:13], 0
	s_waitcnt lgkmcnt(0)
	s_cmp_lg_u64 s[6:7], 0
	s_cselect_b64 s[16:17], -1, 0
	s_and_b64 vcc, exec, s[16:17]
	s_cbranch_vccz .LBB662_7
; %bb.1:
	s_add_i32 s14, s8, 1
	s_mov_b32 s15, 0
	s_lshl_b64 s[18:19], s[14:15], 2
	s_add_u32 s18, s6, s18
	s_mov_b32 s9, s15
	s_addc_u32 s19, s7, s19
	s_lshl_b64 s[14:15], s[8:9], 2
	s_add_u32 s14, s6, s14
	s_addc_u32 s15, s7, s15
	s_load_dword s11, s[18:19], 0x0
	s_load_dword s20, s[14:15], 0x0
	s_waitcnt lgkmcnt(0)
	s_sub_i32 s11, s11, s20
	s_cmp_eq_u32 s11, 1
	s_cselect_b64 s[14:15], -1, 0
	s_andn2_b64 vcc, exec, s[12:13]
	s_cbranch_vccnz .LBB662_3
.LBB662_2:
	s_mov_b32 s9, 0
	s_mov_b64 s[14:15], -1
.LBB662_3:
	s_andn2_b64 vcc, exec, s[14:15]
	s_cbranch_vccnz .LBB662_598
; %bb.4:
	s_load_dwordx2 s[12:13], s[4:5], 0x28
	s_lshl_b64 s[18:19], s[8:9], 2
	s_waitcnt lgkmcnt(0)
	s_add_u32 s12, s12, s18
	s_addc_u32 s13, s13, s19
	s_load_dword s33, s[12:13], 0x0
	s_lshl_b32 s20, s24, 8
	s_waitcnt lgkmcnt(0)
	s_cmp_ge_i32 s20, s33
	s_cbranch_scc1 .LBB662_598
; %bb.5:
	s_add_i32 s14, s33, 31
	s_load_dwordx2 s[12:13], s[4:5], 0x20
	s_load_dword s11, s[4:5], 0x38
	s_ashr_i32 s15, s14, 31
	v_and_b32_e32 v1, 0xcf, v0
	s_lshr_b32 s15, s15, 27
	v_add_u32_e32 v1, s20, v1
	s_add_i32 s14, s14, s15
	v_ashrrev_i32_e32 v2, 31, v1
	s_ashr_i32 s22, s14, 5
	v_lshrrev_b32_e32 v10, 27, v2
	s_add_i32 s22, s22, -1
	v_add_u32_e32 v2, v1, v10
	s_waitcnt lgkmcnt(0)
	s_mul_i32 s14, s8, s11
	s_mov_b32 s15, 0
	v_ashrrev_i32_e32 v2, 5, v2
	v_mov_b32_e32 v11, s22
	v_cmp_gt_i32_e32 vcc, s33, v1
	s_lshl_b64 s[14:15], s[14:15], 2
	v_cndmask_b32_e32 v2, v11, v2, vcc
	s_add_u32 s11, s12, s14
	v_ashrrev_i32_e32 v3, 31, v2
	s_addc_u32 s21, s13, s15
	v_lshlrev_b64 v[2:3], 2, v[2:3]
	v_mov_b32_e32 v5, s21
	v_add_co_u32_e32 v4, vcc, s11, v2
	v_or_b32_e32 v2, 16, v1
	v_addc_co_u32_e32 v5, vcc, v5, v3, vcc
	v_add_u32_e32 v3, v2, v10
	v_ashrrev_i32_e32 v3, 5, v3
	v_cmp_gt_i32_e32 vcc, s33, v2
	v_cndmask_b32_e32 v2, v11, v3, vcc
	v_ashrrev_i32_e32 v3, 31, v2
	v_lshlrev_b64 v[2:3], 2, v[2:3]
	v_mov_b32_e32 v7, s21
	v_add_co_u32_e32 v6, vcc, s11, v2
	v_or_b32_e32 v2, 32, v1
	v_addc_co_u32_e32 v7, vcc, v7, v3, vcc
	v_add_u32_e32 v3, v2, v10
	v_ashrrev_i32_e32 v3, 5, v3
	v_cmp_gt_i32_e32 vcc, s33, v2
	v_cndmask_b32_e32 v2, v11, v3, vcc
	v_ashrrev_i32_e32 v3, 31, v2
	;; [unrolled: 10-line block ×3, first 2 shown]
	v_lshlrev_b64 v[2:3], 2, v[2:3]
	v_mov_b32_e32 v1, s21
	v_add_co_u32_e32 v12, vcc, s11, v2
	v_addc_co_u32_e32 v13, vcc, v1, v3, vcc
	global_load_dword v2, v[4:5], off
	global_load_dword v10, v[6:7], off
	;; [unrolled: 1-line block ×4, first 2 shown]
	s_load_dwordx4 s[12:15], s[4:5], 0x8
	s_andn2_b64 vcc, exec, s[16:17]
	s_cbranch_vccnz .LBB662_8
; %bb.6:
	s_add_u32 s6, s6, s18
	s_addc_u32 s7, s7, s19
	s_load_dword s16, s[6:7], 0x0
	s_branch .LBB662_9
.LBB662_7:
	s_mov_b64 s[14:15], 0
	s_branch .LBB662_2
.LBB662_8:
	s_mov_b32 s16, s8
.LBB662_9:
	s_load_dwordx2 s[48:49], s[4:5], 0x68
	s_load_dwordx8 s[40:47], s[4:5], 0x48
	v_lshrrev_b32_e32 v62, 6, v0
	v_bfe_u32 v1, v0, 4, 2
	v_and_b32_e32 v55, 15, v0
	v_lshl_or_b32 v3, v62, 2, v1
	v_lshlrev_b32_e32 v4, 3, v55
	s_mul_i32 s25, s10, 9
	v_cmp_gt_u32_e32 vcc, 9, v3
	v_lshlrev_b32_e32 v54, 1, v4
	v_lshlrev_b32_e32 v56, 4, v0
	s_and_saveexec_b64 s[6:7], vcc
	s_cbranch_execz .LBB662_11
; %bb.10:
	s_load_dwordx2 s[18:19], s[4:5], 0x0
	s_waitcnt lgkmcnt(0)
	s_ashr_i32 s17, s40, 31
	s_mul_hi_u32 s23, s16, s40
	s_mul_i32 s17, s16, s17
	s_add_i32 s17, s23, s17
	s_mul_i32 s16, s16, s40
	s_lshl_b64 s[16:17], s[16:17], 1
	v_add_lshl_u32 v4, v3, s25, 7
	s_add_u32 s16, s18, s16
	v_ashrrev_i32_e32 v5, 31, v4
	s_addc_u32 s17, s19, s17
	v_lshlrev_b64 v[4:5], 1, v[4:5]
	v_mov_b32_e32 v6, s17
	v_add_co_u32_e32 v4, vcc, s16, v4
	v_addc_co_u32_e32 v5, vcc, v6, v5, vcc
	v_add_co_u32_e32 v4, vcc, v4, v54
	v_addc_co_u32_e32 v5, vcc, 0, v5, vcc
	global_load_dwordx4 v[4:7], v[4:5], off
	v_lshlrev_b32_e32 v9, 8, v0
	v_lshlrev_b32_e32 v8, 8, v55
	v_and_b32_e32 v9, 0x600, v9
	s_movk_i32 s16, 0x800
	v_and_or_b32 v8, v8, s16, v9
	v_lshlrev_b32_e32 v3, 5, v3
	v_and_b32_e32 v9, 16, v56
	v_or3_b32 v3, v8, v3, v9
	s_waitcnt vmcnt(0)
	ds_write_b128 v3, v[4:7]
.LBB662_11:
	s_or_b64 exec, exec, s[6:7]
	s_waitcnt lgkmcnt(0)
	s_mul_i32 s10, s10, s42
	s_add_u32 s6, s12, s10
	s_addc_u32 s7, s13, 0
	v_and_b32_e32 v3, 48, v0
	v_pk_mov_b32 v[22:23], s[6:7], s[6:7] op_sel:[0,1]
	s_ashr_i32 s6, s20, 31
	v_lshlrev_b32_e32 v25, 5, v3
	v_or_b32_e32 v3, s20, v3
	s_lshr_b32 s6, s6, 27
	v_add_u32_e32 v4, s6, v3
	v_ashrrev_i32_e32 v4, 5, v4
	v_mov_b32_e32 v11, s22
	v_cmp_gt_i32_e32 vcc, s33, v3
	v_cndmask_b32_e32 v4, v11, v4, vcc
	v_ashrrev_i32_e32 v5, 31, v4
	v_lshlrev_b64 v[4:5], 2, v[4:5]
	v_mov_b32_e32 v6, s21
	v_add_co_u32_e32 v4, vcc, s11, v4
	v_addc_co_u32_e32 v5, vcc, v6, v5, vcc
	v_or_b32_e32 v6, 64, v3
	v_add_u32_e32 v7, s6, v6
	v_ashrrev_i32_e32 v7, 5, v7
	v_cmp_gt_i32_e32 vcc, s33, v6
	v_cndmask_b32_e32 v6, v11, v7, vcc
	v_ashrrev_i32_e32 v7, 31, v6
	v_lshlrev_b64 v[6:7], 2, v[6:7]
	v_mov_b32_e32 v8, s21
	v_add_co_u32_e32 v6, vcc, s11, v6
	v_addc_co_u32_e32 v7, vcc, v8, v7, vcc
	v_or_b32_e32 v8, 0x80, v3
	v_add_u32_e32 v9, s6, v8
	v_ashrrev_i32_e32 v9, 5, v9
	v_cmp_gt_i32_e32 vcc, s33, v8
	v_cndmask_b32_e32 v8, v11, v9, vcc
	v_ashrrev_i32_e32 v9, 31, v8
	v_lshlrev_b64 v[8:9], 2, v[8:9]
	v_mov_b32_e32 v12, s21
	v_add_co_u32_e32 v8, vcc, s11, v8
	v_or_b32_e32 v3, 0xc0, v3
	s_load_dwordx2 s[50:51], s[4:5], 0x94
	s_waitcnt lgkmcnt(0)
	s_barrier
	v_addc_co_u32_e32 v9, vcc, v12, v9, vcc
	global_load_dword v50, v[4:5], off
	global_load_dword v57, v[6:7], off
	v_add_u32_e32 v4, s6, v3
	v_ashrrev_i32_e32 v4, 5, v4
	v_cmp_gt_i32_e32 vcc, s33, v3
	v_cndmask_b32_e32 v4, v11, v4, vcc
	v_ashrrev_i32_e32 v5, 31, v4
	v_lshlrev_b64 v[4:5], 2, v[4:5]
	v_mov_b32_e32 v3, s21
	v_add_co_u32_e32 v4, vcc, s11, v4
	v_addc_co_u32_e32 v5, vcc, v3, v5, vcc
	global_load_dword v64, v[8:9], off
	global_load_dword v65, v[4:5], off
	s_waitcnt vmcnt(7)
	v_mad_i64_i32 v[2:3], s[6:7], v2, s41, v[22:23]
	v_lshlrev_b32_e32 v26, 4, v55
	v_add_co_u32_e32 v2, vcc, v2, v26
	v_addc_co_u32_e32 v3, vcc, 0, v3, vcc
	v_add_co_u32_e32 v12, vcc, v2, v25
	v_addc_co_u32_e32 v13, vcc, 0, v3, vcc
	global_load_dwordx4 v[6:9], v[12:13], off
	global_load_dwordx4 v[2:5], v[12:13], off offset:2048
	s_waitcnt vmcnt(8)
	v_mad_i64_i32 v[10:11], s[6:7], v10, s41, v[22:23]
	v_or_b32_e32 v28, 0x100, v26
	v_add_co_u32_e32 v10, vcc, v10, v28
	v_addc_co_u32_e32 v11, vcc, 0, v11, vcc
	v_add_co_u32_e32 v20, vcc, v10, v25
	v_addc_co_u32_e32 v21, vcc, 0, v11, vcc
	s_waitcnt vmcnt(7)
	v_mad_i64_i32 v[18:19], s[6:7], v18, s41, v[22:23]
	v_add_co_u32_e32 v18, vcc, v18, v26
	v_addc_co_u32_e32 v19, vcc, 0, v19, vcc
	v_add_co_u32_e32 v26, vcc, v18, v25
	v_addc_co_u32_e32 v27, vcc, 0, v19, vcc
	s_waitcnt vmcnt(6)
	v_mad_i64_i32 v[22:23], s[6:7], v24, s41, v[22:23]
	v_add_co_u32_e32 v22, vcc, v22, v28
	v_addc_co_u32_e32 v23, vcc, 0, v23, vcc
	v_add_co_u32_e32 v30, vcc, v22, v25
	v_addc_co_u32_e32 v31, vcc, 0, v23, vcc
	s_add_u32 s6, s14, s10
	global_load_dwordx4 v[10:13], v[20:21], off
	global_load_dwordx4 v[14:17], v[20:21], off offset:2048
	global_load_dwordx4 v[38:41], v[26:27], off
	s_nop 0
	global_load_dwordx4 v[18:21], v[26:27], off offset:2048
	s_nop 0
	global_load_dwordx4 v[26:29], v[30:31], off
	global_load_dwordx4 v[22:25], v[30:31], off offset:2048
	s_addc_u32 s7, s15, 0
	v_and_b32_e32 v30, 16, v0
	v_mov_b32_e32 v31, s7
	v_add_co_u32_e32 v51, vcc, s6, v30
	v_lshl_or_b32 v63, v62, 4, v55
	v_addc_co_u32_e32 v52, vcc, 0, v31, vcc
	v_lshlrev_b32_e32 v53, 5, v63
	v_add_co_u32_e32 v42, vcc, v51, v53
	v_addc_co_u32_e32 v43, vcc, 0, v52, vcc
	v_or_b32_e32 v53, 0x800, v53
	v_add_co_u32_e32 v58, vcc, v51, v53
	v_addc_co_u32_e32 v59, vcc, 0, v52, vcc
	v_cmp_gt_u32_e32 vcc, 9, v55
	s_waitcnt vmcnt(11)
	v_mad_i64_i32 v[30:31], s[6:7], v50, s41, v[42:43]
	s_waitcnt vmcnt(10)
	v_mad_i64_i32 v[34:35], s[6:7], v57, s41, v[42:43]
	global_load_dwordx4 v[30:33], v[30:31], off
	v_mad_i64_i32 v[50:51], s[6:7], v50, s41, v[58:59]
	global_load_dwordx4 v[34:37], v[34:35], off
	v_mad_i64_i32 v[60:61], s[6:7], v57, s41, v[58:59]
	s_mov_b32 s12, 0
	s_movk_i32 s13, 0x80
	s_waitcnt vmcnt(11)
	v_mad_i64_i32 v[44:45], s[6:7], v64, s41, v[42:43]
	s_waitcnt vmcnt(10)
	v_mad_i64_i32 v[42:43], s[6:7], v65, s41, v[42:43]
	global_load_dwordx4 v[46:49], v[44:45], off
	s_nop 0
	global_load_dwordx4 v[42:45], v[42:43], off
	s_movk_i32 s14, 0x7f
	global_load_dwordx4 v[50:53], v[50:51], off
	s_mov_b32 s15, 0xffffff
	global_load_dwordx4 v[66:69], v[60:61], off
	s_waitcnt vmcnt(13)
	buffer_store_dword v9, off, s[0:3], 0 offset:12
	buffer_store_dword v8, off, s[0:3], 0 offset:8
	v_mad_i64_i32 v[8:9], s[6:7], v64, s41, v[58:59]
	global_load_dwordx4 v[70:73], v[8:9], off
	v_mad_i64_i32 v[8:9], s[6:7], v65, s41, v[58:59]
	global_load_dwordx4 v[74:77], v[8:9], off
	v_and_b32_e32 v64, 63, v0
	buffer_store_dword v7, off, s[0:3], 0 offset:4
	buffer_store_dword v6, off, s[0:3], 0
	s_waitcnt vmcnt(18)
	buffer_store_dword v5, off, s[0:3], 0 offset:28
	buffer_store_dword v4, off, s[0:3], 0 offset:24
	;; [unrolled: 1-line block ×4, first 2 shown]
	s_waitcnt vmcnt(21)
	buffer_store_dword v13, off, s[0:3], 0 offset:44
	buffer_store_dword v12, off, s[0:3], 0 offset:40
	;; [unrolled: 1-line block ×4, first 2 shown]
	v_mov_b32_e32 v2, 0x80
	s_load_dword s6, s[4:5], 0x1c
	s_load_dwordx4 s[40:43], s[4:5], 0x80
	v_add_u32_e32 v57, 16, v2
	s_waitcnt vmcnt(24)
	buffer_store_dword v17, off, s[0:3], 0 offset:60
	buffer_store_dword v16, off, s[0:3], 0 offset:56
	;; [unrolled: 1-line block ×4, first 2 shown]
	v_add_u32_e32 v61, 32, v2
	v_add_u32_e32 v58, 48, v2
	;; [unrolled: 1-line block ×4, first 2 shown]
	s_waitcnt vmcnt(27)
	buffer_store_dword v41, off, s[0:3], 0 offset:76
	buffer_store_dword v40, off, s[0:3], 0 offset:72
	;; [unrolled: 1-line block ×4, first 2 shown]
	v_add_u32_e32 v41, 0x60, v2
	v_add_u32_e32 v39, 0x70, v2
	v_add_u32_e32 v2, -9, v55
	v_cndmask_b32_e32 v2, v2, v55, vcc
	v_lshlrev_b32_e32 v2, 5, v2
	v_lshl_add_u32 v14, v1, 9, v2
	ds_read_b128 v[2:5], v14
	ds_read_b128 v[6:9], v14 offset:16
	ds_read_b128 v[10:13], v14 offset:2048
	;; [unrolled: 1-line block ×3, first 2 shown]
	s_waitcnt vmcnt(30)
	buffer_store_dword v21, off, s[0:3], 0 offset:92
	buffer_store_dword v20, off, s[0:3], 0 offset:88
	buffer_store_dword v19, off, s[0:3], 0 offset:84
	buffer_store_dword v18, off, s[0:3], 0 offset:80
	s_waitcnt vmcnt(33)
	buffer_store_dword v29, off, s[0:3], 0 offset:108
	buffer_store_dword v28, off, s[0:3], 0 offset:104
	buffer_store_dword v27, off, s[0:3], 0 offset:100
	buffer_store_dword v26, off, s[0:3], 0 offset:96
	;; [unrolled: 5-line block ×10, first 2 shown]
	s_waitcnt vmcnt(58)
	buffer_store_dword v77, off, s[0:3], 0 offset:252
	s_waitcnt lgkmcnt(0)
	s_load_dword s4, s[40:41], 0x0
	v_mov_b32_e32 v18, s6
	v_mov_b32_e32 v27, 0
	;; [unrolled: 1-line block ×4, first 2 shown]
	s_waitcnt lgkmcnt(0)
	v_mul_f32_e32 v22, s4, v18
	v_mov_b32_e32 v24, v22
	v_mov_b32_e32 v25, v22
	v_bfrev_b32_e32 v33, 60
	buffer_store_dword v76, off, s[0:3], 0 offset:248
	buffer_store_dword v75, off, s[0:3], 0 offset:244
	;; [unrolled: 1-line block ×3, first 2 shown]
	s_branch .LBB662_15
.LBB662_12:                             ;   in Loop: Header=BB662_15 Depth=1
	s_or_b64 exec, exec, s[10:11]
.LBB662_13:                             ;   in Loop: Header=BB662_15 Depth=1
	s_or_b64 exec, exec, s[6:7]
.LBB662_14:                             ;   in Loop: Header=BB662_15 Depth=1
	s_or_b64 exec, exec, s[4:5]
	v_cvt_pkrtz_f16_f32 v42, v34, v32
	v_cvt_pkrtz_f16_f32 v43, v23, v36
	;; [unrolled: 1-line block ×4, first 2 shown]
	v_add_u32_e32 v26, s12, v31
	v_mfma_f32_16x16x16f16 v[18:21], v[42:43], v[14:15], v[18:21]
	s_add_i32 s12, s12, 16
	v_mov_b32_e32 v23, v22
	s_cmp_eq_u32 s12, 64
	v_add_u32_e32 v27, 32, v27
	v_mfma_f32_16x16x16f16 v[18:21], v[34:35], v[16:17], v[18:21]
	s_nop 7
	s_nop 2
	v_pk_mul_f32 v[18:19], v[24:25], v[18:19]
	v_pk_mul_f32 v[20:21], v[22:23], v[20:21]
	buffer_store_dword v19, v26, s[0:3], 0 offen offset:4
	buffer_store_dword v18, v26, s[0:3], 0 offen
	buffer_store_dword v21, v26, s[0:3], 0 offen offset:12
	buffer_store_dword v20, v26, s[0:3], 0 offen offset:8
	s_cbranch_scc1 .LBB662_205
.LBB662_15:                             ; =>This Inner Loop Header: Depth=1
	buffer_load_dword v20, v27, s[0:3], 0 offen
	buffer_load_dword v18, v27, s[0:3], 0 offen offset:4
	buffer_load_dword v28, v27, s[0:3], 0 offen offset:8
	;; [unrolled: 1-line block ×3, first 2 shown]
	v_mov_b32_e32 v19, 0
	s_waitcnt vmcnt(3)
	v_cmp_ne_u16_sdwa s[6:7], v20, v29 src0_sel:BYTE_0 src1_sel:DWORD
	s_and_saveexec_b64 s[4:5], s[6:7]
	s_cbranch_execz .LBB662_21
; %bb.16:                               ;   in Loop: Header=BB662_15 Depth=1
	v_cmp_ne_u16_sdwa s[10:11], v20, s13 src0_sel:BYTE_0 src1_sel:DWORD
	v_bfrev_b32_e32 v19, 1
	s_and_saveexec_b64 s[6:7], s[10:11]
	s_cbranch_execz .LBB662_20
; %bb.17:                               ;   in Loop: Header=BB662_15 Depth=1
	v_and_b32_e32 v21, 0x7f, v20
	v_cmp_ne_u32_e32 vcc, s14, v21
	v_mov_b32_e32 v19, 0x7f800001
	s_and_saveexec_b64 s[10:11], vcc
	s_cbranch_execz .LBB662_19
; %bb.18:                               ;   in Loop: Header=BB662_15 Depth=1
	v_and_b32_e32 v19, 7, v20
	v_ffbh_u32_e32 v30, v19
	v_min_u32_e32 v30, 32, v30
	v_subrev_u32_e32 v32, 28, v30
	v_lshlrev_b64 v[34:35], v32, v[20:21]
	v_lshrrev_b32_e32 v23, 3, v21
	v_sub_u32_e32 v30, 29, v30
	v_and_b32_e32 v32, 7, v34
	v_cmp_gt_u32_e32 vcc, 8, v21
	v_cndmask_b32_e32 v21, v23, v30, vcc
	v_cndmask_b32_e32 v19, v19, v32, vcc
	v_lshlrev_b32_e32 v23, 24, v20
	v_lshlrev_b32_e32 v19, 20, v19
	v_and_b32_e32 v23, 0x80000000, v23
	v_lshl_add_u32 v21, v21, 23, v33
	v_or3_b32 v19, v23, v21, v19
.LBB662_19:                             ;   in Loop: Header=BB662_15 Depth=1
	s_or_b64 exec, exec, s[10:11]
.LBB662_20:                             ;   in Loop: Header=BB662_15 Depth=1
	s_or_b64 exec, exec, s[6:7]
.LBB662_21:                             ;   in Loop: Header=BB662_15 Depth=1
	s_or_b64 exec, exec, s[4:5]
	v_lshrrev_b16_e32 v30, 8, v20
	v_cmp_ne_u16_e32 vcc, 0, v30
	v_mov_b32_e32 v21, 0
	v_mov_b32_e32 v23, 0
	s_and_saveexec_b64 s[4:5], vcc
	s_cbranch_execz .LBB662_27
; %bb.22:                               ;   in Loop: Header=BB662_15 Depth=1
	v_cmp_ne_u16_e32 vcc, s13, v30
	v_bfrev_b32_e32 v23, 1
	s_and_saveexec_b64 s[6:7], vcc
	s_cbranch_execz .LBB662_26
; %bb.23:                               ;   in Loop: Header=BB662_15 Depth=1
	v_and_b32_e32 v32, 0x7f, v30
	v_cmp_ne_u32_e32 vcc, s14, v32
	v_mov_b32_e32 v23, 0x7f800001
	s_and_saveexec_b64 s[10:11], vcc
	s_cbranch_execz .LBB662_25
; %bb.24:                               ;   in Loop: Header=BB662_15 Depth=1
	v_and_b32_e32 v23, 7, v30
	v_ffbh_u32_e32 v34, v23
	v_min_u32_e32 v37, 32, v34
	v_subrev_u32_e32 v34, 28, v37
	v_lshlrev_b64 v[34:35], v34, v[30:31]
	v_lshrrev_b32_e32 v36, 3, v32
	v_sub_u32_e32 v30, 29, v37
	v_and_b32_e32 v34, 7, v34
	v_cmp_gt_u32_e32 vcc, 8, v32
	v_cndmask_b32_e32 v30, v36, v30, vcc
	v_cndmask_b32_e32 v23, v23, v34, vcc
	v_lshlrev_b32_e32 v32, 16, v20
	v_lshlrev_b32_e32 v23, 20, v23
	v_and_b32_e32 v32, 0x80000000, v32
	v_lshl_add_u32 v30, v30, 23, v33
	v_or3_b32 v23, v32, v30, v23
.LBB662_25:                             ;   in Loop: Header=BB662_15 Depth=1
	s_or_b64 exec, exec, s[10:11]
.LBB662_26:                             ;   in Loop: Header=BB662_15 Depth=1
	s_or_b64 exec, exec, s[6:7]
.LBB662_27:                             ;   in Loop: Header=BB662_15 Depth=1
	s_or_b64 exec, exec, s[4:5]
	v_lshrrev_b32_e32 v30, 16, v20
	v_cmp_ne_u16_sdwa s[6:7], v30, v29 src0_sel:BYTE_0 src1_sel:DWORD
	s_and_saveexec_b64 s[4:5], s[6:7]
	s_cbranch_execz .LBB662_33
; %bb.28:                               ;   in Loop: Header=BB662_15 Depth=1
	v_cmp_ne_u16_sdwa s[10:11], v30, s13 src0_sel:BYTE_0 src1_sel:DWORD
	v_bfrev_b32_e32 v21, 1
	s_and_saveexec_b64 s[6:7], s[10:11]
	s_cbranch_execz .LBB662_32
; %bb.29:                               ;   in Loop: Header=BB662_15 Depth=1
	v_bfe_u32 v32, v20, 16, 7
	v_cmp_ne_u32_e32 vcc, s14, v32
	v_mov_b32_e32 v21, 0x7f800001
	s_and_saveexec_b64 s[10:11], vcc
	s_cbranch_execz .LBB662_31
; %bb.30:                               ;   in Loop: Header=BB662_15 Depth=1
	v_and_b32_e32 v21, 7, v30
	v_ffbh_u32_e32 v34, v21
	v_min_u32_e32 v37, 32, v34
	v_subrev_u32_e32 v34, 28, v37
	v_lshlrev_b64 v[34:35], v34, v[30:31]
	v_lshrrev_b32_e32 v36, 3, v32
	v_sub_u32_e32 v35, 29, v37
	v_and_b32_e32 v34, 7, v34
	v_cmp_gt_u32_e32 vcc, 8, v32
	v_cndmask_b32_e32 v32, v36, v35, vcc
	v_cndmask_b32_e32 v21, v21, v34, vcc
	v_lshlrev_b32_e32 v30, 24, v30
	v_lshlrev_b32_e32 v21, 20, v21
	v_and_b32_e32 v30, 0x80000000, v30
	v_lshl_add_u32 v32, v32, 23, v33
	v_or3_b32 v21, v30, v32, v21
.LBB662_31:                             ;   in Loop: Header=BB662_15 Depth=1
	s_or_b64 exec, exec, s[10:11]
.LBB662_32:                             ;   in Loop: Header=BB662_15 Depth=1
	s_or_b64 exec, exec, s[6:7]
.LBB662_33:                             ;   in Loop: Header=BB662_15 Depth=1
	s_or_b64 exec, exec, s[4:5]
	v_cmp_lt_u32_e32 vcc, s15, v20
	v_mov_b32_e32 v34, 0
	v_mov_b32_e32 v35, 0
	s_and_saveexec_b64 s[4:5], vcc
	s_cbranch_execz .LBB662_39
; %bb.34:                               ;   in Loop: Header=BB662_15 Depth=1
	v_lshrrev_b32_e32 v30, 24, v20
	v_cmp_ne_u32_e32 vcc, s13, v30
	v_bfrev_b32_e32 v35, 1
	s_and_saveexec_b64 s[6:7], vcc
	s_cbranch_execz .LBB662_38
; %bb.35:                               ;   in Loop: Header=BB662_15 Depth=1
	v_bfe_u32 v20, v20, 24, 7
	v_cmp_ne_u32_e32 vcc, s14, v20
	v_mov_b32_e32 v35, 0x7f800001
	s_and_saveexec_b64 s[10:11], vcc
	s_cbranch_execz .LBB662_37
; %bb.36:                               ;   in Loop: Header=BB662_15 Depth=1
	v_and_b32_e32 v32, 7, v30
	v_ffbh_u32_e32 v36, v32
	v_min_u32_e32 v38, 32, v36
	v_subrev_u32_e32 v36, 28, v38
	v_lshlrev_b64 v[36:37], v36, v[30:31]
	v_lshrrev_b32_e32 v35, 3, v20
	v_sub_u32_e32 v37, 29, v38
	v_and_b32_e32 v36, 7, v36
	v_cmp_gt_u32_e32 vcc, 8, v20
	v_cndmask_b32_e32 v20, v35, v37, vcc
	v_cndmask_b32_e32 v32, v32, v36, vcc
	v_lshlrev_b32_e32 v30, 24, v30
	v_lshlrev_b32_e32 v32, 20, v32
	v_and_b32_e32 v30, 0x80000000, v30
	v_lshl_add_u32 v20, v20, 23, v33
	v_or3_b32 v35, v30, v20, v32
.LBB662_37:                             ;   in Loop: Header=BB662_15 Depth=1
	s_or_b64 exec, exec, s[10:11]
.LBB662_38:                             ;   in Loop: Header=BB662_15 Depth=1
	s_or_b64 exec, exec, s[6:7]
.LBB662_39:                             ;   in Loop: Header=BB662_15 Depth=1
	s_or_b64 exec, exec, s[4:5]
	s_waitcnt vmcnt(2)
	v_cmp_ne_u16_sdwa s[6:7], v18, v29 src0_sel:BYTE_0 src1_sel:DWORD
	s_and_saveexec_b64 s[4:5], s[6:7]
	s_cbranch_execz .LBB662_45
; %bb.40:                               ;   in Loop: Header=BB662_15 Depth=1
	v_cmp_ne_u16_sdwa s[10:11], v18, s13 src0_sel:BYTE_0 src1_sel:DWORD
	v_bfrev_b32_e32 v34, 1
	s_and_saveexec_b64 s[6:7], s[10:11]
	s_cbranch_execz .LBB662_44
; %bb.41:                               ;   in Loop: Header=BB662_15 Depth=1
	v_and_b32_e32 v20, 0x7f, v18
	v_cmp_ne_u32_e32 vcc, s14, v20
	v_mov_b32_e32 v34, 0x7f800001
	s_and_saveexec_b64 s[10:11], vcc
	s_cbranch_execz .LBB662_43
; %bb.42:                               ;   in Loop: Header=BB662_15 Depth=1
	v_and_b32_e32 v30, 7, v18
	v_ffbh_u32_e32 v34, v30
	v_min_u32_e32 v34, 32, v34
	v_subrev_u32_e32 v36, 28, v34
	v_lshlrev_b64 v[36:37], v36, v[18:19]
	v_lshrrev_b32_e32 v32, 3, v20
	v_sub_u32_e32 v34, 29, v34
	v_and_b32_e32 v36, 7, v36
	v_cmp_gt_u32_e32 vcc, 8, v20
	v_cndmask_b32_e32 v20, v32, v34, vcc
	v_cndmask_b32_e32 v30, v30, v36, vcc
	v_lshlrev_b32_e32 v32, 24, v18
	v_lshlrev_b32_e32 v30, 20, v30
	v_and_b32_e32 v32, 0x80000000, v32
	v_lshl_add_u32 v20, v20, 23, v33
	v_or3_b32 v34, v32, v20, v30
.LBB662_43:                             ;   in Loop: Header=BB662_15 Depth=1
	s_or_b64 exec, exec, s[10:11]
.LBB662_44:                             ;   in Loop: Header=BB662_15 Depth=1
	s_or_b64 exec, exec, s[6:7]
.LBB662_45:                             ;   in Loop: Header=BB662_15 Depth=1
	s_or_b64 exec, exec, s[4:5]
	v_lshrrev_b16_e32 v20, 8, v18
	v_cmp_ne_u16_e32 vcc, 0, v20
	v_mov_b32_e32 v30, 0
	v_mov_b32_e32 v36, 0
	s_and_saveexec_b64 s[4:5], vcc
	s_cbranch_execz .LBB662_51
; %bb.46:                               ;   in Loop: Header=BB662_15 Depth=1
	v_cmp_ne_u16_e32 vcc, s13, v20
	v_bfrev_b32_e32 v36, 1
	s_and_saveexec_b64 s[6:7], vcc
	s_cbranch_execz .LBB662_50
; %bb.47:                               ;   in Loop: Header=BB662_15 Depth=1
	v_and_b32_e32 v32, 0x7f, v20
	v_cmp_ne_u32_e32 vcc, s14, v32
	v_mov_b32_e32 v36, 0x7f800001
	s_and_saveexec_b64 s[10:11], vcc
	s_cbranch_execz .LBB662_49
; %bb.48:                               ;   in Loop: Header=BB662_15 Depth=1
	v_and_b32_e32 v38, 7, v20
	v_ffbh_u32_e32 v36, v38
	v_min_u32_e32 v42, 32, v36
	v_subrev_u32_e32 v36, 28, v42
	v_lshlrev_b64 v[36:37], v36, v[20:21]
	v_lshrrev_b32_e32 v40, 3, v32
	v_sub_u32_e32 v20, 29, v42
	v_and_b32_e32 v36, 7, v36
	v_cmp_gt_u32_e32 vcc, 8, v32
	v_cndmask_b32_e32 v20, v40, v20, vcc
	v_cndmask_b32_e32 v32, v38, v36, vcc
	v_lshlrev_b32_e32 v36, 16, v18
	v_lshlrev_b32_e32 v32, 20, v32
	v_and_b32_e32 v36, 0x80000000, v36
	v_lshl_add_u32 v20, v20, 23, v33
	v_or3_b32 v36, v36, v20, v32
.LBB662_49:                             ;   in Loop: Header=BB662_15 Depth=1
	s_or_b64 exec, exec, s[10:11]
.LBB662_50:                             ;   in Loop: Header=BB662_15 Depth=1
	s_or_b64 exec, exec, s[6:7]
.LBB662_51:                             ;   in Loop: Header=BB662_15 Depth=1
	s_or_b64 exec, exec, s[4:5]
	v_lshrrev_b32_e32 v20, 16, v18
	v_cmp_ne_u16_sdwa s[6:7], v20, v29 src0_sel:BYTE_0 src1_sel:DWORD
	s_and_saveexec_b64 s[4:5], s[6:7]
	s_cbranch_execz .LBB662_57
; %bb.52:                               ;   in Loop: Header=BB662_15 Depth=1
	v_cmp_ne_u16_sdwa s[10:11], v20, s13 src0_sel:BYTE_0 src1_sel:DWORD
	v_bfrev_b32_e32 v30, 1
	s_and_saveexec_b64 s[6:7], s[10:11]
	s_cbranch_execz .LBB662_56
; %bb.53:                               ;   in Loop: Header=BB662_15 Depth=1
	v_bfe_u32 v32, v18, 16, 7
	v_cmp_ne_u32_e32 vcc, s14, v32
	v_mov_b32_e32 v30, 0x7f800001
	s_and_saveexec_b64 s[10:11], vcc
	s_cbranch_execz .LBB662_55
; %bb.54:                               ;   in Loop: Header=BB662_15 Depth=1
	v_and_b32_e32 v30, 7, v20
	v_ffbh_u32_e32 v38, v30
	v_min_u32_e32 v38, 32, v38
	v_subrev_u32_e32 v40, 28, v38
	v_lshlrev_b64 v[42:43], v40, v[20:21]
	v_lshrrev_b32_e32 v37, 3, v32
	v_sub_u32_e32 v38, 29, v38
	v_and_b32_e32 v40, 7, v42
	v_cmp_gt_u32_e32 vcc, 8, v32
	v_cndmask_b32_e32 v32, v37, v38, vcc
	v_cndmask_b32_e32 v30, v30, v40, vcc
	v_lshlrev_b32_e32 v20, 24, v20
	v_lshlrev_b32_e32 v30, 20, v30
	v_and_b32_e32 v20, 0x80000000, v20
	v_lshl_add_u32 v32, v32, 23, v33
	v_or3_b32 v30, v20, v32, v30
.LBB662_55:                             ;   in Loop: Header=BB662_15 Depth=1
	s_or_b64 exec, exec, s[10:11]
.LBB662_56:                             ;   in Loop: Header=BB662_15 Depth=1
	s_or_b64 exec, exec, s[6:7]
.LBB662_57:                             ;   in Loop: Header=BB662_15 Depth=1
	s_or_b64 exec, exec, s[4:5]
	v_cmp_lt_u32_e32 vcc, s15, v18
	v_mov_b32_e32 v32, 0
	v_mov_b32_e32 v37, 0
	s_and_saveexec_b64 s[4:5], vcc
	s_cbranch_execz .LBB662_63
; %bb.58:                               ;   in Loop: Header=BB662_15 Depth=1
	v_lshrrev_b32_e32 v20, 24, v18
	v_cmp_ne_u32_e32 vcc, s13, v20
	v_bfrev_b32_e32 v37, 1
	s_and_saveexec_b64 s[6:7], vcc
	s_cbranch_execz .LBB662_62
; %bb.59:                               ;   in Loop: Header=BB662_15 Depth=1
	v_bfe_u32 v18, v18, 24, 7
	v_cmp_ne_u32_e32 vcc, s14, v18
	v_mov_b32_e32 v37, 0x7f800001
	s_and_saveexec_b64 s[10:11], vcc
	s_cbranch_execz .LBB662_61
; %bb.60:                               ;   in Loop: Header=BB662_15 Depth=1
	v_and_b32_e32 v37, 7, v20
	v_ffbh_u32_e32 v40, v37
	v_min_u32_e32 v40, 32, v40
	v_subrev_u32_e32 v42, 28, v40
	v_lshlrev_b64 v[42:43], v42, v[20:21]
	v_lshrrev_b32_e32 v38, 3, v18
	v_sub_u32_e32 v40, 29, v40
	v_and_b32_e32 v42, 7, v42
	v_cmp_gt_u32_e32 vcc, 8, v18
	v_cndmask_b32_e32 v18, v38, v40, vcc
	v_cndmask_b32_e32 v37, v37, v42, vcc
	v_lshlrev_b32_e32 v20, 24, v20
	v_lshlrev_b32_e32 v37, 20, v37
	v_and_b32_e32 v20, 0x80000000, v20
	v_lshl_add_u32 v18, v18, 23, v33
	v_or3_b32 v37, v20, v18, v37
.LBB662_61:                             ;   in Loop: Header=BB662_15 Depth=1
	s_or_b64 exec, exec, s[10:11]
.LBB662_62:                             ;   in Loop: Header=BB662_15 Depth=1
	s_or_b64 exec, exec, s[6:7]
.LBB662_63:                             ;   in Loop: Header=BB662_15 Depth=1
	s_or_b64 exec, exec, s[4:5]
	v_cvt_pkrtz_f16_f32 v18, v19, v23
	v_cvt_pkrtz_f16_f32 v19, v21, v35
	;; [unrolled: 1-line block ×4, first 2 shown]
	s_waitcnt vmcnt(1)
	v_cmp_ne_u16_sdwa s[6:7], v28, v29 src0_sel:BYTE_0 src1_sel:DWORD
	v_mfma_f32_16x16x16f16 v[18:21], v[18:19], v[2:3], 0
	v_mfma_f32_16x16x16f16 v[18:21], v[34:35], v[4:5], v[18:21]
	s_and_saveexec_b64 s[4:5], s[6:7]
	s_cbranch_execz .LBB662_69
; %bb.64:                               ;   in Loop: Header=BB662_15 Depth=1
	v_cmp_ne_u16_sdwa s[10:11], v28, s13 src0_sel:BYTE_0 src1_sel:DWORD
	v_bfrev_b32_e32 v32, 1
	s_and_saveexec_b64 s[6:7], s[10:11]
	s_cbranch_execz .LBB662_68
; %bb.65:                               ;   in Loop: Header=BB662_15 Depth=1
	v_and_b32_e32 v23, 0x7f, v28
	v_cmp_ne_u32_e32 vcc, s14, v23
	v_mov_b32_e32 v32, 0x7f800001
	s_and_saveexec_b64 s[10:11], vcc
	s_cbranch_execz .LBB662_67
; %bb.66:                               ;   in Loop: Header=BB662_15 Depth=1
	v_and_b32_e32 v30, 7, v28
	v_ffbh_u32_e32 v34, v30
	v_min_u32_e32 v36, 32, v34
	v_subrev_u32_e32 v34, 28, v36
	v_lshlrev_b64 v[34:35], v34, v[28:29]
	v_lshrrev_b32_e32 v32, 3, v23
	v_sub_u32_e32 v35, 29, v36
	v_and_b32_e32 v34, 7, v34
	v_cmp_gt_u32_e32 vcc, 8, v23
	v_cndmask_b32_e32 v23, v32, v35, vcc
	v_cndmask_b32_e32 v30, v30, v34, vcc
	v_lshlrev_b32_e32 v32, 24, v28
	v_lshlrev_b32_e32 v30, 20, v30
	v_and_b32_e32 v32, 0x80000000, v32
	v_lshl_add_u32 v23, v23, 23, v33
	v_or3_b32 v32, v32, v23, v30
.LBB662_67:                             ;   in Loop: Header=BB662_15 Depth=1
	s_or_b64 exec, exec, s[10:11]
.LBB662_68:                             ;   in Loop: Header=BB662_15 Depth=1
	s_or_b64 exec, exec, s[6:7]
.LBB662_69:                             ;   in Loop: Header=BB662_15 Depth=1
	s_or_b64 exec, exec, s[4:5]
	v_lshrrev_b16_e32 v30, 8, v28
	v_cmp_ne_u16_e32 vcc, 0, v30
	v_mov_b32_e32 v34, 0
	v_mov_b32_e32 v35, 0
	s_and_saveexec_b64 s[4:5], vcc
	s_cbranch_execz .LBB662_75
; %bb.70:                               ;   in Loop: Header=BB662_15 Depth=1
	v_cmp_ne_u16_e32 vcc, s13, v30
	v_bfrev_b32_e32 v35, 1
	s_and_saveexec_b64 s[6:7], vcc
	s_cbranch_execz .LBB662_74
; %bb.71:                               ;   in Loop: Header=BB662_15 Depth=1
	v_and_b32_e32 v23, 0x7f, v30
	v_cmp_ne_u32_e32 vcc, s14, v23
	v_mov_b32_e32 v35, 0x7f800001
	s_and_saveexec_b64 s[10:11], vcc
	s_cbranch_execz .LBB662_73
; %bb.72:                               ;   in Loop: Header=BB662_15 Depth=1
	v_and_b32_e32 v35, 7, v30
	v_ffbh_u32_e32 v36, v35
	v_min_u32_e32 v40, 32, v36
	v_subrev_u32_e32 v36, 28, v40
	v_lshlrev_b64 v[36:37], v36, v[30:31]
	v_lshrrev_b32_e32 v38, 3, v23
	v_sub_u32_e32 v30, 29, v40
	v_and_b32_e32 v36, 7, v36
	v_cmp_gt_u32_e32 vcc, 8, v23
	v_cndmask_b32_e32 v23, v38, v30, vcc
	v_cndmask_b32_e32 v30, v35, v36, vcc
	v_lshlrev_b32_e32 v35, 16, v28
	v_lshlrev_b32_e32 v30, 20, v30
	v_and_b32_e32 v35, 0x80000000, v35
	v_lshl_add_u32 v23, v23, 23, v33
	v_or3_b32 v35, v35, v23, v30
.LBB662_73:                             ;   in Loop: Header=BB662_15 Depth=1
	s_or_b64 exec, exec, s[10:11]
.LBB662_74:                             ;   in Loop: Header=BB662_15 Depth=1
	s_or_b64 exec, exec, s[6:7]
.LBB662_75:                             ;   in Loop: Header=BB662_15 Depth=1
	s_or_b64 exec, exec, s[4:5]
	v_lshrrev_b32_e32 v30, 16, v28
	v_cmp_ne_u16_sdwa s[6:7], v30, v29 src0_sel:BYTE_0 src1_sel:DWORD
	s_and_saveexec_b64 s[4:5], s[6:7]
	s_cbranch_execz .LBB662_81
; %bb.76:                               ;   in Loop: Header=BB662_15 Depth=1
	v_cmp_ne_u16_sdwa s[10:11], v30, s13 src0_sel:BYTE_0 src1_sel:DWORD
	v_bfrev_b32_e32 v34, 1
	s_and_saveexec_b64 s[6:7], s[10:11]
	s_cbranch_execz .LBB662_80
; %bb.77:                               ;   in Loop: Header=BB662_15 Depth=1
	v_bfe_u32 v23, v28, 16, 7
	v_cmp_ne_u32_e32 vcc, s14, v23
	v_mov_b32_e32 v34, 0x7f800001
	s_and_saveexec_b64 s[10:11], vcc
	s_cbranch_execz .LBB662_79
; %bb.78:                               ;   in Loop: Header=BB662_15 Depth=1
	v_and_b32_e32 v34, 7, v30
	v_ffbh_u32_e32 v36, v34
	v_min_u32_e32 v40, 32, v36
	v_subrev_u32_e32 v36, 28, v40
	v_lshlrev_b64 v[36:37], v36, v[30:31]
	v_lshrrev_b32_e32 v38, 3, v23
	v_sub_u32_e32 v37, 29, v40
	v_and_b32_e32 v36, 7, v36
	v_cmp_gt_u32_e32 vcc, 8, v23
	v_cndmask_b32_e32 v23, v38, v37, vcc
	v_cndmask_b32_e32 v34, v34, v36, vcc
	v_lshlrev_b32_e32 v30, 24, v30
	v_lshlrev_b32_e32 v34, 20, v34
	v_and_b32_e32 v30, 0x80000000, v30
	v_lshl_add_u32 v23, v23, 23, v33
	v_or3_b32 v34, v30, v23, v34
.LBB662_79:                             ;   in Loop: Header=BB662_15 Depth=1
	s_or_b64 exec, exec, s[10:11]
.LBB662_80:                             ;   in Loop: Header=BB662_15 Depth=1
	s_or_b64 exec, exec, s[6:7]
.LBB662_81:                             ;   in Loop: Header=BB662_15 Depth=1
	s_or_b64 exec, exec, s[4:5]
	v_cmp_lt_u32_e32 vcc, s15, v28
	v_mov_b32_e32 v36, 0
	v_mov_b32_e32 v37, 0
	s_and_saveexec_b64 s[4:5], vcc
	s_cbranch_execz .LBB662_87
; %bb.82:                               ;   in Loop: Header=BB662_15 Depth=1
	v_lshrrev_b32_e32 v30, 24, v28
	v_cmp_ne_u32_e32 vcc, s13, v30
	v_bfrev_b32_e32 v37, 1
	s_and_saveexec_b64 s[6:7], vcc
	s_cbranch_execz .LBB662_86
; %bb.83:                               ;   in Loop: Header=BB662_15 Depth=1
	v_bfe_u32 v23, v28, 24, 7
	v_cmp_ne_u32_e32 vcc, s14, v23
	v_mov_b32_e32 v37, 0x7f800001
	s_and_saveexec_b64 s[10:11], vcc
	s_cbranch_execz .LBB662_85
; %bb.84:                               ;   in Loop: Header=BB662_15 Depth=1
	v_and_b32_e32 v28, 7, v30
	v_ffbh_u32_e32 v38, v28
	v_min_u32_e32 v38, 32, v38
	v_subrev_u32_e32 v40, 28, v38
	v_lshlrev_b64 v[42:43], v40, v[30:31]
	v_lshrrev_b32_e32 v37, 3, v23
	v_sub_u32_e32 v38, 29, v38
	v_and_b32_e32 v40, 7, v42
	v_cmp_gt_u32_e32 vcc, 8, v23
	v_cndmask_b32_e32 v23, v37, v38, vcc
	v_cndmask_b32_e32 v28, v28, v40, vcc
	v_lshlrev_b32_e32 v30, 24, v30
	v_lshlrev_b32_e32 v28, 20, v28
	v_and_b32_e32 v30, 0x80000000, v30
	v_lshl_add_u32 v23, v23, 23, v33
	v_or3_b32 v37, v30, v23, v28
.LBB662_85:                             ;   in Loop: Header=BB662_15 Depth=1
	s_or_b64 exec, exec, s[10:11]
.LBB662_86:                             ;   in Loop: Header=BB662_15 Depth=1
	s_or_b64 exec, exec, s[6:7]
.LBB662_87:                             ;   in Loop: Header=BB662_15 Depth=1
	s_or_b64 exec, exec, s[4:5]
	s_waitcnt vmcnt(0)
	v_cmp_ne_u16_sdwa s[6:7], v26, v29 src0_sel:BYTE_0 src1_sel:DWORD
	s_and_saveexec_b64 s[4:5], s[6:7]
	s_cbranch_execz .LBB662_93
; %bb.88:                               ;   in Loop: Header=BB662_15 Depth=1
	v_cmp_ne_u16_sdwa s[10:11], v26, s13 src0_sel:BYTE_0 src1_sel:DWORD
	v_bfrev_b32_e32 v36, 1
	s_and_saveexec_b64 s[6:7], s[10:11]
	s_cbranch_execz .LBB662_92
; %bb.89:                               ;   in Loop: Header=BB662_15 Depth=1
	v_and_b32_e32 v23, 0x7f, v26
	v_cmp_ne_u32_e32 vcc, s14, v23
	v_mov_b32_e32 v36, 0x7f800001
	s_and_saveexec_b64 s[10:11], vcc
	s_cbranch_execz .LBB662_91
; %bb.90:                               ;   in Loop: Header=BB662_15 Depth=1
	v_and_b32_e32 v28, 7, v26
	v_ffbh_u32_e32 v36, v28
	v_min_u32_e32 v36, 32, v36
	v_subrev_u32_e32 v38, 28, v36
	v_lshlrev_b64 v[42:43], v38, v[26:27]
	v_lshrrev_b32_e32 v30, 3, v23
	v_sub_u32_e32 v36, 29, v36
	v_and_b32_e32 v38, 7, v42
	v_cmp_gt_u32_e32 vcc, 8, v23
	v_cndmask_b32_e32 v23, v30, v36, vcc
	v_cndmask_b32_e32 v28, v28, v38, vcc
	v_lshlrev_b32_e32 v30, 24, v26
	v_lshlrev_b32_e32 v28, 20, v28
	v_and_b32_e32 v30, 0x80000000, v30
	v_lshl_add_u32 v23, v23, 23, v33
	v_or3_b32 v36, v30, v23, v28
.LBB662_91:                             ;   in Loop: Header=BB662_15 Depth=1
	s_or_b64 exec, exec, s[10:11]
.LBB662_92:                             ;   in Loop: Header=BB662_15 Depth=1
	s_or_b64 exec, exec, s[6:7]
.LBB662_93:                             ;   in Loop: Header=BB662_15 Depth=1
	s_or_b64 exec, exec, s[4:5]
	v_lshrrev_b16_e32 v28, 8, v26
	v_cmp_ne_u16_e32 vcc, 0, v28
	v_mov_b32_e32 v38, 0
	v_mov_b32_e32 v40, 0
	s_and_saveexec_b64 s[4:5], vcc
	s_cbranch_execz .LBB662_99
; %bb.94:                               ;   in Loop: Header=BB662_15 Depth=1
	v_cmp_ne_u16_e32 vcc, s13, v28
	v_bfrev_b32_e32 v40, 1
	s_and_saveexec_b64 s[6:7], vcc
	s_cbranch_execz .LBB662_98
; %bb.95:                               ;   in Loop: Header=BB662_15 Depth=1
	v_and_b32_e32 v23, 0x7f, v28
	v_cmp_ne_u32_e32 vcc, s14, v23
	v_mov_b32_e32 v40, 0x7f800001
	s_and_saveexec_b64 s[10:11], vcc
	s_cbranch_execz .LBB662_97
; %bb.96:                               ;   in Loop: Header=BB662_15 Depth=1
	v_and_b32_e32 v30, 7, v28
	v_ffbh_u32_e32 v42, v30
	v_min_u32_e32 v44, 32, v42
	v_subrev_u32_e32 v42, 28, v44
	v_lshlrev_b64 v[42:43], v42, v[28:29]
	v_lshrrev_b32_e32 v40, 3, v23
	v_sub_u32_e32 v28, 29, v44
	v_and_b32_e32 v42, 7, v42
	v_cmp_gt_u32_e32 vcc, 8, v23
	v_cndmask_b32_e32 v23, v40, v28, vcc
	v_cndmask_b32_e32 v28, v30, v42, vcc
	v_lshlrev_b32_e32 v30, 16, v26
	v_lshlrev_b32_e32 v28, 20, v28
	v_and_b32_e32 v30, 0x80000000, v30
	v_lshl_add_u32 v23, v23, 23, v33
	v_or3_b32 v40, v30, v23, v28
.LBB662_97:                             ;   in Loop: Header=BB662_15 Depth=1
	s_or_b64 exec, exec, s[10:11]
.LBB662_98:                             ;   in Loop: Header=BB662_15 Depth=1
	s_or_b64 exec, exec, s[6:7]
.LBB662_99:                             ;   in Loop: Header=BB662_15 Depth=1
	s_or_b64 exec, exec, s[4:5]
	v_lshrrev_b32_e32 v28, 16, v26
	v_cmp_ne_u16_sdwa s[6:7], v28, v29 src0_sel:BYTE_0 src1_sel:DWORD
	s_and_saveexec_b64 s[4:5], s[6:7]
	s_cbranch_execz .LBB662_105
; %bb.100:                              ;   in Loop: Header=BB662_15 Depth=1
	v_cmp_ne_u16_sdwa s[10:11], v28, s13 src0_sel:BYTE_0 src1_sel:DWORD
	v_bfrev_b32_e32 v38, 1
	s_and_saveexec_b64 s[6:7], s[10:11]
	s_cbranch_execz .LBB662_104
; %bb.101:                              ;   in Loop: Header=BB662_15 Depth=1
	v_bfe_u32 v23, v26, 16, 7
	v_cmp_ne_u32_e32 vcc, s14, v23
	v_mov_b32_e32 v38, 0x7f800001
	s_and_saveexec_b64 s[10:11], vcc
	s_cbranch_execz .LBB662_103
; %bb.102:                              ;   in Loop: Header=BB662_15 Depth=1
	v_and_b32_e32 v30, 7, v28
	v_ffbh_u32_e32 v42, v30
	v_min_u32_e32 v44, 32, v42
	v_subrev_u32_e32 v42, 28, v44
	v_lshlrev_b64 v[42:43], v42, v[28:29]
	v_lshrrev_b32_e32 v38, 3, v23
	v_sub_u32_e32 v43, 29, v44
	v_and_b32_e32 v42, 7, v42
	v_cmp_gt_u32_e32 vcc, 8, v23
	v_cndmask_b32_e32 v23, v38, v43, vcc
	v_cndmask_b32_e32 v30, v30, v42, vcc
	v_lshlrev_b32_e32 v28, 24, v28
	v_lshlrev_b32_e32 v30, 20, v30
	v_and_b32_e32 v28, 0x80000000, v28
	v_lshl_add_u32 v23, v23, 23, v33
	v_or3_b32 v38, v28, v23, v30
.LBB662_103:                            ;   in Loop: Header=BB662_15 Depth=1
	s_or_b64 exec, exec, s[10:11]
.LBB662_104:                            ;   in Loop: Header=BB662_15 Depth=1
	s_or_b64 exec, exec, s[6:7]
.LBB662_105:                            ;   in Loop: Header=BB662_15 Depth=1
	s_or_b64 exec, exec, s[4:5]
	v_cmp_lt_u32_e32 vcc, s15, v26
	v_mov_b32_e32 v23, 0
	v_mov_b32_e32 v42, 0
	s_and_saveexec_b64 s[4:5], vcc
	s_cbranch_execz .LBB662_111
; %bb.106:                              ;   in Loop: Header=BB662_15 Depth=1
	v_lshrrev_b32_e32 v28, 24, v26
	v_cmp_ne_u32_e32 vcc, s13, v28
	v_bfrev_b32_e32 v42, 1
	s_and_saveexec_b64 s[6:7], vcc
	s_cbranch_execz .LBB662_110
; %bb.107:                              ;   in Loop: Header=BB662_15 Depth=1
	v_bfe_u32 v26, v26, 24, 7
	v_cmp_ne_u32_e32 vcc, s14, v26
	v_mov_b32_e32 v42, 0x7f800001
	s_and_saveexec_b64 s[10:11], vcc
	s_cbranch_execz .LBB662_109
; %bb.108:                              ;   in Loop: Header=BB662_15 Depth=1
	v_and_b32_e32 v30, 7, v28
	v_ffbh_u32_e32 v42, v30
	v_min_u32_e32 v45, 32, v42
	v_subrev_u32_e32 v42, 28, v45
	v_lshlrev_b64 v[42:43], v42, v[28:29]
	v_lshrrev_b32_e32 v44, 3, v26
	v_sub_u32_e32 v43, 29, v45
	v_and_b32_e32 v42, 7, v42
	v_cmp_gt_u32_e32 vcc, 8, v26
	v_cndmask_b32_e32 v26, v44, v43, vcc
	v_cndmask_b32_e32 v30, v30, v42, vcc
	v_lshlrev_b32_e32 v28, 24, v28
	v_lshlrev_b32_e32 v30, 20, v30
	v_and_b32_e32 v28, 0x80000000, v28
	v_lshl_add_u32 v26, v26, 23, v33
	v_or3_b32 v42, v28, v26, v30
.LBB662_109:                            ;   in Loop: Header=BB662_15 Depth=1
	s_or_b64 exec, exec, s[10:11]
.LBB662_110:                            ;   in Loop: Header=BB662_15 Depth=1
	s_or_b64 exec, exec, s[6:7]
.LBB662_111:                            ;   in Loop: Header=BB662_15 Depth=1
	s_or_b64 exec, exec, s[4:5]
	v_cvt_pkrtz_f16_f32 v44, v32, v35
	buffer_load_dword v32, v27, s[0:3], 0 offen offset:16
	buffer_load_dword v30, v27, s[0:3], 0 offen offset:20
	;; [unrolled: 1-line block ×4, first 2 shown]
	v_cvt_pkrtz_f16_f32 v45, v34, v37
	v_cvt_pkrtz_f16_f32 v34, v36, v40
	;; [unrolled: 1-line block ×3, first 2 shown]
	v_mfma_f32_16x16x16f16 v[18:21], v[44:45], v[6:7], v[18:21]
	s_waitcnt vmcnt(3)
	v_cmp_ne_u16_sdwa s[6:7], v32, v29 src0_sel:BYTE_0 src1_sel:DWORD
	v_mfma_f32_16x16x16f16 v[18:21], v[34:35], v[8:9], v[18:21]
	s_and_saveexec_b64 s[4:5], s[6:7]
	s_cbranch_execz .LBB662_117
; %bb.112:                              ;   in Loop: Header=BB662_15 Depth=1
	v_cmp_ne_u16_sdwa s[10:11], v32, s13 src0_sel:BYTE_0 src1_sel:DWORD
	v_bfrev_b32_e32 v23, 1
	s_and_saveexec_b64 s[6:7], s[10:11]
	s_cbranch_execz .LBB662_116
; %bb.113:                              ;   in Loop: Header=BB662_15 Depth=1
	v_and_b32_e32 v34, 0x7f, v32
	v_cmp_ne_u32_e32 vcc, s14, v34
	v_mov_b32_e32 v23, 0x7f800001
	s_and_saveexec_b64 s[10:11], vcc
	s_cbranch_execz .LBB662_115
; %bb.114:                              ;   in Loop: Header=BB662_15 Depth=1
	v_and_b32_e32 v23, 7, v32
	v_ffbh_u32_e32 v36, v23
	v_min_u32_e32 v38, 32, v36
	v_subrev_u32_e32 v36, 28, v38
	v_lshlrev_b64 v[36:37], v36, v[32:33]
	v_lshrrev_b32_e32 v35, 3, v34
	v_sub_u32_e32 v37, 29, v38
	v_and_b32_e32 v36, 7, v36
	v_cmp_gt_u32_e32 vcc, 8, v34
	v_cndmask_b32_e32 v34, v35, v37, vcc
	v_cndmask_b32_e32 v23, v23, v36, vcc
	v_lshlrev_b32_e32 v35, 24, v32
	v_lshlrev_b32_e32 v23, 20, v23
	v_and_b32_e32 v35, 0x80000000, v35
	v_lshl_add_u32 v34, v34, 23, v33
	v_or3_b32 v23, v35, v34, v23
.LBB662_115:                            ;   in Loop: Header=BB662_15 Depth=1
	s_or_b64 exec, exec, s[10:11]
.LBB662_116:                            ;   in Loop: Header=BB662_15 Depth=1
	s_or_b64 exec, exec, s[6:7]
.LBB662_117:                            ;   in Loop: Header=BB662_15 Depth=1
	s_or_b64 exec, exec, s[4:5]
	v_lshrrev_b16_e32 v34, 8, v32
	v_cmp_ne_u16_e32 vcc, 0, v34
	v_mov_b32_e32 v35, 0
	v_mov_b32_e32 v36, 0
	s_and_saveexec_b64 s[4:5], vcc
	s_cbranch_execz .LBB662_123
; %bb.118:                              ;   in Loop: Header=BB662_15 Depth=1
	v_cmp_ne_u16_e32 vcc, s13, v34
	v_bfrev_b32_e32 v36, 1
	s_and_saveexec_b64 s[6:7], vcc
	s_cbranch_execz .LBB662_122
; %bb.119:                              ;   in Loop: Header=BB662_15 Depth=1
	v_and_b32_e32 v37, 0x7f, v34
	v_cmp_ne_u32_e32 vcc, s14, v37
	v_mov_b32_e32 v36, 0x7f800001
	s_and_saveexec_b64 s[10:11], vcc
	s_cbranch_execz .LBB662_121
; %bb.120:                              ;   in Loop: Header=BB662_15 Depth=1
	v_and_b32_e32 v36, 7, v34
	v_ffbh_u32_e32 v40, v36
	v_min_u32_e32 v40, 32, v40
	v_subrev_u32_e32 v42, 28, v40
	v_lshlrev_b64 v[42:43], v42, v[34:35]
	v_lshrrev_b32_e32 v38, 3, v37
	v_sub_u32_e32 v34, 29, v40
	v_and_b32_e32 v40, 7, v42
	v_cmp_gt_u32_e32 vcc, 8, v37
	v_cndmask_b32_e32 v34, v38, v34, vcc
	v_cndmask_b32_e32 v36, v36, v40, vcc
	v_lshlrev_b32_e32 v37, 16, v32
	v_lshlrev_b32_e32 v36, 20, v36
	v_and_b32_e32 v37, 0x80000000, v37
	v_lshl_add_u32 v34, v34, 23, v33
	v_or3_b32 v36, v37, v34, v36
.LBB662_121:                            ;   in Loop: Header=BB662_15 Depth=1
	s_or_b64 exec, exec, s[10:11]
.LBB662_122:                            ;   in Loop: Header=BB662_15 Depth=1
	s_or_b64 exec, exec, s[6:7]
.LBB662_123:                            ;   in Loop: Header=BB662_15 Depth=1
	s_or_b64 exec, exec, s[4:5]
	v_lshrrev_b32_e32 v34, 16, v32
	v_cmp_ne_u16_sdwa s[6:7], v34, v29 src0_sel:BYTE_0 src1_sel:DWORD
	s_and_saveexec_b64 s[4:5], s[6:7]
	s_cbranch_execz .LBB662_129
; %bb.124:                              ;   in Loop: Header=BB662_15 Depth=1
	v_cmp_ne_u16_sdwa s[10:11], v34, s13 src0_sel:BYTE_0 src1_sel:DWORD
	v_bfrev_b32_e32 v35, 1
	s_and_saveexec_b64 s[6:7], s[10:11]
	s_cbranch_execz .LBB662_128
; %bb.125:                              ;   in Loop: Header=BB662_15 Depth=1
	v_bfe_u32 v37, v32, 16, 7
	v_cmp_ne_u32_e32 vcc, s14, v37
	v_mov_b32_e32 v35, 0x7f800001
	s_and_saveexec_b64 s[10:11], vcc
	s_cbranch_execz .LBB662_127
; %bb.126:                              ;   in Loop: Header=BB662_15 Depth=1
	v_and_b32_e32 v35, 7, v34
	v_ffbh_u32_e32 v40, v35
	v_min_u32_e32 v40, 32, v40
	v_subrev_u32_e32 v42, 28, v40
	v_lshlrev_b64 v[42:43], v42, v[34:35]
	v_lshrrev_b32_e32 v38, 3, v37
	v_sub_u32_e32 v40, 29, v40
	v_and_b32_e32 v42, 7, v42
	v_cmp_gt_u32_e32 vcc, 8, v37
	v_cndmask_b32_e32 v37, v38, v40, vcc
	v_cndmask_b32_e32 v35, v35, v42, vcc
	v_lshlrev_b32_e32 v34, 24, v34
	v_lshlrev_b32_e32 v35, 20, v35
	v_and_b32_e32 v34, 0x80000000, v34
	v_lshl_add_u32 v37, v37, 23, v33
	v_or3_b32 v35, v34, v37, v35
.LBB662_127:                            ;   in Loop: Header=BB662_15 Depth=1
	s_or_b64 exec, exec, s[10:11]
.LBB662_128:                            ;   in Loop: Header=BB662_15 Depth=1
	s_or_b64 exec, exec, s[6:7]
.LBB662_129:                            ;   in Loop: Header=BB662_15 Depth=1
	s_or_b64 exec, exec, s[4:5]
	v_cmp_lt_u32_e32 vcc, s15, v32
	v_mov_b32_e32 v37, 0
	v_mov_b32_e32 v38, 0
	s_and_saveexec_b64 s[4:5], vcc
	s_cbranch_execz .LBB662_135
; %bb.130:                              ;   in Loop: Header=BB662_15 Depth=1
	v_lshrrev_b32_e32 v34, 24, v32
	v_cmp_ne_u32_e32 vcc, s13, v34
	v_bfrev_b32_e32 v38, 1
	s_and_saveexec_b64 s[6:7], vcc
	s_cbranch_execz .LBB662_134
; %bb.131:                              ;   in Loop: Header=BB662_15 Depth=1
	v_bfe_u32 v32, v32, 24, 7
	v_cmp_ne_u32_e32 vcc, s14, v32
	v_mov_b32_e32 v38, 0x7f800001
	s_and_saveexec_b64 s[10:11], vcc
	s_cbranch_execz .LBB662_133
; %bb.132:                              ;   in Loop: Header=BB662_15 Depth=1
	v_and_b32_e32 v38, 7, v34
	v_ffbh_u32_e32 v42, v38
	v_min_u32_e32 v44, 32, v42
	v_subrev_u32_e32 v42, 28, v44
	v_lshlrev_b64 v[42:43], v42, v[34:35]
	v_lshrrev_b32_e32 v40, 3, v32
	v_sub_u32_e32 v43, 29, v44
	v_and_b32_e32 v42, 7, v42
	v_cmp_gt_u32_e32 vcc, 8, v32
	v_cndmask_b32_e32 v32, v40, v43, vcc
	v_cndmask_b32_e32 v38, v38, v42, vcc
	v_lshlrev_b32_e32 v34, 24, v34
	v_lshlrev_b32_e32 v38, 20, v38
	v_and_b32_e32 v34, 0x80000000, v34
	v_lshl_add_u32 v32, v32, 23, v33
	v_or3_b32 v38, v34, v32, v38
.LBB662_133:                            ;   in Loop: Header=BB662_15 Depth=1
	s_or_b64 exec, exec, s[10:11]
.LBB662_134:                            ;   in Loop: Header=BB662_15 Depth=1
	s_or_b64 exec, exec, s[6:7]
.LBB662_135:                            ;   in Loop: Header=BB662_15 Depth=1
	s_or_b64 exec, exec, s[4:5]
	s_waitcnt vmcnt(2)
	v_cmp_ne_u16_sdwa s[6:7], v30, v29 src0_sel:BYTE_0 src1_sel:DWORD
	s_and_saveexec_b64 s[4:5], s[6:7]
	s_cbranch_execz .LBB662_141
; %bb.136:                              ;   in Loop: Header=BB662_15 Depth=1
	v_cmp_ne_u16_sdwa s[10:11], v30, s13 src0_sel:BYTE_0 src1_sel:DWORD
	v_bfrev_b32_e32 v37, 1
	s_and_saveexec_b64 s[6:7], s[10:11]
	s_cbranch_execz .LBB662_140
; %bb.137:                              ;   in Loop: Header=BB662_15 Depth=1
	v_and_b32_e32 v32, 0x7f, v30
	v_cmp_ne_u32_e32 vcc, s14, v32
	v_mov_b32_e32 v37, 0x7f800001
	s_and_saveexec_b64 s[10:11], vcc
	s_cbranch_execz .LBB662_139
; %bb.138:                              ;   in Loop: Header=BB662_15 Depth=1
	v_and_b32_e32 v34, 7, v30
	v_ffbh_u32_e32 v40, v34
	v_min_u32_e32 v40, 32, v40
	v_subrev_u32_e32 v42, 28, v40
	v_lshlrev_b64 v[42:43], v42, v[30:31]
	v_lshrrev_b32_e32 v37, 3, v32
	v_sub_u32_e32 v40, 29, v40
	v_and_b32_e32 v42, 7, v42
	v_cmp_gt_u32_e32 vcc, 8, v32
	v_cndmask_b32_e32 v32, v37, v40, vcc
	v_cndmask_b32_e32 v34, v34, v42, vcc
	v_lshlrev_b32_e32 v37, 24, v30
	v_lshlrev_b32_e32 v34, 20, v34
	v_and_b32_e32 v37, 0x80000000, v37
	v_lshl_add_u32 v32, v32, 23, v33
	v_or3_b32 v37, v37, v32, v34
.LBB662_139:                            ;   in Loop: Header=BB662_15 Depth=1
	s_or_b64 exec, exec, s[10:11]
.LBB662_140:                            ;   in Loop: Header=BB662_15 Depth=1
	s_or_b64 exec, exec, s[6:7]
.LBB662_141:                            ;   in Loop: Header=BB662_15 Depth=1
	s_or_b64 exec, exec, s[4:5]
	v_lshrrev_b16_e32 v32, 8, v30
	v_cmp_ne_u16_e32 vcc, 0, v32
	v_mov_b32_e32 v40, 0
	v_mov_b32_e32 v42, 0
	s_and_saveexec_b64 s[4:5], vcc
	s_cbranch_execz .LBB662_147
; %bb.142:                              ;   in Loop: Header=BB662_15 Depth=1
	v_cmp_ne_u16_e32 vcc, s13, v32
	v_bfrev_b32_e32 v42, 1
	s_and_saveexec_b64 s[6:7], vcc
	s_cbranch_execz .LBB662_146
; %bb.143:                              ;   in Loop: Header=BB662_15 Depth=1
	v_and_b32_e32 v34, 0x7f, v32
	v_cmp_ne_u32_e32 vcc, s14, v34
	v_mov_b32_e32 v42, 0x7f800001
	s_and_saveexec_b64 s[10:11], vcc
	s_cbranch_execz .LBB662_145
; %bb.144:                              ;   in Loop: Header=BB662_15 Depth=1
	v_and_b32_e32 v44, 7, v32
	v_ffbh_u32_e32 v42, v44
	v_min_u32_e32 v46, 32, v42
	v_subrev_u32_e32 v42, 28, v46
	v_lshlrev_b64 v[42:43], v42, v[32:33]
	v_lshrrev_b32_e32 v45, 3, v34
	v_sub_u32_e32 v32, 29, v46
	v_and_b32_e32 v42, 7, v42
	v_cmp_gt_u32_e32 vcc, 8, v34
	v_cndmask_b32_e32 v32, v45, v32, vcc
	v_cndmask_b32_e32 v34, v44, v42, vcc
	v_lshlrev_b32_e32 v42, 16, v30
	v_lshlrev_b32_e32 v34, 20, v34
	v_and_b32_e32 v42, 0x80000000, v42
	v_lshl_add_u32 v32, v32, 23, v33
	v_or3_b32 v42, v42, v32, v34
.LBB662_145:                            ;   in Loop: Header=BB662_15 Depth=1
	s_or_b64 exec, exec, s[10:11]
.LBB662_146:                            ;   in Loop: Header=BB662_15 Depth=1
	s_or_b64 exec, exec, s[6:7]
.LBB662_147:                            ;   in Loop: Header=BB662_15 Depth=1
	s_or_b64 exec, exec, s[4:5]
	v_lshrrev_b32_e32 v32, 16, v30
	v_cmp_ne_u16_sdwa s[6:7], v32, v29 src0_sel:BYTE_0 src1_sel:DWORD
	s_and_saveexec_b64 s[4:5], s[6:7]
	s_cbranch_execz .LBB662_153
; %bb.148:                              ;   in Loop: Header=BB662_15 Depth=1
	v_cmp_ne_u16_sdwa s[10:11], v32, s13 src0_sel:BYTE_0 src1_sel:DWORD
	v_bfrev_b32_e32 v40, 1
	s_and_saveexec_b64 s[6:7], s[10:11]
	s_cbranch_execz .LBB662_152
; %bb.149:                              ;   in Loop: Header=BB662_15 Depth=1
	v_bfe_u32 v34, v30, 16, 7
	v_cmp_ne_u32_e32 vcc, s14, v34
	v_mov_b32_e32 v40, 0x7f800001
	s_and_saveexec_b64 s[10:11], vcc
	s_cbranch_execz .LBB662_151
; %bb.150:                              ;   in Loop: Header=BB662_15 Depth=1
	v_and_b32_e32 v40, 7, v32
	v_ffbh_u32_e32 v44, v40
	v_min_u32_e32 v46, 32, v44
	v_subrev_u32_e32 v44, 28, v46
	v_lshlrev_b64 v[44:45], v44, v[32:33]
	v_lshrrev_b32_e32 v43, 3, v34
	v_sub_u32_e32 v45, 29, v46
	v_and_b32_e32 v44, 7, v44
	v_cmp_gt_u32_e32 vcc, 8, v34
	v_cndmask_b32_e32 v34, v43, v45, vcc
	v_cndmask_b32_e32 v40, v40, v44, vcc
	v_lshlrev_b32_e32 v32, 24, v32
	v_lshlrev_b32_e32 v40, 20, v40
	v_and_b32_e32 v32, 0x80000000, v32
	v_lshl_add_u32 v34, v34, 23, v33
	v_or3_b32 v40, v32, v34, v40
.LBB662_151:                            ;   in Loop: Header=BB662_15 Depth=1
	s_or_b64 exec, exec, s[10:11]
.LBB662_152:                            ;   in Loop: Header=BB662_15 Depth=1
	s_or_b64 exec, exec, s[6:7]
.LBB662_153:                            ;   in Loop: Header=BB662_15 Depth=1
	s_or_b64 exec, exec, s[4:5]
	v_cmp_lt_u32_e32 vcc, s15, v30
	v_mov_b32_e32 v34, 0
	v_mov_b32_e32 v43, 0
	s_and_saveexec_b64 s[4:5], vcc
	s_cbranch_execz .LBB662_159
; %bb.154:                              ;   in Loop: Header=BB662_15 Depth=1
	v_lshrrev_b32_e32 v32, 24, v30
	v_cmp_ne_u32_e32 vcc, s13, v32
	v_bfrev_b32_e32 v43, 1
	s_and_saveexec_b64 s[6:7], vcc
	s_cbranch_execz .LBB662_158
; %bb.155:                              ;   in Loop: Header=BB662_15 Depth=1
	v_bfe_u32 v30, v30, 24, 7
	v_cmp_ne_u32_e32 vcc, s14, v30
	v_mov_b32_e32 v43, 0x7f800001
	s_and_saveexec_b64 s[10:11], vcc
	s_cbranch_execz .LBB662_157
; %bb.156:                              ;   in Loop: Header=BB662_15 Depth=1
	v_and_b32_e32 v43, 7, v32
	v_ffbh_u32_e32 v44, v43
	v_min_u32_e32 v47, 32, v44
	v_subrev_u32_e32 v44, 28, v47
	v_lshlrev_b64 v[44:45], v44, v[32:33]
	v_lshrrev_b32_e32 v46, 3, v30
	v_sub_u32_e32 v45, 29, v47
	v_and_b32_e32 v44, 7, v44
	v_cmp_gt_u32_e32 vcc, 8, v30
	v_cndmask_b32_e32 v30, v46, v45, vcc
	v_cndmask_b32_e32 v43, v43, v44, vcc
	v_lshlrev_b32_e32 v32, 24, v32
	v_lshlrev_b32_e32 v43, 20, v43
	v_and_b32_e32 v32, 0x80000000, v32
	v_lshl_add_u32 v30, v30, 23, v33
	v_or3_b32 v43, v32, v30, v43
.LBB662_157:                            ;   in Loop: Header=BB662_15 Depth=1
	s_or_b64 exec, exec, s[10:11]
.LBB662_158:                            ;   in Loop: Header=BB662_15 Depth=1
	s_or_b64 exec, exec, s[6:7]
.LBB662_159:                            ;   in Loop: Header=BB662_15 Depth=1
	s_or_b64 exec, exec, s[4:5]
	v_cvt_pkrtz_f16_f32 v44, v23, v36
	v_cvt_pkrtz_f16_f32 v45, v35, v38
	;; [unrolled: 1-line block ×4, first 2 shown]
	s_waitcnt vmcnt(1)
	v_cmp_ne_u16_sdwa s[6:7], v28, v29 src0_sel:BYTE_0 src1_sel:DWORD
	v_mfma_f32_16x16x16f16 v[18:21], v[44:45], v[10:11], v[18:21]
	v_mfma_f32_16x16x16f16 v[18:21], v[36:37], v[12:13], v[18:21]
	s_and_saveexec_b64 s[4:5], s[6:7]
	s_cbranch_execz .LBB662_165
; %bb.160:                              ;   in Loop: Header=BB662_15 Depth=1
	v_cmp_ne_u16_sdwa s[10:11], v28, s13 src0_sel:BYTE_0 src1_sel:DWORD
	v_bfrev_b32_e32 v34, 1
	s_and_saveexec_b64 s[6:7], s[10:11]
	s_cbranch_execz .LBB662_164
; %bb.161:                              ;   in Loop: Header=BB662_15 Depth=1
	v_and_b32_e32 v23, 0x7f, v28
	v_cmp_ne_u32_e32 vcc, s14, v23
	v_mov_b32_e32 v34, 0x7f800001
	s_and_saveexec_b64 s[10:11], vcc
	s_cbranch_execz .LBB662_163
; %bb.162:                              ;   in Loop: Header=BB662_15 Depth=1
	v_and_b32_e32 v30, 7, v28
	v_ffbh_u32_e32 v34, v30
	v_min_u32_e32 v36, 32, v34
	v_subrev_u32_e32 v34, 28, v36
	v_lshlrev_b64 v[34:35], v34, v[28:29]
	v_lshrrev_b32_e32 v32, 3, v23
	v_sub_u32_e32 v35, 29, v36
	v_and_b32_e32 v34, 7, v34
	v_cmp_gt_u32_e32 vcc, 8, v23
	v_cndmask_b32_e32 v23, v32, v35, vcc
	v_cndmask_b32_e32 v30, v30, v34, vcc
	v_lshlrev_b32_e32 v32, 24, v28
	v_lshlrev_b32_e32 v30, 20, v30
	v_and_b32_e32 v32, 0x80000000, v32
	v_lshl_add_u32 v23, v23, 23, v33
	v_or3_b32 v34, v32, v23, v30
.LBB662_163:                            ;   in Loop: Header=BB662_15 Depth=1
	s_or_b64 exec, exec, s[10:11]
.LBB662_164:                            ;   in Loop: Header=BB662_15 Depth=1
	s_or_b64 exec, exec, s[6:7]
.LBB662_165:                            ;   in Loop: Header=BB662_15 Depth=1
	s_or_b64 exec, exec, s[4:5]
	v_lshrrev_b16_e32 v30, 8, v28
	v_cmp_ne_u16_e32 vcc, 0, v30
	v_mov_b32_e32 v23, 0
	v_mov_b32_e32 v32, 0
	s_and_saveexec_b64 s[4:5], vcc
	s_cbranch_execz .LBB662_171
; %bb.166:                              ;   in Loop: Header=BB662_15 Depth=1
	v_cmp_ne_u16_e32 vcc, s13, v30
	v_bfrev_b32_e32 v32, 1
	s_and_saveexec_b64 s[6:7], vcc
	s_cbranch_execz .LBB662_170
; %bb.167:                              ;   in Loop: Header=BB662_15 Depth=1
	v_and_b32_e32 v35, 0x7f, v30
	v_cmp_ne_u32_e32 vcc, s14, v35
	v_mov_b32_e32 v32, 0x7f800001
	s_and_saveexec_b64 s[10:11], vcc
	s_cbranch_execz .LBB662_169
; %bb.168:                              ;   in Loop: Header=BB662_15 Depth=1
	v_and_b32_e32 v32, 7, v30
	v_ffbh_u32_e32 v36, v32
	v_min_u32_e32 v40, 32, v36
	v_subrev_u32_e32 v36, 28, v40
	v_lshlrev_b64 v[36:37], v36, v[30:31]
	v_lshrrev_b32_e32 v38, 3, v35
	v_sub_u32_e32 v30, 29, v40
	v_and_b32_e32 v36, 7, v36
	v_cmp_gt_u32_e32 vcc, 8, v35
	v_cndmask_b32_e32 v30, v38, v30, vcc
	v_cndmask_b32_e32 v32, v32, v36, vcc
	v_lshlrev_b32_e32 v35, 16, v28
	v_lshlrev_b32_e32 v32, 20, v32
	v_and_b32_e32 v35, 0x80000000, v35
	v_lshl_add_u32 v30, v30, 23, v33
	v_or3_b32 v32, v35, v30, v32
.LBB662_169:                            ;   in Loop: Header=BB662_15 Depth=1
	s_or_b64 exec, exec, s[10:11]
.LBB662_170:                            ;   in Loop: Header=BB662_15 Depth=1
	s_or_b64 exec, exec, s[6:7]
.LBB662_171:                            ;   in Loop: Header=BB662_15 Depth=1
	s_or_b64 exec, exec, s[4:5]
	v_lshrrev_b32_e32 v30, 16, v28
	v_cmp_ne_u16_sdwa s[6:7], v30, v29 src0_sel:BYTE_0 src1_sel:DWORD
	s_and_saveexec_b64 s[4:5], s[6:7]
	s_cbranch_execz .LBB662_177
; %bb.172:                              ;   in Loop: Header=BB662_15 Depth=1
	v_cmp_ne_u16_sdwa s[10:11], v30, s13 src0_sel:BYTE_0 src1_sel:DWORD
	v_bfrev_b32_e32 v23, 1
	s_and_saveexec_b64 s[6:7], s[10:11]
	s_cbranch_execz .LBB662_176
; %bb.173:                              ;   in Loop: Header=BB662_15 Depth=1
	v_bfe_u32 v35, v28, 16, 7
	v_cmp_ne_u32_e32 vcc, s14, v35
	v_mov_b32_e32 v23, 0x7f800001
	s_and_saveexec_b64 s[10:11], vcc
	s_cbranch_execz .LBB662_175
; %bb.174:                              ;   in Loop: Header=BB662_15 Depth=1
	v_and_b32_e32 v23, 7, v30
	v_ffbh_u32_e32 v36, v23
	v_min_u32_e32 v40, 32, v36
	v_subrev_u32_e32 v36, 28, v40
	v_lshlrev_b64 v[36:37], v36, v[30:31]
	v_lshrrev_b32_e32 v38, 3, v35
	v_sub_u32_e32 v37, 29, v40
	v_and_b32_e32 v36, 7, v36
	v_cmp_gt_u32_e32 vcc, 8, v35
	v_cndmask_b32_e32 v35, v38, v37, vcc
	v_cndmask_b32_e32 v23, v23, v36, vcc
	v_lshlrev_b32_e32 v30, 24, v30
	v_lshlrev_b32_e32 v23, 20, v23
	v_and_b32_e32 v30, 0x80000000, v30
	v_lshl_add_u32 v35, v35, 23, v33
	v_or3_b32 v23, v30, v35, v23
.LBB662_175:                            ;   in Loop: Header=BB662_15 Depth=1
	s_or_b64 exec, exec, s[10:11]
.LBB662_176:                            ;   in Loop: Header=BB662_15 Depth=1
	s_or_b64 exec, exec, s[6:7]
.LBB662_177:                            ;   in Loop: Header=BB662_15 Depth=1
	s_or_b64 exec, exec, s[4:5]
	v_cmp_lt_u32_e32 vcc, s15, v28
	v_mov_b32_e32 v35, 0
	v_mov_b32_e32 v36, 0
	s_and_saveexec_b64 s[4:5], vcc
	s_cbranch_execz .LBB662_183
; %bb.178:                              ;   in Loop: Header=BB662_15 Depth=1
	v_lshrrev_b32_e32 v30, 24, v28
	v_cmp_ne_u32_e32 vcc, s13, v30
	v_bfrev_b32_e32 v36, 1
	s_and_saveexec_b64 s[6:7], vcc
	s_cbranch_execz .LBB662_182
; %bb.179:                              ;   in Loop: Header=BB662_15 Depth=1
	v_bfe_u32 v28, v28, 24, 7
	v_cmp_ne_u32_e32 vcc, s14, v28
	v_mov_b32_e32 v36, 0x7f800001
	s_and_saveexec_b64 s[10:11], vcc
	s_cbranch_execz .LBB662_181
; %bb.180:                              ;   in Loop: Header=BB662_15 Depth=1
	v_and_b32_e32 v38, 7, v30
	v_ffbh_u32_e32 v36, v38
	v_min_u32_e32 v42, 32, v36
	v_subrev_u32_e32 v36, 28, v42
	v_lshlrev_b64 v[36:37], v36, v[30:31]
	v_lshrrev_b32_e32 v40, 3, v28
	v_sub_u32_e32 v37, 29, v42
	v_and_b32_e32 v36, 7, v36
	v_cmp_gt_u32_e32 vcc, 8, v28
	v_cndmask_b32_e32 v28, v40, v37, vcc
	v_cndmask_b32_e32 v36, v38, v36, vcc
	v_lshlrev_b32_e32 v30, 24, v30
	v_lshlrev_b32_e32 v36, 20, v36
	v_and_b32_e32 v30, 0x80000000, v30
	v_lshl_add_u32 v28, v28, 23, v33
	v_or3_b32 v36, v30, v28, v36
.LBB662_181:                            ;   in Loop: Header=BB662_15 Depth=1
	s_or_b64 exec, exec, s[10:11]
.LBB662_182:                            ;   in Loop: Header=BB662_15 Depth=1
	s_or_b64 exec, exec, s[6:7]
.LBB662_183:                            ;   in Loop: Header=BB662_15 Depth=1
	s_or_b64 exec, exec, s[4:5]
	s_waitcnt vmcnt(0)
	v_cmp_ne_u16_sdwa s[6:7], v26, v29 src0_sel:BYTE_0 src1_sel:DWORD
	s_and_saveexec_b64 s[4:5], s[6:7]
	s_cbranch_execz .LBB662_189
; %bb.184:                              ;   in Loop: Header=BB662_15 Depth=1
	v_cmp_ne_u16_sdwa s[10:11], v26, s13 src0_sel:BYTE_0 src1_sel:DWORD
	v_bfrev_b32_e32 v35, 1
	s_and_saveexec_b64 s[6:7], s[10:11]
	s_cbranch_execz .LBB662_188
; %bb.185:                              ;   in Loop: Header=BB662_15 Depth=1
	v_and_b32_e32 v28, 0x7f, v26
	v_cmp_ne_u32_e32 vcc, s14, v28
	v_mov_b32_e32 v35, 0x7f800001
	s_and_saveexec_b64 s[10:11], vcc
	s_cbranch_execz .LBB662_187
; %bb.186:                              ;   in Loop: Header=BB662_15 Depth=1
	v_and_b32_e32 v30, 7, v26
	v_ffbh_u32_e32 v37, v30
	v_min_u32_e32 v37, 32, v37
	v_subrev_u32_e32 v38, 28, v37
	v_lshlrev_b64 v[42:43], v38, v[26:27]
	v_lshrrev_b32_e32 v35, 3, v28
	v_sub_u32_e32 v37, 29, v37
	v_and_b32_e32 v38, 7, v42
	v_cmp_gt_u32_e32 vcc, 8, v28
	v_cndmask_b32_e32 v28, v35, v37, vcc
	v_cndmask_b32_e32 v30, v30, v38, vcc
	v_lshlrev_b32_e32 v35, 24, v26
	v_lshlrev_b32_e32 v30, 20, v30
	v_and_b32_e32 v35, 0x80000000, v35
	v_lshl_add_u32 v28, v28, 23, v33
	v_or3_b32 v35, v35, v28, v30
.LBB662_187:                            ;   in Loop: Header=BB662_15 Depth=1
	s_or_b64 exec, exec, s[10:11]
.LBB662_188:                            ;   in Loop: Header=BB662_15 Depth=1
	s_or_b64 exec, exec, s[6:7]
.LBB662_189:                            ;   in Loop: Header=BB662_15 Depth=1
	s_or_b64 exec, exec, s[4:5]
	v_lshrrev_b16_e32 v28, 8, v26
	v_cmp_ne_u16_e32 vcc, 0, v28
	v_mov_b32_e32 v30, 0
	v_mov_b32_e32 v37, 0
	s_and_saveexec_b64 s[4:5], vcc
	s_cbranch_execz .LBB662_195
; %bb.190:                              ;   in Loop: Header=BB662_15 Depth=1
	v_cmp_ne_u16_e32 vcc, s13, v28
	v_bfrev_b32_e32 v37, 1
	s_and_saveexec_b64 s[6:7], vcc
	s_cbranch_execz .LBB662_194
; %bb.191:                              ;   in Loop: Header=BB662_15 Depth=1
	v_and_b32_e32 v38, 0x7f, v28
	v_cmp_ne_u32_e32 vcc, s14, v38
	v_mov_b32_e32 v37, 0x7f800001
	s_and_saveexec_b64 s[10:11], vcc
	s_cbranch_execz .LBB662_193
; %bb.192:                              ;   in Loop: Header=BB662_15 Depth=1
	v_and_b32_e32 v37, 7, v28
	v_ffbh_u32_e32 v42, v37
	v_min_u32_e32 v44, 32, v42
	v_subrev_u32_e32 v42, 28, v44
	v_lshlrev_b64 v[42:43], v42, v[28:29]
	v_lshrrev_b32_e32 v40, 3, v38
	v_sub_u32_e32 v28, 29, v44
	v_and_b32_e32 v42, 7, v42
	v_cmp_gt_u32_e32 vcc, 8, v38
	v_cndmask_b32_e32 v28, v40, v28, vcc
	v_cndmask_b32_e32 v37, v37, v42, vcc
	v_lshlrev_b32_e32 v38, 16, v26
	v_lshlrev_b32_e32 v37, 20, v37
	v_and_b32_e32 v38, 0x80000000, v38
	v_lshl_add_u32 v28, v28, 23, v33
	v_or3_b32 v37, v38, v28, v37
.LBB662_193:                            ;   in Loop: Header=BB662_15 Depth=1
	s_or_b64 exec, exec, s[10:11]
.LBB662_194:                            ;   in Loop: Header=BB662_15 Depth=1
	s_or_b64 exec, exec, s[6:7]
.LBB662_195:                            ;   in Loop: Header=BB662_15 Depth=1
	s_or_b64 exec, exec, s[4:5]
	v_lshrrev_b32_e32 v28, 16, v26
	v_cmp_ne_u16_sdwa s[6:7], v28, v29 src0_sel:BYTE_0 src1_sel:DWORD
	s_and_saveexec_b64 s[4:5], s[6:7]
	s_cbranch_execz .LBB662_201
; %bb.196:                              ;   in Loop: Header=BB662_15 Depth=1
	v_cmp_ne_u16_sdwa s[10:11], v28, s13 src0_sel:BYTE_0 src1_sel:DWORD
	v_bfrev_b32_e32 v30, 1
	s_and_saveexec_b64 s[6:7], s[10:11]
	s_cbranch_execz .LBB662_200
; %bb.197:                              ;   in Loop: Header=BB662_15 Depth=1
	v_bfe_u32 v38, v26, 16, 7
	v_cmp_ne_u32_e32 vcc, s14, v38
	v_mov_b32_e32 v30, 0x7f800001
	s_and_saveexec_b64 s[10:11], vcc
	s_cbranch_execz .LBB662_199
; %bb.198:                              ;   in Loop: Header=BB662_15 Depth=1
	v_and_b32_e32 v30, 7, v28
	v_ffbh_u32_e32 v42, v30
	v_min_u32_e32 v44, 32, v42
	v_subrev_u32_e32 v42, 28, v44
	v_lshlrev_b64 v[42:43], v42, v[28:29]
	v_lshrrev_b32_e32 v40, 3, v38
	v_sub_u32_e32 v43, 29, v44
	v_and_b32_e32 v42, 7, v42
	v_cmp_gt_u32_e32 vcc, 8, v38
	v_cndmask_b32_e32 v38, v40, v43, vcc
	v_cndmask_b32_e32 v30, v30, v42, vcc
	v_lshlrev_b32_e32 v28, 24, v28
	v_lshlrev_b32_e32 v30, 20, v30
	v_and_b32_e32 v28, 0x80000000, v28
	v_lshl_add_u32 v38, v38, 23, v33
	v_or3_b32 v30, v28, v38, v30
.LBB662_199:                            ;   in Loop: Header=BB662_15 Depth=1
	s_or_b64 exec, exec, s[10:11]
.LBB662_200:                            ;   in Loop: Header=BB662_15 Depth=1
	s_or_b64 exec, exec, s[6:7]
.LBB662_201:                            ;   in Loop: Header=BB662_15 Depth=1
	s_or_b64 exec, exec, s[4:5]
	v_cmp_lt_u32_e32 vcc, s15, v26
	v_mov_b32_e32 v38, 0
	s_and_saveexec_b64 s[4:5], vcc
	s_cbranch_execz .LBB662_14
; %bb.202:                              ;   in Loop: Header=BB662_15 Depth=1
	v_lshrrev_b32_e32 v28, 24, v26
	v_cmp_ne_u32_e32 vcc, s13, v28
	v_bfrev_b32_e32 v38, 1
	s_and_saveexec_b64 s[6:7], vcc
	s_cbranch_execz .LBB662_13
; %bb.203:                              ;   in Loop: Header=BB662_15 Depth=1
	v_bfe_u32 v26, v26, 24, 7
	v_cmp_ne_u32_e32 vcc, s14, v26
	v_mov_b32_e32 v38, 0x7f800001
	s_and_saveexec_b64 s[10:11], vcc
	s_cbranch_execz .LBB662_12
; %bb.204:                              ;   in Loop: Header=BB662_15 Depth=1
	v_and_b32_e32 v38, 7, v28
	v_ffbh_u32_e32 v42, v38
	v_min_u32_e32 v44, 32, v42
	v_subrev_u32_e32 v42, 28, v44
	v_lshlrev_b64 v[42:43], v42, v[28:29]
	v_lshrrev_b32_e32 v40, 3, v26
	v_sub_u32_e32 v43, 29, v44
	v_and_b32_e32 v42, 7, v42
	v_cmp_gt_u32_e32 vcc, 8, v26
	v_cndmask_b32_e32 v26, v40, v43, vcc
	v_cndmask_b32_e32 v38, v38, v42, vcc
	v_lshlrev_b32_e32 v28, 24, v28
	v_lshlrev_b32_e32 v38, 20, v38
	v_and_b32_e32 v28, 0x80000000, v28
	v_lshl_add_u32 v26, v26, 23, v33
	v_or3_b32 v38, v28, v26, v38
	s_branch .LBB662_12
.LBB662_205:
	buffer_load_dword v13, off, s[0:3], 0 offset:256
	buffer_load_dword v14, off, s[0:3], 0 offset:260
	;; [unrolled: 1-line block ×16, first 2 shown]
	v_and_b32_e32 v12, 0xc0, v0
	v_add_u32_e32 v12, s20, v12
	v_lshl_or_b32 v12, v1, 2, v12
	v_or_b32_e32 v23, 1, v12
	v_mov_b32_e32 v19, 0xff7fffff
	v_or_b32_e32 v24, 2, v12
	v_or_b32_e32 v25, 3, v12
	v_cmp_gt_i32_e64 s[26:27], s33, v12
	v_cmp_gt_i32_e64 s[28:29], s33, v23
	s_mov_b32 s52, 0xff7fffff
	v_or_b32_e32 v26, 16, v12
	v_or_b32_e32 v27, 17, v12
	;; [unrolled: 1-line block ×12, first 2 shown]
	v_cmp_gt_i32_e64 s[30:31], s33, v24
	v_cmp_gt_i32_e64 s[34:35], s33, v25
	v_mbcnt_lo_u32_b32 v20, -1, 0
	v_cmp_gt_i32_e64 s[36:37], s33, v26
	v_cmp_gt_i32_e64 s[38:39], s33, v27
	v_mbcnt_hi_u32_b32 v20, -1, v20
	v_cmp_gt_i32_e64 s[20:21], s33, v28
	v_cmp_gt_i32_e64 s[22:23], s33, v29
	v_and_b32_e32 v21, 64, v20
	v_cmp_gt_i32_e64 s[16:17], s33, v30
	v_cmp_gt_i32_e64 s[18:19], s33, v31
	v_xor_b32_e32 v22, 32, v20
	v_add_u32_e32 v21, 64, v21
	v_cmp_gt_i32_e64 s[12:13], s33, v32
	v_cmp_gt_i32_e64 s[14:15], s33, v33
	v_cmp_lt_i32_e32 vcc, v22, v21
	v_cmp_gt_i32_e64 s[6:7], s33, v34
	v_cmp_gt_i32_e64 s[10:11], s33, v35
	v_cndmask_b32_e32 v22, v20, v22, vcc
	v_cmp_gt_i32_e32 vcc, s33, v36
	v_cmp_gt_i32_e64 s[4:5], s33, v37
	v_lshlrev_b32_e32 v22, 2, v22
	s_waitcnt vmcnt(15)
	v_cndmask_b32_e64 v12, v19, v13, s[26:27]
	s_waitcnt vmcnt(14)
	v_cndmask_b32_e64 v23, v19, v14, s[28:29]
	;; [unrolled: 2-line block ×4, first 2 shown]
	v_max3_f32 v12, v12, s52, v23
	s_waitcnt vmcnt(11)
	v_cndmask_b32_e64 v26, v19, v17, s[36:37]
	s_waitcnt vmcnt(10)
	v_cndmask_b32_e64 v27, v19, v18, s[38:39]
	v_max3_f32 v12, v12, v24, v25
	s_waitcnt vmcnt(9)
	v_cndmask_b32_e64 v28, v19, v11, s[20:21]
	s_waitcnt vmcnt(8)
	v_cndmask_b32_e64 v29, v19, v10, s[22:23]
	;; [unrolled: 5-line block ×5, first 2 shown]
	v_max3_f32 v12, v12, v32, v33
	s_waitcnt vmcnt(1)
	v_cndmask_b32_e32 v36, v19, v3, vcc
	s_waitcnt vmcnt(0)
	v_cndmask_b32_e64 v19, v19, v2, s[4:5]
	v_max3_f32 v12, v12, v34, v35
	v_max3_f32 v12, v12, v36, v19
	ds_bpermute_b32 v19, v22, v12
	v_xor_b32_e32 v23, 16, v20
	v_cmp_lt_i32_e64 s[40:41], v23, v21
	v_cndmask_b32_e64 v20, v20, v23, s[40:41]
	v_lshlrev_b32_e32 v20, 2, v20
	s_waitcnt lgkmcnt(0)
	v_max_f32_e32 v19, v19, v19
	v_max_f32_e32 v12, v12, v19
	ds_bpermute_b32 v19, v20, v12
	s_waitcnt lgkmcnt(0)
	v_max_f32_e32 v19, v19, v19
	v_max_f32_e32 v12, v12, v19
	v_sub_f32_e32 v13, v13, v12
	v_sub_f32_e32 v14, v14, v12
	;; [unrolled: 1-line block ×3, first 2 shown]
	v_mul_f32_e32 v13, 0x3fb8aa3b, v13
	v_mul_f32_e32 v14, 0x3fb8aa3b, v14
	;; [unrolled: 1-line block ×3, first 2 shown]
	v_exp_f32_e32 v13, v13
	v_exp_f32_e32 v14, v14
	;; [unrolled: 1-line block ×3, first 2 shown]
	v_sub_f32_e32 v16, v16, v12
	v_cndmask_b32_e64 v13, 0, v13, s[26:27]
	v_mul_f32_e32 v16, 0x3fb8aa3b, v16
	v_cndmask_b32_e64 v14, 0, v14, s[28:29]
	v_cndmask_b32_e64 v15, 0, v15, s[30:31]
	v_add_f32_e32 v19, 0, v13
	buffer_store_dword v13, off, s[0:3], 0 offset:256
	buffer_store_dword v14, off, s[0:3], 0 offset:260
	;; [unrolled: 1-line block ×3, first 2 shown]
	v_sub_f32_e32 v13, v17, v12
	v_exp_f32_e32 v16, v16
	v_add_f32_e32 v19, v19, v14
	v_mul_f32_e32 v13, 0x3fb8aa3b, v13
	v_sub_f32_e32 v14, v18, v12
	v_exp_f32_e32 v13, v13
	v_mul_f32_e32 v14, 0x3fb8aa3b, v14
	v_sub_f32_e32 v11, v11, v12
	v_exp_f32_e32 v14, v14
	;; [unrolled: 3-line block ×3, first 2 shown]
	v_mul_f32_e32 v10, 0x3fb8aa3b, v10
	v_sub_f32_e32 v9, v9, v12
	v_cndmask_b32_e64 v16, 0, v16, s[34:35]
	v_add_f32_e32 v19, v19, v15
	v_exp_f32_e32 v10, v10
	v_mul_f32_e32 v9, 0x3fb8aa3b, v9
	v_sub_f32_e32 v8, v8, v12
	v_add_f32_e32 v19, v19, v16
	v_cndmask_b32_e64 v13, 0, v13, s[36:37]
	v_exp_f32_e32 v9, v9
	v_mul_f32_e32 v8, 0x3fb8aa3b, v8
	v_sub_f32_e32 v7, v7, v12
	v_add_f32_e32 v15, v19, v13
	v_cndmask_b32_e64 v14, 0, v14, s[38:39]
	;; [unrolled: 5-line block ×5, first 2 shown]
	v_exp_f32_e32 v5, v5
	v_mul_f32_e32 v4, 0x3fb8aa3b, v4
	v_sub_f32_e32 v3, v3, v12
	buffer_store_dword v16, off, s[0:3], 0 offset:268
	buffer_store_dword v13, off, s[0:3], 0 offset:272
	;; [unrolled: 1-line block ×5, first 2 shown]
	v_add_f32_e32 v10, v15, v9
	v_cndmask_b32_e64 v8, 0, v8, s[18:19]
	v_exp_f32_e32 v4, v4
	v_mul_f32_e32 v3, 0x3fb8aa3b, v3
	v_sub_f32_e32 v2, v2, v12
	v_add_f32_e32 v10, v10, v8
	v_cndmask_b32_e64 v7, 0, v7, s[12:13]
	v_exp_f32_e32 v3, v3
	v_mul_f32_e32 v2, 0x3fb8aa3b, v2
	v_add_f32_e32 v10, v10, v7
	v_cndmask_b32_e64 v6, 0, v6, s[14:15]
	v_exp_f32_e32 v2, v2
	v_add_f32_e32 v10, v10, v6
	v_cndmask_b32_e64 v5, 0, v5, s[6:7]
	buffer_store_dword v9, off, s[0:3], 0 offset:288
	buffer_store_dword v8, off, s[0:3], 0 offset:292
	;; [unrolled: 1-line block ×4, first 2 shown]
	v_add_f32_e32 v6, v10, v5
	v_cndmask_b32_e64 v4, 0, v4, s[10:11]
	v_add_f32_e32 v6, v6, v4
	v_cndmask_b32_e32 v3, 0, v3, vcc
	v_add_f32_e32 v6, v6, v3
	v_cndmask_b32_e64 v2, 0, v2, s[4:5]
	v_add_f32_e32 v6, v6, v2
	ds_bpermute_b32 v7, v22, v6
	buffer_store_dword v5, off, s[0:3], 0 offset:304
	buffer_store_dword v4, off, s[0:3], 0 offset:308
	;; [unrolled: 1-line block ×4, first 2 shown]
	v_cmp_gt_u32_e64 s[4:5], 16, v64
	s_waitcnt lgkmcnt(0)
	s_barrier
	v_add_f32_e32 v2, v6, v7
	ds_bpermute_b32 v3, v20, v2
	s_waitcnt lgkmcnt(0)
	s_and_saveexec_b64 s[6:7], s[4:5]
	s_cbranch_execz .LBB662_207
; %bb.206:
	v_add_f32_e32 v2, v2, v3
	v_lshlrev_b32_e32 v3, 2, v63
	ds_write2st64_b32 v3, v12, v2 offset1:1
.LBB662_207:
	s_or_b64 exec, exec, s[6:7]
	v_lshlrev_b32_e32 v2, 2, v55
	s_waitcnt lgkmcnt(0)
	s_barrier
	ds_read2_b32 v[12:13], v2 offset1:16
	ds_read2_b32 v[14:15], v2 offset0:32 offset1:48
	ds_read2_b32 v[6:7], v2 offset0:64 offset1:80
	;; [unrolled: 1-line block ×3, first 2 shown]
	s_waitcnt lgkmcnt(0)
	s_barrier
	buffer_load_dword v20, off, s[0:3], 0 offset:256
	buffer_load_dword v21, off, s[0:3], 0 offset:260
	;; [unrolled: 1-line block ×16, first 2 shown]
	v_lshlrev_b32_e32 v19, 3, v1
	v_lshlrev_b32_e32 v18, 5, v55
	;; [unrolled: 1-line block ×3, first 2 shown]
	v_or3_b32 v43, v28, v18, v19
	v_max3_f32 v19, v12, s52, v13
	v_max3_f32 v19, v19, v14, v15
	v_sub_f32_e32 v12, v12, v19
	v_sub_f32_e32 v13, v13, v19
	v_mul_f32_e32 v12, 0x3fb8aa3b, v12
	v_sub_f32_e32 v14, v14, v19
	v_mul_f32_e32 v13, 0x3fb8aa3b, v13
	v_exp_f32_e32 v12, v12
	v_sub_f32_e32 v15, v15, v19
	v_mul_f32_e32 v14, 0x3fb8aa3b, v14
	v_exp_f32_e32 v13, v13
	v_mul_f32_e32 v15, 0x3fb8aa3b, v15
	v_exp_f32_e32 v14, v14
	v_exp_f32_e32 v15, v15
	v_fma_f32 v6, v12, v6, 0
	v_fmac_f32_e32 v6, v13, v7
	v_fmac_f32_e32 v6, v14, v10
	;; [unrolled: 1-line block ×3, first 2 shown]
	v_cmp_eq_u32_e32 vcc, 1, v62
	v_add_f32_e32 v10, 0x358637bd, v6
	v_cndmask_b32_e32 v12, v12, v13, vcc
	v_cmp_eq_u32_e32 vcc, 2, v62
	v_div_scale_f32 v11, s[6:7], v10, v10, 1.0
	v_cndmask_b32_e32 v7, v12, v14, vcc
	v_rcp_f32_e32 v12, v11
	v_cmp_eq_u32_e32 vcc, 3, v62
	v_cndmask_b32_e32 v7, v7, v15, vcc
	v_div_scale_f32 v13, vcc, 1.0, v10, 1.0
	v_fma_f32 v14, -v11, v12, 1.0
	v_fmac_f32_e32 v12, v14, v12
	v_mul_f32_e32 v14, v13, v12
	v_fma_f32 v15, -v11, v14, v13
	v_fmac_f32_e32 v14, v15, v12
	v_fma_f32 v11, -v11, v14, v13
	v_div_fmas_f32 v11, v11, v12, v14
	v_div_fixup_f32 v10, v11, v10, 1.0
	v_mul_f32_e32 v10, v7, v10
	s_mul_i32 s20, s51, 9
	v_cmp_gt_u32_e32 vcc, 9, v0
	s_waitcnt vmcnt(14)
	v_pk_mul_f32 v[14:15], v[10:11], v[20:21] op_sel_hi:[0,1]
	v_cvt_f16_f32_e32 v7, v14
	s_waitcnt vmcnt(12)
	v_pk_mul_f32 v[12:13], v[10:11], v[22:23] op_sel_hi:[0,1]
	buffer_store_dword v14, off, s[0:3], 0 offset:256
	buffer_store_dword v15, off, s[0:3], 0 offset:260
	;; [unrolled: 1-line block ×3, first 2 shown]
	s_waitcnt vmcnt(13)
	v_pk_mul_f32 v[20:21], v[10:11], v[24:25] op_sel_hi:[0,1]
	v_cvt_f16_f32_e32 v14, v12
	s_waitcnt vmcnt(11)
	v_pk_mul_f32 v[22:23], v[10:11], v[26:27] op_sel_hi:[0,1]
	v_cvt_f16_f32_e32 v11, v15
	v_cvt_f16_f32_e32 v15, v13
	buffer_store_dword v13, off, s[0:3], 0 offset:268
	buffer_store_dword v22, off, s[0:3], 0 offset:272
	;; [unrolled: 1-line block ×3, first 2 shown]
	v_pack_b32_f16 v12, v7, v11
	v_cvt_f16_f32_e32 v11, v23
	v_pack_b32_f16 v13, v14, v15
	v_cvt_f16_f32_e32 v7, v22
	v_cvt_f16_f32_e32 v15, v20
	;; [unrolled: 1-line block ×3, first 2 shown]
	s_waitcnt vmcnt(12)
	v_pk_mul_f32 v[4:5], v[10:11], v[4:5] op_sel_hi:[0,1]
	v_pack_b32_f16 v14, v7, v11
	s_waitcnt vmcnt(10)
	v_pk_mul_f32 v[2:3], v[10:11], v[2:3] op_sel_hi:[0,1]
	v_pack_b32_f16 v15, v15, v22
	v_cvt_f16_f32_e32 v11, v5
	buffer_store_dword v20, off, s[0:3], 0 offset:280
	buffer_store_dword v21, off, s[0:3], 0 offset:284
	ds_write2st64_b64 v43, v[12:13], v[14:15] offset1:1
	buffer_store_dword v2, off, s[0:3], 0 offset:288
	buffer_store_dword v3, off, s[0:3], 0 offset:292
	v_cvt_f16_f32_e32 v2, v2
	v_cvt_f16_f32_e32 v3, v3
	;; [unrolled: 1-line block ×3, first 2 shown]
	buffer_store_dword v4, off, s[0:3], 0 offset:296
	buffer_store_dword v5, off, s[0:3], 0 offset:300
	s_waitcnt vmcnt(12)
	v_pk_mul_f32 v[4:5], v[10:11], v[16:17] op_sel_hi:[0,1]
	v_pk_mul_f32 v[8:9], v[10:11], v[8:9] op_sel_hi:[0,1]
	v_pack_b32_f16 v2, v2, v3
	v_pack_b32_f16 v3, v7, v11
	buffer_store_dword v8, off, s[0:3], 0 offset:304
	buffer_store_dword v9, off, s[0:3], 0 offset:308
	v_cvt_f16_f32_e32 v7, v8
	v_cvt_f16_f32_e32 v8, v9
	;; [unrolled: 1-line block ×4, first 2 shown]
	buffer_store_dword v4, off, s[0:3], 0 offset:312
	buffer_store_dword v5, off, s[0:3], 0 offset:316
	v_pack_b32_f16 v4, v7, v8
	v_pack_b32_f16 v5, v9, v10
	ds_write2st64_b64 v43, v[2:3], v[4:5] offset0:2 offset1:3
	s_and_saveexec_b64 s[6:7], vcc
	s_cbranch_execz .LBB662_209
; %bb.208:
	v_add_co_u32_e32 v4, vcc, s25, v55
	v_addc_co_u32_e64 v5, s[10:11], 0, 0, vcc
	v_mov_b32_e32 v2, s20
	v_mov_b32_e32 v3, 0
	v_mad_u64_u32 v[4:5], s[10:11], s8, v2, v[4:5]
	v_mov_b32_e32 v2, s24
	s_mul_i32 s9, s9, s20
	v_mad_u64_u32 v[2:3], s[10:11], v4, s50, v[2:3]
	v_add_u32_e32 v5, s9, v5
	v_mov_b32_e32 v4, v3
	v_mad_u64_u32 v[4:5], s[10:11], v5, s50, v[4:5]
	v_mov_b32_e32 v3, v4
	v_lshlrev_b64 v[2:3], 2, v[2:3]
	v_mov_b32_e32 v5, s47
	v_add_co_u32_e32 v4, vcc, s46, v2
	v_addc_co_u32_e32 v5, vcc, v5, v3, vcc
	global_store_dword v[4:5], v19, off
	v_mov_b32_e32 v4, s45
	v_add_co_u32_e32 v2, vcc, s44, v2
	v_addc_co_u32_e32 v3, vcc, v4, v3, vcc
	global_store_dword v[2:3], v6, off
.LBB662_209:
	s_or_b64 exec, exec, s[6:7]
	v_lshl_or_b32 v30, v1, 9, v18
	s_waitcnt lgkmcnt(0)
	s_barrier
	s_load_dword s6, s[42:43], 0x0
	ds_read_b128 v[2:5], v30
	ds_read_b128 v[6:9], v30 offset:16
	ds_read_b128 v[10:13], v30 offset:2048
	;; [unrolled: 1-line block ×7, first 2 shown]
	v_mov_b32_e32 v35, 0x80
	v_mov_b32_e32 v45, 0x140
	s_mov_b64 s[12:13], -1
	s_waitcnt lgkmcnt(0)
	s_mov_b32 s7, s6
	s_mov_b32 s10, s6
	;; [unrolled: 1-line block ×3, first 2 shown]
	s_movk_i32 s9, 0x80
	s_movk_i32 s21, 0x7f
	s_mov_b32 s22, 0xffffff
	v_mov_b32_e32 v47, 0
	v_bfrev_b32_e32 v48, 60
	s_branch .LBB662_213
.LBB662_210:                            ;   in Loop: Header=BB662_213 Depth=1
	s_or_b64 exec, exec, s[18:19]
.LBB662_211:                            ;   in Loop: Header=BB662_213 Depth=1
	s_or_b64 exec, exec, s[16:17]
.LBB662_212:                            ;   in Loop: Header=BB662_213 Depth=1
	s_or_b64 exec, exec, s[14:15]
	v_cvt_pkrtz_f16_f32 v40, v41, v46
	v_cvt_pkrtz_f16_f32 v41, v44, v50
	s_xor_b64 s[14:15], s[12:13], -1
	s_mov_b64 s[12:13], 0
	v_mov_b32_e32 v61, v58
	v_mfma_f32_16x16x16f16 v[62:65], v[40:41], v[30:31], v[34:37]
	v_mov_b32_e32 v60, v59
	s_and_b64 vcc, exec, s[14:15]
	s_nop 4
	v_cvt_pkrtz_f16_f32 v36, v49, v51
	v_cvt_pkrtz_f16_f32 v37, v42, v52
	v_mov_b32_e32 v35, v57
	s_nop 0
	v_mfma_f32_16x16x16f16 v[50:53], v[36:37], v[32:33], v[62:65]
	s_nop 7
	s_nop 2
	v_pk_mul_f32 v[40:41], v[50:51], s[6:7]
	v_pk_mul_f32 v[36:37], v[52:53], s[10:11]
	v_cvt_f16_f32_e32 v34, v40
	v_cvt_f16_f32_e32 v38, v41
	;; [unrolled: 1-line block ×4, first 2 shown]
	v_mov_b32_e32 v41, v39
	v_pack_b32_f16 v34, v34, v38
	v_pack_b32_f16 v36, v36, v37
	buffer_store_dword v34, v45, s[0:3], 0 offen
	buffer_store_dword v36, v45, s[0:3], 0 offen offset:4
	v_mov_b32_e32 v45, 0x148
	s_cbranch_vccnz .LBB662_595
.LBB662_213:                            ; =>This Inner Loop Header: Depth=1
	buffer_load_dword v36, v35, s[0:3], 0 offen
	buffer_load_dword v34, v35, s[0:3], 0 offen offset:4
	buffer_load_dword v40, v35, s[0:3], 0 offen offset:8
	;; [unrolled: 1-line block ×3, first 2 shown]
	v_mov_b32_e32 v35, 0
	s_waitcnt vmcnt(3)
	v_cmp_ne_u16_sdwa s[16:17], v36, v47 src0_sel:BYTE_0 src1_sel:DWORD
	s_and_saveexec_b64 s[14:15], s[16:17]
	s_cbranch_execz .LBB662_219
; %bb.214:                              ;   in Loop: Header=BB662_213 Depth=1
	v_cmp_ne_u16_sdwa s[18:19], v36, s9 src0_sel:BYTE_0 src1_sel:DWORD
	v_bfrev_b32_e32 v35, 1
	s_and_saveexec_b64 s[16:17], s[18:19]
	s_cbranch_execz .LBB662_218
; %bb.215:                              ;   in Loop: Header=BB662_213 Depth=1
	v_and_b32_e32 v37, 0x7f, v36
	v_cmp_ne_u32_e32 vcc, s21, v37
	v_mov_b32_e32 v35, 0x7f800001
	s_and_saveexec_b64 s[18:19], vcc
	s_cbranch_execz .LBB662_217
; %bb.216:                              ;   in Loop: Header=BB662_213 Depth=1
	v_and_b32_e32 v35, 7, v36
	v_ffbh_u32_e32 v44, v35
	v_min_u32_e32 v44, 32, v44
	v_subrev_u32_e32 v46, 28, v44
	v_lshlrev_b64 v[50:51], v46, v[36:37]
	v_lshrrev_b32_e32 v42, 3, v37
	v_sub_u32_e32 v44, 29, v44
	v_and_b32_e32 v46, 7, v50
	v_cmp_gt_u32_e32 vcc, 8, v37
	v_cndmask_b32_e32 v37, v42, v44, vcc
	v_cndmask_b32_e32 v35, v35, v46, vcc
	v_lshlrev_b32_e32 v42, 24, v36
	v_lshlrev_b32_e32 v35, 20, v35
	v_and_b32_e32 v42, 0x80000000, v42
	v_lshl_add_u32 v37, v37, 23, v48
	v_or3_b32 v35, v42, v37, v35
.LBB662_217:                            ;   in Loop: Header=BB662_213 Depth=1
	s_or_b64 exec, exec, s[18:19]
.LBB662_218:                            ;   in Loop: Header=BB662_213 Depth=1
	s_or_b64 exec, exec, s[16:17]
.LBB662_219:                            ;   in Loop: Header=BB662_213 Depth=1
	s_or_b64 exec, exec, s[14:15]
	v_lshrrev_b16_e32 v42, 8, v36
	v_cmp_ne_u16_e32 vcc, 0, v42
	v_mov_b32_e32 v37, 0
	s_and_saveexec_b64 s[14:15], vcc
	s_cbranch_execz .LBB662_225
; %bb.220:                              ;   in Loop: Header=BB662_213 Depth=1
	v_cmp_ne_u16_e32 vcc, s9, v42
	v_bfrev_b32_e32 v37, 1
	s_and_saveexec_b64 s[16:17], vcc
	s_cbranch_execz .LBB662_224
; %bb.221:                              ;   in Loop: Header=BB662_213 Depth=1
	v_and_b32_e32 v44, 0x7f, v42
	v_cmp_ne_u32_e32 vcc, s21, v44
	v_mov_b32_e32 v37, 0x7f800001
	s_and_saveexec_b64 s[18:19], vcc
	s_cbranch_execz .LBB662_223
; %bb.222:                              ;   in Loop: Header=BB662_213 Depth=1
	v_and_b32_e32 v37, 7, v42
	v_ffbh_u32_e32 v49, v37
	v_min_u32_e32 v49, 32, v49
	v_subrev_u32_e32 v50, 28, v49
	v_lshlrev_b64 v[50:51], v50, v[42:43]
	v_lshrrev_b32_e32 v46, 3, v44
	v_sub_u32_e32 v42, 29, v49
	v_and_b32_e32 v49, 7, v50
	v_cmp_gt_u32_e32 vcc, 8, v44
	v_cndmask_b32_e32 v42, v46, v42, vcc
	v_cndmask_b32_e32 v37, v37, v49, vcc
	v_lshlrev_b32_e32 v44, 16, v36
	v_lshlrev_b32_e32 v37, 20, v37
	v_and_b32_e32 v44, 0x80000000, v44
	v_lshl_add_u32 v42, v42, 23, v48
	v_or3_b32 v37, v44, v42, v37
.LBB662_223:                            ;   in Loop: Header=BB662_213 Depth=1
	s_or_b64 exec, exec, s[18:19]
.LBB662_224:                            ;   in Loop: Header=BB662_213 Depth=1
	s_or_b64 exec, exec, s[16:17]
.LBB662_225:                            ;   in Loop: Header=BB662_213 Depth=1
	s_or_b64 exec, exec, s[14:15]
	v_lshrrev_b32_e32 v42, 16, v36
	v_cmp_ne_u16_sdwa s[16:17], v42, v47 src0_sel:BYTE_0 src1_sel:DWORD
	v_mov_b32_e32 v46, 0
	v_mov_b32_e32 v44, 0
	s_and_saveexec_b64 s[14:15], s[16:17]
	s_cbranch_execz .LBB662_231
; %bb.226:                              ;   in Loop: Header=BB662_213 Depth=1
	v_cmp_ne_u16_sdwa s[18:19], v42, s9 src0_sel:BYTE_0 src1_sel:DWORD
	v_bfrev_b32_e32 v44, 1
	s_and_saveexec_b64 s[16:17], s[18:19]
	s_cbranch_execz .LBB662_230
; %bb.227:                              ;   in Loop: Header=BB662_213 Depth=1
	v_bfe_u32 v49, v36, 16, 7
	v_cmp_ne_u32_e32 vcc, s21, v49
	v_mov_b32_e32 v44, 0x7f800001
	s_and_saveexec_b64 s[18:19], vcc
	s_cbranch_execz .LBB662_229
; %bb.228:                              ;   in Loop: Header=BB662_213 Depth=1
	v_and_b32_e32 v44, 7, v42
	v_ffbh_u32_e32 v50, v44
	v_min_u32_e32 v53, 32, v50
	v_subrev_u32_e32 v50, 28, v53
	v_lshlrev_b64 v[50:51], v50, v[42:43]
	v_lshrrev_b32_e32 v52, 3, v49
	v_sub_u32_e32 v51, 29, v53
	v_and_b32_e32 v50, 7, v50
	v_cmp_gt_u32_e32 vcc, 8, v49
	v_cndmask_b32_e32 v49, v52, v51, vcc
	v_cndmask_b32_e32 v44, v44, v50, vcc
	v_lshlrev_b32_e32 v42, 24, v42
	v_lshlrev_b32_e32 v44, 20, v44
	v_and_b32_e32 v42, 0x80000000, v42
	v_lshl_add_u32 v49, v49, 23, v48
	v_or3_b32 v44, v42, v49, v44
.LBB662_229:                            ;   in Loop: Header=BB662_213 Depth=1
	s_or_b64 exec, exec, s[18:19]
.LBB662_230:                            ;   in Loop: Header=BB662_213 Depth=1
	s_or_b64 exec, exec, s[16:17]
.LBB662_231:                            ;   in Loop: Header=BB662_213 Depth=1
	s_or_b64 exec, exec, s[14:15]
	v_cmp_lt_u32_e32 vcc, s22, v36
	s_and_saveexec_b64 s[14:15], vcc
	s_cbranch_execz .LBB662_237
; %bb.232:                              ;   in Loop: Header=BB662_213 Depth=1
	v_lshrrev_b32_e32 v42, 24, v36
	v_cmp_ne_u32_e32 vcc, s9, v42
	v_bfrev_b32_e32 v46, 1
	s_and_saveexec_b64 s[16:17], vcc
	s_cbranch_execz .LBB662_236
; %bb.233:                              ;   in Loop: Header=BB662_213 Depth=1
	v_bfe_u32 v36, v36, 24, 7
	v_cmp_ne_u32_e32 vcc, s21, v36
	v_mov_b32_e32 v46, 0x7f800001
	s_and_saveexec_b64 s[18:19], vcc
	s_cbranch_execz .LBB662_235
; %bb.234:                              ;   in Loop: Header=BB662_213 Depth=1
	v_and_b32_e32 v46, 7, v42
	v_ffbh_u32_e32 v50, v46
	v_min_u32_e32 v52, 32, v50
	v_subrev_u32_e32 v50, 28, v52
	v_lshlrev_b64 v[50:51], v50, v[42:43]
	v_lshrrev_b32_e32 v49, 3, v36
	v_sub_u32_e32 v51, 29, v52
	v_and_b32_e32 v50, 7, v50
	v_cmp_gt_u32_e32 vcc, 8, v36
	v_cndmask_b32_e32 v36, v49, v51, vcc
	v_cndmask_b32_e32 v46, v46, v50, vcc
	v_lshlrev_b32_e32 v42, 24, v42
	v_lshlrev_b32_e32 v46, 20, v46
	v_and_b32_e32 v42, 0x80000000, v42
	v_lshl_add_u32 v36, v36, 23, v48
	v_or3_b32 v46, v42, v36, v46
.LBB662_235:                            ;   in Loop: Header=BB662_213 Depth=1
	s_or_b64 exec, exec, s[18:19]
.LBB662_236:                            ;   in Loop: Header=BB662_213 Depth=1
	s_or_b64 exec, exec, s[16:17]
.LBB662_237:                            ;   in Loop: Header=BB662_213 Depth=1
	s_or_b64 exec, exec, s[14:15]
	s_waitcnt vmcnt(2)
	v_cmp_ne_u16_sdwa s[16:17], v34, v47 src0_sel:BYTE_0 src1_sel:DWORD
	v_mov_b32_e32 v42, 0
	v_mov_b32_e32 v49, 0
	s_and_saveexec_b64 s[14:15], s[16:17]
	s_cbranch_execz .LBB662_243
; %bb.238:                              ;   in Loop: Header=BB662_213 Depth=1
	v_cmp_ne_u16_sdwa s[18:19], v34, s9 src0_sel:BYTE_0 src1_sel:DWORD
	v_bfrev_b32_e32 v49, 1
	s_and_saveexec_b64 s[16:17], s[18:19]
	s_cbranch_execz .LBB662_242
; %bb.239:                              ;   in Loop: Header=BB662_213 Depth=1
	v_and_b32_e32 v36, 0x7f, v34
	v_cmp_ne_u32_e32 vcc, s21, v36
	v_mov_b32_e32 v49, 0x7f800001
	s_and_saveexec_b64 s[18:19], vcc
	s_cbranch_execz .LBB662_241
; %bb.240:                              ;   in Loop: Header=BB662_213 Depth=1
	v_and_b32_e32 v49, 7, v34
	v_ffbh_u32_e32 v50, v49
	v_min_u32_e32 v53, 32, v50
	v_subrev_u32_e32 v50, 28, v53
	v_lshlrev_b64 v[50:51], v50, v[34:35]
	v_lshrrev_b32_e32 v52, 3, v36
	v_sub_u32_e32 v51, 29, v53
	v_and_b32_e32 v50, 7, v50
	v_cmp_gt_u32_e32 vcc, 8, v36
	v_cndmask_b32_e32 v36, v52, v51, vcc
	v_cndmask_b32_e32 v49, v49, v50, vcc
	v_lshlrev_b32_e32 v50, 24, v34
	v_lshlrev_b32_e32 v49, 20, v49
	v_and_b32_e32 v50, 0x80000000, v50
	v_lshl_add_u32 v36, v36, 23, v48
	v_or3_b32 v49, v50, v36, v49
.LBB662_241:                            ;   in Loop: Header=BB662_213 Depth=1
	s_or_b64 exec, exec, s[18:19]
.LBB662_242:                            ;   in Loop: Header=BB662_213 Depth=1
	s_or_b64 exec, exec, s[16:17]
.LBB662_243:                            ;   in Loop: Header=BB662_213 Depth=1
	s_or_b64 exec, exec, s[14:15]
	v_lshrrev_b16_e32 v36, 8, v34
	v_cmp_ne_u16_e32 vcc, 0, v36
	s_and_saveexec_b64 s[14:15], vcc
	s_cbranch_execz .LBB662_249
; %bb.244:                              ;   in Loop: Header=BB662_213 Depth=1
	v_cmp_ne_u16_e32 vcc, s9, v36
	v_bfrev_b32_e32 v42, 1
	s_and_saveexec_b64 s[16:17], vcc
	s_cbranch_execz .LBB662_248
; %bb.245:                              ;   in Loop: Header=BB662_213 Depth=1
	v_and_b32_e32 v50, 0x7f, v36
	v_cmp_ne_u32_e32 vcc, s21, v50
	v_mov_b32_e32 v42, 0x7f800001
	s_and_saveexec_b64 s[18:19], vcc
	s_cbranch_execz .LBB662_247
; %bb.246:                              ;   in Loop: Header=BB662_213 Depth=1
	v_and_b32_e32 v42, 7, v36
	v_ffbh_u32_e32 v52, v42
	v_min_u32_e32 v62, 32, v52
	v_subrev_u32_e32 v52, 28, v62
	v_lshlrev_b64 v[52:53], v52, v[36:37]
	v_lshrrev_b32_e32 v51, 3, v50
	v_sub_u32_e32 v36, 29, v62
	v_and_b32_e32 v52, 7, v52
	v_cmp_gt_u32_e32 vcc, 8, v50
	v_cndmask_b32_e32 v36, v51, v36, vcc
	v_cndmask_b32_e32 v42, v42, v52, vcc
	v_lshlrev_b32_e32 v50, 16, v34
	v_lshlrev_b32_e32 v42, 20, v42
	v_and_b32_e32 v50, 0x80000000, v50
	v_lshl_add_u32 v36, v36, 23, v48
	v_or3_b32 v42, v50, v36, v42
.LBB662_247:                            ;   in Loop: Header=BB662_213 Depth=1
	s_or_b64 exec, exec, s[18:19]
.LBB662_248:                            ;   in Loop: Header=BB662_213 Depth=1
	s_or_b64 exec, exec, s[16:17]
.LBB662_249:                            ;   in Loop: Header=BB662_213 Depth=1
	s_or_b64 exec, exec, s[14:15]
	v_lshrrev_b32_e32 v36, 16, v34
	v_cmp_ne_u16_sdwa s[16:17], v36, v47 src0_sel:BYTE_0 src1_sel:DWORD
	v_mov_b32_e32 v51, 0
	v_mov_b32_e32 v50, 0
	s_and_saveexec_b64 s[14:15], s[16:17]
	s_cbranch_execz .LBB662_255
; %bb.250:                              ;   in Loop: Header=BB662_213 Depth=1
	v_cmp_ne_u16_sdwa s[18:19], v36, s9 src0_sel:BYTE_0 src1_sel:DWORD
	v_bfrev_b32_e32 v50, 1
	s_and_saveexec_b64 s[16:17], s[18:19]
	s_cbranch_execz .LBB662_254
; %bb.251:                              ;   in Loop: Header=BB662_213 Depth=1
	v_bfe_u32 v52, v34, 16, 7
	v_cmp_ne_u32_e32 vcc, s21, v52
	v_mov_b32_e32 v50, 0x7f800001
	s_and_saveexec_b64 s[18:19], vcc
	s_cbranch_execz .LBB662_253
; %bb.252:                              ;   in Loop: Header=BB662_213 Depth=1
	v_and_b32_e32 v50, 7, v36
	v_ffbh_u32_e32 v62, v50
	v_min_u32_e32 v64, 32, v62
	v_subrev_u32_e32 v62, 28, v64
	v_lshlrev_b64 v[62:63], v62, v[36:37]
	v_lshrrev_b32_e32 v53, 3, v52
	v_sub_u32_e32 v63, 29, v64
	v_and_b32_e32 v62, 7, v62
	v_cmp_gt_u32_e32 vcc, 8, v52
	v_cndmask_b32_e32 v52, v53, v63, vcc
	v_cndmask_b32_e32 v50, v50, v62, vcc
	v_lshlrev_b32_e32 v36, 24, v36
	v_lshlrev_b32_e32 v50, 20, v50
	v_and_b32_e32 v36, 0x80000000, v36
	v_lshl_add_u32 v52, v52, 23, v48
	v_or3_b32 v50, v36, v52, v50
.LBB662_253:                            ;   in Loop: Header=BB662_213 Depth=1
	s_or_b64 exec, exec, s[18:19]
.LBB662_254:                            ;   in Loop: Header=BB662_213 Depth=1
	s_or_b64 exec, exec, s[16:17]
.LBB662_255:                            ;   in Loop: Header=BB662_213 Depth=1
	s_or_b64 exec, exec, s[14:15]
	v_cmp_lt_u32_e32 vcc, s22, v34
	s_and_saveexec_b64 s[14:15], vcc
	s_cbranch_execz .LBB662_261
; %bb.256:                              ;   in Loop: Header=BB662_213 Depth=1
	v_lshrrev_b32_e32 v36, 24, v34
	v_cmp_ne_u32_e32 vcc, s9, v36
	v_bfrev_b32_e32 v51, 1
	s_and_saveexec_b64 s[16:17], vcc
	s_cbranch_execz .LBB662_260
; %bb.257:                              ;   in Loop: Header=BB662_213 Depth=1
	v_bfe_u32 v34, v34, 24, 7
	v_cmp_ne_u32_e32 vcc, s21, v34
	v_mov_b32_e32 v51, 0x7f800001
	s_and_saveexec_b64 s[18:19], vcc
	s_cbranch_execz .LBB662_259
; %bb.258:                              ;   in Loop: Header=BB662_213 Depth=1
	v_and_b32_e32 v51, 7, v36
	v_ffbh_u32_e32 v52, v51
	v_min_u32_e32 v63, 32, v52
	v_subrev_u32_e32 v52, 28, v63
	v_lshlrev_b64 v[52:53], v52, v[36:37]
	v_lshrrev_b32_e32 v62, 3, v34
	v_sub_u32_e32 v53, 29, v63
	v_and_b32_e32 v52, 7, v52
	v_cmp_gt_u32_e32 vcc, 8, v34
	v_cndmask_b32_e32 v34, v62, v53, vcc
	v_cndmask_b32_e32 v51, v51, v52, vcc
	v_lshlrev_b32_e32 v36, 24, v36
	v_lshlrev_b32_e32 v51, 20, v51
	v_and_b32_e32 v36, 0x80000000, v36
	v_lshl_add_u32 v34, v34, 23, v48
	v_or3_b32 v51, v36, v34, v51
.LBB662_259:                            ;   in Loop: Header=BB662_213 Depth=1
	s_or_b64 exec, exec, s[18:19]
.LBB662_260:                            ;   in Loop: Header=BB662_213 Depth=1
	s_or_b64 exec, exec, s[16:17]
.LBB662_261:                            ;   in Loop: Header=BB662_213 Depth=1
	s_or_b64 exec, exec, s[14:15]
	v_cvt_pkrtz_f16_f32 v34, v35, v37
	v_cvt_pkrtz_f16_f32 v35, v44, v46
	;; [unrolled: 1-line block ×4, first 2 shown]
	v_mov_b32_e32 v44, 0
	v_mfma_f32_16x16x16f16 v[34:37], v[34:35], v[2:3], 0
	s_waitcnt vmcnt(1)
	v_cmp_ne_u16_sdwa s[16:17], v40, v47 src0_sel:BYTE_0 src1_sel:DWORD
	v_mov_b32_e32 v46, 0
	v_mfma_f32_16x16x16f16 v[34:37], v[52:53], v[4:5], v[34:37]
	s_and_saveexec_b64 s[14:15], s[16:17]
	s_cbranch_execz .LBB662_267
; %bb.262:                              ;   in Loop: Header=BB662_213 Depth=1
	v_cmp_ne_u16_sdwa s[18:19], v40, s9 src0_sel:BYTE_0 src1_sel:DWORD
	v_bfrev_b32_e32 v46, 1
	s_and_saveexec_b64 s[16:17], s[18:19]
	s_cbranch_execz .LBB662_266
; %bb.263:                              ;   in Loop: Header=BB662_213 Depth=1
	v_and_b32_e32 v42, 0x7f, v40
	v_cmp_ne_u32_e32 vcc, s21, v42
	v_mov_b32_e32 v46, 0x7f800001
	s_and_saveexec_b64 s[18:19], vcc
	s_cbranch_execz .LBB662_265
; %bb.264:                              ;   in Loop: Header=BB662_213 Depth=1
	v_and_b32_e32 v46, 7, v40
	v_ffbh_u32_e32 v50, v46
	v_min_u32_e32 v52, 32, v50
	v_subrev_u32_e32 v50, 28, v52
	v_lshlrev_b64 v[50:51], v50, v[40:41]
	v_lshrrev_b32_e32 v49, 3, v42
	v_sub_u32_e32 v51, 29, v52
	v_and_b32_e32 v50, 7, v50
	v_cmp_gt_u32_e32 vcc, 8, v42
	v_cndmask_b32_e32 v42, v49, v51, vcc
	v_cndmask_b32_e32 v46, v46, v50, vcc
	v_lshlrev_b32_e32 v49, 24, v40
	v_lshlrev_b32_e32 v46, 20, v46
	v_and_b32_e32 v49, 0x80000000, v49
	v_lshl_add_u32 v42, v42, 23, v48
	v_or3_b32 v46, v49, v42, v46
.LBB662_265:                            ;   in Loop: Header=BB662_213 Depth=1
	s_or_b64 exec, exec, s[18:19]
.LBB662_266:                            ;   in Loop: Header=BB662_213 Depth=1
	s_or_b64 exec, exec, s[16:17]
.LBB662_267:                            ;   in Loop: Header=BB662_213 Depth=1
	s_or_b64 exec, exec, s[14:15]
	v_lshrrev_b16_e32 v42, 8, v40
	v_cmp_ne_u16_e32 vcc, 0, v42
	v_mov_b32_e32 v50, 0
	s_and_saveexec_b64 s[14:15], vcc
	s_cbranch_execz .LBB662_273
; %bb.268:                              ;   in Loop: Header=BB662_213 Depth=1
	v_cmp_ne_u16_e32 vcc, s9, v42
	v_bfrev_b32_e32 v50, 1
	s_and_saveexec_b64 s[16:17], vcc
	s_cbranch_execz .LBB662_272
; %bb.269:                              ;   in Loop: Header=BB662_213 Depth=1
	v_and_b32_e32 v49, 0x7f, v42
	v_cmp_ne_u32_e32 vcc, s21, v49
	v_mov_b32_e32 v50, 0x7f800001
	s_and_saveexec_b64 s[18:19], vcc
	s_cbranch_execz .LBB662_271
; %bb.270:                              ;   in Loop: Header=BB662_213 Depth=1
	v_and_b32_e32 v52, 7, v42
	v_ffbh_u32_e32 v50, v52
	v_min_u32_e32 v62, 32, v50
	v_subrev_u32_e32 v50, 28, v62
	v_lshlrev_b64 v[50:51], v50, v[42:43]
	v_lshrrev_b32_e32 v53, 3, v49
	v_sub_u32_e32 v42, 29, v62
	v_and_b32_e32 v50, 7, v50
	v_cmp_gt_u32_e32 vcc, 8, v49
	v_cndmask_b32_e32 v42, v53, v42, vcc
	v_cndmask_b32_e32 v49, v52, v50, vcc
	v_lshlrev_b32_e32 v50, 16, v40
	v_lshlrev_b32_e32 v49, 20, v49
	v_and_b32_e32 v50, 0x80000000, v50
	v_lshl_add_u32 v42, v42, 23, v48
	v_or3_b32 v50, v50, v42, v49
.LBB662_271:                            ;   in Loop: Header=BB662_213 Depth=1
	s_or_b64 exec, exec, s[18:19]
.LBB662_272:                            ;   in Loop: Header=BB662_213 Depth=1
	s_or_b64 exec, exec, s[16:17]
.LBB662_273:                            ;   in Loop: Header=BB662_213 Depth=1
	s_or_b64 exec, exec, s[14:15]
	v_lshrrev_b32_e32 v42, 16, v40
	v_cmp_ne_u16_sdwa s[16:17], v42, v47 src0_sel:BYTE_0 src1_sel:DWORD
	s_and_saveexec_b64 s[14:15], s[16:17]
	s_cbranch_execz .LBB662_279
; %bb.274:                              ;   in Loop: Header=BB662_213 Depth=1
	v_cmp_ne_u16_sdwa s[18:19], v42, s9 src0_sel:BYTE_0 src1_sel:DWORD
	v_bfrev_b32_e32 v44, 1
	s_and_saveexec_b64 s[16:17], s[18:19]
	s_cbranch_execz .LBB662_278
; %bb.275:                              ;   in Loop: Header=BB662_213 Depth=1
	v_bfe_u32 v49, v40, 16, 7
	v_cmp_ne_u32_e32 vcc, s21, v49
	v_mov_b32_e32 v44, 0x7f800001
	s_and_saveexec_b64 s[18:19], vcc
	s_cbranch_execz .LBB662_277
; %bb.276:                              ;   in Loop: Header=BB662_213 Depth=1
	v_and_b32_e32 v44, 7, v42
	v_ffbh_u32_e32 v52, v44
	v_min_u32_e32 v62, 32, v52
	v_subrev_u32_e32 v52, 28, v62
	v_lshlrev_b64 v[52:53], v52, v[42:43]
	v_lshrrev_b32_e32 v51, 3, v49
	v_sub_u32_e32 v53, 29, v62
	v_and_b32_e32 v52, 7, v52
	v_cmp_gt_u32_e32 vcc, 8, v49
	v_cndmask_b32_e32 v49, v51, v53, vcc
	v_cndmask_b32_e32 v44, v44, v52, vcc
	v_lshlrev_b32_e32 v42, 24, v42
	v_lshlrev_b32_e32 v44, 20, v44
	v_and_b32_e32 v42, 0x80000000, v42
	v_lshl_add_u32 v49, v49, 23, v48
	v_or3_b32 v44, v42, v49, v44
.LBB662_277:                            ;   in Loop: Header=BB662_213 Depth=1
	s_or_b64 exec, exec, s[18:19]
.LBB662_278:                            ;   in Loop: Header=BB662_213 Depth=1
	s_or_b64 exec, exec, s[16:17]
.LBB662_279:                            ;   in Loop: Header=BB662_213 Depth=1
	s_or_b64 exec, exec, s[14:15]
	v_cmp_lt_u32_e32 vcc, s22, v40
	v_mov_b32_e32 v51, 0
	v_mov_b32_e32 v52, 0
	s_and_saveexec_b64 s[14:15], vcc
	s_cbranch_execz .LBB662_285
; %bb.280:                              ;   in Loop: Header=BB662_213 Depth=1
	v_lshrrev_b32_e32 v42, 24, v40
	v_cmp_ne_u32_e32 vcc, s9, v42
	v_bfrev_b32_e32 v52, 1
	s_and_saveexec_b64 s[16:17], vcc
	s_cbranch_execz .LBB662_284
; %bb.281:                              ;   in Loop: Header=BB662_213 Depth=1
	v_bfe_u32 v40, v40, 24, 7
	v_cmp_ne_u32_e32 vcc, s21, v40
	v_mov_b32_e32 v52, 0x7f800001
	s_and_saveexec_b64 s[18:19], vcc
	s_cbranch_execz .LBB662_283
; %bb.282:                              ;   in Loop: Header=BB662_213 Depth=1
	v_and_b32_e32 v49, 7, v42
	v_ffbh_u32_e32 v52, v49
	v_min_u32_e32 v63, 32, v52
	v_subrev_u32_e32 v52, 28, v63
	v_lshlrev_b64 v[52:53], v52, v[42:43]
	v_lshrrev_b32_e32 v62, 3, v40
	v_sub_u32_e32 v53, 29, v63
	v_and_b32_e32 v52, 7, v52
	v_cmp_gt_u32_e32 vcc, 8, v40
	v_cndmask_b32_e32 v40, v62, v53, vcc
	v_cndmask_b32_e32 v49, v49, v52, vcc
	v_lshlrev_b32_e32 v42, 24, v42
	v_lshlrev_b32_e32 v49, 20, v49
	v_and_b32_e32 v42, 0x80000000, v42
	v_lshl_add_u32 v40, v40, 23, v48
	v_or3_b32 v52, v42, v40, v49
.LBB662_283:                            ;   in Loop: Header=BB662_213 Depth=1
	s_or_b64 exec, exec, s[18:19]
.LBB662_284:                            ;   in Loop: Header=BB662_213 Depth=1
	s_or_b64 exec, exec, s[16:17]
.LBB662_285:                            ;   in Loop: Header=BB662_213 Depth=1
	s_or_b64 exec, exec, s[14:15]
	s_waitcnt vmcnt(0)
	v_cmp_ne_u16_sdwa s[16:17], v38, v47 src0_sel:BYTE_0 src1_sel:DWORD
	s_and_saveexec_b64 s[14:15], s[16:17]
	s_cbranch_execz .LBB662_291
; %bb.286:                              ;   in Loop: Header=BB662_213 Depth=1
	v_cmp_ne_u16_sdwa s[18:19], v38, s9 src0_sel:BYTE_0 src1_sel:DWORD
	v_bfrev_b32_e32 v51, 1
	s_and_saveexec_b64 s[16:17], s[18:19]
	s_cbranch_execz .LBB662_290
; %bb.287:                              ;   in Loop: Header=BB662_213 Depth=1
	v_and_b32_e32 v40, 0x7f, v38
	v_cmp_ne_u32_e32 vcc, s21, v40
	v_mov_b32_e32 v51, 0x7f800001
	s_and_saveexec_b64 s[18:19], vcc
	s_cbranch_execz .LBB662_289
; %bb.288:                              ;   in Loop: Header=BB662_213 Depth=1
	v_and_b32_e32 v42, 7, v38
	v_ffbh_u32_e32 v51, v42
	v_min_u32_e32 v51, 32, v51
	v_subrev_u32_e32 v53, 28, v51
	v_lshlrev_b64 v[62:63], v53, v[38:39]
	v_lshrrev_b32_e32 v49, 3, v40
	v_sub_u32_e32 v51, 29, v51
	v_and_b32_e32 v53, 7, v62
	v_cmp_gt_u32_e32 vcc, 8, v40
	v_cndmask_b32_e32 v40, v49, v51, vcc
	v_cndmask_b32_e32 v42, v42, v53, vcc
	v_lshlrev_b32_e32 v49, 24, v38
	v_lshlrev_b32_e32 v42, 20, v42
	v_and_b32_e32 v49, 0x80000000, v49
	v_lshl_add_u32 v40, v40, 23, v48
	v_or3_b32 v51, v49, v40, v42
.LBB662_289:                            ;   in Loop: Header=BB662_213 Depth=1
	s_or_b64 exec, exec, s[18:19]
.LBB662_290:                            ;   in Loop: Header=BB662_213 Depth=1
	s_or_b64 exec, exec, s[16:17]
.LBB662_291:                            ;   in Loop: Header=BB662_213 Depth=1
	s_or_b64 exec, exec, s[14:15]
	v_lshrrev_b16_e32 v40, 8, v38
	v_cmp_ne_u16_e32 vcc, 0, v40
	v_mov_b32_e32 v53, 0
	v_mov_b32_e32 v62, 0
	s_and_saveexec_b64 s[14:15], vcc
	s_cbranch_execz .LBB662_297
; %bb.292:                              ;   in Loop: Header=BB662_213 Depth=1
	v_cmp_ne_u16_e32 vcc, s9, v40
	v_bfrev_b32_e32 v62, 1
	s_and_saveexec_b64 s[16:17], vcc
	s_cbranch_execz .LBB662_296
; %bb.293:                              ;   in Loop: Header=BB662_213 Depth=1
	v_and_b32_e32 v42, 0x7f, v40
	v_cmp_ne_u32_e32 vcc, s21, v42
	v_mov_b32_e32 v62, 0x7f800001
	s_and_saveexec_b64 s[18:19], vcc
	s_cbranch_execz .LBB662_295
; %bb.294:                              ;   in Loop: Header=BB662_213 Depth=1
	v_and_b32_e32 v49, 7, v40
	v_ffbh_u32_e32 v62, v49
	v_min_u32_e32 v65, 32, v62
	v_subrev_u32_e32 v62, 28, v65
	v_lshlrev_b64 v[62:63], v62, v[40:41]
	v_lshrrev_b32_e32 v64, 3, v42
	v_sub_u32_e32 v40, 29, v65
	v_and_b32_e32 v62, 7, v62
	v_cmp_gt_u32_e32 vcc, 8, v42
	v_cndmask_b32_e32 v40, v64, v40, vcc
	v_cndmask_b32_e32 v42, v49, v62, vcc
	v_lshlrev_b32_e32 v49, 16, v38
	v_lshlrev_b32_e32 v42, 20, v42
	v_and_b32_e32 v49, 0x80000000, v49
	v_lshl_add_u32 v40, v40, 23, v48
	v_or3_b32 v62, v49, v40, v42
.LBB662_295:                            ;   in Loop: Header=BB662_213 Depth=1
	s_or_b64 exec, exec, s[18:19]
.LBB662_296:                            ;   in Loop: Header=BB662_213 Depth=1
	s_or_b64 exec, exec, s[16:17]
.LBB662_297:                            ;   in Loop: Header=BB662_213 Depth=1
	s_or_b64 exec, exec, s[14:15]
	v_lshrrev_b32_e32 v40, 16, v38
	v_cmp_ne_u16_sdwa s[16:17], v40, v47 src0_sel:BYTE_0 src1_sel:DWORD
	s_and_saveexec_b64 s[14:15], s[16:17]
	s_cbranch_execz .LBB662_303
; %bb.298:                              ;   in Loop: Header=BB662_213 Depth=1
	v_cmp_ne_u16_sdwa s[18:19], v40, s9 src0_sel:BYTE_0 src1_sel:DWORD
	v_bfrev_b32_e32 v53, 1
	s_and_saveexec_b64 s[16:17], s[18:19]
	s_cbranch_execz .LBB662_302
; %bb.299:                              ;   in Loop: Header=BB662_213 Depth=1
	v_bfe_u32 v42, v38, 16, 7
	v_cmp_ne_u32_e32 vcc, s21, v42
	v_mov_b32_e32 v53, 0x7f800001
	s_and_saveexec_b64 s[18:19], vcc
	s_cbranch_execz .LBB662_301
; %bb.300:                              ;   in Loop: Header=BB662_213 Depth=1
	v_and_b32_e32 v49, 7, v40
	v_ffbh_u32_e32 v63, v49
	v_min_u32_e32 v63, 32, v63
	v_subrev_u32_e32 v64, 28, v63
	v_lshlrev_b64 v[64:65], v64, v[40:41]
	v_lshrrev_b32_e32 v53, 3, v42
	v_sub_u32_e32 v63, 29, v63
	v_and_b32_e32 v64, 7, v64
	v_cmp_gt_u32_e32 vcc, 8, v42
	v_cndmask_b32_e32 v42, v53, v63, vcc
	v_cndmask_b32_e32 v49, v49, v64, vcc
	v_lshlrev_b32_e32 v40, 24, v40
	v_lshlrev_b32_e32 v49, 20, v49
	v_and_b32_e32 v40, 0x80000000, v40
	v_lshl_add_u32 v42, v42, 23, v48
	v_or3_b32 v53, v40, v42, v49
.LBB662_301:                            ;   in Loop: Header=BB662_213 Depth=1
	s_or_b64 exec, exec, s[18:19]
.LBB662_302:                            ;   in Loop: Header=BB662_213 Depth=1
	s_or_b64 exec, exec, s[16:17]
.LBB662_303:                            ;   in Loop: Header=BB662_213 Depth=1
	s_or_b64 exec, exec, s[14:15]
	v_cmp_lt_u32_e32 vcc, s22, v38
	v_mov_b32_e32 v49, 0
	v_mov_b32_e32 v63, 0
	s_and_saveexec_b64 s[14:15], vcc
	s_cbranch_execz .LBB662_309
; %bb.304:                              ;   in Loop: Header=BB662_213 Depth=1
	v_lshrrev_b32_e32 v40, 24, v38
	v_cmp_ne_u32_e32 vcc, s9, v40
	v_bfrev_b32_e32 v63, 1
	s_and_saveexec_b64 s[16:17], vcc
	s_cbranch_execz .LBB662_308
; %bb.305:                              ;   in Loop: Header=BB662_213 Depth=1
	v_bfe_u32 v38, v38, 24, 7
	v_cmp_ne_u32_e32 vcc, s21, v38
	v_mov_b32_e32 v63, 0x7f800001
	s_and_saveexec_b64 s[18:19], vcc
	s_cbranch_execz .LBB662_307
; %bb.306:                              ;   in Loop: Header=BB662_213 Depth=1
	v_and_b32_e32 v42, 7, v40
	v_ffbh_u32_e32 v64, v42
	v_min_u32_e32 v66, 32, v64
	v_subrev_u32_e32 v64, 28, v66
	v_lshlrev_b64 v[64:65], v64, v[40:41]
	v_lshrrev_b32_e32 v63, 3, v38
	v_sub_u32_e32 v65, 29, v66
	v_and_b32_e32 v64, 7, v64
	v_cmp_gt_u32_e32 vcc, 8, v38
	v_cndmask_b32_e32 v38, v63, v65, vcc
	v_cndmask_b32_e32 v42, v42, v64, vcc
	v_lshlrev_b32_e32 v40, 24, v40
	v_lshlrev_b32_e32 v42, 20, v42
	v_and_b32_e32 v40, 0x80000000, v40
	v_lshl_add_u32 v38, v38, 23, v48
	v_or3_b32 v63, v40, v38, v42
.LBB662_307:                            ;   in Loop: Header=BB662_213 Depth=1
	s_or_b64 exec, exec, s[18:19]
.LBB662_308:                            ;   in Loop: Header=BB662_213 Depth=1
	s_or_b64 exec, exec, s[16:17]
.LBB662_309:                            ;   in Loop: Header=BB662_213 Depth=1
	s_or_b64 exec, exec, s[14:15]
	v_cvt_pkrtz_f16_f32 v65, v44, v52
	buffer_load_dword v44, v61, s[0:3], 0 offen
	buffer_load_dword v42, v61, s[0:3], 0 offen offset:4
	buffer_load_dword v40, v61, s[0:3], 0 offen offset:8
	;; [unrolled: 1-line block ×3, first 2 shown]
	v_cvt_pkrtz_f16_f32 v64, v46, v50
	v_cvt_pkrtz_f16_f32 v50, v51, v62
	;; [unrolled: 1-line block ×3, first 2 shown]
	v_mfma_f32_16x16x16f16 v[34:37], v[64:65], v[6:7], v[34:37]
	s_waitcnt vmcnt(3)
	v_cmp_ne_u16_sdwa s[16:17], v44, v47 src0_sel:BYTE_0 src1_sel:DWORD
	v_mfma_f32_16x16x16f16 v[34:37], v[50:51], v[8:9], v[34:37]
	s_and_saveexec_b64 s[14:15], s[16:17]
	s_cbranch_execz .LBB662_315
; %bb.310:                              ;   in Loop: Header=BB662_213 Depth=1
	v_cmp_ne_u16_sdwa s[18:19], v44, s9 src0_sel:BYTE_0 src1_sel:DWORD
	v_bfrev_b32_e32 v49, 1
	s_and_saveexec_b64 s[16:17], s[18:19]
	s_cbranch_execz .LBB662_314
; %bb.311:                              ;   in Loop: Header=BB662_213 Depth=1
	v_and_b32_e32 v46, 0x7f, v44
	v_cmp_ne_u32_e32 vcc, s21, v46
	v_mov_b32_e32 v49, 0x7f800001
	s_and_saveexec_b64 s[18:19], vcc
	s_cbranch_execz .LBB662_313
; %bb.312:                              ;   in Loop: Header=BB662_213 Depth=1
	v_and_b32_e32 v49, 7, v44
	v_ffbh_u32_e32 v50, v49
	v_min_u32_e32 v53, 32, v50
	v_subrev_u32_e32 v50, 28, v53
	v_lshlrev_b64 v[50:51], v50, v[44:45]
	v_lshrrev_b32_e32 v52, 3, v46
	v_sub_u32_e32 v51, 29, v53
	v_and_b32_e32 v50, 7, v50
	v_cmp_gt_u32_e32 vcc, 8, v46
	v_cndmask_b32_e32 v46, v52, v51, vcc
	v_cndmask_b32_e32 v49, v49, v50, vcc
	v_lshlrev_b32_e32 v50, 24, v44
	v_lshlrev_b32_e32 v49, 20, v49
	v_and_b32_e32 v50, 0x80000000, v50
	v_lshl_add_u32 v46, v46, 23, v48
	v_or3_b32 v49, v50, v46, v49
.LBB662_313:                            ;   in Loop: Header=BB662_213 Depth=1
	s_or_b64 exec, exec, s[18:19]
.LBB662_314:                            ;   in Loop: Header=BB662_213 Depth=1
	s_or_b64 exec, exec, s[16:17]
.LBB662_315:                            ;   in Loop: Header=BB662_213 Depth=1
	s_or_b64 exec, exec, s[14:15]
	v_lshrrev_b16_e32 v46, 8, v44
	v_cmp_ne_u16_e32 vcc, 0, v46
	v_mov_b32_e32 v50, 0
	v_mov_b32_e32 v51, 0
	s_and_saveexec_b64 s[14:15], vcc
	s_cbranch_execz .LBB662_321
; %bb.316:                              ;   in Loop: Header=BB662_213 Depth=1
	v_cmp_ne_u16_e32 vcc, s9, v46
	v_bfrev_b32_e32 v51, 1
	s_and_saveexec_b64 s[16:17], vcc
	s_cbranch_execz .LBB662_320
; %bb.317:                              ;   in Loop: Header=BB662_213 Depth=1
	v_and_b32_e32 v52, 0x7f, v46
	v_cmp_ne_u32_e32 vcc, s21, v52
	v_mov_b32_e32 v51, 0x7f800001
	s_and_saveexec_b64 s[18:19], vcc
	s_cbranch_execz .LBB662_319
; %bb.318:                              ;   in Loop: Header=BB662_213 Depth=1
	v_and_b32_e32 v51, 7, v46
	v_ffbh_u32_e32 v61, v51
	v_min_u32_e32 v61, 32, v61
	v_subrev_u32_e32 v62, 28, v61
	v_lshlrev_b64 v[62:63], v62, v[46:47]
	v_lshrrev_b32_e32 v53, 3, v52
	v_sub_u32_e32 v46, 29, v61
	v_and_b32_e32 v61, 7, v62
	v_cmp_gt_u32_e32 vcc, 8, v52
	v_cndmask_b32_e32 v46, v53, v46, vcc
	v_cndmask_b32_e32 v51, v51, v61, vcc
	v_lshlrev_b32_e32 v52, 16, v44
	v_lshlrev_b32_e32 v51, 20, v51
	v_and_b32_e32 v52, 0x80000000, v52
	v_lshl_add_u32 v46, v46, 23, v48
	v_or3_b32 v51, v52, v46, v51
.LBB662_319:                            ;   in Loop: Header=BB662_213 Depth=1
	s_or_b64 exec, exec, s[18:19]
.LBB662_320:                            ;   in Loop: Header=BB662_213 Depth=1
	s_or_b64 exec, exec, s[16:17]
.LBB662_321:                            ;   in Loop: Header=BB662_213 Depth=1
	s_or_b64 exec, exec, s[14:15]
	v_lshrrev_b32_e32 v46, 16, v44
	v_cmp_ne_u16_sdwa s[16:17], v46, v47 src0_sel:BYTE_0 src1_sel:DWORD
	s_and_saveexec_b64 s[14:15], s[16:17]
	s_cbranch_execz .LBB662_327
; %bb.322:                              ;   in Loop: Header=BB662_213 Depth=1
	v_cmp_ne_u16_sdwa s[18:19], v46, s9 src0_sel:BYTE_0 src1_sel:DWORD
	v_bfrev_b32_e32 v50, 1
	s_and_saveexec_b64 s[16:17], s[18:19]
	s_cbranch_execz .LBB662_326
; %bb.323:                              ;   in Loop: Header=BB662_213 Depth=1
	v_bfe_u32 v52, v44, 16, 7
	v_cmp_ne_u32_e32 vcc, s21, v52
	v_mov_b32_e32 v50, 0x7f800001
	s_and_saveexec_b64 s[18:19], vcc
	s_cbranch_execz .LBB662_325
; %bb.324:                              ;   in Loop: Header=BB662_213 Depth=1
	v_and_b32_e32 v50, 7, v46
	v_ffbh_u32_e32 v61, v50
	v_min_u32_e32 v61, 32, v61
	v_subrev_u32_e32 v62, 28, v61
	v_lshlrev_b64 v[62:63], v62, v[46:47]
	v_lshrrev_b32_e32 v53, 3, v52
	v_sub_u32_e32 v61, 29, v61
	v_and_b32_e32 v62, 7, v62
	v_cmp_gt_u32_e32 vcc, 8, v52
	v_cndmask_b32_e32 v52, v53, v61, vcc
	v_cndmask_b32_e32 v50, v50, v62, vcc
	v_lshlrev_b32_e32 v46, 24, v46
	v_lshlrev_b32_e32 v50, 20, v50
	v_and_b32_e32 v46, 0x80000000, v46
	v_lshl_add_u32 v52, v52, 23, v48
	v_or3_b32 v50, v46, v52, v50
.LBB662_325:                            ;   in Loop: Header=BB662_213 Depth=1
	s_or_b64 exec, exec, s[18:19]
.LBB662_326:                            ;   in Loop: Header=BB662_213 Depth=1
	s_or_b64 exec, exec, s[16:17]
.LBB662_327:                            ;   in Loop: Header=BB662_213 Depth=1
	s_or_b64 exec, exec, s[14:15]
	v_cmp_lt_u32_e32 vcc, s22, v44
	v_mov_b32_e32 v52, 0
	v_mov_b32_e32 v53, 0
	s_and_saveexec_b64 s[14:15], vcc
	s_cbranch_execz .LBB662_333
; %bb.328:                              ;   in Loop: Header=BB662_213 Depth=1
	v_lshrrev_b32_e32 v46, 24, v44
	v_cmp_ne_u32_e32 vcc, s9, v46
	v_bfrev_b32_e32 v53, 1
	s_and_saveexec_b64 s[16:17], vcc
	s_cbranch_execz .LBB662_332
; %bb.329:                              ;   in Loop: Header=BB662_213 Depth=1
	v_bfe_u32 v44, v44, 24, 7
	v_cmp_ne_u32_e32 vcc, s21, v44
	v_mov_b32_e32 v53, 0x7f800001
	s_and_saveexec_b64 s[18:19], vcc
	s_cbranch_execz .LBB662_331
; %bb.330:                              ;   in Loop: Header=BB662_213 Depth=1
	v_and_b32_e32 v53, 7, v46
	v_ffbh_u32_e32 v62, v53
	v_min_u32_e32 v64, 32, v62
	v_subrev_u32_e32 v62, 28, v64
	v_lshlrev_b64 v[62:63], v62, v[46:47]
	v_lshrrev_b32_e32 v61, 3, v44
	v_sub_u32_e32 v63, 29, v64
	v_and_b32_e32 v62, 7, v62
	v_cmp_gt_u32_e32 vcc, 8, v44
	v_cndmask_b32_e32 v44, v61, v63, vcc
	v_cndmask_b32_e32 v53, v53, v62, vcc
	v_lshlrev_b32_e32 v46, 24, v46
	v_lshlrev_b32_e32 v53, 20, v53
	v_and_b32_e32 v46, 0x80000000, v46
	v_lshl_add_u32 v44, v44, 23, v48
	v_or3_b32 v53, v46, v44, v53
.LBB662_331:                            ;   in Loop: Header=BB662_213 Depth=1
	s_or_b64 exec, exec, s[18:19]
.LBB662_332:                            ;   in Loop: Header=BB662_213 Depth=1
	s_or_b64 exec, exec, s[16:17]
.LBB662_333:                            ;   in Loop: Header=BB662_213 Depth=1
	s_or_b64 exec, exec, s[14:15]
	s_waitcnt vmcnt(2)
	v_cmp_ne_u16_sdwa s[16:17], v42, v47 src0_sel:BYTE_0 src1_sel:DWORD
	s_and_saveexec_b64 s[14:15], s[16:17]
	s_cbranch_execz .LBB662_339
; %bb.334:                              ;   in Loop: Header=BB662_213 Depth=1
	v_cmp_ne_u16_sdwa s[18:19], v42, s9 src0_sel:BYTE_0 src1_sel:DWORD
	v_bfrev_b32_e32 v52, 1
	s_and_saveexec_b64 s[16:17], s[18:19]
	s_cbranch_execz .LBB662_338
; %bb.335:                              ;   in Loop: Header=BB662_213 Depth=1
	v_and_b32_e32 v44, 0x7f, v42
	v_cmp_ne_u32_e32 vcc, s21, v44
	v_mov_b32_e32 v52, 0x7f800001
	s_and_saveexec_b64 s[18:19], vcc
	s_cbranch_execz .LBB662_337
; %bb.336:                              ;   in Loop: Header=BB662_213 Depth=1
	v_and_b32_e32 v46, 7, v42
	v_ffbh_u32_e32 v61, v46
	v_min_u32_e32 v61, 32, v61
	v_subrev_u32_e32 v62, 28, v61
	v_lshlrev_b64 v[62:63], v62, v[42:43]
	v_lshrrev_b32_e32 v52, 3, v44
	v_sub_u32_e32 v61, 29, v61
	v_and_b32_e32 v62, 7, v62
	v_cmp_gt_u32_e32 vcc, 8, v44
	v_cndmask_b32_e32 v44, v52, v61, vcc
	v_cndmask_b32_e32 v46, v46, v62, vcc
	v_lshlrev_b32_e32 v52, 24, v42
	v_lshlrev_b32_e32 v46, 20, v46
	v_and_b32_e32 v52, 0x80000000, v52
	v_lshl_add_u32 v44, v44, 23, v48
	v_or3_b32 v52, v52, v44, v46
.LBB662_337:                            ;   in Loop: Header=BB662_213 Depth=1
	s_or_b64 exec, exec, s[18:19]
.LBB662_338:                            ;   in Loop: Header=BB662_213 Depth=1
	s_or_b64 exec, exec, s[16:17]
.LBB662_339:                            ;   in Loop: Header=BB662_213 Depth=1
	s_or_b64 exec, exec, s[14:15]
	v_lshrrev_b16_e32 v44, 8, v42
	v_cmp_ne_u16_e32 vcc, 0, v44
	v_mov_b32_e32 v61, 0
	v_mov_b32_e32 v62, 0
	s_and_saveexec_b64 s[14:15], vcc
	s_cbranch_execz .LBB662_345
; %bb.340:                              ;   in Loop: Header=BB662_213 Depth=1
	v_cmp_ne_u16_e32 vcc, s9, v44
	v_bfrev_b32_e32 v62, 1
	s_and_saveexec_b64 s[16:17], vcc
	s_cbranch_execz .LBB662_344
; %bb.341:                              ;   in Loop: Header=BB662_213 Depth=1
	v_and_b32_e32 v46, 0x7f, v44
	v_cmp_ne_u32_e32 vcc, s21, v46
	v_mov_b32_e32 v62, 0x7f800001
	s_and_saveexec_b64 s[18:19], vcc
	s_cbranch_execz .LBB662_343
; %bb.342:                              ;   in Loop: Header=BB662_213 Depth=1
	v_and_b32_e32 v64, 7, v44
	v_ffbh_u32_e32 v62, v64
	v_min_u32_e32 v66, 32, v62
	v_subrev_u32_e32 v62, 28, v66
	v_lshlrev_b64 v[62:63], v62, v[44:45]
	v_lshrrev_b32_e32 v65, 3, v46
	v_sub_u32_e32 v44, 29, v66
	v_and_b32_e32 v62, 7, v62
	v_cmp_gt_u32_e32 vcc, 8, v46
	v_cndmask_b32_e32 v44, v65, v44, vcc
	v_cndmask_b32_e32 v46, v64, v62, vcc
	v_lshlrev_b32_e32 v62, 16, v42
	v_lshlrev_b32_e32 v46, 20, v46
	v_and_b32_e32 v62, 0x80000000, v62
	v_lshl_add_u32 v44, v44, 23, v48
	v_or3_b32 v62, v62, v44, v46
.LBB662_343:                            ;   in Loop: Header=BB662_213 Depth=1
	s_or_b64 exec, exec, s[18:19]
.LBB662_344:                            ;   in Loop: Header=BB662_213 Depth=1
	s_or_b64 exec, exec, s[16:17]
.LBB662_345:                            ;   in Loop: Header=BB662_213 Depth=1
	s_or_b64 exec, exec, s[14:15]
	v_lshrrev_b32_e32 v44, 16, v42
	v_cmp_ne_u16_sdwa s[16:17], v44, v47 src0_sel:BYTE_0 src1_sel:DWORD
	s_and_saveexec_b64 s[14:15], s[16:17]
	s_cbranch_execz .LBB662_351
; %bb.346:                              ;   in Loop: Header=BB662_213 Depth=1
	v_cmp_ne_u16_sdwa s[18:19], v44, s9 src0_sel:BYTE_0 src1_sel:DWORD
	v_bfrev_b32_e32 v61, 1
	s_and_saveexec_b64 s[16:17], s[18:19]
	s_cbranch_execz .LBB662_350
; %bb.347:                              ;   in Loop: Header=BB662_213 Depth=1
	v_bfe_u32 v46, v42, 16, 7
	v_cmp_ne_u32_e32 vcc, s21, v46
	v_mov_b32_e32 v61, 0x7f800001
	s_and_saveexec_b64 s[18:19], vcc
	s_cbranch_execz .LBB662_349
; %bb.348:                              ;   in Loop: Header=BB662_213 Depth=1
	v_and_b32_e32 v61, 7, v44
	v_ffbh_u32_e32 v64, v61
	v_min_u32_e32 v66, 32, v64
	v_subrev_u32_e32 v64, 28, v66
	v_lshlrev_b64 v[64:65], v64, v[44:45]
	v_lshrrev_b32_e32 v63, 3, v46
	v_sub_u32_e32 v65, 29, v66
	v_and_b32_e32 v64, 7, v64
	v_cmp_gt_u32_e32 vcc, 8, v46
	v_cndmask_b32_e32 v46, v63, v65, vcc
	v_cndmask_b32_e32 v61, v61, v64, vcc
	v_lshlrev_b32_e32 v44, 24, v44
	v_lshlrev_b32_e32 v61, 20, v61
	v_and_b32_e32 v44, 0x80000000, v44
	v_lshl_add_u32 v46, v46, 23, v48
	v_or3_b32 v61, v44, v46, v61
.LBB662_349:                            ;   in Loop: Header=BB662_213 Depth=1
	s_or_b64 exec, exec, s[18:19]
.LBB662_350:                            ;   in Loop: Header=BB662_213 Depth=1
	s_or_b64 exec, exec, s[16:17]
.LBB662_351:                            ;   in Loop: Header=BB662_213 Depth=1
	s_or_b64 exec, exec, s[14:15]
	v_cmp_lt_u32_e32 vcc, s22, v42
	v_mov_b32_e32 v46, 0
	v_mov_b32_e32 v63, 0
	s_and_saveexec_b64 s[14:15], vcc
	s_cbranch_execz .LBB662_357
; %bb.352:                              ;   in Loop: Header=BB662_213 Depth=1
	v_lshrrev_b32_e32 v44, 24, v42
	v_cmp_ne_u32_e32 vcc, s9, v44
	v_bfrev_b32_e32 v63, 1
	s_and_saveexec_b64 s[16:17], vcc
	s_cbranch_execz .LBB662_356
; %bb.353:                              ;   in Loop: Header=BB662_213 Depth=1
	v_bfe_u32 v42, v42, 24, 7
	v_cmp_ne_u32_e32 vcc, s21, v42
	v_mov_b32_e32 v63, 0x7f800001
	s_and_saveexec_b64 s[18:19], vcc
	s_cbranch_execz .LBB662_355
; %bb.354:                              ;   in Loop: Header=BB662_213 Depth=1
	v_and_b32_e32 v63, 7, v44
	v_ffbh_u32_e32 v64, v63
	v_min_u32_e32 v67, 32, v64
	v_subrev_u32_e32 v64, 28, v67
	v_lshlrev_b64 v[64:65], v64, v[44:45]
	v_lshrrev_b32_e32 v66, 3, v42
	v_sub_u32_e32 v65, 29, v67
	v_and_b32_e32 v64, 7, v64
	v_cmp_gt_u32_e32 vcc, 8, v42
	v_cndmask_b32_e32 v42, v66, v65, vcc
	v_cndmask_b32_e32 v63, v63, v64, vcc
	v_lshlrev_b32_e32 v44, 24, v44
	v_lshlrev_b32_e32 v63, 20, v63
	v_and_b32_e32 v44, 0x80000000, v44
	v_lshl_add_u32 v42, v42, 23, v48
	v_or3_b32 v63, v44, v42, v63
.LBB662_355:                            ;   in Loop: Header=BB662_213 Depth=1
	s_or_b64 exec, exec, s[18:19]
.LBB662_356:                            ;   in Loop: Header=BB662_213 Depth=1
	s_or_b64 exec, exec, s[16:17]
.LBB662_357:                            ;   in Loop: Header=BB662_213 Depth=1
	s_or_b64 exec, exec, s[14:15]
	v_cvt_pkrtz_f16_f32 v64, v49, v51
	v_cvt_pkrtz_f16_f32 v65, v50, v53
	;; [unrolled: 1-line block ×4, first 2 shown]
	s_waitcnt vmcnt(1)
	v_cmp_ne_u16_sdwa s[16:17], v40, v47 src0_sel:BYTE_0 src1_sel:DWORD
	v_mfma_f32_16x16x16f16 v[34:37], v[64:65], v[10:11], v[34:37]
	v_mfma_f32_16x16x16f16 v[34:37], v[50:51], v[12:13], v[34:37]
	s_and_saveexec_b64 s[14:15], s[16:17]
	s_cbranch_execz .LBB662_363
; %bb.358:                              ;   in Loop: Header=BB662_213 Depth=1
	v_cmp_ne_u16_sdwa s[18:19], v40, s9 src0_sel:BYTE_0 src1_sel:DWORD
	v_bfrev_b32_e32 v46, 1
	s_and_saveexec_b64 s[16:17], s[18:19]
	s_cbranch_execz .LBB662_362
; %bb.359:                              ;   in Loop: Header=BB662_213 Depth=1
	v_and_b32_e32 v42, 0x7f, v40
	v_cmp_ne_u32_e32 vcc, s21, v42
	v_mov_b32_e32 v46, 0x7f800001
	s_and_saveexec_b64 s[18:19], vcc
	s_cbranch_execz .LBB662_361
; %bb.360:                              ;   in Loop: Header=BB662_213 Depth=1
	v_and_b32_e32 v44, 7, v40
	v_ffbh_u32_e32 v49, v44
	v_min_u32_e32 v49, 32, v49
	v_subrev_u32_e32 v50, 28, v49
	v_lshlrev_b64 v[50:51], v50, v[40:41]
	v_lshrrev_b32_e32 v46, 3, v42
	v_sub_u32_e32 v49, 29, v49
	v_and_b32_e32 v50, 7, v50
	v_cmp_gt_u32_e32 vcc, 8, v42
	v_cndmask_b32_e32 v42, v46, v49, vcc
	v_cndmask_b32_e32 v44, v44, v50, vcc
	v_lshlrev_b32_e32 v46, 24, v40
	v_lshlrev_b32_e32 v44, 20, v44
	v_and_b32_e32 v46, 0x80000000, v46
	v_lshl_add_u32 v42, v42, 23, v48
	v_or3_b32 v46, v46, v42, v44
.LBB662_361:                            ;   in Loop: Header=BB662_213 Depth=1
	s_or_b64 exec, exec, s[18:19]
.LBB662_362:                            ;   in Loop: Header=BB662_213 Depth=1
	s_or_b64 exec, exec, s[16:17]
.LBB662_363:                            ;   in Loop: Header=BB662_213 Depth=1
	s_or_b64 exec, exec, s[14:15]
	v_lshrrev_b16_e32 v42, 8, v40
	v_cmp_ne_u16_e32 vcc, 0, v42
	v_mov_b32_e32 v44, 0
	v_mov_b32_e32 v50, 0
	s_and_saveexec_b64 s[14:15], vcc
	s_cbranch_execz .LBB662_369
; %bb.364:                              ;   in Loop: Header=BB662_213 Depth=1
	v_cmp_ne_u16_e32 vcc, s9, v42
	v_bfrev_b32_e32 v50, 1
	s_and_saveexec_b64 s[16:17], vcc
	s_cbranch_execz .LBB662_368
; %bb.365:                              ;   in Loop: Header=BB662_213 Depth=1
	v_and_b32_e32 v49, 0x7f, v42
	v_cmp_ne_u32_e32 vcc, s21, v49
	v_mov_b32_e32 v50, 0x7f800001
	s_and_saveexec_b64 s[18:19], vcc
	s_cbranch_execz .LBB662_367
; %bb.366:                              ;   in Loop: Header=BB662_213 Depth=1
	v_and_b32_e32 v52, 7, v42
	v_ffbh_u32_e32 v50, v52
	v_min_u32_e32 v61, 32, v50
	v_subrev_u32_e32 v50, 28, v61
	v_lshlrev_b64 v[50:51], v50, v[42:43]
	v_lshrrev_b32_e32 v53, 3, v49
	v_sub_u32_e32 v42, 29, v61
	v_and_b32_e32 v50, 7, v50
	v_cmp_gt_u32_e32 vcc, 8, v49
	v_cndmask_b32_e32 v42, v53, v42, vcc
	v_cndmask_b32_e32 v49, v52, v50, vcc
	v_lshlrev_b32_e32 v50, 16, v40
	v_lshlrev_b32_e32 v49, 20, v49
	v_and_b32_e32 v50, 0x80000000, v50
	v_lshl_add_u32 v42, v42, 23, v48
	v_or3_b32 v50, v50, v42, v49
.LBB662_367:                            ;   in Loop: Header=BB662_213 Depth=1
	s_or_b64 exec, exec, s[18:19]
.LBB662_368:                            ;   in Loop: Header=BB662_213 Depth=1
	s_or_b64 exec, exec, s[16:17]
.LBB662_369:                            ;   in Loop: Header=BB662_213 Depth=1
	s_or_b64 exec, exec, s[14:15]
	v_lshrrev_b32_e32 v42, 16, v40
	v_cmp_ne_u16_sdwa s[16:17], v42, v47 src0_sel:BYTE_0 src1_sel:DWORD
	s_and_saveexec_b64 s[14:15], s[16:17]
	s_cbranch_execz .LBB662_375
; %bb.370:                              ;   in Loop: Header=BB662_213 Depth=1
	v_cmp_ne_u16_sdwa s[18:19], v42, s9 src0_sel:BYTE_0 src1_sel:DWORD
	v_bfrev_b32_e32 v44, 1
	s_and_saveexec_b64 s[16:17], s[18:19]
	s_cbranch_execz .LBB662_374
; %bb.371:                              ;   in Loop: Header=BB662_213 Depth=1
	v_bfe_u32 v49, v40, 16, 7
	v_cmp_ne_u32_e32 vcc, s21, v49
	v_mov_b32_e32 v44, 0x7f800001
	s_and_saveexec_b64 s[18:19], vcc
	s_cbranch_execz .LBB662_373
; %bb.372:                              ;   in Loop: Header=BB662_213 Depth=1
	v_and_b32_e32 v44, 7, v42
	v_ffbh_u32_e32 v52, v44
	v_min_u32_e32 v61, 32, v52
	v_subrev_u32_e32 v52, 28, v61
	v_lshlrev_b64 v[52:53], v52, v[42:43]
	v_lshrrev_b32_e32 v51, 3, v49
	v_sub_u32_e32 v53, 29, v61
	v_and_b32_e32 v52, 7, v52
	v_cmp_gt_u32_e32 vcc, 8, v49
	v_cndmask_b32_e32 v49, v51, v53, vcc
	v_cndmask_b32_e32 v44, v44, v52, vcc
	v_lshlrev_b32_e32 v42, 24, v42
	v_lshlrev_b32_e32 v44, 20, v44
	v_and_b32_e32 v42, 0x80000000, v42
	v_lshl_add_u32 v49, v49, 23, v48
	v_or3_b32 v44, v42, v49, v44
.LBB662_373:                            ;   in Loop: Header=BB662_213 Depth=1
	s_or_b64 exec, exec, s[18:19]
.LBB662_374:                            ;   in Loop: Header=BB662_213 Depth=1
	s_or_b64 exec, exec, s[16:17]
.LBB662_375:                            ;   in Loop: Header=BB662_213 Depth=1
	s_or_b64 exec, exec, s[14:15]
	v_cmp_lt_u32_e32 vcc, s22, v40
	v_mov_b32_e32 v51, 0
	v_mov_b32_e32 v52, 0
	s_and_saveexec_b64 s[14:15], vcc
	s_cbranch_execz .LBB662_381
; %bb.376:                              ;   in Loop: Header=BB662_213 Depth=1
	v_lshrrev_b32_e32 v42, 24, v40
	v_cmp_ne_u32_e32 vcc, s9, v42
	v_bfrev_b32_e32 v52, 1
	s_and_saveexec_b64 s[16:17], vcc
	s_cbranch_execz .LBB662_380
; %bb.377:                              ;   in Loop: Header=BB662_213 Depth=1
	v_bfe_u32 v40, v40, 24, 7
	v_cmp_ne_u32_e32 vcc, s21, v40
	v_mov_b32_e32 v52, 0x7f800001
	s_and_saveexec_b64 s[18:19], vcc
	s_cbranch_execz .LBB662_379
; %bb.378:                              ;   in Loop: Header=BB662_213 Depth=1
	v_and_b32_e32 v49, 7, v42
	v_ffbh_u32_e32 v52, v49
	v_min_u32_e32 v62, 32, v52
	v_subrev_u32_e32 v52, 28, v62
	v_lshlrev_b64 v[52:53], v52, v[42:43]
	v_lshrrev_b32_e32 v61, 3, v40
	v_sub_u32_e32 v53, 29, v62
	v_and_b32_e32 v52, 7, v52
	v_cmp_gt_u32_e32 vcc, 8, v40
	v_cndmask_b32_e32 v40, v61, v53, vcc
	v_cndmask_b32_e32 v49, v49, v52, vcc
	v_lshlrev_b32_e32 v42, 24, v42
	v_lshlrev_b32_e32 v49, 20, v49
	v_and_b32_e32 v42, 0x80000000, v42
	v_lshl_add_u32 v40, v40, 23, v48
	v_or3_b32 v52, v42, v40, v49
.LBB662_379:                            ;   in Loop: Header=BB662_213 Depth=1
	s_or_b64 exec, exec, s[18:19]
.LBB662_380:                            ;   in Loop: Header=BB662_213 Depth=1
	s_or_b64 exec, exec, s[16:17]
.LBB662_381:                            ;   in Loop: Header=BB662_213 Depth=1
	s_or_b64 exec, exec, s[14:15]
	s_waitcnt vmcnt(0)
	v_cmp_ne_u16_sdwa s[16:17], v38, v47 src0_sel:BYTE_0 src1_sel:DWORD
	s_and_saveexec_b64 s[14:15], s[16:17]
	s_cbranch_execz .LBB662_387
; %bb.382:                              ;   in Loop: Header=BB662_213 Depth=1
	v_cmp_ne_u16_sdwa s[18:19], v38, s9 src0_sel:BYTE_0 src1_sel:DWORD
	v_bfrev_b32_e32 v51, 1
	s_and_saveexec_b64 s[16:17], s[18:19]
	s_cbranch_execz .LBB662_386
; %bb.383:                              ;   in Loop: Header=BB662_213 Depth=1
	v_and_b32_e32 v40, 0x7f, v38
	v_cmp_ne_u32_e32 vcc, s21, v40
	v_mov_b32_e32 v51, 0x7f800001
	s_and_saveexec_b64 s[18:19], vcc
	s_cbranch_execz .LBB662_385
; %bb.384:                              ;   in Loop: Header=BB662_213 Depth=1
	v_and_b32_e32 v42, 7, v38
	v_ffbh_u32_e32 v51, v42
	v_min_u32_e32 v51, 32, v51
	v_subrev_u32_e32 v53, 28, v51
	v_lshlrev_b64 v[62:63], v53, v[38:39]
	v_lshrrev_b32_e32 v49, 3, v40
	v_sub_u32_e32 v51, 29, v51
	v_and_b32_e32 v53, 7, v62
	v_cmp_gt_u32_e32 vcc, 8, v40
	v_cndmask_b32_e32 v40, v49, v51, vcc
	v_cndmask_b32_e32 v42, v42, v53, vcc
	v_lshlrev_b32_e32 v49, 24, v38
	v_lshlrev_b32_e32 v42, 20, v42
	v_and_b32_e32 v49, 0x80000000, v49
	v_lshl_add_u32 v40, v40, 23, v48
	v_or3_b32 v51, v49, v40, v42
.LBB662_385:                            ;   in Loop: Header=BB662_213 Depth=1
	s_or_b64 exec, exec, s[18:19]
.LBB662_386:                            ;   in Loop: Header=BB662_213 Depth=1
	s_or_b64 exec, exec, s[16:17]
.LBB662_387:                            ;   in Loop: Header=BB662_213 Depth=1
	s_or_b64 exec, exec, s[14:15]
	v_lshrrev_b16_e32 v40, 8, v38
	v_cmp_ne_u16_e32 vcc, 0, v40
	v_mov_b32_e32 v53, 0
	v_mov_b32_e32 v61, 0
	s_and_saveexec_b64 s[14:15], vcc
	s_cbranch_execz .LBB662_393
; %bb.388:                              ;   in Loop: Header=BB662_213 Depth=1
	v_cmp_ne_u16_e32 vcc, s9, v40
	v_bfrev_b32_e32 v61, 1
	s_and_saveexec_b64 s[16:17], vcc
	s_cbranch_execz .LBB662_392
; %bb.389:                              ;   in Loop: Header=BB662_213 Depth=1
	v_and_b32_e32 v42, 0x7f, v40
	v_cmp_ne_u32_e32 vcc, s21, v42
	v_mov_b32_e32 v61, 0x7f800001
	s_and_saveexec_b64 s[18:19], vcc
	s_cbranch_execz .LBB662_391
; %bb.390:                              ;   in Loop: Header=BB662_213 Depth=1
	v_and_b32_e32 v49, 7, v40
	v_ffbh_u32_e32 v62, v49
	v_min_u32_e32 v64, 32, v62
	v_subrev_u32_e32 v62, 28, v64
	v_lshlrev_b64 v[62:63], v62, v[40:41]
	v_lshrrev_b32_e32 v61, 3, v42
	v_sub_u32_e32 v40, 29, v64
	v_and_b32_e32 v62, 7, v62
	v_cmp_gt_u32_e32 vcc, 8, v42
	v_cndmask_b32_e32 v40, v61, v40, vcc
	v_cndmask_b32_e32 v42, v49, v62, vcc
	v_lshlrev_b32_e32 v49, 16, v38
	v_lshlrev_b32_e32 v42, 20, v42
	v_and_b32_e32 v49, 0x80000000, v49
	v_lshl_add_u32 v40, v40, 23, v48
	v_or3_b32 v61, v49, v40, v42
.LBB662_391:                            ;   in Loop: Header=BB662_213 Depth=1
	s_or_b64 exec, exec, s[18:19]
.LBB662_392:                            ;   in Loop: Header=BB662_213 Depth=1
	s_or_b64 exec, exec, s[16:17]
.LBB662_393:                            ;   in Loop: Header=BB662_213 Depth=1
	s_or_b64 exec, exec, s[14:15]
	v_lshrrev_b32_e32 v40, 16, v38
	v_cmp_ne_u16_sdwa s[16:17], v40, v47 src0_sel:BYTE_0 src1_sel:DWORD
	s_and_saveexec_b64 s[14:15], s[16:17]
	s_cbranch_execz .LBB662_399
; %bb.394:                              ;   in Loop: Header=BB662_213 Depth=1
	v_cmp_ne_u16_sdwa s[18:19], v40, s9 src0_sel:BYTE_0 src1_sel:DWORD
	v_bfrev_b32_e32 v53, 1
	s_and_saveexec_b64 s[16:17], s[18:19]
	s_cbranch_execz .LBB662_398
; %bb.395:                              ;   in Loop: Header=BB662_213 Depth=1
	v_bfe_u32 v42, v38, 16, 7
	v_cmp_ne_u32_e32 vcc, s21, v42
	v_mov_b32_e32 v53, 0x7f800001
	s_and_saveexec_b64 s[18:19], vcc
	s_cbranch_execz .LBB662_397
; %bb.396:                              ;   in Loop: Header=BB662_213 Depth=1
	v_and_b32_e32 v49, 7, v40
	v_ffbh_u32_e32 v62, v49
	v_min_u32_e32 v64, 32, v62
	v_subrev_u32_e32 v62, 28, v64
	v_lshlrev_b64 v[62:63], v62, v[40:41]
	v_lshrrev_b32_e32 v53, 3, v42
	v_sub_u32_e32 v63, 29, v64
	v_and_b32_e32 v62, 7, v62
	v_cmp_gt_u32_e32 vcc, 8, v42
	v_cndmask_b32_e32 v42, v53, v63, vcc
	v_cndmask_b32_e32 v49, v49, v62, vcc
	v_lshlrev_b32_e32 v40, 24, v40
	v_lshlrev_b32_e32 v49, 20, v49
	v_and_b32_e32 v40, 0x80000000, v40
	v_lshl_add_u32 v42, v42, 23, v48
	v_or3_b32 v53, v40, v42, v49
.LBB662_397:                            ;   in Loop: Header=BB662_213 Depth=1
	s_or_b64 exec, exec, s[18:19]
.LBB662_398:                            ;   in Loop: Header=BB662_213 Depth=1
	s_or_b64 exec, exec, s[16:17]
.LBB662_399:                            ;   in Loop: Header=BB662_213 Depth=1
	s_or_b64 exec, exec, s[14:15]
	v_cmp_lt_u32_e32 vcc, s22, v38
	v_mov_b32_e32 v49, 0
	v_mov_b32_e32 v62, 0
	s_and_saveexec_b64 s[14:15], vcc
	s_cbranch_execz .LBB662_405
; %bb.400:                              ;   in Loop: Header=BB662_213 Depth=1
	v_lshrrev_b32_e32 v40, 24, v38
	v_cmp_ne_u32_e32 vcc, s9, v40
	v_bfrev_b32_e32 v62, 1
	s_and_saveexec_b64 s[16:17], vcc
	s_cbranch_execz .LBB662_404
; %bb.401:                              ;   in Loop: Header=BB662_213 Depth=1
	v_bfe_u32 v38, v38, 24, 7
	v_cmp_ne_u32_e32 vcc, s21, v38
	v_mov_b32_e32 v62, 0x7f800001
	s_and_saveexec_b64 s[18:19], vcc
	s_cbranch_execz .LBB662_403
; %bb.402:                              ;   in Loop: Header=BB662_213 Depth=1
	v_and_b32_e32 v42, 7, v40
	v_ffbh_u32_e32 v62, v42
	v_min_u32_e32 v65, 32, v62
	v_subrev_u32_e32 v62, 28, v65
	v_lshlrev_b64 v[62:63], v62, v[40:41]
	v_lshrrev_b32_e32 v64, 3, v38
	v_sub_u32_e32 v63, 29, v65
	v_and_b32_e32 v62, 7, v62
	v_cmp_gt_u32_e32 vcc, 8, v38
	v_cndmask_b32_e32 v38, v64, v63, vcc
	v_cndmask_b32_e32 v42, v42, v62, vcc
	v_lshlrev_b32_e32 v40, 24, v40
	v_lshlrev_b32_e32 v42, 20, v42
	v_and_b32_e32 v40, 0x80000000, v40
	v_lshl_add_u32 v38, v38, 23, v48
	v_or3_b32 v62, v40, v38, v42
.LBB662_403:                            ;   in Loop: Header=BB662_213 Depth=1
	s_or_b64 exec, exec, s[18:19]
.LBB662_404:                            ;   in Loop: Header=BB662_213 Depth=1
	s_or_b64 exec, exec, s[16:17]
.LBB662_405:                            ;   in Loop: Header=BB662_213 Depth=1
	s_or_b64 exec, exec, s[14:15]
	v_cvt_pkrtz_f16_f32 v65, v44, v52
	buffer_load_dword v44, v60, s[0:3], 0 offen
	buffer_load_dword v42, v60, s[0:3], 0 offen offset:4
	buffer_load_dword v40, v60, s[0:3], 0 offen offset:8
	buffer_load_dword v38, v60, s[0:3], 0 offen offset:12
	v_cvt_pkrtz_f16_f32 v64, v46, v50
	v_cvt_pkrtz_f16_f32 v50, v51, v61
	;; [unrolled: 1-line block ×3, first 2 shown]
	v_mfma_f32_16x16x16f16 v[34:37], v[64:65], v[14:15], v[34:37]
	s_waitcnt vmcnt(3)
	v_cmp_ne_u16_sdwa s[16:17], v44, v47 src0_sel:BYTE_0 src1_sel:DWORD
	v_mfma_f32_16x16x16f16 v[34:37], v[50:51], v[16:17], v[34:37]
	s_and_saveexec_b64 s[14:15], s[16:17]
	s_cbranch_execz .LBB662_411
; %bb.406:                              ;   in Loop: Header=BB662_213 Depth=1
	v_cmp_ne_u16_sdwa s[18:19], v44, s9 src0_sel:BYTE_0 src1_sel:DWORD
	v_bfrev_b32_e32 v49, 1
	s_and_saveexec_b64 s[16:17], s[18:19]
	s_cbranch_execz .LBB662_410
; %bb.407:                              ;   in Loop: Header=BB662_213 Depth=1
	v_and_b32_e32 v46, 0x7f, v44
	v_cmp_ne_u32_e32 vcc, s21, v46
	v_mov_b32_e32 v49, 0x7f800001
	s_and_saveexec_b64 s[18:19], vcc
	s_cbranch_execz .LBB662_409
; %bb.408:                              ;   in Loop: Header=BB662_213 Depth=1
	v_and_b32_e32 v49, 7, v44
	v_ffbh_u32_e32 v50, v49
	v_min_u32_e32 v53, 32, v50
	v_subrev_u32_e32 v50, 28, v53
	v_lshlrev_b64 v[50:51], v50, v[44:45]
	v_lshrrev_b32_e32 v52, 3, v46
	v_sub_u32_e32 v51, 29, v53
	v_and_b32_e32 v50, 7, v50
	v_cmp_gt_u32_e32 vcc, 8, v46
	v_cndmask_b32_e32 v46, v52, v51, vcc
	v_cndmask_b32_e32 v49, v49, v50, vcc
	v_lshlrev_b32_e32 v50, 24, v44
	v_lshlrev_b32_e32 v49, 20, v49
	v_and_b32_e32 v50, 0x80000000, v50
	v_lshl_add_u32 v46, v46, 23, v48
	v_or3_b32 v49, v50, v46, v49
.LBB662_409:                            ;   in Loop: Header=BB662_213 Depth=1
	s_or_b64 exec, exec, s[18:19]
.LBB662_410:                            ;   in Loop: Header=BB662_213 Depth=1
	s_or_b64 exec, exec, s[16:17]
.LBB662_411:                            ;   in Loop: Header=BB662_213 Depth=1
	s_or_b64 exec, exec, s[14:15]
	v_lshrrev_b16_e32 v46, 8, v44
	v_cmp_ne_u16_e32 vcc, 0, v46
	v_mov_b32_e32 v50, 0
	v_mov_b32_e32 v51, 0
	s_and_saveexec_b64 s[14:15], vcc
	s_cbranch_execz .LBB662_417
; %bb.412:                              ;   in Loop: Header=BB662_213 Depth=1
	v_cmp_ne_u16_e32 vcc, s9, v46
	v_bfrev_b32_e32 v51, 1
	s_and_saveexec_b64 s[16:17], vcc
	s_cbranch_execz .LBB662_416
; %bb.413:                              ;   in Loop: Header=BB662_213 Depth=1
	v_and_b32_e32 v52, 0x7f, v46
	v_cmp_ne_u32_e32 vcc, s21, v52
	v_mov_b32_e32 v51, 0x7f800001
	s_and_saveexec_b64 s[18:19], vcc
	s_cbranch_execz .LBB662_415
; %bb.414:                              ;   in Loop: Header=BB662_213 Depth=1
	v_and_b32_e32 v51, 7, v46
	v_ffbh_u32_e32 v60, v51
	v_min_u32_e32 v62, 32, v60
	v_subrev_u32_e32 v60, 28, v62
	v_lshlrev_b64 v[60:61], v60, v[46:47]
	v_lshrrev_b32_e32 v53, 3, v52
	v_sub_u32_e32 v46, 29, v62
	v_and_b32_e32 v60, 7, v60
	v_cmp_gt_u32_e32 vcc, 8, v52
	v_cndmask_b32_e32 v46, v53, v46, vcc
	v_cndmask_b32_e32 v51, v51, v60, vcc
	v_lshlrev_b32_e32 v52, 16, v44
	v_lshlrev_b32_e32 v51, 20, v51
	v_and_b32_e32 v52, 0x80000000, v52
	v_lshl_add_u32 v46, v46, 23, v48
	v_or3_b32 v51, v52, v46, v51
.LBB662_415:                            ;   in Loop: Header=BB662_213 Depth=1
	s_or_b64 exec, exec, s[18:19]
.LBB662_416:                            ;   in Loop: Header=BB662_213 Depth=1
	s_or_b64 exec, exec, s[16:17]
.LBB662_417:                            ;   in Loop: Header=BB662_213 Depth=1
	s_or_b64 exec, exec, s[14:15]
	v_lshrrev_b32_e32 v46, 16, v44
	v_cmp_ne_u16_sdwa s[16:17], v46, v47 src0_sel:BYTE_0 src1_sel:DWORD
	s_and_saveexec_b64 s[14:15], s[16:17]
	s_cbranch_execz .LBB662_423
; %bb.418:                              ;   in Loop: Header=BB662_213 Depth=1
	v_cmp_ne_u16_sdwa s[18:19], v46, s9 src0_sel:BYTE_0 src1_sel:DWORD
	v_bfrev_b32_e32 v50, 1
	s_and_saveexec_b64 s[16:17], s[18:19]
	s_cbranch_execz .LBB662_422
; %bb.419:                              ;   in Loop: Header=BB662_213 Depth=1
	v_bfe_u32 v52, v44, 16, 7
	v_cmp_ne_u32_e32 vcc, s21, v52
	v_mov_b32_e32 v50, 0x7f800001
	s_and_saveexec_b64 s[18:19], vcc
	s_cbranch_execz .LBB662_421
; %bb.420:                              ;   in Loop: Header=BB662_213 Depth=1
	v_and_b32_e32 v50, 7, v46
	v_ffbh_u32_e32 v60, v50
	v_min_u32_e32 v62, 32, v60
	v_subrev_u32_e32 v60, 28, v62
	v_lshlrev_b64 v[60:61], v60, v[46:47]
	v_lshrrev_b32_e32 v53, 3, v52
	v_sub_u32_e32 v61, 29, v62
	v_and_b32_e32 v60, 7, v60
	v_cmp_gt_u32_e32 vcc, 8, v52
	v_cndmask_b32_e32 v52, v53, v61, vcc
	v_cndmask_b32_e32 v50, v50, v60, vcc
	v_lshlrev_b32_e32 v46, 24, v46
	v_lshlrev_b32_e32 v50, 20, v50
	v_and_b32_e32 v46, 0x80000000, v46
	v_lshl_add_u32 v52, v52, 23, v48
	v_or3_b32 v50, v46, v52, v50
.LBB662_421:                            ;   in Loop: Header=BB662_213 Depth=1
	s_or_b64 exec, exec, s[18:19]
.LBB662_422:                            ;   in Loop: Header=BB662_213 Depth=1
	s_or_b64 exec, exec, s[16:17]
.LBB662_423:                            ;   in Loop: Header=BB662_213 Depth=1
	s_or_b64 exec, exec, s[14:15]
	v_cmp_lt_u32_e32 vcc, s22, v44
	v_mov_b32_e32 v52, 0
	v_mov_b32_e32 v53, 0
	s_and_saveexec_b64 s[14:15], vcc
	s_cbranch_execz .LBB662_429
; %bb.424:                              ;   in Loop: Header=BB662_213 Depth=1
	v_lshrrev_b32_e32 v46, 24, v44
	v_cmp_ne_u32_e32 vcc, s9, v46
	v_bfrev_b32_e32 v53, 1
	s_and_saveexec_b64 s[16:17], vcc
	s_cbranch_execz .LBB662_428
; %bb.425:                              ;   in Loop: Header=BB662_213 Depth=1
	v_bfe_u32 v44, v44, 24, 7
	v_cmp_ne_u32_e32 vcc, s21, v44
	v_mov_b32_e32 v53, 0x7f800001
	s_and_saveexec_b64 s[18:19], vcc
	s_cbranch_execz .LBB662_427
; %bb.426:                              ;   in Loop: Header=BB662_213 Depth=1
	v_and_b32_e32 v53, 7, v46
	v_ffbh_u32_e32 v60, v53
	v_min_u32_e32 v63, 32, v60
	v_subrev_u32_e32 v60, 28, v63
	v_lshlrev_b64 v[60:61], v60, v[46:47]
	v_lshrrev_b32_e32 v62, 3, v44
	v_sub_u32_e32 v61, 29, v63
	v_and_b32_e32 v60, 7, v60
	v_cmp_gt_u32_e32 vcc, 8, v44
	v_cndmask_b32_e32 v44, v62, v61, vcc
	v_cndmask_b32_e32 v53, v53, v60, vcc
	v_lshlrev_b32_e32 v46, 24, v46
	v_lshlrev_b32_e32 v53, 20, v53
	v_and_b32_e32 v46, 0x80000000, v46
	v_lshl_add_u32 v44, v44, 23, v48
	v_or3_b32 v53, v46, v44, v53
.LBB662_427:                            ;   in Loop: Header=BB662_213 Depth=1
	s_or_b64 exec, exec, s[18:19]
.LBB662_428:                            ;   in Loop: Header=BB662_213 Depth=1
	s_or_b64 exec, exec, s[16:17]
.LBB662_429:                            ;   in Loop: Header=BB662_213 Depth=1
	s_or_b64 exec, exec, s[14:15]
	s_waitcnt vmcnt(2)
	v_cmp_ne_u16_sdwa s[16:17], v42, v47 src0_sel:BYTE_0 src1_sel:DWORD
	s_and_saveexec_b64 s[14:15], s[16:17]
	s_cbranch_execz .LBB662_435
; %bb.430:                              ;   in Loop: Header=BB662_213 Depth=1
	v_cmp_ne_u16_sdwa s[18:19], v42, s9 src0_sel:BYTE_0 src1_sel:DWORD
	v_bfrev_b32_e32 v52, 1
	s_and_saveexec_b64 s[16:17], s[18:19]
	s_cbranch_execz .LBB662_434
; %bb.431:                              ;   in Loop: Header=BB662_213 Depth=1
	v_and_b32_e32 v44, 0x7f, v42
	v_cmp_ne_u32_e32 vcc, s21, v44
	v_mov_b32_e32 v52, 0x7f800001
	s_and_saveexec_b64 s[18:19], vcc
	s_cbranch_execz .LBB662_433
; %bb.432:                              ;   in Loop: Header=BB662_213 Depth=1
	v_and_b32_e32 v46, 7, v42
	v_ffbh_u32_e32 v60, v46
	v_min_u32_e32 v62, 32, v60
	v_subrev_u32_e32 v60, 28, v62
	v_lshlrev_b64 v[60:61], v60, v[42:43]
	v_lshrrev_b32_e32 v52, 3, v44
	v_sub_u32_e32 v61, 29, v62
	v_and_b32_e32 v60, 7, v60
	v_cmp_gt_u32_e32 vcc, 8, v44
	v_cndmask_b32_e32 v44, v52, v61, vcc
	v_cndmask_b32_e32 v46, v46, v60, vcc
	v_lshlrev_b32_e32 v52, 24, v42
	v_lshlrev_b32_e32 v46, 20, v46
	v_and_b32_e32 v52, 0x80000000, v52
	v_lshl_add_u32 v44, v44, 23, v48
	v_or3_b32 v52, v52, v44, v46
.LBB662_433:                            ;   in Loop: Header=BB662_213 Depth=1
	s_or_b64 exec, exec, s[18:19]
.LBB662_434:                            ;   in Loop: Header=BB662_213 Depth=1
	s_or_b64 exec, exec, s[16:17]
.LBB662_435:                            ;   in Loop: Header=BB662_213 Depth=1
	s_or_b64 exec, exec, s[14:15]
	v_lshrrev_b16_e32 v44, 8, v42
	v_cmp_ne_u16_e32 vcc, 0, v44
	v_mov_b32_e32 v60, 0
	v_mov_b32_e32 v61, 0
	s_and_saveexec_b64 s[14:15], vcc
	s_cbranch_execz .LBB662_441
; %bb.436:                              ;   in Loop: Header=BB662_213 Depth=1
	v_cmp_ne_u16_e32 vcc, s9, v44
	v_bfrev_b32_e32 v61, 1
	s_and_saveexec_b64 s[16:17], vcc
	s_cbranch_execz .LBB662_440
; %bb.437:                              ;   in Loop: Header=BB662_213 Depth=1
	v_and_b32_e32 v46, 0x7f, v44
	v_cmp_ne_u32_e32 vcc, s21, v46
	v_mov_b32_e32 v61, 0x7f800001
	s_and_saveexec_b64 s[18:19], vcc
	s_cbranch_execz .LBB662_439
; %bb.438:                              ;   in Loop: Header=BB662_213 Depth=1
	v_and_b32_e32 v61, 7, v44
	v_ffbh_u32_e32 v62, v61
	v_min_u32_e32 v65, 32, v62
	v_subrev_u32_e32 v62, 28, v65
	v_lshlrev_b64 v[62:63], v62, v[44:45]
	v_lshrrev_b32_e32 v64, 3, v46
	v_sub_u32_e32 v44, 29, v65
	v_and_b32_e32 v62, 7, v62
	v_cmp_gt_u32_e32 vcc, 8, v46
	v_cndmask_b32_e32 v44, v64, v44, vcc
	v_cndmask_b32_e32 v46, v61, v62, vcc
	v_lshlrev_b32_e32 v61, 16, v42
	v_lshlrev_b32_e32 v46, 20, v46
	v_and_b32_e32 v61, 0x80000000, v61
	v_lshl_add_u32 v44, v44, 23, v48
	v_or3_b32 v61, v61, v44, v46
.LBB662_439:                            ;   in Loop: Header=BB662_213 Depth=1
	s_or_b64 exec, exec, s[18:19]
.LBB662_440:                            ;   in Loop: Header=BB662_213 Depth=1
	s_or_b64 exec, exec, s[16:17]
.LBB662_441:                            ;   in Loop: Header=BB662_213 Depth=1
	s_or_b64 exec, exec, s[14:15]
	v_lshrrev_b32_e32 v44, 16, v42
	v_cmp_ne_u16_sdwa s[16:17], v44, v47 src0_sel:BYTE_0 src1_sel:DWORD
	s_and_saveexec_b64 s[14:15], s[16:17]
	s_cbranch_execz .LBB662_447
; %bb.442:                              ;   in Loop: Header=BB662_213 Depth=1
	v_cmp_ne_u16_sdwa s[18:19], v44, s9 src0_sel:BYTE_0 src1_sel:DWORD
	v_bfrev_b32_e32 v60, 1
	s_and_saveexec_b64 s[16:17], s[18:19]
	s_cbranch_execz .LBB662_446
; %bb.443:                              ;   in Loop: Header=BB662_213 Depth=1
	v_bfe_u32 v46, v42, 16, 7
	v_cmp_ne_u32_e32 vcc, s21, v46
	v_mov_b32_e32 v60, 0x7f800001
	s_and_saveexec_b64 s[18:19], vcc
	s_cbranch_execz .LBB662_445
; %bb.444:                              ;   in Loop: Header=BB662_213 Depth=1
	v_and_b32_e32 v60, 7, v44
	v_ffbh_u32_e32 v62, v60
	v_min_u32_e32 v65, 32, v62
	v_subrev_u32_e32 v62, 28, v65
	v_lshlrev_b64 v[62:63], v62, v[44:45]
	v_lshrrev_b32_e32 v64, 3, v46
	v_sub_u32_e32 v63, 29, v65
	v_and_b32_e32 v62, 7, v62
	v_cmp_gt_u32_e32 vcc, 8, v46
	v_cndmask_b32_e32 v46, v64, v63, vcc
	v_cndmask_b32_e32 v60, v60, v62, vcc
	v_lshlrev_b32_e32 v44, 24, v44
	v_lshlrev_b32_e32 v60, 20, v60
	v_and_b32_e32 v44, 0x80000000, v44
	v_lshl_add_u32 v46, v46, 23, v48
	v_or3_b32 v60, v44, v46, v60
.LBB662_445:                            ;   in Loop: Header=BB662_213 Depth=1
	s_or_b64 exec, exec, s[18:19]
.LBB662_446:                            ;   in Loop: Header=BB662_213 Depth=1
	s_or_b64 exec, exec, s[16:17]
.LBB662_447:                            ;   in Loop: Header=BB662_213 Depth=1
	s_or_b64 exec, exec, s[14:15]
	v_cmp_lt_u32_e32 vcc, s22, v42
	v_mov_b32_e32 v46, 0
	v_mov_b32_e32 v62, 0
	s_and_saveexec_b64 s[14:15], vcc
	s_cbranch_execz .LBB662_453
; %bb.448:                              ;   in Loop: Header=BB662_213 Depth=1
	v_lshrrev_b32_e32 v44, 24, v42
	v_cmp_ne_u32_e32 vcc, s9, v44
	v_bfrev_b32_e32 v62, 1
	s_and_saveexec_b64 s[16:17], vcc
	s_cbranch_execz .LBB662_452
; %bb.449:                              ;   in Loop: Header=BB662_213 Depth=1
	v_bfe_u32 v42, v42, 24, 7
	v_cmp_ne_u32_e32 vcc, s21, v42
	v_mov_b32_e32 v62, 0x7f800001
	s_and_saveexec_b64 s[18:19], vcc
	s_cbranch_execz .LBB662_451
; %bb.450:                              ;   in Loop: Header=BB662_213 Depth=1
	v_and_b32_e32 v64, 7, v44
	v_ffbh_u32_e32 v62, v64
	v_min_u32_e32 v66, 32, v62
	v_subrev_u32_e32 v62, 28, v66
	v_lshlrev_b64 v[62:63], v62, v[44:45]
	v_lshrrev_b32_e32 v65, 3, v42
	v_sub_u32_e32 v63, 29, v66
	v_and_b32_e32 v62, 7, v62
	v_cmp_gt_u32_e32 vcc, 8, v42
	v_cndmask_b32_e32 v42, v65, v63, vcc
	v_cndmask_b32_e32 v62, v64, v62, vcc
	v_lshlrev_b32_e32 v44, 24, v44
	v_lshlrev_b32_e32 v62, 20, v62
	v_and_b32_e32 v44, 0x80000000, v44
	v_lshl_add_u32 v42, v42, 23, v48
	v_or3_b32 v62, v44, v42, v62
.LBB662_451:                            ;   in Loop: Header=BB662_213 Depth=1
	s_or_b64 exec, exec, s[18:19]
.LBB662_452:                            ;   in Loop: Header=BB662_213 Depth=1
	s_or_b64 exec, exec, s[16:17]
.LBB662_453:                            ;   in Loop: Header=BB662_213 Depth=1
	s_or_b64 exec, exec, s[14:15]
	v_cvt_pkrtz_f16_f32 v64, v49, v51
	v_cvt_pkrtz_f16_f32 v65, v50, v53
	;; [unrolled: 1-line block ×4, first 2 shown]
	s_waitcnt vmcnt(1)
	v_cmp_ne_u16_sdwa s[16:17], v40, v47 src0_sel:BYTE_0 src1_sel:DWORD
	v_mfma_f32_16x16x16f16 v[34:37], v[64:65], v[18:19], v[34:37]
	v_mfma_f32_16x16x16f16 v[34:37], v[50:51], v[20:21], v[34:37]
	s_and_saveexec_b64 s[14:15], s[16:17]
	s_cbranch_execz .LBB662_459
; %bb.454:                              ;   in Loop: Header=BB662_213 Depth=1
	v_cmp_ne_u16_sdwa s[18:19], v40, s9 src0_sel:BYTE_0 src1_sel:DWORD
	v_bfrev_b32_e32 v46, 1
	s_and_saveexec_b64 s[16:17], s[18:19]
	s_cbranch_execz .LBB662_458
; %bb.455:                              ;   in Loop: Header=BB662_213 Depth=1
	v_and_b32_e32 v42, 0x7f, v40
	v_cmp_ne_u32_e32 vcc, s21, v42
	v_mov_b32_e32 v46, 0x7f800001
	s_and_saveexec_b64 s[18:19], vcc
	s_cbranch_execz .LBB662_457
; %bb.456:                              ;   in Loop: Header=BB662_213 Depth=1
	v_and_b32_e32 v44, 7, v40
	v_ffbh_u32_e32 v49, v44
	v_min_u32_e32 v49, 32, v49
	v_subrev_u32_e32 v50, 28, v49
	v_lshlrev_b64 v[50:51], v50, v[40:41]
	v_lshrrev_b32_e32 v46, 3, v42
	v_sub_u32_e32 v49, 29, v49
	v_and_b32_e32 v50, 7, v50
	v_cmp_gt_u32_e32 vcc, 8, v42
	v_cndmask_b32_e32 v42, v46, v49, vcc
	v_cndmask_b32_e32 v44, v44, v50, vcc
	v_lshlrev_b32_e32 v46, 24, v40
	v_lshlrev_b32_e32 v44, 20, v44
	v_and_b32_e32 v46, 0x80000000, v46
	v_lshl_add_u32 v42, v42, 23, v48
	v_or3_b32 v46, v46, v42, v44
.LBB662_457:                            ;   in Loop: Header=BB662_213 Depth=1
	s_or_b64 exec, exec, s[18:19]
.LBB662_458:                            ;   in Loop: Header=BB662_213 Depth=1
	s_or_b64 exec, exec, s[16:17]
.LBB662_459:                            ;   in Loop: Header=BB662_213 Depth=1
	s_or_b64 exec, exec, s[14:15]
	v_lshrrev_b16_e32 v42, 8, v40
	v_cmp_ne_u16_e32 vcc, 0, v42
	v_mov_b32_e32 v44, 0
	v_mov_b32_e32 v50, 0
	s_and_saveexec_b64 s[14:15], vcc
	s_cbranch_execz .LBB662_465
; %bb.460:                              ;   in Loop: Header=BB662_213 Depth=1
	v_cmp_ne_u16_e32 vcc, s9, v42
	v_bfrev_b32_e32 v50, 1
	s_and_saveexec_b64 s[16:17], vcc
	s_cbranch_execz .LBB662_464
; %bb.461:                              ;   in Loop: Header=BB662_213 Depth=1
	v_and_b32_e32 v49, 0x7f, v42
	v_cmp_ne_u32_e32 vcc, s21, v49
	v_mov_b32_e32 v50, 0x7f800001
	s_and_saveexec_b64 s[18:19], vcc
	s_cbranch_execz .LBB662_463
; %bb.462:                              ;   in Loop: Header=BB662_213 Depth=1
	v_and_b32_e32 v52, 7, v42
	v_ffbh_u32_e32 v50, v52
	v_min_u32_e32 v60, 32, v50
	v_subrev_u32_e32 v50, 28, v60
	v_lshlrev_b64 v[50:51], v50, v[42:43]
	v_lshrrev_b32_e32 v53, 3, v49
	v_sub_u32_e32 v42, 29, v60
	v_and_b32_e32 v50, 7, v50
	v_cmp_gt_u32_e32 vcc, 8, v49
	v_cndmask_b32_e32 v42, v53, v42, vcc
	v_cndmask_b32_e32 v49, v52, v50, vcc
	v_lshlrev_b32_e32 v50, 16, v40
	v_lshlrev_b32_e32 v49, 20, v49
	v_and_b32_e32 v50, 0x80000000, v50
	v_lshl_add_u32 v42, v42, 23, v48
	v_or3_b32 v50, v50, v42, v49
.LBB662_463:                            ;   in Loop: Header=BB662_213 Depth=1
	s_or_b64 exec, exec, s[18:19]
.LBB662_464:                            ;   in Loop: Header=BB662_213 Depth=1
	s_or_b64 exec, exec, s[16:17]
.LBB662_465:                            ;   in Loop: Header=BB662_213 Depth=1
	s_or_b64 exec, exec, s[14:15]
	v_lshrrev_b32_e32 v42, 16, v40
	v_cmp_ne_u16_sdwa s[16:17], v42, v47 src0_sel:BYTE_0 src1_sel:DWORD
	s_and_saveexec_b64 s[14:15], s[16:17]
	s_cbranch_execz .LBB662_471
; %bb.466:                              ;   in Loop: Header=BB662_213 Depth=1
	v_cmp_ne_u16_sdwa s[18:19], v42, s9 src0_sel:BYTE_0 src1_sel:DWORD
	v_bfrev_b32_e32 v44, 1
	s_and_saveexec_b64 s[16:17], s[18:19]
	s_cbranch_execz .LBB662_470
; %bb.467:                              ;   in Loop: Header=BB662_213 Depth=1
	v_bfe_u32 v49, v40, 16, 7
	v_cmp_ne_u32_e32 vcc, s21, v49
	v_mov_b32_e32 v44, 0x7f800001
	s_and_saveexec_b64 s[18:19], vcc
	s_cbranch_execz .LBB662_469
; %bb.468:                              ;   in Loop: Header=BB662_213 Depth=1
	v_and_b32_e32 v44, 7, v42
	v_ffbh_u32_e32 v52, v44
	v_min_u32_e32 v60, 32, v52
	v_subrev_u32_e32 v52, 28, v60
	v_lshlrev_b64 v[52:53], v52, v[42:43]
	v_lshrrev_b32_e32 v51, 3, v49
	v_sub_u32_e32 v53, 29, v60
	v_and_b32_e32 v52, 7, v52
	v_cmp_gt_u32_e32 vcc, 8, v49
	v_cndmask_b32_e32 v49, v51, v53, vcc
	v_cndmask_b32_e32 v44, v44, v52, vcc
	v_lshlrev_b32_e32 v42, 24, v42
	v_lshlrev_b32_e32 v44, 20, v44
	v_and_b32_e32 v42, 0x80000000, v42
	v_lshl_add_u32 v49, v49, 23, v48
	v_or3_b32 v44, v42, v49, v44
.LBB662_469:                            ;   in Loop: Header=BB662_213 Depth=1
	s_or_b64 exec, exec, s[18:19]
.LBB662_470:                            ;   in Loop: Header=BB662_213 Depth=1
	s_or_b64 exec, exec, s[16:17]
.LBB662_471:                            ;   in Loop: Header=BB662_213 Depth=1
	s_or_b64 exec, exec, s[14:15]
	v_cmp_lt_u32_e32 vcc, s22, v40
	v_mov_b32_e32 v51, 0
	v_mov_b32_e32 v52, 0
	s_and_saveexec_b64 s[14:15], vcc
	s_cbranch_execz .LBB662_477
; %bb.472:                              ;   in Loop: Header=BB662_213 Depth=1
	v_lshrrev_b32_e32 v42, 24, v40
	v_cmp_ne_u32_e32 vcc, s9, v42
	v_bfrev_b32_e32 v52, 1
	s_and_saveexec_b64 s[16:17], vcc
	s_cbranch_execz .LBB662_476
; %bb.473:                              ;   in Loop: Header=BB662_213 Depth=1
	v_bfe_u32 v40, v40, 24, 7
	v_cmp_ne_u32_e32 vcc, s21, v40
	v_mov_b32_e32 v52, 0x7f800001
	s_and_saveexec_b64 s[18:19], vcc
	s_cbranch_execz .LBB662_475
; %bb.474:                              ;   in Loop: Header=BB662_213 Depth=1
	v_and_b32_e32 v49, 7, v42
	v_ffbh_u32_e32 v52, v49
	v_min_u32_e32 v61, 32, v52
	v_subrev_u32_e32 v52, 28, v61
	v_lshlrev_b64 v[52:53], v52, v[42:43]
	v_lshrrev_b32_e32 v60, 3, v40
	v_sub_u32_e32 v53, 29, v61
	v_and_b32_e32 v52, 7, v52
	v_cmp_gt_u32_e32 vcc, 8, v40
	v_cndmask_b32_e32 v40, v60, v53, vcc
	v_cndmask_b32_e32 v49, v49, v52, vcc
	v_lshlrev_b32_e32 v42, 24, v42
	v_lshlrev_b32_e32 v49, 20, v49
	v_and_b32_e32 v42, 0x80000000, v42
	v_lshl_add_u32 v40, v40, 23, v48
	v_or3_b32 v52, v42, v40, v49
.LBB662_475:                            ;   in Loop: Header=BB662_213 Depth=1
	s_or_b64 exec, exec, s[18:19]
.LBB662_476:                            ;   in Loop: Header=BB662_213 Depth=1
	s_or_b64 exec, exec, s[16:17]
.LBB662_477:                            ;   in Loop: Header=BB662_213 Depth=1
	s_or_b64 exec, exec, s[14:15]
	s_waitcnt vmcnt(0)
	v_cmp_ne_u16_sdwa s[16:17], v38, v47 src0_sel:BYTE_0 src1_sel:DWORD
	s_and_saveexec_b64 s[14:15], s[16:17]
	s_cbranch_execz .LBB662_483
; %bb.478:                              ;   in Loop: Header=BB662_213 Depth=1
	v_cmp_ne_u16_sdwa s[18:19], v38, s9 src0_sel:BYTE_0 src1_sel:DWORD
	v_bfrev_b32_e32 v51, 1
	s_and_saveexec_b64 s[16:17], s[18:19]
	s_cbranch_execz .LBB662_482
; %bb.479:                              ;   in Loop: Header=BB662_213 Depth=1
	v_and_b32_e32 v40, 0x7f, v38
	v_cmp_ne_u32_e32 vcc, s21, v40
	v_mov_b32_e32 v51, 0x7f800001
	s_and_saveexec_b64 s[18:19], vcc
	s_cbranch_execz .LBB662_481
; %bb.480:                              ;   in Loop: Header=BB662_213 Depth=1
	v_and_b32_e32 v42, 7, v38
	v_ffbh_u32_e32 v51, v42
	v_min_u32_e32 v51, 32, v51
	v_subrev_u32_e32 v53, 28, v51
	v_lshlrev_b64 v[60:61], v53, v[38:39]
	v_lshrrev_b32_e32 v49, 3, v40
	v_sub_u32_e32 v51, 29, v51
	v_and_b32_e32 v53, 7, v60
	v_cmp_gt_u32_e32 vcc, 8, v40
	v_cndmask_b32_e32 v40, v49, v51, vcc
	v_cndmask_b32_e32 v42, v42, v53, vcc
	v_lshlrev_b32_e32 v49, 24, v38
	v_lshlrev_b32_e32 v42, 20, v42
	v_and_b32_e32 v49, 0x80000000, v49
	v_lshl_add_u32 v40, v40, 23, v48
	v_or3_b32 v51, v49, v40, v42
.LBB662_481:                            ;   in Loop: Header=BB662_213 Depth=1
	s_or_b64 exec, exec, s[18:19]
.LBB662_482:                            ;   in Loop: Header=BB662_213 Depth=1
	s_or_b64 exec, exec, s[16:17]
.LBB662_483:                            ;   in Loop: Header=BB662_213 Depth=1
	s_or_b64 exec, exec, s[14:15]
	v_lshrrev_b16_e32 v40, 8, v38
	v_cmp_ne_u16_e32 vcc, 0, v40
	v_mov_b32_e32 v53, 0
	v_mov_b32_e32 v60, 0
	s_and_saveexec_b64 s[14:15], vcc
	s_cbranch_execz .LBB662_489
; %bb.484:                              ;   in Loop: Header=BB662_213 Depth=1
	v_cmp_ne_u16_e32 vcc, s9, v40
	v_bfrev_b32_e32 v60, 1
	s_and_saveexec_b64 s[16:17], vcc
	s_cbranch_execz .LBB662_488
; %bb.485:                              ;   in Loop: Header=BB662_213 Depth=1
	v_and_b32_e32 v42, 0x7f, v40
	v_cmp_ne_u32_e32 vcc, s21, v42
	v_mov_b32_e32 v60, 0x7f800001
	s_and_saveexec_b64 s[18:19], vcc
	s_cbranch_execz .LBB662_487
; %bb.486:                              ;   in Loop: Header=BB662_213 Depth=1
	v_and_b32_e32 v49, 7, v40
	v_ffbh_u32_e32 v60, v49
	v_min_u32_e32 v63, 32, v60
	v_subrev_u32_e32 v60, 28, v63
	v_lshlrev_b64 v[60:61], v60, v[40:41]
	v_lshrrev_b32_e32 v62, 3, v42
	v_sub_u32_e32 v40, 29, v63
	v_and_b32_e32 v60, 7, v60
	v_cmp_gt_u32_e32 vcc, 8, v42
	v_cndmask_b32_e32 v40, v62, v40, vcc
	v_cndmask_b32_e32 v42, v49, v60, vcc
	v_lshlrev_b32_e32 v49, 16, v38
	v_lshlrev_b32_e32 v42, 20, v42
	v_and_b32_e32 v49, 0x80000000, v49
	v_lshl_add_u32 v40, v40, 23, v48
	v_or3_b32 v60, v49, v40, v42
.LBB662_487:                            ;   in Loop: Header=BB662_213 Depth=1
	s_or_b64 exec, exec, s[18:19]
.LBB662_488:                            ;   in Loop: Header=BB662_213 Depth=1
	s_or_b64 exec, exec, s[16:17]
.LBB662_489:                            ;   in Loop: Header=BB662_213 Depth=1
	s_or_b64 exec, exec, s[14:15]
	v_lshrrev_b32_e32 v40, 16, v38
	v_cmp_ne_u16_sdwa s[16:17], v40, v47 src0_sel:BYTE_0 src1_sel:DWORD
	s_and_saveexec_b64 s[14:15], s[16:17]
	s_cbranch_execz .LBB662_495
; %bb.490:                              ;   in Loop: Header=BB662_213 Depth=1
	v_cmp_ne_u16_sdwa s[18:19], v40, s9 src0_sel:BYTE_0 src1_sel:DWORD
	v_bfrev_b32_e32 v53, 1
	s_and_saveexec_b64 s[16:17], s[18:19]
	s_cbranch_execz .LBB662_494
; %bb.491:                              ;   in Loop: Header=BB662_213 Depth=1
	v_bfe_u32 v42, v38, 16, 7
	v_cmp_ne_u32_e32 vcc, s21, v42
	v_mov_b32_e32 v53, 0x7f800001
	s_and_saveexec_b64 s[18:19], vcc
	s_cbranch_execz .LBB662_493
; %bb.492:                              ;   in Loop: Header=BB662_213 Depth=1
	v_and_b32_e32 v49, 7, v40
	v_ffbh_u32_e32 v61, v49
	v_min_u32_e32 v61, 32, v61
	v_subrev_u32_e32 v62, 28, v61
	v_lshlrev_b64 v[62:63], v62, v[40:41]
	v_lshrrev_b32_e32 v53, 3, v42
	v_sub_u32_e32 v61, 29, v61
	v_and_b32_e32 v62, 7, v62
	v_cmp_gt_u32_e32 vcc, 8, v42
	v_cndmask_b32_e32 v42, v53, v61, vcc
	v_cndmask_b32_e32 v49, v49, v62, vcc
	v_lshlrev_b32_e32 v40, 24, v40
	v_lshlrev_b32_e32 v49, 20, v49
	v_and_b32_e32 v40, 0x80000000, v40
	v_lshl_add_u32 v42, v42, 23, v48
	v_or3_b32 v53, v40, v42, v49
.LBB662_493:                            ;   in Loop: Header=BB662_213 Depth=1
	s_or_b64 exec, exec, s[18:19]
.LBB662_494:                            ;   in Loop: Header=BB662_213 Depth=1
	s_or_b64 exec, exec, s[16:17]
.LBB662_495:                            ;   in Loop: Header=BB662_213 Depth=1
	s_or_b64 exec, exec, s[14:15]
	v_cmp_lt_u32_e32 vcc, s22, v38
	v_mov_b32_e32 v49, 0
	v_mov_b32_e32 v61, 0
	s_and_saveexec_b64 s[14:15], vcc
	s_cbranch_execz .LBB662_501
; %bb.496:                              ;   in Loop: Header=BB662_213 Depth=1
	v_lshrrev_b32_e32 v40, 24, v38
	v_cmp_ne_u32_e32 vcc, s9, v40
	v_bfrev_b32_e32 v61, 1
	s_and_saveexec_b64 s[16:17], vcc
	s_cbranch_execz .LBB662_500
; %bb.497:                              ;   in Loop: Header=BB662_213 Depth=1
	v_bfe_u32 v38, v38, 24, 7
	v_cmp_ne_u32_e32 vcc, s21, v38
	v_mov_b32_e32 v61, 0x7f800001
	s_and_saveexec_b64 s[18:19], vcc
	s_cbranch_execz .LBB662_499
; %bb.498:                              ;   in Loop: Header=BB662_213 Depth=1
	v_and_b32_e32 v42, 7, v40
	v_ffbh_u32_e32 v62, v42
	v_min_u32_e32 v64, 32, v62
	v_subrev_u32_e32 v62, 28, v64
	v_lshlrev_b64 v[62:63], v62, v[40:41]
	v_lshrrev_b32_e32 v61, 3, v38
	v_sub_u32_e32 v63, 29, v64
	v_and_b32_e32 v62, 7, v62
	v_cmp_gt_u32_e32 vcc, 8, v38
	v_cndmask_b32_e32 v38, v61, v63, vcc
	v_cndmask_b32_e32 v42, v42, v62, vcc
	v_lshlrev_b32_e32 v40, 24, v40
	v_lshlrev_b32_e32 v42, 20, v42
	v_and_b32_e32 v40, 0x80000000, v40
	v_lshl_add_u32 v38, v38, 23, v48
	v_or3_b32 v61, v40, v38, v42
.LBB662_499:                            ;   in Loop: Header=BB662_213 Depth=1
	s_or_b64 exec, exec, s[18:19]
.LBB662_500:                            ;   in Loop: Header=BB662_213 Depth=1
	s_or_b64 exec, exec, s[16:17]
.LBB662_501:                            ;   in Loop: Header=BB662_213 Depth=1
	s_or_b64 exec, exec, s[14:15]
	v_cvt_pkrtz_f16_f32 v63, v44, v52
	buffer_load_dword v44, v41, s[0:3], 0 offen
	buffer_load_dword v42, v41, s[0:3], 0 offen offset:4
	buffer_load_dword v40, v41, s[0:3], 0 offen offset:8
	;; [unrolled: 1-line block ×3, first 2 shown]
	v_cvt_pkrtz_f16_f32 v62, v46, v50
	v_cvt_pkrtz_f16_f32 v50, v51, v60
	;; [unrolled: 1-line block ×3, first 2 shown]
	v_mfma_f32_16x16x16f16 v[34:37], v[62:63], v[22:23], v[34:37]
	s_waitcnt vmcnt(3)
	v_cmp_ne_u16_sdwa s[16:17], v44, v47 src0_sel:BYTE_0 src1_sel:DWORD
	v_mfma_f32_16x16x16f16 v[34:37], v[50:51], v[24:25], v[34:37]
	s_and_saveexec_b64 s[14:15], s[16:17]
	s_cbranch_execz .LBB662_507
; %bb.502:                              ;   in Loop: Header=BB662_213 Depth=1
	v_cmp_ne_u16_sdwa s[18:19], v44, s9 src0_sel:BYTE_0 src1_sel:DWORD
	v_bfrev_b32_e32 v49, 1
	s_and_saveexec_b64 s[16:17], s[18:19]
	s_cbranch_execz .LBB662_506
; %bb.503:                              ;   in Loop: Header=BB662_213 Depth=1
	v_and_b32_e32 v41, 0x7f, v44
	v_cmp_ne_u32_e32 vcc, s21, v41
	v_mov_b32_e32 v49, 0x7f800001
	s_and_saveexec_b64 s[18:19], vcc
	s_cbranch_execz .LBB662_505
; %bb.504:                              ;   in Loop: Header=BB662_213 Depth=1
	v_and_b32_e32 v46, 7, v44
	v_ffbh_u32_e32 v50, v46
	v_min_u32_e32 v52, 32, v50
	v_subrev_u32_e32 v50, 28, v52
	v_lshlrev_b64 v[50:51], v50, v[44:45]
	v_lshrrev_b32_e32 v49, 3, v41
	v_sub_u32_e32 v51, 29, v52
	v_and_b32_e32 v50, 7, v50
	v_cmp_gt_u32_e32 vcc, 8, v41
	v_cndmask_b32_e32 v41, v49, v51, vcc
	v_cndmask_b32_e32 v46, v46, v50, vcc
	v_lshlrev_b32_e32 v49, 24, v44
	v_lshlrev_b32_e32 v46, 20, v46
	v_and_b32_e32 v49, 0x80000000, v49
	v_lshl_add_u32 v41, v41, 23, v48
	v_or3_b32 v49, v49, v41, v46
.LBB662_505:                            ;   in Loop: Header=BB662_213 Depth=1
	s_or_b64 exec, exec, s[18:19]
.LBB662_506:                            ;   in Loop: Header=BB662_213 Depth=1
	s_or_b64 exec, exec, s[16:17]
.LBB662_507:                            ;   in Loop: Header=BB662_213 Depth=1
	s_or_b64 exec, exec, s[14:15]
	v_lshrrev_b16_e32 v46, 8, v44
	v_cmp_ne_u16_e32 vcc, 0, v46
	v_mov_b32_e32 v50, 0
	v_mov_b32_e32 v51, 0
	s_and_saveexec_b64 s[14:15], vcc
	s_cbranch_execz .LBB662_513
; %bb.508:                              ;   in Loop: Header=BB662_213 Depth=1
	v_cmp_ne_u16_e32 vcc, s9, v46
	v_bfrev_b32_e32 v51, 1
	s_and_saveexec_b64 s[16:17], vcc
	s_cbranch_execz .LBB662_512
; %bb.509:                              ;   in Loop: Header=BB662_213 Depth=1
	v_and_b32_e32 v41, 0x7f, v46
	v_cmp_ne_u32_e32 vcc, s21, v41
	v_mov_b32_e32 v51, 0x7f800001
	s_and_saveexec_b64 s[18:19], vcc
	s_cbranch_execz .LBB662_511
; %bb.510:                              ;   in Loop: Header=BB662_213 Depth=1
	v_and_b32_e32 v51, 7, v46
	v_ffbh_u32_e32 v52, v51
	v_min_u32_e32 v61, 32, v52
	v_subrev_u32_e32 v52, 28, v61
	v_lshlrev_b64 v[52:53], v52, v[46:47]
	v_lshrrev_b32_e32 v60, 3, v41
	v_sub_u32_e32 v46, 29, v61
	v_and_b32_e32 v52, 7, v52
	v_cmp_gt_u32_e32 vcc, 8, v41
	v_cndmask_b32_e32 v41, v60, v46, vcc
	v_cndmask_b32_e32 v46, v51, v52, vcc
	v_lshlrev_b32_e32 v51, 16, v44
	v_lshlrev_b32_e32 v46, 20, v46
	v_and_b32_e32 v51, 0x80000000, v51
	v_lshl_add_u32 v41, v41, 23, v48
	v_or3_b32 v51, v51, v41, v46
.LBB662_511:                            ;   in Loop: Header=BB662_213 Depth=1
	s_or_b64 exec, exec, s[18:19]
.LBB662_512:                            ;   in Loop: Header=BB662_213 Depth=1
	s_or_b64 exec, exec, s[16:17]
.LBB662_513:                            ;   in Loop: Header=BB662_213 Depth=1
	s_or_b64 exec, exec, s[14:15]
	v_lshrrev_b32_e32 v46, 16, v44
	v_cmp_ne_u16_sdwa s[16:17], v46, v47 src0_sel:BYTE_0 src1_sel:DWORD
	s_and_saveexec_b64 s[14:15], s[16:17]
	s_cbranch_execz .LBB662_519
; %bb.514:                              ;   in Loop: Header=BB662_213 Depth=1
	v_cmp_ne_u16_sdwa s[18:19], v46, s9 src0_sel:BYTE_0 src1_sel:DWORD
	v_bfrev_b32_e32 v50, 1
	s_and_saveexec_b64 s[16:17], s[18:19]
	s_cbranch_execz .LBB662_518
; %bb.515:                              ;   in Loop: Header=BB662_213 Depth=1
	v_bfe_u32 v41, v44, 16, 7
	v_cmp_ne_u32_e32 vcc, s21, v41
	v_mov_b32_e32 v50, 0x7f800001
	s_and_saveexec_b64 s[18:19], vcc
	s_cbranch_execz .LBB662_517
; %bb.516:                              ;   in Loop: Header=BB662_213 Depth=1
	v_and_b32_e32 v50, 7, v46
	v_ffbh_u32_e32 v52, v50
	v_min_u32_e32 v61, 32, v52
	v_subrev_u32_e32 v52, 28, v61
	v_lshlrev_b64 v[52:53], v52, v[46:47]
	v_lshrrev_b32_e32 v60, 3, v41
	v_sub_u32_e32 v53, 29, v61
	v_and_b32_e32 v52, 7, v52
	v_cmp_gt_u32_e32 vcc, 8, v41
	v_cndmask_b32_e32 v41, v60, v53, vcc
	v_cndmask_b32_e32 v50, v50, v52, vcc
	v_lshlrev_b32_e32 v46, 24, v46
	v_lshlrev_b32_e32 v50, 20, v50
	v_and_b32_e32 v46, 0x80000000, v46
	v_lshl_add_u32 v41, v41, 23, v48
	v_or3_b32 v50, v46, v41, v50
.LBB662_517:                            ;   in Loop: Header=BB662_213 Depth=1
	s_or_b64 exec, exec, s[18:19]
.LBB662_518:                            ;   in Loop: Header=BB662_213 Depth=1
	s_or_b64 exec, exec, s[16:17]
.LBB662_519:                            ;   in Loop: Header=BB662_213 Depth=1
	s_or_b64 exec, exec, s[14:15]
	v_cmp_lt_u32_e32 vcc, s22, v44
	v_mov_b32_e32 v52, 0
	v_mov_b32_e32 v53, 0
	s_and_saveexec_b64 s[14:15], vcc
	s_cbranch_execz .LBB662_525
; %bb.520:                              ;   in Loop: Header=BB662_213 Depth=1
	v_lshrrev_b32_e32 v46, 24, v44
	v_cmp_ne_u32_e32 vcc, s9, v46
	v_bfrev_b32_e32 v53, 1
	s_and_saveexec_b64 s[16:17], vcc
	s_cbranch_execz .LBB662_524
; %bb.521:                              ;   in Loop: Header=BB662_213 Depth=1
	v_bfe_u32 v41, v44, 24, 7
	v_cmp_ne_u32_e32 vcc, s21, v41
	v_mov_b32_e32 v53, 0x7f800001
	s_and_saveexec_b64 s[18:19], vcc
	s_cbranch_execz .LBB662_523
; %bb.522:                              ;   in Loop: Header=BB662_213 Depth=1
	v_and_b32_e32 v44, 7, v46
	v_ffbh_u32_e32 v60, v44
	v_min_u32_e32 v62, 32, v60
	v_subrev_u32_e32 v60, 28, v62
	v_lshlrev_b64 v[60:61], v60, v[46:47]
	v_lshrrev_b32_e32 v53, 3, v41
	v_sub_u32_e32 v61, 29, v62
	v_and_b32_e32 v60, 7, v60
	v_cmp_gt_u32_e32 vcc, 8, v41
	v_cndmask_b32_e32 v41, v53, v61, vcc
	v_cndmask_b32_e32 v44, v44, v60, vcc
	v_lshlrev_b32_e32 v46, 24, v46
	v_lshlrev_b32_e32 v44, 20, v44
	v_and_b32_e32 v46, 0x80000000, v46
	v_lshl_add_u32 v41, v41, 23, v48
	v_or3_b32 v53, v46, v41, v44
.LBB662_523:                            ;   in Loop: Header=BB662_213 Depth=1
	s_or_b64 exec, exec, s[18:19]
.LBB662_524:                            ;   in Loop: Header=BB662_213 Depth=1
	s_or_b64 exec, exec, s[16:17]
.LBB662_525:                            ;   in Loop: Header=BB662_213 Depth=1
	s_or_b64 exec, exec, s[14:15]
	s_waitcnt vmcnt(2)
	v_cmp_ne_u16_sdwa s[16:17], v42, v47 src0_sel:BYTE_0 src1_sel:DWORD
	s_and_saveexec_b64 s[14:15], s[16:17]
	s_cbranch_execz .LBB662_531
; %bb.526:                              ;   in Loop: Header=BB662_213 Depth=1
	v_cmp_ne_u16_sdwa s[18:19], v42, s9 src0_sel:BYTE_0 src1_sel:DWORD
	v_bfrev_b32_e32 v52, 1
	s_and_saveexec_b64 s[16:17], s[18:19]
	s_cbranch_execz .LBB662_530
; %bb.527:                              ;   in Loop: Header=BB662_213 Depth=1
	v_and_b32_e32 v41, 0x7f, v42
	v_cmp_ne_u32_e32 vcc, s21, v41
	v_mov_b32_e32 v52, 0x7f800001
	s_and_saveexec_b64 s[18:19], vcc
	s_cbranch_execz .LBB662_529
; %bb.528:                              ;   in Loop: Header=BB662_213 Depth=1
	v_and_b32_e32 v44, 7, v42
	v_ffbh_u32_e32 v52, v44
	v_min_u32_e32 v52, 32, v52
	v_subrev_u32_e32 v60, 28, v52
	v_lshlrev_b64 v[60:61], v60, v[42:43]
	v_lshrrev_b32_e32 v46, 3, v41
	v_sub_u32_e32 v52, 29, v52
	v_and_b32_e32 v60, 7, v60
	v_cmp_gt_u32_e32 vcc, 8, v41
	v_cndmask_b32_e32 v41, v46, v52, vcc
	v_cndmask_b32_e32 v44, v44, v60, vcc
	v_lshlrev_b32_e32 v46, 24, v42
	v_lshlrev_b32_e32 v44, 20, v44
	v_and_b32_e32 v46, 0x80000000, v46
	v_lshl_add_u32 v41, v41, 23, v48
	v_or3_b32 v52, v46, v41, v44
.LBB662_529:                            ;   in Loop: Header=BB662_213 Depth=1
	s_or_b64 exec, exec, s[18:19]
.LBB662_530:                            ;   in Loop: Header=BB662_213 Depth=1
	s_or_b64 exec, exec, s[16:17]
.LBB662_531:                            ;   in Loop: Header=BB662_213 Depth=1
	s_or_b64 exec, exec, s[14:15]
	v_lshrrev_b16_e32 v44, 8, v42
	v_cmp_ne_u16_e32 vcc, 0, v44
	v_mov_b32_e32 v46, 0
	v_mov_b32_e32 v60, 0
	s_and_saveexec_b64 s[14:15], vcc
	s_cbranch_execz .LBB662_537
; %bb.532:                              ;   in Loop: Header=BB662_213 Depth=1
	v_cmp_ne_u16_e32 vcc, s9, v44
	v_bfrev_b32_e32 v60, 1
	s_and_saveexec_b64 s[16:17], vcc
	s_cbranch_execz .LBB662_536
; %bb.533:                              ;   in Loop: Header=BB662_213 Depth=1
	v_and_b32_e32 v41, 0x7f, v44
	v_cmp_ne_u32_e32 vcc, s21, v41
	v_mov_b32_e32 v60, 0x7f800001
	s_and_saveexec_b64 s[18:19], vcc
	s_cbranch_execz .LBB662_535
; %bb.534:                              ;   in Loop: Header=BB662_213 Depth=1
	v_and_b32_e32 v62, 7, v44
	v_ffbh_u32_e32 v60, v62
	v_min_u32_e32 v64, 32, v60
	v_subrev_u32_e32 v60, 28, v64
	v_lshlrev_b64 v[60:61], v60, v[44:45]
	v_lshrrev_b32_e32 v63, 3, v41
	v_sub_u32_e32 v44, 29, v64
	v_and_b32_e32 v60, 7, v60
	v_cmp_gt_u32_e32 vcc, 8, v41
	v_cndmask_b32_e32 v41, v63, v44, vcc
	v_cndmask_b32_e32 v44, v62, v60, vcc
	v_lshlrev_b32_e32 v60, 16, v42
	v_lshlrev_b32_e32 v44, 20, v44
	v_and_b32_e32 v60, 0x80000000, v60
	v_lshl_add_u32 v41, v41, 23, v48
	v_or3_b32 v60, v60, v41, v44
.LBB662_535:                            ;   in Loop: Header=BB662_213 Depth=1
	s_or_b64 exec, exec, s[18:19]
.LBB662_536:                            ;   in Loop: Header=BB662_213 Depth=1
	s_or_b64 exec, exec, s[16:17]
.LBB662_537:                            ;   in Loop: Header=BB662_213 Depth=1
	s_or_b64 exec, exec, s[14:15]
	v_lshrrev_b32_e32 v44, 16, v42
	v_cmp_ne_u16_sdwa s[16:17], v44, v47 src0_sel:BYTE_0 src1_sel:DWORD
	s_and_saveexec_b64 s[14:15], s[16:17]
	s_cbranch_execz .LBB662_543
; %bb.538:                              ;   in Loop: Header=BB662_213 Depth=1
	v_cmp_ne_u16_sdwa s[18:19], v44, s9 src0_sel:BYTE_0 src1_sel:DWORD
	v_bfrev_b32_e32 v46, 1
	s_and_saveexec_b64 s[16:17], s[18:19]
	s_cbranch_execz .LBB662_542
; %bb.539:                              ;   in Loop: Header=BB662_213 Depth=1
	v_bfe_u32 v41, v42, 16, 7
	v_cmp_ne_u32_e32 vcc, s21, v41
	v_mov_b32_e32 v46, 0x7f800001
	s_and_saveexec_b64 s[18:19], vcc
	s_cbranch_execz .LBB662_541
; %bb.540:                              ;   in Loop: Header=BB662_213 Depth=1
	v_and_b32_e32 v46, 7, v44
	v_ffbh_u32_e32 v62, v46
	v_min_u32_e32 v64, 32, v62
	v_subrev_u32_e32 v62, 28, v64
	v_lshlrev_b64 v[62:63], v62, v[44:45]
	v_lshrrev_b32_e32 v61, 3, v41
	v_sub_u32_e32 v63, 29, v64
	v_and_b32_e32 v62, 7, v62
	v_cmp_gt_u32_e32 vcc, 8, v41
	v_cndmask_b32_e32 v41, v61, v63, vcc
	v_cndmask_b32_e32 v46, v46, v62, vcc
	v_lshlrev_b32_e32 v44, 24, v44
	v_lshlrev_b32_e32 v46, 20, v46
	v_and_b32_e32 v44, 0x80000000, v44
	v_lshl_add_u32 v41, v41, 23, v48
	v_or3_b32 v46, v44, v41, v46
.LBB662_541:                            ;   in Loop: Header=BB662_213 Depth=1
	s_or_b64 exec, exec, s[18:19]
.LBB662_542:                            ;   in Loop: Header=BB662_213 Depth=1
	s_or_b64 exec, exec, s[16:17]
.LBB662_543:                            ;   in Loop: Header=BB662_213 Depth=1
	s_or_b64 exec, exec, s[14:15]
	v_cmp_lt_u32_e32 vcc, s22, v42
	v_mov_b32_e32 v41, 0
	v_mov_b32_e32 v61, 0
	s_and_saveexec_b64 s[14:15], vcc
	s_cbranch_execz .LBB662_549
; %bb.544:                              ;   in Loop: Header=BB662_213 Depth=1
	v_lshrrev_b32_e32 v44, 24, v42
	v_cmp_ne_u32_e32 vcc, s9, v44
	v_bfrev_b32_e32 v61, 1
	s_and_saveexec_b64 s[16:17], vcc
	s_cbranch_execz .LBB662_548
; %bb.545:                              ;   in Loop: Header=BB662_213 Depth=1
	v_bfe_u32 v42, v42, 24, 7
	v_cmp_ne_u32_e32 vcc, s21, v42
	v_mov_b32_e32 v61, 0x7f800001
	s_and_saveexec_b64 s[18:19], vcc
	s_cbranch_execz .LBB662_547
; %bb.546:                              ;   in Loop: Header=BB662_213 Depth=1
	v_and_b32_e32 v61, 7, v44
	v_ffbh_u32_e32 v62, v61
	v_min_u32_e32 v65, 32, v62
	v_subrev_u32_e32 v62, 28, v65
	v_lshlrev_b64 v[62:63], v62, v[44:45]
	v_lshrrev_b32_e32 v64, 3, v42
	v_sub_u32_e32 v63, 29, v65
	v_and_b32_e32 v62, 7, v62
	v_cmp_gt_u32_e32 vcc, 8, v42
	v_cndmask_b32_e32 v42, v64, v63, vcc
	v_cndmask_b32_e32 v61, v61, v62, vcc
	v_lshlrev_b32_e32 v44, 24, v44
	v_lshlrev_b32_e32 v61, 20, v61
	v_and_b32_e32 v44, 0x80000000, v44
	v_lshl_add_u32 v42, v42, 23, v48
	v_or3_b32 v61, v44, v42, v61
.LBB662_547:                            ;   in Loop: Header=BB662_213 Depth=1
	s_or_b64 exec, exec, s[18:19]
.LBB662_548:                            ;   in Loop: Header=BB662_213 Depth=1
	s_or_b64 exec, exec, s[16:17]
.LBB662_549:                            ;   in Loop: Header=BB662_213 Depth=1
	s_or_b64 exec, exec, s[14:15]
	v_cvt_pkrtz_f16_f32 v62, v49, v51
	v_cvt_pkrtz_f16_f32 v63, v50, v53
	;; [unrolled: 1-line block ×4, first 2 shown]
	s_waitcnt vmcnt(1)
	v_cmp_ne_u16_sdwa s[16:17], v40, v47 src0_sel:BYTE_0 src1_sel:DWORD
	v_mfma_f32_16x16x16f16 v[34:37], v[62:63], v[26:27], v[34:37]
	v_mfma_f32_16x16x16f16 v[34:37], v[50:51], v[28:29], v[34:37]
	s_and_saveexec_b64 s[14:15], s[16:17]
	s_cbranch_execz .LBB662_555
; %bb.550:                              ;   in Loop: Header=BB662_213 Depth=1
	v_cmp_ne_u16_sdwa s[18:19], v40, s9 src0_sel:BYTE_0 src1_sel:DWORD
	v_bfrev_b32_e32 v41, 1
	s_and_saveexec_b64 s[16:17], s[18:19]
	s_cbranch_execz .LBB662_554
; %bb.551:                              ;   in Loop: Header=BB662_213 Depth=1
	v_and_b32_e32 v42, 0x7f, v40
	v_cmp_ne_u32_e32 vcc, s21, v42
	v_mov_b32_e32 v41, 0x7f800001
	s_and_saveexec_b64 s[18:19], vcc
	s_cbranch_execz .LBB662_553
; %bb.552:                              ;   in Loop: Header=BB662_213 Depth=1
	v_and_b32_e32 v41, 7, v40
	v_ffbh_u32_e32 v46, v41
	v_min_u32_e32 v46, 32, v46
	v_subrev_u32_e32 v49, 28, v46
	v_lshlrev_b64 v[50:51], v49, v[40:41]
	v_lshrrev_b32_e32 v44, 3, v42
	v_sub_u32_e32 v46, 29, v46
	v_and_b32_e32 v49, 7, v50
	v_cmp_gt_u32_e32 vcc, 8, v42
	v_cndmask_b32_e32 v42, v44, v46, vcc
	v_cndmask_b32_e32 v41, v41, v49, vcc
	v_lshlrev_b32_e32 v44, 24, v40
	v_lshlrev_b32_e32 v41, 20, v41
	v_and_b32_e32 v44, 0x80000000, v44
	v_lshl_add_u32 v42, v42, 23, v48
	v_or3_b32 v41, v44, v42, v41
.LBB662_553:                            ;   in Loop: Header=BB662_213 Depth=1
	s_or_b64 exec, exec, s[18:19]
.LBB662_554:                            ;   in Loop: Header=BB662_213 Depth=1
	s_or_b64 exec, exec, s[16:17]
.LBB662_555:                            ;   in Loop: Header=BB662_213 Depth=1
	s_or_b64 exec, exec, s[14:15]
	v_lshrrev_b16_e32 v42, 8, v40
	v_cmp_ne_u16_e32 vcc, 0, v42
	v_mov_b32_e32 v44, 0
	v_mov_b32_e32 v46, 0
	s_and_saveexec_b64 s[14:15], vcc
	s_cbranch_execz .LBB662_561
; %bb.556:                              ;   in Loop: Header=BB662_213 Depth=1
	v_cmp_ne_u16_e32 vcc, s9, v42
	v_bfrev_b32_e32 v46, 1
	s_and_saveexec_b64 s[16:17], vcc
	s_cbranch_execz .LBB662_560
; %bb.557:                              ;   in Loop: Header=BB662_213 Depth=1
	v_and_b32_e32 v49, 0x7f, v42
	v_cmp_ne_u32_e32 vcc, s21, v49
	v_mov_b32_e32 v46, 0x7f800001
	s_and_saveexec_b64 s[18:19], vcc
	s_cbranch_execz .LBB662_559
; %bb.558:                              ;   in Loop: Header=BB662_213 Depth=1
	v_and_b32_e32 v46, 7, v42
	v_ffbh_u32_e32 v50, v46
	v_min_u32_e32 v53, 32, v50
	v_subrev_u32_e32 v50, 28, v53
	v_lshlrev_b64 v[50:51], v50, v[42:43]
	v_lshrrev_b32_e32 v52, 3, v49
	v_sub_u32_e32 v42, 29, v53
	v_and_b32_e32 v50, 7, v50
	v_cmp_gt_u32_e32 vcc, 8, v49
	v_cndmask_b32_e32 v42, v52, v42, vcc
	v_cndmask_b32_e32 v46, v46, v50, vcc
	v_lshlrev_b32_e32 v49, 16, v40
	v_lshlrev_b32_e32 v46, 20, v46
	v_and_b32_e32 v49, 0x80000000, v49
	v_lshl_add_u32 v42, v42, 23, v48
	v_or3_b32 v46, v49, v42, v46
.LBB662_559:                            ;   in Loop: Header=BB662_213 Depth=1
	s_or_b64 exec, exec, s[18:19]
.LBB662_560:                            ;   in Loop: Header=BB662_213 Depth=1
	s_or_b64 exec, exec, s[16:17]
.LBB662_561:                            ;   in Loop: Header=BB662_213 Depth=1
	s_or_b64 exec, exec, s[14:15]
	v_lshrrev_b32_e32 v42, 16, v40
	v_cmp_ne_u16_sdwa s[16:17], v42, v47 src0_sel:BYTE_0 src1_sel:DWORD
	s_and_saveexec_b64 s[14:15], s[16:17]
	s_cbranch_execz .LBB662_567
; %bb.562:                              ;   in Loop: Header=BB662_213 Depth=1
	v_cmp_ne_u16_sdwa s[18:19], v42, s9 src0_sel:BYTE_0 src1_sel:DWORD
	v_bfrev_b32_e32 v44, 1
	s_and_saveexec_b64 s[16:17], s[18:19]
	s_cbranch_execz .LBB662_566
; %bb.563:                              ;   in Loop: Header=BB662_213 Depth=1
	v_bfe_u32 v49, v40, 16, 7
	v_cmp_ne_u32_e32 vcc, s21, v49
	v_mov_b32_e32 v44, 0x7f800001
	s_and_saveexec_b64 s[18:19], vcc
	s_cbranch_execz .LBB662_565
; %bb.564:                              ;   in Loop: Header=BB662_213 Depth=1
	v_and_b32_e32 v44, 7, v42
	v_ffbh_u32_e32 v50, v44
	v_min_u32_e32 v53, 32, v50
	v_subrev_u32_e32 v50, 28, v53
	v_lshlrev_b64 v[50:51], v50, v[42:43]
	v_lshrrev_b32_e32 v52, 3, v49
	v_sub_u32_e32 v51, 29, v53
	v_and_b32_e32 v50, 7, v50
	v_cmp_gt_u32_e32 vcc, 8, v49
	v_cndmask_b32_e32 v49, v52, v51, vcc
	v_cndmask_b32_e32 v44, v44, v50, vcc
	v_lshlrev_b32_e32 v42, 24, v42
	v_lshlrev_b32_e32 v44, 20, v44
	v_and_b32_e32 v42, 0x80000000, v42
	v_lshl_add_u32 v49, v49, 23, v48
	v_or3_b32 v44, v42, v49, v44
.LBB662_565:                            ;   in Loop: Header=BB662_213 Depth=1
	s_or_b64 exec, exec, s[18:19]
.LBB662_566:                            ;   in Loop: Header=BB662_213 Depth=1
	s_or_b64 exec, exec, s[16:17]
.LBB662_567:                            ;   in Loop: Header=BB662_213 Depth=1
	s_or_b64 exec, exec, s[14:15]
	v_cmp_lt_u32_e32 vcc, s22, v40
	v_mov_b32_e32 v49, 0
	v_mov_b32_e32 v50, 0
	s_and_saveexec_b64 s[14:15], vcc
	s_cbranch_execz .LBB662_573
; %bb.568:                              ;   in Loop: Header=BB662_213 Depth=1
	v_lshrrev_b32_e32 v42, 24, v40
	v_cmp_ne_u32_e32 vcc, s9, v42
	v_bfrev_b32_e32 v50, 1
	s_and_saveexec_b64 s[16:17], vcc
	s_cbranch_execz .LBB662_572
; %bb.569:                              ;   in Loop: Header=BB662_213 Depth=1
	v_bfe_u32 v40, v40, 24, 7
	v_cmp_ne_u32_e32 vcc, s21, v40
	v_mov_b32_e32 v50, 0x7f800001
	s_and_saveexec_b64 s[18:19], vcc
	s_cbranch_execz .LBB662_571
; %bb.570:                              ;   in Loop: Header=BB662_213 Depth=1
	v_and_b32_e32 v52, 7, v42
	v_ffbh_u32_e32 v50, v52
	v_min_u32_e32 v60, 32, v50
	v_subrev_u32_e32 v50, 28, v60
	v_lshlrev_b64 v[50:51], v50, v[42:43]
	v_lshrrev_b32_e32 v53, 3, v40
	v_sub_u32_e32 v51, 29, v60
	v_and_b32_e32 v50, 7, v50
	v_cmp_gt_u32_e32 vcc, 8, v40
	v_cndmask_b32_e32 v40, v53, v51, vcc
	v_cndmask_b32_e32 v50, v52, v50, vcc
	v_lshlrev_b32_e32 v42, 24, v42
	v_lshlrev_b32_e32 v50, 20, v50
	v_and_b32_e32 v42, 0x80000000, v42
	v_lshl_add_u32 v40, v40, 23, v48
	v_or3_b32 v50, v42, v40, v50
.LBB662_571:                            ;   in Loop: Header=BB662_213 Depth=1
	s_or_b64 exec, exec, s[18:19]
.LBB662_572:                            ;   in Loop: Header=BB662_213 Depth=1
	s_or_b64 exec, exec, s[16:17]
.LBB662_573:                            ;   in Loop: Header=BB662_213 Depth=1
	s_or_b64 exec, exec, s[14:15]
	s_waitcnt vmcnt(0)
	v_cmp_ne_u16_sdwa s[16:17], v38, v47 src0_sel:BYTE_0 src1_sel:DWORD
	s_and_saveexec_b64 s[14:15], s[16:17]
	s_cbranch_execz .LBB662_579
; %bb.574:                              ;   in Loop: Header=BB662_213 Depth=1
	v_cmp_ne_u16_sdwa s[18:19], v38, s9 src0_sel:BYTE_0 src1_sel:DWORD
	v_bfrev_b32_e32 v49, 1
	s_and_saveexec_b64 s[16:17], s[18:19]
	s_cbranch_execz .LBB662_578
; %bb.575:                              ;   in Loop: Header=BB662_213 Depth=1
	v_and_b32_e32 v40, 0x7f, v38
	v_cmp_ne_u32_e32 vcc, s21, v40
	v_mov_b32_e32 v49, 0x7f800001
	s_and_saveexec_b64 s[18:19], vcc
	s_cbranch_execz .LBB662_577
; %bb.576:                              ;   in Loop: Header=BB662_213 Depth=1
	v_and_b32_e32 v42, 7, v38
	v_ffbh_u32_e32 v51, v42
	v_min_u32_e32 v51, 32, v51
	v_subrev_u32_e32 v52, 28, v51
	v_lshlrev_b64 v[52:53], v52, v[38:39]
	v_lshrrev_b32_e32 v49, 3, v40
	v_sub_u32_e32 v51, 29, v51
	v_and_b32_e32 v52, 7, v52
	v_cmp_gt_u32_e32 vcc, 8, v40
	v_cndmask_b32_e32 v40, v49, v51, vcc
	v_cndmask_b32_e32 v42, v42, v52, vcc
	v_lshlrev_b32_e32 v49, 24, v38
	v_lshlrev_b32_e32 v42, 20, v42
	v_and_b32_e32 v49, 0x80000000, v49
	v_lshl_add_u32 v40, v40, 23, v48
	v_or3_b32 v49, v49, v40, v42
.LBB662_577:                            ;   in Loop: Header=BB662_213 Depth=1
	s_or_b64 exec, exec, s[18:19]
.LBB662_578:                            ;   in Loop: Header=BB662_213 Depth=1
	s_or_b64 exec, exec, s[16:17]
.LBB662_579:                            ;   in Loop: Header=BB662_213 Depth=1
	s_or_b64 exec, exec, s[14:15]
	v_lshrrev_b16_e32 v40, 8, v38
	v_cmp_ne_u16_e32 vcc, 0, v40
	v_mov_b32_e32 v42, 0
	v_mov_b32_e32 v51, 0
	s_and_saveexec_b64 s[14:15], vcc
	s_cbranch_execz .LBB662_585
; %bb.580:                              ;   in Loop: Header=BB662_213 Depth=1
	v_cmp_ne_u16_e32 vcc, s9, v40
	v_bfrev_b32_e32 v51, 1
	s_and_saveexec_b64 s[16:17], vcc
	s_cbranch_execz .LBB662_584
; %bb.581:                              ;   in Loop: Header=BB662_213 Depth=1
	v_and_b32_e32 v52, 0x7f, v40
	v_cmp_ne_u32_e32 vcc, s21, v52
	v_mov_b32_e32 v51, 0x7f800001
	s_and_saveexec_b64 s[18:19], vcc
	s_cbranch_execz .LBB662_583
; %bb.582:                              ;   in Loop: Header=BB662_213 Depth=1
	v_and_b32_e32 v51, 7, v40
	v_ffbh_u32_e32 v60, v51
	v_min_u32_e32 v62, 32, v60
	v_subrev_u32_e32 v60, 28, v62
	v_lshlrev_b64 v[60:61], v60, v[40:41]
	v_lshrrev_b32_e32 v53, 3, v52
	v_sub_u32_e32 v40, 29, v62
	v_and_b32_e32 v60, 7, v60
	v_cmp_gt_u32_e32 vcc, 8, v52
	v_cndmask_b32_e32 v40, v53, v40, vcc
	v_cndmask_b32_e32 v51, v51, v60, vcc
	v_lshlrev_b32_e32 v52, 16, v38
	v_lshlrev_b32_e32 v51, 20, v51
	v_and_b32_e32 v52, 0x80000000, v52
	v_lshl_add_u32 v40, v40, 23, v48
	v_or3_b32 v51, v52, v40, v51
.LBB662_583:                            ;   in Loop: Header=BB662_213 Depth=1
	s_or_b64 exec, exec, s[18:19]
.LBB662_584:                            ;   in Loop: Header=BB662_213 Depth=1
	s_or_b64 exec, exec, s[16:17]
.LBB662_585:                            ;   in Loop: Header=BB662_213 Depth=1
	s_or_b64 exec, exec, s[14:15]
	v_lshrrev_b32_e32 v40, 16, v38
	v_cmp_ne_u16_sdwa s[16:17], v40, v47 src0_sel:BYTE_0 src1_sel:DWORD
	s_and_saveexec_b64 s[14:15], s[16:17]
	s_cbranch_execz .LBB662_591
; %bb.586:                              ;   in Loop: Header=BB662_213 Depth=1
	v_cmp_ne_u16_sdwa s[18:19], v40, s9 src0_sel:BYTE_0 src1_sel:DWORD
	v_bfrev_b32_e32 v42, 1
	s_and_saveexec_b64 s[16:17], s[18:19]
	s_cbranch_execz .LBB662_590
; %bb.587:                              ;   in Loop: Header=BB662_213 Depth=1
	v_bfe_u32 v52, v38, 16, 7
	v_cmp_ne_u32_e32 vcc, s21, v52
	v_mov_b32_e32 v42, 0x7f800001
	s_and_saveexec_b64 s[18:19], vcc
	s_cbranch_execz .LBB662_589
; %bb.588:                              ;   in Loop: Header=BB662_213 Depth=1
	v_and_b32_e32 v42, 7, v40
	v_ffbh_u32_e32 v60, v42
	v_min_u32_e32 v62, 32, v60
	v_subrev_u32_e32 v60, 28, v62
	v_lshlrev_b64 v[60:61], v60, v[40:41]
	v_lshrrev_b32_e32 v53, 3, v52
	v_sub_u32_e32 v61, 29, v62
	v_and_b32_e32 v60, 7, v60
	v_cmp_gt_u32_e32 vcc, 8, v52
	v_cndmask_b32_e32 v52, v53, v61, vcc
	v_cndmask_b32_e32 v42, v42, v60, vcc
	v_lshlrev_b32_e32 v40, 24, v40
	v_lshlrev_b32_e32 v42, 20, v42
	v_and_b32_e32 v40, 0x80000000, v40
	v_lshl_add_u32 v52, v52, 23, v48
	v_or3_b32 v42, v40, v52, v42
.LBB662_589:                            ;   in Loop: Header=BB662_213 Depth=1
	s_or_b64 exec, exec, s[18:19]
.LBB662_590:                            ;   in Loop: Header=BB662_213 Depth=1
	s_or_b64 exec, exec, s[16:17]
.LBB662_591:                            ;   in Loop: Header=BB662_213 Depth=1
	s_or_b64 exec, exec, s[14:15]
	v_cmp_lt_u32_e32 vcc, s22, v38
	v_mov_b32_e32 v52, 0
	s_and_saveexec_b64 s[14:15], vcc
	s_cbranch_execz .LBB662_212
; %bb.592:                              ;   in Loop: Header=BB662_213 Depth=1
	v_lshrrev_b32_e32 v40, 24, v38
	v_cmp_ne_u32_e32 vcc, s9, v40
	v_bfrev_b32_e32 v52, 1
	s_and_saveexec_b64 s[16:17], vcc
	s_cbranch_execz .LBB662_211
; %bb.593:                              ;   in Loop: Header=BB662_213 Depth=1
	v_bfe_u32 v38, v38, 24, 7
	v_cmp_ne_u32_e32 vcc, s21, v38
	v_mov_b32_e32 v52, 0x7f800001
	s_and_saveexec_b64 s[18:19], vcc
	s_cbranch_execz .LBB662_210
; %bb.594:                              ;   in Loop: Header=BB662_213 Depth=1
	v_and_b32_e32 v60, 7, v40
	v_ffbh_u32_e32 v52, v60
	v_min_u32_e32 v62, 32, v52
	v_subrev_u32_e32 v52, 28, v62
	v_lshlrev_b64 v[52:53], v52, v[40:41]
	v_lshrrev_b32_e32 v61, 3, v38
	v_sub_u32_e32 v53, 29, v62
	v_and_b32_e32 v52, 7, v52
	v_cmp_gt_u32_e32 vcc, 8, v38
	v_cndmask_b32_e32 v38, v61, v53, vcc
	v_cndmask_b32_e32 v52, v60, v52, vcc
	v_lshlrev_b32_e32 v40, 24, v40
	v_lshlrev_b32_e32 v52, 20, v52
	v_and_b32_e32 v40, 0x80000000, v40
	v_lshl_add_u32 v38, v38, 23, v48
	v_or3_b32 v52, v40, v38, v52
	s_branch .LBB662_210
.LBB662_595:
	s_barrier
	buffer_load_dword v2, off, s[0:3], 0 offset:320
	buffer_load_dword v5, off, s[0:3], 0 offset:332
	;; [unrolled: 1-line block ×4, first 2 shown]
	v_cmp_gt_u32_e32 vcc, 64, v0
	s_waitcnt vmcnt(0)
	ds_write2st64_b64 v43, v[2:3], v[4:5] offset1:1
	s_waitcnt lgkmcnt(0)
	s_barrier
	s_and_saveexec_b64 s[6:7], vcc
	s_cbranch_execz .LBB662_598
; %bb.596:
	s_lshl_b32 s6, s50, 7
	s_mul_i32 s7, s20, s8
	s_mul_hi_u32 s11, s7, s6
	s_mul_i32 s10, s7, s6
	s_lshl_b64 s[10:11], s[10:11], 1
	v_lshlrev_b32_e32 v4, 6, v55
	s_add_u32 s7, s48, s10
	v_lshl_or_b32 v0, v0, 10, v4
	s_mov_b32 s9, 0
	s_addc_u32 s10, s49, s11
	s_lshl_b32 s8, s24, 7
	v_lshlrev_b32_e32 v2, 5, v1
	v_and_b32_e32 v3, 16, v56
	v_and_b32_e32 v0, 0x1a00, v0
	s_lshl_b64 s[8:9], s[8:9], 1
	v_or3_b32 v0, v0, v2, v3
	s_add_u32 s7, s7, s8
	s_addc_u32 s8, s10, s9
	ds_read_b128 v[4:7], v0 offset:128
	ds_read_b128 v[8:11], v0
	v_add_u32_e32 v14, s25, v1
	v_mov_b32_e32 v3, s8
	v_add_co_u32_e32 v2, vcc, s7, v54
	v_mad_u64_u32 v[12:13], s[8:9], v14, s6, 0
	v_addc_co_u32_e32 v3, vcc, 0, v3, vcc
	v_lshlrev_b64 v[12:13], 1, v[12:13]
	v_add_co_u32_e32 v12, vcc, v2, v12
	v_addc_co_u32_e32 v13, vcc, v3, v13, vcc
	s_waitcnt lgkmcnt(0)
	global_store_dwordx4 v[12:13], v[8:11], off
	s_nop 0
	v_add_u32_e32 v8, 4, v14
	v_mad_u64_u32 v[8:9], s[8:9], v8, s6, 0
	v_lshlrev_b64 v[8:9], 1, v[8:9]
	v_add_co_u32_e32 v8, vcc, v2, v8
	v_addc_co_u32_e32 v9, vcc, v3, v9, vcc
	global_store_dwordx4 v[8:9], v[4:7], off
	s_and_b64 exec, exec, s[4:5]
	s_cbranch_execz .LBB662_598
; %bb.597:
	ds_read_b128 v[4:7], v0 offset:256
	v_add3_u32 v0, s25, v1, 8
	v_mad_u64_u32 v[0:1], s[4:5], v0, s6, 0
	v_lshlrev_b64 v[0:1], 1, v[0:1]
	v_add_co_u32_e32 v0, vcc, v2, v0
	v_addc_co_u32_e32 v1, vcc, v3, v1, vcc
	s_waitcnt lgkmcnt(0)
	global_store_dwordx4 v[0:1], v[4:7], off
.LBB662_598:
	s_endpgm
	.section	.rodata,"a",@progbits
	.p2align	6, 0x0
	.amdhsa_kernel _Z39paged_attention_ll4mi_QKV_mfma16_kernelIDF16_hLN4vllm18Fp8KVCacheDataTypeE1EDF16_Li32ELi128ELi256ELb0ELi9EL8MFMAType0EEvPKT_PKT0_S8_ifPKiSA_SA_iPKfiiiPfSD_PS3_PT2_iSC_SC_
		.amdhsa_group_segment_fixed_size 8192
		.amdhsa_private_segment_fixed_size 352
		.amdhsa_kernarg_size 400
		.amdhsa_user_sgpr_count 8
		.amdhsa_user_sgpr_private_segment_buffer 1
		.amdhsa_user_sgpr_dispatch_ptr 0
		.amdhsa_user_sgpr_queue_ptr 0
		.amdhsa_user_sgpr_kernarg_segment_ptr 1
		.amdhsa_user_sgpr_dispatch_id 0
		.amdhsa_user_sgpr_flat_scratch_init 1
		.amdhsa_user_sgpr_kernarg_preload_length 0
		.amdhsa_user_sgpr_kernarg_preload_offset 0
		.amdhsa_user_sgpr_private_segment_size 0
		.amdhsa_uses_dynamic_stack 0
		.amdhsa_system_sgpr_private_segment_wavefront_offset 1
		.amdhsa_system_sgpr_workgroup_id_x 1
		.amdhsa_system_sgpr_workgroup_id_y 1
		.amdhsa_system_sgpr_workgroup_id_z 1
		.amdhsa_system_sgpr_workgroup_info 0
		.amdhsa_system_vgpr_workitem_id 0
		.amdhsa_next_free_vgpr 78
		.amdhsa_next_free_sgpr 53
		.amdhsa_accum_offset 80
		.amdhsa_reserve_vcc 1
		.amdhsa_reserve_flat_scratch 0
		.amdhsa_float_round_mode_32 0
		.amdhsa_float_round_mode_16_64 0
		.amdhsa_float_denorm_mode_32 3
		.amdhsa_float_denorm_mode_16_64 3
		.amdhsa_dx10_clamp 1
		.amdhsa_ieee_mode 1
		.amdhsa_fp16_overflow 0
		.amdhsa_tg_split 0
		.amdhsa_exception_fp_ieee_invalid_op 0
		.amdhsa_exception_fp_denorm_src 0
		.amdhsa_exception_fp_ieee_div_zero 0
		.amdhsa_exception_fp_ieee_overflow 0
		.amdhsa_exception_fp_ieee_underflow 0
		.amdhsa_exception_fp_ieee_inexact 0
		.amdhsa_exception_int_div_zero 0
	.end_amdhsa_kernel
	.section	.text._Z39paged_attention_ll4mi_QKV_mfma16_kernelIDF16_hLN4vllm18Fp8KVCacheDataTypeE1EDF16_Li32ELi128ELi256ELb0ELi9EL8MFMAType0EEvPKT_PKT0_S8_ifPKiSA_SA_iPKfiiiPfSD_PS3_PT2_iSC_SC_,"axG",@progbits,_Z39paged_attention_ll4mi_QKV_mfma16_kernelIDF16_hLN4vllm18Fp8KVCacheDataTypeE1EDF16_Li32ELi128ELi256ELb0ELi9EL8MFMAType0EEvPKT_PKT0_S8_ifPKiSA_SA_iPKfiiiPfSD_PS3_PT2_iSC_SC_,comdat
.Lfunc_end662:
	.size	_Z39paged_attention_ll4mi_QKV_mfma16_kernelIDF16_hLN4vllm18Fp8KVCacheDataTypeE1EDF16_Li32ELi128ELi256ELb0ELi9EL8MFMAType0EEvPKT_PKT0_S8_ifPKiSA_SA_iPKfiiiPfSD_PS3_PT2_iSC_SC_, .Lfunc_end662-_Z39paged_attention_ll4mi_QKV_mfma16_kernelIDF16_hLN4vllm18Fp8KVCacheDataTypeE1EDF16_Li32ELi128ELi256ELb0ELi9EL8MFMAType0EEvPKT_PKT0_S8_ifPKiSA_SA_iPKfiiiPfSD_PS3_PT2_iSC_SC_
                                        ; -- End function
	.section	.AMDGPU.csdata,"",@progbits
; Kernel info:
; codeLenInByte = 21260
; NumSgprs: 57
; NumVgprs: 78
; NumAgprs: 0
; TotalNumVgprs: 78
; ScratchSize: 352
; MemoryBound: 0
; FloatMode: 240
; IeeeMode: 1
; LDSByteSize: 8192 bytes/workgroup (compile time only)
; SGPRBlocks: 7
; VGPRBlocks: 9
; NumSGPRsForWavesPerEU: 57
; NumVGPRsForWavesPerEU: 78
; AccumOffset: 80
; Occupancy: 6
; WaveLimiterHint : 1
; COMPUTE_PGM_RSRC2:SCRATCH_EN: 1
; COMPUTE_PGM_RSRC2:USER_SGPR: 8
; COMPUTE_PGM_RSRC2:TRAP_HANDLER: 0
; COMPUTE_PGM_RSRC2:TGID_X_EN: 1
; COMPUTE_PGM_RSRC2:TGID_Y_EN: 1
; COMPUTE_PGM_RSRC2:TGID_Z_EN: 1
; COMPUTE_PGM_RSRC2:TIDIG_COMP_CNT: 0
; COMPUTE_PGM_RSRC3_GFX90A:ACCUM_OFFSET: 19
; COMPUTE_PGM_RSRC3_GFX90A:TG_SPLIT: 0
	.section	.text._Z39paged_attention_ll4mi_QKV_mfma16_kernelIDF16_hLN4vllm18Fp8KVCacheDataTypeE1EDF16_Li32ELi128ELi256ELb0ELi10EL8MFMAType0EEvPKT_PKT0_S8_ifPKiSA_SA_iPKfiiiPfSD_PS3_PT2_iSC_SC_,"axG",@progbits,_Z39paged_attention_ll4mi_QKV_mfma16_kernelIDF16_hLN4vllm18Fp8KVCacheDataTypeE1EDF16_Li32ELi128ELi256ELb0ELi10EL8MFMAType0EEvPKT_PKT0_S8_ifPKiSA_SA_iPKfiiiPfSD_PS3_PT2_iSC_SC_,comdat
	.protected	_Z39paged_attention_ll4mi_QKV_mfma16_kernelIDF16_hLN4vllm18Fp8KVCacheDataTypeE1EDF16_Li32ELi128ELi256ELb0ELi10EL8MFMAType0EEvPKT_PKT0_S8_ifPKiSA_SA_iPKfiiiPfSD_PS3_PT2_iSC_SC_ ; -- Begin function _Z39paged_attention_ll4mi_QKV_mfma16_kernelIDF16_hLN4vllm18Fp8KVCacheDataTypeE1EDF16_Li32ELi128ELi256ELb0ELi10EL8MFMAType0EEvPKT_PKT0_S8_ifPKiSA_SA_iPKfiiiPfSD_PS3_PT2_iSC_SC_
	.globl	_Z39paged_attention_ll4mi_QKV_mfma16_kernelIDF16_hLN4vllm18Fp8KVCacheDataTypeE1EDF16_Li32ELi128ELi256ELb0ELi10EL8MFMAType0EEvPKT_PKT0_S8_ifPKiSA_SA_iPKfiiiPfSD_PS3_PT2_iSC_SC_
	.p2align	8
	.type	_Z39paged_attention_ll4mi_QKV_mfma16_kernelIDF16_hLN4vllm18Fp8KVCacheDataTypeE1EDF16_Li32ELi128ELi256ELb0ELi10EL8MFMAType0EEvPKT_PKT0_S8_ifPKiSA_SA_iPKfiiiPfSD_PS3_PT2_iSC_SC_,@function
_Z39paged_attention_ll4mi_QKV_mfma16_kernelIDF16_hLN4vllm18Fp8KVCacheDataTypeE1EDF16_Li32ELi128ELi256ELb0ELi10EL8MFMAType0EEvPKT_PKT0_S8_ifPKiSA_SA_iPKfiiiPfSD_PS3_PT2_iSC_SC_: ; @_Z39paged_attention_ll4mi_QKV_mfma16_kernelIDF16_hLN4vllm18Fp8KVCacheDataTypeE1EDF16_Li32ELi128ELi256ELb0ELi10EL8MFMAType0EEvPKT_PKT0_S8_ifPKiSA_SA_iPKfiiiPfSD_PS3_PT2_iSC_SC_
; %bb.0:
	s_load_dwordx2 s[6:7], s[4:5], 0x30
	s_add_u32 s0, s0, s11
	s_addc_u32 s1, s1, 0
	s_mov_b32 s24, s9
	s_mov_b64 s[12:13], 0
	s_waitcnt lgkmcnt(0)
	s_cmp_lg_u64 s[6:7], 0
	s_cselect_b64 s[16:17], -1, 0
	s_and_b64 vcc, exec, s[16:17]
	s_cbranch_vccz .LBB663_7
; %bb.1:
	s_add_i32 s14, s8, 1
	s_mov_b32 s15, 0
	s_lshl_b64 s[18:19], s[14:15], 2
	s_add_u32 s18, s6, s18
	s_mov_b32 s9, s15
	s_addc_u32 s19, s7, s19
	s_lshl_b64 s[14:15], s[8:9], 2
	s_add_u32 s14, s6, s14
	s_addc_u32 s15, s7, s15
	s_load_dword s11, s[18:19], 0x0
	s_load_dword s20, s[14:15], 0x0
	s_waitcnt lgkmcnt(0)
	s_sub_i32 s11, s11, s20
	s_cmp_eq_u32 s11, 1
	s_cselect_b64 s[14:15], -1, 0
	s_andn2_b64 vcc, exec, s[12:13]
	s_cbranch_vccnz .LBB663_3
.LBB663_2:
	s_mov_b32 s9, 0
	s_mov_b64 s[14:15], -1
.LBB663_3:
	s_andn2_b64 vcc, exec, s[14:15]
	s_cbranch_vccnz .LBB663_598
; %bb.4:
	s_load_dwordx2 s[12:13], s[4:5], 0x28
	s_lshl_b64 s[18:19], s[8:9], 2
	s_waitcnt lgkmcnt(0)
	s_add_u32 s12, s12, s18
	s_addc_u32 s13, s13, s19
	s_load_dword s33, s[12:13], 0x0
	s_lshl_b32 s20, s24, 8
	s_waitcnt lgkmcnt(0)
	s_cmp_ge_i32 s20, s33
	s_cbranch_scc1 .LBB663_598
; %bb.5:
	s_add_i32 s14, s33, 31
	s_load_dwordx2 s[12:13], s[4:5], 0x20
	s_load_dword s11, s[4:5], 0x38
	s_ashr_i32 s15, s14, 31
	v_and_b32_e32 v1, 0xcf, v0
	s_lshr_b32 s15, s15, 27
	v_add_u32_e32 v1, s20, v1
	s_add_i32 s14, s14, s15
	v_ashrrev_i32_e32 v2, 31, v1
	s_ashr_i32 s22, s14, 5
	v_lshrrev_b32_e32 v10, 27, v2
	s_add_i32 s22, s22, -1
	v_add_u32_e32 v2, v1, v10
	s_waitcnt lgkmcnt(0)
	s_mul_i32 s14, s8, s11
	s_mov_b32 s15, 0
	v_ashrrev_i32_e32 v2, 5, v2
	v_mov_b32_e32 v11, s22
	v_cmp_gt_i32_e32 vcc, s33, v1
	s_lshl_b64 s[14:15], s[14:15], 2
	v_cndmask_b32_e32 v2, v11, v2, vcc
	s_add_u32 s11, s12, s14
	v_ashrrev_i32_e32 v3, 31, v2
	s_addc_u32 s21, s13, s15
	v_lshlrev_b64 v[2:3], 2, v[2:3]
	v_mov_b32_e32 v5, s21
	v_add_co_u32_e32 v4, vcc, s11, v2
	v_or_b32_e32 v2, 16, v1
	v_addc_co_u32_e32 v5, vcc, v5, v3, vcc
	v_add_u32_e32 v3, v2, v10
	v_ashrrev_i32_e32 v3, 5, v3
	v_cmp_gt_i32_e32 vcc, s33, v2
	v_cndmask_b32_e32 v2, v11, v3, vcc
	v_ashrrev_i32_e32 v3, 31, v2
	v_lshlrev_b64 v[2:3], 2, v[2:3]
	v_mov_b32_e32 v7, s21
	v_add_co_u32_e32 v6, vcc, s11, v2
	v_or_b32_e32 v2, 32, v1
	v_addc_co_u32_e32 v7, vcc, v7, v3, vcc
	v_add_u32_e32 v3, v2, v10
	v_ashrrev_i32_e32 v3, 5, v3
	v_cmp_gt_i32_e32 vcc, s33, v2
	v_cndmask_b32_e32 v2, v11, v3, vcc
	v_ashrrev_i32_e32 v3, 31, v2
	;; [unrolled: 10-line block ×3, first 2 shown]
	v_lshlrev_b64 v[2:3], 2, v[2:3]
	v_mov_b32_e32 v1, s21
	v_add_co_u32_e32 v12, vcc, s11, v2
	v_addc_co_u32_e32 v13, vcc, v1, v3, vcc
	global_load_dword v2, v[4:5], off
	global_load_dword v10, v[6:7], off
	;; [unrolled: 1-line block ×4, first 2 shown]
	s_load_dwordx4 s[12:15], s[4:5], 0x8
	s_andn2_b64 vcc, exec, s[16:17]
	s_cbranch_vccnz .LBB663_8
; %bb.6:
	s_add_u32 s6, s6, s18
	s_addc_u32 s7, s7, s19
	s_load_dword s16, s[6:7], 0x0
	s_branch .LBB663_9
.LBB663_7:
	s_mov_b64 s[14:15], 0
	s_branch .LBB663_2
.LBB663_8:
	s_mov_b32 s16, s8
.LBB663_9:
	s_load_dwordx2 s[48:49], s[4:5], 0x68
	s_load_dwordx8 s[40:47], s[4:5], 0x48
	v_lshrrev_b32_e32 v62, 6, v0
	v_bfe_u32 v1, v0, 4, 2
	v_and_b32_e32 v55, 15, v0
	v_lshl_or_b32 v3, v62, 2, v1
	v_lshlrev_b32_e32 v4, 3, v55
	s_mul_i32 s25, s10, 10
	v_cmp_gt_u32_e32 vcc, 10, v3
	v_lshlrev_b32_e32 v54, 1, v4
	v_lshlrev_b32_e32 v56, 4, v0
	s_and_saveexec_b64 s[6:7], vcc
	s_cbranch_execz .LBB663_11
; %bb.10:
	s_load_dwordx2 s[18:19], s[4:5], 0x0
	s_waitcnt lgkmcnt(0)
	s_ashr_i32 s17, s40, 31
	s_mul_hi_u32 s23, s16, s40
	s_mul_i32 s17, s16, s17
	s_add_i32 s17, s23, s17
	s_mul_i32 s16, s16, s40
	s_lshl_b64 s[16:17], s[16:17], 1
	v_add_lshl_u32 v4, v3, s25, 7
	s_add_u32 s16, s18, s16
	v_ashrrev_i32_e32 v5, 31, v4
	s_addc_u32 s17, s19, s17
	v_lshlrev_b64 v[4:5], 1, v[4:5]
	v_mov_b32_e32 v6, s17
	v_add_co_u32_e32 v4, vcc, s16, v4
	v_addc_co_u32_e32 v5, vcc, v6, v5, vcc
	v_add_co_u32_e32 v4, vcc, v4, v54
	v_addc_co_u32_e32 v5, vcc, 0, v5, vcc
	global_load_dwordx4 v[4:7], v[4:5], off
	v_lshlrev_b32_e32 v9, 8, v0
	v_lshlrev_b32_e32 v8, 8, v55
	v_and_b32_e32 v9, 0x600, v9
	s_movk_i32 s16, 0x800
	v_and_or_b32 v8, v8, s16, v9
	v_lshlrev_b32_e32 v3, 5, v3
	v_and_b32_e32 v9, 16, v56
	v_or3_b32 v3, v8, v3, v9
	s_waitcnt vmcnt(0)
	ds_write_b128 v3, v[4:7]
.LBB663_11:
	s_or_b64 exec, exec, s[6:7]
	s_waitcnt lgkmcnt(0)
	s_mul_i32 s10, s10, s42
	s_add_u32 s6, s12, s10
	s_addc_u32 s7, s13, 0
	v_and_b32_e32 v3, 48, v0
	v_pk_mov_b32 v[22:23], s[6:7], s[6:7] op_sel:[0,1]
	s_ashr_i32 s6, s20, 31
	v_lshlrev_b32_e32 v25, 5, v3
	v_or_b32_e32 v3, s20, v3
	s_lshr_b32 s6, s6, 27
	v_add_u32_e32 v4, s6, v3
	v_ashrrev_i32_e32 v4, 5, v4
	v_mov_b32_e32 v11, s22
	v_cmp_gt_i32_e32 vcc, s33, v3
	v_cndmask_b32_e32 v4, v11, v4, vcc
	v_ashrrev_i32_e32 v5, 31, v4
	v_lshlrev_b64 v[4:5], 2, v[4:5]
	v_mov_b32_e32 v6, s21
	v_add_co_u32_e32 v4, vcc, s11, v4
	v_addc_co_u32_e32 v5, vcc, v6, v5, vcc
	v_or_b32_e32 v6, 64, v3
	v_add_u32_e32 v7, s6, v6
	v_ashrrev_i32_e32 v7, 5, v7
	v_cmp_gt_i32_e32 vcc, s33, v6
	v_cndmask_b32_e32 v6, v11, v7, vcc
	v_ashrrev_i32_e32 v7, 31, v6
	v_lshlrev_b64 v[6:7], 2, v[6:7]
	v_mov_b32_e32 v8, s21
	v_add_co_u32_e32 v6, vcc, s11, v6
	v_addc_co_u32_e32 v7, vcc, v8, v7, vcc
	v_or_b32_e32 v8, 0x80, v3
	v_add_u32_e32 v9, s6, v8
	v_ashrrev_i32_e32 v9, 5, v9
	v_cmp_gt_i32_e32 vcc, s33, v8
	v_cndmask_b32_e32 v8, v11, v9, vcc
	v_ashrrev_i32_e32 v9, 31, v8
	v_lshlrev_b64 v[8:9], 2, v[8:9]
	v_mov_b32_e32 v12, s21
	v_add_co_u32_e32 v8, vcc, s11, v8
	v_or_b32_e32 v3, 0xc0, v3
	s_load_dwordx2 s[50:51], s[4:5], 0x94
	s_waitcnt lgkmcnt(0)
	s_barrier
	v_addc_co_u32_e32 v9, vcc, v12, v9, vcc
	global_load_dword v50, v[4:5], off
	global_load_dword v57, v[6:7], off
	v_add_u32_e32 v4, s6, v3
	v_ashrrev_i32_e32 v4, 5, v4
	v_cmp_gt_i32_e32 vcc, s33, v3
	v_cndmask_b32_e32 v4, v11, v4, vcc
	v_ashrrev_i32_e32 v5, 31, v4
	v_lshlrev_b64 v[4:5], 2, v[4:5]
	v_mov_b32_e32 v3, s21
	v_add_co_u32_e32 v4, vcc, s11, v4
	v_addc_co_u32_e32 v5, vcc, v3, v5, vcc
	global_load_dword v64, v[8:9], off
	global_load_dword v65, v[4:5], off
	s_waitcnt vmcnt(7)
	v_mad_i64_i32 v[2:3], s[6:7], v2, s41, v[22:23]
	v_lshlrev_b32_e32 v26, 4, v55
	v_add_co_u32_e32 v2, vcc, v2, v26
	v_addc_co_u32_e32 v3, vcc, 0, v3, vcc
	v_add_co_u32_e32 v12, vcc, v2, v25
	v_addc_co_u32_e32 v13, vcc, 0, v3, vcc
	global_load_dwordx4 v[6:9], v[12:13], off
	global_load_dwordx4 v[2:5], v[12:13], off offset:2048
	s_waitcnt vmcnt(8)
	v_mad_i64_i32 v[10:11], s[6:7], v10, s41, v[22:23]
	v_or_b32_e32 v28, 0x100, v26
	v_add_co_u32_e32 v10, vcc, v10, v28
	v_addc_co_u32_e32 v11, vcc, 0, v11, vcc
	v_add_co_u32_e32 v20, vcc, v10, v25
	v_addc_co_u32_e32 v21, vcc, 0, v11, vcc
	s_waitcnt vmcnt(7)
	v_mad_i64_i32 v[18:19], s[6:7], v18, s41, v[22:23]
	v_add_co_u32_e32 v18, vcc, v18, v26
	v_addc_co_u32_e32 v19, vcc, 0, v19, vcc
	v_add_co_u32_e32 v26, vcc, v18, v25
	v_addc_co_u32_e32 v27, vcc, 0, v19, vcc
	s_waitcnt vmcnt(6)
	v_mad_i64_i32 v[22:23], s[6:7], v24, s41, v[22:23]
	v_add_co_u32_e32 v22, vcc, v22, v28
	v_addc_co_u32_e32 v23, vcc, 0, v23, vcc
	v_add_co_u32_e32 v30, vcc, v22, v25
	v_addc_co_u32_e32 v31, vcc, 0, v23, vcc
	s_add_u32 s6, s14, s10
	global_load_dwordx4 v[10:13], v[20:21], off
	global_load_dwordx4 v[14:17], v[20:21], off offset:2048
	global_load_dwordx4 v[38:41], v[26:27], off
	s_nop 0
	global_load_dwordx4 v[18:21], v[26:27], off offset:2048
	s_nop 0
	global_load_dwordx4 v[26:29], v[30:31], off
	global_load_dwordx4 v[22:25], v[30:31], off offset:2048
	s_addc_u32 s7, s15, 0
	v_and_b32_e32 v30, 16, v0
	v_mov_b32_e32 v31, s7
	v_add_co_u32_e32 v51, vcc, s6, v30
	v_lshl_or_b32 v63, v62, 4, v55
	v_addc_co_u32_e32 v52, vcc, 0, v31, vcc
	v_lshlrev_b32_e32 v53, 5, v63
	v_add_co_u32_e32 v42, vcc, v51, v53
	v_addc_co_u32_e32 v43, vcc, 0, v52, vcc
	v_or_b32_e32 v53, 0x800, v53
	v_add_co_u32_e32 v58, vcc, v51, v53
	v_addc_co_u32_e32 v59, vcc, 0, v52, vcc
	v_cmp_gt_u32_e32 vcc, 10, v55
	s_waitcnt vmcnt(11)
	v_mad_i64_i32 v[30:31], s[6:7], v50, s41, v[42:43]
	s_waitcnt vmcnt(10)
	v_mad_i64_i32 v[34:35], s[6:7], v57, s41, v[42:43]
	global_load_dwordx4 v[30:33], v[30:31], off
	v_mad_i64_i32 v[50:51], s[6:7], v50, s41, v[58:59]
	global_load_dwordx4 v[34:37], v[34:35], off
	v_mad_i64_i32 v[60:61], s[6:7], v57, s41, v[58:59]
	s_mov_b32 s12, 0
	s_movk_i32 s13, 0x80
	s_waitcnt vmcnt(11)
	v_mad_i64_i32 v[44:45], s[6:7], v64, s41, v[42:43]
	s_waitcnt vmcnt(10)
	v_mad_i64_i32 v[42:43], s[6:7], v65, s41, v[42:43]
	global_load_dwordx4 v[46:49], v[44:45], off
	s_nop 0
	global_load_dwordx4 v[42:45], v[42:43], off
	s_movk_i32 s14, 0x7f
	global_load_dwordx4 v[50:53], v[50:51], off
	s_mov_b32 s15, 0xffffff
	global_load_dwordx4 v[66:69], v[60:61], off
	s_waitcnt vmcnt(13)
	buffer_store_dword v9, off, s[0:3], 0 offset:12
	buffer_store_dword v8, off, s[0:3], 0 offset:8
	v_mad_i64_i32 v[8:9], s[6:7], v64, s41, v[58:59]
	global_load_dwordx4 v[70:73], v[8:9], off
	v_mad_i64_i32 v[8:9], s[6:7], v65, s41, v[58:59]
	global_load_dwordx4 v[74:77], v[8:9], off
	v_and_b32_e32 v64, 63, v0
	buffer_store_dword v7, off, s[0:3], 0 offset:4
	buffer_store_dword v6, off, s[0:3], 0
	s_waitcnt vmcnt(18)
	buffer_store_dword v5, off, s[0:3], 0 offset:28
	buffer_store_dword v4, off, s[0:3], 0 offset:24
	;; [unrolled: 1-line block ×4, first 2 shown]
	s_waitcnt vmcnt(21)
	buffer_store_dword v13, off, s[0:3], 0 offset:44
	buffer_store_dword v12, off, s[0:3], 0 offset:40
	;; [unrolled: 1-line block ×4, first 2 shown]
	v_mov_b32_e32 v2, 0x80
	s_load_dword s6, s[4:5], 0x1c
	s_load_dwordx4 s[40:43], s[4:5], 0x80
	v_add_u32_e32 v57, 16, v2
	s_waitcnt vmcnt(24)
	buffer_store_dword v17, off, s[0:3], 0 offset:60
	buffer_store_dword v16, off, s[0:3], 0 offset:56
	;; [unrolled: 1-line block ×4, first 2 shown]
	v_add_u32_e32 v61, 32, v2
	v_add_u32_e32 v58, 48, v2
	;; [unrolled: 1-line block ×4, first 2 shown]
	s_waitcnt vmcnt(27)
	buffer_store_dword v41, off, s[0:3], 0 offset:76
	buffer_store_dword v40, off, s[0:3], 0 offset:72
	buffer_store_dword v39, off, s[0:3], 0 offset:68
	buffer_store_dword v38, off, s[0:3], 0 offset:64
	v_add_u32_e32 v41, 0x60, v2
	v_add_u32_e32 v39, 0x70, v2
	v_add_u32_e32 v2, -10, v55
	v_cndmask_b32_e32 v2, v2, v55, vcc
	v_lshlrev_b32_e32 v2, 5, v2
	v_lshl_add_u32 v14, v1, 9, v2
	ds_read_b128 v[2:5], v14
	ds_read_b128 v[6:9], v14 offset:16
	ds_read_b128 v[10:13], v14 offset:2048
	;; [unrolled: 1-line block ×3, first 2 shown]
	s_waitcnt vmcnt(30)
	buffer_store_dword v21, off, s[0:3], 0 offset:92
	buffer_store_dword v20, off, s[0:3], 0 offset:88
	buffer_store_dword v19, off, s[0:3], 0 offset:84
	buffer_store_dword v18, off, s[0:3], 0 offset:80
	s_waitcnt vmcnt(33)
	buffer_store_dword v29, off, s[0:3], 0 offset:108
	buffer_store_dword v28, off, s[0:3], 0 offset:104
	buffer_store_dword v27, off, s[0:3], 0 offset:100
	buffer_store_dword v26, off, s[0:3], 0 offset:96
	;; [unrolled: 5-line block ×10, first 2 shown]
	s_waitcnt vmcnt(58)
	buffer_store_dword v77, off, s[0:3], 0 offset:252
	s_waitcnt lgkmcnt(0)
	s_load_dword s4, s[40:41], 0x0
	v_mov_b32_e32 v18, s6
	v_mov_b32_e32 v27, 0
	;; [unrolled: 1-line block ×4, first 2 shown]
	s_waitcnt lgkmcnt(0)
	v_mul_f32_e32 v22, s4, v18
	v_mov_b32_e32 v24, v22
	v_mov_b32_e32 v25, v22
	v_bfrev_b32_e32 v33, 60
	buffer_store_dword v76, off, s[0:3], 0 offset:248
	buffer_store_dword v75, off, s[0:3], 0 offset:244
	;; [unrolled: 1-line block ×3, first 2 shown]
	s_branch .LBB663_15
.LBB663_12:                             ;   in Loop: Header=BB663_15 Depth=1
	s_or_b64 exec, exec, s[10:11]
.LBB663_13:                             ;   in Loop: Header=BB663_15 Depth=1
	s_or_b64 exec, exec, s[6:7]
.LBB663_14:                             ;   in Loop: Header=BB663_15 Depth=1
	s_or_b64 exec, exec, s[4:5]
	v_cvt_pkrtz_f16_f32 v42, v34, v32
	v_cvt_pkrtz_f16_f32 v43, v23, v36
	;; [unrolled: 1-line block ×4, first 2 shown]
	v_add_u32_e32 v26, s12, v31
	v_mfma_f32_16x16x16f16 v[18:21], v[42:43], v[14:15], v[18:21]
	s_add_i32 s12, s12, 16
	v_mov_b32_e32 v23, v22
	s_cmp_eq_u32 s12, 64
	v_add_u32_e32 v27, 32, v27
	v_mfma_f32_16x16x16f16 v[18:21], v[34:35], v[16:17], v[18:21]
	s_nop 7
	s_nop 2
	v_pk_mul_f32 v[18:19], v[24:25], v[18:19]
	v_pk_mul_f32 v[20:21], v[22:23], v[20:21]
	buffer_store_dword v19, v26, s[0:3], 0 offen offset:4
	buffer_store_dword v18, v26, s[0:3], 0 offen
	buffer_store_dword v21, v26, s[0:3], 0 offen offset:12
	buffer_store_dword v20, v26, s[0:3], 0 offen offset:8
	s_cbranch_scc1 .LBB663_205
.LBB663_15:                             ; =>This Inner Loop Header: Depth=1
	buffer_load_dword v20, v27, s[0:3], 0 offen
	buffer_load_dword v18, v27, s[0:3], 0 offen offset:4
	buffer_load_dword v28, v27, s[0:3], 0 offen offset:8
	;; [unrolled: 1-line block ×3, first 2 shown]
	v_mov_b32_e32 v19, 0
	s_waitcnt vmcnt(3)
	v_cmp_ne_u16_sdwa s[6:7], v20, v29 src0_sel:BYTE_0 src1_sel:DWORD
	s_and_saveexec_b64 s[4:5], s[6:7]
	s_cbranch_execz .LBB663_21
; %bb.16:                               ;   in Loop: Header=BB663_15 Depth=1
	v_cmp_ne_u16_sdwa s[10:11], v20, s13 src0_sel:BYTE_0 src1_sel:DWORD
	v_bfrev_b32_e32 v19, 1
	s_and_saveexec_b64 s[6:7], s[10:11]
	s_cbranch_execz .LBB663_20
; %bb.17:                               ;   in Loop: Header=BB663_15 Depth=1
	v_and_b32_e32 v21, 0x7f, v20
	v_cmp_ne_u32_e32 vcc, s14, v21
	v_mov_b32_e32 v19, 0x7f800001
	s_and_saveexec_b64 s[10:11], vcc
	s_cbranch_execz .LBB663_19
; %bb.18:                               ;   in Loop: Header=BB663_15 Depth=1
	v_and_b32_e32 v19, 7, v20
	v_ffbh_u32_e32 v30, v19
	v_min_u32_e32 v30, 32, v30
	v_subrev_u32_e32 v32, 28, v30
	v_lshlrev_b64 v[34:35], v32, v[20:21]
	v_lshrrev_b32_e32 v23, 3, v21
	v_sub_u32_e32 v30, 29, v30
	v_and_b32_e32 v32, 7, v34
	v_cmp_gt_u32_e32 vcc, 8, v21
	v_cndmask_b32_e32 v21, v23, v30, vcc
	v_cndmask_b32_e32 v19, v19, v32, vcc
	v_lshlrev_b32_e32 v23, 24, v20
	v_lshlrev_b32_e32 v19, 20, v19
	v_and_b32_e32 v23, 0x80000000, v23
	v_lshl_add_u32 v21, v21, 23, v33
	v_or3_b32 v19, v23, v21, v19
.LBB663_19:                             ;   in Loop: Header=BB663_15 Depth=1
	s_or_b64 exec, exec, s[10:11]
.LBB663_20:                             ;   in Loop: Header=BB663_15 Depth=1
	s_or_b64 exec, exec, s[6:7]
.LBB663_21:                             ;   in Loop: Header=BB663_15 Depth=1
	s_or_b64 exec, exec, s[4:5]
	v_lshrrev_b16_e32 v30, 8, v20
	v_cmp_ne_u16_e32 vcc, 0, v30
	v_mov_b32_e32 v21, 0
	v_mov_b32_e32 v23, 0
	s_and_saveexec_b64 s[4:5], vcc
	s_cbranch_execz .LBB663_27
; %bb.22:                               ;   in Loop: Header=BB663_15 Depth=1
	v_cmp_ne_u16_e32 vcc, s13, v30
	v_bfrev_b32_e32 v23, 1
	s_and_saveexec_b64 s[6:7], vcc
	s_cbranch_execz .LBB663_26
; %bb.23:                               ;   in Loop: Header=BB663_15 Depth=1
	v_and_b32_e32 v32, 0x7f, v30
	v_cmp_ne_u32_e32 vcc, s14, v32
	v_mov_b32_e32 v23, 0x7f800001
	s_and_saveexec_b64 s[10:11], vcc
	s_cbranch_execz .LBB663_25
; %bb.24:                               ;   in Loop: Header=BB663_15 Depth=1
	v_and_b32_e32 v23, 7, v30
	v_ffbh_u32_e32 v34, v23
	v_min_u32_e32 v37, 32, v34
	v_subrev_u32_e32 v34, 28, v37
	v_lshlrev_b64 v[34:35], v34, v[30:31]
	v_lshrrev_b32_e32 v36, 3, v32
	v_sub_u32_e32 v30, 29, v37
	v_and_b32_e32 v34, 7, v34
	v_cmp_gt_u32_e32 vcc, 8, v32
	v_cndmask_b32_e32 v30, v36, v30, vcc
	v_cndmask_b32_e32 v23, v23, v34, vcc
	v_lshlrev_b32_e32 v32, 16, v20
	v_lshlrev_b32_e32 v23, 20, v23
	v_and_b32_e32 v32, 0x80000000, v32
	v_lshl_add_u32 v30, v30, 23, v33
	v_or3_b32 v23, v32, v30, v23
.LBB663_25:                             ;   in Loop: Header=BB663_15 Depth=1
	s_or_b64 exec, exec, s[10:11]
.LBB663_26:                             ;   in Loop: Header=BB663_15 Depth=1
	s_or_b64 exec, exec, s[6:7]
.LBB663_27:                             ;   in Loop: Header=BB663_15 Depth=1
	s_or_b64 exec, exec, s[4:5]
	v_lshrrev_b32_e32 v30, 16, v20
	v_cmp_ne_u16_sdwa s[6:7], v30, v29 src0_sel:BYTE_0 src1_sel:DWORD
	s_and_saveexec_b64 s[4:5], s[6:7]
	s_cbranch_execz .LBB663_33
; %bb.28:                               ;   in Loop: Header=BB663_15 Depth=1
	v_cmp_ne_u16_sdwa s[10:11], v30, s13 src0_sel:BYTE_0 src1_sel:DWORD
	v_bfrev_b32_e32 v21, 1
	s_and_saveexec_b64 s[6:7], s[10:11]
	s_cbranch_execz .LBB663_32
; %bb.29:                               ;   in Loop: Header=BB663_15 Depth=1
	v_bfe_u32 v32, v20, 16, 7
	v_cmp_ne_u32_e32 vcc, s14, v32
	v_mov_b32_e32 v21, 0x7f800001
	s_and_saveexec_b64 s[10:11], vcc
	s_cbranch_execz .LBB663_31
; %bb.30:                               ;   in Loop: Header=BB663_15 Depth=1
	v_and_b32_e32 v21, 7, v30
	v_ffbh_u32_e32 v34, v21
	v_min_u32_e32 v37, 32, v34
	v_subrev_u32_e32 v34, 28, v37
	v_lshlrev_b64 v[34:35], v34, v[30:31]
	v_lshrrev_b32_e32 v36, 3, v32
	v_sub_u32_e32 v35, 29, v37
	v_and_b32_e32 v34, 7, v34
	v_cmp_gt_u32_e32 vcc, 8, v32
	v_cndmask_b32_e32 v32, v36, v35, vcc
	v_cndmask_b32_e32 v21, v21, v34, vcc
	v_lshlrev_b32_e32 v30, 24, v30
	v_lshlrev_b32_e32 v21, 20, v21
	v_and_b32_e32 v30, 0x80000000, v30
	v_lshl_add_u32 v32, v32, 23, v33
	v_or3_b32 v21, v30, v32, v21
.LBB663_31:                             ;   in Loop: Header=BB663_15 Depth=1
	s_or_b64 exec, exec, s[10:11]
.LBB663_32:                             ;   in Loop: Header=BB663_15 Depth=1
	s_or_b64 exec, exec, s[6:7]
.LBB663_33:                             ;   in Loop: Header=BB663_15 Depth=1
	s_or_b64 exec, exec, s[4:5]
	v_cmp_lt_u32_e32 vcc, s15, v20
	v_mov_b32_e32 v34, 0
	v_mov_b32_e32 v35, 0
	s_and_saveexec_b64 s[4:5], vcc
	s_cbranch_execz .LBB663_39
; %bb.34:                               ;   in Loop: Header=BB663_15 Depth=1
	v_lshrrev_b32_e32 v30, 24, v20
	v_cmp_ne_u32_e32 vcc, s13, v30
	v_bfrev_b32_e32 v35, 1
	s_and_saveexec_b64 s[6:7], vcc
	s_cbranch_execz .LBB663_38
; %bb.35:                               ;   in Loop: Header=BB663_15 Depth=1
	v_bfe_u32 v20, v20, 24, 7
	v_cmp_ne_u32_e32 vcc, s14, v20
	v_mov_b32_e32 v35, 0x7f800001
	s_and_saveexec_b64 s[10:11], vcc
	s_cbranch_execz .LBB663_37
; %bb.36:                               ;   in Loop: Header=BB663_15 Depth=1
	v_and_b32_e32 v32, 7, v30
	v_ffbh_u32_e32 v36, v32
	v_min_u32_e32 v38, 32, v36
	v_subrev_u32_e32 v36, 28, v38
	v_lshlrev_b64 v[36:37], v36, v[30:31]
	v_lshrrev_b32_e32 v35, 3, v20
	v_sub_u32_e32 v37, 29, v38
	v_and_b32_e32 v36, 7, v36
	v_cmp_gt_u32_e32 vcc, 8, v20
	v_cndmask_b32_e32 v20, v35, v37, vcc
	v_cndmask_b32_e32 v32, v32, v36, vcc
	v_lshlrev_b32_e32 v30, 24, v30
	v_lshlrev_b32_e32 v32, 20, v32
	v_and_b32_e32 v30, 0x80000000, v30
	v_lshl_add_u32 v20, v20, 23, v33
	v_or3_b32 v35, v30, v20, v32
.LBB663_37:                             ;   in Loop: Header=BB663_15 Depth=1
	s_or_b64 exec, exec, s[10:11]
.LBB663_38:                             ;   in Loop: Header=BB663_15 Depth=1
	s_or_b64 exec, exec, s[6:7]
.LBB663_39:                             ;   in Loop: Header=BB663_15 Depth=1
	s_or_b64 exec, exec, s[4:5]
	s_waitcnt vmcnt(2)
	v_cmp_ne_u16_sdwa s[6:7], v18, v29 src0_sel:BYTE_0 src1_sel:DWORD
	s_and_saveexec_b64 s[4:5], s[6:7]
	s_cbranch_execz .LBB663_45
; %bb.40:                               ;   in Loop: Header=BB663_15 Depth=1
	v_cmp_ne_u16_sdwa s[10:11], v18, s13 src0_sel:BYTE_0 src1_sel:DWORD
	v_bfrev_b32_e32 v34, 1
	s_and_saveexec_b64 s[6:7], s[10:11]
	s_cbranch_execz .LBB663_44
; %bb.41:                               ;   in Loop: Header=BB663_15 Depth=1
	v_and_b32_e32 v20, 0x7f, v18
	v_cmp_ne_u32_e32 vcc, s14, v20
	v_mov_b32_e32 v34, 0x7f800001
	s_and_saveexec_b64 s[10:11], vcc
	s_cbranch_execz .LBB663_43
; %bb.42:                               ;   in Loop: Header=BB663_15 Depth=1
	v_and_b32_e32 v30, 7, v18
	v_ffbh_u32_e32 v34, v30
	v_min_u32_e32 v34, 32, v34
	v_subrev_u32_e32 v36, 28, v34
	v_lshlrev_b64 v[36:37], v36, v[18:19]
	v_lshrrev_b32_e32 v32, 3, v20
	v_sub_u32_e32 v34, 29, v34
	v_and_b32_e32 v36, 7, v36
	v_cmp_gt_u32_e32 vcc, 8, v20
	v_cndmask_b32_e32 v20, v32, v34, vcc
	v_cndmask_b32_e32 v30, v30, v36, vcc
	v_lshlrev_b32_e32 v32, 24, v18
	v_lshlrev_b32_e32 v30, 20, v30
	v_and_b32_e32 v32, 0x80000000, v32
	v_lshl_add_u32 v20, v20, 23, v33
	v_or3_b32 v34, v32, v20, v30
.LBB663_43:                             ;   in Loop: Header=BB663_15 Depth=1
	s_or_b64 exec, exec, s[10:11]
.LBB663_44:                             ;   in Loop: Header=BB663_15 Depth=1
	s_or_b64 exec, exec, s[6:7]
.LBB663_45:                             ;   in Loop: Header=BB663_15 Depth=1
	s_or_b64 exec, exec, s[4:5]
	v_lshrrev_b16_e32 v20, 8, v18
	v_cmp_ne_u16_e32 vcc, 0, v20
	v_mov_b32_e32 v30, 0
	v_mov_b32_e32 v36, 0
	s_and_saveexec_b64 s[4:5], vcc
	s_cbranch_execz .LBB663_51
; %bb.46:                               ;   in Loop: Header=BB663_15 Depth=1
	v_cmp_ne_u16_e32 vcc, s13, v20
	v_bfrev_b32_e32 v36, 1
	s_and_saveexec_b64 s[6:7], vcc
	s_cbranch_execz .LBB663_50
; %bb.47:                               ;   in Loop: Header=BB663_15 Depth=1
	v_and_b32_e32 v32, 0x7f, v20
	v_cmp_ne_u32_e32 vcc, s14, v32
	v_mov_b32_e32 v36, 0x7f800001
	s_and_saveexec_b64 s[10:11], vcc
	s_cbranch_execz .LBB663_49
; %bb.48:                               ;   in Loop: Header=BB663_15 Depth=1
	v_and_b32_e32 v38, 7, v20
	v_ffbh_u32_e32 v36, v38
	v_min_u32_e32 v42, 32, v36
	v_subrev_u32_e32 v36, 28, v42
	v_lshlrev_b64 v[36:37], v36, v[20:21]
	v_lshrrev_b32_e32 v40, 3, v32
	v_sub_u32_e32 v20, 29, v42
	v_and_b32_e32 v36, 7, v36
	v_cmp_gt_u32_e32 vcc, 8, v32
	v_cndmask_b32_e32 v20, v40, v20, vcc
	v_cndmask_b32_e32 v32, v38, v36, vcc
	v_lshlrev_b32_e32 v36, 16, v18
	v_lshlrev_b32_e32 v32, 20, v32
	v_and_b32_e32 v36, 0x80000000, v36
	v_lshl_add_u32 v20, v20, 23, v33
	v_or3_b32 v36, v36, v20, v32
.LBB663_49:                             ;   in Loop: Header=BB663_15 Depth=1
	s_or_b64 exec, exec, s[10:11]
.LBB663_50:                             ;   in Loop: Header=BB663_15 Depth=1
	s_or_b64 exec, exec, s[6:7]
.LBB663_51:                             ;   in Loop: Header=BB663_15 Depth=1
	s_or_b64 exec, exec, s[4:5]
	v_lshrrev_b32_e32 v20, 16, v18
	v_cmp_ne_u16_sdwa s[6:7], v20, v29 src0_sel:BYTE_0 src1_sel:DWORD
	s_and_saveexec_b64 s[4:5], s[6:7]
	s_cbranch_execz .LBB663_57
; %bb.52:                               ;   in Loop: Header=BB663_15 Depth=1
	v_cmp_ne_u16_sdwa s[10:11], v20, s13 src0_sel:BYTE_0 src1_sel:DWORD
	v_bfrev_b32_e32 v30, 1
	s_and_saveexec_b64 s[6:7], s[10:11]
	s_cbranch_execz .LBB663_56
; %bb.53:                               ;   in Loop: Header=BB663_15 Depth=1
	v_bfe_u32 v32, v18, 16, 7
	v_cmp_ne_u32_e32 vcc, s14, v32
	v_mov_b32_e32 v30, 0x7f800001
	s_and_saveexec_b64 s[10:11], vcc
	s_cbranch_execz .LBB663_55
; %bb.54:                               ;   in Loop: Header=BB663_15 Depth=1
	v_and_b32_e32 v30, 7, v20
	v_ffbh_u32_e32 v38, v30
	v_min_u32_e32 v38, 32, v38
	v_subrev_u32_e32 v40, 28, v38
	v_lshlrev_b64 v[42:43], v40, v[20:21]
	v_lshrrev_b32_e32 v37, 3, v32
	v_sub_u32_e32 v38, 29, v38
	v_and_b32_e32 v40, 7, v42
	v_cmp_gt_u32_e32 vcc, 8, v32
	v_cndmask_b32_e32 v32, v37, v38, vcc
	v_cndmask_b32_e32 v30, v30, v40, vcc
	v_lshlrev_b32_e32 v20, 24, v20
	v_lshlrev_b32_e32 v30, 20, v30
	v_and_b32_e32 v20, 0x80000000, v20
	v_lshl_add_u32 v32, v32, 23, v33
	v_or3_b32 v30, v20, v32, v30
.LBB663_55:                             ;   in Loop: Header=BB663_15 Depth=1
	s_or_b64 exec, exec, s[10:11]
.LBB663_56:                             ;   in Loop: Header=BB663_15 Depth=1
	s_or_b64 exec, exec, s[6:7]
.LBB663_57:                             ;   in Loop: Header=BB663_15 Depth=1
	s_or_b64 exec, exec, s[4:5]
	v_cmp_lt_u32_e32 vcc, s15, v18
	v_mov_b32_e32 v32, 0
	v_mov_b32_e32 v37, 0
	s_and_saveexec_b64 s[4:5], vcc
	s_cbranch_execz .LBB663_63
; %bb.58:                               ;   in Loop: Header=BB663_15 Depth=1
	v_lshrrev_b32_e32 v20, 24, v18
	v_cmp_ne_u32_e32 vcc, s13, v20
	v_bfrev_b32_e32 v37, 1
	s_and_saveexec_b64 s[6:7], vcc
	s_cbranch_execz .LBB663_62
; %bb.59:                               ;   in Loop: Header=BB663_15 Depth=1
	v_bfe_u32 v18, v18, 24, 7
	v_cmp_ne_u32_e32 vcc, s14, v18
	v_mov_b32_e32 v37, 0x7f800001
	s_and_saveexec_b64 s[10:11], vcc
	s_cbranch_execz .LBB663_61
; %bb.60:                               ;   in Loop: Header=BB663_15 Depth=1
	v_and_b32_e32 v37, 7, v20
	v_ffbh_u32_e32 v40, v37
	v_min_u32_e32 v40, 32, v40
	v_subrev_u32_e32 v42, 28, v40
	v_lshlrev_b64 v[42:43], v42, v[20:21]
	v_lshrrev_b32_e32 v38, 3, v18
	v_sub_u32_e32 v40, 29, v40
	v_and_b32_e32 v42, 7, v42
	v_cmp_gt_u32_e32 vcc, 8, v18
	v_cndmask_b32_e32 v18, v38, v40, vcc
	v_cndmask_b32_e32 v37, v37, v42, vcc
	v_lshlrev_b32_e32 v20, 24, v20
	v_lshlrev_b32_e32 v37, 20, v37
	v_and_b32_e32 v20, 0x80000000, v20
	v_lshl_add_u32 v18, v18, 23, v33
	v_or3_b32 v37, v20, v18, v37
.LBB663_61:                             ;   in Loop: Header=BB663_15 Depth=1
	s_or_b64 exec, exec, s[10:11]
.LBB663_62:                             ;   in Loop: Header=BB663_15 Depth=1
	s_or_b64 exec, exec, s[6:7]
.LBB663_63:                             ;   in Loop: Header=BB663_15 Depth=1
	s_or_b64 exec, exec, s[4:5]
	v_cvt_pkrtz_f16_f32 v18, v19, v23
	v_cvt_pkrtz_f16_f32 v19, v21, v35
	;; [unrolled: 1-line block ×4, first 2 shown]
	s_waitcnt vmcnt(1)
	v_cmp_ne_u16_sdwa s[6:7], v28, v29 src0_sel:BYTE_0 src1_sel:DWORD
	v_mfma_f32_16x16x16f16 v[18:21], v[18:19], v[2:3], 0
	v_mfma_f32_16x16x16f16 v[18:21], v[34:35], v[4:5], v[18:21]
	s_and_saveexec_b64 s[4:5], s[6:7]
	s_cbranch_execz .LBB663_69
; %bb.64:                               ;   in Loop: Header=BB663_15 Depth=1
	v_cmp_ne_u16_sdwa s[10:11], v28, s13 src0_sel:BYTE_0 src1_sel:DWORD
	v_bfrev_b32_e32 v32, 1
	s_and_saveexec_b64 s[6:7], s[10:11]
	s_cbranch_execz .LBB663_68
; %bb.65:                               ;   in Loop: Header=BB663_15 Depth=1
	v_and_b32_e32 v23, 0x7f, v28
	v_cmp_ne_u32_e32 vcc, s14, v23
	v_mov_b32_e32 v32, 0x7f800001
	s_and_saveexec_b64 s[10:11], vcc
	s_cbranch_execz .LBB663_67
; %bb.66:                               ;   in Loop: Header=BB663_15 Depth=1
	v_and_b32_e32 v30, 7, v28
	v_ffbh_u32_e32 v34, v30
	v_min_u32_e32 v36, 32, v34
	v_subrev_u32_e32 v34, 28, v36
	v_lshlrev_b64 v[34:35], v34, v[28:29]
	v_lshrrev_b32_e32 v32, 3, v23
	v_sub_u32_e32 v35, 29, v36
	v_and_b32_e32 v34, 7, v34
	v_cmp_gt_u32_e32 vcc, 8, v23
	v_cndmask_b32_e32 v23, v32, v35, vcc
	v_cndmask_b32_e32 v30, v30, v34, vcc
	v_lshlrev_b32_e32 v32, 24, v28
	v_lshlrev_b32_e32 v30, 20, v30
	v_and_b32_e32 v32, 0x80000000, v32
	v_lshl_add_u32 v23, v23, 23, v33
	v_or3_b32 v32, v32, v23, v30
.LBB663_67:                             ;   in Loop: Header=BB663_15 Depth=1
	s_or_b64 exec, exec, s[10:11]
.LBB663_68:                             ;   in Loop: Header=BB663_15 Depth=1
	s_or_b64 exec, exec, s[6:7]
.LBB663_69:                             ;   in Loop: Header=BB663_15 Depth=1
	s_or_b64 exec, exec, s[4:5]
	v_lshrrev_b16_e32 v30, 8, v28
	v_cmp_ne_u16_e32 vcc, 0, v30
	v_mov_b32_e32 v34, 0
	v_mov_b32_e32 v35, 0
	s_and_saveexec_b64 s[4:5], vcc
	s_cbranch_execz .LBB663_75
; %bb.70:                               ;   in Loop: Header=BB663_15 Depth=1
	v_cmp_ne_u16_e32 vcc, s13, v30
	v_bfrev_b32_e32 v35, 1
	s_and_saveexec_b64 s[6:7], vcc
	s_cbranch_execz .LBB663_74
; %bb.71:                               ;   in Loop: Header=BB663_15 Depth=1
	v_and_b32_e32 v23, 0x7f, v30
	v_cmp_ne_u32_e32 vcc, s14, v23
	v_mov_b32_e32 v35, 0x7f800001
	s_and_saveexec_b64 s[10:11], vcc
	s_cbranch_execz .LBB663_73
; %bb.72:                               ;   in Loop: Header=BB663_15 Depth=1
	v_and_b32_e32 v35, 7, v30
	v_ffbh_u32_e32 v36, v35
	v_min_u32_e32 v40, 32, v36
	v_subrev_u32_e32 v36, 28, v40
	v_lshlrev_b64 v[36:37], v36, v[30:31]
	v_lshrrev_b32_e32 v38, 3, v23
	v_sub_u32_e32 v30, 29, v40
	v_and_b32_e32 v36, 7, v36
	v_cmp_gt_u32_e32 vcc, 8, v23
	v_cndmask_b32_e32 v23, v38, v30, vcc
	v_cndmask_b32_e32 v30, v35, v36, vcc
	v_lshlrev_b32_e32 v35, 16, v28
	v_lshlrev_b32_e32 v30, 20, v30
	v_and_b32_e32 v35, 0x80000000, v35
	v_lshl_add_u32 v23, v23, 23, v33
	v_or3_b32 v35, v35, v23, v30
.LBB663_73:                             ;   in Loop: Header=BB663_15 Depth=1
	s_or_b64 exec, exec, s[10:11]
.LBB663_74:                             ;   in Loop: Header=BB663_15 Depth=1
	s_or_b64 exec, exec, s[6:7]
.LBB663_75:                             ;   in Loop: Header=BB663_15 Depth=1
	s_or_b64 exec, exec, s[4:5]
	v_lshrrev_b32_e32 v30, 16, v28
	v_cmp_ne_u16_sdwa s[6:7], v30, v29 src0_sel:BYTE_0 src1_sel:DWORD
	s_and_saveexec_b64 s[4:5], s[6:7]
	s_cbranch_execz .LBB663_81
; %bb.76:                               ;   in Loop: Header=BB663_15 Depth=1
	v_cmp_ne_u16_sdwa s[10:11], v30, s13 src0_sel:BYTE_0 src1_sel:DWORD
	v_bfrev_b32_e32 v34, 1
	s_and_saveexec_b64 s[6:7], s[10:11]
	s_cbranch_execz .LBB663_80
; %bb.77:                               ;   in Loop: Header=BB663_15 Depth=1
	v_bfe_u32 v23, v28, 16, 7
	v_cmp_ne_u32_e32 vcc, s14, v23
	v_mov_b32_e32 v34, 0x7f800001
	s_and_saveexec_b64 s[10:11], vcc
	s_cbranch_execz .LBB663_79
; %bb.78:                               ;   in Loop: Header=BB663_15 Depth=1
	v_and_b32_e32 v34, 7, v30
	v_ffbh_u32_e32 v36, v34
	v_min_u32_e32 v40, 32, v36
	v_subrev_u32_e32 v36, 28, v40
	v_lshlrev_b64 v[36:37], v36, v[30:31]
	v_lshrrev_b32_e32 v38, 3, v23
	v_sub_u32_e32 v37, 29, v40
	v_and_b32_e32 v36, 7, v36
	v_cmp_gt_u32_e32 vcc, 8, v23
	v_cndmask_b32_e32 v23, v38, v37, vcc
	v_cndmask_b32_e32 v34, v34, v36, vcc
	v_lshlrev_b32_e32 v30, 24, v30
	v_lshlrev_b32_e32 v34, 20, v34
	v_and_b32_e32 v30, 0x80000000, v30
	v_lshl_add_u32 v23, v23, 23, v33
	v_or3_b32 v34, v30, v23, v34
.LBB663_79:                             ;   in Loop: Header=BB663_15 Depth=1
	s_or_b64 exec, exec, s[10:11]
.LBB663_80:                             ;   in Loop: Header=BB663_15 Depth=1
	s_or_b64 exec, exec, s[6:7]
.LBB663_81:                             ;   in Loop: Header=BB663_15 Depth=1
	s_or_b64 exec, exec, s[4:5]
	v_cmp_lt_u32_e32 vcc, s15, v28
	v_mov_b32_e32 v36, 0
	v_mov_b32_e32 v37, 0
	s_and_saveexec_b64 s[4:5], vcc
	s_cbranch_execz .LBB663_87
; %bb.82:                               ;   in Loop: Header=BB663_15 Depth=1
	v_lshrrev_b32_e32 v30, 24, v28
	v_cmp_ne_u32_e32 vcc, s13, v30
	v_bfrev_b32_e32 v37, 1
	s_and_saveexec_b64 s[6:7], vcc
	s_cbranch_execz .LBB663_86
; %bb.83:                               ;   in Loop: Header=BB663_15 Depth=1
	v_bfe_u32 v23, v28, 24, 7
	v_cmp_ne_u32_e32 vcc, s14, v23
	v_mov_b32_e32 v37, 0x7f800001
	s_and_saveexec_b64 s[10:11], vcc
	s_cbranch_execz .LBB663_85
; %bb.84:                               ;   in Loop: Header=BB663_15 Depth=1
	v_and_b32_e32 v28, 7, v30
	v_ffbh_u32_e32 v38, v28
	v_min_u32_e32 v38, 32, v38
	v_subrev_u32_e32 v40, 28, v38
	v_lshlrev_b64 v[42:43], v40, v[30:31]
	v_lshrrev_b32_e32 v37, 3, v23
	v_sub_u32_e32 v38, 29, v38
	v_and_b32_e32 v40, 7, v42
	v_cmp_gt_u32_e32 vcc, 8, v23
	v_cndmask_b32_e32 v23, v37, v38, vcc
	v_cndmask_b32_e32 v28, v28, v40, vcc
	v_lshlrev_b32_e32 v30, 24, v30
	v_lshlrev_b32_e32 v28, 20, v28
	v_and_b32_e32 v30, 0x80000000, v30
	v_lshl_add_u32 v23, v23, 23, v33
	v_or3_b32 v37, v30, v23, v28
.LBB663_85:                             ;   in Loop: Header=BB663_15 Depth=1
	s_or_b64 exec, exec, s[10:11]
.LBB663_86:                             ;   in Loop: Header=BB663_15 Depth=1
	s_or_b64 exec, exec, s[6:7]
.LBB663_87:                             ;   in Loop: Header=BB663_15 Depth=1
	s_or_b64 exec, exec, s[4:5]
	s_waitcnt vmcnt(0)
	v_cmp_ne_u16_sdwa s[6:7], v26, v29 src0_sel:BYTE_0 src1_sel:DWORD
	s_and_saveexec_b64 s[4:5], s[6:7]
	s_cbranch_execz .LBB663_93
; %bb.88:                               ;   in Loop: Header=BB663_15 Depth=1
	v_cmp_ne_u16_sdwa s[10:11], v26, s13 src0_sel:BYTE_0 src1_sel:DWORD
	v_bfrev_b32_e32 v36, 1
	s_and_saveexec_b64 s[6:7], s[10:11]
	s_cbranch_execz .LBB663_92
; %bb.89:                               ;   in Loop: Header=BB663_15 Depth=1
	v_and_b32_e32 v23, 0x7f, v26
	v_cmp_ne_u32_e32 vcc, s14, v23
	v_mov_b32_e32 v36, 0x7f800001
	s_and_saveexec_b64 s[10:11], vcc
	s_cbranch_execz .LBB663_91
; %bb.90:                               ;   in Loop: Header=BB663_15 Depth=1
	v_and_b32_e32 v28, 7, v26
	v_ffbh_u32_e32 v36, v28
	v_min_u32_e32 v36, 32, v36
	v_subrev_u32_e32 v38, 28, v36
	v_lshlrev_b64 v[42:43], v38, v[26:27]
	v_lshrrev_b32_e32 v30, 3, v23
	v_sub_u32_e32 v36, 29, v36
	v_and_b32_e32 v38, 7, v42
	v_cmp_gt_u32_e32 vcc, 8, v23
	v_cndmask_b32_e32 v23, v30, v36, vcc
	v_cndmask_b32_e32 v28, v28, v38, vcc
	v_lshlrev_b32_e32 v30, 24, v26
	v_lshlrev_b32_e32 v28, 20, v28
	v_and_b32_e32 v30, 0x80000000, v30
	v_lshl_add_u32 v23, v23, 23, v33
	v_or3_b32 v36, v30, v23, v28
.LBB663_91:                             ;   in Loop: Header=BB663_15 Depth=1
	s_or_b64 exec, exec, s[10:11]
.LBB663_92:                             ;   in Loop: Header=BB663_15 Depth=1
	s_or_b64 exec, exec, s[6:7]
.LBB663_93:                             ;   in Loop: Header=BB663_15 Depth=1
	s_or_b64 exec, exec, s[4:5]
	v_lshrrev_b16_e32 v28, 8, v26
	v_cmp_ne_u16_e32 vcc, 0, v28
	v_mov_b32_e32 v38, 0
	v_mov_b32_e32 v40, 0
	s_and_saveexec_b64 s[4:5], vcc
	s_cbranch_execz .LBB663_99
; %bb.94:                               ;   in Loop: Header=BB663_15 Depth=1
	v_cmp_ne_u16_e32 vcc, s13, v28
	v_bfrev_b32_e32 v40, 1
	s_and_saveexec_b64 s[6:7], vcc
	s_cbranch_execz .LBB663_98
; %bb.95:                               ;   in Loop: Header=BB663_15 Depth=1
	v_and_b32_e32 v23, 0x7f, v28
	v_cmp_ne_u32_e32 vcc, s14, v23
	v_mov_b32_e32 v40, 0x7f800001
	s_and_saveexec_b64 s[10:11], vcc
	s_cbranch_execz .LBB663_97
; %bb.96:                               ;   in Loop: Header=BB663_15 Depth=1
	v_and_b32_e32 v30, 7, v28
	v_ffbh_u32_e32 v42, v30
	v_min_u32_e32 v44, 32, v42
	v_subrev_u32_e32 v42, 28, v44
	v_lshlrev_b64 v[42:43], v42, v[28:29]
	v_lshrrev_b32_e32 v40, 3, v23
	v_sub_u32_e32 v28, 29, v44
	v_and_b32_e32 v42, 7, v42
	v_cmp_gt_u32_e32 vcc, 8, v23
	v_cndmask_b32_e32 v23, v40, v28, vcc
	v_cndmask_b32_e32 v28, v30, v42, vcc
	v_lshlrev_b32_e32 v30, 16, v26
	v_lshlrev_b32_e32 v28, 20, v28
	v_and_b32_e32 v30, 0x80000000, v30
	v_lshl_add_u32 v23, v23, 23, v33
	v_or3_b32 v40, v30, v23, v28
.LBB663_97:                             ;   in Loop: Header=BB663_15 Depth=1
	s_or_b64 exec, exec, s[10:11]
.LBB663_98:                             ;   in Loop: Header=BB663_15 Depth=1
	s_or_b64 exec, exec, s[6:7]
.LBB663_99:                             ;   in Loop: Header=BB663_15 Depth=1
	s_or_b64 exec, exec, s[4:5]
	v_lshrrev_b32_e32 v28, 16, v26
	v_cmp_ne_u16_sdwa s[6:7], v28, v29 src0_sel:BYTE_0 src1_sel:DWORD
	s_and_saveexec_b64 s[4:5], s[6:7]
	s_cbranch_execz .LBB663_105
; %bb.100:                              ;   in Loop: Header=BB663_15 Depth=1
	v_cmp_ne_u16_sdwa s[10:11], v28, s13 src0_sel:BYTE_0 src1_sel:DWORD
	v_bfrev_b32_e32 v38, 1
	s_and_saveexec_b64 s[6:7], s[10:11]
	s_cbranch_execz .LBB663_104
; %bb.101:                              ;   in Loop: Header=BB663_15 Depth=1
	v_bfe_u32 v23, v26, 16, 7
	v_cmp_ne_u32_e32 vcc, s14, v23
	v_mov_b32_e32 v38, 0x7f800001
	s_and_saveexec_b64 s[10:11], vcc
	s_cbranch_execz .LBB663_103
; %bb.102:                              ;   in Loop: Header=BB663_15 Depth=1
	v_and_b32_e32 v30, 7, v28
	v_ffbh_u32_e32 v42, v30
	v_min_u32_e32 v44, 32, v42
	v_subrev_u32_e32 v42, 28, v44
	v_lshlrev_b64 v[42:43], v42, v[28:29]
	v_lshrrev_b32_e32 v38, 3, v23
	v_sub_u32_e32 v43, 29, v44
	v_and_b32_e32 v42, 7, v42
	v_cmp_gt_u32_e32 vcc, 8, v23
	v_cndmask_b32_e32 v23, v38, v43, vcc
	v_cndmask_b32_e32 v30, v30, v42, vcc
	v_lshlrev_b32_e32 v28, 24, v28
	v_lshlrev_b32_e32 v30, 20, v30
	v_and_b32_e32 v28, 0x80000000, v28
	v_lshl_add_u32 v23, v23, 23, v33
	v_or3_b32 v38, v28, v23, v30
.LBB663_103:                            ;   in Loop: Header=BB663_15 Depth=1
	s_or_b64 exec, exec, s[10:11]
.LBB663_104:                            ;   in Loop: Header=BB663_15 Depth=1
	s_or_b64 exec, exec, s[6:7]
.LBB663_105:                            ;   in Loop: Header=BB663_15 Depth=1
	s_or_b64 exec, exec, s[4:5]
	v_cmp_lt_u32_e32 vcc, s15, v26
	v_mov_b32_e32 v23, 0
	v_mov_b32_e32 v42, 0
	s_and_saveexec_b64 s[4:5], vcc
	s_cbranch_execz .LBB663_111
; %bb.106:                              ;   in Loop: Header=BB663_15 Depth=1
	v_lshrrev_b32_e32 v28, 24, v26
	v_cmp_ne_u32_e32 vcc, s13, v28
	v_bfrev_b32_e32 v42, 1
	s_and_saveexec_b64 s[6:7], vcc
	s_cbranch_execz .LBB663_110
; %bb.107:                              ;   in Loop: Header=BB663_15 Depth=1
	v_bfe_u32 v26, v26, 24, 7
	v_cmp_ne_u32_e32 vcc, s14, v26
	v_mov_b32_e32 v42, 0x7f800001
	s_and_saveexec_b64 s[10:11], vcc
	s_cbranch_execz .LBB663_109
; %bb.108:                              ;   in Loop: Header=BB663_15 Depth=1
	v_and_b32_e32 v30, 7, v28
	v_ffbh_u32_e32 v42, v30
	v_min_u32_e32 v45, 32, v42
	v_subrev_u32_e32 v42, 28, v45
	v_lshlrev_b64 v[42:43], v42, v[28:29]
	v_lshrrev_b32_e32 v44, 3, v26
	v_sub_u32_e32 v43, 29, v45
	v_and_b32_e32 v42, 7, v42
	v_cmp_gt_u32_e32 vcc, 8, v26
	v_cndmask_b32_e32 v26, v44, v43, vcc
	v_cndmask_b32_e32 v30, v30, v42, vcc
	v_lshlrev_b32_e32 v28, 24, v28
	v_lshlrev_b32_e32 v30, 20, v30
	v_and_b32_e32 v28, 0x80000000, v28
	v_lshl_add_u32 v26, v26, 23, v33
	v_or3_b32 v42, v28, v26, v30
.LBB663_109:                            ;   in Loop: Header=BB663_15 Depth=1
	s_or_b64 exec, exec, s[10:11]
.LBB663_110:                            ;   in Loop: Header=BB663_15 Depth=1
	s_or_b64 exec, exec, s[6:7]
.LBB663_111:                            ;   in Loop: Header=BB663_15 Depth=1
	s_or_b64 exec, exec, s[4:5]
	v_cvt_pkrtz_f16_f32 v44, v32, v35
	buffer_load_dword v32, v27, s[0:3], 0 offen offset:16
	buffer_load_dword v30, v27, s[0:3], 0 offen offset:20
	buffer_load_dword v28, v27, s[0:3], 0 offen offset:24
	buffer_load_dword v26, v27, s[0:3], 0 offen offset:28
	v_cvt_pkrtz_f16_f32 v45, v34, v37
	v_cvt_pkrtz_f16_f32 v34, v36, v40
	;; [unrolled: 1-line block ×3, first 2 shown]
	v_mfma_f32_16x16x16f16 v[18:21], v[44:45], v[6:7], v[18:21]
	s_waitcnt vmcnt(3)
	v_cmp_ne_u16_sdwa s[6:7], v32, v29 src0_sel:BYTE_0 src1_sel:DWORD
	v_mfma_f32_16x16x16f16 v[18:21], v[34:35], v[8:9], v[18:21]
	s_and_saveexec_b64 s[4:5], s[6:7]
	s_cbranch_execz .LBB663_117
; %bb.112:                              ;   in Loop: Header=BB663_15 Depth=1
	v_cmp_ne_u16_sdwa s[10:11], v32, s13 src0_sel:BYTE_0 src1_sel:DWORD
	v_bfrev_b32_e32 v23, 1
	s_and_saveexec_b64 s[6:7], s[10:11]
	s_cbranch_execz .LBB663_116
; %bb.113:                              ;   in Loop: Header=BB663_15 Depth=1
	v_and_b32_e32 v34, 0x7f, v32
	v_cmp_ne_u32_e32 vcc, s14, v34
	v_mov_b32_e32 v23, 0x7f800001
	s_and_saveexec_b64 s[10:11], vcc
	s_cbranch_execz .LBB663_115
; %bb.114:                              ;   in Loop: Header=BB663_15 Depth=1
	v_and_b32_e32 v23, 7, v32
	v_ffbh_u32_e32 v36, v23
	v_min_u32_e32 v38, 32, v36
	v_subrev_u32_e32 v36, 28, v38
	v_lshlrev_b64 v[36:37], v36, v[32:33]
	v_lshrrev_b32_e32 v35, 3, v34
	v_sub_u32_e32 v37, 29, v38
	v_and_b32_e32 v36, 7, v36
	v_cmp_gt_u32_e32 vcc, 8, v34
	v_cndmask_b32_e32 v34, v35, v37, vcc
	v_cndmask_b32_e32 v23, v23, v36, vcc
	v_lshlrev_b32_e32 v35, 24, v32
	v_lshlrev_b32_e32 v23, 20, v23
	v_and_b32_e32 v35, 0x80000000, v35
	v_lshl_add_u32 v34, v34, 23, v33
	v_or3_b32 v23, v35, v34, v23
.LBB663_115:                            ;   in Loop: Header=BB663_15 Depth=1
	s_or_b64 exec, exec, s[10:11]
.LBB663_116:                            ;   in Loop: Header=BB663_15 Depth=1
	s_or_b64 exec, exec, s[6:7]
.LBB663_117:                            ;   in Loop: Header=BB663_15 Depth=1
	s_or_b64 exec, exec, s[4:5]
	v_lshrrev_b16_e32 v34, 8, v32
	v_cmp_ne_u16_e32 vcc, 0, v34
	v_mov_b32_e32 v35, 0
	v_mov_b32_e32 v36, 0
	s_and_saveexec_b64 s[4:5], vcc
	s_cbranch_execz .LBB663_123
; %bb.118:                              ;   in Loop: Header=BB663_15 Depth=1
	v_cmp_ne_u16_e32 vcc, s13, v34
	v_bfrev_b32_e32 v36, 1
	s_and_saveexec_b64 s[6:7], vcc
	s_cbranch_execz .LBB663_122
; %bb.119:                              ;   in Loop: Header=BB663_15 Depth=1
	v_and_b32_e32 v37, 0x7f, v34
	v_cmp_ne_u32_e32 vcc, s14, v37
	v_mov_b32_e32 v36, 0x7f800001
	s_and_saveexec_b64 s[10:11], vcc
	s_cbranch_execz .LBB663_121
; %bb.120:                              ;   in Loop: Header=BB663_15 Depth=1
	v_and_b32_e32 v36, 7, v34
	v_ffbh_u32_e32 v40, v36
	v_min_u32_e32 v40, 32, v40
	v_subrev_u32_e32 v42, 28, v40
	v_lshlrev_b64 v[42:43], v42, v[34:35]
	v_lshrrev_b32_e32 v38, 3, v37
	v_sub_u32_e32 v34, 29, v40
	v_and_b32_e32 v40, 7, v42
	v_cmp_gt_u32_e32 vcc, 8, v37
	v_cndmask_b32_e32 v34, v38, v34, vcc
	v_cndmask_b32_e32 v36, v36, v40, vcc
	v_lshlrev_b32_e32 v37, 16, v32
	v_lshlrev_b32_e32 v36, 20, v36
	v_and_b32_e32 v37, 0x80000000, v37
	v_lshl_add_u32 v34, v34, 23, v33
	v_or3_b32 v36, v37, v34, v36
.LBB663_121:                            ;   in Loop: Header=BB663_15 Depth=1
	s_or_b64 exec, exec, s[10:11]
.LBB663_122:                            ;   in Loop: Header=BB663_15 Depth=1
	s_or_b64 exec, exec, s[6:7]
.LBB663_123:                            ;   in Loop: Header=BB663_15 Depth=1
	s_or_b64 exec, exec, s[4:5]
	v_lshrrev_b32_e32 v34, 16, v32
	v_cmp_ne_u16_sdwa s[6:7], v34, v29 src0_sel:BYTE_0 src1_sel:DWORD
	s_and_saveexec_b64 s[4:5], s[6:7]
	s_cbranch_execz .LBB663_129
; %bb.124:                              ;   in Loop: Header=BB663_15 Depth=1
	v_cmp_ne_u16_sdwa s[10:11], v34, s13 src0_sel:BYTE_0 src1_sel:DWORD
	v_bfrev_b32_e32 v35, 1
	s_and_saveexec_b64 s[6:7], s[10:11]
	s_cbranch_execz .LBB663_128
; %bb.125:                              ;   in Loop: Header=BB663_15 Depth=1
	v_bfe_u32 v37, v32, 16, 7
	v_cmp_ne_u32_e32 vcc, s14, v37
	v_mov_b32_e32 v35, 0x7f800001
	s_and_saveexec_b64 s[10:11], vcc
	s_cbranch_execz .LBB663_127
; %bb.126:                              ;   in Loop: Header=BB663_15 Depth=1
	v_and_b32_e32 v35, 7, v34
	v_ffbh_u32_e32 v40, v35
	v_min_u32_e32 v40, 32, v40
	v_subrev_u32_e32 v42, 28, v40
	v_lshlrev_b64 v[42:43], v42, v[34:35]
	v_lshrrev_b32_e32 v38, 3, v37
	v_sub_u32_e32 v40, 29, v40
	v_and_b32_e32 v42, 7, v42
	v_cmp_gt_u32_e32 vcc, 8, v37
	v_cndmask_b32_e32 v37, v38, v40, vcc
	v_cndmask_b32_e32 v35, v35, v42, vcc
	v_lshlrev_b32_e32 v34, 24, v34
	v_lshlrev_b32_e32 v35, 20, v35
	v_and_b32_e32 v34, 0x80000000, v34
	v_lshl_add_u32 v37, v37, 23, v33
	v_or3_b32 v35, v34, v37, v35
.LBB663_127:                            ;   in Loop: Header=BB663_15 Depth=1
	s_or_b64 exec, exec, s[10:11]
.LBB663_128:                            ;   in Loop: Header=BB663_15 Depth=1
	s_or_b64 exec, exec, s[6:7]
.LBB663_129:                            ;   in Loop: Header=BB663_15 Depth=1
	s_or_b64 exec, exec, s[4:5]
	v_cmp_lt_u32_e32 vcc, s15, v32
	v_mov_b32_e32 v37, 0
	v_mov_b32_e32 v38, 0
	s_and_saveexec_b64 s[4:5], vcc
	s_cbranch_execz .LBB663_135
; %bb.130:                              ;   in Loop: Header=BB663_15 Depth=1
	v_lshrrev_b32_e32 v34, 24, v32
	v_cmp_ne_u32_e32 vcc, s13, v34
	v_bfrev_b32_e32 v38, 1
	s_and_saveexec_b64 s[6:7], vcc
	s_cbranch_execz .LBB663_134
; %bb.131:                              ;   in Loop: Header=BB663_15 Depth=1
	v_bfe_u32 v32, v32, 24, 7
	v_cmp_ne_u32_e32 vcc, s14, v32
	v_mov_b32_e32 v38, 0x7f800001
	s_and_saveexec_b64 s[10:11], vcc
	s_cbranch_execz .LBB663_133
; %bb.132:                              ;   in Loop: Header=BB663_15 Depth=1
	v_and_b32_e32 v38, 7, v34
	v_ffbh_u32_e32 v42, v38
	v_min_u32_e32 v44, 32, v42
	v_subrev_u32_e32 v42, 28, v44
	v_lshlrev_b64 v[42:43], v42, v[34:35]
	v_lshrrev_b32_e32 v40, 3, v32
	v_sub_u32_e32 v43, 29, v44
	v_and_b32_e32 v42, 7, v42
	v_cmp_gt_u32_e32 vcc, 8, v32
	v_cndmask_b32_e32 v32, v40, v43, vcc
	v_cndmask_b32_e32 v38, v38, v42, vcc
	v_lshlrev_b32_e32 v34, 24, v34
	v_lshlrev_b32_e32 v38, 20, v38
	v_and_b32_e32 v34, 0x80000000, v34
	v_lshl_add_u32 v32, v32, 23, v33
	v_or3_b32 v38, v34, v32, v38
.LBB663_133:                            ;   in Loop: Header=BB663_15 Depth=1
	s_or_b64 exec, exec, s[10:11]
.LBB663_134:                            ;   in Loop: Header=BB663_15 Depth=1
	s_or_b64 exec, exec, s[6:7]
.LBB663_135:                            ;   in Loop: Header=BB663_15 Depth=1
	s_or_b64 exec, exec, s[4:5]
	s_waitcnt vmcnt(2)
	v_cmp_ne_u16_sdwa s[6:7], v30, v29 src0_sel:BYTE_0 src1_sel:DWORD
	s_and_saveexec_b64 s[4:5], s[6:7]
	s_cbranch_execz .LBB663_141
; %bb.136:                              ;   in Loop: Header=BB663_15 Depth=1
	v_cmp_ne_u16_sdwa s[10:11], v30, s13 src0_sel:BYTE_0 src1_sel:DWORD
	v_bfrev_b32_e32 v37, 1
	s_and_saveexec_b64 s[6:7], s[10:11]
	s_cbranch_execz .LBB663_140
; %bb.137:                              ;   in Loop: Header=BB663_15 Depth=1
	v_and_b32_e32 v32, 0x7f, v30
	v_cmp_ne_u32_e32 vcc, s14, v32
	v_mov_b32_e32 v37, 0x7f800001
	s_and_saveexec_b64 s[10:11], vcc
	s_cbranch_execz .LBB663_139
; %bb.138:                              ;   in Loop: Header=BB663_15 Depth=1
	v_and_b32_e32 v34, 7, v30
	v_ffbh_u32_e32 v40, v34
	v_min_u32_e32 v40, 32, v40
	v_subrev_u32_e32 v42, 28, v40
	v_lshlrev_b64 v[42:43], v42, v[30:31]
	v_lshrrev_b32_e32 v37, 3, v32
	v_sub_u32_e32 v40, 29, v40
	v_and_b32_e32 v42, 7, v42
	v_cmp_gt_u32_e32 vcc, 8, v32
	v_cndmask_b32_e32 v32, v37, v40, vcc
	v_cndmask_b32_e32 v34, v34, v42, vcc
	v_lshlrev_b32_e32 v37, 24, v30
	v_lshlrev_b32_e32 v34, 20, v34
	v_and_b32_e32 v37, 0x80000000, v37
	v_lshl_add_u32 v32, v32, 23, v33
	v_or3_b32 v37, v37, v32, v34
.LBB663_139:                            ;   in Loop: Header=BB663_15 Depth=1
	s_or_b64 exec, exec, s[10:11]
.LBB663_140:                            ;   in Loop: Header=BB663_15 Depth=1
	s_or_b64 exec, exec, s[6:7]
.LBB663_141:                            ;   in Loop: Header=BB663_15 Depth=1
	s_or_b64 exec, exec, s[4:5]
	v_lshrrev_b16_e32 v32, 8, v30
	v_cmp_ne_u16_e32 vcc, 0, v32
	v_mov_b32_e32 v40, 0
	v_mov_b32_e32 v42, 0
	s_and_saveexec_b64 s[4:5], vcc
	s_cbranch_execz .LBB663_147
; %bb.142:                              ;   in Loop: Header=BB663_15 Depth=1
	v_cmp_ne_u16_e32 vcc, s13, v32
	v_bfrev_b32_e32 v42, 1
	s_and_saveexec_b64 s[6:7], vcc
	s_cbranch_execz .LBB663_146
; %bb.143:                              ;   in Loop: Header=BB663_15 Depth=1
	v_and_b32_e32 v34, 0x7f, v32
	v_cmp_ne_u32_e32 vcc, s14, v34
	v_mov_b32_e32 v42, 0x7f800001
	s_and_saveexec_b64 s[10:11], vcc
	s_cbranch_execz .LBB663_145
; %bb.144:                              ;   in Loop: Header=BB663_15 Depth=1
	v_and_b32_e32 v44, 7, v32
	v_ffbh_u32_e32 v42, v44
	v_min_u32_e32 v46, 32, v42
	v_subrev_u32_e32 v42, 28, v46
	v_lshlrev_b64 v[42:43], v42, v[32:33]
	v_lshrrev_b32_e32 v45, 3, v34
	v_sub_u32_e32 v32, 29, v46
	v_and_b32_e32 v42, 7, v42
	v_cmp_gt_u32_e32 vcc, 8, v34
	v_cndmask_b32_e32 v32, v45, v32, vcc
	v_cndmask_b32_e32 v34, v44, v42, vcc
	v_lshlrev_b32_e32 v42, 16, v30
	v_lshlrev_b32_e32 v34, 20, v34
	v_and_b32_e32 v42, 0x80000000, v42
	v_lshl_add_u32 v32, v32, 23, v33
	v_or3_b32 v42, v42, v32, v34
.LBB663_145:                            ;   in Loop: Header=BB663_15 Depth=1
	s_or_b64 exec, exec, s[10:11]
.LBB663_146:                            ;   in Loop: Header=BB663_15 Depth=1
	s_or_b64 exec, exec, s[6:7]
.LBB663_147:                            ;   in Loop: Header=BB663_15 Depth=1
	s_or_b64 exec, exec, s[4:5]
	v_lshrrev_b32_e32 v32, 16, v30
	v_cmp_ne_u16_sdwa s[6:7], v32, v29 src0_sel:BYTE_0 src1_sel:DWORD
	s_and_saveexec_b64 s[4:5], s[6:7]
	s_cbranch_execz .LBB663_153
; %bb.148:                              ;   in Loop: Header=BB663_15 Depth=1
	v_cmp_ne_u16_sdwa s[10:11], v32, s13 src0_sel:BYTE_0 src1_sel:DWORD
	v_bfrev_b32_e32 v40, 1
	s_and_saveexec_b64 s[6:7], s[10:11]
	s_cbranch_execz .LBB663_152
; %bb.149:                              ;   in Loop: Header=BB663_15 Depth=1
	v_bfe_u32 v34, v30, 16, 7
	v_cmp_ne_u32_e32 vcc, s14, v34
	v_mov_b32_e32 v40, 0x7f800001
	s_and_saveexec_b64 s[10:11], vcc
	s_cbranch_execz .LBB663_151
; %bb.150:                              ;   in Loop: Header=BB663_15 Depth=1
	v_and_b32_e32 v40, 7, v32
	v_ffbh_u32_e32 v44, v40
	v_min_u32_e32 v46, 32, v44
	v_subrev_u32_e32 v44, 28, v46
	v_lshlrev_b64 v[44:45], v44, v[32:33]
	v_lshrrev_b32_e32 v43, 3, v34
	v_sub_u32_e32 v45, 29, v46
	v_and_b32_e32 v44, 7, v44
	v_cmp_gt_u32_e32 vcc, 8, v34
	v_cndmask_b32_e32 v34, v43, v45, vcc
	v_cndmask_b32_e32 v40, v40, v44, vcc
	v_lshlrev_b32_e32 v32, 24, v32
	v_lshlrev_b32_e32 v40, 20, v40
	v_and_b32_e32 v32, 0x80000000, v32
	v_lshl_add_u32 v34, v34, 23, v33
	v_or3_b32 v40, v32, v34, v40
.LBB663_151:                            ;   in Loop: Header=BB663_15 Depth=1
	s_or_b64 exec, exec, s[10:11]
.LBB663_152:                            ;   in Loop: Header=BB663_15 Depth=1
	s_or_b64 exec, exec, s[6:7]
.LBB663_153:                            ;   in Loop: Header=BB663_15 Depth=1
	s_or_b64 exec, exec, s[4:5]
	v_cmp_lt_u32_e32 vcc, s15, v30
	v_mov_b32_e32 v34, 0
	v_mov_b32_e32 v43, 0
	s_and_saveexec_b64 s[4:5], vcc
	s_cbranch_execz .LBB663_159
; %bb.154:                              ;   in Loop: Header=BB663_15 Depth=1
	v_lshrrev_b32_e32 v32, 24, v30
	v_cmp_ne_u32_e32 vcc, s13, v32
	v_bfrev_b32_e32 v43, 1
	s_and_saveexec_b64 s[6:7], vcc
	s_cbranch_execz .LBB663_158
; %bb.155:                              ;   in Loop: Header=BB663_15 Depth=1
	v_bfe_u32 v30, v30, 24, 7
	v_cmp_ne_u32_e32 vcc, s14, v30
	v_mov_b32_e32 v43, 0x7f800001
	s_and_saveexec_b64 s[10:11], vcc
	s_cbranch_execz .LBB663_157
; %bb.156:                              ;   in Loop: Header=BB663_15 Depth=1
	v_and_b32_e32 v43, 7, v32
	v_ffbh_u32_e32 v44, v43
	v_min_u32_e32 v47, 32, v44
	v_subrev_u32_e32 v44, 28, v47
	v_lshlrev_b64 v[44:45], v44, v[32:33]
	v_lshrrev_b32_e32 v46, 3, v30
	v_sub_u32_e32 v45, 29, v47
	v_and_b32_e32 v44, 7, v44
	v_cmp_gt_u32_e32 vcc, 8, v30
	v_cndmask_b32_e32 v30, v46, v45, vcc
	v_cndmask_b32_e32 v43, v43, v44, vcc
	v_lshlrev_b32_e32 v32, 24, v32
	v_lshlrev_b32_e32 v43, 20, v43
	v_and_b32_e32 v32, 0x80000000, v32
	v_lshl_add_u32 v30, v30, 23, v33
	v_or3_b32 v43, v32, v30, v43
.LBB663_157:                            ;   in Loop: Header=BB663_15 Depth=1
	s_or_b64 exec, exec, s[10:11]
.LBB663_158:                            ;   in Loop: Header=BB663_15 Depth=1
	s_or_b64 exec, exec, s[6:7]
.LBB663_159:                            ;   in Loop: Header=BB663_15 Depth=1
	s_or_b64 exec, exec, s[4:5]
	v_cvt_pkrtz_f16_f32 v44, v23, v36
	v_cvt_pkrtz_f16_f32 v45, v35, v38
	;; [unrolled: 1-line block ×4, first 2 shown]
	s_waitcnt vmcnt(1)
	v_cmp_ne_u16_sdwa s[6:7], v28, v29 src0_sel:BYTE_0 src1_sel:DWORD
	v_mfma_f32_16x16x16f16 v[18:21], v[44:45], v[10:11], v[18:21]
	v_mfma_f32_16x16x16f16 v[18:21], v[36:37], v[12:13], v[18:21]
	s_and_saveexec_b64 s[4:5], s[6:7]
	s_cbranch_execz .LBB663_165
; %bb.160:                              ;   in Loop: Header=BB663_15 Depth=1
	v_cmp_ne_u16_sdwa s[10:11], v28, s13 src0_sel:BYTE_0 src1_sel:DWORD
	v_bfrev_b32_e32 v34, 1
	s_and_saveexec_b64 s[6:7], s[10:11]
	s_cbranch_execz .LBB663_164
; %bb.161:                              ;   in Loop: Header=BB663_15 Depth=1
	v_and_b32_e32 v23, 0x7f, v28
	v_cmp_ne_u32_e32 vcc, s14, v23
	v_mov_b32_e32 v34, 0x7f800001
	s_and_saveexec_b64 s[10:11], vcc
	s_cbranch_execz .LBB663_163
; %bb.162:                              ;   in Loop: Header=BB663_15 Depth=1
	v_and_b32_e32 v30, 7, v28
	v_ffbh_u32_e32 v34, v30
	v_min_u32_e32 v36, 32, v34
	v_subrev_u32_e32 v34, 28, v36
	v_lshlrev_b64 v[34:35], v34, v[28:29]
	v_lshrrev_b32_e32 v32, 3, v23
	v_sub_u32_e32 v35, 29, v36
	v_and_b32_e32 v34, 7, v34
	v_cmp_gt_u32_e32 vcc, 8, v23
	v_cndmask_b32_e32 v23, v32, v35, vcc
	v_cndmask_b32_e32 v30, v30, v34, vcc
	v_lshlrev_b32_e32 v32, 24, v28
	v_lshlrev_b32_e32 v30, 20, v30
	v_and_b32_e32 v32, 0x80000000, v32
	v_lshl_add_u32 v23, v23, 23, v33
	v_or3_b32 v34, v32, v23, v30
.LBB663_163:                            ;   in Loop: Header=BB663_15 Depth=1
	s_or_b64 exec, exec, s[10:11]
.LBB663_164:                            ;   in Loop: Header=BB663_15 Depth=1
	s_or_b64 exec, exec, s[6:7]
.LBB663_165:                            ;   in Loop: Header=BB663_15 Depth=1
	s_or_b64 exec, exec, s[4:5]
	v_lshrrev_b16_e32 v30, 8, v28
	v_cmp_ne_u16_e32 vcc, 0, v30
	v_mov_b32_e32 v23, 0
	v_mov_b32_e32 v32, 0
	s_and_saveexec_b64 s[4:5], vcc
	s_cbranch_execz .LBB663_171
; %bb.166:                              ;   in Loop: Header=BB663_15 Depth=1
	v_cmp_ne_u16_e32 vcc, s13, v30
	v_bfrev_b32_e32 v32, 1
	s_and_saveexec_b64 s[6:7], vcc
	s_cbranch_execz .LBB663_170
; %bb.167:                              ;   in Loop: Header=BB663_15 Depth=1
	v_and_b32_e32 v35, 0x7f, v30
	v_cmp_ne_u32_e32 vcc, s14, v35
	v_mov_b32_e32 v32, 0x7f800001
	s_and_saveexec_b64 s[10:11], vcc
	s_cbranch_execz .LBB663_169
; %bb.168:                              ;   in Loop: Header=BB663_15 Depth=1
	v_and_b32_e32 v32, 7, v30
	v_ffbh_u32_e32 v36, v32
	v_min_u32_e32 v40, 32, v36
	v_subrev_u32_e32 v36, 28, v40
	v_lshlrev_b64 v[36:37], v36, v[30:31]
	v_lshrrev_b32_e32 v38, 3, v35
	v_sub_u32_e32 v30, 29, v40
	v_and_b32_e32 v36, 7, v36
	v_cmp_gt_u32_e32 vcc, 8, v35
	v_cndmask_b32_e32 v30, v38, v30, vcc
	v_cndmask_b32_e32 v32, v32, v36, vcc
	v_lshlrev_b32_e32 v35, 16, v28
	v_lshlrev_b32_e32 v32, 20, v32
	v_and_b32_e32 v35, 0x80000000, v35
	v_lshl_add_u32 v30, v30, 23, v33
	v_or3_b32 v32, v35, v30, v32
.LBB663_169:                            ;   in Loop: Header=BB663_15 Depth=1
	s_or_b64 exec, exec, s[10:11]
.LBB663_170:                            ;   in Loop: Header=BB663_15 Depth=1
	s_or_b64 exec, exec, s[6:7]
.LBB663_171:                            ;   in Loop: Header=BB663_15 Depth=1
	s_or_b64 exec, exec, s[4:5]
	v_lshrrev_b32_e32 v30, 16, v28
	v_cmp_ne_u16_sdwa s[6:7], v30, v29 src0_sel:BYTE_0 src1_sel:DWORD
	s_and_saveexec_b64 s[4:5], s[6:7]
	s_cbranch_execz .LBB663_177
; %bb.172:                              ;   in Loop: Header=BB663_15 Depth=1
	v_cmp_ne_u16_sdwa s[10:11], v30, s13 src0_sel:BYTE_0 src1_sel:DWORD
	v_bfrev_b32_e32 v23, 1
	s_and_saveexec_b64 s[6:7], s[10:11]
	s_cbranch_execz .LBB663_176
; %bb.173:                              ;   in Loop: Header=BB663_15 Depth=1
	v_bfe_u32 v35, v28, 16, 7
	v_cmp_ne_u32_e32 vcc, s14, v35
	v_mov_b32_e32 v23, 0x7f800001
	s_and_saveexec_b64 s[10:11], vcc
	s_cbranch_execz .LBB663_175
; %bb.174:                              ;   in Loop: Header=BB663_15 Depth=1
	v_and_b32_e32 v23, 7, v30
	v_ffbh_u32_e32 v36, v23
	v_min_u32_e32 v40, 32, v36
	v_subrev_u32_e32 v36, 28, v40
	v_lshlrev_b64 v[36:37], v36, v[30:31]
	v_lshrrev_b32_e32 v38, 3, v35
	v_sub_u32_e32 v37, 29, v40
	v_and_b32_e32 v36, 7, v36
	v_cmp_gt_u32_e32 vcc, 8, v35
	v_cndmask_b32_e32 v35, v38, v37, vcc
	v_cndmask_b32_e32 v23, v23, v36, vcc
	v_lshlrev_b32_e32 v30, 24, v30
	v_lshlrev_b32_e32 v23, 20, v23
	v_and_b32_e32 v30, 0x80000000, v30
	v_lshl_add_u32 v35, v35, 23, v33
	v_or3_b32 v23, v30, v35, v23
.LBB663_175:                            ;   in Loop: Header=BB663_15 Depth=1
	s_or_b64 exec, exec, s[10:11]
.LBB663_176:                            ;   in Loop: Header=BB663_15 Depth=1
	s_or_b64 exec, exec, s[6:7]
.LBB663_177:                            ;   in Loop: Header=BB663_15 Depth=1
	s_or_b64 exec, exec, s[4:5]
	v_cmp_lt_u32_e32 vcc, s15, v28
	v_mov_b32_e32 v35, 0
	v_mov_b32_e32 v36, 0
	s_and_saveexec_b64 s[4:5], vcc
	s_cbranch_execz .LBB663_183
; %bb.178:                              ;   in Loop: Header=BB663_15 Depth=1
	v_lshrrev_b32_e32 v30, 24, v28
	v_cmp_ne_u32_e32 vcc, s13, v30
	v_bfrev_b32_e32 v36, 1
	s_and_saveexec_b64 s[6:7], vcc
	s_cbranch_execz .LBB663_182
; %bb.179:                              ;   in Loop: Header=BB663_15 Depth=1
	v_bfe_u32 v28, v28, 24, 7
	v_cmp_ne_u32_e32 vcc, s14, v28
	v_mov_b32_e32 v36, 0x7f800001
	s_and_saveexec_b64 s[10:11], vcc
	s_cbranch_execz .LBB663_181
; %bb.180:                              ;   in Loop: Header=BB663_15 Depth=1
	v_and_b32_e32 v38, 7, v30
	v_ffbh_u32_e32 v36, v38
	v_min_u32_e32 v42, 32, v36
	v_subrev_u32_e32 v36, 28, v42
	v_lshlrev_b64 v[36:37], v36, v[30:31]
	v_lshrrev_b32_e32 v40, 3, v28
	v_sub_u32_e32 v37, 29, v42
	v_and_b32_e32 v36, 7, v36
	v_cmp_gt_u32_e32 vcc, 8, v28
	v_cndmask_b32_e32 v28, v40, v37, vcc
	v_cndmask_b32_e32 v36, v38, v36, vcc
	v_lshlrev_b32_e32 v30, 24, v30
	v_lshlrev_b32_e32 v36, 20, v36
	v_and_b32_e32 v30, 0x80000000, v30
	v_lshl_add_u32 v28, v28, 23, v33
	v_or3_b32 v36, v30, v28, v36
.LBB663_181:                            ;   in Loop: Header=BB663_15 Depth=1
	s_or_b64 exec, exec, s[10:11]
.LBB663_182:                            ;   in Loop: Header=BB663_15 Depth=1
	s_or_b64 exec, exec, s[6:7]
.LBB663_183:                            ;   in Loop: Header=BB663_15 Depth=1
	s_or_b64 exec, exec, s[4:5]
	s_waitcnt vmcnt(0)
	v_cmp_ne_u16_sdwa s[6:7], v26, v29 src0_sel:BYTE_0 src1_sel:DWORD
	s_and_saveexec_b64 s[4:5], s[6:7]
	s_cbranch_execz .LBB663_189
; %bb.184:                              ;   in Loop: Header=BB663_15 Depth=1
	v_cmp_ne_u16_sdwa s[10:11], v26, s13 src0_sel:BYTE_0 src1_sel:DWORD
	v_bfrev_b32_e32 v35, 1
	s_and_saveexec_b64 s[6:7], s[10:11]
	s_cbranch_execz .LBB663_188
; %bb.185:                              ;   in Loop: Header=BB663_15 Depth=1
	v_and_b32_e32 v28, 0x7f, v26
	v_cmp_ne_u32_e32 vcc, s14, v28
	v_mov_b32_e32 v35, 0x7f800001
	s_and_saveexec_b64 s[10:11], vcc
	s_cbranch_execz .LBB663_187
; %bb.186:                              ;   in Loop: Header=BB663_15 Depth=1
	v_and_b32_e32 v30, 7, v26
	v_ffbh_u32_e32 v37, v30
	v_min_u32_e32 v37, 32, v37
	v_subrev_u32_e32 v38, 28, v37
	v_lshlrev_b64 v[42:43], v38, v[26:27]
	v_lshrrev_b32_e32 v35, 3, v28
	v_sub_u32_e32 v37, 29, v37
	v_and_b32_e32 v38, 7, v42
	v_cmp_gt_u32_e32 vcc, 8, v28
	v_cndmask_b32_e32 v28, v35, v37, vcc
	v_cndmask_b32_e32 v30, v30, v38, vcc
	v_lshlrev_b32_e32 v35, 24, v26
	v_lshlrev_b32_e32 v30, 20, v30
	v_and_b32_e32 v35, 0x80000000, v35
	v_lshl_add_u32 v28, v28, 23, v33
	v_or3_b32 v35, v35, v28, v30
.LBB663_187:                            ;   in Loop: Header=BB663_15 Depth=1
	s_or_b64 exec, exec, s[10:11]
.LBB663_188:                            ;   in Loop: Header=BB663_15 Depth=1
	s_or_b64 exec, exec, s[6:7]
.LBB663_189:                            ;   in Loop: Header=BB663_15 Depth=1
	s_or_b64 exec, exec, s[4:5]
	v_lshrrev_b16_e32 v28, 8, v26
	v_cmp_ne_u16_e32 vcc, 0, v28
	v_mov_b32_e32 v30, 0
	v_mov_b32_e32 v37, 0
	s_and_saveexec_b64 s[4:5], vcc
	s_cbranch_execz .LBB663_195
; %bb.190:                              ;   in Loop: Header=BB663_15 Depth=1
	v_cmp_ne_u16_e32 vcc, s13, v28
	v_bfrev_b32_e32 v37, 1
	s_and_saveexec_b64 s[6:7], vcc
	s_cbranch_execz .LBB663_194
; %bb.191:                              ;   in Loop: Header=BB663_15 Depth=1
	v_and_b32_e32 v38, 0x7f, v28
	v_cmp_ne_u32_e32 vcc, s14, v38
	v_mov_b32_e32 v37, 0x7f800001
	s_and_saveexec_b64 s[10:11], vcc
	s_cbranch_execz .LBB663_193
; %bb.192:                              ;   in Loop: Header=BB663_15 Depth=1
	v_and_b32_e32 v37, 7, v28
	v_ffbh_u32_e32 v42, v37
	v_min_u32_e32 v44, 32, v42
	v_subrev_u32_e32 v42, 28, v44
	v_lshlrev_b64 v[42:43], v42, v[28:29]
	v_lshrrev_b32_e32 v40, 3, v38
	v_sub_u32_e32 v28, 29, v44
	v_and_b32_e32 v42, 7, v42
	v_cmp_gt_u32_e32 vcc, 8, v38
	v_cndmask_b32_e32 v28, v40, v28, vcc
	v_cndmask_b32_e32 v37, v37, v42, vcc
	v_lshlrev_b32_e32 v38, 16, v26
	v_lshlrev_b32_e32 v37, 20, v37
	v_and_b32_e32 v38, 0x80000000, v38
	v_lshl_add_u32 v28, v28, 23, v33
	v_or3_b32 v37, v38, v28, v37
.LBB663_193:                            ;   in Loop: Header=BB663_15 Depth=1
	s_or_b64 exec, exec, s[10:11]
.LBB663_194:                            ;   in Loop: Header=BB663_15 Depth=1
	s_or_b64 exec, exec, s[6:7]
.LBB663_195:                            ;   in Loop: Header=BB663_15 Depth=1
	s_or_b64 exec, exec, s[4:5]
	v_lshrrev_b32_e32 v28, 16, v26
	v_cmp_ne_u16_sdwa s[6:7], v28, v29 src0_sel:BYTE_0 src1_sel:DWORD
	s_and_saveexec_b64 s[4:5], s[6:7]
	s_cbranch_execz .LBB663_201
; %bb.196:                              ;   in Loop: Header=BB663_15 Depth=1
	v_cmp_ne_u16_sdwa s[10:11], v28, s13 src0_sel:BYTE_0 src1_sel:DWORD
	v_bfrev_b32_e32 v30, 1
	s_and_saveexec_b64 s[6:7], s[10:11]
	s_cbranch_execz .LBB663_200
; %bb.197:                              ;   in Loop: Header=BB663_15 Depth=1
	v_bfe_u32 v38, v26, 16, 7
	v_cmp_ne_u32_e32 vcc, s14, v38
	v_mov_b32_e32 v30, 0x7f800001
	s_and_saveexec_b64 s[10:11], vcc
	s_cbranch_execz .LBB663_199
; %bb.198:                              ;   in Loop: Header=BB663_15 Depth=1
	v_and_b32_e32 v30, 7, v28
	v_ffbh_u32_e32 v42, v30
	v_min_u32_e32 v44, 32, v42
	v_subrev_u32_e32 v42, 28, v44
	v_lshlrev_b64 v[42:43], v42, v[28:29]
	v_lshrrev_b32_e32 v40, 3, v38
	v_sub_u32_e32 v43, 29, v44
	v_and_b32_e32 v42, 7, v42
	v_cmp_gt_u32_e32 vcc, 8, v38
	v_cndmask_b32_e32 v38, v40, v43, vcc
	v_cndmask_b32_e32 v30, v30, v42, vcc
	v_lshlrev_b32_e32 v28, 24, v28
	v_lshlrev_b32_e32 v30, 20, v30
	v_and_b32_e32 v28, 0x80000000, v28
	v_lshl_add_u32 v38, v38, 23, v33
	v_or3_b32 v30, v28, v38, v30
.LBB663_199:                            ;   in Loop: Header=BB663_15 Depth=1
	s_or_b64 exec, exec, s[10:11]
.LBB663_200:                            ;   in Loop: Header=BB663_15 Depth=1
	s_or_b64 exec, exec, s[6:7]
.LBB663_201:                            ;   in Loop: Header=BB663_15 Depth=1
	s_or_b64 exec, exec, s[4:5]
	v_cmp_lt_u32_e32 vcc, s15, v26
	v_mov_b32_e32 v38, 0
	s_and_saveexec_b64 s[4:5], vcc
	s_cbranch_execz .LBB663_14
; %bb.202:                              ;   in Loop: Header=BB663_15 Depth=1
	v_lshrrev_b32_e32 v28, 24, v26
	v_cmp_ne_u32_e32 vcc, s13, v28
	v_bfrev_b32_e32 v38, 1
	s_and_saveexec_b64 s[6:7], vcc
	s_cbranch_execz .LBB663_13
; %bb.203:                              ;   in Loop: Header=BB663_15 Depth=1
	v_bfe_u32 v26, v26, 24, 7
	v_cmp_ne_u32_e32 vcc, s14, v26
	v_mov_b32_e32 v38, 0x7f800001
	s_and_saveexec_b64 s[10:11], vcc
	s_cbranch_execz .LBB663_12
; %bb.204:                              ;   in Loop: Header=BB663_15 Depth=1
	v_and_b32_e32 v38, 7, v28
	v_ffbh_u32_e32 v42, v38
	v_min_u32_e32 v44, 32, v42
	v_subrev_u32_e32 v42, 28, v44
	v_lshlrev_b64 v[42:43], v42, v[28:29]
	v_lshrrev_b32_e32 v40, 3, v26
	v_sub_u32_e32 v43, 29, v44
	v_and_b32_e32 v42, 7, v42
	v_cmp_gt_u32_e32 vcc, 8, v26
	v_cndmask_b32_e32 v26, v40, v43, vcc
	v_cndmask_b32_e32 v38, v38, v42, vcc
	v_lshlrev_b32_e32 v28, 24, v28
	v_lshlrev_b32_e32 v38, 20, v38
	v_and_b32_e32 v28, 0x80000000, v28
	v_lshl_add_u32 v26, v26, 23, v33
	v_or3_b32 v38, v28, v26, v38
	s_branch .LBB663_12
.LBB663_205:
	buffer_load_dword v13, off, s[0:3], 0 offset:256
	buffer_load_dword v14, off, s[0:3], 0 offset:260
	;; [unrolled: 1-line block ×16, first 2 shown]
	v_and_b32_e32 v12, 0xc0, v0
	v_add_u32_e32 v12, s20, v12
	v_lshl_or_b32 v12, v1, 2, v12
	v_or_b32_e32 v23, 1, v12
	v_mov_b32_e32 v19, 0xff7fffff
	v_or_b32_e32 v24, 2, v12
	v_or_b32_e32 v25, 3, v12
	v_cmp_gt_i32_e64 s[26:27], s33, v12
	v_cmp_gt_i32_e64 s[28:29], s33, v23
	s_mov_b32 s52, 0xff7fffff
	v_or_b32_e32 v26, 16, v12
	v_or_b32_e32 v27, 17, v12
	v_or_b32_e32 v28, 18, v12
	v_or_b32_e32 v29, 19, v12
	v_or_b32_e32 v30, 32, v12
	v_or_b32_e32 v31, 33, v12
	v_or_b32_e32 v32, 34, v12
	v_or_b32_e32 v33, 35, v12
	v_or_b32_e32 v34, 48, v12
	v_or_b32_e32 v35, 49, v12
	v_or_b32_e32 v36, 50, v12
	v_or_b32_e32 v37, 51, v12
	v_cmp_gt_i32_e64 s[30:31], s33, v24
	v_cmp_gt_i32_e64 s[34:35], s33, v25
	v_mbcnt_lo_u32_b32 v20, -1, 0
	v_cmp_gt_i32_e64 s[36:37], s33, v26
	v_cmp_gt_i32_e64 s[38:39], s33, v27
	v_mbcnt_hi_u32_b32 v20, -1, v20
	v_cmp_gt_i32_e64 s[20:21], s33, v28
	v_cmp_gt_i32_e64 s[22:23], s33, v29
	v_and_b32_e32 v21, 64, v20
	v_cmp_gt_i32_e64 s[16:17], s33, v30
	v_cmp_gt_i32_e64 s[18:19], s33, v31
	v_xor_b32_e32 v22, 32, v20
	v_add_u32_e32 v21, 64, v21
	v_cmp_gt_i32_e64 s[12:13], s33, v32
	v_cmp_gt_i32_e64 s[14:15], s33, v33
	v_cmp_lt_i32_e32 vcc, v22, v21
	v_cmp_gt_i32_e64 s[6:7], s33, v34
	v_cmp_gt_i32_e64 s[10:11], s33, v35
	v_cndmask_b32_e32 v22, v20, v22, vcc
	v_cmp_gt_i32_e32 vcc, s33, v36
	v_cmp_gt_i32_e64 s[4:5], s33, v37
	v_lshlrev_b32_e32 v22, 2, v22
	s_waitcnt vmcnt(15)
	v_cndmask_b32_e64 v12, v19, v13, s[26:27]
	s_waitcnt vmcnt(14)
	v_cndmask_b32_e64 v23, v19, v14, s[28:29]
	;; [unrolled: 2-line block ×4, first 2 shown]
	v_max3_f32 v12, v12, s52, v23
	s_waitcnt vmcnt(11)
	v_cndmask_b32_e64 v26, v19, v17, s[36:37]
	s_waitcnt vmcnt(10)
	v_cndmask_b32_e64 v27, v19, v18, s[38:39]
	v_max3_f32 v12, v12, v24, v25
	s_waitcnt vmcnt(9)
	v_cndmask_b32_e64 v28, v19, v11, s[20:21]
	s_waitcnt vmcnt(8)
	v_cndmask_b32_e64 v29, v19, v10, s[22:23]
	;; [unrolled: 5-line block ×5, first 2 shown]
	v_max3_f32 v12, v12, v32, v33
	s_waitcnt vmcnt(1)
	v_cndmask_b32_e32 v36, v19, v3, vcc
	s_waitcnt vmcnt(0)
	v_cndmask_b32_e64 v19, v19, v2, s[4:5]
	v_max3_f32 v12, v12, v34, v35
	v_max3_f32 v12, v12, v36, v19
	ds_bpermute_b32 v19, v22, v12
	v_xor_b32_e32 v23, 16, v20
	v_cmp_lt_i32_e64 s[40:41], v23, v21
	v_cndmask_b32_e64 v20, v20, v23, s[40:41]
	v_lshlrev_b32_e32 v20, 2, v20
	s_waitcnt lgkmcnt(0)
	v_max_f32_e32 v19, v19, v19
	v_max_f32_e32 v12, v12, v19
	ds_bpermute_b32 v19, v20, v12
	s_waitcnt lgkmcnt(0)
	v_max_f32_e32 v19, v19, v19
	v_max_f32_e32 v12, v12, v19
	v_sub_f32_e32 v13, v13, v12
	v_sub_f32_e32 v14, v14, v12
	;; [unrolled: 1-line block ×3, first 2 shown]
	v_mul_f32_e32 v13, 0x3fb8aa3b, v13
	v_mul_f32_e32 v14, 0x3fb8aa3b, v14
	;; [unrolled: 1-line block ×3, first 2 shown]
	v_exp_f32_e32 v13, v13
	v_exp_f32_e32 v14, v14
	;; [unrolled: 1-line block ×3, first 2 shown]
	v_sub_f32_e32 v16, v16, v12
	v_cndmask_b32_e64 v13, 0, v13, s[26:27]
	v_mul_f32_e32 v16, 0x3fb8aa3b, v16
	v_cndmask_b32_e64 v14, 0, v14, s[28:29]
	v_cndmask_b32_e64 v15, 0, v15, s[30:31]
	v_add_f32_e32 v19, 0, v13
	buffer_store_dword v13, off, s[0:3], 0 offset:256
	buffer_store_dword v14, off, s[0:3], 0 offset:260
	;; [unrolled: 1-line block ×3, first 2 shown]
	v_sub_f32_e32 v13, v17, v12
	v_exp_f32_e32 v16, v16
	v_add_f32_e32 v19, v19, v14
	v_mul_f32_e32 v13, 0x3fb8aa3b, v13
	v_sub_f32_e32 v14, v18, v12
	v_exp_f32_e32 v13, v13
	v_mul_f32_e32 v14, 0x3fb8aa3b, v14
	v_sub_f32_e32 v11, v11, v12
	v_exp_f32_e32 v14, v14
	v_mul_f32_e32 v11, 0x3fb8aa3b, v11
	v_sub_f32_e32 v10, v10, v12
	v_exp_f32_e32 v11, v11
	v_mul_f32_e32 v10, 0x3fb8aa3b, v10
	v_sub_f32_e32 v9, v9, v12
	v_cndmask_b32_e64 v16, 0, v16, s[34:35]
	v_add_f32_e32 v19, v19, v15
	v_exp_f32_e32 v10, v10
	v_mul_f32_e32 v9, 0x3fb8aa3b, v9
	v_sub_f32_e32 v8, v8, v12
	v_add_f32_e32 v19, v19, v16
	v_cndmask_b32_e64 v13, 0, v13, s[36:37]
	v_exp_f32_e32 v9, v9
	v_mul_f32_e32 v8, 0x3fb8aa3b, v8
	v_sub_f32_e32 v7, v7, v12
	v_add_f32_e32 v15, v19, v13
	v_cndmask_b32_e64 v14, 0, v14, s[38:39]
	;; [unrolled: 5-line block ×5, first 2 shown]
	v_exp_f32_e32 v5, v5
	v_mul_f32_e32 v4, 0x3fb8aa3b, v4
	v_sub_f32_e32 v3, v3, v12
	buffer_store_dword v16, off, s[0:3], 0 offset:268
	buffer_store_dword v13, off, s[0:3], 0 offset:272
	buffer_store_dword v14, off, s[0:3], 0 offset:276
	buffer_store_dword v11, off, s[0:3], 0 offset:280
	buffer_store_dword v10, off, s[0:3], 0 offset:284
	v_add_f32_e32 v10, v15, v9
	v_cndmask_b32_e64 v8, 0, v8, s[18:19]
	v_exp_f32_e32 v4, v4
	v_mul_f32_e32 v3, 0x3fb8aa3b, v3
	v_sub_f32_e32 v2, v2, v12
	v_add_f32_e32 v10, v10, v8
	v_cndmask_b32_e64 v7, 0, v7, s[12:13]
	v_exp_f32_e32 v3, v3
	v_mul_f32_e32 v2, 0x3fb8aa3b, v2
	v_add_f32_e32 v10, v10, v7
	v_cndmask_b32_e64 v6, 0, v6, s[14:15]
	v_exp_f32_e32 v2, v2
	v_add_f32_e32 v10, v10, v6
	v_cndmask_b32_e64 v5, 0, v5, s[6:7]
	buffer_store_dword v9, off, s[0:3], 0 offset:288
	buffer_store_dword v8, off, s[0:3], 0 offset:292
	;; [unrolled: 1-line block ×4, first 2 shown]
	v_add_f32_e32 v6, v10, v5
	v_cndmask_b32_e64 v4, 0, v4, s[10:11]
	v_add_f32_e32 v6, v6, v4
	v_cndmask_b32_e32 v3, 0, v3, vcc
	v_add_f32_e32 v6, v6, v3
	v_cndmask_b32_e64 v2, 0, v2, s[4:5]
	v_add_f32_e32 v6, v6, v2
	ds_bpermute_b32 v7, v22, v6
	buffer_store_dword v5, off, s[0:3], 0 offset:304
	buffer_store_dword v4, off, s[0:3], 0 offset:308
	;; [unrolled: 1-line block ×4, first 2 shown]
	v_cmp_gt_u32_e32 vcc, 16, v64
	s_waitcnt lgkmcnt(0)
	s_barrier
	v_add_f32_e32 v2, v6, v7
	ds_bpermute_b32 v3, v20, v2
	s_waitcnt lgkmcnt(0)
	s_and_saveexec_b64 s[4:5], vcc
	s_cbranch_execz .LBB663_207
; %bb.206:
	v_add_f32_e32 v2, v2, v3
	v_lshlrev_b32_e32 v3, 2, v63
	ds_write2st64_b32 v3, v12, v2 offset1:1
.LBB663_207:
	s_or_b64 exec, exec, s[4:5]
	v_lshlrev_b32_e32 v2, 2, v55
	s_waitcnt lgkmcnt(0)
	s_barrier
	ds_read2_b32 v[12:13], v2 offset1:16
	ds_read2_b32 v[14:15], v2 offset0:32 offset1:48
	ds_read2_b32 v[6:7], v2 offset0:64 offset1:80
	;; [unrolled: 1-line block ×3, first 2 shown]
	s_waitcnt lgkmcnt(0)
	s_barrier
	buffer_load_dword v20, off, s[0:3], 0 offset:256
	buffer_load_dword v21, off, s[0:3], 0 offset:260
	;; [unrolled: 1-line block ×16, first 2 shown]
	v_lshlrev_b32_e32 v19, 3, v1
	v_lshlrev_b32_e32 v18, 5, v55
	v_lshlrev_b32_e32 v28, 11, v62
	v_or3_b32 v43, v28, v18, v19
	v_max3_f32 v19, v12, s52, v13
	v_max3_f32 v19, v19, v14, v15
	v_sub_f32_e32 v12, v12, v19
	v_sub_f32_e32 v13, v13, v19
	v_mul_f32_e32 v12, 0x3fb8aa3b, v12
	v_sub_f32_e32 v14, v14, v19
	v_mul_f32_e32 v13, 0x3fb8aa3b, v13
	v_exp_f32_e32 v12, v12
	v_sub_f32_e32 v15, v15, v19
	v_mul_f32_e32 v14, 0x3fb8aa3b, v14
	v_exp_f32_e32 v13, v13
	v_mul_f32_e32 v15, 0x3fb8aa3b, v15
	v_exp_f32_e32 v14, v14
	v_exp_f32_e32 v15, v15
	v_fma_f32 v6, v12, v6, 0
	v_fmac_f32_e32 v6, v13, v7
	v_fmac_f32_e32 v6, v14, v10
	;; [unrolled: 1-line block ×3, first 2 shown]
	v_cmp_eq_u32_e32 vcc, 1, v62
	v_add_f32_e32 v10, 0x358637bd, v6
	v_cndmask_b32_e32 v12, v12, v13, vcc
	v_cmp_eq_u32_e32 vcc, 2, v62
	v_div_scale_f32 v11, s[4:5], v10, v10, 1.0
	v_cndmask_b32_e32 v7, v12, v14, vcc
	v_rcp_f32_e32 v12, v11
	v_cmp_eq_u32_e32 vcc, 3, v62
	v_cndmask_b32_e32 v7, v7, v15, vcc
	v_div_scale_f32 v13, vcc, 1.0, v10, 1.0
	v_fma_f32 v14, -v11, v12, 1.0
	v_fmac_f32_e32 v12, v14, v12
	v_mul_f32_e32 v14, v13, v12
	v_fma_f32 v15, -v11, v14, v13
	v_fmac_f32_e32 v14, v15, v12
	v_fma_f32 v11, -v11, v14, v13
	v_div_fmas_f32 v11, v11, v12, v14
	v_div_fixup_f32 v10, v11, v10, 1.0
	v_mul_f32_e32 v10, v7, v10
	s_mul_i32 s18, s51, 10
	v_cmp_gt_u32_e32 vcc, 10, v0
	s_waitcnt vmcnt(14)
	v_pk_mul_f32 v[14:15], v[10:11], v[20:21] op_sel_hi:[0,1]
	v_cvt_f16_f32_e32 v7, v14
	s_waitcnt vmcnt(12)
	v_pk_mul_f32 v[12:13], v[10:11], v[22:23] op_sel_hi:[0,1]
	buffer_store_dword v14, off, s[0:3], 0 offset:256
	buffer_store_dword v15, off, s[0:3], 0 offset:260
	;; [unrolled: 1-line block ×3, first 2 shown]
	s_waitcnt vmcnt(13)
	v_pk_mul_f32 v[20:21], v[10:11], v[24:25] op_sel_hi:[0,1]
	v_cvt_f16_f32_e32 v14, v12
	s_waitcnt vmcnt(11)
	v_pk_mul_f32 v[22:23], v[10:11], v[26:27] op_sel_hi:[0,1]
	v_cvt_f16_f32_e32 v11, v15
	v_cvt_f16_f32_e32 v15, v13
	buffer_store_dword v13, off, s[0:3], 0 offset:268
	buffer_store_dword v22, off, s[0:3], 0 offset:272
	;; [unrolled: 1-line block ×3, first 2 shown]
	v_pack_b32_f16 v12, v7, v11
	v_cvt_f16_f32_e32 v11, v23
	v_pack_b32_f16 v13, v14, v15
	v_cvt_f16_f32_e32 v7, v22
	v_cvt_f16_f32_e32 v15, v20
	;; [unrolled: 1-line block ×3, first 2 shown]
	s_waitcnt vmcnt(12)
	v_pk_mul_f32 v[4:5], v[10:11], v[4:5] op_sel_hi:[0,1]
	v_pack_b32_f16 v14, v7, v11
	s_waitcnt vmcnt(10)
	v_pk_mul_f32 v[2:3], v[10:11], v[2:3] op_sel_hi:[0,1]
	v_pack_b32_f16 v15, v15, v22
	v_cvt_f16_f32_e32 v11, v5
	buffer_store_dword v20, off, s[0:3], 0 offset:280
	buffer_store_dword v21, off, s[0:3], 0 offset:284
	ds_write2st64_b64 v43, v[12:13], v[14:15] offset1:1
	buffer_store_dword v2, off, s[0:3], 0 offset:288
	buffer_store_dword v3, off, s[0:3], 0 offset:292
	v_cvt_f16_f32_e32 v2, v2
	v_cvt_f16_f32_e32 v3, v3
	;; [unrolled: 1-line block ×3, first 2 shown]
	buffer_store_dword v4, off, s[0:3], 0 offset:296
	buffer_store_dword v5, off, s[0:3], 0 offset:300
	s_waitcnt vmcnt(12)
	v_pk_mul_f32 v[4:5], v[10:11], v[16:17] op_sel_hi:[0,1]
	v_pk_mul_f32 v[8:9], v[10:11], v[8:9] op_sel_hi:[0,1]
	v_pack_b32_f16 v2, v2, v3
	v_pack_b32_f16 v3, v7, v11
	buffer_store_dword v8, off, s[0:3], 0 offset:304
	buffer_store_dword v9, off, s[0:3], 0 offset:308
	v_cvt_f16_f32_e32 v7, v8
	v_cvt_f16_f32_e32 v8, v9
	;; [unrolled: 1-line block ×4, first 2 shown]
	buffer_store_dword v4, off, s[0:3], 0 offset:312
	buffer_store_dword v5, off, s[0:3], 0 offset:316
	v_pack_b32_f16 v4, v7, v8
	v_pack_b32_f16 v5, v9, v10
	ds_write2st64_b64 v43, v[2:3], v[4:5] offset0:2 offset1:3
	s_and_saveexec_b64 s[4:5], vcc
	s_cbranch_execz .LBB663_209
; %bb.208:
	v_add_co_u32_e32 v4, vcc, s25, v55
	v_addc_co_u32_e64 v5, s[6:7], 0, 0, vcc
	v_mov_b32_e32 v2, s18
	v_mad_u64_u32 v[4:5], s[6:7], s8, v2, v[4:5]
	v_mov_b32_e32 v3, 0
	s_mul_i32 s6, s9, s18
	v_mov_b32_e32 v2, s24
	v_add_u32_e32 v5, s6, v5
	v_mad_u64_u32 v[2:3], s[6:7], v4, s50, v[2:3]
	v_mov_b32_e32 v4, v3
	v_mad_u64_u32 v[4:5], s[6:7], v5, s50, v[4:5]
	v_mov_b32_e32 v3, v4
	v_lshlrev_b64 v[2:3], 2, v[2:3]
	v_mov_b32_e32 v5, s47
	v_add_co_u32_e32 v4, vcc, s46, v2
	v_addc_co_u32_e32 v5, vcc, v5, v3, vcc
	global_store_dword v[4:5], v19, off
	v_mov_b32_e32 v4, s45
	v_add_co_u32_e32 v2, vcc, s44, v2
	v_addc_co_u32_e32 v3, vcc, v4, v3, vcc
	global_store_dword v[2:3], v6, off
.LBB663_209:
	s_or_b64 exec, exec, s[4:5]
	v_lshl_or_b32 v30, v1, 9, v18
	s_waitcnt lgkmcnt(0)
	s_barrier
	s_load_dword s4, s[42:43], 0x0
	ds_read_b128 v[2:5], v30
	ds_read_b128 v[6:9], v30 offset:16
	ds_read_b128 v[10:13], v30 offset:2048
	;; [unrolled: 1-line block ×7, first 2 shown]
	v_mov_b32_e32 v35, 0x80
	v_mov_b32_e32 v45, 0x140
	s_mov_b64 s[10:11], -1
	s_waitcnt lgkmcnt(0)
	s_mov_b32 s5, s4
	s_mov_b32 s6, s4
	;; [unrolled: 1-line block ×3, first 2 shown]
	s_movk_i32 s9, 0x80
	s_movk_i32 s19, 0x7f
	s_mov_b32 s20, 0xffffff
	v_mov_b32_e32 v47, 0
	v_bfrev_b32_e32 v48, 60
	s_branch .LBB663_213
.LBB663_210:                            ;   in Loop: Header=BB663_213 Depth=1
	s_or_b64 exec, exec, s[16:17]
.LBB663_211:                            ;   in Loop: Header=BB663_213 Depth=1
	s_or_b64 exec, exec, s[14:15]
.LBB663_212:                            ;   in Loop: Header=BB663_213 Depth=1
	s_or_b64 exec, exec, s[12:13]
	v_cvt_pkrtz_f16_f32 v40, v41, v46
	v_cvt_pkrtz_f16_f32 v41, v44, v50
	s_xor_b64 s[12:13], s[10:11], -1
	s_mov_b64 s[10:11], 0
	v_mov_b32_e32 v61, v58
	v_mfma_f32_16x16x16f16 v[62:65], v[40:41], v[30:31], v[34:37]
	v_mov_b32_e32 v60, v59
	s_and_b64 vcc, exec, s[12:13]
	s_nop 4
	v_cvt_pkrtz_f16_f32 v36, v49, v51
	v_cvt_pkrtz_f16_f32 v37, v42, v52
	v_mov_b32_e32 v35, v57
	s_nop 0
	v_mfma_f32_16x16x16f16 v[50:53], v[36:37], v[32:33], v[62:65]
	s_nop 7
	s_nop 2
	v_pk_mul_f32 v[40:41], v[50:51], s[4:5]
	v_pk_mul_f32 v[36:37], v[52:53], s[6:7]
	v_cvt_f16_f32_e32 v34, v40
	v_cvt_f16_f32_e32 v38, v41
	;; [unrolled: 1-line block ×4, first 2 shown]
	v_mov_b32_e32 v41, v39
	v_pack_b32_f16 v34, v34, v38
	v_pack_b32_f16 v36, v36, v37
	buffer_store_dword v34, v45, s[0:3], 0 offen
	buffer_store_dword v36, v45, s[0:3], 0 offen offset:4
	v_mov_b32_e32 v45, 0x148
	s_cbranch_vccnz .LBB663_595
.LBB663_213:                            ; =>This Inner Loop Header: Depth=1
	buffer_load_dword v36, v35, s[0:3], 0 offen
	buffer_load_dword v34, v35, s[0:3], 0 offen offset:4
	buffer_load_dword v40, v35, s[0:3], 0 offen offset:8
	;; [unrolled: 1-line block ×3, first 2 shown]
	v_mov_b32_e32 v35, 0
	s_waitcnt vmcnt(3)
	v_cmp_ne_u16_sdwa s[14:15], v36, v47 src0_sel:BYTE_0 src1_sel:DWORD
	s_and_saveexec_b64 s[12:13], s[14:15]
	s_cbranch_execz .LBB663_219
; %bb.214:                              ;   in Loop: Header=BB663_213 Depth=1
	v_cmp_ne_u16_sdwa s[16:17], v36, s9 src0_sel:BYTE_0 src1_sel:DWORD
	v_bfrev_b32_e32 v35, 1
	s_and_saveexec_b64 s[14:15], s[16:17]
	s_cbranch_execz .LBB663_218
; %bb.215:                              ;   in Loop: Header=BB663_213 Depth=1
	v_and_b32_e32 v37, 0x7f, v36
	v_cmp_ne_u32_e32 vcc, s19, v37
	v_mov_b32_e32 v35, 0x7f800001
	s_and_saveexec_b64 s[16:17], vcc
	s_cbranch_execz .LBB663_217
; %bb.216:                              ;   in Loop: Header=BB663_213 Depth=1
	v_and_b32_e32 v35, 7, v36
	v_ffbh_u32_e32 v44, v35
	v_min_u32_e32 v44, 32, v44
	v_subrev_u32_e32 v46, 28, v44
	v_lshlrev_b64 v[50:51], v46, v[36:37]
	v_lshrrev_b32_e32 v42, 3, v37
	v_sub_u32_e32 v44, 29, v44
	v_and_b32_e32 v46, 7, v50
	v_cmp_gt_u32_e32 vcc, 8, v37
	v_cndmask_b32_e32 v37, v42, v44, vcc
	v_cndmask_b32_e32 v35, v35, v46, vcc
	v_lshlrev_b32_e32 v42, 24, v36
	v_lshlrev_b32_e32 v35, 20, v35
	v_and_b32_e32 v42, 0x80000000, v42
	v_lshl_add_u32 v37, v37, 23, v48
	v_or3_b32 v35, v42, v37, v35
.LBB663_217:                            ;   in Loop: Header=BB663_213 Depth=1
	s_or_b64 exec, exec, s[16:17]
.LBB663_218:                            ;   in Loop: Header=BB663_213 Depth=1
	s_or_b64 exec, exec, s[14:15]
.LBB663_219:                            ;   in Loop: Header=BB663_213 Depth=1
	s_or_b64 exec, exec, s[12:13]
	v_lshrrev_b16_e32 v42, 8, v36
	v_cmp_ne_u16_e32 vcc, 0, v42
	v_mov_b32_e32 v37, 0
	s_and_saveexec_b64 s[12:13], vcc
	s_cbranch_execz .LBB663_225
; %bb.220:                              ;   in Loop: Header=BB663_213 Depth=1
	v_cmp_ne_u16_e32 vcc, s9, v42
	v_bfrev_b32_e32 v37, 1
	s_and_saveexec_b64 s[14:15], vcc
	s_cbranch_execz .LBB663_224
; %bb.221:                              ;   in Loop: Header=BB663_213 Depth=1
	v_and_b32_e32 v44, 0x7f, v42
	v_cmp_ne_u32_e32 vcc, s19, v44
	v_mov_b32_e32 v37, 0x7f800001
	s_and_saveexec_b64 s[16:17], vcc
	s_cbranch_execz .LBB663_223
; %bb.222:                              ;   in Loop: Header=BB663_213 Depth=1
	v_and_b32_e32 v37, 7, v42
	v_ffbh_u32_e32 v49, v37
	v_min_u32_e32 v49, 32, v49
	v_subrev_u32_e32 v50, 28, v49
	v_lshlrev_b64 v[50:51], v50, v[42:43]
	v_lshrrev_b32_e32 v46, 3, v44
	v_sub_u32_e32 v42, 29, v49
	v_and_b32_e32 v49, 7, v50
	v_cmp_gt_u32_e32 vcc, 8, v44
	v_cndmask_b32_e32 v42, v46, v42, vcc
	v_cndmask_b32_e32 v37, v37, v49, vcc
	v_lshlrev_b32_e32 v44, 16, v36
	v_lshlrev_b32_e32 v37, 20, v37
	v_and_b32_e32 v44, 0x80000000, v44
	v_lshl_add_u32 v42, v42, 23, v48
	v_or3_b32 v37, v44, v42, v37
.LBB663_223:                            ;   in Loop: Header=BB663_213 Depth=1
	s_or_b64 exec, exec, s[16:17]
.LBB663_224:                            ;   in Loop: Header=BB663_213 Depth=1
	s_or_b64 exec, exec, s[14:15]
.LBB663_225:                            ;   in Loop: Header=BB663_213 Depth=1
	s_or_b64 exec, exec, s[12:13]
	v_lshrrev_b32_e32 v42, 16, v36
	v_cmp_ne_u16_sdwa s[14:15], v42, v47 src0_sel:BYTE_0 src1_sel:DWORD
	v_mov_b32_e32 v46, 0
	v_mov_b32_e32 v44, 0
	s_and_saveexec_b64 s[12:13], s[14:15]
	s_cbranch_execz .LBB663_231
; %bb.226:                              ;   in Loop: Header=BB663_213 Depth=1
	v_cmp_ne_u16_sdwa s[16:17], v42, s9 src0_sel:BYTE_0 src1_sel:DWORD
	v_bfrev_b32_e32 v44, 1
	s_and_saveexec_b64 s[14:15], s[16:17]
	s_cbranch_execz .LBB663_230
; %bb.227:                              ;   in Loop: Header=BB663_213 Depth=1
	v_bfe_u32 v49, v36, 16, 7
	v_cmp_ne_u32_e32 vcc, s19, v49
	v_mov_b32_e32 v44, 0x7f800001
	s_and_saveexec_b64 s[16:17], vcc
	s_cbranch_execz .LBB663_229
; %bb.228:                              ;   in Loop: Header=BB663_213 Depth=1
	v_and_b32_e32 v44, 7, v42
	v_ffbh_u32_e32 v50, v44
	v_min_u32_e32 v53, 32, v50
	v_subrev_u32_e32 v50, 28, v53
	v_lshlrev_b64 v[50:51], v50, v[42:43]
	v_lshrrev_b32_e32 v52, 3, v49
	v_sub_u32_e32 v51, 29, v53
	v_and_b32_e32 v50, 7, v50
	v_cmp_gt_u32_e32 vcc, 8, v49
	v_cndmask_b32_e32 v49, v52, v51, vcc
	v_cndmask_b32_e32 v44, v44, v50, vcc
	v_lshlrev_b32_e32 v42, 24, v42
	v_lshlrev_b32_e32 v44, 20, v44
	v_and_b32_e32 v42, 0x80000000, v42
	v_lshl_add_u32 v49, v49, 23, v48
	v_or3_b32 v44, v42, v49, v44
.LBB663_229:                            ;   in Loop: Header=BB663_213 Depth=1
	s_or_b64 exec, exec, s[16:17]
.LBB663_230:                            ;   in Loop: Header=BB663_213 Depth=1
	s_or_b64 exec, exec, s[14:15]
.LBB663_231:                            ;   in Loop: Header=BB663_213 Depth=1
	s_or_b64 exec, exec, s[12:13]
	v_cmp_lt_u32_e32 vcc, s20, v36
	s_and_saveexec_b64 s[12:13], vcc
	s_cbranch_execz .LBB663_237
; %bb.232:                              ;   in Loop: Header=BB663_213 Depth=1
	v_lshrrev_b32_e32 v42, 24, v36
	v_cmp_ne_u32_e32 vcc, s9, v42
	v_bfrev_b32_e32 v46, 1
	s_and_saveexec_b64 s[14:15], vcc
	s_cbranch_execz .LBB663_236
; %bb.233:                              ;   in Loop: Header=BB663_213 Depth=1
	v_bfe_u32 v36, v36, 24, 7
	v_cmp_ne_u32_e32 vcc, s19, v36
	v_mov_b32_e32 v46, 0x7f800001
	s_and_saveexec_b64 s[16:17], vcc
	s_cbranch_execz .LBB663_235
; %bb.234:                              ;   in Loop: Header=BB663_213 Depth=1
	v_and_b32_e32 v46, 7, v42
	v_ffbh_u32_e32 v50, v46
	v_min_u32_e32 v52, 32, v50
	v_subrev_u32_e32 v50, 28, v52
	v_lshlrev_b64 v[50:51], v50, v[42:43]
	v_lshrrev_b32_e32 v49, 3, v36
	v_sub_u32_e32 v51, 29, v52
	v_and_b32_e32 v50, 7, v50
	v_cmp_gt_u32_e32 vcc, 8, v36
	v_cndmask_b32_e32 v36, v49, v51, vcc
	v_cndmask_b32_e32 v46, v46, v50, vcc
	v_lshlrev_b32_e32 v42, 24, v42
	v_lshlrev_b32_e32 v46, 20, v46
	v_and_b32_e32 v42, 0x80000000, v42
	v_lshl_add_u32 v36, v36, 23, v48
	v_or3_b32 v46, v42, v36, v46
.LBB663_235:                            ;   in Loop: Header=BB663_213 Depth=1
	s_or_b64 exec, exec, s[16:17]
.LBB663_236:                            ;   in Loop: Header=BB663_213 Depth=1
	s_or_b64 exec, exec, s[14:15]
.LBB663_237:                            ;   in Loop: Header=BB663_213 Depth=1
	s_or_b64 exec, exec, s[12:13]
	s_waitcnt vmcnt(2)
	v_cmp_ne_u16_sdwa s[14:15], v34, v47 src0_sel:BYTE_0 src1_sel:DWORD
	v_mov_b32_e32 v42, 0
	v_mov_b32_e32 v49, 0
	s_and_saveexec_b64 s[12:13], s[14:15]
	s_cbranch_execz .LBB663_243
; %bb.238:                              ;   in Loop: Header=BB663_213 Depth=1
	v_cmp_ne_u16_sdwa s[16:17], v34, s9 src0_sel:BYTE_0 src1_sel:DWORD
	v_bfrev_b32_e32 v49, 1
	s_and_saveexec_b64 s[14:15], s[16:17]
	s_cbranch_execz .LBB663_242
; %bb.239:                              ;   in Loop: Header=BB663_213 Depth=1
	v_and_b32_e32 v36, 0x7f, v34
	v_cmp_ne_u32_e32 vcc, s19, v36
	v_mov_b32_e32 v49, 0x7f800001
	s_and_saveexec_b64 s[16:17], vcc
	s_cbranch_execz .LBB663_241
; %bb.240:                              ;   in Loop: Header=BB663_213 Depth=1
	v_and_b32_e32 v49, 7, v34
	v_ffbh_u32_e32 v50, v49
	v_min_u32_e32 v53, 32, v50
	v_subrev_u32_e32 v50, 28, v53
	v_lshlrev_b64 v[50:51], v50, v[34:35]
	v_lshrrev_b32_e32 v52, 3, v36
	v_sub_u32_e32 v51, 29, v53
	v_and_b32_e32 v50, 7, v50
	v_cmp_gt_u32_e32 vcc, 8, v36
	v_cndmask_b32_e32 v36, v52, v51, vcc
	v_cndmask_b32_e32 v49, v49, v50, vcc
	v_lshlrev_b32_e32 v50, 24, v34
	v_lshlrev_b32_e32 v49, 20, v49
	v_and_b32_e32 v50, 0x80000000, v50
	v_lshl_add_u32 v36, v36, 23, v48
	v_or3_b32 v49, v50, v36, v49
.LBB663_241:                            ;   in Loop: Header=BB663_213 Depth=1
	s_or_b64 exec, exec, s[16:17]
.LBB663_242:                            ;   in Loop: Header=BB663_213 Depth=1
	s_or_b64 exec, exec, s[14:15]
.LBB663_243:                            ;   in Loop: Header=BB663_213 Depth=1
	s_or_b64 exec, exec, s[12:13]
	v_lshrrev_b16_e32 v36, 8, v34
	v_cmp_ne_u16_e32 vcc, 0, v36
	s_and_saveexec_b64 s[12:13], vcc
	s_cbranch_execz .LBB663_249
; %bb.244:                              ;   in Loop: Header=BB663_213 Depth=1
	v_cmp_ne_u16_e32 vcc, s9, v36
	v_bfrev_b32_e32 v42, 1
	s_and_saveexec_b64 s[14:15], vcc
	s_cbranch_execz .LBB663_248
; %bb.245:                              ;   in Loop: Header=BB663_213 Depth=1
	v_and_b32_e32 v50, 0x7f, v36
	v_cmp_ne_u32_e32 vcc, s19, v50
	v_mov_b32_e32 v42, 0x7f800001
	s_and_saveexec_b64 s[16:17], vcc
	s_cbranch_execz .LBB663_247
; %bb.246:                              ;   in Loop: Header=BB663_213 Depth=1
	v_and_b32_e32 v42, 7, v36
	v_ffbh_u32_e32 v52, v42
	v_min_u32_e32 v62, 32, v52
	v_subrev_u32_e32 v52, 28, v62
	v_lshlrev_b64 v[52:53], v52, v[36:37]
	v_lshrrev_b32_e32 v51, 3, v50
	v_sub_u32_e32 v36, 29, v62
	v_and_b32_e32 v52, 7, v52
	v_cmp_gt_u32_e32 vcc, 8, v50
	v_cndmask_b32_e32 v36, v51, v36, vcc
	v_cndmask_b32_e32 v42, v42, v52, vcc
	v_lshlrev_b32_e32 v50, 16, v34
	v_lshlrev_b32_e32 v42, 20, v42
	v_and_b32_e32 v50, 0x80000000, v50
	v_lshl_add_u32 v36, v36, 23, v48
	v_or3_b32 v42, v50, v36, v42
.LBB663_247:                            ;   in Loop: Header=BB663_213 Depth=1
	s_or_b64 exec, exec, s[16:17]
.LBB663_248:                            ;   in Loop: Header=BB663_213 Depth=1
	s_or_b64 exec, exec, s[14:15]
.LBB663_249:                            ;   in Loop: Header=BB663_213 Depth=1
	s_or_b64 exec, exec, s[12:13]
	v_lshrrev_b32_e32 v36, 16, v34
	v_cmp_ne_u16_sdwa s[14:15], v36, v47 src0_sel:BYTE_0 src1_sel:DWORD
	v_mov_b32_e32 v51, 0
	v_mov_b32_e32 v50, 0
	s_and_saveexec_b64 s[12:13], s[14:15]
	s_cbranch_execz .LBB663_255
; %bb.250:                              ;   in Loop: Header=BB663_213 Depth=1
	v_cmp_ne_u16_sdwa s[16:17], v36, s9 src0_sel:BYTE_0 src1_sel:DWORD
	v_bfrev_b32_e32 v50, 1
	s_and_saveexec_b64 s[14:15], s[16:17]
	s_cbranch_execz .LBB663_254
; %bb.251:                              ;   in Loop: Header=BB663_213 Depth=1
	v_bfe_u32 v52, v34, 16, 7
	v_cmp_ne_u32_e32 vcc, s19, v52
	v_mov_b32_e32 v50, 0x7f800001
	s_and_saveexec_b64 s[16:17], vcc
	s_cbranch_execz .LBB663_253
; %bb.252:                              ;   in Loop: Header=BB663_213 Depth=1
	v_and_b32_e32 v50, 7, v36
	v_ffbh_u32_e32 v62, v50
	v_min_u32_e32 v64, 32, v62
	v_subrev_u32_e32 v62, 28, v64
	v_lshlrev_b64 v[62:63], v62, v[36:37]
	v_lshrrev_b32_e32 v53, 3, v52
	v_sub_u32_e32 v63, 29, v64
	v_and_b32_e32 v62, 7, v62
	v_cmp_gt_u32_e32 vcc, 8, v52
	v_cndmask_b32_e32 v52, v53, v63, vcc
	v_cndmask_b32_e32 v50, v50, v62, vcc
	v_lshlrev_b32_e32 v36, 24, v36
	v_lshlrev_b32_e32 v50, 20, v50
	v_and_b32_e32 v36, 0x80000000, v36
	v_lshl_add_u32 v52, v52, 23, v48
	v_or3_b32 v50, v36, v52, v50
.LBB663_253:                            ;   in Loop: Header=BB663_213 Depth=1
	s_or_b64 exec, exec, s[16:17]
.LBB663_254:                            ;   in Loop: Header=BB663_213 Depth=1
	s_or_b64 exec, exec, s[14:15]
.LBB663_255:                            ;   in Loop: Header=BB663_213 Depth=1
	s_or_b64 exec, exec, s[12:13]
	v_cmp_lt_u32_e32 vcc, s20, v34
	s_and_saveexec_b64 s[12:13], vcc
	s_cbranch_execz .LBB663_261
; %bb.256:                              ;   in Loop: Header=BB663_213 Depth=1
	v_lshrrev_b32_e32 v36, 24, v34
	v_cmp_ne_u32_e32 vcc, s9, v36
	v_bfrev_b32_e32 v51, 1
	s_and_saveexec_b64 s[14:15], vcc
	s_cbranch_execz .LBB663_260
; %bb.257:                              ;   in Loop: Header=BB663_213 Depth=1
	v_bfe_u32 v34, v34, 24, 7
	v_cmp_ne_u32_e32 vcc, s19, v34
	v_mov_b32_e32 v51, 0x7f800001
	s_and_saveexec_b64 s[16:17], vcc
	s_cbranch_execz .LBB663_259
; %bb.258:                              ;   in Loop: Header=BB663_213 Depth=1
	v_and_b32_e32 v51, 7, v36
	v_ffbh_u32_e32 v52, v51
	v_min_u32_e32 v63, 32, v52
	v_subrev_u32_e32 v52, 28, v63
	v_lshlrev_b64 v[52:53], v52, v[36:37]
	v_lshrrev_b32_e32 v62, 3, v34
	v_sub_u32_e32 v53, 29, v63
	v_and_b32_e32 v52, 7, v52
	v_cmp_gt_u32_e32 vcc, 8, v34
	v_cndmask_b32_e32 v34, v62, v53, vcc
	v_cndmask_b32_e32 v51, v51, v52, vcc
	v_lshlrev_b32_e32 v36, 24, v36
	v_lshlrev_b32_e32 v51, 20, v51
	v_and_b32_e32 v36, 0x80000000, v36
	v_lshl_add_u32 v34, v34, 23, v48
	v_or3_b32 v51, v36, v34, v51
.LBB663_259:                            ;   in Loop: Header=BB663_213 Depth=1
	s_or_b64 exec, exec, s[16:17]
.LBB663_260:                            ;   in Loop: Header=BB663_213 Depth=1
	s_or_b64 exec, exec, s[14:15]
.LBB663_261:                            ;   in Loop: Header=BB663_213 Depth=1
	s_or_b64 exec, exec, s[12:13]
	v_cvt_pkrtz_f16_f32 v34, v35, v37
	v_cvt_pkrtz_f16_f32 v35, v44, v46
	;; [unrolled: 1-line block ×4, first 2 shown]
	v_mov_b32_e32 v44, 0
	v_mfma_f32_16x16x16f16 v[34:37], v[34:35], v[2:3], 0
	s_waitcnt vmcnt(1)
	v_cmp_ne_u16_sdwa s[14:15], v40, v47 src0_sel:BYTE_0 src1_sel:DWORD
	v_mov_b32_e32 v46, 0
	v_mfma_f32_16x16x16f16 v[34:37], v[52:53], v[4:5], v[34:37]
	s_and_saveexec_b64 s[12:13], s[14:15]
	s_cbranch_execz .LBB663_267
; %bb.262:                              ;   in Loop: Header=BB663_213 Depth=1
	v_cmp_ne_u16_sdwa s[16:17], v40, s9 src0_sel:BYTE_0 src1_sel:DWORD
	v_bfrev_b32_e32 v46, 1
	s_and_saveexec_b64 s[14:15], s[16:17]
	s_cbranch_execz .LBB663_266
; %bb.263:                              ;   in Loop: Header=BB663_213 Depth=1
	v_and_b32_e32 v42, 0x7f, v40
	v_cmp_ne_u32_e32 vcc, s19, v42
	v_mov_b32_e32 v46, 0x7f800001
	s_and_saveexec_b64 s[16:17], vcc
	s_cbranch_execz .LBB663_265
; %bb.264:                              ;   in Loop: Header=BB663_213 Depth=1
	v_and_b32_e32 v46, 7, v40
	v_ffbh_u32_e32 v50, v46
	v_min_u32_e32 v52, 32, v50
	v_subrev_u32_e32 v50, 28, v52
	v_lshlrev_b64 v[50:51], v50, v[40:41]
	v_lshrrev_b32_e32 v49, 3, v42
	v_sub_u32_e32 v51, 29, v52
	v_and_b32_e32 v50, 7, v50
	v_cmp_gt_u32_e32 vcc, 8, v42
	v_cndmask_b32_e32 v42, v49, v51, vcc
	v_cndmask_b32_e32 v46, v46, v50, vcc
	v_lshlrev_b32_e32 v49, 24, v40
	v_lshlrev_b32_e32 v46, 20, v46
	v_and_b32_e32 v49, 0x80000000, v49
	v_lshl_add_u32 v42, v42, 23, v48
	v_or3_b32 v46, v49, v42, v46
.LBB663_265:                            ;   in Loop: Header=BB663_213 Depth=1
	s_or_b64 exec, exec, s[16:17]
.LBB663_266:                            ;   in Loop: Header=BB663_213 Depth=1
	s_or_b64 exec, exec, s[14:15]
.LBB663_267:                            ;   in Loop: Header=BB663_213 Depth=1
	s_or_b64 exec, exec, s[12:13]
	v_lshrrev_b16_e32 v42, 8, v40
	v_cmp_ne_u16_e32 vcc, 0, v42
	v_mov_b32_e32 v50, 0
	s_and_saveexec_b64 s[12:13], vcc
	s_cbranch_execz .LBB663_273
; %bb.268:                              ;   in Loop: Header=BB663_213 Depth=1
	v_cmp_ne_u16_e32 vcc, s9, v42
	v_bfrev_b32_e32 v50, 1
	s_and_saveexec_b64 s[14:15], vcc
	s_cbranch_execz .LBB663_272
; %bb.269:                              ;   in Loop: Header=BB663_213 Depth=1
	v_and_b32_e32 v49, 0x7f, v42
	v_cmp_ne_u32_e32 vcc, s19, v49
	v_mov_b32_e32 v50, 0x7f800001
	s_and_saveexec_b64 s[16:17], vcc
	s_cbranch_execz .LBB663_271
; %bb.270:                              ;   in Loop: Header=BB663_213 Depth=1
	v_and_b32_e32 v52, 7, v42
	v_ffbh_u32_e32 v50, v52
	v_min_u32_e32 v62, 32, v50
	v_subrev_u32_e32 v50, 28, v62
	v_lshlrev_b64 v[50:51], v50, v[42:43]
	v_lshrrev_b32_e32 v53, 3, v49
	v_sub_u32_e32 v42, 29, v62
	v_and_b32_e32 v50, 7, v50
	v_cmp_gt_u32_e32 vcc, 8, v49
	v_cndmask_b32_e32 v42, v53, v42, vcc
	v_cndmask_b32_e32 v49, v52, v50, vcc
	v_lshlrev_b32_e32 v50, 16, v40
	v_lshlrev_b32_e32 v49, 20, v49
	v_and_b32_e32 v50, 0x80000000, v50
	v_lshl_add_u32 v42, v42, 23, v48
	v_or3_b32 v50, v50, v42, v49
.LBB663_271:                            ;   in Loop: Header=BB663_213 Depth=1
	s_or_b64 exec, exec, s[16:17]
.LBB663_272:                            ;   in Loop: Header=BB663_213 Depth=1
	s_or_b64 exec, exec, s[14:15]
.LBB663_273:                            ;   in Loop: Header=BB663_213 Depth=1
	s_or_b64 exec, exec, s[12:13]
	v_lshrrev_b32_e32 v42, 16, v40
	v_cmp_ne_u16_sdwa s[14:15], v42, v47 src0_sel:BYTE_0 src1_sel:DWORD
	s_and_saveexec_b64 s[12:13], s[14:15]
	s_cbranch_execz .LBB663_279
; %bb.274:                              ;   in Loop: Header=BB663_213 Depth=1
	v_cmp_ne_u16_sdwa s[16:17], v42, s9 src0_sel:BYTE_0 src1_sel:DWORD
	v_bfrev_b32_e32 v44, 1
	s_and_saveexec_b64 s[14:15], s[16:17]
	s_cbranch_execz .LBB663_278
; %bb.275:                              ;   in Loop: Header=BB663_213 Depth=1
	v_bfe_u32 v49, v40, 16, 7
	v_cmp_ne_u32_e32 vcc, s19, v49
	v_mov_b32_e32 v44, 0x7f800001
	s_and_saveexec_b64 s[16:17], vcc
	s_cbranch_execz .LBB663_277
; %bb.276:                              ;   in Loop: Header=BB663_213 Depth=1
	v_and_b32_e32 v44, 7, v42
	v_ffbh_u32_e32 v52, v44
	v_min_u32_e32 v62, 32, v52
	v_subrev_u32_e32 v52, 28, v62
	v_lshlrev_b64 v[52:53], v52, v[42:43]
	v_lshrrev_b32_e32 v51, 3, v49
	v_sub_u32_e32 v53, 29, v62
	v_and_b32_e32 v52, 7, v52
	v_cmp_gt_u32_e32 vcc, 8, v49
	v_cndmask_b32_e32 v49, v51, v53, vcc
	v_cndmask_b32_e32 v44, v44, v52, vcc
	v_lshlrev_b32_e32 v42, 24, v42
	v_lshlrev_b32_e32 v44, 20, v44
	v_and_b32_e32 v42, 0x80000000, v42
	v_lshl_add_u32 v49, v49, 23, v48
	v_or3_b32 v44, v42, v49, v44
.LBB663_277:                            ;   in Loop: Header=BB663_213 Depth=1
	s_or_b64 exec, exec, s[16:17]
.LBB663_278:                            ;   in Loop: Header=BB663_213 Depth=1
	s_or_b64 exec, exec, s[14:15]
.LBB663_279:                            ;   in Loop: Header=BB663_213 Depth=1
	s_or_b64 exec, exec, s[12:13]
	v_cmp_lt_u32_e32 vcc, s20, v40
	v_mov_b32_e32 v51, 0
	v_mov_b32_e32 v52, 0
	s_and_saveexec_b64 s[12:13], vcc
	s_cbranch_execz .LBB663_285
; %bb.280:                              ;   in Loop: Header=BB663_213 Depth=1
	v_lshrrev_b32_e32 v42, 24, v40
	v_cmp_ne_u32_e32 vcc, s9, v42
	v_bfrev_b32_e32 v52, 1
	s_and_saveexec_b64 s[14:15], vcc
	s_cbranch_execz .LBB663_284
; %bb.281:                              ;   in Loop: Header=BB663_213 Depth=1
	v_bfe_u32 v40, v40, 24, 7
	v_cmp_ne_u32_e32 vcc, s19, v40
	v_mov_b32_e32 v52, 0x7f800001
	s_and_saveexec_b64 s[16:17], vcc
	s_cbranch_execz .LBB663_283
; %bb.282:                              ;   in Loop: Header=BB663_213 Depth=1
	v_and_b32_e32 v49, 7, v42
	v_ffbh_u32_e32 v52, v49
	v_min_u32_e32 v63, 32, v52
	v_subrev_u32_e32 v52, 28, v63
	v_lshlrev_b64 v[52:53], v52, v[42:43]
	v_lshrrev_b32_e32 v62, 3, v40
	v_sub_u32_e32 v53, 29, v63
	v_and_b32_e32 v52, 7, v52
	v_cmp_gt_u32_e32 vcc, 8, v40
	v_cndmask_b32_e32 v40, v62, v53, vcc
	v_cndmask_b32_e32 v49, v49, v52, vcc
	v_lshlrev_b32_e32 v42, 24, v42
	v_lshlrev_b32_e32 v49, 20, v49
	v_and_b32_e32 v42, 0x80000000, v42
	v_lshl_add_u32 v40, v40, 23, v48
	v_or3_b32 v52, v42, v40, v49
.LBB663_283:                            ;   in Loop: Header=BB663_213 Depth=1
	s_or_b64 exec, exec, s[16:17]
.LBB663_284:                            ;   in Loop: Header=BB663_213 Depth=1
	s_or_b64 exec, exec, s[14:15]
.LBB663_285:                            ;   in Loop: Header=BB663_213 Depth=1
	s_or_b64 exec, exec, s[12:13]
	s_waitcnt vmcnt(0)
	v_cmp_ne_u16_sdwa s[14:15], v38, v47 src0_sel:BYTE_0 src1_sel:DWORD
	s_and_saveexec_b64 s[12:13], s[14:15]
	s_cbranch_execz .LBB663_291
; %bb.286:                              ;   in Loop: Header=BB663_213 Depth=1
	v_cmp_ne_u16_sdwa s[16:17], v38, s9 src0_sel:BYTE_0 src1_sel:DWORD
	v_bfrev_b32_e32 v51, 1
	s_and_saveexec_b64 s[14:15], s[16:17]
	s_cbranch_execz .LBB663_290
; %bb.287:                              ;   in Loop: Header=BB663_213 Depth=1
	v_and_b32_e32 v40, 0x7f, v38
	v_cmp_ne_u32_e32 vcc, s19, v40
	v_mov_b32_e32 v51, 0x7f800001
	s_and_saveexec_b64 s[16:17], vcc
	s_cbranch_execz .LBB663_289
; %bb.288:                              ;   in Loop: Header=BB663_213 Depth=1
	v_and_b32_e32 v42, 7, v38
	v_ffbh_u32_e32 v51, v42
	v_min_u32_e32 v51, 32, v51
	v_subrev_u32_e32 v53, 28, v51
	v_lshlrev_b64 v[62:63], v53, v[38:39]
	v_lshrrev_b32_e32 v49, 3, v40
	v_sub_u32_e32 v51, 29, v51
	v_and_b32_e32 v53, 7, v62
	v_cmp_gt_u32_e32 vcc, 8, v40
	v_cndmask_b32_e32 v40, v49, v51, vcc
	v_cndmask_b32_e32 v42, v42, v53, vcc
	v_lshlrev_b32_e32 v49, 24, v38
	v_lshlrev_b32_e32 v42, 20, v42
	v_and_b32_e32 v49, 0x80000000, v49
	v_lshl_add_u32 v40, v40, 23, v48
	v_or3_b32 v51, v49, v40, v42
.LBB663_289:                            ;   in Loop: Header=BB663_213 Depth=1
	s_or_b64 exec, exec, s[16:17]
.LBB663_290:                            ;   in Loop: Header=BB663_213 Depth=1
	s_or_b64 exec, exec, s[14:15]
.LBB663_291:                            ;   in Loop: Header=BB663_213 Depth=1
	s_or_b64 exec, exec, s[12:13]
	v_lshrrev_b16_e32 v40, 8, v38
	v_cmp_ne_u16_e32 vcc, 0, v40
	v_mov_b32_e32 v53, 0
	v_mov_b32_e32 v62, 0
	s_and_saveexec_b64 s[12:13], vcc
	s_cbranch_execz .LBB663_297
; %bb.292:                              ;   in Loop: Header=BB663_213 Depth=1
	v_cmp_ne_u16_e32 vcc, s9, v40
	v_bfrev_b32_e32 v62, 1
	s_and_saveexec_b64 s[14:15], vcc
	s_cbranch_execz .LBB663_296
; %bb.293:                              ;   in Loop: Header=BB663_213 Depth=1
	v_and_b32_e32 v42, 0x7f, v40
	v_cmp_ne_u32_e32 vcc, s19, v42
	v_mov_b32_e32 v62, 0x7f800001
	s_and_saveexec_b64 s[16:17], vcc
	s_cbranch_execz .LBB663_295
; %bb.294:                              ;   in Loop: Header=BB663_213 Depth=1
	v_and_b32_e32 v49, 7, v40
	v_ffbh_u32_e32 v62, v49
	v_min_u32_e32 v65, 32, v62
	v_subrev_u32_e32 v62, 28, v65
	v_lshlrev_b64 v[62:63], v62, v[40:41]
	v_lshrrev_b32_e32 v64, 3, v42
	v_sub_u32_e32 v40, 29, v65
	v_and_b32_e32 v62, 7, v62
	v_cmp_gt_u32_e32 vcc, 8, v42
	v_cndmask_b32_e32 v40, v64, v40, vcc
	v_cndmask_b32_e32 v42, v49, v62, vcc
	v_lshlrev_b32_e32 v49, 16, v38
	v_lshlrev_b32_e32 v42, 20, v42
	v_and_b32_e32 v49, 0x80000000, v49
	v_lshl_add_u32 v40, v40, 23, v48
	v_or3_b32 v62, v49, v40, v42
.LBB663_295:                            ;   in Loop: Header=BB663_213 Depth=1
	s_or_b64 exec, exec, s[16:17]
.LBB663_296:                            ;   in Loop: Header=BB663_213 Depth=1
	s_or_b64 exec, exec, s[14:15]
.LBB663_297:                            ;   in Loop: Header=BB663_213 Depth=1
	s_or_b64 exec, exec, s[12:13]
	v_lshrrev_b32_e32 v40, 16, v38
	v_cmp_ne_u16_sdwa s[14:15], v40, v47 src0_sel:BYTE_0 src1_sel:DWORD
	s_and_saveexec_b64 s[12:13], s[14:15]
	s_cbranch_execz .LBB663_303
; %bb.298:                              ;   in Loop: Header=BB663_213 Depth=1
	v_cmp_ne_u16_sdwa s[16:17], v40, s9 src0_sel:BYTE_0 src1_sel:DWORD
	v_bfrev_b32_e32 v53, 1
	s_and_saveexec_b64 s[14:15], s[16:17]
	s_cbranch_execz .LBB663_302
; %bb.299:                              ;   in Loop: Header=BB663_213 Depth=1
	v_bfe_u32 v42, v38, 16, 7
	v_cmp_ne_u32_e32 vcc, s19, v42
	v_mov_b32_e32 v53, 0x7f800001
	s_and_saveexec_b64 s[16:17], vcc
	s_cbranch_execz .LBB663_301
; %bb.300:                              ;   in Loop: Header=BB663_213 Depth=1
	v_and_b32_e32 v49, 7, v40
	v_ffbh_u32_e32 v63, v49
	v_min_u32_e32 v63, 32, v63
	v_subrev_u32_e32 v64, 28, v63
	v_lshlrev_b64 v[64:65], v64, v[40:41]
	v_lshrrev_b32_e32 v53, 3, v42
	v_sub_u32_e32 v63, 29, v63
	v_and_b32_e32 v64, 7, v64
	v_cmp_gt_u32_e32 vcc, 8, v42
	v_cndmask_b32_e32 v42, v53, v63, vcc
	v_cndmask_b32_e32 v49, v49, v64, vcc
	v_lshlrev_b32_e32 v40, 24, v40
	v_lshlrev_b32_e32 v49, 20, v49
	v_and_b32_e32 v40, 0x80000000, v40
	v_lshl_add_u32 v42, v42, 23, v48
	v_or3_b32 v53, v40, v42, v49
.LBB663_301:                            ;   in Loop: Header=BB663_213 Depth=1
	s_or_b64 exec, exec, s[16:17]
.LBB663_302:                            ;   in Loop: Header=BB663_213 Depth=1
	s_or_b64 exec, exec, s[14:15]
.LBB663_303:                            ;   in Loop: Header=BB663_213 Depth=1
	s_or_b64 exec, exec, s[12:13]
	v_cmp_lt_u32_e32 vcc, s20, v38
	v_mov_b32_e32 v49, 0
	v_mov_b32_e32 v63, 0
	s_and_saveexec_b64 s[12:13], vcc
	s_cbranch_execz .LBB663_309
; %bb.304:                              ;   in Loop: Header=BB663_213 Depth=1
	v_lshrrev_b32_e32 v40, 24, v38
	v_cmp_ne_u32_e32 vcc, s9, v40
	v_bfrev_b32_e32 v63, 1
	s_and_saveexec_b64 s[14:15], vcc
	s_cbranch_execz .LBB663_308
; %bb.305:                              ;   in Loop: Header=BB663_213 Depth=1
	v_bfe_u32 v38, v38, 24, 7
	v_cmp_ne_u32_e32 vcc, s19, v38
	v_mov_b32_e32 v63, 0x7f800001
	s_and_saveexec_b64 s[16:17], vcc
	s_cbranch_execz .LBB663_307
; %bb.306:                              ;   in Loop: Header=BB663_213 Depth=1
	v_and_b32_e32 v42, 7, v40
	v_ffbh_u32_e32 v64, v42
	v_min_u32_e32 v66, 32, v64
	v_subrev_u32_e32 v64, 28, v66
	v_lshlrev_b64 v[64:65], v64, v[40:41]
	v_lshrrev_b32_e32 v63, 3, v38
	v_sub_u32_e32 v65, 29, v66
	v_and_b32_e32 v64, 7, v64
	v_cmp_gt_u32_e32 vcc, 8, v38
	v_cndmask_b32_e32 v38, v63, v65, vcc
	v_cndmask_b32_e32 v42, v42, v64, vcc
	v_lshlrev_b32_e32 v40, 24, v40
	v_lshlrev_b32_e32 v42, 20, v42
	v_and_b32_e32 v40, 0x80000000, v40
	v_lshl_add_u32 v38, v38, 23, v48
	v_or3_b32 v63, v40, v38, v42
.LBB663_307:                            ;   in Loop: Header=BB663_213 Depth=1
	s_or_b64 exec, exec, s[16:17]
.LBB663_308:                            ;   in Loop: Header=BB663_213 Depth=1
	s_or_b64 exec, exec, s[14:15]
.LBB663_309:                            ;   in Loop: Header=BB663_213 Depth=1
	s_or_b64 exec, exec, s[12:13]
	v_cvt_pkrtz_f16_f32 v65, v44, v52
	buffer_load_dword v44, v61, s[0:3], 0 offen
	buffer_load_dword v42, v61, s[0:3], 0 offen offset:4
	buffer_load_dword v40, v61, s[0:3], 0 offen offset:8
	;; [unrolled: 1-line block ×3, first 2 shown]
	v_cvt_pkrtz_f16_f32 v64, v46, v50
	v_cvt_pkrtz_f16_f32 v50, v51, v62
	;; [unrolled: 1-line block ×3, first 2 shown]
	v_mfma_f32_16x16x16f16 v[34:37], v[64:65], v[6:7], v[34:37]
	s_waitcnt vmcnt(3)
	v_cmp_ne_u16_sdwa s[14:15], v44, v47 src0_sel:BYTE_0 src1_sel:DWORD
	v_mfma_f32_16x16x16f16 v[34:37], v[50:51], v[8:9], v[34:37]
	s_and_saveexec_b64 s[12:13], s[14:15]
	s_cbranch_execz .LBB663_315
; %bb.310:                              ;   in Loop: Header=BB663_213 Depth=1
	v_cmp_ne_u16_sdwa s[16:17], v44, s9 src0_sel:BYTE_0 src1_sel:DWORD
	v_bfrev_b32_e32 v49, 1
	s_and_saveexec_b64 s[14:15], s[16:17]
	s_cbranch_execz .LBB663_314
; %bb.311:                              ;   in Loop: Header=BB663_213 Depth=1
	v_and_b32_e32 v46, 0x7f, v44
	v_cmp_ne_u32_e32 vcc, s19, v46
	v_mov_b32_e32 v49, 0x7f800001
	s_and_saveexec_b64 s[16:17], vcc
	s_cbranch_execz .LBB663_313
; %bb.312:                              ;   in Loop: Header=BB663_213 Depth=1
	v_and_b32_e32 v49, 7, v44
	v_ffbh_u32_e32 v50, v49
	v_min_u32_e32 v53, 32, v50
	v_subrev_u32_e32 v50, 28, v53
	v_lshlrev_b64 v[50:51], v50, v[44:45]
	v_lshrrev_b32_e32 v52, 3, v46
	v_sub_u32_e32 v51, 29, v53
	v_and_b32_e32 v50, 7, v50
	v_cmp_gt_u32_e32 vcc, 8, v46
	v_cndmask_b32_e32 v46, v52, v51, vcc
	v_cndmask_b32_e32 v49, v49, v50, vcc
	v_lshlrev_b32_e32 v50, 24, v44
	v_lshlrev_b32_e32 v49, 20, v49
	v_and_b32_e32 v50, 0x80000000, v50
	v_lshl_add_u32 v46, v46, 23, v48
	v_or3_b32 v49, v50, v46, v49
.LBB663_313:                            ;   in Loop: Header=BB663_213 Depth=1
	s_or_b64 exec, exec, s[16:17]
.LBB663_314:                            ;   in Loop: Header=BB663_213 Depth=1
	s_or_b64 exec, exec, s[14:15]
.LBB663_315:                            ;   in Loop: Header=BB663_213 Depth=1
	s_or_b64 exec, exec, s[12:13]
	v_lshrrev_b16_e32 v46, 8, v44
	v_cmp_ne_u16_e32 vcc, 0, v46
	v_mov_b32_e32 v50, 0
	v_mov_b32_e32 v51, 0
	s_and_saveexec_b64 s[12:13], vcc
	s_cbranch_execz .LBB663_321
; %bb.316:                              ;   in Loop: Header=BB663_213 Depth=1
	v_cmp_ne_u16_e32 vcc, s9, v46
	v_bfrev_b32_e32 v51, 1
	s_and_saveexec_b64 s[14:15], vcc
	s_cbranch_execz .LBB663_320
; %bb.317:                              ;   in Loop: Header=BB663_213 Depth=1
	v_and_b32_e32 v52, 0x7f, v46
	v_cmp_ne_u32_e32 vcc, s19, v52
	v_mov_b32_e32 v51, 0x7f800001
	s_and_saveexec_b64 s[16:17], vcc
	s_cbranch_execz .LBB663_319
; %bb.318:                              ;   in Loop: Header=BB663_213 Depth=1
	v_and_b32_e32 v51, 7, v46
	v_ffbh_u32_e32 v61, v51
	v_min_u32_e32 v61, 32, v61
	v_subrev_u32_e32 v62, 28, v61
	v_lshlrev_b64 v[62:63], v62, v[46:47]
	v_lshrrev_b32_e32 v53, 3, v52
	v_sub_u32_e32 v46, 29, v61
	v_and_b32_e32 v61, 7, v62
	v_cmp_gt_u32_e32 vcc, 8, v52
	v_cndmask_b32_e32 v46, v53, v46, vcc
	v_cndmask_b32_e32 v51, v51, v61, vcc
	v_lshlrev_b32_e32 v52, 16, v44
	v_lshlrev_b32_e32 v51, 20, v51
	v_and_b32_e32 v52, 0x80000000, v52
	v_lshl_add_u32 v46, v46, 23, v48
	v_or3_b32 v51, v52, v46, v51
.LBB663_319:                            ;   in Loop: Header=BB663_213 Depth=1
	s_or_b64 exec, exec, s[16:17]
.LBB663_320:                            ;   in Loop: Header=BB663_213 Depth=1
	s_or_b64 exec, exec, s[14:15]
.LBB663_321:                            ;   in Loop: Header=BB663_213 Depth=1
	s_or_b64 exec, exec, s[12:13]
	v_lshrrev_b32_e32 v46, 16, v44
	v_cmp_ne_u16_sdwa s[14:15], v46, v47 src0_sel:BYTE_0 src1_sel:DWORD
	s_and_saveexec_b64 s[12:13], s[14:15]
	s_cbranch_execz .LBB663_327
; %bb.322:                              ;   in Loop: Header=BB663_213 Depth=1
	v_cmp_ne_u16_sdwa s[16:17], v46, s9 src0_sel:BYTE_0 src1_sel:DWORD
	v_bfrev_b32_e32 v50, 1
	s_and_saveexec_b64 s[14:15], s[16:17]
	s_cbranch_execz .LBB663_326
; %bb.323:                              ;   in Loop: Header=BB663_213 Depth=1
	v_bfe_u32 v52, v44, 16, 7
	v_cmp_ne_u32_e32 vcc, s19, v52
	v_mov_b32_e32 v50, 0x7f800001
	s_and_saveexec_b64 s[16:17], vcc
	s_cbranch_execz .LBB663_325
; %bb.324:                              ;   in Loop: Header=BB663_213 Depth=1
	v_and_b32_e32 v50, 7, v46
	v_ffbh_u32_e32 v61, v50
	v_min_u32_e32 v61, 32, v61
	v_subrev_u32_e32 v62, 28, v61
	v_lshlrev_b64 v[62:63], v62, v[46:47]
	v_lshrrev_b32_e32 v53, 3, v52
	v_sub_u32_e32 v61, 29, v61
	v_and_b32_e32 v62, 7, v62
	v_cmp_gt_u32_e32 vcc, 8, v52
	v_cndmask_b32_e32 v52, v53, v61, vcc
	v_cndmask_b32_e32 v50, v50, v62, vcc
	v_lshlrev_b32_e32 v46, 24, v46
	v_lshlrev_b32_e32 v50, 20, v50
	v_and_b32_e32 v46, 0x80000000, v46
	v_lshl_add_u32 v52, v52, 23, v48
	v_or3_b32 v50, v46, v52, v50
.LBB663_325:                            ;   in Loop: Header=BB663_213 Depth=1
	s_or_b64 exec, exec, s[16:17]
.LBB663_326:                            ;   in Loop: Header=BB663_213 Depth=1
	s_or_b64 exec, exec, s[14:15]
.LBB663_327:                            ;   in Loop: Header=BB663_213 Depth=1
	s_or_b64 exec, exec, s[12:13]
	v_cmp_lt_u32_e32 vcc, s20, v44
	v_mov_b32_e32 v52, 0
	v_mov_b32_e32 v53, 0
	s_and_saveexec_b64 s[12:13], vcc
	s_cbranch_execz .LBB663_333
; %bb.328:                              ;   in Loop: Header=BB663_213 Depth=1
	v_lshrrev_b32_e32 v46, 24, v44
	v_cmp_ne_u32_e32 vcc, s9, v46
	v_bfrev_b32_e32 v53, 1
	s_and_saveexec_b64 s[14:15], vcc
	s_cbranch_execz .LBB663_332
; %bb.329:                              ;   in Loop: Header=BB663_213 Depth=1
	v_bfe_u32 v44, v44, 24, 7
	v_cmp_ne_u32_e32 vcc, s19, v44
	v_mov_b32_e32 v53, 0x7f800001
	s_and_saveexec_b64 s[16:17], vcc
	s_cbranch_execz .LBB663_331
; %bb.330:                              ;   in Loop: Header=BB663_213 Depth=1
	v_and_b32_e32 v53, 7, v46
	v_ffbh_u32_e32 v62, v53
	v_min_u32_e32 v64, 32, v62
	v_subrev_u32_e32 v62, 28, v64
	v_lshlrev_b64 v[62:63], v62, v[46:47]
	v_lshrrev_b32_e32 v61, 3, v44
	v_sub_u32_e32 v63, 29, v64
	v_and_b32_e32 v62, 7, v62
	v_cmp_gt_u32_e32 vcc, 8, v44
	v_cndmask_b32_e32 v44, v61, v63, vcc
	v_cndmask_b32_e32 v53, v53, v62, vcc
	v_lshlrev_b32_e32 v46, 24, v46
	v_lshlrev_b32_e32 v53, 20, v53
	v_and_b32_e32 v46, 0x80000000, v46
	v_lshl_add_u32 v44, v44, 23, v48
	v_or3_b32 v53, v46, v44, v53
.LBB663_331:                            ;   in Loop: Header=BB663_213 Depth=1
	s_or_b64 exec, exec, s[16:17]
.LBB663_332:                            ;   in Loop: Header=BB663_213 Depth=1
	s_or_b64 exec, exec, s[14:15]
.LBB663_333:                            ;   in Loop: Header=BB663_213 Depth=1
	s_or_b64 exec, exec, s[12:13]
	s_waitcnt vmcnt(2)
	v_cmp_ne_u16_sdwa s[14:15], v42, v47 src0_sel:BYTE_0 src1_sel:DWORD
	s_and_saveexec_b64 s[12:13], s[14:15]
	s_cbranch_execz .LBB663_339
; %bb.334:                              ;   in Loop: Header=BB663_213 Depth=1
	v_cmp_ne_u16_sdwa s[16:17], v42, s9 src0_sel:BYTE_0 src1_sel:DWORD
	v_bfrev_b32_e32 v52, 1
	s_and_saveexec_b64 s[14:15], s[16:17]
	s_cbranch_execz .LBB663_338
; %bb.335:                              ;   in Loop: Header=BB663_213 Depth=1
	v_and_b32_e32 v44, 0x7f, v42
	v_cmp_ne_u32_e32 vcc, s19, v44
	v_mov_b32_e32 v52, 0x7f800001
	s_and_saveexec_b64 s[16:17], vcc
	s_cbranch_execz .LBB663_337
; %bb.336:                              ;   in Loop: Header=BB663_213 Depth=1
	v_and_b32_e32 v46, 7, v42
	v_ffbh_u32_e32 v61, v46
	v_min_u32_e32 v61, 32, v61
	v_subrev_u32_e32 v62, 28, v61
	v_lshlrev_b64 v[62:63], v62, v[42:43]
	v_lshrrev_b32_e32 v52, 3, v44
	v_sub_u32_e32 v61, 29, v61
	v_and_b32_e32 v62, 7, v62
	v_cmp_gt_u32_e32 vcc, 8, v44
	v_cndmask_b32_e32 v44, v52, v61, vcc
	v_cndmask_b32_e32 v46, v46, v62, vcc
	v_lshlrev_b32_e32 v52, 24, v42
	v_lshlrev_b32_e32 v46, 20, v46
	v_and_b32_e32 v52, 0x80000000, v52
	v_lshl_add_u32 v44, v44, 23, v48
	v_or3_b32 v52, v52, v44, v46
.LBB663_337:                            ;   in Loop: Header=BB663_213 Depth=1
	s_or_b64 exec, exec, s[16:17]
.LBB663_338:                            ;   in Loop: Header=BB663_213 Depth=1
	s_or_b64 exec, exec, s[14:15]
.LBB663_339:                            ;   in Loop: Header=BB663_213 Depth=1
	s_or_b64 exec, exec, s[12:13]
	v_lshrrev_b16_e32 v44, 8, v42
	v_cmp_ne_u16_e32 vcc, 0, v44
	v_mov_b32_e32 v61, 0
	v_mov_b32_e32 v62, 0
	s_and_saveexec_b64 s[12:13], vcc
	s_cbranch_execz .LBB663_345
; %bb.340:                              ;   in Loop: Header=BB663_213 Depth=1
	v_cmp_ne_u16_e32 vcc, s9, v44
	v_bfrev_b32_e32 v62, 1
	s_and_saveexec_b64 s[14:15], vcc
	s_cbranch_execz .LBB663_344
; %bb.341:                              ;   in Loop: Header=BB663_213 Depth=1
	v_and_b32_e32 v46, 0x7f, v44
	v_cmp_ne_u32_e32 vcc, s19, v46
	v_mov_b32_e32 v62, 0x7f800001
	s_and_saveexec_b64 s[16:17], vcc
	s_cbranch_execz .LBB663_343
; %bb.342:                              ;   in Loop: Header=BB663_213 Depth=1
	v_and_b32_e32 v64, 7, v44
	v_ffbh_u32_e32 v62, v64
	v_min_u32_e32 v66, 32, v62
	v_subrev_u32_e32 v62, 28, v66
	v_lshlrev_b64 v[62:63], v62, v[44:45]
	v_lshrrev_b32_e32 v65, 3, v46
	v_sub_u32_e32 v44, 29, v66
	v_and_b32_e32 v62, 7, v62
	v_cmp_gt_u32_e32 vcc, 8, v46
	v_cndmask_b32_e32 v44, v65, v44, vcc
	v_cndmask_b32_e32 v46, v64, v62, vcc
	v_lshlrev_b32_e32 v62, 16, v42
	v_lshlrev_b32_e32 v46, 20, v46
	v_and_b32_e32 v62, 0x80000000, v62
	v_lshl_add_u32 v44, v44, 23, v48
	v_or3_b32 v62, v62, v44, v46
.LBB663_343:                            ;   in Loop: Header=BB663_213 Depth=1
	s_or_b64 exec, exec, s[16:17]
.LBB663_344:                            ;   in Loop: Header=BB663_213 Depth=1
	s_or_b64 exec, exec, s[14:15]
.LBB663_345:                            ;   in Loop: Header=BB663_213 Depth=1
	s_or_b64 exec, exec, s[12:13]
	v_lshrrev_b32_e32 v44, 16, v42
	v_cmp_ne_u16_sdwa s[14:15], v44, v47 src0_sel:BYTE_0 src1_sel:DWORD
	s_and_saveexec_b64 s[12:13], s[14:15]
	s_cbranch_execz .LBB663_351
; %bb.346:                              ;   in Loop: Header=BB663_213 Depth=1
	v_cmp_ne_u16_sdwa s[16:17], v44, s9 src0_sel:BYTE_0 src1_sel:DWORD
	v_bfrev_b32_e32 v61, 1
	s_and_saveexec_b64 s[14:15], s[16:17]
	s_cbranch_execz .LBB663_350
; %bb.347:                              ;   in Loop: Header=BB663_213 Depth=1
	v_bfe_u32 v46, v42, 16, 7
	v_cmp_ne_u32_e32 vcc, s19, v46
	v_mov_b32_e32 v61, 0x7f800001
	s_and_saveexec_b64 s[16:17], vcc
	s_cbranch_execz .LBB663_349
; %bb.348:                              ;   in Loop: Header=BB663_213 Depth=1
	v_and_b32_e32 v61, 7, v44
	v_ffbh_u32_e32 v64, v61
	v_min_u32_e32 v66, 32, v64
	v_subrev_u32_e32 v64, 28, v66
	v_lshlrev_b64 v[64:65], v64, v[44:45]
	v_lshrrev_b32_e32 v63, 3, v46
	v_sub_u32_e32 v65, 29, v66
	v_and_b32_e32 v64, 7, v64
	v_cmp_gt_u32_e32 vcc, 8, v46
	v_cndmask_b32_e32 v46, v63, v65, vcc
	v_cndmask_b32_e32 v61, v61, v64, vcc
	v_lshlrev_b32_e32 v44, 24, v44
	v_lshlrev_b32_e32 v61, 20, v61
	v_and_b32_e32 v44, 0x80000000, v44
	v_lshl_add_u32 v46, v46, 23, v48
	v_or3_b32 v61, v44, v46, v61
.LBB663_349:                            ;   in Loop: Header=BB663_213 Depth=1
	s_or_b64 exec, exec, s[16:17]
.LBB663_350:                            ;   in Loop: Header=BB663_213 Depth=1
	s_or_b64 exec, exec, s[14:15]
.LBB663_351:                            ;   in Loop: Header=BB663_213 Depth=1
	s_or_b64 exec, exec, s[12:13]
	v_cmp_lt_u32_e32 vcc, s20, v42
	v_mov_b32_e32 v46, 0
	v_mov_b32_e32 v63, 0
	s_and_saveexec_b64 s[12:13], vcc
	s_cbranch_execz .LBB663_357
; %bb.352:                              ;   in Loop: Header=BB663_213 Depth=1
	v_lshrrev_b32_e32 v44, 24, v42
	v_cmp_ne_u32_e32 vcc, s9, v44
	v_bfrev_b32_e32 v63, 1
	s_and_saveexec_b64 s[14:15], vcc
	s_cbranch_execz .LBB663_356
; %bb.353:                              ;   in Loop: Header=BB663_213 Depth=1
	v_bfe_u32 v42, v42, 24, 7
	v_cmp_ne_u32_e32 vcc, s19, v42
	v_mov_b32_e32 v63, 0x7f800001
	s_and_saveexec_b64 s[16:17], vcc
	s_cbranch_execz .LBB663_355
; %bb.354:                              ;   in Loop: Header=BB663_213 Depth=1
	v_and_b32_e32 v63, 7, v44
	v_ffbh_u32_e32 v64, v63
	v_min_u32_e32 v67, 32, v64
	v_subrev_u32_e32 v64, 28, v67
	v_lshlrev_b64 v[64:65], v64, v[44:45]
	v_lshrrev_b32_e32 v66, 3, v42
	v_sub_u32_e32 v65, 29, v67
	v_and_b32_e32 v64, 7, v64
	v_cmp_gt_u32_e32 vcc, 8, v42
	v_cndmask_b32_e32 v42, v66, v65, vcc
	v_cndmask_b32_e32 v63, v63, v64, vcc
	v_lshlrev_b32_e32 v44, 24, v44
	v_lshlrev_b32_e32 v63, 20, v63
	v_and_b32_e32 v44, 0x80000000, v44
	v_lshl_add_u32 v42, v42, 23, v48
	v_or3_b32 v63, v44, v42, v63
.LBB663_355:                            ;   in Loop: Header=BB663_213 Depth=1
	s_or_b64 exec, exec, s[16:17]
.LBB663_356:                            ;   in Loop: Header=BB663_213 Depth=1
	s_or_b64 exec, exec, s[14:15]
.LBB663_357:                            ;   in Loop: Header=BB663_213 Depth=1
	s_or_b64 exec, exec, s[12:13]
	v_cvt_pkrtz_f16_f32 v64, v49, v51
	v_cvt_pkrtz_f16_f32 v65, v50, v53
	;; [unrolled: 1-line block ×4, first 2 shown]
	s_waitcnt vmcnt(1)
	v_cmp_ne_u16_sdwa s[14:15], v40, v47 src0_sel:BYTE_0 src1_sel:DWORD
	v_mfma_f32_16x16x16f16 v[34:37], v[64:65], v[10:11], v[34:37]
	v_mfma_f32_16x16x16f16 v[34:37], v[50:51], v[12:13], v[34:37]
	s_and_saveexec_b64 s[12:13], s[14:15]
	s_cbranch_execz .LBB663_363
; %bb.358:                              ;   in Loop: Header=BB663_213 Depth=1
	v_cmp_ne_u16_sdwa s[16:17], v40, s9 src0_sel:BYTE_0 src1_sel:DWORD
	v_bfrev_b32_e32 v46, 1
	s_and_saveexec_b64 s[14:15], s[16:17]
	s_cbranch_execz .LBB663_362
; %bb.359:                              ;   in Loop: Header=BB663_213 Depth=1
	v_and_b32_e32 v42, 0x7f, v40
	v_cmp_ne_u32_e32 vcc, s19, v42
	v_mov_b32_e32 v46, 0x7f800001
	s_and_saveexec_b64 s[16:17], vcc
	s_cbranch_execz .LBB663_361
; %bb.360:                              ;   in Loop: Header=BB663_213 Depth=1
	v_and_b32_e32 v44, 7, v40
	v_ffbh_u32_e32 v49, v44
	v_min_u32_e32 v49, 32, v49
	v_subrev_u32_e32 v50, 28, v49
	v_lshlrev_b64 v[50:51], v50, v[40:41]
	v_lshrrev_b32_e32 v46, 3, v42
	v_sub_u32_e32 v49, 29, v49
	v_and_b32_e32 v50, 7, v50
	v_cmp_gt_u32_e32 vcc, 8, v42
	v_cndmask_b32_e32 v42, v46, v49, vcc
	v_cndmask_b32_e32 v44, v44, v50, vcc
	v_lshlrev_b32_e32 v46, 24, v40
	v_lshlrev_b32_e32 v44, 20, v44
	v_and_b32_e32 v46, 0x80000000, v46
	v_lshl_add_u32 v42, v42, 23, v48
	v_or3_b32 v46, v46, v42, v44
.LBB663_361:                            ;   in Loop: Header=BB663_213 Depth=1
	s_or_b64 exec, exec, s[16:17]
.LBB663_362:                            ;   in Loop: Header=BB663_213 Depth=1
	s_or_b64 exec, exec, s[14:15]
.LBB663_363:                            ;   in Loop: Header=BB663_213 Depth=1
	s_or_b64 exec, exec, s[12:13]
	v_lshrrev_b16_e32 v42, 8, v40
	v_cmp_ne_u16_e32 vcc, 0, v42
	v_mov_b32_e32 v44, 0
	v_mov_b32_e32 v50, 0
	s_and_saveexec_b64 s[12:13], vcc
	s_cbranch_execz .LBB663_369
; %bb.364:                              ;   in Loop: Header=BB663_213 Depth=1
	v_cmp_ne_u16_e32 vcc, s9, v42
	v_bfrev_b32_e32 v50, 1
	s_and_saveexec_b64 s[14:15], vcc
	s_cbranch_execz .LBB663_368
; %bb.365:                              ;   in Loop: Header=BB663_213 Depth=1
	v_and_b32_e32 v49, 0x7f, v42
	v_cmp_ne_u32_e32 vcc, s19, v49
	v_mov_b32_e32 v50, 0x7f800001
	s_and_saveexec_b64 s[16:17], vcc
	s_cbranch_execz .LBB663_367
; %bb.366:                              ;   in Loop: Header=BB663_213 Depth=1
	v_and_b32_e32 v52, 7, v42
	v_ffbh_u32_e32 v50, v52
	v_min_u32_e32 v61, 32, v50
	v_subrev_u32_e32 v50, 28, v61
	v_lshlrev_b64 v[50:51], v50, v[42:43]
	v_lshrrev_b32_e32 v53, 3, v49
	v_sub_u32_e32 v42, 29, v61
	v_and_b32_e32 v50, 7, v50
	v_cmp_gt_u32_e32 vcc, 8, v49
	v_cndmask_b32_e32 v42, v53, v42, vcc
	v_cndmask_b32_e32 v49, v52, v50, vcc
	v_lshlrev_b32_e32 v50, 16, v40
	v_lshlrev_b32_e32 v49, 20, v49
	v_and_b32_e32 v50, 0x80000000, v50
	v_lshl_add_u32 v42, v42, 23, v48
	v_or3_b32 v50, v50, v42, v49
.LBB663_367:                            ;   in Loop: Header=BB663_213 Depth=1
	s_or_b64 exec, exec, s[16:17]
.LBB663_368:                            ;   in Loop: Header=BB663_213 Depth=1
	s_or_b64 exec, exec, s[14:15]
.LBB663_369:                            ;   in Loop: Header=BB663_213 Depth=1
	s_or_b64 exec, exec, s[12:13]
	v_lshrrev_b32_e32 v42, 16, v40
	v_cmp_ne_u16_sdwa s[14:15], v42, v47 src0_sel:BYTE_0 src1_sel:DWORD
	s_and_saveexec_b64 s[12:13], s[14:15]
	s_cbranch_execz .LBB663_375
; %bb.370:                              ;   in Loop: Header=BB663_213 Depth=1
	v_cmp_ne_u16_sdwa s[16:17], v42, s9 src0_sel:BYTE_0 src1_sel:DWORD
	v_bfrev_b32_e32 v44, 1
	s_and_saveexec_b64 s[14:15], s[16:17]
	s_cbranch_execz .LBB663_374
; %bb.371:                              ;   in Loop: Header=BB663_213 Depth=1
	v_bfe_u32 v49, v40, 16, 7
	v_cmp_ne_u32_e32 vcc, s19, v49
	v_mov_b32_e32 v44, 0x7f800001
	s_and_saveexec_b64 s[16:17], vcc
	s_cbranch_execz .LBB663_373
; %bb.372:                              ;   in Loop: Header=BB663_213 Depth=1
	v_and_b32_e32 v44, 7, v42
	v_ffbh_u32_e32 v52, v44
	v_min_u32_e32 v61, 32, v52
	v_subrev_u32_e32 v52, 28, v61
	v_lshlrev_b64 v[52:53], v52, v[42:43]
	v_lshrrev_b32_e32 v51, 3, v49
	v_sub_u32_e32 v53, 29, v61
	v_and_b32_e32 v52, 7, v52
	v_cmp_gt_u32_e32 vcc, 8, v49
	v_cndmask_b32_e32 v49, v51, v53, vcc
	v_cndmask_b32_e32 v44, v44, v52, vcc
	v_lshlrev_b32_e32 v42, 24, v42
	v_lshlrev_b32_e32 v44, 20, v44
	v_and_b32_e32 v42, 0x80000000, v42
	v_lshl_add_u32 v49, v49, 23, v48
	v_or3_b32 v44, v42, v49, v44
.LBB663_373:                            ;   in Loop: Header=BB663_213 Depth=1
	s_or_b64 exec, exec, s[16:17]
.LBB663_374:                            ;   in Loop: Header=BB663_213 Depth=1
	s_or_b64 exec, exec, s[14:15]
.LBB663_375:                            ;   in Loop: Header=BB663_213 Depth=1
	s_or_b64 exec, exec, s[12:13]
	v_cmp_lt_u32_e32 vcc, s20, v40
	v_mov_b32_e32 v51, 0
	v_mov_b32_e32 v52, 0
	s_and_saveexec_b64 s[12:13], vcc
	s_cbranch_execz .LBB663_381
; %bb.376:                              ;   in Loop: Header=BB663_213 Depth=1
	v_lshrrev_b32_e32 v42, 24, v40
	v_cmp_ne_u32_e32 vcc, s9, v42
	v_bfrev_b32_e32 v52, 1
	s_and_saveexec_b64 s[14:15], vcc
	s_cbranch_execz .LBB663_380
; %bb.377:                              ;   in Loop: Header=BB663_213 Depth=1
	v_bfe_u32 v40, v40, 24, 7
	v_cmp_ne_u32_e32 vcc, s19, v40
	v_mov_b32_e32 v52, 0x7f800001
	s_and_saveexec_b64 s[16:17], vcc
	s_cbranch_execz .LBB663_379
; %bb.378:                              ;   in Loop: Header=BB663_213 Depth=1
	v_and_b32_e32 v49, 7, v42
	v_ffbh_u32_e32 v52, v49
	v_min_u32_e32 v62, 32, v52
	v_subrev_u32_e32 v52, 28, v62
	v_lshlrev_b64 v[52:53], v52, v[42:43]
	v_lshrrev_b32_e32 v61, 3, v40
	v_sub_u32_e32 v53, 29, v62
	v_and_b32_e32 v52, 7, v52
	v_cmp_gt_u32_e32 vcc, 8, v40
	v_cndmask_b32_e32 v40, v61, v53, vcc
	v_cndmask_b32_e32 v49, v49, v52, vcc
	v_lshlrev_b32_e32 v42, 24, v42
	v_lshlrev_b32_e32 v49, 20, v49
	v_and_b32_e32 v42, 0x80000000, v42
	v_lshl_add_u32 v40, v40, 23, v48
	v_or3_b32 v52, v42, v40, v49
.LBB663_379:                            ;   in Loop: Header=BB663_213 Depth=1
	s_or_b64 exec, exec, s[16:17]
.LBB663_380:                            ;   in Loop: Header=BB663_213 Depth=1
	s_or_b64 exec, exec, s[14:15]
.LBB663_381:                            ;   in Loop: Header=BB663_213 Depth=1
	s_or_b64 exec, exec, s[12:13]
	s_waitcnt vmcnt(0)
	v_cmp_ne_u16_sdwa s[14:15], v38, v47 src0_sel:BYTE_0 src1_sel:DWORD
	s_and_saveexec_b64 s[12:13], s[14:15]
	s_cbranch_execz .LBB663_387
; %bb.382:                              ;   in Loop: Header=BB663_213 Depth=1
	v_cmp_ne_u16_sdwa s[16:17], v38, s9 src0_sel:BYTE_0 src1_sel:DWORD
	v_bfrev_b32_e32 v51, 1
	s_and_saveexec_b64 s[14:15], s[16:17]
	s_cbranch_execz .LBB663_386
; %bb.383:                              ;   in Loop: Header=BB663_213 Depth=1
	v_and_b32_e32 v40, 0x7f, v38
	v_cmp_ne_u32_e32 vcc, s19, v40
	v_mov_b32_e32 v51, 0x7f800001
	s_and_saveexec_b64 s[16:17], vcc
	s_cbranch_execz .LBB663_385
; %bb.384:                              ;   in Loop: Header=BB663_213 Depth=1
	v_and_b32_e32 v42, 7, v38
	v_ffbh_u32_e32 v51, v42
	v_min_u32_e32 v51, 32, v51
	v_subrev_u32_e32 v53, 28, v51
	v_lshlrev_b64 v[62:63], v53, v[38:39]
	v_lshrrev_b32_e32 v49, 3, v40
	v_sub_u32_e32 v51, 29, v51
	v_and_b32_e32 v53, 7, v62
	v_cmp_gt_u32_e32 vcc, 8, v40
	v_cndmask_b32_e32 v40, v49, v51, vcc
	v_cndmask_b32_e32 v42, v42, v53, vcc
	v_lshlrev_b32_e32 v49, 24, v38
	v_lshlrev_b32_e32 v42, 20, v42
	v_and_b32_e32 v49, 0x80000000, v49
	v_lshl_add_u32 v40, v40, 23, v48
	v_or3_b32 v51, v49, v40, v42
.LBB663_385:                            ;   in Loop: Header=BB663_213 Depth=1
	s_or_b64 exec, exec, s[16:17]
.LBB663_386:                            ;   in Loop: Header=BB663_213 Depth=1
	s_or_b64 exec, exec, s[14:15]
.LBB663_387:                            ;   in Loop: Header=BB663_213 Depth=1
	s_or_b64 exec, exec, s[12:13]
	v_lshrrev_b16_e32 v40, 8, v38
	v_cmp_ne_u16_e32 vcc, 0, v40
	v_mov_b32_e32 v53, 0
	v_mov_b32_e32 v61, 0
	s_and_saveexec_b64 s[12:13], vcc
	s_cbranch_execz .LBB663_393
; %bb.388:                              ;   in Loop: Header=BB663_213 Depth=1
	v_cmp_ne_u16_e32 vcc, s9, v40
	v_bfrev_b32_e32 v61, 1
	s_and_saveexec_b64 s[14:15], vcc
	s_cbranch_execz .LBB663_392
; %bb.389:                              ;   in Loop: Header=BB663_213 Depth=1
	v_and_b32_e32 v42, 0x7f, v40
	v_cmp_ne_u32_e32 vcc, s19, v42
	v_mov_b32_e32 v61, 0x7f800001
	s_and_saveexec_b64 s[16:17], vcc
	s_cbranch_execz .LBB663_391
; %bb.390:                              ;   in Loop: Header=BB663_213 Depth=1
	v_and_b32_e32 v49, 7, v40
	v_ffbh_u32_e32 v62, v49
	v_min_u32_e32 v64, 32, v62
	v_subrev_u32_e32 v62, 28, v64
	v_lshlrev_b64 v[62:63], v62, v[40:41]
	v_lshrrev_b32_e32 v61, 3, v42
	v_sub_u32_e32 v40, 29, v64
	v_and_b32_e32 v62, 7, v62
	v_cmp_gt_u32_e32 vcc, 8, v42
	v_cndmask_b32_e32 v40, v61, v40, vcc
	v_cndmask_b32_e32 v42, v49, v62, vcc
	v_lshlrev_b32_e32 v49, 16, v38
	v_lshlrev_b32_e32 v42, 20, v42
	v_and_b32_e32 v49, 0x80000000, v49
	v_lshl_add_u32 v40, v40, 23, v48
	v_or3_b32 v61, v49, v40, v42
.LBB663_391:                            ;   in Loop: Header=BB663_213 Depth=1
	s_or_b64 exec, exec, s[16:17]
.LBB663_392:                            ;   in Loop: Header=BB663_213 Depth=1
	s_or_b64 exec, exec, s[14:15]
.LBB663_393:                            ;   in Loop: Header=BB663_213 Depth=1
	s_or_b64 exec, exec, s[12:13]
	v_lshrrev_b32_e32 v40, 16, v38
	v_cmp_ne_u16_sdwa s[14:15], v40, v47 src0_sel:BYTE_0 src1_sel:DWORD
	s_and_saveexec_b64 s[12:13], s[14:15]
	s_cbranch_execz .LBB663_399
; %bb.394:                              ;   in Loop: Header=BB663_213 Depth=1
	v_cmp_ne_u16_sdwa s[16:17], v40, s9 src0_sel:BYTE_0 src1_sel:DWORD
	v_bfrev_b32_e32 v53, 1
	s_and_saveexec_b64 s[14:15], s[16:17]
	s_cbranch_execz .LBB663_398
; %bb.395:                              ;   in Loop: Header=BB663_213 Depth=1
	v_bfe_u32 v42, v38, 16, 7
	v_cmp_ne_u32_e32 vcc, s19, v42
	v_mov_b32_e32 v53, 0x7f800001
	s_and_saveexec_b64 s[16:17], vcc
	s_cbranch_execz .LBB663_397
; %bb.396:                              ;   in Loop: Header=BB663_213 Depth=1
	v_and_b32_e32 v49, 7, v40
	v_ffbh_u32_e32 v62, v49
	v_min_u32_e32 v64, 32, v62
	v_subrev_u32_e32 v62, 28, v64
	v_lshlrev_b64 v[62:63], v62, v[40:41]
	v_lshrrev_b32_e32 v53, 3, v42
	v_sub_u32_e32 v63, 29, v64
	v_and_b32_e32 v62, 7, v62
	v_cmp_gt_u32_e32 vcc, 8, v42
	v_cndmask_b32_e32 v42, v53, v63, vcc
	v_cndmask_b32_e32 v49, v49, v62, vcc
	v_lshlrev_b32_e32 v40, 24, v40
	v_lshlrev_b32_e32 v49, 20, v49
	v_and_b32_e32 v40, 0x80000000, v40
	v_lshl_add_u32 v42, v42, 23, v48
	v_or3_b32 v53, v40, v42, v49
.LBB663_397:                            ;   in Loop: Header=BB663_213 Depth=1
	s_or_b64 exec, exec, s[16:17]
.LBB663_398:                            ;   in Loop: Header=BB663_213 Depth=1
	s_or_b64 exec, exec, s[14:15]
.LBB663_399:                            ;   in Loop: Header=BB663_213 Depth=1
	s_or_b64 exec, exec, s[12:13]
	v_cmp_lt_u32_e32 vcc, s20, v38
	v_mov_b32_e32 v49, 0
	v_mov_b32_e32 v62, 0
	s_and_saveexec_b64 s[12:13], vcc
	s_cbranch_execz .LBB663_405
; %bb.400:                              ;   in Loop: Header=BB663_213 Depth=1
	v_lshrrev_b32_e32 v40, 24, v38
	v_cmp_ne_u32_e32 vcc, s9, v40
	v_bfrev_b32_e32 v62, 1
	s_and_saveexec_b64 s[14:15], vcc
	s_cbranch_execz .LBB663_404
; %bb.401:                              ;   in Loop: Header=BB663_213 Depth=1
	v_bfe_u32 v38, v38, 24, 7
	v_cmp_ne_u32_e32 vcc, s19, v38
	v_mov_b32_e32 v62, 0x7f800001
	s_and_saveexec_b64 s[16:17], vcc
	s_cbranch_execz .LBB663_403
; %bb.402:                              ;   in Loop: Header=BB663_213 Depth=1
	v_and_b32_e32 v42, 7, v40
	v_ffbh_u32_e32 v62, v42
	v_min_u32_e32 v65, 32, v62
	v_subrev_u32_e32 v62, 28, v65
	v_lshlrev_b64 v[62:63], v62, v[40:41]
	v_lshrrev_b32_e32 v64, 3, v38
	v_sub_u32_e32 v63, 29, v65
	v_and_b32_e32 v62, 7, v62
	v_cmp_gt_u32_e32 vcc, 8, v38
	v_cndmask_b32_e32 v38, v64, v63, vcc
	v_cndmask_b32_e32 v42, v42, v62, vcc
	v_lshlrev_b32_e32 v40, 24, v40
	v_lshlrev_b32_e32 v42, 20, v42
	v_and_b32_e32 v40, 0x80000000, v40
	v_lshl_add_u32 v38, v38, 23, v48
	v_or3_b32 v62, v40, v38, v42
.LBB663_403:                            ;   in Loop: Header=BB663_213 Depth=1
	s_or_b64 exec, exec, s[16:17]
.LBB663_404:                            ;   in Loop: Header=BB663_213 Depth=1
	s_or_b64 exec, exec, s[14:15]
.LBB663_405:                            ;   in Loop: Header=BB663_213 Depth=1
	s_or_b64 exec, exec, s[12:13]
	v_cvt_pkrtz_f16_f32 v65, v44, v52
	buffer_load_dword v44, v60, s[0:3], 0 offen
	buffer_load_dword v42, v60, s[0:3], 0 offen offset:4
	buffer_load_dword v40, v60, s[0:3], 0 offen offset:8
	;; [unrolled: 1-line block ×3, first 2 shown]
	v_cvt_pkrtz_f16_f32 v64, v46, v50
	v_cvt_pkrtz_f16_f32 v50, v51, v61
	;; [unrolled: 1-line block ×3, first 2 shown]
	v_mfma_f32_16x16x16f16 v[34:37], v[64:65], v[14:15], v[34:37]
	s_waitcnt vmcnt(3)
	v_cmp_ne_u16_sdwa s[14:15], v44, v47 src0_sel:BYTE_0 src1_sel:DWORD
	v_mfma_f32_16x16x16f16 v[34:37], v[50:51], v[16:17], v[34:37]
	s_and_saveexec_b64 s[12:13], s[14:15]
	s_cbranch_execz .LBB663_411
; %bb.406:                              ;   in Loop: Header=BB663_213 Depth=1
	v_cmp_ne_u16_sdwa s[16:17], v44, s9 src0_sel:BYTE_0 src1_sel:DWORD
	v_bfrev_b32_e32 v49, 1
	s_and_saveexec_b64 s[14:15], s[16:17]
	s_cbranch_execz .LBB663_410
; %bb.407:                              ;   in Loop: Header=BB663_213 Depth=1
	v_and_b32_e32 v46, 0x7f, v44
	v_cmp_ne_u32_e32 vcc, s19, v46
	v_mov_b32_e32 v49, 0x7f800001
	s_and_saveexec_b64 s[16:17], vcc
	s_cbranch_execz .LBB663_409
; %bb.408:                              ;   in Loop: Header=BB663_213 Depth=1
	v_and_b32_e32 v49, 7, v44
	v_ffbh_u32_e32 v50, v49
	v_min_u32_e32 v53, 32, v50
	v_subrev_u32_e32 v50, 28, v53
	v_lshlrev_b64 v[50:51], v50, v[44:45]
	v_lshrrev_b32_e32 v52, 3, v46
	v_sub_u32_e32 v51, 29, v53
	v_and_b32_e32 v50, 7, v50
	v_cmp_gt_u32_e32 vcc, 8, v46
	v_cndmask_b32_e32 v46, v52, v51, vcc
	v_cndmask_b32_e32 v49, v49, v50, vcc
	v_lshlrev_b32_e32 v50, 24, v44
	v_lshlrev_b32_e32 v49, 20, v49
	v_and_b32_e32 v50, 0x80000000, v50
	v_lshl_add_u32 v46, v46, 23, v48
	v_or3_b32 v49, v50, v46, v49
.LBB663_409:                            ;   in Loop: Header=BB663_213 Depth=1
	s_or_b64 exec, exec, s[16:17]
.LBB663_410:                            ;   in Loop: Header=BB663_213 Depth=1
	s_or_b64 exec, exec, s[14:15]
.LBB663_411:                            ;   in Loop: Header=BB663_213 Depth=1
	s_or_b64 exec, exec, s[12:13]
	v_lshrrev_b16_e32 v46, 8, v44
	v_cmp_ne_u16_e32 vcc, 0, v46
	v_mov_b32_e32 v50, 0
	v_mov_b32_e32 v51, 0
	s_and_saveexec_b64 s[12:13], vcc
	s_cbranch_execz .LBB663_417
; %bb.412:                              ;   in Loop: Header=BB663_213 Depth=1
	v_cmp_ne_u16_e32 vcc, s9, v46
	v_bfrev_b32_e32 v51, 1
	s_and_saveexec_b64 s[14:15], vcc
	s_cbranch_execz .LBB663_416
; %bb.413:                              ;   in Loop: Header=BB663_213 Depth=1
	v_and_b32_e32 v52, 0x7f, v46
	v_cmp_ne_u32_e32 vcc, s19, v52
	v_mov_b32_e32 v51, 0x7f800001
	s_and_saveexec_b64 s[16:17], vcc
	s_cbranch_execz .LBB663_415
; %bb.414:                              ;   in Loop: Header=BB663_213 Depth=1
	v_and_b32_e32 v51, 7, v46
	v_ffbh_u32_e32 v60, v51
	v_min_u32_e32 v62, 32, v60
	v_subrev_u32_e32 v60, 28, v62
	v_lshlrev_b64 v[60:61], v60, v[46:47]
	v_lshrrev_b32_e32 v53, 3, v52
	v_sub_u32_e32 v46, 29, v62
	v_and_b32_e32 v60, 7, v60
	v_cmp_gt_u32_e32 vcc, 8, v52
	v_cndmask_b32_e32 v46, v53, v46, vcc
	v_cndmask_b32_e32 v51, v51, v60, vcc
	v_lshlrev_b32_e32 v52, 16, v44
	v_lshlrev_b32_e32 v51, 20, v51
	v_and_b32_e32 v52, 0x80000000, v52
	v_lshl_add_u32 v46, v46, 23, v48
	v_or3_b32 v51, v52, v46, v51
.LBB663_415:                            ;   in Loop: Header=BB663_213 Depth=1
	s_or_b64 exec, exec, s[16:17]
.LBB663_416:                            ;   in Loop: Header=BB663_213 Depth=1
	s_or_b64 exec, exec, s[14:15]
.LBB663_417:                            ;   in Loop: Header=BB663_213 Depth=1
	s_or_b64 exec, exec, s[12:13]
	v_lshrrev_b32_e32 v46, 16, v44
	v_cmp_ne_u16_sdwa s[14:15], v46, v47 src0_sel:BYTE_0 src1_sel:DWORD
	s_and_saveexec_b64 s[12:13], s[14:15]
	s_cbranch_execz .LBB663_423
; %bb.418:                              ;   in Loop: Header=BB663_213 Depth=1
	v_cmp_ne_u16_sdwa s[16:17], v46, s9 src0_sel:BYTE_0 src1_sel:DWORD
	v_bfrev_b32_e32 v50, 1
	s_and_saveexec_b64 s[14:15], s[16:17]
	s_cbranch_execz .LBB663_422
; %bb.419:                              ;   in Loop: Header=BB663_213 Depth=1
	v_bfe_u32 v52, v44, 16, 7
	v_cmp_ne_u32_e32 vcc, s19, v52
	v_mov_b32_e32 v50, 0x7f800001
	s_and_saveexec_b64 s[16:17], vcc
	s_cbranch_execz .LBB663_421
; %bb.420:                              ;   in Loop: Header=BB663_213 Depth=1
	v_and_b32_e32 v50, 7, v46
	v_ffbh_u32_e32 v60, v50
	v_min_u32_e32 v62, 32, v60
	v_subrev_u32_e32 v60, 28, v62
	v_lshlrev_b64 v[60:61], v60, v[46:47]
	v_lshrrev_b32_e32 v53, 3, v52
	v_sub_u32_e32 v61, 29, v62
	v_and_b32_e32 v60, 7, v60
	v_cmp_gt_u32_e32 vcc, 8, v52
	v_cndmask_b32_e32 v52, v53, v61, vcc
	v_cndmask_b32_e32 v50, v50, v60, vcc
	v_lshlrev_b32_e32 v46, 24, v46
	v_lshlrev_b32_e32 v50, 20, v50
	v_and_b32_e32 v46, 0x80000000, v46
	v_lshl_add_u32 v52, v52, 23, v48
	v_or3_b32 v50, v46, v52, v50
.LBB663_421:                            ;   in Loop: Header=BB663_213 Depth=1
	s_or_b64 exec, exec, s[16:17]
.LBB663_422:                            ;   in Loop: Header=BB663_213 Depth=1
	s_or_b64 exec, exec, s[14:15]
.LBB663_423:                            ;   in Loop: Header=BB663_213 Depth=1
	s_or_b64 exec, exec, s[12:13]
	v_cmp_lt_u32_e32 vcc, s20, v44
	v_mov_b32_e32 v52, 0
	v_mov_b32_e32 v53, 0
	s_and_saveexec_b64 s[12:13], vcc
	s_cbranch_execz .LBB663_429
; %bb.424:                              ;   in Loop: Header=BB663_213 Depth=1
	v_lshrrev_b32_e32 v46, 24, v44
	v_cmp_ne_u32_e32 vcc, s9, v46
	v_bfrev_b32_e32 v53, 1
	s_and_saveexec_b64 s[14:15], vcc
	s_cbranch_execz .LBB663_428
; %bb.425:                              ;   in Loop: Header=BB663_213 Depth=1
	v_bfe_u32 v44, v44, 24, 7
	v_cmp_ne_u32_e32 vcc, s19, v44
	v_mov_b32_e32 v53, 0x7f800001
	s_and_saveexec_b64 s[16:17], vcc
	s_cbranch_execz .LBB663_427
; %bb.426:                              ;   in Loop: Header=BB663_213 Depth=1
	v_and_b32_e32 v53, 7, v46
	v_ffbh_u32_e32 v60, v53
	v_min_u32_e32 v63, 32, v60
	v_subrev_u32_e32 v60, 28, v63
	v_lshlrev_b64 v[60:61], v60, v[46:47]
	v_lshrrev_b32_e32 v62, 3, v44
	v_sub_u32_e32 v61, 29, v63
	v_and_b32_e32 v60, 7, v60
	v_cmp_gt_u32_e32 vcc, 8, v44
	v_cndmask_b32_e32 v44, v62, v61, vcc
	v_cndmask_b32_e32 v53, v53, v60, vcc
	v_lshlrev_b32_e32 v46, 24, v46
	v_lshlrev_b32_e32 v53, 20, v53
	v_and_b32_e32 v46, 0x80000000, v46
	v_lshl_add_u32 v44, v44, 23, v48
	v_or3_b32 v53, v46, v44, v53
.LBB663_427:                            ;   in Loop: Header=BB663_213 Depth=1
	s_or_b64 exec, exec, s[16:17]
.LBB663_428:                            ;   in Loop: Header=BB663_213 Depth=1
	s_or_b64 exec, exec, s[14:15]
.LBB663_429:                            ;   in Loop: Header=BB663_213 Depth=1
	s_or_b64 exec, exec, s[12:13]
	s_waitcnt vmcnt(2)
	v_cmp_ne_u16_sdwa s[14:15], v42, v47 src0_sel:BYTE_0 src1_sel:DWORD
	s_and_saveexec_b64 s[12:13], s[14:15]
	s_cbranch_execz .LBB663_435
; %bb.430:                              ;   in Loop: Header=BB663_213 Depth=1
	v_cmp_ne_u16_sdwa s[16:17], v42, s9 src0_sel:BYTE_0 src1_sel:DWORD
	v_bfrev_b32_e32 v52, 1
	s_and_saveexec_b64 s[14:15], s[16:17]
	s_cbranch_execz .LBB663_434
; %bb.431:                              ;   in Loop: Header=BB663_213 Depth=1
	v_and_b32_e32 v44, 0x7f, v42
	v_cmp_ne_u32_e32 vcc, s19, v44
	v_mov_b32_e32 v52, 0x7f800001
	s_and_saveexec_b64 s[16:17], vcc
	s_cbranch_execz .LBB663_433
; %bb.432:                              ;   in Loop: Header=BB663_213 Depth=1
	v_and_b32_e32 v46, 7, v42
	v_ffbh_u32_e32 v60, v46
	v_min_u32_e32 v62, 32, v60
	v_subrev_u32_e32 v60, 28, v62
	v_lshlrev_b64 v[60:61], v60, v[42:43]
	v_lshrrev_b32_e32 v52, 3, v44
	v_sub_u32_e32 v61, 29, v62
	v_and_b32_e32 v60, 7, v60
	v_cmp_gt_u32_e32 vcc, 8, v44
	v_cndmask_b32_e32 v44, v52, v61, vcc
	v_cndmask_b32_e32 v46, v46, v60, vcc
	v_lshlrev_b32_e32 v52, 24, v42
	v_lshlrev_b32_e32 v46, 20, v46
	v_and_b32_e32 v52, 0x80000000, v52
	v_lshl_add_u32 v44, v44, 23, v48
	v_or3_b32 v52, v52, v44, v46
.LBB663_433:                            ;   in Loop: Header=BB663_213 Depth=1
	s_or_b64 exec, exec, s[16:17]
.LBB663_434:                            ;   in Loop: Header=BB663_213 Depth=1
	s_or_b64 exec, exec, s[14:15]
.LBB663_435:                            ;   in Loop: Header=BB663_213 Depth=1
	s_or_b64 exec, exec, s[12:13]
	v_lshrrev_b16_e32 v44, 8, v42
	v_cmp_ne_u16_e32 vcc, 0, v44
	v_mov_b32_e32 v60, 0
	v_mov_b32_e32 v61, 0
	s_and_saveexec_b64 s[12:13], vcc
	s_cbranch_execz .LBB663_441
; %bb.436:                              ;   in Loop: Header=BB663_213 Depth=1
	v_cmp_ne_u16_e32 vcc, s9, v44
	v_bfrev_b32_e32 v61, 1
	s_and_saveexec_b64 s[14:15], vcc
	s_cbranch_execz .LBB663_440
; %bb.437:                              ;   in Loop: Header=BB663_213 Depth=1
	v_and_b32_e32 v46, 0x7f, v44
	v_cmp_ne_u32_e32 vcc, s19, v46
	v_mov_b32_e32 v61, 0x7f800001
	s_and_saveexec_b64 s[16:17], vcc
	s_cbranch_execz .LBB663_439
; %bb.438:                              ;   in Loop: Header=BB663_213 Depth=1
	v_and_b32_e32 v61, 7, v44
	v_ffbh_u32_e32 v62, v61
	v_min_u32_e32 v65, 32, v62
	v_subrev_u32_e32 v62, 28, v65
	v_lshlrev_b64 v[62:63], v62, v[44:45]
	v_lshrrev_b32_e32 v64, 3, v46
	v_sub_u32_e32 v44, 29, v65
	v_and_b32_e32 v62, 7, v62
	v_cmp_gt_u32_e32 vcc, 8, v46
	v_cndmask_b32_e32 v44, v64, v44, vcc
	v_cndmask_b32_e32 v46, v61, v62, vcc
	v_lshlrev_b32_e32 v61, 16, v42
	v_lshlrev_b32_e32 v46, 20, v46
	v_and_b32_e32 v61, 0x80000000, v61
	v_lshl_add_u32 v44, v44, 23, v48
	v_or3_b32 v61, v61, v44, v46
.LBB663_439:                            ;   in Loop: Header=BB663_213 Depth=1
	s_or_b64 exec, exec, s[16:17]
.LBB663_440:                            ;   in Loop: Header=BB663_213 Depth=1
	s_or_b64 exec, exec, s[14:15]
.LBB663_441:                            ;   in Loop: Header=BB663_213 Depth=1
	s_or_b64 exec, exec, s[12:13]
	v_lshrrev_b32_e32 v44, 16, v42
	v_cmp_ne_u16_sdwa s[14:15], v44, v47 src0_sel:BYTE_0 src1_sel:DWORD
	s_and_saveexec_b64 s[12:13], s[14:15]
	s_cbranch_execz .LBB663_447
; %bb.442:                              ;   in Loop: Header=BB663_213 Depth=1
	v_cmp_ne_u16_sdwa s[16:17], v44, s9 src0_sel:BYTE_0 src1_sel:DWORD
	v_bfrev_b32_e32 v60, 1
	s_and_saveexec_b64 s[14:15], s[16:17]
	s_cbranch_execz .LBB663_446
; %bb.443:                              ;   in Loop: Header=BB663_213 Depth=1
	v_bfe_u32 v46, v42, 16, 7
	v_cmp_ne_u32_e32 vcc, s19, v46
	v_mov_b32_e32 v60, 0x7f800001
	s_and_saveexec_b64 s[16:17], vcc
	s_cbranch_execz .LBB663_445
; %bb.444:                              ;   in Loop: Header=BB663_213 Depth=1
	v_and_b32_e32 v60, 7, v44
	v_ffbh_u32_e32 v62, v60
	v_min_u32_e32 v65, 32, v62
	v_subrev_u32_e32 v62, 28, v65
	v_lshlrev_b64 v[62:63], v62, v[44:45]
	v_lshrrev_b32_e32 v64, 3, v46
	v_sub_u32_e32 v63, 29, v65
	v_and_b32_e32 v62, 7, v62
	v_cmp_gt_u32_e32 vcc, 8, v46
	v_cndmask_b32_e32 v46, v64, v63, vcc
	v_cndmask_b32_e32 v60, v60, v62, vcc
	v_lshlrev_b32_e32 v44, 24, v44
	v_lshlrev_b32_e32 v60, 20, v60
	v_and_b32_e32 v44, 0x80000000, v44
	v_lshl_add_u32 v46, v46, 23, v48
	v_or3_b32 v60, v44, v46, v60
.LBB663_445:                            ;   in Loop: Header=BB663_213 Depth=1
	s_or_b64 exec, exec, s[16:17]
.LBB663_446:                            ;   in Loop: Header=BB663_213 Depth=1
	s_or_b64 exec, exec, s[14:15]
.LBB663_447:                            ;   in Loop: Header=BB663_213 Depth=1
	s_or_b64 exec, exec, s[12:13]
	v_cmp_lt_u32_e32 vcc, s20, v42
	v_mov_b32_e32 v46, 0
	v_mov_b32_e32 v62, 0
	s_and_saveexec_b64 s[12:13], vcc
	s_cbranch_execz .LBB663_453
; %bb.448:                              ;   in Loop: Header=BB663_213 Depth=1
	v_lshrrev_b32_e32 v44, 24, v42
	v_cmp_ne_u32_e32 vcc, s9, v44
	v_bfrev_b32_e32 v62, 1
	s_and_saveexec_b64 s[14:15], vcc
	s_cbranch_execz .LBB663_452
; %bb.449:                              ;   in Loop: Header=BB663_213 Depth=1
	v_bfe_u32 v42, v42, 24, 7
	v_cmp_ne_u32_e32 vcc, s19, v42
	v_mov_b32_e32 v62, 0x7f800001
	s_and_saveexec_b64 s[16:17], vcc
	s_cbranch_execz .LBB663_451
; %bb.450:                              ;   in Loop: Header=BB663_213 Depth=1
	v_and_b32_e32 v64, 7, v44
	v_ffbh_u32_e32 v62, v64
	v_min_u32_e32 v66, 32, v62
	v_subrev_u32_e32 v62, 28, v66
	v_lshlrev_b64 v[62:63], v62, v[44:45]
	v_lshrrev_b32_e32 v65, 3, v42
	v_sub_u32_e32 v63, 29, v66
	v_and_b32_e32 v62, 7, v62
	v_cmp_gt_u32_e32 vcc, 8, v42
	v_cndmask_b32_e32 v42, v65, v63, vcc
	v_cndmask_b32_e32 v62, v64, v62, vcc
	v_lshlrev_b32_e32 v44, 24, v44
	v_lshlrev_b32_e32 v62, 20, v62
	v_and_b32_e32 v44, 0x80000000, v44
	v_lshl_add_u32 v42, v42, 23, v48
	v_or3_b32 v62, v44, v42, v62
.LBB663_451:                            ;   in Loop: Header=BB663_213 Depth=1
	s_or_b64 exec, exec, s[16:17]
.LBB663_452:                            ;   in Loop: Header=BB663_213 Depth=1
	s_or_b64 exec, exec, s[14:15]
.LBB663_453:                            ;   in Loop: Header=BB663_213 Depth=1
	s_or_b64 exec, exec, s[12:13]
	v_cvt_pkrtz_f16_f32 v64, v49, v51
	v_cvt_pkrtz_f16_f32 v65, v50, v53
	;; [unrolled: 1-line block ×4, first 2 shown]
	s_waitcnt vmcnt(1)
	v_cmp_ne_u16_sdwa s[14:15], v40, v47 src0_sel:BYTE_0 src1_sel:DWORD
	v_mfma_f32_16x16x16f16 v[34:37], v[64:65], v[18:19], v[34:37]
	v_mfma_f32_16x16x16f16 v[34:37], v[50:51], v[20:21], v[34:37]
	s_and_saveexec_b64 s[12:13], s[14:15]
	s_cbranch_execz .LBB663_459
; %bb.454:                              ;   in Loop: Header=BB663_213 Depth=1
	v_cmp_ne_u16_sdwa s[16:17], v40, s9 src0_sel:BYTE_0 src1_sel:DWORD
	v_bfrev_b32_e32 v46, 1
	s_and_saveexec_b64 s[14:15], s[16:17]
	s_cbranch_execz .LBB663_458
; %bb.455:                              ;   in Loop: Header=BB663_213 Depth=1
	v_and_b32_e32 v42, 0x7f, v40
	v_cmp_ne_u32_e32 vcc, s19, v42
	v_mov_b32_e32 v46, 0x7f800001
	s_and_saveexec_b64 s[16:17], vcc
	s_cbranch_execz .LBB663_457
; %bb.456:                              ;   in Loop: Header=BB663_213 Depth=1
	v_and_b32_e32 v44, 7, v40
	v_ffbh_u32_e32 v49, v44
	v_min_u32_e32 v49, 32, v49
	v_subrev_u32_e32 v50, 28, v49
	v_lshlrev_b64 v[50:51], v50, v[40:41]
	v_lshrrev_b32_e32 v46, 3, v42
	v_sub_u32_e32 v49, 29, v49
	v_and_b32_e32 v50, 7, v50
	v_cmp_gt_u32_e32 vcc, 8, v42
	v_cndmask_b32_e32 v42, v46, v49, vcc
	v_cndmask_b32_e32 v44, v44, v50, vcc
	v_lshlrev_b32_e32 v46, 24, v40
	v_lshlrev_b32_e32 v44, 20, v44
	v_and_b32_e32 v46, 0x80000000, v46
	v_lshl_add_u32 v42, v42, 23, v48
	v_or3_b32 v46, v46, v42, v44
.LBB663_457:                            ;   in Loop: Header=BB663_213 Depth=1
	s_or_b64 exec, exec, s[16:17]
.LBB663_458:                            ;   in Loop: Header=BB663_213 Depth=1
	s_or_b64 exec, exec, s[14:15]
.LBB663_459:                            ;   in Loop: Header=BB663_213 Depth=1
	s_or_b64 exec, exec, s[12:13]
	v_lshrrev_b16_e32 v42, 8, v40
	v_cmp_ne_u16_e32 vcc, 0, v42
	v_mov_b32_e32 v44, 0
	v_mov_b32_e32 v50, 0
	s_and_saveexec_b64 s[12:13], vcc
	s_cbranch_execz .LBB663_465
; %bb.460:                              ;   in Loop: Header=BB663_213 Depth=1
	v_cmp_ne_u16_e32 vcc, s9, v42
	v_bfrev_b32_e32 v50, 1
	s_and_saveexec_b64 s[14:15], vcc
	s_cbranch_execz .LBB663_464
; %bb.461:                              ;   in Loop: Header=BB663_213 Depth=1
	v_and_b32_e32 v49, 0x7f, v42
	v_cmp_ne_u32_e32 vcc, s19, v49
	v_mov_b32_e32 v50, 0x7f800001
	s_and_saveexec_b64 s[16:17], vcc
	s_cbranch_execz .LBB663_463
; %bb.462:                              ;   in Loop: Header=BB663_213 Depth=1
	v_and_b32_e32 v52, 7, v42
	v_ffbh_u32_e32 v50, v52
	v_min_u32_e32 v60, 32, v50
	v_subrev_u32_e32 v50, 28, v60
	v_lshlrev_b64 v[50:51], v50, v[42:43]
	v_lshrrev_b32_e32 v53, 3, v49
	v_sub_u32_e32 v42, 29, v60
	v_and_b32_e32 v50, 7, v50
	v_cmp_gt_u32_e32 vcc, 8, v49
	v_cndmask_b32_e32 v42, v53, v42, vcc
	v_cndmask_b32_e32 v49, v52, v50, vcc
	v_lshlrev_b32_e32 v50, 16, v40
	v_lshlrev_b32_e32 v49, 20, v49
	v_and_b32_e32 v50, 0x80000000, v50
	v_lshl_add_u32 v42, v42, 23, v48
	v_or3_b32 v50, v50, v42, v49
.LBB663_463:                            ;   in Loop: Header=BB663_213 Depth=1
	s_or_b64 exec, exec, s[16:17]
.LBB663_464:                            ;   in Loop: Header=BB663_213 Depth=1
	s_or_b64 exec, exec, s[14:15]
.LBB663_465:                            ;   in Loop: Header=BB663_213 Depth=1
	s_or_b64 exec, exec, s[12:13]
	v_lshrrev_b32_e32 v42, 16, v40
	v_cmp_ne_u16_sdwa s[14:15], v42, v47 src0_sel:BYTE_0 src1_sel:DWORD
	s_and_saveexec_b64 s[12:13], s[14:15]
	s_cbranch_execz .LBB663_471
; %bb.466:                              ;   in Loop: Header=BB663_213 Depth=1
	v_cmp_ne_u16_sdwa s[16:17], v42, s9 src0_sel:BYTE_0 src1_sel:DWORD
	v_bfrev_b32_e32 v44, 1
	s_and_saveexec_b64 s[14:15], s[16:17]
	s_cbranch_execz .LBB663_470
; %bb.467:                              ;   in Loop: Header=BB663_213 Depth=1
	v_bfe_u32 v49, v40, 16, 7
	v_cmp_ne_u32_e32 vcc, s19, v49
	v_mov_b32_e32 v44, 0x7f800001
	s_and_saveexec_b64 s[16:17], vcc
	s_cbranch_execz .LBB663_469
; %bb.468:                              ;   in Loop: Header=BB663_213 Depth=1
	v_and_b32_e32 v44, 7, v42
	v_ffbh_u32_e32 v52, v44
	v_min_u32_e32 v60, 32, v52
	v_subrev_u32_e32 v52, 28, v60
	v_lshlrev_b64 v[52:53], v52, v[42:43]
	v_lshrrev_b32_e32 v51, 3, v49
	v_sub_u32_e32 v53, 29, v60
	v_and_b32_e32 v52, 7, v52
	v_cmp_gt_u32_e32 vcc, 8, v49
	v_cndmask_b32_e32 v49, v51, v53, vcc
	v_cndmask_b32_e32 v44, v44, v52, vcc
	v_lshlrev_b32_e32 v42, 24, v42
	v_lshlrev_b32_e32 v44, 20, v44
	v_and_b32_e32 v42, 0x80000000, v42
	v_lshl_add_u32 v49, v49, 23, v48
	v_or3_b32 v44, v42, v49, v44
.LBB663_469:                            ;   in Loop: Header=BB663_213 Depth=1
	s_or_b64 exec, exec, s[16:17]
.LBB663_470:                            ;   in Loop: Header=BB663_213 Depth=1
	s_or_b64 exec, exec, s[14:15]
.LBB663_471:                            ;   in Loop: Header=BB663_213 Depth=1
	s_or_b64 exec, exec, s[12:13]
	v_cmp_lt_u32_e32 vcc, s20, v40
	v_mov_b32_e32 v51, 0
	v_mov_b32_e32 v52, 0
	s_and_saveexec_b64 s[12:13], vcc
	s_cbranch_execz .LBB663_477
; %bb.472:                              ;   in Loop: Header=BB663_213 Depth=1
	v_lshrrev_b32_e32 v42, 24, v40
	v_cmp_ne_u32_e32 vcc, s9, v42
	v_bfrev_b32_e32 v52, 1
	s_and_saveexec_b64 s[14:15], vcc
	s_cbranch_execz .LBB663_476
; %bb.473:                              ;   in Loop: Header=BB663_213 Depth=1
	v_bfe_u32 v40, v40, 24, 7
	v_cmp_ne_u32_e32 vcc, s19, v40
	v_mov_b32_e32 v52, 0x7f800001
	s_and_saveexec_b64 s[16:17], vcc
	s_cbranch_execz .LBB663_475
; %bb.474:                              ;   in Loop: Header=BB663_213 Depth=1
	v_and_b32_e32 v49, 7, v42
	v_ffbh_u32_e32 v52, v49
	v_min_u32_e32 v61, 32, v52
	v_subrev_u32_e32 v52, 28, v61
	v_lshlrev_b64 v[52:53], v52, v[42:43]
	v_lshrrev_b32_e32 v60, 3, v40
	v_sub_u32_e32 v53, 29, v61
	v_and_b32_e32 v52, 7, v52
	v_cmp_gt_u32_e32 vcc, 8, v40
	v_cndmask_b32_e32 v40, v60, v53, vcc
	v_cndmask_b32_e32 v49, v49, v52, vcc
	v_lshlrev_b32_e32 v42, 24, v42
	v_lshlrev_b32_e32 v49, 20, v49
	v_and_b32_e32 v42, 0x80000000, v42
	v_lshl_add_u32 v40, v40, 23, v48
	v_or3_b32 v52, v42, v40, v49
.LBB663_475:                            ;   in Loop: Header=BB663_213 Depth=1
	s_or_b64 exec, exec, s[16:17]
.LBB663_476:                            ;   in Loop: Header=BB663_213 Depth=1
	s_or_b64 exec, exec, s[14:15]
.LBB663_477:                            ;   in Loop: Header=BB663_213 Depth=1
	s_or_b64 exec, exec, s[12:13]
	s_waitcnt vmcnt(0)
	v_cmp_ne_u16_sdwa s[14:15], v38, v47 src0_sel:BYTE_0 src1_sel:DWORD
	s_and_saveexec_b64 s[12:13], s[14:15]
	s_cbranch_execz .LBB663_483
; %bb.478:                              ;   in Loop: Header=BB663_213 Depth=1
	v_cmp_ne_u16_sdwa s[16:17], v38, s9 src0_sel:BYTE_0 src1_sel:DWORD
	v_bfrev_b32_e32 v51, 1
	s_and_saveexec_b64 s[14:15], s[16:17]
	s_cbranch_execz .LBB663_482
; %bb.479:                              ;   in Loop: Header=BB663_213 Depth=1
	v_and_b32_e32 v40, 0x7f, v38
	v_cmp_ne_u32_e32 vcc, s19, v40
	v_mov_b32_e32 v51, 0x7f800001
	s_and_saveexec_b64 s[16:17], vcc
	s_cbranch_execz .LBB663_481
; %bb.480:                              ;   in Loop: Header=BB663_213 Depth=1
	v_and_b32_e32 v42, 7, v38
	v_ffbh_u32_e32 v51, v42
	v_min_u32_e32 v51, 32, v51
	v_subrev_u32_e32 v53, 28, v51
	v_lshlrev_b64 v[60:61], v53, v[38:39]
	v_lshrrev_b32_e32 v49, 3, v40
	v_sub_u32_e32 v51, 29, v51
	v_and_b32_e32 v53, 7, v60
	v_cmp_gt_u32_e32 vcc, 8, v40
	v_cndmask_b32_e32 v40, v49, v51, vcc
	v_cndmask_b32_e32 v42, v42, v53, vcc
	v_lshlrev_b32_e32 v49, 24, v38
	v_lshlrev_b32_e32 v42, 20, v42
	v_and_b32_e32 v49, 0x80000000, v49
	v_lshl_add_u32 v40, v40, 23, v48
	v_or3_b32 v51, v49, v40, v42
.LBB663_481:                            ;   in Loop: Header=BB663_213 Depth=1
	s_or_b64 exec, exec, s[16:17]
.LBB663_482:                            ;   in Loop: Header=BB663_213 Depth=1
	s_or_b64 exec, exec, s[14:15]
.LBB663_483:                            ;   in Loop: Header=BB663_213 Depth=1
	s_or_b64 exec, exec, s[12:13]
	v_lshrrev_b16_e32 v40, 8, v38
	v_cmp_ne_u16_e32 vcc, 0, v40
	v_mov_b32_e32 v53, 0
	v_mov_b32_e32 v60, 0
	s_and_saveexec_b64 s[12:13], vcc
	s_cbranch_execz .LBB663_489
; %bb.484:                              ;   in Loop: Header=BB663_213 Depth=1
	v_cmp_ne_u16_e32 vcc, s9, v40
	v_bfrev_b32_e32 v60, 1
	s_and_saveexec_b64 s[14:15], vcc
	s_cbranch_execz .LBB663_488
; %bb.485:                              ;   in Loop: Header=BB663_213 Depth=1
	v_and_b32_e32 v42, 0x7f, v40
	v_cmp_ne_u32_e32 vcc, s19, v42
	v_mov_b32_e32 v60, 0x7f800001
	s_and_saveexec_b64 s[16:17], vcc
	s_cbranch_execz .LBB663_487
; %bb.486:                              ;   in Loop: Header=BB663_213 Depth=1
	v_and_b32_e32 v49, 7, v40
	v_ffbh_u32_e32 v60, v49
	v_min_u32_e32 v63, 32, v60
	v_subrev_u32_e32 v60, 28, v63
	v_lshlrev_b64 v[60:61], v60, v[40:41]
	v_lshrrev_b32_e32 v62, 3, v42
	v_sub_u32_e32 v40, 29, v63
	v_and_b32_e32 v60, 7, v60
	v_cmp_gt_u32_e32 vcc, 8, v42
	v_cndmask_b32_e32 v40, v62, v40, vcc
	v_cndmask_b32_e32 v42, v49, v60, vcc
	v_lshlrev_b32_e32 v49, 16, v38
	v_lshlrev_b32_e32 v42, 20, v42
	v_and_b32_e32 v49, 0x80000000, v49
	v_lshl_add_u32 v40, v40, 23, v48
	v_or3_b32 v60, v49, v40, v42
.LBB663_487:                            ;   in Loop: Header=BB663_213 Depth=1
	s_or_b64 exec, exec, s[16:17]
.LBB663_488:                            ;   in Loop: Header=BB663_213 Depth=1
	s_or_b64 exec, exec, s[14:15]
.LBB663_489:                            ;   in Loop: Header=BB663_213 Depth=1
	s_or_b64 exec, exec, s[12:13]
	v_lshrrev_b32_e32 v40, 16, v38
	v_cmp_ne_u16_sdwa s[14:15], v40, v47 src0_sel:BYTE_0 src1_sel:DWORD
	s_and_saveexec_b64 s[12:13], s[14:15]
	s_cbranch_execz .LBB663_495
; %bb.490:                              ;   in Loop: Header=BB663_213 Depth=1
	v_cmp_ne_u16_sdwa s[16:17], v40, s9 src0_sel:BYTE_0 src1_sel:DWORD
	v_bfrev_b32_e32 v53, 1
	s_and_saveexec_b64 s[14:15], s[16:17]
	s_cbranch_execz .LBB663_494
; %bb.491:                              ;   in Loop: Header=BB663_213 Depth=1
	v_bfe_u32 v42, v38, 16, 7
	v_cmp_ne_u32_e32 vcc, s19, v42
	v_mov_b32_e32 v53, 0x7f800001
	s_and_saveexec_b64 s[16:17], vcc
	s_cbranch_execz .LBB663_493
; %bb.492:                              ;   in Loop: Header=BB663_213 Depth=1
	v_and_b32_e32 v49, 7, v40
	v_ffbh_u32_e32 v61, v49
	v_min_u32_e32 v61, 32, v61
	v_subrev_u32_e32 v62, 28, v61
	v_lshlrev_b64 v[62:63], v62, v[40:41]
	v_lshrrev_b32_e32 v53, 3, v42
	v_sub_u32_e32 v61, 29, v61
	v_and_b32_e32 v62, 7, v62
	v_cmp_gt_u32_e32 vcc, 8, v42
	v_cndmask_b32_e32 v42, v53, v61, vcc
	v_cndmask_b32_e32 v49, v49, v62, vcc
	v_lshlrev_b32_e32 v40, 24, v40
	v_lshlrev_b32_e32 v49, 20, v49
	v_and_b32_e32 v40, 0x80000000, v40
	v_lshl_add_u32 v42, v42, 23, v48
	v_or3_b32 v53, v40, v42, v49
.LBB663_493:                            ;   in Loop: Header=BB663_213 Depth=1
	s_or_b64 exec, exec, s[16:17]
.LBB663_494:                            ;   in Loop: Header=BB663_213 Depth=1
	s_or_b64 exec, exec, s[14:15]
.LBB663_495:                            ;   in Loop: Header=BB663_213 Depth=1
	s_or_b64 exec, exec, s[12:13]
	v_cmp_lt_u32_e32 vcc, s20, v38
	v_mov_b32_e32 v49, 0
	v_mov_b32_e32 v61, 0
	s_and_saveexec_b64 s[12:13], vcc
	s_cbranch_execz .LBB663_501
; %bb.496:                              ;   in Loop: Header=BB663_213 Depth=1
	v_lshrrev_b32_e32 v40, 24, v38
	v_cmp_ne_u32_e32 vcc, s9, v40
	v_bfrev_b32_e32 v61, 1
	s_and_saveexec_b64 s[14:15], vcc
	s_cbranch_execz .LBB663_500
; %bb.497:                              ;   in Loop: Header=BB663_213 Depth=1
	v_bfe_u32 v38, v38, 24, 7
	v_cmp_ne_u32_e32 vcc, s19, v38
	v_mov_b32_e32 v61, 0x7f800001
	s_and_saveexec_b64 s[16:17], vcc
	s_cbranch_execz .LBB663_499
; %bb.498:                              ;   in Loop: Header=BB663_213 Depth=1
	v_and_b32_e32 v42, 7, v40
	v_ffbh_u32_e32 v62, v42
	v_min_u32_e32 v64, 32, v62
	v_subrev_u32_e32 v62, 28, v64
	v_lshlrev_b64 v[62:63], v62, v[40:41]
	v_lshrrev_b32_e32 v61, 3, v38
	v_sub_u32_e32 v63, 29, v64
	v_and_b32_e32 v62, 7, v62
	v_cmp_gt_u32_e32 vcc, 8, v38
	v_cndmask_b32_e32 v38, v61, v63, vcc
	v_cndmask_b32_e32 v42, v42, v62, vcc
	v_lshlrev_b32_e32 v40, 24, v40
	v_lshlrev_b32_e32 v42, 20, v42
	v_and_b32_e32 v40, 0x80000000, v40
	v_lshl_add_u32 v38, v38, 23, v48
	v_or3_b32 v61, v40, v38, v42
.LBB663_499:                            ;   in Loop: Header=BB663_213 Depth=1
	s_or_b64 exec, exec, s[16:17]
.LBB663_500:                            ;   in Loop: Header=BB663_213 Depth=1
	s_or_b64 exec, exec, s[14:15]
.LBB663_501:                            ;   in Loop: Header=BB663_213 Depth=1
	s_or_b64 exec, exec, s[12:13]
	v_cvt_pkrtz_f16_f32 v63, v44, v52
	buffer_load_dword v44, v41, s[0:3], 0 offen
	buffer_load_dword v42, v41, s[0:3], 0 offen offset:4
	buffer_load_dword v40, v41, s[0:3], 0 offen offset:8
	buffer_load_dword v38, v41, s[0:3], 0 offen offset:12
	v_cvt_pkrtz_f16_f32 v62, v46, v50
	v_cvt_pkrtz_f16_f32 v50, v51, v60
	;; [unrolled: 1-line block ×3, first 2 shown]
	v_mfma_f32_16x16x16f16 v[34:37], v[62:63], v[22:23], v[34:37]
	s_waitcnt vmcnt(3)
	v_cmp_ne_u16_sdwa s[14:15], v44, v47 src0_sel:BYTE_0 src1_sel:DWORD
	v_mfma_f32_16x16x16f16 v[34:37], v[50:51], v[24:25], v[34:37]
	s_and_saveexec_b64 s[12:13], s[14:15]
	s_cbranch_execz .LBB663_507
; %bb.502:                              ;   in Loop: Header=BB663_213 Depth=1
	v_cmp_ne_u16_sdwa s[16:17], v44, s9 src0_sel:BYTE_0 src1_sel:DWORD
	v_bfrev_b32_e32 v49, 1
	s_and_saveexec_b64 s[14:15], s[16:17]
	s_cbranch_execz .LBB663_506
; %bb.503:                              ;   in Loop: Header=BB663_213 Depth=1
	v_and_b32_e32 v41, 0x7f, v44
	v_cmp_ne_u32_e32 vcc, s19, v41
	v_mov_b32_e32 v49, 0x7f800001
	s_and_saveexec_b64 s[16:17], vcc
	s_cbranch_execz .LBB663_505
; %bb.504:                              ;   in Loop: Header=BB663_213 Depth=1
	v_and_b32_e32 v46, 7, v44
	v_ffbh_u32_e32 v50, v46
	v_min_u32_e32 v52, 32, v50
	v_subrev_u32_e32 v50, 28, v52
	v_lshlrev_b64 v[50:51], v50, v[44:45]
	v_lshrrev_b32_e32 v49, 3, v41
	v_sub_u32_e32 v51, 29, v52
	v_and_b32_e32 v50, 7, v50
	v_cmp_gt_u32_e32 vcc, 8, v41
	v_cndmask_b32_e32 v41, v49, v51, vcc
	v_cndmask_b32_e32 v46, v46, v50, vcc
	v_lshlrev_b32_e32 v49, 24, v44
	v_lshlrev_b32_e32 v46, 20, v46
	v_and_b32_e32 v49, 0x80000000, v49
	v_lshl_add_u32 v41, v41, 23, v48
	v_or3_b32 v49, v49, v41, v46
.LBB663_505:                            ;   in Loop: Header=BB663_213 Depth=1
	s_or_b64 exec, exec, s[16:17]
.LBB663_506:                            ;   in Loop: Header=BB663_213 Depth=1
	s_or_b64 exec, exec, s[14:15]
.LBB663_507:                            ;   in Loop: Header=BB663_213 Depth=1
	s_or_b64 exec, exec, s[12:13]
	v_lshrrev_b16_e32 v46, 8, v44
	v_cmp_ne_u16_e32 vcc, 0, v46
	v_mov_b32_e32 v50, 0
	v_mov_b32_e32 v51, 0
	s_and_saveexec_b64 s[12:13], vcc
	s_cbranch_execz .LBB663_513
; %bb.508:                              ;   in Loop: Header=BB663_213 Depth=1
	v_cmp_ne_u16_e32 vcc, s9, v46
	v_bfrev_b32_e32 v51, 1
	s_and_saveexec_b64 s[14:15], vcc
	s_cbranch_execz .LBB663_512
; %bb.509:                              ;   in Loop: Header=BB663_213 Depth=1
	v_and_b32_e32 v41, 0x7f, v46
	v_cmp_ne_u32_e32 vcc, s19, v41
	v_mov_b32_e32 v51, 0x7f800001
	s_and_saveexec_b64 s[16:17], vcc
	s_cbranch_execz .LBB663_511
; %bb.510:                              ;   in Loop: Header=BB663_213 Depth=1
	v_and_b32_e32 v51, 7, v46
	v_ffbh_u32_e32 v52, v51
	v_min_u32_e32 v61, 32, v52
	v_subrev_u32_e32 v52, 28, v61
	v_lshlrev_b64 v[52:53], v52, v[46:47]
	v_lshrrev_b32_e32 v60, 3, v41
	v_sub_u32_e32 v46, 29, v61
	v_and_b32_e32 v52, 7, v52
	v_cmp_gt_u32_e32 vcc, 8, v41
	v_cndmask_b32_e32 v41, v60, v46, vcc
	v_cndmask_b32_e32 v46, v51, v52, vcc
	v_lshlrev_b32_e32 v51, 16, v44
	v_lshlrev_b32_e32 v46, 20, v46
	v_and_b32_e32 v51, 0x80000000, v51
	v_lshl_add_u32 v41, v41, 23, v48
	v_or3_b32 v51, v51, v41, v46
.LBB663_511:                            ;   in Loop: Header=BB663_213 Depth=1
	s_or_b64 exec, exec, s[16:17]
.LBB663_512:                            ;   in Loop: Header=BB663_213 Depth=1
	s_or_b64 exec, exec, s[14:15]
.LBB663_513:                            ;   in Loop: Header=BB663_213 Depth=1
	s_or_b64 exec, exec, s[12:13]
	v_lshrrev_b32_e32 v46, 16, v44
	v_cmp_ne_u16_sdwa s[14:15], v46, v47 src0_sel:BYTE_0 src1_sel:DWORD
	s_and_saveexec_b64 s[12:13], s[14:15]
	s_cbranch_execz .LBB663_519
; %bb.514:                              ;   in Loop: Header=BB663_213 Depth=1
	v_cmp_ne_u16_sdwa s[16:17], v46, s9 src0_sel:BYTE_0 src1_sel:DWORD
	v_bfrev_b32_e32 v50, 1
	s_and_saveexec_b64 s[14:15], s[16:17]
	s_cbranch_execz .LBB663_518
; %bb.515:                              ;   in Loop: Header=BB663_213 Depth=1
	v_bfe_u32 v41, v44, 16, 7
	v_cmp_ne_u32_e32 vcc, s19, v41
	v_mov_b32_e32 v50, 0x7f800001
	s_and_saveexec_b64 s[16:17], vcc
	s_cbranch_execz .LBB663_517
; %bb.516:                              ;   in Loop: Header=BB663_213 Depth=1
	v_and_b32_e32 v50, 7, v46
	v_ffbh_u32_e32 v52, v50
	v_min_u32_e32 v61, 32, v52
	v_subrev_u32_e32 v52, 28, v61
	v_lshlrev_b64 v[52:53], v52, v[46:47]
	v_lshrrev_b32_e32 v60, 3, v41
	v_sub_u32_e32 v53, 29, v61
	v_and_b32_e32 v52, 7, v52
	v_cmp_gt_u32_e32 vcc, 8, v41
	v_cndmask_b32_e32 v41, v60, v53, vcc
	v_cndmask_b32_e32 v50, v50, v52, vcc
	v_lshlrev_b32_e32 v46, 24, v46
	v_lshlrev_b32_e32 v50, 20, v50
	v_and_b32_e32 v46, 0x80000000, v46
	v_lshl_add_u32 v41, v41, 23, v48
	v_or3_b32 v50, v46, v41, v50
.LBB663_517:                            ;   in Loop: Header=BB663_213 Depth=1
	s_or_b64 exec, exec, s[16:17]
.LBB663_518:                            ;   in Loop: Header=BB663_213 Depth=1
	s_or_b64 exec, exec, s[14:15]
.LBB663_519:                            ;   in Loop: Header=BB663_213 Depth=1
	s_or_b64 exec, exec, s[12:13]
	v_cmp_lt_u32_e32 vcc, s20, v44
	v_mov_b32_e32 v52, 0
	v_mov_b32_e32 v53, 0
	s_and_saveexec_b64 s[12:13], vcc
	s_cbranch_execz .LBB663_525
; %bb.520:                              ;   in Loop: Header=BB663_213 Depth=1
	v_lshrrev_b32_e32 v46, 24, v44
	v_cmp_ne_u32_e32 vcc, s9, v46
	v_bfrev_b32_e32 v53, 1
	s_and_saveexec_b64 s[14:15], vcc
	s_cbranch_execz .LBB663_524
; %bb.521:                              ;   in Loop: Header=BB663_213 Depth=1
	v_bfe_u32 v41, v44, 24, 7
	v_cmp_ne_u32_e32 vcc, s19, v41
	v_mov_b32_e32 v53, 0x7f800001
	s_and_saveexec_b64 s[16:17], vcc
	s_cbranch_execz .LBB663_523
; %bb.522:                              ;   in Loop: Header=BB663_213 Depth=1
	v_and_b32_e32 v44, 7, v46
	v_ffbh_u32_e32 v60, v44
	v_min_u32_e32 v62, 32, v60
	v_subrev_u32_e32 v60, 28, v62
	v_lshlrev_b64 v[60:61], v60, v[46:47]
	v_lshrrev_b32_e32 v53, 3, v41
	v_sub_u32_e32 v61, 29, v62
	v_and_b32_e32 v60, 7, v60
	v_cmp_gt_u32_e32 vcc, 8, v41
	v_cndmask_b32_e32 v41, v53, v61, vcc
	v_cndmask_b32_e32 v44, v44, v60, vcc
	v_lshlrev_b32_e32 v46, 24, v46
	v_lshlrev_b32_e32 v44, 20, v44
	v_and_b32_e32 v46, 0x80000000, v46
	v_lshl_add_u32 v41, v41, 23, v48
	v_or3_b32 v53, v46, v41, v44
.LBB663_523:                            ;   in Loop: Header=BB663_213 Depth=1
	s_or_b64 exec, exec, s[16:17]
.LBB663_524:                            ;   in Loop: Header=BB663_213 Depth=1
	s_or_b64 exec, exec, s[14:15]
.LBB663_525:                            ;   in Loop: Header=BB663_213 Depth=1
	s_or_b64 exec, exec, s[12:13]
	s_waitcnt vmcnt(2)
	v_cmp_ne_u16_sdwa s[14:15], v42, v47 src0_sel:BYTE_0 src1_sel:DWORD
	s_and_saveexec_b64 s[12:13], s[14:15]
	s_cbranch_execz .LBB663_531
; %bb.526:                              ;   in Loop: Header=BB663_213 Depth=1
	v_cmp_ne_u16_sdwa s[16:17], v42, s9 src0_sel:BYTE_0 src1_sel:DWORD
	v_bfrev_b32_e32 v52, 1
	s_and_saveexec_b64 s[14:15], s[16:17]
	s_cbranch_execz .LBB663_530
; %bb.527:                              ;   in Loop: Header=BB663_213 Depth=1
	v_and_b32_e32 v41, 0x7f, v42
	v_cmp_ne_u32_e32 vcc, s19, v41
	v_mov_b32_e32 v52, 0x7f800001
	s_and_saveexec_b64 s[16:17], vcc
	s_cbranch_execz .LBB663_529
; %bb.528:                              ;   in Loop: Header=BB663_213 Depth=1
	v_and_b32_e32 v44, 7, v42
	v_ffbh_u32_e32 v52, v44
	v_min_u32_e32 v52, 32, v52
	v_subrev_u32_e32 v60, 28, v52
	v_lshlrev_b64 v[60:61], v60, v[42:43]
	v_lshrrev_b32_e32 v46, 3, v41
	v_sub_u32_e32 v52, 29, v52
	v_and_b32_e32 v60, 7, v60
	v_cmp_gt_u32_e32 vcc, 8, v41
	v_cndmask_b32_e32 v41, v46, v52, vcc
	v_cndmask_b32_e32 v44, v44, v60, vcc
	v_lshlrev_b32_e32 v46, 24, v42
	v_lshlrev_b32_e32 v44, 20, v44
	v_and_b32_e32 v46, 0x80000000, v46
	v_lshl_add_u32 v41, v41, 23, v48
	v_or3_b32 v52, v46, v41, v44
.LBB663_529:                            ;   in Loop: Header=BB663_213 Depth=1
	s_or_b64 exec, exec, s[16:17]
.LBB663_530:                            ;   in Loop: Header=BB663_213 Depth=1
	s_or_b64 exec, exec, s[14:15]
.LBB663_531:                            ;   in Loop: Header=BB663_213 Depth=1
	s_or_b64 exec, exec, s[12:13]
	v_lshrrev_b16_e32 v44, 8, v42
	v_cmp_ne_u16_e32 vcc, 0, v44
	v_mov_b32_e32 v46, 0
	v_mov_b32_e32 v60, 0
	s_and_saveexec_b64 s[12:13], vcc
	s_cbranch_execz .LBB663_537
; %bb.532:                              ;   in Loop: Header=BB663_213 Depth=1
	v_cmp_ne_u16_e32 vcc, s9, v44
	v_bfrev_b32_e32 v60, 1
	s_and_saveexec_b64 s[14:15], vcc
	s_cbranch_execz .LBB663_536
; %bb.533:                              ;   in Loop: Header=BB663_213 Depth=1
	v_and_b32_e32 v41, 0x7f, v44
	v_cmp_ne_u32_e32 vcc, s19, v41
	v_mov_b32_e32 v60, 0x7f800001
	s_and_saveexec_b64 s[16:17], vcc
	s_cbranch_execz .LBB663_535
; %bb.534:                              ;   in Loop: Header=BB663_213 Depth=1
	v_and_b32_e32 v62, 7, v44
	v_ffbh_u32_e32 v60, v62
	v_min_u32_e32 v64, 32, v60
	v_subrev_u32_e32 v60, 28, v64
	v_lshlrev_b64 v[60:61], v60, v[44:45]
	v_lshrrev_b32_e32 v63, 3, v41
	v_sub_u32_e32 v44, 29, v64
	v_and_b32_e32 v60, 7, v60
	v_cmp_gt_u32_e32 vcc, 8, v41
	v_cndmask_b32_e32 v41, v63, v44, vcc
	v_cndmask_b32_e32 v44, v62, v60, vcc
	v_lshlrev_b32_e32 v60, 16, v42
	v_lshlrev_b32_e32 v44, 20, v44
	v_and_b32_e32 v60, 0x80000000, v60
	v_lshl_add_u32 v41, v41, 23, v48
	v_or3_b32 v60, v60, v41, v44
.LBB663_535:                            ;   in Loop: Header=BB663_213 Depth=1
	s_or_b64 exec, exec, s[16:17]
.LBB663_536:                            ;   in Loop: Header=BB663_213 Depth=1
	s_or_b64 exec, exec, s[14:15]
.LBB663_537:                            ;   in Loop: Header=BB663_213 Depth=1
	s_or_b64 exec, exec, s[12:13]
	v_lshrrev_b32_e32 v44, 16, v42
	v_cmp_ne_u16_sdwa s[14:15], v44, v47 src0_sel:BYTE_0 src1_sel:DWORD
	s_and_saveexec_b64 s[12:13], s[14:15]
	s_cbranch_execz .LBB663_543
; %bb.538:                              ;   in Loop: Header=BB663_213 Depth=1
	v_cmp_ne_u16_sdwa s[16:17], v44, s9 src0_sel:BYTE_0 src1_sel:DWORD
	v_bfrev_b32_e32 v46, 1
	s_and_saveexec_b64 s[14:15], s[16:17]
	s_cbranch_execz .LBB663_542
; %bb.539:                              ;   in Loop: Header=BB663_213 Depth=1
	v_bfe_u32 v41, v42, 16, 7
	v_cmp_ne_u32_e32 vcc, s19, v41
	v_mov_b32_e32 v46, 0x7f800001
	s_and_saveexec_b64 s[16:17], vcc
	s_cbranch_execz .LBB663_541
; %bb.540:                              ;   in Loop: Header=BB663_213 Depth=1
	v_and_b32_e32 v46, 7, v44
	v_ffbh_u32_e32 v62, v46
	v_min_u32_e32 v64, 32, v62
	v_subrev_u32_e32 v62, 28, v64
	v_lshlrev_b64 v[62:63], v62, v[44:45]
	v_lshrrev_b32_e32 v61, 3, v41
	v_sub_u32_e32 v63, 29, v64
	v_and_b32_e32 v62, 7, v62
	v_cmp_gt_u32_e32 vcc, 8, v41
	v_cndmask_b32_e32 v41, v61, v63, vcc
	v_cndmask_b32_e32 v46, v46, v62, vcc
	v_lshlrev_b32_e32 v44, 24, v44
	v_lshlrev_b32_e32 v46, 20, v46
	v_and_b32_e32 v44, 0x80000000, v44
	v_lshl_add_u32 v41, v41, 23, v48
	v_or3_b32 v46, v44, v41, v46
.LBB663_541:                            ;   in Loop: Header=BB663_213 Depth=1
	s_or_b64 exec, exec, s[16:17]
.LBB663_542:                            ;   in Loop: Header=BB663_213 Depth=1
	s_or_b64 exec, exec, s[14:15]
.LBB663_543:                            ;   in Loop: Header=BB663_213 Depth=1
	s_or_b64 exec, exec, s[12:13]
	v_cmp_lt_u32_e32 vcc, s20, v42
	v_mov_b32_e32 v41, 0
	v_mov_b32_e32 v61, 0
	s_and_saveexec_b64 s[12:13], vcc
	s_cbranch_execz .LBB663_549
; %bb.544:                              ;   in Loop: Header=BB663_213 Depth=1
	v_lshrrev_b32_e32 v44, 24, v42
	v_cmp_ne_u32_e32 vcc, s9, v44
	v_bfrev_b32_e32 v61, 1
	s_and_saveexec_b64 s[14:15], vcc
	s_cbranch_execz .LBB663_548
; %bb.545:                              ;   in Loop: Header=BB663_213 Depth=1
	v_bfe_u32 v42, v42, 24, 7
	v_cmp_ne_u32_e32 vcc, s19, v42
	v_mov_b32_e32 v61, 0x7f800001
	s_and_saveexec_b64 s[16:17], vcc
	s_cbranch_execz .LBB663_547
; %bb.546:                              ;   in Loop: Header=BB663_213 Depth=1
	v_and_b32_e32 v61, 7, v44
	v_ffbh_u32_e32 v62, v61
	v_min_u32_e32 v65, 32, v62
	v_subrev_u32_e32 v62, 28, v65
	v_lshlrev_b64 v[62:63], v62, v[44:45]
	v_lshrrev_b32_e32 v64, 3, v42
	v_sub_u32_e32 v63, 29, v65
	v_and_b32_e32 v62, 7, v62
	v_cmp_gt_u32_e32 vcc, 8, v42
	v_cndmask_b32_e32 v42, v64, v63, vcc
	v_cndmask_b32_e32 v61, v61, v62, vcc
	v_lshlrev_b32_e32 v44, 24, v44
	v_lshlrev_b32_e32 v61, 20, v61
	v_and_b32_e32 v44, 0x80000000, v44
	v_lshl_add_u32 v42, v42, 23, v48
	v_or3_b32 v61, v44, v42, v61
.LBB663_547:                            ;   in Loop: Header=BB663_213 Depth=1
	s_or_b64 exec, exec, s[16:17]
.LBB663_548:                            ;   in Loop: Header=BB663_213 Depth=1
	s_or_b64 exec, exec, s[14:15]
.LBB663_549:                            ;   in Loop: Header=BB663_213 Depth=1
	s_or_b64 exec, exec, s[12:13]
	v_cvt_pkrtz_f16_f32 v62, v49, v51
	v_cvt_pkrtz_f16_f32 v63, v50, v53
	;; [unrolled: 1-line block ×4, first 2 shown]
	s_waitcnt vmcnt(1)
	v_cmp_ne_u16_sdwa s[14:15], v40, v47 src0_sel:BYTE_0 src1_sel:DWORD
	v_mfma_f32_16x16x16f16 v[34:37], v[62:63], v[26:27], v[34:37]
	v_mfma_f32_16x16x16f16 v[34:37], v[50:51], v[28:29], v[34:37]
	s_and_saveexec_b64 s[12:13], s[14:15]
	s_cbranch_execz .LBB663_555
; %bb.550:                              ;   in Loop: Header=BB663_213 Depth=1
	v_cmp_ne_u16_sdwa s[16:17], v40, s9 src0_sel:BYTE_0 src1_sel:DWORD
	v_bfrev_b32_e32 v41, 1
	s_and_saveexec_b64 s[14:15], s[16:17]
	s_cbranch_execz .LBB663_554
; %bb.551:                              ;   in Loop: Header=BB663_213 Depth=1
	v_and_b32_e32 v42, 0x7f, v40
	v_cmp_ne_u32_e32 vcc, s19, v42
	v_mov_b32_e32 v41, 0x7f800001
	s_and_saveexec_b64 s[16:17], vcc
	s_cbranch_execz .LBB663_553
; %bb.552:                              ;   in Loop: Header=BB663_213 Depth=1
	v_and_b32_e32 v41, 7, v40
	v_ffbh_u32_e32 v46, v41
	v_min_u32_e32 v46, 32, v46
	v_subrev_u32_e32 v49, 28, v46
	v_lshlrev_b64 v[50:51], v49, v[40:41]
	v_lshrrev_b32_e32 v44, 3, v42
	v_sub_u32_e32 v46, 29, v46
	v_and_b32_e32 v49, 7, v50
	v_cmp_gt_u32_e32 vcc, 8, v42
	v_cndmask_b32_e32 v42, v44, v46, vcc
	v_cndmask_b32_e32 v41, v41, v49, vcc
	v_lshlrev_b32_e32 v44, 24, v40
	v_lshlrev_b32_e32 v41, 20, v41
	v_and_b32_e32 v44, 0x80000000, v44
	v_lshl_add_u32 v42, v42, 23, v48
	v_or3_b32 v41, v44, v42, v41
.LBB663_553:                            ;   in Loop: Header=BB663_213 Depth=1
	s_or_b64 exec, exec, s[16:17]
.LBB663_554:                            ;   in Loop: Header=BB663_213 Depth=1
	s_or_b64 exec, exec, s[14:15]
.LBB663_555:                            ;   in Loop: Header=BB663_213 Depth=1
	s_or_b64 exec, exec, s[12:13]
	v_lshrrev_b16_e32 v42, 8, v40
	v_cmp_ne_u16_e32 vcc, 0, v42
	v_mov_b32_e32 v44, 0
	v_mov_b32_e32 v46, 0
	s_and_saveexec_b64 s[12:13], vcc
	s_cbranch_execz .LBB663_561
; %bb.556:                              ;   in Loop: Header=BB663_213 Depth=1
	v_cmp_ne_u16_e32 vcc, s9, v42
	v_bfrev_b32_e32 v46, 1
	s_and_saveexec_b64 s[14:15], vcc
	s_cbranch_execz .LBB663_560
; %bb.557:                              ;   in Loop: Header=BB663_213 Depth=1
	v_and_b32_e32 v49, 0x7f, v42
	v_cmp_ne_u32_e32 vcc, s19, v49
	v_mov_b32_e32 v46, 0x7f800001
	s_and_saveexec_b64 s[16:17], vcc
	s_cbranch_execz .LBB663_559
; %bb.558:                              ;   in Loop: Header=BB663_213 Depth=1
	v_and_b32_e32 v46, 7, v42
	v_ffbh_u32_e32 v50, v46
	v_min_u32_e32 v53, 32, v50
	v_subrev_u32_e32 v50, 28, v53
	v_lshlrev_b64 v[50:51], v50, v[42:43]
	v_lshrrev_b32_e32 v52, 3, v49
	v_sub_u32_e32 v42, 29, v53
	v_and_b32_e32 v50, 7, v50
	v_cmp_gt_u32_e32 vcc, 8, v49
	v_cndmask_b32_e32 v42, v52, v42, vcc
	v_cndmask_b32_e32 v46, v46, v50, vcc
	v_lshlrev_b32_e32 v49, 16, v40
	v_lshlrev_b32_e32 v46, 20, v46
	v_and_b32_e32 v49, 0x80000000, v49
	v_lshl_add_u32 v42, v42, 23, v48
	v_or3_b32 v46, v49, v42, v46
.LBB663_559:                            ;   in Loop: Header=BB663_213 Depth=1
	s_or_b64 exec, exec, s[16:17]
.LBB663_560:                            ;   in Loop: Header=BB663_213 Depth=1
	s_or_b64 exec, exec, s[14:15]
.LBB663_561:                            ;   in Loop: Header=BB663_213 Depth=1
	s_or_b64 exec, exec, s[12:13]
	v_lshrrev_b32_e32 v42, 16, v40
	v_cmp_ne_u16_sdwa s[14:15], v42, v47 src0_sel:BYTE_0 src1_sel:DWORD
	s_and_saveexec_b64 s[12:13], s[14:15]
	s_cbranch_execz .LBB663_567
; %bb.562:                              ;   in Loop: Header=BB663_213 Depth=1
	v_cmp_ne_u16_sdwa s[16:17], v42, s9 src0_sel:BYTE_0 src1_sel:DWORD
	v_bfrev_b32_e32 v44, 1
	s_and_saveexec_b64 s[14:15], s[16:17]
	s_cbranch_execz .LBB663_566
; %bb.563:                              ;   in Loop: Header=BB663_213 Depth=1
	v_bfe_u32 v49, v40, 16, 7
	v_cmp_ne_u32_e32 vcc, s19, v49
	v_mov_b32_e32 v44, 0x7f800001
	s_and_saveexec_b64 s[16:17], vcc
	s_cbranch_execz .LBB663_565
; %bb.564:                              ;   in Loop: Header=BB663_213 Depth=1
	v_and_b32_e32 v44, 7, v42
	v_ffbh_u32_e32 v50, v44
	v_min_u32_e32 v53, 32, v50
	v_subrev_u32_e32 v50, 28, v53
	v_lshlrev_b64 v[50:51], v50, v[42:43]
	v_lshrrev_b32_e32 v52, 3, v49
	v_sub_u32_e32 v51, 29, v53
	v_and_b32_e32 v50, 7, v50
	v_cmp_gt_u32_e32 vcc, 8, v49
	v_cndmask_b32_e32 v49, v52, v51, vcc
	v_cndmask_b32_e32 v44, v44, v50, vcc
	v_lshlrev_b32_e32 v42, 24, v42
	v_lshlrev_b32_e32 v44, 20, v44
	v_and_b32_e32 v42, 0x80000000, v42
	v_lshl_add_u32 v49, v49, 23, v48
	v_or3_b32 v44, v42, v49, v44
.LBB663_565:                            ;   in Loop: Header=BB663_213 Depth=1
	s_or_b64 exec, exec, s[16:17]
.LBB663_566:                            ;   in Loop: Header=BB663_213 Depth=1
	s_or_b64 exec, exec, s[14:15]
.LBB663_567:                            ;   in Loop: Header=BB663_213 Depth=1
	s_or_b64 exec, exec, s[12:13]
	v_cmp_lt_u32_e32 vcc, s20, v40
	v_mov_b32_e32 v49, 0
	v_mov_b32_e32 v50, 0
	s_and_saveexec_b64 s[12:13], vcc
	s_cbranch_execz .LBB663_573
; %bb.568:                              ;   in Loop: Header=BB663_213 Depth=1
	v_lshrrev_b32_e32 v42, 24, v40
	v_cmp_ne_u32_e32 vcc, s9, v42
	v_bfrev_b32_e32 v50, 1
	s_and_saveexec_b64 s[14:15], vcc
	s_cbranch_execz .LBB663_572
; %bb.569:                              ;   in Loop: Header=BB663_213 Depth=1
	v_bfe_u32 v40, v40, 24, 7
	v_cmp_ne_u32_e32 vcc, s19, v40
	v_mov_b32_e32 v50, 0x7f800001
	s_and_saveexec_b64 s[16:17], vcc
	s_cbranch_execz .LBB663_571
; %bb.570:                              ;   in Loop: Header=BB663_213 Depth=1
	v_and_b32_e32 v52, 7, v42
	v_ffbh_u32_e32 v50, v52
	v_min_u32_e32 v60, 32, v50
	v_subrev_u32_e32 v50, 28, v60
	v_lshlrev_b64 v[50:51], v50, v[42:43]
	v_lshrrev_b32_e32 v53, 3, v40
	v_sub_u32_e32 v51, 29, v60
	v_and_b32_e32 v50, 7, v50
	v_cmp_gt_u32_e32 vcc, 8, v40
	v_cndmask_b32_e32 v40, v53, v51, vcc
	v_cndmask_b32_e32 v50, v52, v50, vcc
	v_lshlrev_b32_e32 v42, 24, v42
	v_lshlrev_b32_e32 v50, 20, v50
	v_and_b32_e32 v42, 0x80000000, v42
	v_lshl_add_u32 v40, v40, 23, v48
	v_or3_b32 v50, v42, v40, v50
.LBB663_571:                            ;   in Loop: Header=BB663_213 Depth=1
	s_or_b64 exec, exec, s[16:17]
.LBB663_572:                            ;   in Loop: Header=BB663_213 Depth=1
	s_or_b64 exec, exec, s[14:15]
.LBB663_573:                            ;   in Loop: Header=BB663_213 Depth=1
	s_or_b64 exec, exec, s[12:13]
	s_waitcnt vmcnt(0)
	v_cmp_ne_u16_sdwa s[14:15], v38, v47 src0_sel:BYTE_0 src1_sel:DWORD
	s_and_saveexec_b64 s[12:13], s[14:15]
	s_cbranch_execz .LBB663_579
; %bb.574:                              ;   in Loop: Header=BB663_213 Depth=1
	v_cmp_ne_u16_sdwa s[16:17], v38, s9 src0_sel:BYTE_0 src1_sel:DWORD
	v_bfrev_b32_e32 v49, 1
	s_and_saveexec_b64 s[14:15], s[16:17]
	s_cbranch_execz .LBB663_578
; %bb.575:                              ;   in Loop: Header=BB663_213 Depth=1
	v_and_b32_e32 v40, 0x7f, v38
	v_cmp_ne_u32_e32 vcc, s19, v40
	v_mov_b32_e32 v49, 0x7f800001
	s_and_saveexec_b64 s[16:17], vcc
	s_cbranch_execz .LBB663_577
; %bb.576:                              ;   in Loop: Header=BB663_213 Depth=1
	v_and_b32_e32 v42, 7, v38
	v_ffbh_u32_e32 v51, v42
	v_min_u32_e32 v51, 32, v51
	v_subrev_u32_e32 v52, 28, v51
	v_lshlrev_b64 v[52:53], v52, v[38:39]
	v_lshrrev_b32_e32 v49, 3, v40
	v_sub_u32_e32 v51, 29, v51
	v_and_b32_e32 v52, 7, v52
	v_cmp_gt_u32_e32 vcc, 8, v40
	v_cndmask_b32_e32 v40, v49, v51, vcc
	v_cndmask_b32_e32 v42, v42, v52, vcc
	v_lshlrev_b32_e32 v49, 24, v38
	v_lshlrev_b32_e32 v42, 20, v42
	v_and_b32_e32 v49, 0x80000000, v49
	v_lshl_add_u32 v40, v40, 23, v48
	v_or3_b32 v49, v49, v40, v42
.LBB663_577:                            ;   in Loop: Header=BB663_213 Depth=1
	s_or_b64 exec, exec, s[16:17]
.LBB663_578:                            ;   in Loop: Header=BB663_213 Depth=1
	s_or_b64 exec, exec, s[14:15]
.LBB663_579:                            ;   in Loop: Header=BB663_213 Depth=1
	s_or_b64 exec, exec, s[12:13]
	v_lshrrev_b16_e32 v40, 8, v38
	v_cmp_ne_u16_e32 vcc, 0, v40
	v_mov_b32_e32 v42, 0
	v_mov_b32_e32 v51, 0
	s_and_saveexec_b64 s[12:13], vcc
	s_cbranch_execz .LBB663_585
; %bb.580:                              ;   in Loop: Header=BB663_213 Depth=1
	v_cmp_ne_u16_e32 vcc, s9, v40
	v_bfrev_b32_e32 v51, 1
	s_and_saveexec_b64 s[14:15], vcc
	s_cbranch_execz .LBB663_584
; %bb.581:                              ;   in Loop: Header=BB663_213 Depth=1
	v_and_b32_e32 v52, 0x7f, v40
	v_cmp_ne_u32_e32 vcc, s19, v52
	v_mov_b32_e32 v51, 0x7f800001
	s_and_saveexec_b64 s[16:17], vcc
	s_cbranch_execz .LBB663_583
; %bb.582:                              ;   in Loop: Header=BB663_213 Depth=1
	v_and_b32_e32 v51, 7, v40
	v_ffbh_u32_e32 v60, v51
	v_min_u32_e32 v62, 32, v60
	v_subrev_u32_e32 v60, 28, v62
	v_lshlrev_b64 v[60:61], v60, v[40:41]
	v_lshrrev_b32_e32 v53, 3, v52
	v_sub_u32_e32 v40, 29, v62
	v_and_b32_e32 v60, 7, v60
	v_cmp_gt_u32_e32 vcc, 8, v52
	v_cndmask_b32_e32 v40, v53, v40, vcc
	v_cndmask_b32_e32 v51, v51, v60, vcc
	v_lshlrev_b32_e32 v52, 16, v38
	v_lshlrev_b32_e32 v51, 20, v51
	v_and_b32_e32 v52, 0x80000000, v52
	v_lshl_add_u32 v40, v40, 23, v48
	v_or3_b32 v51, v52, v40, v51
.LBB663_583:                            ;   in Loop: Header=BB663_213 Depth=1
	s_or_b64 exec, exec, s[16:17]
.LBB663_584:                            ;   in Loop: Header=BB663_213 Depth=1
	s_or_b64 exec, exec, s[14:15]
.LBB663_585:                            ;   in Loop: Header=BB663_213 Depth=1
	s_or_b64 exec, exec, s[12:13]
	v_lshrrev_b32_e32 v40, 16, v38
	v_cmp_ne_u16_sdwa s[14:15], v40, v47 src0_sel:BYTE_0 src1_sel:DWORD
	s_and_saveexec_b64 s[12:13], s[14:15]
	s_cbranch_execz .LBB663_591
; %bb.586:                              ;   in Loop: Header=BB663_213 Depth=1
	v_cmp_ne_u16_sdwa s[16:17], v40, s9 src0_sel:BYTE_0 src1_sel:DWORD
	v_bfrev_b32_e32 v42, 1
	s_and_saveexec_b64 s[14:15], s[16:17]
	s_cbranch_execz .LBB663_590
; %bb.587:                              ;   in Loop: Header=BB663_213 Depth=1
	v_bfe_u32 v52, v38, 16, 7
	v_cmp_ne_u32_e32 vcc, s19, v52
	v_mov_b32_e32 v42, 0x7f800001
	s_and_saveexec_b64 s[16:17], vcc
	s_cbranch_execz .LBB663_589
; %bb.588:                              ;   in Loop: Header=BB663_213 Depth=1
	v_and_b32_e32 v42, 7, v40
	v_ffbh_u32_e32 v60, v42
	v_min_u32_e32 v62, 32, v60
	v_subrev_u32_e32 v60, 28, v62
	v_lshlrev_b64 v[60:61], v60, v[40:41]
	v_lshrrev_b32_e32 v53, 3, v52
	v_sub_u32_e32 v61, 29, v62
	v_and_b32_e32 v60, 7, v60
	v_cmp_gt_u32_e32 vcc, 8, v52
	v_cndmask_b32_e32 v52, v53, v61, vcc
	v_cndmask_b32_e32 v42, v42, v60, vcc
	v_lshlrev_b32_e32 v40, 24, v40
	v_lshlrev_b32_e32 v42, 20, v42
	v_and_b32_e32 v40, 0x80000000, v40
	v_lshl_add_u32 v52, v52, 23, v48
	v_or3_b32 v42, v40, v52, v42
.LBB663_589:                            ;   in Loop: Header=BB663_213 Depth=1
	s_or_b64 exec, exec, s[16:17]
.LBB663_590:                            ;   in Loop: Header=BB663_213 Depth=1
	s_or_b64 exec, exec, s[14:15]
.LBB663_591:                            ;   in Loop: Header=BB663_213 Depth=1
	s_or_b64 exec, exec, s[12:13]
	v_cmp_lt_u32_e32 vcc, s20, v38
	v_mov_b32_e32 v52, 0
	s_and_saveexec_b64 s[12:13], vcc
	s_cbranch_execz .LBB663_212
; %bb.592:                              ;   in Loop: Header=BB663_213 Depth=1
	v_lshrrev_b32_e32 v40, 24, v38
	v_cmp_ne_u32_e32 vcc, s9, v40
	v_bfrev_b32_e32 v52, 1
	s_and_saveexec_b64 s[14:15], vcc
	s_cbranch_execz .LBB663_211
; %bb.593:                              ;   in Loop: Header=BB663_213 Depth=1
	v_bfe_u32 v38, v38, 24, 7
	v_cmp_ne_u32_e32 vcc, s19, v38
	v_mov_b32_e32 v52, 0x7f800001
	s_and_saveexec_b64 s[16:17], vcc
	s_cbranch_execz .LBB663_210
; %bb.594:                              ;   in Loop: Header=BB663_213 Depth=1
	v_and_b32_e32 v60, 7, v40
	v_ffbh_u32_e32 v52, v60
	v_min_u32_e32 v62, 32, v52
	v_subrev_u32_e32 v52, 28, v62
	v_lshlrev_b64 v[52:53], v52, v[40:41]
	v_lshrrev_b32_e32 v61, 3, v38
	v_sub_u32_e32 v53, 29, v62
	v_and_b32_e32 v52, 7, v52
	v_cmp_gt_u32_e32 vcc, 8, v38
	v_cndmask_b32_e32 v38, v61, v53, vcc
	v_cndmask_b32_e32 v52, v60, v52, vcc
	v_lshlrev_b32_e32 v40, 24, v40
	v_lshlrev_b32_e32 v52, 20, v52
	v_and_b32_e32 v40, 0x80000000, v40
	v_lshl_add_u32 v38, v38, 23, v48
	v_or3_b32 v52, v40, v38, v52
	s_branch .LBB663_210
.LBB663_595:
	s_barrier
	buffer_load_dword v2, off, s[0:3], 0 offset:320
	buffer_load_dword v5, off, s[0:3], 0 offset:332
	;; [unrolled: 1-line block ×4, first 2 shown]
	v_cmp_gt_u32_e32 vcc, 64, v0
	s_waitcnt vmcnt(0)
	ds_write2st64_b64 v43, v[2:3], v[4:5] offset1:1
	s_waitcnt lgkmcnt(0)
	s_barrier
	s_and_saveexec_b64 s[4:5], vcc
	s_cbranch_execz .LBB663_598
; %bb.596:
	s_lshl_b32 s4, s50, 7
	s_mul_i32 s5, s18, s8
	s_mul_hi_u32 s9, s5, s4
	s_mul_i32 s8, s5, s4
	s_lshl_b64 s[8:9], s[8:9], 1
	v_lshlrev_b32_e32 v4, 6, v55
	s_add_u32 s5, s48, s8
	v_lshl_or_b32 v0, v0, 10, v4
	s_mov_b32 s7, 0
	s_addc_u32 s8, s49, s9
	s_lshl_b32 s6, s24, 7
	v_lshlrev_b32_e32 v2, 5, v1
	v_and_b32_e32 v3, 16, v56
	v_and_b32_e32 v0, 0x1a00, v0
	s_lshl_b64 s[6:7], s[6:7], 1
	v_or3_b32 v0, v0, v2, v3
	s_add_u32 s5, s5, s6
	v_or_b32_e32 v2, 8, v1
	s_addc_u32 s6, s8, s7
	ds_read_b128 v[6:9], v0 offset:128
	ds_read_b128 v[10:13], v0
	v_add_u32_e32 v1, s25, v1
	v_mov_b32_e32 v4, s6
	v_add_co_u32_e32 v3, vcc, s5, v54
	v_mad_u64_u32 v[14:15], s[6:7], v1, s4, 0
	v_addc_co_u32_e32 v4, vcc, 0, v4, vcc
	v_lshlrev_b64 v[14:15], 1, v[14:15]
	v_add_co_u32_e32 v14, vcc, v3, v14
	v_addc_co_u32_e32 v15, vcc, v4, v15, vcc
	v_add_u32_e32 v1, 4, v1
	s_waitcnt lgkmcnt(0)
	global_store_dwordx4 v[14:15], v[10:13], off
	s_nop 0
	v_mad_u64_u32 v[10:11], s[6:7], v1, s4, 0
	v_lshlrev_b64 v[10:11], 1, v[10:11]
	v_add_co_u32_e32 v10, vcc, v3, v10
	v_addc_co_u32_e32 v11, vcc, v4, v11, vcc
	v_cmp_gt_u32_e32 vcc, 10, v2
	global_store_dwordx4 v[10:11], v[6:9], off
	s_and_b64 exec, exec, vcc
	s_cbranch_execz .LBB663_598
; %bb.597:
	ds_read_b128 v[6:9], v0 offset:256
	v_add_u32_e32 v0, s25, v2
	v_mad_u64_u32 v[0:1], s[4:5], v0, s4, 0
	v_lshlrev_b64 v[0:1], 1, v[0:1]
	v_add_co_u32_e32 v0, vcc, v3, v0
	v_addc_co_u32_e32 v1, vcc, v4, v1, vcc
	s_waitcnt lgkmcnt(0)
	global_store_dwordx4 v[0:1], v[6:9], off
.LBB663_598:
	s_endpgm
	.section	.rodata,"a",@progbits
	.p2align	6, 0x0
	.amdhsa_kernel _Z39paged_attention_ll4mi_QKV_mfma16_kernelIDF16_hLN4vllm18Fp8KVCacheDataTypeE1EDF16_Li32ELi128ELi256ELb0ELi10EL8MFMAType0EEvPKT_PKT0_S8_ifPKiSA_SA_iPKfiiiPfSD_PS3_PT2_iSC_SC_
		.amdhsa_group_segment_fixed_size 8192
		.amdhsa_private_segment_fixed_size 352
		.amdhsa_kernarg_size 400
		.amdhsa_user_sgpr_count 8
		.amdhsa_user_sgpr_private_segment_buffer 1
		.amdhsa_user_sgpr_dispatch_ptr 0
		.amdhsa_user_sgpr_queue_ptr 0
		.amdhsa_user_sgpr_kernarg_segment_ptr 1
		.amdhsa_user_sgpr_dispatch_id 0
		.amdhsa_user_sgpr_flat_scratch_init 1
		.amdhsa_user_sgpr_kernarg_preload_length 0
		.amdhsa_user_sgpr_kernarg_preload_offset 0
		.amdhsa_user_sgpr_private_segment_size 0
		.amdhsa_uses_dynamic_stack 0
		.amdhsa_system_sgpr_private_segment_wavefront_offset 1
		.amdhsa_system_sgpr_workgroup_id_x 1
		.amdhsa_system_sgpr_workgroup_id_y 1
		.amdhsa_system_sgpr_workgroup_id_z 1
		.amdhsa_system_sgpr_workgroup_info 0
		.amdhsa_system_vgpr_workitem_id 0
		.amdhsa_next_free_vgpr 78
		.amdhsa_next_free_sgpr 53
		.amdhsa_accum_offset 80
		.amdhsa_reserve_vcc 1
		.amdhsa_reserve_flat_scratch 0
		.amdhsa_float_round_mode_32 0
		.amdhsa_float_round_mode_16_64 0
		.amdhsa_float_denorm_mode_32 3
		.amdhsa_float_denorm_mode_16_64 3
		.amdhsa_dx10_clamp 1
		.amdhsa_ieee_mode 1
		.amdhsa_fp16_overflow 0
		.amdhsa_tg_split 0
		.amdhsa_exception_fp_ieee_invalid_op 0
		.amdhsa_exception_fp_denorm_src 0
		.amdhsa_exception_fp_ieee_div_zero 0
		.amdhsa_exception_fp_ieee_overflow 0
		.amdhsa_exception_fp_ieee_underflow 0
		.amdhsa_exception_fp_ieee_inexact 0
		.amdhsa_exception_int_div_zero 0
	.end_amdhsa_kernel
	.section	.text._Z39paged_attention_ll4mi_QKV_mfma16_kernelIDF16_hLN4vllm18Fp8KVCacheDataTypeE1EDF16_Li32ELi128ELi256ELb0ELi10EL8MFMAType0EEvPKT_PKT0_S8_ifPKiSA_SA_iPKfiiiPfSD_PS3_PT2_iSC_SC_,"axG",@progbits,_Z39paged_attention_ll4mi_QKV_mfma16_kernelIDF16_hLN4vllm18Fp8KVCacheDataTypeE1EDF16_Li32ELi128ELi256ELb0ELi10EL8MFMAType0EEvPKT_PKT0_S8_ifPKiSA_SA_iPKfiiiPfSD_PS3_PT2_iSC_SC_,comdat
.Lfunc_end663:
	.size	_Z39paged_attention_ll4mi_QKV_mfma16_kernelIDF16_hLN4vllm18Fp8KVCacheDataTypeE1EDF16_Li32ELi128ELi256ELb0ELi10EL8MFMAType0EEvPKT_PKT0_S8_ifPKiSA_SA_iPKfiiiPfSD_PS3_PT2_iSC_SC_, .Lfunc_end663-_Z39paged_attention_ll4mi_QKV_mfma16_kernelIDF16_hLN4vllm18Fp8KVCacheDataTypeE1EDF16_Li32ELi128ELi256ELb0ELi10EL8MFMAType0EEvPKT_PKT0_S8_ifPKiSA_SA_iPKfiiiPfSD_PS3_PT2_iSC_SC_
                                        ; -- End function
	.section	.AMDGPU.csdata,"",@progbits
; Kernel info:
; codeLenInByte = 21260
; NumSgprs: 57
; NumVgprs: 78
; NumAgprs: 0
; TotalNumVgprs: 78
; ScratchSize: 352
; MemoryBound: 0
; FloatMode: 240
; IeeeMode: 1
; LDSByteSize: 8192 bytes/workgroup (compile time only)
; SGPRBlocks: 7
; VGPRBlocks: 9
; NumSGPRsForWavesPerEU: 57
; NumVGPRsForWavesPerEU: 78
; AccumOffset: 80
; Occupancy: 6
; WaveLimiterHint : 1
; COMPUTE_PGM_RSRC2:SCRATCH_EN: 1
; COMPUTE_PGM_RSRC2:USER_SGPR: 8
; COMPUTE_PGM_RSRC2:TRAP_HANDLER: 0
; COMPUTE_PGM_RSRC2:TGID_X_EN: 1
; COMPUTE_PGM_RSRC2:TGID_Y_EN: 1
; COMPUTE_PGM_RSRC2:TGID_Z_EN: 1
; COMPUTE_PGM_RSRC2:TIDIG_COMP_CNT: 0
; COMPUTE_PGM_RSRC3_GFX90A:ACCUM_OFFSET: 19
; COMPUTE_PGM_RSRC3_GFX90A:TG_SPLIT: 0
	.section	.text._Z39paged_attention_ll4mi_QKV_mfma16_kernelIDF16_hLN4vllm18Fp8KVCacheDataTypeE1EDF16_Li32ELi128ELi256ELb0ELi11EL8MFMAType0EEvPKT_PKT0_S8_ifPKiSA_SA_iPKfiiiPfSD_PS3_PT2_iSC_SC_,"axG",@progbits,_Z39paged_attention_ll4mi_QKV_mfma16_kernelIDF16_hLN4vllm18Fp8KVCacheDataTypeE1EDF16_Li32ELi128ELi256ELb0ELi11EL8MFMAType0EEvPKT_PKT0_S8_ifPKiSA_SA_iPKfiiiPfSD_PS3_PT2_iSC_SC_,comdat
	.protected	_Z39paged_attention_ll4mi_QKV_mfma16_kernelIDF16_hLN4vllm18Fp8KVCacheDataTypeE1EDF16_Li32ELi128ELi256ELb0ELi11EL8MFMAType0EEvPKT_PKT0_S8_ifPKiSA_SA_iPKfiiiPfSD_PS3_PT2_iSC_SC_ ; -- Begin function _Z39paged_attention_ll4mi_QKV_mfma16_kernelIDF16_hLN4vllm18Fp8KVCacheDataTypeE1EDF16_Li32ELi128ELi256ELb0ELi11EL8MFMAType0EEvPKT_PKT0_S8_ifPKiSA_SA_iPKfiiiPfSD_PS3_PT2_iSC_SC_
	.globl	_Z39paged_attention_ll4mi_QKV_mfma16_kernelIDF16_hLN4vllm18Fp8KVCacheDataTypeE1EDF16_Li32ELi128ELi256ELb0ELi11EL8MFMAType0EEvPKT_PKT0_S8_ifPKiSA_SA_iPKfiiiPfSD_PS3_PT2_iSC_SC_
	.p2align	8
	.type	_Z39paged_attention_ll4mi_QKV_mfma16_kernelIDF16_hLN4vllm18Fp8KVCacheDataTypeE1EDF16_Li32ELi128ELi256ELb0ELi11EL8MFMAType0EEvPKT_PKT0_S8_ifPKiSA_SA_iPKfiiiPfSD_PS3_PT2_iSC_SC_,@function
_Z39paged_attention_ll4mi_QKV_mfma16_kernelIDF16_hLN4vllm18Fp8KVCacheDataTypeE1EDF16_Li32ELi128ELi256ELb0ELi11EL8MFMAType0EEvPKT_PKT0_S8_ifPKiSA_SA_iPKfiiiPfSD_PS3_PT2_iSC_SC_: ; @_Z39paged_attention_ll4mi_QKV_mfma16_kernelIDF16_hLN4vllm18Fp8KVCacheDataTypeE1EDF16_Li32ELi128ELi256ELb0ELi11EL8MFMAType0EEvPKT_PKT0_S8_ifPKiSA_SA_iPKfiiiPfSD_PS3_PT2_iSC_SC_
; %bb.0:
	s_load_dwordx2 s[6:7], s[4:5], 0x30
	s_add_u32 s0, s0, s11
	s_addc_u32 s1, s1, 0
	s_mov_b32 s24, s9
	s_mov_b64 s[12:13], 0
	s_waitcnt lgkmcnt(0)
	s_cmp_lg_u64 s[6:7], 0
	s_cselect_b64 s[16:17], -1, 0
	s_and_b64 vcc, exec, s[16:17]
	s_cbranch_vccz .LBB664_7
; %bb.1:
	s_add_i32 s14, s8, 1
	s_mov_b32 s15, 0
	s_lshl_b64 s[18:19], s[14:15], 2
	s_add_u32 s18, s6, s18
	s_mov_b32 s9, s15
	s_addc_u32 s19, s7, s19
	s_lshl_b64 s[14:15], s[8:9], 2
	s_add_u32 s14, s6, s14
	s_addc_u32 s15, s7, s15
	s_load_dword s11, s[18:19], 0x0
	s_load_dword s20, s[14:15], 0x0
	s_waitcnt lgkmcnt(0)
	s_sub_i32 s11, s11, s20
	s_cmp_eq_u32 s11, 1
	s_cselect_b64 s[14:15], -1, 0
	s_andn2_b64 vcc, exec, s[12:13]
	s_cbranch_vccnz .LBB664_3
.LBB664_2:
	s_mov_b32 s9, 0
	s_mov_b64 s[14:15], -1
.LBB664_3:
	s_andn2_b64 vcc, exec, s[14:15]
	s_cbranch_vccnz .LBB664_598
; %bb.4:
	s_load_dwordx2 s[12:13], s[4:5], 0x28
	s_lshl_b64 s[18:19], s[8:9], 2
	s_waitcnt lgkmcnt(0)
	s_add_u32 s12, s12, s18
	s_addc_u32 s13, s13, s19
	s_load_dword s33, s[12:13], 0x0
	s_lshl_b32 s20, s24, 8
	s_waitcnt lgkmcnt(0)
	s_cmp_ge_i32 s20, s33
	s_cbranch_scc1 .LBB664_598
; %bb.5:
	s_add_i32 s14, s33, 31
	s_load_dwordx2 s[12:13], s[4:5], 0x20
	s_load_dword s11, s[4:5], 0x38
	s_ashr_i32 s15, s14, 31
	v_and_b32_e32 v1, 0xcf, v0
	s_lshr_b32 s15, s15, 27
	v_add_u32_e32 v1, s20, v1
	s_add_i32 s14, s14, s15
	v_ashrrev_i32_e32 v2, 31, v1
	s_ashr_i32 s22, s14, 5
	v_lshrrev_b32_e32 v10, 27, v2
	s_add_i32 s22, s22, -1
	v_add_u32_e32 v2, v1, v10
	s_waitcnt lgkmcnt(0)
	s_mul_i32 s14, s8, s11
	s_mov_b32 s15, 0
	v_ashrrev_i32_e32 v2, 5, v2
	v_mov_b32_e32 v11, s22
	v_cmp_gt_i32_e32 vcc, s33, v1
	s_lshl_b64 s[14:15], s[14:15], 2
	v_cndmask_b32_e32 v2, v11, v2, vcc
	s_add_u32 s11, s12, s14
	v_ashrrev_i32_e32 v3, 31, v2
	s_addc_u32 s21, s13, s15
	v_lshlrev_b64 v[2:3], 2, v[2:3]
	v_mov_b32_e32 v5, s21
	v_add_co_u32_e32 v4, vcc, s11, v2
	v_or_b32_e32 v2, 16, v1
	v_addc_co_u32_e32 v5, vcc, v5, v3, vcc
	v_add_u32_e32 v3, v2, v10
	v_ashrrev_i32_e32 v3, 5, v3
	v_cmp_gt_i32_e32 vcc, s33, v2
	v_cndmask_b32_e32 v2, v11, v3, vcc
	v_ashrrev_i32_e32 v3, 31, v2
	v_lshlrev_b64 v[2:3], 2, v[2:3]
	v_mov_b32_e32 v7, s21
	v_add_co_u32_e32 v6, vcc, s11, v2
	v_or_b32_e32 v2, 32, v1
	v_addc_co_u32_e32 v7, vcc, v7, v3, vcc
	v_add_u32_e32 v3, v2, v10
	v_ashrrev_i32_e32 v3, 5, v3
	v_cmp_gt_i32_e32 vcc, s33, v2
	v_cndmask_b32_e32 v2, v11, v3, vcc
	v_ashrrev_i32_e32 v3, 31, v2
	;; [unrolled: 10-line block ×3, first 2 shown]
	v_lshlrev_b64 v[2:3], 2, v[2:3]
	v_mov_b32_e32 v1, s21
	v_add_co_u32_e32 v12, vcc, s11, v2
	v_addc_co_u32_e32 v13, vcc, v1, v3, vcc
	global_load_dword v2, v[4:5], off
	global_load_dword v10, v[6:7], off
	;; [unrolled: 1-line block ×4, first 2 shown]
	s_load_dwordx4 s[12:15], s[4:5], 0x8
	s_andn2_b64 vcc, exec, s[16:17]
	s_cbranch_vccnz .LBB664_8
; %bb.6:
	s_add_u32 s6, s6, s18
	s_addc_u32 s7, s7, s19
	s_load_dword s16, s[6:7], 0x0
	s_branch .LBB664_9
.LBB664_7:
	s_mov_b64 s[14:15], 0
	s_branch .LBB664_2
.LBB664_8:
	s_mov_b32 s16, s8
.LBB664_9:
	s_load_dwordx2 s[48:49], s[4:5], 0x68
	s_load_dwordx8 s[40:47], s[4:5], 0x48
	v_lshrrev_b32_e32 v62, 6, v0
	v_bfe_u32 v1, v0, 4, 2
	v_and_b32_e32 v55, 15, v0
	v_lshl_or_b32 v3, v62, 2, v1
	v_lshlrev_b32_e32 v4, 3, v55
	s_mul_i32 s25, s10, 11
	v_cmp_gt_u32_e32 vcc, 11, v3
	v_lshlrev_b32_e32 v54, 1, v4
	v_lshlrev_b32_e32 v56, 4, v0
	s_and_saveexec_b64 s[6:7], vcc
	s_cbranch_execz .LBB664_11
; %bb.10:
	s_load_dwordx2 s[18:19], s[4:5], 0x0
	s_waitcnt lgkmcnt(0)
	s_ashr_i32 s17, s40, 31
	s_mul_hi_u32 s23, s16, s40
	s_mul_i32 s17, s16, s17
	s_add_i32 s17, s23, s17
	s_mul_i32 s16, s16, s40
	s_lshl_b64 s[16:17], s[16:17], 1
	v_add_lshl_u32 v4, v3, s25, 7
	s_add_u32 s16, s18, s16
	v_ashrrev_i32_e32 v5, 31, v4
	s_addc_u32 s17, s19, s17
	v_lshlrev_b64 v[4:5], 1, v[4:5]
	v_mov_b32_e32 v6, s17
	v_add_co_u32_e32 v4, vcc, s16, v4
	v_addc_co_u32_e32 v5, vcc, v6, v5, vcc
	v_add_co_u32_e32 v4, vcc, v4, v54
	v_addc_co_u32_e32 v5, vcc, 0, v5, vcc
	global_load_dwordx4 v[4:7], v[4:5], off
	v_lshlrev_b32_e32 v9, 8, v0
	v_lshlrev_b32_e32 v8, 8, v55
	v_and_b32_e32 v9, 0x600, v9
	s_movk_i32 s16, 0x800
	v_and_or_b32 v8, v8, s16, v9
	v_lshlrev_b32_e32 v3, 5, v3
	v_and_b32_e32 v9, 16, v56
	v_or3_b32 v3, v8, v3, v9
	s_waitcnt vmcnt(0)
	ds_write_b128 v3, v[4:7]
.LBB664_11:
	s_or_b64 exec, exec, s[6:7]
	s_waitcnt lgkmcnt(0)
	s_mul_i32 s10, s10, s42
	s_add_u32 s6, s12, s10
	s_addc_u32 s7, s13, 0
	v_and_b32_e32 v3, 48, v0
	v_pk_mov_b32 v[22:23], s[6:7], s[6:7] op_sel:[0,1]
	s_ashr_i32 s6, s20, 31
	v_lshlrev_b32_e32 v25, 5, v3
	v_or_b32_e32 v3, s20, v3
	s_lshr_b32 s6, s6, 27
	v_add_u32_e32 v4, s6, v3
	v_ashrrev_i32_e32 v4, 5, v4
	v_mov_b32_e32 v11, s22
	v_cmp_gt_i32_e32 vcc, s33, v3
	v_cndmask_b32_e32 v4, v11, v4, vcc
	v_ashrrev_i32_e32 v5, 31, v4
	v_lshlrev_b64 v[4:5], 2, v[4:5]
	v_mov_b32_e32 v6, s21
	v_add_co_u32_e32 v4, vcc, s11, v4
	v_addc_co_u32_e32 v5, vcc, v6, v5, vcc
	v_or_b32_e32 v6, 64, v3
	v_add_u32_e32 v7, s6, v6
	v_ashrrev_i32_e32 v7, 5, v7
	v_cmp_gt_i32_e32 vcc, s33, v6
	v_cndmask_b32_e32 v6, v11, v7, vcc
	v_ashrrev_i32_e32 v7, 31, v6
	v_lshlrev_b64 v[6:7], 2, v[6:7]
	v_mov_b32_e32 v8, s21
	v_add_co_u32_e32 v6, vcc, s11, v6
	v_addc_co_u32_e32 v7, vcc, v8, v7, vcc
	v_or_b32_e32 v8, 0x80, v3
	v_add_u32_e32 v9, s6, v8
	v_ashrrev_i32_e32 v9, 5, v9
	v_cmp_gt_i32_e32 vcc, s33, v8
	v_cndmask_b32_e32 v8, v11, v9, vcc
	v_ashrrev_i32_e32 v9, 31, v8
	v_lshlrev_b64 v[8:9], 2, v[8:9]
	v_mov_b32_e32 v12, s21
	v_add_co_u32_e32 v8, vcc, s11, v8
	v_or_b32_e32 v3, 0xc0, v3
	s_load_dwordx2 s[50:51], s[4:5], 0x94
	s_waitcnt lgkmcnt(0)
	s_barrier
	v_addc_co_u32_e32 v9, vcc, v12, v9, vcc
	global_load_dword v50, v[4:5], off
	global_load_dword v57, v[6:7], off
	v_add_u32_e32 v4, s6, v3
	v_ashrrev_i32_e32 v4, 5, v4
	v_cmp_gt_i32_e32 vcc, s33, v3
	v_cndmask_b32_e32 v4, v11, v4, vcc
	v_ashrrev_i32_e32 v5, 31, v4
	v_lshlrev_b64 v[4:5], 2, v[4:5]
	v_mov_b32_e32 v3, s21
	v_add_co_u32_e32 v4, vcc, s11, v4
	v_addc_co_u32_e32 v5, vcc, v3, v5, vcc
	global_load_dword v64, v[8:9], off
	global_load_dword v65, v[4:5], off
	s_waitcnt vmcnt(7)
	v_mad_i64_i32 v[2:3], s[6:7], v2, s41, v[22:23]
	v_lshlrev_b32_e32 v26, 4, v55
	v_add_co_u32_e32 v2, vcc, v2, v26
	v_addc_co_u32_e32 v3, vcc, 0, v3, vcc
	v_add_co_u32_e32 v12, vcc, v2, v25
	v_addc_co_u32_e32 v13, vcc, 0, v3, vcc
	global_load_dwordx4 v[6:9], v[12:13], off
	global_load_dwordx4 v[2:5], v[12:13], off offset:2048
	s_waitcnt vmcnt(8)
	v_mad_i64_i32 v[10:11], s[6:7], v10, s41, v[22:23]
	v_or_b32_e32 v28, 0x100, v26
	v_add_co_u32_e32 v10, vcc, v10, v28
	v_addc_co_u32_e32 v11, vcc, 0, v11, vcc
	v_add_co_u32_e32 v20, vcc, v10, v25
	v_addc_co_u32_e32 v21, vcc, 0, v11, vcc
	s_waitcnt vmcnt(7)
	v_mad_i64_i32 v[18:19], s[6:7], v18, s41, v[22:23]
	v_add_co_u32_e32 v18, vcc, v18, v26
	v_addc_co_u32_e32 v19, vcc, 0, v19, vcc
	v_add_co_u32_e32 v26, vcc, v18, v25
	v_addc_co_u32_e32 v27, vcc, 0, v19, vcc
	s_waitcnt vmcnt(6)
	v_mad_i64_i32 v[22:23], s[6:7], v24, s41, v[22:23]
	v_add_co_u32_e32 v22, vcc, v22, v28
	v_addc_co_u32_e32 v23, vcc, 0, v23, vcc
	v_add_co_u32_e32 v30, vcc, v22, v25
	v_addc_co_u32_e32 v31, vcc, 0, v23, vcc
	s_add_u32 s6, s14, s10
	global_load_dwordx4 v[10:13], v[20:21], off
	global_load_dwordx4 v[14:17], v[20:21], off offset:2048
	global_load_dwordx4 v[38:41], v[26:27], off
	s_nop 0
	global_load_dwordx4 v[18:21], v[26:27], off offset:2048
	s_nop 0
	global_load_dwordx4 v[26:29], v[30:31], off
	global_load_dwordx4 v[22:25], v[30:31], off offset:2048
	s_addc_u32 s7, s15, 0
	v_and_b32_e32 v30, 16, v0
	v_mov_b32_e32 v31, s7
	v_add_co_u32_e32 v51, vcc, s6, v30
	v_lshl_or_b32 v63, v62, 4, v55
	v_addc_co_u32_e32 v52, vcc, 0, v31, vcc
	v_lshlrev_b32_e32 v53, 5, v63
	v_add_co_u32_e32 v42, vcc, v51, v53
	v_addc_co_u32_e32 v43, vcc, 0, v52, vcc
	v_or_b32_e32 v53, 0x800, v53
	v_add_co_u32_e32 v58, vcc, v51, v53
	v_addc_co_u32_e32 v59, vcc, 0, v52, vcc
	v_cmp_gt_u32_e32 vcc, 11, v55
	s_waitcnt vmcnt(11)
	v_mad_i64_i32 v[30:31], s[6:7], v50, s41, v[42:43]
	s_waitcnt vmcnt(10)
	v_mad_i64_i32 v[34:35], s[6:7], v57, s41, v[42:43]
	global_load_dwordx4 v[30:33], v[30:31], off
	v_mad_i64_i32 v[50:51], s[6:7], v50, s41, v[58:59]
	global_load_dwordx4 v[34:37], v[34:35], off
	v_mad_i64_i32 v[60:61], s[6:7], v57, s41, v[58:59]
	s_mov_b32 s12, 0
	s_movk_i32 s13, 0x80
	s_waitcnt vmcnt(11)
	v_mad_i64_i32 v[44:45], s[6:7], v64, s41, v[42:43]
	s_waitcnt vmcnt(10)
	v_mad_i64_i32 v[42:43], s[6:7], v65, s41, v[42:43]
	global_load_dwordx4 v[46:49], v[44:45], off
	s_nop 0
	global_load_dwordx4 v[42:45], v[42:43], off
	s_movk_i32 s14, 0x7f
	global_load_dwordx4 v[50:53], v[50:51], off
	s_mov_b32 s15, 0xffffff
	global_load_dwordx4 v[66:69], v[60:61], off
	s_waitcnt vmcnt(13)
	buffer_store_dword v9, off, s[0:3], 0 offset:12
	buffer_store_dword v8, off, s[0:3], 0 offset:8
	v_mad_i64_i32 v[8:9], s[6:7], v64, s41, v[58:59]
	global_load_dwordx4 v[70:73], v[8:9], off
	v_mad_i64_i32 v[8:9], s[6:7], v65, s41, v[58:59]
	global_load_dwordx4 v[74:77], v[8:9], off
	v_and_b32_e32 v64, 63, v0
	buffer_store_dword v7, off, s[0:3], 0 offset:4
	buffer_store_dword v6, off, s[0:3], 0
	s_waitcnt vmcnt(18)
	buffer_store_dword v5, off, s[0:3], 0 offset:28
	buffer_store_dword v4, off, s[0:3], 0 offset:24
	;; [unrolled: 1-line block ×4, first 2 shown]
	s_waitcnt vmcnt(21)
	buffer_store_dword v13, off, s[0:3], 0 offset:44
	buffer_store_dword v12, off, s[0:3], 0 offset:40
	;; [unrolled: 1-line block ×4, first 2 shown]
	v_mov_b32_e32 v2, 0x80
	s_load_dword s6, s[4:5], 0x1c
	s_load_dwordx4 s[40:43], s[4:5], 0x80
	v_add_u32_e32 v57, 16, v2
	s_waitcnt vmcnt(24)
	buffer_store_dword v17, off, s[0:3], 0 offset:60
	buffer_store_dword v16, off, s[0:3], 0 offset:56
	;; [unrolled: 1-line block ×4, first 2 shown]
	v_add_u32_e32 v61, 32, v2
	v_add_u32_e32 v58, 48, v2
	;; [unrolled: 1-line block ×4, first 2 shown]
	s_waitcnt vmcnt(27)
	buffer_store_dword v41, off, s[0:3], 0 offset:76
	buffer_store_dword v40, off, s[0:3], 0 offset:72
	;; [unrolled: 1-line block ×4, first 2 shown]
	v_add_u32_e32 v41, 0x60, v2
	v_add_u32_e32 v39, 0x70, v2
	v_add_u32_e32 v2, -11, v55
	v_cndmask_b32_e32 v2, v2, v55, vcc
	v_lshlrev_b32_e32 v2, 5, v2
	v_lshl_add_u32 v14, v1, 9, v2
	ds_read_b128 v[2:5], v14
	ds_read_b128 v[6:9], v14 offset:16
	ds_read_b128 v[10:13], v14 offset:2048
	;; [unrolled: 1-line block ×3, first 2 shown]
	s_waitcnt vmcnt(30)
	buffer_store_dword v21, off, s[0:3], 0 offset:92
	buffer_store_dword v20, off, s[0:3], 0 offset:88
	buffer_store_dword v19, off, s[0:3], 0 offset:84
	buffer_store_dword v18, off, s[0:3], 0 offset:80
	s_waitcnt vmcnt(33)
	buffer_store_dword v29, off, s[0:3], 0 offset:108
	buffer_store_dword v28, off, s[0:3], 0 offset:104
	buffer_store_dword v27, off, s[0:3], 0 offset:100
	buffer_store_dword v26, off, s[0:3], 0 offset:96
	;; [unrolled: 5-line block ×10, first 2 shown]
	s_waitcnt vmcnt(58)
	buffer_store_dword v77, off, s[0:3], 0 offset:252
	s_waitcnt lgkmcnt(0)
	s_load_dword s4, s[40:41], 0x0
	v_mov_b32_e32 v18, s6
	v_mov_b32_e32 v27, 0
	;; [unrolled: 1-line block ×4, first 2 shown]
	s_waitcnt lgkmcnt(0)
	v_mul_f32_e32 v22, s4, v18
	v_mov_b32_e32 v24, v22
	v_mov_b32_e32 v25, v22
	v_bfrev_b32_e32 v33, 60
	buffer_store_dword v76, off, s[0:3], 0 offset:248
	buffer_store_dword v75, off, s[0:3], 0 offset:244
	;; [unrolled: 1-line block ×3, first 2 shown]
	s_branch .LBB664_15
.LBB664_12:                             ;   in Loop: Header=BB664_15 Depth=1
	s_or_b64 exec, exec, s[10:11]
.LBB664_13:                             ;   in Loop: Header=BB664_15 Depth=1
	s_or_b64 exec, exec, s[6:7]
.LBB664_14:                             ;   in Loop: Header=BB664_15 Depth=1
	s_or_b64 exec, exec, s[4:5]
	v_cvt_pkrtz_f16_f32 v42, v34, v32
	v_cvt_pkrtz_f16_f32 v43, v23, v36
	;; [unrolled: 1-line block ×4, first 2 shown]
	v_add_u32_e32 v26, s12, v31
	v_mfma_f32_16x16x16f16 v[18:21], v[42:43], v[14:15], v[18:21]
	s_add_i32 s12, s12, 16
	v_mov_b32_e32 v23, v22
	s_cmp_eq_u32 s12, 64
	v_add_u32_e32 v27, 32, v27
	v_mfma_f32_16x16x16f16 v[18:21], v[34:35], v[16:17], v[18:21]
	s_nop 7
	s_nop 2
	v_pk_mul_f32 v[18:19], v[24:25], v[18:19]
	v_pk_mul_f32 v[20:21], v[22:23], v[20:21]
	buffer_store_dword v19, v26, s[0:3], 0 offen offset:4
	buffer_store_dword v18, v26, s[0:3], 0 offen
	buffer_store_dword v21, v26, s[0:3], 0 offen offset:12
	buffer_store_dword v20, v26, s[0:3], 0 offen offset:8
	s_cbranch_scc1 .LBB664_205
.LBB664_15:                             ; =>This Inner Loop Header: Depth=1
	buffer_load_dword v20, v27, s[0:3], 0 offen
	buffer_load_dword v18, v27, s[0:3], 0 offen offset:4
	buffer_load_dword v28, v27, s[0:3], 0 offen offset:8
	;; [unrolled: 1-line block ×3, first 2 shown]
	v_mov_b32_e32 v19, 0
	s_waitcnt vmcnt(3)
	v_cmp_ne_u16_sdwa s[6:7], v20, v29 src0_sel:BYTE_0 src1_sel:DWORD
	s_and_saveexec_b64 s[4:5], s[6:7]
	s_cbranch_execz .LBB664_21
; %bb.16:                               ;   in Loop: Header=BB664_15 Depth=1
	v_cmp_ne_u16_sdwa s[10:11], v20, s13 src0_sel:BYTE_0 src1_sel:DWORD
	v_bfrev_b32_e32 v19, 1
	s_and_saveexec_b64 s[6:7], s[10:11]
	s_cbranch_execz .LBB664_20
; %bb.17:                               ;   in Loop: Header=BB664_15 Depth=1
	v_and_b32_e32 v21, 0x7f, v20
	v_cmp_ne_u32_e32 vcc, s14, v21
	v_mov_b32_e32 v19, 0x7f800001
	s_and_saveexec_b64 s[10:11], vcc
	s_cbranch_execz .LBB664_19
; %bb.18:                               ;   in Loop: Header=BB664_15 Depth=1
	v_and_b32_e32 v19, 7, v20
	v_ffbh_u32_e32 v30, v19
	v_min_u32_e32 v30, 32, v30
	v_subrev_u32_e32 v32, 28, v30
	v_lshlrev_b64 v[34:35], v32, v[20:21]
	v_lshrrev_b32_e32 v23, 3, v21
	v_sub_u32_e32 v30, 29, v30
	v_and_b32_e32 v32, 7, v34
	v_cmp_gt_u32_e32 vcc, 8, v21
	v_cndmask_b32_e32 v21, v23, v30, vcc
	v_cndmask_b32_e32 v19, v19, v32, vcc
	v_lshlrev_b32_e32 v23, 24, v20
	v_lshlrev_b32_e32 v19, 20, v19
	v_and_b32_e32 v23, 0x80000000, v23
	v_lshl_add_u32 v21, v21, 23, v33
	v_or3_b32 v19, v23, v21, v19
.LBB664_19:                             ;   in Loop: Header=BB664_15 Depth=1
	s_or_b64 exec, exec, s[10:11]
.LBB664_20:                             ;   in Loop: Header=BB664_15 Depth=1
	s_or_b64 exec, exec, s[6:7]
.LBB664_21:                             ;   in Loop: Header=BB664_15 Depth=1
	s_or_b64 exec, exec, s[4:5]
	v_lshrrev_b16_e32 v30, 8, v20
	v_cmp_ne_u16_e32 vcc, 0, v30
	v_mov_b32_e32 v21, 0
	v_mov_b32_e32 v23, 0
	s_and_saveexec_b64 s[4:5], vcc
	s_cbranch_execz .LBB664_27
; %bb.22:                               ;   in Loop: Header=BB664_15 Depth=1
	v_cmp_ne_u16_e32 vcc, s13, v30
	v_bfrev_b32_e32 v23, 1
	s_and_saveexec_b64 s[6:7], vcc
	s_cbranch_execz .LBB664_26
; %bb.23:                               ;   in Loop: Header=BB664_15 Depth=1
	v_and_b32_e32 v32, 0x7f, v30
	v_cmp_ne_u32_e32 vcc, s14, v32
	v_mov_b32_e32 v23, 0x7f800001
	s_and_saveexec_b64 s[10:11], vcc
	s_cbranch_execz .LBB664_25
; %bb.24:                               ;   in Loop: Header=BB664_15 Depth=1
	v_and_b32_e32 v23, 7, v30
	v_ffbh_u32_e32 v34, v23
	v_min_u32_e32 v37, 32, v34
	v_subrev_u32_e32 v34, 28, v37
	v_lshlrev_b64 v[34:35], v34, v[30:31]
	v_lshrrev_b32_e32 v36, 3, v32
	v_sub_u32_e32 v30, 29, v37
	v_and_b32_e32 v34, 7, v34
	v_cmp_gt_u32_e32 vcc, 8, v32
	v_cndmask_b32_e32 v30, v36, v30, vcc
	v_cndmask_b32_e32 v23, v23, v34, vcc
	v_lshlrev_b32_e32 v32, 16, v20
	v_lshlrev_b32_e32 v23, 20, v23
	v_and_b32_e32 v32, 0x80000000, v32
	v_lshl_add_u32 v30, v30, 23, v33
	v_or3_b32 v23, v32, v30, v23
.LBB664_25:                             ;   in Loop: Header=BB664_15 Depth=1
	s_or_b64 exec, exec, s[10:11]
.LBB664_26:                             ;   in Loop: Header=BB664_15 Depth=1
	s_or_b64 exec, exec, s[6:7]
.LBB664_27:                             ;   in Loop: Header=BB664_15 Depth=1
	s_or_b64 exec, exec, s[4:5]
	v_lshrrev_b32_e32 v30, 16, v20
	v_cmp_ne_u16_sdwa s[6:7], v30, v29 src0_sel:BYTE_0 src1_sel:DWORD
	s_and_saveexec_b64 s[4:5], s[6:7]
	s_cbranch_execz .LBB664_33
; %bb.28:                               ;   in Loop: Header=BB664_15 Depth=1
	v_cmp_ne_u16_sdwa s[10:11], v30, s13 src0_sel:BYTE_0 src1_sel:DWORD
	v_bfrev_b32_e32 v21, 1
	s_and_saveexec_b64 s[6:7], s[10:11]
	s_cbranch_execz .LBB664_32
; %bb.29:                               ;   in Loop: Header=BB664_15 Depth=1
	v_bfe_u32 v32, v20, 16, 7
	v_cmp_ne_u32_e32 vcc, s14, v32
	v_mov_b32_e32 v21, 0x7f800001
	s_and_saveexec_b64 s[10:11], vcc
	s_cbranch_execz .LBB664_31
; %bb.30:                               ;   in Loop: Header=BB664_15 Depth=1
	v_and_b32_e32 v21, 7, v30
	v_ffbh_u32_e32 v34, v21
	v_min_u32_e32 v37, 32, v34
	v_subrev_u32_e32 v34, 28, v37
	v_lshlrev_b64 v[34:35], v34, v[30:31]
	v_lshrrev_b32_e32 v36, 3, v32
	v_sub_u32_e32 v35, 29, v37
	v_and_b32_e32 v34, 7, v34
	v_cmp_gt_u32_e32 vcc, 8, v32
	v_cndmask_b32_e32 v32, v36, v35, vcc
	v_cndmask_b32_e32 v21, v21, v34, vcc
	v_lshlrev_b32_e32 v30, 24, v30
	v_lshlrev_b32_e32 v21, 20, v21
	v_and_b32_e32 v30, 0x80000000, v30
	v_lshl_add_u32 v32, v32, 23, v33
	v_or3_b32 v21, v30, v32, v21
.LBB664_31:                             ;   in Loop: Header=BB664_15 Depth=1
	s_or_b64 exec, exec, s[10:11]
.LBB664_32:                             ;   in Loop: Header=BB664_15 Depth=1
	s_or_b64 exec, exec, s[6:7]
.LBB664_33:                             ;   in Loop: Header=BB664_15 Depth=1
	s_or_b64 exec, exec, s[4:5]
	v_cmp_lt_u32_e32 vcc, s15, v20
	v_mov_b32_e32 v34, 0
	v_mov_b32_e32 v35, 0
	s_and_saveexec_b64 s[4:5], vcc
	s_cbranch_execz .LBB664_39
; %bb.34:                               ;   in Loop: Header=BB664_15 Depth=1
	v_lshrrev_b32_e32 v30, 24, v20
	v_cmp_ne_u32_e32 vcc, s13, v30
	v_bfrev_b32_e32 v35, 1
	s_and_saveexec_b64 s[6:7], vcc
	s_cbranch_execz .LBB664_38
; %bb.35:                               ;   in Loop: Header=BB664_15 Depth=1
	v_bfe_u32 v20, v20, 24, 7
	v_cmp_ne_u32_e32 vcc, s14, v20
	v_mov_b32_e32 v35, 0x7f800001
	s_and_saveexec_b64 s[10:11], vcc
	s_cbranch_execz .LBB664_37
; %bb.36:                               ;   in Loop: Header=BB664_15 Depth=1
	v_and_b32_e32 v32, 7, v30
	v_ffbh_u32_e32 v36, v32
	v_min_u32_e32 v38, 32, v36
	v_subrev_u32_e32 v36, 28, v38
	v_lshlrev_b64 v[36:37], v36, v[30:31]
	v_lshrrev_b32_e32 v35, 3, v20
	v_sub_u32_e32 v37, 29, v38
	v_and_b32_e32 v36, 7, v36
	v_cmp_gt_u32_e32 vcc, 8, v20
	v_cndmask_b32_e32 v20, v35, v37, vcc
	v_cndmask_b32_e32 v32, v32, v36, vcc
	v_lshlrev_b32_e32 v30, 24, v30
	v_lshlrev_b32_e32 v32, 20, v32
	v_and_b32_e32 v30, 0x80000000, v30
	v_lshl_add_u32 v20, v20, 23, v33
	v_or3_b32 v35, v30, v20, v32
.LBB664_37:                             ;   in Loop: Header=BB664_15 Depth=1
	s_or_b64 exec, exec, s[10:11]
.LBB664_38:                             ;   in Loop: Header=BB664_15 Depth=1
	s_or_b64 exec, exec, s[6:7]
.LBB664_39:                             ;   in Loop: Header=BB664_15 Depth=1
	s_or_b64 exec, exec, s[4:5]
	s_waitcnt vmcnt(2)
	v_cmp_ne_u16_sdwa s[6:7], v18, v29 src0_sel:BYTE_0 src1_sel:DWORD
	s_and_saveexec_b64 s[4:5], s[6:7]
	s_cbranch_execz .LBB664_45
; %bb.40:                               ;   in Loop: Header=BB664_15 Depth=1
	v_cmp_ne_u16_sdwa s[10:11], v18, s13 src0_sel:BYTE_0 src1_sel:DWORD
	v_bfrev_b32_e32 v34, 1
	s_and_saveexec_b64 s[6:7], s[10:11]
	s_cbranch_execz .LBB664_44
; %bb.41:                               ;   in Loop: Header=BB664_15 Depth=1
	v_and_b32_e32 v20, 0x7f, v18
	v_cmp_ne_u32_e32 vcc, s14, v20
	v_mov_b32_e32 v34, 0x7f800001
	s_and_saveexec_b64 s[10:11], vcc
	s_cbranch_execz .LBB664_43
; %bb.42:                               ;   in Loop: Header=BB664_15 Depth=1
	v_and_b32_e32 v30, 7, v18
	v_ffbh_u32_e32 v34, v30
	v_min_u32_e32 v34, 32, v34
	v_subrev_u32_e32 v36, 28, v34
	v_lshlrev_b64 v[36:37], v36, v[18:19]
	v_lshrrev_b32_e32 v32, 3, v20
	v_sub_u32_e32 v34, 29, v34
	v_and_b32_e32 v36, 7, v36
	v_cmp_gt_u32_e32 vcc, 8, v20
	v_cndmask_b32_e32 v20, v32, v34, vcc
	v_cndmask_b32_e32 v30, v30, v36, vcc
	v_lshlrev_b32_e32 v32, 24, v18
	v_lshlrev_b32_e32 v30, 20, v30
	v_and_b32_e32 v32, 0x80000000, v32
	v_lshl_add_u32 v20, v20, 23, v33
	v_or3_b32 v34, v32, v20, v30
.LBB664_43:                             ;   in Loop: Header=BB664_15 Depth=1
	s_or_b64 exec, exec, s[10:11]
.LBB664_44:                             ;   in Loop: Header=BB664_15 Depth=1
	s_or_b64 exec, exec, s[6:7]
.LBB664_45:                             ;   in Loop: Header=BB664_15 Depth=1
	s_or_b64 exec, exec, s[4:5]
	v_lshrrev_b16_e32 v20, 8, v18
	v_cmp_ne_u16_e32 vcc, 0, v20
	v_mov_b32_e32 v30, 0
	v_mov_b32_e32 v36, 0
	s_and_saveexec_b64 s[4:5], vcc
	s_cbranch_execz .LBB664_51
; %bb.46:                               ;   in Loop: Header=BB664_15 Depth=1
	v_cmp_ne_u16_e32 vcc, s13, v20
	v_bfrev_b32_e32 v36, 1
	s_and_saveexec_b64 s[6:7], vcc
	s_cbranch_execz .LBB664_50
; %bb.47:                               ;   in Loop: Header=BB664_15 Depth=1
	v_and_b32_e32 v32, 0x7f, v20
	v_cmp_ne_u32_e32 vcc, s14, v32
	v_mov_b32_e32 v36, 0x7f800001
	s_and_saveexec_b64 s[10:11], vcc
	s_cbranch_execz .LBB664_49
; %bb.48:                               ;   in Loop: Header=BB664_15 Depth=1
	v_and_b32_e32 v38, 7, v20
	v_ffbh_u32_e32 v36, v38
	v_min_u32_e32 v42, 32, v36
	v_subrev_u32_e32 v36, 28, v42
	v_lshlrev_b64 v[36:37], v36, v[20:21]
	v_lshrrev_b32_e32 v40, 3, v32
	v_sub_u32_e32 v20, 29, v42
	v_and_b32_e32 v36, 7, v36
	v_cmp_gt_u32_e32 vcc, 8, v32
	v_cndmask_b32_e32 v20, v40, v20, vcc
	v_cndmask_b32_e32 v32, v38, v36, vcc
	v_lshlrev_b32_e32 v36, 16, v18
	v_lshlrev_b32_e32 v32, 20, v32
	v_and_b32_e32 v36, 0x80000000, v36
	v_lshl_add_u32 v20, v20, 23, v33
	v_or3_b32 v36, v36, v20, v32
.LBB664_49:                             ;   in Loop: Header=BB664_15 Depth=1
	s_or_b64 exec, exec, s[10:11]
.LBB664_50:                             ;   in Loop: Header=BB664_15 Depth=1
	s_or_b64 exec, exec, s[6:7]
.LBB664_51:                             ;   in Loop: Header=BB664_15 Depth=1
	s_or_b64 exec, exec, s[4:5]
	v_lshrrev_b32_e32 v20, 16, v18
	v_cmp_ne_u16_sdwa s[6:7], v20, v29 src0_sel:BYTE_0 src1_sel:DWORD
	s_and_saveexec_b64 s[4:5], s[6:7]
	s_cbranch_execz .LBB664_57
; %bb.52:                               ;   in Loop: Header=BB664_15 Depth=1
	v_cmp_ne_u16_sdwa s[10:11], v20, s13 src0_sel:BYTE_0 src1_sel:DWORD
	v_bfrev_b32_e32 v30, 1
	s_and_saveexec_b64 s[6:7], s[10:11]
	s_cbranch_execz .LBB664_56
; %bb.53:                               ;   in Loop: Header=BB664_15 Depth=1
	v_bfe_u32 v32, v18, 16, 7
	v_cmp_ne_u32_e32 vcc, s14, v32
	v_mov_b32_e32 v30, 0x7f800001
	s_and_saveexec_b64 s[10:11], vcc
	s_cbranch_execz .LBB664_55
; %bb.54:                               ;   in Loop: Header=BB664_15 Depth=1
	v_and_b32_e32 v30, 7, v20
	v_ffbh_u32_e32 v38, v30
	v_min_u32_e32 v38, 32, v38
	v_subrev_u32_e32 v40, 28, v38
	v_lshlrev_b64 v[42:43], v40, v[20:21]
	v_lshrrev_b32_e32 v37, 3, v32
	v_sub_u32_e32 v38, 29, v38
	v_and_b32_e32 v40, 7, v42
	v_cmp_gt_u32_e32 vcc, 8, v32
	v_cndmask_b32_e32 v32, v37, v38, vcc
	v_cndmask_b32_e32 v30, v30, v40, vcc
	v_lshlrev_b32_e32 v20, 24, v20
	v_lshlrev_b32_e32 v30, 20, v30
	v_and_b32_e32 v20, 0x80000000, v20
	v_lshl_add_u32 v32, v32, 23, v33
	v_or3_b32 v30, v20, v32, v30
.LBB664_55:                             ;   in Loop: Header=BB664_15 Depth=1
	s_or_b64 exec, exec, s[10:11]
.LBB664_56:                             ;   in Loop: Header=BB664_15 Depth=1
	s_or_b64 exec, exec, s[6:7]
.LBB664_57:                             ;   in Loop: Header=BB664_15 Depth=1
	s_or_b64 exec, exec, s[4:5]
	v_cmp_lt_u32_e32 vcc, s15, v18
	v_mov_b32_e32 v32, 0
	v_mov_b32_e32 v37, 0
	s_and_saveexec_b64 s[4:5], vcc
	s_cbranch_execz .LBB664_63
; %bb.58:                               ;   in Loop: Header=BB664_15 Depth=1
	v_lshrrev_b32_e32 v20, 24, v18
	v_cmp_ne_u32_e32 vcc, s13, v20
	v_bfrev_b32_e32 v37, 1
	s_and_saveexec_b64 s[6:7], vcc
	s_cbranch_execz .LBB664_62
; %bb.59:                               ;   in Loop: Header=BB664_15 Depth=1
	v_bfe_u32 v18, v18, 24, 7
	v_cmp_ne_u32_e32 vcc, s14, v18
	v_mov_b32_e32 v37, 0x7f800001
	s_and_saveexec_b64 s[10:11], vcc
	s_cbranch_execz .LBB664_61
; %bb.60:                               ;   in Loop: Header=BB664_15 Depth=1
	v_and_b32_e32 v37, 7, v20
	v_ffbh_u32_e32 v40, v37
	v_min_u32_e32 v40, 32, v40
	v_subrev_u32_e32 v42, 28, v40
	v_lshlrev_b64 v[42:43], v42, v[20:21]
	v_lshrrev_b32_e32 v38, 3, v18
	v_sub_u32_e32 v40, 29, v40
	v_and_b32_e32 v42, 7, v42
	v_cmp_gt_u32_e32 vcc, 8, v18
	v_cndmask_b32_e32 v18, v38, v40, vcc
	v_cndmask_b32_e32 v37, v37, v42, vcc
	v_lshlrev_b32_e32 v20, 24, v20
	v_lshlrev_b32_e32 v37, 20, v37
	v_and_b32_e32 v20, 0x80000000, v20
	v_lshl_add_u32 v18, v18, 23, v33
	v_or3_b32 v37, v20, v18, v37
.LBB664_61:                             ;   in Loop: Header=BB664_15 Depth=1
	s_or_b64 exec, exec, s[10:11]
.LBB664_62:                             ;   in Loop: Header=BB664_15 Depth=1
	s_or_b64 exec, exec, s[6:7]
.LBB664_63:                             ;   in Loop: Header=BB664_15 Depth=1
	s_or_b64 exec, exec, s[4:5]
	v_cvt_pkrtz_f16_f32 v18, v19, v23
	v_cvt_pkrtz_f16_f32 v19, v21, v35
	;; [unrolled: 1-line block ×4, first 2 shown]
	s_waitcnt vmcnt(1)
	v_cmp_ne_u16_sdwa s[6:7], v28, v29 src0_sel:BYTE_0 src1_sel:DWORD
	v_mfma_f32_16x16x16f16 v[18:21], v[18:19], v[2:3], 0
	v_mfma_f32_16x16x16f16 v[18:21], v[34:35], v[4:5], v[18:21]
	s_and_saveexec_b64 s[4:5], s[6:7]
	s_cbranch_execz .LBB664_69
; %bb.64:                               ;   in Loop: Header=BB664_15 Depth=1
	v_cmp_ne_u16_sdwa s[10:11], v28, s13 src0_sel:BYTE_0 src1_sel:DWORD
	v_bfrev_b32_e32 v32, 1
	s_and_saveexec_b64 s[6:7], s[10:11]
	s_cbranch_execz .LBB664_68
; %bb.65:                               ;   in Loop: Header=BB664_15 Depth=1
	v_and_b32_e32 v23, 0x7f, v28
	v_cmp_ne_u32_e32 vcc, s14, v23
	v_mov_b32_e32 v32, 0x7f800001
	s_and_saveexec_b64 s[10:11], vcc
	s_cbranch_execz .LBB664_67
; %bb.66:                               ;   in Loop: Header=BB664_15 Depth=1
	v_and_b32_e32 v30, 7, v28
	v_ffbh_u32_e32 v34, v30
	v_min_u32_e32 v36, 32, v34
	v_subrev_u32_e32 v34, 28, v36
	v_lshlrev_b64 v[34:35], v34, v[28:29]
	v_lshrrev_b32_e32 v32, 3, v23
	v_sub_u32_e32 v35, 29, v36
	v_and_b32_e32 v34, 7, v34
	v_cmp_gt_u32_e32 vcc, 8, v23
	v_cndmask_b32_e32 v23, v32, v35, vcc
	v_cndmask_b32_e32 v30, v30, v34, vcc
	v_lshlrev_b32_e32 v32, 24, v28
	v_lshlrev_b32_e32 v30, 20, v30
	v_and_b32_e32 v32, 0x80000000, v32
	v_lshl_add_u32 v23, v23, 23, v33
	v_or3_b32 v32, v32, v23, v30
.LBB664_67:                             ;   in Loop: Header=BB664_15 Depth=1
	s_or_b64 exec, exec, s[10:11]
.LBB664_68:                             ;   in Loop: Header=BB664_15 Depth=1
	s_or_b64 exec, exec, s[6:7]
.LBB664_69:                             ;   in Loop: Header=BB664_15 Depth=1
	s_or_b64 exec, exec, s[4:5]
	v_lshrrev_b16_e32 v30, 8, v28
	v_cmp_ne_u16_e32 vcc, 0, v30
	v_mov_b32_e32 v34, 0
	v_mov_b32_e32 v35, 0
	s_and_saveexec_b64 s[4:5], vcc
	s_cbranch_execz .LBB664_75
; %bb.70:                               ;   in Loop: Header=BB664_15 Depth=1
	v_cmp_ne_u16_e32 vcc, s13, v30
	v_bfrev_b32_e32 v35, 1
	s_and_saveexec_b64 s[6:7], vcc
	s_cbranch_execz .LBB664_74
; %bb.71:                               ;   in Loop: Header=BB664_15 Depth=1
	v_and_b32_e32 v23, 0x7f, v30
	v_cmp_ne_u32_e32 vcc, s14, v23
	v_mov_b32_e32 v35, 0x7f800001
	s_and_saveexec_b64 s[10:11], vcc
	s_cbranch_execz .LBB664_73
; %bb.72:                               ;   in Loop: Header=BB664_15 Depth=1
	v_and_b32_e32 v35, 7, v30
	v_ffbh_u32_e32 v36, v35
	v_min_u32_e32 v40, 32, v36
	v_subrev_u32_e32 v36, 28, v40
	v_lshlrev_b64 v[36:37], v36, v[30:31]
	v_lshrrev_b32_e32 v38, 3, v23
	v_sub_u32_e32 v30, 29, v40
	v_and_b32_e32 v36, 7, v36
	v_cmp_gt_u32_e32 vcc, 8, v23
	v_cndmask_b32_e32 v23, v38, v30, vcc
	v_cndmask_b32_e32 v30, v35, v36, vcc
	v_lshlrev_b32_e32 v35, 16, v28
	v_lshlrev_b32_e32 v30, 20, v30
	v_and_b32_e32 v35, 0x80000000, v35
	v_lshl_add_u32 v23, v23, 23, v33
	v_or3_b32 v35, v35, v23, v30
.LBB664_73:                             ;   in Loop: Header=BB664_15 Depth=1
	s_or_b64 exec, exec, s[10:11]
.LBB664_74:                             ;   in Loop: Header=BB664_15 Depth=1
	s_or_b64 exec, exec, s[6:7]
.LBB664_75:                             ;   in Loop: Header=BB664_15 Depth=1
	s_or_b64 exec, exec, s[4:5]
	v_lshrrev_b32_e32 v30, 16, v28
	v_cmp_ne_u16_sdwa s[6:7], v30, v29 src0_sel:BYTE_0 src1_sel:DWORD
	s_and_saveexec_b64 s[4:5], s[6:7]
	s_cbranch_execz .LBB664_81
; %bb.76:                               ;   in Loop: Header=BB664_15 Depth=1
	v_cmp_ne_u16_sdwa s[10:11], v30, s13 src0_sel:BYTE_0 src1_sel:DWORD
	v_bfrev_b32_e32 v34, 1
	s_and_saveexec_b64 s[6:7], s[10:11]
	s_cbranch_execz .LBB664_80
; %bb.77:                               ;   in Loop: Header=BB664_15 Depth=1
	v_bfe_u32 v23, v28, 16, 7
	v_cmp_ne_u32_e32 vcc, s14, v23
	v_mov_b32_e32 v34, 0x7f800001
	s_and_saveexec_b64 s[10:11], vcc
	s_cbranch_execz .LBB664_79
; %bb.78:                               ;   in Loop: Header=BB664_15 Depth=1
	v_and_b32_e32 v34, 7, v30
	v_ffbh_u32_e32 v36, v34
	v_min_u32_e32 v40, 32, v36
	v_subrev_u32_e32 v36, 28, v40
	v_lshlrev_b64 v[36:37], v36, v[30:31]
	v_lshrrev_b32_e32 v38, 3, v23
	v_sub_u32_e32 v37, 29, v40
	v_and_b32_e32 v36, 7, v36
	v_cmp_gt_u32_e32 vcc, 8, v23
	v_cndmask_b32_e32 v23, v38, v37, vcc
	v_cndmask_b32_e32 v34, v34, v36, vcc
	v_lshlrev_b32_e32 v30, 24, v30
	v_lshlrev_b32_e32 v34, 20, v34
	v_and_b32_e32 v30, 0x80000000, v30
	v_lshl_add_u32 v23, v23, 23, v33
	v_or3_b32 v34, v30, v23, v34
.LBB664_79:                             ;   in Loop: Header=BB664_15 Depth=1
	s_or_b64 exec, exec, s[10:11]
.LBB664_80:                             ;   in Loop: Header=BB664_15 Depth=1
	s_or_b64 exec, exec, s[6:7]
.LBB664_81:                             ;   in Loop: Header=BB664_15 Depth=1
	s_or_b64 exec, exec, s[4:5]
	v_cmp_lt_u32_e32 vcc, s15, v28
	v_mov_b32_e32 v36, 0
	v_mov_b32_e32 v37, 0
	s_and_saveexec_b64 s[4:5], vcc
	s_cbranch_execz .LBB664_87
; %bb.82:                               ;   in Loop: Header=BB664_15 Depth=1
	v_lshrrev_b32_e32 v30, 24, v28
	v_cmp_ne_u32_e32 vcc, s13, v30
	v_bfrev_b32_e32 v37, 1
	s_and_saveexec_b64 s[6:7], vcc
	s_cbranch_execz .LBB664_86
; %bb.83:                               ;   in Loop: Header=BB664_15 Depth=1
	v_bfe_u32 v23, v28, 24, 7
	v_cmp_ne_u32_e32 vcc, s14, v23
	v_mov_b32_e32 v37, 0x7f800001
	s_and_saveexec_b64 s[10:11], vcc
	s_cbranch_execz .LBB664_85
; %bb.84:                               ;   in Loop: Header=BB664_15 Depth=1
	v_and_b32_e32 v28, 7, v30
	v_ffbh_u32_e32 v38, v28
	v_min_u32_e32 v38, 32, v38
	v_subrev_u32_e32 v40, 28, v38
	v_lshlrev_b64 v[42:43], v40, v[30:31]
	v_lshrrev_b32_e32 v37, 3, v23
	v_sub_u32_e32 v38, 29, v38
	v_and_b32_e32 v40, 7, v42
	v_cmp_gt_u32_e32 vcc, 8, v23
	v_cndmask_b32_e32 v23, v37, v38, vcc
	v_cndmask_b32_e32 v28, v28, v40, vcc
	v_lshlrev_b32_e32 v30, 24, v30
	v_lshlrev_b32_e32 v28, 20, v28
	v_and_b32_e32 v30, 0x80000000, v30
	v_lshl_add_u32 v23, v23, 23, v33
	v_or3_b32 v37, v30, v23, v28
.LBB664_85:                             ;   in Loop: Header=BB664_15 Depth=1
	s_or_b64 exec, exec, s[10:11]
.LBB664_86:                             ;   in Loop: Header=BB664_15 Depth=1
	s_or_b64 exec, exec, s[6:7]
.LBB664_87:                             ;   in Loop: Header=BB664_15 Depth=1
	s_or_b64 exec, exec, s[4:5]
	s_waitcnt vmcnt(0)
	v_cmp_ne_u16_sdwa s[6:7], v26, v29 src0_sel:BYTE_0 src1_sel:DWORD
	s_and_saveexec_b64 s[4:5], s[6:7]
	s_cbranch_execz .LBB664_93
; %bb.88:                               ;   in Loop: Header=BB664_15 Depth=1
	v_cmp_ne_u16_sdwa s[10:11], v26, s13 src0_sel:BYTE_0 src1_sel:DWORD
	v_bfrev_b32_e32 v36, 1
	s_and_saveexec_b64 s[6:7], s[10:11]
	s_cbranch_execz .LBB664_92
; %bb.89:                               ;   in Loop: Header=BB664_15 Depth=1
	v_and_b32_e32 v23, 0x7f, v26
	v_cmp_ne_u32_e32 vcc, s14, v23
	v_mov_b32_e32 v36, 0x7f800001
	s_and_saveexec_b64 s[10:11], vcc
	s_cbranch_execz .LBB664_91
; %bb.90:                               ;   in Loop: Header=BB664_15 Depth=1
	v_and_b32_e32 v28, 7, v26
	v_ffbh_u32_e32 v36, v28
	v_min_u32_e32 v36, 32, v36
	v_subrev_u32_e32 v38, 28, v36
	v_lshlrev_b64 v[42:43], v38, v[26:27]
	v_lshrrev_b32_e32 v30, 3, v23
	v_sub_u32_e32 v36, 29, v36
	v_and_b32_e32 v38, 7, v42
	v_cmp_gt_u32_e32 vcc, 8, v23
	v_cndmask_b32_e32 v23, v30, v36, vcc
	v_cndmask_b32_e32 v28, v28, v38, vcc
	v_lshlrev_b32_e32 v30, 24, v26
	v_lshlrev_b32_e32 v28, 20, v28
	v_and_b32_e32 v30, 0x80000000, v30
	v_lshl_add_u32 v23, v23, 23, v33
	v_or3_b32 v36, v30, v23, v28
.LBB664_91:                             ;   in Loop: Header=BB664_15 Depth=1
	s_or_b64 exec, exec, s[10:11]
.LBB664_92:                             ;   in Loop: Header=BB664_15 Depth=1
	s_or_b64 exec, exec, s[6:7]
.LBB664_93:                             ;   in Loop: Header=BB664_15 Depth=1
	s_or_b64 exec, exec, s[4:5]
	v_lshrrev_b16_e32 v28, 8, v26
	v_cmp_ne_u16_e32 vcc, 0, v28
	v_mov_b32_e32 v38, 0
	v_mov_b32_e32 v40, 0
	s_and_saveexec_b64 s[4:5], vcc
	s_cbranch_execz .LBB664_99
; %bb.94:                               ;   in Loop: Header=BB664_15 Depth=1
	v_cmp_ne_u16_e32 vcc, s13, v28
	v_bfrev_b32_e32 v40, 1
	s_and_saveexec_b64 s[6:7], vcc
	s_cbranch_execz .LBB664_98
; %bb.95:                               ;   in Loop: Header=BB664_15 Depth=1
	v_and_b32_e32 v23, 0x7f, v28
	v_cmp_ne_u32_e32 vcc, s14, v23
	v_mov_b32_e32 v40, 0x7f800001
	s_and_saveexec_b64 s[10:11], vcc
	s_cbranch_execz .LBB664_97
; %bb.96:                               ;   in Loop: Header=BB664_15 Depth=1
	v_and_b32_e32 v30, 7, v28
	v_ffbh_u32_e32 v42, v30
	v_min_u32_e32 v44, 32, v42
	v_subrev_u32_e32 v42, 28, v44
	v_lshlrev_b64 v[42:43], v42, v[28:29]
	v_lshrrev_b32_e32 v40, 3, v23
	v_sub_u32_e32 v28, 29, v44
	v_and_b32_e32 v42, 7, v42
	v_cmp_gt_u32_e32 vcc, 8, v23
	v_cndmask_b32_e32 v23, v40, v28, vcc
	v_cndmask_b32_e32 v28, v30, v42, vcc
	v_lshlrev_b32_e32 v30, 16, v26
	v_lshlrev_b32_e32 v28, 20, v28
	v_and_b32_e32 v30, 0x80000000, v30
	v_lshl_add_u32 v23, v23, 23, v33
	v_or3_b32 v40, v30, v23, v28
.LBB664_97:                             ;   in Loop: Header=BB664_15 Depth=1
	s_or_b64 exec, exec, s[10:11]
.LBB664_98:                             ;   in Loop: Header=BB664_15 Depth=1
	s_or_b64 exec, exec, s[6:7]
.LBB664_99:                             ;   in Loop: Header=BB664_15 Depth=1
	s_or_b64 exec, exec, s[4:5]
	v_lshrrev_b32_e32 v28, 16, v26
	v_cmp_ne_u16_sdwa s[6:7], v28, v29 src0_sel:BYTE_0 src1_sel:DWORD
	s_and_saveexec_b64 s[4:5], s[6:7]
	s_cbranch_execz .LBB664_105
; %bb.100:                              ;   in Loop: Header=BB664_15 Depth=1
	v_cmp_ne_u16_sdwa s[10:11], v28, s13 src0_sel:BYTE_0 src1_sel:DWORD
	v_bfrev_b32_e32 v38, 1
	s_and_saveexec_b64 s[6:7], s[10:11]
	s_cbranch_execz .LBB664_104
; %bb.101:                              ;   in Loop: Header=BB664_15 Depth=1
	v_bfe_u32 v23, v26, 16, 7
	v_cmp_ne_u32_e32 vcc, s14, v23
	v_mov_b32_e32 v38, 0x7f800001
	s_and_saveexec_b64 s[10:11], vcc
	s_cbranch_execz .LBB664_103
; %bb.102:                              ;   in Loop: Header=BB664_15 Depth=1
	v_and_b32_e32 v30, 7, v28
	v_ffbh_u32_e32 v42, v30
	v_min_u32_e32 v44, 32, v42
	v_subrev_u32_e32 v42, 28, v44
	v_lshlrev_b64 v[42:43], v42, v[28:29]
	v_lshrrev_b32_e32 v38, 3, v23
	v_sub_u32_e32 v43, 29, v44
	v_and_b32_e32 v42, 7, v42
	v_cmp_gt_u32_e32 vcc, 8, v23
	v_cndmask_b32_e32 v23, v38, v43, vcc
	v_cndmask_b32_e32 v30, v30, v42, vcc
	v_lshlrev_b32_e32 v28, 24, v28
	v_lshlrev_b32_e32 v30, 20, v30
	v_and_b32_e32 v28, 0x80000000, v28
	v_lshl_add_u32 v23, v23, 23, v33
	v_or3_b32 v38, v28, v23, v30
.LBB664_103:                            ;   in Loop: Header=BB664_15 Depth=1
	s_or_b64 exec, exec, s[10:11]
.LBB664_104:                            ;   in Loop: Header=BB664_15 Depth=1
	s_or_b64 exec, exec, s[6:7]
.LBB664_105:                            ;   in Loop: Header=BB664_15 Depth=1
	s_or_b64 exec, exec, s[4:5]
	v_cmp_lt_u32_e32 vcc, s15, v26
	v_mov_b32_e32 v23, 0
	v_mov_b32_e32 v42, 0
	s_and_saveexec_b64 s[4:5], vcc
	s_cbranch_execz .LBB664_111
; %bb.106:                              ;   in Loop: Header=BB664_15 Depth=1
	v_lshrrev_b32_e32 v28, 24, v26
	v_cmp_ne_u32_e32 vcc, s13, v28
	v_bfrev_b32_e32 v42, 1
	s_and_saveexec_b64 s[6:7], vcc
	s_cbranch_execz .LBB664_110
; %bb.107:                              ;   in Loop: Header=BB664_15 Depth=1
	v_bfe_u32 v26, v26, 24, 7
	v_cmp_ne_u32_e32 vcc, s14, v26
	v_mov_b32_e32 v42, 0x7f800001
	s_and_saveexec_b64 s[10:11], vcc
	s_cbranch_execz .LBB664_109
; %bb.108:                              ;   in Loop: Header=BB664_15 Depth=1
	v_and_b32_e32 v30, 7, v28
	v_ffbh_u32_e32 v42, v30
	v_min_u32_e32 v45, 32, v42
	v_subrev_u32_e32 v42, 28, v45
	v_lshlrev_b64 v[42:43], v42, v[28:29]
	v_lshrrev_b32_e32 v44, 3, v26
	v_sub_u32_e32 v43, 29, v45
	v_and_b32_e32 v42, 7, v42
	v_cmp_gt_u32_e32 vcc, 8, v26
	v_cndmask_b32_e32 v26, v44, v43, vcc
	v_cndmask_b32_e32 v30, v30, v42, vcc
	v_lshlrev_b32_e32 v28, 24, v28
	v_lshlrev_b32_e32 v30, 20, v30
	v_and_b32_e32 v28, 0x80000000, v28
	v_lshl_add_u32 v26, v26, 23, v33
	v_or3_b32 v42, v28, v26, v30
.LBB664_109:                            ;   in Loop: Header=BB664_15 Depth=1
	s_or_b64 exec, exec, s[10:11]
.LBB664_110:                            ;   in Loop: Header=BB664_15 Depth=1
	s_or_b64 exec, exec, s[6:7]
.LBB664_111:                            ;   in Loop: Header=BB664_15 Depth=1
	s_or_b64 exec, exec, s[4:5]
	v_cvt_pkrtz_f16_f32 v44, v32, v35
	buffer_load_dword v32, v27, s[0:3], 0 offen offset:16
	buffer_load_dword v30, v27, s[0:3], 0 offen offset:20
	;; [unrolled: 1-line block ×4, first 2 shown]
	v_cvt_pkrtz_f16_f32 v45, v34, v37
	v_cvt_pkrtz_f16_f32 v34, v36, v40
	v_cvt_pkrtz_f16_f32 v35, v38, v42
	v_mfma_f32_16x16x16f16 v[18:21], v[44:45], v[6:7], v[18:21]
	s_waitcnt vmcnt(3)
	v_cmp_ne_u16_sdwa s[6:7], v32, v29 src0_sel:BYTE_0 src1_sel:DWORD
	v_mfma_f32_16x16x16f16 v[18:21], v[34:35], v[8:9], v[18:21]
	s_and_saveexec_b64 s[4:5], s[6:7]
	s_cbranch_execz .LBB664_117
; %bb.112:                              ;   in Loop: Header=BB664_15 Depth=1
	v_cmp_ne_u16_sdwa s[10:11], v32, s13 src0_sel:BYTE_0 src1_sel:DWORD
	v_bfrev_b32_e32 v23, 1
	s_and_saveexec_b64 s[6:7], s[10:11]
	s_cbranch_execz .LBB664_116
; %bb.113:                              ;   in Loop: Header=BB664_15 Depth=1
	v_and_b32_e32 v34, 0x7f, v32
	v_cmp_ne_u32_e32 vcc, s14, v34
	v_mov_b32_e32 v23, 0x7f800001
	s_and_saveexec_b64 s[10:11], vcc
	s_cbranch_execz .LBB664_115
; %bb.114:                              ;   in Loop: Header=BB664_15 Depth=1
	v_and_b32_e32 v23, 7, v32
	v_ffbh_u32_e32 v36, v23
	v_min_u32_e32 v38, 32, v36
	v_subrev_u32_e32 v36, 28, v38
	v_lshlrev_b64 v[36:37], v36, v[32:33]
	v_lshrrev_b32_e32 v35, 3, v34
	v_sub_u32_e32 v37, 29, v38
	v_and_b32_e32 v36, 7, v36
	v_cmp_gt_u32_e32 vcc, 8, v34
	v_cndmask_b32_e32 v34, v35, v37, vcc
	v_cndmask_b32_e32 v23, v23, v36, vcc
	v_lshlrev_b32_e32 v35, 24, v32
	v_lshlrev_b32_e32 v23, 20, v23
	v_and_b32_e32 v35, 0x80000000, v35
	v_lshl_add_u32 v34, v34, 23, v33
	v_or3_b32 v23, v35, v34, v23
.LBB664_115:                            ;   in Loop: Header=BB664_15 Depth=1
	s_or_b64 exec, exec, s[10:11]
.LBB664_116:                            ;   in Loop: Header=BB664_15 Depth=1
	s_or_b64 exec, exec, s[6:7]
.LBB664_117:                            ;   in Loop: Header=BB664_15 Depth=1
	s_or_b64 exec, exec, s[4:5]
	v_lshrrev_b16_e32 v34, 8, v32
	v_cmp_ne_u16_e32 vcc, 0, v34
	v_mov_b32_e32 v35, 0
	v_mov_b32_e32 v36, 0
	s_and_saveexec_b64 s[4:5], vcc
	s_cbranch_execz .LBB664_123
; %bb.118:                              ;   in Loop: Header=BB664_15 Depth=1
	v_cmp_ne_u16_e32 vcc, s13, v34
	v_bfrev_b32_e32 v36, 1
	s_and_saveexec_b64 s[6:7], vcc
	s_cbranch_execz .LBB664_122
; %bb.119:                              ;   in Loop: Header=BB664_15 Depth=1
	v_and_b32_e32 v37, 0x7f, v34
	v_cmp_ne_u32_e32 vcc, s14, v37
	v_mov_b32_e32 v36, 0x7f800001
	s_and_saveexec_b64 s[10:11], vcc
	s_cbranch_execz .LBB664_121
; %bb.120:                              ;   in Loop: Header=BB664_15 Depth=1
	v_and_b32_e32 v36, 7, v34
	v_ffbh_u32_e32 v40, v36
	v_min_u32_e32 v40, 32, v40
	v_subrev_u32_e32 v42, 28, v40
	v_lshlrev_b64 v[42:43], v42, v[34:35]
	v_lshrrev_b32_e32 v38, 3, v37
	v_sub_u32_e32 v34, 29, v40
	v_and_b32_e32 v40, 7, v42
	v_cmp_gt_u32_e32 vcc, 8, v37
	v_cndmask_b32_e32 v34, v38, v34, vcc
	v_cndmask_b32_e32 v36, v36, v40, vcc
	v_lshlrev_b32_e32 v37, 16, v32
	v_lshlrev_b32_e32 v36, 20, v36
	v_and_b32_e32 v37, 0x80000000, v37
	v_lshl_add_u32 v34, v34, 23, v33
	v_or3_b32 v36, v37, v34, v36
.LBB664_121:                            ;   in Loop: Header=BB664_15 Depth=1
	s_or_b64 exec, exec, s[10:11]
.LBB664_122:                            ;   in Loop: Header=BB664_15 Depth=1
	s_or_b64 exec, exec, s[6:7]
.LBB664_123:                            ;   in Loop: Header=BB664_15 Depth=1
	s_or_b64 exec, exec, s[4:5]
	v_lshrrev_b32_e32 v34, 16, v32
	v_cmp_ne_u16_sdwa s[6:7], v34, v29 src0_sel:BYTE_0 src1_sel:DWORD
	s_and_saveexec_b64 s[4:5], s[6:7]
	s_cbranch_execz .LBB664_129
; %bb.124:                              ;   in Loop: Header=BB664_15 Depth=1
	v_cmp_ne_u16_sdwa s[10:11], v34, s13 src0_sel:BYTE_0 src1_sel:DWORD
	v_bfrev_b32_e32 v35, 1
	s_and_saveexec_b64 s[6:7], s[10:11]
	s_cbranch_execz .LBB664_128
; %bb.125:                              ;   in Loop: Header=BB664_15 Depth=1
	v_bfe_u32 v37, v32, 16, 7
	v_cmp_ne_u32_e32 vcc, s14, v37
	v_mov_b32_e32 v35, 0x7f800001
	s_and_saveexec_b64 s[10:11], vcc
	s_cbranch_execz .LBB664_127
; %bb.126:                              ;   in Loop: Header=BB664_15 Depth=1
	v_and_b32_e32 v35, 7, v34
	v_ffbh_u32_e32 v40, v35
	v_min_u32_e32 v40, 32, v40
	v_subrev_u32_e32 v42, 28, v40
	v_lshlrev_b64 v[42:43], v42, v[34:35]
	v_lshrrev_b32_e32 v38, 3, v37
	v_sub_u32_e32 v40, 29, v40
	v_and_b32_e32 v42, 7, v42
	v_cmp_gt_u32_e32 vcc, 8, v37
	v_cndmask_b32_e32 v37, v38, v40, vcc
	v_cndmask_b32_e32 v35, v35, v42, vcc
	v_lshlrev_b32_e32 v34, 24, v34
	v_lshlrev_b32_e32 v35, 20, v35
	v_and_b32_e32 v34, 0x80000000, v34
	v_lshl_add_u32 v37, v37, 23, v33
	v_or3_b32 v35, v34, v37, v35
.LBB664_127:                            ;   in Loop: Header=BB664_15 Depth=1
	s_or_b64 exec, exec, s[10:11]
.LBB664_128:                            ;   in Loop: Header=BB664_15 Depth=1
	s_or_b64 exec, exec, s[6:7]
.LBB664_129:                            ;   in Loop: Header=BB664_15 Depth=1
	s_or_b64 exec, exec, s[4:5]
	v_cmp_lt_u32_e32 vcc, s15, v32
	v_mov_b32_e32 v37, 0
	v_mov_b32_e32 v38, 0
	s_and_saveexec_b64 s[4:5], vcc
	s_cbranch_execz .LBB664_135
; %bb.130:                              ;   in Loop: Header=BB664_15 Depth=1
	v_lshrrev_b32_e32 v34, 24, v32
	v_cmp_ne_u32_e32 vcc, s13, v34
	v_bfrev_b32_e32 v38, 1
	s_and_saveexec_b64 s[6:7], vcc
	s_cbranch_execz .LBB664_134
; %bb.131:                              ;   in Loop: Header=BB664_15 Depth=1
	v_bfe_u32 v32, v32, 24, 7
	v_cmp_ne_u32_e32 vcc, s14, v32
	v_mov_b32_e32 v38, 0x7f800001
	s_and_saveexec_b64 s[10:11], vcc
	s_cbranch_execz .LBB664_133
; %bb.132:                              ;   in Loop: Header=BB664_15 Depth=1
	v_and_b32_e32 v38, 7, v34
	v_ffbh_u32_e32 v42, v38
	v_min_u32_e32 v44, 32, v42
	v_subrev_u32_e32 v42, 28, v44
	v_lshlrev_b64 v[42:43], v42, v[34:35]
	v_lshrrev_b32_e32 v40, 3, v32
	v_sub_u32_e32 v43, 29, v44
	v_and_b32_e32 v42, 7, v42
	v_cmp_gt_u32_e32 vcc, 8, v32
	v_cndmask_b32_e32 v32, v40, v43, vcc
	v_cndmask_b32_e32 v38, v38, v42, vcc
	v_lshlrev_b32_e32 v34, 24, v34
	v_lshlrev_b32_e32 v38, 20, v38
	v_and_b32_e32 v34, 0x80000000, v34
	v_lshl_add_u32 v32, v32, 23, v33
	v_or3_b32 v38, v34, v32, v38
.LBB664_133:                            ;   in Loop: Header=BB664_15 Depth=1
	s_or_b64 exec, exec, s[10:11]
.LBB664_134:                            ;   in Loop: Header=BB664_15 Depth=1
	s_or_b64 exec, exec, s[6:7]
.LBB664_135:                            ;   in Loop: Header=BB664_15 Depth=1
	s_or_b64 exec, exec, s[4:5]
	s_waitcnt vmcnt(2)
	v_cmp_ne_u16_sdwa s[6:7], v30, v29 src0_sel:BYTE_0 src1_sel:DWORD
	s_and_saveexec_b64 s[4:5], s[6:7]
	s_cbranch_execz .LBB664_141
; %bb.136:                              ;   in Loop: Header=BB664_15 Depth=1
	v_cmp_ne_u16_sdwa s[10:11], v30, s13 src0_sel:BYTE_0 src1_sel:DWORD
	v_bfrev_b32_e32 v37, 1
	s_and_saveexec_b64 s[6:7], s[10:11]
	s_cbranch_execz .LBB664_140
; %bb.137:                              ;   in Loop: Header=BB664_15 Depth=1
	v_and_b32_e32 v32, 0x7f, v30
	v_cmp_ne_u32_e32 vcc, s14, v32
	v_mov_b32_e32 v37, 0x7f800001
	s_and_saveexec_b64 s[10:11], vcc
	s_cbranch_execz .LBB664_139
; %bb.138:                              ;   in Loop: Header=BB664_15 Depth=1
	v_and_b32_e32 v34, 7, v30
	v_ffbh_u32_e32 v40, v34
	v_min_u32_e32 v40, 32, v40
	v_subrev_u32_e32 v42, 28, v40
	v_lshlrev_b64 v[42:43], v42, v[30:31]
	v_lshrrev_b32_e32 v37, 3, v32
	v_sub_u32_e32 v40, 29, v40
	v_and_b32_e32 v42, 7, v42
	v_cmp_gt_u32_e32 vcc, 8, v32
	v_cndmask_b32_e32 v32, v37, v40, vcc
	v_cndmask_b32_e32 v34, v34, v42, vcc
	v_lshlrev_b32_e32 v37, 24, v30
	v_lshlrev_b32_e32 v34, 20, v34
	v_and_b32_e32 v37, 0x80000000, v37
	v_lshl_add_u32 v32, v32, 23, v33
	v_or3_b32 v37, v37, v32, v34
.LBB664_139:                            ;   in Loop: Header=BB664_15 Depth=1
	s_or_b64 exec, exec, s[10:11]
.LBB664_140:                            ;   in Loop: Header=BB664_15 Depth=1
	s_or_b64 exec, exec, s[6:7]
.LBB664_141:                            ;   in Loop: Header=BB664_15 Depth=1
	s_or_b64 exec, exec, s[4:5]
	v_lshrrev_b16_e32 v32, 8, v30
	v_cmp_ne_u16_e32 vcc, 0, v32
	v_mov_b32_e32 v40, 0
	v_mov_b32_e32 v42, 0
	s_and_saveexec_b64 s[4:5], vcc
	s_cbranch_execz .LBB664_147
; %bb.142:                              ;   in Loop: Header=BB664_15 Depth=1
	v_cmp_ne_u16_e32 vcc, s13, v32
	v_bfrev_b32_e32 v42, 1
	s_and_saveexec_b64 s[6:7], vcc
	s_cbranch_execz .LBB664_146
; %bb.143:                              ;   in Loop: Header=BB664_15 Depth=1
	v_and_b32_e32 v34, 0x7f, v32
	v_cmp_ne_u32_e32 vcc, s14, v34
	v_mov_b32_e32 v42, 0x7f800001
	s_and_saveexec_b64 s[10:11], vcc
	s_cbranch_execz .LBB664_145
; %bb.144:                              ;   in Loop: Header=BB664_15 Depth=1
	v_and_b32_e32 v44, 7, v32
	v_ffbh_u32_e32 v42, v44
	v_min_u32_e32 v46, 32, v42
	v_subrev_u32_e32 v42, 28, v46
	v_lshlrev_b64 v[42:43], v42, v[32:33]
	v_lshrrev_b32_e32 v45, 3, v34
	v_sub_u32_e32 v32, 29, v46
	v_and_b32_e32 v42, 7, v42
	v_cmp_gt_u32_e32 vcc, 8, v34
	v_cndmask_b32_e32 v32, v45, v32, vcc
	v_cndmask_b32_e32 v34, v44, v42, vcc
	v_lshlrev_b32_e32 v42, 16, v30
	v_lshlrev_b32_e32 v34, 20, v34
	v_and_b32_e32 v42, 0x80000000, v42
	v_lshl_add_u32 v32, v32, 23, v33
	v_or3_b32 v42, v42, v32, v34
.LBB664_145:                            ;   in Loop: Header=BB664_15 Depth=1
	s_or_b64 exec, exec, s[10:11]
.LBB664_146:                            ;   in Loop: Header=BB664_15 Depth=1
	s_or_b64 exec, exec, s[6:7]
.LBB664_147:                            ;   in Loop: Header=BB664_15 Depth=1
	s_or_b64 exec, exec, s[4:5]
	v_lshrrev_b32_e32 v32, 16, v30
	v_cmp_ne_u16_sdwa s[6:7], v32, v29 src0_sel:BYTE_0 src1_sel:DWORD
	s_and_saveexec_b64 s[4:5], s[6:7]
	s_cbranch_execz .LBB664_153
; %bb.148:                              ;   in Loop: Header=BB664_15 Depth=1
	v_cmp_ne_u16_sdwa s[10:11], v32, s13 src0_sel:BYTE_0 src1_sel:DWORD
	v_bfrev_b32_e32 v40, 1
	s_and_saveexec_b64 s[6:7], s[10:11]
	s_cbranch_execz .LBB664_152
; %bb.149:                              ;   in Loop: Header=BB664_15 Depth=1
	v_bfe_u32 v34, v30, 16, 7
	v_cmp_ne_u32_e32 vcc, s14, v34
	v_mov_b32_e32 v40, 0x7f800001
	s_and_saveexec_b64 s[10:11], vcc
	s_cbranch_execz .LBB664_151
; %bb.150:                              ;   in Loop: Header=BB664_15 Depth=1
	v_and_b32_e32 v40, 7, v32
	v_ffbh_u32_e32 v44, v40
	v_min_u32_e32 v46, 32, v44
	v_subrev_u32_e32 v44, 28, v46
	v_lshlrev_b64 v[44:45], v44, v[32:33]
	v_lshrrev_b32_e32 v43, 3, v34
	v_sub_u32_e32 v45, 29, v46
	v_and_b32_e32 v44, 7, v44
	v_cmp_gt_u32_e32 vcc, 8, v34
	v_cndmask_b32_e32 v34, v43, v45, vcc
	v_cndmask_b32_e32 v40, v40, v44, vcc
	v_lshlrev_b32_e32 v32, 24, v32
	v_lshlrev_b32_e32 v40, 20, v40
	v_and_b32_e32 v32, 0x80000000, v32
	v_lshl_add_u32 v34, v34, 23, v33
	v_or3_b32 v40, v32, v34, v40
.LBB664_151:                            ;   in Loop: Header=BB664_15 Depth=1
	s_or_b64 exec, exec, s[10:11]
.LBB664_152:                            ;   in Loop: Header=BB664_15 Depth=1
	s_or_b64 exec, exec, s[6:7]
.LBB664_153:                            ;   in Loop: Header=BB664_15 Depth=1
	s_or_b64 exec, exec, s[4:5]
	v_cmp_lt_u32_e32 vcc, s15, v30
	v_mov_b32_e32 v34, 0
	v_mov_b32_e32 v43, 0
	s_and_saveexec_b64 s[4:5], vcc
	s_cbranch_execz .LBB664_159
; %bb.154:                              ;   in Loop: Header=BB664_15 Depth=1
	v_lshrrev_b32_e32 v32, 24, v30
	v_cmp_ne_u32_e32 vcc, s13, v32
	v_bfrev_b32_e32 v43, 1
	s_and_saveexec_b64 s[6:7], vcc
	s_cbranch_execz .LBB664_158
; %bb.155:                              ;   in Loop: Header=BB664_15 Depth=1
	v_bfe_u32 v30, v30, 24, 7
	v_cmp_ne_u32_e32 vcc, s14, v30
	v_mov_b32_e32 v43, 0x7f800001
	s_and_saveexec_b64 s[10:11], vcc
	s_cbranch_execz .LBB664_157
; %bb.156:                              ;   in Loop: Header=BB664_15 Depth=1
	v_and_b32_e32 v43, 7, v32
	v_ffbh_u32_e32 v44, v43
	v_min_u32_e32 v47, 32, v44
	v_subrev_u32_e32 v44, 28, v47
	v_lshlrev_b64 v[44:45], v44, v[32:33]
	v_lshrrev_b32_e32 v46, 3, v30
	v_sub_u32_e32 v45, 29, v47
	v_and_b32_e32 v44, 7, v44
	v_cmp_gt_u32_e32 vcc, 8, v30
	v_cndmask_b32_e32 v30, v46, v45, vcc
	v_cndmask_b32_e32 v43, v43, v44, vcc
	v_lshlrev_b32_e32 v32, 24, v32
	v_lshlrev_b32_e32 v43, 20, v43
	v_and_b32_e32 v32, 0x80000000, v32
	v_lshl_add_u32 v30, v30, 23, v33
	v_or3_b32 v43, v32, v30, v43
.LBB664_157:                            ;   in Loop: Header=BB664_15 Depth=1
	s_or_b64 exec, exec, s[10:11]
.LBB664_158:                            ;   in Loop: Header=BB664_15 Depth=1
	s_or_b64 exec, exec, s[6:7]
.LBB664_159:                            ;   in Loop: Header=BB664_15 Depth=1
	s_or_b64 exec, exec, s[4:5]
	v_cvt_pkrtz_f16_f32 v44, v23, v36
	v_cvt_pkrtz_f16_f32 v45, v35, v38
	;; [unrolled: 1-line block ×4, first 2 shown]
	s_waitcnt vmcnt(1)
	v_cmp_ne_u16_sdwa s[6:7], v28, v29 src0_sel:BYTE_0 src1_sel:DWORD
	v_mfma_f32_16x16x16f16 v[18:21], v[44:45], v[10:11], v[18:21]
	v_mfma_f32_16x16x16f16 v[18:21], v[36:37], v[12:13], v[18:21]
	s_and_saveexec_b64 s[4:5], s[6:7]
	s_cbranch_execz .LBB664_165
; %bb.160:                              ;   in Loop: Header=BB664_15 Depth=1
	v_cmp_ne_u16_sdwa s[10:11], v28, s13 src0_sel:BYTE_0 src1_sel:DWORD
	v_bfrev_b32_e32 v34, 1
	s_and_saveexec_b64 s[6:7], s[10:11]
	s_cbranch_execz .LBB664_164
; %bb.161:                              ;   in Loop: Header=BB664_15 Depth=1
	v_and_b32_e32 v23, 0x7f, v28
	v_cmp_ne_u32_e32 vcc, s14, v23
	v_mov_b32_e32 v34, 0x7f800001
	s_and_saveexec_b64 s[10:11], vcc
	s_cbranch_execz .LBB664_163
; %bb.162:                              ;   in Loop: Header=BB664_15 Depth=1
	v_and_b32_e32 v30, 7, v28
	v_ffbh_u32_e32 v34, v30
	v_min_u32_e32 v36, 32, v34
	v_subrev_u32_e32 v34, 28, v36
	v_lshlrev_b64 v[34:35], v34, v[28:29]
	v_lshrrev_b32_e32 v32, 3, v23
	v_sub_u32_e32 v35, 29, v36
	v_and_b32_e32 v34, 7, v34
	v_cmp_gt_u32_e32 vcc, 8, v23
	v_cndmask_b32_e32 v23, v32, v35, vcc
	v_cndmask_b32_e32 v30, v30, v34, vcc
	v_lshlrev_b32_e32 v32, 24, v28
	v_lshlrev_b32_e32 v30, 20, v30
	v_and_b32_e32 v32, 0x80000000, v32
	v_lshl_add_u32 v23, v23, 23, v33
	v_or3_b32 v34, v32, v23, v30
.LBB664_163:                            ;   in Loop: Header=BB664_15 Depth=1
	s_or_b64 exec, exec, s[10:11]
.LBB664_164:                            ;   in Loop: Header=BB664_15 Depth=1
	s_or_b64 exec, exec, s[6:7]
.LBB664_165:                            ;   in Loop: Header=BB664_15 Depth=1
	s_or_b64 exec, exec, s[4:5]
	v_lshrrev_b16_e32 v30, 8, v28
	v_cmp_ne_u16_e32 vcc, 0, v30
	v_mov_b32_e32 v23, 0
	v_mov_b32_e32 v32, 0
	s_and_saveexec_b64 s[4:5], vcc
	s_cbranch_execz .LBB664_171
; %bb.166:                              ;   in Loop: Header=BB664_15 Depth=1
	v_cmp_ne_u16_e32 vcc, s13, v30
	v_bfrev_b32_e32 v32, 1
	s_and_saveexec_b64 s[6:7], vcc
	s_cbranch_execz .LBB664_170
; %bb.167:                              ;   in Loop: Header=BB664_15 Depth=1
	v_and_b32_e32 v35, 0x7f, v30
	v_cmp_ne_u32_e32 vcc, s14, v35
	v_mov_b32_e32 v32, 0x7f800001
	s_and_saveexec_b64 s[10:11], vcc
	s_cbranch_execz .LBB664_169
; %bb.168:                              ;   in Loop: Header=BB664_15 Depth=1
	v_and_b32_e32 v32, 7, v30
	v_ffbh_u32_e32 v36, v32
	v_min_u32_e32 v40, 32, v36
	v_subrev_u32_e32 v36, 28, v40
	v_lshlrev_b64 v[36:37], v36, v[30:31]
	v_lshrrev_b32_e32 v38, 3, v35
	v_sub_u32_e32 v30, 29, v40
	v_and_b32_e32 v36, 7, v36
	v_cmp_gt_u32_e32 vcc, 8, v35
	v_cndmask_b32_e32 v30, v38, v30, vcc
	v_cndmask_b32_e32 v32, v32, v36, vcc
	v_lshlrev_b32_e32 v35, 16, v28
	v_lshlrev_b32_e32 v32, 20, v32
	v_and_b32_e32 v35, 0x80000000, v35
	v_lshl_add_u32 v30, v30, 23, v33
	v_or3_b32 v32, v35, v30, v32
.LBB664_169:                            ;   in Loop: Header=BB664_15 Depth=1
	s_or_b64 exec, exec, s[10:11]
.LBB664_170:                            ;   in Loop: Header=BB664_15 Depth=1
	s_or_b64 exec, exec, s[6:7]
.LBB664_171:                            ;   in Loop: Header=BB664_15 Depth=1
	s_or_b64 exec, exec, s[4:5]
	v_lshrrev_b32_e32 v30, 16, v28
	v_cmp_ne_u16_sdwa s[6:7], v30, v29 src0_sel:BYTE_0 src1_sel:DWORD
	s_and_saveexec_b64 s[4:5], s[6:7]
	s_cbranch_execz .LBB664_177
; %bb.172:                              ;   in Loop: Header=BB664_15 Depth=1
	v_cmp_ne_u16_sdwa s[10:11], v30, s13 src0_sel:BYTE_0 src1_sel:DWORD
	v_bfrev_b32_e32 v23, 1
	s_and_saveexec_b64 s[6:7], s[10:11]
	s_cbranch_execz .LBB664_176
; %bb.173:                              ;   in Loop: Header=BB664_15 Depth=1
	v_bfe_u32 v35, v28, 16, 7
	v_cmp_ne_u32_e32 vcc, s14, v35
	v_mov_b32_e32 v23, 0x7f800001
	s_and_saveexec_b64 s[10:11], vcc
	s_cbranch_execz .LBB664_175
; %bb.174:                              ;   in Loop: Header=BB664_15 Depth=1
	v_and_b32_e32 v23, 7, v30
	v_ffbh_u32_e32 v36, v23
	v_min_u32_e32 v40, 32, v36
	v_subrev_u32_e32 v36, 28, v40
	v_lshlrev_b64 v[36:37], v36, v[30:31]
	v_lshrrev_b32_e32 v38, 3, v35
	v_sub_u32_e32 v37, 29, v40
	v_and_b32_e32 v36, 7, v36
	v_cmp_gt_u32_e32 vcc, 8, v35
	v_cndmask_b32_e32 v35, v38, v37, vcc
	v_cndmask_b32_e32 v23, v23, v36, vcc
	v_lshlrev_b32_e32 v30, 24, v30
	v_lshlrev_b32_e32 v23, 20, v23
	v_and_b32_e32 v30, 0x80000000, v30
	v_lshl_add_u32 v35, v35, 23, v33
	v_or3_b32 v23, v30, v35, v23
.LBB664_175:                            ;   in Loop: Header=BB664_15 Depth=1
	s_or_b64 exec, exec, s[10:11]
.LBB664_176:                            ;   in Loop: Header=BB664_15 Depth=1
	s_or_b64 exec, exec, s[6:7]
.LBB664_177:                            ;   in Loop: Header=BB664_15 Depth=1
	s_or_b64 exec, exec, s[4:5]
	v_cmp_lt_u32_e32 vcc, s15, v28
	v_mov_b32_e32 v35, 0
	v_mov_b32_e32 v36, 0
	s_and_saveexec_b64 s[4:5], vcc
	s_cbranch_execz .LBB664_183
; %bb.178:                              ;   in Loop: Header=BB664_15 Depth=1
	v_lshrrev_b32_e32 v30, 24, v28
	v_cmp_ne_u32_e32 vcc, s13, v30
	v_bfrev_b32_e32 v36, 1
	s_and_saveexec_b64 s[6:7], vcc
	s_cbranch_execz .LBB664_182
; %bb.179:                              ;   in Loop: Header=BB664_15 Depth=1
	v_bfe_u32 v28, v28, 24, 7
	v_cmp_ne_u32_e32 vcc, s14, v28
	v_mov_b32_e32 v36, 0x7f800001
	s_and_saveexec_b64 s[10:11], vcc
	s_cbranch_execz .LBB664_181
; %bb.180:                              ;   in Loop: Header=BB664_15 Depth=1
	v_and_b32_e32 v38, 7, v30
	v_ffbh_u32_e32 v36, v38
	v_min_u32_e32 v42, 32, v36
	v_subrev_u32_e32 v36, 28, v42
	v_lshlrev_b64 v[36:37], v36, v[30:31]
	v_lshrrev_b32_e32 v40, 3, v28
	v_sub_u32_e32 v37, 29, v42
	v_and_b32_e32 v36, 7, v36
	v_cmp_gt_u32_e32 vcc, 8, v28
	v_cndmask_b32_e32 v28, v40, v37, vcc
	v_cndmask_b32_e32 v36, v38, v36, vcc
	v_lshlrev_b32_e32 v30, 24, v30
	v_lshlrev_b32_e32 v36, 20, v36
	v_and_b32_e32 v30, 0x80000000, v30
	v_lshl_add_u32 v28, v28, 23, v33
	v_or3_b32 v36, v30, v28, v36
.LBB664_181:                            ;   in Loop: Header=BB664_15 Depth=1
	s_or_b64 exec, exec, s[10:11]
.LBB664_182:                            ;   in Loop: Header=BB664_15 Depth=1
	s_or_b64 exec, exec, s[6:7]
.LBB664_183:                            ;   in Loop: Header=BB664_15 Depth=1
	s_or_b64 exec, exec, s[4:5]
	s_waitcnt vmcnt(0)
	v_cmp_ne_u16_sdwa s[6:7], v26, v29 src0_sel:BYTE_0 src1_sel:DWORD
	s_and_saveexec_b64 s[4:5], s[6:7]
	s_cbranch_execz .LBB664_189
; %bb.184:                              ;   in Loop: Header=BB664_15 Depth=1
	v_cmp_ne_u16_sdwa s[10:11], v26, s13 src0_sel:BYTE_0 src1_sel:DWORD
	v_bfrev_b32_e32 v35, 1
	s_and_saveexec_b64 s[6:7], s[10:11]
	s_cbranch_execz .LBB664_188
; %bb.185:                              ;   in Loop: Header=BB664_15 Depth=1
	v_and_b32_e32 v28, 0x7f, v26
	v_cmp_ne_u32_e32 vcc, s14, v28
	v_mov_b32_e32 v35, 0x7f800001
	s_and_saveexec_b64 s[10:11], vcc
	s_cbranch_execz .LBB664_187
; %bb.186:                              ;   in Loop: Header=BB664_15 Depth=1
	v_and_b32_e32 v30, 7, v26
	v_ffbh_u32_e32 v37, v30
	v_min_u32_e32 v37, 32, v37
	v_subrev_u32_e32 v38, 28, v37
	v_lshlrev_b64 v[42:43], v38, v[26:27]
	v_lshrrev_b32_e32 v35, 3, v28
	v_sub_u32_e32 v37, 29, v37
	v_and_b32_e32 v38, 7, v42
	v_cmp_gt_u32_e32 vcc, 8, v28
	v_cndmask_b32_e32 v28, v35, v37, vcc
	v_cndmask_b32_e32 v30, v30, v38, vcc
	v_lshlrev_b32_e32 v35, 24, v26
	v_lshlrev_b32_e32 v30, 20, v30
	v_and_b32_e32 v35, 0x80000000, v35
	v_lshl_add_u32 v28, v28, 23, v33
	v_or3_b32 v35, v35, v28, v30
.LBB664_187:                            ;   in Loop: Header=BB664_15 Depth=1
	s_or_b64 exec, exec, s[10:11]
.LBB664_188:                            ;   in Loop: Header=BB664_15 Depth=1
	s_or_b64 exec, exec, s[6:7]
.LBB664_189:                            ;   in Loop: Header=BB664_15 Depth=1
	s_or_b64 exec, exec, s[4:5]
	v_lshrrev_b16_e32 v28, 8, v26
	v_cmp_ne_u16_e32 vcc, 0, v28
	v_mov_b32_e32 v30, 0
	v_mov_b32_e32 v37, 0
	s_and_saveexec_b64 s[4:5], vcc
	s_cbranch_execz .LBB664_195
; %bb.190:                              ;   in Loop: Header=BB664_15 Depth=1
	v_cmp_ne_u16_e32 vcc, s13, v28
	v_bfrev_b32_e32 v37, 1
	s_and_saveexec_b64 s[6:7], vcc
	s_cbranch_execz .LBB664_194
; %bb.191:                              ;   in Loop: Header=BB664_15 Depth=1
	v_and_b32_e32 v38, 0x7f, v28
	v_cmp_ne_u32_e32 vcc, s14, v38
	v_mov_b32_e32 v37, 0x7f800001
	s_and_saveexec_b64 s[10:11], vcc
	s_cbranch_execz .LBB664_193
; %bb.192:                              ;   in Loop: Header=BB664_15 Depth=1
	v_and_b32_e32 v37, 7, v28
	v_ffbh_u32_e32 v42, v37
	v_min_u32_e32 v44, 32, v42
	v_subrev_u32_e32 v42, 28, v44
	v_lshlrev_b64 v[42:43], v42, v[28:29]
	v_lshrrev_b32_e32 v40, 3, v38
	v_sub_u32_e32 v28, 29, v44
	v_and_b32_e32 v42, 7, v42
	v_cmp_gt_u32_e32 vcc, 8, v38
	v_cndmask_b32_e32 v28, v40, v28, vcc
	v_cndmask_b32_e32 v37, v37, v42, vcc
	v_lshlrev_b32_e32 v38, 16, v26
	v_lshlrev_b32_e32 v37, 20, v37
	v_and_b32_e32 v38, 0x80000000, v38
	v_lshl_add_u32 v28, v28, 23, v33
	v_or3_b32 v37, v38, v28, v37
.LBB664_193:                            ;   in Loop: Header=BB664_15 Depth=1
	s_or_b64 exec, exec, s[10:11]
.LBB664_194:                            ;   in Loop: Header=BB664_15 Depth=1
	s_or_b64 exec, exec, s[6:7]
.LBB664_195:                            ;   in Loop: Header=BB664_15 Depth=1
	s_or_b64 exec, exec, s[4:5]
	v_lshrrev_b32_e32 v28, 16, v26
	v_cmp_ne_u16_sdwa s[6:7], v28, v29 src0_sel:BYTE_0 src1_sel:DWORD
	s_and_saveexec_b64 s[4:5], s[6:7]
	s_cbranch_execz .LBB664_201
; %bb.196:                              ;   in Loop: Header=BB664_15 Depth=1
	v_cmp_ne_u16_sdwa s[10:11], v28, s13 src0_sel:BYTE_0 src1_sel:DWORD
	v_bfrev_b32_e32 v30, 1
	s_and_saveexec_b64 s[6:7], s[10:11]
	s_cbranch_execz .LBB664_200
; %bb.197:                              ;   in Loop: Header=BB664_15 Depth=1
	v_bfe_u32 v38, v26, 16, 7
	v_cmp_ne_u32_e32 vcc, s14, v38
	v_mov_b32_e32 v30, 0x7f800001
	s_and_saveexec_b64 s[10:11], vcc
	s_cbranch_execz .LBB664_199
; %bb.198:                              ;   in Loop: Header=BB664_15 Depth=1
	v_and_b32_e32 v30, 7, v28
	v_ffbh_u32_e32 v42, v30
	v_min_u32_e32 v44, 32, v42
	v_subrev_u32_e32 v42, 28, v44
	v_lshlrev_b64 v[42:43], v42, v[28:29]
	v_lshrrev_b32_e32 v40, 3, v38
	v_sub_u32_e32 v43, 29, v44
	v_and_b32_e32 v42, 7, v42
	v_cmp_gt_u32_e32 vcc, 8, v38
	v_cndmask_b32_e32 v38, v40, v43, vcc
	v_cndmask_b32_e32 v30, v30, v42, vcc
	v_lshlrev_b32_e32 v28, 24, v28
	v_lshlrev_b32_e32 v30, 20, v30
	v_and_b32_e32 v28, 0x80000000, v28
	v_lshl_add_u32 v38, v38, 23, v33
	v_or3_b32 v30, v28, v38, v30
.LBB664_199:                            ;   in Loop: Header=BB664_15 Depth=1
	s_or_b64 exec, exec, s[10:11]
.LBB664_200:                            ;   in Loop: Header=BB664_15 Depth=1
	s_or_b64 exec, exec, s[6:7]
.LBB664_201:                            ;   in Loop: Header=BB664_15 Depth=1
	s_or_b64 exec, exec, s[4:5]
	v_cmp_lt_u32_e32 vcc, s15, v26
	v_mov_b32_e32 v38, 0
	s_and_saveexec_b64 s[4:5], vcc
	s_cbranch_execz .LBB664_14
; %bb.202:                              ;   in Loop: Header=BB664_15 Depth=1
	v_lshrrev_b32_e32 v28, 24, v26
	v_cmp_ne_u32_e32 vcc, s13, v28
	v_bfrev_b32_e32 v38, 1
	s_and_saveexec_b64 s[6:7], vcc
	s_cbranch_execz .LBB664_13
; %bb.203:                              ;   in Loop: Header=BB664_15 Depth=1
	v_bfe_u32 v26, v26, 24, 7
	v_cmp_ne_u32_e32 vcc, s14, v26
	v_mov_b32_e32 v38, 0x7f800001
	s_and_saveexec_b64 s[10:11], vcc
	s_cbranch_execz .LBB664_12
; %bb.204:                              ;   in Loop: Header=BB664_15 Depth=1
	v_and_b32_e32 v38, 7, v28
	v_ffbh_u32_e32 v42, v38
	v_min_u32_e32 v44, 32, v42
	v_subrev_u32_e32 v42, 28, v44
	v_lshlrev_b64 v[42:43], v42, v[28:29]
	v_lshrrev_b32_e32 v40, 3, v26
	v_sub_u32_e32 v43, 29, v44
	v_and_b32_e32 v42, 7, v42
	v_cmp_gt_u32_e32 vcc, 8, v26
	v_cndmask_b32_e32 v26, v40, v43, vcc
	v_cndmask_b32_e32 v38, v38, v42, vcc
	v_lshlrev_b32_e32 v28, 24, v28
	v_lshlrev_b32_e32 v38, 20, v38
	v_and_b32_e32 v28, 0x80000000, v28
	v_lshl_add_u32 v26, v26, 23, v33
	v_or3_b32 v38, v28, v26, v38
	s_branch .LBB664_12
.LBB664_205:
	buffer_load_dword v13, off, s[0:3], 0 offset:256
	buffer_load_dword v14, off, s[0:3], 0 offset:260
	buffer_load_dword v15, off, s[0:3], 0 offset:264
	buffer_load_dword v16, off, s[0:3], 0 offset:268
	buffer_load_dword v17, off, s[0:3], 0 offset:272
	buffer_load_dword v18, off, s[0:3], 0 offset:276
	buffer_load_dword v11, off, s[0:3], 0 offset:280
	buffer_load_dword v10, off, s[0:3], 0 offset:284
	buffer_load_dword v9, off, s[0:3], 0 offset:288
	buffer_load_dword v8, off, s[0:3], 0 offset:292
	buffer_load_dword v7, off, s[0:3], 0 offset:296
	buffer_load_dword v6, off, s[0:3], 0 offset:300
	buffer_load_dword v5, off, s[0:3], 0 offset:304
	buffer_load_dword v4, off, s[0:3], 0 offset:308
	buffer_load_dword v3, off, s[0:3], 0 offset:312
	buffer_load_dword v2, off, s[0:3], 0 offset:316
	v_and_b32_e32 v12, 0xc0, v0
	v_add_u32_e32 v12, s20, v12
	v_lshl_or_b32 v12, v1, 2, v12
	v_or_b32_e32 v23, 1, v12
	v_mov_b32_e32 v19, 0xff7fffff
	v_or_b32_e32 v24, 2, v12
	v_or_b32_e32 v25, 3, v12
	v_cmp_gt_i32_e64 s[26:27], s33, v12
	v_cmp_gt_i32_e64 s[28:29], s33, v23
	s_mov_b32 s52, 0xff7fffff
	v_or_b32_e32 v26, 16, v12
	v_or_b32_e32 v27, 17, v12
	;; [unrolled: 1-line block ×12, first 2 shown]
	v_cmp_gt_i32_e64 s[30:31], s33, v24
	v_cmp_gt_i32_e64 s[34:35], s33, v25
	v_mbcnt_lo_u32_b32 v20, -1, 0
	v_cmp_gt_i32_e64 s[36:37], s33, v26
	v_cmp_gt_i32_e64 s[38:39], s33, v27
	v_mbcnt_hi_u32_b32 v20, -1, v20
	v_cmp_gt_i32_e64 s[20:21], s33, v28
	v_cmp_gt_i32_e64 s[22:23], s33, v29
	v_and_b32_e32 v21, 64, v20
	v_cmp_gt_i32_e64 s[16:17], s33, v30
	v_cmp_gt_i32_e64 s[18:19], s33, v31
	v_xor_b32_e32 v22, 32, v20
	v_add_u32_e32 v21, 64, v21
	v_cmp_gt_i32_e64 s[12:13], s33, v32
	v_cmp_gt_i32_e64 s[14:15], s33, v33
	v_cmp_lt_i32_e32 vcc, v22, v21
	v_cmp_gt_i32_e64 s[6:7], s33, v34
	v_cmp_gt_i32_e64 s[10:11], s33, v35
	v_cndmask_b32_e32 v22, v20, v22, vcc
	v_cmp_gt_i32_e32 vcc, s33, v36
	v_cmp_gt_i32_e64 s[4:5], s33, v37
	v_lshlrev_b32_e32 v22, 2, v22
	s_waitcnt vmcnt(15)
	v_cndmask_b32_e64 v12, v19, v13, s[26:27]
	s_waitcnt vmcnt(14)
	v_cndmask_b32_e64 v23, v19, v14, s[28:29]
	;; [unrolled: 2-line block ×4, first 2 shown]
	v_max3_f32 v12, v12, s52, v23
	s_waitcnt vmcnt(11)
	v_cndmask_b32_e64 v26, v19, v17, s[36:37]
	s_waitcnt vmcnt(10)
	v_cndmask_b32_e64 v27, v19, v18, s[38:39]
	v_max3_f32 v12, v12, v24, v25
	s_waitcnt vmcnt(9)
	v_cndmask_b32_e64 v28, v19, v11, s[20:21]
	s_waitcnt vmcnt(8)
	v_cndmask_b32_e64 v29, v19, v10, s[22:23]
	;; [unrolled: 5-line block ×5, first 2 shown]
	v_max3_f32 v12, v12, v32, v33
	s_waitcnt vmcnt(1)
	v_cndmask_b32_e32 v36, v19, v3, vcc
	s_waitcnt vmcnt(0)
	v_cndmask_b32_e64 v19, v19, v2, s[4:5]
	v_max3_f32 v12, v12, v34, v35
	v_max3_f32 v12, v12, v36, v19
	ds_bpermute_b32 v19, v22, v12
	v_xor_b32_e32 v23, 16, v20
	v_cmp_lt_i32_e64 s[40:41], v23, v21
	v_cndmask_b32_e64 v20, v20, v23, s[40:41]
	v_lshlrev_b32_e32 v20, 2, v20
	s_waitcnt lgkmcnt(0)
	v_max_f32_e32 v19, v19, v19
	v_max_f32_e32 v12, v12, v19
	ds_bpermute_b32 v19, v20, v12
	s_waitcnt lgkmcnt(0)
	v_max_f32_e32 v19, v19, v19
	v_max_f32_e32 v12, v12, v19
	v_sub_f32_e32 v13, v13, v12
	v_sub_f32_e32 v14, v14, v12
	;; [unrolled: 1-line block ×3, first 2 shown]
	v_mul_f32_e32 v13, 0x3fb8aa3b, v13
	v_mul_f32_e32 v14, 0x3fb8aa3b, v14
	v_mul_f32_e32 v15, 0x3fb8aa3b, v15
	v_exp_f32_e32 v13, v13
	v_exp_f32_e32 v14, v14
	;; [unrolled: 1-line block ×3, first 2 shown]
	v_sub_f32_e32 v16, v16, v12
	v_cndmask_b32_e64 v13, 0, v13, s[26:27]
	v_mul_f32_e32 v16, 0x3fb8aa3b, v16
	v_cndmask_b32_e64 v14, 0, v14, s[28:29]
	v_cndmask_b32_e64 v15, 0, v15, s[30:31]
	v_add_f32_e32 v19, 0, v13
	buffer_store_dword v13, off, s[0:3], 0 offset:256
	buffer_store_dword v14, off, s[0:3], 0 offset:260
	;; [unrolled: 1-line block ×3, first 2 shown]
	v_sub_f32_e32 v13, v17, v12
	v_exp_f32_e32 v16, v16
	v_add_f32_e32 v19, v19, v14
	v_mul_f32_e32 v13, 0x3fb8aa3b, v13
	v_sub_f32_e32 v14, v18, v12
	v_exp_f32_e32 v13, v13
	v_mul_f32_e32 v14, 0x3fb8aa3b, v14
	v_sub_f32_e32 v11, v11, v12
	v_exp_f32_e32 v14, v14
	;; [unrolled: 3-line block ×3, first 2 shown]
	v_mul_f32_e32 v10, 0x3fb8aa3b, v10
	v_sub_f32_e32 v9, v9, v12
	v_cndmask_b32_e64 v16, 0, v16, s[34:35]
	v_add_f32_e32 v19, v19, v15
	v_exp_f32_e32 v10, v10
	v_mul_f32_e32 v9, 0x3fb8aa3b, v9
	v_sub_f32_e32 v8, v8, v12
	v_add_f32_e32 v19, v19, v16
	v_cndmask_b32_e64 v13, 0, v13, s[36:37]
	v_exp_f32_e32 v9, v9
	v_mul_f32_e32 v8, 0x3fb8aa3b, v8
	v_sub_f32_e32 v7, v7, v12
	v_add_f32_e32 v15, v19, v13
	v_cndmask_b32_e64 v14, 0, v14, s[38:39]
	;; [unrolled: 5-line block ×5, first 2 shown]
	v_exp_f32_e32 v5, v5
	v_mul_f32_e32 v4, 0x3fb8aa3b, v4
	v_sub_f32_e32 v3, v3, v12
	buffer_store_dword v16, off, s[0:3], 0 offset:268
	buffer_store_dword v13, off, s[0:3], 0 offset:272
	;; [unrolled: 1-line block ×5, first 2 shown]
	v_add_f32_e32 v10, v15, v9
	v_cndmask_b32_e64 v8, 0, v8, s[18:19]
	v_exp_f32_e32 v4, v4
	v_mul_f32_e32 v3, 0x3fb8aa3b, v3
	v_sub_f32_e32 v2, v2, v12
	v_add_f32_e32 v10, v10, v8
	v_cndmask_b32_e64 v7, 0, v7, s[12:13]
	v_exp_f32_e32 v3, v3
	v_mul_f32_e32 v2, 0x3fb8aa3b, v2
	v_add_f32_e32 v10, v10, v7
	v_cndmask_b32_e64 v6, 0, v6, s[14:15]
	v_exp_f32_e32 v2, v2
	v_add_f32_e32 v10, v10, v6
	v_cndmask_b32_e64 v5, 0, v5, s[6:7]
	buffer_store_dword v9, off, s[0:3], 0 offset:288
	buffer_store_dword v8, off, s[0:3], 0 offset:292
	;; [unrolled: 1-line block ×4, first 2 shown]
	v_add_f32_e32 v6, v10, v5
	v_cndmask_b32_e64 v4, 0, v4, s[10:11]
	v_add_f32_e32 v6, v6, v4
	v_cndmask_b32_e32 v3, 0, v3, vcc
	v_add_f32_e32 v6, v6, v3
	v_cndmask_b32_e64 v2, 0, v2, s[4:5]
	v_add_f32_e32 v6, v6, v2
	ds_bpermute_b32 v7, v22, v6
	buffer_store_dword v5, off, s[0:3], 0 offset:304
	buffer_store_dword v4, off, s[0:3], 0 offset:308
	;; [unrolled: 1-line block ×4, first 2 shown]
	v_cmp_gt_u32_e32 vcc, 16, v64
	s_waitcnt lgkmcnt(0)
	s_barrier
	v_add_f32_e32 v2, v6, v7
	ds_bpermute_b32 v3, v20, v2
	s_waitcnt lgkmcnt(0)
	s_and_saveexec_b64 s[4:5], vcc
	s_cbranch_execz .LBB664_207
; %bb.206:
	v_add_f32_e32 v2, v2, v3
	v_lshlrev_b32_e32 v3, 2, v63
	ds_write2st64_b32 v3, v12, v2 offset1:1
.LBB664_207:
	s_or_b64 exec, exec, s[4:5]
	v_lshlrev_b32_e32 v2, 2, v55
	s_waitcnt lgkmcnt(0)
	s_barrier
	ds_read2_b32 v[12:13], v2 offset1:16
	ds_read2_b32 v[14:15], v2 offset0:32 offset1:48
	ds_read2_b32 v[6:7], v2 offset0:64 offset1:80
	;; [unrolled: 1-line block ×3, first 2 shown]
	s_waitcnt lgkmcnt(0)
	s_barrier
	buffer_load_dword v20, off, s[0:3], 0 offset:256
	buffer_load_dword v21, off, s[0:3], 0 offset:260
	;; [unrolled: 1-line block ×16, first 2 shown]
	v_lshlrev_b32_e32 v19, 3, v1
	v_lshlrev_b32_e32 v18, 5, v55
	v_lshlrev_b32_e32 v28, 11, v62
	v_or3_b32 v43, v28, v18, v19
	v_max3_f32 v19, v12, s52, v13
	v_max3_f32 v19, v19, v14, v15
	v_sub_f32_e32 v12, v12, v19
	v_sub_f32_e32 v13, v13, v19
	v_mul_f32_e32 v12, 0x3fb8aa3b, v12
	v_sub_f32_e32 v14, v14, v19
	v_mul_f32_e32 v13, 0x3fb8aa3b, v13
	v_exp_f32_e32 v12, v12
	v_sub_f32_e32 v15, v15, v19
	v_mul_f32_e32 v14, 0x3fb8aa3b, v14
	v_exp_f32_e32 v13, v13
	v_mul_f32_e32 v15, 0x3fb8aa3b, v15
	v_exp_f32_e32 v14, v14
	v_exp_f32_e32 v15, v15
	v_fma_f32 v6, v12, v6, 0
	v_fmac_f32_e32 v6, v13, v7
	v_fmac_f32_e32 v6, v14, v10
	;; [unrolled: 1-line block ×3, first 2 shown]
	v_cmp_eq_u32_e32 vcc, 1, v62
	v_add_f32_e32 v10, 0x358637bd, v6
	v_cndmask_b32_e32 v12, v12, v13, vcc
	v_cmp_eq_u32_e32 vcc, 2, v62
	v_div_scale_f32 v11, s[4:5], v10, v10, 1.0
	v_cndmask_b32_e32 v7, v12, v14, vcc
	v_rcp_f32_e32 v12, v11
	v_cmp_eq_u32_e32 vcc, 3, v62
	v_cndmask_b32_e32 v7, v7, v15, vcc
	v_div_scale_f32 v13, vcc, 1.0, v10, 1.0
	v_fma_f32 v14, -v11, v12, 1.0
	v_fmac_f32_e32 v12, v14, v12
	v_mul_f32_e32 v14, v13, v12
	v_fma_f32 v15, -v11, v14, v13
	v_fmac_f32_e32 v14, v15, v12
	v_fma_f32 v11, -v11, v14, v13
	v_div_fmas_f32 v11, v11, v12, v14
	v_div_fixup_f32 v10, v11, v10, 1.0
	v_mul_f32_e32 v10, v7, v10
	s_mul_i32 s18, s51, 11
	v_cmp_gt_u32_e32 vcc, 11, v0
	s_waitcnt vmcnt(14)
	v_pk_mul_f32 v[14:15], v[10:11], v[20:21] op_sel_hi:[0,1]
	v_cvt_f16_f32_e32 v7, v14
	s_waitcnt vmcnt(12)
	v_pk_mul_f32 v[12:13], v[10:11], v[22:23] op_sel_hi:[0,1]
	buffer_store_dword v14, off, s[0:3], 0 offset:256
	buffer_store_dword v15, off, s[0:3], 0 offset:260
	;; [unrolled: 1-line block ×3, first 2 shown]
	s_waitcnt vmcnt(13)
	v_pk_mul_f32 v[20:21], v[10:11], v[24:25] op_sel_hi:[0,1]
	v_cvt_f16_f32_e32 v14, v12
	s_waitcnt vmcnt(11)
	v_pk_mul_f32 v[22:23], v[10:11], v[26:27] op_sel_hi:[0,1]
	v_cvt_f16_f32_e32 v11, v15
	v_cvt_f16_f32_e32 v15, v13
	buffer_store_dword v13, off, s[0:3], 0 offset:268
	buffer_store_dword v22, off, s[0:3], 0 offset:272
	;; [unrolled: 1-line block ×3, first 2 shown]
	v_pack_b32_f16 v12, v7, v11
	v_cvt_f16_f32_e32 v11, v23
	v_pack_b32_f16 v13, v14, v15
	v_cvt_f16_f32_e32 v7, v22
	v_cvt_f16_f32_e32 v15, v20
	;; [unrolled: 1-line block ×3, first 2 shown]
	s_waitcnt vmcnt(12)
	v_pk_mul_f32 v[4:5], v[10:11], v[4:5] op_sel_hi:[0,1]
	v_pack_b32_f16 v14, v7, v11
	s_waitcnt vmcnt(10)
	v_pk_mul_f32 v[2:3], v[10:11], v[2:3] op_sel_hi:[0,1]
	v_pack_b32_f16 v15, v15, v22
	v_cvt_f16_f32_e32 v11, v5
	buffer_store_dword v20, off, s[0:3], 0 offset:280
	buffer_store_dword v21, off, s[0:3], 0 offset:284
	ds_write2st64_b64 v43, v[12:13], v[14:15] offset1:1
	buffer_store_dword v2, off, s[0:3], 0 offset:288
	buffer_store_dword v3, off, s[0:3], 0 offset:292
	v_cvt_f16_f32_e32 v2, v2
	v_cvt_f16_f32_e32 v3, v3
	;; [unrolled: 1-line block ×3, first 2 shown]
	buffer_store_dword v4, off, s[0:3], 0 offset:296
	buffer_store_dword v5, off, s[0:3], 0 offset:300
	s_waitcnt vmcnt(12)
	v_pk_mul_f32 v[4:5], v[10:11], v[16:17] op_sel_hi:[0,1]
	v_pk_mul_f32 v[8:9], v[10:11], v[8:9] op_sel_hi:[0,1]
	v_pack_b32_f16 v2, v2, v3
	v_pack_b32_f16 v3, v7, v11
	buffer_store_dword v8, off, s[0:3], 0 offset:304
	buffer_store_dword v9, off, s[0:3], 0 offset:308
	v_cvt_f16_f32_e32 v7, v8
	v_cvt_f16_f32_e32 v8, v9
	;; [unrolled: 1-line block ×4, first 2 shown]
	buffer_store_dword v4, off, s[0:3], 0 offset:312
	buffer_store_dword v5, off, s[0:3], 0 offset:316
	v_pack_b32_f16 v4, v7, v8
	v_pack_b32_f16 v5, v9, v10
	ds_write2st64_b64 v43, v[2:3], v[4:5] offset0:2 offset1:3
	s_and_saveexec_b64 s[4:5], vcc
	s_cbranch_execz .LBB664_209
; %bb.208:
	v_add_co_u32_e32 v4, vcc, s25, v55
	v_addc_co_u32_e64 v5, s[6:7], 0, 0, vcc
	v_mov_b32_e32 v2, s18
	v_mad_u64_u32 v[4:5], s[6:7], s8, v2, v[4:5]
	v_mov_b32_e32 v3, 0
	s_mul_i32 s6, s9, s18
	v_mov_b32_e32 v2, s24
	v_add_u32_e32 v5, s6, v5
	v_mad_u64_u32 v[2:3], s[6:7], v4, s50, v[2:3]
	v_mov_b32_e32 v4, v3
	v_mad_u64_u32 v[4:5], s[6:7], v5, s50, v[4:5]
	v_mov_b32_e32 v3, v4
	v_lshlrev_b64 v[2:3], 2, v[2:3]
	v_mov_b32_e32 v5, s47
	v_add_co_u32_e32 v4, vcc, s46, v2
	v_addc_co_u32_e32 v5, vcc, v5, v3, vcc
	global_store_dword v[4:5], v19, off
	v_mov_b32_e32 v4, s45
	v_add_co_u32_e32 v2, vcc, s44, v2
	v_addc_co_u32_e32 v3, vcc, v4, v3, vcc
	global_store_dword v[2:3], v6, off
.LBB664_209:
	s_or_b64 exec, exec, s[4:5]
	v_lshl_or_b32 v30, v1, 9, v18
	s_waitcnt lgkmcnt(0)
	s_barrier
	s_load_dword s4, s[42:43], 0x0
	ds_read_b128 v[2:5], v30
	ds_read_b128 v[6:9], v30 offset:16
	ds_read_b128 v[10:13], v30 offset:2048
	;; [unrolled: 1-line block ×7, first 2 shown]
	v_mov_b32_e32 v35, 0x80
	v_mov_b32_e32 v45, 0x140
	s_mov_b64 s[10:11], -1
	s_waitcnt lgkmcnt(0)
	s_mov_b32 s5, s4
	s_mov_b32 s6, s4
	;; [unrolled: 1-line block ×3, first 2 shown]
	s_movk_i32 s9, 0x80
	s_movk_i32 s19, 0x7f
	s_mov_b32 s20, 0xffffff
	v_mov_b32_e32 v47, 0
	v_bfrev_b32_e32 v48, 60
	s_branch .LBB664_213
.LBB664_210:                            ;   in Loop: Header=BB664_213 Depth=1
	s_or_b64 exec, exec, s[16:17]
.LBB664_211:                            ;   in Loop: Header=BB664_213 Depth=1
	s_or_b64 exec, exec, s[14:15]
.LBB664_212:                            ;   in Loop: Header=BB664_213 Depth=1
	s_or_b64 exec, exec, s[12:13]
	v_cvt_pkrtz_f16_f32 v40, v41, v46
	v_cvt_pkrtz_f16_f32 v41, v44, v50
	s_xor_b64 s[12:13], s[10:11], -1
	s_mov_b64 s[10:11], 0
	v_mov_b32_e32 v61, v58
	v_mfma_f32_16x16x16f16 v[62:65], v[40:41], v[30:31], v[34:37]
	v_mov_b32_e32 v60, v59
	s_and_b64 vcc, exec, s[12:13]
	s_nop 4
	v_cvt_pkrtz_f16_f32 v36, v49, v51
	v_cvt_pkrtz_f16_f32 v37, v42, v52
	v_mov_b32_e32 v35, v57
	s_nop 0
	v_mfma_f32_16x16x16f16 v[50:53], v[36:37], v[32:33], v[62:65]
	s_nop 7
	s_nop 2
	v_pk_mul_f32 v[40:41], v[50:51], s[4:5]
	v_pk_mul_f32 v[36:37], v[52:53], s[6:7]
	v_cvt_f16_f32_e32 v34, v40
	v_cvt_f16_f32_e32 v38, v41
	;; [unrolled: 1-line block ×4, first 2 shown]
	v_mov_b32_e32 v41, v39
	v_pack_b32_f16 v34, v34, v38
	v_pack_b32_f16 v36, v36, v37
	buffer_store_dword v34, v45, s[0:3], 0 offen
	buffer_store_dword v36, v45, s[0:3], 0 offen offset:4
	v_mov_b32_e32 v45, 0x148
	s_cbranch_vccnz .LBB664_595
.LBB664_213:                            ; =>This Inner Loop Header: Depth=1
	buffer_load_dword v36, v35, s[0:3], 0 offen
	buffer_load_dword v34, v35, s[0:3], 0 offen offset:4
	buffer_load_dword v40, v35, s[0:3], 0 offen offset:8
	buffer_load_dword v38, v35, s[0:3], 0 offen offset:12
	v_mov_b32_e32 v35, 0
	s_waitcnt vmcnt(3)
	v_cmp_ne_u16_sdwa s[14:15], v36, v47 src0_sel:BYTE_0 src1_sel:DWORD
	s_and_saveexec_b64 s[12:13], s[14:15]
	s_cbranch_execz .LBB664_219
; %bb.214:                              ;   in Loop: Header=BB664_213 Depth=1
	v_cmp_ne_u16_sdwa s[16:17], v36, s9 src0_sel:BYTE_0 src1_sel:DWORD
	v_bfrev_b32_e32 v35, 1
	s_and_saveexec_b64 s[14:15], s[16:17]
	s_cbranch_execz .LBB664_218
; %bb.215:                              ;   in Loop: Header=BB664_213 Depth=1
	v_and_b32_e32 v37, 0x7f, v36
	v_cmp_ne_u32_e32 vcc, s19, v37
	v_mov_b32_e32 v35, 0x7f800001
	s_and_saveexec_b64 s[16:17], vcc
	s_cbranch_execz .LBB664_217
; %bb.216:                              ;   in Loop: Header=BB664_213 Depth=1
	v_and_b32_e32 v35, 7, v36
	v_ffbh_u32_e32 v44, v35
	v_min_u32_e32 v44, 32, v44
	v_subrev_u32_e32 v46, 28, v44
	v_lshlrev_b64 v[50:51], v46, v[36:37]
	v_lshrrev_b32_e32 v42, 3, v37
	v_sub_u32_e32 v44, 29, v44
	v_and_b32_e32 v46, 7, v50
	v_cmp_gt_u32_e32 vcc, 8, v37
	v_cndmask_b32_e32 v37, v42, v44, vcc
	v_cndmask_b32_e32 v35, v35, v46, vcc
	v_lshlrev_b32_e32 v42, 24, v36
	v_lshlrev_b32_e32 v35, 20, v35
	v_and_b32_e32 v42, 0x80000000, v42
	v_lshl_add_u32 v37, v37, 23, v48
	v_or3_b32 v35, v42, v37, v35
.LBB664_217:                            ;   in Loop: Header=BB664_213 Depth=1
	s_or_b64 exec, exec, s[16:17]
.LBB664_218:                            ;   in Loop: Header=BB664_213 Depth=1
	s_or_b64 exec, exec, s[14:15]
.LBB664_219:                            ;   in Loop: Header=BB664_213 Depth=1
	s_or_b64 exec, exec, s[12:13]
	v_lshrrev_b16_e32 v42, 8, v36
	v_cmp_ne_u16_e32 vcc, 0, v42
	v_mov_b32_e32 v37, 0
	s_and_saveexec_b64 s[12:13], vcc
	s_cbranch_execz .LBB664_225
; %bb.220:                              ;   in Loop: Header=BB664_213 Depth=1
	v_cmp_ne_u16_e32 vcc, s9, v42
	v_bfrev_b32_e32 v37, 1
	s_and_saveexec_b64 s[14:15], vcc
	s_cbranch_execz .LBB664_224
; %bb.221:                              ;   in Loop: Header=BB664_213 Depth=1
	v_and_b32_e32 v44, 0x7f, v42
	v_cmp_ne_u32_e32 vcc, s19, v44
	v_mov_b32_e32 v37, 0x7f800001
	s_and_saveexec_b64 s[16:17], vcc
	s_cbranch_execz .LBB664_223
; %bb.222:                              ;   in Loop: Header=BB664_213 Depth=1
	v_and_b32_e32 v37, 7, v42
	v_ffbh_u32_e32 v49, v37
	v_min_u32_e32 v49, 32, v49
	v_subrev_u32_e32 v50, 28, v49
	v_lshlrev_b64 v[50:51], v50, v[42:43]
	v_lshrrev_b32_e32 v46, 3, v44
	v_sub_u32_e32 v42, 29, v49
	v_and_b32_e32 v49, 7, v50
	v_cmp_gt_u32_e32 vcc, 8, v44
	v_cndmask_b32_e32 v42, v46, v42, vcc
	v_cndmask_b32_e32 v37, v37, v49, vcc
	v_lshlrev_b32_e32 v44, 16, v36
	v_lshlrev_b32_e32 v37, 20, v37
	v_and_b32_e32 v44, 0x80000000, v44
	v_lshl_add_u32 v42, v42, 23, v48
	v_or3_b32 v37, v44, v42, v37
.LBB664_223:                            ;   in Loop: Header=BB664_213 Depth=1
	s_or_b64 exec, exec, s[16:17]
.LBB664_224:                            ;   in Loop: Header=BB664_213 Depth=1
	s_or_b64 exec, exec, s[14:15]
.LBB664_225:                            ;   in Loop: Header=BB664_213 Depth=1
	s_or_b64 exec, exec, s[12:13]
	v_lshrrev_b32_e32 v42, 16, v36
	v_cmp_ne_u16_sdwa s[14:15], v42, v47 src0_sel:BYTE_0 src1_sel:DWORD
	v_mov_b32_e32 v46, 0
	v_mov_b32_e32 v44, 0
	s_and_saveexec_b64 s[12:13], s[14:15]
	s_cbranch_execz .LBB664_231
; %bb.226:                              ;   in Loop: Header=BB664_213 Depth=1
	v_cmp_ne_u16_sdwa s[16:17], v42, s9 src0_sel:BYTE_0 src1_sel:DWORD
	v_bfrev_b32_e32 v44, 1
	s_and_saveexec_b64 s[14:15], s[16:17]
	s_cbranch_execz .LBB664_230
; %bb.227:                              ;   in Loop: Header=BB664_213 Depth=1
	v_bfe_u32 v49, v36, 16, 7
	v_cmp_ne_u32_e32 vcc, s19, v49
	v_mov_b32_e32 v44, 0x7f800001
	s_and_saveexec_b64 s[16:17], vcc
	s_cbranch_execz .LBB664_229
; %bb.228:                              ;   in Loop: Header=BB664_213 Depth=1
	v_and_b32_e32 v44, 7, v42
	v_ffbh_u32_e32 v50, v44
	v_min_u32_e32 v53, 32, v50
	v_subrev_u32_e32 v50, 28, v53
	v_lshlrev_b64 v[50:51], v50, v[42:43]
	v_lshrrev_b32_e32 v52, 3, v49
	v_sub_u32_e32 v51, 29, v53
	v_and_b32_e32 v50, 7, v50
	v_cmp_gt_u32_e32 vcc, 8, v49
	v_cndmask_b32_e32 v49, v52, v51, vcc
	v_cndmask_b32_e32 v44, v44, v50, vcc
	v_lshlrev_b32_e32 v42, 24, v42
	v_lshlrev_b32_e32 v44, 20, v44
	v_and_b32_e32 v42, 0x80000000, v42
	v_lshl_add_u32 v49, v49, 23, v48
	v_or3_b32 v44, v42, v49, v44
.LBB664_229:                            ;   in Loop: Header=BB664_213 Depth=1
	s_or_b64 exec, exec, s[16:17]
.LBB664_230:                            ;   in Loop: Header=BB664_213 Depth=1
	s_or_b64 exec, exec, s[14:15]
.LBB664_231:                            ;   in Loop: Header=BB664_213 Depth=1
	s_or_b64 exec, exec, s[12:13]
	v_cmp_lt_u32_e32 vcc, s20, v36
	s_and_saveexec_b64 s[12:13], vcc
	s_cbranch_execz .LBB664_237
; %bb.232:                              ;   in Loop: Header=BB664_213 Depth=1
	v_lshrrev_b32_e32 v42, 24, v36
	v_cmp_ne_u32_e32 vcc, s9, v42
	v_bfrev_b32_e32 v46, 1
	s_and_saveexec_b64 s[14:15], vcc
	s_cbranch_execz .LBB664_236
; %bb.233:                              ;   in Loop: Header=BB664_213 Depth=1
	v_bfe_u32 v36, v36, 24, 7
	v_cmp_ne_u32_e32 vcc, s19, v36
	v_mov_b32_e32 v46, 0x7f800001
	s_and_saveexec_b64 s[16:17], vcc
	s_cbranch_execz .LBB664_235
; %bb.234:                              ;   in Loop: Header=BB664_213 Depth=1
	v_and_b32_e32 v46, 7, v42
	v_ffbh_u32_e32 v50, v46
	v_min_u32_e32 v52, 32, v50
	v_subrev_u32_e32 v50, 28, v52
	v_lshlrev_b64 v[50:51], v50, v[42:43]
	v_lshrrev_b32_e32 v49, 3, v36
	v_sub_u32_e32 v51, 29, v52
	v_and_b32_e32 v50, 7, v50
	v_cmp_gt_u32_e32 vcc, 8, v36
	v_cndmask_b32_e32 v36, v49, v51, vcc
	v_cndmask_b32_e32 v46, v46, v50, vcc
	v_lshlrev_b32_e32 v42, 24, v42
	v_lshlrev_b32_e32 v46, 20, v46
	v_and_b32_e32 v42, 0x80000000, v42
	v_lshl_add_u32 v36, v36, 23, v48
	v_or3_b32 v46, v42, v36, v46
.LBB664_235:                            ;   in Loop: Header=BB664_213 Depth=1
	s_or_b64 exec, exec, s[16:17]
.LBB664_236:                            ;   in Loop: Header=BB664_213 Depth=1
	s_or_b64 exec, exec, s[14:15]
.LBB664_237:                            ;   in Loop: Header=BB664_213 Depth=1
	s_or_b64 exec, exec, s[12:13]
	s_waitcnt vmcnt(2)
	v_cmp_ne_u16_sdwa s[14:15], v34, v47 src0_sel:BYTE_0 src1_sel:DWORD
	v_mov_b32_e32 v42, 0
	v_mov_b32_e32 v49, 0
	s_and_saveexec_b64 s[12:13], s[14:15]
	s_cbranch_execz .LBB664_243
; %bb.238:                              ;   in Loop: Header=BB664_213 Depth=1
	v_cmp_ne_u16_sdwa s[16:17], v34, s9 src0_sel:BYTE_0 src1_sel:DWORD
	v_bfrev_b32_e32 v49, 1
	s_and_saveexec_b64 s[14:15], s[16:17]
	s_cbranch_execz .LBB664_242
; %bb.239:                              ;   in Loop: Header=BB664_213 Depth=1
	v_and_b32_e32 v36, 0x7f, v34
	v_cmp_ne_u32_e32 vcc, s19, v36
	v_mov_b32_e32 v49, 0x7f800001
	s_and_saveexec_b64 s[16:17], vcc
	s_cbranch_execz .LBB664_241
; %bb.240:                              ;   in Loop: Header=BB664_213 Depth=1
	v_and_b32_e32 v49, 7, v34
	v_ffbh_u32_e32 v50, v49
	v_min_u32_e32 v53, 32, v50
	v_subrev_u32_e32 v50, 28, v53
	v_lshlrev_b64 v[50:51], v50, v[34:35]
	v_lshrrev_b32_e32 v52, 3, v36
	v_sub_u32_e32 v51, 29, v53
	v_and_b32_e32 v50, 7, v50
	v_cmp_gt_u32_e32 vcc, 8, v36
	v_cndmask_b32_e32 v36, v52, v51, vcc
	v_cndmask_b32_e32 v49, v49, v50, vcc
	v_lshlrev_b32_e32 v50, 24, v34
	v_lshlrev_b32_e32 v49, 20, v49
	v_and_b32_e32 v50, 0x80000000, v50
	v_lshl_add_u32 v36, v36, 23, v48
	v_or3_b32 v49, v50, v36, v49
.LBB664_241:                            ;   in Loop: Header=BB664_213 Depth=1
	s_or_b64 exec, exec, s[16:17]
.LBB664_242:                            ;   in Loop: Header=BB664_213 Depth=1
	s_or_b64 exec, exec, s[14:15]
.LBB664_243:                            ;   in Loop: Header=BB664_213 Depth=1
	s_or_b64 exec, exec, s[12:13]
	v_lshrrev_b16_e32 v36, 8, v34
	v_cmp_ne_u16_e32 vcc, 0, v36
	s_and_saveexec_b64 s[12:13], vcc
	s_cbranch_execz .LBB664_249
; %bb.244:                              ;   in Loop: Header=BB664_213 Depth=1
	v_cmp_ne_u16_e32 vcc, s9, v36
	v_bfrev_b32_e32 v42, 1
	s_and_saveexec_b64 s[14:15], vcc
	s_cbranch_execz .LBB664_248
; %bb.245:                              ;   in Loop: Header=BB664_213 Depth=1
	v_and_b32_e32 v50, 0x7f, v36
	v_cmp_ne_u32_e32 vcc, s19, v50
	v_mov_b32_e32 v42, 0x7f800001
	s_and_saveexec_b64 s[16:17], vcc
	s_cbranch_execz .LBB664_247
; %bb.246:                              ;   in Loop: Header=BB664_213 Depth=1
	v_and_b32_e32 v42, 7, v36
	v_ffbh_u32_e32 v52, v42
	v_min_u32_e32 v62, 32, v52
	v_subrev_u32_e32 v52, 28, v62
	v_lshlrev_b64 v[52:53], v52, v[36:37]
	v_lshrrev_b32_e32 v51, 3, v50
	v_sub_u32_e32 v36, 29, v62
	v_and_b32_e32 v52, 7, v52
	v_cmp_gt_u32_e32 vcc, 8, v50
	v_cndmask_b32_e32 v36, v51, v36, vcc
	v_cndmask_b32_e32 v42, v42, v52, vcc
	v_lshlrev_b32_e32 v50, 16, v34
	v_lshlrev_b32_e32 v42, 20, v42
	v_and_b32_e32 v50, 0x80000000, v50
	v_lshl_add_u32 v36, v36, 23, v48
	v_or3_b32 v42, v50, v36, v42
.LBB664_247:                            ;   in Loop: Header=BB664_213 Depth=1
	s_or_b64 exec, exec, s[16:17]
.LBB664_248:                            ;   in Loop: Header=BB664_213 Depth=1
	s_or_b64 exec, exec, s[14:15]
.LBB664_249:                            ;   in Loop: Header=BB664_213 Depth=1
	s_or_b64 exec, exec, s[12:13]
	v_lshrrev_b32_e32 v36, 16, v34
	v_cmp_ne_u16_sdwa s[14:15], v36, v47 src0_sel:BYTE_0 src1_sel:DWORD
	v_mov_b32_e32 v51, 0
	v_mov_b32_e32 v50, 0
	s_and_saveexec_b64 s[12:13], s[14:15]
	s_cbranch_execz .LBB664_255
; %bb.250:                              ;   in Loop: Header=BB664_213 Depth=1
	v_cmp_ne_u16_sdwa s[16:17], v36, s9 src0_sel:BYTE_0 src1_sel:DWORD
	v_bfrev_b32_e32 v50, 1
	s_and_saveexec_b64 s[14:15], s[16:17]
	s_cbranch_execz .LBB664_254
; %bb.251:                              ;   in Loop: Header=BB664_213 Depth=1
	v_bfe_u32 v52, v34, 16, 7
	v_cmp_ne_u32_e32 vcc, s19, v52
	v_mov_b32_e32 v50, 0x7f800001
	s_and_saveexec_b64 s[16:17], vcc
	s_cbranch_execz .LBB664_253
; %bb.252:                              ;   in Loop: Header=BB664_213 Depth=1
	v_and_b32_e32 v50, 7, v36
	v_ffbh_u32_e32 v62, v50
	v_min_u32_e32 v64, 32, v62
	v_subrev_u32_e32 v62, 28, v64
	v_lshlrev_b64 v[62:63], v62, v[36:37]
	v_lshrrev_b32_e32 v53, 3, v52
	v_sub_u32_e32 v63, 29, v64
	v_and_b32_e32 v62, 7, v62
	v_cmp_gt_u32_e32 vcc, 8, v52
	v_cndmask_b32_e32 v52, v53, v63, vcc
	v_cndmask_b32_e32 v50, v50, v62, vcc
	v_lshlrev_b32_e32 v36, 24, v36
	v_lshlrev_b32_e32 v50, 20, v50
	v_and_b32_e32 v36, 0x80000000, v36
	v_lshl_add_u32 v52, v52, 23, v48
	v_or3_b32 v50, v36, v52, v50
.LBB664_253:                            ;   in Loop: Header=BB664_213 Depth=1
	s_or_b64 exec, exec, s[16:17]
.LBB664_254:                            ;   in Loop: Header=BB664_213 Depth=1
	s_or_b64 exec, exec, s[14:15]
.LBB664_255:                            ;   in Loop: Header=BB664_213 Depth=1
	s_or_b64 exec, exec, s[12:13]
	v_cmp_lt_u32_e32 vcc, s20, v34
	s_and_saveexec_b64 s[12:13], vcc
	s_cbranch_execz .LBB664_261
; %bb.256:                              ;   in Loop: Header=BB664_213 Depth=1
	v_lshrrev_b32_e32 v36, 24, v34
	v_cmp_ne_u32_e32 vcc, s9, v36
	v_bfrev_b32_e32 v51, 1
	s_and_saveexec_b64 s[14:15], vcc
	s_cbranch_execz .LBB664_260
; %bb.257:                              ;   in Loop: Header=BB664_213 Depth=1
	v_bfe_u32 v34, v34, 24, 7
	v_cmp_ne_u32_e32 vcc, s19, v34
	v_mov_b32_e32 v51, 0x7f800001
	s_and_saveexec_b64 s[16:17], vcc
	s_cbranch_execz .LBB664_259
; %bb.258:                              ;   in Loop: Header=BB664_213 Depth=1
	v_and_b32_e32 v51, 7, v36
	v_ffbh_u32_e32 v52, v51
	v_min_u32_e32 v63, 32, v52
	v_subrev_u32_e32 v52, 28, v63
	v_lshlrev_b64 v[52:53], v52, v[36:37]
	v_lshrrev_b32_e32 v62, 3, v34
	v_sub_u32_e32 v53, 29, v63
	v_and_b32_e32 v52, 7, v52
	v_cmp_gt_u32_e32 vcc, 8, v34
	v_cndmask_b32_e32 v34, v62, v53, vcc
	v_cndmask_b32_e32 v51, v51, v52, vcc
	v_lshlrev_b32_e32 v36, 24, v36
	v_lshlrev_b32_e32 v51, 20, v51
	v_and_b32_e32 v36, 0x80000000, v36
	v_lshl_add_u32 v34, v34, 23, v48
	v_or3_b32 v51, v36, v34, v51
.LBB664_259:                            ;   in Loop: Header=BB664_213 Depth=1
	s_or_b64 exec, exec, s[16:17]
.LBB664_260:                            ;   in Loop: Header=BB664_213 Depth=1
	s_or_b64 exec, exec, s[14:15]
.LBB664_261:                            ;   in Loop: Header=BB664_213 Depth=1
	s_or_b64 exec, exec, s[12:13]
	v_cvt_pkrtz_f16_f32 v34, v35, v37
	v_cvt_pkrtz_f16_f32 v35, v44, v46
	;; [unrolled: 1-line block ×4, first 2 shown]
	v_mov_b32_e32 v44, 0
	v_mfma_f32_16x16x16f16 v[34:37], v[34:35], v[2:3], 0
	s_waitcnt vmcnt(1)
	v_cmp_ne_u16_sdwa s[14:15], v40, v47 src0_sel:BYTE_0 src1_sel:DWORD
	v_mov_b32_e32 v46, 0
	v_mfma_f32_16x16x16f16 v[34:37], v[52:53], v[4:5], v[34:37]
	s_and_saveexec_b64 s[12:13], s[14:15]
	s_cbranch_execz .LBB664_267
; %bb.262:                              ;   in Loop: Header=BB664_213 Depth=1
	v_cmp_ne_u16_sdwa s[16:17], v40, s9 src0_sel:BYTE_0 src1_sel:DWORD
	v_bfrev_b32_e32 v46, 1
	s_and_saveexec_b64 s[14:15], s[16:17]
	s_cbranch_execz .LBB664_266
; %bb.263:                              ;   in Loop: Header=BB664_213 Depth=1
	v_and_b32_e32 v42, 0x7f, v40
	v_cmp_ne_u32_e32 vcc, s19, v42
	v_mov_b32_e32 v46, 0x7f800001
	s_and_saveexec_b64 s[16:17], vcc
	s_cbranch_execz .LBB664_265
; %bb.264:                              ;   in Loop: Header=BB664_213 Depth=1
	v_and_b32_e32 v46, 7, v40
	v_ffbh_u32_e32 v50, v46
	v_min_u32_e32 v52, 32, v50
	v_subrev_u32_e32 v50, 28, v52
	v_lshlrev_b64 v[50:51], v50, v[40:41]
	v_lshrrev_b32_e32 v49, 3, v42
	v_sub_u32_e32 v51, 29, v52
	v_and_b32_e32 v50, 7, v50
	v_cmp_gt_u32_e32 vcc, 8, v42
	v_cndmask_b32_e32 v42, v49, v51, vcc
	v_cndmask_b32_e32 v46, v46, v50, vcc
	v_lshlrev_b32_e32 v49, 24, v40
	v_lshlrev_b32_e32 v46, 20, v46
	v_and_b32_e32 v49, 0x80000000, v49
	v_lshl_add_u32 v42, v42, 23, v48
	v_or3_b32 v46, v49, v42, v46
.LBB664_265:                            ;   in Loop: Header=BB664_213 Depth=1
	s_or_b64 exec, exec, s[16:17]
.LBB664_266:                            ;   in Loop: Header=BB664_213 Depth=1
	s_or_b64 exec, exec, s[14:15]
.LBB664_267:                            ;   in Loop: Header=BB664_213 Depth=1
	s_or_b64 exec, exec, s[12:13]
	v_lshrrev_b16_e32 v42, 8, v40
	v_cmp_ne_u16_e32 vcc, 0, v42
	v_mov_b32_e32 v50, 0
	s_and_saveexec_b64 s[12:13], vcc
	s_cbranch_execz .LBB664_273
; %bb.268:                              ;   in Loop: Header=BB664_213 Depth=1
	v_cmp_ne_u16_e32 vcc, s9, v42
	v_bfrev_b32_e32 v50, 1
	s_and_saveexec_b64 s[14:15], vcc
	s_cbranch_execz .LBB664_272
; %bb.269:                              ;   in Loop: Header=BB664_213 Depth=1
	v_and_b32_e32 v49, 0x7f, v42
	v_cmp_ne_u32_e32 vcc, s19, v49
	v_mov_b32_e32 v50, 0x7f800001
	s_and_saveexec_b64 s[16:17], vcc
	s_cbranch_execz .LBB664_271
; %bb.270:                              ;   in Loop: Header=BB664_213 Depth=1
	v_and_b32_e32 v52, 7, v42
	v_ffbh_u32_e32 v50, v52
	v_min_u32_e32 v62, 32, v50
	v_subrev_u32_e32 v50, 28, v62
	v_lshlrev_b64 v[50:51], v50, v[42:43]
	v_lshrrev_b32_e32 v53, 3, v49
	v_sub_u32_e32 v42, 29, v62
	v_and_b32_e32 v50, 7, v50
	v_cmp_gt_u32_e32 vcc, 8, v49
	v_cndmask_b32_e32 v42, v53, v42, vcc
	v_cndmask_b32_e32 v49, v52, v50, vcc
	v_lshlrev_b32_e32 v50, 16, v40
	v_lshlrev_b32_e32 v49, 20, v49
	v_and_b32_e32 v50, 0x80000000, v50
	v_lshl_add_u32 v42, v42, 23, v48
	v_or3_b32 v50, v50, v42, v49
.LBB664_271:                            ;   in Loop: Header=BB664_213 Depth=1
	s_or_b64 exec, exec, s[16:17]
.LBB664_272:                            ;   in Loop: Header=BB664_213 Depth=1
	s_or_b64 exec, exec, s[14:15]
.LBB664_273:                            ;   in Loop: Header=BB664_213 Depth=1
	s_or_b64 exec, exec, s[12:13]
	v_lshrrev_b32_e32 v42, 16, v40
	v_cmp_ne_u16_sdwa s[14:15], v42, v47 src0_sel:BYTE_0 src1_sel:DWORD
	s_and_saveexec_b64 s[12:13], s[14:15]
	s_cbranch_execz .LBB664_279
; %bb.274:                              ;   in Loop: Header=BB664_213 Depth=1
	v_cmp_ne_u16_sdwa s[16:17], v42, s9 src0_sel:BYTE_0 src1_sel:DWORD
	v_bfrev_b32_e32 v44, 1
	s_and_saveexec_b64 s[14:15], s[16:17]
	s_cbranch_execz .LBB664_278
; %bb.275:                              ;   in Loop: Header=BB664_213 Depth=1
	v_bfe_u32 v49, v40, 16, 7
	v_cmp_ne_u32_e32 vcc, s19, v49
	v_mov_b32_e32 v44, 0x7f800001
	s_and_saveexec_b64 s[16:17], vcc
	s_cbranch_execz .LBB664_277
; %bb.276:                              ;   in Loop: Header=BB664_213 Depth=1
	v_and_b32_e32 v44, 7, v42
	v_ffbh_u32_e32 v52, v44
	v_min_u32_e32 v62, 32, v52
	v_subrev_u32_e32 v52, 28, v62
	v_lshlrev_b64 v[52:53], v52, v[42:43]
	v_lshrrev_b32_e32 v51, 3, v49
	v_sub_u32_e32 v53, 29, v62
	v_and_b32_e32 v52, 7, v52
	v_cmp_gt_u32_e32 vcc, 8, v49
	v_cndmask_b32_e32 v49, v51, v53, vcc
	v_cndmask_b32_e32 v44, v44, v52, vcc
	v_lshlrev_b32_e32 v42, 24, v42
	v_lshlrev_b32_e32 v44, 20, v44
	v_and_b32_e32 v42, 0x80000000, v42
	v_lshl_add_u32 v49, v49, 23, v48
	v_or3_b32 v44, v42, v49, v44
.LBB664_277:                            ;   in Loop: Header=BB664_213 Depth=1
	s_or_b64 exec, exec, s[16:17]
.LBB664_278:                            ;   in Loop: Header=BB664_213 Depth=1
	s_or_b64 exec, exec, s[14:15]
.LBB664_279:                            ;   in Loop: Header=BB664_213 Depth=1
	s_or_b64 exec, exec, s[12:13]
	v_cmp_lt_u32_e32 vcc, s20, v40
	v_mov_b32_e32 v51, 0
	v_mov_b32_e32 v52, 0
	s_and_saveexec_b64 s[12:13], vcc
	s_cbranch_execz .LBB664_285
; %bb.280:                              ;   in Loop: Header=BB664_213 Depth=1
	v_lshrrev_b32_e32 v42, 24, v40
	v_cmp_ne_u32_e32 vcc, s9, v42
	v_bfrev_b32_e32 v52, 1
	s_and_saveexec_b64 s[14:15], vcc
	s_cbranch_execz .LBB664_284
; %bb.281:                              ;   in Loop: Header=BB664_213 Depth=1
	v_bfe_u32 v40, v40, 24, 7
	v_cmp_ne_u32_e32 vcc, s19, v40
	v_mov_b32_e32 v52, 0x7f800001
	s_and_saveexec_b64 s[16:17], vcc
	s_cbranch_execz .LBB664_283
; %bb.282:                              ;   in Loop: Header=BB664_213 Depth=1
	v_and_b32_e32 v49, 7, v42
	v_ffbh_u32_e32 v52, v49
	v_min_u32_e32 v63, 32, v52
	v_subrev_u32_e32 v52, 28, v63
	v_lshlrev_b64 v[52:53], v52, v[42:43]
	v_lshrrev_b32_e32 v62, 3, v40
	v_sub_u32_e32 v53, 29, v63
	v_and_b32_e32 v52, 7, v52
	v_cmp_gt_u32_e32 vcc, 8, v40
	v_cndmask_b32_e32 v40, v62, v53, vcc
	v_cndmask_b32_e32 v49, v49, v52, vcc
	v_lshlrev_b32_e32 v42, 24, v42
	v_lshlrev_b32_e32 v49, 20, v49
	v_and_b32_e32 v42, 0x80000000, v42
	v_lshl_add_u32 v40, v40, 23, v48
	v_or3_b32 v52, v42, v40, v49
.LBB664_283:                            ;   in Loop: Header=BB664_213 Depth=1
	s_or_b64 exec, exec, s[16:17]
.LBB664_284:                            ;   in Loop: Header=BB664_213 Depth=1
	s_or_b64 exec, exec, s[14:15]
.LBB664_285:                            ;   in Loop: Header=BB664_213 Depth=1
	s_or_b64 exec, exec, s[12:13]
	s_waitcnt vmcnt(0)
	v_cmp_ne_u16_sdwa s[14:15], v38, v47 src0_sel:BYTE_0 src1_sel:DWORD
	s_and_saveexec_b64 s[12:13], s[14:15]
	s_cbranch_execz .LBB664_291
; %bb.286:                              ;   in Loop: Header=BB664_213 Depth=1
	v_cmp_ne_u16_sdwa s[16:17], v38, s9 src0_sel:BYTE_0 src1_sel:DWORD
	v_bfrev_b32_e32 v51, 1
	s_and_saveexec_b64 s[14:15], s[16:17]
	s_cbranch_execz .LBB664_290
; %bb.287:                              ;   in Loop: Header=BB664_213 Depth=1
	v_and_b32_e32 v40, 0x7f, v38
	v_cmp_ne_u32_e32 vcc, s19, v40
	v_mov_b32_e32 v51, 0x7f800001
	s_and_saveexec_b64 s[16:17], vcc
	s_cbranch_execz .LBB664_289
; %bb.288:                              ;   in Loop: Header=BB664_213 Depth=1
	v_and_b32_e32 v42, 7, v38
	v_ffbh_u32_e32 v51, v42
	v_min_u32_e32 v51, 32, v51
	v_subrev_u32_e32 v53, 28, v51
	v_lshlrev_b64 v[62:63], v53, v[38:39]
	v_lshrrev_b32_e32 v49, 3, v40
	v_sub_u32_e32 v51, 29, v51
	v_and_b32_e32 v53, 7, v62
	v_cmp_gt_u32_e32 vcc, 8, v40
	v_cndmask_b32_e32 v40, v49, v51, vcc
	v_cndmask_b32_e32 v42, v42, v53, vcc
	v_lshlrev_b32_e32 v49, 24, v38
	v_lshlrev_b32_e32 v42, 20, v42
	v_and_b32_e32 v49, 0x80000000, v49
	v_lshl_add_u32 v40, v40, 23, v48
	v_or3_b32 v51, v49, v40, v42
.LBB664_289:                            ;   in Loop: Header=BB664_213 Depth=1
	s_or_b64 exec, exec, s[16:17]
.LBB664_290:                            ;   in Loop: Header=BB664_213 Depth=1
	s_or_b64 exec, exec, s[14:15]
.LBB664_291:                            ;   in Loop: Header=BB664_213 Depth=1
	s_or_b64 exec, exec, s[12:13]
	v_lshrrev_b16_e32 v40, 8, v38
	v_cmp_ne_u16_e32 vcc, 0, v40
	v_mov_b32_e32 v53, 0
	v_mov_b32_e32 v62, 0
	s_and_saveexec_b64 s[12:13], vcc
	s_cbranch_execz .LBB664_297
; %bb.292:                              ;   in Loop: Header=BB664_213 Depth=1
	v_cmp_ne_u16_e32 vcc, s9, v40
	v_bfrev_b32_e32 v62, 1
	s_and_saveexec_b64 s[14:15], vcc
	s_cbranch_execz .LBB664_296
; %bb.293:                              ;   in Loop: Header=BB664_213 Depth=1
	v_and_b32_e32 v42, 0x7f, v40
	v_cmp_ne_u32_e32 vcc, s19, v42
	v_mov_b32_e32 v62, 0x7f800001
	s_and_saveexec_b64 s[16:17], vcc
	s_cbranch_execz .LBB664_295
; %bb.294:                              ;   in Loop: Header=BB664_213 Depth=1
	v_and_b32_e32 v49, 7, v40
	v_ffbh_u32_e32 v62, v49
	v_min_u32_e32 v65, 32, v62
	v_subrev_u32_e32 v62, 28, v65
	v_lshlrev_b64 v[62:63], v62, v[40:41]
	v_lshrrev_b32_e32 v64, 3, v42
	v_sub_u32_e32 v40, 29, v65
	v_and_b32_e32 v62, 7, v62
	v_cmp_gt_u32_e32 vcc, 8, v42
	v_cndmask_b32_e32 v40, v64, v40, vcc
	v_cndmask_b32_e32 v42, v49, v62, vcc
	v_lshlrev_b32_e32 v49, 16, v38
	v_lshlrev_b32_e32 v42, 20, v42
	v_and_b32_e32 v49, 0x80000000, v49
	v_lshl_add_u32 v40, v40, 23, v48
	v_or3_b32 v62, v49, v40, v42
.LBB664_295:                            ;   in Loop: Header=BB664_213 Depth=1
	s_or_b64 exec, exec, s[16:17]
.LBB664_296:                            ;   in Loop: Header=BB664_213 Depth=1
	s_or_b64 exec, exec, s[14:15]
.LBB664_297:                            ;   in Loop: Header=BB664_213 Depth=1
	s_or_b64 exec, exec, s[12:13]
	v_lshrrev_b32_e32 v40, 16, v38
	v_cmp_ne_u16_sdwa s[14:15], v40, v47 src0_sel:BYTE_0 src1_sel:DWORD
	s_and_saveexec_b64 s[12:13], s[14:15]
	s_cbranch_execz .LBB664_303
; %bb.298:                              ;   in Loop: Header=BB664_213 Depth=1
	v_cmp_ne_u16_sdwa s[16:17], v40, s9 src0_sel:BYTE_0 src1_sel:DWORD
	v_bfrev_b32_e32 v53, 1
	s_and_saveexec_b64 s[14:15], s[16:17]
	s_cbranch_execz .LBB664_302
; %bb.299:                              ;   in Loop: Header=BB664_213 Depth=1
	v_bfe_u32 v42, v38, 16, 7
	v_cmp_ne_u32_e32 vcc, s19, v42
	v_mov_b32_e32 v53, 0x7f800001
	s_and_saveexec_b64 s[16:17], vcc
	s_cbranch_execz .LBB664_301
; %bb.300:                              ;   in Loop: Header=BB664_213 Depth=1
	v_and_b32_e32 v49, 7, v40
	v_ffbh_u32_e32 v63, v49
	v_min_u32_e32 v63, 32, v63
	v_subrev_u32_e32 v64, 28, v63
	v_lshlrev_b64 v[64:65], v64, v[40:41]
	v_lshrrev_b32_e32 v53, 3, v42
	v_sub_u32_e32 v63, 29, v63
	v_and_b32_e32 v64, 7, v64
	v_cmp_gt_u32_e32 vcc, 8, v42
	v_cndmask_b32_e32 v42, v53, v63, vcc
	v_cndmask_b32_e32 v49, v49, v64, vcc
	v_lshlrev_b32_e32 v40, 24, v40
	v_lshlrev_b32_e32 v49, 20, v49
	v_and_b32_e32 v40, 0x80000000, v40
	v_lshl_add_u32 v42, v42, 23, v48
	v_or3_b32 v53, v40, v42, v49
.LBB664_301:                            ;   in Loop: Header=BB664_213 Depth=1
	s_or_b64 exec, exec, s[16:17]
.LBB664_302:                            ;   in Loop: Header=BB664_213 Depth=1
	s_or_b64 exec, exec, s[14:15]
.LBB664_303:                            ;   in Loop: Header=BB664_213 Depth=1
	s_or_b64 exec, exec, s[12:13]
	v_cmp_lt_u32_e32 vcc, s20, v38
	v_mov_b32_e32 v49, 0
	v_mov_b32_e32 v63, 0
	s_and_saveexec_b64 s[12:13], vcc
	s_cbranch_execz .LBB664_309
; %bb.304:                              ;   in Loop: Header=BB664_213 Depth=1
	v_lshrrev_b32_e32 v40, 24, v38
	v_cmp_ne_u32_e32 vcc, s9, v40
	v_bfrev_b32_e32 v63, 1
	s_and_saveexec_b64 s[14:15], vcc
	s_cbranch_execz .LBB664_308
; %bb.305:                              ;   in Loop: Header=BB664_213 Depth=1
	v_bfe_u32 v38, v38, 24, 7
	v_cmp_ne_u32_e32 vcc, s19, v38
	v_mov_b32_e32 v63, 0x7f800001
	s_and_saveexec_b64 s[16:17], vcc
	s_cbranch_execz .LBB664_307
; %bb.306:                              ;   in Loop: Header=BB664_213 Depth=1
	v_and_b32_e32 v42, 7, v40
	v_ffbh_u32_e32 v64, v42
	v_min_u32_e32 v66, 32, v64
	v_subrev_u32_e32 v64, 28, v66
	v_lshlrev_b64 v[64:65], v64, v[40:41]
	v_lshrrev_b32_e32 v63, 3, v38
	v_sub_u32_e32 v65, 29, v66
	v_and_b32_e32 v64, 7, v64
	v_cmp_gt_u32_e32 vcc, 8, v38
	v_cndmask_b32_e32 v38, v63, v65, vcc
	v_cndmask_b32_e32 v42, v42, v64, vcc
	v_lshlrev_b32_e32 v40, 24, v40
	v_lshlrev_b32_e32 v42, 20, v42
	v_and_b32_e32 v40, 0x80000000, v40
	v_lshl_add_u32 v38, v38, 23, v48
	v_or3_b32 v63, v40, v38, v42
.LBB664_307:                            ;   in Loop: Header=BB664_213 Depth=1
	s_or_b64 exec, exec, s[16:17]
.LBB664_308:                            ;   in Loop: Header=BB664_213 Depth=1
	s_or_b64 exec, exec, s[14:15]
.LBB664_309:                            ;   in Loop: Header=BB664_213 Depth=1
	s_or_b64 exec, exec, s[12:13]
	v_cvt_pkrtz_f16_f32 v65, v44, v52
	buffer_load_dword v44, v61, s[0:3], 0 offen
	buffer_load_dword v42, v61, s[0:3], 0 offen offset:4
	buffer_load_dword v40, v61, s[0:3], 0 offen offset:8
	;; [unrolled: 1-line block ×3, first 2 shown]
	v_cvt_pkrtz_f16_f32 v64, v46, v50
	v_cvt_pkrtz_f16_f32 v50, v51, v62
	;; [unrolled: 1-line block ×3, first 2 shown]
	v_mfma_f32_16x16x16f16 v[34:37], v[64:65], v[6:7], v[34:37]
	s_waitcnt vmcnt(3)
	v_cmp_ne_u16_sdwa s[14:15], v44, v47 src0_sel:BYTE_0 src1_sel:DWORD
	v_mfma_f32_16x16x16f16 v[34:37], v[50:51], v[8:9], v[34:37]
	s_and_saveexec_b64 s[12:13], s[14:15]
	s_cbranch_execz .LBB664_315
; %bb.310:                              ;   in Loop: Header=BB664_213 Depth=1
	v_cmp_ne_u16_sdwa s[16:17], v44, s9 src0_sel:BYTE_0 src1_sel:DWORD
	v_bfrev_b32_e32 v49, 1
	s_and_saveexec_b64 s[14:15], s[16:17]
	s_cbranch_execz .LBB664_314
; %bb.311:                              ;   in Loop: Header=BB664_213 Depth=1
	v_and_b32_e32 v46, 0x7f, v44
	v_cmp_ne_u32_e32 vcc, s19, v46
	v_mov_b32_e32 v49, 0x7f800001
	s_and_saveexec_b64 s[16:17], vcc
	s_cbranch_execz .LBB664_313
; %bb.312:                              ;   in Loop: Header=BB664_213 Depth=1
	v_and_b32_e32 v49, 7, v44
	v_ffbh_u32_e32 v50, v49
	v_min_u32_e32 v53, 32, v50
	v_subrev_u32_e32 v50, 28, v53
	v_lshlrev_b64 v[50:51], v50, v[44:45]
	v_lshrrev_b32_e32 v52, 3, v46
	v_sub_u32_e32 v51, 29, v53
	v_and_b32_e32 v50, 7, v50
	v_cmp_gt_u32_e32 vcc, 8, v46
	v_cndmask_b32_e32 v46, v52, v51, vcc
	v_cndmask_b32_e32 v49, v49, v50, vcc
	v_lshlrev_b32_e32 v50, 24, v44
	v_lshlrev_b32_e32 v49, 20, v49
	v_and_b32_e32 v50, 0x80000000, v50
	v_lshl_add_u32 v46, v46, 23, v48
	v_or3_b32 v49, v50, v46, v49
.LBB664_313:                            ;   in Loop: Header=BB664_213 Depth=1
	s_or_b64 exec, exec, s[16:17]
.LBB664_314:                            ;   in Loop: Header=BB664_213 Depth=1
	s_or_b64 exec, exec, s[14:15]
.LBB664_315:                            ;   in Loop: Header=BB664_213 Depth=1
	s_or_b64 exec, exec, s[12:13]
	v_lshrrev_b16_e32 v46, 8, v44
	v_cmp_ne_u16_e32 vcc, 0, v46
	v_mov_b32_e32 v50, 0
	v_mov_b32_e32 v51, 0
	s_and_saveexec_b64 s[12:13], vcc
	s_cbranch_execz .LBB664_321
; %bb.316:                              ;   in Loop: Header=BB664_213 Depth=1
	v_cmp_ne_u16_e32 vcc, s9, v46
	v_bfrev_b32_e32 v51, 1
	s_and_saveexec_b64 s[14:15], vcc
	s_cbranch_execz .LBB664_320
; %bb.317:                              ;   in Loop: Header=BB664_213 Depth=1
	v_and_b32_e32 v52, 0x7f, v46
	v_cmp_ne_u32_e32 vcc, s19, v52
	v_mov_b32_e32 v51, 0x7f800001
	s_and_saveexec_b64 s[16:17], vcc
	s_cbranch_execz .LBB664_319
; %bb.318:                              ;   in Loop: Header=BB664_213 Depth=1
	v_and_b32_e32 v51, 7, v46
	v_ffbh_u32_e32 v61, v51
	v_min_u32_e32 v61, 32, v61
	v_subrev_u32_e32 v62, 28, v61
	v_lshlrev_b64 v[62:63], v62, v[46:47]
	v_lshrrev_b32_e32 v53, 3, v52
	v_sub_u32_e32 v46, 29, v61
	v_and_b32_e32 v61, 7, v62
	v_cmp_gt_u32_e32 vcc, 8, v52
	v_cndmask_b32_e32 v46, v53, v46, vcc
	v_cndmask_b32_e32 v51, v51, v61, vcc
	v_lshlrev_b32_e32 v52, 16, v44
	v_lshlrev_b32_e32 v51, 20, v51
	v_and_b32_e32 v52, 0x80000000, v52
	v_lshl_add_u32 v46, v46, 23, v48
	v_or3_b32 v51, v52, v46, v51
.LBB664_319:                            ;   in Loop: Header=BB664_213 Depth=1
	s_or_b64 exec, exec, s[16:17]
.LBB664_320:                            ;   in Loop: Header=BB664_213 Depth=1
	s_or_b64 exec, exec, s[14:15]
.LBB664_321:                            ;   in Loop: Header=BB664_213 Depth=1
	s_or_b64 exec, exec, s[12:13]
	v_lshrrev_b32_e32 v46, 16, v44
	v_cmp_ne_u16_sdwa s[14:15], v46, v47 src0_sel:BYTE_0 src1_sel:DWORD
	s_and_saveexec_b64 s[12:13], s[14:15]
	s_cbranch_execz .LBB664_327
; %bb.322:                              ;   in Loop: Header=BB664_213 Depth=1
	v_cmp_ne_u16_sdwa s[16:17], v46, s9 src0_sel:BYTE_0 src1_sel:DWORD
	v_bfrev_b32_e32 v50, 1
	s_and_saveexec_b64 s[14:15], s[16:17]
	s_cbranch_execz .LBB664_326
; %bb.323:                              ;   in Loop: Header=BB664_213 Depth=1
	v_bfe_u32 v52, v44, 16, 7
	v_cmp_ne_u32_e32 vcc, s19, v52
	v_mov_b32_e32 v50, 0x7f800001
	s_and_saveexec_b64 s[16:17], vcc
	s_cbranch_execz .LBB664_325
; %bb.324:                              ;   in Loop: Header=BB664_213 Depth=1
	v_and_b32_e32 v50, 7, v46
	v_ffbh_u32_e32 v61, v50
	v_min_u32_e32 v61, 32, v61
	v_subrev_u32_e32 v62, 28, v61
	v_lshlrev_b64 v[62:63], v62, v[46:47]
	v_lshrrev_b32_e32 v53, 3, v52
	v_sub_u32_e32 v61, 29, v61
	v_and_b32_e32 v62, 7, v62
	v_cmp_gt_u32_e32 vcc, 8, v52
	v_cndmask_b32_e32 v52, v53, v61, vcc
	v_cndmask_b32_e32 v50, v50, v62, vcc
	v_lshlrev_b32_e32 v46, 24, v46
	v_lshlrev_b32_e32 v50, 20, v50
	v_and_b32_e32 v46, 0x80000000, v46
	v_lshl_add_u32 v52, v52, 23, v48
	v_or3_b32 v50, v46, v52, v50
.LBB664_325:                            ;   in Loop: Header=BB664_213 Depth=1
	s_or_b64 exec, exec, s[16:17]
.LBB664_326:                            ;   in Loop: Header=BB664_213 Depth=1
	s_or_b64 exec, exec, s[14:15]
.LBB664_327:                            ;   in Loop: Header=BB664_213 Depth=1
	s_or_b64 exec, exec, s[12:13]
	v_cmp_lt_u32_e32 vcc, s20, v44
	v_mov_b32_e32 v52, 0
	v_mov_b32_e32 v53, 0
	s_and_saveexec_b64 s[12:13], vcc
	s_cbranch_execz .LBB664_333
; %bb.328:                              ;   in Loop: Header=BB664_213 Depth=1
	v_lshrrev_b32_e32 v46, 24, v44
	v_cmp_ne_u32_e32 vcc, s9, v46
	v_bfrev_b32_e32 v53, 1
	s_and_saveexec_b64 s[14:15], vcc
	s_cbranch_execz .LBB664_332
; %bb.329:                              ;   in Loop: Header=BB664_213 Depth=1
	v_bfe_u32 v44, v44, 24, 7
	v_cmp_ne_u32_e32 vcc, s19, v44
	v_mov_b32_e32 v53, 0x7f800001
	s_and_saveexec_b64 s[16:17], vcc
	s_cbranch_execz .LBB664_331
; %bb.330:                              ;   in Loop: Header=BB664_213 Depth=1
	v_and_b32_e32 v53, 7, v46
	v_ffbh_u32_e32 v62, v53
	v_min_u32_e32 v64, 32, v62
	v_subrev_u32_e32 v62, 28, v64
	v_lshlrev_b64 v[62:63], v62, v[46:47]
	v_lshrrev_b32_e32 v61, 3, v44
	v_sub_u32_e32 v63, 29, v64
	v_and_b32_e32 v62, 7, v62
	v_cmp_gt_u32_e32 vcc, 8, v44
	v_cndmask_b32_e32 v44, v61, v63, vcc
	v_cndmask_b32_e32 v53, v53, v62, vcc
	v_lshlrev_b32_e32 v46, 24, v46
	v_lshlrev_b32_e32 v53, 20, v53
	v_and_b32_e32 v46, 0x80000000, v46
	v_lshl_add_u32 v44, v44, 23, v48
	v_or3_b32 v53, v46, v44, v53
.LBB664_331:                            ;   in Loop: Header=BB664_213 Depth=1
	s_or_b64 exec, exec, s[16:17]
.LBB664_332:                            ;   in Loop: Header=BB664_213 Depth=1
	s_or_b64 exec, exec, s[14:15]
.LBB664_333:                            ;   in Loop: Header=BB664_213 Depth=1
	s_or_b64 exec, exec, s[12:13]
	s_waitcnt vmcnt(2)
	v_cmp_ne_u16_sdwa s[14:15], v42, v47 src0_sel:BYTE_0 src1_sel:DWORD
	s_and_saveexec_b64 s[12:13], s[14:15]
	s_cbranch_execz .LBB664_339
; %bb.334:                              ;   in Loop: Header=BB664_213 Depth=1
	v_cmp_ne_u16_sdwa s[16:17], v42, s9 src0_sel:BYTE_0 src1_sel:DWORD
	v_bfrev_b32_e32 v52, 1
	s_and_saveexec_b64 s[14:15], s[16:17]
	s_cbranch_execz .LBB664_338
; %bb.335:                              ;   in Loop: Header=BB664_213 Depth=1
	v_and_b32_e32 v44, 0x7f, v42
	v_cmp_ne_u32_e32 vcc, s19, v44
	v_mov_b32_e32 v52, 0x7f800001
	s_and_saveexec_b64 s[16:17], vcc
	s_cbranch_execz .LBB664_337
; %bb.336:                              ;   in Loop: Header=BB664_213 Depth=1
	v_and_b32_e32 v46, 7, v42
	v_ffbh_u32_e32 v61, v46
	v_min_u32_e32 v61, 32, v61
	v_subrev_u32_e32 v62, 28, v61
	v_lshlrev_b64 v[62:63], v62, v[42:43]
	v_lshrrev_b32_e32 v52, 3, v44
	v_sub_u32_e32 v61, 29, v61
	v_and_b32_e32 v62, 7, v62
	v_cmp_gt_u32_e32 vcc, 8, v44
	v_cndmask_b32_e32 v44, v52, v61, vcc
	v_cndmask_b32_e32 v46, v46, v62, vcc
	v_lshlrev_b32_e32 v52, 24, v42
	v_lshlrev_b32_e32 v46, 20, v46
	v_and_b32_e32 v52, 0x80000000, v52
	v_lshl_add_u32 v44, v44, 23, v48
	v_or3_b32 v52, v52, v44, v46
.LBB664_337:                            ;   in Loop: Header=BB664_213 Depth=1
	s_or_b64 exec, exec, s[16:17]
.LBB664_338:                            ;   in Loop: Header=BB664_213 Depth=1
	s_or_b64 exec, exec, s[14:15]
.LBB664_339:                            ;   in Loop: Header=BB664_213 Depth=1
	s_or_b64 exec, exec, s[12:13]
	v_lshrrev_b16_e32 v44, 8, v42
	v_cmp_ne_u16_e32 vcc, 0, v44
	v_mov_b32_e32 v61, 0
	v_mov_b32_e32 v62, 0
	s_and_saveexec_b64 s[12:13], vcc
	s_cbranch_execz .LBB664_345
; %bb.340:                              ;   in Loop: Header=BB664_213 Depth=1
	v_cmp_ne_u16_e32 vcc, s9, v44
	v_bfrev_b32_e32 v62, 1
	s_and_saveexec_b64 s[14:15], vcc
	s_cbranch_execz .LBB664_344
; %bb.341:                              ;   in Loop: Header=BB664_213 Depth=1
	v_and_b32_e32 v46, 0x7f, v44
	v_cmp_ne_u32_e32 vcc, s19, v46
	v_mov_b32_e32 v62, 0x7f800001
	s_and_saveexec_b64 s[16:17], vcc
	s_cbranch_execz .LBB664_343
; %bb.342:                              ;   in Loop: Header=BB664_213 Depth=1
	v_and_b32_e32 v64, 7, v44
	v_ffbh_u32_e32 v62, v64
	v_min_u32_e32 v66, 32, v62
	v_subrev_u32_e32 v62, 28, v66
	v_lshlrev_b64 v[62:63], v62, v[44:45]
	v_lshrrev_b32_e32 v65, 3, v46
	v_sub_u32_e32 v44, 29, v66
	v_and_b32_e32 v62, 7, v62
	v_cmp_gt_u32_e32 vcc, 8, v46
	v_cndmask_b32_e32 v44, v65, v44, vcc
	v_cndmask_b32_e32 v46, v64, v62, vcc
	v_lshlrev_b32_e32 v62, 16, v42
	v_lshlrev_b32_e32 v46, 20, v46
	v_and_b32_e32 v62, 0x80000000, v62
	v_lshl_add_u32 v44, v44, 23, v48
	v_or3_b32 v62, v62, v44, v46
.LBB664_343:                            ;   in Loop: Header=BB664_213 Depth=1
	s_or_b64 exec, exec, s[16:17]
.LBB664_344:                            ;   in Loop: Header=BB664_213 Depth=1
	s_or_b64 exec, exec, s[14:15]
.LBB664_345:                            ;   in Loop: Header=BB664_213 Depth=1
	s_or_b64 exec, exec, s[12:13]
	v_lshrrev_b32_e32 v44, 16, v42
	v_cmp_ne_u16_sdwa s[14:15], v44, v47 src0_sel:BYTE_0 src1_sel:DWORD
	s_and_saveexec_b64 s[12:13], s[14:15]
	s_cbranch_execz .LBB664_351
; %bb.346:                              ;   in Loop: Header=BB664_213 Depth=1
	v_cmp_ne_u16_sdwa s[16:17], v44, s9 src0_sel:BYTE_0 src1_sel:DWORD
	v_bfrev_b32_e32 v61, 1
	s_and_saveexec_b64 s[14:15], s[16:17]
	s_cbranch_execz .LBB664_350
; %bb.347:                              ;   in Loop: Header=BB664_213 Depth=1
	v_bfe_u32 v46, v42, 16, 7
	v_cmp_ne_u32_e32 vcc, s19, v46
	v_mov_b32_e32 v61, 0x7f800001
	s_and_saveexec_b64 s[16:17], vcc
	s_cbranch_execz .LBB664_349
; %bb.348:                              ;   in Loop: Header=BB664_213 Depth=1
	v_and_b32_e32 v61, 7, v44
	v_ffbh_u32_e32 v64, v61
	v_min_u32_e32 v66, 32, v64
	v_subrev_u32_e32 v64, 28, v66
	v_lshlrev_b64 v[64:65], v64, v[44:45]
	v_lshrrev_b32_e32 v63, 3, v46
	v_sub_u32_e32 v65, 29, v66
	v_and_b32_e32 v64, 7, v64
	v_cmp_gt_u32_e32 vcc, 8, v46
	v_cndmask_b32_e32 v46, v63, v65, vcc
	v_cndmask_b32_e32 v61, v61, v64, vcc
	v_lshlrev_b32_e32 v44, 24, v44
	v_lshlrev_b32_e32 v61, 20, v61
	v_and_b32_e32 v44, 0x80000000, v44
	v_lshl_add_u32 v46, v46, 23, v48
	v_or3_b32 v61, v44, v46, v61
.LBB664_349:                            ;   in Loop: Header=BB664_213 Depth=1
	s_or_b64 exec, exec, s[16:17]
.LBB664_350:                            ;   in Loop: Header=BB664_213 Depth=1
	s_or_b64 exec, exec, s[14:15]
.LBB664_351:                            ;   in Loop: Header=BB664_213 Depth=1
	s_or_b64 exec, exec, s[12:13]
	v_cmp_lt_u32_e32 vcc, s20, v42
	v_mov_b32_e32 v46, 0
	v_mov_b32_e32 v63, 0
	s_and_saveexec_b64 s[12:13], vcc
	s_cbranch_execz .LBB664_357
; %bb.352:                              ;   in Loop: Header=BB664_213 Depth=1
	v_lshrrev_b32_e32 v44, 24, v42
	v_cmp_ne_u32_e32 vcc, s9, v44
	v_bfrev_b32_e32 v63, 1
	s_and_saveexec_b64 s[14:15], vcc
	s_cbranch_execz .LBB664_356
; %bb.353:                              ;   in Loop: Header=BB664_213 Depth=1
	v_bfe_u32 v42, v42, 24, 7
	v_cmp_ne_u32_e32 vcc, s19, v42
	v_mov_b32_e32 v63, 0x7f800001
	s_and_saveexec_b64 s[16:17], vcc
	s_cbranch_execz .LBB664_355
; %bb.354:                              ;   in Loop: Header=BB664_213 Depth=1
	v_and_b32_e32 v63, 7, v44
	v_ffbh_u32_e32 v64, v63
	v_min_u32_e32 v67, 32, v64
	v_subrev_u32_e32 v64, 28, v67
	v_lshlrev_b64 v[64:65], v64, v[44:45]
	v_lshrrev_b32_e32 v66, 3, v42
	v_sub_u32_e32 v65, 29, v67
	v_and_b32_e32 v64, 7, v64
	v_cmp_gt_u32_e32 vcc, 8, v42
	v_cndmask_b32_e32 v42, v66, v65, vcc
	v_cndmask_b32_e32 v63, v63, v64, vcc
	v_lshlrev_b32_e32 v44, 24, v44
	v_lshlrev_b32_e32 v63, 20, v63
	v_and_b32_e32 v44, 0x80000000, v44
	v_lshl_add_u32 v42, v42, 23, v48
	v_or3_b32 v63, v44, v42, v63
.LBB664_355:                            ;   in Loop: Header=BB664_213 Depth=1
	s_or_b64 exec, exec, s[16:17]
.LBB664_356:                            ;   in Loop: Header=BB664_213 Depth=1
	s_or_b64 exec, exec, s[14:15]
.LBB664_357:                            ;   in Loop: Header=BB664_213 Depth=1
	s_or_b64 exec, exec, s[12:13]
	v_cvt_pkrtz_f16_f32 v64, v49, v51
	v_cvt_pkrtz_f16_f32 v65, v50, v53
	;; [unrolled: 1-line block ×4, first 2 shown]
	s_waitcnt vmcnt(1)
	v_cmp_ne_u16_sdwa s[14:15], v40, v47 src0_sel:BYTE_0 src1_sel:DWORD
	v_mfma_f32_16x16x16f16 v[34:37], v[64:65], v[10:11], v[34:37]
	v_mfma_f32_16x16x16f16 v[34:37], v[50:51], v[12:13], v[34:37]
	s_and_saveexec_b64 s[12:13], s[14:15]
	s_cbranch_execz .LBB664_363
; %bb.358:                              ;   in Loop: Header=BB664_213 Depth=1
	v_cmp_ne_u16_sdwa s[16:17], v40, s9 src0_sel:BYTE_0 src1_sel:DWORD
	v_bfrev_b32_e32 v46, 1
	s_and_saveexec_b64 s[14:15], s[16:17]
	s_cbranch_execz .LBB664_362
; %bb.359:                              ;   in Loop: Header=BB664_213 Depth=1
	v_and_b32_e32 v42, 0x7f, v40
	v_cmp_ne_u32_e32 vcc, s19, v42
	v_mov_b32_e32 v46, 0x7f800001
	s_and_saveexec_b64 s[16:17], vcc
	s_cbranch_execz .LBB664_361
; %bb.360:                              ;   in Loop: Header=BB664_213 Depth=1
	v_and_b32_e32 v44, 7, v40
	v_ffbh_u32_e32 v49, v44
	v_min_u32_e32 v49, 32, v49
	v_subrev_u32_e32 v50, 28, v49
	v_lshlrev_b64 v[50:51], v50, v[40:41]
	v_lshrrev_b32_e32 v46, 3, v42
	v_sub_u32_e32 v49, 29, v49
	v_and_b32_e32 v50, 7, v50
	v_cmp_gt_u32_e32 vcc, 8, v42
	v_cndmask_b32_e32 v42, v46, v49, vcc
	v_cndmask_b32_e32 v44, v44, v50, vcc
	v_lshlrev_b32_e32 v46, 24, v40
	v_lshlrev_b32_e32 v44, 20, v44
	v_and_b32_e32 v46, 0x80000000, v46
	v_lshl_add_u32 v42, v42, 23, v48
	v_or3_b32 v46, v46, v42, v44
.LBB664_361:                            ;   in Loop: Header=BB664_213 Depth=1
	s_or_b64 exec, exec, s[16:17]
.LBB664_362:                            ;   in Loop: Header=BB664_213 Depth=1
	s_or_b64 exec, exec, s[14:15]
.LBB664_363:                            ;   in Loop: Header=BB664_213 Depth=1
	s_or_b64 exec, exec, s[12:13]
	v_lshrrev_b16_e32 v42, 8, v40
	v_cmp_ne_u16_e32 vcc, 0, v42
	v_mov_b32_e32 v44, 0
	v_mov_b32_e32 v50, 0
	s_and_saveexec_b64 s[12:13], vcc
	s_cbranch_execz .LBB664_369
; %bb.364:                              ;   in Loop: Header=BB664_213 Depth=1
	v_cmp_ne_u16_e32 vcc, s9, v42
	v_bfrev_b32_e32 v50, 1
	s_and_saveexec_b64 s[14:15], vcc
	s_cbranch_execz .LBB664_368
; %bb.365:                              ;   in Loop: Header=BB664_213 Depth=1
	v_and_b32_e32 v49, 0x7f, v42
	v_cmp_ne_u32_e32 vcc, s19, v49
	v_mov_b32_e32 v50, 0x7f800001
	s_and_saveexec_b64 s[16:17], vcc
	s_cbranch_execz .LBB664_367
; %bb.366:                              ;   in Loop: Header=BB664_213 Depth=1
	v_and_b32_e32 v52, 7, v42
	v_ffbh_u32_e32 v50, v52
	v_min_u32_e32 v61, 32, v50
	v_subrev_u32_e32 v50, 28, v61
	v_lshlrev_b64 v[50:51], v50, v[42:43]
	v_lshrrev_b32_e32 v53, 3, v49
	v_sub_u32_e32 v42, 29, v61
	v_and_b32_e32 v50, 7, v50
	v_cmp_gt_u32_e32 vcc, 8, v49
	v_cndmask_b32_e32 v42, v53, v42, vcc
	v_cndmask_b32_e32 v49, v52, v50, vcc
	v_lshlrev_b32_e32 v50, 16, v40
	v_lshlrev_b32_e32 v49, 20, v49
	v_and_b32_e32 v50, 0x80000000, v50
	v_lshl_add_u32 v42, v42, 23, v48
	v_or3_b32 v50, v50, v42, v49
.LBB664_367:                            ;   in Loop: Header=BB664_213 Depth=1
	s_or_b64 exec, exec, s[16:17]
.LBB664_368:                            ;   in Loop: Header=BB664_213 Depth=1
	s_or_b64 exec, exec, s[14:15]
.LBB664_369:                            ;   in Loop: Header=BB664_213 Depth=1
	s_or_b64 exec, exec, s[12:13]
	v_lshrrev_b32_e32 v42, 16, v40
	v_cmp_ne_u16_sdwa s[14:15], v42, v47 src0_sel:BYTE_0 src1_sel:DWORD
	s_and_saveexec_b64 s[12:13], s[14:15]
	s_cbranch_execz .LBB664_375
; %bb.370:                              ;   in Loop: Header=BB664_213 Depth=1
	v_cmp_ne_u16_sdwa s[16:17], v42, s9 src0_sel:BYTE_0 src1_sel:DWORD
	v_bfrev_b32_e32 v44, 1
	s_and_saveexec_b64 s[14:15], s[16:17]
	s_cbranch_execz .LBB664_374
; %bb.371:                              ;   in Loop: Header=BB664_213 Depth=1
	v_bfe_u32 v49, v40, 16, 7
	v_cmp_ne_u32_e32 vcc, s19, v49
	v_mov_b32_e32 v44, 0x7f800001
	s_and_saveexec_b64 s[16:17], vcc
	s_cbranch_execz .LBB664_373
; %bb.372:                              ;   in Loop: Header=BB664_213 Depth=1
	v_and_b32_e32 v44, 7, v42
	v_ffbh_u32_e32 v52, v44
	v_min_u32_e32 v61, 32, v52
	v_subrev_u32_e32 v52, 28, v61
	v_lshlrev_b64 v[52:53], v52, v[42:43]
	v_lshrrev_b32_e32 v51, 3, v49
	v_sub_u32_e32 v53, 29, v61
	v_and_b32_e32 v52, 7, v52
	v_cmp_gt_u32_e32 vcc, 8, v49
	v_cndmask_b32_e32 v49, v51, v53, vcc
	v_cndmask_b32_e32 v44, v44, v52, vcc
	v_lshlrev_b32_e32 v42, 24, v42
	v_lshlrev_b32_e32 v44, 20, v44
	v_and_b32_e32 v42, 0x80000000, v42
	v_lshl_add_u32 v49, v49, 23, v48
	v_or3_b32 v44, v42, v49, v44
.LBB664_373:                            ;   in Loop: Header=BB664_213 Depth=1
	s_or_b64 exec, exec, s[16:17]
.LBB664_374:                            ;   in Loop: Header=BB664_213 Depth=1
	s_or_b64 exec, exec, s[14:15]
.LBB664_375:                            ;   in Loop: Header=BB664_213 Depth=1
	s_or_b64 exec, exec, s[12:13]
	v_cmp_lt_u32_e32 vcc, s20, v40
	v_mov_b32_e32 v51, 0
	v_mov_b32_e32 v52, 0
	s_and_saveexec_b64 s[12:13], vcc
	s_cbranch_execz .LBB664_381
; %bb.376:                              ;   in Loop: Header=BB664_213 Depth=1
	v_lshrrev_b32_e32 v42, 24, v40
	v_cmp_ne_u32_e32 vcc, s9, v42
	v_bfrev_b32_e32 v52, 1
	s_and_saveexec_b64 s[14:15], vcc
	s_cbranch_execz .LBB664_380
; %bb.377:                              ;   in Loop: Header=BB664_213 Depth=1
	v_bfe_u32 v40, v40, 24, 7
	v_cmp_ne_u32_e32 vcc, s19, v40
	v_mov_b32_e32 v52, 0x7f800001
	s_and_saveexec_b64 s[16:17], vcc
	s_cbranch_execz .LBB664_379
; %bb.378:                              ;   in Loop: Header=BB664_213 Depth=1
	v_and_b32_e32 v49, 7, v42
	v_ffbh_u32_e32 v52, v49
	v_min_u32_e32 v62, 32, v52
	v_subrev_u32_e32 v52, 28, v62
	v_lshlrev_b64 v[52:53], v52, v[42:43]
	v_lshrrev_b32_e32 v61, 3, v40
	v_sub_u32_e32 v53, 29, v62
	v_and_b32_e32 v52, 7, v52
	v_cmp_gt_u32_e32 vcc, 8, v40
	v_cndmask_b32_e32 v40, v61, v53, vcc
	v_cndmask_b32_e32 v49, v49, v52, vcc
	v_lshlrev_b32_e32 v42, 24, v42
	v_lshlrev_b32_e32 v49, 20, v49
	v_and_b32_e32 v42, 0x80000000, v42
	v_lshl_add_u32 v40, v40, 23, v48
	v_or3_b32 v52, v42, v40, v49
.LBB664_379:                            ;   in Loop: Header=BB664_213 Depth=1
	s_or_b64 exec, exec, s[16:17]
.LBB664_380:                            ;   in Loop: Header=BB664_213 Depth=1
	s_or_b64 exec, exec, s[14:15]
.LBB664_381:                            ;   in Loop: Header=BB664_213 Depth=1
	s_or_b64 exec, exec, s[12:13]
	s_waitcnt vmcnt(0)
	v_cmp_ne_u16_sdwa s[14:15], v38, v47 src0_sel:BYTE_0 src1_sel:DWORD
	s_and_saveexec_b64 s[12:13], s[14:15]
	s_cbranch_execz .LBB664_387
; %bb.382:                              ;   in Loop: Header=BB664_213 Depth=1
	v_cmp_ne_u16_sdwa s[16:17], v38, s9 src0_sel:BYTE_0 src1_sel:DWORD
	v_bfrev_b32_e32 v51, 1
	s_and_saveexec_b64 s[14:15], s[16:17]
	s_cbranch_execz .LBB664_386
; %bb.383:                              ;   in Loop: Header=BB664_213 Depth=1
	v_and_b32_e32 v40, 0x7f, v38
	v_cmp_ne_u32_e32 vcc, s19, v40
	v_mov_b32_e32 v51, 0x7f800001
	s_and_saveexec_b64 s[16:17], vcc
	s_cbranch_execz .LBB664_385
; %bb.384:                              ;   in Loop: Header=BB664_213 Depth=1
	v_and_b32_e32 v42, 7, v38
	v_ffbh_u32_e32 v51, v42
	v_min_u32_e32 v51, 32, v51
	v_subrev_u32_e32 v53, 28, v51
	v_lshlrev_b64 v[62:63], v53, v[38:39]
	v_lshrrev_b32_e32 v49, 3, v40
	v_sub_u32_e32 v51, 29, v51
	v_and_b32_e32 v53, 7, v62
	v_cmp_gt_u32_e32 vcc, 8, v40
	v_cndmask_b32_e32 v40, v49, v51, vcc
	v_cndmask_b32_e32 v42, v42, v53, vcc
	v_lshlrev_b32_e32 v49, 24, v38
	v_lshlrev_b32_e32 v42, 20, v42
	v_and_b32_e32 v49, 0x80000000, v49
	v_lshl_add_u32 v40, v40, 23, v48
	v_or3_b32 v51, v49, v40, v42
.LBB664_385:                            ;   in Loop: Header=BB664_213 Depth=1
	s_or_b64 exec, exec, s[16:17]
.LBB664_386:                            ;   in Loop: Header=BB664_213 Depth=1
	s_or_b64 exec, exec, s[14:15]
.LBB664_387:                            ;   in Loop: Header=BB664_213 Depth=1
	s_or_b64 exec, exec, s[12:13]
	v_lshrrev_b16_e32 v40, 8, v38
	v_cmp_ne_u16_e32 vcc, 0, v40
	v_mov_b32_e32 v53, 0
	v_mov_b32_e32 v61, 0
	s_and_saveexec_b64 s[12:13], vcc
	s_cbranch_execz .LBB664_393
; %bb.388:                              ;   in Loop: Header=BB664_213 Depth=1
	v_cmp_ne_u16_e32 vcc, s9, v40
	v_bfrev_b32_e32 v61, 1
	s_and_saveexec_b64 s[14:15], vcc
	s_cbranch_execz .LBB664_392
; %bb.389:                              ;   in Loop: Header=BB664_213 Depth=1
	v_and_b32_e32 v42, 0x7f, v40
	v_cmp_ne_u32_e32 vcc, s19, v42
	v_mov_b32_e32 v61, 0x7f800001
	s_and_saveexec_b64 s[16:17], vcc
	s_cbranch_execz .LBB664_391
; %bb.390:                              ;   in Loop: Header=BB664_213 Depth=1
	v_and_b32_e32 v49, 7, v40
	v_ffbh_u32_e32 v62, v49
	v_min_u32_e32 v64, 32, v62
	v_subrev_u32_e32 v62, 28, v64
	v_lshlrev_b64 v[62:63], v62, v[40:41]
	v_lshrrev_b32_e32 v61, 3, v42
	v_sub_u32_e32 v40, 29, v64
	v_and_b32_e32 v62, 7, v62
	v_cmp_gt_u32_e32 vcc, 8, v42
	v_cndmask_b32_e32 v40, v61, v40, vcc
	v_cndmask_b32_e32 v42, v49, v62, vcc
	v_lshlrev_b32_e32 v49, 16, v38
	v_lshlrev_b32_e32 v42, 20, v42
	v_and_b32_e32 v49, 0x80000000, v49
	v_lshl_add_u32 v40, v40, 23, v48
	v_or3_b32 v61, v49, v40, v42
.LBB664_391:                            ;   in Loop: Header=BB664_213 Depth=1
	s_or_b64 exec, exec, s[16:17]
.LBB664_392:                            ;   in Loop: Header=BB664_213 Depth=1
	s_or_b64 exec, exec, s[14:15]
.LBB664_393:                            ;   in Loop: Header=BB664_213 Depth=1
	s_or_b64 exec, exec, s[12:13]
	v_lshrrev_b32_e32 v40, 16, v38
	v_cmp_ne_u16_sdwa s[14:15], v40, v47 src0_sel:BYTE_0 src1_sel:DWORD
	s_and_saveexec_b64 s[12:13], s[14:15]
	s_cbranch_execz .LBB664_399
; %bb.394:                              ;   in Loop: Header=BB664_213 Depth=1
	v_cmp_ne_u16_sdwa s[16:17], v40, s9 src0_sel:BYTE_0 src1_sel:DWORD
	v_bfrev_b32_e32 v53, 1
	s_and_saveexec_b64 s[14:15], s[16:17]
	s_cbranch_execz .LBB664_398
; %bb.395:                              ;   in Loop: Header=BB664_213 Depth=1
	v_bfe_u32 v42, v38, 16, 7
	v_cmp_ne_u32_e32 vcc, s19, v42
	v_mov_b32_e32 v53, 0x7f800001
	s_and_saveexec_b64 s[16:17], vcc
	s_cbranch_execz .LBB664_397
; %bb.396:                              ;   in Loop: Header=BB664_213 Depth=1
	v_and_b32_e32 v49, 7, v40
	v_ffbh_u32_e32 v62, v49
	v_min_u32_e32 v64, 32, v62
	v_subrev_u32_e32 v62, 28, v64
	v_lshlrev_b64 v[62:63], v62, v[40:41]
	v_lshrrev_b32_e32 v53, 3, v42
	v_sub_u32_e32 v63, 29, v64
	v_and_b32_e32 v62, 7, v62
	v_cmp_gt_u32_e32 vcc, 8, v42
	v_cndmask_b32_e32 v42, v53, v63, vcc
	v_cndmask_b32_e32 v49, v49, v62, vcc
	v_lshlrev_b32_e32 v40, 24, v40
	v_lshlrev_b32_e32 v49, 20, v49
	v_and_b32_e32 v40, 0x80000000, v40
	v_lshl_add_u32 v42, v42, 23, v48
	v_or3_b32 v53, v40, v42, v49
.LBB664_397:                            ;   in Loop: Header=BB664_213 Depth=1
	s_or_b64 exec, exec, s[16:17]
.LBB664_398:                            ;   in Loop: Header=BB664_213 Depth=1
	s_or_b64 exec, exec, s[14:15]
.LBB664_399:                            ;   in Loop: Header=BB664_213 Depth=1
	s_or_b64 exec, exec, s[12:13]
	v_cmp_lt_u32_e32 vcc, s20, v38
	v_mov_b32_e32 v49, 0
	v_mov_b32_e32 v62, 0
	s_and_saveexec_b64 s[12:13], vcc
	s_cbranch_execz .LBB664_405
; %bb.400:                              ;   in Loop: Header=BB664_213 Depth=1
	v_lshrrev_b32_e32 v40, 24, v38
	v_cmp_ne_u32_e32 vcc, s9, v40
	v_bfrev_b32_e32 v62, 1
	s_and_saveexec_b64 s[14:15], vcc
	s_cbranch_execz .LBB664_404
; %bb.401:                              ;   in Loop: Header=BB664_213 Depth=1
	v_bfe_u32 v38, v38, 24, 7
	v_cmp_ne_u32_e32 vcc, s19, v38
	v_mov_b32_e32 v62, 0x7f800001
	s_and_saveexec_b64 s[16:17], vcc
	s_cbranch_execz .LBB664_403
; %bb.402:                              ;   in Loop: Header=BB664_213 Depth=1
	v_and_b32_e32 v42, 7, v40
	v_ffbh_u32_e32 v62, v42
	v_min_u32_e32 v65, 32, v62
	v_subrev_u32_e32 v62, 28, v65
	v_lshlrev_b64 v[62:63], v62, v[40:41]
	v_lshrrev_b32_e32 v64, 3, v38
	v_sub_u32_e32 v63, 29, v65
	v_and_b32_e32 v62, 7, v62
	v_cmp_gt_u32_e32 vcc, 8, v38
	v_cndmask_b32_e32 v38, v64, v63, vcc
	v_cndmask_b32_e32 v42, v42, v62, vcc
	v_lshlrev_b32_e32 v40, 24, v40
	v_lshlrev_b32_e32 v42, 20, v42
	v_and_b32_e32 v40, 0x80000000, v40
	v_lshl_add_u32 v38, v38, 23, v48
	v_or3_b32 v62, v40, v38, v42
.LBB664_403:                            ;   in Loop: Header=BB664_213 Depth=1
	s_or_b64 exec, exec, s[16:17]
.LBB664_404:                            ;   in Loop: Header=BB664_213 Depth=1
	s_or_b64 exec, exec, s[14:15]
.LBB664_405:                            ;   in Loop: Header=BB664_213 Depth=1
	s_or_b64 exec, exec, s[12:13]
	v_cvt_pkrtz_f16_f32 v65, v44, v52
	buffer_load_dword v44, v60, s[0:3], 0 offen
	buffer_load_dword v42, v60, s[0:3], 0 offen offset:4
	buffer_load_dword v40, v60, s[0:3], 0 offen offset:8
	;; [unrolled: 1-line block ×3, first 2 shown]
	v_cvt_pkrtz_f16_f32 v64, v46, v50
	v_cvt_pkrtz_f16_f32 v50, v51, v61
	;; [unrolled: 1-line block ×3, first 2 shown]
	v_mfma_f32_16x16x16f16 v[34:37], v[64:65], v[14:15], v[34:37]
	s_waitcnt vmcnt(3)
	v_cmp_ne_u16_sdwa s[14:15], v44, v47 src0_sel:BYTE_0 src1_sel:DWORD
	v_mfma_f32_16x16x16f16 v[34:37], v[50:51], v[16:17], v[34:37]
	s_and_saveexec_b64 s[12:13], s[14:15]
	s_cbranch_execz .LBB664_411
; %bb.406:                              ;   in Loop: Header=BB664_213 Depth=1
	v_cmp_ne_u16_sdwa s[16:17], v44, s9 src0_sel:BYTE_0 src1_sel:DWORD
	v_bfrev_b32_e32 v49, 1
	s_and_saveexec_b64 s[14:15], s[16:17]
	s_cbranch_execz .LBB664_410
; %bb.407:                              ;   in Loop: Header=BB664_213 Depth=1
	v_and_b32_e32 v46, 0x7f, v44
	v_cmp_ne_u32_e32 vcc, s19, v46
	v_mov_b32_e32 v49, 0x7f800001
	s_and_saveexec_b64 s[16:17], vcc
	s_cbranch_execz .LBB664_409
; %bb.408:                              ;   in Loop: Header=BB664_213 Depth=1
	v_and_b32_e32 v49, 7, v44
	v_ffbh_u32_e32 v50, v49
	v_min_u32_e32 v53, 32, v50
	v_subrev_u32_e32 v50, 28, v53
	v_lshlrev_b64 v[50:51], v50, v[44:45]
	v_lshrrev_b32_e32 v52, 3, v46
	v_sub_u32_e32 v51, 29, v53
	v_and_b32_e32 v50, 7, v50
	v_cmp_gt_u32_e32 vcc, 8, v46
	v_cndmask_b32_e32 v46, v52, v51, vcc
	v_cndmask_b32_e32 v49, v49, v50, vcc
	v_lshlrev_b32_e32 v50, 24, v44
	v_lshlrev_b32_e32 v49, 20, v49
	v_and_b32_e32 v50, 0x80000000, v50
	v_lshl_add_u32 v46, v46, 23, v48
	v_or3_b32 v49, v50, v46, v49
.LBB664_409:                            ;   in Loop: Header=BB664_213 Depth=1
	s_or_b64 exec, exec, s[16:17]
.LBB664_410:                            ;   in Loop: Header=BB664_213 Depth=1
	s_or_b64 exec, exec, s[14:15]
.LBB664_411:                            ;   in Loop: Header=BB664_213 Depth=1
	s_or_b64 exec, exec, s[12:13]
	v_lshrrev_b16_e32 v46, 8, v44
	v_cmp_ne_u16_e32 vcc, 0, v46
	v_mov_b32_e32 v50, 0
	v_mov_b32_e32 v51, 0
	s_and_saveexec_b64 s[12:13], vcc
	s_cbranch_execz .LBB664_417
; %bb.412:                              ;   in Loop: Header=BB664_213 Depth=1
	v_cmp_ne_u16_e32 vcc, s9, v46
	v_bfrev_b32_e32 v51, 1
	s_and_saveexec_b64 s[14:15], vcc
	s_cbranch_execz .LBB664_416
; %bb.413:                              ;   in Loop: Header=BB664_213 Depth=1
	v_and_b32_e32 v52, 0x7f, v46
	v_cmp_ne_u32_e32 vcc, s19, v52
	v_mov_b32_e32 v51, 0x7f800001
	s_and_saveexec_b64 s[16:17], vcc
	s_cbranch_execz .LBB664_415
; %bb.414:                              ;   in Loop: Header=BB664_213 Depth=1
	v_and_b32_e32 v51, 7, v46
	v_ffbh_u32_e32 v60, v51
	v_min_u32_e32 v62, 32, v60
	v_subrev_u32_e32 v60, 28, v62
	v_lshlrev_b64 v[60:61], v60, v[46:47]
	v_lshrrev_b32_e32 v53, 3, v52
	v_sub_u32_e32 v46, 29, v62
	v_and_b32_e32 v60, 7, v60
	v_cmp_gt_u32_e32 vcc, 8, v52
	v_cndmask_b32_e32 v46, v53, v46, vcc
	v_cndmask_b32_e32 v51, v51, v60, vcc
	v_lshlrev_b32_e32 v52, 16, v44
	v_lshlrev_b32_e32 v51, 20, v51
	v_and_b32_e32 v52, 0x80000000, v52
	v_lshl_add_u32 v46, v46, 23, v48
	v_or3_b32 v51, v52, v46, v51
.LBB664_415:                            ;   in Loop: Header=BB664_213 Depth=1
	s_or_b64 exec, exec, s[16:17]
.LBB664_416:                            ;   in Loop: Header=BB664_213 Depth=1
	s_or_b64 exec, exec, s[14:15]
.LBB664_417:                            ;   in Loop: Header=BB664_213 Depth=1
	s_or_b64 exec, exec, s[12:13]
	v_lshrrev_b32_e32 v46, 16, v44
	v_cmp_ne_u16_sdwa s[14:15], v46, v47 src0_sel:BYTE_0 src1_sel:DWORD
	s_and_saveexec_b64 s[12:13], s[14:15]
	s_cbranch_execz .LBB664_423
; %bb.418:                              ;   in Loop: Header=BB664_213 Depth=1
	v_cmp_ne_u16_sdwa s[16:17], v46, s9 src0_sel:BYTE_0 src1_sel:DWORD
	v_bfrev_b32_e32 v50, 1
	s_and_saveexec_b64 s[14:15], s[16:17]
	s_cbranch_execz .LBB664_422
; %bb.419:                              ;   in Loop: Header=BB664_213 Depth=1
	v_bfe_u32 v52, v44, 16, 7
	v_cmp_ne_u32_e32 vcc, s19, v52
	v_mov_b32_e32 v50, 0x7f800001
	s_and_saveexec_b64 s[16:17], vcc
	s_cbranch_execz .LBB664_421
; %bb.420:                              ;   in Loop: Header=BB664_213 Depth=1
	v_and_b32_e32 v50, 7, v46
	v_ffbh_u32_e32 v60, v50
	v_min_u32_e32 v62, 32, v60
	v_subrev_u32_e32 v60, 28, v62
	v_lshlrev_b64 v[60:61], v60, v[46:47]
	v_lshrrev_b32_e32 v53, 3, v52
	v_sub_u32_e32 v61, 29, v62
	v_and_b32_e32 v60, 7, v60
	v_cmp_gt_u32_e32 vcc, 8, v52
	v_cndmask_b32_e32 v52, v53, v61, vcc
	v_cndmask_b32_e32 v50, v50, v60, vcc
	v_lshlrev_b32_e32 v46, 24, v46
	v_lshlrev_b32_e32 v50, 20, v50
	v_and_b32_e32 v46, 0x80000000, v46
	v_lshl_add_u32 v52, v52, 23, v48
	v_or3_b32 v50, v46, v52, v50
.LBB664_421:                            ;   in Loop: Header=BB664_213 Depth=1
	s_or_b64 exec, exec, s[16:17]
.LBB664_422:                            ;   in Loop: Header=BB664_213 Depth=1
	s_or_b64 exec, exec, s[14:15]
.LBB664_423:                            ;   in Loop: Header=BB664_213 Depth=1
	s_or_b64 exec, exec, s[12:13]
	v_cmp_lt_u32_e32 vcc, s20, v44
	v_mov_b32_e32 v52, 0
	v_mov_b32_e32 v53, 0
	s_and_saveexec_b64 s[12:13], vcc
	s_cbranch_execz .LBB664_429
; %bb.424:                              ;   in Loop: Header=BB664_213 Depth=1
	v_lshrrev_b32_e32 v46, 24, v44
	v_cmp_ne_u32_e32 vcc, s9, v46
	v_bfrev_b32_e32 v53, 1
	s_and_saveexec_b64 s[14:15], vcc
	s_cbranch_execz .LBB664_428
; %bb.425:                              ;   in Loop: Header=BB664_213 Depth=1
	v_bfe_u32 v44, v44, 24, 7
	v_cmp_ne_u32_e32 vcc, s19, v44
	v_mov_b32_e32 v53, 0x7f800001
	s_and_saveexec_b64 s[16:17], vcc
	s_cbranch_execz .LBB664_427
; %bb.426:                              ;   in Loop: Header=BB664_213 Depth=1
	v_and_b32_e32 v53, 7, v46
	v_ffbh_u32_e32 v60, v53
	v_min_u32_e32 v63, 32, v60
	v_subrev_u32_e32 v60, 28, v63
	v_lshlrev_b64 v[60:61], v60, v[46:47]
	v_lshrrev_b32_e32 v62, 3, v44
	v_sub_u32_e32 v61, 29, v63
	v_and_b32_e32 v60, 7, v60
	v_cmp_gt_u32_e32 vcc, 8, v44
	v_cndmask_b32_e32 v44, v62, v61, vcc
	v_cndmask_b32_e32 v53, v53, v60, vcc
	v_lshlrev_b32_e32 v46, 24, v46
	v_lshlrev_b32_e32 v53, 20, v53
	v_and_b32_e32 v46, 0x80000000, v46
	v_lshl_add_u32 v44, v44, 23, v48
	v_or3_b32 v53, v46, v44, v53
.LBB664_427:                            ;   in Loop: Header=BB664_213 Depth=1
	s_or_b64 exec, exec, s[16:17]
.LBB664_428:                            ;   in Loop: Header=BB664_213 Depth=1
	s_or_b64 exec, exec, s[14:15]
.LBB664_429:                            ;   in Loop: Header=BB664_213 Depth=1
	s_or_b64 exec, exec, s[12:13]
	s_waitcnt vmcnt(2)
	v_cmp_ne_u16_sdwa s[14:15], v42, v47 src0_sel:BYTE_0 src1_sel:DWORD
	s_and_saveexec_b64 s[12:13], s[14:15]
	s_cbranch_execz .LBB664_435
; %bb.430:                              ;   in Loop: Header=BB664_213 Depth=1
	v_cmp_ne_u16_sdwa s[16:17], v42, s9 src0_sel:BYTE_0 src1_sel:DWORD
	v_bfrev_b32_e32 v52, 1
	s_and_saveexec_b64 s[14:15], s[16:17]
	s_cbranch_execz .LBB664_434
; %bb.431:                              ;   in Loop: Header=BB664_213 Depth=1
	v_and_b32_e32 v44, 0x7f, v42
	v_cmp_ne_u32_e32 vcc, s19, v44
	v_mov_b32_e32 v52, 0x7f800001
	s_and_saveexec_b64 s[16:17], vcc
	s_cbranch_execz .LBB664_433
; %bb.432:                              ;   in Loop: Header=BB664_213 Depth=1
	v_and_b32_e32 v46, 7, v42
	v_ffbh_u32_e32 v60, v46
	v_min_u32_e32 v62, 32, v60
	v_subrev_u32_e32 v60, 28, v62
	v_lshlrev_b64 v[60:61], v60, v[42:43]
	v_lshrrev_b32_e32 v52, 3, v44
	v_sub_u32_e32 v61, 29, v62
	v_and_b32_e32 v60, 7, v60
	v_cmp_gt_u32_e32 vcc, 8, v44
	v_cndmask_b32_e32 v44, v52, v61, vcc
	v_cndmask_b32_e32 v46, v46, v60, vcc
	v_lshlrev_b32_e32 v52, 24, v42
	v_lshlrev_b32_e32 v46, 20, v46
	v_and_b32_e32 v52, 0x80000000, v52
	v_lshl_add_u32 v44, v44, 23, v48
	v_or3_b32 v52, v52, v44, v46
.LBB664_433:                            ;   in Loop: Header=BB664_213 Depth=1
	s_or_b64 exec, exec, s[16:17]
.LBB664_434:                            ;   in Loop: Header=BB664_213 Depth=1
	s_or_b64 exec, exec, s[14:15]
.LBB664_435:                            ;   in Loop: Header=BB664_213 Depth=1
	s_or_b64 exec, exec, s[12:13]
	v_lshrrev_b16_e32 v44, 8, v42
	v_cmp_ne_u16_e32 vcc, 0, v44
	v_mov_b32_e32 v60, 0
	v_mov_b32_e32 v61, 0
	s_and_saveexec_b64 s[12:13], vcc
	s_cbranch_execz .LBB664_441
; %bb.436:                              ;   in Loop: Header=BB664_213 Depth=1
	v_cmp_ne_u16_e32 vcc, s9, v44
	v_bfrev_b32_e32 v61, 1
	s_and_saveexec_b64 s[14:15], vcc
	s_cbranch_execz .LBB664_440
; %bb.437:                              ;   in Loop: Header=BB664_213 Depth=1
	v_and_b32_e32 v46, 0x7f, v44
	v_cmp_ne_u32_e32 vcc, s19, v46
	v_mov_b32_e32 v61, 0x7f800001
	s_and_saveexec_b64 s[16:17], vcc
	s_cbranch_execz .LBB664_439
; %bb.438:                              ;   in Loop: Header=BB664_213 Depth=1
	v_and_b32_e32 v61, 7, v44
	v_ffbh_u32_e32 v62, v61
	v_min_u32_e32 v65, 32, v62
	v_subrev_u32_e32 v62, 28, v65
	v_lshlrev_b64 v[62:63], v62, v[44:45]
	v_lshrrev_b32_e32 v64, 3, v46
	v_sub_u32_e32 v44, 29, v65
	v_and_b32_e32 v62, 7, v62
	v_cmp_gt_u32_e32 vcc, 8, v46
	v_cndmask_b32_e32 v44, v64, v44, vcc
	v_cndmask_b32_e32 v46, v61, v62, vcc
	v_lshlrev_b32_e32 v61, 16, v42
	v_lshlrev_b32_e32 v46, 20, v46
	v_and_b32_e32 v61, 0x80000000, v61
	v_lshl_add_u32 v44, v44, 23, v48
	v_or3_b32 v61, v61, v44, v46
.LBB664_439:                            ;   in Loop: Header=BB664_213 Depth=1
	s_or_b64 exec, exec, s[16:17]
.LBB664_440:                            ;   in Loop: Header=BB664_213 Depth=1
	s_or_b64 exec, exec, s[14:15]
.LBB664_441:                            ;   in Loop: Header=BB664_213 Depth=1
	s_or_b64 exec, exec, s[12:13]
	v_lshrrev_b32_e32 v44, 16, v42
	v_cmp_ne_u16_sdwa s[14:15], v44, v47 src0_sel:BYTE_0 src1_sel:DWORD
	s_and_saveexec_b64 s[12:13], s[14:15]
	s_cbranch_execz .LBB664_447
; %bb.442:                              ;   in Loop: Header=BB664_213 Depth=1
	v_cmp_ne_u16_sdwa s[16:17], v44, s9 src0_sel:BYTE_0 src1_sel:DWORD
	v_bfrev_b32_e32 v60, 1
	s_and_saveexec_b64 s[14:15], s[16:17]
	s_cbranch_execz .LBB664_446
; %bb.443:                              ;   in Loop: Header=BB664_213 Depth=1
	v_bfe_u32 v46, v42, 16, 7
	v_cmp_ne_u32_e32 vcc, s19, v46
	v_mov_b32_e32 v60, 0x7f800001
	s_and_saveexec_b64 s[16:17], vcc
	s_cbranch_execz .LBB664_445
; %bb.444:                              ;   in Loop: Header=BB664_213 Depth=1
	v_and_b32_e32 v60, 7, v44
	v_ffbh_u32_e32 v62, v60
	v_min_u32_e32 v65, 32, v62
	v_subrev_u32_e32 v62, 28, v65
	v_lshlrev_b64 v[62:63], v62, v[44:45]
	v_lshrrev_b32_e32 v64, 3, v46
	v_sub_u32_e32 v63, 29, v65
	v_and_b32_e32 v62, 7, v62
	v_cmp_gt_u32_e32 vcc, 8, v46
	v_cndmask_b32_e32 v46, v64, v63, vcc
	v_cndmask_b32_e32 v60, v60, v62, vcc
	v_lshlrev_b32_e32 v44, 24, v44
	v_lshlrev_b32_e32 v60, 20, v60
	v_and_b32_e32 v44, 0x80000000, v44
	v_lshl_add_u32 v46, v46, 23, v48
	v_or3_b32 v60, v44, v46, v60
.LBB664_445:                            ;   in Loop: Header=BB664_213 Depth=1
	s_or_b64 exec, exec, s[16:17]
.LBB664_446:                            ;   in Loop: Header=BB664_213 Depth=1
	s_or_b64 exec, exec, s[14:15]
.LBB664_447:                            ;   in Loop: Header=BB664_213 Depth=1
	s_or_b64 exec, exec, s[12:13]
	v_cmp_lt_u32_e32 vcc, s20, v42
	v_mov_b32_e32 v46, 0
	v_mov_b32_e32 v62, 0
	s_and_saveexec_b64 s[12:13], vcc
	s_cbranch_execz .LBB664_453
; %bb.448:                              ;   in Loop: Header=BB664_213 Depth=1
	v_lshrrev_b32_e32 v44, 24, v42
	v_cmp_ne_u32_e32 vcc, s9, v44
	v_bfrev_b32_e32 v62, 1
	s_and_saveexec_b64 s[14:15], vcc
	s_cbranch_execz .LBB664_452
; %bb.449:                              ;   in Loop: Header=BB664_213 Depth=1
	v_bfe_u32 v42, v42, 24, 7
	v_cmp_ne_u32_e32 vcc, s19, v42
	v_mov_b32_e32 v62, 0x7f800001
	s_and_saveexec_b64 s[16:17], vcc
	s_cbranch_execz .LBB664_451
; %bb.450:                              ;   in Loop: Header=BB664_213 Depth=1
	v_and_b32_e32 v64, 7, v44
	v_ffbh_u32_e32 v62, v64
	v_min_u32_e32 v66, 32, v62
	v_subrev_u32_e32 v62, 28, v66
	v_lshlrev_b64 v[62:63], v62, v[44:45]
	v_lshrrev_b32_e32 v65, 3, v42
	v_sub_u32_e32 v63, 29, v66
	v_and_b32_e32 v62, 7, v62
	v_cmp_gt_u32_e32 vcc, 8, v42
	v_cndmask_b32_e32 v42, v65, v63, vcc
	v_cndmask_b32_e32 v62, v64, v62, vcc
	v_lshlrev_b32_e32 v44, 24, v44
	v_lshlrev_b32_e32 v62, 20, v62
	v_and_b32_e32 v44, 0x80000000, v44
	v_lshl_add_u32 v42, v42, 23, v48
	v_or3_b32 v62, v44, v42, v62
.LBB664_451:                            ;   in Loop: Header=BB664_213 Depth=1
	s_or_b64 exec, exec, s[16:17]
.LBB664_452:                            ;   in Loop: Header=BB664_213 Depth=1
	s_or_b64 exec, exec, s[14:15]
.LBB664_453:                            ;   in Loop: Header=BB664_213 Depth=1
	s_or_b64 exec, exec, s[12:13]
	v_cvt_pkrtz_f16_f32 v64, v49, v51
	v_cvt_pkrtz_f16_f32 v65, v50, v53
	;; [unrolled: 1-line block ×4, first 2 shown]
	s_waitcnt vmcnt(1)
	v_cmp_ne_u16_sdwa s[14:15], v40, v47 src0_sel:BYTE_0 src1_sel:DWORD
	v_mfma_f32_16x16x16f16 v[34:37], v[64:65], v[18:19], v[34:37]
	v_mfma_f32_16x16x16f16 v[34:37], v[50:51], v[20:21], v[34:37]
	s_and_saveexec_b64 s[12:13], s[14:15]
	s_cbranch_execz .LBB664_459
; %bb.454:                              ;   in Loop: Header=BB664_213 Depth=1
	v_cmp_ne_u16_sdwa s[16:17], v40, s9 src0_sel:BYTE_0 src1_sel:DWORD
	v_bfrev_b32_e32 v46, 1
	s_and_saveexec_b64 s[14:15], s[16:17]
	s_cbranch_execz .LBB664_458
; %bb.455:                              ;   in Loop: Header=BB664_213 Depth=1
	v_and_b32_e32 v42, 0x7f, v40
	v_cmp_ne_u32_e32 vcc, s19, v42
	v_mov_b32_e32 v46, 0x7f800001
	s_and_saveexec_b64 s[16:17], vcc
	s_cbranch_execz .LBB664_457
; %bb.456:                              ;   in Loop: Header=BB664_213 Depth=1
	v_and_b32_e32 v44, 7, v40
	v_ffbh_u32_e32 v49, v44
	v_min_u32_e32 v49, 32, v49
	v_subrev_u32_e32 v50, 28, v49
	v_lshlrev_b64 v[50:51], v50, v[40:41]
	v_lshrrev_b32_e32 v46, 3, v42
	v_sub_u32_e32 v49, 29, v49
	v_and_b32_e32 v50, 7, v50
	v_cmp_gt_u32_e32 vcc, 8, v42
	v_cndmask_b32_e32 v42, v46, v49, vcc
	v_cndmask_b32_e32 v44, v44, v50, vcc
	v_lshlrev_b32_e32 v46, 24, v40
	v_lshlrev_b32_e32 v44, 20, v44
	v_and_b32_e32 v46, 0x80000000, v46
	v_lshl_add_u32 v42, v42, 23, v48
	v_or3_b32 v46, v46, v42, v44
.LBB664_457:                            ;   in Loop: Header=BB664_213 Depth=1
	s_or_b64 exec, exec, s[16:17]
.LBB664_458:                            ;   in Loop: Header=BB664_213 Depth=1
	s_or_b64 exec, exec, s[14:15]
.LBB664_459:                            ;   in Loop: Header=BB664_213 Depth=1
	s_or_b64 exec, exec, s[12:13]
	v_lshrrev_b16_e32 v42, 8, v40
	v_cmp_ne_u16_e32 vcc, 0, v42
	v_mov_b32_e32 v44, 0
	v_mov_b32_e32 v50, 0
	s_and_saveexec_b64 s[12:13], vcc
	s_cbranch_execz .LBB664_465
; %bb.460:                              ;   in Loop: Header=BB664_213 Depth=1
	v_cmp_ne_u16_e32 vcc, s9, v42
	v_bfrev_b32_e32 v50, 1
	s_and_saveexec_b64 s[14:15], vcc
	s_cbranch_execz .LBB664_464
; %bb.461:                              ;   in Loop: Header=BB664_213 Depth=1
	v_and_b32_e32 v49, 0x7f, v42
	v_cmp_ne_u32_e32 vcc, s19, v49
	v_mov_b32_e32 v50, 0x7f800001
	s_and_saveexec_b64 s[16:17], vcc
	s_cbranch_execz .LBB664_463
; %bb.462:                              ;   in Loop: Header=BB664_213 Depth=1
	v_and_b32_e32 v52, 7, v42
	v_ffbh_u32_e32 v50, v52
	v_min_u32_e32 v60, 32, v50
	v_subrev_u32_e32 v50, 28, v60
	v_lshlrev_b64 v[50:51], v50, v[42:43]
	v_lshrrev_b32_e32 v53, 3, v49
	v_sub_u32_e32 v42, 29, v60
	v_and_b32_e32 v50, 7, v50
	v_cmp_gt_u32_e32 vcc, 8, v49
	v_cndmask_b32_e32 v42, v53, v42, vcc
	v_cndmask_b32_e32 v49, v52, v50, vcc
	v_lshlrev_b32_e32 v50, 16, v40
	v_lshlrev_b32_e32 v49, 20, v49
	v_and_b32_e32 v50, 0x80000000, v50
	v_lshl_add_u32 v42, v42, 23, v48
	v_or3_b32 v50, v50, v42, v49
.LBB664_463:                            ;   in Loop: Header=BB664_213 Depth=1
	s_or_b64 exec, exec, s[16:17]
.LBB664_464:                            ;   in Loop: Header=BB664_213 Depth=1
	s_or_b64 exec, exec, s[14:15]
.LBB664_465:                            ;   in Loop: Header=BB664_213 Depth=1
	s_or_b64 exec, exec, s[12:13]
	v_lshrrev_b32_e32 v42, 16, v40
	v_cmp_ne_u16_sdwa s[14:15], v42, v47 src0_sel:BYTE_0 src1_sel:DWORD
	s_and_saveexec_b64 s[12:13], s[14:15]
	s_cbranch_execz .LBB664_471
; %bb.466:                              ;   in Loop: Header=BB664_213 Depth=1
	v_cmp_ne_u16_sdwa s[16:17], v42, s9 src0_sel:BYTE_0 src1_sel:DWORD
	v_bfrev_b32_e32 v44, 1
	s_and_saveexec_b64 s[14:15], s[16:17]
	s_cbranch_execz .LBB664_470
; %bb.467:                              ;   in Loop: Header=BB664_213 Depth=1
	v_bfe_u32 v49, v40, 16, 7
	v_cmp_ne_u32_e32 vcc, s19, v49
	v_mov_b32_e32 v44, 0x7f800001
	s_and_saveexec_b64 s[16:17], vcc
	s_cbranch_execz .LBB664_469
; %bb.468:                              ;   in Loop: Header=BB664_213 Depth=1
	v_and_b32_e32 v44, 7, v42
	v_ffbh_u32_e32 v52, v44
	v_min_u32_e32 v60, 32, v52
	v_subrev_u32_e32 v52, 28, v60
	v_lshlrev_b64 v[52:53], v52, v[42:43]
	v_lshrrev_b32_e32 v51, 3, v49
	v_sub_u32_e32 v53, 29, v60
	v_and_b32_e32 v52, 7, v52
	v_cmp_gt_u32_e32 vcc, 8, v49
	v_cndmask_b32_e32 v49, v51, v53, vcc
	v_cndmask_b32_e32 v44, v44, v52, vcc
	v_lshlrev_b32_e32 v42, 24, v42
	v_lshlrev_b32_e32 v44, 20, v44
	v_and_b32_e32 v42, 0x80000000, v42
	v_lshl_add_u32 v49, v49, 23, v48
	v_or3_b32 v44, v42, v49, v44
.LBB664_469:                            ;   in Loop: Header=BB664_213 Depth=1
	s_or_b64 exec, exec, s[16:17]
.LBB664_470:                            ;   in Loop: Header=BB664_213 Depth=1
	s_or_b64 exec, exec, s[14:15]
.LBB664_471:                            ;   in Loop: Header=BB664_213 Depth=1
	s_or_b64 exec, exec, s[12:13]
	v_cmp_lt_u32_e32 vcc, s20, v40
	v_mov_b32_e32 v51, 0
	v_mov_b32_e32 v52, 0
	s_and_saveexec_b64 s[12:13], vcc
	s_cbranch_execz .LBB664_477
; %bb.472:                              ;   in Loop: Header=BB664_213 Depth=1
	v_lshrrev_b32_e32 v42, 24, v40
	v_cmp_ne_u32_e32 vcc, s9, v42
	v_bfrev_b32_e32 v52, 1
	s_and_saveexec_b64 s[14:15], vcc
	s_cbranch_execz .LBB664_476
; %bb.473:                              ;   in Loop: Header=BB664_213 Depth=1
	v_bfe_u32 v40, v40, 24, 7
	v_cmp_ne_u32_e32 vcc, s19, v40
	v_mov_b32_e32 v52, 0x7f800001
	s_and_saveexec_b64 s[16:17], vcc
	s_cbranch_execz .LBB664_475
; %bb.474:                              ;   in Loop: Header=BB664_213 Depth=1
	v_and_b32_e32 v49, 7, v42
	v_ffbh_u32_e32 v52, v49
	v_min_u32_e32 v61, 32, v52
	v_subrev_u32_e32 v52, 28, v61
	v_lshlrev_b64 v[52:53], v52, v[42:43]
	v_lshrrev_b32_e32 v60, 3, v40
	v_sub_u32_e32 v53, 29, v61
	v_and_b32_e32 v52, 7, v52
	v_cmp_gt_u32_e32 vcc, 8, v40
	v_cndmask_b32_e32 v40, v60, v53, vcc
	v_cndmask_b32_e32 v49, v49, v52, vcc
	v_lshlrev_b32_e32 v42, 24, v42
	v_lshlrev_b32_e32 v49, 20, v49
	v_and_b32_e32 v42, 0x80000000, v42
	v_lshl_add_u32 v40, v40, 23, v48
	v_or3_b32 v52, v42, v40, v49
.LBB664_475:                            ;   in Loop: Header=BB664_213 Depth=1
	s_or_b64 exec, exec, s[16:17]
.LBB664_476:                            ;   in Loop: Header=BB664_213 Depth=1
	s_or_b64 exec, exec, s[14:15]
.LBB664_477:                            ;   in Loop: Header=BB664_213 Depth=1
	s_or_b64 exec, exec, s[12:13]
	s_waitcnt vmcnt(0)
	v_cmp_ne_u16_sdwa s[14:15], v38, v47 src0_sel:BYTE_0 src1_sel:DWORD
	s_and_saveexec_b64 s[12:13], s[14:15]
	s_cbranch_execz .LBB664_483
; %bb.478:                              ;   in Loop: Header=BB664_213 Depth=1
	v_cmp_ne_u16_sdwa s[16:17], v38, s9 src0_sel:BYTE_0 src1_sel:DWORD
	v_bfrev_b32_e32 v51, 1
	s_and_saveexec_b64 s[14:15], s[16:17]
	s_cbranch_execz .LBB664_482
; %bb.479:                              ;   in Loop: Header=BB664_213 Depth=1
	v_and_b32_e32 v40, 0x7f, v38
	v_cmp_ne_u32_e32 vcc, s19, v40
	v_mov_b32_e32 v51, 0x7f800001
	s_and_saveexec_b64 s[16:17], vcc
	s_cbranch_execz .LBB664_481
; %bb.480:                              ;   in Loop: Header=BB664_213 Depth=1
	v_and_b32_e32 v42, 7, v38
	v_ffbh_u32_e32 v51, v42
	v_min_u32_e32 v51, 32, v51
	v_subrev_u32_e32 v53, 28, v51
	v_lshlrev_b64 v[60:61], v53, v[38:39]
	v_lshrrev_b32_e32 v49, 3, v40
	v_sub_u32_e32 v51, 29, v51
	v_and_b32_e32 v53, 7, v60
	v_cmp_gt_u32_e32 vcc, 8, v40
	v_cndmask_b32_e32 v40, v49, v51, vcc
	v_cndmask_b32_e32 v42, v42, v53, vcc
	v_lshlrev_b32_e32 v49, 24, v38
	v_lshlrev_b32_e32 v42, 20, v42
	v_and_b32_e32 v49, 0x80000000, v49
	v_lshl_add_u32 v40, v40, 23, v48
	v_or3_b32 v51, v49, v40, v42
.LBB664_481:                            ;   in Loop: Header=BB664_213 Depth=1
	s_or_b64 exec, exec, s[16:17]
.LBB664_482:                            ;   in Loop: Header=BB664_213 Depth=1
	s_or_b64 exec, exec, s[14:15]
.LBB664_483:                            ;   in Loop: Header=BB664_213 Depth=1
	s_or_b64 exec, exec, s[12:13]
	v_lshrrev_b16_e32 v40, 8, v38
	v_cmp_ne_u16_e32 vcc, 0, v40
	v_mov_b32_e32 v53, 0
	v_mov_b32_e32 v60, 0
	s_and_saveexec_b64 s[12:13], vcc
	s_cbranch_execz .LBB664_489
; %bb.484:                              ;   in Loop: Header=BB664_213 Depth=1
	v_cmp_ne_u16_e32 vcc, s9, v40
	v_bfrev_b32_e32 v60, 1
	s_and_saveexec_b64 s[14:15], vcc
	s_cbranch_execz .LBB664_488
; %bb.485:                              ;   in Loop: Header=BB664_213 Depth=1
	v_and_b32_e32 v42, 0x7f, v40
	v_cmp_ne_u32_e32 vcc, s19, v42
	v_mov_b32_e32 v60, 0x7f800001
	s_and_saveexec_b64 s[16:17], vcc
	s_cbranch_execz .LBB664_487
; %bb.486:                              ;   in Loop: Header=BB664_213 Depth=1
	v_and_b32_e32 v49, 7, v40
	v_ffbh_u32_e32 v60, v49
	v_min_u32_e32 v63, 32, v60
	v_subrev_u32_e32 v60, 28, v63
	v_lshlrev_b64 v[60:61], v60, v[40:41]
	v_lshrrev_b32_e32 v62, 3, v42
	v_sub_u32_e32 v40, 29, v63
	v_and_b32_e32 v60, 7, v60
	v_cmp_gt_u32_e32 vcc, 8, v42
	v_cndmask_b32_e32 v40, v62, v40, vcc
	v_cndmask_b32_e32 v42, v49, v60, vcc
	v_lshlrev_b32_e32 v49, 16, v38
	v_lshlrev_b32_e32 v42, 20, v42
	v_and_b32_e32 v49, 0x80000000, v49
	v_lshl_add_u32 v40, v40, 23, v48
	v_or3_b32 v60, v49, v40, v42
.LBB664_487:                            ;   in Loop: Header=BB664_213 Depth=1
	s_or_b64 exec, exec, s[16:17]
.LBB664_488:                            ;   in Loop: Header=BB664_213 Depth=1
	s_or_b64 exec, exec, s[14:15]
.LBB664_489:                            ;   in Loop: Header=BB664_213 Depth=1
	s_or_b64 exec, exec, s[12:13]
	v_lshrrev_b32_e32 v40, 16, v38
	v_cmp_ne_u16_sdwa s[14:15], v40, v47 src0_sel:BYTE_0 src1_sel:DWORD
	s_and_saveexec_b64 s[12:13], s[14:15]
	s_cbranch_execz .LBB664_495
; %bb.490:                              ;   in Loop: Header=BB664_213 Depth=1
	v_cmp_ne_u16_sdwa s[16:17], v40, s9 src0_sel:BYTE_0 src1_sel:DWORD
	v_bfrev_b32_e32 v53, 1
	s_and_saveexec_b64 s[14:15], s[16:17]
	s_cbranch_execz .LBB664_494
; %bb.491:                              ;   in Loop: Header=BB664_213 Depth=1
	v_bfe_u32 v42, v38, 16, 7
	v_cmp_ne_u32_e32 vcc, s19, v42
	v_mov_b32_e32 v53, 0x7f800001
	s_and_saveexec_b64 s[16:17], vcc
	s_cbranch_execz .LBB664_493
; %bb.492:                              ;   in Loop: Header=BB664_213 Depth=1
	v_and_b32_e32 v49, 7, v40
	v_ffbh_u32_e32 v61, v49
	v_min_u32_e32 v61, 32, v61
	v_subrev_u32_e32 v62, 28, v61
	v_lshlrev_b64 v[62:63], v62, v[40:41]
	v_lshrrev_b32_e32 v53, 3, v42
	v_sub_u32_e32 v61, 29, v61
	v_and_b32_e32 v62, 7, v62
	v_cmp_gt_u32_e32 vcc, 8, v42
	v_cndmask_b32_e32 v42, v53, v61, vcc
	v_cndmask_b32_e32 v49, v49, v62, vcc
	v_lshlrev_b32_e32 v40, 24, v40
	v_lshlrev_b32_e32 v49, 20, v49
	v_and_b32_e32 v40, 0x80000000, v40
	v_lshl_add_u32 v42, v42, 23, v48
	v_or3_b32 v53, v40, v42, v49
.LBB664_493:                            ;   in Loop: Header=BB664_213 Depth=1
	s_or_b64 exec, exec, s[16:17]
.LBB664_494:                            ;   in Loop: Header=BB664_213 Depth=1
	s_or_b64 exec, exec, s[14:15]
.LBB664_495:                            ;   in Loop: Header=BB664_213 Depth=1
	s_or_b64 exec, exec, s[12:13]
	v_cmp_lt_u32_e32 vcc, s20, v38
	v_mov_b32_e32 v49, 0
	v_mov_b32_e32 v61, 0
	s_and_saveexec_b64 s[12:13], vcc
	s_cbranch_execz .LBB664_501
; %bb.496:                              ;   in Loop: Header=BB664_213 Depth=1
	v_lshrrev_b32_e32 v40, 24, v38
	v_cmp_ne_u32_e32 vcc, s9, v40
	v_bfrev_b32_e32 v61, 1
	s_and_saveexec_b64 s[14:15], vcc
	s_cbranch_execz .LBB664_500
; %bb.497:                              ;   in Loop: Header=BB664_213 Depth=1
	v_bfe_u32 v38, v38, 24, 7
	v_cmp_ne_u32_e32 vcc, s19, v38
	v_mov_b32_e32 v61, 0x7f800001
	s_and_saveexec_b64 s[16:17], vcc
	s_cbranch_execz .LBB664_499
; %bb.498:                              ;   in Loop: Header=BB664_213 Depth=1
	v_and_b32_e32 v42, 7, v40
	v_ffbh_u32_e32 v62, v42
	v_min_u32_e32 v64, 32, v62
	v_subrev_u32_e32 v62, 28, v64
	v_lshlrev_b64 v[62:63], v62, v[40:41]
	v_lshrrev_b32_e32 v61, 3, v38
	v_sub_u32_e32 v63, 29, v64
	v_and_b32_e32 v62, 7, v62
	v_cmp_gt_u32_e32 vcc, 8, v38
	v_cndmask_b32_e32 v38, v61, v63, vcc
	v_cndmask_b32_e32 v42, v42, v62, vcc
	v_lshlrev_b32_e32 v40, 24, v40
	v_lshlrev_b32_e32 v42, 20, v42
	v_and_b32_e32 v40, 0x80000000, v40
	v_lshl_add_u32 v38, v38, 23, v48
	v_or3_b32 v61, v40, v38, v42
.LBB664_499:                            ;   in Loop: Header=BB664_213 Depth=1
	s_or_b64 exec, exec, s[16:17]
.LBB664_500:                            ;   in Loop: Header=BB664_213 Depth=1
	s_or_b64 exec, exec, s[14:15]
.LBB664_501:                            ;   in Loop: Header=BB664_213 Depth=1
	s_or_b64 exec, exec, s[12:13]
	v_cvt_pkrtz_f16_f32 v63, v44, v52
	buffer_load_dword v44, v41, s[0:3], 0 offen
	buffer_load_dword v42, v41, s[0:3], 0 offen offset:4
	buffer_load_dword v40, v41, s[0:3], 0 offen offset:8
	;; [unrolled: 1-line block ×3, first 2 shown]
	v_cvt_pkrtz_f16_f32 v62, v46, v50
	v_cvt_pkrtz_f16_f32 v50, v51, v60
	;; [unrolled: 1-line block ×3, first 2 shown]
	v_mfma_f32_16x16x16f16 v[34:37], v[62:63], v[22:23], v[34:37]
	s_waitcnt vmcnt(3)
	v_cmp_ne_u16_sdwa s[14:15], v44, v47 src0_sel:BYTE_0 src1_sel:DWORD
	v_mfma_f32_16x16x16f16 v[34:37], v[50:51], v[24:25], v[34:37]
	s_and_saveexec_b64 s[12:13], s[14:15]
	s_cbranch_execz .LBB664_507
; %bb.502:                              ;   in Loop: Header=BB664_213 Depth=1
	v_cmp_ne_u16_sdwa s[16:17], v44, s9 src0_sel:BYTE_0 src1_sel:DWORD
	v_bfrev_b32_e32 v49, 1
	s_and_saveexec_b64 s[14:15], s[16:17]
	s_cbranch_execz .LBB664_506
; %bb.503:                              ;   in Loop: Header=BB664_213 Depth=1
	v_and_b32_e32 v41, 0x7f, v44
	v_cmp_ne_u32_e32 vcc, s19, v41
	v_mov_b32_e32 v49, 0x7f800001
	s_and_saveexec_b64 s[16:17], vcc
	s_cbranch_execz .LBB664_505
; %bb.504:                              ;   in Loop: Header=BB664_213 Depth=1
	v_and_b32_e32 v46, 7, v44
	v_ffbh_u32_e32 v50, v46
	v_min_u32_e32 v52, 32, v50
	v_subrev_u32_e32 v50, 28, v52
	v_lshlrev_b64 v[50:51], v50, v[44:45]
	v_lshrrev_b32_e32 v49, 3, v41
	v_sub_u32_e32 v51, 29, v52
	v_and_b32_e32 v50, 7, v50
	v_cmp_gt_u32_e32 vcc, 8, v41
	v_cndmask_b32_e32 v41, v49, v51, vcc
	v_cndmask_b32_e32 v46, v46, v50, vcc
	v_lshlrev_b32_e32 v49, 24, v44
	v_lshlrev_b32_e32 v46, 20, v46
	v_and_b32_e32 v49, 0x80000000, v49
	v_lshl_add_u32 v41, v41, 23, v48
	v_or3_b32 v49, v49, v41, v46
.LBB664_505:                            ;   in Loop: Header=BB664_213 Depth=1
	s_or_b64 exec, exec, s[16:17]
.LBB664_506:                            ;   in Loop: Header=BB664_213 Depth=1
	s_or_b64 exec, exec, s[14:15]
.LBB664_507:                            ;   in Loop: Header=BB664_213 Depth=1
	s_or_b64 exec, exec, s[12:13]
	v_lshrrev_b16_e32 v46, 8, v44
	v_cmp_ne_u16_e32 vcc, 0, v46
	v_mov_b32_e32 v50, 0
	v_mov_b32_e32 v51, 0
	s_and_saveexec_b64 s[12:13], vcc
	s_cbranch_execz .LBB664_513
; %bb.508:                              ;   in Loop: Header=BB664_213 Depth=1
	v_cmp_ne_u16_e32 vcc, s9, v46
	v_bfrev_b32_e32 v51, 1
	s_and_saveexec_b64 s[14:15], vcc
	s_cbranch_execz .LBB664_512
; %bb.509:                              ;   in Loop: Header=BB664_213 Depth=1
	v_and_b32_e32 v41, 0x7f, v46
	v_cmp_ne_u32_e32 vcc, s19, v41
	v_mov_b32_e32 v51, 0x7f800001
	s_and_saveexec_b64 s[16:17], vcc
	s_cbranch_execz .LBB664_511
; %bb.510:                              ;   in Loop: Header=BB664_213 Depth=1
	v_and_b32_e32 v51, 7, v46
	v_ffbh_u32_e32 v52, v51
	v_min_u32_e32 v61, 32, v52
	v_subrev_u32_e32 v52, 28, v61
	v_lshlrev_b64 v[52:53], v52, v[46:47]
	v_lshrrev_b32_e32 v60, 3, v41
	v_sub_u32_e32 v46, 29, v61
	v_and_b32_e32 v52, 7, v52
	v_cmp_gt_u32_e32 vcc, 8, v41
	v_cndmask_b32_e32 v41, v60, v46, vcc
	v_cndmask_b32_e32 v46, v51, v52, vcc
	v_lshlrev_b32_e32 v51, 16, v44
	v_lshlrev_b32_e32 v46, 20, v46
	v_and_b32_e32 v51, 0x80000000, v51
	v_lshl_add_u32 v41, v41, 23, v48
	v_or3_b32 v51, v51, v41, v46
.LBB664_511:                            ;   in Loop: Header=BB664_213 Depth=1
	s_or_b64 exec, exec, s[16:17]
.LBB664_512:                            ;   in Loop: Header=BB664_213 Depth=1
	s_or_b64 exec, exec, s[14:15]
.LBB664_513:                            ;   in Loop: Header=BB664_213 Depth=1
	s_or_b64 exec, exec, s[12:13]
	v_lshrrev_b32_e32 v46, 16, v44
	v_cmp_ne_u16_sdwa s[14:15], v46, v47 src0_sel:BYTE_0 src1_sel:DWORD
	s_and_saveexec_b64 s[12:13], s[14:15]
	s_cbranch_execz .LBB664_519
; %bb.514:                              ;   in Loop: Header=BB664_213 Depth=1
	v_cmp_ne_u16_sdwa s[16:17], v46, s9 src0_sel:BYTE_0 src1_sel:DWORD
	v_bfrev_b32_e32 v50, 1
	s_and_saveexec_b64 s[14:15], s[16:17]
	s_cbranch_execz .LBB664_518
; %bb.515:                              ;   in Loop: Header=BB664_213 Depth=1
	v_bfe_u32 v41, v44, 16, 7
	v_cmp_ne_u32_e32 vcc, s19, v41
	v_mov_b32_e32 v50, 0x7f800001
	s_and_saveexec_b64 s[16:17], vcc
	s_cbranch_execz .LBB664_517
; %bb.516:                              ;   in Loop: Header=BB664_213 Depth=1
	v_and_b32_e32 v50, 7, v46
	v_ffbh_u32_e32 v52, v50
	v_min_u32_e32 v61, 32, v52
	v_subrev_u32_e32 v52, 28, v61
	v_lshlrev_b64 v[52:53], v52, v[46:47]
	v_lshrrev_b32_e32 v60, 3, v41
	v_sub_u32_e32 v53, 29, v61
	v_and_b32_e32 v52, 7, v52
	v_cmp_gt_u32_e32 vcc, 8, v41
	v_cndmask_b32_e32 v41, v60, v53, vcc
	v_cndmask_b32_e32 v50, v50, v52, vcc
	v_lshlrev_b32_e32 v46, 24, v46
	v_lshlrev_b32_e32 v50, 20, v50
	v_and_b32_e32 v46, 0x80000000, v46
	v_lshl_add_u32 v41, v41, 23, v48
	v_or3_b32 v50, v46, v41, v50
.LBB664_517:                            ;   in Loop: Header=BB664_213 Depth=1
	s_or_b64 exec, exec, s[16:17]
.LBB664_518:                            ;   in Loop: Header=BB664_213 Depth=1
	s_or_b64 exec, exec, s[14:15]
.LBB664_519:                            ;   in Loop: Header=BB664_213 Depth=1
	s_or_b64 exec, exec, s[12:13]
	v_cmp_lt_u32_e32 vcc, s20, v44
	v_mov_b32_e32 v52, 0
	v_mov_b32_e32 v53, 0
	s_and_saveexec_b64 s[12:13], vcc
	s_cbranch_execz .LBB664_525
; %bb.520:                              ;   in Loop: Header=BB664_213 Depth=1
	v_lshrrev_b32_e32 v46, 24, v44
	v_cmp_ne_u32_e32 vcc, s9, v46
	v_bfrev_b32_e32 v53, 1
	s_and_saveexec_b64 s[14:15], vcc
	s_cbranch_execz .LBB664_524
; %bb.521:                              ;   in Loop: Header=BB664_213 Depth=1
	v_bfe_u32 v41, v44, 24, 7
	v_cmp_ne_u32_e32 vcc, s19, v41
	v_mov_b32_e32 v53, 0x7f800001
	s_and_saveexec_b64 s[16:17], vcc
	s_cbranch_execz .LBB664_523
; %bb.522:                              ;   in Loop: Header=BB664_213 Depth=1
	v_and_b32_e32 v44, 7, v46
	v_ffbh_u32_e32 v60, v44
	v_min_u32_e32 v62, 32, v60
	v_subrev_u32_e32 v60, 28, v62
	v_lshlrev_b64 v[60:61], v60, v[46:47]
	v_lshrrev_b32_e32 v53, 3, v41
	v_sub_u32_e32 v61, 29, v62
	v_and_b32_e32 v60, 7, v60
	v_cmp_gt_u32_e32 vcc, 8, v41
	v_cndmask_b32_e32 v41, v53, v61, vcc
	v_cndmask_b32_e32 v44, v44, v60, vcc
	v_lshlrev_b32_e32 v46, 24, v46
	v_lshlrev_b32_e32 v44, 20, v44
	v_and_b32_e32 v46, 0x80000000, v46
	v_lshl_add_u32 v41, v41, 23, v48
	v_or3_b32 v53, v46, v41, v44
.LBB664_523:                            ;   in Loop: Header=BB664_213 Depth=1
	s_or_b64 exec, exec, s[16:17]
.LBB664_524:                            ;   in Loop: Header=BB664_213 Depth=1
	s_or_b64 exec, exec, s[14:15]
.LBB664_525:                            ;   in Loop: Header=BB664_213 Depth=1
	s_or_b64 exec, exec, s[12:13]
	s_waitcnt vmcnt(2)
	v_cmp_ne_u16_sdwa s[14:15], v42, v47 src0_sel:BYTE_0 src1_sel:DWORD
	s_and_saveexec_b64 s[12:13], s[14:15]
	s_cbranch_execz .LBB664_531
; %bb.526:                              ;   in Loop: Header=BB664_213 Depth=1
	v_cmp_ne_u16_sdwa s[16:17], v42, s9 src0_sel:BYTE_0 src1_sel:DWORD
	v_bfrev_b32_e32 v52, 1
	s_and_saveexec_b64 s[14:15], s[16:17]
	s_cbranch_execz .LBB664_530
; %bb.527:                              ;   in Loop: Header=BB664_213 Depth=1
	v_and_b32_e32 v41, 0x7f, v42
	v_cmp_ne_u32_e32 vcc, s19, v41
	v_mov_b32_e32 v52, 0x7f800001
	s_and_saveexec_b64 s[16:17], vcc
	s_cbranch_execz .LBB664_529
; %bb.528:                              ;   in Loop: Header=BB664_213 Depth=1
	v_and_b32_e32 v44, 7, v42
	v_ffbh_u32_e32 v52, v44
	v_min_u32_e32 v52, 32, v52
	v_subrev_u32_e32 v60, 28, v52
	v_lshlrev_b64 v[60:61], v60, v[42:43]
	v_lshrrev_b32_e32 v46, 3, v41
	v_sub_u32_e32 v52, 29, v52
	v_and_b32_e32 v60, 7, v60
	v_cmp_gt_u32_e32 vcc, 8, v41
	v_cndmask_b32_e32 v41, v46, v52, vcc
	v_cndmask_b32_e32 v44, v44, v60, vcc
	v_lshlrev_b32_e32 v46, 24, v42
	v_lshlrev_b32_e32 v44, 20, v44
	v_and_b32_e32 v46, 0x80000000, v46
	v_lshl_add_u32 v41, v41, 23, v48
	v_or3_b32 v52, v46, v41, v44
.LBB664_529:                            ;   in Loop: Header=BB664_213 Depth=1
	s_or_b64 exec, exec, s[16:17]
.LBB664_530:                            ;   in Loop: Header=BB664_213 Depth=1
	s_or_b64 exec, exec, s[14:15]
.LBB664_531:                            ;   in Loop: Header=BB664_213 Depth=1
	s_or_b64 exec, exec, s[12:13]
	v_lshrrev_b16_e32 v44, 8, v42
	v_cmp_ne_u16_e32 vcc, 0, v44
	v_mov_b32_e32 v46, 0
	v_mov_b32_e32 v60, 0
	s_and_saveexec_b64 s[12:13], vcc
	s_cbranch_execz .LBB664_537
; %bb.532:                              ;   in Loop: Header=BB664_213 Depth=1
	v_cmp_ne_u16_e32 vcc, s9, v44
	v_bfrev_b32_e32 v60, 1
	s_and_saveexec_b64 s[14:15], vcc
	s_cbranch_execz .LBB664_536
; %bb.533:                              ;   in Loop: Header=BB664_213 Depth=1
	v_and_b32_e32 v41, 0x7f, v44
	v_cmp_ne_u32_e32 vcc, s19, v41
	v_mov_b32_e32 v60, 0x7f800001
	s_and_saveexec_b64 s[16:17], vcc
	s_cbranch_execz .LBB664_535
; %bb.534:                              ;   in Loop: Header=BB664_213 Depth=1
	v_and_b32_e32 v62, 7, v44
	v_ffbh_u32_e32 v60, v62
	v_min_u32_e32 v64, 32, v60
	v_subrev_u32_e32 v60, 28, v64
	v_lshlrev_b64 v[60:61], v60, v[44:45]
	v_lshrrev_b32_e32 v63, 3, v41
	v_sub_u32_e32 v44, 29, v64
	v_and_b32_e32 v60, 7, v60
	v_cmp_gt_u32_e32 vcc, 8, v41
	v_cndmask_b32_e32 v41, v63, v44, vcc
	v_cndmask_b32_e32 v44, v62, v60, vcc
	v_lshlrev_b32_e32 v60, 16, v42
	v_lshlrev_b32_e32 v44, 20, v44
	v_and_b32_e32 v60, 0x80000000, v60
	v_lshl_add_u32 v41, v41, 23, v48
	v_or3_b32 v60, v60, v41, v44
.LBB664_535:                            ;   in Loop: Header=BB664_213 Depth=1
	s_or_b64 exec, exec, s[16:17]
.LBB664_536:                            ;   in Loop: Header=BB664_213 Depth=1
	s_or_b64 exec, exec, s[14:15]
.LBB664_537:                            ;   in Loop: Header=BB664_213 Depth=1
	s_or_b64 exec, exec, s[12:13]
	v_lshrrev_b32_e32 v44, 16, v42
	v_cmp_ne_u16_sdwa s[14:15], v44, v47 src0_sel:BYTE_0 src1_sel:DWORD
	s_and_saveexec_b64 s[12:13], s[14:15]
	s_cbranch_execz .LBB664_543
; %bb.538:                              ;   in Loop: Header=BB664_213 Depth=1
	v_cmp_ne_u16_sdwa s[16:17], v44, s9 src0_sel:BYTE_0 src1_sel:DWORD
	v_bfrev_b32_e32 v46, 1
	s_and_saveexec_b64 s[14:15], s[16:17]
	s_cbranch_execz .LBB664_542
; %bb.539:                              ;   in Loop: Header=BB664_213 Depth=1
	v_bfe_u32 v41, v42, 16, 7
	v_cmp_ne_u32_e32 vcc, s19, v41
	v_mov_b32_e32 v46, 0x7f800001
	s_and_saveexec_b64 s[16:17], vcc
	s_cbranch_execz .LBB664_541
; %bb.540:                              ;   in Loop: Header=BB664_213 Depth=1
	v_and_b32_e32 v46, 7, v44
	v_ffbh_u32_e32 v62, v46
	v_min_u32_e32 v64, 32, v62
	v_subrev_u32_e32 v62, 28, v64
	v_lshlrev_b64 v[62:63], v62, v[44:45]
	v_lshrrev_b32_e32 v61, 3, v41
	v_sub_u32_e32 v63, 29, v64
	v_and_b32_e32 v62, 7, v62
	v_cmp_gt_u32_e32 vcc, 8, v41
	v_cndmask_b32_e32 v41, v61, v63, vcc
	v_cndmask_b32_e32 v46, v46, v62, vcc
	v_lshlrev_b32_e32 v44, 24, v44
	v_lshlrev_b32_e32 v46, 20, v46
	v_and_b32_e32 v44, 0x80000000, v44
	v_lshl_add_u32 v41, v41, 23, v48
	v_or3_b32 v46, v44, v41, v46
.LBB664_541:                            ;   in Loop: Header=BB664_213 Depth=1
	s_or_b64 exec, exec, s[16:17]
.LBB664_542:                            ;   in Loop: Header=BB664_213 Depth=1
	s_or_b64 exec, exec, s[14:15]
.LBB664_543:                            ;   in Loop: Header=BB664_213 Depth=1
	s_or_b64 exec, exec, s[12:13]
	v_cmp_lt_u32_e32 vcc, s20, v42
	v_mov_b32_e32 v41, 0
	v_mov_b32_e32 v61, 0
	s_and_saveexec_b64 s[12:13], vcc
	s_cbranch_execz .LBB664_549
; %bb.544:                              ;   in Loop: Header=BB664_213 Depth=1
	v_lshrrev_b32_e32 v44, 24, v42
	v_cmp_ne_u32_e32 vcc, s9, v44
	v_bfrev_b32_e32 v61, 1
	s_and_saveexec_b64 s[14:15], vcc
	s_cbranch_execz .LBB664_548
; %bb.545:                              ;   in Loop: Header=BB664_213 Depth=1
	v_bfe_u32 v42, v42, 24, 7
	v_cmp_ne_u32_e32 vcc, s19, v42
	v_mov_b32_e32 v61, 0x7f800001
	s_and_saveexec_b64 s[16:17], vcc
	s_cbranch_execz .LBB664_547
; %bb.546:                              ;   in Loop: Header=BB664_213 Depth=1
	v_and_b32_e32 v61, 7, v44
	v_ffbh_u32_e32 v62, v61
	v_min_u32_e32 v65, 32, v62
	v_subrev_u32_e32 v62, 28, v65
	v_lshlrev_b64 v[62:63], v62, v[44:45]
	v_lshrrev_b32_e32 v64, 3, v42
	v_sub_u32_e32 v63, 29, v65
	v_and_b32_e32 v62, 7, v62
	v_cmp_gt_u32_e32 vcc, 8, v42
	v_cndmask_b32_e32 v42, v64, v63, vcc
	v_cndmask_b32_e32 v61, v61, v62, vcc
	v_lshlrev_b32_e32 v44, 24, v44
	v_lshlrev_b32_e32 v61, 20, v61
	v_and_b32_e32 v44, 0x80000000, v44
	v_lshl_add_u32 v42, v42, 23, v48
	v_or3_b32 v61, v44, v42, v61
.LBB664_547:                            ;   in Loop: Header=BB664_213 Depth=1
	s_or_b64 exec, exec, s[16:17]
.LBB664_548:                            ;   in Loop: Header=BB664_213 Depth=1
	s_or_b64 exec, exec, s[14:15]
.LBB664_549:                            ;   in Loop: Header=BB664_213 Depth=1
	s_or_b64 exec, exec, s[12:13]
	v_cvt_pkrtz_f16_f32 v62, v49, v51
	v_cvt_pkrtz_f16_f32 v63, v50, v53
	v_cvt_pkrtz_f16_f32 v50, v52, v60
	v_cvt_pkrtz_f16_f32 v51, v46, v61
	s_waitcnt vmcnt(1)
	v_cmp_ne_u16_sdwa s[14:15], v40, v47 src0_sel:BYTE_0 src1_sel:DWORD
	v_mfma_f32_16x16x16f16 v[34:37], v[62:63], v[26:27], v[34:37]
	v_mfma_f32_16x16x16f16 v[34:37], v[50:51], v[28:29], v[34:37]
	s_and_saveexec_b64 s[12:13], s[14:15]
	s_cbranch_execz .LBB664_555
; %bb.550:                              ;   in Loop: Header=BB664_213 Depth=1
	v_cmp_ne_u16_sdwa s[16:17], v40, s9 src0_sel:BYTE_0 src1_sel:DWORD
	v_bfrev_b32_e32 v41, 1
	s_and_saveexec_b64 s[14:15], s[16:17]
	s_cbranch_execz .LBB664_554
; %bb.551:                              ;   in Loop: Header=BB664_213 Depth=1
	v_and_b32_e32 v42, 0x7f, v40
	v_cmp_ne_u32_e32 vcc, s19, v42
	v_mov_b32_e32 v41, 0x7f800001
	s_and_saveexec_b64 s[16:17], vcc
	s_cbranch_execz .LBB664_553
; %bb.552:                              ;   in Loop: Header=BB664_213 Depth=1
	v_and_b32_e32 v41, 7, v40
	v_ffbh_u32_e32 v46, v41
	v_min_u32_e32 v46, 32, v46
	v_subrev_u32_e32 v49, 28, v46
	v_lshlrev_b64 v[50:51], v49, v[40:41]
	v_lshrrev_b32_e32 v44, 3, v42
	v_sub_u32_e32 v46, 29, v46
	v_and_b32_e32 v49, 7, v50
	v_cmp_gt_u32_e32 vcc, 8, v42
	v_cndmask_b32_e32 v42, v44, v46, vcc
	v_cndmask_b32_e32 v41, v41, v49, vcc
	v_lshlrev_b32_e32 v44, 24, v40
	v_lshlrev_b32_e32 v41, 20, v41
	v_and_b32_e32 v44, 0x80000000, v44
	v_lshl_add_u32 v42, v42, 23, v48
	v_or3_b32 v41, v44, v42, v41
.LBB664_553:                            ;   in Loop: Header=BB664_213 Depth=1
	s_or_b64 exec, exec, s[16:17]
.LBB664_554:                            ;   in Loop: Header=BB664_213 Depth=1
	s_or_b64 exec, exec, s[14:15]
.LBB664_555:                            ;   in Loop: Header=BB664_213 Depth=1
	s_or_b64 exec, exec, s[12:13]
	v_lshrrev_b16_e32 v42, 8, v40
	v_cmp_ne_u16_e32 vcc, 0, v42
	v_mov_b32_e32 v44, 0
	v_mov_b32_e32 v46, 0
	s_and_saveexec_b64 s[12:13], vcc
	s_cbranch_execz .LBB664_561
; %bb.556:                              ;   in Loop: Header=BB664_213 Depth=1
	v_cmp_ne_u16_e32 vcc, s9, v42
	v_bfrev_b32_e32 v46, 1
	s_and_saveexec_b64 s[14:15], vcc
	s_cbranch_execz .LBB664_560
; %bb.557:                              ;   in Loop: Header=BB664_213 Depth=1
	v_and_b32_e32 v49, 0x7f, v42
	v_cmp_ne_u32_e32 vcc, s19, v49
	v_mov_b32_e32 v46, 0x7f800001
	s_and_saveexec_b64 s[16:17], vcc
	s_cbranch_execz .LBB664_559
; %bb.558:                              ;   in Loop: Header=BB664_213 Depth=1
	v_and_b32_e32 v46, 7, v42
	v_ffbh_u32_e32 v50, v46
	v_min_u32_e32 v53, 32, v50
	v_subrev_u32_e32 v50, 28, v53
	v_lshlrev_b64 v[50:51], v50, v[42:43]
	v_lshrrev_b32_e32 v52, 3, v49
	v_sub_u32_e32 v42, 29, v53
	v_and_b32_e32 v50, 7, v50
	v_cmp_gt_u32_e32 vcc, 8, v49
	v_cndmask_b32_e32 v42, v52, v42, vcc
	v_cndmask_b32_e32 v46, v46, v50, vcc
	v_lshlrev_b32_e32 v49, 16, v40
	v_lshlrev_b32_e32 v46, 20, v46
	v_and_b32_e32 v49, 0x80000000, v49
	v_lshl_add_u32 v42, v42, 23, v48
	v_or3_b32 v46, v49, v42, v46
.LBB664_559:                            ;   in Loop: Header=BB664_213 Depth=1
	s_or_b64 exec, exec, s[16:17]
.LBB664_560:                            ;   in Loop: Header=BB664_213 Depth=1
	s_or_b64 exec, exec, s[14:15]
.LBB664_561:                            ;   in Loop: Header=BB664_213 Depth=1
	s_or_b64 exec, exec, s[12:13]
	v_lshrrev_b32_e32 v42, 16, v40
	v_cmp_ne_u16_sdwa s[14:15], v42, v47 src0_sel:BYTE_0 src1_sel:DWORD
	s_and_saveexec_b64 s[12:13], s[14:15]
	s_cbranch_execz .LBB664_567
; %bb.562:                              ;   in Loop: Header=BB664_213 Depth=1
	v_cmp_ne_u16_sdwa s[16:17], v42, s9 src0_sel:BYTE_0 src1_sel:DWORD
	v_bfrev_b32_e32 v44, 1
	s_and_saveexec_b64 s[14:15], s[16:17]
	s_cbranch_execz .LBB664_566
; %bb.563:                              ;   in Loop: Header=BB664_213 Depth=1
	v_bfe_u32 v49, v40, 16, 7
	v_cmp_ne_u32_e32 vcc, s19, v49
	v_mov_b32_e32 v44, 0x7f800001
	s_and_saveexec_b64 s[16:17], vcc
	s_cbranch_execz .LBB664_565
; %bb.564:                              ;   in Loop: Header=BB664_213 Depth=1
	v_and_b32_e32 v44, 7, v42
	v_ffbh_u32_e32 v50, v44
	v_min_u32_e32 v53, 32, v50
	v_subrev_u32_e32 v50, 28, v53
	v_lshlrev_b64 v[50:51], v50, v[42:43]
	v_lshrrev_b32_e32 v52, 3, v49
	v_sub_u32_e32 v51, 29, v53
	v_and_b32_e32 v50, 7, v50
	v_cmp_gt_u32_e32 vcc, 8, v49
	v_cndmask_b32_e32 v49, v52, v51, vcc
	v_cndmask_b32_e32 v44, v44, v50, vcc
	v_lshlrev_b32_e32 v42, 24, v42
	v_lshlrev_b32_e32 v44, 20, v44
	v_and_b32_e32 v42, 0x80000000, v42
	v_lshl_add_u32 v49, v49, 23, v48
	v_or3_b32 v44, v42, v49, v44
.LBB664_565:                            ;   in Loop: Header=BB664_213 Depth=1
	s_or_b64 exec, exec, s[16:17]
.LBB664_566:                            ;   in Loop: Header=BB664_213 Depth=1
	s_or_b64 exec, exec, s[14:15]
.LBB664_567:                            ;   in Loop: Header=BB664_213 Depth=1
	s_or_b64 exec, exec, s[12:13]
	v_cmp_lt_u32_e32 vcc, s20, v40
	v_mov_b32_e32 v49, 0
	v_mov_b32_e32 v50, 0
	s_and_saveexec_b64 s[12:13], vcc
	s_cbranch_execz .LBB664_573
; %bb.568:                              ;   in Loop: Header=BB664_213 Depth=1
	v_lshrrev_b32_e32 v42, 24, v40
	v_cmp_ne_u32_e32 vcc, s9, v42
	v_bfrev_b32_e32 v50, 1
	s_and_saveexec_b64 s[14:15], vcc
	s_cbranch_execz .LBB664_572
; %bb.569:                              ;   in Loop: Header=BB664_213 Depth=1
	v_bfe_u32 v40, v40, 24, 7
	v_cmp_ne_u32_e32 vcc, s19, v40
	v_mov_b32_e32 v50, 0x7f800001
	s_and_saveexec_b64 s[16:17], vcc
	s_cbranch_execz .LBB664_571
; %bb.570:                              ;   in Loop: Header=BB664_213 Depth=1
	v_and_b32_e32 v52, 7, v42
	v_ffbh_u32_e32 v50, v52
	v_min_u32_e32 v60, 32, v50
	v_subrev_u32_e32 v50, 28, v60
	v_lshlrev_b64 v[50:51], v50, v[42:43]
	v_lshrrev_b32_e32 v53, 3, v40
	v_sub_u32_e32 v51, 29, v60
	v_and_b32_e32 v50, 7, v50
	v_cmp_gt_u32_e32 vcc, 8, v40
	v_cndmask_b32_e32 v40, v53, v51, vcc
	v_cndmask_b32_e32 v50, v52, v50, vcc
	v_lshlrev_b32_e32 v42, 24, v42
	v_lshlrev_b32_e32 v50, 20, v50
	v_and_b32_e32 v42, 0x80000000, v42
	v_lshl_add_u32 v40, v40, 23, v48
	v_or3_b32 v50, v42, v40, v50
.LBB664_571:                            ;   in Loop: Header=BB664_213 Depth=1
	s_or_b64 exec, exec, s[16:17]
.LBB664_572:                            ;   in Loop: Header=BB664_213 Depth=1
	s_or_b64 exec, exec, s[14:15]
.LBB664_573:                            ;   in Loop: Header=BB664_213 Depth=1
	s_or_b64 exec, exec, s[12:13]
	s_waitcnt vmcnt(0)
	v_cmp_ne_u16_sdwa s[14:15], v38, v47 src0_sel:BYTE_0 src1_sel:DWORD
	s_and_saveexec_b64 s[12:13], s[14:15]
	s_cbranch_execz .LBB664_579
; %bb.574:                              ;   in Loop: Header=BB664_213 Depth=1
	v_cmp_ne_u16_sdwa s[16:17], v38, s9 src0_sel:BYTE_0 src1_sel:DWORD
	v_bfrev_b32_e32 v49, 1
	s_and_saveexec_b64 s[14:15], s[16:17]
	s_cbranch_execz .LBB664_578
; %bb.575:                              ;   in Loop: Header=BB664_213 Depth=1
	v_and_b32_e32 v40, 0x7f, v38
	v_cmp_ne_u32_e32 vcc, s19, v40
	v_mov_b32_e32 v49, 0x7f800001
	s_and_saveexec_b64 s[16:17], vcc
	s_cbranch_execz .LBB664_577
; %bb.576:                              ;   in Loop: Header=BB664_213 Depth=1
	v_and_b32_e32 v42, 7, v38
	v_ffbh_u32_e32 v51, v42
	v_min_u32_e32 v51, 32, v51
	v_subrev_u32_e32 v52, 28, v51
	v_lshlrev_b64 v[52:53], v52, v[38:39]
	v_lshrrev_b32_e32 v49, 3, v40
	v_sub_u32_e32 v51, 29, v51
	v_and_b32_e32 v52, 7, v52
	v_cmp_gt_u32_e32 vcc, 8, v40
	v_cndmask_b32_e32 v40, v49, v51, vcc
	v_cndmask_b32_e32 v42, v42, v52, vcc
	v_lshlrev_b32_e32 v49, 24, v38
	v_lshlrev_b32_e32 v42, 20, v42
	v_and_b32_e32 v49, 0x80000000, v49
	v_lshl_add_u32 v40, v40, 23, v48
	v_or3_b32 v49, v49, v40, v42
.LBB664_577:                            ;   in Loop: Header=BB664_213 Depth=1
	s_or_b64 exec, exec, s[16:17]
.LBB664_578:                            ;   in Loop: Header=BB664_213 Depth=1
	s_or_b64 exec, exec, s[14:15]
.LBB664_579:                            ;   in Loop: Header=BB664_213 Depth=1
	s_or_b64 exec, exec, s[12:13]
	v_lshrrev_b16_e32 v40, 8, v38
	v_cmp_ne_u16_e32 vcc, 0, v40
	v_mov_b32_e32 v42, 0
	v_mov_b32_e32 v51, 0
	s_and_saveexec_b64 s[12:13], vcc
	s_cbranch_execz .LBB664_585
; %bb.580:                              ;   in Loop: Header=BB664_213 Depth=1
	v_cmp_ne_u16_e32 vcc, s9, v40
	v_bfrev_b32_e32 v51, 1
	s_and_saveexec_b64 s[14:15], vcc
	s_cbranch_execz .LBB664_584
; %bb.581:                              ;   in Loop: Header=BB664_213 Depth=1
	v_and_b32_e32 v52, 0x7f, v40
	v_cmp_ne_u32_e32 vcc, s19, v52
	v_mov_b32_e32 v51, 0x7f800001
	s_and_saveexec_b64 s[16:17], vcc
	s_cbranch_execz .LBB664_583
; %bb.582:                              ;   in Loop: Header=BB664_213 Depth=1
	v_and_b32_e32 v51, 7, v40
	v_ffbh_u32_e32 v60, v51
	v_min_u32_e32 v62, 32, v60
	v_subrev_u32_e32 v60, 28, v62
	v_lshlrev_b64 v[60:61], v60, v[40:41]
	v_lshrrev_b32_e32 v53, 3, v52
	v_sub_u32_e32 v40, 29, v62
	v_and_b32_e32 v60, 7, v60
	v_cmp_gt_u32_e32 vcc, 8, v52
	v_cndmask_b32_e32 v40, v53, v40, vcc
	v_cndmask_b32_e32 v51, v51, v60, vcc
	v_lshlrev_b32_e32 v52, 16, v38
	v_lshlrev_b32_e32 v51, 20, v51
	v_and_b32_e32 v52, 0x80000000, v52
	v_lshl_add_u32 v40, v40, 23, v48
	v_or3_b32 v51, v52, v40, v51
.LBB664_583:                            ;   in Loop: Header=BB664_213 Depth=1
	s_or_b64 exec, exec, s[16:17]
.LBB664_584:                            ;   in Loop: Header=BB664_213 Depth=1
	s_or_b64 exec, exec, s[14:15]
.LBB664_585:                            ;   in Loop: Header=BB664_213 Depth=1
	s_or_b64 exec, exec, s[12:13]
	v_lshrrev_b32_e32 v40, 16, v38
	v_cmp_ne_u16_sdwa s[14:15], v40, v47 src0_sel:BYTE_0 src1_sel:DWORD
	s_and_saveexec_b64 s[12:13], s[14:15]
	s_cbranch_execz .LBB664_591
; %bb.586:                              ;   in Loop: Header=BB664_213 Depth=1
	v_cmp_ne_u16_sdwa s[16:17], v40, s9 src0_sel:BYTE_0 src1_sel:DWORD
	v_bfrev_b32_e32 v42, 1
	s_and_saveexec_b64 s[14:15], s[16:17]
	s_cbranch_execz .LBB664_590
; %bb.587:                              ;   in Loop: Header=BB664_213 Depth=1
	v_bfe_u32 v52, v38, 16, 7
	v_cmp_ne_u32_e32 vcc, s19, v52
	v_mov_b32_e32 v42, 0x7f800001
	s_and_saveexec_b64 s[16:17], vcc
	s_cbranch_execz .LBB664_589
; %bb.588:                              ;   in Loop: Header=BB664_213 Depth=1
	v_and_b32_e32 v42, 7, v40
	v_ffbh_u32_e32 v60, v42
	v_min_u32_e32 v62, 32, v60
	v_subrev_u32_e32 v60, 28, v62
	v_lshlrev_b64 v[60:61], v60, v[40:41]
	v_lshrrev_b32_e32 v53, 3, v52
	v_sub_u32_e32 v61, 29, v62
	v_and_b32_e32 v60, 7, v60
	v_cmp_gt_u32_e32 vcc, 8, v52
	v_cndmask_b32_e32 v52, v53, v61, vcc
	v_cndmask_b32_e32 v42, v42, v60, vcc
	v_lshlrev_b32_e32 v40, 24, v40
	v_lshlrev_b32_e32 v42, 20, v42
	v_and_b32_e32 v40, 0x80000000, v40
	v_lshl_add_u32 v52, v52, 23, v48
	v_or3_b32 v42, v40, v52, v42
.LBB664_589:                            ;   in Loop: Header=BB664_213 Depth=1
	s_or_b64 exec, exec, s[16:17]
.LBB664_590:                            ;   in Loop: Header=BB664_213 Depth=1
	s_or_b64 exec, exec, s[14:15]
.LBB664_591:                            ;   in Loop: Header=BB664_213 Depth=1
	s_or_b64 exec, exec, s[12:13]
	v_cmp_lt_u32_e32 vcc, s20, v38
	v_mov_b32_e32 v52, 0
	s_and_saveexec_b64 s[12:13], vcc
	s_cbranch_execz .LBB664_212
; %bb.592:                              ;   in Loop: Header=BB664_213 Depth=1
	v_lshrrev_b32_e32 v40, 24, v38
	v_cmp_ne_u32_e32 vcc, s9, v40
	v_bfrev_b32_e32 v52, 1
	s_and_saveexec_b64 s[14:15], vcc
	s_cbranch_execz .LBB664_211
; %bb.593:                              ;   in Loop: Header=BB664_213 Depth=1
	v_bfe_u32 v38, v38, 24, 7
	v_cmp_ne_u32_e32 vcc, s19, v38
	v_mov_b32_e32 v52, 0x7f800001
	s_and_saveexec_b64 s[16:17], vcc
	s_cbranch_execz .LBB664_210
; %bb.594:                              ;   in Loop: Header=BB664_213 Depth=1
	v_and_b32_e32 v60, 7, v40
	v_ffbh_u32_e32 v52, v60
	v_min_u32_e32 v62, 32, v52
	v_subrev_u32_e32 v52, 28, v62
	v_lshlrev_b64 v[52:53], v52, v[40:41]
	v_lshrrev_b32_e32 v61, 3, v38
	v_sub_u32_e32 v53, 29, v62
	v_and_b32_e32 v52, 7, v52
	v_cmp_gt_u32_e32 vcc, 8, v38
	v_cndmask_b32_e32 v38, v61, v53, vcc
	v_cndmask_b32_e32 v52, v60, v52, vcc
	v_lshlrev_b32_e32 v40, 24, v40
	v_lshlrev_b32_e32 v52, 20, v52
	v_and_b32_e32 v40, 0x80000000, v40
	v_lshl_add_u32 v38, v38, 23, v48
	v_or3_b32 v52, v40, v38, v52
	s_branch .LBB664_210
.LBB664_595:
	s_barrier
	buffer_load_dword v2, off, s[0:3], 0 offset:320
	buffer_load_dword v5, off, s[0:3], 0 offset:332
	;; [unrolled: 1-line block ×4, first 2 shown]
	v_cmp_gt_u32_e32 vcc, 64, v0
	s_waitcnt vmcnt(0)
	ds_write2st64_b64 v43, v[2:3], v[4:5] offset1:1
	s_waitcnt lgkmcnt(0)
	s_barrier
	s_and_saveexec_b64 s[4:5], vcc
	s_cbranch_execz .LBB664_598
; %bb.596:
	s_lshl_b32 s4, s50, 7
	s_mul_i32 s5, s18, s8
	s_mul_hi_u32 s9, s5, s4
	s_mul_i32 s8, s5, s4
	s_lshl_b64 s[8:9], s[8:9], 1
	v_lshlrev_b32_e32 v4, 6, v55
	s_add_u32 s5, s48, s8
	v_lshl_or_b32 v0, v0, 10, v4
	s_mov_b32 s7, 0
	s_addc_u32 s8, s49, s9
	s_lshl_b32 s6, s24, 7
	v_lshlrev_b32_e32 v2, 5, v1
	v_and_b32_e32 v3, 16, v56
	v_and_b32_e32 v0, 0x1a00, v0
	s_lshl_b64 s[6:7], s[6:7], 1
	v_or3_b32 v0, v0, v2, v3
	s_add_u32 s5, s5, s6
	s_addc_u32 s6, s8, s7
	ds_read_b128 v[4:7], v0 offset:128
	ds_read_b128 v[8:11], v0
	v_add_u32_e32 v14, s25, v1
	v_mov_b32_e32 v3, s6
	v_add_co_u32_e32 v2, vcc, s5, v54
	v_mad_u64_u32 v[12:13], s[6:7], v14, s4, 0
	v_addc_co_u32_e32 v3, vcc, 0, v3, vcc
	v_lshlrev_b64 v[12:13], 1, v[12:13]
	v_add_co_u32_e32 v12, vcc, v2, v12
	v_addc_co_u32_e32 v13, vcc, v3, v13, vcc
	s_waitcnt lgkmcnt(0)
	global_store_dwordx4 v[12:13], v[8:11], off
	s_nop 0
	v_add_u32_e32 v8, 4, v14
	v_mad_u64_u32 v[8:9], s[6:7], v8, s4, 0
	v_lshlrev_b64 v[8:9], 1, v[8:9]
	v_add_co_u32_e32 v8, vcc, v2, v8
	v_addc_co_u32_e32 v9, vcc, v3, v9, vcc
	v_cmp_ne_u32_e32 vcc, 3, v1
	global_store_dwordx4 v[8:9], v[4:7], off
	s_and_b64 exec, exec, vcc
	s_cbranch_execz .LBB664_598
; %bb.597:
	ds_read_b128 v[4:7], v0 offset:256
	v_add3_u32 v0, s25, v1, 8
	v_mad_u64_u32 v[0:1], s[4:5], v0, s4, 0
	v_lshlrev_b64 v[0:1], 1, v[0:1]
	v_add_co_u32_e32 v0, vcc, v2, v0
	v_addc_co_u32_e32 v1, vcc, v3, v1, vcc
	s_waitcnt lgkmcnt(0)
	global_store_dwordx4 v[0:1], v[4:7], off
.LBB664_598:
	s_endpgm
	.section	.rodata,"a",@progbits
	.p2align	6, 0x0
	.amdhsa_kernel _Z39paged_attention_ll4mi_QKV_mfma16_kernelIDF16_hLN4vllm18Fp8KVCacheDataTypeE1EDF16_Li32ELi128ELi256ELb0ELi11EL8MFMAType0EEvPKT_PKT0_S8_ifPKiSA_SA_iPKfiiiPfSD_PS3_PT2_iSC_SC_
		.amdhsa_group_segment_fixed_size 8192
		.amdhsa_private_segment_fixed_size 352
		.amdhsa_kernarg_size 400
		.amdhsa_user_sgpr_count 8
		.amdhsa_user_sgpr_private_segment_buffer 1
		.amdhsa_user_sgpr_dispatch_ptr 0
		.amdhsa_user_sgpr_queue_ptr 0
		.amdhsa_user_sgpr_kernarg_segment_ptr 1
		.amdhsa_user_sgpr_dispatch_id 0
		.amdhsa_user_sgpr_flat_scratch_init 1
		.amdhsa_user_sgpr_kernarg_preload_length 0
		.amdhsa_user_sgpr_kernarg_preload_offset 0
		.amdhsa_user_sgpr_private_segment_size 0
		.amdhsa_uses_dynamic_stack 0
		.amdhsa_system_sgpr_private_segment_wavefront_offset 1
		.amdhsa_system_sgpr_workgroup_id_x 1
		.amdhsa_system_sgpr_workgroup_id_y 1
		.amdhsa_system_sgpr_workgroup_id_z 1
		.amdhsa_system_sgpr_workgroup_info 0
		.amdhsa_system_vgpr_workitem_id 0
		.amdhsa_next_free_vgpr 78
		.amdhsa_next_free_sgpr 53
		.amdhsa_accum_offset 80
		.amdhsa_reserve_vcc 1
		.amdhsa_reserve_flat_scratch 0
		.amdhsa_float_round_mode_32 0
		.amdhsa_float_round_mode_16_64 0
		.amdhsa_float_denorm_mode_32 3
		.amdhsa_float_denorm_mode_16_64 3
		.amdhsa_dx10_clamp 1
		.amdhsa_ieee_mode 1
		.amdhsa_fp16_overflow 0
		.amdhsa_tg_split 0
		.amdhsa_exception_fp_ieee_invalid_op 0
		.amdhsa_exception_fp_denorm_src 0
		.amdhsa_exception_fp_ieee_div_zero 0
		.amdhsa_exception_fp_ieee_overflow 0
		.amdhsa_exception_fp_ieee_underflow 0
		.amdhsa_exception_fp_ieee_inexact 0
		.amdhsa_exception_int_div_zero 0
	.end_amdhsa_kernel
	.section	.text._Z39paged_attention_ll4mi_QKV_mfma16_kernelIDF16_hLN4vllm18Fp8KVCacheDataTypeE1EDF16_Li32ELi128ELi256ELb0ELi11EL8MFMAType0EEvPKT_PKT0_S8_ifPKiSA_SA_iPKfiiiPfSD_PS3_PT2_iSC_SC_,"axG",@progbits,_Z39paged_attention_ll4mi_QKV_mfma16_kernelIDF16_hLN4vllm18Fp8KVCacheDataTypeE1EDF16_Li32ELi128ELi256ELb0ELi11EL8MFMAType0EEvPKT_PKT0_S8_ifPKiSA_SA_iPKfiiiPfSD_PS3_PT2_iSC_SC_,comdat
.Lfunc_end664:
	.size	_Z39paged_attention_ll4mi_QKV_mfma16_kernelIDF16_hLN4vllm18Fp8KVCacheDataTypeE1EDF16_Li32ELi128ELi256ELb0ELi11EL8MFMAType0EEvPKT_PKT0_S8_ifPKiSA_SA_iPKfiiiPfSD_PS3_PT2_iSC_SC_, .Lfunc_end664-_Z39paged_attention_ll4mi_QKV_mfma16_kernelIDF16_hLN4vllm18Fp8KVCacheDataTypeE1EDF16_Li32ELi128ELi256ELb0ELi11EL8MFMAType0EEvPKT_PKT0_S8_ifPKiSA_SA_iPKfiiiPfSD_PS3_PT2_iSC_SC_
                                        ; -- End function
	.section	.AMDGPU.csdata,"",@progbits
; Kernel info:
; codeLenInByte = 21260
; NumSgprs: 57
; NumVgprs: 78
; NumAgprs: 0
; TotalNumVgprs: 78
; ScratchSize: 352
; MemoryBound: 0
; FloatMode: 240
; IeeeMode: 1
; LDSByteSize: 8192 bytes/workgroup (compile time only)
; SGPRBlocks: 7
; VGPRBlocks: 9
; NumSGPRsForWavesPerEU: 57
; NumVGPRsForWavesPerEU: 78
; AccumOffset: 80
; Occupancy: 6
; WaveLimiterHint : 1
; COMPUTE_PGM_RSRC2:SCRATCH_EN: 1
; COMPUTE_PGM_RSRC2:USER_SGPR: 8
; COMPUTE_PGM_RSRC2:TRAP_HANDLER: 0
; COMPUTE_PGM_RSRC2:TGID_X_EN: 1
; COMPUTE_PGM_RSRC2:TGID_Y_EN: 1
; COMPUTE_PGM_RSRC2:TGID_Z_EN: 1
; COMPUTE_PGM_RSRC2:TIDIG_COMP_CNT: 0
; COMPUTE_PGM_RSRC3_GFX90A:ACCUM_OFFSET: 19
; COMPUTE_PGM_RSRC3_GFX90A:TG_SPLIT: 0
	.section	.text._Z39paged_attention_ll4mi_QKV_mfma16_kernelIDF16_hLN4vllm18Fp8KVCacheDataTypeE1EDF16_Li32ELi128ELi256ELb0ELi12EL8MFMAType0EEvPKT_PKT0_S8_ifPKiSA_SA_iPKfiiiPfSD_PS3_PT2_iSC_SC_,"axG",@progbits,_Z39paged_attention_ll4mi_QKV_mfma16_kernelIDF16_hLN4vllm18Fp8KVCacheDataTypeE1EDF16_Li32ELi128ELi256ELb0ELi12EL8MFMAType0EEvPKT_PKT0_S8_ifPKiSA_SA_iPKfiiiPfSD_PS3_PT2_iSC_SC_,comdat
	.protected	_Z39paged_attention_ll4mi_QKV_mfma16_kernelIDF16_hLN4vllm18Fp8KVCacheDataTypeE1EDF16_Li32ELi128ELi256ELb0ELi12EL8MFMAType0EEvPKT_PKT0_S8_ifPKiSA_SA_iPKfiiiPfSD_PS3_PT2_iSC_SC_ ; -- Begin function _Z39paged_attention_ll4mi_QKV_mfma16_kernelIDF16_hLN4vllm18Fp8KVCacheDataTypeE1EDF16_Li32ELi128ELi256ELb0ELi12EL8MFMAType0EEvPKT_PKT0_S8_ifPKiSA_SA_iPKfiiiPfSD_PS3_PT2_iSC_SC_
	.globl	_Z39paged_attention_ll4mi_QKV_mfma16_kernelIDF16_hLN4vllm18Fp8KVCacheDataTypeE1EDF16_Li32ELi128ELi256ELb0ELi12EL8MFMAType0EEvPKT_PKT0_S8_ifPKiSA_SA_iPKfiiiPfSD_PS3_PT2_iSC_SC_
	.p2align	8
	.type	_Z39paged_attention_ll4mi_QKV_mfma16_kernelIDF16_hLN4vllm18Fp8KVCacheDataTypeE1EDF16_Li32ELi128ELi256ELb0ELi12EL8MFMAType0EEvPKT_PKT0_S8_ifPKiSA_SA_iPKfiiiPfSD_PS3_PT2_iSC_SC_,@function
_Z39paged_attention_ll4mi_QKV_mfma16_kernelIDF16_hLN4vllm18Fp8KVCacheDataTypeE1EDF16_Li32ELi128ELi256ELb0ELi12EL8MFMAType0EEvPKT_PKT0_S8_ifPKiSA_SA_iPKfiiiPfSD_PS3_PT2_iSC_SC_: ; @_Z39paged_attention_ll4mi_QKV_mfma16_kernelIDF16_hLN4vllm18Fp8KVCacheDataTypeE1EDF16_Li32ELi128ELi256ELb0ELi12EL8MFMAType0EEvPKT_PKT0_S8_ifPKiSA_SA_iPKfiiiPfSD_PS3_PT2_iSC_SC_
; %bb.0:
	s_load_dwordx2 s[6:7], s[4:5], 0x30
	s_add_u32 s0, s0, s11
	s_addc_u32 s1, s1, 0
	s_mov_b32 s24, s9
	s_mov_b64 s[12:13], 0
	s_waitcnt lgkmcnt(0)
	s_cmp_lg_u64 s[6:7], 0
	s_cselect_b64 s[16:17], -1, 0
	s_and_b64 vcc, exec, s[16:17]
	s_cbranch_vccz .LBB665_7
; %bb.1:
	s_add_i32 s14, s8, 1
	s_mov_b32 s15, 0
	s_lshl_b64 s[18:19], s[14:15], 2
	s_add_u32 s18, s6, s18
	s_mov_b32 s9, s15
	s_addc_u32 s19, s7, s19
	s_lshl_b64 s[14:15], s[8:9], 2
	s_add_u32 s14, s6, s14
	s_addc_u32 s15, s7, s15
	s_load_dword s11, s[18:19], 0x0
	s_load_dword s20, s[14:15], 0x0
	s_waitcnt lgkmcnt(0)
	s_sub_i32 s11, s11, s20
	s_cmp_eq_u32 s11, 1
	s_cselect_b64 s[14:15], -1, 0
	s_andn2_b64 vcc, exec, s[12:13]
	s_cbranch_vccnz .LBB665_3
.LBB665_2:
	s_mov_b32 s9, 0
	s_mov_b64 s[14:15], -1
.LBB665_3:
	s_andn2_b64 vcc, exec, s[14:15]
	s_cbranch_vccnz .LBB665_597
; %bb.4:
	s_load_dwordx2 s[12:13], s[4:5], 0x28
	s_lshl_b64 s[18:19], s[8:9], 2
	s_waitcnt lgkmcnt(0)
	s_add_u32 s12, s12, s18
	s_addc_u32 s13, s13, s19
	s_load_dword s33, s[12:13], 0x0
	s_lshl_b32 s20, s24, 8
	s_waitcnt lgkmcnt(0)
	s_cmp_ge_i32 s20, s33
	s_cbranch_scc1 .LBB665_597
; %bb.5:
	s_add_i32 s14, s33, 31
	s_load_dwordx2 s[12:13], s[4:5], 0x20
	s_load_dword s11, s[4:5], 0x38
	s_ashr_i32 s15, s14, 31
	v_and_b32_e32 v1, 0xcf, v0
	s_lshr_b32 s15, s15, 27
	v_add_u32_e32 v1, s20, v1
	s_add_i32 s14, s14, s15
	v_ashrrev_i32_e32 v2, 31, v1
	s_ashr_i32 s22, s14, 5
	v_lshrrev_b32_e32 v10, 27, v2
	s_add_i32 s22, s22, -1
	v_add_u32_e32 v2, v1, v10
	s_waitcnt lgkmcnt(0)
	s_mul_i32 s14, s8, s11
	s_mov_b32 s15, 0
	v_ashrrev_i32_e32 v2, 5, v2
	v_mov_b32_e32 v11, s22
	v_cmp_gt_i32_e32 vcc, s33, v1
	s_lshl_b64 s[14:15], s[14:15], 2
	v_cndmask_b32_e32 v2, v11, v2, vcc
	s_add_u32 s11, s12, s14
	v_ashrrev_i32_e32 v3, 31, v2
	s_addc_u32 s21, s13, s15
	v_lshlrev_b64 v[2:3], 2, v[2:3]
	v_mov_b32_e32 v5, s21
	v_add_co_u32_e32 v4, vcc, s11, v2
	v_or_b32_e32 v2, 16, v1
	v_addc_co_u32_e32 v5, vcc, v5, v3, vcc
	v_add_u32_e32 v3, v2, v10
	v_ashrrev_i32_e32 v3, 5, v3
	v_cmp_gt_i32_e32 vcc, s33, v2
	v_cndmask_b32_e32 v2, v11, v3, vcc
	v_ashrrev_i32_e32 v3, 31, v2
	v_lshlrev_b64 v[2:3], 2, v[2:3]
	v_mov_b32_e32 v7, s21
	v_add_co_u32_e32 v6, vcc, s11, v2
	v_or_b32_e32 v2, 32, v1
	v_addc_co_u32_e32 v7, vcc, v7, v3, vcc
	v_add_u32_e32 v3, v2, v10
	v_ashrrev_i32_e32 v3, 5, v3
	v_cmp_gt_i32_e32 vcc, s33, v2
	v_cndmask_b32_e32 v2, v11, v3, vcc
	v_ashrrev_i32_e32 v3, 31, v2
	;; [unrolled: 10-line block ×3, first 2 shown]
	v_lshlrev_b64 v[2:3], 2, v[2:3]
	v_mov_b32_e32 v1, s21
	v_add_co_u32_e32 v12, vcc, s11, v2
	v_addc_co_u32_e32 v13, vcc, v1, v3, vcc
	global_load_dword v2, v[4:5], off
	global_load_dword v10, v[6:7], off
	;; [unrolled: 1-line block ×4, first 2 shown]
	s_load_dwordx4 s[12:15], s[4:5], 0x8
	s_andn2_b64 vcc, exec, s[16:17]
	s_cbranch_vccnz .LBB665_8
; %bb.6:
	s_add_u32 s6, s6, s18
	s_addc_u32 s7, s7, s19
	s_load_dword s16, s[6:7], 0x0
	s_branch .LBB665_9
.LBB665_7:
	s_mov_b64 s[14:15], 0
	s_branch .LBB665_2
.LBB665_8:
	s_mov_b32 s16, s8
.LBB665_9:
	s_load_dwordx2 s[48:49], s[4:5], 0x68
	s_load_dwordx8 s[40:47], s[4:5], 0x48
	v_and_b32_e32 v55, 15, v0
	v_lshlrev_b32_e32 v3, 3, v55
	s_movk_i32 s6, 0xc0
	v_lshrrev_b32_e32 v62, 6, v0
	v_bfe_u32 v1, v0, 4, 2
	s_mul_i32 s25, s10, 12
	v_cmp_gt_u32_e32 vcc, s6, v0
	v_lshlrev_b32_e32 v54, 1, v3
	v_lshlrev_b32_e32 v56, 4, v0
	s_and_saveexec_b64 s[6:7], vcc
	s_cbranch_execz .LBB665_11
; %bb.10:
	s_load_dwordx2 s[18:19], s[4:5], 0x0
	s_waitcnt lgkmcnt(0)
	s_ashr_i32 s17, s40, 31
	s_mul_hi_u32 s23, s16, s40
	s_mul_i32 s17, s16, s17
	v_lshl_or_b32 v3, v62, 2, v1
	s_add_i32 s17, s23, s17
	s_mul_i32 s16, s16, s40
	s_lshl_b64 s[16:17], s[16:17], 1
	v_add_lshl_u32 v4, v3, s25, 7
	s_add_u32 s16, s18, s16
	v_ashrrev_i32_e32 v5, 31, v4
	s_addc_u32 s17, s19, s17
	v_lshlrev_b64 v[4:5], 1, v[4:5]
	v_mov_b32_e32 v6, s17
	v_add_co_u32_e32 v4, vcc, s16, v4
	v_addc_co_u32_e32 v5, vcc, v6, v5, vcc
	v_add_co_u32_e32 v4, vcc, v4, v54
	v_addc_co_u32_e32 v5, vcc, 0, v5, vcc
	global_load_dwordx4 v[4:7], v[4:5], off
	v_lshlrev_b32_e32 v9, 8, v0
	v_lshlrev_b32_e32 v8, 8, v55
	v_and_b32_e32 v9, 0x600, v9
	s_movk_i32 s16, 0x800
	v_and_or_b32 v8, v8, s16, v9
	v_lshlrev_b32_e32 v3, 5, v3
	v_and_b32_e32 v9, 16, v56
	v_or3_b32 v3, v8, v3, v9
	s_waitcnt vmcnt(0)
	ds_write_b128 v3, v[4:7]
.LBB665_11:
	s_or_b64 exec, exec, s[6:7]
	s_waitcnt lgkmcnt(0)
	s_mul_i32 s10, s10, s42
	s_add_u32 s6, s12, s10
	s_addc_u32 s7, s13, 0
	v_and_b32_e32 v3, 48, v0
	v_pk_mov_b32 v[22:23], s[6:7], s[6:7] op_sel:[0,1]
	s_ashr_i32 s6, s20, 31
	v_lshlrev_b32_e32 v25, 5, v3
	v_or_b32_e32 v3, s20, v3
	s_lshr_b32 s6, s6, 27
	v_add_u32_e32 v4, s6, v3
	v_ashrrev_i32_e32 v4, 5, v4
	v_mov_b32_e32 v11, s22
	v_cmp_gt_i32_e32 vcc, s33, v3
	v_cndmask_b32_e32 v4, v11, v4, vcc
	v_ashrrev_i32_e32 v5, 31, v4
	v_lshlrev_b64 v[4:5], 2, v[4:5]
	v_mov_b32_e32 v6, s21
	v_add_co_u32_e32 v4, vcc, s11, v4
	v_addc_co_u32_e32 v5, vcc, v6, v5, vcc
	v_or_b32_e32 v6, 64, v3
	v_add_u32_e32 v7, s6, v6
	v_ashrrev_i32_e32 v7, 5, v7
	v_cmp_gt_i32_e32 vcc, s33, v6
	v_cndmask_b32_e32 v6, v11, v7, vcc
	v_ashrrev_i32_e32 v7, 31, v6
	v_lshlrev_b64 v[6:7], 2, v[6:7]
	v_mov_b32_e32 v8, s21
	v_add_co_u32_e32 v6, vcc, s11, v6
	v_addc_co_u32_e32 v7, vcc, v8, v7, vcc
	v_or_b32_e32 v8, 0x80, v3
	v_add_u32_e32 v9, s6, v8
	v_ashrrev_i32_e32 v9, 5, v9
	v_cmp_gt_i32_e32 vcc, s33, v8
	v_cndmask_b32_e32 v8, v11, v9, vcc
	v_ashrrev_i32_e32 v9, 31, v8
	v_lshlrev_b64 v[8:9], 2, v[8:9]
	v_mov_b32_e32 v12, s21
	v_add_co_u32_e32 v8, vcc, s11, v8
	v_or_b32_e32 v3, 0xc0, v3
	s_load_dwordx2 s[50:51], s[4:5], 0x94
	s_waitcnt lgkmcnt(0)
	s_barrier
	v_addc_co_u32_e32 v9, vcc, v12, v9, vcc
	global_load_dword v50, v[4:5], off
	global_load_dword v57, v[6:7], off
	v_add_u32_e32 v4, s6, v3
	v_ashrrev_i32_e32 v4, 5, v4
	v_cmp_gt_i32_e32 vcc, s33, v3
	v_cndmask_b32_e32 v4, v11, v4, vcc
	v_ashrrev_i32_e32 v5, 31, v4
	v_lshlrev_b64 v[4:5], 2, v[4:5]
	v_mov_b32_e32 v3, s21
	v_add_co_u32_e32 v4, vcc, s11, v4
	v_addc_co_u32_e32 v5, vcc, v3, v5, vcc
	global_load_dword v64, v[8:9], off
	global_load_dword v65, v[4:5], off
	s_waitcnt vmcnt(7)
	v_mad_i64_i32 v[2:3], s[6:7], v2, s41, v[22:23]
	v_lshlrev_b32_e32 v26, 4, v55
	v_add_co_u32_e32 v2, vcc, v2, v26
	v_addc_co_u32_e32 v3, vcc, 0, v3, vcc
	v_add_co_u32_e32 v12, vcc, v2, v25
	v_addc_co_u32_e32 v13, vcc, 0, v3, vcc
	global_load_dwordx4 v[6:9], v[12:13], off
	global_load_dwordx4 v[2:5], v[12:13], off offset:2048
	s_waitcnt vmcnt(8)
	v_mad_i64_i32 v[10:11], s[6:7], v10, s41, v[22:23]
	v_or_b32_e32 v28, 0x100, v26
	v_add_co_u32_e32 v10, vcc, v10, v28
	v_addc_co_u32_e32 v11, vcc, 0, v11, vcc
	v_add_co_u32_e32 v20, vcc, v10, v25
	v_addc_co_u32_e32 v21, vcc, 0, v11, vcc
	s_waitcnt vmcnt(7)
	v_mad_i64_i32 v[18:19], s[6:7], v18, s41, v[22:23]
	v_add_co_u32_e32 v18, vcc, v18, v26
	v_addc_co_u32_e32 v19, vcc, 0, v19, vcc
	v_add_co_u32_e32 v26, vcc, v18, v25
	v_addc_co_u32_e32 v27, vcc, 0, v19, vcc
	s_waitcnt vmcnt(6)
	v_mad_i64_i32 v[22:23], s[6:7], v24, s41, v[22:23]
	v_add_co_u32_e32 v22, vcc, v22, v28
	v_addc_co_u32_e32 v23, vcc, 0, v23, vcc
	v_add_co_u32_e32 v30, vcc, v22, v25
	v_addc_co_u32_e32 v31, vcc, 0, v23, vcc
	s_add_u32 s6, s14, s10
	global_load_dwordx4 v[10:13], v[20:21], off
	global_load_dwordx4 v[14:17], v[20:21], off offset:2048
	global_load_dwordx4 v[38:41], v[26:27], off
	s_nop 0
	global_load_dwordx4 v[18:21], v[26:27], off offset:2048
	s_nop 0
	global_load_dwordx4 v[26:29], v[30:31], off
	global_load_dwordx4 v[22:25], v[30:31], off offset:2048
	s_addc_u32 s7, s15, 0
	v_and_b32_e32 v30, 16, v0
	v_mov_b32_e32 v31, s7
	v_add_co_u32_e32 v51, vcc, s6, v30
	v_lshl_or_b32 v63, v62, 4, v55
	v_addc_co_u32_e32 v52, vcc, 0, v31, vcc
	v_lshlrev_b32_e32 v53, 5, v63
	v_add_co_u32_e32 v42, vcc, v51, v53
	v_addc_co_u32_e32 v43, vcc, 0, v52, vcc
	v_or_b32_e32 v53, 0x800, v53
	v_add_co_u32_e32 v58, vcc, v51, v53
	v_addc_co_u32_e32 v59, vcc, 0, v52, vcc
	v_cmp_gt_u32_e32 vcc, 12, v55
	s_waitcnt vmcnt(11)
	v_mad_i64_i32 v[30:31], s[6:7], v50, s41, v[42:43]
	s_waitcnt vmcnt(10)
	v_mad_i64_i32 v[34:35], s[6:7], v57, s41, v[42:43]
	global_load_dwordx4 v[30:33], v[30:31], off
	v_mad_i64_i32 v[50:51], s[6:7], v50, s41, v[58:59]
	global_load_dwordx4 v[34:37], v[34:35], off
	v_mad_i64_i32 v[60:61], s[6:7], v57, s41, v[58:59]
	s_mov_b32 s12, 0
	s_movk_i32 s13, 0x80
	s_waitcnt vmcnt(11)
	v_mad_i64_i32 v[44:45], s[6:7], v64, s41, v[42:43]
	s_waitcnt vmcnt(10)
	v_mad_i64_i32 v[42:43], s[6:7], v65, s41, v[42:43]
	global_load_dwordx4 v[46:49], v[44:45], off
	s_nop 0
	global_load_dwordx4 v[42:45], v[42:43], off
	s_movk_i32 s14, 0x7f
	global_load_dwordx4 v[50:53], v[50:51], off
	s_mov_b32 s15, 0xffffff
	global_load_dwordx4 v[66:69], v[60:61], off
	s_waitcnt vmcnt(13)
	buffer_store_dword v9, off, s[0:3], 0 offset:12
	buffer_store_dword v8, off, s[0:3], 0 offset:8
	v_mad_i64_i32 v[8:9], s[6:7], v64, s41, v[58:59]
	global_load_dwordx4 v[70:73], v[8:9], off
	v_mad_i64_i32 v[8:9], s[6:7], v65, s41, v[58:59]
	global_load_dwordx4 v[74:77], v[8:9], off
	v_and_b32_e32 v64, 63, v0
	buffer_store_dword v7, off, s[0:3], 0 offset:4
	buffer_store_dword v6, off, s[0:3], 0
	s_waitcnt vmcnt(18)
	buffer_store_dword v5, off, s[0:3], 0 offset:28
	buffer_store_dword v4, off, s[0:3], 0 offset:24
	;; [unrolled: 1-line block ×4, first 2 shown]
	s_waitcnt vmcnt(21)
	buffer_store_dword v13, off, s[0:3], 0 offset:44
	buffer_store_dword v12, off, s[0:3], 0 offset:40
	;; [unrolled: 1-line block ×4, first 2 shown]
	v_mov_b32_e32 v2, 0x80
	s_load_dword s6, s[4:5], 0x1c
	s_load_dwordx4 s[40:43], s[4:5], 0x80
	v_add_u32_e32 v57, 16, v2
	s_waitcnt vmcnt(24)
	buffer_store_dword v17, off, s[0:3], 0 offset:60
	buffer_store_dword v16, off, s[0:3], 0 offset:56
	;; [unrolled: 1-line block ×4, first 2 shown]
	v_add_u32_e32 v61, 32, v2
	v_add_u32_e32 v58, 48, v2
	v_add_u32_e32 v60, 64, v2
	v_add_u32_e32 v59, 0x50, v2
	s_waitcnt vmcnt(27)
	buffer_store_dword v41, off, s[0:3], 0 offset:76
	buffer_store_dword v40, off, s[0:3], 0 offset:72
	;; [unrolled: 1-line block ×4, first 2 shown]
	v_add_u32_e32 v41, 0x60, v2
	v_add_u32_e32 v39, 0x70, v2
	v_add_u32_e32 v2, -12, v55
	v_cndmask_b32_e32 v2, v2, v55, vcc
	v_lshlrev_b32_e32 v2, 5, v2
	v_lshl_add_u32 v14, v1, 9, v2
	ds_read_b128 v[2:5], v14
	ds_read_b128 v[6:9], v14 offset:16
	ds_read_b128 v[10:13], v14 offset:2048
	;; [unrolled: 1-line block ×3, first 2 shown]
	s_waitcnt vmcnt(30)
	buffer_store_dword v21, off, s[0:3], 0 offset:92
	buffer_store_dword v20, off, s[0:3], 0 offset:88
	buffer_store_dword v19, off, s[0:3], 0 offset:84
	buffer_store_dword v18, off, s[0:3], 0 offset:80
	s_waitcnt vmcnt(33)
	buffer_store_dword v29, off, s[0:3], 0 offset:108
	buffer_store_dword v28, off, s[0:3], 0 offset:104
	buffer_store_dword v27, off, s[0:3], 0 offset:100
	buffer_store_dword v26, off, s[0:3], 0 offset:96
	;; [unrolled: 5-line block ×10, first 2 shown]
	s_waitcnt vmcnt(58)
	buffer_store_dword v77, off, s[0:3], 0 offset:252
	s_waitcnt lgkmcnt(0)
	s_load_dword s4, s[40:41], 0x0
	v_mov_b32_e32 v18, s6
	v_mov_b32_e32 v27, 0
	;; [unrolled: 1-line block ×4, first 2 shown]
	s_waitcnt lgkmcnt(0)
	v_mul_f32_e32 v22, s4, v18
	v_mov_b32_e32 v24, v22
	v_mov_b32_e32 v25, v22
	v_bfrev_b32_e32 v33, 60
	buffer_store_dword v76, off, s[0:3], 0 offset:248
	buffer_store_dword v75, off, s[0:3], 0 offset:244
	;; [unrolled: 1-line block ×3, first 2 shown]
	s_branch .LBB665_15
.LBB665_12:                             ;   in Loop: Header=BB665_15 Depth=1
	s_or_b64 exec, exec, s[10:11]
.LBB665_13:                             ;   in Loop: Header=BB665_15 Depth=1
	s_or_b64 exec, exec, s[6:7]
.LBB665_14:                             ;   in Loop: Header=BB665_15 Depth=1
	s_or_b64 exec, exec, s[4:5]
	v_cvt_pkrtz_f16_f32 v42, v34, v32
	v_cvt_pkrtz_f16_f32 v43, v23, v36
	v_cvt_pkrtz_f16_f32 v34, v35, v37
	v_cvt_pkrtz_f16_f32 v35, v30, v38
	v_add_u32_e32 v26, s12, v31
	v_mfma_f32_16x16x16f16 v[18:21], v[42:43], v[14:15], v[18:21]
	s_add_i32 s12, s12, 16
	v_mov_b32_e32 v23, v22
	s_cmp_eq_u32 s12, 64
	v_add_u32_e32 v27, 32, v27
	v_mfma_f32_16x16x16f16 v[18:21], v[34:35], v[16:17], v[18:21]
	s_nop 7
	s_nop 2
	v_pk_mul_f32 v[18:19], v[24:25], v[18:19]
	v_pk_mul_f32 v[20:21], v[22:23], v[20:21]
	buffer_store_dword v19, v26, s[0:3], 0 offen offset:4
	buffer_store_dword v18, v26, s[0:3], 0 offen
	buffer_store_dword v21, v26, s[0:3], 0 offen offset:12
	buffer_store_dword v20, v26, s[0:3], 0 offen offset:8
	s_cbranch_scc1 .LBB665_205
.LBB665_15:                             ; =>This Inner Loop Header: Depth=1
	buffer_load_dword v20, v27, s[0:3], 0 offen
	buffer_load_dword v18, v27, s[0:3], 0 offen offset:4
	buffer_load_dword v28, v27, s[0:3], 0 offen offset:8
	;; [unrolled: 1-line block ×3, first 2 shown]
	v_mov_b32_e32 v19, 0
	s_waitcnt vmcnt(3)
	v_cmp_ne_u16_sdwa s[6:7], v20, v29 src0_sel:BYTE_0 src1_sel:DWORD
	s_and_saveexec_b64 s[4:5], s[6:7]
	s_cbranch_execz .LBB665_21
; %bb.16:                               ;   in Loop: Header=BB665_15 Depth=1
	v_cmp_ne_u16_sdwa s[10:11], v20, s13 src0_sel:BYTE_0 src1_sel:DWORD
	v_bfrev_b32_e32 v19, 1
	s_and_saveexec_b64 s[6:7], s[10:11]
	s_cbranch_execz .LBB665_20
; %bb.17:                               ;   in Loop: Header=BB665_15 Depth=1
	v_and_b32_e32 v21, 0x7f, v20
	v_cmp_ne_u32_e32 vcc, s14, v21
	v_mov_b32_e32 v19, 0x7f800001
	s_and_saveexec_b64 s[10:11], vcc
	s_cbranch_execz .LBB665_19
; %bb.18:                               ;   in Loop: Header=BB665_15 Depth=1
	v_and_b32_e32 v19, 7, v20
	v_ffbh_u32_e32 v30, v19
	v_min_u32_e32 v30, 32, v30
	v_subrev_u32_e32 v32, 28, v30
	v_lshlrev_b64 v[34:35], v32, v[20:21]
	v_lshrrev_b32_e32 v23, 3, v21
	v_sub_u32_e32 v30, 29, v30
	v_and_b32_e32 v32, 7, v34
	v_cmp_gt_u32_e32 vcc, 8, v21
	v_cndmask_b32_e32 v21, v23, v30, vcc
	v_cndmask_b32_e32 v19, v19, v32, vcc
	v_lshlrev_b32_e32 v23, 24, v20
	v_lshlrev_b32_e32 v19, 20, v19
	v_and_b32_e32 v23, 0x80000000, v23
	v_lshl_add_u32 v21, v21, 23, v33
	v_or3_b32 v19, v23, v21, v19
.LBB665_19:                             ;   in Loop: Header=BB665_15 Depth=1
	s_or_b64 exec, exec, s[10:11]
.LBB665_20:                             ;   in Loop: Header=BB665_15 Depth=1
	s_or_b64 exec, exec, s[6:7]
.LBB665_21:                             ;   in Loop: Header=BB665_15 Depth=1
	s_or_b64 exec, exec, s[4:5]
	v_lshrrev_b16_e32 v30, 8, v20
	v_cmp_ne_u16_e32 vcc, 0, v30
	v_mov_b32_e32 v21, 0
	v_mov_b32_e32 v23, 0
	s_and_saveexec_b64 s[4:5], vcc
	s_cbranch_execz .LBB665_27
; %bb.22:                               ;   in Loop: Header=BB665_15 Depth=1
	v_cmp_ne_u16_e32 vcc, s13, v30
	v_bfrev_b32_e32 v23, 1
	s_and_saveexec_b64 s[6:7], vcc
	s_cbranch_execz .LBB665_26
; %bb.23:                               ;   in Loop: Header=BB665_15 Depth=1
	v_and_b32_e32 v32, 0x7f, v30
	v_cmp_ne_u32_e32 vcc, s14, v32
	v_mov_b32_e32 v23, 0x7f800001
	s_and_saveexec_b64 s[10:11], vcc
	s_cbranch_execz .LBB665_25
; %bb.24:                               ;   in Loop: Header=BB665_15 Depth=1
	v_and_b32_e32 v23, 7, v30
	v_ffbh_u32_e32 v34, v23
	v_min_u32_e32 v37, 32, v34
	v_subrev_u32_e32 v34, 28, v37
	v_lshlrev_b64 v[34:35], v34, v[30:31]
	v_lshrrev_b32_e32 v36, 3, v32
	v_sub_u32_e32 v30, 29, v37
	v_and_b32_e32 v34, 7, v34
	v_cmp_gt_u32_e32 vcc, 8, v32
	v_cndmask_b32_e32 v30, v36, v30, vcc
	v_cndmask_b32_e32 v23, v23, v34, vcc
	v_lshlrev_b32_e32 v32, 16, v20
	v_lshlrev_b32_e32 v23, 20, v23
	v_and_b32_e32 v32, 0x80000000, v32
	v_lshl_add_u32 v30, v30, 23, v33
	v_or3_b32 v23, v32, v30, v23
.LBB665_25:                             ;   in Loop: Header=BB665_15 Depth=1
	s_or_b64 exec, exec, s[10:11]
.LBB665_26:                             ;   in Loop: Header=BB665_15 Depth=1
	s_or_b64 exec, exec, s[6:7]
.LBB665_27:                             ;   in Loop: Header=BB665_15 Depth=1
	s_or_b64 exec, exec, s[4:5]
	v_lshrrev_b32_e32 v30, 16, v20
	v_cmp_ne_u16_sdwa s[6:7], v30, v29 src0_sel:BYTE_0 src1_sel:DWORD
	s_and_saveexec_b64 s[4:5], s[6:7]
	s_cbranch_execz .LBB665_33
; %bb.28:                               ;   in Loop: Header=BB665_15 Depth=1
	v_cmp_ne_u16_sdwa s[10:11], v30, s13 src0_sel:BYTE_0 src1_sel:DWORD
	v_bfrev_b32_e32 v21, 1
	s_and_saveexec_b64 s[6:7], s[10:11]
	s_cbranch_execz .LBB665_32
; %bb.29:                               ;   in Loop: Header=BB665_15 Depth=1
	v_bfe_u32 v32, v20, 16, 7
	v_cmp_ne_u32_e32 vcc, s14, v32
	v_mov_b32_e32 v21, 0x7f800001
	s_and_saveexec_b64 s[10:11], vcc
	s_cbranch_execz .LBB665_31
; %bb.30:                               ;   in Loop: Header=BB665_15 Depth=1
	v_and_b32_e32 v21, 7, v30
	v_ffbh_u32_e32 v34, v21
	v_min_u32_e32 v37, 32, v34
	v_subrev_u32_e32 v34, 28, v37
	v_lshlrev_b64 v[34:35], v34, v[30:31]
	v_lshrrev_b32_e32 v36, 3, v32
	v_sub_u32_e32 v35, 29, v37
	v_and_b32_e32 v34, 7, v34
	v_cmp_gt_u32_e32 vcc, 8, v32
	v_cndmask_b32_e32 v32, v36, v35, vcc
	v_cndmask_b32_e32 v21, v21, v34, vcc
	v_lshlrev_b32_e32 v30, 24, v30
	v_lshlrev_b32_e32 v21, 20, v21
	v_and_b32_e32 v30, 0x80000000, v30
	v_lshl_add_u32 v32, v32, 23, v33
	v_or3_b32 v21, v30, v32, v21
.LBB665_31:                             ;   in Loop: Header=BB665_15 Depth=1
	s_or_b64 exec, exec, s[10:11]
.LBB665_32:                             ;   in Loop: Header=BB665_15 Depth=1
	s_or_b64 exec, exec, s[6:7]
.LBB665_33:                             ;   in Loop: Header=BB665_15 Depth=1
	s_or_b64 exec, exec, s[4:5]
	v_cmp_lt_u32_e32 vcc, s15, v20
	v_mov_b32_e32 v34, 0
	v_mov_b32_e32 v35, 0
	s_and_saveexec_b64 s[4:5], vcc
	s_cbranch_execz .LBB665_39
; %bb.34:                               ;   in Loop: Header=BB665_15 Depth=1
	v_lshrrev_b32_e32 v30, 24, v20
	v_cmp_ne_u32_e32 vcc, s13, v30
	v_bfrev_b32_e32 v35, 1
	s_and_saveexec_b64 s[6:7], vcc
	s_cbranch_execz .LBB665_38
; %bb.35:                               ;   in Loop: Header=BB665_15 Depth=1
	v_bfe_u32 v20, v20, 24, 7
	v_cmp_ne_u32_e32 vcc, s14, v20
	v_mov_b32_e32 v35, 0x7f800001
	s_and_saveexec_b64 s[10:11], vcc
	s_cbranch_execz .LBB665_37
; %bb.36:                               ;   in Loop: Header=BB665_15 Depth=1
	v_and_b32_e32 v32, 7, v30
	v_ffbh_u32_e32 v36, v32
	v_min_u32_e32 v38, 32, v36
	v_subrev_u32_e32 v36, 28, v38
	v_lshlrev_b64 v[36:37], v36, v[30:31]
	v_lshrrev_b32_e32 v35, 3, v20
	v_sub_u32_e32 v37, 29, v38
	v_and_b32_e32 v36, 7, v36
	v_cmp_gt_u32_e32 vcc, 8, v20
	v_cndmask_b32_e32 v20, v35, v37, vcc
	v_cndmask_b32_e32 v32, v32, v36, vcc
	v_lshlrev_b32_e32 v30, 24, v30
	v_lshlrev_b32_e32 v32, 20, v32
	v_and_b32_e32 v30, 0x80000000, v30
	v_lshl_add_u32 v20, v20, 23, v33
	v_or3_b32 v35, v30, v20, v32
.LBB665_37:                             ;   in Loop: Header=BB665_15 Depth=1
	s_or_b64 exec, exec, s[10:11]
.LBB665_38:                             ;   in Loop: Header=BB665_15 Depth=1
	s_or_b64 exec, exec, s[6:7]
.LBB665_39:                             ;   in Loop: Header=BB665_15 Depth=1
	s_or_b64 exec, exec, s[4:5]
	s_waitcnt vmcnt(2)
	v_cmp_ne_u16_sdwa s[6:7], v18, v29 src0_sel:BYTE_0 src1_sel:DWORD
	s_and_saveexec_b64 s[4:5], s[6:7]
	s_cbranch_execz .LBB665_45
; %bb.40:                               ;   in Loop: Header=BB665_15 Depth=1
	v_cmp_ne_u16_sdwa s[10:11], v18, s13 src0_sel:BYTE_0 src1_sel:DWORD
	v_bfrev_b32_e32 v34, 1
	s_and_saveexec_b64 s[6:7], s[10:11]
	s_cbranch_execz .LBB665_44
; %bb.41:                               ;   in Loop: Header=BB665_15 Depth=1
	v_and_b32_e32 v20, 0x7f, v18
	v_cmp_ne_u32_e32 vcc, s14, v20
	v_mov_b32_e32 v34, 0x7f800001
	s_and_saveexec_b64 s[10:11], vcc
	s_cbranch_execz .LBB665_43
; %bb.42:                               ;   in Loop: Header=BB665_15 Depth=1
	v_and_b32_e32 v30, 7, v18
	v_ffbh_u32_e32 v34, v30
	v_min_u32_e32 v34, 32, v34
	v_subrev_u32_e32 v36, 28, v34
	v_lshlrev_b64 v[36:37], v36, v[18:19]
	v_lshrrev_b32_e32 v32, 3, v20
	v_sub_u32_e32 v34, 29, v34
	v_and_b32_e32 v36, 7, v36
	v_cmp_gt_u32_e32 vcc, 8, v20
	v_cndmask_b32_e32 v20, v32, v34, vcc
	v_cndmask_b32_e32 v30, v30, v36, vcc
	v_lshlrev_b32_e32 v32, 24, v18
	v_lshlrev_b32_e32 v30, 20, v30
	v_and_b32_e32 v32, 0x80000000, v32
	v_lshl_add_u32 v20, v20, 23, v33
	v_or3_b32 v34, v32, v20, v30
.LBB665_43:                             ;   in Loop: Header=BB665_15 Depth=1
	s_or_b64 exec, exec, s[10:11]
.LBB665_44:                             ;   in Loop: Header=BB665_15 Depth=1
	s_or_b64 exec, exec, s[6:7]
.LBB665_45:                             ;   in Loop: Header=BB665_15 Depth=1
	s_or_b64 exec, exec, s[4:5]
	v_lshrrev_b16_e32 v20, 8, v18
	v_cmp_ne_u16_e32 vcc, 0, v20
	v_mov_b32_e32 v30, 0
	v_mov_b32_e32 v36, 0
	s_and_saveexec_b64 s[4:5], vcc
	s_cbranch_execz .LBB665_51
; %bb.46:                               ;   in Loop: Header=BB665_15 Depth=1
	v_cmp_ne_u16_e32 vcc, s13, v20
	v_bfrev_b32_e32 v36, 1
	s_and_saveexec_b64 s[6:7], vcc
	s_cbranch_execz .LBB665_50
; %bb.47:                               ;   in Loop: Header=BB665_15 Depth=1
	v_and_b32_e32 v32, 0x7f, v20
	v_cmp_ne_u32_e32 vcc, s14, v32
	v_mov_b32_e32 v36, 0x7f800001
	s_and_saveexec_b64 s[10:11], vcc
	s_cbranch_execz .LBB665_49
; %bb.48:                               ;   in Loop: Header=BB665_15 Depth=1
	v_and_b32_e32 v38, 7, v20
	v_ffbh_u32_e32 v36, v38
	v_min_u32_e32 v42, 32, v36
	v_subrev_u32_e32 v36, 28, v42
	v_lshlrev_b64 v[36:37], v36, v[20:21]
	v_lshrrev_b32_e32 v40, 3, v32
	v_sub_u32_e32 v20, 29, v42
	v_and_b32_e32 v36, 7, v36
	v_cmp_gt_u32_e32 vcc, 8, v32
	v_cndmask_b32_e32 v20, v40, v20, vcc
	v_cndmask_b32_e32 v32, v38, v36, vcc
	v_lshlrev_b32_e32 v36, 16, v18
	v_lshlrev_b32_e32 v32, 20, v32
	v_and_b32_e32 v36, 0x80000000, v36
	v_lshl_add_u32 v20, v20, 23, v33
	v_or3_b32 v36, v36, v20, v32
.LBB665_49:                             ;   in Loop: Header=BB665_15 Depth=1
	s_or_b64 exec, exec, s[10:11]
.LBB665_50:                             ;   in Loop: Header=BB665_15 Depth=1
	s_or_b64 exec, exec, s[6:7]
.LBB665_51:                             ;   in Loop: Header=BB665_15 Depth=1
	s_or_b64 exec, exec, s[4:5]
	v_lshrrev_b32_e32 v20, 16, v18
	v_cmp_ne_u16_sdwa s[6:7], v20, v29 src0_sel:BYTE_0 src1_sel:DWORD
	s_and_saveexec_b64 s[4:5], s[6:7]
	s_cbranch_execz .LBB665_57
; %bb.52:                               ;   in Loop: Header=BB665_15 Depth=1
	v_cmp_ne_u16_sdwa s[10:11], v20, s13 src0_sel:BYTE_0 src1_sel:DWORD
	v_bfrev_b32_e32 v30, 1
	s_and_saveexec_b64 s[6:7], s[10:11]
	s_cbranch_execz .LBB665_56
; %bb.53:                               ;   in Loop: Header=BB665_15 Depth=1
	v_bfe_u32 v32, v18, 16, 7
	v_cmp_ne_u32_e32 vcc, s14, v32
	v_mov_b32_e32 v30, 0x7f800001
	s_and_saveexec_b64 s[10:11], vcc
	s_cbranch_execz .LBB665_55
; %bb.54:                               ;   in Loop: Header=BB665_15 Depth=1
	v_and_b32_e32 v30, 7, v20
	v_ffbh_u32_e32 v38, v30
	v_min_u32_e32 v38, 32, v38
	v_subrev_u32_e32 v40, 28, v38
	v_lshlrev_b64 v[42:43], v40, v[20:21]
	v_lshrrev_b32_e32 v37, 3, v32
	v_sub_u32_e32 v38, 29, v38
	v_and_b32_e32 v40, 7, v42
	v_cmp_gt_u32_e32 vcc, 8, v32
	v_cndmask_b32_e32 v32, v37, v38, vcc
	v_cndmask_b32_e32 v30, v30, v40, vcc
	v_lshlrev_b32_e32 v20, 24, v20
	v_lshlrev_b32_e32 v30, 20, v30
	v_and_b32_e32 v20, 0x80000000, v20
	v_lshl_add_u32 v32, v32, 23, v33
	v_or3_b32 v30, v20, v32, v30
.LBB665_55:                             ;   in Loop: Header=BB665_15 Depth=1
	s_or_b64 exec, exec, s[10:11]
.LBB665_56:                             ;   in Loop: Header=BB665_15 Depth=1
	s_or_b64 exec, exec, s[6:7]
.LBB665_57:                             ;   in Loop: Header=BB665_15 Depth=1
	s_or_b64 exec, exec, s[4:5]
	v_cmp_lt_u32_e32 vcc, s15, v18
	v_mov_b32_e32 v32, 0
	v_mov_b32_e32 v37, 0
	s_and_saveexec_b64 s[4:5], vcc
	s_cbranch_execz .LBB665_63
; %bb.58:                               ;   in Loop: Header=BB665_15 Depth=1
	v_lshrrev_b32_e32 v20, 24, v18
	v_cmp_ne_u32_e32 vcc, s13, v20
	v_bfrev_b32_e32 v37, 1
	s_and_saveexec_b64 s[6:7], vcc
	s_cbranch_execz .LBB665_62
; %bb.59:                               ;   in Loop: Header=BB665_15 Depth=1
	v_bfe_u32 v18, v18, 24, 7
	v_cmp_ne_u32_e32 vcc, s14, v18
	v_mov_b32_e32 v37, 0x7f800001
	s_and_saveexec_b64 s[10:11], vcc
	s_cbranch_execz .LBB665_61
; %bb.60:                               ;   in Loop: Header=BB665_15 Depth=1
	v_and_b32_e32 v37, 7, v20
	v_ffbh_u32_e32 v40, v37
	v_min_u32_e32 v40, 32, v40
	v_subrev_u32_e32 v42, 28, v40
	v_lshlrev_b64 v[42:43], v42, v[20:21]
	v_lshrrev_b32_e32 v38, 3, v18
	v_sub_u32_e32 v40, 29, v40
	v_and_b32_e32 v42, 7, v42
	v_cmp_gt_u32_e32 vcc, 8, v18
	v_cndmask_b32_e32 v18, v38, v40, vcc
	v_cndmask_b32_e32 v37, v37, v42, vcc
	v_lshlrev_b32_e32 v20, 24, v20
	v_lshlrev_b32_e32 v37, 20, v37
	v_and_b32_e32 v20, 0x80000000, v20
	v_lshl_add_u32 v18, v18, 23, v33
	v_or3_b32 v37, v20, v18, v37
.LBB665_61:                             ;   in Loop: Header=BB665_15 Depth=1
	s_or_b64 exec, exec, s[10:11]
.LBB665_62:                             ;   in Loop: Header=BB665_15 Depth=1
	s_or_b64 exec, exec, s[6:7]
.LBB665_63:                             ;   in Loop: Header=BB665_15 Depth=1
	s_or_b64 exec, exec, s[4:5]
	v_cvt_pkrtz_f16_f32 v18, v19, v23
	v_cvt_pkrtz_f16_f32 v19, v21, v35
	;; [unrolled: 1-line block ×4, first 2 shown]
	s_waitcnt vmcnt(1)
	v_cmp_ne_u16_sdwa s[6:7], v28, v29 src0_sel:BYTE_0 src1_sel:DWORD
	v_mfma_f32_16x16x16f16 v[18:21], v[18:19], v[2:3], 0
	v_mfma_f32_16x16x16f16 v[18:21], v[34:35], v[4:5], v[18:21]
	s_and_saveexec_b64 s[4:5], s[6:7]
	s_cbranch_execz .LBB665_69
; %bb.64:                               ;   in Loop: Header=BB665_15 Depth=1
	v_cmp_ne_u16_sdwa s[10:11], v28, s13 src0_sel:BYTE_0 src1_sel:DWORD
	v_bfrev_b32_e32 v32, 1
	s_and_saveexec_b64 s[6:7], s[10:11]
	s_cbranch_execz .LBB665_68
; %bb.65:                               ;   in Loop: Header=BB665_15 Depth=1
	v_and_b32_e32 v23, 0x7f, v28
	v_cmp_ne_u32_e32 vcc, s14, v23
	v_mov_b32_e32 v32, 0x7f800001
	s_and_saveexec_b64 s[10:11], vcc
	s_cbranch_execz .LBB665_67
; %bb.66:                               ;   in Loop: Header=BB665_15 Depth=1
	v_and_b32_e32 v30, 7, v28
	v_ffbh_u32_e32 v34, v30
	v_min_u32_e32 v36, 32, v34
	v_subrev_u32_e32 v34, 28, v36
	v_lshlrev_b64 v[34:35], v34, v[28:29]
	v_lshrrev_b32_e32 v32, 3, v23
	v_sub_u32_e32 v35, 29, v36
	v_and_b32_e32 v34, 7, v34
	v_cmp_gt_u32_e32 vcc, 8, v23
	v_cndmask_b32_e32 v23, v32, v35, vcc
	v_cndmask_b32_e32 v30, v30, v34, vcc
	v_lshlrev_b32_e32 v32, 24, v28
	v_lshlrev_b32_e32 v30, 20, v30
	v_and_b32_e32 v32, 0x80000000, v32
	v_lshl_add_u32 v23, v23, 23, v33
	v_or3_b32 v32, v32, v23, v30
.LBB665_67:                             ;   in Loop: Header=BB665_15 Depth=1
	s_or_b64 exec, exec, s[10:11]
.LBB665_68:                             ;   in Loop: Header=BB665_15 Depth=1
	s_or_b64 exec, exec, s[6:7]
.LBB665_69:                             ;   in Loop: Header=BB665_15 Depth=1
	s_or_b64 exec, exec, s[4:5]
	v_lshrrev_b16_e32 v30, 8, v28
	v_cmp_ne_u16_e32 vcc, 0, v30
	v_mov_b32_e32 v34, 0
	v_mov_b32_e32 v35, 0
	s_and_saveexec_b64 s[4:5], vcc
	s_cbranch_execz .LBB665_75
; %bb.70:                               ;   in Loop: Header=BB665_15 Depth=1
	v_cmp_ne_u16_e32 vcc, s13, v30
	v_bfrev_b32_e32 v35, 1
	s_and_saveexec_b64 s[6:7], vcc
	s_cbranch_execz .LBB665_74
; %bb.71:                               ;   in Loop: Header=BB665_15 Depth=1
	v_and_b32_e32 v23, 0x7f, v30
	v_cmp_ne_u32_e32 vcc, s14, v23
	v_mov_b32_e32 v35, 0x7f800001
	s_and_saveexec_b64 s[10:11], vcc
	s_cbranch_execz .LBB665_73
; %bb.72:                               ;   in Loop: Header=BB665_15 Depth=1
	v_and_b32_e32 v35, 7, v30
	v_ffbh_u32_e32 v36, v35
	v_min_u32_e32 v40, 32, v36
	v_subrev_u32_e32 v36, 28, v40
	v_lshlrev_b64 v[36:37], v36, v[30:31]
	v_lshrrev_b32_e32 v38, 3, v23
	v_sub_u32_e32 v30, 29, v40
	v_and_b32_e32 v36, 7, v36
	v_cmp_gt_u32_e32 vcc, 8, v23
	v_cndmask_b32_e32 v23, v38, v30, vcc
	v_cndmask_b32_e32 v30, v35, v36, vcc
	v_lshlrev_b32_e32 v35, 16, v28
	v_lshlrev_b32_e32 v30, 20, v30
	v_and_b32_e32 v35, 0x80000000, v35
	v_lshl_add_u32 v23, v23, 23, v33
	v_or3_b32 v35, v35, v23, v30
.LBB665_73:                             ;   in Loop: Header=BB665_15 Depth=1
	s_or_b64 exec, exec, s[10:11]
.LBB665_74:                             ;   in Loop: Header=BB665_15 Depth=1
	s_or_b64 exec, exec, s[6:7]
.LBB665_75:                             ;   in Loop: Header=BB665_15 Depth=1
	s_or_b64 exec, exec, s[4:5]
	v_lshrrev_b32_e32 v30, 16, v28
	v_cmp_ne_u16_sdwa s[6:7], v30, v29 src0_sel:BYTE_0 src1_sel:DWORD
	s_and_saveexec_b64 s[4:5], s[6:7]
	s_cbranch_execz .LBB665_81
; %bb.76:                               ;   in Loop: Header=BB665_15 Depth=1
	v_cmp_ne_u16_sdwa s[10:11], v30, s13 src0_sel:BYTE_0 src1_sel:DWORD
	v_bfrev_b32_e32 v34, 1
	s_and_saveexec_b64 s[6:7], s[10:11]
	s_cbranch_execz .LBB665_80
; %bb.77:                               ;   in Loop: Header=BB665_15 Depth=1
	v_bfe_u32 v23, v28, 16, 7
	v_cmp_ne_u32_e32 vcc, s14, v23
	v_mov_b32_e32 v34, 0x7f800001
	s_and_saveexec_b64 s[10:11], vcc
	s_cbranch_execz .LBB665_79
; %bb.78:                               ;   in Loop: Header=BB665_15 Depth=1
	v_and_b32_e32 v34, 7, v30
	v_ffbh_u32_e32 v36, v34
	v_min_u32_e32 v40, 32, v36
	v_subrev_u32_e32 v36, 28, v40
	v_lshlrev_b64 v[36:37], v36, v[30:31]
	v_lshrrev_b32_e32 v38, 3, v23
	v_sub_u32_e32 v37, 29, v40
	v_and_b32_e32 v36, 7, v36
	v_cmp_gt_u32_e32 vcc, 8, v23
	v_cndmask_b32_e32 v23, v38, v37, vcc
	v_cndmask_b32_e32 v34, v34, v36, vcc
	v_lshlrev_b32_e32 v30, 24, v30
	v_lshlrev_b32_e32 v34, 20, v34
	v_and_b32_e32 v30, 0x80000000, v30
	v_lshl_add_u32 v23, v23, 23, v33
	v_or3_b32 v34, v30, v23, v34
.LBB665_79:                             ;   in Loop: Header=BB665_15 Depth=1
	s_or_b64 exec, exec, s[10:11]
.LBB665_80:                             ;   in Loop: Header=BB665_15 Depth=1
	s_or_b64 exec, exec, s[6:7]
.LBB665_81:                             ;   in Loop: Header=BB665_15 Depth=1
	s_or_b64 exec, exec, s[4:5]
	v_cmp_lt_u32_e32 vcc, s15, v28
	v_mov_b32_e32 v36, 0
	v_mov_b32_e32 v37, 0
	s_and_saveexec_b64 s[4:5], vcc
	s_cbranch_execz .LBB665_87
; %bb.82:                               ;   in Loop: Header=BB665_15 Depth=1
	v_lshrrev_b32_e32 v30, 24, v28
	v_cmp_ne_u32_e32 vcc, s13, v30
	v_bfrev_b32_e32 v37, 1
	s_and_saveexec_b64 s[6:7], vcc
	s_cbranch_execz .LBB665_86
; %bb.83:                               ;   in Loop: Header=BB665_15 Depth=1
	v_bfe_u32 v23, v28, 24, 7
	v_cmp_ne_u32_e32 vcc, s14, v23
	v_mov_b32_e32 v37, 0x7f800001
	s_and_saveexec_b64 s[10:11], vcc
	s_cbranch_execz .LBB665_85
; %bb.84:                               ;   in Loop: Header=BB665_15 Depth=1
	v_and_b32_e32 v28, 7, v30
	v_ffbh_u32_e32 v38, v28
	v_min_u32_e32 v38, 32, v38
	v_subrev_u32_e32 v40, 28, v38
	v_lshlrev_b64 v[42:43], v40, v[30:31]
	v_lshrrev_b32_e32 v37, 3, v23
	v_sub_u32_e32 v38, 29, v38
	v_and_b32_e32 v40, 7, v42
	v_cmp_gt_u32_e32 vcc, 8, v23
	v_cndmask_b32_e32 v23, v37, v38, vcc
	v_cndmask_b32_e32 v28, v28, v40, vcc
	v_lshlrev_b32_e32 v30, 24, v30
	v_lshlrev_b32_e32 v28, 20, v28
	v_and_b32_e32 v30, 0x80000000, v30
	v_lshl_add_u32 v23, v23, 23, v33
	v_or3_b32 v37, v30, v23, v28
.LBB665_85:                             ;   in Loop: Header=BB665_15 Depth=1
	s_or_b64 exec, exec, s[10:11]
.LBB665_86:                             ;   in Loop: Header=BB665_15 Depth=1
	s_or_b64 exec, exec, s[6:7]
.LBB665_87:                             ;   in Loop: Header=BB665_15 Depth=1
	s_or_b64 exec, exec, s[4:5]
	s_waitcnt vmcnt(0)
	v_cmp_ne_u16_sdwa s[6:7], v26, v29 src0_sel:BYTE_0 src1_sel:DWORD
	s_and_saveexec_b64 s[4:5], s[6:7]
	s_cbranch_execz .LBB665_93
; %bb.88:                               ;   in Loop: Header=BB665_15 Depth=1
	v_cmp_ne_u16_sdwa s[10:11], v26, s13 src0_sel:BYTE_0 src1_sel:DWORD
	v_bfrev_b32_e32 v36, 1
	s_and_saveexec_b64 s[6:7], s[10:11]
	s_cbranch_execz .LBB665_92
; %bb.89:                               ;   in Loop: Header=BB665_15 Depth=1
	v_and_b32_e32 v23, 0x7f, v26
	v_cmp_ne_u32_e32 vcc, s14, v23
	v_mov_b32_e32 v36, 0x7f800001
	s_and_saveexec_b64 s[10:11], vcc
	s_cbranch_execz .LBB665_91
; %bb.90:                               ;   in Loop: Header=BB665_15 Depth=1
	v_and_b32_e32 v28, 7, v26
	v_ffbh_u32_e32 v36, v28
	v_min_u32_e32 v36, 32, v36
	v_subrev_u32_e32 v38, 28, v36
	v_lshlrev_b64 v[42:43], v38, v[26:27]
	v_lshrrev_b32_e32 v30, 3, v23
	v_sub_u32_e32 v36, 29, v36
	v_and_b32_e32 v38, 7, v42
	v_cmp_gt_u32_e32 vcc, 8, v23
	v_cndmask_b32_e32 v23, v30, v36, vcc
	v_cndmask_b32_e32 v28, v28, v38, vcc
	v_lshlrev_b32_e32 v30, 24, v26
	v_lshlrev_b32_e32 v28, 20, v28
	v_and_b32_e32 v30, 0x80000000, v30
	v_lshl_add_u32 v23, v23, 23, v33
	v_or3_b32 v36, v30, v23, v28
.LBB665_91:                             ;   in Loop: Header=BB665_15 Depth=1
	s_or_b64 exec, exec, s[10:11]
.LBB665_92:                             ;   in Loop: Header=BB665_15 Depth=1
	s_or_b64 exec, exec, s[6:7]
.LBB665_93:                             ;   in Loop: Header=BB665_15 Depth=1
	s_or_b64 exec, exec, s[4:5]
	v_lshrrev_b16_e32 v28, 8, v26
	v_cmp_ne_u16_e32 vcc, 0, v28
	v_mov_b32_e32 v38, 0
	v_mov_b32_e32 v40, 0
	s_and_saveexec_b64 s[4:5], vcc
	s_cbranch_execz .LBB665_99
; %bb.94:                               ;   in Loop: Header=BB665_15 Depth=1
	v_cmp_ne_u16_e32 vcc, s13, v28
	v_bfrev_b32_e32 v40, 1
	s_and_saveexec_b64 s[6:7], vcc
	s_cbranch_execz .LBB665_98
; %bb.95:                               ;   in Loop: Header=BB665_15 Depth=1
	v_and_b32_e32 v23, 0x7f, v28
	v_cmp_ne_u32_e32 vcc, s14, v23
	v_mov_b32_e32 v40, 0x7f800001
	s_and_saveexec_b64 s[10:11], vcc
	s_cbranch_execz .LBB665_97
; %bb.96:                               ;   in Loop: Header=BB665_15 Depth=1
	v_and_b32_e32 v30, 7, v28
	v_ffbh_u32_e32 v42, v30
	v_min_u32_e32 v44, 32, v42
	v_subrev_u32_e32 v42, 28, v44
	v_lshlrev_b64 v[42:43], v42, v[28:29]
	v_lshrrev_b32_e32 v40, 3, v23
	v_sub_u32_e32 v28, 29, v44
	v_and_b32_e32 v42, 7, v42
	v_cmp_gt_u32_e32 vcc, 8, v23
	v_cndmask_b32_e32 v23, v40, v28, vcc
	v_cndmask_b32_e32 v28, v30, v42, vcc
	v_lshlrev_b32_e32 v30, 16, v26
	v_lshlrev_b32_e32 v28, 20, v28
	v_and_b32_e32 v30, 0x80000000, v30
	v_lshl_add_u32 v23, v23, 23, v33
	v_or3_b32 v40, v30, v23, v28
.LBB665_97:                             ;   in Loop: Header=BB665_15 Depth=1
	s_or_b64 exec, exec, s[10:11]
.LBB665_98:                             ;   in Loop: Header=BB665_15 Depth=1
	s_or_b64 exec, exec, s[6:7]
.LBB665_99:                             ;   in Loop: Header=BB665_15 Depth=1
	s_or_b64 exec, exec, s[4:5]
	v_lshrrev_b32_e32 v28, 16, v26
	v_cmp_ne_u16_sdwa s[6:7], v28, v29 src0_sel:BYTE_0 src1_sel:DWORD
	s_and_saveexec_b64 s[4:5], s[6:7]
	s_cbranch_execz .LBB665_105
; %bb.100:                              ;   in Loop: Header=BB665_15 Depth=1
	v_cmp_ne_u16_sdwa s[10:11], v28, s13 src0_sel:BYTE_0 src1_sel:DWORD
	v_bfrev_b32_e32 v38, 1
	s_and_saveexec_b64 s[6:7], s[10:11]
	s_cbranch_execz .LBB665_104
; %bb.101:                              ;   in Loop: Header=BB665_15 Depth=1
	v_bfe_u32 v23, v26, 16, 7
	v_cmp_ne_u32_e32 vcc, s14, v23
	v_mov_b32_e32 v38, 0x7f800001
	s_and_saveexec_b64 s[10:11], vcc
	s_cbranch_execz .LBB665_103
; %bb.102:                              ;   in Loop: Header=BB665_15 Depth=1
	v_and_b32_e32 v30, 7, v28
	v_ffbh_u32_e32 v42, v30
	v_min_u32_e32 v44, 32, v42
	v_subrev_u32_e32 v42, 28, v44
	v_lshlrev_b64 v[42:43], v42, v[28:29]
	v_lshrrev_b32_e32 v38, 3, v23
	v_sub_u32_e32 v43, 29, v44
	v_and_b32_e32 v42, 7, v42
	v_cmp_gt_u32_e32 vcc, 8, v23
	v_cndmask_b32_e32 v23, v38, v43, vcc
	v_cndmask_b32_e32 v30, v30, v42, vcc
	v_lshlrev_b32_e32 v28, 24, v28
	v_lshlrev_b32_e32 v30, 20, v30
	v_and_b32_e32 v28, 0x80000000, v28
	v_lshl_add_u32 v23, v23, 23, v33
	v_or3_b32 v38, v28, v23, v30
.LBB665_103:                            ;   in Loop: Header=BB665_15 Depth=1
	s_or_b64 exec, exec, s[10:11]
.LBB665_104:                            ;   in Loop: Header=BB665_15 Depth=1
	s_or_b64 exec, exec, s[6:7]
.LBB665_105:                            ;   in Loop: Header=BB665_15 Depth=1
	s_or_b64 exec, exec, s[4:5]
	v_cmp_lt_u32_e32 vcc, s15, v26
	v_mov_b32_e32 v23, 0
	v_mov_b32_e32 v42, 0
	s_and_saveexec_b64 s[4:5], vcc
	s_cbranch_execz .LBB665_111
; %bb.106:                              ;   in Loop: Header=BB665_15 Depth=1
	v_lshrrev_b32_e32 v28, 24, v26
	v_cmp_ne_u32_e32 vcc, s13, v28
	v_bfrev_b32_e32 v42, 1
	s_and_saveexec_b64 s[6:7], vcc
	s_cbranch_execz .LBB665_110
; %bb.107:                              ;   in Loop: Header=BB665_15 Depth=1
	v_bfe_u32 v26, v26, 24, 7
	v_cmp_ne_u32_e32 vcc, s14, v26
	v_mov_b32_e32 v42, 0x7f800001
	s_and_saveexec_b64 s[10:11], vcc
	s_cbranch_execz .LBB665_109
; %bb.108:                              ;   in Loop: Header=BB665_15 Depth=1
	v_and_b32_e32 v30, 7, v28
	v_ffbh_u32_e32 v42, v30
	v_min_u32_e32 v45, 32, v42
	v_subrev_u32_e32 v42, 28, v45
	v_lshlrev_b64 v[42:43], v42, v[28:29]
	v_lshrrev_b32_e32 v44, 3, v26
	v_sub_u32_e32 v43, 29, v45
	v_and_b32_e32 v42, 7, v42
	v_cmp_gt_u32_e32 vcc, 8, v26
	v_cndmask_b32_e32 v26, v44, v43, vcc
	v_cndmask_b32_e32 v30, v30, v42, vcc
	v_lshlrev_b32_e32 v28, 24, v28
	v_lshlrev_b32_e32 v30, 20, v30
	v_and_b32_e32 v28, 0x80000000, v28
	v_lshl_add_u32 v26, v26, 23, v33
	v_or3_b32 v42, v28, v26, v30
.LBB665_109:                            ;   in Loop: Header=BB665_15 Depth=1
	s_or_b64 exec, exec, s[10:11]
.LBB665_110:                            ;   in Loop: Header=BB665_15 Depth=1
	s_or_b64 exec, exec, s[6:7]
.LBB665_111:                            ;   in Loop: Header=BB665_15 Depth=1
	s_or_b64 exec, exec, s[4:5]
	v_cvt_pkrtz_f16_f32 v44, v32, v35
	buffer_load_dword v32, v27, s[0:3], 0 offen offset:16
	buffer_load_dword v30, v27, s[0:3], 0 offen offset:20
	;; [unrolled: 1-line block ×4, first 2 shown]
	v_cvt_pkrtz_f16_f32 v45, v34, v37
	v_cvt_pkrtz_f16_f32 v34, v36, v40
	v_cvt_pkrtz_f16_f32 v35, v38, v42
	v_mfma_f32_16x16x16f16 v[18:21], v[44:45], v[6:7], v[18:21]
	s_waitcnt vmcnt(3)
	v_cmp_ne_u16_sdwa s[6:7], v32, v29 src0_sel:BYTE_0 src1_sel:DWORD
	v_mfma_f32_16x16x16f16 v[18:21], v[34:35], v[8:9], v[18:21]
	s_and_saveexec_b64 s[4:5], s[6:7]
	s_cbranch_execz .LBB665_117
; %bb.112:                              ;   in Loop: Header=BB665_15 Depth=1
	v_cmp_ne_u16_sdwa s[10:11], v32, s13 src0_sel:BYTE_0 src1_sel:DWORD
	v_bfrev_b32_e32 v23, 1
	s_and_saveexec_b64 s[6:7], s[10:11]
	s_cbranch_execz .LBB665_116
; %bb.113:                              ;   in Loop: Header=BB665_15 Depth=1
	v_and_b32_e32 v34, 0x7f, v32
	v_cmp_ne_u32_e32 vcc, s14, v34
	v_mov_b32_e32 v23, 0x7f800001
	s_and_saveexec_b64 s[10:11], vcc
	s_cbranch_execz .LBB665_115
; %bb.114:                              ;   in Loop: Header=BB665_15 Depth=1
	v_and_b32_e32 v23, 7, v32
	v_ffbh_u32_e32 v36, v23
	v_min_u32_e32 v38, 32, v36
	v_subrev_u32_e32 v36, 28, v38
	v_lshlrev_b64 v[36:37], v36, v[32:33]
	v_lshrrev_b32_e32 v35, 3, v34
	v_sub_u32_e32 v37, 29, v38
	v_and_b32_e32 v36, 7, v36
	v_cmp_gt_u32_e32 vcc, 8, v34
	v_cndmask_b32_e32 v34, v35, v37, vcc
	v_cndmask_b32_e32 v23, v23, v36, vcc
	v_lshlrev_b32_e32 v35, 24, v32
	v_lshlrev_b32_e32 v23, 20, v23
	v_and_b32_e32 v35, 0x80000000, v35
	v_lshl_add_u32 v34, v34, 23, v33
	v_or3_b32 v23, v35, v34, v23
.LBB665_115:                            ;   in Loop: Header=BB665_15 Depth=1
	s_or_b64 exec, exec, s[10:11]
.LBB665_116:                            ;   in Loop: Header=BB665_15 Depth=1
	s_or_b64 exec, exec, s[6:7]
.LBB665_117:                            ;   in Loop: Header=BB665_15 Depth=1
	s_or_b64 exec, exec, s[4:5]
	v_lshrrev_b16_e32 v34, 8, v32
	v_cmp_ne_u16_e32 vcc, 0, v34
	v_mov_b32_e32 v35, 0
	v_mov_b32_e32 v36, 0
	s_and_saveexec_b64 s[4:5], vcc
	s_cbranch_execz .LBB665_123
; %bb.118:                              ;   in Loop: Header=BB665_15 Depth=1
	v_cmp_ne_u16_e32 vcc, s13, v34
	v_bfrev_b32_e32 v36, 1
	s_and_saveexec_b64 s[6:7], vcc
	s_cbranch_execz .LBB665_122
; %bb.119:                              ;   in Loop: Header=BB665_15 Depth=1
	v_and_b32_e32 v37, 0x7f, v34
	v_cmp_ne_u32_e32 vcc, s14, v37
	v_mov_b32_e32 v36, 0x7f800001
	s_and_saveexec_b64 s[10:11], vcc
	s_cbranch_execz .LBB665_121
; %bb.120:                              ;   in Loop: Header=BB665_15 Depth=1
	v_and_b32_e32 v36, 7, v34
	v_ffbh_u32_e32 v40, v36
	v_min_u32_e32 v40, 32, v40
	v_subrev_u32_e32 v42, 28, v40
	v_lshlrev_b64 v[42:43], v42, v[34:35]
	v_lshrrev_b32_e32 v38, 3, v37
	v_sub_u32_e32 v34, 29, v40
	v_and_b32_e32 v40, 7, v42
	v_cmp_gt_u32_e32 vcc, 8, v37
	v_cndmask_b32_e32 v34, v38, v34, vcc
	v_cndmask_b32_e32 v36, v36, v40, vcc
	v_lshlrev_b32_e32 v37, 16, v32
	v_lshlrev_b32_e32 v36, 20, v36
	v_and_b32_e32 v37, 0x80000000, v37
	v_lshl_add_u32 v34, v34, 23, v33
	v_or3_b32 v36, v37, v34, v36
.LBB665_121:                            ;   in Loop: Header=BB665_15 Depth=1
	s_or_b64 exec, exec, s[10:11]
.LBB665_122:                            ;   in Loop: Header=BB665_15 Depth=1
	s_or_b64 exec, exec, s[6:7]
.LBB665_123:                            ;   in Loop: Header=BB665_15 Depth=1
	s_or_b64 exec, exec, s[4:5]
	v_lshrrev_b32_e32 v34, 16, v32
	v_cmp_ne_u16_sdwa s[6:7], v34, v29 src0_sel:BYTE_0 src1_sel:DWORD
	s_and_saveexec_b64 s[4:5], s[6:7]
	s_cbranch_execz .LBB665_129
; %bb.124:                              ;   in Loop: Header=BB665_15 Depth=1
	v_cmp_ne_u16_sdwa s[10:11], v34, s13 src0_sel:BYTE_0 src1_sel:DWORD
	v_bfrev_b32_e32 v35, 1
	s_and_saveexec_b64 s[6:7], s[10:11]
	s_cbranch_execz .LBB665_128
; %bb.125:                              ;   in Loop: Header=BB665_15 Depth=1
	v_bfe_u32 v37, v32, 16, 7
	v_cmp_ne_u32_e32 vcc, s14, v37
	v_mov_b32_e32 v35, 0x7f800001
	s_and_saveexec_b64 s[10:11], vcc
	s_cbranch_execz .LBB665_127
; %bb.126:                              ;   in Loop: Header=BB665_15 Depth=1
	v_and_b32_e32 v35, 7, v34
	v_ffbh_u32_e32 v40, v35
	v_min_u32_e32 v40, 32, v40
	v_subrev_u32_e32 v42, 28, v40
	v_lshlrev_b64 v[42:43], v42, v[34:35]
	v_lshrrev_b32_e32 v38, 3, v37
	v_sub_u32_e32 v40, 29, v40
	v_and_b32_e32 v42, 7, v42
	v_cmp_gt_u32_e32 vcc, 8, v37
	v_cndmask_b32_e32 v37, v38, v40, vcc
	v_cndmask_b32_e32 v35, v35, v42, vcc
	v_lshlrev_b32_e32 v34, 24, v34
	v_lshlrev_b32_e32 v35, 20, v35
	v_and_b32_e32 v34, 0x80000000, v34
	v_lshl_add_u32 v37, v37, 23, v33
	v_or3_b32 v35, v34, v37, v35
.LBB665_127:                            ;   in Loop: Header=BB665_15 Depth=1
	s_or_b64 exec, exec, s[10:11]
.LBB665_128:                            ;   in Loop: Header=BB665_15 Depth=1
	s_or_b64 exec, exec, s[6:7]
.LBB665_129:                            ;   in Loop: Header=BB665_15 Depth=1
	s_or_b64 exec, exec, s[4:5]
	v_cmp_lt_u32_e32 vcc, s15, v32
	v_mov_b32_e32 v37, 0
	v_mov_b32_e32 v38, 0
	s_and_saveexec_b64 s[4:5], vcc
	s_cbranch_execz .LBB665_135
; %bb.130:                              ;   in Loop: Header=BB665_15 Depth=1
	v_lshrrev_b32_e32 v34, 24, v32
	v_cmp_ne_u32_e32 vcc, s13, v34
	v_bfrev_b32_e32 v38, 1
	s_and_saveexec_b64 s[6:7], vcc
	s_cbranch_execz .LBB665_134
; %bb.131:                              ;   in Loop: Header=BB665_15 Depth=1
	v_bfe_u32 v32, v32, 24, 7
	v_cmp_ne_u32_e32 vcc, s14, v32
	v_mov_b32_e32 v38, 0x7f800001
	s_and_saveexec_b64 s[10:11], vcc
	s_cbranch_execz .LBB665_133
; %bb.132:                              ;   in Loop: Header=BB665_15 Depth=1
	v_and_b32_e32 v38, 7, v34
	v_ffbh_u32_e32 v42, v38
	v_min_u32_e32 v44, 32, v42
	v_subrev_u32_e32 v42, 28, v44
	v_lshlrev_b64 v[42:43], v42, v[34:35]
	v_lshrrev_b32_e32 v40, 3, v32
	v_sub_u32_e32 v43, 29, v44
	v_and_b32_e32 v42, 7, v42
	v_cmp_gt_u32_e32 vcc, 8, v32
	v_cndmask_b32_e32 v32, v40, v43, vcc
	v_cndmask_b32_e32 v38, v38, v42, vcc
	v_lshlrev_b32_e32 v34, 24, v34
	v_lshlrev_b32_e32 v38, 20, v38
	v_and_b32_e32 v34, 0x80000000, v34
	v_lshl_add_u32 v32, v32, 23, v33
	v_or3_b32 v38, v34, v32, v38
.LBB665_133:                            ;   in Loop: Header=BB665_15 Depth=1
	s_or_b64 exec, exec, s[10:11]
.LBB665_134:                            ;   in Loop: Header=BB665_15 Depth=1
	s_or_b64 exec, exec, s[6:7]
.LBB665_135:                            ;   in Loop: Header=BB665_15 Depth=1
	s_or_b64 exec, exec, s[4:5]
	s_waitcnt vmcnt(2)
	v_cmp_ne_u16_sdwa s[6:7], v30, v29 src0_sel:BYTE_0 src1_sel:DWORD
	s_and_saveexec_b64 s[4:5], s[6:7]
	s_cbranch_execz .LBB665_141
; %bb.136:                              ;   in Loop: Header=BB665_15 Depth=1
	v_cmp_ne_u16_sdwa s[10:11], v30, s13 src0_sel:BYTE_0 src1_sel:DWORD
	v_bfrev_b32_e32 v37, 1
	s_and_saveexec_b64 s[6:7], s[10:11]
	s_cbranch_execz .LBB665_140
; %bb.137:                              ;   in Loop: Header=BB665_15 Depth=1
	v_and_b32_e32 v32, 0x7f, v30
	v_cmp_ne_u32_e32 vcc, s14, v32
	v_mov_b32_e32 v37, 0x7f800001
	s_and_saveexec_b64 s[10:11], vcc
	s_cbranch_execz .LBB665_139
; %bb.138:                              ;   in Loop: Header=BB665_15 Depth=1
	v_and_b32_e32 v34, 7, v30
	v_ffbh_u32_e32 v40, v34
	v_min_u32_e32 v40, 32, v40
	v_subrev_u32_e32 v42, 28, v40
	v_lshlrev_b64 v[42:43], v42, v[30:31]
	v_lshrrev_b32_e32 v37, 3, v32
	v_sub_u32_e32 v40, 29, v40
	v_and_b32_e32 v42, 7, v42
	v_cmp_gt_u32_e32 vcc, 8, v32
	v_cndmask_b32_e32 v32, v37, v40, vcc
	v_cndmask_b32_e32 v34, v34, v42, vcc
	v_lshlrev_b32_e32 v37, 24, v30
	v_lshlrev_b32_e32 v34, 20, v34
	v_and_b32_e32 v37, 0x80000000, v37
	v_lshl_add_u32 v32, v32, 23, v33
	v_or3_b32 v37, v37, v32, v34
.LBB665_139:                            ;   in Loop: Header=BB665_15 Depth=1
	s_or_b64 exec, exec, s[10:11]
.LBB665_140:                            ;   in Loop: Header=BB665_15 Depth=1
	s_or_b64 exec, exec, s[6:7]
.LBB665_141:                            ;   in Loop: Header=BB665_15 Depth=1
	s_or_b64 exec, exec, s[4:5]
	v_lshrrev_b16_e32 v32, 8, v30
	v_cmp_ne_u16_e32 vcc, 0, v32
	v_mov_b32_e32 v40, 0
	v_mov_b32_e32 v42, 0
	s_and_saveexec_b64 s[4:5], vcc
	s_cbranch_execz .LBB665_147
; %bb.142:                              ;   in Loop: Header=BB665_15 Depth=1
	v_cmp_ne_u16_e32 vcc, s13, v32
	v_bfrev_b32_e32 v42, 1
	s_and_saveexec_b64 s[6:7], vcc
	s_cbranch_execz .LBB665_146
; %bb.143:                              ;   in Loop: Header=BB665_15 Depth=1
	v_and_b32_e32 v34, 0x7f, v32
	v_cmp_ne_u32_e32 vcc, s14, v34
	v_mov_b32_e32 v42, 0x7f800001
	s_and_saveexec_b64 s[10:11], vcc
	s_cbranch_execz .LBB665_145
; %bb.144:                              ;   in Loop: Header=BB665_15 Depth=1
	v_and_b32_e32 v44, 7, v32
	v_ffbh_u32_e32 v42, v44
	v_min_u32_e32 v46, 32, v42
	v_subrev_u32_e32 v42, 28, v46
	v_lshlrev_b64 v[42:43], v42, v[32:33]
	v_lshrrev_b32_e32 v45, 3, v34
	v_sub_u32_e32 v32, 29, v46
	v_and_b32_e32 v42, 7, v42
	v_cmp_gt_u32_e32 vcc, 8, v34
	v_cndmask_b32_e32 v32, v45, v32, vcc
	v_cndmask_b32_e32 v34, v44, v42, vcc
	v_lshlrev_b32_e32 v42, 16, v30
	v_lshlrev_b32_e32 v34, 20, v34
	v_and_b32_e32 v42, 0x80000000, v42
	v_lshl_add_u32 v32, v32, 23, v33
	v_or3_b32 v42, v42, v32, v34
.LBB665_145:                            ;   in Loop: Header=BB665_15 Depth=1
	s_or_b64 exec, exec, s[10:11]
.LBB665_146:                            ;   in Loop: Header=BB665_15 Depth=1
	s_or_b64 exec, exec, s[6:7]
.LBB665_147:                            ;   in Loop: Header=BB665_15 Depth=1
	s_or_b64 exec, exec, s[4:5]
	v_lshrrev_b32_e32 v32, 16, v30
	v_cmp_ne_u16_sdwa s[6:7], v32, v29 src0_sel:BYTE_0 src1_sel:DWORD
	s_and_saveexec_b64 s[4:5], s[6:7]
	s_cbranch_execz .LBB665_153
; %bb.148:                              ;   in Loop: Header=BB665_15 Depth=1
	v_cmp_ne_u16_sdwa s[10:11], v32, s13 src0_sel:BYTE_0 src1_sel:DWORD
	v_bfrev_b32_e32 v40, 1
	s_and_saveexec_b64 s[6:7], s[10:11]
	s_cbranch_execz .LBB665_152
; %bb.149:                              ;   in Loop: Header=BB665_15 Depth=1
	v_bfe_u32 v34, v30, 16, 7
	v_cmp_ne_u32_e32 vcc, s14, v34
	v_mov_b32_e32 v40, 0x7f800001
	s_and_saveexec_b64 s[10:11], vcc
	s_cbranch_execz .LBB665_151
; %bb.150:                              ;   in Loop: Header=BB665_15 Depth=1
	v_and_b32_e32 v40, 7, v32
	v_ffbh_u32_e32 v44, v40
	v_min_u32_e32 v46, 32, v44
	v_subrev_u32_e32 v44, 28, v46
	v_lshlrev_b64 v[44:45], v44, v[32:33]
	v_lshrrev_b32_e32 v43, 3, v34
	v_sub_u32_e32 v45, 29, v46
	v_and_b32_e32 v44, 7, v44
	v_cmp_gt_u32_e32 vcc, 8, v34
	v_cndmask_b32_e32 v34, v43, v45, vcc
	v_cndmask_b32_e32 v40, v40, v44, vcc
	v_lshlrev_b32_e32 v32, 24, v32
	v_lshlrev_b32_e32 v40, 20, v40
	v_and_b32_e32 v32, 0x80000000, v32
	v_lshl_add_u32 v34, v34, 23, v33
	v_or3_b32 v40, v32, v34, v40
.LBB665_151:                            ;   in Loop: Header=BB665_15 Depth=1
	s_or_b64 exec, exec, s[10:11]
.LBB665_152:                            ;   in Loop: Header=BB665_15 Depth=1
	s_or_b64 exec, exec, s[6:7]
.LBB665_153:                            ;   in Loop: Header=BB665_15 Depth=1
	s_or_b64 exec, exec, s[4:5]
	v_cmp_lt_u32_e32 vcc, s15, v30
	v_mov_b32_e32 v34, 0
	v_mov_b32_e32 v43, 0
	s_and_saveexec_b64 s[4:5], vcc
	s_cbranch_execz .LBB665_159
; %bb.154:                              ;   in Loop: Header=BB665_15 Depth=1
	v_lshrrev_b32_e32 v32, 24, v30
	v_cmp_ne_u32_e32 vcc, s13, v32
	v_bfrev_b32_e32 v43, 1
	s_and_saveexec_b64 s[6:7], vcc
	s_cbranch_execz .LBB665_158
; %bb.155:                              ;   in Loop: Header=BB665_15 Depth=1
	v_bfe_u32 v30, v30, 24, 7
	v_cmp_ne_u32_e32 vcc, s14, v30
	v_mov_b32_e32 v43, 0x7f800001
	s_and_saveexec_b64 s[10:11], vcc
	s_cbranch_execz .LBB665_157
; %bb.156:                              ;   in Loop: Header=BB665_15 Depth=1
	v_and_b32_e32 v43, 7, v32
	v_ffbh_u32_e32 v44, v43
	v_min_u32_e32 v47, 32, v44
	v_subrev_u32_e32 v44, 28, v47
	v_lshlrev_b64 v[44:45], v44, v[32:33]
	v_lshrrev_b32_e32 v46, 3, v30
	v_sub_u32_e32 v45, 29, v47
	v_and_b32_e32 v44, 7, v44
	v_cmp_gt_u32_e32 vcc, 8, v30
	v_cndmask_b32_e32 v30, v46, v45, vcc
	v_cndmask_b32_e32 v43, v43, v44, vcc
	v_lshlrev_b32_e32 v32, 24, v32
	v_lshlrev_b32_e32 v43, 20, v43
	v_and_b32_e32 v32, 0x80000000, v32
	v_lshl_add_u32 v30, v30, 23, v33
	v_or3_b32 v43, v32, v30, v43
.LBB665_157:                            ;   in Loop: Header=BB665_15 Depth=1
	s_or_b64 exec, exec, s[10:11]
.LBB665_158:                            ;   in Loop: Header=BB665_15 Depth=1
	s_or_b64 exec, exec, s[6:7]
.LBB665_159:                            ;   in Loop: Header=BB665_15 Depth=1
	s_or_b64 exec, exec, s[4:5]
	v_cvt_pkrtz_f16_f32 v44, v23, v36
	v_cvt_pkrtz_f16_f32 v45, v35, v38
	v_cvt_pkrtz_f16_f32 v36, v37, v42
	v_cvt_pkrtz_f16_f32 v37, v40, v43
	s_waitcnt vmcnt(1)
	v_cmp_ne_u16_sdwa s[6:7], v28, v29 src0_sel:BYTE_0 src1_sel:DWORD
	v_mfma_f32_16x16x16f16 v[18:21], v[44:45], v[10:11], v[18:21]
	v_mfma_f32_16x16x16f16 v[18:21], v[36:37], v[12:13], v[18:21]
	s_and_saveexec_b64 s[4:5], s[6:7]
	s_cbranch_execz .LBB665_165
; %bb.160:                              ;   in Loop: Header=BB665_15 Depth=1
	v_cmp_ne_u16_sdwa s[10:11], v28, s13 src0_sel:BYTE_0 src1_sel:DWORD
	v_bfrev_b32_e32 v34, 1
	s_and_saveexec_b64 s[6:7], s[10:11]
	s_cbranch_execz .LBB665_164
; %bb.161:                              ;   in Loop: Header=BB665_15 Depth=1
	v_and_b32_e32 v23, 0x7f, v28
	v_cmp_ne_u32_e32 vcc, s14, v23
	v_mov_b32_e32 v34, 0x7f800001
	s_and_saveexec_b64 s[10:11], vcc
	s_cbranch_execz .LBB665_163
; %bb.162:                              ;   in Loop: Header=BB665_15 Depth=1
	v_and_b32_e32 v30, 7, v28
	v_ffbh_u32_e32 v34, v30
	v_min_u32_e32 v36, 32, v34
	v_subrev_u32_e32 v34, 28, v36
	v_lshlrev_b64 v[34:35], v34, v[28:29]
	v_lshrrev_b32_e32 v32, 3, v23
	v_sub_u32_e32 v35, 29, v36
	v_and_b32_e32 v34, 7, v34
	v_cmp_gt_u32_e32 vcc, 8, v23
	v_cndmask_b32_e32 v23, v32, v35, vcc
	v_cndmask_b32_e32 v30, v30, v34, vcc
	v_lshlrev_b32_e32 v32, 24, v28
	v_lshlrev_b32_e32 v30, 20, v30
	v_and_b32_e32 v32, 0x80000000, v32
	v_lshl_add_u32 v23, v23, 23, v33
	v_or3_b32 v34, v32, v23, v30
.LBB665_163:                            ;   in Loop: Header=BB665_15 Depth=1
	s_or_b64 exec, exec, s[10:11]
.LBB665_164:                            ;   in Loop: Header=BB665_15 Depth=1
	s_or_b64 exec, exec, s[6:7]
.LBB665_165:                            ;   in Loop: Header=BB665_15 Depth=1
	s_or_b64 exec, exec, s[4:5]
	v_lshrrev_b16_e32 v30, 8, v28
	v_cmp_ne_u16_e32 vcc, 0, v30
	v_mov_b32_e32 v23, 0
	v_mov_b32_e32 v32, 0
	s_and_saveexec_b64 s[4:5], vcc
	s_cbranch_execz .LBB665_171
; %bb.166:                              ;   in Loop: Header=BB665_15 Depth=1
	v_cmp_ne_u16_e32 vcc, s13, v30
	v_bfrev_b32_e32 v32, 1
	s_and_saveexec_b64 s[6:7], vcc
	s_cbranch_execz .LBB665_170
; %bb.167:                              ;   in Loop: Header=BB665_15 Depth=1
	v_and_b32_e32 v35, 0x7f, v30
	v_cmp_ne_u32_e32 vcc, s14, v35
	v_mov_b32_e32 v32, 0x7f800001
	s_and_saveexec_b64 s[10:11], vcc
	s_cbranch_execz .LBB665_169
; %bb.168:                              ;   in Loop: Header=BB665_15 Depth=1
	v_and_b32_e32 v32, 7, v30
	v_ffbh_u32_e32 v36, v32
	v_min_u32_e32 v40, 32, v36
	v_subrev_u32_e32 v36, 28, v40
	v_lshlrev_b64 v[36:37], v36, v[30:31]
	v_lshrrev_b32_e32 v38, 3, v35
	v_sub_u32_e32 v30, 29, v40
	v_and_b32_e32 v36, 7, v36
	v_cmp_gt_u32_e32 vcc, 8, v35
	v_cndmask_b32_e32 v30, v38, v30, vcc
	v_cndmask_b32_e32 v32, v32, v36, vcc
	v_lshlrev_b32_e32 v35, 16, v28
	v_lshlrev_b32_e32 v32, 20, v32
	v_and_b32_e32 v35, 0x80000000, v35
	v_lshl_add_u32 v30, v30, 23, v33
	v_or3_b32 v32, v35, v30, v32
.LBB665_169:                            ;   in Loop: Header=BB665_15 Depth=1
	s_or_b64 exec, exec, s[10:11]
.LBB665_170:                            ;   in Loop: Header=BB665_15 Depth=1
	s_or_b64 exec, exec, s[6:7]
.LBB665_171:                            ;   in Loop: Header=BB665_15 Depth=1
	s_or_b64 exec, exec, s[4:5]
	v_lshrrev_b32_e32 v30, 16, v28
	v_cmp_ne_u16_sdwa s[6:7], v30, v29 src0_sel:BYTE_0 src1_sel:DWORD
	s_and_saveexec_b64 s[4:5], s[6:7]
	s_cbranch_execz .LBB665_177
; %bb.172:                              ;   in Loop: Header=BB665_15 Depth=1
	v_cmp_ne_u16_sdwa s[10:11], v30, s13 src0_sel:BYTE_0 src1_sel:DWORD
	v_bfrev_b32_e32 v23, 1
	s_and_saveexec_b64 s[6:7], s[10:11]
	s_cbranch_execz .LBB665_176
; %bb.173:                              ;   in Loop: Header=BB665_15 Depth=1
	v_bfe_u32 v35, v28, 16, 7
	v_cmp_ne_u32_e32 vcc, s14, v35
	v_mov_b32_e32 v23, 0x7f800001
	s_and_saveexec_b64 s[10:11], vcc
	s_cbranch_execz .LBB665_175
; %bb.174:                              ;   in Loop: Header=BB665_15 Depth=1
	v_and_b32_e32 v23, 7, v30
	v_ffbh_u32_e32 v36, v23
	v_min_u32_e32 v40, 32, v36
	v_subrev_u32_e32 v36, 28, v40
	v_lshlrev_b64 v[36:37], v36, v[30:31]
	v_lshrrev_b32_e32 v38, 3, v35
	v_sub_u32_e32 v37, 29, v40
	v_and_b32_e32 v36, 7, v36
	v_cmp_gt_u32_e32 vcc, 8, v35
	v_cndmask_b32_e32 v35, v38, v37, vcc
	v_cndmask_b32_e32 v23, v23, v36, vcc
	v_lshlrev_b32_e32 v30, 24, v30
	v_lshlrev_b32_e32 v23, 20, v23
	v_and_b32_e32 v30, 0x80000000, v30
	v_lshl_add_u32 v35, v35, 23, v33
	v_or3_b32 v23, v30, v35, v23
.LBB665_175:                            ;   in Loop: Header=BB665_15 Depth=1
	s_or_b64 exec, exec, s[10:11]
.LBB665_176:                            ;   in Loop: Header=BB665_15 Depth=1
	s_or_b64 exec, exec, s[6:7]
.LBB665_177:                            ;   in Loop: Header=BB665_15 Depth=1
	s_or_b64 exec, exec, s[4:5]
	v_cmp_lt_u32_e32 vcc, s15, v28
	v_mov_b32_e32 v35, 0
	v_mov_b32_e32 v36, 0
	s_and_saveexec_b64 s[4:5], vcc
	s_cbranch_execz .LBB665_183
; %bb.178:                              ;   in Loop: Header=BB665_15 Depth=1
	v_lshrrev_b32_e32 v30, 24, v28
	v_cmp_ne_u32_e32 vcc, s13, v30
	v_bfrev_b32_e32 v36, 1
	s_and_saveexec_b64 s[6:7], vcc
	s_cbranch_execz .LBB665_182
; %bb.179:                              ;   in Loop: Header=BB665_15 Depth=1
	v_bfe_u32 v28, v28, 24, 7
	v_cmp_ne_u32_e32 vcc, s14, v28
	v_mov_b32_e32 v36, 0x7f800001
	s_and_saveexec_b64 s[10:11], vcc
	s_cbranch_execz .LBB665_181
; %bb.180:                              ;   in Loop: Header=BB665_15 Depth=1
	v_and_b32_e32 v38, 7, v30
	v_ffbh_u32_e32 v36, v38
	v_min_u32_e32 v42, 32, v36
	v_subrev_u32_e32 v36, 28, v42
	v_lshlrev_b64 v[36:37], v36, v[30:31]
	v_lshrrev_b32_e32 v40, 3, v28
	v_sub_u32_e32 v37, 29, v42
	v_and_b32_e32 v36, 7, v36
	v_cmp_gt_u32_e32 vcc, 8, v28
	v_cndmask_b32_e32 v28, v40, v37, vcc
	v_cndmask_b32_e32 v36, v38, v36, vcc
	v_lshlrev_b32_e32 v30, 24, v30
	v_lshlrev_b32_e32 v36, 20, v36
	v_and_b32_e32 v30, 0x80000000, v30
	v_lshl_add_u32 v28, v28, 23, v33
	v_or3_b32 v36, v30, v28, v36
.LBB665_181:                            ;   in Loop: Header=BB665_15 Depth=1
	s_or_b64 exec, exec, s[10:11]
.LBB665_182:                            ;   in Loop: Header=BB665_15 Depth=1
	s_or_b64 exec, exec, s[6:7]
.LBB665_183:                            ;   in Loop: Header=BB665_15 Depth=1
	s_or_b64 exec, exec, s[4:5]
	s_waitcnt vmcnt(0)
	v_cmp_ne_u16_sdwa s[6:7], v26, v29 src0_sel:BYTE_0 src1_sel:DWORD
	s_and_saveexec_b64 s[4:5], s[6:7]
	s_cbranch_execz .LBB665_189
; %bb.184:                              ;   in Loop: Header=BB665_15 Depth=1
	v_cmp_ne_u16_sdwa s[10:11], v26, s13 src0_sel:BYTE_0 src1_sel:DWORD
	v_bfrev_b32_e32 v35, 1
	s_and_saveexec_b64 s[6:7], s[10:11]
	s_cbranch_execz .LBB665_188
; %bb.185:                              ;   in Loop: Header=BB665_15 Depth=1
	v_and_b32_e32 v28, 0x7f, v26
	v_cmp_ne_u32_e32 vcc, s14, v28
	v_mov_b32_e32 v35, 0x7f800001
	s_and_saveexec_b64 s[10:11], vcc
	s_cbranch_execz .LBB665_187
; %bb.186:                              ;   in Loop: Header=BB665_15 Depth=1
	v_and_b32_e32 v30, 7, v26
	v_ffbh_u32_e32 v37, v30
	v_min_u32_e32 v37, 32, v37
	v_subrev_u32_e32 v38, 28, v37
	v_lshlrev_b64 v[42:43], v38, v[26:27]
	v_lshrrev_b32_e32 v35, 3, v28
	v_sub_u32_e32 v37, 29, v37
	v_and_b32_e32 v38, 7, v42
	v_cmp_gt_u32_e32 vcc, 8, v28
	v_cndmask_b32_e32 v28, v35, v37, vcc
	v_cndmask_b32_e32 v30, v30, v38, vcc
	v_lshlrev_b32_e32 v35, 24, v26
	v_lshlrev_b32_e32 v30, 20, v30
	v_and_b32_e32 v35, 0x80000000, v35
	v_lshl_add_u32 v28, v28, 23, v33
	v_or3_b32 v35, v35, v28, v30
.LBB665_187:                            ;   in Loop: Header=BB665_15 Depth=1
	s_or_b64 exec, exec, s[10:11]
.LBB665_188:                            ;   in Loop: Header=BB665_15 Depth=1
	s_or_b64 exec, exec, s[6:7]
.LBB665_189:                            ;   in Loop: Header=BB665_15 Depth=1
	s_or_b64 exec, exec, s[4:5]
	v_lshrrev_b16_e32 v28, 8, v26
	v_cmp_ne_u16_e32 vcc, 0, v28
	v_mov_b32_e32 v30, 0
	v_mov_b32_e32 v37, 0
	s_and_saveexec_b64 s[4:5], vcc
	s_cbranch_execz .LBB665_195
; %bb.190:                              ;   in Loop: Header=BB665_15 Depth=1
	v_cmp_ne_u16_e32 vcc, s13, v28
	v_bfrev_b32_e32 v37, 1
	s_and_saveexec_b64 s[6:7], vcc
	s_cbranch_execz .LBB665_194
; %bb.191:                              ;   in Loop: Header=BB665_15 Depth=1
	v_and_b32_e32 v38, 0x7f, v28
	v_cmp_ne_u32_e32 vcc, s14, v38
	v_mov_b32_e32 v37, 0x7f800001
	s_and_saveexec_b64 s[10:11], vcc
	s_cbranch_execz .LBB665_193
; %bb.192:                              ;   in Loop: Header=BB665_15 Depth=1
	v_and_b32_e32 v37, 7, v28
	v_ffbh_u32_e32 v42, v37
	v_min_u32_e32 v44, 32, v42
	v_subrev_u32_e32 v42, 28, v44
	v_lshlrev_b64 v[42:43], v42, v[28:29]
	v_lshrrev_b32_e32 v40, 3, v38
	v_sub_u32_e32 v28, 29, v44
	v_and_b32_e32 v42, 7, v42
	v_cmp_gt_u32_e32 vcc, 8, v38
	v_cndmask_b32_e32 v28, v40, v28, vcc
	v_cndmask_b32_e32 v37, v37, v42, vcc
	v_lshlrev_b32_e32 v38, 16, v26
	v_lshlrev_b32_e32 v37, 20, v37
	v_and_b32_e32 v38, 0x80000000, v38
	v_lshl_add_u32 v28, v28, 23, v33
	v_or3_b32 v37, v38, v28, v37
.LBB665_193:                            ;   in Loop: Header=BB665_15 Depth=1
	s_or_b64 exec, exec, s[10:11]
.LBB665_194:                            ;   in Loop: Header=BB665_15 Depth=1
	s_or_b64 exec, exec, s[6:7]
.LBB665_195:                            ;   in Loop: Header=BB665_15 Depth=1
	s_or_b64 exec, exec, s[4:5]
	v_lshrrev_b32_e32 v28, 16, v26
	v_cmp_ne_u16_sdwa s[6:7], v28, v29 src0_sel:BYTE_0 src1_sel:DWORD
	s_and_saveexec_b64 s[4:5], s[6:7]
	s_cbranch_execz .LBB665_201
; %bb.196:                              ;   in Loop: Header=BB665_15 Depth=1
	v_cmp_ne_u16_sdwa s[10:11], v28, s13 src0_sel:BYTE_0 src1_sel:DWORD
	v_bfrev_b32_e32 v30, 1
	s_and_saveexec_b64 s[6:7], s[10:11]
	s_cbranch_execz .LBB665_200
; %bb.197:                              ;   in Loop: Header=BB665_15 Depth=1
	v_bfe_u32 v38, v26, 16, 7
	v_cmp_ne_u32_e32 vcc, s14, v38
	v_mov_b32_e32 v30, 0x7f800001
	s_and_saveexec_b64 s[10:11], vcc
	s_cbranch_execz .LBB665_199
; %bb.198:                              ;   in Loop: Header=BB665_15 Depth=1
	v_and_b32_e32 v30, 7, v28
	v_ffbh_u32_e32 v42, v30
	v_min_u32_e32 v44, 32, v42
	v_subrev_u32_e32 v42, 28, v44
	v_lshlrev_b64 v[42:43], v42, v[28:29]
	v_lshrrev_b32_e32 v40, 3, v38
	v_sub_u32_e32 v43, 29, v44
	v_and_b32_e32 v42, 7, v42
	v_cmp_gt_u32_e32 vcc, 8, v38
	v_cndmask_b32_e32 v38, v40, v43, vcc
	v_cndmask_b32_e32 v30, v30, v42, vcc
	v_lshlrev_b32_e32 v28, 24, v28
	v_lshlrev_b32_e32 v30, 20, v30
	v_and_b32_e32 v28, 0x80000000, v28
	v_lshl_add_u32 v38, v38, 23, v33
	v_or3_b32 v30, v28, v38, v30
.LBB665_199:                            ;   in Loop: Header=BB665_15 Depth=1
	s_or_b64 exec, exec, s[10:11]
.LBB665_200:                            ;   in Loop: Header=BB665_15 Depth=1
	s_or_b64 exec, exec, s[6:7]
.LBB665_201:                            ;   in Loop: Header=BB665_15 Depth=1
	s_or_b64 exec, exec, s[4:5]
	v_cmp_lt_u32_e32 vcc, s15, v26
	v_mov_b32_e32 v38, 0
	s_and_saveexec_b64 s[4:5], vcc
	s_cbranch_execz .LBB665_14
; %bb.202:                              ;   in Loop: Header=BB665_15 Depth=1
	v_lshrrev_b32_e32 v28, 24, v26
	v_cmp_ne_u32_e32 vcc, s13, v28
	v_bfrev_b32_e32 v38, 1
	s_and_saveexec_b64 s[6:7], vcc
	s_cbranch_execz .LBB665_13
; %bb.203:                              ;   in Loop: Header=BB665_15 Depth=1
	v_bfe_u32 v26, v26, 24, 7
	v_cmp_ne_u32_e32 vcc, s14, v26
	v_mov_b32_e32 v38, 0x7f800001
	s_and_saveexec_b64 s[10:11], vcc
	s_cbranch_execz .LBB665_12
; %bb.204:                              ;   in Loop: Header=BB665_15 Depth=1
	v_and_b32_e32 v38, 7, v28
	v_ffbh_u32_e32 v42, v38
	v_min_u32_e32 v44, 32, v42
	v_subrev_u32_e32 v42, 28, v44
	v_lshlrev_b64 v[42:43], v42, v[28:29]
	v_lshrrev_b32_e32 v40, 3, v26
	v_sub_u32_e32 v43, 29, v44
	v_and_b32_e32 v42, 7, v42
	v_cmp_gt_u32_e32 vcc, 8, v26
	v_cndmask_b32_e32 v26, v40, v43, vcc
	v_cndmask_b32_e32 v38, v38, v42, vcc
	v_lshlrev_b32_e32 v28, 24, v28
	v_lshlrev_b32_e32 v38, 20, v38
	v_and_b32_e32 v28, 0x80000000, v28
	v_lshl_add_u32 v26, v26, 23, v33
	v_or3_b32 v38, v28, v26, v38
	s_branch .LBB665_12
.LBB665_205:
	buffer_load_dword v13, off, s[0:3], 0 offset:256
	buffer_load_dword v14, off, s[0:3], 0 offset:260
	;; [unrolled: 1-line block ×16, first 2 shown]
	v_and_b32_e32 v12, 0xc0, v0
	v_add_u32_e32 v12, s20, v12
	v_lshl_or_b32 v12, v1, 2, v12
	v_or_b32_e32 v23, 1, v12
	v_mov_b32_e32 v19, 0xff7fffff
	v_or_b32_e32 v24, 2, v12
	v_or_b32_e32 v25, 3, v12
	v_cmp_gt_i32_e64 s[26:27], s33, v12
	v_cmp_gt_i32_e64 s[28:29], s33, v23
	s_mov_b32 s52, 0xff7fffff
	v_or_b32_e32 v26, 16, v12
	v_or_b32_e32 v27, 17, v12
	;; [unrolled: 1-line block ×12, first 2 shown]
	v_cmp_gt_i32_e64 s[30:31], s33, v24
	v_cmp_gt_i32_e64 s[34:35], s33, v25
	v_mbcnt_lo_u32_b32 v20, -1, 0
	v_cmp_gt_i32_e64 s[36:37], s33, v26
	v_cmp_gt_i32_e64 s[38:39], s33, v27
	v_mbcnt_hi_u32_b32 v20, -1, v20
	v_cmp_gt_i32_e64 s[20:21], s33, v28
	v_cmp_gt_i32_e64 s[22:23], s33, v29
	v_and_b32_e32 v21, 64, v20
	v_cmp_gt_i32_e64 s[16:17], s33, v30
	v_cmp_gt_i32_e64 s[18:19], s33, v31
	v_xor_b32_e32 v22, 32, v20
	v_add_u32_e32 v21, 64, v21
	v_cmp_gt_i32_e64 s[12:13], s33, v32
	v_cmp_gt_i32_e64 s[14:15], s33, v33
	v_cmp_lt_i32_e32 vcc, v22, v21
	v_cmp_gt_i32_e64 s[6:7], s33, v34
	v_cmp_gt_i32_e64 s[10:11], s33, v35
	v_cndmask_b32_e32 v22, v20, v22, vcc
	v_cmp_gt_i32_e32 vcc, s33, v36
	v_cmp_gt_i32_e64 s[4:5], s33, v37
	v_lshlrev_b32_e32 v22, 2, v22
	s_waitcnt vmcnt(15)
	v_cndmask_b32_e64 v12, v19, v13, s[26:27]
	s_waitcnt vmcnt(14)
	v_cndmask_b32_e64 v23, v19, v14, s[28:29]
	;; [unrolled: 2-line block ×4, first 2 shown]
	v_max3_f32 v12, v12, s52, v23
	s_waitcnt vmcnt(11)
	v_cndmask_b32_e64 v26, v19, v17, s[36:37]
	s_waitcnt vmcnt(10)
	v_cndmask_b32_e64 v27, v19, v18, s[38:39]
	v_max3_f32 v12, v12, v24, v25
	s_waitcnt vmcnt(9)
	v_cndmask_b32_e64 v28, v19, v11, s[20:21]
	s_waitcnt vmcnt(8)
	v_cndmask_b32_e64 v29, v19, v10, s[22:23]
	;; [unrolled: 5-line block ×5, first 2 shown]
	v_max3_f32 v12, v12, v32, v33
	s_waitcnt vmcnt(1)
	v_cndmask_b32_e32 v36, v19, v3, vcc
	s_waitcnt vmcnt(0)
	v_cndmask_b32_e64 v19, v19, v2, s[4:5]
	v_max3_f32 v12, v12, v34, v35
	v_max3_f32 v12, v12, v36, v19
	ds_bpermute_b32 v19, v22, v12
	v_xor_b32_e32 v23, 16, v20
	v_cmp_lt_i32_e64 s[40:41], v23, v21
	v_cndmask_b32_e64 v20, v20, v23, s[40:41]
	v_lshlrev_b32_e32 v20, 2, v20
	s_waitcnt lgkmcnt(0)
	v_max_f32_e32 v19, v19, v19
	v_max_f32_e32 v12, v12, v19
	ds_bpermute_b32 v19, v20, v12
	s_waitcnt lgkmcnt(0)
	v_max_f32_e32 v19, v19, v19
	v_max_f32_e32 v12, v12, v19
	v_sub_f32_e32 v13, v13, v12
	v_sub_f32_e32 v14, v14, v12
	;; [unrolled: 1-line block ×3, first 2 shown]
	v_mul_f32_e32 v13, 0x3fb8aa3b, v13
	v_mul_f32_e32 v14, 0x3fb8aa3b, v14
	v_mul_f32_e32 v15, 0x3fb8aa3b, v15
	v_exp_f32_e32 v13, v13
	v_exp_f32_e32 v14, v14
	v_exp_f32_e32 v15, v15
	v_sub_f32_e32 v16, v16, v12
	v_cndmask_b32_e64 v13, 0, v13, s[26:27]
	v_mul_f32_e32 v16, 0x3fb8aa3b, v16
	v_cndmask_b32_e64 v14, 0, v14, s[28:29]
	v_cndmask_b32_e64 v15, 0, v15, s[30:31]
	v_add_f32_e32 v19, 0, v13
	buffer_store_dword v13, off, s[0:3], 0 offset:256
	buffer_store_dword v14, off, s[0:3], 0 offset:260
	buffer_store_dword v15, off, s[0:3], 0 offset:264
	v_sub_f32_e32 v13, v17, v12
	v_exp_f32_e32 v16, v16
	v_add_f32_e32 v19, v19, v14
	v_mul_f32_e32 v13, 0x3fb8aa3b, v13
	v_sub_f32_e32 v14, v18, v12
	v_exp_f32_e32 v13, v13
	v_mul_f32_e32 v14, 0x3fb8aa3b, v14
	v_sub_f32_e32 v11, v11, v12
	v_exp_f32_e32 v14, v14
	;; [unrolled: 3-line block ×3, first 2 shown]
	v_mul_f32_e32 v10, 0x3fb8aa3b, v10
	v_sub_f32_e32 v9, v9, v12
	v_cndmask_b32_e64 v16, 0, v16, s[34:35]
	v_add_f32_e32 v19, v19, v15
	v_exp_f32_e32 v10, v10
	v_mul_f32_e32 v9, 0x3fb8aa3b, v9
	v_sub_f32_e32 v8, v8, v12
	v_add_f32_e32 v19, v19, v16
	v_cndmask_b32_e64 v13, 0, v13, s[36:37]
	v_exp_f32_e32 v9, v9
	v_mul_f32_e32 v8, 0x3fb8aa3b, v8
	v_sub_f32_e32 v7, v7, v12
	v_add_f32_e32 v15, v19, v13
	v_cndmask_b32_e64 v14, 0, v14, s[38:39]
	;; [unrolled: 5-line block ×5, first 2 shown]
	v_exp_f32_e32 v5, v5
	v_mul_f32_e32 v4, 0x3fb8aa3b, v4
	v_sub_f32_e32 v3, v3, v12
	buffer_store_dword v16, off, s[0:3], 0 offset:268
	buffer_store_dword v13, off, s[0:3], 0 offset:272
	;; [unrolled: 1-line block ×5, first 2 shown]
	v_add_f32_e32 v10, v15, v9
	v_cndmask_b32_e64 v8, 0, v8, s[18:19]
	v_exp_f32_e32 v4, v4
	v_mul_f32_e32 v3, 0x3fb8aa3b, v3
	v_sub_f32_e32 v2, v2, v12
	v_add_f32_e32 v10, v10, v8
	v_cndmask_b32_e64 v7, 0, v7, s[12:13]
	v_exp_f32_e32 v3, v3
	v_mul_f32_e32 v2, 0x3fb8aa3b, v2
	v_add_f32_e32 v10, v10, v7
	v_cndmask_b32_e64 v6, 0, v6, s[14:15]
	v_exp_f32_e32 v2, v2
	v_add_f32_e32 v10, v10, v6
	v_cndmask_b32_e64 v5, 0, v5, s[6:7]
	buffer_store_dword v9, off, s[0:3], 0 offset:288
	buffer_store_dword v8, off, s[0:3], 0 offset:292
	;; [unrolled: 1-line block ×4, first 2 shown]
	v_add_f32_e32 v6, v10, v5
	v_cndmask_b32_e64 v4, 0, v4, s[10:11]
	v_add_f32_e32 v6, v6, v4
	v_cndmask_b32_e32 v3, 0, v3, vcc
	v_add_f32_e32 v6, v6, v3
	v_cndmask_b32_e64 v2, 0, v2, s[4:5]
	v_add_f32_e32 v6, v6, v2
	ds_bpermute_b32 v7, v22, v6
	buffer_store_dword v5, off, s[0:3], 0 offset:304
	buffer_store_dword v4, off, s[0:3], 0 offset:308
	;; [unrolled: 1-line block ×4, first 2 shown]
	v_cmp_gt_u32_e32 vcc, 16, v64
	s_waitcnt lgkmcnt(0)
	s_barrier
	v_add_f32_e32 v2, v6, v7
	ds_bpermute_b32 v3, v20, v2
	s_waitcnt lgkmcnt(0)
	s_and_saveexec_b64 s[4:5], vcc
	s_cbranch_execz .LBB665_207
; %bb.206:
	v_add_f32_e32 v2, v2, v3
	v_lshlrev_b32_e32 v3, 2, v63
	ds_write2st64_b32 v3, v12, v2 offset1:1
.LBB665_207:
	s_or_b64 exec, exec, s[4:5]
	v_lshlrev_b32_e32 v2, 2, v55
	s_waitcnt lgkmcnt(0)
	s_barrier
	ds_read2_b32 v[12:13], v2 offset1:16
	ds_read2_b32 v[14:15], v2 offset0:32 offset1:48
	ds_read2_b32 v[6:7], v2 offset0:64 offset1:80
	;; [unrolled: 1-line block ×3, first 2 shown]
	s_waitcnt lgkmcnt(0)
	s_barrier
	buffer_load_dword v20, off, s[0:3], 0 offset:256
	buffer_load_dword v21, off, s[0:3], 0 offset:260
	;; [unrolled: 1-line block ×16, first 2 shown]
	v_lshlrev_b32_e32 v19, 3, v1
	v_lshlrev_b32_e32 v18, 5, v55
	;; [unrolled: 1-line block ×3, first 2 shown]
	v_or3_b32 v43, v28, v18, v19
	v_max3_f32 v19, v12, s52, v13
	v_max3_f32 v19, v19, v14, v15
	v_sub_f32_e32 v12, v12, v19
	v_sub_f32_e32 v13, v13, v19
	v_mul_f32_e32 v12, 0x3fb8aa3b, v12
	v_sub_f32_e32 v14, v14, v19
	v_mul_f32_e32 v13, 0x3fb8aa3b, v13
	v_exp_f32_e32 v12, v12
	v_sub_f32_e32 v15, v15, v19
	v_mul_f32_e32 v14, 0x3fb8aa3b, v14
	v_exp_f32_e32 v13, v13
	v_mul_f32_e32 v15, 0x3fb8aa3b, v15
	v_exp_f32_e32 v14, v14
	v_exp_f32_e32 v15, v15
	v_fma_f32 v6, v12, v6, 0
	v_fmac_f32_e32 v6, v13, v7
	v_fmac_f32_e32 v6, v14, v10
	v_fmac_f32_e32 v6, v15, v11
	v_cmp_eq_u32_e32 vcc, 1, v62
	v_add_f32_e32 v10, 0x358637bd, v6
	v_cndmask_b32_e32 v12, v12, v13, vcc
	v_cmp_eq_u32_e32 vcc, 2, v62
	v_div_scale_f32 v11, s[4:5], v10, v10, 1.0
	v_cndmask_b32_e32 v7, v12, v14, vcc
	v_rcp_f32_e32 v12, v11
	v_cmp_eq_u32_e32 vcc, 3, v62
	v_cndmask_b32_e32 v7, v7, v15, vcc
	v_div_scale_f32 v13, vcc, 1.0, v10, 1.0
	v_fma_f32 v14, -v11, v12, 1.0
	v_fmac_f32_e32 v12, v14, v12
	v_mul_f32_e32 v14, v13, v12
	v_fma_f32 v15, -v11, v14, v13
	v_fmac_f32_e32 v14, v15, v12
	v_fma_f32 v11, -v11, v14, v13
	v_div_fmas_f32 v11, v11, v12, v14
	v_div_fixup_f32 v10, v11, v10, 1.0
	v_mul_f32_e32 v10, v7, v10
	s_mul_i32 s18, s51, 12
	v_cmp_gt_u32_e32 vcc, 12, v0
	s_waitcnt vmcnt(14)
	v_pk_mul_f32 v[14:15], v[10:11], v[20:21] op_sel_hi:[0,1]
	v_cvt_f16_f32_e32 v7, v14
	s_waitcnt vmcnt(12)
	v_pk_mul_f32 v[12:13], v[10:11], v[22:23] op_sel_hi:[0,1]
	buffer_store_dword v14, off, s[0:3], 0 offset:256
	buffer_store_dword v15, off, s[0:3], 0 offset:260
	;; [unrolled: 1-line block ×3, first 2 shown]
	s_waitcnt vmcnt(13)
	v_pk_mul_f32 v[20:21], v[10:11], v[24:25] op_sel_hi:[0,1]
	v_cvt_f16_f32_e32 v14, v12
	s_waitcnt vmcnt(11)
	v_pk_mul_f32 v[22:23], v[10:11], v[26:27] op_sel_hi:[0,1]
	v_cvt_f16_f32_e32 v11, v15
	v_cvt_f16_f32_e32 v15, v13
	buffer_store_dword v13, off, s[0:3], 0 offset:268
	buffer_store_dword v22, off, s[0:3], 0 offset:272
	;; [unrolled: 1-line block ×3, first 2 shown]
	v_pack_b32_f16 v12, v7, v11
	v_cvt_f16_f32_e32 v11, v23
	v_pack_b32_f16 v13, v14, v15
	v_cvt_f16_f32_e32 v7, v22
	v_cvt_f16_f32_e32 v15, v20
	;; [unrolled: 1-line block ×3, first 2 shown]
	s_waitcnt vmcnt(12)
	v_pk_mul_f32 v[4:5], v[10:11], v[4:5] op_sel_hi:[0,1]
	v_pack_b32_f16 v14, v7, v11
	s_waitcnt vmcnt(10)
	v_pk_mul_f32 v[2:3], v[10:11], v[2:3] op_sel_hi:[0,1]
	v_pack_b32_f16 v15, v15, v22
	v_cvt_f16_f32_e32 v11, v5
	buffer_store_dword v20, off, s[0:3], 0 offset:280
	buffer_store_dword v21, off, s[0:3], 0 offset:284
	ds_write2st64_b64 v43, v[12:13], v[14:15] offset1:1
	buffer_store_dword v2, off, s[0:3], 0 offset:288
	buffer_store_dword v3, off, s[0:3], 0 offset:292
	v_cvt_f16_f32_e32 v2, v2
	v_cvt_f16_f32_e32 v3, v3
	;; [unrolled: 1-line block ×3, first 2 shown]
	buffer_store_dword v4, off, s[0:3], 0 offset:296
	buffer_store_dword v5, off, s[0:3], 0 offset:300
	s_waitcnt vmcnt(12)
	v_pk_mul_f32 v[4:5], v[10:11], v[16:17] op_sel_hi:[0,1]
	v_pk_mul_f32 v[8:9], v[10:11], v[8:9] op_sel_hi:[0,1]
	v_pack_b32_f16 v2, v2, v3
	v_pack_b32_f16 v3, v7, v11
	buffer_store_dword v8, off, s[0:3], 0 offset:304
	buffer_store_dword v9, off, s[0:3], 0 offset:308
	v_cvt_f16_f32_e32 v7, v8
	v_cvt_f16_f32_e32 v8, v9
	;; [unrolled: 1-line block ×4, first 2 shown]
	buffer_store_dword v4, off, s[0:3], 0 offset:312
	buffer_store_dword v5, off, s[0:3], 0 offset:316
	v_pack_b32_f16 v4, v7, v8
	v_pack_b32_f16 v5, v9, v10
	ds_write2st64_b64 v43, v[2:3], v[4:5] offset0:2 offset1:3
	s_and_saveexec_b64 s[4:5], vcc
	s_cbranch_execz .LBB665_209
; %bb.208:
	v_add_co_u32_e32 v4, vcc, s25, v55
	v_addc_co_u32_e64 v5, s[6:7], 0, 0, vcc
	v_mov_b32_e32 v2, s18
	v_mad_u64_u32 v[4:5], s[6:7], s8, v2, v[4:5]
	v_mov_b32_e32 v3, 0
	s_mul_i32 s6, s9, s18
	v_mov_b32_e32 v2, s24
	v_add_u32_e32 v5, s6, v5
	v_mad_u64_u32 v[2:3], s[6:7], v4, s50, v[2:3]
	v_mov_b32_e32 v4, v3
	v_mad_u64_u32 v[4:5], s[6:7], v5, s50, v[4:5]
	v_mov_b32_e32 v3, v4
	v_lshlrev_b64 v[2:3], 2, v[2:3]
	v_mov_b32_e32 v5, s47
	v_add_co_u32_e32 v4, vcc, s46, v2
	v_addc_co_u32_e32 v5, vcc, v5, v3, vcc
	global_store_dword v[4:5], v19, off
	v_mov_b32_e32 v4, s45
	v_add_co_u32_e32 v2, vcc, s44, v2
	v_addc_co_u32_e32 v3, vcc, v4, v3, vcc
	global_store_dword v[2:3], v6, off
.LBB665_209:
	s_or_b64 exec, exec, s[4:5]
	v_lshl_or_b32 v30, v1, 9, v18
	s_waitcnt lgkmcnt(0)
	s_barrier
	s_load_dword s4, s[42:43], 0x0
	ds_read_b128 v[2:5], v30
	ds_read_b128 v[6:9], v30 offset:16
	ds_read_b128 v[10:13], v30 offset:2048
	;; [unrolled: 1-line block ×7, first 2 shown]
	v_mov_b32_e32 v35, 0x80
	v_mov_b32_e32 v45, 0x140
	s_mov_b64 s[10:11], -1
	s_waitcnt lgkmcnt(0)
	s_mov_b32 s5, s4
	s_mov_b32 s6, s4
	;; [unrolled: 1-line block ×3, first 2 shown]
	s_movk_i32 s9, 0x80
	s_movk_i32 s19, 0x7f
	s_mov_b32 s20, 0xffffff
	v_mov_b32_e32 v47, 0
	v_bfrev_b32_e32 v48, 60
	s_branch .LBB665_213
.LBB665_210:                            ;   in Loop: Header=BB665_213 Depth=1
	s_or_b64 exec, exec, s[16:17]
.LBB665_211:                            ;   in Loop: Header=BB665_213 Depth=1
	s_or_b64 exec, exec, s[14:15]
.LBB665_212:                            ;   in Loop: Header=BB665_213 Depth=1
	s_or_b64 exec, exec, s[12:13]
	v_cvt_pkrtz_f16_f32 v40, v41, v46
	v_cvt_pkrtz_f16_f32 v41, v44, v50
	s_xor_b64 s[12:13], s[10:11], -1
	s_mov_b64 s[10:11], 0
	v_mov_b32_e32 v61, v58
	v_mfma_f32_16x16x16f16 v[62:65], v[40:41], v[30:31], v[34:37]
	v_mov_b32_e32 v60, v59
	s_and_b64 vcc, exec, s[12:13]
	s_nop 4
	v_cvt_pkrtz_f16_f32 v36, v49, v51
	v_cvt_pkrtz_f16_f32 v37, v42, v52
	v_mov_b32_e32 v35, v57
	s_nop 0
	v_mfma_f32_16x16x16f16 v[50:53], v[36:37], v[32:33], v[62:65]
	s_nop 7
	s_nop 2
	v_pk_mul_f32 v[40:41], v[50:51], s[4:5]
	v_pk_mul_f32 v[36:37], v[52:53], s[6:7]
	v_cvt_f16_f32_e32 v34, v40
	v_cvt_f16_f32_e32 v38, v41
	;; [unrolled: 1-line block ×4, first 2 shown]
	v_mov_b32_e32 v41, v39
	v_pack_b32_f16 v34, v34, v38
	v_pack_b32_f16 v36, v36, v37
	buffer_store_dword v34, v45, s[0:3], 0 offen
	buffer_store_dword v36, v45, s[0:3], 0 offen offset:4
	v_mov_b32_e32 v45, 0x148
	s_cbranch_vccnz .LBB665_595
.LBB665_213:                            ; =>This Inner Loop Header: Depth=1
	buffer_load_dword v36, v35, s[0:3], 0 offen
	buffer_load_dword v34, v35, s[0:3], 0 offen offset:4
	buffer_load_dword v40, v35, s[0:3], 0 offen offset:8
	buffer_load_dword v38, v35, s[0:3], 0 offen offset:12
	v_mov_b32_e32 v35, 0
	s_waitcnt vmcnt(3)
	v_cmp_ne_u16_sdwa s[14:15], v36, v47 src0_sel:BYTE_0 src1_sel:DWORD
	s_and_saveexec_b64 s[12:13], s[14:15]
	s_cbranch_execz .LBB665_219
; %bb.214:                              ;   in Loop: Header=BB665_213 Depth=1
	v_cmp_ne_u16_sdwa s[16:17], v36, s9 src0_sel:BYTE_0 src1_sel:DWORD
	v_bfrev_b32_e32 v35, 1
	s_and_saveexec_b64 s[14:15], s[16:17]
	s_cbranch_execz .LBB665_218
; %bb.215:                              ;   in Loop: Header=BB665_213 Depth=1
	v_and_b32_e32 v37, 0x7f, v36
	v_cmp_ne_u32_e32 vcc, s19, v37
	v_mov_b32_e32 v35, 0x7f800001
	s_and_saveexec_b64 s[16:17], vcc
	s_cbranch_execz .LBB665_217
; %bb.216:                              ;   in Loop: Header=BB665_213 Depth=1
	v_and_b32_e32 v35, 7, v36
	v_ffbh_u32_e32 v44, v35
	v_min_u32_e32 v44, 32, v44
	v_subrev_u32_e32 v46, 28, v44
	v_lshlrev_b64 v[50:51], v46, v[36:37]
	v_lshrrev_b32_e32 v42, 3, v37
	v_sub_u32_e32 v44, 29, v44
	v_and_b32_e32 v46, 7, v50
	v_cmp_gt_u32_e32 vcc, 8, v37
	v_cndmask_b32_e32 v37, v42, v44, vcc
	v_cndmask_b32_e32 v35, v35, v46, vcc
	v_lshlrev_b32_e32 v42, 24, v36
	v_lshlrev_b32_e32 v35, 20, v35
	v_and_b32_e32 v42, 0x80000000, v42
	v_lshl_add_u32 v37, v37, 23, v48
	v_or3_b32 v35, v42, v37, v35
.LBB665_217:                            ;   in Loop: Header=BB665_213 Depth=1
	s_or_b64 exec, exec, s[16:17]
.LBB665_218:                            ;   in Loop: Header=BB665_213 Depth=1
	s_or_b64 exec, exec, s[14:15]
.LBB665_219:                            ;   in Loop: Header=BB665_213 Depth=1
	s_or_b64 exec, exec, s[12:13]
	v_lshrrev_b16_e32 v42, 8, v36
	v_cmp_ne_u16_e32 vcc, 0, v42
	v_mov_b32_e32 v37, 0
	s_and_saveexec_b64 s[12:13], vcc
	s_cbranch_execz .LBB665_225
; %bb.220:                              ;   in Loop: Header=BB665_213 Depth=1
	v_cmp_ne_u16_e32 vcc, s9, v42
	v_bfrev_b32_e32 v37, 1
	s_and_saveexec_b64 s[14:15], vcc
	s_cbranch_execz .LBB665_224
; %bb.221:                              ;   in Loop: Header=BB665_213 Depth=1
	v_and_b32_e32 v44, 0x7f, v42
	v_cmp_ne_u32_e32 vcc, s19, v44
	v_mov_b32_e32 v37, 0x7f800001
	s_and_saveexec_b64 s[16:17], vcc
	s_cbranch_execz .LBB665_223
; %bb.222:                              ;   in Loop: Header=BB665_213 Depth=1
	v_and_b32_e32 v37, 7, v42
	v_ffbh_u32_e32 v49, v37
	v_min_u32_e32 v49, 32, v49
	v_subrev_u32_e32 v50, 28, v49
	v_lshlrev_b64 v[50:51], v50, v[42:43]
	v_lshrrev_b32_e32 v46, 3, v44
	v_sub_u32_e32 v42, 29, v49
	v_and_b32_e32 v49, 7, v50
	v_cmp_gt_u32_e32 vcc, 8, v44
	v_cndmask_b32_e32 v42, v46, v42, vcc
	v_cndmask_b32_e32 v37, v37, v49, vcc
	v_lshlrev_b32_e32 v44, 16, v36
	v_lshlrev_b32_e32 v37, 20, v37
	v_and_b32_e32 v44, 0x80000000, v44
	v_lshl_add_u32 v42, v42, 23, v48
	v_or3_b32 v37, v44, v42, v37
.LBB665_223:                            ;   in Loop: Header=BB665_213 Depth=1
	s_or_b64 exec, exec, s[16:17]
.LBB665_224:                            ;   in Loop: Header=BB665_213 Depth=1
	s_or_b64 exec, exec, s[14:15]
.LBB665_225:                            ;   in Loop: Header=BB665_213 Depth=1
	s_or_b64 exec, exec, s[12:13]
	v_lshrrev_b32_e32 v42, 16, v36
	v_cmp_ne_u16_sdwa s[14:15], v42, v47 src0_sel:BYTE_0 src1_sel:DWORD
	v_mov_b32_e32 v46, 0
	v_mov_b32_e32 v44, 0
	s_and_saveexec_b64 s[12:13], s[14:15]
	s_cbranch_execz .LBB665_231
; %bb.226:                              ;   in Loop: Header=BB665_213 Depth=1
	v_cmp_ne_u16_sdwa s[16:17], v42, s9 src0_sel:BYTE_0 src1_sel:DWORD
	v_bfrev_b32_e32 v44, 1
	s_and_saveexec_b64 s[14:15], s[16:17]
	s_cbranch_execz .LBB665_230
; %bb.227:                              ;   in Loop: Header=BB665_213 Depth=1
	v_bfe_u32 v49, v36, 16, 7
	v_cmp_ne_u32_e32 vcc, s19, v49
	v_mov_b32_e32 v44, 0x7f800001
	s_and_saveexec_b64 s[16:17], vcc
	s_cbranch_execz .LBB665_229
; %bb.228:                              ;   in Loop: Header=BB665_213 Depth=1
	v_and_b32_e32 v44, 7, v42
	v_ffbh_u32_e32 v50, v44
	v_min_u32_e32 v53, 32, v50
	v_subrev_u32_e32 v50, 28, v53
	v_lshlrev_b64 v[50:51], v50, v[42:43]
	v_lshrrev_b32_e32 v52, 3, v49
	v_sub_u32_e32 v51, 29, v53
	v_and_b32_e32 v50, 7, v50
	v_cmp_gt_u32_e32 vcc, 8, v49
	v_cndmask_b32_e32 v49, v52, v51, vcc
	v_cndmask_b32_e32 v44, v44, v50, vcc
	v_lshlrev_b32_e32 v42, 24, v42
	v_lshlrev_b32_e32 v44, 20, v44
	v_and_b32_e32 v42, 0x80000000, v42
	v_lshl_add_u32 v49, v49, 23, v48
	v_or3_b32 v44, v42, v49, v44
.LBB665_229:                            ;   in Loop: Header=BB665_213 Depth=1
	s_or_b64 exec, exec, s[16:17]
.LBB665_230:                            ;   in Loop: Header=BB665_213 Depth=1
	s_or_b64 exec, exec, s[14:15]
.LBB665_231:                            ;   in Loop: Header=BB665_213 Depth=1
	s_or_b64 exec, exec, s[12:13]
	v_cmp_lt_u32_e32 vcc, s20, v36
	s_and_saveexec_b64 s[12:13], vcc
	s_cbranch_execz .LBB665_237
; %bb.232:                              ;   in Loop: Header=BB665_213 Depth=1
	v_lshrrev_b32_e32 v42, 24, v36
	v_cmp_ne_u32_e32 vcc, s9, v42
	v_bfrev_b32_e32 v46, 1
	s_and_saveexec_b64 s[14:15], vcc
	s_cbranch_execz .LBB665_236
; %bb.233:                              ;   in Loop: Header=BB665_213 Depth=1
	v_bfe_u32 v36, v36, 24, 7
	v_cmp_ne_u32_e32 vcc, s19, v36
	v_mov_b32_e32 v46, 0x7f800001
	s_and_saveexec_b64 s[16:17], vcc
	s_cbranch_execz .LBB665_235
; %bb.234:                              ;   in Loop: Header=BB665_213 Depth=1
	v_and_b32_e32 v46, 7, v42
	v_ffbh_u32_e32 v50, v46
	v_min_u32_e32 v52, 32, v50
	v_subrev_u32_e32 v50, 28, v52
	v_lshlrev_b64 v[50:51], v50, v[42:43]
	v_lshrrev_b32_e32 v49, 3, v36
	v_sub_u32_e32 v51, 29, v52
	v_and_b32_e32 v50, 7, v50
	v_cmp_gt_u32_e32 vcc, 8, v36
	v_cndmask_b32_e32 v36, v49, v51, vcc
	v_cndmask_b32_e32 v46, v46, v50, vcc
	v_lshlrev_b32_e32 v42, 24, v42
	v_lshlrev_b32_e32 v46, 20, v46
	v_and_b32_e32 v42, 0x80000000, v42
	v_lshl_add_u32 v36, v36, 23, v48
	v_or3_b32 v46, v42, v36, v46
.LBB665_235:                            ;   in Loop: Header=BB665_213 Depth=1
	s_or_b64 exec, exec, s[16:17]
.LBB665_236:                            ;   in Loop: Header=BB665_213 Depth=1
	s_or_b64 exec, exec, s[14:15]
.LBB665_237:                            ;   in Loop: Header=BB665_213 Depth=1
	s_or_b64 exec, exec, s[12:13]
	s_waitcnt vmcnt(2)
	v_cmp_ne_u16_sdwa s[14:15], v34, v47 src0_sel:BYTE_0 src1_sel:DWORD
	v_mov_b32_e32 v42, 0
	v_mov_b32_e32 v49, 0
	s_and_saveexec_b64 s[12:13], s[14:15]
	s_cbranch_execz .LBB665_243
; %bb.238:                              ;   in Loop: Header=BB665_213 Depth=1
	v_cmp_ne_u16_sdwa s[16:17], v34, s9 src0_sel:BYTE_0 src1_sel:DWORD
	v_bfrev_b32_e32 v49, 1
	s_and_saveexec_b64 s[14:15], s[16:17]
	s_cbranch_execz .LBB665_242
; %bb.239:                              ;   in Loop: Header=BB665_213 Depth=1
	v_and_b32_e32 v36, 0x7f, v34
	v_cmp_ne_u32_e32 vcc, s19, v36
	v_mov_b32_e32 v49, 0x7f800001
	s_and_saveexec_b64 s[16:17], vcc
	s_cbranch_execz .LBB665_241
; %bb.240:                              ;   in Loop: Header=BB665_213 Depth=1
	v_and_b32_e32 v49, 7, v34
	v_ffbh_u32_e32 v50, v49
	v_min_u32_e32 v53, 32, v50
	v_subrev_u32_e32 v50, 28, v53
	v_lshlrev_b64 v[50:51], v50, v[34:35]
	v_lshrrev_b32_e32 v52, 3, v36
	v_sub_u32_e32 v51, 29, v53
	v_and_b32_e32 v50, 7, v50
	v_cmp_gt_u32_e32 vcc, 8, v36
	v_cndmask_b32_e32 v36, v52, v51, vcc
	v_cndmask_b32_e32 v49, v49, v50, vcc
	v_lshlrev_b32_e32 v50, 24, v34
	v_lshlrev_b32_e32 v49, 20, v49
	v_and_b32_e32 v50, 0x80000000, v50
	v_lshl_add_u32 v36, v36, 23, v48
	v_or3_b32 v49, v50, v36, v49
.LBB665_241:                            ;   in Loop: Header=BB665_213 Depth=1
	s_or_b64 exec, exec, s[16:17]
.LBB665_242:                            ;   in Loop: Header=BB665_213 Depth=1
	s_or_b64 exec, exec, s[14:15]
.LBB665_243:                            ;   in Loop: Header=BB665_213 Depth=1
	s_or_b64 exec, exec, s[12:13]
	v_lshrrev_b16_e32 v36, 8, v34
	v_cmp_ne_u16_e32 vcc, 0, v36
	s_and_saveexec_b64 s[12:13], vcc
	s_cbranch_execz .LBB665_249
; %bb.244:                              ;   in Loop: Header=BB665_213 Depth=1
	v_cmp_ne_u16_e32 vcc, s9, v36
	v_bfrev_b32_e32 v42, 1
	s_and_saveexec_b64 s[14:15], vcc
	s_cbranch_execz .LBB665_248
; %bb.245:                              ;   in Loop: Header=BB665_213 Depth=1
	v_and_b32_e32 v50, 0x7f, v36
	v_cmp_ne_u32_e32 vcc, s19, v50
	v_mov_b32_e32 v42, 0x7f800001
	s_and_saveexec_b64 s[16:17], vcc
	s_cbranch_execz .LBB665_247
; %bb.246:                              ;   in Loop: Header=BB665_213 Depth=1
	v_and_b32_e32 v42, 7, v36
	v_ffbh_u32_e32 v52, v42
	v_min_u32_e32 v62, 32, v52
	v_subrev_u32_e32 v52, 28, v62
	v_lshlrev_b64 v[52:53], v52, v[36:37]
	v_lshrrev_b32_e32 v51, 3, v50
	v_sub_u32_e32 v36, 29, v62
	v_and_b32_e32 v52, 7, v52
	v_cmp_gt_u32_e32 vcc, 8, v50
	v_cndmask_b32_e32 v36, v51, v36, vcc
	v_cndmask_b32_e32 v42, v42, v52, vcc
	v_lshlrev_b32_e32 v50, 16, v34
	v_lshlrev_b32_e32 v42, 20, v42
	v_and_b32_e32 v50, 0x80000000, v50
	v_lshl_add_u32 v36, v36, 23, v48
	v_or3_b32 v42, v50, v36, v42
.LBB665_247:                            ;   in Loop: Header=BB665_213 Depth=1
	s_or_b64 exec, exec, s[16:17]
.LBB665_248:                            ;   in Loop: Header=BB665_213 Depth=1
	s_or_b64 exec, exec, s[14:15]
.LBB665_249:                            ;   in Loop: Header=BB665_213 Depth=1
	s_or_b64 exec, exec, s[12:13]
	v_lshrrev_b32_e32 v36, 16, v34
	v_cmp_ne_u16_sdwa s[14:15], v36, v47 src0_sel:BYTE_0 src1_sel:DWORD
	v_mov_b32_e32 v51, 0
	v_mov_b32_e32 v50, 0
	s_and_saveexec_b64 s[12:13], s[14:15]
	s_cbranch_execz .LBB665_255
; %bb.250:                              ;   in Loop: Header=BB665_213 Depth=1
	v_cmp_ne_u16_sdwa s[16:17], v36, s9 src0_sel:BYTE_0 src1_sel:DWORD
	v_bfrev_b32_e32 v50, 1
	s_and_saveexec_b64 s[14:15], s[16:17]
	s_cbranch_execz .LBB665_254
; %bb.251:                              ;   in Loop: Header=BB665_213 Depth=1
	v_bfe_u32 v52, v34, 16, 7
	v_cmp_ne_u32_e32 vcc, s19, v52
	v_mov_b32_e32 v50, 0x7f800001
	s_and_saveexec_b64 s[16:17], vcc
	s_cbranch_execz .LBB665_253
; %bb.252:                              ;   in Loop: Header=BB665_213 Depth=1
	v_and_b32_e32 v50, 7, v36
	v_ffbh_u32_e32 v62, v50
	v_min_u32_e32 v64, 32, v62
	v_subrev_u32_e32 v62, 28, v64
	v_lshlrev_b64 v[62:63], v62, v[36:37]
	v_lshrrev_b32_e32 v53, 3, v52
	v_sub_u32_e32 v63, 29, v64
	v_and_b32_e32 v62, 7, v62
	v_cmp_gt_u32_e32 vcc, 8, v52
	v_cndmask_b32_e32 v52, v53, v63, vcc
	v_cndmask_b32_e32 v50, v50, v62, vcc
	v_lshlrev_b32_e32 v36, 24, v36
	v_lshlrev_b32_e32 v50, 20, v50
	v_and_b32_e32 v36, 0x80000000, v36
	v_lshl_add_u32 v52, v52, 23, v48
	v_or3_b32 v50, v36, v52, v50
.LBB665_253:                            ;   in Loop: Header=BB665_213 Depth=1
	s_or_b64 exec, exec, s[16:17]
.LBB665_254:                            ;   in Loop: Header=BB665_213 Depth=1
	s_or_b64 exec, exec, s[14:15]
.LBB665_255:                            ;   in Loop: Header=BB665_213 Depth=1
	s_or_b64 exec, exec, s[12:13]
	v_cmp_lt_u32_e32 vcc, s20, v34
	s_and_saveexec_b64 s[12:13], vcc
	s_cbranch_execz .LBB665_261
; %bb.256:                              ;   in Loop: Header=BB665_213 Depth=1
	v_lshrrev_b32_e32 v36, 24, v34
	v_cmp_ne_u32_e32 vcc, s9, v36
	v_bfrev_b32_e32 v51, 1
	s_and_saveexec_b64 s[14:15], vcc
	s_cbranch_execz .LBB665_260
; %bb.257:                              ;   in Loop: Header=BB665_213 Depth=1
	v_bfe_u32 v34, v34, 24, 7
	v_cmp_ne_u32_e32 vcc, s19, v34
	v_mov_b32_e32 v51, 0x7f800001
	s_and_saveexec_b64 s[16:17], vcc
	s_cbranch_execz .LBB665_259
; %bb.258:                              ;   in Loop: Header=BB665_213 Depth=1
	v_and_b32_e32 v51, 7, v36
	v_ffbh_u32_e32 v52, v51
	v_min_u32_e32 v63, 32, v52
	v_subrev_u32_e32 v52, 28, v63
	v_lshlrev_b64 v[52:53], v52, v[36:37]
	v_lshrrev_b32_e32 v62, 3, v34
	v_sub_u32_e32 v53, 29, v63
	v_and_b32_e32 v52, 7, v52
	v_cmp_gt_u32_e32 vcc, 8, v34
	v_cndmask_b32_e32 v34, v62, v53, vcc
	v_cndmask_b32_e32 v51, v51, v52, vcc
	v_lshlrev_b32_e32 v36, 24, v36
	v_lshlrev_b32_e32 v51, 20, v51
	v_and_b32_e32 v36, 0x80000000, v36
	v_lshl_add_u32 v34, v34, 23, v48
	v_or3_b32 v51, v36, v34, v51
.LBB665_259:                            ;   in Loop: Header=BB665_213 Depth=1
	s_or_b64 exec, exec, s[16:17]
.LBB665_260:                            ;   in Loop: Header=BB665_213 Depth=1
	s_or_b64 exec, exec, s[14:15]
.LBB665_261:                            ;   in Loop: Header=BB665_213 Depth=1
	s_or_b64 exec, exec, s[12:13]
	v_cvt_pkrtz_f16_f32 v34, v35, v37
	v_cvt_pkrtz_f16_f32 v35, v44, v46
	;; [unrolled: 1-line block ×4, first 2 shown]
	v_mov_b32_e32 v44, 0
	v_mfma_f32_16x16x16f16 v[34:37], v[34:35], v[2:3], 0
	s_waitcnt vmcnt(1)
	v_cmp_ne_u16_sdwa s[14:15], v40, v47 src0_sel:BYTE_0 src1_sel:DWORD
	v_mov_b32_e32 v46, 0
	v_mfma_f32_16x16x16f16 v[34:37], v[52:53], v[4:5], v[34:37]
	s_and_saveexec_b64 s[12:13], s[14:15]
	s_cbranch_execz .LBB665_267
; %bb.262:                              ;   in Loop: Header=BB665_213 Depth=1
	v_cmp_ne_u16_sdwa s[16:17], v40, s9 src0_sel:BYTE_0 src1_sel:DWORD
	v_bfrev_b32_e32 v46, 1
	s_and_saveexec_b64 s[14:15], s[16:17]
	s_cbranch_execz .LBB665_266
; %bb.263:                              ;   in Loop: Header=BB665_213 Depth=1
	v_and_b32_e32 v42, 0x7f, v40
	v_cmp_ne_u32_e32 vcc, s19, v42
	v_mov_b32_e32 v46, 0x7f800001
	s_and_saveexec_b64 s[16:17], vcc
	s_cbranch_execz .LBB665_265
; %bb.264:                              ;   in Loop: Header=BB665_213 Depth=1
	v_and_b32_e32 v46, 7, v40
	v_ffbh_u32_e32 v50, v46
	v_min_u32_e32 v52, 32, v50
	v_subrev_u32_e32 v50, 28, v52
	v_lshlrev_b64 v[50:51], v50, v[40:41]
	v_lshrrev_b32_e32 v49, 3, v42
	v_sub_u32_e32 v51, 29, v52
	v_and_b32_e32 v50, 7, v50
	v_cmp_gt_u32_e32 vcc, 8, v42
	v_cndmask_b32_e32 v42, v49, v51, vcc
	v_cndmask_b32_e32 v46, v46, v50, vcc
	v_lshlrev_b32_e32 v49, 24, v40
	v_lshlrev_b32_e32 v46, 20, v46
	v_and_b32_e32 v49, 0x80000000, v49
	v_lshl_add_u32 v42, v42, 23, v48
	v_or3_b32 v46, v49, v42, v46
.LBB665_265:                            ;   in Loop: Header=BB665_213 Depth=1
	s_or_b64 exec, exec, s[16:17]
.LBB665_266:                            ;   in Loop: Header=BB665_213 Depth=1
	s_or_b64 exec, exec, s[14:15]
.LBB665_267:                            ;   in Loop: Header=BB665_213 Depth=1
	s_or_b64 exec, exec, s[12:13]
	v_lshrrev_b16_e32 v42, 8, v40
	v_cmp_ne_u16_e32 vcc, 0, v42
	v_mov_b32_e32 v50, 0
	s_and_saveexec_b64 s[12:13], vcc
	s_cbranch_execz .LBB665_273
; %bb.268:                              ;   in Loop: Header=BB665_213 Depth=1
	v_cmp_ne_u16_e32 vcc, s9, v42
	v_bfrev_b32_e32 v50, 1
	s_and_saveexec_b64 s[14:15], vcc
	s_cbranch_execz .LBB665_272
; %bb.269:                              ;   in Loop: Header=BB665_213 Depth=1
	v_and_b32_e32 v49, 0x7f, v42
	v_cmp_ne_u32_e32 vcc, s19, v49
	v_mov_b32_e32 v50, 0x7f800001
	s_and_saveexec_b64 s[16:17], vcc
	s_cbranch_execz .LBB665_271
; %bb.270:                              ;   in Loop: Header=BB665_213 Depth=1
	v_and_b32_e32 v52, 7, v42
	v_ffbh_u32_e32 v50, v52
	v_min_u32_e32 v62, 32, v50
	v_subrev_u32_e32 v50, 28, v62
	v_lshlrev_b64 v[50:51], v50, v[42:43]
	v_lshrrev_b32_e32 v53, 3, v49
	v_sub_u32_e32 v42, 29, v62
	v_and_b32_e32 v50, 7, v50
	v_cmp_gt_u32_e32 vcc, 8, v49
	v_cndmask_b32_e32 v42, v53, v42, vcc
	v_cndmask_b32_e32 v49, v52, v50, vcc
	v_lshlrev_b32_e32 v50, 16, v40
	v_lshlrev_b32_e32 v49, 20, v49
	v_and_b32_e32 v50, 0x80000000, v50
	v_lshl_add_u32 v42, v42, 23, v48
	v_or3_b32 v50, v50, v42, v49
.LBB665_271:                            ;   in Loop: Header=BB665_213 Depth=1
	s_or_b64 exec, exec, s[16:17]
.LBB665_272:                            ;   in Loop: Header=BB665_213 Depth=1
	s_or_b64 exec, exec, s[14:15]
.LBB665_273:                            ;   in Loop: Header=BB665_213 Depth=1
	s_or_b64 exec, exec, s[12:13]
	v_lshrrev_b32_e32 v42, 16, v40
	v_cmp_ne_u16_sdwa s[14:15], v42, v47 src0_sel:BYTE_0 src1_sel:DWORD
	s_and_saveexec_b64 s[12:13], s[14:15]
	s_cbranch_execz .LBB665_279
; %bb.274:                              ;   in Loop: Header=BB665_213 Depth=1
	v_cmp_ne_u16_sdwa s[16:17], v42, s9 src0_sel:BYTE_0 src1_sel:DWORD
	v_bfrev_b32_e32 v44, 1
	s_and_saveexec_b64 s[14:15], s[16:17]
	s_cbranch_execz .LBB665_278
; %bb.275:                              ;   in Loop: Header=BB665_213 Depth=1
	v_bfe_u32 v49, v40, 16, 7
	v_cmp_ne_u32_e32 vcc, s19, v49
	v_mov_b32_e32 v44, 0x7f800001
	s_and_saveexec_b64 s[16:17], vcc
	s_cbranch_execz .LBB665_277
; %bb.276:                              ;   in Loop: Header=BB665_213 Depth=1
	v_and_b32_e32 v44, 7, v42
	v_ffbh_u32_e32 v52, v44
	v_min_u32_e32 v62, 32, v52
	v_subrev_u32_e32 v52, 28, v62
	v_lshlrev_b64 v[52:53], v52, v[42:43]
	v_lshrrev_b32_e32 v51, 3, v49
	v_sub_u32_e32 v53, 29, v62
	v_and_b32_e32 v52, 7, v52
	v_cmp_gt_u32_e32 vcc, 8, v49
	v_cndmask_b32_e32 v49, v51, v53, vcc
	v_cndmask_b32_e32 v44, v44, v52, vcc
	v_lshlrev_b32_e32 v42, 24, v42
	v_lshlrev_b32_e32 v44, 20, v44
	v_and_b32_e32 v42, 0x80000000, v42
	v_lshl_add_u32 v49, v49, 23, v48
	v_or3_b32 v44, v42, v49, v44
.LBB665_277:                            ;   in Loop: Header=BB665_213 Depth=1
	s_or_b64 exec, exec, s[16:17]
.LBB665_278:                            ;   in Loop: Header=BB665_213 Depth=1
	s_or_b64 exec, exec, s[14:15]
.LBB665_279:                            ;   in Loop: Header=BB665_213 Depth=1
	s_or_b64 exec, exec, s[12:13]
	v_cmp_lt_u32_e32 vcc, s20, v40
	v_mov_b32_e32 v51, 0
	v_mov_b32_e32 v52, 0
	s_and_saveexec_b64 s[12:13], vcc
	s_cbranch_execz .LBB665_285
; %bb.280:                              ;   in Loop: Header=BB665_213 Depth=1
	v_lshrrev_b32_e32 v42, 24, v40
	v_cmp_ne_u32_e32 vcc, s9, v42
	v_bfrev_b32_e32 v52, 1
	s_and_saveexec_b64 s[14:15], vcc
	s_cbranch_execz .LBB665_284
; %bb.281:                              ;   in Loop: Header=BB665_213 Depth=1
	v_bfe_u32 v40, v40, 24, 7
	v_cmp_ne_u32_e32 vcc, s19, v40
	v_mov_b32_e32 v52, 0x7f800001
	s_and_saveexec_b64 s[16:17], vcc
	s_cbranch_execz .LBB665_283
; %bb.282:                              ;   in Loop: Header=BB665_213 Depth=1
	v_and_b32_e32 v49, 7, v42
	v_ffbh_u32_e32 v52, v49
	v_min_u32_e32 v63, 32, v52
	v_subrev_u32_e32 v52, 28, v63
	v_lshlrev_b64 v[52:53], v52, v[42:43]
	v_lshrrev_b32_e32 v62, 3, v40
	v_sub_u32_e32 v53, 29, v63
	v_and_b32_e32 v52, 7, v52
	v_cmp_gt_u32_e32 vcc, 8, v40
	v_cndmask_b32_e32 v40, v62, v53, vcc
	v_cndmask_b32_e32 v49, v49, v52, vcc
	v_lshlrev_b32_e32 v42, 24, v42
	v_lshlrev_b32_e32 v49, 20, v49
	v_and_b32_e32 v42, 0x80000000, v42
	v_lshl_add_u32 v40, v40, 23, v48
	v_or3_b32 v52, v42, v40, v49
.LBB665_283:                            ;   in Loop: Header=BB665_213 Depth=1
	s_or_b64 exec, exec, s[16:17]
.LBB665_284:                            ;   in Loop: Header=BB665_213 Depth=1
	s_or_b64 exec, exec, s[14:15]
.LBB665_285:                            ;   in Loop: Header=BB665_213 Depth=1
	s_or_b64 exec, exec, s[12:13]
	s_waitcnt vmcnt(0)
	v_cmp_ne_u16_sdwa s[14:15], v38, v47 src0_sel:BYTE_0 src1_sel:DWORD
	s_and_saveexec_b64 s[12:13], s[14:15]
	s_cbranch_execz .LBB665_291
; %bb.286:                              ;   in Loop: Header=BB665_213 Depth=1
	v_cmp_ne_u16_sdwa s[16:17], v38, s9 src0_sel:BYTE_0 src1_sel:DWORD
	v_bfrev_b32_e32 v51, 1
	s_and_saveexec_b64 s[14:15], s[16:17]
	s_cbranch_execz .LBB665_290
; %bb.287:                              ;   in Loop: Header=BB665_213 Depth=1
	v_and_b32_e32 v40, 0x7f, v38
	v_cmp_ne_u32_e32 vcc, s19, v40
	v_mov_b32_e32 v51, 0x7f800001
	s_and_saveexec_b64 s[16:17], vcc
	s_cbranch_execz .LBB665_289
; %bb.288:                              ;   in Loop: Header=BB665_213 Depth=1
	v_and_b32_e32 v42, 7, v38
	v_ffbh_u32_e32 v51, v42
	v_min_u32_e32 v51, 32, v51
	v_subrev_u32_e32 v53, 28, v51
	v_lshlrev_b64 v[62:63], v53, v[38:39]
	v_lshrrev_b32_e32 v49, 3, v40
	v_sub_u32_e32 v51, 29, v51
	v_and_b32_e32 v53, 7, v62
	v_cmp_gt_u32_e32 vcc, 8, v40
	v_cndmask_b32_e32 v40, v49, v51, vcc
	v_cndmask_b32_e32 v42, v42, v53, vcc
	v_lshlrev_b32_e32 v49, 24, v38
	v_lshlrev_b32_e32 v42, 20, v42
	v_and_b32_e32 v49, 0x80000000, v49
	v_lshl_add_u32 v40, v40, 23, v48
	v_or3_b32 v51, v49, v40, v42
.LBB665_289:                            ;   in Loop: Header=BB665_213 Depth=1
	s_or_b64 exec, exec, s[16:17]
.LBB665_290:                            ;   in Loop: Header=BB665_213 Depth=1
	s_or_b64 exec, exec, s[14:15]
.LBB665_291:                            ;   in Loop: Header=BB665_213 Depth=1
	s_or_b64 exec, exec, s[12:13]
	v_lshrrev_b16_e32 v40, 8, v38
	v_cmp_ne_u16_e32 vcc, 0, v40
	v_mov_b32_e32 v53, 0
	v_mov_b32_e32 v62, 0
	s_and_saveexec_b64 s[12:13], vcc
	s_cbranch_execz .LBB665_297
; %bb.292:                              ;   in Loop: Header=BB665_213 Depth=1
	v_cmp_ne_u16_e32 vcc, s9, v40
	v_bfrev_b32_e32 v62, 1
	s_and_saveexec_b64 s[14:15], vcc
	s_cbranch_execz .LBB665_296
; %bb.293:                              ;   in Loop: Header=BB665_213 Depth=1
	v_and_b32_e32 v42, 0x7f, v40
	v_cmp_ne_u32_e32 vcc, s19, v42
	v_mov_b32_e32 v62, 0x7f800001
	s_and_saveexec_b64 s[16:17], vcc
	s_cbranch_execz .LBB665_295
; %bb.294:                              ;   in Loop: Header=BB665_213 Depth=1
	v_and_b32_e32 v49, 7, v40
	v_ffbh_u32_e32 v62, v49
	v_min_u32_e32 v65, 32, v62
	v_subrev_u32_e32 v62, 28, v65
	v_lshlrev_b64 v[62:63], v62, v[40:41]
	v_lshrrev_b32_e32 v64, 3, v42
	v_sub_u32_e32 v40, 29, v65
	v_and_b32_e32 v62, 7, v62
	v_cmp_gt_u32_e32 vcc, 8, v42
	v_cndmask_b32_e32 v40, v64, v40, vcc
	v_cndmask_b32_e32 v42, v49, v62, vcc
	v_lshlrev_b32_e32 v49, 16, v38
	v_lshlrev_b32_e32 v42, 20, v42
	v_and_b32_e32 v49, 0x80000000, v49
	v_lshl_add_u32 v40, v40, 23, v48
	v_or3_b32 v62, v49, v40, v42
.LBB665_295:                            ;   in Loop: Header=BB665_213 Depth=1
	s_or_b64 exec, exec, s[16:17]
.LBB665_296:                            ;   in Loop: Header=BB665_213 Depth=1
	s_or_b64 exec, exec, s[14:15]
.LBB665_297:                            ;   in Loop: Header=BB665_213 Depth=1
	s_or_b64 exec, exec, s[12:13]
	v_lshrrev_b32_e32 v40, 16, v38
	v_cmp_ne_u16_sdwa s[14:15], v40, v47 src0_sel:BYTE_0 src1_sel:DWORD
	s_and_saveexec_b64 s[12:13], s[14:15]
	s_cbranch_execz .LBB665_303
; %bb.298:                              ;   in Loop: Header=BB665_213 Depth=1
	v_cmp_ne_u16_sdwa s[16:17], v40, s9 src0_sel:BYTE_0 src1_sel:DWORD
	v_bfrev_b32_e32 v53, 1
	s_and_saveexec_b64 s[14:15], s[16:17]
	s_cbranch_execz .LBB665_302
; %bb.299:                              ;   in Loop: Header=BB665_213 Depth=1
	v_bfe_u32 v42, v38, 16, 7
	v_cmp_ne_u32_e32 vcc, s19, v42
	v_mov_b32_e32 v53, 0x7f800001
	s_and_saveexec_b64 s[16:17], vcc
	s_cbranch_execz .LBB665_301
; %bb.300:                              ;   in Loop: Header=BB665_213 Depth=1
	v_and_b32_e32 v49, 7, v40
	v_ffbh_u32_e32 v63, v49
	v_min_u32_e32 v63, 32, v63
	v_subrev_u32_e32 v64, 28, v63
	v_lshlrev_b64 v[64:65], v64, v[40:41]
	v_lshrrev_b32_e32 v53, 3, v42
	v_sub_u32_e32 v63, 29, v63
	v_and_b32_e32 v64, 7, v64
	v_cmp_gt_u32_e32 vcc, 8, v42
	v_cndmask_b32_e32 v42, v53, v63, vcc
	v_cndmask_b32_e32 v49, v49, v64, vcc
	v_lshlrev_b32_e32 v40, 24, v40
	v_lshlrev_b32_e32 v49, 20, v49
	v_and_b32_e32 v40, 0x80000000, v40
	v_lshl_add_u32 v42, v42, 23, v48
	v_or3_b32 v53, v40, v42, v49
.LBB665_301:                            ;   in Loop: Header=BB665_213 Depth=1
	s_or_b64 exec, exec, s[16:17]
.LBB665_302:                            ;   in Loop: Header=BB665_213 Depth=1
	s_or_b64 exec, exec, s[14:15]
.LBB665_303:                            ;   in Loop: Header=BB665_213 Depth=1
	s_or_b64 exec, exec, s[12:13]
	v_cmp_lt_u32_e32 vcc, s20, v38
	v_mov_b32_e32 v49, 0
	v_mov_b32_e32 v63, 0
	s_and_saveexec_b64 s[12:13], vcc
	s_cbranch_execz .LBB665_309
; %bb.304:                              ;   in Loop: Header=BB665_213 Depth=1
	v_lshrrev_b32_e32 v40, 24, v38
	v_cmp_ne_u32_e32 vcc, s9, v40
	v_bfrev_b32_e32 v63, 1
	s_and_saveexec_b64 s[14:15], vcc
	s_cbranch_execz .LBB665_308
; %bb.305:                              ;   in Loop: Header=BB665_213 Depth=1
	v_bfe_u32 v38, v38, 24, 7
	v_cmp_ne_u32_e32 vcc, s19, v38
	v_mov_b32_e32 v63, 0x7f800001
	s_and_saveexec_b64 s[16:17], vcc
	s_cbranch_execz .LBB665_307
; %bb.306:                              ;   in Loop: Header=BB665_213 Depth=1
	v_and_b32_e32 v42, 7, v40
	v_ffbh_u32_e32 v64, v42
	v_min_u32_e32 v66, 32, v64
	v_subrev_u32_e32 v64, 28, v66
	v_lshlrev_b64 v[64:65], v64, v[40:41]
	v_lshrrev_b32_e32 v63, 3, v38
	v_sub_u32_e32 v65, 29, v66
	v_and_b32_e32 v64, 7, v64
	v_cmp_gt_u32_e32 vcc, 8, v38
	v_cndmask_b32_e32 v38, v63, v65, vcc
	v_cndmask_b32_e32 v42, v42, v64, vcc
	v_lshlrev_b32_e32 v40, 24, v40
	v_lshlrev_b32_e32 v42, 20, v42
	v_and_b32_e32 v40, 0x80000000, v40
	v_lshl_add_u32 v38, v38, 23, v48
	v_or3_b32 v63, v40, v38, v42
.LBB665_307:                            ;   in Loop: Header=BB665_213 Depth=1
	s_or_b64 exec, exec, s[16:17]
.LBB665_308:                            ;   in Loop: Header=BB665_213 Depth=1
	s_or_b64 exec, exec, s[14:15]
.LBB665_309:                            ;   in Loop: Header=BB665_213 Depth=1
	s_or_b64 exec, exec, s[12:13]
	v_cvt_pkrtz_f16_f32 v65, v44, v52
	buffer_load_dword v44, v61, s[0:3], 0 offen
	buffer_load_dword v42, v61, s[0:3], 0 offen offset:4
	buffer_load_dword v40, v61, s[0:3], 0 offen offset:8
	;; [unrolled: 1-line block ×3, first 2 shown]
	v_cvt_pkrtz_f16_f32 v64, v46, v50
	v_cvt_pkrtz_f16_f32 v50, v51, v62
	;; [unrolled: 1-line block ×3, first 2 shown]
	v_mfma_f32_16x16x16f16 v[34:37], v[64:65], v[6:7], v[34:37]
	s_waitcnt vmcnt(3)
	v_cmp_ne_u16_sdwa s[14:15], v44, v47 src0_sel:BYTE_0 src1_sel:DWORD
	v_mfma_f32_16x16x16f16 v[34:37], v[50:51], v[8:9], v[34:37]
	s_and_saveexec_b64 s[12:13], s[14:15]
	s_cbranch_execz .LBB665_315
; %bb.310:                              ;   in Loop: Header=BB665_213 Depth=1
	v_cmp_ne_u16_sdwa s[16:17], v44, s9 src0_sel:BYTE_0 src1_sel:DWORD
	v_bfrev_b32_e32 v49, 1
	s_and_saveexec_b64 s[14:15], s[16:17]
	s_cbranch_execz .LBB665_314
; %bb.311:                              ;   in Loop: Header=BB665_213 Depth=1
	v_and_b32_e32 v46, 0x7f, v44
	v_cmp_ne_u32_e32 vcc, s19, v46
	v_mov_b32_e32 v49, 0x7f800001
	s_and_saveexec_b64 s[16:17], vcc
	s_cbranch_execz .LBB665_313
; %bb.312:                              ;   in Loop: Header=BB665_213 Depth=1
	v_and_b32_e32 v49, 7, v44
	v_ffbh_u32_e32 v50, v49
	v_min_u32_e32 v53, 32, v50
	v_subrev_u32_e32 v50, 28, v53
	v_lshlrev_b64 v[50:51], v50, v[44:45]
	v_lshrrev_b32_e32 v52, 3, v46
	v_sub_u32_e32 v51, 29, v53
	v_and_b32_e32 v50, 7, v50
	v_cmp_gt_u32_e32 vcc, 8, v46
	v_cndmask_b32_e32 v46, v52, v51, vcc
	v_cndmask_b32_e32 v49, v49, v50, vcc
	v_lshlrev_b32_e32 v50, 24, v44
	v_lshlrev_b32_e32 v49, 20, v49
	v_and_b32_e32 v50, 0x80000000, v50
	v_lshl_add_u32 v46, v46, 23, v48
	v_or3_b32 v49, v50, v46, v49
.LBB665_313:                            ;   in Loop: Header=BB665_213 Depth=1
	s_or_b64 exec, exec, s[16:17]
.LBB665_314:                            ;   in Loop: Header=BB665_213 Depth=1
	s_or_b64 exec, exec, s[14:15]
.LBB665_315:                            ;   in Loop: Header=BB665_213 Depth=1
	s_or_b64 exec, exec, s[12:13]
	v_lshrrev_b16_e32 v46, 8, v44
	v_cmp_ne_u16_e32 vcc, 0, v46
	v_mov_b32_e32 v50, 0
	v_mov_b32_e32 v51, 0
	s_and_saveexec_b64 s[12:13], vcc
	s_cbranch_execz .LBB665_321
; %bb.316:                              ;   in Loop: Header=BB665_213 Depth=1
	v_cmp_ne_u16_e32 vcc, s9, v46
	v_bfrev_b32_e32 v51, 1
	s_and_saveexec_b64 s[14:15], vcc
	s_cbranch_execz .LBB665_320
; %bb.317:                              ;   in Loop: Header=BB665_213 Depth=1
	v_and_b32_e32 v52, 0x7f, v46
	v_cmp_ne_u32_e32 vcc, s19, v52
	v_mov_b32_e32 v51, 0x7f800001
	s_and_saveexec_b64 s[16:17], vcc
	s_cbranch_execz .LBB665_319
; %bb.318:                              ;   in Loop: Header=BB665_213 Depth=1
	v_and_b32_e32 v51, 7, v46
	v_ffbh_u32_e32 v61, v51
	v_min_u32_e32 v61, 32, v61
	v_subrev_u32_e32 v62, 28, v61
	v_lshlrev_b64 v[62:63], v62, v[46:47]
	v_lshrrev_b32_e32 v53, 3, v52
	v_sub_u32_e32 v46, 29, v61
	v_and_b32_e32 v61, 7, v62
	v_cmp_gt_u32_e32 vcc, 8, v52
	v_cndmask_b32_e32 v46, v53, v46, vcc
	v_cndmask_b32_e32 v51, v51, v61, vcc
	v_lshlrev_b32_e32 v52, 16, v44
	v_lshlrev_b32_e32 v51, 20, v51
	v_and_b32_e32 v52, 0x80000000, v52
	v_lshl_add_u32 v46, v46, 23, v48
	v_or3_b32 v51, v52, v46, v51
.LBB665_319:                            ;   in Loop: Header=BB665_213 Depth=1
	s_or_b64 exec, exec, s[16:17]
.LBB665_320:                            ;   in Loop: Header=BB665_213 Depth=1
	s_or_b64 exec, exec, s[14:15]
.LBB665_321:                            ;   in Loop: Header=BB665_213 Depth=1
	s_or_b64 exec, exec, s[12:13]
	v_lshrrev_b32_e32 v46, 16, v44
	v_cmp_ne_u16_sdwa s[14:15], v46, v47 src0_sel:BYTE_0 src1_sel:DWORD
	s_and_saveexec_b64 s[12:13], s[14:15]
	s_cbranch_execz .LBB665_327
; %bb.322:                              ;   in Loop: Header=BB665_213 Depth=1
	v_cmp_ne_u16_sdwa s[16:17], v46, s9 src0_sel:BYTE_0 src1_sel:DWORD
	v_bfrev_b32_e32 v50, 1
	s_and_saveexec_b64 s[14:15], s[16:17]
	s_cbranch_execz .LBB665_326
; %bb.323:                              ;   in Loop: Header=BB665_213 Depth=1
	v_bfe_u32 v52, v44, 16, 7
	v_cmp_ne_u32_e32 vcc, s19, v52
	v_mov_b32_e32 v50, 0x7f800001
	s_and_saveexec_b64 s[16:17], vcc
	s_cbranch_execz .LBB665_325
; %bb.324:                              ;   in Loop: Header=BB665_213 Depth=1
	v_and_b32_e32 v50, 7, v46
	v_ffbh_u32_e32 v61, v50
	v_min_u32_e32 v61, 32, v61
	v_subrev_u32_e32 v62, 28, v61
	v_lshlrev_b64 v[62:63], v62, v[46:47]
	v_lshrrev_b32_e32 v53, 3, v52
	v_sub_u32_e32 v61, 29, v61
	v_and_b32_e32 v62, 7, v62
	v_cmp_gt_u32_e32 vcc, 8, v52
	v_cndmask_b32_e32 v52, v53, v61, vcc
	v_cndmask_b32_e32 v50, v50, v62, vcc
	v_lshlrev_b32_e32 v46, 24, v46
	v_lshlrev_b32_e32 v50, 20, v50
	v_and_b32_e32 v46, 0x80000000, v46
	v_lshl_add_u32 v52, v52, 23, v48
	v_or3_b32 v50, v46, v52, v50
.LBB665_325:                            ;   in Loop: Header=BB665_213 Depth=1
	s_or_b64 exec, exec, s[16:17]
.LBB665_326:                            ;   in Loop: Header=BB665_213 Depth=1
	s_or_b64 exec, exec, s[14:15]
.LBB665_327:                            ;   in Loop: Header=BB665_213 Depth=1
	s_or_b64 exec, exec, s[12:13]
	v_cmp_lt_u32_e32 vcc, s20, v44
	v_mov_b32_e32 v52, 0
	v_mov_b32_e32 v53, 0
	s_and_saveexec_b64 s[12:13], vcc
	s_cbranch_execz .LBB665_333
; %bb.328:                              ;   in Loop: Header=BB665_213 Depth=1
	v_lshrrev_b32_e32 v46, 24, v44
	v_cmp_ne_u32_e32 vcc, s9, v46
	v_bfrev_b32_e32 v53, 1
	s_and_saveexec_b64 s[14:15], vcc
	s_cbranch_execz .LBB665_332
; %bb.329:                              ;   in Loop: Header=BB665_213 Depth=1
	v_bfe_u32 v44, v44, 24, 7
	v_cmp_ne_u32_e32 vcc, s19, v44
	v_mov_b32_e32 v53, 0x7f800001
	s_and_saveexec_b64 s[16:17], vcc
	s_cbranch_execz .LBB665_331
; %bb.330:                              ;   in Loop: Header=BB665_213 Depth=1
	v_and_b32_e32 v53, 7, v46
	v_ffbh_u32_e32 v62, v53
	v_min_u32_e32 v64, 32, v62
	v_subrev_u32_e32 v62, 28, v64
	v_lshlrev_b64 v[62:63], v62, v[46:47]
	v_lshrrev_b32_e32 v61, 3, v44
	v_sub_u32_e32 v63, 29, v64
	v_and_b32_e32 v62, 7, v62
	v_cmp_gt_u32_e32 vcc, 8, v44
	v_cndmask_b32_e32 v44, v61, v63, vcc
	v_cndmask_b32_e32 v53, v53, v62, vcc
	v_lshlrev_b32_e32 v46, 24, v46
	v_lshlrev_b32_e32 v53, 20, v53
	v_and_b32_e32 v46, 0x80000000, v46
	v_lshl_add_u32 v44, v44, 23, v48
	v_or3_b32 v53, v46, v44, v53
.LBB665_331:                            ;   in Loop: Header=BB665_213 Depth=1
	s_or_b64 exec, exec, s[16:17]
.LBB665_332:                            ;   in Loop: Header=BB665_213 Depth=1
	s_or_b64 exec, exec, s[14:15]
.LBB665_333:                            ;   in Loop: Header=BB665_213 Depth=1
	s_or_b64 exec, exec, s[12:13]
	s_waitcnt vmcnt(2)
	v_cmp_ne_u16_sdwa s[14:15], v42, v47 src0_sel:BYTE_0 src1_sel:DWORD
	s_and_saveexec_b64 s[12:13], s[14:15]
	s_cbranch_execz .LBB665_339
; %bb.334:                              ;   in Loop: Header=BB665_213 Depth=1
	v_cmp_ne_u16_sdwa s[16:17], v42, s9 src0_sel:BYTE_0 src1_sel:DWORD
	v_bfrev_b32_e32 v52, 1
	s_and_saveexec_b64 s[14:15], s[16:17]
	s_cbranch_execz .LBB665_338
; %bb.335:                              ;   in Loop: Header=BB665_213 Depth=1
	v_and_b32_e32 v44, 0x7f, v42
	v_cmp_ne_u32_e32 vcc, s19, v44
	v_mov_b32_e32 v52, 0x7f800001
	s_and_saveexec_b64 s[16:17], vcc
	s_cbranch_execz .LBB665_337
; %bb.336:                              ;   in Loop: Header=BB665_213 Depth=1
	v_and_b32_e32 v46, 7, v42
	v_ffbh_u32_e32 v61, v46
	v_min_u32_e32 v61, 32, v61
	v_subrev_u32_e32 v62, 28, v61
	v_lshlrev_b64 v[62:63], v62, v[42:43]
	v_lshrrev_b32_e32 v52, 3, v44
	v_sub_u32_e32 v61, 29, v61
	v_and_b32_e32 v62, 7, v62
	v_cmp_gt_u32_e32 vcc, 8, v44
	v_cndmask_b32_e32 v44, v52, v61, vcc
	v_cndmask_b32_e32 v46, v46, v62, vcc
	v_lshlrev_b32_e32 v52, 24, v42
	v_lshlrev_b32_e32 v46, 20, v46
	v_and_b32_e32 v52, 0x80000000, v52
	v_lshl_add_u32 v44, v44, 23, v48
	v_or3_b32 v52, v52, v44, v46
.LBB665_337:                            ;   in Loop: Header=BB665_213 Depth=1
	s_or_b64 exec, exec, s[16:17]
.LBB665_338:                            ;   in Loop: Header=BB665_213 Depth=1
	s_or_b64 exec, exec, s[14:15]
.LBB665_339:                            ;   in Loop: Header=BB665_213 Depth=1
	s_or_b64 exec, exec, s[12:13]
	v_lshrrev_b16_e32 v44, 8, v42
	v_cmp_ne_u16_e32 vcc, 0, v44
	v_mov_b32_e32 v61, 0
	v_mov_b32_e32 v62, 0
	s_and_saveexec_b64 s[12:13], vcc
	s_cbranch_execz .LBB665_345
; %bb.340:                              ;   in Loop: Header=BB665_213 Depth=1
	v_cmp_ne_u16_e32 vcc, s9, v44
	v_bfrev_b32_e32 v62, 1
	s_and_saveexec_b64 s[14:15], vcc
	s_cbranch_execz .LBB665_344
; %bb.341:                              ;   in Loop: Header=BB665_213 Depth=1
	v_and_b32_e32 v46, 0x7f, v44
	v_cmp_ne_u32_e32 vcc, s19, v46
	v_mov_b32_e32 v62, 0x7f800001
	s_and_saveexec_b64 s[16:17], vcc
	s_cbranch_execz .LBB665_343
; %bb.342:                              ;   in Loop: Header=BB665_213 Depth=1
	v_and_b32_e32 v64, 7, v44
	v_ffbh_u32_e32 v62, v64
	v_min_u32_e32 v66, 32, v62
	v_subrev_u32_e32 v62, 28, v66
	v_lshlrev_b64 v[62:63], v62, v[44:45]
	v_lshrrev_b32_e32 v65, 3, v46
	v_sub_u32_e32 v44, 29, v66
	v_and_b32_e32 v62, 7, v62
	v_cmp_gt_u32_e32 vcc, 8, v46
	v_cndmask_b32_e32 v44, v65, v44, vcc
	v_cndmask_b32_e32 v46, v64, v62, vcc
	v_lshlrev_b32_e32 v62, 16, v42
	v_lshlrev_b32_e32 v46, 20, v46
	v_and_b32_e32 v62, 0x80000000, v62
	v_lshl_add_u32 v44, v44, 23, v48
	v_or3_b32 v62, v62, v44, v46
.LBB665_343:                            ;   in Loop: Header=BB665_213 Depth=1
	s_or_b64 exec, exec, s[16:17]
.LBB665_344:                            ;   in Loop: Header=BB665_213 Depth=1
	s_or_b64 exec, exec, s[14:15]
.LBB665_345:                            ;   in Loop: Header=BB665_213 Depth=1
	s_or_b64 exec, exec, s[12:13]
	v_lshrrev_b32_e32 v44, 16, v42
	v_cmp_ne_u16_sdwa s[14:15], v44, v47 src0_sel:BYTE_0 src1_sel:DWORD
	s_and_saveexec_b64 s[12:13], s[14:15]
	s_cbranch_execz .LBB665_351
; %bb.346:                              ;   in Loop: Header=BB665_213 Depth=1
	v_cmp_ne_u16_sdwa s[16:17], v44, s9 src0_sel:BYTE_0 src1_sel:DWORD
	v_bfrev_b32_e32 v61, 1
	s_and_saveexec_b64 s[14:15], s[16:17]
	s_cbranch_execz .LBB665_350
; %bb.347:                              ;   in Loop: Header=BB665_213 Depth=1
	v_bfe_u32 v46, v42, 16, 7
	v_cmp_ne_u32_e32 vcc, s19, v46
	v_mov_b32_e32 v61, 0x7f800001
	s_and_saveexec_b64 s[16:17], vcc
	s_cbranch_execz .LBB665_349
; %bb.348:                              ;   in Loop: Header=BB665_213 Depth=1
	v_and_b32_e32 v61, 7, v44
	v_ffbh_u32_e32 v64, v61
	v_min_u32_e32 v66, 32, v64
	v_subrev_u32_e32 v64, 28, v66
	v_lshlrev_b64 v[64:65], v64, v[44:45]
	v_lshrrev_b32_e32 v63, 3, v46
	v_sub_u32_e32 v65, 29, v66
	v_and_b32_e32 v64, 7, v64
	v_cmp_gt_u32_e32 vcc, 8, v46
	v_cndmask_b32_e32 v46, v63, v65, vcc
	v_cndmask_b32_e32 v61, v61, v64, vcc
	v_lshlrev_b32_e32 v44, 24, v44
	v_lshlrev_b32_e32 v61, 20, v61
	v_and_b32_e32 v44, 0x80000000, v44
	v_lshl_add_u32 v46, v46, 23, v48
	v_or3_b32 v61, v44, v46, v61
.LBB665_349:                            ;   in Loop: Header=BB665_213 Depth=1
	s_or_b64 exec, exec, s[16:17]
.LBB665_350:                            ;   in Loop: Header=BB665_213 Depth=1
	s_or_b64 exec, exec, s[14:15]
.LBB665_351:                            ;   in Loop: Header=BB665_213 Depth=1
	s_or_b64 exec, exec, s[12:13]
	v_cmp_lt_u32_e32 vcc, s20, v42
	v_mov_b32_e32 v46, 0
	v_mov_b32_e32 v63, 0
	s_and_saveexec_b64 s[12:13], vcc
	s_cbranch_execz .LBB665_357
; %bb.352:                              ;   in Loop: Header=BB665_213 Depth=1
	v_lshrrev_b32_e32 v44, 24, v42
	v_cmp_ne_u32_e32 vcc, s9, v44
	v_bfrev_b32_e32 v63, 1
	s_and_saveexec_b64 s[14:15], vcc
	s_cbranch_execz .LBB665_356
; %bb.353:                              ;   in Loop: Header=BB665_213 Depth=1
	v_bfe_u32 v42, v42, 24, 7
	v_cmp_ne_u32_e32 vcc, s19, v42
	v_mov_b32_e32 v63, 0x7f800001
	s_and_saveexec_b64 s[16:17], vcc
	s_cbranch_execz .LBB665_355
; %bb.354:                              ;   in Loop: Header=BB665_213 Depth=1
	v_and_b32_e32 v63, 7, v44
	v_ffbh_u32_e32 v64, v63
	v_min_u32_e32 v67, 32, v64
	v_subrev_u32_e32 v64, 28, v67
	v_lshlrev_b64 v[64:65], v64, v[44:45]
	v_lshrrev_b32_e32 v66, 3, v42
	v_sub_u32_e32 v65, 29, v67
	v_and_b32_e32 v64, 7, v64
	v_cmp_gt_u32_e32 vcc, 8, v42
	v_cndmask_b32_e32 v42, v66, v65, vcc
	v_cndmask_b32_e32 v63, v63, v64, vcc
	v_lshlrev_b32_e32 v44, 24, v44
	v_lshlrev_b32_e32 v63, 20, v63
	v_and_b32_e32 v44, 0x80000000, v44
	v_lshl_add_u32 v42, v42, 23, v48
	v_or3_b32 v63, v44, v42, v63
.LBB665_355:                            ;   in Loop: Header=BB665_213 Depth=1
	s_or_b64 exec, exec, s[16:17]
.LBB665_356:                            ;   in Loop: Header=BB665_213 Depth=1
	s_or_b64 exec, exec, s[14:15]
.LBB665_357:                            ;   in Loop: Header=BB665_213 Depth=1
	s_or_b64 exec, exec, s[12:13]
	v_cvt_pkrtz_f16_f32 v64, v49, v51
	v_cvt_pkrtz_f16_f32 v65, v50, v53
	;; [unrolled: 1-line block ×4, first 2 shown]
	s_waitcnt vmcnt(1)
	v_cmp_ne_u16_sdwa s[14:15], v40, v47 src0_sel:BYTE_0 src1_sel:DWORD
	v_mfma_f32_16x16x16f16 v[34:37], v[64:65], v[10:11], v[34:37]
	v_mfma_f32_16x16x16f16 v[34:37], v[50:51], v[12:13], v[34:37]
	s_and_saveexec_b64 s[12:13], s[14:15]
	s_cbranch_execz .LBB665_363
; %bb.358:                              ;   in Loop: Header=BB665_213 Depth=1
	v_cmp_ne_u16_sdwa s[16:17], v40, s9 src0_sel:BYTE_0 src1_sel:DWORD
	v_bfrev_b32_e32 v46, 1
	s_and_saveexec_b64 s[14:15], s[16:17]
	s_cbranch_execz .LBB665_362
; %bb.359:                              ;   in Loop: Header=BB665_213 Depth=1
	v_and_b32_e32 v42, 0x7f, v40
	v_cmp_ne_u32_e32 vcc, s19, v42
	v_mov_b32_e32 v46, 0x7f800001
	s_and_saveexec_b64 s[16:17], vcc
	s_cbranch_execz .LBB665_361
; %bb.360:                              ;   in Loop: Header=BB665_213 Depth=1
	v_and_b32_e32 v44, 7, v40
	v_ffbh_u32_e32 v49, v44
	v_min_u32_e32 v49, 32, v49
	v_subrev_u32_e32 v50, 28, v49
	v_lshlrev_b64 v[50:51], v50, v[40:41]
	v_lshrrev_b32_e32 v46, 3, v42
	v_sub_u32_e32 v49, 29, v49
	v_and_b32_e32 v50, 7, v50
	v_cmp_gt_u32_e32 vcc, 8, v42
	v_cndmask_b32_e32 v42, v46, v49, vcc
	v_cndmask_b32_e32 v44, v44, v50, vcc
	v_lshlrev_b32_e32 v46, 24, v40
	v_lshlrev_b32_e32 v44, 20, v44
	v_and_b32_e32 v46, 0x80000000, v46
	v_lshl_add_u32 v42, v42, 23, v48
	v_or3_b32 v46, v46, v42, v44
.LBB665_361:                            ;   in Loop: Header=BB665_213 Depth=1
	s_or_b64 exec, exec, s[16:17]
.LBB665_362:                            ;   in Loop: Header=BB665_213 Depth=1
	s_or_b64 exec, exec, s[14:15]
.LBB665_363:                            ;   in Loop: Header=BB665_213 Depth=1
	s_or_b64 exec, exec, s[12:13]
	v_lshrrev_b16_e32 v42, 8, v40
	v_cmp_ne_u16_e32 vcc, 0, v42
	v_mov_b32_e32 v44, 0
	v_mov_b32_e32 v50, 0
	s_and_saveexec_b64 s[12:13], vcc
	s_cbranch_execz .LBB665_369
; %bb.364:                              ;   in Loop: Header=BB665_213 Depth=1
	v_cmp_ne_u16_e32 vcc, s9, v42
	v_bfrev_b32_e32 v50, 1
	s_and_saveexec_b64 s[14:15], vcc
	s_cbranch_execz .LBB665_368
; %bb.365:                              ;   in Loop: Header=BB665_213 Depth=1
	v_and_b32_e32 v49, 0x7f, v42
	v_cmp_ne_u32_e32 vcc, s19, v49
	v_mov_b32_e32 v50, 0x7f800001
	s_and_saveexec_b64 s[16:17], vcc
	s_cbranch_execz .LBB665_367
; %bb.366:                              ;   in Loop: Header=BB665_213 Depth=1
	v_and_b32_e32 v52, 7, v42
	v_ffbh_u32_e32 v50, v52
	v_min_u32_e32 v61, 32, v50
	v_subrev_u32_e32 v50, 28, v61
	v_lshlrev_b64 v[50:51], v50, v[42:43]
	v_lshrrev_b32_e32 v53, 3, v49
	v_sub_u32_e32 v42, 29, v61
	v_and_b32_e32 v50, 7, v50
	v_cmp_gt_u32_e32 vcc, 8, v49
	v_cndmask_b32_e32 v42, v53, v42, vcc
	v_cndmask_b32_e32 v49, v52, v50, vcc
	v_lshlrev_b32_e32 v50, 16, v40
	v_lshlrev_b32_e32 v49, 20, v49
	v_and_b32_e32 v50, 0x80000000, v50
	v_lshl_add_u32 v42, v42, 23, v48
	v_or3_b32 v50, v50, v42, v49
.LBB665_367:                            ;   in Loop: Header=BB665_213 Depth=1
	s_or_b64 exec, exec, s[16:17]
.LBB665_368:                            ;   in Loop: Header=BB665_213 Depth=1
	s_or_b64 exec, exec, s[14:15]
.LBB665_369:                            ;   in Loop: Header=BB665_213 Depth=1
	s_or_b64 exec, exec, s[12:13]
	v_lshrrev_b32_e32 v42, 16, v40
	v_cmp_ne_u16_sdwa s[14:15], v42, v47 src0_sel:BYTE_0 src1_sel:DWORD
	s_and_saveexec_b64 s[12:13], s[14:15]
	s_cbranch_execz .LBB665_375
; %bb.370:                              ;   in Loop: Header=BB665_213 Depth=1
	v_cmp_ne_u16_sdwa s[16:17], v42, s9 src0_sel:BYTE_0 src1_sel:DWORD
	v_bfrev_b32_e32 v44, 1
	s_and_saveexec_b64 s[14:15], s[16:17]
	s_cbranch_execz .LBB665_374
; %bb.371:                              ;   in Loop: Header=BB665_213 Depth=1
	v_bfe_u32 v49, v40, 16, 7
	v_cmp_ne_u32_e32 vcc, s19, v49
	v_mov_b32_e32 v44, 0x7f800001
	s_and_saveexec_b64 s[16:17], vcc
	s_cbranch_execz .LBB665_373
; %bb.372:                              ;   in Loop: Header=BB665_213 Depth=1
	v_and_b32_e32 v44, 7, v42
	v_ffbh_u32_e32 v52, v44
	v_min_u32_e32 v61, 32, v52
	v_subrev_u32_e32 v52, 28, v61
	v_lshlrev_b64 v[52:53], v52, v[42:43]
	v_lshrrev_b32_e32 v51, 3, v49
	v_sub_u32_e32 v53, 29, v61
	v_and_b32_e32 v52, 7, v52
	v_cmp_gt_u32_e32 vcc, 8, v49
	v_cndmask_b32_e32 v49, v51, v53, vcc
	v_cndmask_b32_e32 v44, v44, v52, vcc
	v_lshlrev_b32_e32 v42, 24, v42
	v_lshlrev_b32_e32 v44, 20, v44
	v_and_b32_e32 v42, 0x80000000, v42
	v_lshl_add_u32 v49, v49, 23, v48
	v_or3_b32 v44, v42, v49, v44
.LBB665_373:                            ;   in Loop: Header=BB665_213 Depth=1
	s_or_b64 exec, exec, s[16:17]
.LBB665_374:                            ;   in Loop: Header=BB665_213 Depth=1
	s_or_b64 exec, exec, s[14:15]
.LBB665_375:                            ;   in Loop: Header=BB665_213 Depth=1
	s_or_b64 exec, exec, s[12:13]
	v_cmp_lt_u32_e32 vcc, s20, v40
	v_mov_b32_e32 v51, 0
	v_mov_b32_e32 v52, 0
	s_and_saveexec_b64 s[12:13], vcc
	s_cbranch_execz .LBB665_381
; %bb.376:                              ;   in Loop: Header=BB665_213 Depth=1
	v_lshrrev_b32_e32 v42, 24, v40
	v_cmp_ne_u32_e32 vcc, s9, v42
	v_bfrev_b32_e32 v52, 1
	s_and_saveexec_b64 s[14:15], vcc
	s_cbranch_execz .LBB665_380
; %bb.377:                              ;   in Loop: Header=BB665_213 Depth=1
	v_bfe_u32 v40, v40, 24, 7
	v_cmp_ne_u32_e32 vcc, s19, v40
	v_mov_b32_e32 v52, 0x7f800001
	s_and_saveexec_b64 s[16:17], vcc
	s_cbranch_execz .LBB665_379
; %bb.378:                              ;   in Loop: Header=BB665_213 Depth=1
	v_and_b32_e32 v49, 7, v42
	v_ffbh_u32_e32 v52, v49
	v_min_u32_e32 v62, 32, v52
	v_subrev_u32_e32 v52, 28, v62
	v_lshlrev_b64 v[52:53], v52, v[42:43]
	v_lshrrev_b32_e32 v61, 3, v40
	v_sub_u32_e32 v53, 29, v62
	v_and_b32_e32 v52, 7, v52
	v_cmp_gt_u32_e32 vcc, 8, v40
	v_cndmask_b32_e32 v40, v61, v53, vcc
	v_cndmask_b32_e32 v49, v49, v52, vcc
	v_lshlrev_b32_e32 v42, 24, v42
	v_lshlrev_b32_e32 v49, 20, v49
	v_and_b32_e32 v42, 0x80000000, v42
	v_lshl_add_u32 v40, v40, 23, v48
	v_or3_b32 v52, v42, v40, v49
.LBB665_379:                            ;   in Loop: Header=BB665_213 Depth=1
	s_or_b64 exec, exec, s[16:17]
.LBB665_380:                            ;   in Loop: Header=BB665_213 Depth=1
	s_or_b64 exec, exec, s[14:15]
.LBB665_381:                            ;   in Loop: Header=BB665_213 Depth=1
	s_or_b64 exec, exec, s[12:13]
	s_waitcnt vmcnt(0)
	v_cmp_ne_u16_sdwa s[14:15], v38, v47 src0_sel:BYTE_0 src1_sel:DWORD
	s_and_saveexec_b64 s[12:13], s[14:15]
	s_cbranch_execz .LBB665_387
; %bb.382:                              ;   in Loop: Header=BB665_213 Depth=1
	v_cmp_ne_u16_sdwa s[16:17], v38, s9 src0_sel:BYTE_0 src1_sel:DWORD
	v_bfrev_b32_e32 v51, 1
	s_and_saveexec_b64 s[14:15], s[16:17]
	s_cbranch_execz .LBB665_386
; %bb.383:                              ;   in Loop: Header=BB665_213 Depth=1
	v_and_b32_e32 v40, 0x7f, v38
	v_cmp_ne_u32_e32 vcc, s19, v40
	v_mov_b32_e32 v51, 0x7f800001
	s_and_saveexec_b64 s[16:17], vcc
	s_cbranch_execz .LBB665_385
; %bb.384:                              ;   in Loop: Header=BB665_213 Depth=1
	v_and_b32_e32 v42, 7, v38
	v_ffbh_u32_e32 v51, v42
	v_min_u32_e32 v51, 32, v51
	v_subrev_u32_e32 v53, 28, v51
	v_lshlrev_b64 v[62:63], v53, v[38:39]
	v_lshrrev_b32_e32 v49, 3, v40
	v_sub_u32_e32 v51, 29, v51
	v_and_b32_e32 v53, 7, v62
	v_cmp_gt_u32_e32 vcc, 8, v40
	v_cndmask_b32_e32 v40, v49, v51, vcc
	v_cndmask_b32_e32 v42, v42, v53, vcc
	v_lshlrev_b32_e32 v49, 24, v38
	v_lshlrev_b32_e32 v42, 20, v42
	v_and_b32_e32 v49, 0x80000000, v49
	v_lshl_add_u32 v40, v40, 23, v48
	v_or3_b32 v51, v49, v40, v42
.LBB665_385:                            ;   in Loop: Header=BB665_213 Depth=1
	s_or_b64 exec, exec, s[16:17]
.LBB665_386:                            ;   in Loop: Header=BB665_213 Depth=1
	s_or_b64 exec, exec, s[14:15]
.LBB665_387:                            ;   in Loop: Header=BB665_213 Depth=1
	s_or_b64 exec, exec, s[12:13]
	v_lshrrev_b16_e32 v40, 8, v38
	v_cmp_ne_u16_e32 vcc, 0, v40
	v_mov_b32_e32 v53, 0
	v_mov_b32_e32 v61, 0
	s_and_saveexec_b64 s[12:13], vcc
	s_cbranch_execz .LBB665_393
; %bb.388:                              ;   in Loop: Header=BB665_213 Depth=1
	v_cmp_ne_u16_e32 vcc, s9, v40
	v_bfrev_b32_e32 v61, 1
	s_and_saveexec_b64 s[14:15], vcc
	s_cbranch_execz .LBB665_392
; %bb.389:                              ;   in Loop: Header=BB665_213 Depth=1
	v_and_b32_e32 v42, 0x7f, v40
	v_cmp_ne_u32_e32 vcc, s19, v42
	v_mov_b32_e32 v61, 0x7f800001
	s_and_saveexec_b64 s[16:17], vcc
	s_cbranch_execz .LBB665_391
; %bb.390:                              ;   in Loop: Header=BB665_213 Depth=1
	v_and_b32_e32 v49, 7, v40
	v_ffbh_u32_e32 v62, v49
	v_min_u32_e32 v64, 32, v62
	v_subrev_u32_e32 v62, 28, v64
	v_lshlrev_b64 v[62:63], v62, v[40:41]
	v_lshrrev_b32_e32 v61, 3, v42
	v_sub_u32_e32 v40, 29, v64
	v_and_b32_e32 v62, 7, v62
	v_cmp_gt_u32_e32 vcc, 8, v42
	v_cndmask_b32_e32 v40, v61, v40, vcc
	v_cndmask_b32_e32 v42, v49, v62, vcc
	v_lshlrev_b32_e32 v49, 16, v38
	v_lshlrev_b32_e32 v42, 20, v42
	v_and_b32_e32 v49, 0x80000000, v49
	v_lshl_add_u32 v40, v40, 23, v48
	v_or3_b32 v61, v49, v40, v42
.LBB665_391:                            ;   in Loop: Header=BB665_213 Depth=1
	s_or_b64 exec, exec, s[16:17]
.LBB665_392:                            ;   in Loop: Header=BB665_213 Depth=1
	s_or_b64 exec, exec, s[14:15]
.LBB665_393:                            ;   in Loop: Header=BB665_213 Depth=1
	s_or_b64 exec, exec, s[12:13]
	v_lshrrev_b32_e32 v40, 16, v38
	v_cmp_ne_u16_sdwa s[14:15], v40, v47 src0_sel:BYTE_0 src1_sel:DWORD
	s_and_saveexec_b64 s[12:13], s[14:15]
	s_cbranch_execz .LBB665_399
; %bb.394:                              ;   in Loop: Header=BB665_213 Depth=1
	v_cmp_ne_u16_sdwa s[16:17], v40, s9 src0_sel:BYTE_0 src1_sel:DWORD
	v_bfrev_b32_e32 v53, 1
	s_and_saveexec_b64 s[14:15], s[16:17]
	s_cbranch_execz .LBB665_398
; %bb.395:                              ;   in Loop: Header=BB665_213 Depth=1
	v_bfe_u32 v42, v38, 16, 7
	v_cmp_ne_u32_e32 vcc, s19, v42
	v_mov_b32_e32 v53, 0x7f800001
	s_and_saveexec_b64 s[16:17], vcc
	s_cbranch_execz .LBB665_397
; %bb.396:                              ;   in Loop: Header=BB665_213 Depth=1
	v_and_b32_e32 v49, 7, v40
	v_ffbh_u32_e32 v62, v49
	v_min_u32_e32 v64, 32, v62
	v_subrev_u32_e32 v62, 28, v64
	v_lshlrev_b64 v[62:63], v62, v[40:41]
	v_lshrrev_b32_e32 v53, 3, v42
	v_sub_u32_e32 v63, 29, v64
	v_and_b32_e32 v62, 7, v62
	v_cmp_gt_u32_e32 vcc, 8, v42
	v_cndmask_b32_e32 v42, v53, v63, vcc
	v_cndmask_b32_e32 v49, v49, v62, vcc
	v_lshlrev_b32_e32 v40, 24, v40
	v_lshlrev_b32_e32 v49, 20, v49
	v_and_b32_e32 v40, 0x80000000, v40
	v_lshl_add_u32 v42, v42, 23, v48
	v_or3_b32 v53, v40, v42, v49
.LBB665_397:                            ;   in Loop: Header=BB665_213 Depth=1
	s_or_b64 exec, exec, s[16:17]
.LBB665_398:                            ;   in Loop: Header=BB665_213 Depth=1
	s_or_b64 exec, exec, s[14:15]
.LBB665_399:                            ;   in Loop: Header=BB665_213 Depth=1
	s_or_b64 exec, exec, s[12:13]
	v_cmp_lt_u32_e32 vcc, s20, v38
	v_mov_b32_e32 v49, 0
	v_mov_b32_e32 v62, 0
	s_and_saveexec_b64 s[12:13], vcc
	s_cbranch_execz .LBB665_405
; %bb.400:                              ;   in Loop: Header=BB665_213 Depth=1
	v_lshrrev_b32_e32 v40, 24, v38
	v_cmp_ne_u32_e32 vcc, s9, v40
	v_bfrev_b32_e32 v62, 1
	s_and_saveexec_b64 s[14:15], vcc
	s_cbranch_execz .LBB665_404
; %bb.401:                              ;   in Loop: Header=BB665_213 Depth=1
	v_bfe_u32 v38, v38, 24, 7
	v_cmp_ne_u32_e32 vcc, s19, v38
	v_mov_b32_e32 v62, 0x7f800001
	s_and_saveexec_b64 s[16:17], vcc
	s_cbranch_execz .LBB665_403
; %bb.402:                              ;   in Loop: Header=BB665_213 Depth=1
	v_and_b32_e32 v42, 7, v40
	v_ffbh_u32_e32 v62, v42
	v_min_u32_e32 v65, 32, v62
	v_subrev_u32_e32 v62, 28, v65
	v_lshlrev_b64 v[62:63], v62, v[40:41]
	v_lshrrev_b32_e32 v64, 3, v38
	v_sub_u32_e32 v63, 29, v65
	v_and_b32_e32 v62, 7, v62
	v_cmp_gt_u32_e32 vcc, 8, v38
	v_cndmask_b32_e32 v38, v64, v63, vcc
	v_cndmask_b32_e32 v42, v42, v62, vcc
	v_lshlrev_b32_e32 v40, 24, v40
	v_lshlrev_b32_e32 v42, 20, v42
	v_and_b32_e32 v40, 0x80000000, v40
	v_lshl_add_u32 v38, v38, 23, v48
	v_or3_b32 v62, v40, v38, v42
.LBB665_403:                            ;   in Loop: Header=BB665_213 Depth=1
	s_or_b64 exec, exec, s[16:17]
.LBB665_404:                            ;   in Loop: Header=BB665_213 Depth=1
	s_or_b64 exec, exec, s[14:15]
.LBB665_405:                            ;   in Loop: Header=BB665_213 Depth=1
	s_or_b64 exec, exec, s[12:13]
	v_cvt_pkrtz_f16_f32 v65, v44, v52
	buffer_load_dword v44, v60, s[0:3], 0 offen
	buffer_load_dword v42, v60, s[0:3], 0 offen offset:4
	buffer_load_dword v40, v60, s[0:3], 0 offen offset:8
	;; [unrolled: 1-line block ×3, first 2 shown]
	v_cvt_pkrtz_f16_f32 v64, v46, v50
	v_cvt_pkrtz_f16_f32 v50, v51, v61
	;; [unrolled: 1-line block ×3, first 2 shown]
	v_mfma_f32_16x16x16f16 v[34:37], v[64:65], v[14:15], v[34:37]
	s_waitcnt vmcnt(3)
	v_cmp_ne_u16_sdwa s[14:15], v44, v47 src0_sel:BYTE_0 src1_sel:DWORD
	v_mfma_f32_16x16x16f16 v[34:37], v[50:51], v[16:17], v[34:37]
	s_and_saveexec_b64 s[12:13], s[14:15]
	s_cbranch_execz .LBB665_411
; %bb.406:                              ;   in Loop: Header=BB665_213 Depth=1
	v_cmp_ne_u16_sdwa s[16:17], v44, s9 src0_sel:BYTE_0 src1_sel:DWORD
	v_bfrev_b32_e32 v49, 1
	s_and_saveexec_b64 s[14:15], s[16:17]
	s_cbranch_execz .LBB665_410
; %bb.407:                              ;   in Loop: Header=BB665_213 Depth=1
	v_and_b32_e32 v46, 0x7f, v44
	v_cmp_ne_u32_e32 vcc, s19, v46
	v_mov_b32_e32 v49, 0x7f800001
	s_and_saveexec_b64 s[16:17], vcc
	s_cbranch_execz .LBB665_409
; %bb.408:                              ;   in Loop: Header=BB665_213 Depth=1
	v_and_b32_e32 v49, 7, v44
	v_ffbh_u32_e32 v50, v49
	v_min_u32_e32 v53, 32, v50
	v_subrev_u32_e32 v50, 28, v53
	v_lshlrev_b64 v[50:51], v50, v[44:45]
	v_lshrrev_b32_e32 v52, 3, v46
	v_sub_u32_e32 v51, 29, v53
	v_and_b32_e32 v50, 7, v50
	v_cmp_gt_u32_e32 vcc, 8, v46
	v_cndmask_b32_e32 v46, v52, v51, vcc
	v_cndmask_b32_e32 v49, v49, v50, vcc
	v_lshlrev_b32_e32 v50, 24, v44
	v_lshlrev_b32_e32 v49, 20, v49
	v_and_b32_e32 v50, 0x80000000, v50
	v_lshl_add_u32 v46, v46, 23, v48
	v_or3_b32 v49, v50, v46, v49
.LBB665_409:                            ;   in Loop: Header=BB665_213 Depth=1
	s_or_b64 exec, exec, s[16:17]
.LBB665_410:                            ;   in Loop: Header=BB665_213 Depth=1
	s_or_b64 exec, exec, s[14:15]
.LBB665_411:                            ;   in Loop: Header=BB665_213 Depth=1
	s_or_b64 exec, exec, s[12:13]
	v_lshrrev_b16_e32 v46, 8, v44
	v_cmp_ne_u16_e32 vcc, 0, v46
	v_mov_b32_e32 v50, 0
	v_mov_b32_e32 v51, 0
	s_and_saveexec_b64 s[12:13], vcc
	s_cbranch_execz .LBB665_417
; %bb.412:                              ;   in Loop: Header=BB665_213 Depth=1
	v_cmp_ne_u16_e32 vcc, s9, v46
	v_bfrev_b32_e32 v51, 1
	s_and_saveexec_b64 s[14:15], vcc
	s_cbranch_execz .LBB665_416
; %bb.413:                              ;   in Loop: Header=BB665_213 Depth=1
	v_and_b32_e32 v52, 0x7f, v46
	v_cmp_ne_u32_e32 vcc, s19, v52
	v_mov_b32_e32 v51, 0x7f800001
	s_and_saveexec_b64 s[16:17], vcc
	s_cbranch_execz .LBB665_415
; %bb.414:                              ;   in Loop: Header=BB665_213 Depth=1
	v_and_b32_e32 v51, 7, v46
	v_ffbh_u32_e32 v60, v51
	v_min_u32_e32 v62, 32, v60
	v_subrev_u32_e32 v60, 28, v62
	v_lshlrev_b64 v[60:61], v60, v[46:47]
	v_lshrrev_b32_e32 v53, 3, v52
	v_sub_u32_e32 v46, 29, v62
	v_and_b32_e32 v60, 7, v60
	v_cmp_gt_u32_e32 vcc, 8, v52
	v_cndmask_b32_e32 v46, v53, v46, vcc
	v_cndmask_b32_e32 v51, v51, v60, vcc
	v_lshlrev_b32_e32 v52, 16, v44
	v_lshlrev_b32_e32 v51, 20, v51
	v_and_b32_e32 v52, 0x80000000, v52
	v_lshl_add_u32 v46, v46, 23, v48
	v_or3_b32 v51, v52, v46, v51
.LBB665_415:                            ;   in Loop: Header=BB665_213 Depth=1
	s_or_b64 exec, exec, s[16:17]
.LBB665_416:                            ;   in Loop: Header=BB665_213 Depth=1
	s_or_b64 exec, exec, s[14:15]
.LBB665_417:                            ;   in Loop: Header=BB665_213 Depth=1
	s_or_b64 exec, exec, s[12:13]
	v_lshrrev_b32_e32 v46, 16, v44
	v_cmp_ne_u16_sdwa s[14:15], v46, v47 src0_sel:BYTE_0 src1_sel:DWORD
	s_and_saveexec_b64 s[12:13], s[14:15]
	s_cbranch_execz .LBB665_423
; %bb.418:                              ;   in Loop: Header=BB665_213 Depth=1
	v_cmp_ne_u16_sdwa s[16:17], v46, s9 src0_sel:BYTE_0 src1_sel:DWORD
	v_bfrev_b32_e32 v50, 1
	s_and_saveexec_b64 s[14:15], s[16:17]
	s_cbranch_execz .LBB665_422
; %bb.419:                              ;   in Loop: Header=BB665_213 Depth=1
	v_bfe_u32 v52, v44, 16, 7
	v_cmp_ne_u32_e32 vcc, s19, v52
	v_mov_b32_e32 v50, 0x7f800001
	s_and_saveexec_b64 s[16:17], vcc
	s_cbranch_execz .LBB665_421
; %bb.420:                              ;   in Loop: Header=BB665_213 Depth=1
	v_and_b32_e32 v50, 7, v46
	v_ffbh_u32_e32 v60, v50
	v_min_u32_e32 v62, 32, v60
	v_subrev_u32_e32 v60, 28, v62
	v_lshlrev_b64 v[60:61], v60, v[46:47]
	v_lshrrev_b32_e32 v53, 3, v52
	v_sub_u32_e32 v61, 29, v62
	v_and_b32_e32 v60, 7, v60
	v_cmp_gt_u32_e32 vcc, 8, v52
	v_cndmask_b32_e32 v52, v53, v61, vcc
	v_cndmask_b32_e32 v50, v50, v60, vcc
	v_lshlrev_b32_e32 v46, 24, v46
	v_lshlrev_b32_e32 v50, 20, v50
	v_and_b32_e32 v46, 0x80000000, v46
	v_lshl_add_u32 v52, v52, 23, v48
	v_or3_b32 v50, v46, v52, v50
.LBB665_421:                            ;   in Loop: Header=BB665_213 Depth=1
	s_or_b64 exec, exec, s[16:17]
.LBB665_422:                            ;   in Loop: Header=BB665_213 Depth=1
	s_or_b64 exec, exec, s[14:15]
.LBB665_423:                            ;   in Loop: Header=BB665_213 Depth=1
	s_or_b64 exec, exec, s[12:13]
	v_cmp_lt_u32_e32 vcc, s20, v44
	v_mov_b32_e32 v52, 0
	v_mov_b32_e32 v53, 0
	s_and_saveexec_b64 s[12:13], vcc
	s_cbranch_execz .LBB665_429
; %bb.424:                              ;   in Loop: Header=BB665_213 Depth=1
	v_lshrrev_b32_e32 v46, 24, v44
	v_cmp_ne_u32_e32 vcc, s9, v46
	v_bfrev_b32_e32 v53, 1
	s_and_saveexec_b64 s[14:15], vcc
	s_cbranch_execz .LBB665_428
; %bb.425:                              ;   in Loop: Header=BB665_213 Depth=1
	v_bfe_u32 v44, v44, 24, 7
	v_cmp_ne_u32_e32 vcc, s19, v44
	v_mov_b32_e32 v53, 0x7f800001
	s_and_saveexec_b64 s[16:17], vcc
	s_cbranch_execz .LBB665_427
; %bb.426:                              ;   in Loop: Header=BB665_213 Depth=1
	v_and_b32_e32 v53, 7, v46
	v_ffbh_u32_e32 v60, v53
	v_min_u32_e32 v63, 32, v60
	v_subrev_u32_e32 v60, 28, v63
	v_lshlrev_b64 v[60:61], v60, v[46:47]
	v_lshrrev_b32_e32 v62, 3, v44
	v_sub_u32_e32 v61, 29, v63
	v_and_b32_e32 v60, 7, v60
	v_cmp_gt_u32_e32 vcc, 8, v44
	v_cndmask_b32_e32 v44, v62, v61, vcc
	v_cndmask_b32_e32 v53, v53, v60, vcc
	v_lshlrev_b32_e32 v46, 24, v46
	v_lshlrev_b32_e32 v53, 20, v53
	v_and_b32_e32 v46, 0x80000000, v46
	v_lshl_add_u32 v44, v44, 23, v48
	v_or3_b32 v53, v46, v44, v53
.LBB665_427:                            ;   in Loop: Header=BB665_213 Depth=1
	s_or_b64 exec, exec, s[16:17]
.LBB665_428:                            ;   in Loop: Header=BB665_213 Depth=1
	s_or_b64 exec, exec, s[14:15]
.LBB665_429:                            ;   in Loop: Header=BB665_213 Depth=1
	s_or_b64 exec, exec, s[12:13]
	s_waitcnt vmcnt(2)
	v_cmp_ne_u16_sdwa s[14:15], v42, v47 src0_sel:BYTE_0 src1_sel:DWORD
	s_and_saveexec_b64 s[12:13], s[14:15]
	s_cbranch_execz .LBB665_435
; %bb.430:                              ;   in Loop: Header=BB665_213 Depth=1
	v_cmp_ne_u16_sdwa s[16:17], v42, s9 src0_sel:BYTE_0 src1_sel:DWORD
	v_bfrev_b32_e32 v52, 1
	s_and_saveexec_b64 s[14:15], s[16:17]
	s_cbranch_execz .LBB665_434
; %bb.431:                              ;   in Loop: Header=BB665_213 Depth=1
	v_and_b32_e32 v44, 0x7f, v42
	v_cmp_ne_u32_e32 vcc, s19, v44
	v_mov_b32_e32 v52, 0x7f800001
	s_and_saveexec_b64 s[16:17], vcc
	s_cbranch_execz .LBB665_433
; %bb.432:                              ;   in Loop: Header=BB665_213 Depth=1
	v_and_b32_e32 v46, 7, v42
	v_ffbh_u32_e32 v60, v46
	v_min_u32_e32 v62, 32, v60
	v_subrev_u32_e32 v60, 28, v62
	v_lshlrev_b64 v[60:61], v60, v[42:43]
	v_lshrrev_b32_e32 v52, 3, v44
	v_sub_u32_e32 v61, 29, v62
	v_and_b32_e32 v60, 7, v60
	v_cmp_gt_u32_e32 vcc, 8, v44
	v_cndmask_b32_e32 v44, v52, v61, vcc
	v_cndmask_b32_e32 v46, v46, v60, vcc
	v_lshlrev_b32_e32 v52, 24, v42
	v_lshlrev_b32_e32 v46, 20, v46
	v_and_b32_e32 v52, 0x80000000, v52
	v_lshl_add_u32 v44, v44, 23, v48
	v_or3_b32 v52, v52, v44, v46
.LBB665_433:                            ;   in Loop: Header=BB665_213 Depth=1
	s_or_b64 exec, exec, s[16:17]
.LBB665_434:                            ;   in Loop: Header=BB665_213 Depth=1
	s_or_b64 exec, exec, s[14:15]
.LBB665_435:                            ;   in Loop: Header=BB665_213 Depth=1
	s_or_b64 exec, exec, s[12:13]
	v_lshrrev_b16_e32 v44, 8, v42
	v_cmp_ne_u16_e32 vcc, 0, v44
	v_mov_b32_e32 v60, 0
	v_mov_b32_e32 v61, 0
	s_and_saveexec_b64 s[12:13], vcc
	s_cbranch_execz .LBB665_441
; %bb.436:                              ;   in Loop: Header=BB665_213 Depth=1
	v_cmp_ne_u16_e32 vcc, s9, v44
	v_bfrev_b32_e32 v61, 1
	s_and_saveexec_b64 s[14:15], vcc
	s_cbranch_execz .LBB665_440
; %bb.437:                              ;   in Loop: Header=BB665_213 Depth=1
	v_and_b32_e32 v46, 0x7f, v44
	v_cmp_ne_u32_e32 vcc, s19, v46
	v_mov_b32_e32 v61, 0x7f800001
	s_and_saveexec_b64 s[16:17], vcc
	s_cbranch_execz .LBB665_439
; %bb.438:                              ;   in Loop: Header=BB665_213 Depth=1
	v_and_b32_e32 v61, 7, v44
	v_ffbh_u32_e32 v62, v61
	v_min_u32_e32 v65, 32, v62
	v_subrev_u32_e32 v62, 28, v65
	v_lshlrev_b64 v[62:63], v62, v[44:45]
	v_lshrrev_b32_e32 v64, 3, v46
	v_sub_u32_e32 v44, 29, v65
	v_and_b32_e32 v62, 7, v62
	v_cmp_gt_u32_e32 vcc, 8, v46
	v_cndmask_b32_e32 v44, v64, v44, vcc
	v_cndmask_b32_e32 v46, v61, v62, vcc
	v_lshlrev_b32_e32 v61, 16, v42
	v_lshlrev_b32_e32 v46, 20, v46
	v_and_b32_e32 v61, 0x80000000, v61
	v_lshl_add_u32 v44, v44, 23, v48
	v_or3_b32 v61, v61, v44, v46
.LBB665_439:                            ;   in Loop: Header=BB665_213 Depth=1
	s_or_b64 exec, exec, s[16:17]
.LBB665_440:                            ;   in Loop: Header=BB665_213 Depth=1
	s_or_b64 exec, exec, s[14:15]
.LBB665_441:                            ;   in Loop: Header=BB665_213 Depth=1
	s_or_b64 exec, exec, s[12:13]
	v_lshrrev_b32_e32 v44, 16, v42
	v_cmp_ne_u16_sdwa s[14:15], v44, v47 src0_sel:BYTE_0 src1_sel:DWORD
	s_and_saveexec_b64 s[12:13], s[14:15]
	s_cbranch_execz .LBB665_447
; %bb.442:                              ;   in Loop: Header=BB665_213 Depth=1
	v_cmp_ne_u16_sdwa s[16:17], v44, s9 src0_sel:BYTE_0 src1_sel:DWORD
	v_bfrev_b32_e32 v60, 1
	s_and_saveexec_b64 s[14:15], s[16:17]
	s_cbranch_execz .LBB665_446
; %bb.443:                              ;   in Loop: Header=BB665_213 Depth=1
	v_bfe_u32 v46, v42, 16, 7
	v_cmp_ne_u32_e32 vcc, s19, v46
	v_mov_b32_e32 v60, 0x7f800001
	s_and_saveexec_b64 s[16:17], vcc
	s_cbranch_execz .LBB665_445
; %bb.444:                              ;   in Loop: Header=BB665_213 Depth=1
	v_and_b32_e32 v60, 7, v44
	v_ffbh_u32_e32 v62, v60
	v_min_u32_e32 v65, 32, v62
	v_subrev_u32_e32 v62, 28, v65
	v_lshlrev_b64 v[62:63], v62, v[44:45]
	v_lshrrev_b32_e32 v64, 3, v46
	v_sub_u32_e32 v63, 29, v65
	v_and_b32_e32 v62, 7, v62
	v_cmp_gt_u32_e32 vcc, 8, v46
	v_cndmask_b32_e32 v46, v64, v63, vcc
	v_cndmask_b32_e32 v60, v60, v62, vcc
	v_lshlrev_b32_e32 v44, 24, v44
	v_lshlrev_b32_e32 v60, 20, v60
	v_and_b32_e32 v44, 0x80000000, v44
	v_lshl_add_u32 v46, v46, 23, v48
	v_or3_b32 v60, v44, v46, v60
.LBB665_445:                            ;   in Loop: Header=BB665_213 Depth=1
	s_or_b64 exec, exec, s[16:17]
.LBB665_446:                            ;   in Loop: Header=BB665_213 Depth=1
	s_or_b64 exec, exec, s[14:15]
.LBB665_447:                            ;   in Loop: Header=BB665_213 Depth=1
	s_or_b64 exec, exec, s[12:13]
	v_cmp_lt_u32_e32 vcc, s20, v42
	v_mov_b32_e32 v46, 0
	v_mov_b32_e32 v62, 0
	s_and_saveexec_b64 s[12:13], vcc
	s_cbranch_execz .LBB665_453
; %bb.448:                              ;   in Loop: Header=BB665_213 Depth=1
	v_lshrrev_b32_e32 v44, 24, v42
	v_cmp_ne_u32_e32 vcc, s9, v44
	v_bfrev_b32_e32 v62, 1
	s_and_saveexec_b64 s[14:15], vcc
	s_cbranch_execz .LBB665_452
; %bb.449:                              ;   in Loop: Header=BB665_213 Depth=1
	v_bfe_u32 v42, v42, 24, 7
	v_cmp_ne_u32_e32 vcc, s19, v42
	v_mov_b32_e32 v62, 0x7f800001
	s_and_saveexec_b64 s[16:17], vcc
	s_cbranch_execz .LBB665_451
; %bb.450:                              ;   in Loop: Header=BB665_213 Depth=1
	v_and_b32_e32 v64, 7, v44
	v_ffbh_u32_e32 v62, v64
	v_min_u32_e32 v66, 32, v62
	v_subrev_u32_e32 v62, 28, v66
	v_lshlrev_b64 v[62:63], v62, v[44:45]
	v_lshrrev_b32_e32 v65, 3, v42
	v_sub_u32_e32 v63, 29, v66
	v_and_b32_e32 v62, 7, v62
	v_cmp_gt_u32_e32 vcc, 8, v42
	v_cndmask_b32_e32 v42, v65, v63, vcc
	v_cndmask_b32_e32 v62, v64, v62, vcc
	v_lshlrev_b32_e32 v44, 24, v44
	v_lshlrev_b32_e32 v62, 20, v62
	v_and_b32_e32 v44, 0x80000000, v44
	v_lshl_add_u32 v42, v42, 23, v48
	v_or3_b32 v62, v44, v42, v62
.LBB665_451:                            ;   in Loop: Header=BB665_213 Depth=1
	s_or_b64 exec, exec, s[16:17]
.LBB665_452:                            ;   in Loop: Header=BB665_213 Depth=1
	s_or_b64 exec, exec, s[14:15]
.LBB665_453:                            ;   in Loop: Header=BB665_213 Depth=1
	s_or_b64 exec, exec, s[12:13]
	v_cvt_pkrtz_f16_f32 v64, v49, v51
	v_cvt_pkrtz_f16_f32 v65, v50, v53
	v_cvt_pkrtz_f16_f32 v50, v52, v61
	v_cvt_pkrtz_f16_f32 v51, v60, v62
	s_waitcnt vmcnt(1)
	v_cmp_ne_u16_sdwa s[14:15], v40, v47 src0_sel:BYTE_0 src1_sel:DWORD
	v_mfma_f32_16x16x16f16 v[34:37], v[64:65], v[18:19], v[34:37]
	v_mfma_f32_16x16x16f16 v[34:37], v[50:51], v[20:21], v[34:37]
	s_and_saveexec_b64 s[12:13], s[14:15]
	s_cbranch_execz .LBB665_459
; %bb.454:                              ;   in Loop: Header=BB665_213 Depth=1
	v_cmp_ne_u16_sdwa s[16:17], v40, s9 src0_sel:BYTE_0 src1_sel:DWORD
	v_bfrev_b32_e32 v46, 1
	s_and_saveexec_b64 s[14:15], s[16:17]
	s_cbranch_execz .LBB665_458
; %bb.455:                              ;   in Loop: Header=BB665_213 Depth=1
	v_and_b32_e32 v42, 0x7f, v40
	v_cmp_ne_u32_e32 vcc, s19, v42
	v_mov_b32_e32 v46, 0x7f800001
	s_and_saveexec_b64 s[16:17], vcc
	s_cbranch_execz .LBB665_457
; %bb.456:                              ;   in Loop: Header=BB665_213 Depth=1
	v_and_b32_e32 v44, 7, v40
	v_ffbh_u32_e32 v49, v44
	v_min_u32_e32 v49, 32, v49
	v_subrev_u32_e32 v50, 28, v49
	v_lshlrev_b64 v[50:51], v50, v[40:41]
	v_lshrrev_b32_e32 v46, 3, v42
	v_sub_u32_e32 v49, 29, v49
	v_and_b32_e32 v50, 7, v50
	v_cmp_gt_u32_e32 vcc, 8, v42
	v_cndmask_b32_e32 v42, v46, v49, vcc
	v_cndmask_b32_e32 v44, v44, v50, vcc
	v_lshlrev_b32_e32 v46, 24, v40
	v_lshlrev_b32_e32 v44, 20, v44
	v_and_b32_e32 v46, 0x80000000, v46
	v_lshl_add_u32 v42, v42, 23, v48
	v_or3_b32 v46, v46, v42, v44
.LBB665_457:                            ;   in Loop: Header=BB665_213 Depth=1
	s_or_b64 exec, exec, s[16:17]
.LBB665_458:                            ;   in Loop: Header=BB665_213 Depth=1
	s_or_b64 exec, exec, s[14:15]
.LBB665_459:                            ;   in Loop: Header=BB665_213 Depth=1
	s_or_b64 exec, exec, s[12:13]
	v_lshrrev_b16_e32 v42, 8, v40
	v_cmp_ne_u16_e32 vcc, 0, v42
	v_mov_b32_e32 v44, 0
	v_mov_b32_e32 v50, 0
	s_and_saveexec_b64 s[12:13], vcc
	s_cbranch_execz .LBB665_465
; %bb.460:                              ;   in Loop: Header=BB665_213 Depth=1
	v_cmp_ne_u16_e32 vcc, s9, v42
	v_bfrev_b32_e32 v50, 1
	s_and_saveexec_b64 s[14:15], vcc
	s_cbranch_execz .LBB665_464
; %bb.461:                              ;   in Loop: Header=BB665_213 Depth=1
	v_and_b32_e32 v49, 0x7f, v42
	v_cmp_ne_u32_e32 vcc, s19, v49
	v_mov_b32_e32 v50, 0x7f800001
	s_and_saveexec_b64 s[16:17], vcc
	s_cbranch_execz .LBB665_463
; %bb.462:                              ;   in Loop: Header=BB665_213 Depth=1
	v_and_b32_e32 v52, 7, v42
	v_ffbh_u32_e32 v50, v52
	v_min_u32_e32 v60, 32, v50
	v_subrev_u32_e32 v50, 28, v60
	v_lshlrev_b64 v[50:51], v50, v[42:43]
	v_lshrrev_b32_e32 v53, 3, v49
	v_sub_u32_e32 v42, 29, v60
	v_and_b32_e32 v50, 7, v50
	v_cmp_gt_u32_e32 vcc, 8, v49
	v_cndmask_b32_e32 v42, v53, v42, vcc
	v_cndmask_b32_e32 v49, v52, v50, vcc
	v_lshlrev_b32_e32 v50, 16, v40
	v_lshlrev_b32_e32 v49, 20, v49
	v_and_b32_e32 v50, 0x80000000, v50
	v_lshl_add_u32 v42, v42, 23, v48
	v_or3_b32 v50, v50, v42, v49
.LBB665_463:                            ;   in Loop: Header=BB665_213 Depth=1
	s_or_b64 exec, exec, s[16:17]
.LBB665_464:                            ;   in Loop: Header=BB665_213 Depth=1
	s_or_b64 exec, exec, s[14:15]
.LBB665_465:                            ;   in Loop: Header=BB665_213 Depth=1
	s_or_b64 exec, exec, s[12:13]
	v_lshrrev_b32_e32 v42, 16, v40
	v_cmp_ne_u16_sdwa s[14:15], v42, v47 src0_sel:BYTE_0 src1_sel:DWORD
	s_and_saveexec_b64 s[12:13], s[14:15]
	s_cbranch_execz .LBB665_471
; %bb.466:                              ;   in Loop: Header=BB665_213 Depth=1
	v_cmp_ne_u16_sdwa s[16:17], v42, s9 src0_sel:BYTE_0 src1_sel:DWORD
	v_bfrev_b32_e32 v44, 1
	s_and_saveexec_b64 s[14:15], s[16:17]
	s_cbranch_execz .LBB665_470
; %bb.467:                              ;   in Loop: Header=BB665_213 Depth=1
	v_bfe_u32 v49, v40, 16, 7
	v_cmp_ne_u32_e32 vcc, s19, v49
	v_mov_b32_e32 v44, 0x7f800001
	s_and_saveexec_b64 s[16:17], vcc
	s_cbranch_execz .LBB665_469
; %bb.468:                              ;   in Loop: Header=BB665_213 Depth=1
	v_and_b32_e32 v44, 7, v42
	v_ffbh_u32_e32 v52, v44
	v_min_u32_e32 v60, 32, v52
	v_subrev_u32_e32 v52, 28, v60
	v_lshlrev_b64 v[52:53], v52, v[42:43]
	v_lshrrev_b32_e32 v51, 3, v49
	v_sub_u32_e32 v53, 29, v60
	v_and_b32_e32 v52, 7, v52
	v_cmp_gt_u32_e32 vcc, 8, v49
	v_cndmask_b32_e32 v49, v51, v53, vcc
	v_cndmask_b32_e32 v44, v44, v52, vcc
	v_lshlrev_b32_e32 v42, 24, v42
	v_lshlrev_b32_e32 v44, 20, v44
	v_and_b32_e32 v42, 0x80000000, v42
	v_lshl_add_u32 v49, v49, 23, v48
	v_or3_b32 v44, v42, v49, v44
.LBB665_469:                            ;   in Loop: Header=BB665_213 Depth=1
	s_or_b64 exec, exec, s[16:17]
.LBB665_470:                            ;   in Loop: Header=BB665_213 Depth=1
	s_or_b64 exec, exec, s[14:15]
.LBB665_471:                            ;   in Loop: Header=BB665_213 Depth=1
	s_or_b64 exec, exec, s[12:13]
	v_cmp_lt_u32_e32 vcc, s20, v40
	v_mov_b32_e32 v51, 0
	v_mov_b32_e32 v52, 0
	s_and_saveexec_b64 s[12:13], vcc
	s_cbranch_execz .LBB665_477
; %bb.472:                              ;   in Loop: Header=BB665_213 Depth=1
	v_lshrrev_b32_e32 v42, 24, v40
	v_cmp_ne_u32_e32 vcc, s9, v42
	v_bfrev_b32_e32 v52, 1
	s_and_saveexec_b64 s[14:15], vcc
	s_cbranch_execz .LBB665_476
; %bb.473:                              ;   in Loop: Header=BB665_213 Depth=1
	v_bfe_u32 v40, v40, 24, 7
	v_cmp_ne_u32_e32 vcc, s19, v40
	v_mov_b32_e32 v52, 0x7f800001
	s_and_saveexec_b64 s[16:17], vcc
	s_cbranch_execz .LBB665_475
; %bb.474:                              ;   in Loop: Header=BB665_213 Depth=1
	v_and_b32_e32 v49, 7, v42
	v_ffbh_u32_e32 v52, v49
	v_min_u32_e32 v61, 32, v52
	v_subrev_u32_e32 v52, 28, v61
	v_lshlrev_b64 v[52:53], v52, v[42:43]
	v_lshrrev_b32_e32 v60, 3, v40
	v_sub_u32_e32 v53, 29, v61
	v_and_b32_e32 v52, 7, v52
	v_cmp_gt_u32_e32 vcc, 8, v40
	v_cndmask_b32_e32 v40, v60, v53, vcc
	v_cndmask_b32_e32 v49, v49, v52, vcc
	v_lshlrev_b32_e32 v42, 24, v42
	v_lshlrev_b32_e32 v49, 20, v49
	v_and_b32_e32 v42, 0x80000000, v42
	v_lshl_add_u32 v40, v40, 23, v48
	v_or3_b32 v52, v42, v40, v49
.LBB665_475:                            ;   in Loop: Header=BB665_213 Depth=1
	s_or_b64 exec, exec, s[16:17]
.LBB665_476:                            ;   in Loop: Header=BB665_213 Depth=1
	s_or_b64 exec, exec, s[14:15]
.LBB665_477:                            ;   in Loop: Header=BB665_213 Depth=1
	s_or_b64 exec, exec, s[12:13]
	s_waitcnt vmcnt(0)
	v_cmp_ne_u16_sdwa s[14:15], v38, v47 src0_sel:BYTE_0 src1_sel:DWORD
	s_and_saveexec_b64 s[12:13], s[14:15]
	s_cbranch_execz .LBB665_483
; %bb.478:                              ;   in Loop: Header=BB665_213 Depth=1
	v_cmp_ne_u16_sdwa s[16:17], v38, s9 src0_sel:BYTE_0 src1_sel:DWORD
	v_bfrev_b32_e32 v51, 1
	s_and_saveexec_b64 s[14:15], s[16:17]
	s_cbranch_execz .LBB665_482
; %bb.479:                              ;   in Loop: Header=BB665_213 Depth=1
	v_and_b32_e32 v40, 0x7f, v38
	v_cmp_ne_u32_e32 vcc, s19, v40
	v_mov_b32_e32 v51, 0x7f800001
	s_and_saveexec_b64 s[16:17], vcc
	s_cbranch_execz .LBB665_481
; %bb.480:                              ;   in Loop: Header=BB665_213 Depth=1
	v_and_b32_e32 v42, 7, v38
	v_ffbh_u32_e32 v51, v42
	v_min_u32_e32 v51, 32, v51
	v_subrev_u32_e32 v53, 28, v51
	v_lshlrev_b64 v[60:61], v53, v[38:39]
	v_lshrrev_b32_e32 v49, 3, v40
	v_sub_u32_e32 v51, 29, v51
	v_and_b32_e32 v53, 7, v60
	v_cmp_gt_u32_e32 vcc, 8, v40
	v_cndmask_b32_e32 v40, v49, v51, vcc
	v_cndmask_b32_e32 v42, v42, v53, vcc
	v_lshlrev_b32_e32 v49, 24, v38
	v_lshlrev_b32_e32 v42, 20, v42
	v_and_b32_e32 v49, 0x80000000, v49
	v_lshl_add_u32 v40, v40, 23, v48
	v_or3_b32 v51, v49, v40, v42
.LBB665_481:                            ;   in Loop: Header=BB665_213 Depth=1
	s_or_b64 exec, exec, s[16:17]
.LBB665_482:                            ;   in Loop: Header=BB665_213 Depth=1
	s_or_b64 exec, exec, s[14:15]
.LBB665_483:                            ;   in Loop: Header=BB665_213 Depth=1
	s_or_b64 exec, exec, s[12:13]
	v_lshrrev_b16_e32 v40, 8, v38
	v_cmp_ne_u16_e32 vcc, 0, v40
	v_mov_b32_e32 v53, 0
	v_mov_b32_e32 v60, 0
	s_and_saveexec_b64 s[12:13], vcc
	s_cbranch_execz .LBB665_489
; %bb.484:                              ;   in Loop: Header=BB665_213 Depth=1
	v_cmp_ne_u16_e32 vcc, s9, v40
	v_bfrev_b32_e32 v60, 1
	s_and_saveexec_b64 s[14:15], vcc
	s_cbranch_execz .LBB665_488
; %bb.485:                              ;   in Loop: Header=BB665_213 Depth=1
	v_and_b32_e32 v42, 0x7f, v40
	v_cmp_ne_u32_e32 vcc, s19, v42
	v_mov_b32_e32 v60, 0x7f800001
	s_and_saveexec_b64 s[16:17], vcc
	s_cbranch_execz .LBB665_487
; %bb.486:                              ;   in Loop: Header=BB665_213 Depth=1
	v_and_b32_e32 v49, 7, v40
	v_ffbh_u32_e32 v60, v49
	v_min_u32_e32 v63, 32, v60
	v_subrev_u32_e32 v60, 28, v63
	v_lshlrev_b64 v[60:61], v60, v[40:41]
	v_lshrrev_b32_e32 v62, 3, v42
	v_sub_u32_e32 v40, 29, v63
	v_and_b32_e32 v60, 7, v60
	v_cmp_gt_u32_e32 vcc, 8, v42
	v_cndmask_b32_e32 v40, v62, v40, vcc
	v_cndmask_b32_e32 v42, v49, v60, vcc
	v_lshlrev_b32_e32 v49, 16, v38
	v_lshlrev_b32_e32 v42, 20, v42
	v_and_b32_e32 v49, 0x80000000, v49
	v_lshl_add_u32 v40, v40, 23, v48
	v_or3_b32 v60, v49, v40, v42
.LBB665_487:                            ;   in Loop: Header=BB665_213 Depth=1
	s_or_b64 exec, exec, s[16:17]
.LBB665_488:                            ;   in Loop: Header=BB665_213 Depth=1
	s_or_b64 exec, exec, s[14:15]
.LBB665_489:                            ;   in Loop: Header=BB665_213 Depth=1
	s_or_b64 exec, exec, s[12:13]
	v_lshrrev_b32_e32 v40, 16, v38
	v_cmp_ne_u16_sdwa s[14:15], v40, v47 src0_sel:BYTE_0 src1_sel:DWORD
	s_and_saveexec_b64 s[12:13], s[14:15]
	s_cbranch_execz .LBB665_495
; %bb.490:                              ;   in Loop: Header=BB665_213 Depth=1
	v_cmp_ne_u16_sdwa s[16:17], v40, s9 src0_sel:BYTE_0 src1_sel:DWORD
	v_bfrev_b32_e32 v53, 1
	s_and_saveexec_b64 s[14:15], s[16:17]
	s_cbranch_execz .LBB665_494
; %bb.491:                              ;   in Loop: Header=BB665_213 Depth=1
	v_bfe_u32 v42, v38, 16, 7
	v_cmp_ne_u32_e32 vcc, s19, v42
	v_mov_b32_e32 v53, 0x7f800001
	s_and_saveexec_b64 s[16:17], vcc
	s_cbranch_execz .LBB665_493
; %bb.492:                              ;   in Loop: Header=BB665_213 Depth=1
	v_and_b32_e32 v49, 7, v40
	v_ffbh_u32_e32 v61, v49
	v_min_u32_e32 v61, 32, v61
	v_subrev_u32_e32 v62, 28, v61
	v_lshlrev_b64 v[62:63], v62, v[40:41]
	v_lshrrev_b32_e32 v53, 3, v42
	v_sub_u32_e32 v61, 29, v61
	v_and_b32_e32 v62, 7, v62
	v_cmp_gt_u32_e32 vcc, 8, v42
	v_cndmask_b32_e32 v42, v53, v61, vcc
	v_cndmask_b32_e32 v49, v49, v62, vcc
	v_lshlrev_b32_e32 v40, 24, v40
	v_lshlrev_b32_e32 v49, 20, v49
	v_and_b32_e32 v40, 0x80000000, v40
	v_lshl_add_u32 v42, v42, 23, v48
	v_or3_b32 v53, v40, v42, v49
.LBB665_493:                            ;   in Loop: Header=BB665_213 Depth=1
	s_or_b64 exec, exec, s[16:17]
.LBB665_494:                            ;   in Loop: Header=BB665_213 Depth=1
	s_or_b64 exec, exec, s[14:15]
.LBB665_495:                            ;   in Loop: Header=BB665_213 Depth=1
	s_or_b64 exec, exec, s[12:13]
	v_cmp_lt_u32_e32 vcc, s20, v38
	v_mov_b32_e32 v49, 0
	v_mov_b32_e32 v61, 0
	s_and_saveexec_b64 s[12:13], vcc
	s_cbranch_execz .LBB665_501
; %bb.496:                              ;   in Loop: Header=BB665_213 Depth=1
	v_lshrrev_b32_e32 v40, 24, v38
	v_cmp_ne_u32_e32 vcc, s9, v40
	v_bfrev_b32_e32 v61, 1
	s_and_saveexec_b64 s[14:15], vcc
	s_cbranch_execz .LBB665_500
; %bb.497:                              ;   in Loop: Header=BB665_213 Depth=1
	v_bfe_u32 v38, v38, 24, 7
	v_cmp_ne_u32_e32 vcc, s19, v38
	v_mov_b32_e32 v61, 0x7f800001
	s_and_saveexec_b64 s[16:17], vcc
	s_cbranch_execz .LBB665_499
; %bb.498:                              ;   in Loop: Header=BB665_213 Depth=1
	v_and_b32_e32 v42, 7, v40
	v_ffbh_u32_e32 v62, v42
	v_min_u32_e32 v64, 32, v62
	v_subrev_u32_e32 v62, 28, v64
	v_lshlrev_b64 v[62:63], v62, v[40:41]
	v_lshrrev_b32_e32 v61, 3, v38
	v_sub_u32_e32 v63, 29, v64
	v_and_b32_e32 v62, 7, v62
	v_cmp_gt_u32_e32 vcc, 8, v38
	v_cndmask_b32_e32 v38, v61, v63, vcc
	v_cndmask_b32_e32 v42, v42, v62, vcc
	v_lshlrev_b32_e32 v40, 24, v40
	v_lshlrev_b32_e32 v42, 20, v42
	v_and_b32_e32 v40, 0x80000000, v40
	v_lshl_add_u32 v38, v38, 23, v48
	v_or3_b32 v61, v40, v38, v42
.LBB665_499:                            ;   in Loop: Header=BB665_213 Depth=1
	s_or_b64 exec, exec, s[16:17]
.LBB665_500:                            ;   in Loop: Header=BB665_213 Depth=1
	s_or_b64 exec, exec, s[14:15]
.LBB665_501:                            ;   in Loop: Header=BB665_213 Depth=1
	s_or_b64 exec, exec, s[12:13]
	v_cvt_pkrtz_f16_f32 v63, v44, v52
	buffer_load_dword v44, v41, s[0:3], 0 offen
	buffer_load_dword v42, v41, s[0:3], 0 offen offset:4
	buffer_load_dword v40, v41, s[0:3], 0 offen offset:8
	;; [unrolled: 1-line block ×3, first 2 shown]
	v_cvt_pkrtz_f16_f32 v62, v46, v50
	v_cvt_pkrtz_f16_f32 v50, v51, v60
	;; [unrolled: 1-line block ×3, first 2 shown]
	v_mfma_f32_16x16x16f16 v[34:37], v[62:63], v[22:23], v[34:37]
	s_waitcnt vmcnt(3)
	v_cmp_ne_u16_sdwa s[14:15], v44, v47 src0_sel:BYTE_0 src1_sel:DWORD
	v_mfma_f32_16x16x16f16 v[34:37], v[50:51], v[24:25], v[34:37]
	s_and_saveexec_b64 s[12:13], s[14:15]
	s_cbranch_execz .LBB665_507
; %bb.502:                              ;   in Loop: Header=BB665_213 Depth=1
	v_cmp_ne_u16_sdwa s[16:17], v44, s9 src0_sel:BYTE_0 src1_sel:DWORD
	v_bfrev_b32_e32 v49, 1
	s_and_saveexec_b64 s[14:15], s[16:17]
	s_cbranch_execz .LBB665_506
; %bb.503:                              ;   in Loop: Header=BB665_213 Depth=1
	v_and_b32_e32 v41, 0x7f, v44
	v_cmp_ne_u32_e32 vcc, s19, v41
	v_mov_b32_e32 v49, 0x7f800001
	s_and_saveexec_b64 s[16:17], vcc
	s_cbranch_execz .LBB665_505
; %bb.504:                              ;   in Loop: Header=BB665_213 Depth=1
	v_and_b32_e32 v46, 7, v44
	v_ffbh_u32_e32 v50, v46
	v_min_u32_e32 v52, 32, v50
	v_subrev_u32_e32 v50, 28, v52
	v_lshlrev_b64 v[50:51], v50, v[44:45]
	v_lshrrev_b32_e32 v49, 3, v41
	v_sub_u32_e32 v51, 29, v52
	v_and_b32_e32 v50, 7, v50
	v_cmp_gt_u32_e32 vcc, 8, v41
	v_cndmask_b32_e32 v41, v49, v51, vcc
	v_cndmask_b32_e32 v46, v46, v50, vcc
	v_lshlrev_b32_e32 v49, 24, v44
	v_lshlrev_b32_e32 v46, 20, v46
	v_and_b32_e32 v49, 0x80000000, v49
	v_lshl_add_u32 v41, v41, 23, v48
	v_or3_b32 v49, v49, v41, v46
.LBB665_505:                            ;   in Loop: Header=BB665_213 Depth=1
	s_or_b64 exec, exec, s[16:17]
.LBB665_506:                            ;   in Loop: Header=BB665_213 Depth=1
	s_or_b64 exec, exec, s[14:15]
.LBB665_507:                            ;   in Loop: Header=BB665_213 Depth=1
	s_or_b64 exec, exec, s[12:13]
	v_lshrrev_b16_e32 v46, 8, v44
	v_cmp_ne_u16_e32 vcc, 0, v46
	v_mov_b32_e32 v50, 0
	v_mov_b32_e32 v51, 0
	s_and_saveexec_b64 s[12:13], vcc
	s_cbranch_execz .LBB665_513
; %bb.508:                              ;   in Loop: Header=BB665_213 Depth=1
	v_cmp_ne_u16_e32 vcc, s9, v46
	v_bfrev_b32_e32 v51, 1
	s_and_saveexec_b64 s[14:15], vcc
	s_cbranch_execz .LBB665_512
; %bb.509:                              ;   in Loop: Header=BB665_213 Depth=1
	v_and_b32_e32 v41, 0x7f, v46
	v_cmp_ne_u32_e32 vcc, s19, v41
	v_mov_b32_e32 v51, 0x7f800001
	s_and_saveexec_b64 s[16:17], vcc
	s_cbranch_execz .LBB665_511
; %bb.510:                              ;   in Loop: Header=BB665_213 Depth=1
	v_and_b32_e32 v51, 7, v46
	v_ffbh_u32_e32 v52, v51
	v_min_u32_e32 v61, 32, v52
	v_subrev_u32_e32 v52, 28, v61
	v_lshlrev_b64 v[52:53], v52, v[46:47]
	v_lshrrev_b32_e32 v60, 3, v41
	v_sub_u32_e32 v46, 29, v61
	v_and_b32_e32 v52, 7, v52
	v_cmp_gt_u32_e32 vcc, 8, v41
	v_cndmask_b32_e32 v41, v60, v46, vcc
	v_cndmask_b32_e32 v46, v51, v52, vcc
	v_lshlrev_b32_e32 v51, 16, v44
	v_lshlrev_b32_e32 v46, 20, v46
	v_and_b32_e32 v51, 0x80000000, v51
	v_lshl_add_u32 v41, v41, 23, v48
	v_or3_b32 v51, v51, v41, v46
.LBB665_511:                            ;   in Loop: Header=BB665_213 Depth=1
	s_or_b64 exec, exec, s[16:17]
.LBB665_512:                            ;   in Loop: Header=BB665_213 Depth=1
	s_or_b64 exec, exec, s[14:15]
.LBB665_513:                            ;   in Loop: Header=BB665_213 Depth=1
	s_or_b64 exec, exec, s[12:13]
	v_lshrrev_b32_e32 v46, 16, v44
	v_cmp_ne_u16_sdwa s[14:15], v46, v47 src0_sel:BYTE_0 src1_sel:DWORD
	s_and_saveexec_b64 s[12:13], s[14:15]
	s_cbranch_execz .LBB665_519
; %bb.514:                              ;   in Loop: Header=BB665_213 Depth=1
	v_cmp_ne_u16_sdwa s[16:17], v46, s9 src0_sel:BYTE_0 src1_sel:DWORD
	v_bfrev_b32_e32 v50, 1
	s_and_saveexec_b64 s[14:15], s[16:17]
	s_cbranch_execz .LBB665_518
; %bb.515:                              ;   in Loop: Header=BB665_213 Depth=1
	v_bfe_u32 v41, v44, 16, 7
	v_cmp_ne_u32_e32 vcc, s19, v41
	v_mov_b32_e32 v50, 0x7f800001
	s_and_saveexec_b64 s[16:17], vcc
	s_cbranch_execz .LBB665_517
; %bb.516:                              ;   in Loop: Header=BB665_213 Depth=1
	v_and_b32_e32 v50, 7, v46
	v_ffbh_u32_e32 v52, v50
	v_min_u32_e32 v61, 32, v52
	v_subrev_u32_e32 v52, 28, v61
	v_lshlrev_b64 v[52:53], v52, v[46:47]
	v_lshrrev_b32_e32 v60, 3, v41
	v_sub_u32_e32 v53, 29, v61
	v_and_b32_e32 v52, 7, v52
	v_cmp_gt_u32_e32 vcc, 8, v41
	v_cndmask_b32_e32 v41, v60, v53, vcc
	v_cndmask_b32_e32 v50, v50, v52, vcc
	v_lshlrev_b32_e32 v46, 24, v46
	v_lshlrev_b32_e32 v50, 20, v50
	v_and_b32_e32 v46, 0x80000000, v46
	v_lshl_add_u32 v41, v41, 23, v48
	v_or3_b32 v50, v46, v41, v50
.LBB665_517:                            ;   in Loop: Header=BB665_213 Depth=1
	s_or_b64 exec, exec, s[16:17]
.LBB665_518:                            ;   in Loop: Header=BB665_213 Depth=1
	s_or_b64 exec, exec, s[14:15]
.LBB665_519:                            ;   in Loop: Header=BB665_213 Depth=1
	s_or_b64 exec, exec, s[12:13]
	v_cmp_lt_u32_e32 vcc, s20, v44
	v_mov_b32_e32 v52, 0
	v_mov_b32_e32 v53, 0
	s_and_saveexec_b64 s[12:13], vcc
	s_cbranch_execz .LBB665_525
; %bb.520:                              ;   in Loop: Header=BB665_213 Depth=1
	v_lshrrev_b32_e32 v46, 24, v44
	v_cmp_ne_u32_e32 vcc, s9, v46
	v_bfrev_b32_e32 v53, 1
	s_and_saveexec_b64 s[14:15], vcc
	s_cbranch_execz .LBB665_524
; %bb.521:                              ;   in Loop: Header=BB665_213 Depth=1
	v_bfe_u32 v41, v44, 24, 7
	v_cmp_ne_u32_e32 vcc, s19, v41
	v_mov_b32_e32 v53, 0x7f800001
	s_and_saveexec_b64 s[16:17], vcc
	s_cbranch_execz .LBB665_523
; %bb.522:                              ;   in Loop: Header=BB665_213 Depth=1
	v_and_b32_e32 v44, 7, v46
	v_ffbh_u32_e32 v60, v44
	v_min_u32_e32 v62, 32, v60
	v_subrev_u32_e32 v60, 28, v62
	v_lshlrev_b64 v[60:61], v60, v[46:47]
	v_lshrrev_b32_e32 v53, 3, v41
	v_sub_u32_e32 v61, 29, v62
	v_and_b32_e32 v60, 7, v60
	v_cmp_gt_u32_e32 vcc, 8, v41
	v_cndmask_b32_e32 v41, v53, v61, vcc
	v_cndmask_b32_e32 v44, v44, v60, vcc
	v_lshlrev_b32_e32 v46, 24, v46
	v_lshlrev_b32_e32 v44, 20, v44
	v_and_b32_e32 v46, 0x80000000, v46
	v_lshl_add_u32 v41, v41, 23, v48
	v_or3_b32 v53, v46, v41, v44
.LBB665_523:                            ;   in Loop: Header=BB665_213 Depth=1
	s_or_b64 exec, exec, s[16:17]
.LBB665_524:                            ;   in Loop: Header=BB665_213 Depth=1
	s_or_b64 exec, exec, s[14:15]
.LBB665_525:                            ;   in Loop: Header=BB665_213 Depth=1
	s_or_b64 exec, exec, s[12:13]
	s_waitcnt vmcnt(2)
	v_cmp_ne_u16_sdwa s[14:15], v42, v47 src0_sel:BYTE_0 src1_sel:DWORD
	s_and_saveexec_b64 s[12:13], s[14:15]
	s_cbranch_execz .LBB665_531
; %bb.526:                              ;   in Loop: Header=BB665_213 Depth=1
	v_cmp_ne_u16_sdwa s[16:17], v42, s9 src0_sel:BYTE_0 src1_sel:DWORD
	v_bfrev_b32_e32 v52, 1
	s_and_saveexec_b64 s[14:15], s[16:17]
	s_cbranch_execz .LBB665_530
; %bb.527:                              ;   in Loop: Header=BB665_213 Depth=1
	v_and_b32_e32 v41, 0x7f, v42
	v_cmp_ne_u32_e32 vcc, s19, v41
	v_mov_b32_e32 v52, 0x7f800001
	s_and_saveexec_b64 s[16:17], vcc
	s_cbranch_execz .LBB665_529
; %bb.528:                              ;   in Loop: Header=BB665_213 Depth=1
	v_and_b32_e32 v44, 7, v42
	v_ffbh_u32_e32 v52, v44
	v_min_u32_e32 v52, 32, v52
	v_subrev_u32_e32 v60, 28, v52
	v_lshlrev_b64 v[60:61], v60, v[42:43]
	v_lshrrev_b32_e32 v46, 3, v41
	v_sub_u32_e32 v52, 29, v52
	v_and_b32_e32 v60, 7, v60
	v_cmp_gt_u32_e32 vcc, 8, v41
	v_cndmask_b32_e32 v41, v46, v52, vcc
	v_cndmask_b32_e32 v44, v44, v60, vcc
	v_lshlrev_b32_e32 v46, 24, v42
	v_lshlrev_b32_e32 v44, 20, v44
	v_and_b32_e32 v46, 0x80000000, v46
	v_lshl_add_u32 v41, v41, 23, v48
	v_or3_b32 v52, v46, v41, v44
.LBB665_529:                            ;   in Loop: Header=BB665_213 Depth=1
	s_or_b64 exec, exec, s[16:17]
.LBB665_530:                            ;   in Loop: Header=BB665_213 Depth=1
	s_or_b64 exec, exec, s[14:15]
.LBB665_531:                            ;   in Loop: Header=BB665_213 Depth=1
	s_or_b64 exec, exec, s[12:13]
	v_lshrrev_b16_e32 v44, 8, v42
	v_cmp_ne_u16_e32 vcc, 0, v44
	v_mov_b32_e32 v46, 0
	v_mov_b32_e32 v60, 0
	s_and_saveexec_b64 s[12:13], vcc
	s_cbranch_execz .LBB665_537
; %bb.532:                              ;   in Loop: Header=BB665_213 Depth=1
	v_cmp_ne_u16_e32 vcc, s9, v44
	v_bfrev_b32_e32 v60, 1
	s_and_saveexec_b64 s[14:15], vcc
	s_cbranch_execz .LBB665_536
; %bb.533:                              ;   in Loop: Header=BB665_213 Depth=1
	v_and_b32_e32 v41, 0x7f, v44
	v_cmp_ne_u32_e32 vcc, s19, v41
	v_mov_b32_e32 v60, 0x7f800001
	s_and_saveexec_b64 s[16:17], vcc
	s_cbranch_execz .LBB665_535
; %bb.534:                              ;   in Loop: Header=BB665_213 Depth=1
	v_and_b32_e32 v62, 7, v44
	v_ffbh_u32_e32 v60, v62
	v_min_u32_e32 v64, 32, v60
	v_subrev_u32_e32 v60, 28, v64
	v_lshlrev_b64 v[60:61], v60, v[44:45]
	v_lshrrev_b32_e32 v63, 3, v41
	v_sub_u32_e32 v44, 29, v64
	v_and_b32_e32 v60, 7, v60
	v_cmp_gt_u32_e32 vcc, 8, v41
	v_cndmask_b32_e32 v41, v63, v44, vcc
	v_cndmask_b32_e32 v44, v62, v60, vcc
	v_lshlrev_b32_e32 v60, 16, v42
	v_lshlrev_b32_e32 v44, 20, v44
	v_and_b32_e32 v60, 0x80000000, v60
	v_lshl_add_u32 v41, v41, 23, v48
	v_or3_b32 v60, v60, v41, v44
.LBB665_535:                            ;   in Loop: Header=BB665_213 Depth=1
	s_or_b64 exec, exec, s[16:17]
.LBB665_536:                            ;   in Loop: Header=BB665_213 Depth=1
	s_or_b64 exec, exec, s[14:15]
.LBB665_537:                            ;   in Loop: Header=BB665_213 Depth=1
	s_or_b64 exec, exec, s[12:13]
	v_lshrrev_b32_e32 v44, 16, v42
	v_cmp_ne_u16_sdwa s[14:15], v44, v47 src0_sel:BYTE_0 src1_sel:DWORD
	s_and_saveexec_b64 s[12:13], s[14:15]
	s_cbranch_execz .LBB665_543
; %bb.538:                              ;   in Loop: Header=BB665_213 Depth=1
	v_cmp_ne_u16_sdwa s[16:17], v44, s9 src0_sel:BYTE_0 src1_sel:DWORD
	v_bfrev_b32_e32 v46, 1
	s_and_saveexec_b64 s[14:15], s[16:17]
	s_cbranch_execz .LBB665_542
; %bb.539:                              ;   in Loop: Header=BB665_213 Depth=1
	v_bfe_u32 v41, v42, 16, 7
	v_cmp_ne_u32_e32 vcc, s19, v41
	v_mov_b32_e32 v46, 0x7f800001
	s_and_saveexec_b64 s[16:17], vcc
	s_cbranch_execz .LBB665_541
; %bb.540:                              ;   in Loop: Header=BB665_213 Depth=1
	v_and_b32_e32 v46, 7, v44
	v_ffbh_u32_e32 v62, v46
	v_min_u32_e32 v64, 32, v62
	v_subrev_u32_e32 v62, 28, v64
	v_lshlrev_b64 v[62:63], v62, v[44:45]
	v_lshrrev_b32_e32 v61, 3, v41
	v_sub_u32_e32 v63, 29, v64
	v_and_b32_e32 v62, 7, v62
	v_cmp_gt_u32_e32 vcc, 8, v41
	v_cndmask_b32_e32 v41, v61, v63, vcc
	v_cndmask_b32_e32 v46, v46, v62, vcc
	v_lshlrev_b32_e32 v44, 24, v44
	v_lshlrev_b32_e32 v46, 20, v46
	v_and_b32_e32 v44, 0x80000000, v44
	v_lshl_add_u32 v41, v41, 23, v48
	v_or3_b32 v46, v44, v41, v46
.LBB665_541:                            ;   in Loop: Header=BB665_213 Depth=1
	s_or_b64 exec, exec, s[16:17]
.LBB665_542:                            ;   in Loop: Header=BB665_213 Depth=1
	s_or_b64 exec, exec, s[14:15]
.LBB665_543:                            ;   in Loop: Header=BB665_213 Depth=1
	s_or_b64 exec, exec, s[12:13]
	v_cmp_lt_u32_e32 vcc, s20, v42
	v_mov_b32_e32 v41, 0
	v_mov_b32_e32 v61, 0
	s_and_saveexec_b64 s[12:13], vcc
	s_cbranch_execz .LBB665_549
; %bb.544:                              ;   in Loop: Header=BB665_213 Depth=1
	v_lshrrev_b32_e32 v44, 24, v42
	v_cmp_ne_u32_e32 vcc, s9, v44
	v_bfrev_b32_e32 v61, 1
	s_and_saveexec_b64 s[14:15], vcc
	s_cbranch_execz .LBB665_548
; %bb.545:                              ;   in Loop: Header=BB665_213 Depth=1
	v_bfe_u32 v42, v42, 24, 7
	v_cmp_ne_u32_e32 vcc, s19, v42
	v_mov_b32_e32 v61, 0x7f800001
	s_and_saveexec_b64 s[16:17], vcc
	s_cbranch_execz .LBB665_547
; %bb.546:                              ;   in Loop: Header=BB665_213 Depth=1
	v_and_b32_e32 v61, 7, v44
	v_ffbh_u32_e32 v62, v61
	v_min_u32_e32 v65, 32, v62
	v_subrev_u32_e32 v62, 28, v65
	v_lshlrev_b64 v[62:63], v62, v[44:45]
	v_lshrrev_b32_e32 v64, 3, v42
	v_sub_u32_e32 v63, 29, v65
	v_and_b32_e32 v62, 7, v62
	v_cmp_gt_u32_e32 vcc, 8, v42
	v_cndmask_b32_e32 v42, v64, v63, vcc
	v_cndmask_b32_e32 v61, v61, v62, vcc
	v_lshlrev_b32_e32 v44, 24, v44
	v_lshlrev_b32_e32 v61, 20, v61
	v_and_b32_e32 v44, 0x80000000, v44
	v_lshl_add_u32 v42, v42, 23, v48
	v_or3_b32 v61, v44, v42, v61
.LBB665_547:                            ;   in Loop: Header=BB665_213 Depth=1
	s_or_b64 exec, exec, s[16:17]
.LBB665_548:                            ;   in Loop: Header=BB665_213 Depth=1
	s_or_b64 exec, exec, s[14:15]
.LBB665_549:                            ;   in Loop: Header=BB665_213 Depth=1
	s_or_b64 exec, exec, s[12:13]
	v_cvt_pkrtz_f16_f32 v62, v49, v51
	v_cvt_pkrtz_f16_f32 v63, v50, v53
	v_cvt_pkrtz_f16_f32 v50, v52, v60
	v_cvt_pkrtz_f16_f32 v51, v46, v61
	s_waitcnt vmcnt(1)
	v_cmp_ne_u16_sdwa s[14:15], v40, v47 src0_sel:BYTE_0 src1_sel:DWORD
	v_mfma_f32_16x16x16f16 v[34:37], v[62:63], v[26:27], v[34:37]
	v_mfma_f32_16x16x16f16 v[34:37], v[50:51], v[28:29], v[34:37]
	s_and_saveexec_b64 s[12:13], s[14:15]
	s_cbranch_execz .LBB665_555
; %bb.550:                              ;   in Loop: Header=BB665_213 Depth=1
	v_cmp_ne_u16_sdwa s[16:17], v40, s9 src0_sel:BYTE_0 src1_sel:DWORD
	v_bfrev_b32_e32 v41, 1
	s_and_saveexec_b64 s[14:15], s[16:17]
	s_cbranch_execz .LBB665_554
; %bb.551:                              ;   in Loop: Header=BB665_213 Depth=1
	v_and_b32_e32 v42, 0x7f, v40
	v_cmp_ne_u32_e32 vcc, s19, v42
	v_mov_b32_e32 v41, 0x7f800001
	s_and_saveexec_b64 s[16:17], vcc
	s_cbranch_execz .LBB665_553
; %bb.552:                              ;   in Loop: Header=BB665_213 Depth=1
	v_and_b32_e32 v41, 7, v40
	v_ffbh_u32_e32 v46, v41
	v_min_u32_e32 v46, 32, v46
	v_subrev_u32_e32 v49, 28, v46
	v_lshlrev_b64 v[50:51], v49, v[40:41]
	v_lshrrev_b32_e32 v44, 3, v42
	v_sub_u32_e32 v46, 29, v46
	v_and_b32_e32 v49, 7, v50
	v_cmp_gt_u32_e32 vcc, 8, v42
	v_cndmask_b32_e32 v42, v44, v46, vcc
	v_cndmask_b32_e32 v41, v41, v49, vcc
	v_lshlrev_b32_e32 v44, 24, v40
	v_lshlrev_b32_e32 v41, 20, v41
	v_and_b32_e32 v44, 0x80000000, v44
	v_lshl_add_u32 v42, v42, 23, v48
	v_or3_b32 v41, v44, v42, v41
.LBB665_553:                            ;   in Loop: Header=BB665_213 Depth=1
	s_or_b64 exec, exec, s[16:17]
.LBB665_554:                            ;   in Loop: Header=BB665_213 Depth=1
	s_or_b64 exec, exec, s[14:15]
.LBB665_555:                            ;   in Loop: Header=BB665_213 Depth=1
	s_or_b64 exec, exec, s[12:13]
	v_lshrrev_b16_e32 v42, 8, v40
	v_cmp_ne_u16_e32 vcc, 0, v42
	v_mov_b32_e32 v44, 0
	v_mov_b32_e32 v46, 0
	s_and_saveexec_b64 s[12:13], vcc
	s_cbranch_execz .LBB665_561
; %bb.556:                              ;   in Loop: Header=BB665_213 Depth=1
	v_cmp_ne_u16_e32 vcc, s9, v42
	v_bfrev_b32_e32 v46, 1
	s_and_saveexec_b64 s[14:15], vcc
	s_cbranch_execz .LBB665_560
; %bb.557:                              ;   in Loop: Header=BB665_213 Depth=1
	v_and_b32_e32 v49, 0x7f, v42
	v_cmp_ne_u32_e32 vcc, s19, v49
	v_mov_b32_e32 v46, 0x7f800001
	s_and_saveexec_b64 s[16:17], vcc
	s_cbranch_execz .LBB665_559
; %bb.558:                              ;   in Loop: Header=BB665_213 Depth=1
	v_and_b32_e32 v46, 7, v42
	v_ffbh_u32_e32 v50, v46
	v_min_u32_e32 v53, 32, v50
	v_subrev_u32_e32 v50, 28, v53
	v_lshlrev_b64 v[50:51], v50, v[42:43]
	v_lshrrev_b32_e32 v52, 3, v49
	v_sub_u32_e32 v42, 29, v53
	v_and_b32_e32 v50, 7, v50
	v_cmp_gt_u32_e32 vcc, 8, v49
	v_cndmask_b32_e32 v42, v52, v42, vcc
	v_cndmask_b32_e32 v46, v46, v50, vcc
	v_lshlrev_b32_e32 v49, 16, v40
	v_lshlrev_b32_e32 v46, 20, v46
	v_and_b32_e32 v49, 0x80000000, v49
	v_lshl_add_u32 v42, v42, 23, v48
	v_or3_b32 v46, v49, v42, v46
.LBB665_559:                            ;   in Loop: Header=BB665_213 Depth=1
	s_or_b64 exec, exec, s[16:17]
.LBB665_560:                            ;   in Loop: Header=BB665_213 Depth=1
	s_or_b64 exec, exec, s[14:15]
.LBB665_561:                            ;   in Loop: Header=BB665_213 Depth=1
	s_or_b64 exec, exec, s[12:13]
	v_lshrrev_b32_e32 v42, 16, v40
	v_cmp_ne_u16_sdwa s[14:15], v42, v47 src0_sel:BYTE_0 src1_sel:DWORD
	s_and_saveexec_b64 s[12:13], s[14:15]
	s_cbranch_execz .LBB665_567
; %bb.562:                              ;   in Loop: Header=BB665_213 Depth=1
	v_cmp_ne_u16_sdwa s[16:17], v42, s9 src0_sel:BYTE_0 src1_sel:DWORD
	v_bfrev_b32_e32 v44, 1
	s_and_saveexec_b64 s[14:15], s[16:17]
	s_cbranch_execz .LBB665_566
; %bb.563:                              ;   in Loop: Header=BB665_213 Depth=1
	v_bfe_u32 v49, v40, 16, 7
	v_cmp_ne_u32_e32 vcc, s19, v49
	v_mov_b32_e32 v44, 0x7f800001
	s_and_saveexec_b64 s[16:17], vcc
	s_cbranch_execz .LBB665_565
; %bb.564:                              ;   in Loop: Header=BB665_213 Depth=1
	v_and_b32_e32 v44, 7, v42
	v_ffbh_u32_e32 v50, v44
	v_min_u32_e32 v53, 32, v50
	v_subrev_u32_e32 v50, 28, v53
	v_lshlrev_b64 v[50:51], v50, v[42:43]
	v_lshrrev_b32_e32 v52, 3, v49
	v_sub_u32_e32 v51, 29, v53
	v_and_b32_e32 v50, 7, v50
	v_cmp_gt_u32_e32 vcc, 8, v49
	v_cndmask_b32_e32 v49, v52, v51, vcc
	v_cndmask_b32_e32 v44, v44, v50, vcc
	v_lshlrev_b32_e32 v42, 24, v42
	v_lshlrev_b32_e32 v44, 20, v44
	v_and_b32_e32 v42, 0x80000000, v42
	v_lshl_add_u32 v49, v49, 23, v48
	v_or3_b32 v44, v42, v49, v44
.LBB665_565:                            ;   in Loop: Header=BB665_213 Depth=1
	s_or_b64 exec, exec, s[16:17]
.LBB665_566:                            ;   in Loop: Header=BB665_213 Depth=1
	s_or_b64 exec, exec, s[14:15]
.LBB665_567:                            ;   in Loop: Header=BB665_213 Depth=1
	s_or_b64 exec, exec, s[12:13]
	v_cmp_lt_u32_e32 vcc, s20, v40
	v_mov_b32_e32 v49, 0
	v_mov_b32_e32 v50, 0
	s_and_saveexec_b64 s[12:13], vcc
	s_cbranch_execz .LBB665_573
; %bb.568:                              ;   in Loop: Header=BB665_213 Depth=1
	v_lshrrev_b32_e32 v42, 24, v40
	v_cmp_ne_u32_e32 vcc, s9, v42
	v_bfrev_b32_e32 v50, 1
	s_and_saveexec_b64 s[14:15], vcc
	s_cbranch_execz .LBB665_572
; %bb.569:                              ;   in Loop: Header=BB665_213 Depth=1
	v_bfe_u32 v40, v40, 24, 7
	v_cmp_ne_u32_e32 vcc, s19, v40
	v_mov_b32_e32 v50, 0x7f800001
	s_and_saveexec_b64 s[16:17], vcc
	s_cbranch_execz .LBB665_571
; %bb.570:                              ;   in Loop: Header=BB665_213 Depth=1
	v_and_b32_e32 v52, 7, v42
	v_ffbh_u32_e32 v50, v52
	v_min_u32_e32 v60, 32, v50
	v_subrev_u32_e32 v50, 28, v60
	v_lshlrev_b64 v[50:51], v50, v[42:43]
	v_lshrrev_b32_e32 v53, 3, v40
	v_sub_u32_e32 v51, 29, v60
	v_and_b32_e32 v50, 7, v50
	v_cmp_gt_u32_e32 vcc, 8, v40
	v_cndmask_b32_e32 v40, v53, v51, vcc
	v_cndmask_b32_e32 v50, v52, v50, vcc
	v_lshlrev_b32_e32 v42, 24, v42
	v_lshlrev_b32_e32 v50, 20, v50
	v_and_b32_e32 v42, 0x80000000, v42
	v_lshl_add_u32 v40, v40, 23, v48
	v_or3_b32 v50, v42, v40, v50
.LBB665_571:                            ;   in Loop: Header=BB665_213 Depth=1
	s_or_b64 exec, exec, s[16:17]
.LBB665_572:                            ;   in Loop: Header=BB665_213 Depth=1
	s_or_b64 exec, exec, s[14:15]
.LBB665_573:                            ;   in Loop: Header=BB665_213 Depth=1
	s_or_b64 exec, exec, s[12:13]
	s_waitcnt vmcnt(0)
	v_cmp_ne_u16_sdwa s[14:15], v38, v47 src0_sel:BYTE_0 src1_sel:DWORD
	s_and_saveexec_b64 s[12:13], s[14:15]
	s_cbranch_execz .LBB665_579
; %bb.574:                              ;   in Loop: Header=BB665_213 Depth=1
	v_cmp_ne_u16_sdwa s[16:17], v38, s9 src0_sel:BYTE_0 src1_sel:DWORD
	v_bfrev_b32_e32 v49, 1
	s_and_saveexec_b64 s[14:15], s[16:17]
	s_cbranch_execz .LBB665_578
; %bb.575:                              ;   in Loop: Header=BB665_213 Depth=1
	v_and_b32_e32 v40, 0x7f, v38
	v_cmp_ne_u32_e32 vcc, s19, v40
	v_mov_b32_e32 v49, 0x7f800001
	s_and_saveexec_b64 s[16:17], vcc
	s_cbranch_execz .LBB665_577
; %bb.576:                              ;   in Loop: Header=BB665_213 Depth=1
	v_and_b32_e32 v42, 7, v38
	v_ffbh_u32_e32 v51, v42
	v_min_u32_e32 v51, 32, v51
	v_subrev_u32_e32 v52, 28, v51
	v_lshlrev_b64 v[52:53], v52, v[38:39]
	v_lshrrev_b32_e32 v49, 3, v40
	v_sub_u32_e32 v51, 29, v51
	v_and_b32_e32 v52, 7, v52
	v_cmp_gt_u32_e32 vcc, 8, v40
	v_cndmask_b32_e32 v40, v49, v51, vcc
	v_cndmask_b32_e32 v42, v42, v52, vcc
	v_lshlrev_b32_e32 v49, 24, v38
	v_lshlrev_b32_e32 v42, 20, v42
	v_and_b32_e32 v49, 0x80000000, v49
	v_lshl_add_u32 v40, v40, 23, v48
	v_or3_b32 v49, v49, v40, v42
.LBB665_577:                            ;   in Loop: Header=BB665_213 Depth=1
	s_or_b64 exec, exec, s[16:17]
.LBB665_578:                            ;   in Loop: Header=BB665_213 Depth=1
	s_or_b64 exec, exec, s[14:15]
.LBB665_579:                            ;   in Loop: Header=BB665_213 Depth=1
	s_or_b64 exec, exec, s[12:13]
	v_lshrrev_b16_e32 v40, 8, v38
	v_cmp_ne_u16_e32 vcc, 0, v40
	v_mov_b32_e32 v42, 0
	v_mov_b32_e32 v51, 0
	s_and_saveexec_b64 s[12:13], vcc
	s_cbranch_execz .LBB665_585
; %bb.580:                              ;   in Loop: Header=BB665_213 Depth=1
	v_cmp_ne_u16_e32 vcc, s9, v40
	v_bfrev_b32_e32 v51, 1
	s_and_saveexec_b64 s[14:15], vcc
	s_cbranch_execz .LBB665_584
; %bb.581:                              ;   in Loop: Header=BB665_213 Depth=1
	v_and_b32_e32 v52, 0x7f, v40
	v_cmp_ne_u32_e32 vcc, s19, v52
	v_mov_b32_e32 v51, 0x7f800001
	s_and_saveexec_b64 s[16:17], vcc
	s_cbranch_execz .LBB665_583
; %bb.582:                              ;   in Loop: Header=BB665_213 Depth=1
	v_and_b32_e32 v51, 7, v40
	v_ffbh_u32_e32 v60, v51
	v_min_u32_e32 v62, 32, v60
	v_subrev_u32_e32 v60, 28, v62
	v_lshlrev_b64 v[60:61], v60, v[40:41]
	v_lshrrev_b32_e32 v53, 3, v52
	v_sub_u32_e32 v40, 29, v62
	v_and_b32_e32 v60, 7, v60
	v_cmp_gt_u32_e32 vcc, 8, v52
	v_cndmask_b32_e32 v40, v53, v40, vcc
	v_cndmask_b32_e32 v51, v51, v60, vcc
	v_lshlrev_b32_e32 v52, 16, v38
	v_lshlrev_b32_e32 v51, 20, v51
	v_and_b32_e32 v52, 0x80000000, v52
	v_lshl_add_u32 v40, v40, 23, v48
	v_or3_b32 v51, v52, v40, v51
.LBB665_583:                            ;   in Loop: Header=BB665_213 Depth=1
	s_or_b64 exec, exec, s[16:17]
.LBB665_584:                            ;   in Loop: Header=BB665_213 Depth=1
	s_or_b64 exec, exec, s[14:15]
.LBB665_585:                            ;   in Loop: Header=BB665_213 Depth=1
	s_or_b64 exec, exec, s[12:13]
	v_lshrrev_b32_e32 v40, 16, v38
	v_cmp_ne_u16_sdwa s[14:15], v40, v47 src0_sel:BYTE_0 src1_sel:DWORD
	s_and_saveexec_b64 s[12:13], s[14:15]
	s_cbranch_execz .LBB665_591
; %bb.586:                              ;   in Loop: Header=BB665_213 Depth=1
	v_cmp_ne_u16_sdwa s[16:17], v40, s9 src0_sel:BYTE_0 src1_sel:DWORD
	v_bfrev_b32_e32 v42, 1
	s_and_saveexec_b64 s[14:15], s[16:17]
	s_cbranch_execz .LBB665_590
; %bb.587:                              ;   in Loop: Header=BB665_213 Depth=1
	v_bfe_u32 v52, v38, 16, 7
	v_cmp_ne_u32_e32 vcc, s19, v52
	v_mov_b32_e32 v42, 0x7f800001
	s_and_saveexec_b64 s[16:17], vcc
	s_cbranch_execz .LBB665_589
; %bb.588:                              ;   in Loop: Header=BB665_213 Depth=1
	v_and_b32_e32 v42, 7, v40
	v_ffbh_u32_e32 v60, v42
	v_min_u32_e32 v62, 32, v60
	v_subrev_u32_e32 v60, 28, v62
	v_lshlrev_b64 v[60:61], v60, v[40:41]
	v_lshrrev_b32_e32 v53, 3, v52
	v_sub_u32_e32 v61, 29, v62
	v_and_b32_e32 v60, 7, v60
	v_cmp_gt_u32_e32 vcc, 8, v52
	v_cndmask_b32_e32 v52, v53, v61, vcc
	v_cndmask_b32_e32 v42, v42, v60, vcc
	v_lshlrev_b32_e32 v40, 24, v40
	v_lshlrev_b32_e32 v42, 20, v42
	v_and_b32_e32 v40, 0x80000000, v40
	v_lshl_add_u32 v52, v52, 23, v48
	v_or3_b32 v42, v40, v52, v42
.LBB665_589:                            ;   in Loop: Header=BB665_213 Depth=1
	s_or_b64 exec, exec, s[16:17]
.LBB665_590:                            ;   in Loop: Header=BB665_213 Depth=1
	s_or_b64 exec, exec, s[14:15]
.LBB665_591:                            ;   in Loop: Header=BB665_213 Depth=1
	s_or_b64 exec, exec, s[12:13]
	v_cmp_lt_u32_e32 vcc, s20, v38
	v_mov_b32_e32 v52, 0
	s_and_saveexec_b64 s[12:13], vcc
	s_cbranch_execz .LBB665_212
; %bb.592:                              ;   in Loop: Header=BB665_213 Depth=1
	v_lshrrev_b32_e32 v40, 24, v38
	v_cmp_ne_u32_e32 vcc, s9, v40
	v_bfrev_b32_e32 v52, 1
	s_and_saveexec_b64 s[14:15], vcc
	s_cbranch_execz .LBB665_211
; %bb.593:                              ;   in Loop: Header=BB665_213 Depth=1
	v_bfe_u32 v38, v38, 24, 7
	v_cmp_ne_u32_e32 vcc, s19, v38
	v_mov_b32_e32 v52, 0x7f800001
	s_and_saveexec_b64 s[16:17], vcc
	s_cbranch_execz .LBB665_210
; %bb.594:                              ;   in Loop: Header=BB665_213 Depth=1
	v_and_b32_e32 v60, 7, v40
	v_ffbh_u32_e32 v52, v60
	v_min_u32_e32 v62, 32, v52
	v_subrev_u32_e32 v52, 28, v62
	v_lshlrev_b64 v[52:53], v52, v[40:41]
	v_lshrrev_b32_e32 v61, 3, v38
	v_sub_u32_e32 v53, 29, v62
	v_and_b32_e32 v52, 7, v52
	v_cmp_gt_u32_e32 vcc, 8, v38
	v_cndmask_b32_e32 v38, v61, v53, vcc
	v_cndmask_b32_e32 v52, v60, v52, vcc
	v_lshlrev_b32_e32 v40, 24, v40
	v_lshlrev_b32_e32 v52, 20, v52
	v_and_b32_e32 v40, 0x80000000, v40
	v_lshl_add_u32 v38, v38, 23, v48
	v_or3_b32 v52, v40, v38, v52
	s_branch .LBB665_210
.LBB665_595:
	s_barrier
	buffer_load_dword v2, off, s[0:3], 0 offset:320
	buffer_load_dword v5, off, s[0:3], 0 offset:332
	;; [unrolled: 1-line block ×4, first 2 shown]
	v_cmp_gt_u32_e32 vcc, 64, v0
	s_waitcnt vmcnt(0)
	ds_write2st64_b64 v43, v[2:3], v[4:5] offset1:1
	s_waitcnt lgkmcnt(0)
	s_barrier
	s_and_saveexec_b64 s[4:5], vcc
	s_cbranch_execz .LBB665_597
; %bb.596:
	s_lshl_b32 s6, s50, 7
	s_mul_i32 s4, s18, s8
	s_mul_hi_u32 s5, s4, s6
	s_mul_i32 s4, s4, s6
	s_lshl_b64 s[4:5], s[4:5], 1
	s_add_u32 s7, s48, s4
	v_lshlrev_b32_e32 v4, 6, v55
	s_addc_u32 s8, s49, s5
	s_lshl_b32 s4, s24, 7
	s_mov_b32 s5, 0
	v_lshl_or_b32 v0, v0, 10, v4
	s_lshl_b64 s[4:5], s[4:5], 1
	v_lshlrev_b32_e32 v2, 5, v1
	v_and_b32_e32 v3, 16, v56
	v_and_b32_e32 v0, 0x1a00, v0
	s_add_u32 s4, s7, s4
	v_or3_b32 v0, v0, v2, v3
	s_addc_u32 s5, s8, s5
	ds_read_b128 v[2:5], v0
	ds_read_b128 v[6:9], v0 offset:128
	ds_read_b128 v[10:13], v0 offset:256
	v_or_b32_e32 v14, s25, v1
	v_mov_b32_e32 v0, s5
	v_add_co_u32_e32 v15, vcc, s4, v54
	v_addc_co_u32_e32 v16, vcc, 0, v0, vcc
	v_mad_u64_u32 v[0:1], s[4:5], v14, s6, 0
	v_lshlrev_b64 v[0:1], 1, v[0:1]
	v_add_co_u32_e32 v0, vcc, v15, v0
	v_addc_co_u32_e32 v1, vcc, v16, v1, vcc
	s_waitcnt lgkmcnt(2)
	global_store_dwordx4 v[0:1], v[2:5], off
	v_add_u32_e32 v0, 4, v14
	v_mad_u64_u32 v[0:1], s[4:5], v0, s6, 0
	v_lshlrev_b64 v[0:1], 1, v[0:1]
	v_add_co_u32_e32 v0, vcc, v15, v0
	v_addc_co_u32_e32 v1, vcc, v16, v1, vcc
	s_waitcnt lgkmcnt(1)
	global_store_dwordx4 v[0:1], v[6:9], off
	v_add_u32_e32 v0, 8, v14
	v_mad_u64_u32 v[0:1], s[4:5], v0, s6, 0
	v_lshlrev_b64 v[0:1], 1, v[0:1]
	v_add_co_u32_e32 v0, vcc, v15, v0
	v_addc_co_u32_e32 v1, vcc, v16, v1, vcc
	s_waitcnt lgkmcnt(0)
	global_store_dwordx4 v[0:1], v[10:13], off
.LBB665_597:
	s_endpgm
	.section	.rodata,"a",@progbits
	.p2align	6, 0x0
	.amdhsa_kernel _Z39paged_attention_ll4mi_QKV_mfma16_kernelIDF16_hLN4vllm18Fp8KVCacheDataTypeE1EDF16_Li32ELi128ELi256ELb0ELi12EL8MFMAType0EEvPKT_PKT0_S8_ifPKiSA_SA_iPKfiiiPfSD_PS3_PT2_iSC_SC_
		.amdhsa_group_segment_fixed_size 8192
		.amdhsa_private_segment_fixed_size 352
		.amdhsa_kernarg_size 400
		.amdhsa_user_sgpr_count 8
		.amdhsa_user_sgpr_private_segment_buffer 1
		.amdhsa_user_sgpr_dispatch_ptr 0
		.amdhsa_user_sgpr_queue_ptr 0
		.amdhsa_user_sgpr_kernarg_segment_ptr 1
		.amdhsa_user_sgpr_dispatch_id 0
		.amdhsa_user_sgpr_flat_scratch_init 1
		.amdhsa_user_sgpr_kernarg_preload_length 0
		.amdhsa_user_sgpr_kernarg_preload_offset 0
		.amdhsa_user_sgpr_private_segment_size 0
		.amdhsa_uses_dynamic_stack 0
		.amdhsa_system_sgpr_private_segment_wavefront_offset 1
		.amdhsa_system_sgpr_workgroup_id_x 1
		.amdhsa_system_sgpr_workgroup_id_y 1
		.amdhsa_system_sgpr_workgroup_id_z 1
		.amdhsa_system_sgpr_workgroup_info 0
		.amdhsa_system_vgpr_workitem_id 0
		.amdhsa_next_free_vgpr 78
		.amdhsa_next_free_sgpr 53
		.amdhsa_accum_offset 80
		.amdhsa_reserve_vcc 1
		.amdhsa_reserve_flat_scratch 0
		.amdhsa_float_round_mode_32 0
		.amdhsa_float_round_mode_16_64 0
		.amdhsa_float_denorm_mode_32 3
		.amdhsa_float_denorm_mode_16_64 3
		.amdhsa_dx10_clamp 1
		.amdhsa_ieee_mode 1
		.amdhsa_fp16_overflow 0
		.amdhsa_tg_split 0
		.amdhsa_exception_fp_ieee_invalid_op 0
		.amdhsa_exception_fp_denorm_src 0
		.amdhsa_exception_fp_ieee_div_zero 0
		.amdhsa_exception_fp_ieee_overflow 0
		.amdhsa_exception_fp_ieee_underflow 0
		.amdhsa_exception_fp_ieee_inexact 0
		.amdhsa_exception_int_div_zero 0
	.end_amdhsa_kernel
	.section	.text._Z39paged_attention_ll4mi_QKV_mfma16_kernelIDF16_hLN4vllm18Fp8KVCacheDataTypeE1EDF16_Li32ELi128ELi256ELb0ELi12EL8MFMAType0EEvPKT_PKT0_S8_ifPKiSA_SA_iPKfiiiPfSD_PS3_PT2_iSC_SC_,"axG",@progbits,_Z39paged_attention_ll4mi_QKV_mfma16_kernelIDF16_hLN4vllm18Fp8KVCacheDataTypeE1EDF16_Li32ELi128ELi256ELb0ELi12EL8MFMAType0EEvPKT_PKT0_S8_ifPKiSA_SA_iPKfiiiPfSD_PS3_PT2_iSC_SC_,comdat
.Lfunc_end665:
	.size	_Z39paged_attention_ll4mi_QKV_mfma16_kernelIDF16_hLN4vllm18Fp8KVCacheDataTypeE1EDF16_Li32ELi128ELi256ELb0ELi12EL8MFMAType0EEvPKT_PKT0_S8_ifPKiSA_SA_iPKfiiiPfSD_PS3_PT2_iSC_SC_, .Lfunc_end665-_Z39paged_attention_ll4mi_QKV_mfma16_kernelIDF16_hLN4vllm18Fp8KVCacheDataTypeE1EDF16_Li32ELi128ELi256ELb0ELi12EL8MFMAType0EEvPKT_PKT0_S8_ifPKiSA_SA_iPKfiiiPfSD_PS3_PT2_iSC_SC_
                                        ; -- End function
	.section	.AMDGPU.csdata,"",@progbits
; Kernel info:
; codeLenInByte = 21248
; NumSgprs: 57
; NumVgprs: 78
; NumAgprs: 0
; TotalNumVgprs: 78
; ScratchSize: 352
; MemoryBound: 0
; FloatMode: 240
; IeeeMode: 1
; LDSByteSize: 8192 bytes/workgroup (compile time only)
; SGPRBlocks: 7
; VGPRBlocks: 9
; NumSGPRsForWavesPerEU: 57
; NumVGPRsForWavesPerEU: 78
; AccumOffset: 80
; Occupancy: 6
; WaveLimiterHint : 1
; COMPUTE_PGM_RSRC2:SCRATCH_EN: 1
; COMPUTE_PGM_RSRC2:USER_SGPR: 8
; COMPUTE_PGM_RSRC2:TRAP_HANDLER: 0
; COMPUTE_PGM_RSRC2:TGID_X_EN: 1
; COMPUTE_PGM_RSRC2:TGID_Y_EN: 1
; COMPUTE_PGM_RSRC2:TGID_Z_EN: 1
; COMPUTE_PGM_RSRC2:TIDIG_COMP_CNT: 0
; COMPUTE_PGM_RSRC3_GFX90A:ACCUM_OFFSET: 19
; COMPUTE_PGM_RSRC3_GFX90A:TG_SPLIT: 0
	.section	.text._Z39paged_attention_ll4mi_QKV_mfma16_kernelIDF16_hLN4vllm18Fp8KVCacheDataTypeE1EDF16_Li32ELi128ELi256ELb0ELi13EL8MFMAType0EEvPKT_PKT0_S8_ifPKiSA_SA_iPKfiiiPfSD_PS3_PT2_iSC_SC_,"axG",@progbits,_Z39paged_attention_ll4mi_QKV_mfma16_kernelIDF16_hLN4vllm18Fp8KVCacheDataTypeE1EDF16_Li32ELi128ELi256ELb0ELi13EL8MFMAType0EEvPKT_PKT0_S8_ifPKiSA_SA_iPKfiiiPfSD_PS3_PT2_iSC_SC_,comdat
	.protected	_Z39paged_attention_ll4mi_QKV_mfma16_kernelIDF16_hLN4vllm18Fp8KVCacheDataTypeE1EDF16_Li32ELi128ELi256ELb0ELi13EL8MFMAType0EEvPKT_PKT0_S8_ifPKiSA_SA_iPKfiiiPfSD_PS3_PT2_iSC_SC_ ; -- Begin function _Z39paged_attention_ll4mi_QKV_mfma16_kernelIDF16_hLN4vllm18Fp8KVCacheDataTypeE1EDF16_Li32ELi128ELi256ELb0ELi13EL8MFMAType0EEvPKT_PKT0_S8_ifPKiSA_SA_iPKfiiiPfSD_PS3_PT2_iSC_SC_
	.globl	_Z39paged_attention_ll4mi_QKV_mfma16_kernelIDF16_hLN4vllm18Fp8KVCacheDataTypeE1EDF16_Li32ELi128ELi256ELb0ELi13EL8MFMAType0EEvPKT_PKT0_S8_ifPKiSA_SA_iPKfiiiPfSD_PS3_PT2_iSC_SC_
	.p2align	8
	.type	_Z39paged_attention_ll4mi_QKV_mfma16_kernelIDF16_hLN4vllm18Fp8KVCacheDataTypeE1EDF16_Li32ELi128ELi256ELb0ELi13EL8MFMAType0EEvPKT_PKT0_S8_ifPKiSA_SA_iPKfiiiPfSD_PS3_PT2_iSC_SC_,@function
_Z39paged_attention_ll4mi_QKV_mfma16_kernelIDF16_hLN4vllm18Fp8KVCacheDataTypeE1EDF16_Li32ELi128ELi256ELb0ELi13EL8MFMAType0EEvPKT_PKT0_S8_ifPKiSA_SA_iPKfiiiPfSD_PS3_PT2_iSC_SC_: ; @_Z39paged_attention_ll4mi_QKV_mfma16_kernelIDF16_hLN4vllm18Fp8KVCacheDataTypeE1EDF16_Li32ELi128ELi256ELb0ELi13EL8MFMAType0EEvPKT_PKT0_S8_ifPKiSA_SA_iPKfiiiPfSD_PS3_PT2_iSC_SC_
; %bb.0:
	s_load_dwordx2 s[6:7], s[4:5], 0x30
	s_add_u32 s0, s0, s11
	s_addc_u32 s1, s1, 0
	s_mov_b32 s24, s9
	s_mov_b64 s[12:13], 0
	s_waitcnt lgkmcnt(0)
	s_cmp_lg_u64 s[6:7], 0
	s_cselect_b64 s[16:17], -1, 0
	s_and_b64 vcc, exec, s[16:17]
	s_cbranch_vccz .LBB666_7
; %bb.1:
	s_add_i32 s14, s8, 1
	s_mov_b32 s15, 0
	s_lshl_b64 s[18:19], s[14:15], 2
	s_add_u32 s18, s6, s18
	s_mov_b32 s9, s15
	s_addc_u32 s19, s7, s19
	s_lshl_b64 s[14:15], s[8:9], 2
	s_add_u32 s14, s6, s14
	s_addc_u32 s15, s7, s15
	s_load_dword s11, s[18:19], 0x0
	s_load_dword s20, s[14:15], 0x0
	s_waitcnt lgkmcnt(0)
	s_sub_i32 s11, s11, s20
	s_cmp_eq_u32 s11, 1
	s_cselect_b64 s[14:15], -1, 0
	s_andn2_b64 vcc, exec, s[12:13]
	s_cbranch_vccnz .LBB666_3
.LBB666_2:
	s_mov_b32 s9, 0
	s_mov_b64 s[14:15], -1
.LBB666_3:
	s_andn2_b64 vcc, exec, s[14:15]
	s_cbranch_vccnz .LBB666_598
; %bb.4:
	s_load_dwordx2 s[12:13], s[4:5], 0x28
	s_lshl_b64 s[18:19], s[8:9], 2
	s_waitcnt lgkmcnt(0)
	s_add_u32 s12, s12, s18
	s_addc_u32 s13, s13, s19
	s_load_dword s33, s[12:13], 0x0
	s_lshl_b32 s20, s24, 8
	s_waitcnt lgkmcnt(0)
	s_cmp_ge_i32 s20, s33
	s_cbranch_scc1 .LBB666_598
; %bb.5:
	s_add_i32 s14, s33, 31
	s_load_dwordx2 s[12:13], s[4:5], 0x20
	s_load_dword s11, s[4:5], 0x38
	s_ashr_i32 s15, s14, 31
	v_and_b32_e32 v1, 0xcf, v0
	s_lshr_b32 s15, s15, 27
	v_add_u32_e32 v1, s20, v1
	s_add_i32 s14, s14, s15
	v_ashrrev_i32_e32 v2, 31, v1
	s_ashr_i32 s22, s14, 5
	v_lshrrev_b32_e32 v10, 27, v2
	s_add_i32 s22, s22, -1
	v_add_u32_e32 v2, v1, v10
	s_waitcnt lgkmcnt(0)
	s_mul_i32 s14, s8, s11
	s_mov_b32 s15, 0
	v_ashrrev_i32_e32 v2, 5, v2
	v_mov_b32_e32 v11, s22
	v_cmp_gt_i32_e32 vcc, s33, v1
	s_lshl_b64 s[14:15], s[14:15], 2
	v_cndmask_b32_e32 v2, v11, v2, vcc
	s_add_u32 s11, s12, s14
	v_ashrrev_i32_e32 v3, 31, v2
	s_addc_u32 s21, s13, s15
	v_lshlrev_b64 v[2:3], 2, v[2:3]
	v_mov_b32_e32 v5, s21
	v_add_co_u32_e32 v4, vcc, s11, v2
	v_or_b32_e32 v2, 16, v1
	v_addc_co_u32_e32 v5, vcc, v5, v3, vcc
	v_add_u32_e32 v3, v2, v10
	v_ashrrev_i32_e32 v3, 5, v3
	v_cmp_gt_i32_e32 vcc, s33, v2
	v_cndmask_b32_e32 v2, v11, v3, vcc
	v_ashrrev_i32_e32 v3, 31, v2
	v_lshlrev_b64 v[2:3], 2, v[2:3]
	v_mov_b32_e32 v7, s21
	v_add_co_u32_e32 v6, vcc, s11, v2
	v_or_b32_e32 v2, 32, v1
	v_addc_co_u32_e32 v7, vcc, v7, v3, vcc
	v_add_u32_e32 v3, v2, v10
	v_ashrrev_i32_e32 v3, 5, v3
	v_cmp_gt_i32_e32 vcc, s33, v2
	v_cndmask_b32_e32 v2, v11, v3, vcc
	v_ashrrev_i32_e32 v3, 31, v2
	;; [unrolled: 10-line block ×3, first 2 shown]
	v_lshlrev_b64 v[2:3], 2, v[2:3]
	v_mov_b32_e32 v1, s21
	v_add_co_u32_e32 v12, vcc, s11, v2
	v_addc_co_u32_e32 v13, vcc, v1, v3, vcc
	global_load_dword v2, v[4:5], off
	global_load_dword v10, v[6:7], off
	global_load_dword v18, v[8:9], off
	global_load_dword v24, v[12:13], off
	s_load_dwordx4 s[12:15], s[4:5], 0x8
	s_andn2_b64 vcc, exec, s[16:17]
	s_cbranch_vccnz .LBB666_8
; %bb.6:
	s_add_u32 s6, s6, s18
	s_addc_u32 s7, s7, s19
	s_load_dword s16, s[6:7], 0x0
	s_branch .LBB666_9
.LBB666_7:
	s_mov_b64 s[14:15], 0
	s_branch .LBB666_2
.LBB666_8:
	s_mov_b32 s16, s8
.LBB666_9:
	s_load_dwordx2 s[48:49], s[4:5], 0x68
	s_load_dwordx8 s[40:47], s[4:5], 0x48
	v_lshrrev_b32_e32 v62, 6, v0
	v_bfe_u32 v1, v0, 4, 2
	v_and_b32_e32 v55, 15, v0
	v_lshl_or_b32 v3, v62, 2, v1
	v_lshlrev_b32_e32 v4, 3, v55
	s_mul_i32 s25, s10, 13
	v_cmp_gt_u32_e32 vcc, 13, v3
	v_lshlrev_b32_e32 v54, 1, v4
	v_lshlrev_b32_e32 v56, 4, v0
	s_and_saveexec_b64 s[6:7], vcc
	s_cbranch_execz .LBB666_11
; %bb.10:
	s_load_dwordx2 s[18:19], s[4:5], 0x0
	s_waitcnt lgkmcnt(0)
	s_ashr_i32 s17, s40, 31
	s_mul_hi_u32 s23, s16, s40
	s_mul_i32 s17, s16, s17
	s_add_i32 s17, s23, s17
	s_mul_i32 s16, s16, s40
	s_lshl_b64 s[16:17], s[16:17], 1
	v_add_lshl_u32 v4, v3, s25, 7
	s_add_u32 s16, s18, s16
	v_ashrrev_i32_e32 v5, 31, v4
	s_addc_u32 s17, s19, s17
	v_lshlrev_b64 v[4:5], 1, v[4:5]
	v_mov_b32_e32 v6, s17
	v_add_co_u32_e32 v4, vcc, s16, v4
	v_addc_co_u32_e32 v5, vcc, v6, v5, vcc
	v_add_co_u32_e32 v4, vcc, v4, v54
	v_addc_co_u32_e32 v5, vcc, 0, v5, vcc
	global_load_dwordx4 v[4:7], v[4:5], off
	v_lshlrev_b32_e32 v9, 8, v0
	v_lshlrev_b32_e32 v8, 8, v55
	v_and_b32_e32 v9, 0x600, v9
	s_movk_i32 s16, 0x800
	v_and_or_b32 v8, v8, s16, v9
	v_lshlrev_b32_e32 v3, 5, v3
	v_and_b32_e32 v9, 16, v56
	v_or3_b32 v3, v8, v3, v9
	s_waitcnt vmcnt(0)
	ds_write_b128 v3, v[4:7]
.LBB666_11:
	s_or_b64 exec, exec, s[6:7]
	s_waitcnt lgkmcnt(0)
	s_mul_i32 s10, s10, s42
	s_add_u32 s6, s12, s10
	s_addc_u32 s7, s13, 0
	v_and_b32_e32 v3, 48, v0
	v_pk_mov_b32 v[22:23], s[6:7], s[6:7] op_sel:[0,1]
	s_ashr_i32 s6, s20, 31
	v_lshlrev_b32_e32 v25, 5, v3
	v_or_b32_e32 v3, s20, v3
	s_lshr_b32 s6, s6, 27
	v_add_u32_e32 v4, s6, v3
	v_ashrrev_i32_e32 v4, 5, v4
	v_mov_b32_e32 v11, s22
	v_cmp_gt_i32_e32 vcc, s33, v3
	v_cndmask_b32_e32 v4, v11, v4, vcc
	v_ashrrev_i32_e32 v5, 31, v4
	v_lshlrev_b64 v[4:5], 2, v[4:5]
	v_mov_b32_e32 v6, s21
	v_add_co_u32_e32 v4, vcc, s11, v4
	v_addc_co_u32_e32 v5, vcc, v6, v5, vcc
	v_or_b32_e32 v6, 64, v3
	v_add_u32_e32 v7, s6, v6
	v_ashrrev_i32_e32 v7, 5, v7
	v_cmp_gt_i32_e32 vcc, s33, v6
	v_cndmask_b32_e32 v6, v11, v7, vcc
	v_ashrrev_i32_e32 v7, 31, v6
	v_lshlrev_b64 v[6:7], 2, v[6:7]
	v_mov_b32_e32 v8, s21
	v_add_co_u32_e32 v6, vcc, s11, v6
	v_addc_co_u32_e32 v7, vcc, v8, v7, vcc
	v_or_b32_e32 v8, 0x80, v3
	v_add_u32_e32 v9, s6, v8
	v_ashrrev_i32_e32 v9, 5, v9
	v_cmp_gt_i32_e32 vcc, s33, v8
	v_cndmask_b32_e32 v8, v11, v9, vcc
	v_ashrrev_i32_e32 v9, 31, v8
	v_lshlrev_b64 v[8:9], 2, v[8:9]
	v_mov_b32_e32 v12, s21
	v_add_co_u32_e32 v8, vcc, s11, v8
	v_or_b32_e32 v3, 0xc0, v3
	s_load_dwordx2 s[50:51], s[4:5], 0x94
	s_waitcnt lgkmcnt(0)
	s_barrier
	v_addc_co_u32_e32 v9, vcc, v12, v9, vcc
	global_load_dword v50, v[4:5], off
	global_load_dword v57, v[6:7], off
	v_add_u32_e32 v4, s6, v3
	v_ashrrev_i32_e32 v4, 5, v4
	v_cmp_gt_i32_e32 vcc, s33, v3
	v_cndmask_b32_e32 v4, v11, v4, vcc
	v_ashrrev_i32_e32 v5, 31, v4
	v_lshlrev_b64 v[4:5], 2, v[4:5]
	v_mov_b32_e32 v3, s21
	v_add_co_u32_e32 v4, vcc, s11, v4
	v_addc_co_u32_e32 v5, vcc, v3, v5, vcc
	global_load_dword v64, v[8:9], off
	global_load_dword v65, v[4:5], off
	s_waitcnt vmcnt(7)
	v_mad_i64_i32 v[2:3], s[6:7], v2, s41, v[22:23]
	v_lshlrev_b32_e32 v26, 4, v55
	v_add_co_u32_e32 v2, vcc, v2, v26
	v_addc_co_u32_e32 v3, vcc, 0, v3, vcc
	v_add_co_u32_e32 v12, vcc, v2, v25
	v_addc_co_u32_e32 v13, vcc, 0, v3, vcc
	global_load_dwordx4 v[6:9], v[12:13], off
	global_load_dwordx4 v[2:5], v[12:13], off offset:2048
	s_waitcnt vmcnt(8)
	v_mad_i64_i32 v[10:11], s[6:7], v10, s41, v[22:23]
	v_or_b32_e32 v28, 0x100, v26
	v_add_co_u32_e32 v10, vcc, v10, v28
	v_addc_co_u32_e32 v11, vcc, 0, v11, vcc
	v_add_co_u32_e32 v20, vcc, v10, v25
	v_addc_co_u32_e32 v21, vcc, 0, v11, vcc
	s_waitcnt vmcnt(7)
	v_mad_i64_i32 v[18:19], s[6:7], v18, s41, v[22:23]
	v_add_co_u32_e32 v18, vcc, v18, v26
	v_addc_co_u32_e32 v19, vcc, 0, v19, vcc
	v_add_co_u32_e32 v26, vcc, v18, v25
	v_addc_co_u32_e32 v27, vcc, 0, v19, vcc
	s_waitcnt vmcnt(6)
	v_mad_i64_i32 v[22:23], s[6:7], v24, s41, v[22:23]
	v_add_co_u32_e32 v22, vcc, v22, v28
	v_addc_co_u32_e32 v23, vcc, 0, v23, vcc
	v_add_co_u32_e32 v30, vcc, v22, v25
	v_addc_co_u32_e32 v31, vcc, 0, v23, vcc
	s_add_u32 s6, s14, s10
	global_load_dwordx4 v[10:13], v[20:21], off
	global_load_dwordx4 v[14:17], v[20:21], off offset:2048
	global_load_dwordx4 v[38:41], v[26:27], off
	s_nop 0
	global_load_dwordx4 v[18:21], v[26:27], off offset:2048
	s_nop 0
	global_load_dwordx4 v[26:29], v[30:31], off
	global_load_dwordx4 v[22:25], v[30:31], off offset:2048
	s_addc_u32 s7, s15, 0
	v_and_b32_e32 v30, 16, v0
	v_mov_b32_e32 v31, s7
	v_add_co_u32_e32 v51, vcc, s6, v30
	v_lshl_or_b32 v63, v62, 4, v55
	v_addc_co_u32_e32 v52, vcc, 0, v31, vcc
	v_lshlrev_b32_e32 v53, 5, v63
	v_add_co_u32_e32 v42, vcc, v51, v53
	v_addc_co_u32_e32 v43, vcc, 0, v52, vcc
	v_or_b32_e32 v53, 0x800, v53
	v_add_co_u32_e32 v58, vcc, v51, v53
	v_addc_co_u32_e32 v59, vcc, 0, v52, vcc
	v_cmp_gt_u32_e32 vcc, 13, v55
	s_waitcnt vmcnt(11)
	v_mad_i64_i32 v[30:31], s[6:7], v50, s41, v[42:43]
	s_waitcnt vmcnt(10)
	v_mad_i64_i32 v[34:35], s[6:7], v57, s41, v[42:43]
	global_load_dwordx4 v[30:33], v[30:31], off
	v_mad_i64_i32 v[50:51], s[6:7], v50, s41, v[58:59]
	global_load_dwordx4 v[34:37], v[34:35], off
	v_mad_i64_i32 v[60:61], s[6:7], v57, s41, v[58:59]
	s_mov_b32 s12, 0
	s_movk_i32 s13, 0x80
	s_waitcnt vmcnt(11)
	v_mad_i64_i32 v[44:45], s[6:7], v64, s41, v[42:43]
	s_waitcnt vmcnt(10)
	v_mad_i64_i32 v[42:43], s[6:7], v65, s41, v[42:43]
	global_load_dwordx4 v[46:49], v[44:45], off
	s_nop 0
	global_load_dwordx4 v[42:45], v[42:43], off
	s_movk_i32 s14, 0x7f
	global_load_dwordx4 v[50:53], v[50:51], off
	s_mov_b32 s15, 0xffffff
	global_load_dwordx4 v[66:69], v[60:61], off
	s_waitcnt vmcnt(13)
	buffer_store_dword v9, off, s[0:3], 0 offset:12
	buffer_store_dword v8, off, s[0:3], 0 offset:8
	v_mad_i64_i32 v[8:9], s[6:7], v64, s41, v[58:59]
	global_load_dwordx4 v[70:73], v[8:9], off
	v_mad_i64_i32 v[8:9], s[6:7], v65, s41, v[58:59]
	global_load_dwordx4 v[74:77], v[8:9], off
	v_and_b32_e32 v64, 63, v0
	buffer_store_dword v7, off, s[0:3], 0 offset:4
	buffer_store_dword v6, off, s[0:3], 0
	s_waitcnt vmcnt(18)
	buffer_store_dword v5, off, s[0:3], 0 offset:28
	buffer_store_dword v4, off, s[0:3], 0 offset:24
	;; [unrolled: 1-line block ×4, first 2 shown]
	s_waitcnt vmcnt(21)
	buffer_store_dword v13, off, s[0:3], 0 offset:44
	buffer_store_dword v12, off, s[0:3], 0 offset:40
	;; [unrolled: 1-line block ×4, first 2 shown]
	v_mov_b32_e32 v2, 0x80
	s_load_dword s6, s[4:5], 0x1c
	s_load_dwordx4 s[40:43], s[4:5], 0x80
	v_add_u32_e32 v57, 16, v2
	s_waitcnt vmcnt(24)
	buffer_store_dword v17, off, s[0:3], 0 offset:60
	buffer_store_dword v16, off, s[0:3], 0 offset:56
	;; [unrolled: 1-line block ×4, first 2 shown]
	v_add_u32_e32 v61, 32, v2
	v_add_u32_e32 v58, 48, v2
	;; [unrolled: 1-line block ×4, first 2 shown]
	s_waitcnt vmcnt(27)
	buffer_store_dword v41, off, s[0:3], 0 offset:76
	buffer_store_dword v40, off, s[0:3], 0 offset:72
	;; [unrolled: 1-line block ×4, first 2 shown]
	v_add_u32_e32 v41, 0x60, v2
	v_add_u32_e32 v39, 0x70, v2
	v_add_u32_e32 v2, -13, v55
	v_cndmask_b32_e32 v2, v2, v55, vcc
	v_lshlrev_b32_e32 v2, 5, v2
	v_lshl_add_u32 v14, v1, 9, v2
	ds_read_b128 v[2:5], v14
	ds_read_b128 v[6:9], v14 offset:16
	ds_read_b128 v[10:13], v14 offset:2048
	;; [unrolled: 1-line block ×3, first 2 shown]
	s_waitcnt vmcnt(30)
	buffer_store_dword v21, off, s[0:3], 0 offset:92
	buffer_store_dword v20, off, s[0:3], 0 offset:88
	buffer_store_dword v19, off, s[0:3], 0 offset:84
	buffer_store_dword v18, off, s[0:3], 0 offset:80
	s_waitcnt vmcnt(33)
	buffer_store_dword v29, off, s[0:3], 0 offset:108
	buffer_store_dword v28, off, s[0:3], 0 offset:104
	buffer_store_dword v27, off, s[0:3], 0 offset:100
	buffer_store_dword v26, off, s[0:3], 0 offset:96
	;; [unrolled: 5-line block ×10, first 2 shown]
	s_waitcnt vmcnt(58)
	buffer_store_dword v77, off, s[0:3], 0 offset:252
	s_waitcnt lgkmcnt(0)
	s_load_dword s4, s[40:41], 0x0
	v_mov_b32_e32 v18, s6
	v_mov_b32_e32 v27, 0
	;; [unrolled: 1-line block ×4, first 2 shown]
	s_waitcnt lgkmcnt(0)
	v_mul_f32_e32 v22, s4, v18
	v_mov_b32_e32 v24, v22
	v_mov_b32_e32 v25, v22
	v_bfrev_b32_e32 v33, 60
	buffer_store_dword v76, off, s[0:3], 0 offset:248
	buffer_store_dword v75, off, s[0:3], 0 offset:244
	;; [unrolled: 1-line block ×3, first 2 shown]
	s_branch .LBB666_15
.LBB666_12:                             ;   in Loop: Header=BB666_15 Depth=1
	s_or_b64 exec, exec, s[10:11]
.LBB666_13:                             ;   in Loop: Header=BB666_15 Depth=1
	s_or_b64 exec, exec, s[6:7]
.LBB666_14:                             ;   in Loop: Header=BB666_15 Depth=1
	s_or_b64 exec, exec, s[4:5]
	v_cvt_pkrtz_f16_f32 v42, v34, v32
	v_cvt_pkrtz_f16_f32 v43, v23, v36
	v_cvt_pkrtz_f16_f32 v34, v35, v37
	v_cvt_pkrtz_f16_f32 v35, v30, v38
	v_add_u32_e32 v26, s12, v31
	v_mfma_f32_16x16x16f16 v[18:21], v[42:43], v[14:15], v[18:21]
	s_add_i32 s12, s12, 16
	v_mov_b32_e32 v23, v22
	s_cmp_eq_u32 s12, 64
	v_add_u32_e32 v27, 32, v27
	v_mfma_f32_16x16x16f16 v[18:21], v[34:35], v[16:17], v[18:21]
	s_nop 7
	s_nop 2
	v_pk_mul_f32 v[18:19], v[24:25], v[18:19]
	v_pk_mul_f32 v[20:21], v[22:23], v[20:21]
	buffer_store_dword v19, v26, s[0:3], 0 offen offset:4
	buffer_store_dword v18, v26, s[0:3], 0 offen
	buffer_store_dword v21, v26, s[0:3], 0 offen offset:12
	buffer_store_dword v20, v26, s[0:3], 0 offen offset:8
	s_cbranch_scc1 .LBB666_205
.LBB666_15:                             ; =>This Inner Loop Header: Depth=1
	buffer_load_dword v20, v27, s[0:3], 0 offen
	buffer_load_dword v18, v27, s[0:3], 0 offen offset:4
	buffer_load_dword v28, v27, s[0:3], 0 offen offset:8
	;; [unrolled: 1-line block ×3, first 2 shown]
	v_mov_b32_e32 v19, 0
	s_waitcnt vmcnt(3)
	v_cmp_ne_u16_sdwa s[6:7], v20, v29 src0_sel:BYTE_0 src1_sel:DWORD
	s_and_saveexec_b64 s[4:5], s[6:7]
	s_cbranch_execz .LBB666_21
; %bb.16:                               ;   in Loop: Header=BB666_15 Depth=1
	v_cmp_ne_u16_sdwa s[10:11], v20, s13 src0_sel:BYTE_0 src1_sel:DWORD
	v_bfrev_b32_e32 v19, 1
	s_and_saveexec_b64 s[6:7], s[10:11]
	s_cbranch_execz .LBB666_20
; %bb.17:                               ;   in Loop: Header=BB666_15 Depth=1
	v_and_b32_e32 v21, 0x7f, v20
	v_cmp_ne_u32_e32 vcc, s14, v21
	v_mov_b32_e32 v19, 0x7f800001
	s_and_saveexec_b64 s[10:11], vcc
	s_cbranch_execz .LBB666_19
; %bb.18:                               ;   in Loop: Header=BB666_15 Depth=1
	v_and_b32_e32 v19, 7, v20
	v_ffbh_u32_e32 v30, v19
	v_min_u32_e32 v30, 32, v30
	v_subrev_u32_e32 v32, 28, v30
	v_lshlrev_b64 v[34:35], v32, v[20:21]
	v_lshrrev_b32_e32 v23, 3, v21
	v_sub_u32_e32 v30, 29, v30
	v_and_b32_e32 v32, 7, v34
	v_cmp_gt_u32_e32 vcc, 8, v21
	v_cndmask_b32_e32 v21, v23, v30, vcc
	v_cndmask_b32_e32 v19, v19, v32, vcc
	v_lshlrev_b32_e32 v23, 24, v20
	v_lshlrev_b32_e32 v19, 20, v19
	v_and_b32_e32 v23, 0x80000000, v23
	v_lshl_add_u32 v21, v21, 23, v33
	v_or3_b32 v19, v23, v21, v19
.LBB666_19:                             ;   in Loop: Header=BB666_15 Depth=1
	s_or_b64 exec, exec, s[10:11]
.LBB666_20:                             ;   in Loop: Header=BB666_15 Depth=1
	s_or_b64 exec, exec, s[6:7]
.LBB666_21:                             ;   in Loop: Header=BB666_15 Depth=1
	s_or_b64 exec, exec, s[4:5]
	v_lshrrev_b16_e32 v30, 8, v20
	v_cmp_ne_u16_e32 vcc, 0, v30
	v_mov_b32_e32 v21, 0
	v_mov_b32_e32 v23, 0
	s_and_saveexec_b64 s[4:5], vcc
	s_cbranch_execz .LBB666_27
; %bb.22:                               ;   in Loop: Header=BB666_15 Depth=1
	v_cmp_ne_u16_e32 vcc, s13, v30
	v_bfrev_b32_e32 v23, 1
	s_and_saveexec_b64 s[6:7], vcc
	s_cbranch_execz .LBB666_26
; %bb.23:                               ;   in Loop: Header=BB666_15 Depth=1
	v_and_b32_e32 v32, 0x7f, v30
	v_cmp_ne_u32_e32 vcc, s14, v32
	v_mov_b32_e32 v23, 0x7f800001
	s_and_saveexec_b64 s[10:11], vcc
	s_cbranch_execz .LBB666_25
; %bb.24:                               ;   in Loop: Header=BB666_15 Depth=1
	v_and_b32_e32 v23, 7, v30
	v_ffbh_u32_e32 v34, v23
	v_min_u32_e32 v37, 32, v34
	v_subrev_u32_e32 v34, 28, v37
	v_lshlrev_b64 v[34:35], v34, v[30:31]
	v_lshrrev_b32_e32 v36, 3, v32
	v_sub_u32_e32 v30, 29, v37
	v_and_b32_e32 v34, 7, v34
	v_cmp_gt_u32_e32 vcc, 8, v32
	v_cndmask_b32_e32 v30, v36, v30, vcc
	v_cndmask_b32_e32 v23, v23, v34, vcc
	v_lshlrev_b32_e32 v32, 16, v20
	v_lshlrev_b32_e32 v23, 20, v23
	v_and_b32_e32 v32, 0x80000000, v32
	v_lshl_add_u32 v30, v30, 23, v33
	v_or3_b32 v23, v32, v30, v23
.LBB666_25:                             ;   in Loop: Header=BB666_15 Depth=1
	s_or_b64 exec, exec, s[10:11]
.LBB666_26:                             ;   in Loop: Header=BB666_15 Depth=1
	s_or_b64 exec, exec, s[6:7]
.LBB666_27:                             ;   in Loop: Header=BB666_15 Depth=1
	s_or_b64 exec, exec, s[4:5]
	v_lshrrev_b32_e32 v30, 16, v20
	v_cmp_ne_u16_sdwa s[6:7], v30, v29 src0_sel:BYTE_0 src1_sel:DWORD
	s_and_saveexec_b64 s[4:5], s[6:7]
	s_cbranch_execz .LBB666_33
; %bb.28:                               ;   in Loop: Header=BB666_15 Depth=1
	v_cmp_ne_u16_sdwa s[10:11], v30, s13 src0_sel:BYTE_0 src1_sel:DWORD
	v_bfrev_b32_e32 v21, 1
	s_and_saveexec_b64 s[6:7], s[10:11]
	s_cbranch_execz .LBB666_32
; %bb.29:                               ;   in Loop: Header=BB666_15 Depth=1
	v_bfe_u32 v32, v20, 16, 7
	v_cmp_ne_u32_e32 vcc, s14, v32
	v_mov_b32_e32 v21, 0x7f800001
	s_and_saveexec_b64 s[10:11], vcc
	s_cbranch_execz .LBB666_31
; %bb.30:                               ;   in Loop: Header=BB666_15 Depth=1
	v_and_b32_e32 v21, 7, v30
	v_ffbh_u32_e32 v34, v21
	v_min_u32_e32 v37, 32, v34
	v_subrev_u32_e32 v34, 28, v37
	v_lshlrev_b64 v[34:35], v34, v[30:31]
	v_lshrrev_b32_e32 v36, 3, v32
	v_sub_u32_e32 v35, 29, v37
	v_and_b32_e32 v34, 7, v34
	v_cmp_gt_u32_e32 vcc, 8, v32
	v_cndmask_b32_e32 v32, v36, v35, vcc
	v_cndmask_b32_e32 v21, v21, v34, vcc
	v_lshlrev_b32_e32 v30, 24, v30
	v_lshlrev_b32_e32 v21, 20, v21
	v_and_b32_e32 v30, 0x80000000, v30
	v_lshl_add_u32 v32, v32, 23, v33
	v_or3_b32 v21, v30, v32, v21
.LBB666_31:                             ;   in Loop: Header=BB666_15 Depth=1
	s_or_b64 exec, exec, s[10:11]
.LBB666_32:                             ;   in Loop: Header=BB666_15 Depth=1
	s_or_b64 exec, exec, s[6:7]
.LBB666_33:                             ;   in Loop: Header=BB666_15 Depth=1
	s_or_b64 exec, exec, s[4:5]
	v_cmp_lt_u32_e32 vcc, s15, v20
	v_mov_b32_e32 v34, 0
	v_mov_b32_e32 v35, 0
	s_and_saveexec_b64 s[4:5], vcc
	s_cbranch_execz .LBB666_39
; %bb.34:                               ;   in Loop: Header=BB666_15 Depth=1
	v_lshrrev_b32_e32 v30, 24, v20
	v_cmp_ne_u32_e32 vcc, s13, v30
	v_bfrev_b32_e32 v35, 1
	s_and_saveexec_b64 s[6:7], vcc
	s_cbranch_execz .LBB666_38
; %bb.35:                               ;   in Loop: Header=BB666_15 Depth=1
	v_bfe_u32 v20, v20, 24, 7
	v_cmp_ne_u32_e32 vcc, s14, v20
	v_mov_b32_e32 v35, 0x7f800001
	s_and_saveexec_b64 s[10:11], vcc
	s_cbranch_execz .LBB666_37
; %bb.36:                               ;   in Loop: Header=BB666_15 Depth=1
	v_and_b32_e32 v32, 7, v30
	v_ffbh_u32_e32 v36, v32
	v_min_u32_e32 v38, 32, v36
	v_subrev_u32_e32 v36, 28, v38
	v_lshlrev_b64 v[36:37], v36, v[30:31]
	v_lshrrev_b32_e32 v35, 3, v20
	v_sub_u32_e32 v37, 29, v38
	v_and_b32_e32 v36, 7, v36
	v_cmp_gt_u32_e32 vcc, 8, v20
	v_cndmask_b32_e32 v20, v35, v37, vcc
	v_cndmask_b32_e32 v32, v32, v36, vcc
	v_lshlrev_b32_e32 v30, 24, v30
	v_lshlrev_b32_e32 v32, 20, v32
	v_and_b32_e32 v30, 0x80000000, v30
	v_lshl_add_u32 v20, v20, 23, v33
	v_or3_b32 v35, v30, v20, v32
.LBB666_37:                             ;   in Loop: Header=BB666_15 Depth=1
	s_or_b64 exec, exec, s[10:11]
.LBB666_38:                             ;   in Loop: Header=BB666_15 Depth=1
	s_or_b64 exec, exec, s[6:7]
.LBB666_39:                             ;   in Loop: Header=BB666_15 Depth=1
	s_or_b64 exec, exec, s[4:5]
	s_waitcnt vmcnt(2)
	v_cmp_ne_u16_sdwa s[6:7], v18, v29 src0_sel:BYTE_0 src1_sel:DWORD
	s_and_saveexec_b64 s[4:5], s[6:7]
	s_cbranch_execz .LBB666_45
; %bb.40:                               ;   in Loop: Header=BB666_15 Depth=1
	v_cmp_ne_u16_sdwa s[10:11], v18, s13 src0_sel:BYTE_0 src1_sel:DWORD
	v_bfrev_b32_e32 v34, 1
	s_and_saveexec_b64 s[6:7], s[10:11]
	s_cbranch_execz .LBB666_44
; %bb.41:                               ;   in Loop: Header=BB666_15 Depth=1
	v_and_b32_e32 v20, 0x7f, v18
	v_cmp_ne_u32_e32 vcc, s14, v20
	v_mov_b32_e32 v34, 0x7f800001
	s_and_saveexec_b64 s[10:11], vcc
	s_cbranch_execz .LBB666_43
; %bb.42:                               ;   in Loop: Header=BB666_15 Depth=1
	v_and_b32_e32 v30, 7, v18
	v_ffbh_u32_e32 v34, v30
	v_min_u32_e32 v34, 32, v34
	v_subrev_u32_e32 v36, 28, v34
	v_lshlrev_b64 v[36:37], v36, v[18:19]
	v_lshrrev_b32_e32 v32, 3, v20
	v_sub_u32_e32 v34, 29, v34
	v_and_b32_e32 v36, 7, v36
	v_cmp_gt_u32_e32 vcc, 8, v20
	v_cndmask_b32_e32 v20, v32, v34, vcc
	v_cndmask_b32_e32 v30, v30, v36, vcc
	v_lshlrev_b32_e32 v32, 24, v18
	v_lshlrev_b32_e32 v30, 20, v30
	v_and_b32_e32 v32, 0x80000000, v32
	v_lshl_add_u32 v20, v20, 23, v33
	v_or3_b32 v34, v32, v20, v30
.LBB666_43:                             ;   in Loop: Header=BB666_15 Depth=1
	s_or_b64 exec, exec, s[10:11]
.LBB666_44:                             ;   in Loop: Header=BB666_15 Depth=1
	s_or_b64 exec, exec, s[6:7]
.LBB666_45:                             ;   in Loop: Header=BB666_15 Depth=1
	s_or_b64 exec, exec, s[4:5]
	v_lshrrev_b16_e32 v20, 8, v18
	v_cmp_ne_u16_e32 vcc, 0, v20
	v_mov_b32_e32 v30, 0
	v_mov_b32_e32 v36, 0
	s_and_saveexec_b64 s[4:5], vcc
	s_cbranch_execz .LBB666_51
; %bb.46:                               ;   in Loop: Header=BB666_15 Depth=1
	v_cmp_ne_u16_e32 vcc, s13, v20
	v_bfrev_b32_e32 v36, 1
	s_and_saveexec_b64 s[6:7], vcc
	s_cbranch_execz .LBB666_50
; %bb.47:                               ;   in Loop: Header=BB666_15 Depth=1
	v_and_b32_e32 v32, 0x7f, v20
	v_cmp_ne_u32_e32 vcc, s14, v32
	v_mov_b32_e32 v36, 0x7f800001
	s_and_saveexec_b64 s[10:11], vcc
	s_cbranch_execz .LBB666_49
; %bb.48:                               ;   in Loop: Header=BB666_15 Depth=1
	v_and_b32_e32 v38, 7, v20
	v_ffbh_u32_e32 v36, v38
	v_min_u32_e32 v42, 32, v36
	v_subrev_u32_e32 v36, 28, v42
	v_lshlrev_b64 v[36:37], v36, v[20:21]
	v_lshrrev_b32_e32 v40, 3, v32
	v_sub_u32_e32 v20, 29, v42
	v_and_b32_e32 v36, 7, v36
	v_cmp_gt_u32_e32 vcc, 8, v32
	v_cndmask_b32_e32 v20, v40, v20, vcc
	v_cndmask_b32_e32 v32, v38, v36, vcc
	v_lshlrev_b32_e32 v36, 16, v18
	v_lshlrev_b32_e32 v32, 20, v32
	v_and_b32_e32 v36, 0x80000000, v36
	v_lshl_add_u32 v20, v20, 23, v33
	v_or3_b32 v36, v36, v20, v32
.LBB666_49:                             ;   in Loop: Header=BB666_15 Depth=1
	s_or_b64 exec, exec, s[10:11]
.LBB666_50:                             ;   in Loop: Header=BB666_15 Depth=1
	s_or_b64 exec, exec, s[6:7]
.LBB666_51:                             ;   in Loop: Header=BB666_15 Depth=1
	s_or_b64 exec, exec, s[4:5]
	v_lshrrev_b32_e32 v20, 16, v18
	v_cmp_ne_u16_sdwa s[6:7], v20, v29 src0_sel:BYTE_0 src1_sel:DWORD
	s_and_saveexec_b64 s[4:5], s[6:7]
	s_cbranch_execz .LBB666_57
; %bb.52:                               ;   in Loop: Header=BB666_15 Depth=1
	v_cmp_ne_u16_sdwa s[10:11], v20, s13 src0_sel:BYTE_0 src1_sel:DWORD
	v_bfrev_b32_e32 v30, 1
	s_and_saveexec_b64 s[6:7], s[10:11]
	s_cbranch_execz .LBB666_56
; %bb.53:                               ;   in Loop: Header=BB666_15 Depth=1
	v_bfe_u32 v32, v18, 16, 7
	v_cmp_ne_u32_e32 vcc, s14, v32
	v_mov_b32_e32 v30, 0x7f800001
	s_and_saveexec_b64 s[10:11], vcc
	s_cbranch_execz .LBB666_55
; %bb.54:                               ;   in Loop: Header=BB666_15 Depth=1
	v_and_b32_e32 v30, 7, v20
	v_ffbh_u32_e32 v38, v30
	v_min_u32_e32 v38, 32, v38
	v_subrev_u32_e32 v40, 28, v38
	v_lshlrev_b64 v[42:43], v40, v[20:21]
	v_lshrrev_b32_e32 v37, 3, v32
	v_sub_u32_e32 v38, 29, v38
	v_and_b32_e32 v40, 7, v42
	v_cmp_gt_u32_e32 vcc, 8, v32
	v_cndmask_b32_e32 v32, v37, v38, vcc
	v_cndmask_b32_e32 v30, v30, v40, vcc
	v_lshlrev_b32_e32 v20, 24, v20
	v_lshlrev_b32_e32 v30, 20, v30
	v_and_b32_e32 v20, 0x80000000, v20
	v_lshl_add_u32 v32, v32, 23, v33
	v_or3_b32 v30, v20, v32, v30
.LBB666_55:                             ;   in Loop: Header=BB666_15 Depth=1
	s_or_b64 exec, exec, s[10:11]
.LBB666_56:                             ;   in Loop: Header=BB666_15 Depth=1
	s_or_b64 exec, exec, s[6:7]
.LBB666_57:                             ;   in Loop: Header=BB666_15 Depth=1
	s_or_b64 exec, exec, s[4:5]
	v_cmp_lt_u32_e32 vcc, s15, v18
	v_mov_b32_e32 v32, 0
	v_mov_b32_e32 v37, 0
	s_and_saveexec_b64 s[4:5], vcc
	s_cbranch_execz .LBB666_63
; %bb.58:                               ;   in Loop: Header=BB666_15 Depth=1
	v_lshrrev_b32_e32 v20, 24, v18
	v_cmp_ne_u32_e32 vcc, s13, v20
	v_bfrev_b32_e32 v37, 1
	s_and_saveexec_b64 s[6:7], vcc
	s_cbranch_execz .LBB666_62
; %bb.59:                               ;   in Loop: Header=BB666_15 Depth=1
	v_bfe_u32 v18, v18, 24, 7
	v_cmp_ne_u32_e32 vcc, s14, v18
	v_mov_b32_e32 v37, 0x7f800001
	s_and_saveexec_b64 s[10:11], vcc
	s_cbranch_execz .LBB666_61
; %bb.60:                               ;   in Loop: Header=BB666_15 Depth=1
	v_and_b32_e32 v37, 7, v20
	v_ffbh_u32_e32 v40, v37
	v_min_u32_e32 v40, 32, v40
	v_subrev_u32_e32 v42, 28, v40
	v_lshlrev_b64 v[42:43], v42, v[20:21]
	v_lshrrev_b32_e32 v38, 3, v18
	v_sub_u32_e32 v40, 29, v40
	v_and_b32_e32 v42, 7, v42
	v_cmp_gt_u32_e32 vcc, 8, v18
	v_cndmask_b32_e32 v18, v38, v40, vcc
	v_cndmask_b32_e32 v37, v37, v42, vcc
	v_lshlrev_b32_e32 v20, 24, v20
	v_lshlrev_b32_e32 v37, 20, v37
	v_and_b32_e32 v20, 0x80000000, v20
	v_lshl_add_u32 v18, v18, 23, v33
	v_or3_b32 v37, v20, v18, v37
.LBB666_61:                             ;   in Loop: Header=BB666_15 Depth=1
	s_or_b64 exec, exec, s[10:11]
.LBB666_62:                             ;   in Loop: Header=BB666_15 Depth=1
	s_or_b64 exec, exec, s[6:7]
.LBB666_63:                             ;   in Loop: Header=BB666_15 Depth=1
	s_or_b64 exec, exec, s[4:5]
	v_cvt_pkrtz_f16_f32 v18, v19, v23
	v_cvt_pkrtz_f16_f32 v19, v21, v35
	;; [unrolled: 1-line block ×4, first 2 shown]
	s_waitcnt vmcnt(1)
	v_cmp_ne_u16_sdwa s[6:7], v28, v29 src0_sel:BYTE_0 src1_sel:DWORD
	v_mfma_f32_16x16x16f16 v[18:21], v[18:19], v[2:3], 0
	v_mfma_f32_16x16x16f16 v[18:21], v[34:35], v[4:5], v[18:21]
	s_and_saveexec_b64 s[4:5], s[6:7]
	s_cbranch_execz .LBB666_69
; %bb.64:                               ;   in Loop: Header=BB666_15 Depth=1
	v_cmp_ne_u16_sdwa s[10:11], v28, s13 src0_sel:BYTE_0 src1_sel:DWORD
	v_bfrev_b32_e32 v32, 1
	s_and_saveexec_b64 s[6:7], s[10:11]
	s_cbranch_execz .LBB666_68
; %bb.65:                               ;   in Loop: Header=BB666_15 Depth=1
	v_and_b32_e32 v23, 0x7f, v28
	v_cmp_ne_u32_e32 vcc, s14, v23
	v_mov_b32_e32 v32, 0x7f800001
	s_and_saveexec_b64 s[10:11], vcc
	s_cbranch_execz .LBB666_67
; %bb.66:                               ;   in Loop: Header=BB666_15 Depth=1
	v_and_b32_e32 v30, 7, v28
	v_ffbh_u32_e32 v34, v30
	v_min_u32_e32 v36, 32, v34
	v_subrev_u32_e32 v34, 28, v36
	v_lshlrev_b64 v[34:35], v34, v[28:29]
	v_lshrrev_b32_e32 v32, 3, v23
	v_sub_u32_e32 v35, 29, v36
	v_and_b32_e32 v34, 7, v34
	v_cmp_gt_u32_e32 vcc, 8, v23
	v_cndmask_b32_e32 v23, v32, v35, vcc
	v_cndmask_b32_e32 v30, v30, v34, vcc
	v_lshlrev_b32_e32 v32, 24, v28
	v_lshlrev_b32_e32 v30, 20, v30
	v_and_b32_e32 v32, 0x80000000, v32
	v_lshl_add_u32 v23, v23, 23, v33
	v_or3_b32 v32, v32, v23, v30
.LBB666_67:                             ;   in Loop: Header=BB666_15 Depth=1
	s_or_b64 exec, exec, s[10:11]
.LBB666_68:                             ;   in Loop: Header=BB666_15 Depth=1
	s_or_b64 exec, exec, s[6:7]
.LBB666_69:                             ;   in Loop: Header=BB666_15 Depth=1
	s_or_b64 exec, exec, s[4:5]
	v_lshrrev_b16_e32 v30, 8, v28
	v_cmp_ne_u16_e32 vcc, 0, v30
	v_mov_b32_e32 v34, 0
	v_mov_b32_e32 v35, 0
	s_and_saveexec_b64 s[4:5], vcc
	s_cbranch_execz .LBB666_75
; %bb.70:                               ;   in Loop: Header=BB666_15 Depth=1
	v_cmp_ne_u16_e32 vcc, s13, v30
	v_bfrev_b32_e32 v35, 1
	s_and_saveexec_b64 s[6:7], vcc
	s_cbranch_execz .LBB666_74
; %bb.71:                               ;   in Loop: Header=BB666_15 Depth=1
	v_and_b32_e32 v23, 0x7f, v30
	v_cmp_ne_u32_e32 vcc, s14, v23
	v_mov_b32_e32 v35, 0x7f800001
	s_and_saveexec_b64 s[10:11], vcc
	s_cbranch_execz .LBB666_73
; %bb.72:                               ;   in Loop: Header=BB666_15 Depth=1
	v_and_b32_e32 v35, 7, v30
	v_ffbh_u32_e32 v36, v35
	v_min_u32_e32 v40, 32, v36
	v_subrev_u32_e32 v36, 28, v40
	v_lshlrev_b64 v[36:37], v36, v[30:31]
	v_lshrrev_b32_e32 v38, 3, v23
	v_sub_u32_e32 v30, 29, v40
	v_and_b32_e32 v36, 7, v36
	v_cmp_gt_u32_e32 vcc, 8, v23
	v_cndmask_b32_e32 v23, v38, v30, vcc
	v_cndmask_b32_e32 v30, v35, v36, vcc
	v_lshlrev_b32_e32 v35, 16, v28
	v_lshlrev_b32_e32 v30, 20, v30
	v_and_b32_e32 v35, 0x80000000, v35
	v_lshl_add_u32 v23, v23, 23, v33
	v_or3_b32 v35, v35, v23, v30
.LBB666_73:                             ;   in Loop: Header=BB666_15 Depth=1
	s_or_b64 exec, exec, s[10:11]
.LBB666_74:                             ;   in Loop: Header=BB666_15 Depth=1
	s_or_b64 exec, exec, s[6:7]
.LBB666_75:                             ;   in Loop: Header=BB666_15 Depth=1
	s_or_b64 exec, exec, s[4:5]
	v_lshrrev_b32_e32 v30, 16, v28
	v_cmp_ne_u16_sdwa s[6:7], v30, v29 src0_sel:BYTE_0 src1_sel:DWORD
	s_and_saveexec_b64 s[4:5], s[6:7]
	s_cbranch_execz .LBB666_81
; %bb.76:                               ;   in Loop: Header=BB666_15 Depth=1
	v_cmp_ne_u16_sdwa s[10:11], v30, s13 src0_sel:BYTE_0 src1_sel:DWORD
	v_bfrev_b32_e32 v34, 1
	s_and_saveexec_b64 s[6:7], s[10:11]
	s_cbranch_execz .LBB666_80
; %bb.77:                               ;   in Loop: Header=BB666_15 Depth=1
	v_bfe_u32 v23, v28, 16, 7
	v_cmp_ne_u32_e32 vcc, s14, v23
	v_mov_b32_e32 v34, 0x7f800001
	s_and_saveexec_b64 s[10:11], vcc
	s_cbranch_execz .LBB666_79
; %bb.78:                               ;   in Loop: Header=BB666_15 Depth=1
	v_and_b32_e32 v34, 7, v30
	v_ffbh_u32_e32 v36, v34
	v_min_u32_e32 v40, 32, v36
	v_subrev_u32_e32 v36, 28, v40
	v_lshlrev_b64 v[36:37], v36, v[30:31]
	v_lshrrev_b32_e32 v38, 3, v23
	v_sub_u32_e32 v37, 29, v40
	v_and_b32_e32 v36, 7, v36
	v_cmp_gt_u32_e32 vcc, 8, v23
	v_cndmask_b32_e32 v23, v38, v37, vcc
	v_cndmask_b32_e32 v34, v34, v36, vcc
	v_lshlrev_b32_e32 v30, 24, v30
	v_lshlrev_b32_e32 v34, 20, v34
	v_and_b32_e32 v30, 0x80000000, v30
	v_lshl_add_u32 v23, v23, 23, v33
	v_or3_b32 v34, v30, v23, v34
.LBB666_79:                             ;   in Loop: Header=BB666_15 Depth=1
	s_or_b64 exec, exec, s[10:11]
.LBB666_80:                             ;   in Loop: Header=BB666_15 Depth=1
	s_or_b64 exec, exec, s[6:7]
.LBB666_81:                             ;   in Loop: Header=BB666_15 Depth=1
	s_or_b64 exec, exec, s[4:5]
	v_cmp_lt_u32_e32 vcc, s15, v28
	v_mov_b32_e32 v36, 0
	v_mov_b32_e32 v37, 0
	s_and_saveexec_b64 s[4:5], vcc
	s_cbranch_execz .LBB666_87
; %bb.82:                               ;   in Loop: Header=BB666_15 Depth=1
	v_lshrrev_b32_e32 v30, 24, v28
	v_cmp_ne_u32_e32 vcc, s13, v30
	v_bfrev_b32_e32 v37, 1
	s_and_saveexec_b64 s[6:7], vcc
	s_cbranch_execz .LBB666_86
; %bb.83:                               ;   in Loop: Header=BB666_15 Depth=1
	v_bfe_u32 v23, v28, 24, 7
	v_cmp_ne_u32_e32 vcc, s14, v23
	v_mov_b32_e32 v37, 0x7f800001
	s_and_saveexec_b64 s[10:11], vcc
	s_cbranch_execz .LBB666_85
; %bb.84:                               ;   in Loop: Header=BB666_15 Depth=1
	v_and_b32_e32 v28, 7, v30
	v_ffbh_u32_e32 v38, v28
	v_min_u32_e32 v38, 32, v38
	v_subrev_u32_e32 v40, 28, v38
	v_lshlrev_b64 v[42:43], v40, v[30:31]
	v_lshrrev_b32_e32 v37, 3, v23
	v_sub_u32_e32 v38, 29, v38
	v_and_b32_e32 v40, 7, v42
	v_cmp_gt_u32_e32 vcc, 8, v23
	v_cndmask_b32_e32 v23, v37, v38, vcc
	v_cndmask_b32_e32 v28, v28, v40, vcc
	v_lshlrev_b32_e32 v30, 24, v30
	v_lshlrev_b32_e32 v28, 20, v28
	v_and_b32_e32 v30, 0x80000000, v30
	v_lshl_add_u32 v23, v23, 23, v33
	v_or3_b32 v37, v30, v23, v28
.LBB666_85:                             ;   in Loop: Header=BB666_15 Depth=1
	s_or_b64 exec, exec, s[10:11]
.LBB666_86:                             ;   in Loop: Header=BB666_15 Depth=1
	s_or_b64 exec, exec, s[6:7]
.LBB666_87:                             ;   in Loop: Header=BB666_15 Depth=1
	s_or_b64 exec, exec, s[4:5]
	s_waitcnt vmcnt(0)
	v_cmp_ne_u16_sdwa s[6:7], v26, v29 src0_sel:BYTE_0 src1_sel:DWORD
	s_and_saveexec_b64 s[4:5], s[6:7]
	s_cbranch_execz .LBB666_93
; %bb.88:                               ;   in Loop: Header=BB666_15 Depth=1
	v_cmp_ne_u16_sdwa s[10:11], v26, s13 src0_sel:BYTE_0 src1_sel:DWORD
	v_bfrev_b32_e32 v36, 1
	s_and_saveexec_b64 s[6:7], s[10:11]
	s_cbranch_execz .LBB666_92
; %bb.89:                               ;   in Loop: Header=BB666_15 Depth=1
	v_and_b32_e32 v23, 0x7f, v26
	v_cmp_ne_u32_e32 vcc, s14, v23
	v_mov_b32_e32 v36, 0x7f800001
	s_and_saveexec_b64 s[10:11], vcc
	s_cbranch_execz .LBB666_91
; %bb.90:                               ;   in Loop: Header=BB666_15 Depth=1
	v_and_b32_e32 v28, 7, v26
	v_ffbh_u32_e32 v36, v28
	v_min_u32_e32 v36, 32, v36
	v_subrev_u32_e32 v38, 28, v36
	v_lshlrev_b64 v[42:43], v38, v[26:27]
	v_lshrrev_b32_e32 v30, 3, v23
	v_sub_u32_e32 v36, 29, v36
	v_and_b32_e32 v38, 7, v42
	v_cmp_gt_u32_e32 vcc, 8, v23
	v_cndmask_b32_e32 v23, v30, v36, vcc
	v_cndmask_b32_e32 v28, v28, v38, vcc
	v_lshlrev_b32_e32 v30, 24, v26
	v_lshlrev_b32_e32 v28, 20, v28
	v_and_b32_e32 v30, 0x80000000, v30
	v_lshl_add_u32 v23, v23, 23, v33
	v_or3_b32 v36, v30, v23, v28
.LBB666_91:                             ;   in Loop: Header=BB666_15 Depth=1
	s_or_b64 exec, exec, s[10:11]
.LBB666_92:                             ;   in Loop: Header=BB666_15 Depth=1
	s_or_b64 exec, exec, s[6:7]
.LBB666_93:                             ;   in Loop: Header=BB666_15 Depth=1
	s_or_b64 exec, exec, s[4:5]
	v_lshrrev_b16_e32 v28, 8, v26
	v_cmp_ne_u16_e32 vcc, 0, v28
	v_mov_b32_e32 v38, 0
	v_mov_b32_e32 v40, 0
	s_and_saveexec_b64 s[4:5], vcc
	s_cbranch_execz .LBB666_99
; %bb.94:                               ;   in Loop: Header=BB666_15 Depth=1
	v_cmp_ne_u16_e32 vcc, s13, v28
	v_bfrev_b32_e32 v40, 1
	s_and_saveexec_b64 s[6:7], vcc
	s_cbranch_execz .LBB666_98
; %bb.95:                               ;   in Loop: Header=BB666_15 Depth=1
	v_and_b32_e32 v23, 0x7f, v28
	v_cmp_ne_u32_e32 vcc, s14, v23
	v_mov_b32_e32 v40, 0x7f800001
	s_and_saveexec_b64 s[10:11], vcc
	s_cbranch_execz .LBB666_97
; %bb.96:                               ;   in Loop: Header=BB666_15 Depth=1
	v_and_b32_e32 v30, 7, v28
	v_ffbh_u32_e32 v42, v30
	v_min_u32_e32 v44, 32, v42
	v_subrev_u32_e32 v42, 28, v44
	v_lshlrev_b64 v[42:43], v42, v[28:29]
	v_lshrrev_b32_e32 v40, 3, v23
	v_sub_u32_e32 v28, 29, v44
	v_and_b32_e32 v42, 7, v42
	v_cmp_gt_u32_e32 vcc, 8, v23
	v_cndmask_b32_e32 v23, v40, v28, vcc
	v_cndmask_b32_e32 v28, v30, v42, vcc
	v_lshlrev_b32_e32 v30, 16, v26
	v_lshlrev_b32_e32 v28, 20, v28
	v_and_b32_e32 v30, 0x80000000, v30
	v_lshl_add_u32 v23, v23, 23, v33
	v_or3_b32 v40, v30, v23, v28
.LBB666_97:                             ;   in Loop: Header=BB666_15 Depth=1
	s_or_b64 exec, exec, s[10:11]
.LBB666_98:                             ;   in Loop: Header=BB666_15 Depth=1
	s_or_b64 exec, exec, s[6:7]
.LBB666_99:                             ;   in Loop: Header=BB666_15 Depth=1
	s_or_b64 exec, exec, s[4:5]
	v_lshrrev_b32_e32 v28, 16, v26
	v_cmp_ne_u16_sdwa s[6:7], v28, v29 src0_sel:BYTE_0 src1_sel:DWORD
	s_and_saveexec_b64 s[4:5], s[6:7]
	s_cbranch_execz .LBB666_105
; %bb.100:                              ;   in Loop: Header=BB666_15 Depth=1
	v_cmp_ne_u16_sdwa s[10:11], v28, s13 src0_sel:BYTE_0 src1_sel:DWORD
	v_bfrev_b32_e32 v38, 1
	s_and_saveexec_b64 s[6:7], s[10:11]
	s_cbranch_execz .LBB666_104
; %bb.101:                              ;   in Loop: Header=BB666_15 Depth=1
	v_bfe_u32 v23, v26, 16, 7
	v_cmp_ne_u32_e32 vcc, s14, v23
	v_mov_b32_e32 v38, 0x7f800001
	s_and_saveexec_b64 s[10:11], vcc
	s_cbranch_execz .LBB666_103
; %bb.102:                              ;   in Loop: Header=BB666_15 Depth=1
	v_and_b32_e32 v30, 7, v28
	v_ffbh_u32_e32 v42, v30
	v_min_u32_e32 v44, 32, v42
	v_subrev_u32_e32 v42, 28, v44
	v_lshlrev_b64 v[42:43], v42, v[28:29]
	v_lshrrev_b32_e32 v38, 3, v23
	v_sub_u32_e32 v43, 29, v44
	v_and_b32_e32 v42, 7, v42
	v_cmp_gt_u32_e32 vcc, 8, v23
	v_cndmask_b32_e32 v23, v38, v43, vcc
	v_cndmask_b32_e32 v30, v30, v42, vcc
	v_lshlrev_b32_e32 v28, 24, v28
	v_lshlrev_b32_e32 v30, 20, v30
	v_and_b32_e32 v28, 0x80000000, v28
	v_lshl_add_u32 v23, v23, 23, v33
	v_or3_b32 v38, v28, v23, v30
.LBB666_103:                            ;   in Loop: Header=BB666_15 Depth=1
	s_or_b64 exec, exec, s[10:11]
.LBB666_104:                            ;   in Loop: Header=BB666_15 Depth=1
	s_or_b64 exec, exec, s[6:7]
.LBB666_105:                            ;   in Loop: Header=BB666_15 Depth=1
	s_or_b64 exec, exec, s[4:5]
	v_cmp_lt_u32_e32 vcc, s15, v26
	v_mov_b32_e32 v23, 0
	v_mov_b32_e32 v42, 0
	s_and_saveexec_b64 s[4:5], vcc
	s_cbranch_execz .LBB666_111
; %bb.106:                              ;   in Loop: Header=BB666_15 Depth=1
	v_lshrrev_b32_e32 v28, 24, v26
	v_cmp_ne_u32_e32 vcc, s13, v28
	v_bfrev_b32_e32 v42, 1
	s_and_saveexec_b64 s[6:7], vcc
	s_cbranch_execz .LBB666_110
; %bb.107:                              ;   in Loop: Header=BB666_15 Depth=1
	v_bfe_u32 v26, v26, 24, 7
	v_cmp_ne_u32_e32 vcc, s14, v26
	v_mov_b32_e32 v42, 0x7f800001
	s_and_saveexec_b64 s[10:11], vcc
	s_cbranch_execz .LBB666_109
; %bb.108:                              ;   in Loop: Header=BB666_15 Depth=1
	v_and_b32_e32 v30, 7, v28
	v_ffbh_u32_e32 v42, v30
	v_min_u32_e32 v45, 32, v42
	v_subrev_u32_e32 v42, 28, v45
	v_lshlrev_b64 v[42:43], v42, v[28:29]
	v_lshrrev_b32_e32 v44, 3, v26
	v_sub_u32_e32 v43, 29, v45
	v_and_b32_e32 v42, 7, v42
	v_cmp_gt_u32_e32 vcc, 8, v26
	v_cndmask_b32_e32 v26, v44, v43, vcc
	v_cndmask_b32_e32 v30, v30, v42, vcc
	v_lshlrev_b32_e32 v28, 24, v28
	v_lshlrev_b32_e32 v30, 20, v30
	v_and_b32_e32 v28, 0x80000000, v28
	v_lshl_add_u32 v26, v26, 23, v33
	v_or3_b32 v42, v28, v26, v30
.LBB666_109:                            ;   in Loop: Header=BB666_15 Depth=1
	s_or_b64 exec, exec, s[10:11]
.LBB666_110:                            ;   in Loop: Header=BB666_15 Depth=1
	s_or_b64 exec, exec, s[6:7]
.LBB666_111:                            ;   in Loop: Header=BB666_15 Depth=1
	s_or_b64 exec, exec, s[4:5]
	v_cvt_pkrtz_f16_f32 v44, v32, v35
	buffer_load_dword v32, v27, s[0:3], 0 offen offset:16
	buffer_load_dword v30, v27, s[0:3], 0 offen offset:20
	;; [unrolled: 1-line block ×4, first 2 shown]
	v_cvt_pkrtz_f16_f32 v45, v34, v37
	v_cvt_pkrtz_f16_f32 v34, v36, v40
	;; [unrolled: 1-line block ×3, first 2 shown]
	v_mfma_f32_16x16x16f16 v[18:21], v[44:45], v[6:7], v[18:21]
	s_waitcnt vmcnt(3)
	v_cmp_ne_u16_sdwa s[6:7], v32, v29 src0_sel:BYTE_0 src1_sel:DWORD
	v_mfma_f32_16x16x16f16 v[18:21], v[34:35], v[8:9], v[18:21]
	s_and_saveexec_b64 s[4:5], s[6:7]
	s_cbranch_execz .LBB666_117
; %bb.112:                              ;   in Loop: Header=BB666_15 Depth=1
	v_cmp_ne_u16_sdwa s[10:11], v32, s13 src0_sel:BYTE_0 src1_sel:DWORD
	v_bfrev_b32_e32 v23, 1
	s_and_saveexec_b64 s[6:7], s[10:11]
	s_cbranch_execz .LBB666_116
; %bb.113:                              ;   in Loop: Header=BB666_15 Depth=1
	v_and_b32_e32 v34, 0x7f, v32
	v_cmp_ne_u32_e32 vcc, s14, v34
	v_mov_b32_e32 v23, 0x7f800001
	s_and_saveexec_b64 s[10:11], vcc
	s_cbranch_execz .LBB666_115
; %bb.114:                              ;   in Loop: Header=BB666_15 Depth=1
	v_and_b32_e32 v23, 7, v32
	v_ffbh_u32_e32 v36, v23
	v_min_u32_e32 v38, 32, v36
	v_subrev_u32_e32 v36, 28, v38
	v_lshlrev_b64 v[36:37], v36, v[32:33]
	v_lshrrev_b32_e32 v35, 3, v34
	v_sub_u32_e32 v37, 29, v38
	v_and_b32_e32 v36, 7, v36
	v_cmp_gt_u32_e32 vcc, 8, v34
	v_cndmask_b32_e32 v34, v35, v37, vcc
	v_cndmask_b32_e32 v23, v23, v36, vcc
	v_lshlrev_b32_e32 v35, 24, v32
	v_lshlrev_b32_e32 v23, 20, v23
	v_and_b32_e32 v35, 0x80000000, v35
	v_lshl_add_u32 v34, v34, 23, v33
	v_or3_b32 v23, v35, v34, v23
.LBB666_115:                            ;   in Loop: Header=BB666_15 Depth=1
	s_or_b64 exec, exec, s[10:11]
.LBB666_116:                            ;   in Loop: Header=BB666_15 Depth=1
	s_or_b64 exec, exec, s[6:7]
.LBB666_117:                            ;   in Loop: Header=BB666_15 Depth=1
	s_or_b64 exec, exec, s[4:5]
	v_lshrrev_b16_e32 v34, 8, v32
	v_cmp_ne_u16_e32 vcc, 0, v34
	v_mov_b32_e32 v35, 0
	v_mov_b32_e32 v36, 0
	s_and_saveexec_b64 s[4:5], vcc
	s_cbranch_execz .LBB666_123
; %bb.118:                              ;   in Loop: Header=BB666_15 Depth=1
	v_cmp_ne_u16_e32 vcc, s13, v34
	v_bfrev_b32_e32 v36, 1
	s_and_saveexec_b64 s[6:7], vcc
	s_cbranch_execz .LBB666_122
; %bb.119:                              ;   in Loop: Header=BB666_15 Depth=1
	v_and_b32_e32 v37, 0x7f, v34
	v_cmp_ne_u32_e32 vcc, s14, v37
	v_mov_b32_e32 v36, 0x7f800001
	s_and_saveexec_b64 s[10:11], vcc
	s_cbranch_execz .LBB666_121
; %bb.120:                              ;   in Loop: Header=BB666_15 Depth=1
	v_and_b32_e32 v36, 7, v34
	v_ffbh_u32_e32 v40, v36
	v_min_u32_e32 v40, 32, v40
	v_subrev_u32_e32 v42, 28, v40
	v_lshlrev_b64 v[42:43], v42, v[34:35]
	v_lshrrev_b32_e32 v38, 3, v37
	v_sub_u32_e32 v34, 29, v40
	v_and_b32_e32 v40, 7, v42
	v_cmp_gt_u32_e32 vcc, 8, v37
	v_cndmask_b32_e32 v34, v38, v34, vcc
	v_cndmask_b32_e32 v36, v36, v40, vcc
	v_lshlrev_b32_e32 v37, 16, v32
	v_lshlrev_b32_e32 v36, 20, v36
	v_and_b32_e32 v37, 0x80000000, v37
	v_lshl_add_u32 v34, v34, 23, v33
	v_or3_b32 v36, v37, v34, v36
.LBB666_121:                            ;   in Loop: Header=BB666_15 Depth=1
	s_or_b64 exec, exec, s[10:11]
.LBB666_122:                            ;   in Loop: Header=BB666_15 Depth=1
	s_or_b64 exec, exec, s[6:7]
.LBB666_123:                            ;   in Loop: Header=BB666_15 Depth=1
	s_or_b64 exec, exec, s[4:5]
	v_lshrrev_b32_e32 v34, 16, v32
	v_cmp_ne_u16_sdwa s[6:7], v34, v29 src0_sel:BYTE_0 src1_sel:DWORD
	s_and_saveexec_b64 s[4:5], s[6:7]
	s_cbranch_execz .LBB666_129
; %bb.124:                              ;   in Loop: Header=BB666_15 Depth=1
	v_cmp_ne_u16_sdwa s[10:11], v34, s13 src0_sel:BYTE_0 src1_sel:DWORD
	v_bfrev_b32_e32 v35, 1
	s_and_saveexec_b64 s[6:7], s[10:11]
	s_cbranch_execz .LBB666_128
; %bb.125:                              ;   in Loop: Header=BB666_15 Depth=1
	v_bfe_u32 v37, v32, 16, 7
	v_cmp_ne_u32_e32 vcc, s14, v37
	v_mov_b32_e32 v35, 0x7f800001
	s_and_saveexec_b64 s[10:11], vcc
	s_cbranch_execz .LBB666_127
; %bb.126:                              ;   in Loop: Header=BB666_15 Depth=1
	v_and_b32_e32 v35, 7, v34
	v_ffbh_u32_e32 v40, v35
	v_min_u32_e32 v40, 32, v40
	v_subrev_u32_e32 v42, 28, v40
	v_lshlrev_b64 v[42:43], v42, v[34:35]
	v_lshrrev_b32_e32 v38, 3, v37
	v_sub_u32_e32 v40, 29, v40
	v_and_b32_e32 v42, 7, v42
	v_cmp_gt_u32_e32 vcc, 8, v37
	v_cndmask_b32_e32 v37, v38, v40, vcc
	v_cndmask_b32_e32 v35, v35, v42, vcc
	v_lshlrev_b32_e32 v34, 24, v34
	v_lshlrev_b32_e32 v35, 20, v35
	v_and_b32_e32 v34, 0x80000000, v34
	v_lshl_add_u32 v37, v37, 23, v33
	v_or3_b32 v35, v34, v37, v35
.LBB666_127:                            ;   in Loop: Header=BB666_15 Depth=1
	s_or_b64 exec, exec, s[10:11]
.LBB666_128:                            ;   in Loop: Header=BB666_15 Depth=1
	s_or_b64 exec, exec, s[6:7]
.LBB666_129:                            ;   in Loop: Header=BB666_15 Depth=1
	s_or_b64 exec, exec, s[4:5]
	v_cmp_lt_u32_e32 vcc, s15, v32
	v_mov_b32_e32 v37, 0
	v_mov_b32_e32 v38, 0
	s_and_saveexec_b64 s[4:5], vcc
	s_cbranch_execz .LBB666_135
; %bb.130:                              ;   in Loop: Header=BB666_15 Depth=1
	v_lshrrev_b32_e32 v34, 24, v32
	v_cmp_ne_u32_e32 vcc, s13, v34
	v_bfrev_b32_e32 v38, 1
	s_and_saveexec_b64 s[6:7], vcc
	s_cbranch_execz .LBB666_134
; %bb.131:                              ;   in Loop: Header=BB666_15 Depth=1
	v_bfe_u32 v32, v32, 24, 7
	v_cmp_ne_u32_e32 vcc, s14, v32
	v_mov_b32_e32 v38, 0x7f800001
	s_and_saveexec_b64 s[10:11], vcc
	s_cbranch_execz .LBB666_133
; %bb.132:                              ;   in Loop: Header=BB666_15 Depth=1
	v_and_b32_e32 v38, 7, v34
	v_ffbh_u32_e32 v42, v38
	v_min_u32_e32 v44, 32, v42
	v_subrev_u32_e32 v42, 28, v44
	v_lshlrev_b64 v[42:43], v42, v[34:35]
	v_lshrrev_b32_e32 v40, 3, v32
	v_sub_u32_e32 v43, 29, v44
	v_and_b32_e32 v42, 7, v42
	v_cmp_gt_u32_e32 vcc, 8, v32
	v_cndmask_b32_e32 v32, v40, v43, vcc
	v_cndmask_b32_e32 v38, v38, v42, vcc
	v_lshlrev_b32_e32 v34, 24, v34
	v_lshlrev_b32_e32 v38, 20, v38
	v_and_b32_e32 v34, 0x80000000, v34
	v_lshl_add_u32 v32, v32, 23, v33
	v_or3_b32 v38, v34, v32, v38
.LBB666_133:                            ;   in Loop: Header=BB666_15 Depth=1
	s_or_b64 exec, exec, s[10:11]
.LBB666_134:                            ;   in Loop: Header=BB666_15 Depth=1
	s_or_b64 exec, exec, s[6:7]
.LBB666_135:                            ;   in Loop: Header=BB666_15 Depth=1
	s_or_b64 exec, exec, s[4:5]
	s_waitcnt vmcnt(2)
	v_cmp_ne_u16_sdwa s[6:7], v30, v29 src0_sel:BYTE_0 src1_sel:DWORD
	s_and_saveexec_b64 s[4:5], s[6:7]
	s_cbranch_execz .LBB666_141
; %bb.136:                              ;   in Loop: Header=BB666_15 Depth=1
	v_cmp_ne_u16_sdwa s[10:11], v30, s13 src0_sel:BYTE_0 src1_sel:DWORD
	v_bfrev_b32_e32 v37, 1
	s_and_saveexec_b64 s[6:7], s[10:11]
	s_cbranch_execz .LBB666_140
; %bb.137:                              ;   in Loop: Header=BB666_15 Depth=1
	v_and_b32_e32 v32, 0x7f, v30
	v_cmp_ne_u32_e32 vcc, s14, v32
	v_mov_b32_e32 v37, 0x7f800001
	s_and_saveexec_b64 s[10:11], vcc
	s_cbranch_execz .LBB666_139
; %bb.138:                              ;   in Loop: Header=BB666_15 Depth=1
	v_and_b32_e32 v34, 7, v30
	v_ffbh_u32_e32 v40, v34
	v_min_u32_e32 v40, 32, v40
	v_subrev_u32_e32 v42, 28, v40
	v_lshlrev_b64 v[42:43], v42, v[30:31]
	v_lshrrev_b32_e32 v37, 3, v32
	v_sub_u32_e32 v40, 29, v40
	v_and_b32_e32 v42, 7, v42
	v_cmp_gt_u32_e32 vcc, 8, v32
	v_cndmask_b32_e32 v32, v37, v40, vcc
	v_cndmask_b32_e32 v34, v34, v42, vcc
	v_lshlrev_b32_e32 v37, 24, v30
	v_lshlrev_b32_e32 v34, 20, v34
	v_and_b32_e32 v37, 0x80000000, v37
	v_lshl_add_u32 v32, v32, 23, v33
	v_or3_b32 v37, v37, v32, v34
.LBB666_139:                            ;   in Loop: Header=BB666_15 Depth=1
	s_or_b64 exec, exec, s[10:11]
.LBB666_140:                            ;   in Loop: Header=BB666_15 Depth=1
	s_or_b64 exec, exec, s[6:7]
.LBB666_141:                            ;   in Loop: Header=BB666_15 Depth=1
	s_or_b64 exec, exec, s[4:5]
	v_lshrrev_b16_e32 v32, 8, v30
	v_cmp_ne_u16_e32 vcc, 0, v32
	v_mov_b32_e32 v40, 0
	v_mov_b32_e32 v42, 0
	s_and_saveexec_b64 s[4:5], vcc
	s_cbranch_execz .LBB666_147
; %bb.142:                              ;   in Loop: Header=BB666_15 Depth=1
	v_cmp_ne_u16_e32 vcc, s13, v32
	v_bfrev_b32_e32 v42, 1
	s_and_saveexec_b64 s[6:7], vcc
	s_cbranch_execz .LBB666_146
; %bb.143:                              ;   in Loop: Header=BB666_15 Depth=1
	v_and_b32_e32 v34, 0x7f, v32
	v_cmp_ne_u32_e32 vcc, s14, v34
	v_mov_b32_e32 v42, 0x7f800001
	s_and_saveexec_b64 s[10:11], vcc
	s_cbranch_execz .LBB666_145
; %bb.144:                              ;   in Loop: Header=BB666_15 Depth=1
	v_and_b32_e32 v44, 7, v32
	v_ffbh_u32_e32 v42, v44
	v_min_u32_e32 v46, 32, v42
	v_subrev_u32_e32 v42, 28, v46
	v_lshlrev_b64 v[42:43], v42, v[32:33]
	v_lshrrev_b32_e32 v45, 3, v34
	v_sub_u32_e32 v32, 29, v46
	v_and_b32_e32 v42, 7, v42
	v_cmp_gt_u32_e32 vcc, 8, v34
	v_cndmask_b32_e32 v32, v45, v32, vcc
	v_cndmask_b32_e32 v34, v44, v42, vcc
	v_lshlrev_b32_e32 v42, 16, v30
	v_lshlrev_b32_e32 v34, 20, v34
	v_and_b32_e32 v42, 0x80000000, v42
	v_lshl_add_u32 v32, v32, 23, v33
	v_or3_b32 v42, v42, v32, v34
.LBB666_145:                            ;   in Loop: Header=BB666_15 Depth=1
	s_or_b64 exec, exec, s[10:11]
.LBB666_146:                            ;   in Loop: Header=BB666_15 Depth=1
	s_or_b64 exec, exec, s[6:7]
.LBB666_147:                            ;   in Loop: Header=BB666_15 Depth=1
	s_or_b64 exec, exec, s[4:5]
	v_lshrrev_b32_e32 v32, 16, v30
	v_cmp_ne_u16_sdwa s[6:7], v32, v29 src0_sel:BYTE_0 src1_sel:DWORD
	s_and_saveexec_b64 s[4:5], s[6:7]
	s_cbranch_execz .LBB666_153
; %bb.148:                              ;   in Loop: Header=BB666_15 Depth=1
	v_cmp_ne_u16_sdwa s[10:11], v32, s13 src0_sel:BYTE_0 src1_sel:DWORD
	v_bfrev_b32_e32 v40, 1
	s_and_saveexec_b64 s[6:7], s[10:11]
	s_cbranch_execz .LBB666_152
; %bb.149:                              ;   in Loop: Header=BB666_15 Depth=1
	v_bfe_u32 v34, v30, 16, 7
	v_cmp_ne_u32_e32 vcc, s14, v34
	v_mov_b32_e32 v40, 0x7f800001
	s_and_saveexec_b64 s[10:11], vcc
	s_cbranch_execz .LBB666_151
; %bb.150:                              ;   in Loop: Header=BB666_15 Depth=1
	v_and_b32_e32 v40, 7, v32
	v_ffbh_u32_e32 v44, v40
	v_min_u32_e32 v46, 32, v44
	v_subrev_u32_e32 v44, 28, v46
	v_lshlrev_b64 v[44:45], v44, v[32:33]
	v_lshrrev_b32_e32 v43, 3, v34
	v_sub_u32_e32 v45, 29, v46
	v_and_b32_e32 v44, 7, v44
	v_cmp_gt_u32_e32 vcc, 8, v34
	v_cndmask_b32_e32 v34, v43, v45, vcc
	v_cndmask_b32_e32 v40, v40, v44, vcc
	v_lshlrev_b32_e32 v32, 24, v32
	v_lshlrev_b32_e32 v40, 20, v40
	v_and_b32_e32 v32, 0x80000000, v32
	v_lshl_add_u32 v34, v34, 23, v33
	v_or3_b32 v40, v32, v34, v40
.LBB666_151:                            ;   in Loop: Header=BB666_15 Depth=1
	s_or_b64 exec, exec, s[10:11]
.LBB666_152:                            ;   in Loop: Header=BB666_15 Depth=1
	s_or_b64 exec, exec, s[6:7]
.LBB666_153:                            ;   in Loop: Header=BB666_15 Depth=1
	s_or_b64 exec, exec, s[4:5]
	v_cmp_lt_u32_e32 vcc, s15, v30
	v_mov_b32_e32 v34, 0
	v_mov_b32_e32 v43, 0
	s_and_saveexec_b64 s[4:5], vcc
	s_cbranch_execz .LBB666_159
; %bb.154:                              ;   in Loop: Header=BB666_15 Depth=1
	v_lshrrev_b32_e32 v32, 24, v30
	v_cmp_ne_u32_e32 vcc, s13, v32
	v_bfrev_b32_e32 v43, 1
	s_and_saveexec_b64 s[6:7], vcc
	s_cbranch_execz .LBB666_158
; %bb.155:                              ;   in Loop: Header=BB666_15 Depth=1
	v_bfe_u32 v30, v30, 24, 7
	v_cmp_ne_u32_e32 vcc, s14, v30
	v_mov_b32_e32 v43, 0x7f800001
	s_and_saveexec_b64 s[10:11], vcc
	s_cbranch_execz .LBB666_157
; %bb.156:                              ;   in Loop: Header=BB666_15 Depth=1
	v_and_b32_e32 v43, 7, v32
	v_ffbh_u32_e32 v44, v43
	v_min_u32_e32 v47, 32, v44
	v_subrev_u32_e32 v44, 28, v47
	v_lshlrev_b64 v[44:45], v44, v[32:33]
	v_lshrrev_b32_e32 v46, 3, v30
	v_sub_u32_e32 v45, 29, v47
	v_and_b32_e32 v44, 7, v44
	v_cmp_gt_u32_e32 vcc, 8, v30
	v_cndmask_b32_e32 v30, v46, v45, vcc
	v_cndmask_b32_e32 v43, v43, v44, vcc
	v_lshlrev_b32_e32 v32, 24, v32
	v_lshlrev_b32_e32 v43, 20, v43
	v_and_b32_e32 v32, 0x80000000, v32
	v_lshl_add_u32 v30, v30, 23, v33
	v_or3_b32 v43, v32, v30, v43
.LBB666_157:                            ;   in Loop: Header=BB666_15 Depth=1
	s_or_b64 exec, exec, s[10:11]
.LBB666_158:                            ;   in Loop: Header=BB666_15 Depth=1
	s_or_b64 exec, exec, s[6:7]
.LBB666_159:                            ;   in Loop: Header=BB666_15 Depth=1
	s_or_b64 exec, exec, s[4:5]
	v_cvt_pkrtz_f16_f32 v44, v23, v36
	v_cvt_pkrtz_f16_f32 v45, v35, v38
	;; [unrolled: 1-line block ×4, first 2 shown]
	s_waitcnt vmcnt(1)
	v_cmp_ne_u16_sdwa s[6:7], v28, v29 src0_sel:BYTE_0 src1_sel:DWORD
	v_mfma_f32_16x16x16f16 v[18:21], v[44:45], v[10:11], v[18:21]
	v_mfma_f32_16x16x16f16 v[18:21], v[36:37], v[12:13], v[18:21]
	s_and_saveexec_b64 s[4:5], s[6:7]
	s_cbranch_execz .LBB666_165
; %bb.160:                              ;   in Loop: Header=BB666_15 Depth=1
	v_cmp_ne_u16_sdwa s[10:11], v28, s13 src0_sel:BYTE_0 src1_sel:DWORD
	v_bfrev_b32_e32 v34, 1
	s_and_saveexec_b64 s[6:7], s[10:11]
	s_cbranch_execz .LBB666_164
; %bb.161:                              ;   in Loop: Header=BB666_15 Depth=1
	v_and_b32_e32 v23, 0x7f, v28
	v_cmp_ne_u32_e32 vcc, s14, v23
	v_mov_b32_e32 v34, 0x7f800001
	s_and_saveexec_b64 s[10:11], vcc
	s_cbranch_execz .LBB666_163
; %bb.162:                              ;   in Loop: Header=BB666_15 Depth=1
	v_and_b32_e32 v30, 7, v28
	v_ffbh_u32_e32 v34, v30
	v_min_u32_e32 v36, 32, v34
	v_subrev_u32_e32 v34, 28, v36
	v_lshlrev_b64 v[34:35], v34, v[28:29]
	v_lshrrev_b32_e32 v32, 3, v23
	v_sub_u32_e32 v35, 29, v36
	v_and_b32_e32 v34, 7, v34
	v_cmp_gt_u32_e32 vcc, 8, v23
	v_cndmask_b32_e32 v23, v32, v35, vcc
	v_cndmask_b32_e32 v30, v30, v34, vcc
	v_lshlrev_b32_e32 v32, 24, v28
	v_lshlrev_b32_e32 v30, 20, v30
	v_and_b32_e32 v32, 0x80000000, v32
	v_lshl_add_u32 v23, v23, 23, v33
	v_or3_b32 v34, v32, v23, v30
.LBB666_163:                            ;   in Loop: Header=BB666_15 Depth=1
	s_or_b64 exec, exec, s[10:11]
.LBB666_164:                            ;   in Loop: Header=BB666_15 Depth=1
	s_or_b64 exec, exec, s[6:7]
.LBB666_165:                            ;   in Loop: Header=BB666_15 Depth=1
	s_or_b64 exec, exec, s[4:5]
	v_lshrrev_b16_e32 v30, 8, v28
	v_cmp_ne_u16_e32 vcc, 0, v30
	v_mov_b32_e32 v23, 0
	v_mov_b32_e32 v32, 0
	s_and_saveexec_b64 s[4:5], vcc
	s_cbranch_execz .LBB666_171
; %bb.166:                              ;   in Loop: Header=BB666_15 Depth=1
	v_cmp_ne_u16_e32 vcc, s13, v30
	v_bfrev_b32_e32 v32, 1
	s_and_saveexec_b64 s[6:7], vcc
	s_cbranch_execz .LBB666_170
; %bb.167:                              ;   in Loop: Header=BB666_15 Depth=1
	v_and_b32_e32 v35, 0x7f, v30
	v_cmp_ne_u32_e32 vcc, s14, v35
	v_mov_b32_e32 v32, 0x7f800001
	s_and_saveexec_b64 s[10:11], vcc
	s_cbranch_execz .LBB666_169
; %bb.168:                              ;   in Loop: Header=BB666_15 Depth=1
	v_and_b32_e32 v32, 7, v30
	v_ffbh_u32_e32 v36, v32
	v_min_u32_e32 v40, 32, v36
	v_subrev_u32_e32 v36, 28, v40
	v_lshlrev_b64 v[36:37], v36, v[30:31]
	v_lshrrev_b32_e32 v38, 3, v35
	v_sub_u32_e32 v30, 29, v40
	v_and_b32_e32 v36, 7, v36
	v_cmp_gt_u32_e32 vcc, 8, v35
	v_cndmask_b32_e32 v30, v38, v30, vcc
	v_cndmask_b32_e32 v32, v32, v36, vcc
	v_lshlrev_b32_e32 v35, 16, v28
	v_lshlrev_b32_e32 v32, 20, v32
	v_and_b32_e32 v35, 0x80000000, v35
	v_lshl_add_u32 v30, v30, 23, v33
	v_or3_b32 v32, v35, v30, v32
.LBB666_169:                            ;   in Loop: Header=BB666_15 Depth=1
	s_or_b64 exec, exec, s[10:11]
.LBB666_170:                            ;   in Loop: Header=BB666_15 Depth=1
	s_or_b64 exec, exec, s[6:7]
.LBB666_171:                            ;   in Loop: Header=BB666_15 Depth=1
	s_or_b64 exec, exec, s[4:5]
	v_lshrrev_b32_e32 v30, 16, v28
	v_cmp_ne_u16_sdwa s[6:7], v30, v29 src0_sel:BYTE_0 src1_sel:DWORD
	s_and_saveexec_b64 s[4:5], s[6:7]
	s_cbranch_execz .LBB666_177
; %bb.172:                              ;   in Loop: Header=BB666_15 Depth=1
	v_cmp_ne_u16_sdwa s[10:11], v30, s13 src0_sel:BYTE_0 src1_sel:DWORD
	v_bfrev_b32_e32 v23, 1
	s_and_saveexec_b64 s[6:7], s[10:11]
	s_cbranch_execz .LBB666_176
; %bb.173:                              ;   in Loop: Header=BB666_15 Depth=1
	v_bfe_u32 v35, v28, 16, 7
	v_cmp_ne_u32_e32 vcc, s14, v35
	v_mov_b32_e32 v23, 0x7f800001
	s_and_saveexec_b64 s[10:11], vcc
	s_cbranch_execz .LBB666_175
; %bb.174:                              ;   in Loop: Header=BB666_15 Depth=1
	v_and_b32_e32 v23, 7, v30
	v_ffbh_u32_e32 v36, v23
	v_min_u32_e32 v40, 32, v36
	v_subrev_u32_e32 v36, 28, v40
	v_lshlrev_b64 v[36:37], v36, v[30:31]
	v_lshrrev_b32_e32 v38, 3, v35
	v_sub_u32_e32 v37, 29, v40
	v_and_b32_e32 v36, 7, v36
	v_cmp_gt_u32_e32 vcc, 8, v35
	v_cndmask_b32_e32 v35, v38, v37, vcc
	v_cndmask_b32_e32 v23, v23, v36, vcc
	v_lshlrev_b32_e32 v30, 24, v30
	v_lshlrev_b32_e32 v23, 20, v23
	v_and_b32_e32 v30, 0x80000000, v30
	v_lshl_add_u32 v35, v35, 23, v33
	v_or3_b32 v23, v30, v35, v23
.LBB666_175:                            ;   in Loop: Header=BB666_15 Depth=1
	s_or_b64 exec, exec, s[10:11]
.LBB666_176:                            ;   in Loop: Header=BB666_15 Depth=1
	s_or_b64 exec, exec, s[6:7]
.LBB666_177:                            ;   in Loop: Header=BB666_15 Depth=1
	s_or_b64 exec, exec, s[4:5]
	v_cmp_lt_u32_e32 vcc, s15, v28
	v_mov_b32_e32 v35, 0
	v_mov_b32_e32 v36, 0
	s_and_saveexec_b64 s[4:5], vcc
	s_cbranch_execz .LBB666_183
; %bb.178:                              ;   in Loop: Header=BB666_15 Depth=1
	v_lshrrev_b32_e32 v30, 24, v28
	v_cmp_ne_u32_e32 vcc, s13, v30
	v_bfrev_b32_e32 v36, 1
	s_and_saveexec_b64 s[6:7], vcc
	s_cbranch_execz .LBB666_182
; %bb.179:                              ;   in Loop: Header=BB666_15 Depth=1
	v_bfe_u32 v28, v28, 24, 7
	v_cmp_ne_u32_e32 vcc, s14, v28
	v_mov_b32_e32 v36, 0x7f800001
	s_and_saveexec_b64 s[10:11], vcc
	s_cbranch_execz .LBB666_181
; %bb.180:                              ;   in Loop: Header=BB666_15 Depth=1
	v_and_b32_e32 v38, 7, v30
	v_ffbh_u32_e32 v36, v38
	v_min_u32_e32 v42, 32, v36
	v_subrev_u32_e32 v36, 28, v42
	v_lshlrev_b64 v[36:37], v36, v[30:31]
	v_lshrrev_b32_e32 v40, 3, v28
	v_sub_u32_e32 v37, 29, v42
	v_and_b32_e32 v36, 7, v36
	v_cmp_gt_u32_e32 vcc, 8, v28
	v_cndmask_b32_e32 v28, v40, v37, vcc
	v_cndmask_b32_e32 v36, v38, v36, vcc
	v_lshlrev_b32_e32 v30, 24, v30
	v_lshlrev_b32_e32 v36, 20, v36
	v_and_b32_e32 v30, 0x80000000, v30
	v_lshl_add_u32 v28, v28, 23, v33
	v_or3_b32 v36, v30, v28, v36
.LBB666_181:                            ;   in Loop: Header=BB666_15 Depth=1
	s_or_b64 exec, exec, s[10:11]
.LBB666_182:                            ;   in Loop: Header=BB666_15 Depth=1
	s_or_b64 exec, exec, s[6:7]
.LBB666_183:                            ;   in Loop: Header=BB666_15 Depth=1
	s_or_b64 exec, exec, s[4:5]
	s_waitcnt vmcnt(0)
	v_cmp_ne_u16_sdwa s[6:7], v26, v29 src0_sel:BYTE_0 src1_sel:DWORD
	s_and_saveexec_b64 s[4:5], s[6:7]
	s_cbranch_execz .LBB666_189
; %bb.184:                              ;   in Loop: Header=BB666_15 Depth=1
	v_cmp_ne_u16_sdwa s[10:11], v26, s13 src0_sel:BYTE_0 src1_sel:DWORD
	v_bfrev_b32_e32 v35, 1
	s_and_saveexec_b64 s[6:7], s[10:11]
	s_cbranch_execz .LBB666_188
; %bb.185:                              ;   in Loop: Header=BB666_15 Depth=1
	v_and_b32_e32 v28, 0x7f, v26
	v_cmp_ne_u32_e32 vcc, s14, v28
	v_mov_b32_e32 v35, 0x7f800001
	s_and_saveexec_b64 s[10:11], vcc
	s_cbranch_execz .LBB666_187
; %bb.186:                              ;   in Loop: Header=BB666_15 Depth=1
	v_and_b32_e32 v30, 7, v26
	v_ffbh_u32_e32 v37, v30
	v_min_u32_e32 v37, 32, v37
	v_subrev_u32_e32 v38, 28, v37
	v_lshlrev_b64 v[42:43], v38, v[26:27]
	v_lshrrev_b32_e32 v35, 3, v28
	v_sub_u32_e32 v37, 29, v37
	v_and_b32_e32 v38, 7, v42
	v_cmp_gt_u32_e32 vcc, 8, v28
	v_cndmask_b32_e32 v28, v35, v37, vcc
	v_cndmask_b32_e32 v30, v30, v38, vcc
	v_lshlrev_b32_e32 v35, 24, v26
	v_lshlrev_b32_e32 v30, 20, v30
	v_and_b32_e32 v35, 0x80000000, v35
	v_lshl_add_u32 v28, v28, 23, v33
	v_or3_b32 v35, v35, v28, v30
.LBB666_187:                            ;   in Loop: Header=BB666_15 Depth=1
	s_or_b64 exec, exec, s[10:11]
.LBB666_188:                            ;   in Loop: Header=BB666_15 Depth=1
	s_or_b64 exec, exec, s[6:7]
.LBB666_189:                            ;   in Loop: Header=BB666_15 Depth=1
	s_or_b64 exec, exec, s[4:5]
	v_lshrrev_b16_e32 v28, 8, v26
	v_cmp_ne_u16_e32 vcc, 0, v28
	v_mov_b32_e32 v30, 0
	v_mov_b32_e32 v37, 0
	s_and_saveexec_b64 s[4:5], vcc
	s_cbranch_execz .LBB666_195
; %bb.190:                              ;   in Loop: Header=BB666_15 Depth=1
	v_cmp_ne_u16_e32 vcc, s13, v28
	v_bfrev_b32_e32 v37, 1
	s_and_saveexec_b64 s[6:7], vcc
	s_cbranch_execz .LBB666_194
; %bb.191:                              ;   in Loop: Header=BB666_15 Depth=1
	v_and_b32_e32 v38, 0x7f, v28
	v_cmp_ne_u32_e32 vcc, s14, v38
	v_mov_b32_e32 v37, 0x7f800001
	s_and_saveexec_b64 s[10:11], vcc
	s_cbranch_execz .LBB666_193
; %bb.192:                              ;   in Loop: Header=BB666_15 Depth=1
	v_and_b32_e32 v37, 7, v28
	v_ffbh_u32_e32 v42, v37
	v_min_u32_e32 v44, 32, v42
	v_subrev_u32_e32 v42, 28, v44
	v_lshlrev_b64 v[42:43], v42, v[28:29]
	v_lshrrev_b32_e32 v40, 3, v38
	v_sub_u32_e32 v28, 29, v44
	v_and_b32_e32 v42, 7, v42
	v_cmp_gt_u32_e32 vcc, 8, v38
	v_cndmask_b32_e32 v28, v40, v28, vcc
	v_cndmask_b32_e32 v37, v37, v42, vcc
	v_lshlrev_b32_e32 v38, 16, v26
	v_lshlrev_b32_e32 v37, 20, v37
	v_and_b32_e32 v38, 0x80000000, v38
	v_lshl_add_u32 v28, v28, 23, v33
	v_or3_b32 v37, v38, v28, v37
.LBB666_193:                            ;   in Loop: Header=BB666_15 Depth=1
	s_or_b64 exec, exec, s[10:11]
.LBB666_194:                            ;   in Loop: Header=BB666_15 Depth=1
	s_or_b64 exec, exec, s[6:7]
.LBB666_195:                            ;   in Loop: Header=BB666_15 Depth=1
	s_or_b64 exec, exec, s[4:5]
	v_lshrrev_b32_e32 v28, 16, v26
	v_cmp_ne_u16_sdwa s[6:7], v28, v29 src0_sel:BYTE_0 src1_sel:DWORD
	s_and_saveexec_b64 s[4:5], s[6:7]
	s_cbranch_execz .LBB666_201
; %bb.196:                              ;   in Loop: Header=BB666_15 Depth=1
	v_cmp_ne_u16_sdwa s[10:11], v28, s13 src0_sel:BYTE_0 src1_sel:DWORD
	v_bfrev_b32_e32 v30, 1
	s_and_saveexec_b64 s[6:7], s[10:11]
	s_cbranch_execz .LBB666_200
; %bb.197:                              ;   in Loop: Header=BB666_15 Depth=1
	v_bfe_u32 v38, v26, 16, 7
	v_cmp_ne_u32_e32 vcc, s14, v38
	v_mov_b32_e32 v30, 0x7f800001
	s_and_saveexec_b64 s[10:11], vcc
	s_cbranch_execz .LBB666_199
; %bb.198:                              ;   in Loop: Header=BB666_15 Depth=1
	v_and_b32_e32 v30, 7, v28
	v_ffbh_u32_e32 v42, v30
	v_min_u32_e32 v44, 32, v42
	v_subrev_u32_e32 v42, 28, v44
	v_lshlrev_b64 v[42:43], v42, v[28:29]
	v_lshrrev_b32_e32 v40, 3, v38
	v_sub_u32_e32 v43, 29, v44
	v_and_b32_e32 v42, 7, v42
	v_cmp_gt_u32_e32 vcc, 8, v38
	v_cndmask_b32_e32 v38, v40, v43, vcc
	v_cndmask_b32_e32 v30, v30, v42, vcc
	v_lshlrev_b32_e32 v28, 24, v28
	v_lshlrev_b32_e32 v30, 20, v30
	v_and_b32_e32 v28, 0x80000000, v28
	v_lshl_add_u32 v38, v38, 23, v33
	v_or3_b32 v30, v28, v38, v30
.LBB666_199:                            ;   in Loop: Header=BB666_15 Depth=1
	s_or_b64 exec, exec, s[10:11]
.LBB666_200:                            ;   in Loop: Header=BB666_15 Depth=1
	s_or_b64 exec, exec, s[6:7]
.LBB666_201:                            ;   in Loop: Header=BB666_15 Depth=1
	s_or_b64 exec, exec, s[4:5]
	v_cmp_lt_u32_e32 vcc, s15, v26
	v_mov_b32_e32 v38, 0
	s_and_saveexec_b64 s[4:5], vcc
	s_cbranch_execz .LBB666_14
; %bb.202:                              ;   in Loop: Header=BB666_15 Depth=1
	v_lshrrev_b32_e32 v28, 24, v26
	v_cmp_ne_u32_e32 vcc, s13, v28
	v_bfrev_b32_e32 v38, 1
	s_and_saveexec_b64 s[6:7], vcc
	s_cbranch_execz .LBB666_13
; %bb.203:                              ;   in Loop: Header=BB666_15 Depth=1
	v_bfe_u32 v26, v26, 24, 7
	v_cmp_ne_u32_e32 vcc, s14, v26
	v_mov_b32_e32 v38, 0x7f800001
	s_and_saveexec_b64 s[10:11], vcc
	s_cbranch_execz .LBB666_12
; %bb.204:                              ;   in Loop: Header=BB666_15 Depth=1
	v_and_b32_e32 v38, 7, v28
	v_ffbh_u32_e32 v42, v38
	v_min_u32_e32 v44, 32, v42
	v_subrev_u32_e32 v42, 28, v44
	v_lshlrev_b64 v[42:43], v42, v[28:29]
	v_lshrrev_b32_e32 v40, 3, v26
	v_sub_u32_e32 v43, 29, v44
	v_and_b32_e32 v42, 7, v42
	v_cmp_gt_u32_e32 vcc, 8, v26
	v_cndmask_b32_e32 v26, v40, v43, vcc
	v_cndmask_b32_e32 v38, v38, v42, vcc
	v_lshlrev_b32_e32 v28, 24, v28
	v_lshlrev_b32_e32 v38, 20, v38
	v_and_b32_e32 v28, 0x80000000, v28
	v_lshl_add_u32 v26, v26, 23, v33
	v_or3_b32 v38, v28, v26, v38
	s_branch .LBB666_12
.LBB666_205:
	buffer_load_dword v13, off, s[0:3], 0 offset:256
	buffer_load_dword v14, off, s[0:3], 0 offset:260
	;; [unrolled: 1-line block ×16, first 2 shown]
	v_and_b32_e32 v12, 0xc0, v0
	v_add_u32_e32 v12, s20, v12
	v_lshl_or_b32 v12, v1, 2, v12
	v_or_b32_e32 v23, 1, v12
	v_mov_b32_e32 v19, 0xff7fffff
	v_or_b32_e32 v24, 2, v12
	v_or_b32_e32 v25, 3, v12
	v_cmp_gt_i32_e64 s[26:27], s33, v12
	v_cmp_gt_i32_e64 s[28:29], s33, v23
	s_mov_b32 s52, 0xff7fffff
	v_or_b32_e32 v26, 16, v12
	v_or_b32_e32 v27, 17, v12
	;; [unrolled: 1-line block ×12, first 2 shown]
	v_cmp_gt_i32_e64 s[30:31], s33, v24
	v_cmp_gt_i32_e64 s[34:35], s33, v25
	v_mbcnt_lo_u32_b32 v20, -1, 0
	v_cmp_gt_i32_e64 s[36:37], s33, v26
	v_cmp_gt_i32_e64 s[38:39], s33, v27
	v_mbcnt_hi_u32_b32 v20, -1, v20
	v_cmp_gt_i32_e64 s[20:21], s33, v28
	v_cmp_gt_i32_e64 s[22:23], s33, v29
	v_and_b32_e32 v21, 64, v20
	v_cmp_gt_i32_e64 s[16:17], s33, v30
	v_cmp_gt_i32_e64 s[18:19], s33, v31
	v_xor_b32_e32 v22, 32, v20
	v_add_u32_e32 v21, 64, v21
	v_cmp_gt_i32_e64 s[12:13], s33, v32
	v_cmp_gt_i32_e64 s[14:15], s33, v33
	v_cmp_lt_i32_e32 vcc, v22, v21
	v_cmp_gt_i32_e64 s[6:7], s33, v34
	v_cmp_gt_i32_e64 s[10:11], s33, v35
	v_cndmask_b32_e32 v22, v20, v22, vcc
	v_cmp_gt_i32_e32 vcc, s33, v36
	v_cmp_gt_i32_e64 s[4:5], s33, v37
	v_lshlrev_b32_e32 v22, 2, v22
	s_waitcnt vmcnt(15)
	v_cndmask_b32_e64 v12, v19, v13, s[26:27]
	s_waitcnt vmcnt(14)
	v_cndmask_b32_e64 v23, v19, v14, s[28:29]
	;; [unrolled: 2-line block ×4, first 2 shown]
	v_max3_f32 v12, v12, s52, v23
	s_waitcnt vmcnt(11)
	v_cndmask_b32_e64 v26, v19, v17, s[36:37]
	s_waitcnt vmcnt(10)
	v_cndmask_b32_e64 v27, v19, v18, s[38:39]
	v_max3_f32 v12, v12, v24, v25
	s_waitcnt vmcnt(9)
	v_cndmask_b32_e64 v28, v19, v11, s[20:21]
	s_waitcnt vmcnt(8)
	v_cndmask_b32_e64 v29, v19, v10, s[22:23]
	;; [unrolled: 5-line block ×5, first 2 shown]
	v_max3_f32 v12, v12, v32, v33
	s_waitcnt vmcnt(1)
	v_cndmask_b32_e32 v36, v19, v3, vcc
	s_waitcnt vmcnt(0)
	v_cndmask_b32_e64 v19, v19, v2, s[4:5]
	v_max3_f32 v12, v12, v34, v35
	v_max3_f32 v12, v12, v36, v19
	ds_bpermute_b32 v19, v22, v12
	v_xor_b32_e32 v23, 16, v20
	v_cmp_lt_i32_e64 s[40:41], v23, v21
	v_cndmask_b32_e64 v20, v20, v23, s[40:41]
	v_lshlrev_b32_e32 v20, 2, v20
	s_waitcnt lgkmcnt(0)
	v_max_f32_e32 v19, v19, v19
	v_max_f32_e32 v12, v12, v19
	ds_bpermute_b32 v19, v20, v12
	s_waitcnt lgkmcnt(0)
	v_max_f32_e32 v19, v19, v19
	v_max_f32_e32 v12, v12, v19
	v_sub_f32_e32 v13, v13, v12
	v_sub_f32_e32 v14, v14, v12
	;; [unrolled: 1-line block ×3, first 2 shown]
	v_mul_f32_e32 v13, 0x3fb8aa3b, v13
	v_mul_f32_e32 v14, 0x3fb8aa3b, v14
	;; [unrolled: 1-line block ×3, first 2 shown]
	v_exp_f32_e32 v13, v13
	v_exp_f32_e32 v14, v14
	;; [unrolled: 1-line block ×3, first 2 shown]
	v_sub_f32_e32 v16, v16, v12
	v_cndmask_b32_e64 v13, 0, v13, s[26:27]
	v_mul_f32_e32 v16, 0x3fb8aa3b, v16
	v_cndmask_b32_e64 v14, 0, v14, s[28:29]
	v_cndmask_b32_e64 v15, 0, v15, s[30:31]
	v_add_f32_e32 v19, 0, v13
	buffer_store_dword v13, off, s[0:3], 0 offset:256
	buffer_store_dword v14, off, s[0:3], 0 offset:260
	;; [unrolled: 1-line block ×3, first 2 shown]
	v_sub_f32_e32 v13, v17, v12
	v_exp_f32_e32 v16, v16
	v_add_f32_e32 v19, v19, v14
	v_mul_f32_e32 v13, 0x3fb8aa3b, v13
	v_sub_f32_e32 v14, v18, v12
	v_exp_f32_e32 v13, v13
	v_mul_f32_e32 v14, 0x3fb8aa3b, v14
	v_sub_f32_e32 v11, v11, v12
	v_exp_f32_e32 v14, v14
	;; [unrolled: 3-line block ×3, first 2 shown]
	v_mul_f32_e32 v10, 0x3fb8aa3b, v10
	v_sub_f32_e32 v9, v9, v12
	v_cndmask_b32_e64 v16, 0, v16, s[34:35]
	v_add_f32_e32 v19, v19, v15
	v_exp_f32_e32 v10, v10
	v_mul_f32_e32 v9, 0x3fb8aa3b, v9
	v_sub_f32_e32 v8, v8, v12
	v_add_f32_e32 v19, v19, v16
	v_cndmask_b32_e64 v13, 0, v13, s[36:37]
	v_exp_f32_e32 v9, v9
	v_mul_f32_e32 v8, 0x3fb8aa3b, v8
	v_sub_f32_e32 v7, v7, v12
	v_add_f32_e32 v15, v19, v13
	v_cndmask_b32_e64 v14, 0, v14, s[38:39]
	;; [unrolled: 5-line block ×5, first 2 shown]
	v_exp_f32_e32 v5, v5
	v_mul_f32_e32 v4, 0x3fb8aa3b, v4
	v_sub_f32_e32 v3, v3, v12
	buffer_store_dword v16, off, s[0:3], 0 offset:268
	buffer_store_dword v13, off, s[0:3], 0 offset:272
	;; [unrolled: 1-line block ×5, first 2 shown]
	v_add_f32_e32 v10, v15, v9
	v_cndmask_b32_e64 v8, 0, v8, s[18:19]
	v_exp_f32_e32 v4, v4
	v_mul_f32_e32 v3, 0x3fb8aa3b, v3
	v_sub_f32_e32 v2, v2, v12
	v_add_f32_e32 v10, v10, v8
	v_cndmask_b32_e64 v7, 0, v7, s[12:13]
	v_exp_f32_e32 v3, v3
	v_mul_f32_e32 v2, 0x3fb8aa3b, v2
	v_add_f32_e32 v10, v10, v7
	v_cndmask_b32_e64 v6, 0, v6, s[14:15]
	v_exp_f32_e32 v2, v2
	v_add_f32_e32 v10, v10, v6
	v_cndmask_b32_e64 v5, 0, v5, s[6:7]
	buffer_store_dword v9, off, s[0:3], 0 offset:288
	buffer_store_dword v8, off, s[0:3], 0 offset:292
	;; [unrolled: 1-line block ×4, first 2 shown]
	v_add_f32_e32 v6, v10, v5
	v_cndmask_b32_e64 v4, 0, v4, s[10:11]
	v_add_f32_e32 v6, v6, v4
	v_cndmask_b32_e32 v3, 0, v3, vcc
	v_add_f32_e32 v6, v6, v3
	v_cndmask_b32_e64 v2, 0, v2, s[4:5]
	v_add_f32_e32 v6, v6, v2
	ds_bpermute_b32 v7, v22, v6
	buffer_store_dword v5, off, s[0:3], 0 offset:304
	buffer_store_dword v4, off, s[0:3], 0 offset:308
	;; [unrolled: 1-line block ×4, first 2 shown]
	v_cmp_gt_u32_e64 s[4:5], 16, v64
	s_waitcnt lgkmcnt(0)
	s_barrier
	v_add_f32_e32 v2, v6, v7
	ds_bpermute_b32 v3, v20, v2
	s_waitcnt lgkmcnt(0)
	s_and_saveexec_b64 s[6:7], s[4:5]
	s_cbranch_execz .LBB666_207
; %bb.206:
	v_add_f32_e32 v2, v2, v3
	v_lshlrev_b32_e32 v3, 2, v63
	ds_write2st64_b32 v3, v12, v2 offset1:1
.LBB666_207:
	s_or_b64 exec, exec, s[6:7]
	v_lshlrev_b32_e32 v2, 2, v55
	s_waitcnt lgkmcnt(0)
	s_barrier
	ds_read2_b32 v[12:13], v2 offset1:16
	ds_read2_b32 v[14:15], v2 offset0:32 offset1:48
	ds_read2_b32 v[6:7], v2 offset0:64 offset1:80
	;; [unrolled: 1-line block ×3, first 2 shown]
	s_waitcnt lgkmcnt(0)
	s_barrier
	buffer_load_dword v20, off, s[0:3], 0 offset:256
	buffer_load_dword v21, off, s[0:3], 0 offset:260
	;; [unrolled: 1-line block ×16, first 2 shown]
	v_lshlrev_b32_e32 v19, 3, v1
	v_lshlrev_b32_e32 v18, 5, v55
	;; [unrolled: 1-line block ×3, first 2 shown]
	v_or3_b32 v43, v28, v18, v19
	v_max3_f32 v19, v12, s52, v13
	v_max3_f32 v19, v19, v14, v15
	v_sub_f32_e32 v12, v12, v19
	v_sub_f32_e32 v13, v13, v19
	v_mul_f32_e32 v12, 0x3fb8aa3b, v12
	v_sub_f32_e32 v14, v14, v19
	v_mul_f32_e32 v13, 0x3fb8aa3b, v13
	v_exp_f32_e32 v12, v12
	v_sub_f32_e32 v15, v15, v19
	v_mul_f32_e32 v14, 0x3fb8aa3b, v14
	v_exp_f32_e32 v13, v13
	v_mul_f32_e32 v15, 0x3fb8aa3b, v15
	v_exp_f32_e32 v14, v14
	v_exp_f32_e32 v15, v15
	v_fma_f32 v6, v12, v6, 0
	v_fmac_f32_e32 v6, v13, v7
	v_fmac_f32_e32 v6, v14, v10
	;; [unrolled: 1-line block ×3, first 2 shown]
	v_cmp_eq_u32_e32 vcc, 1, v62
	v_add_f32_e32 v10, 0x358637bd, v6
	v_cndmask_b32_e32 v12, v12, v13, vcc
	v_cmp_eq_u32_e32 vcc, 2, v62
	v_div_scale_f32 v11, s[6:7], v10, v10, 1.0
	v_cndmask_b32_e32 v7, v12, v14, vcc
	v_rcp_f32_e32 v12, v11
	v_cmp_eq_u32_e32 vcc, 3, v62
	v_cndmask_b32_e32 v7, v7, v15, vcc
	v_div_scale_f32 v13, vcc, 1.0, v10, 1.0
	v_fma_f32 v14, -v11, v12, 1.0
	v_fmac_f32_e32 v12, v14, v12
	v_mul_f32_e32 v14, v13, v12
	v_fma_f32 v15, -v11, v14, v13
	v_fmac_f32_e32 v14, v15, v12
	v_fma_f32 v11, -v11, v14, v13
	v_div_fmas_f32 v11, v11, v12, v14
	v_div_fixup_f32 v10, v11, v10, 1.0
	v_mul_f32_e32 v10, v7, v10
	s_mul_i32 s20, s51, 13
	v_cmp_gt_u32_e32 vcc, 13, v0
	s_waitcnt vmcnt(14)
	v_pk_mul_f32 v[14:15], v[10:11], v[20:21] op_sel_hi:[0,1]
	v_cvt_f16_f32_e32 v7, v14
	s_waitcnt vmcnt(12)
	v_pk_mul_f32 v[12:13], v[10:11], v[22:23] op_sel_hi:[0,1]
	buffer_store_dword v14, off, s[0:3], 0 offset:256
	buffer_store_dword v15, off, s[0:3], 0 offset:260
	;; [unrolled: 1-line block ×3, first 2 shown]
	s_waitcnt vmcnt(13)
	v_pk_mul_f32 v[20:21], v[10:11], v[24:25] op_sel_hi:[0,1]
	v_cvt_f16_f32_e32 v14, v12
	s_waitcnt vmcnt(11)
	v_pk_mul_f32 v[22:23], v[10:11], v[26:27] op_sel_hi:[0,1]
	v_cvt_f16_f32_e32 v11, v15
	v_cvt_f16_f32_e32 v15, v13
	buffer_store_dword v13, off, s[0:3], 0 offset:268
	buffer_store_dword v22, off, s[0:3], 0 offset:272
	buffer_store_dword v23, off, s[0:3], 0 offset:276
	v_pack_b32_f16 v12, v7, v11
	v_cvt_f16_f32_e32 v11, v23
	v_pack_b32_f16 v13, v14, v15
	v_cvt_f16_f32_e32 v7, v22
	v_cvt_f16_f32_e32 v15, v20
	;; [unrolled: 1-line block ×3, first 2 shown]
	s_waitcnt vmcnt(12)
	v_pk_mul_f32 v[4:5], v[10:11], v[4:5] op_sel_hi:[0,1]
	v_pack_b32_f16 v14, v7, v11
	s_waitcnt vmcnt(10)
	v_pk_mul_f32 v[2:3], v[10:11], v[2:3] op_sel_hi:[0,1]
	v_pack_b32_f16 v15, v15, v22
	v_cvt_f16_f32_e32 v11, v5
	buffer_store_dword v20, off, s[0:3], 0 offset:280
	buffer_store_dword v21, off, s[0:3], 0 offset:284
	ds_write2st64_b64 v43, v[12:13], v[14:15] offset1:1
	buffer_store_dword v2, off, s[0:3], 0 offset:288
	buffer_store_dword v3, off, s[0:3], 0 offset:292
	v_cvt_f16_f32_e32 v2, v2
	v_cvt_f16_f32_e32 v3, v3
	;; [unrolled: 1-line block ×3, first 2 shown]
	buffer_store_dword v4, off, s[0:3], 0 offset:296
	buffer_store_dword v5, off, s[0:3], 0 offset:300
	s_waitcnt vmcnt(12)
	v_pk_mul_f32 v[4:5], v[10:11], v[16:17] op_sel_hi:[0,1]
	v_pk_mul_f32 v[8:9], v[10:11], v[8:9] op_sel_hi:[0,1]
	v_pack_b32_f16 v2, v2, v3
	v_pack_b32_f16 v3, v7, v11
	buffer_store_dword v8, off, s[0:3], 0 offset:304
	buffer_store_dword v9, off, s[0:3], 0 offset:308
	v_cvt_f16_f32_e32 v7, v8
	v_cvt_f16_f32_e32 v8, v9
	v_cvt_f16_f32_e32 v9, v4
	v_cvt_f16_f32_e32 v10, v5
	buffer_store_dword v4, off, s[0:3], 0 offset:312
	buffer_store_dword v5, off, s[0:3], 0 offset:316
	v_pack_b32_f16 v4, v7, v8
	v_pack_b32_f16 v5, v9, v10
	ds_write2st64_b64 v43, v[2:3], v[4:5] offset0:2 offset1:3
	s_and_saveexec_b64 s[6:7], vcc
	s_cbranch_execz .LBB666_209
; %bb.208:
	v_add_co_u32_e32 v4, vcc, s25, v55
	v_addc_co_u32_e64 v5, s[10:11], 0, 0, vcc
	v_mov_b32_e32 v2, s20
	v_mov_b32_e32 v3, 0
	v_mad_u64_u32 v[4:5], s[10:11], s8, v2, v[4:5]
	v_mov_b32_e32 v2, s24
	s_mul_i32 s9, s9, s20
	v_mad_u64_u32 v[2:3], s[10:11], v4, s50, v[2:3]
	v_add_u32_e32 v5, s9, v5
	v_mov_b32_e32 v4, v3
	v_mad_u64_u32 v[4:5], s[10:11], v5, s50, v[4:5]
	v_mov_b32_e32 v3, v4
	v_lshlrev_b64 v[2:3], 2, v[2:3]
	v_mov_b32_e32 v5, s47
	v_add_co_u32_e32 v4, vcc, s46, v2
	v_addc_co_u32_e32 v5, vcc, v5, v3, vcc
	global_store_dword v[4:5], v19, off
	v_mov_b32_e32 v4, s45
	v_add_co_u32_e32 v2, vcc, s44, v2
	v_addc_co_u32_e32 v3, vcc, v4, v3, vcc
	global_store_dword v[2:3], v6, off
.LBB666_209:
	s_or_b64 exec, exec, s[6:7]
	v_lshl_or_b32 v30, v1, 9, v18
	s_waitcnt lgkmcnt(0)
	s_barrier
	s_load_dword s6, s[42:43], 0x0
	ds_read_b128 v[2:5], v30
	ds_read_b128 v[6:9], v30 offset:16
	ds_read_b128 v[10:13], v30 offset:2048
	;; [unrolled: 1-line block ×7, first 2 shown]
	v_mov_b32_e32 v35, 0x80
	v_mov_b32_e32 v45, 0x140
	s_mov_b64 s[12:13], -1
	s_waitcnt lgkmcnt(0)
	s_mov_b32 s7, s6
	s_mov_b32 s10, s6
	;; [unrolled: 1-line block ×3, first 2 shown]
	s_movk_i32 s9, 0x80
	s_movk_i32 s21, 0x7f
	s_mov_b32 s22, 0xffffff
	v_mov_b32_e32 v47, 0
	v_bfrev_b32_e32 v48, 60
	s_branch .LBB666_213
.LBB666_210:                            ;   in Loop: Header=BB666_213 Depth=1
	s_or_b64 exec, exec, s[18:19]
.LBB666_211:                            ;   in Loop: Header=BB666_213 Depth=1
	s_or_b64 exec, exec, s[16:17]
.LBB666_212:                            ;   in Loop: Header=BB666_213 Depth=1
	s_or_b64 exec, exec, s[14:15]
	v_cvt_pkrtz_f16_f32 v40, v41, v46
	v_cvt_pkrtz_f16_f32 v41, v44, v50
	s_xor_b64 s[14:15], s[12:13], -1
	s_mov_b64 s[12:13], 0
	v_mov_b32_e32 v61, v58
	v_mfma_f32_16x16x16f16 v[62:65], v[40:41], v[30:31], v[34:37]
	v_mov_b32_e32 v60, v59
	s_and_b64 vcc, exec, s[14:15]
	s_nop 4
	v_cvt_pkrtz_f16_f32 v36, v49, v51
	v_cvt_pkrtz_f16_f32 v37, v42, v52
	v_mov_b32_e32 v35, v57
	s_nop 0
	v_mfma_f32_16x16x16f16 v[50:53], v[36:37], v[32:33], v[62:65]
	s_nop 7
	s_nop 2
	v_pk_mul_f32 v[40:41], v[50:51], s[6:7]
	v_pk_mul_f32 v[36:37], v[52:53], s[10:11]
	v_cvt_f16_f32_e32 v34, v40
	v_cvt_f16_f32_e32 v38, v41
	;; [unrolled: 1-line block ×4, first 2 shown]
	v_mov_b32_e32 v41, v39
	v_pack_b32_f16 v34, v34, v38
	v_pack_b32_f16 v36, v36, v37
	buffer_store_dword v34, v45, s[0:3], 0 offen
	buffer_store_dword v36, v45, s[0:3], 0 offen offset:4
	v_mov_b32_e32 v45, 0x148
	s_cbranch_vccnz .LBB666_595
.LBB666_213:                            ; =>This Inner Loop Header: Depth=1
	buffer_load_dword v36, v35, s[0:3], 0 offen
	buffer_load_dword v34, v35, s[0:3], 0 offen offset:4
	buffer_load_dword v40, v35, s[0:3], 0 offen offset:8
	;; [unrolled: 1-line block ×3, first 2 shown]
	v_mov_b32_e32 v35, 0
	s_waitcnt vmcnt(3)
	v_cmp_ne_u16_sdwa s[16:17], v36, v47 src0_sel:BYTE_0 src1_sel:DWORD
	s_and_saveexec_b64 s[14:15], s[16:17]
	s_cbranch_execz .LBB666_219
; %bb.214:                              ;   in Loop: Header=BB666_213 Depth=1
	v_cmp_ne_u16_sdwa s[18:19], v36, s9 src0_sel:BYTE_0 src1_sel:DWORD
	v_bfrev_b32_e32 v35, 1
	s_and_saveexec_b64 s[16:17], s[18:19]
	s_cbranch_execz .LBB666_218
; %bb.215:                              ;   in Loop: Header=BB666_213 Depth=1
	v_and_b32_e32 v37, 0x7f, v36
	v_cmp_ne_u32_e32 vcc, s21, v37
	v_mov_b32_e32 v35, 0x7f800001
	s_and_saveexec_b64 s[18:19], vcc
	s_cbranch_execz .LBB666_217
; %bb.216:                              ;   in Loop: Header=BB666_213 Depth=1
	v_and_b32_e32 v35, 7, v36
	v_ffbh_u32_e32 v44, v35
	v_min_u32_e32 v44, 32, v44
	v_subrev_u32_e32 v46, 28, v44
	v_lshlrev_b64 v[50:51], v46, v[36:37]
	v_lshrrev_b32_e32 v42, 3, v37
	v_sub_u32_e32 v44, 29, v44
	v_and_b32_e32 v46, 7, v50
	v_cmp_gt_u32_e32 vcc, 8, v37
	v_cndmask_b32_e32 v37, v42, v44, vcc
	v_cndmask_b32_e32 v35, v35, v46, vcc
	v_lshlrev_b32_e32 v42, 24, v36
	v_lshlrev_b32_e32 v35, 20, v35
	v_and_b32_e32 v42, 0x80000000, v42
	v_lshl_add_u32 v37, v37, 23, v48
	v_or3_b32 v35, v42, v37, v35
.LBB666_217:                            ;   in Loop: Header=BB666_213 Depth=1
	s_or_b64 exec, exec, s[18:19]
.LBB666_218:                            ;   in Loop: Header=BB666_213 Depth=1
	s_or_b64 exec, exec, s[16:17]
.LBB666_219:                            ;   in Loop: Header=BB666_213 Depth=1
	s_or_b64 exec, exec, s[14:15]
	v_lshrrev_b16_e32 v42, 8, v36
	v_cmp_ne_u16_e32 vcc, 0, v42
	v_mov_b32_e32 v37, 0
	s_and_saveexec_b64 s[14:15], vcc
	s_cbranch_execz .LBB666_225
; %bb.220:                              ;   in Loop: Header=BB666_213 Depth=1
	v_cmp_ne_u16_e32 vcc, s9, v42
	v_bfrev_b32_e32 v37, 1
	s_and_saveexec_b64 s[16:17], vcc
	s_cbranch_execz .LBB666_224
; %bb.221:                              ;   in Loop: Header=BB666_213 Depth=1
	v_and_b32_e32 v44, 0x7f, v42
	v_cmp_ne_u32_e32 vcc, s21, v44
	v_mov_b32_e32 v37, 0x7f800001
	s_and_saveexec_b64 s[18:19], vcc
	s_cbranch_execz .LBB666_223
; %bb.222:                              ;   in Loop: Header=BB666_213 Depth=1
	v_and_b32_e32 v37, 7, v42
	v_ffbh_u32_e32 v49, v37
	v_min_u32_e32 v49, 32, v49
	v_subrev_u32_e32 v50, 28, v49
	v_lshlrev_b64 v[50:51], v50, v[42:43]
	v_lshrrev_b32_e32 v46, 3, v44
	v_sub_u32_e32 v42, 29, v49
	v_and_b32_e32 v49, 7, v50
	v_cmp_gt_u32_e32 vcc, 8, v44
	v_cndmask_b32_e32 v42, v46, v42, vcc
	v_cndmask_b32_e32 v37, v37, v49, vcc
	v_lshlrev_b32_e32 v44, 16, v36
	v_lshlrev_b32_e32 v37, 20, v37
	v_and_b32_e32 v44, 0x80000000, v44
	v_lshl_add_u32 v42, v42, 23, v48
	v_or3_b32 v37, v44, v42, v37
.LBB666_223:                            ;   in Loop: Header=BB666_213 Depth=1
	s_or_b64 exec, exec, s[18:19]
.LBB666_224:                            ;   in Loop: Header=BB666_213 Depth=1
	s_or_b64 exec, exec, s[16:17]
.LBB666_225:                            ;   in Loop: Header=BB666_213 Depth=1
	s_or_b64 exec, exec, s[14:15]
	v_lshrrev_b32_e32 v42, 16, v36
	v_cmp_ne_u16_sdwa s[16:17], v42, v47 src0_sel:BYTE_0 src1_sel:DWORD
	v_mov_b32_e32 v46, 0
	v_mov_b32_e32 v44, 0
	s_and_saveexec_b64 s[14:15], s[16:17]
	s_cbranch_execz .LBB666_231
; %bb.226:                              ;   in Loop: Header=BB666_213 Depth=1
	v_cmp_ne_u16_sdwa s[18:19], v42, s9 src0_sel:BYTE_0 src1_sel:DWORD
	v_bfrev_b32_e32 v44, 1
	s_and_saveexec_b64 s[16:17], s[18:19]
	s_cbranch_execz .LBB666_230
; %bb.227:                              ;   in Loop: Header=BB666_213 Depth=1
	v_bfe_u32 v49, v36, 16, 7
	v_cmp_ne_u32_e32 vcc, s21, v49
	v_mov_b32_e32 v44, 0x7f800001
	s_and_saveexec_b64 s[18:19], vcc
	s_cbranch_execz .LBB666_229
; %bb.228:                              ;   in Loop: Header=BB666_213 Depth=1
	v_and_b32_e32 v44, 7, v42
	v_ffbh_u32_e32 v50, v44
	v_min_u32_e32 v53, 32, v50
	v_subrev_u32_e32 v50, 28, v53
	v_lshlrev_b64 v[50:51], v50, v[42:43]
	v_lshrrev_b32_e32 v52, 3, v49
	v_sub_u32_e32 v51, 29, v53
	v_and_b32_e32 v50, 7, v50
	v_cmp_gt_u32_e32 vcc, 8, v49
	v_cndmask_b32_e32 v49, v52, v51, vcc
	v_cndmask_b32_e32 v44, v44, v50, vcc
	v_lshlrev_b32_e32 v42, 24, v42
	v_lshlrev_b32_e32 v44, 20, v44
	v_and_b32_e32 v42, 0x80000000, v42
	v_lshl_add_u32 v49, v49, 23, v48
	v_or3_b32 v44, v42, v49, v44
.LBB666_229:                            ;   in Loop: Header=BB666_213 Depth=1
	s_or_b64 exec, exec, s[18:19]
.LBB666_230:                            ;   in Loop: Header=BB666_213 Depth=1
	s_or_b64 exec, exec, s[16:17]
.LBB666_231:                            ;   in Loop: Header=BB666_213 Depth=1
	s_or_b64 exec, exec, s[14:15]
	v_cmp_lt_u32_e32 vcc, s22, v36
	s_and_saveexec_b64 s[14:15], vcc
	s_cbranch_execz .LBB666_237
; %bb.232:                              ;   in Loop: Header=BB666_213 Depth=1
	v_lshrrev_b32_e32 v42, 24, v36
	v_cmp_ne_u32_e32 vcc, s9, v42
	v_bfrev_b32_e32 v46, 1
	s_and_saveexec_b64 s[16:17], vcc
	s_cbranch_execz .LBB666_236
; %bb.233:                              ;   in Loop: Header=BB666_213 Depth=1
	v_bfe_u32 v36, v36, 24, 7
	v_cmp_ne_u32_e32 vcc, s21, v36
	v_mov_b32_e32 v46, 0x7f800001
	s_and_saveexec_b64 s[18:19], vcc
	s_cbranch_execz .LBB666_235
; %bb.234:                              ;   in Loop: Header=BB666_213 Depth=1
	v_and_b32_e32 v46, 7, v42
	v_ffbh_u32_e32 v50, v46
	v_min_u32_e32 v52, 32, v50
	v_subrev_u32_e32 v50, 28, v52
	v_lshlrev_b64 v[50:51], v50, v[42:43]
	v_lshrrev_b32_e32 v49, 3, v36
	v_sub_u32_e32 v51, 29, v52
	v_and_b32_e32 v50, 7, v50
	v_cmp_gt_u32_e32 vcc, 8, v36
	v_cndmask_b32_e32 v36, v49, v51, vcc
	v_cndmask_b32_e32 v46, v46, v50, vcc
	v_lshlrev_b32_e32 v42, 24, v42
	v_lshlrev_b32_e32 v46, 20, v46
	v_and_b32_e32 v42, 0x80000000, v42
	v_lshl_add_u32 v36, v36, 23, v48
	v_or3_b32 v46, v42, v36, v46
.LBB666_235:                            ;   in Loop: Header=BB666_213 Depth=1
	s_or_b64 exec, exec, s[18:19]
.LBB666_236:                            ;   in Loop: Header=BB666_213 Depth=1
	s_or_b64 exec, exec, s[16:17]
.LBB666_237:                            ;   in Loop: Header=BB666_213 Depth=1
	s_or_b64 exec, exec, s[14:15]
	s_waitcnt vmcnt(2)
	v_cmp_ne_u16_sdwa s[16:17], v34, v47 src0_sel:BYTE_0 src1_sel:DWORD
	v_mov_b32_e32 v42, 0
	v_mov_b32_e32 v49, 0
	s_and_saveexec_b64 s[14:15], s[16:17]
	s_cbranch_execz .LBB666_243
; %bb.238:                              ;   in Loop: Header=BB666_213 Depth=1
	v_cmp_ne_u16_sdwa s[18:19], v34, s9 src0_sel:BYTE_0 src1_sel:DWORD
	v_bfrev_b32_e32 v49, 1
	s_and_saveexec_b64 s[16:17], s[18:19]
	s_cbranch_execz .LBB666_242
; %bb.239:                              ;   in Loop: Header=BB666_213 Depth=1
	v_and_b32_e32 v36, 0x7f, v34
	v_cmp_ne_u32_e32 vcc, s21, v36
	v_mov_b32_e32 v49, 0x7f800001
	s_and_saveexec_b64 s[18:19], vcc
	s_cbranch_execz .LBB666_241
; %bb.240:                              ;   in Loop: Header=BB666_213 Depth=1
	v_and_b32_e32 v49, 7, v34
	v_ffbh_u32_e32 v50, v49
	v_min_u32_e32 v53, 32, v50
	v_subrev_u32_e32 v50, 28, v53
	v_lshlrev_b64 v[50:51], v50, v[34:35]
	v_lshrrev_b32_e32 v52, 3, v36
	v_sub_u32_e32 v51, 29, v53
	v_and_b32_e32 v50, 7, v50
	v_cmp_gt_u32_e32 vcc, 8, v36
	v_cndmask_b32_e32 v36, v52, v51, vcc
	v_cndmask_b32_e32 v49, v49, v50, vcc
	v_lshlrev_b32_e32 v50, 24, v34
	v_lshlrev_b32_e32 v49, 20, v49
	v_and_b32_e32 v50, 0x80000000, v50
	v_lshl_add_u32 v36, v36, 23, v48
	v_or3_b32 v49, v50, v36, v49
.LBB666_241:                            ;   in Loop: Header=BB666_213 Depth=1
	s_or_b64 exec, exec, s[18:19]
.LBB666_242:                            ;   in Loop: Header=BB666_213 Depth=1
	s_or_b64 exec, exec, s[16:17]
.LBB666_243:                            ;   in Loop: Header=BB666_213 Depth=1
	s_or_b64 exec, exec, s[14:15]
	v_lshrrev_b16_e32 v36, 8, v34
	v_cmp_ne_u16_e32 vcc, 0, v36
	s_and_saveexec_b64 s[14:15], vcc
	s_cbranch_execz .LBB666_249
; %bb.244:                              ;   in Loop: Header=BB666_213 Depth=1
	v_cmp_ne_u16_e32 vcc, s9, v36
	v_bfrev_b32_e32 v42, 1
	s_and_saveexec_b64 s[16:17], vcc
	s_cbranch_execz .LBB666_248
; %bb.245:                              ;   in Loop: Header=BB666_213 Depth=1
	v_and_b32_e32 v50, 0x7f, v36
	v_cmp_ne_u32_e32 vcc, s21, v50
	v_mov_b32_e32 v42, 0x7f800001
	s_and_saveexec_b64 s[18:19], vcc
	s_cbranch_execz .LBB666_247
; %bb.246:                              ;   in Loop: Header=BB666_213 Depth=1
	v_and_b32_e32 v42, 7, v36
	v_ffbh_u32_e32 v52, v42
	v_min_u32_e32 v62, 32, v52
	v_subrev_u32_e32 v52, 28, v62
	v_lshlrev_b64 v[52:53], v52, v[36:37]
	v_lshrrev_b32_e32 v51, 3, v50
	v_sub_u32_e32 v36, 29, v62
	v_and_b32_e32 v52, 7, v52
	v_cmp_gt_u32_e32 vcc, 8, v50
	v_cndmask_b32_e32 v36, v51, v36, vcc
	v_cndmask_b32_e32 v42, v42, v52, vcc
	v_lshlrev_b32_e32 v50, 16, v34
	v_lshlrev_b32_e32 v42, 20, v42
	v_and_b32_e32 v50, 0x80000000, v50
	v_lshl_add_u32 v36, v36, 23, v48
	v_or3_b32 v42, v50, v36, v42
.LBB666_247:                            ;   in Loop: Header=BB666_213 Depth=1
	s_or_b64 exec, exec, s[18:19]
.LBB666_248:                            ;   in Loop: Header=BB666_213 Depth=1
	s_or_b64 exec, exec, s[16:17]
.LBB666_249:                            ;   in Loop: Header=BB666_213 Depth=1
	s_or_b64 exec, exec, s[14:15]
	v_lshrrev_b32_e32 v36, 16, v34
	v_cmp_ne_u16_sdwa s[16:17], v36, v47 src0_sel:BYTE_0 src1_sel:DWORD
	v_mov_b32_e32 v51, 0
	v_mov_b32_e32 v50, 0
	s_and_saveexec_b64 s[14:15], s[16:17]
	s_cbranch_execz .LBB666_255
; %bb.250:                              ;   in Loop: Header=BB666_213 Depth=1
	v_cmp_ne_u16_sdwa s[18:19], v36, s9 src0_sel:BYTE_0 src1_sel:DWORD
	v_bfrev_b32_e32 v50, 1
	s_and_saveexec_b64 s[16:17], s[18:19]
	s_cbranch_execz .LBB666_254
; %bb.251:                              ;   in Loop: Header=BB666_213 Depth=1
	v_bfe_u32 v52, v34, 16, 7
	v_cmp_ne_u32_e32 vcc, s21, v52
	v_mov_b32_e32 v50, 0x7f800001
	s_and_saveexec_b64 s[18:19], vcc
	s_cbranch_execz .LBB666_253
; %bb.252:                              ;   in Loop: Header=BB666_213 Depth=1
	v_and_b32_e32 v50, 7, v36
	v_ffbh_u32_e32 v62, v50
	v_min_u32_e32 v64, 32, v62
	v_subrev_u32_e32 v62, 28, v64
	v_lshlrev_b64 v[62:63], v62, v[36:37]
	v_lshrrev_b32_e32 v53, 3, v52
	v_sub_u32_e32 v63, 29, v64
	v_and_b32_e32 v62, 7, v62
	v_cmp_gt_u32_e32 vcc, 8, v52
	v_cndmask_b32_e32 v52, v53, v63, vcc
	v_cndmask_b32_e32 v50, v50, v62, vcc
	v_lshlrev_b32_e32 v36, 24, v36
	v_lshlrev_b32_e32 v50, 20, v50
	v_and_b32_e32 v36, 0x80000000, v36
	v_lshl_add_u32 v52, v52, 23, v48
	v_or3_b32 v50, v36, v52, v50
.LBB666_253:                            ;   in Loop: Header=BB666_213 Depth=1
	s_or_b64 exec, exec, s[18:19]
.LBB666_254:                            ;   in Loop: Header=BB666_213 Depth=1
	s_or_b64 exec, exec, s[16:17]
.LBB666_255:                            ;   in Loop: Header=BB666_213 Depth=1
	s_or_b64 exec, exec, s[14:15]
	v_cmp_lt_u32_e32 vcc, s22, v34
	s_and_saveexec_b64 s[14:15], vcc
	s_cbranch_execz .LBB666_261
; %bb.256:                              ;   in Loop: Header=BB666_213 Depth=1
	v_lshrrev_b32_e32 v36, 24, v34
	v_cmp_ne_u32_e32 vcc, s9, v36
	v_bfrev_b32_e32 v51, 1
	s_and_saveexec_b64 s[16:17], vcc
	s_cbranch_execz .LBB666_260
; %bb.257:                              ;   in Loop: Header=BB666_213 Depth=1
	v_bfe_u32 v34, v34, 24, 7
	v_cmp_ne_u32_e32 vcc, s21, v34
	v_mov_b32_e32 v51, 0x7f800001
	s_and_saveexec_b64 s[18:19], vcc
	s_cbranch_execz .LBB666_259
; %bb.258:                              ;   in Loop: Header=BB666_213 Depth=1
	v_and_b32_e32 v51, 7, v36
	v_ffbh_u32_e32 v52, v51
	v_min_u32_e32 v63, 32, v52
	v_subrev_u32_e32 v52, 28, v63
	v_lshlrev_b64 v[52:53], v52, v[36:37]
	v_lshrrev_b32_e32 v62, 3, v34
	v_sub_u32_e32 v53, 29, v63
	v_and_b32_e32 v52, 7, v52
	v_cmp_gt_u32_e32 vcc, 8, v34
	v_cndmask_b32_e32 v34, v62, v53, vcc
	v_cndmask_b32_e32 v51, v51, v52, vcc
	v_lshlrev_b32_e32 v36, 24, v36
	v_lshlrev_b32_e32 v51, 20, v51
	v_and_b32_e32 v36, 0x80000000, v36
	v_lshl_add_u32 v34, v34, 23, v48
	v_or3_b32 v51, v36, v34, v51
.LBB666_259:                            ;   in Loop: Header=BB666_213 Depth=1
	s_or_b64 exec, exec, s[18:19]
.LBB666_260:                            ;   in Loop: Header=BB666_213 Depth=1
	s_or_b64 exec, exec, s[16:17]
.LBB666_261:                            ;   in Loop: Header=BB666_213 Depth=1
	s_or_b64 exec, exec, s[14:15]
	v_cvt_pkrtz_f16_f32 v34, v35, v37
	v_cvt_pkrtz_f16_f32 v35, v44, v46
	;; [unrolled: 1-line block ×4, first 2 shown]
	v_mov_b32_e32 v44, 0
	v_mfma_f32_16x16x16f16 v[34:37], v[34:35], v[2:3], 0
	s_waitcnt vmcnt(1)
	v_cmp_ne_u16_sdwa s[16:17], v40, v47 src0_sel:BYTE_0 src1_sel:DWORD
	v_mov_b32_e32 v46, 0
	v_mfma_f32_16x16x16f16 v[34:37], v[52:53], v[4:5], v[34:37]
	s_and_saveexec_b64 s[14:15], s[16:17]
	s_cbranch_execz .LBB666_267
; %bb.262:                              ;   in Loop: Header=BB666_213 Depth=1
	v_cmp_ne_u16_sdwa s[18:19], v40, s9 src0_sel:BYTE_0 src1_sel:DWORD
	v_bfrev_b32_e32 v46, 1
	s_and_saveexec_b64 s[16:17], s[18:19]
	s_cbranch_execz .LBB666_266
; %bb.263:                              ;   in Loop: Header=BB666_213 Depth=1
	v_and_b32_e32 v42, 0x7f, v40
	v_cmp_ne_u32_e32 vcc, s21, v42
	v_mov_b32_e32 v46, 0x7f800001
	s_and_saveexec_b64 s[18:19], vcc
	s_cbranch_execz .LBB666_265
; %bb.264:                              ;   in Loop: Header=BB666_213 Depth=1
	v_and_b32_e32 v46, 7, v40
	v_ffbh_u32_e32 v50, v46
	v_min_u32_e32 v52, 32, v50
	v_subrev_u32_e32 v50, 28, v52
	v_lshlrev_b64 v[50:51], v50, v[40:41]
	v_lshrrev_b32_e32 v49, 3, v42
	v_sub_u32_e32 v51, 29, v52
	v_and_b32_e32 v50, 7, v50
	v_cmp_gt_u32_e32 vcc, 8, v42
	v_cndmask_b32_e32 v42, v49, v51, vcc
	v_cndmask_b32_e32 v46, v46, v50, vcc
	v_lshlrev_b32_e32 v49, 24, v40
	v_lshlrev_b32_e32 v46, 20, v46
	v_and_b32_e32 v49, 0x80000000, v49
	v_lshl_add_u32 v42, v42, 23, v48
	v_or3_b32 v46, v49, v42, v46
.LBB666_265:                            ;   in Loop: Header=BB666_213 Depth=1
	s_or_b64 exec, exec, s[18:19]
.LBB666_266:                            ;   in Loop: Header=BB666_213 Depth=1
	s_or_b64 exec, exec, s[16:17]
.LBB666_267:                            ;   in Loop: Header=BB666_213 Depth=1
	s_or_b64 exec, exec, s[14:15]
	v_lshrrev_b16_e32 v42, 8, v40
	v_cmp_ne_u16_e32 vcc, 0, v42
	v_mov_b32_e32 v50, 0
	s_and_saveexec_b64 s[14:15], vcc
	s_cbranch_execz .LBB666_273
; %bb.268:                              ;   in Loop: Header=BB666_213 Depth=1
	v_cmp_ne_u16_e32 vcc, s9, v42
	v_bfrev_b32_e32 v50, 1
	s_and_saveexec_b64 s[16:17], vcc
	s_cbranch_execz .LBB666_272
; %bb.269:                              ;   in Loop: Header=BB666_213 Depth=1
	v_and_b32_e32 v49, 0x7f, v42
	v_cmp_ne_u32_e32 vcc, s21, v49
	v_mov_b32_e32 v50, 0x7f800001
	s_and_saveexec_b64 s[18:19], vcc
	s_cbranch_execz .LBB666_271
; %bb.270:                              ;   in Loop: Header=BB666_213 Depth=1
	v_and_b32_e32 v52, 7, v42
	v_ffbh_u32_e32 v50, v52
	v_min_u32_e32 v62, 32, v50
	v_subrev_u32_e32 v50, 28, v62
	v_lshlrev_b64 v[50:51], v50, v[42:43]
	v_lshrrev_b32_e32 v53, 3, v49
	v_sub_u32_e32 v42, 29, v62
	v_and_b32_e32 v50, 7, v50
	v_cmp_gt_u32_e32 vcc, 8, v49
	v_cndmask_b32_e32 v42, v53, v42, vcc
	v_cndmask_b32_e32 v49, v52, v50, vcc
	v_lshlrev_b32_e32 v50, 16, v40
	v_lshlrev_b32_e32 v49, 20, v49
	v_and_b32_e32 v50, 0x80000000, v50
	v_lshl_add_u32 v42, v42, 23, v48
	v_or3_b32 v50, v50, v42, v49
.LBB666_271:                            ;   in Loop: Header=BB666_213 Depth=1
	s_or_b64 exec, exec, s[18:19]
.LBB666_272:                            ;   in Loop: Header=BB666_213 Depth=1
	s_or_b64 exec, exec, s[16:17]
.LBB666_273:                            ;   in Loop: Header=BB666_213 Depth=1
	s_or_b64 exec, exec, s[14:15]
	v_lshrrev_b32_e32 v42, 16, v40
	v_cmp_ne_u16_sdwa s[16:17], v42, v47 src0_sel:BYTE_0 src1_sel:DWORD
	s_and_saveexec_b64 s[14:15], s[16:17]
	s_cbranch_execz .LBB666_279
; %bb.274:                              ;   in Loop: Header=BB666_213 Depth=1
	v_cmp_ne_u16_sdwa s[18:19], v42, s9 src0_sel:BYTE_0 src1_sel:DWORD
	v_bfrev_b32_e32 v44, 1
	s_and_saveexec_b64 s[16:17], s[18:19]
	s_cbranch_execz .LBB666_278
; %bb.275:                              ;   in Loop: Header=BB666_213 Depth=1
	v_bfe_u32 v49, v40, 16, 7
	v_cmp_ne_u32_e32 vcc, s21, v49
	v_mov_b32_e32 v44, 0x7f800001
	s_and_saveexec_b64 s[18:19], vcc
	s_cbranch_execz .LBB666_277
; %bb.276:                              ;   in Loop: Header=BB666_213 Depth=1
	v_and_b32_e32 v44, 7, v42
	v_ffbh_u32_e32 v52, v44
	v_min_u32_e32 v62, 32, v52
	v_subrev_u32_e32 v52, 28, v62
	v_lshlrev_b64 v[52:53], v52, v[42:43]
	v_lshrrev_b32_e32 v51, 3, v49
	v_sub_u32_e32 v53, 29, v62
	v_and_b32_e32 v52, 7, v52
	v_cmp_gt_u32_e32 vcc, 8, v49
	v_cndmask_b32_e32 v49, v51, v53, vcc
	v_cndmask_b32_e32 v44, v44, v52, vcc
	v_lshlrev_b32_e32 v42, 24, v42
	v_lshlrev_b32_e32 v44, 20, v44
	v_and_b32_e32 v42, 0x80000000, v42
	v_lshl_add_u32 v49, v49, 23, v48
	v_or3_b32 v44, v42, v49, v44
.LBB666_277:                            ;   in Loop: Header=BB666_213 Depth=1
	s_or_b64 exec, exec, s[18:19]
.LBB666_278:                            ;   in Loop: Header=BB666_213 Depth=1
	s_or_b64 exec, exec, s[16:17]
.LBB666_279:                            ;   in Loop: Header=BB666_213 Depth=1
	s_or_b64 exec, exec, s[14:15]
	v_cmp_lt_u32_e32 vcc, s22, v40
	v_mov_b32_e32 v51, 0
	v_mov_b32_e32 v52, 0
	s_and_saveexec_b64 s[14:15], vcc
	s_cbranch_execz .LBB666_285
; %bb.280:                              ;   in Loop: Header=BB666_213 Depth=1
	v_lshrrev_b32_e32 v42, 24, v40
	v_cmp_ne_u32_e32 vcc, s9, v42
	v_bfrev_b32_e32 v52, 1
	s_and_saveexec_b64 s[16:17], vcc
	s_cbranch_execz .LBB666_284
; %bb.281:                              ;   in Loop: Header=BB666_213 Depth=1
	v_bfe_u32 v40, v40, 24, 7
	v_cmp_ne_u32_e32 vcc, s21, v40
	v_mov_b32_e32 v52, 0x7f800001
	s_and_saveexec_b64 s[18:19], vcc
	s_cbranch_execz .LBB666_283
; %bb.282:                              ;   in Loop: Header=BB666_213 Depth=1
	v_and_b32_e32 v49, 7, v42
	v_ffbh_u32_e32 v52, v49
	v_min_u32_e32 v63, 32, v52
	v_subrev_u32_e32 v52, 28, v63
	v_lshlrev_b64 v[52:53], v52, v[42:43]
	v_lshrrev_b32_e32 v62, 3, v40
	v_sub_u32_e32 v53, 29, v63
	v_and_b32_e32 v52, 7, v52
	v_cmp_gt_u32_e32 vcc, 8, v40
	v_cndmask_b32_e32 v40, v62, v53, vcc
	v_cndmask_b32_e32 v49, v49, v52, vcc
	v_lshlrev_b32_e32 v42, 24, v42
	v_lshlrev_b32_e32 v49, 20, v49
	v_and_b32_e32 v42, 0x80000000, v42
	v_lshl_add_u32 v40, v40, 23, v48
	v_or3_b32 v52, v42, v40, v49
.LBB666_283:                            ;   in Loop: Header=BB666_213 Depth=1
	s_or_b64 exec, exec, s[18:19]
.LBB666_284:                            ;   in Loop: Header=BB666_213 Depth=1
	s_or_b64 exec, exec, s[16:17]
.LBB666_285:                            ;   in Loop: Header=BB666_213 Depth=1
	s_or_b64 exec, exec, s[14:15]
	s_waitcnt vmcnt(0)
	v_cmp_ne_u16_sdwa s[16:17], v38, v47 src0_sel:BYTE_0 src1_sel:DWORD
	s_and_saveexec_b64 s[14:15], s[16:17]
	s_cbranch_execz .LBB666_291
; %bb.286:                              ;   in Loop: Header=BB666_213 Depth=1
	v_cmp_ne_u16_sdwa s[18:19], v38, s9 src0_sel:BYTE_0 src1_sel:DWORD
	v_bfrev_b32_e32 v51, 1
	s_and_saveexec_b64 s[16:17], s[18:19]
	s_cbranch_execz .LBB666_290
; %bb.287:                              ;   in Loop: Header=BB666_213 Depth=1
	v_and_b32_e32 v40, 0x7f, v38
	v_cmp_ne_u32_e32 vcc, s21, v40
	v_mov_b32_e32 v51, 0x7f800001
	s_and_saveexec_b64 s[18:19], vcc
	s_cbranch_execz .LBB666_289
; %bb.288:                              ;   in Loop: Header=BB666_213 Depth=1
	v_and_b32_e32 v42, 7, v38
	v_ffbh_u32_e32 v51, v42
	v_min_u32_e32 v51, 32, v51
	v_subrev_u32_e32 v53, 28, v51
	v_lshlrev_b64 v[62:63], v53, v[38:39]
	v_lshrrev_b32_e32 v49, 3, v40
	v_sub_u32_e32 v51, 29, v51
	v_and_b32_e32 v53, 7, v62
	v_cmp_gt_u32_e32 vcc, 8, v40
	v_cndmask_b32_e32 v40, v49, v51, vcc
	v_cndmask_b32_e32 v42, v42, v53, vcc
	v_lshlrev_b32_e32 v49, 24, v38
	v_lshlrev_b32_e32 v42, 20, v42
	v_and_b32_e32 v49, 0x80000000, v49
	v_lshl_add_u32 v40, v40, 23, v48
	v_or3_b32 v51, v49, v40, v42
.LBB666_289:                            ;   in Loop: Header=BB666_213 Depth=1
	s_or_b64 exec, exec, s[18:19]
.LBB666_290:                            ;   in Loop: Header=BB666_213 Depth=1
	s_or_b64 exec, exec, s[16:17]
.LBB666_291:                            ;   in Loop: Header=BB666_213 Depth=1
	s_or_b64 exec, exec, s[14:15]
	v_lshrrev_b16_e32 v40, 8, v38
	v_cmp_ne_u16_e32 vcc, 0, v40
	v_mov_b32_e32 v53, 0
	v_mov_b32_e32 v62, 0
	s_and_saveexec_b64 s[14:15], vcc
	s_cbranch_execz .LBB666_297
; %bb.292:                              ;   in Loop: Header=BB666_213 Depth=1
	v_cmp_ne_u16_e32 vcc, s9, v40
	v_bfrev_b32_e32 v62, 1
	s_and_saveexec_b64 s[16:17], vcc
	s_cbranch_execz .LBB666_296
; %bb.293:                              ;   in Loop: Header=BB666_213 Depth=1
	v_and_b32_e32 v42, 0x7f, v40
	v_cmp_ne_u32_e32 vcc, s21, v42
	v_mov_b32_e32 v62, 0x7f800001
	s_and_saveexec_b64 s[18:19], vcc
	s_cbranch_execz .LBB666_295
; %bb.294:                              ;   in Loop: Header=BB666_213 Depth=1
	v_and_b32_e32 v49, 7, v40
	v_ffbh_u32_e32 v62, v49
	v_min_u32_e32 v65, 32, v62
	v_subrev_u32_e32 v62, 28, v65
	v_lshlrev_b64 v[62:63], v62, v[40:41]
	v_lshrrev_b32_e32 v64, 3, v42
	v_sub_u32_e32 v40, 29, v65
	v_and_b32_e32 v62, 7, v62
	v_cmp_gt_u32_e32 vcc, 8, v42
	v_cndmask_b32_e32 v40, v64, v40, vcc
	v_cndmask_b32_e32 v42, v49, v62, vcc
	v_lshlrev_b32_e32 v49, 16, v38
	v_lshlrev_b32_e32 v42, 20, v42
	v_and_b32_e32 v49, 0x80000000, v49
	v_lshl_add_u32 v40, v40, 23, v48
	v_or3_b32 v62, v49, v40, v42
.LBB666_295:                            ;   in Loop: Header=BB666_213 Depth=1
	s_or_b64 exec, exec, s[18:19]
.LBB666_296:                            ;   in Loop: Header=BB666_213 Depth=1
	s_or_b64 exec, exec, s[16:17]
.LBB666_297:                            ;   in Loop: Header=BB666_213 Depth=1
	s_or_b64 exec, exec, s[14:15]
	v_lshrrev_b32_e32 v40, 16, v38
	v_cmp_ne_u16_sdwa s[16:17], v40, v47 src0_sel:BYTE_0 src1_sel:DWORD
	s_and_saveexec_b64 s[14:15], s[16:17]
	s_cbranch_execz .LBB666_303
; %bb.298:                              ;   in Loop: Header=BB666_213 Depth=1
	v_cmp_ne_u16_sdwa s[18:19], v40, s9 src0_sel:BYTE_0 src1_sel:DWORD
	v_bfrev_b32_e32 v53, 1
	s_and_saveexec_b64 s[16:17], s[18:19]
	s_cbranch_execz .LBB666_302
; %bb.299:                              ;   in Loop: Header=BB666_213 Depth=1
	v_bfe_u32 v42, v38, 16, 7
	v_cmp_ne_u32_e32 vcc, s21, v42
	v_mov_b32_e32 v53, 0x7f800001
	s_and_saveexec_b64 s[18:19], vcc
	s_cbranch_execz .LBB666_301
; %bb.300:                              ;   in Loop: Header=BB666_213 Depth=1
	v_and_b32_e32 v49, 7, v40
	v_ffbh_u32_e32 v63, v49
	v_min_u32_e32 v63, 32, v63
	v_subrev_u32_e32 v64, 28, v63
	v_lshlrev_b64 v[64:65], v64, v[40:41]
	v_lshrrev_b32_e32 v53, 3, v42
	v_sub_u32_e32 v63, 29, v63
	v_and_b32_e32 v64, 7, v64
	v_cmp_gt_u32_e32 vcc, 8, v42
	v_cndmask_b32_e32 v42, v53, v63, vcc
	v_cndmask_b32_e32 v49, v49, v64, vcc
	v_lshlrev_b32_e32 v40, 24, v40
	v_lshlrev_b32_e32 v49, 20, v49
	v_and_b32_e32 v40, 0x80000000, v40
	v_lshl_add_u32 v42, v42, 23, v48
	v_or3_b32 v53, v40, v42, v49
.LBB666_301:                            ;   in Loop: Header=BB666_213 Depth=1
	s_or_b64 exec, exec, s[18:19]
.LBB666_302:                            ;   in Loop: Header=BB666_213 Depth=1
	s_or_b64 exec, exec, s[16:17]
.LBB666_303:                            ;   in Loop: Header=BB666_213 Depth=1
	s_or_b64 exec, exec, s[14:15]
	v_cmp_lt_u32_e32 vcc, s22, v38
	v_mov_b32_e32 v49, 0
	v_mov_b32_e32 v63, 0
	s_and_saveexec_b64 s[14:15], vcc
	s_cbranch_execz .LBB666_309
; %bb.304:                              ;   in Loop: Header=BB666_213 Depth=1
	v_lshrrev_b32_e32 v40, 24, v38
	v_cmp_ne_u32_e32 vcc, s9, v40
	v_bfrev_b32_e32 v63, 1
	s_and_saveexec_b64 s[16:17], vcc
	s_cbranch_execz .LBB666_308
; %bb.305:                              ;   in Loop: Header=BB666_213 Depth=1
	v_bfe_u32 v38, v38, 24, 7
	v_cmp_ne_u32_e32 vcc, s21, v38
	v_mov_b32_e32 v63, 0x7f800001
	s_and_saveexec_b64 s[18:19], vcc
	s_cbranch_execz .LBB666_307
; %bb.306:                              ;   in Loop: Header=BB666_213 Depth=1
	v_and_b32_e32 v42, 7, v40
	v_ffbh_u32_e32 v64, v42
	v_min_u32_e32 v66, 32, v64
	v_subrev_u32_e32 v64, 28, v66
	v_lshlrev_b64 v[64:65], v64, v[40:41]
	v_lshrrev_b32_e32 v63, 3, v38
	v_sub_u32_e32 v65, 29, v66
	v_and_b32_e32 v64, 7, v64
	v_cmp_gt_u32_e32 vcc, 8, v38
	v_cndmask_b32_e32 v38, v63, v65, vcc
	v_cndmask_b32_e32 v42, v42, v64, vcc
	v_lshlrev_b32_e32 v40, 24, v40
	v_lshlrev_b32_e32 v42, 20, v42
	v_and_b32_e32 v40, 0x80000000, v40
	v_lshl_add_u32 v38, v38, 23, v48
	v_or3_b32 v63, v40, v38, v42
.LBB666_307:                            ;   in Loop: Header=BB666_213 Depth=1
	s_or_b64 exec, exec, s[18:19]
.LBB666_308:                            ;   in Loop: Header=BB666_213 Depth=1
	s_or_b64 exec, exec, s[16:17]
.LBB666_309:                            ;   in Loop: Header=BB666_213 Depth=1
	s_or_b64 exec, exec, s[14:15]
	v_cvt_pkrtz_f16_f32 v65, v44, v52
	buffer_load_dword v44, v61, s[0:3], 0 offen
	buffer_load_dword v42, v61, s[0:3], 0 offen offset:4
	buffer_load_dword v40, v61, s[0:3], 0 offen offset:8
	;; [unrolled: 1-line block ×3, first 2 shown]
	v_cvt_pkrtz_f16_f32 v64, v46, v50
	v_cvt_pkrtz_f16_f32 v50, v51, v62
	;; [unrolled: 1-line block ×3, first 2 shown]
	v_mfma_f32_16x16x16f16 v[34:37], v[64:65], v[6:7], v[34:37]
	s_waitcnt vmcnt(3)
	v_cmp_ne_u16_sdwa s[16:17], v44, v47 src0_sel:BYTE_0 src1_sel:DWORD
	v_mfma_f32_16x16x16f16 v[34:37], v[50:51], v[8:9], v[34:37]
	s_and_saveexec_b64 s[14:15], s[16:17]
	s_cbranch_execz .LBB666_315
; %bb.310:                              ;   in Loop: Header=BB666_213 Depth=1
	v_cmp_ne_u16_sdwa s[18:19], v44, s9 src0_sel:BYTE_0 src1_sel:DWORD
	v_bfrev_b32_e32 v49, 1
	s_and_saveexec_b64 s[16:17], s[18:19]
	s_cbranch_execz .LBB666_314
; %bb.311:                              ;   in Loop: Header=BB666_213 Depth=1
	v_and_b32_e32 v46, 0x7f, v44
	v_cmp_ne_u32_e32 vcc, s21, v46
	v_mov_b32_e32 v49, 0x7f800001
	s_and_saveexec_b64 s[18:19], vcc
	s_cbranch_execz .LBB666_313
; %bb.312:                              ;   in Loop: Header=BB666_213 Depth=1
	v_and_b32_e32 v49, 7, v44
	v_ffbh_u32_e32 v50, v49
	v_min_u32_e32 v53, 32, v50
	v_subrev_u32_e32 v50, 28, v53
	v_lshlrev_b64 v[50:51], v50, v[44:45]
	v_lshrrev_b32_e32 v52, 3, v46
	v_sub_u32_e32 v51, 29, v53
	v_and_b32_e32 v50, 7, v50
	v_cmp_gt_u32_e32 vcc, 8, v46
	v_cndmask_b32_e32 v46, v52, v51, vcc
	v_cndmask_b32_e32 v49, v49, v50, vcc
	v_lshlrev_b32_e32 v50, 24, v44
	v_lshlrev_b32_e32 v49, 20, v49
	v_and_b32_e32 v50, 0x80000000, v50
	v_lshl_add_u32 v46, v46, 23, v48
	v_or3_b32 v49, v50, v46, v49
.LBB666_313:                            ;   in Loop: Header=BB666_213 Depth=1
	s_or_b64 exec, exec, s[18:19]
.LBB666_314:                            ;   in Loop: Header=BB666_213 Depth=1
	s_or_b64 exec, exec, s[16:17]
.LBB666_315:                            ;   in Loop: Header=BB666_213 Depth=1
	s_or_b64 exec, exec, s[14:15]
	v_lshrrev_b16_e32 v46, 8, v44
	v_cmp_ne_u16_e32 vcc, 0, v46
	v_mov_b32_e32 v50, 0
	v_mov_b32_e32 v51, 0
	s_and_saveexec_b64 s[14:15], vcc
	s_cbranch_execz .LBB666_321
; %bb.316:                              ;   in Loop: Header=BB666_213 Depth=1
	v_cmp_ne_u16_e32 vcc, s9, v46
	v_bfrev_b32_e32 v51, 1
	s_and_saveexec_b64 s[16:17], vcc
	s_cbranch_execz .LBB666_320
; %bb.317:                              ;   in Loop: Header=BB666_213 Depth=1
	v_and_b32_e32 v52, 0x7f, v46
	v_cmp_ne_u32_e32 vcc, s21, v52
	v_mov_b32_e32 v51, 0x7f800001
	s_and_saveexec_b64 s[18:19], vcc
	s_cbranch_execz .LBB666_319
; %bb.318:                              ;   in Loop: Header=BB666_213 Depth=1
	v_and_b32_e32 v51, 7, v46
	v_ffbh_u32_e32 v61, v51
	v_min_u32_e32 v61, 32, v61
	v_subrev_u32_e32 v62, 28, v61
	v_lshlrev_b64 v[62:63], v62, v[46:47]
	v_lshrrev_b32_e32 v53, 3, v52
	v_sub_u32_e32 v46, 29, v61
	v_and_b32_e32 v61, 7, v62
	v_cmp_gt_u32_e32 vcc, 8, v52
	v_cndmask_b32_e32 v46, v53, v46, vcc
	v_cndmask_b32_e32 v51, v51, v61, vcc
	v_lshlrev_b32_e32 v52, 16, v44
	v_lshlrev_b32_e32 v51, 20, v51
	v_and_b32_e32 v52, 0x80000000, v52
	v_lshl_add_u32 v46, v46, 23, v48
	v_or3_b32 v51, v52, v46, v51
.LBB666_319:                            ;   in Loop: Header=BB666_213 Depth=1
	s_or_b64 exec, exec, s[18:19]
.LBB666_320:                            ;   in Loop: Header=BB666_213 Depth=1
	s_or_b64 exec, exec, s[16:17]
.LBB666_321:                            ;   in Loop: Header=BB666_213 Depth=1
	s_or_b64 exec, exec, s[14:15]
	v_lshrrev_b32_e32 v46, 16, v44
	v_cmp_ne_u16_sdwa s[16:17], v46, v47 src0_sel:BYTE_0 src1_sel:DWORD
	s_and_saveexec_b64 s[14:15], s[16:17]
	s_cbranch_execz .LBB666_327
; %bb.322:                              ;   in Loop: Header=BB666_213 Depth=1
	v_cmp_ne_u16_sdwa s[18:19], v46, s9 src0_sel:BYTE_0 src1_sel:DWORD
	v_bfrev_b32_e32 v50, 1
	s_and_saveexec_b64 s[16:17], s[18:19]
	s_cbranch_execz .LBB666_326
; %bb.323:                              ;   in Loop: Header=BB666_213 Depth=1
	v_bfe_u32 v52, v44, 16, 7
	v_cmp_ne_u32_e32 vcc, s21, v52
	v_mov_b32_e32 v50, 0x7f800001
	s_and_saveexec_b64 s[18:19], vcc
	s_cbranch_execz .LBB666_325
; %bb.324:                              ;   in Loop: Header=BB666_213 Depth=1
	v_and_b32_e32 v50, 7, v46
	v_ffbh_u32_e32 v61, v50
	v_min_u32_e32 v61, 32, v61
	v_subrev_u32_e32 v62, 28, v61
	v_lshlrev_b64 v[62:63], v62, v[46:47]
	v_lshrrev_b32_e32 v53, 3, v52
	v_sub_u32_e32 v61, 29, v61
	v_and_b32_e32 v62, 7, v62
	v_cmp_gt_u32_e32 vcc, 8, v52
	v_cndmask_b32_e32 v52, v53, v61, vcc
	v_cndmask_b32_e32 v50, v50, v62, vcc
	v_lshlrev_b32_e32 v46, 24, v46
	v_lshlrev_b32_e32 v50, 20, v50
	v_and_b32_e32 v46, 0x80000000, v46
	v_lshl_add_u32 v52, v52, 23, v48
	v_or3_b32 v50, v46, v52, v50
.LBB666_325:                            ;   in Loop: Header=BB666_213 Depth=1
	s_or_b64 exec, exec, s[18:19]
.LBB666_326:                            ;   in Loop: Header=BB666_213 Depth=1
	s_or_b64 exec, exec, s[16:17]
.LBB666_327:                            ;   in Loop: Header=BB666_213 Depth=1
	s_or_b64 exec, exec, s[14:15]
	v_cmp_lt_u32_e32 vcc, s22, v44
	v_mov_b32_e32 v52, 0
	v_mov_b32_e32 v53, 0
	s_and_saveexec_b64 s[14:15], vcc
	s_cbranch_execz .LBB666_333
; %bb.328:                              ;   in Loop: Header=BB666_213 Depth=1
	v_lshrrev_b32_e32 v46, 24, v44
	v_cmp_ne_u32_e32 vcc, s9, v46
	v_bfrev_b32_e32 v53, 1
	s_and_saveexec_b64 s[16:17], vcc
	s_cbranch_execz .LBB666_332
; %bb.329:                              ;   in Loop: Header=BB666_213 Depth=1
	v_bfe_u32 v44, v44, 24, 7
	v_cmp_ne_u32_e32 vcc, s21, v44
	v_mov_b32_e32 v53, 0x7f800001
	s_and_saveexec_b64 s[18:19], vcc
	s_cbranch_execz .LBB666_331
; %bb.330:                              ;   in Loop: Header=BB666_213 Depth=1
	v_and_b32_e32 v53, 7, v46
	v_ffbh_u32_e32 v62, v53
	v_min_u32_e32 v64, 32, v62
	v_subrev_u32_e32 v62, 28, v64
	v_lshlrev_b64 v[62:63], v62, v[46:47]
	v_lshrrev_b32_e32 v61, 3, v44
	v_sub_u32_e32 v63, 29, v64
	v_and_b32_e32 v62, 7, v62
	v_cmp_gt_u32_e32 vcc, 8, v44
	v_cndmask_b32_e32 v44, v61, v63, vcc
	v_cndmask_b32_e32 v53, v53, v62, vcc
	v_lshlrev_b32_e32 v46, 24, v46
	v_lshlrev_b32_e32 v53, 20, v53
	v_and_b32_e32 v46, 0x80000000, v46
	v_lshl_add_u32 v44, v44, 23, v48
	v_or3_b32 v53, v46, v44, v53
.LBB666_331:                            ;   in Loop: Header=BB666_213 Depth=1
	s_or_b64 exec, exec, s[18:19]
.LBB666_332:                            ;   in Loop: Header=BB666_213 Depth=1
	s_or_b64 exec, exec, s[16:17]
.LBB666_333:                            ;   in Loop: Header=BB666_213 Depth=1
	s_or_b64 exec, exec, s[14:15]
	s_waitcnt vmcnt(2)
	v_cmp_ne_u16_sdwa s[16:17], v42, v47 src0_sel:BYTE_0 src1_sel:DWORD
	s_and_saveexec_b64 s[14:15], s[16:17]
	s_cbranch_execz .LBB666_339
; %bb.334:                              ;   in Loop: Header=BB666_213 Depth=1
	v_cmp_ne_u16_sdwa s[18:19], v42, s9 src0_sel:BYTE_0 src1_sel:DWORD
	v_bfrev_b32_e32 v52, 1
	s_and_saveexec_b64 s[16:17], s[18:19]
	s_cbranch_execz .LBB666_338
; %bb.335:                              ;   in Loop: Header=BB666_213 Depth=1
	v_and_b32_e32 v44, 0x7f, v42
	v_cmp_ne_u32_e32 vcc, s21, v44
	v_mov_b32_e32 v52, 0x7f800001
	s_and_saveexec_b64 s[18:19], vcc
	s_cbranch_execz .LBB666_337
; %bb.336:                              ;   in Loop: Header=BB666_213 Depth=1
	v_and_b32_e32 v46, 7, v42
	v_ffbh_u32_e32 v61, v46
	v_min_u32_e32 v61, 32, v61
	v_subrev_u32_e32 v62, 28, v61
	v_lshlrev_b64 v[62:63], v62, v[42:43]
	v_lshrrev_b32_e32 v52, 3, v44
	v_sub_u32_e32 v61, 29, v61
	v_and_b32_e32 v62, 7, v62
	v_cmp_gt_u32_e32 vcc, 8, v44
	v_cndmask_b32_e32 v44, v52, v61, vcc
	v_cndmask_b32_e32 v46, v46, v62, vcc
	v_lshlrev_b32_e32 v52, 24, v42
	v_lshlrev_b32_e32 v46, 20, v46
	v_and_b32_e32 v52, 0x80000000, v52
	v_lshl_add_u32 v44, v44, 23, v48
	v_or3_b32 v52, v52, v44, v46
.LBB666_337:                            ;   in Loop: Header=BB666_213 Depth=1
	s_or_b64 exec, exec, s[18:19]
.LBB666_338:                            ;   in Loop: Header=BB666_213 Depth=1
	s_or_b64 exec, exec, s[16:17]
.LBB666_339:                            ;   in Loop: Header=BB666_213 Depth=1
	s_or_b64 exec, exec, s[14:15]
	v_lshrrev_b16_e32 v44, 8, v42
	v_cmp_ne_u16_e32 vcc, 0, v44
	v_mov_b32_e32 v61, 0
	v_mov_b32_e32 v62, 0
	s_and_saveexec_b64 s[14:15], vcc
	s_cbranch_execz .LBB666_345
; %bb.340:                              ;   in Loop: Header=BB666_213 Depth=1
	v_cmp_ne_u16_e32 vcc, s9, v44
	v_bfrev_b32_e32 v62, 1
	s_and_saveexec_b64 s[16:17], vcc
	s_cbranch_execz .LBB666_344
; %bb.341:                              ;   in Loop: Header=BB666_213 Depth=1
	v_and_b32_e32 v46, 0x7f, v44
	v_cmp_ne_u32_e32 vcc, s21, v46
	v_mov_b32_e32 v62, 0x7f800001
	s_and_saveexec_b64 s[18:19], vcc
	s_cbranch_execz .LBB666_343
; %bb.342:                              ;   in Loop: Header=BB666_213 Depth=1
	v_and_b32_e32 v64, 7, v44
	v_ffbh_u32_e32 v62, v64
	v_min_u32_e32 v66, 32, v62
	v_subrev_u32_e32 v62, 28, v66
	v_lshlrev_b64 v[62:63], v62, v[44:45]
	v_lshrrev_b32_e32 v65, 3, v46
	v_sub_u32_e32 v44, 29, v66
	v_and_b32_e32 v62, 7, v62
	v_cmp_gt_u32_e32 vcc, 8, v46
	v_cndmask_b32_e32 v44, v65, v44, vcc
	v_cndmask_b32_e32 v46, v64, v62, vcc
	v_lshlrev_b32_e32 v62, 16, v42
	v_lshlrev_b32_e32 v46, 20, v46
	v_and_b32_e32 v62, 0x80000000, v62
	v_lshl_add_u32 v44, v44, 23, v48
	v_or3_b32 v62, v62, v44, v46
.LBB666_343:                            ;   in Loop: Header=BB666_213 Depth=1
	s_or_b64 exec, exec, s[18:19]
.LBB666_344:                            ;   in Loop: Header=BB666_213 Depth=1
	s_or_b64 exec, exec, s[16:17]
.LBB666_345:                            ;   in Loop: Header=BB666_213 Depth=1
	s_or_b64 exec, exec, s[14:15]
	v_lshrrev_b32_e32 v44, 16, v42
	v_cmp_ne_u16_sdwa s[16:17], v44, v47 src0_sel:BYTE_0 src1_sel:DWORD
	s_and_saveexec_b64 s[14:15], s[16:17]
	s_cbranch_execz .LBB666_351
; %bb.346:                              ;   in Loop: Header=BB666_213 Depth=1
	v_cmp_ne_u16_sdwa s[18:19], v44, s9 src0_sel:BYTE_0 src1_sel:DWORD
	v_bfrev_b32_e32 v61, 1
	s_and_saveexec_b64 s[16:17], s[18:19]
	s_cbranch_execz .LBB666_350
; %bb.347:                              ;   in Loop: Header=BB666_213 Depth=1
	v_bfe_u32 v46, v42, 16, 7
	v_cmp_ne_u32_e32 vcc, s21, v46
	v_mov_b32_e32 v61, 0x7f800001
	s_and_saveexec_b64 s[18:19], vcc
	s_cbranch_execz .LBB666_349
; %bb.348:                              ;   in Loop: Header=BB666_213 Depth=1
	v_and_b32_e32 v61, 7, v44
	v_ffbh_u32_e32 v64, v61
	v_min_u32_e32 v66, 32, v64
	v_subrev_u32_e32 v64, 28, v66
	v_lshlrev_b64 v[64:65], v64, v[44:45]
	v_lshrrev_b32_e32 v63, 3, v46
	v_sub_u32_e32 v65, 29, v66
	v_and_b32_e32 v64, 7, v64
	v_cmp_gt_u32_e32 vcc, 8, v46
	v_cndmask_b32_e32 v46, v63, v65, vcc
	v_cndmask_b32_e32 v61, v61, v64, vcc
	v_lshlrev_b32_e32 v44, 24, v44
	v_lshlrev_b32_e32 v61, 20, v61
	v_and_b32_e32 v44, 0x80000000, v44
	v_lshl_add_u32 v46, v46, 23, v48
	v_or3_b32 v61, v44, v46, v61
.LBB666_349:                            ;   in Loop: Header=BB666_213 Depth=1
	s_or_b64 exec, exec, s[18:19]
.LBB666_350:                            ;   in Loop: Header=BB666_213 Depth=1
	s_or_b64 exec, exec, s[16:17]
.LBB666_351:                            ;   in Loop: Header=BB666_213 Depth=1
	s_or_b64 exec, exec, s[14:15]
	v_cmp_lt_u32_e32 vcc, s22, v42
	v_mov_b32_e32 v46, 0
	v_mov_b32_e32 v63, 0
	s_and_saveexec_b64 s[14:15], vcc
	s_cbranch_execz .LBB666_357
; %bb.352:                              ;   in Loop: Header=BB666_213 Depth=1
	v_lshrrev_b32_e32 v44, 24, v42
	v_cmp_ne_u32_e32 vcc, s9, v44
	v_bfrev_b32_e32 v63, 1
	s_and_saveexec_b64 s[16:17], vcc
	s_cbranch_execz .LBB666_356
; %bb.353:                              ;   in Loop: Header=BB666_213 Depth=1
	v_bfe_u32 v42, v42, 24, 7
	v_cmp_ne_u32_e32 vcc, s21, v42
	v_mov_b32_e32 v63, 0x7f800001
	s_and_saveexec_b64 s[18:19], vcc
	s_cbranch_execz .LBB666_355
; %bb.354:                              ;   in Loop: Header=BB666_213 Depth=1
	v_and_b32_e32 v63, 7, v44
	v_ffbh_u32_e32 v64, v63
	v_min_u32_e32 v67, 32, v64
	v_subrev_u32_e32 v64, 28, v67
	v_lshlrev_b64 v[64:65], v64, v[44:45]
	v_lshrrev_b32_e32 v66, 3, v42
	v_sub_u32_e32 v65, 29, v67
	v_and_b32_e32 v64, 7, v64
	v_cmp_gt_u32_e32 vcc, 8, v42
	v_cndmask_b32_e32 v42, v66, v65, vcc
	v_cndmask_b32_e32 v63, v63, v64, vcc
	v_lshlrev_b32_e32 v44, 24, v44
	v_lshlrev_b32_e32 v63, 20, v63
	v_and_b32_e32 v44, 0x80000000, v44
	v_lshl_add_u32 v42, v42, 23, v48
	v_or3_b32 v63, v44, v42, v63
.LBB666_355:                            ;   in Loop: Header=BB666_213 Depth=1
	s_or_b64 exec, exec, s[18:19]
.LBB666_356:                            ;   in Loop: Header=BB666_213 Depth=1
	s_or_b64 exec, exec, s[16:17]
.LBB666_357:                            ;   in Loop: Header=BB666_213 Depth=1
	s_or_b64 exec, exec, s[14:15]
	v_cvt_pkrtz_f16_f32 v64, v49, v51
	v_cvt_pkrtz_f16_f32 v65, v50, v53
	;; [unrolled: 1-line block ×4, first 2 shown]
	s_waitcnt vmcnt(1)
	v_cmp_ne_u16_sdwa s[16:17], v40, v47 src0_sel:BYTE_0 src1_sel:DWORD
	v_mfma_f32_16x16x16f16 v[34:37], v[64:65], v[10:11], v[34:37]
	v_mfma_f32_16x16x16f16 v[34:37], v[50:51], v[12:13], v[34:37]
	s_and_saveexec_b64 s[14:15], s[16:17]
	s_cbranch_execz .LBB666_363
; %bb.358:                              ;   in Loop: Header=BB666_213 Depth=1
	v_cmp_ne_u16_sdwa s[18:19], v40, s9 src0_sel:BYTE_0 src1_sel:DWORD
	v_bfrev_b32_e32 v46, 1
	s_and_saveexec_b64 s[16:17], s[18:19]
	s_cbranch_execz .LBB666_362
; %bb.359:                              ;   in Loop: Header=BB666_213 Depth=1
	v_and_b32_e32 v42, 0x7f, v40
	v_cmp_ne_u32_e32 vcc, s21, v42
	v_mov_b32_e32 v46, 0x7f800001
	s_and_saveexec_b64 s[18:19], vcc
	s_cbranch_execz .LBB666_361
; %bb.360:                              ;   in Loop: Header=BB666_213 Depth=1
	v_and_b32_e32 v44, 7, v40
	v_ffbh_u32_e32 v49, v44
	v_min_u32_e32 v49, 32, v49
	v_subrev_u32_e32 v50, 28, v49
	v_lshlrev_b64 v[50:51], v50, v[40:41]
	v_lshrrev_b32_e32 v46, 3, v42
	v_sub_u32_e32 v49, 29, v49
	v_and_b32_e32 v50, 7, v50
	v_cmp_gt_u32_e32 vcc, 8, v42
	v_cndmask_b32_e32 v42, v46, v49, vcc
	v_cndmask_b32_e32 v44, v44, v50, vcc
	v_lshlrev_b32_e32 v46, 24, v40
	v_lshlrev_b32_e32 v44, 20, v44
	v_and_b32_e32 v46, 0x80000000, v46
	v_lshl_add_u32 v42, v42, 23, v48
	v_or3_b32 v46, v46, v42, v44
.LBB666_361:                            ;   in Loop: Header=BB666_213 Depth=1
	s_or_b64 exec, exec, s[18:19]
.LBB666_362:                            ;   in Loop: Header=BB666_213 Depth=1
	s_or_b64 exec, exec, s[16:17]
.LBB666_363:                            ;   in Loop: Header=BB666_213 Depth=1
	s_or_b64 exec, exec, s[14:15]
	v_lshrrev_b16_e32 v42, 8, v40
	v_cmp_ne_u16_e32 vcc, 0, v42
	v_mov_b32_e32 v44, 0
	v_mov_b32_e32 v50, 0
	s_and_saveexec_b64 s[14:15], vcc
	s_cbranch_execz .LBB666_369
; %bb.364:                              ;   in Loop: Header=BB666_213 Depth=1
	v_cmp_ne_u16_e32 vcc, s9, v42
	v_bfrev_b32_e32 v50, 1
	s_and_saveexec_b64 s[16:17], vcc
	s_cbranch_execz .LBB666_368
; %bb.365:                              ;   in Loop: Header=BB666_213 Depth=1
	v_and_b32_e32 v49, 0x7f, v42
	v_cmp_ne_u32_e32 vcc, s21, v49
	v_mov_b32_e32 v50, 0x7f800001
	s_and_saveexec_b64 s[18:19], vcc
	s_cbranch_execz .LBB666_367
; %bb.366:                              ;   in Loop: Header=BB666_213 Depth=1
	v_and_b32_e32 v52, 7, v42
	v_ffbh_u32_e32 v50, v52
	v_min_u32_e32 v61, 32, v50
	v_subrev_u32_e32 v50, 28, v61
	v_lshlrev_b64 v[50:51], v50, v[42:43]
	v_lshrrev_b32_e32 v53, 3, v49
	v_sub_u32_e32 v42, 29, v61
	v_and_b32_e32 v50, 7, v50
	v_cmp_gt_u32_e32 vcc, 8, v49
	v_cndmask_b32_e32 v42, v53, v42, vcc
	v_cndmask_b32_e32 v49, v52, v50, vcc
	v_lshlrev_b32_e32 v50, 16, v40
	v_lshlrev_b32_e32 v49, 20, v49
	v_and_b32_e32 v50, 0x80000000, v50
	v_lshl_add_u32 v42, v42, 23, v48
	v_or3_b32 v50, v50, v42, v49
.LBB666_367:                            ;   in Loop: Header=BB666_213 Depth=1
	s_or_b64 exec, exec, s[18:19]
.LBB666_368:                            ;   in Loop: Header=BB666_213 Depth=1
	s_or_b64 exec, exec, s[16:17]
.LBB666_369:                            ;   in Loop: Header=BB666_213 Depth=1
	s_or_b64 exec, exec, s[14:15]
	v_lshrrev_b32_e32 v42, 16, v40
	v_cmp_ne_u16_sdwa s[16:17], v42, v47 src0_sel:BYTE_0 src1_sel:DWORD
	s_and_saveexec_b64 s[14:15], s[16:17]
	s_cbranch_execz .LBB666_375
; %bb.370:                              ;   in Loop: Header=BB666_213 Depth=1
	v_cmp_ne_u16_sdwa s[18:19], v42, s9 src0_sel:BYTE_0 src1_sel:DWORD
	v_bfrev_b32_e32 v44, 1
	s_and_saveexec_b64 s[16:17], s[18:19]
	s_cbranch_execz .LBB666_374
; %bb.371:                              ;   in Loop: Header=BB666_213 Depth=1
	v_bfe_u32 v49, v40, 16, 7
	v_cmp_ne_u32_e32 vcc, s21, v49
	v_mov_b32_e32 v44, 0x7f800001
	s_and_saveexec_b64 s[18:19], vcc
	s_cbranch_execz .LBB666_373
; %bb.372:                              ;   in Loop: Header=BB666_213 Depth=1
	v_and_b32_e32 v44, 7, v42
	v_ffbh_u32_e32 v52, v44
	v_min_u32_e32 v61, 32, v52
	v_subrev_u32_e32 v52, 28, v61
	v_lshlrev_b64 v[52:53], v52, v[42:43]
	v_lshrrev_b32_e32 v51, 3, v49
	v_sub_u32_e32 v53, 29, v61
	v_and_b32_e32 v52, 7, v52
	v_cmp_gt_u32_e32 vcc, 8, v49
	v_cndmask_b32_e32 v49, v51, v53, vcc
	v_cndmask_b32_e32 v44, v44, v52, vcc
	v_lshlrev_b32_e32 v42, 24, v42
	v_lshlrev_b32_e32 v44, 20, v44
	v_and_b32_e32 v42, 0x80000000, v42
	v_lshl_add_u32 v49, v49, 23, v48
	v_or3_b32 v44, v42, v49, v44
.LBB666_373:                            ;   in Loop: Header=BB666_213 Depth=1
	s_or_b64 exec, exec, s[18:19]
.LBB666_374:                            ;   in Loop: Header=BB666_213 Depth=1
	s_or_b64 exec, exec, s[16:17]
.LBB666_375:                            ;   in Loop: Header=BB666_213 Depth=1
	s_or_b64 exec, exec, s[14:15]
	v_cmp_lt_u32_e32 vcc, s22, v40
	v_mov_b32_e32 v51, 0
	v_mov_b32_e32 v52, 0
	s_and_saveexec_b64 s[14:15], vcc
	s_cbranch_execz .LBB666_381
; %bb.376:                              ;   in Loop: Header=BB666_213 Depth=1
	v_lshrrev_b32_e32 v42, 24, v40
	v_cmp_ne_u32_e32 vcc, s9, v42
	v_bfrev_b32_e32 v52, 1
	s_and_saveexec_b64 s[16:17], vcc
	s_cbranch_execz .LBB666_380
; %bb.377:                              ;   in Loop: Header=BB666_213 Depth=1
	v_bfe_u32 v40, v40, 24, 7
	v_cmp_ne_u32_e32 vcc, s21, v40
	v_mov_b32_e32 v52, 0x7f800001
	s_and_saveexec_b64 s[18:19], vcc
	s_cbranch_execz .LBB666_379
; %bb.378:                              ;   in Loop: Header=BB666_213 Depth=1
	v_and_b32_e32 v49, 7, v42
	v_ffbh_u32_e32 v52, v49
	v_min_u32_e32 v62, 32, v52
	v_subrev_u32_e32 v52, 28, v62
	v_lshlrev_b64 v[52:53], v52, v[42:43]
	v_lshrrev_b32_e32 v61, 3, v40
	v_sub_u32_e32 v53, 29, v62
	v_and_b32_e32 v52, 7, v52
	v_cmp_gt_u32_e32 vcc, 8, v40
	v_cndmask_b32_e32 v40, v61, v53, vcc
	v_cndmask_b32_e32 v49, v49, v52, vcc
	v_lshlrev_b32_e32 v42, 24, v42
	v_lshlrev_b32_e32 v49, 20, v49
	v_and_b32_e32 v42, 0x80000000, v42
	v_lshl_add_u32 v40, v40, 23, v48
	v_or3_b32 v52, v42, v40, v49
.LBB666_379:                            ;   in Loop: Header=BB666_213 Depth=1
	s_or_b64 exec, exec, s[18:19]
.LBB666_380:                            ;   in Loop: Header=BB666_213 Depth=1
	s_or_b64 exec, exec, s[16:17]
.LBB666_381:                            ;   in Loop: Header=BB666_213 Depth=1
	s_or_b64 exec, exec, s[14:15]
	s_waitcnt vmcnt(0)
	v_cmp_ne_u16_sdwa s[16:17], v38, v47 src0_sel:BYTE_0 src1_sel:DWORD
	s_and_saveexec_b64 s[14:15], s[16:17]
	s_cbranch_execz .LBB666_387
; %bb.382:                              ;   in Loop: Header=BB666_213 Depth=1
	v_cmp_ne_u16_sdwa s[18:19], v38, s9 src0_sel:BYTE_0 src1_sel:DWORD
	v_bfrev_b32_e32 v51, 1
	s_and_saveexec_b64 s[16:17], s[18:19]
	s_cbranch_execz .LBB666_386
; %bb.383:                              ;   in Loop: Header=BB666_213 Depth=1
	v_and_b32_e32 v40, 0x7f, v38
	v_cmp_ne_u32_e32 vcc, s21, v40
	v_mov_b32_e32 v51, 0x7f800001
	s_and_saveexec_b64 s[18:19], vcc
	s_cbranch_execz .LBB666_385
; %bb.384:                              ;   in Loop: Header=BB666_213 Depth=1
	v_and_b32_e32 v42, 7, v38
	v_ffbh_u32_e32 v51, v42
	v_min_u32_e32 v51, 32, v51
	v_subrev_u32_e32 v53, 28, v51
	v_lshlrev_b64 v[62:63], v53, v[38:39]
	v_lshrrev_b32_e32 v49, 3, v40
	v_sub_u32_e32 v51, 29, v51
	v_and_b32_e32 v53, 7, v62
	v_cmp_gt_u32_e32 vcc, 8, v40
	v_cndmask_b32_e32 v40, v49, v51, vcc
	v_cndmask_b32_e32 v42, v42, v53, vcc
	v_lshlrev_b32_e32 v49, 24, v38
	v_lshlrev_b32_e32 v42, 20, v42
	v_and_b32_e32 v49, 0x80000000, v49
	v_lshl_add_u32 v40, v40, 23, v48
	v_or3_b32 v51, v49, v40, v42
.LBB666_385:                            ;   in Loop: Header=BB666_213 Depth=1
	s_or_b64 exec, exec, s[18:19]
.LBB666_386:                            ;   in Loop: Header=BB666_213 Depth=1
	s_or_b64 exec, exec, s[16:17]
.LBB666_387:                            ;   in Loop: Header=BB666_213 Depth=1
	s_or_b64 exec, exec, s[14:15]
	v_lshrrev_b16_e32 v40, 8, v38
	v_cmp_ne_u16_e32 vcc, 0, v40
	v_mov_b32_e32 v53, 0
	v_mov_b32_e32 v61, 0
	s_and_saveexec_b64 s[14:15], vcc
	s_cbranch_execz .LBB666_393
; %bb.388:                              ;   in Loop: Header=BB666_213 Depth=1
	v_cmp_ne_u16_e32 vcc, s9, v40
	v_bfrev_b32_e32 v61, 1
	s_and_saveexec_b64 s[16:17], vcc
	s_cbranch_execz .LBB666_392
; %bb.389:                              ;   in Loop: Header=BB666_213 Depth=1
	v_and_b32_e32 v42, 0x7f, v40
	v_cmp_ne_u32_e32 vcc, s21, v42
	v_mov_b32_e32 v61, 0x7f800001
	s_and_saveexec_b64 s[18:19], vcc
	s_cbranch_execz .LBB666_391
; %bb.390:                              ;   in Loop: Header=BB666_213 Depth=1
	v_and_b32_e32 v49, 7, v40
	v_ffbh_u32_e32 v62, v49
	v_min_u32_e32 v64, 32, v62
	v_subrev_u32_e32 v62, 28, v64
	v_lshlrev_b64 v[62:63], v62, v[40:41]
	v_lshrrev_b32_e32 v61, 3, v42
	v_sub_u32_e32 v40, 29, v64
	v_and_b32_e32 v62, 7, v62
	v_cmp_gt_u32_e32 vcc, 8, v42
	v_cndmask_b32_e32 v40, v61, v40, vcc
	v_cndmask_b32_e32 v42, v49, v62, vcc
	v_lshlrev_b32_e32 v49, 16, v38
	v_lshlrev_b32_e32 v42, 20, v42
	v_and_b32_e32 v49, 0x80000000, v49
	v_lshl_add_u32 v40, v40, 23, v48
	v_or3_b32 v61, v49, v40, v42
.LBB666_391:                            ;   in Loop: Header=BB666_213 Depth=1
	s_or_b64 exec, exec, s[18:19]
.LBB666_392:                            ;   in Loop: Header=BB666_213 Depth=1
	s_or_b64 exec, exec, s[16:17]
.LBB666_393:                            ;   in Loop: Header=BB666_213 Depth=1
	s_or_b64 exec, exec, s[14:15]
	v_lshrrev_b32_e32 v40, 16, v38
	v_cmp_ne_u16_sdwa s[16:17], v40, v47 src0_sel:BYTE_0 src1_sel:DWORD
	s_and_saveexec_b64 s[14:15], s[16:17]
	s_cbranch_execz .LBB666_399
; %bb.394:                              ;   in Loop: Header=BB666_213 Depth=1
	v_cmp_ne_u16_sdwa s[18:19], v40, s9 src0_sel:BYTE_0 src1_sel:DWORD
	v_bfrev_b32_e32 v53, 1
	s_and_saveexec_b64 s[16:17], s[18:19]
	s_cbranch_execz .LBB666_398
; %bb.395:                              ;   in Loop: Header=BB666_213 Depth=1
	v_bfe_u32 v42, v38, 16, 7
	v_cmp_ne_u32_e32 vcc, s21, v42
	v_mov_b32_e32 v53, 0x7f800001
	s_and_saveexec_b64 s[18:19], vcc
	s_cbranch_execz .LBB666_397
; %bb.396:                              ;   in Loop: Header=BB666_213 Depth=1
	v_and_b32_e32 v49, 7, v40
	v_ffbh_u32_e32 v62, v49
	v_min_u32_e32 v64, 32, v62
	v_subrev_u32_e32 v62, 28, v64
	v_lshlrev_b64 v[62:63], v62, v[40:41]
	v_lshrrev_b32_e32 v53, 3, v42
	v_sub_u32_e32 v63, 29, v64
	v_and_b32_e32 v62, 7, v62
	v_cmp_gt_u32_e32 vcc, 8, v42
	v_cndmask_b32_e32 v42, v53, v63, vcc
	v_cndmask_b32_e32 v49, v49, v62, vcc
	v_lshlrev_b32_e32 v40, 24, v40
	v_lshlrev_b32_e32 v49, 20, v49
	v_and_b32_e32 v40, 0x80000000, v40
	v_lshl_add_u32 v42, v42, 23, v48
	v_or3_b32 v53, v40, v42, v49
.LBB666_397:                            ;   in Loop: Header=BB666_213 Depth=1
	s_or_b64 exec, exec, s[18:19]
.LBB666_398:                            ;   in Loop: Header=BB666_213 Depth=1
	s_or_b64 exec, exec, s[16:17]
.LBB666_399:                            ;   in Loop: Header=BB666_213 Depth=1
	s_or_b64 exec, exec, s[14:15]
	v_cmp_lt_u32_e32 vcc, s22, v38
	v_mov_b32_e32 v49, 0
	v_mov_b32_e32 v62, 0
	s_and_saveexec_b64 s[14:15], vcc
	s_cbranch_execz .LBB666_405
; %bb.400:                              ;   in Loop: Header=BB666_213 Depth=1
	v_lshrrev_b32_e32 v40, 24, v38
	v_cmp_ne_u32_e32 vcc, s9, v40
	v_bfrev_b32_e32 v62, 1
	s_and_saveexec_b64 s[16:17], vcc
	s_cbranch_execz .LBB666_404
; %bb.401:                              ;   in Loop: Header=BB666_213 Depth=1
	v_bfe_u32 v38, v38, 24, 7
	v_cmp_ne_u32_e32 vcc, s21, v38
	v_mov_b32_e32 v62, 0x7f800001
	s_and_saveexec_b64 s[18:19], vcc
	s_cbranch_execz .LBB666_403
; %bb.402:                              ;   in Loop: Header=BB666_213 Depth=1
	v_and_b32_e32 v42, 7, v40
	v_ffbh_u32_e32 v62, v42
	v_min_u32_e32 v65, 32, v62
	v_subrev_u32_e32 v62, 28, v65
	v_lshlrev_b64 v[62:63], v62, v[40:41]
	v_lshrrev_b32_e32 v64, 3, v38
	v_sub_u32_e32 v63, 29, v65
	v_and_b32_e32 v62, 7, v62
	v_cmp_gt_u32_e32 vcc, 8, v38
	v_cndmask_b32_e32 v38, v64, v63, vcc
	v_cndmask_b32_e32 v42, v42, v62, vcc
	v_lshlrev_b32_e32 v40, 24, v40
	v_lshlrev_b32_e32 v42, 20, v42
	v_and_b32_e32 v40, 0x80000000, v40
	v_lshl_add_u32 v38, v38, 23, v48
	v_or3_b32 v62, v40, v38, v42
.LBB666_403:                            ;   in Loop: Header=BB666_213 Depth=1
	s_or_b64 exec, exec, s[18:19]
.LBB666_404:                            ;   in Loop: Header=BB666_213 Depth=1
	s_or_b64 exec, exec, s[16:17]
.LBB666_405:                            ;   in Loop: Header=BB666_213 Depth=1
	s_or_b64 exec, exec, s[14:15]
	v_cvt_pkrtz_f16_f32 v65, v44, v52
	buffer_load_dword v44, v60, s[0:3], 0 offen
	buffer_load_dword v42, v60, s[0:3], 0 offen offset:4
	buffer_load_dword v40, v60, s[0:3], 0 offen offset:8
	;; [unrolled: 1-line block ×3, first 2 shown]
	v_cvt_pkrtz_f16_f32 v64, v46, v50
	v_cvt_pkrtz_f16_f32 v50, v51, v61
	;; [unrolled: 1-line block ×3, first 2 shown]
	v_mfma_f32_16x16x16f16 v[34:37], v[64:65], v[14:15], v[34:37]
	s_waitcnt vmcnt(3)
	v_cmp_ne_u16_sdwa s[16:17], v44, v47 src0_sel:BYTE_0 src1_sel:DWORD
	v_mfma_f32_16x16x16f16 v[34:37], v[50:51], v[16:17], v[34:37]
	s_and_saveexec_b64 s[14:15], s[16:17]
	s_cbranch_execz .LBB666_411
; %bb.406:                              ;   in Loop: Header=BB666_213 Depth=1
	v_cmp_ne_u16_sdwa s[18:19], v44, s9 src0_sel:BYTE_0 src1_sel:DWORD
	v_bfrev_b32_e32 v49, 1
	s_and_saveexec_b64 s[16:17], s[18:19]
	s_cbranch_execz .LBB666_410
; %bb.407:                              ;   in Loop: Header=BB666_213 Depth=1
	v_and_b32_e32 v46, 0x7f, v44
	v_cmp_ne_u32_e32 vcc, s21, v46
	v_mov_b32_e32 v49, 0x7f800001
	s_and_saveexec_b64 s[18:19], vcc
	s_cbranch_execz .LBB666_409
; %bb.408:                              ;   in Loop: Header=BB666_213 Depth=1
	v_and_b32_e32 v49, 7, v44
	v_ffbh_u32_e32 v50, v49
	v_min_u32_e32 v53, 32, v50
	v_subrev_u32_e32 v50, 28, v53
	v_lshlrev_b64 v[50:51], v50, v[44:45]
	v_lshrrev_b32_e32 v52, 3, v46
	v_sub_u32_e32 v51, 29, v53
	v_and_b32_e32 v50, 7, v50
	v_cmp_gt_u32_e32 vcc, 8, v46
	v_cndmask_b32_e32 v46, v52, v51, vcc
	v_cndmask_b32_e32 v49, v49, v50, vcc
	v_lshlrev_b32_e32 v50, 24, v44
	v_lshlrev_b32_e32 v49, 20, v49
	v_and_b32_e32 v50, 0x80000000, v50
	v_lshl_add_u32 v46, v46, 23, v48
	v_or3_b32 v49, v50, v46, v49
.LBB666_409:                            ;   in Loop: Header=BB666_213 Depth=1
	s_or_b64 exec, exec, s[18:19]
.LBB666_410:                            ;   in Loop: Header=BB666_213 Depth=1
	s_or_b64 exec, exec, s[16:17]
.LBB666_411:                            ;   in Loop: Header=BB666_213 Depth=1
	s_or_b64 exec, exec, s[14:15]
	v_lshrrev_b16_e32 v46, 8, v44
	v_cmp_ne_u16_e32 vcc, 0, v46
	v_mov_b32_e32 v50, 0
	v_mov_b32_e32 v51, 0
	s_and_saveexec_b64 s[14:15], vcc
	s_cbranch_execz .LBB666_417
; %bb.412:                              ;   in Loop: Header=BB666_213 Depth=1
	v_cmp_ne_u16_e32 vcc, s9, v46
	v_bfrev_b32_e32 v51, 1
	s_and_saveexec_b64 s[16:17], vcc
	s_cbranch_execz .LBB666_416
; %bb.413:                              ;   in Loop: Header=BB666_213 Depth=1
	v_and_b32_e32 v52, 0x7f, v46
	v_cmp_ne_u32_e32 vcc, s21, v52
	v_mov_b32_e32 v51, 0x7f800001
	s_and_saveexec_b64 s[18:19], vcc
	s_cbranch_execz .LBB666_415
; %bb.414:                              ;   in Loop: Header=BB666_213 Depth=1
	v_and_b32_e32 v51, 7, v46
	v_ffbh_u32_e32 v60, v51
	v_min_u32_e32 v62, 32, v60
	v_subrev_u32_e32 v60, 28, v62
	v_lshlrev_b64 v[60:61], v60, v[46:47]
	v_lshrrev_b32_e32 v53, 3, v52
	v_sub_u32_e32 v46, 29, v62
	v_and_b32_e32 v60, 7, v60
	v_cmp_gt_u32_e32 vcc, 8, v52
	v_cndmask_b32_e32 v46, v53, v46, vcc
	v_cndmask_b32_e32 v51, v51, v60, vcc
	v_lshlrev_b32_e32 v52, 16, v44
	v_lshlrev_b32_e32 v51, 20, v51
	v_and_b32_e32 v52, 0x80000000, v52
	v_lshl_add_u32 v46, v46, 23, v48
	v_or3_b32 v51, v52, v46, v51
.LBB666_415:                            ;   in Loop: Header=BB666_213 Depth=1
	s_or_b64 exec, exec, s[18:19]
.LBB666_416:                            ;   in Loop: Header=BB666_213 Depth=1
	s_or_b64 exec, exec, s[16:17]
.LBB666_417:                            ;   in Loop: Header=BB666_213 Depth=1
	s_or_b64 exec, exec, s[14:15]
	v_lshrrev_b32_e32 v46, 16, v44
	v_cmp_ne_u16_sdwa s[16:17], v46, v47 src0_sel:BYTE_0 src1_sel:DWORD
	s_and_saveexec_b64 s[14:15], s[16:17]
	s_cbranch_execz .LBB666_423
; %bb.418:                              ;   in Loop: Header=BB666_213 Depth=1
	v_cmp_ne_u16_sdwa s[18:19], v46, s9 src0_sel:BYTE_0 src1_sel:DWORD
	v_bfrev_b32_e32 v50, 1
	s_and_saveexec_b64 s[16:17], s[18:19]
	s_cbranch_execz .LBB666_422
; %bb.419:                              ;   in Loop: Header=BB666_213 Depth=1
	v_bfe_u32 v52, v44, 16, 7
	v_cmp_ne_u32_e32 vcc, s21, v52
	v_mov_b32_e32 v50, 0x7f800001
	s_and_saveexec_b64 s[18:19], vcc
	s_cbranch_execz .LBB666_421
; %bb.420:                              ;   in Loop: Header=BB666_213 Depth=1
	v_and_b32_e32 v50, 7, v46
	v_ffbh_u32_e32 v60, v50
	v_min_u32_e32 v62, 32, v60
	v_subrev_u32_e32 v60, 28, v62
	v_lshlrev_b64 v[60:61], v60, v[46:47]
	v_lshrrev_b32_e32 v53, 3, v52
	v_sub_u32_e32 v61, 29, v62
	v_and_b32_e32 v60, 7, v60
	v_cmp_gt_u32_e32 vcc, 8, v52
	v_cndmask_b32_e32 v52, v53, v61, vcc
	v_cndmask_b32_e32 v50, v50, v60, vcc
	v_lshlrev_b32_e32 v46, 24, v46
	v_lshlrev_b32_e32 v50, 20, v50
	v_and_b32_e32 v46, 0x80000000, v46
	v_lshl_add_u32 v52, v52, 23, v48
	v_or3_b32 v50, v46, v52, v50
.LBB666_421:                            ;   in Loop: Header=BB666_213 Depth=1
	s_or_b64 exec, exec, s[18:19]
.LBB666_422:                            ;   in Loop: Header=BB666_213 Depth=1
	s_or_b64 exec, exec, s[16:17]
.LBB666_423:                            ;   in Loop: Header=BB666_213 Depth=1
	s_or_b64 exec, exec, s[14:15]
	v_cmp_lt_u32_e32 vcc, s22, v44
	v_mov_b32_e32 v52, 0
	v_mov_b32_e32 v53, 0
	s_and_saveexec_b64 s[14:15], vcc
	s_cbranch_execz .LBB666_429
; %bb.424:                              ;   in Loop: Header=BB666_213 Depth=1
	v_lshrrev_b32_e32 v46, 24, v44
	v_cmp_ne_u32_e32 vcc, s9, v46
	v_bfrev_b32_e32 v53, 1
	s_and_saveexec_b64 s[16:17], vcc
	s_cbranch_execz .LBB666_428
; %bb.425:                              ;   in Loop: Header=BB666_213 Depth=1
	v_bfe_u32 v44, v44, 24, 7
	v_cmp_ne_u32_e32 vcc, s21, v44
	v_mov_b32_e32 v53, 0x7f800001
	s_and_saveexec_b64 s[18:19], vcc
	s_cbranch_execz .LBB666_427
; %bb.426:                              ;   in Loop: Header=BB666_213 Depth=1
	v_and_b32_e32 v53, 7, v46
	v_ffbh_u32_e32 v60, v53
	v_min_u32_e32 v63, 32, v60
	v_subrev_u32_e32 v60, 28, v63
	v_lshlrev_b64 v[60:61], v60, v[46:47]
	v_lshrrev_b32_e32 v62, 3, v44
	v_sub_u32_e32 v61, 29, v63
	v_and_b32_e32 v60, 7, v60
	v_cmp_gt_u32_e32 vcc, 8, v44
	v_cndmask_b32_e32 v44, v62, v61, vcc
	v_cndmask_b32_e32 v53, v53, v60, vcc
	v_lshlrev_b32_e32 v46, 24, v46
	v_lshlrev_b32_e32 v53, 20, v53
	v_and_b32_e32 v46, 0x80000000, v46
	v_lshl_add_u32 v44, v44, 23, v48
	v_or3_b32 v53, v46, v44, v53
.LBB666_427:                            ;   in Loop: Header=BB666_213 Depth=1
	s_or_b64 exec, exec, s[18:19]
.LBB666_428:                            ;   in Loop: Header=BB666_213 Depth=1
	s_or_b64 exec, exec, s[16:17]
.LBB666_429:                            ;   in Loop: Header=BB666_213 Depth=1
	s_or_b64 exec, exec, s[14:15]
	s_waitcnt vmcnt(2)
	v_cmp_ne_u16_sdwa s[16:17], v42, v47 src0_sel:BYTE_0 src1_sel:DWORD
	s_and_saveexec_b64 s[14:15], s[16:17]
	s_cbranch_execz .LBB666_435
; %bb.430:                              ;   in Loop: Header=BB666_213 Depth=1
	v_cmp_ne_u16_sdwa s[18:19], v42, s9 src0_sel:BYTE_0 src1_sel:DWORD
	v_bfrev_b32_e32 v52, 1
	s_and_saveexec_b64 s[16:17], s[18:19]
	s_cbranch_execz .LBB666_434
; %bb.431:                              ;   in Loop: Header=BB666_213 Depth=1
	v_and_b32_e32 v44, 0x7f, v42
	v_cmp_ne_u32_e32 vcc, s21, v44
	v_mov_b32_e32 v52, 0x7f800001
	s_and_saveexec_b64 s[18:19], vcc
	s_cbranch_execz .LBB666_433
; %bb.432:                              ;   in Loop: Header=BB666_213 Depth=1
	v_and_b32_e32 v46, 7, v42
	v_ffbh_u32_e32 v60, v46
	v_min_u32_e32 v62, 32, v60
	v_subrev_u32_e32 v60, 28, v62
	v_lshlrev_b64 v[60:61], v60, v[42:43]
	v_lshrrev_b32_e32 v52, 3, v44
	v_sub_u32_e32 v61, 29, v62
	v_and_b32_e32 v60, 7, v60
	v_cmp_gt_u32_e32 vcc, 8, v44
	v_cndmask_b32_e32 v44, v52, v61, vcc
	v_cndmask_b32_e32 v46, v46, v60, vcc
	v_lshlrev_b32_e32 v52, 24, v42
	v_lshlrev_b32_e32 v46, 20, v46
	v_and_b32_e32 v52, 0x80000000, v52
	v_lshl_add_u32 v44, v44, 23, v48
	v_or3_b32 v52, v52, v44, v46
.LBB666_433:                            ;   in Loop: Header=BB666_213 Depth=1
	s_or_b64 exec, exec, s[18:19]
.LBB666_434:                            ;   in Loop: Header=BB666_213 Depth=1
	s_or_b64 exec, exec, s[16:17]
.LBB666_435:                            ;   in Loop: Header=BB666_213 Depth=1
	s_or_b64 exec, exec, s[14:15]
	v_lshrrev_b16_e32 v44, 8, v42
	v_cmp_ne_u16_e32 vcc, 0, v44
	v_mov_b32_e32 v60, 0
	v_mov_b32_e32 v61, 0
	s_and_saveexec_b64 s[14:15], vcc
	s_cbranch_execz .LBB666_441
; %bb.436:                              ;   in Loop: Header=BB666_213 Depth=1
	v_cmp_ne_u16_e32 vcc, s9, v44
	v_bfrev_b32_e32 v61, 1
	s_and_saveexec_b64 s[16:17], vcc
	s_cbranch_execz .LBB666_440
; %bb.437:                              ;   in Loop: Header=BB666_213 Depth=1
	v_and_b32_e32 v46, 0x7f, v44
	v_cmp_ne_u32_e32 vcc, s21, v46
	v_mov_b32_e32 v61, 0x7f800001
	s_and_saveexec_b64 s[18:19], vcc
	s_cbranch_execz .LBB666_439
; %bb.438:                              ;   in Loop: Header=BB666_213 Depth=1
	v_and_b32_e32 v61, 7, v44
	v_ffbh_u32_e32 v62, v61
	v_min_u32_e32 v65, 32, v62
	v_subrev_u32_e32 v62, 28, v65
	v_lshlrev_b64 v[62:63], v62, v[44:45]
	v_lshrrev_b32_e32 v64, 3, v46
	v_sub_u32_e32 v44, 29, v65
	v_and_b32_e32 v62, 7, v62
	v_cmp_gt_u32_e32 vcc, 8, v46
	v_cndmask_b32_e32 v44, v64, v44, vcc
	v_cndmask_b32_e32 v46, v61, v62, vcc
	v_lshlrev_b32_e32 v61, 16, v42
	v_lshlrev_b32_e32 v46, 20, v46
	v_and_b32_e32 v61, 0x80000000, v61
	v_lshl_add_u32 v44, v44, 23, v48
	v_or3_b32 v61, v61, v44, v46
.LBB666_439:                            ;   in Loop: Header=BB666_213 Depth=1
	s_or_b64 exec, exec, s[18:19]
.LBB666_440:                            ;   in Loop: Header=BB666_213 Depth=1
	s_or_b64 exec, exec, s[16:17]
.LBB666_441:                            ;   in Loop: Header=BB666_213 Depth=1
	s_or_b64 exec, exec, s[14:15]
	v_lshrrev_b32_e32 v44, 16, v42
	v_cmp_ne_u16_sdwa s[16:17], v44, v47 src0_sel:BYTE_0 src1_sel:DWORD
	s_and_saveexec_b64 s[14:15], s[16:17]
	s_cbranch_execz .LBB666_447
; %bb.442:                              ;   in Loop: Header=BB666_213 Depth=1
	v_cmp_ne_u16_sdwa s[18:19], v44, s9 src0_sel:BYTE_0 src1_sel:DWORD
	v_bfrev_b32_e32 v60, 1
	s_and_saveexec_b64 s[16:17], s[18:19]
	s_cbranch_execz .LBB666_446
; %bb.443:                              ;   in Loop: Header=BB666_213 Depth=1
	v_bfe_u32 v46, v42, 16, 7
	v_cmp_ne_u32_e32 vcc, s21, v46
	v_mov_b32_e32 v60, 0x7f800001
	s_and_saveexec_b64 s[18:19], vcc
	s_cbranch_execz .LBB666_445
; %bb.444:                              ;   in Loop: Header=BB666_213 Depth=1
	v_and_b32_e32 v60, 7, v44
	v_ffbh_u32_e32 v62, v60
	v_min_u32_e32 v65, 32, v62
	v_subrev_u32_e32 v62, 28, v65
	v_lshlrev_b64 v[62:63], v62, v[44:45]
	v_lshrrev_b32_e32 v64, 3, v46
	v_sub_u32_e32 v63, 29, v65
	v_and_b32_e32 v62, 7, v62
	v_cmp_gt_u32_e32 vcc, 8, v46
	v_cndmask_b32_e32 v46, v64, v63, vcc
	v_cndmask_b32_e32 v60, v60, v62, vcc
	v_lshlrev_b32_e32 v44, 24, v44
	v_lshlrev_b32_e32 v60, 20, v60
	v_and_b32_e32 v44, 0x80000000, v44
	v_lshl_add_u32 v46, v46, 23, v48
	v_or3_b32 v60, v44, v46, v60
.LBB666_445:                            ;   in Loop: Header=BB666_213 Depth=1
	s_or_b64 exec, exec, s[18:19]
.LBB666_446:                            ;   in Loop: Header=BB666_213 Depth=1
	s_or_b64 exec, exec, s[16:17]
.LBB666_447:                            ;   in Loop: Header=BB666_213 Depth=1
	s_or_b64 exec, exec, s[14:15]
	v_cmp_lt_u32_e32 vcc, s22, v42
	v_mov_b32_e32 v46, 0
	v_mov_b32_e32 v62, 0
	s_and_saveexec_b64 s[14:15], vcc
	s_cbranch_execz .LBB666_453
; %bb.448:                              ;   in Loop: Header=BB666_213 Depth=1
	v_lshrrev_b32_e32 v44, 24, v42
	v_cmp_ne_u32_e32 vcc, s9, v44
	v_bfrev_b32_e32 v62, 1
	s_and_saveexec_b64 s[16:17], vcc
	s_cbranch_execz .LBB666_452
; %bb.449:                              ;   in Loop: Header=BB666_213 Depth=1
	v_bfe_u32 v42, v42, 24, 7
	v_cmp_ne_u32_e32 vcc, s21, v42
	v_mov_b32_e32 v62, 0x7f800001
	s_and_saveexec_b64 s[18:19], vcc
	s_cbranch_execz .LBB666_451
; %bb.450:                              ;   in Loop: Header=BB666_213 Depth=1
	v_and_b32_e32 v64, 7, v44
	v_ffbh_u32_e32 v62, v64
	v_min_u32_e32 v66, 32, v62
	v_subrev_u32_e32 v62, 28, v66
	v_lshlrev_b64 v[62:63], v62, v[44:45]
	v_lshrrev_b32_e32 v65, 3, v42
	v_sub_u32_e32 v63, 29, v66
	v_and_b32_e32 v62, 7, v62
	v_cmp_gt_u32_e32 vcc, 8, v42
	v_cndmask_b32_e32 v42, v65, v63, vcc
	v_cndmask_b32_e32 v62, v64, v62, vcc
	v_lshlrev_b32_e32 v44, 24, v44
	v_lshlrev_b32_e32 v62, 20, v62
	v_and_b32_e32 v44, 0x80000000, v44
	v_lshl_add_u32 v42, v42, 23, v48
	v_or3_b32 v62, v44, v42, v62
.LBB666_451:                            ;   in Loop: Header=BB666_213 Depth=1
	s_or_b64 exec, exec, s[18:19]
.LBB666_452:                            ;   in Loop: Header=BB666_213 Depth=1
	s_or_b64 exec, exec, s[16:17]
.LBB666_453:                            ;   in Loop: Header=BB666_213 Depth=1
	s_or_b64 exec, exec, s[14:15]
	v_cvt_pkrtz_f16_f32 v64, v49, v51
	v_cvt_pkrtz_f16_f32 v65, v50, v53
	;; [unrolled: 1-line block ×4, first 2 shown]
	s_waitcnt vmcnt(1)
	v_cmp_ne_u16_sdwa s[16:17], v40, v47 src0_sel:BYTE_0 src1_sel:DWORD
	v_mfma_f32_16x16x16f16 v[34:37], v[64:65], v[18:19], v[34:37]
	v_mfma_f32_16x16x16f16 v[34:37], v[50:51], v[20:21], v[34:37]
	s_and_saveexec_b64 s[14:15], s[16:17]
	s_cbranch_execz .LBB666_459
; %bb.454:                              ;   in Loop: Header=BB666_213 Depth=1
	v_cmp_ne_u16_sdwa s[18:19], v40, s9 src0_sel:BYTE_0 src1_sel:DWORD
	v_bfrev_b32_e32 v46, 1
	s_and_saveexec_b64 s[16:17], s[18:19]
	s_cbranch_execz .LBB666_458
; %bb.455:                              ;   in Loop: Header=BB666_213 Depth=1
	v_and_b32_e32 v42, 0x7f, v40
	v_cmp_ne_u32_e32 vcc, s21, v42
	v_mov_b32_e32 v46, 0x7f800001
	s_and_saveexec_b64 s[18:19], vcc
	s_cbranch_execz .LBB666_457
; %bb.456:                              ;   in Loop: Header=BB666_213 Depth=1
	v_and_b32_e32 v44, 7, v40
	v_ffbh_u32_e32 v49, v44
	v_min_u32_e32 v49, 32, v49
	v_subrev_u32_e32 v50, 28, v49
	v_lshlrev_b64 v[50:51], v50, v[40:41]
	v_lshrrev_b32_e32 v46, 3, v42
	v_sub_u32_e32 v49, 29, v49
	v_and_b32_e32 v50, 7, v50
	v_cmp_gt_u32_e32 vcc, 8, v42
	v_cndmask_b32_e32 v42, v46, v49, vcc
	v_cndmask_b32_e32 v44, v44, v50, vcc
	v_lshlrev_b32_e32 v46, 24, v40
	v_lshlrev_b32_e32 v44, 20, v44
	v_and_b32_e32 v46, 0x80000000, v46
	v_lshl_add_u32 v42, v42, 23, v48
	v_or3_b32 v46, v46, v42, v44
.LBB666_457:                            ;   in Loop: Header=BB666_213 Depth=1
	s_or_b64 exec, exec, s[18:19]
.LBB666_458:                            ;   in Loop: Header=BB666_213 Depth=1
	s_or_b64 exec, exec, s[16:17]
.LBB666_459:                            ;   in Loop: Header=BB666_213 Depth=1
	s_or_b64 exec, exec, s[14:15]
	v_lshrrev_b16_e32 v42, 8, v40
	v_cmp_ne_u16_e32 vcc, 0, v42
	v_mov_b32_e32 v44, 0
	v_mov_b32_e32 v50, 0
	s_and_saveexec_b64 s[14:15], vcc
	s_cbranch_execz .LBB666_465
; %bb.460:                              ;   in Loop: Header=BB666_213 Depth=1
	v_cmp_ne_u16_e32 vcc, s9, v42
	v_bfrev_b32_e32 v50, 1
	s_and_saveexec_b64 s[16:17], vcc
	s_cbranch_execz .LBB666_464
; %bb.461:                              ;   in Loop: Header=BB666_213 Depth=1
	v_and_b32_e32 v49, 0x7f, v42
	v_cmp_ne_u32_e32 vcc, s21, v49
	v_mov_b32_e32 v50, 0x7f800001
	s_and_saveexec_b64 s[18:19], vcc
	s_cbranch_execz .LBB666_463
; %bb.462:                              ;   in Loop: Header=BB666_213 Depth=1
	v_and_b32_e32 v52, 7, v42
	v_ffbh_u32_e32 v50, v52
	v_min_u32_e32 v60, 32, v50
	v_subrev_u32_e32 v50, 28, v60
	v_lshlrev_b64 v[50:51], v50, v[42:43]
	v_lshrrev_b32_e32 v53, 3, v49
	v_sub_u32_e32 v42, 29, v60
	v_and_b32_e32 v50, 7, v50
	v_cmp_gt_u32_e32 vcc, 8, v49
	v_cndmask_b32_e32 v42, v53, v42, vcc
	v_cndmask_b32_e32 v49, v52, v50, vcc
	v_lshlrev_b32_e32 v50, 16, v40
	v_lshlrev_b32_e32 v49, 20, v49
	v_and_b32_e32 v50, 0x80000000, v50
	v_lshl_add_u32 v42, v42, 23, v48
	v_or3_b32 v50, v50, v42, v49
.LBB666_463:                            ;   in Loop: Header=BB666_213 Depth=1
	s_or_b64 exec, exec, s[18:19]
.LBB666_464:                            ;   in Loop: Header=BB666_213 Depth=1
	s_or_b64 exec, exec, s[16:17]
.LBB666_465:                            ;   in Loop: Header=BB666_213 Depth=1
	s_or_b64 exec, exec, s[14:15]
	v_lshrrev_b32_e32 v42, 16, v40
	v_cmp_ne_u16_sdwa s[16:17], v42, v47 src0_sel:BYTE_0 src1_sel:DWORD
	s_and_saveexec_b64 s[14:15], s[16:17]
	s_cbranch_execz .LBB666_471
; %bb.466:                              ;   in Loop: Header=BB666_213 Depth=1
	v_cmp_ne_u16_sdwa s[18:19], v42, s9 src0_sel:BYTE_0 src1_sel:DWORD
	v_bfrev_b32_e32 v44, 1
	s_and_saveexec_b64 s[16:17], s[18:19]
	s_cbranch_execz .LBB666_470
; %bb.467:                              ;   in Loop: Header=BB666_213 Depth=1
	v_bfe_u32 v49, v40, 16, 7
	v_cmp_ne_u32_e32 vcc, s21, v49
	v_mov_b32_e32 v44, 0x7f800001
	s_and_saveexec_b64 s[18:19], vcc
	s_cbranch_execz .LBB666_469
; %bb.468:                              ;   in Loop: Header=BB666_213 Depth=1
	v_and_b32_e32 v44, 7, v42
	v_ffbh_u32_e32 v52, v44
	v_min_u32_e32 v60, 32, v52
	v_subrev_u32_e32 v52, 28, v60
	v_lshlrev_b64 v[52:53], v52, v[42:43]
	v_lshrrev_b32_e32 v51, 3, v49
	v_sub_u32_e32 v53, 29, v60
	v_and_b32_e32 v52, 7, v52
	v_cmp_gt_u32_e32 vcc, 8, v49
	v_cndmask_b32_e32 v49, v51, v53, vcc
	v_cndmask_b32_e32 v44, v44, v52, vcc
	v_lshlrev_b32_e32 v42, 24, v42
	v_lshlrev_b32_e32 v44, 20, v44
	v_and_b32_e32 v42, 0x80000000, v42
	v_lshl_add_u32 v49, v49, 23, v48
	v_or3_b32 v44, v42, v49, v44
.LBB666_469:                            ;   in Loop: Header=BB666_213 Depth=1
	s_or_b64 exec, exec, s[18:19]
.LBB666_470:                            ;   in Loop: Header=BB666_213 Depth=1
	s_or_b64 exec, exec, s[16:17]
.LBB666_471:                            ;   in Loop: Header=BB666_213 Depth=1
	s_or_b64 exec, exec, s[14:15]
	v_cmp_lt_u32_e32 vcc, s22, v40
	v_mov_b32_e32 v51, 0
	v_mov_b32_e32 v52, 0
	s_and_saveexec_b64 s[14:15], vcc
	s_cbranch_execz .LBB666_477
; %bb.472:                              ;   in Loop: Header=BB666_213 Depth=1
	v_lshrrev_b32_e32 v42, 24, v40
	v_cmp_ne_u32_e32 vcc, s9, v42
	v_bfrev_b32_e32 v52, 1
	s_and_saveexec_b64 s[16:17], vcc
	s_cbranch_execz .LBB666_476
; %bb.473:                              ;   in Loop: Header=BB666_213 Depth=1
	v_bfe_u32 v40, v40, 24, 7
	v_cmp_ne_u32_e32 vcc, s21, v40
	v_mov_b32_e32 v52, 0x7f800001
	s_and_saveexec_b64 s[18:19], vcc
	s_cbranch_execz .LBB666_475
; %bb.474:                              ;   in Loop: Header=BB666_213 Depth=1
	v_and_b32_e32 v49, 7, v42
	v_ffbh_u32_e32 v52, v49
	v_min_u32_e32 v61, 32, v52
	v_subrev_u32_e32 v52, 28, v61
	v_lshlrev_b64 v[52:53], v52, v[42:43]
	v_lshrrev_b32_e32 v60, 3, v40
	v_sub_u32_e32 v53, 29, v61
	v_and_b32_e32 v52, 7, v52
	v_cmp_gt_u32_e32 vcc, 8, v40
	v_cndmask_b32_e32 v40, v60, v53, vcc
	v_cndmask_b32_e32 v49, v49, v52, vcc
	v_lshlrev_b32_e32 v42, 24, v42
	v_lshlrev_b32_e32 v49, 20, v49
	v_and_b32_e32 v42, 0x80000000, v42
	v_lshl_add_u32 v40, v40, 23, v48
	v_or3_b32 v52, v42, v40, v49
.LBB666_475:                            ;   in Loop: Header=BB666_213 Depth=1
	s_or_b64 exec, exec, s[18:19]
.LBB666_476:                            ;   in Loop: Header=BB666_213 Depth=1
	s_or_b64 exec, exec, s[16:17]
.LBB666_477:                            ;   in Loop: Header=BB666_213 Depth=1
	s_or_b64 exec, exec, s[14:15]
	s_waitcnt vmcnt(0)
	v_cmp_ne_u16_sdwa s[16:17], v38, v47 src0_sel:BYTE_0 src1_sel:DWORD
	s_and_saveexec_b64 s[14:15], s[16:17]
	s_cbranch_execz .LBB666_483
; %bb.478:                              ;   in Loop: Header=BB666_213 Depth=1
	v_cmp_ne_u16_sdwa s[18:19], v38, s9 src0_sel:BYTE_0 src1_sel:DWORD
	v_bfrev_b32_e32 v51, 1
	s_and_saveexec_b64 s[16:17], s[18:19]
	s_cbranch_execz .LBB666_482
; %bb.479:                              ;   in Loop: Header=BB666_213 Depth=1
	v_and_b32_e32 v40, 0x7f, v38
	v_cmp_ne_u32_e32 vcc, s21, v40
	v_mov_b32_e32 v51, 0x7f800001
	s_and_saveexec_b64 s[18:19], vcc
	s_cbranch_execz .LBB666_481
; %bb.480:                              ;   in Loop: Header=BB666_213 Depth=1
	v_and_b32_e32 v42, 7, v38
	v_ffbh_u32_e32 v51, v42
	v_min_u32_e32 v51, 32, v51
	v_subrev_u32_e32 v53, 28, v51
	v_lshlrev_b64 v[60:61], v53, v[38:39]
	v_lshrrev_b32_e32 v49, 3, v40
	v_sub_u32_e32 v51, 29, v51
	v_and_b32_e32 v53, 7, v60
	v_cmp_gt_u32_e32 vcc, 8, v40
	v_cndmask_b32_e32 v40, v49, v51, vcc
	v_cndmask_b32_e32 v42, v42, v53, vcc
	v_lshlrev_b32_e32 v49, 24, v38
	v_lshlrev_b32_e32 v42, 20, v42
	v_and_b32_e32 v49, 0x80000000, v49
	v_lshl_add_u32 v40, v40, 23, v48
	v_or3_b32 v51, v49, v40, v42
.LBB666_481:                            ;   in Loop: Header=BB666_213 Depth=1
	s_or_b64 exec, exec, s[18:19]
.LBB666_482:                            ;   in Loop: Header=BB666_213 Depth=1
	s_or_b64 exec, exec, s[16:17]
.LBB666_483:                            ;   in Loop: Header=BB666_213 Depth=1
	s_or_b64 exec, exec, s[14:15]
	v_lshrrev_b16_e32 v40, 8, v38
	v_cmp_ne_u16_e32 vcc, 0, v40
	v_mov_b32_e32 v53, 0
	v_mov_b32_e32 v60, 0
	s_and_saveexec_b64 s[14:15], vcc
	s_cbranch_execz .LBB666_489
; %bb.484:                              ;   in Loop: Header=BB666_213 Depth=1
	v_cmp_ne_u16_e32 vcc, s9, v40
	v_bfrev_b32_e32 v60, 1
	s_and_saveexec_b64 s[16:17], vcc
	s_cbranch_execz .LBB666_488
; %bb.485:                              ;   in Loop: Header=BB666_213 Depth=1
	v_and_b32_e32 v42, 0x7f, v40
	v_cmp_ne_u32_e32 vcc, s21, v42
	v_mov_b32_e32 v60, 0x7f800001
	s_and_saveexec_b64 s[18:19], vcc
	s_cbranch_execz .LBB666_487
; %bb.486:                              ;   in Loop: Header=BB666_213 Depth=1
	v_and_b32_e32 v49, 7, v40
	v_ffbh_u32_e32 v60, v49
	v_min_u32_e32 v63, 32, v60
	v_subrev_u32_e32 v60, 28, v63
	v_lshlrev_b64 v[60:61], v60, v[40:41]
	v_lshrrev_b32_e32 v62, 3, v42
	v_sub_u32_e32 v40, 29, v63
	v_and_b32_e32 v60, 7, v60
	v_cmp_gt_u32_e32 vcc, 8, v42
	v_cndmask_b32_e32 v40, v62, v40, vcc
	v_cndmask_b32_e32 v42, v49, v60, vcc
	v_lshlrev_b32_e32 v49, 16, v38
	v_lshlrev_b32_e32 v42, 20, v42
	v_and_b32_e32 v49, 0x80000000, v49
	v_lshl_add_u32 v40, v40, 23, v48
	v_or3_b32 v60, v49, v40, v42
.LBB666_487:                            ;   in Loop: Header=BB666_213 Depth=1
	s_or_b64 exec, exec, s[18:19]
.LBB666_488:                            ;   in Loop: Header=BB666_213 Depth=1
	s_or_b64 exec, exec, s[16:17]
.LBB666_489:                            ;   in Loop: Header=BB666_213 Depth=1
	s_or_b64 exec, exec, s[14:15]
	v_lshrrev_b32_e32 v40, 16, v38
	v_cmp_ne_u16_sdwa s[16:17], v40, v47 src0_sel:BYTE_0 src1_sel:DWORD
	s_and_saveexec_b64 s[14:15], s[16:17]
	s_cbranch_execz .LBB666_495
; %bb.490:                              ;   in Loop: Header=BB666_213 Depth=1
	v_cmp_ne_u16_sdwa s[18:19], v40, s9 src0_sel:BYTE_0 src1_sel:DWORD
	v_bfrev_b32_e32 v53, 1
	s_and_saveexec_b64 s[16:17], s[18:19]
	s_cbranch_execz .LBB666_494
; %bb.491:                              ;   in Loop: Header=BB666_213 Depth=1
	v_bfe_u32 v42, v38, 16, 7
	v_cmp_ne_u32_e32 vcc, s21, v42
	v_mov_b32_e32 v53, 0x7f800001
	s_and_saveexec_b64 s[18:19], vcc
	s_cbranch_execz .LBB666_493
; %bb.492:                              ;   in Loop: Header=BB666_213 Depth=1
	v_and_b32_e32 v49, 7, v40
	v_ffbh_u32_e32 v61, v49
	v_min_u32_e32 v61, 32, v61
	v_subrev_u32_e32 v62, 28, v61
	v_lshlrev_b64 v[62:63], v62, v[40:41]
	v_lshrrev_b32_e32 v53, 3, v42
	v_sub_u32_e32 v61, 29, v61
	v_and_b32_e32 v62, 7, v62
	v_cmp_gt_u32_e32 vcc, 8, v42
	v_cndmask_b32_e32 v42, v53, v61, vcc
	v_cndmask_b32_e32 v49, v49, v62, vcc
	v_lshlrev_b32_e32 v40, 24, v40
	v_lshlrev_b32_e32 v49, 20, v49
	v_and_b32_e32 v40, 0x80000000, v40
	v_lshl_add_u32 v42, v42, 23, v48
	v_or3_b32 v53, v40, v42, v49
.LBB666_493:                            ;   in Loop: Header=BB666_213 Depth=1
	s_or_b64 exec, exec, s[18:19]
.LBB666_494:                            ;   in Loop: Header=BB666_213 Depth=1
	s_or_b64 exec, exec, s[16:17]
.LBB666_495:                            ;   in Loop: Header=BB666_213 Depth=1
	s_or_b64 exec, exec, s[14:15]
	v_cmp_lt_u32_e32 vcc, s22, v38
	v_mov_b32_e32 v49, 0
	v_mov_b32_e32 v61, 0
	s_and_saveexec_b64 s[14:15], vcc
	s_cbranch_execz .LBB666_501
; %bb.496:                              ;   in Loop: Header=BB666_213 Depth=1
	v_lshrrev_b32_e32 v40, 24, v38
	v_cmp_ne_u32_e32 vcc, s9, v40
	v_bfrev_b32_e32 v61, 1
	s_and_saveexec_b64 s[16:17], vcc
	s_cbranch_execz .LBB666_500
; %bb.497:                              ;   in Loop: Header=BB666_213 Depth=1
	v_bfe_u32 v38, v38, 24, 7
	v_cmp_ne_u32_e32 vcc, s21, v38
	v_mov_b32_e32 v61, 0x7f800001
	s_and_saveexec_b64 s[18:19], vcc
	s_cbranch_execz .LBB666_499
; %bb.498:                              ;   in Loop: Header=BB666_213 Depth=1
	v_and_b32_e32 v42, 7, v40
	v_ffbh_u32_e32 v62, v42
	v_min_u32_e32 v64, 32, v62
	v_subrev_u32_e32 v62, 28, v64
	v_lshlrev_b64 v[62:63], v62, v[40:41]
	v_lshrrev_b32_e32 v61, 3, v38
	v_sub_u32_e32 v63, 29, v64
	v_and_b32_e32 v62, 7, v62
	v_cmp_gt_u32_e32 vcc, 8, v38
	v_cndmask_b32_e32 v38, v61, v63, vcc
	v_cndmask_b32_e32 v42, v42, v62, vcc
	v_lshlrev_b32_e32 v40, 24, v40
	v_lshlrev_b32_e32 v42, 20, v42
	v_and_b32_e32 v40, 0x80000000, v40
	v_lshl_add_u32 v38, v38, 23, v48
	v_or3_b32 v61, v40, v38, v42
.LBB666_499:                            ;   in Loop: Header=BB666_213 Depth=1
	s_or_b64 exec, exec, s[18:19]
.LBB666_500:                            ;   in Loop: Header=BB666_213 Depth=1
	s_or_b64 exec, exec, s[16:17]
.LBB666_501:                            ;   in Loop: Header=BB666_213 Depth=1
	s_or_b64 exec, exec, s[14:15]
	v_cvt_pkrtz_f16_f32 v63, v44, v52
	buffer_load_dword v44, v41, s[0:3], 0 offen
	buffer_load_dword v42, v41, s[0:3], 0 offen offset:4
	buffer_load_dword v40, v41, s[0:3], 0 offen offset:8
	;; [unrolled: 1-line block ×3, first 2 shown]
	v_cvt_pkrtz_f16_f32 v62, v46, v50
	v_cvt_pkrtz_f16_f32 v50, v51, v60
	;; [unrolled: 1-line block ×3, first 2 shown]
	v_mfma_f32_16x16x16f16 v[34:37], v[62:63], v[22:23], v[34:37]
	s_waitcnt vmcnt(3)
	v_cmp_ne_u16_sdwa s[16:17], v44, v47 src0_sel:BYTE_0 src1_sel:DWORD
	v_mfma_f32_16x16x16f16 v[34:37], v[50:51], v[24:25], v[34:37]
	s_and_saveexec_b64 s[14:15], s[16:17]
	s_cbranch_execz .LBB666_507
; %bb.502:                              ;   in Loop: Header=BB666_213 Depth=1
	v_cmp_ne_u16_sdwa s[18:19], v44, s9 src0_sel:BYTE_0 src1_sel:DWORD
	v_bfrev_b32_e32 v49, 1
	s_and_saveexec_b64 s[16:17], s[18:19]
	s_cbranch_execz .LBB666_506
; %bb.503:                              ;   in Loop: Header=BB666_213 Depth=1
	v_and_b32_e32 v41, 0x7f, v44
	v_cmp_ne_u32_e32 vcc, s21, v41
	v_mov_b32_e32 v49, 0x7f800001
	s_and_saveexec_b64 s[18:19], vcc
	s_cbranch_execz .LBB666_505
; %bb.504:                              ;   in Loop: Header=BB666_213 Depth=1
	v_and_b32_e32 v46, 7, v44
	v_ffbh_u32_e32 v50, v46
	v_min_u32_e32 v52, 32, v50
	v_subrev_u32_e32 v50, 28, v52
	v_lshlrev_b64 v[50:51], v50, v[44:45]
	v_lshrrev_b32_e32 v49, 3, v41
	v_sub_u32_e32 v51, 29, v52
	v_and_b32_e32 v50, 7, v50
	v_cmp_gt_u32_e32 vcc, 8, v41
	v_cndmask_b32_e32 v41, v49, v51, vcc
	v_cndmask_b32_e32 v46, v46, v50, vcc
	v_lshlrev_b32_e32 v49, 24, v44
	v_lshlrev_b32_e32 v46, 20, v46
	v_and_b32_e32 v49, 0x80000000, v49
	v_lshl_add_u32 v41, v41, 23, v48
	v_or3_b32 v49, v49, v41, v46
.LBB666_505:                            ;   in Loop: Header=BB666_213 Depth=1
	s_or_b64 exec, exec, s[18:19]
.LBB666_506:                            ;   in Loop: Header=BB666_213 Depth=1
	s_or_b64 exec, exec, s[16:17]
.LBB666_507:                            ;   in Loop: Header=BB666_213 Depth=1
	s_or_b64 exec, exec, s[14:15]
	v_lshrrev_b16_e32 v46, 8, v44
	v_cmp_ne_u16_e32 vcc, 0, v46
	v_mov_b32_e32 v50, 0
	v_mov_b32_e32 v51, 0
	s_and_saveexec_b64 s[14:15], vcc
	s_cbranch_execz .LBB666_513
; %bb.508:                              ;   in Loop: Header=BB666_213 Depth=1
	v_cmp_ne_u16_e32 vcc, s9, v46
	v_bfrev_b32_e32 v51, 1
	s_and_saveexec_b64 s[16:17], vcc
	s_cbranch_execz .LBB666_512
; %bb.509:                              ;   in Loop: Header=BB666_213 Depth=1
	v_and_b32_e32 v41, 0x7f, v46
	v_cmp_ne_u32_e32 vcc, s21, v41
	v_mov_b32_e32 v51, 0x7f800001
	s_and_saveexec_b64 s[18:19], vcc
	s_cbranch_execz .LBB666_511
; %bb.510:                              ;   in Loop: Header=BB666_213 Depth=1
	v_and_b32_e32 v51, 7, v46
	v_ffbh_u32_e32 v52, v51
	v_min_u32_e32 v61, 32, v52
	v_subrev_u32_e32 v52, 28, v61
	v_lshlrev_b64 v[52:53], v52, v[46:47]
	v_lshrrev_b32_e32 v60, 3, v41
	v_sub_u32_e32 v46, 29, v61
	v_and_b32_e32 v52, 7, v52
	v_cmp_gt_u32_e32 vcc, 8, v41
	v_cndmask_b32_e32 v41, v60, v46, vcc
	v_cndmask_b32_e32 v46, v51, v52, vcc
	v_lshlrev_b32_e32 v51, 16, v44
	v_lshlrev_b32_e32 v46, 20, v46
	v_and_b32_e32 v51, 0x80000000, v51
	v_lshl_add_u32 v41, v41, 23, v48
	v_or3_b32 v51, v51, v41, v46
.LBB666_511:                            ;   in Loop: Header=BB666_213 Depth=1
	s_or_b64 exec, exec, s[18:19]
.LBB666_512:                            ;   in Loop: Header=BB666_213 Depth=1
	s_or_b64 exec, exec, s[16:17]
.LBB666_513:                            ;   in Loop: Header=BB666_213 Depth=1
	s_or_b64 exec, exec, s[14:15]
	v_lshrrev_b32_e32 v46, 16, v44
	v_cmp_ne_u16_sdwa s[16:17], v46, v47 src0_sel:BYTE_0 src1_sel:DWORD
	s_and_saveexec_b64 s[14:15], s[16:17]
	s_cbranch_execz .LBB666_519
; %bb.514:                              ;   in Loop: Header=BB666_213 Depth=1
	v_cmp_ne_u16_sdwa s[18:19], v46, s9 src0_sel:BYTE_0 src1_sel:DWORD
	v_bfrev_b32_e32 v50, 1
	s_and_saveexec_b64 s[16:17], s[18:19]
	s_cbranch_execz .LBB666_518
; %bb.515:                              ;   in Loop: Header=BB666_213 Depth=1
	v_bfe_u32 v41, v44, 16, 7
	v_cmp_ne_u32_e32 vcc, s21, v41
	v_mov_b32_e32 v50, 0x7f800001
	s_and_saveexec_b64 s[18:19], vcc
	s_cbranch_execz .LBB666_517
; %bb.516:                              ;   in Loop: Header=BB666_213 Depth=1
	v_and_b32_e32 v50, 7, v46
	v_ffbh_u32_e32 v52, v50
	v_min_u32_e32 v61, 32, v52
	v_subrev_u32_e32 v52, 28, v61
	v_lshlrev_b64 v[52:53], v52, v[46:47]
	v_lshrrev_b32_e32 v60, 3, v41
	v_sub_u32_e32 v53, 29, v61
	v_and_b32_e32 v52, 7, v52
	v_cmp_gt_u32_e32 vcc, 8, v41
	v_cndmask_b32_e32 v41, v60, v53, vcc
	v_cndmask_b32_e32 v50, v50, v52, vcc
	v_lshlrev_b32_e32 v46, 24, v46
	v_lshlrev_b32_e32 v50, 20, v50
	v_and_b32_e32 v46, 0x80000000, v46
	v_lshl_add_u32 v41, v41, 23, v48
	v_or3_b32 v50, v46, v41, v50
.LBB666_517:                            ;   in Loop: Header=BB666_213 Depth=1
	s_or_b64 exec, exec, s[18:19]
.LBB666_518:                            ;   in Loop: Header=BB666_213 Depth=1
	s_or_b64 exec, exec, s[16:17]
.LBB666_519:                            ;   in Loop: Header=BB666_213 Depth=1
	s_or_b64 exec, exec, s[14:15]
	v_cmp_lt_u32_e32 vcc, s22, v44
	v_mov_b32_e32 v52, 0
	v_mov_b32_e32 v53, 0
	s_and_saveexec_b64 s[14:15], vcc
	s_cbranch_execz .LBB666_525
; %bb.520:                              ;   in Loop: Header=BB666_213 Depth=1
	v_lshrrev_b32_e32 v46, 24, v44
	v_cmp_ne_u32_e32 vcc, s9, v46
	v_bfrev_b32_e32 v53, 1
	s_and_saveexec_b64 s[16:17], vcc
	s_cbranch_execz .LBB666_524
; %bb.521:                              ;   in Loop: Header=BB666_213 Depth=1
	v_bfe_u32 v41, v44, 24, 7
	v_cmp_ne_u32_e32 vcc, s21, v41
	v_mov_b32_e32 v53, 0x7f800001
	s_and_saveexec_b64 s[18:19], vcc
	s_cbranch_execz .LBB666_523
; %bb.522:                              ;   in Loop: Header=BB666_213 Depth=1
	v_and_b32_e32 v44, 7, v46
	v_ffbh_u32_e32 v60, v44
	v_min_u32_e32 v62, 32, v60
	v_subrev_u32_e32 v60, 28, v62
	v_lshlrev_b64 v[60:61], v60, v[46:47]
	v_lshrrev_b32_e32 v53, 3, v41
	v_sub_u32_e32 v61, 29, v62
	v_and_b32_e32 v60, 7, v60
	v_cmp_gt_u32_e32 vcc, 8, v41
	v_cndmask_b32_e32 v41, v53, v61, vcc
	v_cndmask_b32_e32 v44, v44, v60, vcc
	v_lshlrev_b32_e32 v46, 24, v46
	v_lshlrev_b32_e32 v44, 20, v44
	v_and_b32_e32 v46, 0x80000000, v46
	v_lshl_add_u32 v41, v41, 23, v48
	v_or3_b32 v53, v46, v41, v44
.LBB666_523:                            ;   in Loop: Header=BB666_213 Depth=1
	s_or_b64 exec, exec, s[18:19]
.LBB666_524:                            ;   in Loop: Header=BB666_213 Depth=1
	s_or_b64 exec, exec, s[16:17]
.LBB666_525:                            ;   in Loop: Header=BB666_213 Depth=1
	s_or_b64 exec, exec, s[14:15]
	s_waitcnt vmcnt(2)
	v_cmp_ne_u16_sdwa s[16:17], v42, v47 src0_sel:BYTE_0 src1_sel:DWORD
	s_and_saveexec_b64 s[14:15], s[16:17]
	s_cbranch_execz .LBB666_531
; %bb.526:                              ;   in Loop: Header=BB666_213 Depth=1
	v_cmp_ne_u16_sdwa s[18:19], v42, s9 src0_sel:BYTE_0 src1_sel:DWORD
	v_bfrev_b32_e32 v52, 1
	s_and_saveexec_b64 s[16:17], s[18:19]
	s_cbranch_execz .LBB666_530
; %bb.527:                              ;   in Loop: Header=BB666_213 Depth=1
	v_and_b32_e32 v41, 0x7f, v42
	v_cmp_ne_u32_e32 vcc, s21, v41
	v_mov_b32_e32 v52, 0x7f800001
	s_and_saveexec_b64 s[18:19], vcc
	s_cbranch_execz .LBB666_529
; %bb.528:                              ;   in Loop: Header=BB666_213 Depth=1
	v_and_b32_e32 v44, 7, v42
	v_ffbh_u32_e32 v52, v44
	v_min_u32_e32 v52, 32, v52
	v_subrev_u32_e32 v60, 28, v52
	v_lshlrev_b64 v[60:61], v60, v[42:43]
	v_lshrrev_b32_e32 v46, 3, v41
	v_sub_u32_e32 v52, 29, v52
	v_and_b32_e32 v60, 7, v60
	v_cmp_gt_u32_e32 vcc, 8, v41
	v_cndmask_b32_e32 v41, v46, v52, vcc
	v_cndmask_b32_e32 v44, v44, v60, vcc
	v_lshlrev_b32_e32 v46, 24, v42
	v_lshlrev_b32_e32 v44, 20, v44
	v_and_b32_e32 v46, 0x80000000, v46
	v_lshl_add_u32 v41, v41, 23, v48
	v_or3_b32 v52, v46, v41, v44
.LBB666_529:                            ;   in Loop: Header=BB666_213 Depth=1
	s_or_b64 exec, exec, s[18:19]
.LBB666_530:                            ;   in Loop: Header=BB666_213 Depth=1
	s_or_b64 exec, exec, s[16:17]
.LBB666_531:                            ;   in Loop: Header=BB666_213 Depth=1
	s_or_b64 exec, exec, s[14:15]
	v_lshrrev_b16_e32 v44, 8, v42
	v_cmp_ne_u16_e32 vcc, 0, v44
	v_mov_b32_e32 v46, 0
	v_mov_b32_e32 v60, 0
	s_and_saveexec_b64 s[14:15], vcc
	s_cbranch_execz .LBB666_537
; %bb.532:                              ;   in Loop: Header=BB666_213 Depth=1
	v_cmp_ne_u16_e32 vcc, s9, v44
	v_bfrev_b32_e32 v60, 1
	s_and_saveexec_b64 s[16:17], vcc
	s_cbranch_execz .LBB666_536
; %bb.533:                              ;   in Loop: Header=BB666_213 Depth=1
	v_and_b32_e32 v41, 0x7f, v44
	v_cmp_ne_u32_e32 vcc, s21, v41
	v_mov_b32_e32 v60, 0x7f800001
	s_and_saveexec_b64 s[18:19], vcc
	s_cbranch_execz .LBB666_535
; %bb.534:                              ;   in Loop: Header=BB666_213 Depth=1
	v_and_b32_e32 v62, 7, v44
	v_ffbh_u32_e32 v60, v62
	v_min_u32_e32 v64, 32, v60
	v_subrev_u32_e32 v60, 28, v64
	v_lshlrev_b64 v[60:61], v60, v[44:45]
	v_lshrrev_b32_e32 v63, 3, v41
	v_sub_u32_e32 v44, 29, v64
	v_and_b32_e32 v60, 7, v60
	v_cmp_gt_u32_e32 vcc, 8, v41
	v_cndmask_b32_e32 v41, v63, v44, vcc
	v_cndmask_b32_e32 v44, v62, v60, vcc
	v_lshlrev_b32_e32 v60, 16, v42
	v_lshlrev_b32_e32 v44, 20, v44
	v_and_b32_e32 v60, 0x80000000, v60
	v_lshl_add_u32 v41, v41, 23, v48
	v_or3_b32 v60, v60, v41, v44
.LBB666_535:                            ;   in Loop: Header=BB666_213 Depth=1
	s_or_b64 exec, exec, s[18:19]
.LBB666_536:                            ;   in Loop: Header=BB666_213 Depth=1
	s_or_b64 exec, exec, s[16:17]
.LBB666_537:                            ;   in Loop: Header=BB666_213 Depth=1
	s_or_b64 exec, exec, s[14:15]
	v_lshrrev_b32_e32 v44, 16, v42
	v_cmp_ne_u16_sdwa s[16:17], v44, v47 src0_sel:BYTE_0 src1_sel:DWORD
	s_and_saveexec_b64 s[14:15], s[16:17]
	s_cbranch_execz .LBB666_543
; %bb.538:                              ;   in Loop: Header=BB666_213 Depth=1
	v_cmp_ne_u16_sdwa s[18:19], v44, s9 src0_sel:BYTE_0 src1_sel:DWORD
	v_bfrev_b32_e32 v46, 1
	s_and_saveexec_b64 s[16:17], s[18:19]
	s_cbranch_execz .LBB666_542
; %bb.539:                              ;   in Loop: Header=BB666_213 Depth=1
	v_bfe_u32 v41, v42, 16, 7
	v_cmp_ne_u32_e32 vcc, s21, v41
	v_mov_b32_e32 v46, 0x7f800001
	s_and_saveexec_b64 s[18:19], vcc
	s_cbranch_execz .LBB666_541
; %bb.540:                              ;   in Loop: Header=BB666_213 Depth=1
	v_and_b32_e32 v46, 7, v44
	v_ffbh_u32_e32 v62, v46
	v_min_u32_e32 v64, 32, v62
	v_subrev_u32_e32 v62, 28, v64
	v_lshlrev_b64 v[62:63], v62, v[44:45]
	v_lshrrev_b32_e32 v61, 3, v41
	v_sub_u32_e32 v63, 29, v64
	v_and_b32_e32 v62, 7, v62
	v_cmp_gt_u32_e32 vcc, 8, v41
	v_cndmask_b32_e32 v41, v61, v63, vcc
	v_cndmask_b32_e32 v46, v46, v62, vcc
	v_lshlrev_b32_e32 v44, 24, v44
	v_lshlrev_b32_e32 v46, 20, v46
	v_and_b32_e32 v44, 0x80000000, v44
	v_lshl_add_u32 v41, v41, 23, v48
	v_or3_b32 v46, v44, v41, v46
.LBB666_541:                            ;   in Loop: Header=BB666_213 Depth=1
	s_or_b64 exec, exec, s[18:19]
.LBB666_542:                            ;   in Loop: Header=BB666_213 Depth=1
	s_or_b64 exec, exec, s[16:17]
.LBB666_543:                            ;   in Loop: Header=BB666_213 Depth=1
	s_or_b64 exec, exec, s[14:15]
	v_cmp_lt_u32_e32 vcc, s22, v42
	v_mov_b32_e32 v41, 0
	v_mov_b32_e32 v61, 0
	s_and_saveexec_b64 s[14:15], vcc
	s_cbranch_execz .LBB666_549
; %bb.544:                              ;   in Loop: Header=BB666_213 Depth=1
	v_lshrrev_b32_e32 v44, 24, v42
	v_cmp_ne_u32_e32 vcc, s9, v44
	v_bfrev_b32_e32 v61, 1
	s_and_saveexec_b64 s[16:17], vcc
	s_cbranch_execz .LBB666_548
; %bb.545:                              ;   in Loop: Header=BB666_213 Depth=1
	v_bfe_u32 v42, v42, 24, 7
	v_cmp_ne_u32_e32 vcc, s21, v42
	v_mov_b32_e32 v61, 0x7f800001
	s_and_saveexec_b64 s[18:19], vcc
	s_cbranch_execz .LBB666_547
; %bb.546:                              ;   in Loop: Header=BB666_213 Depth=1
	v_and_b32_e32 v61, 7, v44
	v_ffbh_u32_e32 v62, v61
	v_min_u32_e32 v65, 32, v62
	v_subrev_u32_e32 v62, 28, v65
	v_lshlrev_b64 v[62:63], v62, v[44:45]
	v_lshrrev_b32_e32 v64, 3, v42
	v_sub_u32_e32 v63, 29, v65
	v_and_b32_e32 v62, 7, v62
	v_cmp_gt_u32_e32 vcc, 8, v42
	v_cndmask_b32_e32 v42, v64, v63, vcc
	v_cndmask_b32_e32 v61, v61, v62, vcc
	v_lshlrev_b32_e32 v44, 24, v44
	v_lshlrev_b32_e32 v61, 20, v61
	v_and_b32_e32 v44, 0x80000000, v44
	v_lshl_add_u32 v42, v42, 23, v48
	v_or3_b32 v61, v44, v42, v61
.LBB666_547:                            ;   in Loop: Header=BB666_213 Depth=1
	s_or_b64 exec, exec, s[18:19]
.LBB666_548:                            ;   in Loop: Header=BB666_213 Depth=1
	s_or_b64 exec, exec, s[16:17]
.LBB666_549:                            ;   in Loop: Header=BB666_213 Depth=1
	s_or_b64 exec, exec, s[14:15]
	v_cvt_pkrtz_f16_f32 v62, v49, v51
	v_cvt_pkrtz_f16_f32 v63, v50, v53
	;; [unrolled: 1-line block ×4, first 2 shown]
	s_waitcnt vmcnt(1)
	v_cmp_ne_u16_sdwa s[16:17], v40, v47 src0_sel:BYTE_0 src1_sel:DWORD
	v_mfma_f32_16x16x16f16 v[34:37], v[62:63], v[26:27], v[34:37]
	v_mfma_f32_16x16x16f16 v[34:37], v[50:51], v[28:29], v[34:37]
	s_and_saveexec_b64 s[14:15], s[16:17]
	s_cbranch_execz .LBB666_555
; %bb.550:                              ;   in Loop: Header=BB666_213 Depth=1
	v_cmp_ne_u16_sdwa s[18:19], v40, s9 src0_sel:BYTE_0 src1_sel:DWORD
	v_bfrev_b32_e32 v41, 1
	s_and_saveexec_b64 s[16:17], s[18:19]
	s_cbranch_execz .LBB666_554
; %bb.551:                              ;   in Loop: Header=BB666_213 Depth=1
	v_and_b32_e32 v42, 0x7f, v40
	v_cmp_ne_u32_e32 vcc, s21, v42
	v_mov_b32_e32 v41, 0x7f800001
	s_and_saveexec_b64 s[18:19], vcc
	s_cbranch_execz .LBB666_553
; %bb.552:                              ;   in Loop: Header=BB666_213 Depth=1
	v_and_b32_e32 v41, 7, v40
	v_ffbh_u32_e32 v46, v41
	v_min_u32_e32 v46, 32, v46
	v_subrev_u32_e32 v49, 28, v46
	v_lshlrev_b64 v[50:51], v49, v[40:41]
	v_lshrrev_b32_e32 v44, 3, v42
	v_sub_u32_e32 v46, 29, v46
	v_and_b32_e32 v49, 7, v50
	v_cmp_gt_u32_e32 vcc, 8, v42
	v_cndmask_b32_e32 v42, v44, v46, vcc
	v_cndmask_b32_e32 v41, v41, v49, vcc
	v_lshlrev_b32_e32 v44, 24, v40
	v_lshlrev_b32_e32 v41, 20, v41
	v_and_b32_e32 v44, 0x80000000, v44
	v_lshl_add_u32 v42, v42, 23, v48
	v_or3_b32 v41, v44, v42, v41
.LBB666_553:                            ;   in Loop: Header=BB666_213 Depth=1
	s_or_b64 exec, exec, s[18:19]
.LBB666_554:                            ;   in Loop: Header=BB666_213 Depth=1
	s_or_b64 exec, exec, s[16:17]
.LBB666_555:                            ;   in Loop: Header=BB666_213 Depth=1
	s_or_b64 exec, exec, s[14:15]
	v_lshrrev_b16_e32 v42, 8, v40
	v_cmp_ne_u16_e32 vcc, 0, v42
	v_mov_b32_e32 v44, 0
	v_mov_b32_e32 v46, 0
	s_and_saveexec_b64 s[14:15], vcc
	s_cbranch_execz .LBB666_561
; %bb.556:                              ;   in Loop: Header=BB666_213 Depth=1
	v_cmp_ne_u16_e32 vcc, s9, v42
	v_bfrev_b32_e32 v46, 1
	s_and_saveexec_b64 s[16:17], vcc
	s_cbranch_execz .LBB666_560
; %bb.557:                              ;   in Loop: Header=BB666_213 Depth=1
	v_and_b32_e32 v49, 0x7f, v42
	v_cmp_ne_u32_e32 vcc, s21, v49
	v_mov_b32_e32 v46, 0x7f800001
	s_and_saveexec_b64 s[18:19], vcc
	s_cbranch_execz .LBB666_559
; %bb.558:                              ;   in Loop: Header=BB666_213 Depth=1
	v_and_b32_e32 v46, 7, v42
	v_ffbh_u32_e32 v50, v46
	v_min_u32_e32 v53, 32, v50
	v_subrev_u32_e32 v50, 28, v53
	v_lshlrev_b64 v[50:51], v50, v[42:43]
	v_lshrrev_b32_e32 v52, 3, v49
	v_sub_u32_e32 v42, 29, v53
	v_and_b32_e32 v50, 7, v50
	v_cmp_gt_u32_e32 vcc, 8, v49
	v_cndmask_b32_e32 v42, v52, v42, vcc
	v_cndmask_b32_e32 v46, v46, v50, vcc
	v_lshlrev_b32_e32 v49, 16, v40
	v_lshlrev_b32_e32 v46, 20, v46
	v_and_b32_e32 v49, 0x80000000, v49
	v_lshl_add_u32 v42, v42, 23, v48
	v_or3_b32 v46, v49, v42, v46
.LBB666_559:                            ;   in Loop: Header=BB666_213 Depth=1
	s_or_b64 exec, exec, s[18:19]
.LBB666_560:                            ;   in Loop: Header=BB666_213 Depth=1
	s_or_b64 exec, exec, s[16:17]
.LBB666_561:                            ;   in Loop: Header=BB666_213 Depth=1
	s_or_b64 exec, exec, s[14:15]
	v_lshrrev_b32_e32 v42, 16, v40
	v_cmp_ne_u16_sdwa s[16:17], v42, v47 src0_sel:BYTE_0 src1_sel:DWORD
	s_and_saveexec_b64 s[14:15], s[16:17]
	s_cbranch_execz .LBB666_567
; %bb.562:                              ;   in Loop: Header=BB666_213 Depth=1
	v_cmp_ne_u16_sdwa s[18:19], v42, s9 src0_sel:BYTE_0 src1_sel:DWORD
	v_bfrev_b32_e32 v44, 1
	s_and_saveexec_b64 s[16:17], s[18:19]
	s_cbranch_execz .LBB666_566
; %bb.563:                              ;   in Loop: Header=BB666_213 Depth=1
	v_bfe_u32 v49, v40, 16, 7
	v_cmp_ne_u32_e32 vcc, s21, v49
	v_mov_b32_e32 v44, 0x7f800001
	s_and_saveexec_b64 s[18:19], vcc
	s_cbranch_execz .LBB666_565
; %bb.564:                              ;   in Loop: Header=BB666_213 Depth=1
	v_and_b32_e32 v44, 7, v42
	v_ffbh_u32_e32 v50, v44
	v_min_u32_e32 v53, 32, v50
	v_subrev_u32_e32 v50, 28, v53
	v_lshlrev_b64 v[50:51], v50, v[42:43]
	v_lshrrev_b32_e32 v52, 3, v49
	v_sub_u32_e32 v51, 29, v53
	v_and_b32_e32 v50, 7, v50
	v_cmp_gt_u32_e32 vcc, 8, v49
	v_cndmask_b32_e32 v49, v52, v51, vcc
	v_cndmask_b32_e32 v44, v44, v50, vcc
	v_lshlrev_b32_e32 v42, 24, v42
	v_lshlrev_b32_e32 v44, 20, v44
	v_and_b32_e32 v42, 0x80000000, v42
	v_lshl_add_u32 v49, v49, 23, v48
	v_or3_b32 v44, v42, v49, v44
.LBB666_565:                            ;   in Loop: Header=BB666_213 Depth=1
	s_or_b64 exec, exec, s[18:19]
.LBB666_566:                            ;   in Loop: Header=BB666_213 Depth=1
	s_or_b64 exec, exec, s[16:17]
.LBB666_567:                            ;   in Loop: Header=BB666_213 Depth=1
	s_or_b64 exec, exec, s[14:15]
	v_cmp_lt_u32_e32 vcc, s22, v40
	v_mov_b32_e32 v49, 0
	v_mov_b32_e32 v50, 0
	s_and_saveexec_b64 s[14:15], vcc
	s_cbranch_execz .LBB666_573
; %bb.568:                              ;   in Loop: Header=BB666_213 Depth=1
	v_lshrrev_b32_e32 v42, 24, v40
	v_cmp_ne_u32_e32 vcc, s9, v42
	v_bfrev_b32_e32 v50, 1
	s_and_saveexec_b64 s[16:17], vcc
	s_cbranch_execz .LBB666_572
; %bb.569:                              ;   in Loop: Header=BB666_213 Depth=1
	v_bfe_u32 v40, v40, 24, 7
	v_cmp_ne_u32_e32 vcc, s21, v40
	v_mov_b32_e32 v50, 0x7f800001
	s_and_saveexec_b64 s[18:19], vcc
	s_cbranch_execz .LBB666_571
; %bb.570:                              ;   in Loop: Header=BB666_213 Depth=1
	v_and_b32_e32 v52, 7, v42
	v_ffbh_u32_e32 v50, v52
	v_min_u32_e32 v60, 32, v50
	v_subrev_u32_e32 v50, 28, v60
	v_lshlrev_b64 v[50:51], v50, v[42:43]
	v_lshrrev_b32_e32 v53, 3, v40
	v_sub_u32_e32 v51, 29, v60
	v_and_b32_e32 v50, 7, v50
	v_cmp_gt_u32_e32 vcc, 8, v40
	v_cndmask_b32_e32 v40, v53, v51, vcc
	v_cndmask_b32_e32 v50, v52, v50, vcc
	v_lshlrev_b32_e32 v42, 24, v42
	v_lshlrev_b32_e32 v50, 20, v50
	v_and_b32_e32 v42, 0x80000000, v42
	v_lshl_add_u32 v40, v40, 23, v48
	v_or3_b32 v50, v42, v40, v50
.LBB666_571:                            ;   in Loop: Header=BB666_213 Depth=1
	s_or_b64 exec, exec, s[18:19]
.LBB666_572:                            ;   in Loop: Header=BB666_213 Depth=1
	s_or_b64 exec, exec, s[16:17]
.LBB666_573:                            ;   in Loop: Header=BB666_213 Depth=1
	s_or_b64 exec, exec, s[14:15]
	s_waitcnt vmcnt(0)
	v_cmp_ne_u16_sdwa s[16:17], v38, v47 src0_sel:BYTE_0 src1_sel:DWORD
	s_and_saveexec_b64 s[14:15], s[16:17]
	s_cbranch_execz .LBB666_579
; %bb.574:                              ;   in Loop: Header=BB666_213 Depth=1
	v_cmp_ne_u16_sdwa s[18:19], v38, s9 src0_sel:BYTE_0 src1_sel:DWORD
	v_bfrev_b32_e32 v49, 1
	s_and_saveexec_b64 s[16:17], s[18:19]
	s_cbranch_execz .LBB666_578
; %bb.575:                              ;   in Loop: Header=BB666_213 Depth=1
	v_and_b32_e32 v40, 0x7f, v38
	v_cmp_ne_u32_e32 vcc, s21, v40
	v_mov_b32_e32 v49, 0x7f800001
	s_and_saveexec_b64 s[18:19], vcc
	s_cbranch_execz .LBB666_577
; %bb.576:                              ;   in Loop: Header=BB666_213 Depth=1
	v_and_b32_e32 v42, 7, v38
	v_ffbh_u32_e32 v51, v42
	v_min_u32_e32 v51, 32, v51
	v_subrev_u32_e32 v52, 28, v51
	v_lshlrev_b64 v[52:53], v52, v[38:39]
	v_lshrrev_b32_e32 v49, 3, v40
	v_sub_u32_e32 v51, 29, v51
	v_and_b32_e32 v52, 7, v52
	v_cmp_gt_u32_e32 vcc, 8, v40
	v_cndmask_b32_e32 v40, v49, v51, vcc
	v_cndmask_b32_e32 v42, v42, v52, vcc
	v_lshlrev_b32_e32 v49, 24, v38
	v_lshlrev_b32_e32 v42, 20, v42
	v_and_b32_e32 v49, 0x80000000, v49
	v_lshl_add_u32 v40, v40, 23, v48
	v_or3_b32 v49, v49, v40, v42
.LBB666_577:                            ;   in Loop: Header=BB666_213 Depth=1
	s_or_b64 exec, exec, s[18:19]
.LBB666_578:                            ;   in Loop: Header=BB666_213 Depth=1
	s_or_b64 exec, exec, s[16:17]
.LBB666_579:                            ;   in Loop: Header=BB666_213 Depth=1
	s_or_b64 exec, exec, s[14:15]
	v_lshrrev_b16_e32 v40, 8, v38
	v_cmp_ne_u16_e32 vcc, 0, v40
	v_mov_b32_e32 v42, 0
	v_mov_b32_e32 v51, 0
	s_and_saveexec_b64 s[14:15], vcc
	s_cbranch_execz .LBB666_585
; %bb.580:                              ;   in Loop: Header=BB666_213 Depth=1
	v_cmp_ne_u16_e32 vcc, s9, v40
	v_bfrev_b32_e32 v51, 1
	s_and_saveexec_b64 s[16:17], vcc
	s_cbranch_execz .LBB666_584
; %bb.581:                              ;   in Loop: Header=BB666_213 Depth=1
	v_and_b32_e32 v52, 0x7f, v40
	v_cmp_ne_u32_e32 vcc, s21, v52
	v_mov_b32_e32 v51, 0x7f800001
	s_and_saveexec_b64 s[18:19], vcc
	s_cbranch_execz .LBB666_583
; %bb.582:                              ;   in Loop: Header=BB666_213 Depth=1
	v_and_b32_e32 v51, 7, v40
	v_ffbh_u32_e32 v60, v51
	v_min_u32_e32 v62, 32, v60
	v_subrev_u32_e32 v60, 28, v62
	v_lshlrev_b64 v[60:61], v60, v[40:41]
	v_lshrrev_b32_e32 v53, 3, v52
	v_sub_u32_e32 v40, 29, v62
	v_and_b32_e32 v60, 7, v60
	v_cmp_gt_u32_e32 vcc, 8, v52
	v_cndmask_b32_e32 v40, v53, v40, vcc
	v_cndmask_b32_e32 v51, v51, v60, vcc
	v_lshlrev_b32_e32 v52, 16, v38
	v_lshlrev_b32_e32 v51, 20, v51
	v_and_b32_e32 v52, 0x80000000, v52
	v_lshl_add_u32 v40, v40, 23, v48
	v_or3_b32 v51, v52, v40, v51
.LBB666_583:                            ;   in Loop: Header=BB666_213 Depth=1
	s_or_b64 exec, exec, s[18:19]
.LBB666_584:                            ;   in Loop: Header=BB666_213 Depth=1
	s_or_b64 exec, exec, s[16:17]
.LBB666_585:                            ;   in Loop: Header=BB666_213 Depth=1
	s_or_b64 exec, exec, s[14:15]
	v_lshrrev_b32_e32 v40, 16, v38
	v_cmp_ne_u16_sdwa s[16:17], v40, v47 src0_sel:BYTE_0 src1_sel:DWORD
	s_and_saveexec_b64 s[14:15], s[16:17]
	s_cbranch_execz .LBB666_591
; %bb.586:                              ;   in Loop: Header=BB666_213 Depth=1
	v_cmp_ne_u16_sdwa s[18:19], v40, s9 src0_sel:BYTE_0 src1_sel:DWORD
	v_bfrev_b32_e32 v42, 1
	s_and_saveexec_b64 s[16:17], s[18:19]
	s_cbranch_execz .LBB666_590
; %bb.587:                              ;   in Loop: Header=BB666_213 Depth=1
	v_bfe_u32 v52, v38, 16, 7
	v_cmp_ne_u32_e32 vcc, s21, v52
	v_mov_b32_e32 v42, 0x7f800001
	s_and_saveexec_b64 s[18:19], vcc
	s_cbranch_execz .LBB666_589
; %bb.588:                              ;   in Loop: Header=BB666_213 Depth=1
	v_and_b32_e32 v42, 7, v40
	v_ffbh_u32_e32 v60, v42
	v_min_u32_e32 v62, 32, v60
	v_subrev_u32_e32 v60, 28, v62
	v_lshlrev_b64 v[60:61], v60, v[40:41]
	v_lshrrev_b32_e32 v53, 3, v52
	v_sub_u32_e32 v61, 29, v62
	v_and_b32_e32 v60, 7, v60
	v_cmp_gt_u32_e32 vcc, 8, v52
	v_cndmask_b32_e32 v52, v53, v61, vcc
	v_cndmask_b32_e32 v42, v42, v60, vcc
	v_lshlrev_b32_e32 v40, 24, v40
	v_lshlrev_b32_e32 v42, 20, v42
	v_and_b32_e32 v40, 0x80000000, v40
	v_lshl_add_u32 v52, v52, 23, v48
	v_or3_b32 v42, v40, v52, v42
.LBB666_589:                            ;   in Loop: Header=BB666_213 Depth=1
	s_or_b64 exec, exec, s[18:19]
.LBB666_590:                            ;   in Loop: Header=BB666_213 Depth=1
	s_or_b64 exec, exec, s[16:17]
.LBB666_591:                            ;   in Loop: Header=BB666_213 Depth=1
	s_or_b64 exec, exec, s[14:15]
	v_cmp_lt_u32_e32 vcc, s22, v38
	v_mov_b32_e32 v52, 0
	s_and_saveexec_b64 s[14:15], vcc
	s_cbranch_execz .LBB666_212
; %bb.592:                              ;   in Loop: Header=BB666_213 Depth=1
	v_lshrrev_b32_e32 v40, 24, v38
	v_cmp_ne_u32_e32 vcc, s9, v40
	v_bfrev_b32_e32 v52, 1
	s_and_saveexec_b64 s[16:17], vcc
	s_cbranch_execz .LBB666_211
; %bb.593:                              ;   in Loop: Header=BB666_213 Depth=1
	v_bfe_u32 v38, v38, 24, 7
	v_cmp_ne_u32_e32 vcc, s21, v38
	v_mov_b32_e32 v52, 0x7f800001
	s_and_saveexec_b64 s[18:19], vcc
	s_cbranch_execz .LBB666_210
; %bb.594:                              ;   in Loop: Header=BB666_213 Depth=1
	v_and_b32_e32 v60, 7, v40
	v_ffbh_u32_e32 v52, v60
	v_min_u32_e32 v62, 32, v52
	v_subrev_u32_e32 v52, 28, v62
	v_lshlrev_b64 v[52:53], v52, v[40:41]
	v_lshrrev_b32_e32 v61, 3, v38
	v_sub_u32_e32 v53, 29, v62
	v_and_b32_e32 v52, 7, v52
	v_cmp_gt_u32_e32 vcc, 8, v38
	v_cndmask_b32_e32 v38, v61, v53, vcc
	v_cndmask_b32_e32 v52, v60, v52, vcc
	v_lshlrev_b32_e32 v40, 24, v40
	v_lshlrev_b32_e32 v52, 20, v52
	v_and_b32_e32 v40, 0x80000000, v40
	v_lshl_add_u32 v38, v38, 23, v48
	v_or3_b32 v52, v40, v38, v52
	s_branch .LBB666_210
.LBB666_595:
	s_barrier
	buffer_load_dword v2, off, s[0:3], 0 offset:320
	buffer_load_dword v5, off, s[0:3], 0 offset:332
	;; [unrolled: 1-line block ×4, first 2 shown]
	v_cmp_gt_u32_e32 vcc, 64, v0
	s_waitcnt vmcnt(0)
	ds_write2st64_b64 v43, v[2:3], v[4:5] offset1:1
	s_waitcnt lgkmcnt(0)
	s_barrier
	s_and_saveexec_b64 s[6:7], vcc
	s_cbranch_execz .LBB666_598
; %bb.596:
	s_lshl_b32 s6, s50, 7
	s_mul_i32 s7, s20, s8
	s_mul_hi_u32 s11, s7, s6
	s_mul_i32 s10, s7, s6
	s_lshl_b64 s[10:11], s[10:11], 1
	v_lshlrev_b32_e32 v4, 6, v55
	s_add_u32 s7, s48, s10
	v_lshl_or_b32 v0, v0, 10, v4
	s_mov_b32 s9, 0
	s_addc_u32 s10, s49, s11
	s_lshl_b32 s8, s24, 7
	v_lshlrev_b32_e32 v2, 5, v1
	v_and_b32_e32 v3, 16, v56
	v_and_b32_e32 v0, 0x1a00, v0
	s_lshl_b64 s[8:9], s[8:9], 1
	v_or3_b32 v0, v0, v2, v3
	s_add_u32 s7, s7, s8
	ds_read_b128 v[4:7], v0 offset:256
	s_addc_u32 s8, s10, s9
	ds_read_b128 v[8:11], v0 offset:128
	ds_read_b128 v[12:15], v0
	v_add_u32_e32 v18, s25, v1
	v_mov_b32_e32 v3, s8
	v_add_co_u32_e32 v2, vcc, s7, v54
	v_mad_u64_u32 v[16:17], s[8:9], v18, s6, 0
	v_addc_co_u32_e32 v3, vcc, 0, v3, vcc
	v_lshlrev_b64 v[16:17], 1, v[16:17]
	v_add_co_u32_e32 v16, vcc, v2, v16
	v_addc_co_u32_e32 v17, vcc, v3, v17, vcc
	s_waitcnt lgkmcnt(0)
	global_store_dwordx4 v[16:17], v[12:15], off
	s_nop 0
	v_add_u32_e32 v12, 4, v18
	v_mad_u64_u32 v[12:13], s[8:9], v12, s6, 0
	v_lshlrev_b64 v[12:13], 1, v[12:13]
	v_add_co_u32_e32 v12, vcc, v2, v12
	v_addc_co_u32_e32 v13, vcc, v3, v13, vcc
	global_store_dwordx4 v[12:13], v[8:11], off
	s_nop 0
	v_add_u32_e32 v8, 8, v18
	v_mad_u64_u32 v[8:9], s[8:9], v8, s6, 0
	v_lshlrev_b64 v[8:9], 1, v[8:9]
	v_add_co_u32_e32 v8, vcc, v2, v8
	v_addc_co_u32_e32 v9, vcc, v3, v9, vcc
	global_store_dwordx4 v[8:9], v[4:7], off
	s_and_b64 exec, exec, s[4:5]
	s_cbranch_execz .LBB666_598
; %bb.597:
	ds_read_b128 v[4:7], v0 offset:384
	v_add3_u32 v0, s25, v1, 12
	v_mad_u64_u32 v[0:1], s[4:5], v0, s6, 0
	v_lshlrev_b64 v[0:1], 1, v[0:1]
	v_add_co_u32_e32 v0, vcc, v2, v0
	v_addc_co_u32_e32 v1, vcc, v3, v1, vcc
	s_waitcnt lgkmcnt(0)
	global_store_dwordx4 v[0:1], v[4:7], off
.LBB666_598:
	s_endpgm
	.section	.rodata,"a",@progbits
	.p2align	6, 0x0
	.amdhsa_kernel _Z39paged_attention_ll4mi_QKV_mfma16_kernelIDF16_hLN4vllm18Fp8KVCacheDataTypeE1EDF16_Li32ELi128ELi256ELb0ELi13EL8MFMAType0EEvPKT_PKT0_S8_ifPKiSA_SA_iPKfiiiPfSD_PS3_PT2_iSC_SC_
		.amdhsa_group_segment_fixed_size 8192
		.amdhsa_private_segment_fixed_size 352
		.amdhsa_kernarg_size 400
		.amdhsa_user_sgpr_count 8
		.amdhsa_user_sgpr_private_segment_buffer 1
		.amdhsa_user_sgpr_dispatch_ptr 0
		.amdhsa_user_sgpr_queue_ptr 0
		.amdhsa_user_sgpr_kernarg_segment_ptr 1
		.amdhsa_user_sgpr_dispatch_id 0
		.amdhsa_user_sgpr_flat_scratch_init 1
		.amdhsa_user_sgpr_kernarg_preload_length 0
		.amdhsa_user_sgpr_kernarg_preload_offset 0
		.amdhsa_user_sgpr_private_segment_size 0
		.amdhsa_uses_dynamic_stack 0
		.amdhsa_system_sgpr_private_segment_wavefront_offset 1
		.amdhsa_system_sgpr_workgroup_id_x 1
		.amdhsa_system_sgpr_workgroup_id_y 1
		.amdhsa_system_sgpr_workgroup_id_z 1
		.amdhsa_system_sgpr_workgroup_info 0
		.amdhsa_system_vgpr_workitem_id 0
		.amdhsa_next_free_vgpr 78
		.amdhsa_next_free_sgpr 53
		.amdhsa_accum_offset 80
		.amdhsa_reserve_vcc 1
		.amdhsa_reserve_flat_scratch 0
		.amdhsa_float_round_mode_32 0
		.amdhsa_float_round_mode_16_64 0
		.amdhsa_float_denorm_mode_32 3
		.amdhsa_float_denorm_mode_16_64 3
		.amdhsa_dx10_clamp 1
		.amdhsa_ieee_mode 1
		.amdhsa_fp16_overflow 0
		.amdhsa_tg_split 0
		.amdhsa_exception_fp_ieee_invalid_op 0
		.amdhsa_exception_fp_denorm_src 0
		.amdhsa_exception_fp_ieee_div_zero 0
		.amdhsa_exception_fp_ieee_overflow 0
		.amdhsa_exception_fp_ieee_underflow 0
		.amdhsa_exception_fp_ieee_inexact 0
		.amdhsa_exception_int_div_zero 0
	.end_amdhsa_kernel
	.section	.text._Z39paged_attention_ll4mi_QKV_mfma16_kernelIDF16_hLN4vllm18Fp8KVCacheDataTypeE1EDF16_Li32ELi128ELi256ELb0ELi13EL8MFMAType0EEvPKT_PKT0_S8_ifPKiSA_SA_iPKfiiiPfSD_PS3_PT2_iSC_SC_,"axG",@progbits,_Z39paged_attention_ll4mi_QKV_mfma16_kernelIDF16_hLN4vllm18Fp8KVCacheDataTypeE1EDF16_Li32ELi128ELi256ELb0ELi13EL8MFMAType0EEvPKT_PKT0_S8_ifPKiSA_SA_iPKfiiiPfSD_PS3_PT2_iSC_SC_,comdat
.Lfunc_end666:
	.size	_Z39paged_attention_ll4mi_QKV_mfma16_kernelIDF16_hLN4vllm18Fp8KVCacheDataTypeE1EDF16_Li32ELi128ELi256ELb0ELi13EL8MFMAType0EEvPKT_PKT0_S8_ifPKiSA_SA_iPKfiiiPfSD_PS3_PT2_iSC_SC_, .Lfunc_end666-_Z39paged_attention_ll4mi_QKV_mfma16_kernelIDF16_hLN4vllm18Fp8KVCacheDataTypeE1EDF16_Li32ELi128ELi256ELb0ELi13EL8MFMAType0EEvPKT_PKT0_S8_ifPKiSA_SA_iPKfiiiPfSD_PS3_PT2_iSC_SC_
                                        ; -- End function
	.section	.AMDGPU.csdata,"",@progbits
; Kernel info:
; codeLenInByte = 21308
; NumSgprs: 57
; NumVgprs: 78
; NumAgprs: 0
; TotalNumVgprs: 78
; ScratchSize: 352
; MemoryBound: 0
; FloatMode: 240
; IeeeMode: 1
; LDSByteSize: 8192 bytes/workgroup (compile time only)
; SGPRBlocks: 7
; VGPRBlocks: 9
; NumSGPRsForWavesPerEU: 57
; NumVGPRsForWavesPerEU: 78
; AccumOffset: 80
; Occupancy: 6
; WaveLimiterHint : 1
; COMPUTE_PGM_RSRC2:SCRATCH_EN: 1
; COMPUTE_PGM_RSRC2:USER_SGPR: 8
; COMPUTE_PGM_RSRC2:TRAP_HANDLER: 0
; COMPUTE_PGM_RSRC2:TGID_X_EN: 1
; COMPUTE_PGM_RSRC2:TGID_Y_EN: 1
; COMPUTE_PGM_RSRC2:TGID_Z_EN: 1
; COMPUTE_PGM_RSRC2:TIDIG_COMP_CNT: 0
; COMPUTE_PGM_RSRC3_GFX90A:ACCUM_OFFSET: 19
; COMPUTE_PGM_RSRC3_GFX90A:TG_SPLIT: 0
	.section	.text._Z39paged_attention_ll4mi_QKV_mfma16_kernelIDF16_hLN4vllm18Fp8KVCacheDataTypeE1EDF16_Li32ELi128ELi256ELb0ELi14EL8MFMAType0EEvPKT_PKT0_S8_ifPKiSA_SA_iPKfiiiPfSD_PS3_PT2_iSC_SC_,"axG",@progbits,_Z39paged_attention_ll4mi_QKV_mfma16_kernelIDF16_hLN4vllm18Fp8KVCacheDataTypeE1EDF16_Li32ELi128ELi256ELb0ELi14EL8MFMAType0EEvPKT_PKT0_S8_ifPKiSA_SA_iPKfiiiPfSD_PS3_PT2_iSC_SC_,comdat
	.protected	_Z39paged_attention_ll4mi_QKV_mfma16_kernelIDF16_hLN4vllm18Fp8KVCacheDataTypeE1EDF16_Li32ELi128ELi256ELb0ELi14EL8MFMAType0EEvPKT_PKT0_S8_ifPKiSA_SA_iPKfiiiPfSD_PS3_PT2_iSC_SC_ ; -- Begin function _Z39paged_attention_ll4mi_QKV_mfma16_kernelIDF16_hLN4vllm18Fp8KVCacheDataTypeE1EDF16_Li32ELi128ELi256ELb0ELi14EL8MFMAType0EEvPKT_PKT0_S8_ifPKiSA_SA_iPKfiiiPfSD_PS3_PT2_iSC_SC_
	.globl	_Z39paged_attention_ll4mi_QKV_mfma16_kernelIDF16_hLN4vllm18Fp8KVCacheDataTypeE1EDF16_Li32ELi128ELi256ELb0ELi14EL8MFMAType0EEvPKT_PKT0_S8_ifPKiSA_SA_iPKfiiiPfSD_PS3_PT2_iSC_SC_
	.p2align	8
	.type	_Z39paged_attention_ll4mi_QKV_mfma16_kernelIDF16_hLN4vllm18Fp8KVCacheDataTypeE1EDF16_Li32ELi128ELi256ELb0ELi14EL8MFMAType0EEvPKT_PKT0_S8_ifPKiSA_SA_iPKfiiiPfSD_PS3_PT2_iSC_SC_,@function
_Z39paged_attention_ll4mi_QKV_mfma16_kernelIDF16_hLN4vllm18Fp8KVCacheDataTypeE1EDF16_Li32ELi128ELi256ELb0ELi14EL8MFMAType0EEvPKT_PKT0_S8_ifPKiSA_SA_iPKfiiiPfSD_PS3_PT2_iSC_SC_: ; @_Z39paged_attention_ll4mi_QKV_mfma16_kernelIDF16_hLN4vllm18Fp8KVCacheDataTypeE1EDF16_Li32ELi128ELi256ELb0ELi14EL8MFMAType0EEvPKT_PKT0_S8_ifPKiSA_SA_iPKfiiiPfSD_PS3_PT2_iSC_SC_
; %bb.0:
	s_load_dwordx2 s[6:7], s[4:5], 0x30
	s_add_u32 s0, s0, s11
	s_addc_u32 s1, s1, 0
	s_mov_b32 s24, s9
	s_mov_b64 s[12:13], 0
	s_waitcnt lgkmcnt(0)
	s_cmp_lg_u64 s[6:7], 0
	s_cselect_b64 s[16:17], -1, 0
	s_and_b64 vcc, exec, s[16:17]
	s_cbranch_vccz .LBB667_7
; %bb.1:
	s_add_i32 s14, s8, 1
	s_mov_b32 s15, 0
	s_lshl_b64 s[18:19], s[14:15], 2
	s_add_u32 s18, s6, s18
	s_mov_b32 s9, s15
	s_addc_u32 s19, s7, s19
	s_lshl_b64 s[14:15], s[8:9], 2
	s_add_u32 s14, s6, s14
	s_addc_u32 s15, s7, s15
	s_load_dword s11, s[18:19], 0x0
	s_load_dword s20, s[14:15], 0x0
	s_waitcnt lgkmcnt(0)
	s_sub_i32 s11, s11, s20
	s_cmp_eq_u32 s11, 1
	s_cselect_b64 s[14:15], -1, 0
	s_andn2_b64 vcc, exec, s[12:13]
	s_cbranch_vccnz .LBB667_3
.LBB667_2:
	s_mov_b32 s9, 0
	s_mov_b64 s[14:15], -1
.LBB667_3:
	s_andn2_b64 vcc, exec, s[14:15]
	s_cbranch_vccnz .LBB667_598
; %bb.4:
	s_load_dwordx2 s[12:13], s[4:5], 0x28
	s_lshl_b64 s[18:19], s[8:9], 2
	s_waitcnt lgkmcnt(0)
	s_add_u32 s12, s12, s18
	s_addc_u32 s13, s13, s19
	s_load_dword s33, s[12:13], 0x0
	s_lshl_b32 s20, s24, 8
	s_waitcnt lgkmcnt(0)
	s_cmp_ge_i32 s20, s33
	s_cbranch_scc1 .LBB667_598
; %bb.5:
	s_add_i32 s14, s33, 31
	s_load_dwordx2 s[12:13], s[4:5], 0x20
	s_load_dword s11, s[4:5], 0x38
	s_ashr_i32 s15, s14, 31
	v_and_b32_e32 v1, 0xcf, v0
	s_lshr_b32 s15, s15, 27
	v_add_u32_e32 v1, s20, v1
	s_add_i32 s14, s14, s15
	v_ashrrev_i32_e32 v2, 31, v1
	s_ashr_i32 s22, s14, 5
	v_lshrrev_b32_e32 v10, 27, v2
	s_add_i32 s22, s22, -1
	v_add_u32_e32 v2, v1, v10
	s_waitcnt lgkmcnt(0)
	s_mul_i32 s14, s8, s11
	s_mov_b32 s15, 0
	v_ashrrev_i32_e32 v2, 5, v2
	v_mov_b32_e32 v11, s22
	v_cmp_gt_i32_e32 vcc, s33, v1
	s_lshl_b64 s[14:15], s[14:15], 2
	v_cndmask_b32_e32 v2, v11, v2, vcc
	s_add_u32 s11, s12, s14
	v_ashrrev_i32_e32 v3, 31, v2
	s_addc_u32 s21, s13, s15
	v_lshlrev_b64 v[2:3], 2, v[2:3]
	v_mov_b32_e32 v5, s21
	v_add_co_u32_e32 v4, vcc, s11, v2
	v_or_b32_e32 v2, 16, v1
	v_addc_co_u32_e32 v5, vcc, v5, v3, vcc
	v_add_u32_e32 v3, v2, v10
	v_ashrrev_i32_e32 v3, 5, v3
	v_cmp_gt_i32_e32 vcc, s33, v2
	v_cndmask_b32_e32 v2, v11, v3, vcc
	v_ashrrev_i32_e32 v3, 31, v2
	v_lshlrev_b64 v[2:3], 2, v[2:3]
	v_mov_b32_e32 v7, s21
	v_add_co_u32_e32 v6, vcc, s11, v2
	v_or_b32_e32 v2, 32, v1
	v_addc_co_u32_e32 v7, vcc, v7, v3, vcc
	v_add_u32_e32 v3, v2, v10
	v_ashrrev_i32_e32 v3, 5, v3
	v_cmp_gt_i32_e32 vcc, s33, v2
	v_cndmask_b32_e32 v2, v11, v3, vcc
	v_ashrrev_i32_e32 v3, 31, v2
	;; [unrolled: 10-line block ×3, first 2 shown]
	v_lshlrev_b64 v[2:3], 2, v[2:3]
	v_mov_b32_e32 v1, s21
	v_add_co_u32_e32 v12, vcc, s11, v2
	v_addc_co_u32_e32 v13, vcc, v1, v3, vcc
	global_load_dword v2, v[4:5], off
	global_load_dword v10, v[6:7], off
	;; [unrolled: 1-line block ×4, first 2 shown]
	s_load_dwordx4 s[12:15], s[4:5], 0x8
	s_andn2_b64 vcc, exec, s[16:17]
	s_cbranch_vccnz .LBB667_8
; %bb.6:
	s_add_u32 s6, s6, s18
	s_addc_u32 s7, s7, s19
	s_load_dword s16, s[6:7], 0x0
	s_branch .LBB667_9
.LBB667_7:
	s_mov_b64 s[14:15], 0
	s_branch .LBB667_2
.LBB667_8:
	s_mov_b32 s16, s8
.LBB667_9:
	s_load_dwordx2 s[48:49], s[4:5], 0x68
	s_load_dwordx8 s[40:47], s[4:5], 0x48
	v_lshrrev_b32_e32 v62, 6, v0
	v_bfe_u32 v1, v0, 4, 2
	v_and_b32_e32 v55, 15, v0
	v_lshl_or_b32 v3, v62, 2, v1
	v_lshlrev_b32_e32 v4, 3, v55
	s_mul_i32 s25, s10, 14
	v_cmp_gt_u32_e32 vcc, 14, v3
	v_lshlrev_b32_e32 v54, 1, v4
	v_lshlrev_b32_e32 v56, 4, v0
	s_and_saveexec_b64 s[6:7], vcc
	s_cbranch_execz .LBB667_11
; %bb.10:
	s_load_dwordx2 s[18:19], s[4:5], 0x0
	s_waitcnt lgkmcnt(0)
	s_ashr_i32 s17, s40, 31
	s_mul_hi_u32 s23, s16, s40
	s_mul_i32 s17, s16, s17
	s_add_i32 s17, s23, s17
	s_mul_i32 s16, s16, s40
	s_lshl_b64 s[16:17], s[16:17], 1
	v_add_lshl_u32 v4, v3, s25, 7
	s_add_u32 s16, s18, s16
	v_ashrrev_i32_e32 v5, 31, v4
	s_addc_u32 s17, s19, s17
	v_lshlrev_b64 v[4:5], 1, v[4:5]
	v_mov_b32_e32 v6, s17
	v_add_co_u32_e32 v4, vcc, s16, v4
	v_addc_co_u32_e32 v5, vcc, v6, v5, vcc
	v_add_co_u32_e32 v4, vcc, v4, v54
	v_addc_co_u32_e32 v5, vcc, 0, v5, vcc
	global_load_dwordx4 v[4:7], v[4:5], off
	v_lshlrev_b32_e32 v9, 8, v0
	v_lshlrev_b32_e32 v8, 8, v55
	v_and_b32_e32 v9, 0x600, v9
	s_movk_i32 s16, 0x800
	v_and_or_b32 v8, v8, s16, v9
	v_lshlrev_b32_e32 v3, 5, v3
	v_and_b32_e32 v9, 16, v56
	v_or3_b32 v3, v8, v3, v9
	s_waitcnt vmcnt(0)
	ds_write_b128 v3, v[4:7]
.LBB667_11:
	s_or_b64 exec, exec, s[6:7]
	s_waitcnt lgkmcnt(0)
	s_mul_i32 s10, s10, s42
	s_add_u32 s6, s12, s10
	s_addc_u32 s7, s13, 0
	v_and_b32_e32 v3, 48, v0
	v_pk_mov_b32 v[22:23], s[6:7], s[6:7] op_sel:[0,1]
	s_ashr_i32 s6, s20, 31
	v_lshlrev_b32_e32 v25, 5, v3
	v_or_b32_e32 v3, s20, v3
	s_lshr_b32 s6, s6, 27
	v_add_u32_e32 v4, s6, v3
	v_ashrrev_i32_e32 v4, 5, v4
	v_mov_b32_e32 v11, s22
	v_cmp_gt_i32_e32 vcc, s33, v3
	v_cndmask_b32_e32 v4, v11, v4, vcc
	v_ashrrev_i32_e32 v5, 31, v4
	v_lshlrev_b64 v[4:5], 2, v[4:5]
	v_mov_b32_e32 v6, s21
	v_add_co_u32_e32 v4, vcc, s11, v4
	v_addc_co_u32_e32 v5, vcc, v6, v5, vcc
	v_or_b32_e32 v6, 64, v3
	v_add_u32_e32 v7, s6, v6
	v_ashrrev_i32_e32 v7, 5, v7
	v_cmp_gt_i32_e32 vcc, s33, v6
	v_cndmask_b32_e32 v6, v11, v7, vcc
	v_ashrrev_i32_e32 v7, 31, v6
	v_lshlrev_b64 v[6:7], 2, v[6:7]
	v_mov_b32_e32 v8, s21
	v_add_co_u32_e32 v6, vcc, s11, v6
	v_addc_co_u32_e32 v7, vcc, v8, v7, vcc
	v_or_b32_e32 v8, 0x80, v3
	v_add_u32_e32 v9, s6, v8
	v_ashrrev_i32_e32 v9, 5, v9
	v_cmp_gt_i32_e32 vcc, s33, v8
	v_cndmask_b32_e32 v8, v11, v9, vcc
	v_ashrrev_i32_e32 v9, 31, v8
	v_lshlrev_b64 v[8:9], 2, v[8:9]
	v_mov_b32_e32 v12, s21
	v_add_co_u32_e32 v8, vcc, s11, v8
	v_or_b32_e32 v3, 0xc0, v3
	s_load_dwordx2 s[50:51], s[4:5], 0x94
	s_waitcnt lgkmcnt(0)
	s_barrier
	v_addc_co_u32_e32 v9, vcc, v12, v9, vcc
	global_load_dword v50, v[4:5], off
	global_load_dword v57, v[6:7], off
	v_add_u32_e32 v4, s6, v3
	v_ashrrev_i32_e32 v4, 5, v4
	v_cmp_gt_i32_e32 vcc, s33, v3
	v_cndmask_b32_e32 v4, v11, v4, vcc
	v_ashrrev_i32_e32 v5, 31, v4
	v_lshlrev_b64 v[4:5], 2, v[4:5]
	v_mov_b32_e32 v3, s21
	v_add_co_u32_e32 v4, vcc, s11, v4
	v_addc_co_u32_e32 v5, vcc, v3, v5, vcc
	global_load_dword v64, v[8:9], off
	global_load_dword v65, v[4:5], off
	s_waitcnt vmcnt(7)
	v_mad_i64_i32 v[2:3], s[6:7], v2, s41, v[22:23]
	v_lshlrev_b32_e32 v26, 4, v55
	v_add_co_u32_e32 v2, vcc, v2, v26
	v_addc_co_u32_e32 v3, vcc, 0, v3, vcc
	v_add_co_u32_e32 v12, vcc, v2, v25
	v_addc_co_u32_e32 v13, vcc, 0, v3, vcc
	global_load_dwordx4 v[6:9], v[12:13], off
	global_load_dwordx4 v[2:5], v[12:13], off offset:2048
	s_waitcnt vmcnt(8)
	v_mad_i64_i32 v[10:11], s[6:7], v10, s41, v[22:23]
	v_or_b32_e32 v28, 0x100, v26
	v_add_co_u32_e32 v10, vcc, v10, v28
	v_addc_co_u32_e32 v11, vcc, 0, v11, vcc
	v_add_co_u32_e32 v20, vcc, v10, v25
	v_addc_co_u32_e32 v21, vcc, 0, v11, vcc
	s_waitcnt vmcnt(7)
	v_mad_i64_i32 v[18:19], s[6:7], v18, s41, v[22:23]
	v_add_co_u32_e32 v18, vcc, v18, v26
	v_addc_co_u32_e32 v19, vcc, 0, v19, vcc
	v_add_co_u32_e32 v26, vcc, v18, v25
	v_addc_co_u32_e32 v27, vcc, 0, v19, vcc
	s_waitcnt vmcnt(6)
	v_mad_i64_i32 v[22:23], s[6:7], v24, s41, v[22:23]
	v_add_co_u32_e32 v22, vcc, v22, v28
	v_addc_co_u32_e32 v23, vcc, 0, v23, vcc
	v_add_co_u32_e32 v30, vcc, v22, v25
	v_addc_co_u32_e32 v31, vcc, 0, v23, vcc
	s_add_u32 s6, s14, s10
	global_load_dwordx4 v[10:13], v[20:21], off
	global_load_dwordx4 v[14:17], v[20:21], off offset:2048
	global_load_dwordx4 v[38:41], v[26:27], off
	s_nop 0
	global_load_dwordx4 v[18:21], v[26:27], off offset:2048
	s_nop 0
	global_load_dwordx4 v[26:29], v[30:31], off
	global_load_dwordx4 v[22:25], v[30:31], off offset:2048
	s_addc_u32 s7, s15, 0
	v_and_b32_e32 v30, 16, v0
	v_mov_b32_e32 v31, s7
	v_add_co_u32_e32 v51, vcc, s6, v30
	v_lshl_or_b32 v63, v62, 4, v55
	v_addc_co_u32_e32 v52, vcc, 0, v31, vcc
	v_lshlrev_b32_e32 v53, 5, v63
	v_add_co_u32_e32 v42, vcc, v51, v53
	v_addc_co_u32_e32 v43, vcc, 0, v52, vcc
	v_or_b32_e32 v53, 0x800, v53
	v_add_co_u32_e32 v58, vcc, v51, v53
	v_addc_co_u32_e32 v59, vcc, 0, v52, vcc
	v_cmp_gt_u32_e32 vcc, 14, v55
	s_waitcnt vmcnt(11)
	v_mad_i64_i32 v[30:31], s[6:7], v50, s41, v[42:43]
	s_waitcnt vmcnt(10)
	v_mad_i64_i32 v[34:35], s[6:7], v57, s41, v[42:43]
	global_load_dwordx4 v[30:33], v[30:31], off
	v_mad_i64_i32 v[50:51], s[6:7], v50, s41, v[58:59]
	global_load_dwordx4 v[34:37], v[34:35], off
	v_mad_i64_i32 v[60:61], s[6:7], v57, s41, v[58:59]
	s_mov_b32 s12, 0
	s_movk_i32 s13, 0x80
	s_waitcnt vmcnt(11)
	v_mad_i64_i32 v[44:45], s[6:7], v64, s41, v[42:43]
	s_waitcnt vmcnt(10)
	v_mad_i64_i32 v[42:43], s[6:7], v65, s41, v[42:43]
	global_load_dwordx4 v[46:49], v[44:45], off
	s_nop 0
	global_load_dwordx4 v[42:45], v[42:43], off
	s_movk_i32 s14, 0x7f
	global_load_dwordx4 v[50:53], v[50:51], off
	s_mov_b32 s15, 0xffffff
	global_load_dwordx4 v[66:69], v[60:61], off
	s_waitcnt vmcnt(13)
	buffer_store_dword v9, off, s[0:3], 0 offset:12
	buffer_store_dword v8, off, s[0:3], 0 offset:8
	v_mad_i64_i32 v[8:9], s[6:7], v64, s41, v[58:59]
	global_load_dwordx4 v[70:73], v[8:9], off
	v_mad_i64_i32 v[8:9], s[6:7], v65, s41, v[58:59]
	global_load_dwordx4 v[74:77], v[8:9], off
	v_and_b32_e32 v64, 63, v0
	buffer_store_dword v7, off, s[0:3], 0 offset:4
	buffer_store_dword v6, off, s[0:3], 0
	s_waitcnt vmcnt(18)
	buffer_store_dword v5, off, s[0:3], 0 offset:28
	buffer_store_dword v4, off, s[0:3], 0 offset:24
	;; [unrolled: 1-line block ×4, first 2 shown]
	s_waitcnt vmcnt(21)
	buffer_store_dword v13, off, s[0:3], 0 offset:44
	buffer_store_dword v12, off, s[0:3], 0 offset:40
	;; [unrolled: 1-line block ×4, first 2 shown]
	v_mov_b32_e32 v2, 0x80
	s_load_dword s6, s[4:5], 0x1c
	s_load_dwordx4 s[40:43], s[4:5], 0x80
	v_add_u32_e32 v57, 16, v2
	s_waitcnt vmcnt(24)
	buffer_store_dword v17, off, s[0:3], 0 offset:60
	buffer_store_dword v16, off, s[0:3], 0 offset:56
	;; [unrolled: 1-line block ×4, first 2 shown]
	v_add_u32_e32 v61, 32, v2
	v_add_u32_e32 v58, 48, v2
	;; [unrolled: 1-line block ×4, first 2 shown]
	s_waitcnt vmcnt(27)
	buffer_store_dword v41, off, s[0:3], 0 offset:76
	buffer_store_dword v40, off, s[0:3], 0 offset:72
	;; [unrolled: 1-line block ×4, first 2 shown]
	v_add_u32_e32 v41, 0x60, v2
	v_add_u32_e32 v39, 0x70, v2
	v_add_u32_e32 v2, -14, v55
	v_cndmask_b32_e32 v2, v2, v55, vcc
	v_lshlrev_b32_e32 v2, 5, v2
	v_lshl_add_u32 v14, v1, 9, v2
	ds_read_b128 v[2:5], v14
	ds_read_b128 v[6:9], v14 offset:16
	ds_read_b128 v[10:13], v14 offset:2048
	;; [unrolled: 1-line block ×3, first 2 shown]
	s_waitcnt vmcnt(30)
	buffer_store_dword v21, off, s[0:3], 0 offset:92
	buffer_store_dword v20, off, s[0:3], 0 offset:88
	buffer_store_dword v19, off, s[0:3], 0 offset:84
	buffer_store_dword v18, off, s[0:3], 0 offset:80
	s_waitcnt vmcnt(33)
	buffer_store_dword v29, off, s[0:3], 0 offset:108
	buffer_store_dword v28, off, s[0:3], 0 offset:104
	buffer_store_dword v27, off, s[0:3], 0 offset:100
	buffer_store_dword v26, off, s[0:3], 0 offset:96
	;; [unrolled: 5-line block ×10, first 2 shown]
	s_waitcnt vmcnt(58)
	buffer_store_dword v77, off, s[0:3], 0 offset:252
	s_waitcnt lgkmcnt(0)
	s_load_dword s4, s[40:41], 0x0
	v_mov_b32_e32 v18, s6
	v_mov_b32_e32 v27, 0
	;; [unrolled: 1-line block ×4, first 2 shown]
	s_waitcnt lgkmcnt(0)
	v_mul_f32_e32 v22, s4, v18
	v_mov_b32_e32 v24, v22
	v_mov_b32_e32 v25, v22
	v_bfrev_b32_e32 v33, 60
	buffer_store_dword v76, off, s[0:3], 0 offset:248
	buffer_store_dword v75, off, s[0:3], 0 offset:244
	;; [unrolled: 1-line block ×3, first 2 shown]
	s_branch .LBB667_15
.LBB667_12:                             ;   in Loop: Header=BB667_15 Depth=1
	s_or_b64 exec, exec, s[10:11]
.LBB667_13:                             ;   in Loop: Header=BB667_15 Depth=1
	s_or_b64 exec, exec, s[6:7]
.LBB667_14:                             ;   in Loop: Header=BB667_15 Depth=1
	s_or_b64 exec, exec, s[4:5]
	v_cvt_pkrtz_f16_f32 v42, v34, v32
	v_cvt_pkrtz_f16_f32 v43, v23, v36
	;; [unrolled: 1-line block ×4, first 2 shown]
	v_add_u32_e32 v26, s12, v31
	v_mfma_f32_16x16x16f16 v[18:21], v[42:43], v[14:15], v[18:21]
	s_add_i32 s12, s12, 16
	v_mov_b32_e32 v23, v22
	s_cmp_eq_u32 s12, 64
	v_add_u32_e32 v27, 32, v27
	v_mfma_f32_16x16x16f16 v[18:21], v[34:35], v[16:17], v[18:21]
	s_nop 7
	s_nop 2
	v_pk_mul_f32 v[18:19], v[24:25], v[18:19]
	v_pk_mul_f32 v[20:21], v[22:23], v[20:21]
	buffer_store_dword v19, v26, s[0:3], 0 offen offset:4
	buffer_store_dword v18, v26, s[0:3], 0 offen
	buffer_store_dword v21, v26, s[0:3], 0 offen offset:12
	buffer_store_dword v20, v26, s[0:3], 0 offen offset:8
	s_cbranch_scc1 .LBB667_205
.LBB667_15:                             ; =>This Inner Loop Header: Depth=1
	buffer_load_dword v20, v27, s[0:3], 0 offen
	buffer_load_dword v18, v27, s[0:3], 0 offen offset:4
	buffer_load_dword v28, v27, s[0:3], 0 offen offset:8
	;; [unrolled: 1-line block ×3, first 2 shown]
	v_mov_b32_e32 v19, 0
	s_waitcnt vmcnt(3)
	v_cmp_ne_u16_sdwa s[6:7], v20, v29 src0_sel:BYTE_0 src1_sel:DWORD
	s_and_saveexec_b64 s[4:5], s[6:7]
	s_cbranch_execz .LBB667_21
; %bb.16:                               ;   in Loop: Header=BB667_15 Depth=1
	v_cmp_ne_u16_sdwa s[10:11], v20, s13 src0_sel:BYTE_0 src1_sel:DWORD
	v_bfrev_b32_e32 v19, 1
	s_and_saveexec_b64 s[6:7], s[10:11]
	s_cbranch_execz .LBB667_20
; %bb.17:                               ;   in Loop: Header=BB667_15 Depth=1
	v_and_b32_e32 v21, 0x7f, v20
	v_cmp_ne_u32_e32 vcc, s14, v21
	v_mov_b32_e32 v19, 0x7f800001
	s_and_saveexec_b64 s[10:11], vcc
	s_cbranch_execz .LBB667_19
; %bb.18:                               ;   in Loop: Header=BB667_15 Depth=1
	v_and_b32_e32 v19, 7, v20
	v_ffbh_u32_e32 v30, v19
	v_min_u32_e32 v30, 32, v30
	v_subrev_u32_e32 v32, 28, v30
	v_lshlrev_b64 v[34:35], v32, v[20:21]
	v_lshrrev_b32_e32 v23, 3, v21
	v_sub_u32_e32 v30, 29, v30
	v_and_b32_e32 v32, 7, v34
	v_cmp_gt_u32_e32 vcc, 8, v21
	v_cndmask_b32_e32 v21, v23, v30, vcc
	v_cndmask_b32_e32 v19, v19, v32, vcc
	v_lshlrev_b32_e32 v23, 24, v20
	v_lshlrev_b32_e32 v19, 20, v19
	v_and_b32_e32 v23, 0x80000000, v23
	v_lshl_add_u32 v21, v21, 23, v33
	v_or3_b32 v19, v23, v21, v19
.LBB667_19:                             ;   in Loop: Header=BB667_15 Depth=1
	s_or_b64 exec, exec, s[10:11]
.LBB667_20:                             ;   in Loop: Header=BB667_15 Depth=1
	s_or_b64 exec, exec, s[6:7]
.LBB667_21:                             ;   in Loop: Header=BB667_15 Depth=1
	s_or_b64 exec, exec, s[4:5]
	v_lshrrev_b16_e32 v30, 8, v20
	v_cmp_ne_u16_e32 vcc, 0, v30
	v_mov_b32_e32 v21, 0
	v_mov_b32_e32 v23, 0
	s_and_saveexec_b64 s[4:5], vcc
	s_cbranch_execz .LBB667_27
; %bb.22:                               ;   in Loop: Header=BB667_15 Depth=1
	v_cmp_ne_u16_e32 vcc, s13, v30
	v_bfrev_b32_e32 v23, 1
	s_and_saveexec_b64 s[6:7], vcc
	s_cbranch_execz .LBB667_26
; %bb.23:                               ;   in Loop: Header=BB667_15 Depth=1
	v_and_b32_e32 v32, 0x7f, v30
	v_cmp_ne_u32_e32 vcc, s14, v32
	v_mov_b32_e32 v23, 0x7f800001
	s_and_saveexec_b64 s[10:11], vcc
	s_cbranch_execz .LBB667_25
; %bb.24:                               ;   in Loop: Header=BB667_15 Depth=1
	v_and_b32_e32 v23, 7, v30
	v_ffbh_u32_e32 v34, v23
	v_min_u32_e32 v37, 32, v34
	v_subrev_u32_e32 v34, 28, v37
	v_lshlrev_b64 v[34:35], v34, v[30:31]
	v_lshrrev_b32_e32 v36, 3, v32
	v_sub_u32_e32 v30, 29, v37
	v_and_b32_e32 v34, 7, v34
	v_cmp_gt_u32_e32 vcc, 8, v32
	v_cndmask_b32_e32 v30, v36, v30, vcc
	v_cndmask_b32_e32 v23, v23, v34, vcc
	v_lshlrev_b32_e32 v32, 16, v20
	v_lshlrev_b32_e32 v23, 20, v23
	v_and_b32_e32 v32, 0x80000000, v32
	v_lshl_add_u32 v30, v30, 23, v33
	v_or3_b32 v23, v32, v30, v23
.LBB667_25:                             ;   in Loop: Header=BB667_15 Depth=1
	s_or_b64 exec, exec, s[10:11]
.LBB667_26:                             ;   in Loop: Header=BB667_15 Depth=1
	s_or_b64 exec, exec, s[6:7]
.LBB667_27:                             ;   in Loop: Header=BB667_15 Depth=1
	s_or_b64 exec, exec, s[4:5]
	v_lshrrev_b32_e32 v30, 16, v20
	v_cmp_ne_u16_sdwa s[6:7], v30, v29 src0_sel:BYTE_0 src1_sel:DWORD
	s_and_saveexec_b64 s[4:5], s[6:7]
	s_cbranch_execz .LBB667_33
; %bb.28:                               ;   in Loop: Header=BB667_15 Depth=1
	v_cmp_ne_u16_sdwa s[10:11], v30, s13 src0_sel:BYTE_0 src1_sel:DWORD
	v_bfrev_b32_e32 v21, 1
	s_and_saveexec_b64 s[6:7], s[10:11]
	s_cbranch_execz .LBB667_32
; %bb.29:                               ;   in Loop: Header=BB667_15 Depth=1
	v_bfe_u32 v32, v20, 16, 7
	v_cmp_ne_u32_e32 vcc, s14, v32
	v_mov_b32_e32 v21, 0x7f800001
	s_and_saveexec_b64 s[10:11], vcc
	s_cbranch_execz .LBB667_31
; %bb.30:                               ;   in Loop: Header=BB667_15 Depth=1
	v_and_b32_e32 v21, 7, v30
	v_ffbh_u32_e32 v34, v21
	v_min_u32_e32 v37, 32, v34
	v_subrev_u32_e32 v34, 28, v37
	v_lshlrev_b64 v[34:35], v34, v[30:31]
	v_lshrrev_b32_e32 v36, 3, v32
	v_sub_u32_e32 v35, 29, v37
	v_and_b32_e32 v34, 7, v34
	v_cmp_gt_u32_e32 vcc, 8, v32
	v_cndmask_b32_e32 v32, v36, v35, vcc
	v_cndmask_b32_e32 v21, v21, v34, vcc
	v_lshlrev_b32_e32 v30, 24, v30
	v_lshlrev_b32_e32 v21, 20, v21
	v_and_b32_e32 v30, 0x80000000, v30
	v_lshl_add_u32 v32, v32, 23, v33
	v_or3_b32 v21, v30, v32, v21
.LBB667_31:                             ;   in Loop: Header=BB667_15 Depth=1
	s_or_b64 exec, exec, s[10:11]
.LBB667_32:                             ;   in Loop: Header=BB667_15 Depth=1
	s_or_b64 exec, exec, s[6:7]
.LBB667_33:                             ;   in Loop: Header=BB667_15 Depth=1
	s_or_b64 exec, exec, s[4:5]
	v_cmp_lt_u32_e32 vcc, s15, v20
	v_mov_b32_e32 v34, 0
	v_mov_b32_e32 v35, 0
	s_and_saveexec_b64 s[4:5], vcc
	s_cbranch_execz .LBB667_39
; %bb.34:                               ;   in Loop: Header=BB667_15 Depth=1
	v_lshrrev_b32_e32 v30, 24, v20
	v_cmp_ne_u32_e32 vcc, s13, v30
	v_bfrev_b32_e32 v35, 1
	s_and_saveexec_b64 s[6:7], vcc
	s_cbranch_execz .LBB667_38
; %bb.35:                               ;   in Loop: Header=BB667_15 Depth=1
	v_bfe_u32 v20, v20, 24, 7
	v_cmp_ne_u32_e32 vcc, s14, v20
	v_mov_b32_e32 v35, 0x7f800001
	s_and_saveexec_b64 s[10:11], vcc
	s_cbranch_execz .LBB667_37
; %bb.36:                               ;   in Loop: Header=BB667_15 Depth=1
	v_and_b32_e32 v32, 7, v30
	v_ffbh_u32_e32 v36, v32
	v_min_u32_e32 v38, 32, v36
	v_subrev_u32_e32 v36, 28, v38
	v_lshlrev_b64 v[36:37], v36, v[30:31]
	v_lshrrev_b32_e32 v35, 3, v20
	v_sub_u32_e32 v37, 29, v38
	v_and_b32_e32 v36, 7, v36
	v_cmp_gt_u32_e32 vcc, 8, v20
	v_cndmask_b32_e32 v20, v35, v37, vcc
	v_cndmask_b32_e32 v32, v32, v36, vcc
	v_lshlrev_b32_e32 v30, 24, v30
	v_lshlrev_b32_e32 v32, 20, v32
	v_and_b32_e32 v30, 0x80000000, v30
	v_lshl_add_u32 v20, v20, 23, v33
	v_or3_b32 v35, v30, v20, v32
.LBB667_37:                             ;   in Loop: Header=BB667_15 Depth=1
	s_or_b64 exec, exec, s[10:11]
.LBB667_38:                             ;   in Loop: Header=BB667_15 Depth=1
	s_or_b64 exec, exec, s[6:7]
.LBB667_39:                             ;   in Loop: Header=BB667_15 Depth=1
	s_or_b64 exec, exec, s[4:5]
	s_waitcnt vmcnt(2)
	v_cmp_ne_u16_sdwa s[6:7], v18, v29 src0_sel:BYTE_0 src1_sel:DWORD
	s_and_saveexec_b64 s[4:5], s[6:7]
	s_cbranch_execz .LBB667_45
; %bb.40:                               ;   in Loop: Header=BB667_15 Depth=1
	v_cmp_ne_u16_sdwa s[10:11], v18, s13 src0_sel:BYTE_0 src1_sel:DWORD
	v_bfrev_b32_e32 v34, 1
	s_and_saveexec_b64 s[6:7], s[10:11]
	s_cbranch_execz .LBB667_44
; %bb.41:                               ;   in Loop: Header=BB667_15 Depth=1
	v_and_b32_e32 v20, 0x7f, v18
	v_cmp_ne_u32_e32 vcc, s14, v20
	v_mov_b32_e32 v34, 0x7f800001
	s_and_saveexec_b64 s[10:11], vcc
	s_cbranch_execz .LBB667_43
; %bb.42:                               ;   in Loop: Header=BB667_15 Depth=1
	v_and_b32_e32 v30, 7, v18
	v_ffbh_u32_e32 v34, v30
	v_min_u32_e32 v34, 32, v34
	v_subrev_u32_e32 v36, 28, v34
	v_lshlrev_b64 v[36:37], v36, v[18:19]
	v_lshrrev_b32_e32 v32, 3, v20
	v_sub_u32_e32 v34, 29, v34
	v_and_b32_e32 v36, 7, v36
	v_cmp_gt_u32_e32 vcc, 8, v20
	v_cndmask_b32_e32 v20, v32, v34, vcc
	v_cndmask_b32_e32 v30, v30, v36, vcc
	v_lshlrev_b32_e32 v32, 24, v18
	v_lshlrev_b32_e32 v30, 20, v30
	v_and_b32_e32 v32, 0x80000000, v32
	v_lshl_add_u32 v20, v20, 23, v33
	v_or3_b32 v34, v32, v20, v30
.LBB667_43:                             ;   in Loop: Header=BB667_15 Depth=1
	s_or_b64 exec, exec, s[10:11]
.LBB667_44:                             ;   in Loop: Header=BB667_15 Depth=1
	s_or_b64 exec, exec, s[6:7]
.LBB667_45:                             ;   in Loop: Header=BB667_15 Depth=1
	s_or_b64 exec, exec, s[4:5]
	v_lshrrev_b16_e32 v20, 8, v18
	v_cmp_ne_u16_e32 vcc, 0, v20
	v_mov_b32_e32 v30, 0
	v_mov_b32_e32 v36, 0
	s_and_saveexec_b64 s[4:5], vcc
	s_cbranch_execz .LBB667_51
; %bb.46:                               ;   in Loop: Header=BB667_15 Depth=1
	v_cmp_ne_u16_e32 vcc, s13, v20
	v_bfrev_b32_e32 v36, 1
	s_and_saveexec_b64 s[6:7], vcc
	s_cbranch_execz .LBB667_50
; %bb.47:                               ;   in Loop: Header=BB667_15 Depth=1
	v_and_b32_e32 v32, 0x7f, v20
	v_cmp_ne_u32_e32 vcc, s14, v32
	v_mov_b32_e32 v36, 0x7f800001
	s_and_saveexec_b64 s[10:11], vcc
	s_cbranch_execz .LBB667_49
; %bb.48:                               ;   in Loop: Header=BB667_15 Depth=1
	v_and_b32_e32 v38, 7, v20
	v_ffbh_u32_e32 v36, v38
	v_min_u32_e32 v42, 32, v36
	v_subrev_u32_e32 v36, 28, v42
	v_lshlrev_b64 v[36:37], v36, v[20:21]
	v_lshrrev_b32_e32 v40, 3, v32
	v_sub_u32_e32 v20, 29, v42
	v_and_b32_e32 v36, 7, v36
	v_cmp_gt_u32_e32 vcc, 8, v32
	v_cndmask_b32_e32 v20, v40, v20, vcc
	v_cndmask_b32_e32 v32, v38, v36, vcc
	v_lshlrev_b32_e32 v36, 16, v18
	v_lshlrev_b32_e32 v32, 20, v32
	v_and_b32_e32 v36, 0x80000000, v36
	v_lshl_add_u32 v20, v20, 23, v33
	v_or3_b32 v36, v36, v20, v32
.LBB667_49:                             ;   in Loop: Header=BB667_15 Depth=1
	s_or_b64 exec, exec, s[10:11]
.LBB667_50:                             ;   in Loop: Header=BB667_15 Depth=1
	s_or_b64 exec, exec, s[6:7]
.LBB667_51:                             ;   in Loop: Header=BB667_15 Depth=1
	s_or_b64 exec, exec, s[4:5]
	v_lshrrev_b32_e32 v20, 16, v18
	v_cmp_ne_u16_sdwa s[6:7], v20, v29 src0_sel:BYTE_0 src1_sel:DWORD
	s_and_saveexec_b64 s[4:5], s[6:7]
	s_cbranch_execz .LBB667_57
; %bb.52:                               ;   in Loop: Header=BB667_15 Depth=1
	v_cmp_ne_u16_sdwa s[10:11], v20, s13 src0_sel:BYTE_0 src1_sel:DWORD
	v_bfrev_b32_e32 v30, 1
	s_and_saveexec_b64 s[6:7], s[10:11]
	s_cbranch_execz .LBB667_56
; %bb.53:                               ;   in Loop: Header=BB667_15 Depth=1
	v_bfe_u32 v32, v18, 16, 7
	v_cmp_ne_u32_e32 vcc, s14, v32
	v_mov_b32_e32 v30, 0x7f800001
	s_and_saveexec_b64 s[10:11], vcc
	s_cbranch_execz .LBB667_55
; %bb.54:                               ;   in Loop: Header=BB667_15 Depth=1
	v_and_b32_e32 v30, 7, v20
	v_ffbh_u32_e32 v38, v30
	v_min_u32_e32 v38, 32, v38
	v_subrev_u32_e32 v40, 28, v38
	v_lshlrev_b64 v[42:43], v40, v[20:21]
	v_lshrrev_b32_e32 v37, 3, v32
	v_sub_u32_e32 v38, 29, v38
	v_and_b32_e32 v40, 7, v42
	v_cmp_gt_u32_e32 vcc, 8, v32
	v_cndmask_b32_e32 v32, v37, v38, vcc
	v_cndmask_b32_e32 v30, v30, v40, vcc
	v_lshlrev_b32_e32 v20, 24, v20
	v_lshlrev_b32_e32 v30, 20, v30
	v_and_b32_e32 v20, 0x80000000, v20
	v_lshl_add_u32 v32, v32, 23, v33
	v_or3_b32 v30, v20, v32, v30
.LBB667_55:                             ;   in Loop: Header=BB667_15 Depth=1
	s_or_b64 exec, exec, s[10:11]
.LBB667_56:                             ;   in Loop: Header=BB667_15 Depth=1
	s_or_b64 exec, exec, s[6:7]
.LBB667_57:                             ;   in Loop: Header=BB667_15 Depth=1
	s_or_b64 exec, exec, s[4:5]
	v_cmp_lt_u32_e32 vcc, s15, v18
	v_mov_b32_e32 v32, 0
	v_mov_b32_e32 v37, 0
	s_and_saveexec_b64 s[4:5], vcc
	s_cbranch_execz .LBB667_63
; %bb.58:                               ;   in Loop: Header=BB667_15 Depth=1
	v_lshrrev_b32_e32 v20, 24, v18
	v_cmp_ne_u32_e32 vcc, s13, v20
	v_bfrev_b32_e32 v37, 1
	s_and_saveexec_b64 s[6:7], vcc
	s_cbranch_execz .LBB667_62
; %bb.59:                               ;   in Loop: Header=BB667_15 Depth=1
	v_bfe_u32 v18, v18, 24, 7
	v_cmp_ne_u32_e32 vcc, s14, v18
	v_mov_b32_e32 v37, 0x7f800001
	s_and_saveexec_b64 s[10:11], vcc
	s_cbranch_execz .LBB667_61
; %bb.60:                               ;   in Loop: Header=BB667_15 Depth=1
	v_and_b32_e32 v37, 7, v20
	v_ffbh_u32_e32 v40, v37
	v_min_u32_e32 v40, 32, v40
	v_subrev_u32_e32 v42, 28, v40
	v_lshlrev_b64 v[42:43], v42, v[20:21]
	v_lshrrev_b32_e32 v38, 3, v18
	v_sub_u32_e32 v40, 29, v40
	v_and_b32_e32 v42, 7, v42
	v_cmp_gt_u32_e32 vcc, 8, v18
	v_cndmask_b32_e32 v18, v38, v40, vcc
	v_cndmask_b32_e32 v37, v37, v42, vcc
	v_lshlrev_b32_e32 v20, 24, v20
	v_lshlrev_b32_e32 v37, 20, v37
	v_and_b32_e32 v20, 0x80000000, v20
	v_lshl_add_u32 v18, v18, 23, v33
	v_or3_b32 v37, v20, v18, v37
.LBB667_61:                             ;   in Loop: Header=BB667_15 Depth=1
	s_or_b64 exec, exec, s[10:11]
.LBB667_62:                             ;   in Loop: Header=BB667_15 Depth=1
	s_or_b64 exec, exec, s[6:7]
.LBB667_63:                             ;   in Loop: Header=BB667_15 Depth=1
	s_or_b64 exec, exec, s[4:5]
	v_cvt_pkrtz_f16_f32 v18, v19, v23
	v_cvt_pkrtz_f16_f32 v19, v21, v35
	;; [unrolled: 1-line block ×4, first 2 shown]
	s_waitcnt vmcnt(1)
	v_cmp_ne_u16_sdwa s[6:7], v28, v29 src0_sel:BYTE_0 src1_sel:DWORD
	v_mfma_f32_16x16x16f16 v[18:21], v[18:19], v[2:3], 0
	v_mfma_f32_16x16x16f16 v[18:21], v[34:35], v[4:5], v[18:21]
	s_and_saveexec_b64 s[4:5], s[6:7]
	s_cbranch_execz .LBB667_69
; %bb.64:                               ;   in Loop: Header=BB667_15 Depth=1
	v_cmp_ne_u16_sdwa s[10:11], v28, s13 src0_sel:BYTE_0 src1_sel:DWORD
	v_bfrev_b32_e32 v32, 1
	s_and_saveexec_b64 s[6:7], s[10:11]
	s_cbranch_execz .LBB667_68
; %bb.65:                               ;   in Loop: Header=BB667_15 Depth=1
	v_and_b32_e32 v23, 0x7f, v28
	v_cmp_ne_u32_e32 vcc, s14, v23
	v_mov_b32_e32 v32, 0x7f800001
	s_and_saveexec_b64 s[10:11], vcc
	s_cbranch_execz .LBB667_67
; %bb.66:                               ;   in Loop: Header=BB667_15 Depth=1
	v_and_b32_e32 v30, 7, v28
	v_ffbh_u32_e32 v34, v30
	v_min_u32_e32 v36, 32, v34
	v_subrev_u32_e32 v34, 28, v36
	v_lshlrev_b64 v[34:35], v34, v[28:29]
	v_lshrrev_b32_e32 v32, 3, v23
	v_sub_u32_e32 v35, 29, v36
	v_and_b32_e32 v34, 7, v34
	v_cmp_gt_u32_e32 vcc, 8, v23
	v_cndmask_b32_e32 v23, v32, v35, vcc
	v_cndmask_b32_e32 v30, v30, v34, vcc
	v_lshlrev_b32_e32 v32, 24, v28
	v_lshlrev_b32_e32 v30, 20, v30
	v_and_b32_e32 v32, 0x80000000, v32
	v_lshl_add_u32 v23, v23, 23, v33
	v_or3_b32 v32, v32, v23, v30
.LBB667_67:                             ;   in Loop: Header=BB667_15 Depth=1
	s_or_b64 exec, exec, s[10:11]
.LBB667_68:                             ;   in Loop: Header=BB667_15 Depth=1
	s_or_b64 exec, exec, s[6:7]
.LBB667_69:                             ;   in Loop: Header=BB667_15 Depth=1
	s_or_b64 exec, exec, s[4:5]
	v_lshrrev_b16_e32 v30, 8, v28
	v_cmp_ne_u16_e32 vcc, 0, v30
	v_mov_b32_e32 v34, 0
	v_mov_b32_e32 v35, 0
	s_and_saveexec_b64 s[4:5], vcc
	s_cbranch_execz .LBB667_75
; %bb.70:                               ;   in Loop: Header=BB667_15 Depth=1
	v_cmp_ne_u16_e32 vcc, s13, v30
	v_bfrev_b32_e32 v35, 1
	s_and_saveexec_b64 s[6:7], vcc
	s_cbranch_execz .LBB667_74
; %bb.71:                               ;   in Loop: Header=BB667_15 Depth=1
	v_and_b32_e32 v23, 0x7f, v30
	v_cmp_ne_u32_e32 vcc, s14, v23
	v_mov_b32_e32 v35, 0x7f800001
	s_and_saveexec_b64 s[10:11], vcc
	s_cbranch_execz .LBB667_73
; %bb.72:                               ;   in Loop: Header=BB667_15 Depth=1
	v_and_b32_e32 v35, 7, v30
	v_ffbh_u32_e32 v36, v35
	v_min_u32_e32 v40, 32, v36
	v_subrev_u32_e32 v36, 28, v40
	v_lshlrev_b64 v[36:37], v36, v[30:31]
	v_lshrrev_b32_e32 v38, 3, v23
	v_sub_u32_e32 v30, 29, v40
	v_and_b32_e32 v36, 7, v36
	v_cmp_gt_u32_e32 vcc, 8, v23
	v_cndmask_b32_e32 v23, v38, v30, vcc
	v_cndmask_b32_e32 v30, v35, v36, vcc
	v_lshlrev_b32_e32 v35, 16, v28
	v_lshlrev_b32_e32 v30, 20, v30
	v_and_b32_e32 v35, 0x80000000, v35
	v_lshl_add_u32 v23, v23, 23, v33
	v_or3_b32 v35, v35, v23, v30
.LBB667_73:                             ;   in Loop: Header=BB667_15 Depth=1
	s_or_b64 exec, exec, s[10:11]
.LBB667_74:                             ;   in Loop: Header=BB667_15 Depth=1
	s_or_b64 exec, exec, s[6:7]
.LBB667_75:                             ;   in Loop: Header=BB667_15 Depth=1
	s_or_b64 exec, exec, s[4:5]
	v_lshrrev_b32_e32 v30, 16, v28
	v_cmp_ne_u16_sdwa s[6:7], v30, v29 src0_sel:BYTE_0 src1_sel:DWORD
	s_and_saveexec_b64 s[4:5], s[6:7]
	s_cbranch_execz .LBB667_81
; %bb.76:                               ;   in Loop: Header=BB667_15 Depth=1
	v_cmp_ne_u16_sdwa s[10:11], v30, s13 src0_sel:BYTE_0 src1_sel:DWORD
	v_bfrev_b32_e32 v34, 1
	s_and_saveexec_b64 s[6:7], s[10:11]
	s_cbranch_execz .LBB667_80
; %bb.77:                               ;   in Loop: Header=BB667_15 Depth=1
	v_bfe_u32 v23, v28, 16, 7
	v_cmp_ne_u32_e32 vcc, s14, v23
	v_mov_b32_e32 v34, 0x7f800001
	s_and_saveexec_b64 s[10:11], vcc
	s_cbranch_execz .LBB667_79
; %bb.78:                               ;   in Loop: Header=BB667_15 Depth=1
	v_and_b32_e32 v34, 7, v30
	v_ffbh_u32_e32 v36, v34
	v_min_u32_e32 v40, 32, v36
	v_subrev_u32_e32 v36, 28, v40
	v_lshlrev_b64 v[36:37], v36, v[30:31]
	v_lshrrev_b32_e32 v38, 3, v23
	v_sub_u32_e32 v37, 29, v40
	v_and_b32_e32 v36, 7, v36
	v_cmp_gt_u32_e32 vcc, 8, v23
	v_cndmask_b32_e32 v23, v38, v37, vcc
	v_cndmask_b32_e32 v34, v34, v36, vcc
	v_lshlrev_b32_e32 v30, 24, v30
	v_lshlrev_b32_e32 v34, 20, v34
	v_and_b32_e32 v30, 0x80000000, v30
	v_lshl_add_u32 v23, v23, 23, v33
	v_or3_b32 v34, v30, v23, v34
.LBB667_79:                             ;   in Loop: Header=BB667_15 Depth=1
	s_or_b64 exec, exec, s[10:11]
.LBB667_80:                             ;   in Loop: Header=BB667_15 Depth=1
	s_or_b64 exec, exec, s[6:7]
.LBB667_81:                             ;   in Loop: Header=BB667_15 Depth=1
	s_or_b64 exec, exec, s[4:5]
	v_cmp_lt_u32_e32 vcc, s15, v28
	v_mov_b32_e32 v36, 0
	v_mov_b32_e32 v37, 0
	s_and_saveexec_b64 s[4:5], vcc
	s_cbranch_execz .LBB667_87
; %bb.82:                               ;   in Loop: Header=BB667_15 Depth=1
	v_lshrrev_b32_e32 v30, 24, v28
	v_cmp_ne_u32_e32 vcc, s13, v30
	v_bfrev_b32_e32 v37, 1
	s_and_saveexec_b64 s[6:7], vcc
	s_cbranch_execz .LBB667_86
; %bb.83:                               ;   in Loop: Header=BB667_15 Depth=1
	v_bfe_u32 v23, v28, 24, 7
	v_cmp_ne_u32_e32 vcc, s14, v23
	v_mov_b32_e32 v37, 0x7f800001
	s_and_saveexec_b64 s[10:11], vcc
	s_cbranch_execz .LBB667_85
; %bb.84:                               ;   in Loop: Header=BB667_15 Depth=1
	v_and_b32_e32 v28, 7, v30
	v_ffbh_u32_e32 v38, v28
	v_min_u32_e32 v38, 32, v38
	v_subrev_u32_e32 v40, 28, v38
	v_lshlrev_b64 v[42:43], v40, v[30:31]
	v_lshrrev_b32_e32 v37, 3, v23
	v_sub_u32_e32 v38, 29, v38
	v_and_b32_e32 v40, 7, v42
	v_cmp_gt_u32_e32 vcc, 8, v23
	v_cndmask_b32_e32 v23, v37, v38, vcc
	v_cndmask_b32_e32 v28, v28, v40, vcc
	v_lshlrev_b32_e32 v30, 24, v30
	v_lshlrev_b32_e32 v28, 20, v28
	v_and_b32_e32 v30, 0x80000000, v30
	v_lshl_add_u32 v23, v23, 23, v33
	v_or3_b32 v37, v30, v23, v28
.LBB667_85:                             ;   in Loop: Header=BB667_15 Depth=1
	s_or_b64 exec, exec, s[10:11]
.LBB667_86:                             ;   in Loop: Header=BB667_15 Depth=1
	s_or_b64 exec, exec, s[6:7]
.LBB667_87:                             ;   in Loop: Header=BB667_15 Depth=1
	s_or_b64 exec, exec, s[4:5]
	s_waitcnt vmcnt(0)
	v_cmp_ne_u16_sdwa s[6:7], v26, v29 src0_sel:BYTE_0 src1_sel:DWORD
	s_and_saveexec_b64 s[4:5], s[6:7]
	s_cbranch_execz .LBB667_93
; %bb.88:                               ;   in Loop: Header=BB667_15 Depth=1
	v_cmp_ne_u16_sdwa s[10:11], v26, s13 src0_sel:BYTE_0 src1_sel:DWORD
	v_bfrev_b32_e32 v36, 1
	s_and_saveexec_b64 s[6:7], s[10:11]
	s_cbranch_execz .LBB667_92
; %bb.89:                               ;   in Loop: Header=BB667_15 Depth=1
	v_and_b32_e32 v23, 0x7f, v26
	v_cmp_ne_u32_e32 vcc, s14, v23
	v_mov_b32_e32 v36, 0x7f800001
	s_and_saveexec_b64 s[10:11], vcc
	s_cbranch_execz .LBB667_91
; %bb.90:                               ;   in Loop: Header=BB667_15 Depth=1
	v_and_b32_e32 v28, 7, v26
	v_ffbh_u32_e32 v36, v28
	v_min_u32_e32 v36, 32, v36
	v_subrev_u32_e32 v38, 28, v36
	v_lshlrev_b64 v[42:43], v38, v[26:27]
	v_lshrrev_b32_e32 v30, 3, v23
	v_sub_u32_e32 v36, 29, v36
	v_and_b32_e32 v38, 7, v42
	v_cmp_gt_u32_e32 vcc, 8, v23
	v_cndmask_b32_e32 v23, v30, v36, vcc
	v_cndmask_b32_e32 v28, v28, v38, vcc
	v_lshlrev_b32_e32 v30, 24, v26
	v_lshlrev_b32_e32 v28, 20, v28
	v_and_b32_e32 v30, 0x80000000, v30
	v_lshl_add_u32 v23, v23, 23, v33
	v_or3_b32 v36, v30, v23, v28
.LBB667_91:                             ;   in Loop: Header=BB667_15 Depth=1
	s_or_b64 exec, exec, s[10:11]
.LBB667_92:                             ;   in Loop: Header=BB667_15 Depth=1
	s_or_b64 exec, exec, s[6:7]
.LBB667_93:                             ;   in Loop: Header=BB667_15 Depth=1
	s_or_b64 exec, exec, s[4:5]
	v_lshrrev_b16_e32 v28, 8, v26
	v_cmp_ne_u16_e32 vcc, 0, v28
	v_mov_b32_e32 v38, 0
	v_mov_b32_e32 v40, 0
	s_and_saveexec_b64 s[4:5], vcc
	s_cbranch_execz .LBB667_99
; %bb.94:                               ;   in Loop: Header=BB667_15 Depth=1
	v_cmp_ne_u16_e32 vcc, s13, v28
	v_bfrev_b32_e32 v40, 1
	s_and_saveexec_b64 s[6:7], vcc
	s_cbranch_execz .LBB667_98
; %bb.95:                               ;   in Loop: Header=BB667_15 Depth=1
	v_and_b32_e32 v23, 0x7f, v28
	v_cmp_ne_u32_e32 vcc, s14, v23
	v_mov_b32_e32 v40, 0x7f800001
	s_and_saveexec_b64 s[10:11], vcc
	s_cbranch_execz .LBB667_97
; %bb.96:                               ;   in Loop: Header=BB667_15 Depth=1
	v_and_b32_e32 v30, 7, v28
	v_ffbh_u32_e32 v42, v30
	v_min_u32_e32 v44, 32, v42
	v_subrev_u32_e32 v42, 28, v44
	v_lshlrev_b64 v[42:43], v42, v[28:29]
	v_lshrrev_b32_e32 v40, 3, v23
	v_sub_u32_e32 v28, 29, v44
	v_and_b32_e32 v42, 7, v42
	v_cmp_gt_u32_e32 vcc, 8, v23
	v_cndmask_b32_e32 v23, v40, v28, vcc
	v_cndmask_b32_e32 v28, v30, v42, vcc
	v_lshlrev_b32_e32 v30, 16, v26
	v_lshlrev_b32_e32 v28, 20, v28
	v_and_b32_e32 v30, 0x80000000, v30
	v_lshl_add_u32 v23, v23, 23, v33
	v_or3_b32 v40, v30, v23, v28
.LBB667_97:                             ;   in Loop: Header=BB667_15 Depth=1
	s_or_b64 exec, exec, s[10:11]
.LBB667_98:                             ;   in Loop: Header=BB667_15 Depth=1
	s_or_b64 exec, exec, s[6:7]
.LBB667_99:                             ;   in Loop: Header=BB667_15 Depth=1
	s_or_b64 exec, exec, s[4:5]
	v_lshrrev_b32_e32 v28, 16, v26
	v_cmp_ne_u16_sdwa s[6:7], v28, v29 src0_sel:BYTE_0 src1_sel:DWORD
	s_and_saveexec_b64 s[4:5], s[6:7]
	s_cbranch_execz .LBB667_105
; %bb.100:                              ;   in Loop: Header=BB667_15 Depth=1
	v_cmp_ne_u16_sdwa s[10:11], v28, s13 src0_sel:BYTE_0 src1_sel:DWORD
	v_bfrev_b32_e32 v38, 1
	s_and_saveexec_b64 s[6:7], s[10:11]
	s_cbranch_execz .LBB667_104
; %bb.101:                              ;   in Loop: Header=BB667_15 Depth=1
	v_bfe_u32 v23, v26, 16, 7
	v_cmp_ne_u32_e32 vcc, s14, v23
	v_mov_b32_e32 v38, 0x7f800001
	s_and_saveexec_b64 s[10:11], vcc
	s_cbranch_execz .LBB667_103
; %bb.102:                              ;   in Loop: Header=BB667_15 Depth=1
	v_and_b32_e32 v30, 7, v28
	v_ffbh_u32_e32 v42, v30
	v_min_u32_e32 v44, 32, v42
	v_subrev_u32_e32 v42, 28, v44
	v_lshlrev_b64 v[42:43], v42, v[28:29]
	v_lshrrev_b32_e32 v38, 3, v23
	v_sub_u32_e32 v43, 29, v44
	v_and_b32_e32 v42, 7, v42
	v_cmp_gt_u32_e32 vcc, 8, v23
	v_cndmask_b32_e32 v23, v38, v43, vcc
	v_cndmask_b32_e32 v30, v30, v42, vcc
	v_lshlrev_b32_e32 v28, 24, v28
	v_lshlrev_b32_e32 v30, 20, v30
	v_and_b32_e32 v28, 0x80000000, v28
	v_lshl_add_u32 v23, v23, 23, v33
	v_or3_b32 v38, v28, v23, v30
.LBB667_103:                            ;   in Loop: Header=BB667_15 Depth=1
	s_or_b64 exec, exec, s[10:11]
.LBB667_104:                            ;   in Loop: Header=BB667_15 Depth=1
	s_or_b64 exec, exec, s[6:7]
.LBB667_105:                            ;   in Loop: Header=BB667_15 Depth=1
	s_or_b64 exec, exec, s[4:5]
	v_cmp_lt_u32_e32 vcc, s15, v26
	v_mov_b32_e32 v23, 0
	v_mov_b32_e32 v42, 0
	s_and_saveexec_b64 s[4:5], vcc
	s_cbranch_execz .LBB667_111
; %bb.106:                              ;   in Loop: Header=BB667_15 Depth=1
	v_lshrrev_b32_e32 v28, 24, v26
	v_cmp_ne_u32_e32 vcc, s13, v28
	v_bfrev_b32_e32 v42, 1
	s_and_saveexec_b64 s[6:7], vcc
	s_cbranch_execz .LBB667_110
; %bb.107:                              ;   in Loop: Header=BB667_15 Depth=1
	v_bfe_u32 v26, v26, 24, 7
	v_cmp_ne_u32_e32 vcc, s14, v26
	v_mov_b32_e32 v42, 0x7f800001
	s_and_saveexec_b64 s[10:11], vcc
	s_cbranch_execz .LBB667_109
; %bb.108:                              ;   in Loop: Header=BB667_15 Depth=1
	v_and_b32_e32 v30, 7, v28
	v_ffbh_u32_e32 v42, v30
	v_min_u32_e32 v45, 32, v42
	v_subrev_u32_e32 v42, 28, v45
	v_lshlrev_b64 v[42:43], v42, v[28:29]
	v_lshrrev_b32_e32 v44, 3, v26
	v_sub_u32_e32 v43, 29, v45
	v_and_b32_e32 v42, 7, v42
	v_cmp_gt_u32_e32 vcc, 8, v26
	v_cndmask_b32_e32 v26, v44, v43, vcc
	v_cndmask_b32_e32 v30, v30, v42, vcc
	v_lshlrev_b32_e32 v28, 24, v28
	v_lshlrev_b32_e32 v30, 20, v30
	v_and_b32_e32 v28, 0x80000000, v28
	v_lshl_add_u32 v26, v26, 23, v33
	v_or3_b32 v42, v28, v26, v30
.LBB667_109:                            ;   in Loop: Header=BB667_15 Depth=1
	s_or_b64 exec, exec, s[10:11]
.LBB667_110:                            ;   in Loop: Header=BB667_15 Depth=1
	s_or_b64 exec, exec, s[6:7]
.LBB667_111:                            ;   in Loop: Header=BB667_15 Depth=1
	s_or_b64 exec, exec, s[4:5]
	v_cvt_pkrtz_f16_f32 v44, v32, v35
	buffer_load_dword v32, v27, s[0:3], 0 offen offset:16
	buffer_load_dword v30, v27, s[0:3], 0 offen offset:20
	;; [unrolled: 1-line block ×4, first 2 shown]
	v_cvt_pkrtz_f16_f32 v45, v34, v37
	v_cvt_pkrtz_f16_f32 v34, v36, v40
	;; [unrolled: 1-line block ×3, first 2 shown]
	v_mfma_f32_16x16x16f16 v[18:21], v[44:45], v[6:7], v[18:21]
	s_waitcnt vmcnt(3)
	v_cmp_ne_u16_sdwa s[6:7], v32, v29 src0_sel:BYTE_0 src1_sel:DWORD
	v_mfma_f32_16x16x16f16 v[18:21], v[34:35], v[8:9], v[18:21]
	s_and_saveexec_b64 s[4:5], s[6:7]
	s_cbranch_execz .LBB667_117
; %bb.112:                              ;   in Loop: Header=BB667_15 Depth=1
	v_cmp_ne_u16_sdwa s[10:11], v32, s13 src0_sel:BYTE_0 src1_sel:DWORD
	v_bfrev_b32_e32 v23, 1
	s_and_saveexec_b64 s[6:7], s[10:11]
	s_cbranch_execz .LBB667_116
; %bb.113:                              ;   in Loop: Header=BB667_15 Depth=1
	v_and_b32_e32 v34, 0x7f, v32
	v_cmp_ne_u32_e32 vcc, s14, v34
	v_mov_b32_e32 v23, 0x7f800001
	s_and_saveexec_b64 s[10:11], vcc
	s_cbranch_execz .LBB667_115
; %bb.114:                              ;   in Loop: Header=BB667_15 Depth=1
	v_and_b32_e32 v23, 7, v32
	v_ffbh_u32_e32 v36, v23
	v_min_u32_e32 v38, 32, v36
	v_subrev_u32_e32 v36, 28, v38
	v_lshlrev_b64 v[36:37], v36, v[32:33]
	v_lshrrev_b32_e32 v35, 3, v34
	v_sub_u32_e32 v37, 29, v38
	v_and_b32_e32 v36, 7, v36
	v_cmp_gt_u32_e32 vcc, 8, v34
	v_cndmask_b32_e32 v34, v35, v37, vcc
	v_cndmask_b32_e32 v23, v23, v36, vcc
	v_lshlrev_b32_e32 v35, 24, v32
	v_lshlrev_b32_e32 v23, 20, v23
	v_and_b32_e32 v35, 0x80000000, v35
	v_lshl_add_u32 v34, v34, 23, v33
	v_or3_b32 v23, v35, v34, v23
.LBB667_115:                            ;   in Loop: Header=BB667_15 Depth=1
	s_or_b64 exec, exec, s[10:11]
.LBB667_116:                            ;   in Loop: Header=BB667_15 Depth=1
	s_or_b64 exec, exec, s[6:7]
.LBB667_117:                            ;   in Loop: Header=BB667_15 Depth=1
	s_or_b64 exec, exec, s[4:5]
	v_lshrrev_b16_e32 v34, 8, v32
	v_cmp_ne_u16_e32 vcc, 0, v34
	v_mov_b32_e32 v35, 0
	v_mov_b32_e32 v36, 0
	s_and_saveexec_b64 s[4:5], vcc
	s_cbranch_execz .LBB667_123
; %bb.118:                              ;   in Loop: Header=BB667_15 Depth=1
	v_cmp_ne_u16_e32 vcc, s13, v34
	v_bfrev_b32_e32 v36, 1
	s_and_saveexec_b64 s[6:7], vcc
	s_cbranch_execz .LBB667_122
; %bb.119:                              ;   in Loop: Header=BB667_15 Depth=1
	v_and_b32_e32 v37, 0x7f, v34
	v_cmp_ne_u32_e32 vcc, s14, v37
	v_mov_b32_e32 v36, 0x7f800001
	s_and_saveexec_b64 s[10:11], vcc
	s_cbranch_execz .LBB667_121
; %bb.120:                              ;   in Loop: Header=BB667_15 Depth=1
	v_and_b32_e32 v36, 7, v34
	v_ffbh_u32_e32 v40, v36
	v_min_u32_e32 v40, 32, v40
	v_subrev_u32_e32 v42, 28, v40
	v_lshlrev_b64 v[42:43], v42, v[34:35]
	v_lshrrev_b32_e32 v38, 3, v37
	v_sub_u32_e32 v34, 29, v40
	v_and_b32_e32 v40, 7, v42
	v_cmp_gt_u32_e32 vcc, 8, v37
	v_cndmask_b32_e32 v34, v38, v34, vcc
	v_cndmask_b32_e32 v36, v36, v40, vcc
	v_lshlrev_b32_e32 v37, 16, v32
	v_lshlrev_b32_e32 v36, 20, v36
	v_and_b32_e32 v37, 0x80000000, v37
	v_lshl_add_u32 v34, v34, 23, v33
	v_or3_b32 v36, v37, v34, v36
.LBB667_121:                            ;   in Loop: Header=BB667_15 Depth=1
	s_or_b64 exec, exec, s[10:11]
.LBB667_122:                            ;   in Loop: Header=BB667_15 Depth=1
	s_or_b64 exec, exec, s[6:7]
.LBB667_123:                            ;   in Loop: Header=BB667_15 Depth=1
	s_or_b64 exec, exec, s[4:5]
	v_lshrrev_b32_e32 v34, 16, v32
	v_cmp_ne_u16_sdwa s[6:7], v34, v29 src0_sel:BYTE_0 src1_sel:DWORD
	s_and_saveexec_b64 s[4:5], s[6:7]
	s_cbranch_execz .LBB667_129
; %bb.124:                              ;   in Loop: Header=BB667_15 Depth=1
	v_cmp_ne_u16_sdwa s[10:11], v34, s13 src0_sel:BYTE_0 src1_sel:DWORD
	v_bfrev_b32_e32 v35, 1
	s_and_saveexec_b64 s[6:7], s[10:11]
	s_cbranch_execz .LBB667_128
; %bb.125:                              ;   in Loop: Header=BB667_15 Depth=1
	v_bfe_u32 v37, v32, 16, 7
	v_cmp_ne_u32_e32 vcc, s14, v37
	v_mov_b32_e32 v35, 0x7f800001
	s_and_saveexec_b64 s[10:11], vcc
	s_cbranch_execz .LBB667_127
; %bb.126:                              ;   in Loop: Header=BB667_15 Depth=1
	v_and_b32_e32 v35, 7, v34
	v_ffbh_u32_e32 v40, v35
	v_min_u32_e32 v40, 32, v40
	v_subrev_u32_e32 v42, 28, v40
	v_lshlrev_b64 v[42:43], v42, v[34:35]
	v_lshrrev_b32_e32 v38, 3, v37
	v_sub_u32_e32 v40, 29, v40
	v_and_b32_e32 v42, 7, v42
	v_cmp_gt_u32_e32 vcc, 8, v37
	v_cndmask_b32_e32 v37, v38, v40, vcc
	v_cndmask_b32_e32 v35, v35, v42, vcc
	v_lshlrev_b32_e32 v34, 24, v34
	v_lshlrev_b32_e32 v35, 20, v35
	v_and_b32_e32 v34, 0x80000000, v34
	v_lshl_add_u32 v37, v37, 23, v33
	v_or3_b32 v35, v34, v37, v35
.LBB667_127:                            ;   in Loop: Header=BB667_15 Depth=1
	s_or_b64 exec, exec, s[10:11]
.LBB667_128:                            ;   in Loop: Header=BB667_15 Depth=1
	s_or_b64 exec, exec, s[6:7]
.LBB667_129:                            ;   in Loop: Header=BB667_15 Depth=1
	s_or_b64 exec, exec, s[4:5]
	v_cmp_lt_u32_e32 vcc, s15, v32
	v_mov_b32_e32 v37, 0
	v_mov_b32_e32 v38, 0
	s_and_saveexec_b64 s[4:5], vcc
	s_cbranch_execz .LBB667_135
; %bb.130:                              ;   in Loop: Header=BB667_15 Depth=1
	v_lshrrev_b32_e32 v34, 24, v32
	v_cmp_ne_u32_e32 vcc, s13, v34
	v_bfrev_b32_e32 v38, 1
	s_and_saveexec_b64 s[6:7], vcc
	s_cbranch_execz .LBB667_134
; %bb.131:                              ;   in Loop: Header=BB667_15 Depth=1
	v_bfe_u32 v32, v32, 24, 7
	v_cmp_ne_u32_e32 vcc, s14, v32
	v_mov_b32_e32 v38, 0x7f800001
	s_and_saveexec_b64 s[10:11], vcc
	s_cbranch_execz .LBB667_133
; %bb.132:                              ;   in Loop: Header=BB667_15 Depth=1
	v_and_b32_e32 v38, 7, v34
	v_ffbh_u32_e32 v42, v38
	v_min_u32_e32 v44, 32, v42
	v_subrev_u32_e32 v42, 28, v44
	v_lshlrev_b64 v[42:43], v42, v[34:35]
	v_lshrrev_b32_e32 v40, 3, v32
	v_sub_u32_e32 v43, 29, v44
	v_and_b32_e32 v42, 7, v42
	v_cmp_gt_u32_e32 vcc, 8, v32
	v_cndmask_b32_e32 v32, v40, v43, vcc
	v_cndmask_b32_e32 v38, v38, v42, vcc
	v_lshlrev_b32_e32 v34, 24, v34
	v_lshlrev_b32_e32 v38, 20, v38
	v_and_b32_e32 v34, 0x80000000, v34
	v_lshl_add_u32 v32, v32, 23, v33
	v_or3_b32 v38, v34, v32, v38
.LBB667_133:                            ;   in Loop: Header=BB667_15 Depth=1
	s_or_b64 exec, exec, s[10:11]
.LBB667_134:                            ;   in Loop: Header=BB667_15 Depth=1
	s_or_b64 exec, exec, s[6:7]
.LBB667_135:                            ;   in Loop: Header=BB667_15 Depth=1
	s_or_b64 exec, exec, s[4:5]
	s_waitcnt vmcnt(2)
	v_cmp_ne_u16_sdwa s[6:7], v30, v29 src0_sel:BYTE_0 src1_sel:DWORD
	s_and_saveexec_b64 s[4:5], s[6:7]
	s_cbranch_execz .LBB667_141
; %bb.136:                              ;   in Loop: Header=BB667_15 Depth=1
	v_cmp_ne_u16_sdwa s[10:11], v30, s13 src0_sel:BYTE_0 src1_sel:DWORD
	v_bfrev_b32_e32 v37, 1
	s_and_saveexec_b64 s[6:7], s[10:11]
	s_cbranch_execz .LBB667_140
; %bb.137:                              ;   in Loop: Header=BB667_15 Depth=1
	v_and_b32_e32 v32, 0x7f, v30
	v_cmp_ne_u32_e32 vcc, s14, v32
	v_mov_b32_e32 v37, 0x7f800001
	s_and_saveexec_b64 s[10:11], vcc
	s_cbranch_execz .LBB667_139
; %bb.138:                              ;   in Loop: Header=BB667_15 Depth=1
	v_and_b32_e32 v34, 7, v30
	v_ffbh_u32_e32 v40, v34
	v_min_u32_e32 v40, 32, v40
	v_subrev_u32_e32 v42, 28, v40
	v_lshlrev_b64 v[42:43], v42, v[30:31]
	v_lshrrev_b32_e32 v37, 3, v32
	v_sub_u32_e32 v40, 29, v40
	v_and_b32_e32 v42, 7, v42
	v_cmp_gt_u32_e32 vcc, 8, v32
	v_cndmask_b32_e32 v32, v37, v40, vcc
	v_cndmask_b32_e32 v34, v34, v42, vcc
	v_lshlrev_b32_e32 v37, 24, v30
	v_lshlrev_b32_e32 v34, 20, v34
	v_and_b32_e32 v37, 0x80000000, v37
	v_lshl_add_u32 v32, v32, 23, v33
	v_or3_b32 v37, v37, v32, v34
.LBB667_139:                            ;   in Loop: Header=BB667_15 Depth=1
	s_or_b64 exec, exec, s[10:11]
.LBB667_140:                            ;   in Loop: Header=BB667_15 Depth=1
	s_or_b64 exec, exec, s[6:7]
.LBB667_141:                            ;   in Loop: Header=BB667_15 Depth=1
	s_or_b64 exec, exec, s[4:5]
	v_lshrrev_b16_e32 v32, 8, v30
	v_cmp_ne_u16_e32 vcc, 0, v32
	v_mov_b32_e32 v40, 0
	v_mov_b32_e32 v42, 0
	s_and_saveexec_b64 s[4:5], vcc
	s_cbranch_execz .LBB667_147
; %bb.142:                              ;   in Loop: Header=BB667_15 Depth=1
	v_cmp_ne_u16_e32 vcc, s13, v32
	v_bfrev_b32_e32 v42, 1
	s_and_saveexec_b64 s[6:7], vcc
	s_cbranch_execz .LBB667_146
; %bb.143:                              ;   in Loop: Header=BB667_15 Depth=1
	v_and_b32_e32 v34, 0x7f, v32
	v_cmp_ne_u32_e32 vcc, s14, v34
	v_mov_b32_e32 v42, 0x7f800001
	s_and_saveexec_b64 s[10:11], vcc
	s_cbranch_execz .LBB667_145
; %bb.144:                              ;   in Loop: Header=BB667_15 Depth=1
	v_and_b32_e32 v44, 7, v32
	v_ffbh_u32_e32 v42, v44
	v_min_u32_e32 v46, 32, v42
	v_subrev_u32_e32 v42, 28, v46
	v_lshlrev_b64 v[42:43], v42, v[32:33]
	v_lshrrev_b32_e32 v45, 3, v34
	v_sub_u32_e32 v32, 29, v46
	v_and_b32_e32 v42, 7, v42
	v_cmp_gt_u32_e32 vcc, 8, v34
	v_cndmask_b32_e32 v32, v45, v32, vcc
	v_cndmask_b32_e32 v34, v44, v42, vcc
	v_lshlrev_b32_e32 v42, 16, v30
	v_lshlrev_b32_e32 v34, 20, v34
	v_and_b32_e32 v42, 0x80000000, v42
	v_lshl_add_u32 v32, v32, 23, v33
	v_or3_b32 v42, v42, v32, v34
.LBB667_145:                            ;   in Loop: Header=BB667_15 Depth=1
	s_or_b64 exec, exec, s[10:11]
.LBB667_146:                            ;   in Loop: Header=BB667_15 Depth=1
	s_or_b64 exec, exec, s[6:7]
.LBB667_147:                            ;   in Loop: Header=BB667_15 Depth=1
	s_or_b64 exec, exec, s[4:5]
	v_lshrrev_b32_e32 v32, 16, v30
	v_cmp_ne_u16_sdwa s[6:7], v32, v29 src0_sel:BYTE_0 src1_sel:DWORD
	s_and_saveexec_b64 s[4:5], s[6:7]
	s_cbranch_execz .LBB667_153
; %bb.148:                              ;   in Loop: Header=BB667_15 Depth=1
	v_cmp_ne_u16_sdwa s[10:11], v32, s13 src0_sel:BYTE_0 src1_sel:DWORD
	v_bfrev_b32_e32 v40, 1
	s_and_saveexec_b64 s[6:7], s[10:11]
	s_cbranch_execz .LBB667_152
; %bb.149:                              ;   in Loop: Header=BB667_15 Depth=1
	v_bfe_u32 v34, v30, 16, 7
	v_cmp_ne_u32_e32 vcc, s14, v34
	v_mov_b32_e32 v40, 0x7f800001
	s_and_saveexec_b64 s[10:11], vcc
	s_cbranch_execz .LBB667_151
; %bb.150:                              ;   in Loop: Header=BB667_15 Depth=1
	v_and_b32_e32 v40, 7, v32
	v_ffbh_u32_e32 v44, v40
	v_min_u32_e32 v46, 32, v44
	v_subrev_u32_e32 v44, 28, v46
	v_lshlrev_b64 v[44:45], v44, v[32:33]
	v_lshrrev_b32_e32 v43, 3, v34
	v_sub_u32_e32 v45, 29, v46
	v_and_b32_e32 v44, 7, v44
	v_cmp_gt_u32_e32 vcc, 8, v34
	v_cndmask_b32_e32 v34, v43, v45, vcc
	v_cndmask_b32_e32 v40, v40, v44, vcc
	v_lshlrev_b32_e32 v32, 24, v32
	v_lshlrev_b32_e32 v40, 20, v40
	v_and_b32_e32 v32, 0x80000000, v32
	v_lshl_add_u32 v34, v34, 23, v33
	v_or3_b32 v40, v32, v34, v40
.LBB667_151:                            ;   in Loop: Header=BB667_15 Depth=1
	s_or_b64 exec, exec, s[10:11]
.LBB667_152:                            ;   in Loop: Header=BB667_15 Depth=1
	s_or_b64 exec, exec, s[6:7]
.LBB667_153:                            ;   in Loop: Header=BB667_15 Depth=1
	s_or_b64 exec, exec, s[4:5]
	v_cmp_lt_u32_e32 vcc, s15, v30
	v_mov_b32_e32 v34, 0
	v_mov_b32_e32 v43, 0
	s_and_saveexec_b64 s[4:5], vcc
	s_cbranch_execz .LBB667_159
; %bb.154:                              ;   in Loop: Header=BB667_15 Depth=1
	v_lshrrev_b32_e32 v32, 24, v30
	v_cmp_ne_u32_e32 vcc, s13, v32
	v_bfrev_b32_e32 v43, 1
	s_and_saveexec_b64 s[6:7], vcc
	s_cbranch_execz .LBB667_158
; %bb.155:                              ;   in Loop: Header=BB667_15 Depth=1
	v_bfe_u32 v30, v30, 24, 7
	v_cmp_ne_u32_e32 vcc, s14, v30
	v_mov_b32_e32 v43, 0x7f800001
	s_and_saveexec_b64 s[10:11], vcc
	s_cbranch_execz .LBB667_157
; %bb.156:                              ;   in Loop: Header=BB667_15 Depth=1
	v_and_b32_e32 v43, 7, v32
	v_ffbh_u32_e32 v44, v43
	v_min_u32_e32 v47, 32, v44
	v_subrev_u32_e32 v44, 28, v47
	v_lshlrev_b64 v[44:45], v44, v[32:33]
	v_lshrrev_b32_e32 v46, 3, v30
	v_sub_u32_e32 v45, 29, v47
	v_and_b32_e32 v44, 7, v44
	v_cmp_gt_u32_e32 vcc, 8, v30
	v_cndmask_b32_e32 v30, v46, v45, vcc
	v_cndmask_b32_e32 v43, v43, v44, vcc
	v_lshlrev_b32_e32 v32, 24, v32
	v_lshlrev_b32_e32 v43, 20, v43
	v_and_b32_e32 v32, 0x80000000, v32
	v_lshl_add_u32 v30, v30, 23, v33
	v_or3_b32 v43, v32, v30, v43
.LBB667_157:                            ;   in Loop: Header=BB667_15 Depth=1
	s_or_b64 exec, exec, s[10:11]
.LBB667_158:                            ;   in Loop: Header=BB667_15 Depth=1
	s_or_b64 exec, exec, s[6:7]
.LBB667_159:                            ;   in Loop: Header=BB667_15 Depth=1
	s_or_b64 exec, exec, s[4:5]
	v_cvt_pkrtz_f16_f32 v44, v23, v36
	v_cvt_pkrtz_f16_f32 v45, v35, v38
	;; [unrolled: 1-line block ×4, first 2 shown]
	s_waitcnt vmcnt(1)
	v_cmp_ne_u16_sdwa s[6:7], v28, v29 src0_sel:BYTE_0 src1_sel:DWORD
	v_mfma_f32_16x16x16f16 v[18:21], v[44:45], v[10:11], v[18:21]
	v_mfma_f32_16x16x16f16 v[18:21], v[36:37], v[12:13], v[18:21]
	s_and_saveexec_b64 s[4:5], s[6:7]
	s_cbranch_execz .LBB667_165
; %bb.160:                              ;   in Loop: Header=BB667_15 Depth=1
	v_cmp_ne_u16_sdwa s[10:11], v28, s13 src0_sel:BYTE_0 src1_sel:DWORD
	v_bfrev_b32_e32 v34, 1
	s_and_saveexec_b64 s[6:7], s[10:11]
	s_cbranch_execz .LBB667_164
; %bb.161:                              ;   in Loop: Header=BB667_15 Depth=1
	v_and_b32_e32 v23, 0x7f, v28
	v_cmp_ne_u32_e32 vcc, s14, v23
	v_mov_b32_e32 v34, 0x7f800001
	s_and_saveexec_b64 s[10:11], vcc
	s_cbranch_execz .LBB667_163
; %bb.162:                              ;   in Loop: Header=BB667_15 Depth=1
	v_and_b32_e32 v30, 7, v28
	v_ffbh_u32_e32 v34, v30
	v_min_u32_e32 v36, 32, v34
	v_subrev_u32_e32 v34, 28, v36
	v_lshlrev_b64 v[34:35], v34, v[28:29]
	v_lshrrev_b32_e32 v32, 3, v23
	v_sub_u32_e32 v35, 29, v36
	v_and_b32_e32 v34, 7, v34
	v_cmp_gt_u32_e32 vcc, 8, v23
	v_cndmask_b32_e32 v23, v32, v35, vcc
	v_cndmask_b32_e32 v30, v30, v34, vcc
	v_lshlrev_b32_e32 v32, 24, v28
	v_lshlrev_b32_e32 v30, 20, v30
	v_and_b32_e32 v32, 0x80000000, v32
	v_lshl_add_u32 v23, v23, 23, v33
	v_or3_b32 v34, v32, v23, v30
.LBB667_163:                            ;   in Loop: Header=BB667_15 Depth=1
	s_or_b64 exec, exec, s[10:11]
.LBB667_164:                            ;   in Loop: Header=BB667_15 Depth=1
	s_or_b64 exec, exec, s[6:7]
.LBB667_165:                            ;   in Loop: Header=BB667_15 Depth=1
	s_or_b64 exec, exec, s[4:5]
	v_lshrrev_b16_e32 v30, 8, v28
	v_cmp_ne_u16_e32 vcc, 0, v30
	v_mov_b32_e32 v23, 0
	v_mov_b32_e32 v32, 0
	s_and_saveexec_b64 s[4:5], vcc
	s_cbranch_execz .LBB667_171
; %bb.166:                              ;   in Loop: Header=BB667_15 Depth=1
	v_cmp_ne_u16_e32 vcc, s13, v30
	v_bfrev_b32_e32 v32, 1
	s_and_saveexec_b64 s[6:7], vcc
	s_cbranch_execz .LBB667_170
; %bb.167:                              ;   in Loop: Header=BB667_15 Depth=1
	v_and_b32_e32 v35, 0x7f, v30
	v_cmp_ne_u32_e32 vcc, s14, v35
	v_mov_b32_e32 v32, 0x7f800001
	s_and_saveexec_b64 s[10:11], vcc
	s_cbranch_execz .LBB667_169
; %bb.168:                              ;   in Loop: Header=BB667_15 Depth=1
	v_and_b32_e32 v32, 7, v30
	v_ffbh_u32_e32 v36, v32
	v_min_u32_e32 v40, 32, v36
	v_subrev_u32_e32 v36, 28, v40
	v_lshlrev_b64 v[36:37], v36, v[30:31]
	v_lshrrev_b32_e32 v38, 3, v35
	v_sub_u32_e32 v30, 29, v40
	v_and_b32_e32 v36, 7, v36
	v_cmp_gt_u32_e32 vcc, 8, v35
	v_cndmask_b32_e32 v30, v38, v30, vcc
	v_cndmask_b32_e32 v32, v32, v36, vcc
	v_lshlrev_b32_e32 v35, 16, v28
	v_lshlrev_b32_e32 v32, 20, v32
	v_and_b32_e32 v35, 0x80000000, v35
	v_lshl_add_u32 v30, v30, 23, v33
	v_or3_b32 v32, v35, v30, v32
.LBB667_169:                            ;   in Loop: Header=BB667_15 Depth=1
	s_or_b64 exec, exec, s[10:11]
.LBB667_170:                            ;   in Loop: Header=BB667_15 Depth=1
	s_or_b64 exec, exec, s[6:7]
.LBB667_171:                            ;   in Loop: Header=BB667_15 Depth=1
	s_or_b64 exec, exec, s[4:5]
	v_lshrrev_b32_e32 v30, 16, v28
	v_cmp_ne_u16_sdwa s[6:7], v30, v29 src0_sel:BYTE_0 src1_sel:DWORD
	s_and_saveexec_b64 s[4:5], s[6:7]
	s_cbranch_execz .LBB667_177
; %bb.172:                              ;   in Loop: Header=BB667_15 Depth=1
	v_cmp_ne_u16_sdwa s[10:11], v30, s13 src0_sel:BYTE_0 src1_sel:DWORD
	v_bfrev_b32_e32 v23, 1
	s_and_saveexec_b64 s[6:7], s[10:11]
	s_cbranch_execz .LBB667_176
; %bb.173:                              ;   in Loop: Header=BB667_15 Depth=1
	v_bfe_u32 v35, v28, 16, 7
	v_cmp_ne_u32_e32 vcc, s14, v35
	v_mov_b32_e32 v23, 0x7f800001
	s_and_saveexec_b64 s[10:11], vcc
	s_cbranch_execz .LBB667_175
; %bb.174:                              ;   in Loop: Header=BB667_15 Depth=1
	v_and_b32_e32 v23, 7, v30
	v_ffbh_u32_e32 v36, v23
	v_min_u32_e32 v40, 32, v36
	v_subrev_u32_e32 v36, 28, v40
	v_lshlrev_b64 v[36:37], v36, v[30:31]
	v_lshrrev_b32_e32 v38, 3, v35
	v_sub_u32_e32 v37, 29, v40
	v_and_b32_e32 v36, 7, v36
	v_cmp_gt_u32_e32 vcc, 8, v35
	v_cndmask_b32_e32 v35, v38, v37, vcc
	v_cndmask_b32_e32 v23, v23, v36, vcc
	v_lshlrev_b32_e32 v30, 24, v30
	v_lshlrev_b32_e32 v23, 20, v23
	v_and_b32_e32 v30, 0x80000000, v30
	v_lshl_add_u32 v35, v35, 23, v33
	v_or3_b32 v23, v30, v35, v23
.LBB667_175:                            ;   in Loop: Header=BB667_15 Depth=1
	s_or_b64 exec, exec, s[10:11]
.LBB667_176:                            ;   in Loop: Header=BB667_15 Depth=1
	s_or_b64 exec, exec, s[6:7]
.LBB667_177:                            ;   in Loop: Header=BB667_15 Depth=1
	s_or_b64 exec, exec, s[4:5]
	v_cmp_lt_u32_e32 vcc, s15, v28
	v_mov_b32_e32 v35, 0
	v_mov_b32_e32 v36, 0
	s_and_saveexec_b64 s[4:5], vcc
	s_cbranch_execz .LBB667_183
; %bb.178:                              ;   in Loop: Header=BB667_15 Depth=1
	v_lshrrev_b32_e32 v30, 24, v28
	v_cmp_ne_u32_e32 vcc, s13, v30
	v_bfrev_b32_e32 v36, 1
	s_and_saveexec_b64 s[6:7], vcc
	s_cbranch_execz .LBB667_182
; %bb.179:                              ;   in Loop: Header=BB667_15 Depth=1
	v_bfe_u32 v28, v28, 24, 7
	v_cmp_ne_u32_e32 vcc, s14, v28
	v_mov_b32_e32 v36, 0x7f800001
	s_and_saveexec_b64 s[10:11], vcc
	s_cbranch_execz .LBB667_181
; %bb.180:                              ;   in Loop: Header=BB667_15 Depth=1
	v_and_b32_e32 v38, 7, v30
	v_ffbh_u32_e32 v36, v38
	v_min_u32_e32 v42, 32, v36
	v_subrev_u32_e32 v36, 28, v42
	v_lshlrev_b64 v[36:37], v36, v[30:31]
	v_lshrrev_b32_e32 v40, 3, v28
	v_sub_u32_e32 v37, 29, v42
	v_and_b32_e32 v36, 7, v36
	v_cmp_gt_u32_e32 vcc, 8, v28
	v_cndmask_b32_e32 v28, v40, v37, vcc
	v_cndmask_b32_e32 v36, v38, v36, vcc
	v_lshlrev_b32_e32 v30, 24, v30
	v_lshlrev_b32_e32 v36, 20, v36
	v_and_b32_e32 v30, 0x80000000, v30
	v_lshl_add_u32 v28, v28, 23, v33
	v_or3_b32 v36, v30, v28, v36
.LBB667_181:                            ;   in Loop: Header=BB667_15 Depth=1
	s_or_b64 exec, exec, s[10:11]
.LBB667_182:                            ;   in Loop: Header=BB667_15 Depth=1
	s_or_b64 exec, exec, s[6:7]
.LBB667_183:                            ;   in Loop: Header=BB667_15 Depth=1
	s_or_b64 exec, exec, s[4:5]
	s_waitcnt vmcnt(0)
	v_cmp_ne_u16_sdwa s[6:7], v26, v29 src0_sel:BYTE_0 src1_sel:DWORD
	s_and_saveexec_b64 s[4:5], s[6:7]
	s_cbranch_execz .LBB667_189
; %bb.184:                              ;   in Loop: Header=BB667_15 Depth=1
	v_cmp_ne_u16_sdwa s[10:11], v26, s13 src0_sel:BYTE_0 src1_sel:DWORD
	v_bfrev_b32_e32 v35, 1
	s_and_saveexec_b64 s[6:7], s[10:11]
	s_cbranch_execz .LBB667_188
; %bb.185:                              ;   in Loop: Header=BB667_15 Depth=1
	v_and_b32_e32 v28, 0x7f, v26
	v_cmp_ne_u32_e32 vcc, s14, v28
	v_mov_b32_e32 v35, 0x7f800001
	s_and_saveexec_b64 s[10:11], vcc
	s_cbranch_execz .LBB667_187
; %bb.186:                              ;   in Loop: Header=BB667_15 Depth=1
	v_and_b32_e32 v30, 7, v26
	v_ffbh_u32_e32 v37, v30
	v_min_u32_e32 v37, 32, v37
	v_subrev_u32_e32 v38, 28, v37
	v_lshlrev_b64 v[42:43], v38, v[26:27]
	v_lshrrev_b32_e32 v35, 3, v28
	v_sub_u32_e32 v37, 29, v37
	v_and_b32_e32 v38, 7, v42
	v_cmp_gt_u32_e32 vcc, 8, v28
	v_cndmask_b32_e32 v28, v35, v37, vcc
	v_cndmask_b32_e32 v30, v30, v38, vcc
	v_lshlrev_b32_e32 v35, 24, v26
	v_lshlrev_b32_e32 v30, 20, v30
	v_and_b32_e32 v35, 0x80000000, v35
	v_lshl_add_u32 v28, v28, 23, v33
	v_or3_b32 v35, v35, v28, v30
.LBB667_187:                            ;   in Loop: Header=BB667_15 Depth=1
	s_or_b64 exec, exec, s[10:11]
.LBB667_188:                            ;   in Loop: Header=BB667_15 Depth=1
	s_or_b64 exec, exec, s[6:7]
.LBB667_189:                            ;   in Loop: Header=BB667_15 Depth=1
	s_or_b64 exec, exec, s[4:5]
	v_lshrrev_b16_e32 v28, 8, v26
	v_cmp_ne_u16_e32 vcc, 0, v28
	v_mov_b32_e32 v30, 0
	v_mov_b32_e32 v37, 0
	s_and_saveexec_b64 s[4:5], vcc
	s_cbranch_execz .LBB667_195
; %bb.190:                              ;   in Loop: Header=BB667_15 Depth=1
	v_cmp_ne_u16_e32 vcc, s13, v28
	v_bfrev_b32_e32 v37, 1
	s_and_saveexec_b64 s[6:7], vcc
	s_cbranch_execz .LBB667_194
; %bb.191:                              ;   in Loop: Header=BB667_15 Depth=1
	v_and_b32_e32 v38, 0x7f, v28
	v_cmp_ne_u32_e32 vcc, s14, v38
	v_mov_b32_e32 v37, 0x7f800001
	s_and_saveexec_b64 s[10:11], vcc
	s_cbranch_execz .LBB667_193
; %bb.192:                              ;   in Loop: Header=BB667_15 Depth=1
	v_and_b32_e32 v37, 7, v28
	v_ffbh_u32_e32 v42, v37
	v_min_u32_e32 v44, 32, v42
	v_subrev_u32_e32 v42, 28, v44
	v_lshlrev_b64 v[42:43], v42, v[28:29]
	v_lshrrev_b32_e32 v40, 3, v38
	v_sub_u32_e32 v28, 29, v44
	v_and_b32_e32 v42, 7, v42
	v_cmp_gt_u32_e32 vcc, 8, v38
	v_cndmask_b32_e32 v28, v40, v28, vcc
	v_cndmask_b32_e32 v37, v37, v42, vcc
	v_lshlrev_b32_e32 v38, 16, v26
	v_lshlrev_b32_e32 v37, 20, v37
	v_and_b32_e32 v38, 0x80000000, v38
	v_lshl_add_u32 v28, v28, 23, v33
	v_or3_b32 v37, v38, v28, v37
.LBB667_193:                            ;   in Loop: Header=BB667_15 Depth=1
	s_or_b64 exec, exec, s[10:11]
.LBB667_194:                            ;   in Loop: Header=BB667_15 Depth=1
	s_or_b64 exec, exec, s[6:7]
.LBB667_195:                            ;   in Loop: Header=BB667_15 Depth=1
	s_or_b64 exec, exec, s[4:5]
	v_lshrrev_b32_e32 v28, 16, v26
	v_cmp_ne_u16_sdwa s[6:7], v28, v29 src0_sel:BYTE_0 src1_sel:DWORD
	s_and_saveexec_b64 s[4:5], s[6:7]
	s_cbranch_execz .LBB667_201
; %bb.196:                              ;   in Loop: Header=BB667_15 Depth=1
	v_cmp_ne_u16_sdwa s[10:11], v28, s13 src0_sel:BYTE_0 src1_sel:DWORD
	v_bfrev_b32_e32 v30, 1
	s_and_saveexec_b64 s[6:7], s[10:11]
	s_cbranch_execz .LBB667_200
; %bb.197:                              ;   in Loop: Header=BB667_15 Depth=1
	v_bfe_u32 v38, v26, 16, 7
	v_cmp_ne_u32_e32 vcc, s14, v38
	v_mov_b32_e32 v30, 0x7f800001
	s_and_saveexec_b64 s[10:11], vcc
	s_cbranch_execz .LBB667_199
; %bb.198:                              ;   in Loop: Header=BB667_15 Depth=1
	v_and_b32_e32 v30, 7, v28
	v_ffbh_u32_e32 v42, v30
	v_min_u32_e32 v44, 32, v42
	v_subrev_u32_e32 v42, 28, v44
	v_lshlrev_b64 v[42:43], v42, v[28:29]
	v_lshrrev_b32_e32 v40, 3, v38
	v_sub_u32_e32 v43, 29, v44
	v_and_b32_e32 v42, 7, v42
	v_cmp_gt_u32_e32 vcc, 8, v38
	v_cndmask_b32_e32 v38, v40, v43, vcc
	v_cndmask_b32_e32 v30, v30, v42, vcc
	v_lshlrev_b32_e32 v28, 24, v28
	v_lshlrev_b32_e32 v30, 20, v30
	v_and_b32_e32 v28, 0x80000000, v28
	v_lshl_add_u32 v38, v38, 23, v33
	v_or3_b32 v30, v28, v38, v30
.LBB667_199:                            ;   in Loop: Header=BB667_15 Depth=1
	s_or_b64 exec, exec, s[10:11]
.LBB667_200:                            ;   in Loop: Header=BB667_15 Depth=1
	s_or_b64 exec, exec, s[6:7]
.LBB667_201:                            ;   in Loop: Header=BB667_15 Depth=1
	s_or_b64 exec, exec, s[4:5]
	v_cmp_lt_u32_e32 vcc, s15, v26
	v_mov_b32_e32 v38, 0
	s_and_saveexec_b64 s[4:5], vcc
	s_cbranch_execz .LBB667_14
; %bb.202:                              ;   in Loop: Header=BB667_15 Depth=1
	v_lshrrev_b32_e32 v28, 24, v26
	v_cmp_ne_u32_e32 vcc, s13, v28
	v_bfrev_b32_e32 v38, 1
	s_and_saveexec_b64 s[6:7], vcc
	s_cbranch_execz .LBB667_13
; %bb.203:                              ;   in Loop: Header=BB667_15 Depth=1
	v_bfe_u32 v26, v26, 24, 7
	v_cmp_ne_u32_e32 vcc, s14, v26
	v_mov_b32_e32 v38, 0x7f800001
	s_and_saveexec_b64 s[10:11], vcc
	s_cbranch_execz .LBB667_12
; %bb.204:                              ;   in Loop: Header=BB667_15 Depth=1
	v_and_b32_e32 v38, 7, v28
	v_ffbh_u32_e32 v42, v38
	v_min_u32_e32 v44, 32, v42
	v_subrev_u32_e32 v42, 28, v44
	v_lshlrev_b64 v[42:43], v42, v[28:29]
	v_lshrrev_b32_e32 v40, 3, v26
	v_sub_u32_e32 v43, 29, v44
	v_and_b32_e32 v42, 7, v42
	v_cmp_gt_u32_e32 vcc, 8, v26
	v_cndmask_b32_e32 v26, v40, v43, vcc
	v_cndmask_b32_e32 v38, v38, v42, vcc
	v_lshlrev_b32_e32 v28, 24, v28
	v_lshlrev_b32_e32 v38, 20, v38
	v_and_b32_e32 v28, 0x80000000, v28
	v_lshl_add_u32 v26, v26, 23, v33
	v_or3_b32 v38, v28, v26, v38
	s_branch .LBB667_12
.LBB667_205:
	buffer_load_dword v13, off, s[0:3], 0 offset:256
	buffer_load_dword v14, off, s[0:3], 0 offset:260
	;; [unrolled: 1-line block ×16, first 2 shown]
	v_and_b32_e32 v12, 0xc0, v0
	v_add_u32_e32 v12, s20, v12
	v_lshl_or_b32 v12, v1, 2, v12
	v_or_b32_e32 v23, 1, v12
	v_mov_b32_e32 v19, 0xff7fffff
	v_or_b32_e32 v24, 2, v12
	v_or_b32_e32 v25, 3, v12
	v_cmp_gt_i32_e64 s[26:27], s33, v12
	v_cmp_gt_i32_e64 s[28:29], s33, v23
	s_mov_b32 s52, 0xff7fffff
	v_or_b32_e32 v26, 16, v12
	v_or_b32_e32 v27, 17, v12
	;; [unrolled: 1-line block ×12, first 2 shown]
	v_cmp_gt_i32_e64 s[30:31], s33, v24
	v_cmp_gt_i32_e64 s[34:35], s33, v25
	v_mbcnt_lo_u32_b32 v20, -1, 0
	v_cmp_gt_i32_e64 s[36:37], s33, v26
	v_cmp_gt_i32_e64 s[38:39], s33, v27
	v_mbcnt_hi_u32_b32 v20, -1, v20
	v_cmp_gt_i32_e64 s[20:21], s33, v28
	v_cmp_gt_i32_e64 s[22:23], s33, v29
	v_and_b32_e32 v21, 64, v20
	v_cmp_gt_i32_e64 s[16:17], s33, v30
	v_cmp_gt_i32_e64 s[18:19], s33, v31
	v_xor_b32_e32 v22, 32, v20
	v_add_u32_e32 v21, 64, v21
	v_cmp_gt_i32_e64 s[12:13], s33, v32
	v_cmp_gt_i32_e64 s[14:15], s33, v33
	v_cmp_lt_i32_e32 vcc, v22, v21
	v_cmp_gt_i32_e64 s[6:7], s33, v34
	v_cmp_gt_i32_e64 s[10:11], s33, v35
	v_cndmask_b32_e32 v22, v20, v22, vcc
	v_cmp_gt_i32_e32 vcc, s33, v36
	v_cmp_gt_i32_e64 s[4:5], s33, v37
	v_lshlrev_b32_e32 v22, 2, v22
	s_waitcnt vmcnt(15)
	v_cndmask_b32_e64 v12, v19, v13, s[26:27]
	s_waitcnt vmcnt(14)
	v_cndmask_b32_e64 v23, v19, v14, s[28:29]
	s_waitcnt vmcnt(13)
	v_cndmask_b32_e64 v24, v19, v15, s[30:31]
	s_waitcnt vmcnt(12)
	v_cndmask_b32_e64 v25, v19, v16, s[34:35]
	v_max3_f32 v12, v12, s52, v23
	s_waitcnt vmcnt(11)
	v_cndmask_b32_e64 v26, v19, v17, s[36:37]
	s_waitcnt vmcnt(10)
	v_cndmask_b32_e64 v27, v19, v18, s[38:39]
	v_max3_f32 v12, v12, v24, v25
	s_waitcnt vmcnt(9)
	v_cndmask_b32_e64 v28, v19, v11, s[20:21]
	s_waitcnt vmcnt(8)
	v_cndmask_b32_e64 v29, v19, v10, s[22:23]
	;; [unrolled: 5-line block ×5, first 2 shown]
	v_max3_f32 v12, v12, v32, v33
	s_waitcnt vmcnt(1)
	v_cndmask_b32_e32 v36, v19, v3, vcc
	s_waitcnt vmcnt(0)
	v_cndmask_b32_e64 v19, v19, v2, s[4:5]
	v_max3_f32 v12, v12, v34, v35
	v_max3_f32 v12, v12, v36, v19
	ds_bpermute_b32 v19, v22, v12
	v_xor_b32_e32 v23, 16, v20
	v_cmp_lt_i32_e64 s[40:41], v23, v21
	v_cndmask_b32_e64 v20, v20, v23, s[40:41]
	v_lshlrev_b32_e32 v20, 2, v20
	s_waitcnt lgkmcnt(0)
	v_max_f32_e32 v19, v19, v19
	v_max_f32_e32 v12, v12, v19
	ds_bpermute_b32 v19, v20, v12
	s_waitcnt lgkmcnt(0)
	v_max_f32_e32 v19, v19, v19
	v_max_f32_e32 v12, v12, v19
	v_sub_f32_e32 v13, v13, v12
	v_sub_f32_e32 v14, v14, v12
	;; [unrolled: 1-line block ×3, first 2 shown]
	v_mul_f32_e32 v13, 0x3fb8aa3b, v13
	v_mul_f32_e32 v14, 0x3fb8aa3b, v14
	;; [unrolled: 1-line block ×3, first 2 shown]
	v_exp_f32_e32 v13, v13
	v_exp_f32_e32 v14, v14
	;; [unrolled: 1-line block ×3, first 2 shown]
	v_sub_f32_e32 v16, v16, v12
	v_cndmask_b32_e64 v13, 0, v13, s[26:27]
	v_mul_f32_e32 v16, 0x3fb8aa3b, v16
	v_cndmask_b32_e64 v14, 0, v14, s[28:29]
	v_cndmask_b32_e64 v15, 0, v15, s[30:31]
	v_add_f32_e32 v19, 0, v13
	buffer_store_dword v13, off, s[0:3], 0 offset:256
	buffer_store_dword v14, off, s[0:3], 0 offset:260
	;; [unrolled: 1-line block ×3, first 2 shown]
	v_sub_f32_e32 v13, v17, v12
	v_exp_f32_e32 v16, v16
	v_add_f32_e32 v19, v19, v14
	v_mul_f32_e32 v13, 0x3fb8aa3b, v13
	v_sub_f32_e32 v14, v18, v12
	v_exp_f32_e32 v13, v13
	v_mul_f32_e32 v14, 0x3fb8aa3b, v14
	v_sub_f32_e32 v11, v11, v12
	v_exp_f32_e32 v14, v14
	;; [unrolled: 3-line block ×3, first 2 shown]
	v_mul_f32_e32 v10, 0x3fb8aa3b, v10
	v_sub_f32_e32 v9, v9, v12
	v_cndmask_b32_e64 v16, 0, v16, s[34:35]
	v_add_f32_e32 v19, v19, v15
	v_exp_f32_e32 v10, v10
	v_mul_f32_e32 v9, 0x3fb8aa3b, v9
	v_sub_f32_e32 v8, v8, v12
	v_add_f32_e32 v19, v19, v16
	v_cndmask_b32_e64 v13, 0, v13, s[36:37]
	v_exp_f32_e32 v9, v9
	v_mul_f32_e32 v8, 0x3fb8aa3b, v8
	v_sub_f32_e32 v7, v7, v12
	v_add_f32_e32 v15, v19, v13
	v_cndmask_b32_e64 v14, 0, v14, s[38:39]
	v_exp_f32_e32 v8, v8
	v_mul_f32_e32 v7, 0x3fb8aa3b, v7
	v_sub_f32_e32 v6, v6, v12
	v_add_f32_e32 v15, v15, v14
	v_cndmask_b32_e64 v11, 0, v11, s[20:21]
	v_exp_f32_e32 v7, v7
	v_mul_f32_e32 v6, 0x3fb8aa3b, v6
	v_sub_f32_e32 v5, v5, v12
	v_add_f32_e32 v15, v15, v11
	v_cndmask_b32_e64 v10, 0, v10, s[22:23]
	v_exp_f32_e32 v6, v6
	v_mul_f32_e32 v5, 0x3fb8aa3b, v5
	v_sub_f32_e32 v4, v4, v12
	v_add_f32_e32 v15, v15, v10
	v_cndmask_b32_e64 v9, 0, v9, s[16:17]
	v_exp_f32_e32 v5, v5
	v_mul_f32_e32 v4, 0x3fb8aa3b, v4
	v_sub_f32_e32 v3, v3, v12
	buffer_store_dword v16, off, s[0:3], 0 offset:268
	buffer_store_dword v13, off, s[0:3], 0 offset:272
	;; [unrolled: 1-line block ×5, first 2 shown]
	v_add_f32_e32 v10, v15, v9
	v_cndmask_b32_e64 v8, 0, v8, s[18:19]
	v_exp_f32_e32 v4, v4
	v_mul_f32_e32 v3, 0x3fb8aa3b, v3
	v_sub_f32_e32 v2, v2, v12
	v_add_f32_e32 v10, v10, v8
	v_cndmask_b32_e64 v7, 0, v7, s[12:13]
	v_exp_f32_e32 v3, v3
	v_mul_f32_e32 v2, 0x3fb8aa3b, v2
	v_add_f32_e32 v10, v10, v7
	v_cndmask_b32_e64 v6, 0, v6, s[14:15]
	v_exp_f32_e32 v2, v2
	v_add_f32_e32 v10, v10, v6
	v_cndmask_b32_e64 v5, 0, v5, s[6:7]
	buffer_store_dword v9, off, s[0:3], 0 offset:288
	buffer_store_dword v8, off, s[0:3], 0 offset:292
	;; [unrolled: 1-line block ×4, first 2 shown]
	v_add_f32_e32 v6, v10, v5
	v_cndmask_b32_e64 v4, 0, v4, s[10:11]
	v_add_f32_e32 v6, v6, v4
	v_cndmask_b32_e32 v3, 0, v3, vcc
	v_add_f32_e32 v6, v6, v3
	v_cndmask_b32_e64 v2, 0, v2, s[4:5]
	v_add_f32_e32 v6, v6, v2
	ds_bpermute_b32 v7, v22, v6
	buffer_store_dword v5, off, s[0:3], 0 offset:304
	buffer_store_dword v4, off, s[0:3], 0 offset:308
	;; [unrolled: 1-line block ×4, first 2 shown]
	v_cmp_gt_u32_e32 vcc, 16, v64
	s_waitcnt lgkmcnt(0)
	s_barrier
	v_add_f32_e32 v2, v6, v7
	ds_bpermute_b32 v3, v20, v2
	s_waitcnt lgkmcnt(0)
	s_and_saveexec_b64 s[4:5], vcc
	s_cbranch_execz .LBB667_207
; %bb.206:
	v_add_f32_e32 v2, v2, v3
	v_lshlrev_b32_e32 v3, 2, v63
	ds_write2st64_b32 v3, v12, v2 offset1:1
.LBB667_207:
	s_or_b64 exec, exec, s[4:5]
	v_lshlrev_b32_e32 v2, 2, v55
	s_waitcnt lgkmcnt(0)
	s_barrier
	ds_read2_b32 v[12:13], v2 offset1:16
	ds_read2_b32 v[14:15], v2 offset0:32 offset1:48
	ds_read2_b32 v[6:7], v2 offset0:64 offset1:80
	ds_read2_b32 v[10:11], v2 offset0:96 offset1:112
	s_waitcnt lgkmcnt(0)
	s_barrier
	buffer_load_dword v20, off, s[0:3], 0 offset:256
	buffer_load_dword v21, off, s[0:3], 0 offset:260
	;; [unrolled: 1-line block ×16, first 2 shown]
	v_lshlrev_b32_e32 v19, 3, v1
	v_lshlrev_b32_e32 v18, 5, v55
	;; [unrolled: 1-line block ×3, first 2 shown]
	v_or3_b32 v43, v28, v18, v19
	v_max3_f32 v19, v12, s52, v13
	v_max3_f32 v19, v19, v14, v15
	v_sub_f32_e32 v12, v12, v19
	v_sub_f32_e32 v13, v13, v19
	v_mul_f32_e32 v12, 0x3fb8aa3b, v12
	v_sub_f32_e32 v14, v14, v19
	v_mul_f32_e32 v13, 0x3fb8aa3b, v13
	v_exp_f32_e32 v12, v12
	v_sub_f32_e32 v15, v15, v19
	v_mul_f32_e32 v14, 0x3fb8aa3b, v14
	v_exp_f32_e32 v13, v13
	v_mul_f32_e32 v15, 0x3fb8aa3b, v15
	v_exp_f32_e32 v14, v14
	v_exp_f32_e32 v15, v15
	v_fma_f32 v6, v12, v6, 0
	v_fmac_f32_e32 v6, v13, v7
	v_fmac_f32_e32 v6, v14, v10
	;; [unrolled: 1-line block ×3, first 2 shown]
	v_cmp_eq_u32_e32 vcc, 1, v62
	v_add_f32_e32 v10, 0x358637bd, v6
	v_cndmask_b32_e32 v12, v12, v13, vcc
	v_cmp_eq_u32_e32 vcc, 2, v62
	v_div_scale_f32 v11, s[4:5], v10, v10, 1.0
	v_cndmask_b32_e32 v7, v12, v14, vcc
	v_rcp_f32_e32 v12, v11
	v_cmp_eq_u32_e32 vcc, 3, v62
	v_cndmask_b32_e32 v7, v7, v15, vcc
	v_div_scale_f32 v13, vcc, 1.0, v10, 1.0
	v_fma_f32 v14, -v11, v12, 1.0
	v_fmac_f32_e32 v12, v14, v12
	v_mul_f32_e32 v14, v13, v12
	v_fma_f32 v15, -v11, v14, v13
	v_fmac_f32_e32 v14, v15, v12
	v_fma_f32 v11, -v11, v14, v13
	v_div_fmas_f32 v11, v11, v12, v14
	v_div_fixup_f32 v10, v11, v10, 1.0
	v_mul_f32_e32 v10, v7, v10
	s_mul_i32 s18, s51, 14
	v_cmp_gt_u32_e32 vcc, 14, v0
	s_waitcnt vmcnt(14)
	v_pk_mul_f32 v[14:15], v[10:11], v[20:21] op_sel_hi:[0,1]
	v_cvt_f16_f32_e32 v7, v14
	s_waitcnt vmcnt(12)
	v_pk_mul_f32 v[12:13], v[10:11], v[22:23] op_sel_hi:[0,1]
	buffer_store_dword v14, off, s[0:3], 0 offset:256
	buffer_store_dword v15, off, s[0:3], 0 offset:260
	;; [unrolled: 1-line block ×3, first 2 shown]
	s_waitcnt vmcnt(13)
	v_pk_mul_f32 v[20:21], v[10:11], v[24:25] op_sel_hi:[0,1]
	v_cvt_f16_f32_e32 v14, v12
	s_waitcnt vmcnt(11)
	v_pk_mul_f32 v[22:23], v[10:11], v[26:27] op_sel_hi:[0,1]
	v_cvt_f16_f32_e32 v11, v15
	v_cvt_f16_f32_e32 v15, v13
	buffer_store_dword v13, off, s[0:3], 0 offset:268
	buffer_store_dword v22, off, s[0:3], 0 offset:272
	;; [unrolled: 1-line block ×3, first 2 shown]
	v_pack_b32_f16 v12, v7, v11
	v_cvt_f16_f32_e32 v11, v23
	v_pack_b32_f16 v13, v14, v15
	v_cvt_f16_f32_e32 v7, v22
	v_cvt_f16_f32_e32 v15, v20
	;; [unrolled: 1-line block ×3, first 2 shown]
	s_waitcnt vmcnt(12)
	v_pk_mul_f32 v[4:5], v[10:11], v[4:5] op_sel_hi:[0,1]
	v_pack_b32_f16 v14, v7, v11
	s_waitcnt vmcnt(10)
	v_pk_mul_f32 v[2:3], v[10:11], v[2:3] op_sel_hi:[0,1]
	v_pack_b32_f16 v15, v15, v22
	v_cvt_f16_f32_e32 v11, v5
	buffer_store_dword v20, off, s[0:3], 0 offset:280
	buffer_store_dword v21, off, s[0:3], 0 offset:284
	ds_write2st64_b64 v43, v[12:13], v[14:15] offset1:1
	buffer_store_dword v2, off, s[0:3], 0 offset:288
	buffer_store_dword v3, off, s[0:3], 0 offset:292
	v_cvt_f16_f32_e32 v2, v2
	v_cvt_f16_f32_e32 v3, v3
	;; [unrolled: 1-line block ×3, first 2 shown]
	buffer_store_dword v4, off, s[0:3], 0 offset:296
	buffer_store_dword v5, off, s[0:3], 0 offset:300
	s_waitcnt vmcnt(12)
	v_pk_mul_f32 v[4:5], v[10:11], v[16:17] op_sel_hi:[0,1]
	v_pk_mul_f32 v[8:9], v[10:11], v[8:9] op_sel_hi:[0,1]
	v_pack_b32_f16 v2, v2, v3
	v_pack_b32_f16 v3, v7, v11
	buffer_store_dword v8, off, s[0:3], 0 offset:304
	buffer_store_dword v9, off, s[0:3], 0 offset:308
	v_cvt_f16_f32_e32 v7, v8
	v_cvt_f16_f32_e32 v8, v9
	;; [unrolled: 1-line block ×4, first 2 shown]
	buffer_store_dword v4, off, s[0:3], 0 offset:312
	buffer_store_dword v5, off, s[0:3], 0 offset:316
	v_pack_b32_f16 v4, v7, v8
	v_pack_b32_f16 v5, v9, v10
	ds_write2st64_b64 v43, v[2:3], v[4:5] offset0:2 offset1:3
	s_and_saveexec_b64 s[4:5], vcc
	s_cbranch_execz .LBB667_209
; %bb.208:
	v_add_co_u32_e32 v4, vcc, s25, v55
	v_addc_co_u32_e64 v5, s[6:7], 0, 0, vcc
	v_mov_b32_e32 v2, s18
	v_mad_u64_u32 v[4:5], s[6:7], s8, v2, v[4:5]
	v_mov_b32_e32 v3, 0
	s_mul_i32 s6, s9, s18
	v_mov_b32_e32 v2, s24
	v_add_u32_e32 v5, s6, v5
	v_mad_u64_u32 v[2:3], s[6:7], v4, s50, v[2:3]
	v_mov_b32_e32 v4, v3
	v_mad_u64_u32 v[4:5], s[6:7], v5, s50, v[4:5]
	v_mov_b32_e32 v3, v4
	v_lshlrev_b64 v[2:3], 2, v[2:3]
	v_mov_b32_e32 v5, s47
	v_add_co_u32_e32 v4, vcc, s46, v2
	v_addc_co_u32_e32 v5, vcc, v5, v3, vcc
	global_store_dword v[4:5], v19, off
	v_mov_b32_e32 v4, s45
	v_add_co_u32_e32 v2, vcc, s44, v2
	v_addc_co_u32_e32 v3, vcc, v4, v3, vcc
	global_store_dword v[2:3], v6, off
.LBB667_209:
	s_or_b64 exec, exec, s[4:5]
	v_lshl_or_b32 v30, v1, 9, v18
	s_waitcnt lgkmcnt(0)
	s_barrier
	s_load_dword s4, s[42:43], 0x0
	ds_read_b128 v[2:5], v30
	ds_read_b128 v[6:9], v30 offset:16
	ds_read_b128 v[10:13], v30 offset:2048
	;; [unrolled: 1-line block ×7, first 2 shown]
	v_mov_b32_e32 v35, 0x80
	v_mov_b32_e32 v45, 0x140
	s_mov_b64 s[10:11], -1
	s_waitcnt lgkmcnt(0)
	s_mov_b32 s5, s4
	s_mov_b32 s6, s4
	;; [unrolled: 1-line block ×3, first 2 shown]
	s_movk_i32 s9, 0x80
	s_movk_i32 s19, 0x7f
	s_mov_b32 s20, 0xffffff
	v_mov_b32_e32 v47, 0
	v_bfrev_b32_e32 v48, 60
	s_branch .LBB667_213
.LBB667_210:                            ;   in Loop: Header=BB667_213 Depth=1
	s_or_b64 exec, exec, s[16:17]
.LBB667_211:                            ;   in Loop: Header=BB667_213 Depth=1
	s_or_b64 exec, exec, s[14:15]
.LBB667_212:                            ;   in Loop: Header=BB667_213 Depth=1
	s_or_b64 exec, exec, s[12:13]
	v_cvt_pkrtz_f16_f32 v40, v41, v46
	v_cvt_pkrtz_f16_f32 v41, v44, v50
	s_xor_b64 s[12:13], s[10:11], -1
	s_mov_b64 s[10:11], 0
	v_mov_b32_e32 v61, v58
	v_mfma_f32_16x16x16f16 v[62:65], v[40:41], v[30:31], v[34:37]
	v_mov_b32_e32 v60, v59
	s_and_b64 vcc, exec, s[12:13]
	s_nop 4
	v_cvt_pkrtz_f16_f32 v36, v49, v51
	v_cvt_pkrtz_f16_f32 v37, v42, v52
	v_mov_b32_e32 v35, v57
	s_nop 0
	v_mfma_f32_16x16x16f16 v[50:53], v[36:37], v[32:33], v[62:65]
	s_nop 7
	s_nop 2
	v_pk_mul_f32 v[40:41], v[50:51], s[4:5]
	v_pk_mul_f32 v[36:37], v[52:53], s[6:7]
	v_cvt_f16_f32_e32 v34, v40
	v_cvt_f16_f32_e32 v38, v41
	;; [unrolled: 1-line block ×4, first 2 shown]
	v_mov_b32_e32 v41, v39
	v_pack_b32_f16 v34, v34, v38
	v_pack_b32_f16 v36, v36, v37
	buffer_store_dword v34, v45, s[0:3], 0 offen
	buffer_store_dword v36, v45, s[0:3], 0 offen offset:4
	v_mov_b32_e32 v45, 0x148
	s_cbranch_vccnz .LBB667_595
.LBB667_213:                            ; =>This Inner Loop Header: Depth=1
	buffer_load_dword v36, v35, s[0:3], 0 offen
	buffer_load_dword v34, v35, s[0:3], 0 offen offset:4
	buffer_load_dword v40, v35, s[0:3], 0 offen offset:8
	;; [unrolled: 1-line block ×3, first 2 shown]
	v_mov_b32_e32 v35, 0
	s_waitcnt vmcnt(3)
	v_cmp_ne_u16_sdwa s[14:15], v36, v47 src0_sel:BYTE_0 src1_sel:DWORD
	s_and_saveexec_b64 s[12:13], s[14:15]
	s_cbranch_execz .LBB667_219
; %bb.214:                              ;   in Loop: Header=BB667_213 Depth=1
	v_cmp_ne_u16_sdwa s[16:17], v36, s9 src0_sel:BYTE_0 src1_sel:DWORD
	v_bfrev_b32_e32 v35, 1
	s_and_saveexec_b64 s[14:15], s[16:17]
	s_cbranch_execz .LBB667_218
; %bb.215:                              ;   in Loop: Header=BB667_213 Depth=1
	v_and_b32_e32 v37, 0x7f, v36
	v_cmp_ne_u32_e32 vcc, s19, v37
	v_mov_b32_e32 v35, 0x7f800001
	s_and_saveexec_b64 s[16:17], vcc
	s_cbranch_execz .LBB667_217
; %bb.216:                              ;   in Loop: Header=BB667_213 Depth=1
	v_and_b32_e32 v35, 7, v36
	v_ffbh_u32_e32 v44, v35
	v_min_u32_e32 v44, 32, v44
	v_subrev_u32_e32 v46, 28, v44
	v_lshlrev_b64 v[50:51], v46, v[36:37]
	v_lshrrev_b32_e32 v42, 3, v37
	v_sub_u32_e32 v44, 29, v44
	v_and_b32_e32 v46, 7, v50
	v_cmp_gt_u32_e32 vcc, 8, v37
	v_cndmask_b32_e32 v37, v42, v44, vcc
	v_cndmask_b32_e32 v35, v35, v46, vcc
	v_lshlrev_b32_e32 v42, 24, v36
	v_lshlrev_b32_e32 v35, 20, v35
	v_and_b32_e32 v42, 0x80000000, v42
	v_lshl_add_u32 v37, v37, 23, v48
	v_or3_b32 v35, v42, v37, v35
.LBB667_217:                            ;   in Loop: Header=BB667_213 Depth=1
	s_or_b64 exec, exec, s[16:17]
.LBB667_218:                            ;   in Loop: Header=BB667_213 Depth=1
	s_or_b64 exec, exec, s[14:15]
.LBB667_219:                            ;   in Loop: Header=BB667_213 Depth=1
	s_or_b64 exec, exec, s[12:13]
	v_lshrrev_b16_e32 v42, 8, v36
	v_cmp_ne_u16_e32 vcc, 0, v42
	v_mov_b32_e32 v37, 0
	s_and_saveexec_b64 s[12:13], vcc
	s_cbranch_execz .LBB667_225
; %bb.220:                              ;   in Loop: Header=BB667_213 Depth=1
	v_cmp_ne_u16_e32 vcc, s9, v42
	v_bfrev_b32_e32 v37, 1
	s_and_saveexec_b64 s[14:15], vcc
	s_cbranch_execz .LBB667_224
; %bb.221:                              ;   in Loop: Header=BB667_213 Depth=1
	v_and_b32_e32 v44, 0x7f, v42
	v_cmp_ne_u32_e32 vcc, s19, v44
	v_mov_b32_e32 v37, 0x7f800001
	s_and_saveexec_b64 s[16:17], vcc
	s_cbranch_execz .LBB667_223
; %bb.222:                              ;   in Loop: Header=BB667_213 Depth=1
	v_and_b32_e32 v37, 7, v42
	v_ffbh_u32_e32 v49, v37
	v_min_u32_e32 v49, 32, v49
	v_subrev_u32_e32 v50, 28, v49
	v_lshlrev_b64 v[50:51], v50, v[42:43]
	v_lshrrev_b32_e32 v46, 3, v44
	v_sub_u32_e32 v42, 29, v49
	v_and_b32_e32 v49, 7, v50
	v_cmp_gt_u32_e32 vcc, 8, v44
	v_cndmask_b32_e32 v42, v46, v42, vcc
	v_cndmask_b32_e32 v37, v37, v49, vcc
	v_lshlrev_b32_e32 v44, 16, v36
	v_lshlrev_b32_e32 v37, 20, v37
	v_and_b32_e32 v44, 0x80000000, v44
	v_lshl_add_u32 v42, v42, 23, v48
	v_or3_b32 v37, v44, v42, v37
.LBB667_223:                            ;   in Loop: Header=BB667_213 Depth=1
	s_or_b64 exec, exec, s[16:17]
.LBB667_224:                            ;   in Loop: Header=BB667_213 Depth=1
	s_or_b64 exec, exec, s[14:15]
.LBB667_225:                            ;   in Loop: Header=BB667_213 Depth=1
	s_or_b64 exec, exec, s[12:13]
	v_lshrrev_b32_e32 v42, 16, v36
	v_cmp_ne_u16_sdwa s[14:15], v42, v47 src0_sel:BYTE_0 src1_sel:DWORD
	v_mov_b32_e32 v46, 0
	v_mov_b32_e32 v44, 0
	s_and_saveexec_b64 s[12:13], s[14:15]
	s_cbranch_execz .LBB667_231
; %bb.226:                              ;   in Loop: Header=BB667_213 Depth=1
	v_cmp_ne_u16_sdwa s[16:17], v42, s9 src0_sel:BYTE_0 src1_sel:DWORD
	v_bfrev_b32_e32 v44, 1
	s_and_saveexec_b64 s[14:15], s[16:17]
	s_cbranch_execz .LBB667_230
; %bb.227:                              ;   in Loop: Header=BB667_213 Depth=1
	v_bfe_u32 v49, v36, 16, 7
	v_cmp_ne_u32_e32 vcc, s19, v49
	v_mov_b32_e32 v44, 0x7f800001
	s_and_saveexec_b64 s[16:17], vcc
	s_cbranch_execz .LBB667_229
; %bb.228:                              ;   in Loop: Header=BB667_213 Depth=1
	v_and_b32_e32 v44, 7, v42
	v_ffbh_u32_e32 v50, v44
	v_min_u32_e32 v53, 32, v50
	v_subrev_u32_e32 v50, 28, v53
	v_lshlrev_b64 v[50:51], v50, v[42:43]
	v_lshrrev_b32_e32 v52, 3, v49
	v_sub_u32_e32 v51, 29, v53
	v_and_b32_e32 v50, 7, v50
	v_cmp_gt_u32_e32 vcc, 8, v49
	v_cndmask_b32_e32 v49, v52, v51, vcc
	v_cndmask_b32_e32 v44, v44, v50, vcc
	v_lshlrev_b32_e32 v42, 24, v42
	v_lshlrev_b32_e32 v44, 20, v44
	v_and_b32_e32 v42, 0x80000000, v42
	v_lshl_add_u32 v49, v49, 23, v48
	v_or3_b32 v44, v42, v49, v44
.LBB667_229:                            ;   in Loop: Header=BB667_213 Depth=1
	s_or_b64 exec, exec, s[16:17]
.LBB667_230:                            ;   in Loop: Header=BB667_213 Depth=1
	s_or_b64 exec, exec, s[14:15]
.LBB667_231:                            ;   in Loop: Header=BB667_213 Depth=1
	s_or_b64 exec, exec, s[12:13]
	v_cmp_lt_u32_e32 vcc, s20, v36
	s_and_saveexec_b64 s[12:13], vcc
	s_cbranch_execz .LBB667_237
; %bb.232:                              ;   in Loop: Header=BB667_213 Depth=1
	v_lshrrev_b32_e32 v42, 24, v36
	v_cmp_ne_u32_e32 vcc, s9, v42
	v_bfrev_b32_e32 v46, 1
	s_and_saveexec_b64 s[14:15], vcc
	s_cbranch_execz .LBB667_236
; %bb.233:                              ;   in Loop: Header=BB667_213 Depth=1
	v_bfe_u32 v36, v36, 24, 7
	v_cmp_ne_u32_e32 vcc, s19, v36
	v_mov_b32_e32 v46, 0x7f800001
	s_and_saveexec_b64 s[16:17], vcc
	s_cbranch_execz .LBB667_235
; %bb.234:                              ;   in Loop: Header=BB667_213 Depth=1
	v_and_b32_e32 v46, 7, v42
	v_ffbh_u32_e32 v50, v46
	v_min_u32_e32 v52, 32, v50
	v_subrev_u32_e32 v50, 28, v52
	v_lshlrev_b64 v[50:51], v50, v[42:43]
	v_lshrrev_b32_e32 v49, 3, v36
	v_sub_u32_e32 v51, 29, v52
	v_and_b32_e32 v50, 7, v50
	v_cmp_gt_u32_e32 vcc, 8, v36
	v_cndmask_b32_e32 v36, v49, v51, vcc
	v_cndmask_b32_e32 v46, v46, v50, vcc
	v_lshlrev_b32_e32 v42, 24, v42
	v_lshlrev_b32_e32 v46, 20, v46
	v_and_b32_e32 v42, 0x80000000, v42
	v_lshl_add_u32 v36, v36, 23, v48
	v_or3_b32 v46, v42, v36, v46
.LBB667_235:                            ;   in Loop: Header=BB667_213 Depth=1
	s_or_b64 exec, exec, s[16:17]
.LBB667_236:                            ;   in Loop: Header=BB667_213 Depth=1
	s_or_b64 exec, exec, s[14:15]
.LBB667_237:                            ;   in Loop: Header=BB667_213 Depth=1
	s_or_b64 exec, exec, s[12:13]
	s_waitcnt vmcnt(2)
	v_cmp_ne_u16_sdwa s[14:15], v34, v47 src0_sel:BYTE_0 src1_sel:DWORD
	v_mov_b32_e32 v42, 0
	v_mov_b32_e32 v49, 0
	s_and_saveexec_b64 s[12:13], s[14:15]
	s_cbranch_execz .LBB667_243
; %bb.238:                              ;   in Loop: Header=BB667_213 Depth=1
	v_cmp_ne_u16_sdwa s[16:17], v34, s9 src0_sel:BYTE_0 src1_sel:DWORD
	v_bfrev_b32_e32 v49, 1
	s_and_saveexec_b64 s[14:15], s[16:17]
	s_cbranch_execz .LBB667_242
; %bb.239:                              ;   in Loop: Header=BB667_213 Depth=1
	v_and_b32_e32 v36, 0x7f, v34
	v_cmp_ne_u32_e32 vcc, s19, v36
	v_mov_b32_e32 v49, 0x7f800001
	s_and_saveexec_b64 s[16:17], vcc
	s_cbranch_execz .LBB667_241
; %bb.240:                              ;   in Loop: Header=BB667_213 Depth=1
	v_and_b32_e32 v49, 7, v34
	v_ffbh_u32_e32 v50, v49
	v_min_u32_e32 v53, 32, v50
	v_subrev_u32_e32 v50, 28, v53
	v_lshlrev_b64 v[50:51], v50, v[34:35]
	v_lshrrev_b32_e32 v52, 3, v36
	v_sub_u32_e32 v51, 29, v53
	v_and_b32_e32 v50, 7, v50
	v_cmp_gt_u32_e32 vcc, 8, v36
	v_cndmask_b32_e32 v36, v52, v51, vcc
	v_cndmask_b32_e32 v49, v49, v50, vcc
	v_lshlrev_b32_e32 v50, 24, v34
	v_lshlrev_b32_e32 v49, 20, v49
	v_and_b32_e32 v50, 0x80000000, v50
	v_lshl_add_u32 v36, v36, 23, v48
	v_or3_b32 v49, v50, v36, v49
.LBB667_241:                            ;   in Loop: Header=BB667_213 Depth=1
	s_or_b64 exec, exec, s[16:17]
.LBB667_242:                            ;   in Loop: Header=BB667_213 Depth=1
	s_or_b64 exec, exec, s[14:15]
.LBB667_243:                            ;   in Loop: Header=BB667_213 Depth=1
	s_or_b64 exec, exec, s[12:13]
	v_lshrrev_b16_e32 v36, 8, v34
	v_cmp_ne_u16_e32 vcc, 0, v36
	s_and_saveexec_b64 s[12:13], vcc
	s_cbranch_execz .LBB667_249
; %bb.244:                              ;   in Loop: Header=BB667_213 Depth=1
	v_cmp_ne_u16_e32 vcc, s9, v36
	v_bfrev_b32_e32 v42, 1
	s_and_saveexec_b64 s[14:15], vcc
	s_cbranch_execz .LBB667_248
; %bb.245:                              ;   in Loop: Header=BB667_213 Depth=1
	v_and_b32_e32 v50, 0x7f, v36
	v_cmp_ne_u32_e32 vcc, s19, v50
	v_mov_b32_e32 v42, 0x7f800001
	s_and_saveexec_b64 s[16:17], vcc
	s_cbranch_execz .LBB667_247
; %bb.246:                              ;   in Loop: Header=BB667_213 Depth=1
	v_and_b32_e32 v42, 7, v36
	v_ffbh_u32_e32 v52, v42
	v_min_u32_e32 v62, 32, v52
	v_subrev_u32_e32 v52, 28, v62
	v_lshlrev_b64 v[52:53], v52, v[36:37]
	v_lshrrev_b32_e32 v51, 3, v50
	v_sub_u32_e32 v36, 29, v62
	v_and_b32_e32 v52, 7, v52
	v_cmp_gt_u32_e32 vcc, 8, v50
	v_cndmask_b32_e32 v36, v51, v36, vcc
	v_cndmask_b32_e32 v42, v42, v52, vcc
	v_lshlrev_b32_e32 v50, 16, v34
	v_lshlrev_b32_e32 v42, 20, v42
	v_and_b32_e32 v50, 0x80000000, v50
	v_lshl_add_u32 v36, v36, 23, v48
	v_or3_b32 v42, v50, v36, v42
.LBB667_247:                            ;   in Loop: Header=BB667_213 Depth=1
	s_or_b64 exec, exec, s[16:17]
.LBB667_248:                            ;   in Loop: Header=BB667_213 Depth=1
	s_or_b64 exec, exec, s[14:15]
.LBB667_249:                            ;   in Loop: Header=BB667_213 Depth=1
	s_or_b64 exec, exec, s[12:13]
	v_lshrrev_b32_e32 v36, 16, v34
	v_cmp_ne_u16_sdwa s[14:15], v36, v47 src0_sel:BYTE_0 src1_sel:DWORD
	v_mov_b32_e32 v51, 0
	v_mov_b32_e32 v50, 0
	s_and_saveexec_b64 s[12:13], s[14:15]
	s_cbranch_execz .LBB667_255
; %bb.250:                              ;   in Loop: Header=BB667_213 Depth=1
	v_cmp_ne_u16_sdwa s[16:17], v36, s9 src0_sel:BYTE_0 src1_sel:DWORD
	v_bfrev_b32_e32 v50, 1
	s_and_saveexec_b64 s[14:15], s[16:17]
	s_cbranch_execz .LBB667_254
; %bb.251:                              ;   in Loop: Header=BB667_213 Depth=1
	v_bfe_u32 v52, v34, 16, 7
	v_cmp_ne_u32_e32 vcc, s19, v52
	v_mov_b32_e32 v50, 0x7f800001
	s_and_saveexec_b64 s[16:17], vcc
	s_cbranch_execz .LBB667_253
; %bb.252:                              ;   in Loop: Header=BB667_213 Depth=1
	v_and_b32_e32 v50, 7, v36
	v_ffbh_u32_e32 v62, v50
	v_min_u32_e32 v64, 32, v62
	v_subrev_u32_e32 v62, 28, v64
	v_lshlrev_b64 v[62:63], v62, v[36:37]
	v_lshrrev_b32_e32 v53, 3, v52
	v_sub_u32_e32 v63, 29, v64
	v_and_b32_e32 v62, 7, v62
	v_cmp_gt_u32_e32 vcc, 8, v52
	v_cndmask_b32_e32 v52, v53, v63, vcc
	v_cndmask_b32_e32 v50, v50, v62, vcc
	v_lshlrev_b32_e32 v36, 24, v36
	v_lshlrev_b32_e32 v50, 20, v50
	v_and_b32_e32 v36, 0x80000000, v36
	v_lshl_add_u32 v52, v52, 23, v48
	v_or3_b32 v50, v36, v52, v50
.LBB667_253:                            ;   in Loop: Header=BB667_213 Depth=1
	s_or_b64 exec, exec, s[16:17]
.LBB667_254:                            ;   in Loop: Header=BB667_213 Depth=1
	s_or_b64 exec, exec, s[14:15]
.LBB667_255:                            ;   in Loop: Header=BB667_213 Depth=1
	s_or_b64 exec, exec, s[12:13]
	v_cmp_lt_u32_e32 vcc, s20, v34
	s_and_saveexec_b64 s[12:13], vcc
	s_cbranch_execz .LBB667_261
; %bb.256:                              ;   in Loop: Header=BB667_213 Depth=1
	v_lshrrev_b32_e32 v36, 24, v34
	v_cmp_ne_u32_e32 vcc, s9, v36
	v_bfrev_b32_e32 v51, 1
	s_and_saveexec_b64 s[14:15], vcc
	s_cbranch_execz .LBB667_260
; %bb.257:                              ;   in Loop: Header=BB667_213 Depth=1
	v_bfe_u32 v34, v34, 24, 7
	v_cmp_ne_u32_e32 vcc, s19, v34
	v_mov_b32_e32 v51, 0x7f800001
	s_and_saveexec_b64 s[16:17], vcc
	s_cbranch_execz .LBB667_259
; %bb.258:                              ;   in Loop: Header=BB667_213 Depth=1
	v_and_b32_e32 v51, 7, v36
	v_ffbh_u32_e32 v52, v51
	v_min_u32_e32 v63, 32, v52
	v_subrev_u32_e32 v52, 28, v63
	v_lshlrev_b64 v[52:53], v52, v[36:37]
	v_lshrrev_b32_e32 v62, 3, v34
	v_sub_u32_e32 v53, 29, v63
	v_and_b32_e32 v52, 7, v52
	v_cmp_gt_u32_e32 vcc, 8, v34
	v_cndmask_b32_e32 v34, v62, v53, vcc
	v_cndmask_b32_e32 v51, v51, v52, vcc
	v_lshlrev_b32_e32 v36, 24, v36
	v_lshlrev_b32_e32 v51, 20, v51
	v_and_b32_e32 v36, 0x80000000, v36
	v_lshl_add_u32 v34, v34, 23, v48
	v_or3_b32 v51, v36, v34, v51
.LBB667_259:                            ;   in Loop: Header=BB667_213 Depth=1
	s_or_b64 exec, exec, s[16:17]
.LBB667_260:                            ;   in Loop: Header=BB667_213 Depth=1
	s_or_b64 exec, exec, s[14:15]
.LBB667_261:                            ;   in Loop: Header=BB667_213 Depth=1
	s_or_b64 exec, exec, s[12:13]
	v_cvt_pkrtz_f16_f32 v34, v35, v37
	v_cvt_pkrtz_f16_f32 v35, v44, v46
	;; [unrolled: 1-line block ×4, first 2 shown]
	v_mov_b32_e32 v44, 0
	v_mfma_f32_16x16x16f16 v[34:37], v[34:35], v[2:3], 0
	s_waitcnt vmcnt(1)
	v_cmp_ne_u16_sdwa s[14:15], v40, v47 src0_sel:BYTE_0 src1_sel:DWORD
	v_mov_b32_e32 v46, 0
	v_mfma_f32_16x16x16f16 v[34:37], v[52:53], v[4:5], v[34:37]
	s_and_saveexec_b64 s[12:13], s[14:15]
	s_cbranch_execz .LBB667_267
; %bb.262:                              ;   in Loop: Header=BB667_213 Depth=1
	v_cmp_ne_u16_sdwa s[16:17], v40, s9 src0_sel:BYTE_0 src1_sel:DWORD
	v_bfrev_b32_e32 v46, 1
	s_and_saveexec_b64 s[14:15], s[16:17]
	s_cbranch_execz .LBB667_266
; %bb.263:                              ;   in Loop: Header=BB667_213 Depth=1
	v_and_b32_e32 v42, 0x7f, v40
	v_cmp_ne_u32_e32 vcc, s19, v42
	v_mov_b32_e32 v46, 0x7f800001
	s_and_saveexec_b64 s[16:17], vcc
	s_cbranch_execz .LBB667_265
; %bb.264:                              ;   in Loop: Header=BB667_213 Depth=1
	v_and_b32_e32 v46, 7, v40
	v_ffbh_u32_e32 v50, v46
	v_min_u32_e32 v52, 32, v50
	v_subrev_u32_e32 v50, 28, v52
	v_lshlrev_b64 v[50:51], v50, v[40:41]
	v_lshrrev_b32_e32 v49, 3, v42
	v_sub_u32_e32 v51, 29, v52
	v_and_b32_e32 v50, 7, v50
	v_cmp_gt_u32_e32 vcc, 8, v42
	v_cndmask_b32_e32 v42, v49, v51, vcc
	v_cndmask_b32_e32 v46, v46, v50, vcc
	v_lshlrev_b32_e32 v49, 24, v40
	v_lshlrev_b32_e32 v46, 20, v46
	v_and_b32_e32 v49, 0x80000000, v49
	v_lshl_add_u32 v42, v42, 23, v48
	v_or3_b32 v46, v49, v42, v46
.LBB667_265:                            ;   in Loop: Header=BB667_213 Depth=1
	s_or_b64 exec, exec, s[16:17]
.LBB667_266:                            ;   in Loop: Header=BB667_213 Depth=1
	s_or_b64 exec, exec, s[14:15]
.LBB667_267:                            ;   in Loop: Header=BB667_213 Depth=1
	s_or_b64 exec, exec, s[12:13]
	v_lshrrev_b16_e32 v42, 8, v40
	v_cmp_ne_u16_e32 vcc, 0, v42
	v_mov_b32_e32 v50, 0
	s_and_saveexec_b64 s[12:13], vcc
	s_cbranch_execz .LBB667_273
; %bb.268:                              ;   in Loop: Header=BB667_213 Depth=1
	v_cmp_ne_u16_e32 vcc, s9, v42
	v_bfrev_b32_e32 v50, 1
	s_and_saveexec_b64 s[14:15], vcc
	s_cbranch_execz .LBB667_272
; %bb.269:                              ;   in Loop: Header=BB667_213 Depth=1
	v_and_b32_e32 v49, 0x7f, v42
	v_cmp_ne_u32_e32 vcc, s19, v49
	v_mov_b32_e32 v50, 0x7f800001
	s_and_saveexec_b64 s[16:17], vcc
	s_cbranch_execz .LBB667_271
; %bb.270:                              ;   in Loop: Header=BB667_213 Depth=1
	v_and_b32_e32 v52, 7, v42
	v_ffbh_u32_e32 v50, v52
	v_min_u32_e32 v62, 32, v50
	v_subrev_u32_e32 v50, 28, v62
	v_lshlrev_b64 v[50:51], v50, v[42:43]
	v_lshrrev_b32_e32 v53, 3, v49
	v_sub_u32_e32 v42, 29, v62
	v_and_b32_e32 v50, 7, v50
	v_cmp_gt_u32_e32 vcc, 8, v49
	v_cndmask_b32_e32 v42, v53, v42, vcc
	v_cndmask_b32_e32 v49, v52, v50, vcc
	v_lshlrev_b32_e32 v50, 16, v40
	v_lshlrev_b32_e32 v49, 20, v49
	v_and_b32_e32 v50, 0x80000000, v50
	v_lshl_add_u32 v42, v42, 23, v48
	v_or3_b32 v50, v50, v42, v49
.LBB667_271:                            ;   in Loop: Header=BB667_213 Depth=1
	s_or_b64 exec, exec, s[16:17]
.LBB667_272:                            ;   in Loop: Header=BB667_213 Depth=1
	s_or_b64 exec, exec, s[14:15]
.LBB667_273:                            ;   in Loop: Header=BB667_213 Depth=1
	s_or_b64 exec, exec, s[12:13]
	v_lshrrev_b32_e32 v42, 16, v40
	v_cmp_ne_u16_sdwa s[14:15], v42, v47 src0_sel:BYTE_0 src1_sel:DWORD
	s_and_saveexec_b64 s[12:13], s[14:15]
	s_cbranch_execz .LBB667_279
; %bb.274:                              ;   in Loop: Header=BB667_213 Depth=1
	v_cmp_ne_u16_sdwa s[16:17], v42, s9 src0_sel:BYTE_0 src1_sel:DWORD
	v_bfrev_b32_e32 v44, 1
	s_and_saveexec_b64 s[14:15], s[16:17]
	s_cbranch_execz .LBB667_278
; %bb.275:                              ;   in Loop: Header=BB667_213 Depth=1
	v_bfe_u32 v49, v40, 16, 7
	v_cmp_ne_u32_e32 vcc, s19, v49
	v_mov_b32_e32 v44, 0x7f800001
	s_and_saveexec_b64 s[16:17], vcc
	s_cbranch_execz .LBB667_277
; %bb.276:                              ;   in Loop: Header=BB667_213 Depth=1
	v_and_b32_e32 v44, 7, v42
	v_ffbh_u32_e32 v52, v44
	v_min_u32_e32 v62, 32, v52
	v_subrev_u32_e32 v52, 28, v62
	v_lshlrev_b64 v[52:53], v52, v[42:43]
	v_lshrrev_b32_e32 v51, 3, v49
	v_sub_u32_e32 v53, 29, v62
	v_and_b32_e32 v52, 7, v52
	v_cmp_gt_u32_e32 vcc, 8, v49
	v_cndmask_b32_e32 v49, v51, v53, vcc
	v_cndmask_b32_e32 v44, v44, v52, vcc
	v_lshlrev_b32_e32 v42, 24, v42
	v_lshlrev_b32_e32 v44, 20, v44
	v_and_b32_e32 v42, 0x80000000, v42
	v_lshl_add_u32 v49, v49, 23, v48
	v_or3_b32 v44, v42, v49, v44
.LBB667_277:                            ;   in Loop: Header=BB667_213 Depth=1
	s_or_b64 exec, exec, s[16:17]
.LBB667_278:                            ;   in Loop: Header=BB667_213 Depth=1
	s_or_b64 exec, exec, s[14:15]
.LBB667_279:                            ;   in Loop: Header=BB667_213 Depth=1
	s_or_b64 exec, exec, s[12:13]
	v_cmp_lt_u32_e32 vcc, s20, v40
	v_mov_b32_e32 v51, 0
	v_mov_b32_e32 v52, 0
	s_and_saveexec_b64 s[12:13], vcc
	s_cbranch_execz .LBB667_285
; %bb.280:                              ;   in Loop: Header=BB667_213 Depth=1
	v_lshrrev_b32_e32 v42, 24, v40
	v_cmp_ne_u32_e32 vcc, s9, v42
	v_bfrev_b32_e32 v52, 1
	s_and_saveexec_b64 s[14:15], vcc
	s_cbranch_execz .LBB667_284
; %bb.281:                              ;   in Loop: Header=BB667_213 Depth=1
	v_bfe_u32 v40, v40, 24, 7
	v_cmp_ne_u32_e32 vcc, s19, v40
	v_mov_b32_e32 v52, 0x7f800001
	s_and_saveexec_b64 s[16:17], vcc
	s_cbranch_execz .LBB667_283
; %bb.282:                              ;   in Loop: Header=BB667_213 Depth=1
	v_and_b32_e32 v49, 7, v42
	v_ffbh_u32_e32 v52, v49
	v_min_u32_e32 v63, 32, v52
	v_subrev_u32_e32 v52, 28, v63
	v_lshlrev_b64 v[52:53], v52, v[42:43]
	v_lshrrev_b32_e32 v62, 3, v40
	v_sub_u32_e32 v53, 29, v63
	v_and_b32_e32 v52, 7, v52
	v_cmp_gt_u32_e32 vcc, 8, v40
	v_cndmask_b32_e32 v40, v62, v53, vcc
	v_cndmask_b32_e32 v49, v49, v52, vcc
	v_lshlrev_b32_e32 v42, 24, v42
	v_lshlrev_b32_e32 v49, 20, v49
	v_and_b32_e32 v42, 0x80000000, v42
	v_lshl_add_u32 v40, v40, 23, v48
	v_or3_b32 v52, v42, v40, v49
.LBB667_283:                            ;   in Loop: Header=BB667_213 Depth=1
	s_or_b64 exec, exec, s[16:17]
.LBB667_284:                            ;   in Loop: Header=BB667_213 Depth=1
	s_or_b64 exec, exec, s[14:15]
.LBB667_285:                            ;   in Loop: Header=BB667_213 Depth=1
	s_or_b64 exec, exec, s[12:13]
	s_waitcnt vmcnt(0)
	v_cmp_ne_u16_sdwa s[14:15], v38, v47 src0_sel:BYTE_0 src1_sel:DWORD
	s_and_saveexec_b64 s[12:13], s[14:15]
	s_cbranch_execz .LBB667_291
; %bb.286:                              ;   in Loop: Header=BB667_213 Depth=1
	v_cmp_ne_u16_sdwa s[16:17], v38, s9 src0_sel:BYTE_0 src1_sel:DWORD
	v_bfrev_b32_e32 v51, 1
	s_and_saveexec_b64 s[14:15], s[16:17]
	s_cbranch_execz .LBB667_290
; %bb.287:                              ;   in Loop: Header=BB667_213 Depth=1
	v_and_b32_e32 v40, 0x7f, v38
	v_cmp_ne_u32_e32 vcc, s19, v40
	v_mov_b32_e32 v51, 0x7f800001
	s_and_saveexec_b64 s[16:17], vcc
	s_cbranch_execz .LBB667_289
; %bb.288:                              ;   in Loop: Header=BB667_213 Depth=1
	v_and_b32_e32 v42, 7, v38
	v_ffbh_u32_e32 v51, v42
	v_min_u32_e32 v51, 32, v51
	v_subrev_u32_e32 v53, 28, v51
	v_lshlrev_b64 v[62:63], v53, v[38:39]
	v_lshrrev_b32_e32 v49, 3, v40
	v_sub_u32_e32 v51, 29, v51
	v_and_b32_e32 v53, 7, v62
	v_cmp_gt_u32_e32 vcc, 8, v40
	v_cndmask_b32_e32 v40, v49, v51, vcc
	v_cndmask_b32_e32 v42, v42, v53, vcc
	v_lshlrev_b32_e32 v49, 24, v38
	v_lshlrev_b32_e32 v42, 20, v42
	v_and_b32_e32 v49, 0x80000000, v49
	v_lshl_add_u32 v40, v40, 23, v48
	v_or3_b32 v51, v49, v40, v42
.LBB667_289:                            ;   in Loop: Header=BB667_213 Depth=1
	s_or_b64 exec, exec, s[16:17]
.LBB667_290:                            ;   in Loop: Header=BB667_213 Depth=1
	s_or_b64 exec, exec, s[14:15]
.LBB667_291:                            ;   in Loop: Header=BB667_213 Depth=1
	s_or_b64 exec, exec, s[12:13]
	v_lshrrev_b16_e32 v40, 8, v38
	v_cmp_ne_u16_e32 vcc, 0, v40
	v_mov_b32_e32 v53, 0
	v_mov_b32_e32 v62, 0
	s_and_saveexec_b64 s[12:13], vcc
	s_cbranch_execz .LBB667_297
; %bb.292:                              ;   in Loop: Header=BB667_213 Depth=1
	v_cmp_ne_u16_e32 vcc, s9, v40
	v_bfrev_b32_e32 v62, 1
	s_and_saveexec_b64 s[14:15], vcc
	s_cbranch_execz .LBB667_296
; %bb.293:                              ;   in Loop: Header=BB667_213 Depth=1
	v_and_b32_e32 v42, 0x7f, v40
	v_cmp_ne_u32_e32 vcc, s19, v42
	v_mov_b32_e32 v62, 0x7f800001
	s_and_saveexec_b64 s[16:17], vcc
	s_cbranch_execz .LBB667_295
; %bb.294:                              ;   in Loop: Header=BB667_213 Depth=1
	v_and_b32_e32 v49, 7, v40
	v_ffbh_u32_e32 v62, v49
	v_min_u32_e32 v65, 32, v62
	v_subrev_u32_e32 v62, 28, v65
	v_lshlrev_b64 v[62:63], v62, v[40:41]
	v_lshrrev_b32_e32 v64, 3, v42
	v_sub_u32_e32 v40, 29, v65
	v_and_b32_e32 v62, 7, v62
	v_cmp_gt_u32_e32 vcc, 8, v42
	v_cndmask_b32_e32 v40, v64, v40, vcc
	v_cndmask_b32_e32 v42, v49, v62, vcc
	v_lshlrev_b32_e32 v49, 16, v38
	v_lshlrev_b32_e32 v42, 20, v42
	v_and_b32_e32 v49, 0x80000000, v49
	v_lshl_add_u32 v40, v40, 23, v48
	v_or3_b32 v62, v49, v40, v42
.LBB667_295:                            ;   in Loop: Header=BB667_213 Depth=1
	s_or_b64 exec, exec, s[16:17]
.LBB667_296:                            ;   in Loop: Header=BB667_213 Depth=1
	s_or_b64 exec, exec, s[14:15]
.LBB667_297:                            ;   in Loop: Header=BB667_213 Depth=1
	s_or_b64 exec, exec, s[12:13]
	v_lshrrev_b32_e32 v40, 16, v38
	v_cmp_ne_u16_sdwa s[14:15], v40, v47 src0_sel:BYTE_0 src1_sel:DWORD
	s_and_saveexec_b64 s[12:13], s[14:15]
	s_cbranch_execz .LBB667_303
; %bb.298:                              ;   in Loop: Header=BB667_213 Depth=1
	v_cmp_ne_u16_sdwa s[16:17], v40, s9 src0_sel:BYTE_0 src1_sel:DWORD
	v_bfrev_b32_e32 v53, 1
	s_and_saveexec_b64 s[14:15], s[16:17]
	s_cbranch_execz .LBB667_302
; %bb.299:                              ;   in Loop: Header=BB667_213 Depth=1
	v_bfe_u32 v42, v38, 16, 7
	v_cmp_ne_u32_e32 vcc, s19, v42
	v_mov_b32_e32 v53, 0x7f800001
	s_and_saveexec_b64 s[16:17], vcc
	s_cbranch_execz .LBB667_301
; %bb.300:                              ;   in Loop: Header=BB667_213 Depth=1
	v_and_b32_e32 v49, 7, v40
	v_ffbh_u32_e32 v63, v49
	v_min_u32_e32 v63, 32, v63
	v_subrev_u32_e32 v64, 28, v63
	v_lshlrev_b64 v[64:65], v64, v[40:41]
	v_lshrrev_b32_e32 v53, 3, v42
	v_sub_u32_e32 v63, 29, v63
	v_and_b32_e32 v64, 7, v64
	v_cmp_gt_u32_e32 vcc, 8, v42
	v_cndmask_b32_e32 v42, v53, v63, vcc
	v_cndmask_b32_e32 v49, v49, v64, vcc
	v_lshlrev_b32_e32 v40, 24, v40
	v_lshlrev_b32_e32 v49, 20, v49
	v_and_b32_e32 v40, 0x80000000, v40
	v_lshl_add_u32 v42, v42, 23, v48
	v_or3_b32 v53, v40, v42, v49
.LBB667_301:                            ;   in Loop: Header=BB667_213 Depth=1
	s_or_b64 exec, exec, s[16:17]
.LBB667_302:                            ;   in Loop: Header=BB667_213 Depth=1
	s_or_b64 exec, exec, s[14:15]
.LBB667_303:                            ;   in Loop: Header=BB667_213 Depth=1
	s_or_b64 exec, exec, s[12:13]
	v_cmp_lt_u32_e32 vcc, s20, v38
	v_mov_b32_e32 v49, 0
	v_mov_b32_e32 v63, 0
	s_and_saveexec_b64 s[12:13], vcc
	s_cbranch_execz .LBB667_309
; %bb.304:                              ;   in Loop: Header=BB667_213 Depth=1
	v_lshrrev_b32_e32 v40, 24, v38
	v_cmp_ne_u32_e32 vcc, s9, v40
	v_bfrev_b32_e32 v63, 1
	s_and_saveexec_b64 s[14:15], vcc
	s_cbranch_execz .LBB667_308
; %bb.305:                              ;   in Loop: Header=BB667_213 Depth=1
	v_bfe_u32 v38, v38, 24, 7
	v_cmp_ne_u32_e32 vcc, s19, v38
	v_mov_b32_e32 v63, 0x7f800001
	s_and_saveexec_b64 s[16:17], vcc
	s_cbranch_execz .LBB667_307
; %bb.306:                              ;   in Loop: Header=BB667_213 Depth=1
	v_and_b32_e32 v42, 7, v40
	v_ffbh_u32_e32 v64, v42
	v_min_u32_e32 v66, 32, v64
	v_subrev_u32_e32 v64, 28, v66
	v_lshlrev_b64 v[64:65], v64, v[40:41]
	v_lshrrev_b32_e32 v63, 3, v38
	v_sub_u32_e32 v65, 29, v66
	v_and_b32_e32 v64, 7, v64
	v_cmp_gt_u32_e32 vcc, 8, v38
	v_cndmask_b32_e32 v38, v63, v65, vcc
	v_cndmask_b32_e32 v42, v42, v64, vcc
	v_lshlrev_b32_e32 v40, 24, v40
	v_lshlrev_b32_e32 v42, 20, v42
	v_and_b32_e32 v40, 0x80000000, v40
	v_lshl_add_u32 v38, v38, 23, v48
	v_or3_b32 v63, v40, v38, v42
.LBB667_307:                            ;   in Loop: Header=BB667_213 Depth=1
	s_or_b64 exec, exec, s[16:17]
.LBB667_308:                            ;   in Loop: Header=BB667_213 Depth=1
	s_or_b64 exec, exec, s[14:15]
.LBB667_309:                            ;   in Loop: Header=BB667_213 Depth=1
	s_or_b64 exec, exec, s[12:13]
	v_cvt_pkrtz_f16_f32 v65, v44, v52
	buffer_load_dword v44, v61, s[0:3], 0 offen
	buffer_load_dword v42, v61, s[0:3], 0 offen offset:4
	buffer_load_dword v40, v61, s[0:3], 0 offen offset:8
	buffer_load_dword v38, v61, s[0:3], 0 offen offset:12
	v_cvt_pkrtz_f16_f32 v64, v46, v50
	v_cvt_pkrtz_f16_f32 v50, v51, v62
	;; [unrolled: 1-line block ×3, first 2 shown]
	v_mfma_f32_16x16x16f16 v[34:37], v[64:65], v[6:7], v[34:37]
	s_waitcnt vmcnt(3)
	v_cmp_ne_u16_sdwa s[14:15], v44, v47 src0_sel:BYTE_0 src1_sel:DWORD
	v_mfma_f32_16x16x16f16 v[34:37], v[50:51], v[8:9], v[34:37]
	s_and_saveexec_b64 s[12:13], s[14:15]
	s_cbranch_execz .LBB667_315
; %bb.310:                              ;   in Loop: Header=BB667_213 Depth=1
	v_cmp_ne_u16_sdwa s[16:17], v44, s9 src0_sel:BYTE_0 src1_sel:DWORD
	v_bfrev_b32_e32 v49, 1
	s_and_saveexec_b64 s[14:15], s[16:17]
	s_cbranch_execz .LBB667_314
; %bb.311:                              ;   in Loop: Header=BB667_213 Depth=1
	v_and_b32_e32 v46, 0x7f, v44
	v_cmp_ne_u32_e32 vcc, s19, v46
	v_mov_b32_e32 v49, 0x7f800001
	s_and_saveexec_b64 s[16:17], vcc
	s_cbranch_execz .LBB667_313
; %bb.312:                              ;   in Loop: Header=BB667_213 Depth=1
	v_and_b32_e32 v49, 7, v44
	v_ffbh_u32_e32 v50, v49
	v_min_u32_e32 v53, 32, v50
	v_subrev_u32_e32 v50, 28, v53
	v_lshlrev_b64 v[50:51], v50, v[44:45]
	v_lshrrev_b32_e32 v52, 3, v46
	v_sub_u32_e32 v51, 29, v53
	v_and_b32_e32 v50, 7, v50
	v_cmp_gt_u32_e32 vcc, 8, v46
	v_cndmask_b32_e32 v46, v52, v51, vcc
	v_cndmask_b32_e32 v49, v49, v50, vcc
	v_lshlrev_b32_e32 v50, 24, v44
	v_lshlrev_b32_e32 v49, 20, v49
	v_and_b32_e32 v50, 0x80000000, v50
	v_lshl_add_u32 v46, v46, 23, v48
	v_or3_b32 v49, v50, v46, v49
.LBB667_313:                            ;   in Loop: Header=BB667_213 Depth=1
	s_or_b64 exec, exec, s[16:17]
.LBB667_314:                            ;   in Loop: Header=BB667_213 Depth=1
	s_or_b64 exec, exec, s[14:15]
.LBB667_315:                            ;   in Loop: Header=BB667_213 Depth=1
	s_or_b64 exec, exec, s[12:13]
	v_lshrrev_b16_e32 v46, 8, v44
	v_cmp_ne_u16_e32 vcc, 0, v46
	v_mov_b32_e32 v50, 0
	v_mov_b32_e32 v51, 0
	s_and_saveexec_b64 s[12:13], vcc
	s_cbranch_execz .LBB667_321
; %bb.316:                              ;   in Loop: Header=BB667_213 Depth=1
	v_cmp_ne_u16_e32 vcc, s9, v46
	v_bfrev_b32_e32 v51, 1
	s_and_saveexec_b64 s[14:15], vcc
	s_cbranch_execz .LBB667_320
; %bb.317:                              ;   in Loop: Header=BB667_213 Depth=1
	v_and_b32_e32 v52, 0x7f, v46
	v_cmp_ne_u32_e32 vcc, s19, v52
	v_mov_b32_e32 v51, 0x7f800001
	s_and_saveexec_b64 s[16:17], vcc
	s_cbranch_execz .LBB667_319
; %bb.318:                              ;   in Loop: Header=BB667_213 Depth=1
	v_and_b32_e32 v51, 7, v46
	v_ffbh_u32_e32 v61, v51
	v_min_u32_e32 v61, 32, v61
	v_subrev_u32_e32 v62, 28, v61
	v_lshlrev_b64 v[62:63], v62, v[46:47]
	v_lshrrev_b32_e32 v53, 3, v52
	v_sub_u32_e32 v46, 29, v61
	v_and_b32_e32 v61, 7, v62
	v_cmp_gt_u32_e32 vcc, 8, v52
	v_cndmask_b32_e32 v46, v53, v46, vcc
	v_cndmask_b32_e32 v51, v51, v61, vcc
	v_lshlrev_b32_e32 v52, 16, v44
	v_lshlrev_b32_e32 v51, 20, v51
	v_and_b32_e32 v52, 0x80000000, v52
	v_lshl_add_u32 v46, v46, 23, v48
	v_or3_b32 v51, v52, v46, v51
.LBB667_319:                            ;   in Loop: Header=BB667_213 Depth=1
	s_or_b64 exec, exec, s[16:17]
.LBB667_320:                            ;   in Loop: Header=BB667_213 Depth=1
	s_or_b64 exec, exec, s[14:15]
.LBB667_321:                            ;   in Loop: Header=BB667_213 Depth=1
	s_or_b64 exec, exec, s[12:13]
	v_lshrrev_b32_e32 v46, 16, v44
	v_cmp_ne_u16_sdwa s[14:15], v46, v47 src0_sel:BYTE_0 src1_sel:DWORD
	s_and_saveexec_b64 s[12:13], s[14:15]
	s_cbranch_execz .LBB667_327
; %bb.322:                              ;   in Loop: Header=BB667_213 Depth=1
	v_cmp_ne_u16_sdwa s[16:17], v46, s9 src0_sel:BYTE_0 src1_sel:DWORD
	v_bfrev_b32_e32 v50, 1
	s_and_saveexec_b64 s[14:15], s[16:17]
	s_cbranch_execz .LBB667_326
; %bb.323:                              ;   in Loop: Header=BB667_213 Depth=1
	v_bfe_u32 v52, v44, 16, 7
	v_cmp_ne_u32_e32 vcc, s19, v52
	v_mov_b32_e32 v50, 0x7f800001
	s_and_saveexec_b64 s[16:17], vcc
	s_cbranch_execz .LBB667_325
; %bb.324:                              ;   in Loop: Header=BB667_213 Depth=1
	v_and_b32_e32 v50, 7, v46
	v_ffbh_u32_e32 v61, v50
	v_min_u32_e32 v61, 32, v61
	v_subrev_u32_e32 v62, 28, v61
	v_lshlrev_b64 v[62:63], v62, v[46:47]
	v_lshrrev_b32_e32 v53, 3, v52
	v_sub_u32_e32 v61, 29, v61
	v_and_b32_e32 v62, 7, v62
	v_cmp_gt_u32_e32 vcc, 8, v52
	v_cndmask_b32_e32 v52, v53, v61, vcc
	v_cndmask_b32_e32 v50, v50, v62, vcc
	v_lshlrev_b32_e32 v46, 24, v46
	v_lshlrev_b32_e32 v50, 20, v50
	v_and_b32_e32 v46, 0x80000000, v46
	v_lshl_add_u32 v52, v52, 23, v48
	v_or3_b32 v50, v46, v52, v50
.LBB667_325:                            ;   in Loop: Header=BB667_213 Depth=1
	s_or_b64 exec, exec, s[16:17]
.LBB667_326:                            ;   in Loop: Header=BB667_213 Depth=1
	s_or_b64 exec, exec, s[14:15]
.LBB667_327:                            ;   in Loop: Header=BB667_213 Depth=1
	s_or_b64 exec, exec, s[12:13]
	v_cmp_lt_u32_e32 vcc, s20, v44
	v_mov_b32_e32 v52, 0
	v_mov_b32_e32 v53, 0
	s_and_saveexec_b64 s[12:13], vcc
	s_cbranch_execz .LBB667_333
; %bb.328:                              ;   in Loop: Header=BB667_213 Depth=1
	v_lshrrev_b32_e32 v46, 24, v44
	v_cmp_ne_u32_e32 vcc, s9, v46
	v_bfrev_b32_e32 v53, 1
	s_and_saveexec_b64 s[14:15], vcc
	s_cbranch_execz .LBB667_332
; %bb.329:                              ;   in Loop: Header=BB667_213 Depth=1
	v_bfe_u32 v44, v44, 24, 7
	v_cmp_ne_u32_e32 vcc, s19, v44
	v_mov_b32_e32 v53, 0x7f800001
	s_and_saveexec_b64 s[16:17], vcc
	s_cbranch_execz .LBB667_331
; %bb.330:                              ;   in Loop: Header=BB667_213 Depth=1
	v_and_b32_e32 v53, 7, v46
	v_ffbh_u32_e32 v62, v53
	v_min_u32_e32 v64, 32, v62
	v_subrev_u32_e32 v62, 28, v64
	v_lshlrev_b64 v[62:63], v62, v[46:47]
	v_lshrrev_b32_e32 v61, 3, v44
	v_sub_u32_e32 v63, 29, v64
	v_and_b32_e32 v62, 7, v62
	v_cmp_gt_u32_e32 vcc, 8, v44
	v_cndmask_b32_e32 v44, v61, v63, vcc
	v_cndmask_b32_e32 v53, v53, v62, vcc
	v_lshlrev_b32_e32 v46, 24, v46
	v_lshlrev_b32_e32 v53, 20, v53
	v_and_b32_e32 v46, 0x80000000, v46
	v_lshl_add_u32 v44, v44, 23, v48
	v_or3_b32 v53, v46, v44, v53
.LBB667_331:                            ;   in Loop: Header=BB667_213 Depth=1
	s_or_b64 exec, exec, s[16:17]
.LBB667_332:                            ;   in Loop: Header=BB667_213 Depth=1
	s_or_b64 exec, exec, s[14:15]
.LBB667_333:                            ;   in Loop: Header=BB667_213 Depth=1
	s_or_b64 exec, exec, s[12:13]
	s_waitcnt vmcnt(2)
	v_cmp_ne_u16_sdwa s[14:15], v42, v47 src0_sel:BYTE_0 src1_sel:DWORD
	s_and_saveexec_b64 s[12:13], s[14:15]
	s_cbranch_execz .LBB667_339
; %bb.334:                              ;   in Loop: Header=BB667_213 Depth=1
	v_cmp_ne_u16_sdwa s[16:17], v42, s9 src0_sel:BYTE_0 src1_sel:DWORD
	v_bfrev_b32_e32 v52, 1
	s_and_saveexec_b64 s[14:15], s[16:17]
	s_cbranch_execz .LBB667_338
; %bb.335:                              ;   in Loop: Header=BB667_213 Depth=1
	v_and_b32_e32 v44, 0x7f, v42
	v_cmp_ne_u32_e32 vcc, s19, v44
	v_mov_b32_e32 v52, 0x7f800001
	s_and_saveexec_b64 s[16:17], vcc
	s_cbranch_execz .LBB667_337
; %bb.336:                              ;   in Loop: Header=BB667_213 Depth=1
	v_and_b32_e32 v46, 7, v42
	v_ffbh_u32_e32 v61, v46
	v_min_u32_e32 v61, 32, v61
	v_subrev_u32_e32 v62, 28, v61
	v_lshlrev_b64 v[62:63], v62, v[42:43]
	v_lshrrev_b32_e32 v52, 3, v44
	v_sub_u32_e32 v61, 29, v61
	v_and_b32_e32 v62, 7, v62
	v_cmp_gt_u32_e32 vcc, 8, v44
	v_cndmask_b32_e32 v44, v52, v61, vcc
	v_cndmask_b32_e32 v46, v46, v62, vcc
	v_lshlrev_b32_e32 v52, 24, v42
	v_lshlrev_b32_e32 v46, 20, v46
	v_and_b32_e32 v52, 0x80000000, v52
	v_lshl_add_u32 v44, v44, 23, v48
	v_or3_b32 v52, v52, v44, v46
.LBB667_337:                            ;   in Loop: Header=BB667_213 Depth=1
	s_or_b64 exec, exec, s[16:17]
.LBB667_338:                            ;   in Loop: Header=BB667_213 Depth=1
	s_or_b64 exec, exec, s[14:15]
.LBB667_339:                            ;   in Loop: Header=BB667_213 Depth=1
	s_or_b64 exec, exec, s[12:13]
	v_lshrrev_b16_e32 v44, 8, v42
	v_cmp_ne_u16_e32 vcc, 0, v44
	v_mov_b32_e32 v61, 0
	v_mov_b32_e32 v62, 0
	s_and_saveexec_b64 s[12:13], vcc
	s_cbranch_execz .LBB667_345
; %bb.340:                              ;   in Loop: Header=BB667_213 Depth=1
	v_cmp_ne_u16_e32 vcc, s9, v44
	v_bfrev_b32_e32 v62, 1
	s_and_saveexec_b64 s[14:15], vcc
	s_cbranch_execz .LBB667_344
; %bb.341:                              ;   in Loop: Header=BB667_213 Depth=1
	v_and_b32_e32 v46, 0x7f, v44
	v_cmp_ne_u32_e32 vcc, s19, v46
	v_mov_b32_e32 v62, 0x7f800001
	s_and_saveexec_b64 s[16:17], vcc
	s_cbranch_execz .LBB667_343
; %bb.342:                              ;   in Loop: Header=BB667_213 Depth=1
	v_and_b32_e32 v64, 7, v44
	v_ffbh_u32_e32 v62, v64
	v_min_u32_e32 v66, 32, v62
	v_subrev_u32_e32 v62, 28, v66
	v_lshlrev_b64 v[62:63], v62, v[44:45]
	v_lshrrev_b32_e32 v65, 3, v46
	v_sub_u32_e32 v44, 29, v66
	v_and_b32_e32 v62, 7, v62
	v_cmp_gt_u32_e32 vcc, 8, v46
	v_cndmask_b32_e32 v44, v65, v44, vcc
	v_cndmask_b32_e32 v46, v64, v62, vcc
	v_lshlrev_b32_e32 v62, 16, v42
	v_lshlrev_b32_e32 v46, 20, v46
	v_and_b32_e32 v62, 0x80000000, v62
	v_lshl_add_u32 v44, v44, 23, v48
	v_or3_b32 v62, v62, v44, v46
.LBB667_343:                            ;   in Loop: Header=BB667_213 Depth=1
	s_or_b64 exec, exec, s[16:17]
.LBB667_344:                            ;   in Loop: Header=BB667_213 Depth=1
	s_or_b64 exec, exec, s[14:15]
.LBB667_345:                            ;   in Loop: Header=BB667_213 Depth=1
	s_or_b64 exec, exec, s[12:13]
	v_lshrrev_b32_e32 v44, 16, v42
	v_cmp_ne_u16_sdwa s[14:15], v44, v47 src0_sel:BYTE_0 src1_sel:DWORD
	s_and_saveexec_b64 s[12:13], s[14:15]
	s_cbranch_execz .LBB667_351
; %bb.346:                              ;   in Loop: Header=BB667_213 Depth=1
	v_cmp_ne_u16_sdwa s[16:17], v44, s9 src0_sel:BYTE_0 src1_sel:DWORD
	v_bfrev_b32_e32 v61, 1
	s_and_saveexec_b64 s[14:15], s[16:17]
	s_cbranch_execz .LBB667_350
; %bb.347:                              ;   in Loop: Header=BB667_213 Depth=1
	v_bfe_u32 v46, v42, 16, 7
	v_cmp_ne_u32_e32 vcc, s19, v46
	v_mov_b32_e32 v61, 0x7f800001
	s_and_saveexec_b64 s[16:17], vcc
	s_cbranch_execz .LBB667_349
; %bb.348:                              ;   in Loop: Header=BB667_213 Depth=1
	v_and_b32_e32 v61, 7, v44
	v_ffbh_u32_e32 v64, v61
	v_min_u32_e32 v66, 32, v64
	v_subrev_u32_e32 v64, 28, v66
	v_lshlrev_b64 v[64:65], v64, v[44:45]
	v_lshrrev_b32_e32 v63, 3, v46
	v_sub_u32_e32 v65, 29, v66
	v_and_b32_e32 v64, 7, v64
	v_cmp_gt_u32_e32 vcc, 8, v46
	v_cndmask_b32_e32 v46, v63, v65, vcc
	v_cndmask_b32_e32 v61, v61, v64, vcc
	v_lshlrev_b32_e32 v44, 24, v44
	v_lshlrev_b32_e32 v61, 20, v61
	v_and_b32_e32 v44, 0x80000000, v44
	v_lshl_add_u32 v46, v46, 23, v48
	v_or3_b32 v61, v44, v46, v61
.LBB667_349:                            ;   in Loop: Header=BB667_213 Depth=1
	s_or_b64 exec, exec, s[16:17]
.LBB667_350:                            ;   in Loop: Header=BB667_213 Depth=1
	s_or_b64 exec, exec, s[14:15]
.LBB667_351:                            ;   in Loop: Header=BB667_213 Depth=1
	s_or_b64 exec, exec, s[12:13]
	v_cmp_lt_u32_e32 vcc, s20, v42
	v_mov_b32_e32 v46, 0
	v_mov_b32_e32 v63, 0
	s_and_saveexec_b64 s[12:13], vcc
	s_cbranch_execz .LBB667_357
; %bb.352:                              ;   in Loop: Header=BB667_213 Depth=1
	v_lshrrev_b32_e32 v44, 24, v42
	v_cmp_ne_u32_e32 vcc, s9, v44
	v_bfrev_b32_e32 v63, 1
	s_and_saveexec_b64 s[14:15], vcc
	s_cbranch_execz .LBB667_356
; %bb.353:                              ;   in Loop: Header=BB667_213 Depth=1
	v_bfe_u32 v42, v42, 24, 7
	v_cmp_ne_u32_e32 vcc, s19, v42
	v_mov_b32_e32 v63, 0x7f800001
	s_and_saveexec_b64 s[16:17], vcc
	s_cbranch_execz .LBB667_355
; %bb.354:                              ;   in Loop: Header=BB667_213 Depth=1
	v_and_b32_e32 v63, 7, v44
	v_ffbh_u32_e32 v64, v63
	v_min_u32_e32 v67, 32, v64
	v_subrev_u32_e32 v64, 28, v67
	v_lshlrev_b64 v[64:65], v64, v[44:45]
	v_lshrrev_b32_e32 v66, 3, v42
	v_sub_u32_e32 v65, 29, v67
	v_and_b32_e32 v64, 7, v64
	v_cmp_gt_u32_e32 vcc, 8, v42
	v_cndmask_b32_e32 v42, v66, v65, vcc
	v_cndmask_b32_e32 v63, v63, v64, vcc
	v_lshlrev_b32_e32 v44, 24, v44
	v_lshlrev_b32_e32 v63, 20, v63
	v_and_b32_e32 v44, 0x80000000, v44
	v_lshl_add_u32 v42, v42, 23, v48
	v_or3_b32 v63, v44, v42, v63
.LBB667_355:                            ;   in Loop: Header=BB667_213 Depth=1
	s_or_b64 exec, exec, s[16:17]
.LBB667_356:                            ;   in Loop: Header=BB667_213 Depth=1
	s_or_b64 exec, exec, s[14:15]
.LBB667_357:                            ;   in Loop: Header=BB667_213 Depth=1
	s_or_b64 exec, exec, s[12:13]
	v_cvt_pkrtz_f16_f32 v64, v49, v51
	v_cvt_pkrtz_f16_f32 v65, v50, v53
	;; [unrolled: 1-line block ×4, first 2 shown]
	s_waitcnt vmcnt(1)
	v_cmp_ne_u16_sdwa s[14:15], v40, v47 src0_sel:BYTE_0 src1_sel:DWORD
	v_mfma_f32_16x16x16f16 v[34:37], v[64:65], v[10:11], v[34:37]
	v_mfma_f32_16x16x16f16 v[34:37], v[50:51], v[12:13], v[34:37]
	s_and_saveexec_b64 s[12:13], s[14:15]
	s_cbranch_execz .LBB667_363
; %bb.358:                              ;   in Loop: Header=BB667_213 Depth=1
	v_cmp_ne_u16_sdwa s[16:17], v40, s9 src0_sel:BYTE_0 src1_sel:DWORD
	v_bfrev_b32_e32 v46, 1
	s_and_saveexec_b64 s[14:15], s[16:17]
	s_cbranch_execz .LBB667_362
; %bb.359:                              ;   in Loop: Header=BB667_213 Depth=1
	v_and_b32_e32 v42, 0x7f, v40
	v_cmp_ne_u32_e32 vcc, s19, v42
	v_mov_b32_e32 v46, 0x7f800001
	s_and_saveexec_b64 s[16:17], vcc
	s_cbranch_execz .LBB667_361
; %bb.360:                              ;   in Loop: Header=BB667_213 Depth=1
	v_and_b32_e32 v44, 7, v40
	v_ffbh_u32_e32 v49, v44
	v_min_u32_e32 v49, 32, v49
	v_subrev_u32_e32 v50, 28, v49
	v_lshlrev_b64 v[50:51], v50, v[40:41]
	v_lshrrev_b32_e32 v46, 3, v42
	v_sub_u32_e32 v49, 29, v49
	v_and_b32_e32 v50, 7, v50
	v_cmp_gt_u32_e32 vcc, 8, v42
	v_cndmask_b32_e32 v42, v46, v49, vcc
	v_cndmask_b32_e32 v44, v44, v50, vcc
	v_lshlrev_b32_e32 v46, 24, v40
	v_lshlrev_b32_e32 v44, 20, v44
	v_and_b32_e32 v46, 0x80000000, v46
	v_lshl_add_u32 v42, v42, 23, v48
	v_or3_b32 v46, v46, v42, v44
.LBB667_361:                            ;   in Loop: Header=BB667_213 Depth=1
	s_or_b64 exec, exec, s[16:17]
.LBB667_362:                            ;   in Loop: Header=BB667_213 Depth=1
	s_or_b64 exec, exec, s[14:15]
.LBB667_363:                            ;   in Loop: Header=BB667_213 Depth=1
	s_or_b64 exec, exec, s[12:13]
	v_lshrrev_b16_e32 v42, 8, v40
	v_cmp_ne_u16_e32 vcc, 0, v42
	v_mov_b32_e32 v44, 0
	v_mov_b32_e32 v50, 0
	s_and_saveexec_b64 s[12:13], vcc
	s_cbranch_execz .LBB667_369
; %bb.364:                              ;   in Loop: Header=BB667_213 Depth=1
	v_cmp_ne_u16_e32 vcc, s9, v42
	v_bfrev_b32_e32 v50, 1
	s_and_saveexec_b64 s[14:15], vcc
	s_cbranch_execz .LBB667_368
; %bb.365:                              ;   in Loop: Header=BB667_213 Depth=1
	v_and_b32_e32 v49, 0x7f, v42
	v_cmp_ne_u32_e32 vcc, s19, v49
	v_mov_b32_e32 v50, 0x7f800001
	s_and_saveexec_b64 s[16:17], vcc
	s_cbranch_execz .LBB667_367
; %bb.366:                              ;   in Loop: Header=BB667_213 Depth=1
	v_and_b32_e32 v52, 7, v42
	v_ffbh_u32_e32 v50, v52
	v_min_u32_e32 v61, 32, v50
	v_subrev_u32_e32 v50, 28, v61
	v_lshlrev_b64 v[50:51], v50, v[42:43]
	v_lshrrev_b32_e32 v53, 3, v49
	v_sub_u32_e32 v42, 29, v61
	v_and_b32_e32 v50, 7, v50
	v_cmp_gt_u32_e32 vcc, 8, v49
	v_cndmask_b32_e32 v42, v53, v42, vcc
	v_cndmask_b32_e32 v49, v52, v50, vcc
	v_lshlrev_b32_e32 v50, 16, v40
	v_lshlrev_b32_e32 v49, 20, v49
	v_and_b32_e32 v50, 0x80000000, v50
	v_lshl_add_u32 v42, v42, 23, v48
	v_or3_b32 v50, v50, v42, v49
.LBB667_367:                            ;   in Loop: Header=BB667_213 Depth=1
	s_or_b64 exec, exec, s[16:17]
.LBB667_368:                            ;   in Loop: Header=BB667_213 Depth=1
	s_or_b64 exec, exec, s[14:15]
.LBB667_369:                            ;   in Loop: Header=BB667_213 Depth=1
	s_or_b64 exec, exec, s[12:13]
	v_lshrrev_b32_e32 v42, 16, v40
	v_cmp_ne_u16_sdwa s[14:15], v42, v47 src0_sel:BYTE_0 src1_sel:DWORD
	s_and_saveexec_b64 s[12:13], s[14:15]
	s_cbranch_execz .LBB667_375
; %bb.370:                              ;   in Loop: Header=BB667_213 Depth=1
	v_cmp_ne_u16_sdwa s[16:17], v42, s9 src0_sel:BYTE_0 src1_sel:DWORD
	v_bfrev_b32_e32 v44, 1
	s_and_saveexec_b64 s[14:15], s[16:17]
	s_cbranch_execz .LBB667_374
; %bb.371:                              ;   in Loop: Header=BB667_213 Depth=1
	v_bfe_u32 v49, v40, 16, 7
	v_cmp_ne_u32_e32 vcc, s19, v49
	v_mov_b32_e32 v44, 0x7f800001
	s_and_saveexec_b64 s[16:17], vcc
	s_cbranch_execz .LBB667_373
; %bb.372:                              ;   in Loop: Header=BB667_213 Depth=1
	v_and_b32_e32 v44, 7, v42
	v_ffbh_u32_e32 v52, v44
	v_min_u32_e32 v61, 32, v52
	v_subrev_u32_e32 v52, 28, v61
	v_lshlrev_b64 v[52:53], v52, v[42:43]
	v_lshrrev_b32_e32 v51, 3, v49
	v_sub_u32_e32 v53, 29, v61
	v_and_b32_e32 v52, 7, v52
	v_cmp_gt_u32_e32 vcc, 8, v49
	v_cndmask_b32_e32 v49, v51, v53, vcc
	v_cndmask_b32_e32 v44, v44, v52, vcc
	v_lshlrev_b32_e32 v42, 24, v42
	v_lshlrev_b32_e32 v44, 20, v44
	v_and_b32_e32 v42, 0x80000000, v42
	v_lshl_add_u32 v49, v49, 23, v48
	v_or3_b32 v44, v42, v49, v44
.LBB667_373:                            ;   in Loop: Header=BB667_213 Depth=1
	s_or_b64 exec, exec, s[16:17]
.LBB667_374:                            ;   in Loop: Header=BB667_213 Depth=1
	s_or_b64 exec, exec, s[14:15]
.LBB667_375:                            ;   in Loop: Header=BB667_213 Depth=1
	s_or_b64 exec, exec, s[12:13]
	v_cmp_lt_u32_e32 vcc, s20, v40
	v_mov_b32_e32 v51, 0
	v_mov_b32_e32 v52, 0
	s_and_saveexec_b64 s[12:13], vcc
	s_cbranch_execz .LBB667_381
; %bb.376:                              ;   in Loop: Header=BB667_213 Depth=1
	v_lshrrev_b32_e32 v42, 24, v40
	v_cmp_ne_u32_e32 vcc, s9, v42
	v_bfrev_b32_e32 v52, 1
	s_and_saveexec_b64 s[14:15], vcc
	s_cbranch_execz .LBB667_380
; %bb.377:                              ;   in Loop: Header=BB667_213 Depth=1
	v_bfe_u32 v40, v40, 24, 7
	v_cmp_ne_u32_e32 vcc, s19, v40
	v_mov_b32_e32 v52, 0x7f800001
	s_and_saveexec_b64 s[16:17], vcc
	s_cbranch_execz .LBB667_379
; %bb.378:                              ;   in Loop: Header=BB667_213 Depth=1
	v_and_b32_e32 v49, 7, v42
	v_ffbh_u32_e32 v52, v49
	v_min_u32_e32 v62, 32, v52
	v_subrev_u32_e32 v52, 28, v62
	v_lshlrev_b64 v[52:53], v52, v[42:43]
	v_lshrrev_b32_e32 v61, 3, v40
	v_sub_u32_e32 v53, 29, v62
	v_and_b32_e32 v52, 7, v52
	v_cmp_gt_u32_e32 vcc, 8, v40
	v_cndmask_b32_e32 v40, v61, v53, vcc
	v_cndmask_b32_e32 v49, v49, v52, vcc
	v_lshlrev_b32_e32 v42, 24, v42
	v_lshlrev_b32_e32 v49, 20, v49
	v_and_b32_e32 v42, 0x80000000, v42
	v_lshl_add_u32 v40, v40, 23, v48
	v_or3_b32 v52, v42, v40, v49
.LBB667_379:                            ;   in Loop: Header=BB667_213 Depth=1
	s_or_b64 exec, exec, s[16:17]
.LBB667_380:                            ;   in Loop: Header=BB667_213 Depth=1
	s_or_b64 exec, exec, s[14:15]
.LBB667_381:                            ;   in Loop: Header=BB667_213 Depth=1
	s_or_b64 exec, exec, s[12:13]
	s_waitcnt vmcnt(0)
	v_cmp_ne_u16_sdwa s[14:15], v38, v47 src0_sel:BYTE_0 src1_sel:DWORD
	s_and_saveexec_b64 s[12:13], s[14:15]
	s_cbranch_execz .LBB667_387
; %bb.382:                              ;   in Loop: Header=BB667_213 Depth=1
	v_cmp_ne_u16_sdwa s[16:17], v38, s9 src0_sel:BYTE_0 src1_sel:DWORD
	v_bfrev_b32_e32 v51, 1
	s_and_saveexec_b64 s[14:15], s[16:17]
	s_cbranch_execz .LBB667_386
; %bb.383:                              ;   in Loop: Header=BB667_213 Depth=1
	v_and_b32_e32 v40, 0x7f, v38
	v_cmp_ne_u32_e32 vcc, s19, v40
	v_mov_b32_e32 v51, 0x7f800001
	s_and_saveexec_b64 s[16:17], vcc
	s_cbranch_execz .LBB667_385
; %bb.384:                              ;   in Loop: Header=BB667_213 Depth=1
	v_and_b32_e32 v42, 7, v38
	v_ffbh_u32_e32 v51, v42
	v_min_u32_e32 v51, 32, v51
	v_subrev_u32_e32 v53, 28, v51
	v_lshlrev_b64 v[62:63], v53, v[38:39]
	v_lshrrev_b32_e32 v49, 3, v40
	v_sub_u32_e32 v51, 29, v51
	v_and_b32_e32 v53, 7, v62
	v_cmp_gt_u32_e32 vcc, 8, v40
	v_cndmask_b32_e32 v40, v49, v51, vcc
	v_cndmask_b32_e32 v42, v42, v53, vcc
	v_lshlrev_b32_e32 v49, 24, v38
	v_lshlrev_b32_e32 v42, 20, v42
	v_and_b32_e32 v49, 0x80000000, v49
	v_lshl_add_u32 v40, v40, 23, v48
	v_or3_b32 v51, v49, v40, v42
.LBB667_385:                            ;   in Loop: Header=BB667_213 Depth=1
	s_or_b64 exec, exec, s[16:17]
.LBB667_386:                            ;   in Loop: Header=BB667_213 Depth=1
	s_or_b64 exec, exec, s[14:15]
.LBB667_387:                            ;   in Loop: Header=BB667_213 Depth=1
	s_or_b64 exec, exec, s[12:13]
	v_lshrrev_b16_e32 v40, 8, v38
	v_cmp_ne_u16_e32 vcc, 0, v40
	v_mov_b32_e32 v53, 0
	v_mov_b32_e32 v61, 0
	s_and_saveexec_b64 s[12:13], vcc
	s_cbranch_execz .LBB667_393
; %bb.388:                              ;   in Loop: Header=BB667_213 Depth=1
	v_cmp_ne_u16_e32 vcc, s9, v40
	v_bfrev_b32_e32 v61, 1
	s_and_saveexec_b64 s[14:15], vcc
	s_cbranch_execz .LBB667_392
; %bb.389:                              ;   in Loop: Header=BB667_213 Depth=1
	v_and_b32_e32 v42, 0x7f, v40
	v_cmp_ne_u32_e32 vcc, s19, v42
	v_mov_b32_e32 v61, 0x7f800001
	s_and_saveexec_b64 s[16:17], vcc
	s_cbranch_execz .LBB667_391
; %bb.390:                              ;   in Loop: Header=BB667_213 Depth=1
	v_and_b32_e32 v49, 7, v40
	v_ffbh_u32_e32 v62, v49
	v_min_u32_e32 v64, 32, v62
	v_subrev_u32_e32 v62, 28, v64
	v_lshlrev_b64 v[62:63], v62, v[40:41]
	v_lshrrev_b32_e32 v61, 3, v42
	v_sub_u32_e32 v40, 29, v64
	v_and_b32_e32 v62, 7, v62
	v_cmp_gt_u32_e32 vcc, 8, v42
	v_cndmask_b32_e32 v40, v61, v40, vcc
	v_cndmask_b32_e32 v42, v49, v62, vcc
	v_lshlrev_b32_e32 v49, 16, v38
	v_lshlrev_b32_e32 v42, 20, v42
	v_and_b32_e32 v49, 0x80000000, v49
	v_lshl_add_u32 v40, v40, 23, v48
	v_or3_b32 v61, v49, v40, v42
.LBB667_391:                            ;   in Loop: Header=BB667_213 Depth=1
	s_or_b64 exec, exec, s[16:17]
.LBB667_392:                            ;   in Loop: Header=BB667_213 Depth=1
	s_or_b64 exec, exec, s[14:15]
.LBB667_393:                            ;   in Loop: Header=BB667_213 Depth=1
	s_or_b64 exec, exec, s[12:13]
	v_lshrrev_b32_e32 v40, 16, v38
	v_cmp_ne_u16_sdwa s[14:15], v40, v47 src0_sel:BYTE_0 src1_sel:DWORD
	s_and_saveexec_b64 s[12:13], s[14:15]
	s_cbranch_execz .LBB667_399
; %bb.394:                              ;   in Loop: Header=BB667_213 Depth=1
	v_cmp_ne_u16_sdwa s[16:17], v40, s9 src0_sel:BYTE_0 src1_sel:DWORD
	v_bfrev_b32_e32 v53, 1
	s_and_saveexec_b64 s[14:15], s[16:17]
	s_cbranch_execz .LBB667_398
; %bb.395:                              ;   in Loop: Header=BB667_213 Depth=1
	v_bfe_u32 v42, v38, 16, 7
	v_cmp_ne_u32_e32 vcc, s19, v42
	v_mov_b32_e32 v53, 0x7f800001
	s_and_saveexec_b64 s[16:17], vcc
	s_cbranch_execz .LBB667_397
; %bb.396:                              ;   in Loop: Header=BB667_213 Depth=1
	v_and_b32_e32 v49, 7, v40
	v_ffbh_u32_e32 v62, v49
	v_min_u32_e32 v64, 32, v62
	v_subrev_u32_e32 v62, 28, v64
	v_lshlrev_b64 v[62:63], v62, v[40:41]
	v_lshrrev_b32_e32 v53, 3, v42
	v_sub_u32_e32 v63, 29, v64
	v_and_b32_e32 v62, 7, v62
	v_cmp_gt_u32_e32 vcc, 8, v42
	v_cndmask_b32_e32 v42, v53, v63, vcc
	v_cndmask_b32_e32 v49, v49, v62, vcc
	v_lshlrev_b32_e32 v40, 24, v40
	v_lshlrev_b32_e32 v49, 20, v49
	v_and_b32_e32 v40, 0x80000000, v40
	v_lshl_add_u32 v42, v42, 23, v48
	v_or3_b32 v53, v40, v42, v49
.LBB667_397:                            ;   in Loop: Header=BB667_213 Depth=1
	s_or_b64 exec, exec, s[16:17]
.LBB667_398:                            ;   in Loop: Header=BB667_213 Depth=1
	s_or_b64 exec, exec, s[14:15]
.LBB667_399:                            ;   in Loop: Header=BB667_213 Depth=1
	s_or_b64 exec, exec, s[12:13]
	v_cmp_lt_u32_e32 vcc, s20, v38
	v_mov_b32_e32 v49, 0
	v_mov_b32_e32 v62, 0
	s_and_saveexec_b64 s[12:13], vcc
	s_cbranch_execz .LBB667_405
; %bb.400:                              ;   in Loop: Header=BB667_213 Depth=1
	v_lshrrev_b32_e32 v40, 24, v38
	v_cmp_ne_u32_e32 vcc, s9, v40
	v_bfrev_b32_e32 v62, 1
	s_and_saveexec_b64 s[14:15], vcc
	s_cbranch_execz .LBB667_404
; %bb.401:                              ;   in Loop: Header=BB667_213 Depth=1
	v_bfe_u32 v38, v38, 24, 7
	v_cmp_ne_u32_e32 vcc, s19, v38
	v_mov_b32_e32 v62, 0x7f800001
	s_and_saveexec_b64 s[16:17], vcc
	s_cbranch_execz .LBB667_403
; %bb.402:                              ;   in Loop: Header=BB667_213 Depth=1
	v_and_b32_e32 v42, 7, v40
	v_ffbh_u32_e32 v62, v42
	v_min_u32_e32 v65, 32, v62
	v_subrev_u32_e32 v62, 28, v65
	v_lshlrev_b64 v[62:63], v62, v[40:41]
	v_lshrrev_b32_e32 v64, 3, v38
	v_sub_u32_e32 v63, 29, v65
	v_and_b32_e32 v62, 7, v62
	v_cmp_gt_u32_e32 vcc, 8, v38
	v_cndmask_b32_e32 v38, v64, v63, vcc
	v_cndmask_b32_e32 v42, v42, v62, vcc
	v_lshlrev_b32_e32 v40, 24, v40
	v_lshlrev_b32_e32 v42, 20, v42
	v_and_b32_e32 v40, 0x80000000, v40
	v_lshl_add_u32 v38, v38, 23, v48
	v_or3_b32 v62, v40, v38, v42
.LBB667_403:                            ;   in Loop: Header=BB667_213 Depth=1
	s_or_b64 exec, exec, s[16:17]
.LBB667_404:                            ;   in Loop: Header=BB667_213 Depth=1
	s_or_b64 exec, exec, s[14:15]
.LBB667_405:                            ;   in Loop: Header=BB667_213 Depth=1
	s_or_b64 exec, exec, s[12:13]
	v_cvt_pkrtz_f16_f32 v65, v44, v52
	buffer_load_dword v44, v60, s[0:3], 0 offen
	buffer_load_dword v42, v60, s[0:3], 0 offen offset:4
	buffer_load_dword v40, v60, s[0:3], 0 offen offset:8
	;; [unrolled: 1-line block ×3, first 2 shown]
	v_cvt_pkrtz_f16_f32 v64, v46, v50
	v_cvt_pkrtz_f16_f32 v50, v51, v61
	v_cvt_pkrtz_f16_f32 v51, v53, v62
	v_mfma_f32_16x16x16f16 v[34:37], v[64:65], v[14:15], v[34:37]
	s_waitcnt vmcnt(3)
	v_cmp_ne_u16_sdwa s[14:15], v44, v47 src0_sel:BYTE_0 src1_sel:DWORD
	v_mfma_f32_16x16x16f16 v[34:37], v[50:51], v[16:17], v[34:37]
	s_and_saveexec_b64 s[12:13], s[14:15]
	s_cbranch_execz .LBB667_411
; %bb.406:                              ;   in Loop: Header=BB667_213 Depth=1
	v_cmp_ne_u16_sdwa s[16:17], v44, s9 src0_sel:BYTE_0 src1_sel:DWORD
	v_bfrev_b32_e32 v49, 1
	s_and_saveexec_b64 s[14:15], s[16:17]
	s_cbranch_execz .LBB667_410
; %bb.407:                              ;   in Loop: Header=BB667_213 Depth=1
	v_and_b32_e32 v46, 0x7f, v44
	v_cmp_ne_u32_e32 vcc, s19, v46
	v_mov_b32_e32 v49, 0x7f800001
	s_and_saveexec_b64 s[16:17], vcc
	s_cbranch_execz .LBB667_409
; %bb.408:                              ;   in Loop: Header=BB667_213 Depth=1
	v_and_b32_e32 v49, 7, v44
	v_ffbh_u32_e32 v50, v49
	v_min_u32_e32 v53, 32, v50
	v_subrev_u32_e32 v50, 28, v53
	v_lshlrev_b64 v[50:51], v50, v[44:45]
	v_lshrrev_b32_e32 v52, 3, v46
	v_sub_u32_e32 v51, 29, v53
	v_and_b32_e32 v50, 7, v50
	v_cmp_gt_u32_e32 vcc, 8, v46
	v_cndmask_b32_e32 v46, v52, v51, vcc
	v_cndmask_b32_e32 v49, v49, v50, vcc
	v_lshlrev_b32_e32 v50, 24, v44
	v_lshlrev_b32_e32 v49, 20, v49
	v_and_b32_e32 v50, 0x80000000, v50
	v_lshl_add_u32 v46, v46, 23, v48
	v_or3_b32 v49, v50, v46, v49
.LBB667_409:                            ;   in Loop: Header=BB667_213 Depth=1
	s_or_b64 exec, exec, s[16:17]
.LBB667_410:                            ;   in Loop: Header=BB667_213 Depth=1
	s_or_b64 exec, exec, s[14:15]
.LBB667_411:                            ;   in Loop: Header=BB667_213 Depth=1
	s_or_b64 exec, exec, s[12:13]
	v_lshrrev_b16_e32 v46, 8, v44
	v_cmp_ne_u16_e32 vcc, 0, v46
	v_mov_b32_e32 v50, 0
	v_mov_b32_e32 v51, 0
	s_and_saveexec_b64 s[12:13], vcc
	s_cbranch_execz .LBB667_417
; %bb.412:                              ;   in Loop: Header=BB667_213 Depth=1
	v_cmp_ne_u16_e32 vcc, s9, v46
	v_bfrev_b32_e32 v51, 1
	s_and_saveexec_b64 s[14:15], vcc
	s_cbranch_execz .LBB667_416
; %bb.413:                              ;   in Loop: Header=BB667_213 Depth=1
	v_and_b32_e32 v52, 0x7f, v46
	v_cmp_ne_u32_e32 vcc, s19, v52
	v_mov_b32_e32 v51, 0x7f800001
	s_and_saveexec_b64 s[16:17], vcc
	s_cbranch_execz .LBB667_415
; %bb.414:                              ;   in Loop: Header=BB667_213 Depth=1
	v_and_b32_e32 v51, 7, v46
	v_ffbh_u32_e32 v60, v51
	v_min_u32_e32 v62, 32, v60
	v_subrev_u32_e32 v60, 28, v62
	v_lshlrev_b64 v[60:61], v60, v[46:47]
	v_lshrrev_b32_e32 v53, 3, v52
	v_sub_u32_e32 v46, 29, v62
	v_and_b32_e32 v60, 7, v60
	v_cmp_gt_u32_e32 vcc, 8, v52
	v_cndmask_b32_e32 v46, v53, v46, vcc
	v_cndmask_b32_e32 v51, v51, v60, vcc
	v_lshlrev_b32_e32 v52, 16, v44
	v_lshlrev_b32_e32 v51, 20, v51
	v_and_b32_e32 v52, 0x80000000, v52
	v_lshl_add_u32 v46, v46, 23, v48
	v_or3_b32 v51, v52, v46, v51
.LBB667_415:                            ;   in Loop: Header=BB667_213 Depth=1
	s_or_b64 exec, exec, s[16:17]
.LBB667_416:                            ;   in Loop: Header=BB667_213 Depth=1
	s_or_b64 exec, exec, s[14:15]
.LBB667_417:                            ;   in Loop: Header=BB667_213 Depth=1
	s_or_b64 exec, exec, s[12:13]
	v_lshrrev_b32_e32 v46, 16, v44
	v_cmp_ne_u16_sdwa s[14:15], v46, v47 src0_sel:BYTE_0 src1_sel:DWORD
	s_and_saveexec_b64 s[12:13], s[14:15]
	s_cbranch_execz .LBB667_423
; %bb.418:                              ;   in Loop: Header=BB667_213 Depth=1
	v_cmp_ne_u16_sdwa s[16:17], v46, s9 src0_sel:BYTE_0 src1_sel:DWORD
	v_bfrev_b32_e32 v50, 1
	s_and_saveexec_b64 s[14:15], s[16:17]
	s_cbranch_execz .LBB667_422
; %bb.419:                              ;   in Loop: Header=BB667_213 Depth=1
	v_bfe_u32 v52, v44, 16, 7
	v_cmp_ne_u32_e32 vcc, s19, v52
	v_mov_b32_e32 v50, 0x7f800001
	s_and_saveexec_b64 s[16:17], vcc
	s_cbranch_execz .LBB667_421
; %bb.420:                              ;   in Loop: Header=BB667_213 Depth=1
	v_and_b32_e32 v50, 7, v46
	v_ffbh_u32_e32 v60, v50
	v_min_u32_e32 v62, 32, v60
	v_subrev_u32_e32 v60, 28, v62
	v_lshlrev_b64 v[60:61], v60, v[46:47]
	v_lshrrev_b32_e32 v53, 3, v52
	v_sub_u32_e32 v61, 29, v62
	v_and_b32_e32 v60, 7, v60
	v_cmp_gt_u32_e32 vcc, 8, v52
	v_cndmask_b32_e32 v52, v53, v61, vcc
	v_cndmask_b32_e32 v50, v50, v60, vcc
	v_lshlrev_b32_e32 v46, 24, v46
	v_lshlrev_b32_e32 v50, 20, v50
	v_and_b32_e32 v46, 0x80000000, v46
	v_lshl_add_u32 v52, v52, 23, v48
	v_or3_b32 v50, v46, v52, v50
.LBB667_421:                            ;   in Loop: Header=BB667_213 Depth=1
	s_or_b64 exec, exec, s[16:17]
.LBB667_422:                            ;   in Loop: Header=BB667_213 Depth=1
	s_or_b64 exec, exec, s[14:15]
.LBB667_423:                            ;   in Loop: Header=BB667_213 Depth=1
	s_or_b64 exec, exec, s[12:13]
	v_cmp_lt_u32_e32 vcc, s20, v44
	v_mov_b32_e32 v52, 0
	v_mov_b32_e32 v53, 0
	s_and_saveexec_b64 s[12:13], vcc
	s_cbranch_execz .LBB667_429
; %bb.424:                              ;   in Loop: Header=BB667_213 Depth=1
	v_lshrrev_b32_e32 v46, 24, v44
	v_cmp_ne_u32_e32 vcc, s9, v46
	v_bfrev_b32_e32 v53, 1
	s_and_saveexec_b64 s[14:15], vcc
	s_cbranch_execz .LBB667_428
; %bb.425:                              ;   in Loop: Header=BB667_213 Depth=1
	v_bfe_u32 v44, v44, 24, 7
	v_cmp_ne_u32_e32 vcc, s19, v44
	v_mov_b32_e32 v53, 0x7f800001
	s_and_saveexec_b64 s[16:17], vcc
	s_cbranch_execz .LBB667_427
; %bb.426:                              ;   in Loop: Header=BB667_213 Depth=1
	v_and_b32_e32 v53, 7, v46
	v_ffbh_u32_e32 v60, v53
	v_min_u32_e32 v63, 32, v60
	v_subrev_u32_e32 v60, 28, v63
	v_lshlrev_b64 v[60:61], v60, v[46:47]
	v_lshrrev_b32_e32 v62, 3, v44
	v_sub_u32_e32 v61, 29, v63
	v_and_b32_e32 v60, 7, v60
	v_cmp_gt_u32_e32 vcc, 8, v44
	v_cndmask_b32_e32 v44, v62, v61, vcc
	v_cndmask_b32_e32 v53, v53, v60, vcc
	v_lshlrev_b32_e32 v46, 24, v46
	v_lshlrev_b32_e32 v53, 20, v53
	v_and_b32_e32 v46, 0x80000000, v46
	v_lshl_add_u32 v44, v44, 23, v48
	v_or3_b32 v53, v46, v44, v53
.LBB667_427:                            ;   in Loop: Header=BB667_213 Depth=1
	s_or_b64 exec, exec, s[16:17]
.LBB667_428:                            ;   in Loop: Header=BB667_213 Depth=1
	s_or_b64 exec, exec, s[14:15]
.LBB667_429:                            ;   in Loop: Header=BB667_213 Depth=1
	s_or_b64 exec, exec, s[12:13]
	s_waitcnt vmcnt(2)
	v_cmp_ne_u16_sdwa s[14:15], v42, v47 src0_sel:BYTE_0 src1_sel:DWORD
	s_and_saveexec_b64 s[12:13], s[14:15]
	s_cbranch_execz .LBB667_435
; %bb.430:                              ;   in Loop: Header=BB667_213 Depth=1
	v_cmp_ne_u16_sdwa s[16:17], v42, s9 src0_sel:BYTE_0 src1_sel:DWORD
	v_bfrev_b32_e32 v52, 1
	s_and_saveexec_b64 s[14:15], s[16:17]
	s_cbranch_execz .LBB667_434
; %bb.431:                              ;   in Loop: Header=BB667_213 Depth=1
	v_and_b32_e32 v44, 0x7f, v42
	v_cmp_ne_u32_e32 vcc, s19, v44
	v_mov_b32_e32 v52, 0x7f800001
	s_and_saveexec_b64 s[16:17], vcc
	s_cbranch_execz .LBB667_433
; %bb.432:                              ;   in Loop: Header=BB667_213 Depth=1
	v_and_b32_e32 v46, 7, v42
	v_ffbh_u32_e32 v60, v46
	v_min_u32_e32 v62, 32, v60
	v_subrev_u32_e32 v60, 28, v62
	v_lshlrev_b64 v[60:61], v60, v[42:43]
	v_lshrrev_b32_e32 v52, 3, v44
	v_sub_u32_e32 v61, 29, v62
	v_and_b32_e32 v60, 7, v60
	v_cmp_gt_u32_e32 vcc, 8, v44
	v_cndmask_b32_e32 v44, v52, v61, vcc
	v_cndmask_b32_e32 v46, v46, v60, vcc
	v_lshlrev_b32_e32 v52, 24, v42
	v_lshlrev_b32_e32 v46, 20, v46
	v_and_b32_e32 v52, 0x80000000, v52
	v_lshl_add_u32 v44, v44, 23, v48
	v_or3_b32 v52, v52, v44, v46
.LBB667_433:                            ;   in Loop: Header=BB667_213 Depth=1
	s_or_b64 exec, exec, s[16:17]
.LBB667_434:                            ;   in Loop: Header=BB667_213 Depth=1
	s_or_b64 exec, exec, s[14:15]
.LBB667_435:                            ;   in Loop: Header=BB667_213 Depth=1
	s_or_b64 exec, exec, s[12:13]
	v_lshrrev_b16_e32 v44, 8, v42
	v_cmp_ne_u16_e32 vcc, 0, v44
	v_mov_b32_e32 v60, 0
	v_mov_b32_e32 v61, 0
	s_and_saveexec_b64 s[12:13], vcc
	s_cbranch_execz .LBB667_441
; %bb.436:                              ;   in Loop: Header=BB667_213 Depth=1
	v_cmp_ne_u16_e32 vcc, s9, v44
	v_bfrev_b32_e32 v61, 1
	s_and_saveexec_b64 s[14:15], vcc
	s_cbranch_execz .LBB667_440
; %bb.437:                              ;   in Loop: Header=BB667_213 Depth=1
	v_and_b32_e32 v46, 0x7f, v44
	v_cmp_ne_u32_e32 vcc, s19, v46
	v_mov_b32_e32 v61, 0x7f800001
	s_and_saveexec_b64 s[16:17], vcc
	s_cbranch_execz .LBB667_439
; %bb.438:                              ;   in Loop: Header=BB667_213 Depth=1
	v_and_b32_e32 v61, 7, v44
	v_ffbh_u32_e32 v62, v61
	v_min_u32_e32 v65, 32, v62
	v_subrev_u32_e32 v62, 28, v65
	v_lshlrev_b64 v[62:63], v62, v[44:45]
	v_lshrrev_b32_e32 v64, 3, v46
	v_sub_u32_e32 v44, 29, v65
	v_and_b32_e32 v62, 7, v62
	v_cmp_gt_u32_e32 vcc, 8, v46
	v_cndmask_b32_e32 v44, v64, v44, vcc
	v_cndmask_b32_e32 v46, v61, v62, vcc
	v_lshlrev_b32_e32 v61, 16, v42
	v_lshlrev_b32_e32 v46, 20, v46
	v_and_b32_e32 v61, 0x80000000, v61
	v_lshl_add_u32 v44, v44, 23, v48
	v_or3_b32 v61, v61, v44, v46
.LBB667_439:                            ;   in Loop: Header=BB667_213 Depth=1
	s_or_b64 exec, exec, s[16:17]
.LBB667_440:                            ;   in Loop: Header=BB667_213 Depth=1
	s_or_b64 exec, exec, s[14:15]
.LBB667_441:                            ;   in Loop: Header=BB667_213 Depth=1
	s_or_b64 exec, exec, s[12:13]
	v_lshrrev_b32_e32 v44, 16, v42
	v_cmp_ne_u16_sdwa s[14:15], v44, v47 src0_sel:BYTE_0 src1_sel:DWORD
	s_and_saveexec_b64 s[12:13], s[14:15]
	s_cbranch_execz .LBB667_447
; %bb.442:                              ;   in Loop: Header=BB667_213 Depth=1
	v_cmp_ne_u16_sdwa s[16:17], v44, s9 src0_sel:BYTE_0 src1_sel:DWORD
	v_bfrev_b32_e32 v60, 1
	s_and_saveexec_b64 s[14:15], s[16:17]
	s_cbranch_execz .LBB667_446
; %bb.443:                              ;   in Loop: Header=BB667_213 Depth=1
	v_bfe_u32 v46, v42, 16, 7
	v_cmp_ne_u32_e32 vcc, s19, v46
	v_mov_b32_e32 v60, 0x7f800001
	s_and_saveexec_b64 s[16:17], vcc
	s_cbranch_execz .LBB667_445
; %bb.444:                              ;   in Loop: Header=BB667_213 Depth=1
	v_and_b32_e32 v60, 7, v44
	v_ffbh_u32_e32 v62, v60
	v_min_u32_e32 v65, 32, v62
	v_subrev_u32_e32 v62, 28, v65
	v_lshlrev_b64 v[62:63], v62, v[44:45]
	v_lshrrev_b32_e32 v64, 3, v46
	v_sub_u32_e32 v63, 29, v65
	v_and_b32_e32 v62, 7, v62
	v_cmp_gt_u32_e32 vcc, 8, v46
	v_cndmask_b32_e32 v46, v64, v63, vcc
	v_cndmask_b32_e32 v60, v60, v62, vcc
	v_lshlrev_b32_e32 v44, 24, v44
	v_lshlrev_b32_e32 v60, 20, v60
	v_and_b32_e32 v44, 0x80000000, v44
	v_lshl_add_u32 v46, v46, 23, v48
	v_or3_b32 v60, v44, v46, v60
.LBB667_445:                            ;   in Loop: Header=BB667_213 Depth=1
	s_or_b64 exec, exec, s[16:17]
.LBB667_446:                            ;   in Loop: Header=BB667_213 Depth=1
	s_or_b64 exec, exec, s[14:15]
.LBB667_447:                            ;   in Loop: Header=BB667_213 Depth=1
	s_or_b64 exec, exec, s[12:13]
	v_cmp_lt_u32_e32 vcc, s20, v42
	v_mov_b32_e32 v46, 0
	v_mov_b32_e32 v62, 0
	s_and_saveexec_b64 s[12:13], vcc
	s_cbranch_execz .LBB667_453
; %bb.448:                              ;   in Loop: Header=BB667_213 Depth=1
	v_lshrrev_b32_e32 v44, 24, v42
	v_cmp_ne_u32_e32 vcc, s9, v44
	v_bfrev_b32_e32 v62, 1
	s_and_saveexec_b64 s[14:15], vcc
	s_cbranch_execz .LBB667_452
; %bb.449:                              ;   in Loop: Header=BB667_213 Depth=1
	v_bfe_u32 v42, v42, 24, 7
	v_cmp_ne_u32_e32 vcc, s19, v42
	v_mov_b32_e32 v62, 0x7f800001
	s_and_saveexec_b64 s[16:17], vcc
	s_cbranch_execz .LBB667_451
; %bb.450:                              ;   in Loop: Header=BB667_213 Depth=1
	v_and_b32_e32 v64, 7, v44
	v_ffbh_u32_e32 v62, v64
	v_min_u32_e32 v66, 32, v62
	v_subrev_u32_e32 v62, 28, v66
	v_lshlrev_b64 v[62:63], v62, v[44:45]
	v_lshrrev_b32_e32 v65, 3, v42
	v_sub_u32_e32 v63, 29, v66
	v_and_b32_e32 v62, 7, v62
	v_cmp_gt_u32_e32 vcc, 8, v42
	v_cndmask_b32_e32 v42, v65, v63, vcc
	v_cndmask_b32_e32 v62, v64, v62, vcc
	v_lshlrev_b32_e32 v44, 24, v44
	v_lshlrev_b32_e32 v62, 20, v62
	v_and_b32_e32 v44, 0x80000000, v44
	v_lshl_add_u32 v42, v42, 23, v48
	v_or3_b32 v62, v44, v42, v62
.LBB667_451:                            ;   in Loop: Header=BB667_213 Depth=1
	s_or_b64 exec, exec, s[16:17]
.LBB667_452:                            ;   in Loop: Header=BB667_213 Depth=1
	s_or_b64 exec, exec, s[14:15]
.LBB667_453:                            ;   in Loop: Header=BB667_213 Depth=1
	s_or_b64 exec, exec, s[12:13]
	v_cvt_pkrtz_f16_f32 v64, v49, v51
	v_cvt_pkrtz_f16_f32 v65, v50, v53
	;; [unrolled: 1-line block ×4, first 2 shown]
	s_waitcnt vmcnt(1)
	v_cmp_ne_u16_sdwa s[14:15], v40, v47 src0_sel:BYTE_0 src1_sel:DWORD
	v_mfma_f32_16x16x16f16 v[34:37], v[64:65], v[18:19], v[34:37]
	v_mfma_f32_16x16x16f16 v[34:37], v[50:51], v[20:21], v[34:37]
	s_and_saveexec_b64 s[12:13], s[14:15]
	s_cbranch_execz .LBB667_459
; %bb.454:                              ;   in Loop: Header=BB667_213 Depth=1
	v_cmp_ne_u16_sdwa s[16:17], v40, s9 src0_sel:BYTE_0 src1_sel:DWORD
	v_bfrev_b32_e32 v46, 1
	s_and_saveexec_b64 s[14:15], s[16:17]
	s_cbranch_execz .LBB667_458
; %bb.455:                              ;   in Loop: Header=BB667_213 Depth=1
	v_and_b32_e32 v42, 0x7f, v40
	v_cmp_ne_u32_e32 vcc, s19, v42
	v_mov_b32_e32 v46, 0x7f800001
	s_and_saveexec_b64 s[16:17], vcc
	s_cbranch_execz .LBB667_457
; %bb.456:                              ;   in Loop: Header=BB667_213 Depth=1
	v_and_b32_e32 v44, 7, v40
	v_ffbh_u32_e32 v49, v44
	v_min_u32_e32 v49, 32, v49
	v_subrev_u32_e32 v50, 28, v49
	v_lshlrev_b64 v[50:51], v50, v[40:41]
	v_lshrrev_b32_e32 v46, 3, v42
	v_sub_u32_e32 v49, 29, v49
	v_and_b32_e32 v50, 7, v50
	v_cmp_gt_u32_e32 vcc, 8, v42
	v_cndmask_b32_e32 v42, v46, v49, vcc
	v_cndmask_b32_e32 v44, v44, v50, vcc
	v_lshlrev_b32_e32 v46, 24, v40
	v_lshlrev_b32_e32 v44, 20, v44
	v_and_b32_e32 v46, 0x80000000, v46
	v_lshl_add_u32 v42, v42, 23, v48
	v_or3_b32 v46, v46, v42, v44
.LBB667_457:                            ;   in Loop: Header=BB667_213 Depth=1
	s_or_b64 exec, exec, s[16:17]
.LBB667_458:                            ;   in Loop: Header=BB667_213 Depth=1
	s_or_b64 exec, exec, s[14:15]
.LBB667_459:                            ;   in Loop: Header=BB667_213 Depth=1
	s_or_b64 exec, exec, s[12:13]
	v_lshrrev_b16_e32 v42, 8, v40
	v_cmp_ne_u16_e32 vcc, 0, v42
	v_mov_b32_e32 v44, 0
	v_mov_b32_e32 v50, 0
	s_and_saveexec_b64 s[12:13], vcc
	s_cbranch_execz .LBB667_465
; %bb.460:                              ;   in Loop: Header=BB667_213 Depth=1
	v_cmp_ne_u16_e32 vcc, s9, v42
	v_bfrev_b32_e32 v50, 1
	s_and_saveexec_b64 s[14:15], vcc
	s_cbranch_execz .LBB667_464
; %bb.461:                              ;   in Loop: Header=BB667_213 Depth=1
	v_and_b32_e32 v49, 0x7f, v42
	v_cmp_ne_u32_e32 vcc, s19, v49
	v_mov_b32_e32 v50, 0x7f800001
	s_and_saveexec_b64 s[16:17], vcc
	s_cbranch_execz .LBB667_463
; %bb.462:                              ;   in Loop: Header=BB667_213 Depth=1
	v_and_b32_e32 v52, 7, v42
	v_ffbh_u32_e32 v50, v52
	v_min_u32_e32 v60, 32, v50
	v_subrev_u32_e32 v50, 28, v60
	v_lshlrev_b64 v[50:51], v50, v[42:43]
	v_lshrrev_b32_e32 v53, 3, v49
	v_sub_u32_e32 v42, 29, v60
	v_and_b32_e32 v50, 7, v50
	v_cmp_gt_u32_e32 vcc, 8, v49
	v_cndmask_b32_e32 v42, v53, v42, vcc
	v_cndmask_b32_e32 v49, v52, v50, vcc
	v_lshlrev_b32_e32 v50, 16, v40
	v_lshlrev_b32_e32 v49, 20, v49
	v_and_b32_e32 v50, 0x80000000, v50
	v_lshl_add_u32 v42, v42, 23, v48
	v_or3_b32 v50, v50, v42, v49
.LBB667_463:                            ;   in Loop: Header=BB667_213 Depth=1
	s_or_b64 exec, exec, s[16:17]
.LBB667_464:                            ;   in Loop: Header=BB667_213 Depth=1
	s_or_b64 exec, exec, s[14:15]
.LBB667_465:                            ;   in Loop: Header=BB667_213 Depth=1
	s_or_b64 exec, exec, s[12:13]
	v_lshrrev_b32_e32 v42, 16, v40
	v_cmp_ne_u16_sdwa s[14:15], v42, v47 src0_sel:BYTE_0 src1_sel:DWORD
	s_and_saveexec_b64 s[12:13], s[14:15]
	s_cbranch_execz .LBB667_471
; %bb.466:                              ;   in Loop: Header=BB667_213 Depth=1
	v_cmp_ne_u16_sdwa s[16:17], v42, s9 src0_sel:BYTE_0 src1_sel:DWORD
	v_bfrev_b32_e32 v44, 1
	s_and_saveexec_b64 s[14:15], s[16:17]
	s_cbranch_execz .LBB667_470
; %bb.467:                              ;   in Loop: Header=BB667_213 Depth=1
	v_bfe_u32 v49, v40, 16, 7
	v_cmp_ne_u32_e32 vcc, s19, v49
	v_mov_b32_e32 v44, 0x7f800001
	s_and_saveexec_b64 s[16:17], vcc
	s_cbranch_execz .LBB667_469
; %bb.468:                              ;   in Loop: Header=BB667_213 Depth=1
	v_and_b32_e32 v44, 7, v42
	v_ffbh_u32_e32 v52, v44
	v_min_u32_e32 v60, 32, v52
	v_subrev_u32_e32 v52, 28, v60
	v_lshlrev_b64 v[52:53], v52, v[42:43]
	v_lshrrev_b32_e32 v51, 3, v49
	v_sub_u32_e32 v53, 29, v60
	v_and_b32_e32 v52, 7, v52
	v_cmp_gt_u32_e32 vcc, 8, v49
	v_cndmask_b32_e32 v49, v51, v53, vcc
	v_cndmask_b32_e32 v44, v44, v52, vcc
	v_lshlrev_b32_e32 v42, 24, v42
	v_lshlrev_b32_e32 v44, 20, v44
	v_and_b32_e32 v42, 0x80000000, v42
	v_lshl_add_u32 v49, v49, 23, v48
	v_or3_b32 v44, v42, v49, v44
.LBB667_469:                            ;   in Loop: Header=BB667_213 Depth=1
	s_or_b64 exec, exec, s[16:17]
.LBB667_470:                            ;   in Loop: Header=BB667_213 Depth=1
	s_or_b64 exec, exec, s[14:15]
.LBB667_471:                            ;   in Loop: Header=BB667_213 Depth=1
	s_or_b64 exec, exec, s[12:13]
	v_cmp_lt_u32_e32 vcc, s20, v40
	v_mov_b32_e32 v51, 0
	v_mov_b32_e32 v52, 0
	s_and_saveexec_b64 s[12:13], vcc
	s_cbranch_execz .LBB667_477
; %bb.472:                              ;   in Loop: Header=BB667_213 Depth=1
	v_lshrrev_b32_e32 v42, 24, v40
	v_cmp_ne_u32_e32 vcc, s9, v42
	v_bfrev_b32_e32 v52, 1
	s_and_saveexec_b64 s[14:15], vcc
	s_cbranch_execz .LBB667_476
; %bb.473:                              ;   in Loop: Header=BB667_213 Depth=1
	v_bfe_u32 v40, v40, 24, 7
	v_cmp_ne_u32_e32 vcc, s19, v40
	v_mov_b32_e32 v52, 0x7f800001
	s_and_saveexec_b64 s[16:17], vcc
	s_cbranch_execz .LBB667_475
; %bb.474:                              ;   in Loop: Header=BB667_213 Depth=1
	v_and_b32_e32 v49, 7, v42
	v_ffbh_u32_e32 v52, v49
	v_min_u32_e32 v61, 32, v52
	v_subrev_u32_e32 v52, 28, v61
	v_lshlrev_b64 v[52:53], v52, v[42:43]
	v_lshrrev_b32_e32 v60, 3, v40
	v_sub_u32_e32 v53, 29, v61
	v_and_b32_e32 v52, 7, v52
	v_cmp_gt_u32_e32 vcc, 8, v40
	v_cndmask_b32_e32 v40, v60, v53, vcc
	v_cndmask_b32_e32 v49, v49, v52, vcc
	v_lshlrev_b32_e32 v42, 24, v42
	v_lshlrev_b32_e32 v49, 20, v49
	v_and_b32_e32 v42, 0x80000000, v42
	v_lshl_add_u32 v40, v40, 23, v48
	v_or3_b32 v52, v42, v40, v49
.LBB667_475:                            ;   in Loop: Header=BB667_213 Depth=1
	s_or_b64 exec, exec, s[16:17]
.LBB667_476:                            ;   in Loop: Header=BB667_213 Depth=1
	s_or_b64 exec, exec, s[14:15]
.LBB667_477:                            ;   in Loop: Header=BB667_213 Depth=1
	s_or_b64 exec, exec, s[12:13]
	s_waitcnt vmcnt(0)
	v_cmp_ne_u16_sdwa s[14:15], v38, v47 src0_sel:BYTE_0 src1_sel:DWORD
	s_and_saveexec_b64 s[12:13], s[14:15]
	s_cbranch_execz .LBB667_483
; %bb.478:                              ;   in Loop: Header=BB667_213 Depth=1
	v_cmp_ne_u16_sdwa s[16:17], v38, s9 src0_sel:BYTE_0 src1_sel:DWORD
	v_bfrev_b32_e32 v51, 1
	s_and_saveexec_b64 s[14:15], s[16:17]
	s_cbranch_execz .LBB667_482
; %bb.479:                              ;   in Loop: Header=BB667_213 Depth=1
	v_and_b32_e32 v40, 0x7f, v38
	v_cmp_ne_u32_e32 vcc, s19, v40
	v_mov_b32_e32 v51, 0x7f800001
	s_and_saveexec_b64 s[16:17], vcc
	s_cbranch_execz .LBB667_481
; %bb.480:                              ;   in Loop: Header=BB667_213 Depth=1
	v_and_b32_e32 v42, 7, v38
	v_ffbh_u32_e32 v51, v42
	v_min_u32_e32 v51, 32, v51
	v_subrev_u32_e32 v53, 28, v51
	v_lshlrev_b64 v[60:61], v53, v[38:39]
	v_lshrrev_b32_e32 v49, 3, v40
	v_sub_u32_e32 v51, 29, v51
	v_and_b32_e32 v53, 7, v60
	v_cmp_gt_u32_e32 vcc, 8, v40
	v_cndmask_b32_e32 v40, v49, v51, vcc
	v_cndmask_b32_e32 v42, v42, v53, vcc
	v_lshlrev_b32_e32 v49, 24, v38
	v_lshlrev_b32_e32 v42, 20, v42
	v_and_b32_e32 v49, 0x80000000, v49
	v_lshl_add_u32 v40, v40, 23, v48
	v_or3_b32 v51, v49, v40, v42
.LBB667_481:                            ;   in Loop: Header=BB667_213 Depth=1
	s_or_b64 exec, exec, s[16:17]
.LBB667_482:                            ;   in Loop: Header=BB667_213 Depth=1
	s_or_b64 exec, exec, s[14:15]
.LBB667_483:                            ;   in Loop: Header=BB667_213 Depth=1
	s_or_b64 exec, exec, s[12:13]
	v_lshrrev_b16_e32 v40, 8, v38
	v_cmp_ne_u16_e32 vcc, 0, v40
	v_mov_b32_e32 v53, 0
	v_mov_b32_e32 v60, 0
	s_and_saveexec_b64 s[12:13], vcc
	s_cbranch_execz .LBB667_489
; %bb.484:                              ;   in Loop: Header=BB667_213 Depth=1
	v_cmp_ne_u16_e32 vcc, s9, v40
	v_bfrev_b32_e32 v60, 1
	s_and_saveexec_b64 s[14:15], vcc
	s_cbranch_execz .LBB667_488
; %bb.485:                              ;   in Loop: Header=BB667_213 Depth=1
	v_and_b32_e32 v42, 0x7f, v40
	v_cmp_ne_u32_e32 vcc, s19, v42
	v_mov_b32_e32 v60, 0x7f800001
	s_and_saveexec_b64 s[16:17], vcc
	s_cbranch_execz .LBB667_487
; %bb.486:                              ;   in Loop: Header=BB667_213 Depth=1
	v_and_b32_e32 v49, 7, v40
	v_ffbh_u32_e32 v60, v49
	v_min_u32_e32 v63, 32, v60
	v_subrev_u32_e32 v60, 28, v63
	v_lshlrev_b64 v[60:61], v60, v[40:41]
	v_lshrrev_b32_e32 v62, 3, v42
	v_sub_u32_e32 v40, 29, v63
	v_and_b32_e32 v60, 7, v60
	v_cmp_gt_u32_e32 vcc, 8, v42
	v_cndmask_b32_e32 v40, v62, v40, vcc
	v_cndmask_b32_e32 v42, v49, v60, vcc
	v_lshlrev_b32_e32 v49, 16, v38
	v_lshlrev_b32_e32 v42, 20, v42
	v_and_b32_e32 v49, 0x80000000, v49
	v_lshl_add_u32 v40, v40, 23, v48
	v_or3_b32 v60, v49, v40, v42
.LBB667_487:                            ;   in Loop: Header=BB667_213 Depth=1
	s_or_b64 exec, exec, s[16:17]
.LBB667_488:                            ;   in Loop: Header=BB667_213 Depth=1
	s_or_b64 exec, exec, s[14:15]
.LBB667_489:                            ;   in Loop: Header=BB667_213 Depth=1
	s_or_b64 exec, exec, s[12:13]
	v_lshrrev_b32_e32 v40, 16, v38
	v_cmp_ne_u16_sdwa s[14:15], v40, v47 src0_sel:BYTE_0 src1_sel:DWORD
	s_and_saveexec_b64 s[12:13], s[14:15]
	s_cbranch_execz .LBB667_495
; %bb.490:                              ;   in Loop: Header=BB667_213 Depth=1
	v_cmp_ne_u16_sdwa s[16:17], v40, s9 src0_sel:BYTE_0 src1_sel:DWORD
	v_bfrev_b32_e32 v53, 1
	s_and_saveexec_b64 s[14:15], s[16:17]
	s_cbranch_execz .LBB667_494
; %bb.491:                              ;   in Loop: Header=BB667_213 Depth=1
	v_bfe_u32 v42, v38, 16, 7
	v_cmp_ne_u32_e32 vcc, s19, v42
	v_mov_b32_e32 v53, 0x7f800001
	s_and_saveexec_b64 s[16:17], vcc
	s_cbranch_execz .LBB667_493
; %bb.492:                              ;   in Loop: Header=BB667_213 Depth=1
	v_and_b32_e32 v49, 7, v40
	v_ffbh_u32_e32 v61, v49
	v_min_u32_e32 v61, 32, v61
	v_subrev_u32_e32 v62, 28, v61
	v_lshlrev_b64 v[62:63], v62, v[40:41]
	v_lshrrev_b32_e32 v53, 3, v42
	v_sub_u32_e32 v61, 29, v61
	v_and_b32_e32 v62, 7, v62
	v_cmp_gt_u32_e32 vcc, 8, v42
	v_cndmask_b32_e32 v42, v53, v61, vcc
	v_cndmask_b32_e32 v49, v49, v62, vcc
	v_lshlrev_b32_e32 v40, 24, v40
	v_lshlrev_b32_e32 v49, 20, v49
	v_and_b32_e32 v40, 0x80000000, v40
	v_lshl_add_u32 v42, v42, 23, v48
	v_or3_b32 v53, v40, v42, v49
.LBB667_493:                            ;   in Loop: Header=BB667_213 Depth=1
	s_or_b64 exec, exec, s[16:17]
.LBB667_494:                            ;   in Loop: Header=BB667_213 Depth=1
	s_or_b64 exec, exec, s[14:15]
.LBB667_495:                            ;   in Loop: Header=BB667_213 Depth=1
	s_or_b64 exec, exec, s[12:13]
	v_cmp_lt_u32_e32 vcc, s20, v38
	v_mov_b32_e32 v49, 0
	v_mov_b32_e32 v61, 0
	s_and_saveexec_b64 s[12:13], vcc
	s_cbranch_execz .LBB667_501
; %bb.496:                              ;   in Loop: Header=BB667_213 Depth=1
	v_lshrrev_b32_e32 v40, 24, v38
	v_cmp_ne_u32_e32 vcc, s9, v40
	v_bfrev_b32_e32 v61, 1
	s_and_saveexec_b64 s[14:15], vcc
	s_cbranch_execz .LBB667_500
; %bb.497:                              ;   in Loop: Header=BB667_213 Depth=1
	v_bfe_u32 v38, v38, 24, 7
	v_cmp_ne_u32_e32 vcc, s19, v38
	v_mov_b32_e32 v61, 0x7f800001
	s_and_saveexec_b64 s[16:17], vcc
	s_cbranch_execz .LBB667_499
; %bb.498:                              ;   in Loop: Header=BB667_213 Depth=1
	v_and_b32_e32 v42, 7, v40
	v_ffbh_u32_e32 v62, v42
	v_min_u32_e32 v64, 32, v62
	v_subrev_u32_e32 v62, 28, v64
	v_lshlrev_b64 v[62:63], v62, v[40:41]
	v_lshrrev_b32_e32 v61, 3, v38
	v_sub_u32_e32 v63, 29, v64
	v_and_b32_e32 v62, 7, v62
	v_cmp_gt_u32_e32 vcc, 8, v38
	v_cndmask_b32_e32 v38, v61, v63, vcc
	v_cndmask_b32_e32 v42, v42, v62, vcc
	v_lshlrev_b32_e32 v40, 24, v40
	v_lshlrev_b32_e32 v42, 20, v42
	v_and_b32_e32 v40, 0x80000000, v40
	v_lshl_add_u32 v38, v38, 23, v48
	v_or3_b32 v61, v40, v38, v42
.LBB667_499:                            ;   in Loop: Header=BB667_213 Depth=1
	s_or_b64 exec, exec, s[16:17]
.LBB667_500:                            ;   in Loop: Header=BB667_213 Depth=1
	s_or_b64 exec, exec, s[14:15]
.LBB667_501:                            ;   in Loop: Header=BB667_213 Depth=1
	s_or_b64 exec, exec, s[12:13]
	v_cvt_pkrtz_f16_f32 v63, v44, v52
	buffer_load_dword v44, v41, s[0:3], 0 offen
	buffer_load_dword v42, v41, s[0:3], 0 offen offset:4
	buffer_load_dword v40, v41, s[0:3], 0 offen offset:8
	;; [unrolled: 1-line block ×3, first 2 shown]
	v_cvt_pkrtz_f16_f32 v62, v46, v50
	v_cvt_pkrtz_f16_f32 v50, v51, v60
	;; [unrolled: 1-line block ×3, first 2 shown]
	v_mfma_f32_16x16x16f16 v[34:37], v[62:63], v[22:23], v[34:37]
	s_waitcnt vmcnt(3)
	v_cmp_ne_u16_sdwa s[14:15], v44, v47 src0_sel:BYTE_0 src1_sel:DWORD
	v_mfma_f32_16x16x16f16 v[34:37], v[50:51], v[24:25], v[34:37]
	s_and_saveexec_b64 s[12:13], s[14:15]
	s_cbranch_execz .LBB667_507
; %bb.502:                              ;   in Loop: Header=BB667_213 Depth=1
	v_cmp_ne_u16_sdwa s[16:17], v44, s9 src0_sel:BYTE_0 src1_sel:DWORD
	v_bfrev_b32_e32 v49, 1
	s_and_saveexec_b64 s[14:15], s[16:17]
	s_cbranch_execz .LBB667_506
; %bb.503:                              ;   in Loop: Header=BB667_213 Depth=1
	v_and_b32_e32 v41, 0x7f, v44
	v_cmp_ne_u32_e32 vcc, s19, v41
	v_mov_b32_e32 v49, 0x7f800001
	s_and_saveexec_b64 s[16:17], vcc
	s_cbranch_execz .LBB667_505
; %bb.504:                              ;   in Loop: Header=BB667_213 Depth=1
	v_and_b32_e32 v46, 7, v44
	v_ffbh_u32_e32 v50, v46
	v_min_u32_e32 v52, 32, v50
	v_subrev_u32_e32 v50, 28, v52
	v_lshlrev_b64 v[50:51], v50, v[44:45]
	v_lshrrev_b32_e32 v49, 3, v41
	v_sub_u32_e32 v51, 29, v52
	v_and_b32_e32 v50, 7, v50
	v_cmp_gt_u32_e32 vcc, 8, v41
	v_cndmask_b32_e32 v41, v49, v51, vcc
	v_cndmask_b32_e32 v46, v46, v50, vcc
	v_lshlrev_b32_e32 v49, 24, v44
	v_lshlrev_b32_e32 v46, 20, v46
	v_and_b32_e32 v49, 0x80000000, v49
	v_lshl_add_u32 v41, v41, 23, v48
	v_or3_b32 v49, v49, v41, v46
.LBB667_505:                            ;   in Loop: Header=BB667_213 Depth=1
	s_or_b64 exec, exec, s[16:17]
.LBB667_506:                            ;   in Loop: Header=BB667_213 Depth=1
	s_or_b64 exec, exec, s[14:15]
.LBB667_507:                            ;   in Loop: Header=BB667_213 Depth=1
	s_or_b64 exec, exec, s[12:13]
	v_lshrrev_b16_e32 v46, 8, v44
	v_cmp_ne_u16_e32 vcc, 0, v46
	v_mov_b32_e32 v50, 0
	v_mov_b32_e32 v51, 0
	s_and_saveexec_b64 s[12:13], vcc
	s_cbranch_execz .LBB667_513
; %bb.508:                              ;   in Loop: Header=BB667_213 Depth=1
	v_cmp_ne_u16_e32 vcc, s9, v46
	v_bfrev_b32_e32 v51, 1
	s_and_saveexec_b64 s[14:15], vcc
	s_cbranch_execz .LBB667_512
; %bb.509:                              ;   in Loop: Header=BB667_213 Depth=1
	v_and_b32_e32 v41, 0x7f, v46
	v_cmp_ne_u32_e32 vcc, s19, v41
	v_mov_b32_e32 v51, 0x7f800001
	s_and_saveexec_b64 s[16:17], vcc
	s_cbranch_execz .LBB667_511
; %bb.510:                              ;   in Loop: Header=BB667_213 Depth=1
	v_and_b32_e32 v51, 7, v46
	v_ffbh_u32_e32 v52, v51
	v_min_u32_e32 v61, 32, v52
	v_subrev_u32_e32 v52, 28, v61
	v_lshlrev_b64 v[52:53], v52, v[46:47]
	v_lshrrev_b32_e32 v60, 3, v41
	v_sub_u32_e32 v46, 29, v61
	v_and_b32_e32 v52, 7, v52
	v_cmp_gt_u32_e32 vcc, 8, v41
	v_cndmask_b32_e32 v41, v60, v46, vcc
	v_cndmask_b32_e32 v46, v51, v52, vcc
	v_lshlrev_b32_e32 v51, 16, v44
	v_lshlrev_b32_e32 v46, 20, v46
	v_and_b32_e32 v51, 0x80000000, v51
	v_lshl_add_u32 v41, v41, 23, v48
	v_or3_b32 v51, v51, v41, v46
.LBB667_511:                            ;   in Loop: Header=BB667_213 Depth=1
	s_or_b64 exec, exec, s[16:17]
.LBB667_512:                            ;   in Loop: Header=BB667_213 Depth=1
	s_or_b64 exec, exec, s[14:15]
.LBB667_513:                            ;   in Loop: Header=BB667_213 Depth=1
	s_or_b64 exec, exec, s[12:13]
	v_lshrrev_b32_e32 v46, 16, v44
	v_cmp_ne_u16_sdwa s[14:15], v46, v47 src0_sel:BYTE_0 src1_sel:DWORD
	s_and_saveexec_b64 s[12:13], s[14:15]
	s_cbranch_execz .LBB667_519
; %bb.514:                              ;   in Loop: Header=BB667_213 Depth=1
	v_cmp_ne_u16_sdwa s[16:17], v46, s9 src0_sel:BYTE_0 src1_sel:DWORD
	v_bfrev_b32_e32 v50, 1
	s_and_saveexec_b64 s[14:15], s[16:17]
	s_cbranch_execz .LBB667_518
; %bb.515:                              ;   in Loop: Header=BB667_213 Depth=1
	v_bfe_u32 v41, v44, 16, 7
	v_cmp_ne_u32_e32 vcc, s19, v41
	v_mov_b32_e32 v50, 0x7f800001
	s_and_saveexec_b64 s[16:17], vcc
	s_cbranch_execz .LBB667_517
; %bb.516:                              ;   in Loop: Header=BB667_213 Depth=1
	v_and_b32_e32 v50, 7, v46
	v_ffbh_u32_e32 v52, v50
	v_min_u32_e32 v61, 32, v52
	v_subrev_u32_e32 v52, 28, v61
	v_lshlrev_b64 v[52:53], v52, v[46:47]
	v_lshrrev_b32_e32 v60, 3, v41
	v_sub_u32_e32 v53, 29, v61
	v_and_b32_e32 v52, 7, v52
	v_cmp_gt_u32_e32 vcc, 8, v41
	v_cndmask_b32_e32 v41, v60, v53, vcc
	v_cndmask_b32_e32 v50, v50, v52, vcc
	v_lshlrev_b32_e32 v46, 24, v46
	v_lshlrev_b32_e32 v50, 20, v50
	v_and_b32_e32 v46, 0x80000000, v46
	v_lshl_add_u32 v41, v41, 23, v48
	v_or3_b32 v50, v46, v41, v50
.LBB667_517:                            ;   in Loop: Header=BB667_213 Depth=1
	s_or_b64 exec, exec, s[16:17]
.LBB667_518:                            ;   in Loop: Header=BB667_213 Depth=1
	s_or_b64 exec, exec, s[14:15]
.LBB667_519:                            ;   in Loop: Header=BB667_213 Depth=1
	s_or_b64 exec, exec, s[12:13]
	v_cmp_lt_u32_e32 vcc, s20, v44
	v_mov_b32_e32 v52, 0
	v_mov_b32_e32 v53, 0
	s_and_saveexec_b64 s[12:13], vcc
	s_cbranch_execz .LBB667_525
; %bb.520:                              ;   in Loop: Header=BB667_213 Depth=1
	v_lshrrev_b32_e32 v46, 24, v44
	v_cmp_ne_u32_e32 vcc, s9, v46
	v_bfrev_b32_e32 v53, 1
	s_and_saveexec_b64 s[14:15], vcc
	s_cbranch_execz .LBB667_524
; %bb.521:                              ;   in Loop: Header=BB667_213 Depth=1
	v_bfe_u32 v41, v44, 24, 7
	v_cmp_ne_u32_e32 vcc, s19, v41
	v_mov_b32_e32 v53, 0x7f800001
	s_and_saveexec_b64 s[16:17], vcc
	s_cbranch_execz .LBB667_523
; %bb.522:                              ;   in Loop: Header=BB667_213 Depth=1
	v_and_b32_e32 v44, 7, v46
	v_ffbh_u32_e32 v60, v44
	v_min_u32_e32 v62, 32, v60
	v_subrev_u32_e32 v60, 28, v62
	v_lshlrev_b64 v[60:61], v60, v[46:47]
	v_lshrrev_b32_e32 v53, 3, v41
	v_sub_u32_e32 v61, 29, v62
	v_and_b32_e32 v60, 7, v60
	v_cmp_gt_u32_e32 vcc, 8, v41
	v_cndmask_b32_e32 v41, v53, v61, vcc
	v_cndmask_b32_e32 v44, v44, v60, vcc
	v_lshlrev_b32_e32 v46, 24, v46
	v_lshlrev_b32_e32 v44, 20, v44
	v_and_b32_e32 v46, 0x80000000, v46
	v_lshl_add_u32 v41, v41, 23, v48
	v_or3_b32 v53, v46, v41, v44
.LBB667_523:                            ;   in Loop: Header=BB667_213 Depth=1
	s_or_b64 exec, exec, s[16:17]
.LBB667_524:                            ;   in Loop: Header=BB667_213 Depth=1
	s_or_b64 exec, exec, s[14:15]
.LBB667_525:                            ;   in Loop: Header=BB667_213 Depth=1
	s_or_b64 exec, exec, s[12:13]
	s_waitcnt vmcnt(2)
	v_cmp_ne_u16_sdwa s[14:15], v42, v47 src0_sel:BYTE_0 src1_sel:DWORD
	s_and_saveexec_b64 s[12:13], s[14:15]
	s_cbranch_execz .LBB667_531
; %bb.526:                              ;   in Loop: Header=BB667_213 Depth=1
	v_cmp_ne_u16_sdwa s[16:17], v42, s9 src0_sel:BYTE_0 src1_sel:DWORD
	v_bfrev_b32_e32 v52, 1
	s_and_saveexec_b64 s[14:15], s[16:17]
	s_cbranch_execz .LBB667_530
; %bb.527:                              ;   in Loop: Header=BB667_213 Depth=1
	v_and_b32_e32 v41, 0x7f, v42
	v_cmp_ne_u32_e32 vcc, s19, v41
	v_mov_b32_e32 v52, 0x7f800001
	s_and_saveexec_b64 s[16:17], vcc
	s_cbranch_execz .LBB667_529
; %bb.528:                              ;   in Loop: Header=BB667_213 Depth=1
	v_and_b32_e32 v44, 7, v42
	v_ffbh_u32_e32 v52, v44
	v_min_u32_e32 v52, 32, v52
	v_subrev_u32_e32 v60, 28, v52
	v_lshlrev_b64 v[60:61], v60, v[42:43]
	v_lshrrev_b32_e32 v46, 3, v41
	v_sub_u32_e32 v52, 29, v52
	v_and_b32_e32 v60, 7, v60
	v_cmp_gt_u32_e32 vcc, 8, v41
	v_cndmask_b32_e32 v41, v46, v52, vcc
	v_cndmask_b32_e32 v44, v44, v60, vcc
	v_lshlrev_b32_e32 v46, 24, v42
	v_lshlrev_b32_e32 v44, 20, v44
	v_and_b32_e32 v46, 0x80000000, v46
	v_lshl_add_u32 v41, v41, 23, v48
	v_or3_b32 v52, v46, v41, v44
.LBB667_529:                            ;   in Loop: Header=BB667_213 Depth=1
	s_or_b64 exec, exec, s[16:17]
.LBB667_530:                            ;   in Loop: Header=BB667_213 Depth=1
	s_or_b64 exec, exec, s[14:15]
.LBB667_531:                            ;   in Loop: Header=BB667_213 Depth=1
	s_or_b64 exec, exec, s[12:13]
	v_lshrrev_b16_e32 v44, 8, v42
	v_cmp_ne_u16_e32 vcc, 0, v44
	v_mov_b32_e32 v46, 0
	v_mov_b32_e32 v60, 0
	s_and_saveexec_b64 s[12:13], vcc
	s_cbranch_execz .LBB667_537
; %bb.532:                              ;   in Loop: Header=BB667_213 Depth=1
	v_cmp_ne_u16_e32 vcc, s9, v44
	v_bfrev_b32_e32 v60, 1
	s_and_saveexec_b64 s[14:15], vcc
	s_cbranch_execz .LBB667_536
; %bb.533:                              ;   in Loop: Header=BB667_213 Depth=1
	v_and_b32_e32 v41, 0x7f, v44
	v_cmp_ne_u32_e32 vcc, s19, v41
	v_mov_b32_e32 v60, 0x7f800001
	s_and_saveexec_b64 s[16:17], vcc
	s_cbranch_execz .LBB667_535
; %bb.534:                              ;   in Loop: Header=BB667_213 Depth=1
	v_and_b32_e32 v62, 7, v44
	v_ffbh_u32_e32 v60, v62
	v_min_u32_e32 v64, 32, v60
	v_subrev_u32_e32 v60, 28, v64
	v_lshlrev_b64 v[60:61], v60, v[44:45]
	v_lshrrev_b32_e32 v63, 3, v41
	v_sub_u32_e32 v44, 29, v64
	v_and_b32_e32 v60, 7, v60
	v_cmp_gt_u32_e32 vcc, 8, v41
	v_cndmask_b32_e32 v41, v63, v44, vcc
	v_cndmask_b32_e32 v44, v62, v60, vcc
	v_lshlrev_b32_e32 v60, 16, v42
	v_lshlrev_b32_e32 v44, 20, v44
	v_and_b32_e32 v60, 0x80000000, v60
	v_lshl_add_u32 v41, v41, 23, v48
	v_or3_b32 v60, v60, v41, v44
.LBB667_535:                            ;   in Loop: Header=BB667_213 Depth=1
	s_or_b64 exec, exec, s[16:17]
.LBB667_536:                            ;   in Loop: Header=BB667_213 Depth=1
	s_or_b64 exec, exec, s[14:15]
.LBB667_537:                            ;   in Loop: Header=BB667_213 Depth=1
	s_or_b64 exec, exec, s[12:13]
	v_lshrrev_b32_e32 v44, 16, v42
	v_cmp_ne_u16_sdwa s[14:15], v44, v47 src0_sel:BYTE_0 src1_sel:DWORD
	s_and_saveexec_b64 s[12:13], s[14:15]
	s_cbranch_execz .LBB667_543
; %bb.538:                              ;   in Loop: Header=BB667_213 Depth=1
	v_cmp_ne_u16_sdwa s[16:17], v44, s9 src0_sel:BYTE_0 src1_sel:DWORD
	v_bfrev_b32_e32 v46, 1
	s_and_saveexec_b64 s[14:15], s[16:17]
	s_cbranch_execz .LBB667_542
; %bb.539:                              ;   in Loop: Header=BB667_213 Depth=1
	v_bfe_u32 v41, v42, 16, 7
	v_cmp_ne_u32_e32 vcc, s19, v41
	v_mov_b32_e32 v46, 0x7f800001
	s_and_saveexec_b64 s[16:17], vcc
	s_cbranch_execz .LBB667_541
; %bb.540:                              ;   in Loop: Header=BB667_213 Depth=1
	v_and_b32_e32 v46, 7, v44
	v_ffbh_u32_e32 v62, v46
	v_min_u32_e32 v64, 32, v62
	v_subrev_u32_e32 v62, 28, v64
	v_lshlrev_b64 v[62:63], v62, v[44:45]
	v_lshrrev_b32_e32 v61, 3, v41
	v_sub_u32_e32 v63, 29, v64
	v_and_b32_e32 v62, 7, v62
	v_cmp_gt_u32_e32 vcc, 8, v41
	v_cndmask_b32_e32 v41, v61, v63, vcc
	v_cndmask_b32_e32 v46, v46, v62, vcc
	v_lshlrev_b32_e32 v44, 24, v44
	v_lshlrev_b32_e32 v46, 20, v46
	v_and_b32_e32 v44, 0x80000000, v44
	v_lshl_add_u32 v41, v41, 23, v48
	v_or3_b32 v46, v44, v41, v46
.LBB667_541:                            ;   in Loop: Header=BB667_213 Depth=1
	s_or_b64 exec, exec, s[16:17]
.LBB667_542:                            ;   in Loop: Header=BB667_213 Depth=1
	s_or_b64 exec, exec, s[14:15]
.LBB667_543:                            ;   in Loop: Header=BB667_213 Depth=1
	s_or_b64 exec, exec, s[12:13]
	v_cmp_lt_u32_e32 vcc, s20, v42
	v_mov_b32_e32 v41, 0
	v_mov_b32_e32 v61, 0
	s_and_saveexec_b64 s[12:13], vcc
	s_cbranch_execz .LBB667_549
; %bb.544:                              ;   in Loop: Header=BB667_213 Depth=1
	v_lshrrev_b32_e32 v44, 24, v42
	v_cmp_ne_u32_e32 vcc, s9, v44
	v_bfrev_b32_e32 v61, 1
	s_and_saveexec_b64 s[14:15], vcc
	s_cbranch_execz .LBB667_548
; %bb.545:                              ;   in Loop: Header=BB667_213 Depth=1
	v_bfe_u32 v42, v42, 24, 7
	v_cmp_ne_u32_e32 vcc, s19, v42
	v_mov_b32_e32 v61, 0x7f800001
	s_and_saveexec_b64 s[16:17], vcc
	s_cbranch_execz .LBB667_547
; %bb.546:                              ;   in Loop: Header=BB667_213 Depth=1
	v_and_b32_e32 v61, 7, v44
	v_ffbh_u32_e32 v62, v61
	v_min_u32_e32 v65, 32, v62
	v_subrev_u32_e32 v62, 28, v65
	v_lshlrev_b64 v[62:63], v62, v[44:45]
	v_lshrrev_b32_e32 v64, 3, v42
	v_sub_u32_e32 v63, 29, v65
	v_and_b32_e32 v62, 7, v62
	v_cmp_gt_u32_e32 vcc, 8, v42
	v_cndmask_b32_e32 v42, v64, v63, vcc
	v_cndmask_b32_e32 v61, v61, v62, vcc
	v_lshlrev_b32_e32 v44, 24, v44
	v_lshlrev_b32_e32 v61, 20, v61
	v_and_b32_e32 v44, 0x80000000, v44
	v_lshl_add_u32 v42, v42, 23, v48
	v_or3_b32 v61, v44, v42, v61
.LBB667_547:                            ;   in Loop: Header=BB667_213 Depth=1
	s_or_b64 exec, exec, s[16:17]
.LBB667_548:                            ;   in Loop: Header=BB667_213 Depth=1
	s_or_b64 exec, exec, s[14:15]
.LBB667_549:                            ;   in Loop: Header=BB667_213 Depth=1
	s_or_b64 exec, exec, s[12:13]
	v_cvt_pkrtz_f16_f32 v62, v49, v51
	v_cvt_pkrtz_f16_f32 v63, v50, v53
	;; [unrolled: 1-line block ×4, first 2 shown]
	s_waitcnt vmcnt(1)
	v_cmp_ne_u16_sdwa s[14:15], v40, v47 src0_sel:BYTE_0 src1_sel:DWORD
	v_mfma_f32_16x16x16f16 v[34:37], v[62:63], v[26:27], v[34:37]
	v_mfma_f32_16x16x16f16 v[34:37], v[50:51], v[28:29], v[34:37]
	s_and_saveexec_b64 s[12:13], s[14:15]
	s_cbranch_execz .LBB667_555
; %bb.550:                              ;   in Loop: Header=BB667_213 Depth=1
	v_cmp_ne_u16_sdwa s[16:17], v40, s9 src0_sel:BYTE_0 src1_sel:DWORD
	v_bfrev_b32_e32 v41, 1
	s_and_saveexec_b64 s[14:15], s[16:17]
	s_cbranch_execz .LBB667_554
; %bb.551:                              ;   in Loop: Header=BB667_213 Depth=1
	v_and_b32_e32 v42, 0x7f, v40
	v_cmp_ne_u32_e32 vcc, s19, v42
	v_mov_b32_e32 v41, 0x7f800001
	s_and_saveexec_b64 s[16:17], vcc
	s_cbranch_execz .LBB667_553
; %bb.552:                              ;   in Loop: Header=BB667_213 Depth=1
	v_and_b32_e32 v41, 7, v40
	v_ffbh_u32_e32 v46, v41
	v_min_u32_e32 v46, 32, v46
	v_subrev_u32_e32 v49, 28, v46
	v_lshlrev_b64 v[50:51], v49, v[40:41]
	v_lshrrev_b32_e32 v44, 3, v42
	v_sub_u32_e32 v46, 29, v46
	v_and_b32_e32 v49, 7, v50
	v_cmp_gt_u32_e32 vcc, 8, v42
	v_cndmask_b32_e32 v42, v44, v46, vcc
	v_cndmask_b32_e32 v41, v41, v49, vcc
	v_lshlrev_b32_e32 v44, 24, v40
	v_lshlrev_b32_e32 v41, 20, v41
	v_and_b32_e32 v44, 0x80000000, v44
	v_lshl_add_u32 v42, v42, 23, v48
	v_or3_b32 v41, v44, v42, v41
.LBB667_553:                            ;   in Loop: Header=BB667_213 Depth=1
	s_or_b64 exec, exec, s[16:17]
.LBB667_554:                            ;   in Loop: Header=BB667_213 Depth=1
	s_or_b64 exec, exec, s[14:15]
.LBB667_555:                            ;   in Loop: Header=BB667_213 Depth=1
	s_or_b64 exec, exec, s[12:13]
	v_lshrrev_b16_e32 v42, 8, v40
	v_cmp_ne_u16_e32 vcc, 0, v42
	v_mov_b32_e32 v44, 0
	v_mov_b32_e32 v46, 0
	s_and_saveexec_b64 s[12:13], vcc
	s_cbranch_execz .LBB667_561
; %bb.556:                              ;   in Loop: Header=BB667_213 Depth=1
	v_cmp_ne_u16_e32 vcc, s9, v42
	v_bfrev_b32_e32 v46, 1
	s_and_saveexec_b64 s[14:15], vcc
	s_cbranch_execz .LBB667_560
; %bb.557:                              ;   in Loop: Header=BB667_213 Depth=1
	v_and_b32_e32 v49, 0x7f, v42
	v_cmp_ne_u32_e32 vcc, s19, v49
	v_mov_b32_e32 v46, 0x7f800001
	s_and_saveexec_b64 s[16:17], vcc
	s_cbranch_execz .LBB667_559
; %bb.558:                              ;   in Loop: Header=BB667_213 Depth=1
	v_and_b32_e32 v46, 7, v42
	v_ffbh_u32_e32 v50, v46
	v_min_u32_e32 v53, 32, v50
	v_subrev_u32_e32 v50, 28, v53
	v_lshlrev_b64 v[50:51], v50, v[42:43]
	v_lshrrev_b32_e32 v52, 3, v49
	v_sub_u32_e32 v42, 29, v53
	v_and_b32_e32 v50, 7, v50
	v_cmp_gt_u32_e32 vcc, 8, v49
	v_cndmask_b32_e32 v42, v52, v42, vcc
	v_cndmask_b32_e32 v46, v46, v50, vcc
	v_lshlrev_b32_e32 v49, 16, v40
	v_lshlrev_b32_e32 v46, 20, v46
	v_and_b32_e32 v49, 0x80000000, v49
	v_lshl_add_u32 v42, v42, 23, v48
	v_or3_b32 v46, v49, v42, v46
.LBB667_559:                            ;   in Loop: Header=BB667_213 Depth=1
	s_or_b64 exec, exec, s[16:17]
.LBB667_560:                            ;   in Loop: Header=BB667_213 Depth=1
	s_or_b64 exec, exec, s[14:15]
.LBB667_561:                            ;   in Loop: Header=BB667_213 Depth=1
	s_or_b64 exec, exec, s[12:13]
	v_lshrrev_b32_e32 v42, 16, v40
	v_cmp_ne_u16_sdwa s[14:15], v42, v47 src0_sel:BYTE_0 src1_sel:DWORD
	s_and_saveexec_b64 s[12:13], s[14:15]
	s_cbranch_execz .LBB667_567
; %bb.562:                              ;   in Loop: Header=BB667_213 Depth=1
	v_cmp_ne_u16_sdwa s[16:17], v42, s9 src0_sel:BYTE_0 src1_sel:DWORD
	v_bfrev_b32_e32 v44, 1
	s_and_saveexec_b64 s[14:15], s[16:17]
	s_cbranch_execz .LBB667_566
; %bb.563:                              ;   in Loop: Header=BB667_213 Depth=1
	v_bfe_u32 v49, v40, 16, 7
	v_cmp_ne_u32_e32 vcc, s19, v49
	v_mov_b32_e32 v44, 0x7f800001
	s_and_saveexec_b64 s[16:17], vcc
	s_cbranch_execz .LBB667_565
; %bb.564:                              ;   in Loop: Header=BB667_213 Depth=1
	v_and_b32_e32 v44, 7, v42
	v_ffbh_u32_e32 v50, v44
	v_min_u32_e32 v53, 32, v50
	v_subrev_u32_e32 v50, 28, v53
	v_lshlrev_b64 v[50:51], v50, v[42:43]
	v_lshrrev_b32_e32 v52, 3, v49
	v_sub_u32_e32 v51, 29, v53
	v_and_b32_e32 v50, 7, v50
	v_cmp_gt_u32_e32 vcc, 8, v49
	v_cndmask_b32_e32 v49, v52, v51, vcc
	v_cndmask_b32_e32 v44, v44, v50, vcc
	v_lshlrev_b32_e32 v42, 24, v42
	v_lshlrev_b32_e32 v44, 20, v44
	v_and_b32_e32 v42, 0x80000000, v42
	v_lshl_add_u32 v49, v49, 23, v48
	v_or3_b32 v44, v42, v49, v44
.LBB667_565:                            ;   in Loop: Header=BB667_213 Depth=1
	s_or_b64 exec, exec, s[16:17]
.LBB667_566:                            ;   in Loop: Header=BB667_213 Depth=1
	s_or_b64 exec, exec, s[14:15]
.LBB667_567:                            ;   in Loop: Header=BB667_213 Depth=1
	s_or_b64 exec, exec, s[12:13]
	v_cmp_lt_u32_e32 vcc, s20, v40
	v_mov_b32_e32 v49, 0
	v_mov_b32_e32 v50, 0
	s_and_saveexec_b64 s[12:13], vcc
	s_cbranch_execz .LBB667_573
; %bb.568:                              ;   in Loop: Header=BB667_213 Depth=1
	v_lshrrev_b32_e32 v42, 24, v40
	v_cmp_ne_u32_e32 vcc, s9, v42
	v_bfrev_b32_e32 v50, 1
	s_and_saveexec_b64 s[14:15], vcc
	s_cbranch_execz .LBB667_572
; %bb.569:                              ;   in Loop: Header=BB667_213 Depth=1
	v_bfe_u32 v40, v40, 24, 7
	v_cmp_ne_u32_e32 vcc, s19, v40
	v_mov_b32_e32 v50, 0x7f800001
	s_and_saveexec_b64 s[16:17], vcc
	s_cbranch_execz .LBB667_571
; %bb.570:                              ;   in Loop: Header=BB667_213 Depth=1
	v_and_b32_e32 v52, 7, v42
	v_ffbh_u32_e32 v50, v52
	v_min_u32_e32 v60, 32, v50
	v_subrev_u32_e32 v50, 28, v60
	v_lshlrev_b64 v[50:51], v50, v[42:43]
	v_lshrrev_b32_e32 v53, 3, v40
	v_sub_u32_e32 v51, 29, v60
	v_and_b32_e32 v50, 7, v50
	v_cmp_gt_u32_e32 vcc, 8, v40
	v_cndmask_b32_e32 v40, v53, v51, vcc
	v_cndmask_b32_e32 v50, v52, v50, vcc
	v_lshlrev_b32_e32 v42, 24, v42
	v_lshlrev_b32_e32 v50, 20, v50
	v_and_b32_e32 v42, 0x80000000, v42
	v_lshl_add_u32 v40, v40, 23, v48
	v_or3_b32 v50, v42, v40, v50
.LBB667_571:                            ;   in Loop: Header=BB667_213 Depth=1
	s_or_b64 exec, exec, s[16:17]
.LBB667_572:                            ;   in Loop: Header=BB667_213 Depth=1
	s_or_b64 exec, exec, s[14:15]
.LBB667_573:                            ;   in Loop: Header=BB667_213 Depth=1
	s_or_b64 exec, exec, s[12:13]
	s_waitcnt vmcnt(0)
	v_cmp_ne_u16_sdwa s[14:15], v38, v47 src0_sel:BYTE_0 src1_sel:DWORD
	s_and_saveexec_b64 s[12:13], s[14:15]
	s_cbranch_execz .LBB667_579
; %bb.574:                              ;   in Loop: Header=BB667_213 Depth=1
	v_cmp_ne_u16_sdwa s[16:17], v38, s9 src0_sel:BYTE_0 src1_sel:DWORD
	v_bfrev_b32_e32 v49, 1
	s_and_saveexec_b64 s[14:15], s[16:17]
	s_cbranch_execz .LBB667_578
; %bb.575:                              ;   in Loop: Header=BB667_213 Depth=1
	v_and_b32_e32 v40, 0x7f, v38
	v_cmp_ne_u32_e32 vcc, s19, v40
	v_mov_b32_e32 v49, 0x7f800001
	s_and_saveexec_b64 s[16:17], vcc
	s_cbranch_execz .LBB667_577
; %bb.576:                              ;   in Loop: Header=BB667_213 Depth=1
	v_and_b32_e32 v42, 7, v38
	v_ffbh_u32_e32 v51, v42
	v_min_u32_e32 v51, 32, v51
	v_subrev_u32_e32 v52, 28, v51
	v_lshlrev_b64 v[52:53], v52, v[38:39]
	v_lshrrev_b32_e32 v49, 3, v40
	v_sub_u32_e32 v51, 29, v51
	v_and_b32_e32 v52, 7, v52
	v_cmp_gt_u32_e32 vcc, 8, v40
	v_cndmask_b32_e32 v40, v49, v51, vcc
	v_cndmask_b32_e32 v42, v42, v52, vcc
	v_lshlrev_b32_e32 v49, 24, v38
	v_lshlrev_b32_e32 v42, 20, v42
	v_and_b32_e32 v49, 0x80000000, v49
	v_lshl_add_u32 v40, v40, 23, v48
	v_or3_b32 v49, v49, v40, v42
.LBB667_577:                            ;   in Loop: Header=BB667_213 Depth=1
	s_or_b64 exec, exec, s[16:17]
.LBB667_578:                            ;   in Loop: Header=BB667_213 Depth=1
	s_or_b64 exec, exec, s[14:15]
.LBB667_579:                            ;   in Loop: Header=BB667_213 Depth=1
	s_or_b64 exec, exec, s[12:13]
	v_lshrrev_b16_e32 v40, 8, v38
	v_cmp_ne_u16_e32 vcc, 0, v40
	v_mov_b32_e32 v42, 0
	v_mov_b32_e32 v51, 0
	s_and_saveexec_b64 s[12:13], vcc
	s_cbranch_execz .LBB667_585
; %bb.580:                              ;   in Loop: Header=BB667_213 Depth=1
	v_cmp_ne_u16_e32 vcc, s9, v40
	v_bfrev_b32_e32 v51, 1
	s_and_saveexec_b64 s[14:15], vcc
	s_cbranch_execz .LBB667_584
; %bb.581:                              ;   in Loop: Header=BB667_213 Depth=1
	v_and_b32_e32 v52, 0x7f, v40
	v_cmp_ne_u32_e32 vcc, s19, v52
	v_mov_b32_e32 v51, 0x7f800001
	s_and_saveexec_b64 s[16:17], vcc
	s_cbranch_execz .LBB667_583
; %bb.582:                              ;   in Loop: Header=BB667_213 Depth=1
	v_and_b32_e32 v51, 7, v40
	v_ffbh_u32_e32 v60, v51
	v_min_u32_e32 v62, 32, v60
	v_subrev_u32_e32 v60, 28, v62
	v_lshlrev_b64 v[60:61], v60, v[40:41]
	v_lshrrev_b32_e32 v53, 3, v52
	v_sub_u32_e32 v40, 29, v62
	v_and_b32_e32 v60, 7, v60
	v_cmp_gt_u32_e32 vcc, 8, v52
	v_cndmask_b32_e32 v40, v53, v40, vcc
	v_cndmask_b32_e32 v51, v51, v60, vcc
	v_lshlrev_b32_e32 v52, 16, v38
	v_lshlrev_b32_e32 v51, 20, v51
	v_and_b32_e32 v52, 0x80000000, v52
	v_lshl_add_u32 v40, v40, 23, v48
	v_or3_b32 v51, v52, v40, v51
.LBB667_583:                            ;   in Loop: Header=BB667_213 Depth=1
	s_or_b64 exec, exec, s[16:17]
.LBB667_584:                            ;   in Loop: Header=BB667_213 Depth=1
	s_or_b64 exec, exec, s[14:15]
.LBB667_585:                            ;   in Loop: Header=BB667_213 Depth=1
	s_or_b64 exec, exec, s[12:13]
	v_lshrrev_b32_e32 v40, 16, v38
	v_cmp_ne_u16_sdwa s[14:15], v40, v47 src0_sel:BYTE_0 src1_sel:DWORD
	s_and_saveexec_b64 s[12:13], s[14:15]
	s_cbranch_execz .LBB667_591
; %bb.586:                              ;   in Loop: Header=BB667_213 Depth=1
	v_cmp_ne_u16_sdwa s[16:17], v40, s9 src0_sel:BYTE_0 src1_sel:DWORD
	v_bfrev_b32_e32 v42, 1
	s_and_saveexec_b64 s[14:15], s[16:17]
	s_cbranch_execz .LBB667_590
; %bb.587:                              ;   in Loop: Header=BB667_213 Depth=1
	v_bfe_u32 v52, v38, 16, 7
	v_cmp_ne_u32_e32 vcc, s19, v52
	v_mov_b32_e32 v42, 0x7f800001
	s_and_saveexec_b64 s[16:17], vcc
	s_cbranch_execz .LBB667_589
; %bb.588:                              ;   in Loop: Header=BB667_213 Depth=1
	v_and_b32_e32 v42, 7, v40
	v_ffbh_u32_e32 v60, v42
	v_min_u32_e32 v62, 32, v60
	v_subrev_u32_e32 v60, 28, v62
	v_lshlrev_b64 v[60:61], v60, v[40:41]
	v_lshrrev_b32_e32 v53, 3, v52
	v_sub_u32_e32 v61, 29, v62
	v_and_b32_e32 v60, 7, v60
	v_cmp_gt_u32_e32 vcc, 8, v52
	v_cndmask_b32_e32 v52, v53, v61, vcc
	v_cndmask_b32_e32 v42, v42, v60, vcc
	v_lshlrev_b32_e32 v40, 24, v40
	v_lshlrev_b32_e32 v42, 20, v42
	v_and_b32_e32 v40, 0x80000000, v40
	v_lshl_add_u32 v52, v52, 23, v48
	v_or3_b32 v42, v40, v52, v42
.LBB667_589:                            ;   in Loop: Header=BB667_213 Depth=1
	s_or_b64 exec, exec, s[16:17]
.LBB667_590:                            ;   in Loop: Header=BB667_213 Depth=1
	s_or_b64 exec, exec, s[14:15]
.LBB667_591:                            ;   in Loop: Header=BB667_213 Depth=1
	s_or_b64 exec, exec, s[12:13]
	v_cmp_lt_u32_e32 vcc, s20, v38
	v_mov_b32_e32 v52, 0
	s_and_saveexec_b64 s[12:13], vcc
	s_cbranch_execz .LBB667_212
; %bb.592:                              ;   in Loop: Header=BB667_213 Depth=1
	v_lshrrev_b32_e32 v40, 24, v38
	v_cmp_ne_u32_e32 vcc, s9, v40
	v_bfrev_b32_e32 v52, 1
	s_and_saveexec_b64 s[14:15], vcc
	s_cbranch_execz .LBB667_211
; %bb.593:                              ;   in Loop: Header=BB667_213 Depth=1
	v_bfe_u32 v38, v38, 24, 7
	v_cmp_ne_u32_e32 vcc, s19, v38
	v_mov_b32_e32 v52, 0x7f800001
	s_and_saveexec_b64 s[16:17], vcc
	s_cbranch_execz .LBB667_210
; %bb.594:                              ;   in Loop: Header=BB667_213 Depth=1
	v_and_b32_e32 v60, 7, v40
	v_ffbh_u32_e32 v52, v60
	v_min_u32_e32 v62, 32, v52
	v_subrev_u32_e32 v52, 28, v62
	v_lshlrev_b64 v[52:53], v52, v[40:41]
	v_lshrrev_b32_e32 v61, 3, v38
	v_sub_u32_e32 v53, 29, v62
	v_and_b32_e32 v52, 7, v52
	v_cmp_gt_u32_e32 vcc, 8, v38
	v_cndmask_b32_e32 v38, v61, v53, vcc
	v_cndmask_b32_e32 v52, v60, v52, vcc
	v_lshlrev_b32_e32 v40, 24, v40
	v_lshlrev_b32_e32 v52, 20, v52
	v_and_b32_e32 v40, 0x80000000, v40
	v_lshl_add_u32 v38, v38, 23, v48
	v_or3_b32 v52, v40, v38, v52
	s_branch .LBB667_210
.LBB667_595:
	s_barrier
	buffer_load_dword v2, off, s[0:3], 0 offset:320
	buffer_load_dword v5, off, s[0:3], 0 offset:332
	buffer_load_dword v3, off, s[0:3], 0 offset:324
	buffer_load_dword v4, off, s[0:3], 0 offset:328
	v_cmp_gt_u32_e32 vcc, 64, v0
	s_waitcnt vmcnt(0)
	ds_write2st64_b64 v43, v[2:3], v[4:5] offset1:1
	s_waitcnt lgkmcnt(0)
	s_barrier
	s_and_saveexec_b64 s[4:5], vcc
	s_cbranch_execz .LBB667_598
; %bb.596:
	s_lshl_b32 s4, s50, 7
	s_mul_i32 s5, s18, s8
	s_mul_hi_u32 s9, s5, s4
	s_mul_i32 s8, s5, s4
	s_lshl_b64 s[8:9], s[8:9], 1
	v_lshlrev_b32_e32 v4, 6, v55
	s_add_u32 s5, s48, s8
	v_lshl_or_b32 v0, v0, 10, v4
	s_mov_b32 s7, 0
	s_addc_u32 s8, s49, s9
	s_lshl_b32 s6, s24, 7
	v_lshlrev_b32_e32 v2, 5, v1
	v_and_b32_e32 v3, 16, v56
	v_and_b32_e32 v0, 0x1a00, v0
	s_lshl_b64 s[6:7], s[6:7], 1
	v_or3_b32 v0, v0, v2, v3
	s_add_u32 s5, s5, s6
	ds_read_b128 v[6:9], v0 offset:256
	v_or_b32_e32 v2, 12, v1
	s_addc_u32 s6, s8, s7
	ds_read_b128 v[10:13], v0 offset:128
	ds_read_b128 v[14:17], v0
	v_add_u32_e32 v1, s25, v1
	v_mov_b32_e32 v4, s6
	v_add_co_u32_e32 v3, vcc, s5, v54
	v_mad_u64_u32 v[18:19], s[6:7], v1, s4, 0
	v_addc_co_u32_e32 v4, vcc, 0, v4, vcc
	v_lshlrev_b64 v[18:19], 1, v[18:19]
	v_add_co_u32_e32 v18, vcc, v3, v18
	v_addc_co_u32_e32 v19, vcc, v4, v19, vcc
	v_add_u32_e32 v5, 4, v1
	s_waitcnt lgkmcnt(0)
	global_store_dwordx4 v[18:19], v[14:17], off
	v_add_u32_e32 v1, 8, v1
	v_mad_u64_u32 v[14:15], s[6:7], v5, s4, 0
	v_lshlrev_b64 v[14:15], 1, v[14:15]
	v_add_co_u32_e32 v14, vcc, v3, v14
	v_addc_co_u32_e32 v15, vcc, v4, v15, vcc
	global_store_dwordx4 v[14:15], v[10:13], off
	s_nop 0
	v_mad_u64_u32 v[10:11], s[6:7], v1, s4, 0
	v_lshlrev_b64 v[10:11], 1, v[10:11]
	v_add_co_u32_e32 v10, vcc, v3, v10
	v_addc_co_u32_e32 v11, vcc, v4, v11, vcc
	v_cmp_gt_u32_e32 vcc, 14, v2
	global_store_dwordx4 v[10:11], v[6:9], off
	s_and_b64 exec, exec, vcc
	s_cbranch_execz .LBB667_598
; %bb.597:
	ds_read_b128 v[6:9], v0 offset:384
	v_add_u32_e32 v0, s25, v2
	v_mad_u64_u32 v[0:1], s[4:5], v0, s4, 0
	v_lshlrev_b64 v[0:1], 1, v[0:1]
	v_add_co_u32_e32 v0, vcc, v3, v0
	v_addc_co_u32_e32 v1, vcc, v4, v1, vcc
	s_waitcnt lgkmcnt(0)
	global_store_dwordx4 v[0:1], v[6:9], off
.LBB667_598:
	s_endpgm
	.section	.rodata,"a",@progbits
	.p2align	6, 0x0
	.amdhsa_kernel _Z39paged_attention_ll4mi_QKV_mfma16_kernelIDF16_hLN4vllm18Fp8KVCacheDataTypeE1EDF16_Li32ELi128ELi256ELb0ELi14EL8MFMAType0EEvPKT_PKT0_S8_ifPKiSA_SA_iPKfiiiPfSD_PS3_PT2_iSC_SC_
		.amdhsa_group_segment_fixed_size 8192
		.amdhsa_private_segment_fixed_size 352
		.amdhsa_kernarg_size 400
		.amdhsa_user_sgpr_count 8
		.amdhsa_user_sgpr_private_segment_buffer 1
		.amdhsa_user_sgpr_dispatch_ptr 0
		.amdhsa_user_sgpr_queue_ptr 0
		.amdhsa_user_sgpr_kernarg_segment_ptr 1
		.amdhsa_user_sgpr_dispatch_id 0
		.amdhsa_user_sgpr_flat_scratch_init 1
		.amdhsa_user_sgpr_kernarg_preload_length 0
		.amdhsa_user_sgpr_kernarg_preload_offset 0
		.amdhsa_user_sgpr_private_segment_size 0
		.amdhsa_uses_dynamic_stack 0
		.amdhsa_system_sgpr_private_segment_wavefront_offset 1
		.amdhsa_system_sgpr_workgroup_id_x 1
		.amdhsa_system_sgpr_workgroup_id_y 1
		.amdhsa_system_sgpr_workgroup_id_z 1
		.amdhsa_system_sgpr_workgroup_info 0
		.amdhsa_system_vgpr_workitem_id 0
		.amdhsa_next_free_vgpr 78
		.amdhsa_next_free_sgpr 53
		.amdhsa_accum_offset 80
		.amdhsa_reserve_vcc 1
		.amdhsa_reserve_flat_scratch 0
		.amdhsa_float_round_mode_32 0
		.amdhsa_float_round_mode_16_64 0
		.amdhsa_float_denorm_mode_32 3
		.amdhsa_float_denorm_mode_16_64 3
		.amdhsa_dx10_clamp 1
		.amdhsa_ieee_mode 1
		.amdhsa_fp16_overflow 0
		.amdhsa_tg_split 0
		.amdhsa_exception_fp_ieee_invalid_op 0
		.amdhsa_exception_fp_denorm_src 0
		.amdhsa_exception_fp_ieee_div_zero 0
		.amdhsa_exception_fp_ieee_overflow 0
		.amdhsa_exception_fp_ieee_underflow 0
		.amdhsa_exception_fp_ieee_inexact 0
		.amdhsa_exception_int_div_zero 0
	.end_amdhsa_kernel
	.section	.text._Z39paged_attention_ll4mi_QKV_mfma16_kernelIDF16_hLN4vllm18Fp8KVCacheDataTypeE1EDF16_Li32ELi128ELi256ELb0ELi14EL8MFMAType0EEvPKT_PKT0_S8_ifPKiSA_SA_iPKfiiiPfSD_PS3_PT2_iSC_SC_,"axG",@progbits,_Z39paged_attention_ll4mi_QKV_mfma16_kernelIDF16_hLN4vllm18Fp8KVCacheDataTypeE1EDF16_Li32ELi128ELi256ELb0ELi14EL8MFMAType0EEvPKT_PKT0_S8_ifPKiSA_SA_iPKfiiiPfSD_PS3_PT2_iSC_SC_,comdat
.Lfunc_end667:
	.size	_Z39paged_attention_ll4mi_QKV_mfma16_kernelIDF16_hLN4vllm18Fp8KVCacheDataTypeE1EDF16_Li32ELi128ELi256ELb0ELi14EL8MFMAType0EEvPKT_PKT0_S8_ifPKiSA_SA_iPKfiiiPfSD_PS3_PT2_iSC_SC_, .Lfunc_end667-_Z39paged_attention_ll4mi_QKV_mfma16_kernelIDF16_hLN4vllm18Fp8KVCacheDataTypeE1EDF16_Li32ELi128ELi256ELb0ELi14EL8MFMAType0EEvPKT_PKT0_S8_ifPKiSA_SA_iPKfiiiPfSD_PS3_PT2_iSC_SC_
                                        ; -- End function
	.section	.AMDGPU.csdata,"",@progbits
; Kernel info:
; codeLenInByte = 21304
; NumSgprs: 57
; NumVgprs: 78
; NumAgprs: 0
; TotalNumVgprs: 78
; ScratchSize: 352
; MemoryBound: 0
; FloatMode: 240
; IeeeMode: 1
; LDSByteSize: 8192 bytes/workgroup (compile time only)
; SGPRBlocks: 7
; VGPRBlocks: 9
; NumSGPRsForWavesPerEU: 57
; NumVGPRsForWavesPerEU: 78
; AccumOffset: 80
; Occupancy: 6
; WaveLimiterHint : 1
; COMPUTE_PGM_RSRC2:SCRATCH_EN: 1
; COMPUTE_PGM_RSRC2:USER_SGPR: 8
; COMPUTE_PGM_RSRC2:TRAP_HANDLER: 0
; COMPUTE_PGM_RSRC2:TGID_X_EN: 1
; COMPUTE_PGM_RSRC2:TGID_Y_EN: 1
; COMPUTE_PGM_RSRC2:TGID_Z_EN: 1
; COMPUTE_PGM_RSRC2:TIDIG_COMP_CNT: 0
; COMPUTE_PGM_RSRC3_GFX90A:ACCUM_OFFSET: 19
; COMPUTE_PGM_RSRC3_GFX90A:TG_SPLIT: 0
	.section	.text._Z39paged_attention_ll4mi_QKV_mfma16_kernelIDF16_hLN4vllm18Fp8KVCacheDataTypeE1EDF16_Li32ELi128ELi256ELb0ELi15EL8MFMAType0EEvPKT_PKT0_S8_ifPKiSA_SA_iPKfiiiPfSD_PS3_PT2_iSC_SC_,"axG",@progbits,_Z39paged_attention_ll4mi_QKV_mfma16_kernelIDF16_hLN4vllm18Fp8KVCacheDataTypeE1EDF16_Li32ELi128ELi256ELb0ELi15EL8MFMAType0EEvPKT_PKT0_S8_ifPKiSA_SA_iPKfiiiPfSD_PS3_PT2_iSC_SC_,comdat
	.protected	_Z39paged_attention_ll4mi_QKV_mfma16_kernelIDF16_hLN4vllm18Fp8KVCacheDataTypeE1EDF16_Li32ELi128ELi256ELb0ELi15EL8MFMAType0EEvPKT_PKT0_S8_ifPKiSA_SA_iPKfiiiPfSD_PS3_PT2_iSC_SC_ ; -- Begin function _Z39paged_attention_ll4mi_QKV_mfma16_kernelIDF16_hLN4vllm18Fp8KVCacheDataTypeE1EDF16_Li32ELi128ELi256ELb0ELi15EL8MFMAType0EEvPKT_PKT0_S8_ifPKiSA_SA_iPKfiiiPfSD_PS3_PT2_iSC_SC_
	.globl	_Z39paged_attention_ll4mi_QKV_mfma16_kernelIDF16_hLN4vllm18Fp8KVCacheDataTypeE1EDF16_Li32ELi128ELi256ELb0ELi15EL8MFMAType0EEvPKT_PKT0_S8_ifPKiSA_SA_iPKfiiiPfSD_PS3_PT2_iSC_SC_
	.p2align	8
	.type	_Z39paged_attention_ll4mi_QKV_mfma16_kernelIDF16_hLN4vllm18Fp8KVCacheDataTypeE1EDF16_Li32ELi128ELi256ELb0ELi15EL8MFMAType0EEvPKT_PKT0_S8_ifPKiSA_SA_iPKfiiiPfSD_PS3_PT2_iSC_SC_,@function
_Z39paged_attention_ll4mi_QKV_mfma16_kernelIDF16_hLN4vllm18Fp8KVCacheDataTypeE1EDF16_Li32ELi128ELi256ELb0ELi15EL8MFMAType0EEvPKT_PKT0_S8_ifPKiSA_SA_iPKfiiiPfSD_PS3_PT2_iSC_SC_: ; @_Z39paged_attention_ll4mi_QKV_mfma16_kernelIDF16_hLN4vllm18Fp8KVCacheDataTypeE1EDF16_Li32ELi128ELi256ELb0ELi15EL8MFMAType0EEvPKT_PKT0_S8_ifPKiSA_SA_iPKfiiiPfSD_PS3_PT2_iSC_SC_
; %bb.0:
	s_load_dwordx2 s[6:7], s[4:5], 0x30
	s_add_u32 s0, s0, s11
	s_addc_u32 s1, s1, 0
	s_mov_b32 s24, s9
	s_mov_b64 s[12:13], 0
	s_waitcnt lgkmcnt(0)
	s_cmp_lg_u64 s[6:7], 0
	s_cselect_b64 s[16:17], -1, 0
	s_and_b64 vcc, exec, s[16:17]
	s_cbranch_vccz .LBB668_7
; %bb.1:
	s_add_i32 s14, s8, 1
	s_mov_b32 s15, 0
	s_lshl_b64 s[18:19], s[14:15], 2
	s_add_u32 s18, s6, s18
	s_mov_b32 s9, s15
	s_addc_u32 s19, s7, s19
	s_lshl_b64 s[14:15], s[8:9], 2
	s_add_u32 s14, s6, s14
	s_addc_u32 s15, s7, s15
	s_load_dword s11, s[18:19], 0x0
	s_load_dword s20, s[14:15], 0x0
	s_waitcnt lgkmcnt(0)
	s_sub_i32 s11, s11, s20
	s_cmp_eq_u32 s11, 1
	s_cselect_b64 s[14:15], -1, 0
	s_andn2_b64 vcc, exec, s[12:13]
	s_cbranch_vccnz .LBB668_3
.LBB668_2:
	s_mov_b32 s9, 0
	s_mov_b64 s[14:15], -1
.LBB668_3:
	s_andn2_b64 vcc, exec, s[14:15]
	s_cbranch_vccnz .LBB668_598
; %bb.4:
	s_load_dwordx2 s[12:13], s[4:5], 0x28
	s_lshl_b64 s[18:19], s[8:9], 2
	s_waitcnt lgkmcnt(0)
	s_add_u32 s12, s12, s18
	s_addc_u32 s13, s13, s19
	s_load_dword s33, s[12:13], 0x0
	s_lshl_b32 s20, s24, 8
	s_waitcnt lgkmcnt(0)
	s_cmp_ge_i32 s20, s33
	s_cbranch_scc1 .LBB668_598
; %bb.5:
	s_add_i32 s14, s33, 31
	s_load_dwordx2 s[12:13], s[4:5], 0x20
	s_load_dword s11, s[4:5], 0x38
	s_ashr_i32 s15, s14, 31
	v_and_b32_e32 v1, 0xcf, v0
	s_lshr_b32 s15, s15, 27
	v_add_u32_e32 v1, s20, v1
	s_add_i32 s14, s14, s15
	v_ashrrev_i32_e32 v2, 31, v1
	s_ashr_i32 s22, s14, 5
	v_lshrrev_b32_e32 v10, 27, v2
	s_add_i32 s22, s22, -1
	v_add_u32_e32 v2, v1, v10
	s_waitcnt lgkmcnt(0)
	s_mul_i32 s14, s8, s11
	s_mov_b32 s15, 0
	v_ashrrev_i32_e32 v2, 5, v2
	v_mov_b32_e32 v11, s22
	v_cmp_gt_i32_e32 vcc, s33, v1
	s_lshl_b64 s[14:15], s[14:15], 2
	v_cndmask_b32_e32 v2, v11, v2, vcc
	s_add_u32 s11, s12, s14
	v_ashrrev_i32_e32 v3, 31, v2
	s_addc_u32 s21, s13, s15
	v_lshlrev_b64 v[2:3], 2, v[2:3]
	v_mov_b32_e32 v5, s21
	v_add_co_u32_e32 v4, vcc, s11, v2
	v_or_b32_e32 v2, 16, v1
	v_addc_co_u32_e32 v5, vcc, v5, v3, vcc
	v_add_u32_e32 v3, v2, v10
	v_ashrrev_i32_e32 v3, 5, v3
	v_cmp_gt_i32_e32 vcc, s33, v2
	v_cndmask_b32_e32 v2, v11, v3, vcc
	v_ashrrev_i32_e32 v3, 31, v2
	v_lshlrev_b64 v[2:3], 2, v[2:3]
	v_mov_b32_e32 v7, s21
	v_add_co_u32_e32 v6, vcc, s11, v2
	v_or_b32_e32 v2, 32, v1
	v_addc_co_u32_e32 v7, vcc, v7, v3, vcc
	v_add_u32_e32 v3, v2, v10
	v_ashrrev_i32_e32 v3, 5, v3
	v_cmp_gt_i32_e32 vcc, s33, v2
	v_cndmask_b32_e32 v2, v11, v3, vcc
	v_ashrrev_i32_e32 v3, 31, v2
	;; [unrolled: 10-line block ×3, first 2 shown]
	v_lshlrev_b64 v[2:3], 2, v[2:3]
	v_mov_b32_e32 v1, s21
	v_add_co_u32_e32 v12, vcc, s11, v2
	v_addc_co_u32_e32 v13, vcc, v1, v3, vcc
	global_load_dword v2, v[4:5], off
	global_load_dword v10, v[6:7], off
	;; [unrolled: 1-line block ×4, first 2 shown]
	s_load_dwordx4 s[12:15], s[4:5], 0x8
	s_andn2_b64 vcc, exec, s[16:17]
	s_cbranch_vccnz .LBB668_8
; %bb.6:
	s_add_u32 s6, s6, s18
	s_addc_u32 s7, s7, s19
	s_load_dword s16, s[6:7], 0x0
	s_branch .LBB668_9
.LBB668_7:
	s_mov_b64 s[14:15], 0
	s_branch .LBB668_2
.LBB668_8:
	s_mov_b32 s16, s8
.LBB668_9:
	s_load_dwordx2 s[48:49], s[4:5], 0x68
	s_load_dwordx8 s[40:47], s[4:5], 0x48
	v_lshrrev_b32_e32 v62, 6, v0
	v_bfe_u32 v1, v0, 4, 2
	v_and_b32_e32 v55, 15, v0
	v_lshl_or_b32 v3, v62, 2, v1
	v_lshlrev_b32_e32 v4, 3, v55
	s_mul_i32 s25, s10, 15
	v_cmp_gt_u32_e32 vcc, 15, v3
	v_lshlrev_b32_e32 v54, 1, v4
	v_lshlrev_b32_e32 v56, 4, v0
	s_and_saveexec_b64 s[6:7], vcc
	s_cbranch_execz .LBB668_11
; %bb.10:
	s_load_dwordx2 s[18:19], s[4:5], 0x0
	s_waitcnt lgkmcnt(0)
	s_ashr_i32 s17, s40, 31
	s_mul_hi_u32 s23, s16, s40
	s_mul_i32 s17, s16, s17
	s_add_i32 s17, s23, s17
	s_mul_i32 s16, s16, s40
	s_lshl_b64 s[16:17], s[16:17], 1
	v_add_lshl_u32 v4, v3, s25, 7
	s_add_u32 s16, s18, s16
	v_ashrrev_i32_e32 v5, 31, v4
	s_addc_u32 s17, s19, s17
	v_lshlrev_b64 v[4:5], 1, v[4:5]
	v_mov_b32_e32 v6, s17
	v_add_co_u32_e32 v4, vcc, s16, v4
	v_addc_co_u32_e32 v5, vcc, v6, v5, vcc
	v_add_co_u32_e32 v4, vcc, v4, v54
	v_addc_co_u32_e32 v5, vcc, 0, v5, vcc
	global_load_dwordx4 v[4:7], v[4:5], off
	v_lshlrev_b32_e32 v9, 8, v0
	v_lshlrev_b32_e32 v8, 8, v55
	v_and_b32_e32 v9, 0x600, v9
	s_movk_i32 s16, 0x800
	v_and_or_b32 v8, v8, s16, v9
	v_lshlrev_b32_e32 v3, 5, v3
	v_and_b32_e32 v9, 16, v56
	v_or3_b32 v3, v8, v3, v9
	s_waitcnt vmcnt(0)
	ds_write_b128 v3, v[4:7]
.LBB668_11:
	s_or_b64 exec, exec, s[6:7]
	s_waitcnt lgkmcnt(0)
	s_mul_i32 s10, s10, s42
	s_add_u32 s6, s12, s10
	s_addc_u32 s7, s13, 0
	v_and_b32_e32 v3, 48, v0
	s_ashr_i32 s12, s20, 31
	v_or_b32_e32 v11, s20, v3
	s_lshr_b32 s12, s12, 27
	v_add_u32_e32 v4, s12, v11
	v_ashrrev_i32_e32 v4, 5, v4
	v_mov_b32_e32 v12, s22
	v_cmp_gt_i32_e32 vcc, s33, v11
	v_cndmask_b32_e32 v4, v12, v4, vcc
	v_ashrrev_i32_e32 v5, 31, v4
	v_lshlrev_b64 v[4:5], 2, v[4:5]
	v_mov_b32_e32 v6, s21
	v_add_co_u32_e32 v4, vcc, s11, v4
	v_addc_co_u32_e32 v5, vcc, v6, v5, vcc
	v_or_b32_e32 v6, 64, v11
	v_add_u32_e32 v7, s12, v6
	v_ashrrev_i32_e32 v7, 5, v7
	v_cmp_gt_i32_e32 vcc, s33, v6
	v_cndmask_b32_e32 v6, v12, v7, vcc
	v_ashrrev_i32_e32 v7, 31, v6
	v_lshlrev_b64 v[6:7], 2, v[6:7]
	v_mov_b32_e32 v8, s21
	v_add_co_u32_e32 v6, vcc, s11, v6
	v_addc_co_u32_e32 v7, vcc, v8, v7, vcc
	v_or_b32_e32 v8, 0x80, v11
	v_add_u32_e32 v9, s12, v8
	v_ashrrev_i32_e32 v9, 5, v9
	v_cmp_gt_i32_e32 vcc, s33, v8
	v_cndmask_b32_e32 v8, v12, v9, vcc
	v_ashrrev_i32_e32 v9, 31, v8
	v_lshlrev_b64 v[8:9], 2, v[8:9]
	v_mov_b32_e32 v13, s21
	v_add_co_u32_e32 v8, vcc, s11, v8
	s_load_dwordx2 s[50:51], s[4:5], 0x94
	s_waitcnt lgkmcnt(0)
	s_barrier
	v_addc_co_u32_e32 v9, vcc, v13, v9, vcc
	global_load_dword v50, v[4:5], off
	global_load_dword v57, v[6:7], off
	;; [unrolled: 1-line block ×3, first 2 shown]
	v_or_b32_e32 v4, 0xc0, v11
	v_add_u32_e32 v5, s12, v4
	v_ashrrev_i32_e32 v5, 5, v5
	v_cmp_gt_i32_e32 vcc, s33, v4
	v_cndmask_b32_e32 v4, v12, v5, vcc
	v_ashrrev_i32_e32 v5, 31, v4
	v_lshlrev_b64 v[4:5], 2, v[4:5]
	v_mov_b32_e32 v6, s21
	v_add_co_u32_e32 v4, vcc, s11, v4
	v_addc_co_u32_e32 v5, vcc, v6, v5, vcc
	global_load_dword v65, v[4:5], off
	v_pk_mov_b32 v[24:25], s[6:7], s[6:7] op_sel:[0,1]
	v_lshlrev_b32_e32 v28, 5, v3
	s_waitcnt vmcnt(7)
	v_mad_i64_i32 v[2:3], s[6:7], v2, s41, v[24:25]
	v_lshlrev_b32_e32 v23, 4, v55
	v_add_co_u32_e32 v2, vcc, v2, v23
	v_addc_co_u32_e32 v3, vcc, 0, v3, vcc
	v_add_co_u32_e32 v12, vcc, v2, v28
	v_addc_co_u32_e32 v13, vcc, 0, v3, vcc
	global_load_dwordx4 v[6:9], v[12:13], off
	global_load_dwordx4 v[2:5], v[12:13], off offset:2048
	s_waitcnt vmcnt(8)
	v_mad_i64_i32 v[10:11], s[6:7], v10, s41, v[24:25]
	v_or_b32_e32 v29, 0x100, v23
	v_add_co_u32_e32 v10, vcc, v10, v29
	v_addc_co_u32_e32 v11, vcc, 0, v11, vcc
	v_add_co_u32_e32 v20, vcc, v10, v28
	v_addc_co_u32_e32 v21, vcc, 0, v11, vcc
	s_waitcnt vmcnt(7)
	v_mad_i64_i32 v[18:19], s[6:7], v18, s41, v[24:25]
	v_add_co_u32_e32 v18, vcc, v18, v23
	v_addc_co_u32_e32 v19, vcc, 0, v19, vcc
	v_add_co_u32_e32 v26, vcc, v18, v28
	v_addc_co_u32_e32 v27, vcc, 0, v19, vcc
	s_waitcnt vmcnt(6)
	v_mad_i64_i32 v[22:23], s[6:7], v22, s41, v[24:25]
	v_add_co_u32_e32 v22, vcc, v22, v29
	v_addc_co_u32_e32 v23, vcc, 0, v23, vcc
	v_add_co_u32_e32 v30, vcc, v22, v28
	v_addc_co_u32_e32 v31, vcc, 0, v23, vcc
	s_add_u32 s6, s14, s10
	global_load_dwordx4 v[10:13], v[20:21], off
	global_load_dwordx4 v[14:17], v[20:21], off offset:2048
	global_load_dwordx4 v[38:41], v[26:27], off
	s_nop 0
	global_load_dwordx4 v[18:21], v[26:27], off offset:2048
	s_nop 0
	global_load_dwordx4 v[26:29], v[30:31], off
	global_load_dwordx4 v[22:25], v[30:31], off offset:2048
	s_addc_u32 s7, s15, 0
	v_and_b32_e32 v30, 16, v0
	v_mov_b32_e32 v31, s7
	v_add_co_u32_e32 v51, vcc, s6, v30
	v_lshl_or_b32 v63, v62, 4, v55
	v_addc_co_u32_e32 v52, vcc, 0, v31, vcc
	v_lshlrev_b32_e32 v53, 5, v63
	v_add_co_u32_e32 v42, vcc, v51, v53
	v_addc_co_u32_e32 v43, vcc, 0, v52, vcc
	v_or_b32_e32 v53, 0x800, v53
	v_add_co_u32_e32 v58, vcc, v51, v53
	s_waitcnt vmcnt(11)
	v_mad_i64_i32 v[30:31], s[6:7], v50, s41, v[42:43]
	s_waitcnt vmcnt(10)
	v_mad_i64_i32 v[34:35], s[6:7], v57, s41, v[42:43]
	s_waitcnt vmcnt(9)
	v_mad_i64_i32 v[44:45], s[6:7], v64, s41, v[42:43]
	global_load_dwordx4 v[30:33], v[30:31], off
	v_addc_co_u32_e32 v59, vcc, 0, v52, vcc
	global_load_dwordx4 v[34:37], v[34:35], off
	v_mad_i64_i32 v[50:51], s[6:7], v50, s41, v[58:59]
	v_mad_i64_i32 v[60:61], s[6:7], v57, s41, v[58:59]
	s_waitcnt vmcnt(10)
	v_mad_i64_i32 v[42:43], s[6:7], v65, s41, v[42:43]
	global_load_dwordx4 v[46:49], v[44:45], off
	s_nop 0
	global_load_dwordx4 v[42:45], v[42:43], off
	v_cmp_ne_u32_e32 vcc, 15, v55
	global_load_dwordx4 v[50:53], v[50:51], off
	s_mov_b32 s12, 0
	global_load_dwordx4 v[66:69], v[60:61], off
	v_mad_i64_i32 v[60:61], s[6:7], v64, s41, v[58:59]
	global_load_dwordx4 v[70:73], v[60:61], off
	v_and_b32_e32 v64, 63, v0
	s_movk_i32 s13, 0x80
	s_movk_i32 s14, 0x7f
	s_waitcnt vmcnt(14)
	buffer_store_dword v9, off, s[0:3], 0 offset:12
	buffer_store_dword v8, off, s[0:3], 0 offset:8
	v_mad_i64_i32 v[8:9], s[6:7], v65, s41, v[58:59]
	global_load_dwordx4 v[74:77], v[8:9], off
	s_nop 0
	buffer_store_dword v7, off, s[0:3], 0 offset:4
	buffer_store_dword v6, off, s[0:3], 0
	s_waitcnt vmcnt(18)
	buffer_store_dword v5, off, s[0:3], 0 offset:28
	buffer_store_dword v4, off, s[0:3], 0 offset:24
	;; [unrolled: 1-line block ×4, first 2 shown]
	s_waitcnt vmcnt(21)
	buffer_store_dword v13, off, s[0:3], 0 offset:44
	buffer_store_dword v12, off, s[0:3], 0 offset:40
	buffer_store_dword v11, off, s[0:3], 0 offset:36
	buffer_store_dword v10, off, s[0:3], 0 offset:32
	s_load_dword s6, s[4:5], 0x1c
	s_load_dwordx4 s[40:43], s[4:5], 0x80
	v_mov_b32_e32 v2, 0x80
	v_add_u32_e32 v57, 16, v2
	s_waitcnt vmcnt(24)
	buffer_store_dword v17, off, s[0:3], 0 offset:60
	buffer_store_dword v16, off, s[0:3], 0 offset:56
	;; [unrolled: 1-line block ×4, first 2 shown]
	v_add_u32_e32 v61, 32, v2
	v_add_u32_e32 v58, 48, v2
	;; [unrolled: 1-line block ×4, first 2 shown]
	s_waitcnt vmcnt(27)
	buffer_store_dword v41, off, s[0:3], 0 offset:76
	buffer_store_dword v40, off, s[0:3], 0 offset:72
	;; [unrolled: 1-line block ×4, first 2 shown]
	v_add_u32_e32 v41, 0x60, v2
	v_add_u32_e32 v39, 0x70, v2
	v_cndmask_b32_e32 v2, 0, v55, vcc
	v_lshlrev_b32_e32 v2, 5, v2
	v_lshl_or_b32 v14, v1, 9, v2
	ds_read_b128 v[2:5], v14
	ds_read_b128 v[6:9], v14 offset:16
	ds_read_b128 v[10:13], v14 offset:2048
	;; [unrolled: 1-line block ×3, first 2 shown]
	s_waitcnt vmcnt(30)
	buffer_store_dword v21, off, s[0:3], 0 offset:92
	buffer_store_dword v20, off, s[0:3], 0 offset:88
	buffer_store_dword v19, off, s[0:3], 0 offset:84
	buffer_store_dword v18, off, s[0:3], 0 offset:80
	s_waitcnt vmcnt(33)
	buffer_store_dword v29, off, s[0:3], 0 offset:108
	buffer_store_dword v28, off, s[0:3], 0 offset:104
	buffer_store_dword v27, off, s[0:3], 0 offset:100
	buffer_store_dword v26, off, s[0:3], 0 offset:96
	;; [unrolled: 5-line block ×10, first 2 shown]
	s_waitcnt vmcnt(58)
	buffer_store_dword v77, off, s[0:3], 0 offset:252
	s_waitcnt lgkmcnt(0)
	s_load_dword s4, s[40:41], 0x0
	v_mov_b32_e32 v18, s6
	v_mov_b32_e32 v27, 0
	s_mov_b32 s15, 0xffffff
	v_mov_b32_e32 v29, 0
	s_waitcnt lgkmcnt(0)
	v_mul_f32_e32 v22, s4, v18
	v_mov_b32_e32 v24, v22
	v_mov_b32_e32 v25, v22
	;; [unrolled: 1-line block ×3, first 2 shown]
	v_bfrev_b32_e32 v33, 60
	buffer_store_dword v76, off, s[0:3], 0 offset:248
	buffer_store_dword v75, off, s[0:3], 0 offset:244
	;; [unrolled: 1-line block ×3, first 2 shown]
	s_branch .LBB668_15
.LBB668_12:                             ;   in Loop: Header=BB668_15 Depth=1
	s_or_b64 exec, exec, s[10:11]
.LBB668_13:                             ;   in Loop: Header=BB668_15 Depth=1
	s_or_b64 exec, exec, s[6:7]
.LBB668_14:                             ;   in Loop: Header=BB668_15 Depth=1
	s_or_b64 exec, exec, s[4:5]
	v_cvt_pkrtz_f16_f32 v42, v34, v32
	v_cvt_pkrtz_f16_f32 v43, v23, v36
	;; [unrolled: 1-line block ×4, first 2 shown]
	v_add_u32_e32 v26, s12, v31
	v_mfma_f32_16x16x16f16 v[18:21], v[42:43], v[14:15], v[18:21]
	s_add_i32 s12, s12, 16
	v_mov_b32_e32 v23, v22
	s_cmp_eq_u32 s12, 64
	v_add_u32_e32 v27, 32, v27
	v_mfma_f32_16x16x16f16 v[18:21], v[34:35], v[16:17], v[18:21]
	s_nop 7
	s_nop 2
	v_pk_mul_f32 v[18:19], v[24:25], v[18:19]
	v_pk_mul_f32 v[20:21], v[22:23], v[20:21]
	buffer_store_dword v19, v26, s[0:3], 0 offen offset:4
	buffer_store_dword v18, v26, s[0:3], 0 offen
	buffer_store_dword v21, v26, s[0:3], 0 offen offset:12
	buffer_store_dword v20, v26, s[0:3], 0 offen offset:8
	s_cbranch_scc1 .LBB668_205
.LBB668_15:                             ; =>This Inner Loop Header: Depth=1
	buffer_load_dword v20, v27, s[0:3], 0 offen
	buffer_load_dword v18, v27, s[0:3], 0 offen offset:4
	buffer_load_dword v28, v27, s[0:3], 0 offen offset:8
	buffer_load_dword v26, v27, s[0:3], 0 offen offset:12
	v_mov_b32_e32 v19, 0
	s_waitcnt vmcnt(3)
	v_cmp_ne_u16_sdwa s[6:7], v20, v29 src0_sel:BYTE_0 src1_sel:DWORD
	s_and_saveexec_b64 s[4:5], s[6:7]
	s_cbranch_execz .LBB668_21
; %bb.16:                               ;   in Loop: Header=BB668_15 Depth=1
	v_cmp_ne_u16_sdwa s[10:11], v20, s13 src0_sel:BYTE_0 src1_sel:DWORD
	v_bfrev_b32_e32 v19, 1
	s_and_saveexec_b64 s[6:7], s[10:11]
	s_cbranch_execz .LBB668_20
; %bb.17:                               ;   in Loop: Header=BB668_15 Depth=1
	v_and_b32_e32 v21, 0x7f, v20
	v_cmp_ne_u32_e32 vcc, s14, v21
	v_mov_b32_e32 v19, 0x7f800001
	s_and_saveexec_b64 s[10:11], vcc
	s_cbranch_execz .LBB668_19
; %bb.18:                               ;   in Loop: Header=BB668_15 Depth=1
	v_and_b32_e32 v19, 7, v20
	v_ffbh_u32_e32 v30, v19
	v_min_u32_e32 v30, 32, v30
	v_subrev_u32_e32 v32, 28, v30
	v_lshlrev_b64 v[34:35], v32, v[20:21]
	v_lshrrev_b32_e32 v23, 3, v21
	v_sub_u32_e32 v30, 29, v30
	v_and_b32_e32 v32, 7, v34
	v_cmp_gt_u32_e32 vcc, 8, v21
	v_cndmask_b32_e32 v21, v23, v30, vcc
	v_cndmask_b32_e32 v19, v19, v32, vcc
	v_lshlrev_b32_e32 v23, 24, v20
	v_lshlrev_b32_e32 v19, 20, v19
	v_and_b32_e32 v23, 0x80000000, v23
	v_lshl_add_u32 v21, v21, 23, v33
	v_or3_b32 v19, v23, v21, v19
.LBB668_19:                             ;   in Loop: Header=BB668_15 Depth=1
	s_or_b64 exec, exec, s[10:11]
.LBB668_20:                             ;   in Loop: Header=BB668_15 Depth=1
	s_or_b64 exec, exec, s[6:7]
.LBB668_21:                             ;   in Loop: Header=BB668_15 Depth=1
	s_or_b64 exec, exec, s[4:5]
	v_lshrrev_b16_e32 v30, 8, v20
	v_cmp_ne_u16_e32 vcc, 0, v30
	v_mov_b32_e32 v21, 0
	v_mov_b32_e32 v23, 0
	s_and_saveexec_b64 s[4:5], vcc
	s_cbranch_execz .LBB668_27
; %bb.22:                               ;   in Loop: Header=BB668_15 Depth=1
	v_cmp_ne_u16_e32 vcc, s13, v30
	v_bfrev_b32_e32 v23, 1
	s_and_saveexec_b64 s[6:7], vcc
	s_cbranch_execz .LBB668_26
; %bb.23:                               ;   in Loop: Header=BB668_15 Depth=1
	v_and_b32_e32 v32, 0x7f, v30
	v_cmp_ne_u32_e32 vcc, s14, v32
	v_mov_b32_e32 v23, 0x7f800001
	s_and_saveexec_b64 s[10:11], vcc
	s_cbranch_execz .LBB668_25
; %bb.24:                               ;   in Loop: Header=BB668_15 Depth=1
	v_and_b32_e32 v23, 7, v30
	v_ffbh_u32_e32 v34, v23
	v_min_u32_e32 v37, 32, v34
	v_subrev_u32_e32 v34, 28, v37
	v_lshlrev_b64 v[34:35], v34, v[30:31]
	v_lshrrev_b32_e32 v36, 3, v32
	v_sub_u32_e32 v30, 29, v37
	v_and_b32_e32 v34, 7, v34
	v_cmp_gt_u32_e32 vcc, 8, v32
	v_cndmask_b32_e32 v30, v36, v30, vcc
	v_cndmask_b32_e32 v23, v23, v34, vcc
	v_lshlrev_b32_e32 v32, 16, v20
	v_lshlrev_b32_e32 v23, 20, v23
	v_and_b32_e32 v32, 0x80000000, v32
	v_lshl_add_u32 v30, v30, 23, v33
	v_or3_b32 v23, v32, v30, v23
.LBB668_25:                             ;   in Loop: Header=BB668_15 Depth=1
	s_or_b64 exec, exec, s[10:11]
.LBB668_26:                             ;   in Loop: Header=BB668_15 Depth=1
	s_or_b64 exec, exec, s[6:7]
.LBB668_27:                             ;   in Loop: Header=BB668_15 Depth=1
	s_or_b64 exec, exec, s[4:5]
	v_lshrrev_b32_e32 v30, 16, v20
	v_cmp_ne_u16_sdwa s[6:7], v30, v29 src0_sel:BYTE_0 src1_sel:DWORD
	s_and_saveexec_b64 s[4:5], s[6:7]
	s_cbranch_execz .LBB668_33
; %bb.28:                               ;   in Loop: Header=BB668_15 Depth=1
	v_cmp_ne_u16_sdwa s[10:11], v30, s13 src0_sel:BYTE_0 src1_sel:DWORD
	v_bfrev_b32_e32 v21, 1
	s_and_saveexec_b64 s[6:7], s[10:11]
	s_cbranch_execz .LBB668_32
; %bb.29:                               ;   in Loop: Header=BB668_15 Depth=1
	v_bfe_u32 v32, v20, 16, 7
	v_cmp_ne_u32_e32 vcc, s14, v32
	v_mov_b32_e32 v21, 0x7f800001
	s_and_saveexec_b64 s[10:11], vcc
	s_cbranch_execz .LBB668_31
; %bb.30:                               ;   in Loop: Header=BB668_15 Depth=1
	v_and_b32_e32 v21, 7, v30
	v_ffbh_u32_e32 v34, v21
	v_min_u32_e32 v37, 32, v34
	v_subrev_u32_e32 v34, 28, v37
	v_lshlrev_b64 v[34:35], v34, v[30:31]
	v_lshrrev_b32_e32 v36, 3, v32
	v_sub_u32_e32 v35, 29, v37
	v_and_b32_e32 v34, 7, v34
	v_cmp_gt_u32_e32 vcc, 8, v32
	v_cndmask_b32_e32 v32, v36, v35, vcc
	v_cndmask_b32_e32 v21, v21, v34, vcc
	v_lshlrev_b32_e32 v30, 24, v30
	v_lshlrev_b32_e32 v21, 20, v21
	v_and_b32_e32 v30, 0x80000000, v30
	v_lshl_add_u32 v32, v32, 23, v33
	v_or3_b32 v21, v30, v32, v21
.LBB668_31:                             ;   in Loop: Header=BB668_15 Depth=1
	s_or_b64 exec, exec, s[10:11]
.LBB668_32:                             ;   in Loop: Header=BB668_15 Depth=1
	s_or_b64 exec, exec, s[6:7]
.LBB668_33:                             ;   in Loop: Header=BB668_15 Depth=1
	s_or_b64 exec, exec, s[4:5]
	v_cmp_lt_u32_e32 vcc, s15, v20
	v_mov_b32_e32 v34, 0
	v_mov_b32_e32 v35, 0
	s_and_saveexec_b64 s[4:5], vcc
	s_cbranch_execz .LBB668_39
; %bb.34:                               ;   in Loop: Header=BB668_15 Depth=1
	v_lshrrev_b32_e32 v30, 24, v20
	v_cmp_ne_u32_e32 vcc, s13, v30
	v_bfrev_b32_e32 v35, 1
	s_and_saveexec_b64 s[6:7], vcc
	s_cbranch_execz .LBB668_38
; %bb.35:                               ;   in Loop: Header=BB668_15 Depth=1
	v_bfe_u32 v20, v20, 24, 7
	v_cmp_ne_u32_e32 vcc, s14, v20
	v_mov_b32_e32 v35, 0x7f800001
	s_and_saveexec_b64 s[10:11], vcc
	s_cbranch_execz .LBB668_37
; %bb.36:                               ;   in Loop: Header=BB668_15 Depth=1
	v_and_b32_e32 v32, 7, v30
	v_ffbh_u32_e32 v36, v32
	v_min_u32_e32 v38, 32, v36
	v_subrev_u32_e32 v36, 28, v38
	v_lshlrev_b64 v[36:37], v36, v[30:31]
	v_lshrrev_b32_e32 v35, 3, v20
	v_sub_u32_e32 v37, 29, v38
	v_and_b32_e32 v36, 7, v36
	v_cmp_gt_u32_e32 vcc, 8, v20
	v_cndmask_b32_e32 v20, v35, v37, vcc
	v_cndmask_b32_e32 v32, v32, v36, vcc
	v_lshlrev_b32_e32 v30, 24, v30
	v_lshlrev_b32_e32 v32, 20, v32
	v_and_b32_e32 v30, 0x80000000, v30
	v_lshl_add_u32 v20, v20, 23, v33
	v_or3_b32 v35, v30, v20, v32
.LBB668_37:                             ;   in Loop: Header=BB668_15 Depth=1
	s_or_b64 exec, exec, s[10:11]
.LBB668_38:                             ;   in Loop: Header=BB668_15 Depth=1
	s_or_b64 exec, exec, s[6:7]
.LBB668_39:                             ;   in Loop: Header=BB668_15 Depth=1
	s_or_b64 exec, exec, s[4:5]
	s_waitcnt vmcnt(2)
	v_cmp_ne_u16_sdwa s[6:7], v18, v29 src0_sel:BYTE_0 src1_sel:DWORD
	s_and_saveexec_b64 s[4:5], s[6:7]
	s_cbranch_execz .LBB668_45
; %bb.40:                               ;   in Loop: Header=BB668_15 Depth=1
	v_cmp_ne_u16_sdwa s[10:11], v18, s13 src0_sel:BYTE_0 src1_sel:DWORD
	v_bfrev_b32_e32 v34, 1
	s_and_saveexec_b64 s[6:7], s[10:11]
	s_cbranch_execz .LBB668_44
; %bb.41:                               ;   in Loop: Header=BB668_15 Depth=1
	v_and_b32_e32 v20, 0x7f, v18
	v_cmp_ne_u32_e32 vcc, s14, v20
	v_mov_b32_e32 v34, 0x7f800001
	s_and_saveexec_b64 s[10:11], vcc
	s_cbranch_execz .LBB668_43
; %bb.42:                               ;   in Loop: Header=BB668_15 Depth=1
	v_and_b32_e32 v30, 7, v18
	v_ffbh_u32_e32 v34, v30
	v_min_u32_e32 v34, 32, v34
	v_subrev_u32_e32 v36, 28, v34
	v_lshlrev_b64 v[36:37], v36, v[18:19]
	v_lshrrev_b32_e32 v32, 3, v20
	v_sub_u32_e32 v34, 29, v34
	v_and_b32_e32 v36, 7, v36
	v_cmp_gt_u32_e32 vcc, 8, v20
	v_cndmask_b32_e32 v20, v32, v34, vcc
	v_cndmask_b32_e32 v30, v30, v36, vcc
	v_lshlrev_b32_e32 v32, 24, v18
	v_lshlrev_b32_e32 v30, 20, v30
	v_and_b32_e32 v32, 0x80000000, v32
	v_lshl_add_u32 v20, v20, 23, v33
	v_or3_b32 v34, v32, v20, v30
.LBB668_43:                             ;   in Loop: Header=BB668_15 Depth=1
	s_or_b64 exec, exec, s[10:11]
.LBB668_44:                             ;   in Loop: Header=BB668_15 Depth=1
	s_or_b64 exec, exec, s[6:7]
.LBB668_45:                             ;   in Loop: Header=BB668_15 Depth=1
	s_or_b64 exec, exec, s[4:5]
	v_lshrrev_b16_e32 v20, 8, v18
	v_cmp_ne_u16_e32 vcc, 0, v20
	v_mov_b32_e32 v30, 0
	v_mov_b32_e32 v36, 0
	s_and_saveexec_b64 s[4:5], vcc
	s_cbranch_execz .LBB668_51
; %bb.46:                               ;   in Loop: Header=BB668_15 Depth=1
	v_cmp_ne_u16_e32 vcc, s13, v20
	v_bfrev_b32_e32 v36, 1
	s_and_saveexec_b64 s[6:7], vcc
	s_cbranch_execz .LBB668_50
; %bb.47:                               ;   in Loop: Header=BB668_15 Depth=1
	v_and_b32_e32 v32, 0x7f, v20
	v_cmp_ne_u32_e32 vcc, s14, v32
	v_mov_b32_e32 v36, 0x7f800001
	s_and_saveexec_b64 s[10:11], vcc
	s_cbranch_execz .LBB668_49
; %bb.48:                               ;   in Loop: Header=BB668_15 Depth=1
	v_and_b32_e32 v38, 7, v20
	v_ffbh_u32_e32 v36, v38
	v_min_u32_e32 v42, 32, v36
	v_subrev_u32_e32 v36, 28, v42
	v_lshlrev_b64 v[36:37], v36, v[20:21]
	v_lshrrev_b32_e32 v40, 3, v32
	v_sub_u32_e32 v20, 29, v42
	v_and_b32_e32 v36, 7, v36
	v_cmp_gt_u32_e32 vcc, 8, v32
	v_cndmask_b32_e32 v20, v40, v20, vcc
	v_cndmask_b32_e32 v32, v38, v36, vcc
	v_lshlrev_b32_e32 v36, 16, v18
	v_lshlrev_b32_e32 v32, 20, v32
	v_and_b32_e32 v36, 0x80000000, v36
	v_lshl_add_u32 v20, v20, 23, v33
	v_or3_b32 v36, v36, v20, v32
.LBB668_49:                             ;   in Loop: Header=BB668_15 Depth=1
	s_or_b64 exec, exec, s[10:11]
.LBB668_50:                             ;   in Loop: Header=BB668_15 Depth=1
	s_or_b64 exec, exec, s[6:7]
.LBB668_51:                             ;   in Loop: Header=BB668_15 Depth=1
	s_or_b64 exec, exec, s[4:5]
	v_lshrrev_b32_e32 v20, 16, v18
	v_cmp_ne_u16_sdwa s[6:7], v20, v29 src0_sel:BYTE_0 src1_sel:DWORD
	s_and_saveexec_b64 s[4:5], s[6:7]
	s_cbranch_execz .LBB668_57
; %bb.52:                               ;   in Loop: Header=BB668_15 Depth=1
	v_cmp_ne_u16_sdwa s[10:11], v20, s13 src0_sel:BYTE_0 src1_sel:DWORD
	v_bfrev_b32_e32 v30, 1
	s_and_saveexec_b64 s[6:7], s[10:11]
	s_cbranch_execz .LBB668_56
; %bb.53:                               ;   in Loop: Header=BB668_15 Depth=1
	v_bfe_u32 v32, v18, 16, 7
	v_cmp_ne_u32_e32 vcc, s14, v32
	v_mov_b32_e32 v30, 0x7f800001
	s_and_saveexec_b64 s[10:11], vcc
	s_cbranch_execz .LBB668_55
; %bb.54:                               ;   in Loop: Header=BB668_15 Depth=1
	v_and_b32_e32 v30, 7, v20
	v_ffbh_u32_e32 v38, v30
	v_min_u32_e32 v38, 32, v38
	v_subrev_u32_e32 v40, 28, v38
	v_lshlrev_b64 v[42:43], v40, v[20:21]
	v_lshrrev_b32_e32 v37, 3, v32
	v_sub_u32_e32 v38, 29, v38
	v_and_b32_e32 v40, 7, v42
	v_cmp_gt_u32_e32 vcc, 8, v32
	v_cndmask_b32_e32 v32, v37, v38, vcc
	v_cndmask_b32_e32 v30, v30, v40, vcc
	v_lshlrev_b32_e32 v20, 24, v20
	v_lshlrev_b32_e32 v30, 20, v30
	v_and_b32_e32 v20, 0x80000000, v20
	v_lshl_add_u32 v32, v32, 23, v33
	v_or3_b32 v30, v20, v32, v30
.LBB668_55:                             ;   in Loop: Header=BB668_15 Depth=1
	s_or_b64 exec, exec, s[10:11]
.LBB668_56:                             ;   in Loop: Header=BB668_15 Depth=1
	s_or_b64 exec, exec, s[6:7]
.LBB668_57:                             ;   in Loop: Header=BB668_15 Depth=1
	s_or_b64 exec, exec, s[4:5]
	v_cmp_lt_u32_e32 vcc, s15, v18
	v_mov_b32_e32 v32, 0
	v_mov_b32_e32 v37, 0
	s_and_saveexec_b64 s[4:5], vcc
	s_cbranch_execz .LBB668_63
; %bb.58:                               ;   in Loop: Header=BB668_15 Depth=1
	v_lshrrev_b32_e32 v20, 24, v18
	v_cmp_ne_u32_e32 vcc, s13, v20
	v_bfrev_b32_e32 v37, 1
	s_and_saveexec_b64 s[6:7], vcc
	s_cbranch_execz .LBB668_62
; %bb.59:                               ;   in Loop: Header=BB668_15 Depth=1
	v_bfe_u32 v18, v18, 24, 7
	v_cmp_ne_u32_e32 vcc, s14, v18
	v_mov_b32_e32 v37, 0x7f800001
	s_and_saveexec_b64 s[10:11], vcc
	s_cbranch_execz .LBB668_61
; %bb.60:                               ;   in Loop: Header=BB668_15 Depth=1
	v_and_b32_e32 v37, 7, v20
	v_ffbh_u32_e32 v40, v37
	v_min_u32_e32 v40, 32, v40
	v_subrev_u32_e32 v42, 28, v40
	v_lshlrev_b64 v[42:43], v42, v[20:21]
	v_lshrrev_b32_e32 v38, 3, v18
	v_sub_u32_e32 v40, 29, v40
	v_and_b32_e32 v42, 7, v42
	v_cmp_gt_u32_e32 vcc, 8, v18
	v_cndmask_b32_e32 v18, v38, v40, vcc
	v_cndmask_b32_e32 v37, v37, v42, vcc
	v_lshlrev_b32_e32 v20, 24, v20
	v_lshlrev_b32_e32 v37, 20, v37
	v_and_b32_e32 v20, 0x80000000, v20
	v_lshl_add_u32 v18, v18, 23, v33
	v_or3_b32 v37, v20, v18, v37
.LBB668_61:                             ;   in Loop: Header=BB668_15 Depth=1
	s_or_b64 exec, exec, s[10:11]
.LBB668_62:                             ;   in Loop: Header=BB668_15 Depth=1
	s_or_b64 exec, exec, s[6:7]
.LBB668_63:                             ;   in Loop: Header=BB668_15 Depth=1
	s_or_b64 exec, exec, s[4:5]
	v_cvt_pkrtz_f16_f32 v18, v19, v23
	v_cvt_pkrtz_f16_f32 v19, v21, v35
	;; [unrolled: 1-line block ×4, first 2 shown]
	s_waitcnt vmcnt(1)
	v_cmp_ne_u16_sdwa s[6:7], v28, v29 src0_sel:BYTE_0 src1_sel:DWORD
	v_mfma_f32_16x16x16f16 v[18:21], v[18:19], v[2:3], 0
	v_mfma_f32_16x16x16f16 v[18:21], v[34:35], v[4:5], v[18:21]
	s_and_saveexec_b64 s[4:5], s[6:7]
	s_cbranch_execz .LBB668_69
; %bb.64:                               ;   in Loop: Header=BB668_15 Depth=1
	v_cmp_ne_u16_sdwa s[10:11], v28, s13 src0_sel:BYTE_0 src1_sel:DWORD
	v_bfrev_b32_e32 v32, 1
	s_and_saveexec_b64 s[6:7], s[10:11]
	s_cbranch_execz .LBB668_68
; %bb.65:                               ;   in Loop: Header=BB668_15 Depth=1
	v_and_b32_e32 v23, 0x7f, v28
	v_cmp_ne_u32_e32 vcc, s14, v23
	v_mov_b32_e32 v32, 0x7f800001
	s_and_saveexec_b64 s[10:11], vcc
	s_cbranch_execz .LBB668_67
; %bb.66:                               ;   in Loop: Header=BB668_15 Depth=1
	v_and_b32_e32 v30, 7, v28
	v_ffbh_u32_e32 v34, v30
	v_min_u32_e32 v36, 32, v34
	v_subrev_u32_e32 v34, 28, v36
	v_lshlrev_b64 v[34:35], v34, v[28:29]
	v_lshrrev_b32_e32 v32, 3, v23
	v_sub_u32_e32 v35, 29, v36
	v_and_b32_e32 v34, 7, v34
	v_cmp_gt_u32_e32 vcc, 8, v23
	v_cndmask_b32_e32 v23, v32, v35, vcc
	v_cndmask_b32_e32 v30, v30, v34, vcc
	v_lshlrev_b32_e32 v32, 24, v28
	v_lshlrev_b32_e32 v30, 20, v30
	v_and_b32_e32 v32, 0x80000000, v32
	v_lshl_add_u32 v23, v23, 23, v33
	v_or3_b32 v32, v32, v23, v30
.LBB668_67:                             ;   in Loop: Header=BB668_15 Depth=1
	s_or_b64 exec, exec, s[10:11]
.LBB668_68:                             ;   in Loop: Header=BB668_15 Depth=1
	s_or_b64 exec, exec, s[6:7]
.LBB668_69:                             ;   in Loop: Header=BB668_15 Depth=1
	s_or_b64 exec, exec, s[4:5]
	v_lshrrev_b16_e32 v30, 8, v28
	v_cmp_ne_u16_e32 vcc, 0, v30
	v_mov_b32_e32 v34, 0
	v_mov_b32_e32 v35, 0
	s_and_saveexec_b64 s[4:5], vcc
	s_cbranch_execz .LBB668_75
; %bb.70:                               ;   in Loop: Header=BB668_15 Depth=1
	v_cmp_ne_u16_e32 vcc, s13, v30
	v_bfrev_b32_e32 v35, 1
	s_and_saveexec_b64 s[6:7], vcc
	s_cbranch_execz .LBB668_74
; %bb.71:                               ;   in Loop: Header=BB668_15 Depth=1
	v_and_b32_e32 v23, 0x7f, v30
	v_cmp_ne_u32_e32 vcc, s14, v23
	v_mov_b32_e32 v35, 0x7f800001
	s_and_saveexec_b64 s[10:11], vcc
	s_cbranch_execz .LBB668_73
; %bb.72:                               ;   in Loop: Header=BB668_15 Depth=1
	v_and_b32_e32 v35, 7, v30
	v_ffbh_u32_e32 v36, v35
	v_min_u32_e32 v40, 32, v36
	v_subrev_u32_e32 v36, 28, v40
	v_lshlrev_b64 v[36:37], v36, v[30:31]
	v_lshrrev_b32_e32 v38, 3, v23
	v_sub_u32_e32 v30, 29, v40
	v_and_b32_e32 v36, 7, v36
	v_cmp_gt_u32_e32 vcc, 8, v23
	v_cndmask_b32_e32 v23, v38, v30, vcc
	v_cndmask_b32_e32 v30, v35, v36, vcc
	v_lshlrev_b32_e32 v35, 16, v28
	v_lshlrev_b32_e32 v30, 20, v30
	v_and_b32_e32 v35, 0x80000000, v35
	v_lshl_add_u32 v23, v23, 23, v33
	v_or3_b32 v35, v35, v23, v30
.LBB668_73:                             ;   in Loop: Header=BB668_15 Depth=1
	s_or_b64 exec, exec, s[10:11]
.LBB668_74:                             ;   in Loop: Header=BB668_15 Depth=1
	s_or_b64 exec, exec, s[6:7]
.LBB668_75:                             ;   in Loop: Header=BB668_15 Depth=1
	s_or_b64 exec, exec, s[4:5]
	v_lshrrev_b32_e32 v30, 16, v28
	v_cmp_ne_u16_sdwa s[6:7], v30, v29 src0_sel:BYTE_0 src1_sel:DWORD
	s_and_saveexec_b64 s[4:5], s[6:7]
	s_cbranch_execz .LBB668_81
; %bb.76:                               ;   in Loop: Header=BB668_15 Depth=1
	v_cmp_ne_u16_sdwa s[10:11], v30, s13 src0_sel:BYTE_0 src1_sel:DWORD
	v_bfrev_b32_e32 v34, 1
	s_and_saveexec_b64 s[6:7], s[10:11]
	s_cbranch_execz .LBB668_80
; %bb.77:                               ;   in Loop: Header=BB668_15 Depth=1
	v_bfe_u32 v23, v28, 16, 7
	v_cmp_ne_u32_e32 vcc, s14, v23
	v_mov_b32_e32 v34, 0x7f800001
	s_and_saveexec_b64 s[10:11], vcc
	s_cbranch_execz .LBB668_79
; %bb.78:                               ;   in Loop: Header=BB668_15 Depth=1
	v_and_b32_e32 v34, 7, v30
	v_ffbh_u32_e32 v36, v34
	v_min_u32_e32 v40, 32, v36
	v_subrev_u32_e32 v36, 28, v40
	v_lshlrev_b64 v[36:37], v36, v[30:31]
	v_lshrrev_b32_e32 v38, 3, v23
	v_sub_u32_e32 v37, 29, v40
	v_and_b32_e32 v36, 7, v36
	v_cmp_gt_u32_e32 vcc, 8, v23
	v_cndmask_b32_e32 v23, v38, v37, vcc
	v_cndmask_b32_e32 v34, v34, v36, vcc
	v_lshlrev_b32_e32 v30, 24, v30
	v_lshlrev_b32_e32 v34, 20, v34
	v_and_b32_e32 v30, 0x80000000, v30
	v_lshl_add_u32 v23, v23, 23, v33
	v_or3_b32 v34, v30, v23, v34
.LBB668_79:                             ;   in Loop: Header=BB668_15 Depth=1
	s_or_b64 exec, exec, s[10:11]
.LBB668_80:                             ;   in Loop: Header=BB668_15 Depth=1
	s_or_b64 exec, exec, s[6:7]
.LBB668_81:                             ;   in Loop: Header=BB668_15 Depth=1
	s_or_b64 exec, exec, s[4:5]
	v_cmp_lt_u32_e32 vcc, s15, v28
	v_mov_b32_e32 v36, 0
	v_mov_b32_e32 v37, 0
	s_and_saveexec_b64 s[4:5], vcc
	s_cbranch_execz .LBB668_87
; %bb.82:                               ;   in Loop: Header=BB668_15 Depth=1
	v_lshrrev_b32_e32 v30, 24, v28
	v_cmp_ne_u32_e32 vcc, s13, v30
	v_bfrev_b32_e32 v37, 1
	s_and_saveexec_b64 s[6:7], vcc
	s_cbranch_execz .LBB668_86
; %bb.83:                               ;   in Loop: Header=BB668_15 Depth=1
	v_bfe_u32 v23, v28, 24, 7
	v_cmp_ne_u32_e32 vcc, s14, v23
	v_mov_b32_e32 v37, 0x7f800001
	s_and_saveexec_b64 s[10:11], vcc
	s_cbranch_execz .LBB668_85
; %bb.84:                               ;   in Loop: Header=BB668_15 Depth=1
	v_and_b32_e32 v28, 7, v30
	v_ffbh_u32_e32 v38, v28
	v_min_u32_e32 v38, 32, v38
	v_subrev_u32_e32 v40, 28, v38
	v_lshlrev_b64 v[42:43], v40, v[30:31]
	v_lshrrev_b32_e32 v37, 3, v23
	v_sub_u32_e32 v38, 29, v38
	v_and_b32_e32 v40, 7, v42
	v_cmp_gt_u32_e32 vcc, 8, v23
	v_cndmask_b32_e32 v23, v37, v38, vcc
	v_cndmask_b32_e32 v28, v28, v40, vcc
	v_lshlrev_b32_e32 v30, 24, v30
	v_lshlrev_b32_e32 v28, 20, v28
	v_and_b32_e32 v30, 0x80000000, v30
	v_lshl_add_u32 v23, v23, 23, v33
	v_or3_b32 v37, v30, v23, v28
.LBB668_85:                             ;   in Loop: Header=BB668_15 Depth=1
	s_or_b64 exec, exec, s[10:11]
.LBB668_86:                             ;   in Loop: Header=BB668_15 Depth=1
	s_or_b64 exec, exec, s[6:7]
.LBB668_87:                             ;   in Loop: Header=BB668_15 Depth=1
	s_or_b64 exec, exec, s[4:5]
	s_waitcnt vmcnt(0)
	v_cmp_ne_u16_sdwa s[6:7], v26, v29 src0_sel:BYTE_0 src1_sel:DWORD
	s_and_saveexec_b64 s[4:5], s[6:7]
	s_cbranch_execz .LBB668_93
; %bb.88:                               ;   in Loop: Header=BB668_15 Depth=1
	v_cmp_ne_u16_sdwa s[10:11], v26, s13 src0_sel:BYTE_0 src1_sel:DWORD
	v_bfrev_b32_e32 v36, 1
	s_and_saveexec_b64 s[6:7], s[10:11]
	s_cbranch_execz .LBB668_92
; %bb.89:                               ;   in Loop: Header=BB668_15 Depth=1
	v_and_b32_e32 v23, 0x7f, v26
	v_cmp_ne_u32_e32 vcc, s14, v23
	v_mov_b32_e32 v36, 0x7f800001
	s_and_saveexec_b64 s[10:11], vcc
	s_cbranch_execz .LBB668_91
; %bb.90:                               ;   in Loop: Header=BB668_15 Depth=1
	v_and_b32_e32 v28, 7, v26
	v_ffbh_u32_e32 v36, v28
	v_min_u32_e32 v36, 32, v36
	v_subrev_u32_e32 v38, 28, v36
	v_lshlrev_b64 v[42:43], v38, v[26:27]
	v_lshrrev_b32_e32 v30, 3, v23
	v_sub_u32_e32 v36, 29, v36
	v_and_b32_e32 v38, 7, v42
	v_cmp_gt_u32_e32 vcc, 8, v23
	v_cndmask_b32_e32 v23, v30, v36, vcc
	v_cndmask_b32_e32 v28, v28, v38, vcc
	v_lshlrev_b32_e32 v30, 24, v26
	v_lshlrev_b32_e32 v28, 20, v28
	v_and_b32_e32 v30, 0x80000000, v30
	v_lshl_add_u32 v23, v23, 23, v33
	v_or3_b32 v36, v30, v23, v28
.LBB668_91:                             ;   in Loop: Header=BB668_15 Depth=1
	s_or_b64 exec, exec, s[10:11]
.LBB668_92:                             ;   in Loop: Header=BB668_15 Depth=1
	s_or_b64 exec, exec, s[6:7]
.LBB668_93:                             ;   in Loop: Header=BB668_15 Depth=1
	s_or_b64 exec, exec, s[4:5]
	v_lshrrev_b16_e32 v28, 8, v26
	v_cmp_ne_u16_e32 vcc, 0, v28
	v_mov_b32_e32 v38, 0
	v_mov_b32_e32 v40, 0
	s_and_saveexec_b64 s[4:5], vcc
	s_cbranch_execz .LBB668_99
; %bb.94:                               ;   in Loop: Header=BB668_15 Depth=1
	v_cmp_ne_u16_e32 vcc, s13, v28
	v_bfrev_b32_e32 v40, 1
	s_and_saveexec_b64 s[6:7], vcc
	s_cbranch_execz .LBB668_98
; %bb.95:                               ;   in Loop: Header=BB668_15 Depth=1
	v_and_b32_e32 v23, 0x7f, v28
	v_cmp_ne_u32_e32 vcc, s14, v23
	v_mov_b32_e32 v40, 0x7f800001
	s_and_saveexec_b64 s[10:11], vcc
	s_cbranch_execz .LBB668_97
; %bb.96:                               ;   in Loop: Header=BB668_15 Depth=1
	v_and_b32_e32 v30, 7, v28
	v_ffbh_u32_e32 v42, v30
	v_min_u32_e32 v44, 32, v42
	v_subrev_u32_e32 v42, 28, v44
	v_lshlrev_b64 v[42:43], v42, v[28:29]
	v_lshrrev_b32_e32 v40, 3, v23
	v_sub_u32_e32 v28, 29, v44
	v_and_b32_e32 v42, 7, v42
	v_cmp_gt_u32_e32 vcc, 8, v23
	v_cndmask_b32_e32 v23, v40, v28, vcc
	v_cndmask_b32_e32 v28, v30, v42, vcc
	v_lshlrev_b32_e32 v30, 16, v26
	v_lshlrev_b32_e32 v28, 20, v28
	v_and_b32_e32 v30, 0x80000000, v30
	v_lshl_add_u32 v23, v23, 23, v33
	v_or3_b32 v40, v30, v23, v28
.LBB668_97:                             ;   in Loop: Header=BB668_15 Depth=1
	s_or_b64 exec, exec, s[10:11]
.LBB668_98:                             ;   in Loop: Header=BB668_15 Depth=1
	s_or_b64 exec, exec, s[6:7]
.LBB668_99:                             ;   in Loop: Header=BB668_15 Depth=1
	s_or_b64 exec, exec, s[4:5]
	v_lshrrev_b32_e32 v28, 16, v26
	v_cmp_ne_u16_sdwa s[6:7], v28, v29 src0_sel:BYTE_0 src1_sel:DWORD
	s_and_saveexec_b64 s[4:5], s[6:7]
	s_cbranch_execz .LBB668_105
; %bb.100:                              ;   in Loop: Header=BB668_15 Depth=1
	v_cmp_ne_u16_sdwa s[10:11], v28, s13 src0_sel:BYTE_0 src1_sel:DWORD
	v_bfrev_b32_e32 v38, 1
	s_and_saveexec_b64 s[6:7], s[10:11]
	s_cbranch_execz .LBB668_104
; %bb.101:                              ;   in Loop: Header=BB668_15 Depth=1
	v_bfe_u32 v23, v26, 16, 7
	v_cmp_ne_u32_e32 vcc, s14, v23
	v_mov_b32_e32 v38, 0x7f800001
	s_and_saveexec_b64 s[10:11], vcc
	s_cbranch_execz .LBB668_103
; %bb.102:                              ;   in Loop: Header=BB668_15 Depth=1
	v_and_b32_e32 v30, 7, v28
	v_ffbh_u32_e32 v42, v30
	v_min_u32_e32 v44, 32, v42
	v_subrev_u32_e32 v42, 28, v44
	v_lshlrev_b64 v[42:43], v42, v[28:29]
	v_lshrrev_b32_e32 v38, 3, v23
	v_sub_u32_e32 v43, 29, v44
	v_and_b32_e32 v42, 7, v42
	v_cmp_gt_u32_e32 vcc, 8, v23
	v_cndmask_b32_e32 v23, v38, v43, vcc
	v_cndmask_b32_e32 v30, v30, v42, vcc
	v_lshlrev_b32_e32 v28, 24, v28
	v_lshlrev_b32_e32 v30, 20, v30
	v_and_b32_e32 v28, 0x80000000, v28
	v_lshl_add_u32 v23, v23, 23, v33
	v_or3_b32 v38, v28, v23, v30
.LBB668_103:                            ;   in Loop: Header=BB668_15 Depth=1
	s_or_b64 exec, exec, s[10:11]
.LBB668_104:                            ;   in Loop: Header=BB668_15 Depth=1
	s_or_b64 exec, exec, s[6:7]
.LBB668_105:                            ;   in Loop: Header=BB668_15 Depth=1
	s_or_b64 exec, exec, s[4:5]
	v_cmp_lt_u32_e32 vcc, s15, v26
	v_mov_b32_e32 v23, 0
	v_mov_b32_e32 v42, 0
	s_and_saveexec_b64 s[4:5], vcc
	s_cbranch_execz .LBB668_111
; %bb.106:                              ;   in Loop: Header=BB668_15 Depth=1
	v_lshrrev_b32_e32 v28, 24, v26
	v_cmp_ne_u32_e32 vcc, s13, v28
	v_bfrev_b32_e32 v42, 1
	s_and_saveexec_b64 s[6:7], vcc
	s_cbranch_execz .LBB668_110
; %bb.107:                              ;   in Loop: Header=BB668_15 Depth=1
	v_bfe_u32 v26, v26, 24, 7
	v_cmp_ne_u32_e32 vcc, s14, v26
	v_mov_b32_e32 v42, 0x7f800001
	s_and_saveexec_b64 s[10:11], vcc
	s_cbranch_execz .LBB668_109
; %bb.108:                              ;   in Loop: Header=BB668_15 Depth=1
	v_and_b32_e32 v30, 7, v28
	v_ffbh_u32_e32 v42, v30
	v_min_u32_e32 v45, 32, v42
	v_subrev_u32_e32 v42, 28, v45
	v_lshlrev_b64 v[42:43], v42, v[28:29]
	v_lshrrev_b32_e32 v44, 3, v26
	v_sub_u32_e32 v43, 29, v45
	v_and_b32_e32 v42, 7, v42
	v_cmp_gt_u32_e32 vcc, 8, v26
	v_cndmask_b32_e32 v26, v44, v43, vcc
	v_cndmask_b32_e32 v30, v30, v42, vcc
	v_lshlrev_b32_e32 v28, 24, v28
	v_lshlrev_b32_e32 v30, 20, v30
	v_and_b32_e32 v28, 0x80000000, v28
	v_lshl_add_u32 v26, v26, 23, v33
	v_or3_b32 v42, v28, v26, v30
.LBB668_109:                            ;   in Loop: Header=BB668_15 Depth=1
	s_or_b64 exec, exec, s[10:11]
.LBB668_110:                            ;   in Loop: Header=BB668_15 Depth=1
	s_or_b64 exec, exec, s[6:7]
.LBB668_111:                            ;   in Loop: Header=BB668_15 Depth=1
	s_or_b64 exec, exec, s[4:5]
	v_cvt_pkrtz_f16_f32 v44, v32, v35
	buffer_load_dword v32, v27, s[0:3], 0 offen offset:16
	buffer_load_dword v30, v27, s[0:3], 0 offen offset:20
	;; [unrolled: 1-line block ×4, first 2 shown]
	v_cvt_pkrtz_f16_f32 v45, v34, v37
	v_cvt_pkrtz_f16_f32 v34, v36, v40
	;; [unrolled: 1-line block ×3, first 2 shown]
	v_mfma_f32_16x16x16f16 v[18:21], v[44:45], v[6:7], v[18:21]
	s_waitcnt vmcnt(3)
	v_cmp_ne_u16_sdwa s[6:7], v32, v29 src0_sel:BYTE_0 src1_sel:DWORD
	v_mfma_f32_16x16x16f16 v[18:21], v[34:35], v[8:9], v[18:21]
	s_and_saveexec_b64 s[4:5], s[6:7]
	s_cbranch_execz .LBB668_117
; %bb.112:                              ;   in Loop: Header=BB668_15 Depth=1
	v_cmp_ne_u16_sdwa s[10:11], v32, s13 src0_sel:BYTE_0 src1_sel:DWORD
	v_bfrev_b32_e32 v23, 1
	s_and_saveexec_b64 s[6:7], s[10:11]
	s_cbranch_execz .LBB668_116
; %bb.113:                              ;   in Loop: Header=BB668_15 Depth=1
	v_and_b32_e32 v34, 0x7f, v32
	v_cmp_ne_u32_e32 vcc, s14, v34
	v_mov_b32_e32 v23, 0x7f800001
	s_and_saveexec_b64 s[10:11], vcc
	s_cbranch_execz .LBB668_115
; %bb.114:                              ;   in Loop: Header=BB668_15 Depth=1
	v_and_b32_e32 v23, 7, v32
	v_ffbh_u32_e32 v36, v23
	v_min_u32_e32 v38, 32, v36
	v_subrev_u32_e32 v36, 28, v38
	v_lshlrev_b64 v[36:37], v36, v[32:33]
	v_lshrrev_b32_e32 v35, 3, v34
	v_sub_u32_e32 v37, 29, v38
	v_and_b32_e32 v36, 7, v36
	v_cmp_gt_u32_e32 vcc, 8, v34
	v_cndmask_b32_e32 v34, v35, v37, vcc
	v_cndmask_b32_e32 v23, v23, v36, vcc
	v_lshlrev_b32_e32 v35, 24, v32
	v_lshlrev_b32_e32 v23, 20, v23
	v_and_b32_e32 v35, 0x80000000, v35
	v_lshl_add_u32 v34, v34, 23, v33
	v_or3_b32 v23, v35, v34, v23
.LBB668_115:                            ;   in Loop: Header=BB668_15 Depth=1
	s_or_b64 exec, exec, s[10:11]
.LBB668_116:                            ;   in Loop: Header=BB668_15 Depth=1
	s_or_b64 exec, exec, s[6:7]
.LBB668_117:                            ;   in Loop: Header=BB668_15 Depth=1
	s_or_b64 exec, exec, s[4:5]
	v_lshrrev_b16_e32 v34, 8, v32
	v_cmp_ne_u16_e32 vcc, 0, v34
	v_mov_b32_e32 v35, 0
	v_mov_b32_e32 v36, 0
	s_and_saveexec_b64 s[4:5], vcc
	s_cbranch_execz .LBB668_123
; %bb.118:                              ;   in Loop: Header=BB668_15 Depth=1
	v_cmp_ne_u16_e32 vcc, s13, v34
	v_bfrev_b32_e32 v36, 1
	s_and_saveexec_b64 s[6:7], vcc
	s_cbranch_execz .LBB668_122
; %bb.119:                              ;   in Loop: Header=BB668_15 Depth=1
	v_and_b32_e32 v37, 0x7f, v34
	v_cmp_ne_u32_e32 vcc, s14, v37
	v_mov_b32_e32 v36, 0x7f800001
	s_and_saveexec_b64 s[10:11], vcc
	s_cbranch_execz .LBB668_121
; %bb.120:                              ;   in Loop: Header=BB668_15 Depth=1
	v_and_b32_e32 v36, 7, v34
	v_ffbh_u32_e32 v40, v36
	v_min_u32_e32 v40, 32, v40
	v_subrev_u32_e32 v42, 28, v40
	v_lshlrev_b64 v[42:43], v42, v[34:35]
	v_lshrrev_b32_e32 v38, 3, v37
	v_sub_u32_e32 v34, 29, v40
	v_and_b32_e32 v40, 7, v42
	v_cmp_gt_u32_e32 vcc, 8, v37
	v_cndmask_b32_e32 v34, v38, v34, vcc
	v_cndmask_b32_e32 v36, v36, v40, vcc
	v_lshlrev_b32_e32 v37, 16, v32
	v_lshlrev_b32_e32 v36, 20, v36
	v_and_b32_e32 v37, 0x80000000, v37
	v_lshl_add_u32 v34, v34, 23, v33
	v_or3_b32 v36, v37, v34, v36
.LBB668_121:                            ;   in Loop: Header=BB668_15 Depth=1
	s_or_b64 exec, exec, s[10:11]
.LBB668_122:                            ;   in Loop: Header=BB668_15 Depth=1
	s_or_b64 exec, exec, s[6:7]
.LBB668_123:                            ;   in Loop: Header=BB668_15 Depth=1
	s_or_b64 exec, exec, s[4:5]
	v_lshrrev_b32_e32 v34, 16, v32
	v_cmp_ne_u16_sdwa s[6:7], v34, v29 src0_sel:BYTE_0 src1_sel:DWORD
	s_and_saveexec_b64 s[4:5], s[6:7]
	s_cbranch_execz .LBB668_129
; %bb.124:                              ;   in Loop: Header=BB668_15 Depth=1
	v_cmp_ne_u16_sdwa s[10:11], v34, s13 src0_sel:BYTE_0 src1_sel:DWORD
	v_bfrev_b32_e32 v35, 1
	s_and_saveexec_b64 s[6:7], s[10:11]
	s_cbranch_execz .LBB668_128
; %bb.125:                              ;   in Loop: Header=BB668_15 Depth=1
	v_bfe_u32 v37, v32, 16, 7
	v_cmp_ne_u32_e32 vcc, s14, v37
	v_mov_b32_e32 v35, 0x7f800001
	s_and_saveexec_b64 s[10:11], vcc
	s_cbranch_execz .LBB668_127
; %bb.126:                              ;   in Loop: Header=BB668_15 Depth=1
	v_and_b32_e32 v35, 7, v34
	v_ffbh_u32_e32 v40, v35
	v_min_u32_e32 v40, 32, v40
	v_subrev_u32_e32 v42, 28, v40
	v_lshlrev_b64 v[42:43], v42, v[34:35]
	v_lshrrev_b32_e32 v38, 3, v37
	v_sub_u32_e32 v40, 29, v40
	v_and_b32_e32 v42, 7, v42
	v_cmp_gt_u32_e32 vcc, 8, v37
	v_cndmask_b32_e32 v37, v38, v40, vcc
	v_cndmask_b32_e32 v35, v35, v42, vcc
	v_lshlrev_b32_e32 v34, 24, v34
	v_lshlrev_b32_e32 v35, 20, v35
	v_and_b32_e32 v34, 0x80000000, v34
	v_lshl_add_u32 v37, v37, 23, v33
	v_or3_b32 v35, v34, v37, v35
.LBB668_127:                            ;   in Loop: Header=BB668_15 Depth=1
	s_or_b64 exec, exec, s[10:11]
.LBB668_128:                            ;   in Loop: Header=BB668_15 Depth=1
	s_or_b64 exec, exec, s[6:7]
.LBB668_129:                            ;   in Loop: Header=BB668_15 Depth=1
	s_or_b64 exec, exec, s[4:5]
	v_cmp_lt_u32_e32 vcc, s15, v32
	v_mov_b32_e32 v37, 0
	v_mov_b32_e32 v38, 0
	s_and_saveexec_b64 s[4:5], vcc
	s_cbranch_execz .LBB668_135
; %bb.130:                              ;   in Loop: Header=BB668_15 Depth=1
	v_lshrrev_b32_e32 v34, 24, v32
	v_cmp_ne_u32_e32 vcc, s13, v34
	v_bfrev_b32_e32 v38, 1
	s_and_saveexec_b64 s[6:7], vcc
	s_cbranch_execz .LBB668_134
; %bb.131:                              ;   in Loop: Header=BB668_15 Depth=1
	v_bfe_u32 v32, v32, 24, 7
	v_cmp_ne_u32_e32 vcc, s14, v32
	v_mov_b32_e32 v38, 0x7f800001
	s_and_saveexec_b64 s[10:11], vcc
	s_cbranch_execz .LBB668_133
; %bb.132:                              ;   in Loop: Header=BB668_15 Depth=1
	v_and_b32_e32 v38, 7, v34
	v_ffbh_u32_e32 v42, v38
	v_min_u32_e32 v44, 32, v42
	v_subrev_u32_e32 v42, 28, v44
	v_lshlrev_b64 v[42:43], v42, v[34:35]
	v_lshrrev_b32_e32 v40, 3, v32
	v_sub_u32_e32 v43, 29, v44
	v_and_b32_e32 v42, 7, v42
	v_cmp_gt_u32_e32 vcc, 8, v32
	v_cndmask_b32_e32 v32, v40, v43, vcc
	v_cndmask_b32_e32 v38, v38, v42, vcc
	v_lshlrev_b32_e32 v34, 24, v34
	v_lshlrev_b32_e32 v38, 20, v38
	v_and_b32_e32 v34, 0x80000000, v34
	v_lshl_add_u32 v32, v32, 23, v33
	v_or3_b32 v38, v34, v32, v38
.LBB668_133:                            ;   in Loop: Header=BB668_15 Depth=1
	s_or_b64 exec, exec, s[10:11]
.LBB668_134:                            ;   in Loop: Header=BB668_15 Depth=1
	s_or_b64 exec, exec, s[6:7]
.LBB668_135:                            ;   in Loop: Header=BB668_15 Depth=1
	s_or_b64 exec, exec, s[4:5]
	s_waitcnt vmcnt(2)
	v_cmp_ne_u16_sdwa s[6:7], v30, v29 src0_sel:BYTE_0 src1_sel:DWORD
	s_and_saveexec_b64 s[4:5], s[6:7]
	s_cbranch_execz .LBB668_141
; %bb.136:                              ;   in Loop: Header=BB668_15 Depth=1
	v_cmp_ne_u16_sdwa s[10:11], v30, s13 src0_sel:BYTE_0 src1_sel:DWORD
	v_bfrev_b32_e32 v37, 1
	s_and_saveexec_b64 s[6:7], s[10:11]
	s_cbranch_execz .LBB668_140
; %bb.137:                              ;   in Loop: Header=BB668_15 Depth=1
	v_and_b32_e32 v32, 0x7f, v30
	v_cmp_ne_u32_e32 vcc, s14, v32
	v_mov_b32_e32 v37, 0x7f800001
	s_and_saveexec_b64 s[10:11], vcc
	s_cbranch_execz .LBB668_139
; %bb.138:                              ;   in Loop: Header=BB668_15 Depth=1
	v_and_b32_e32 v34, 7, v30
	v_ffbh_u32_e32 v40, v34
	v_min_u32_e32 v40, 32, v40
	v_subrev_u32_e32 v42, 28, v40
	v_lshlrev_b64 v[42:43], v42, v[30:31]
	v_lshrrev_b32_e32 v37, 3, v32
	v_sub_u32_e32 v40, 29, v40
	v_and_b32_e32 v42, 7, v42
	v_cmp_gt_u32_e32 vcc, 8, v32
	v_cndmask_b32_e32 v32, v37, v40, vcc
	v_cndmask_b32_e32 v34, v34, v42, vcc
	v_lshlrev_b32_e32 v37, 24, v30
	v_lshlrev_b32_e32 v34, 20, v34
	v_and_b32_e32 v37, 0x80000000, v37
	v_lshl_add_u32 v32, v32, 23, v33
	v_or3_b32 v37, v37, v32, v34
.LBB668_139:                            ;   in Loop: Header=BB668_15 Depth=1
	s_or_b64 exec, exec, s[10:11]
.LBB668_140:                            ;   in Loop: Header=BB668_15 Depth=1
	s_or_b64 exec, exec, s[6:7]
.LBB668_141:                            ;   in Loop: Header=BB668_15 Depth=1
	s_or_b64 exec, exec, s[4:5]
	v_lshrrev_b16_e32 v32, 8, v30
	v_cmp_ne_u16_e32 vcc, 0, v32
	v_mov_b32_e32 v40, 0
	v_mov_b32_e32 v42, 0
	s_and_saveexec_b64 s[4:5], vcc
	s_cbranch_execz .LBB668_147
; %bb.142:                              ;   in Loop: Header=BB668_15 Depth=1
	v_cmp_ne_u16_e32 vcc, s13, v32
	v_bfrev_b32_e32 v42, 1
	s_and_saveexec_b64 s[6:7], vcc
	s_cbranch_execz .LBB668_146
; %bb.143:                              ;   in Loop: Header=BB668_15 Depth=1
	v_and_b32_e32 v34, 0x7f, v32
	v_cmp_ne_u32_e32 vcc, s14, v34
	v_mov_b32_e32 v42, 0x7f800001
	s_and_saveexec_b64 s[10:11], vcc
	s_cbranch_execz .LBB668_145
; %bb.144:                              ;   in Loop: Header=BB668_15 Depth=1
	v_and_b32_e32 v44, 7, v32
	v_ffbh_u32_e32 v42, v44
	v_min_u32_e32 v46, 32, v42
	v_subrev_u32_e32 v42, 28, v46
	v_lshlrev_b64 v[42:43], v42, v[32:33]
	v_lshrrev_b32_e32 v45, 3, v34
	v_sub_u32_e32 v32, 29, v46
	v_and_b32_e32 v42, 7, v42
	v_cmp_gt_u32_e32 vcc, 8, v34
	v_cndmask_b32_e32 v32, v45, v32, vcc
	v_cndmask_b32_e32 v34, v44, v42, vcc
	v_lshlrev_b32_e32 v42, 16, v30
	v_lshlrev_b32_e32 v34, 20, v34
	v_and_b32_e32 v42, 0x80000000, v42
	v_lshl_add_u32 v32, v32, 23, v33
	v_or3_b32 v42, v42, v32, v34
.LBB668_145:                            ;   in Loop: Header=BB668_15 Depth=1
	s_or_b64 exec, exec, s[10:11]
.LBB668_146:                            ;   in Loop: Header=BB668_15 Depth=1
	s_or_b64 exec, exec, s[6:7]
.LBB668_147:                            ;   in Loop: Header=BB668_15 Depth=1
	s_or_b64 exec, exec, s[4:5]
	v_lshrrev_b32_e32 v32, 16, v30
	v_cmp_ne_u16_sdwa s[6:7], v32, v29 src0_sel:BYTE_0 src1_sel:DWORD
	s_and_saveexec_b64 s[4:5], s[6:7]
	s_cbranch_execz .LBB668_153
; %bb.148:                              ;   in Loop: Header=BB668_15 Depth=1
	v_cmp_ne_u16_sdwa s[10:11], v32, s13 src0_sel:BYTE_0 src1_sel:DWORD
	v_bfrev_b32_e32 v40, 1
	s_and_saveexec_b64 s[6:7], s[10:11]
	s_cbranch_execz .LBB668_152
; %bb.149:                              ;   in Loop: Header=BB668_15 Depth=1
	v_bfe_u32 v34, v30, 16, 7
	v_cmp_ne_u32_e32 vcc, s14, v34
	v_mov_b32_e32 v40, 0x7f800001
	s_and_saveexec_b64 s[10:11], vcc
	s_cbranch_execz .LBB668_151
; %bb.150:                              ;   in Loop: Header=BB668_15 Depth=1
	v_and_b32_e32 v40, 7, v32
	v_ffbh_u32_e32 v44, v40
	v_min_u32_e32 v46, 32, v44
	v_subrev_u32_e32 v44, 28, v46
	v_lshlrev_b64 v[44:45], v44, v[32:33]
	v_lshrrev_b32_e32 v43, 3, v34
	v_sub_u32_e32 v45, 29, v46
	v_and_b32_e32 v44, 7, v44
	v_cmp_gt_u32_e32 vcc, 8, v34
	v_cndmask_b32_e32 v34, v43, v45, vcc
	v_cndmask_b32_e32 v40, v40, v44, vcc
	v_lshlrev_b32_e32 v32, 24, v32
	v_lshlrev_b32_e32 v40, 20, v40
	v_and_b32_e32 v32, 0x80000000, v32
	v_lshl_add_u32 v34, v34, 23, v33
	v_or3_b32 v40, v32, v34, v40
.LBB668_151:                            ;   in Loop: Header=BB668_15 Depth=1
	s_or_b64 exec, exec, s[10:11]
.LBB668_152:                            ;   in Loop: Header=BB668_15 Depth=1
	s_or_b64 exec, exec, s[6:7]
.LBB668_153:                            ;   in Loop: Header=BB668_15 Depth=1
	s_or_b64 exec, exec, s[4:5]
	v_cmp_lt_u32_e32 vcc, s15, v30
	v_mov_b32_e32 v34, 0
	v_mov_b32_e32 v43, 0
	s_and_saveexec_b64 s[4:5], vcc
	s_cbranch_execz .LBB668_159
; %bb.154:                              ;   in Loop: Header=BB668_15 Depth=1
	v_lshrrev_b32_e32 v32, 24, v30
	v_cmp_ne_u32_e32 vcc, s13, v32
	v_bfrev_b32_e32 v43, 1
	s_and_saveexec_b64 s[6:7], vcc
	s_cbranch_execz .LBB668_158
; %bb.155:                              ;   in Loop: Header=BB668_15 Depth=1
	v_bfe_u32 v30, v30, 24, 7
	v_cmp_ne_u32_e32 vcc, s14, v30
	v_mov_b32_e32 v43, 0x7f800001
	s_and_saveexec_b64 s[10:11], vcc
	s_cbranch_execz .LBB668_157
; %bb.156:                              ;   in Loop: Header=BB668_15 Depth=1
	v_and_b32_e32 v43, 7, v32
	v_ffbh_u32_e32 v44, v43
	v_min_u32_e32 v47, 32, v44
	v_subrev_u32_e32 v44, 28, v47
	v_lshlrev_b64 v[44:45], v44, v[32:33]
	v_lshrrev_b32_e32 v46, 3, v30
	v_sub_u32_e32 v45, 29, v47
	v_and_b32_e32 v44, 7, v44
	v_cmp_gt_u32_e32 vcc, 8, v30
	v_cndmask_b32_e32 v30, v46, v45, vcc
	v_cndmask_b32_e32 v43, v43, v44, vcc
	v_lshlrev_b32_e32 v32, 24, v32
	v_lshlrev_b32_e32 v43, 20, v43
	v_and_b32_e32 v32, 0x80000000, v32
	v_lshl_add_u32 v30, v30, 23, v33
	v_or3_b32 v43, v32, v30, v43
.LBB668_157:                            ;   in Loop: Header=BB668_15 Depth=1
	s_or_b64 exec, exec, s[10:11]
.LBB668_158:                            ;   in Loop: Header=BB668_15 Depth=1
	s_or_b64 exec, exec, s[6:7]
.LBB668_159:                            ;   in Loop: Header=BB668_15 Depth=1
	s_or_b64 exec, exec, s[4:5]
	v_cvt_pkrtz_f16_f32 v44, v23, v36
	v_cvt_pkrtz_f16_f32 v45, v35, v38
	;; [unrolled: 1-line block ×4, first 2 shown]
	s_waitcnt vmcnt(1)
	v_cmp_ne_u16_sdwa s[6:7], v28, v29 src0_sel:BYTE_0 src1_sel:DWORD
	v_mfma_f32_16x16x16f16 v[18:21], v[44:45], v[10:11], v[18:21]
	v_mfma_f32_16x16x16f16 v[18:21], v[36:37], v[12:13], v[18:21]
	s_and_saveexec_b64 s[4:5], s[6:7]
	s_cbranch_execz .LBB668_165
; %bb.160:                              ;   in Loop: Header=BB668_15 Depth=1
	v_cmp_ne_u16_sdwa s[10:11], v28, s13 src0_sel:BYTE_0 src1_sel:DWORD
	v_bfrev_b32_e32 v34, 1
	s_and_saveexec_b64 s[6:7], s[10:11]
	s_cbranch_execz .LBB668_164
; %bb.161:                              ;   in Loop: Header=BB668_15 Depth=1
	v_and_b32_e32 v23, 0x7f, v28
	v_cmp_ne_u32_e32 vcc, s14, v23
	v_mov_b32_e32 v34, 0x7f800001
	s_and_saveexec_b64 s[10:11], vcc
	s_cbranch_execz .LBB668_163
; %bb.162:                              ;   in Loop: Header=BB668_15 Depth=1
	v_and_b32_e32 v30, 7, v28
	v_ffbh_u32_e32 v34, v30
	v_min_u32_e32 v36, 32, v34
	v_subrev_u32_e32 v34, 28, v36
	v_lshlrev_b64 v[34:35], v34, v[28:29]
	v_lshrrev_b32_e32 v32, 3, v23
	v_sub_u32_e32 v35, 29, v36
	v_and_b32_e32 v34, 7, v34
	v_cmp_gt_u32_e32 vcc, 8, v23
	v_cndmask_b32_e32 v23, v32, v35, vcc
	v_cndmask_b32_e32 v30, v30, v34, vcc
	v_lshlrev_b32_e32 v32, 24, v28
	v_lshlrev_b32_e32 v30, 20, v30
	v_and_b32_e32 v32, 0x80000000, v32
	v_lshl_add_u32 v23, v23, 23, v33
	v_or3_b32 v34, v32, v23, v30
.LBB668_163:                            ;   in Loop: Header=BB668_15 Depth=1
	s_or_b64 exec, exec, s[10:11]
.LBB668_164:                            ;   in Loop: Header=BB668_15 Depth=1
	s_or_b64 exec, exec, s[6:7]
.LBB668_165:                            ;   in Loop: Header=BB668_15 Depth=1
	s_or_b64 exec, exec, s[4:5]
	v_lshrrev_b16_e32 v30, 8, v28
	v_cmp_ne_u16_e32 vcc, 0, v30
	v_mov_b32_e32 v23, 0
	v_mov_b32_e32 v32, 0
	s_and_saveexec_b64 s[4:5], vcc
	s_cbranch_execz .LBB668_171
; %bb.166:                              ;   in Loop: Header=BB668_15 Depth=1
	v_cmp_ne_u16_e32 vcc, s13, v30
	v_bfrev_b32_e32 v32, 1
	s_and_saveexec_b64 s[6:7], vcc
	s_cbranch_execz .LBB668_170
; %bb.167:                              ;   in Loop: Header=BB668_15 Depth=1
	v_and_b32_e32 v35, 0x7f, v30
	v_cmp_ne_u32_e32 vcc, s14, v35
	v_mov_b32_e32 v32, 0x7f800001
	s_and_saveexec_b64 s[10:11], vcc
	s_cbranch_execz .LBB668_169
; %bb.168:                              ;   in Loop: Header=BB668_15 Depth=1
	v_and_b32_e32 v32, 7, v30
	v_ffbh_u32_e32 v36, v32
	v_min_u32_e32 v40, 32, v36
	v_subrev_u32_e32 v36, 28, v40
	v_lshlrev_b64 v[36:37], v36, v[30:31]
	v_lshrrev_b32_e32 v38, 3, v35
	v_sub_u32_e32 v30, 29, v40
	v_and_b32_e32 v36, 7, v36
	v_cmp_gt_u32_e32 vcc, 8, v35
	v_cndmask_b32_e32 v30, v38, v30, vcc
	v_cndmask_b32_e32 v32, v32, v36, vcc
	v_lshlrev_b32_e32 v35, 16, v28
	v_lshlrev_b32_e32 v32, 20, v32
	v_and_b32_e32 v35, 0x80000000, v35
	v_lshl_add_u32 v30, v30, 23, v33
	v_or3_b32 v32, v35, v30, v32
.LBB668_169:                            ;   in Loop: Header=BB668_15 Depth=1
	s_or_b64 exec, exec, s[10:11]
.LBB668_170:                            ;   in Loop: Header=BB668_15 Depth=1
	s_or_b64 exec, exec, s[6:7]
.LBB668_171:                            ;   in Loop: Header=BB668_15 Depth=1
	s_or_b64 exec, exec, s[4:5]
	v_lshrrev_b32_e32 v30, 16, v28
	v_cmp_ne_u16_sdwa s[6:7], v30, v29 src0_sel:BYTE_0 src1_sel:DWORD
	s_and_saveexec_b64 s[4:5], s[6:7]
	s_cbranch_execz .LBB668_177
; %bb.172:                              ;   in Loop: Header=BB668_15 Depth=1
	v_cmp_ne_u16_sdwa s[10:11], v30, s13 src0_sel:BYTE_0 src1_sel:DWORD
	v_bfrev_b32_e32 v23, 1
	s_and_saveexec_b64 s[6:7], s[10:11]
	s_cbranch_execz .LBB668_176
; %bb.173:                              ;   in Loop: Header=BB668_15 Depth=1
	v_bfe_u32 v35, v28, 16, 7
	v_cmp_ne_u32_e32 vcc, s14, v35
	v_mov_b32_e32 v23, 0x7f800001
	s_and_saveexec_b64 s[10:11], vcc
	s_cbranch_execz .LBB668_175
; %bb.174:                              ;   in Loop: Header=BB668_15 Depth=1
	v_and_b32_e32 v23, 7, v30
	v_ffbh_u32_e32 v36, v23
	v_min_u32_e32 v40, 32, v36
	v_subrev_u32_e32 v36, 28, v40
	v_lshlrev_b64 v[36:37], v36, v[30:31]
	v_lshrrev_b32_e32 v38, 3, v35
	v_sub_u32_e32 v37, 29, v40
	v_and_b32_e32 v36, 7, v36
	v_cmp_gt_u32_e32 vcc, 8, v35
	v_cndmask_b32_e32 v35, v38, v37, vcc
	v_cndmask_b32_e32 v23, v23, v36, vcc
	v_lshlrev_b32_e32 v30, 24, v30
	v_lshlrev_b32_e32 v23, 20, v23
	v_and_b32_e32 v30, 0x80000000, v30
	v_lshl_add_u32 v35, v35, 23, v33
	v_or3_b32 v23, v30, v35, v23
.LBB668_175:                            ;   in Loop: Header=BB668_15 Depth=1
	s_or_b64 exec, exec, s[10:11]
.LBB668_176:                            ;   in Loop: Header=BB668_15 Depth=1
	s_or_b64 exec, exec, s[6:7]
.LBB668_177:                            ;   in Loop: Header=BB668_15 Depth=1
	s_or_b64 exec, exec, s[4:5]
	v_cmp_lt_u32_e32 vcc, s15, v28
	v_mov_b32_e32 v35, 0
	v_mov_b32_e32 v36, 0
	s_and_saveexec_b64 s[4:5], vcc
	s_cbranch_execz .LBB668_183
; %bb.178:                              ;   in Loop: Header=BB668_15 Depth=1
	v_lshrrev_b32_e32 v30, 24, v28
	v_cmp_ne_u32_e32 vcc, s13, v30
	v_bfrev_b32_e32 v36, 1
	s_and_saveexec_b64 s[6:7], vcc
	s_cbranch_execz .LBB668_182
; %bb.179:                              ;   in Loop: Header=BB668_15 Depth=1
	v_bfe_u32 v28, v28, 24, 7
	v_cmp_ne_u32_e32 vcc, s14, v28
	v_mov_b32_e32 v36, 0x7f800001
	s_and_saveexec_b64 s[10:11], vcc
	s_cbranch_execz .LBB668_181
; %bb.180:                              ;   in Loop: Header=BB668_15 Depth=1
	v_and_b32_e32 v38, 7, v30
	v_ffbh_u32_e32 v36, v38
	v_min_u32_e32 v42, 32, v36
	v_subrev_u32_e32 v36, 28, v42
	v_lshlrev_b64 v[36:37], v36, v[30:31]
	v_lshrrev_b32_e32 v40, 3, v28
	v_sub_u32_e32 v37, 29, v42
	v_and_b32_e32 v36, 7, v36
	v_cmp_gt_u32_e32 vcc, 8, v28
	v_cndmask_b32_e32 v28, v40, v37, vcc
	v_cndmask_b32_e32 v36, v38, v36, vcc
	v_lshlrev_b32_e32 v30, 24, v30
	v_lshlrev_b32_e32 v36, 20, v36
	v_and_b32_e32 v30, 0x80000000, v30
	v_lshl_add_u32 v28, v28, 23, v33
	v_or3_b32 v36, v30, v28, v36
.LBB668_181:                            ;   in Loop: Header=BB668_15 Depth=1
	s_or_b64 exec, exec, s[10:11]
.LBB668_182:                            ;   in Loop: Header=BB668_15 Depth=1
	s_or_b64 exec, exec, s[6:7]
.LBB668_183:                            ;   in Loop: Header=BB668_15 Depth=1
	s_or_b64 exec, exec, s[4:5]
	s_waitcnt vmcnt(0)
	v_cmp_ne_u16_sdwa s[6:7], v26, v29 src0_sel:BYTE_0 src1_sel:DWORD
	s_and_saveexec_b64 s[4:5], s[6:7]
	s_cbranch_execz .LBB668_189
; %bb.184:                              ;   in Loop: Header=BB668_15 Depth=1
	v_cmp_ne_u16_sdwa s[10:11], v26, s13 src0_sel:BYTE_0 src1_sel:DWORD
	v_bfrev_b32_e32 v35, 1
	s_and_saveexec_b64 s[6:7], s[10:11]
	s_cbranch_execz .LBB668_188
; %bb.185:                              ;   in Loop: Header=BB668_15 Depth=1
	v_and_b32_e32 v28, 0x7f, v26
	v_cmp_ne_u32_e32 vcc, s14, v28
	v_mov_b32_e32 v35, 0x7f800001
	s_and_saveexec_b64 s[10:11], vcc
	s_cbranch_execz .LBB668_187
; %bb.186:                              ;   in Loop: Header=BB668_15 Depth=1
	v_and_b32_e32 v30, 7, v26
	v_ffbh_u32_e32 v37, v30
	v_min_u32_e32 v37, 32, v37
	v_subrev_u32_e32 v38, 28, v37
	v_lshlrev_b64 v[42:43], v38, v[26:27]
	v_lshrrev_b32_e32 v35, 3, v28
	v_sub_u32_e32 v37, 29, v37
	v_and_b32_e32 v38, 7, v42
	v_cmp_gt_u32_e32 vcc, 8, v28
	v_cndmask_b32_e32 v28, v35, v37, vcc
	v_cndmask_b32_e32 v30, v30, v38, vcc
	v_lshlrev_b32_e32 v35, 24, v26
	v_lshlrev_b32_e32 v30, 20, v30
	v_and_b32_e32 v35, 0x80000000, v35
	v_lshl_add_u32 v28, v28, 23, v33
	v_or3_b32 v35, v35, v28, v30
.LBB668_187:                            ;   in Loop: Header=BB668_15 Depth=1
	s_or_b64 exec, exec, s[10:11]
.LBB668_188:                            ;   in Loop: Header=BB668_15 Depth=1
	s_or_b64 exec, exec, s[6:7]
.LBB668_189:                            ;   in Loop: Header=BB668_15 Depth=1
	s_or_b64 exec, exec, s[4:5]
	v_lshrrev_b16_e32 v28, 8, v26
	v_cmp_ne_u16_e32 vcc, 0, v28
	v_mov_b32_e32 v30, 0
	v_mov_b32_e32 v37, 0
	s_and_saveexec_b64 s[4:5], vcc
	s_cbranch_execz .LBB668_195
; %bb.190:                              ;   in Loop: Header=BB668_15 Depth=1
	v_cmp_ne_u16_e32 vcc, s13, v28
	v_bfrev_b32_e32 v37, 1
	s_and_saveexec_b64 s[6:7], vcc
	s_cbranch_execz .LBB668_194
; %bb.191:                              ;   in Loop: Header=BB668_15 Depth=1
	v_and_b32_e32 v38, 0x7f, v28
	v_cmp_ne_u32_e32 vcc, s14, v38
	v_mov_b32_e32 v37, 0x7f800001
	s_and_saveexec_b64 s[10:11], vcc
	s_cbranch_execz .LBB668_193
; %bb.192:                              ;   in Loop: Header=BB668_15 Depth=1
	v_and_b32_e32 v37, 7, v28
	v_ffbh_u32_e32 v42, v37
	v_min_u32_e32 v44, 32, v42
	v_subrev_u32_e32 v42, 28, v44
	v_lshlrev_b64 v[42:43], v42, v[28:29]
	v_lshrrev_b32_e32 v40, 3, v38
	v_sub_u32_e32 v28, 29, v44
	v_and_b32_e32 v42, 7, v42
	v_cmp_gt_u32_e32 vcc, 8, v38
	v_cndmask_b32_e32 v28, v40, v28, vcc
	v_cndmask_b32_e32 v37, v37, v42, vcc
	v_lshlrev_b32_e32 v38, 16, v26
	v_lshlrev_b32_e32 v37, 20, v37
	v_and_b32_e32 v38, 0x80000000, v38
	v_lshl_add_u32 v28, v28, 23, v33
	v_or3_b32 v37, v38, v28, v37
.LBB668_193:                            ;   in Loop: Header=BB668_15 Depth=1
	s_or_b64 exec, exec, s[10:11]
.LBB668_194:                            ;   in Loop: Header=BB668_15 Depth=1
	s_or_b64 exec, exec, s[6:7]
.LBB668_195:                            ;   in Loop: Header=BB668_15 Depth=1
	s_or_b64 exec, exec, s[4:5]
	v_lshrrev_b32_e32 v28, 16, v26
	v_cmp_ne_u16_sdwa s[6:7], v28, v29 src0_sel:BYTE_0 src1_sel:DWORD
	s_and_saveexec_b64 s[4:5], s[6:7]
	s_cbranch_execz .LBB668_201
; %bb.196:                              ;   in Loop: Header=BB668_15 Depth=1
	v_cmp_ne_u16_sdwa s[10:11], v28, s13 src0_sel:BYTE_0 src1_sel:DWORD
	v_bfrev_b32_e32 v30, 1
	s_and_saveexec_b64 s[6:7], s[10:11]
	s_cbranch_execz .LBB668_200
; %bb.197:                              ;   in Loop: Header=BB668_15 Depth=1
	v_bfe_u32 v38, v26, 16, 7
	v_cmp_ne_u32_e32 vcc, s14, v38
	v_mov_b32_e32 v30, 0x7f800001
	s_and_saveexec_b64 s[10:11], vcc
	s_cbranch_execz .LBB668_199
; %bb.198:                              ;   in Loop: Header=BB668_15 Depth=1
	v_and_b32_e32 v30, 7, v28
	v_ffbh_u32_e32 v42, v30
	v_min_u32_e32 v44, 32, v42
	v_subrev_u32_e32 v42, 28, v44
	v_lshlrev_b64 v[42:43], v42, v[28:29]
	v_lshrrev_b32_e32 v40, 3, v38
	v_sub_u32_e32 v43, 29, v44
	v_and_b32_e32 v42, 7, v42
	v_cmp_gt_u32_e32 vcc, 8, v38
	v_cndmask_b32_e32 v38, v40, v43, vcc
	v_cndmask_b32_e32 v30, v30, v42, vcc
	v_lshlrev_b32_e32 v28, 24, v28
	v_lshlrev_b32_e32 v30, 20, v30
	v_and_b32_e32 v28, 0x80000000, v28
	v_lshl_add_u32 v38, v38, 23, v33
	v_or3_b32 v30, v28, v38, v30
.LBB668_199:                            ;   in Loop: Header=BB668_15 Depth=1
	s_or_b64 exec, exec, s[10:11]
.LBB668_200:                            ;   in Loop: Header=BB668_15 Depth=1
	s_or_b64 exec, exec, s[6:7]
.LBB668_201:                            ;   in Loop: Header=BB668_15 Depth=1
	s_or_b64 exec, exec, s[4:5]
	v_cmp_lt_u32_e32 vcc, s15, v26
	v_mov_b32_e32 v38, 0
	s_and_saveexec_b64 s[4:5], vcc
	s_cbranch_execz .LBB668_14
; %bb.202:                              ;   in Loop: Header=BB668_15 Depth=1
	v_lshrrev_b32_e32 v28, 24, v26
	v_cmp_ne_u32_e32 vcc, s13, v28
	v_bfrev_b32_e32 v38, 1
	s_and_saveexec_b64 s[6:7], vcc
	s_cbranch_execz .LBB668_13
; %bb.203:                              ;   in Loop: Header=BB668_15 Depth=1
	v_bfe_u32 v26, v26, 24, 7
	v_cmp_ne_u32_e32 vcc, s14, v26
	v_mov_b32_e32 v38, 0x7f800001
	s_and_saveexec_b64 s[10:11], vcc
	s_cbranch_execz .LBB668_12
; %bb.204:                              ;   in Loop: Header=BB668_15 Depth=1
	v_and_b32_e32 v38, 7, v28
	v_ffbh_u32_e32 v42, v38
	v_min_u32_e32 v44, 32, v42
	v_subrev_u32_e32 v42, 28, v44
	v_lshlrev_b64 v[42:43], v42, v[28:29]
	v_lshrrev_b32_e32 v40, 3, v26
	v_sub_u32_e32 v43, 29, v44
	v_and_b32_e32 v42, 7, v42
	v_cmp_gt_u32_e32 vcc, 8, v26
	v_cndmask_b32_e32 v26, v40, v43, vcc
	v_cndmask_b32_e32 v38, v38, v42, vcc
	v_lshlrev_b32_e32 v28, 24, v28
	v_lshlrev_b32_e32 v38, 20, v38
	v_and_b32_e32 v28, 0x80000000, v28
	v_lshl_add_u32 v26, v26, 23, v33
	v_or3_b32 v38, v28, v26, v38
	s_branch .LBB668_12
.LBB668_205:
	buffer_load_dword v13, off, s[0:3], 0 offset:256
	buffer_load_dword v14, off, s[0:3], 0 offset:260
	;; [unrolled: 1-line block ×16, first 2 shown]
	v_and_b32_e32 v12, 0xc0, v0
	v_add_u32_e32 v12, s20, v12
	v_lshl_or_b32 v12, v1, 2, v12
	v_or_b32_e32 v23, 1, v12
	v_mov_b32_e32 v19, 0xff7fffff
	v_or_b32_e32 v24, 2, v12
	v_or_b32_e32 v25, 3, v12
	v_cmp_gt_i32_e64 s[26:27], s33, v12
	v_cmp_gt_i32_e64 s[28:29], s33, v23
	s_mov_b32 s52, 0xff7fffff
	v_or_b32_e32 v26, 16, v12
	v_or_b32_e32 v27, 17, v12
	;; [unrolled: 1-line block ×12, first 2 shown]
	v_cmp_gt_i32_e64 s[30:31], s33, v24
	v_cmp_gt_i32_e64 s[34:35], s33, v25
	v_mbcnt_lo_u32_b32 v20, -1, 0
	v_cmp_gt_i32_e64 s[36:37], s33, v26
	v_cmp_gt_i32_e64 s[38:39], s33, v27
	v_mbcnt_hi_u32_b32 v20, -1, v20
	v_cmp_gt_i32_e64 s[20:21], s33, v28
	v_cmp_gt_i32_e64 s[22:23], s33, v29
	v_and_b32_e32 v21, 64, v20
	v_cmp_gt_i32_e64 s[16:17], s33, v30
	v_cmp_gt_i32_e64 s[18:19], s33, v31
	v_xor_b32_e32 v22, 32, v20
	v_add_u32_e32 v21, 64, v21
	v_cmp_gt_i32_e64 s[12:13], s33, v32
	v_cmp_gt_i32_e64 s[14:15], s33, v33
	v_cmp_lt_i32_e32 vcc, v22, v21
	v_cmp_gt_i32_e64 s[6:7], s33, v34
	v_cmp_gt_i32_e64 s[10:11], s33, v35
	v_cndmask_b32_e32 v22, v20, v22, vcc
	v_cmp_gt_i32_e32 vcc, s33, v36
	v_cmp_gt_i32_e64 s[4:5], s33, v37
	v_lshlrev_b32_e32 v22, 2, v22
	s_waitcnt vmcnt(15)
	v_cndmask_b32_e64 v12, v19, v13, s[26:27]
	s_waitcnt vmcnt(14)
	v_cndmask_b32_e64 v23, v19, v14, s[28:29]
	;; [unrolled: 2-line block ×4, first 2 shown]
	v_max3_f32 v12, v12, s52, v23
	s_waitcnt vmcnt(11)
	v_cndmask_b32_e64 v26, v19, v17, s[36:37]
	s_waitcnt vmcnt(10)
	v_cndmask_b32_e64 v27, v19, v18, s[38:39]
	v_max3_f32 v12, v12, v24, v25
	s_waitcnt vmcnt(9)
	v_cndmask_b32_e64 v28, v19, v11, s[20:21]
	s_waitcnt vmcnt(8)
	v_cndmask_b32_e64 v29, v19, v10, s[22:23]
	;; [unrolled: 5-line block ×5, first 2 shown]
	v_max3_f32 v12, v12, v32, v33
	s_waitcnt vmcnt(1)
	v_cndmask_b32_e32 v36, v19, v3, vcc
	s_waitcnt vmcnt(0)
	v_cndmask_b32_e64 v19, v19, v2, s[4:5]
	v_max3_f32 v12, v12, v34, v35
	v_max3_f32 v12, v12, v36, v19
	ds_bpermute_b32 v19, v22, v12
	v_xor_b32_e32 v23, 16, v20
	v_cmp_lt_i32_e64 s[40:41], v23, v21
	v_cndmask_b32_e64 v20, v20, v23, s[40:41]
	v_lshlrev_b32_e32 v20, 2, v20
	s_waitcnt lgkmcnt(0)
	v_max_f32_e32 v19, v19, v19
	v_max_f32_e32 v12, v12, v19
	ds_bpermute_b32 v19, v20, v12
	s_waitcnt lgkmcnt(0)
	v_max_f32_e32 v19, v19, v19
	v_max_f32_e32 v12, v12, v19
	v_sub_f32_e32 v13, v13, v12
	v_sub_f32_e32 v14, v14, v12
	;; [unrolled: 1-line block ×3, first 2 shown]
	v_mul_f32_e32 v13, 0x3fb8aa3b, v13
	v_mul_f32_e32 v14, 0x3fb8aa3b, v14
	;; [unrolled: 1-line block ×3, first 2 shown]
	v_exp_f32_e32 v13, v13
	v_exp_f32_e32 v14, v14
	;; [unrolled: 1-line block ×3, first 2 shown]
	v_sub_f32_e32 v16, v16, v12
	v_cndmask_b32_e64 v13, 0, v13, s[26:27]
	v_mul_f32_e32 v16, 0x3fb8aa3b, v16
	v_cndmask_b32_e64 v14, 0, v14, s[28:29]
	v_cndmask_b32_e64 v15, 0, v15, s[30:31]
	v_add_f32_e32 v19, 0, v13
	buffer_store_dword v13, off, s[0:3], 0 offset:256
	buffer_store_dword v14, off, s[0:3], 0 offset:260
	;; [unrolled: 1-line block ×3, first 2 shown]
	v_sub_f32_e32 v13, v17, v12
	v_exp_f32_e32 v16, v16
	v_add_f32_e32 v19, v19, v14
	v_mul_f32_e32 v13, 0x3fb8aa3b, v13
	v_sub_f32_e32 v14, v18, v12
	v_exp_f32_e32 v13, v13
	v_mul_f32_e32 v14, 0x3fb8aa3b, v14
	v_sub_f32_e32 v11, v11, v12
	v_exp_f32_e32 v14, v14
	v_mul_f32_e32 v11, 0x3fb8aa3b, v11
	v_sub_f32_e32 v10, v10, v12
	v_exp_f32_e32 v11, v11
	v_mul_f32_e32 v10, 0x3fb8aa3b, v10
	v_sub_f32_e32 v9, v9, v12
	v_cndmask_b32_e64 v16, 0, v16, s[34:35]
	v_add_f32_e32 v19, v19, v15
	v_exp_f32_e32 v10, v10
	v_mul_f32_e32 v9, 0x3fb8aa3b, v9
	v_sub_f32_e32 v8, v8, v12
	v_add_f32_e32 v19, v19, v16
	v_cndmask_b32_e64 v13, 0, v13, s[36:37]
	v_exp_f32_e32 v9, v9
	v_mul_f32_e32 v8, 0x3fb8aa3b, v8
	v_sub_f32_e32 v7, v7, v12
	v_add_f32_e32 v15, v19, v13
	v_cndmask_b32_e64 v14, 0, v14, s[38:39]
	;; [unrolled: 5-line block ×5, first 2 shown]
	v_exp_f32_e32 v5, v5
	v_mul_f32_e32 v4, 0x3fb8aa3b, v4
	v_sub_f32_e32 v3, v3, v12
	buffer_store_dword v16, off, s[0:3], 0 offset:268
	buffer_store_dword v13, off, s[0:3], 0 offset:272
	;; [unrolled: 1-line block ×5, first 2 shown]
	v_add_f32_e32 v10, v15, v9
	v_cndmask_b32_e64 v8, 0, v8, s[18:19]
	v_exp_f32_e32 v4, v4
	v_mul_f32_e32 v3, 0x3fb8aa3b, v3
	v_sub_f32_e32 v2, v2, v12
	v_add_f32_e32 v10, v10, v8
	v_cndmask_b32_e64 v7, 0, v7, s[12:13]
	v_exp_f32_e32 v3, v3
	v_mul_f32_e32 v2, 0x3fb8aa3b, v2
	v_add_f32_e32 v10, v10, v7
	v_cndmask_b32_e64 v6, 0, v6, s[14:15]
	v_exp_f32_e32 v2, v2
	v_add_f32_e32 v10, v10, v6
	v_cndmask_b32_e64 v5, 0, v5, s[6:7]
	buffer_store_dword v9, off, s[0:3], 0 offset:288
	buffer_store_dword v8, off, s[0:3], 0 offset:292
	;; [unrolled: 1-line block ×4, first 2 shown]
	v_add_f32_e32 v6, v10, v5
	v_cndmask_b32_e64 v4, 0, v4, s[10:11]
	v_add_f32_e32 v6, v6, v4
	v_cndmask_b32_e32 v3, 0, v3, vcc
	v_add_f32_e32 v6, v6, v3
	v_cndmask_b32_e64 v2, 0, v2, s[4:5]
	v_add_f32_e32 v6, v6, v2
	ds_bpermute_b32 v7, v22, v6
	buffer_store_dword v5, off, s[0:3], 0 offset:304
	buffer_store_dword v4, off, s[0:3], 0 offset:308
	;; [unrolled: 1-line block ×4, first 2 shown]
	v_cmp_gt_u32_e32 vcc, 16, v64
	s_waitcnt lgkmcnt(0)
	s_barrier
	v_add_f32_e32 v2, v6, v7
	ds_bpermute_b32 v3, v20, v2
	s_waitcnt lgkmcnt(0)
	s_and_saveexec_b64 s[4:5], vcc
	s_cbranch_execz .LBB668_207
; %bb.206:
	v_add_f32_e32 v2, v2, v3
	v_lshlrev_b32_e32 v3, 2, v63
	ds_write2st64_b32 v3, v12, v2 offset1:1
.LBB668_207:
	s_or_b64 exec, exec, s[4:5]
	v_lshlrev_b32_e32 v2, 2, v55
	s_waitcnt lgkmcnt(0)
	s_barrier
	ds_read2_b32 v[12:13], v2 offset1:16
	ds_read2_b32 v[14:15], v2 offset0:32 offset1:48
	ds_read2_b32 v[6:7], v2 offset0:64 offset1:80
	ds_read2_b32 v[10:11], v2 offset0:96 offset1:112
	s_waitcnt lgkmcnt(0)
	s_barrier
	buffer_load_dword v20, off, s[0:3], 0 offset:256
	buffer_load_dword v21, off, s[0:3], 0 offset:260
	;; [unrolled: 1-line block ×16, first 2 shown]
	v_lshlrev_b32_e32 v19, 3, v1
	v_lshlrev_b32_e32 v18, 5, v55
	;; [unrolled: 1-line block ×3, first 2 shown]
	v_or3_b32 v43, v28, v18, v19
	v_max3_f32 v19, v12, s52, v13
	v_max3_f32 v19, v19, v14, v15
	v_sub_f32_e32 v12, v12, v19
	v_sub_f32_e32 v13, v13, v19
	v_mul_f32_e32 v12, 0x3fb8aa3b, v12
	v_sub_f32_e32 v14, v14, v19
	v_mul_f32_e32 v13, 0x3fb8aa3b, v13
	v_exp_f32_e32 v12, v12
	v_sub_f32_e32 v15, v15, v19
	v_mul_f32_e32 v14, 0x3fb8aa3b, v14
	v_exp_f32_e32 v13, v13
	v_mul_f32_e32 v15, 0x3fb8aa3b, v15
	v_exp_f32_e32 v14, v14
	v_exp_f32_e32 v15, v15
	v_fma_f32 v6, v12, v6, 0
	v_fmac_f32_e32 v6, v13, v7
	v_fmac_f32_e32 v6, v14, v10
	;; [unrolled: 1-line block ×3, first 2 shown]
	v_cmp_eq_u32_e32 vcc, 1, v62
	v_add_f32_e32 v10, 0x358637bd, v6
	v_cndmask_b32_e32 v12, v12, v13, vcc
	v_cmp_eq_u32_e32 vcc, 2, v62
	v_div_scale_f32 v11, s[4:5], v10, v10, 1.0
	v_cndmask_b32_e32 v7, v12, v14, vcc
	v_rcp_f32_e32 v12, v11
	v_cmp_eq_u32_e32 vcc, 3, v62
	v_cndmask_b32_e32 v7, v7, v15, vcc
	v_div_scale_f32 v13, vcc, 1.0, v10, 1.0
	v_fma_f32 v14, -v11, v12, 1.0
	v_fmac_f32_e32 v12, v14, v12
	v_mul_f32_e32 v14, v13, v12
	v_fma_f32 v15, -v11, v14, v13
	v_fmac_f32_e32 v14, v15, v12
	v_fma_f32 v11, -v11, v14, v13
	v_div_fmas_f32 v11, v11, v12, v14
	v_div_fixup_f32 v10, v11, v10, 1.0
	v_mul_f32_e32 v10, v7, v10
	s_mul_i32 s18, s51, 15
	v_cmp_gt_u32_e32 vcc, 15, v0
	s_waitcnt vmcnt(14)
	v_pk_mul_f32 v[14:15], v[10:11], v[20:21] op_sel_hi:[0,1]
	v_cvt_f16_f32_e32 v7, v14
	s_waitcnt vmcnt(12)
	v_pk_mul_f32 v[12:13], v[10:11], v[22:23] op_sel_hi:[0,1]
	buffer_store_dword v14, off, s[0:3], 0 offset:256
	buffer_store_dword v15, off, s[0:3], 0 offset:260
	;; [unrolled: 1-line block ×3, first 2 shown]
	s_waitcnt vmcnt(13)
	v_pk_mul_f32 v[20:21], v[10:11], v[24:25] op_sel_hi:[0,1]
	v_cvt_f16_f32_e32 v14, v12
	s_waitcnt vmcnt(11)
	v_pk_mul_f32 v[22:23], v[10:11], v[26:27] op_sel_hi:[0,1]
	v_cvt_f16_f32_e32 v11, v15
	v_cvt_f16_f32_e32 v15, v13
	buffer_store_dword v13, off, s[0:3], 0 offset:268
	buffer_store_dword v22, off, s[0:3], 0 offset:272
	;; [unrolled: 1-line block ×3, first 2 shown]
	v_pack_b32_f16 v12, v7, v11
	v_cvt_f16_f32_e32 v11, v23
	v_pack_b32_f16 v13, v14, v15
	v_cvt_f16_f32_e32 v7, v22
	v_cvt_f16_f32_e32 v15, v20
	;; [unrolled: 1-line block ×3, first 2 shown]
	s_waitcnt vmcnt(12)
	v_pk_mul_f32 v[4:5], v[10:11], v[4:5] op_sel_hi:[0,1]
	v_pack_b32_f16 v14, v7, v11
	s_waitcnt vmcnt(10)
	v_pk_mul_f32 v[2:3], v[10:11], v[2:3] op_sel_hi:[0,1]
	v_pack_b32_f16 v15, v15, v22
	v_cvt_f16_f32_e32 v11, v5
	buffer_store_dword v20, off, s[0:3], 0 offset:280
	buffer_store_dword v21, off, s[0:3], 0 offset:284
	ds_write2st64_b64 v43, v[12:13], v[14:15] offset1:1
	buffer_store_dword v2, off, s[0:3], 0 offset:288
	buffer_store_dword v3, off, s[0:3], 0 offset:292
	v_cvt_f16_f32_e32 v2, v2
	v_cvt_f16_f32_e32 v3, v3
	;; [unrolled: 1-line block ×3, first 2 shown]
	buffer_store_dword v4, off, s[0:3], 0 offset:296
	buffer_store_dword v5, off, s[0:3], 0 offset:300
	s_waitcnt vmcnt(12)
	v_pk_mul_f32 v[4:5], v[10:11], v[16:17] op_sel_hi:[0,1]
	v_pk_mul_f32 v[8:9], v[10:11], v[8:9] op_sel_hi:[0,1]
	v_pack_b32_f16 v2, v2, v3
	v_pack_b32_f16 v3, v7, v11
	buffer_store_dword v8, off, s[0:3], 0 offset:304
	buffer_store_dword v9, off, s[0:3], 0 offset:308
	v_cvt_f16_f32_e32 v7, v8
	v_cvt_f16_f32_e32 v8, v9
	;; [unrolled: 1-line block ×4, first 2 shown]
	buffer_store_dword v4, off, s[0:3], 0 offset:312
	buffer_store_dword v5, off, s[0:3], 0 offset:316
	v_pack_b32_f16 v4, v7, v8
	v_pack_b32_f16 v5, v9, v10
	ds_write2st64_b64 v43, v[2:3], v[4:5] offset0:2 offset1:3
	s_and_saveexec_b64 s[4:5], vcc
	s_cbranch_execz .LBB668_209
; %bb.208:
	v_add_co_u32_e32 v4, vcc, s25, v55
	v_addc_co_u32_e64 v5, s[6:7], 0, 0, vcc
	v_mov_b32_e32 v2, s18
	v_mad_u64_u32 v[4:5], s[6:7], s8, v2, v[4:5]
	v_mov_b32_e32 v3, 0
	s_mul_i32 s6, s9, s18
	v_mov_b32_e32 v2, s24
	v_add_u32_e32 v5, s6, v5
	v_mad_u64_u32 v[2:3], s[6:7], v4, s50, v[2:3]
	v_mov_b32_e32 v4, v3
	v_mad_u64_u32 v[4:5], s[6:7], v5, s50, v[4:5]
	v_mov_b32_e32 v3, v4
	v_lshlrev_b64 v[2:3], 2, v[2:3]
	v_mov_b32_e32 v5, s47
	v_add_co_u32_e32 v4, vcc, s46, v2
	v_addc_co_u32_e32 v5, vcc, v5, v3, vcc
	global_store_dword v[4:5], v19, off
	v_mov_b32_e32 v4, s45
	v_add_co_u32_e32 v2, vcc, s44, v2
	v_addc_co_u32_e32 v3, vcc, v4, v3, vcc
	global_store_dword v[2:3], v6, off
.LBB668_209:
	s_or_b64 exec, exec, s[4:5]
	v_lshl_or_b32 v30, v1, 9, v18
	s_waitcnt lgkmcnt(0)
	s_barrier
	s_load_dword s4, s[42:43], 0x0
	ds_read_b128 v[2:5], v30
	ds_read_b128 v[6:9], v30 offset:16
	ds_read_b128 v[10:13], v30 offset:2048
	;; [unrolled: 1-line block ×7, first 2 shown]
	v_mov_b32_e32 v35, 0x80
	v_mov_b32_e32 v45, 0x140
	s_mov_b64 s[10:11], -1
	s_waitcnt lgkmcnt(0)
	s_mov_b32 s5, s4
	s_mov_b32 s6, s4
	;; [unrolled: 1-line block ×3, first 2 shown]
	s_movk_i32 s9, 0x80
	s_movk_i32 s19, 0x7f
	s_mov_b32 s20, 0xffffff
	v_mov_b32_e32 v47, 0
	v_bfrev_b32_e32 v48, 60
	s_branch .LBB668_213
.LBB668_210:                            ;   in Loop: Header=BB668_213 Depth=1
	s_or_b64 exec, exec, s[16:17]
.LBB668_211:                            ;   in Loop: Header=BB668_213 Depth=1
	s_or_b64 exec, exec, s[14:15]
.LBB668_212:                            ;   in Loop: Header=BB668_213 Depth=1
	s_or_b64 exec, exec, s[12:13]
	v_cvt_pkrtz_f16_f32 v40, v41, v46
	v_cvt_pkrtz_f16_f32 v41, v44, v50
	s_xor_b64 s[12:13], s[10:11], -1
	s_mov_b64 s[10:11], 0
	v_mov_b32_e32 v61, v58
	v_mfma_f32_16x16x16f16 v[62:65], v[40:41], v[30:31], v[34:37]
	v_mov_b32_e32 v60, v59
	s_and_b64 vcc, exec, s[12:13]
	s_nop 4
	v_cvt_pkrtz_f16_f32 v36, v49, v51
	v_cvt_pkrtz_f16_f32 v37, v42, v52
	v_mov_b32_e32 v35, v57
	s_nop 0
	v_mfma_f32_16x16x16f16 v[50:53], v[36:37], v[32:33], v[62:65]
	s_nop 7
	s_nop 2
	v_pk_mul_f32 v[40:41], v[50:51], s[4:5]
	v_pk_mul_f32 v[36:37], v[52:53], s[6:7]
	v_cvt_f16_f32_e32 v34, v40
	v_cvt_f16_f32_e32 v38, v41
	;; [unrolled: 1-line block ×4, first 2 shown]
	v_mov_b32_e32 v41, v39
	v_pack_b32_f16 v34, v34, v38
	v_pack_b32_f16 v36, v36, v37
	buffer_store_dword v34, v45, s[0:3], 0 offen
	buffer_store_dword v36, v45, s[0:3], 0 offen offset:4
	v_mov_b32_e32 v45, 0x148
	s_cbranch_vccnz .LBB668_595
.LBB668_213:                            ; =>This Inner Loop Header: Depth=1
	buffer_load_dword v36, v35, s[0:3], 0 offen
	buffer_load_dword v34, v35, s[0:3], 0 offen offset:4
	buffer_load_dword v40, v35, s[0:3], 0 offen offset:8
	;; [unrolled: 1-line block ×3, first 2 shown]
	v_mov_b32_e32 v35, 0
	s_waitcnt vmcnt(3)
	v_cmp_ne_u16_sdwa s[14:15], v36, v47 src0_sel:BYTE_0 src1_sel:DWORD
	s_and_saveexec_b64 s[12:13], s[14:15]
	s_cbranch_execz .LBB668_219
; %bb.214:                              ;   in Loop: Header=BB668_213 Depth=1
	v_cmp_ne_u16_sdwa s[16:17], v36, s9 src0_sel:BYTE_0 src1_sel:DWORD
	v_bfrev_b32_e32 v35, 1
	s_and_saveexec_b64 s[14:15], s[16:17]
	s_cbranch_execz .LBB668_218
; %bb.215:                              ;   in Loop: Header=BB668_213 Depth=1
	v_and_b32_e32 v37, 0x7f, v36
	v_cmp_ne_u32_e32 vcc, s19, v37
	v_mov_b32_e32 v35, 0x7f800001
	s_and_saveexec_b64 s[16:17], vcc
	s_cbranch_execz .LBB668_217
; %bb.216:                              ;   in Loop: Header=BB668_213 Depth=1
	v_and_b32_e32 v35, 7, v36
	v_ffbh_u32_e32 v44, v35
	v_min_u32_e32 v44, 32, v44
	v_subrev_u32_e32 v46, 28, v44
	v_lshlrev_b64 v[50:51], v46, v[36:37]
	v_lshrrev_b32_e32 v42, 3, v37
	v_sub_u32_e32 v44, 29, v44
	v_and_b32_e32 v46, 7, v50
	v_cmp_gt_u32_e32 vcc, 8, v37
	v_cndmask_b32_e32 v37, v42, v44, vcc
	v_cndmask_b32_e32 v35, v35, v46, vcc
	v_lshlrev_b32_e32 v42, 24, v36
	v_lshlrev_b32_e32 v35, 20, v35
	v_and_b32_e32 v42, 0x80000000, v42
	v_lshl_add_u32 v37, v37, 23, v48
	v_or3_b32 v35, v42, v37, v35
.LBB668_217:                            ;   in Loop: Header=BB668_213 Depth=1
	s_or_b64 exec, exec, s[16:17]
.LBB668_218:                            ;   in Loop: Header=BB668_213 Depth=1
	s_or_b64 exec, exec, s[14:15]
.LBB668_219:                            ;   in Loop: Header=BB668_213 Depth=1
	s_or_b64 exec, exec, s[12:13]
	v_lshrrev_b16_e32 v42, 8, v36
	v_cmp_ne_u16_e32 vcc, 0, v42
	v_mov_b32_e32 v37, 0
	s_and_saveexec_b64 s[12:13], vcc
	s_cbranch_execz .LBB668_225
; %bb.220:                              ;   in Loop: Header=BB668_213 Depth=1
	v_cmp_ne_u16_e32 vcc, s9, v42
	v_bfrev_b32_e32 v37, 1
	s_and_saveexec_b64 s[14:15], vcc
	s_cbranch_execz .LBB668_224
; %bb.221:                              ;   in Loop: Header=BB668_213 Depth=1
	v_and_b32_e32 v44, 0x7f, v42
	v_cmp_ne_u32_e32 vcc, s19, v44
	v_mov_b32_e32 v37, 0x7f800001
	s_and_saveexec_b64 s[16:17], vcc
	s_cbranch_execz .LBB668_223
; %bb.222:                              ;   in Loop: Header=BB668_213 Depth=1
	v_and_b32_e32 v37, 7, v42
	v_ffbh_u32_e32 v49, v37
	v_min_u32_e32 v49, 32, v49
	v_subrev_u32_e32 v50, 28, v49
	v_lshlrev_b64 v[50:51], v50, v[42:43]
	v_lshrrev_b32_e32 v46, 3, v44
	v_sub_u32_e32 v42, 29, v49
	v_and_b32_e32 v49, 7, v50
	v_cmp_gt_u32_e32 vcc, 8, v44
	v_cndmask_b32_e32 v42, v46, v42, vcc
	v_cndmask_b32_e32 v37, v37, v49, vcc
	v_lshlrev_b32_e32 v44, 16, v36
	v_lshlrev_b32_e32 v37, 20, v37
	v_and_b32_e32 v44, 0x80000000, v44
	v_lshl_add_u32 v42, v42, 23, v48
	v_or3_b32 v37, v44, v42, v37
.LBB668_223:                            ;   in Loop: Header=BB668_213 Depth=1
	s_or_b64 exec, exec, s[16:17]
.LBB668_224:                            ;   in Loop: Header=BB668_213 Depth=1
	s_or_b64 exec, exec, s[14:15]
.LBB668_225:                            ;   in Loop: Header=BB668_213 Depth=1
	s_or_b64 exec, exec, s[12:13]
	v_lshrrev_b32_e32 v42, 16, v36
	v_cmp_ne_u16_sdwa s[14:15], v42, v47 src0_sel:BYTE_0 src1_sel:DWORD
	v_mov_b32_e32 v46, 0
	v_mov_b32_e32 v44, 0
	s_and_saveexec_b64 s[12:13], s[14:15]
	s_cbranch_execz .LBB668_231
; %bb.226:                              ;   in Loop: Header=BB668_213 Depth=1
	v_cmp_ne_u16_sdwa s[16:17], v42, s9 src0_sel:BYTE_0 src1_sel:DWORD
	v_bfrev_b32_e32 v44, 1
	s_and_saveexec_b64 s[14:15], s[16:17]
	s_cbranch_execz .LBB668_230
; %bb.227:                              ;   in Loop: Header=BB668_213 Depth=1
	v_bfe_u32 v49, v36, 16, 7
	v_cmp_ne_u32_e32 vcc, s19, v49
	v_mov_b32_e32 v44, 0x7f800001
	s_and_saveexec_b64 s[16:17], vcc
	s_cbranch_execz .LBB668_229
; %bb.228:                              ;   in Loop: Header=BB668_213 Depth=1
	v_and_b32_e32 v44, 7, v42
	v_ffbh_u32_e32 v50, v44
	v_min_u32_e32 v53, 32, v50
	v_subrev_u32_e32 v50, 28, v53
	v_lshlrev_b64 v[50:51], v50, v[42:43]
	v_lshrrev_b32_e32 v52, 3, v49
	v_sub_u32_e32 v51, 29, v53
	v_and_b32_e32 v50, 7, v50
	v_cmp_gt_u32_e32 vcc, 8, v49
	v_cndmask_b32_e32 v49, v52, v51, vcc
	v_cndmask_b32_e32 v44, v44, v50, vcc
	v_lshlrev_b32_e32 v42, 24, v42
	v_lshlrev_b32_e32 v44, 20, v44
	v_and_b32_e32 v42, 0x80000000, v42
	v_lshl_add_u32 v49, v49, 23, v48
	v_or3_b32 v44, v42, v49, v44
.LBB668_229:                            ;   in Loop: Header=BB668_213 Depth=1
	s_or_b64 exec, exec, s[16:17]
.LBB668_230:                            ;   in Loop: Header=BB668_213 Depth=1
	s_or_b64 exec, exec, s[14:15]
.LBB668_231:                            ;   in Loop: Header=BB668_213 Depth=1
	s_or_b64 exec, exec, s[12:13]
	v_cmp_lt_u32_e32 vcc, s20, v36
	s_and_saveexec_b64 s[12:13], vcc
	s_cbranch_execz .LBB668_237
; %bb.232:                              ;   in Loop: Header=BB668_213 Depth=1
	v_lshrrev_b32_e32 v42, 24, v36
	v_cmp_ne_u32_e32 vcc, s9, v42
	v_bfrev_b32_e32 v46, 1
	s_and_saveexec_b64 s[14:15], vcc
	s_cbranch_execz .LBB668_236
; %bb.233:                              ;   in Loop: Header=BB668_213 Depth=1
	v_bfe_u32 v36, v36, 24, 7
	v_cmp_ne_u32_e32 vcc, s19, v36
	v_mov_b32_e32 v46, 0x7f800001
	s_and_saveexec_b64 s[16:17], vcc
	s_cbranch_execz .LBB668_235
; %bb.234:                              ;   in Loop: Header=BB668_213 Depth=1
	v_and_b32_e32 v46, 7, v42
	v_ffbh_u32_e32 v50, v46
	v_min_u32_e32 v52, 32, v50
	v_subrev_u32_e32 v50, 28, v52
	v_lshlrev_b64 v[50:51], v50, v[42:43]
	v_lshrrev_b32_e32 v49, 3, v36
	v_sub_u32_e32 v51, 29, v52
	v_and_b32_e32 v50, 7, v50
	v_cmp_gt_u32_e32 vcc, 8, v36
	v_cndmask_b32_e32 v36, v49, v51, vcc
	v_cndmask_b32_e32 v46, v46, v50, vcc
	v_lshlrev_b32_e32 v42, 24, v42
	v_lshlrev_b32_e32 v46, 20, v46
	v_and_b32_e32 v42, 0x80000000, v42
	v_lshl_add_u32 v36, v36, 23, v48
	v_or3_b32 v46, v42, v36, v46
.LBB668_235:                            ;   in Loop: Header=BB668_213 Depth=1
	s_or_b64 exec, exec, s[16:17]
.LBB668_236:                            ;   in Loop: Header=BB668_213 Depth=1
	s_or_b64 exec, exec, s[14:15]
.LBB668_237:                            ;   in Loop: Header=BB668_213 Depth=1
	s_or_b64 exec, exec, s[12:13]
	s_waitcnt vmcnt(2)
	v_cmp_ne_u16_sdwa s[14:15], v34, v47 src0_sel:BYTE_0 src1_sel:DWORD
	v_mov_b32_e32 v42, 0
	v_mov_b32_e32 v49, 0
	s_and_saveexec_b64 s[12:13], s[14:15]
	s_cbranch_execz .LBB668_243
; %bb.238:                              ;   in Loop: Header=BB668_213 Depth=1
	v_cmp_ne_u16_sdwa s[16:17], v34, s9 src0_sel:BYTE_0 src1_sel:DWORD
	v_bfrev_b32_e32 v49, 1
	s_and_saveexec_b64 s[14:15], s[16:17]
	s_cbranch_execz .LBB668_242
; %bb.239:                              ;   in Loop: Header=BB668_213 Depth=1
	v_and_b32_e32 v36, 0x7f, v34
	v_cmp_ne_u32_e32 vcc, s19, v36
	v_mov_b32_e32 v49, 0x7f800001
	s_and_saveexec_b64 s[16:17], vcc
	s_cbranch_execz .LBB668_241
; %bb.240:                              ;   in Loop: Header=BB668_213 Depth=1
	v_and_b32_e32 v49, 7, v34
	v_ffbh_u32_e32 v50, v49
	v_min_u32_e32 v53, 32, v50
	v_subrev_u32_e32 v50, 28, v53
	v_lshlrev_b64 v[50:51], v50, v[34:35]
	v_lshrrev_b32_e32 v52, 3, v36
	v_sub_u32_e32 v51, 29, v53
	v_and_b32_e32 v50, 7, v50
	v_cmp_gt_u32_e32 vcc, 8, v36
	v_cndmask_b32_e32 v36, v52, v51, vcc
	v_cndmask_b32_e32 v49, v49, v50, vcc
	v_lshlrev_b32_e32 v50, 24, v34
	v_lshlrev_b32_e32 v49, 20, v49
	v_and_b32_e32 v50, 0x80000000, v50
	v_lshl_add_u32 v36, v36, 23, v48
	v_or3_b32 v49, v50, v36, v49
.LBB668_241:                            ;   in Loop: Header=BB668_213 Depth=1
	s_or_b64 exec, exec, s[16:17]
.LBB668_242:                            ;   in Loop: Header=BB668_213 Depth=1
	s_or_b64 exec, exec, s[14:15]
.LBB668_243:                            ;   in Loop: Header=BB668_213 Depth=1
	s_or_b64 exec, exec, s[12:13]
	v_lshrrev_b16_e32 v36, 8, v34
	v_cmp_ne_u16_e32 vcc, 0, v36
	s_and_saveexec_b64 s[12:13], vcc
	s_cbranch_execz .LBB668_249
; %bb.244:                              ;   in Loop: Header=BB668_213 Depth=1
	v_cmp_ne_u16_e32 vcc, s9, v36
	v_bfrev_b32_e32 v42, 1
	s_and_saveexec_b64 s[14:15], vcc
	s_cbranch_execz .LBB668_248
; %bb.245:                              ;   in Loop: Header=BB668_213 Depth=1
	v_and_b32_e32 v50, 0x7f, v36
	v_cmp_ne_u32_e32 vcc, s19, v50
	v_mov_b32_e32 v42, 0x7f800001
	s_and_saveexec_b64 s[16:17], vcc
	s_cbranch_execz .LBB668_247
; %bb.246:                              ;   in Loop: Header=BB668_213 Depth=1
	v_and_b32_e32 v42, 7, v36
	v_ffbh_u32_e32 v52, v42
	v_min_u32_e32 v62, 32, v52
	v_subrev_u32_e32 v52, 28, v62
	v_lshlrev_b64 v[52:53], v52, v[36:37]
	v_lshrrev_b32_e32 v51, 3, v50
	v_sub_u32_e32 v36, 29, v62
	v_and_b32_e32 v52, 7, v52
	v_cmp_gt_u32_e32 vcc, 8, v50
	v_cndmask_b32_e32 v36, v51, v36, vcc
	v_cndmask_b32_e32 v42, v42, v52, vcc
	v_lshlrev_b32_e32 v50, 16, v34
	v_lshlrev_b32_e32 v42, 20, v42
	v_and_b32_e32 v50, 0x80000000, v50
	v_lshl_add_u32 v36, v36, 23, v48
	v_or3_b32 v42, v50, v36, v42
.LBB668_247:                            ;   in Loop: Header=BB668_213 Depth=1
	s_or_b64 exec, exec, s[16:17]
.LBB668_248:                            ;   in Loop: Header=BB668_213 Depth=1
	s_or_b64 exec, exec, s[14:15]
.LBB668_249:                            ;   in Loop: Header=BB668_213 Depth=1
	s_or_b64 exec, exec, s[12:13]
	v_lshrrev_b32_e32 v36, 16, v34
	v_cmp_ne_u16_sdwa s[14:15], v36, v47 src0_sel:BYTE_0 src1_sel:DWORD
	v_mov_b32_e32 v51, 0
	v_mov_b32_e32 v50, 0
	s_and_saveexec_b64 s[12:13], s[14:15]
	s_cbranch_execz .LBB668_255
; %bb.250:                              ;   in Loop: Header=BB668_213 Depth=1
	v_cmp_ne_u16_sdwa s[16:17], v36, s9 src0_sel:BYTE_0 src1_sel:DWORD
	v_bfrev_b32_e32 v50, 1
	s_and_saveexec_b64 s[14:15], s[16:17]
	s_cbranch_execz .LBB668_254
; %bb.251:                              ;   in Loop: Header=BB668_213 Depth=1
	v_bfe_u32 v52, v34, 16, 7
	v_cmp_ne_u32_e32 vcc, s19, v52
	v_mov_b32_e32 v50, 0x7f800001
	s_and_saveexec_b64 s[16:17], vcc
	s_cbranch_execz .LBB668_253
; %bb.252:                              ;   in Loop: Header=BB668_213 Depth=1
	v_and_b32_e32 v50, 7, v36
	v_ffbh_u32_e32 v62, v50
	v_min_u32_e32 v64, 32, v62
	v_subrev_u32_e32 v62, 28, v64
	v_lshlrev_b64 v[62:63], v62, v[36:37]
	v_lshrrev_b32_e32 v53, 3, v52
	v_sub_u32_e32 v63, 29, v64
	v_and_b32_e32 v62, 7, v62
	v_cmp_gt_u32_e32 vcc, 8, v52
	v_cndmask_b32_e32 v52, v53, v63, vcc
	v_cndmask_b32_e32 v50, v50, v62, vcc
	v_lshlrev_b32_e32 v36, 24, v36
	v_lshlrev_b32_e32 v50, 20, v50
	v_and_b32_e32 v36, 0x80000000, v36
	v_lshl_add_u32 v52, v52, 23, v48
	v_or3_b32 v50, v36, v52, v50
.LBB668_253:                            ;   in Loop: Header=BB668_213 Depth=1
	s_or_b64 exec, exec, s[16:17]
.LBB668_254:                            ;   in Loop: Header=BB668_213 Depth=1
	s_or_b64 exec, exec, s[14:15]
.LBB668_255:                            ;   in Loop: Header=BB668_213 Depth=1
	s_or_b64 exec, exec, s[12:13]
	v_cmp_lt_u32_e32 vcc, s20, v34
	s_and_saveexec_b64 s[12:13], vcc
	s_cbranch_execz .LBB668_261
; %bb.256:                              ;   in Loop: Header=BB668_213 Depth=1
	v_lshrrev_b32_e32 v36, 24, v34
	v_cmp_ne_u32_e32 vcc, s9, v36
	v_bfrev_b32_e32 v51, 1
	s_and_saveexec_b64 s[14:15], vcc
	s_cbranch_execz .LBB668_260
; %bb.257:                              ;   in Loop: Header=BB668_213 Depth=1
	v_bfe_u32 v34, v34, 24, 7
	v_cmp_ne_u32_e32 vcc, s19, v34
	v_mov_b32_e32 v51, 0x7f800001
	s_and_saveexec_b64 s[16:17], vcc
	s_cbranch_execz .LBB668_259
; %bb.258:                              ;   in Loop: Header=BB668_213 Depth=1
	v_and_b32_e32 v51, 7, v36
	v_ffbh_u32_e32 v52, v51
	v_min_u32_e32 v63, 32, v52
	v_subrev_u32_e32 v52, 28, v63
	v_lshlrev_b64 v[52:53], v52, v[36:37]
	v_lshrrev_b32_e32 v62, 3, v34
	v_sub_u32_e32 v53, 29, v63
	v_and_b32_e32 v52, 7, v52
	v_cmp_gt_u32_e32 vcc, 8, v34
	v_cndmask_b32_e32 v34, v62, v53, vcc
	v_cndmask_b32_e32 v51, v51, v52, vcc
	v_lshlrev_b32_e32 v36, 24, v36
	v_lshlrev_b32_e32 v51, 20, v51
	v_and_b32_e32 v36, 0x80000000, v36
	v_lshl_add_u32 v34, v34, 23, v48
	v_or3_b32 v51, v36, v34, v51
.LBB668_259:                            ;   in Loop: Header=BB668_213 Depth=1
	s_or_b64 exec, exec, s[16:17]
.LBB668_260:                            ;   in Loop: Header=BB668_213 Depth=1
	s_or_b64 exec, exec, s[14:15]
.LBB668_261:                            ;   in Loop: Header=BB668_213 Depth=1
	s_or_b64 exec, exec, s[12:13]
	v_cvt_pkrtz_f16_f32 v34, v35, v37
	v_cvt_pkrtz_f16_f32 v35, v44, v46
	v_cvt_pkrtz_f16_f32 v52, v49, v42
	v_cvt_pkrtz_f16_f32 v53, v50, v51
	v_mov_b32_e32 v44, 0
	v_mfma_f32_16x16x16f16 v[34:37], v[34:35], v[2:3], 0
	s_waitcnt vmcnt(1)
	v_cmp_ne_u16_sdwa s[14:15], v40, v47 src0_sel:BYTE_0 src1_sel:DWORD
	v_mov_b32_e32 v46, 0
	v_mfma_f32_16x16x16f16 v[34:37], v[52:53], v[4:5], v[34:37]
	s_and_saveexec_b64 s[12:13], s[14:15]
	s_cbranch_execz .LBB668_267
; %bb.262:                              ;   in Loop: Header=BB668_213 Depth=1
	v_cmp_ne_u16_sdwa s[16:17], v40, s9 src0_sel:BYTE_0 src1_sel:DWORD
	v_bfrev_b32_e32 v46, 1
	s_and_saveexec_b64 s[14:15], s[16:17]
	s_cbranch_execz .LBB668_266
; %bb.263:                              ;   in Loop: Header=BB668_213 Depth=1
	v_and_b32_e32 v42, 0x7f, v40
	v_cmp_ne_u32_e32 vcc, s19, v42
	v_mov_b32_e32 v46, 0x7f800001
	s_and_saveexec_b64 s[16:17], vcc
	s_cbranch_execz .LBB668_265
; %bb.264:                              ;   in Loop: Header=BB668_213 Depth=1
	v_and_b32_e32 v46, 7, v40
	v_ffbh_u32_e32 v50, v46
	v_min_u32_e32 v52, 32, v50
	v_subrev_u32_e32 v50, 28, v52
	v_lshlrev_b64 v[50:51], v50, v[40:41]
	v_lshrrev_b32_e32 v49, 3, v42
	v_sub_u32_e32 v51, 29, v52
	v_and_b32_e32 v50, 7, v50
	v_cmp_gt_u32_e32 vcc, 8, v42
	v_cndmask_b32_e32 v42, v49, v51, vcc
	v_cndmask_b32_e32 v46, v46, v50, vcc
	v_lshlrev_b32_e32 v49, 24, v40
	v_lshlrev_b32_e32 v46, 20, v46
	v_and_b32_e32 v49, 0x80000000, v49
	v_lshl_add_u32 v42, v42, 23, v48
	v_or3_b32 v46, v49, v42, v46
.LBB668_265:                            ;   in Loop: Header=BB668_213 Depth=1
	s_or_b64 exec, exec, s[16:17]
.LBB668_266:                            ;   in Loop: Header=BB668_213 Depth=1
	s_or_b64 exec, exec, s[14:15]
.LBB668_267:                            ;   in Loop: Header=BB668_213 Depth=1
	s_or_b64 exec, exec, s[12:13]
	v_lshrrev_b16_e32 v42, 8, v40
	v_cmp_ne_u16_e32 vcc, 0, v42
	v_mov_b32_e32 v50, 0
	s_and_saveexec_b64 s[12:13], vcc
	s_cbranch_execz .LBB668_273
; %bb.268:                              ;   in Loop: Header=BB668_213 Depth=1
	v_cmp_ne_u16_e32 vcc, s9, v42
	v_bfrev_b32_e32 v50, 1
	s_and_saveexec_b64 s[14:15], vcc
	s_cbranch_execz .LBB668_272
; %bb.269:                              ;   in Loop: Header=BB668_213 Depth=1
	v_and_b32_e32 v49, 0x7f, v42
	v_cmp_ne_u32_e32 vcc, s19, v49
	v_mov_b32_e32 v50, 0x7f800001
	s_and_saveexec_b64 s[16:17], vcc
	s_cbranch_execz .LBB668_271
; %bb.270:                              ;   in Loop: Header=BB668_213 Depth=1
	v_and_b32_e32 v52, 7, v42
	v_ffbh_u32_e32 v50, v52
	v_min_u32_e32 v62, 32, v50
	v_subrev_u32_e32 v50, 28, v62
	v_lshlrev_b64 v[50:51], v50, v[42:43]
	v_lshrrev_b32_e32 v53, 3, v49
	v_sub_u32_e32 v42, 29, v62
	v_and_b32_e32 v50, 7, v50
	v_cmp_gt_u32_e32 vcc, 8, v49
	v_cndmask_b32_e32 v42, v53, v42, vcc
	v_cndmask_b32_e32 v49, v52, v50, vcc
	v_lshlrev_b32_e32 v50, 16, v40
	v_lshlrev_b32_e32 v49, 20, v49
	v_and_b32_e32 v50, 0x80000000, v50
	v_lshl_add_u32 v42, v42, 23, v48
	v_or3_b32 v50, v50, v42, v49
.LBB668_271:                            ;   in Loop: Header=BB668_213 Depth=1
	s_or_b64 exec, exec, s[16:17]
.LBB668_272:                            ;   in Loop: Header=BB668_213 Depth=1
	s_or_b64 exec, exec, s[14:15]
.LBB668_273:                            ;   in Loop: Header=BB668_213 Depth=1
	s_or_b64 exec, exec, s[12:13]
	v_lshrrev_b32_e32 v42, 16, v40
	v_cmp_ne_u16_sdwa s[14:15], v42, v47 src0_sel:BYTE_0 src1_sel:DWORD
	s_and_saveexec_b64 s[12:13], s[14:15]
	s_cbranch_execz .LBB668_279
; %bb.274:                              ;   in Loop: Header=BB668_213 Depth=1
	v_cmp_ne_u16_sdwa s[16:17], v42, s9 src0_sel:BYTE_0 src1_sel:DWORD
	v_bfrev_b32_e32 v44, 1
	s_and_saveexec_b64 s[14:15], s[16:17]
	s_cbranch_execz .LBB668_278
; %bb.275:                              ;   in Loop: Header=BB668_213 Depth=1
	v_bfe_u32 v49, v40, 16, 7
	v_cmp_ne_u32_e32 vcc, s19, v49
	v_mov_b32_e32 v44, 0x7f800001
	s_and_saveexec_b64 s[16:17], vcc
	s_cbranch_execz .LBB668_277
; %bb.276:                              ;   in Loop: Header=BB668_213 Depth=1
	v_and_b32_e32 v44, 7, v42
	v_ffbh_u32_e32 v52, v44
	v_min_u32_e32 v62, 32, v52
	v_subrev_u32_e32 v52, 28, v62
	v_lshlrev_b64 v[52:53], v52, v[42:43]
	v_lshrrev_b32_e32 v51, 3, v49
	v_sub_u32_e32 v53, 29, v62
	v_and_b32_e32 v52, 7, v52
	v_cmp_gt_u32_e32 vcc, 8, v49
	v_cndmask_b32_e32 v49, v51, v53, vcc
	v_cndmask_b32_e32 v44, v44, v52, vcc
	v_lshlrev_b32_e32 v42, 24, v42
	v_lshlrev_b32_e32 v44, 20, v44
	v_and_b32_e32 v42, 0x80000000, v42
	v_lshl_add_u32 v49, v49, 23, v48
	v_or3_b32 v44, v42, v49, v44
.LBB668_277:                            ;   in Loop: Header=BB668_213 Depth=1
	s_or_b64 exec, exec, s[16:17]
.LBB668_278:                            ;   in Loop: Header=BB668_213 Depth=1
	s_or_b64 exec, exec, s[14:15]
.LBB668_279:                            ;   in Loop: Header=BB668_213 Depth=1
	s_or_b64 exec, exec, s[12:13]
	v_cmp_lt_u32_e32 vcc, s20, v40
	v_mov_b32_e32 v51, 0
	v_mov_b32_e32 v52, 0
	s_and_saveexec_b64 s[12:13], vcc
	s_cbranch_execz .LBB668_285
; %bb.280:                              ;   in Loop: Header=BB668_213 Depth=1
	v_lshrrev_b32_e32 v42, 24, v40
	v_cmp_ne_u32_e32 vcc, s9, v42
	v_bfrev_b32_e32 v52, 1
	s_and_saveexec_b64 s[14:15], vcc
	s_cbranch_execz .LBB668_284
; %bb.281:                              ;   in Loop: Header=BB668_213 Depth=1
	v_bfe_u32 v40, v40, 24, 7
	v_cmp_ne_u32_e32 vcc, s19, v40
	v_mov_b32_e32 v52, 0x7f800001
	s_and_saveexec_b64 s[16:17], vcc
	s_cbranch_execz .LBB668_283
; %bb.282:                              ;   in Loop: Header=BB668_213 Depth=1
	v_and_b32_e32 v49, 7, v42
	v_ffbh_u32_e32 v52, v49
	v_min_u32_e32 v63, 32, v52
	v_subrev_u32_e32 v52, 28, v63
	v_lshlrev_b64 v[52:53], v52, v[42:43]
	v_lshrrev_b32_e32 v62, 3, v40
	v_sub_u32_e32 v53, 29, v63
	v_and_b32_e32 v52, 7, v52
	v_cmp_gt_u32_e32 vcc, 8, v40
	v_cndmask_b32_e32 v40, v62, v53, vcc
	v_cndmask_b32_e32 v49, v49, v52, vcc
	v_lshlrev_b32_e32 v42, 24, v42
	v_lshlrev_b32_e32 v49, 20, v49
	v_and_b32_e32 v42, 0x80000000, v42
	v_lshl_add_u32 v40, v40, 23, v48
	v_or3_b32 v52, v42, v40, v49
.LBB668_283:                            ;   in Loop: Header=BB668_213 Depth=1
	s_or_b64 exec, exec, s[16:17]
.LBB668_284:                            ;   in Loop: Header=BB668_213 Depth=1
	s_or_b64 exec, exec, s[14:15]
.LBB668_285:                            ;   in Loop: Header=BB668_213 Depth=1
	s_or_b64 exec, exec, s[12:13]
	s_waitcnt vmcnt(0)
	v_cmp_ne_u16_sdwa s[14:15], v38, v47 src0_sel:BYTE_0 src1_sel:DWORD
	s_and_saveexec_b64 s[12:13], s[14:15]
	s_cbranch_execz .LBB668_291
; %bb.286:                              ;   in Loop: Header=BB668_213 Depth=1
	v_cmp_ne_u16_sdwa s[16:17], v38, s9 src0_sel:BYTE_0 src1_sel:DWORD
	v_bfrev_b32_e32 v51, 1
	s_and_saveexec_b64 s[14:15], s[16:17]
	s_cbranch_execz .LBB668_290
; %bb.287:                              ;   in Loop: Header=BB668_213 Depth=1
	v_and_b32_e32 v40, 0x7f, v38
	v_cmp_ne_u32_e32 vcc, s19, v40
	v_mov_b32_e32 v51, 0x7f800001
	s_and_saveexec_b64 s[16:17], vcc
	s_cbranch_execz .LBB668_289
; %bb.288:                              ;   in Loop: Header=BB668_213 Depth=1
	v_and_b32_e32 v42, 7, v38
	v_ffbh_u32_e32 v51, v42
	v_min_u32_e32 v51, 32, v51
	v_subrev_u32_e32 v53, 28, v51
	v_lshlrev_b64 v[62:63], v53, v[38:39]
	v_lshrrev_b32_e32 v49, 3, v40
	v_sub_u32_e32 v51, 29, v51
	v_and_b32_e32 v53, 7, v62
	v_cmp_gt_u32_e32 vcc, 8, v40
	v_cndmask_b32_e32 v40, v49, v51, vcc
	v_cndmask_b32_e32 v42, v42, v53, vcc
	v_lshlrev_b32_e32 v49, 24, v38
	v_lshlrev_b32_e32 v42, 20, v42
	v_and_b32_e32 v49, 0x80000000, v49
	v_lshl_add_u32 v40, v40, 23, v48
	v_or3_b32 v51, v49, v40, v42
.LBB668_289:                            ;   in Loop: Header=BB668_213 Depth=1
	s_or_b64 exec, exec, s[16:17]
.LBB668_290:                            ;   in Loop: Header=BB668_213 Depth=1
	s_or_b64 exec, exec, s[14:15]
.LBB668_291:                            ;   in Loop: Header=BB668_213 Depth=1
	s_or_b64 exec, exec, s[12:13]
	v_lshrrev_b16_e32 v40, 8, v38
	v_cmp_ne_u16_e32 vcc, 0, v40
	v_mov_b32_e32 v53, 0
	v_mov_b32_e32 v62, 0
	s_and_saveexec_b64 s[12:13], vcc
	s_cbranch_execz .LBB668_297
; %bb.292:                              ;   in Loop: Header=BB668_213 Depth=1
	v_cmp_ne_u16_e32 vcc, s9, v40
	v_bfrev_b32_e32 v62, 1
	s_and_saveexec_b64 s[14:15], vcc
	s_cbranch_execz .LBB668_296
; %bb.293:                              ;   in Loop: Header=BB668_213 Depth=1
	v_and_b32_e32 v42, 0x7f, v40
	v_cmp_ne_u32_e32 vcc, s19, v42
	v_mov_b32_e32 v62, 0x7f800001
	s_and_saveexec_b64 s[16:17], vcc
	s_cbranch_execz .LBB668_295
; %bb.294:                              ;   in Loop: Header=BB668_213 Depth=1
	v_and_b32_e32 v49, 7, v40
	v_ffbh_u32_e32 v62, v49
	v_min_u32_e32 v65, 32, v62
	v_subrev_u32_e32 v62, 28, v65
	v_lshlrev_b64 v[62:63], v62, v[40:41]
	v_lshrrev_b32_e32 v64, 3, v42
	v_sub_u32_e32 v40, 29, v65
	v_and_b32_e32 v62, 7, v62
	v_cmp_gt_u32_e32 vcc, 8, v42
	v_cndmask_b32_e32 v40, v64, v40, vcc
	v_cndmask_b32_e32 v42, v49, v62, vcc
	v_lshlrev_b32_e32 v49, 16, v38
	v_lshlrev_b32_e32 v42, 20, v42
	v_and_b32_e32 v49, 0x80000000, v49
	v_lshl_add_u32 v40, v40, 23, v48
	v_or3_b32 v62, v49, v40, v42
.LBB668_295:                            ;   in Loop: Header=BB668_213 Depth=1
	s_or_b64 exec, exec, s[16:17]
.LBB668_296:                            ;   in Loop: Header=BB668_213 Depth=1
	s_or_b64 exec, exec, s[14:15]
.LBB668_297:                            ;   in Loop: Header=BB668_213 Depth=1
	s_or_b64 exec, exec, s[12:13]
	v_lshrrev_b32_e32 v40, 16, v38
	v_cmp_ne_u16_sdwa s[14:15], v40, v47 src0_sel:BYTE_0 src1_sel:DWORD
	s_and_saveexec_b64 s[12:13], s[14:15]
	s_cbranch_execz .LBB668_303
; %bb.298:                              ;   in Loop: Header=BB668_213 Depth=1
	v_cmp_ne_u16_sdwa s[16:17], v40, s9 src0_sel:BYTE_0 src1_sel:DWORD
	v_bfrev_b32_e32 v53, 1
	s_and_saveexec_b64 s[14:15], s[16:17]
	s_cbranch_execz .LBB668_302
; %bb.299:                              ;   in Loop: Header=BB668_213 Depth=1
	v_bfe_u32 v42, v38, 16, 7
	v_cmp_ne_u32_e32 vcc, s19, v42
	v_mov_b32_e32 v53, 0x7f800001
	s_and_saveexec_b64 s[16:17], vcc
	s_cbranch_execz .LBB668_301
; %bb.300:                              ;   in Loop: Header=BB668_213 Depth=1
	v_and_b32_e32 v49, 7, v40
	v_ffbh_u32_e32 v63, v49
	v_min_u32_e32 v63, 32, v63
	v_subrev_u32_e32 v64, 28, v63
	v_lshlrev_b64 v[64:65], v64, v[40:41]
	v_lshrrev_b32_e32 v53, 3, v42
	v_sub_u32_e32 v63, 29, v63
	v_and_b32_e32 v64, 7, v64
	v_cmp_gt_u32_e32 vcc, 8, v42
	v_cndmask_b32_e32 v42, v53, v63, vcc
	v_cndmask_b32_e32 v49, v49, v64, vcc
	v_lshlrev_b32_e32 v40, 24, v40
	v_lshlrev_b32_e32 v49, 20, v49
	v_and_b32_e32 v40, 0x80000000, v40
	v_lshl_add_u32 v42, v42, 23, v48
	v_or3_b32 v53, v40, v42, v49
.LBB668_301:                            ;   in Loop: Header=BB668_213 Depth=1
	s_or_b64 exec, exec, s[16:17]
.LBB668_302:                            ;   in Loop: Header=BB668_213 Depth=1
	s_or_b64 exec, exec, s[14:15]
.LBB668_303:                            ;   in Loop: Header=BB668_213 Depth=1
	s_or_b64 exec, exec, s[12:13]
	v_cmp_lt_u32_e32 vcc, s20, v38
	v_mov_b32_e32 v49, 0
	v_mov_b32_e32 v63, 0
	s_and_saveexec_b64 s[12:13], vcc
	s_cbranch_execz .LBB668_309
; %bb.304:                              ;   in Loop: Header=BB668_213 Depth=1
	v_lshrrev_b32_e32 v40, 24, v38
	v_cmp_ne_u32_e32 vcc, s9, v40
	v_bfrev_b32_e32 v63, 1
	s_and_saveexec_b64 s[14:15], vcc
	s_cbranch_execz .LBB668_308
; %bb.305:                              ;   in Loop: Header=BB668_213 Depth=1
	v_bfe_u32 v38, v38, 24, 7
	v_cmp_ne_u32_e32 vcc, s19, v38
	v_mov_b32_e32 v63, 0x7f800001
	s_and_saveexec_b64 s[16:17], vcc
	s_cbranch_execz .LBB668_307
; %bb.306:                              ;   in Loop: Header=BB668_213 Depth=1
	v_and_b32_e32 v42, 7, v40
	v_ffbh_u32_e32 v64, v42
	v_min_u32_e32 v66, 32, v64
	v_subrev_u32_e32 v64, 28, v66
	v_lshlrev_b64 v[64:65], v64, v[40:41]
	v_lshrrev_b32_e32 v63, 3, v38
	v_sub_u32_e32 v65, 29, v66
	v_and_b32_e32 v64, 7, v64
	v_cmp_gt_u32_e32 vcc, 8, v38
	v_cndmask_b32_e32 v38, v63, v65, vcc
	v_cndmask_b32_e32 v42, v42, v64, vcc
	v_lshlrev_b32_e32 v40, 24, v40
	v_lshlrev_b32_e32 v42, 20, v42
	v_and_b32_e32 v40, 0x80000000, v40
	v_lshl_add_u32 v38, v38, 23, v48
	v_or3_b32 v63, v40, v38, v42
.LBB668_307:                            ;   in Loop: Header=BB668_213 Depth=1
	s_or_b64 exec, exec, s[16:17]
.LBB668_308:                            ;   in Loop: Header=BB668_213 Depth=1
	s_or_b64 exec, exec, s[14:15]
.LBB668_309:                            ;   in Loop: Header=BB668_213 Depth=1
	s_or_b64 exec, exec, s[12:13]
	v_cvt_pkrtz_f16_f32 v65, v44, v52
	buffer_load_dword v44, v61, s[0:3], 0 offen
	buffer_load_dword v42, v61, s[0:3], 0 offen offset:4
	buffer_load_dword v40, v61, s[0:3], 0 offen offset:8
	;; [unrolled: 1-line block ×3, first 2 shown]
	v_cvt_pkrtz_f16_f32 v64, v46, v50
	v_cvt_pkrtz_f16_f32 v50, v51, v62
	;; [unrolled: 1-line block ×3, first 2 shown]
	v_mfma_f32_16x16x16f16 v[34:37], v[64:65], v[6:7], v[34:37]
	s_waitcnt vmcnt(3)
	v_cmp_ne_u16_sdwa s[14:15], v44, v47 src0_sel:BYTE_0 src1_sel:DWORD
	v_mfma_f32_16x16x16f16 v[34:37], v[50:51], v[8:9], v[34:37]
	s_and_saveexec_b64 s[12:13], s[14:15]
	s_cbranch_execz .LBB668_315
; %bb.310:                              ;   in Loop: Header=BB668_213 Depth=1
	v_cmp_ne_u16_sdwa s[16:17], v44, s9 src0_sel:BYTE_0 src1_sel:DWORD
	v_bfrev_b32_e32 v49, 1
	s_and_saveexec_b64 s[14:15], s[16:17]
	s_cbranch_execz .LBB668_314
; %bb.311:                              ;   in Loop: Header=BB668_213 Depth=1
	v_and_b32_e32 v46, 0x7f, v44
	v_cmp_ne_u32_e32 vcc, s19, v46
	v_mov_b32_e32 v49, 0x7f800001
	s_and_saveexec_b64 s[16:17], vcc
	s_cbranch_execz .LBB668_313
; %bb.312:                              ;   in Loop: Header=BB668_213 Depth=1
	v_and_b32_e32 v49, 7, v44
	v_ffbh_u32_e32 v50, v49
	v_min_u32_e32 v53, 32, v50
	v_subrev_u32_e32 v50, 28, v53
	v_lshlrev_b64 v[50:51], v50, v[44:45]
	v_lshrrev_b32_e32 v52, 3, v46
	v_sub_u32_e32 v51, 29, v53
	v_and_b32_e32 v50, 7, v50
	v_cmp_gt_u32_e32 vcc, 8, v46
	v_cndmask_b32_e32 v46, v52, v51, vcc
	v_cndmask_b32_e32 v49, v49, v50, vcc
	v_lshlrev_b32_e32 v50, 24, v44
	v_lshlrev_b32_e32 v49, 20, v49
	v_and_b32_e32 v50, 0x80000000, v50
	v_lshl_add_u32 v46, v46, 23, v48
	v_or3_b32 v49, v50, v46, v49
.LBB668_313:                            ;   in Loop: Header=BB668_213 Depth=1
	s_or_b64 exec, exec, s[16:17]
.LBB668_314:                            ;   in Loop: Header=BB668_213 Depth=1
	s_or_b64 exec, exec, s[14:15]
.LBB668_315:                            ;   in Loop: Header=BB668_213 Depth=1
	s_or_b64 exec, exec, s[12:13]
	v_lshrrev_b16_e32 v46, 8, v44
	v_cmp_ne_u16_e32 vcc, 0, v46
	v_mov_b32_e32 v50, 0
	v_mov_b32_e32 v51, 0
	s_and_saveexec_b64 s[12:13], vcc
	s_cbranch_execz .LBB668_321
; %bb.316:                              ;   in Loop: Header=BB668_213 Depth=1
	v_cmp_ne_u16_e32 vcc, s9, v46
	v_bfrev_b32_e32 v51, 1
	s_and_saveexec_b64 s[14:15], vcc
	s_cbranch_execz .LBB668_320
; %bb.317:                              ;   in Loop: Header=BB668_213 Depth=1
	v_and_b32_e32 v52, 0x7f, v46
	v_cmp_ne_u32_e32 vcc, s19, v52
	v_mov_b32_e32 v51, 0x7f800001
	s_and_saveexec_b64 s[16:17], vcc
	s_cbranch_execz .LBB668_319
; %bb.318:                              ;   in Loop: Header=BB668_213 Depth=1
	v_and_b32_e32 v51, 7, v46
	v_ffbh_u32_e32 v61, v51
	v_min_u32_e32 v61, 32, v61
	v_subrev_u32_e32 v62, 28, v61
	v_lshlrev_b64 v[62:63], v62, v[46:47]
	v_lshrrev_b32_e32 v53, 3, v52
	v_sub_u32_e32 v46, 29, v61
	v_and_b32_e32 v61, 7, v62
	v_cmp_gt_u32_e32 vcc, 8, v52
	v_cndmask_b32_e32 v46, v53, v46, vcc
	v_cndmask_b32_e32 v51, v51, v61, vcc
	v_lshlrev_b32_e32 v52, 16, v44
	v_lshlrev_b32_e32 v51, 20, v51
	v_and_b32_e32 v52, 0x80000000, v52
	v_lshl_add_u32 v46, v46, 23, v48
	v_or3_b32 v51, v52, v46, v51
.LBB668_319:                            ;   in Loop: Header=BB668_213 Depth=1
	s_or_b64 exec, exec, s[16:17]
.LBB668_320:                            ;   in Loop: Header=BB668_213 Depth=1
	s_or_b64 exec, exec, s[14:15]
.LBB668_321:                            ;   in Loop: Header=BB668_213 Depth=1
	s_or_b64 exec, exec, s[12:13]
	v_lshrrev_b32_e32 v46, 16, v44
	v_cmp_ne_u16_sdwa s[14:15], v46, v47 src0_sel:BYTE_0 src1_sel:DWORD
	s_and_saveexec_b64 s[12:13], s[14:15]
	s_cbranch_execz .LBB668_327
; %bb.322:                              ;   in Loop: Header=BB668_213 Depth=1
	v_cmp_ne_u16_sdwa s[16:17], v46, s9 src0_sel:BYTE_0 src1_sel:DWORD
	v_bfrev_b32_e32 v50, 1
	s_and_saveexec_b64 s[14:15], s[16:17]
	s_cbranch_execz .LBB668_326
; %bb.323:                              ;   in Loop: Header=BB668_213 Depth=1
	v_bfe_u32 v52, v44, 16, 7
	v_cmp_ne_u32_e32 vcc, s19, v52
	v_mov_b32_e32 v50, 0x7f800001
	s_and_saveexec_b64 s[16:17], vcc
	s_cbranch_execz .LBB668_325
; %bb.324:                              ;   in Loop: Header=BB668_213 Depth=1
	v_and_b32_e32 v50, 7, v46
	v_ffbh_u32_e32 v61, v50
	v_min_u32_e32 v61, 32, v61
	v_subrev_u32_e32 v62, 28, v61
	v_lshlrev_b64 v[62:63], v62, v[46:47]
	v_lshrrev_b32_e32 v53, 3, v52
	v_sub_u32_e32 v61, 29, v61
	v_and_b32_e32 v62, 7, v62
	v_cmp_gt_u32_e32 vcc, 8, v52
	v_cndmask_b32_e32 v52, v53, v61, vcc
	v_cndmask_b32_e32 v50, v50, v62, vcc
	v_lshlrev_b32_e32 v46, 24, v46
	v_lshlrev_b32_e32 v50, 20, v50
	v_and_b32_e32 v46, 0x80000000, v46
	v_lshl_add_u32 v52, v52, 23, v48
	v_or3_b32 v50, v46, v52, v50
.LBB668_325:                            ;   in Loop: Header=BB668_213 Depth=1
	s_or_b64 exec, exec, s[16:17]
.LBB668_326:                            ;   in Loop: Header=BB668_213 Depth=1
	s_or_b64 exec, exec, s[14:15]
.LBB668_327:                            ;   in Loop: Header=BB668_213 Depth=1
	s_or_b64 exec, exec, s[12:13]
	v_cmp_lt_u32_e32 vcc, s20, v44
	v_mov_b32_e32 v52, 0
	v_mov_b32_e32 v53, 0
	s_and_saveexec_b64 s[12:13], vcc
	s_cbranch_execz .LBB668_333
; %bb.328:                              ;   in Loop: Header=BB668_213 Depth=1
	v_lshrrev_b32_e32 v46, 24, v44
	v_cmp_ne_u32_e32 vcc, s9, v46
	v_bfrev_b32_e32 v53, 1
	s_and_saveexec_b64 s[14:15], vcc
	s_cbranch_execz .LBB668_332
; %bb.329:                              ;   in Loop: Header=BB668_213 Depth=1
	v_bfe_u32 v44, v44, 24, 7
	v_cmp_ne_u32_e32 vcc, s19, v44
	v_mov_b32_e32 v53, 0x7f800001
	s_and_saveexec_b64 s[16:17], vcc
	s_cbranch_execz .LBB668_331
; %bb.330:                              ;   in Loop: Header=BB668_213 Depth=1
	v_and_b32_e32 v53, 7, v46
	v_ffbh_u32_e32 v62, v53
	v_min_u32_e32 v64, 32, v62
	v_subrev_u32_e32 v62, 28, v64
	v_lshlrev_b64 v[62:63], v62, v[46:47]
	v_lshrrev_b32_e32 v61, 3, v44
	v_sub_u32_e32 v63, 29, v64
	v_and_b32_e32 v62, 7, v62
	v_cmp_gt_u32_e32 vcc, 8, v44
	v_cndmask_b32_e32 v44, v61, v63, vcc
	v_cndmask_b32_e32 v53, v53, v62, vcc
	v_lshlrev_b32_e32 v46, 24, v46
	v_lshlrev_b32_e32 v53, 20, v53
	v_and_b32_e32 v46, 0x80000000, v46
	v_lshl_add_u32 v44, v44, 23, v48
	v_or3_b32 v53, v46, v44, v53
.LBB668_331:                            ;   in Loop: Header=BB668_213 Depth=1
	s_or_b64 exec, exec, s[16:17]
.LBB668_332:                            ;   in Loop: Header=BB668_213 Depth=1
	s_or_b64 exec, exec, s[14:15]
.LBB668_333:                            ;   in Loop: Header=BB668_213 Depth=1
	s_or_b64 exec, exec, s[12:13]
	s_waitcnt vmcnt(2)
	v_cmp_ne_u16_sdwa s[14:15], v42, v47 src0_sel:BYTE_0 src1_sel:DWORD
	s_and_saveexec_b64 s[12:13], s[14:15]
	s_cbranch_execz .LBB668_339
; %bb.334:                              ;   in Loop: Header=BB668_213 Depth=1
	v_cmp_ne_u16_sdwa s[16:17], v42, s9 src0_sel:BYTE_0 src1_sel:DWORD
	v_bfrev_b32_e32 v52, 1
	s_and_saveexec_b64 s[14:15], s[16:17]
	s_cbranch_execz .LBB668_338
; %bb.335:                              ;   in Loop: Header=BB668_213 Depth=1
	v_and_b32_e32 v44, 0x7f, v42
	v_cmp_ne_u32_e32 vcc, s19, v44
	v_mov_b32_e32 v52, 0x7f800001
	s_and_saveexec_b64 s[16:17], vcc
	s_cbranch_execz .LBB668_337
; %bb.336:                              ;   in Loop: Header=BB668_213 Depth=1
	v_and_b32_e32 v46, 7, v42
	v_ffbh_u32_e32 v61, v46
	v_min_u32_e32 v61, 32, v61
	v_subrev_u32_e32 v62, 28, v61
	v_lshlrev_b64 v[62:63], v62, v[42:43]
	v_lshrrev_b32_e32 v52, 3, v44
	v_sub_u32_e32 v61, 29, v61
	v_and_b32_e32 v62, 7, v62
	v_cmp_gt_u32_e32 vcc, 8, v44
	v_cndmask_b32_e32 v44, v52, v61, vcc
	v_cndmask_b32_e32 v46, v46, v62, vcc
	v_lshlrev_b32_e32 v52, 24, v42
	v_lshlrev_b32_e32 v46, 20, v46
	v_and_b32_e32 v52, 0x80000000, v52
	v_lshl_add_u32 v44, v44, 23, v48
	v_or3_b32 v52, v52, v44, v46
.LBB668_337:                            ;   in Loop: Header=BB668_213 Depth=1
	s_or_b64 exec, exec, s[16:17]
.LBB668_338:                            ;   in Loop: Header=BB668_213 Depth=1
	s_or_b64 exec, exec, s[14:15]
.LBB668_339:                            ;   in Loop: Header=BB668_213 Depth=1
	s_or_b64 exec, exec, s[12:13]
	v_lshrrev_b16_e32 v44, 8, v42
	v_cmp_ne_u16_e32 vcc, 0, v44
	v_mov_b32_e32 v61, 0
	v_mov_b32_e32 v62, 0
	s_and_saveexec_b64 s[12:13], vcc
	s_cbranch_execz .LBB668_345
; %bb.340:                              ;   in Loop: Header=BB668_213 Depth=1
	v_cmp_ne_u16_e32 vcc, s9, v44
	v_bfrev_b32_e32 v62, 1
	s_and_saveexec_b64 s[14:15], vcc
	s_cbranch_execz .LBB668_344
; %bb.341:                              ;   in Loop: Header=BB668_213 Depth=1
	v_and_b32_e32 v46, 0x7f, v44
	v_cmp_ne_u32_e32 vcc, s19, v46
	v_mov_b32_e32 v62, 0x7f800001
	s_and_saveexec_b64 s[16:17], vcc
	s_cbranch_execz .LBB668_343
; %bb.342:                              ;   in Loop: Header=BB668_213 Depth=1
	v_and_b32_e32 v64, 7, v44
	v_ffbh_u32_e32 v62, v64
	v_min_u32_e32 v66, 32, v62
	v_subrev_u32_e32 v62, 28, v66
	v_lshlrev_b64 v[62:63], v62, v[44:45]
	v_lshrrev_b32_e32 v65, 3, v46
	v_sub_u32_e32 v44, 29, v66
	v_and_b32_e32 v62, 7, v62
	v_cmp_gt_u32_e32 vcc, 8, v46
	v_cndmask_b32_e32 v44, v65, v44, vcc
	v_cndmask_b32_e32 v46, v64, v62, vcc
	v_lshlrev_b32_e32 v62, 16, v42
	v_lshlrev_b32_e32 v46, 20, v46
	v_and_b32_e32 v62, 0x80000000, v62
	v_lshl_add_u32 v44, v44, 23, v48
	v_or3_b32 v62, v62, v44, v46
.LBB668_343:                            ;   in Loop: Header=BB668_213 Depth=1
	s_or_b64 exec, exec, s[16:17]
.LBB668_344:                            ;   in Loop: Header=BB668_213 Depth=1
	s_or_b64 exec, exec, s[14:15]
.LBB668_345:                            ;   in Loop: Header=BB668_213 Depth=1
	s_or_b64 exec, exec, s[12:13]
	v_lshrrev_b32_e32 v44, 16, v42
	v_cmp_ne_u16_sdwa s[14:15], v44, v47 src0_sel:BYTE_0 src1_sel:DWORD
	s_and_saveexec_b64 s[12:13], s[14:15]
	s_cbranch_execz .LBB668_351
; %bb.346:                              ;   in Loop: Header=BB668_213 Depth=1
	v_cmp_ne_u16_sdwa s[16:17], v44, s9 src0_sel:BYTE_0 src1_sel:DWORD
	v_bfrev_b32_e32 v61, 1
	s_and_saveexec_b64 s[14:15], s[16:17]
	s_cbranch_execz .LBB668_350
; %bb.347:                              ;   in Loop: Header=BB668_213 Depth=1
	v_bfe_u32 v46, v42, 16, 7
	v_cmp_ne_u32_e32 vcc, s19, v46
	v_mov_b32_e32 v61, 0x7f800001
	s_and_saveexec_b64 s[16:17], vcc
	s_cbranch_execz .LBB668_349
; %bb.348:                              ;   in Loop: Header=BB668_213 Depth=1
	v_and_b32_e32 v61, 7, v44
	v_ffbh_u32_e32 v64, v61
	v_min_u32_e32 v66, 32, v64
	v_subrev_u32_e32 v64, 28, v66
	v_lshlrev_b64 v[64:65], v64, v[44:45]
	v_lshrrev_b32_e32 v63, 3, v46
	v_sub_u32_e32 v65, 29, v66
	v_and_b32_e32 v64, 7, v64
	v_cmp_gt_u32_e32 vcc, 8, v46
	v_cndmask_b32_e32 v46, v63, v65, vcc
	v_cndmask_b32_e32 v61, v61, v64, vcc
	v_lshlrev_b32_e32 v44, 24, v44
	v_lshlrev_b32_e32 v61, 20, v61
	v_and_b32_e32 v44, 0x80000000, v44
	v_lshl_add_u32 v46, v46, 23, v48
	v_or3_b32 v61, v44, v46, v61
.LBB668_349:                            ;   in Loop: Header=BB668_213 Depth=1
	s_or_b64 exec, exec, s[16:17]
.LBB668_350:                            ;   in Loop: Header=BB668_213 Depth=1
	s_or_b64 exec, exec, s[14:15]
.LBB668_351:                            ;   in Loop: Header=BB668_213 Depth=1
	s_or_b64 exec, exec, s[12:13]
	v_cmp_lt_u32_e32 vcc, s20, v42
	v_mov_b32_e32 v46, 0
	v_mov_b32_e32 v63, 0
	s_and_saveexec_b64 s[12:13], vcc
	s_cbranch_execz .LBB668_357
; %bb.352:                              ;   in Loop: Header=BB668_213 Depth=1
	v_lshrrev_b32_e32 v44, 24, v42
	v_cmp_ne_u32_e32 vcc, s9, v44
	v_bfrev_b32_e32 v63, 1
	s_and_saveexec_b64 s[14:15], vcc
	s_cbranch_execz .LBB668_356
; %bb.353:                              ;   in Loop: Header=BB668_213 Depth=1
	v_bfe_u32 v42, v42, 24, 7
	v_cmp_ne_u32_e32 vcc, s19, v42
	v_mov_b32_e32 v63, 0x7f800001
	s_and_saveexec_b64 s[16:17], vcc
	s_cbranch_execz .LBB668_355
; %bb.354:                              ;   in Loop: Header=BB668_213 Depth=1
	v_and_b32_e32 v63, 7, v44
	v_ffbh_u32_e32 v64, v63
	v_min_u32_e32 v67, 32, v64
	v_subrev_u32_e32 v64, 28, v67
	v_lshlrev_b64 v[64:65], v64, v[44:45]
	v_lshrrev_b32_e32 v66, 3, v42
	v_sub_u32_e32 v65, 29, v67
	v_and_b32_e32 v64, 7, v64
	v_cmp_gt_u32_e32 vcc, 8, v42
	v_cndmask_b32_e32 v42, v66, v65, vcc
	v_cndmask_b32_e32 v63, v63, v64, vcc
	v_lshlrev_b32_e32 v44, 24, v44
	v_lshlrev_b32_e32 v63, 20, v63
	v_and_b32_e32 v44, 0x80000000, v44
	v_lshl_add_u32 v42, v42, 23, v48
	v_or3_b32 v63, v44, v42, v63
.LBB668_355:                            ;   in Loop: Header=BB668_213 Depth=1
	s_or_b64 exec, exec, s[16:17]
.LBB668_356:                            ;   in Loop: Header=BB668_213 Depth=1
	s_or_b64 exec, exec, s[14:15]
.LBB668_357:                            ;   in Loop: Header=BB668_213 Depth=1
	s_or_b64 exec, exec, s[12:13]
	v_cvt_pkrtz_f16_f32 v64, v49, v51
	v_cvt_pkrtz_f16_f32 v65, v50, v53
	;; [unrolled: 1-line block ×4, first 2 shown]
	s_waitcnt vmcnt(1)
	v_cmp_ne_u16_sdwa s[14:15], v40, v47 src0_sel:BYTE_0 src1_sel:DWORD
	v_mfma_f32_16x16x16f16 v[34:37], v[64:65], v[10:11], v[34:37]
	v_mfma_f32_16x16x16f16 v[34:37], v[50:51], v[12:13], v[34:37]
	s_and_saveexec_b64 s[12:13], s[14:15]
	s_cbranch_execz .LBB668_363
; %bb.358:                              ;   in Loop: Header=BB668_213 Depth=1
	v_cmp_ne_u16_sdwa s[16:17], v40, s9 src0_sel:BYTE_0 src1_sel:DWORD
	v_bfrev_b32_e32 v46, 1
	s_and_saveexec_b64 s[14:15], s[16:17]
	s_cbranch_execz .LBB668_362
; %bb.359:                              ;   in Loop: Header=BB668_213 Depth=1
	v_and_b32_e32 v42, 0x7f, v40
	v_cmp_ne_u32_e32 vcc, s19, v42
	v_mov_b32_e32 v46, 0x7f800001
	s_and_saveexec_b64 s[16:17], vcc
	s_cbranch_execz .LBB668_361
; %bb.360:                              ;   in Loop: Header=BB668_213 Depth=1
	v_and_b32_e32 v44, 7, v40
	v_ffbh_u32_e32 v49, v44
	v_min_u32_e32 v49, 32, v49
	v_subrev_u32_e32 v50, 28, v49
	v_lshlrev_b64 v[50:51], v50, v[40:41]
	v_lshrrev_b32_e32 v46, 3, v42
	v_sub_u32_e32 v49, 29, v49
	v_and_b32_e32 v50, 7, v50
	v_cmp_gt_u32_e32 vcc, 8, v42
	v_cndmask_b32_e32 v42, v46, v49, vcc
	v_cndmask_b32_e32 v44, v44, v50, vcc
	v_lshlrev_b32_e32 v46, 24, v40
	v_lshlrev_b32_e32 v44, 20, v44
	v_and_b32_e32 v46, 0x80000000, v46
	v_lshl_add_u32 v42, v42, 23, v48
	v_or3_b32 v46, v46, v42, v44
.LBB668_361:                            ;   in Loop: Header=BB668_213 Depth=1
	s_or_b64 exec, exec, s[16:17]
.LBB668_362:                            ;   in Loop: Header=BB668_213 Depth=1
	s_or_b64 exec, exec, s[14:15]
.LBB668_363:                            ;   in Loop: Header=BB668_213 Depth=1
	s_or_b64 exec, exec, s[12:13]
	v_lshrrev_b16_e32 v42, 8, v40
	v_cmp_ne_u16_e32 vcc, 0, v42
	v_mov_b32_e32 v44, 0
	v_mov_b32_e32 v50, 0
	s_and_saveexec_b64 s[12:13], vcc
	s_cbranch_execz .LBB668_369
; %bb.364:                              ;   in Loop: Header=BB668_213 Depth=1
	v_cmp_ne_u16_e32 vcc, s9, v42
	v_bfrev_b32_e32 v50, 1
	s_and_saveexec_b64 s[14:15], vcc
	s_cbranch_execz .LBB668_368
; %bb.365:                              ;   in Loop: Header=BB668_213 Depth=1
	v_and_b32_e32 v49, 0x7f, v42
	v_cmp_ne_u32_e32 vcc, s19, v49
	v_mov_b32_e32 v50, 0x7f800001
	s_and_saveexec_b64 s[16:17], vcc
	s_cbranch_execz .LBB668_367
; %bb.366:                              ;   in Loop: Header=BB668_213 Depth=1
	v_and_b32_e32 v52, 7, v42
	v_ffbh_u32_e32 v50, v52
	v_min_u32_e32 v61, 32, v50
	v_subrev_u32_e32 v50, 28, v61
	v_lshlrev_b64 v[50:51], v50, v[42:43]
	v_lshrrev_b32_e32 v53, 3, v49
	v_sub_u32_e32 v42, 29, v61
	v_and_b32_e32 v50, 7, v50
	v_cmp_gt_u32_e32 vcc, 8, v49
	v_cndmask_b32_e32 v42, v53, v42, vcc
	v_cndmask_b32_e32 v49, v52, v50, vcc
	v_lshlrev_b32_e32 v50, 16, v40
	v_lshlrev_b32_e32 v49, 20, v49
	v_and_b32_e32 v50, 0x80000000, v50
	v_lshl_add_u32 v42, v42, 23, v48
	v_or3_b32 v50, v50, v42, v49
.LBB668_367:                            ;   in Loop: Header=BB668_213 Depth=1
	s_or_b64 exec, exec, s[16:17]
.LBB668_368:                            ;   in Loop: Header=BB668_213 Depth=1
	s_or_b64 exec, exec, s[14:15]
.LBB668_369:                            ;   in Loop: Header=BB668_213 Depth=1
	s_or_b64 exec, exec, s[12:13]
	v_lshrrev_b32_e32 v42, 16, v40
	v_cmp_ne_u16_sdwa s[14:15], v42, v47 src0_sel:BYTE_0 src1_sel:DWORD
	s_and_saveexec_b64 s[12:13], s[14:15]
	s_cbranch_execz .LBB668_375
; %bb.370:                              ;   in Loop: Header=BB668_213 Depth=1
	v_cmp_ne_u16_sdwa s[16:17], v42, s9 src0_sel:BYTE_0 src1_sel:DWORD
	v_bfrev_b32_e32 v44, 1
	s_and_saveexec_b64 s[14:15], s[16:17]
	s_cbranch_execz .LBB668_374
; %bb.371:                              ;   in Loop: Header=BB668_213 Depth=1
	v_bfe_u32 v49, v40, 16, 7
	v_cmp_ne_u32_e32 vcc, s19, v49
	v_mov_b32_e32 v44, 0x7f800001
	s_and_saveexec_b64 s[16:17], vcc
	s_cbranch_execz .LBB668_373
; %bb.372:                              ;   in Loop: Header=BB668_213 Depth=1
	v_and_b32_e32 v44, 7, v42
	v_ffbh_u32_e32 v52, v44
	v_min_u32_e32 v61, 32, v52
	v_subrev_u32_e32 v52, 28, v61
	v_lshlrev_b64 v[52:53], v52, v[42:43]
	v_lshrrev_b32_e32 v51, 3, v49
	v_sub_u32_e32 v53, 29, v61
	v_and_b32_e32 v52, 7, v52
	v_cmp_gt_u32_e32 vcc, 8, v49
	v_cndmask_b32_e32 v49, v51, v53, vcc
	v_cndmask_b32_e32 v44, v44, v52, vcc
	v_lshlrev_b32_e32 v42, 24, v42
	v_lshlrev_b32_e32 v44, 20, v44
	v_and_b32_e32 v42, 0x80000000, v42
	v_lshl_add_u32 v49, v49, 23, v48
	v_or3_b32 v44, v42, v49, v44
.LBB668_373:                            ;   in Loop: Header=BB668_213 Depth=1
	s_or_b64 exec, exec, s[16:17]
.LBB668_374:                            ;   in Loop: Header=BB668_213 Depth=1
	s_or_b64 exec, exec, s[14:15]
.LBB668_375:                            ;   in Loop: Header=BB668_213 Depth=1
	s_or_b64 exec, exec, s[12:13]
	v_cmp_lt_u32_e32 vcc, s20, v40
	v_mov_b32_e32 v51, 0
	v_mov_b32_e32 v52, 0
	s_and_saveexec_b64 s[12:13], vcc
	s_cbranch_execz .LBB668_381
; %bb.376:                              ;   in Loop: Header=BB668_213 Depth=1
	v_lshrrev_b32_e32 v42, 24, v40
	v_cmp_ne_u32_e32 vcc, s9, v42
	v_bfrev_b32_e32 v52, 1
	s_and_saveexec_b64 s[14:15], vcc
	s_cbranch_execz .LBB668_380
; %bb.377:                              ;   in Loop: Header=BB668_213 Depth=1
	v_bfe_u32 v40, v40, 24, 7
	v_cmp_ne_u32_e32 vcc, s19, v40
	v_mov_b32_e32 v52, 0x7f800001
	s_and_saveexec_b64 s[16:17], vcc
	s_cbranch_execz .LBB668_379
; %bb.378:                              ;   in Loop: Header=BB668_213 Depth=1
	v_and_b32_e32 v49, 7, v42
	v_ffbh_u32_e32 v52, v49
	v_min_u32_e32 v62, 32, v52
	v_subrev_u32_e32 v52, 28, v62
	v_lshlrev_b64 v[52:53], v52, v[42:43]
	v_lshrrev_b32_e32 v61, 3, v40
	v_sub_u32_e32 v53, 29, v62
	v_and_b32_e32 v52, 7, v52
	v_cmp_gt_u32_e32 vcc, 8, v40
	v_cndmask_b32_e32 v40, v61, v53, vcc
	v_cndmask_b32_e32 v49, v49, v52, vcc
	v_lshlrev_b32_e32 v42, 24, v42
	v_lshlrev_b32_e32 v49, 20, v49
	v_and_b32_e32 v42, 0x80000000, v42
	v_lshl_add_u32 v40, v40, 23, v48
	v_or3_b32 v52, v42, v40, v49
.LBB668_379:                            ;   in Loop: Header=BB668_213 Depth=1
	s_or_b64 exec, exec, s[16:17]
.LBB668_380:                            ;   in Loop: Header=BB668_213 Depth=1
	s_or_b64 exec, exec, s[14:15]
.LBB668_381:                            ;   in Loop: Header=BB668_213 Depth=1
	s_or_b64 exec, exec, s[12:13]
	s_waitcnt vmcnt(0)
	v_cmp_ne_u16_sdwa s[14:15], v38, v47 src0_sel:BYTE_0 src1_sel:DWORD
	s_and_saveexec_b64 s[12:13], s[14:15]
	s_cbranch_execz .LBB668_387
; %bb.382:                              ;   in Loop: Header=BB668_213 Depth=1
	v_cmp_ne_u16_sdwa s[16:17], v38, s9 src0_sel:BYTE_0 src1_sel:DWORD
	v_bfrev_b32_e32 v51, 1
	s_and_saveexec_b64 s[14:15], s[16:17]
	s_cbranch_execz .LBB668_386
; %bb.383:                              ;   in Loop: Header=BB668_213 Depth=1
	v_and_b32_e32 v40, 0x7f, v38
	v_cmp_ne_u32_e32 vcc, s19, v40
	v_mov_b32_e32 v51, 0x7f800001
	s_and_saveexec_b64 s[16:17], vcc
	s_cbranch_execz .LBB668_385
; %bb.384:                              ;   in Loop: Header=BB668_213 Depth=1
	v_and_b32_e32 v42, 7, v38
	v_ffbh_u32_e32 v51, v42
	v_min_u32_e32 v51, 32, v51
	v_subrev_u32_e32 v53, 28, v51
	v_lshlrev_b64 v[62:63], v53, v[38:39]
	v_lshrrev_b32_e32 v49, 3, v40
	v_sub_u32_e32 v51, 29, v51
	v_and_b32_e32 v53, 7, v62
	v_cmp_gt_u32_e32 vcc, 8, v40
	v_cndmask_b32_e32 v40, v49, v51, vcc
	v_cndmask_b32_e32 v42, v42, v53, vcc
	v_lshlrev_b32_e32 v49, 24, v38
	v_lshlrev_b32_e32 v42, 20, v42
	v_and_b32_e32 v49, 0x80000000, v49
	v_lshl_add_u32 v40, v40, 23, v48
	v_or3_b32 v51, v49, v40, v42
.LBB668_385:                            ;   in Loop: Header=BB668_213 Depth=1
	s_or_b64 exec, exec, s[16:17]
.LBB668_386:                            ;   in Loop: Header=BB668_213 Depth=1
	s_or_b64 exec, exec, s[14:15]
.LBB668_387:                            ;   in Loop: Header=BB668_213 Depth=1
	s_or_b64 exec, exec, s[12:13]
	v_lshrrev_b16_e32 v40, 8, v38
	v_cmp_ne_u16_e32 vcc, 0, v40
	v_mov_b32_e32 v53, 0
	v_mov_b32_e32 v61, 0
	s_and_saveexec_b64 s[12:13], vcc
	s_cbranch_execz .LBB668_393
; %bb.388:                              ;   in Loop: Header=BB668_213 Depth=1
	v_cmp_ne_u16_e32 vcc, s9, v40
	v_bfrev_b32_e32 v61, 1
	s_and_saveexec_b64 s[14:15], vcc
	s_cbranch_execz .LBB668_392
; %bb.389:                              ;   in Loop: Header=BB668_213 Depth=1
	v_and_b32_e32 v42, 0x7f, v40
	v_cmp_ne_u32_e32 vcc, s19, v42
	v_mov_b32_e32 v61, 0x7f800001
	s_and_saveexec_b64 s[16:17], vcc
	s_cbranch_execz .LBB668_391
; %bb.390:                              ;   in Loop: Header=BB668_213 Depth=1
	v_and_b32_e32 v49, 7, v40
	v_ffbh_u32_e32 v62, v49
	v_min_u32_e32 v64, 32, v62
	v_subrev_u32_e32 v62, 28, v64
	v_lshlrev_b64 v[62:63], v62, v[40:41]
	v_lshrrev_b32_e32 v61, 3, v42
	v_sub_u32_e32 v40, 29, v64
	v_and_b32_e32 v62, 7, v62
	v_cmp_gt_u32_e32 vcc, 8, v42
	v_cndmask_b32_e32 v40, v61, v40, vcc
	v_cndmask_b32_e32 v42, v49, v62, vcc
	v_lshlrev_b32_e32 v49, 16, v38
	v_lshlrev_b32_e32 v42, 20, v42
	v_and_b32_e32 v49, 0x80000000, v49
	v_lshl_add_u32 v40, v40, 23, v48
	v_or3_b32 v61, v49, v40, v42
.LBB668_391:                            ;   in Loop: Header=BB668_213 Depth=1
	s_or_b64 exec, exec, s[16:17]
.LBB668_392:                            ;   in Loop: Header=BB668_213 Depth=1
	s_or_b64 exec, exec, s[14:15]
.LBB668_393:                            ;   in Loop: Header=BB668_213 Depth=1
	s_or_b64 exec, exec, s[12:13]
	v_lshrrev_b32_e32 v40, 16, v38
	v_cmp_ne_u16_sdwa s[14:15], v40, v47 src0_sel:BYTE_0 src1_sel:DWORD
	s_and_saveexec_b64 s[12:13], s[14:15]
	s_cbranch_execz .LBB668_399
; %bb.394:                              ;   in Loop: Header=BB668_213 Depth=1
	v_cmp_ne_u16_sdwa s[16:17], v40, s9 src0_sel:BYTE_0 src1_sel:DWORD
	v_bfrev_b32_e32 v53, 1
	s_and_saveexec_b64 s[14:15], s[16:17]
	s_cbranch_execz .LBB668_398
; %bb.395:                              ;   in Loop: Header=BB668_213 Depth=1
	v_bfe_u32 v42, v38, 16, 7
	v_cmp_ne_u32_e32 vcc, s19, v42
	v_mov_b32_e32 v53, 0x7f800001
	s_and_saveexec_b64 s[16:17], vcc
	s_cbranch_execz .LBB668_397
; %bb.396:                              ;   in Loop: Header=BB668_213 Depth=1
	v_and_b32_e32 v49, 7, v40
	v_ffbh_u32_e32 v62, v49
	v_min_u32_e32 v64, 32, v62
	v_subrev_u32_e32 v62, 28, v64
	v_lshlrev_b64 v[62:63], v62, v[40:41]
	v_lshrrev_b32_e32 v53, 3, v42
	v_sub_u32_e32 v63, 29, v64
	v_and_b32_e32 v62, 7, v62
	v_cmp_gt_u32_e32 vcc, 8, v42
	v_cndmask_b32_e32 v42, v53, v63, vcc
	v_cndmask_b32_e32 v49, v49, v62, vcc
	v_lshlrev_b32_e32 v40, 24, v40
	v_lshlrev_b32_e32 v49, 20, v49
	v_and_b32_e32 v40, 0x80000000, v40
	v_lshl_add_u32 v42, v42, 23, v48
	v_or3_b32 v53, v40, v42, v49
.LBB668_397:                            ;   in Loop: Header=BB668_213 Depth=1
	s_or_b64 exec, exec, s[16:17]
.LBB668_398:                            ;   in Loop: Header=BB668_213 Depth=1
	s_or_b64 exec, exec, s[14:15]
.LBB668_399:                            ;   in Loop: Header=BB668_213 Depth=1
	s_or_b64 exec, exec, s[12:13]
	v_cmp_lt_u32_e32 vcc, s20, v38
	v_mov_b32_e32 v49, 0
	v_mov_b32_e32 v62, 0
	s_and_saveexec_b64 s[12:13], vcc
	s_cbranch_execz .LBB668_405
; %bb.400:                              ;   in Loop: Header=BB668_213 Depth=1
	v_lshrrev_b32_e32 v40, 24, v38
	v_cmp_ne_u32_e32 vcc, s9, v40
	v_bfrev_b32_e32 v62, 1
	s_and_saveexec_b64 s[14:15], vcc
	s_cbranch_execz .LBB668_404
; %bb.401:                              ;   in Loop: Header=BB668_213 Depth=1
	v_bfe_u32 v38, v38, 24, 7
	v_cmp_ne_u32_e32 vcc, s19, v38
	v_mov_b32_e32 v62, 0x7f800001
	s_and_saveexec_b64 s[16:17], vcc
	s_cbranch_execz .LBB668_403
; %bb.402:                              ;   in Loop: Header=BB668_213 Depth=1
	v_and_b32_e32 v42, 7, v40
	v_ffbh_u32_e32 v62, v42
	v_min_u32_e32 v65, 32, v62
	v_subrev_u32_e32 v62, 28, v65
	v_lshlrev_b64 v[62:63], v62, v[40:41]
	v_lshrrev_b32_e32 v64, 3, v38
	v_sub_u32_e32 v63, 29, v65
	v_and_b32_e32 v62, 7, v62
	v_cmp_gt_u32_e32 vcc, 8, v38
	v_cndmask_b32_e32 v38, v64, v63, vcc
	v_cndmask_b32_e32 v42, v42, v62, vcc
	v_lshlrev_b32_e32 v40, 24, v40
	v_lshlrev_b32_e32 v42, 20, v42
	v_and_b32_e32 v40, 0x80000000, v40
	v_lshl_add_u32 v38, v38, 23, v48
	v_or3_b32 v62, v40, v38, v42
.LBB668_403:                            ;   in Loop: Header=BB668_213 Depth=1
	s_or_b64 exec, exec, s[16:17]
.LBB668_404:                            ;   in Loop: Header=BB668_213 Depth=1
	s_or_b64 exec, exec, s[14:15]
.LBB668_405:                            ;   in Loop: Header=BB668_213 Depth=1
	s_or_b64 exec, exec, s[12:13]
	v_cvt_pkrtz_f16_f32 v65, v44, v52
	buffer_load_dword v44, v60, s[0:3], 0 offen
	buffer_load_dword v42, v60, s[0:3], 0 offen offset:4
	buffer_load_dword v40, v60, s[0:3], 0 offen offset:8
	;; [unrolled: 1-line block ×3, first 2 shown]
	v_cvt_pkrtz_f16_f32 v64, v46, v50
	v_cvt_pkrtz_f16_f32 v50, v51, v61
	;; [unrolled: 1-line block ×3, first 2 shown]
	v_mfma_f32_16x16x16f16 v[34:37], v[64:65], v[14:15], v[34:37]
	s_waitcnt vmcnt(3)
	v_cmp_ne_u16_sdwa s[14:15], v44, v47 src0_sel:BYTE_0 src1_sel:DWORD
	v_mfma_f32_16x16x16f16 v[34:37], v[50:51], v[16:17], v[34:37]
	s_and_saveexec_b64 s[12:13], s[14:15]
	s_cbranch_execz .LBB668_411
; %bb.406:                              ;   in Loop: Header=BB668_213 Depth=1
	v_cmp_ne_u16_sdwa s[16:17], v44, s9 src0_sel:BYTE_0 src1_sel:DWORD
	v_bfrev_b32_e32 v49, 1
	s_and_saveexec_b64 s[14:15], s[16:17]
	s_cbranch_execz .LBB668_410
; %bb.407:                              ;   in Loop: Header=BB668_213 Depth=1
	v_and_b32_e32 v46, 0x7f, v44
	v_cmp_ne_u32_e32 vcc, s19, v46
	v_mov_b32_e32 v49, 0x7f800001
	s_and_saveexec_b64 s[16:17], vcc
	s_cbranch_execz .LBB668_409
; %bb.408:                              ;   in Loop: Header=BB668_213 Depth=1
	v_and_b32_e32 v49, 7, v44
	v_ffbh_u32_e32 v50, v49
	v_min_u32_e32 v53, 32, v50
	v_subrev_u32_e32 v50, 28, v53
	v_lshlrev_b64 v[50:51], v50, v[44:45]
	v_lshrrev_b32_e32 v52, 3, v46
	v_sub_u32_e32 v51, 29, v53
	v_and_b32_e32 v50, 7, v50
	v_cmp_gt_u32_e32 vcc, 8, v46
	v_cndmask_b32_e32 v46, v52, v51, vcc
	v_cndmask_b32_e32 v49, v49, v50, vcc
	v_lshlrev_b32_e32 v50, 24, v44
	v_lshlrev_b32_e32 v49, 20, v49
	v_and_b32_e32 v50, 0x80000000, v50
	v_lshl_add_u32 v46, v46, 23, v48
	v_or3_b32 v49, v50, v46, v49
.LBB668_409:                            ;   in Loop: Header=BB668_213 Depth=1
	s_or_b64 exec, exec, s[16:17]
.LBB668_410:                            ;   in Loop: Header=BB668_213 Depth=1
	s_or_b64 exec, exec, s[14:15]
.LBB668_411:                            ;   in Loop: Header=BB668_213 Depth=1
	s_or_b64 exec, exec, s[12:13]
	v_lshrrev_b16_e32 v46, 8, v44
	v_cmp_ne_u16_e32 vcc, 0, v46
	v_mov_b32_e32 v50, 0
	v_mov_b32_e32 v51, 0
	s_and_saveexec_b64 s[12:13], vcc
	s_cbranch_execz .LBB668_417
; %bb.412:                              ;   in Loop: Header=BB668_213 Depth=1
	v_cmp_ne_u16_e32 vcc, s9, v46
	v_bfrev_b32_e32 v51, 1
	s_and_saveexec_b64 s[14:15], vcc
	s_cbranch_execz .LBB668_416
; %bb.413:                              ;   in Loop: Header=BB668_213 Depth=1
	v_and_b32_e32 v52, 0x7f, v46
	v_cmp_ne_u32_e32 vcc, s19, v52
	v_mov_b32_e32 v51, 0x7f800001
	s_and_saveexec_b64 s[16:17], vcc
	s_cbranch_execz .LBB668_415
; %bb.414:                              ;   in Loop: Header=BB668_213 Depth=1
	v_and_b32_e32 v51, 7, v46
	v_ffbh_u32_e32 v60, v51
	v_min_u32_e32 v62, 32, v60
	v_subrev_u32_e32 v60, 28, v62
	v_lshlrev_b64 v[60:61], v60, v[46:47]
	v_lshrrev_b32_e32 v53, 3, v52
	v_sub_u32_e32 v46, 29, v62
	v_and_b32_e32 v60, 7, v60
	v_cmp_gt_u32_e32 vcc, 8, v52
	v_cndmask_b32_e32 v46, v53, v46, vcc
	v_cndmask_b32_e32 v51, v51, v60, vcc
	v_lshlrev_b32_e32 v52, 16, v44
	v_lshlrev_b32_e32 v51, 20, v51
	v_and_b32_e32 v52, 0x80000000, v52
	v_lshl_add_u32 v46, v46, 23, v48
	v_or3_b32 v51, v52, v46, v51
.LBB668_415:                            ;   in Loop: Header=BB668_213 Depth=1
	s_or_b64 exec, exec, s[16:17]
.LBB668_416:                            ;   in Loop: Header=BB668_213 Depth=1
	s_or_b64 exec, exec, s[14:15]
.LBB668_417:                            ;   in Loop: Header=BB668_213 Depth=1
	s_or_b64 exec, exec, s[12:13]
	v_lshrrev_b32_e32 v46, 16, v44
	v_cmp_ne_u16_sdwa s[14:15], v46, v47 src0_sel:BYTE_0 src1_sel:DWORD
	s_and_saveexec_b64 s[12:13], s[14:15]
	s_cbranch_execz .LBB668_423
; %bb.418:                              ;   in Loop: Header=BB668_213 Depth=1
	v_cmp_ne_u16_sdwa s[16:17], v46, s9 src0_sel:BYTE_0 src1_sel:DWORD
	v_bfrev_b32_e32 v50, 1
	s_and_saveexec_b64 s[14:15], s[16:17]
	s_cbranch_execz .LBB668_422
; %bb.419:                              ;   in Loop: Header=BB668_213 Depth=1
	v_bfe_u32 v52, v44, 16, 7
	v_cmp_ne_u32_e32 vcc, s19, v52
	v_mov_b32_e32 v50, 0x7f800001
	s_and_saveexec_b64 s[16:17], vcc
	s_cbranch_execz .LBB668_421
; %bb.420:                              ;   in Loop: Header=BB668_213 Depth=1
	v_and_b32_e32 v50, 7, v46
	v_ffbh_u32_e32 v60, v50
	v_min_u32_e32 v62, 32, v60
	v_subrev_u32_e32 v60, 28, v62
	v_lshlrev_b64 v[60:61], v60, v[46:47]
	v_lshrrev_b32_e32 v53, 3, v52
	v_sub_u32_e32 v61, 29, v62
	v_and_b32_e32 v60, 7, v60
	v_cmp_gt_u32_e32 vcc, 8, v52
	v_cndmask_b32_e32 v52, v53, v61, vcc
	v_cndmask_b32_e32 v50, v50, v60, vcc
	v_lshlrev_b32_e32 v46, 24, v46
	v_lshlrev_b32_e32 v50, 20, v50
	v_and_b32_e32 v46, 0x80000000, v46
	v_lshl_add_u32 v52, v52, 23, v48
	v_or3_b32 v50, v46, v52, v50
.LBB668_421:                            ;   in Loop: Header=BB668_213 Depth=1
	s_or_b64 exec, exec, s[16:17]
.LBB668_422:                            ;   in Loop: Header=BB668_213 Depth=1
	s_or_b64 exec, exec, s[14:15]
.LBB668_423:                            ;   in Loop: Header=BB668_213 Depth=1
	s_or_b64 exec, exec, s[12:13]
	v_cmp_lt_u32_e32 vcc, s20, v44
	v_mov_b32_e32 v52, 0
	v_mov_b32_e32 v53, 0
	s_and_saveexec_b64 s[12:13], vcc
	s_cbranch_execz .LBB668_429
; %bb.424:                              ;   in Loop: Header=BB668_213 Depth=1
	v_lshrrev_b32_e32 v46, 24, v44
	v_cmp_ne_u32_e32 vcc, s9, v46
	v_bfrev_b32_e32 v53, 1
	s_and_saveexec_b64 s[14:15], vcc
	s_cbranch_execz .LBB668_428
; %bb.425:                              ;   in Loop: Header=BB668_213 Depth=1
	v_bfe_u32 v44, v44, 24, 7
	v_cmp_ne_u32_e32 vcc, s19, v44
	v_mov_b32_e32 v53, 0x7f800001
	s_and_saveexec_b64 s[16:17], vcc
	s_cbranch_execz .LBB668_427
; %bb.426:                              ;   in Loop: Header=BB668_213 Depth=1
	v_and_b32_e32 v53, 7, v46
	v_ffbh_u32_e32 v60, v53
	v_min_u32_e32 v63, 32, v60
	v_subrev_u32_e32 v60, 28, v63
	v_lshlrev_b64 v[60:61], v60, v[46:47]
	v_lshrrev_b32_e32 v62, 3, v44
	v_sub_u32_e32 v61, 29, v63
	v_and_b32_e32 v60, 7, v60
	v_cmp_gt_u32_e32 vcc, 8, v44
	v_cndmask_b32_e32 v44, v62, v61, vcc
	v_cndmask_b32_e32 v53, v53, v60, vcc
	v_lshlrev_b32_e32 v46, 24, v46
	v_lshlrev_b32_e32 v53, 20, v53
	v_and_b32_e32 v46, 0x80000000, v46
	v_lshl_add_u32 v44, v44, 23, v48
	v_or3_b32 v53, v46, v44, v53
.LBB668_427:                            ;   in Loop: Header=BB668_213 Depth=1
	s_or_b64 exec, exec, s[16:17]
.LBB668_428:                            ;   in Loop: Header=BB668_213 Depth=1
	s_or_b64 exec, exec, s[14:15]
.LBB668_429:                            ;   in Loop: Header=BB668_213 Depth=1
	s_or_b64 exec, exec, s[12:13]
	s_waitcnt vmcnt(2)
	v_cmp_ne_u16_sdwa s[14:15], v42, v47 src0_sel:BYTE_0 src1_sel:DWORD
	s_and_saveexec_b64 s[12:13], s[14:15]
	s_cbranch_execz .LBB668_435
; %bb.430:                              ;   in Loop: Header=BB668_213 Depth=1
	v_cmp_ne_u16_sdwa s[16:17], v42, s9 src0_sel:BYTE_0 src1_sel:DWORD
	v_bfrev_b32_e32 v52, 1
	s_and_saveexec_b64 s[14:15], s[16:17]
	s_cbranch_execz .LBB668_434
; %bb.431:                              ;   in Loop: Header=BB668_213 Depth=1
	v_and_b32_e32 v44, 0x7f, v42
	v_cmp_ne_u32_e32 vcc, s19, v44
	v_mov_b32_e32 v52, 0x7f800001
	s_and_saveexec_b64 s[16:17], vcc
	s_cbranch_execz .LBB668_433
; %bb.432:                              ;   in Loop: Header=BB668_213 Depth=1
	v_and_b32_e32 v46, 7, v42
	v_ffbh_u32_e32 v60, v46
	v_min_u32_e32 v62, 32, v60
	v_subrev_u32_e32 v60, 28, v62
	v_lshlrev_b64 v[60:61], v60, v[42:43]
	v_lshrrev_b32_e32 v52, 3, v44
	v_sub_u32_e32 v61, 29, v62
	v_and_b32_e32 v60, 7, v60
	v_cmp_gt_u32_e32 vcc, 8, v44
	v_cndmask_b32_e32 v44, v52, v61, vcc
	v_cndmask_b32_e32 v46, v46, v60, vcc
	v_lshlrev_b32_e32 v52, 24, v42
	v_lshlrev_b32_e32 v46, 20, v46
	v_and_b32_e32 v52, 0x80000000, v52
	v_lshl_add_u32 v44, v44, 23, v48
	v_or3_b32 v52, v52, v44, v46
.LBB668_433:                            ;   in Loop: Header=BB668_213 Depth=1
	s_or_b64 exec, exec, s[16:17]
.LBB668_434:                            ;   in Loop: Header=BB668_213 Depth=1
	s_or_b64 exec, exec, s[14:15]
.LBB668_435:                            ;   in Loop: Header=BB668_213 Depth=1
	s_or_b64 exec, exec, s[12:13]
	v_lshrrev_b16_e32 v44, 8, v42
	v_cmp_ne_u16_e32 vcc, 0, v44
	v_mov_b32_e32 v60, 0
	v_mov_b32_e32 v61, 0
	s_and_saveexec_b64 s[12:13], vcc
	s_cbranch_execz .LBB668_441
; %bb.436:                              ;   in Loop: Header=BB668_213 Depth=1
	v_cmp_ne_u16_e32 vcc, s9, v44
	v_bfrev_b32_e32 v61, 1
	s_and_saveexec_b64 s[14:15], vcc
	s_cbranch_execz .LBB668_440
; %bb.437:                              ;   in Loop: Header=BB668_213 Depth=1
	v_and_b32_e32 v46, 0x7f, v44
	v_cmp_ne_u32_e32 vcc, s19, v46
	v_mov_b32_e32 v61, 0x7f800001
	s_and_saveexec_b64 s[16:17], vcc
	s_cbranch_execz .LBB668_439
; %bb.438:                              ;   in Loop: Header=BB668_213 Depth=1
	v_and_b32_e32 v61, 7, v44
	v_ffbh_u32_e32 v62, v61
	v_min_u32_e32 v65, 32, v62
	v_subrev_u32_e32 v62, 28, v65
	v_lshlrev_b64 v[62:63], v62, v[44:45]
	v_lshrrev_b32_e32 v64, 3, v46
	v_sub_u32_e32 v44, 29, v65
	v_and_b32_e32 v62, 7, v62
	v_cmp_gt_u32_e32 vcc, 8, v46
	v_cndmask_b32_e32 v44, v64, v44, vcc
	v_cndmask_b32_e32 v46, v61, v62, vcc
	v_lshlrev_b32_e32 v61, 16, v42
	v_lshlrev_b32_e32 v46, 20, v46
	v_and_b32_e32 v61, 0x80000000, v61
	v_lshl_add_u32 v44, v44, 23, v48
	v_or3_b32 v61, v61, v44, v46
.LBB668_439:                            ;   in Loop: Header=BB668_213 Depth=1
	s_or_b64 exec, exec, s[16:17]
.LBB668_440:                            ;   in Loop: Header=BB668_213 Depth=1
	s_or_b64 exec, exec, s[14:15]
.LBB668_441:                            ;   in Loop: Header=BB668_213 Depth=1
	s_or_b64 exec, exec, s[12:13]
	v_lshrrev_b32_e32 v44, 16, v42
	v_cmp_ne_u16_sdwa s[14:15], v44, v47 src0_sel:BYTE_0 src1_sel:DWORD
	s_and_saveexec_b64 s[12:13], s[14:15]
	s_cbranch_execz .LBB668_447
; %bb.442:                              ;   in Loop: Header=BB668_213 Depth=1
	v_cmp_ne_u16_sdwa s[16:17], v44, s9 src0_sel:BYTE_0 src1_sel:DWORD
	v_bfrev_b32_e32 v60, 1
	s_and_saveexec_b64 s[14:15], s[16:17]
	s_cbranch_execz .LBB668_446
; %bb.443:                              ;   in Loop: Header=BB668_213 Depth=1
	v_bfe_u32 v46, v42, 16, 7
	v_cmp_ne_u32_e32 vcc, s19, v46
	v_mov_b32_e32 v60, 0x7f800001
	s_and_saveexec_b64 s[16:17], vcc
	s_cbranch_execz .LBB668_445
; %bb.444:                              ;   in Loop: Header=BB668_213 Depth=1
	v_and_b32_e32 v60, 7, v44
	v_ffbh_u32_e32 v62, v60
	v_min_u32_e32 v65, 32, v62
	v_subrev_u32_e32 v62, 28, v65
	v_lshlrev_b64 v[62:63], v62, v[44:45]
	v_lshrrev_b32_e32 v64, 3, v46
	v_sub_u32_e32 v63, 29, v65
	v_and_b32_e32 v62, 7, v62
	v_cmp_gt_u32_e32 vcc, 8, v46
	v_cndmask_b32_e32 v46, v64, v63, vcc
	v_cndmask_b32_e32 v60, v60, v62, vcc
	v_lshlrev_b32_e32 v44, 24, v44
	v_lshlrev_b32_e32 v60, 20, v60
	v_and_b32_e32 v44, 0x80000000, v44
	v_lshl_add_u32 v46, v46, 23, v48
	v_or3_b32 v60, v44, v46, v60
.LBB668_445:                            ;   in Loop: Header=BB668_213 Depth=1
	s_or_b64 exec, exec, s[16:17]
.LBB668_446:                            ;   in Loop: Header=BB668_213 Depth=1
	s_or_b64 exec, exec, s[14:15]
.LBB668_447:                            ;   in Loop: Header=BB668_213 Depth=1
	s_or_b64 exec, exec, s[12:13]
	v_cmp_lt_u32_e32 vcc, s20, v42
	v_mov_b32_e32 v46, 0
	v_mov_b32_e32 v62, 0
	s_and_saveexec_b64 s[12:13], vcc
	s_cbranch_execz .LBB668_453
; %bb.448:                              ;   in Loop: Header=BB668_213 Depth=1
	v_lshrrev_b32_e32 v44, 24, v42
	v_cmp_ne_u32_e32 vcc, s9, v44
	v_bfrev_b32_e32 v62, 1
	s_and_saveexec_b64 s[14:15], vcc
	s_cbranch_execz .LBB668_452
; %bb.449:                              ;   in Loop: Header=BB668_213 Depth=1
	v_bfe_u32 v42, v42, 24, 7
	v_cmp_ne_u32_e32 vcc, s19, v42
	v_mov_b32_e32 v62, 0x7f800001
	s_and_saveexec_b64 s[16:17], vcc
	s_cbranch_execz .LBB668_451
; %bb.450:                              ;   in Loop: Header=BB668_213 Depth=1
	v_and_b32_e32 v64, 7, v44
	v_ffbh_u32_e32 v62, v64
	v_min_u32_e32 v66, 32, v62
	v_subrev_u32_e32 v62, 28, v66
	v_lshlrev_b64 v[62:63], v62, v[44:45]
	v_lshrrev_b32_e32 v65, 3, v42
	v_sub_u32_e32 v63, 29, v66
	v_and_b32_e32 v62, 7, v62
	v_cmp_gt_u32_e32 vcc, 8, v42
	v_cndmask_b32_e32 v42, v65, v63, vcc
	v_cndmask_b32_e32 v62, v64, v62, vcc
	v_lshlrev_b32_e32 v44, 24, v44
	v_lshlrev_b32_e32 v62, 20, v62
	v_and_b32_e32 v44, 0x80000000, v44
	v_lshl_add_u32 v42, v42, 23, v48
	v_or3_b32 v62, v44, v42, v62
.LBB668_451:                            ;   in Loop: Header=BB668_213 Depth=1
	s_or_b64 exec, exec, s[16:17]
.LBB668_452:                            ;   in Loop: Header=BB668_213 Depth=1
	s_or_b64 exec, exec, s[14:15]
.LBB668_453:                            ;   in Loop: Header=BB668_213 Depth=1
	s_or_b64 exec, exec, s[12:13]
	v_cvt_pkrtz_f16_f32 v64, v49, v51
	v_cvt_pkrtz_f16_f32 v65, v50, v53
	;; [unrolled: 1-line block ×4, first 2 shown]
	s_waitcnt vmcnt(1)
	v_cmp_ne_u16_sdwa s[14:15], v40, v47 src0_sel:BYTE_0 src1_sel:DWORD
	v_mfma_f32_16x16x16f16 v[34:37], v[64:65], v[18:19], v[34:37]
	v_mfma_f32_16x16x16f16 v[34:37], v[50:51], v[20:21], v[34:37]
	s_and_saveexec_b64 s[12:13], s[14:15]
	s_cbranch_execz .LBB668_459
; %bb.454:                              ;   in Loop: Header=BB668_213 Depth=1
	v_cmp_ne_u16_sdwa s[16:17], v40, s9 src0_sel:BYTE_0 src1_sel:DWORD
	v_bfrev_b32_e32 v46, 1
	s_and_saveexec_b64 s[14:15], s[16:17]
	s_cbranch_execz .LBB668_458
; %bb.455:                              ;   in Loop: Header=BB668_213 Depth=1
	v_and_b32_e32 v42, 0x7f, v40
	v_cmp_ne_u32_e32 vcc, s19, v42
	v_mov_b32_e32 v46, 0x7f800001
	s_and_saveexec_b64 s[16:17], vcc
	s_cbranch_execz .LBB668_457
; %bb.456:                              ;   in Loop: Header=BB668_213 Depth=1
	v_and_b32_e32 v44, 7, v40
	v_ffbh_u32_e32 v49, v44
	v_min_u32_e32 v49, 32, v49
	v_subrev_u32_e32 v50, 28, v49
	v_lshlrev_b64 v[50:51], v50, v[40:41]
	v_lshrrev_b32_e32 v46, 3, v42
	v_sub_u32_e32 v49, 29, v49
	v_and_b32_e32 v50, 7, v50
	v_cmp_gt_u32_e32 vcc, 8, v42
	v_cndmask_b32_e32 v42, v46, v49, vcc
	v_cndmask_b32_e32 v44, v44, v50, vcc
	v_lshlrev_b32_e32 v46, 24, v40
	v_lshlrev_b32_e32 v44, 20, v44
	v_and_b32_e32 v46, 0x80000000, v46
	v_lshl_add_u32 v42, v42, 23, v48
	v_or3_b32 v46, v46, v42, v44
.LBB668_457:                            ;   in Loop: Header=BB668_213 Depth=1
	s_or_b64 exec, exec, s[16:17]
.LBB668_458:                            ;   in Loop: Header=BB668_213 Depth=1
	s_or_b64 exec, exec, s[14:15]
.LBB668_459:                            ;   in Loop: Header=BB668_213 Depth=1
	s_or_b64 exec, exec, s[12:13]
	v_lshrrev_b16_e32 v42, 8, v40
	v_cmp_ne_u16_e32 vcc, 0, v42
	v_mov_b32_e32 v44, 0
	v_mov_b32_e32 v50, 0
	s_and_saveexec_b64 s[12:13], vcc
	s_cbranch_execz .LBB668_465
; %bb.460:                              ;   in Loop: Header=BB668_213 Depth=1
	v_cmp_ne_u16_e32 vcc, s9, v42
	v_bfrev_b32_e32 v50, 1
	s_and_saveexec_b64 s[14:15], vcc
	s_cbranch_execz .LBB668_464
; %bb.461:                              ;   in Loop: Header=BB668_213 Depth=1
	v_and_b32_e32 v49, 0x7f, v42
	v_cmp_ne_u32_e32 vcc, s19, v49
	v_mov_b32_e32 v50, 0x7f800001
	s_and_saveexec_b64 s[16:17], vcc
	s_cbranch_execz .LBB668_463
; %bb.462:                              ;   in Loop: Header=BB668_213 Depth=1
	v_and_b32_e32 v52, 7, v42
	v_ffbh_u32_e32 v50, v52
	v_min_u32_e32 v60, 32, v50
	v_subrev_u32_e32 v50, 28, v60
	v_lshlrev_b64 v[50:51], v50, v[42:43]
	v_lshrrev_b32_e32 v53, 3, v49
	v_sub_u32_e32 v42, 29, v60
	v_and_b32_e32 v50, 7, v50
	v_cmp_gt_u32_e32 vcc, 8, v49
	v_cndmask_b32_e32 v42, v53, v42, vcc
	v_cndmask_b32_e32 v49, v52, v50, vcc
	v_lshlrev_b32_e32 v50, 16, v40
	v_lshlrev_b32_e32 v49, 20, v49
	v_and_b32_e32 v50, 0x80000000, v50
	v_lshl_add_u32 v42, v42, 23, v48
	v_or3_b32 v50, v50, v42, v49
.LBB668_463:                            ;   in Loop: Header=BB668_213 Depth=1
	s_or_b64 exec, exec, s[16:17]
.LBB668_464:                            ;   in Loop: Header=BB668_213 Depth=1
	s_or_b64 exec, exec, s[14:15]
.LBB668_465:                            ;   in Loop: Header=BB668_213 Depth=1
	s_or_b64 exec, exec, s[12:13]
	v_lshrrev_b32_e32 v42, 16, v40
	v_cmp_ne_u16_sdwa s[14:15], v42, v47 src0_sel:BYTE_0 src1_sel:DWORD
	s_and_saveexec_b64 s[12:13], s[14:15]
	s_cbranch_execz .LBB668_471
; %bb.466:                              ;   in Loop: Header=BB668_213 Depth=1
	v_cmp_ne_u16_sdwa s[16:17], v42, s9 src0_sel:BYTE_0 src1_sel:DWORD
	v_bfrev_b32_e32 v44, 1
	s_and_saveexec_b64 s[14:15], s[16:17]
	s_cbranch_execz .LBB668_470
; %bb.467:                              ;   in Loop: Header=BB668_213 Depth=1
	v_bfe_u32 v49, v40, 16, 7
	v_cmp_ne_u32_e32 vcc, s19, v49
	v_mov_b32_e32 v44, 0x7f800001
	s_and_saveexec_b64 s[16:17], vcc
	s_cbranch_execz .LBB668_469
; %bb.468:                              ;   in Loop: Header=BB668_213 Depth=1
	v_and_b32_e32 v44, 7, v42
	v_ffbh_u32_e32 v52, v44
	v_min_u32_e32 v60, 32, v52
	v_subrev_u32_e32 v52, 28, v60
	v_lshlrev_b64 v[52:53], v52, v[42:43]
	v_lshrrev_b32_e32 v51, 3, v49
	v_sub_u32_e32 v53, 29, v60
	v_and_b32_e32 v52, 7, v52
	v_cmp_gt_u32_e32 vcc, 8, v49
	v_cndmask_b32_e32 v49, v51, v53, vcc
	v_cndmask_b32_e32 v44, v44, v52, vcc
	v_lshlrev_b32_e32 v42, 24, v42
	v_lshlrev_b32_e32 v44, 20, v44
	v_and_b32_e32 v42, 0x80000000, v42
	v_lshl_add_u32 v49, v49, 23, v48
	v_or3_b32 v44, v42, v49, v44
.LBB668_469:                            ;   in Loop: Header=BB668_213 Depth=1
	s_or_b64 exec, exec, s[16:17]
.LBB668_470:                            ;   in Loop: Header=BB668_213 Depth=1
	s_or_b64 exec, exec, s[14:15]
.LBB668_471:                            ;   in Loop: Header=BB668_213 Depth=1
	s_or_b64 exec, exec, s[12:13]
	v_cmp_lt_u32_e32 vcc, s20, v40
	v_mov_b32_e32 v51, 0
	v_mov_b32_e32 v52, 0
	s_and_saveexec_b64 s[12:13], vcc
	s_cbranch_execz .LBB668_477
; %bb.472:                              ;   in Loop: Header=BB668_213 Depth=1
	v_lshrrev_b32_e32 v42, 24, v40
	v_cmp_ne_u32_e32 vcc, s9, v42
	v_bfrev_b32_e32 v52, 1
	s_and_saveexec_b64 s[14:15], vcc
	s_cbranch_execz .LBB668_476
; %bb.473:                              ;   in Loop: Header=BB668_213 Depth=1
	v_bfe_u32 v40, v40, 24, 7
	v_cmp_ne_u32_e32 vcc, s19, v40
	v_mov_b32_e32 v52, 0x7f800001
	s_and_saveexec_b64 s[16:17], vcc
	s_cbranch_execz .LBB668_475
; %bb.474:                              ;   in Loop: Header=BB668_213 Depth=1
	v_and_b32_e32 v49, 7, v42
	v_ffbh_u32_e32 v52, v49
	v_min_u32_e32 v61, 32, v52
	v_subrev_u32_e32 v52, 28, v61
	v_lshlrev_b64 v[52:53], v52, v[42:43]
	v_lshrrev_b32_e32 v60, 3, v40
	v_sub_u32_e32 v53, 29, v61
	v_and_b32_e32 v52, 7, v52
	v_cmp_gt_u32_e32 vcc, 8, v40
	v_cndmask_b32_e32 v40, v60, v53, vcc
	v_cndmask_b32_e32 v49, v49, v52, vcc
	v_lshlrev_b32_e32 v42, 24, v42
	v_lshlrev_b32_e32 v49, 20, v49
	v_and_b32_e32 v42, 0x80000000, v42
	v_lshl_add_u32 v40, v40, 23, v48
	v_or3_b32 v52, v42, v40, v49
.LBB668_475:                            ;   in Loop: Header=BB668_213 Depth=1
	s_or_b64 exec, exec, s[16:17]
.LBB668_476:                            ;   in Loop: Header=BB668_213 Depth=1
	s_or_b64 exec, exec, s[14:15]
.LBB668_477:                            ;   in Loop: Header=BB668_213 Depth=1
	s_or_b64 exec, exec, s[12:13]
	s_waitcnt vmcnt(0)
	v_cmp_ne_u16_sdwa s[14:15], v38, v47 src0_sel:BYTE_0 src1_sel:DWORD
	s_and_saveexec_b64 s[12:13], s[14:15]
	s_cbranch_execz .LBB668_483
; %bb.478:                              ;   in Loop: Header=BB668_213 Depth=1
	v_cmp_ne_u16_sdwa s[16:17], v38, s9 src0_sel:BYTE_0 src1_sel:DWORD
	v_bfrev_b32_e32 v51, 1
	s_and_saveexec_b64 s[14:15], s[16:17]
	s_cbranch_execz .LBB668_482
; %bb.479:                              ;   in Loop: Header=BB668_213 Depth=1
	v_and_b32_e32 v40, 0x7f, v38
	v_cmp_ne_u32_e32 vcc, s19, v40
	v_mov_b32_e32 v51, 0x7f800001
	s_and_saveexec_b64 s[16:17], vcc
	s_cbranch_execz .LBB668_481
; %bb.480:                              ;   in Loop: Header=BB668_213 Depth=1
	v_and_b32_e32 v42, 7, v38
	v_ffbh_u32_e32 v51, v42
	v_min_u32_e32 v51, 32, v51
	v_subrev_u32_e32 v53, 28, v51
	v_lshlrev_b64 v[60:61], v53, v[38:39]
	v_lshrrev_b32_e32 v49, 3, v40
	v_sub_u32_e32 v51, 29, v51
	v_and_b32_e32 v53, 7, v60
	v_cmp_gt_u32_e32 vcc, 8, v40
	v_cndmask_b32_e32 v40, v49, v51, vcc
	v_cndmask_b32_e32 v42, v42, v53, vcc
	v_lshlrev_b32_e32 v49, 24, v38
	v_lshlrev_b32_e32 v42, 20, v42
	v_and_b32_e32 v49, 0x80000000, v49
	v_lshl_add_u32 v40, v40, 23, v48
	v_or3_b32 v51, v49, v40, v42
.LBB668_481:                            ;   in Loop: Header=BB668_213 Depth=1
	s_or_b64 exec, exec, s[16:17]
.LBB668_482:                            ;   in Loop: Header=BB668_213 Depth=1
	s_or_b64 exec, exec, s[14:15]
.LBB668_483:                            ;   in Loop: Header=BB668_213 Depth=1
	s_or_b64 exec, exec, s[12:13]
	v_lshrrev_b16_e32 v40, 8, v38
	v_cmp_ne_u16_e32 vcc, 0, v40
	v_mov_b32_e32 v53, 0
	v_mov_b32_e32 v60, 0
	s_and_saveexec_b64 s[12:13], vcc
	s_cbranch_execz .LBB668_489
; %bb.484:                              ;   in Loop: Header=BB668_213 Depth=1
	v_cmp_ne_u16_e32 vcc, s9, v40
	v_bfrev_b32_e32 v60, 1
	s_and_saveexec_b64 s[14:15], vcc
	s_cbranch_execz .LBB668_488
; %bb.485:                              ;   in Loop: Header=BB668_213 Depth=1
	v_and_b32_e32 v42, 0x7f, v40
	v_cmp_ne_u32_e32 vcc, s19, v42
	v_mov_b32_e32 v60, 0x7f800001
	s_and_saveexec_b64 s[16:17], vcc
	s_cbranch_execz .LBB668_487
; %bb.486:                              ;   in Loop: Header=BB668_213 Depth=1
	v_and_b32_e32 v49, 7, v40
	v_ffbh_u32_e32 v60, v49
	v_min_u32_e32 v63, 32, v60
	v_subrev_u32_e32 v60, 28, v63
	v_lshlrev_b64 v[60:61], v60, v[40:41]
	v_lshrrev_b32_e32 v62, 3, v42
	v_sub_u32_e32 v40, 29, v63
	v_and_b32_e32 v60, 7, v60
	v_cmp_gt_u32_e32 vcc, 8, v42
	v_cndmask_b32_e32 v40, v62, v40, vcc
	v_cndmask_b32_e32 v42, v49, v60, vcc
	v_lshlrev_b32_e32 v49, 16, v38
	v_lshlrev_b32_e32 v42, 20, v42
	v_and_b32_e32 v49, 0x80000000, v49
	v_lshl_add_u32 v40, v40, 23, v48
	v_or3_b32 v60, v49, v40, v42
.LBB668_487:                            ;   in Loop: Header=BB668_213 Depth=1
	s_or_b64 exec, exec, s[16:17]
.LBB668_488:                            ;   in Loop: Header=BB668_213 Depth=1
	s_or_b64 exec, exec, s[14:15]
.LBB668_489:                            ;   in Loop: Header=BB668_213 Depth=1
	s_or_b64 exec, exec, s[12:13]
	v_lshrrev_b32_e32 v40, 16, v38
	v_cmp_ne_u16_sdwa s[14:15], v40, v47 src0_sel:BYTE_0 src1_sel:DWORD
	s_and_saveexec_b64 s[12:13], s[14:15]
	s_cbranch_execz .LBB668_495
; %bb.490:                              ;   in Loop: Header=BB668_213 Depth=1
	v_cmp_ne_u16_sdwa s[16:17], v40, s9 src0_sel:BYTE_0 src1_sel:DWORD
	v_bfrev_b32_e32 v53, 1
	s_and_saveexec_b64 s[14:15], s[16:17]
	s_cbranch_execz .LBB668_494
; %bb.491:                              ;   in Loop: Header=BB668_213 Depth=1
	v_bfe_u32 v42, v38, 16, 7
	v_cmp_ne_u32_e32 vcc, s19, v42
	v_mov_b32_e32 v53, 0x7f800001
	s_and_saveexec_b64 s[16:17], vcc
	s_cbranch_execz .LBB668_493
; %bb.492:                              ;   in Loop: Header=BB668_213 Depth=1
	v_and_b32_e32 v49, 7, v40
	v_ffbh_u32_e32 v61, v49
	v_min_u32_e32 v61, 32, v61
	v_subrev_u32_e32 v62, 28, v61
	v_lshlrev_b64 v[62:63], v62, v[40:41]
	v_lshrrev_b32_e32 v53, 3, v42
	v_sub_u32_e32 v61, 29, v61
	v_and_b32_e32 v62, 7, v62
	v_cmp_gt_u32_e32 vcc, 8, v42
	v_cndmask_b32_e32 v42, v53, v61, vcc
	v_cndmask_b32_e32 v49, v49, v62, vcc
	v_lshlrev_b32_e32 v40, 24, v40
	v_lshlrev_b32_e32 v49, 20, v49
	v_and_b32_e32 v40, 0x80000000, v40
	v_lshl_add_u32 v42, v42, 23, v48
	v_or3_b32 v53, v40, v42, v49
.LBB668_493:                            ;   in Loop: Header=BB668_213 Depth=1
	s_or_b64 exec, exec, s[16:17]
.LBB668_494:                            ;   in Loop: Header=BB668_213 Depth=1
	s_or_b64 exec, exec, s[14:15]
.LBB668_495:                            ;   in Loop: Header=BB668_213 Depth=1
	s_or_b64 exec, exec, s[12:13]
	v_cmp_lt_u32_e32 vcc, s20, v38
	v_mov_b32_e32 v49, 0
	v_mov_b32_e32 v61, 0
	s_and_saveexec_b64 s[12:13], vcc
	s_cbranch_execz .LBB668_501
; %bb.496:                              ;   in Loop: Header=BB668_213 Depth=1
	v_lshrrev_b32_e32 v40, 24, v38
	v_cmp_ne_u32_e32 vcc, s9, v40
	v_bfrev_b32_e32 v61, 1
	s_and_saveexec_b64 s[14:15], vcc
	s_cbranch_execz .LBB668_500
; %bb.497:                              ;   in Loop: Header=BB668_213 Depth=1
	v_bfe_u32 v38, v38, 24, 7
	v_cmp_ne_u32_e32 vcc, s19, v38
	v_mov_b32_e32 v61, 0x7f800001
	s_and_saveexec_b64 s[16:17], vcc
	s_cbranch_execz .LBB668_499
; %bb.498:                              ;   in Loop: Header=BB668_213 Depth=1
	v_and_b32_e32 v42, 7, v40
	v_ffbh_u32_e32 v62, v42
	v_min_u32_e32 v64, 32, v62
	v_subrev_u32_e32 v62, 28, v64
	v_lshlrev_b64 v[62:63], v62, v[40:41]
	v_lshrrev_b32_e32 v61, 3, v38
	v_sub_u32_e32 v63, 29, v64
	v_and_b32_e32 v62, 7, v62
	v_cmp_gt_u32_e32 vcc, 8, v38
	v_cndmask_b32_e32 v38, v61, v63, vcc
	v_cndmask_b32_e32 v42, v42, v62, vcc
	v_lshlrev_b32_e32 v40, 24, v40
	v_lshlrev_b32_e32 v42, 20, v42
	v_and_b32_e32 v40, 0x80000000, v40
	v_lshl_add_u32 v38, v38, 23, v48
	v_or3_b32 v61, v40, v38, v42
.LBB668_499:                            ;   in Loop: Header=BB668_213 Depth=1
	s_or_b64 exec, exec, s[16:17]
.LBB668_500:                            ;   in Loop: Header=BB668_213 Depth=1
	s_or_b64 exec, exec, s[14:15]
.LBB668_501:                            ;   in Loop: Header=BB668_213 Depth=1
	s_or_b64 exec, exec, s[12:13]
	v_cvt_pkrtz_f16_f32 v63, v44, v52
	buffer_load_dword v44, v41, s[0:3], 0 offen
	buffer_load_dword v42, v41, s[0:3], 0 offen offset:4
	buffer_load_dword v40, v41, s[0:3], 0 offen offset:8
	;; [unrolled: 1-line block ×3, first 2 shown]
	v_cvt_pkrtz_f16_f32 v62, v46, v50
	v_cvt_pkrtz_f16_f32 v50, v51, v60
	;; [unrolled: 1-line block ×3, first 2 shown]
	v_mfma_f32_16x16x16f16 v[34:37], v[62:63], v[22:23], v[34:37]
	s_waitcnt vmcnt(3)
	v_cmp_ne_u16_sdwa s[14:15], v44, v47 src0_sel:BYTE_0 src1_sel:DWORD
	v_mfma_f32_16x16x16f16 v[34:37], v[50:51], v[24:25], v[34:37]
	s_and_saveexec_b64 s[12:13], s[14:15]
	s_cbranch_execz .LBB668_507
; %bb.502:                              ;   in Loop: Header=BB668_213 Depth=1
	v_cmp_ne_u16_sdwa s[16:17], v44, s9 src0_sel:BYTE_0 src1_sel:DWORD
	v_bfrev_b32_e32 v49, 1
	s_and_saveexec_b64 s[14:15], s[16:17]
	s_cbranch_execz .LBB668_506
; %bb.503:                              ;   in Loop: Header=BB668_213 Depth=1
	v_and_b32_e32 v41, 0x7f, v44
	v_cmp_ne_u32_e32 vcc, s19, v41
	v_mov_b32_e32 v49, 0x7f800001
	s_and_saveexec_b64 s[16:17], vcc
	s_cbranch_execz .LBB668_505
; %bb.504:                              ;   in Loop: Header=BB668_213 Depth=1
	v_and_b32_e32 v46, 7, v44
	v_ffbh_u32_e32 v50, v46
	v_min_u32_e32 v52, 32, v50
	v_subrev_u32_e32 v50, 28, v52
	v_lshlrev_b64 v[50:51], v50, v[44:45]
	v_lshrrev_b32_e32 v49, 3, v41
	v_sub_u32_e32 v51, 29, v52
	v_and_b32_e32 v50, 7, v50
	v_cmp_gt_u32_e32 vcc, 8, v41
	v_cndmask_b32_e32 v41, v49, v51, vcc
	v_cndmask_b32_e32 v46, v46, v50, vcc
	v_lshlrev_b32_e32 v49, 24, v44
	v_lshlrev_b32_e32 v46, 20, v46
	v_and_b32_e32 v49, 0x80000000, v49
	v_lshl_add_u32 v41, v41, 23, v48
	v_or3_b32 v49, v49, v41, v46
.LBB668_505:                            ;   in Loop: Header=BB668_213 Depth=1
	s_or_b64 exec, exec, s[16:17]
.LBB668_506:                            ;   in Loop: Header=BB668_213 Depth=1
	s_or_b64 exec, exec, s[14:15]
.LBB668_507:                            ;   in Loop: Header=BB668_213 Depth=1
	s_or_b64 exec, exec, s[12:13]
	v_lshrrev_b16_e32 v46, 8, v44
	v_cmp_ne_u16_e32 vcc, 0, v46
	v_mov_b32_e32 v50, 0
	v_mov_b32_e32 v51, 0
	s_and_saveexec_b64 s[12:13], vcc
	s_cbranch_execz .LBB668_513
; %bb.508:                              ;   in Loop: Header=BB668_213 Depth=1
	v_cmp_ne_u16_e32 vcc, s9, v46
	v_bfrev_b32_e32 v51, 1
	s_and_saveexec_b64 s[14:15], vcc
	s_cbranch_execz .LBB668_512
; %bb.509:                              ;   in Loop: Header=BB668_213 Depth=1
	v_and_b32_e32 v41, 0x7f, v46
	v_cmp_ne_u32_e32 vcc, s19, v41
	v_mov_b32_e32 v51, 0x7f800001
	s_and_saveexec_b64 s[16:17], vcc
	s_cbranch_execz .LBB668_511
; %bb.510:                              ;   in Loop: Header=BB668_213 Depth=1
	v_and_b32_e32 v51, 7, v46
	v_ffbh_u32_e32 v52, v51
	v_min_u32_e32 v61, 32, v52
	v_subrev_u32_e32 v52, 28, v61
	v_lshlrev_b64 v[52:53], v52, v[46:47]
	v_lshrrev_b32_e32 v60, 3, v41
	v_sub_u32_e32 v46, 29, v61
	v_and_b32_e32 v52, 7, v52
	v_cmp_gt_u32_e32 vcc, 8, v41
	v_cndmask_b32_e32 v41, v60, v46, vcc
	v_cndmask_b32_e32 v46, v51, v52, vcc
	v_lshlrev_b32_e32 v51, 16, v44
	v_lshlrev_b32_e32 v46, 20, v46
	v_and_b32_e32 v51, 0x80000000, v51
	v_lshl_add_u32 v41, v41, 23, v48
	v_or3_b32 v51, v51, v41, v46
.LBB668_511:                            ;   in Loop: Header=BB668_213 Depth=1
	s_or_b64 exec, exec, s[16:17]
.LBB668_512:                            ;   in Loop: Header=BB668_213 Depth=1
	s_or_b64 exec, exec, s[14:15]
.LBB668_513:                            ;   in Loop: Header=BB668_213 Depth=1
	s_or_b64 exec, exec, s[12:13]
	v_lshrrev_b32_e32 v46, 16, v44
	v_cmp_ne_u16_sdwa s[14:15], v46, v47 src0_sel:BYTE_0 src1_sel:DWORD
	s_and_saveexec_b64 s[12:13], s[14:15]
	s_cbranch_execz .LBB668_519
; %bb.514:                              ;   in Loop: Header=BB668_213 Depth=1
	v_cmp_ne_u16_sdwa s[16:17], v46, s9 src0_sel:BYTE_0 src1_sel:DWORD
	v_bfrev_b32_e32 v50, 1
	s_and_saveexec_b64 s[14:15], s[16:17]
	s_cbranch_execz .LBB668_518
; %bb.515:                              ;   in Loop: Header=BB668_213 Depth=1
	v_bfe_u32 v41, v44, 16, 7
	v_cmp_ne_u32_e32 vcc, s19, v41
	v_mov_b32_e32 v50, 0x7f800001
	s_and_saveexec_b64 s[16:17], vcc
	s_cbranch_execz .LBB668_517
; %bb.516:                              ;   in Loop: Header=BB668_213 Depth=1
	v_and_b32_e32 v50, 7, v46
	v_ffbh_u32_e32 v52, v50
	v_min_u32_e32 v61, 32, v52
	v_subrev_u32_e32 v52, 28, v61
	v_lshlrev_b64 v[52:53], v52, v[46:47]
	v_lshrrev_b32_e32 v60, 3, v41
	v_sub_u32_e32 v53, 29, v61
	v_and_b32_e32 v52, 7, v52
	v_cmp_gt_u32_e32 vcc, 8, v41
	v_cndmask_b32_e32 v41, v60, v53, vcc
	v_cndmask_b32_e32 v50, v50, v52, vcc
	v_lshlrev_b32_e32 v46, 24, v46
	v_lshlrev_b32_e32 v50, 20, v50
	v_and_b32_e32 v46, 0x80000000, v46
	v_lshl_add_u32 v41, v41, 23, v48
	v_or3_b32 v50, v46, v41, v50
.LBB668_517:                            ;   in Loop: Header=BB668_213 Depth=1
	s_or_b64 exec, exec, s[16:17]
.LBB668_518:                            ;   in Loop: Header=BB668_213 Depth=1
	s_or_b64 exec, exec, s[14:15]
.LBB668_519:                            ;   in Loop: Header=BB668_213 Depth=1
	s_or_b64 exec, exec, s[12:13]
	v_cmp_lt_u32_e32 vcc, s20, v44
	v_mov_b32_e32 v52, 0
	v_mov_b32_e32 v53, 0
	s_and_saveexec_b64 s[12:13], vcc
	s_cbranch_execz .LBB668_525
; %bb.520:                              ;   in Loop: Header=BB668_213 Depth=1
	v_lshrrev_b32_e32 v46, 24, v44
	v_cmp_ne_u32_e32 vcc, s9, v46
	v_bfrev_b32_e32 v53, 1
	s_and_saveexec_b64 s[14:15], vcc
	s_cbranch_execz .LBB668_524
; %bb.521:                              ;   in Loop: Header=BB668_213 Depth=1
	v_bfe_u32 v41, v44, 24, 7
	v_cmp_ne_u32_e32 vcc, s19, v41
	v_mov_b32_e32 v53, 0x7f800001
	s_and_saveexec_b64 s[16:17], vcc
	s_cbranch_execz .LBB668_523
; %bb.522:                              ;   in Loop: Header=BB668_213 Depth=1
	v_and_b32_e32 v44, 7, v46
	v_ffbh_u32_e32 v60, v44
	v_min_u32_e32 v62, 32, v60
	v_subrev_u32_e32 v60, 28, v62
	v_lshlrev_b64 v[60:61], v60, v[46:47]
	v_lshrrev_b32_e32 v53, 3, v41
	v_sub_u32_e32 v61, 29, v62
	v_and_b32_e32 v60, 7, v60
	v_cmp_gt_u32_e32 vcc, 8, v41
	v_cndmask_b32_e32 v41, v53, v61, vcc
	v_cndmask_b32_e32 v44, v44, v60, vcc
	v_lshlrev_b32_e32 v46, 24, v46
	v_lshlrev_b32_e32 v44, 20, v44
	v_and_b32_e32 v46, 0x80000000, v46
	v_lshl_add_u32 v41, v41, 23, v48
	v_or3_b32 v53, v46, v41, v44
.LBB668_523:                            ;   in Loop: Header=BB668_213 Depth=1
	s_or_b64 exec, exec, s[16:17]
.LBB668_524:                            ;   in Loop: Header=BB668_213 Depth=1
	s_or_b64 exec, exec, s[14:15]
.LBB668_525:                            ;   in Loop: Header=BB668_213 Depth=1
	s_or_b64 exec, exec, s[12:13]
	s_waitcnt vmcnt(2)
	v_cmp_ne_u16_sdwa s[14:15], v42, v47 src0_sel:BYTE_0 src1_sel:DWORD
	s_and_saveexec_b64 s[12:13], s[14:15]
	s_cbranch_execz .LBB668_531
; %bb.526:                              ;   in Loop: Header=BB668_213 Depth=1
	v_cmp_ne_u16_sdwa s[16:17], v42, s9 src0_sel:BYTE_0 src1_sel:DWORD
	v_bfrev_b32_e32 v52, 1
	s_and_saveexec_b64 s[14:15], s[16:17]
	s_cbranch_execz .LBB668_530
; %bb.527:                              ;   in Loop: Header=BB668_213 Depth=1
	v_and_b32_e32 v41, 0x7f, v42
	v_cmp_ne_u32_e32 vcc, s19, v41
	v_mov_b32_e32 v52, 0x7f800001
	s_and_saveexec_b64 s[16:17], vcc
	s_cbranch_execz .LBB668_529
; %bb.528:                              ;   in Loop: Header=BB668_213 Depth=1
	v_and_b32_e32 v44, 7, v42
	v_ffbh_u32_e32 v52, v44
	v_min_u32_e32 v52, 32, v52
	v_subrev_u32_e32 v60, 28, v52
	v_lshlrev_b64 v[60:61], v60, v[42:43]
	v_lshrrev_b32_e32 v46, 3, v41
	v_sub_u32_e32 v52, 29, v52
	v_and_b32_e32 v60, 7, v60
	v_cmp_gt_u32_e32 vcc, 8, v41
	v_cndmask_b32_e32 v41, v46, v52, vcc
	v_cndmask_b32_e32 v44, v44, v60, vcc
	v_lshlrev_b32_e32 v46, 24, v42
	v_lshlrev_b32_e32 v44, 20, v44
	v_and_b32_e32 v46, 0x80000000, v46
	v_lshl_add_u32 v41, v41, 23, v48
	v_or3_b32 v52, v46, v41, v44
.LBB668_529:                            ;   in Loop: Header=BB668_213 Depth=1
	s_or_b64 exec, exec, s[16:17]
.LBB668_530:                            ;   in Loop: Header=BB668_213 Depth=1
	s_or_b64 exec, exec, s[14:15]
.LBB668_531:                            ;   in Loop: Header=BB668_213 Depth=1
	s_or_b64 exec, exec, s[12:13]
	v_lshrrev_b16_e32 v44, 8, v42
	v_cmp_ne_u16_e32 vcc, 0, v44
	v_mov_b32_e32 v46, 0
	v_mov_b32_e32 v60, 0
	s_and_saveexec_b64 s[12:13], vcc
	s_cbranch_execz .LBB668_537
; %bb.532:                              ;   in Loop: Header=BB668_213 Depth=1
	v_cmp_ne_u16_e32 vcc, s9, v44
	v_bfrev_b32_e32 v60, 1
	s_and_saveexec_b64 s[14:15], vcc
	s_cbranch_execz .LBB668_536
; %bb.533:                              ;   in Loop: Header=BB668_213 Depth=1
	v_and_b32_e32 v41, 0x7f, v44
	v_cmp_ne_u32_e32 vcc, s19, v41
	v_mov_b32_e32 v60, 0x7f800001
	s_and_saveexec_b64 s[16:17], vcc
	s_cbranch_execz .LBB668_535
; %bb.534:                              ;   in Loop: Header=BB668_213 Depth=1
	v_and_b32_e32 v62, 7, v44
	v_ffbh_u32_e32 v60, v62
	v_min_u32_e32 v64, 32, v60
	v_subrev_u32_e32 v60, 28, v64
	v_lshlrev_b64 v[60:61], v60, v[44:45]
	v_lshrrev_b32_e32 v63, 3, v41
	v_sub_u32_e32 v44, 29, v64
	v_and_b32_e32 v60, 7, v60
	v_cmp_gt_u32_e32 vcc, 8, v41
	v_cndmask_b32_e32 v41, v63, v44, vcc
	v_cndmask_b32_e32 v44, v62, v60, vcc
	v_lshlrev_b32_e32 v60, 16, v42
	v_lshlrev_b32_e32 v44, 20, v44
	v_and_b32_e32 v60, 0x80000000, v60
	v_lshl_add_u32 v41, v41, 23, v48
	v_or3_b32 v60, v60, v41, v44
.LBB668_535:                            ;   in Loop: Header=BB668_213 Depth=1
	s_or_b64 exec, exec, s[16:17]
.LBB668_536:                            ;   in Loop: Header=BB668_213 Depth=1
	s_or_b64 exec, exec, s[14:15]
.LBB668_537:                            ;   in Loop: Header=BB668_213 Depth=1
	s_or_b64 exec, exec, s[12:13]
	v_lshrrev_b32_e32 v44, 16, v42
	v_cmp_ne_u16_sdwa s[14:15], v44, v47 src0_sel:BYTE_0 src1_sel:DWORD
	s_and_saveexec_b64 s[12:13], s[14:15]
	s_cbranch_execz .LBB668_543
; %bb.538:                              ;   in Loop: Header=BB668_213 Depth=1
	v_cmp_ne_u16_sdwa s[16:17], v44, s9 src0_sel:BYTE_0 src1_sel:DWORD
	v_bfrev_b32_e32 v46, 1
	s_and_saveexec_b64 s[14:15], s[16:17]
	s_cbranch_execz .LBB668_542
; %bb.539:                              ;   in Loop: Header=BB668_213 Depth=1
	v_bfe_u32 v41, v42, 16, 7
	v_cmp_ne_u32_e32 vcc, s19, v41
	v_mov_b32_e32 v46, 0x7f800001
	s_and_saveexec_b64 s[16:17], vcc
	s_cbranch_execz .LBB668_541
; %bb.540:                              ;   in Loop: Header=BB668_213 Depth=1
	v_and_b32_e32 v46, 7, v44
	v_ffbh_u32_e32 v62, v46
	v_min_u32_e32 v64, 32, v62
	v_subrev_u32_e32 v62, 28, v64
	v_lshlrev_b64 v[62:63], v62, v[44:45]
	v_lshrrev_b32_e32 v61, 3, v41
	v_sub_u32_e32 v63, 29, v64
	v_and_b32_e32 v62, 7, v62
	v_cmp_gt_u32_e32 vcc, 8, v41
	v_cndmask_b32_e32 v41, v61, v63, vcc
	v_cndmask_b32_e32 v46, v46, v62, vcc
	v_lshlrev_b32_e32 v44, 24, v44
	v_lshlrev_b32_e32 v46, 20, v46
	v_and_b32_e32 v44, 0x80000000, v44
	v_lshl_add_u32 v41, v41, 23, v48
	v_or3_b32 v46, v44, v41, v46
.LBB668_541:                            ;   in Loop: Header=BB668_213 Depth=1
	s_or_b64 exec, exec, s[16:17]
.LBB668_542:                            ;   in Loop: Header=BB668_213 Depth=1
	s_or_b64 exec, exec, s[14:15]
.LBB668_543:                            ;   in Loop: Header=BB668_213 Depth=1
	s_or_b64 exec, exec, s[12:13]
	v_cmp_lt_u32_e32 vcc, s20, v42
	v_mov_b32_e32 v41, 0
	v_mov_b32_e32 v61, 0
	s_and_saveexec_b64 s[12:13], vcc
	s_cbranch_execz .LBB668_549
; %bb.544:                              ;   in Loop: Header=BB668_213 Depth=1
	v_lshrrev_b32_e32 v44, 24, v42
	v_cmp_ne_u32_e32 vcc, s9, v44
	v_bfrev_b32_e32 v61, 1
	s_and_saveexec_b64 s[14:15], vcc
	s_cbranch_execz .LBB668_548
; %bb.545:                              ;   in Loop: Header=BB668_213 Depth=1
	v_bfe_u32 v42, v42, 24, 7
	v_cmp_ne_u32_e32 vcc, s19, v42
	v_mov_b32_e32 v61, 0x7f800001
	s_and_saveexec_b64 s[16:17], vcc
	s_cbranch_execz .LBB668_547
; %bb.546:                              ;   in Loop: Header=BB668_213 Depth=1
	v_and_b32_e32 v61, 7, v44
	v_ffbh_u32_e32 v62, v61
	v_min_u32_e32 v65, 32, v62
	v_subrev_u32_e32 v62, 28, v65
	v_lshlrev_b64 v[62:63], v62, v[44:45]
	v_lshrrev_b32_e32 v64, 3, v42
	v_sub_u32_e32 v63, 29, v65
	v_and_b32_e32 v62, 7, v62
	v_cmp_gt_u32_e32 vcc, 8, v42
	v_cndmask_b32_e32 v42, v64, v63, vcc
	v_cndmask_b32_e32 v61, v61, v62, vcc
	v_lshlrev_b32_e32 v44, 24, v44
	v_lshlrev_b32_e32 v61, 20, v61
	v_and_b32_e32 v44, 0x80000000, v44
	v_lshl_add_u32 v42, v42, 23, v48
	v_or3_b32 v61, v44, v42, v61
.LBB668_547:                            ;   in Loop: Header=BB668_213 Depth=1
	s_or_b64 exec, exec, s[16:17]
.LBB668_548:                            ;   in Loop: Header=BB668_213 Depth=1
	s_or_b64 exec, exec, s[14:15]
.LBB668_549:                            ;   in Loop: Header=BB668_213 Depth=1
	s_or_b64 exec, exec, s[12:13]
	v_cvt_pkrtz_f16_f32 v62, v49, v51
	v_cvt_pkrtz_f16_f32 v63, v50, v53
	;; [unrolled: 1-line block ×4, first 2 shown]
	s_waitcnt vmcnt(1)
	v_cmp_ne_u16_sdwa s[14:15], v40, v47 src0_sel:BYTE_0 src1_sel:DWORD
	v_mfma_f32_16x16x16f16 v[34:37], v[62:63], v[26:27], v[34:37]
	v_mfma_f32_16x16x16f16 v[34:37], v[50:51], v[28:29], v[34:37]
	s_and_saveexec_b64 s[12:13], s[14:15]
	s_cbranch_execz .LBB668_555
; %bb.550:                              ;   in Loop: Header=BB668_213 Depth=1
	v_cmp_ne_u16_sdwa s[16:17], v40, s9 src0_sel:BYTE_0 src1_sel:DWORD
	v_bfrev_b32_e32 v41, 1
	s_and_saveexec_b64 s[14:15], s[16:17]
	s_cbranch_execz .LBB668_554
; %bb.551:                              ;   in Loop: Header=BB668_213 Depth=1
	v_and_b32_e32 v42, 0x7f, v40
	v_cmp_ne_u32_e32 vcc, s19, v42
	v_mov_b32_e32 v41, 0x7f800001
	s_and_saveexec_b64 s[16:17], vcc
	s_cbranch_execz .LBB668_553
; %bb.552:                              ;   in Loop: Header=BB668_213 Depth=1
	v_and_b32_e32 v41, 7, v40
	v_ffbh_u32_e32 v46, v41
	v_min_u32_e32 v46, 32, v46
	v_subrev_u32_e32 v49, 28, v46
	v_lshlrev_b64 v[50:51], v49, v[40:41]
	v_lshrrev_b32_e32 v44, 3, v42
	v_sub_u32_e32 v46, 29, v46
	v_and_b32_e32 v49, 7, v50
	v_cmp_gt_u32_e32 vcc, 8, v42
	v_cndmask_b32_e32 v42, v44, v46, vcc
	v_cndmask_b32_e32 v41, v41, v49, vcc
	v_lshlrev_b32_e32 v44, 24, v40
	v_lshlrev_b32_e32 v41, 20, v41
	v_and_b32_e32 v44, 0x80000000, v44
	v_lshl_add_u32 v42, v42, 23, v48
	v_or3_b32 v41, v44, v42, v41
.LBB668_553:                            ;   in Loop: Header=BB668_213 Depth=1
	s_or_b64 exec, exec, s[16:17]
.LBB668_554:                            ;   in Loop: Header=BB668_213 Depth=1
	s_or_b64 exec, exec, s[14:15]
.LBB668_555:                            ;   in Loop: Header=BB668_213 Depth=1
	s_or_b64 exec, exec, s[12:13]
	v_lshrrev_b16_e32 v42, 8, v40
	v_cmp_ne_u16_e32 vcc, 0, v42
	v_mov_b32_e32 v44, 0
	v_mov_b32_e32 v46, 0
	s_and_saveexec_b64 s[12:13], vcc
	s_cbranch_execz .LBB668_561
; %bb.556:                              ;   in Loop: Header=BB668_213 Depth=1
	v_cmp_ne_u16_e32 vcc, s9, v42
	v_bfrev_b32_e32 v46, 1
	s_and_saveexec_b64 s[14:15], vcc
	s_cbranch_execz .LBB668_560
; %bb.557:                              ;   in Loop: Header=BB668_213 Depth=1
	v_and_b32_e32 v49, 0x7f, v42
	v_cmp_ne_u32_e32 vcc, s19, v49
	v_mov_b32_e32 v46, 0x7f800001
	s_and_saveexec_b64 s[16:17], vcc
	s_cbranch_execz .LBB668_559
; %bb.558:                              ;   in Loop: Header=BB668_213 Depth=1
	v_and_b32_e32 v46, 7, v42
	v_ffbh_u32_e32 v50, v46
	v_min_u32_e32 v53, 32, v50
	v_subrev_u32_e32 v50, 28, v53
	v_lshlrev_b64 v[50:51], v50, v[42:43]
	v_lshrrev_b32_e32 v52, 3, v49
	v_sub_u32_e32 v42, 29, v53
	v_and_b32_e32 v50, 7, v50
	v_cmp_gt_u32_e32 vcc, 8, v49
	v_cndmask_b32_e32 v42, v52, v42, vcc
	v_cndmask_b32_e32 v46, v46, v50, vcc
	v_lshlrev_b32_e32 v49, 16, v40
	v_lshlrev_b32_e32 v46, 20, v46
	v_and_b32_e32 v49, 0x80000000, v49
	v_lshl_add_u32 v42, v42, 23, v48
	v_or3_b32 v46, v49, v42, v46
.LBB668_559:                            ;   in Loop: Header=BB668_213 Depth=1
	s_or_b64 exec, exec, s[16:17]
.LBB668_560:                            ;   in Loop: Header=BB668_213 Depth=1
	s_or_b64 exec, exec, s[14:15]
.LBB668_561:                            ;   in Loop: Header=BB668_213 Depth=1
	s_or_b64 exec, exec, s[12:13]
	v_lshrrev_b32_e32 v42, 16, v40
	v_cmp_ne_u16_sdwa s[14:15], v42, v47 src0_sel:BYTE_0 src1_sel:DWORD
	s_and_saveexec_b64 s[12:13], s[14:15]
	s_cbranch_execz .LBB668_567
; %bb.562:                              ;   in Loop: Header=BB668_213 Depth=1
	v_cmp_ne_u16_sdwa s[16:17], v42, s9 src0_sel:BYTE_0 src1_sel:DWORD
	v_bfrev_b32_e32 v44, 1
	s_and_saveexec_b64 s[14:15], s[16:17]
	s_cbranch_execz .LBB668_566
; %bb.563:                              ;   in Loop: Header=BB668_213 Depth=1
	v_bfe_u32 v49, v40, 16, 7
	v_cmp_ne_u32_e32 vcc, s19, v49
	v_mov_b32_e32 v44, 0x7f800001
	s_and_saveexec_b64 s[16:17], vcc
	s_cbranch_execz .LBB668_565
; %bb.564:                              ;   in Loop: Header=BB668_213 Depth=1
	v_and_b32_e32 v44, 7, v42
	v_ffbh_u32_e32 v50, v44
	v_min_u32_e32 v53, 32, v50
	v_subrev_u32_e32 v50, 28, v53
	v_lshlrev_b64 v[50:51], v50, v[42:43]
	v_lshrrev_b32_e32 v52, 3, v49
	v_sub_u32_e32 v51, 29, v53
	v_and_b32_e32 v50, 7, v50
	v_cmp_gt_u32_e32 vcc, 8, v49
	v_cndmask_b32_e32 v49, v52, v51, vcc
	v_cndmask_b32_e32 v44, v44, v50, vcc
	v_lshlrev_b32_e32 v42, 24, v42
	v_lshlrev_b32_e32 v44, 20, v44
	v_and_b32_e32 v42, 0x80000000, v42
	v_lshl_add_u32 v49, v49, 23, v48
	v_or3_b32 v44, v42, v49, v44
.LBB668_565:                            ;   in Loop: Header=BB668_213 Depth=1
	s_or_b64 exec, exec, s[16:17]
.LBB668_566:                            ;   in Loop: Header=BB668_213 Depth=1
	s_or_b64 exec, exec, s[14:15]
.LBB668_567:                            ;   in Loop: Header=BB668_213 Depth=1
	s_or_b64 exec, exec, s[12:13]
	v_cmp_lt_u32_e32 vcc, s20, v40
	v_mov_b32_e32 v49, 0
	v_mov_b32_e32 v50, 0
	s_and_saveexec_b64 s[12:13], vcc
	s_cbranch_execz .LBB668_573
; %bb.568:                              ;   in Loop: Header=BB668_213 Depth=1
	v_lshrrev_b32_e32 v42, 24, v40
	v_cmp_ne_u32_e32 vcc, s9, v42
	v_bfrev_b32_e32 v50, 1
	s_and_saveexec_b64 s[14:15], vcc
	s_cbranch_execz .LBB668_572
; %bb.569:                              ;   in Loop: Header=BB668_213 Depth=1
	v_bfe_u32 v40, v40, 24, 7
	v_cmp_ne_u32_e32 vcc, s19, v40
	v_mov_b32_e32 v50, 0x7f800001
	s_and_saveexec_b64 s[16:17], vcc
	s_cbranch_execz .LBB668_571
; %bb.570:                              ;   in Loop: Header=BB668_213 Depth=1
	v_and_b32_e32 v52, 7, v42
	v_ffbh_u32_e32 v50, v52
	v_min_u32_e32 v60, 32, v50
	v_subrev_u32_e32 v50, 28, v60
	v_lshlrev_b64 v[50:51], v50, v[42:43]
	v_lshrrev_b32_e32 v53, 3, v40
	v_sub_u32_e32 v51, 29, v60
	v_and_b32_e32 v50, 7, v50
	v_cmp_gt_u32_e32 vcc, 8, v40
	v_cndmask_b32_e32 v40, v53, v51, vcc
	v_cndmask_b32_e32 v50, v52, v50, vcc
	v_lshlrev_b32_e32 v42, 24, v42
	v_lshlrev_b32_e32 v50, 20, v50
	v_and_b32_e32 v42, 0x80000000, v42
	v_lshl_add_u32 v40, v40, 23, v48
	v_or3_b32 v50, v42, v40, v50
.LBB668_571:                            ;   in Loop: Header=BB668_213 Depth=1
	s_or_b64 exec, exec, s[16:17]
.LBB668_572:                            ;   in Loop: Header=BB668_213 Depth=1
	s_or_b64 exec, exec, s[14:15]
.LBB668_573:                            ;   in Loop: Header=BB668_213 Depth=1
	s_or_b64 exec, exec, s[12:13]
	s_waitcnt vmcnt(0)
	v_cmp_ne_u16_sdwa s[14:15], v38, v47 src0_sel:BYTE_0 src1_sel:DWORD
	s_and_saveexec_b64 s[12:13], s[14:15]
	s_cbranch_execz .LBB668_579
; %bb.574:                              ;   in Loop: Header=BB668_213 Depth=1
	v_cmp_ne_u16_sdwa s[16:17], v38, s9 src0_sel:BYTE_0 src1_sel:DWORD
	v_bfrev_b32_e32 v49, 1
	s_and_saveexec_b64 s[14:15], s[16:17]
	s_cbranch_execz .LBB668_578
; %bb.575:                              ;   in Loop: Header=BB668_213 Depth=1
	v_and_b32_e32 v40, 0x7f, v38
	v_cmp_ne_u32_e32 vcc, s19, v40
	v_mov_b32_e32 v49, 0x7f800001
	s_and_saveexec_b64 s[16:17], vcc
	s_cbranch_execz .LBB668_577
; %bb.576:                              ;   in Loop: Header=BB668_213 Depth=1
	v_and_b32_e32 v42, 7, v38
	v_ffbh_u32_e32 v51, v42
	v_min_u32_e32 v51, 32, v51
	v_subrev_u32_e32 v52, 28, v51
	v_lshlrev_b64 v[52:53], v52, v[38:39]
	v_lshrrev_b32_e32 v49, 3, v40
	v_sub_u32_e32 v51, 29, v51
	v_and_b32_e32 v52, 7, v52
	v_cmp_gt_u32_e32 vcc, 8, v40
	v_cndmask_b32_e32 v40, v49, v51, vcc
	v_cndmask_b32_e32 v42, v42, v52, vcc
	v_lshlrev_b32_e32 v49, 24, v38
	v_lshlrev_b32_e32 v42, 20, v42
	v_and_b32_e32 v49, 0x80000000, v49
	v_lshl_add_u32 v40, v40, 23, v48
	v_or3_b32 v49, v49, v40, v42
.LBB668_577:                            ;   in Loop: Header=BB668_213 Depth=1
	s_or_b64 exec, exec, s[16:17]
.LBB668_578:                            ;   in Loop: Header=BB668_213 Depth=1
	s_or_b64 exec, exec, s[14:15]
.LBB668_579:                            ;   in Loop: Header=BB668_213 Depth=1
	s_or_b64 exec, exec, s[12:13]
	v_lshrrev_b16_e32 v40, 8, v38
	v_cmp_ne_u16_e32 vcc, 0, v40
	v_mov_b32_e32 v42, 0
	v_mov_b32_e32 v51, 0
	s_and_saveexec_b64 s[12:13], vcc
	s_cbranch_execz .LBB668_585
; %bb.580:                              ;   in Loop: Header=BB668_213 Depth=1
	v_cmp_ne_u16_e32 vcc, s9, v40
	v_bfrev_b32_e32 v51, 1
	s_and_saveexec_b64 s[14:15], vcc
	s_cbranch_execz .LBB668_584
; %bb.581:                              ;   in Loop: Header=BB668_213 Depth=1
	v_and_b32_e32 v52, 0x7f, v40
	v_cmp_ne_u32_e32 vcc, s19, v52
	v_mov_b32_e32 v51, 0x7f800001
	s_and_saveexec_b64 s[16:17], vcc
	s_cbranch_execz .LBB668_583
; %bb.582:                              ;   in Loop: Header=BB668_213 Depth=1
	v_and_b32_e32 v51, 7, v40
	v_ffbh_u32_e32 v60, v51
	v_min_u32_e32 v62, 32, v60
	v_subrev_u32_e32 v60, 28, v62
	v_lshlrev_b64 v[60:61], v60, v[40:41]
	v_lshrrev_b32_e32 v53, 3, v52
	v_sub_u32_e32 v40, 29, v62
	v_and_b32_e32 v60, 7, v60
	v_cmp_gt_u32_e32 vcc, 8, v52
	v_cndmask_b32_e32 v40, v53, v40, vcc
	v_cndmask_b32_e32 v51, v51, v60, vcc
	v_lshlrev_b32_e32 v52, 16, v38
	v_lshlrev_b32_e32 v51, 20, v51
	v_and_b32_e32 v52, 0x80000000, v52
	v_lshl_add_u32 v40, v40, 23, v48
	v_or3_b32 v51, v52, v40, v51
.LBB668_583:                            ;   in Loop: Header=BB668_213 Depth=1
	s_or_b64 exec, exec, s[16:17]
.LBB668_584:                            ;   in Loop: Header=BB668_213 Depth=1
	s_or_b64 exec, exec, s[14:15]
.LBB668_585:                            ;   in Loop: Header=BB668_213 Depth=1
	s_or_b64 exec, exec, s[12:13]
	v_lshrrev_b32_e32 v40, 16, v38
	v_cmp_ne_u16_sdwa s[14:15], v40, v47 src0_sel:BYTE_0 src1_sel:DWORD
	s_and_saveexec_b64 s[12:13], s[14:15]
	s_cbranch_execz .LBB668_591
; %bb.586:                              ;   in Loop: Header=BB668_213 Depth=1
	v_cmp_ne_u16_sdwa s[16:17], v40, s9 src0_sel:BYTE_0 src1_sel:DWORD
	v_bfrev_b32_e32 v42, 1
	s_and_saveexec_b64 s[14:15], s[16:17]
	s_cbranch_execz .LBB668_590
; %bb.587:                              ;   in Loop: Header=BB668_213 Depth=1
	v_bfe_u32 v52, v38, 16, 7
	v_cmp_ne_u32_e32 vcc, s19, v52
	v_mov_b32_e32 v42, 0x7f800001
	s_and_saveexec_b64 s[16:17], vcc
	s_cbranch_execz .LBB668_589
; %bb.588:                              ;   in Loop: Header=BB668_213 Depth=1
	v_and_b32_e32 v42, 7, v40
	v_ffbh_u32_e32 v60, v42
	v_min_u32_e32 v62, 32, v60
	v_subrev_u32_e32 v60, 28, v62
	v_lshlrev_b64 v[60:61], v60, v[40:41]
	v_lshrrev_b32_e32 v53, 3, v52
	v_sub_u32_e32 v61, 29, v62
	v_and_b32_e32 v60, 7, v60
	v_cmp_gt_u32_e32 vcc, 8, v52
	v_cndmask_b32_e32 v52, v53, v61, vcc
	v_cndmask_b32_e32 v42, v42, v60, vcc
	v_lshlrev_b32_e32 v40, 24, v40
	v_lshlrev_b32_e32 v42, 20, v42
	v_and_b32_e32 v40, 0x80000000, v40
	v_lshl_add_u32 v52, v52, 23, v48
	v_or3_b32 v42, v40, v52, v42
.LBB668_589:                            ;   in Loop: Header=BB668_213 Depth=1
	s_or_b64 exec, exec, s[16:17]
.LBB668_590:                            ;   in Loop: Header=BB668_213 Depth=1
	s_or_b64 exec, exec, s[14:15]
.LBB668_591:                            ;   in Loop: Header=BB668_213 Depth=1
	s_or_b64 exec, exec, s[12:13]
	v_cmp_lt_u32_e32 vcc, s20, v38
	v_mov_b32_e32 v52, 0
	s_and_saveexec_b64 s[12:13], vcc
	s_cbranch_execz .LBB668_212
; %bb.592:                              ;   in Loop: Header=BB668_213 Depth=1
	v_lshrrev_b32_e32 v40, 24, v38
	v_cmp_ne_u32_e32 vcc, s9, v40
	v_bfrev_b32_e32 v52, 1
	s_and_saveexec_b64 s[14:15], vcc
	s_cbranch_execz .LBB668_211
; %bb.593:                              ;   in Loop: Header=BB668_213 Depth=1
	v_bfe_u32 v38, v38, 24, 7
	v_cmp_ne_u32_e32 vcc, s19, v38
	v_mov_b32_e32 v52, 0x7f800001
	s_and_saveexec_b64 s[16:17], vcc
	s_cbranch_execz .LBB668_210
; %bb.594:                              ;   in Loop: Header=BB668_213 Depth=1
	v_and_b32_e32 v60, 7, v40
	v_ffbh_u32_e32 v52, v60
	v_min_u32_e32 v62, 32, v52
	v_subrev_u32_e32 v52, 28, v62
	v_lshlrev_b64 v[52:53], v52, v[40:41]
	v_lshrrev_b32_e32 v61, 3, v38
	v_sub_u32_e32 v53, 29, v62
	v_and_b32_e32 v52, 7, v52
	v_cmp_gt_u32_e32 vcc, 8, v38
	v_cndmask_b32_e32 v38, v61, v53, vcc
	v_cndmask_b32_e32 v52, v60, v52, vcc
	v_lshlrev_b32_e32 v40, 24, v40
	v_lshlrev_b32_e32 v52, 20, v52
	v_and_b32_e32 v40, 0x80000000, v40
	v_lshl_add_u32 v38, v38, 23, v48
	v_or3_b32 v52, v40, v38, v52
	s_branch .LBB668_210
.LBB668_595:
	s_barrier
	buffer_load_dword v2, off, s[0:3], 0 offset:320
	buffer_load_dword v5, off, s[0:3], 0 offset:332
	;; [unrolled: 1-line block ×4, first 2 shown]
	v_cmp_gt_u32_e32 vcc, 64, v0
	s_waitcnt vmcnt(0)
	ds_write2st64_b64 v43, v[2:3], v[4:5] offset1:1
	s_waitcnt lgkmcnt(0)
	s_barrier
	s_and_saveexec_b64 s[4:5], vcc
	s_cbranch_execz .LBB668_598
; %bb.596:
	s_lshl_b32 s4, s50, 7
	s_mul_i32 s5, s18, s8
	s_mul_hi_u32 s9, s5, s4
	s_mul_i32 s8, s5, s4
	s_lshl_b64 s[8:9], s[8:9], 1
	v_lshlrev_b32_e32 v4, 6, v55
	s_add_u32 s5, s48, s8
	v_lshl_or_b32 v0, v0, 10, v4
	s_mov_b32 s7, 0
	s_addc_u32 s8, s49, s9
	s_lshl_b32 s6, s24, 7
	v_lshlrev_b32_e32 v2, 5, v1
	v_and_b32_e32 v3, 16, v56
	v_and_b32_e32 v0, 0x1a00, v0
	s_lshl_b64 s[6:7], s[6:7], 1
	v_or3_b32 v0, v0, v2, v3
	s_add_u32 s5, s5, s6
	ds_read_b128 v[4:7], v0 offset:256
	s_addc_u32 s6, s8, s7
	ds_read_b128 v[8:11], v0 offset:128
	ds_read_b128 v[12:15], v0
	v_add_u32_e32 v18, s25, v1
	v_mov_b32_e32 v3, s6
	v_add_co_u32_e32 v2, vcc, s5, v54
	v_mad_u64_u32 v[16:17], s[6:7], v18, s4, 0
	v_addc_co_u32_e32 v3, vcc, 0, v3, vcc
	v_lshlrev_b64 v[16:17], 1, v[16:17]
	v_add_co_u32_e32 v16, vcc, v2, v16
	v_addc_co_u32_e32 v17, vcc, v3, v17, vcc
	s_waitcnt lgkmcnt(0)
	global_store_dwordx4 v[16:17], v[12:15], off
	s_nop 0
	v_add_u32_e32 v12, 4, v18
	v_mad_u64_u32 v[12:13], s[6:7], v12, s4, 0
	v_lshlrev_b64 v[12:13], 1, v[12:13]
	v_add_co_u32_e32 v12, vcc, v2, v12
	v_addc_co_u32_e32 v13, vcc, v3, v13, vcc
	global_store_dwordx4 v[12:13], v[8:11], off
	s_nop 0
	v_add_u32_e32 v8, 8, v18
	v_mad_u64_u32 v[8:9], s[6:7], v8, s4, 0
	v_lshlrev_b64 v[8:9], 1, v[8:9]
	v_add_co_u32_e32 v8, vcc, v2, v8
	v_addc_co_u32_e32 v9, vcc, v3, v9, vcc
	v_cmp_ne_u32_e32 vcc, 3, v1
	global_store_dwordx4 v[8:9], v[4:7], off
	s_and_b64 exec, exec, vcc
	s_cbranch_execz .LBB668_598
; %bb.597:
	ds_read_b128 v[4:7], v0 offset:384
	v_add3_u32 v0, s25, v1, 12
	v_mad_u64_u32 v[0:1], s[4:5], v0, s4, 0
	v_lshlrev_b64 v[0:1], 1, v[0:1]
	v_add_co_u32_e32 v0, vcc, v2, v0
	v_addc_co_u32_e32 v1, vcc, v3, v1, vcc
	s_waitcnt lgkmcnt(0)
	global_store_dwordx4 v[0:1], v[4:7], off
.LBB668_598:
	s_endpgm
	.section	.rodata,"a",@progbits
	.p2align	6, 0x0
	.amdhsa_kernel _Z39paged_attention_ll4mi_QKV_mfma16_kernelIDF16_hLN4vllm18Fp8KVCacheDataTypeE1EDF16_Li32ELi128ELi256ELb0ELi15EL8MFMAType0EEvPKT_PKT0_S8_ifPKiSA_SA_iPKfiiiPfSD_PS3_PT2_iSC_SC_
		.amdhsa_group_segment_fixed_size 8192
		.amdhsa_private_segment_fixed_size 352
		.amdhsa_kernarg_size 400
		.amdhsa_user_sgpr_count 8
		.amdhsa_user_sgpr_private_segment_buffer 1
		.amdhsa_user_sgpr_dispatch_ptr 0
		.amdhsa_user_sgpr_queue_ptr 0
		.amdhsa_user_sgpr_kernarg_segment_ptr 1
		.amdhsa_user_sgpr_dispatch_id 0
		.amdhsa_user_sgpr_flat_scratch_init 1
		.amdhsa_user_sgpr_kernarg_preload_length 0
		.amdhsa_user_sgpr_kernarg_preload_offset 0
		.amdhsa_user_sgpr_private_segment_size 0
		.amdhsa_uses_dynamic_stack 0
		.amdhsa_system_sgpr_private_segment_wavefront_offset 1
		.amdhsa_system_sgpr_workgroup_id_x 1
		.amdhsa_system_sgpr_workgroup_id_y 1
		.amdhsa_system_sgpr_workgroup_id_z 1
		.amdhsa_system_sgpr_workgroup_info 0
		.amdhsa_system_vgpr_workitem_id 0
		.amdhsa_next_free_vgpr 78
		.amdhsa_next_free_sgpr 53
		.amdhsa_accum_offset 80
		.amdhsa_reserve_vcc 1
		.amdhsa_reserve_flat_scratch 0
		.amdhsa_float_round_mode_32 0
		.amdhsa_float_round_mode_16_64 0
		.amdhsa_float_denorm_mode_32 3
		.amdhsa_float_denorm_mode_16_64 3
		.amdhsa_dx10_clamp 1
		.amdhsa_ieee_mode 1
		.amdhsa_fp16_overflow 0
		.amdhsa_tg_split 0
		.amdhsa_exception_fp_ieee_invalid_op 0
		.amdhsa_exception_fp_denorm_src 0
		.amdhsa_exception_fp_ieee_div_zero 0
		.amdhsa_exception_fp_ieee_overflow 0
		.amdhsa_exception_fp_ieee_underflow 0
		.amdhsa_exception_fp_ieee_inexact 0
		.amdhsa_exception_int_div_zero 0
	.end_amdhsa_kernel
	.section	.text._Z39paged_attention_ll4mi_QKV_mfma16_kernelIDF16_hLN4vllm18Fp8KVCacheDataTypeE1EDF16_Li32ELi128ELi256ELb0ELi15EL8MFMAType0EEvPKT_PKT0_S8_ifPKiSA_SA_iPKfiiiPfSD_PS3_PT2_iSC_SC_,"axG",@progbits,_Z39paged_attention_ll4mi_QKV_mfma16_kernelIDF16_hLN4vllm18Fp8KVCacheDataTypeE1EDF16_Li32ELi128ELi256ELb0ELi15EL8MFMAType0EEvPKT_PKT0_S8_ifPKiSA_SA_iPKfiiiPfSD_PS3_PT2_iSC_SC_,comdat
.Lfunc_end668:
	.size	_Z39paged_attention_ll4mi_QKV_mfma16_kernelIDF16_hLN4vllm18Fp8KVCacheDataTypeE1EDF16_Li32ELi128ELi256ELb0ELi15EL8MFMAType0EEvPKT_PKT0_S8_ifPKiSA_SA_iPKfiiiPfSD_PS3_PT2_iSC_SC_, .Lfunc_end668-_Z39paged_attention_ll4mi_QKV_mfma16_kernelIDF16_hLN4vllm18Fp8KVCacheDataTypeE1EDF16_Li32ELi128ELi256ELb0ELi15EL8MFMAType0EEvPKT_PKT0_S8_ifPKiSA_SA_iPKfiiiPfSD_PS3_PT2_iSC_SC_
                                        ; -- End function
	.section	.AMDGPU.csdata,"",@progbits
; Kernel info:
; codeLenInByte = 21308
; NumSgprs: 57
; NumVgprs: 78
; NumAgprs: 0
; TotalNumVgprs: 78
; ScratchSize: 352
; MemoryBound: 0
; FloatMode: 240
; IeeeMode: 1
; LDSByteSize: 8192 bytes/workgroup (compile time only)
; SGPRBlocks: 7
; VGPRBlocks: 9
; NumSGPRsForWavesPerEU: 57
; NumVGPRsForWavesPerEU: 78
; AccumOffset: 80
; Occupancy: 6
; WaveLimiterHint : 1
; COMPUTE_PGM_RSRC2:SCRATCH_EN: 1
; COMPUTE_PGM_RSRC2:USER_SGPR: 8
; COMPUTE_PGM_RSRC2:TRAP_HANDLER: 0
; COMPUTE_PGM_RSRC2:TGID_X_EN: 1
; COMPUTE_PGM_RSRC2:TGID_Y_EN: 1
; COMPUTE_PGM_RSRC2:TGID_Z_EN: 1
; COMPUTE_PGM_RSRC2:TIDIG_COMP_CNT: 0
; COMPUTE_PGM_RSRC3_GFX90A:ACCUM_OFFSET: 19
; COMPUTE_PGM_RSRC3_GFX90A:TG_SPLIT: 0
	.section	.text._Z39paged_attention_ll4mi_QKV_mfma16_kernelIDF16_hLN4vllm18Fp8KVCacheDataTypeE1EDF16_Li32ELi128ELi256ELb0ELi16EL8MFMAType0EEvPKT_PKT0_S8_ifPKiSA_SA_iPKfiiiPfSD_PS3_PT2_iSC_SC_,"axG",@progbits,_Z39paged_attention_ll4mi_QKV_mfma16_kernelIDF16_hLN4vllm18Fp8KVCacheDataTypeE1EDF16_Li32ELi128ELi256ELb0ELi16EL8MFMAType0EEvPKT_PKT0_S8_ifPKiSA_SA_iPKfiiiPfSD_PS3_PT2_iSC_SC_,comdat
	.protected	_Z39paged_attention_ll4mi_QKV_mfma16_kernelIDF16_hLN4vllm18Fp8KVCacheDataTypeE1EDF16_Li32ELi128ELi256ELb0ELi16EL8MFMAType0EEvPKT_PKT0_S8_ifPKiSA_SA_iPKfiiiPfSD_PS3_PT2_iSC_SC_ ; -- Begin function _Z39paged_attention_ll4mi_QKV_mfma16_kernelIDF16_hLN4vllm18Fp8KVCacheDataTypeE1EDF16_Li32ELi128ELi256ELb0ELi16EL8MFMAType0EEvPKT_PKT0_S8_ifPKiSA_SA_iPKfiiiPfSD_PS3_PT2_iSC_SC_
	.globl	_Z39paged_attention_ll4mi_QKV_mfma16_kernelIDF16_hLN4vllm18Fp8KVCacheDataTypeE1EDF16_Li32ELi128ELi256ELb0ELi16EL8MFMAType0EEvPKT_PKT0_S8_ifPKiSA_SA_iPKfiiiPfSD_PS3_PT2_iSC_SC_
	.p2align	8
	.type	_Z39paged_attention_ll4mi_QKV_mfma16_kernelIDF16_hLN4vllm18Fp8KVCacheDataTypeE1EDF16_Li32ELi128ELi256ELb0ELi16EL8MFMAType0EEvPKT_PKT0_S8_ifPKiSA_SA_iPKfiiiPfSD_PS3_PT2_iSC_SC_,@function
_Z39paged_attention_ll4mi_QKV_mfma16_kernelIDF16_hLN4vllm18Fp8KVCacheDataTypeE1EDF16_Li32ELi128ELi256ELb0ELi16EL8MFMAType0EEvPKT_PKT0_S8_ifPKiSA_SA_iPKfiiiPfSD_PS3_PT2_iSC_SC_: ; @_Z39paged_attention_ll4mi_QKV_mfma16_kernelIDF16_hLN4vllm18Fp8KVCacheDataTypeE1EDF16_Li32ELi128ELi256ELb0ELi16EL8MFMAType0EEvPKT_PKT0_S8_ifPKiSA_SA_iPKfiiiPfSD_PS3_PT2_iSC_SC_
; %bb.0:
	s_load_dwordx2 s[6:7], s[4:5], 0x30
	s_add_u32 s0, s0, s11
	s_addc_u32 s1, s1, 0
	s_mov_b32 s24, s9
	s_mov_b64 s[12:13], 0
	s_waitcnt lgkmcnt(0)
	s_cmp_lg_u64 s[6:7], 0
	s_cselect_b64 s[16:17], -1, 0
	s_and_b64 vcc, exec, s[16:17]
	s_cbranch_vccz .LBB669_7
; %bb.1:
	s_add_i32 s14, s8, 1
	s_mov_b32 s15, 0
	s_lshl_b64 s[18:19], s[14:15], 2
	s_add_u32 s18, s6, s18
	s_mov_b32 s9, s15
	s_addc_u32 s19, s7, s19
	s_lshl_b64 s[14:15], s[8:9], 2
	s_add_u32 s14, s6, s14
	s_addc_u32 s15, s7, s15
	s_load_dword s11, s[18:19], 0x0
	s_load_dword s20, s[14:15], 0x0
	s_waitcnt lgkmcnt(0)
	s_sub_i32 s11, s11, s20
	s_cmp_eq_u32 s11, 1
	s_cselect_b64 s[14:15], -1, 0
	s_andn2_b64 vcc, exec, s[12:13]
	s_cbranch_vccnz .LBB669_3
.LBB669_2:
	s_mov_b32 s9, 0
	s_mov_b64 s[14:15], -1
.LBB669_3:
	s_andn2_b64 vcc, exec, s[14:15]
	s_cbranch_vccnz .LBB669_597
; %bb.4:
	s_load_dwordx2 s[12:13], s[4:5], 0x28
	s_lshl_b64 s[18:19], s[8:9], 2
	s_waitcnt lgkmcnt(0)
	s_add_u32 s12, s12, s18
	s_addc_u32 s13, s13, s19
	s_load_dword s33, s[12:13], 0x0
	s_lshl_b32 s20, s24, 8
	s_waitcnt lgkmcnt(0)
	s_cmp_ge_i32 s20, s33
	s_cbranch_scc1 .LBB669_597
; %bb.5:
	s_add_i32 s14, s33, 31
	s_load_dwordx2 s[12:13], s[4:5], 0x20
	s_load_dword s11, s[4:5], 0x38
	s_ashr_i32 s15, s14, 31
	v_and_b32_e32 v1, 0xcf, v0
	s_lshr_b32 s15, s15, 27
	v_add_u32_e32 v1, s20, v1
	s_add_i32 s14, s14, s15
	v_ashrrev_i32_e32 v2, 31, v1
	s_ashr_i32 s22, s14, 5
	v_lshrrev_b32_e32 v10, 27, v2
	s_add_i32 s22, s22, -1
	v_add_u32_e32 v2, v1, v10
	s_waitcnt lgkmcnt(0)
	s_mul_i32 s14, s8, s11
	s_mov_b32 s15, 0
	v_ashrrev_i32_e32 v2, 5, v2
	v_mov_b32_e32 v11, s22
	v_cmp_gt_i32_e32 vcc, s33, v1
	s_lshl_b64 s[14:15], s[14:15], 2
	v_cndmask_b32_e32 v2, v11, v2, vcc
	s_add_u32 s11, s12, s14
	v_ashrrev_i32_e32 v3, 31, v2
	s_addc_u32 s21, s13, s15
	v_lshlrev_b64 v[2:3], 2, v[2:3]
	v_mov_b32_e32 v5, s21
	v_add_co_u32_e32 v4, vcc, s11, v2
	v_or_b32_e32 v2, 16, v1
	v_addc_co_u32_e32 v5, vcc, v5, v3, vcc
	v_add_u32_e32 v3, v2, v10
	v_ashrrev_i32_e32 v3, 5, v3
	v_cmp_gt_i32_e32 vcc, s33, v2
	v_cndmask_b32_e32 v2, v11, v3, vcc
	v_ashrrev_i32_e32 v3, 31, v2
	v_lshlrev_b64 v[2:3], 2, v[2:3]
	v_mov_b32_e32 v7, s21
	v_add_co_u32_e32 v6, vcc, s11, v2
	v_or_b32_e32 v2, 32, v1
	v_addc_co_u32_e32 v7, vcc, v7, v3, vcc
	v_add_u32_e32 v3, v2, v10
	v_ashrrev_i32_e32 v3, 5, v3
	v_cmp_gt_i32_e32 vcc, s33, v2
	v_cndmask_b32_e32 v2, v11, v3, vcc
	v_ashrrev_i32_e32 v3, 31, v2
	;; [unrolled: 10-line block ×3, first 2 shown]
	v_lshlrev_b64 v[2:3], 2, v[2:3]
	v_mov_b32_e32 v1, s21
	v_add_co_u32_e32 v12, vcc, s11, v2
	v_addc_co_u32_e32 v13, vcc, v1, v3, vcc
	global_load_dword v2, v[4:5], off
	global_load_dword v10, v[6:7], off
	;; [unrolled: 1-line block ×4, first 2 shown]
	s_load_dwordx4 s[12:15], s[4:5], 0x8
	s_andn2_b64 vcc, exec, s[16:17]
	s_cbranch_vccnz .LBB669_8
; %bb.6:
	s_add_u32 s6, s6, s18
	s_addc_u32 s7, s7, s19
	s_load_dword s16, s[6:7], 0x0
	s_branch .LBB669_9
.LBB669_7:
	s_mov_b64 s[14:15], 0
	s_branch .LBB669_2
.LBB669_8:
	s_mov_b32 s16, s8
.LBB669_9:
	s_load_dwordx2 s[48:49], s[4:5], 0x68
	s_load_dwordx8 s[40:47], s[4:5], 0x48
	v_and_b32_e32 v51, 15, v0
	v_lshlrev_b32_e32 v3, 3, v51
	s_movk_i32 s6, 0x100
	v_lshrrev_b32_e32 v60, 6, v0
	v_bfe_u32 v1, v0, 4, 2
	s_lshl_b32 s25, s10, 4
	v_cmp_gt_u32_e32 vcc, s6, v0
	v_lshlrev_b32_e32 v50, 1, v3
	v_lshlrev_b32_e32 v52, 4, v0
	s_and_saveexec_b64 s[6:7], vcc
	s_cbranch_execz .LBB669_11
; %bb.10:
	s_load_dwordx2 s[18:19], s[4:5], 0x0
	s_waitcnt lgkmcnt(0)
	s_ashr_i32 s17, s40, 31
	s_mul_hi_u32 s23, s16, s40
	s_mul_i32 s17, s16, s17
	v_lshl_or_b32 v3, v60, 2, v1
	s_add_i32 s17, s23, s17
	s_mul_i32 s16, s16, s40
	s_lshl_b64 s[16:17], s[16:17], 1
	v_add_lshl_u32 v4, v3, s25, 7
	s_add_u32 s16, s18, s16
	v_ashrrev_i32_e32 v5, 31, v4
	s_addc_u32 s17, s19, s17
	v_lshlrev_b64 v[4:5], 1, v[4:5]
	v_mov_b32_e32 v6, s17
	v_add_co_u32_e32 v4, vcc, s16, v4
	v_addc_co_u32_e32 v5, vcc, v6, v5, vcc
	v_add_co_u32_e32 v4, vcc, v4, v50
	v_addc_co_u32_e32 v5, vcc, 0, v5, vcc
	global_load_dwordx4 v[4:7], v[4:5], off
	v_lshlrev_b32_e32 v9, 8, v0
	v_lshlrev_b32_e32 v8, 8, v51
	v_and_b32_e32 v9, 0x600, v9
	s_movk_i32 s16, 0x800
	v_and_or_b32 v8, v8, s16, v9
	v_lshlrev_b32_e32 v3, 5, v3
	v_and_b32_e32 v9, 16, v52
	v_or3_b32 v3, v8, v3, v9
	s_waitcnt vmcnt(0)
	ds_write_b128 v3, v[4:7]
.LBB669_11:
	s_or_b64 exec, exec, s[6:7]
	s_waitcnt lgkmcnt(0)
	s_mul_i32 s10, s10, s42
	s_add_u32 s6, s12, s10
	s_addc_u32 s7, s13, 0
	v_and_b32_e32 v3, 48, v0
	s_ashr_i32 s12, s20, 31
	v_or_b32_e32 v11, s20, v3
	s_lshr_b32 s12, s12, 27
	v_add_u32_e32 v4, s12, v11
	v_ashrrev_i32_e32 v4, 5, v4
	v_mov_b32_e32 v12, s22
	v_cmp_gt_i32_e32 vcc, s33, v11
	v_cndmask_b32_e32 v4, v12, v4, vcc
	v_ashrrev_i32_e32 v5, 31, v4
	v_lshlrev_b64 v[4:5], 2, v[4:5]
	v_mov_b32_e32 v6, s21
	v_add_co_u32_e32 v4, vcc, s11, v4
	v_addc_co_u32_e32 v5, vcc, v6, v5, vcc
	v_or_b32_e32 v6, 64, v11
	v_add_u32_e32 v7, s12, v6
	v_ashrrev_i32_e32 v7, 5, v7
	v_cmp_gt_i32_e32 vcc, s33, v6
	v_cndmask_b32_e32 v6, v12, v7, vcc
	v_ashrrev_i32_e32 v7, 31, v6
	v_lshlrev_b64 v[6:7], 2, v[6:7]
	v_mov_b32_e32 v8, s21
	v_add_co_u32_e32 v6, vcc, s11, v6
	v_addc_co_u32_e32 v7, vcc, v8, v7, vcc
	v_or_b32_e32 v8, 0x80, v11
	v_add_u32_e32 v9, s12, v8
	v_ashrrev_i32_e32 v9, 5, v9
	v_cmp_gt_i32_e32 vcc, s33, v8
	v_cndmask_b32_e32 v8, v12, v9, vcc
	v_ashrrev_i32_e32 v9, 31, v8
	v_lshlrev_b64 v[8:9], 2, v[8:9]
	v_mov_b32_e32 v13, s21
	v_add_co_u32_e32 v8, vcc, s11, v8
	s_load_dwordx2 s[50:51], s[4:5], 0x94
	s_waitcnt lgkmcnt(0)
	s_barrier
	v_addc_co_u32_e32 v9, vcc, v13, v9, vcc
	global_load_dword v53, v[4:5], off
	global_load_dword v58, v[6:7], off
	;; [unrolled: 1-line block ×3, first 2 shown]
	v_or_b32_e32 v4, 0xc0, v11
	v_add_u32_e32 v5, s12, v4
	v_ashrrev_i32_e32 v5, 5, v5
	v_cmp_gt_i32_e32 vcc, s33, v4
	v_cndmask_b32_e32 v4, v12, v5, vcc
	v_ashrrev_i32_e32 v5, 31, v4
	v_lshlrev_b64 v[4:5], 2, v[4:5]
	v_mov_b32_e32 v6, s21
	v_add_co_u32_e32 v4, vcc, s11, v4
	v_addc_co_u32_e32 v5, vcc, v6, v5, vcc
	global_load_dword v62, v[4:5], off
	v_pk_mov_b32 v[24:25], s[6:7], s[6:7] op_sel:[0,1]
	v_lshlrev_b32_e32 v28, 5, v3
	s_waitcnt vmcnt(7)
	v_mad_i64_i32 v[2:3], s[6:7], v2, s41, v[24:25]
	v_lshlrev_b32_e32 v23, 4, v51
	v_add_co_u32_e32 v2, vcc, v2, v23
	v_addc_co_u32_e32 v3, vcc, 0, v3, vcc
	v_add_co_u32_e32 v12, vcc, v2, v28
	v_addc_co_u32_e32 v13, vcc, 0, v3, vcc
	s_waitcnt vmcnt(6)
	v_mad_i64_i32 v[10:11], s[6:7], v10, s41, v[24:25]
	v_or_b32_e32 v29, 0x100, v23
	v_add_co_u32_e32 v10, vcc, v10, v29
	v_addc_co_u32_e32 v11, vcc, 0, v11, vcc
	v_add_co_u32_e32 v20, vcc, v10, v28
	v_addc_co_u32_e32 v21, vcc, 0, v11, vcc
	s_waitcnt vmcnt(5)
	v_mad_i64_i32 v[18:19], s[6:7], v18, s41, v[24:25]
	v_add_co_u32_e32 v18, vcc, v18, v23
	v_addc_co_u32_e32 v19, vcc, 0, v19, vcc
	v_add_co_u32_e32 v26, vcc, v18, v28
	v_addc_co_u32_e32 v27, vcc, 0, v19, vcc
	s_waitcnt vmcnt(4)
	v_mad_i64_i32 v[22:23], s[6:7], v22, s41, v[24:25]
	v_add_co_u32_e32 v22, vcc, v22, v29
	v_addc_co_u32_e32 v23, vcc, 0, v23, vcc
	v_add_co_u32_e32 v30, vcc, v22, v28
	v_addc_co_u32_e32 v31, vcc, 0, v23, vcc
	s_add_u32 s6, s14, s10
	global_load_dwordx4 v[6:9], v[12:13], off
	global_load_dwordx4 v[2:5], v[12:13], off offset:2048
	s_nop 0
	global_load_dwordx4 v[10:13], v[20:21], off
	global_load_dwordx4 v[14:17], v[20:21], off offset:2048
	global_load_dwordx4 v[34:37], v[26:27], off
	s_nop 0
	global_load_dwordx4 v[18:21], v[26:27], off offset:2048
	s_nop 0
	global_load_dwordx4 v[26:29], v[30:31], off
	global_load_dwordx4 v[22:25], v[30:31], off offset:2048
	s_addc_u32 s7, s15, 0
	v_and_b32_e32 v30, 16, v0
	v_mov_b32_e32 v31, s7
	v_add_co_u32_e32 v54, vcc, s6, v30
	v_lshl_or_b32 v61, v60, 4, v51
	v_addc_co_u32_e32 v55, vcc, 0, v31, vcc
	v_lshlrev_b32_e32 v56, 5, v61
	v_add_co_u32_e32 v42, vcc, v54, v56
	v_addc_co_u32_e32 v43, vcc, 0, v55, vcc
	v_or_b32_e32 v56, 0x800, v56
	v_add_co_u32_e32 v54, vcc, v54, v56
	s_waitcnt vmcnt(11)
	v_mad_i64_i32 v[30:31], s[6:7], v53, s41, v[42:43]
	s_waitcnt vmcnt(10)
	v_mad_i64_i32 v[38:39], s[6:7], v58, s41, v[42:43]
	;; [unrolled: 2-line block ×3, first 2 shown]
	global_load_dwordx4 v[30:33], v[30:31], off
	v_addc_co_u32_e32 v55, vcc, 0, v55, vcc
	global_load_dwordx4 v[38:41], v[38:39], off
	v_mad_i64_i32 v[56:57], s[6:7], v53, s41, v[54:55]
	s_mov_b32 s12, 0
	s_movk_i32 s13, 0x80
	s_waitcnt vmcnt(10)
	v_mad_i64_i32 v[42:43], s[6:7], v62, s41, v[42:43]
	global_load_dwordx4 v[46:49], v[44:45], off
	s_nop 0
	global_load_dwordx4 v[42:45], v[42:43], off
	s_movk_i32 s14, 0x7f
	global_load_dwordx4 v[64:67], v[56:57], off
	v_mad_i64_i32 v[56:57], s[6:7], v58, s41, v[54:55]
	global_load_dwordx4 v[68:71], v[56:57], off
	v_mad_i64_i32 v[56:57], s[6:7], v59, s41, v[54:55]
	v_mad_i64_i32 v[54:55], s[6:7], v62, s41, v[54:55]
	global_load_dwordx4 v[72:75], v[56:57], off
	global_load_dwordx4 v[76:79], v[54:55], off
	s_waitcnt vmcnt(15)
	buffer_store_dword v9, off, s[0:3], 0 offset:12
	buffer_store_dword v8, off, s[0:3], 0 offset:8
	;; [unrolled: 1-line block ×3, first 2 shown]
	buffer_store_dword v6, off, s[0:3], 0
	s_waitcnt vmcnt(18)
	buffer_store_dword v5, off, s[0:3], 0 offset:28
	buffer_store_dword v4, off, s[0:3], 0 offset:24
	;; [unrolled: 1-line block ×4, first 2 shown]
	s_waitcnt vmcnt(21)
	buffer_store_dword v13, off, s[0:3], 0 offset:44
	buffer_store_dword v12, off, s[0:3], 0 offset:40
	;; [unrolled: 1-line block ×4, first 2 shown]
	s_load_dword s6, s[4:5], 0x1c
	s_load_dwordx4 s[40:43], s[4:5], 0x80
	s_waitcnt vmcnt(24)
	buffer_store_dword v17, off, s[0:3], 0 offset:60
	buffer_store_dword v16, off, s[0:3], 0 offset:56
	;; [unrolled: 1-line block ×4, first 2 shown]
	s_waitcnt vmcnt(27)
	buffer_store_dword v37, off, s[0:3], 0 offset:76
	buffer_store_dword v36, off, s[0:3], 0 offset:72
	;; [unrolled: 1-line block ×4, first 2 shown]
	v_lshlrev_b32_e32 v36, 5, v51
	v_mov_b32_e32 v2, 0x80
	v_lshl_or_b32 v35, v1, 9, v36
	v_add_u32_e32 v53, 16, v2
	v_add_u32_e32 v59, 32, v2
	;; [unrolled: 1-line block ×7, first 2 shown]
	ds_read_b128 v[2:5], v35
	ds_read_b128 v[6:9], v35 offset:16
	ds_read_b128 v[10:13], v35 offset:2048
	;; [unrolled: 1-line block ×3, first 2 shown]
	s_waitcnt vmcnt(30)
	buffer_store_dword v21, off, s[0:3], 0 offset:92
	buffer_store_dword v20, off, s[0:3], 0 offset:88
	buffer_store_dword v19, off, s[0:3], 0 offset:84
	buffer_store_dword v18, off, s[0:3], 0 offset:80
	s_waitcnt vmcnt(33)
	buffer_store_dword v29, off, s[0:3], 0 offset:108
	buffer_store_dword v28, off, s[0:3], 0 offset:104
	buffer_store_dword v27, off, s[0:3], 0 offset:100
	buffer_store_dword v26, off, s[0:3], 0 offset:96
	;; [unrolled: 5-line block ×10, first 2 shown]
	s_waitcnt vmcnt(60)
	buffer_store_dword v79, off, s[0:3], 0 offset:252
	s_waitcnt lgkmcnt(0)
	s_load_dword s4, s[40:41], 0x0
	v_mov_b32_e32 v18, s6
	v_and_b32_e32 v62, 63, v0
	v_mov_b32_e32 v27, 0
	s_mov_b32 s15, 0xffffff
	s_waitcnt lgkmcnt(0)
	v_mul_f32_e32 v22, s4, v18
	v_mov_b32_e32 v24, v22
	v_mov_b32_e32 v25, v22
	;; [unrolled: 1-line block ×4, first 2 shown]
	v_bfrev_b32_e32 v33, 60
	buffer_store_dword v78, off, s[0:3], 0 offset:248
	buffer_store_dword v77, off, s[0:3], 0 offset:244
	;; [unrolled: 1-line block ×3, first 2 shown]
	s_branch .LBB669_15
.LBB669_12:                             ;   in Loop: Header=BB669_15 Depth=1
	s_or_b64 exec, exec, s[10:11]
.LBB669_13:                             ;   in Loop: Header=BB669_15 Depth=1
	s_or_b64 exec, exec, s[6:7]
.LBB669_14:                             ;   in Loop: Header=BB669_15 Depth=1
	s_or_b64 exec, exec, s[4:5]
	v_cvt_pkrtz_f16_f32 v42, v34, v32
	v_cvt_pkrtz_f16_f32 v43, v23, v38
	;; [unrolled: 1-line block ×4, first 2 shown]
	v_add_u32_e32 v26, s12, v31
	v_mfma_f32_16x16x16f16 v[18:21], v[42:43], v[14:15], v[18:21]
	s_add_i32 s12, s12, 16
	v_mov_b32_e32 v23, v22
	s_cmp_eq_u32 s12, 64
	v_add_u32_e32 v27, 32, v27
	v_mfma_f32_16x16x16f16 v[18:21], v[38:39], v[16:17], v[18:21]
	s_nop 7
	s_nop 2
	v_pk_mul_f32 v[18:19], v[24:25], v[18:19]
	v_pk_mul_f32 v[20:21], v[22:23], v[20:21]
	buffer_store_dword v19, v26, s[0:3], 0 offen offset:4
	buffer_store_dword v18, v26, s[0:3], 0 offen
	buffer_store_dword v21, v26, s[0:3], 0 offen offset:12
	buffer_store_dword v20, v26, s[0:3], 0 offen offset:8
	s_cbranch_scc1 .LBB669_205
.LBB669_15:                             ; =>This Inner Loop Header: Depth=1
	buffer_load_dword v20, v27, s[0:3], 0 offen
	buffer_load_dword v18, v27, s[0:3], 0 offen offset:4
	buffer_load_dword v28, v27, s[0:3], 0 offen offset:8
	;; [unrolled: 1-line block ×3, first 2 shown]
	v_mov_b32_e32 v19, 0
	s_waitcnt vmcnt(3)
	v_cmp_ne_u16_sdwa s[6:7], v20, v29 src0_sel:BYTE_0 src1_sel:DWORD
	s_and_saveexec_b64 s[4:5], s[6:7]
	s_cbranch_execz .LBB669_21
; %bb.16:                               ;   in Loop: Header=BB669_15 Depth=1
	v_cmp_ne_u16_sdwa s[10:11], v20, s13 src0_sel:BYTE_0 src1_sel:DWORD
	v_bfrev_b32_e32 v19, 1
	s_and_saveexec_b64 s[6:7], s[10:11]
	s_cbranch_execz .LBB669_20
; %bb.17:                               ;   in Loop: Header=BB669_15 Depth=1
	v_and_b32_e32 v21, 0x7f, v20
	v_cmp_ne_u32_e32 vcc, s14, v21
	v_mov_b32_e32 v19, 0x7f800001
	s_and_saveexec_b64 s[10:11], vcc
	s_cbranch_execz .LBB669_19
; %bb.18:                               ;   in Loop: Header=BB669_15 Depth=1
	v_and_b32_e32 v19, 7, v20
	v_ffbh_u32_e32 v30, v19
	v_min_u32_e32 v30, 32, v30
	v_subrev_u32_e32 v32, 28, v30
	v_lshlrev_b64 v[38:39], v32, v[20:21]
	v_lshrrev_b32_e32 v23, 3, v21
	v_sub_u32_e32 v30, 29, v30
	v_and_b32_e32 v32, 7, v38
	v_cmp_gt_u32_e32 vcc, 8, v21
	v_cndmask_b32_e32 v21, v23, v30, vcc
	v_cndmask_b32_e32 v19, v19, v32, vcc
	v_lshlrev_b32_e32 v23, 24, v20
	v_lshlrev_b32_e32 v19, 20, v19
	v_and_b32_e32 v23, 0x80000000, v23
	v_lshl_add_u32 v21, v21, 23, v33
	v_or3_b32 v19, v23, v21, v19
.LBB669_19:                             ;   in Loop: Header=BB669_15 Depth=1
	s_or_b64 exec, exec, s[10:11]
.LBB669_20:                             ;   in Loop: Header=BB669_15 Depth=1
	s_or_b64 exec, exec, s[6:7]
.LBB669_21:                             ;   in Loop: Header=BB669_15 Depth=1
	s_or_b64 exec, exec, s[4:5]
	v_lshrrev_b16_e32 v30, 8, v20
	v_cmp_ne_u16_e32 vcc, 0, v30
	v_mov_b32_e32 v21, 0
	v_mov_b32_e32 v23, 0
	s_and_saveexec_b64 s[4:5], vcc
	s_cbranch_execz .LBB669_27
; %bb.22:                               ;   in Loop: Header=BB669_15 Depth=1
	v_cmp_ne_u16_e32 vcc, s13, v30
	v_bfrev_b32_e32 v23, 1
	s_and_saveexec_b64 s[6:7], vcc
	s_cbranch_execz .LBB669_26
; %bb.23:                               ;   in Loop: Header=BB669_15 Depth=1
	v_and_b32_e32 v32, 0x7f, v30
	v_cmp_ne_u32_e32 vcc, s14, v32
	v_mov_b32_e32 v23, 0x7f800001
	s_and_saveexec_b64 s[10:11], vcc
	s_cbranch_execz .LBB669_25
; %bb.24:                               ;   in Loop: Header=BB669_15 Depth=1
	v_and_b32_e32 v23, 7, v30
	v_ffbh_u32_e32 v37, v23
	v_min_u32_e32 v37, 32, v37
	v_subrev_u32_e32 v38, 28, v37
	v_lshlrev_b64 v[38:39], v38, v[30:31]
	v_lshrrev_b32_e32 v34, 3, v32
	v_sub_u32_e32 v30, 29, v37
	v_and_b32_e32 v37, 7, v38
	v_cmp_gt_u32_e32 vcc, 8, v32
	v_cndmask_b32_e32 v30, v34, v30, vcc
	v_cndmask_b32_e32 v23, v23, v37, vcc
	v_lshlrev_b32_e32 v32, 16, v20
	v_lshlrev_b32_e32 v23, 20, v23
	v_and_b32_e32 v32, 0x80000000, v32
	v_lshl_add_u32 v30, v30, 23, v33
	v_or3_b32 v23, v32, v30, v23
.LBB669_25:                             ;   in Loop: Header=BB669_15 Depth=1
	s_or_b64 exec, exec, s[10:11]
.LBB669_26:                             ;   in Loop: Header=BB669_15 Depth=1
	s_or_b64 exec, exec, s[6:7]
.LBB669_27:                             ;   in Loop: Header=BB669_15 Depth=1
	s_or_b64 exec, exec, s[4:5]
	v_lshrrev_b32_e32 v30, 16, v20
	v_cmp_ne_u16_sdwa s[6:7], v30, v29 src0_sel:BYTE_0 src1_sel:DWORD
	s_and_saveexec_b64 s[4:5], s[6:7]
	s_cbranch_execz .LBB669_33
; %bb.28:                               ;   in Loop: Header=BB669_15 Depth=1
	v_cmp_ne_u16_sdwa s[10:11], v30, s13 src0_sel:BYTE_0 src1_sel:DWORD
	v_bfrev_b32_e32 v21, 1
	s_and_saveexec_b64 s[6:7], s[10:11]
	s_cbranch_execz .LBB669_32
; %bb.29:                               ;   in Loop: Header=BB669_15 Depth=1
	v_bfe_u32 v32, v20, 16, 7
	v_cmp_ne_u32_e32 vcc, s14, v32
	v_mov_b32_e32 v21, 0x7f800001
	s_and_saveexec_b64 s[10:11], vcc
	s_cbranch_execz .LBB669_31
; %bb.30:                               ;   in Loop: Header=BB669_15 Depth=1
	v_and_b32_e32 v21, 7, v30
	v_ffbh_u32_e32 v37, v21
	v_min_u32_e32 v37, 32, v37
	v_subrev_u32_e32 v38, 28, v37
	v_lshlrev_b64 v[38:39], v38, v[30:31]
	v_lshrrev_b32_e32 v34, 3, v32
	v_sub_u32_e32 v37, 29, v37
	v_and_b32_e32 v38, 7, v38
	v_cmp_gt_u32_e32 vcc, 8, v32
	v_cndmask_b32_e32 v32, v34, v37, vcc
	v_cndmask_b32_e32 v21, v21, v38, vcc
	v_lshlrev_b32_e32 v30, 24, v30
	v_lshlrev_b32_e32 v21, 20, v21
	v_and_b32_e32 v30, 0x80000000, v30
	v_lshl_add_u32 v32, v32, 23, v33
	v_or3_b32 v21, v30, v32, v21
.LBB669_31:                             ;   in Loop: Header=BB669_15 Depth=1
	s_or_b64 exec, exec, s[10:11]
.LBB669_32:                             ;   in Loop: Header=BB669_15 Depth=1
	s_or_b64 exec, exec, s[6:7]
.LBB669_33:                             ;   in Loop: Header=BB669_15 Depth=1
	s_or_b64 exec, exec, s[4:5]
	v_cmp_lt_u32_e32 vcc, s15, v20
	v_mov_b32_e32 v34, 0
	v_mov_b32_e32 v37, 0
	s_and_saveexec_b64 s[4:5], vcc
	s_cbranch_execz .LBB669_39
; %bb.34:                               ;   in Loop: Header=BB669_15 Depth=1
	v_lshrrev_b32_e32 v30, 24, v20
	v_cmp_ne_u32_e32 vcc, s13, v30
	v_bfrev_b32_e32 v37, 1
	s_and_saveexec_b64 s[6:7], vcc
	s_cbranch_execz .LBB669_38
; %bb.35:                               ;   in Loop: Header=BB669_15 Depth=1
	v_bfe_u32 v20, v20, 24, 7
	v_cmp_ne_u32_e32 vcc, s14, v20
	v_mov_b32_e32 v37, 0x7f800001
	s_and_saveexec_b64 s[10:11], vcc
	s_cbranch_execz .LBB669_37
; %bb.36:                               ;   in Loop: Header=BB669_15 Depth=1
	v_and_b32_e32 v32, 7, v30
	v_ffbh_u32_e32 v38, v32
	v_min_u32_e32 v40, 32, v38
	v_subrev_u32_e32 v38, 28, v40
	v_lshlrev_b64 v[38:39], v38, v[30:31]
	v_lshrrev_b32_e32 v37, 3, v20
	v_sub_u32_e32 v39, 29, v40
	v_and_b32_e32 v38, 7, v38
	v_cmp_gt_u32_e32 vcc, 8, v20
	v_cndmask_b32_e32 v20, v37, v39, vcc
	v_cndmask_b32_e32 v32, v32, v38, vcc
	v_lshlrev_b32_e32 v30, 24, v30
	v_lshlrev_b32_e32 v32, 20, v32
	v_and_b32_e32 v30, 0x80000000, v30
	v_lshl_add_u32 v20, v20, 23, v33
	v_or3_b32 v37, v30, v20, v32
.LBB669_37:                             ;   in Loop: Header=BB669_15 Depth=1
	s_or_b64 exec, exec, s[10:11]
.LBB669_38:                             ;   in Loop: Header=BB669_15 Depth=1
	s_or_b64 exec, exec, s[6:7]
.LBB669_39:                             ;   in Loop: Header=BB669_15 Depth=1
	s_or_b64 exec, exec, s[4:5]
	s_waitcnt vmcnt(2)
	v_cmp_ne_u16_sdwa s[6:7], v18, v29 src0_sel:BYTE_0 src1_sel:DWORD
	s_and_saveexec_b64 s[4:5], s[6:7]
	s_cbranch_execz .LBB669_45
; %bb.40:                               ;   in Loop: Header=BB669_15 Depth=1
	v_cmp_ne_u16_sdwa s[10:11], v18, s13 src0_sel:BYTE_0 src1_sel:DWORD
	v_bfrev_b32_e32 v34, 1
	s_and_saveexec_b64 s[6:7], s[10:11]
	s_cbranch_execz .LBB669_44
; %bb.41:                               ;   in Loop: Header=BB669_15 Depth=1
	v_and_b32_e32 v20, 0x7f, v18
	v_cmp_ne_u32_e32 vcc, s14, v20
	v_mov_b32_e32 v34, 0x7f800001
	s_and_saveexec_b64 s[10:11], vcc
	s_cbranch_execz .LBB669_43
; %bb.42:                               ;   in Loop: Header=BB669_15 Depth=1
	v_and_b32_e32 v30, 7, v18
	v_ffbh_u32_e32 v34, v30
	v_min_u32_e32 v34, 32, v34
	v_subrev_u32_e32 v38, 28, v34
	v_lshlrev_b64 v[38:39], v38, v[18:19]
	v_lshrrev_b32_e32 v32, 3, v20
	v_sub_u32_e32 v34, 29, v34
	v_and_b32_e32 v38, 7, v38
	v_cmp_gt_u32_e32 vcc, 8, v20
	v_cndmask_b32_e32 v20, v32, v34, vcc
	v_cndmask_b32_e32 v30, v30, v38, vcc
	v_lshlrev_b32_e32 v32, 24, v18
	v_lshlrev_b32_e32 v30, 20, v30
	v_and_b32_e32 v32, 0x80000000, v32
	v_lshl_add_u32 v20, v20, 23, v33
	v_or3_b32 v34, v32, v20, v30
.LBB669_43:                             ;   in Loop: Header=BB669_15 Depth=1
	s_or_b64 exec, exec, s[10:11]
.LBB669_44:                             ;   in Loop: Header=BB669_15 Depth=1
	s_or_b64 exec, exec, s[6:7]
.LBB669_45:                             ;   in Loop: Header=BB669_15 Depth=1
	s_or_b64 exec, exec, s[4:5]
	v_lshrrev_b16_e32 v20, 8, v18
	v_cmp_ne_u16_e32 vcc, 0, v20
	v_mov_b32_e32 v30, 0
	v_mov_b32_e32 v38, 0
	s_and_saveexec_b64 s[4:5], vcc
	s_cbranch_execz .LBB669_51
; %bb.46:                               ;   in Loop: Header=BB669_15 Depth=1
	v_cmp_ne_u16_e32 vcc, s13, v20
	v_bfrev_b32_e32 v38, 1
	s_and_saveexec_b64 s[6:7], vcc
	s_cbranch_execz .LBB669_50
; %bb.47:                               ;   in Loop: Header=BB669_15 Depth=1
	v_and_b32_e32 v32, 0x7f, v20
	v_cmp_ne_u32_e32 vcc, s14, v32
	v_mov_b32_e32 v38, 0x7f800001
	s_and_saveexec_b64 s[10:11], vcc
	s_cbranch_execz .LBB669_49
; %bb.48:                               ;   in Loop: Header=BB669_15 Depth=1
	v_and_b32_e32 v40, 7, v20
	v_ffbh_u32_e32 v38, v40
	v_min_u32_e32 v42, 32, v38
	v_subrev_u32_e32 v38, 28, v42
	v_lshlrev_b64 v[38:39], v38, v[20:21]
	v_lshrrev_b32_e32 v41, 3, v32
	v_sub_u32_e32 v20, 29, v42
	v_and_b32_e32 v38, 7, v38
	v_cmp_gt_u32_e32 vcc, 8, v32
	v_cndmask_b32_e32 v20, v41, v20, vcc
	v_cndmask_b32_e32 v32, v40, v38, vcc
	v_lshlrev_b32_e32 v38, 16, v18
	v_lshlrev_b32_e32 v32, 20, v32
	v_and_b32_e32 v38, 0x80000000, v38
	v_lshl_add_u32 v20, v20, 23, v33
	v_or3_b32 v38, v38, v20, v32
.LBB669_49:                             ;   in Loop: Header=BB669_15 Depth=1
	s_or_b64 exec, exec, s[10:11]
.LBB669_50:                             ;   in Loop: Header=BB669_15 Depth=1
	s_or_b64 exec, exec, s[6:7]
.LBB669_51:                             ;   in Loop: Header=BB669_15 Depth=1
	s_or_b64 exec, exec, s[4:5]
	v_lshrrev_b32_e32 v20, 16, v18
	v_cmp_ne_u16_sdwa s[6:7], v20, v29 src0_sel:BYTE_0 src1_sel:DWORD
	s_and_saveexec_b64 s[4:5], s[6:7]
	s_cbranch_execz .LBB669_57
; %bb.52:                               ;   in Loop: Header=BB669_15 Depth=1
	v_cmp_ne_u16_sdwa s[10:11], v20, s13 src0_sel:BYTE_0 src1_sel:DWORD
	v_bfrev_b32_e32 v30, 1
	s_and_saveexec_b64 s[6:7], s[10:11]
	s_cbranch_execz .LBB669_56
; %bb.53:                               ;   in Loop: Header=BB669_15 Depth=1
	v_bfe_u32 v32, v18, 16, 7
	v_cmp_ne_u32_e32 vcc, s14, v32
	v_mov_b32_e32 v30, 0x7f800001
	s_and_saveexec_b64 s[10:11], vcc
	s_cbranch_execz .LBB669_55
; %bb.54:                               ;   in Loop: Header=BB669_15 Depth=1
	v_and_b32_e32 v30, 7, v20
	v_ffbh_u32_e32 v40, v30
	v_min_u32_e32 v42, 32, v40
	v_subrev_u32_e32 v40, 28, v42
	v_lshlrev_b64 v[40:41], v40, v[20:21]
	v_lshrrev_b32_e32 v39, 3, v32
	v_sub_u32_e32 v41, 29, v42
	v_and_b32_e32 v40, 7, v40
	v_cmp_gt_u32_e32 vcc, 8, v32
	v_cndmask_b32_e32 v32, v39, v41, vcc
	v_cndmask_b32_e32 v30, v30, v40, vcc
	v_lshlrev_b32_e32 v20, 24, v20
	v_lshlrev_b32_e32 v30, 20, v30
	v_and_b32_e32 v20, 0x80000000, v20
	v_lshl_add_u32 v32, v32, 23, v33
	v_or3_b32 v30, v20, v32, v30
.LBB669_55:                             ;   in Loop: Header=BB669_15 Depth=1
	s_or_b64 exec, exec, s[10:11]
.LBB669_56:                             ;   in Loop: Header=BB669_15 Depth=1
	s_or_b64 exec, exec, s[6:7]
.LBB669_57:                             ;   in Loop: Header=BB669_15 Depth=1
	s_or_b64 exec, exec, s[4:5]
	v_cmp_lt_u32_e32 vcc, s15, v18
	v_mov_b32_e32 v32, 0
	v_mov_b32_e32 v39, 0
	s_and_saveexec_b64 s[4:5], vcc
	s_cbranch_execz .LBB669_63
; %bb.58:                               ;   in Loop: Header=BB669_15 Depth=1
	v_lshrrev_b32_e32 v20, 24, v18
	v_cmp_ne_u32_e32 vcc, s13, v20
	v_bfrev_b32_e32 v39, 1
	s_and_saveexec_b64 s[6:7], vcc
	s_cbranch_execz .LBB669_62
; %bb.59:                               ;   in Loop: Header=BB669_15 Depth=1
	v_bfe_u32 v18, v18, 24, 7
	v_cmp_ne_u32_e32 vcc, s14, v18
	v_mov_b32_e32 v39, 0x7f800001
	s_and_saveexec_b64 s[10:11], vcc
	s_cbranch_execz .LBB669_61
; %bb.60:                               ;   in Loop: Header=BB669_15 Depth=1
	v_and_b32_e32 v39, 7, v20
	v_ffbh_u32_e32 v40, v39
	v_min_u32_e32 v43, 32, v40
	v_subrev_u32_e32 v40, 28, v43
	v_lshlrev_b64 v[40:41], v40, v[20:21]
	v_lshrrev_b32_e32 v42, 3, v18
	v_sub_u32_e32 v41, 29, v43
	v_and_b32_e32 v40, 7, v40
	v_cmp_gt_u32_e32 vcc, 8, v18
	v_cndmask_b32_e32 v18, v42, v41, vcc
	v_cndmask_b32_e32 v39, v39, v40, vcc
	v_lshlrev_b32_e32 v20, 24, v20
	v_lshlrev_b32_e32 v39, 20, v39
	v_and_b32_e32 v20, 0x80000000, v20
	v_lshl_add_u32 v18, v18, 23, v33
	v_or3_b32 v39, v20, v18, v39
.LBB669_61:                             ;   in Loop: Header=BB669_15 Depth=1
	s_or_b64 exec, exec, s[10:11]
.LBB669_62:                             ;   in Loop: Header=BB669_15 Depth=1
	s_or_b64 exec, exec, s[6:7]
.LBB669_63:                             ;   in Loop: Header=BB669_15 Depth=1
	s_or_b64 exec, exec, s[4:5]
	v_cvt_pkrtz_f16_f32 v18, v19, v23
	v_cvt_pkrtz_f16_f32 v19, v21, v37
	v_cvt_pkrtz_f16_f32 v38, v34, v38
	v_cvt_pkrtz_f16_f32 v39, v30, v39
	s_waitcnt vmcnt(1)
	v_cmp_ne_u16_sdwa s[6:7], v28, v29 src0_sel:BYTE_0 src1_sel:DWORD
	v_mfma_f32_16x16x16f16 v[18:21], v[18:19], v[2:3], 0
	v_mfma_f32_16x16x16f16 v[18:21], v[38:39], v[4:5], v[18:21]
	s_and_saveexec_b64 s[4:5], s[6:7]
	s_cbranch_execz .LBB669_69
; %bb.64:                               ;   in Loop: Header=BB669_15 Depth=1
	v_cmp_ne_u16_sdwa s[10:11], v28, s13 src0_sel:BYTE_0 src1_sel:DWORD
	v_bfrev_b32_e32 v32, 1
	s_and_saveexec_b64 s[6:7], s[10:11]
	s_cbranch_execz .LBB669_68
; %bb.65:                               ;   in Loop: Header=BB669_15 Depth=1
	v_and_b32_e32 v23, 0x7f, v28
	v_cmp_ne_u32_e32 vcc, s14, v23
	v_mov_b32_e32 v32, 0x7f800001
	s_and_saveexec_b64 s[10:11], vcc
	s_cbranch_execz .LBB669_67
; %bb.66:                               ;   in Loop: Header=BB669_15 Depth=1
	v_and_b32_e32 v30, 7, v28
	v_ffbh_u32_e32 v34, v30
	v_min_u32_e32 v34, 32, v34
	v_subrev_u32_e32 v37, 28, v34
	v_lshlrev_b64 v[38:39], v37, v[28:29]
	v_lshrrev_b32_e32 v32, 3, v23
	v_sub_u32_e32 v34, 29, v34
	v_and_b32_e32 v37, 7, v38
	v_cmp_gt_u32_e32 vcc, 8, v23
	v_cndmask_b32_e32 v23, v32, v34, vcc
	v_cndmask_b32_e32 v30, v30, v37, vcc
	v_lshlrev_b32_e32 v32, 24, v28
	v_lshlrev_b32_e32 v30, 20, v30
	v_and_b32_e32 v32, 0x80000000, v32
	v_lshl_add_u32 v23, v23, 23, v33
	v_or3_b32 v32, v32, v23, v30
.LBB669_67:                             ;   in Loop: Header=BB669_15 Depth=1
	s_or_b64 exec, exec, s[10:11]
.LBB669_68:                             ;   in Loop: Header=BB669_15 Depth=1
	s_or_b64 exec, exec, s[6:7]
.LBB669_69:                             ;   in Loop: Header=BB669_15 Depth=1
	s_or_b64 exec, exec, s[4:5]
	v_lshrrev_b16_e32 v30, 8, v28
	v_cmp_ne_u16_e32 vcc, 0, v30
	v_mov_b32_e32 v34, 0
	v_mov_b32_e32 v37, 0
	s_and_saveexec_b64 s[4:5], vcc
	s_cbranch_execz .LBB669_75
; %bb.70:                               ;   in Loop: Header=BB669_15 Depth=1
	v_cmp_ne_u16_e32 vcc, s13, v30
	v_bfrev_b32_e32 v37, 1
	s_and_saveexec_b64 s[6:7], vcc
	s_cbranch_execz .LBB669_74
; %bb.71:                               ;   in Loop: Header=BB669_15 Depth=1
	v_and_b32_e32 v23, 0x7f, v30
	v_cmp_ne_u32_e32 vcc, s14, v23
	v_mov_b32_e32 v37, 0x7f800001
	s_and_saveexec_b64 s[10:11], vcc
	s_cbranch_execz .LBB669_73
; %bb.72:                               ;   in Loop: Header=BB669_15 Depth=1
	v_and_b32_e32 v37, 7, v30
	v_ffbh_u32_e32 v38, v37
	v_min_u32_e32 v41, 32, v38
	v_subrev_u32_e32 v38, 28, v41
	v_lshlrev_b64 v[38:39], v38, v[30:31]
	v_lshrrev_b32_e32 v40, 3, v23
	v_sub_u32_e32 v30, 29, v41
	v_and_b32_e32 v38, 7, v38
	v_cmp_gt_u32_e32 vcc, 8, v23
	v_cndmask_b32_e32 v23, v40, v30, vcc
	v_cndmask_b32_e32 v30, v37, v38, vcc
	v_lshlrev_b32_e32 v37, 16, v28
	v_lshlrev_b32_e32 v30, 20, v30
	v_and_b32_e32 v37, 0x80000000, v37
	v_lshl_add_u32 v23, v23, 23, v33
	v_or3_b32 v37, v37, v23, v30
.LBB669_73:                             ;   in Loop: Header=BB669_15 Depth=1
	s_or_b64 exec, exec, s[10:11]
.LBB669_74:                             ;   in Loop: Header=BB669_15 Depth=1
	s_or_b64 exec, exec, s[6:7]
.LBB669_75:                             ;   in Loop: Header=BB669_15 Depth=1
	s_or_b64 exec, exec, s[4:5]
	v_lshrrev_b32_e32 v30, 16, v28
	v_cmp_ne_u16_sdwa s[6:7], v30, v29 src0_sel:BYTE_0 src1_sel:DWORD
	s_and_saveexec_b64 s[4:5], s[6:7]
	s_cbranch_execz .LBB669_81
; %bb.76:                               ;   in Loop: Header=BB669_15 Depth=1
	v_cmp_ne_u16_sdwa s[10:11], v30, s13 src0_sel:BYTE_0 src1_sel:DWORD
	v_bfrev_b32_e32 v34, 1
	s_and_saveexec_b64 s[6:7], s[10:11]
	s_cbranch_execz .LBB669_80
; %bb.77:                               ;   in Loop: Header=BB669_15 Depth=1
	v_bfe_u32 v23, v28, 16, 7
	v_cmp_ne_u32_e32 vcc, s14, v23
	v_mov_b32_e32 v34, 0x7f800001
	s_and_saveexec_b64 s[10:11], vcc
	s_cbranch_execz .LBB669_79
; %bb.78:                               ;   in Loop: Header=BB669_15 Depth=1
	v_and_b32_e32 v34, 7, v30
	v_ffbh_u32_e32 v38, v34
	v_min_u32_e32 v41, 32, v38
	v_subrev_u32_e32 v38, 28, v41
	v_lshlrev_b64 v[38:39], v38, v[30:31]
	v_lshrrev_b32_e32 v40, 3, v23
	v_sub_u32_e32 v39, 29, v41
	v_and_b32_e32 v38, 7, v38
	v_cmp_gt_u32_e32 vcc, 8, v23
	v_cndmask_b32_e32 v23, v40, v39, vcc
	v_cndmask_b32_e32 v34, v34, v38, vcc
	v_lshlrev_b32_e32 v30, 24, v30
	v_lshlrev_b32_e32 v34, 20, v34
	v_and_b32_e32 v30, 0x80000000, v30
	v_lshl_add_u32 v23, v23, 23, v33
	v_or3_b32 v34, v30, v23, v34
.LBB669_79:                             ;   in Loop: Header=BB669_15 Depth=1
	s_or_b64 exec, exec, s[10:11]
.LBB669_80:                             ;   in Loop: Header=BB669_15 Depth=1
	s_or_b64 exec, exec, s[6:7]
.LBB669_81:                             ;   in Loop: Header=BB669_15 Depth=1
	s_or_b64 exec, exec, s[4:5]
	v_cmp_lt_u32_e32 vcc, s15, v28
	v_mov_b32_e32 v38, 0
	v_mov_b32_e32 v39, 0
	s_and_saveexec_b64 s[4:5], vcc
	s_cbranch_execz .LBB669_87
; %bb.82:                               ;   in Loop: Header=BB669_15 Depth=1
	v_lshrrev_b32_e32 v30, 24, v28
	v_cmp_ne_u32_e32 vcc, s13, v30
	v_bfrev_b32_e32 v39, 1
	s_and_saveexec_b64 s[6:7], vcc
	s_cbranch_execz .LBB669_86
; %bb.83:                               ;   in Loop: Header=BB669_15 Depth=1
	v_bfe_u32 v23, v28, 24, 7
	v_cmp_ne_u32_e32 vcc, s14, v23
	v_mov_b32_e32 v39, 0x7f800001
	s_and_saveexec_b64 s[10:11], vcc
	s_cbranch_execz .LBB669_85
; %bb.84:                               ;   in Loop: Header=BB669_15 Depth=1
	v_and_b32_e32 v28, 7, v30
	v_ffbh_u32_e32 v40, v28
	v_min_u32_e32 v42, 32, v40
	v_subrev_u32_e32 v40, 28, v42
	v_lshlrev_b64 v[40:41], v40, v[30:31]
	v_lshrrev_b32_e32 v39, 3, v23
	v_sub_u32_e32 v41, 29, v42
	v_and_b32_e32 v40, 7, v40
	v_cmp_gt_u32_e32 vcc, 8, v23
	v_cndmask_b32_e32 v23, v39, v41, vcc
	v_cndmask_b32_e32 v28, v28, v40, vcc
	v_lshlrev_b32_e32 v30, 24, v30
	v_lshlrev_b32_e32 v28, 20, v28
	v_and_b32_e32 v30, 0x80000000, v30
	v_lshl_add_u32 v23, v23, 23, v33
	v_or3_b32 v39, v30, v23, v28
.LBB669_85:                             ;   in Loop: Header=BB669_15 Depth=1
	s_or_b64 exec, exec, s[10:11]
.LBB669_86:                             ;   in Loop: Header=BB669_15 Depth=1
	s_or_b64 exec, exec, s[6:7]
.LBB669_87:                             ;   in Loop: Header=BB669_15 Depth=1
	s_or_b64 exec, exec, s[4:5]
	s_waitcnt vmcnt(0)
	v_cmp_ne_u16_sdwa s[6:7], v26, v29 src0_sel:BYTE_0 src1_sel:DWORD
	s_and_saveexec_b64 s[4:5], s[6:7]
	s_cbranch_execz .LBB669_93
; %bb.88:                               ;   in Loop: Header=BB669_15 Depth=1
	v_cmp_ne_u16_sdwa s[10:11], v26, s13 src0_sel:BYTE_0 src1_sel:DWORD
	v_bfrev_b32_e32 v38, 1
	s_and_saveexec_b64 s[6:7], s[10:11]
	s_cbranch_execz .LBB669_92
; %bb.89:                               ;   in Loop: Header=BB669_15 Depth=1
	v_and_b32_e32 v23, 0x7f, v26
	v_cmp_ne_u32_e32 vcc, s14, v23
	v_mov_b32_e32 v38, 0x7f800001
	s_and_saveexec_b64 s[10:11], vcc
	s_cbranch_execz .LBB669_91
; %bb.90:                               ;   in Loop: Header=BB669_15 Depth=1
	v_and_b32_e32 v28, 7, v26
	v_ffbh_u32_e32 v38, v28
	v_min_u32_e32 v38, 32, v38
	v_subrev_u32_e32 v40, 28, v38
	v_lshlrev_b64 v[40:41], v40, v[26:27]
	v_lshrrev_b32_e32 v30, 3, v23
	v_sub_u32_e32 v38, 29, v38
	v_and_b32_e32 v40, 7, v40
	v_cmp_gt_u32_e32 vcc, 8, v23
	v_cndmask_b32_e32 v23, v30, v38, vcc
	v_cndmask_b32_e32 v28, v28, v40, vcc
	v_lshlrev_b32_e32 v30, 24, v26
	v_lshlrev_b32_e32 v28, 20, v28
	v_and_b32_e32 v30, 0x80000000, v30
	v_lshl_add_u32 v23, v23, 23, v33
	v_or3_b32 v38, v30, v23, v28
.LBB669_91:                             ;   in Loop: Header=BB669_15 Depth=1
	s_or_b64 exec, exec, s[10:11]
.LBB669_92:                             ;   in Loop: Header=BB669_15 Depth=1
	s_or_b64 exec, exec, s[6:7]
.LBB669_93:                             ;   in Loop: Header=BB669_15 Depth=1
	s_or_b64 exec, exec, s[4:5]
	v_lshrrev_b16_e32 v28, 8, v26
	v_cmp_ne_u16_e32 vcc, 0, v28
	v_mov_b32_e32 v40, 0
	v_mov_b32_e32 v41, 0
	s_and_saveexec_b64 s[4:5], vcc
	s_cbranch_execz .LBB669_99
; %bb.94:                               ;   in Loop: Header=BB669_15 Depth=1
	v_cmp_ne_u16_e32 vcc, s13, v28
	v_bfrev_b32_e32 v41, 1
	s_and_saveexec_b64 s[6:7], vcc
	s_cbranch_execz .LBB669_98
; %bb.95:                               ;   in Loop: Header=BB669_15 Depth=1
	v_and_b32_e32 v23, 0x7f, v28
	v_cmp_ne_u32_e32 vcc, s14, v23
	v_mov_b32_e32 v41, 0x7f800001
	s_and_saveexec_b64 s[10:11], vcc
	s_cbranch_execz .LBB669_97
; %bb.96:                               ;   in Loop: Header=BB669_15 Depth=1
	v_and_b32_e32 v30, 7, v28
	v_ffbh_u32_e32 v42, v30
	v_min_u32_e32 v44, 32, v42
	v_subrev_u32_e32 v42, 28, v44
	v_lshlrev_b64 v[42:43], v42, v[28:29]
	v_lshrrev_b32_e32 v41, 3, v23
	v_sub_u32_e32 v28, 29, v44
	v_and_b32_e32 v42, 7, v42
	v_cmp_gt_u32_e32 vcc, 8, v23
	v_cndmask_b32_e32 v23, v41, v28, vcc
	v_cndmask_b32_e32 v28, v30, v42, vcc
	v_lshlrev_b32_e32 v30, 16, v26
	v_lshlrev_b32_e32 v28, 20, v28
	v_and_b32_e32 v30, 0x80000000, v30
	v_lshl_add_u32 v23, v23, 23, v33
	v_or3_b32 v41, v30, v23, v28
.LBB669_97:                             ;   in Loop: Header=BB669_15 Depth=1
	s_or_b64 exec, exec, s[10:11]
.LBB669_98:                             ;   in Loop: Header=BB669_15 Depth=1
	s_or_b64 exec, exec, s[6:7]
.LBB669_99:                             ;   in Loop: Header=BB669_15 Depth=1
	s_or_b64 exec, exec, s[4:5]
	v_lshrrev_b32_e32 v28, 16, v26
	v_cmp_ne_u16_sdwa s[6:7], v28, v29 src0_sel:BYTE_0 src1_sel:DWORD
	s_and_saveexec_b64 s[4:5], s[6:7]
	s_cbranch_execz .LBB669_105
; %bb.100:                              ;   in Loop: Header=BB669_15 Depth=1
	v_cmp_ne_u16_sdwa s[10:11], v28, s13 src0_sel:BYTE_0 src1_sel:DWORD
	v_bfrev_b32_e32 v40, 1
	s_and_saveexec_b64 s[6:7], s[10:11]
	s_cbranch_execz .LBB669_104
; %bb.101:                              ;   in Loop: Header=BB669_15 Depth=1
	v_bfe_u32 v23, v26, 16, 7
	v_cmp_ne_u32_e32 vcc, s14, v23
	v_mov_b32_e32 v40, 0x7f800001
	s_and_saveexec_b64 s[10:11], vcc
	s_cbranch_execz .LBB669_103
; %bb.102:                              ;   in Loop: Header=BB669_15 Depth=1
	v_and_b32_e32 v30, 7, v28
	v_ffbh_u32_e32 v42, v30
	v_min_u32_e32 v44, 32, v42
	v_subrev_u32_e32 v42, 28, v44
	v_lshlrev_b64 v[42:43], v42, v[28:29]
	v_lshrrev_b32_e32 v40, 3, v23
	v_sub_u32_e32 v43, 29, v44
	v_and_b32_e32 v42, 7, v42
	v_cmp_gt_u32_e32 vcc, 8, v23
	v_cndmask_b32_e32 v23, v40, v43, vcc
	v_cndmask_b32_e32 v30, v30, v42, vcc
	v_lshlrev_b32_e32 v28, 24, v28
	v_lshlrev_b32_e32 v30, 20, v30
	v_and_b32_e32 v28, 0x80000000, v28
	v_lshl_add_u32 v23, v23, 23, v33
	v_or3_b32 v40, v28, v23, v30
.LBB669_103:                            ;   in Loop: Header=BB669_15 Depth=1
	s_or_b64 exec, exec, s[10:11]
.LBB669_104:                            ;   in Loop: Header=BB669_15 Depth=1
	s_or_b64 exec, exec, s[6:7]
.LBB669_105:                            ;   in Loop: Header=BB669_15 Depth=1
	s_or_b64 exec, exec, s[4:5]
	v_cmp_lt_u32_e32 vcc, s15, v26
	v_mov_b32_e32 v23, 0
	v_mov_b32_e32 v42, 0
	s_and_saveexec_b64 s[4:5], vcc
	s_cbranch_execz .LBB669_111
; %bb.106:                              ;   in Loop: Header=BB669_15 Depth=1
	v_lshrrev_b32_e32 v28, 24, v26
	v_cmp_ne_u32_e32 vcc, s13, v28
	v_bfrev_b32_e32 v42, 1
	s_and_saveexec_b64 s[6:7], vcc
	s_cbranch_execz .LBB669_110
; %bb.107:                              ;   in Loop: Header=BB669_15 Depth=1
	v_bfe_u32 v26, v26, 24, 7
	v_cmp_ne_u32_e32 vcc, s14, v26
	v_mov_b32_e32 v42, 0x7f800001
	s_and_saveexec_b64 s[10:11], vcc
	s_cbranch_execz .LBB669_109
; %bb.108:                              ;   in Loop: Header=BB669_15 Depth=1
	v_and_b32_e32 v30, 7, v28
	v_ffbh_u32_e32 v42, v30
	v_min_u32_e32 v45, 32, v42
	v_subrev_u32_e32 v42, 28, v45
	v_lshlrev_b64 v[42:43], v42, v[28:29]
	v_lshrrev_b32_e32 v44, 3, v26
	v_sub_u32_e32 v43, 29, v45
	v_and_b32_e32 v42, 7, v42
	v_cmp_gt_u32_e32 vcc, 8, v26
	v_cndmask_b32_e32 v26, v44, v43, vcc
	v_cndmask_b32_e32 v30, v30, v42, vcc
	v_lshlrev_b32_e32 v28, 24, v28
	v_lshlrev_b32_e32 v30, 20, v30
	v_and_b32_e32 v28, 0x80000000, v28
	v_lshl_add_u32 v26, v26, 23, v33
	v_or3_b32 v42, v28, v26, v30
.LBB669_109:                            ;   in Loop: Header=BB669_15 Depth=1
	s_or_b64 exec, exec, s[10:11]
.LBB669_110:                            ;   in Loop: Header=BB669_15 Depth=1
	s_or_b64 exec, exec, s[6:7]
.LBB669_111:                            ;   in Loop: Header=BB669_15 Depth=1
	s_or_b64 exec, exec, s[4:5]
	v_cvt_pkrtz_f16_f32 v44, v32, v37
	buffer_load_dword v32, v27, s[0:3], 0 offen offset:16
	buffer_load_dword v30, v27, s[0:3], 0 offen offset:20
	;; [unrolled: 1-line block ×4, first 2 shown]
	v_cvt_pkrtz_f16_f32 v45, v34, v39
	v_cvt_pkrtz_f16_f32 v38, v38, v41
	;; [unrolled: 1-line block ×3, first 2 shown]
	v_mfma_f32_16x16x16f16 v[18:21], v[44:45], v[6:7], v[18:21]
	s_waitcnt vmcnt(3)
	v_cmp_ne_u16_sdwa s[6:7], v32, v29 src0_sel:BYTE_0 src1_sel:DWORD
	v_mfma_f32_16x16x16f16 v[18:21], v[38:39], v[8:9], v[18:21]
	s_and_saveexec_b64 s[4:5], s[6:7]
	s_cbranch_execz .LBB669_117
; %bb.112:                              ;   in Loop: Header=BB669_15 Depth=1
	v_cmp_ne_u16_sdwa s[10:11], v32, s13 src0_sel:BYTE_0 src1_sel:DWORD
	v_bfrev_b32_e32 v23, 1
	s_and_saveexec_b64 s[6:7], s[10:11]
	s_cbranch_execz .LBB669_116
; %bb.113:                              ;   in Loop: Header=BB669_15 Depth=1
	v_and_b32_e32 v34, 0x7f, v32
	v_cmp_ne_u32_e32 vcc, s14, v34
	v_mov_b32_e32 v23, 0x7f800001
	s_and_saveexec_b64 s[10:11], vcc
	s_cbranch_execz .LBB669_115
; %bb.114:                              ;   in Loop: Header=BB669_15 Depth=1
	v_and_b32_e32 v23, 7, v32
	v_ffbh_u32_e32 v38, v23
	v_min_u32_e32 v40, 32, v38
	v_subrev_u32_e32 v38, 28, v40
	v_lshlrev_b64 v[38:39], v38, v[32:33]
	v_lshrrev_b32_e32 v37, 3, v34
	v_sub_u32_e32 v39, 29, v40
	v_and_b32_e32 v38, 7, v38
	v_cmp_gt_u32_e32 vcc, 8, v34
	v_cndmask_b32_e32 v34, v37, v39, vcc
	v_cndmask_b32_e32 v23, v23, v38, vcc
	v_lshlrev_b32_e32 v37, 24, v32
	v_lshlrev_b32_e32 v23, 20, v23
	v_and_b32_e32 v37, 0x80000000, v37
	v_lshl_add_u32 v34, v34, 23, v33
	v_or3_b32 v23, v37, v34, v23
.LBB669_115:                            ;   in Loop: Header=BB669_15 Depth=1
	s_or_b64 exec, exec, s[10:11]
.LBB669_116:                            ;   in Loop: Header=BB669_15 Depth=1
	s_or_b64 exec, exec, s[6:7]
.LBB669_117:                            ;   in Loop: Header=BB669_15 Depth=1
	s_or_b64 exec, exec, s[4:5]
	v_lshrrev_b16_e32 v34, 8, v32
	v_cmp_ne_u16_e32 vcc, 0, v34
	v_mov_b32_e32 v37, 0
	v_mov_b32_e32 v38, 0
	s_and_saveexec_b64 s[4:5], vcc
	s_cbranch_execz .LBB669_123
; %bb.118:                              ;   in Loop: Header=BB669_15 Depth=1
	v_cmp_ne_u16_e32 vcc, s13, v34
	v_bfrev_b32_e32 v38, 1
	s_and_saveexec_b64 s[6:7], vcc
	s_cbranch_execz .LBB669_122
; %bb.119:                              ;   in Loop: Header=BB669_15 Depth=1
	v_and_b32_e32 v39, 0x7f, v34
	v_cmp_ne_u32_e32 vcc, s14, v39
	v_mov_b32_e32 v38, 0x7f800001
	s_and_saveexec_b64 s[10:11], vcc
	s_cbranch_execz .LBB669_121
; %bb.120:                              ;   in Loop: Header=BB669_15 Depth=1
	v_and_b32_e32 v38, 7, v34
	v_ffbh_u32_e32 v40, v38
	v_min_u32_e32 v43, 32, v40
	v_subrev_u32_e32 v40, 28, v43
	v_lshlrev_b64 v[40:41], v40, v[34:35]
	v_lshrrev_b32_e32 v42, 3, v39
	v_sub_u32_e32 v34, 29, v43
	v_and_b32_e32 v40, 7, v40
	v_cmp_gt_u32_e32 vcc, 8, v39
	v_cndmask_b32_e32 v34, v42, v34, vcc
	v_cndmask_b32_e32 v38, v38, v40, vcc
	v_lshlrev_b32_e32 v39, 16, v32
	v_lshlrev_b32_e32 v38, 20, v38
	v_and_b32_e32 v39, 0x80000000, v39
	v_lshl_add_u32 v34, v34, 23, v33
	v_or3_b32 v38, v39, v34, v38
.LBB669_121:                            ;   in Loop: Header=BB669_15 Depth=1
	s_or_b64 exec, exec, s[10:11]
.LBB669_122:                            ;   in Loop: Header=BB669_15 Depth=1
	s_or_b64 exec, exec, s[6:7]
.LBB669_123:                            ;   in Loop: Header=BB669_15 Depth=1
	s_or_b64 exec, exec, s[4:5]
	v_lshrrev_b32_e32 v34, 16, v32
	v_cmp_ne_u16_sdwa s[6:7], v34, v29 src0_sel:BYTE_0 src1_sel:DWORD
	s_and_saveexec_b64 s[4:5], s[6:7]
	s_cbranch_execz .LBB669_129
; %bb.124:                              ;   in Loop: Header=BB669_15 Depth=1
	v_cmp_ne_u16_sdwa s[10:11], v34, s13 src0_sel:BYTE_0 src1_sel:DWORD
	v_bfrev_b32_e32 v37, 1
	s_and_saveexec_b64 s[6:7], s[10:11]
	s_cbranch_execz .LBB669_128
; %bb.125:                              ;   in Loop: Header=BB669_15 Depth=1
	v_bfe_u32 v39, v32, 16, 7
	v_cmp_ne_u32_e32 vcc, s14, v39
	v_mov_b32_e32 v37, 0x7f800001
	s_and_saveexec_b64 s[10:11], vcc
	s_cbranch_execz .LBB669_127
; %bb.126:                              ;   in Loop: Header=BB669_15 Depth=1
	v_and_b32_e32 v37, 7, v34
	v_ffbh_u32_e32 v40, v37
	v_min_u32_e32 v43, 32, v40
	v_subrev_u32_e32 v40, 28, v43
	v_lshlrev_b64 v[40:41], v40, v[34:35]
	v_lshrrev_b32_e32 v42, 3, v39
	v_sub_u32_e32 v41, 29, v43
	v_and_b32_e32 v40, 7, v40
	v_cmp_gt_u32_e32 vcc, 8, v39
	v_cndmask_b32_e32 v39, v42, v41, vcc
	v_cndmask_b32_e32 v37, v37, v40, vcc
	v_lshlrev_b32_e32 v34, 24, v34
	v_lshlrev_b32_e32 v37, 20, v37
	v_and_b32_e32 v34, 0x80000000, v34
	v_lshl_add_u32 v39, v39, 23, v33
	v_or3_b32 v37, v34, v39, v37
.LBB669_127:                            ;   in Loop: Header=BB669_15 Depth=1
	s_or_b64 exec, exec, s[10:11]
.LBB669_128:                            ;   in Loop: Header=BB669_15 Depth=1
	s_or_b64 exec, exec, s[6:7]
.LBB669_129:                            ;   in Loop: Header=BB669_15 Depth=1
	s_or_b64 exec, exec, s[4:5]
	v_cmp_lt_u32_e32 vcc, s15, v32
	v_mov_b32_e32 v39, 0
	v_mov_b32_e32 v40, 0
	s_and_saveexec_b64 s[4:5], vcc
	s_cbranch_execz .LBB669_135
; %bb.130:                              ;   in Loop: Header=BB669_15 Depth=1
	v_lshrrev_b32_e32 v34, 24, v32
	v_cmp_ne_u32_e32 vcc, s13, v34
	v_bfrev_b32_e32 v40, 1
	s_and_saveexec_b64 s[6:7], vcc
	s_cbranch_execz .LBB669_134
; %bb.131:                              ;   in Loop: Header=BB669_15 Depth=1
	v_bfe_u32 v32, v32, 24, 7
	v_cmp_ne_u32_e32 vcc, s14, v32
	v_mov_b32_e32 v40, 0x7f800001
	s_and_saveexec_b64 s[10:11], vcc
	s_cbranch_execz .LBB669_133
; %bb.132:                              ;   in Loop: Header=BB669_15 Depth=1
	v_and_b32_e32 v42, 7, v34
	v_ffbh_u32_e32 v40, v42
	v_min_u32_e32 v44, 32, v40
	v_subrev_u32_e32 v40, 28, v44
	v_lshlrev_b64 v[40:41], v40, v[34:35]
	v_lshrrev_b32_e32 v43, 3, v32
	v_sub_u32_e32 v41, 29, v44
	v_and_b32_e32 v40, 7, v40
	v_cmp_gt_u32_e32 vcc, 8, v32
	v_cndmask_b32_e32 v32, v43, v41, vcc
	v_cndmask_b32_e32 v40, v42, v40, vcc
	v_lshlrev_b32_e32 v34, 24, v34
	v_lshlrev_b32_e32 v40, 20, v40
	v_and_b32_e32 v34, 0x80000000, v34
	v_lshl_add_u32 v32, v32, 23, v33
	v_or3_b32 v40, v34, v32, v40
.LBB669_133:                            ;   in Loop: Header=BB669_15 Depth=1
	s_or_b64 exec, exec, s[10:11]
.LBB669_134:                            ;   in Loop: Header=BB669_15 Depth=1
	s_or_b64 exec, exec, s[6:7]
.LBB669_135:                            ;   in Loop: Header=BB669_15 Depth=1
	s_or_b64 exec, exec, s[4:5]
	s_waitcnt vmcnt(2)
	v_cmp_ne_u16_sdwa s[6:7], v30, v29 src0_sel:BYTE_0 src1_sel:DWORD
	s_and_saveexec_b64 s[4:5], s[6:7]
	s_cbranch_execz .LBB669_141
; %bb.136:                              ;   in Loop: Header=BB669_15 Depth=1
	v_cmp_ne_u16_sdwa s[10:11], v30, s13 src0_sel:BYTE_0 src1_sel:DWORD
	v_bfrev_b32_e32 v39, 1
	s_and_saveexec_b64 s[6:7], s[10:11]
	s_cbranch_execz .LBB669_140
; %bb.137:                              ;   in Loop: Header=BB669_15 Depth=1
	v_and_b32_e32 v32, 0x7f, v30
	v_cmp_ne_u32_e32 vcc, s14, v32
	v_mov_b32_e32 v39, 0x7f800001
	s_and_saveexec_b64 s[10:11], vcc
	s_cbranch_execz .LBB669_139
; %bb.138:                              ;   in Loop: Header=BB669_15 Depth=1
	v_and_b32_e32 v34, 7, v30
	v_ffbh_u32_e32 v41, v34
	v_min_u32_e32 v41, 32, v41
	v_subrev_u32_e32 v42, 28, v41
	v_lshlrev_b64 v[42:43], v42, v[30:31]
	v_lshrrev_b32_e32 v39, 3, v32
	v_sub_u32_e32 v41, 29, v41
	v_and_b32_e32 v42, 7, v42
	v_cmp_gt_u32_e32 vcc, 8, v32
	v_cndmask_b32_e32 v32, v39, v41, vcc
	v_cndmask_b32_e32 v34, v34, v42, vcc
	v_lshlrev_b32_e32 v39, 24, v30
	v_lshlrev_b32_e32 v34, 20, v34
	v_and_b32_e32 v39, 0x80000000, v39
	v_lshl_add_u32 v32, v32, 23, v33
	v_or3_b32 v39, v39, v32, v34
.LBB669_139:                            ;   in Loop: Header=BB669_15 Depth=1
	s_or_b64 exec, exec, s[10:11]
.LBB669_140:                            ;   in Loop: Header=BB669_15 Depth=1
	s_or_b64 exec, exec, s[6:7]
.LBB669_141:                            ;   in Loop: Header=BB669_15 Depth=1
	s_or_b64 exec, exec, s[4:5]
	v_lshrrev_b16_e32 v32, 8, v30
	v_cmp_ne_u16_e32 vcc, 0, v32
	v_mov_b32_e32 v41, 0
	v_mov_b32_e32 v42, 0
	s_and_saveexec_b64 s[4:5], vcc
	s_cbranch_execz .LBB669_147
; %bb.142:                              ;   in Loop: Header=BB669_15 Depth=1
	v_cmp_ne_u16_e32 vcc, s13, v32
	v_bfrev_b32_e32 v42, 1
	s_and_saveexec_b64 s[6:7], vcc
	s_cbranch_execz .LBB669_146
; %bb.143:                              ;   in Loop: Header=BB669_15 Depth=1
	v_and_b32_e32 v34, 0x7f, v32
	v_cmp_ne_u32_e32 vcc, s14, v34
	v_mov_b32_e32 v42, 0x7f800001
	s_and_saveexec_b64 s[10:11], vcc
	s_cbranch_execz .LBB669_145
; %bb.144:                              ;   in Loop: Header=BB669_15 Depth=1
	v_and_b32_e32 v44, 7, v32
	v_ffbh_u32_e32 v42, v44
	v_min_u32_e32 v46, 32, v42
	v_subrev_u32_e32 v42, 28, v46
	v_lshlrev_b64 v[42:43], v42, v[32:33]
	v_lshrrev_b32_e32 v45, 3, v34
	v_sub_u32_e32 v32, 29, v46
	v_and_b32_e32 v42, 7, v42
	v_cmp_gt_u32_e32 vcc, 8, v34
	v_cndmask_b32_e32 v32, v45, v32, vcc
	v_cndmask_b32_e32 v34, v44, v42, vcc
	v_lshlrev_b32_e32 v42, 16, v30
	v_lshlrev_b32_e32 v34, 20, v34
	v_and_b32_e32 v42, 0x80000000, v42
	v_lshl_add_u32 v32, v32, 23, v33
	v_or3_b32 v42, v42, v32, v34
.LBB669_145:                            ;   in Loop: Header=BB669_15 Depth=1
	s_or_b64 exec, exec, s[10:11]
.LBB669_146:                            ;   in Loop: Header=BB669_15 Depth=1
	s_or_b64 exec, exec, s[6:7]
.LBB669_147:                            ;   in Loop: Header=BB669_15 Depth=1
	s_or_b64 exec, exec, s[4:5]
	v_lshrrev_b32_e32 v32, 16, v30
	v_cmp_ne_u16_sdwa s[6:7], v32, v29 src0_sel:BYTE_0 src1_sel:DWORD
	s_and_saveexec_b64 s[4:5], s[6:7]
	s_cbranch_execz .LBB669_153
; %bb.148:                              ;   in Loop: Header=BB669_15 Depth=1
	v_cmp_ne_u16_sdwa s[10:11], v32, s13 src0_sel:BYTE_0 src1_sel:DWORD
	v_bfrev_b32_e32 v41, 1
	s_and_saveexec_b64 s[6:7], s[10:11]
	s_cbranch_execz .LBB669_152
; %bb.149:                              ;   in Loop: Header=BB669_15 Depth=1
	v_bfe_u32 v34, v30, 16, 7
	v_cmp_ne_u32_e32 vcc, s14, v34
	v_mov_b32_e32 v41, 0x7f800001
	s_and_saveexec_b64 s[10:11], vcc
	s_cbranch_execz .LBB669_151
; %bb.150:                              ;   in Loop: Header=BB669_15 Depth=1
	v_and_b32_e32 v41, 7, v32
	v_ffbh_u32_e32 v44, v41
	v_min_u32_e32 v46, 32, v44
	v_subrev_u32_e32 v44, 28, v46
	v_lshlrev_b64 v[44:45], v44, v[32:33]
	v_lshrrev_b32_e32 v43, 3, v34
	v_sub_u32_e32 v45, 29, v46
	v_and_b32_e32 v44, 7, v44
	v_cmp_gt_u32_e32 vcc, 8, v34
	v_cndmask_b32_e32 v34, v43, v45, vcc
	v_cndmask_b32_e32 v41, v41, v44, vcc
	v_lshlrev_b32_e32 v32, 24, v32
	v_lshlrev_b32_e32 v41, 20, v41
	v_and_b32_e32 v32, 0x80000000, v32
	v_lshl_add_u32 v34, v34, 23, v33
	v_or3_b32 v41, v32, v34, v41
.LBB669_151:                            ;   in Loop: Header=BB669_15 Depth=1
	s_or_b64 exec, exec, s[10:11]
.LBB669_152:                            ;   in Loop: Header=BB669_15 Depth=1
	s_or_b64 exec, exec, s[6:7]
.LBB669_153:                            ;   in Loop: Header=BB669_15 Depth=1
	s_or_b64 exec, exec, s[4:5]
	v_cmp_lt_u32_e32 vcc, s15, v30
	v_mov_b32_e32 v34, 0
	v_mov_b32_e32 v43, 0
	s_and_saveexec_b64 s[4:5], vcc
	s_cbranch_execz .LBB669_159
; %bb.154:                              ;   in Loop: Header=BB669_15 Depth=1
	v_lshrrev_b32_e32 v32, 24, v30
	v_cmp_ne_u32_e32 vcc, s13, v32
	v_bfrev_b32_e32 v43, 1
	s_and_saveexec_b64 s[6:7], vcc
	s_cbranch_execz .LBB669_158
; %bb.155:                              ;   in Loop: Header=BB669_15 Depth=1
	v_bfe_u32 v30, v30, 24, 7
	v_cmp_ne_u32_e32 vcc, s14, v30
	v_mov_b32_e32 v43, 0x7f800001
	s_and_saveexec_b64 s[10:11], vcc
	s_cbranch_execz .LBB669_157
; %bb.156:                              ;   in Loop: Header=BB669_15 Depth=1
	v_and_b32_e32 v43, 7, v32
	v_ffbh_u32_e32 v44, v43
	v_min_u32_e32 v47, 32, v44
	v_subrev_u32_e32 v44, 28, v47
	v_lshlrev_b64 v[44:45], v44, v[32:33]
	v_lshrrev_b32_e32 v46, 3, v30
	v_sub_u32_e32 v45, 29, v47
	v_and_b32_e32 v44, 7, v44
	v_cmp_gt_u32_e32 vcc, 8, v30
	v_cndmask_b32_e32 v30, v46, v45, vcc
	v_cndmask_b32_e32 v43, v43, v44, vcc
	v_lshlrev_b32_e32 v32, 24, v32
	v_lshlrev_b32_e32 v43, 20, v43
	v_and_b32_e32 v32, 0x80000000, v32
	v_lshl_add_u32 v30, v30, 23, v33
	v_or3_b32 v43, v32, v30, v43
.LBB669_157:                            ;   in Loop: Header=BB669_15 Depth=1
	s_or_b64 exec, exec, s[10:11]
.LBB669_158:                            ;   in Loop: Header=BB669_15 Depth=1
	s_or_b64 exec, exec, s[6:7]
.LBB669_159:                            ;   in Loop: Header=BB669_15 Depth=1
	s_or_b64 exec, exec, s[4:5]
	v_cvt_pkrtz_f16_f32 v44, v23, v38
	v_cvt_pkrtz_f16_f32 v45, v37, v40
	;; [unrolled: 1-line block ×4, first 2 shown]
	s_waitcnt vmcnt(1)
	v_cmp_ne_u16_sdwa s[6:7], v28, v29 src0_sel:BYTE_0 src1_sel:DWORD
	v_mfma_f32_16x16x16f16 v[18:21], v[44:45], v[10:11], v[18:21]
	v_mfma_f32_16x16x16f16 v[18:21], v[38:39], v[12:13], v[18:21]
	s_and_saveexec_b64 s[4:5], s[6:7]
	s_cbranch_execz .LBB669_165
; %bb.160:                              ;   in Loop: Header=BB669_15 Depth=1
	v_cmp_ne_u16_sdwa s[10:11], v28, s13 src0_sel:BYTE_0 src1_sel:DWORD
	v_bfrev_b32_e32 v34, 1
	s_and_saveexec_b64 s[6:7], s[10:11]
	s_cbranch_execz .LBB669_164
; %bb.161:                              ;   in Loop: Header=BB669_15 Depth=1
	v_and_b32_e32 v23, 0x7f, v28
	v_cmp_ne_u32_e32 vcc, s14, v23
	v_mov_b32_e32 v34, 0x7f800001
	s_and_saveexec_b64 s[10:11], vcc
	s_cbranch_execz .LBB669_163
; %bb.162:                              ;   in Loop: Header=BB669_15 Depth=1
	v_and_b32_e32 v30, 7, v28
	v_ffbh_u32_e32 v34, v30
	v_min_u32_e32 v34, 32, v34
	v_subrev_u32_e32 v37, 28, v34
	v_lshlrev_b64 v[38:39], v37, v[28:29]
	v_lshrrev_b32_e32 v32, 3, v23
	v_sub_u32_e32 v34, 29, v34
	v_and_b32_e32 v37, 7, v38
	v_cmp_gt_u32_e32 vcc, 8, v23
	v_cndmask_b32_e32 v23, v32, v34, vcc
	v_cndmask_b32_e32 v30, v30, v37, vcc
	v_lshlrev_b32_e32 v32, 24, v28
	v_lshlrev_b32_e32 v30, 20, v30
	v_and_b32_e32 v32, 0x80000000, v32
	v_lshl_add_u32 v23, v23, 23, v33
	v_or3_b32 v34, v32, v23, v30
.LBB669_163:                            ;   in Loop: Header=BB669_15 Depth=1
	s_or_b64 exec, exec, s[10:11]
.LBB669_164:                            ;   in Loop: Header=BB669_15 Depth=1
	s_or_b64 exec, exec, s[6:7]
.LBB669_165:                            ;   in Loop: Header=BB669_15 Depth=1
	s_or_b64 exec, exec, s[4:5]
	v_lshrrev_b16_e32 v30, 8, v28
	v_cmp_ne_u16_e32 vcc, 0, v30
	v_mov_b32_e32 v23, 0
	v_mov_b32_e32 v32, 0
	s_and_saveexec_b64 s[4:5], vcc
	s_cbranch_execz .LBB669_171
; %bb.166:                              ;   in Loop: Header=BB669_15 Depth=1
	v_cmp_ne_u16_e32 vcc, s13, v30
	v_bfrev_b32_e32 v32, 1
	s_and_saveexec_b64 s[6:7], vcc
	s_cbranch_execz .LBB669_170
; %bb.167:                              ;   in Loop: Header=BB669_15 Depth=1
	v_and_b32_e32 v37, 0x7f, v30
	v_cmp_ne_u32_e32 vcc, s14, v37
	v_mov_b32_e32 v32, 0x7f800001
	s_and_saveexec_b64 s[10:11], vcc
	s_cbranch_execz .LBB669_169
; %bb.168:                              ;   in Loop: Header=BB669_15 Depth=1
	v_and_b32_e32 v32, 7, v30
	v_ffbh_u32_e32 v38, v32
	v_min_u32_e32 v41, 32, v38
	v_subrev_u32_e32 v38, 28, v41
	v_lshlrev_b64 v[38:39], v38, v[30:31]
	v_lshrrev_b32_e32 v40, 3, v37
	v_sub_u32_e32 v30, 29, v41
	v_and_b32_e32 v38, 7, v38
	v_cmp_gt_u32_e32 vcc, 8, v37
	v_cndmask_b32_e32 v30, v40, v30, vcc
	v_cndmask_b32_e32 v32, v32, v38, vcc
	v_lshlrev_b32_e32 v37, 16, v28
	v_lshlrev_b32_e32 v32, 20, v32
	v_and_b32_e32 v37, 0x80000000, v37
	v_lshl_add_u32 v30, v30, 23, v33
	v_or3_b32 v32, v37, v30, v32
.LBB669_169:                            ;   in Loop: Header=BB669_15 Depth=1
	s_or_b64 exec, exec, s[10:11]
.LBB669_170:                            ;   in Loop: Header=BB669_15 Depth=1
	s_or_b64 exec, exec, s[6:7]
.LBB669_171:                            ;   in Loop: Header=BB669_15 Depth=1
	s_or_b64 exec, exec, s[4:5]
	v_lshrrev_b32_e32 v30, 16, v28
	v_cmp_ne_u16_sdwa s[6:7], v30, v29 src0_sel:BYTE_0 src1_sel:DWORD
	s_and_saveexec_b64 s[4:5], s[6:7]
	s_cbranch_execz .LBB669_177
; %bb.172:                              ;   in Loop: Header=BB669_15 Depth=1
	v_cmp_ne_u16_sdwa s[10:11], v30, s13 src0_sel:BYTE_0 src1_sel:DWORD
	v_bfrev_b32_e32 v23, 1
	s_and_saveexec_b64 s[6:7], s[10:11]
	s_cbranch_execz .LBB669_176
; %bb.173:                              ;   in Loop: Header=BB669_15 Depth=1
	v_bfe_u32 v37, v28, 16, 7
	v_cmp_ne_u32_e32 vcc, s14, v37
	v_mov_b32_e32 v23, 0x7f800001
	s_and_saveexec_b64 s[10:11], vcc
	s_cbranch_execz .LBB669_175
; %bb.174:                              ;   in Loop: Header=BB669_15 Depth=1
	v_and_b32_e32 v23, 7, v30
	v_ffbh_u32_e32 v38, v23
	v_min_u32_e32 v41, 32, v38
	v_subrev_u32_e32 v38, 28, v41
	v_lshlrev_b64 v[38:39], v38, v[30:31]
	v_lshrrev_b32_e32 v40, 3, v37
	v_sub_u32_e32 v39, 29, v41
	v_and_b32_e32 v38, 7, v38
	v_cmp_gt_u32_e32 vcc, 8, v37
	v_cndmask_b32_e32 v37, v40, v39, vcc
	v_cndmask_b32_e32 v23, v23, v38, vcc
	v_lshlrev_b32_e32 v30, 24, v30
	v_lshlrev_b32_e32 v23, 20, v23
	v_and_b32_e32 v30, 0x80000000, v30
	v_lshl_add_u32 v37, v37, 23, v33
	v_or3_b32 v23, v30, v37, v23
.LBB669_175:                            ;   in Loop: Header=BB669_15 Depth=1
	s_or_b64 exec, exec, s[10:11]
.LBB669_176:                            ;   in Loop: Header=BB669_15 Depth=1
	s_or_b64 exec, exec, s[6:7]
.LBB669_177:                            ;   in Loop: Header=BB669_15 Depth=1
	s_or_b64 exec, exec, s[4:5]
	v_cmp_lt_u32_e32 vcc, s15, v28
	v_mov_b32_e32 v37, 0
	v_mov_b32_e32 v38, 0
	s_and_saveexec_b64 s[4:5], vcc
	s_cbranch_execz .LBB669_183
; %bb.178:                              ;   in Loop: Header=BB669_15 Depth=1
	v_lshrrev_b32_e32 v30, 24, v28
	v_cmp_ne_u32_e32 vcc, s13, v30
	v_bfrev_b32_e32 v38, 1
	s_and_saveexec_b64 s[6:7], vcc
	s_cbranch_execz .LBB669_182
; %bb.179:                              ;   in Loop: Header=BB669_15 Depth=1
	v_bfe_u32 v28, v28, 24, 7
	v_cmp_ne_u32_e32 vcc, s14, v28
	v_mov_b32_e32 v38, 0x7f800001
	s_and_saveexec_b64 s[10:11], vcc
	s_cbranch_execz .LBB669_181
; %bb.180:                              ;   in Loop: Header=BB669_15 Depth=1
	v_and_b32_e32 v40, 7, v30
	v_ffbh_u32_e32 v38, v40
	v_min_u32_e32 v42, 32, v38
	v_subrev_u32_e32 v38, 28, v42
	v_lshlrev_b64 v[38:39], v38, v[30:31]
	v_lshrrev_b32_e32 v41, 3, v28
	v_sub_u32_e32 v39, 29, v42
	v_and_b32_e32 v38, 7, v38
	v_cmp_gt_u32_e32 vcc, 8, v28
	v_cndmask_b32_e32 v28, v41, v39, vcc
	v_cndmask_b32_e32 v38, v40, v38, vcc
	v_lshlrev_b32_e32 v30, 24, v30
	v_lshlrev_b32_e32 v38, 20, v38
	v_and_b32_e32 v30, 0x80000000, v30
	v_lshl_add_u32 v28, v28, 23, v33
	v_or3_b32 v38, v30, v28, v38
.LBB669_181:                            ;   in Loop: Header=BB669_15 Depth=1
	s_or_b64 exec, exec, s[10:11]
.LBB669_182:                            ;   in Loop: Header=BB669_15 Depth=1
	s_or_b64 exec, exec, s[6:7]
.LBB669_183:                            ;   in Loop: Header=BB669_15 Depth=1
	s_or_b64 exec, exec, s[4:5]
	s_waitcnt vmcnt(0)
	v_cmp_ne_u16_sdwa s[6:7], v26, v29 src0_sel:BYTE_0 src1_sel:DWORD
	s_and_saveexec_b64 s[4:5], s[6:7]
	s_cbranch_execz .LBB669_189
; %bb.184:                              ;   in Loop: Header=BB669_15 Depth=1
	v_cmp_ne_u16_sdwa s[10:11], v26, s13 src0_sel:BYTE_0 src1_sel:DWORD
	v_bfrev_b32_e32 v37, 1
	s_and_saveexec_b64 s[6:7], s[10:11]
	s_cbranch_execz .LBB669_188
; %bb.185:                              ;   in Loop: Header=BB669_15 Depth=1
	v_and_b32_e32 v28, 0x7f, v26
	v_cmp_ne_u32_e32 vcc, s14, v28
	v_mov_b32_e32 v37, 0x7f800001
	s_and_saveexec_b64 s[10:11], vcc
	s_cbranch_execz .LBB669_187
; %bb.186:                              ;   in Loop: Header=BB669_15 Depth=1
	v_and_b32_e32 v30, 7, v26
	v_ffbh_u32_e32 v39, v30
	v_min_u32_e32 v39, 32, v39
	v_subrev_u32_e32 v40, 28, v39
	v_lshlrev_b64 v[40:41], v40, v[26:27]
	v_lshrrev_b32_e32 v37, 3, v28
	v_sub_u32_e32 v39, 29, v39
	v_and_b32_e32 v40, 7, v40
	v_cmp_gt_u32_e32 vcc, 8, v28
	v_cndmask_b32_e32 v28, v37, v39, vcc
	v_cndmask_b32_e32 v30, v30, v40, vcc
	v_lshlrev_b32_e32 v37, 24, v26
	v_lshlrev_b32_e32 v30, 20, v30
	v_and_b32_e32 v37, 0x80000000, v37
	v_lshl_add_u32 v28, v28, 23, v33
	v_or3_b32 v37, v37, v28, v30
.LBB669_187:                            ;   in Loop: Header=BB669_15 Depth=1
	s_or_b64 exec, exec, s[10:11]
.LBB669_188:                            ;   in Loop: Header=BB669_15 Depth=1
	s_or_b64 exec, exec, s[6:7]
.LBB669_189:                            ;   in Loop: Header=BB669_15 Depth=1
	s_or_b64 exec, exec, s[4:5]
	v_lshrrev_b16_e32 v28, 8, v26
	v_cmp_ne_u16_e32 vcc, 0, v28
	v_mov_b32_e32 v30, 0
	v_mov_b32_e32 v39, 0
	s_and_saveexec_b64 s[4:5], vcc
	s_cbranch_execz .LBB669_195
; %bb.190:                              ;   in Loop: Header=BB669_15 Depth=1
	v_cmp_ne_u16_e32 vcc, s13, v28
	v_bfrev_b32_e32 v39, 1
	s_and_saveexec_b64 s[6:7], vcc
	s_cbranch_execz .LBB669_194
; %bb.191:                              ;   in Loop: Header=BB669_15 Depth=1
	v_and_b32_e32 v40, 0x7f, v28
	v_cmp_ne_u32_e32 vcc, s14, v40
	v_mov_b32_e32 v39, 0x7f800001
	s_and_saveexec_b64 s[10:11], vcc
	s_cbranch_execz .LBB669_193
; %bb.192:                              ;   in Loop: Header=BB669_15 Depth=1
	v_and_b32_e32 v39, 7, v28
	v_ffbh_u32_e32 v42, v39
	v_min_u32_e32 v44, 32, v42
	v_subrev_u32_e32 v42, 28, v44
	v_lshlrev_b64 v[42:43], v42, v[28:29]
	v_lshrrev_b32_e32 v41, 3, v40
	v_sub_u32_e32 v28, 29, v44
	v_and_b32_e32 v42, 7, v42
	v_cmp_gt_u32_e32 vcc, 8, v40
	v_cndmask_b32_e32 v28, v41, v28, vcc
	v_cndmask_b32_e32 v39, v39, v42, vcc
	v_lshlrev_b32_e32 v40, 16, v26
	v_lshlrev_b32_e32 v39, 20, v39
	v_and_b32_e32 v40, 0x80000000, v40
	v_lshl_add_u32 v28, v28, 23, v33
	v_or3_b32 v39, v40, v28, v39
.LBB669_193:                            ;   in Loop: Header=BB669_15 Depth=1
	s_or_b64 exec, exec, s[10:11]
.LBB669_194:                            ;   in Loop: Header=BB669_15 Depth=1
	s_or_b64 exec, exec, s[6:7]
.LBB669_195:                            ;   in Loop: Header=BB669_15 Depth=1
	s_or_b64 exec, exec, s[4:5]
	v_lshrrev_b32_e32 v28, 16, v26
	v_cmp_ne_u16_sdwa s[6:7], v28, v29 src0_sel:BYTE_0 src1_sel:DWORD
	s_and_saveexec_b64 s[4:5], s[6:7]
	s_cbranch_execz .LBB669_201
; %bb.196:                              ;   in Loop: Header=BB669_15 Depth=1
	v_cmp_ne_u16_sdwa s[10:11], v28, s13 src0_sel:BYTE_0 src1_sel:DWORD
	v_bfrev_b32_e32 v30, 1
	s_and_saveexec_b64 s[6:7], s[10:11]
	s_cbranch_execz .LBB669_200
; %bb.197:                              ;   in Loop: Header=BB669_15 Depth=1
	v_bfe_u32 v40, v26, 16, 7
	v_cmp_ne_u32_e32 vcc, s14, v40
	v_mov_b32_e32 v30, 0x7f800001
	s_and_saveexec_b64 s[10:11], vcc
	s_cbranch_execz .LBB669_199
; %bb.198:                              ;   in Loop: Header=BB669_15 Depth=1
	v_and_b32_e32 v30, 7, v28
	v_ffbh_u32_e32 v42, v30
	v_min_u32_e32 v44, 32, v42
	v_subrev_u32_e32 v42, 28, v44
	v_lshlrev_b64 v[42:43], v42, v[28:29]
	v_lshrrev_b32_e32 v41, 3, v40
	v_sub_u32_e32 v43, 29, v44
	v_and_b32_e32 v42, 7, v42
	v_cmp_gt_u32_e32 vcc, 8, v40
	v_cndmask_b32_e32 v40, v41, v43, vcc
	v_cndmask_b32_e32 v30, v30, v42, vcc
	v_lshlrev_b32_e32 v28, 24, v28
	v_lshlrev_b32_e32 v30, 20, v30
	v_and_b32_e32 v28, 0x80000000, v28
	v_lshl_add_u32 v40, v40, 23, v33
	v_or3_b32 v30, v28, v40, v30
.LBB669_199:                            ;   in Loop: Header=BB669_15 Depth=1
	s_or_b64 exec, exec, s[10:11]
.LBB669_200:                            ;   in Loop: Header=BB669_15 Depth=1
	s_or_b64 exec, exec, s[6:7]
.LBB669_201:                            ;   in Loop: Header=BB669_15 Depth=1
	s_or_b64 exec, exec, s[4:5]
	v_cmp_lt_u32_e32 vcc, s15, v26
	v_mov_b32_e32 v40, 0
	s_and_saveexec_b64 s[4:5], vcc
	s_cbranch_execz .LBB669_14
; %bb.202:                              ;   in Loop: Header=BB669_15 Depth=1
	v_lshrrev_b32_e32 v28, 24, v26
	v_cmp_ne_u32_e32 vcc, s13, v28
	v_bfrev_b32_e32 v40, 1
	s_and_saveexec_b64 s[6:7], vcc
	s_cbranch_execz .LBB669_13
; %bb.203:                              ;   in Loop: Header=BB669_15 Depth=1
	v_bfe_u32 v26, v26, 24, 7
	v_cmp_ne_u32_e32 vcc, s14, v26
	v_mov_b32_e32 v40, 0x7f800001
	s_and_saveexec_b64 s[10:11], vcc
	s_cbranch_execz .LBB669_12
; %bb.204:                              ;   in Loop: Header=BB669_15 Depth=1
	v_and_b32_e32 v42, 7, v28
	v_ffbh_u32_e32 v40, v42
	v_min_u32_e32 v44, 32, v40
	v_subrev_u32_e32 v40, 28, v44
	v_lshlrev_b64 v[40:41], v40, v[28:29]
	v_lshrrev_b32_e32 v43, 3, v26
	v_sub_u32_e32 v41, 29, v44
	v_and_b32_e32 v40, 7, v40
	v_cmp_gt_u32_e32 vcc, 8, v26
	v_cndmask_b32_e32 v26, v43, v41, vcc
	v_cndmask_b32_e32 v40, v42, v40, vcc
	v_lshlrev_b32_e32 v28, 24, v28
	v_lshlrev_b32_e32 v40, 20, v40
	v_and_b32_e32 v28, 0x80000000, v28
	v_lshl_add_u32 v26, v26, 23, v33
	v_or3_b32 v40, v28, v26, v40
	s_branch .LBB669_12
.LBB669_205:
	buffer_load_dword v13, off, s[0:3], 0 offset:256
	buffer_load_dword v14, off, s[0:3], 0 offset:260
	;; [unrolled: 1-line block ×16, first 2 shown]
	v_and_b32_e32 v12, 0xc0, v0
	v_add_u32_e32 v12, s20, v12
	v_lshl_or_b32 v12, v1, 2, v12
	v_or_b32_e32 v23, 1, v12
	v_mov_b32_e32 v19, 0xff7fffff
	v_or_b32_e32 v24, 2, v12
	v_or_b32_e32 v25, 3, v12
	v_cmp_gt_i32_e64 s[26:27], s33, v12
	v_cmp_gt_i32_e64 s[28:29], s33, v23
	s_mov_b32 s52, 0xff7fffff
	v_or_b32_e32 v26, 16, v12
	v_or_b32_e32 v27, 17, v12
	v_or_b32_e32 v28, 18, v12
	v_or_b32_e32 v29, 19, v12
	v_or_b32_e32 v30, 32, v12
	v_or_b32_e32 v31, 33, v12
	v_or_b32_e32 v32, 34, v12
	v_or_b32_e32 v33, 35, v12
	v_or_b32_e32 v34, 48, v12
	v_or_b32_e32 v37, 49, v12
	v_or_b32_e32 v38, 50, v12
	v_or_b32_e32 v39, 51, v12
	v_cmp_gt_i32_e64 s[30:31], s33, v24
	v_cmp_gt_i32_e64 s[34:35], s33, v25
	v_mbcnt_lo_u32_b32 v20, -1, 0
	v_cmp_gt_i32_e64 s[36:37], s33, v26
	v_cmp_gt_i32_e64 s[38:39], s33, v27
	v_mbcnt_hi_u32_b32 v20, -1, v20
	v_cmp_gt_i32_e64 s[20:21], s33, v28
	v_cmp_gt_i32_e64 s[22:23], s33, v29
	v_and_b32_e32 v21, 64, v20
	v_cmp_gt_i32_e64 s[16:17], s33, v30
	v_cmp_gt_i32_e64 s[18:19], s33, v31
	v_xor_b32_e32 v22, 32, v20
	v_add_u32_e32 v21, 64, v21
	v_cmp_gt_i32_e64 s[12:13], s33, v32
	v_cmp_gt_i32_e64 s[14:15], s33, v33
	v_cmp_lt_i32_e32 vcc, v22, v21
	v_cmp_gt_i32_e64 s[6:7], s33, v34
	v_cmp_gt_i32_e64 s[10:11], s33, v37
	v_cndmask_b32_e32 v22, v20, v22, vcc
	v_cmp_gt_i32_e32 vcc, s33, v38
	v_cmp_gt_i32_e64 s[4:5], s33, v39
	v_lshlrev_b32_e32 v22, 2, v22
	s_waitcnt vmcnt(15)
	v_cndmask_b32_e64 v12, v19, v13, s[26:27]
	s_waitcnt vmcnt(14)
	v_cndmask_b32_e64 v23, v19, v14, s[28:29]
	;; [unrolled: 2-line block ×4, first 2 shown]
	v_max3_f32 v12, v12, s52, v23
	s_waitcnt vmcnt(11)
	v_cndmask_b32_e64 v26, v19, v17, s[36:37]
	s_waitcnt vmcnt(10)
	v_cndmask_b32_e64 v27, v19, v18, s[38:39]
	v_max3_f32 v12, v12, v24, v25
	s_waitcnt vmcnt(9)
	v_cndmask_b32_e64 v28, v19, v11, s[20:21]
	s_waitcnt vmcnt(8)
	v_cndmask_b32_e64 v29, v19, v10, s[22:23]
	;; [unrolled: 5-line block ×5, first 2 shown]
	v_max3_f32 v12, v12, v32, v33
	s_waitcnt vmcnt(1)
	v_cndmask_b32_e32 v38, v19, v3, vcc
	s_waitcnt vmcnt(0)
	v_cndmask_b32_e64 v19, v19, v2, s[4:5]
	v_max3_f32 v12, v12, v34, v37
	v_max3_f32 v12, v12, v38, v19
	ds_bpermute_b32 v19, v22, v12
	v_xor_b32_e32 v23, 16, v20
	v_cmp_lt_i32_e64 s[40:41], v23, v21
	v_cndmask_b32_e64 v20, v20, v23, s[40:41]
	v_lshlrev_b32_e32 v20, 2, v20
	s_waitcnt lgkmcnt(0)
	v_max_f32_e32 v19, v19, v19
	v_max_f32_e32 v12, v12, v19
	ds_bpermute_b32 v19, v20, v12
	s_waitcnt lgkmcnt(0)
	v_max_f32_e32 v19, v19, v19
	v_max_f32_e32 v12, v12, v19
	v_sub_f32_e32 v13, v13, v12
	v_sub_f32_e32 v14, v14, v12
	;; [unrolled: 1-line block ×3, first 2 shown]
	v_mul_f32_e32 v13, 0x3fb8aa3b, v13
	v_mul_f32_e32 v14, 0x3fb8aa3b, v14
	;; [unrolled: 1-line block ×3, first 2 shown]
	v_exp_f32_e32 v13, v13
	v_exp_f32_e32 v14, v14
	;; [unrolled: 1-line block ×3, first 2 shown]
	v_sub_f32_e32 v16, v16, v12
	v_cndmask_b32_e64 v13, 0, v13, s[26:27]
	v_mul_f32_e32 v16, 0x3fb8aa3b, v16
	v_cndmask_b32_e64 v14, 0, v14, s[28:29]
	v_cndmask_b32_e64 v15, 0, v15, s[30:31]
	v_add_f32_e32 v19, 0, v13
	buffer_store_dword v13, off, s[0:3], 0 offset:256
	buffer_store_dword v14, off, s[0:3], 0 offset:260
	;; [unrolled: 1-line block ×3, first 2 shown]
	v_sub_f32_e32 v13, v17, v12
	v_exp_f32_e32 v16, v16
	v_add_f32_e32 v19, v19, v14
	v_mul_f32_e32 v13, 0x3fb8aa3b, v13
	v_sub_f32_e32 v14, v18, v12
	v_exp_f32_e32 v13, v13
	v_mul_f32_e32 v14, 0x3fb8aa3b, v14
	v_sub_f32_e32 v11, v11, v12
	v_exp_f32_e32 v14, v14
	;; [unrolled: 3-line block ×3, first 2 shown]
	v_mul_f32_e32 v10, 0x3fb8aa3b, v10
	v_sub_f32_e32 v9, v9, v12
	v_cndmask_b32_e64 v16, 0, v16, s[34:35]
	v_add_f32_e32 v19, v19, v15
	v_exp_f32_e32 v10, v10
	v_mul_f32_e32 v9, 0x3fb8aa3b, v9
	v_sub_f32_e32 v8, v8, v12
	v_add_f32_e32 v19, v19, v16
	v_cndmask_b32_e64 v13, 0, v13, s[36:37]
	v_exp_f32_e32 v9, v9
	v_mul_f32_e32 v8, 0x3fb8aa3b, v8
	v_sub_f32_e32 v7, v7, v12
	v_add_f32_e32 v15, v19, v13
	v_cndmask_b32_e64 v14, 0, v14, s[38:39]
	;; [unrolled: 5-line block ×5, first 2 shown]
	v_exp_f32_e32 v5, v5
	v_mul_f32_e32 v4, 0x3fb8aa3b, v4
	v_sub_f32_e32 v3, v3, v12
	buffer_store_dword v16, off, s[0:3], 0 offset:268
	buffer_store_dword v13, off, s[0:3], 0 offset:272
	;; [unrolled: 1-line block ×5, first 2 shown]
	v_add_f32_e32 v10, v15, v9
	v_cndmask_b32_e64 v8, 0, v8, s[18:19]
	v_exp_f32_e32 v4, v4
	v_mul_f32_e32 v3, 0x3fb8aa3b, v3
	v_sub_f32_e32 v2, v2, v12
	v_add_f32_e32 v10, v10, v8
	v_cndmask_b32_e64 v7, 0, v7, s[12:13]
	v_exp_f32_e32 v3, v3
	v_mul_f32_e32 v2, 0x3fb8aa3b, v2
	v_add_f32_e32 v10, v10, v7
	v_cndmask_b32_e64 v6, 0, v6, s[14:15]
	v_exp_f32_e32 v2, v2
	v_add_f32_e32 v10, v10, v6
	v_cndmask_b32_e64 v5, 0, v5, s[6:7]
	buffer_store_dword v9, off, s[0:3], 0 offset:288
	buffer_store_dword v8, off, s[0:3], 0 offset:292
	;; [unrolled: 1-line block ×4, first 2 shown]
	v_add_f32_e32 v6, v10, v5
	v_cndmask_b32_e64 v4, 0, v4, s[10:11]
	v_add_f32_e32 v6, v6, v4
	v_cndmask_b32_e32 v3, 0, v3, vcc
	v_add_f32_e32 v6, v6, v3
	v_cndmask_b32_e64 v2, 0, v2, s[4:5]
	v_add_f32_e32 v6, v6, v2
	ds_bpermute_b32 v7, v22, v6
	buffer_store_dword v5, off, s[0:3], 0 offset:304
	buffer_store_dword v4, off, s[0:3], 0 offset:308
	buffer_store_dword v3, off, s[0:3], 0 offset:312
	buffer_store_dword v2, off, s[0:3], 0 offset:316
	v_cmp_gt_u32_e32 vcc, 16, v62
	s_waitcnt lgkmcnt(0)
	s_barrier
	v_add_f32_e32 v2, v6, v7
	ds_bpermute_b32 v3, v20, v2
	s_waitcnt lgkmcnt(0)
	s_and_saveexec_b64 s[4:5], vcc
	s_cbranch_execz .LBB669_207
; %bb.206:
	v_add_f32_e32 v2, v2, v3
	v_lshlrev_b32_e32 v3, 2, v61
	ds_write2st64_b32 v3, v12, v2 offset1:1
.LBB669_207:
	s_or_b64 exec, exec, s[4:5]
	v_lshlrev_b32_e32 v2, 2, v51
	s_waitcnt lgkmcnt(0)
	s_barrier
	ds_read2_b32 v[12:13], v2 offset1:16
	ds_read2_b32 v[14:15], v2 offset0:32 offset1:48
	ds_read2_b32 v[6:7], v2 offset0:64 offset1:80
	;; [unrolled: 1-line block ×3, first 2 shown]
	s_waitcnt lgkmcnt(0)
	s_barrier
	buffer_load_dword v20, off, s[0:3], 0 offset:256
	buffer_load_dword v21, off, s[0:3], 0 offset:260
	;; [unrolled: 1-line block ×16, first 2 shown]
	v_lshlrev_b32_e32 v18, 3, v1
	v_lshlrev_b32_e32 v19, 11, v60
	v_or3_b32 v39, v19, v36, v18
	v_max3_f32 v18, v12, s52, v13
	v_max3_f32 v18, v18, v14, v15
	v_sub_f32_e32 v12, v12, v18
	v_sub_f32_e32 v13, v13, v18
	v_mul_f32_e32 v12, 0x3fb8aa3b, v12
	v_sub_f32_e32 v14, v14, v18
	v_mul_f32_e32 v13, 0x3fb8aa3b, v13
	v_exp_f32_e32 v12, v12
	v_sub_f32_e32 v15, v15, v18
	v_mul_f32_e32 v14, 0x3fb8aa3b, v14
	v_exp_f32_e32 v13, v13
	v_mul_f32_e32 v15, 0x3fb8aa3b, v15
	v_exp_f32_e32 v14, v14
	v_exp_f32_e32 v15, v15
	v_fma_f32 v6, v12, v6, 0
	v_fmac_f32_e32 v6, v13, v7
	v_fmac_f32_e32 v6, v14, v10
	;; [unrolled: 1-line block ×3, first 2 shown]
	v_cmp_eq_u32_e32 vcc, 1, v60
	v_add_f32_e32 v10, 0x358637bd, v6
	v_cndmask_b32_e32 v12, v12, v13, vcc
	v_cmp_eq_u32_e32 vcc, 2, v60
	v_div_scale_f32 v11, s[4:5], v10, v10, 1.0
	v_cndmask_b32_e32 v7, v12, v14, vcc
	v_rcp_f32_e32 v12, v11
	v_cmp_eq_u32_e32 vcc, 3, v60
	v_cndmask_b32_e32 v7, v7, v15, vcc
	v_div_scale_f32 v13, vcc, 1.0, v10, 1.0
	v_fma_f32 v14, -v11, v12, 1.0
	v_fmac_f32_e32 v12, v14, v12
	v_mul_f32_e32 v14, v13, v12
	v_fma_f32 v15, -v11, v14, v13
	v_fmac_f32_e32 v14, v15, v12
	v_fma_f32 v11, -v11, v14, v13
	v_div_fmas_f32 v11, v11, v12, v14
	v_div_fixup_f32 v10, v11, v10, 1.0
	v_mul_f32_e32 v10, v7, v10
	s_lshl_b32 s18, s51, 4
	v_cmp_gt_u32_e32 vcc, 16, v0
	s_waitcnt vmcnt(14)
	v_pk_mul_f32 v[14:15], v[10:11], v[20:21] op_sel_hi:[0,1]
	v_cvt_f16_f32_e32 v7, v14
	s_waitcnt vmcnt(12)
	v_pk_mul_f32 v[12:13], v[10:11], v[22:23] op_sel_hi:[0,1]
	buffer_store_dword v14, off, s[0:3], 0 offset:256
	buffer_store_dword v15, off, s[0:3], 0 offset:260
	;; [unrolled: 1-line block ×4, first 2 shown]
	s_waitcnt vmcnt(14)
	v_pk_mul_f32 v[20:21], v[10:11], v[24:25] op_sel_hi:[0,1]
	v_cvt_f16_f32_e32 v14, v12
	s_waitcnt vmcnt(12)
	v_pk_mul_f32 v[22:23], v[10:11], v[26:27] op_sel_hi:[0,1]
	v_cvt_f16_f32_e32 v11, v15
	v_cvt_f16_f32_e32 v13, v13
	;; [unrolled: 1-line block ×4, first 2 shown]
	v_pack_b32_f16 v12, v7, v11
	v_cvt_f16_f32_e32 v11, v23
	v_cvt_f16_f32_e32 v7, v22
	v_pack_b32_f16 v13, v14, v13
	v_pack_b32_f16 v15, v15, v19
	s_waitcnt vmcnt(10)
	v_pk_mul_f32 v[4:5], v[10:11], v[4:5] op_sel_hi:[0,1]
	v_pack_b32_f16 v14, v7, v11
	s_waitcnt vmcnt(8)
	v_pk_mul_f32 v[2:3], v[10:11], v[2:3] op_sel_hi:[0,1]
	v_cvt_f16_f32_e32 v11, v5
	buffer_store_dword v22, off, s[0:3], 0 offset:272
	buffer_store_dword v23, off, s[0:3], 0 offset:276
	buffer_store_dword v20, off, s[0:3], 0 offset:280
	buffer_store_dword v21, off, s[0:3], 0 offset:284
	ds_write2st64_b64 v39, v[12:13], v[14:15] offset1:1
	buffer_store_dword v2, off, s[0:3], 0 offset:288
	buffer_store_dword v3, off, s[0:3], 0 offset:292
	v_cvt_f16_f32_e32 v2, v2
	v_cvt_f16_f32_e32 v3, v3
	;; [unrolled: 1-line block ×3, first 2 shown]
	buffer_store_dword v4, off, s[0:3], 0 offset:296
	buffer_store_dword v5, off, s[0:3], 0 offset:300
	s_waitcnt vmcnt(12)
	v_pk_mul_f32 v[4:5], v[10:11], v[16:17] op_sel_hi:[0,1]
	v_pk_mul_f32 v[8:9], v[10:11], v[8:9] op_sel_hi:[0,1]
	v_pack_b32_f16 v2, v2, v3
	v_pack_b32_f16 v3, v7, v11
	buffer_store_dword v8, off, s[0:3], 0 offset:304
	buffer_store_dword v9, off, s[0:3], 0 offset:308
	v_cvt_f16_f32_e32 v7, v8
	v_cvt_f16_f32_e32 v8, v9
	;; [unrolled: 1-line block ×4, first 2 shown]
	buffer_store_dword v4, off, s[0:3], 0 offset:312
	buffer_store_dword v5, off, s[0:3], 0 offset:316
	v_pack_b32_f16 v4, v7, v8
	v_pack_b32_f16 v5, v9, v10
	ds_write2st64_b64 v39, v[2:3], v[4:5] offset0:2 offset1:3
	s_and_saveexec_b64 s[4:5], vcc
	s_cbranch_execz .LBB669_209
; %bb.208:
	v_or_b32_e32 v2, s25, v0
	v_mov_b32_e32 v3, 0
	v_mov_b32_e32 v4, s18
	v_mad_u64_u32 v[4:5], s[6:7], s8, v4, v[2:3]
	v_mov_b32_e32 v2, s24
	s_mul_i32 s9, s9, s18
	v_mad_u64_u32 v[2:3], s[6:7], v4, s50, v[2:3]
	v_add_u32_e32 v5, s9, v5
	v_mov_b32_e32 v4, v3
	v_mad_u64_u32 v[4:5], s[6:7], v5, s50, v[4:5]
	v_mov_b32_e32 v3, v4
	v_lshlrev_b64 v[2:3], 2, v[2:3]
	v_mov_b32_e32 v5, s47
	v_add_co_u32_e32 v4, vcc, s46, v2
	v_addc_co_u32_e32 v5, vcc, v5, v3, vcc
	global_store_dword v[4:5], v18, off
	v_mov_b32_e32 v4, s45
	v_add_co_u32_e32 v2, vcc, s44, v2
	v_addc_co_u32_e32 v3, vcc, v4, v3, vcc
	global_store_dword v[2:3], v6, off
.LBB669_209:
	s_or_b64 exec, exec, s[4:5]
	s_waitcnt lgkmcnt(0)
	s_barrier
	s_load_dword s4, s[42:43], 0x0
	ds_read_b128 v[2:5], v35
	ds_read_b128 v[6:9], v35 offset:16
	ds_read_b128 v[10:13], v35 offset:2048
	ds_read_b128 v[14:17], v35 offset:2064
	ds_read_b128 v[18:21], v35 offset:4096
	ds_read_b128 v[22:25], v35 offset:4112
	ds_read_b128 v[26:29], v35 offset:6144
	ds_read_b128 v[30:33], v35 offset:6160
	v_mov_b32_e32 v35, 0x80
	v_mov_b32_e32 v41, 0x140
	s_mov_b64 s[10:11], -1
	s_waitcnt lgkmcnt(0)
	s_mov_b32 s5, s4
	s_mov_b32 s6, s4
	;; [unrolled: 1-line block ×3, first 2 shown]
	s_movk_i32 s9, 0x80
	s_movk_i32 s19, 0x7f
	s_mov_b32 s20, 0xffffff
	v_mov_b32_e32 v43, 0
	v_bfrev_b32_e32 v45, 60
	s_branch .LBB669_213
.LBB669_210:                            ;   in Loop: Header=BB669_213 Depth=1
	s_or_b64 exec, exec, s[16:17]
.LBB669_211:                            ;   in Loop: Header=BB669_213 Depth=1
	s_or_b64 exec, exec, s[14:15]
.LBB669_212:                            ;   in Loop: Header=BB669_213 Depth=1
	s_or_b64 exec, exec, s[12:13]
	v_cvt_pkrtz_f16_f32 v46, v46, v47
	v_cvt_pkrtz_f16_f32 v47, v44, v49
	s_xor_b64 s[12:13], s[10:11], -1
	s_mov_b64 s[10:11], 0
	v_mov_b32_e32 v59, v54
	v_mfma_f32_16x16x16f16 v[60:63], v[46:47], v[30:31], v[34:37]
	s_and_b64 vcc, exec, s[12:13]
	s_nop 5
	v_cvt_pkrtz_f16_f32 v36, v48, v57
	v_cvt_pkrtz_f16_f32 v37, v42, v58
	v_mov_b32_e32 v35, v53
	v_mov_b32_e32 v58, v55
	v_mfma_f32_16x16x16f16 v[46:49], v[36:37], v[32:33], v[60:63]
	v_mov_b32_e32 v57, v56
	s_nop 7
	s_nop 1
	v_pk_mul_f32 v[46:47], v[46:47], s[4:5]
	v_pk_mul_f32 v[36:37], v[48:49], s[6:7]
	v_cvt_f16_f32_e32 v34, v46
	v_cvt_f16_f32_e32 v38, v47
	;; [unrolled: 1-line block ×4, first 2 shown]
	v_pack_b32_f16 v34, v34, v38
	v_pack_b32_f16 v36, v36, v37
	buffer_store_dword v34, v41, s[0:3], 0 offen
	buffer_store_dword v36, v41, s[0:3], 0 offen offset:4
	v_mov_b32_e32 v41, 0x148
	s_cbranch_vccnz .LBB669_595
.LBB669_213:                            ; =>This Inner Loop Header: Depth=1
	buffer_load_dword v36, v35, s[0:3], 0 offen
	buffer_load_dword v34, v35, s[0:3], 0 offen offset:4
	buffer_load_dword v40, v35, s[0:3], 0 offen offset:8
	;; [unrolled: 1-line block ×3, first 2 shown]
	v_mov_b32_e32 v35, 0
	s_waitcnt vmcnt(3)
	v_cmp_ne_u16_sdwa s[14:15], v36, v43 src0_sel:BYTE_0 src1_sel:DWORD
	s_and_saveexec_b64 s[12:13], s[14:15]
	s_cbranch_execz .LBB669_219
; %bb.214:                              ;   in Loop: Header=BB669_213 Depth=1
	v_cmp_ne_u16_sdwa s[16:17], v36, s9 src0_sel:BYTE_0 src1_sel:DWORD
	v_bfrev_b32_e32 v35, 1
	s_and_saveexec_b64 s[14:15], s[16:17]
	s_cbranch_execz .LBB669_218
; %bb.215:                              ;   in Loop: Header=BB669_213 Depth=1
	v_and_b32_e32 v37, 0x7f, v36
	v_cmp_ne_u32_e32 vcc, s19, v37
	v_mov_b32_e32 v35, 0x7f800001
	s_and_saveexec_b64 s[16:17], vcc
	s_cbranch_execz .LBB669_217
; %bb.216:                              ;   in Loop: Header=BB669_213 Depth=1
	v_and_b32_e32 v35, 7, v36
	v_ffbh_u32_e32 v44, v35
	v_min_u32_e32 v44, 32, v44
	v_subrev_u32_e32 v46, 28, v44
	v_lshlrev_b64 v[46:47], v46, v[36:37]
	v_lshrrev_b32_e32 v42, 3, v37
	v_sub_u32_e32 v44, 29, v44
	v_and_b32_e32 v46, 7, v46
	v_cmp_gt_u32_e32 vcc, 8, v37
	v_cndmask_b32_e32 v37, v42, v44, vcc
	v_cndmask_b32_e32 v35, v35, v46, vcc
	v_lshlrev_b32_e32 v42, 24, v36
	v_lshlrev_b32_e32 v35, 20, v35
	v_and_b32_e32 v42, 0x80000000, v42
	v_lshl_add_u32 v37, v37, 23, v45
	v_or3_b32 v35, v42, v37, v35
.LBB669_217:                            ;   in Loop: Header=BB669_213 Depth=1
	s_or_b64 exec, exec, s[16:17]
.LBB669_218:                            ;   in Loop: Header=BB669_213 Depth=1
	s_or_b64 exec, exec, s[14:15]
.LBB669_219:                            ;   in Loop: Header=BB669_213 Depth=1
	s_or_b64 exec, exec, s[12:13]
	v_lshrrev_b16_e32 v42, 8, v36
	v_cmp_ne_u16_e32 vcc, 0, v42
	v_mov_b32_e32 v37, 0
	s_and_saveexec_b64 s[12:13], vcc
	s_cbranch_execz .LBB669_225
; %bb.220:                              ;   in Loop: Header=BB669_213 Depth=1
	v_cmp_ne_u16_e32 vcc, s9, v42
	v_bfrev_b32_e32 v37, 1
	s_and_saveexec_b64 s[14:15], vcc
	s_cbranch_execz .LBB669_224
; %bb.221:                              ;   in Loop: Header=BB669_213 Depth=1
	v_and_b32_e32 v44, 0x7f, v42
	v_cmp_ne_u32_e32 vcc, s19, v44
	v_mov_b32_e32 v37, 0x7f800001
	s_and_saveexec_b64 s[16:17], vcc
	s_cbranch_execz .LBB669_223
; %bb.222:                              ;   in Loop: Header=BB669_213 Depth=1
	v_and_b32_e32 v37, 7, v42
	v_ffbh_u32_e32 v46, v37
	v_min_u32_e32 v49, 32, v46
	v_subrev_u32_e32 v46, 28, v49
	v_lshlrev_b64 v[46:47], v46, v[42:43]
	v_lshrrev_b32_e32 v48, 3, v44
	v_sub_u32_e32 v42, 29, v49
	v_and_b32_e32 v46, 7, v46
	v_cmp_gt_u32_e32 vcc, 8, v44
	v_cndmask_b32_e32 v42, v48, v42, vcc
	v_cndmask_b32_e32 v37, v37, v46, vcc
	v_lshlrev_b32_e32 v44, 16, v36
	v_lshlrev_b32_e32 v37, 20, v37
	v_and_b32_e32 v44, 0x80000000, v44
	v_lshl_add_u32 v42, v42, 23, v45
	v_or3_b32 v37, v44, v42, v37
.LBB669_223:                            ;   in Loop: Header=BB669_213 Depth=1
	s_or_b64 exec, exec, s[16:17]
.LBB669_224:                            ;   in Loop: Header=BB669_213 Depth=1
	s_or_b64 exec, exec, s[14:15]
.LBB669_225:                            ;   in Loop: Header=BB669_213 Depth=1
	s_or_b64 exec, exec, s[12:13]
	v_lshrrev_b32_e32 v42, 16, v36
	v_cmp_ne_u16_sdwa s[14:15], v42, v43 src0_sel:BYTE_0 src1_sel:DWORD
	v_mov_b32_e32 v46, 0
	v_mov_b32_e32 v44, 0
	s_and_saveexec_b64 s[12:13], s[14:15]
	s_cbranch_execz .LBB669_231
; %bb.226:                              ;   in Loop: Header=BB669_213 Depth=1
	v_cmp_ne_u16_sdwa s[16:17], v42, s9 src0_sel:BYTE_0 src1_sel:DWORD
	v_bfrev_b32_e32 v44, 1
	s_and_saveexec_b64 s[14:15], s[16:17]
	s_cbranch_execz .LBB669_230
; %bb.227:                              ;   in Loop: Header=BB669_213 Depth=1
	v_bfe_u32 v47, v36, 16, 7
	v_cmp_ne_u32_e32 vcc, s19, v47
	v_mov_b32_e32 v44, 0x7f800001
	s_and_saveexec_b64 s[16:17], vcc
	s_cbranch_execz .LBB669_229
; %bb.228:                              ;   in Loop: Header=BB669_213 Depth=1
	v_and_b32_e32 v44, 7, v42
	v_ffbh_u32_e32 v48, v44
	v_min_u32_e32 v61, 32, v48
	v_subrev_u32_e32 v48, 28, v61
	v_lshlrev_b64 v[48:49], v48, v[42:43]
	v_lshrrev_b32_e32 v60, 3, v47
	v_sub_u32_e32 v49, 29, v61
	v_and_b32_e32 v48, 7, v48
	v_cmp_gt_u32_e32 vcc, 8, v47
	v_cndmask_b32_e32 v47, v60, v49, vcc
	v_cndmask_b32_e32 v44, v44, v48, vcc
	v_lshlrev_b32_e32 v42, 24, v42
	v_lshlrev_b32_e32 v44, 20, v44
	v_and_b32_e32 v42, 0x80000000, v42
	v_lshl_add_u32 v47, v47, 23, v45
	v_or3_b32 v44, v42, v47, v44
.LBB669_229:                            ;   in Loop: Header=BB669_213 Depth=1
	s_or_b64 exec, exec, s[16:17]
.LBB669_230:                            ;   in Loop: Header=BB669_213 Depth=1
	s_or_b64 exec, exec, s[14:15]
.LBB669_231:                            ;   in Loop: Header=BB669_213 Depth=1
	s_or_b64 exec, exec, s[12:13]
	v_cmp_lt_u32_e32 vcc, s20, v36
	s_and_saveexec_b64 s[12:13], vcc
	s_cbranch_execz .LBB669_237
; %bb.232:                              ;   in Loop: Header=BB669_213 Depth=1
	v_lshrrev_b32_e32 v42, 24, v36
	v_cmp_ne_u32_e32 vcc, s9, v42
	v_bfrev_b32_e32 v46, 1
	s_and_saveexec_b64 s[14:15], vcc
	s_cbranch_execz .LBB669_236
; %bb.233:                              ;   in Loop: Header=BB669_213 Depth=1
	v_bfe_u32 v36, v36, 24, 7
	v_cmp_ne_u32_e32 vcc, s19, v36
	v_mov_b32_e32 v46, 0x7f800001
	s_and_saveexec_b64 s[16:17], vcc
	s_cbranch_execz .LBB669_235
; %bb.234:                              ;   in Loop: Header=BB669_213 Depth=1
	v_and_b32_e32 v48, 7, v42
	v_ffbh_u32_e32 v46, v48
	v_min_u32_e32 v60, 32, v46
	v_subrev_u32_e32 v46, 28, v60
	v_lshlrev_b64 v[46:47], v46, v[42:43]
	v_lshrrev_b32_e32 v49, 3, v36
	v_sub_u32_e32 v47, 29, v60
	v_and_b32_e32 v46, 7, v46
	v_cmp_gt_u32_e32 vcc, 8, v36
	v_cndmask_b32_e32 v36, v49, v47, vcc
	v_cndmask_b32_e32 v46, v48, v46, vcc
	v_lshlrev_b32_e32 v42, 24, v42
	v_lshlrev_b32_e32 v46, 20, v46
	v_and_b32_e32 v42, 0x80000000, v42
	v_lshl_add_u32 v36, v36, 23, v45
	v_or3_b32 v46, v42, v36, v46
.LBB669_235:                            ;   in Loop: Header=BB669_213 Depth=1
	s_or_b64 exec, exec, s[16:17]
.LBB669_236:                            ;   in Loop: Header=BB669_213 Depth=1
	s_or_b64 exec, exec, s[14:15]
.LBB669_237:                            ;   in Loop: Header=BB669_213 Depth=1
	s_or_b64 exec, exec, s[12:13]
	s_waitcnt vmcnt(2)
	v_cmp_ne_u16_sdwa s[14:15], v34, v43 src0_sel:BYTE_0 src1_sel:DWORD
	v_mov_b32_e32 v42, 0
	v_mov_b32_e32 v47, 0
	s_and_saveexec_b64 s[12:13], s[14:15]
	s_cbranch_execz .LBB669_243
; %bb.238:                              ;   in Loop: Header=BB669_213 Depth=1
	v_cmp_ne_u16_sdwa s[16:17], v34, s9 src0_sel:BYTE_0 src1_sel:DWORD
	v_bfrev_b32_e32 v47, 1
	s_and_saveexec_b64 s[14:15], s[16:17]
	s_cbranch_execz .LBB669_242
; %bb.239:                              ;   in Loop: Header=BB669_213 Depth=1
	v_and_b32_e32 v36, 0x7f, v34
	v_cmp_ne_u32_e32 vcc, s19, v36
	v_mov_b32_e32 v47, 0x7f800001
	s_and_saveexec_b64 s[16:17], vcc
	s_cbranch_execz .LBB669_241
; %bb.240:                              ;   in Loop: Header=BB669_213 Depth=1
	v_and_b32_e32 v47, 7, v34
	v_ffbh_u32_e32 v48, v47
	v_min_u32_e32 v61, 32, v48
	v_subrev_u32_e32 v48, 28, v61
	v_lshlrev_b64 v[48:49], v48, v[34:35]
	v_lshrrev_b32_e32 v60, 3, v36
	v_sub_u32_e32 v49, 29, v61
	v_and_b32_e32 v48, 7, v48
	v_cmp_gt_u32_e32 vcc, 8, v36
	v_cndmask_b32_e32 v36, v60, v49, vcc
	v_cndmask_b32_e32 v47, v47, v48, vcc
	v_lshlrev_b32_e32 v48, 24, v34
	v_lshlrev_b32_e32 v47, 20, v47
	v_and_b32_e32 v48, 0x80000000, v48
	v_lshl_add_u32 v36, v36, 23, v45
	v_or3_b32 v47, v48, v36, v47
.LBB669_241:                            ;   in Loop: Header=BB669_213 Depth=1
	s_or_b64 exec, exec, s[16:17]
.LBB669_242:                            ;   in Loop: Header=BB669_213 Depth=1
	s_or_b64 exec, exec, s[14:15]
.LBB669_243:                            ;   in Loop: Header=BB669_213 Depth=1
	s_or_b64 exec, exec, s[12:13]
	v_lshrrev_b16_e32 v36, 8, v34
	v_cmp_ne_u16_e32 vcc, 0, v36
	s_and_saveexec_b64 s[12:13], vcc
	s_cbranch_execz .LBB669_249
; %bb.244:                              ;   in Loop: Header=BB669_213 Depth=1
	v_cmp_ne_u16_e32 vcc, s9, v36
	v_bfrev_b32_e32 v42, 1
	s_and_saveexec_b64 s[14:15], vcc
	s_cbranch_execz .LBB669_248
; %bb.245:                              ;   in Loop: Header=BB669_213 Depth=1
	v_and_b32_e32 v48, 0x7f, v36
	v_cmp_ne_u32_e32 vcc, s19, v48
	v_mov_b32_e32 v42, 0x7f800001
	s_and_saveexec_b64 s[16:17], vcc
	s_cbranch_execz .LBB669_247
; %bb.246:                              ;   in Loop: Header=BB669_213 Depth=1
	v_and_b32_e32 v42, 7, v36
	v_ffbh_u32_e32 v60, v42
	v_min_u32_e32 v62, 32, v60
	v_subrev_u32_e32 v60, 28, v62
	v_lshlrev_b64 v[60:61], v60, v[36:37]
	v_lshrrev_b32_e32 v49, 3, v48
	v_sub_u32_e32 v36, 29, v62
	v_and_b32_e32 v60, 7, v60
	v_cmp_gt_u32_e32 vcc, 8, v48
	v_cndmask_b32_e32 v36, v49, v36, vcc
	v_cndmask_b32_e32 v42, v42, v60, vcc
	v_lshlrev_b32_e32 v48, 16, v34
	v_lshlrev_b32_e32 v42, 20, v42
	v_and_b32_e32 v48, 0x80000000, v48
	v_lshl_add_u32 v36, v36, 23, v45
	v_or3_b32 v42, v48, v36, v42
.LBB669_247:                            ;   in Loop: Header=BB669_213 Depth=1
	s_or_b64 exec, exec, s[16:17]
.LBB669_248:                            ;   in Loop: Header=BB669_213 Depth=1
	s_or_b64 exec, exec, s[14:15]
.LBB669_249:                            ;   in Loop: Header=BB669_213 Depth=1
	s_or_b64 exec, exec, s[12:13]
	v_lshrrev_b32_e32 v36, 16, v34
	v_cmp_ne_u16_sdwa s[14:15], v36, v43 src0_sel:BYTE_0 src1_sel:DWORD
	v_mov_b32_e32 v49, 0
	v_mov_b32_e32 v48, 0
	s_and_saveexec_b64 s[12:13], s[14:15]
	s_cbranch_execz .LBB669_255
; %bb.250:                              ;   in Loop: Header=BB669_213 Depth=1
	v_cmp_ne_u16_sdwa s[16:17], v36, s9 src0_sel:BYTE_0 src1_sel:DWORD
	v_bfrev_b32_e32 v48, 1
	s_and_saveexec_b64 s[14:15], s[16:17]
	s_cbranch_execz .LBB669_254
; %bb.251:                              ;   in Loop: Header=BB669_213 Depth=1
	v_bfe_u32 v60, v34, 16, 7
	v_cmp_ne_u32_e32 vcc, s19, v60
	v_mov_b32_e32 v48, 0x7f800001
	s_and_saveexec_b64 s[16:17], vcc
	s_cbranch_execz .LBB669_253
; %bb.252:                              ;   in Loop: Header=BB669_213 Depth=1
	v_and_b32_e32 v48, 7, v36
	v_ffbh_u32_e32 v62, v48
	v_min_u32_e32 v64, 32, v62
	v_subrev_u32_e32 v62, 28, v64
	v_lshlrev_b64 v[62:63], v62, v[36:37]
	v_lshrrev_b32_e32 v61, 3, v60
	v_sub_u32_e32 v63, 29, v64
	v_and_b32_e32 v62, 7, v62
	v_cmp_gt_u32_e32 vcc, 8, v60
	v_cndmask_b32_e32 v60, v61, v63, vcc
	v_cndmask_b32_e32 v48, v48, v62, vcc
	v_lshlrev_b32_e32 v36, 24, v36
	v_lshlrev_b32_e32 v48, 20, v48
	v_and_b32_e32 v36, 0x80000000, v36
	v_lshl_add_u32 v60, v60, 23, v45
	v_or3_b32 v48, v36, v60, v48
.LBB669_253:                            ;   in Loop: Header=BB669_213 Depth=1
	s_or_b64 exec, exec, s[16:17]
.LBB669_254:                            ;   in Loop: Header=BB669_213 Depth=1
	s_or_b64 exec, exec, s[14:15]
.LBB669_255:                            ;   in Loop: Header=BB669_213 Depth=1
	s_or_b64 exec, exec, s[12:13]
	v_cmp_lt_u32_e32 vcc, s20, v34
	s_and_saveexec_b64 s[12:13], vcc
	s_cbranch_execz .LBB669_261
; %bb.256:                              ;   in Loop: Header=BB669_213 Depth=1
	v_lshrrev_b32_e32 v36, 24, v34
	v_cmp_ne_u32_e32 vcc, s9, v36
	v_bfrev_b32_e32 v49, 1
	s_and_saveexec_b64 s[14:15], vcc
	s_cbranch_execz .LBB669_260
; %bb.257:                              ;   in Loop: Header=BB669_213 Depth=1
	v_bfe_u32 v34, v34, 24, 7
	v_cmp_ne_u32_e32 vcc, s19, v34
	v_mov_b32_e32 v49, 0x7f800001
	s_and_saveexec_b64 s[16:17], vcc
	s_cbranch_execz .LBB669_259
; %bb.258:                              ;   in Loop: Header=BB669_213 Depth=1
	v_and_b32_e32 v49, 7, v36
	v_ffbh_u32_e32 v60, v49
	v_min_u32_e32 v63, 32, v60
	v_subrev_u32_e32 v60, 28, v63
	v_lshlrev_b64 v[60:61], v60, v[36:37]
	v_lshrrev_b32_e32 v62, 3, v34
	v_sub_u32_e32 v61, 29, v63
	v_and_b32_e32 v60, 7, v60
	v_cmp_gt_u32_e32 vcc, 8, v34
	v_cndmask_b32_e32 v34, v62, v61, vcc
	v_cndmask_b32_e32 v49, v49, v60, vcc
	v_lshlrev_b32_e32 v36, 24, v36
	v_lshlrev_b32_e32 v49, 20, v49
	v_and_b32_e32 v36, 0x80000000, v36
	v_lshl_add_u32 v34, v34, 23, v45
	v_or3_b32 v49, v36, v34, v49
.LBB669_259:                            ;   in Loop: Header=BB669_213 Depth=1
	s_or_b64 exec, exec, s[16:17]
.LBB669_260:                            ;   in Loop: Header=BB669_213 Depth=1
	s_or_b64 exec, exec, s[14:15]
.LBB669_261:                            ;   in Loop: Header=BB669_213 Depth=1
	s_or_b64 exec, exec, s[12:13]
	v_cvt_pkrtz_f16_f32 v34, v35, v37
	v_cvt_pkrtz_f16_f32 v35, v44, v46
	;; [unrolled: 1-line block ×4, first 2 shown]
	v_mov_b32_e32 v44, 0
	v_mfma_f32_16x16x16f16 v[34:37], v[34:35], v[2:3], 0
	s_waitcnt vmcnt(1)
	v_cmp_ne_u16_sdwa s[14:15], v40, v43 src0_sel:BYTE_0 src1_sel:DWORD
	v_mov_b32_e32 v46, 0
	v_mfma_f32_16x16x16f16 v[34:37], v[60:61], v[4:5], v[34:37]
	s_and_saveexec_b64 s[12:13], s[14:15]
	s_cbranch_execz .LBB669_267
; %bb.262:                              ;   in Loop: Header=BB669_213 Depth=1
	v_cmp_ne_u16_sdwa s[16:17], v40, s9 src0_sel:BYTE_0 src1_sel:DWORD
	v_bfrev_b32_e32 v46, 1
	s_and_saveexec_b64 s[14:15], s[16:17]
	s_cbranch_execz .LBB669_266
; %bb.263:                              ;   in Loop: Header=BB669_213 Depth=1
	v_and_b32_e32 v42, 0x7f, v40
	v_cmp_ne_u32_e32 vcc, s19, v42
	v_mov_b32_e32 v46, 0x7f800001
	s_and_saveexec_b64 s[16:17], vcc
	s_cbranch_execz .LBB669_265
; %bb.264:                              ;   in Loop: Header=BB669_213 Depth=1
	v_and_b32_e32 v48, 7, v40
	v_ffbh_u32_e32 v46, v48
	v_min_u32_e32 v60, 32, v46
	v_subrev_u32_e32 v46, 28, v60
	v_lshlrev_b64 v[46:47], v46, v[40:41]
	v_lshrrev_b32_e32 v49, 3, v42
	v_sub_u32_e32 v47, 29, v60
	v_and_b32_e32 v46, 7, v46
	v_cmp_gt_u32_e32 vcc, 8, v42
	v_cndmask_b32_e32 v42, v49, v47, vcc
	v_cndmask_b32_e32 v46, v48, v46, vcc
	v_lshlrev_b32_e32 v47, 24, v40
	v_lshlrev_b32_e32 v46, 20, v46
	v_and_b32_e32 v47, 0x80000000, v47
	v_lshl_add_u32 v42, v42, 23, v45
	v_or3_b32 v46, v47, v42, v46
.LBB669_265:                            ;   in Loop: Header=BB669_213 Depth=1
	s_or_b64 exec, exec, s[16:17]
.LBB669_266:                            ;   in Loop: Header=BB669_213 Depth=1
	s_or_b64 exec, exec, s[14:15]
.LBB669_267:                            ;   in Loop: Header=BB669_213 Depth=1
	s_or_b64 exec, exec, s[12:13]
	v_lshrrev_b16_e32 v42, 8, v40
	v_cmp_ne_u16_e32 vcc, 0, v42
	v_mov_b32_e32 v48, 0
	s_and_saveexec_b64 s[12:13], vcc
	s_cbranch_execz .LBB669_273
; %bb.268:                              ;   in Loop: Header=BB669_213 Depth=1
	v_cmp_ne_u16_e32 vcc, s9, v42
	v_bfrev_b32_e32 v48, 1
	s_and_saveexec_b64 s[14:15], vcc
	s_cbranch_execz .LBB669_272
; %bb.269:                              ;   in Loop: Header=BB669_213 Depth=1
	v_and_b32_e32 v47, 0x7f, v42
	v_cmp_ne_u32_e32 vcc, s19, v47
	v_mov_b32_e32 v48, 0x7f800001
	s_and_saveexec_b64 s[16:17], vcc
	s_cbranch_execz .LBB669_271
; %bb.270:                              ;   in Loop: Header=BB669_213 Depth=1
	v_and_b32_e32 v60, 7, v42
	v_ffbh_u32_e32 v48, v60
	v_min_u32_e32 v62, 32, v48
	v_subrev_u32_e32 v48, 28, v62
	v_lshlrev_b64 v[48:49], v48, v[42:43]
	v_lshrrev_b32_e32 v61, 3, v47
	v_sub_u32_e32 v42, 29, v62
	v_and_b32_e32 v48, 7, v48
	v_cmp_gt_u32_e32 vcc, 8, v47
	v_cndmask_b32_e32 v42, v61, v42, vcc
	v_cndmask_b32_e32 v47, v60, v48, vcc
	v_lshlrev_b32_e32 v48, 16, v40
	v_lshlrev_b32_e32 v47, 20, v47
	v_and_b32_e32 v48, 0x80000000, v48
	v_lshl_add_u32 v42, v42, 23, v45
	v_or3_b32 v48, v48, v42, v47
.LBB669_271:                            ;   in Loop: Header=BB669_213 Depth=1
	s_or_b64 exec, exec, s[16:17]
.LBB669_272:                            ;   in Loop: Header=BB669_213 Depth=1
	s_or_b64 exec, exec, s[14:15]
.LBB669_273:                            ;   in Loop: Header=BB669_213 Depth=1
	s_or_b64 exec, exec, s[12:13]
	v_lshrrev_b32_e32 v42, 16, v40
	v_cmp_ne_u16_sdwa s[14:15], v42, v43 src0_sel:BYTE_0 src1_sel:DWORD
	s_and_saveexec_b64 s[12:13], s[14:15]
	s_cbranch_execz .LBB669_279
; %bb.274:                              ;   in Loop: Header=BB669_213 Depth=1
	v_cmp_ne_u16_sdwa s[16:17], v42, s9 src0_sel:BYTE_0 src1_sel:DWORD
	v_bfrev_b32_e32 v44, 1
	s_and_saveexec_b64 s[14:15], s[16:17]
	s_cbranch_execz .LBB669_278
; %bb.275:                              ;   in Loop: Header=BB669_213 Depth=1
	v_bfe_u32 v47, v40, 16, 7
	v_cmp_ne_u32_e32 vcc, s19, v47
	v_mov_b32_e32 v44, 0x7f800001
	s_and_saveexec_b64 s[16:17], vcc
	s_cbranch_execz .LBB669_277
; %bb.276:                              ;   in Loop: Header=BB669_213 Depth=1
	v_and_b32_e32 v44, 7, v42
	v_ffbh_u32_e32 v60, v44
	v_min_u32_e32 v62, 32, v60
	v_subrev_u32_e32 v60, 28, v62
	v_lshlrev_b64 v[60:61], v60, v[42:43]
	v_lshrrev_b32_e32 v49, 3, v47
	v_sub_u32_e32 v61, 29, v62
	v_and_b32_e32 v60, 7, v60
	v_cmp_gt_u32_e32 vcc, 8, v47
	v_cndmask_b32_e32 v47, v49, v61, vcc
	v_cndmask_b32_e32 v44, v44, v60, vcc
	v_lshlrev_b32_e32 v42, 24, v42
	v_lshlrev_b32_e32 v44, 20, v44
	v_and_b32_e32 v42, 0x80000000, v42
	v_lshl_add_u32 v47, v47, 23, v45
	v_or3_b32 v44, v42, v47, v44
.LBB669_277:                            ;   in Loop: Header=BB669_213 Depth=1
	s_or_b64 exec, exec, s[16:17]
.LBB669_278:                            ;   in Loop: Header=BB669_213 Depth=1
	s_or_b64 exec, exec, s[14:15]
.LBB669_279:                            ;   in Loop: Header=BB669_213 Depth=1
	s_or_b64 exec, exec, s[12:13]
	v_cmp_lt_u32_e32 vcc, s20, v40
	v_mov_b32_e32 v49, 0
	v_mov_b32_e32 v60, 0
	s_and_saveexec_b64 s[12:13], vcc
	s_cbranch_execz .LBB669_285
; %bb.280:                              ;   in Loop: Header=BB669_213 Depth=1
	v_lshrrev_b32_e32 v42, 24, v40
	v_cmp_ne_u32_e32 vcc, s9, v42
	v_bfrev_b32_e32 v60, 1
	s_and_saveexec_b64 s[14:15], vcc
	s_cbranch_execz .LBB669_284
; %bb.281:                              ;   in Loop: Header=BB669_213 Depth=1
	v_bfe_u32 v40, v40, 24, 7
	v_cmp_ne_u32_e32 vcc, s19, v40
	v_mov_b32_e32 v60, 0x7f800001
	s_and_saveexec_b64 s[16:17], vcc
	s_cbranch_execz .LBB669_283
; %bb.282:                              ;   in Loop: Header=BB669_213 Depth=1
	v_and_b32_e32 v47, 7, v42
	v_ffbh_u32_e32 v60, v47
	v_min_u32_e32 v63, 32, v60
	v_subrev_u32_e32 v60, 28, v63
	v_lshlrev_b64 v[60:61], v60, v[42:43]
	v_lshrrev_b32_e32 v62, 3, v40
	v_sub_u32_e32 v61, 29, v63
	v_and_b32_e32 v60, 7, v60
	v_cmp_gt_u32_e32 vcc, 8, v40
	v_cndmask_b32_e32 v40, v62, v61, vcc
	v_cndmask_b32_e32 v47, v47, v60, vcc
	v_lshlrev_b32_e32 v42, 24, v42
	v_lshlrev_b32_e32 v47, 20, v47
	v_and_b32_e32 v42, 0x80000000, v42
	v_lshl_add_u32 v40, v40, 23, v45
	v_or3_b32 v60, v42, v40, v47
.LBB669_283:                            ;   in Loop: Header=BB669_213 Depth=1
	s_or_b64 exec, exec, s[16:17]
.LBB669_284:                            ;   in Loop: Header=BB669_213 Depth=1
	s_or_b64 exec, exec, s[14:15]
.LBB669_285:                            ;   in Loop: Header=BB669_213 Depth=1
	s_or_b64 exec, exec, s[12:13]
	s_waitcnt vmcnt(0)
	v_cmp_ne_u16_sdwa s[14:15], v38, v43 src0_sel:BYTE_0 src1_sel:DWORD
	s_and_saveexec_b64 s[12:13], s[14:15]
	s_cbranch_execz .LBB669_291
; %bb.286:                              ;   in Loop: Header=BB669_213 Depth=1
	v_cmp_ne_u16_sdwa s[16:17], v38, s9 src0_sel:BYTE_0 src1_sel:DWORD
	v_bfrev_b32_e32 v49, 1
	s_and_saveexec_b64 s[14:15], s[16:17]
	s_cbranch_execz .LBB669_290
; %bb.287:                              ;   in Loop: Header=BB669_213 Depth=1
	v_and_b32_e32 v40, 0x7f, v38
	v_cmp_ne_u32_e32 vcc, s19, v40
	v_mov_b32_e32 v49, 0x7f800001
	s_and_saveexec_b64 s[16:17], vcc
	s_cbranch_execz .LBB669_289
; %bb.288:                              ;   in Loop: Header=BB669_213 Depth=1
	v_and_b32_e32 v42, 7, v38
	v_ffbh_u32_e32 v49, v42
	v_min_u32_e32 v49, 32, v49
	v_subrev_u32_e32 v61, 28, v49
	v_lshlrev_b64 v[62:63], v61, v[38:39]
	v_lshrrev_b32_e32 v47, 3, v40
	v_sub_u32_e32 v49, 29, v49
	v_and_b32_e32 v61, 7, v62
	v_cmp_gt_u32_e32 vcc, 8, v40
	v_cndmask_b32_e32 v40, v47, v49, vcc
	v_cndmask_b32_e32 v42, v42, v61, vcc
	v_lshlrev_b32_e32 v47, 24, v38
	v_lshlrev_b32_e32 v42, 20, v42
	v_and_b32_e32 v47, 0x80000000, v47
	v_lshl_add_u32 v40, v40, 23, v45
	v_or3_b32 v49, v47, v40, v42
.LBB669_289:                            ;   in Loop: Header=BB669_213 Depth=1
	s_or_b64 exec, exec, s[16:17]
.LBB669_290:                            ;   in Loop: Header=BB669_213 Depth=1
	s_or_b64 exec, exec, s[14:15]
.LBB669_291:                            ;   in Loop: Header=BB669_213 Depth=1
	s_or_b64 exec, exec, s[12:13]
	v_lshrrev_b16_e32 v40, 8, v38
	v_cmp_ne_u16_e32 vcc, 0, v40
	v_mov_b32_e32 v61, 0
	v_mov_b32_e32 v62, 0
	s_and_saveexec_b64 s[12:13], vcc
	s_cbranch_execz .LBB669_297
; %bb.292:                              ;   in Loop: Header=BB669_213 Depth=1
	v_cmp_ne_u16_e32 vcc, s9, v40
	v_bfrev_b32_e32 v62, 1
	s_and_saveexec_b64 s[14:15], vcc
	s_cbranch_execz .LBB669_296
; %bb.293:                              ;   in Loop: Header=BB669_213 Depth=1
	v_and_b32_e32 v42, 0x7f, v40
	v_cmp_ne_u32_e32 vcc, s19, v42
	v_mov_b32_e32 v62, 0x7f800001
	s_and_saveexec_b64 s[16:17], vcc
	s_cbranch_execz .LBB669_295
; %bb.294:                              ;   in Loop: Header=BB669_213 Depth=1
	v_and_b32_e32 v47, 7, v40
	v_ffbh_u32_e32 v62, v47
	v_min_u32_e32 v65, 32, v62
	v_subrev_u32_e32 v62, 28, v65
	v_lshlrev_b64 v[62:63], v62, v[40:41]
	v_lshrrev_b32_e32 v64, 3, v42
	v_sub_u32_e32 v40, 29, v65
	v_and_b32_e32 v62, 7, v62
	v_cmp_gt_u32_e32 vcc, 8, v42
	v_cndmask_b32_e32 v40, v64, v40, vcc
	v_cndmask_b32_e32 v42, v47, v62, vcc
	v_lshlrev_b32_e32 v47, 16, v38
	v_lshlrev_b32_e32 v42, 20, v42
	v_and_b32_e32 v47, 0x80000000, v47
	v_lshl_add_u32 v40, v40, 23, v45
	v_or3_b32 v62, v47, v40, v42
.LBB669_295:                            ;   in Loop: Header=BB669_213 Depth=1
	s_or_b64 exec, exec, s[16:17]
.LBB669_296:                            ;   in Loop: Header=BB669_213 Depth=1
	s_or_b64 exec, exec, s[14:15]
.LBB669_297:                            ;   in Loop: Header=BB669_213 Depth=1
	s_or_b64 exec, exec, s[12:13]
	v_lshrrev_b32_e32 v40, 16, v38
	v_cmp_ne_u16_sdwa s[14:15], v40, v43 src0_sel:BYTE_0 src1_sel:DWORD
	s_and_saveexec_b64 s[12:13], s[14:15]
	s_cbranch_execz .LBB669_303
; %bb.298:                              ;   in Loop: Header=BB669_213 Depth=1
	v_cmp_ne_u16_sdwa s[16:17], v40, s9 src0_sel:BYTE_0 src1_sel:DWORD
	v_bfrev_b32_e32 v61, 1
	s_and_saveexec_b64 s[14:15], s[16:17]
	s_cbranch_execz .LBB669_302
; %bb.299:                              ;   in Loop: Header=BB669_213 Depth=1
	v_bfe_u32 v42, v38, 16, 7
	v_cmp_ne_u32_e32 vcc, s19, v42
	v_mov_b32_e32 v61, 0x7f800001
	s_and_saveexec_b64 s[16:17], vcc
	s_cbranch_execz .LBB669_301
; %bb.300:                              ;   in Loop: Header=BB669_213 Depth=1
	v_and_b32_e32 v47, 7, v40
	v_ffbh_u32_e32 v63, v47
	v_min_u32_e32 v63, 32, v63
	v_subrev_u32_e32 v64, 28, v63
	v_lshlrev_b64 v[64:65], v64, v[40:41]
	v_lshrrev_b32_e32 v61, 3, v42
	v_sub_u32_e32 v63, 29, v63
	v_and_b32_e32 v64, 7, v64
	v_cmp_gt_u32_e32 vcc, 8, v42
	v_cndmask_b32_e32 v42, v61, v63, vcc
	v_cndmask_b32_e32 v47, v47, v64, vcc
	v_lshlrev_b32_e32 v40, 24, v40
	v_lshlrev_b32_e32 v47, 20, v47
	v_and_b32_e32 v40, 0x80000000, v40
	v_lshl_add_u32 v42, v42, 23, v45
	v_or3_b32 v61, v40, v42, v47
.LBB669_301:                            ;   in Loop: Header=BB669_213 Depth=1
	s_or_b64 exec, exec, s[16:17]
.LBB669_302:                            ;   in Loop: Header=BB669_213 Depth=1
	s_or_b64 exec, exec, s[14:15]
.LBB669_303:                            ;   in Loop: Header=BB669_213 Depth=1
	s_or_b64 exec, exec, s[12:13]
	v_cmp_lt_u32_e32 vcc, s20, v38
	v_mov_b32_e32 v47, 0
	v_mov_b32_e32 v63, 0
	s_and_saveexec_b64 s[12:13], vcc
	s_cbranch_execz .LBB669_309
; %bb.304:                              ;   in Loop: Header=BB669_213 Depth=1
	v_lshrrev_b32_e32 v40, 24, v38
	v_cmp_ne_u32_e32 vcc, s9, v40
	v_bfrev_b32_e32 v63, 1
	s_and_saveexec_b64 s[14:15], vcc
	s_cbranch_execz .LBB669_308
; %bb.305:                              ;   in Loop: Header=BB669_213 Depth=1
	v_bfe_u32 v38, v38, 24, 7
	v_cmp_ne_u32_e32 vcc, s19, v38
	v_mov_b32_e32 v63, 0x7f800001
	s_and_saveexec_b64 s[16:17], vcc
	s_cbranch_execz .LBB669_307
; %bb.306:                              ;   in Loop: Header=BB669_213 Depth=1
	v_and_b32_e32 v42, 7, v40
	v_ffbh_u32_e32 v64, v42
	v_min_u32_e32 v66, 32, v64
	v_subrev_u32_e32 v64, 28, v66
	v_lshlrev_b64 v[64:65], v64, v[40:41]
	v_lshrrev_b32_e32 v63, 3, v38
	v_sub_u32_e32 v65, 29, v66
	v_and_b32_e32 v64, 7, v64
	v_cmp_gt_u32_e32 vcc, 8, v38
	v_cndmask_b32_e32 v38, v63, v65, vcc
	v_cndmask_b32_e32 v42, v42, v64, vcc
	v_lshlrev_b32_e32 v40, 24, v40
	v_lshlrev_b32_e32 v42, 20, v42
	v_and_b32_e32 v40, 0x80000000, v40
	v_lshl_add_u32 v38, v38, 23, v45
	v_or3_b32 v63, v40, v38, v42
.LBB669_307:                            ;   in Loop: Header=BB669_213 Depth=1
	s_or_b64 exec, exec, s[16:17]
.LBB669_308:                            ;   in Loop: Header=BB669_213 Depth=1
	s_or_b64 exec, exec, s[14:15]
.LBB669_309:                            ;   in Loop: Header=BB669_213 Depth=1
	s_or_b64 exec, exec, s[12:13]
	v_cvt_pkrtz_f16_f32 v65, v44, v60
	buffer_load_dword v44, v59, s[0:3], 0 offen
	buffer_load_dword v42, v59, s[0:3], 0 offen offset:4
	buffer_load_dword v40, v59, s[0:3], 0 offen offset:8
	;; [unrolled: 1-line block ×3, first 2 shown]
	v_cvt_pkrtz_f16_f32 v64, v46, v48
	v_cvt_pkrtz_f16_f32 v48, v49, v62
	;; [unrolled: 1-line block ×3, first 2 shown]
	v_mfma_f32_16x16x16f16 v[34:37], v[64:65], v[6:7], v[34:37]
	s_waitcnt vmcnt(3)
	v_cmp_ne_u16_sdwa s[14:15], v44, v43 src0_sel:BYTE_0 src1_sel:DWORD
	v_mfma_f32_16x16x16f16 v[34:37], v[48:49], v[8:9], v[34:37]
	s_and_saveexec_b64 s[12:13], s[14:15]
	s_cbranch_execz .LBB669_315
; %bb.310:                              ;   in Loop: Header=BB669_213 Depth=1
	v_cmp_ne_u16_sdwa s[16:17], v44, s9 src0_sel:BYTE_0 src1_sel:DWORD
	v_bfrev_b32_e32 v47, 1
	s_and_saveexec_b64 s[14:15], s[16:17]
	s_cbranch_execz .LBB669_314
; %bb.311:                              ;   in Loop: Header=BB669_213 Depth=1
	v_and_b32_e32 v46, 0x7f, v44
	v_cmp_ne_u32_e32 vcc, s19, v46
	v_mov_b32_e32 v47, 0x7f800001
	s_and_saveexec_b64 s[16:17], vcc
	s_cbranch_execz .LBB669_313
; %bb.312:                              ;   in Loop: Header=BB669_213 Depth=1
	v_and_b32_e32 v47, 7, v44
	v_ffbh_u32_e32 v48, v47
	v_min_u32_e32 v60, 32, v48
	v_subrev_u32_e32 v48, 28, v60
	v_lshlrev_b64 v[48:49], v48, v[44:45]
	v_lshrrev_b32_e32 v59, 3, v46
	v_sub_u32_e32 v49, 29, v60
	v_and_b32_e32 v48, 7, v48
	v_cmp_gt_u32_e32 vcc, 8, v46
	v_cndmask_b32_e32 v46, v59, v49, vcc
	v_cndmask_b32_e32 v47, v47, v48, vcc
	v_lshlrev_b32_e32 v48, 24, v44
	v_lshlrev_b32_e32 v47, 20, v47
	v_and_b32_e32 v48, 0x80000000, v48
	v_lshl_add_u32 v46, v46, 23, v45
	v_or3_b32 v47, v48, v46, v47
.LBB669_313:                            ;   in Loop: Header=BB669_213 Depth=1
	s_or_b64 exec, exec, s[16:17]
.LBB669_314:                            ;   in Loop: Header=BB669_213 Depth=1
	s_or_b64 exec, exec, s[14:15]
.LBB669_315:                            ;   in Loop: Header=BB669_213 Depth=1
	s_or_b64 exec, exec, s[12:13]
	v_lshrrev_b16_e32 v46, 8, v44
	v_cmp_ne_u16_e32 vcc, 0, v46
	v_mov_b32_e32 v48, 0
	v_mov_b32_e32 v49, 0
	s_and_saveexec_b64 s[12:13], vcc
	s_cbranch_execz .LBB669_321
; %bb.316:                              ;   in Loop: Header=BB669_213 Depth=1
	v_cmp_ne_u16_e32 vcc, s9, v46
	v_bfrev_b32_e32 v49, 1
	s_and_saveexec_b64 s[14:15], vcc
	s_cbranch_execz .LBB669_320
; %bb.317:                              ;   in Loop: Header=BB669_213 Depth=1
	v_and_b32_e32 v59, 0x7f, v46
	v_cmp_ne_u32_e32 vcc, s19, v59
	v_mov_b32_e32 v49, 0x7f800001
	s_and_saveexec_b64 s[16:17], vcc
	s_cbranch_execz .LBB669_319
; %bb.318:                              ;   in Loop: Header=BB669_213 Depth=1
	v_and_b32_e32 v49, 7, v46
	v_ffbh_u32_e32 v60, v49
	v_min_u32_e32 v63, 32, v60
	v_subrev_u32_e32 v60, 28, v63
	v_lshlrev_b64 v[60:61], v60, v[46:47]
	v_lshrrev_b32_e32 v62, 3, v59
	v_sub_u32_e32 v46, 29, v63
	v_and_b32_e32 v60, 7, v60
	v_cmp_gt_u32_e32 vcc, 8, v59
	v_cndmask_b32_e32 v46, v62, v46, vcc
	v_cndmask_b32_e32 v49, v49, v60, vcc
	v_lshlrev_b32_e32 v59, 16, v44
	v_lshlrev_b32_e32 v49, 20, v49
	v_and_b32_e32 v59, 0x80000000, v59
	v_lshl_add_u32 v46, v46, 23, v45
	v_or3_b32 v49, v59, v46, v49
.LBB669_319:                            ;   in Loop: Header=BB669_213 Depth=1
	s_or_b64 exec, exec, s[16:17]
.LBB669_320:                            ;   in Loop: Header=BB669_213 Depth=1
	s_or_b64 exec, exec, s[14:15]
.LBB669_321:                            ;   in Loop: Header=BB669_213 Depth=1
	s_or_b64 exec, exec, s[12:13]
	v_lshrrev_b32_e32 v46, 16, v44
	v_cmp_ne_u16_sdwa s[14:15], v46, v43 src0_sel:BYTE_0 src1_sel:DWORD
	s_and_saveexec_b64 s[12:13], s[14:15]
	s_cbranch_execz .LBB669_327
; %bb.322:                              ;   in Loop: Header=BB669_213 Depth=1
	v_cmp_ne_u16_sdwa s[16:17], v46, s9 src0_sel:BYTE_0 src1_sel:DWORD
	v_bfrev_b32_e32 v48, 1
	s_and_saveexec_b64 s[14:15], s[16:17]
	s_cbranch_execz .LBB669_326
; %bb.323:                              ;   in Loop: Header=BB669_213 Depth=1
	v_bfe_u32 v59, v44, 16, 7
	v_cmp_ne_u32_e32 vcc, s19, v59
	v_mov_b32_e32 v48, 0x7f800001
	s_and_saveexec_b64 s[16:17], vcc
	s_cbranch_execz .LBB669_325
; %bb.324:                              ;   in Loop: Header=BB669_213 Depth=1
	v_and_b32_e32 v48, 7, v46
	v_ffbh_u32_e32 v60, v48
	v_min_u32_e32 v63, 32, v60
	v_subrev_u32_e32 v60, 28, v63
	v_lshlrev_b64 v[60:61], v60, v[46:47]
	v_lshrrev_b32_e32 v62, 3, v59
	v_sub_u32_e32 v61, 29, v63
	v_and_b32_e32 v60, 7, v60
	v_cmp_gt_u32_e32 vcc, 8, v59
	v_cndmask_b32_e32 v59, v62, v61, vcc
	v_cndmask_b32_e32 v48, v48, v60, vcc
	v_lshlrev_b32_e32 v46, 24, v46
	v_lshlrev_b32_e32 v48, 20, v48
	v_and_b32_e32 v46, 0x80000000, v46
	v_lshl_add_u32 v59, v59, 23, v45
	v_or3_b32 v48, v46, v59, v48
.LBB669_325:                            ;   in Loop: Header=BB669_213 Depth=1
	s_or_b64 exec, exec, s[16:17]
.LBB669_326:                            ;   in Loop: Header=BB669_213 Depth=1
	s_or_b64 exec, exec, s[14:15]
.LBB669_327:                            ;   in Loop: Header=BB669_213 Depth=1
	s_or_b64 exec, exec, s[12:13]
	v_cmp_lt_u32_e32 vcc, s20, v44
	v_mov_b32_e32 v59, 0
	v_mov_b32_e32 v60, 0
	s_and_saveexec_b64 s[12:13], vcc
	s_cbranch_execz .LBB669_333
; %bb.328:                              ;   in Loop: Header=BB669_213 Depth=1
	v_lshrrev_b32_e32 v46, 24, v44
	v_cmp_ne_u32_e32 vcc, s9, v46
	v_bfrev_b32_e32 v60, 1
	s_and_saveexec_b64 s[14:15], vcc
	s_cbranch_execz .LBB669_332
; %bb.329:                              ;   in Loop: Header=BB669_213 Depth=1
	v_bfe_u32 v44, v44, 24, 7
	v_cmp_ne_u32_e32 vcc, s19, v44
	v_mov_b32_e32 v60, 0x7f800001
	s_and_saveexec_b64 s[16:17], vcc
	s_cbranch_execz .LBB669_331
; %bb.330:                              ;   in Loop: Header=BB669_213 Depth=1
	v_and_b32_e32 v62, 7, v46
	v_ffbh_u32_e32 v60, v62
	v_min_u32_e32 v64, 32, v60
	v_subrev_u32_e32 v60, 28, v64
	v_lshlrev_b64 v[60:61], v60, v[46:47]
	v_lshrrev_b32_e32 v63, 3, v44
	v_sub_u32_e32 v61, 29, v64
	v_and_b32_e32 v60, 7, v60
	v_cmp_gt_u32_e32 vcc, 8, v44
	v_cndmask_b32_e32 v44, v63, v61, vcc
	v_cndmask_b32_e32 v60, v62, v60, vcc
	v_lshlrev_b32_e32 v46, 24, v46
	v_lshlrev_b32_e32 v60, 20, v60
	v_and_b32_e32 v46, 0x80000000, v46
	v_lshl_add_u32 v44, v44, 23, v45
	v_or3_b32 v60, v46, v44, v60
.LBB669_331:                            ;   in Loop: Header=BB669_213 Depth=1
	s_or_b64 exec, exec, s[16:17]
.LBB669_332:                            ;   in Loop: Header=BB669_213 Depth=1
	s_or_b64 exec, exec, s[14:15]
.LBB669_333:                            ;   in Loop: Header=BB669_213 Depth=1
	s_or_b64 exec, exec, s[12:13]
	s_waitcnt vmcnt(2)
	v_cmp_ne_u16_sdwa s[14:15], v42, v43 src0_sel:BYTE_0 src1_sel:DWORD
	s_and_saveexec_b64 s[12:13], s[14:15]
	s_cbranch_execz .LBB669_339
; %bb.334:                              ;   in Loop: Header=BB669_213 Depth=1
	v_cmp_ne_u16_sdwa s[16:17], v42, s9 src0_sel:BYTE_0 src1_sel:DWORD
	v_bfrev_b32_e32 v59, 1
	s_and_saveexec_b64 s[14:15], s[16:17]
	s_cbranch_execz .LBB669_338
; %bb.335:                              ;   in Loop: Header=BB669_213 Depth=1
	v_and_b32_e32 v44, 0x7f, v42
	v_cmp_ne_u32_e32 vcc, s19, v44
	v_mov_b32_e32 v59, 0x7f800001
	s_and_saveexec_b64 s[16:17], vcc
	s_cbranch_execz .LBB669_337
; %bb.336:                              ;   in Loop: Header=BB669_213 Depth=1
	v_and_b32_e32 v46, 7, v42
	v_ffbh_u32_e32 v61, v46
	v_min_u32_e32 v61, 32, v61
	v_subrev_u32_e32 v62, 28, v61
	v_lshlrev_b64 v[62:63], v62, v[42:43]
	v_lshrrev_b32_e32 v59, 3, v44
	v_sub_u32_e32 v61, 29, v61
	v_and_b32_e32 v62, 7, v62
	v_cmp_gt_u32_e32 vcc, 8, v44
	v_cndmask_b32_e32 v44, v59, v61, vcc
	v_cndmask_b32_e32 v46, v46, v62, vcc
	v_lshlrev_b32_e32 v59, 24, v42
	v_lshlrev_b32_e32 v46, 20, v46
	v_and_b32_e32 v59, 0x80000000, v59
	v_lshl_add_u32 v44, v44, 23, v45
	v_or3_b32 v59, v59, v44, v46
.LBB669_337:                            ;   in Loop: Header=BB669_213 Depth=1
	s_or_b64 exec, exec, s[16:17]
.LBB669_338:                            ;   in Loop: Header=BB669_213 Depth=1
	s_or_b64 exec, exec, s[14:15]
.LBB669_339:                            ;   in Loop: Header=BB669_213 Depth=1
	s_or_b64 exec, exec, s[12:13]
	v_lshrrev_b16_e32 v44, 8, v42
	v_cmp_ne_u16_e32 vcc, 0, v44
	v_mov_b32_e32 v61, 0
	v_mov_b32_e32 v62, 0
	s_and_saveexec_b64 s[12:13], vcc
	s_cbranch_execz .LBB669_345
; %bb.340:                              ;   in Loop: Header=BB669_213 Depth=1
	v_cmp_ne_u16_e32 vcc, s9, v44
	v_bfrev_b32_e32 v62, 1
	s_and_saveexec_b64 s[14:15], vcc
	s_cbranch_execz .LBB669_344
; %bb.341:                              ;   in Loop: Header=BB669_213 Depth=1
	v_and_b32_e32 v46, 0x7f, v44
	v_cmp_ne_u32_e32 vcc, s19, v46
	v_mov_b32_e32 v62, 0x7f800001
	s_and_saveexec_b64 s[16:17], vcc
	s_cbranch_execz .LBB669_343
; %bb.342:                              ;   in Loop: Header=BB669_213 Depth=1
	v_and_b32_e32 v64, 7, v44
	v_ffbh_u32_e32 v62, v64
	v_min_u32_e32 v66, 32, v62
	v_subrev_u32_e32 v62, 28, v66
	v_lshlrev_b64 v[62:63], v62, v[44:45]
	v_lshrrev_b32_e32 v65, 3, v46
	v_sub_u32_e32 v44, 29, v66
	v_and_b32_e32 v62, 7, v62
	v_cmp_gt_u32_e32 vcc, 8, v46
	v_cndmask_b32_e32 v44, v65, v44, vcc
	v_cndmask_b32_e32 v46, v64, v62, vcc
	v_lshlrev_b32_e32 v62, 16, v42
	v_lshlrev_b32_e32 v46, 20, v46
	v_and_b32_e32 v62, 0x80000000, v62
	v_lshl_add_u32 v44, v44, 23, v45
	v_or3_b32 v62, v62, v44, v46
.LBB669_343:                            ;   in Loop: Header=BB669_213 Depth=1
	s_or_b64 exec, exec, s[16:17]
.LBB669_344:                            ;   in Loop: Header=BB669_213 Depth=1
	s_or_b64 exec, exec, s[14:15]
.LBB669_345:                            ;   in Loop: Header=BB669_213 Depth=1
	s_or_b64 exec, exec, s[12:13]
	v_lshrrev_b32_e32 v44, 16, v42
	v_cmp_ne_u16_sdwa s[14:15], v44, v43 src0_sel:BYTE_0 src1_sel:DWORD
	s_and_saveexec_b64 s[12:13], s[14:15]
	s_cbranch_execz .LBB669_351
; %bb.346:                              ;   in Loop: Header=BB669_213 Depth=1
	v_cmp_ne_u16_sdwa s[16:17], v44, s9 src0_sel:BYTE_0 src1_sel:DWORD
	v_bfrev_b32_e32 v61, 1
	s_and_saveexec_b64 s[14:15], s[16:17]
	s_cbranch_execz .LBB669_350
; %bb.347:                              ;   in Loop: Header=BB669_213 Depth=1
	v_bfe_u32 v46, v42, 16, 7
	v_cmp_ne_u32_e32 vcc, s19, v46
	v_mov_b32_e32 v61, 0x7f800001
	s_and_saveexec_b64 s[16:17], vcc
	s_cbranch_execz .LBB669_349
; %bb.348:                              ;   in Loop: Header=BB669_213 Depth=1
	v_and_b32_e32 v61, 7, v44
	v_ffbh_u32_e32 v64, v61
	v_min_u32_e32 v66, 32, v64
	v_subrev_u32_e32 v64, 28, v66
	v_lshlrev_b64 v[64:65], v64, v[44:45]
	v_lshrrev_b32_e32 v63, 3, v46
	v_sub_u32_e32 v65, 29, v66
	v_and_b32_e32 v64, 7, v64
	v_cmp_gt_u32_e32 vcc, 8, v46
	v_cndmask_b32_e32 v46, v63, v65, vcc
	v_cndmask_b32_e32 v61, v61, v64, vcc
	v_lshlrev_b32_e32 v44, 24, v44
	v_lshlrev_b32_e32 v61, 20, v61
	v_and_b32_e32 v44, 0x80000000, v44
	v_lshl_add_u32 v46, v46, 23, v45
	v_or3_b32 v61, v44, v46, v61
.LBB669_349:                            ;   in Loop: Header=BB669_213 Depth=1
	s_or_b64 exec, exec, s[16:17]
.LBB669_350:                            ;   in Loop: Header=BB669_213 Depth=1
	s_or_b64 exec, exec, s[14:15]
.LBB669_351:                            ;   in Loop: Header=BB669_213 Depth=1
	s_or_b64 exec, exec, s[12:13]
	v_cmp_lt_u32_e32 vcc, s20, v42
	v_mov_b32_e32 v46, 0
	v_mov_b32_e32 v63, 0
	s_and_saveexec_b64 s[12:13], vcc
	s_cbranch_execz .LBB669_357
; %bb.352:                              ;   in Loop: Header=BB669_213 Depth=1
	v_lshrrev_b32_e32 v44, 24, v42
	v_cmp_ne_u32_e32 vcc, s9, v44
	v_bfrev_b32_e32 v63, 1
	s_and_saveexec_b64 s[14:15], vcc
	s_cbranch_execz .LBB669_356
; %bb.353:                              ;   in Loop: Header=BB669_213 Depth=1
	v_bfe_u32 v42, v42, 24, 7
	v_cmp_ne_u32_e32 vcc, s19, v42
	v_mov_b32_e32 v63, 0x7f800001
	s_and_saveexec_b64 s[16:17], vcc
	s_cbranch_execz .LBB669_355
; %bb.354:                              ;   in Loop: Header=BB669_213 Depth=1
	v_and_b32_e32 v63, 7, v44
	v_ffbh_u32_e32 v64, v63
	v_min_u32_e32 v67, 32, v64
	v_subrev_u32_e32 v64, 28, v67
	v_lshlrev_b64 v[64:65], v64, v[44:45]
	v_lshrrev_b32_e32 v66, 3, v42
	v_sub_u32_e32 v65, 29, v67
	v_and_b32_e32 v64, 7, v64
	v_cmp_gt_u32_e32 vcc, 8, v42
	v_cndmask_b32_e32 v42, v66, v65, vcc
	v_cndmask_b32_e32 v63, v63, v64, vcc
	v_lshlrev_b32_e32 v44, 24, v44
	v_lshlrev_b32_e32 v63, 20, v63
	v_and_b32_e32 v44, 0x80000000, v44
	v_lshl_add_u32 v42, v42, 23, v45
	v_or3_b32 v63, v44, v42, v63
.LBB669_355:                            ;   in Loop: Header=BB669_213 Depth=1
	s_or_b64 exec, exec, s[16:17]
.LBB669_356:                            ;   in Loop: Header=BB669_213 Depth=1
	s_or_b64 exec, exec, s[14:15]
.LBB669_357:                            ;   in Loop: Header=BB669_213 Depth=1
	s_or_b64 exec, exec, s[12:13]
	v_cvt_pkrtz_f16_f32 v64, v47, v49
	v_cvt_pkrtz_f16_f32 v65, v48, v60
	;; [unrolled: 1-line block ×4, first 2 shown]
	s_waitcnt vmcnt(1)
	v_cmp_ne_u16_sdwa s[14:15], v40, v43 src0_sel:BYTE_0 src1_sel:DWORD
	v_mfma_f32_16x16x16f16 v[34:37], v[64:65], v[10:11], v[34:37]
	v_mfma_f32_16x16x16f16 v[34:37], v[48:49], v[12:13], v[34:37]
	s_and_saveexec_b64 s[12:13], s[14:15]
	s_cbranch_execz .LBB669_363
; %bb.358:                              ;   in Loop: Header=BB669_213 Depth=1
	v_cmp_ne_u16_sdwa s[16:17], v40, s9 src0_sel:BYTE_0 src1_sel:DWORD
	v_bfrev_b32_e32 v46, 1
	s_and_saveexec_b64 s[14:15], s[16:17]
	s_cbranch_execz .LBB669_362
; %bb.359:                              ;   in Loop: Header=BB669_213 Depth=1
	v_and_b32_e32 v42, 0x7f, v40
	v_cmp_ne_u32_e32 vcc, s19, v42
	v_mov_b32_e32 v46, 0x7f800001
	s_and_saveexec_b64 s[16:17], vcc
	s_cbranch_execz .LBB669_361
; %bb.360:                              ;   in Loop: Header=BB669_213 Depth=1
	v_and_b32_e32 v44, 7, v40
	v_ffbh_u32_e32 v46, v44
	v_min_u32_e32 v49, 32, v46
	v_subrev_u32_e32 v46, 28, v49
	v_lshlrev_b64 v[46:47], v46, v[40:41]
	v_lshrrev_b32_e32 v48, 3, v42
	v_sub_u32_e32 v47, 29, v49
	v_and_b32_e32 v46, 7, v46
	v_cmp_gt_u32_e32 vcc, 8, v42
	v_cndmask_b32_e32 v42, v48, v47, vcc
	v_cndmask_b32_e32 v44, v44, v46, vcc
	v_lshlrev_b32_e32 v46, 24, v40
	v_lshlrev_b32_e32 v44, 20, v44
	v_and_b32_e32 v46, 0x80000000, v46
	v_lshl_add_u32 v42, v42, 23, v45
	v_or3_b32 v46, v46, v42, v44
.LBB669_361:                            ;   in Loop: Header=BB669_213 Depth=1
	s_or_b64 exec, exec, s[16:17]
.LBB669_362:                            ;   in Loop: Header=BB669_213 Depth=1
	s_or_b64 exec, exec, s[14:15]
.LBB669_363:                            ;   in Loop: Header=BB669_213 Depth=1
	s_or_b64 exec, exec, s[12:13]
	v_lshrrev_b16_e32 v42, 8, v40
	v_cmp_ne_u16_e32 vcc, 0, v42
	v_mov_b32_e32 v44, 0
	v_mov_b32_e32 v48, 0
	s_and_saveexec_b64 s[12:13], vcc
	s_cbranch_execz .LBB669_369
; %bb.364:                              ;   in Loop: Header=BB669_213 Depth=1
	v_cmp_ne_u16_e32 vcc, s9, v42
	v_bfrev_b32_e32 v48, 1
	s_and_saveexec_b64 s[14:15], vcc
	s_cbranch_execz .LBB669_368
; %bb.365:                              ;   in Loop: Header=BB669_213 Depth=1
	v_and_b32_e32 v47, 0x7f, v42
	v_cmp_ne_u32_e32 vcc, s19, v47
	v_mov_b32_e32 v48, 0x7f800001
	s_and_saveexec_b64 s[16:17], vcc
	s_cbranch_execz .LBB669_367
; %bb.366:                              ;   in Loop: Header=BB669_213 Depth=1
	v_and_b32_e32 v59, 7, v42
	v_ffbh_u32_e32 v48, v59
	v_min_u32_e32 v61, 32, v48
	v_subrev_u32_e32 v48, 28, v61
	v_lshlrev_b64 v[48:49], v48, v[42:43]
	v_lshrrev_b32_e32 v60, 3, v47
	v_sub_u32_e32 v42, 29, v61
	v_and_b32_e32 v48, 7, v48
	v_cmp_gt_u32_e32 vcc, 8, v47
	v_cndmask_b32_e32 v42, v60, v42, vcc
	v_cndmask_b32_e32 v47, v59, v48, vcc
	v_lshlrev_b32_e32 v48, 16, v40
	v_lshlrev_b32_e32 v47, 20, v47
	v_and_b32_e32 v48, 0x80000000, v48
	v_lshl_add_u32 v42, v42, 23, v45
	v_or3_b32 v48, v48, v42, v47
.LBB669_367:                            ;   in Loop: Header=BB669_213 Depth=1
	s_or_b64 exec, exec, s[16:17]
.LBB669_368:                            ;   in Loop: Header=BB669_213 Depth=1
	s_or_b64 exec, exec, s[14:15]
.LBB669_369:                            ;   in Loop: Header=BB669_213 Depth=1
	s_or_b64 exec, exec, s[12:13]
	v_lshrrev_b32_e32 v42, 16, v40
	v_cmp_ne_u16_sdwa s[14:15], v42, v43 src0_sel:BYTE_0 src1_sel:DWORD
	s_and_saveexec_b64 s[12:13], s[14:15]
	s_cbranch_execz .LBB669_375
; %bb.370:                              ;   in Loop: Header=BB669_213 Depth=1
	v_cmp_ne_u16_sdwa s[16:17], v42, s9 src0_sel:BYTE_0 src1_sel:DWORD
	v_bfrev_b32_e32 v44, 1
	s_and_saveexec_b64 s[14:15], s[16:17]
	s_cbranch_execz .LBB669_374
; %bb.371:                              ;   in Loop: Header=BB669_213 Depth=1
	v_bfe_u32 v47, v40, 16, 7
	v_cmp_ne_u32_e32 vcc, s19, v47
	v_mov_b32_e32 v44, 0x7f800001
	s_and_saveexec_b64 s[16:17], vcc
	s_cbranch_execz .LBB669_373
; %bb.372:                              ;   in Loop: Header=BB669_213 Depth=1
	v_and_b32_e32 v44, 7, v42
	v_ffbh_u32_e32 v59, v44
	v_min_u32_e32 v59, 32, v59
	v_subrev_u32_e32 v60, 28, v59
	v_lshlrev_b64 v[60:61], v60, v[42:43]
	v_lshrrev_b32_e32 v49, 3, v47
	v_sub_u32_e32 v59, 29, v59
	v_and_b32_e32 v60, 7, v60
	v_cmp_gt_u32_e32 vcc, 8, v47
	v_cndmask_b32_e32 v47, v49, v59, vcc
	v_cndmask_b32_e32 v44, v44, v60, vcc
	v_lshlrev_b32_e32 v42, 24, v42
	v_lshlrev_b32_e32 v44, 20, v44
	v_and_b32_e32 v42, 0x80000000, v42
	v_lshl_add_u32 v47, v47, 23, v45
	v_or3_b32 v44, v42, v47, v44
.LBB669_373:                            ;   in Loop: Header=BB669_213 Depth=1
	s_or_b64 exec, exec, s[16:17]
.LBB669_374:                            ;   in Loop: Header=BB669_213 Depth=1
	s_or_b64 exec, exec, s[14:15]
.LBB669_375:                            ;   in Loop: Header=BB669_213 Depth=1
	s_or_b64 exec, exec, s[12:13]
	v_cmp_lt_u32_e32 vcc, s20, v40
	v_mov_b32_e32 v49, 0
	v_mov_b32_e32 v59, 0
	s_and_saveexec_b64 s[12:13], vcc
	s_cbranch_execz .LBB669_381
; %bb.376:                              ;   in Loop: Header=BB669_213 Depth=1
	v_lshrrev_b32_e32 v42, 24, v40
	v_cmp_ne_u32_e32 vcc, s9, v42
	v_bfrev_b32_e32 v59, 1
	s_and_saveexec_b64 s[14:15], vcc
	s_cbranch_execz .LBB669_380
; %bb.377:                              ;   in Loop: Header=BB669_213 Depth=1
	v_bfe_u32 v40, v40, 24, 7
	v_cmp_ne_u32_e32 vcc, s19, v40
	v_mov_b32_e32 v59, 0x7f800001
	s_and_saveexec_b64 s[16:17], vcc
	s_cbranch_execz .LBB669_379
; %bb.378:                              ;   in Loop: Header=BB669_213 Depth=1
	v_and_b32_e32 v47, 7, v42
	v_ffbh_u32_e32 v60, v47
	v_min_u32_e32 v62, 32, v60
	v_subrev_u32_e32 v60, 28, v62
	v_lshlrev_b64 v[60:61], v60, v[42:43]
	v_lshrrev_b32_e32 v59, 3, v40
	v_sub_u32_e32 v61, 29, v62
	v_and_b32_e32 v60, 7, v60
	v_cmp_gt_u32_e32 vcc, 8, v40
	v_cndmask_b32_e32 v40, v59, v61, vcc
	v_cndmask_b32_e32 v47, v47, v60, vcc
	v_lshlrev_b32_e32 v42, 24, v42
	v_lshlrev_b32_e32 v47, 20, v47
	v_and_b32_e32 v42, 0x80000000, v42
	v_lshl_add_u32 v40, v40, 23, v45
	v_or3_b32 v59, v42, v40, v47
.LBB669_379:                            ;   in Loop: Header=BB669_213 Depth=1
	s_or_b64 exec, exec, s[16:17]
.LBB669_380:                            ;   in Loop: Header=BB669_213 Depth=1
	s_or_b64 exec, exec, s[14:15]
.LBB669_381:                            ;   in Loop: Header=BB669_213 Depth=1
	s_or_b64 exec, exec, s[12:13]
	s_waitcnt vmcnt(0)
	v_cmp_ne_u16_sdwa s[14:15], v38, v43 src0_sel:BYTE_0 src1_sel:DWORD
	s_and_saveexec_b64 s[12:13], s[14:15]
	s_cbranch_execz .LBB669_387
; %bb.382:                              ;   in Loop: Header=BB669_213 Depth=1
	v_cmp_ne_u16_sdwa s[16:17], v38, s9 src0_sel:BYTE_0 src1_sel:DWORD
	v_bfrev_b32_e32 v49, 1
	s_and_saveexec_b64 s[14:15], s[16:17]
	s_cbranch_execz .LBB669_386
; %bb.383:                              ;   in Loop: Header=BB669_213 Depth=1
	v_and_b32_e32 v40, 0x7f, v38
	v_cmp_ne_u32_e32 vcc, s19, v40
	v_mov_b32_e32 v49, 0x7f800001
	s_and_saveexec_b64 s[16:17], vcc
	s_cbranch_execz .LBB669_385
; %bb.384:                              ;   in Loop: Header=BB669_213 Depth=1
	v_and_b32_e32 v42, 7, v38
	v_ffbh_u32_e32 v49, v42
	v_min_u32_e32 v49, 32, v49
	v_subrev_u32_e32 v60, 28, v49
	v_lshlrev_b64 v[60:61], v60, v[38:39]
	v_lshrrev_b32_e32 v47, 3, v40
	v_sub_u32_e32 v49, 29, v49
	v_and_b32_e32 v60, 7, v60
	v_cmp_gt_u32_e32 vcc, 8, v40
	v_cndmask_b32_e32 v40, v47, v49, vcc
	v_cndmask_b32_e32 v42, v42, v60, vcc
	v_lshlrev_b32_e32 v47, 24, v38
	v_lshlrev_b32_e32 v42, 20, v42
	v_and_b32_e32 v47, 0x80000000, v47
	v_lshl_add_u32 v40, v40, 23, v45
	v_or3_b32 v49, v47, v40, v42
.LBB669_385:                            ;   in Loop: Header=BB669_213 Depth=1
	s_or_b64 exec, exec, s[16:17]
.LBB669_386:                            ;   in Loop: Header=BB669_213 Depth=1
	s_or_b64 exec, exec, s[14:15]
.LBB669_387:                            ;   in Loop: Header=BB669_213 Depth=1
	s_or_b64 exec, exec, s[12:13]
	v_lshrrev_b16_e32 v40, 8, v38
	v_cmp_ne_u16_e32 vcc, 0, v40
	v_mov_b32_e32 v60, 0
	v_mov_b32_e32 v61, 0
	s_and_saveexec_b64 s[12:13], vcc
	s_cbranch_execz .LBB669_393
; %bb.388:                              ;   in Loop: Header=BB669_213 Depth=1
	v_cmp_ne_u16_e32 vcc, s9, v40
	v_bfrev_b32_e32 v61, 1
	s_and_saveexec_b64 s[14:15], vcc
	s_cbranch_execz .LBB669_392
; %bb.389:                              ;   in Loop: Header=BB669_213 Depth=1
	v_and_b32_e32 v42, 0x7f, v40
	v_cmp_ne_u32_e32 vcc, s19, v42
	v_mov_b32_e32 v61, 0x7f800001
	s_and_saveexec_b64 s[16:17], vcc
	s_cbranch_execz .LBB669_391
; %bb.390:                              ;   in Loop: Header=BB669_213 Depth=1
	v_and_b32_e32 v47, 7, v40
	v_ffbh_u32_e32 v62, v47
	v_min_u32_e32 v64, 32, v62
	v_subrev_u32_e32 v62, 28, v64
	v_lshlrev_b64 v[62:63], v62, v[40:41]
	v_lshrrev_b32_e32 v61, 3, v42
	v_sub_u32_e32 v40, 29, v64
	v_and_b32_e32 v62, 7, v62
	v_cmp_gt_u32_e32 vcc, 8, v42
	v_cndmask_b32_e32 v40, v61, v40, vcc
	v_cndmask_b32_e32 v42, v47, v62, vcc
	v_lshlrev_b32_e32 v47, 16, v38
	v_lshlrev_b32_e32 v42, 20, v42
	v_and_b32_e32 v47, 0x80000000, v47
	v_lshl_add_u32 v40, v40, 23, v45
	v_or3_b32 v61, v47, v40, v42
.LBB669_391:                            ;   in Loop: Header=BB669_213 Depth=1
	s_or_b64 exec, exec, s[16:17]
.LBB669_392:                            ;   in Loop: Header=BB669_213 Depth=1
	s_or_b64 exec, exec, s[14:15]
.LBB669_393:                            ;   in Loop: Header=BB669_213 Depth=1
	s_or_b64 exec, exec, s[12:13]
	v_lshrrev_b32_e32 v40, 16, v38
	v_cmp_ne_u16_sdwa s[14:15], v40, v43 src0_sel:BYTE_0 src1_sel:DWORD
	s_and_saveexec_b64 s[12:13], s[14:15]
	s_cbranch_execz .LBB669_399
; %bb.394:                              ;   in Loop: Header=BB669_213 Depth=1
	v_cmp_ne_u16_sdwa s[16:17], v40, s9 src0_sel:BYTE_0 src1_sel:DWORD
	v_bfrev_b32_e32 v60, 1
	s_and_saveexec_b64 s[14:15], s[16:17]
	s_cbranch_execz .LBB669_398
; %bb.395:                              ;   in Loop: Header=BB669_213 Depth=1
	v_bfe_u32 v42, v38, 16, 7
	v_cmp_ne_u32_e32 vcc, s19, v42
	v_mov_b32_e32 v60, 0x7f800001
	s_and_saveexec_b64 s[16:17], vcc
	s_cbranch_execz .LBB669_397
; %bb.396:                              ;   in Loop: Header=BB669_213 Depth=1
	v_and_b32_e32 v47, 7, v40
	v_ffbh_u32_e32 v62, v47
	v_min_u32_e32 v64, 32, v62
	v_subrev_u32_e32 v62, 28, v64
	v_lshlrev_b64 v[62:63], v62, v[40:41]
	v_lshrrev_b32_e32 v60, 3, v42
	v_sub_u32_e32 v63, 29, v64
	v_and_b32_e32 v62, 7, v62
	v_cmp_gt_u32_e32 vcc, 8, v42
	v_cndmask_b32_e32 v42, v60, v63, vcc
	v_cndmask_b32_e32 v47, v47, v62, vcc
	v_lshlrev_b32_e32 v40, 24, v40
	v_lshlrev_b32_e32 v47, 20, v47
	v_and_b32_e32 v40, 0x80000000, v40
	v_lshl_add_u32 v42, v42, 23, v45
	v_or3_b32 v60, v40, v42, v47
.LBB669_397:                            ;   in Loop: Header=BB669_213 Depth=1
	s_or_b64 exec, exec, s[16:17]
.LBB669_398:                            ;   in Loop: Header=BB669_213 Depth=1
	s_or_b64 exec, exec, s[14:15]
.LBB669_399:                            ;   in Loop: Header=BB669_213 Depth=1
	s_or_b64 exec, exec, s[12:13]
	v_cmp_lt_u32_e32 vcc, s20, v38
	v_mov_b32_e32 v47, 0
	v_mov_b32_e32 v62, 0
	s_and_saveexec_b64 s[12:13], vcc
	s_cbranch_execz .LBB669_405
; %bb.400:                              ;   in Loop: Header=BB669_213 Depth=1
	v_lshrrev_b32_e32 v40, 24, v38
	v_cmp_ne_u32_e32 vcc, s9, v40
	v_bfrev_b32_e32 v62, 1
	s_and_saveexec_b64 s[14:15], vcc
	s_cbranch_execz .LBB669_404
; %bb.401:                              ;   in Loop: Header=BB669_213 Depth=1
	v_bfe_u32 v38, v38, 24, 7
	v_cmp_ne_u32_e32 vcc, s19, v38
	v_mov_b32_e32 v62, 0x7f800001
	s_and_saveexec_b64 s[16:17], vcc
	s_cbranch_execz .LBB669_403
; %bb.402:                              ;   in Loop: Header=BB669_213 Depth=1
	v_and_b32_e32 v42, 7, v40
	v_ffbh_u32_e32 v62, v42
	v_min_u32_e32 v65, 32, v62
	v_subrev_u32_e32 v62, 28, v65
	v_lshlrev_b64 v[62:63], v62, v[40:41]
	v_lshrrev_b32_e32 v64, 3, v38
	v_sub_u32_e32 v63, 29, v65
	v_and_b32_e32 v62, 7, v62
	v_cmp_gt_u32_e32 vcc, 8, v38
	v_cndmask_b32_e32 v38, v64, v63, vcc
	v_cndmask_b32_e32 v42, v42, v62, vcc
	v_lshlrev_b32_e32 v40, 24, v40
	v_lshlrev_b32_e32 v42, 20, v42
	v_and_b32_e32 v40, 0x80000000, v40
	v_lshl_add_u32 v38, v38, 23, v45
	v_or3_b32 v62, v40, v38, v42
.LBB669_403:                            ;   in Loop: Header=BB669_213 Depth=1
	s_or_b64 exec, exec, s[16:17]
.LBB669_404:                            ;   in Loop: Header=BB669_213 Depth=1
	s_or_b64 exec, exec, s[14:15]
.LBB669_405:                            ;   in Loop: Header=BB669_213 Depth=1
	s_or_b64 exec, exec, s[12:13]
	v_cvt_pkrtz_f16_f32 v65, v44, v59
	buffer_load_dword v44, v58, s[0:3], 0 offen
	buffer_load_dword v42, v58, s[0:3], 0 offen offset:4
	buffer_load_dword v40, v58, s[0:3], 0 offen offset:8
	;; [unrolled: 1-line block ×3, first 2 shown]
	v_cvt_pkrtz_f16_f32 v64, v46, v48
	v_cvt_pkrtz_f16_f32 v48, v49, v61
	;; [unrolled: 1-line block ×3, first 2 shown]
	v_mfma_f32_16x16x16f16 v[34:37], v[64:65], v[14:15], v[34:37]
	s_waitcnt vmcnt(3)
	v_cmp_ne_u16_sdwa s[14:15], v44, v43 src0_sel:BYTE_0 src1_sel:DWORD
	v_mfma_f32_16x16x16f16 v[34:37], v[48:49], v[16:17], v[34:37]
	s_and_saveexec_b64 s[12:13], s[14:15]
	s_cbranch_execz .LBB669_411
; %bb.406:                              ;   in Loop: Header=BB669_213 Depth=1
	v_cmp_ne_u16_sdwa s[16:17], v44, s9 src0_sel:BYTE_0 src1_sel:DWORD
	v_bfrev_b32_e32 v47, 1
	s_and_saveexec_b64 s[14:15], s[16:17]
	s_cbranch_execz .LBB669_410
; %bb.407:                              ;   in Loop: Header=BB669_213 Depth=1
	v_and_b32_e32 v46, 0x7f, v44
	v_cmp_ne_u32_e32 vcc, s19, v46
	v_mov_b32_e32 v47, 0x7f800001
	s_and_saveexec_b64 s[16:17], vcc
	s_cbranch_execz .LBB669_409
; %bb.408:                              ;   in Loop: Header=BB669_213 Depth=1
	v_and_b32_e32 v47, 7, v44
	v_ffbh_u32_e32 v48, v47
	v_min_u32_e32 v59, 32, v48
	v_subrev_u32_e32 v48, 28, v59
	v_lshlrev_b64 v[48:49], v48, v[44:45]
	v_lshrrev_b32_e32 v58, 3, v46
	v_sub_u32_e32 v49, 29, v59
	v_and_b32_e32 v48, 7, v48
	v_cmp_gt_u32_e32 vcc, 8, v46
	v_cndmask_b32_e32 v46, v58, v49, vcc
	v_cndmask_b32_e32 v47, v47, v48, vcc
	v_lshlrev_b32_e32 v48, 24, v44
	v_lshlrev_b32_e32 v47, 20, v47
	v_and_b32_e32 v48, 0x80000000, v48
	v_lshl_add_u32 v46, v46, 23, v45
	v_or3_b32 v47, v48, v46, v47
.LBB669_409:                            ;   in Loop: Header=BB669_213 Depth=1
	s_or_b64 exec, exec, s[16:17]
.LBB669_410:                            ;   in Loop: Header=BB669_213 Depth=1
	s_or_b64 exec, exec, s[14:15]
.LBB669_411:                            ;   in Loop: Header=BB669_213 Depth=1
	s_or_b64 exec, exec, s[12:13]
	v_lshrrev_b16_e32 v46, 8, v44
	v_cmp_ne_u16_e32 vcc, 0, v46
	v_mov_b32_e32 v48, 0
	v_mov_b32_e32 v49, 0
	s_and_saveexec_b64 s[12:13], vcc
	s_cbranch_execz .LBB669_417
; %bb.412:                              ;   in Loop: Header=BB669_213 Depth=1
	v_cmp_ne_u16_e32 vcc, s9, v46
	v_bfrev_b32_e32 v49, 1
	s_and_saveexec_b64 s[14:15], vcc
	s_cbranch_execz .LBB669_416
; %bb.413:                              ;   in Loop: Header=BB669_213 Depth=1
	v_and_b32_e32 v58, 0x7f, v46
	v_cmp_ne_u32_e32 vcc, s19, v58
	v_mov_b32_e32 v49, 0x7f800001
	s_and_saveexec_b64 s[16:17], vcc
	s_cbranch_execz .LBB669_415
; %bb.414:                              ;   in Loop: Header=BB669_213 Depth=1
	v_and_b32_e32 v49, 7, v46
	v_ffbh_u32_e32 v60, v49
	v_min_u32_e32 v62, 32, v60
	v_subrev_u32_e32 v60, 28, v62
	v_lshlrev_b64 v[60:61], v60, v[46:47]
	v_lshrrev_b32_e32 v59, 3, v58
	v_sub_u32_e32 v46, 29, v62
	v_and_b32_e32 v60, 7, v60
	v_cmp_gt_u32_e32 vcc, 8, v58
	v_cndmask_b32_e32 v46, v59, v46, vcc
	v_cndmask_b32_e32 v49, v49, v60, vcc
	v_lshlrev_b32_e32 v58, 16, v44
	v_lshlrev_b32_e32 v49, 20, v49
	v_and_b32_e32 v58, 0x80000000, v58
	v_lshl_add_u32 v46, v46, 23, v45
	v_or3_b32 v49, v58, v46, v49
.LBB669_415:                            ;   in Loop: Header=BB669_213 Depth=1
	s_or_b64 exec, exec, s[16:17]
.LBB669_416:                            ;   in Loop: Header=BB669_213 Depth=1
	s_or_b64 exec, exec, s[14:15]
.LBB669_417:                            ;   in Loop: Header=BB669_213 Depth=1
	s_or_b64 exec, exec, s[12:13]
	v_lshrrev_b32_e32 v46, 16, v44
	v_cmp_ne_u16_sdwa s[14:15], v46, v43 src0_sel:BYTE_0 src1_sel:DWORD
	s_and_saveexec_b64 s[12:13], s[14:15]
	s_cbranch_execz .LBB669_423
; %bb.418:                              ;   in Loop: Header=BB669_213 Depth=1
	v_cmp_ne_u16_sdwa s[16:17], v46, s9 src0_sel:BYTE_0 src1_sel:DWORD
	v_bfrev_b32_e32 v48, 1
	s_and_saveexec_b64 s[14:15], s[16:17]
	s_cbranch_execz .LBB669_422
; %bb.419:                              ;   in Loop: Header=BB669_213 Depth=1
	v_bfe_u32 v58, v44, 16, 7
	v_cmp_ne_u32_e32 vcc, s19, v58
	v_mov_b32_e32 v48, 0x7f800001
	s_and_saveexec_b64 s[16:17], vcc
	s_cbranch_execz .LBB669_421
; %bb.420:                              ;   in Loop: Header=BB669_213 Depth=1
	v_and_b32_e32 v48, 7, v46
	v_ffbh_u32_e32 v60, v48
	v_min_u32_e32 v62, 32, v60
	v_subrev_u32_e32 v60, 28, v62
	v_lshlrev_b64 v[60:61], v60, v[46:47]
	v_lshrrev_b32_e32 v59, 3, v58
	v_sub_u32_e32 v61, 29, v62
	v_and_b32_e32 v60, 7, v60
	v_cmp_gt_u32_e32 vcc, 8, v58
	v_cndmask_b32_e32 v58, v59, v61, vcc
	v_cndmask_b32_e32 v48, v48, v60, vcc
	v_lshlrev_b32_e32 v46, 24, v46
	v_lshlrev_b32_e32 v48, 20, v48
	v_and_b32_e32 v46, 0x80000000, v46
	v_lshl_add_u32 v58, v58, 23, v45
	v_or3_b32 v48, v46, v58, v48
.LBB669_421:                            ;   in Loop: Header=BB669_213 Depth=1
	s_or_b64 exec, exec, s[16:17]
.LBB669_422:                            ;   in Loop: Header=BB669_213 Depth=1
	s_or_b64 exec, exec, s[14:15]
.LBB669_423:                            ;   in Loop: Header=BB669_213 Depth=1
	s_or_b64 exec, exec, s[12:13]
	v_cmp_lt_u32_e32 vcc, s20, v44
	v_mov_b32_e32 v58, 0
	v_mov_b32_e32 v59, 0
	s_and_saveexec_b64 s[12:13], vcc
	s_cbranch_execz .LBB669_429
; %bb.424:                              ;   in Loop: Header=BB669_213 Depth=1
	v_lshrrev_b32_e32 v46, 24, v44
	v_cmp_ne_u32_e32 vcc, s9, v46
	v_bfrev_b32_e32 v59, 1
	s_and_saveexec_b64 s[14:15], vcc
	s_cbranch_execz .LBB669_428
; %bb.425:                              ;   in Loop: Header=BB669_213 Depth=1
	v_bfe_u32 v44, v44, 24, 7
	v_cmp_ne_u32_e32 vcc, s19, v44
	v_mov_b32_e32 v59, 0x7f800001
	s_and_saveexec_b64 s[16:17], vcc
	s_cbranch_execz .LBB669_427
; %bb.426:                              ;   in Loop: Header=BB669_213 Depth=1
	v_and_b32_e32 v59, 7, v46
	v_ffbh_u32_e32 v60, v59
	v_min_u32_e32 v63, 32, v60
	v_subrev_u32_e32 v60, 28, v63
	v_lshlrev_b64 v[60:61], v60, v[46:47]
	v_lshrrev_b32_e32 v62, 3, v44
	v_sub_u32_e32 v61, 29, v63
	v_and_b32_e32 v60, 7, v60
	v_cmp_gt_u32_e32 vcc, 8, v44
	v_cndmask_b32_e32 v44, v62, v61, vcc
	v_cndmask_b32_e32 v59, v59, v60, vcc
	v_lshlrev_b32_e32 v46, 24, v46
	v_lshlrev_b32_e32 v59, 20, v59
	v_and_b32_e32 v46, 0x80000000, v46
	v_lshl_add_u32 v44, v44, 23, v45
	v_or3_b32 v59, v46, v44, v59
.LBB669_427:                            ;   in Loop: Header=BB669_213 Depth=1
	s_or_b64 exec, exec, s[16:17]
.LBB669_428:                            ;   in Loop: Header=BB669_213 Depth=1
	s_or_b64 exec, exec, s[14:15]
.LBB669_429:                            ;   in Loop: Header=BB669_213 Depth=1
	s_or_b64 exec, exec, s[12:13]
	s_waitcnt vmcnt(2)
	v_cmp_ne_u16_sdwa s[14:15], v42, v43 src0_sel:BYTE_0 src1_sel:DWORD
	s_and_saveexec_b64 s[12:13], s[14:15]
	s_cbranch_execz .LBB669_435
; %bb.430:                              ;   in Loop: Header=BB669_213 Depth=1
	v_cmp_ne_u16_sdwa s[16:17], v42, s9 src0_sel:BYTE_0 src1_sel:DWORD
	v_bfrev_b32_e32 v58, 1
	s_and_saveexec_b64 s[14:15], s[16:17]
	s_cbranch_execz .LBB669_434
; %bb.431:                              ;   in Loop: Header=BB669_213 Depth=1
	v_and_b32_e32 v44, 0x7f, v42
	v_cmp_ne_u32_e32 vcc, s19, v44
	v_mov_b32_e32 v58, 0x7f800001
	s_and_saveexec_b64 s[16:17], vcc
	s_cbranch_execz .LBB669_433
; %bb.432:                              ;   in Loop: Header=BB669_213 Depth=1
	v_and_b32_e32 v46, 7, v42
	v_ffbh_u32_e32 v60, v46
	v_min_u32_e32 v62, 32, v60
	v_subrev_u32_e32 v60, 28, v62
	v_lshlrev_b64 v[60:61], v60, v[42:43]
	v_lshrrev_b32_e32 v58, 3, v44
	v_sub_u32_e32 v61, 29, v62
	v_and_b32_e32 v60, 7, v60
	v_cmp_gt_u32_e32 vcc, 8, v44
	v_cndmask_b32_e32 v44, v58, v61, vcc
	v_cndmask_b32_e32 v46, v46, v60, vcc
	v_lshlrev_b32_e32 v58, 24, v42
	v_lshlrev_b32_e32 v46, 20, v46
	v_and_b32_e32 v58, 0x80000000, v58
	v_lshl_add_u32 v44, v44, 23, v45
	v_or3_b32 v58, v58, v44, v46
.LBB669_433:                            ;   in Loop: Header=BB669_213 Depth=1
	s_or_b64 exec, exec, s[16:17]
.LBB669_434:                            ;   in Loop: Header=BB669_213 Depth=1
	s_or_b64 exec, exec, s[14:15]
.LBB669_435:                            ;   in Loop: Header=BB669_213 Depth=1
	s_or_b64 exec, exec, s[12:13]
	v_lshrrev_b16_e32 v44, 8, v42
	v_cmp_ne_u16_e32 vcc, 0, v44
	v_mov_b32_e32 v60, 0
	v_mov_b32_e32 v61, 0
	s_and_saveexec_b64 s[12:13], vcc
	s_cbranch_execz .LBB669_441
; %bb.436:                              ;   in Loop: Header=BB669_213 Depth=1
	v_cmp_ne_u16_e32 vcc, s9, v44
	v_bfrev_b32_e32 v61, 1
	s_and_saveexec_b64 s[14:15], vcc
	s_cbranch_execz .LBB669_440
; %bb.437:                              ;   in Loop: Header=BB669_213 Depth=1
	v_and_b32_e32 v46, 0x7f, v44
	v_cmp_ne_u32_e32 vcc, s19, v46
	v_mov_b32_e32 v61, 0x7f800001
	s_and_saveexec_b64 s[16:17], vcc
	s_cbranch_execz .LBB669_439
; %bb.438:                              ;   in Loop: Header=BB669_213 Depth=1
	v_and_b32_e32 v61, 7, v44
	v_ffbh_u32_e32 v62, v61
	v_min_u32_e32 v65, 32, v62
	v_subrev_u32_e32 v62, 28, v65
	v_lshlrev_b64 v[62:63], v62, v[44:45]
	v_lshrrev_b32_e32 v64, 3, v46
	v_sub_u32_e32 v44, 29, v65
	v_and_b32_e32 v62, 7, v62
	v_cmp_gt_u32_e32 vcc, 8, v46
	v_cndmask_b32_e32 v44, v64, v44, vcc
	v_cndmask_b32_e32 v46, v61, v62, vcc
	v_lshlrev_b32_e32 v61, 16, v42
	v_lshlrev_b32_e32 v46, 20, v46
	v_and_b32_e32 v61, 0x80000000, v61
	v_lshl_add_u32 v44, v44, 23, v45
	v_or3_b32 v61, v61, v44, v46
.LBB669_439:                            ;   in Loop: Header=BB669_213 Depth=1
	s_or_b64 exec, exec, s[16:17]
.LBB669_440:                            ;   in Loop: Header=BB669_213 Depth=1
	s_or_b64 exec, exec, s[14:15]
.LBB669_441:                            ;   in Loop: Header=BB669_213 Depth=1
	s_or_b64 exec, exec, s[12:13]
	v_lshrrev_b32_e32 v44, 16, v42
	v_cmp_ne_u16_sdwa s[14:15], v44, v43 src0_sel:BYTE_0 src1_sel:DWORD
	s_and_saveexec_b64 s[12:13], s[14:15]
	s_cbranch_execz .LBB669_447
; %bb.442:                              ;   in Loop: Header=BB669_213 Depth=1
	v_cmp_ne_u16_sdwa s[16:17], v44, s9 src0_sel:BYTE_0 src1_sel:DWORD
	v_bfrev_b32_e32 v60, 1
	s_and_saveexec_b64 s[14:15], s[16:17]
	s_cbranch_execz .LBB669_446
; %bb.443:                              ;   in Loop: Header=BB669_213 Depth=1
	v_bfe_u32 v46, v42, 16, 7
	v_cmp_ne_u32_e32 vcc, s19, v46
	v_mov_b32_e32 v60, 0x7f800001
	s_and_saveexec_b64 s[16:17], vcc
	s_cbranch_execz .LBB669_445
; %bb.444:                              ;   in Loop: Header=BB669_213 Depth=1
	v_and_b32_e32 v60, 7, v44
	v_ffbh_u32_e32 v62, v60
	v_min_u32_e32 v65, 32, v62
	v_subrev_u32_e32 v62, 28, v65
	v_lshlrev_b64 v[62:63], v62, v[44:45]
	v_lshrrev_b32_e32 v64, 3, v46
	v_sub_u32_e32 v63, 29, v65
	v_and_b32_e32 v62, 7, v62
	v_cmp_gt_u32_e32 vcc, 8, v46
	v_cndmask_b32_e32 v46, v64, v63, vcc
	v_cndmask_b32_e32 v60, v60, v62, vcc
	v_lshlrev_b32_e32 v44, 24, v44
	v_lshlrev_b32_e32 v60, 20, v60
	v_and_b32_e32 v44, 0x80000000, v44
	v_lshl_add_u32 v46, v46, 23, v45
	v_or3_b32 v60, v44, v46, v60
.LBB669_445:                            ;   in Loop: Header=BB669_213 Depth=1
	s_or_b64 exec, exec, s[16:17]
.LBB669_446:                            ;   in Loop: Header=BB669_213 Depth=1
	s_or_b64 exec, exec, s[14:15]
.LBB669_447:                            ;   in Loop: Header=BB669_213 Depth=1
	s_or_b64 exec, exec, s[12:13]
	v_cmp_lt_u32_e32 vcc, s20, v42
	v_mov_b32_e32 v46, 0
	v_mov_b32_e32 v62, 0
	s_and_saveexec_b64 s[12:13], vcc
	s_cbranch_execz .LBB669_453
; %bb.448:                              ;   in Loop: Header=BB669_213 Depth=1
	v_lshrrev_b32_e32 v44, 24, v42
	v_cmp_ne_u32_e32 vcc, s9, v44
	v_bfrev_b32_e32 v62, 1
	s_and_saveexec_b64 s[14:15], vcc
	s_cbranch_execz .LBB669_452
; %bb.449:                              ;   in Loop: Header=BB669_213 Depth=1
	v_bfe_u32 v42, v42, 24, 7
	v_cmp_ne_u32_e32 vcc, s19, v42
	v_mov_b32_e32 v62, 0x7f800001
	s_and_saveexec_b64 s[16:17], vcc
	s_cbranch_execz .LBB669_451
; %bb.450:                              ;   in Loop: Header=BB669_213 Depth=1
	v_and_b32_e32 v64, 7, v44
	v_ffbh_u32_e32 v62, v64
	v_min_u32_e32 v66, 32, v62
	v_subrev_u32_e32 v62, 28, v66
	v_lshlrev_b64 v[62:63], v62, v[44:45]
	v_lshrrev_b32_e32 v65, 3, v42
	v_sub_u32_e32 v63, 29, v66
	v_and_b32_e32 v62, 7, v62
	v_cmp_gt_u32_e32 vcc, 8, v42
	v_cndmask_b32_e32 v42, v65, v63, vcc
	v_cndmask_b32_e32 v62, v64, v62, vcc
	v_lshlrev_b32_e32 v44, 24, v44
	v_lshlrev_b32_e32 v62, 20, v62
	v_and_b32_e32 v44, 0x80000000, v44
	v_lshl_add_u32 v42, v42, 23, v45
	v_or3_b32 v62, v44, v42, v62
.LBB669_451:                            ;   in Loop: Header=BB669_213 Depth=1
	s_or_b64 exec, exec, s[16:17]
.LBB669_452:                            ;   in Loop: Header=BB669_213 Depth=1
	s_or_b64 exec, exec, s[14:15]
.LBB669_453:                            ;   in Loop: Header=BB669_213 Depth=1
	s_or_b64 exec, exec, s[12:13]
	v_cvt_pkrtz_f16_f32 v64, v47, v49
	v_cvt_pkrtz_f16_f32 v65, v48, v59
	;; [unrolled: 1-line block ×4, first 2 shown]
	s_waitcnt vmcnt(1)
	v_cmp_ne_u16_sdwa s[14:15], v40, v43 src0_sel:BYTE_0 src1_sel:DWORD
	v_mfma_f32_16x16x16f16 v[34:37], v[64:65], v[18:19], v[34:37]
	v_mfma_f32_16x16x16f16 v[34:37], v[48:49], v[20:21], v[34:37]
	s_and_saveexec_b64 s[12:13], s[14:15]
	s_cbranch_execz .LBB669_459
; %bb.454:                              ;   in Loop: Header=BB669_213 Depth=1
	v_cmp_ne_u16_sdwa s[16:17], v40, s9 src0_sel:BYTE_0 src1_sel:DWORD
	v_bfrev_b32_e32 v46, 1
	s_and_saveexec_b64 s[14:15], s[16:17]
	s_cbranch_execz .LBB669_458
; %bb.455:                              ;   in Loop: Header=BB669_213 Depth=1
	v_and_b32_e32 v42, 0x7f, v40
	v_cmp_ne_u32_e32 vcc, s19, v42
	v_mov_b32_e32 v46, 0x7f800001
	s_and_saveexec_b64 s[16:17], vcc
	s_cbranch_execz .LBB669_457
; %bb.456:                              ;   in Loop: Header=BB669_213 Depth=1
	v_and_b32_e32 v44, 7, v40
	v_ffbh_u32_e32 v46, v44
	v_min_u32_e32 v49, 32, v46
	v_subrev_u32_e32 v46, 28, v49
	v_lshlrev_b64 v[46:47], v46, v[40:41]
	v_lshrrev_b32_e32 v48, 3, v42
	v_sub_u32_e32 v47, 29, v49
	v_and_b32_e32 v46, 7, v46
	v_cmp_gt_u32_e32 vcc, 8, v42
	v_cndmask_b32_e32 v42, v48, v47, vcc
	v_cndmask_b32_e32 v44, v44, v46, vcc
	v_lshlrev_b32_e32 v46, 24, v40
	v_lshlrev_b32_e32 v44, 20, v44
	v_and_b32_e32 v46, 0x80000000, v46
	v_lshl_add_u32 v42, v42, 23, v45
	v_or3_b32 v46, v46, v42, v44
.LBB669_457:                            ;   in Loop: Header=BB669_213 Depth=1
	s_or_b64 exec, exec, s[16:17]
.LBB669_458:                            ;   in Loop: Header=BB669_213 Depth=1
	s_or_b64 exec, exec, s[14:15]
.LBB669_459:                            ;   in Loop: Header=BB669_213 Depth=1
	s_or_b64 exec, exec, s[12:13]
	v_lshrrev_b16_e32 v42, 8, v40
	v_cmp_ne_u16_e32 vcc, 0, v42
	v_mov_b32_e32 v44, 0
	v_mov_b32_e32 v48, 0
	s_and_saveexec_b64 s[12:13], vcc
	s_cbranch_execz .LBB669_465
; %bb.460:                              ;   in Loop: Header=BB669_213 Depth=1
	v_cmp_ne_u16_e32 vcc, s9, v42
	v_bfrev_b32_e32 v48, 1
	s_and_saveexec_b64 s[14:15], vcc
	s_cbranch_execz .LBB669_464
; %bb.461:                              ;   in Loop: Header=BB669_213 Depth=1
	v_and_b32_e32 v47, 0x7f, v42
	v_cmp_ne_u32_e32 vcc, s19, v47
	v_mov_b32_e32 v48, 0x7f800001
	s_and_saveexec_b64 s[16:17], vcc
	s_cbranch_execz .LBB669_463
; %bb.462:                              ;   in Loop: Header=BB669_213 Depth=1
	v_and_b32_e32 v58, 7, v42
	v_ffbh_u32_e32 v48, v58
	v_min_u32_e32 v60, 32, v48
	v_subrev_u32_e32 v48, 28, v60
	v_lshlrev_b64 v[48:49], v48, v[42:43]
	v_lshrrev_b32_e32 v59, 3, v47
	v_sub_u32_e32 v42, 29, v60
	v_and_b32_e32 v48, 7, v48
	v_cmp_gt_u32_e32 vcc, 8, v47
	v_cndmask_b32_e32 v42, v59, v42, vcc
	v_cndmask_b32_e32 v47, v58, v48, vcc
	v_lshlrev_b32_e32 v48, 16, v40
	v_lshlrev_b32_e32 v47, 20, v47
	v_and_b32_e32 v48, 0x80000000, v48
	v_lshl_add_u32 v42, v42, 23, v45
	v_or3_b32 v48, v48, v42, v47
.LBB669_463:                            ;   in Loop: Header=BB669_213 Depth=1
	s_or_b64 exec, exec, s[16:17]
.LBB669_464:                            ;   in Loop: Header=BB669_213 Depth=1
	s_or_b64 exec, exec, s[14:15]
.LBB669_465:                            ;   in Loop: Header=BB669_213 Depth=1
	s_or_b64 exec, exec, s[12:13]
	v_lshrrev_b32_e32 v42, 16, v40
	v_cmp_ne_u16_sdwa s[14:15], v42, v43 src0_sel:BYTE_0 src1_sel:DWORD
	s_and_saveexec_b64 s[12:13], s[14:15]
	s_cbranch_execz .LBB669_471
; %bb.466:                              ;   in Loop: Header=BB669_213 Depth=1
	v_cmp_ne_u16_sdwa s[16:17], v42, s9 src0_sel:BYTE_0 src1_sel:DWORD
	v_bfrev_b32_e32 v44, 1
	s_and_saveexec_b64 s[14:15], s[16:17]
	s_cbranch_execz .LBB669_470
; %bb.467:                              ;   in Loop: Header=BB669_213 Depth=1
	v_bfe_u32 v47, v40, 16, 7
	v_cmp_ne_u32_e32 vcc, s19, v47
	v_mov_b32_e32 v44, 0x7f800001
	s_and_saveexec_b64 s[16:17], vcc
	s_cbranch_execz .LBB669_469
; %bb.468:                              ;   in Loop: Header=BB669_213 Depth=1
	v_and_b32_e32 v44, 7, v42
	v_ffbh_u32_e32 v58, v44
	v_min_u32_e32 v60, 32, v58
	v_subrev_u32_e32 v58, 28, v60
	v_lshlrev_b64 v[58:59], v58, v[42:43]
	v_lshrrev_b32_e32 v49, 3, v47
	v_sub_u32_e32 v59, 29, v60
	v_and_b32_e32 v58, 7, v58
	v_cmp_gt_u32_e32 vcc, 8, v47
	v_cndmask_b32_e32 v47, v49, v59, vcc
	v_cndmask_b32_e32 v44, v44, v58, vcc
	v_lshlrev_b32_e32 v42, 24, v42
	v_lshlrev_b32_e32 v44, 20, v44
	v_and_b32_e32 v42, 0x80000000, v42
	v_lshl_add_u32 v47, v47, 23, v45
	v_or3_b32 v44, v42, v47, v44
.LBB669_469:                            ;   in Loop: Header=BB669_213 Depth=1
	s_or_b64 exec, exec, s[16:17]
.LBB669_470:                            ;   in Loop: Header=BB669_213 Depth=1
	s_or_b64 exec, exec, s[14:15]
.LBB669_471:                            ;   in Loop: Header=BB669_213 Depth=1
	s_or_b64 exec, exec, s[12:13]
	v_cmp_lt_u32_e32 vcc, s20, v40
	v_mov_b32_e32 v49, 0
	v_mov_b32_e32 v58, 0
	s_and_saveexec_b64 s[12:13], vcc
	s_cbranch_execz .LBB669_477
; %bb.472:                              ;   in Loop: Header=BB669_213 Depth=1
	v_lshrrev_b32_e32 v42, 24, v40
	v_cmp_ne_u32_e32 vcc, s9, v42
	v_bfrev_b32_e32 v58, 1
	s_and_saveexec_b64 s[14:15], vcc
	s_cbranch_execz .LBB669_476
; %bb.473:                              ;   in Loop: Header=BB669_213 Depth=1
	v_bfe_u32 v40, v40, 24, 7
	v_cmp_ne_u32_e32 vcc, s19, v40
	v_mov_b32_e32 v58, 0x7f800001
	s_and_saveexec_b64 s[16:17], vcc
	s_cbranch_execz .LBB669_475
; %bb.474:                              ;   in Loop: Header=BB669_213 Depth=1
	v_and_b32_e32 v47, 7, v42
	v_ffbh_u32_e32 v58, v47
	v_min_u32_e32 v61, 32, v58
	v_subrev_u32_e32 v58, 28, v61
	v_lshlrev_b64 v[58:59], v58, v[42:43]
	v_lshrrev_b32_e32 v60, 3, v40
	v_sub_u32_e32 v59, 29, v61
	v_and_b32_e32 v58, 7, v58
	v_cmp_gt_u32_e32 vcc, 8, v40
	v_cndmask_b32_e32 v40, v60, v59, vcc
	v_cndmask_b32_e32 v47, v47, v58, vcc
	v_lshlrev_b32_e32 v42, 24, v42
	v_lshlrev_b32_e32 v47, 20, v47
	v_and_b32_e32 v42, 0x80000000, v42
	v_lshl_add_u32 v40, v40, 23, v45
	v_or3_b32 v58, v42, v40, v47
.LBB669_475:                            ;   in Loop: Header=BB669_213 Depth=1
	s_or_b64 exec, exec, s[16:17]
.LBB669_476:                            ;   in Loop: Header=BB669_213 Depth=1
	s_or_b64 exec, exec, s[14:15]
.LBB669_477:                            ;   in Loop: Header=BB669_213 Depth=1
	s_or_b64 exec, exec, s[12:13]
	s_waitcnt vmcnt(0)
	v_cmp_ne_u16_sdwa s[14:15], v38, v43 src0_sel:BYTE_0 src1_sel:DWORD
	s_and_saveexec_b64 s[12:13], s[14:15]
	s_cbranch_execz .LBB669_483
; %bb.478:                              ;   in Loop: Header=BB669_213 Depth=1
	v_cmp_ne_u16_sdwa s[16:17], v38, s9 src0_sel:BYTE_0 src1_sel:DWORD
	v_bfrev_b32_e32 v49, 1
	s_and_saveexec_b64 s[14:15], s[16:17]
	s_cbranch_execz .LBB669_482
; %bb.479:                              ;   in Loop: Header=BB669_213 Depth=1
	v_and_b32_e32 v40, 0x7f, v38
	v_cmp_ne_u32_e32 vcc, s19, v40
	v_mov_b32_e32 v49, 0x7f800001
	s_and_saveexec_b64 s[16:17], vcc
	s_cbranch_execz .LBB669_481
; %bb.480:                              ;   in Loop: Header=BB669_213 Depth=1
	v_and_b32_e32 v42, 7, v38
	v_ffbh_u32_e32 v49, v42
	v_min_u32_e32 v49, 32, v49
	v_subrev_u32_e32 v59, 28, v49
	v_lshlrev_b64 v[60:61], v59, v[38:39]
	v_lshrrev_b32_e32 v47, 3, v40
	v_sub_u32_e32 v49, 29, v49
	v_and_b32_e32 v59, 7, v60
	v_cmp_gt_u32_e32 vcc, 8, v40
	v_cndmask_b32_e32 v40, v47, v49, vcc
	v_cndmask_b32_e32 v42, v42, v59, vcc
	v_lshlrev_b32_e32 v47, 24, v38
	v_lshlrev_b32_e32 v42, 20, v42
	v_and_b32_e32 v47, 0x80000000, v47
	v_lshl_add_u32 v40, v40, 23, v45
	v_or3_b32 v49, v47, v40, v42
.LBB669_481:                            ;   in Loop: Header=BB669_213 Depth=1
	s_or_b64 exec, exec, s[16:17]
.LBB669_482:                            ;   in Loop: Header=BB669_213 Depth=1
	s_or_b64 exec, exec, s[14:15]
.LBB669_483:                            ;   in Loop: Header=BB669_213 Depth=1
	s_or_b64 exec, exec, s[12:13]
	v_lshrrev_b16_e32 v40, 8, v38
	v_cmp_ne_u16_e32 vcc, 0, v40
	v_mov_b32_e32 v59, 0
	v_mov_b32_e32 v60, 0
	s_and_saveexec_b64 s[12:13], vcc
	s_cbranch_execz .LBB669_489
; %bb.484:                              ;   in Loop: Header=BB669_213 Depth=1
	v_cmp_ne_u16_e32 vcc, s9, v40
	v_bfrev_b32_e32 v60, 1
	s_and_saveexec_b64 s[14:15], vcc
	s_cbranch_execz .LBB669_488
; %bb.485:                              ;   in Loop: Header=BB669_213 Depth=1
	v_and_b32_e32 v42, 0x7f, v40
	v_cmp_ne_u32_e32 vcc, s19, v42
	v_mov_b32_e32 v60, 0x7f800001
	s_and_saveexec_b64 s[16:17], vcc
	s_cbranch_execz .LBB669_487
; %bb.486:                              ;   in Loop: Header=BB669_213 Depth=1
	v_and_b32_e32 v47, 7, v40
	v_ffbh_u32_e32 v60, v47
	v_min_u32_e32 v63, 32, v60
	v_subrev_u32_e32 v60, 28, v63
	v_lshlrev_b64 v[60:61], v60, v[40:41]
	v_lshrrev_b32_e32 v62, 3, v42
	v_sub_u32_e32 v40, 29, v63
	v_and_b32_e32 v60, 7, v60
	v_cmp_gt_u32_e32 vcc, 8, v42
	v_cndmask_b32_e32 v40, v62, v40, vcc
	v_cndmask_b32_e32 v42, v47, v60, vcc
	v_lshlrev_b32_e32 v47, 16, v38
	v_lshlrev_b32_e32 v42, 20, v42
	v_and_b32_e32 v47, 0x80000000, v47
	v_lshl_add_u32 v40, v40, 23, v45
	v_or3_b32 v60, v47, v40, v42
.LBB669_487:                            ;   in Loop: Header=BB669_213 Depth=1
	s_or_b64 exec, exec, s[16:17]
.LBB669_488:                            ;   in Loop: Header=BB669_213 Depth=1
	s_or_b64 exec, exec, s[14:15]
.LBB669_489:                            ;   in Loop: Header=BB669_213 Depth=1
	s_or_b64 exec, exec, s[12:13]
	v_lshrrev_b32_e32 v40, 16, v38
	v_cmp_ne_u16_sdwa s[14:15], v40, v43 src0_sel:BYTE_0 src1_sel:DWORD
	s_and_saveexec_b64 s[12:13], s[14:15]
	s_cbranch_execz .LBB669_495
; %bb.490:                              ;   in Loop: Header=BB669_213 Depth=1
	v_cmp_ne_u16_sdwa s[16:17], v40, s9 src0_sel:BYTE_0 src1_sel:DWORD
	v_bfrev_b32_e32 v59, 1
	s_and_saveexec_b64 s[14:15], s[16:17]
	s_cbranch_execz .LBB669_494
; %bb.491:                              ;   in Loop: Header=BB669_213 Depth=1
	v_bfe_u32 v42, v38, 16, 7
	v_cmp_ne_u32_e32 vcc, s19, v42
	v_mov_b32_e32 v59, 0x7f800001
	s_and_saveexec_b64 s[16:17], vcc
	s_cbranch_execz .LBB669_493
; %bb.492:                              ;   in Loop: Header=BB669_213 Depth=1
	v_and_b32_e32 v47, 7, v40
	v_ffbh_u32_e32 v61, v47
	v_min_u32_e32 v61, 32, v61
	v_subrev_u32_e32 v62, 28, v61
	v_lshlrev_b64 v[62:63], v62, v[40:41]
	v_lshrrev_b32_e32 v59, 3, v42
	v_sub_u32_e32 v61, 29, v61
	v_and_b32_e32 v62, 7, v62
	v_cmp_gt_u32_e32 vcc, 8, v42
	v_cndmask_b32_e32 v42, v59, v61, vcc
	v_cndmask_b32_e32 v47, v47, v62, vcc
	v_lshlrev_b32_e32 v40, 24, v40
	v_lshlrev_b32_e32 v47, 20, v47
	v_and_b32_e32 v40, 0x80000000, v40
	v_lshl_add_u32 v42, v42, 23, v45
	v_or3_b32 v59, v40, v42, v47
.LBB669_493:                            ;   in Loop: Header=BB669_213 Depth=1
	s_or_b64 exec, exec, s[16:17]
.LBB669_494:                            ;   in Loop: Header=BB669_213 Depth=1
	s_or_b64 exec, exec, s[14:15]
.LBB669_495:                            ;   in Loop: Header=BB669_213 Depth=1
	s_or_b64 exec, exec, s[12:13]
	v_cmp_lt_u32_e32 vcc, s20, v38
	v_mov_b32_e32 v47, 0
	v_mov_b32_e32 v61, 0
	s_and_saveexec_b64 s[12:13], vcc
	s_cbranch_execz .LBB669_501
; %bb.496:                              ;   in Loop: Header=BB669_213 Depth=1
	v_lshrrev_b32_e32 v40, 24, v38
	v_cmp_ne_u32_e32 vcc, s9, v40
	v_bfrev_b32_e32 v61, 1
	s_and_saveexec_b64 s[14:15], vcc
	s_cbranch_execz .LBB669_500
; %bb.497:                              ;   in Loop: Header=BB669_213 Depth=1
	v_bfe_u32 v38, v38, 24, 7
	v_cmp_ne_u32_e32 vcc, s19, v38
	v_mov_b32_e32 v61, 0x7f800001
	s_and_saveexec_b64 s[16:17], vcc
	s_cbranch_execz .LBB669_499
; %bb.498:                              ;   in Loop: Header=BB669_213 Depth=1
	v_and_b32_e32 v42, 7, v40
	v_ffbh_u32_e32 v62, v42
	v_min_u32_e32 v64, 32, v62
	v_subrev_u32_e32 v62, 28, v64
	v_lshlrev_b64 v[62:63], v62, v[40:41]
	v_lshrrev_b32_e32 v61, 3, v38
	v_sub_u32_e32 v63, 29, v64
	v_and_b32_e32 v62, 7, v62
	v_cmp_gt_u32_e32 vcc, 8, v38
	v_cndmask_b32_e32 v38, v61, v63, vcc
	v_cndmask_b32_e32 v42, v42, v62, vcc
	v_lshlrev_b32_e32 v40, 24, v40
	v_lshlrev_b32_e32 v42, 20, v42
	v_and_b32_e32 v40, 0x80000000, v40
	v_lshl_add_u32 v38, v38, 23, v45
	v_or3_b32 v61, v40, v38, v42
.LBB669_499:                            ;   in Loop: Header=BB669_213 Depth=1
	s_or_b64 exec, exec, s[16:17]
.LBB669_500:                            ;   in Loop: Header=BB669_213 Depth=1
	s_or_b64 exec, exec, s[14:15]
.LBB669_501:                            ;   in Loop: Header=BB669_213 Depth=1
	s_or_b64 exec, exec, s[12:13]
	v_cvt_pkrtz_f16_f32 v63, v44, v58
	buffer_load_dword v44, v57, s[0:3], 0 offen
	buffer_load_dword v42, v57, s[0:3], 0 offen offset:4
	buffer_load_dword v40, v57, s[0:3], 0 offen offset:8
	;; [unrolled: 1-line block ×3, first 2 shown]
	v_cvt_pkrtz_f16_f32 v62, v46, v48
	v_cvt_pkrtz_f16_f32 v48, v49, v60
	;; [unrolled: 1-line block ×3, first 2 shown]
	v_mfma_f32_16x16x16f16 v[34:37], v[62:63], v[22:23], v[34:37]
	s_waitcnt vmcnt(3)
	v_cmp_ne_u16_sdwa s[14:15], v44, v43 src0_sel:BYTE_0 src1_sel:DWORD
	v_mfma_f32_16x16x16f16 v[34:37], v[48:49], v[24:25], v[34:37]
	s_and_saveexec_b64 s[12:13], s[14:15]
	s_cbranch_execz .LBB669_507
; %bb.502:                              ;   in Loop: Header=BB669_213 Depth=1
	v_cmp_ne_u16_sdwa s[16:17], v44, s9 src0_sel:BYTE_0 src1_sel:DWORD
	v_bfrev_b32_e32 v47, 1
	s_and_saveexec_b64 s[14:15], s[16:17]
	s_cbranch_execz .LBB669_506
; %bb.503:                              ;   in Loop: Header=BB669_213 Depth=1
	v_and_b32_e32 v46, 0x7f, v44
	v_cmp_ne_u32_e32 vcc, s19, v46
	v_mov_b32_e32 v47, 0x7f800001
	s_and_saveexec_b64 s[16:17], vcc
	s_cbranch_execz .LBB669_505
; %bb.504:                              ;   in Loop: Header=BB669_213 Depth=1
	v_and_b32_e32 v47, 7, v44
	v_ffbh_u32_e32 v48, v47
	v_min_u32_e32 v58, 32, v48
	v_subrev_u32_e32 v48, 28, v58
	v_lshlrev_b64 v[48:49], v48, v[44:45]
	v_lshrrev_b32_e32 v57, 3, v46
	v_sub_u32_e32 v49, 29, v58
	v_and_b32_e32 v48, 7, v48
	v_cmp_gt_u32_e32 vcc, 8, v46
	v_cndmask_b32_e32 v46, v57, v49, vcc
	v_cndmask_b32_e32 v47, v47, v48, vcc
	v_lshlrev_b32_e32 v48, 24, v44
	v_lshlrev_b32_e32 v47, 20, v47
	v_and_b32_e32 v48, 0x80000000, v48
	v_lshl_add_u32 v46, v46, 23, v45
	v_or3_b32 v47, v48, v46, v47
.LBB669_505:                            ;   in Loop: Header=BB669_213 Depth=1
	s_or_b64 exec, exec, s[16:17]
.LBB669_506:                            ;   in Loop: Header=BB669_213 Depth=1
	s_or_b64 exec, exec, s[14:15]
.LBB669_507:                            ;   in Loop: Header=BB669_213 Depth=1
	s_or_b64 exec, exec, s[12:13]
	v_lshrrev_b16_e32 v46, 8, v44
	v_cmp_ne_u16_e32 vcc, 0, v46
	v_mov_b32_e32 v48, 0
	v_mov_b32_e32 v49, 0
	s_and_saveexec_b64 s[12:13], vcc
	s_cbranch_execz .LBB669_513
; %bb.508:                              ;   in Loop: Header=BB669_213 Depth=1
	v_cmp_ne_u16_e32 vcc, s9, v46
	v_bfrev_b32_e32 v49, 1
	s_and_saveexec_b64 s[14:15], vcc
	s_cbranch_execz .LBB669_512
; %bb.509:                              ;   in Loop: Header=BB669_213 Depth=1
	v_and_b32_e32 v57, 0x7f, v46
	v_cmp_ne_u32_e32 vcc, s19, v57
	v_mov_b32_e32 v49, 0x7f800001
	s_and_saveexec_b64 s[16:17], vcc
	s_cbranch_execz .LBB669_511
; %bb.510:                              ;   in Loop: Header=BB669_213 Depth=1
	v_and_b32_e32 v49, 7, v46
	v_ffbh_u32_e32 v58, v49
	v_min_u32_e32 v61, 32, v58
	v_subrev_u32_e32 v58, 28, v61
	v_lshlrev_b64 v[58:59], v58, v[46:47]
	v_lshrrev_b32_e32 v60, 3, v57
	v_sub_u32_e32 v46, 29, v61
	v_and_b32_e32 v58, 7, v58
	v_cmp_gt_u32_e32 vcc, 8, v57
	v_cndmask_b32_e32 v46, v60, v46, vcc
	v_cndmask_b32_e32 v49, v49, v58, vcc
	v_lshlrev_b32_e32 v57, 16, v44
	v_lshlrev_b32_e32 v49, 20, v49
	v_and_b32_e32 v57, 0x80000000, v57
	v_lshl_add_u32 v46, v46, 23, v45
	v_or3_b32 v49, v57, v46, v49
.LBB669_511:                            ;   in Loop: Header=BB669_213 Depth=1
	s_or_b64 exec, exec, s[16:17]
.LBB669_512:                            ;   in Loop: Header=BB669_213 Depth=1
	s_or_b64 exec, exec, s[14:15]
.LBB669_513:                            ;   in Loop: Header=BB669_213 Depth=1
	s_or_b64 exec, exec, s[12:13]
	v_lshrrev_b32_e32 v46, 16, v44
	v_cmp_ne_u16_sdwa s[14:15], v46, v43 src0_sel:BYTE_0 src1_sel:DWORD
	s_and_saveexec_b64 s[12:13], s[14:15]
	s_cbranch_execz .LBB669_519
; %bb.514:                              ;   in Loop: Header=BB669_213 Depth=1
	v_cmp_ne_u16_sdwa s[16:17], v46, s9 src0_sel:BYTE_0 src1_sel:DWORD
	v_bfrev_b32_e32 v48, 1
	s_and_saveexec_b64 s[14:15], s[16:17]
	s_cbranch_execz .LBB669_518
; %bb.515:                              ;   in Loop: Header=BB669_213 Depth=1
	v_bfe_u32 v57, v44, 16, 7
	v_cmp_ne_u32_e32 vcc, s19, v57
	v_mov_b32_e32 v48, 0x7f800001
	s_and_saveexec_b64 s[16:17], vcc
	s_cbranch_execz .LBB669_517
; %bb.516:                              ;   in Loop: Header=BB669_213 Depth=1
	v_and_b32_e32 v48, 7, v46
	v_ffbh_u32_e32 v58, v48
	v_min_u32_e32 v61, 32, v58
	v_subrev_u32_e32 v58, 28, v61
	v_lshlrev_b64 v[58:59], v58, v[46:47]
	v_lshrrev_b32_e32 v60, 3, v57
	v_sub_u32_e32 v59, 29, v61
	v_and_b32_e32 v58, 7, v58
	v_cmp_gt_u32_e32 vcc, 8, v57
	v_cndmask_b32_e32 v57, v60, v59, vcc
	v_cndmask_b32_e32 v48, v48, v58, vcc
	v_lshlrev_b32_e32 v46, 24, v46
	v_lshlrev_b32_e32 v48, 20, v48
	v_and_b32_e32 v46, 0x80000000, v46
	v_lshl_add_u32 v57, v57, 23, v45
	v_or3_b32 v48, v46, v57, v48
.LBB669_517:                            ;   in Loop: Header=BB669_213 Depth=1
	s_or_b64 exec, exec, s[16:17]
.LBB669_518:                            ;   in Loop: Header=BB669_213 Depth=1
	s_or_b64 exec, exec, s[14:15]
.LBB669_519:                            ;   in Loop: Header=BB669_213 Depth=1
	s_or_b64 exec, exec, s[12:13]
	v_cmp_lt_u32_e32 vcc, s20, v44
	v_mov_b32_e32 v57, 0
	v_mov_b32_e32 v58, 0
	s_and_saveexec_b64 s[12:13], vcc
	s_cbranch_execz .LBB669_525
; %bb.520:                              ;   in Loop: Header=BB669_213 Depth=1
	v_lshrrev_b32_e32 v46, 24, v44
	v_cmp_ne_u32_e32 vcc, s9, v46
	v_bfrev_b32_e32 v58, 1
	s_and_saveexec_b64 s[14:15], vcc
	s_cbranch_execz .LBB669_524
; %bb.521:                              ;   in Loop: Header=BB669_213 Depth=1
	v_bfe_u32 v44, v44, 24, 7
	v_cmp_ne_u32_e32 vcc, s19, v44
	v_mov_b32_e32 v58, 0x7f800001
	s_and_saveexec_b64 s[16:17], vcc
	s_cbranch_execz .LBB669_523
; %bb.522:                              ;   in Loop: Header=BB669_213 Depth=1
	v_and_b32_e32 v60, 7, v46
	v_ffbh_u32_e32 v58, v60
	v_min_u32_e32 v62, 32, v58
	v_subrev_u32_e32 v58, 28, v62
	v_lshlrev_b64 v[58:59], v58, v[46:47]
	v_lshrrev_b32_e32 v61, 3, v44
	v_sub_u32_e32 v59, 29, v62
	v_and_b32_e32 v58, 7, v58
	v_cmp_gt_u32_e32 vcc, 8, v44
	v_cndmask_b32_e32 v44, v61, v59, vcc
	v_cndmask_b32_e32 v58, v60, v58, vcc
	v_lshlrev_b32_e32 v46, 24, v46
	v_lshlrev_b32_e32 v58, 20, v58
	v_and_b32_e32 v46, 0x80000000, v46
	v_lshl_add_u32 v44, v44, 23, v45
	v_or3_b32 v58, v46, v44, v58
.LBB669_523:                            ;   in Loop: Header=BB669_213 Depth=1
	s_or_b64 exec, exec, s[16:17]
.LBB669_524:                            ;   in Loop: Header=BB669_213 Depth=1
	s_or_b64 exec, exec, s[14:15]
.LBB669_525:                            ;   in Loop: Header=BB669_213 Depth=1
	s_or_b64 exec, exec, s[12:13]
	s_waitcnt vmcnt(2)
	v_cmp_ne_u16_sdwa s[14:15], v42, v43 src0_sel:BYTE_0 src1_sel:DWORD
	s_and_saveexec_b64 s[12:13], s[14:15]
	s_cbranch_execz .LBB669_531
; %bb.526:                              ;   in Loop: Header=BB669_213 Depth=1
	v_cmp_ne_u16_sdwa s[16:17], v42, s9 src0_sel:BYTE_0 src1_sel:DWORD
	v_bfrev_b32_e32 v57, 1
	s_and_saveexec_b64 s[14:15], s[16:17]
	s_cbranch_execz .LBB669_530
; %bb.527:                              ;   in Loop: Header=BB669_213 Depth=1
	v_and_b32_e32 v44, 0x7f, v42
	v_cmp_ne_u32_e32 vcc, s19, v44
	v_mov_b32_e32 v57, 0x7f800001
	s_and_saveexec_b64 s[16:17], vcc
	s_cbranch_execz .LBB669_529
; %bb.528:                              ;   in Loop: Header=BB669_213 Depth=1
	v_and_b32_e32 v46, 7, v42
	v_ffbh_u32_e32 v59, v46
	v_min_u32_e32 v59, 32, v59
	v_subrev_u32_e32 v60, 28, v59
	v_lshlrev_b64 v[60:61], v60, v[42:43]
	v_lshrrev_b32_e32 v57, 3, v44
	v_sub_u32_e32 v59, 29, v59
	v_and_b32_e32 v60, 7, v60
	v_cmp_gt_u32_e32 vcc, 8, v44
	v_cndmask_b32_e32 v44, v57, v59, vcc
	v_cndmask_b32_e32 v46, v46, v60, vcc
	v_lshlrev_b32_e32 v57, 24, v42
	v_lshlrev_b32_e32 v46, 20, v46
	v_and_b32_e32 v57, 0x80000000, v57
	v_lshl_add_u32 v44, v44, 23, v45
	v_or3_b32 v57, v57, v44, v46
.LBB669_529:                            ;   in Loop: Header=BB669_213 Depth=1
	s_or_b64 exec, exec, s[16:17]
.LBB669_530:                            ;   in Loop: Header=BB669_213 Depth=1
	s_or_b64 exec, exec, s[14:15]
.LBB669_531:                            ;   in Loop: Header=BB669_213 Depth=1
	s_or_b64 exec, exec, s[12:13]
	v_lshrrev_b16_e32 v44, 8, v42
	v_cmp_ne_u16_e32 vcc, 0, v44
	v_mov_b32_e32 v59, 0
	v_mov_b32_e32 v60, 0
	s_and_saveexec_b64 s[12:13], vcc
	s_cbranch_execz .LBB669_537
; %bb.532:                              ;   in Loop: Header=BB669_213 Depth=1
	v_cmp_ne_u16_e32 vcc, s9, v44
	v_bfrev_b32_e32 v60, 1
	s_and_saveexec_b64 s[14:15], vcc
	s_cbranch_execz .LBB669_536
; %bb.533:                              ;   in Loop: Header=BB669_213 Depth=1
	v_and_b32_e32 v46, 0x7f, v44
	v_cmp_ne_u32_e32 vcc, s19, v46
	v_mov_b32_e32 v60, 0x7f800001
	s_and_saveexec_b64 s[16:17], vcc
	s_cbranch_execz .LBB669_535
; %bb.534:                              ;   in Loop: Header=BB669_213 Depth=1
	v_and_b32_e32 v62, 7, v44
	v_ffbh_u32_e32 v60, v62
	v_min_u32_e32 v64, 32, v60
	v_subrev_u32_e32 v60, 28, v64
	v_lshlrev_b64 v[60:61], v60, v[44:45]
	v_lshrrev_b32_e32 v63, 3, v46
	v_sub_u32_e32 v44, 29, v64
	v_and_b32_e32 v60, 7, v60
	v_cmp_gt_u32_e32 vcc, 8, v46
	v_cndmask_b32_e32 v44, v63, v44, vcc
	v_cndmask_b32_e32 v46, v62, v60, vcc
	v_lshlrev_b32_e32 v60, 16, v42
	v_lshlrev_b32_e32 v46, 20, v46
	v_and_b32_e32 v60, 0x80000000, v60
	v_lshl_add_u32 v44, v44, 23, v45
	v_or3_b32 v60, v60, v44, v46
.LBB669_535:                            ;   in Loop: Header=BB669_213 Depth=1
	s_or_b64 exec, exec, s[16:17]
.LBB669_536:                            ;   in Loop: Header=BB669_213 Depth=1
	s_or_b64 exec, exec, s[14:15]
.LBB669_537:                            ;   in Loop: Header=BB669_213 Depth=1
	s_or_b64 exec, exec, s[12:13]
	v_lshrrev_b32_e32 v44, 16, v42
	v_cmp_ne_u16_sdwa s[14:15], v44, v43 src0_sel:BYTE_0 src1_sel:DWORD
	s_and_saveexec_b64 s[12:13], s[14:15]
	s_cbranch_execz .LBB669_543
; %bb.538:                              ;   in Loop: Header=BB669_213 Depth=1
	v_cmp_ne_u16_sdwa s[16:17], v44, s9 src0_sel:BYTE_0 src1_sel:DWORD
	v_bfrev_b32_e32 v59, 1
	s_and_saveexec_b64 s[14:15], s[16:17]
	s_cbranch_execz .LBB669_542
; %bb.539:                              ;   in Loop: Header=BB669_213 Depth=1
	v_bfe_u32 v46, v42, 16, 7
	v_cmp_ne_u32_e32 vcc, s19, v46
	v_mov_b32_e32 v59, 0x7f800001
	s_and_saveexec_b64 s[16:17], vcc
	s_cbranch_execz .LBB669_541
; %bb.540:                              ;   in Loop: Header=BB669_213 Depth=1
	v_and_b32_e32 v59, 7, v44
	v_ffbh_u32_e32 v62, v59
	v_min_u32_e32 v64, 32, v62
	v_subrev_u32_e32 v62, 28, v64
	v_lshlrev_b64 v[62:63], v62, v[44:45]
	v_lshrrev_b32_e32 v61, 3, v46
	v_sub_u32_e32 v63, 29, v64
	v_and_b32_e32 v62, 7, v62
	v_cmp_gt_u32_e32 vcc, 8, v46
	v_cndmask_b32_e32 v46, v61, v63, vcc
	v_cndmask_b32_e32 v59, v59, v62, vcc
	v_lshlrev_b32_e32 v44, 24, v44
	v_lshlrev_b32_e32 v59, 20, v59
	v_and_b32_e32 v44, 0x80000000, v44
	v_lshl_add_u32 v46, v46, 23, v45
	v_or3_b32 v59, v44, v46, v59
.LBB669_541:                            ;   in Loop: Header=BB669_213 Depth=1
	s_or_b64 exec, exec, s[16:17]
.LBB669_542:                            ;   in Loop: Header=BB669_213 Depth=1
	s_or_b64 exec, exec, s[14:15]
.LBB669_543:                            ;   in Loop: Header=BB669_213 Depth=1
	s_or_b64 exec, exec, s[12:13]
	v_cmp_lt_u32_e32 vcc, s20, v42
	v_mov_b32_e32 v46, 0
	v_mov_b32_e32 v61, 0
	s_and_saveexec_b64 s[12:13], vcc
	s_cbranch_execz .LBB669_549
; %bb.544:                              ;   in Loop: Header=BB669_213 Depth=1
	v_lshrrev_b32_e32 v44, 24, v42
	v_cmp_ne_u32_e32 vcc, s9, v44
	v_bfrev_b32_e32 v61, 1
	s_and_saveexec_b64 s[14:15], vcc
	s_cbranch_execz .LBB669_548
; %bb.545:                              ;   in Loop: Header=BB669_213 Depth=1
	v_bfe_u32 v42, v42, 24, 7
	v_cmp_ne_u32_e32 vcc, s19, v42
	v_mov_b32_e32 v61, 0x7f800001
	s_and_saveexec_b64 s[16:17], vcc
	s_cbranch_execz .LBB669_547
; %bb.546:                              ;   in Loop: Header=BB669_213 Depth=1
	v_and_b32_e32 v61, 7, v44
	v_ffbh_u32_e32 v62, v61
	v_min_u32_e32 v65, 32, v62
	v_subrev_u32_e32 v62, 28, v65
	v_lshlrev_b64 v[62:63], v62, v[44:45]
	v_lshrrev_b32_e32 v64, 3, v42
	v_sub_u32_e32 v63, 29, v65
	v_and_b32_e32 v62, 7, v62
	v_cmp_gt_u32_e32 vcc, 8, v42
	v_cndmask_b32_e32 v42, v64, v63, vcc
	v_cndmask_b32_e32 v61, v61, v62, vcc
	v_lshlrev_b32_e32 v44, 24, v44
	v_lshlrev_b32_e32 v61, 20, v61
	v_and_b32_e32 v44, 0x80000000, v44
	v_lshl_add_u32 v42, v42, 23, v45
	v_or3_b32 v61, v44, v42, v61
.LBB669_547:                            ;   in Loop: Header=BB669_213 Depth=1
	s_or_b64 exec, exec, s[16:17]
.LBB669_548:                            ;   in Loop: Header=BB669_213 Depth=1
	s_or_b64 exec, exec, s[14:15]
.LBB669_549:                            ;   in Loop: Header=BB669_213 Depth=1
	s_or_b64 exec, exec, s[12:13]
	v_cvt_pkrtz_f16_f32 v62, v47, v49
	v_cvt_pkrtz_f16_f32 v63, v48, v58
	v_cvt_pkrtz_f16_f32 v48, v57, v60
	v_cvt_pkrtz_f16_f32 v49, v59, v61
	s_waitcnt vmcnt(1)
	v_cmp_ne_u16_sdwa s[14:15], v40, v43 src0_sel:BYTE_0 src1_sel:DWORD
	v_mfma_f32_16x16x16f16 v[34:37], v[62:63], v[26:27], v[34:37]
	v_mfma_f32_16x16x16f16 v[34:37], v[48:49], v[28:29], v[34:37]
	s_and_saveexec_b64 s[12:13], s[14:15]
	s_cbranch_execz .LBB669_555
; %bb.550:                              ;   in Loop: Header=BB669_213 Depth=1
	v_cmp_ne_u16_sdwa s[16:17], v40, s9 src0_sel:BYTE_0 src1_sel:DWORD
	v_bfrev_b32_e32 v46, 1
	s_and_saveexec_b64 s[14:15], s[16:17]
	s_cbranch_execz .LBB669_554
; %bb.551:                              ;   in Loop: Header=BB669_213 Depth=1
	v_and_b32_e32 v42, 0x7f, v40
	v_cmp_ne_u32_e32 vcc, s19, v42
	v_mov_b32_e32 v46, 0x7f800001
	s_and_saveexec_b64 s[16:17], vcc
	s_cbranch_execz .LBB669_553
; %bb.552:                              ;   in Loop: Header=BB669_213 Depth=1
	v_and_b32_e32 v44, 7, v40
	v_ffbh_u32_e32 v46, v44
	v_min_u32_e32 v49, 32, v46
	v_subrev_u32_e32 v46, 28, v49
	v_lshlrev_b64 v[46:47], v46, v[40:41]
	v_lshrrev_b32_e32 v48, 3, v42
	v_sub_u32_e32 v47, 29, v49
	v_and_b32_e32 v46, 7, v46
	v_cmp_gt_u32_e32 vcc, 8, v42
	v_cndmask_b32_e32 v42, v48, v47, vcc
	v_cndmask_b32_e32 v44, v44, v46, vcc
	v_lshlrev_b32_e32 v46, 24, v40
	v_lshlrev_b32_e32 v44, 20, v44
	v_and_b32_e32 v46, 0x80000000, v46
	v_lshl_add_u32 v42, v42, 23, v45
	v_or3_b32 v46, v46, v42, v44
.LBB669_553:                            ;   in Loop: Header=BB669_213 Depth=1
	s_or_b64 exec, exec, s[16:17]
.LBB669_554:                            ;   in Loop: Header=BB669_213 Depth=1
	s_or_b64 exec, exec, s[14:15]
.LBB669_555:                            ;   in Loop: Header=BB669_213 Depth=1
	s_or_b64 exec, exec, s[12:13]
	v_lshrrev_b16_e32 v42, 8, v40
	v_cmp_ne_u16_e32 vcc, 0, v42
	v_mov_b32_e32 v44, 0
	v_mov_b32_e32 v47, 0
	s_and_saveexec_b64 s[12:13], vcc
	s_cbranch_execz .LBB669_561
; %bb.556:                              ;   in Loop: Header=BB669_213 Depth=1
	v_cmp_ne_u16_e32 vcc, s9, v42
	v_bfrev_b32_e32 v47, 1
	s_and_saveexec_b64 s[14:15], vcc
	s_cbranch_execz .LBB669_560
; %bb.557:                              ;   in Loop: Header=BB669_213 Depth=1
	v_and_b32_e32 v48, 0x7f, v42
	v_cmp_ne_u32_e32 vcc, s19, v48
	v_mov_b32_e32 v47, 0x7f800001
	s_and_saveexec_b64 s[16:17], vcc
	s_cbranch_execz .LBB669_559
; %bb.558:                              ;   in Loop: Header=BB669_213 Depth=1
	v_and_b32_e32 v47, 7, v42
	v_ffbh_u32_e32 v57, v47
	v_min_u32_e32 v57, 32, v57
	v_subrev_u32_e32 v58, 28, v57
	v_lshlrev_b64 v[58:59], v58, v[42:43]
	v_lshrrev_b32_e32 v49, 3, v48
	v_sub_u32_e32 v42, 29, v57
	v_and_b32_e32 v57, 7, v58
	v_cmp_gt_u32_e32 vcc, 8, v48
	v_cndmask_b32_e32 v42, v49, v42, vcc
	v_cndmask_b32_e32 v47, v47, v57, vcc
	v_lshlrev_b32_e32 v48, 16, v40
	v_lshlrev_b32_e32 v47, 20, v47
	v_and_b32_e32 v48, 0x80000000, v48
	v_lshl_add_u32 v42, v42, 23, v45
	v_or3_b32 v47, v48, v42, v47
.LBB669_559:                            ;   in Loop: Header=BB669_213 Depth=1
	s_or_b64 exec, exec, s[16:17]
.LBB669_560:                            ;   in Loop: Header=BB669_213 Depth=1
	s_or_b64 exec, exec, s[14:15]
.LBB669_561:                            ;   in Loop: Header=BB669_213 Depth=1
	s_or_b64 exec, exec, s[12:13]
	v_lshrrev_b32_e32 v42, 16, v40
	v_cmp_ne_u16_sdwa s[14:15], v42, v43 src0_sel:BYTE_0 src1_sel:DWORD
	s_and_saveexec_b64 s[12:13], s[14:15]
	s_cbranch_execz .LBB669_567
; %bb.562:                              ;   in Loop: Header=BB669_213 Depth=1
	v_cmp_ne_u16_sdwa s[16:17], v42, s9 src0_sel:BYTE_0 src1_sel:DWORD
	v_bfrev_b32_e32 v44, 1
	s_and_saveexec_b64 s[14:15], s[16:17]
	s_cbranch_execz .LBB669_566
; %bb.563:                              ;   in Loop: Header=BB669_213 Depth=1
	v_bfe_u32 v48, v40, 16, 7
	v_cmp_ne_u32_e32 vcc, s19, v48
	v_mov_b32_e32 v44, 0x7f800001
	s_and_saveexec_b64 s[16:17], vcc
	s_cbranch_execz .LBB669_565
; %bb.564:                              ;   in Loop: Header=BB669_213 Depth=1
	v_and_b32_e32 v44, 7, v42
	v_ffbh_u32_e32 v57, v44
	v_min_u32_e32 v57, 32, v57
	v_subrev_u32_e32 v58, 28, v57
	v_lshlrev_b64 v[58:59], v58, v[42:43]
	v_lshrrev_b32_e32 v49, 3, v48
	v_sub_u32_e32 v57, 29, v57
	v_and_b32_e32 v58, 7, v58
	v_cmp_gt_u32_e32 vcc, 8, v48
	v_cndmask_b32_e32 v48, v49, v57, vcc
	v_cndmask_b32_e32 v44, v44, v58, vcc
	v_lshlrev_b32_e32 v42, 24, v42
	v_lshlrev_b32_e32 v44, 20, v44
	v_and_b32_e32 v42, 0x80000000, v42
	v_lshl_add_u32 v48, v48, 23, v45
	v_or3_b32 v44, v42, v48, v44
.LBB669_565:                            ;   in Loop: Header=BB669_213 Depth=1
	s_or_b64 exec, exec, s[16:17]
.LBB669_566:                            ;   in Loop: Header=BB669_213 Depth=1
	s_or_b64 exec, exec, s[14:15]
.LBB669_567:                            ;   in Loop: Header=BB669_213 Depth=1
	s_or_b64 exec, exec, s[12:13]
	v_cmp_lt_u32_e32 vcc, s20, v40
	v_mov_b32_e32 v48, 0
	v_mov_b32_e32 v49, 0
	s_and_saveexec_b64 s[12:13], vcc
	s_cbranch_execz .LBB669_573
; %bb.568:                              ;   in Loop: Header=BB669_213 Depth=1
	v_lshrrev_b32_e32 v42, 24, v40
	v_cmp_ne_u32_e32 vcc, s9, v42
	v_bfrev_b32_e32 v49, 1
	s_and_saveexec_b64 s[14:15], vcc
	s_cbranch_execz .LBB669_572
; %bb.569:                              ;   in Loop: Header=BB669_213 Depth=1
	v_bfe_u32 v40, v40, 24, 7
	v_cmp_ne_u32_e32 vcc, s19, v40
	v_mov_b32_e32 v49, 0x7f800001
	s_and_saveexec_b64 s[16:17], vcc
	s_cbranch_execz .LBB669_571
; %bb.570:                              ;   in Loop: Header=BB669_213 Depth=1
	v_and_b32_e32 v49, 7, v42
	v_ffbh_u32_e32 v58, v49
	v_min_u32_e32 v60, 32, v58
	v_subrev_u32_e32 v58, 28, v60
	v_lshlrev_b64 v[58:59], v58, v[42:43]
	v_lshrrev_b32_e32 v57, 3, v40
	v_sub_u32_e32 v59, 29, v60
	v_and_b32_e32 v58, 7, v58
	v_cmp_gt_u32_e32 vcc, 8, v40
	v_cndmask_b32_e32 v40, v57, v59, vcc
	v_cndmask_b32_e32 v49, v49, v58, vcc
	v_lshlrev_b32_e32 v42, 24, v42
	v_lshlrev_b32_e32 v49, 20, v49
	v_and_b32_e32 v42, 0x80000000, v42
	v_lshl_add_u32 v40, v40, 23, v45
	v_or3_b32 v49, v42, v40, v49
.LBB669_571:                            ;   in Loop: Header=BB669_213 Depth=1
	s_or_b64 exec, exec, s[16:17]
.LBB669_572:                            ;   in Loop: Header=BB669_213 Depth=1
	s_or_b64 exec, exec, s[14:15]
.LBB669_573:                            ;   in Loop: Header=BB669_213 Depth=1
	s_or_b64 exec, exec, s[12:13]
	s_waitcnt vmcnt(0)
	v_cmp_ne_u16_sdwa s[14:15], v38, v43 src0_sel:BYTE_0 src1_sel:DWORD
	s_and_saveexec_b64 s[12:13], s[14:15]
	s_cbranch_execz .LBB669_579
; %bb.574:                              ;   in Loop: Header=BB669_213 Depth=1
	v_cmp_ne_u16_sdwa s[16:17], v38, s9 src0_sel:BYTE_0 src1_sel:DWORD
	v_bfrev_b32_e32 v48, 1
	s_and_saveexec_b64 s[14:15], s[16:17]
	s_cbranch_execz .LBB669_578
; %bb.575:                              ;   in Loop: Header=BB669_213 Depth=1
	v_and_b32_e32 v40, 0x7f, v38
	v_cmp_ne_u32_e32 vcc, s19, v40
	v_mov_b32_e32 v48, 0x7f800001
	s_and_saveexec_b64 s[16:17], vcc
	s_cbranch_execz .LBB669_577
; %bb.576:                              ;   in Loop: Header=BB669_213 Depth=1
	v_and_b32_e32 v42, 7, v38
	v_ffbh_u32_e32 v57, v42
	v_min_u32_e32 v57, 32, v57
	v_subrev_u32_e32 v58, 28, v57
	v_lshlrev_b64 v[58:59], v58, v[38:39]
	v_lshrrev_b32_e32 v48, 3, v40
	v_sub_u32_e32 v57, 29, v57
	v_and_b32_e32 v58, 7, v58
	v_cmp_gt_u32_e32 vcc, 8, v40
	v_cndmask_b32_e32 v40, v48, v57, vcc
	v_cndmask_b32_e32 v42, v42, v58, vcc
	v_lshlrev_b32_e32 v48, 24, v38
	v_lshlrev_b32_e32 v42, 20, v42
	v_and_b32_e32 v48, 0x80000000, v48
	v_lshl_add_u32 v40, v40, 23, v45
	v_or3_b32 v48, v48, v40, v42
.LBB669_577:                            ;   in Loop: Header=BB669_213 Depth=1
	s_or_b64 exec, exec, s[16:17]
.LBB669_578:                            ;   in Loop: Header=BB669_213 Depth=1
	s_or_b64 exec, exec, s[14:15]
.LBB669_579:                            ;   in Loop: Header=BB669_213 Depth=1
	s_or_b64 exec, exec, s[12:13]
	v_lshrrev_b16_e32 v40, 8, v38
	v_cmp_ne_u16_e32 vcc, 0, v40
	v_mov_b32_e32 v42, 0
	v_mov_b32_e32 v57, 0
	s_and_saveexec_b64 s[12:13], vcc
	s_cbranch_execz .LBB669_585
; %bb.580:                              ;   in Loop: Header=BB669_213 Depth=1
	v_cmp_ne_u16_e32 vcc, s9, v40
	v_bfrev_b32_e32 v57, 1
	s_and_saveexec_b64 s[14:15], vcc
	s_cbranch_execz .LBB669_584
; %bb.581:                              ;   in Loop: Header=BB669_213 Depth=1
	v_and_b32_e32 v58, 0x7f, v40
	v_cmp_ne_u32_e32 vcc, s19, v58
	v_mov_b32_e32 v57, 0x7f800001
	s_and_saveexec_b64 s[16:17], vcc
	s_cbranch_execz .LBB669_583
; %bb.582:                              ;   in Loop: Header=BB669_213 Depth=1
	v_and_b32_e32 v57, 7, v40
	v_ffbh_u32_e32 v60, v57
	v_min_u32_e32 v62, 32, v60
	v_subrev_u32_e32 v60, 28, v62
	v_lshlrev_b64 v[60:61], v60, v[40:41]
	v_lshrrev_b32_e32 v59, 3, v58
	v_sub_u32_e32 v40, 29, v62
	v_and_b32_e32 v60, 7, v60
	v_cmp_gt_u32_e32 vcc, 8, v58
	v_cndmask_b32_e32 v40, v59, v40, vcc
	v_cndmask_b32_e32 v57, v57, v60, vcc
	v_lshlrev_b32_e32 v58, 16, v38
	v_lshlrev_b32_e32 v57, 20, v57
	v_and_b32_e32 v58, 0x80000000, v58
	v_lshl_add_u32 v40, v40, 23, v45
	v_or3_b32 v57, v58, v40, v57
.LBB669_583:                            ;   in Loop: Header=BB669_213 Depth=1
	s_or_b64 exec, exec, s[16:17]
.LBB669_584:                            ;   in Loop: Header=BB669_213 Depth=1
	s_or_b64 exec, exec, s[14:15]
.LBB669_585:                            ;   in Loop: Header=BB669_213 Depth=1
	s_or_b64 exec, exec, s[12:13]
	v_lshrrev_b32_e32 v40, 16, v38
	v_cmp_ne_u16_sdwa s[14:15], v40, v43 src0_sel:BYTE_0 src1_sel:DWORD
	s_and_saveexec_b64 s[12:13], s[14:15]
	s_cbranch_execz .LBB669_591
; %bb.586:                              ;   in Loop: Header=BB669_213 Depth=1
	v_cmp_ne_u16_sdwa s[16:17], v40, s9 src0_sel:BYTE_0 src1_sel:DWORD
	v_bfrev_b32_e32 v42, 1
	s_and_saveexec_b64 s[14:15], s[16:17]
	s_cbranch_execz .LBB669_590
; %bb.587:                              ;   in Loop: Header=BB669_213 Depth=1
	v_bfe_u32 v58, v38, 16, 7
	v_cmp_ne_u32_e32 vcc, s19, v58
	v_mov_b32_e32 v42, 0x7f800001
	s_and_saveexec_b64 s[16:17], vcc
	s_cbranch_execz .LBB669_589
; %bb.588:                              ;   in Loop: Header=BB669_213 Depth=1
	v_and_b32_e32 v42, 7, v40
	v_ffbh_u32_e32 v60, v42
	v_min_u32_e32 v62, 32, v60
	v_subrev_u32_e32 v60, 28, v62
	v_lshlrev_b64 v[60:61], v60, v[40:41]
	v_lshrrev_b32_e32 v59, 3, v58
	v_sub_u32_e32 v61, 29, v62
	v_and_b32_e32 v60, 7, v60
	v_cmp_gt_u32_e32 vcc, 8, v58
	v_cndmask_b32_e32 v58, v59, v61, vcc
	v_cndmask_b32_e32 v42, v42, v60, vcc
	v_lshlrev_b32_e32 v40, 24, v40
	v_lshlrev_b32_e32 v42, 20, v42
	v_and_b32_e32 v40, 0x80000000, v40
	v_lshl_add_u32 v58, v58, 23, v45
	v_or3_b32 v42, v40, v58, v42
.LBB669_589:                            ;   in Loop: Header=BB669_213 Depth=1
	s_or_b64 exec, exec, s[16:17]
.LBB669_590:                            ;   in Loop: Header=BB669_213 Depth=1
	s_or_b64 exec, exec, s[14:15]
.LBB669_591:                            ;   in Loop: Header=BB669_213 Depth=1
	s_or_b64 exec, exec, s[12:13]
	v_cmp_lt_u32_e32 vcc, s20, v38
	v_mov_b32_e32 v58, 0
	s_and_saveexec_b64 s[12:13], vcc
	s_cbranch_execz .LBB669_212
; %bb.592:                              ;   in Loop: Header=BB669_213 Depth=1
	v_lshrrev_b32_e32 v40, 24, v38
	v_cmp_ne_u32_e32 vcc, s9, v40
	v_bfrev_b32_e32 v58, 1
	s_and_saveexec_b64 s[14:15], vcc
	s_cbranch_execz .LBB669_211
; %bb.593:                              ;   in Loop: Header=BB669_213 Depth=1
	v_bfe_u32 v38, v38, 24, 7
	v_cmp_ne_u32_e32 vcc, s19, v38
	v_mov_b32_e32 v58, 0x7f800001
	s_and_saveexec_b64 s[16:17], vcc
	s_cbranch_execz .LBB669_210
; %bb.594:                              ;   in Loop: Header=BB669_213 Depth=1
	v_and_b32_e32 v60, 7, v40
	v_ffbh_u32_e32 v58, v60
	v_min_u32_e32 v62, 32, v58
	v_subrev_u32_e32 v58, 28, v62
	v_lshlrev_b64 v[58:59], v58, v[40:41]
	v_lshrrev_b32_e32 v61, 3, v38
	v_sub_u32_e32 v59, 29, v62
	v_and_b32_e32 v58, 7, v58
	v_cmp_gt_u32_e32 vcc, 8, v38
	v_cndmask_b32_e32 v38, v61, v59, vcc
	v_cndmask_b32_e32 v58, v60, v58, vcc
	v_lshlrev_b32_e32 v40, 24, v40
	v_lshlrev_b32_e32 v58, 20, v58
	v_and_b32_e32 v40, 0x80000000, v40
	v_lshl_add_u32 v38, v38, 23, v45
	v_or3_b32 v58, v40, v38, v58
	s_branch .LBB669_210
.LBB669_595:
	s_barrier
	buffer_load_dword v2, off, s[0:3], 0 offset:320
	buffer_load_dword v5, off, s[0:3], 0 offset:332
	buffer_load_dword v3, off, s[0:3], 0 offset:324
	buffer_load_dword v4, off, s[0:3], 0 offset:328
	v_cmp_gt_u32_e32 vcc, 64, v0
	s_waitcnt vmcnt(0)
	ds_write2st64_b64 v39, v[2:3], v[4:5] offset1:1
	s_waitcnt lgkmcnt(0)
	s_barrier
	s_and_saveexec_b64 s[4:5], vcc
	s_cbranch_execz .LBB669_597
; %bb.596:
	s_lshl_b32 s6, s50, 7
	s_mul_i32 s4, s18, s8
	s_mul_hi_u32 s5, s4, s6
	s_mul_i32 s4, s4, s6
	s_lshl_b64 s[4:5], s[4:5], 1
	s_add_u32 s7, s48, s4
	v_lshlrev_b32_e32 v4, 6, v51
	s_addc_u32 s8, s49, s5
	s_lshl_b32 s4, s24, 7
	s_mov_b32 s5, 0
	v_lshl_or_b32 v0, v0, 10, v4
	s_lshl_b64 s[4:5], s[4:5], 1
	v_lshlrev_b32_e32 v2, 5, v1
	v_and_b32_e32 v3, 16, v52
	v_and_b32_e32 v0, 0x1a00, v0
	s_add_u32 s4, s7, s4
	v_or3_b32 v0, v0, v2, v3
	s_addc_u32 s5, s8, s5
	ds_read_b128 v[2:5], v0
	ds_read_b128 v[6:9], v0 offset:128
	ds_read_b128 v[10:13], v0 offset:256
	;; [unrolled: 1-line block ×3, first 2 shown]
	v_mov_b32_e32 v0, s5
	v_add_co_u32_e32 v18, vcc, s4, v50
	v_or_b32_e32 v20, s25, v1
	v_addc_co_u32_e32 v19, vcc, 0, v0, vcc
	v_mad_u64_u32 v[0:1], s[4:5], v20, s6, 0
	v_lshlrev_b64 v[0:1], 1, v[0:1]
	v_add_co_u32_e32 v0, vcc, v18, v0
	v_addc_co_u32_e32 v1, vcc, v19, v1, vcc
	s_waitcnt lgkmcnt(3)
	global_store_dwordx4 v[0:1], v[2:5], off
	v_or_b32_e32 v0, 4, v20
	v_mad_u64_u32 v[0:1], s[4:5], v0, s6, 0
	v_lshlrev_b64 v[0:1], 1, v[0:1]
	v_add_co_u32_e32 v0, vcc, v18, v0
	v_addc_co_u32_e32 v1, vcc, v19, v1, vcc
	s_waitcnt lgkmcnt(2)
	global_store_dwordx4 v[0:1], v[6:9], off
	v_or_b32_e32 v0, 8, v20
	;; [unrolled: 7-line block ×3, first 2 shown]
	v_mad_u64_u32 v[0:1], s[4:5], v0, s6, 0
	v_lshlrev_b64 v[0:1], 1, v[0:1]
	v_add_co_u32_e32 v0, vcc, v18, v0
	v_addc_co_u32_e32 v1, vcc, v19, v1, vcc
	s_waitcnt lgkmcnt(0)
	global_store_dwordx4 v[0:1], v[14:17], off
.LBB669_597:
	s_endpgm
	.section	.rodata,"a",@progbits
	.p2align	6, 0x0
	.amdhsa_kernel _Z39paged_attention_ll4mi_QKV_mfma16_kernelIDF16_hLN4vllm18Fp8KVCacheDataTypeE1EDF16_Li32ELi128ELi256ELb0ELi16EL8MFMAType0EEvPKT_PKT0_S8_ifPKiSA_SA_iPKfiiiPfSD_PS3_PT2_iSC_SC_
		.amdhsa_group_segment_fixed_size 8192
		.amdhsa_private_segment_fixed_size 352
		.amdhsa_kernarg_size 400
		.amdhsa_user_sgpr_count 8
		.amdhsa_user_sgpr_private_segment_buffer 1
		.amdhsa_user_sgpr_dispatch_ptr 0
		.amdhsa_user_sgpr_queue_ptr 0
		.amdhsa_user_sgpr_kernarg_segment_ptr 1
		.amdhsa_user_sgpr_dispatch_id 0
		.amdhsa_user_sgpr_flat_scratch_init 1
		.amdhsa_user_sgpr_kernarg_preload_length 0
		.amdhsa_user_sgpr_kernarg_preload_offset 0
		.amdhsa_user_sgpr_private_segment_size 0
		.amdhsa_uses_dynamic_stack 0
		.amdhsa_system_sgpr_private_segment_wavefront_offset 1
		.amdhsa_system_sgpr_workgroup_id_x 1
		.amdhsa_system_sgpr_workgroup_id_y 1
		.amdhsa_system_sgpr_workgroup_id_z 1
		.amdhsa_system_sgpr_workgroup_info 0
		.amdhsa_system_vgpr_workitem_id 0
		.amdhsa_next_free_vgpr 80
		.amdhsa_next_free_sgpr 53
		.amdhsa_accum_offset 80
		.amdhsa_reserve_vcc 1
		.amdhsa_reserve_flat_scratch 0
		.amdhsa_float_round_mode_32 0
		.amdhsa_float_round_mode_16_64 0
		.amdhsa_float_denorm_mode_32 3
		.amdhsa_float_denorm_mode_16_64 3
		.amdhsa_dx10_clamp 1
		.amdhsa_ieee_mode 1
		.amdhsa_fp16_overflow 0
		.amdhsa_tg_split 0
		.amdhsa_exception_fp_ieee_invalid_op 0
		.amdhsa_exception_fp_denorm_src 0
		.amdhsa_exception_fp_ieee_div_zero 0
		.amdhsa_exception_fp_ieee_overflow 0
		.amdhsa_exception_fp_ieee_underflow 0
		.amdhsa_exception_fp_ieee_inexact 0
		.amdhsa_exception_int_div_zero 0
	.end_amdhsa_kernel
	.section	.text._Z39paged_attention_ll4mi_QKV_mfma16_kernelIDF16_hLN4vllm18Fp8KVCacheDataTypeE1EDF16_Li32ELi128ELi256ELb0ELi16EL8MFMAType0EEvPKT_PKT0_S8_ifPKiSA_SA_iPKfiiiPfSD_PS3_PT2_iSC_SC_,"axG",@progbits,_Z39paged_attention_ll4mi_QKV_mfma16_kernelIDF16_hLN4vllm18Fp8KVCacheDataTypeE1EDF16_Li32ELi128ELi256ELb0ELi16EL8MFMAType0EEvPKT_PKT0_S8_ifPKiSA_SA_iPKfiiiPfSD_PS3_PT2_iSC_SC_,comdat
.Lfunc_end669:
	.size	_Z39paged_attention_ll4mi_QKV_mfma16_kernelIDF16_hLN4vllm18Fp8KVCacheDataTypeE1EDF16_Li32ELi128ELi256ELb0ELi16EL8MFMAType0EEvPKT_PKT0_S8_ifPKiSA_SA_iPKfiiiPfSD_PS3_PT2_iSC_SC_, .Lfunc_end669-_Z39paged_attention_ll4mi_QKV_mfma16_kernelIDF16_hLN4vllm18Fp8KVCacheDataTypeE1EDF16_Li32ELi128ELi256ELb0ELi16EL8MFMAType0EEvPKT_PKT0_S8_ifPKiSA_SA_iPKfiiiPfSD_PS3_PT2_iSC_SC_
                                        ; -- End function
	.section	.AMDGPU.csdata,"",@progbits
; Kernel info:
; codeLenInByte = 21264
; NumSgprs: 57
; NumVgprs: 80
; NumAgprs: 0
; TotalNumVgprs: 80
; ScratchSize: 352
; MemoryBound: 0
; FloatMode: 240
; IeeeMode: 1
; LDSByteSize: 8192 bytes/workgroup (compile time only)
; SGPRBlocks: 7
; VGPRBlocks: 9
; NumSGPRsForWavesPerEU: 57
; NumVGPRsForWavesPerEU: 80
; AccumOffset: 80
; Occupancy: 6
; WaveLimiterHint : 1
; COMPUTE_PGM_RSRC2:SCRATCH_EN: 1
; COMPUTE_PGM_RSRC2:USER_SGPR: 8
; COMPUTE_PGM_RSRC2:TRAP_HANDLER: 0
; COMPUTE_PGM_RSRC2:TGID_X_EN: 1
; COMPUTE_PGM_RSRC2:TGID_Y_EN: 1
; COMPUTE_PGM_RSRC2:TGID_Z_EN: 1
; COMPUTE_PGM_RSRC2:TIDIG_COMP_CNT: 0
; COMPUTE_PGM_RSRC3_GFX90A:ACCUM_OFFSET: 19
; COMPUTE_PGM_RSRC3_GFX90A:TG_SPLIT: 0
	.section	.text._Z39paged_attention_ll4mi_QKV_mfma16_kernelIDF16_hLN4vllm18Fp8KVCacheDataTypeE1EDF16_Li32ELi128ELi256ELb0ELi1EL8MFMAType0EEvPKT_PKT0_S8_ifPKiSA_SA_iPKfiiiPfSD_PS3_PT2_iSC_SC_,"axG",@progbits,_Z39paged_attention_ll4mi_QKV_mfma16_kernelIDF16_hLN4vllm18Fp8KVCacheDataTypeE1EDF16_Li32ELi128ELi256ELb0ELi1EL8MFMAType0EEvPKT_PKT0_S8_ifPKiSA_SA_iPKfiiiPfSD_PS3_PT2_iSC_SC_,comdat
	.protected	_Z39paged_attention_ll4mi_QKV_mfma16_kernelIDF16_hLN4vllm18Fp8KVCacheDataTypeE1EDF16_Li32ELi128ELi256ELb0ELi1EL8MFMAType0EEvPKT_PKT0_S8_ifPKiSA_SA_iPKfiiiPfSD_PS3_PT2_iSC_SC_ ; -- Begin function _Z39paged_attention_ll4mi_QKV_mfma16_kernelIDF16_hLN4vllm18Fp8KVCacheDataTypeE1EDF16_Li32ELi128ELi256ELb0ELi1EL8MFMAType0EEvPKT_PKT0_S8_ifPKiSA_SA_iPKfiiiPfSD_PS3_PT2_iSC_SC_
	.globl	_Z39paged_attention_ll4mi_QKV_mfma16_kernelIDF16_hLN4vllm18Fp8KVCacheDataTypeE1EDF16_Li32ELi128ELi256ELb0ELi1EL8MFMAType0EEvPKT_PKT0_S8_ifPKiSA_SA_iPKfiiiPfSD_PS3_PT2_iSC_SC_
	.p2align	8
	.type	_Z39paged_attention_ll4mi_QKV_mfma16_kernelIDF16_hLN4vllm18Fp8KVCacheDataTypeE1EDF16_Li32ELi128ELi256ELb0ELi1EL8MFMAType0EEvPKT_PKT0_S8_ifPKiSA_SA_iPKfiiiPfSD_PS3_PT2_iSC_SC_,@function
_Z39paged_attention_ll4mi_QKV_mfma16_kernelIDF16_hLN4vllm18Fp8KVCacheDataTypeE1EDF16_Li32ELi128ELi256ELb0ELi1EL8MFMAType0EEvPKT_PKT0_S8_ifPKiSA_SA_iPKfiiiPfSD_PS3_PT2_iSC_SC_: ; @_Z39paged_attention_ll4mi_QKV_mfma16_kernelIDF16_hLN4vllm18Fp8KVCacheDataTypeE1EDF16_Li32ELi128ELi256ELb0ELi1EL8MFMAType0EEvPKT_PKT0_S8_ifPKiSA_SA_iPKfiiiPfSD_PS3_PT2_iSC_SC_
; %bb.0:
	s_load_dwordx2 s[6:7], s[4:5], 0x30
	s_add_u32 s0, s0, s11
	s_addc_u32 s1, s1, 0
	s_mov_b32 s11, s9
	s_mov_b64 s[12:13], 0
	s_waitcnt lgkmcnt(0)
	s_cmp_lg_u64 s[6:7], 0
	s_cselect_b64 s[16:17], -1, 0
	s_and_b64 vcc, exec, s[16:17]
	s_cbranch_vccz .LBB670_7
; %bb.1:
	s_add_i32 s14, s8, 1
	s_mov_b32 s15, 0
	s_lshl_b64 s[18:19], s[14:15], 2
	s_add_u32 s18, s6, s18
	s_mov_b32 s9, s15
	s_addc_u32 s19, s7, s19
	s_lshl_b64 s[14:15], s[8:9], 2
	s_add_u32 s14, s6, s14
	s_addc_u32 s15, s7, s15
	s_load_dword s20, s[18:19], 0x0
	s_load_dword s21, s[14:15], 0x0
	s_waitcnt lgkmcnt(0)
	s_sub_i32 s14, s20, s21
	s_cmp_eq_u32 s14, 1
	s_cselect_b64 s[14:15], -1, 0
	s_andn2_b64 vcc, exec, s[12:13]
	s_cbranch_vccnz .LBB670_3
.LBB670_2:
	s_mov_b32 s9, 0
	s_mov_b64 s[14:15], -1
.LBB670_3:
	s_andn2_b64 vcc, exec, s[14:15]
	s_cbranch_vccnz .LBB670_597
; %bb.4:
	s_load_dwordx2 s[12:13], s[4:5], 0x28
	s_lshl_b64 s[18:19], s[8:9], 2
	s_waitcnt lgkmcnt(0)
	s_add_u32 s12, s12, s18
	s_addc_u32 s13, s13, s19
	s_load_dword s33, s[12:13], 0x0
	s_lshl_b32 s20, s11, 8
	s_waitcnt lgkmcnt(0)
	s_cmp_ge_i32 s20, s33
	s_cbranch_scc1 .LBB670_597
; %bb.5:
	s_add_i32 s15, s33, 31
	s_load_dwordx2 s[12:13], s[4:5], 0x20
	s_load_dword s14, s[4:5], 0x38
	s_ashr_i32 s21, s15, 31
	v_and_b32_e32 v1, 0xcf, v0
	s_lshr_b32 s21, s21, 27
	v_add_u32_e32 v1, s20, v1
	s_add_i32 s15, s15, s21
	v_ashrrev_i32_e32 v2, 31, v1
	s_ashr_i32 s23, s15, 5
	v_lshrrev_b32_e32 v10, 27, v2
	s_add_i32 s23, s23, -1
	v_add_u32_e32 v2, v1, v10
	s_waitcnt lgkmcnt(0)
	s_mul_i32 s14, s8, s14
	s_mov_b32 s15, 0
	v_ashrrev_i32_e32 v2, 5, v2
	v_mov_b32_e32 v11, s23
	v_cmp_gt_i32_e32 vcc, s33, v1
	s_lshl_b64 s[14:15], s[14:15], 2
	v_cndmask_b32_e32 v2, v11, v2, vcc
	s_add_u32 s21, s12, s14
	v_ashrrev_i32_e32 v3, 31, v2
	s_addc_u32 s22, s13, s15
	v_lshlrev_b64 v[2:3], 2, v[2:3]
	v_mov_b32_e32 v5, s22
	v_add_co_u32_e32 v4, vcc, s21, v2
	v_or_b32_e32 v2, 16, v1
	v_addc_co_u32_e32 v5, vcc, v5, v3, vcc
	v_add_u32_e32 v3, v2, v10
	v_ashrrev_i32_e32 v3, 5, v3
	v_cmp_gt_i32_e32 vcc, s33, v2
	v_cndmask_b32_e32 v2, v11, v3, vcc
	v_ashrrev_i32_e32 v3, 31, v2
	v_lshlrev_b64 v[2:3], 2, v[2:3]
	v_mov_b32_e32 v7, s22
	v_add_co_u32_e32 v6, vcc, s21, v2
	v_or_b32_e32 v2, 32, v1
	v_addc_co_u32_e32 v7, vcc, v7, v3, vcc
	v_add_u32_e32 v3, v2, v10
	v_ashrrev_i32_e32 v3, 5, v3
	v_cmp_gt_i32_e32 vcc, s33, v2
	v_cndmask_b32_e32 v2, v11, v3, vcc
	v_ashrrev_i32_e32 v3, 31, v2
	;; [unrolled: 10-line block ×3, first 2 shown]
	v_lshlrev_b64 v[2:3], 2, v[2:3]
	v_mov_b32_e32 v1, s22
	v_add_co_u32_e32 v12, vcc, s21, v2
	v_addc_co_u32_e32 v13, vcc, v1, v3, vcc
	global_load_dword v2, v[4:5], off
	global_load_dword v10, v[6:7], off
	;; [unrolled: 1-line block ×4, first 2 shown]
	s_load_dwordx4 s[12:15], s[4:5], 0x8
	s_andn2_b64 vcc, exec, s[16:17]
	s_cbranch_vccnz .LBB670_8
; %bb.6:
	s_add_u32 s6, s6, s18
	s_addc_u32 s7, s7, s19
	s_load_dword s16, s[6:7], 0x0
	s_branch .LBB670_9
.LBB670_7:
	s_mov_b64 s[14:15], 0
	s_branch .LBB670_2
.LBB670_8:
	s_mov_b32 s16, s8
.LBB670_9:
	s_load_dwordx2 s[48:49], s[4:5], 0x68
	s_load_dwordx8 s[40:47], s[4:5], 0x48
	v_lshrrev_b32_e32 v60, 6, v0
	v_bfe_u32 v50, v0, 4, 2
	v_and_b32_e32 v51, 15, v0
	v_lshl_or_b32 v1, v60, 2, v50
	v_lshlrev_b32_e32 v3, 3, v51
	v_cmp_eq_u32_e32 vcc, 0, v1
	v_lshlrev_b32_e32 v1, 1, v3
	v_lshlrev_b32_e32 v52, 4, v0
	s_and_saveexec_b64 s[6:7], vcc
	s_cbranch_execz .LBB670_11
; %bb.10:
	s_load_dwordx2 s[18:19], s[4:5], 0x0
	s_waitcnt lgkmcnt(0)
	s_ashr_i32 s17, s40, 31
	s_mul_hi_u32 s24, s16, s40
	s_mul_i32 s17, s16, s17
	s_add_i32 s17, s24, s17
	s_mul_i32 s16, s16, s40
	s_lshl_b64 s[16:17], s[16:17], 1
	s_add_u32 s18, s18, s16
	s_addc_u32 s19, s19, s17
	s_lshl_b32 s16, s10, 7
	s_ashr_i32 s17, s16, 31
	s_lshl_b64 s[16:17], s[16:17], 1
	s_add_u32 s16, s18, s16
	s_addc_u32 s17, s19, s17
	global_load_dwordx4 v[4:7], v1, s[16:17]
	v_lshlrev_b32_e32 v3, 8, v0
	v_lshlrev_b32_e32 v8, 8, v51
	v_and_b32_e32 v3, 0x600, v3
	v_and_b32_e32 v8, 0x800, v8
	;; [unrolled: 1-line block ×3, first 2 shown]
	v_or3_b32 v3, v8, v3, v9
	s_waitcnt vmcnt(0)
	ds_write_b128 v3, v[4:7]
.LBB670_11:
	s_or_b64 exec, exec, s[6:7]
	s_waitcnt lgkmcnt(0)
	s_mul_i32 s16, s10, s42
	s_add_u32 s6, s12, s16
	s_addc_u32 s7, s13, 0
	v_and_b32_e32 v3, 48, v0
	s_ashr_i32 s12, s20, 31
	v_or_b32_e32 v11, s20, v3
	s_lshr_b32 s12, s12, 27
	v_add_u32_e32 v4, s12, v11
	v_ashrrev_i32_e32 v4, 5, v4
	v_mov_b32_e32 v12, s23
	v_cmp_gt_i32_e32 vcc, s33, v11
	v_cndmask_b32_e32 v4, v12, v4, vcc
	v_ashrrev_i32_e32 v5, 31, v4
	v_lshlrev_b64 v[4:5], 2, v[4:5]
	v_mov_b32_e32 v6, s22
	v_add_co_u32_e32 v4, vcc, s21, v4
	v_addc_co_u32_e32 v5, vcc, v6, v5, vcc
	v_or_b32_e32 v6, 64, v11
	v_add_u32_e32 v7, s12, v6
	v_ashrrev_i32_e32 v7, 5, v7
	v_cmp_gt_i32_e32 vcc, s33, v6
	v_cndmask_b32_e32 v6, v12, v7, vcc
	v_ashrrev_i32_e32 v7, 31, v6
	v_lshlrev_b64 v[6:7], 2, v[6:7]
	v_mov_b32_e32 v8, s22
	v_add_co_u32_e32 v6, vcc, s21, v6
	v_addc_co_u32_e32 v7, vcc, v8, v7, vcc
	v_or_b32_e32 v8, 0x80, v11
	v_add_u32_e32 v9, s12, v8
	v_ashrrev_i32_e32 v9, 5, v9
	v_cmp_gt_i32_e32 vcc, s33, v8
	v_cndmask_b32_e32 v8, v12, v9, vcc
	v_ashrrev_i32_e32 v9, 31, v8
	v_lshlrev_b64 v[8:9], 2, v[8:9]
	v_mov_b32_e32 v13, s22
	v_add_co_u32_e32 v8, vcc, s21, v8
	s_load_dwordx2 s[50:51], s[4:5], 0x94
	s_waitcnt lgkmcnt(0)
	s_barrier
	v_addc_co_u32_e32 v9, vcc, v13, v9, vcc
	global_load_dword v53, v[4:5], off
	global_load_dword v58, v[6:7], off
	global_load_dword v59, v[8:9], off
	v_or_b32_e32 v4, 0xc0, v11
	v_add_u32_e32 v5, s12, v4
	v_ashrrev_i32_e32 v5, 5, v5
	v_cmp_gt_i32_e32 vcc, s33, v4
	v_cndmask_b32_e32 v4, v12, v5, vcc
	v_ashrrev_i32_e32 v5, 31, v4
	v_lshlrev_b64 v[4:5], 2, v[4:5]
	v_mov_b32_e32 v6, s22
	v_add_co_u32_e32 v4, vcc, s21, v4
	v_addc_co_u32_e32 v5, vcc, v6, v5, vcc
	global_load_dword v62, v[4:5], off
	v_pk_mov_b32 v[24:25], s[6:7], s[6:7] op_sel:[0,1]
	v_lshlrev_b32_e32 v28, 5, v3
	s_waitcnt vmcnt(7)
	v_mad_i64_i32 v[2:3], s[6:7], v2, s41, v[24:25]
	v_lshlrev_b32_e32 v23, 4, v51
	v_add_co_u32_e32 v2, vcc, v2, v23
	v_addc_co_u32_e32 v3, vcc, 0, v3, vcc
	v_add_co_u32_e32 v12, vcc, v2, v28
	v_addc_co_u32_e32 v13, vcc, 0, v3, vcc
	s_waitcnt vmcnt(6)
	v_mad_i64_i32 v[10:11], s[6:7], v10, s41, v[24:25]
	v_or_b32_e32 v29, 0x100, v23
	v_add_co_u32_e32 v10, vcc, v10, v29
	v_addc_co_u32_e32 v11, vcc, 0, v11, vcc
	v_add_co_u32_e32 v20, vcc, v10, v28
	v_addc_co_u32_e32 v21, vcc, 0, v11, vcc
	s_waitcnt vmcnt(5)
	v_mad_i64_i32 v[18:19], s[6:7], v18, s41, v[24:25]
	v_add_co_u32_e32 v18, vcc, v18, v23
	v_addc_co_u32_e32 v19, vcc, 0, v19, vcc
	v_add_co_u32_e32 v26, vcc, v18, v28
	v_addc_co_u32_e32 v27, vcc, 0, v19, vcc
	s_waitcnt vmcnt(4)
	v_mad_i64_i32 v[22:23], s[6:7], v22, s41, v[24:25]
	v_add_co_u32_e32 v22, vcc, v22, v29
	v_addc_co_u32_e32 v23, vcc, 0, v23, vcc
	v_add_co_u32_e32 v34, vcc, v22, v28
	v_addc_co_u32_e32 v35, vcc, 0, v23, vcc
	s_add_u32 s6, s14, s16
	global_load_dwordx4 v[6:9], v[12:13], off
	global_load_dwordx4 v[2:5], v[12:13], off offset:2048
	s_nop 0
	global_load_dwordx4 v[10:13], v[20:21], off
	global_load_dwordx4 v[14:17], v[20:21], off offset:2048
	global_load_dwordx4 v[30:33], v[26:27], off
	s_nop 0
	global_load_dwordx4 v[18:21], v[26:27], off offset:2048
	s_nop 0
	global_load_dwordx4 v[26:29], v[34:35], off
	global_load_dwordx4 v[22:25], v[34:35], off offset:2048
	s_addc_u32 s7, s15, 0
	v_and_b32_e32 v34, 16, v0
	v_mov_b32_e32 v35, s7
	v_add_co_u32_e32 v54, vcc, s6, v34
	v_lshl_or_b32 v61, v60, 4, v51
	v_addc_co_u32_e32 v55, vcc, 0, v35, vcc
	v_lshlrev_b32_e32 v56, 5, v61
	v_add_co_u32_e32 v42, vcc, v54, v56
	v_addc_co_u32_e32 v43, vcc, 0, v55, vcc
	v_or_b32_e32 v56, 0x800, v56
	v_add_co_u32_e32 v54, vcc, v54, v56
	s_waitcnt vmcnt(11)
	v_mad_i64_i32 v[34:35], s[6:7], v53, s41, v[42:43]
	s_waitcnt vmcnt(10)
	v_mad_i64_i32 v[38:39], s[6:7], v58, s41, v[42:43]
	;; [unrolled: 2-line block ×3, first 2 shown]
	global_load_dwordx4 v[34:37], v[34:35], off
	v_addc_co_u32_e32 v55, vcc, 0, v55, vcc
	global_load_dwordx4 v[38:41], v[38:39], off
	v_mad_i64_i32 v[56:57], s[6:7], v53, s41, v[54:55]
	s_mov_b32 s14, 0
	s_movk_i32 s15, 0x80
	s_waitcnt vmcnt(10)
	v_mad_i64_i32 v[42:43], s[6:7], v62, s41, v[42:43]
	global_load_dwordx4 v[46:49], v[44:45], off
	s_nop 0
	global_load_dwordx4 v[42:45], v[42:43], off
	s_movk_i32 s16, 0x7f
	global_load_dwordx4 v[64:67], v[56:57], off
	v_mad_i64_i32 v[56:57], s[6:7], v58, s41, v[54:55]
	global_load_dwordx4 v[68:71], v[56:57], off
	v_mad_i64_i32 v[56:57], s[6:7], v59, s41, v[54:55]
	v_mad_i64_i32 v[54:55], s[6:7], v62, s41, v[54:55]
	global_load_dwordx4 v[72:75], v[56:57], off
	global_load_dwordx4 v[76:79], v[54:55], off
	s_waitcnt vmcnt(15)
	buffer_store_dword v9, off, s[0:3], 0 offset:12
	buffer_store_dword v8, off, s[0:3], 0 offset:8
	;; [unrolled: 1-line block ×3, first 2 shown]
	buffer_store_dword v6, off, s[0:3], 0
	s_waitcnt vmcnt(18)
	buffer_store_dword v5, off, s[0:3], 0 offset:28
	buffer_store_dword v4, off, s[0:3], 0 offset:24
	;; [unrolled: 1-line block ×4, first 2 shown]
	s_waitcnt vmcnt(21)
	buffer_store_dword v13, off, s[0:3], 0 offset:44
	buffer_store_dword v12, off, s[0:3], 0 offset:40
	;; [unrolled: 1-line block ×4, first 2 shown]
	s_load_dword s6, s[4:5], 0x1c
	s_load_dwordx4 s[40:43], s[4:5], 0x80
	v_mov_b32_e32 v2, 0x80
	s_waitcnt vmcnt(24)
	buffer_store_dword v17, off, s[0:3], 0 offset:60
	buffer_store_dword v16, off, s[0:3], 0 offset:56
	;; [unrolled: 1-line block ×4, first 2 shown]
	s_waitcnt vmcnt(27)
	buffer_store_dword v33, off, s[0:3], 0 offset:76
	buffer_store_dword v32, off, s[0:3], 0 offset:72
	;; [unrolled: 1-line block ×4, first 2 shown]
	v_lshlrev_b32_e32 v14, 9, v50
	v_add_u32_e32 v53, 16, v2
	v_add_u32_e32 v59, 32, v2
	;; [unrolled: 1-line block ×7, first 2 shown]
	ds_read_b128 v[2:5], v14
	ds_read_b128 v[6:9], v14 offset:16
	ds_read_b128 v[10:13], v14 offset:2048
	;; [unrolled: 1-line block ×3, first 2 shown]
	s_waitcnt vmcnt(30)
	buffer_store_dword v21, off, s[0:3], 0 offset:92
	buffer_store_dword v20, off, s[0:3], 0 offset:88
	buffer_store_dword v19, off, s[0:3], 0 offset:84
	buffer_store_dword v18, off, s[0:3], 0 offset:80
	s_waitcnt vmcnt(33)
	buffer_store_dword v29, off, s[0:3], 0 offset:108
	buffer_store_dword v28, off, s[0:3], 0 offset:104
	buffer_store_dword v27, off, s[0:3], 0 offset:100
	buffer_store_dword v26, off, s[0:3], 0 offset:96
	;; [unrolled: 5-line block ×10, first 2 shown]
	s_waitcnt vmcnt(60)
	buffer_store_dword v79, off, s[0:3], 0 offset:252
	s_waitcnt lgkmcnt(0)
	s_load_dword s4, s[40:41], 0x0
	v_mov_b32_e32 v18, s6
	v_and_b32_e32 v62, 63, v0
	v_mov_b32_e32 v27, 0
	s_mov_b32 s17, 0xffffff
	s_waitcnt lgkmcnt(0)
	v_mul_f32_e32 v22, s4, v18
	v_mov_b32_e32 v24, v22
	v_mov_b32_e32 v25, v22
	;; [unrolled: 1-line block ×4, first 2 shown]
	v_bfrev_b32_e32 v33, 60
	buffer_store_dword v78, off, s[0:3], 0 offset:248
	buffer_store_dword v77, off, s[0:3], 0 offset:244
	;; [unrolled: 1-line block ×3, first 2 shown]
	s_branch .LBB670_15
.LBB670_12:                             ;   in Loop: Header=BB670_15 Depth=1
	s_or_b64 exec, exec, s[12:13]
.LBB670_13:                             ;   in Loop: Header=BB670_15 Depth=1
	s_or_b64 exec, exec, s[6:7]
.LBB670_14:                             ;   in Loop: Header=BB670_15 Depth=1
	s_or_b64 exec, exec, s[4:5]
	v_cvt_pkrtz_f16_f32 v40, v34, v32
	v_cvt_pkrtz_f16_f32 v41, v23, v36
	;; [unrolled: 1-line block ×4, first 2 shown]
	v_add_u32_e32 v26, s14, v31
	v_mfma_f32_16x16x16f16 v[18:21], v[40:41], v[14:15], v[18:21]
	s_add_i32 s14, s14, 16
	v_mov_b32_e32 v23, v22
	s_cmp_eq_u32 s14, 64
	v_add_u32_e32 v27, 32, v27
	v_mfma_f32_16x16x16f16 v[18:21], v[34:35], v[16:17], v[18:21]
	s_nop 7
	s_nop 2
	v_pk_mul_f32 v[18:19], v[24:25], v[18:19]
	v_pk_mul_f32 v[20:21], v[22:23], v[20:21]
	buffer_store_dword v19, v26, s[0:3], 0 offen offset:4
	buffer_store_dword v18, v26, s[0:3], 0 offen
	buffer_store_dword v21, v26, s[0:3], 0 offen offset:12
	buffer_store_dword v20, v26, s[0:3], 0 offen offset:8
	s_cbranch_scc1 .LBB670_205
.LBB670_15:                             ; =>This Inner Loop Header: Depth=1
	buffer_load_dword v20, v27, s[0:3], 0 offen
	buffer_load_dword v18, v27, s[0:3], 0 offen offset:4
	buffer_load_dword v28, v27, s[0:3], 0 offen offset:8
	buffer_load_dword v26, v27, s[0:3], 0 offen offset:12
	v_mov_b32_e32 v19, 0
	s_waitcnt vmcnt(3)
	v_cmp_ne_u16_sdwa s[6:7], v20, v29 src0_sel:BYTE_0 src1_sel:DWORD
	s_and_saveexec_b64 s[4:5], s[6:7]
	s_cbranch_execz .LBB670_21
; %bb.16:                               ;   in Loop: Header=BB670_15 Depth=1
	v_cmp_ne_u16_sdwa s[12:13], v20, s15 src0_sel:BYTE_0 src1_sel:DWORD
	v_bfrev_b32_e32 v19, 1
	s_and_saveexec_b64 s[6:7], s[12:13]
	s_cbranch_execz .LBB670_20
; %bb.17:                               ;   in Loop: Header=BB670_15 Depth=1
	v_and_b32_e32 v21, 0x7f, v20
	v_cmp_ne_u32_e32 vcc, s16, v21
	v_mov_b32_e32 v19, 0x7f800001
	s_and_saveexec_b64 s[12:13], vcc
	s_cbranch_execz .LBB670_19
; %bb.18:                               ;   in Loop: Header=BB670_15 Depth=1
	v_and_b32_e32 v19, 7, v20
	v_ffbh_u32_e32 v30, v19
	v_min_u32_e32 v30, 32, v30
	v_subrev_u32_e32 v32, 28, v30
	v_lshlrev_b64 v[34:35], v32, v[20:21]
	v_lshrrev_b32_e32 v23, 3, v21
	v_sub_u32_e32 v30, 29, v30
	v_and_b32_e32 v32, 7, v34
	v_cmp_gt_u32_e32 vcc, 8, v21
	v_cndmask_b32_e32 v21, v23, v30, vcc
	v_cndmask_b32_e32 v19, v19, v32, vcc
	v_lshlrev_b32_e32 v23, 24, v20
	v_lshlrev_b32_e32 v19, 20, v19
	v_and_b32_e32 v23, 0x80000000, v23
	v_lshl_add_u32 v21, v21, 23, v33
	v_or3_b32 v19, v23, v21, v19
.LBB670_19:                             ;   in Loop: Header=BB670_15 Depth=1
	s_or_b64 exec, exec, s[12:13]
.LBB670_20:                             ;   in Loop: Header=BB670_15 Depth=1
	s_or_b64 exec, exec, s[6:7]
.LBB670_21:                             ;   in Loop: Header=BB670_15 Depth=1
	s_or_b64 exec, exec, s[4:5]
	v_lshrrev_b16_e32 v30, 8, v20
	v_cmp_ne_u16_e32 vcc, 0, v30
	v_mov_b32_e32 v21, 0
	v_mov_b32_e32 v23, 0
	s_and_saveexec_b64 s[4:5], vcc
	s_cbranch_execz .LBB670_27
; %bb.22:                               ;   in Loop: Header=BB670_15 Depth=1
	v_cmp_ne_u16_e32 vcc, s15, v30
	v_bfrev_b32_e32 v23, 1
	s_and_saveexec_b64 s[6:7], vcc
	s_cbranch_execz .LBB670_26
; %bb.23:                               ;   in Loop: Header=BB670_15 Depth=1
	v_and_b32_e32 v32, 0x7f, v30
	v_cmp_ne_u32_e32 vcc, s16, v32
	v_mov_b32_e32 v23, 0x7f800001
	s_and_saveexec_b64 s[12:13], vcc
	s_cbranch_execz .LBB670_25
; %bb.24:                               ;   in Loop: Header=BB670_15 Depth=1
	v_and_b32_e32 v23, 7, v30
	v_ffbh_u32_e32 v34, v23
	v_min_u32_e32 v37, 32, v34
	v_subrev_u32_e32 v34, 28, v37
	v_lshlrev_b64 v[34:35], v34, v[30:31]
	v_lshrrev_b32_e32 v36, 3, v32
	v_sub_u32_e32 v30, 29, v37
	v_and_b32_e32 v34, 7, v34
	v_cmp_gt_u32_e32 vcc, 8, v32
	v_cndmask_b32_e32 v30, v36, v30, vcc
	v_cndmask_b32_e32 v23, v23, v34, vcc
	v_lshlrev_b32_e32 v32, 16, v20
	v_lshlrev_b32_e32 v23, 20, v23
	v_and_b32_e32 v32, 0x80000000, v32
	v_lshl_add_u32 v30, v30, 23, v33
	v_or3_b32 v23, v32, v30, v23
.LBB670_25:                             ;   in Loop: Header=BB670_15 Depth=1
	s_or_b64 exec, exec, s[12:13]
.LBB670_26:                             ;   in Loop: Header=BB670_15 Depth=1
	s_or_b64 exec, exec, s[6:7]
.LBB670_27:                             ;   in Loop: Header=BB670_15 Depth=1
	s_or_b64 exec, exec, s[4:5]
	v_lshrrev_b32_e32 v30, 16, v20
	v_cmp_ne_u16_sdwa s[6:7], v30, v29 src0_sel:BYTE_0 src1_sel:DWORD
	s_and_saveexec_b64 s[4:5], s[6:7]
	s_cbranch_execz .LBB670_33
; %bb.28:                               ;   in Loop: Header=BB670_15 Depth=1
	v_cmp_ne_u16_sdwa s[12:13], v30, s15 src0_sel:BYTE_0 src1_sel:DWORD
	v_bfrev_b32_e32 v21, 1
	s_and_saveexec_b64 s[6:7], s[12:13]
	s_cbranch_execz .LBB670_32
; %bb.29:                               ;   in Loop: Header=BB670_15 Depth=1
	v_bfe_u32 v32, v20, 16, 7
	v_cmp_ne_u32_e32 vcc, s16, v32
	v_mov_b32_e32 v21, 0x7f800001
	s_and_saveexec_b64 s[12:13], vcc
	s_cbranch_execz .LBB670_31
; %bb.30:                               ;   in Loop: Header=BB670_15 Depth=1
	v_and_b32_e32 v21, 7, v30
	v_ffbh_u32_e32 v34, v21
	v_min_u32_e32 v37, 32, v34
	v_subrev_u32_e32 v34, 28, v37
	v_lshlrev_b64 v[34:35], v34, v[30:31]
	v_lshrrev_b32_e32 v36, 3, v32
	v_sub_u32_e32 v35, 29, v37
	v_and_b32_e32 v34, 7, v34
	v_cmp_gt_u32_e32 vcc, 8, v32
	v_cndmask_b32_e32 v32, v36, v35, vcc
	v_cndmask_b32_e32 v21, v21, v34, vcc
	v_lshlrev_b32_e32 v30, 24, v30
	v_lshlrev_b32_e32 v21, 20, v21
	v_and_b32_e32 v30, 0x80000000, v30
	v_lshl_add_u32 v32, v32, 23, v33
	v_or3_b32 v21, v30, v32, v21
.LBB670_31:                             ;   in Loop: Header=BB670_15 Depth=1
	s_or_b64 exec, exec, s[12:13]
.LBB670_32:                             ;   in Loop: Header=BB670_15 Depth=1
	s_or_b64 exec, exec, s[6:7]
.LBB670_33:                             ;   in Loop: Header=BB670_15 Depth=1
	s_or_b64 exec, exec, s[4:5]
	v_cmp_lt_u32_e32 vcc, s17, v20
	v_mov_b32_e32 v34, 0
	v_mov_b32_e32 v35, 0
	s_and_saveexec_b64 s[4:5], vcc
	s_cbranch_execz .LBB670_39
; %bb.34:                               ;   in Loop: Header=BB670_15 Depth=1
	v_lshrrev_b32_e32 v30, 24, v20
	v_cmp_ne_u32_e32 vcc, s15, v30
	v_bfrev_b32_e32 v35, 1
	s_and_saveexec_b64 s[6:7], vcc
	s_cbranch_execz .LBB670_38
; %bb.35:                               ;   in Loop: Header=BB670_15 Depth=1
	v_bfe_u32 v20, v20, 24, 7
	v_cmp_ne_u32_e32 vcc, s16, v20
	v_mov_b32_e32 v35, 0x7f800001
	s_and_saveexec_b64 s[12:13], vcc
	s_cbranch_execz .LBB670_37
; %bb.36:                               ;   in Loop: Header=BB670_15 Depth=1
	v_and_b32_e32 v32, 7, v30
	v_ffbh_u32_e32 v36, v32
	v_min_u32_e32 v38, 32, v36
	v_subrev_u32_e32 v36, 28, v38
	v_lshlrev_b64 v[36:37], v36, v[30:31]
	v_lshrrev_b32_e32 v35, 3, v20
	v_sub_u32_e32 v37, 29, v38
	v_and_b32_e32 v36, 7, v36
	v_cmp_gt_u32_e32 vcc, 8, v20
	v_cndmask_b32_e32 v20, v35, v37, vcc
	v_cndmask_b32_e32 v32, v32, v36, vcc
	v_lshlrev_b32_e32 v30, 24, v30
	v_lshlrev_b32_e32 v32, 20, v32
	v_and_b32_e32 v30, 0x80000000, v30
	v_lshl_add_u32 v20, v20, 23, v33
	v_or3_b32 v35, v30, v20, v32
.LBB670_37:                             ;   in Loop: Header=BB670_15 Depth=1
	s_or_b64 exec, exec, s[12:13]
.LBB670_38:                             ;   in Loop: Header=BB670_15 Depth=1
	s_or_b64 exec, exec, s[6:7]
.LBB670_39:                             ;   in Loop: Header=BB670_15 Depth=1
	s_or_b64 exec, exec, s[4:5]
	s_waitcnt vmcnt(2)
	v_cmp_ne_u16_sdwa s[6:7], v18, v29 src0_sel:BYTE_0 src1_sel:DWORD
	s_and_saveexec_b64 s[4:5], s[6:7]
	s_cbranch_execz .LBB670_45
; %bb.40:                               ;   in Loop: Header=BB670_15 Depth=1
	v_cmp_ne_u16_sdwa s[12:13], v18, s15 src0_sel:BYTE_0 src1_sel:DWORD
	v_bfrev_b32_e32 v34, 1
	s_and_saveexec_b64 s[6:7], s[12:13]
	s_cbranch_execz .LBB670_44
; %bb.41:                               ;   in Loop: Header=BB670_15 Depth=1
	v_and_b32_e32 v20, 0x7f, v18
	v_cmp_ne_u32_e32 vcc, s16, v20
	v_mov_b32_e32 v34, 0x7f800001
	s_and_saveexec_b64 s[12:13], vcc
	s_cbranch_execz .LBB670_43
; %bb.42:                               ;   in Loop: Header=BB670_15 Depth=1
	v_and_b32_e32 v30, 7, v18
	v_ffbh_u32_e32 v34, v30
	v_min_u32_e32 v34, 32, v34
	v_subrev_u32_e32 v36, 28, v34
	v_lshlrev_b64 v[36:37], v36, v[18:19]
	v_lshrrev_b32_e32 v32, 3, v20
	v_sub_u32_e32 v34, 29, v34
	v_and_b32_e32 v36, 7, v36
	v_cmp_gt_u32_e32 vcc, 8, v20
	v_cndmask_b32_e32 v20, v32, v34, vcc
	v_cndmask_b32_e32 v30, v30, v36, vcc
	v_lshlrev_b32_e32 v32, 24, v18
	v_lshlrev_b32_e32 v30, 20, v30
	v_and_b32_e32 v32, 0x80000000, v32
	v_lshl_add_u32 v20, v20, 23, v33
	v_or3_b32 v34, v32, v20, v30
.LBB670_43:                             ;   in Loop: Header=BB670_15 Depth=1
	s_or_b64 exec, exec, s[12:13]
.LBB670_44:                             ;   in Loop: Header=BB670_15 Depth=1
	s_or_b64 exec, exec, s[6:7]
.LBB670_45:                             ;   in Loop: Header=BB670_15 Depth=1
	s_or_b64 exec, exec, s[4:5]
	v_lshrrev_b16_e32 v20, 8, v18
	v_cmp_ne_u16_e32 vcc, 0, v20
	v_mov_b32_e32 v30, 0
	v_mov_b32_e32 v36, 0
	s_and_saveexec_b64 s[4:5], vcc
	s_cbranch_execz .LBB670_51
; %bb.46:                               ;   in Loop: Header=BB670_15 Depth=1
	v_cmp_ne_u16_e32 vcc, s15, v20
	v_bfrev_b32_e32 v36, 1
	s_and_saveexec_b64 s[6:7], vcc
	s_cbranch_execz .LBB670_50
; %bb.47:                               ;   in Loop: Header=BB670_15 Depth=1
	v_and_b32_e32 v32, 0x7f, v20
	v_cmp_ne_u32_e32 vcc, s16, v32
	v_mov_b32_e32 v36, 0x7f800001
	s_and_saveexec_b64 s[12:13], vcc
	s_cbranch_execz .LBB670_49
; %bb.48:                               ;   in Loop: Header=BB670_15 Depth=1
	v_and_b32_e32 v38, 7, v20
	v_ffbh_u32_e32 v36, v38
	v_min_u32_e32 v40, 32, v36
	v_subrev_u32_e32 v36, 28, v40
	v_lshlrev_b64 v[36:37], v36, v[20:21]
	v_lshrrev_b32_e32 v39, 3, v32
	v_sub_u32_e32 v20, 29, v40
	v_and_b32_e32 v36, 7, v36
	v_cmp_gt_u32_e32 vcc, 8, v32
	v_cndmask_b32_e32 v20, v39, v20, vcc
	v_cndmask_b32_e32 v32, v38, v36, vcc
	v_lshlrev_b32_e32 v36, 16, v18
	v_lshlrev_b32_e32 v32, 20, v32
	v_and_b32_e32 v36, 0x80000000, v36
	v_lshl_add_u32 v20, v20, 23, v33
	v_or3_b32 v36, v36, v20, v32
.LBB670_49:                             ;   in Loop: Header=BB670_15 Depth=1
	s_or_b64 exec, exec, s[12:13]
.LBB670_50:                             ;   in Loop: Header=BB670_15 Depth=1
	s_or_b64 exec, exec, s[6:7]
.LBB670_51:                             ;   in Loop: Header=BB670_15 Depth=1
	s_or_b64 exec, exec, s[4:5]
	v_lshrrev_b32_e32 v20, 16, v18
	v_cmp_ne_u16_sdwa s[6:7], v20, v29 src0_sel:BYTE_0 src1_sel:DWORD
	s_and_saveexec_b64 s[4:5], s[6:7]
	s_cbranch_execz .LBB670_57
; %bb.52:                               ;   in Loop: Header=BB670_15 Depth=1
	v_cmp_ne_u16_sdwa s[12:13], v20, s15 src0_sel:BYTE_0 src1_sel:DWORD
	v_bfrev_b32_e32 v30, 1
	s_and_saveexec_b64 s[6:7], s[12:13]
	s_cbranch_execz .LBB670_56
; %bb.53:                               ;   in Loop: Header=BB670_15 Depth=1
	v_bfe_u32 v32, v18, 16, 7
	v_cmp_ne_u32_e32 vcc, s16, v32
	v_mov_b32_e32 v30, 0x7f800001
	s_and_saveexec_b64 s[12:13], vcc
	s_cbranch_execz .LBB670_55
; %bb.54:                               ;   in Loop: Header=BB670_15 Depth=1
	v_and_b32_e32 v30, 7, v20
	v_ffbh_u32_e32 v38, v30
	v_min_u32_e32 v40, 32, v38
	v_subrev_u32_e32 v38, 28, v40
	v_lshlrev_b64 v[38:39], v38, v[20:21]
	v_lshrrev_b32_e32 v37, 3, v32
	v_sub_u32_e32 v39, 29, v40
	v_and_b32_e32 v38, 7, v38
	v_cmp_gt_u32_e32 vcc, 8, v32
	v_cndmask_b32_e32 v32, v37, v39, vcc
	v_cndmask_b32_e32 v30, v30, v38, vcc
	v_lshlrev_b32_e32 v20, 24, v20
	v_lshlrev_b32_e32 v30, 20, v30
	v_and_b32_e32 v20, 0x80000000, v20
	v_lshl_add_u32 v32, v32, 23, v33
	v_or3_b32 v30, v20, v32, v30
.LBB670_55:                             ;   in Loop: Header=BB670_15 Depth=1
	s_or_b64 exec, exec, s[12:13]
.LBB670_56:                             ;   in Loop: Header=BB670_15 Depth=1
	s_or_b64 exec, exec, s[6:7]
.LBB670_57:                             ;   in Loop: Header=BB670_15 Depth=1
	s_or_b64 exec, exec, s[4:5]
	v_cmp_lt_u32_e32 vcc, s17, v18
	v_mov_b32_e32 v32, 0
	v_mov_b32_e32 v37, 0
	s_and_saveexec_b64 s[4:5], vcc
	s_cbranch_execz .LBB670_63
; %bb.58:                               ;   in Loop: Header=BB670_15 Depth=1
	v_lshrrev_b32_e32 v20, 24, v18
	v_cmp_ne_u32_e32 vcc, s15, v20
	v_bfrev_b32_e32 v37, 1
	s_and_saveexec_b64 s[6:7], vcc
	s_cbranch_execz .LBB670_62
; %bb.59:                               ;   in Loop: Header=BB670_15 Depth=1
	v_bfe_u32 v18, v18, 24, 7
	v_cmp_ne_u32_e32 vcc, s16, v18
	v_mov_b32_e32 v37, 0x7f800001
	s_and_saveexec_b64 s[12:13], vcc
	s_cbranch_execz .LBB670_61
; %bb.60:                               ;   in Loop: Header=BB670_15 Depth=1
	v_and_b32_e32 v37, 7, v20
	v_ffbh_u32_e32 v38, v37
	v_min_u32_e32 v41, 32, v38
	v_subrev_u32_e32 v38, 28, v41
	v_lshlrev_b64 v[38:39], v38, v[20:21]
	v_lshrrev_b32_e32 v40, 3, v18
	v_sub_u32_e32 v39, 29, v41
	v_and_b32_e32 v38, 7, v38
	v_cmp_gt_u32_e32 vcc, 8, v18
	v_cndmask_b32_e32 v18, v40, v39, vcc
	v_cndmask_b32_e32 v37, v37, v38, vcc
	v_lshlrev_b32_e32 v20, 24, v20
	v_lshlrev_b32_e32 v37, 20, v37
	v_and_b32_e32 v20, 0x80000000, v20
	v_lshl_add_u32 v18, v18, 23, v33
	v_or3_b32 v37, v20, v18, v37
.LBB670_61:                             ;   in Loop: Header=BB670_15 Depth=1
	s_or_b64 exec, exec, s[12:13]
.LBB670_62:                             ;   in Loop: Header=BB670_15 Depth=1
	s_or_b64 exec, exec, s[6:7]
.LBB670_63:                             ;   in Loop: Header=BB670_15 Depth=1
	s_or_b64 exec, exec, s[4:5]
	v_cvt_pkrtz_f16_f32 v18, v19, v23
	v_cvt_pkrtz_f16_f32 v19, v21, v35
	;; [unrolled: 1-line block ×4, first 2 shown]
	s_waitcnt vmcnt(1)
	v_cmp_ne_u16_sdwa s[6:7], v28, v29 src0_sel:BYTE_0 src1_sel:DWORD
	v_mfma_f32_16x16x16f16 v[18:21], v[18:19], v[2:3], 0
	v_mfma_f32_16x16x16f16 v[18:21], v[34:35], v[4:5], v[18:21]
	s_and_saveexec_b64 s[4:5], s[6:7]
	s_cbranch_execz .LBB670_69
; %bb.64:                               ;   in Loop: Header=BB670_15 Depth=1
	v_cmp_ne_u16_sdwa s[12:13], v28, s15 src0_sel:BYTE_0 src1_sel:DWORD
	v_bfrev_b32_e32 v32, 1
	s_and_saveexec_b64 s[6:7], s[12:13]
	s_cbranch_execz .LBB670_68
; %bb.65:                               ;   in Loop: Header=BB670_15 Depth=1
	v_and_b32_e32 v23, 0x7f, v28
	v_cmp_ne_u32_e32 vcc, s16, v23
	v_mov_b32_e32 v32, 0x7f800001
	s_and_saveexec_b64 s[12:13], vcc
	s_cbranch_execz .LBB670_67
; %bb.66:                               ;   in Loop: Header=BB670_15 Depth=1
	v_and_b32_e32 v30, 7, v28
	v_ffbh_u32_e32 v34, v30
	v_min_u32_e32 v36, 32, v34
	v_subrev_u32_e32 v34, 28, v36
	v_lshlrev_b64 v[34:35], v34, v[28:29]
	v_lshrrev_b32_e32 v32, 3, v23
	v_sub_u32_e32 v35, 29, v36
	v_and_b32_e32 v34, 7, v34
	v_cmp_gt_u32_e32 vcc, 8, v23
	v_cndmask_b32_e32 v23, v32, v35, vcc
	v_cndmask_b32_e32 v30, v30, v34, vcc
	v_lshlrev_b32_e32 v32, 24, v28
	v_lshlrev_b32_e32 v30, 20, v30
	v_and_b32_e32 v32, 0x80000000, v32
	v_lshl_add_u32 v23, v23, 23, v33
	v_or3_b32 v32, v32, v23, v30
.LBB670_67:                             ;   in Loop: Header=BB670_15 Depth=1
	s_or_b64 exec, exec, s[12:13]
.LBB670_68:                             ;   in Loop: Header=BB670_15 Depth=1
	s_or_b64 exec, exec, s[6:7]
.LBB670_69:                             ;   in Loop: Header=BB670_15 Depth=1
	s_or_b64 exec, exec, s[4:5]
	v_lshrrev_b16_e32 v30, 8, v28
	v_cmp_ne_u16_e32 vcc, 0, v30
	v_mov_b32_e32 v34, 0
	v_mov_b32_e32 v35, 0
	s_and_saveexec_b64 s[4:5], vcc
	s_cbranch_execz .LBB670_75
; %bb.70:                               ;   in Loop: Header=BB670_15 Depth=1
	v_cmp_ne_u16_e32 vcc, s15, v30
	v_bfrev_b32_e32 v35, 1
	s_and_saveexec_b64 s[6:7], vcc
	s_cbranch_execz .LBB670_74
; %bb.71:                               ;   in Loop: Header=BB670_15 Depth=1
	v_and_b32_e32 v23, 0x7f, v30
	v_cmp_ne_u32_e32 vcc, s16, v23
	v_mov_b32_e32 v35, 0x7f800001
	s_and_saveexec_b64 s[12:13], vcc
	s_cbranch_execz .LBB670_73
; %bb.72:                               ;   in Loop: Header=BB670_15 Depth=1
	v_and_b32_e32 v35, 7, v30
	v_ffbh_u32_e32 v36, v35
	v_min_u32_e32 v39, 32, v36
	v_subrev_u32_e32 v36, 28, v39
	v_lshlrev_b64 v[36:37], v36, v[30:31]
	v_lshrrev_b32_e32 v38, 3, v23
	v_sub_u32_e32 v30, 29, v39
	v_and_b32_e32 v36, 7, v36
	v_cmp_gt_u32_e32 vcc, 8, v23
	v_cndmask_b32_e32 v23, v38, v30, vcc
	v_cndmask_b32_e32 v30, v35, v36, vcc
	v_lshlrev_b32_e32 v35, 16, v28
	v_lshlrev_b32_e32 v30, 20, v30
	v_and_b32_e32 v35, 0x80000000, v35
	v_lshl_add_u32 v23, v23, 23, v33
	v_or3_b32 v35, v35, v23, v30
.LBB670_73:                             ;   in Loop: Header=BB670_15 Depth=1
	s_or_b64 exec, exec, s[12:13]
.LBB670_74:                             ;   in Loop: Header=BB670_15 Depth=1
	s_or_b64 exec, exec, s[6:7]
.LBB670_75:                             ;   in Loop: Header=BB670_15 Depth=1
	s_or_b64 exec, exec, s[4:5]
	v_lshrrev_b32_e32 v30, 16, v28
	v_cmp_ne_u16_sdwa s[6:7], v30, v29 src0_sel:BYTE_0 src1_sel:DWORD
	s_and_saveexec_b64 s[4:5], s[6:7]
	s_cbranch_execz .LBB670_81
; %bb.76:                               ;   in Loop: Header=BB670_15 Depth=1
	v_cmp_ne_u16_sdwa s[12:13], v30, s15 src0_sel:BYTE_0 src1_sel:DWORD
	v_bfrev_b32_e32 v34, 1
	s_and_saveexec_b64 s[6:7], s[12:13]
	s_cbranch_execz .LBB670_80
; %bb.77:                               ;   in Loop: Header=BB670_15 Depth=1
	v_bfe_u32 v23, v28, 16, 7
	v_cmp_ne_u32_e32 vcc, s16, v23
	v_mov_b32_e32 v34, 0x7f800001
	s_and_saveexec_b64 s[12:13], vcc
	s_cbranch_execz .LBB670_79
; %bb.78:                               ;   in Loop: Header=BB670_15 Depth=1
	v_and_b32_e32 v34, 7, v30
	v_ffbh_u32_e32 v36, v34
	v_min_u32_e32 v39, 32, v36
	v_subrev_u32_e32 v36, 28, v39
	v_lshlrev_b64 v[36:37], v36, v[30:31]
	v_lshrrev_b32_e32 v38, 3, v23
	v_sub_u32_e32 v37, 29, v39
	v_and_b32_e32 v36, 7, v36
	v_cmp_gt_u32_e32 vcc, 8, v23
	v_cndmask_b32_e32 v23, v38, v37, vcc
	v_cndmask_b32_e32 v34, v34, v36, vcc
	v_lshlrev_b32_e32 v30, 24, v30
	v_lshlrev_b32_e32 v34, 20, v34
	v_and_b32_e32 v30, 0x80000000, v30
	v_lshl_add_u32 v23, v23, 23, v33
	v_or3_b32 v34, v30, v23, v34
.LBB670_79:                             ;   in Loop: Header=BB670_15 Depth=1
	s_or_b64 exec, exec, s[12:13]
.LBB670_80:                             ;   in Loop: Header=BB670_15 Depth=1
	s_or_b64 exec, exec, s[6:7]
.LBB670_81:                             ;   in Loop: Header=BB670_15 Depth=1
	s_or_b64 exec, exec, s[4:5]
	v_cmp_lt_u32_e32 vcc, s17, v28
	v_mov_b32_e32 v36, 0
	v_mov_b32_e32 v37, 0
	s_and_saveexec_b64 s[4:5], vcc
	s_cbranch_execz .LBB670_87
; %bb.82:                               ;   in Loop: Header=BB670_15 Depth=1
	v_lshrrev_b32_e32 v30, 24, v28
	v_cmp_ne_u32_e32 vcc, s15, v30
	v_bfrev_b32_e32 v37, 1
	s_and_saveexec_b64 s[6:7], vcc
	s_cbranch_execz .LBB670_86
; %bb.83:                               ;   in Loop: Header=BB670_15 Depth=1
	v_bfe_u32 v23, v28, 24, 7
	v_cmp_ne_u32_e32 vcc, s16, v23
	v_mov_b32_e32 v37, 0x7f800001
	s_and_saveexec_b64 s[12:13], vcc
	s_cbranch_execz .LBB670_85
; %bb.84:                               ;   in Loop: Header=BB670_15 Depth=1
	v_and_b32_e32 v28, 7, v30
	v_ffbh_u32_e32 v38, v28
	v_min_u32_e32 v40, 32, v38
	v_subrev_u32_e32 v38, 28, v40
	v_lshlrev_b64 v[38:39], v38, v[30:31]
	v_lshrrev_b32_e32 v37, 3, v23
	v_sub_u32_e32 v39, 29, v40
	v_and_b32_e32 v38, 7, v38
	v_cmp_gt_u32_e32 vcc, 8, v23
	v_cndmask_b32_e32 v23, v37, v39, vcc
	v_cndmask_b32_e32 v28, v28, v38, vcc
	v_lshlrev_b32_e32 v30, 24, v30
	v_lshlrev_b32_e32 v28, 20, v28
	v_and_b32_e32 v30, 0x80000000, v30
	v_lshl_add_u32 v23, v23, 23, v33
	v_or3_b32 v37, v30, v23, v28
.LBB670_85:                             ;   in Loop: Header=BB670_15 Depth=1
	s_or_b64 exec, exec, s[12:13]
.LBB670_86:                             ;   in Loop: Header=BB670_15 Depth=1
	s_or_b64 exec, exec, s[6:7]
.LBB670_87:                             ;   in Loop: Header=BB670_15 Depth=1
	s_or_b64 exec, exec, s[4:5]
	s_waitcnt vmcnt(0)
	v_cmp_ne_u16_sdwa s[6:7], v26, v29 src0_sel:BYTE_0 src1_sel:DWORD
	s_and_saveexec_b64 s[4:5], s[6:7]
	s_cbranch_execz .LBB670_93
; %bb.88:                               ;   in Loop: Header=BB670_15 Depth=1
	v_cmp_ne_u16_sdwa s[12:13], v26, s15 src0_sel:BYTE_0 src1_sel:DWORD
	v_bfrev_b32_e32 v36, 1
	s_and_saveexec_b64 s[6:7], s[12:13]
	s_cbranch_execz .LBB670_92
; %bb.89:                               ;   in Loop: Header=BB670_15 Depth=1
	v_and_b32_e32 v23, 0x7f, v26
	v_cmp_ne_u32_e32 vcc, s16, v23
	v_mov_b32_e32 v36, 0x7f800001
	s_and_saveexec_b64 s[12:13], vcc
	s_cbranch_execz .LBB670_91
; %bb.90:                               ;   in Loop: Header=BB670_15 Depth=1
	v_and_b32_e32 v28, 7, v26
	v_ffbh_u32_e32 v36, v28
	v_min_u32_e32 v36, 32, v36
	v_subrev_u32_e32 v38, 28, v36
	v_lshlrev_b64 v[38:39], v38, v[26:27]
	v_lshrrev_b32_e32 v30, 3, v23
	v_sub_u32_e32 v36, 29, v36
	v_and_b32_e32 v38, 7, v38
	v_cmp_gt_u32_e32 vcc, 8, v23
	v_cndmask_b32_e32 v23, v30, v36, vcc
	v_cndmask_b32_e32 v28, v28, v38, vcc
	v_lshlrev_b32_e32 v30, 24, v26
	v_lshlrev_b32_e32 v28, 20, v28
	v_and_b32_e32 v30, 0x80000000, v30
	v_lshl_add_u32 v23, v23, 23, v33
	v_or3_b32 v36, v30, v23, v28
.LBB670_91:                             ;   in Loop: Header=BB670_15 Depth=1
	s_or_b64 exec, exec, s[12:13]
.LBB670_92:                             ;   in Loop: Header=BB670_15 Depth=1
	s_or_b64 exec, exec, s[6:7]
.LBB670_93:                             ;   in Loop: Header=BB670_15 Depth=1
	s_or_b64 exec, exec, s[4:5]
	v_lshrrev_b16_e32 v28, 8, v26
	v_cmp_ne_u16_e32 vcc, 0, v28
	v_mov_b32_e32 v38, 0
	v_mov_b32_e32 v39, 0
	s_and_saveexec_b64 s[4:5], vcc
	s_cbranch_execz .LBB670_99
; %bb.94:                               ;   in Loop: Header=BB670_15 Depth=1
	v_cmp_ne_u16_e32 vcc, s15, v28
	v_bfrev_b32_e32 v39, 1
	s_and_saveexec_b64 s[6:7], vcc
	s_cbranch_execz .LBB670_98
; %bb.95:                               ;   in Loop: Header=BB670_15 Depth=1
	v_and_b32_e32 v23, 0x7f, v28
	v_cmp_ne_u32_e32 vcc, s16, v23
	v_mov_b32_e32 v39, 0x7f800001
	s_and_saveexec_b64 s[12:13], vcc
	s_cbranch_execz .LBB670_97
; %bb.96:                               ;   in Loop: Header=BB670_15 Depth=1
	v_and_b32_e32 v30, 7, v28
	v_ffbh_u32_e32 v40, v30
	v_min_u32_e32 v42, 32, v40
	v_subrev_u32_e32 v40, 28, v42
	v_lshlrev_b64 v[40:41], v40, v[28:29]
	v_lshrrev_b32_e32 v39, 3, v23
	v_sub_u32_e32 v28, 29, v42
	v_and_b32_e32 v40, 7, v40
	v_cmp_gt_u32_e32 vcc, 8, v23
	v_cndmask_b32_e32 v23, v39, v28, vcc
	v_cndmask_b32_e32 v28, v30, v40, vcc
	v_lshlrev_b32_e32 v30, 16, v26
	v_lshlrev_b32_e32 v28, 20, v28
	v_and_b32_e32 v30, 0x80000000, v30
	v_lshl_add_u32 v23, v23, 23, v33
	v_or3_b32 v39, v30, v23, v28
.LBB670_97:                             ;   in Loop: Header=BB670_15 Depth=1
	s_or_b64 exec, exec, s[12:13]
.LBB670_98:                             ;   in Loop: Header=BB670_15 Depth=1
	s_or_b64 exec, exec, s[6:7]
.LBB670_99:                             ;   in Loop: Header=BB670_15 Depth=1
	s_or_b64 exec, exec, s[4:5]
	v_lshrrev_b32_e32 v28, 16, v26
	v_cmp_ne_u16_sdwa s[6:7], v28, v29 src0_sel:BYTE_0 src1_sel:DWORD
	s_and_saveexec_b64 s[4:5], s[6:7]
	s_cbranch_execz .LBB670_105
; %bb.100:                              ;   in Loop: Header=BB670_15 Depth=1
	v_cmp_ne_u16_sdwa s[12:13], v28, s15 src0_sel:BYTE_0 src1_sel:DWORD
	v_bfrev_b32_e32 v38, 1
	s_and_saveexec_b64 s[6:7], s[12:13]
	s_cbranch_execz .LBB670_104
; %bb.101:                              ;   in Loop: Header=BB670_15 Depth=1
	v_bfe_u32 v23, v26, 16, 7
	v_cmp_ne_u32_e32 vcc, s16, v23
	v_mov_b32_e32 v38, 0x7f800001
	s_and_saveexec_b64 s[12:13], vcc
	s_cbranch_execz .LBB670_103
; %bb.102:                              ;   in Loop: Header=BB670_15 Depth=1
	v_and_b32_e32 v30, 7, v28
	v_ffbh_u32_e32 v40, v30
	v_min_u32_e32 v42, 32, v40
	v_subrev_u32_e32 v40, 28, v42
	v_lshlrev_b64 v[40:41], v40, v[28:29]
	v_lshrrev_b32_e32 v38, 3, v23
	v_sub_u32_e32 v41, 29, v42
	v_and_b32_e32 v40, 7, v40
	v_cmp_gt_u32_e32 vcc, 8, v23
	v_cndmask_b32_e32 v23, v38, v41, vcc
	v_cndmask_b32_e32 v30, v30, v40, vcc
	v_lshlrev_b32_e32 v28, 24, v28
	v_lshlrev_b32_e32 v30, 20, v30
	v_and_b32_e32 v28, 0x80000000, v28
	v_lshl_add_u32 v23, v23, 23, v33
	v_or3_b32 v38, v28, v23, v30
.LBB670_103:                            ;   in Loop: Header=BB670_15 Depth=1
	s_or_b64 exec, exec, s[12:13]
.LBB670_104:                            ;   in Loop: Header=BB670_15 Depth=1
	s_or_b64 exec, exec, s[6:7]
.LBB670_105:                            ;   in Loop: Header=BB670_15 Depth=1
	s_or_b64 exec, exec, s[4:5]
	v_cmp_lt_u32_e32 vcc, s17, v26
	v_mov_b32_e32 v23, 0
	v_mov_b32_e32 v40, 0
	s_and_saveexec_b64 s[4:5], vcc
	s_cbranch_execz .LBB670_111
; %bb.106:                              ;   in Loop: Header=BB670_15 Depth=1
	v_lshrrev_b32_e32 v28, 24, v26
	v_cmp_ne_u32_e32 vcc, s15, v28
	v_bfrev_b32_e32 v40, 1
	s_and_saveexec_b64 s[6:7], vcc
	s_cbranch_execz .LBB670_110
; %bb.107:                              ;   in Loop: Header=BB670_15 Depth=1
	v_bfe_u32 v26, v26, 24, 7
	v_cmp_ne_u32_e32 vcc, s16, v26
	v_mov_b32_e32 v40, 0x7f800001
	s_and_saveexec_b64 s[12:13], vcc
	s_cbranch_execz .LBB670_109
; %bb.108:                              ;   in Loop: Header=BB670_15 Depth=1
	v_and_b32_e32 v30, 7, v28
	v_ffbh_u32_e32 v40, v30
	v_min_u32_e32 v43, 32, v40
	v_subrev_u32_e32 v40, 28, v43
	v_lshlrev_b64 v[40:41], v40, v[28:29]
	v_lshrrev_b32_e32 v42, 3, v26
	v_sub_u32_e32 v41, 29, v43
	v_and_b32_e32 v40, 7, v40
	v_cmp_gt_u32_e32 vcc, 8, v26
	v_cndmask_b32_e32 v26, v42, v41, vcc
	v_cndmask_b32_e32 v30, v30, v40, vcc
	v_lshlrev_b32_e32 v28, 24, v28
	v_lshlrev_b32_e32 v30, 20, v30
	v_and_b32_e32 v28, 0x80000000, v28
	v_lshl_add_u32 v26, v26, 23, v33
	v_or3_b32 v40, v28, v26, v30
.LBB670_109:                            ;   in Loop: Header=BB670_15 Depth=1
	s_or_b64 exec, exec, s[12:13]
.LBB670_110:                            ;   in Loop: Header=BB670_15 Depth=1
	s_or_b64 exec, exec, s[6:7]
.LBB670_111:                            ;   in Loop: Header=BB670_15 Depth=1
	s_or_b64 exec, exec, s[4:5]
	v_cvt_pkrtz_f16_f32 v42, v32, v35
	buffer_load_dword v32, v27, s[0:3], 0 offen offset:16
	buffer_load_dword v30, v27, s[0:3], 0 offen offset:20
	;; [unrolled: 1-line block ×4, first 2 shown]
	v_cvt_pkrtz_f16_f32 v43, v34, v37
	v_cvt_pkrtz_f16_f32 v34, v36, v39
	;; [unrolled: 1-line block ×3, first 2 shown]
	v_mfma_f32_16x16x16f16 v[18:21], v[42:43], v[6:7], v[18:21]
	s_waitcnt vmcnt(3)
	v_cmp_ne_u16_sdwa s[6:7], v32, v29 src0_sel:BYTE_0 src1_sel:DWORD
	v_mfma_f32_16x16x16f16 v[18:21], v[34:35], v[8:9], v[18:21]
	s_and_saveexec_b64 s[4:5], s[6:7]
	s_cbranch_execz .LBB670_117
; %bb.112:                              ;   in Loop: Header=BB670_15 Depth=1
	v_cmp_ne_u16_sdwa s[12:13], v32, s15 src0_sel:BYTE_0 src1_sel:DWORD
	v_bfrev_b32_e32 v23, 1
	s_and_saveexec_b64 s[6:7], s[12:13]
	s_cbranch_execz .LBB670_116
; %bb.113:                              ;   in Loop: Header=BB670_15 Depth=1
	v_and_b32_e32 v34, 0x7f, v32
	v_cmp_ne_u32_e32 vcc, s16, v34
	v_mov_b32_e32 v23, 0x7f800001
	s_and_saveexec_b64 s[12:13], vcc
	s_cbranch_execz .LBB670_115
; %bb.114:                              ;   in Loop: Header=BB670_15 Depth=1
	v_and_b32_e32 v23, 7, v32
	v_ffbh_u32_e32 v36, v23
	v_min_u32_e32 v38, 32, v36
	v_subrev_u32_e32 v36, 28, v38
	v_lshlrev_b64 v[36:37], v36, v[32:33]
	v_lshrrev_b32_e32 v35, 3, v34
	v_sub_u32_e32 v37, 29, v38
	v_and_b32_e32 v36, 7, v36
	v_cmp_gt_u32_e32 vcc, 8, v34
	v_cndmask_b32_e32 v34, v35, v37, vcc
	v_cndmask_b32_e32 v23, v23, v36, vcc
	v_lshlrev_b32_e32 v35, 24, v32
	v_lshlrev_b32_e32 v23, 20, v23
	v_and_b32_e32 v35, 0x80000000, v35
	v_lshl_add_u32 v34, v34, 23, v33
	v_or3_b32 v23, v35, v34, v23
.LBB670_115:                            ;   in Loop: Header=BB670_15 Depth=1
	s_or_b64 exec, exec, s[12:13]
.LBB670_116:                            ;   in Loop: Header=BB670_15 Depth=1
	s_or_b64 exec, exec, s[6:7]
.LBB670_117:                            ;   in Loop: Header=BB670_15 Depth=1
	s_or_b64 exec, exec, s[4:5]
	v_lshrrev_b16_e32 v34, 8, v32
	v_cmp_ne_u16_e32 vcc, 0, v34
	v_mov_b32_e32 v35, 0
	v_mov_b32_e32 v36, 0
	s_and_saveexec_b64 s[4:5], vcc
	s_cbranch_execz .LBB670_123
; %bb.118:                              ;   in Loop: Header=BB670_15 Depth=1
	v_cmp_ne_u16_e32 vcc, s15, v34
	v_bfrev_b32_e32 v36, 1
	s_and_saveexec_b64 s[6:7], vcc
	s_cbranch_execz .LBB670_122
; %bb.119:                              ;   in Loop: Header=BB670_15 Depth=1
	v_and_b32_e32 v37, 0x7f, v34
	v_cmp_ne_u32_e32 vcc, s16, v37
	v_mov_b32_e32 v36, 0x7f800001
	s_and_saveexec_b64 s[12:13], vcc
	s_cbranch_execz .LBB670_121
; %bb.120:                              ;   in Loop: Header=BB670_15 Depth=1
	v_and_b32_e32 v36, 7, v34
	v_ffbh_u32_e32 v38, v36
	v_min_u32_e32 v41, 32, v38
	v_subrev_u32_e32 v38, 28, v41
	v_lshlrev_b64 v[38:39], v38, v[34:35]
	v_lshrrev_b32_e32 v40, 3, v37
	v_sub_u32_e32 v34, 29, v41
	v_and_b32_e32 v38, 7, v38
	v_cmp_gt_u32_e32 vcc, 8, v37
	v_cndmask_b32_e32 v34, v40, v34, vcc
	v_cndmask_b32_e32 v36, v36, v38, vcc
	v_lshlrev_b32_e32 v37, 16, v32
	v_lshlrev_b32_e32 v36, 20, v36
	v_and_b32_e32 v37, 0x80000000, v37
	v_lshl_add_u32 v34, v34, 23, v33
	v_or3_b32 v36, v37, v34, v36
.LBB670_121:                            ;   in Loop: Header=BB670_15 Depth=1
	s_or_b64 exec, exec, s[12:13]
.LBB670_122:                            ;   in Loop: Header=BB670_15 Depth=1
	s_or_b64 exec, exec, s[6:7]
.LBB670_123:                            ;   in Loop: Header=BB670_15 Depth=1
	s_or_b64 exec, exec, s[4:5]
	v_lshrrev_b32_e32 v34, 16, v32
	v_cmp_ne_u16_sdwa s[6:7], v34, v29 src0_sel:BYTE_0 src1_sel:DWORD
	s_and_saveexec_b64 s[4:5], s[6:7]
	s_cbranch_execz .LBB670_129
; %bb.124:                              ;   in Loop: Header=BB670_15 Depth=1
	v_cmp_ne_u16_sdwa s[12:13], v34, s15 src0_sel:BYTE_0 src1_sel:DWORD
	v_bfrev_b32_e32 v35, 1
	s_and_saveexec_b64 s[6:7], s[12:13]
	s_cbranch_execz .LBB670_128
; %bb.125:                              ;   in Loop: Header=BB670_15 Depth=1
	v_bfe_u32 v37, v32, 16, 7
	v_cmp_ne_u32_e32 vcc, s16, v37
	v_mov_b32_e32 v35, 0x7f800001
	s_and_saveexec_b64 s[12:13], vcc
	s_cbranch_execz .LBB670_127
; %bb.126:                              ;   in Loop: Header=BB670_15 Depth=1
	v_and_b32_e32 v35, 7, v34
	v_ffbh_u32_e32 v38, v35
	v_min_u32_e32 v41, 32, v38
	v_subrev_u32_e32 v38, 28, v41
	v_lshlrev_b64 v[38:39], v38, v[34:35]
	v_lshrrev_b32_e32 v40, 3, v37
	v_sub_u32_e32 v39, 29, v41
	v_and_b32_e32 v38, 7, v38
	v_cmp_gt_u32_e32 vcc, 8, v37
	v_cndmask_b32_e32 v37, v40, v39, vcc
	v_cndmask_b32_e32 v35, v35, v38, vcc
	v_lshlrev_b32_e32 v34, 24, v34
	v_lshlrev_b32_e32 v35, 20, v35
	v_and_b32_e32 v34, 0x80000000, v34
	v_lshl_add_u32 v37, v37, 23, v33
	v_or3_b32 v35, v34, v37, v35
.LBB670_127:                            ;   in Loop: Header=BB670_15 Depth=1
	s_or_b64 exec, exec, s[12:13]
.LBB670_128:                            ;   in Loop: Header=BB670_15 Depth=1
	s_or_b64 exec, exec, s[6:7]
.LBB670_129:                            ;   in Loop: Header=BB670_15 Depth=1
	s_or_b64 exec, exec, s[4:5]
	v_cmp_lt_u32_e32 vcc, s17, v32
	v_mov_b32_e32 v37, 0
	v_mov_b32_e32 v38, 0
	s_and_saveexec_b64 s[4:5], vcc
	s_cbranch_execz .LBB670_135
; %bb.130:                              ;   in Loop: Header=BB670_15 Depth=1
	v_lshrrev_b32_e32 v34, 24, v32
	v_cmp_ne_u32_e32 vcc, s15, v34
	v_bfrev_b32_e32 v38, 1
	s_and_saveexec_b64 s[6:7], vcc
	s_cbranch_execz .LBB670_134
; %bb.131:                              ;   in Loop: Header=BB670_15 Depth=1
	v_bfe_u32 v32, v32, 24, 7
	v_cmp_ne_u32_e32 vcc, s16, v32
	v_mov_b32_e32 v38, 0x7f800001
	s_and_saveexec_b64 s[12:13], vcc
	s_cbranch_execz .LBB670_133
; %bb.132:                              ;   in Loop: Header=BB670_15 Depth=1
	v_and_b32_e32 v40, 7, v34
	v_ffbh_u32_e32 v38, v40
	v_min_u32_e32 v42, 32, v38
	v_subrev_u32_e32 v38, 28, v42
	v_lshlrev_b64 v[38:39], v38, v[34:35]
	v_lshrrev_b32_e32 v41, 3, v32
	v_sub_u32_e32 v39, 29, v42
	v_and_b32_e32 v38, 7, v38
	v_cmp_gt_u32_e32 vcc, 8, v32
	v_cndmask_b32_e32 v32, v41, v39, vcc
	v_cndmask_b32_e32 v38, v40, v38, vcc
	v_lshlrev_b32_e32 v34, 24, v34
	v_lshlrev_b32_e32 v38, 20, v38
	v_and_b32_e32 v34, 0x80000000, v34
	v_lshl_add_u32 v32, v32, 23, v33
	v_or3_b32 v38, v34, v32, v38
.LBB670_133:                            ;   in Loop: Header=BB670_15 Depth=1
	s_or_b64 exec, exec, s[12:13]
.LBB670_134:                            ;   in Loop: Header=BB670_15 Depth=1
	s_or_b64 exec, exec, s[6:7]
.LBB670_135:                            ;   in Loop: Header=BB670_15 Depth=1
	s_or_b64 exec, exec, s[4:5]
	s_waitcnt vmcnt(2)
	v_cmp_ne_u16_sdwa s[6:7], v30, v29 src0_sel:BYTE_0 src1_sel:DWORD
	s_and_saveexec_b64 s[4:5], s[6:7]
	s_cbranch_execz .LBB670_141
; %bb.136:                              ;   in Loop: Header=BB670_15 Depth=1
	v_cmp_ne_u16_sdwa s[12:13], v30, s15 src0_sel:BYTE_0 src1_sel:DWORD
	v_bfrev_b32_e32 v37, 1
	s_and_saveexec_b64 s[6:7], s[12:13]
	s_cbranch_execz .LBB670_140
; %bb.137:                              ;   in Loop: Header=BB670_15 Depth=1
	v_and_b32_e32 v32, 0x7f, v30
	v_cmp_ne_u32_e32 vcc, s16, v32
	v_mov_b32_e32 v37, 0x7f800001
	s_and_saveexec_b64 s[12:13], vcc
	s_cbranch_execz .LBB670_139
; %bb.138:                              ;   in Loop: Header=BB670_15 Depth=1
	v_and_b32_e32 v34, 7, v30
	v_ffbh_u32_e32 v39, v34
	v_min_u32_e32 v39, 32, v39
	v_subrev_u32_e32 v40, 28, v39
	v_lshlrev_b64 v[40:41], v40, v[30:31]
	v_lshrrev_b32_e32 v37, 3, v32
	v_sub_u32_e32 v39, 29, v39
	v_and_b32_e32 v40, 7, v40
	v_cmp_gt_u32_e32 vcc, 8, v32
	v_cndmask_b32_e32 v32, v37, v39, vcc
	v_cndmask_b32_e32 v34, v34, v40, vcc
	v_lshlrev_b32_e32 v37, 24, v30
	v_lshlrev_b32_e32 v34, 20, v34
	v_and_b32_e32 v37, 0x80000000, v37
	v_lshl_add_u32 v32, v32, 23, v33
	v_or3_b32 v37, v37, v32, v34
.LBB670_139:                            ;   in Loop: Header=BB670_15 Depth=1
	s_or_b64 exec, exec, s[12:13]
.LBB670_140:                            ;   in Loop: Header=BB670_15 Depth=1
	s_or_b64 exec, exec, s[6:7]
.LBB670_141:                            ;   in Loop: Header=BB670_15 Depth=1
	s_or_b64 exec, exec, s[4:5]
	v_lshrrev_b16_e32 v32, 8, v30
	v_cmp_ne_u16_e32 vcc, 0, v32
	v_mov_b32_e32 v39, 0
	v_mov_b32_e32 v40, 0
	s_and_saveexec_b64 s[4:5], vcc
	s_cbranch_execz .LBB670_147
; %bb.142:                              ;   in Loop: Header=BB670_15 Depth=1
	v_cmp_ne_u16_e32 vcc, s15, v32
	v_bfrev_b32_e32 v40, 1
	s_and_saveexec_b64 s[6:7], vcc
	s_cbranch_execz .LBB670_146
; %bb.143:                              ;   in Loop: Header=BB670_15 Depth=1
	v_and_b32_e32 v34, 0x7f, v32
	v_cmp_ne_u32_e32 vcc, s16, v34
	v_mov_b32_e32 v40, 0x7f800001
	s_and_saveexec_b64 s[12:13], vcc
	s_cbranch_execz .LBB670_145
; %bb.144:                              ;   in Loop: Header=BB670_15 Depth=1
	v_and_b32_e32 v42, 7, v32
	v_ffbh_u32_e32 v40, v42
	v_min_u32_e32 v44, 32, v40
	v_subrev_u32_e32 v40, 28, v44
	v_lshlrev_b64 v[40:41], v40, v[32:33]
	v_lshrrev_b32_e32 v43, 3, v34
	v_sub_u32_e32 v32, 29, v44
	v_and_b32_e32 v40, 7, v40
	v_cmp_gt_u32_e32 vcc, 8, v34
	v_cndmask_b32_e32 v32, v43, v32, vcc
	v_cndmask_b32_e32 v34, v42, v40, vcc
	v_lshlrev_b32_e32 v40, 16, v30
	v_lshlrev_b32_e32 v34, 20, v34
	v_and_b32_e32 v40, 0x80000000, v40
	v_lshl_add_u32 v32, v32, 23, v33
	v_or3_b32 v40, v40, v32, v34
.LBB670_145:                            ;   in Loop: Header=BB670_15 Depth=1
	s_or_b64 exec, exec, s[12:13]
.LBB670_146:                            ;   in Loop: Header=BB670_15 Depth=1
	s_or_b64 exec, exec, s[6:7]
.LBB670_147:                            ;   in Loop: Header=BB670_15 Depth=1
	s_or_b64 exec, exec, s[4:5]
	v_lshrrev_b32_e32 v32, 16, v30
	v_cmp_ne_u16_sdwa s[6:7], v32, v29 src0_sel:BYTE_0 src1_sel:DWORD
	s_and_saveexec_b64 s[4:5], s[6:7]
	s_cbranch_execz .LBB670_153
; %bb.148:                              ;   in Loop: Header=BB670_15 Depth=1
	v_cmp_ne_u16_sdwa s[12:13], v32, s15 src0_sel:BYTE_0 src1_sel:DWORD
	v_bfrev_b32_e32 v39, 1
	s_and_saveexec_b64 s[6:7], s[12:13]
	s_cbranch_execz .LBB670_152
; %bb.149:                              ;   in Loop: Header=BB670_15 Depth=1
	v_bfe_u32 v34, v30, 16, 7
	v_cmp_ne_u32_e32 vcc, s16, v34
	v_mov_b32_e32 v39, 0x7f800001
	s_and_saveexec_b64 s[12:13], vcc
	s_cbranch_execz .LBB670_151
; %bb.150:                              ;   in Loop: Header=BB670_15 Depth=1
	v_and_b32_e32 v39, 7, v32
	v_ffbh_u32_e32 v42, v39
	v_min_u32_e32 v44, 32, v42
	v_subrev_u32_e32 v42, 28, v44
	v_lshlrev_b64 v[42:43], v42, v[32:33]
	v_lshrrev_b32_e32 v41, 3, v34
	v_sub_u32_e32 v43, 29, v44
	v_and_b32_e32 v42, 7, v42
	v_cmp_gt_u32_e32 vcc, 8, v34
	v_cndmask_b32_e32 v34, v41, v43, vcc
	v_cndmask_b32_e32 v39, v39, v42, vcc
	v_lshlrev_b32_e32 v32, 24, v32
	v_lshlrev_b32_e32 v39, 20, v39
	v_and_b32_e32 v32, 0x80000000, v32
	v_lshl_add_u32 v34, v34, 23, v33
	v_or3_b32 v39, v32, v34, v39
.LBB670_151:                            ;   in Loop: Header=BB670_15 Depth=1
	s_or_b64 exec, exec, s[12:13]
.LBB670_152:                            ;   in Loop: Header=BB670_15 Depth=1
	s_or_b64 exec, exec, s[6:7]
.LBB670_153:                            ;   in Loop: Header=BB670_15 Depth=1
	s_or_b64 exec, exec, s[4:5]
	v_cmp_lt_u32_e32 vcc, s17, v30
	v_mov_b32_e32 v34, 0
	v_mov_b32_e32 v41, 0
	s_and_saveexec_b64 s[4:5], vcc
	s_cbranch_execz .LBB670_159
; %bb.154:                              ;   in Loop: Header=BB670_15 Depth=1
	v_lshrrev_b32_e32 v32, 24, v30
	v_cmp_ne_u32_e32 vcc, s15, v32
	v_bfrev_b32_e32 v41, 1
	s_and_saveexec_b64 s[6:7], vcc
	s_cbranch_execz .LBB670_158
; %bb.155:                              ;   in Loop: Header=BB670_15 Depth=1
	v_bfe_u32 v30, v30, 24, 7
	v_cmp_ne_u32_e32 vcc, s16, v30
	v_mov_b32_e32 v41, 0x7f800001
	s_and_saveexec_b64 s[12:13], vcc
	s_cbranch_execz .LBB670_157
; %bb.156:                              ;   in Loop: Header=BB670_15 Depth=1
	v_and_b32_e32 v41, 7, v32
	v_ffbh_u32_e32 v42, v41
	v_min_u32_e32 v45, 32, v42
	v_subrev_u32_e32 v42, 28, v45
	v_lshlrev_b64 v[42:43], v42, v[32:33]
	v_lshrrev_b32_e32 v44, 3, v30
	v_sub_u32_e32 v43, 29, v45
	v_and_b32_e32 v42, 7, v42
	v_cmp_gt_u32_e32 vcc, 8, v30
	v_cndmask_b32_e32 v30, v44, v43, vcc
	v_cndmask_b32_e32 v41, v41, v42, vcc
	v_lshlrev_b32_e32 v32, 24, v32
	v_lshlrev_b32_e32 v41, 20, v41
	v_and_b32_e32 v32, 0x80000000, v32
	v_lshl_add_u32 v30, v30, 23, v33
	v_or3_b32 v41, v32, v30, v41
.LBB670_157:                            ;   in Loop: Header=BB670_15 Depth=1
	s_or_b64 exec, exec, s[12:13]
.LBB670_158:                            ;   in Loop: Header=BB670_15 Depth=1
	s_or_b64 exec, exec, s[6:7]
.LBB670_159:                            ;   in Loop: Header=BB670_15 Depth=1
	s_or_b64 exec, exec, s[4:5]
	v_cvt_pkrtz_f16_f32 v42, v23, v36
	v_cvt_pkrtz_f16_f32 v43, v35, v38
	;; [unrolled: 1-line block ×4, first 2 shown]
	s_waitcnt vmcnt(1)
	v_cmp_ne_u16_sdwa s[6:7], v28, v29 src0_sel:BYTE_0 src1_sel:DWORD
	v_mfma_f32_16x16x16f16 v[18:21], v[42:43], v[10:11], v[18:21]
	v_mfma_f32_16x16x16f16 v[18:21], v[36:37], v[12:13], v[18:21]
	s_and_saveexec_b64 s[4:5], s[6:7]
	s_cbranch_execz .LBB670_165
; %bb.160:                              ;   in Loop: Header=BB670_15 Depth=1
	v_cmp_ne_u16_sdwa s[12:13], v28, s15 src0_sel:BYTE_0 src1_sel:DWORD
	v_bfrev_b32_e32 v34, 1
	s_and_saveexec_b64 s[6:7], s[12:13]
	s_cbranch_execz .LBB670_164
; %bb.161:                              ;   in Loop: Header=BB670_15 Depth=1
	v_and_b32_e32 v23, 0x7f, v28
	v_cmp_ne_u32_e32 vcc, s16, v23
	v_mov_b32_e32 v34, 0x7f800001
	s_and_saveexec_b64 s[12:13], vcc
	s_cbranch_execz .LBB670_163
; %bb.162:                              ;   in Loop: Header=BB670_15 Depth=1
	v_and_b32_e32 v30, 7, v28
	v_ffbh_u32_e32 v34, v30
	v_min_u32_e32 v36, 32, v34
	v_subrev_u32_e32 v34, 28, v36
	v_lshlrev_b64 v[34:35], v34, v[28:29]
	v_lshrrev_b32_e32 v32, 3, v23
	v_sub_u32_e32 v35, 29, v36
	v_and_b32_e32 v34, 7, v34
	v_cmp_gt_u32_e32 vcc, 8, v23
	v_cndmask_b32_e32 v23, v32, v35, vcc
	v_cndmask_b32_e32 v30, v30, v34, vcc
	v_lshlrev_b32_e32 v32, 24, v28
	v_lshlrev_b32_e32 v30, 20, v30
	v_and_b32_e32 v32, 0x80000000, v32
	v_lshl_add_u32 v23, v23, 23, v33
	v_or3_b32 v34, v32, v23, v30
.LBB670_163:                            ;   in Loop: Header=BB670_15 Depth=1
	s_or_b64 exec, exec, s[12:13]
.LBB670_164:                            ;   in Loop: Header=BB670_15 Depth=1
	s_or_b64 exec, exec, s[6:7]
.LBB670_165:                            ;   in Loop: Header=BB670_15 Depth=1
	s_or_b64 exec, exec, s[4:5]
	v_lshrrev_b16_e32 v30, 8, v28
	v_cmp_ne_u16_e32 vcc, 0, v30
	v_mov_b32_e32 v23, 0
	v_mov_b32_e32 v32, 0
	s_and_saveexec_b64 s[4:5], vcc
	s_cbranch_execz .LBB670_171
; %bb.166:                              ;   in Loop: Header=BB670_15 Depth=1
	v_cmp_ne_u16_e32 vcc, s15, v30
	v_bfrev_b32_e32 v32, 1
	s_and_saveexec_b64 s[6:7], vcc
	s_cbranch_execz .LBB670_170
; %bb.167:                              ;   in Loop: Header=BB670_15 Depth=1
	v_and_b32_e32 v35, 0x7f, v30
	v_cmp_ne_u32_e32 vcc, s16, v35
	v_mov_b32_e32 v32, 0x7f800001
	s_and_saveexec_b64 s[12:13], vcc
	s_cbranch_execz .LBB670_169
; %bb.168:                              ;   in Loop: Header=BB670_15 Depth=1
	v_and_b32_e32 v32, 7, v30
	v_ffbh_u32_e32 v36, v32
	v_min_u32_e32 v39, 32, v36
	v_subrev_u32_e32 v36, 28, v39
	v_lshlrev_b64 v[36:37], v36, v[30:31]
	v_lshrrev_b32_e32 v38, 3, v35
	v_sub_u32_e32 v30, 29, v39
	v_and_b32_e32 v36, 7, v36
	v_cmp_gt_u32_e32 vcc, 8, v35
	v_cndmask_b32_e32 v30, v38, v30, vcc
	v_cndmask_b32_e32 v32, v32, v36, vcc
	v_lshlrev_b32_e32 v35, 16, v28
	v_lshlrev_b32_e32 v32, 20, v32
	v_and_b32_e32 v35, 0x80000000, v35
	v_lshl_add_u32 v30, v30, 23, v33
	v_or3_b32 v32, v35, v30, v32
.LBB670_169:                            ;   in Loop: Header=BB670_15 Depth=1
	s_or_b64 exec, exec, s[12:13]
.LBB670_170:                            ;   in Loop: Header=BB670_15 Depth=1
	s_or_b64 exec, exec, s[6:7]
.LBB670_171:                            ;   in Loop: Header=BB670_15 Depth=1
	s_or_b64 exec, exec, s[4:5]
	v_lshrrev_b32_e32 v30, 16, v28
	v_cmp_ne_u16_sdwa s[6:7], v30, v29 src0_sel:BYTE_0 src1_sel:DWORD
	s_and_saveexec_b64 s[4:5], s[6:7]
	s_cbranch_execz .LBB670_177
; %bb.172:                              ;   in Loop: Header=BB670_15 Depth=1
	v_cmp_ne_u16_sdwa s[12:13], v30, s15 src0_sel:BYTE_0 src1_sel:DWORD
	v_bfrev_b32_e32 v23, 1
	s_and_saveexec_b64 s[6:7], s[12:13]
	s_cbranch_execz .LBB670_176
; %bb.173:                              ;   in Loop: Header=BB670_15 Depth=1
	v_bfe_u32 v35, v28, 16, 7
	v_cmp_ne_u32_e32 vcc, s16, v35
	v_mov_b32_e32 v23, 0x7f800001
	s_and_saveexec_b64 s[12:13], vcc
	s_cbranch_execz .LBB670_175
; %bb.174:                              ;   in Loop: Header=BB670_15 Depth=1
	v_and_b32_e32 v23, 7, v30
	v_ffbh_u32_e32 v36, v23
	v_min_u32_e32 v39, 32, v36
	v_subrev_u32_e32 v36, 28, v39
	v_lshlrev_b64 v[36:37], v36, v[30:31]
	v_lshrrev_b32_e32 v38, 3, v35
	v_sub_u32_e32 v37, 29, v39
	v_and_b32_e32 v36, 7, v36
	v_cmp_gt_u32_e32 vcc, 8, v35
	v_cndmask_b32_e32 v35, v38, v37, vcc
	v_cndmask_b32_e32 v23, v23, v36, vcc
	v_lshlrev_b32_e32 v30, 24, v30
	v_lshlrev_b32_e32 v23, 20, v23
	v_and_b32_e32 v30, 0x80000000, v30
	v_lshl_add_u32 v35, v35, 23, v33
	v_or3_b32 v23, v30, v35, v23
.LBB670_175:                            ;   in Loop: Header=BB670_15 Depth=1
	s_or_b64 exec, exec, s[12:13]
.LBB670_176:                            ;   in Loop: Header=BB670_15 Depth=1
	s_or_b64 exec, exec, s[6:7]
.LBB670_177:                            ;   in Loop: Header=BB670_15 Depth=1
	s_or_b64 exec, exec, s[4:5]
	v_cmp_lt_u32_e32 vcc, s17, v28
	v_mov_b32_e32 v35, 0
	v_mov_b32_e32 v36, 0
	s_and_saveexec_b64 s[4:5], vcc
	s_cbranch_execz .LBB670_183
; %bb.178:                              ;   in Loop: Header=BB670_15 Depth=1
	v_lshrrev_b32_e32 v30, 24, v28
	v_cmp_ne_u32_e32 vcc, s15, v30
	v_bfrev_b32_e32 v36, 1
	s_and_saveexec_b64 s[6:7], vcc
	s_cbranch_execz .LBB670_182
; %bb.179:                              ;   in Loop: Header=BB670_15 Depth=1
	v_bfe_u32 v28, v28, 24, 7
	v_cmp_ne_u32_e32 vcc, s16, v28
	v_mov_b32_e32 v36, 0x7f800001
	s_and_saveexec_b64 s[12:13], vcc
	s_cbranch_execz .LBB670_181
; %bb.180:                              ;   in Loop: Header=BB670_15 Depth=1
	v_and_b32_e32 v38, 7, v30
	v_ffbh_u32_e32 v36, v38
	v_min_u32_e32 v40, 32, v36
	v_subrev_u32_e32 v36, 28, v40
	v_lshlrev_b64 v[36:37], v36, v[30:31]
	v_lshrrev_b32_e32 v39, 3, v28
	v_sub_u32_e32 v37, 29, v40
	v_and_b32_e32 v36, 7, v36
	v_cmp_gt_u32_e32 vcc, 8, v28
	v_cndmask_b32_e32 v28, v39, v37, vcc
	v_cndmask_b32_e32 v36, v38, v36, vcc
	v_lshlrev_b32_e32 v30, 24, v30
	v_lshlrev_b32_e32 v36, 20, v36
	v_and_b32_e32 v30, 0x80000000, v30
	v_lshl_add_u32 v28, v28, 23, v33
	v_or3_b32 v36, v30, v28, v36
.LBB670_181:                            ;   in Loop: Header=BB670_15 Depth=1
	s_or_b64 exec, exec, s[12:13]
.LBB670_182:                            ;   in Loop: Header=BB670_15 Depth=1
	s_or_b64 exec, exec, s[6:7]
.LBB670_183:                            ;   in Loop: Header=BB670_15 Depth=1
	s_or_b64 exec, exec, s[4:5]
	s_waitcnt vmcnt(0)
	v_cmp_ne_u16_sdwa s[6:7], v26, v29 src0_sel:BYTE_0 src1_sel:DWORD
	s_and_saveexec_b64 s[4:5], s[6:7]
	s_cbranch_execz .LBB670_189
; %bb.184:                              ;   in Loop: Header=BB670_15 Depth=1
	v_cmp_ne_u16_sdwa s[12:13], v26, s15 src0_sel:BYTE_0 src1_sel:DWORD
	v_bfrev_b32_e32 v35, 1
	s_and_saveexec_b64 s[6:7], s[12:13]
	s_cbranch_execz .LBB670_188
; %bb.185:                              ;   in Loop: Header=BB670_15 Depth=1
	v_and_b32_e32 v28, 0x7f, v26
	v_cmp_ne_u32_e32 vcc, s16, v28
	v_mov_b32_e32 v35, 0x7f800001
	s_and_saveexec_b64 s[12:13], vcc
	s_cbranch_execz .LBB670_187
; %bb.186:                              ;   in Loop: Header=BB670_15 Depth=1
	v_and_b32_e32 v30, 7, v26
	v_ffbh_u32_e32 v37, v30
	v_min_u32_e32 v37, 32, v37
	v_subrev_u32_e32 v38, 28, v37
	v_lshlrev_b64 v[38:39], v38, v[26:27]
	v_lshrrev_b32_e32 v35, 3, v28
	v_sub_u32_e32 v37, 29, v37
	v_and_b32_e32 v38, 7, v38
	v_cmp_gt_u32_e32 vcc, 8, v28
	v_cndmask_b32_e32 v28, v35, v37, vcc
	v_cndmask_b32_e32 v30, v30, v38, vcc
	v_lshlrev_b32_e32 v35, 24, v26
	v_lshlrev_b32_e32 v30, 20, v30
	v_and_b32_e32 v35, 0x80000000, v35
	v_lshl_add_u32 v28, v28, 23, v33
	v_or3_b32 v35, v35, v28, v30
.LBB670_187:                            ;   in Loop: Header=BB670_15 Depth=1
	s_or_b64 exec, exec, s[12:13]
.LBB670_188:                            ;   in Loop: Header=BB670_15 Depth=1
	s_or_b64 exec, exec, s[6:7]
.LBB670_189:                            ;   in Loop: Header=BB670_15 Depth=1
	s_or_b64 exec, exec, s[4:5]
	v_lshrrev_b16_e32 v28, 8, v26
	v_cmp_ne_u16_e32 vcc, 0, v28
	v_mov_b32_e32 v30, 0
	v_mov_b32_e32 v37, 0
	s_and_saveexec_b64 s[4:5], vcc
	s_cbranch_execz .LBB670_195
; %bb.190:                              ;   in Loop: Header=BB670_15 Depth=1
	v_cmp_ne_u16_e32 vcc, s15, v28
	v_bfrev_b32_e32 v37, 1
	s_and_saveexec_b64 s[6:7], vcc
	s_cbranch_execz .LBB670_194
; %bb.191:                              ;   in Loop: Header=BB670_15 Depth=1
	v_and_b32_e32 v38, 0x7f, v28
	v_cmp_ne_u32_e32 vcc, s16, v38
	v_mov_b32_e32 v37, 0x7f800001
	s_and_saveexec_b64 s[12:13], vcc
	s_cbranch_execz .LBB670_193
; %bb.192:                              ;   in Loop: Header=BB670_15 Depth=1
	v_and_b32_e32 v37, 7, v28
	v_ffbh_u32_e32 v40, v37
	v_min_u32_e32 v42, 32, v40
	v_subrev_u32_e32 v40, 28, v42
	v_lshlrev_b64 v[40:41], v40, v[28:29]
	v_lshrrev_b32_e32 v39, 3, v38
	v_sub_u32_e32 v28, 29, v42
	v_and_b32_e32 v40, 7, v40
	v_cmp_gt_u32_e32 vcc, 8, v38
	v_cndmask_b32_e32 v28, v39, v28, vcc
	v_cndmask_b32_e32 v37, v37, v40, vcc
	v_lshlrev_b32_e32 v38, 16, v26
	v_lshlrev_b32_e32 v37, 20, v37
	v_and_b32_e32 v38, 0x80000000, v38
	v_lshl_add_u32 v28, v28, 23, v33
	v_or3_b32 v37, v38, v28, v37
.LBB670_193:                            ;   in Loop: Header=BB670_15 Depth=1
	s_or_b64 exec, exec, s[12:13]
.LBB670_194:                            ;   in Loop: Header=BB670_15 Depth=1
	s_or_b64 exec, exec, s[6:7]
.LBB670_195:                            ;   in Loop: Header=BB670_15 Depth=1
	s_or_b64 exec, exec, s[4:5]
	v_lshrrev_b32_e32 v28, 16, v26
	v_cmp_ne_u16_sdwa s[6:7], v28, v29 src0_sel:BYTE_0 src1_sel:DWORD
	s_and_saveexec_b64 s[4:5], s[6:7]
	s_cbranch_execz .LBB670_201
; %bb.196:                              ;   in Loop: Header=BB670_15 Depth=1
	v_cmp_ne_u16_sdwa s[12:13], v28, s15 src0_sel:BYTE_0 src1_sel:DWORD
	v_bfrev_b32_e32 v30, 1
	s_and_saveexec_b64 s[6:7], s[12:13]
	s_cbranch_execz .LBB670_200
; %bb.197:                              ;   in Loop: Header=BB670_15 Depth=1
	v_bfe_u32 v38, v26, 16, 7
	v_cmp_ne_u32_e32 vcc, s16, v38
	v_mov_b32_e32 v30, 0x7f800001
	s_and_saveexec_b64 s[12:13], vcc
	s_cbranch_execz .LBB670_199
; %bb.198:                              ;   in Loop: Header=BB670_15 Depth=1
	v_and_b32_e32 v30, 7, v28
	v_ffbh_u32_e32 v40, v30
	v_min_u32_e32 v42, 32, v40
	v_subrev_u32_e32 v40, 28, v42
	v_lshlrev_b64 v[40:41], v40, v[28:29]
	v_lshrrev_b32_e32 v39, 3, v38
	v_sub_u32_e32 v41, 29, v42
	v_and_b32_e32 v40, 7, v40
	v_cmp_gt_u32_e32 vcc, 8, v38
	v_cndmask_b32_e32 v38, v39, v41, vcc
	v_cndmask_b32_e32 v30, v30, v40, vcc
	v_lshlrev_b32_e32 v28, 24, v28
	v_lshlrev_b32_e32 v30, 20, v30
	v_and_b32_e32 v28, 0x80000000, v28
	v_lshl_add_u32 v38, v38, 23, v33
	v_or3_b32 v30, v28, v38, v30
.LBB670_199:                            ;   in Loop: Header=BB670_15 Depth=1
	s_or_b64 exec, exec, s[12:13]
.LBB670_200:                            ;   in Loop: Header=BB670_15 Depth=1
	s_or_b64 exec, exec, s[6:7]
.LBB670_201:                            ;   in Loop: Header=BB670_15 Depth=1
	s_or_b64 exec, exec, s[4:5]
	v_cmp_lt_u32_e32 vcc, s17, v26
	v_mov_b32_e32 v38, 0
	s_and_saveexec_b64 s[4:5], vcc
	s_cbranch_execz .LBB670_14
; %bb.202:                              ;   in Loop: Header=BB670_15 Depth=1
	v_lshrrev_b32_e32 v28, 24, v26
	v_cmp_ne_u32_e32 vcc, s15, v28
	v_bfrev_b32_e32 v38, 1
	s_and_saveexec_b64 s[6:7], vcc
	s_cbranch_execz .LBB670_13
; %bb.203:                              ;   in Loop: Header=BB670_15 Depth=1
	v_bfe_u32 v26, v26, 24, 7
	v_cmp_ne_u32_e32 vcc, s16, v26
	v_mov_b32_e32 v38, 0x7f800001
	s_and_saveexec_b64 s[12:13], vcc
	s_cbranch_execz .LBB670_12
; %bb.204:                              ;   in Loop: Header=BB670_15 Depth=1
	v_and_b32_e32 v40, 7, v28
	v_ffbh_u32_e32 v38, v40
	v_min_u32_e32 v42, 32, v38
	v_subrev_u32_e32 v38, 28, v42
	v_lshlrev_b64 v[38:39], v38, v[28:29]
	v_lshrrev_b32_e32 v41, 3, v26
	v_sub_u32_e32 v39, 29, v42
	v_and_b32_e32 v38, 7, v38
	v_cmp_gt_u32_e32 vcc, 8, v26
	v_cndmask_b32_e32 v26, v41, v39, vcc
	v_cndmask_b32_e32 v38, v40, v38, vcc
	v_lshlrev_b32_e32 v28, 24, v28
	v_lshlrev_b32_e32 v38, 20, v38
	v_and_b32_e32 v28, 0x80000000, v28
	v_lshl_add_u32 v26, v26, 23, v33
	v_or3_b32 v38, v28, v26, v38
	s_branch .LBB670_12
.LBB670_205:
	buffer_load_dword v13, off, s[0:3], 0 offset:256
	buffer_load_dword v14, off, s[0:3], 0 offset:260
	buffer_load_dword v15, off, s[0:3], 0 offset:264
	buffer_load_dword v16, off, s[0:3], 0 offset:268
	buffer_load_dword v17, off, s[0:3], 0 offset:272
	buffer_load_dword v18, off, s[0:3], 0 offset:276
	buffer_load_dword v11, off, s[0:3], 0 offset:280
	buffer_load_dword v10, off, s[0:3], 0 offset:284
	buffer_load_dword v9, off, s[0:3], 0 offset:288
	buffer_load_dword v8, off, s[0:3], 0 offset:292
	buffer_load_dword v7, off, s[0:3], 0 offset:296
	buffer_load_dword v6, off, s[0:3], 0 offset:300
	buffer_load_dword v5, off, s[0:3], 0 offset:304
	buffer_load_dword v4, off, s[0:3], 0 offset:308
	buffer_load_dword v3, off, s[0:3], 0 offset:312
	buffer_load_dword v2, off, s[0:3], 0 offset:316
	v_and_b32_e32 v12, 0xc0, v0
	v_add_u32_e32 v12, s20, v12
	v_lshl_or_b32 v12, v50, 2, v12
	v_or_b32_e32 v23, 1, v12
	v_mov_b32_e32 v19, 0xff7fffff
	v_or_b32_e32 v24, 2, v12
	v_or_b32_e32 v25, 3, v12
	v_cmp_gt_i32_e64 s[26:27], s33, v12
	v_cmp_gt_i32_e64 s[28:29], s33, v23
	s_mov_b32 s52, 0xff7fffff
	v_or_b32_e32 v26, 16, v12
	v_or_b32_e32 v27, 17, v12
	;; [unrolled: 1-line block ×12, first 2 shown]
	v_cmp_gt_i32_e64 s[30:31], s33, v24
	v_cmp_gt_i32_e64 s[34:35], s33, v25
	v_mbcnt_lo_u32_b32 v20, -1, 0
	v_cmp_gt_i32_e64 s[36:37], s33, v26
	v_cmp_gt_i32_e64 s[38:39], s33, v27
	v_mbcnt_hi_u32_b32 v20, -1, v20
	v_cmp_gt_i32_e64 s[20:21], s33, v28
	v_cmp_gt_i32_e64 s[22:23], s33, v29
	v_and_b32_e32 v21, 64, v20
	v_cmp_gt_i32_e64 s[16:17], s33, v30
	v_cmp_gt_i32_e64 s[18:19], s33, v31
	v_xor_b32_e32 v22, 32, v20
	v_add_u32_e32 v21, 64, v21
	v_cmp_gt_i32_e64 s[12:13], s33, v32
	v_cmp_gt_i32_e64 s[14:15], s33, v33
	v_cmp_lt_i32_e32 vcc, v22, v21
	v_cmp_gt_i32_e64 s[6:7], s33, v34
	v_cmp_gt_i32_e64 s[24:25], s33, v35
	v_cndmask_b32_e32 v22, v20, v22, vcc
	v_cmp_gt_i32_e32 vcc, s33, v36
	v_cmp_gt_i32_e64 s[4:5], s33, v37
	v_lshlrev_b32_e32 v22, 2, v22
	s_waitcnt vmcnt(15)
	v_cndmask_b32_e64 v12, v19, v13, s[26:27]
	s_waitcnt vmcnt(14)
	v_cndmask_b32_e64 v23, v19, v14, s[28:29]
	;; [unrolled: 2-line block ×4, first 2 shown]
	v_max3_f32 v12, v12, s52, v23
	s_waitcnt vmcnt(11)
	v_cndmask_b32_e64 v26, v19, v17, s[36:37]
	s_waitcnt vmcnt(10)
	v_cndmask_b32_e64 v27, v19, v18, s[38:39]
	v_max3_f32 v12, v12, v24, v25
	s_waitcnt vmcnt(9)
	v_cndmask_b32_e64 v28, v19, v11, s[20:21]
	s_waitcnt vmcnt(8)
	v_cndmask_b32_e64 v29, v19, v10, s[22:23]
	;; [unrolled: 5-line block ×5, first 2 shown]
	v_max3_f32 v12, v12, v32, v33
	s_waitcnt vmcnt(1)
	v_cndmask_b32_e32 v36, v19, v3, vcc
	s_waitcnt vmcnt(0)
	v_cndmask_b32_e64 v19, v19, v2, s[4:5]
	v_max3_f32 v12, v12, v34, v35
	v_max3_f32 v12, v12, v36, v19
	ds_bpermute_b32 v19, v22, v12
	v_xor_b32_e32 v23, 16, v20
	v_cmp_lt_i32_e64 s[40:41], v23, v21
	v_cndmask_b32_e64 v20, v20, v23, s[40:41]
	v_lshlrev_b32_e32 v20, 2, v20
	s_waitcnt lgkmcnt(0)
	v_max_f32_e32 v19, v19, v19
	v_max_f32_e32 v12, v12, v19
	ds_bpermute_b32 v19, v20, v12
	s_waitcnt lgkmcnt(0)
	v_max_f32_e32 v19, v19, v19
	v_max_f32_e32 v12, v12, v19
	v_sub_f32_e32 v13, v13, v12
	v_sub_f32_e32 v14, v14, v12
	v_sub_f32_e32 v15, v15, v12
	v_mul_f32_e32 v13, 0x3fb8aa3b, v13
	v_mul_f32_e32 v14, 0x3fb8aa3b, v14
	;; [unrolled: 1-line block ×3, first 2 shown]
	v_exp_f32_e32 v13, v13
	v_exp_f32_e32 v14, v14
	;; [unrolled: 1-line block ×3, first 2 shown]
	v_sub_f32_e32 v16, v16, v12
	v_cndmask_b32_e64 v13, 0, v13, s[26:27]
	v_mul_f32_e32 v16, 0x3fb8aa3b, v16
	v_cndmask_b32_e64 v14, 0, v14, s[28:29]
	v_cndmask_b32_e64 v15, 0, v15, s[30:31]
	v_add_f32_e32 v19, 0, v13
	buffer_store_dword v13, off, s[0:3], 0 offset:256
	buffer_store_dword v14, off, s[0:3], 0 offset:260
	;; [unrolled: 1-line block ×3, first 2 shown]
	v_sub_f32_e32 v13, v17, v12
	v_exp_f32_e32 v16, v16
	v_add_f32_e32 v19, v19, v14
	v_mul_f32_e32 v13, 0x3fb8aa3b, v13
	v_sub_f32_e32 v14, v18, v12
	v_exp_f32_e32 v13, v13
	v_mul_f32_e32 v14, 0x3fb8aa3b, v14
	v_sub_f32_e32 v11, v11, v12
	v_exp_f32_e32 v14, v14
	;; [unrolled: 3-line block ×3, first 2 shown]
	v_mul_f32_e32 v10, 0x3fb8aa3b, v10
	v_sub_f32_e32 v9, v9, v12
	v_cndmask_b32_e64 v16, 0, v16, s[34:35]
	v_add_f32_e32 v19, v19, v15
	v_exp_f32_e32 v10, v10
	v_mul_f32_e32 v9, 0x3fb8aa3b, v9
	v_sub_f32_e32 v8, v8, v12
	v_add_f32_e32 v19, v19, v16
	v_cndmask_b32_e64 v13, 0, v13, s[36:37]
	v_exp_f32_e32 v9, v9
	v_mul_f32_e32 v8, 0x3fb8aa3b, v8
	v_sub_f32_e32 v7, v7, v12
	v_add_f32_e32 v15, v19, v13
	v_cndmask_b32_e64 v14, 0, v14, s[38:39]
	;; [unrolled: 5-line block ×5, first 2 shown]
	v_exp_f32_e32 v5, v5
	v_mul_f32_e32 v4, 0x3fb8aa3b, v4
	v_sub_f32_e32 v3, v3, v12
	buffer_store_dword v16, off, s[0:3], 0 offset:268
	buffer_store_dword v13, off, s[0:3], 0 offset:272
	buffer_store_dword v14, off, s[0:3], 0 offset:276
	buffer_store_dword v11, off, s[0:3], 0 offset:280
	buffer_store_dword v10, off, s[0:3], 0 offset:284
	v_add_f32_e32 v10, v15, v9
	v_cndmask_b32_e64 v8, 0, v8, s[18:19]
	v_exp_f32_e32 v4, v4
	v_mul_f32_e32 v3, 0x3fb8aa3b, v3
	v_sub_f32_e32 v2, v2, v12
	v_add_f32_e32 v10, v10, v8
	v_cndmask_b32_e64 v7, 0, v7, s[12:13]
	v_exp_f32_e32 v3, v3
	v_mul_f32_e32 v2, 0x3fb8aa3b, v2
	v_add_f32_e32 v10, v10, v7
	v_cndmask_b32_e64 v6, 0, v6, s[14:15]
	v_exp_f32_e32 v2, v2
	v_add_f32_e32 v10, v10, v6
	v_cndmask_b32_e64 v5, 0, v5, s[6:7]
	buffer_store_dword v9, off, s[0:3], 0 offset:288
	buffer_store_dword v8, off, s[0:3], 0 offset:292
	;; [unrolled: 1-line block ×4, first 2 shown]
	v_add_f32_e32 v6, v10, v5
	v_cndmask_b32_e64 v4, 0, v4, s[24:25]
	v_add_f32_e32 v6, v6, v4
	v_cndmask_b32_e32 v3, 0, v3, vcc
	v_add_f32_e32 v6, v6, v3
	v_cndmask_b32_e64 v2, 0, v2, s[4:5]
	v_add_f32_e32 v6, v6, v2
	ds_bpermute_b32 v7, v22, v6
	buffer_store_dword v5, off, s[0:3], 0 offset:304
	buffer_store_dword v4, off, s[0:3], 0 offset:308
	;; [unrolled: 1-line block ×4, first 2 shown]
	v_cmp_lt_u32_e64 s[4:5], 15, v62
	v_cmp_gt_u32_e32 vcc, 16, v62
	s_waitcnt lgkmcnt(0)
	v_add_f32_e32 v2, v6, v7
	ds_bpermute_b32 v3, v20, v2
	s_barrier
	s_waitcnt lgkmcnt(0)
	s_and_saveexec_b64 s[6:7], vcc
	s_cbranch_execz .LBB670_207
; %bb.206:
	v_add_f32_e32 v2, v2, v3
	v_lshlrev_b32_e32 v3, 2, v61
	ds_write2st64_b32 v3, v12, v2 offset1:1
.LBB670_207:
	s_or_b64 exec, exec, s[6:7]
	v_lshlrev_b32_e32 v2, 2, v51
	s_waitcnt lgkmcnt(0)
	s_barrier
	ds_read2_b32 v[10:11], v2 offset1:16
	ds_read2_b32 v[12:13], v2 offset0:32 offset1:48
	ds_read2_b32 v[6:7], v2 offset0:64 offset1:80
	;; [unrolled: 1-line block ×3, first 2 shown]
	s_waitcnt lgkmcnt(0)
	s_barrier
	buffer_load_dword v20, off, s[0:3], 0 offset:256
	buffer_load_dword v21, off, s[0:3], 0 offset:260
	;; [unrolled: 1-line block ×16, first 2 shown]
	v_lshlrev_b32_e32 v19, 3, v50
	v_lshlrev_b32_e32 v18, 5, v51
	;; [unrolled: 1-line block ×3, first 2 shown]
	v_or3_b32 v41, v28, v18, v19
	v_max3_f32 v19, v10, s52, v11
	v_max3_f32 v19, v19, v12, v13
	v_sub_f32_e32 v10, v10, v19
	v_sub_f32_e32 v11, v11, v19
	v_mul_f32_e32 v10, 0x3fb8aa3b, v10
	v_sub_f32_e32 v12, v12, v19
	v_mul_f32_e32 v11, 0x3fb8aa3b, v11
	v_exp_f32_e32 v10, v10
	v_sub_f32_e32 v13, v13, v19
	v_mul_f32_e32 v12, 0x3fb8aa3b, v12
	v_exp_f32_e32 v11, v11
	v_mul_f32_e32 v13, 0x3fb8aa3b, v13
	v_exp_f32_e32 v12, v12
	v_exp_f32_e32 v13, v13
	v_fma_f32 v6, v10, v6, 0
	v_fmac_f32_e32 v6, v11, v7
	v_cmp_eq_u32_e32 vcc, 1, v60
	v_fmac_f32_e32 v6, v12, v14
	v_cndmask_b32_e32 v10, v10, v11, vcc
	v_cmp_eq_u32_e32 vcc, 2, v60
	v_fmac_f32_e32 v6, v13, v15
	v_cndmask_b32_e32 v7, v10, v12, vcc
	v_add_f32_e32 v10, 0x358637bd, v6
	v_div_scale_f32 v11, s[6:7], v10, v10, 1.0
	v_rcp_f32_e32 v12, v11
	v_cmp_eq_u32_e32 vcc, 3, v60
	v_cndmask_b32_e32 v7, v7, v13, vcc
	v_div_scale_f32 v13, vcc, 1.0, v10, 1.0
	v_fma_f32 v14, -v11, v12, 1.0
	v_fmac_f32_e32 v12, v14, v12
	v_mul_f32_e32 v14, v13, v12
	v_fma_f32 v15, -v11, v14, v13
	v_fmac_f32_e32 v14, v15, v12
	v_fma_f32 v11, -v11, v14, v13
	v_div_fmas_f32 v11, v11, v12, v14
	v_div_fixup_f32 v10, v11, v10, 1.0
	v_mul_f32_e32 v10, v7, v10
	v_mov_b32_e32 v39, 0
	v_cmp_eq_u32_e32 vcc, 0, v0
	s_waitcnt vmcnt(14)
	v_pk_mul_f32 v[14:15], v[10:11], v[20:21] op_sel_hi:[0,1]
	v_cvt_f16_f32_e32 v7, v14
	s_waitcnt vmcnt(12)
	v_pk_mul_f32 v[12:13], v[10:11], v[22:23] op_sel_hi:[0,1]
	buffer_store_dword v14, off, s[0:3], 0 offset:256
	buffer_store_dword v15, off, s[0:3], 0 offset:260
	;; [unrolled: 1-line block ×3, first 2 shown]
	s_waitcnt vmcnt(13)
	v_pk_mul_f32 v[20:21], v[10:11], v[24:25] op_sel_hi:[0,1]
	v_cvt_f16_f32_e32 v14, v12
	s_waitcnt vmcnt(11)
	v_pk_mul_f32 v[22:23], v[10:11], v[26:27] op_sel_hi:[0,1]
	v_cvt_f16_f32_e32 v11, v15
	v_cvt_f16_f32_e32 v15, v13
	buffer_store_dword v13, off, s[0:3], 0 offset:268
	buffer_store_dword v22, off, s[0:3], 0 offset:272
	buffer_store_dword v23, off, s[0:3], 0 offset:276
	v_pack_b32_f16 v12, v7, v11
	v_cvt_f16_f32_e32 v11, v23
	v_pack_b32_f16 v13, v14, v15
	v_cvt_f16_f32_e32 v7, v22
	v_cvt_f16_f32_e32 v15, v20
	;; [unrolled: 1-line block ×3, first 2 shown]
	s_waitcnt vmcnt(12)
	v_pk_mul_f32 v[4:5], v[10:11], v[4:5] op_sel_hi:[0,1]
	v_pack_b32_f16 v14, v7, v11
	s_waitcnt vmcnt(10)
	v_pk_mul_f32 v[2:3], v[10:11], v[2:3] op_sel_hi:[0,1]
	v_pack_b32_f16 v15, v15, v22
	v_cvt_f16_f32_e32 v11, v5
	buffer_store_dword v20, off, s[0:3], 0 offset:280
	buffer_store_dword v21, off, s[0:3], 0 offset:284
	ds_write2st64_b64 v41, v[12:13], v[14:15] offset1:1
	buffer_store_dword v2, off, s[0:3], 0 offset:288
	buffer_store_dword v3, off, s[0:3], 0 offset:292
	v_cvt_f16_f32_e32 v2, v2
	v_cvt_f16_f32_e32 v3, v3
	;; [unrolled: 1-line block ×3, first 2 shown]
	buffer_store_dword v4, off, s[0:3], 0 offset:296
	buffer_store_dword v5, off, s[0:3], 0 offset:300
	s_waitcnt vmcnt(12)
	v_pk_mul_f32 v[4:5], v[10:11], v[16:17] op_sel_hi:[0,1]
	v_pk_mul_f32 v[8:9], v[10:11], v[8:9] op_sel_hi:[0,1]
	v_pack_b32_f16 v2, v2, v3
	v_pack_b32_f16 v3, v7, v11
	buffer_store_dword v8, off, s[0:3], 0 offset:304
	buffer_store_dword v9, off, s[0:3], 0 offset:308
	v_cvt_f16_f32_e32 v7, v8
	v_cvt_f16_f32_e32 v8, v9
	;; [unrolled: 1-line block ×4, first 2 shown]
	buffer_store_dword v4, off, s[0:3], 0 offset:312
	buffer_store_dword v5, off, s[0:3], 0 offset:316
	v_pack_b32_f16 v4, v7, v8
	v_pack_b32_f16 v5, v9, v10
	ds_write2st64_b64 v41, v[2:3], v[4:5] offset0:2 offset1:3
	s_and_saveexec_b64 s[6:7], vcc
	s_cbranch_execz .LBB670_209
; %bb.208:
	s_mul_i32 s9, s9, s51
	s_mul_hi_u32 s12, s8, s51
	s_add_i32 s12, s12, s9
	s_mul_i32 s9, s8, s51
	s_add_u32 s9, s9, s10
	s_addc_u32 s12, s12, 0
	s_mul_i32 s12, s12, s50
	s_mul_hi_u32 s13, s9, s50
	s_add_i32 s13, s13, s12
	s_mul_i32 s9, s9, s50
	s_add_u32 s12, s9, s11
	s_addc_u32 s13, s13, 0
	s_lshl_b64 s[12:13], s[12:13], 2
	s_add_u32 s14, s46, s12
	s_addc_u32 s15, s47, s13
	s_add_u32 s12, s44, s12
	s_addc_u32 s13, s45, s13
	global_store_dword v39, v19, s[14:15]
	global_store_dword v39, v6, s[12:13]
.LBB670_209:
	s_or_b64 exec, exec, s[6:7]
	v_lshl_or_b32 v30, v50, 9, v18
	s_waitcnt lgkmcnt(0)
	s_barrier
	s_load_dword s6, s[42:43], 0x0
	ds_read_b128 v[2:5], v30
	ds_read_b128 v[6:9], v30 offset:16
	ds_read_b128 v[10:13], v30 offset:2048
	ds_read_b128 v[14:17], v30 offset:2064
	ds_read_b128 v[18:21], v30 offset:4096
	ds_read_b128 v[22:25], v30 offset:4112
	ds_read_b128 v[26:29], v30 offset:6144
	ds_read_b128 v[30:33], v30 offset:6160
	v_mov_b32_e32 v35, 0x80
	v_mov_b32_e32 v43, 0x140
	s_mov_b64 s[14:15], -1
	s_waitcnt lgkmcnt(0)
	s_mov_b32 s7, s6
	s_mov_b32 s12, s6
	;; [unrolled: 1-line block ×3, first 2 shown]
	s_movk_i32 s9, 0x80
	s_movk_i32 s22, 0x7f
	s_mov_b32 s23, 0xffffff
	v_bfrev_b32_e32 v45, 60
	s_branch .LBB670_213
.LBB670_210:                            ;   in Loop: Header=BB670_213 Depth=1
	s_or_b64 exec, exec, s[20:21]
.LBB670_211:                            ;   in Loop: Header=BB670_213 Depth=1
	s_or_b64 exec, exec, s[18:19]
.LBB670_212:                            ;   in Loop: Header=BB670_213 Depth=1
	s_or_b64 exec, exec, s[16:17]
	v_cvt_pkrtz_f16_f32 v46, v46, v47
	v_cvt_pkrtz_f16_f32 v47, v44, v49
	s_xor_b64 s[16:17], s[14:15], -1
	s_mov_b64 s[14:15], 0
	v_mov_b32_e32 v59, v54
	v_mfma_f32_16x16x16f16 v[60:63], v[46:47], v[30:31], v[34:37]
	s_and_b64 vcc, exec, s[16:17]
	s_nop 5
	v_cvt_pkrtz_f16_f32 v36, v48, v57
	v_cvt_pkrtz_f16_f32 v37, v42, v58
	v_mov_b32_e32 v35, v53
	v_mov_b32_e32 v58, v55
	v_mfma_f32_16x16x16f16 v[46:49], v[36:37], v[32:33], v[60:63]
	v_mov_b32_e32 v57, v56
	s_nop 7
	s_nop 1
	v_pk_mul_f32 v[46:47], v[46:47], s[6:7]
	v_pk_mul_f32 v[36:37], v[48:49], s[12:13]
	v_cvt_f16_f32_e32 v34, v46
	v_cvt_f16_f32_e32 v38, v47
	;; [unrolled: 1-line block ×4, first 2 shown]
	v_pack_b32_f16 v34, v34, v38
	v_pack_b32_f16 v36, v36, v37
	buffer_store_dword v34, v43, s[0:3], 0 offen
	buffer_store_dword v36, v43, s[0:3], 0 offen offset:4
	v_mov_b32_e32 v43, 0x148
	s_cbranch_vccnz .LBB670_595
.LBB670_213:                            ; =>This Inner Loop Header: Depth=1
	buffer_load_dword v36, v35, s[0:3], 0 offen
	buffer_load_dword v34, v35, s[0:3], 0 offen offset:4
	buffer_load_dword v40, v35, s[0:3], 0 offen offset:8
	;; [unrolled: 1-line block ×3, first 2 shown]
	v_mov_b32_e32 v35, 0
	v_mov_b32_e32 v37, 0
	s_waitcnt vmcnt(3)
	v_cmp_ne_u16_sdwa s[18:19], v36, v39 src0_sel:BYTE_0 src1_sel:DWORD
	s_and_saveexec_b64 s[16:17], s[18:19]
	s_cbranch_execz .LBB670_219
; %bb.214:                              ;   in Loop: Header=BB670_213 Depth=1
	v_cmp_ne_u16_sdwa s[20:21], v36, s9 src0_sel:BYTE_0 src1_sel:DWORD
	v_bfrev_b32_e32 v37, 1
	s_and_saveexec_b64 s[18:19], s[20:21]
	s_cbranch_execz .LBB670_218
; %bb.215:                              ;   in Loop: Header=BB670_213 Depth=1
	v_and_b32_e32 v42, 0x7f, v36
	v_cmp_ne_u32_e32 vcc, s22, v42
	v_mov_b32_e32 v37, 0x7f800001
	s_and_saveexec_b64 s[20:21], vcc
	s_cbranch_execz .LBB670_217
; %bb.216:                              ;   in Loop: Header=BB670_213 Depth=1
	v_and_b32_e32 v37, 7, v36
	v_ffbh_u32_e32 v46, v37
	v_min_u32_e32 v48, 32, v46
	v_subrev_u32_e32 v46, 28, v48
	v_lshlrev_b64 v[46:47], v46, v[36:37]
	v_lshrrev_b32_e32 v44, 3, v42
	v_sub_u32_e32 v47, 29, v48
	v_and_b32_e32 v46, 7, v46
	v_cmp_gt_u32_e32 vcc, 8, v42
	v_cndmask_b32_e32 v42, v44, v47, vcc
	v_cndmask_b32_e32 v37, v37, v46, vcc
	v_lshlrev_b32_e32 v44, 24, v36
	v_lshlrev_b32_e32 v37, 20, v37
	v_and_b32_e32 v44, 0x80000000, v44
	v_lshl_add_u32 v42, v42, 23, v45
	v_or3_b32 v37, v44, v42, v37
.LBB670_217:                            ;   in Loop: Header=BB670_213 Depth=1
	s_or_b64 exec, exec, s[20:21]
.LBB670_218:                            ;   in Loop: Header=BB670_213 Depth=1
	s_or_b64 exec, exec, s[18:19]
.LBB670_219:                            ;   in Loop: Header=BB670_213 Depth=1
	s_or_b64 exec, exec, s[16:17]
	v_lshrrev_b16_e32 v42, 8, v36
	v_cmp_ne_u16_e32 vcc, 0, v42
	s_and_saveexec_b64 s[16:17], vcc
	s_cbranch_execz .LBB670_225
; %bb.220:                              ;   in Loop: Header=BB670_213 Depth=1
	v_cmp_ne_u16_e32 vcc, s9, v42
	v_bfrev_b32_e32 v35, 1
	s_and_saveexec_b64 s[18:19], vcc
	s_cbranch_execz .LBB670_224
; %bb.221:                              ;   in Loop: Header=BB670_213 Depth=1
	v_and_b32_e32 v44, 0x7f, v42
	v_cmp_ne_u32_e32 vcc, s22, v44
	v_mov_b32_e32 v35, 0x7f800001
	s_and_saveexec_b64 s[20:21], vcc
	s_cbranch_execz .LBB670_223
; %bb.222:                              ;   in Loop: Header=BB670_213 Depth=1
	v_and_b32_e32 v35, 7, v42
	v_ffbh_u32_e32 v46, v35
	v_min_u32_e32 v49, 32, v46
	v_subrev_u32_e32 v46, 28, v49
	v_lshlrev_b64 v[46:47], v46, v[42:43]
	v_lshrrev_b32_e32 v48, 3, v44
	v_sub_u32_e32 v42, 29, v49
	v_and_b32_e32 v46, 7, v46
	v_cmp_gt_u32_e32 vcc, 8, v44
	v_cndmask_b32_e32 v42, v48, v42, vcc
	v_cndmask_b32_e32 v35, v35, v46, vcc
	v_lshlrev_b32_e32 v44, 16, v36
	v_lshlrev_b32_e32 v35, 20, v35
	v_and_b32_e32 v44, 0x80000000, v44
	v_lshl_add_u32 v42, v42, 23, v45
	v_or3_b32 v35, v44, v42, v35
.LBB670_223:                            ;   in Loop: Header=BB670_213 Depth=1
	s_or_b64 exec, exec, s[20:21]
.LBB670_224:                            ;   in Loop: Header=BB670_213 Depth=1
	s_or_b64 exec, exec, s[18:19]
.LBB670_225:                            ;   in Loop: Header=BB670_213 Depth=1
	s_or_b64 exec, exec, s[16:17]
	v_lshrrev_b32_e32 v42, 16, v36
	v_cmp_ne_u16_sdwa s[18:19], v42, v39 src0_sel:BYTE_0 src1_sel:DWORD
	v_mov_b32_e32 v46, 0
	v_mov_b32_e32 v44, 0
	s_and_saveexec_b64 s[16:17], s[18:19]
	s_cbranch_execz .LBB670_231
; %bb.226:                              ;   in Loop: Header=BB670_213 Depth=1
	v_cmp_ne_u16_sdwa s[20:21], v42, s9 src0_sel:BYTE_0 src1_sel:DWORD
	v_bfrev_b32_e32 v44, 1
	s_and_saveexec_b64 s[18:19], s[20:21]
	s_cbranch_execz .LBB670_230
; %bb.227:                              ;   in Loop: Header=BB670_213 Depth=1
	v_bfe_u32 v47, v36, 16, 7
	v_cmp_ne_u32_e32 vcc, s22, v47
	v_mov_b32_e32 v44, 0x7f800001
	s_and_saveexec_b64 s[20:21], vcc
	s_cbranch_execz .LBB670_229
; %bb.228:                              ;   in Loop: Header=BB670_213 Depth=1
	v_and_b32_e32 v44, 7, v42
	v_ffbh_u32_e32 v48, v44
	v_min_u32_e32 v61, 32, v48
	v_subrev_u32_e32 v48, 28, v61
	v_lshlrev_b64 v[48:49], v48, v[42:43]
	v_lshrrev_b32_e32 v60, 3, v47
	v_sub_u32_e32 v49, 29, v61
	v_and_b32_e32 v48, 7, v48
	v_cmp_gt_u32_e32 vcc, 8, v47
	v_cndmask_b32_e32 v47, v60, v49, vcc
	v_cndmask_b32_e32 v44, v44, v48, vcc
	v_lshlrev_b32_e32 v42, 24, v42
	v_lshlrev_b32_e32 v44, 20, v44
	v_and_b32_e32 v42, 0x80000000, v42
	v_lshl_add_u32 v47, v47, 23, v45
	v_or3_b32 v44, v42, v47, v44
.LBB670_229:                            ;   in Loop: Header=BB670_213 Depth=1
	s_or_b64 exec, exec, s[20:21]
.LBB670_230:                            ;   in Loop: Header=BB670_213 Depth=1
	s_or_b64 exec, exec, s[18:19]
.LBB670_231:                            ;   in Loop: Header=BB670_213 Depth=1
	s_or_b64 exec, exec, s[16:17]
	v_cmp_lt_u32_e32 vcc, s23, v36
	s_and_saveexec_b64 s[16:17], vcc
	s_cbranch_execz .LBB670_237
; %bb.232:                              ;   in Loop: Header=BB670_213 Depth=1
	v_lshrrev_b32_e32 v42, 24, v36
	v_cmp_ne_u32_e32 vcc, s9, v42
	v_bfrev_b32_e32 v46, 1
	s_and_saveexec_b64 s[18:19], vcc
	s_cbranch_execz .LBB670_236
; %bb.233:                              ;   in Loop: Header=BB670_213 Depth=1
	v_bfe_u32 v36, v36, 24, 7
	v_cmp_ne_u32_e32 vcc, s22, v36
	v_mov_b32_e32 v46, 0x7f800001
	s_and_saveexec_b64 s[20:21], vcc
	s_cbranch_execz .LBB670_235
; %bb.234:                              ;   in Loop: Header=BB670_213 Depth=1
	v_and_b32_e32 v48, 7, v42
	v_ffbh_u32_e32 v46, v48
	v_min_u32_e32 v60, 32, v46
	v_subrev_u32_e32 v46, 28, v60
	v_lshlrev_b64 v[46:47], v46, v[42:43]
	v_lshrrev_b32_e32 v49, 3, v36
	v_sub_u32_e32 v47, 29, v60
	v_and_b32_e32 v46, 7, v46
	v_cmp_gt_u32_e32 vcc, 8, v36
	v_cndmask_b32_e32 v36, v49, v47, vcc
	v_cndmask_b32_e32 v46, v48, v46, vcc
	v_lshlrev_b32_e32 v42, 24, v42
	v_lshlrev_b32_e32 v46, 20, v46
	v_and_b32_e32 v42, 0x80000000, v42
	v_lshl_add_u32 v36, v36, 23, v45
	v_or3_b32 v46, v42, v36, v46
.LBB670_235:                            ;   in Loop: Header=BB670_213 Depth=1
	s_or_b64 exec, exec, s[20:21]
.LBB670_236:                            ;   in Loop: Header=BB670_213 Depth=1
	s_or_b64 exec, exec, s[18:19]
.LBB670_237:                            ;   in Loop: Header=BB670_213 Depth=1
	s_or_b64 exec, exec, s[16:17]
	s_waitcnt vmcnt(2)
	v_cmp_ne_u16_sdwa s[18:19], v34, v39 src0_sel:BYTE_0 src1_sel:DWORD
	v_mov_b32_e32 v42, 0
	v_mov_b32_e32 v47, 0
	s_and_saveexec_b64 s[16:17], s[18:19]
	s_cbranch_execz .LBB670_243
; %bb.238:                              ;   in Loop: Header=BB670_213 Depth=1
	v_cmp_ne_u16_sdwa s[20:21], v34, s9 src0_sel:BYTE_0 src1_sel:DWORD
	v_bfrev_b32_e32 v47, 1
	s_and_saveexec_b64 s[18:19], s[20:21]
	s_cbranch_execz .LBB670_242
; %bb.239:                              ;   in Loop: Header=BB670_213 Depth=1
	v_and_b32_e32 v36, 0x7f, v34
	v_cmp_ne_u32_e32 vcc, s22, v36
	v_mov_b32_e32 v47, 0x7f800001
	s_and_saveexec_b64 s[20:21], vcc
	s_cbranch_execz .LBB670_241
; %bb.240:                              ;   in Loop: Header=BB670_213 Depth=1
	v_and_b32_e32 v47, 7, v34
	v_ffbh_u32_e32 v48, v47
	v_min_u32_e32 v61, 32, v48
	v_subrev_u32_e32 v48, 28, v61
	v_lshlrev_b64 v[48:49], v48, v[34:35]
	v_lshrrev_b32_e32 v60, 3, v36
	v_sub_u32_e32 v49, 29, v61
	v_and_b32_e32 v48, 7, v48
	v_cmp_gt_u32_e32 vcc, 8, v36
	v_cndmask_b32_e32 v36, v60, v49, vcc
	v_cndmask_b32_e32 v47, v47, v48, vcc
	v_lshlrev_b32_e32 v48, 24, v34
	v_lshlrev_b32_e32 v47, 20, v47
	v_and_b32_e32 v48, 0x80000000, v48
	v_lshl_add_u32 v36, v36, 23, v45
	v_or3_b32 v47, v48, v36, v47
.LBB670_241:                            ;   in Loop: Header=BB670_213 Depth=1
	s_or_b64 exec, exec, s[20:21]
.LBB670_242:                            ;   in Loop: Header=BB670_213 Depth=1
	s_or_b64 exec, exec, s[18:19]
.LBB670_243:                            ;   in Loop: Header=BB670_213 Depth=1
	s_or_b64 exec, exec, s[16:17]
	v_lshrrev_b16_e32 v36, 8, v34
	v_cmp_ne_u16_e32 vcc, 0, v36
	s_and_saveexec_b64 s[16:17], vcc
	s_cbranch_execz .LBB670_249
; %bb.244:                              ;   in Loop: Header=BB670_213 Depth=1
	v_cmp_ne_u16_e32 vcc, s9, v36
	v_bfrev_b32_e32 v42, 1
	s_and_saveexec_b64 s[18:19], vcc
	s_cbranch_execz .LBB670_248
; %bb.245:                              ;   in Loop: Header=BB670_213 Depth=1
	v_and_b32_e32 v48, 0x7f, v36
	v_cmp_ne_u32_e32 vcc, s22, v48
	v_mov_b32_e32 v42, 0x7f800001
	s_and_saveexec_b64 s[20:21], vcc
	s_cbranch_execz .LBB670_247
; %bb.246:                              ;   in Loop: Header=BB670_213 Depth=1
	v_and_b32_e32 v42, 7, v36
	v_ffbh_u32_e32 v60, v42
	v_min_u32_e32 v62, 32, v60
	v_subrev_u32_e32 v60, 28, v62
	v_lshlrev_b64 v[60:61], v60, v[36:37]
	v_lshrrev_b32_e32 v49, 3, v48
	v_sub_u32_e32 v36, 29, v62
	v_and_b32_e32 v60, 7, v60
	v_cmp_gt_u32_e32 vcc, 8, v48
	v_cndmask_b32_e32 v36, v49, v36, vcc
	v_cndmask_b32_e32 v42, v42, v60, vcc
	v_lshlrev_b32_e32 v48, 16, v34
	v_lshlrev_b32_e32 v42, 20, v42
	v_and_b32_e32 v48, 0x80000000, v48
	v_lshl_add_u32 v36, v36, 23, v45
	v_or3_b32 v42, v48, v36, v42
.LBB670_247:                            ;   in Loop: Header=BB670_213 Depth=1
	s_or_b64 exec, exec, s[20:21]
.LBB670_248:                            ;   in Loop: Header=BB670_213 Depth=1
	s_or_b64 exec, exec, s[18:19]
.LBB670_249:                            ;   in Loop: Header=BB670_213 Depth=1
	s_or_b64 exec, exec, s[16:17]
	v_lshrrev_b32_e32 v36, 16, v34
	v_cmp_ne_u16_sdwa s[18:19], v36, v39 src0_sel:BYTE_0 src1_sel:DWORD
	v_mov_b32_e32 v49, 0
	v_mov_b32_e32 v48, 0
	s_and_saveexec_b64 s[16:17], s[18:19]
	s_cbranch_execz .LBB670_255
; %bb.250:                              ;   in Loop: Header=BB670_213 Depth=1
	v_cmp_ne_u16_sdwa s[20:21], v36, s9 src0_sel:BYTE_0 src1_sel:DWORD
	v_bfrev_b32_e32 v48, 1
	s_and_saveexec_b64 s[18:19], s[20:21]
	s_cbranch_execz .LBB670_254
; %bb.251:                              ;   in Loop: Header=BB670_213 Depth=1
	v_bfe_u32 v60, v34, 16, 7
	v_cmp_ne_u32_e32 vcc, s22, v60
	v_mov_b32_e32 v48, 0x7f800001
	s_and_saveexec_b64 s[20:21], vcc
	s_cbranch_execz .LBB670_253
; %bb.252:                              ;   in Loop: Header=BB670_213 Depth=1
	v_and_b32_e32 v48, 7, v36
	v_ffbh_u32_e32 v62, v48
	v_min_u32_e32 v64, 32, v62
	v_subrev_u32_e32 v62, 28, v64
	v_lshlrev_b64 v[62:63], v62, v[36:37]
	v_lshrrev_b32_e32 v61, 3, v60
	v_sub_u32_e32 v63, 29, v64
	v_and_b32_e32 v62, 7, v62
	v_cmp_gt_u32_e32 vcc, 8, v60
	v_cndmask_b32_e32 v60, v61, v63, vcc
	v_cndmask_b32_e32 v48, v48, v62, vcc
	v_lshlrev_b32_e32 v36, 24, v36
	v_lshlrev_b32_e32 v48, 20, v48
	v_and_b32_e32 v36, 0x80000000, v36
	v_lshl_add_u32 v60, v60, 23, v45
	v_or3_b32 v48, v36, v60, v48
.LBB670_253:                            ;   in Loop: Header=BB670_213 Depth=1
	s_or_b64 exec, exec, s[20:21]
.LBB670_254:                            ;   in Loop: Header=BB670_213 Depth=1
	s_or_b64 exec, exec, s[18:19]
.LBB670_255:                            ;   in Loop: Header=BB670_213 Depth=1
	s_or_b64 exec, exec, s[16:17]
	v_cmp_lt_u32_e32 vcc, s23, v34
	s_and_saveexec_b64 s[16:17], vcc
	s_cbranch_execz .LBB670_261
; %bb.256:                              ;   in Loop: Header=BB670_213 Depth=1
	v_lshrrev_b32_e32 v36, 24, v34
	v_cmp_ne_u32_e32 vcc, s9, v36
	v_bfrev_b32_e32 v49, 1
	s_and_saveexec_b64 s[18:19], vcc
	s_cbranch_execz .LBB670_260
; %bb.257:                              ;   in Loop: Header=BB670_213 Depth=1
	v_bfe_u32 v34, v34, 24, 7
	v_cmp_ne_u32_e32 vcc, s22, v34
	v_mov_b32_e32 v49, 0x7f800001
	s_and_saveexec_b64 s[20:21], vcc
	s_cbranch_execz .LBB670_259
; %bb.258:                              ;   in Loop: Header=BB670_213 Depth=1
	v_and_b32_e32 v49, 7, v36
	v_ffbh_u32_e32 v60, v49
	v_min_u32_e32 v63, 32, v60
	v_subrev_u32_e32 v60, 28, v63
	v_lshlrev_b64 v[60:61], v60, v[36:37]
	v_lshrrev_b32_e32 v62, 3, v34
	v_sub_u32_e32 v61, 29, v63
	v_and_b32_e32 v60, 7, v60
	v_cmp_gt_u32_e32 vcc, 8, v34
	v_cndmask_b32_e32 v34, v62, v61, vcc
	v_cndmask_b32_e32 v49, v49, v60, vcc
	v_lshlrev_b32_e32 v36, 24, v36
	v_lshlrev_b32_e32 v49, 20, v49
	v_and_b32_e32 v36, 0x80000000, v36
	v_lshl_add_u32 v34, v34, 23, v45
	v_or3_b32 v49, v36, v34, v49
.LBB670_259:                            ;   in Loop: Header=BB670_213 Depth=1
	s_or_b64 exec, exec, s[20:21]
.LBB670_260:                            ;   in Loop: Header=BB670_213 Depth=1
	s_or_b64 exec, exec, s[18:19]
.LBB670_261:                            ;   in Loop: Header=BB670_213 Depth=1
	s_or_b64 exec, exec, s[16:17]
	v_cvt_pkrtz_f16_f32 v34, v37, v35
	v_cvt_pkrtz_f16_f32 v35, v44, v46
	;; [unrolled: 1-line block ×4, first 2 shown]
	v_mov_b32_e32 v44, 0
	v_mfma_f32_16x16x16f16 v[34:37], v[34:35], v[2:3], 0
	s_waitcnt vmcnt(1)
	v_cmp_ne_u16_sdwa s[18:19], v40, v39 src0_sel:BYTE_0 src1_sel:DWORD
	v_mov_b32_e32 v46, 0
	v_mfma_f32_16x16x16f16 v[34:37], v[60:61], v[4:5], v[34:37]
	s_and_saveexec_b64 s[16:17], s[18:19]
	s_cbranch_execz .LBB670_267
; %bb.262:                              ;   in Loop: Header=BB670_213 Depth=1
	v_cmp_ne_u16_sdwa s[20:21], v40, s9 src0_sel:BYTE_0 src1_sel:DWORD
	v_bfrev_b32_e32 v46, 1
	s_and_saveexec_b64 s[18:19], s[20:21]
	s_cbranch_execz .LBB670_266
; %bb.263:                              ;   in Loop: Header=BB670_213 Depth=1
	v_and_b32_e32 v42, 0x7f, v40
	v_cmp_ne_u32_e32 vcc, s22, v42
	v_mov_b32_e32 v46, 0x7f800001
	s_and_saveexec_b64 s[20:21], vcc
	s_cbranch_execz .LBB670_265
; %bb.264:                              ;   in Loop: Header=BB670_213 Depth=1
	v_and_b32_e32 v48, 7, v40
	v_ffbh_u32_e32 v46, v48
	v_min_u32_e32 v60, 32, v46
	v_subrev_u32_e32 v46, 28, v60
	v_lshlrev_b64 v[46:47], v46, v[40:41]
	v_lshrrev_b32_e32 v49, 3, v42
	v_sub_u32_e32 v47, 29, v60
	v_and_b32_e32 v46, 7, v46
	v_cmp_gt_u32_e32 vcc, 8, v42
	v_cndmask_b32_e32 v42, v49, v47, vcc
	v_cndmask_b32_e32 v46, v48, v46, vcc
	v_lshlrev_b32_e32 v47, 24, v40
	v_lshlrev_b32_e32 v46, 20, v46
	v_and_b32_e32 v47, 0x80000000, v47
	v_lshl_add_u32 v42, v42, 23, v45
	v_or3_b32 v46, v47, v42, v46
.LBB670_265:                            ;   in Loop: Header=BB670_213 Depth=1
	s_or_b64 exec, exec, s[20:21]
.LBB670_266:                            ;   in Loop: Header=BB670_213 Depth=1
	s_or_b64 exec, exec, s[18:19]
.LBB670_267:                            ;   in Loop: Header=BB670_213 Depth=1
	s_or_b64 exec, exec, s[16:17]
	v_lshrrev_b16_e32 v42, 8, v40
	v_cmp_ne_u16_e32 vcc, 0, v42
	v_mov_b32_e32 v48, 0
	s_and_saveexec_b64 s[16:17], vcc
	s_cbranch_execz .LBB670_273
; %bb.268:                              ;   in Loop: Header=BB670_213 Depth=1
	v_cmp_ne_u16_e32 vcc, s9, v42
	v_bfrev_b32_e32 v48, 1
	s_and_saveexec_b64 s[18:19], vcc
	s_cbranch_execz .LBB670_272
; %bb.269:                              ;   in Loop: Header=BB670_213 Depth=1
	v_and_b32_e32 v47, 0x7f, v42
	v_cmp_ne_u32_e32 vcc, s22, v47
	v_mov_b32_e32 v48, 0x7f800001
	s_and_saveexec_b64 s[20:21], vcc
	s_cbranch_execz .LBB670_271
; %bb.270:                              ;   in Loop: Header=BB670_213 Depth=1
	v_and_b32_e32 v60, 7, v42
	v_ffbh_u32_e32 v48, v60
	v_min_u32_e32 v62, 32, v48
	v_subrev_u32_e32 v48, 28, v62
	v_lshlrev_b64 v[48:49], v48, v[42:43]
	v_lshrrev_b32_e32 v61, 3, v47
	v_sub_u32_e32 v42, 29, v62
	v_and_b32_e32 v48, 7, v48
	v_cmp_gt_u32_e32 vcc, 8, v47
	v_cndmask_b32_e32 v42, v61, v42, vcc
	v_cndmask_b32_e32 v47, v60, v48, vcc
	v_lshlrev_b32_e32 v48, 16, v40
	v_lshlrev_b32_e32 v47, 20, v47
	v_and_b32_e32 v48, 0x80000000, v48
	v_lshl_add_u32 v42, v42, 23, v45
	v_or3_b32 v48, v48, v42, v47
.LBB670_271:                            ;   in Loop: Header=BB670_213 Depth=1
	s_or_b64 exec, exec, s[20:21]
.LBB670_272:                            ;   in Loop: Header=BB670_213 Depth=1
	s_or_b64 exec, exec, s[18:19]
.LBB670_273:                            ;   in Loop: Header=BB670_213 Depth=1
	s_or_b64 exec, exec, s[16:17]
	v_lshrrev_b32_e32 v42, 16, v40
	v_cmp_ne_u16_sdwa s[18:19], v42, v39 src0_sel:BYTE_0 src1_sel:DWORD
	s_and_saveexec_b64 s[16:17], s[18:19]
	s_cbranch_execz .LBB670_279
; %bb.274:                              ;   in Loop: Header=BB670_213 Depth=1
	v_cmp_ne_u16_sdwa s[20:21], v42, s9 src0_sel:BYTE_0 src1_sel:DWORD
	v_bfrev_b32_e32 v44, 1
	s_and_saveexec_b64 s[18:19], s[20:21]
	s_cbranch_execz .LBB670_278
; %bb.275:                              ;   in Loop: Header=BB670_213 Depth=1
	v_bfe_u32 v47, v40, 16, 7
	v_cmp_ne_u32_e32 vcc, s22, v47
	v_mov_b32_e32 v44, 0x7f800001
	s_and_saveexec_b64 s[20:21], vcc
	s_cbranch_execz .LBB670_277
; %bb.276:                              ;   in Loop: Header=BB670_213 Depth=1
	v_and_b32_e32 v44, 7, v42
	v_ffbh_u32_e32 v60, v44
	v_min_u32_e32 v62, 32, v60
	v_subrev_u32_e32 v60, 28, v62
	v_lshlrev_b64 v[60:61], v60, v[42:43]
	v_lshrrev_b32_e32 v49, 3, v47
	v_sub_u32_e32 v61, 29, v62
	v_and_b32_e32 v60, 7, v60
	v_cmp_gt_u32_e32 vcc, 8, v47
	v_cndmask_b32_e32 v47, v49, v61, vcc
	v_cndmask_b32_e32 v44, v44, v60, vcc
	v_lshlrev_b32_e32 v42, 24, v42
	v_lshlrev_b32_e32 v44, 20, v44
	v_and_b32_e32 v42, 0x80000000, v42
	v_lshl_add_u32 v47, v47, 23, v45
	v_or3_b32 v44, v42, v47, v44
.LBB670_277:                            ;   in Loop: Header=BB670_213 Depth=1
	s_or_b64 exec, exec, s[20:21]
.LBB670_278:                            ;   in Loop: Header=BB670_213 Depth=1
	s_or_b64 exec, exec, s[18:19]
.LBB670_279:                            ;   in Loop: Header=BB670_213 Depth=1
	s_or_b64 exec, exec, s[16:17]
	v_cmp_lt_u32_e32 vcc, s23, v40
	v_mov_b32_e32 v49, 0
	v_mov_b32_e32 v60, 0
	s_and_saveexec_b64 s[16:17], vcc
	s_cbranch_execz .LBB670_285
; %bb.280:                              ;   in Loop: Header=BB670_213 Depth=1
	v_lshrrev_b32_e32 v42, 24, v40
	v_cmp_ne_u32_e32 vcc, s9, v42
	v_bfrev_b32_e32 v60, 1
	s_and_saveexec_b64 s[18:19], vcc
	s_cbranch_execz .LBB670_284
; %bb.281:                              ;   in Loop: Header=BB670_213 Depth=1
	v_bfe_u32 v40, v40, 24, 7
	v_cmp_ne_u32_e32 vcc, s22, v40
	v_mov_b32_e32 v60, 0x7f800001
	s_and_saveexec_b64 s[20:21], vcc
	s_cbranch_execz .LBB670_283
; %bb.282:                              ;   in Loop: Header=BB670_213 Depth=1
	v_and_b32_e32 v47, 7, v42
	v_ffbh_u32_e32 v60, v47
	v_min_u32_e32 v63, 32, v60
	v_subrev_u32_e32 v60, 28, v63
	v_lshlrev_b64 v[60:61], v60, v[42:43]
	v_lshrrev_b32_e32 v62, 3, v40
	v_sub_u32_e32 v61, 29, v63
	v_and_b32_e32 v60, 7, v60
	v_cmp_gt_u32_e32 vcc, 8, v40
	v_cndmask_b32_e32 v40, v62, v61, vcc
	v_cndmask_b32_e32 v47, v47, v60, vcc
	v_lshlrev_b32_e32 v42, 24, v42
	v_lshlrev_b32_e32 v47, 20, v47
	v_and_b32_e32 v42, 0x80000000, v42
	v_lshl_add_u32 v40, v40, 23, v45
	v_or3_b32 v60, v42, v40, v47
.LBB670_283:                            ;   in Loop: Header=BB670_213 Depth=1
	s_or_b64 exec, exec, s[20:21]
.LBB670_284:                            ;   in Loop: Header=BB670_213 Depth=1
	s_or_b64 exec, exec, s[18:19]
.LBB670_285:                            ;   in Loop: Header=BB670_213 Depth=1
	s_or_b64 exec, exec, s[16:17]
	s_waitcnt vmcnt(0)
	v_cmp_ne_u16_sdwa s[18:19], v38, v39 src0_sel:BYTE_0 src1_sel:DWORD
	s_and_saveexec_b64 s[16:17], s[18:19]
	s_cbranch_execz .LBB670_291
; %bb.286:                              ;   in Loop: Header=BB670_213 Depth=1
	v_cmp_ne_u16_sdwa s[20:21], v38, s9 src0_sel:BYTE_0 src1_sel:DWORD
	v_bfrev_b32_e32 v49, 1
	s_and_saveexec_b64 s[18:19], s[20:21]
	s_cbranch_execz .LBB670_290
; %bb.287:                              ;   in Loop: Header=BB670_213 Depth=1
	v_and_b32_e32 v40, 0x7f, v38
	v_cmp_ne_u32_e32 vcc, s22, v40
	v_mov_b32_e32 v49, 0x7f800001
	s_and_saveexec_b64 s[20:21], vcc
	s_cbranch_execz .LBB670_289
; %bb.288:                              ;   in Loop: Header=BB670_213 Depth=1
	v_and_b32_e32 v42, 7, v38
	v_ffbh_u32_e32 v49, v42
	v_min_u32_e32 v49, 32, v49
	v_subrev_u32_e32 v61, 28, v49
	v_lshlrev_b64 v[62:63], v61, v[38:39]
	v_lshrrev_b32_e32 v47, 3, v40
	v_sub_u32_e32 v49, 29, v49
	v_and_b32_e32 v61, 7, v62
	v_cmp_gt_u32_e32 vcc, 8, v40
	v_cndmask_b32_e32 v40, v47, v49, vcc
	v_cndmask_b32_e32 v42, v42, v61, vcc
	v_lshlrev_b32_e32 v47, 24, v38
	v_lshlrev_b32_e32 v42, 20, v42
	v_and_b32_e32 v47, 0x80000000, v47
	v_lshl_add_u32 v40, v40, 23, v45
	v_or3_b32 v49, v47, v40, v42
.LBB670_289:                            ;   in Loop: Header=BB670_213 Depth=1
	s_or_b64 exec, exec, s[20:21]
.LBB670_290:                            ;   in Loop: Header=BB670_213 Depth=1
	s_or_b64 exec, exec, s[18:19]
.LBB670_291:                            ;   in Loop: Header=BB670_213 Depth=1
	s_or_b64 exec, exec, s[16:17]
	v_lshrrev_b16_e32 v40, 8, v38
	v_cmp_ne_u16_e32 vcc, 0, v40
	v_mov_b32_e32 v61, 0
	v_mov_b32_e32 v62, 0
	s_and_saveexec_b64 s[16:17], vcc
	s_cbranch_execz .LBB670_297
; %bb.292:                              ;   in Loop: Header=BB670_213 Depth=1
	v_cmp_ne_u16_e32 vcc, s9, v40
	v_bfrev_b32_e32 v62, 1
	s_and_saveexec_b64 s[18:19], vcc
	s_cbranch_execz .LBB670_296
; %bb.293:                              ;   in Loop: Header=BB670_213 Depth=1
	v_and_b32_e32 v42, 0x7f, v40
	v_cmp_ne_u32_e32 vcc, s22, v42
	v_mov_b32_e32 v62, 0x7f800001
	s_and_saveexec_b64 s[20:21], vcc
	s_cbranch_execz .LBB670_295
; %bb.294:                              ;   in Loop: Header=BB670_213 Depth=1
	v_and_b32_e32 v47, 7, v40
	v_ffbh_u32_e32 v62, v47
	v_min_u32_e32 v65, 32, v62
	v_subrev_u32_e32 v62, 28, v65
	v_lshlrev_b64 v[62:63], v62, v[40:41]
	v_lshrrev_b32_e32 v64, 3, v42
	v_sub_u32_e32 v40, 29, v65
	v_and_b32_e32 v62, 7, v62
	v_cmp_gt_u32_e32 vcc, 8, v42
	v_cndmask_b32_e32 v40, v64, v40, vcc
	v_cndmask_b32_e32 v42, v47, v62, vcc
	v_lshlrev_b32_e32 v47, 16, v38
	v_lshlrev_b32_e32 v42, 20, v42
	v_and_b32_e32 v47, 0x80000000, v47
	v_lshl_add_u32 v40, v40, 23, v45
	v_or3_b32 v62, v47, v40, v42
.LBB670_295:                            ;   in Loop: Header=BB670_213 Depth=1
	s_or_b64 exec, exec, s[20:21]
.LBB670_296:                            ;   in Loop: Header=BB670_213 Depth=1
	s_or_b64 exec, exec, s[18:19]
.LBB670_297:                            ;   in Loop: Header=BB670_213 Depth=1
	s_or_b64 exec, exec, s[16:17]
	v_lshrrev_b32_e32 v40, 16, v38
	v_cmp_ne_u16_sdwa s[18:19], v40, v39 src0_sel:BYTE_0 src1_sel:DWORD
	s_and_saveexec_b64 s[16:17], s[18:19]
	s_cbranch_execz .LBB670_303
; %bb.298:                              ;   in Loop: Header=BB670_213 Depth=1
	v_cmp_ne_u16_sdwa s[20:21], v40, s9 src0_sel:BYTE_0 src1_sel:DWORD
	v_bfrev_b32_e32 v61, 1
	s_and_saveexec_b64 s[18:19], s[20:21]
	s_cbranch_execz .LBB670_302
; %bb.299:                              ;   in Loop: Header=BB670_213 Depth=1
	v_bfe_u32 v42, v38, 16, 7
	v_cmp_ne_u32_e32 vcc, s22, v42
	v_mov_b32_e32 v61, 0x7f800001
	s_and_saveexec_b64 s[20:21], vcc
	s_cbranch_execz .LBB670_301
; %bb.300:                              ;   in Loop: Header=BB670_213 Depth=1
	v_and_b32_e32 v47, 7, v40
	v_ffbh_u32_e32 v63, v47
	v_min_u32_e32 v63, 32, v63
	v_subrev_u32_e32 v64, 28, v63
	v_lshlrev_b64 v[64:65], v64, v[40:41]
	v_lshrrev_b32_e32 v61, 3, v42
	v_sub_u32_e32 v63, 29, v63
	v_and_b32_e32 v64, 7, v64
	v_cmp_gt_u32_e32 vcc, 8, v42
	v_cndmask_b32_e32 v42, v61, v63, vcc
	v_cndmask_b32_e32 v47, v47, v64, vcc
	v_lshlrev_b32_e32 v40, 24, v40
	v_lshlrev_b32_e32 v47, 20, v47
	v_and_b32_e32 v40, 0x80000000, v40
	v_lshl_add_u32 v42, v42, 23, v45
	v_or3_b32 v61, v40, v42, v47
.LBB670_301:                            ;   in Loop: Header=BB670_213 Depth=1
	s_or_b64 exec, exec, s[20:21]
.LBB670_302:                            ;   in Loop: Header=BB670_213 Depth=1
	s_or_b64 exec, exec, s[18:19]
.LBB670_303:                            ;   in Loop: Header=BB670_213 Depth=1
	s_or_b64 exec, exec, s[16:17]
	v_cmp_lt_u32_e32 vcc, s23, v38
	v_mov_b32_e32 v47, 0
	v_mov_b32_e32 v63, 0
	s_and_saveexec_b64 s[16:17], vcc
	s_cbranch_execz .LBB670_309
; %bb.304:                              ;   in Loop: Header=BB670_213 Depth=1
	v_lshrrev_b32_e32 v40, 24, v38
	v_cmp_ne_u32_e32 vcc, s9, v40
	v_bfrev_b32_e32 v63, 1
	s_and_saveexec_b64 s[18:19], vcc
	s_cbranch_execz .LBB670_308
; %bb.305:                              ;   in Loop: Header=BB670_213 Depth=1
	v_bfe_u32 v38, v38, 24, 7
	v_cmp_ne_u32_e32 vcc, s22, v38
	v_mov_b32_e32 v63, 0x7f800001
	s_and_saveexec_b64 s[20:21], vcc
	s_cbranch_execz .LBB670_307
; %bb.306:                              ;   in Loop: Header=BB670_213 Depth=1
	v_and_b32_e32 v42, 7, v40
	v_ffbh_u32_e32 v64, v42
	v_min_u32_e32 v66, 32, v64
	v_subrev_u32_e32 v64, 28, v66
	v_lshlrev_b64 v[64:65], v64, v[40:41]
	v_lshrrev_b32_e32 v63, 3, v38
	v_sub_u32_e32 v65, 29, v66
	v_and_b32_e32 v64, 7, v64
	v_cmp_gt_u32_e32 vcc, 8, v38
	v_cndmask_b32_e32 v38, v63, v65, vcc
	v_cndmask_b32_e32 v42, v42, v64, vcc
	v_lshlrev_b32_e32 v40, 24, v40
	v_lshlrev_b32_e32 v42, 20, v42
	v_and_b32_e32 v40, 0x80000000, v40
	v_lshl_add_u32 v38, v38, 23, v45
	v_or3_b32 v63, v40, v38, v42
.LBB670_307:                            ;   in Loop: Header=BB670_213 Depth=1
	s_or_b64 exec, exec, s[20:21]
.LBB670_308:                            ;   in Loop: Header=BB670_213 Depth=1
	s_or_b64 exec, exec, s[18:19]
.LBB670_309:                            ;   in Loop: Header=BB670_213 Depth=1
	s_or_b64 exec, exec, s[16:17]
	v_cvt_pkrtz_f16_f32 v65, v44, v60
	buffer_load_dword v44, v59, s[0:3], 0 offen
	buffer_load_dword v42, v59, s[0:3], 0 offen offset:4
	buffer_load_dword v40, v59, s[0:3], 0 offen offset:8
	buffer_load_dword v38, v59, s[0:3], 0 offen offset:12
	v_cvt_pkrtz_f16_f32 v64, v46, v48
	v_cvt_pkrtz_f16_f32 v48, v49, v62
	;; [unrolled: 1-line block ×3, first 2 shown]
	v_mfma_f32_16x16x16f16 v[34:37], v[64:65], v[6:7], v[34:37]
	s_waitcnt vmcnt(3)
	v_cmp_ne_u16_sdwa s[18:19], v44, v39 src0_sel:BYTE_0 src1_sel:DWORD
	v_mfma_f32_16x16x16f16 v[34:37], v[48:49], v[8:9], v[34:37]
	s_and_saveexec_b64 s[16:17], s[18:19]
	s_cbranch_execz .LBB670_315
; %bb.310:                              ;   in Loop: Header=BB670_213 Depth=1
	v_cmp_ne_u16_sdwa s[20:21], v44, s9 src0_sel:BYTE_0 src1_sel:DWORD
	v_bfrev_b32_e32 v47, 1
	s_and_saveexec_b64 s[18:19], s[20:21]
	s_cbranch_execz .LBB670_314
; %bb.311:                              ;   in Loop: Header=BB670_213 Depth=1
	v_and_b32_e32 v46, 0x7f, v44
	v_cmp_ne_u32_e32 vcc, s22, v46
	v_mov_b32_e32 v47, 0x7f800001
	s_and_saveexec_b64 s[20:21], vcc
	s_cbranch_execz .LBB670_313
; %bb.312:                              ;   in Loop: Header=BB670_213 Depth=1
	v_and_b32_e32 v47, 7, v44
	v_ffbh_u32_e32 v48, v47
	v_min_u32_e32 v60, 32, v48
	v_subrev_u32_e32 v48, 28, v60
	v_lshlrev_b64 v[48:49], v48, v[44:45]
	v_lshrrev_b32_e32 v59, 3, v46
	v_sub_u32_e32 v49, 29, v60
	v_and_b32_e32 v48, 7, v48
	v_cmp_gt_u32_e32 vcc, 8, v46
	v_cndmask_b32_e32 v46, v59, v49, vcc
	v_cndmask_b32_e32 v47, v47, v48, vcc
	v_lshlrev_b32_e32 v48, 24, v44
	v_lshlrev_b32_e32 v47, 20, v47
	v_and_b32_e32 v48, 0x80000000, v48
	v_lshl_add_u32 v46, v46, 23, v45
	v_or3_b32 v47, v48, v46, v47
.LBB670_313:                            ;   in Loop: Header=BB670_213 Depth=1
	s_or_b64 exec, exec, s[20:21]
.LBB670_314:                            ;   in Loop: Header=BB670_213 Depth=1
	s_or_b64 exec, exec, s[18:19]
.LBB670_315:                            ;   in Loop: Header=BB670_213 Depth=1
	s_or_b64 exec, exec, s[16:17]
	v_lshrrev_b16_e32 v46, 8, v44
	v_cmp_ne_u16_e32 vcc, 0, v46
	v_mov_b32_e32 v48, 0
	v_mov_b32_e32 v49, 0
	s_and_saveexec_b64 s[16:17], vcc
	s_cbranch_execz .LBB670_321
; %bb.316:                              ;   in Loop: Header=BB670_213 Depth=1
	v_cmp_ne_u16_e32 vcc, s9, v46
	v_bfrev_b32_e32 v49, 1
	s_and_saveexec_b64 s[18:19], vcc
	s_cbranch_execz .LBB670_320
; %bb.317:                              ;   in Loop: Header=BB670_213 Depth=1
	v_and_b32_e32 v59, 0x7f, v46
	v_cmp_ne_u32_e32 vcc, s22, v59
	v_mov_b32_e32 v49, 0x7f800001
	s_and_saveexec_b64 s[20:21], vcc
	s_cbranch_execz .LBB670_319
; %bb.318:                              ;   in Loop: Header=BB670_213 Depth=1
	v_and_b32_e32 v49, 7, v46
	v_ffbh_u32_e32 v60, v49
	v_min_u32_e32 v63, 32, v60
	v_subrev_u32_e32 v60, 28, v63
	v_lshlrev_b64 v[60:61], v60, v[46:47]
	v_lshrrev_b32_e32 v62, 3, v59
	v_sub_u32_e32 v46, 29, v63
	v_and_b32_e32 v60, 7, v60
	v_cmp_gt_u32_e32 vcc, 8, v59
	v_cndmask_b32_e32 v46, v62, v46, vcc
	v_cndmask_b32_e32 v49, v49, v60, vcc
	v_lshlrev_b32_e32 v59, 16, v44
	v_lshlrev_b32_e32 v49, 20, v49
	v_and_b32_e32 v59, 0x80000000, v59
	v_lshl_add_u32 v46, v46, 23, v45
	v_or3_b32 v49, v59, v46, v49
.LBB670_319:                            ;   in Loop: Header=BB670_213 Depth=1
	s_or_b64 exec, exec, s[20:21]
.LBB670_320:                            ;   in Loop: Header=BB670_213 Depth=1
	s_or_b64 exec, exec, s[18:19]
.LBB670_321:                            ;   in Loop: Header=BB670_213 Depth=1
	s_or_b64 exec, exec, s[16:17]
	v_lshrrev_b32_e32 v46, 16, v44
	v_cmp_ne_u16_sdwa s[18:19], v46, v39 src0_sel:BYTE_0 src1_sel:DWORD
	s_and_saveexec_b64 s[16:17], s[18:19]
	s_cbranch_execz .LBB670_327
; %bb.322:                              ;   in Loop: Header=BB670_213 Depth=1
	v_cmp_ne_u16_sdwa s[20:21], v46, s9 src0_sel:BYTE_0 src1_sel:DWORD
	v_bfrev_b32_e32 v48, 1
	s_and_saveexec_b64 s[18:19], s[20:21]
	s_cbranch_execz .LBB670_326
; %bb.323:                              ;   in Loop: Header=BB670_213 Depth=1
	v_bfe_u32 v59, v44, 16, 7
	v_cmp_ne_u32_e32 vcc, s22, v59
	v_mov_b32_e32 v48, 0x7f800001
	s_and_saveexec_b64 s[20:21], vcc
	s_cbranch_execz .LBB670_325
; %bb.324:                              ;   in Loop: Header=BB670_213 Depth=1
	v_and_b32_e32 v48, 7, v46
	v_ffbh_u32_e32 v60, v48
	v_min_u32_e32 v63, 32, v60
	v_subrev_u32_e32 v60, 28, v63
	v_lshlrev_b64 v[60:61], v60, v[46:47]
	v_lshrrev_b32_e32 v62, 3, v59
	v_sub_u32_e32 v61, 29, v63
	v_and_b32_e32 v60, 7, v60
	v_cmp_gt_u32_e32 vcc, 8, v59
	v_cndmask_b32_e32 v59, v62, v61, vcc
	v_cndmask_b32_e32 v48, v48, v60, vcc
	v_lshlrev_b32_e32 v46, 24, v46
	v_lshlrev_b32_e32 v48, 20, v48
	v_and_b32_e32 v46, 0x80000000, v46
	v_lshl_add_u32 v59, v59, 23, v45
	v_or3_b32 v48, v46, v59, v48
.LBB670_325:                            ;   in Loop: Header=BB670_213 Depth=1
	s_or_b64 exec, exec, s[20:21]
.LBB670_326:                            ;   in Loop: Header=BB670_213 Depth=1
	s_or_b64 exec, exec, s[18:19]
.LBB670_327:                            ;   in Loop: Header=BB670_213 Depth=1
	s_or_b64 exec, exec, s[16:17]
	v_cmp_lt_u32_e32 vcc, s23, v44
	v_mov_b32_e32 v59, 0
	v_mov_b32_e32 v60, 0
	s_and_saveexec_b64 s[16:17], vcc
	s_cbranch_execz .LBB670_333
; %bb.328:                              ;   in Loop: Header=BB670_213 Depth=1
	v_lshrrev_b32_e32 v46, 24, v44
	v_cmp_ne_u32_e32 vcc, s9, v46
	v_bfrev_b32_e32 v60, 1
	s_and_saveexec_b64 s[18:19], vcc
	s_cbranch_execz .LBB670_332
; %bb.329:                              ;   in Loop: Header=BB670_213 Depth=1
	v_bfe_u32 v44, v44, 24, 7
	v_cmp_ne_u32_e32 vcc, s22, v44
	v_mov_b32_e32 v60, 0x7f800001
	s_and_saveexec_b64 s[20:21], vcc
	s_cbranch_execz .LBB670_331
; %bb.330:                              ;   in Loop: Header=BB670_213 Depth=1
	v_and_b32_e32 v62, 7, v46
	v_ffbh_u32_e32 v60, v62
	v_min_u32_e32 v64, 32, v60
	v_subrev_u32_e32 v60, 28, v64
	v_lshlrev_b64 v[60:61], v60, v[46:47]
	v_lshrrev_b32_e32 v63, 3, v44
	v_sub_u32_e32 v61, 29, v64
	v_and_b32_e32 v60, 7, v60
	v_cmp_gt_u32_e32 vcc, 8, v44
	v_cndmask_b32_e32 v44, v63, v61, vcc
	v_cndmask_b32_e32 v60, v62, v60, vcc
	v_lshlrev_b32_e32 v46, 24, v46
	v_lshlrev_b32_e32 v60, 20, v60
	v_and_b32_e32 v46, 0x80000000, v46
	v_lshl_add_u32 v44, v44, 23, v45
	v_or3_b32 v60, v46, v44, v60
.LBB670_331:                            ;   in Loop: Header=BB670_213 Depth=1
	s_or_b64 exec, exec, s[20:21]
.LBB670_332:                            ;   in Loop: Header=BB670_213 Depth=1
	s_or_b64 exec, exec, s[18:19]
.LBB670_333:                            ;   in Loop: Header=BB670_213 Depth=1
	s_or_b64 exec, exec, s[16:17]
	s_waitcnt vmcnt(2)
	v_cmp_ne_u16_sdwa s[18:19], v42, v39 src0_sel:BYTE_0 src1_sel:DWORD
	s_and_saveexec_b64 s[16:17], s[18:19]
	s_cbranch_execz .LBB670_339
; %bb.334:                              ;   in Loop: Header=BB670_213 Depth=1
	v_cmp_ne_u16_sdwa s[20:21], v42, s9 src0_sel:BYTE_0 src1_sel:DWORD
	v_bfrev_b32_e32 v59, 1
	s_and_saveexec_b64 s[18:19], s[20:21]
	s_cbranch_execz .LBB670_338
; %bb.335:                              ;   in Loop: Header=BB670_213 Depth=1
	v_and_b32_e32 v44, 0x7f, v42
	v_cmp_ne_u32_e32 vcc, s22, v44
	v_mov_b32_e32 v59, 0x7f800001
	s_and_saveexec_b64 s[20:21], vcc
	s_cbranch_execz .LBB670_337
; %bb.336:                              ;   in Loop: Header=BB670_213 Depth=1
	v_and_b32_e32 v46, 7, v42
	v_ffbh_u32_e32 v61, v46
	v_min_u32_e32 v61, 32, v61
	v_subrev_u32_e32 v62, 28, v61
	v_lshlrev_b64 v[62:63], v62, v[42:43]
	v_lshrrev_b32_e32 v59, 3, v44
	v_sub_u32_e32 v61, 29, v61
	v_and_b32_e32 v62, 7, v62
	v_cmp_gt_u32_e32 vcc, 8, v44
	v_cndmask_b32_e32 v44, v59, v61, vcc
	v_cndmask_b32_e32 v46, v46, v62, vcc
	v_lshlrev_b32_e32 v59, 24, v42
	v_lshlrev_b32_e32 v46, 20, v46
	v_and_b32_e32 v59, 0x80000000, v59
	v_lshl_add_u32 v44, v44, 23, v45
	v_or3_b32 v59, v59, v44, v46
.LBB670_337:                            ;   in Loop: Header=BB670_213 Depth=1
	s_or_b64 exec, exec, s[20:21]
.LBB670_338:                            ;   in Loop: Header=BB670_213 Depth=1
	s_or_b64 exec, exec, s[18:19]
.LBB670_339:                            ;   in Loop: Header=BB670_213 Depth=1
	s_or_b64 exec, exec, s[16:17]
	v_lshrrev_b16_e32 v44, 8, v42
	v_cmp_ne_u16_e32 vcc, 0, v44
	v_mov_b32_e32 v61, 0
	v_mov_b32_e32 v62, 0
	s_and_saveexec_b64 s[16:17], vcc
	s_cbranch_execz .LBB670_345
; %bb.340:                              ;   in Loop: Header=BB670_213 Depth=1
	v_cmp_ne_u16_e32 vcc, s9, v44
	v_bfrev_b32_e32 v62, 1
	s_and_saveexec_b64 s[18:19], vcc
	s_cbranch_execz .LBB670_344
; %bb.341:                              ;   in Loop: Header=BB670_213 Depth=1
	v_and_b32_e32 v46, 0x7f, v44
	v_cmp_ne_u32_e32 vcc, s22, v46
	v_mov_b32_e32 v62, 0x7f800001
	s_and_saveexec_b64 s[20:21], vcc
	s_cbranch_execz .LBB670_343
; %bb.342:                              ;   in Loop: Header=BB670_213 Depth=1
	v_and_b32_e32 v64, 7, v44
	v_ffbh_u32_e32 v62, v64
	v_min_u32_e32 v66, 32, v62
	v_subrev_u32_e32 v62, 28, v66
	v_lshlrev_b64 v[62:63], v62, v[44:45]
	v_lshrrev_b32_e32 v65, 3, v46
	v_sub_u32_e32 v44, 29, v66
	v_and_b32_e32 v62, 7, v62
	v_cmp_gt_u32_e32 vcc, 8, v46
	v_cndmask_b32_e32 v44, v65, v44, vcc
	v_cndmask_b32_e32 v46, v64, v62, vcc
	v_lshlrev_b32_e32 v62, 16, v42
	v_lshlrev_b32_e32 v46, 20, v46
	v_and_b32_e32 v62, 0x80000000, v62
	v_lshl_add_u32 v44, v44, 23, v45
	v_or3_b32 v62, v62, v44, v46
.LBB670_343:                            ;   in Loop: Header=BB670_213 Depth=1
	s_or_b64 exec, exec, s[20:21]
.LBB670_344:                            ;   in Loop: Header=BB670_213 Depth=1
	s_or_b64 exec, exec, s[18:19]
.LBB670_345:                            ;   in Loop: Header=BB670_213 Depth=1
	s_or_b64 exec, exec, s[16:17]
	v_lshrrev_b32_e32 v44, 16, v42
	v_cmp_ne_u16_sdwa s[18:19], v44, v39 src0_sel:BYTE_0 src1_sel:DWORD
	s_and_saveexec_b64 s[16:17], s[18:19]
	s_cbranch_execz .LBB670_351
; %bb.346:                              ;   in Loop: Header=BB670_213 Depth=1
	v_cmp_ne_u16_sdwa s[20:21], v44, s9 src0_sel:BYTE_0 src1_sel:DWORD
	v_bfrev_b32_e32 v61, 1
	s_and_saveexec_b64 s[18:19], s[20:21]
	s_cbranch_execz .LBB670_350
; %bb.347:                              ;   in Loop: Header=BB670_213 Depth=1
	v_bfe_u32 v46, v42, 16, 7
	v_cmp_ne_u32_e32 vcc, s22, v46
	v_mov_b32_e32 v61, 0x7f800001
	s_and_saveexec_b64 s[20:21], vcc
	s_cbranch_execz .LBB670_349
; %bb.348:                              ;   in Loop: Header=BB670_213 Depth=1
	v_and_b32_e32 v61, 7, v44
	v_ffbh_u32_e32 v64, v61
	v_min_u32_e32 v66, 32, v64
	v_subrev_u32_e32 v64, 28, v66
	v_lshlrev_b64 v[64:65], v64, v[44:45]
	v_lshrrev_b32_e32 v63, 3, v46
	v_sub_u32_e32 v65, 29, v66
	v_and_b32_e32 v64, 7, v64
	v_cmp_gt_u32_e32 vcc, 8, v46
	v_cndmask_b32_e32 v46, v63, v65, vcc
	v_cndmask_b32_e32 v61, v61, v64, vcc
	v_lshlrev_b32_e32 v44, 24, v44
	v_lshlrev_b32_e32 v61, 20, v61
	v_and_b32_e32 v44, 0x80000000, v44
	v_lshl_add_u32 v46, v46, 23, v45
	v_or3_b32 v61, v44, v46, v61
.LBB670_349:                            ;   in Loop: Header=BB670_213 Depth=1
	s_or_b64 exec, exec, s[20:21]
.LBB670_350:                            ;   in Loop: Header=BB670_213 Depth=1
	s_or_b64 exec, exec, s[18:19]
.LBB670_351:                            ;   in Loop: Header=BB670_213 Depth=1
	s_or_b64 exec, exec, s[16:17]
	v_cmp_lt_u32_e32 vcc, s23, v42
	v_mov_b32_e32 v46, 0
	v_mov_b32_e32 v63, 0
	s_and_saveexec_b64 s[16:17], vcc
	s_cbranch_execz .LBB670_357
; %bb.352:                              ;   in Loop: Header=BB670_213 Depth=1
	v_lshrrev_b32_e32 v44, 24, v42
	v_cmp_ne_u32_e32 vcc, s9, v44
	v_bfrev_b32_e32 v63, 1
	s_and_saveexec_b64 s[18:19], vcc
	s_cbranch_execz .LBB670_356
; %bb.353:                              ;   in Loop: Header=BB670_213 Depth=1
	v_bfe_u32 v42, v42, 24, 7
	v_cmp_ne_u32_e32 vcc, s22, v42
	v_mov_b32_e32 v63, 0x7f800001
	s_and_saveexec_b64 s[20:21], vcc
	s_cbranch_execz .LBB670_355
; %bb.354:                              ;   in Loop: Header=BB670_213 Depth=1
	v_and_b32_e32 v63, 7, v44
	v_ffbh_u32_e32 v64, v63
	v_min_u32_e32 v67, 32, v64
	v_subrev_u32_e32 v64, 28, v67
	v_lshlrev_b64 v[64:65], v64, v[44:45]
	v_lshrrev_b32_e32 v66, 3, v42
	v_sub_u32_e32 v65, 29, v67
	v_and_b32_e32 v64, 7, v64
	v_cmp_gt_u32_e32 vcc, 8, v42
	v_cndmask_b32_e32 v42, v66, v65, vcc
	v_cndmask_b32_e32 v63, v63, v64, vcc
	v_lshlrev_b32_e32 v44, 24, v44
	v_lshlrev_b32_e32 v63, 20, v63
	v_and_b32_e32 v44, 0x80000000, v44
	v_lshl_add_u32 v42, v42, 23, v45
	v_or3_b32 v63, v44, v42, v63
.LBB670_355:                            ;   in Loop: Header=BB670_213 Depth=1
	s_or_b64 exec, exec, s[20:21]
.LBB670_356:                            ;   in Loop: Header=BB670_213 Depth=1
	s_or_b64 exec, exec, s[18:19]
.LBB670_357:                            ;   in Loop: Header=BB670_213 Depth=1
	s_or_b64 exec, exec, s[16:17]
	v_cvt_pkrtz_f16_f32 v64, v47, v49
	v_cvt_pkrtz_f16_f32 v65, v48, v60
	;; [unrolled: 1-line block ×4, first 2 shown]
	s_waitcnt vmcnt(1)
	v_cmp_ne_u16_sdwa s[18:19], v40, v39 src0_sel:BYTE_0 src1_sel:DWORD
	v_mfma_f32_16x16x16f16 v[34:37], v[64:65], v[10:11], v[34:37]
	v_mfma_f32_16x16x16f16 v[34:37], v[48:49], v[12:13], v[34:37]
	s_and_saveexec_b64 s[16:17], s[18:19]
	s_cbranch_execz .LBB670_363
; %bb.358:                              ;   in Loop: Header=BB670_213 Depth=1
	v_cmp_ne_u16_sdwa s[20:21], v40, s9 src0_sel:BYTE_0 src1_sel:DWORD
	v_bfrev_b32_e32 v46, 1
	s_and_saveexec_b64 s[18:19], s[20:21]
	s_cbranch_execz .LBB670_362
; %bb.359:                              ;   in Loop: Header=BB670_213 Depth=1
	v_and_b32_e32 v42, 0x7f, v40
	v_cmp_ne_u32_e32 vcc, s22, v42
	v_mov_b32_e32 v46, 0x7f800001
	s_and_saveexec_b64 s[20:21], vcc
	s_cbranch_execz .LBB670_361
; %bb.360:                              ;   in Loop: Header=BB670_213 Depth=1
	v_and_b32_e32 v44, 7, v40
	v_ffbh_u32_e32 v46, v44
	v_min_u32_e32 v49, 32, v46
	v_subrev_u32_e32 v46, 28, v49
	v_lshlrev_b64 v[46:47], v46, v[40:41]
	v_lshrrev_b32_e32 v48, 3, v42
	v_sub_u32_e32 v47, 29, v49
	v_and_b32_e32 v46, 7, v46
	v_cmp_gt_u32_e32 vcc, 8, v42
	v_cndmask_b32_e32 v42, v48, v47, vcc
	v_cndmask_b32_e32 v44, v44, v46, vcc
	v_lshlrev_b32_e32 v46, 24, v40
	v_lshlrev_b32_e32 v44, 20, v44
	v_and_b32_e32 v46, 0x80000000, v46
	v_lshl_add_u32 v42, v42, 23, v45
	v_or3_b32 v46, v46, v42, v44
.LBB670_361:                            ;   in Loop: Header=BB670_213 Depth=1
	s_or_b64 exec, exec, s[20:21]
.LBB670_362:                            ;   in Loop: Header=BB670_213 Depth=1
	s_or_b64 exec, exec, s[18:19]
.LBB670_363:                            ;   in Loop: Header=BB670_213 Depth=1
	s_or_b64 exec, exec, s[16:17]
	v_lshrrev_b16_e32 v42, 8, v40
	v_cmp_ne_u16_e32 vcc, 0, v42
	v_mov_b32_e32 v44, 0
	v_mov_b32_e32 v48, 0
	s_and_saveexec_b64 s[16:17], vcc
	s_cbranch_execz .LBB670_369
; %bb.364:                              ;   in Loop: Header=BB670_213 Depth=1
	v_cmp_ne_u16_e32 vcc, s9, v42
	v_bfrev_b32_e32 v48, 1
	s_and_saveexec_b64 s[18:19], vcc
	s_cbranch_execz .LBB670_368
; %bb.365:                              ;   in Loop: Header=BB670_213 Depth=1
	v_and_b32_e32 v47, 0x7f, v42
	v_cmp_ne_u32_e32 vcc, s22, v47
	v_mov_b32_e32 v48, 0x7f800001
	s_and_saveexec_b64 s[20:21], vcc
	s_cbranch_execz .LBB670_367
; %bb.366:                              ;   in Loop: Header=BB670_213 Depth=1
	v_and_b32_e32 v59, 7, v42
	v_ffbh_u32_e32 v48, v59
	v_min_u32_e32 v61, 32, v48
	v_subrev_u32_e32 v48, 28, v61
	v_lshlrev_b64 v[48:49], v48, v[42:43]
	v_lshrrev_b32_e32 v60, 3, v47
	v_sub_u32_e32 v42, 29, v61
	v_and_b32_e32 v48, 7, v48
	v_cmp_gt_u32_e32 vcc, 8, v47
	v_cndmask_b32_e32 v42, v60, v42, vcc
	v_cndmask_b32_e32 v47, v59, v48, vcc
	v_lshlrev_b32_e32 v48, 16, v40
	v_lshlrev_b32_e32 v47, 20, v47
	v_and_b32_e32 v48, 0x80000000, v48
	v_lshl_add_u32 v42, v42, 23, v45
	v_or3_b32 v48, v48, v42, v47
.LBB670_367:                            ;   in Loop: Header=BB670_213 Depth=1
	s_or_b64 exec, exec, s[20:21]
.LBB670_368:                            ;   in Loop: Header=BB670_213 Depth=1
	s_or_b64 exec, exec, s[18:19]
.LBB670_369:                            ;   in Loop: Header=BB670_213 Depth=1
	s_or_b64 exec, exec, s[16:17]
	v_lshrrev_b32_e32 v42, 16, v40
	v_cmp_ne_u16_sdwa s[18:19], v42, v39 src0_sel:BYTE_0 src1_sel:DWORD
	s_and_saveexec_b64 s[16:17], s[18:19]
	s_cbranch_execz .LBB670_375
; %bb.370:                              ;   in Loop: Header=BB670_213 Depth=1
	v_cmp_ne_u16_sdwa s[20:21], v42, s9 src0_sel:BYTE_0 src1_sel:DWORD
	v_bfrev_b32_e32 v44, 1
	s_and_saveexec_b64 s[18:19], s[20:21]
	s_cbranch_execz .LBB670_374
; %bb.371:                              ;   in Loop: Header=BB670_213 Depth=1
	v_bfe_u32 v47, v40, 16, 7
	v_cmp_ne_u32_e32 vcc, s22, v47
	v_mov_b32_e32 v44, 0x7f800001
	s_and_saveexec_b64 s[20:21], vcc
	s_cbranch_execz .LBB670_373
; %bb.372:                              ;   in Loop: Header=BB670_213 Depth=1
	v_and_b32_e32 v44, 7, v42
	v_ffbh_u32_e32 v59, v44
	v_min_u32_e32 v59, 32, v59
	v_subrev_u32_e32 v60, 28, v59
	v_lshlrev_b64 v[60:61], v60, v[42:43]
	v_lshrrev_b32_e32 v49, 3, v47
	v_sub_u32_e32 v59, 29, v59
	v_and_b32_e32 v60, 7, v60
	v_cmp_gt_u32_e32 vcc, 8, v47
	v_cndmask_b32_e32 v47, v49, v59, vcc
	v_cndmask_b32_e32 v44, v44, v60, vcc
	v_lshlrev_b32_e32 v42, 24, v42
	v_lshlrev_b32_e32 v44, 20, v44
	v_and_b32_e32 v42, 0x80000000, v42
	v_lshl_add_u32 v47, v47, 23, v45
	v_or3_b32 v44, v42, v47, v44
.LBB670_373:                            ;   in Loop: Header=BB670_213 Depth=1
	s_or_b64 exec, exec, s[20:21]
.LBB670_374:                            ;   in Loop: Header=BB670_213 Depth=1
	s_or_b64 exec, exec, s[18:19]
.LBB670_375:                            ;   in Loop: Header=BB670_213 Depth=1
	s_or_b64 exec, exec, s[16:17]
	v_cmp_lt_u32_e32 vcc, s23, v40
	v_mov_b32_e32 v49, 0
	v_mov_b32_e32 v59, 0
	s_and_saveexec_b64 s[16:17], vcc
	s_cbranch_execz .LBB670_381
; %bb.376:                              ;   in Loop: Header=BB670_213 Depth=1
	v_lshrrev_b32_e32 v42, 24, v40
	v_cmp_ne_u32_e32 vcc, s9, v42
	v_bfrev_b32_e32 v59, 1
	s_and_saveexec_b64 s[18:19], vcc
	s_cbranch_execz .LBB670_380
; %bb.377:                              ;   in Loop: Header=BB670_213 Depth=1
	v_bfe_u32 v40, v40, 24, 7
	v_cmp_ne_u32_e32 vcc, s22, v40
	v_mov_b32_e32 v59, 0x7f800001
	s_and_saveexec_b64 s[20:21], vcc
	s_cbranch_execz .LBB670_379
; %bb.378:                              ;   in Loop: Header=BB670_213 Depth=1
	v_and_b32_e32 v47, 7, v42
	v_ffbh_u32_e32 v60, v47
	v_min_u32_e32 v62, 32, v60
	v_subrev_u32_e32 v60, 28, v62
	v_lshlrev_b64 v[60:61], v60, v[42:43]
	v_lshrrev_b32_e32 v59, 3, v40
	v_sub_u32_e32 v61, 29, v62
	v_and_b32_e32 v60, 7, v60
	v_cmp_gt_u32_e32 vcc, 8, v40
	v_cndmask_b32_e32 v40, v59, v61, vcc
	v_cndmask_b32_e32 v47, v47, v60, vcc
	v_lshlrev_b32_e32 v42, 24, v42
	v_lshlrev_b32_e32 v47, 20, v47
	v_and_b32_e32 v42, 0x80000000, v42
	v_lshl_add_u32 v40, v40, 23, v45
	v_or3_b32 v59, v42, v40, v47
.LBB670_379:                            ;   in Loop: Header=BB670_213 Depth=1
	s_or_b64 exec, exec, s[20:21]
.LBB670_380:                            ;   in Loop: Header=BB670_213 Depth=1
	s_or_b64 exec, exec, s[18:19]
.LBB670_381:                            ;   in Loop: Header=BB670_213 Depth=1
	s_or_b64 exec, exec, s[16:17]
	s_waitcnt vmcnt(0)
	v_cmp_ne_u16_sdwa s[18:19], v38, v39 src0_sel:BYTE_0 src1_sel:DWORD
	s_and_saveexec_b64 s[16:17], s[18:19]
	s_cbranch_execz .LBB670_387
; %bb.382:                              ;   in Loop: Header=BB670_213 Depth=1
	v_cmp_ne_u16_sdwa s[20:21], v38, s9 src0_sel:BYTE_0 src1_sel:DWORD
	v_bfrev_b32_e32 v49, 1
	s_and_saveexec_b64 s[18:19], s[20:21]
	s_cbranch_execz .LBB670_386
; %bb.383:                              ;   in Loop: Header=BB670_213 Depth=1
	v_and_b32_e32 v40, 0x7f, v38
	v_cmp_ne_u32_e32 vcc, s22, v40
	v_mov_b32_e32 v49, 0x7f800001
	s_and_saveexec_b64 s[20:21], vcc
	s_cbranch_execz .LBB670_385
; %bb.384:                              ;   in Loop: Header=BB670_213 Depth=1
	v_and_b32_e32 v42, 7, v38
	v_ffbh_u32_e32 v49, v42
	v_min_u32_e32 v49, 32, v49
	v_subrev_u32_e32 v60, 28, v49
	v_lshlrev_b64 v[60:61], v60, v[38:39]
	v_lshrrev_b32_e32 v47, 3, v40
	v_sub_u32_e32 v49, 29, v49
	v_and_b32_e32 v60, 7, v60
	v_cmp_gt_u32_e32 vcc, 8, v40
	v_cndmask_b32_e32 v40, v47, v49, vcc
	v_cndmask_b32_e32 v42, v42, v60, vcc
	v_lshlrev_b32_e32 v47, 24, v38
	v_lshlrev_b32_e32 v42, 20, v42
	v_and_b32_e32 v47, 0x80000000, v47
	v_lshl_add_u32 v40, v40, 23, v45
	v_or3_b32 v49, v47, v40, v42
.LBB670_385:                            ;   in Loop: Header=BB670_213 Depth=1
	s_or_b64 exec, exec, s[20:21]
.LBB670_386:                            ;   in Loop: Header=BB670_213 Depth=1
	s_or_b64 exec, exec, s[18:19]
.LBB670_387:                            ;   in Loop: Header=BB670_213 Depth=1
	s_or_b64 exec, exec, s[16:17]
	v_lshrrev_b16_e32 v40, 8, v38
	v_cmp_ne_u16_e32 vcc, 0, v40
	v_mov_b32_e32 v60, 0
	v_mov_b32_e32 v61, 0
	s_and_saveexec_b64 s[16:17], vcc
	s_cbranch_execz .LBB670_393
; %bb.388:                              ;   in Loop: Header=BB670_213 Depth=1
	v_cmp_ne_u16_e32 vcc, s9, v40
	v_bfrev_b32_e32 v61, 1
	s_and_saveexec_b64 s[18:19], vcc
	s_cbranch_execz .LBB670_392
; %bb.389:                              ;   in Loop: Header=BB670_213 Depth=1
	v_and_b32_e32 v42, 0x7f, v40
	v_cmp_ne_u32_e32 vcc, s22, v42
	v_mov_b32_e32 v61, 0x7f800001
	s_and_saveexec_b64 s[20:21], vcc
	s_cbranch_execz .LBB670_391
; %bb.390:                              ;   in Loop: Header=BB670_213 Depth=1
	v_and_b32_e32 v47, 7, v40
	v_ffbh_u32_e32 v62, v47
	v_min_u32_e32 v64, 32, v62
	v_subrev_u32_e32 v62, 28, v64
	v_lshlrev_b64 v[62:63], v62, v[40:41]
	v_lshrrev_b32_e32 v61, 3, v42
	v_sub_u32_e32 v40, 29, v64
	v_and_b32_e32 v62, 7, v62
	v_cmp_gt_u32_e32 vcc, 8, v42
	v_cndmask_b32_e32 v40, v61, v40, vcc
	v_cndmask_b32_e32 v42, v47, v62, vcc
	v_lshlrev_b32_e32 v47, 16, v38
	v_lshlrev_b32_e32 v42, 20, v42
	v_and_b32_e32 v47, 0x80000000, v47
	v_lshl_add_u32 v40, v40, 23, v45
	v_or3_b32 v61, v47, v40, v42
.LBB670_391:                            ;   in Loop: Header=BB670_213 Depth=1
	s_or_b64 exec, exec, s[20:21]
.LBB670_392:                            ;   in Loop: Header=BB670_213 Depth=1
	s_or_b64 exec, exec, s[18:19]
.LBB670_393:                            ;   in Loop: Header=BB670_213 Depth=1
	s_or_b64 exec, exec, s[16:17]
	v_lshrrev_b32_e32 v40, 16, v38
	v_cmp_ne_u16_sdwa s[18:19], v40, v39 src0_sel:BYTE_0 src1_sel:DWORD
	s_and_saveexec_b64 s[16:17], s[18:19]
	s_cbranch_execz .LBB670_399
; %bb.394:                              ;   in Loop: Header=BB670_213 Depth=1
	v_cmp_ne_u16_sdwa s[20:21], v40, s9 src0_sel:BYTE_0 src1_sel:DWORD
	v_bfrev_b32_e32 v60, 1
	s_and_saveexec_b64 s[18:19], s[20:21]
	s_cbranch_execz .LBB670_398
; %bb.395:                              ;   in Loop: Header=BB670_213 Depth=1
	v_bfe_u32 v42, v38, 16, 7
	v_cmp_ne_u32_e32 vcc, s22, v42
	v_mov_b32_e32 v60, 0x7f800001
	s_and_saveexec_b64 s[20:21], vcc
	s_cbranch_execz .LBB670_397
; %bb.396:                              ;   in Loop: Header=BB670_213 Depth=1
	v_and_b32_e32 v47, 7, v40
	v_ffbh_u32_e32 v62, v47
	v_min_u32_e32 v64, 32, v62
	v_subrev_u32_e32 v62, 28, v64
	v_lshlrev_b64 v[62:63], v62, v[40:41]
	v_lshrrev_b32_e32 v60, 3, v42
	v_sub_u32_e32 v63, 29, v64
	v_and_b32_e32 v62, 7, v62
	v_cmp_gt_u32_e32 vcc, 8, v42
	v_cndmask_b32_e32 v42, v60, v63, vcc
	v_cndmask_b32_e32 v47, v47, v62, vcc
	v_lshlrev_b32_e32 v40, 24, v40
	v_lshlrev_b32_e32 v47, 20, v47
	v_and_b32_e32 v40, 0x80000000, v40
	v_lshl_add_u32 v42, v42, 23, v45
	v_or3_b32 v60, v40, v42, v47
.LBB670_397:                            ;   in Loop: Header=BB670_213 Depth=1
	s_or_b64 exec, exec, s[20:21]
.LBB670_398:                            ;   in Loop: Header=BB670_213 Depth=1
	s_or_b64 exec, exec, s[18:19]
.LBB670_399:                            ;   in Loop: Header=BB670_213 Depth=1
	s_or_b64 exec, exec, s[16:17]
	v_cmp_lt_u32_e32 vcc, s23, v38
	v_mov_b32_e32 v47, 0
	v_mov_b32_e32 v62, 0
	s_and_saveexec_b64 s[16:17], vcc
	s_cbranch_execz .LBB670_405
; %bb.400:                              ;   in Loop: Header=BB670_213 Depth=1
	v_lshrrev_b32_e32 v40, 24, v38
	v_cmp_ne_u32_e32 vcc, s9, v40
	v_bfrev_b32_e32 v62, 1
	s_and_saveexec_b64 s[18:19], vcc
	s_cbranch_execz .LBB670_404
; %bb.401:                              ;   in Loop: Header=BB670_213 Depth=1
	v_bfe_u32 v38, v38, 24, 7
	v_cmp_ne_u32_e32 vcc, s22, v38
	v_mov_b32_e32 v62, 0x7f800001
	s_and_saveexec_b64 s[20:21], vcc
	s_cbranch_execz .LBB670_403
; %bb.402:                              ;   in Loop: Header=BB670_213 Depth=1
	v_and_b32_e32 v42, 7, v40
	v_ffbh_u32_e32 v62, v42
	v_min_u32_e32 v65, 32, v62
	v_subrev_u32_e32 v62, 28, v65
	v_lshlrev_b64 v[62:63], v62, v[40:41]
	v_lshrrev_b32_e32 v64, 3, v38
	v_sub_u32_e32 v63, 29, v65
	v_and_b32_e32 v62, 7, v62
	v_cmp_gt_u32_e32 vcc, 8, v38
	v_cndmask_b32_e32 v38, v64, v63, vcc
	v_cndmask_b32_e32 v42, v42, v62, vcc
	v_lshlrev_b32_e32 v40, 24, v40
	v_lshlrev_b32_e32 v42, 20, v42
	v_and_b32_e32 v40, 0x80000000, v40
	v_lshl_add_u32 v38, v38, 23, v45
	v_or3_b32 v62, v40, v38, v42
.LBB670_403:                            ;   in Loop: Header=BB670_213 Depth=1
	s_or_b64 exec, exec, s[20:21]
.LBB670_404:                            ;   in Loop: Header=BB670_213 Depth=1
	s_or_b64 exec, exec, s[18:19]
.LBB670_405:                            ;   in Loop: Header=BB670_213 Depth=1
	s_or_b64 exec, exec, s[16:17]
	v_cvt_pkrtz_f16_f32 v65, v44, v59
	buffer_load_dword v44, v58, s[0:3], 0 offen
	buffer_load_dword v42, v58, s[0:3], 0 offen offset:4
	buffer_load_dword v40, v58, s[0:3], 0 offen offset:8
	;; [unrolled: 1-line block ×3, first 2 shown]
	v_cvt_pkrtz_f16_f32 v64, v46, v48
	v_cvt_pkrtz_f16_f32 v48, v49, v61
	;; [unrolled: 1-line block ×3, first 2 shown]
	v_mfma_f32_16x16x16f16 v[34:37], v[64:65], v[14:15], v[34:37]
	s_waitcnt vmcnt(3)
	v_cmp_ne_u16_sdwa s[18:19], v44, v39 src0_sel:BYTE_0 src1_sel:DWORD
	v_mfma_f32_16x16x16f16 v[34:37], v[48:49], v[16:17], v[34:37]
	s_and_saveexec_b64 s[16:17], s[18:19]
	s_cbranch_execz .LBB670_411
; %bb.406:                              ;   in Loop: Header=BB670_213 Depth=1
	v_cmp_ne_u16_sdwa s[20:21], v44, s9 src0_sel:BYTE_0 src1_sel:DWORD
	v_bfrev_b32_e32 v47, 1
	s_and_saveexec_b64 s[18:19], s[20:21]
	s_cbranch_execz .LBB670_410
; %bb.407:                              ;   in Loop: Header=BB670_213 Depth=1
	v_and_b32_e32 v46, 0x7f, v44
	v_cmp_ne_u32_e32 vcc, s22, v46
	v_mov_b32_e32 v47, 0x7f800001
	s_and_saveexec_b64 s[20:21], vcc
	s_cbranch_execz .LBB670_409
; %bb.408:                              ;   in Loop: Header=BB670_213 Depth=1
	v_and_b32_e32 v47, 7, v44
	v_ffbh_u32_e32 v48, v47
	v_min_u32_e32 v59, 32, v48
	v_subrev_u32_e32 v48, 28, v59
	v_lshlrev_b64 v[48:49], v48, v[44:45]
	v_lshrrev_b32_e32 v58, 3, v46
	v_sub_u32_e32 v49, 29, v59
	v_and_b32_e32 v48, 7, v48
	v_cmp_gt_u32_e32 vcc, 8, v46
	v_cndmask_b32_e32 v46, v58, v49, vcc
	v_cndmask_b32_e32 v47, v47, v48, vcc
	v_lshlrev_b32_e32 v48, 24, v44
	v_lshlrev_b32_e32 v47, 20, v47
	v_and_b32_e32 v48, 0x80000000, v48
	v_lshl_add_u32 v46, v46, 23, v45
	v_or3_b32 v47, v48, v46, v47
.LBB670_409:                            ;   in Loop: Header=BB670_213 Depth=1
	s_or_b64 exec, exec, s[20:21]
.LBB670_410:                            ;   in Loop: Header=BB670_213 Depth=1
	s_or_b64 exec, exec, s[18:19]
.LBB670_411:                            ;   in Loop: Header=BB670_213 Depth=1
	s_or_b64 exec, exec, s[16:17]
	v_lshrrev_b16_e32 v46, 8, v44
	v_cmp_ne_u16_e32 vcc, 0, v46
	v_mov_b32_e32 v48, 0
	v_mov_b32_e32 v49, 0
	s_and_saveexec_b64 s[16:17], vcc
	s_cbranch_execz .LBB670_417
; %bb.412:                              ;   in Loop: Header=BB670_213 Depth=1
	v_cmp_ne_u16_e32 vcc, s9, v46
	v_bfrev_b32_e32 v49, 1
	s_and_saveexec_b64 s[18:19], vcc
	s_cbranch_execz .LBB670_416
; %bb.413:                              ;   in Loop: Header=BB670_213 Depth=1
	v_and_b32_e32 v58, 0x7f, v46
	v_cmp_ne_u32_e32 vcc, s22, v58
	v_mov_b32_e32 v49, 0x7f800001
	s_and_saveexec_b64 s[20:21], vcc
	s_cbranch_execz .LBB670_415
; %bb.414:                              ;   in Loop: Header=BB670_213 Depth=1
	v_and_b32_e32 v49, 7, v46
	v_ffbh_u32_e32 v60, v49
	v_min_u32_e32 v62, 32, v60
	v_subrev_u32_e32 v60, 28, v62
	v_lshlrev_b64 v[60:61], v60, v[46:47]
	v_lshrrev_b32_e32 v59, 3, v58
	v_sub_u32_e32 v46, 29, v62
	v_and_b32_e32 v60, 7, v60
	v_cmp_gt_u32_e32 vcc, 8, v58
	v_cndmask_b32_e32 v46, v59, v46, vcc
	v_cndmask_b32_e32 v49, v49, v60, vcc
	v_lshlrev_b32_e32 v58, 16, v44
	v_lshlrev_b32_e32 v49, 20, v49
	v_and_b32_e32 v58, 0x80000000, v58
	v_lshl_add_u32 v46, v46, 23, v45
	v_or3_b32 v49, v58, v46, v49
.LBB670_415:                            ;   in Loop: Header=BB670_213 Depth=1
	s_or_b64 exec, exec, s[20:21]
.LBB670_416:                            ;   in Loop: Header=BB670_213 Depth=1
	s_or_b64 exec, exec, s[18:19]
.LBB670_417:                            ;   in Loop: Header=BB670_213 Depth=1
	s_or_b64 exec, exec, s[16:17]
	v_lshrrev_b32_e32 v46, 16, v44
	v_cmp_ne_u16_sdwa s[18:19], v46, v39 src0_sel:BYTE_0 src1_sel:DWORD
	s_and_saveexec_b64 s[16:17], s[18:19]
	s_cbranch_execz .LBB670_423
; %bb.418:                              ;   in Loop: Header=BB670_213 Depth=1
	v_cmp_ne_u16_sdwa s[20:21], v46, s9 src0_sel:BYTE_0 src1_sel:DWORD
	v_bfrev_b32_e32 v48, 1
	s_and_saveexec_b64 s[18:19], s[20:21]
	s_cbranch_execz .LBB670_422
; %bb.419:                              ;   in Loop: Header=BB670_213 Depth=1
	v_bfe_u32 v58, v44, 16, 7
	v_cmp_ne_u32_e32 vcc, s22, v58
	v_mov_b32_e32 v48, 0x7f800001
	s_and_saveexec_b64 s[20:21], vcc
	s_cbranch_execz .LBB670_421
; %bb.420:                              ;   in Loop: Header=BB670_213 Depth=1
	v_and_b32_e32 v48, 7, v46
	v_ffbh_u32_e32 v60, v48
	v_min_u32_e32 v62, 32, v60
	v_subrev_u32_e32 v60, 28, v62
	v_lshlrev_b64 v[60:61], v60, v[46:47]
	v_lshrrev_b32_e32 v59, 3, v58
	v_sub_u32_e32 v61, 29, v62
	v_and_b32_e32 v60, 7, v60
	v_cmp_gt_u32_e32 vcc, 8, v58
	v_cndmask_b32_e32 v58, v59, v61, vcc
	v_cndmask_b32_e32 v48, v48, v60, vcc
	v_lshlrev_b32_e32 v46, 24, v46
	v_lshlrev_b32_e32 v48, 20, v48
	v_and_b32_e32 v46, 0x80000000, v46
	v_lshl_add_u32 v58, v58, 23, v45
	v_or3_b32 v48, v46, v58, v48
.LBB670_421:                            ;   in Loop: Header=BB670_213 Depth=1
	s_or_b64 exec, exec, s[20:21]
.LBB670_422:                            ;   in Loop: Header=BB670_213 Depth=1
	s_or_b64 exec, exec, s[18:19]
.LBB670_423:                            ;   in Loop: Header=BB670_213 Depth=1
	s_or_b64 exec, exec, s[16:17]
	v_cmp_lt_u32_e32 vcc, s23, v44
	v_mov_b32_e32 v58, 0
	v_mov_b32_e32 v59, 0
	s_and_saveexec_b64 s[16:17], vcc
	s_cbranch_execz .LBB670_429
; %bb.424:                              ;   in Loop: Header=BB670_213 Depth=1
	v_lshrrev_b32_e32 v46, 24, v44
	v_cmp_ne_u32_e32 vcc, s9, v46
	v_bfrev_b32_e32 v59, 1
	s_and_saveexec_b64 s[18:19], vcc
	s_cbranch_execz .LBB670_428
; %bb.425:                              ;   in Loop: Header=BB670_213 Depth=1
	v_bfe_u32 v44, v44, 24, 7
	v_cmp_ne_u32_e32 vcc, s22, v44
	v_mov_b32_e32 v59, 0x7f800001
	s_and_saveexec_b64 s[20:21], vcc
	s_cbranch_execz .LBB670_427
; %bb.426:                              ;   in Loop: Header=BB670_213 Depth=1
	v_and_b32_e32 v59, 7, v46
	v_ffbh_u32_e32 v60, v59
	v_min_u32_e32 v63, 32, v60
	v_subrev_u32_e32 v60, 28, v63
	v_lshlrev_b64 v[60:61], v60, v[46:47]
	v_lshrrev_b32_e32 v62, 3, v44
	v_sub_u32_e32 v61, 29, v63
	v_and_b32_e32 v60, 7, v60
	v_cmp_gt_u32_e32 vcc, 8, v44
	v_cndmask_b32_e32 v44, v62, v61, vcc
	v_cndmask_b32_e32 v59, v59, v60, vcc
	v_lshlrev_b32_e32 v46, 24, v46
	v_lshlrev_b32_e32 v59, 20, v59
	v_and_b32_e32 v46, 0x80000000, v46
	v_lshl_add_u32 v44, v44, 23, v45
	v_or3_b32 v59, v46, v44, v59
.LBB670_427:                            ;   in Loop: Header=BB670_213 Depth=1
	s_or_b64 exec, exec, s[20:21]
.LBB670_428:                            ;   in Loop: Header=BB670_213 Depth=1
	s_or_b64 exec, exec, s[18:19]
.LBB670_429:                            ;   in Loop: Header=BB670_213 Depth=1
	s_or_b64 exec, exec, s[16:17]
	s_waitcnt vmcnt(2)
	v_cmp_ne_u16_sdwa s[18:19], v42, v39 src0_sel:BYTE_0 src1_sel:DWORD
	s_and_saveexec_b64 s[16:17], s[18:19]
	s_cbranch_execz .LBB670_435
; %bb.430:                              ;   in Loop: Header=BB670_213 Depth=1
	v_cmp_ne_u16_sdwa s[20:21], v42, s9 src0_sel:BYTE_0 src1_sel:DWORD
	v_bfrev_b32_e32 v58, 1
	s_and_saveexec_b64 s[18:19], s[20:21]
	s_cbranch_execz .LBB670_434
; %bb.431:                              ;   in Loop: Header=BB670_213 Depth=1
	v_and_b32_e32 v44, 0x7f, v42
	v_cmp_ne_u32_e32 vcc, s22, v44
	v_mov_b32_e32 v58, 0x7f800001
	s_and_saveexec_b64 s[20:21], vcc
	s_cbranch_execz .LBB670_433
; %bb.432:                              ;   in Loop: Header=BB670_213 Depth=1
	v_and_b32_e32 v46, 7, v42
	v_ffbh_u32_e32 v60, v46
	v_min_u32_e32 v62, 32, v60
	v_subrev_u32_e32 v60, 28, v62
	v_lshlrev_b64 v[60:61], v60, v[42:43]
	v_lshrrev_b32_e32 v58, 3, v44
	v_sub_u32_e32 v61, 29, v62
	v_and_b32_e32 v60, 7, v60
	v_cmp_gt_u32_e32 vcc, 8, v44
	v_cndmask_b32_e32 v44, v58, v61, vcc
	v_cndmask_b32_e32 v46, v46, v60, vcc
	v_lshlrev_b32_e32 v58, 24, v42
	v_lshlrev_b32_e32 v46, 20, v46
	v_and_b32_e32 v58, 0x80000000, v58
	v_lshl_add_u32 v44, v44, 23, v45
	v_or3_b32 v58, v58, v44, v46
.LBB670_433:                            ;   in Loop: Header=BB670_213 Depth=1
	s_or_b64 exec, exec, s[20:21]
.LBB670_434:                            ;   in Loop: Header=BB670_213 Depth=1
	s_or_b64 exec, exec, s[18:19]
.LBB670_435:                            ;   in Loop: Header=BB670_213 Depth=1
	s_or_b64 exec, exec, s[16:17]
	v_lshrrev_b16_e32 v44, 8, v42
	v_cmp_ne_u16_e32 vcc, 0, v44
	v_mov_b32_e32 v60, 0
	v_mov_b32_e32 v61, 0
	s_and_saveexec_b64 s[16:17], vcc
	s_cbranch_execz .LBB670_441
; %bb.436:                              ;   in Loop: Header=BB670_213 Depth=1
	v_cmp_ne_u16_e32 vcc, s9, v44
	v_bfrev_b32_e32 v61, 1
	s_and_saveexec_b64 s[18:19], vcc
	s_cbranch_execz .LBB670_440
; %bb.437:                              ;   in Loop: Header=BB670_213 Depth=1
	v_and_b32_e32 v46, 0x7f, v44
	v_cmp_ne_u32_e32 vcc, s22, v46
	v_mov_b32_e32 v61, 0x7f800001
	s_and_saveexec_b64 s[20:21], vcc
	s_cbranch_execz .LBB670_439
; %bb.438:                              ;   in Loop: Header=BB670_213 Depth=1
	v_and_b32_e32 v61, 7, v44
	v_ffbh_u32_e32 v62, v61
	v_min_u32_e32 v65, 32, v62
	v_subrev_u32_e32 v62, 28, v65
	v_lshlrev_b64 v[62:63], v62, v[44:45]
	v_lshrrev_b32_e32 v64, 3, v46
	v_sub_u32_e32 v44, 29, v65
	v_and_b32_e32 v62, 7, v62
	v_cmp_gt_u32_e32 vcc, 8, v46
	v_cndmask_b32_e32 v44, v64, v44, vcc
	v_cndmask_b32_e32 v46, v61, v62, vcc
	v_lshlrev_b32_e32 v61, 16, v42
	v_lshlrev_b32_e32 v46, 20, v46
	v_and_b32_e32 v61, 0x80000000, v61
	v_lshl_add_u32 v44, v44, 23, v45
	v_or3_b32 v61, v61, v44, v46
.LBB670_439:                            ;   in Loop: Header=BB670_213 Depth=1
	s_or_b64 exec, exec, s[20:21]
.LBB670_440:                            ;   in Loop: Header=BB670_213 Depth=1
	s_or_b64 exec, exec, s[18:19]
.LBB670_441:                            ;   in Loop: Header=BB670_213 Depth=1
	s_or_b64 exec, exec, s[16:17]
	v_lshrrev_b32_e32 v44, 16, v42
	v_cmp_ne_u16_sdwa s[18:19], v44, v39 src0_sel:BYTE_0 src1_sel:DWORD
	s_and_saveexec_b64 s[16:17], s[18:19]
	s_cbranch_execz .LBB670_447
; %bb.442:                              ;   in Loop: Header=BB670_213 Depth=1
	v_cmp_ne_u16_sdwa s[20:21], v44, s9 src0_sel:BYTE_0 src1_sel:DWORD
	v_bfrev_b32_e32 v60, 1
	s_and_saveexec_b64 s[18:19], s[20:21]
	s_cbranch_execz .LBB670_446
; %bb.443:                              ;   in Loop: Header=BB670_213 Depth=1
	v_bfe_u32 v46, v42, 16, 7
	v_cmp_ne_u32_e32 vcc, s22, v46
	v_mov_b32_e32 v60, 0x7f800001
	s_and_saveexec_b64 s[20:21], vcc
	s_cbranch_execz .LBB670_445
; %bb.444:                              ;   in Loop: Header=BB670_213 Depth=1
	v_and_b32_e32 v60, 7, v44
	v_ffbh_u32_e32 v62, v60
	v_min_u32_e32 v65, 32, v62
	v_subrev_u32_e32 v62, 28, v65
	v_lshlrev_b64 v[62:63], v62, v[44:45]
	v_lshrrev_b32_e32 v64, 3, v46
	v_sub_u32_e32 v63, 29, v65
	v_and_b32_e32 v62, 7, v62
	v_cmp_gt_u32_e32 vcc, 8, v46
	v_cndmask_b32_e32 v46, v64, v63, vcc
	v_cndmask_b32_e32 v60, v60, v62, vcc
	v_lshlrev_b32_e32 v44, 24, v44
	v_lshlrev_b32_e32 v60, 20, v60
	v_and_b32_e32 v44, 0x80000000, v44
	v_lshl_add_u32 v46, v46, 23, v45
	v_or3_b32 v60, v44, v46, v60
.LBB670_445:                            ;   in Loop: Header=BB670_213 Depth=1
	s_or_b64 exec, exec, s[20:21]
.LBB670_446:                            ;   in Loop: Header=BB670_213 Depth=1
	s_or_b64 exec, exec, s[18:19]
.LBB670_447:                            ;   in Loop: Header=BB670_213 Depth=1
	s_or_b64 exec, exec, s[16:17]
	v_cmp_lt_u32_e32 vcc, s23, v42
	v_mov_b32_e32 v46, 0
	v_mov_b32_e32 v62, 0
	s_and_saveexec_b64 s[16:17], vcc
	s_cbranch_execz .LBB670_453
; %bb.448:                              ;   in Loop: Header=BB670_213 Depth=1
	v_lshrrev_b32_e32 v44, 24, v42
	v_cmp_ne_u32_e32 vcc, s9, v44
	v_bfrev_b32_e32 v62, 1
	s_and_saveexec_b64 s[18:19], vcc
	s_cbranch_execz .LBB670_452
; %bb.449:                              ;   in Loop: Header=BB670_213 Depth=1
	v_bfe_u32 v42, v42, 24, 7
	v_cmp_ne_u32_e32 vcc, s22, v42
	v_mov_b32_e32 v62, 0x7f800001
	s_and_saveexec_b64 s[20:21], vcc
	s_cbranch_execz .LBB670_451
; %bb.450:                              ;   in Loop: Header=BB670_213 Depth=1
	v_and_b32_e32 v64, 7, v44
	v_ffbh_u32_e32 v62, v64
	v_min_u32_e32 v66, 32, v62
	v_subrev_u32_e32 v62, 28, v66
	v_lshlrev_b64 v[62:63], v62, v[44:45]
	v_lshrrev_b32_e32 v65, 3, v42
	v_sub_u32_e32 v63, 29, v66
	v_and_b32_e32 v62, 7, v62
	v_cmp_gt_u32_e32 vcc, 8, v42
	v_cndmask_b32_e32 v42, v65, v63, vcc
	v_cndmask_b32_e32 v62, v64, v62, vcc
	v_lshlrev_b32_e32 v44, 24, v44
	v_lshlrev_b32_e32 v62, 20, v62
	v_and_b32_e32 v44, 0x80000000, v44
	v_lshl_add_u32 v42, v42, 23, v45
	v_or3_b32 v62, v44, v42, v62
.LBB670_451:                            ;   in Loop: Header=BB670_213 Depth=1
	s_or_b64 exec, exec, s[20:21]
.LBB670_452:                            ;   in Loop: Header=BB670_213 Depth=1
	s_or_b64 exec, exec, s[18:19]
.LBB670_453:                            ;   in Loop: Header=BB670_213 Depth=1
	s_or_b64 exec, exec, s[16:17]
	v_cvt_pkrtz_f16_f32 v64, v47, v49
	v_cvt_pkrtz_f16_f32 v65, v48, v59
	v_cvt_pkrtz_f16_f32 v48, v58, v61
	v_cvt_pkrtz_f16_f32 v49, v60, v62
	s_waitcnt vmcnt(1)
	v_cmp_ne_u16_sdwa s[18:19], v40, v39 src0_sel:BYTE_0 src1_sel:DWORD
	v_mfma_f32_16x16x16f16 v[34:37], v[64:65], v[18:19], v[34:37]
	v_mfma_f32_16x16x16f16 v[34:37], v[48:49], v[20:21], v[34:37]
	s_and_saveexec_b64 s[16:17], s[18:19]
	s_cbranch_execz .LBB670_459
; %bb.454:                              ;   in Loop: Header=BB670_213 Depth=1
	v_cmp_ne_u16_sdwa s[20:21], v40, s9 src0_sel:BYTE_0 src1_sel:DWORD
	v_bfrev_b32_e32 v46, 1
	s_and_saveexec_b64 s[18:19], s[20:21]
	s_cbranch_execz .LBB670_458
; %bb.455:                              ;   in Loop: Header=BB670_213 Depth=1
	v_and_b32_e32 v42, 0x7f, v40
	v_cmp_ne_u32_e32 vcc, s22, v42
	v_mov_b32_e32 v46, 0x7f800001
	s_and_saveexec_b64 s[20:21], vcc
	s_cbranch_execz .LBB670_457
; %bb.456:                              ;   in Loop: Header=BB670_213 Depth=1
	v_and_b32_e32 v44, 7, v40
	v_ffbh_u32_e32 v46, v44
	v_min_u32_e32 v49, 32, v46
	v_subrev_u32_e32 v46, 28, v49
	v_lshlrev_b64 v[46:47], v46, v[40:41]
	v_lshrrev_b32_e32 v48, 3, v42
	v_sub_u32_e32 v47, 29, v49
	v_and_b32_e32 v46, 7, v46
	v_cmp_gt_u32_e32 vcc, 8, v42
	v_cndmask_b32_e32 v42, v48, v47, vcc
	v_cndmask_b32_e32 v44, v44, v46, vcc
	v_lshlrev_b32_e32 v46, 24, v40
	v_lshlrev_b32_e32 v44, 20, v44
	v_and_b32_e32 v46, 0x80000000, v46
	v_lshl_add_u32 v42, v42, 23, v45
	v_or3_b32 v46, v46, v42, v44
.LBB670_457:                            ;   in Loop: Header=BB670_213 Depth=1
	s_or_b64 exec, exec, s[20:21]
.LBB670_458:                            ;   in Loop: Header=BB670_213 Depth=1
	s_or_b64 exec, exec, s[18:19]
.LBB670_459:                            ;   in Loop: Header=BB670_213 Depth=1
	s_or_b64 exec, exec, s[16:17]
	v_lshrrev_b16_e32 v42, 8, v40
	v_cmp_ne_u16_e32 vcc, 0, v42
	v_mov_b32_e32 v44, 0
	v_mov_b32_e32 v48, 0
	s_and_saveexec_b64 s[16:17], vcc
	s_cbranch_execz .LBB670_465
; %bb.460:                              ;   in Loop: Header=BB670_213 Depth=1
	v_cmp_ne_u16_e32 vcc, s9, v42
	v_bfrev_b32_e32 v48, 1
	s_and_saveexec_b64 s[18:19], vcc
	s_cbranch_execz .LBB670_464
; %bb.461:                              ;   in Loop: Header=BB670_213 Depth=1
	v_and_b32_e32 v47, 0x7f, v42
	v_cmp_ne_u32_e32 vcc, s22, v47
	v_mov_b32_e32 v48, 0x7f800001
	s_and_saveexec_b64 s[20:21], vcc
	s_cbranch_execz .LBB670_463
; %bb.462:                              ;   in Loop: Header=BB670_213 Depth=1
	v_and_b32_e32 v58, 7, v42
	v_ffbh_u32_e32 v48, v58
	v_min_u32_e32 v60, 32, v48
	v_subrev_u32_e32 v48, 28, v60
	v_lshlrev_b64 v[48:49], v48, v[42:43]
	v_lshrrev_b32_e32 v59, 3, v47
	v_sub_u32_e32 v42, 29, v60
	v_and_b32_e32 v48, 7, v48
	v_cmp_gt_u32_e32 vcc, 8, v47
	v_cndmask_b32_e32 v42, v59, v42, vcc
	v_cndmask_b32_e32 v47, v58, v48, vcc
	v_lshlrev_b32_e32 v48, 16, v40
	v_lshlrev_b32_e32 v47, 20, v47
	v_and_b32_e32 v48, 0x80000000, v48
	v_lshl_add_u32 v42, v42, 23, v45
	v_or3_b32 v48, v48, v42, v47
.LBB670_463:                            ;   in Loop: Header=BB670_213 Depth=1
	s_or_b64 exec, exec, s[20:21]
.LBB670_464:                            ;   in Loop: Header=BB670_213 Depth=1
	s_or_b64 exec, exec, s[18:19]
.LBB670_465:                            ;   in Loop: Header=BB670_213 Depth=1
	s_or_b64 exec, exec, s[16:17]
	v_lshrrev_b32_e32 v42, 16, v40
	v_cmp_ne_u16_sdwa s[18:19], v42, v39 src0_sel:BYTE_0 src1_sel:DWORD
	s_and_saveexec_b64 s[16:17], s[18:19]
	s_cbranch_execz .LBB670_471
; %bb.466:                              ;   in Loop: Header=BB670_213 Depth=1
	v_cmp_ne_u16_sdwa s[20:21], v42, s9 src0_sel:BYTE_0 src1_sel:DWORD
	v_bfrev_b32_e32 v44, 1
	s_and_saveexec_b64 s[18:19], s[20:21]
	s_cbranch_execz .LBB670_470
; %bb.467:                              ;   in Loop: Header=BB670_213 Depth=1
	v_bfe_u32 v47, v40, 16, 7
	v_cmp_ne_u32_e32 vcc, s22, v47
	v_mov_b32_e32 v44, 0x7f800001
	s_and_saveexec_b64 s[20:21], vcc
	s_cbranch_execz .LBB670_469
; %bb.468:                              ;   in Loop: Header=BB670_213 Depth=1
	v_and_b32_e32 v44, 7, v42
	v_ffbh_u32_e32 v58, v44
	v_min_u32_e32 v60, 32, v58
	v_subrev_u32_e32 v58, 28, v60
	v_lshlrev_b64 v[58:59], v58, v[42:43]
	v_lshrrev_b32_e32 v49, 3, v47
	v_sub_u32_e32 v59, 29, v60
	v_and_b32_e32 v58, 7, v58
	v_cmp_gt_u32_e32 vcc, 8, v47
	v_cndmask_b32_e32 v47, v49, v59, vcc
	v_cndmask_b32_e32 v44, v44, v58, vcc
	v_lshlrev_b32_e32 v42, 24, v42
	v_lshlrev_b32_e32 v44, 20, v44
	v_and_b32_e32 v42, 0x80000000, v42
	v_lshl_add_u32 v47, v47, 23, v45
	v_or3_b32 v44, v42, v47, v44
.LBB670_469:                            ;   in Loop: Header=BB670_213 Depth=1
	s_or_b64 exec, exec, s[20:21]
.LBB670_470:                            ;   in Loop: Header=BB670_213 Depth=1
	s_or_b64 exec, exec, s[18:19]
.LBB670_471:                            ;   in Loop: Header=BB670_213 Depth=1
	s_or_b64 exec, exec, s[16:17]
	v_cmp_lt_u32_e32 vcc, s23, v40
	v_mov_b32_e32 v49, 0
	v_mov_b32_e32 v58, 0
	s_and_saveexec_b64 s[16:17], vcc
	s_cbranch_execz .LBB670_477
; %bb.472:                              ;   in Loop: Header=BB670_213 Depth=1
	v_lshrrev_b32_e32 v42, 24, v40
	v_cmp_ne_u32_e32 vcc, s9, v42
	v_bfrev_b32_e32 v58, 1
	s_and_saveexec_b64 s[18:19], vcc
	s_cbranch_execz .LBB670_476
; %bb.473:                              ;   in Loop: Header=BB670_213 Depth=1
	v_bfe_u32 v40, v40, 24, 7
	v_cmp_ne_u32_e32 vcc, s22, v40
	v_mov_b32_e32 v58, 0x7f800001
	s_and_saveexec_b64 s[20:21], vcc
	s_cbranch_execz .LBB670_475
; %bb.474:                              ;   in Loop: Header=BB670_213 Depth=1
	v_and_b32_e32 v47, 7, v42
	v_ffbh_u32_e32 v58, v47
	v_min_u32_e32 v61, 32, v58
	v_subrev_u32_e32 v58, 28, v61
	v_lshlrev_b64 v[58:59], v58, v[42:43]
	v_lshrrev_b32_e32 v60, 3, v40
	v_sub_u32_e32 v59, 29, v61
	v_and_b32_e32 v58, 7, v58
	v_cmp_gt_u32_e32 vcc, 8, v40
	v_cndmask_b32_e32 v40, v60, v59, vcc
	v_cndmask_b32_e32 v47, v47, v58, vcc
	v_lshlrev_b32_e32 v42, 24, v42
	v_lshlrev_b32_e32 v47, 20, v47
	v_and_b32_e32 v42, 0x80000000, v42
	v_lshl_add_u32 v40, v40, 23, v45
	v_or3_b32 v58, v42, v40, v47
.LBB670_475:                            ;   in Loop: Header=BB670_213 Depth=1
	s_or_b64 exec, exec, s[20:21]
.LBB670_476:                            ;   in Loop: Header=BB670_213 Depth=1
	s_or_b64 exec, exec, s[18:19]
.LBB670_477:                            ;   in Loop: Header=BB670_213 Depth=1
	s_or_b64 exec, exec, s[16:17]
	s_waitcnt vmcnt(0)
	v_cmp_ne_u16_sdwa s[18:19], v38, v39 src0_sel:BYTE_0 src1_sel:DWORD
	s_and_saveexec_b64 s[16:17], s[18:19]
	s_cbranch_execz .LBB670_483
; %bb.478:                              ;   in Loop: Header=BB670_213 Depth=1
	v_cmp_ne_u16_sdwa s[20:21], v38, s9 src0_sel:BYTE_0 src1_sel:DWORD
	v_bfrev_b32_e32 v49, 1
	s_and_saveexec_b64 s[18:19], s[20:21]
	s_cbranch_execz .LBB670_482
; %bb.479:                              ;   in Loop: Header=BB670_213 Depth=1
	v_and_b32_e32 v40, 0x7f, v38
	v_cmp_ne_u32_e32 vcc, s22, v40
	v_mov_b32_e32 v49, 0x7f800001
	s_and_saveexec_b64 s[20:21], vcc
	s_cbranch_execz .LBB670_481
; %bb.480:                              ;   in Loop: Header=BB670_213 Depth=1
	v_and_b32_e32 v42, 7, v38
	v_ffbh_u32_e32 v49, v42
	v_min_u32_e32 v49, 32, v49
	v_subrev_u32_e32 v59, 28, v49
	v_lshlrev_b64 v[60:61], v59, v[38:39]
	v_lshrrev_b32_e32 v47, 3, v40
	v_sub_u32_e32 v49, 29, v49
	v_and_b32_e32 v59, 7, v60
	v_cmp_gt_u32_e32 vcc, 8, v40
	v_cndmask_b32_e32 v40, v47, v49, vcc
	v_cndmask_b32_e32 v42, v42, v59, vcc
	v_lshlrev_b32_e32 v47, 24, v38
	v_lshlrev_b32_e32 v42, 20, v42
	v_and_b32_e32 v47, 0x80000000, v47
	v_lshl_add_u32 v40, v40, 23, v45
	v_or3_b32 v49, v47, v40, v42
.LBB670_481:                            ;   in Loop: Header=BB670_213 Depth=1
	s_or_b64 exec, exec, s[20:21]
.LBB670_482:                            ;   in Loop: Header=BB670_213 Depth=1
	s_or_b64 exec, exec, s[18:19]
.LBB670_483:                            ;   in Loop: Header=BB670_213 Depth=1
	s_or_b64 exec, exec, s[16:17]
	v_lshrrev_b16_e32 v40, 8, v38
	v_cmp_ne_u16_e32 vcc, 0, v40
	v_mov_b32_e32 v59, 0
	v_mov_b32_e32 v60, 0
	s_and_saveexec_b64 s[16:17], vcc
	s_cbranch_execz .LBB670_489
; %bb.484:                              ;   in Loop: Header=BB670_213 Depth=1
	v_cmp_ne_u16_e32 vcc, s9, v40
	v_bfrev_b32_e32 v60, 1
	s_and_saveexec_b64 s[18:19], vcc
	s_cbranch_execz .LBB670_488
; %bb.485:                              ;   in Loop: Header=BB670_213 Depth=1
	v_and_b32_e32 v42, 0x7f, v40
	v_cmp_ne_u32_e32 vcc, s22, v42
	v_mov_b32_e32 v60, 0x7f800001
	s_and_saveexec_b64 s[20:21], vcc
	s_cbranch_execz .LBB670_487
; %bb.486:                              ;   in Loop: Header=BB670_213 Depth=1
	v_and_b32_e32 v47, 7, v40
	v_ffbh_u32_e32 v60, v47
	v_min_u32_e32 v63, 32, v60
	v_subrev_u32_e32 v60, 28, v63
	v_lshlrev_b64 v[60:61], v60, v[40:41]
	v_lshrrev_b32_e32 v62, 3, v42
	v_sub_u32_e32 v40, 29, v63
	v_and_b32_e32 v60, 7, v60
	v_cmp_gt_u32_e32 vcc, 8, v42
	v_cndmask_b32_e32 v40, v62, v40, vcc
	v_cndmask_b32_e32 v42, v47, v60, vcc
	v_lshlrev_b32_e32 v47, 16, v38
	v_lshlrev_b32_e32 v42, 20, v42
	v_and_b32_e32 v47, 0x80000000, v47
	v_lshl_add_u32 v40, v40, 23, v45
	v_or3_b32 v60, v47, v40, v42
.LBB670_487:                            ;   in Loop: Header=BB670_213 Depth=1
	s_or_b64 exec, exec, s[20:21]
.LBB670_488:                            ;   in Loop: Header=BB670_213 Depth=1
	s_or_b64 exec, exec, s[18:19]
.LBB670_489:                            ;   in Loop: Header=BB670_213 Depth=1
	s_or_b64 exec, exec, s[16:17]
	v_lshrrev_b32_e32 v40, 16, v38
	v_cmp_ne_u16_sdwa s[18:19], v40, v39 src0_sel:BYTE_0 src1_sel:DWORD
	s_and_saveexec_b64 s[16:17], s[18:19]
	s_cbranch_execz .LBB670_495
; %bb.490:                              ;   in Loop: Header=BB670_213 Depth=1
	v_cmp_ne_u16_sdwa s[20:21], v40, s9 src0_sel:BYTE_0 src1_sel:DWORD
	v_bfrev_b32_e32 v59, 1
	s_and_saveexec_b64 s[18:19], s[20:21]
	s_cbranch_execz .LBB670_494
; %bb.491:                              ;   in Loop: Header=BB670_213 Depth=1
	v_bfe_u32 v42, v38, 16, 7
	v_cmp_ne_u32_e32 vcc, s22, v42
	v_mov_b32_e32 v59, 0x7f800001
	s_and_saveexec_b64 s[20:21], vcc
	s_cbranch_execz .LBB670_493
; %bb.492:                              ;   in Loop: Header=BB670_213 Depth=1
	v_and_b32_e32 v47, 7, v40
	v_ffbh_u32_e32 v61, v47
	v_min_u32_e32 v61, 32, v61
	v_subrev_u32_e32 v62, 28, v61
	v_lshlrev_b64 v[62:63], v62, v[40:41]
	v_lshrrev_b32_e32 v59, 3, v42
	v_sub_u32_e32 v61, 29, v61
	v_and_b32_e32 v62, 7, v62
	v_cmp_gt_u32_e32 vcc, 8, v42
	v_cndmask_b32_e32 v42, v59, v61, vcc
	v_cndmask_b32_e32 v47, v47, v62, vcc
	v_lshlrev_b32_e32 v40, 24, v40
	v_lshlrev_b32_e32 v47, 20, v47
	v_and_b32_e32 v40, 0x80000000, v40
	v_lshl_add_u32 v42, v42, 23, v45
	v_or3_b32 v59, v40, v42, v47
.LBB670_493:                            ;   in Loop: Header=BB670_213 Depth=1
	s_or_b64 exec, exec, s[20:21]
.LBB670_494:                            ;   in Loop: Header=BB670_213 Depth=1
	s_or_b64 exec, exec, s[18:19]
.LBB670_495:                            ;   in Loop: Header=BB670_213 Depth=1
	s_or_b64 exec, exec, s[16:17]
	v_cmp_lt_u32_e32 vcc, s23, v38
	v_mov_b32_e32 v47, 0
	v_mov_b32_e32 v61, 0
	s_and_saveexec_b64 s[16:17], vcc
	s_cbranch_execz .LBB670_501
; %bb.496:                              ;   in Loop: Header=BB670_213 Depth=1
	v_lshrrev_b32_e32 v40, 24, v38
	v_cmp_ne_u32_e32 vcc, s9, v40
	v_bfrev_b32_e32 v61, 1
	s_and_saveexec_b64 s[18:19], vcc
	s_cbranch_execz .LBB670_500
; %bb.497:                              ;   in Loop: Header=BB670_213 Depth=1
	v_bfe_u32 v38, v38, 24, 7
	v_cmp_ne_u32_e32 vcc, s22, v38
	v_mov_b32_e32 v61, 0x7f800001
	s_and_saveexec_b64 s[20:21], vcc
	s_cbranch_execz .LBB670_499
; %bb.498:                              ;   in Loop: Header=BB670_213 Depth=1
	v_and_b32_e32 v42, 7, v40
	v_ffbh_u32_e32 v62, v42
	v_min_u32_e32 v64, 32, v62
	v_subrev_u32_e32 v62, 28, v64
	v_lshlrev_b64 v[62:63], v62, v[40:41]
	v_lshrrev_b32_e32 v61, 3, v38
	v_sub_u32_e32 v63, 29, v64
	v_and_b32_e32 v62, 7, v62
	v_cmp_gt_u32_e32 vcc, 8, v38
	v_cndmask_b32_e32 v38, v61, v63, vcc
	v_cndmask_b32_e32 v42, v42, v62, vcc
	v_lshlrev_b32_e32 v40, 24, v40
	v_lshlrev_b32_e32 v42, 20, v42
	v_and_b32_e32 v40, 0x80000000, v40
	v_lshl_add_u32 v38, v38, 23, v45
	v_or3_b32 v61, v40, v38, v42
.LBB670_499:                            ;   in Loop: Header=BB670_213 Depth=1
	s_or_b64 exec, exec, s[20:21]
.LBB670_500:                            ;   in Loop: Header=BB670_213 Depth=1
	s_or_b64 exec, exec, s[18:19]
.LBB670_501:                            ;   in Loop: Header=BB670_213 Depth=1
	s_or_b64 exec, exec, s[16:17]
	v_cvt_pkrtz_f16_f32 v63, v44, v58
	buffer_load_dword v44, v57, s[0:3], 0 offen
	buffer_load_dword v42, v57, s[0:3], 0 offen offset:4
	buffer_load_dword v40, v57, s[0:3], 0 offen offset:8
	;; [unrolled: 1-line block ×3, first 2 shown]
	v_cvt_pkrtz_f16_f32 v62, v46, v48
	v_cvt_pkrtz_f16_f32 v48, v49, v60
	;; [unrolled: 1-line block ×3, first 2 shown]
	v_mfma_f32_16x16x16f16 v[34:37], v[62:63], v[22:23], v[34:37]
	s_waitcnt vmcnt(3)
	v_cmp_ne_u16_sdwa s[18:19], v44, v39 src0_sel:BYTE_0 src1_sel:DWORD
	v_mfma_f32_16x16x16f16 v[34:37], v[48:49], v[24:25], v[34:37]
	s_and_saveexec_b64 s[16:17], s[18:19]
	s_cbranch_execz .LBB670_507
; %bb.502:                              ;   in Loop: Header=BB670_213 Depth=1
	v_cmp_ne_u16_sdwa s[20:21], v44, s9 src0_sel:BYTE_0 src1_sel:DWORD
	v_bfrev_b32_e32 v47, 1
	s_and_saveexec_b64 s[18:19], s[20:21]
	s_cbranch_execz .LBB670_506
; %bb.503:                              ;   in Loop: Header=BB670_213 Depth=1
	v_and_b32_e32 v46, 0x7f, v44
	v_cmp_ne_u32_e32 vcc, s22, v46
	v_mov_b32_e32 v47, 0x7f800001
	s_and_saveexec_b64 s[20:21], vcc
	s_cbranch_execz .LBB670_505
; %bb.504:                              ;   in Loop: Header=BB670_213 Depth=1
	v_and_b32_e32 v47, 7, v44
	v_ffbh_u32_e32 v48, v47
	v_min_u32_e32 v58, 32, v48
	v_subrev_u32_e32 v48, 28, v58
	v_lshlrev_b64 v[48:49], v48, v[44:45]
	v_lshrrev_b32_e32 v57, 3, v46
	v_sub_u32_e32 v49, 29, v58
	v_and_b32_e32 v48, 7, v48
	v_cmp_gt_u32_e32 vcc, 8, v46
	v_cndmask_b32_e32 v46, v57, v49, vcc
	v_cndmask_b32_e32 v47, v47, v48, vcc
	v_lshlrev_b32_e32 v48, 24, v44
	v_lshlrev_b32_e32 v47, 20, v47
	v_and_b32_e32 v48, 0x80000000, v48
	v_lshl_add_u32 v46, v46, 23, v45
	v_or3_b32 v47, v48, v46, v47
.LBB670_505:                            ;   in Loop: Header=BB670_213 Depth=1
	s_or_b64 exec, exec, s[20:21]
.LBB670_506:                            ;   in Loop: Header=BB670_213 Depth=1
	s_or_b64 exec, exec, s[18:19]
.LBB670_507:                            ;   in Loop: Header=BB670_213 Depth=1
	s_or_b64 exec, exec, s[16:17]
	v_lshrrev_b16_e32 v46, 8, v44
	v_cmp_ne_u16_e32 vcc, 0, v46
	v_mov_b32_e32 v48, 0
	v_mov_b32_e32 v49, 0
	s_and_saveexec_b64 s[16:17], vcc
	s_cbranch_execz .LBB670_513
; %bb.508:                              ;   in Loop: Header=BB670_213 Depth=1
	v_cmp_ne_u16_e32 vcc, s9, v46
	v_bfrev_b32_e32 v49, 1
	s_and_saveexec_b64 s[18:19], vcc
	s_cbranch_execz .LBB670_512
; %bb.509:                              ;   in Loop: Header=BB670_213 Depth=1
	v_and_b32_e32 v57, 0x7f, v46
	v_cmp_ne_u32_e32 vcc, s22, v57
	v_mov_b32_e32 v49, 0x7f800001
	s_and_saveexec_b64 s[20:21], vcc
	s_cbranch_execz .LBB670_511
; %bb.510:                              ;   in Loop: Header=BB670_213 Depth=1
	v_and_b32_e32 v49, 7, v46
	v_ffbh_u32_e32 v58, v49
	v_min_u32_e32 v61, 32, v58
	v_subrev_u32_e32 v58, 28, v61
	v_lshlrev_b64 v[58:59], v58, v[46:47]
	v_lshrrev_b32_e32 v60, 3, v57
	v_sub_u32_e32 v46, 29, v61
	v_and_b32_e32 v58, 7, v58
	v_cmp_gt_u32_e32 vcc, 8, v57
	v_cndmask_b32_e32 v46, v60, v46, vcc
	v_cndmask_b32_e32 v49, v49, v58, vcc
	v_lshlrev_b32_e32 v57, 16, v44
	v_lshlrev_b32_e32 v49, 20, v49
	v_and_b32_e32 v57, 0x80000000, v57
	v_lshl_add_u32 v46, v46, 23, v45
	v_or3_b32 v49, v57, v46, v49
.LBB670_511:                            ;   in Loop: Header=BB670_213 Depth=1
	s_or_b64 exec, exec, s[20:21]
.LBB670_512:                            ;   in Loop: Header=BB670_213 Depth=1
	s_or_b64 exec, exec, s[18:19]
.LBB670_513:                            ;   in Loop: Header=BB670_213 Depth=1
	s_or_b64 exec, exec, s[16:17]
	v_lshrrev_b32_e32 v46, 16, v44
	v_cmp_ne_u16_sdwa s[18:19], v46, v39 src0_sel:BYTE_0 src1_sel:DWORD
	s_and_saveexec_b64 s[16:17], s[18:19]
	s_cbranch_execz .LBB670_519
; %bb.514:                              ;   in Loop: Header=BB670_213 Depth=1
	v_cmp_ne_u16_sdwa s[20:21], v46, s9 src0_sel:BYTE_0 src1_sel:DWORD
	v_bfrev_b32_e32 v48, 1
	s_and_saveexec_b64 s[18:19], s[20:21]
	s_cbranch_execz .LBB670_518
; %bb.515:                              ;   in Loop: Header=BB670_213 Depth=1
	v_bfe_u32 v57, v44, 16, 7
	v_cmp_ne_u32_e32 vcc, s22, v57
	v_mov_b32_e32 v48, 0x7f800001
	s_and_saveexec_b64 s[20:21], vcc
	s_cbranch_execz .LBB670_517
; %bb.516:                              ;   in Loop: Header=BB670_213 Depth=1
	v_and_b32_e32 v48, 7, v46
	v_ffbh_u32_e32 v58, v48
	v_min_u32_e32 v61, 32, v58
	v_subrev_u32_e32 v58, 28, v61
	v_lshlrev_b64 v[58:59], v58, v[46:47]
	v_lshrrev_b32_e32 v60, 3, v57
	v_sub_u32_e32 v59, 29, v61
	v_and_b32_e32 v58, 7, v58
	v_cmp_gt_u32_e32 vcc, 8, v57
	v_cndmask_b32_e32 v57, v60, v59, vcc
	v_cndmask_b32_e32 v48, v48, v58, vcc
	v_lshlrev_b32_e32 v46, 24, v46
	v_lshlrev_b32_e32 v48, 20, v48
	v_and_b32_e32 v46, 0x80000000, v46
	v_lshl_add_u32 v57, v57, 23, v45
	v_or3_b32 v48, v46, v57, v48
.LBB670_517:                            ;   in Loop: Header=BB670_213 Depth=1
	s_or_b64 exec, exec, s[20:21]
.LBB670_518:                            ;   in Loop: Header=BB670_213 Depth=1
	s_or_b64 exec, exec, s[18:19]
.LBB670_519:                            ;   in Loop: Header=BB670_213 Depth=1
	s_or_b64 exec, exec, s[16:17]
	v_cmp_lt_u32_e32 vcc, s23, v44
	v_mov_b32_e32 v57, 0
	v_mov_b32_e32 v58, 0
	s_and_saveexec_b64 s[16:17], vcc
	s_cbranch_execz .LBB670_525
; %bb.520:                              ;   in Loop: Header=BB670_213 Depth=1
	v_lshrrev_b32_e32 v46, 24, v44
	v_cmp_ne_u32_e32 vcc, s9, v46
	v_bfrev_b32_e32 v58, 1
	s_and_saveexec_b64 s[18:19], vcc
	s_cbranch_execz .LBB670_524
; %bb.521:                              ;   in Loop: Header=BB670_213 Depth=1
	v_bfe_u32 v44, v44, 24, 7
	v_cmp_ne_u32_e32 vcc, s22, v44
	v_mov_b32_e32 v58, 0x7f800001
	s_and_saveexec_b64 s[20:21], vcc
	s_cbranch_execz .LBB670_523
; %bb.522:                              ;   in Loop: Header=BB670_213 Depth=1
	v_and_b32_e32 v60, 7, v46
	v_ffbh_u32_e32 v58, v60
	v_min_u32_e32 v62, 32, v58
	v_subrev_u32_e32 v58, 28, v62
	v_lshlrev_b64 v[58:59], v58, v[46:47]
	v_lshrrev_b32_e32 v61, 3, v44
	v_sub_u32_e32 v59, 29, v62
	v_and_b32_e32 v58, 7, v58
	v_cmp_gt_u32_e32 vcc, 8, v44
	v_cndmask_b32_e32 v44, v61, v59, vcc
	v_cndmask_b32_e32 v58, v60, v58, vcc
	v_lshlrev_b32_e32 v46, 24, v46
	v_lshlrev_b32_e32 v58, 20, v58
	v_and_b32_e32 v46, 0x80000000, v46
	v_lshl_add_u32 v44, v44, 23, v45
	v_or3_b32 v58, v46, v44, v58
.LBB670_523:                            ;   in Loop: Header=BB670_213 Depth=1
	s_or_b64 exec, exec, s[20:21]
.LBB670_524:                            ;   in Loop: Header=BB670_213 Depth=1
	s_or_b64 exec, exec, s[18:19]
.LBB670_525:                            ;   in Loop: Header=BB670_213 Depth=1
	s_or_b64 exec, exec, s[16:17]
	s_waitcnt vmcnt(2)
	v_cmp_ne_u16_sdwa s[18:19], v42, v39 src0_sel:BYTE_0 src1_sel:DWORD
	s_and_saveexec_b64 s[16:17], s[18:19]
	s_cbranch_execz .LBB670_531
; %bb.526:                              ;   in Loop: Header=BB670_213 Depth=1
	v_cmp_ne_u16_sdwa s[20:21], v42, s9 src0_sel:BYTE_0 src1_sel:DWORD
	v_bfrev_b32_e32 v57, 1
	s_and_saveexec_b64 s[18:19], s[20:21]
	s_cbranch_execz .LBB670_530
; %bb.527:                              ;   in Loop: Header=BB670_213 Depth=1
	v_and_b32_e32 v44, 0x7f, v42
	v_cmp_ne_u32_e32 vcc, s22, v44
	v_mov_b32_e32 v57, 0x7f800001
	s_and_saveexec_b64 s[20:21], vcc
	s_cbranch_execz .LBB670_529
; %bb.528:                              ;   in Loop: Header=BB670_213 Depth=1
	v_and_b32_e32 v46, 7, v42
	v_ffbh_u32_e32 v59, v46
	v_min_u32_e32 v59, 32, v59
	v_subrev_u32_e32 v60, 28, v59
	v_lshlrev_b64 v[60:61], v60, v[42:43]
	v_lshrrev_b32_e32 v57, 3, v44
	v_sub_u32_e32 v59, 29, v59
	v_and_b32_e32 v60, 7, v60
	v_cmp_gt_u32_e32 vcc, 8, v44
	v_cndmask_b32_e32 v44, v57, v59, vcc
	v_cndmask_b32_e32 v46, v46, v60, vcc
	v_lshlrev_b32_e32 v57, 24, v42
	v_lshlrev_b32_e32 v46, 20, v46
	v_and_b32_e32 v57, 0x80000000, v57
	v_lshl_add_u32 v44, v44, 23, v45
	v_or3_b32 v57, v57, v44, v46
.LBB670_529:                            ;   in Loop: Header=BB670_213 Depth=1
	s_or_b64 exec, exec, s[20:21]
.LBB670_530:                            ;   in Loop: Header=BB670_213 Depth=1
	s_or_b64 exec, exec, s[18:19]
.LBB670_531:                            ;   in Loop: Header=BB670_213 Depth=1
	s_or_b64 exec, exec, s[16:17]
	v_lshrrev_b16_e32 v44, 8, v42
	v_cmp_ne_u16_e32 vcc, 0, v44
	v_mov_b32_e32 v59, 0
	v_mov_b32_e32 v60, 0
	s_and_saveexec_b64 s[16:17], vcc
	s_cbranch_execz .LBB670_537
; %bb.532:                              ;   in Loop: Header=BB670_213 Depth=1
	v_cmp_ne_u16_e32 vcc, s9, v44
	v_bfrev_b32_e32 v60, 1
	s_and_saveexec_b64 s[18:19], vcc
	s_cbranch_execz .LBB670_536
; %bb.533:                              ;   in Loop: Header=BB670_213 Depth=1
	v_and_b32_e32 v46, 0x7f, v44
	v_cmp_ne_u32_e32 vcc, s22, v46
	v_mov_b32_e32 v60, 0x7f800001
	s_and_saveexec_b64 s[20:21], vcc
	s_cbranch_execz .LBB670_535
; %bb.534:                              ;   in Loop: Header=BB670_213 Depth=1
	v_and_b32_e32 v62, 7, v44
	v_ffbh_u32_e32 v60, v62
	v_min_u32_e32 v64, 32, v60
	v_subrev_u32_e32 v60, 28, v64
	v_lshlrev_b64 v[60:61], v60, v[44:45]
	v_lshrrev_b32_e32 v63, 3, v46
	v_sub_u32_e32 v44, 29, v64
	v_and_b32_e32 v60, 7, v60
	v_cmp_gt_u32_e32 vcc, 8, v46
	v_cndmask_b32_e32 v44, v63, v44, vcc
	v_cndmask_b32_e32 v46, v62, v60, vcc
	v_lshlrev_b32_e32 v60, 16, v42
	v_lshlrev_b32_e32 v46, 20, v46
	v_and_b32_e32 v60, 0x80000000, v60
	v_lshl_add_u32 v44, v44, 23, v45
	v_or3_b32 v60, v60, v44, v46
.LBB670_535:                            ;   in Loop: Header=BB670_213 Depth=1
	s_or_b64 exec, exec, s[20:21]
.LBB670_536:                            ;   in Loop: Header=BB670_213 Depth=1
	s_or_b64 exec, exec, s[18:19]
.LBB670_537:                            ;   in Loop: Header=BB670_213 Depth=1
	s_or_b64 exec, exec, s[16:17]
	v_lshrrev_b32_e32 v44, 16, v42
	v_cmp_ne_u16_sdwa s[18:19], v44, v39 src0_sel:BYTE_0 src1_sel:DWORD
	s_and_saveexec_b64 s[16:17], s[18:19]
	s_cbranch_execz .LBB670_543
; %bb.538:                              ;   in Loop: Header=BB670_213 Depth=1
	v_cmp_ne_u16_sdwa s[20:21], v44, s9 src0_sel:BYTE_0 src1_sel:DWORD
	v_bfrev_b32_e32 v59, 1
	s_and_saveexec_b64 s[18:19], s[20:21]
	s_cbranch_execz .LBB670_542
; %bb.539:                              ;   in Loop: Header=BB670_213 Depth=1
	v_bfe_u32 v46, v42, 16, 7
	v_cmp_ne_u32_e32 vcc, s22, v46
	v_mov_b32_e32 v59, 0x7f800001
	s_and_saveexec_b64 s[20:21], vcc
	s_cbranch_execz .LBB670_541
; %bb.540:                              ;   in Loop: Header=BB670_213 Depth=1
	v_and_b32_e32 v59, 7, v44
	v_ffbh_u32_e32 v62, v59
	v_min_u32_e32 v64, 32, v62
	v_subrev_u32_e32 v62, 28, v64
	v_lshlrev_b64 v[62:63], v62, v[44:45]
	v_lshrrev_b32_e32 v61, 3, v46
	v_sub_u32_e32 v63, 29, v64
	v_and_b32_e32 v62, 7, v62
	v_cmp_gt_u32_e32 vcc, 8, v46
	v_cndmask_b32_e32 v46, v61, v63, vcc
	v_cndmask_b32_e32 v59, v59, v62, vcc
	v_lshlrev_b32_e32 v44, 24, v44
	v_lshlrev_b32_e32 v59, 20, v59
	v_and_b32_e32 v44, 0x80000000, v44
	v_lshl_add_u32 v46, v46, 23, v45
	v_or3_b32 v59, v44, v46, v59
.LBB670_541:                            ;   in Loop: Header=BB670_213 Depth=1
	s_or_b64 exec, exec, s[20:21]
.LBB670_542:                            ;   in Loop: Header=BB670_213 Depth=1
	s_or_b64 exec, exec, s[18:19]
.LBB670_543:                            ;   in Loop: Header=BB670_213 Depth=1
	s_or_b64 exec, exec, s[16:17]
	v_cmp_lt_u32_e32 vcc, s23, v42
	v_mov_b32_e32 v46, 0
	v_mov_b32_e32 v61, 0
	s_and_saveexec_b64 s[16:17], vcc
	s_cbranch_execz .LBB670_549
; %bb.544:                              ;   in Loop: Header=BB670_213 Depth=1
	v_lshrrev_b32_e32 v44, 24, v42
	v_cmp_ne_u32_e32 vcc, s9, v44
	v_bfrev_b32_e32 v61, 1
	s_and_saveexec_b64 s[18:19], vcc
	s_cbranch_execz .LBB670_548
; %bb.545:                              ;   in Loop: Header=BB670_213 Depth=1
	v_bfe_u32 v42, v42, 24, 7
	v_cmp_ne_u32_e32 vcc, s22, v42
	v_mov_b32_e32 v61, 0x7f800001
	s_and_saveexec_b64 s[20:21], vcc
	s_cbranch_execz .LBB670_547
; %bb.546:                              ;   in Loop: Header=BB670_213 Depth=1
	v_and_b32_e32 v61, 7, v44
	v_ffbh_u32_e32 v62, v61
	v_min_u32_e32 v65, 32, v62
	v_subrev_u32_e32 v62, 28, v65
	v_lshlrev_b64 v[62:63], v62, v[44:45]
	v_lshrrev_b32_e32 v64, 3, v42
	v_sub_u32_e32 v63, 29, v65
	v_and_b32_e32 v62, 7, v62
	v_cmp_gt_u32_e32 vcc, 8, v42
	v_cndmask_b32_e32 v42, v64, v63, vcc
	v_cndmask_b32_e32 v61, v61, v62, vcc
	v_lshlrev_b32_e32 v44, 24, v44
	v_lshlrev_b32_e32 v61, 20, v61
	v_and_b32_e32 v44, 0x80000000, v44
	v_lshl_add_u32 v42, v42, 23, v45
	v_or3_b32 v61, v44, v42, v61
.LBB670_547:                            ;   in Loop: Header=BB670_213 Depth=1
	s_or_b64 exec, exec, s[20:21]
.LBB670_548:                            ;   in Loop: Header=BB670_213 Depth=1
	s_or_b64 exec, exec, s[18:19]
.LBB670_549:                            ;   in Loop: Header=BB670_213 Depth=1
	s_or_b64 exec, exec, s[16:17]
	v_cvt_pkrtz_f16_f32 v62, v47, v49
	v_cvt_pkrtz_f16_f32 v63, v48, v58
	;; [unrolled: 1-line block ×4, first 2 shown]
	s_waitcnt vmcnt(1)
	v_cmp_ne_u16_sdwa s[18:19], v40, v39 src0_sel:BYTE_0 src1_sel:DWORD
	v_mfma_f32_16x16x16f16 v[34:37], v[62:63], v[26:27], v[34:37]
	v_mfma_f32_16x16x16f16 v[34:37], v[48:49], v[28:29], v[34:37]
	s_and_saveexec_b64 s[16:17], s[18:19]
	s_cbranch_execz .LBB670_555
; %bb.550:                              ;   in Loop: Header=BB670_213 Depth=1
	v_cmp_ne_u16_sdwa s[20:21], v40, s9 src0_sel:BYTE_0 src1_sel:DWORD
	v_bfrev_b32_e32 v46, 1
	s_and_saveexec_b64 s[18:19], s[20:21]
	s_cbranch_execz .LBB670_554
; %bb.551:                              ;   in Loop: Header=BB670_213 Depth=1
	v_and_b32_e32 v42, 0x7f, v40
	v_cmp_ne_u32_e32 vcc, s22, v42
	v_mov_b32_e32 v46, 0x7f800001
	s_and_saveexec_b64 s[20:21], vcc
	s_cbranch_execz .LBB670_553
; %bb.552:                              ;   in Loop: Header=BB670_213 Depth=1
	v_and_b32_e32 v44, 7, v40
	v_ffbh_u32_e32 v46, v44
	v_min_u32_e32 v49, 32, v46
	v_subrev_u32_e32 v46, 28, v49
	v_lshlrev_b64 v[46:47], v46, v[40:41]
	v_lshrrev_b32_e32 v48, 3, v42
	v_sub_u32_e32 v47, 29, v49
	v_and_b32_e32 v46, 7, v46
	v_cmp_gt_u32_e32 vcc, 8, v42
	v_cndmask_b32_e32 v42, v48, v47, vcc
	v_cndmask_b32_e32 v44, v44, v46, vcc
	v_lshlrev_b32_e32 v46, 24, v40
	v_lshlrev_b32_e32 v44, 20, v44
	v_and_b32_e32 v46, 0x80000000, v46
	v_lshl_add_u32 v42, v42, 23, v45
	v_or3_b32 v46, v46, v42, v44
.LBB670_553:                            ;   in Loop: Header=BB670_213 Depth=1
	s_or_b64 exec, exec, s[20:21]
.LBB670_554:                            ;   in Loop: Header=BB670_213 Depth=1
	s_or_b64 exec, exec, s[18:19]
.LBB670_555:                            ;   in Loop: Header=BB670_213 Depth=1
	s_or_b64 exec, exec, s[16:17]
	v_lshrrev_b16_e32 v42, 8, v40
	v_cmp_ne_u16_e32 vcc, 0, v42
	v_mov_b32_e32 v44, 0
	v_mov_b32_e32 v47, 0
	s_and_saveexec_b64 s[16:17], vcc
	s_cbranch_execz .LBB670_561
; %bb.556:                              ;   in Loop: Header=BB670_213 Depth=1
	v_cmp_ne_u16_e32 vcc, s9, v42
	v_bfrev_b32_e32 v47, 1
	s_and_saveexec_b64 s[18:19], vcc
	s_cbranch_execz .LBB670_560
; %bb.557:                              ;   in Loop: Header=BB670_213 Depth=1
	v_and_b32_e32 v48, 0x7f, v42
	v_cmp_ne_u32_e32 vcc, s22, v48
	v_mov_b32_e32 v47, 0x7f800001
	s_and_saveexec_b64 s[20:21], vcc
	s_cbranch_execz .LBB670_559
; %bb.558:                              ;   in Loop: Header=BB670_213 Depth=1
	v_and_b32_e32 v47, 7, v42
	v_ffbh_u32_e32 v57, v47
	v_min_u32_e32 v57, 32, v57
	v_subrev_u32_e32 v58, 28, v57
	v_lshlrev_b64 v[58:59], v58, v[42:43]
	v_lshrrev_b32_e32 v49, 3, v48
	v_sub_u32_e32 v42, 29, v57
	v_and_b32_e32 v57, 7, v58
	v_cmp_gt_u32_e32 vcc, 8, v48
	v_cndmask_b32_e32 v42, v49, v42, vcc
	v_cndmask_b32_e32 v47, v47, v57, vcc
	v_lshlrev_b32_e32 v48, 16, v40
	v_lshlrev_b32_e32 v47, 20, v47
	v_and_b32_e32 v48, 0x80000000, v48
	v_lshl_add_u32 v42, v42, 23, v45
	v_or3_b32 v47, v48, v42, v47
.LBB670_559:                            ;   in Loop: Header=BB670_213 Depth=1
	s_or_b64 exec, exec, s[20:21]
.LBB670_560:                            ;   in Loop: Header=BB670_213 Depth=1
	s_or_b64 exec, exec, s[18:19]
.LBB670_561:                            ;   in Loop: Header=BB670_213 Depth=1
	s_or_b64 exec, exec, s[16:17]
	v_lshrrev_b32_e32 v42, 16, v40
	v_cmp_ne_u16_sdwa s[18:19], v42, v39 src0_sel:BYTE_0 src1_sel:DWORD
	s_and_saveexec_b64 s[16:17], s[18:19]
	s_cbranch_execz .LBB670_567
; %bb.562:                              ;   in Loop: Header=BB670_213 Depth=1
	v_cmp_ne_u16_sdwa s[20:21], v42, s9 src0_sel:BYTE_0 src1_sel:DWORD
	v_bfrev_b32_e32 v44, 1
	s_and_saveexec_b64 s[18:19], s[20:21]
	s_cbranch_execz .LBB670_566
; %bb.563:                              ;   in Loop: Header=BB670_213 Depth=1
	v_bfe_u32 v48, v40, 16, 7
	v_cmp_ne_u32_e32 vcc, s22, v48
	v_mov_b32_e32 v44, 0x7f800001
	s_and_saveexec_b64 s[20:21], vcc
	s_cbranch_execz .LBB670_565
; %bb.564:                              ;   in Loop: Header=BB670_213 Depth=1
	v_and_b32_e32 v44, 7, v42
	v_ffbh_u32_e32 v57, v44
	v_min_u32_e32 v57, 32, v57
	v_subrev_u32_e32 v58, 28, v57
	v_lshlrev_b64 v[58:59], v58, v[42:43]
	v_lshrrev_b32_e32 v49, 3, v48
	v_sub_u32_e32 v57, 29, v57
	v_and_b32_e32 v58, 7, v58
	v_cmp_gt_u32_e32 vcc, 8, v48
	v_cndmask_b32_e32 v48, v49, v57, vcc
	v_cndmask_b32_e32 v44, v44, v58, vcc
	v_lshlrev_b32_e32 v42, 24, v42
	v_lshlrev_b32_e32 v44, 20, v44
	v_and_b32_e32 v42, 0x80000000, v42
	v_lshl_add_u32 v48, v48, 23, v45
	v_or3_b32 v44, v42, v48, v44
.LBB670_565:                            ;   in Loop: Header=BB670_213 Depth=1
	s_or_b64 exec, exec, s[20:21]
.LBB670_566:                            ;   in Loop: Header=BB670_213 Depth=1
	s_or_b64 exec, exec, s[18:19]
.LBB670_567:                            ;   in Loop: Header=BB670_213 Depth=1
	s_or_b64 exec, exec, s[16:17]
	v_cmp_lt_u32_e32 vcc, s23, v40
	v_mov_b32_e32 v48, 0
	v_mov_b32_e32 v49, 0
	s_and_saveexec_b64 s[16:17], vcc
	s_cbranch_execz .LBB670_573
; %bb.568:                              ;   in Loop: Header=BB670_213 Depth=1
	v_lshrrev_b32_e32 v42, 24, v40
	v_cmp_ne_u32_e32 vcc, s9, v42
	v_bfrev_b32_e32 v49, 1
	s_and_saveexec_b64 s[18:19], vcc
	s_cbranch_execz .LBB670_572
; %bb.569:                              ;   in Loop: Header=BB670_213 Depth=1
	v_bfe_u32 v40, v40, 24, 7
	v_cmp_ne_u32_e32 vcc, s22, v40
	v_mov_b32_e32 v49, 0x7f800001
	s_and_saveexec_b64 s[20:21], vcc
	s_cbranch_execz .LBB670_571
; %bb.570:                              ;   in Loop: Header=BB670_213 Depth=1
	v_and_b32_e32 v49, 7, v42
	v_ffbh_u32_e32 v58, v49
	v_min_u32_e32 v60, 32, v58
	v_subrev_u32_e32 v58, 28, v60
	v_lshlrev_b64 v[58:59], v58, v[42:43]
	v_lshrrev_b32_e32 v57, 3, v40
	v_sub_u32_e32 v59, 29, v60
	v_and_b32_e32 v58, 7, v58
	v_cmp_gt_u32_e32 vcc, 8, v40
	v_cndmask_b32_e32 v40, v57, v59, vcc
	v_cndmask_b32_e32 v49, v49, v58, vcc
	v_lshlrev_b32_e32 v42, 24, v42
	v_lshlrev_b32_e32 v49, 20, v49
	v_and_b32_e32 v42, 0x80000000, v42
	v_lshl_add_u32 v40, v40, 23, v45
	v_or3_b32 v49, v42, v40, v49
.LBB670_571:                            ;   in Loop: Header=BB670_213 Depth=1
	s_or_b64 exec, exec, s[20:21]
.LBB670_572:                            ;   in Loop: Header=BB670_213 Depth=1
	s_or_b64 exec, exec, s[18:19]
.LBB670_573:                            ;   in Loop: Header=BB670_213 Depth=1
	s_or_b64 exec, exec, s[16:17]
	s_waitcnt vmcnt(0)
	v_cmp_ne_u16_sdwa s[18:19], v38, v39 src0_sel:BYTE_0 src1_sel:DWORD
	s_and_saveexec_b64 s[16:17], s[18:19]
	s_cbranch_execz .LBB670_579
; %bb.574:                              ;   in Loop: Header=BB670_213 Depth=1
	v_cmp_ne_u16_sdwa s[20:21], v38, s9 src0_sel:BYTE_0 src1_sel:DWORD
	v_bfrev_b32_e32 v48, 1
	s_and_saveexec_b64 s[18:19], s[20:21]
	s_cbranch_execz .LBB670_578
; %bb.575:                              ;   in Loop: Header=BB670_213 Depth=1
	v_and_b32_e32 v40, 0x7f, v38
	v_cmp_ne_u32_e32 vcc, s22, v40
	v_mov_b32_e32 v48, 0x7f800001
	s_and_saveexec_b64 s[20:21], vcc
	s_cbranch_execz .LBB670_577
; %bb.576:                              ;   in Loop: Header=BB670_213 Depth=1
	v_and_b32_e32 v42, 7, v38
	v_ffbh_u32_e32 v57, v42
	v_min_u32_e32 v57, 32, v57
	v_subrev_u32_e32 v58, 28, v57
	v_lshlrev_b64 v[58:59], v58, v[38:39]
	v_lshrrev_b32_e32 v48, 3, v40
	v_sub_u32_e32 v57, 29, v57
	v_and_b32_e32 v58, 7, v58
	v_cmp_gt_u32_e32 vcc, 8, v40
	v_cndmask_b32_e32 v40, v48, v57, vcc
	v_cndmask_b32_e32 v42, v42, v58, vcc
	v_lshlrev_b32_e32 v48, 24, v38
	v_lshlrev_b32_e32 v42, 20, v42
	v_and_b32_e32 v48, 0x80000000, v48
	v_lshl_add_u32 v40, v40, 23, v45
	v_or3_b32 v48, v48, v40, v42
.LBB670_577:                            ;   in Loop: Header=BB670_213 Depth=1
	s_or_b64 exec, exec, s[20:21]
.LBB670_578:                            ;   in Loop: Header=BB670_213 Depth=1
	s_or_b64 exec, exec, s[18:19]
.LBB670_579:                            ;   in Loop: Header=BB670_213 Depth=1
	s_or_b64 exec, exec, s[16:17]
	v_lshrrev_b16_e32 v40, 8, v38
	v_cmp_ne_u16_e32 vcc, 0, v40
	v_mov_b32_e32 v42, 0
	v_mov_b32_e32 v57, 0
	s_and_saveexec_b64 s[16:17], vcc
	s_cbranch_execz .LBB670_585
; %bb.580:                              ;   in Loop: Header=BB670_213 Depth=1
	v_cmp_ne_u16_e32 vcc, s9, v40
	v_bfrev_b32_e32 v57, 1
	s_and_saveexec_b64 s[18:19], vcc
	s_cbranch_execz .LBB670_584
; %bb.581:                              ;   in Loop: Header=BB670_213 Depth=1
	v_and_b32_e32 v58, 0x7f, v40
	v_cmp_ne_u32_e32 vcc, s22, v58
	v_mov_b32_e32 v57, 0x7f800001
	s_and_saveexec_b64 s[20:21], vcc
	s_cbranch_execz .LBB670_583
; %bb.582:                              ;   in Loop: Header=BB670_213 Depth=1
	v_and_b32_e32 v57, 7, v40
	v_ffbh_u32_e32 v60, v57
	v_min_u32_e32 v62, 32, v60
	v_subrev_u32_e32 v60, 28, v62
	v_lshlrev_b64 v[60:61], v60, v[40:41]
	v_lshrrev_b32_e32 v59, 3, v58
	v_sub_u32_e32 v40, 29, v62
	v_and_b32_e32 v60, 7, v60
	v_cmp_gt_u32_e32 vcc, 8, v58
	v_cndmask_b32_e32 v40, v59, v40, vcc
	v_cndmask_b32_e32 v57, v57, v60, vcc
	v_lshlrev_b32_e32 v58, 16, v38
	v_lshlrev_b32_e32 v57, 20, v57
	v_and_b32_e32 v58, 0x80000000, v58
	v_lshl_add_u32 v40, v40, 23, v45
	v_or3_b32 v57, v58, v40, v57
.LBB670_583:                            ;   in Loop: Header=BB670_213 Depth=1
	s_or_b64 exec, exec, s[20:21]
.LBB670_584:                            ;   in Loop: Header=BB670_213 Depth=1
	s_or_b64 exec, exec, s[18:19]
.LBB670_585:                            ;   in Loop: Header=BB670_213 Depth=1
	s_or_b64 exec, exec, s[16:17]
	v_lshrrev_b32_e32 v40, 16, v38
	v_cmp_ne_u16_sdwa s[18:19], v40, v39 src0_sel:BYTE_0 src1_sel:DWORD
	s_and_saveexec_b64 s[16:17], s[18:19]
	s_cbranch_execz .LBB670_591
; %bb.586:                              ;   in Loop: Header=BB670_213 Depth=1
	v_cmp_ne_u16_sdwa s[20:21], v40, s9 src0_sel:BYTE_0 src1_sel:DWORD
	v_bfrev_b32_e32 v42, 1
	s_and_saveexec_b64 s[18:19], s[20:21]
	s_cbranch_execz .LBB670_590
; %bb.587:                              ;   in Loop: Header=BB670_213 Depth=1
	v_bfe_u32 v58, v38, 16, 7
	v_cmp_ne_u32_e32 vcc, s22, v58
	v_mov_b32_e32 v42, 0x7f800001
	s_and_saveexec_b64 s[20:21], vcc
	s_cbranch_execz .LBB670_589
; %bb.588:                              ;   in Loop: Header=BB670_213 Depth=1
	v_and_b32_e32 v42, 7, v40
	v_ffbh_u32_e32 v60, v42
	v_min_u32_e32 v62, 32, v60
	v_subrev_u32_e32 v60, 28, v62
	v_lshlrev_b64 v[60:61], v60, v[40:41]
	v_lshrrev_b32_e32 v59, 3, v58
	v_sub_u32_e32 v61, 29, v62
	v_and_b32_e32 v60, 7, v60
	v_cmp_gt_u32_e32 vcc, 8, v58
	v_cndmask_b32_e32 v58, v59, v61, vcc
	v_cndmask_b32_e32 v42, v42, v60, vcc
	v_lshlrev_b32_e32 v40, 24, v40
	v_lshlrev_b32_e32 v42, 20, v42
	v_and_b32_e32 v40, 0x80000000, v40
	v_lshl_add_u32 v58, v58, 23, v45
	v_or3_b32 v42, v40, v58, v42
.LBB670_589:                            ;   in Loop: Header=BB670_213 Depth=1
	s_or_b64 exec, exec, s[20:21]
.LBB670_590:                            ;   in Loop: Header=BB670_213 Depth=1
	s_or_b64 exec, exec, s[18:19]
.LBB670_591:                            ;   in Loop: Header=BB670_213 Depth=1
	s_or_b64 exec, exec, s[16:17]
	v_cmp_lt_u32_e32 vcc, s23, v38
	v_mov_b32_e32 v58, 0
	s_and_saveexec_b64 s[16:17], vcc
	s_cbranch_execz .LBB670_212
; %bb.592:                              ;   in Loop: Header=BB670_213 Depth=1
	v_lshrrev_b32_e32 v40, 24, v38
	v_cmp_ne_u32_e32 vcc, s9, v40
	v_bfrev_b32_e32 v58, 1
	s_and_saveexec_b64 s[18:19], vcc
	s_cbranch_execz .LBB670_211
; %bb.593:                              ;   in Loop: Header=BB670_213 Depth=1
	v_bfe_u32 v38, v38, 24, 7
	v_cmp_ne_u32_e32 vcc, s22, v38
	v_mov_b32_e32 v58, 0x7f800001
	s_and_saveexec_b64 s[20:21], vcc
	s_cbranch_execz .LBB670_210
; %bb.594:                              ;   in Loop: Header=BB670_213 Depth=1
	v_and_b32_e32 v60, 7, v40
	v_ffbh_u32_e32 v58, v60
	v_min_u32_e32 v62, 32, v58
	v_subrev_u32_e32 v58, 28, v62
	v_lshlrev_b64 v[58:59], v58, v[40:41]
	v_lshrrev_b32_e32 v61, 3, v38
	v_sub_u32_e32 v59, 29, v62
	v_and_b32_e32 v58, 7, v58
	v_cmp_gt_u32_e32 vcc, 8, v38
	v_cndmask_b32_e32 v38, v61, v59, vcc
	v_cndmask_b32_e32 v58, v60, v58, vcc
	v_lshlrev_b32_e32 v40, 24, v40
	v_lshlrev_b32_e32 v58, 20, v58
	v_and_b32_e32 v40, 0x80000000, v40
	v_lshl_add_u32 v38, v38, 23, v45
	v_or3_b32 v58, v40, v38, v58
	s_branch .LBB670_210
.LBB670_595:
	s_barrier
	buffer_load_dword v2, off, s[0:3], 0 offset:320
	buffer_load_dword v5, off, s[0:3], 0 offset:332
	;; [unrolled: 1-line block ×4, first 2 shown]
	v_cmp_gt_u32_e32 vcc, 64, v0
	s_xor_b64 s[4:5], s[4:5], -1
	s_and_b64 s[4:5], vcc, s[4:5]
	s_waitcnt vmcnt(0)
	ds_write2st64_b64 v41, v[2:3], v[4:5] offset1:1
	s_waitcnt lgkmcnt(0)
	s_barrier
	s_and_saveexec_b64 s[6:7], s[4:5]
	s_cbranch_execz .LBB670_597
; %bb.596:
	s_mul_i32 s4, s51, s8
	s_lshl_b32 s6, s50, 7
	s_mul_hi_u32 s5, s4, s6
	s_mul_i32 s4, s4, s6
	v_lshlrev_b32_e32 v4, 6, v51
	s_lshl_b64 s[4:5], s[4:5], 1
	v_lshl_or_b32 v0, v0, 10, v4
	s_add_u32 s7, s48, s4
	v_lshlrev_b32_e32 v2, 5, v50
	v_and_b32_e32 v3, 16, v52
	v_and_b32_e32 v0, 0x1a00, v0
	s_addc_u32 s8, s49, s5
	s_lshl_b32 s4, s11, 7
	s_mov_b32 s5, 0
	v_or3_b32 v0, v0, v2, v3
	s_lshl_b64 s[4:5], s[4:5], 1
	ds_read_b128 v[2:5], v0
	s_add_u32 s7, s7, s4
	s_addc_u32 s8, s8, s5
	s_mul_hi_u32 s5, s6, s10
	s_mul_i32 s4, s6, s10
	s_lshl_b64 s[4:5], s[4:5], 1
	s_add_u32 s4, s7, s4
	s_addc_u32 s5, s8, s5
	s_waitcnt lgkmcnt(0)
	global_store_dwordx4 v1, v[2:5], s[4:5]
.LBB670_597:
	s_endpgm
	.section	.rodata,"a",@progbits
	.p2align	6, 0x0
	.amdhsa_kernel _Z39paged_attention_ll4mi_QKV_mfma16_kernelIDF16_hLN4vllm18Fp8KVCacheDataTypeE1EDF16_Li32ELi128ELi256ELb0ELi1EL8MFMAType0EEvPKT_PKT0_S8_ifPKiSA_SA_iPKfiiiPfSD_PS3_PT2_iSC_SC_
		.amdhsa_group_segment_fixed_size 8192
		.amdhsa_private_segment_fixed_size 352
		.amdhsa_kernarg_size 400
		.amdhsa_user_sgpr_count 8
		.amdhsa_user_sgpr_private_segment_buffer 1
		.amdhsa_user_sgpr_dispatch_ptr 0
		.amdhsa_user_sgpr_queue_ptr 0
		.amdhsa_user_sgpr_kernarg_segment_ptr 1
		.amdhsa_user_sgpr_dispatch_id 0
		.amdhsa_user_sgpr_flat_scratch_init 1
		.amdhsa_user_sgpr_kernarg_preload_length 0
		.amdhsa_user_sgpr_kernarg_preload_offset 0
		.amdhsa_user_sgpr_private_segment_size 0
		.amdhsa_uses_dynamic_stack 0
		.amdhsa_system_sgpr_private_segment_wavefront_offset 1
		.amdhsa_system_sgpr_workgroup_id_x 1
		.amdhsa_system_sgpr_workgroup_id_y 1
		.amdhsa_system_sgpr_workgroup_id_z 1
		.amdhsa_system_sgpr_workgroup_info 0
		.amdhsa_system_vgpr_workitem_id 0
		.amdhsa_next_free_vgpr 80
		.amdhsa_next_free_sgpr 53
		.amdhsa_accum_offset 80
		.amdhsa_reserve_vcc 1
		.amdhsa_reserve_flat_scratch 0
		.amdhsa_float_round_mode_32 0
		.amdhsa_float_round_mode_16_64 0
		.amdhsa_float_denorm_mode_32 3
		.amdhsa_float_denorm_mode_16_64 3
		.amdhsa_dx10_clamp 1
		.amdhsa_ieee_mode 1
		.amdhsa_fp16_overflow 0
		.amdhsa_tg_split 0
		.amdhsa_exception_fp_ieee_invalid_op 0
		.amdhsa_exception_fp_denorm_src 0
		.amdhsa_exception_fp_ieee_div_zero 0
		.amdhsa_exception_fp_ieee_overflow 0
		.amdhsa_exception_fp_ieee_underflow 0
		.amdhsa_exception_fp_ieee_inexact 0
		.amdhsa_exception_int_div_zero 0
	.end_amdhsa_kernel
	.section	.text._Z39paged_attention_ll4mi_QKV_mfma16_kernelIDF16_hLN4vllm18Fp8KVCacheDataTypeE1EDF16_Li32ELi128ELi256ELb0ELi1EL8MFMAType0EEvPKT_PKT0_S8_ifPKiSA_SA_iPKfiiiPfSD_PS3_PT2_iSC_SC_,"axG",@progbits,_Z39paged_attention_ll4mi_QKV_mfma16_kernelIDF16_hLN4vllm18Fp8KVCacheDataTypeE1EDF16_Li32ELi128ELi256ELb0ELi1EL8MFMAType0EEvPKT_PKT0_S8_ifPKiSA_SA_iPKfiiiPfSD_PS3_PT2_iSC_SC_,comdat
.Lfunc_end670:
	.size	_Z39paged_attention_ll4mi_QKV_mfma16_kernelIDF16_hLN4vllm18Fp8KVCacheDataTypeE1EDF16_Li32ELi128ELi256ELb0ELi1EL8MFMAType0EEvPKT_PKT0_S8_ifPKiSA_SA_iPKfiiiPfSD_PS3_PT2_iSC_SC_, .Lfunc_end670-_Z39paged_attention_ll4mi_QKV_mfma16_kernelIDF16_hLN4vllm18Fp8KVCacheDataTypeE1EDF16_Li32ELi128ELi256ELb0ELi1EL8MFMAType0EEvPKT_PKT0_S8_ifPKiSA_SA_iPKfiiiPfSD_PS3_PT2_iSC_SC_
                                        ; -- End function
	.section	.AMDGPU.csdata,"",@progbits
; Kernel info:
; codeLenInByte = 21060
; NumSgprs: 57
; NumVgprs: 80
; NumAgprs: 0
; TotalNumVgprs: 80
; ScratchSize: 352
; MemoryBound: 0
; FloatMode: 240
; IeeeMode: 1
; LDSByteSize: 8192 bytes/workgroup (compile time only)
; SGPRBlocks: 7
; VGPRBlocks: 9
; NumSGPRsForWavesPerEU: 57
; NumVGPRsForWavesPerEU: 80
; AccumOffset: 80
; Occupancy: 6
; WaveLimiterHint : 1
; COMPUTE_PGM_RSRC2:SCRATCH_EN: 1
; COMPUTE_PGM_RSRC2:USER_SGPR: 8
; COMPUTE_PGM_RSRC2:TRAP_HANDLER: 0
; COMPUTE_PGM_RSRC2:TGID_X_EN: 1
; COMPUTE_PGM_RSRC2:TGID_Y_EN: 1
; COMPUTE_PGM_RSRC2:TGID_Z_EN: 1
; COMPUTE_PGM_RSRC2:TIDIG_COMP_CNT: 0
; COMPUTE_PGM_RSRC3_GFX90A:ACCUM_OFFSET: 19
; COMPUTE_PGM_RSRC3_GFX90A:TG_SPLIT: 0
	.section	.text._Z39paged_attention_ll4mi_QKV_mfma16_kernelIDF16_hLN4vllm18Fp8KVCacheDataTypeE1EDF16_Li32ELi128ELi256ELb0ELi2EL8MFMAType0EEvPKT_PKT0_S8_ifPKiSA_SA_iPKfiiiPfSD_PS3_PT2_iSC_SC_,"axG",@progbits,_Z39paged_attention_ll4mi_QKV_mfma16_kernelIDF16_hLN4vllm18Fp8KVCacheDataTypeE1EDF16_Li32ELi128ELi256ELb0ELi2EL8MFMAType0EEvPKT_PKT0_S8_ifPKiSA_SA_iPKfiiiPfSD_PS3_PT2_iSC_SC_,comdat
	.protected	_Z39paged_attention_ll4mi_QKV_mfma16_kernelIDF16_hLN4vllm18Fp8KVCacheDataTypeE1EDF16_Li32ELi128ELi256ELb0ELi2EL8MFMAType0EEvPKT_PKT0_S8_ifPKiSA_SA_iPKfiiiPfSD_PS3_PT2_iSC_SC_ ; -- Begin function _Z39paged_attention_ll4mi_QKV_mfma16_kernelIDF16_hLN4vllm18Fp8KVCacheDataTypeE1EDF16_Li32ELi128ELi256ELb0ELi2EL8MFMAType0EEvPKT_PKT0_S8_ifPKiSA_SA_iPKfiiiPfSD_PS3_PT2_iSC_SC_
	.globl	_Z39paged_attention_ll4mi_QKV_mfma16_kernelIDF16_hLN4vllm18Fp8KVCacheDataTypeE1EDF16_Li32ELi128ELi256ELb0ELi2EL8MFMAType0EEvPKT_PKT0_S8_ifPKiSA_SA_iPKfiiiPfSD_PS3_PT2_iSC_SC_
	.p2align	8
	.type	_Z39paged_attention_ll4mi_QKV_mfma16_kernelIDF16_hLN4vllm18Fp8KVCacheDataTypeE1EDF16_Li32ELi128ELi256ELb0ELi2EL8MFMAType0EEvPKT_PKT0_S8_ifPKiSA_SA_iPKfiiiPfSD_PS3_PT2_iSC_SC_,@function
_Z39paged_attention_ll4mi_QKV_mfma16_kernelIDF16_hLN4vllm18Fp8KVCacheDataTypeE1EDF16_Li32ELi128ELi256ELb0ELi2EL8MFMAType0EEvPKT_PKT0_S8_ifPKiSA_SA_iPKfiiiPfSD_PS3_PT2_iSC_SC_: ; @_Z39paged_attention_ll4mi_QKV_mfma16_kernelIDF16_hLN4vllm18Fp8KVCacheDataTypeE1EDF16_Li32ELi128ELi256ELb0ELi2EL8MFMAType0EEvPKT_PKT0_S8_ifPKiSA_SA_iPKfiiiPfSD_PS3_PT2_iSC_SC_
; %bb.0:
	s_load_dwordx2 s[6:7], s[4:5], 0x30
	s_add_u32 s0, s0, s11
	s_addc_u32 s1, s1, 0
	s_mov_b32 s24, s9
	s_mov_b64 s[12:13], 0
	s_waitcnt lgkmcnt(0)
	s_cmp_lg_u64 s[6:7], 0
	s_cselect_b64 s[16:17], -1, 0
	s_and_b64 vcc, exec, s[16:17]
	s_cbranch_vccz .LBB671_7
; %bb.1:
	s_add_i32 s14, s8, 1
	s_mov_b32 s15, 0
	s_lshl_b64 s[18:19], s[14:15], 2
	s_add_u32 s18, s6, s18
	s_mov_b32 s9, s15
	s_addc_u32 s19, s7, s19
	s_lshl_b64 s[14:15], s[8:9], 2
	s_add_u32 s14, s6, s14
	s_addc_u32 s15, s7, s15
	s_load_dword s11, s[18:19], 0x0
	s_load_dword s20, s[14:15], 0x0
	s_waitcnt lgkmcnt(0)
	s_sub_i32 s11, s11, s20
	s_cmp_eq_u32 s11, 1
	s_cselect_b64 s[14:15], -1, 0
	s_andn2_b64 vcc, exec, s[12:13]
	s_cbranch_vccnz .LBB671_3
.LBB671_2:
	s_mov_b32 s9, 0
	s_mov_b64 s[14:15], -1
.LBB671_3:
	s_andn2_b64 vcc, exec, s[14:15]
	s_cbranch_vccnz .LBB671_597
; %bb.4:
	s_load_dwordx2 s[12:13], s[4:5], 0x28
	s_lshl_b64 s[18:19], s[8:9], 2
	s_waitcnt lgkmcnt(0)
	s_add_u32 s12, s12, s18
	s_addc_u32 s13, s13, s19
	s_load_dword s33, s[12:13], 0x0
	s_lshl_b32 s20, s24, 8
	s_waitcnt lgkmcnt(0)
	s_cmp_ge_i32 s20, s33
	s_cbranch_scc1 .LBB671_597
; %bb.5:
	s_add_i32 s14, s33, 31
	s_load_dwordx2 s[12:13], s[4:5], 0x20
	s_load_dword s11, s[4:5], 0x38
	s_ashr_i32 s15, s14, 31
	v_and_b32_e32 v1, 0xcf, v0
	s_lshr_b32 s15, s15, 27
	v_add_u32_e32 v1, s20, v1
	s_add_i32 s14, s14, s15
	v_ashrrev_i32_e32 v2, 31, v1
	s_ashr_i32 s22, s14, 5
	v_lshrrev_b32_e32 v10, 27, v2
	s_add_i32 s22, s22, -1
	v_add_u32_e32 v2, v1, v10
	s_waitcnt lgkmcnt(0)
	s_mul_i32 s14, s8, s11
	s_mov_b32 s15, 0
	v_ashrrev_i32_e32 v2, 5, v2
	v_mov_b32_e32 v11, s22
	v_cmp_gt_i32_e32 vcc, s33, v1
	s_lshl_b64 s[14:15], s[14:15], 2
	v_cndmask_b32_e32 v2, v11, v2, vcc
	s_add_u32 s11, s12, s14
	v_ashrrev_i32_e32 v3, 31, v2
	s_addc_u32 s21, s13, s15
	v_lshlrev_b64 v[2:3], 2, v[2:3]
	v_mov_b32_e32 v5, s21
	v_add_co_u32_e32 v4, vcc, s11, v2
	v_or_b32_e32 v2, 16, v1
	v_addc_co_u32_e32 v5, vcc, v5, v3, vcc
	v_add_u32_e32 v3, v2, v10
	v_ashrrev_i32_e32 v3, 5, v3
	v_cmp_gt_i32_e32 vcc, s33, v2
	v_cndmask_b32_e32 v2, v11, v3, vcc
	v_ashrrev_i32_e32 v3, 31, v2
	v_lshlrev_b64 v[2:3], 2, v[2:3]
	v_mov_b32_e32 v7, s21
	v_add_co_u32_e32 v6, vcc, s11, v2
	v_or_b32_e32 v2, 32, v1
	v_addc_co_u32_e32 v7, vcc, v7, v3, vcc
	v_add_u32_e32 v3, v2, v10
	v_ashrrev_i32_e32 v3, 5, v3
	v_cmp_gt_i32_e32 vcc, s33, v2
	v_cndmask_b32_e32 v2, v11, v3, vcc
	v_ashrrev_i32_e32 v3, 31, v2
	;; [unrolled: 10-line block ×3, first 2 shown]
	v_lshlrev_b64 v[2:3], 2, v[2:3]
	v_mov_b32_e32 v1, s21
	v_add_co_u32_e32 v12, vcc, s11, v2
	v_addc_co_u32_e32 v13, vcc, v1, v3, vcc
	global_load_dword v2, v[4:5], off
	global_load_dword v10, v[6:7], off
	;; [unrolled: 1-line block ×4, first 2 shown]
	s_load_dwordx4 s[12:15], s[4:5], 0x8
	s_andn2_b64 vcc, exec, s[16:17]
	s_cbranch_vccnz .LBB671_8
; %bb.6:
	s_add_u32 s6, s6, s18
	s_addc_u32 s7, s7, s19
	s_load_dword s16, s[6:7], 0x0
	s_branch .LBB671_9
.LBB671_7:
	s_mov_b64 s[14:15], 0
	s_branch .LBB671_2
.LBB671_8:
	s_mov_b32 s16, s8
.LBB671_9:
	s_load_dwordx2 s[48:49], s[4:5], 0x68
	s_load_dwordx8 s[40:47], s[4:5], 0x48
	v_lshrrev_b32_e32 v65, 6, v0
	v_bfe_u32 v54, v0, 4, 2
	v_and_b32_e32 v55, 15, v0
	v_lshl_or_b32 v3, v65, 2, v54
	v_lshlrev_b32_e32 v1, 3, v55
	s_lshl_b32 s25, s10, 1
	v_cmp_gt_u32_e32 vcc, 2, v3
	v_lshlrev_b32_e32 v1, 1, v1
	v_lshlrev_b32_e32 v56, 4, v0
	s_and_saveexec_b64 s[6:7], vcc
	s_cbranch_execz .LBB671_11
; %bb.10:
	s_load_dwordx2 s[18:19], s[4:5], 0x0
	s_waitcnt lgkmcnt(0)
	s_ashr_i32 s17, s40, 31
	s_mul_hi_u32 s23, s16, s40
	s_mul_i32 s17, s16, s17
	s_add_i32 s17, s23, s17
	s_mul_i32 s16, s16, s40
	s_lshl_b64 s[16:17], s[16:17], 1
	v_add_lshl_u32 v4, v54, s25, 7
	s_add_u32 s16, s18, s16
	v_ashrrev_i32_e32 v5, 31, v4
	s_addc_u32 s17, s19, s17
	v_lshlrev_b64 v[4:5], 1, v[4:5]
	v_mov_b32_e32 v6, s17
	v_add_co_u32_e32 v4, vcc, s16, v4
	v_addc_co_u32_e32 v5, vcc, v6, v5, vcc
	v_add_co_u32_e32 v4, vcc, v4, v1
	v_addc_co_u32_e32 v5, vcc, 0, v5, vcc
	global_load_dwordx4 v[4:7], v[4:5], off
	v_lshlrev_b32_e32 v9, 8, v0
	v_lshlrev_b32_e32 v8, 8, v55
	v_and_b32_e32 v9, 0x600, v9
	s_movk_i32 s16, 0x800
	v_and_or_b32 v8, v8, s16, v9
	v_lshlrev_b32_e32 v3, 5, v3
	v_and_b32_e32 v9, 16, v56
	v_or3_b32 v3, v8, v3, v9
	s_waitcnt vmcnt(0)
	ds_write_b128 v3, v[4:7]
.LBB671_11:
	s_or_b64 exec, exec, s[6:7]
	s_waitcnt lgkmcnt(0)
	s_mul_i32 s10, s10, s42
	s_add_u32 s6, s12, s10
	s_addc_u32 s7, s13, 0
	v_and_b32_e32 v3, 48, v0
	s_ashr_i32 s12, s20, 31
	v_or_b32_e32 v11, s20, v3
	s_lshr_b32 s12, s12, 27
	v_add_u32_e32 v4, s12, v11
	v_ashrrev_i32_e32 v4, 5, v4
	v_mov_b32_e32 v12, s22
	v_cmp_gt_i32_e32 vcc, s33, v11
	v_cndmask_b32_e32 v4, v12, v4, vcc
	v_ashrrev_i32_e32 v5, 31, v4
	v_lshlrev_b64 v[4:5], 2, v[4:5]
	v_mov_b32_e32 v6, s21
	v_add_co_u32_e32 v4, vcc, s11, v4
	v_addc_co_u32_e32 v5, vcc, v6, v5, vcc
	v_or_b32_e32 v6, 64, v11
	v_add_u32_e32 v7, s12, v6
	v_ashrrev_i32_e32 v7, 5, v7
	v_cmp_gt_i32_e32 vcc, s33, v6
	v_cndmask_b32_e32 v6, v12, v7, vcc
	v_ashrrev_i32_e32 v7, 31, v6
	v_lshlrev_b64 v[6:7], 2, v[6:7]
	v_mov_b32_e32 v8, s21
	v_add_co_u32_e32 v6, vcc, s11, v6
	v_addc_co_u32_e32 v7, vcc, v8, v7, vcc
	v_or_b32_e32 v8, 0x80, v11
	v_add_u32_e32 v9, s12, v8
	v_ashrrev_i32_e32 v9, 5, v9
	v_cmp_gt_i32_e32 vcc, s33, v8
	v_cndmask_b32_e32 v8, v12, v9, vcc
	v_ashrrev_i32_e32 v9, 31, v8
	v_lshlrev_b64 v[8:9], 2, v[8:9]
	v_mov_b32_e32 v13, s21
	v_add_co_u32_e32 v8, vcc, s11, v8
	s_load_dwordx2 s[50:51], s[4:5], 0x94
	s_waitcnt lgkmcnt(0)
	s_barrier
	v_addc_co_u32_e32 v9, vcc, v13, v9, vcc
	global_load_dword v50, v[4:5], off
	global_load_dword v57, v[6:7], off
	;; [unrolled: 1-line block ×3, first 2 shown]
	v_or_b32_e32 v4, 0xc0, v11
	v_add_u32_e32 v5, s12, v4
	v_ashrrev_i32_e32 v5, 5, v5
	v_cmp_gt_i32_e32 vcc, s33, v4
	v_cndmask_b32_e32 v4, v12, v5, vcc
	v_ashrrev_i32_e32 v5, 31, v4
	v_lshlrev_b64 v[4:5], 2, v[4:5]
	v_mov_b32_e32 v6, s21
	v_add_co_u32_e32 v4, vcc, s11, v4
	v_addc_co_u32_e32 v5, vcc, v6, v5, vcc
	global_load_dword v63, v[4:5], off
	v_pk_mov_b32 v[24:25], s[6:7], s[6:7] op_sel:[0,1]
	v_lshlrev_b32_e32 v28, 5, v3
	s_waitcnt vmcnt(7)
	v_mad_i64_i32 v[2:3], s[6:7], v2, s41, v[24:25]
	v_lshlrev_b32_e32 v23, 4, v55
	v_add_co_u32_e32 v2, vcc, v2, v23
	v_addc_co_u32_e32 v3, vcc, 0, v3, vcc
	v_add_co_u32_e32 v12, vcc, v2, v28
	v_addc_co_u32_e32 v13, vcc, 0, v3, vcc
	s_waitcnt vmcnt(6)
	v_mad_i64_i32 v[10:11], s[6:7], v10, s41, v[24:25]
	v_or_b32_e32 v29, 0x100, v23
	v_add_co_u32_e32 v10, vcc, v10, v29
	v_addc_co_u32_e32 v11, vcc, 0, v11, vcc
	v_add_co_u32_e32 v20, vcc, v10, v28
	v_addc_co_u32_e32 v21, vcc, 0, v11, vcc
	s_waitcnt vmcnt(5)
	v_mad_i64_i32 v[18:19], s[6:7], v18, s41, v[24:25]
	v_add_co_u32_e32 v18, vcc, v18, v23
	v_addc_co_u32_e32 v19, vcc, 0, v19, vcc
	v_add_co_u32_e32 v26, vcc, v18, v28
	v_addc_co_u32_e32 v27, vcc, 0, v19, vcc
	s_waitcnt vmcnt(4)
	v_mad_i64_i32 v[22:23], s[6:7], v22, s41, v[24:25]
	v_add_co_u32_e32 v22, vcc, v22, v29
	v_addc_co_u32_e32 v23, vcc, 0, v23, vcc
	v_add_co_u32_e32 v30, vcc, v22, v28
	v_addc_co_u32_e32 v31, vcc, 0, v23, vcc
	s_add_u32 s6, s14, s10
	global_load_dwordx4 v[6:9], v[12:13], off
	global_load_dwordx4 v[2:5], v[12:13], off offset:2048
	s_nop 0
	global_load_dwordx4 v[10:13], v[20:21], off
	global_load_dwordx4 v[14:17], v[20:21], off offset:2048
	global_load_dwordx4 v[34:37], v[26:27], off
	s_nop 0
	global_load_dwordx4 v[18:21], v[26:27], off offset:2048
	s_nop 0
	global_load_dwordx4 v[26:29], v[30:31], off
	global_load_dwordx4 v[22:25], v[30:31], off offset:2048
	s_addc_u32 s7, s15, 0
	v_and_b32_e32 v30, 16, v0
	v_mov_b32_e32 v31, s7
	v_add_co_u32_e32 v51, vcc, s6, v30
	v_lshl_or_b32 v66, v65, 4, v55
	v_addc_co_u32_e32 v52, vcc, 0, v31, vcc
	v_lshlrev_b32_e32 v53, 5, v66
	v_add_co_u32_e32 v42, vcc, v51, v53
	v_addc_co_u32_e32 v43, vcc, 0, v52, vcc
	v_or_b32_e32 v53, 0x800, v53
	v_add_co_u32_e32 v58, vcc, v51, v53
	s_waitcnt vmcnt(11)
	v_mad_i64_i32 v[30:31], s[6:7], v50, s41, v[42:43]
	s_waitcnt vmcnt(10)
	v_mad_i64_i32 v[38:39], s[6:7], v57, s41, v[42:43]
	;; [unrolled: 2-line block ×3, first 2 shown]
	global_load_dwordx4 v[30:33], v[30:31], off
	v_addc_co_u32_e32 v59, vcc, 0, v52, vcc
	global_load_dwordx4 v[38:41], v[38:39], off
	v_mad_i64_i32 v[60:61], s[6:7], v57, s41, v[58:59]
	v_mad_i64_i32 v[50:51], s[6:7], v50, s41, v[58:59]
	s_waitcnt vmcnt(10)
	v_mad_i64_i32 v[42:43], s[6:7], v63, s41, v[42:43]
	global_load_dwordx4 v[46:49], v[44:45], off
	s_nop 0
	global_load_dwordx4 v[42:45], v[42:43], off
	v_and_b32_e32 v57, 63, v0
	global_load_dwordx4 v[68:71], v[60:61], off
	v_mad_i64_i32 v[60:61], s[6:7], v62, s41, v[58:59]
	v_mad_i64_i32 v[58:59], s[6:7], v63, s41, v[58:59]
	global_load_dwordx4 v[50:53], v[50:51], off
	s_mov_b32 s12, 0
	global_load_dwordx4 v[76:79], v[58:59], off
	global_load_dwordx4 v[72:75], v[60:61], off
	s_movk_i32 s13, 0x80
	s_movk_i32 s14, 0x7f
	s_mov_b32 s15, 0xffffff
	s_waitcnt vmcnt(15)
	buffer_store_dword v9, off, s[0:3], 0 offset:12
	buffer_store_dword v8, off, s[0:3], 0 offset:8
	;; [unrolled: 1-line block ×3, first 2 shown]
	buffer_store_dword v6, off, s[0:3], 0
	s_waitcnt vmcnt(18)
	buffer_store_dword v5, off, s[0:3], 0 offset:28
	buffer_store_dword v4, off, s[0:3], 0 offset:24
	;; [unrolled: 1-line block ×4, first 2 shown]
	s_waitcnt vmcnt(21)
	buffer_store_dword v13, off, s[0:3], 0 offset:44
	buffer_store_dword v12, off, s[0:3], 0 offset:40
	;; [unrolled: 1-line block ×4, first 2 shown]
	s_load_dword s6, s[4:5], 0x1c
	s_load_dwordx4 s[40:43], s[4:5], 0x80
	v_mov_b32_e32 v2, 0x80
	v_add_u32_e32 v58, 16, v2
	v_add_u32_e32 v64, 32, v2
	;; [unrolled: 1-line block ×7, first 2 shown]
	v_and_b32_e32 v2, 1, v0
	v_lshlrev_b32_e32 v2, 5, v2
	s_waitcnt vmcnt(24)
	buffer_store_dword v17, off, s[0:3], 0 offset:60
	buffer_store_dword v16, off, s[0:3], 0 offset:56
	;; [unrolled: 1-line block ×4, first 2 shown]
	s_waitcnt vmcnt(27)
	buffer_store_dword v37, off, s[0:3], 0 offset:76
	buffer_store_dword v36, off, s[0:3], 0 offset:72
	;; [unrolled: 1-line block ×4, first 2 shown]
	v_lshl_or_b32 v14, v54, 9, v2
	ds_read_b128 v[2:5], v14
	ds_read_b128 v[6:9], v14 offset:16
	ds_read_b128 v[10:13], v14 offset:2048
	;; [unrolled: 1-line block ×3, first 2 shown]
	s_waitcnt vmcnt(30)
	buffer_store_dword v21, off, s[0:3], 0 offset:92
	buffer_store_dword v20, off, s[0:3], 0 offset:88
	buffer_store_dword v19, off, s[0:3], 0 offset:84
	buffer_store_dword v18, off, s[0:3], 0 offset:80
	s_waitcnt vmcnt(33)
	buffer_store_dword v29, off, s[0:3], 0 offset:108
	buffer_store_dword v28, off, s[0:3], 0 offset:104
	buffer_store_dword v27, off, s[0:3], 0 offset:100
	buffer_store_dword v26, off, s[0:3], 0 offset:96
	s_waitcnt vmcnt(36)
	buffer_store_dword v22, off, s[0:3], 0 offset:112
	buffer_store_dword v23, off, s[0:3], 0 offset:116
	buffer_store_dword v24, off, s[0:3], 0 offset:120
	buffer_store_dword v25, off, s[0:3], 0 offset:124
	s_waitcnt vmcnt(39)
	buffer_store_dword v33, off, s[0:3], 0 offset:140
	buffer_store_dword v32, off, s[0:3], 0 offset:136
	buffer_store_dword v31, off, s[0:3], 0 offset:132
	buffer_store_dword v30, off, s[0:3], 0 offset:128
	s_waitcnt vmcnt(42)
	buffer_store_dword v41, off, s[0:3], 0 offset:172
	buffer_store_dword v40, off, s[0:3], 0 offset:168
	buffer_store_dword v39, off, s[0:3], 0 offset:164
	buffer_store_dword v38, off, s[0:3], 0 offset:160
	s_waitcnt vmcnt(45)
	buffer_store_dword v49, off, s[0:3], 0 offset:204
	buffer_store_dword v48, off, s[0:3], 0 offset:200
	buffer_store_dword v47, off, s[0:3], 0 offset:196
	buffer_store_dword v46, off, s[0:3], 0 offset:192
	s_waitcnt vmcnt(48)
	buffer_store_dword v45, off, s[0:3], 0 offset:236
	buffer_store_dword v44, off, s[0:3], 0 offset:232
	buffer_store_dword v43, off, s[0:3], 0 offset:228
	buffer_store_dword v42, off, s[0:3], 0 offset:224
	s_waitcnt vmcnt(50)
	buffer_store_dword v53, off, s[0:3], 0 offset:156
	buffer_store_dword v52, off, s[0:3], 0 offset:152
	buffer_store_dword v51, off, s[0:3], 0 offset:148
	buffer_store_dword v50, off, s[0:3], 0 offset:144
	buffer_store_dword v71, off, s[0:3], 0 offset:188
	buffer_store_dword v70, off, s[0:3], 0 offset:184
	;; [unrolled: 1-line block ×4, first 2 shown]
	s_waitcnt vmcnt(56)
	buffer_store_dword v75, off, s[0:3], 0 offset:220
	buffer_store_dword v74, off, s[0:3], 0 offset:216
	;; [unrolled: 1-line block ×5, first 2 shown]
	s_waitcnt lgkmcnt(0)
	s_load_dword s4, s[40:41], 0x0
	v_mov_b32_e32 v18, s6
	v_mov_b32_e32 v27, 0
	;; [unrolled: 1-line block ×4, first 2 shown]
	s_waitcnt lgkmcnt(0)
	v_mul_f32_e32 v22, s4, v18
	v_mov_b32_e32 v24, v22
	v_mov_b32_e32 v25, v22
	v_bfrev_b32_e32 v33, 60
	buffer_store_dword v78, off, s[0:3], 0 offset:248
	buffer_store_dword v77, off, s[0:3], 0 offset:244
	buffer_store_dword v76, off, s[0:3], 0 offset:240
	s_branch .LBB671_15
.LBB671_12:                             ;   in Loop: Header=BB671_15 Depth=1
	s_or_b64 exec, exec, s[10:11]
.LBB671_13:                             ;   in Loop: Header=BB671_15 Depth=1
	s_or_b64 exec, exec, s[6:7]
.LBB671_14:                             ;   in Loop: Header=BB671_15 Depth=1
	s_or_b64 exec, exec, s[4:5]
	v_cvt_pkrtz_f16_f32 v40, v34, v32
	v_cvt_pkrtz_f16_f32 v41, v23, v36
	;; [unrolled: 1-line block ×4, first 2 shown]
	v_add_u32_e32 v26, s12, v31
	v_mfma_f32_16x16x16f16 v[18:21], v[40:41], v[14:15], v[18:21]
	s_add_i32 s12, s12, 16
	v_mov_b32_e32 v23, v22
	s_cmp_eq_u32 s12, 64
	v_add_u32_e32 v27, 32, v27
	v_mfma_f32_16x16x16f16 v[18:21], v[34:35], v[16:17], v[18:21]
	s_nop 7
	s_nop 2
	v_pk_mul_f32 v[18:19], v[24:25], v[18:19]
	v_pk_mul_f32 v[20:21], v[22:23], v[20:21]
	buffer_store_dword v19, v26, s[0:3], 0 offen offset:4
	buffer_store_dword v18, v26, s[0:3], 0 offen
	buffer_store_dword v21, v26, s[0:3], 0 offen offset:12
	buffer_store_dword v20, v26, s[0:3], 0 offen offset:8
	s_cbranch_scc1 .LBB671_205
.LBB671_15:                             ; =>This Inner Loop Header: Depth=1
	buffer_load_dword v20, v27, s[0:3], 0 offen
	buffer_load_dword v18, v27, s[0:3], 0 offen offset:4
	buffer_load_dword v28, v27, s[0:3], 0 offen offset:8
	;; [unrolled: 1-line block ×3, first 2 shown]
	v_mov_b32_e32 v19, 0
	s_waitcnt vmcnt(3)
	v_cmp_ne_u16_sdwa s[6:7], v20, v29 src0_sel:BYTE_0 src1_sel:DWORD
	s_and_saveexec_b64 s[4:5], s[6:7]
	s_cbranch_execz .LBB671_21
; %bb.16:                               ;   in Loop: Header=BB671_15 Depth=1
	v_cmp_ne_u16_sdwa s[10:11], v20, s13 src0_sel:BYTE_0 src1_sel:DWORD
	v_bfrev_b32_e32 v19, 1
	s_and_saveexec_b64 s[6:7], s[10:11]
	s_cbranch_execz .LBB671_20
; %bb.17:                               ;   in Loop: Header=BB671_15 Depth=1
	v_and_b32_e32 v21, 0x7f, v20
	v_cmp_ne_u32_e32 vcc, s14, v21
	v_mov_b32_e32 v19, 0x7f800001
	s_and_saveexec_b64 s[10:11], vcc
	s_cbranch_execz .LBB671_19
; %bb.18:                               ;   in Loop: Header=BB671_15 Depth=1
	v_and_b32_e32 v19, 7, v20
	v_ffbh_u32_e32 v30, v19
	v_min_u32_e32 v30, 32, v30
	v_subrev_u32_e32 v32, 28, v30
	v_lshlrev_b64 v[34:35], v32, v[20:21]
	v_lshrrev_b32_e32 v23, 3, v21
	v_sub_u32_e32 v30, 29, v30
	v_and_b32_e32 v32, 7, v34
	v_cmp_gt_u32_e32 vcc, 8, v21
	v_cndmask_b32_e32 v21, v23, v30, vcc
	v_cndmask_b32_e32 v19, v19, v32, vcc
	v_lshlrev_b32_e32 v23, 24, v20
	v_lshlrev_b32_e32 v19, 20, v19
	v_and_b32_e32 v23, 0x80000000, v23
	v_lshl_add_u32 v21, v21, 23, v33
	v_or3_b32 v19, v23, v21, v19
.LBB671_19:                             ;   in Loop: Header=BB671_15 Depth=1
	s_or_b64 exec, exec, s[10:11]
.LBB671_20:                             ;   in Loop: Header=BB671_15 Depth=1
	s_or_b64 exec, exec, s[6:7]
.LBB671_21:                             ;   in Loop: Header=BB671_15 Depth=1
	s_or_b64 exec, exec, s[4:5]
	v_lshrrev_b16_e32 v30, 8, v20
	v_cmp_ne_u16_e32 vcc, 0, v30
	v_mov_b32_e32 v21, 0
	v_mov_b32_e32 v23, 0
	s_and_saveexec_b64 s[4:5], vcc
	s_cbranch_execz .LBB671_27
; %bb.22:                               ;   in Loop: Header=BB671_15 Depth=1
	v_cmp_ne_u16_e32 vcc, s13, v30
	v_bfrev_b32_e32 v23, 1
	s_and_saveexec_b64 s[6:7], vcc
	s_cbranch_execz .LBB671_26
; %bb.23:                               ;   in Loop: Header=BB671_15 Depth=1
	v_and_b32_e32 v32, 0x7f, v30
	v_cmp_ne_u32_e32 vcc, s14, v32
	v_mov_b32_e32 v23, 0x7f800001
	s_and_saveexec_b64 s[10:11], vcc
	s_cbranch_execz .LBB671_25
; %bb.24:                               ;   in Loop: Header=BB671_15 Depth=1
	v_and_b32_e32 v23, 7, v30
	v_ffbh_u32_e32 v34, v23
	v_min_u32_e32 v37, 32, v34
	v_subrev_u32_e32 v34, 28, v37
	v_lshlrev_b64 v[34:35], v34, v[30:31]
	v_lshrrev_b32_e32 v36, 3, v32
	v_sub_u32_e32 v30, 29, v37
	v_and_b32_e32 v34, 7, v34
	v_cmp_gt_u32_e32 vcc, 8, v32
	v_cndmask_b32_e32 v30, v36, v30, vcc
	v_cndmask_b32_e32 v23, v23, v34, vcc
	v_lshlrev_b32_e32 v32, 16, v20
	v_lshlrev_b32_e32 v23, 20, v23
	v_and_b32_e32 v32, 0x80000000, v32
	v_lshl_add_u32 v30, v30, 23, v33
	v_or3_b32 v23, v32, v30, v23
.LBB671_25:                             ;   in Loop: Header=BB671_15 Depth=1
	s_or_b64 exec, exec, s[10:11]
.LBB671_26:                             ;   in Loop: Header=BB671_15 Depth=1
	s_or_b64 exec, exec, s[6:7]
.LBB671_27:                             ;   in Loop: Header=BB671_15 Depth=1
	s_or_b64 exec, exec, s[4:5]
	v_lshrrev_b32_e32 v30, 16, v20
	v_cmp_ne_u16_sdwa s[6:7], v30, v29 src0_sel:BYTE_0 src1_sel:DWORD
	s_and_saveexec_b64 s[4:5], s[6:7]
	s_cbranch_execz .LBB671_33
; %bb.28:                               ;   in Loop: Header=BB671_15 Depth=1
	v_cmp_ne_u16_sdwa s[10:11], v30, s13 src0_sel:BYTE_0 src1_sel:DWORD
	v_bfrev_b32_e32 v21, 1
	s_and_saveexec_b64 s[6:7], s[10:11]
	s_cbranch_execz .LBB671_32
; %bb.29:                               ;   in Loop: Header=BB671_15 Depth=1
	v_bfe_u32 v32, v20, 16, 7
	v_cmp_ne_u32_e32 vcc, s14, v32
	v_mov_b32_e32 v21, 0x7f800001
	s_and_saveexec_b64 s[10:11], vcc
	s_cbranch_execz .LBB671_31
; %bb.30:                               ;   in Loop: Header=BB671_15 Depth=1
	v_and_b32_e32 v21, 7, v30
	v_ffbh_u32_e32 v34, v21
	v_min_u32_e32 v37, 32, v34
	v_subrev_u32_e32 v34, 28, v37
	v_lshlrev_b64 v[34:35], v34, v[30:31]
	v_lshrrev_b32_e32 v36, 3, v32
	v_sub_u32_e32 v35, 29, v37
	v_and_b32_e32 v34, 7, v34
	v_cmp_gt_u32_e32 vcc, 8, v32
	v_cndmask_b32_e32 v32, v36, v35, vcc
	v_cndmask_b32_e32 v21, v21, v34, vcc
	v_lshlrev_b32_e32 v30, 24, v30
	v_lshlrev_b32_e32 v21, 20, v21
	v_and_b32_e32 v30, 0x80000000, v30
	v_lshl_add_u32 v32, v32, 23, v33
	v_or3_b32 v21, v30, v32, v21
.LBB671_31:                             ;   in Loop: Header=BB671_15 Depth=1
	s_or_b64 exec, exec, s[10:11]
.LBB671_32:                             ;   in Loop: Header=BB671_15 Depth=1
	s_or_b64 exec, exec, s[6:7]
.LBB671_33:                             ;   in Loop: Header=BB671_15 Depth=1
	s_or_b64 exec, exec, s[4:5]
	v_cmp_lt_u32_e32 vcc, s15, v20
	v_mov_b32_e32 v34, 0
	v_mov_b32_e32 v35, 0
	s_and_saveexec_b64 s[4:5], vcc
	s_cbranch_execz .LBB671_39
; %bb.34:                               ;   in Loop: Header=BB671_15 Depth=1
	v_lshrrev_b32_e32 v30, 24, v20
	v_cmp_ne_u32_e32 vcc, s13, v30
	v_bfrev_b32_e32 v35, 1
	s_and_saveexec_b64 s[6:7], vcc
	s_cbranch_execz .LBB671_38
; %bb.35:                               ;   in Loop: Header=BB671_15 Depth=1
	v_bfe_u32 v20, v20, 24, 7
	v_cmp_ne_u32_e32 vcc, s14, v20
	v_mov_b32_e32 v35, 0x7f800001
	s_and_saveexec_b64 s[10:11], vcc
	s_cbranch_execz .LBB671_37
; %bb.36:                               ;   in Loop: Header=BB671_15 Depth=1
	v_and_b32_e32 v32, 7, v30
	v_ffbh_u32_e32 v36, v32
	v_min_u32_e32 v38, 32, v36
	v_subrev_u32_e32 v36, 28, v38
	v_lshlrev_b64 v[36:37], v36, v[30:31]
	v_lshrrev_b32_e32 v35, 3, v20
	v_sub_u32_e32 v37, 29, v38
	v_and_b32_e32 v36, 7, v36
	v_cmp_gt_u32_e32 vcc, 8, v20
	v_cndmask_b32_e32 v20, v35, v37, vcc
	v_cndmask_b32_e32 v32, v32, v36, vcc
	v_lshlrev_b32_e32 v30, 24, v30
	v_lshlrev_b32_e32 v32, 20, v32
	v_and_b32_e32 v30, 0x80000000, v30
	v_lshl_add_u32 v20, v20, 23, v33
	v_or3_b32 v35, v30, v20, v32
.LBB671_37:                             ;   in Loop: Header=BB671_15 Depth=1
	s_or_b64 exec, exec, s[10:11]
.LBB671_38:                             ;   in Loop: Header=BB671_15 Depth=1
	s_or_b64 exec, exec, s[6:7]
.LBB671_39:                             ;   in Loop: Header=BB671_15 Depth=1
	s_or_b64 exec, exec, s[4:5]
	s_waitcnt vmcnt(2)
	v_cmp_ne_u16_sdwa s[6:7], v18, v29 src0_sel:BYTE_0 src1_sel:DWORD
	s_and_saveexec_b64 s[4:5], s[6:7]
	s_cbranch_execz .LBB671_45
; %bb.40:                               ;   in Loop: Header=BB671_15 Depth=1
	v_cmp_ne_u16_sdwa s[10:11], v18, s13 src0_sel:BYTE_0 src1_sel:DWORD
	v_bfrev_b32_e32 v34, 1
	s_and_saveexec_b64 s[6:7], s[10:11]
	s_cbranch_execz .LBB671_44
; %bb.41:                               ;   in Loop: Header=BB671_15 Depth=1
	v_and_b32_e32 v20, 0x7f, v18
	v_cmp_ne_u32_e32 vcc, s14, v20
	v_mov_b32_e32 v34, 0x7f800001
	s_and_saveexec_b64 s[10:11], vcc
	s_cbranch_execz .LBB671_43
; %bb.42:                               ;   in Loop: Header=BB671_15 Depth=1
	v_and_b32_e32 v30, 7, v18
	v_ffbh_u32_e32 v34, v30
	v_min_u32_e32 v34, 32, v34
	v_subrev_u32_e32 v36, 28, v34
	v_lshlrev_b64 v[36:37], v36, v[18:19]
	v_lshrrev_b32_e32 v32, 3, v20
	v_sub_u32_e32 v34, 29, v34
	v_and_b32_e32 v36, 7, v36
	v_cmp_gt_u32_e32 vcc, 8, v20
	v_cndmask_b32_e32 v20, v32, v34, vcc
	v_cndmask_b32_e32 v30, v30, v36, vcc
	v_lshlrev_b32_e32 v32, 24, v18
	v_lshlrev_b32_e32 v30, 20, v30
	v_and_b32_e32 v32, 0x80000000, v32
	v_lshl_add_u32 v20, v20, 23, v33
	v_or3_b32 v34, v32, v20, v30
.LBB671_43:                             ;   in Loop: Header=BB671_15 Depth=1
	s_or_b64 exec, exec, s[10:11]
.LBB671_44:                             ;   in Loop: Header=BB671_15 Depth=1
	s_or_b64 exec, exec, s[6:7]
.LBB671_45:                             ;   in Loop: Header=BB671_15 Depth=1
	s_or_b64 exec, exec, s[4:5]
	v_lshrrev_b16_e32 v20, 8, v18
	v_cmp_ne_u16_e32 vcc, 0, v20
	v_mov_b32_e32 v30, 0
	v_mov_b32_e32 v36, 0
	s_and_saveexec_b64 s[4:5], vcc
	s_cbranch_execz .LBB671_51
; %bb.46:                               ;   in Loop: Header=BB671_15 Depth=1
	v_cmp_ne_u16_e32 vcc, s13, v20
	v_bfrev_b32_e32 v36, 1
	s_and_saveexec_b64 s[6:7], vcc
	s_cbranch_execz .LBB671_50
; %bb.47:                               ;   in Loop: Header=BB671_15 Depth=1
	v_and_b32_e32 v32, 0x7f, v20
	v_cmp_ne_u32_e32 vcc, s14, v32
	v_mov_b32_e32 v36, 0x7f800001
	s_and_saveexec_b64 s[10:11], vcc
	s_cbranch_execz .LBB671_49
; %bb.48:                               ;   in Loop: Header=BB671_15 Depth=1
	v_and_b32_e32 v38, 7, v20
	v_ffbh_u32_e32 v36, v38
	v_min_u32_e32 v40, 32, v36
	v_subrev_u32_e32 v36, 28, v40
	v_lshlrev_b64 v[36:37], v36, v[20:21]
	v_lshrrev_b32_e32 v39, 3, v32
	v_sub_u32_e32 v20, 29, v40
	v_and_b32_e32 v36, 7, v36
	v_cmp_gt_u32_e32 vcc, 8, v32
	v_cndmask_b32_e32 v20, v39, v20, vcc
	v_cndmask_b32_e32 v32, v38, v36, vcc
	v_lshlrev_b32_e32 v36, 16, v18
	v_lshlrev_b32_e32 v32, 20, v32
	v_and_b32_e32 v36, 0x80000000, v36
	v_lshl_add_u32 v20, v20, 23, v33
	v_or3_b32 v36, v36, v20, v32
.LBB671_49:                             ;   in Loop: Header=BB671_15 Depth=1
	s_or_b64 exec, exec, s[10:11]
.LBB671_50:                             ;   in Loop: Header=BB671_15 Depth=1
	s_or_b64 exec, exec, s[6:7]
.LBB671_51:                             ;   in Loop: Header=BB671_15 Depth=1
	s_or_b64 exec, exec, s[4:5]
	v_lshrrev_b32_e32 v20, 16, v18
	v_cmp_ne_u16_sdwa s[6:7], v20, v29 src0_sel:BYTE_0 src1_sel:DWORD
	s_and_saveexec_b64 s[4:5], s[6:7]
	s_cbranch_execz .LBB671_57
; %bb.52:                               ;   in Loop: Header=BB671_15 Depth=1
	v_cmp_ne_u16_sdwa s[10:11], v20, s13 src0_sel:BYTE_0 src1_sel:DWORD
	v_bfrev_b32_e32 v30, 1
	s_and_saveexec_b64 s[6:7], s[10:11]
	s_cbranch_execz .LBB671_56
; %bb.53:                               ;   in Loop: Header=BB671_15 Depth=1
	v_bfe_u32 v32, v18, 16, 7
	v_cmp_ne_u32_e32 vcc, s14, v32
	v_mov_b32_e32 v30, 0x7f800001
	s_and_saveexec_b64 s[10:11], vcc
	s_cbranch_execz .LBB671_55
; %bb.54:                               ;   in Loop: Header=BB671_15 Depth=1
	v_and_b32_e32 v30, 7, v20
	v_ffbh_u32_e32 v38, v30
	v_min_u32_e32 v40, 32, v38
	v_subrev_u32_e32 v38, 28, v40
	v_lshlrev_b64 v[38:39], v38, v[20:21]
	v_lshrrev_b32_e32 v37, 3, v32
	v_sub_u32_e32 v39, 29, v40
	v_and_b32_e32 v38, 7, v38
	v_cmp_gt_u32_e32 vcc, 8, v32
	v_cndmask_b32_e32 v32, v37, v39, vcc
	v_cndmask_b32_e32 v30, v30, v38, vcc
	v_lshlrev_b32_e32 v20, 24, v20
	v_lshlrev_b32_e32 v30, 20, v30
	v_and_b32_e32 v20, 0x80000000, v20
	v_lshl_add_u32 v32, v32, 23, v33
	v_or3_b32 v30, v20, v32, v30
.LBB671_55:                             ;   in Loop: Header=BB671_15 Depth=1
	s_or_b64 exec, exec, s[10:11]
.LBB671_56:                             ;   in Loop: Header=BB671_15 Depth=1
	s_or_b64 exec, exec, s[6:7]
.LBB671_57:                             ;   in Loop: Header=BB671_15 Depth=1
	s_or_b64 exec, exec, s[4:5]
	v_cmp_lt_u32_e32 vcc, s15, v18
	v_mov_b32_e32 v32, 0
	v_mov_b32_e32 v37, 0
	s_and_saveexec_b64 s[4:5], vcc
	s_cbranch_execz .LBB671_63
; %bb.58:                               ;   in Loop: Header=BB671_15 Depth=1
	v_lshrrev_b32_e32 v20, 24, v18
	v_cmp_ne_u32_e32 vcc, s13, v20
	v_bfrev_b32_e32 v37, 1
	s_and_saveexec_b64 s[6:7], vcc
	s_cbranch_execz .LBB671_62
; %bb.59:                               ;   in Loop: Header=BB671_15 Depth=1
	v_bfe_u32 v18, v18, 24, 7
	v_cmp_ne_u32_e32 vcc, s14, v18
	v_mov_b32_e32 v37, 0x7f800001
	s_and_saveexec_b64 s[10:11], vcc
	s_cbranch_execz .LBB671_61
; %bb.60:                               ;   in Loop: Header=BB671_15 Depth=1
	v_and_b32_e32 v37, 7, v20
	v_ffbh_u32_e32 v38, v37
	v_min_u32_e32 v41, 32, v38
	v_subrev_u32_e32 v38, 28, v41
	v_lshlrev_b64 v[38:39], v38, v[20:21]
	v_lshrrev_b32_e32 v40, 3, v18
	v_sub_u32_e32 v39, 29, v41
	v_and_b32_e32 v38, 7, v38
	v_cmp_gt_u32_e32 vcc, 8, v18
	v_cndmask_b32_e32 v18, v40, v39, vcc
	v_cndmask_b32_e32 v37, v37, v38, vcc
	v_lshlrev_b32_e32 v20, 24, v20
	v_lshlrev_b32_e32 v37, 20, v37
	v_and_b32_e32 v20, 0x80000000, v20
	v_lshl_add_u32 v18, v18, 23, v33
	v_or3_b32 v37, v20, v18, v37
.LBB671_61:                             ;   in Loop: Header=BB671_15 Depth=1
	s_or_b64 exec, exec, s[10:11]
.LBB671_62:                             ;   in Loop: Header=BB671_15 Depth=1
	s_or_b64 exec, exec, s[6:7]
.LBB671_63:                             ;   in Loop: Header=BB671_15 Depth=1
	s_or_b64 exec, exec, s[4:5]
	v_cvt_pkrtz_f16_f32 v18, v19, v23
	v_cvt_pkrtz_f16_f32 v19, v21, v35
	;; [unrolled: 1-line block ×4, first 2 shown]
	s_waitcnt vmcnt(1)
	v_cmp_ne_u16_sdwa s[6:7], v28, v29 src0_sel:BYTE_0 src1_sel:DWORD
	v_mfma_f32_16x16x16f16 v[18:21], v[18:19], v[2:3], 0
	v_mfma_f32_16x16x16f16 v[18:21], v[34:35], v[4:5], v[18:21]
	s_and_saveexec_b64 s[4:5], s[6:7]
	s_cbranch_execz .LBB671_69
; %bb.64:                               ;   in Loop: Header=BB671_15 Depth=1
	v_cmp_ne_u16_sdwa s[10:11], v28, s13 src0_sel:BYTE_0 src1_sel:DWORD
	v_bfrev_b32_e32 v32, 1
	s_and_saveexec_b64 s[6:7], s[10:11]
	s_cbranch_execz .LBB671_68
; %bb.65:                               ;   in Loop: Header=BB671_15 Depth=1
	v_and_b32_e32 v23, 0x7f, v28
	v_cmp_ne_u32_e32 vcc, s14, v23
	v_mov_b32_e32 v32, 0x7f800001
	s_and_saveexec_b64 s[10:11], vcc
	s_cbranch_execz .LBB671_67
; %bb.66:                               ;   in Loop: Header=BB671_15 Depth=1
	v_and_b32_e32 v30, 7, v28
	v_ffbh_u32_e32 v34, v30
	v_min_u32_e32 v36, 32, v34
	v_subrev_u32_e32 v34, 28, v36
	v_lshlrev_b64 v[34:35], v34, v[28:29]
	v_lshrrev_b32_e32 v32, 3, v23
	v_sub_u32_e32 v35, 29, v36
	v_and_b32_e32 v34, 7, v34
	v_cmp_gt_u32_e32 vcc, 8, v23
	v_cndmask_b32_e32 v23, v32, v35, vcc
	v_cndmask_b32_e32 v30, v30, v34, vcc
	v_lshlrev_b32_e32 v32, 24, v28
	v_lshlrev_b32_e32 v30, 20, v30
	v_and_b32_e32 v32, 0x80000000, v32
	v_lshl_add_u32 v23, v23, 23, v33
	v_or3_b32 v32, v32, v23, v30
.LBB671_67:                             ;   in Loop: Header=BB671_15 Depth=1
	s_or_b64 exec, exec, s[10:11]
.LBB671_68:                             ;   in Loop: Header=BB671_15 Depth=1
	s_or_b64 exec, exec, s[6:7]
.LBB671_69:                             ;   in Loop: Header=BB671_15 Depth=1
	s_or_b64 exec, exec, s[4:5]
	v_lshrrev_b16_e32 v30, 8, v28
	v_cmp_ne_u16_e32 vcc, 0, v30
	v_mov_b32_e32 v34, 0
	v_mov_b32_e32 v35, 0
	s_and_saveexec_b64 s[4:5], vcc
	s_cbranch_execz .LBB671_75
; %bb.70:                               ;   in Loop: Header=BB671_15 Depth=1
	v_cmp_ne_u16_e32 vcc, s13, v30
	v_bfrev_b32_e32 v35, 1
	s_and_saveexec_b64 s[6:7], vcc
	s_cbranch_execz .LBB671_74
; %bb.71:                               ;   in Loop: Header=BB671_15 Depth=1
	v_and_b32_e32 v23, 0x7f, v30
	v_cmp_ne_u32_e32 vcc, s14, v23
	v_mov_b32_e32 v35, 0x7f800001
	s_and_saveexec_b64 s[10:11], vcc
	s_cbranch_execz .LBB671_73
; %bb.72:                               ;   in Loop: Header=BB671_15 Depth=1
	v_and_b32_e32 v35, 7, v30
	v_ffbh_u32_e32 v36, v35
	v_min_u32_e32 v39, 32, v36
	v_subrev_u32_e32 v36, 28, v39
	v_lshlrev_b64 v[36:37], v36, v[30:31]
	v_lshrrev_b32_e32 v38, 3, v23
	v_sub_u32_e32 v30, 29, v39
	v_and_b32_e32 v36, 7, v36
	v_cmp_gt_u32_e32 vcc, 8, v23
	v_cndmask_b32_e32 v23, v38, v30, vcc
	v_cndmask_b32_e32 v30, v35, v36, vcc
	v_lshlrev_b32_e32 v35, 16, v28
	v_lshlrev_b32_e32 v30, 20, v30
	v_and_b32_e32 v35, 0x80000000, v35
	v_lshl_add_u32 v23, v23, 23, v33
	v_or3_b32 v35, v35, v23, v30
.LBB671_73:                             ;   in Loop: Header=BB671_15 Depth=1
	s_or_b64 exec, exec, s[10:11]
.LBB671_74:                             ;   in Loop: Header=BB671_15 Depth=1
	s_or_b64 exec, exec, s[6:7]
.LBB671_75:                             ;   in Loop: Header=BB671_15 Depth=1
	s_or_b64 exec, exec, s[4:5]
	v_lshrrev_b32_e32 v30, 16, v28
	v_cmp_ne_u16_sdwa s[6:7], v30, v29 src0_sel:BYTE_0 src1_sel:DWORD
	s_and_saveexec_b64 s[4:5], s[6:7]
	s_cbranch_execz .LBB671_81
; %bb.76:                               ;   in Loop: Header=BB671_15 Depth=1
	v_cmp_ne_u16_sdwa s[10:11], v30, s13 src0_sel:BYTE_0 src1_sel:DWORD
	v_bfrev_b32_e32 v34, 1
	s_and_saveexec_b64 s[6:7], s[10:11]
	s_cbranch_execz .LBB671_80
; %bb.77:                               ;   in Loop: Header=BB671_15 Depth=1
	v_bfe_u32 v23, v28, 16, 7
	v_cmp_ne_u32_e32 vcc, s14, v23
	v_mov_b32_e32 v34, 0x7f800001
	s_and_saveexec_b64 s[10:11], vcc
	s_cbranch_execz .LBB671_79
; %bb.78:                               ;   in Loop: Header=BB671_15 Depth=1
	v_and_b32_e32 v34, 7, v30
	v_ffbh_u32_e32 v36, v34
	v_min_u32_e32 v39, 32, v36
	v_subrev_u32_e32 v36, 28, v39
	v_lshlrev_b64 v[36:37], v36, v[30:31]
	v_lshrrev_b32_e32 v38, 3, v23
	v_sub_u32_e32 v37, 29, v39
	v_and_b32_e32 v36, 7, v36
	v_cmp_gt_u32_e32 vcc, 8, v23
	v_cndmask_b32_e32 v23, v38, v37, vcc
	v_cndmask_b32_e32 v34, v34, v36, vcc
	v_lshlrev_b32_e32 v30, 24, v30
	v_lshlrev_b32_e32 v34, 20, v34
	v_and_b32_e32 v30, 0x80000000, v30
	v_lshl_add_u32 v23, v23, 23, v33
	v_or3_b32 v34, v30, v23, v34
.LBB671_79:                             ;   in Loop: Header=BB671_15 Depth=1
	s_or_b64 exec, exec, s[10:11]
.LBB671_80:                             ;   in Loop: Header=BB671_15 Depth=1
	s_or_b64 exec, exec, s[6:7]
.LBB671_81:                             ;   in Loop: Header=BB671_15 Depth=1
	s_or_b64 exec, exec, s[4:5]
	v_cmp_lt_u32_e32 vcc, s15, v28
	v_mov_b32_e32 v36, 0
	v_mov_b32_e32 v37, 0
	s_and_saveexec_b64 s[4:5], vcc
	s_cbranch_execz .LBB671_87
; %bb.82:                               ;   in Loop: Header=BB671_15 Depth=1
	v_lshrrev_b32_e32 v30, 24, v28
	v_cmp_ne_u32_e32 vcc, s13, v30
	v_bfrev_b32_e32 v37, 1
	s_and_saveexec_b64 s[6:7], vcc
	s_cbranch_execz .LBB671_86
; %bb.83:                               ;   in Loop: Header=BB671_15 Depth=1
	v_bfe_u32 v23, v28, 24, 7
	v_cmp_ne_u32_e32 vcc, s14, v23
	v_mov_b32_e32 v37, 0x7f800001
	s_and_saveexec_b64 s[10:11], vcc
	s_cbranch_execz .LBB671_85
; %bb.84:                               ;   in Loop: Header=BB671_15 Depth=1
	v_and_b32_e32 v28, 7, v30
	v_ffbh_u32_e32 v38, v28
	v_min_u32_e32 v40, 32, v38
	v_subrev_u32_e32 v38, 28, v40
	v_lshlrev_b64 v[38:39], v38, v[30:31]
	v_lshrrev_b32_e32 v37, 3, v23
	v_sub_u32_e32 v39, 29, v40
	v_and_b32_e32 v38, 7, v38
	v_cmp_gt_u32_e32 vcc, 8, v23
	v_cndmask_b32_e32 v23, v37, v39, vcc
	v_cndmask_b32_e32 v28, v28, v38, vcc
	v_lshlrev_b32_e32 v30, 24, v30
	v_lshlrev_b32_e32 v28, 20, v28
	v_and_b32_e32 v30, 0x80000000, v30
	v_lshl_add_u32 v23, v23, 23, v33
	v_or3_b32 v37, v30, v23, v28
.LBB671_85:                             ;   in Loop: Header=BB671_15 Depth=1
	s_or_b64 exec, exec, s[10:11]
.LBB671_86:                             ;   in Loop: Header=BB671_15 Depth=1
	s_or_b64 exec, exec, s[6:7]
.LBB671_87:                             ;   in Loop: Header=BB671_15 Depth=1
	s_or_b64 exec, exec, s[4:5]
	s_waitcnt vmcnt(0)
	v_cmp_ne_u16_sdwa s[6:7], v26, v29 src0_sel:BYTE_0 src1_sel:DWORD
	s_and_saveexec_b64 s[4:5], s[6:7]
	s_cbranch_execz .LBB671_93
; %bb.88:                               ;   in Loop: Header=BB671_15 Depth=1
	v_cmp_ne_u16_sdwa s[10:11], v26, s13 src0_sel:BYTE_0 src1_sel:DWORD
	v_bfrev_b32_e32 v36, 1
	s_and_saveexec_b64 s[6:7], s[10:11]
	s_cbranch_execz .LBB671_92
; %bb.89:                               ;   in Loop: Header=BB671_15 Depth=1
	v_and_b32_e32 v23, 0x7f, v26
	v_cmp_ne_u32_e32 vcc, s14, v23
	v_mov_b32_e32 v36, 0x7f800001
	s_and_saveexec_b64 s[10:11], vcc
	s_cbranch_execz .LBB671_91
; %bb.90:                               ;   in Loop: Header=BB671_15 Depth=1
	v_and_b32_e32 v28, 7, v26
	v_ffbh_u32_e32 v36, v28
	v_min_u32_e32 v36, 32, v36
	v_subrev_u32_e32 v38, 28, v36
	v_lshlrev_b64 v[38:39], v38, v[26:27]
	v_lshrrev_b32_e32 v30, 3, v23
	v_sub_u32_e32 v36, 29, v36
	v_and_b32_e32 v38, 7, v38
	v_cmp_gt_u32_e32 vcc, 8, v23
	v_cndmask_b32_e32 v23, v30, v36, vcc
	v_cndmask_b32_e32 v28, v28, v38, vcc
	v_lshlrev_b32_e32 v30, 24, v26
	v_lshlrev_b32_e32 v28, 20, v28
	v_and_b32_e32 v30, 0x80000000, v30
	v_lshl_add_u32 v23, v23, 23, v33
	v_or3_b32 v36, v30, v23, v28
.LBB671_91:                             ;   in Loop: Header=BB671_15 Depth=1
	s_or_b64 exec, exec, s[10:11]
.LBB671_92:                             ;   in Loop: Header=BB671_15 Depth=1
	s_or_b64 exec, exec, s[6:7]
.LBB671_93:                             ;   in Loop: Header=BB671_15 Depth=1
	s_or_b64 exec, exec, s[4:5]
	v_lshrrev_b16_e32 v28, 8, v26
	v_cmp_ne_u16_e32 vcc, 0, v28
	v_mov_b32_e32 v38, 0
	v_mov_b32_e32 v39, 0
	s_and_saveexec_b64 s[4:5], vcc
	s_cbranch_execz .LBB671_99
; %bb.94:                               ;   in Loop: Header=BB671_15 Depth=1
	v_cmp_ne_u16_e32 vcc, s13, v28
	v_bfrev_b32_e32 v39, 1
	s_and_saveexec_b64 s[6:7], vcc
	s_cbranch_execz .LBB671_98
; %bb.95:                               ;   in Loop: Header=BB671_15 Depth=1
	v_and_b32_e32 v23, 0x7f, v28
	v_cmp_ne_u32_e32 vcc, s14, v23
	v_mov_b32_e32 v39, 0x7f800001
	s_and_saveexec_b64 s[10:11], vcc
	s_cbranch_execz .LBB671_97
; %bb.96:                               ;   in Loop: Header=BB671_15 Depth=1
	v_and_b32_e32 v30, 7, v28
	v_ffbh_u32_e32 v40, v30
	v_min_u32_e32 v42, 32, v40
	v_subrev_u32_e32 v40, 28, v42
	v_lshlrev_b64 v[40:41], v40, v[28:29]
	v_lshrrev_b32_e32 v39, 3, v23
	v_sub_u32_e32 v28, 29, v42
	v_and_b32_e32 v40, 7, v40
	v_cmp_gt_u32_e32 vcc, 8, v23
	v_cndmask_b32_e32 v23, v39, v28, vcc
	v_cndmask_b32_e32 v28, v30, v40, vcc
	v_lshlrev_b32_e32 v30, 16, v26
	v_lshlrev_b32_e32 v28, 20, v28
	v_and_b32_e32 v30, 0x80000000, v30
	v_lshl_add_u32 v23, v23, 23, v33
	v_or3_b32 v39, v30, v23, v28
.LBB671_97:                             ;   in Loop: Header=BB671_15 Depth=1
	s_or_b64 exec, exec, s[10:11]
.LBB671_98:                             ;   in Loop: Header=BB671_15 Depth=1
	s_or_b64 exec, exec, s[6:7]
.LBB671_99:                             ;   in Loop: Header=BB671_15 Depth=1
	s_or_b64 exec, exec, s[4:5]
	v_lshrrev_b32_e32 v28, 16, v26
	v_cmp_ne_u16_sdwa s[6:7], v28, v29 src0_sel:BYTE_0 src1_sel:DWORD
	s_and_saveexec_b64 s[4:5], s[6:7]
	s_cbranch_execz .LBB671_105
; %bb.100:                              ;   in Loop: Header=BB671_15 Depth=1
	v_cmp_ne_u16_sdwa s[10:11], v28, s13 src0_sel:BYTE_0 src1_sel:DWORD
	v_bfrev_b32_e32 v38, 1
	s_and_saveexec_b64 s[6:7], s[10:11]
	s_cbranch_execz .LBB671_104
; %bb.101:                              ;   in Loop: Header=BB671_15 Depth=1
	v_bfe_u32 v23, v26, 16, 7
	v_cmp_ne_u32_e32 vcc, s14, v23
	v_mov_b32_e32 v38, 0x7f800001
	s_and_saveexec_b64 s[10:11], vcc
	s_cbranch_execz .LBB671_103
; %bb.102:                              ;   in Loop: Header=BB671_15 Depth=1
	v_and_b32_e32 v30, 7, v28
	v_ffbh_u32_e32 v40, v30
	v_min_u32_e32 v42, 32, v40
	v_subrev_u32_e32 v40, 28, v42
	v_lshlrev_b64 v[40:41], v40, v[28:29]
	v_lshrrev_b32_e32 v38, 3, v23
	v_sub_u32_e32 v41, 29, v42
	v_and_b32_e32 v40, 7, v40
	v_cmp_gt_u32_e32 vcc, 8, v23
	v_cndmask_b32_e32 v23, v38, v41, vcc
	v_cndmask_b32_e32 v30, v30, v40, vcc
	v_lshlrev_b32_e32 v28, 24, v28
	v_lshlrev_b32_e32 v30, 20, v30
	v_and_b32_e32 v28, 0x80000000, v28
	v_lshl_add_u32 v23, v23, 23, v33
	v_or3_b32 v38, v28, v23, v30
.LBB671_103:                            ;   in Loop: Header=BB671_15 Depth=1
	s_or_b64 exec, exec, s[10:11]
.LBB671_104:                            ;   in Loop: Header=BB671_15 Depth=1
	s_or_b64 exec, exec, s[6:7]
.LBB671_105:                            ;   in Loop: Header=BB671_15 Depth=1
	s_or_b64 exec, exec, s[4:5]
	v_cmp_lt_u32_e32 vcc, s15, v26
	v_mov_b32_e32 v23, 0
	v_mov_b32_e32 v40, 0
	s_and_saveexec_b64 s[4:5], vcc
	s_cbranch_execz .LBB671_111
; %bb.106:                              ;   in Loop: Header=BB671_15 Depth=1
	v_lshrrev_b32_e32 v28, 24, v26
	v_cmp_ne_u32_e32 vcc, s13, v28
	v_bfrev_b32_e32 v40, 1
	s_and_saveexec_b64 s[6:7], vcc
	s_cbranch_execz .LBB671_110
; %bb.107:                              ;   in Loop: Header=BB671_15 Depth=1
	v_bfe_u32 v26, v26, 24, 7
	v_cmp_ne_u32_e32 vcc, s14, v26
	v_mov_b32_e32 v40, 0x7f800001
	s_and_saveexec_b64 s[10:11], vcc
	s_cbranch_execz .LBB671_109
; %bb.108:                              ;   in Loop: Header=BB671_15 Depth=1
	v_and_b32_e32 v30, 7, v28
	v_ffbh_u32_e32 v40, v30
	v_min_u32_e32 v43, 32, v40
	v_subrev_u32_e32 v40, 28, v43
	v_lshlrev_b64 v[40:41], v40, v[28:29]
	v_lshrrev_b32_e32 v42, 3, v26
	v_sub_u32_e32 v41, 29, v43
	v_and_b32_e32 v40, 7, v40
	v_cmp_gt_u32_e32 vcc, 8, v26
	v_cndmask_b32_e32 v26, v42, v41, vcc
	v_cndmask_b32_e32 v30, v30, v40, vcc
	v_lshlrev_b32_e32 v28, 24, v28
	v_lshlrev_b32_e32 v30, 20, v30
	v_and_b32_e32 v28, 0x80000000, v28
	v_lshl_add_u32 v26, v26, 23, v33
	v_or3_b32 v40, v28, v26, v30
.LBB671_109:                            ;   in Loop: Header=BB671_15 Depth=1
	s_or_b64 exec, exec, s[10:11]
.LBB671_110:                            ;   in Loop: Header=BB671_15 Depth=1
	s_or_b64 exec, exec, s[6:7]
.LBB671_111:                            ;   in Loop: Header=BB671_15 Depth=1
	s_or_b64 exec, exec, s[4:5]
	v_cvt_pkrtz_f16_f32 v42, v32, v35
	buffer_load_dword v32, v27, s[0:3], 0 offen offset:16
	buffer_load_dword v30, v27, s[0:3], 0 offen offset:20
	;; [unrolled: 1-line block ×4, first 2 shown]
	v_cvt_pkrtz_f16_f32 v43, v34, v37
	v_cvt_pkrtz_f16_f32 v34, v36, v39
	;; [unrolled: 1-line block ×3, first 2 shown]
	v_mfma_f32_16x16x16f16 v[18:21], v[42:43], v[6:7], v[18:21]
	s_waitcnt vmcnt(3)
	v_cmp_ne_u16_sdwa s[6:7], v32, v29 src0_sel:BYTE_0 src1_sel:DWORD
	v_mfma_f32_16x16x16f16 v[18:21], v[34:35], v[8:9], v[18:21]
	s_and_saveexec_b64 s[4:5], s[6:7]
	s_cbranch_execz .LBB671_117
; %bb.112:                              ;   in Loop: Header=BB671_15 Depth=1
	v_cmp_ne_u16_sdwa s[10:11], v32, s13 src0_sel:BYTE_0 src1_sel:DWORD
	v_bfrev_b32_e32 v23, 1
	s_and_saveexec_b64 s[6:7], s[10:11]
	s_cbranch_execz .LBB671_116
; %bb.113:                              ;   in Loop: Header=BB671_15 Depth=1
	v_and_b32_e32 v34, 0x7f, v32
	v_cmp_ne_u32_e32 vcc, s14, v34
	v_mov_b32_e32 v23, 0x7f800001
	s_and_saveexec_b64 s[10:11], vcc
	s_cbranch_execz .LBB671_115
; %bb.114:                              ;   in Loop: Header=BB671_15 Depth=1
	v_and_b32_e32 v23, 7, v32
	v_ffbh_u32_e32 v36, v23
	v_min_u32_e32 v38, 32, v36
	v_subrev_u32_e32 v36, 28, v38
	v_lshlrev_b64 v[36:37], v36, v[32:33]
	v_lshrrev_b32_e32 v35, 3, v34
	v_sub_u32_e32 v37, 29, v38
	v_and_b32_e32 v36, 7, v36
	v_cmp_gt_u32_e32 vcc, 8, v34
	v_cndmask_b32_e32 v34, v35, v37, vcc
	v_cndmask_b32_e32 v23, v23, v36, vcc
	v_lshlrev_b32_e32 v35, 24, v32
	v_lshlrev_b32_e32 v23, 20, v23
	v_and_b32_e32 v35, 0x80000000, v35
	v_lshl_add_u32 v34, v34, 23, v33
	v_or3_b32 v23, v35, v34, v23
.LBB671_115:                            ;   in Loop: Header=BB671_15 Depth=1
	s_or_b64 exec, exec, s[10:11]
.LBB671_116:                            ;   in Loop: Header=BB671_15 Depth=1
	s_or_b64 exec, exec, s[6:7]
.LBB671_117:                            ;   in Loop: Header=BB671_15 Depth=1
	s_or_b64 exec, exec, s[4:5]
	v_lshrrev_b16_e32 v34, 8, v32
	v_cmp_ne_u16_e32 vcc, 0, v34
	v_mov_b32_e32 v35, 0
	v_mov_b32_e32 v36, 0
	s_and_saveexec_b64 s[4:5], vcc
	s_cbranch_execz .LBB671_123
; %bb.118:                              ;   in Loop: Header=BB671_15 Depth=1
	v_cmp_ne_u16_e32 vcc, s13, v34
	v_bfrev_b32_e32 v36, 1
	s_and_saveexec_b64 s[6:7], vcc
	s_cbranch_execz .LBB671_122
; %bb.119:                              ;   in Loop: Header=BB671_15 Depth=1
	v_and_b32_e32 v37, 0x7f, v34
	v_cmp_ne_u32_e32 vcc, s14, v37
	v_mov_b32_e32 v36, 0x7f800001
	s_and_saveexec_b64 s[10:11], vcc
	s_cbranch_execz .LBB671_121
; %bb.120:                              ;   in Loop: Header=BB671_15 Depth=1
	v_and_b32_e32 v36, 7, v34
	v_ffbh_u32_e32 v38, v36
	v_min_u32_e32 v41, 32, v38
	v_subrev_u32_e32 v38, 28, v41
	v_lshlrev_b64 v[38:39], v38, v[34:35]
	v_lshrrev_b32_e32 v40, 3, v37
	v_sub_u32_e32 v34, 29, v41
	v_and_b32_e32 v38, 7, v38
	v_cmp_gt_u32_e32 vcc, 8, v37
	v_cndmask_b32_e32 v34, v40, v34, vcc
	v_cndmask_b32_e32 v36, v36, v38, vcc
	v_lshlrev_b32_e32 v37, 16, v32
	v_lshlrev_b32_e32 v36, 20, v36
	v_and_b32_e32 v37, 0x80000000, v37
	v_lshl_add_u32 v34, v34, 23, v33
	v_or3_b32 v36, v37, v34, v36
.LBB671_121:                            ;   in Loop: Header=BB671_15 Depth=1
	s_or_b64 exec, exec, s[10:11]
.LBB671_122:                            ;   in Loop: Header=BB671_15 Depth=1
	s_or_b64 exec, exec, s[6:7]
.LBB671_123:                            ;   in Loop: Header=BB671_15 Depth=1
	s_or_b64 exec, exec, s[4:5]
	v_lshrrev_b32_e32 v34, 16, v32
	v_cmp_ne_u16_sdwa s[6:7], v34, v29 src0_sel:BYTE_0 src1_sel:DWORD
	s_and_saveexec_b64 s[4:5], s[6:7]
	s_cbranch_execz .LBB671_129
; %bb.124:                              ;   in Loop: Header=BB671_15 Depth=1
	v_cmp_ne_u16_sdwa s[10:11], v34, s13 src0_sel:BYTE_0 src1_sel:DWORD
	v_bfrev_b32_e32 v35, 1
	s_and_saveexec_b64 s[6:7], s[10:11]
	s_cbranch_execz .LBB671_128
; %bb.125:                              ;   in Loop: Header=BB671_15 Depth=1
	v_bfe_u32 v37, v32, 16, 7
	v_cmp_ne_u32_e32 vcc, s14, v37
	v_mov_b32_e32 v35, 0x7f800001
	s_and_saveexec_b64 s[10:11], vcc
	s_cbranch_execz .LBB671_127
; %bb.126:                              ;   in Loop: Header=BB671_15 Depth=1
	v_and_b32_e32 v35, 7, v34
	v_ffbh_u32_e32 v38, v35
	v_min_u32_e32 v41, 32, v38
	v_subrev_u32_e32 v38, 28, v41
	v_lshlrev_b64 v[38:39], v38, v[34:35]
	v_lshrrev_b32_e32 v40, 3, v37
	v_sub_u32_e32 v39, 29, v41
	v_and_b32_e32 v38, 7, v38
	v_cmp_gt_u32_e32 vcc, 8, v37
	v_cndmask_b32_e32 v37, v40, v39, vcc
	v_cndmask_b32_e32 v35, v35, v38, vcc
	v_lshlrev_b32_e32 v34, 24, v34
	v_lshlrev_b32_e32 v35, 20, v35
	v_and_b32_e32 v34, 0x80000000, v34
	v_lshl_add_u32 v37, v37, 23, v33
	v_or3_b32 v35, v34, v37, v35
.LBB671_127:                            ;   in Loop: Header=BB671_15 Depth=1
	s_or_b64 exec, exec, s[10:11]
.LBB671_128:                            ;   in Loop: Header=BB671_15 Depth=1
	s_or_b64 exec, exec, s[6:7]
.LBB671_129:                            ;   in Loop: Header=BB671_15 Depth=1
	s_or_b64 exec, exec, s[4:5]
	v_cmp_lt_u32_e32 vcc, s15, v32
	v_mov_b32_e32 v37, 0
	v_mov_b32_e32 v38, 0
	s_and_saveexec_b64 s[4:5], vcc
	s_cbranch_execz .LBB671_135
; %bb.130:                              ;   in Loop: Header=BB671_15 Depth=1
	v_lshrrev_b32_e32 v34, 24, v32
	v_cmp_ne_u32_e32 vcc, s13, v34
	v_bfrev_b32_e32 v38, 1
	s_and_saveexec_b64 s[6:7], vcc
	s_cbranch_execz .LBB671_134
; %bb.131:                              ;   in Loop: Header=BB671_15 Depth=1
	v_bfe_u32 v32, v32, 24, 7
	v_cmp_ne_u32_e32 vcc, s14, v32
	v_mov_b32_e32 v38, 0x7f800001
	s_and_saveexec_b64 s[10:11], vcc
	s_cbranch_execz .LBB671_133
; %bb.132:                              ;   in Loop: Header=BB671_15 Depth=1
	v_and_b32_e32 v40, 7, v34
	v_ffbh_u32_e32 v38, v40
	v_min_u32_e32 v42, 32, v38
	v_subrev_u32_e32 v38, 28, v42
	v_lshlrev_b64 v[38:39], v38, v[34:35]
	v_lshrrev_b32_e32 v41, 3, v32
	v_sub_u32_e32 v39, 29, v42
	v_and_b32_e32 v38, 7, v38
	v_cmp_gt_u32_e32 vcc, 8, v32
	v_cndmask_b32_e32 v32, v41, v39, vcc
	v_cndmask_b32_e32 v38, v40, v38, vcc
	v_lshlrev_b32_e32 v34, 24, v34
	v_lshlrev_b32_e32 v38, 20, v38
	v_and_b32_e32 v34, 0x80000000, v34
	v_lshl_add_u32 v32, v32, 23, v33
	v_or3_b32 v38, v34, v32, v38
.LBB671_133:                            ;   in Loop: Header=BB671_15 Depth=1
	s_or_b64 exec, exec, s[10:11]
.LBB671_134:                            ;   in Loop: Header=BB671_15 Depth=1
	s_or_b64 exec, exec, s[6:7]
.LBB671_135:                            ;   in Loop: Header=BB671_15 Depth=1
	s_or_b64 exec, exec, s[4:5]
	s_waitcnt vmcnt(2)
	v_cmp_ne_u16_sdwa s[6:7], v30, v29 src0_sel:BYTE_0 src1_sel:DWORD
	s_and_saveexec_b64 s[4:5], s[6:7]
	s_cbranch_execz .LBB671_141
; %bb.136:                              ;   in Loop: Header=BB671_15 Depth=1
	v_cmp_ne_u16_sdwa s[10:11], v30, s13 src0_sel:BYTE_0 src1_sel:DWORD
	v_bfrev_b32_e32 v37, 1
	s_and_saveexec_b64 s[6:7], s[10:11]
	s_cbranch_execz .LBB671_140
; %bb.137:                              ;   in Loop: Header=BB671_15 Depth=1
	v_and_b32_e32 v32, 0x7f, v30
	v_cmp_ne_u32_e32 vcc, s14, v32
	v_mov_b32_e32 v37, 0x7f800001
	s_and_saveexec_b64 s[10:11], vcc
	s_cbranch_execz .LBB671_139
; %bb.138:                              ;   in Loop: Header=BB671_15 Depth=1
	v_and_b32_e32 v34, 7, v30
	v_ffbh_u32_e32 v39, v34
	v_min_u32_e32 v39, 32, v39
	v_subrev_u32_e32 v40, 28, v39
	v_lshlrev_b64 v[40:41], v40, v[30:31]
	v_lshrrev_b32_e32 v37, 3, v32
	v_sub_u32_e32 v39, 29, v39
	v_and_b32_e32 v40, 7, v40
	v_cmp_gt_u32_e32 vcc, 8, v32
	v_cndmask_b32_e32 v32, v37, v39, vcc
	v_cndmask_b32_e32 v34, v34, v40, vcc
	v_lshlrev_b32_e32 v37, 24, v30
	v_lshlrev_b32_e32 v34, 20, v34
	v_and_b32_e32 v37, 0x80000000, v37
	v_lshl_add_u32 v32, v32, 23, v33
	v_or3_b32 v37, v37, v32, v34
.LBB671_139:                            ;   in Loop: Header=BB671_15 Depth=1
	s_or_b64 exec, exec, s[10:11]
.LBB671_140:                            ;   in Loop: Header=BB671_15 Depth=1
	s_or_b64 exec, exec, s[6:7]
.LBB671_141:                            ;   in Loop: Header=BB671_15 Depth=1
	s_or_b64 exec, exec, s[4:5]
	v_lshrrev_b16_e32 v32, 8, v30
	v_cmp_ne_u16_e32 vcc, 0, v32
	v_mov_b32_e32 v39, 0
	v_mov_b32_e32 v40, 0
	s_and_saveexec_b64 s[4:5], vcc
	s_cbranch_execz .LBB671_147
; %bb.142:                              ;   in Loop: Header=BB671_15 Depth=1
	v_cmp_ne_u16_e32 vcc, s13, v32
	v_bfrev_b32_e32 v40, 1
	s_and_saveexec_b64 s[6:7], vcc
	s_cbranch_execz .LBB671_146
; %bb.143:                              ;   in Loop: Header=BB671_15 Depth=1
	v_and_b32_e32 v34, 0x7f, v32
	v_cmp_ne_u32_e32 vcc, s14, v34
	v_mov_b32_e32 v40, 0x7f800001
	s_and_saveexec_b64 s[10:11], vcc
	s_cbranch_execz .LBB671_145
; %bb.144:                              ;   in Loop: Header=BB671_15 Depth=1
	v_and_b32_e32 v42, 7, v32
	v_ffbh_u32_e32 v40, v42
	v_min_u32_e32 v44, 32, v40
	v_subrev_u32_e32 v40, 28, v44
	v_lshlrev_b64 v[40:41], v40, v[32:33]
	v_lshrrev_b32_e32 v43, 3, v34
	v_sub_u32_e32 v32, 29, v44
	v_and_b32_e32 v40, 7, v40
	v_cmp_gt_u32_e32 vcc, 8, v34
	v_cndmask_b32_e32 v32, v43, v32, vcc
	v_cndmask_b32_e32 v34, v42, v40, vcc
	v_lshlrev_b32_e32 v40, 16, v30
	v_lshlrev_b32_e32 v34, 20, v34
	v_and_b32_e32 v40, 0x80000000, v40
	v_lshl_add_u32 v32, v32, 23, v33
	v_or3_b32 v40, v40, v32, v34
.LBB671_145:                            ;   in Loop: Header=BB671_15 Depth=1
	s_or_b64 exec, exec, s[10:11]
.LBB671_146:                            ;   in Loop: Header=BB671_15 Depth=1
	s_or_b64 exec, exec, s[6:7]
.LBB671_147:                            ;   in Loop: Header=BB671_15 Depth=1
	s_or_b64 exec, exec, s[4:5]
	v_lshrrev_b32_e32 v32, 16, v30
	v_cmp_ne_u16_sdwa s[6:7], v32, v29 src0_sel:BYTE_0 src1_sel:DWORD
	s_and_saveexec_b64 s[4:5], s[6:7]
	s_cbranch_execz .LBB671_153
; %bb.148:                              ;   in Loop: Header=BB671_15 Depth=1
	v_cmp_ne_u16_sdwa s[10:11], v32, s13 src0_sel:BYTE_0 src1_sel:DWORD
	v_bfrev_b32_e32 v39, 1
	s_and_saveexec_b64 s[6:7], s[10:11]
	s_cbranch_execz .LBB671_152
; %bb.149:                              ;   in Loop: Header=BB671_15 Depth=1
	v_bfe_u32 v34, v30, 16, 7
	v_cmp_ne_u32_e32 vcc, s14, v34
	v_mov_b32_e32 v39, 0x7f800001
	s_and_saveexec_b64 s[10:11], vcc
	s_cbranch_execz .LBB671_151
; %bb.150:                              ;   in Loop: Header=BB671_15 Depth=1
	v_and_b32_e32 v39, 7, v32
	v_ffbh_u32_e32 v42, v39
	v_min_u32_e32 v44, 32, v42
	v_subrev_u32_e32 v42, 28, v44
	v_lshlrev_b64 v[42:43], v42, v[32:33]
	v_lshrrev_b32_e32 v41, 3, v34
	v_sub_u32_e32 v43, 29, v44
	v_and_b32_e32 v42, 7, v42
	v_cmp_gt_u32_e32 vcc, 8, v34
	v_cndmask_b32_e32 v34, v41, v43, vcc
	v_cndmask_b32_e32 v39, v39, v42, vcc
	v_lshlrev_b32_e32 v32, 24, v32
	v_lshlrev_b32_e32 v39, 20, v39
	v_and_b32_e32 v32, 0x80000000, v32
	v_lshl_add_u32 v34, v34, 23, v33
	v_or3_b32 v39, v32, v34, v39
.LBB671_151:                            ;   in Loop: Header=BB671_15 Depth=1
	s_or_b64 exec, exec, s[10:11]
.LBB671_152:                            ;   in Loop: Header=BB671_15 Depth=1
	s_or_b64 exec, exec, s[6:7]
.LBB671_153:                            ;   in Loop: Header=BB671_15 Depth=1
	s_or_b64 exec, exec, s[4:5]
	v_cmp_lt_u32_e32 vcc, s15, v30
	v_mov_b32_e32 v34, 0
	v_mov_b32_e32 v41, 0
	s_and_saveexec_b64 s[4:5], vcc
	s_cbranch_execz .LBB671_159
; %bb.154:                              ;   in Loop: Header=BB671_15 Depth=1
	v_lshrrev_b32_e32 v32, 24, v30
	v_cmp_ne_u32_e32 vcc, s13, v32
	v_bfrev_b32_e32 v41, 1
	s_and_saveexec_b64 s[6:7], vcc
	s_cbranch_execz .LBB671_158
; %bb.155:                              ;   in Loop: Header=BB671_15 Depth=1
	v_bfe_u32 v30, v30, 24, 7
	v_cmp_ne_u32_e32 vcc, s14, v30
	v_mov_b32_e32 v41, 0x7f800001
	s_and_saveexec_b64 s[10:11], vcc
	s_cbranch_execz .LBB671_157
; %bb.156:                              ;   in Loop: Header=BB671_15 Depth=1
	v_and_b32_e32 v41, 7, v32
	v_ffbh_u32_e32 v42, v41
	v_min_u32_e32 v45, 32, v42
	v_subrev_u32_e32 v42, 28, v45
	v_lshlrev_b64 v[42:43], v42, v[32:33]
	v_lshrrev_b32_e32 v44, 3, v30
	v_sub_u32_e32 v43, 29, v45
	v_and_b32_e32 v42, 7, v42
	v_cmp_gt_u32_e32 vcc, 8, v30
	v_cndmask_b32_e32 v30, v44, v43, vcc
	v_cndmask_b32_e32 v41, v41, v42, vcc
	v_lshlrev_b32_e32 v32, 24, v32
	v_lshlrev_b32_e32 v41, 20, v41
	v_and_b32_e32 v32, 0x80000000, v32
	v_lshl_add_u32 v30, v30, 23, v33
	v_or3_b32 v41, v32, v30, v41
.LBB671_157:                            ;   in Loop: Header=BB671_15 Depth=1
	s_or_b64 exec, exec, s[10:11]
.LBB671_158:                            ;   in Loop: Header=BB671_15 Depth=1
	s_or_b64 exec, exec, s[6:7]
.LBB671_159:                            ;   in Loop: Header=BB671_15 Depth=1
	s_or_b64 exec, exec, s[4:5]
	v_cvt_pkrtz_f16_f32 v42, v23, v36
	v_cvt_pkrtz_f16_f32 v43, v35, v38
	v_cvt_pkrtz_f16_f32 v36, v37, v40
	v_cvt_pkrtz_f16_f32 v37, v39, v41
	s_waitcnt vmcnt(1)
	v_cmp_ne_u16_sdwa s[6:7], v28, v29 src0_sel:BYTE_0 src1_sel:DWORD
	v_mfma_f32_16x16x16f16 v[18:21], v[42:43], v[10:11], v[18:21]
	v_mfma_f32_16x16x16f16 v[18:21], v[36:37], v[12:13], v[18:21]
	s_and_saveexec_b64 s[4:5], s[6:7]
	s_cbranch_execz .LBB671_165
; %bb.160:                              ;   in Loop: Header=BB671_15 Depth=1
	v_cmp_ne_u16_sdwa s[10:11], v28, s13 src0_sel:BYTE_0 src1_sel:DWORD
	v_bfrev_b32_e32 v34, 1
	s_and_saveexec_b64 s[6:7], s[10:11]
	s_cbranch_execz .LBB671_164
; %bb.161:                              ;   in Loop: Header=BB671_15 Depth=1
	v_and_b32_e32 v23, 0x7f, v28
	v_cmp_ne_u32_e32 vcc, s14, v23
	v_mov_b32_e32 v34, 0x7f800001
	s_and_saveexec_b64 s[10:11], vcc
	s_cbranch_execz .LBB671_163
; %bb.162:                              ;   in Loop: Header=BB671_15 Depth=1
	v_and_b32_e32 v30, 7, v28
	v_ffbh_u32_e32 v34, v30
	v_min_u32_e32 v36, 32, v34
	v_subrev_u32_e32 v34, 28, v36
	v_lshlrev_b64 v[34:35], v34, v[28:29]
	v_lshrrev_b32_e32 v32, 3, v23
	v_sub_u32_e32 v35, 29, v36
	v_and_b32_e32 v34, 7, v34
	v_cmp_gt_u32_e32 vcc, 8, v23
	v_cndmask_b32_e32 v23, v32, v35, vcc
	v_cndmask_b32_e32 v30, v30, v34, vcc
	v_lshlrev_b32_e32 v32, 24, v28
	v_lshlrev_b32_e32 v30, 20, v30
	v_and_b32_e32 v32, 0x80000000, v32
	v_lshl_add_u32 v23, v23, 23, v33
	v_or3_b32 v34, v32, v23, v30
.LBB671_163:                            ;   in Loop: Header=BB671_15 Depth=1
	s_or_b64 exec, exec, s[10:11]
.LBB671_164:                            ;   in Loop: Header=BB671_15 Depth=1
	s_or_b64 exec, exec, s[6:7]
.LBB671_165:                            ;   in Loop: Header=BB671_15 Depth=1
	s_or_b64 exec, exec, s[4:5]
	v_lshrrev_b16_e32 v30, 8, v28
	v_cmp_ne_u16_e32 vcc, 0, v30
	v_mov_b32_e32 v23, 0
	v_mov_b32_e32 v32, 0
	s_and_saveexec_b64 s[4:5], vcc
	s_cbranch_execz .LBB671_171
; %bb.166:                              ;   in Loop: Header=BB671_15 Depth=1
	v_cmp_ne_u16_e32 vcc, s13, v30
	v_bfrev_b32_e32 v32, 1
	s_and_saveexec_b64 s[6:7], vcc
	s_cbranch_execz .LBB671_170
; %bb.167:                              ;   in Loop: Header=BB671_15 Depth=1
	v_and_b32_e32 v35, 0x7f, v30
	v_cmp_ne_u32_e32 vcc, s14, v35
	v_mov_b32_e32 v32, 0x7f800001
	s_and_saveexec_b64 s[10:11], vcc
	s_cbranch_execz .LBB671_169
; %bb.168:                              ;   in Loop: Header=BB671_15 Depth=1
	v_and_b32_e32 v32, 7, v30
	v_ffbh_u32_e32 v36, v32
	v_min_u32_e32 v39, 32, v36
	v_subrev_u32_e32 v36, 28, v39
	v_lshlrev_b64 v[36:37], v36, v[30:31]
	v_lshrrev_b32_e32 v38, 3, v35
	v_sub_u32_e32 v30, 29, v39
	v_and_b32_e32 v36, 7, v36
	v_cmp_gt_u32_e32 vcc, 8, v35
	v_cndmask_b32_e32 v30, v38, v30, vcc
	v_cndmask_b32_e32 v32, v32, v36, vcc
	v_lshlrev_b32_e32 v35, 16, v28
	v_lshlrev_b32_e32 v32, 20, v32
	v_and_b32_e32 v35, 0x80000000, v35
	v_lshl_add_u32 v30, v30, 23, v33
	v_or3_b32 v32, v35, v30, v32
.LBB671_169:                            ;   in Loop: Header=BB671_15 Depth=1
	s_or_b64 exec, exec, s[10:11]
.LBB671_170:                            ;   in Loop: Header=BB671_15 Depth=1
	s_or_b64 exec, exec, s[6:7]
.LBB671_171:                            ;   in Loop: Header=BB671_15 Depth=1
	s_or_b64 exec, exec, s[4:5]
	v_lshrrev_b32_e32 v30, 16, v28
	v_cmp_ne_u16_sdwa s[6:7], v30, v29 src0_sel:BYTE_0 src1_sel:DWORD
	s_and_saveexec_b64 s[4:5], s[6:7]
	s_cbranch_execz .LBB671_177
; %bb.172:                              ;   in Loop: Header=BB671_15 Depth=1
	v_cmp_ne_u16_sdwa s[10:11], v30, s13 src0_sel:BYTE_0 src1_sel:DWORD
	v_bfrev_b32_e32 v23, 1
	s_and_saveexec_b64 s[6:7], s[10:11]
	s_cbranch_execz .LBB671_176
; %bb.173:                              ;   in Loop: Header=BB671_15 Depth=1
	v_bfe_u32 v35, v28, 16, 7
	v_cmp_ne_u32_e32 vcc, s14, v35
	v_mov_b32_e32 v23, 0x7f800001
	s_and_saveexec_b64 s[10:11], vcc
	s_cbranch_execz .LBB671_175
; %bb.174:                              ;   in Loop: Header=BB671_15 Depth=1
	v_and_b32_e32 v23, 7, v30
	v_ffbh_u32_e32 v36, v23
	v_min_u32_e32 v39, 32, v36
	v_subrev_u32_e32 v36, 28, v39
	v_lshlrev_b64 v[36:37], v36, v[30:31]
	v_lshrrev_b32_e32 v38, 3, v35
	v_sub_u32_e32 v37, 29, v39
	v_and_b32_e32 v36, 7, v36
	v_cmp_gt_u32_e32 vcc, 8, v35
	v_cndmask_b32_e32 v35, v38, v37, vcc
	v_cndmask_b32_e32 v23, v23, v36, vcc
	v_lshlrev_b32_e32 v30, 24, v30
	v_lshlrev_b32_e32 v23, 20, v23
	v_and_b32_e32 v30, 0x80000000, v30
	v_lshl_add_u32 v35, v35, 23, v33
	v_or3_b32 v23, v30, v35, v23
.LBB671_175:                            ;   in Loop: Header=BB671_15 Depth=1
	s_or_b64 exec, exec, s[10:11]
.LBB671_176:                            ;   in Loop: Header=BB671_15 Depth=1
	s_or_b64 exec, exec, s[6:7]
.LBB671_177:                            ;   in Loop: Header=BB671_15 Depth=1
	s_or_b64 exec, exec, s[4:5]
	v_cmp_lt_u32_e32 vcc, s15, v28
	v_mov_b32_e32 v35, 0
	v_mov_b32_e32 v36, 0
	s_and_saveexec_b64 s[4:5], vcc
	s_cbranch_execz .LBB671_183
; %bb.178:                              ;   in Loop: Header=BB671_15 Depth=1
	v_lshrrev_b32_e32 v30, 24, v28
	v_cmp_ne_u32_e32 vcc, s13, v30
	v_bfrev_b32_e32 v36, 1
	s_and_saveexec_b64 s[6:7], vcc
	s_cbranch_execz .LBB671_182
; %bb.179:                              ;   in Loop: Header=BB671_15 Depth=1
	v_bfe_u32 v28, v28, 24, 7
	v_cmp_ne_u32_e32 vcc, s14, v28
	v_mov_b32_e32 v36, 0x7f800001
	s_and_saveexec_b64 s[10:11], vcc
	s_cbranch_execz .LBB671_181
; %bb.180:                              ;   in Loop: Header=BB671_15 Depth=1
	v_and_b32_e32 v38, 7, v30
	v_ffbh_u32_e32 v36, v38
	v_min_u32_e32 v40, 32, v36
	v_subrev_u32_e32 v36, 28, v40
	v_lshlrev_b64 v[36:37], v36, v[30:31]
	v_lshrrev_b32_e32 v39, 3, v28
	v_sub_u32_e32 v37, 29, v40
	v_and_b32_e32 v36, 7, v36
	v_cmp_gt_u32_e32 vcc, 8, v28
	v_cndmask_b32_e32 v28, v39, v37, vcc
	v_cndmask_b32_e32 v36, v38, v36, vcc
	v_lshlrev_b32_e32 v30, 24, v30
	v_lshlrev_b32_e32 v36, 20, v36
	v_and_b32_e32 v30, 0x80000000, v30
	v_lshl_add_u32 v28, v28, 23, v33
	v_or3_b32 v36, v30, v28, v36
.LBB671_181:                            ;   in Loop: Header=BB671_15 Depth=1
	s_or_b64 exec, exec, s[10:11]
.LBB671_182:                            ;   in Loop: Header=BB671_15 Depth=1
	s_or_b64 exec, exec, s[6:7]
.LBB671_183:                            ;   in Loop: Header=BB671_15 Depth=1
	s_or_b64 exec, exec, s[4:5]
	s_waitcnt vmcnt(0)
	v_cmp_ne_u16_sdwa s[6:7], v26, v29 src0_sel:BYTE_0 src1_sel:DWORD
	s_and_saveexec_b64 s[4:5], s[6:7]
	s_cbranch_execz .LBB671_189
; %bb.184:                              ;   in Loop: Header=BB671_15 Depth=1
	v_cmp_ne_u16_sdwa s[10:11], v26, s13 src0_sel:BYTE_0 src1_sel:DWORD
	v_bfrev_b32_e32 v35, 1
	s_and_saveexec_b64 s[6:7], s[10:11]
	s_cbranch_execz .LBB671_188
; %bb.185:                              ;   in Loop: Header=BB671_15 Depth=1
	v_and_b32_e32 v28, 0x7f, v26
	v_cmp_ne_u32_e32 vcc, s14, v28
	v_mov_b32_e32 v35, 0x7f800001
	s_and_saveexec_b64 s[10:11], vcc
	s_cbranch_execz .LBB671_187
; %bb.186:                              ;   in Loop: Header=BB671_15 Depth=1
	v_and_b32_e32 v30, 7, v26
	v_ffbh_u32_e32 v37, v30
	v_min_u32_e32 v37, 32, v37
	v_subrev_u32_e32 v38, 28, v37
	v_lshlrev_b64 v[38:39], v38, v[26:27]
	v_lshrrev_b32_e32 v35, 3, v28
	v_sub_u32_e32 v37, 29, v37
	v_and_b32_e32 v38, 7, v38
	v_cmp_gt_u32_e32 vcc, 8, v28
	v_cndmask_b32_e32 v28, v35, v37, vcc
	v_cndmask_b32_e32 v30, v30, v38, vcc
	v_lshlrev_b32_e32 v35, 24, v26
	v_lshlrev_b32_e32 v30, 20, v30
	v_and_b32_e32 v35, 0x80000000, v35
	v_lshl_add_u32 v28, v28, 23, v33
	v_or3_b32 v35, v35, v28, v30
.LBB671_187:                            ;   in Loop: Header=BB671_15 Depth=1
	s_or_b64 exec, exec, s[10:11]
.LBB671_188:                            ;   in Loop: Header=BB671_15 Depth=1
	s_or_b64 exec, exec, s[6:7]
.LBB671_189:                            ;   in Loop: Header=BB671_15 Depth=1
	s_or_b64 exec, exec, s[4:5]
	v_lshrrev_b16_e32 v28, 8, v26
	v_cmp_ne_u16_e32 vcc, 0, v28
	v_mov_b32_e32 v30, 0
	v_mov_b32_e32 v37, 0
	s_and_saveexec_b64 s[4:5], vcc
	s_cbranch_execz .LBB671_195
; %bb.190:                              ;   in Loop: Header=BB671_15 Depth=1
	v_cmp_ne_u16_e32 vcc, s13, v28
	v_bfrev_b32_e32 v37, 1
	s_and_saveexec_b64 s[6:7], vcc
	s_cbranch_execz .LBB671_194
; %bb.191:                              ;   in Loop: Header=BB671_15 Depth=1
	v_and_b32_e32 v38, 0x7f, v28
	v_cmp_ne_u32_e32 vcc, s14, v38
	v_mov_b32_e32 v37, 0x7f800001
	s_and_saveexec_b64 s[10:11], vcc
	s_cbranch_execz .LBB671_193
; %bb.192:                              ;   in Loop: Header=BB671_15 Depth=1
	v_and_b32_e32 v37, 7, v28
	v_ffbh_u32_e32 v40, v37
	v_min_u32_e32 v42, 32, v40
	v_subrev_u32_e32 v40, 28, v42
	v_lshlrev_b64 v[40:41], v40, v[28:29]
	v_lshrrev_b32_e32 v39, 3, v38
	v_sub_u32_e32 v28, 29, v42
	v_and_b32_e32 v40, 7, v40
	v_cmp_gt_u32_e32 vcc, 8, v38
	v_cndmask_b32_e32 v28, v39, v28, vcc
	v_cndmask_b32_e32 v37, v37, v40, vcc
	v_lshlrev_b32_e32 v38, 16, v26
	v_lshlrev_b32_e32 v37, 20, v37
	v_and_b32_e32 v38, 0x80000000, v38
	v_lshl_add_u32 v28, v28, 23, v33
	v_or3_b32 v37, v38, v28, v37
.LBB671_193:                            ;   in Loop: Header=BB671_15 Depth=1
	s_or_b64 exec, exec, s[10:11]
.LBB671_194:                            ;   in Loop: Header=BB671_15 Depth=1
	s_or_b64 exec, exec, s[6:7]
.LBB671_195:                            ;   in Loop: Header=BB671_15 Depth=1
	s_or_b64 exec, exec, s[4:5]
	v_lshrrev_b32_e32 v28, 16, v26
	v_cmp_ne_u16_sdwa s[6:7], v28, v29 src0_sel:BYTE_0 src1_sel:DWORD
	s_and_saveexec_b64 s[4:5], s[6:7]
	s_cbranch_execz .LBB671_201
; %bb.196:                              ;   in Loop: Header=BB671_15 Depth=1
	v_cmp_ne_u16_sdwa s[10:11], v28, s13 src0_sel:BYTE_0 src1_sel:DWORD
	v_bfrev_b32_e32 v30, 1
	s_and_saveexec_b64 s[6:7], s[10:11]
	s_cbranch_execz .LBB671_200
; %bb.197:                              ;   in Loop: Header=BB671_15 Depth=1
	v_bfe_u32 v38, v26, 16, 7
	v_cmp_ne_u32_e32 vcc, s14, v38
	v_mov_b32_e32 v30, 0x7f800001
	s_and_saveexec_b64 s[10:11], vcc
	s_cbranch_execz .LBB671_199
; %bb.198:                              ;   in Loop: Header=BB671_15 Depth=1
	v_and_b32_e32 v30, 7, v28
	v_ffbh_u32_e32 v40, v30
	v_min_u32_e32 v42, 32, v40
	v_subrev_u32_e32 v40, 28, v42
	v_lshlrev_b64 v[40:41], v40, v[28:29]
	v_lshrrev_b32_e32 v39, 3, v38
	v_sub_u32_e32 v41, 29, v42
	v_and_b32_e32 v40, 7, v40
	v_cmp_gt_u32_e32 vcc, 8, v38
	v_cndmask_b32_e32 v38, v39, v41, vcc
	v_cndmask_b32_e32 v30, v30, v40, vcc
	v_lshlrev_b32_e32 v28, 24, v28
	v_lshlrev_b32_e32 v30, 20, v30
	v_and_b32_e32 v28, 0x80000000, v28
	v_lshl_add_u32 v38, v38, 23, v33
	v_or3_b32 v30, v28, v38, v30
.LBB671_199:                            ;   in Loop: Header=BB671_15 Depth=1
	s_or_b64 exec, exec, s[10:11]
.LBB671_200:                            ;   in Loop: Header=BB671_15 Depth=1
	s_or_b64 exec, exec, s[6:7]
.LBB671_201:                            ;   in Loop: Header=BB671_15 Depth=1
	s_or_b64 exec, exec, s[4:5]
	v_cmp_lt_u32_e32 vcc, s15, v26
	v_mov_b32_e32 v38, 0
	s_and_saveexec_b64 s[4:5], vcc
	s_cbranch_execz .LBB671_14
; %bb.202:                              ;   in Loop: Header=BB671_15 Depth=1
	v_lshrrev_b32_e32 v28, 24, v26
	v_cmp_ne_u32_e32 vcc, s13, v28
	v_bfrev_b32_e32 v38, 1
	s_and_saveexec_b64 s[6:7], vcc
	s_cbranch_execz .LBB671_13
; %bb.203:                              ;   in Loop: Header=BB671_15 Depth=1
	v_bfe_u32 v26, v26, 24, 7
	v_cmp_ne_u32_e32 vcc, s14, v26
	v_mov_b32_e32 v38, 0x7f800001
	s_and_saveexec_b64 s[10:11], vcc
	s_cbranch_execz .LBB671_12
; %bb.204:                              ;   in Loop: Header=BB671_15 Depth=1
	v_and_b32_e32 v40, 7, v28
	v_ffbh_u32_e32 v38, v40
	v_min_u32_e32 v42, 32, v38
	v_subrev_u32_e32 v38, 28, v42
	v_lshlrev_b64 v[38:39], v38, v[28:29]
	v_lshrrev_b32_e32 v41, 3, v26
	v_sub_u32_e32 v39, 29, v42
	v_and_b32_e32 v38, 7, v38
	v_cmp_gt_u32_e32 vcc, 8, v26
	v_cndmask_b32_e32 v26, v41, v39, vcc
	v_cndmask_b32_e32 v38, v40, v38, vcc
	v_lshlrev_b32_e32 v28, 24, v28
	v_lshlrev_b32_e32 v38, 20, v38
	v_and_b32_e32 v28, 0x80000000, v28
	v_lshl_add_u32 v26, v26, 23, v33
	v_or3_b32 v38, v28, v26, v38
	s_branch .LBB671_12
.LBB671_205:
	buffer_load_dword v13, off, s[0:3], 0 offset:256
	buffer_load_dword v14, off, s[0:3], 0 offset:260
	;; [unrolled: 1-line block ×16, first 2 shown]
	v_and_b32_e32 v12, 0xc0, v0
	v_add_u32_e32 v12, s20, v12
	v_lshl_or_b32 v12, v54, 2, v12
	v_or_b32_e32 v23, 1, v12
	v_mov_b32_e32 v19, 0xff7fffff
	v_or_b32_e32 v24, 2, v12
	v_or_b32_e32 v25, 3, v12
	v_cmp_gt_i32_e64 s[26:27], s33, v12
	v_cmp_gt_i32_e64 s[28:29], s33, v23
	s_mov_b32 s52, 0xff7fffff
	v_or_b32_e32 v26, 16, v12
	v_or_b32_e32 v27, 17, v12
	;; [unrolled: 1-line block ×12, first 2 shown]
	v_cmp_gt_i32_e64 s[30:31], s33, v24
	v_cmp_gt_i32_e64 s[34:35], s33, v25
	v_mbcnt_lo_u32_b32 v20, -1, 0
	v_cmp_gt_i32_e64 s[36:37], s33, v26
	v_cmp_gt_i32_e64 s[38:39], s33, v27
	v_mbcnt_hi_u32_b32 v20, -1, v20
	v_cmp_gt_i32_e64 s[20:21], s33, v28
	v_cmp_gt_i32_e64 s[22:23], s33, v29
	v_and_b32_e32 v21, 64, v20
	v_cmp_gt_i32_e64 s[16:17], s33, v30
	v_cmp_gt_i32_e64 s[18:19], s33, v31
	v_xor_b32_e32 v22, 32, v20
	v_add_u32_e32 v21, 64, v21
	v_cmp_gt_i32_e64 s[12:13], s33, v32
	v_cmp_gt_i32_e64 s[14:15], s33, v33
	v_cmp_lt_i32_e32 vcc, v22, v21
	v_cmp_gt_i32_e64 s[6:7], s33, v34
	v_cmp_gt_i32_e64 s[10:11], s33, v35
	v_cndmask_b32_e32 v22, v20, v22, vcc
	v_cmp_gt_i32_e32 vcc, s33, v36
	v_cmp_gt_i32_e64 s[4:5], s33, v37
	v_lshlrev_b32_e32 v22, 2, v22
	s_waitcnt vmcnt(15)
	v_cndmask_b32_e64 v12, v19, v13, s[26:27]
	s_waitcnt vmcnt(14)
	v_cndmask_b32_e64 v23, v19, v14, s[28:29]
	;; [unrolled: 2-line block ×4, first 2 shown]
	v_max3_f32 v12, v12, s52, v23
	s_waitcnt vmcnt(11)
	v_cndmask_b32_e64 v26, v19, v17, s[36:37]
	s_waitcnt vmcnt(10)
	v_cndmask_b32_e64 v27, v19, v18, s[38:39]
	v_max3_f32 v12, v12, v24, v25
	s_waitcnt vmcnt(9)
	v_cndmask_b32_e64 v28, v19, v11, s[20:21]
	s_waitcnt vmcnt(8)
	v_cndmask_b32_e64 v29, v19, v10, s[22:23]
	;; [unrolled: 5-line block ×5, first 2 shown]
	v_max3_f32 v12, v12, v32, v33
	s_waitcnt vmcnt(1)
	v_cndmask_b32_e32 v36, v19, v3, vcc
	s_waitcnt vmcnt(0)
	v_cndmask_b32_e64 v19, v19, v2, s[4:5]
	v_max3_f32 v12, v12, v34, v35
	v_max3_f32 v12, v12, v36, v19
	ds_bpermute_b32 v19, v22, v12
	v_xor_b32_e32 v23, 16, v20
	v_cmp_lt_i32_e64 s[40:41], v23, v21
	v_cndmask_b32_e64 v20, v20, v23, s[40:41]
	v_lshlrev_b32_e32 v20, 2, v20
	s_waitcnt lgkmcnt(0)
	v_max_f32_e32 v19, v19, v19
	v_max_f32_e32 v12, v12, v19
	ds_bpermute_b32 v19, v20, v12
	s_waitcnt lgkmcnt(0)
	v_max_f32_e32 v19, v19, v19
	v_max_f32_e32 v12, v12, v19
	v_sub_f32_e32 v13, v13, v12
	v_sub_f32_e32 v14, v14, v12
	;; [unrolled: 1-line block ×3, first 2 shown]
	v_mul_f32_e32 v13, 0x3fb8aa3b, v13
	v_mul_f32_e32 v14, 0x3fb8aa3b, v14
	;; [unrolled: 1-line block ×3, first 2 shown]
	v_exp_f32_e32 v13, v13
	v_exp_f32_e32 v14, v14
	;; [unrolled: 1-line block ×3, first 2 shown]
	v_sub_f32_e32 v16, v16, v12
	v_cndmask_b32_e64 v13, 0, v13, s[26:27]
	v_mul_f32_e32 v16, 0x3fb8aa3b, v16
	v_cndmask_b32_e64 v14, 0, v14, s[28:29]
	v_cndmask_b32_e64 v15, 0, v15, s[30:31]
	v_add_f32_e32 v19, 0, v13
	buffer_store_dword v13, off, s[0:3], 0 offset:256
	buffer_store_dword v14, off, s[0:3], 0 offset:260
	;; [unrolled: 1-line block ×3, first 2 shown]
	v_sub_f32_e32 v13, v17, v12
	v_exp_f32_e32 v16, v16
	v_add_f32_e32 v19, v19, v14
	v_mul_f32_e32 v13, 0x3fb8aa3b, v13
	v_sub_f32_e32 v14, v18, v12
	v_exp_f32_e32 v13, v13
	v_mul_f32_e32 v14, 0x3fb8aa3b, v14
	v_sub_f32_e32 v11, v11, v12
	v_exp_f32_e32 v14, v14
	;; [unrolled: 3-line block ×3, first 2 shown]
	v_mul_f32_e32 v10, 0x3fb8aa3b, v10
	v_sub_f32_e32 v9, v9, v12
	v_cndmask_b32_e64 v16, 0, v16, s[34:35]
	v_add_f32_e32 v19, v19, v15
	v_exp_f32_e32 v10, v10
	v_mul_f32_e32 v9, 0x3fb8aa3b, v9
	v_sub_f32_e32 v8, v8, v12
	v_add_f32_e32 v19, v19, v16
	v_cndmask_b32_e64 v13, 0, v13, s[36:37]
	v_exp_f32_e32 v9, v9
	v_mul_f32_e32 v8, 0x3fb8aa3b, v8
	v_sub_f32_e32 v7, v7, v12
	v_add_f32_e32 v15, v19, v13
	v_cndmask_b32_e64 v14, 0, v14, s[38:39]
	;; [unrolled: 5-line block ×5, first 2 shown]
	v_exp_f32_e32 v5, v5
	v_mul_f32_e32 v4, 0x3fb8aa3b, v4
	v_sub_f32_e32 v3, v3, v12
	buffer_store_dword v16, off, s[0:3], 0 offset:268
	buffer_store_dword v13, off, s[0:3], 0 offset:272
	;; [unrolled: 1-line block ×5, first 2 shown]
	v_add_f32_e32 v10, v15, v9
	v_cndmask_b32_e64 v8, 0, v8, s[18:19]
	v_exp_f32_e32 v4, v4
	v_mul_f32_e32 v3, 0x3fb8aa3b, v3
	v_sub_f32_e32 v2, v2, v12
	v_add_f32_e32 v10, v10, v8
	v_cndmask_b32_e64 v7, 0, v7, s[12:13]
	v_exp_f32_e32 v3, v3
	v_mul_f32_e32 v2, 0x3fb8aa3b, v2
	v_add_f32_e32 v10, v10, v7
	v_cndmask_b32_e64 v6, 0, v6, s[14:15]
	v_exp_f32_e32 v2, v2
	v_add_f32_e32 v10, v10, v6
	v_cndmask_b32_e64 v5, 0, v5, s[6:7]
	buffer_store_dword v9, off, s[0:3], 0 offset:288
	buffer_store_dword v8, off, s[0:3], 0 offset:292
	;; [unrolled: 1-line block ×4, first 2 shown]
	v_add_f32_e32 v6, v10, v5
	v_cndmask_b32_e64 v4, 0, v4, s[10:11]
	v_add_f32_e32 v6, v6, v4
	v_cndmask_b32_e32 v3, 0, v3, vcc
	v_add_f32_e32 v6, v6, v3
	v_cndmask_b32_e64 v2, 0, v2, s[4:5]
	v_add_f32_e32 v6, v6, v2
	ds_bpermute_b32 v7, v22, v6
	buffer_store_dword v5, off, s[0:3], 0 offset:304
	buffer_store_dword v4, off, s[0:3], 0 offset:308
	;; [unrolled: 1-line block ×4, first 2 shown]
	v_cmp_gt_u32_e32 vcc, 16, v57
	s_waitcnt lgkmcnt(0)
	s_barrier
	v_add_f32_e32 v2, v6, v7
	ds_bpermute_b32 v3, v20, v2
	s_waitcnt lgkmcnt(0)
	s_and_saveexec_b64 s[4:5], vcc
	s_cbranch_execz .LBB671_207
; %bb.206:
	v_add_f32_e32 v2, v2, v3
	v_lshlrev_b32_e32 v3, 2, v66
	ds_write2st64_b32 v3, v12, v2 offset1:1
.LBB671_207:
	s_or_b64 exec, exec, s[4:5]
	v_lshlrev_b32_e32 v2, 2, v55
	s_waitcnt lgkmcnt(0)
	s_barrier
	ds_read2_b32 v[12:13], v2 offset1:16
	ds_read2_b32 v[14:15], v2 offset0:32 offset1:48
	ds_read2_b32 v[6:7], v2 offset0:64 offset1:80
	;; [unrolled: 1-line block ×3, first 2 shown]
	s_waitcnt lgkmcnt(0)
	s_barrier
	buffer_load_dword v20, off, s[0:3], 0 offset:256
	buffer_load_dword v21, off, s[0:3], 0 offset:260
	;; [unrolled: 1-line block ×16, first 2 shown]
	v_lshlrev_b32_e32 v19, 3, v54
	v_lshlrev_b32_e32 v18, 5, v55
	;; [unrolled: 1-line block ×3, first 2 shown]
	v_or3_b32 v39, v28, v18, v19
	v_max3_f32 v19, v12, s52, v13
	v_max3_f32 v19, v19, v14, v15
	v_sub_f32_e32 v12, v12, v19
	v_sub_f32_e32 v13, v13, v19
	v_mul_f32_e32 v12, 0x3fb8aa3b, v12
	v_sub_f32_e32 v14, v14, v19
	v_mul_f32_e32 v13, 0x3fb8aa3b, v13
	v_exp_f32_e32 v12, v12
	v_sub_f32_e32 v15, v15, v19
	v_mul_f32_e32 v14, 0x3fb8aa3b, v14
	v_exp_f32_e32 v13, v13
	v_mul_f32_e32 v15, 0x3fb8aa3b, v15
	v_exp_f32_e32 v14, v14
	v_exp_f32_e32 v15, v15
	v_fma_f32 v6, v12, v6, 0
	v_fmac_f32_e32 v6, v13, v7
	v_fmac_f32_e32 v6, v14, v10
	;; [unrolled: 1-line block ×3, first 2 shown]
	v_cmp_eq_u32_e32 vcc, 1, v65
	v_add_f32_e32 v10, 0x358637bd, v6
	v_cndmask_b32_e32 v12, v12, v13, vcc
	v_cmp_eq_u32_e32 vcc, 2, v65
	v_div_scale_f32 v11, s[4:5], v10, v10, 1.0
	v_cndmask_b32_e32 v7, v12, v14, vcc
	v_rcp_f32_e32 v12, v11
	v_cmp_eq_u32_e32 vcc, 3, v65
	v_cndmask_b32_e32 v7, v7, v15, vcc
	v_div_scale_f32 v13, vcc, 1.0, v10, 1.0
	v_fma_f32 v14, -v11, v12, 1.0
	v_fmac_f32_e32 v12, v14, v12
	v_mul_f32_e32 v14, v13, v12
	v_fma_f32 v15, -v11, v14, v13
	v_fmac_f32_e32 v14, v15, v12
	v_fma_f32 v11, -v11, v14, v13
	v_div_fmas_f32 v11, v11, v12, v14
	v_div_fixup_f32 v10, v11, v10, 1.0
	v_mul_f32_e32 v10, v7, v10
	s_lshl_b32 s18, s51, 1
	v_cmp_gt_u32_e32 vcc, 2, v0
	s_waitcnt vmcnt(14)
	v_pk_mul_f32 v[14:15], v[10:11], v[20:21] op_sel_hi:[0,1]
	v_cvt_f16_f32_e32 v7, v14
	s_waitcnt vmcnt(12)
	v_pk_mul_f32 v[12:13], v[10:11], v[22:23] op_sel_hi:[0,1]
	buffer_store_dword v14, off, s[0:3], 0 offset:256
	buffer_store_dword v15, off, s[0:3], 0 offset:260
	;; [unrolled: 1-line block ×3, first 2 shown]
	s_waitcnt vmcnt(13)
	v_pk_mul_f32 v[20:21], v[10:11], v[24:25] op_sel_hi:[0,1]
	v_cvt_f16_f32_e32 v14, v12
	s_waitcnt vmcnt(11)
	v_pk_mul_f32 v[22:23], v[10:11], v[26:27] op_sel_hi:[0,1]
	v_cvt_f16_f32_e32 v11, v15
	v_cvt_f16_f32_e32 v15, v13
	buffer_store_dword v13, off, s[0:3], 0 offset:268
	buffer_store_dword v22, off, s[0:3], 0 offset:272
	;; [unrolled: 1-line block ×3, first 2 shown]
	v_pack_b32_f16 v12, v7, v11
	v_cvt_f16_f32_e32 v11, v23
	v_pack_b32_f16 v13, v14, v15
	v_cvt_f16_f32_e32 v7, v22
	v_cvt_f16_f32_e32 v15, v20
	;; [unrolled: 1-line block ×3, first 2 shown]
	s_waitcnt vmcnt(12)
	v_pk_mul_f32 v[4:5], v[10:11], v[4:5] op_sel_hi:[0,1]
	v_pack_b32_f16 v14, v7, v11
	s_waitcnt vmcnt(10)
	v_pk_mul_f32 v[2:3], v[10:11], v[2:3] op_sel_hi:[0,1]
	v_pack_b32_f16 v15, v15, v22
	v_cvt_f16_f32_e32 v11, v5
	buffer_store_dword v20, off, s[0:3], 0 offset:280
	buffer_store_dword v21, off, s[0:3], 0 offset:284
	ds_write2st64_b64 v39, v[12:13], v[14:15] offset1:1
	buffer_store_dword v2, off, s[0:3], 0 offset:288
	buffer_store_dword v3, off, s[0:3], 0 offset:292
	v_cvt_f16_f32_e32 v2, v2
	v_cvt_f16_f32_e32 v3, v3
	;; [unrolled: 1-line block ×3, first 2 shown]
	buffer_store_dword v4, off, s[0:3], 0 offset:296
	buffer_store_dword v5, off, s[0:3], 0 offset:300
	s_waitcnt vmcnt(12)
	v_pk_mul_f32 v[4:5], v[10:11], v[16:17] op_sel_hi:[0,1]
	v_pk_mul_f32 v[8:9], v[10:11], v[8:9] op_sel_hi:[0,1]
	v_pack_b32_f16 v2, v2, v3
	v_pack_b32_f16 v3, v7, v11
	buffer_store_dword v8, off, s[0:3], 0 offset:304
	buffer_store_dword v9, off, s[0:3], 0 offset:308
	v_cvt_f16_f32_e32 v7, v8
	v_cvt_f16_f32_e32 v8, v9
	;; [unrolled: 1-line block ×4, first 2 shown]
	buffer_store_dword v4, off, s[0:3], 0 offset:312
	buffer_store_dword v5, off, s[0:3], 0 offset:316
	v_pack_b32_f16 v4, v7, v8
	v_pack_b32_f16 v5, v9, v10
	ds_write2st64_b64 v39, v[2:3], v[4:5] offset0:2 offset1:3
	s_and_saveexec_b64 s[4:5], vcc
	s_cbranch_execz .LBB671_209
; %bb.208:
	v_or_b32_e32 v2, s25, v0
	v_mov_b32_e32 v3, 0
	v_mov_b32_e32 v4, s18
	v_mad_u64_u32 v[4:5], s[6:7], s8, v4, v[2:3]
	v_mov_b32_e32 v2, s24
	s_mul_i32 s9, s9, s18
	v_mad_u64_u32 v[2:3], s[6:7], v4, s50, v[2:3]
	v_add_u32_e32 v5, s9, v5
	v_mov_b32_e32 v4, v3
	v_mad_u64_u32 v[4:5], s[6:7], v5, s50, v[4:5]
	v_mov_b32_e32 v3, v4
	v_lshlrev_b64 v[2:3], 2, v[2:3]
	v_mov_b32_e32 v5, s47
	v_add_co_u32_e32 v4, vcc, s46, v2
	v_addc_co_u32_e32 v5, vcc, v5, v3, vcc
	global_store_dword v[4:5], v19, off
	v_mov_b32_e32 v4, s45
	v_add_co_u32_e32 v2, vcc, s44, v2
	v_addc_co_u32_e32 v3, vcc, v4, v3, vcc
	global_store_dword v[2:3], v6, off
.LBB671_209:
	s_or_b64 exec, exec, s[4:5]
	v_lshl_or_b32 v30, v54, 9, v18
	s_waitcnt lgkmcnt(0)
	s_barrier
	s_load_dword s4, s[42:43], 0x0
	ds_read_b128 v[2:5], v30
	ds_read_b128 v[6:9], v30 offset:16
	ds_read_b128 v[10:13], v30 offset:2048
	;; [unrolled: 1-line block ×7, first 2 shown]
	v_mov_b32_e32 v35, 0x80
	v_mov_b32_e32 v41, 0x140
	s_mov_b64 s[10:11], -1
	s_waitcnt lgkmcnt(0)
	s_mov_b32 s5, s4
	s_mov_b32 s6, s4
	;; [unrolled: 1-line block ×3, first 2 shown]
	s_movk_i32 s9, 0x80
	s_movk_i32 s19, 0x7f
	s_mov_b32 s20, 0xffffff
	v_mov_b32_e32 v43, 0
	v_bfrev_b32_e32 v45, 60
	s_branch .LBB671_213
.LBB671_210:                            ;   in Loop: Header=BB671_213 Depth=1
	s_or_b64 exec, exec, s[16:17]
.LBB671_211:                            ;   in Loop: Header=BB671_213 Depth=1
	s_or_b64 exec, exec, s[14:15]
.LBB671_212:                            ;   in Loop: Header=BB671_213 Depth=1
	s_or_b64 exec, exec, s[12:13]
	v_cvt_pkrtz_f16_f32 v46, v46, v47
	v_cvt_pkrtz_f16_f32 v47, v44, v49
	s_xor_b64 s[12:13], s[10:11], -1
	s_mov_b64 s[10:11], 0
	v_mov_b32_e32 v64, v59
	v_mfma_f32_16x16x16f16 v[66:69], v[46:47], v[30:31], v[34:37]
	v_mov_b32_e32 v63, v60
	v_mov_b32_e32 v62, v61
	s_and_b64 vcc, exec, s[12:13]
	s_nop 3
	v_cvt_pkrtz_f16_f32 v36, v48, v50
	v_cvt_pkrtz_f16_f32 v37, v42, v51
	v_mov_b32_e32 v35, v58
	s_nop 0
	v_mfma_f32_16x16x16f16 v[46:49], v[36:37], v[32:33], v[66:69]
	s_nop 7
	s_nop 2
	v_pk_mul_f32 v[46:47], v[46:47], s[4:5]
	v_pk_mul_f32 v[36:37], v[48:49], s[6:7]
	v_cvt_f16_f32_e32 v34, v46
	v_cvt_f16_f32_e32 v38, v47
	;; [unrolled: 1-line block ×4, first 2 shown]
	v_pack_b32_f16 v34, v34, v38
	v_pack_b32_f16 v36, v36, v37
	buffer_store_dword v34, v41, s[0:3], 0 offen
	buffer_store_dword v36, v41, s[0:3], 0 offen offset:4
	v_mov_b32_e32 v41, 0x148
	s_cbranch_vccnz .LBB671_595
.LBB671_213:                            ; =>This Inner Loop Header: Depth=1
	buffer_load_dword v36, v35, s[0:3], 0 offen
	buffer_load_dword v34, v35, s[0:3], 0 offen offset:4
	buffer_load_dword v40, v35, s[0:3], 0 offen offset:8
	;; [unrolled: 1-line block ×3, first 2 shown]
	v_mov_b32_e32 v35, 0
	s_waitcnt vmcnt(3)
	v_cmp_ne_u16_sdwa s[14:15], v36, v43 src0_sel:BYTE_0 src1_sel:DWORD
	s_and_saveexec_b64 s[12:13], s[14:15]
	s_cbranch_execz .LBB671_219
; %bb.214:                              ;   in Loop: Header=BB671_213 Depth=1
	v_cmp_ne_u16_sdwa s[16:17], v36, s9 src0_sel:BYTE_0 src1_sel:DWORD
	v_bfrev_b32_e32 v35, 1
	s_and_saveexec_b64 s[14:15], s[16:17]
	s_cbranch_execz .LBB671_218
; %bb.215:                              ;   in Loop: Header=BB671_213 Depth=1
	v_and_b32_e32 v37, 0x7f, v36
	v_cmp_ne_u32_e32 vcc, s19, v37
	v_mov_b32_e32 v35, 0x7f800001
	s_and_saveexec_b64 s[16:17], vcc
	s_cbranch_execz .LBB671_217
; %bb.216:                              ;   in Loop: Header=BB671_213 Depth=1
	v_and_b32_e32 v35, 7, v36
	v_ffbh_u32_e32 v44, v35
	v_min_u32_e32 v44, 32, v44
	v_subrev_u32_e32 v46, 28, v44
	v_lshlrev_b64 v[46:47], v46, v[36:37]
	v_lshrrev_b32_e32 v42, 3, v37
	v_sub_u32_e32 v44, 29, v44
	v_and_b32_e32 v46, 7, v46
	v_cmp_gt_u32_e32 vcc, 8, v37
	v_cndmask_b32_e32 v37, v42, v44, vcc
	v_cndmask_b32_e32 v35, v35, v46, vcc
	v_lshlrev_b32_e32 v42, 24, v36
	v_lshlrev_b32_e32 v35, 20, v35
	v_and_b32_e32 v42, 0x80000000, v42
	v_lshl_add_u32 v37, v37, 23, v45
	v_or3_b32 v35, v42, v37, v35
.LBB671_217:                            ;   in Loop: Header=BB671_213 Depth=1
	s_or_b64 exec, exec, s[16:17]
.LBB671_218:                            ;   in Loop: Header=BB671_213 Depth=1
	s_or_b64 exec, exec, s[14:15]
.LBB671_219:                            ;   in Loop: Header=BB671_213 Depth=1
	s_or_b64 exec, exec, s[12:13]
	v_lshrrev_b16_e32 v42, 8, v36
	v_cmp_ne_u16_e32 vcc, 0, v42
	v_mov_b32_e32 v37, 0
	s_and_saveexec_b64 s[12:13], vcc
	s_cbranch_execz .LBB671_225
; %bb.220:                              ;   in Loop: Header=BB671_213 Depth=1
	v_cmp_ne_u16_e32 vcc, s9, v42
	v_bfrev_b32_e32 v37, 1
	s_and_saveexec_b64 s[14:15], vcc
	s_cbranch_execz .LBB671_224
; %bb.221:                              ;   in Loop: Header=BB671_213 Depth=1
	v_and_b32_e32 v44, 0x7f, v42
	v_cmp_ne_u32_e32 vcc, s19, v44
	v_mov_b32_e32 v37, 0x7f800001
	s_and_saveexec_b64 s[16:17], vcc
	s_cbranch_execz .LBB671_223
; %bb.222:                              ;   in Loop: Header=BB671_213 Depth=1
	v_and_b32_e32 v37, 7, v42
	v_ffbh_u32_e32 v46, v37
	v_min_u32_e32 v49, 32, v46
	v_subrev_u32_e32 v46, 28, v49
	v_lshlrev_b64 v[46:47], v46, v[42:43]
	v_lshrrev_b32_e32 v48, 3, v44
	v_sub_u32_e32 v42, 29, v49
	v_and_b32_e32 v46, 7, v46
	v_cmp_gt_u32_e32 vcc, 8, v44
	v_cndmask_b32_e32 v42, v48, v42, vcc
	v_cndmask_b32_e32 v37, v37, v46, vcc
	v_lshlrev_b32_e32 v44, 16, v36
	v_lshlrev_b32_e32 v37, 20, v37
	v_and_b32_e32 v44, 0x80000000, v44
	v_lshl_add_u32 v42, v42, 23, v45
	v_or3_b32 v37, v44, v42, v37
.LBB671_223:                            ;   in Loop: Header=BB671_213 Depth=1
	s_or_b64 exec, exec, s[16:17]
.LBB671_224:                            ;   in Loop: Header=BB671_213 Depth=1
	s_or_b64 exec, exec, s[14:15]
.LBB671_225:                            ;   in Loop: Header=BB671_213 Depth=1
	s_or_b64 exec, exec, s[12:13]
	v_lshrrev_b32_e32 v42, 16, v36
	v_cmp_ne_u16_sdwa s[14:15], v42, v43 src0_sel:BYTE_0 src1_sel:DWORD
	v_mov_b32_e32 v46, 0
	v_mov_b32_e32 v44, 0
	s_and_saveexec_b64 s[12:13], s[14:15]
	s_cbranch_execz .LBB671_231
; %bb.226:                              ;   in Loop: Header=BB671_213 Depth=1
	v_cmp_ne_u16_sdwa s[16:17], v42, s9 src0_sel:BYTE_0 src1_sel:DWORD
	v_bfrev_b32_e32 v44, 1
	s_and_saveexec_b64 s[14:15], s[16:17]
	s_cbranch_execz .LBB671_230
; %bb.227:                              ;   in Loop: Header=BB671_213 Depth=1
	v_bfe_u32 v47, v36, 16, 7
	v_cmp_ne_u32_e32 vcc, s19, v47
	v_mov_b32_e32 v44, 0x7f800001
	s_and_saveexec_b64 s[16:17], vcc
	s_cbranch_execz .LBB671_229
; %bb.228:                              ;   in Loop: Header=BB671_213 Depth=1
	v_and_b32_e32 v44, 7, v42
	v_ffbh_u32_e32 v48, v44
	v_min_u32_e32 v51, 32, v48
	v_subrev_u32_e32 v48, 28, v51
	v_lshlrev_b64 v[48:49], v48, v[42:43]
	v_lshrrev_b32_e32 v50, 3, v47
	v_sub_u32_e32 v49, 29, v51
	v_and_b32_e32 v48, 7, v48
	v_cmp_gt_u32_e32 vcc, 8, v47
	v_cndmask_b32_e32 v47, v50, v49, vcc
	v_cndmask_b32_e32 v44, v44, v48, vcc
	v_lshlrev_b32_e32 v42, 24, v42
	v_lshlrev_b32_e32 v44, 20, v44
	v_and_b32_e32 v42, 0x80000000, v42
	v_lshl_add_u32 v47, v47, 23, v45
	v_or3_b32 v44, v42, v47, v44
.LBB671_229:                            ;   in Loop: Header=BB671_213 Depth=1
	s_or_b64 exec, exec, s[16:17]
.LBB671_230:                            ;   in Loop: Header=BB671_213 Depth=1
	s_or_b64 exec, exec, s[14:15]
.LBB671_231:                            ;   in Loop: Header=BB671_213 Depth=1
	s_or_b64 exec, exec, s[12:13]
	v_cmp_lt_u32_e32 vcc, s20, v36
	s_and_saveexec_b64 s[12:13], vcc
	s_cbranch_execz .LBB671_237
; %bb.232:                              ;   in Loop: Header=BB671_213 Depth=1
	v_lshrrev_b32_e32 v42, 24, v36
	v_cmp_ne_u32_e32 vcc, s9, v42
	v_bfrev_b32_e32 v46, 1
	s_and_saveexec_b64 s[14:15], vcc
	s_cbranch_execz .LBB671_236
; %bb.233:                              ;   in Loop: Header=BB671_213 Depth=1
	v_bfe_u32 v36, v36, 24, 7
	v_cmp_ne_u32_e32 vcc, s19, v36
	v_mov_b32_e32 v46, 0x7f800001
	s_and_saveexec_b64 s[16:17], vcc
	s_cbranch_execz .LBB671_235
; %bb.234:                              ;   in Loop: Header=BB671_213 Depth=1
	v_and_b32_e32 v48, 7, v42
	v_ffbh_u32_e32 v46, v48
	v_min_u32_e32 v50, 32, v46
	v_subrev_u32_e32 v46, 28, v50
	v_lshlrev_b64 v[46:47], v46, v[42:43]
	v_lshrrev_b32_e32 v49, 3, v36
	v_sub_u32_e32 v47, 29, v50
	v_and_b32_e32 v46, 7, v46
	v_cmp_gt_u32_e32 vcc, 8, v36
	v_cndmask_b32_e32 v36, v49, v47, vcc
	v_cndmask_b32_e32 v46, v48, v46, vcc
	v_lshlrev_b32_e32 v42, 24, v42
	v_lshlrev_b32_e32 v46, 20, v46
	v_and_b32_e32 v42, 0x80000000, v42
	v_lshl_add_u32 v36, v36, 23, v45
	v_or3_b32 v46, v42, v36, v46
.LBB671_235:                            ;   in Loop: Header=BB671_213 Depth=1
	s_or_b64 exec, exec, s[16:17]
.LBB671_236:                            ;   in Loop: Header=BB671_213 Depth=1
	s_or_b64 exec, exec, s[14:15]
.LBB671_237:                            ;   in Loop: Header=BB671_213 Depth=1
	s_or_b64 exec, exec, s[12:13]
	s_waitcnt vmcnt(2)
	v_cmp_ne_u16_sdwa s[14:15], v34, v43 src0_sel:BYTE_0 src1_sel:DWORD
	v_mov_b32_e32 v42, 0
	v_mov_b32_e32 v47, 0
	s_and_saveexec_b64 s[12:13], s[14:15]
	s_cbranch_execz .LBB671_243
; %bb.238:                              ;   in Loop: Header=BB671_213 Depth=1
	v_cmp_ne_u16_sdwa s[16:17], v34, s9 src0_sel:BYTE_0 src1_sel:DWORD
	v_bfrev_b32_e32 v47, 1
	s_and_saveexec_b64 s[14:15], s[16:17]
	s_cbranch_execz .LBB671_242
; %bb.239:                              ;   in Loop: Header=BB671_213 Depth=1
	v_and_b32_e32 v36, 0x7f, v34
	v_cmp_ne_u32_e32 vcc, s19, v36
	v_mov_b32_e32 v47, 0x7f800001
	s_and_saveexec_b64 s[16:17], vcc
	s_cbranch_execz .LBB671_241
; %bb.240:                              ;   in Loop: Header=BB671_213 Depth=1
	v_and_b32_e32 v47, 7, v34
	v_ffbh_u32_e32 v48, v47
	v_min_u32_e32 v51, 32, v48
	v_subrev_u32_e32 v48, 28, v51
	v_lshlrev_b64 v[48:49], v48, v[34:35]
	v_lshrrev_b32_e32 v50, 3, v36
	v_sub_u32_e32 v49, 29, v51
	v_and_b32_e32 v48, 7, v48
	v_cmp_gt_u32_e32 vcc, 8, v36
	v_cndmask_b32_e32 v36, v50, v49, vcc
	v_cndmask_b32_e32 v47, v47, v48, vcc
	v_lshlrev_b32_e32 v48, 24, v34
	v_lshlrev_b32_e32 v47, 20, v47
	v_and_b32_e32 v48, 0x80000000, v48
	v_lshl_add_u32 v36, v36, 23, v45
	v_or3_b32 v47, v48, v36, v47
.LBB671_241:                            ;   in Loop: Header=BB671_213 Depth=1
	s_or_b64 exec, exec, s[16:17]
.LBB671_242:                            ;   in Loop: Header=BB671_213 Depth=1
	s_or_b64 exec, exec, s[14:15]
.LBB671_243:                            ;   in Loop: Header=BB671_213 Depth=1
	s_or_b64 exec, exec, s[12:13]
	v_lshrrev_b16_e32 v36, 8, v34
	v_cmp_ne_u16_e32 vcc, 0, v36
	s_and_saveexec_b64 s[12:13], vcc
	s_cbranch_execz .LBB671_249
; %bb.244:                              ;   in Loop: Header=BB671_213 Depth=1
	v_cmp_ne_u16_e32 vcc, s9, v36
	v_bfrev_b32_e32 v42, 1
	s_and_saveexec_b64 s[14:15], vcc
	s_cbranch_execz .LBB671_248
; %bb.245:                              ;   in Loop: Header=BB671_213 Depth=1
	v_and_b32_e32 v48, 0x7f, v36
	v_cmp_ne_u32_e32 vcc, s19, v48
	v_mov_b32_e32 v42, 0x7f800001
	s_and_saveexec_b64 s[16:17], vcc
	s_cbranch_execz .LBB671_247
; %bb.246:                              ;   in Loop: Header=BB671_213 Depth=1
	v_and_b32_e32 v42, 7, v36
	v_ffbh_u32_e32 v50, v42
	v_min_u32_e32 v52, 32, v50
	v_subrev_u32_e32 v50, 28, v52
	v_lshlrev_b64 v[50:51], v50, v[36:37]
	v_lshrrev_b32_e32 v49, 3, v48
	v_sub_u32_e32 v36, 29, v52
	v_and_b32_e32 v50, 7, v50
	v_cmp_gt_u32_e32 vcc, 8, v48
	v_cndmask_b32_e32 v36, v49, v36, vcc
	v_cndmask_b32_e32 v42, v42, v50, vcc
	v_lshlrev_b32_e32 v48, 16, v34
	v_lshlrev_b32_e32 v42, 20, v42
	v_and_b32_e32 v48, 0x80000000, v48
	v_lshl_add_u32 v36, v36, 23, v45
	v_or3_b32 v42, v48, v36, v42
.LBB671_247:                            ;   in Loop: Header=BB671_213 Depth=1
	s_or_b64 exec, exec, s[16:17]
.LBB671_248:                            ;   in Loop: Header=BB671_213 Depth=1
	s_or_b64 exec, exec, s[14:15]
.LBB671_249:                            ;   in Loop: Header=BB671_213 Depth=1
	s_or_b64 exec, exec, s[12:13]
	v_lshrrev_b32_e32 v36, 16, v34
	v_cmp_ne_u16_sdwa s[14:15], v36, v43 src0_sel:BYTE_0 src1_sel:DWORD
	v_mov_b32_e32 v49, 0
	v_mov_b32_e32 v48, 0
	s_and_saveexec_b64 s[12:13], s[14:15]
	s_cbranch_execz .LBB671_255
; %bb.250:                              ;   in Loop: Header=BB671_213 Depth=1
	v_cmp_ne_u16_sdwa s[16:17], v36, s9 src0_sel:BYTE_0 src1_sel:DWORD
	v_bfrev_b32_e32 v48, 1
	s_and_saveexec_b64 s[14:15], s[16:17]
	s_cbranch_execz .LBB671_254
; %bb.251:                              ;   in Loop: Header=BB671_213 Depth=1
	v_bfe_u32 v50, v34, 16, 7
	v_cmp_ne_u32_e32 vcc, s19, v50
	v_mov_b32_e32 v48, 0x7f800001
	s_and_saveexec_b64 s[16:17], vcc
	s_cbranch_execz .LBB671_253
; %bb.252:                              ;   in Loop: Header=BB671_213 Depth=1
	v_and_b32_e32 v48, 7, v36
	v_ffbh_u32_e32 v52, v48
	v_min_u32_e32 v65, 32, v52
	v_subrev_u32_e32 v52, 28, v65
	v_lshlrev_b64 v[52:53], v52, v[36:37]
	v_lshrrev_b32_e32 v51, 3, v50
	v_sub_u32_e32 v53, 29, v65
	v_and_b32_e32 v52, 7, v52
	v_cmp_gt_u32_e32 vcc, 8, v50
	v_cndmask_b32_e32 v50, v51, v53, vcc
	v_cndmask_b32_e32 v48, v48, v52, vcc
	v_lshlrev_b32_e32 v36, 24, v36
	v_lshlrev_b32_e32 v48, 20, v48
	v_and_b32_e32 v36, 0x80000000, v36
	v_lshl_add_u32 v50, v50, 23, v45
	v_or3_b32 v48, v36, v50, v48
.LBB671_253:                            ;   in Loop: Header=BB671_213 Depth=1
	s_or_b64 exec, exec, s[16:17]
.LBB671_254:                            ;   in Loop: Header=BB671_213 Depth=1
	s_or_b64 exec, exec, s[14:15]
.LBB671_255:                            ;   in Loop: Header=BB671_213 Depth=1
	s_or_b64 exec, exec, s[12:13]
	v_cmp_lt_u32_e32 vcc, s20, v34
	s_and_saveexec_b64 s[12:13], vcc
	s_cbranch_execz .LBB671_261
; %bb.256:                              ;   in Loop: Header=BB671_213 Depth=1
	v_lshrrev_b32_e32 v36, 24, v34
	v_cmp_ne_u32_e32 vcc, s9, v36
	v_bfrev_b32_e32 v49, 1
	s_and_saveexec_b64 s[14:15], vcc
	s_cbranch_execz .LBB671_260
; %bb.257:                              ;   in Loop: Header=BB671_213 Depth=1
	v_bfe_u32 v34, v34, 24, 7
	v_cmp_ne_u32_e32 vcc, s19, v34
	v_mov_b32_e32 v49, 0x7f800001
	s_and_saveexec_b64 s[16:17], vcc
	s_cbranch_execz .LBB671_259
; %bb.258:                              ;   in Loop: Header=BB671_213 Depth=1
	v_and_b32_e32 v49, 7, v36
	v_ffbh_u32_e32 v50, v49
	v_min_u32_e32 v53, 32, v50
	v_subrev_u32_e32 v50, 28, v53
	v_lshlrev_b64 v[50:51], v50, v[36:37]
	v_lshrrev_b32_e32 v52, 3, v34
	v_sub_u32_e32 v51, 29, v53
	v_and_b32_e32 v50, 7, v50
	v_cmp_gt_u32_e32 vcc, 8, v34
	v_cndmask_b32_e32 v34, v52, v51, vcc
	v_cndmask_b32_e32 v49, v49, v50, vcc
	v_lshlrev_b32_e32 v36, 24, v36
	v_lshlrev_b32_e32 v49, 20, v49
	v_and_b32_e32 v36, 0x80000000, v36
	v_lshl_add_u32 v34, v34, 23, v45
	v_or3_b32 v49, v36, v34, v49
.LBB671_259:                            ;   in Loop: Header=BB671_213 Depth=1
	s_or_b64 exec, exec, s[16:17]
.LBB671_260:                            ;   in Loop: Header=BB671_213 Depth=1
	s_or_b64 exec, exec, s[14:15]
.LBB671_261:                            ;   in Loop: Header=BB671_213 Depth=1
	s_or_b64 exec, exec, s[12:13]
	v_cvt_pkrtz_f16_f32 v34, v35, v37
	v_cvt_pkrtz_f16_f32 v35, v44, v46
	;; [unrolled: 1-line block ×4, first 2 shown]
	v_mov_b32_e32 v44, 0
	v_mfma_f32_16x16x16f16 v[34:37], v[34:35], v[2:3], 0
	s_waitcnt vmcnt(1)
	v_cmp_ne_u16_sdwa s[14:15], v40, v43 src0_sel:BYTE_0 src1_sel:DWORD
	v_mov_b32_e32 v46, 0
	v_mfma_f32_16x16x16f16 v[34:37], v[50:51], v[4:5], v[34:37]
	s_and_saveexec_b64 s[12:13], s[14:15]
	s_cbranch_execz .LBB671_267
; %bb.262:                              ;   in Loop: Header=BB671_213 Depth=1
	v_cmp_ne_u16_sdwa s[16:17], v40, s9 src0_sel:BYTE_0 src1_sel:DWORD
	v_bfrev_b32_e32 v46, 1
	s_and_saveexec_b64 s[14:15], s[16:17]
	s_cbranch_execz .LBB671_266
; %bb.263:                              ;   in Loop: Header=BB671_213 Depth=1
	v_and_b32_e32 v42, 0x7f, v40
	v_cmp_ne_u32_e32 vcc, s19, v42
	v_mov_b32_e32 v46, 0x7f800001
	s_and_saveexec_b64 s[16:17], vcc
	s_cbranch_execz .LBB671_265
; %bb.264:                              ;   in Loop: Header=BB671_213 Depth=1
	v_and_b32_e32 v48, 7, v40
	v_ffbh_u32_e32 v46, v48
	v_min_u32_e32 v50, 32, v46
	v_subrev_u32_e32 v46, 28, v50
	v_lshlrev_b64 v[46:47], v46, v[40:41]
	v_lshrrev_b32_e32 v49, 3, v42
	v_sub_u32_e32 v47, 29, v50
	v_and_b32_e32 v46, 7, v46
	v_cmp_gt_u32_e32 vcc, 8, v42
	v_cndmask_b32_e32 v42, v49, v47, vcc
	v_cndmask_b32_e32 v46, v48, v46, vcc
	v_lshlrev_b32_e32 v47, 24, v40
	v_lshlrev_b32_e32 v46, 20, v46
	v_and_b32_e32 v47, 0x80000000, v47
	v_lshl_add_u32 v42, v42, 23, v45
	v_or3_b32 v46, v47, v42, v46
.LBB671_265:                            ;   in Loop: Header=BB671_213 Depth=1
	s_or_b64 exec, exec, s[16:17]
.LBB671_266:                            ;   in Loop: Header=BB671_213 Depth=1
	s_or_b64 exec, exec, s[14:15]
.LBB671_267:                            ;   in Loop: Header=BB671_213 Depth=1
	s_or_b64 exec, exec, s[12:13]
	v_lshrrev_b16_e32 v42, 8, v40
	v_cmp_ne_u16_e32 vcc, 0, v42
	v_mov_b32_e32 v48, 0
	s_and_saveexec_b64 s[12:13], vcc
	s_cbranch_execz .LBB671_273
; %bb.268:                              ;   in Loop: Header=BB671_213 Depth=1
	v_cmp_ne_u16_e32 vcc, s9, v42
	v_bfrev_b32_e32 v48, 1
	s_and_saveexec_b64 s[14:15], vcc
	s_cbranch_execz .LBB671_272
; %bb.269:                              ;   in Loop: Header=BB671_213 Depth=1
	v_and_b32_e32 v47, 0x7f, v42
	v_cmp_ne_u32_e32 vcc, s19, v47
	v_mov_b32_e32 v48, 0x7f800001
	s_and_saveexec_b64 s[16:17], vcc
	s_cbranch_execz .LBB671_271
; %bb.270:                              ;   in Loop: Header=BB671_213 Depth=1
	v_and_b32_e32 v50, 7, v42
	v_ffbh_u32_e32 v48, v50
	v_min_u32_e32 v52, 32, v48
	v_subrev_u32_e32 v48, 28, v52
	v_lshlrev_b64 v[48:49], v48, v[42:43]
	v_lshrrev_b32_e32 v51, 3, v47
	v_sub_u32_e32 v42, 29, v52
	v_and_b32_e32 v48, 7, v48
	v_cmp_gt_u32_e32 vcc, 8, v47
	v_cndmask_b32_e32 v42, v51, v42, vcc
	v_cndmask_b32_e32 v47, v50, v48, vcc
	v_lshlrev_b32_e32 v48, 16, v40
	v_lshlrev_b32_e32 v47, 20, v47
	v_and_b32_e32 v48, 0x80000000, v48
	v_lshl_add_u32 v42, v42, 23, v45
	v_or3_b32 v48, v48, v42, v47
.LBB671_271:                            ;   in Loop: Header=BB671_213 Depth=1
	s_or_b64 exec, exec, s[16:17]
.LBB671_272:                            ;   in Loop: Header=BB671_213 Depth=1
	s_or_b64 exec, exec, s[14:15]
.LBB671_273:                            ;   in Loop: Header=BB671_213 Depth=1
	s_or_b64 exec, exec, s[12:13]
	v_lshrrev_b32_e32 v42, 16, v40
	v_cmp_ne_u16_sdwa s[14:15], v42, v43 src0_sel:BYTE_0 src1_sel:DWORD
	s_and_saveexec_b64 s[12:13], s[14:15]
	s_cbranch_execz .LBB671_279
; %bb.274:                              ;   in Loop: Header=BB671_213 Depth=1
	v_cmp_ne_u16_sdwa s[16:17], v42, s9 src0_sel:BYTE_0 src1_sel:DWORD
	v_bfrev_b32_e32 v44, 1
	s_and_saveexec_b64 s[14:15], s[16:17]
	s_cbranch_execz .LBB671_278
; %bb.275:                              ;   in Loop: Header=BB671_213 Depth=1
	v_bfe_u32 v47, v40, 16, 7
	v_cmp_ne_u32_e32 vcc, s19, v47
	v_mov_b32_e32 v44, 0x7f800001
	s_and_saveexec_b64 s[16:17], vcc
	s_cbranch_execz .LBB671_277
; %bb.276:                              ;   in Loop: Header=BB671_213 Depth=1
	v_and_b32_e32 v44, 7, v42
	v_ffbh_u32_e32 v50, v44
	v_min_u32_e32 v52, 32, v50
	v_subrev_u32_e32 v50, 28, v52
	v_lshlrev_b64 v[50:51], v50, v[42:43]
	v_lshrrev_b32_e32 v49, 3, v47
	v_sub_u32_e32 v51, 29, v52
	v_and_b32_e32 v50, 7, v50
	v_cmp_gt_u32_e32 vcc, 8, v47
	v_cndmask_b32_e32 v47, v49, v51, vcc
	v_cndmask_b32_e32 v44, v44, v50, vcc
	v_lshlrev_b32_e32 v42, 24, v42
	v_lshlrev_b32_e32 v44, 20, v44
	v_and_b32_e32 v42, 0x80000000, v42
	v_lshl_add_u32 v47, v47, 23, v45
	v_or3_b32 v44, v42, v47, v44
.LBB671_277:                            ;   in Loop: Header=BB671_213 Depth=1
	s_or_b64 exec, exec, s[16:17]
.LBB671_278:                            ;   in Loop: Header=BB671_213 Depth=1
	s_or_b64 exec, exec, s[14:15]
.LBB671_279:                            ;   in Loop: Header=BB671_213 Depth=1
	s_or_b64 exec, exec, s[12:13]
	v_cmp_lt_u32_e32 vcc, s20, v40
	v_mov_b32_e32 v49, 0
	v_mov_b32_e32 v50, 0
	s_and_saveexec_b64 s[12:13], vcc
	s_cbranch_execz .LBB671_285
; %bb.280:                              ;   in Loop: Header=BB671_213 Depth=1
	v_lshrrev_b32_e32 v42, 24, v40
	v_cmp_ne_u32_e32 vcc, s9, v42
	v_bfrev_b32_e32 v50, 1
	s_and_saveexec_b64 s[14:15], vcc
	s_cbranch_execz .LBB671_284
; %bb.281:                              ;   in Loop: Header=BB671_213 Depth=1
	v_bfe_u32 v40, v40, 24, 7
	v_cmp_ne_u32_e32 vcc, s19, v40
	v_mov_b32_e32 v50, 0x7f800001
	s_and_saveexec_b64 s[16:17], vcc
	s_cbranch_execz .LBB671_283
; %bb.282:                              ;   in Loop: Header=BB671_213 Depth=1
	v_and_b32_e32 v47, 7, v42
	v_ffbh_u32_e32 v50, v47
	v_min_u32_e32 v53, 32, v50
	v_subrev_u32_e32 v50, 28, v53
	v_lshlrev_b64 v[50:51], v50, v[42:43]
	v_lshrrev_b32_e32 v52, 3, v40
	v_sub_u32_e32 v51, 29, v53
	v_and_b32_e32 v50, 7, v50
	v_cmp_gt_u32_e32 vcc, 8, v40
	v_cndmask_b32_e32 v40, v52, v51, vcc
	v_cndmask_b32_e32 v47, v47, v50, vcc
	v_lshlrev_b32_e32 v42, 24, v42
	v_lshlrev_b32_e32 v47, 20, v47
	v_and_b32_e32 v42, 0x80000000, v42
	v_lshl_add_u32 v40, v40, 23, v45
	v_or3_b32 v50, v42, v40, v47
.LBB671_283:                            ;   in Loop: Header=BB671_213 Depth=1
	s_or_b64 exec, exec, s[16:17]
.LBB671_284:                            ;   in Loop: Header=BB671_213 Depth=1
	s_or_b64 exec, exec, s[14:15]
.LBB671_285:                            ;   in Loop: Header=BB671_213 Depth=1
	s_or_b64 exec, exec, s[12:13]
	s_waitcnt vmcnt(0)
	v_cmp_ne_u16_sdwa s[14:15], v38, v43 src0_sel:BYTE_0 src1_sel:DWORD
	s_and_saveexec_b64 s[12:13], s[14:15]
	s_cbranch_execz .LBB671_291
; %bb.286:                              ;   in Loop: Header=BB671_213 Depth=1
	v_cmp_ne_u16_sdwa s[16:17], v38, s9 src0_sel:BYTE_0 src1_sel:DWORD
	v_bfrev_b32_e32 v49, 1
	s_and_saveexec_b64 s[14:15], s[16:17]
	s_cbranch_execz .LBB671_290
; %bb.287:                              ;   in Loop: Header=BB671_213 Depth=1
	v_and_b32_e32 v40, 0x7f, v38
	v_cmp_ne_u32_e32 vcc, s19, v40
	v_mov_b32_e32 v49, 0x7f800001
	s_and_saveexec_b64 s[16:17], vcc
	s_cbranch_execz .LBB671_289
; %bb.288:                              ;   in Loop: Header=BB671_213 Depth=1
	v_and_b32_e32 v42, 7, v38
	v_ffbh_u32_e32 v49, v42
	v_min_u32_e32 v49, 32, v49
	v_subrev_u32_e32 v51, 28, v49
	v_lshlrev_b64 v[52:53], v51, v[38:39]
	v_lshrrev_b32_e32 v47, 3, v40
	v_sub_u32_e32 v49, 29, v49
	v_and_b32_e32 v51, 7, v52
	v_cmp_gt_u32_e32 vcc, 8, v40
	v_cndmask_b32_e32 v40, v47, v49, vcc
	v_cndmask_b32_e32 v42, v42, v51, vcc
	v_lshlrev_b32_e32 v47, 24, v38
	v_lshlrev_b32_e32 v42, 20, v42
	v_and_b32_e32 v47, 0x80000000, v47
	v_lshl_add_u32 v40, v40, 23, v45
	v_or3_b32 v49, v47, v40, v42
.LBB671_289:                            ;   in Loop: Header=BB671_213 Depth=1
	s_or_b64 exec, exec, s[16:17]
.LBB671_290:                            ;   in Loop: Header=BB671_213 Depth=1
	s_or_b64 exec, exec, s[14:15]
.LBB671_291:                            ;   in Loop: Header=BB671_213 Depth=1
	s_or_b64 exec, exec, s[12:13]
	v_lshrrev_b16_e32 v40, 8, v38
	v_cmp_ne_u16_e32 vcc, 0, v40
	v_mov_b32_e32 v51, 0
	v_mov_b32_e32 v52, 0
	s_and_saveexec_b64 s[12:13], vcc
	s_cbranch_execz .LBB671_297
; %bb.292:                              ;   in Loop: Header=BB671_213 Depth=1
	v_cmp_ne_u16_e32 vcc, s9, v40
	v_bfrev_b32_e32 v52, 1
	s_and_saveexec_b64 s[14:15], vcc
	s_cbranch_execz .LBB671_296
; %bb.293:                              ;   in Loop: Header=BB671_213 Depth=1
	v_and_b32_e32 v42, 0x7f, v40
	v_cmp_ne_u32_e32 vcc, s19, v42
	v_mov_b32_e32 v52, 0x7f800001
	s_and_saveexec_b64 s[16:17], vcc
	s_cbranch_execz .LBB671_295
; %bb.294:                              ;   in Loop: Header=BB671_213 Depth=1
	v_and_b32_e32 v47, 7, v40
	v_ffbh_u32_e32 v52, v47
	v_min_u32_e32 v66, 32, v52
	v_subrev_u32_e32 v52, 28, v66
	v_lshlrev_b64 v[52:53], v52, v[40:41]
	v_lshrrev_b32_e32 v65, 3, v42
	v_sub_u32_e32 v40, 29, v66
	v_and_b32_e32 v52, 7, v52
	v_cmp_gt_u32_e32 vcc, 8, v42
	v_cndmask_b32_e32 v40, v65, v40, vcc
	v_cndmask_b32_e32 v42, v47, v52, vcc
	v_lshlrev_b32_e32 v47, 16, v38
	v_lshlrev_b32_e32 v42, 20, v42
	v_and_b32_e32 v47, 0x80000000, v47
	v_lshl_add_u32 v40, v40, 23, v45
	v_or3_b32 v52, v47, v40, v42
.LBB671_295:                            ;   in Loop: Header=BB671_213 Depth=1
	s_or_b64 exec, exec, s[16:17]
.LBB671_296:                            ;   in Loop: Header=BB671_213 Depth=1
	s_or_b64 exec, exec, s[14:15]
.LBB671_297:                            ;   in Loop: Header=BB671_213 Depth=1
	s_or_b64 exec, exec, s[12:13]
	v_lshrrev_b32_e32 v40, 16, v38
	v_cmp_ne_u16_sdwa s[14:15], v40, v43 src0_sel:BYTE_0 src1_sel:DWORD
	s_and_saveexec_b64 s[12:13], s[14:15]
	s_cbranch_execz .LBB671_303
; %bb.298:                              ;   in Loop: Header=BB671_213 Depth=1
	v_cmp_ne_u16_sdwa s[16:17], v40, s9 src0_sel:BYTE_0 src1_sel:DWORD
	v_bfrev_b32_e32 v51, 1
	s_and_saveexec_b64 s[14:15], s[16:17]
	s_cbranch_execz .LBB671_302
; %bb.299:                              ;   in Loop: Header=BB671_213 Depth=1
	v_bfe_u32 v42, v38, 16, 7
	v_cmp_ne_u32_e32 vcc, s19, v42
	v_mov_b32_e32 v51, 0x7f800001
	s_and_saveexec_b64 s[16:17], vcc
	s_cbranch_execz .LBB671_301
; %bb.300:                              ;   in Loop: Header=BB671_213 Depth=1
	v_and_b32_e32 v47, 7, v40
	v_ffbh_u32_e32 v53, v47
	v_min_u32_e32 v53, 32, v53
	v_subrev_u32_e32 v65, 28, v53
	v_lshlrev_b64 v[66:67], v65, v[40:41]
	v_lshrrev_b32_e32 v51, 3, v42
	v_sub_u32_e32 v53, 29, v53
	v_and_b32_e32 v65, 7, v66
	v_cmp_gt_u32_e32 vcc, 8, v42
	v_cndmask_b32_e32 v42, v51, v53, vcc
	v_cndmask_b32_e32 v47, v47, v65, vcc
	v_lshlrev_b32_e32 v40, 24, v40
	v_lshlrev_b32_e32 v47, 20, v47
	v_and_b32_e32 v40, 0x80000000, v40
	v_lshl_add_u32 v42, v42, 23, v45
	v_or3_b32 v51, v40, v42, v47
.LBB671_301:                            ;   in Loop: Header=BB671_213 Depth=1
	s_or_b64 exec, exec, s[16:17]
.LBB671_302:                            ;   in Loop: Header=BB671_213 Depth=1
	s_or_b64 exec, exec, s[14:15]
.LBB671_303:                            ;   in Loop: Header=BB671_213 Depth=1
	s_or_b64 exec, exec, s[12:13]
	v_cmp_lt_u32_e32 vcc, s20, v38
	v_mov_b32_e32 v47, 0
	v_mov_b32_e32 v53, 0
	s_and_saveexec_b64 s[12:13], vcc
	s_cbranch_execz .LBB671_309
; %bb.304:                              ;   in Loop: Header=BB671_213 Depth=1
	v_lshrrev_b32_e32 v40, 24, v38
	v_cmp_ne_u32_e32 vcc, s9, v40
	v_bfrev_b32_e32 v53, 1
	s_and_saveexec_b64 s[14:15], vcc
	s_cbranch_execz .LBB671_308
; %bb.305:                              ;   in Loop: Header=BB671_213 Depth=1
	v_bfe_u32 v38, v38, 24, 7
	v_cmp_ne_u32_e32 vcc, s19, v38
	v_mov_b32_e32 v53, 0x7f800001
	s_and_saveexec_b64 s[16:17], vcc
	s_cbranch_execz .LBB671_307
; %bb.306:                              ;   in Loop: Header=BB671_213 Depth=1
	v_and_b32_e32 v42, 7, v40
	v_ffbh_u32_e32 v65, v42
	v_min_u32_e32 v65, 32, v65
	v_subrev_u32_e32 v66, 28, v65
	v_lshlrev_b64 v[66:67], v66, v[40:41]
	v_lshrrev_b32_e32 v53, 3, v38
	v_sub_u32_e32 v65, 29, v65
	v_and_b32_e32 v66, 7, v66
	v_cmp_gt_u32_e32 vcc, 8, v38
	v_cndmask_b32_e32 v38, v53, v65, vcc
	v_cndmask_b32_e32 v42, v42, v66, vcc
	v_lshlrev_b32_e32 v40, 24, v40
	v_lshlrev_b32_e32 v42, 20, v42
	v_and_b32_e32 v40, 0x80000000, v40
	v_lshl_add_u32 v38, v38, 23, v45
	v_or3_b32 v53, v40, v38, v42
.LBB671_307:                            ;   in Loop: Header=BB671_213 Depth=1
	s_or_b64 exec, exec, s[16:17]
.LBB671_308:                            ;   in Loop: Header=BB671_213 Depth=1
	s_or_b64 exec, exec, s[14:15]
.LBB671_309:                            ;   in Loop: Header=BB671_213 Depth=1
	s_or_b64 exec, exec, s[12:13]
	v_cvt_pkrtz_f16_f32 v67, v44, v50
	buffer_load_dword v44, v64, s[0:3], 0 offen
	buffer_load_dword v42, v64, s[0:3], 0 offen offset:4
	buffer_load_dword v40, v64, s[0:3], 0 offen offset:8
	buffer_load_dword v38, v64, s[0:3], 0 offen offset:12
	v_cvt_pkrtz_f16_f32 v66, v46, v48
	v_cvt_pkrtz_f16_f32 v48, v49, v52
	;; [unrolled: 1-line block ×3, first 2 shown]
	v_mfma_f32_16x16x16f16 v[34:37], v[66:67], v[6:7], v[34:37]
	s_waitcnt vmcnt(3)
	v_cmp_ne_u16_sdwa s[14:15], v44, v43 src0_sel:BYTE_0 src1_sel:DWORD
	v_mfma_f32_16x16x16f16 v[34:37], v[48:49], v[8:9], v[34:37]
	s_and_saveexec_b64 s[12:13], s[14:15]
	s_cbranch_execz .LBB671_315
; %bb.310:                              ;   in Loop: Header=BB671_213 Depth=1
	v_cmp_ne_u16_sdwa s[16:17], v44, s9 src0_sel:BYTE_0 src1_sel:DWORD
	v_bfrev_b32_e32 v47, 1
	s_and_saveexec_b64 s[14:15], s[16:17]
	s_cbranch_execz .LBB671_314
; %bb.311:                              ;   in Loop: Header=BB671_213 Depth=1
	v_and_b32_e32 v46, 0x7f, v44
	v_cmp_ne_u32_e32 vcc, s19, v46
	v_mov_b32_e32 v47, 0x7f800001
	s_and_saveexec_b64 s[16:17], vcc
	s_cbranch_execz .LBB671_313
; %bb.312:                              ;   in Loop: Header=BB671_213 Depth=1
	v_and_b32_e32 v47, 7, v44
	v_ffbh_u32_e32 v48, v47
	v_min_u32_e32 v51, 32, v48
	v_subrev_u32_e32 v48, 28, v51
	v_lshlrev_b64 v[48:49], v48, v[44:45]
	v_lshrrev_b32_e32 v50, 3, v46
	v_sub_u32_e32 v49, 29, v51
	v_and_b32_e32 v48, 7, v48
	v_cmp_gt_u32_e32 vcc, 8, v46
	v_cndmask_b32_e32 v46, v50, v49, vcc
	v_cndmask_b32_e32 v47, v47, v48, vcc
	v_lshlrev_b32_e32 v48, 24, v44
	v_lshlrev_b32_e32 v47, 20, v47
	v_and_b32_e32 v48, 0x80000000, v48
	v_lshl_add_u32 v46, v46, 23, v45
	v_or3_b32 v47, v48, v46, v47
.LBB671_313:                            ;   in Loop: Header=BB671_213 Depth=1
	s_or_b64 exec, exec, s[16:17]
.LBB671_314:                            ;   in Loop: Header=BB671_213 Depth=1
	s_or_b64 exec, exec, s[14:15]
.LBB671_315:                            ;   in Loop: Header=BB671_213 Depth=1
	s_or_b64 exec, exec, s[12:13]
	v_lshrrev_b16_e32 v46, 8, v44
	v_cmp_ne_u16_e32 vcc, 0, v46
	v_mov_b32_e32 v48, 0
	v_mov_b32_e32 v49, 0
	s_and_saveexec_b64 s[12:13], vcc
	s_cbranch_execz .LBB671_321
; %bb.316:                              ;   in Loop: Header=BB671_213 Depth=1
	v_cmp_ne_u16_e32 vcc, s9, v46
	v_bfrev_b32_e32 v49, 1
	s_and_saveexec_b64 s[14:15], vcc
	s_cbranch_execz .LBB671_320
; %bb.317:                              ;   in Loop: Header=BB671_213 Depth=1
	v_and_b32_e32 v50, 0x7f, v46
	v_cmp_ne_u32_e32 vcc, s19, v50
	v_mov_b32_e32 v49, 0x7f800001
	s_and_saveexec_b64 s[16:17], vcc
	s_cbranch_execz .LBB671_319
; %bb.318:                              ;   in Loop: Header=BB671_213 Depth=1
	v_and_b32_e32 v49, 7, v46
	v_ffbh_u32_e32 v52, v49
	v_min_u32_e32 v64, 32, v52
	v_subrev_u32_e32 v52, 28, v64
	v_lshlrev_b64 v[52:53], v52, v[46:47]
	v_lshrrev_b32_e32 v51, 3, v50
	v_sub_u32_e32 v46, 29, v64
	v_and_b32_e32 v52, 7, v52
	v_cmp_gt_u32_e32 vcc, 8, v50
	v_cndmask_b32_e32 v46, v51, v46, vcc
	v_cndmask_b32_e32 v49, v49, v52, vcc
	v_lshlrev_b32_e32 v50, 16, v44
	v_lshlrev_b32_e32 v49, 20, v49
	v_and_b32_e32 v50, 0x80000000, v50
	v_lshl_add_u32 v46, v46, 23, v45
	v_or3_b32 v49, v50, v46, v49
.LBB671_319:                            ;   in Loop: Header=BB671_213 Depth=1
	s_or_b64 exec, exec, s[16:17]
.LBB671_320:                            ;   in Loop: Header=BB671_213 Depth=1
	s_or_b64 exec, exec, s[14:15]
.LBB671_321:                            ;   in Loop: Header=BB671_213 Depth=1
	s_or_b64 exec, exec, s[12:13]
	v_lshrrev_b32_e32 v46, 16, v44
	v_cmp_ne_u16_sdwa s[14:15], v46, v43 src0_sel:BYTE_0 src1_sel:DWORD
	s_and_saveexec_b64 s[12:13], s[14:15]
	s_cbranch_execz .LBB671_327
; %bb.322:                              ;   in Loop: Header=BB671_213 Depth=1
	v_cmp_ne_u16_sdwa s[16:17], v46, s9 src0_sel:BYTE_0 src1_sel:DWORD
	v_bfrev_b32_e32 v48, 1
	s_and_saveexec_b64 s[14:15], s[16:17]
	s_cbranch_execz .LBB671_326
; %bb.323:                              ;   in Loop: Header=BB671_213 Depth=1
	v_bfe_u32 v50, v44, 16, 7
	v_cmp_ne_u32_e32 vcc, s19, v50
	v_mov_b32_e32 v48, 0x7f800001
	s_and_saveexec_b64 s[16:17], vcc
	s_cbranch_execz .LBB671_325
; %bb.324:                              ;   in Loop: Header=BB671_213 Depth=1
	v_and_b32_e32 v48, 7, v46
	v_ffbh_u32_e32 v52, v48
	v_min_u32_e32 v64, 32, v52
	v_subrev_u32_e32 v52, 28, v64
	v_lshlrev_b64 v[52:53], v52, v[46:47]
	v_lshrrev_b32_e32 v51, 3, v50
	v_sub_u32_e32 v53, 29, v64
	v_and_b32_e32 v52, 7, v52
	v_cmp_gt_u32_e32 vcc, 8, v50
	v_cndmask_b32_e32 v50, v51, v53, vcc
	v_cndmask_b32_e32 v48, v48, v52, vcc
	v_lshlrev_b32_e32 v46, 24, v46
	v_lshlrev_b32_e32 v48, 20, v48
	v_and_b32_e32 v46, 0x80000000, v46
	v_lshl_add_u32 v50, v50, 23, v45
	v_or3_b32 v48, v46, v50, v48
.LBB671_325:                            ;   in Loop: Header=BB671_213 Depth=1
	s_or_b64 exec, exec, s[16:17]
.LBB671_326:                            ;   in Loop: Header=BB671_213 Depth=1
	s_or_b64 exec, exec, s[14:15]
.LBB671_327:                            ;   in Loop: Header=BB671_213 Depth=1
	s_or_b64 exec, exec, s[12:13]
	v_cmp_lt_u32_e32 vcc, s20, v44
	v_mov_b32_e32 v50, 0
	v_mov_b32_e32 v51, 0
	s_and_saveexec_b64 s[12:13], vcc
	s_cbranch_execz .LBB671_333
; %bb.328:                              ;   in Loop: Header=BB671_213 Depth=1
	v_lshrrev_b32_e32 v46, 24, v44
	v_cmp_ne_u32_e32 vcc, s9, v46
	v_bfrev_b32_e32 v51, 1
	s_and_saveexec_b64 s[14:15], vcc
	s_cbranch_execz .LBB671_332
; %bb.329:                              ;   in Loop: Header=BB671_213 Depth=1
	v_bfe_u32 v44, v44, 24, 7
	v_cmp_ne_u32_e32 vcc, s19, v44
	v_mov_b32_e32 v51, 0x7f800001
	s_and_saveexec_b64 s[16:17], vcc
	s_cbranch_execz .LBB671_331
; %bb.330:                              ;   in Loop: Header=BB671_213 Depth=1
	v_and_b32_e32 v51, 7, v46
	v_ffbh_u32_e32 v52, v51
	v_min_u32_e32 v65, 32, v52
	v_subrev_u32_e32 v52, 28, v65
	v_lshlrev_b64 v[52:53], v52, v[46:47]
	v_lshrrev_b32_e32 v64, 3, v44
	v_sub_u32_e32 v53, 29, v65
	v_and_b32_e32 v52, 7, v52
	v_cmp_gt_u32_e32 vcc, 8, v44
	v_cndmask_b32_e32 v44, v64, v53, vcc
	v_cndmask_b32_e32 v51, v51, v52, vcc
	v_lshlrev_b32_e32 v46, 24, v46
	v_lshlrev_b32_e32 v51, 20, v51
	v_and_b32_e32 v46, 0x80000000, v46
	v_lshl_add_u32 v44, v44, 23, v45
	v_or3_b32 v51, v46, v44, v51
.LBB671_331:                            ;   in Loop: Header=BB671_213 Depth=1
	s_or_b64 exec, exec, s[16:17]
.LBB671_332:                            ;   in Loop: Header=BB671_213 Depth=1
	s_or_b64 exec, exec, s[14:15]
.LBB671_333:                            ;   in Loop: Header=BB671_213 Depth=1
	s_or_b64 exec, exec, s[12:13]
	s_waitcnt vmcnt(2)
	v_cmp_ne_u16_sdwa s[14:15], v42, v43 src0_sel:BYTE_0 src1_sel:DWORD
	s_and_saveexec_b64 s[12:13], s[14:15]
	s_cbranch_execz .LBB671_339
; %bb.334:                              ;   in Loop: Header=BB671_213 Depth=1
	v_cmp_ne_u16_sdwa s[16:17], v42, s9 src0_sel:BYTE_0 src1_sel:DWORD
	v_bfrev_b32_e32 v50, 1
	s_and_saveexec_b64 s[14:15], s[16:17]
	s_cbranch_execz .LBB671_338
; %bb.335:                              ;   in Loop: Header=BB671_213 Depth=1
	v_and_b32_e32 v44, 0x7f, v42
	v_cmp_ne_u32_e32 vcc, s19, v44
	v_mov_b32_e32 v50, 0x7f800001
	s_and_saveexec_b64 s[16:17], vcc
	s_cbranch_execz .LBB671_337
; %bb.336:                              ;   in Loop: Header=BB671_213 Depth=1
	v_and_b32_e32 v46, 7, v42
	v_ffbh_u32_e32 v52, v46
	v_min_u32_e32 v64, 32, v52
	v_subrev_u32_e32 v52, 28, v64
	v_lshlrev_b64 v[52:53], v52, v[42:43]
	v_lshrrev_b32_e32 v50, 3, v44
	v_sub_u32_e32 v53, 29, v64
	v_and_b32_e32 v52, 7, v52
	v_cmp_gt_u32_e32 vcc, 8, v44
	v_cndmask_b32_e32 v44, v50, v53, vcc
	v_cndmask_b32_e32 v46, v46, v52, vcc
	v_lshlrev_b32_e32 v50, 24, v42
	v_lshlrev_b32_e32 v46, 20, v46
	v_and_b32_e32 v50, 0x80000000, v50
	v_lshl_add_u32 v44, v44, 23, v45
	v_or3_b32 v50, v50, v44, v46
.LBB671_337:                            ;   in Loop: Header=BB671_213 Depth=1
	s_or_b64 exec, exec, s[16:17]
.LBB671_338:                            ;   in Loop: Header=BB671_213 Depth=1
	s_or_b64 exec, exec, s[14:15]
.LBB671_339:                            ;   in Loop: Header=BB671_213 Depth=1
	s_or_b64 exec, exec, s[12:13]
	v_lshrrev_b16_e32 v44, 8, v42
	v_cmp_ne_u16_e32 vcc, 0, v44
	v_mov_b32_e32 v52, 0
	v_mov_b32_e32 v53, 0
	s_and_saveexec_b64 s[12:13], vcc
	s_cbranch_execz .LBB671_345
; %bb.340:                              ;   in Loop: Header=BB671_213 Depth=1
	v_cmp_ne_u16_e32 vcc, s9, v44
	v_bfrev_b32_e32 v53, 1
	s_and_saveexec_b64 s[14:15], vcc
	s_cbranch_execz .LBB671_344
; %bb.341:                              ;   in Loop: Header=BB671_213 Depth=1
	v_and_b32_e32 v46, 0x7f, v44
	v_cmp_ne_u32_e32 vcc, s19, v46
	v_mov_b32_e32 v53, 0x7f800001
	s_and_saveexec_b64 s[16:17], vcc
	s_cbranch_execz .LBB671_343
; %bb.342:                              ;   in Loop: Header=BB671_213 Depth=1
	v_and_b32_e32 v53, 7, v44
	v_ffbh_u32_e32 v64, v53
	v_min_u32_e32 v67, 32, v64
	v_subrev_u32_e32 v64, 28, v67
	v_lshlrev_b64 v[64:65], v64, v[44:45]
	v_lshrrev_b32_e32 v66, 3, v46
	v_sub_u32_e32 v44, 29, v67
	v_and_b32_e32 v64, 7, v64
	v_cmp_gt_u32_e32 vcc, 8, v46
	v_cndmask_b32_e32 v44, v66, v44, vcc
	v_cndmask_b32_e32 v46, v53, v64, vcc
	v_lshlrev_b32_e32 v53, 16, v42
	v_lshlrev_b32_e32 v46, 20, v46
	v_and_b32_e32 v53, 0x80000000, v53
	v_lshl_add_u32 v44, v44, 23, v45
	v_or3_b32 v53, v53, v44, v46
.LBB671_343:                            ;   in Loop: Header=BB671_213 Depth=1
	s_or_b64 exec, exec, s[16:17]
.LBB671_344:                            ;   in Loop: Header=BB671_213 Depth=1
	s_or_b64 exec, exec, s[14:15]
.LBB671_345:                            ;   in Loop: Header=BB671_213 Depth=1
	s_or_b64 exec, exec, s[12:13]
	v_lshrrev_b32_e32 v44, 16, v42
	v_cmp_ne_u16_sdwa s[14:15], v44, v43 src0_sel:BYTE_0 src1_sel:DWORD
	s_and_saveexec_b64 s[12:13], s[14:15]
	s_cbranch_execz .LBB671_351
; %bb.346:                              ;   in Loop: Header=BB671_213 Depth=1
	v_cmp_ne_u16_sdwa s[16:17], v44, s9 src0_sel:BYTE_0 src1_sel:DWORD
	v_bfrev_b32_e32 v52, 1
	s_and_saveexec_b64 s[14:15], s[16:17]
	s_cbranch_execz .LBB671_350
; %bb.347:                              ;   in Loop: Header=BB671_213 Depth=1
	v_bfe_u32 v46, v42, 16, 7
	v_cmp_ne_u32_e32 vcc, s19, v46
	v_mov_b32_e32 v52, 0x7f800001
	s_and_saveexec_b64 s[16:17], vcc
	s_cbranch_execz .LBB671_349
; %bb.348:                              ;   in Loop: Header=BB671_213 Depth=1
	v_and_b32_e32 v52, 7, v44
	v_ffbh_u32_e32 v64, v52
	v_min_u32_e32 v67, 32, v64
	v_subrev_u32_e32 v64, 28, v67
	v_lshlrev_b64 v[64:65], v64, v[44:45]
	v_lshrrev_b32_e32 v66, 3, v46
	v_sub_u32_e32 v65, 29, v67
	v_and_b32_e32 v64, 7, v64
	v_cmp_gt_u32_e32 vcc, 8, v46
	v_cndmask_b32_e32 v46, v66, v65, vcc
	v_cndmask_b32_e32 v52, v52, v64, vcc
	v_lshlrev_b32_e32 v44, 24, v44
	v_lshlrev_b32_e32 v52, 20, v52
	v_and_b32_e32 v44, 0x80000000, v44
	v_lshl_add_u32 v46, v46, 23, v45
	v_or3_b32 v52, v44, v46, v52
.LBB671_349:                            ;   in Loop: Header=BB671_213 Depth=1
	s_or_b64 exec, exec, s[16:17]
.LBB671_350:                            ;   in Loop: Header=BB671_213 Depth=1
	s_or_b64 exec, exec, s[14:15]
.LBB671_351:                            ;   in Loop: Header=BB671_213 Depth=1
	s_or_b64 exec, exec, s[12:13]
	v_cmp_lt_u32_e32 vcc, s20, v42
	v_mov_b32_e32 v46, 0
	v_mov_b32_e32 v64, 0
	s_and_saveexec_b64 s[12:13], vcc
	s_cbranch_execz .LBB671_357
; %bb.352:                              ;   in Loop: Header=BB671_213 Depth=1
	v_lshrrev_b32_e32 v44, 24, v42
	v_cmp_ne_u32_e32 vcc, s9, v44
	v_bfrev_b32_e32 v64, 1
	s_and_saveexec_b64 s[14:15], vcc
	s_cbranch_execz .LBB671_356
; %bb.353:                              ;   in Loop: Header=BB671_213 Depth=1
	v_bfe_u32 v42, v42, 24, 7
	v_cmp_ne_u32_e32 vcc, s19, v42
	v_mov_b32_e32 v64, 0x7f800001
	s_and_saveexec_b64 s[16:17], vcc
	s_cbranch_execz .LBB671_355
; %bb.354:                              ;   in Loop: Header=BB671_213 Depth=1
	v_and_b32_e32 v66, 7, v44
	v_ffbh_u32_e32 v64, v66
	v_min_u32_e32 v68, 32, v64
	v_subrev_u32_e32 v64, 28, v68
	v_lshlrev_b64 v[64:65], v64, v[44:45]
	v_lshrrev_b32_e32 v67, 3, v42
	v_sub_u32_e32 v65, 29, v68
	v_and_b32_e32 v64, 7, v64
	v_cmp_gt_u32_e32 vcc, 8, v42
	v_cndmask_b32_e32 v42, v67, v65, vcc
	v_cndmask_b32_e32 v64, v66, v64, vcc
	v_lshlrev_b32_e32 v44, 24, v44
	v_lshlrev_b32_e32 v64, 20, v64
	v_and_b32_e32 v44, 0x80000000, v44
	v_lshl_add_u32 v42, v42, 23, v45
	v_or3_b32 v64, v44, v42, v64
.LBB671_355:                            ;   in Loop: Header=BB671_213 Depth=1
	s_or_b64 exec, exec, s[16:17]
.LBB671_356:                            ;   in Loop: Header=BB671_213 Depth=1
	s_or_b64 exec, exec, s[14:15]
.LBB671_357:                            ;   in Loop: Header=BB671_213 Depth=1
	s_or_b64 exec, exec, s[12:13]
	v_cvt_pkrtz_f16_f32 v66, v47, v49
	v_cvt_pkrtz_f16_f32 v67, v48, v51
	;; [unrolled: 1-line block ×4, first 2 shown]
	s_waitcnt vmcnt(1)
	v_cmp_ne_u16_sdwa s[14:15], v40, v43 src0_sel:BYTE_0 src1_sel:DWORD
	v_mfma_f32_16x16x16f16 v[34:37], v[66:67], v[10:11], v[34:37]
	v_mfma_f32_16x16x16f16 v[34:37], v[48:49], v[12:13], v[34:37]
	s_and_saveexec_b64 s[12:13], s[14:15]
	s_cbranch_execz .LBB671_363
; %bb.358:                              ;   in Loop: Header=BB671_213 Depth=1
	v_cmp_ne_u16_sdwa s[16:17], v40, s9 src0_sel:BYTE_0 src1_sel:DWORD
	v_bfrev_b32_e32 v46, 1
	s_and_saveexec_b64 s[14:15], s[16:17]
	s_cbranch_execz .LBB671_362
; %bb.359:                              ;   in Loop: Header=BB671_213 Depth=1
	v_and_b32_e32 v42, 0x7f, v40
	v_cmp_ne_u32_e32 vcc, s19, v42
	v_mov_b32_e32 v46, 0x7f800001
	s_and_saveexec_b64 s[16:17], vcc
	s_cbranch_execz .LBB671_361
; %bb.360:                              ;   in Loop: Header=BB671_213 Depth=1
	v_and_b32_e32 v44, 7, v40
	v_ffbh_u32_e32 v46, v44
	v_min_u32_e32 v49, 32, v46
	v_subrev_u32_e32 v46, 28, v49
	v_lshlrev_b64 v[46:47], v46, v[40:41]
	v_lshrrev_b32_e32 v48, 3, v42
	v_sub_u32_e32 v47, 29, v49
	v_and_b32_e32 v46, 7, v46
	v_cmp_gt_u32_e32 vcc, 8, v42
	v_cndmask_b32_e32 v42, v48, v47, vcc
	v_cndmask_b32_e32 v44, v44, v46, vcc
	v_lshlrev_b32_e32 v46, 24, v40
	v_lshlrev_b32_e32 v44, 20, v44
	v_and_b32_e32 v46, 0x80000000, v46
	v_lshl_add_u32 v42, v42, 23, v45
	v_or3_b32 v46, v46, v42, v44
.LBB671_361:                            ;   in Loop: Header=BB671_213 Depth=1
	s_or_b64 exec, exec, s[16:17]
.LBB671_362:                            ;   in Loop: Header=BB671_213 Depth=1
	s_or_b64 exec, exec, s[14:15]
.LBB671_363:                            ;   in Loop: Header=BB671_213 Depth=1
	s_or_b64 exec, exec, s[12:13]
	v_lshrrev_b16_e32 v42, 8, v40
	v_cmp_ne_u16_e32 vcc, 0, v42
	v_mov_b32_e32 v44, 0
	v_mov_b32_e32 v48, 0
	s_and_saveexec_b64 s[12:13], vcc
	s_cbranch_execz .LBB671_369
; %bb.364:                              ;   in Loop: Header=BB671_213 Depth=1
	v_cmp_ne_u16_e32 vcc, s9, v42
	v_bfrev_b32_e32 v48, 1
	s_and_saveexec_b64 s[14:15], vcc
	s_cbranch_execz .LBB671_368
; %bb.365:                              ;   in Loop: Header=BB671_213 Depth=1
	v_and_b32_e32 v47, 0x7f, v42
	v_cmp_ne_u32_e32 vcc, s19, v47
	v_mov_b32_e32 v48, 0x7f800001
	s_and_saveexec_b64 s[16:17], vcc
	s_cbranch_execz .LBB671_367
; %bb.366:                              ;   in Loop: Header=BB671_213 Depth=1
	v_and_b32_e32 v50, 7, v42
	v_ffbh_u32_e32 v48, v50
	v_min_u32_e32 v52, 32, v48
	v_subrev_u32_e32 v48, 28, v52
	v_lshlrev_b64 v[48:49], v48, v[42:43]
	v_lshrrev_b32_e32 v51, 3, v47
	v_sub_u32_e32 v42, 29, v52
	v_and_b32_e32 v48, 7, v48
	v_cmp_gt_u32_e32 vcc, 8, v47
	v_cndmask_b32_e32 v42, v51, v42, vcc
	v_cndmask_b32_e32 v47, v50, v48, vcc
	v_lshlrev_b32_e32 v48, 16, v40
	v_lshlrev_b32_e32 v47, 20, v47
	v_and_b32_e32 v48, 0x80000000, v48
	v_lshl_add_u32 v42, v42, 23, v45
	v_or3_b32 v48, v48, v42, v47
.LBB671_367:                            ;   in Loop: Header=BB671_213 Depth=1
	s_or_b64 exec, exec, s[16:17]
.LBB671_368:                            ;   in Loop: Header=BB671_213 Depth=1
	s_or_b64 exec, exec, s[14:15]
.LBB671_369:                            ;   in Loop: Header=BB671_213 Depth=1
	s_or_b64 exec, exec, s[12:13]
	v_lshrrev_b32_e32 v42, 16, v40
	v_cmp_ne_u16_sdwa s[14:15], v42, v43 src0_sel:BYTE_0 src1_sel:DWORD
	s_and_saveexec_b64 s[12:13], s[14:15]
	s_cbranch_execz .LBB671_375
; %bb.370:                              ;   in Loop: Header=BB671_213 Depth=1
	v_cmp_ne_u16_sdwa s[16:17], v42, s9 src0_sel:BYTE_0 src1_sel:DWORD
	v_bfrev_b32_e32 v44, 1
	s_and_saveexec_b64 s[14:15], s[16:17]
	s_cbranch_execz .LBB671_374
; %bb.371:                              ;   in Loop: Header=BB671_213 Depth=1
	v_bfe_u32 v47, v40, 16, 7
	v_cmp_ne_u32_e32 vcc, s19, v47
	v_mov_b32_e32 v44, 0x7f800001
	s_and_saveexec_b64 s[16:17], vcc
	s_cbranch_execz .LBB671_373
; %bb.372:                              ;   in Loop: Header=BB671_213 Depth=1
	v_and_b32_e32 v44, 7, v42
	v_ffbh_u32_e32 v50, v44
	v_min_u32_e32 v52, 32, v50
	v_subrev_u32_e32 v50, 28, v52
	v_lshlrev_b64 v[50:51], v50, v[42:43]
	v_lshrrev_b32_e32 v49, 3, v47
	v_sub_u32_e32 v51, 29, v52
	v_and_b32_e32 v50, 7, v50
	v_cmp_gt_u32_e32 vcc, 8, v47
	v_cndmask_b32_e32 v47, v49, v51, vcc
	v_cndmask_b32_e32 v44, v44, v50, vcc
	v_lshlrev_b32_e32 v42, 24, v42
	v_lshlrev_b32_e32 v44, 20, v44
	v_and_b32_e32 v42, 0x80000000, v42
	v_lshl_add_u32 v47, v47, 23, v45
	v_or3_b32 v44, v42, v47, v44
.LBB671_373:                            ;   in Loop: Header=BB671_213 Depth=1
	s_or_b64 exec, exec, s[16:17]
.LBB671_374:                            ;   in Loop: Header=BB671_213 Depth=1
	s_or_b64 exec, exec, s[14:15]
.LBB671_375:                            ;   in Loop: Header=BB671_213 Depth=1
	s_or_b64 exec, exec, s[12:13]
	v_cmp_lt_u32_e32 vcc, s20, v40
	v_mov_b32_e32 v49, 0
	v_mov_b32_e32 v50, 0
	s_and_saveexec_b64 s[12:13], vcc
	s_cbranch_execz .LBB671_381
; %bb.376:                              ;   in Loop: Header=BB671_213 Depth=1
	v_lshrrev_b32_e32 v42, 24, v40
	v_cmp_ne_u32_e32 vcc, s9, v42
	v_bfrev_b32_e32 v50, 1
	s_and_saveexec_b64 s[14:15], vcc
	s_cbranch_execz .LBB671_380
; %bb.377:                              ;   in Loop: Header=BB671_213 Depth=1
	v_bfe_u32 v40, v40, 24, 7
	v_cmp_ne_u32_e32 vcc, s19, v40
	v_mov_b32_e32 v50, 0x7f800001
	s_and_saveexec_b64 s[16:17], vcc
	s_cbranch_execz .LBB671_379
; %bb.378:                              ;   in Loop: Header=BB671_213 Depth=1
	v_and_b32_e32 v47, 7, v42
	v_ffbh_u32_e32 v50, v47
	v_min_u32_e32 v53, 32, v50
	v_subrev_u32_e32 v50, 28, v53
	v_lshlrev_b64 v[50:51], v50, v[42:43]
	v_lshrrev_b32_e32 v52, 3, v40
	v_sub_u32_e32 v51, 29, v53
	v_and_b32_e32 v50, 7, v50
	v_cmp_gt_u32_e32 vcc, 8, v40
	v_cndmask_b32_e32 v40, v52, v51, vcc
	v_cndmask_b32_e32 v47, v47, v50, vcc
	v_lshlrev_b32_e32 v42, 24, v42
	v_lshlrev_b32_e32 v47, 20, v47
	v_and_b32_e32 v42, 0x80000000, v42
	v_lshl_add_u32 v40, v40, 23, v45
	v_or3_b32 v50, v42, v40, v47
.LBB671_379:                            ;   in Loop: Header=BB671_213 Depth=1
	s_or_b64 exec, exec, s[16:17]
.LBB671_380:                            ;   in Loop: Header=BB671_213 Depth=1
	s_or_b64 exec, exec, s[14:15]
.LBB671_381:                            ;   in Loop: Header=BB671_213 Depth=1
	s_or_b64 exec, exec, s[12:13]
	s_waitcnt vmcnt(0)
	v_cmp_ne_u16_sdwa s[14:15], v38, v43 src0_sel:BYTE_0 src1_sel:DWORD
	s_and_saveexec_b64 s[12:13], s[14:15]
	s_cbranch_execz .LBB671_387
; %bb.382:                              ;   in Loop: Header=BB671_213 Depth=1
	v_cmp_ne_u16_sdwa s[16:17], v38, s9 src0_sel:BYTE_0 src1_sel:DWORD
	v_bfrev_b32_e32 v49, 1
	s_and_saveexec_b64 s[14:15], s[16:17]
	s_cbranch_execz .LBB671_386
; %bb.383:                              ;   in Loop: Header=BB671_213 Depth=1
	v_and_b32_e32 v40, 0x7f, v38
	v_cmp_ne_u32_e32 vcc, s19, v40
	v_mov_b32_e32 v49, 0x7f800001
	s_and_saveexec_b64 s[16:17], vcc
	s_cbranch_execz .LBB671_385
; %bb.384:                              ;   in Loop: Header=BB671_213 Depth=1
	v_and_b32_e32 v42, 7, v38
	v_ffbh_u32_e32 v49, v42
	v_min_u32_e32 v49, 32, v49
	v_subrev_u32_e32 v51, 28, v49
	v_lshlrev_b64 v[52:53], v51, v[38:39]
	v_lshrrev_b32_e32 v47, 3, v40
	v_sub_u32_e32 v49, 29, v49
	v_and_b32_e32 v51, 7, v52
	v_cmp_gt_u32_e32 vcc, 8, v40
	v_cndmask_b32_e32 v40, v47, v49, vcc
	v_cndmask_b32_e32 v42, v42, v51, vcc
	v_lshlrev_b32_e32 v47, 24, v38
	v_lshlrev_b32_e32 v42, 20, v42
	v_and_b32_e32 v47, 0x80000000, v47
	v_lshl_add_u32 v40, v40, 23, v45
	v_or3_b32 v49, v47, v40, v42
.LBB671_385:                            ;   in Loop: Header=BB671_213 Depth=1
	s_or_b64 exec, exec, s[16:17]
.LBB671_386:                            ;   in Loop: Header=BB671_213 Depth=1
	s_or_b64 exec, exec, s[14:15]
.LBB671_387:                            ;   in Loop: Header=BB671_213 Depth=1
	s_or_b64 exec, exec, s[12:13]
	v_lshrrev_b16_e32 v40, 8, v38
	v_cmp_ne_u16_e32 vcc, 0, v40
	v_mov_b32_e32 v51, 0
	v_mov_b32_e32 v52, 0
	s_and_saveexec_b64 s[12:13], vcc
	s_cbranch_execz .LBB671_393
; %bb.388:                              ;   in Loop: Header=BB671_213 Depth=1
	v_cmp_ne_u16_e32 vcc, s9, v40
	v_bfrev_b32_e32 v52, 1
	s_and_saveexec_b64 s[14:15], vcc
	s_cbranch_execz .LBB671_392
; %bb.389:                              ;   in Loop: Header=BB671_213 Depth=1
	v_and_b32_e32 v42, 0x7f, v40
	v_cmp_ne_u32_e32 vcc, s19, v42
	v_mov_b32_e32 v52, 0x7f800001
	s_and_saveexec_b64 s[16:17], vcc
	s_cbranch_execz .LBB671_391
; %bb.390:                              ;   in Loop: Header=BB671_213 Depth=1
	v_and_b32_e32 v47, 7, v40
	v_ffbh_u32_e32 v52, v47
	v_min_u32_e32 v65, 32, v52
	v_subrev_u32_e32 v52, 28, v65
	v_lshlrev_b64 v[52:53], v52, v[40:41]
	v_lshrrev_b32_e32 v64, 3, v42
	v_sub_u32_e32 v40, 29, v65
	v_and_b32_e32 v52, 7, v52
	v_cmp_gt_u32_e32 vcc, 8, v42
	v_cndmask_b32_e32 v40, v64, v40, vcc
	v_cndmask_b32_e32 v42, v47, v52, vcc
	v_lshlrev_b32_e32 v47, 16, v38
	v_lshlrev_b32_e32 v42, 20, v42
	v_and_b32_e32 v47, 0x80000000, v47
	v_lshl_add_u32 v40, v40, 23, v45
	v_or3_b32 v52, v47, v40, v42
.LBB671_391:                            ;   in Loop: Header=BB671_213 Depth=1
	s_or_b64 exec, exec, s[16:17]
.LBB671_392:                            ;   in Loop: Header=BB671_213 Depth=1
	s_or_b64 exec, exec, s[14:15]
.LBB671_393:                            ;   in Loop: Header=BB671_213 Depth=1
	s_or_b64 exec, exec, s[12:13]
	v_lshrrev_b32_e32 v40, 16, v38
	v_cmp_ne_u16_sdwa s[14:15], v40, v43 src0_sel:BYTE_0 src1_sel:DWORD
	s_and_saveexec_b64 s[12:13], s[14:15]
	s_cbranch_execz .LBB671_399
; %bb.394:                              ;   in Loop: Header=BB671_213 Depth=1
	v_cmp_ne_u16_sdwa s[16:17], v40, s9 src0_sel:BYTE_0 src1_sel:DWORD
	v_bfrev_b32_e32 v51, 1
	s_and_saveexec_b64 s[14:15], s[16:17]
	s_cbranch_execz .LBB671_398
; %bb.395:                              ;   in Loop: Header=BB671_213 Depth=1
	v_bfe_u32 v42, v38, 16, 7
	v_cmp_ne_u32_e32 vcc, s19, v42
	v_mov_b32_e32 v51, 0x7f800001
	s_and_saveexec_b64 s[16:17], vcc
	s_cbranch_execz .LBB671_397
; %bb.396:                              ;   in Loop: Header=BB671_213 Depth=1
	v_and_b32_e32 v47, 7, v40
	v_ffbh_u32_e32 v53, v47
	v_min_u32_e32 v53, 32, v53
	v_subrev_u32_e32 v64, 28, v53
	v_lshlrev_b64 v[64:65], v64, v[40:41]
	v_lshrrev_b32_e32 v51, 3, v42
	v_sub_u32_e32 v53, 29, v53
	v_and_b32_e32 v64, 7, v64
	v_cmp_gt_u32_e32 vcc, 8, v42
	v_cndmask_b32_e32 v42, v51, v53, vcc
	v_cndmask_b32_e32 v47, v47, v64, vcc
	v_lshlrev_b32_e32 v40, 24, v40
	v_lshlrev_b32_e32 v47, 20, v47
	v_and_b32_e32 v40, 0x80000000, v40
	v_lshl_add_u32 v42, v42, 23, v45
	v_or3_b32 v51, v40, v42, v47
.LBB671_397:                            ;   in Loop: Header=BB671_213 Depth=1
	s_or_b64 exec, exec, s[16:17]
.LBB671_398:                            ;   in Loop: Header=BB671_213 Depth=1
	s_or_b64 exec, exec, s[14:15]
.LBB671_399:                            ;   in Loop: Header=BB671_213 Depth=1
	s_or_b64 exec, exec, s[12:13]
	v_cmp_lt_u32_e32 vcc, s20, v38
	v_mov_b32_e32 v47, 0
	v_mov_b32_e32 v53, 0
	s_and_saveexec_b64 s[12:13], vcc
	s_cbranch_execz .LBB671_405
; %bb.400:                              ;   in Loop: Header=BB671_213 Depth=1
	v_lshrrev_b32_e32 v40, 24, v38
	v_cmp_ne_u32_e32 vcc, s9, v40
	v_bfrev_b32_e32 v53, 1
	s_and_saveexec_b64 s[14:15], vcc
	s_cbranch_execz .LBB671_404
; %bb.401:                              ;   in Loop: Header=BB671_213 Depth=1
	v_bfe_u32 v38, v38, 24, 7
	v_cmp_ne_u32_e32 vcc, s19, v38
	v_mov_b32_e32 v53, 0x7f800001
	s_and_saveexec_b64 s[16:17], vcc
	s_cbranch_execz .LBB671_403
; %bb.402:                              ;   in Loop: Header=BB671_213 Depth=1
	v_and_b32_e32 v42, 7, v40
	v_ffbh_u32_e32 v64, v42
	v_min_u32_e32 v66, 32, v64
	v_subrev_u32_e32 v64, 28, v66
	v_lshlrev_b64 v[64:65], v64, v[40:41]
	v_lshrrev_b32_e32 v53, 3, v38
	v_sub_u32_e32 v65, 29, v66
	v_and_b32_e32 v64, 7, v64
	v_cmp_gt_u32_e32 vcc, 8, v38
	v_cndmask_b32_e32 v38, v53, v65, vcc
	v_cndmask_b32_e32 v42, v42, v64, vcc
	v_lshlrev_b32_e32 v40, 24, v40
	v_lshlrev_b32_e32 v42, 20, v42
	v_and_b32_e32 v40, 0x80000000, v40
	v_lshl_add_u32 v38, v38, 23, v45
	v_or3_b32 v53, v40, v38, v42
.LBB671_403:                            ;   in Loop: Header=BB671_213 Depth=1
	s_or_b64 exec, exec, s[16:17]
.LBB671_404:                            ;   in Loop: Header=BB671_213 Depth=1
	s_or_b64 exec, exec, s[14:15]
.LBB671_405:                            ;   in Loop: Header=BB671_213 Depth=1
	s_or_b64 exec, exec, s[12:13]
	v_cvt_pkrtz_f16_f32 v65, v44, v50
	buffer_load_dword v44, v63, s[0:3], 0 offen
	buffer_load_dword v42, v63, s[0:3], 0 offen offset:4
	buffer_load_dword v40, v63, s[0:3], 0 offen offset:8
	;; [unrolled: 1-line block ×3, first 2 shown]
	v_cvt_pkrtz_f16_f32 v64, v46, v48
	v_cvt_pkrtz_f16_f32 v48, v49, v52
	;; [unrolled: 1-line block ×3, first 2 shown]
	v_mfma_f32_16x16x16f16 v[34:37], v[64:65], v[14:15], v[34:37]
	s_waitcnt vmcnt(3)
	v_cmp_ne_u16_sdwa s[14:15], v44, v43 src0_sel:BYTE_0 src1_sel:DWORD
	v_mfma_f32_16x16x16f16 v[34:37], v[48:49], v[16:17], v[34:37]
	s_and_saveexec_b64 s[12:13], s[14:15]
	s_cbranch_execz .LBB671_411
; %bb.406:                              ;   in Loop: Header=BB671_213 Depth=1
	v_cmp_ne_u16_sdwa s[16:17], v44, s9 src0_sel:BYTE_0 src1_sel:DWORD
	v_bfrev_b32_e32 v47, 1
	s_and_saveexec_b64 s[14:15], s[16:17]
	s_cbranch_execz .LBB671_410
; %bb.407:                              ;   in Loop: Header=BB671_213 Depth=1
	v_and_b32_e32 v46, 0x7f, v44
	v_cmp_ne_u32_e32 vcc, s19, v46
	v_mov_b32_e32 v47, 0x7f800001
	s_and_saveexec_b64 s[16:17], vcc
	s_cbranch_execz .LBB671_409
; %bb.408:                              ;   in Loop: Header=BB671_213 Depth=1
	v_and_b32_e32 v47, 7, v44
	v_ffbh_u32_e32 v48, v47
	v_min_u32_e32 v51, 32, v48
	v_subrev_u32_e32 v48, 28, v51
	v_lshlrev_b64 v[48:49], v48, v[44:45]
	v_lshrrev_b32_e32 v50, 3, v46
	v_sub_u32_e32 v49, 29, v51
	v_and_b32_e32 v48, 7, v48
	v_cmp_gt_u32_e32 vcc, 8, v46
	v_cndmask_b32_e32 v46, v50, v49, vcc
	v_cndmask_b32_e32 v47, v47, v48, vcc
	v_lshlrev_b32_e32 v48, 24, v44
	v_lshlrev_b32_e32 v47, 20, v47
	v_and_b32_e32 v48, 0x80000000, v48
	v_lshl_add_u32 v46, v46, 23, v45
	v_or3_b32 v47, v48, v46, v47
.LBB671_409:                            ;   in Loop: Header=BB671_213 Depth=1
	s_or_b64 exec, exec, s[16:17]
.LBB671_410:                            ;   in Loop: Header=BB671_213 Depth=1
	s_or_b64 exec, exec, s[14:15]
.LBB671_411:                            ;   in Loop: Header=BB671_213 Depth=1
	s_or_b64 exec, exec, s[12:13]
	v_lshrrev_b16_e32 v46, 8, v44
	v_cmp_ne_u16_e32 vcc, 0, v46
	v_mov_b32_e32 v48, 0
	v_mov_b32_e32 v49, 0
	s_and_saveexec_b64 s[12:13], vcc
	s_cbranch_execz .LBB671_417
; %bb.412:                              ;   in Loop: Header=BB671_213 Depth=1
	v_cmp_ne_u16_e32 vcc, s9, v46
	v_bfrev_b32_e32 v49, 1
	s_and_saveexec_b64 s[14:15], vcc
	s_cbranch_execz .LBB671_416
; %bb.413:                              ;   in Loop: Header=BB671_213 Depth=1
	v_and_b32_e32 v50, 0x7f, v46
	v_cmp_ne_u32_e32 vcc, s19, v50
	v_mov_b32_e32 v49, 0x7f800001
	s_and_saveexec_b64 s[16:17], vcc
	s_cbranch_execz .LBB671_415
; %bb.414:                              ;   in Loop: Header=BB671_213 Depth=1
	v_and_b32_e32 v49, 7, v46
	v_ffbh_u32_e32 v52, v49
	v_min_u32_e32 v63, 32, v52
	v_subrev_u32_e32 v52, 28, v63
	v_lshlrev_b64 v[52:53], v52, v[46:47]
	v_lshrrev_b32_e32 v51, 3, v50
	v_sub_u32_e32 v46, 29, v63
	v_and_b32_e32 v52, 7, v52
	v_cmp_gt_u32_e32 vcc, 8, v50
	v_cndmask_b32_e32 v46, v51, v46, vcc
	v_cndmask_b32_e32 v49, v49, v52, vcc
	v_lshlrev_b32_e32 v50, 16, v44
	v_lshlrev_b32_e32 v49, 20, v49
	v_and_b32_e32 v50, 0x80000000, v50
	v_lshl_add_u32 v46, v46, 23, v45
	v_or3_b32 v49, v50, v46, v49
.LBB671_415:                            ;   in Loop: Header=BB671_213 Depth=1
	s_or_b64 exec, exec, s[16:17]
.LBB671_416:                            ;   in Loop: Header=BB671_213 Depth=1
	s_or_b64 exec, exec, s[14:15]
.LBB671_417:                            ;   in Loop: Header=BB671_213 Depth=1
	s_or_b64 exec, exec, s[12:13]
	v_lshrrev_b32_e32 v46, 16, v44
	v_cmp_ne_u16_sdwa s[14:15], v46, v43 src0_sel:BYTE_0 src1_sel:DWORD
	s_and_saveexec_b64 s[12:13], s[14:15]
	s_cbranch_execz .LBB671_423
; %bb.418:                              ;   in Loop: Header=BB671_213 Depth=1
	v_cmp_ne_u16_sdwa s[16:17], v46, s9 src0_sel:BYTE_0 src1_sel:DWORD
	v_bfrev_b32_e32 v48, 1
	s_and_saveexec_b64 s[14:15], s[16:17]
	s_cbranch_execz .LBB671_422
; %bb.419:                              ;   in Loop: Header=BB671_213 Depth=1
	v_bfe_u32 v50, v44, 16, 7
	v_cmp_ne_u32_e32 vcc, s19, v50
	v_mov_b32_e32 v48, 0x7f800001
	s_and_saveexec_b64 s[16:17], vcc
	s_cbranch_execz .LBB671_421
; %bb.420:                              ;   in Loop: Header=BB671_213 Depth=1
	v_and_b32_e32 v48, 7, v46
	v_ffbh_u32_e32 v52, v48
	v_min_u32_e32 v63, 32, v52
	v_subrev_u32_e32 v52, 28, v63
	v_lshlrev_b64 v[52:53], v52, v[46:47]
	v_lshrrev_b32_e32 v51, 3, v50
	v_sub_u32_e32 v53, 29, v63
	v_and_b32_e32 v52, 7, v52
	v_cmp_gt_u32_e32 vcc, 8, v50
	v_cndmask_b32_e32 v50, v51, v53, vcc
	v_cndmask_b32_e32 v48, v48, v52, vcc
	v_lshlrev_b32_e32 v46, 24, v46
	v_lshlrev_b32_e32 v48, 20, v48
	v_and_b32_e32 v46, 0x80000000, v46
	v_lshl_add_u32 v50, v50, 23, v45
	v_or3_b32 v48, v46, v50, v48
.LBB671_421:                            ;   in Loop: Header=BB671_213 Depth=1
	s_or_b64 exec, exec, s[16:17]
.LBB671_422:                            ;   in Loop: Header=BB671_213 Depth=1
	s_or_b64 exec, exec, s[14:15]
.LBB671_423:                            ;   in Loop: Header=BB671_213 Depth=1
	s_or_b64 exec, exec, s[12:13]
	v_cmp_lt_u32_e32 vcc, s20, v44
	v_mov_b32_e32 v50, 0
	v_mov_b32_e32 v51, 0
	s_and_saveexec_b64 s[12:13], vcc
	s_cbranch_execz .LBB671_429
; %bb.424:                              ;   in Loop: Header=BB671_213 Depth=1
	v_lshrrev_b32_e32 v46, 24, v44
	v_cmp_ne_u32_e32 vcc, s9, v46
	v_bfrev_b32_e32 v51, 1
	s_and_saveexec_b64 s[14:15], vcc
	s_cbranch_execz .LBB671_428
; %bb.425:                              ;   in Loop: Header=BB671_213 Depth=1
	v_bfe_u32 v44, v44, 24, 7
	v_cmp_ne_u32_e32 vcc, s19, v44
	v_mov_b32_e32 v51, 0x7f800001
	s_and_saveexec_b64 s[16:17], vcc
	s_cbranch_execz .LBB671_427
; %bb.426:                              ;   in Loop: Header=BB671_213 Depth=1
	v_and_b32_e32 v51, 7, v46
	v_ffbh_u32_e32 v52, v51
	v_min_u32_e32 v64, 32, v52
	v_subrev_u32_e32 v52, 28, v64
	v_lshlrev_b64 v[52:53], v52, v[46:47]
	v_lshrrev_b32_e32 v63, 3, v44
	v_sub_u32_e32 v53, 29, v64
	v_and_b32_e32 v52, 7, v52
	v_cmp_gt_u32_e32 vcc, 8, v44
	v_cndmask_b32_e32 v44, v63, v53, vcc
	v_cndmask_b32_e32 v51, v51, v52, vcc
	v_lshlrev_b32_e32 v46, 24, v46
	v_lshlrev_b32_e32 v51, 20, v51
	v_and_b32_e32 v46, 0x80000000, v46
	v_lshl_add_u32 v44, v44, 23, v45
	v_or3_b32 v51, v46, v44, v51
.LBB671_427:                            ;   in Loop: Header=BB671_213 Depth=1
	s_or_b64 exec, exec, s[16:17]
.LBB671_428:                            ;   in Loop: Header=BB671_213 Depth=1
	s_or_b64 exec, exec, s[14:15]
.LBB671_429:                            ;   in Loop: Header=BB671_213 Depth=1
	s_or_b64 exec, exec, s[12:13]
	s_waitcnt vmcnt(2)
	v_cmp_ne_u16_sdwa s[14:15], v42, v43 src0_sel:BYTE_0 src1_sel:DWORD
	s_and_saveexec_b64 s[12:13], s[14:15]
	s_cbranch_execz .LBB671_435
; %bb.430:                              ;   in Loop: Header=BB671_213 Depth=1
	v_cmp_ne_u16_sdwa s[16:17], v42, s9 src0_sel:BYTE_0 src1_sel:DWORD
	v_bfrev_b32_e32 v50, 1
	s_and_saveexec_b64 s[14:15], s[16:17]
	s_cbranch_execz .LBB671_434
; %bb.431:                              ;   in Loop: Header=BB671_213 Depth=1
	v_and_b32_e32 v44, 0x7f, v42
	v_cmp_ne_u32_e32 vcc, s19, v44
	v_mov_b32_e32 v50, 0x7f800001
	s_and_saveexec_b64 s[16:17], vcc
	s_cbranch_execz .LBB671_433
; %bb.432:                              ;   in Loop: Header=BB671_213 Depth=1
	v_and_b32_e32 v46, 7, v42
	v_ffbh_u32_e32 v52, v46
	v_min_u32_e32 v63, 32, v52
	v_subrev_u32_e32 v52, 28, v63
	v_lshlrev_b64 v[52:53], v52, v[42:43]
	v_lshrrev_b32_e32 v50, 3, v44
	v_sub_u32_e32 v53, 29, v63
	v_and_b32_e32 v52, 7, v52
	v_cmp_gt_u32_e32 vcc, 8, v44
	v_cndmask_b32_e32 v44, v50, v53, vcc
	v_cndmask_b32_e32 v46, v46, v52, vcc
	v_lshlrev_b32_e32 v50, 24, v42
	v_lshlrev_b32_e32 v46, 20, v46
	v_and_b32_e32 v50, 0x80000000, v50
	v_lshl_add_u32 v44, v44, 23, v45
	v_or3_b32 v50, v50, v44, v46
.LBB671_433:                            ;   in Loop: Header=BB671_213 Depth=1
	s_or_b64 exec, exec, s[16:17]
.LBB671_434:                            ;   in Loop: Header=BB671_213 Depth=1
	s_or_b64 exec, exec, s[14:15]
.LBB671_435:                            ;   in Loop: Header=BB671_213 Depth=1
	s_or_b64 exec, exec, s[12:13]
	v_lshrrev_b16_e32 v44, 8, v42
	v_cmp_ne_u16_e32 vcc, 0, v44
	v_mov_b32_e32 v52, 0
	v_mov_b32_e32 v53, 0
	s_and_saveexec_b64 s[12:13], vcc
	s_cbranch_execz .LBB671_441
; %bb.436:                              ;   in Loop: Header=BB671_213 Depth=1
	v_cmp_ne_u16_e32 vcc, s9, v44
	v_bfrev_b32_e32 v53, 1
	s_and_saveexec_b64 s[14:15], vcc
	s_cbranch_execz .LBB671_440
; %bb.437:                              ;   in Loop: Header=BB671_213 Depth=1
	v_and_b32_e32 v46, 0x7f, v44
	v_cmp_ne_u32_e32 vcc, s19, v46
	v_mov_b32_e32 v53, 0x7f800001
	s_and_saveexec_b64 s[16:17], vcc
	s_cbranch_execz .LBB671_439
; %bb.438:                              ;   in Loop: Header=BB671_213 Depth=1
	v_and_b32_e32 v53, 7, v44
	v_ffbh_u32_e32 v64, v53
	v_min_u32_e32 v66, 32, v64
	v_subrev_u32_e32 v64, 28, v66
	v_lshlrev_b64 v[64:65], v64, v[44:45]
	v_lshrrev_b32_e32 v63, 3, v46
	v_sub_u32_e32 v44, 29, v66
	v_and_b32_e32 v64, 7, v64
	v_cmp_gt_u32_e32 vcc, 8, v46
	v_cndmask_b32_e32 v44, v63, v44, vcc
	v_cndmask_b32_e32 v46, v53, v64, vcc
	v_lshlrev_b32_e32 v53, 16, v42
	v_lshlrev_b32_e32 v46, 20, v46
	v_and_b32_e32 v53, 0x80000000, v53
	v_lshl_add_u32 v44, v44, 23, v45
	v_or3_b32 v53, v53, v44, v46
.LBB671_439:                            ;   in Loop: Header=BB671_213 Depth=1
	s_or_b64 exec, exec, s[16:17]
.LBB671_440:                            ;   in Loop: Header=BB671_213 Depth=1
	s_or_b64 exec, exec, s[14:15]
.LBB671_441:                            ;   in Loop: Header=BB671_213 Depth=1
	s_or_b64 exec, exec, s[12:13]
	v_lshrrev_b32_e32 v44, 16, v42
	v_cmp_ne_u16_sdwa s[14:15], v44, v43 src0_sel:BYTE_0 src1_sel:DWORD
	s_and_saveexec_b64 s[12:13], s[14:15]
	s_cbranch_execz .LBB671_447
; %bb.442:                              ;   in Loop: Header=BB671_213 Depth=1
	v_cmp_ne_u16_sdwa s[16:17], v44, s9 src0_sel:BYTE_0 src1_sel:DWORD
	v_bfrev_b32_e32 v52, 1
	s_and_saveexec_b64 s[14:15], s[16:17]
	s_cbranch_execz .LBB671_446
; %bb.443:                              ;   in Loop: Header=BB671_213 Depth=1
	v_bfe_u32 v46, v42, 16, 7
	v_cmp_ne_u32_e32 vcc, s19, v46
	v_mov_b32_e32 v52, 0x7f800001
	s_and_saveexec_b64 s[16:17], vcc
	s_cbranch_execz .LBB671_445
; %bb.444:                              ;   in Loop: Header=BB671_213 Depth=1
	v_and_b32_e32 v52, 7, v44
	v_ffbh_u32_e32 v64, v52
	v_min_u32_e32 v66, 32, v64
	v_subrev_u32_e32 v64, 28, v66
	v_lshlrev_b64 v[64:65], v64, v[44:45]
	v_lshrrev_b32_e32 v63, 3, v46
	v_sub_u32_e32 v65, 29, v66
	v_and_b32_e32 v64, 7, v64
	v_cmp_gt_u32_e32 vcc, 8, v46
	v_cndmask_b32_e32 v46, v63, v65, vcc
	v_cndmask_b32_e32 v52, v52, v64, vcc
	v_lshlrev_b32_e32 v44, 24, v44
	v_lshlrev_b32_e32 v52, 20, v52
	v_and_b32_e32 v44, 0x80000000, v44
	v_lshl_add_u32 v46, v46, 23, v45
	v_or3_b32 v52, v44, v46, v52
.LBB671_445:                            ;   in Loop: Header=BB671_213 Depth=1
	s_or_b64 exec, exec, s[16:17]
.LBB671_446:                            ;   in Loop: Header=BB671_213 Depth=1
	s_or_b64 exec, exec, s[14:15]
.LBB671_447:                            ;   in Loop: Header=BB671_213 Depth=1
	s_or_b64 exec, exec, s[12:13]
	v_cmp_lt_u32_e32 vcc, s20, v42
	v_mov_b32_e32 v46, 0
	v_mov_b32_e32 v63, 0
	s_and_saveexec_b64 s[12:13], vcc
	s_cbranch_execz .LBB671_453
; %bb.448:                              ;   in Loop: Header=BB671_213 Depth=1
	v_lshrrev_b32_e32 v44, 24, v42
	v_cmp_ne_u32_e32 vcc, s9, v44
	v_bfrev_b32_e32 v63, 1
	s_and_saveexec_b64 s[14:15], vcc
	s_cbranch_execz .LBB671_452
; %bb.449:                              ;   in Loop: Header=BB671_213 Depth=1
	v_bfe_u32 v42, v42, 24, 7
	v_cmp_ne_u32_e32 vcc, s19, v42
	v_mov_b32_e32 v63, 0x7f800001
	s_and_saveexec_b64 s[16:17], vcc
	s_cbranch_execz .LBB671_451
; %bb.450:                              ;   in Loop: Header=BB671_213 Depth=1
	v_and_b32_e32 v63, 7, v44
	v_ffbh_u32_e32 v64, v63
	v_min_u32_e32 v67, 32, v64
	v_subrev_u32_e32 v64, 28, v67
	v_lshlrev_b64 v[64:65], v64, v[44:45]
	v_lshrrev_b32_e32 v66, 3, v42
	v_sub_u32_e32 v65, 29, v67
	v_and_b32_e32 v64, 7, v64
	v_cmp_gt_u32_e32 vcc, 8, v42
	v_cndmask_b32_e32 v42, v66, v65, vcc
	v_cndmask_b32_e32 v63, v63, v64, vcc
	v_lshlrev_b32_e32 v44, 24, v44
	v_lshlrev_b32_e32 v63, 20, v63
	v_and_b32_e32 v44, 0x80000000, v44
	v_lshl_add_u32 v42, v42, 23, v45
	v_or3_b32 v63, v44, v42, v63
.LBB671_451:                            ;   in Loop: Header=BB671_213 Depth=1
	s_or_b64 exec, exec, s[16:17]
.LBB671_452:                            ;   in Loop: Header=BB671_213 Depth=1
	s_or_b64 exec, exec, s[14:15]
.LBB671_453:                            ;   in Loop: Header=BB671_213 Depth=1
	s_or_b64 exec, exec, s[12:13]
	v_cvt_pkrtz_f16_f32 v64, v47, v49
	v_cvt_pkrtz_f16_f32 v65, v48, v51
	;; [unrolled: 1-line block ×4, first 2 shown]
	s_waitcnt vmcnt(1)
	v_cmp_ne_u16_sdwa s[14:15], v40, v43 src0_sel:BYTE_0 src1_sel:DWORD
	v_mfma_f32_16x16x16f16 v[34:37], v[64:65], v[18:19], v[34:37]
	v_mfma_f32_16x16x16f16 v[34:37], v[48:49], v[20:21], v[34:37]
	s_and_saveexec_b64 s[12:13], s[14:15]
	s_cbranch_execz .LBB671_459
; %bb.454:                              ;   in Loop: Header=BB671_213 Depth=1
	v_cmp_ne_u16_sdwa s[16:17], v40, s9 src0_sel:BYTE_0 src1_sel:DWORD
	v_bfrev_b32_e32 v46, 1
	s_and_saveexec_b64 s[14:15], s[16:17]
	s_cbranch_execz .LBB671_458
; %bb.455:                              ;   in Loop: Header=BB671_213 Depth=1
	v_and_b32_e32 v42, 0x7f, v40
	v_cmp_ne_u32_e32 vcc, s19, v42
	v_mov_b32_e32 v46, 0x7f800001
	s_and_saveexec_b64 s[16:17], vcc
	s_cbranch_execz .LBB671_457
; %bb.456:                              ;   in Loop: Header=BB671_213 Depth=1
	v_and_b32_e32 v44, 7, v40
	v_ffbh_u32_e32 v46, v44
	v_min_u32_e32 v49, 32, v46
	v_subrev_u32_e32 v46, 28, v49
	v_lshlrev_b64 v[46:47], v46, v[40:41]
	v_lshrrev_b32_e32 v48, 3, v42
	v_sub_u32_e32 v47, 29, v49
	v_and_b32_e32 v46, 7, v46
	v_cmp_gt_u32_e32 vcc, 8, v42
	v_cndmask_b32_e32 v42, v48, v47, vcc
	v_cndmask_b32_e32 v44, v44, v46, vcc
	v_lshlrev_b32_e32 v46, 24, v40
	v_lshlrev_b32_e32 v44, 20, v44
	v_and_b32_e32 v46, 0x80000000, v46
	v_lshl_add_u32 v42, v42, 23, v45
	v_or3_b32 v46, v46, v42, v44
.LBB671_457:                            ;   in Loop: Header=BB671_213 Depth=1
	s_or_b64 exec, exec, s[16:17]
.LBB671_458:                            ;   in Loop: Header=BB671_213 Depth=1
	s_or_b64 exec, exec, s[14:15]
.LBB671_459:                            ;   in Loop: Header=BB671_213 Depth=1
	s_or_b64 exec, exec, s[12:13]
	v_lshrrev_b16_e32 v42, 8, v40
	v_cmp_ne_u16_e32 vcc, 0, v42
	v_mov_b32_e32 v44, 0
	v_mov_b32_e32 v48, 0
	s_and_saveexec_b64 s[12:13], vcc
	s_cbranch_execz .LBB671_465
; %bb.460:                              ;   in Loop: Header=BB671_213 Depth=1
	v_cmp_ne_u16_e32 vcc, s9, v42
	v_bfrev_b32_e32 v48, 1
	s_and_saveexec_b64 s[14:15], vcc
	s_cbranch_execz .LBB671_464
; %bb.461:                              ;   in Loop: Header=BB671_213 Depth=1
	v_and_b32_e32 v47, 0x7f, v42
	v_cmp_ne_u32_e32 vcc, s19, v47
	v_mov_b32_e32 v48, 0x7f800001
	s_and_saveexec_b64 s[16:17], vcc
	s_cbranch_execz .LBB671_463
; %bb.462:                              ;   in Loop: Header=BB671_213 Depth=1
	v_and_b32_e32 v50, 7, v42
	v_ffbh_u32_e32 v48, v50
	v_min_u32_e32 v52, 32, v48
	v_subrev_u32_e32 v48, 28, v52
	v_lshlrev_b64 v[48:49], v48, v[42:43]
	v_lshrrev_b32_e32 v51, 3, v47
	v_sub_u32_e32 v42, 29, v52
	v_and_b32_e32 v48, 7, v48
	v_cmp_gt_u32_e32 vcc, 8, v47
	v_cndmask_b32_e32 v42, v51, v42, vcc
	v_cndmask_b32_e32 v47, v50, v48, vcc
	v_lshlrev_b32_e32 v48, 16, v40
	v_lshlrev_b32_e32 v47, 20, v47
	v_and_b32_e32 v48, 0x80000000, v48
	v_lshl_add_u32 v42, v42, 23, v45
	v_or3_b32 v48, v48, v42, v47
.LBB671_463:                            ;   in Loop: Header=BB671_213 Depth=1
	s_or_b64 exec, exec, s[16:17]
.LBB671_464:                            ;   in Loop: Header=BB671_213 Depth=1
	s_or_b64 exec, exec, s[14:15]
.LBB671_465:                            ;   in Loop: Header=BB671_213 Depth=1
	s_or_b64 exec, exec, s[12:13]
	v_lshrrev_b32_e32 v42, 16, v40
	v_cmp_ne_u16_sdwa s[14:15], v42, v43 src0_sel:BYTE_0 src1_sel:DWORD
	s_and_saveexec_b64 s[12:13], s[14:15]
	s_cbranch_execz .LBB671_471
; %bb.466:                              ;   in Loop: Header=BB671_213 Depth=1
	v_cmp_ne_u16_sdwa s[16:17], v42, s9 src0_sel:BYTE_0 src1_sel:DWORD
	v_bfrev_b32_e32 v44, 1
	s_and_saveexec_b64 s[14:15], s[16:17]
	s_cbranch_execz .LBB671_470
; %bb.467:                              ;   in Loop: Header=BB671_213 Depth=1
	v_bfe_u32 v47, v40, 16, 7
	v_cmp_ne_u32_e32 vcc, s19, v47
	v_mov_b32_e32 v44, 0x7f800001
	s_and_saveexec_b64 s[16:17], vcc
	s_cbranch_execz .LBB671_469
; %bb.468:                              ;   in Loop: Header=BB671_213 Depth=1
	v_and_b32_e32 v44, 7, v42
	v_ffbh_u32_e32 v50, v44
	v_min_u32_e32 v52, 32, v50
	v_subrev_u32_e32 v50, 28, v52
	v_lshlrev_b64 v[50:51], v50, v[42:43]
	v_lshrrev_b32_e32 v49, 3, v47
	v_sub_u32_e32 v51, 29, v52
	v_and_b32_e32 v50, 7, v50
	v_cmp_gt_u32_e32 vcc, 8, v47
	v_cndmask_b32_e32 v47, v49, v51, vcc
	v_cndmask_b32_e32 v44, v44, v50, vcc
	v_lshlrev_b32_e32 v42, 24, v42
	v_lshlrev_b32_e32 v44, 20, v44
	v_and_b32_e32 v42, 0x80000000, v42
	v_lshl_add_u32 v47, v47, 23, v45
	v_or3_b32 v44, v42, v47, v44
.LBB671_469:                            ;   in Loop: Header=BB671_213 Depth=1
	s_or_b64 exec, exec, s[16:17]
.LBB671_470:                            ;   in Loop: Header=BB671_213 Depth=1
	s_or_b64 exec, exec, s[14:15]
.LBB671_471:                            ;   in Loop: Header=BB671_213 Depth=1
	s_or_b64 exec, exec, s[12:13]
	v_cmp_lt_u32_e32 vcc, s20, v40
	v_mov_b32_e32 v49, 0
	v_mov_b32_e32 v50, 0
	s_and_saveexec_b64 s[12:13], vcc
	s_cbranch_execz .LBB671_477
; %bb.472:                              ;   in Loop: Header=BB671_213 Depth=1
	v_lshrrev_b32_e32 v42, 24, v40
	v_cmp_ne_u32_e32 vcc, s9, v42
	v_bfrev_b32_e32 v50, 1
	s_and_saveexec_b64 s[14:15], vcc
	s_cbranch_execz .LBB671_476
; %bb.473:                              ;   in Loop: Header=BB671_213 Depth=1
	v_bfe_u32 v40, v40, 24, 7
	v_cmp_ne_u32_e32 vcc, s19, v40
	v_mov_b32_e32 v50, 0x7f800001
	s_and_saveexec_b64 s[16:17], vcc
	s_cbranch_execz .LBB671_475
; %bb.474:                              ;   in Loop: Header=BB671_213 Depth=1
	v_and_b32_e32 v47, 7, v42
	v_ffbh_u32_e32 v50, v47
	v_min_u32_e32 v53, 32, v50
	v_subrev_u32_e32 v50, 28, v53
	v_lshlrev_b64 v[50:51], v50, v[42:43]
	v_lshrrev_b32_e32 v52, 3, v40
	v_sub_u32_e32 v51, 29, v53
	v_and_b32_e32 v50, 7, v50
	v_cmp_gt_u32_e32 vcc, 8, v40
	v_cndmask_b32_e32 v40, v52, v51, vcc
	v_cndmask_b32_e32 v47, v47, v50, vcc
	v_lshlrev_b32_e32 v42, 24, v42
	v_lshlrev_b32_e32 v47, 20, v47
	v_and_b32_e32 v42, 0x80000000, v42
	v_lshl_add_u32 v40, v40, 23, v45
	v_or3_b32 v50, v42, v40, v47
.LBB671_475:                            ;   in Loop: Header=BB671_213 Depth=1
	s_or_b64 exec, exec, s[16:17]
.LBB671_476:                            ;   in Loop: Header=BB671_213 Depth=1
	s_or_b64 exec, exec, s[14:15]
.LBB671_477:                            ;   in Loop: Header=BB671_213 Depth=1
	s_or_b64 exec, exec, s[12:13]
	s_waitcnt vmcnt(0)
	v_cmp_ne_u16_sdwa s[14:15], v38, v43 src0_sel:BYTE_0 src1_sel:DWORD
	s_and_saveexec_b64 s[12:13], s[14:15]
	s_cbranch_execz .LBB671_483
; %bb.478:                              ;   in Loop: Header=BB671_213 Depth=1
	v_cmp_ne_u16_sdwa s[16:17], v38, s9 src0_sel:BYTE_0 src1_sel:DWORD
	v_bfrev_b32_e32 v49, 1
	s_and_saveexec_b64 s[14:15], s[16:17]
	s_cbranch_execz .LBB671_482
; %bb.479:                              ;   in Loop: Header=BB671_213 Depth=1
	v_and_b32_e32 v40, 0x7f, v38
	v_cmp_ne_u32_e32 vcc, s19, v40
	v_mov_b32_e32 v49, 0x7f800001
	s_and_saveexec_b64 s[16:17], vcc
	s_cbranch_execz .LBB671_481
; %bb.480:                              ;   in Loop: Header=BB671_213 Depth=1
	v_and_b32_e32 v42, 7, v38
	v_ffbh_u32_e32 v49, v42
	v_min_u32_e32 v49, 32, v49
	v_subrev_u32_e32 v51, 28, v49
	v_lshlrev_b64 v[52:53], v51, v[38:39]
	v_lshrrev_b32_e32 v47, 3, v40
	v_sub_u32_e32 v49, 29, v49
	v_and_b32_e32 v51, 7, v52
	v_cmp_gt_u32_e32 vcc, 8, v40
	v_cndmask_b32_e32 v40, v47, v49, vcc
	v_cndmask_b32_e32 v42, v42, v51, vcc
	v_lshlrev_b32_e32 v47, 24, v38
	v_lshlrev_b32_e32 v42, 20, v42
	v_and_b32_e32 v47, 0x80000000, v47
	v_lshl_add_u32 v40, v40, 23, v45
	v_or3_b32 v49, v47, v40, v42
.LBB671_481:                            ;   in Loop: Header=BB671_213 Depth=1
	s_or_b64 exec, exec, s[16:17]
.LBB671_482:                            ;   in Loop: Header=BB671_213 Depth=1
	s_or_b64 exec, exec, s[14:15]
.LBB671_483:                            ;   in Loop: Header=BB671_213 Depth=1
	s_or_b64 exec, exec, s[12:13]
	v_lshrrev_b16_e32 v40, 8, v38
	v_cmp_ne_u16_e32 vcc, 0, v40
	v_mov_b32_e32 v51, 0
	v_mov_b32_e32 v52, 0
	s_and_saveexec_b64 s[12:13], vcc
	s_cbranch_execz .LBB671_489
; %bb.484:                              ;   in Loop: Header=BB671_213 Depth=1
	v_cmp_ne_u16_e32 vcc, s9, v40
	v_bfrev_b32_e32 v52, 1
	s_and_saveexec_b64 s[14:15], vcc
	s_cbranch_execz .LBB671_488
; %bb.485:                              ;   in Loop: Header=BB671_213 Depth=1
	v_and_b32_e32 v42, 0x7f, v40
	v_cmp_ne_u32_e32 vcc, s19, v42
	v_mov_b32_e32 v52, 0x7f800001
	s_and_saveexec_b64 s[16:17], vcc
	s_cbranch_execz .LBB671_487
; %bb.486:                              ;   in Loop: Header=BB671_213 Depth=1
	v_and_b32_e32 v47, 7, v40
	v_ffbh_u32_e32 v52, v47
	v_min_u32_e32 v64, 32, v52
	v_subrev_u32_e32 v52, 28, v64
	v_lshlrev_b64 v[52:53], v52, v[40:41]
	v_lshrrev_b32_e32 v63, 3, v42
	v_sub_u32_e32 v40, 29, v64
	v_and_b32_e32 v52, 7, v52
	v_cmp_gt_u32_e32 vcc, 8, v42
	v_cndmask_b32_e32 v40, v63, v40, vcc
	v_cndmask_b32_e32 v42, v47, v52, vcc
	v_lshlrev_b32_e32 v47, 16, v38
	v_lshlrev_b32_e32 v42, 20, v42
	v_and_b32_e32 v47, 0x80000000, v47
	v_lshl_add_u32 v40, v40, 23, v45
	v_or3_b32 v52, v47, v40, v42
.LBB671_487:                            ;   in Loop: Header=BB671_213 Depth=1
	s_or_b64 exec, exec, s[16:17]
.LBB671_488:                            ;   in Loop: Header=BB671_213 Depth=1
	s_or_b64 exec, exec, s[14:15]
.LBB671_489:                            ;   in Loop: Header=BB671_213 Depth=1
	s_or_b64 exec, exec, s[12:13]
	v_lshrrev_b32_e32 v40, 16, v38
	v_cmp_ne_u16_sdwa s[14:15], v40, v43 src0_sel:BYTE_0 src1_sel:DWORD
	s_and_saveexec_b64 s[12:13], s[14:15]
	s_cbranch_execz .LBB671_495
; %bb.490:                              ;   in Loop: Header=BB671_213 Depth=1
	v_cmp_ne_u16_sdwa s[16:17], v40, s9 src0_sel:BYTE_0 src1_sel:DWORD
	v_bfrev_b32_e32 v51, 1
	s_and_saveexec_b64 s[14:15], s[16:17]
	s_cbranch_execz .LBB671_494
; %bb.491:                              ;   in Loop: Header=BB671_213 Depth=1
	v_bfe_u32 v42, v38, 16, 7
	v_cmp_ne_u32_e32 vcc, s19, v42
	v_mov_b32_e32 v51, 0x7f800001
	s_and_saveexec_b64 s[16:17], vcc
	s_cbranch_execz .LBB671_493
; %bb.492:                              ;   in Loop: Header=BB671_213 Depth=1
	v_and_b32_e32 v47, 7, v40
	v_ffbh_u32_e32 v53, v47
	v_min_u32_e32 v53, 32, v53
	v_subrev_u32_e32 v63, 28, v53
	v_lshlrev_b64 v[64:65], v63, v[40:41]
	v_lshrrev_b32_e32 v51, 3, v42
	v_sub_u32_e32 v53, 29, v53
	v_and_b32_e32 v63, 7, v64
	v_cmp_gt_u32_e32 vcc, 8, v42
	v_cndmask_b32_e32 v42, v51, v53, vcc
	v_cndmask_b32_e32 v47, v47, v63, vcc
	v_lshlrev_b32_e32 v40, 24, v40
	v_lshlrev_b32_e32 v47, 20, v47
	v_and_b32_e32 v40, 0x80000000, v40
	v_lshl_add_u32 v42, v42, 23, v45
	v_or3_b32 v51, v40, v42, v47
.LBB671_493:                            ;   in Loop: Header=BB671_213 Depth=1
	s_or_b64 exec, exec, s[16:17]
.LBB671_494:                            ;   in Loop: Header=BB671_213 Depth=1
	s_or_b64 exec, exec, s[14:15]
.LBB671_495:                            ;   in Loop: Header=BB671_213 Depth=1
	s_or_b64 exec, exec, s[12:13]
	v_cmp_lt_u32_e32 vcc, s20, v38
	v_mov_b32_e32 v47, 0
	v_mov_b32_e32 v53, 0
	s_and_saveexec_b64 s[12:13], vcc
	s_cbranch_execz .LBB671_501
; %bb.496:                              ;   in Loop: Header=BB671_213 Depth=1
	v_lshrrev_b32_e32 v40, 24, v38
	v_cmp_ne_u32_e32 vcc, s9, v40
	v_bfrev_b32_e32 v53, 1
	s_and_saveexec_b64 s[14:15], vcc
	s_cbranch_execz .LBB671_500
; %bb.497:                              ;   in Loop: Header=BB671_213 Depth=1
	v_bfe_u32 v38, v38, 24, 7
	v_cmp_ne_u32_e32 vcc, s19, v38
	v_mov_b32_e32 v53, 0x7f800001
	s_and_saveexec_b64 s[16:17], vcc
	s_cbranch_execz .LBB671_499
; %bb.498:                              ;   in Loop: Header=BB671_213 Depth=1
	v_and_b32_e32 v42, 7, v40
	v_ffbh_u32_e32 v63, v42
	v_min_u32_e32 v63, 32, v63
	v_subrev_u32_e32 v64, 28, v63
	v_lshlrev_b64 v[64:65], v64, v[40:41]
	v_lshrrev_b32_e32 v53, 3, v38
	v_sub_u32_e32 v63, 29, v63
	v_and_b32_e32 v64, 7, v64
	v_cmp_gt_u32_e32 vcc, 8, v38
	v_cndmask_b32_e32 v38, v53, v63, vcc
	v_cndmask_b32_e32 v42, v42, v64, vcc
	v_lshlrev_b32_e32 v40, 24, v40
	v_lshlrev_b32_e32 v42, 20, v42
	v_and_b32_e32 v40, 0x80000000, v40
	v_lshl_add_u32 v38, v38, 23, v45
	v_or3_b32 v53, v40, v38, v42
.LBB671_499:                            ;   in Loop: Header=BB671_213 Depth=1
	s_or_b64 exec, exec, s[16:17]
.LBB671_500:                            ;   in Loop: Header=BB671_213 Depth=1
	s_or_b64 exec, exec, s[14:15]
.LBB671_501:                            ;   in Loop: Header=BB671_213 Depth=1
	s_or_b64 exec, exec, s[12:13]
	v_cvt_pkrtz_f16_f32 v65, v44, v50
	buffer_load_dword v44, v62, s[0:3], 0 offen
	buffer_load_dword v42, v62, s[0:3], 0 offen offset:4
	buffer_load_dword v40, v62, s[0:3], 0 offen offset:8
	buffer_load_dword v38, v62, s[0:3], 0 offen offset:12
	v_cvt_pkrtz_f16_f32 v64, v46, v48
	v_cvt_pkrtz_f16_f32 v48, v49, v52
	;; [unrolled: 1-line block ×3, first 2 shown]
	v_mfma_f32_16x16x16f16 v[34:37], v[64:65], v[22:23], v[34:37]
	s_waitcnt vmcnt(3)
	v_cmp_ne_u16_sdwa s[14:15], v44, v43 src0_sel:BYTE_0 src1_sel:DWORD
	v_mfma_f32_16x16x16f16 v[34:37], v[48:49], v[24:25], v[34:37]
	s_and_saveexec_b64 s[12:13], s[14:15]
	s_cbranch_execz .LBB671_507
; %bb.502:                              ;   in Loop: Header=BB671_213 Depth=1
	v_cmp_ne_u16_sdwa s[16:17], v44, s9 src0_sel:BYTE_0 src1_sel:DWORD
	v_bfrev_b32_e32 v47, 1
	s_and_saveexec_b64 s[14:15], s[16:17]
	s_cbranch_execz .LBB671_506
; %bb.503:                              ;   in Loop: Header=BB671_213 Depth=1
	v_and_b32_e32 v46, 0x7f, v44
	v_cmp_ne_u32_e32 vcc, s19, v46
	v_mov_b32_e32 v47, 0x7f800001
	s_and_saveexec_b64 s[16:17], vcc
	s_cbranch_execz .LBB671_505
; %bb.504:                              ;   in Loop: Header=BB671_213 Depth=1
	v_and_b32_e32 v47, 7, v44
	v_ffbh_u32_e32 v48, v47
	v_min_u32_e32 v51, 32, v48
	v_subrev_u32_e32 v48, 28, v51
	v_lshlrev_b64 v[48:49], v48, v[44:45]
	v_lshrrev_b32_e32 v50, 3, v46
	v_sub_u32_e32 v49, 29, v51
	v_and_b32_e32 v48, 7, v48
	v_cmp_gt_u32_e32 vcc, 8, v46
	v_cndmask_b32_e32 v46, v50, v49, vcc
	v_cndmask_b32_e32 v47, v47, v48, vcc
	v_lshlrev_b32_e32 v48, 24, v44
	v_lshlrev_b32_e32 v47, 20, v47
	v_and_b32_e32 v48, 0x80000000, v48
	v_lshl_add_u32 v46, v46, 23, v45
	v_or3_b32 v47, v48, v46, v47
.LBB671_505:                            ;   in Loop: Header=BB671_213 Depth=1
	s_or_b64 exec, exec, s[16:17]
.LBB671_506:                            ;   in Loop: Header=BB671_213 Depth=1
	s_or_b64 exec, exec, s[14:15]
.LBB671_507:                            ;   in Loop: Header=BB671_213 Depth=1
	s_or_b64 exec, exec, s[12:13]
	v_lshrrev_b16_e32 v46, 8, v44
	v_cmp_ne_u16_e32 vcc, 0, v46
	v_mov_b32_e32 v48, 0
	v_mov_b32_e32 v49, 0
	s_and_saveexec_b64 s[12:13], vcc
	s_cbranch_execz .LBB671_513
; %bb.508:                              ;   in Loop: Header=BB671_213 Depth=1
	v_cmp_ne_u16_e32 vcc, s9, v46
	v_bfrev_b32_e32 v49, 1
	s_and_saveexec_b64 s[14:15], vcc
	s_cbranch_execz .LBB671_512
; %bb.509:                              ;   in Loop: Header=BB671_213 Depth=1
	v_and_b32_e32 v50, 0x7f, v46
	v_cmp_ne_u32_e32 vcc, s19, v50
	v_mov_b32_e32 v49, 0x7f800001
	s_and_saveexec_b64 s[16:17], vcc
	s_cbranch_execz .LBB671_511
; %bb.510:                              ;   in Loop: Header=BB671_213 Depth=1
	v_and_b32_e32 v49, 7, v46
	v_ffbh_u32_e32 v52, v49
	v_min_u32_e32 v62, 32, v52
	v_subrev_u32_e32 v52, 28, v62
	v_lshlrev_b64 v[52:53], v52, v[46:47]
	v_lshrrev_b32_e32 v51, 3, v50
	v_sub_u32_e32 v46, 29, v62
	v_and_b32_e32 v52, 7, v52
	v_cmp_gt_u32_e32 vcc, 8, v50
	v_cndmask_b32_e32 v46, v51, v46, vcc
	v_cndmask_b32_e32 v49, v49, v52, vcc
	v_lshlrev_b32_e32 v50, 16, v44
	v_lshlrev_b32_e32 v49, 20, v49
	v_and_b32_e32 v50, 0x80000000, v50
	v_lshl_add_u32 v46, v46, 23, v45
	v_or3_b32 v49, v50, v46, v49
.LBB671_511:                            ;   in Loop: Header=BB671_213 Depth=1
	s_or_b64 exec, exec, s[16:17]
.LBB671_512:                            ;   in Loop: Header=BB671_213 Depth=1
	s_or_b64 exec, exec, s[14:15]
.LBB671_513:                            ;   in Loop: Header=BB671_213 Depth=1
	s_or_b64 exec, exec, s[12:13]
	v_lshrrev_b32_e32 v46, 16, v44
	v_cmp_ne_u16_sdwa s[14:15], v46, v43 src0_sel:BYTE_0 src1_sel:DWORD
	s_and_saveexec_b64 s[12:13], s[14:15]
	s_cbranch_execz .LBB671_519
; %bb.514:                              ;   in Loop: Header=BB671_213 Depth=1
	v_cmp_ne_u16_sdwa s[16:17], v46, s9 src0_sel:BYTE_0 src1_sel:DWORD
	v_bfrev_b32_e32 v48, 1
	s_and_saveexec_b64 s[14:15], s[16:17]
	s_cbranch_execz .LBB671_518
; %bb.515:                              ;   in Loop: Header=BB671_213 Depth=1
	v_bfe_u32 v50, v44, 16, 7
	v_cmp_ne_u32_e32 vcc, s19, v50
	v_mov_b32_e32 v48, 0x7f800001
	s_and_saveexec_b64 s[16:17], vcc
	s_cbranch_execz .LBB671_517
; %bb.516:                              ;   in Loop: Header=BB671_213 Depth=1
	v_and_b32_e32 v48, 7, v46
	v_ffbh_u32_e32 v52, v48
	v_min_u32_e32 v62, 32, v52
	v_subrev_u32_e32 v52, 28, v62
	v_lshlrev_b64 v[52:53], v52, v[46:47]
	v_lshrrev_b32_e32 v51, 3, v50
	v_sub_u32_e32 v53, 29, v62
	v_and_b32_e32 v52, 7, v52
	v_cmp_gt_u32_e32 vcc, 8, v50
	v_cndmask_b32_e32 v50, v51, v53, vcc
	v_cndmask_b32_e32 v48, v48, v52, vcc
	v_lshlrev_b32_e32 v46, 24, v46
	v_lshlrev_b32_e32 v48, 20, v48
	v_and_b32_e32 v46, 0x80000000, v46
	v_lshl_add_u32 v50, v50, 23, v45
	v_or3_b32 v48, v46, v50, v48
.LBB671_517:                            ;   in Loop: Header=BB671_213 Depth=1
	s_or_b64 exec, exec, s[16:17]
.LBB671_518:                            ;   in Loop: Header=BB671_213 Depth=1
	s_or_b64 exec, exec, s[14:15]
.LBB671_519:                            ;   in Loop: Header=BB671_213 Depth=1
	s_or_b64 exec, exec, s[12:13]
	v_cmp_lt_u32_e32 vcc, s20, v44
	v_mov_b32_e32 v50, 0
	v_mov_b32_e32 v51, 0
	s_and_saveexec_b64 s[12:13], vcc
	s_cbranch_execz .LBB671_525
; %bb.520:                              ;   in Loop: Header=BB671_213 Depth=1
	v_lshrrev_b32_e32 v46, 24, v44
	v_cmp_ne_u32_e32 vcc, s9, v46
	v_bfrev_b32_e32 v51, 1
	s_and_saveexec_b64 s[14:15], vcc
	s_cbranch_execz .LBB671_524
; %bb.521:                              ;   in Loop: Header=BB671_213 Depth=1
	v_bfe_u32 v44, v44, 24, 7
	v_cmp_ne_u32_e32 vcc, s19, v44
	v_mov_b32_e32 v51, 0x7f800001
	s_and_saveexec_b64 s[16:17], vcc
	s_cbranch_execz .LBB671_523
; %bb.522:                              ;   in Loop: Header=BB671_213 Depth=1
	v_and_b32_e32 v51, 7, v46
	v_ffbh_u32_e32 v52, v51
	v_min_u32_e32 v63, 32, v52
	v_subrev_u32_e32 v52, 28, v63
	v_lshlrev_b64 v[52:53], v52, v[46:47]
	v_lshrrev_b32_e32 v62, 3, v44
	v_sub_u32_e32 v53, 29, v63
	v_and_b32_e32 v52, 7, v52
	v_cmp_gt_u32_e32 vcc, 8, v44
	v_cndmask_b32_e32 v44, v62, v53, vcc
	v_cndmask_b32_e32 v51, v51, v52, vcc
	v_lshlrev_b32_e32 v46, 24, v46
	v_lshlrev_b32_e32 v51, 20, v51
	v_and_b32_e32 v46, 0x80000000, v46
	v_lshl_add_u32 v44, v44, 23, v45
	v_or3_b32 v51, v46, v44, v51
.LBB671_523:                            ;   in Loop: Header=BB671_213 Depth=1
	s_or_b64 exec, exec, s[16:17]
.LBB671_524:                            ;   in Loop: Header=BB671_213 Depth=1
	s_or_b64 exec, exec, s[14:15]
.LBB671_525:                            ;   in Loop: Header=BB671_213 Depth=1
	s_or_b64 exec, exec, s[12:13]
	s_waitcnt vmcnt(2)
	v_cmp_ne_u16_sdwa s[14:15], v42, v43 src0_sel:BYTE_0 src1_sel:DWORD
	s_and_saveexec_b64 s[12:13], s[14:15]
	s_cbranch_execz .LBB671_531
; %bb.526:                              ;   in Loop: Header=BB671_213 Depth=1
	v_cmp_ne_u16_sdwa s[16:17], v42, s9 src0_sel:BYTE_0 src1_sel:DWORD
	v_bfrev_b32_e32 v50, 1
	s_and_saveexec_b64 s[14:15], s[16:17]
	s_cbranch_execz .LBB671_530
; %bb.527:                              ;   in Loop: Header=BB671_213 Depth=1
	v_and_b32_e32 v44, 0x7f, v42
	v_cmp_ne_u32_e32 vcc, s19, v44
	v_mov_b32_e32 v50, 0x7f800001
	s_and_saveexec_b64 s[16:17], vcc
	s_cbranch_execz .LBB671_529
; %bb.528:                              ;   in Loop: Header=BB671_213 Depth=1
	v_and_b32_e32 v46, 7, v42
	v_ffbh_u32_e32 v52, v46
	v_min_u32_e32 v62, 32, v52
	v_subrev_u32_e32 v52, 28, v62
	v_lshlrev_b64 v[52:53], v52, v[42:43]
	v_lshrrev_b32_e32 v50, 3, v44
	v_sub_u32_e32 v53, 29, v62
	v_and_b32_e32 v52, 7, v52
	v_cmp_gt_u32_e32 vcc, 8, v44
	v_cndmask_b32_e32 v44, v50, v53, vcc
	v_cndmask_b32_e32 v46, v46, v52, vcc
	v_lshlrev_b32_e32 v50, 24, v42
	v_lshlrev_b32_e32 v46, 20, v46
	v_and_b32_e32 v50, 0x80000000, v50
	v_lshl_add_u32 v44, v44, 23, v45
	v_or3_b32 v50, v50, v44, v46
.LBB671_529:                            ;   in Loop: Header=BB671_213 Depth=1
	s_or_b64 exec, exec, s[16:17]
.LBB671_530:                            ;   in Loop: Header=BB671_213 Depth=1
	s_or_b64 exec, exec, s[14:15]
.LBB671_531:                            ;   in Loop: Header=BB671_213 Depth=1
	s_or_b64 exec, exec, s[12:13]
	v_lshrrev_b16_e32 v44, 8, v42
	v_cmp_ne_u16_e32 vcc, 0, v44
	v_mov_b32_e32 v52, 0
	v_mov_b32_e32 v53, 0
	s_and_saveexec_b64 s[12:13], vcc
	s_cbranch_execz .LBB671_537
; %bb.532:                              ;   in Loop: Header=BB671_213 Depth=1
	v_cmp_ne_u16_e32 vcc, s9, v44
	v_bfrev_b32_e32 v53, 1
	s_and_saveexec_b64 s[14:15], vcc
	s_cbranch_execz .LBB671_536
; %bb.533:                              ;   in Loop: Header=BB671_213 Depth=1
	v_and_b32_e32 v46, 0x7f, v44
	v_cmp_ne_u32_e32 vcc, s19, v46
	v_mov_b32_e32 v53, 0x7f800001
	s_and_saveexec_b64 s[16:17], vcc
	s_cbranch_execz .LBB671_535
; %bb.534:                              ;   in Loop: Header=BB671_213 Depth=1
	v_and_b32_e32 v53, 7, v44
	v_ffbh_u32_e32 v62, v53
	v_min_u32_e32 v65, 32, v62
	v_subrev_u32_e32 v62, 28, v65
	v_lshlrev_b64 v[62:63], v62, v[44:45]
	v_lshrrev_b32_e32 v64, 3, v46
	v_sub_u32_e32 v44, 29, v65
	v_and_b32_e32 v62, 7, v62
	v_cmp_gt_u32_e32 vcc, 8, v46
	v_cndmask_b32_e32 v44, v64, v44, vcc
	v_cndmask_b32_e32 v46, v53, v62, vcc
	v_lshlrev_b32_e32 v53, 16, v42
	v_lshlrev_b32_e32 v46, 20, v46
	v_and_b32_e32 v53, 0x80000000, v53
	v_lshl_add_u32 v44, v44, 23, v45
	v_or3_b32 v53, v53, v44, v46
.LBB671_535:                            ;   in Loop: Header=BB671_213 Depth=1
	s_or_b64 exec, exec, s[16:17]
.LBB671_536:                            ;   in Loop: Header=BB671_213 Depth=1
	s_or_b64 exec, exec, s[14:15]
.LBB671_537:                            ;   in Loop: Header=BB671_213 Depth=1
	s_or_b64 exec, exec, s[12:13]
	v_lshrrev_b32_e32 v44, 16, v42
	v_cmp_ne_u16_sdwa s[14:15], v44, v43 src0_sel:BYTE_0 src1_sel:DWORD
	s_and_saveexec_b64 s[12:13], s[14:15]
	s_cbranch_execz .LBB671_543
; %bb.538:                              ;   in Loop: Header=BB671_213 Depth=1
	v_cmp_ne_u16_sdwa s[16:17], v44, s9 src0_sel:BYTE_0 src1_sel:DWORD
	v_bfrev_b32_e32 v52, 1
	s_and_saveexec_b64 s[14:15], s[16:17]
	s_cbranch_execz .LBB671_542
; %bb.539:                              ;   in Loop: Header=BB671_213 Depth=1
	v_bfe_u32 v46, v42, 16, 7
	v_cmp_ne_u32_e32 vcc, s19, v46
	v_mov_b32_e32 v52, 0x7f800001
	s_and_saveexec_b64 s[16:17], vcc
	s_cbranch_execz .LBB671_541
; %bb.540:                              ;   in Loop: Header=BB671_213 Depth=1
	v_and_b32_e32 v52, 7, v44
	v_ffbh_u32_e32 v62, v52
	v_min_u32_e32 v65, 32, v62
	v_subrev_u32_e32 v62, 28, v65
	v_lshlrev_b64 v[62:63], v62, v[44:45]
	v_lshrrev_b32_e32 v64, 3, v46
	v_sub_u32_e32 v63, 29, v65
	v_and_b32_e32 v62, 7, v62
	v_cmp_gt_u32_e32 vcc, 8, v46
	v_cndmask_b32_e32 v46, v64, v63, vcc
	v_cndmask_b32_e32 v52, v52, v62, vcc
	v_lshlrev_b32_e32 v44, 24, v44
	v_lshlrev_b32_e32 v52, 20, v52
	v_and_b32_e32 v44, 0x80000000, v44
	v_lshl_add_u32 v46, v46, 23, v45
	v_or3_b32 v52, v44, v46, v52
.LBB671_541:                            ;   in Loop: Header=BB671_213 Depth=1
	s_or_b64 exec, exec, s[16:17]
.LBB671_542:                            ;   in Loop: Header=BB671_213 Depth=1
	s_or_b64 exec, exec, s[14:15]
.LBB671_543:                            ;   in Loop: Header=BB671_213 Depth=1
	s_or_b64 exec, exec, s[12:13]
	v_cmp_lt_u32_e32 vcc, s20, v42
	v_mov_b32_e32 v46, 0
	v_mov_b32_e32 v62, 0
	s_and_saveexec_b64 s[12:13], vcc
	s_cbranch_execz .LBB671_549
; %bb.544:                              ;   in Loop: Header=BB671_213 Depth=1
	v_lshrrev_b32_e32 v44, 24, v42
	v_cmp_ne_u32_e32 vcc, s9, v44
	v_bfrev_b32_e32 v62, 1
	s_and_saveexec_b64 s[14:15], vcc
	s_cbranch_execz .LBB671_548
; %bb.545:                              ;   in Loop: Header=BB671_213 Depth=1
	v_bfe_u32 v42, v42, 24, 7
	v_cmp_ne_u32_e32 vcc, s19, v42
	v_mov_b32_e32 v62, 0x7f800001
	s_and_saveexec_b64 s[16:17], vcc
	s_cbranch_execz .LBB671_547
; %bb.546:                              ;   in Loop: Header=BB671_213 Depth=1
	v_and_b32_e32 v64, 7, v44
	v_ffbh_u32_e32 v62, v64
	v_min_u32_e32 v66, 32, v62
	v_subrev_u32_e32 v62, 28, v66
	v_lshlrev_b64 v[62:63], v62, v[44:45]
	v_lshrrev_b32_e32 v65, 3, v42
	v_sub_u32_e32 v63, 29, v66
	v_and_b32_e32 v62, 7, v62
	v_cmp_gt_u32_e32 vcc, 8, v42
	v_cndmask_b32_e32 v42, v65, v63, vcc
	v_cndmask_b32_e32 v62, v64, v62, vcc
	v_lshlrev_b32_e32 v44, 24, v44
	v_lshlrev_b32_e32 v62, 20, v62
	v_and_b32_e32 v44, 0x80000000, v44
	v_lshl_add_u32 v42, v42, 23, v45
	v_or3_b32 v62, v44, v42, v62
.LBB671_547:                            ;   in Loop: Header=BB671_213 Depth=1
	s_or_b64 exec, exec, s[16:17]
.LBB671_548:                            ;   in Loop: Header=BB671_213 Depth=1
	s_or_b64 exec, exec, s[14:15]
.LBB671_549:                            ;   in Loop: Header=BB671_213 Depth=1
	s_or_b64 exec, exec, s[12:13]
	v_cvt_pkrtz_f16_f32 v64, v47, v49
	v_cvt_pkrtz_f16_f32 v65, v48, v51
	;; [unrolled: 1-line block ×4, first 2 shown]
	s_waitcnt vmcnt(1)
	v_cmp_ne_u16_sdwa s[14:15], v40, v43 src0_sel:BYTE_0 src1_sel:DWORD
	v_mfma_f32_16x16x16f16 v[34:37], v[64:65], v[26:27], v[34:37]
	v_mfma_f32_16x16x16f16 v[34:37], v[48:49], v[28:29], v[34:37]
	s_and_saveexec_b64 s[12:13], s[14:15]
	s_cbranch_execz .LBB671_555
; %bb.550:                              ;   in Loop: Header=BB671_213 Depth=1
	v_cmp_ne_u16_sdwa s[16:17], v40, s9 src0_sel:BYTE_0 src1_sel:DWORD
	v_bfrev_b32_e32 v46, 1
	s_and_saveexec_b64 s[14:15], s[16:17]
	s_cbranch_execz .LBB671_554
; %bb.551:                              ;   in Loop: Header=BB671_213 Depth=1
	v_and_b32_e32 v42, 0x7f, v40
	v_cmp_ne_u32_e32 vcc, s19, v42
	v_mov_b32_e32 v46, 0x7f800001
	s_and_saveexec_b64 s[16:17], vcc
	s_cbranch_execz .LBB671_553
; %bb.552:                              ;   in Loop: Header=BB671_213 Depth=1
	v_and_b32_e32 v44, 7, v40
	v_ffbh_u32_e32 v46, v44
	v_min_u32_e32 v49, 32, v46
	v_subrev_u32_e32 v46, 28, v49
	v_lshlrev_b64 v[46:47], v46, v[40:41]
	v_lshrrev_b32_e32 v48, 3, v42
	v_sub_u32_e32 v47, 29, v49
	v_and_b32_e32 v46, 7, v46
	v_cmp_gt_u32_e32 vcc, 8, v42
	v_cndmask_b32_e32 v42, v48, v47, vcc
	v_cndmask_b32_e32 v44, v44, v46, vcc
	v_lshlrev_b32_e32 v46, 24, v40
	v_lshlrev_b32_e32 v44, 20, v44
	v_and_b32_e32 v46, 0x80000000, v46
	v_lshl_add_u32 v42, v42, 23, v45
	v_or3_b32 v46, v46, v42, v44
.LBB671_553:                            ;   in Loop: Header=BB671_213 Depth=1
	s_or_b64 exec, exec, s[16:17]
.LBB671_554:                            ;   in Loop: Header=BB671_213 Depth=1
	s_or_b64 exec, exec, s[14:15]
.LBB671_555:                            ;   in Loop: Header=BB671_213 Depth=1
	s_or_b64 exec, exec, s[12:13]
	v_lshrrev_b16_e32 v42, 8, v40
	v_cmp_ne_u16_e32 vcc, 0, v42
	v_mov_b32_e32 v44, 0
	v_mov_b32_e32 v47, 0
	s_and_saveexec_b64 s[12:13], vcc
	s_cbranch_execz .LBB671_561
; %bb.556:                              ;   in Loop: Header=BB671_213 Depth=1
	v_cmp_ne_u16_e32 vcc, s9, v42
	v_bfrev_b32_e32 v47, 1
	s_and_saveexec_b64 s[14:15], vcc
	s_cbranch_execz .LBB671_560
; %bb.557:                              ;   in Loop: Header=BB671_213 Depth=1
	v_and_b32_e32 v48, 0x7f, v42
	v_cmp_ne_u32_e32 vcc, s19, v48
	v_mov_b32_e32 v47, 0x7f800001
	s_and_saveexec_b64 s[16:17], vcc
	s_cbranch_execz .LBB671_559
; %bb.558:                              ;   in Loop: Header=BB671_213 Depth=1
	v_and_b32_e32 v47, 7, v42
	v_ffbh_u32_e32 v50, v47
	v_min_u32_e32 v52, 32, v50
	v_subrev_u32_e32 v50, 28, v52
	v_lshlrev_b64 v[50:51], v50, v[42:43]
	v_lshrrev_b32_e32 v49, 3, v48
	v_sub_u32_e32 v42, 29, v52
	v_and_b32_e32 v50, 7, v50
	v_cmp_gt_u32_e32 vcc, 8, v48
	v_cndmask_b32_e32 v42, v49, v42, vcc
	v_cndmask_b32_e32 v47, v47, v50, vcc
	v_lshlrev_b32_e32 v48, 16, v40
	v_lshlrev_b32_e32 v47, 20, v47
	v_and_b32_e32 v48, 0x80000000, v48
	v_lshl_add_u32 v42, v42, 23, v45
	v_or3_b32 v47, v48, v42, v47
.LBB671_559:                            ;   in Loop: Header=BB671_213 Depth=1
	s_or_b64 exec, exec, s[16:17]
.LBB671_560:                            ;   in Loop: Header=BB671_213 Depth=1
	s_or_b64 exec, exec, s[14:15]
.LBB671_561:                            ;   in Loop: Header=BB671_213 Depth=1
	s_or_b64 exec, exec, s[12:13]
	v_lshrrev_b32_e32 v42, 16, v40
	v_cmp_ne_u16_sdwa s[14:15], v42, v43 src0_sel:BYTE_0 src1_sel:DWORD
	s_and_saveexec_b64 s[12:13], s[14:15]
	s_cbranch_execz .LBB671_567
; %bb.562:                              ;   in Loop: Header=BB671_213 Depth=1
	v_cmp_ne_u16_sdwa s[16:17], v42, s9 src0_sel:BYTE_0 src1_sel:DWORD
	v_bfrev_b32_e32 v44, 1
	s_and_saveexec_b64 s[14:15], s[16:17]
	s_cbranch_execz .LBB671_566
; %bb.563:                              ;   in Loop: Header=BB671_213 Depth=1
	v_bfe_u32 v48, v40, 16, 7
	v_cmp_ne_u32_e32 vcc, s19, v48
	v_mov_b32_e32 v44, 0x7f800001
	s_and_saveexec_b64 s[16:17], vcc
	s_cbranch_execz .LBB671_565
; %bb.564:                              ;   in Loop: Header=BB671_213 Depth=1
	v_and_b32_e32 v44, 7, v42
	v_ffbh_u32_e32 v50, v44
	v_min_u32_e32 v52, 32, v50
	v_subrev_u32_e32 v50, 28, v52
	v_lshlrev_b64 v[50:51], v50, v[42:43]
	v_lshrrev_b32_e32 v49, 3, v48
	v_sub_u32_e32 v51, 29, v52
	v_and_b32_e32 v50, 7, v50
	v_cmp_gt_u32_e32 vcc, 8, v48
	v_cndmask_b32_e32 v48, v49, v51, vcc
	v_cndmask_b32_e32 v44, v44, v50, vcc
	v_lshlrev_b32_e32 v42, 24, v42
	v_lshlrev_b32_e32 v44, 20, v44
	v_and_b32_e32 v42, 0x80000000, v42
	v_lshl_add_u32 v48, v48, 23, v45
	v_or3_b32 v44, v42, v48, v44
.LBB671_565:                            ;   in Loop: Header=BB671_213 Depth=1
	s_or_b64 exec, exec, s[16:17]
.LBB671_566:                            ;   in Loop: Header=BB671_213 Depth=1
	s_or_b64 exec, exec, s[14:15]
.LBB671_567:                            ;   in Loop: Header=BB671_213 Depth=1
	s_or_b64 exec, exec, s[12:13]
	v_cmp_lt_u32_e32 vcc, s20, v40
	v_mov_b32_e32 v48, 0
	v_mov_b32_e32 v49, 0
	s_and_saveexec_b64 s[12:13], vcc
	s_cbranch_execz .LBB671_573
; %bb.568:                              ;   in Loop: Header=BB671_213 Depth=1
	v_lshrrev_b32_e32 v42, 24, v40
	v_cmp_ne_u32_e32 vcc, s9, v42
	v_bfrev_b32_e32 v49, 1
	s_and_saveexec_b64 s[14:15], vcc
	s_cbranch_execz .LBB671_572
; %bb.569:                              ;   in Loop: Header=BB671_213 Depth=1
	v_bfe_u32 v40, v40, 24, 7
	v_cmp_ne_u32_e32 vcc, s19, v40
	v_mov_b32_e32 v49, 0x7f800001
	s_and_saveexec_b64 s[16:17], vcc
	s_cbranch_execz .LBB671_571
; %bb.570:                              ;   in Loop: Header=BB671_213 Depth=1
	v_and_b32_e32 v49, 7, v42
	v_ffbh_u32_e32 v50, v49
	v_min_u32_e32 v53, 32, v50
	v_subrev_u32_e32 v50, 28, v53
	v_lshlrev_b64 v[50:51], v50, v[42:43]
	v_lshrrev_b32_e32 v52, 3, v40
	v_sub_u32_e32 v51, 29, v53
	v_and_b32_e32 v50, 7, v50
	v_cmp_gt_u32_e32 vcc, 8, v40
	v_cndmask_b32_e32 v40, v52, v51, vcc
	v_cndmask_b32_e32 v49, v49, v50, vcc
	v_lshlrev_b32_e32 v42, 24, v42
	v_lshlrev_b32_e32 v49, 20, v49
	v_and_b32_e32 v42, 0x80000000, v42
	v_lshl_add_u32 v40, v40, 23, v45
	v_or3_b32 v49, v42, v40, v49
.LBB671_571:                            ;   in Loop: Header=BB671_213 Depth=1
	s_or_b64 exec, exec, s[16:17]
.LBB671_572:                            ;   in Loop: Header=BB671_213 Depth=1
	s_or_b64 exec, exec, s[14:15]
.LBB671_573:                            ;   in Loop: Header=BB671_213 Depth=1
	s_or_b64 exec, exec, s[12:13]
	s_waitcnt vmcnt(0)
	v_cmp_ne_u16_sdwa s[14:15], v38, v43 src0_sel:BYTE_0 src1_sel:DWORD
	s_and_saveexec_b64 s[12:13], s[14:15]
	s_cbranch_execz .LBB671_579
; %bb.574:                              ;   in Loop: Header=BB671_213 Depth=1
	v_cmp_ne_u16_sdwa s[16:17], v38, s9 src0_sel:BYTE_0 src1_sel:DWORD
	v_bfrev_b32_e32 v48, 1
	s_and_saveexec_b64 s[14:15], s[16:17]
	s_cbranch_execz .LBB671_578
; %bb.575:                              ;   in Loop: Header=BB671_213 Depth=1
	v_and_b32_e32 v40, 0x7f, v38
	v_cmp_ne_u32_e32 vcc, s19, v40
	v_mov_b32_e32 v48, 0x7f800001
	s_and_saveexec_b64 s[16:17], vcc
	s_cbranch_execz .LBB671_577
; %bb.576:                              ;   in Loop: Header=BB671_213 Depth=1
	v_and_b32_e32 v42, 7, v38
	v_ffbh_u32_e32 v50, v42
	v_min_u32_e32 v52, 32, v50
	v_subrev_u32_e32 v50, 28, v52
	v_lshlrev_b64 v[50:51], v50, v[38:39]
	v_lshrrev_b32_e32 v48, 3, v40
	v_sub_u32_e32 v51, 29, v52
	v_and_b32_e32 v50, 7, v50
	v_cmp_gt_u32_e32 vcc, 8, v40
	v_cndmask_b32_e32 v40, v48, v51, vcc
	v_cndmask_b32_e32 v42, v42, v50, vcc
	v_lshlrev_b32_e32 v48, 24, v38
	v_lshlrev_b32_e32 v42, 20, v42
	v_and_b32_e32 v48, 0x80000000, v48
	v_lshl_add_u32 v40, v40, 23, v45
	v_or3_b32 v48, v48, v40, v42
.LBB671_577:                            ;   in Loop: Header=BB671_213 Depth=1
	s_or_b64 exec, exec, s[16:17]
.LBB671_578:                            ;   in Loop: Header=BB671_213 Depth=1
	s_or_b64 exec, exec, s[14:15]
.LBB671_579:                            ;   in Loop: Header=BB671_213 Depth=1
	s_or_b64 exec, exec, s[12:13]
	v_lshrrev_b16_e32 v40, 8, v38
	v_cmp_ne_u16_e32 vcc, 0, v40
	v_mov_b32_e32 v42, 0
	v_mov_b32_e32 v50, 0
	s_and_saveexec_b64 s[12:13], vcc
	s_cbranch_execz .LBB671_585
; %bb.580:                              ;   in Loop: Header=BB671_213 Depth=1
	v_cmp_ne_u16_e32 vcc, s9, v40
	v_bfrev_b32_e32 v50, 1
	s_and_saveexec_b64 s[14:15], vcc
	s_cbranch_execz .LBB671_584
; %bb.581:                              ;   in Loop: Header=BB671_213 Depth=1
	v_and_b32_e32 v51, 0x7f, v40
	v_cmp_ne_u32_e32 vcc, s19, v51
	v_mov_b32_e32 v50, 0x7f800001
	s_and_saveexec_b64 s[16:17], vcc
	s_cbranch_execz .LBB671_583
; %bb.582:                              ;   in Loop: Header=BB671_213 Depth=1
	v_and_b32_e32 v50, 7, v40
	v_ffbh_u32_e32 v52, v50
	v_min_u32_e32 v63, 32, v52
	v_subrev_u32_e32 v52, 28, v63
	v_lshlrev_b64 v[52:53], v52, v[40:41]
	v_lshrrev_b32_e32 v62, 3, v51
	v_sub_u32_e32 v40, 29, v63
	v_and_b32_e32 v52, 7, v52
	v_cmp_gt_u32_e32 vcc, 8, v51
	v_cndmask_b32_e32 v40, v62, v40, vcc
	v_cndmask_b32_e32 v50, v50, v52, vcc
	v_lshlrev_b32_e32 v51, 16, v38
	v_lshlrev_b32_e32 v50, 20, v50
	v_and_b32_e32 v51, 0x80000000, v51
	v_lshl_add_u32 v40, v40, 23, v45
	v_or3_b32 v50, v51, v40, v50
.LBB671_583:                            ;   in Loop: Header=BB671_213 Depth=1
	s_or_b64 exec, exec, s[16:17]
.LBB671_584:                            ;   in Loop: Header=BB671_213 Depth=1
	s_or_b64 exec, exec, s[14:15]
.LBB671_585:                            ;   in Loop: Header=BB671_213 Depth=1
	s_or_b64 exec, exec, s[12:13]
	v_lshrrev_b32_e32 v40, 16, v38
	v_cmp_ne_u16_sdwa s[14:15], v40, v43 src0_sel:BYTE_0 src1_sel:DWORD
	s_and_saveexec_b64 s[12:13], s[14:15]
	s_cbranch_execz .LBB671_591
; %bb.586:                              ;   in Loop: Header=BB671_213 Depth=1
	v_cmp_ne_u16_sdwa s[16:17], v40, s9 src0_sel:BYTE_0 src1_sel:DWORD
	v_bfrev_b32_e32 v42, 1
	s_and_saveexec_b64 s[14:15], s[16:17]
	s_cbranch_execz .LBB671_590
; %bb.587:                              ;   in Loop: Header=BB671_213 Depth=1
	v_bfe_u32 v51, v38, 16, 7
	v_cmp_ne_u32_e32 vcc, s19, v51
	v_mov_b32_e32 v42, 0x7f800001
	s_and_saveexec_b64 s[16:17], vcc
	s_cbranch_execz .LBB671_589
; %bb.588:                              ;   in Loop: Header=BB671_213 Depth=1
	v_and_b32_e32 v42, 7, v40
	v_ffbh_u32_e32 v52, v42
	v_min_u32_e32 v63, 32, v52
	v_subrev_u32_e32 v52, 28, v63
	v_lshlrev_b64 v[52:53], v52, v[40:41]
	v_lshrrev_b32_e32 v62, 3, v51
	v_sub_u32_e32 v53, 29, v63
	v_and_b32_e32 v52, 7, v52
	v_cmp_gt_u32_e32 vcc, 8, v51
	v_cndmask_b32_e32 v51, v62, v53, vcc
	v_cndmask_b32_e32 v42, v42, v52, vcc
	v_lshlrev_b32_e32 v40, 24, v40
	v_lshlrev_b32_e32 v42, 20, v42
	v_and_b32_e32 v40, 0x80000000, v40
	v_lshl_add_u32 v51, v51, 23, v45
	v_or3_b32 v42, v40, v51, v42
.LBB671_589:                            ;   in Loop: Header=BB671_213 Depth=1
	s_or_b64 exec, exec, s[16:17]
.LBB671_590:                            ;   in Loop: Header=BB671_213 Depth=1
	s_or_b64 exec, exec, s[14:15]
.LBB671_591:                            ;   in Loop: Header=BB671_213 Depth=1
	s_or_b64 exec, exec, s[12:13]
	v_cmp_lt_u32_e32 vcc, s20, v38
	v_mov_b32_e32 v51, 0
	s_and_saveexec_b64 s[12:13], vcc
	s_cbranch_execz .LBB671_212
; %bb.592:                              ;   in Loop: Header=BB671_213 Depth=1
	v_lshrrev_b32_e32 v40, 24, v38
	v_cmp_ne_u32_e32 vcc, s9, v40
	v_bfrev_b32_e32 v51, 1
	s_and_saveexec_b64 s[14:15], vcc
	s_cbranch_execz .LBB671_211
; %bb.593:                              ;   in Loop: Header=BB671_213 Depth=1
	v_bfe_u32 v38, v38, 24, 7
	v_cmp_ne_u32_e32 vcc, s19, v38
	v_mov_b32_e32 v51, 0x7f800001
	s_and_saveexec_b64 s[16:17], vcc
	s_cbranch_execz .LBB671_210
; %bb.594:                              ;   in Loop: Header=BB671_213 Depth=1
	v_and_b32_e32 v51, 7, v40
	v_ffbh_u32_e32 v52, v51
	v_min_u32_e32 v63, 32, v52
	v_subrev_u32_e32 v52, 28, v63
	v_lshlrev_b64 v[52:53], v52, v[40:41]
	v_lshrrev_b32_e32 v62, 3, v38
	v_sub_u32_e32 v53, 29, v63
	v_and_b32_e32 v52, 7, v52
	v_cmp_gt_u32_e32 vcc, 8, v38
	v_cndmask_b32_e32 v38, v62, v53, vcc
	v_cndmask_b32_e32 v51, v51, v52, vcc
	v_lshlrev_b32_e32 v40, 24, v40
	v_lshlrev_b32_e32 v51, 20, v51
	v_and_b32_e32 v40, 0x80000000, v40
	v_lshl_add_u32 v38, v38, 23, v45
	v_or3_b32 v51, v40, v38, v51
	s_branch .LBB671_210
.LBB671_595:
	s_barrier
	buffer_load_dword v2, off, s[0:3], 0 offset:320
	buffer_load_dword v5, off, s[0:3], 0 offset:332
	buffer_load_dword v3, off, s[0:3], 0 offset:324
	buffer_load_dword v4, off, s[0:3], 0 offset:328
	v_cmp_gt_u32_e32 vcc, 64, v0
	v_cmp_gt_u32_e64 s[4:5], 32, v57
	s_and_b64 s[4:5], vcc, s[4:5]
	s_waitcnt vmcnt(0)
	ds_write2st64_b64 v39, v[2:3], v[4:5] offset1:1
	s_waitcnt lgkmcnt(0)
	s_barrier
	s_and_saveexec_b64 s[6:7], s[4:5]
	s_cbranch_execz .LBB671_597
; %bb.596:
	s_mul_i32 s4, s18, s8
	s_lshl_b32 s6, s50, 7
	s_mul_hi_u32 s5, s4, s6
	s_mul_i32 s4, s4, s6
	v_lshlrev_b32_e32 v4, 6, v55
	s_lshl_b64 s[4:5], s[4:5], 1
	v_lshl_or_b32 v0, v0, 10, v4
	s_add_u32 s7, s48, s4
	v_lshlrev_b32_e32 v2, 5, v54
	v_and_b32_e32 v3, 16, v56
	v_and_b32_e32 v0, 0x1a00, v0
	s_addc_u32 s8, s49, s5
	s_lshl_b32 s4, s24, 7
	s_mov_b32 s5, 0
	v_or3_b32 v0, v0, v2, v3
	s_lshl_b64 s[4:5], s[4:5], 1
	ds_read_b128 v[2:5], v0
	s_add_u32 s7, s7, s4
	v_or_b32_e32 v0, s25, v54
	s_addc_u32 s8, s8, s5
	v_mad_u64_u32 v[6:7], s[4:5], s6, v0, 0
	v_lshlrev_b64 v[6:7], 1, v[6:7]
	v_mov_b32_e32 v0, s8
	v_add_co_u32_e32 v6, vcc, s7, v6
	v_addc_co_u32_e32 v7, vcc, v0, v7, vcc
	v_add_co_u32_e32 v0, vcc, v6, v1
	v_addc_co_u32_e32 v1, vcc, 0, v7, vcc
	s_waitcnt lgkmcnt(0)
	global_store_dwordx4 v[0:1], v[2:5], off
.LBB671_597:
	s_endpgm
	.section	.rodata,"a",@progbits
	.p2align	6, 0x0
	.amdhsa_kernel _Z39paged_attention_ll4mi_QKV_mfma16_kernelIDF16_hLN4vllm18Fp8KVCacheDataTypeE1EDF16_Li32ELi128ELi256ELb0ELi2EL8MFMAType0EEvPKT_PKT0_S8_ifPKiSA_SA_iPKfiiiPfSD_PS3_PT2_iSC_SC_
		.amdhsa_group_segment_fixed_size 8192
		.amdhsa_private_segment_fixed_size 352
		.amdhsa_kernarg_size 400
		.amdhsa_user_sgpr_count 8
		.amdhsa_user_sgpr_private_segment_buffer 1
		.amdhsa_user_sgpr_dispatch_ptr 0
		.amdhsa_user_sgpr_queue_ptr 0
		.amdhsa_user_sgpr_kernarg_segment_ptr 1
		.amdhsa_user_sgpr_dispatch_id 0
		.amdhsa_user_sgpr_flat_scratch_init 1
		.amdhsa_user_sgpr_kernarg_preload_length 0
		.amdhsa_user_sgpr_kernarg_preload_offset 0
		.amdhsa_user_sgpr_private_segment_size 0
		.amdhsa_uses_dynamic_stack 0
		.amdhsa_system_sgpr_private_segment_wavefront_offset 1
		.amdhsa_system_sgpr_workgroup_id_x 1
		.amdhsa_system_sgpr_workgroup_id_y 1
		.amdhsa_system_sgpr_workgroup_id_z 1
		.amdhsa_system_sgpr_workgroup_info 0
		.amdhsa_system_vgpr_workitem_id 0
		.amdhsa_next_free_vgpr 80
		.amdhsa_next_free_sgpr 53
		.amdhsa_accum_offset 80
		.amdhsa_reserve_vcc 1
		.amdhsa_reserve_flat_scratch 0
		.amdhsa_float_round_mode_32 0
		.amdhsa_float_round_mode_16_64 0
		.amdhsa_float_denorm_mode_32 3
		.amdhsa_float_denorm_mode_16_64 3
		.amdhsa_dx10_clamp 1
		.amdhsa_ieee_mode 1
		.amdhsa_fp16_overflow 0
		.amdhsa_tg_split 0
		.amdhsa_exception_fp_ieee_invalid_op 0
		.amdhsa_exception_fp_denorm_src 0
		.amdhsa_exception_fp_ieee_div_zero 0
		.amdhsa_exception_fp_ieee_overflow 0
		.amdhsa_exception_fp_ieee_underflow 0
		.amdhsa_exception_fp_ieee_inexact 0
		.amdhsa_exception_int_div_zero 0
	.end_amdhsa_kernel
	.section	.text._Z39paged_attention_ll4mi_QKV_mfma16_kernelIDF16_hLN4vllm18Fp8KVCacheDataTypeE1EDF16_Li32ELi128ELi256ELb0ELi2EL8MFMAType0EEvPKT_PKT0_S8_ifPKiSA_SA_iPKfiiiPfSD_PS3_PT2_iSC_SC_,"axG",@progbits,_Z39paged_attention_ll4mi_QKV_mfma16_kernelIDF16_hLN4vllm18Fp8KVCacheDataTypeE1EDF16_Li32ELi128ELi256ELb0ELi2EL8MFMAType0EEvPKT_PKT0_S8_ifPKiSA_SA_iPKfiiiPfSD_PS3_PT2_iSC_SC_,comdat
.Lfunc_end671:
	.size	_Z39paged_attention_ll4mi_QKV_mfma16_kernelIDF16_hLN4vllm18Fp8KVCacheDataTypeE1EDF16_Li32ELi128ELi256ELb0ELi2EL8MFMAType0EEvPKT_PKT0_S8_ifPKiSA_SA_iPKfiiiPfSD_PS3_PT2_iSC_SC_, .Lfunc_end671-_Z39paged_attention_ll4mi_QKV_mfma16_kernelIDF16_hLN4vllm18Fp8KVCacheDataTypeE1EDF16_Li32ELi128ELi256ELb0ELi2EL8MFMAType0EEvPKT_PKT0_S8_ifPKiSA_SA_iPKfiiiPfSD_PS3_PT2_iSC_SC_
                                        ; -- End function
	.section	.AMDGPU.csdata,"",@progbits
; Kernel info:
; codeLenInByte = 21140
; NumSgprs: 57
; NumVgprs: 80
; NumAgprs: 0
; TotalNumVgprs: 80
; ScratchSize: 352
; MemoryBound: 0
; FloatMode: 240
; IeeeMode: 1
; LDSByteSize: 8192 bytes/workgroup (compile time only)
; SGPRBlocks: 7
; VGPRBlocks: 9
; NumSGPRsForWavesPerEU: 57
; NumVGPRsForWavesPerEU: 80
; AccumOffset: 80
; Occupancy: 6
; WaveLimiterHint : 1
; COMPUTE_PGM_RSRC2:SCRATCH_EN: 1
; COMPUTE_PGM_RSRC2:USER_SGPR: 8
; COMPUTE_PGM_RSRC2:TRAP_HANDLER: 0
; COMPUTE_PGM_RSRC2:TGID_X_EN: 1
; COMPUTE_PGM_RSRC2:TGID_Y_EN: 1
; COMPUTE_PGM_RSRC2:TGID_Z_EN: 1
; COMPUTE_PGM_RSRC2:TIDIG_COMP_CNT: 0
; COMPUTE_PGM_RSRC3_GFX90A:ACCUM_OFFSET: 19
; COMPUTE_PGM_RSRC3_GFX90A:TG_SPLIT: 0
	.section	.text._Z39paged_attention_ll4mi_QKV_mfma16_kernelIDF16_hLN4vllm18Fp8KVCacheDataTypeE1EDF16_Li32ELi128ELi256ELb0ELi3EL8MFMAType0EEvPKT_PKT0_S8_ifPKiSA_SA_iPKfiiiPfSD_PS3_PT2_iSC_SC_,"axG",@progbits,_Z39paged_attention_ll4mi_QKV_mfma16_kernelIDF16_hLN4vllm18Fp8KVCacheDataTypeE1EDF16_Li32ELi128ELi256ELb0ELi3EL8MFMAType0EEvPKT_PKT0_S8_ifPKiSA_SA_iPKfiiiPfSD_PS3_PT2_iSC_SC_,comdat
	.protected	_Z39paged_attention_ll4mi_QKV_mfma16_kernelIDF16_hLN4vllm18Fp8KVCacheDataTypeE1EDF16_Li32ELi128ELi256ELb0ELi3EL8MFMAType0EEvPKT_PKT0_S8_ifPKiSA_SA_iPKfiiiPfSD_PS3_PT2_iSC_SC_ ; -- Begin function _Z39paged_attention_ll4mi_QKV_mfma16_kernelIDF16_hLN4vllm18Fp8KVCacheDataTypeE1EDF16_Li32ELi128ELi256ELb0ELi3EL8MFMAType0EEvPKT_PKT0_S8_ifPKiSA_SA_iPKfiiiPfSD_PS3_PT2_iSC_SC_
	.globl	_Z39paged_attention_ll4mi_QKV_mfma16_kernelIDF16_hLN4vllm18Fp8KVCacheDataTypeE1EDF16_Li32ELi128ELi256ELb0ELi3EL8MFMAType0EEvPKT_PKT0_S8_ifPKiSA_SA_iPKfiiiPfSD_PS3_PT2_iSC_SC_
	.p2align	8
	.type	_Z39paged_attention_ll4mi_QKV_mfma16_kernelIDF16_hLN4vllm18Fp8KVCacheDataTypeE1EDF16_Li32ELi128ELi256ELb0ELi3EL8MFMAType0EEvPKT_PKT0_S8_ifPKiSA_SA_iPKfiiiPfSD_PS3_PT2_iSC_SC_,@function
_Z39paged_attention_ll4mi_QKV_mfma16_kernelIDF16_hLN4vllm18Fp8KVCacheDataTypeE1EDF16_Li32ELi128ELi256ELb0ELi3EL8MFMAType0EEvPKT_PKT0_S8_ifPKiSA_SA_iPKfiiiPfSD_PS3_PT2_iSC_SC_: ; @_Z39paged_attention_ll4mi_QKV_mfma16_kernelIDF16_hLN4vllm18Fp8KVCacheDataTypeE1EDF16_Li32ELi128ELi256ELb0ELi3EL8MFMAType0EEvPKT_PKT0_S8_ifPKiSA_SA_iPKfiiiPfSD_PS3_PT2_iSC_SC_
; %bb.0:
	s_load_dwordx2 s[6:7], s[4:5], 0x30
	s_add_u32 s0, s0, s11
	s_addc_u32 s1, s1, 0
	s_mov_b32 s24, s9
	s_mov_b64 s[12:13], 0
	s_waitcnt lgkmcnt(0)
	s_cmp_lg_u64 s[6:7], 0
	s_cselect_b64 s[16:17], -1, 0
	s_and_b64 vcc, exec, s[16:17]
	s_cbranch_vccz .LBB672_7
; %bb.1:
	s_add_i32 s14, s8, 1
	s_mov_b32 s15, 0
	s_lshl_b64 s[18:19], s[14:15], 2
	s_add_u32 s18, s6, s18
	s_mov_b32 s9, s15
	s_addc_u32 s19, s7, s19
	s_lshl_b64 s[14:15], s[8:9], 2
	s_add_u32 s14, s6, s14
	s_addc_u32 s15, s7, s15
	s_load_dword s11, s[18:19], 0x0
	s_load_dword s20, s[14:15], 0x0
	s_waitcnt lgkmcnt(0)
	s_sub_i32 s11, s11, s20
	s_cmp_eq_u32 s11, 1
	s_cselect_b64 s[14:15], -1, 0
	s_andn2_b64 vcc, exec, s[12:13]
	s_cbranch_vccnz .LBB672_3
.LBB672_2:
	s_mov_b32 s9, 0
	s_mov_b64 s[14:15], -1
.LBB672_3:
	s_andn2_b64 vcc, exec, s[14:15]
	s_cbranch_vccnz .LBB672_597
; %bb.4:
	s_load_dwordx2 s[12:13], s[4:5], 0x28
	s_lshl_b64 s[18:19], s[8:9], 2
	s_waitcnt lgkmcnt(0)
	s_add_u32 s12, s12, s18
	s_addc_u32 s13, s13, s19
	s_load_dword s33, s[12:13], 0x0
	s_lshl_b32 s20, s24, 8
	s_waitcnt lgkmcnt(0)
	s_cmp_ge_i32 s20, s33
	s_cbranch_scc1 .LBB672_597
; %bb.5:
	s_add_i32 s14, s33, 31
	s_load_dwordx2 s[12:13], s[4:5], 0x20
	s_load_dword s11, s[4:5], 0x38
	s_ashr_i32 s15, s14, 31
	v_and_b32_e32 v1, 0xcf, v0
	s_lshr_b32 s15, s15, 27
	v_add_u32_e32 v1, s20, v1
	s_add_i32 s14, s14, s15
	v_ashrrev_i32_e32 v2, 31, v1
	s_ashr_i32 s22, s14, 5
	v_lshrrev_b32_e32 v10, 27, v2
	s_add_i32 s22, s22, -1
	v_add_u32_e32 v2, v1, v10
	s_waitcnt lgkmcnt(0)
	s_mul_i32 s14, s8, s11
	s_mov_b32 s15, 0
	v_ashrrev_i32_e32 v2, 5, v2
	v_mov_b32_e32 v11, s22
	v_cmp_gt_i32_e32 vcc, s33, v1
	s_lshl_b64 s[14:15], s[14:15], 2
	v_cndmask_b32_e32 v2, v11, v2, vcc
	s_add_u32 s11, s12, s14
	v_ashrrev_i32_e32 v3, 31, v2
	s_addc_u32 s21, s13, s15
	v_lshlrev_b64 v[2:3], 2, v[2:3]
	v_mov_b32_e32 v5, s21
	v_add_co_u32_e32 v4, vcc, s11, v2
	v_or_b32_e32 v2, 16, v1
	v_addc_co_u32_e32 v5, vcc, v5, v3, vcc
	v_add_u32_e32 v3, v2, v10
	v_ashrrev_i32_e32 v3, 5, v3
	v_cmp_gt_i32_e32 vcc, s33, v2
	v_cndmask_b32_e32 v2, v11, v3, vcc
	v_ashrrev_i32_e32 v3, 31, v2
	v_lshlrev_b64 v[2:3], 2, v[2:3]
	v_mov_b32_e32 v7, s21
	v_add_co_u32_e32 v6, vcc, s11, v2
	v_or_b32_e32 v2, 32, v1
	v_addc_co_u32_e32 v7, vcc, v7, v3, vcc
	v_add_u32_e32 v3, v2, v10
	v_ashrrev_i32_e32 v3, 5, v3
	v_cmp_gt_i32_e32 vcc, s33, v2
	v_cndmask_b32_e32 v2, v11, v3, vcc
	v_ashrrev_i32_e32 v3, 31, v2
	;; [unrolled: 10-line block ×3, first 2 shown]
	v_lshlrev_b64 v[2:3], 2, v[2:3]
	v_mov_b32_e32 v1, s21
	v_add_co_u32_e32 v10, vcc, s11, v2
	v_addc_co_u32_e32 v11, vcc, v1, v3, vcc
	global_load_dword v2, v[4:5], off
	global_load_dword v13, v[6:7], off
	;; [unrolled: 1-line block ×4, first 2 shown]
	s_load_dwordx4 s[12:15], s[4:5], 0x8
	s_andn2_b64 vcc, exec, s[16:17]
	s_cbranch_vccnz .LBB672_8
; %bb.6:
	s_add_u32 s6, s6, s18
	s_addc_u32 s7, s7, s19
	s_load_dword s16, s[6:7], 0x0
	s_branch .LBB672_9
.LBB672_7:
	s_mov_b64 s[14:15], 0
	s_branch .LBB672_2
.LBB672_8:
	s_mov_b32 s16, s8
.LBB672_9:
	s_load_dwordx2 s[48:49], s[4:5], 0x68
	s_load_dwordx8 s[40:47], s[4:5], 0x48
	v_lshrrev_b32_e32 v63, 6, v0
	v_bfe_u32 v55, v0, 4, 2
	v_and_b32_e32 v56, 15, v0
	s_mul_i32 s25, s10, 3
	v_lshl_or_b32 v3, v63, 2, v55
	v_lshlrev_b32_e32 v1, 3, v56
	v_add_u32_e32 v54, s25, v55
	v_cmp_gt_u32_e32 vcc, 3, v3
	v_lshlrev_b32_e32 v1, 1, v1
	v_lshlrev_b32_e32 v57, 4, v0
	s_and_saveexec_b64 s[6:7], vcc
	s_cbranch_execz .LBB672_11
; %bb.10:
	s_load_dwordx2 s[18:19], s[4:5], 0x0
	s_waitcnt lgkmcnt(0)
	s_ashr_i32 s17, s40, 31
	s_mul_hi_u32 s23, s16, s40
	s_mul_i32 s17, s16, s17
	s_add_i32 s17, s23, s17
	s_mul_i32 s16, s16, s40
	s_lshl_b64 s[16:17], s[16:17], 1
	v_lshlrev_b32_e32 v4, 7, v54
	s_add_u32 s16, s18, s16
	v_ashrrev_i32_e32 v5, 31, v4
	s_addc_u32 s17, s19, s17
	v_lshlrev_b64 v[4:5], 1, v[4:5]
	v_mov_b32_e32 v6, s17
	v_add_co_u32_e32 v4, vcc, s16, v4
	v_addc_co_u32_e32 v5, vcc, v6, v5, vcc
	v_add_co_u32_e32 v4, vcc, v4, v1
	v_addc_co_u32_e32 v5, vcc, 0, v5, vcc
	global_load_dwordx4 v[4:7], v[4:5], off
	v_lshlrev_b32_e32 v9, 8, v0
	v_lshlrev_b32_e32 v8, 8, v56
	v_and_b32_e32 v9, 0x600, v9
	s_movk_i32 s16, 0x800
	v_and_or_b32 v8, v8, s16, v9
	v_lshlrev_b32_e32 v3, 5, v3
	v_and_b32_e32 v9, 16, v57
	v_or3_b32 v3, v8, v3, v9
	s_waitcnt vmcnt(0)
	ds_write_b128 v3, v[4:7]
.LBB672_11:
	s_or_b64 exec, exec, s[6:7]
	s_waitcnt lgkmcnt(0)
	s_mul_i32 s10, s10, s42
	s_add_u32 s6, s12, s10
	s_addc_u32 s7, s13, 0
	v_pk_mov_b32 v[22:23], s[6:7], s[6:7] op_sel:[0,1]
	s_waitcnt vmcnt(3)
	v_mad_i64_i32 v[2:3], s[6:7], v2, s41, v[22:23]
	v_lshlrev_b32_e32 v18, 4, v56
	v_and_b32_e32 v6, 48, v0
	v_add_co_u32_e32 v2, vcc, v2, v18
	v_lshlrev_b32_e32 v25, 5, v6
	v_addc_co_u32_e32 v3, vcc, 0, v3, vcc
	s_ashr_i32 s6, s20, 31
	v_add_co_u32_e32 v10, vcc, v2, v25
	v_or_b32_e32 v16, s20, v6
	s_lshr_b32 s6, s6, 27
	v_addc_co_u32_e32 v11, vcc, 0, v3, vcc
	v_add_u32_e32 v6, s6, v16
	v_ashrrev_i32_e32 v6, 5, v6
	v_mov_b32_e32 v17, s22
	v_cmp_gt_i32_e32 vcc, s33, v16
	v_cndmask_b32_e32 v6, v17, v6, vcc
	v_ashrrev_i32_e32 v7, 31, v6
	v_lshlrev_b64 v[6:7], 2, v[6:7]
	v_mov_b32_e32 v8, s21
	v_add_co_u32_e32 v6, vcc, s11, v6
	v_addc_co_u32_e32 v7, vcc, v8, v7, vcc
	v_or_b32_e32 v8, 64, v16
	v_add_u32_e32 v9, s6, v8
	v_ashrrev_i32_e32 v9, 5, v9
	v_cmp_gt_i32_e32 vcc, s33, v8
	v_cndmask_b32_e32 v8, v17, v9, vcc
	v_ashrrev_i32_e32 v9, 31, v8
	s_load_dwordx2 s[50:51], s[4:5], 0x94
	s_waitcnt lgkmcnt(0)
	s_barrier
	global_load_dwordx4 v[2:5], v[10:11], off
	v_lshlrev_b64 v[8:9], 2, v[8:9]
	v_mov_b32_e32 v14, s21
	v_add_co_u32_e32 v8, vcc, s11, v8
	v_addc_co_u32_e32 v9, vcc, v14, v9, vcc
	v_or_b32_e32 v14, 0x80, v16
	v_add_u32_e32 v15, s6, v14
	v_ashrrev_i32_e32 v15, 5, v15
	v_cmp_gt_i32_e32 vcc, s33, v14
	v_cndmask_b32_e32 v14, v17, v15, vcc
	v_ashrrev_i32_e32 v15, 31, v14
	v_lshlrev_b64 v[14:15], 2, v[14:15]
	v_mov_b32_e32 v19, s21
	v_add_co_u32_e32 v14, vcc, s11, v14
	v_addc_co_u32_e32 v15, vcc, v19, v15, vcc
	global_load_dword v50, v[6:7], off
	global_load_dword v58, v[8:9], off
	;; [unrolled: 1-line block ×3, first 2 shown]
	v_or_b32_e32 v6, 0xc0, v16
	v_add_u32_e32 v7, s6, v6
	v_ashrrev_i32_e32 v7, 5, v7
	v_cmp_gt_i32_e32 vcc, s33, v6
	v_cndmask_b32_e32 v6, v17, v7, vcc
	v_ashrrev_i32_e32 v7, 31, v6
	v_lshlrev_b64 v[6:7], 2, v[6:7]
	v_mov_b32_e32 v8, s21
	v_add_co_u32_e32 v14, vcc, s11, v6
	v_addc_co_u32_e32 v15, vcc, v8, v7, vcc
	global_load_dword v61, v[14:15], off
	global_load_dwordx4 v[6:9], v[10:11], off offset:2048
	s_waitcnt vmcnt(8)
	v_mad_i64_i32 v[10:11], s[6:7], v13, s41, v[22:23]
	v_or_b32_e32 v26, 0x100, v18
	v_add_co_u32_e32 v10, vcc, v10, v26
	v_addc_co_u32_e32 v11, vcc, 0, v11, vcc
	v_add_co_u32_e32 v10, vcc, v10, v25
	v_addc_co_u32_e32 v11, vcc, 0, v11, vcc
	global_load_dwordx4 v[14:17], v[10:11], off
	v_lshl_or_b32 v64, v63, 4, v56
	v_lshlrev_b32_e32 v53, 5, v64
	s_waitcnt vmcnt(6)
	buffer_store_dword v5, off, s[0:3], 0 offset:12
	buffer_store_dword v4, off, s[0:3], 0 offset:8
	v_mad_i64_i32 v[4:5], s[6:7], v12, s41, v[22:23]
	v_add_co_u32_e32 v4, vcc, v4, v18
	v_addc_co_u32_e32 v5, vcc, 0, v5, vcc
	v_add_co_u32_e32 v4, vcc, v4, v25
	v_addc_co_u32_e32 v5, vcc, 0, v5, vcc
	global_load_dwordx4 v[38:41], v[10:11], off offset:2048
	s_nop 0
	global_load_dwordx4 v[10:13], v[4:5], off
	global_load_dwordx4 v[18:21], v[4:5], off offset:2048
	v_mad_i64_i32 v[4:5], s[6:7], v24, s41, v[22:23]
	v_add_co_u32_e32 v4, vcc, v4, v26
	v_addc_co_u32_e32 v5, vcc, 0, v5, vcc
	v_add_co_u32_e32 v4, vcc, v4, v25
	v_addc_co_u32_e32 v5, vcc, 0, v5, vcc
	s_add_u32 s6, s14, s10
	global_load_dwordx4 v[26:29], v[4:5], off
	global_load_dwordx4 v[22:25], v[4:5], off offset:2048
	s_addc_u32 s7, s15, 0
	v_and_b32_e32 v4, 16, v0
	v_mov_b32_e32 v5, s7
	v_add_co_u32_e32 v51, vcc, s6, v4
	v_addc_co_u32_e32 v52, vcc, 0, v5, vcc
	v_add_co_u32_e32 v4, vcc, v51, v53
	v_addc_co_u32_e32 v5, vcc, 0, v52, vcc
	s_waitcnt vmcnt(12)
	v_mad_i64_i32 v[30:31], s[6:7], v50, s41, v[4:5]
	s_waitcnt vmcnt(11)
	v_mad_i64_i32 v[34:35], s[6:7], v58, s41, v[4:5]
	;; [unrolled: 2-line block ×3, first 2 shown]
	global_load_dwordx4 v[30:33], v[30:31], off
	s_waitcnt vmcnt(10)
	v_mad_i64_i32 v[4:5], s[6:7], v61, s41, v[4:5]
	global_load_dwordx4 v[34:37], v[34:35], off
	s_nop 0
	global_load_dwordx4 v[46:49], v[42:43], off
	s_nop 0
	global_load_dwordx4 v[42:45], v[4:5], off
	v_or_b32_e32 v4, 0x800, v53
	v_add_co_u32_e32 v4, vcc, v51, v4
	v_addc_co_u32_e32 v5, vcc, 0, v52, vcc
	v_mad_i64_i32 v[50:51], s[6:7], v50, s41, v[4:5]
	buffer_store_dword v3, off, s[0:3], 0 offset:4
	buffer_store_dword v2, off, s[0:3], 0
	v_mad_i64_i32 v[2:3], s[6:7], v60, s41, v[4:5]
	global_load_dwordx4 v[50:53], v[50:51], off
	v_mad_i64_i32 v[58:59], s[6:7], v58, s41, v[4:5]
	global_load_dwordx4 v[70:73], v[2:3], off
	;; [unrolled: 2-line block ×3, first 2 shown]
	global_load_dwordx4 v[74:77], v[2:3], off
	v_mov_b32_e32 v2, 0x80
	s_waitcnt vmcnt(18)
	buffer_store_dword v9, off, s[0:3], 0 offset:28
	buffer_store_dword v8, off, s[0:3], 0 offset:24
	;; [unrolled: 1-line block ×4, first 2 shown]
	s_waitcnt vmcnt(21)
	buffer_store_dword v17, off, s[0:3], 0 offset:44
	buffer_store_dword v16, off, s[0:3], 0 offset:40
	;; [unrolled: 1-line block ×4, first 2 shown]
	s_load_dword s6, s[4:5], 0x1c
	s_load_dwordx4 s[40:43], s[4:5], 0x80
	v_add_u32_e32 v58, 16, v2
	s_waitcnt vmcnt(22)
	buffer_store_dword v41, off, s[0:3], 0 offset:60
	buffer_store_dword v40, off, s[0:3], 0 offset:56
	buffer_store_dword v39, off, s[0:3], 0 offset:52
	buffer_store_dword v38, off, s[0:3], 0 offset:48
	v_add_u32_e32 v62, 32, v2
	v_add_u32_e32 v39, 48, v2
	;; [unrolled: 1-line block ×6, first 2 shown]
	v_mul_lo_u16_e32 v2, 0x56, v56
	v_mov_b32_e32 v3, 3
	v_mul_lo_u16_sdwa v2, v2, v3 dst_sel:DWORD dst_unused:UNUSED_PAD src0_sel:BYTE_1 src1_sel:DWORD
	v_sub_u16_e32 v2, v56, v2
	v_mov_b32_e32 v3, 5
	v_lshlrev_b32_sdwa v2, v3, v2 dst_sel:DWORD dst_unused:UNUSED_PAD src0_sel:DWORD src1_sel:BYTE_0
	s_waitcnt vmcnt(25)
	buffer_store_dword v13, off, s[0:3], 0 offset:76
	buffer_store_dword v12, off, s[0:3], 0 offset:72
	buffer_store_dword v11, off, s[0:3], 0 offset:68
	buffer_store_dword v10, off, s[0:3], 0 offset:64
	v_lshl_add_u32 v14, v55, 9, v2
	ds_read_b128 v[2:5], v14
	ds_read_b128 v[6:9], v14 offset:16
	ds_read_b128 v[10:13], v14 offset:2048
	;; [unrolled: 1-line block ×3, first 2 shown]
	s_waitcnt vmcnt(28)
	buffer_store_dword v21, off, s[0:3], 0 offset:92
	buffer_store_dword v20, off, s[0:3], 0 offset:88
	buffer_store_dword v19, off, s[0:3], 0 offset:84
	buffer_store_dword v18, off, s[0:3], 0 offset:80
	s_waitcnt vmcnt(31)
	buffer_store_dword v29, off, s[0:3], 0 offset:108
	buffer_store_dword v28, off, s[0:3], 0 offset:104
	buffer_store_dword v27, off, s[0:3], 0 offset:100
	buffer_store_dword v26, off, s[0:3], 0 offset:96
	;; [unrolled: 5-line block ×9, first 2 shown]
	buffer_store_dword v73, off, s[0:3], 0 offset:220
	buffer_store_dword v72, off, s[0:3], 0 offset:216
	;; [unrolled: 1-line block ×4, first 2 shown]
	s_waitcnt vmcnt(56)
	buffer_store_dword v77, off, s[0:3], 0 offset:252
	s_waitcnt lgkmcnt(0)
	s_load_dword s4, s[40:41], 0x0
	v_mov_b32_e32 v18, s6
	v_and_b32_e32 v65, 63, v0
	s_mov_b32 s12, 0
	s_movk_i32 s13, 0x80
	s_waitcnt lgkmcnt(0)
	v_mul_f32_e32 v22, s4, v18
	v_mov_b32_e32 v24, v22
	v_mov_b32_e32 v25, v22
	;; [unrolled: 1-line block ×3, first 2 shown]
	s_movk_i32 s14, 0x7f
	s_mov_b32 s15, 0xffffff
	v_mov_b32_e32 v29, 0
	v_mov_b32_e32 v31, 0x100
	v_bfrev_b32_e32 v33, 60
	buffer_store_dword v76, off, s[0:3], 0 offset:248
	buffer_store_dword v75, off, s[0:3], 0 offset:244
	;; [unrolled: 1-line block ×3, first 2 shown]
	s_branch .LBB672_15
.LBB672_12:                             ;   in Loop: Header=BB672_15 Depth=1
	s_or_b64 exec, exec, s[10:11]
.LBB672_13:                             ;   in Loop: Header=BB672_15 Depth=1
	s_or_b64 exec, exec, s[6:7]
.LBB672_14:                             ;   in Loop: Header=BB672_15 Depth=1
	s_or_b64 exec, exec, s[4:5]
	v_cvt_pkrtz_f16_f32 v42, v34, v32
	v_cvt_pkrtz_f16_f32 v43, v23, v36
	;; [unrolled: 1-line block ×4, first 2 shown]
	v_add_u32_e32 v26, s12, v31
	v_mfma_f32_16x16x16f16 v[18:21], v[42:43], v[14:15], v[18:21]
	s_add_i32 s12, s12, 16
	v_mov_b32_e32 v23, v22
	s_cmp_eq_u32 s12, 64
	v_add_u32_e32 v27, 32, v27
	v_mfma_f32_16x16x16f16 v[18:21], v[34:35], v[16:17], v[18:21]
	s_nop 7
	s_nop 2
	v_pk_mul_f32 v[18:19], v[24:25], v[18:19]
	v_pk_mul_f32 v[20:21], v[22:23], v[20:21]
	buffer_store_dword v19, v26, s[0:3], 0 offen offset:4
	buffer_store_dword v18, v26, s[0:3], 0 offen
	buffer_store_dword v21, v26, s[0:3], 0 offen offset:12
	buffer_store_dword v20, v26, s[0:3], 0 offen offset:8
	s_cbranch_scc1 .LBB672_205
.LBB672_15:                             ; =>This Inner Loop Header: Depth=1
	buffer_load_dword v20, v27, s[0:3], 0 offen
	buffer_load_dword v18, v27, s[0:3], 0 offen offset:4
	buffer_load_dword v28, v27, s[0:3], 0 offen offset:8
	;; [unrolled: 1-line block ×3, first 2 shown]
	v_mov_b32_e32 v19, 0
	s_waitcnt vmcnt(3)
	v_cmp_ne_u16_sdwa s[6:7], v20, v29 src0_sel:BYTE_0 src1_sel:DWORD
	s_and_saveexec_b64 s[4:5], s[6:7]
	s_cbranch_execz .LBB672_21
; %bb.16:                               ;   in Loop: Header=BB672_15 Depth=1
	v_cmp_ne_u16_sdwa s[10:11], v20, s13 src0_sel:BYTE_0 src1_sel:DWORD
	v_bfrev_b32_e32 v19, 1
	s_and_saveexec_b64 s[6:7], s[10:11]
	s_cbranch_execz .LBB672_20
; %bb.17:                               ;   in Loop: Header=BB672_15 Depth=1
	v_and_b32_e32 v21, 0x7f, v20
	v_cmp_ne_u32_e32 vcc, s14, v21
	v_mov_b32_e32 v19, 0x7f800001
	s_and_saveexec_b64 s[10:11], vcc
	s_cbranch_execz .LBB672_19
; %bb.18:                               ;   in Loop: Header=BB672_15 Depth=1
	v_and_b32_e32 v19, 7, v20
	v_ffbh_u32_e32 v30, v19
	v_min_u32_e32 v30, 32, v30
	v_subrev_u32_e32 v32, 28, v30
	v_lshlrev_b64 v[34:35], v32, v[20:21]
	v_lshrrev_b32_e32 v23, 3, v21
	v_sub_u32_e32 v30, 29, v30
	v_and_b32_e32 v32, 7, v34
	v_cmp_gt_u32_e32 vcc, 8, v21
	v_cndmask_b32_e32 v21, v23, v30, vcc
	v_cndmask_b32_e32 v19, v19, v32, vcc
	v_lshlrev_b32_e32 v23, 24, v20
	v_lshlrev_b32_e32 v19, 20, v19
	v_and_b32_e32 v23, 0x80000000, v23
	v_lshl_add_u32 v21, v21, 23, v33
	v_or3_b32 v19, v23, v21, v19
.LBB672_19:                             ;   in Loop: Header=BB672_15 Depth=1
	s_or_b64 exec, exec, s[10:11]
.LBB672_20:                             ;   in Loop: Header=BB672_15 Depth=1
	s_or_b64 exec, exec, s[6:7]
.LBB672_21:                             ;   in Loop: Header=BB672_15 Depth=1
	s_or_b64 exec, exec, s[4:5]
	v_lshrrev_b16_e32 v30, 8, v20
	v_cmp_ne_u16_e32 vcc, 0, v30
	v_mov_b32_e32 v21, 0
	v_mov_b32_e32 v23, 0
	s_and_saveexec_b64 s[4:5], vcc
	s_cbranch_execz .LBB672_27
; %bb.22:                               ;   in Loop: Header=BB672_15 Depth=1
	v_cmp_ne_u16_e32 vcc, s13, v30
	v_bfrev_b32_e32 v23, 1
	s_and_saveexec_b64 s[6:7], vcc
	s_cbranch_execz .LBB672_26
; %bb.23:                               ;   in Loop: Header=BB672_15 Depth=1
	v_and_b32_e32 v32, 0x7f, v30
	v_cmp_ne_u32_e32 vcc, s14, v32
	v_mov_b32_e32 v23, 0x7f800001
	s_and_saveexec_b64 s[10:11], vcc
	s_cbranch_execz .LBB672_25
; %bb.24:                               ;   in Loop: Header=BB672_15 Depth=1
	v_and_b32_e32 v23, 7, v30
	v_ffbh_u32_e32 v34, v23
	v_min_u32_e32 v37, 32, v34
	v_subrev_u32_e32 v34, 28, v37
	v_lshlrev_b64 v[34:35], v34, v[30:31]
	v_lshrrev_b32_e32 v36, 3, v32
	v_sub_u32_e32 v30, 29, v37
	v_and_b32_e32 v34, 7, v34
	v_cmp_gt_u32_e32 vcc, 8, v32
	v_cndmask_b32_e32 v30, v36, v30, vcc
	v_cndmask_b32_e32 v23, v23, v34, vcc
	v_lshlrev_b32_e32 v32, 16, v20
	v_lshlrev_b32_e32 v23, 20, v23
	v_and_b32_e32 v32, 0x80000000, v32
	v_lshl_add_u32 v30, v30, 23, v33
	v_or3_b32 v23, v32, v30, v23
.LBB672_25:                             ;   in Loop: Header=BB672_15 Depth=1
	s_or_b64 exec, exec, s[10:11]
.LBB672_26:                             ;   in Loop: Header=BB672_15 Depth=1
	s_or_b64 exec, exec, s[6:7]
.LBB672_27:                             ;   in Loop: Header=BB672_15 Depth=1
	s_or_b64 exec, exec, s[4:5]
	v_lshrrev_b32_e32 v30, 16, v20
	v_cmp_ne_u16_sdwa s[6:7], v30, v29 src0_sel:BYTE_0 src1_sel:DWORD
	s_and_saveexec_b64 s[4:5], s[6:7]
	s_cbranch_execz .LBB672_33
; %bb.28:                               ;   in Loop: Header=BB672_15 Depth=1
	v_cmp_ne_u16_sdwa s[10:11], v30, s13 src0_sel:BYTE_0 src1_sel:DWORD
	v_bfrev_b32_e32 v21, 1
	s_and_saveexec_b64 s[6:7], s[10:11]
	s_cbranch_execz .LBB672_32
; %bb.29:                               ;   in Loop: Header=BB672_15 Depth=1
	v_bfe_u32 v32, v20, 16, 7
	v_cmp_ne_u32_e32 vcc, s14, v32
	v_mov_b32_e32 v21, 0x7f800001
	s_and_saveexec_b64 s[10:11], vcc
	s_cbranch_execz .LBB672_31
; %bb.30:                               ;   in Loop: Header=BB672_15 Depth=1
	v_and_b32_e32 v21, 7, v30
	v_ffbh_u32_e32 v34, v21
	v_min_u32_e32 v37, 32, v34
	v_subrev_u32_e32 v34, 28, v37
	v_lshlrev_b64 v[34:35], v34, v[30:31]
	v_lshrrev_b32_e32 v36, 3, v32
	v_sub_u32_e32 v35, 29, v37
	v_and_b32_e32 v34, 7, v34
	v_cmp_gt_u32_e32 vcc, 8, v32
	v_cndmask_b32_e32 v32, v36, v35, vcc
	v_cndmask_b32_e32 v21, v21, v34, vcc
	v_lshlrev_b32_e32 v30, 24, v30
	v_lshlrev_b32_e32 v21, 20, v21
	v_and_b32_e32 v30, 0x80000000, v30
	v_lshl_add_u32 v32, v32, 23, v33
	v_or3_b32 v21, v30, v32, v21
.LBB672_31:                             ;   in Loop: Header=BB672_15 Depth=1
	s_or_b64 exec, exec, s[10:11]
.LBB672_32:                             ;   in Loop: Header=BB672_15 Depth=1
	s_or_b64 exec, exec, s[6:7]
.LBB672_33:                             ;   in Loop: Header=BB672_15 Depth=1
	s_or_b64 exec, exec, s[4:5]
	v_cmp_lt_u32_e32 vcc, s15, v20
	v_mov_b32_e32 v34, 0
	v_mov_b32_e32 v35, 0
	s_and_saveexec_b64 s[4:5], vcc
	s_cbranch_execz .LBB672_39
; %bb.34:                               ;   in Loop: Header=BB672_15 Depth=1
	v_lshrrev_b32_e32 v30, 24, v20
	v_cmp_ne_u32_e32 vcc, s13, v30
	v_bfrev_b32_e32 v35, 1
	s_and_saveexec_b64 s[6:7], vcc
	s_cbranch_execz .LBB672_38
; %bb.35:                               ;   in Loop: Header=BB672_15 Depth=1
	v_bfe_u32 v20, v20, 24, 7
	v_cmp_ne_u32_e32 vcc, s14, v20
	v_mov_b32_e32 v35, 0x7f800001
	s_and_saveexec_b64 s[10:11], vcc
	s_cbranch_execz .LBB672_37
; %bb.36:                               ;   in Loop: Header=BB672_15 Depth=1
	v_and_b32_e32 v32, 7, v30
	v_ffbh_u32_e32 v36, v32
	v_min_u32_e32 v38, 32, v36
	v_subrev_u32_e32 v36, 28, v38
	v_lshlrev_b64 v[36:37], v36, v[30:31]
	v_lshrrev_b32_e32 v35, 3, v20
	v_sub_u32_e32 v37, 29, v38
	v_and_b32_e32 v36, 7, v36
	v_cmp_gt_u32_e32 vcc, 8, v20
	v_cndmask_b32_e32 v20, v35, v37, vcc
	v_cndmask_b32_e32 v32, v32, v36, vcc
	v_lshlrev_b32_e32 v30, 24, v30
	v_lshlrev_b32_e32 v32, 20, v32
	v_and_b32_e32 v30, 0x80000000, v30
	v_lshl_add_u32 v20, v20, 23, v33
	v_or3_b32 v35, v30, v20, v32
.LBB672_37:                             ;   in Loop: Header=BB672_15 Depth=1
	s_or_b64 exec, exec, s[10:11]
.LBB672_38:                             ;   in Loop: Header=BB672_15 Depth=1
	s_or_b64 exec, exec, s[6:7]
.LBB672_39:                             ;   in Loop: Header=BB672_15 Depth=1
	s_or_b64 exec, exec, s[4:5]
	s_waitcnt vmcnt(2)
	v_cmp_ne_u16_sdwa s[6:7], v18, v29 src0_sel:BYTE_0 src1_sel:DWORD
	s_and_saveexec_b64 s[4:5], s[6:7]
	s_cbranch_execz .LBB672_45
; %bb.40:                               ;   in Loop: Header=BB672_15 Depth=1
	v_cmp_ne_u16_sdwa s[10:11], v18, s13 src0_sel:BYTE_0 src1_sel:DWORD
	v_bfrev_b32_e32 v34, 1
	s_and_saveexec_b64 s[6:7], s[10:11]
	s_cbranch_execz .LBB672_44
; %bb.41:                               ;   in Loop: Header=BB672_15 Depth=1
	v_and_b32_e32 v20, 0x7f, v18
	v_cmp_ne_u32_e32 vcc, s14, v20
	v_mov_b32_e32 v34, 0x7f800001
	s_and_saveexec_b64 s[10:11], vcc
	s_cbranch_execz .LBB672_43
; %bb.42:                               ;   in Loop: Header=BB672_15 Depth=1
	v_and_b32_e32 v30, 7, v18
	v_ffbh_u32_e32 v34, v30
	v_min_u32_e32 v34, 32, v34
	v_subrev_u32_e32 v36, 28, v34
	v_lshlrev_b64 v[36:37], v36, v[18:19]
	v_lshrrev_b32_e32 v32, 3, v20
	v_sub_u32_e32 v34, 29, v34
	v_and_b32_e32 v36, 7, v36
	v_cmp_gt_u32_e32 vcc, 8, v20
	v_cndmask_b32_e32 v20, v32, v34, vcc
	v_cndmask_b32_e32 v30, v30, v36, vcc
	v_lshlrev_b32_e32 v32, 24, v18
	v_lshlrev_b32_e32 v30, 20, v30
	v_and_b32_e32 v32, 0x80000000, v32
	v_lshl_add_u32 v20, v20, 23, v33
	v_or3_b32 v34, v32, v20, v30
.LBB672_43:                             ;   in Loop: Header=BB672_15 Depth=1
	s_or_b64 exec, exec, s[10:11]
.LBB672_44:                             ;   in Loop: Header=BB672_15 Depth=1
	s_or_b64 exec, exec, s[6:7]
.LBB672_45:                             ;   in Loop: Header=BB672_15 Depth=1
	s_or_b64 exec, exec, s[4:5]
	v_lshrrev_b16_e32 v20, 8, v18
	v_cmp_ne_u16_e32 vcc, 0, v20
	v_mov_b32_e32 v30, 0
	v_mov_b32_e32 v36, 0
	s_and_saveexec_b64 s[4:5], vcc
	s_cbranch_execz .LBB672_51
; %bb.46:                               ;   in Loop: Header=BB672_15 Depth=1
	v_cmp_ne_u16_e32 vcc, s13, v20
	v_bfrev_b32_e32 v36, 1
	s_and_saveexec_b64 s[6:7], vcc
	s_cbranch_execz .LBB672_50
; %bb.47:                               ;   in Loop: Header=BB672_15 Depth=1
	v_and_b32_e32 v32, 0x7f, v20
	v_cmp_ne_u32_e32 vcc, s14, v32
	v_mov_b32_e32 v36, 0x7f800001
	s_and_saveexec_b64 s[10:11], vcc
	s_cbranch_execz .LBB672_49
; %bb.48:                               ;   in Loop: Header=BB672_15 Depth=1
	v_and_b32_e32 v38, 7, v20
	v_ffbh_u32_e32 v36, v38
	v_min_u32_e32 v42, 32, v36
	v_subrev_u32_e32 v36, 28, v42
	v_lshlrev_b64 v[36:37], v36, v[20:21]
	v_lshrrev_b32_e32 v40, 3, v32
	v_sub_u32_e32 v20, 29, v42
	v_and_b32_e32 v36, 7, v36
	v_cmp_gt_u32_e32 vcc, 8, v32
	v_cndmask_b32_e32 v20, v40, v20, vcc
	v_cndmask_b32_e32 v32, v38, v36, vcc
	v_lshlrev_b32_e32 v36, 16, v18
	v_lshlrev_b32_e32 v32, 20, v32
	v_and_b32_e32 v36, 0x80000000, v36
	v_lshl_add_u32 v20, v20, 23, v33
	v_or3_b32 v36, v36, v20, v32
.LBB672_49:                             ;   in Loop: Header=BB672_15 Depth=1
	s_or_b64 exec, exec, s[10:11]
.LBB672_50:                             ;   in Loop: Header=BB672_15 Depth=1
	s_or_b64 exec, exec, s[6:7]
.LBB672_51:                             ;   in Loop: Header=BB672_15 Depth=1
	s_or_b64 exec, exec, s[4:5]
	v_lshrrev_b32_e32 v20, 16, v18
	v_cmp_ne_u16_sdwa s[6:7], v20, v29 src0_sel:BYTE_0 src1_sel:DWORD
	s_and_saveexec_b64 s[4:5], s[6:7]
	s_cbranch_execz .LBB672_57
; %bb.52:                               ;   in Loop: Header=BB672_15 Depth=1
	v_cmp_ne_u16_sdwa s[10:11], v20, s13 src0_sel:BYTE_0 src1_sel:DWORD
	v_bfrev_b32_e32 v30, 1
	s_and_saveexec_b64 s[6:7], s[10:11]
	s_cbranch_execz .LBB672_56
; %bb.53:                               ;   in Loop: Header=BB672_15 Depth=1
	v_bfe_u32 v32, v18, 16, 7
	v_cmp_ne_u32_e32 vcc, s14, v32
	v_mov_b32_e32 v30, 0x7f800001
	s_and_saveexec_b64 s[10:11], vcc
	s_cbranch_execz .LBB672_55
; %bb.54:                               ;   in Loop: Header=BB672_15 Depth=1
	v_and_b32_e32 v30, 7, v20
	v_ffbh_u32_e32 v38, v30
	v_min_u32_e32 v38, 32, v38
	v_subrev_u32_e32 v40, 28, v38
	v_lshlrev_b64 v[42:43], v40, v[20:21]
	v_lshrrev_b32_e32 v37, 3, v32
	v_sub_u32_e32 v38, 29, v38
	v_and_b32_e32 v40, 7, v42
	v_cmp_gt_u32_e32 vcc, 8, v32
	v_cndmask_b32_e32 v32, v37, v38, vcc
	v_cndmask_b32_e32 v30, v30, v40, vcc
	v_lshlrev_b32_e32 v20, 24, v20
	v_lshlrev_b32_e32 v30, 20, v30
	v_and_b32_e32 v20, 0x80000000, v20
	v_lshl_add_u32 v32, v32, 23, v33
	v_or3_b32 v30, v20, v32, v30
.LBB672_55:                             ;   in Loop: Header=BB672_15 Depth=1
	s_or_b64 exec, exec, s[10:11]
.LBB672_56:                             ;   in Loop: Header=BB672_15 Depth=1
	s_or_b64 exec, exec, s[6:7]
.LBB672_57:                             ;   in Loop: Header=BB672_15 Depth=1
	s_or_b64 exec, exec, s[4:5]
	v_cmp_lt_u32_e32 vcc, s15, v18
	v_mov_b32_e32 v32, 0
	v_mov_b32_e32 v37, 0
	s_and_saveexec_b64 s[4:5], vcc
	s_cbranch_execz .LBB672_63
; %bb.58:                               ;   in Loop: Header=BB672_15 Depth=1
	v_lshrrev_b32_e32 v20, 24, v18
	v_cmp_ne_u32_e32 vcc, s13, v20
	v_bfrev_b32_e32 v37, 1
	s_and_saveexec_b64 s[6:7], vcc
	s_cbranch_execz .LBB672_62
; %bb.59:                               ;   in Loop: Header=BB672_15 Depth=1
	v_bfe_u32 v18, v18, 24, 7
	v_cmp_ne_u32_e32 vcc, s14, v18
	v_mov_b32_e32 v37, 0x7f800001
	s_and_saveexec_b64 s[10:11], vcc
	s_cbranch_execz .LBB672_61
; %bb.60:                               ;   in Loop: Header=BB672_15 Depth=1
	v_and_b32_e32 v37, 7, v20
	v_ffbh_u32_e32 v40, v37
	v_min_u32_e32 v40, 32, v40
	v_subrev_u32_e32 v42, 28, v40
	v_lshlrev_b64 v[42:43], v42, v[20:21]
	v_lshrrev_b32_e32 v38, 3, v18
	v_sub_u32_e32 v40, 29, v40
	v_and_b32_e32 v42, 7, v42
	v_cmp_gt_u32_e32 vcc, 8, v18
	v_cndmask_b32_e32 v18, v38, v40, vcc
	v_cndmask_b32_e32 v37, v37, v42, vcc
	v_lshlrev_b32_e32 v20, 24, v20
	v_lshlrev_b32_e32 v37, 20, v37
	v_and_b32_e32 v20, 0x80000000, v20
	v_lshl_add_u32 v18, v18, 23, v33
	v_or3_b32 v37, v20, v18, v37
.LBB672_61:                             ;   in Loop: Header=BB672_15 Depth=1
	s_or_b64 exec, exec, s[10:11]
.LBB672_62:                             ;   in Loop: Header=BB672_15 Depth=1
	s_or_b64 exec, exec, s[6:7]
.LBB672_63:                             ;   in Loop: Header=BB672_15 Depth=1
	s_or_b64 exec, exec, s[4:5]
	v_cvt_pkrtz_f16_f32 v18, v19, v23
	v_cvt_pkrtz_f16_f32 v19, v21, v35
	;; [unrolled: 1-line block ×4, first 2 shown]
	s_waitcnt vmcnt(1)
	v_cmp_ne_u16_sdwa s[6:7], v28, v29 src0_sel:BYTE_0 src1_sel:DWORD
	v_mfma_f32_16x16x16f16 v[18:21], v[18:19], v[2:3], 0
	v_mfma_f32_16x16x16f16 v[18:21], v[34:35], v[4:5], v[18:21]
	s_and_saveexec_b64 s[4:5], s[6:7]
	s_cbranch_execz .LBB672_69
; %bb.64:                               ;   in Loop: Header=BB672_15 Depth=1
	v_cmp_ne_u16_sdwa s[10:11], v28, s13 src0_sel:BYTE_0 src1_sel:DWORD
	v_bfrev_b32_e32 v32, 1
	s_and_saveexec_b64 s[6:7], s[10:11]
	s_cbranch_execz .LBB672_68
; %bb.65:                               ;   in Loop: Header=BB672_15 Depth=1
	v_and_b32_e32 v23, 0x7f, v28
	v_cmp_ne_u32_e32 vcc, s14, v23
	v_mov_b32_e32 v32, 0x7f800001
	s_and_saveexec_b64 s[10:11], vcc
	s_cbranch_execz .LBB672_67
; %bb.66:                               ;   in Loop: Header=BB672_15 Depth=1
	v_and_b32_e32 v30, 7, v28
	v_ffbh_u32_e32 v34, v30
	v_min_u32_e32 v36, 32, v34
	v_subrev_u32_e32 v34, 28, v36
	v_lshlrev_b64 v[34:35], v34, v[28:29]
	v_lshrrev_b32_e32 v32, 3, v23
	v_sub_u32_e32 v35, 29, v36
	v_and_b32_e32 v34, 7, v34
	v_cmp_gt_u32_e32 vcc, 8, v23
	v_cndmask_b32_e32 v23, v32, v35, vcc
	v_cndmask_b32_e32 v30, v30, v34, vcc
	v_lshlrev_b32_e32 v32, 24, v28
	v_lshlrev_b32_e32 v30, 20, v30
	v_and_b32_e32 v32, 0x80000000, v32
	v_lshl_add_u32 v23, v23, 23, v33
	v_or3_b32 v32, v32, v23, v30
.LBB672_67:                             ;   in Loop: Header=BB672_15 Depth=1
	s_or_b64 exec, exec, s[10:11]
.LBB672_68:                             ;   in Loop: Header=BB672_15 Depth=1
	s_or_b64 exec, exec, s[6:7]
.LBB672_69:                             ;   in Loop: Header=BB672_15 Depth=1
	s_or_b64 exec, exec, s[4:5]
	v_lshrrev_b16_e32 v30, 8, v28
	v_cmp_ne_u16_e32 vcc, 0, v30
	v_mov_b32_e32 v34, 0
	v_mov_b32_e32 v35, 0
	s_and_saveexec_b64 s[4:5], vcc
	s_cbranch_execz .LBB672_75
; %bb.70:                               ;   in Loop: Header=BB672_15 Depth=1
	v_cmp_ne_u16_e32 vcc, s13, v30
	v_bfrev_b32_e32 v35, 1
	s_and_saveexec_b64 s[6:7], vcc
	s_cbranch_execz .LBB672_74
; %bb.71:                               ;   in Loop: Header=BB672_15 Depth=1
	v_and_b32_e32 v23, 0x7f, v30
	v_cmp_ne_u32_e32 vcc, s14, v23
	v_mov_b32_e32 v35, 0x7f800001
	s_and_saveexec_b64 s[10:11], vcc
	s_cbranch_execz .LBB672_73
; %bb.72:                               ;   in Loop: Header=BB672_15 Depth=1
	v_and_b32_e32 v35, 7, v30
	v_ffbh_u32_e32 v36, v35
	v_min_u32_e32 v40, 32, v36
	v_subrev_u32_e32 v36, 28, v40
	v_lshlrev_b64 v[36:37], v36, v[30:31]
	v_lshrrev_b32_e32 v38, 3, v23
	v_sub_u32_e32 v30, 29, v40
	v_and_b32_e32 v36, 7, v36
	v_cmp_gt_u32_e32 vcc, 8, v23
	v_cndmask_b32_e32 v23, v38, v30, vcc
	v_cndmask_b32_e32 v30, v35, v36, vcc
	v_lshlrev_b32_e32 v35, 16, v28
	v_lshlrev_b32_e32 v30, 20, v30
	v_and_b32_e32 v35, 0x80000000, v35
	v_lshl_add_u32 v23, v23, 23, v33
	v_or3_b32 v35, v35, v23, v30
.LBB672_73:                             ;   in Loop: Header=BB672_15 Depth=1
	s_or_b64 exec, exec, s[10:11]
.LBB672_74:                             ;   in Loop: Header=BB672_15 Depth=1
	s_or_b64 exec, exec, s[6:7]
.LBB672_75:                             ;   in Loop: Header=BB672_15 Depth=1
	s_or_b64 exec, exec, s[4:5]
	v_lshrrev_b32_e32 v30, 16, v28
	v_cmp_ne_u16_sdwa s[6:7], v30, v29 src0_sel:BYTE_0 src1_sel:DWORD
	s_and_saveexec_b64 s[4:5], s[6:7]
	s_cbranch_execz .LBB672_81
; %bb.76:                               ;   in Loop: Header=BB672_15 Depth=1
	v_cmp_ne_u16_sdwa s[10:11], v30, s13 src0_sel:BYTE_0 src1_sel:DWORD
	v_bfrev_b32_e32 v34, 1
	s_and_saveexec_b64 s[6:7], s[10:11]
	s_cbranch_execz .LBB672_80
; %bb.77:                               ;   in Loop: Header=BB672_15 Depth=1
	v_bfe_u32 v23, v28, 16, 7
	v_cmp_ne_u32_e32 vcc, s14, v23
	v_mov_b32_e32 v34, 0x7f800001
	s_and_saveexec_b64 s[10:11], vcc
	s_cbranch_execz .LBB672_79
; %bb.78:                               ;   in Loop: Header=BB672_15 Depth=1
	v_and_b32_e32 v34, 7, v30
	v_ffbh_u32_e32 v36, v34
	v_min_u32_e32 v40, 32, v36
	v_subrev_u32_e32 v36, 28, v40
	v_lshlrev_b64 v[36:37], v36, v[30:31]
	v_lshrrev_b32_e32 v38, 3, v23
	v_sub_u32_e32 v37, 29, v40
	v_and_b32_e32 v36, 7, v36
	v_cmp_gt_u32_e32 vcc, 8, v23
	v_cndmask_b32_e32 v23, v38, v37, vcc
	v_cndmask_b32_e32 v34, v34, v36, vcc
	v_lshlrev_b32_e32 v30, 24, v30
	v_lshlrev_b32_e32 v34, 20, v34
	v_and_b32_e32 v30, 0x80000000, v30
	v_lshl_add_u32 v23, v23, 23, v33
	v_or3_b32 v34, v30, v23, v34
.LBB672_79:                             ;   in Loop: Header=BB672_15 Depth=1
	s_or_b64 exec, exec, s[10:11]
.LBB672_80:                             ;   in Loop: Header=BB672_15 Depth=1
	s_or_b64 exec, exec, s[6:7]
.LBB672_81:                             ;   in Loop: Header=BB672_15 Depth=1
	s_or_b64 exec, exec, s[4:5]
	v_cmp_lt_u32_e32 vcc, s15, v28
	v_mov_b32_e32 v36, 0
	v_mov_b32_e32 v37, 0
	s_and_saveexec_b64 s[4:5], vcc
	s_cbranch_execz .LBB672_87
; %bb.82:                               ;   in Loop: Header=BB672_15 Depth=1
	v_lshrrev_b32_e32 v30, 24, v28
	v_cmp_ne_u32_e32 vcc, s13, v30
	v_bfrev_b32_e32 v37, 1
	s_and_saveexec_b64 s[6:7], vcc
	s_cbranch_execz .LBB672_86
; %bb.83:                               ;   in Loop: Header=BB672_15 Depth=1
	v_bfe_u32 v23, v28, 24, 7
	v_cmp_ne_u32_e32 vcc, s14, v23
	v_mov_b32_e32 v37, 0x7f800001
	s_and_saveexec_b64 s[10:11], vcc
	s_cbranch_execz .LBB672_85
; %bb.84:                               ;   in Loop: Header=BB672_15 Depth=1
	v_and_b32_e32 v28, 7, v30
	v_ffbh_u32_e32 v38, v28
	v_min_u32_e32 v38, 32, v38
	v_subrev_u32_e32 v40, 28, v38
	v_lshlrev_b64 v[42:43], v40, v[30:31]
	v_lshrrev_b32_e32 v37, 3, v23
	v_sub_u32_e32 v38, 29, v38
	v_and_b32_e32 v40, 7, v42
	v_cmp_gt_u32_e32 vcc, 8, v23
	v_cndmask_b32_e32 v23, v37, v38, vcc
	v_cndmask_b32_e32 v28, v28, v40, vcc
	v_lshlrev_b32_e32 v30, 24, v30
	v_lshlrev_b32_e32 v28, 20, v28
	v_and_b32_e32 v30, 0x80000000, v30
	v_lshl_add_u32 v23, v23, 23, v33
	v_or3_b32 v37, v30, v23, v28
.LBB672_85:                             ;   in Loop: Header=BB672_15 Depth=1
	s_or_b64 exec, exec, s[10:11]
.LBB672_86:                             ;   in Loop: Header=BB672_15 Depth=1
	s_or_b64 exec, exec, s[6:7]
.LBB672_87:                             ;   in Loop: Header=BB672_15 Depth=1
	s_or_b64 exec, exec, s[4:5]
	s_waitcnt vmcnt(0)
	v_cmp_ne_u16_sdwa s[6:7], v26, v29 src0_sel:BYTE_0 src1_sel:DWORD
	s_and_saveexec_b64 s[4:5], s[6:7]
	s_cbranch_execz .LBB672_93
; %bb.88:                               ;   in Loop: Header=BB672_15 Depth=1
	v_cmp_ne_u16_sdwa s[10:11], v26, s13 src0_sel:BYTE_0 src1_sel:DWORD
	v_bfrev_b32_e32 v36, 1
	s_and_saveexec_b64 s[6:7], s[10:11]
	s_cbranch_execz .LBB672_92
; %bb.89:                               ;   in Loop: Header=BB672_15 Depth=1
	v_and_b32_e32 v23, 0x7f, v26
	v_cmp_ne_u32_e32 vcc, s14, v23
	v_mov_b32_e32 v36, 0x7f800001
	s_and_saveexec_b64 s[10:11], vcc
	s_cbranch_execz .LBB672_91
; %bb.90:                               ;   in Loop: Header=BB672_15 Depth=1
	v_and_b32_e32 v28, 7, v26
	v_ffbh_u32_e32 v36, v28
	v_min_u32_e32 v36, 32, v36
	v_subrev_u32_e32 v38, 28, v36
	v_lshlrev_b64 v[42:43], v38, v[26:27]
	v_lshrrev_b32_e32 v30, 3, v23
	v_sub_u32_e32 v36, 29, v36
	v_and_b32_e32 v38, 7, v42
	v_cmp_gt_u32_e32 vcc, 8, v23
	v_cndmask_b32_e32 v23, v30, v36, vcc
	v_cndmask_b32_e32 v28, v28, v38, vcc
	v_lshlrev_b32_e32 v30, 24, v26
	v_lshlrev_b32_e32 v28, 20, v28
	v_and_b32_e32 v30, 0x80000000, v30
	v_lshl_add_u32 v23, v23, 23, v33
	v_or3_b32 v36, v30, v23, v28
.LBB672_91:                             ;   in Loop: Header=BB672_15 Depth=1
	s_or_b64 exec, exec, s[10:11]
.LBB672_92:                             ;   in Loop: Header=BB672_15 Depth=1
	s_or_b64 exec, exec, s[6:7]
.LBB672_93:                             ;   in Loop: Header=BB672_15 Depth=1
	s_or_b64 exec, exec, s[4:5]
	v_lshrrev_b16_e32 v28, 8, v26
	v_cmp_ne_u16_e32 vcc, 0, v28
	v_mov_b32_e32 v38, 0
	v_mov_b32_e32 v40, 0
	s_and_saveexec_b64 s[4:5], vcc
	s_cbranch_execz .LBB672_99
; %bb.94:                               ;   in Loop: Header=BB672_15 Depth=1
	v_cmp_ne_u16_e32 vcc, s13, v28
	v_bfrev_b32_e32 v40, 1
	s_and_saveexec_b64 s[6:7], vcc
	s_cbranch_execz .LBB672_98
; %bb.95:                               ;   in Loop: Header=BB672_15 Depth=1
	v_and_b32_e32 v23, 0x7f, v28
	v_cmp_ne_u32_e32 vcc, s14, v23
	v_mov_b32_e32 v40, 0x7f800001
	s_and_saveexec_b64 s[10:11], vcc
	s_cbranch_execz .LBB672_97
; %bb.96:                               ;   in Loop: Header=BB672_15 Depth=1
	v_and_b32_e32 v30, 7, v28
	v_ffbh_u32_e32 v42, v30
	v_min_u32_e32 v44, 32, v42
	v_subrev_u32_e32 v42, 28, v44
	v_lshlrev_b64 v[42:43], v42, v[28:29]
	v_lshrrev_b32_e32 v40, 3, v23
	v_sub_u32_e32 v28, 29, v44
	v_and_b32_e32 v42, 7, v42
	v_cmp_gt_u32_e32 vcc, 8, v23
	v_cndmask_b32_e32 v23, v40, v28, vcc
	v_cndmask_b32_e32 v28, v30, v42, vcc
	v_lshlrev_b32_e32 v30, 16, v26
	v_lshlrev_b32_e32 v28, 20, v28
	v_and_b32_e32 v30, 0x80000000, v30
	v_lshl_add_u32 v23, v23, 23, v33
	v_or3_b32 v40, v30, v23, v28
.LBB672_97:                             ;   in Loop: Header=BB672_15 Depth=1
	s_or_b64 exec, exec, s[10:11]
.LBB672_98:                             ;   in Loop: Header=BB672_15 Depth=1
	s_or_b64 exec, exec, s[6:7]
.LBB672_99:                             ;   in Loop: Header=BB672_15 Depth=1
	s_or_b64 exec, exec, s[4:5]
	v_lshrrev_b32_e32 v28, 16, v26
	v_cmp_ne_u16_sdwa s[6:7], v28, v29 src0_sel:BYTE_0 src1_sel:DWORD
	s_and_saveexec_b64 s[4:5], s[6:7]
	s_cbranch_execz .LBB672_105
; %bb.100:                              ;   in Loop: Header=BB672_15 Depth=1
	v_cmp_ne_u16_sdwa s[10:11], v28, s13 src0_sel:BYTE_0 src1_sel:DWORD
	v_bfrev_b32_e32 v38, 1
	s_and_saveexec_b64 s[6:7], s[10:11]
	s_cbranch_execz .LBB672_104
; %bb.101:                              ;   in Loop: Header=BB672_15 Depth=1
	v_bfe_u32 v23, v26, 16, 7
	v_cmp_ne_u32_e32 vcc, s14, v23
	v_mov_b32_e32 v38, 0x7f800001
	s_and_saveexec_b64 s[10:11], vcc
	s_cbranch_execz .LBB672_103
; %bb.102:                              ;   in Loop: Header=BB672_15 Depth=1
	v_and_b32_e32 v30, 7, v28
	v_ffbh_u32_e32 v42, v30
	v_min_u32_e32 v44, 32, v42
	v_subrev_u32_e32 v42, 28, v44
	v_lshlrev_b64 v[42:43], v42, v[28:29]
	v_lshrrev_b32_e32 v38, 3, v23
	v_sub_u32_e32 v43, 29, v44
	v_and_b32_e32 v42, 7, v42
	v_cmp_gt_u32_e32 vcc, 8, v23
	v_cndmask_b32_e32 v23, v38, v43, vcc
	v_cndmask_b32_e32 v30, v30, v42, vcc
	v_lshlrev_b32_e32 v28, 24, v28
	v_lshlrev_b32_e32 v30, 20, v30
	v_and_b32_e32 v28, 0x80000000, v28
	v_lshl_add_u32 v23, v23, 23, v33
	v_or3_b32 v38, v28, v23, v30
.LBB672_103:                            ;   in Loop: Header=BB672_15 Depth=1
	s_or_b64 exec, exec, s[10:11]
.LBB672_104:                            ;   in Loop: Header=BB672_15 Depth=1
	s_or_b64 exec, exec, s[6:7]
.LBB672_105:                            ;   in Loop: Header=BB672_15 Depth=1
	s_or_b64 exec, exec, s[4:5]
	v_cmp_lt_u32_e32 vcc, s15, v26
	v_mov_b32_e32 v23, 0
	v_mov_b32_e32 v42, 0
	s_and_saveexec_b64 s[4:5], vcc
	s_cbranch_execz .LBB672_111
; %bb.106:                              ;   in Loop: Header=BB672_15 Depth=1
	v_lshrrev_b32_e32 v28, 24, v26
	v_cmp_ne_u32_e32 vcc, s13, v28
	v_bfrev_b32_e32 v42, 1
	s_and_saveexec_b64 s[6:7], vcc
	s_cbranch_execz .LBB672_110
; %bb.107:                              ;   in Loop: Header=BB672_15 Depth=1
	v_bfe_u32 v26, v26, 24, 7
	v_cmp_ne_u32_e32 vcc, s14, v26
	v_mov_b32_e32 v42, 0x7f800001
	s_and_saveexec_b64 s[10:11], vcc
	s_cbranch_execz .LBB672_109
; %bb.108:                              ;   in Loop: Header=BB672_15 Depth=1
	v_and_b32_e32 v30, 7, v28
	v_ffbh_u32_e32 v42, v30
	v_min_u32_e32 v45, 32, v42
	v_subrev_u32_e32 v42, 28, v45
	v_lshlrev_b64 v[42:43], v42, v[28:29]
	v_lshrrev_b32_e32 v44, 3, v26
	v_sub_u32_e32 v43, 29, v45
	v_and_b32_e32 v42, 7, v42
	v_cmp_gt_u32_e32 vcc, 8, v26
	v_cndmask_b32_e32 v26, v44, v43, vcc
	v_cndmask_b32_e32 v30, v30, v42, vcc
	v_lshlrev_b32_e32 v28, 24, v28
	v_lshlrev_b32_e32 v30, 20, v30
	v_and_b32_e32 v28, 0x80000000, v28
	v_lshl_add_u32 v26, v26, 23, v33
	v_or3_b32 v42, v28, v26, v30
.LBB672_109:                            ;   in Loop: Header=BB672_15 Depth=1
	s_or_b64 exec, exec, s[10:11]
.LBB672_110:                            ;   in Loop: Header=BB672_15 Depth=1
	s_or_b64 exec, exec, s[6:7]
.LBB672_111:                            ;   in Loop: Header=BB672_15 Depth=1
	s_or_b64 exec, exec, s[4:5]
	v_cvt_pkrtz_f16_f32 v44, v32, v35
	buffer_load_dword v32, v27, s[0:3], 0 offen offset:16
	buffer_load_dword v30, v27, s[0:3], 0 offen offset:20
	;; [unrolled: 1-line block ×4, first 2 shown]
	v_cvt_pkrtz_f16_f32 v45, v34, v37
	v_cvt_pkrtz_f16_f32 v34, v36, v40
	;; [unrolled: 1-line block ×3, first 2 shown]
	v_mfma_f32_16x16x16f16 v[18:21], v[44:45], v[6:7], v[18:21]
	s_waitcnt vmcnt(3)
	v_cmp_ne_u16_sdwa s[6:7], v32, v29 src0_sel:BYTE_0 src1_sel:DWORD
	v_mfma_f32_16x16x16f16 v[18:21], v[34:35], v[8:9], v[18:21]
	s_and_saveexec_b64 s[4:5], s[6:7]
	s_cbranch_execz .LBB672_117
; %bb.112:                              ;   in Loop: Header=BB672_15 Depth=1
	v_cmp_ne_u16_sdwa s[10:11], v32, s13 src0_sel:BYTE_0 src1_sel:DWORD
	v_bfrev_b32_e32 v23, 1
	s_and_saveexec_b64 s[6:7], s[10:11]
	s_cbranch_execz .LBB672_116
; %bb.113:                              ;   in Loop: Header=BB672_15 Depth=1
	v_and_b32_e32 v34, 0x7f, v32
	v_cmp_ne_u32_e32 vcc, s14, v34
	v_mov_b32_e32 v23, 0x7f800001
	s_and_saveexec_b64 s[10:11], vcc
	s_cbranch_execz .LBB672_115
; %bb.114:                              ;   in Loop: Header=BB672_15 Depth=1
	v_and_b32_e32 v23, 7, v32
	v_ffbh_u32_e32 v36, v23
	v_min_u32_e32 v38, 32, v36
	v_subrev_u32_e32 v36, 28, v38
	v_lshlrev_b64 v[36:37], v36, v[32:33]
	v_lshrrev_b32_e32 v35, 3, v34
	v_sub_u32_e32 v37, 29, v38
	v_and_b32_e32 v36, 7, v36
	v_cmp_gt_u32_e32 vcc, 8, v34
	v_cndmask_b32_e32 v34, v35, v37, vcc
	v_cndmask_b32_e32 v23, v23, v36, vcc
	v_lshlrev_b32_e32 v35, 24, v32
	v_lshlrev_b32_e32 v23, 20, v23
	v_and_b32_e32 v35, 0x80000000, v35
	v_lshl_add_u32 v34, v34, 23, v33
	v_or3_b32 v23, v35, v34, v23
.LBB672_115:                            ;   in Loop: Header=BB672_15 Depth=1
	s_or_b64 exec, exec, s[10:11]
.LBB672_116:                            ;   in Loop: Header=BB672_15 Depth=1
	s_or_b64 exec, exec, s[6:7]
.LBB672_117:                            ;   in Loop: Header=BB672_15 Depth=1
	s_or_b64 exec, exec, s[4:5]
	v_lshrrev_b16_e32 v34, 8, v32
	v_cmp_ne_u16_e32 vcc, 0, v34
	v_mov_b32_e32 v35, 0
	v_mov_b32_e32 v36, 0
	s_and_saveexec_b64 s[4:5], vcc
	s_cbranch_execz .LBB672_123
; %bb.118:                              ;   in Loop: Header=BB672_15 Depth=1
	v_cmp_ne_u16_e32 vcc, s13, v34
	v_bfrev_b32_e32 v36, 1
	s_and_saveexec_b64 s[6:7], vcc
	s_cbranch_execz .LBB672_122
; %bb.119:                              ;   in Loop: Header=BB672_15 Depth=1
	v_and_b32_e32 v37, 0x7f, v34
	v_cmp_ne_u32_e32 vcc, s14, v37
	v_mov_b32_e32 v36, 0x7f800001
	s_and_saveexec_b64 s[10:11], vcc
	s_cbranch_execz .LBB672_121
; %bb.120:                              ;   in Loop: Header=BB672_15 Depth=1
	v_and_b32_e32 v36, 7, v34
	v_ffbh_u32_e32 v40, v36
	v_min_u32_e32 v40, 32, v40
	v_subrev_u32_e32 v42, 28, v40
	v_lshlrev_b64 v[42:43], v42, v[34:35]
	v_lshrrev_b32_e32 v38, 3, v37
	v_sub_u32_e32 v34, 29, v40
	v_and_b32_e32 v40, 7, v42
	v_cmp_gt_u32_e32 vcc, 8, v37
	v_cndmask_b32_e32 v34, v38, v34, vcc
	v_cndmask_b32_e32 v36, v36, v40, vcc
	v_lshlrev_b32_e32 v37, 16, v32
	v_lshlrev_b32_e32 v36, 20, v36
	v_and_b32_e32 v37, 0x80000000, v37
	v_lshl_add_u32 v34, v34, 23, v33
	v_or3_b32 v36, v37, v34, v36
.LBB672_121:                            ;   in Loop: Header=BB672_15 Depth=1
	s_or_b64 exec, exec, s[10:11]
.LBB672_122:                            ;   in Loop: Header=BB672_15 Depth=1
	s_or_b64 exec, exec, s[6:7]
.LBB672_123:                            ;   in Loop: Header=BB672_15 Depth=1
	s_or_b64 exec, exec, s[4:5]
	v_lshrrev_b32_e32 v34, 16, v32
	v_cmp_ne_u16_sdwa s[6:7], v34, v29 src0_sel:BYTE_0 src1_sel:DWORD
	s_and_saveexec_b64 s[4:5], s[6:7]
	s_cbranch_execz .LBB672_129
; %bb.124:                              ;   in Loop: Header=BB672_15 Depth=1
	v_cmp_ne_u16_sdwa s[10:11], v34, s13 src0_sel:BYTE_0 src1_sel:DWORD
	v_bfrev_b32_e32 v35, 1
	s_and_saveexec_b64 s[6:7], s[10:11]
	s_cbranch_execz .LBB672_128
; %bb.125:                              ;   in Loop: Header=BB672_15 Depth=1
	v_bfe_u32 v37, v32, 16, 7
	v_cmp_ne_u32_e32 vcc, s14, v37
	v_mov_b32_e32 v35, 0x7f800001
	s_and_saveexec_b64 s[10:11], vcc
	s_cbranch_execz .LBB672_127
; %bb.126:                              ;   in Loop: Header=BB672_15 Depth=1
	v_and_b32_e32 v35, 7, v34
	v_ffbh_u32_e32 v40, v35
	v_min_u32_e32 v40, 32, v40
	v_subrev_u32_e32 v42, 28, v40
	v_lshlrev_b64 v[42:43], v42, v[34:35]
	v_lshrrev_b32_e32 v38, 3, v37
	v_sub_u32_e32 v40, 29, v40
	v_and_b32_e32 v42, 7, v42
	v_cmp_gt_u32_e32 vcc, 8, v37
	v_cndmask_b32_e32 v37, v38, v40, vcc
	v_cndmask_b32_e32 v35, v35, v42, vcc
	v_lshlrev_b32_e32 v34, 24, v34
	v_lshlrev_b32_e32 v35, 20, v35
	v_and_b32_e32 v34, 0x80000000, v34
	v_lshl_add_u32 v37, v37, 23, v33
	v_or3_b32 v35, v34, v37, v35
.LBB672_127:                            ;   in Loop: Header=BB672_15 Depth=1
	s_or_b64 exec, exec, s[10:11]
.LBB672_128:                            ;   in Loop: Header=BB672_15 Depth=1
	s_or_b64 exec, exec, s[6:7]
.LBB672_129:                            ;   in Loop: Header=BB672_15 Depth=1
	s_or_b64 exec, exec, s[4:5]
	v_cmp_lt_u32_e32 vcc, s15, v32
	v_mov_b32_e32 v37, 0
	v_mov_b32_e32 v38, 0
	s_and_saveexec_b64 s[4:5], vcc
	s_cbranch_execz .LBB672_135
; %bb.130:                              ;   in Loop: Header=BB672_15 Depth=1
	v_lshrrev_b32_e32 v34, 24, v32
	v_cmp_ne_u32_e32 vcc, s13, v34
	v_bfrev_b32_e32 v38, 1
	s_and_saveexec_b64 s[6:7], vcc
	s_cbranch_execz .LBB672_134
; %bb.131:                              ;   in Loop: Header=BB672_15 Depth=1
	v_bfe_u32 v32, v32, 24, 7
	v_cmp_ne_u32_e32 vcc, s14, v32
	v_mov_b32_e32 v38, 0x7f800001
	s_and_saveexec_b64 s[10:11], vcc
	s_cbranch_execz .LBB672_133
; %bb.132:                              ;   in Loop: Header=BB672_15 Depth=1
	v_and_b32_e32 v38, 7, v34
	v_ffbh_u32_e32 v42, v38
	v_min_u32_e32 v44, 32, v42
	v_subrev_u32_e32 v42, 28, v44
	v_lshlrev_b64 v[42:43], v42, v[34:35]
	v_lshrrev_b32_e32 v40, 3, v32
	v_sub_u32_e32 v43, 29, v44
	v_and_b32_e32 v42, 7, v42
	v_cmp_gt_u32_e32 vcc, 8, v32
	v_cndmask_b32_e32 v32, v40, v43, vcc
	v_cndmask_b32_e32 v38, v38, v42, vcc
	v_lshlrev_b32_e32 v34, 24, v34
	v_lshlrev_b32_e32 v38, 20, v38
	v_and_b32_e32 v34, 0x80000000, v34
	v_lshl_add_u32 v32, v32, 23, v33
	v_or3_b32 v38, v34, v32, v38
.LBB672_133:                            ;   in Loop: Header=BB672_15 Depth=1
	s_or_b64 exec, exec, s[10:11]
.LBB672_134:                            ;   in Loop: Header=BB672_15 Depth=1
	s_or_b64 exec, exec, s[6:7]
.LBB672_135:                            ;   in Loop: Header=BB672_15 Depth=1
	s_or_b64 exec, exec, s[4:5]
	s_waitcnt vmcnt(2)
	v_cmp_ne_u16_sdwa s[6:7], v30, v29 src0_sel:BYTE_0 src1_sel:DWORD
	s_and_saveexec_b64 s[4:5], s[6:7]
	s_cbranch_execz .LBB672_141
; %bb.136:                              ;   in Loop: Header=BB672_15 Depth=1
	v_cmp_ne_u16_sdwa s[10:11], v30, s13 src0_sel:BYTE_0 src1_sel:DWORD
	v_bfrev_b32_e32 v37, 1
	s_and_saveexec_b64 s[6:7], s[10:11]
	s_cbranch_execz .LBB672_140
; %bb.137:                              ;   in Loop: Header=BB672_15 Depth=1
	v_and_b32_e32 v32, 0x7f, v30
	v_cmp_ne_u32_e32 vcc, s14, v32
	v_mov_b32_e32 v37, 0x7f800001
	s_and_saveexec_b64 s[10:11], vcc
	s_cbranch_execz .LBB672_139
; %bb.138:                              ;   in Loop: Header=BB672_15 Depth=1
	v_and_b32_e32 v34, 7, v30
	v_ffbh_u32_e32 v40, v34
	v_min_u32_e32 v40, 32, v40
	v_subrev_u32_e32 v42, 28, v40
	v_lshlrev_b64 v[42:43], v42, v[30:31]
	v_lshrrev_b32_e32 v37, 3, v32
	v_sub_u32_e32 v40, 29, v40
	v_and_b32_e32 v42, 7, v42
	v_cmp_gt_u32_e32 vcc, 8, v32
	v_cndmask_b32_e32 v32, v37, v40, vcc
	v_cndmask_b32_e32 v34, v34, v42, vcc
	v_lshlrev_b32_e32 v37, 24, v30
	v_lshlrev_b32_e32 v34, 20, v34
	v_and_b32_e32 v37, 0x80000000, v37
	v_lshl_add_u32 v32, v32, 23, v33
	v_or3_b32 v37, v37, v32, v34
.LBB672_139:                            ;   in Loop: Header=BB672_15 Depth=1
	s_or_b64 exec, exec, s[10:11]
.LBB672_140:                            ;   in Loop: Header=BB672_15 Depth=1
	s_or_b64 exec, exec, s[6:7]
.LBB672_141:                            ;   in Loop: Header=BB672_15 Depth=1
	s_or_b64 exec, exec, s[4:5]
	v_lshrrev_b16_e32 v32, 8, v30
	v_cmp_ne_u16_e32 vcc, 0, v32
	v_mov_b32_e32 v40, 0
	v_mov_b32_e32 v42, 0
	s_and_saveexec_b64 s[4:5], vcc
	s_cbranch_execz .LBB672_147
; %bb.142:                              ;   in Loop: Header=BB672_15 Depth=1
	v_cmp_ne_u16_e32 vcc, s13, v32
	v_bfrev_b32_e32 v42, 1
	s_and_saveexec_b64 s[6:7], vcc
	s_cbranch_execz .LBB672_146
; %bb.143:                              ;   in Loop: Header=BB672_15 Depth=1
	v_and_b32_e32 v34, 0x7f, v32
	v_cmp_ne_u32_e32 vcc, s14, v34
	v_mov_b32_e32 v42, 0x7f800001
	s_and_saveexec_b64 s[10:11], vcc
	s_cbranch_execz .LBB672_145
; %bb.144:                              ;   in Loop: Header=BB672_15 Depth=1
	v_and_b32_e32 v44, 7, v32
	v_ffbh_u32_e32 v42, v44
	v_min_u32_e32 v46, 32, v42
	v_subrev_u32_e32 v42, 28, v46
	v_lshlrev_b64 v[42:43], v42, v[32:33]
	v_lshrrev_b32_e32 v45, 3, v34
	v_sub_u32_e32 v32, 29, v46
	v_and_b32_e32 v42, 7, v42
	v_cmp_gt_u32_e32 vcc, 8, v34
	v_cndmask_b32_e32 v32, v45, v32, vcc
	v_cndmask_b32_e32 v34, v44, v42, vcc
	v_lshlrev_b32_e32 v42, 16, v30
	v_lshlrev_b32_e32 v34, 20, v34
	v_and_b32_e32 v42, 0x80000000, v42
	v_lshl_add_u32 v32, v32, 23, v33
	v_or3_b32 v42, v42, v32, v34
.LBB672_145:                            ;   in Loop: Header=BB672_15 Depth=1
	s_or_b64 exec, exec, s[10:11]
.LBB672_146:                            ;   in Loop: Header=BB672_15 Depth=1
	s_or_b64 exec, exec, s[6:7]
.LBB672_147:                            ;   in Loop: Header=BB672_15 Depth=1
	s_or_b64 exec, exec, s[4:5]
	v_lshrrev_b32_e32 v32, 16, v30
	v_cmp_ne_u16_sdwa s[6:7], v32, v29 src0_sel:BYTE_0 src1_sel:DWORD
	s_and_saveexec_b64 s[4:5], s[6:7]
	s_cbranch_execz .LBB672_153
; %bb.148:                              ;   in Loop: Header=BB672_15 Depth=1
	v_cmp_ne_u16_sdwa s[10:11], v32, s13 src0_sel:BYTE_0 src1_sel:DWORD
	v_bfrev_b32_e32 v40, 1
	s_and_saveexec_b64 s[6:7], s[10:11]
	s_cbranch_execz .LBB672_152
; %bb.149:                              ;   in Loop: Header=BB672_15 Depth=1
	v_bfe_u32 v34, v30, 16, 7
	v_cmp_ne_u32_e32 vcc, s14, v34
	v_mov_b32_e32 v40, 0x7f800001
	s_and_saveexec_b64 s[10:11], vcc
	s_cbranch_execz .LBB672_151
; %bb.150:                              ;   in Loop: Header=BB672_15 Depth=1
	v_and_b32_e32 v40, 7, v32
	v_ffbh_u32_e32 v44, v40
	v_min_u32_e32 v46, 32, v44
	v_subrev_u32_e32 v44, 28, v46
	v_lshlrev_b64 v[44:45], v44, v[32:33]
	v_lshrrev_b32_e32 v43, 3, v34
	v_sub_u32_e32 v45, 29, v46
	v_and_b32_e32 v44, 7, v44
	v_cmp_gt_u32_e32 vcc, 8, v34
	v_cndmask_b32_e32 v34, v43, v45, vcc
	v_cndmask_b32_e32 v40, v40, v44, vcc
	v_lshlrev_b32_e32 v32, 24, v32
	v_lshlrev_b32_e32 v40, 20, v40
	v_and_b32_e32 v32, 0x80000000, v32
	v_lshl_add_u32 v34, v34, 23, v33
	v_or3_b32 v40, v32, v34, v40
.LBB672_151:                            ;   in Loop: Header=BB672_15 Depth=1
	s_or_b64 exec, exec, s[10:11]
.LBB672_152:                            ;   in Loop: Header=BB672_15 Depth=1
	s_or_b64 exec, exec, s[6:7]
.LBB672_153:                            ;   in Loop: Header=BB672_15 Depth=1
	s_or_b64 exec, exec, s[4:5]
	v_cmp_lt_u32_e32 vcc, s15, v30
	v_mov_b32_e32 v34, 0
	v_mov_b32_e32 v43, 0
	s_and_saveexec_b64 s[4:5], vcc
	s_cbranch_execz .LBB672_159
; %bb.154:                              ;   in Loop: Header=BB672_15 Depth=1
	v_lshrrev_b32_e32 v32, 24, v30
	v_cmp_ne_u32_e32 vcc, s13, v32
	v_bfrev_b32_e32 v43, 1
	s_and_saveexec_b64 s[6:7], vcc
	s_cbranch_execz .LBB672_158
; %bb.155:                              ;   in Loop: Header=BB672_15 Depth=1
	v_bfe_u32 v30, v30, 24, 7
	v_cmp_ne_u32_e32 vcc, s14, v30
	v_mov_b32_e32 v43, 0x7f800001
	s_and_saveexec_b64 s[10:11], vcc
	s_cbranch_execz .LBB672_157
; %bb.156:                              ;   in Loop: Header=BB672_15 Depth=1
	v_and_b32_e32 v43, 7, v32
	v_ffbh_u32_e32 v44, v43
	v_min_u32_e32 v47, 32, v44
	v_subrev_u32_e32 v44, 28, v47
	v_lshlrev_b64 v[44:45], v44, v[32:33]
	v_lshrrev_b32_e32 v46, 3, v30
	v_sub_u32_e32 v45, 29, v47
	v_and_b32_e32 v44, 7, v44
	v_cmp_gt_u32_e32 vcc, 8, v30
	v_cndmask_b32_e32 v30, v46, v45, vcc
	v_cndmask_b32_e32 v43, v43, v44, vcc
	v_lshlrev_b32_e32 v32, 24, v32
	v_lshlrev_b32_e32 v43, 20, v43
	v_and_b32_e32 v32, 0x80000000, v32
	v_lshl_add_u32 v30, v30, 23, v33
	v_or3_b32 v43, v32, v30, v43
.LBB672_157:                            ;   in Loop: Header=BB672_15 Depth=1
	s_or_b64 exec, exec, s[10:11]
.LBB672_158:                            ;   in Loop: Header=BB672_15 Depth=1
	s_or_b64 exec, exec, s[6:7]
.LBB672_159:                            ;   in Loop: Header=BB672_15 Depth=1
	s_or_b64 exec, exec, s[4:5]
	v_cvt_pkrtz_f16_f32 v44, v23, v36
	v_cvt_pkrtz_f16_f32 v45, v35, v38
	v_cvt_pkrtz_f16_f32 v36, v37, v42
	v_cvt_pkrtz_f16_f32 v37, v40, v43
	s_waitcnt vmcnt(1)
	v_cmp_ne_u16_sdwa s[6:7], v28, v29 src0_sel:BYTE_0 src1_sel:DWORD
	v_mfma_f32_16x16x16f16 v[18:21], v[44:45], v[10:11], v[18:21]
	v_mfma_f32_16x16x16f16 v[18:21], v[36:37], v[12:13], v[18:21]
	s_and_saveexec_b64 s[4:5], s[6:7]
	s_cbranch_execz .LBB672_165
; %bb.160:                              ;   in Loop: Header=BB672_15 Depth=1
	v_cmp_ne_u16_sdwa s[10:11], v28, s13 src0_sel:BYTE_0 src1_sel:DWORD
	v_bfrev_b32_e32 v34, 1
	s_and_saveexec_b64 s[6:7], s[10:11]
	s_cbranch_execz .LBB672_164
; %bb.161:                              ;   in Loop: Header=BB672_15 Depth=1
	v_and_b32_e32 v23, 0x7f, v28
	v_cmp_ne_u32_e32 vcc, s14, v23
	v_mov_b32_e32 v34, 0x7f800001
	s_and_saveexec_b64 s[10:11], vcc
	s_cbranch_execz .LBB672_163
; %bb.162:                              ;   in Loop: Header=BB672_15 Depth=1
	v_and_b32_e32 v30, 7, v28
	v_ffbh_u32_e32 v34, v30
	v_min_u32_e32 v36, 32, v34
	v_subrev_u32_e32 v34, 28, v36
	v_lshlrev_b64 v[34:35], v34, v[28:29]
	v_lshrrev_b32_e32 v32, 3, v23
	v_sub_u32_e32 v35, 29, v36
	v_and_b32_e32 v34, 7, v34
	v_cmp_gt_u32_e32 vcc, 8, v23
	v_cndmask_b32_e32 v23, v32, v35, vcc
	v_cndmask_b32_e32 v30, v30, v34, vcc
	v_lshlrev_b32_e32 v32, 24, v28
	v_lshlrev_b32_e32 v30, 20, v30
	v_and_b32_e32 v32, 0x80000000, v32
	v_lshl_add_u32 v23, v23, 23, v33
	v_or3_b32 v34, v32, v23, v30
.LBB672_163:                            ;   in Loop: Header=BB672_15 Depth=1
	s_or_b64 exec, exec, s[10:11]
.LBB672_164:                            ;   in Loop: Header=BB672_15 Depth=1
	s_or_b64 exec, exec, s[6:7]
.LBB672_165:                            ;   in Loop: Header=BB672_15 Depth=1
	s_or_b64 exec, exec, s[4:5]
	v_lshrrev_b16_e32 v30, 8, v28
	v_cmp_ne_u16_e32 vcc, 0, v30
	v_mov_b32_e32 v23, 0
	v_mov_b32_e32 v32, 0
	s_and_saveexec_b64 s[4:5], vcc
	s_cbranch_execz .LBB672_171
; %bb.166:                              ;   in Loop: Header=BB672_15 Depth=1
	v_cmp_ne_u16_e32 vcc, s13, v30
	v_bfrev_b32_e32 v32, 1
	s_and_saveexec_b64 s[6:7], vcc
	s_cbranch_execz .LBB672_170
; %bb.167:                              ;   in Loop: Header=BB672_15 Depth=1
	v_and_b32_e32 v35, 0x7f, v30
	v_cmp_ne_u32_e32 vcc, s14, v35
	v_mov_b32_e32 v32, 0x7f800001
	s_and_saveexec_b64 s[10:11], vcc
	s_cbranch_execz .LBB672_169
; %bb.168:                              ;   in Loop: Header=BB672_15 Depth=1
	v_and_b32_e32 v32, 7, v30
	v_ffbh_u32_e32 v36, v32
	v_min_u32_e32 v40, 32, v36
	v_subrev_u32_e32 v36, 28, v40
	v_lshlrev_b64 v[36:37], v36, v[30:31]
	v_lshrrev_b32_e32 v38, 3, v35
	v_sub_u32_e32 v30, 29, v40
	v_and_b32_e32 v36, 7, v36
	v_cmp_gt_u32_e32 vcc, 8, v35
	v_cndmask_b32_e32 v30, v38, v30, vcc
	v_cndmask_b32_e32 v32, v32, v36, vcc
	v_lshlrev_b32_e32 v35, 16, v28
	v_lshlrev_b32_e32 v32, 20, v32
	v_and_b32_e32 v35, 0x80000000, v35
	v_lshl_add_u32 v30, v30, 23, v33
	v_or3_b32 v32, v35, v30, v32
.LBB672_169:                            ;   in Loop: Header=BB672_15 Depth=1
	s_or_b64 exec, exec, s[10:11]
.LBB672_170:                            ;   in Loop: Header=BB672_15 Depth=1
	s_or_b64 exec, exec, s[6:7]
.LBB672_171:                            ;   in Loop: Header=BB672_15 Depth=1
	s_or_b64 exec, exec, s[4:5]
	v_lshrrev_b32_e32 v30, 16, v28
	v_cmp_ne_u16_sdwa s[6:7], v30, v29 src0_sel:BYTE_0 src1_sel:DWORD
	s_and_saveexec_b64 s[4:5], s[6:7]
	s_cbranch_execz .LBB672_177
; %bb.172:                              ;   in Loop: Header=BB672_15 Depth=1
	v_cmp_ne_u16_sdwa s[10:11], v30, s13 src0_sel:BYTE_0 src1_sel:DWORD
	v_bfrev_b32_e32 v23, 1
	s_and_saveexec_b64 s[6:7], s[10:11]
	s_cbranch_execz .LBB672_176
; %bb.173:                              ;   in Loop: Header=BB672_15 Depth=1
	v_bfe_u32 v35, v28, 16, 7
	v_cmp_ne_u32_e32 vcc, s14, v35
	v_mov_b32_e32 v23, 0x7f800001
	s_and_saveexec_b64 s[10:11], vcc
	s_cbranch_execz .LBB672_175
; %bb.174:                              ;   in Loop: Header=BB672_15 Depth=1
	v_and_b32_e32 v23, 7, v30
	v_ffbh_u32_e32 v36, v23
	v_min_u32_e32 v40, 32, v36
	v_subrev_u32_e32 v36, 28, v40
	v_lshlrev_b64 v[36:37], v36, v[30:31]
	v_lshrrev_b32_e32 v38, 3, v35
	v_sub_u32_e32 v37, 29, v40
	v_and_b32_e32 v36, 7, v36
	v_cmp_gt_u32_e32 vcc, 8, v35
	v_cndmask_b32_e32 v35, v38, v37, vcc
	v_cndmask_b32_e32 v23, v23, v36, vcc
	v_lshlrev_b32_e32 v30, 24, v30
	v_lshlrev_b32_e32 v23, 20, v23
	v_and_b32_e32 v30, 0x80000000, v30
	v_lshl_add_u32 v35, v35, 23, v33
	v_or3_b32 v23, v30, v35, v23
.LBB672_175:                            ;   in Loop: Header=BB672_15 Depth=1
	s_or_b64 exec, exec, s[10:11]
.LBB672_176:                            ;   in Loop: Header=BB672_15 Depth=1
	s_or_b64 exec, exec, s[6:7]
.LBB672_177:                            ;   in Loop: Header=BB672_15 Depth=1
	s_or_b64 exec, exec, s[4:5]
	v_cmp_lt_u32_e32 vcc, s15, v28
	v_mov_b32_e32 v35, 0
	v_mov_b32_e32 v36, 0
	s_and_saveexec_b64 s[4:5], vcc
	s_cbranch_execz .LBB672_183
; %bb.178:                              ;   in Loop: Header=BB672_15 Depth=1
	v_lshrrev_b32_e32 v30, 24, v28
	v_cmp_ne_u32_e32 vcc, s13, v30
	v_bfrev_b32_e32 v36, 1
	s_and_saveexec_b64 s[6:7], vcc
	s_cbranch_execz .LBB672_182
; %bb.179:                              ;   in Loop: Header=BB672_15 Depth=1
	v_bfe_u32 v28, v28, 24, 7
	v_cmp_ne_u32_e32 vcc, s14, v28
	v_mov_b32_e32 v36, 0x7f800001
	s_and_saveexec_b64 s[10:11], vcc
	s_cbranch_execz .LBB672_181
; %bb.180:                              ;   in Loop: Header=BB672_15 Depth=1
	v_and_b32_e32 v38, 7, v30
	v_ffbh_u32_e32 v36, v38
	v_min_u32_e32 v42, 32, v36
	v_subrev_u32_e32 v36, 28, v42
	v_lshlrev_b64 v[36:37], v36, v[30:31]
	v_lshrrev_b32_e32 v40, 3, v28
	v_sub_u32_e32 v37, 29, v42
	v_and_b32_e32 v36, 7, v36
	v_cmp_gt_u32_e32 vcc, 8, v28
	v_cndmask_b32_e32 v28, v40, v37, vcc
	v_cndmask_b32_e32 v36, v38, v36, vcc
	v_lshlrev_b32_e32 v30, 24, v30
	v_lshlrev_b32_e32 v36, 20, v36
	v_and_b32_e32 v30, 0x80000000, v30
	v_lshl_add_u32 v28, v28, 23, v33
	v_or3_b32 v36, v30, v28, v36
.LBB672_181:                            ;   in Loop: Header=BB672_15 Depth=1
	s_or_b64 exec, exec, s[10:11]
.LBB672_182:                            ;   in Loop: Header=BB672_15 Depth=1
	s_or_b64 exec, exec, s[6:7]
.LBB672_183:                            ;   in Loop: Header=BB672_15 Depth=1
	s_or_b64 exec, exec, s[4:5]
	s_waitcnt vmcnt(0)
	v_cmp_ne_u16_sdwa s[6:7], v26, v29 src0_sel:BYTE_0 src1_sel:DWORD
	s_and_saveexec_b64 s[4:5], s[6:7]
	s_cbranch_execz .LBB672_189
; %bb.184:                              ;   in Loop: Header=BB672_15 Depth=1
	v_cmp_ne_u16_sdwa s[10:11], v26, s13 src0_sel:BYTE_0 src1_sel:DWORD
	v_bfrev_b32_e32 v35, 1
	s_and_saveexec_b64 s[6:7], s[10:11]
	s_cbranch_execz .LBB672_188
; %bb.185:                              ;   in Loop: Header=BB672_15 Depth=1
	v_and_b32_e32 v28, 0x7f, v26
	v_cmp_ne_u32_e32 vcc, s14, v28
	v_mov_b32_e32 v35, 0x7f800001
	s_and_saveexec_b64 s[10:11], vcc
	s_cbranch_execz .LBB672_187
; %bb.186:                              ;   in Loop: Header=BB672_15 Depth=1
	v_and_b32_e32 v30, 7, v26
	v_ffbh_u32_e32 v37, v30
	v_min_u32_e32 v37, 32, v37
	v_subrev_u32_e32 v38, 28, v37
	v_lshlrev_b64 v[42:43], v38, v[26:27]
	v_lshrrev_b32_e32 v35, 3, v28
	v_sub_u32_e32 v37, 29, v37
	v_and_b32_e32 v38, 7, v42
	v_cmp_gt_u32_e32 vcc, 8, v28
	v_cndmask_b32_e32 v28, v35, v37, vcc
	v_cndmask_b32_e32 v30, v30, v38, vcc
	v_lshlrev_b32_e32 v35, 24, v26
	v_lshlrev_b32_e32 v30, 20, v30
	v_and_b32_e32 v35, 0x80000000, v35
	v_lshl_add_u32 v28, v28, 23, v33
	v_or3_b32 v35, v35, v28, v30
.LBB672_187:                            ;   in Loop: Header=BB672_15 Depth=1
	s_or_b64 exec, exec, s[10:11]
.LBB672_188:                            ;   in Loop: Header=BB672_15 Depth=1
	s_or_b64 exec, exec, s[6:7]
.LBB672_189:                            ;   in Loop: Header=BB672_15 Depth=1
	s_or_b64 exec, exec, s[4:5]
	v_lshrrev_b16_e32 v28, 8, v26
	v_cmp_ne_u16_e32 vcc, 0, v28
	v_mov_b32_e32 v30, 0
	v_mov_b32_e32 v37, 0
	s_and_saveexec_b64 s[4:5], vcc
	s_cbranch_execz .LBB672_195
; %bb.190:                              ;   in Loop: Header=BB672_15 Depth=1
	v_cmp_ne_u16_e32 vcc, s13, v28
	v_bfrev_b32_e32 v37, 1
	s_and_saveexec_b64 s[6:7], vcc
	s_cbranch_execz .LBB672_194
; %bb.191:                              ;   in Loop: Header=BB672_15 Depth=1
	v_and_b32_e32 v38, 0x7f, v28
	v_cmp_ne_u32_e32 vcc, s14, v38
	v_mov_b32_e32 v37, 0x7f800001
	s_and_saveexec_b64 s[10:11], vcc
	s_cbranch_execz .LBB672_193
; %bb.192:                              ;   in Loop: Header=BB672_15 Depth=1
	v_and_b32_e32 v37, 7, v28
	v_ffbh_u32_e32 v42, v37
	v_min_u32_e32 v44, 32, v42
	v_subrev_u32_e32 v42, 28, v44
	v_lshlrev_b64 v[42:43], v42, v[28:29]
	v_lshrrev_b32_e32 v40, 3, v38
	v_sub_u32_e32 v28, 29, v44
	v_and_b32_e32 v42, 7, v42
	v_cmp_gt_u32_e32 vcc, 8, v38
	v_cndmask_b32_e32 v28, v40, v28, vcc
	v_cndmask_b32_e32 v37, v37, v42, vcc
	v_lshlrev_b32_e32 v38, 16, v26
	v_lshlrev_b32_e32 v37, 20, v37
	v_and_b32_e32 v38, 0x80000000, v38
	v_lshl_add_u32 v28, v28, 23, v33
	v_or3_b32 v37, v38, v28, v37
.LBB672_193:                            ;   in Loop: Header=BB672_15 Depth=1
	s_or_b64 exec, exec, s[10:11]
.LBB672_194:                            ;   in Loop: Header=BB672_15 Depth=1
	s_or_b64 exec, exec, s[6:7]
.LBB672_195:                            ;   in Loop: Header=BB672_15 Depth=1
	s_or_b64 exec, exec, s[4:5]
	v_lshrrev_b32_e32 v28, 16, v26
	v_cmp_ne_u16_sdwa s[6:7], v28, v29 src0_sel:BYTE_0 src1_sel:DWORD
	s_and_saveexec_b64 s[4:5], s[6:7]
	s_cbranch_execz .LBB672_201
; %bb.196:                              ;   in Loop: Header=BB672_15 Depth=1
	v_cmp_ne_u16_sdwa s[10:11], v28, s13 src0_sel:BYTE_0 src1_sel:DWORD
	v_bfrev_b32_e32 v30, 1
	s_and_saveexec_b64 s[6:7], s[10:11]
	s_cbranch_execz .LBB672_200
; %bb.197:                              ;   in Loop: Header=BB672_15 Depth=1
	v_bfe_u32 v38, v26, 16, 7
	v_cmp_ne_u32_e32 vcc, s14, v38
	v_mov_b32_e32 v30, 0x7f800001
	s_and_saveexec_b64 s[10:11], vcc
	s_cbranch_execz .LBB672_199
; %bb.198:                              ;   in Loop: Header=BB672_15 Depth=1
	v_and_b32_e32 v30, 7, v28
	v_ffbh_u32_e32 v42, v30
	v_min_u32_e32 v44, 32, v42
	v_subrev_u32_e32 v42, 28, v44
	v_lshlrev_b64 v[42:43], v42, v[28:29]
	v_lshrrev_b32_e32 v40, 3, v38
	v_sub_u32_e32 v43, 29, v44
	v_and_b32_e32 v42, 7, v42
	v_cmp_gt_u32_e32 vcc, 8, v38
	v_cndmask_b32_e32 v38, v40, v43, vcc
	v_cndmask_b32_e32 v30, v30, v42, vcc
	v_lshlrev_b32_e32 v28, 24, v28
	v_lshlrev_b32_e32 v30, 20, v30
	v_and_b32_e32 v28, 0x80000000, v28
	v_lshl_add_u32 v38, v38, 23, v33
	v_or3_b32 v30, v28, v38, v30
.LBB672_199:                            ;   in Loop: Header=BB672_15 Depth=1
	s_or_b64 exec, exec, s[10:11]
.LBB672_200:                            ;   in Loop: Header=BB672_15 Depth=1
	s_or_b64 exec, exec, s[6:7]
.LBB672_201:                            ;   in Loop: Header=BB672_15 Depth=1
	s_or_b64 exec, exec, s[4:5]
	v_cmp_lt_u32_e32 vcc, s15, v26
	v_mov_b32_e32 v38, 0
	s_and_saveexec_b64 s[4:5], vcc
	s_cbranch_execz .LBB672_14
; %bb.202:                              ;   in Loop: Header=BB672_15 Depth=1
	v_lshrrev_b32_e32 v28, 24, v26
	v_cmp_ne_u32_e32 vcc, s13, v28
	v_bfrev_b32_e32 v38, 1
	s_and_saveexec_b64 s[6:7], vcc
	s_cbranch_execz .LBB672_13
; %bb.203:                              ;   in Loop: Header=BB672_15 Depth=1
	v_bfe_u32 v26, v26, 24, 7
	v_cmp_ne_u32_e32 vcc, s14, v26
	v_mov_b32_e32 v38, 0x7f800001
	s_and_saveexec_b64 s[10:11], vcc
	s_cbranch_execz .LBB672_12
; %bb.204:                              ;   in Loop: Header=BB672_15 Depth=1
	v_and_b32_e32 v38, 7, v28
	v_ffbh_u32_e32 v42, v38
	v_min_u32_e32 v44, 32, v42
	v_subrev_u32_e32 v42, 28, v44
	v_lshlrev_b64 v[42:43], v42, v[28:29]
	v_lshrrev_b32_e32 v40, 3, v26
	v_sub_u32_e32 v43, 29, v44
	v_and_b32_e32 v42, 7, v42
	v_cmp_gt_u32_e32 vcc, 8, v26
	v_cndmask_b32_e32 v26, v40, v43, vcc
	v_cndmask_b32_e32 v38, v38, v42, vcc
	v_lshlrev_b32_e32 v28, 24, v28
	v_lshlrev_b32_e32 v38, 20, v38
	v_and_b32_e32 v28, 0x80000000, v28
	v_lshl_add_u32 v26, v26, 23, v33
	v_or3_b32 v38, v28, v26, v38
	s_branch .LBB672_12
.LBB672_205:
	buffer_load_dword v13, off, s[0:3], 0 offset:256
	buffer_load_dword v14, off, s[0:3], 0 offset:260
	buffer_load_dword v15, off, s[0:3], 0 offset:264
	buffer_load_dword v16, off, s[0:3], 0 offset:268
	buffer_load_dword v17, off, s[0:3], 0 offset:272
	buffer_load_dword v18, off, s[0:3], 0 offset:276
	buffer_load_dword v11, off, s[0:3], 0 offset:280
	buffer_load_dword v10, off, s[0:3], 0 offset:284
	buffer_load_dword v9, off, s[0:3], 0 offset:288
	buffer_load_dword v8, off, s[0:3], 0 offset:292
	buffer_load_dword v7, off, s[0:3], 0 offset:296
	buffer_load_dword v6, off, s[0:3], 0 offset:300
	buffer_load_dword v5, off, s[0:3], 0 offset:304
	buffer_load_dword v4, off, s[0:3], 0 offset:308
	buffer_load_dword v3, off, s[0:3], 0 offset:312
	buffer_load_dword v2, off, s[0:3], 0 offset:316
	v_and_b32_e32 v12, 0xc0, v0
	v_add_u32_e32 v12, s20, v12
	v_lshl_or_b32 v12, v55, 2, v12
	v_or_b32_e32 v23, 1, v12
	v_mov_b32_e32 v19, 0xff7fffff
	v_or_b32_e32 v24, 2, v12
	v_or_b32_e32 v25, 3, v12
	v_cmp_gt_i32_e64 s[26:27], s33, v12
	v_cmp_gt_i32_e64 s[28:29], s33, v23
	s_mov_b32 s52, 0xff7fffff
	v_or_b32_e32 v26, 16, v12
	v_or_b32_e32 v27, 17, v12
	;; [unrolled: 1-line block ×12, first 2 shown]
	v_cmp_gt_i32_e64 s[30:31], s33, v24
	v_cmp_gt_i32_e64 s[34:35], s33, v25
	v_mbcnt_lo_u32_b32 v20, -1, 0
	v_cmp_gt_i32_e64 s[36:37], s33, v26
	v_cmp_gt_i32_e64 s[38:39], s33, v27
	v_mbcnt_hi_u32_b32 v20, -1, v20
	v_cmp_gt_i32_e64 s[20:21], s33, v28
	v_cmp_gt_i32_e64 s[22:23], s33, v29
	v_and_b32_e32 v21, 64, v20
	v_cmp_gt_i32_e64 s[16:17], s33, v30
	v_cmp_gt_i32_e64 s[18:19], s33, v31
	v_xor_b32_e32 v22, 32, v20
	v_add_u32_e32 v21, 64, v21
	v_cmp_gt_i32_e64 s[12:13], s33, v32
	v_cmp_gt_i32_e64 s[14:15], s33, v33
	v_cmp_lt_i32_e32 vcc, v22, v21
	v_cmp_gt_i32_e64 s[6:7], s33, v34
	v_cmp_gt_i32_e64 s[10:11], s33, v35
	v_cndmask_b32_e32 v22, v20, v22, vcc
	v_cmp_gt_i32_e32 vcc, s33, v36
	v_cmp_gt_i32_e64 s[4:5], s33, v37
	v_lshlrev_b32_e32 v22, 2, v22
	s_waitcnt vmcnt(15)
	v_cndmask_b32_e64 v12, v19, v13, s[26:27]
	s_waitcnt vmcnt(14)
	v_cndmask_b32_e64 v23, v19, v14, s[28:29]
	;; [unrolled: 2-line block ×4, first 2 shown]
	v_max3_f32 v12, v12, s52, v23
	s_waitcnt vmcnt(11)
	v_cndmask_b32_e64 v26, v19, v17, s[36:37]
	s_waitcnt vmcnt(10)
	v_cndmask_b32_e64 v27, v19, v18, s[38:39]
	v_max3_f32 v12, v12, v24, v25
	s_waitcnt vmcnt(9)
	v_cndmask_b32_e64 v28, v19, v11, s[20:21]
	s_waitcnt vmcnt(8)
	v_cndmask_b32_e64 v29, v19, v10, s[22:23]
	;; [unrolled: 5-line block ×5, first 2 shown]
	v_max3_f32 v12, v12, v32, v33
	s_waitcnt vmcnt(1)
	v_cndmask_b32_e32 v36, v19, v3, vcc
	s_waitcnt vmcnt(0)
	v_cndmask_b32_e64 v19, v19, v2, s[4:5]
	v_max3_f32 v12, v12, v34, v35
	v_max3_f32 v12, v12, v36, v19
	ds_bpermute_b32 v19, v22, v12
	v_xor_b32_e32 v23, 16, v20
	v_cmp_lt_i32_e64 s[40:41], v23, v21
	v_cndmask_b32_e64 v20, v20, v23, s[40:41]
	v_lshlrev_b32_e32 v20, 2, v20
	s_waitcnt lgkmcnt(0)
	v_max_f32_e32 v19, v19, v19
	v_max_f32_e32 v12, v12, v19
	ds_bpermute_b32 v19, v20, v12
	s_waitcnt lgkmcnt(0)
	v_max_f32_e32 v19, v19, v19
	v_max_f32_e32 v12, v12, v19
	v_sub_f32_e32 v13, v13, v12
	v_sub_f32_e32 v14, v14, v12
	;; [unrolled: 1-line block ×3, first 2 shown]
	v_mul_f32_e32 v13, 0x3fb8aa3b, v13
	v_mul_f32_e32 v14, 0x3fb8aa3b, v14
	;; [unrolled: 1-line block ×3, first 2 shown]
	v_exp_f32_e32 v13, v13
	v_exp_f32_e32 v14, v14
	v_exp_f32_e32 v15, v15
	v_sub_f32_e32 v16, v16, v12
	v_cndmask_b32_e64 v13, 0, v13, s[26:27]
	v_mul_f32_e32 v16, 0x3fb8aa3b, v16
	v_cndmask_b32_e64 v14, 0, v14, s[28:29]
	v_cndmask_b32_e64 v15, 0, v15, s[30:31]
	v_add_f32_e32 v19, 0, v13
	buffer_store_dword v13, off, s[0:3], 0 offset:256
	buffer_store_dword v14, off, s[0:3], 0 offset:260
	buffer_store_dword v15, off, s[0:3], 0 offset:264
	v_sub_f32_e32 v13, v17, v12
	v_exp_f32_e32 v16, v16
	v_add_f32_e32 v19, v19, v14
	v_mul_f32_e32 v13, 0x3fb8aa3b, v13
	v_sub_f32_e32 v14, v18, v12
	v_exp_f32_e32 v13, v13
	v_mul_f32_e32 v14, 0x3fb8aa3b, v14
	v_sub_f32_e32 v11, v11, v12
	v_exp_f32_e32 v14, v14
	;; [unrolled: 3-line block ×3, first 2 shown]
	v_mul_f32_e32 v10, 0x3fb8aa3b, v10
	v_sub_f32_e32 v9, v9, v12
	v_cndmask_b32_e64 v16, 0, v16, s[34:35]
	v_add_f32_e32 v19, v19, v15
	v_exp_f32_e32 v10, v10
	v_mul_f32_e32 v9, 0x3fb8aa3b, v9
	v_sub_f32_e32 v8, v8, v12
	v_add_f32_e32 v19, v19, v16
	v_cndmask_b32_e64 v13, 0, v13, s[36:37]
	v_exp_f32_e32 v9, v9
	v_mul_f32_e32 v8, 0x3fb8aa3b, v8
	v_sub_f32_e32 v7, v7, v12
	v_add_f32_e32 v15, v19, v13
	v_cndmask_b32_e64 v14, 0, v14, s[38:39]
	;; [unrolled: 5-line block ×5, first 2 shown]
	v_exp_f32_e32 v5, v5
	v_mul_f32_e32 v4, 0x3fb8aa3b, v4
	v_sub_f32_e32 v3, v3, v12
	buffer_store_dword v16, off, s[0:3], 0 offset:268
	buffer_store_dword v13, off, s[0:3], 0 offset:272
	;; [unrolled: 1-line block ×5, first 2 shown]
	v_add_f32_e32 v10, v15, v9
	v_cndmask_b32_e64 v8, 0, v8, s[18:19]
	v_exp_f32_e32 v4, v4
	v_mul_f32_e32 v3, 0x3fb8aa3b, v3
	v_sub_f32_e32 v2, v2, v12
	v_add_f32_e32 v10, v10, v8
	v_cndmask_b32_e64 v7, 0, v7, s[12:13]
	v_exp_f32_e32 v3, v3
	v_mul_f32_e32 v2, 0x3fb8aa3b, v2
	v_add_f32_e32 v10, v10, v7
	v_cndmask_b32_e64 v6, 0, v6, s[14:15]
	v_exp_f32_e32 v2, v2
	v_add_f32_e32 v10, v10, v6
	v_cndmask_b32_e64 v5, 0, v5, s[6:7]
	buffer_store_dword v9, off, s[0:3], 0 offset:288
	buffer_store_dword v8, off, s[0:3], 0 offset:292
	;; [unrolled: 1-line block ×4, first 2 shown]
	v_add_f32_e32 v6, v10, v5
	v_cndmask_b32_e64 v4, 0, v4, s[10:11]
	v_add_f32_e32 v6, v6, v4
	v_cndmask_b32_e32 v3, 0, v3, vcc
	v_add_f32_e32 v6, v6, v3
	v_cndmask_b32_e64 v2, 0, v2, s[4:5]
	v_add_f32_e32 v6, v6, v2
	ds_bpermute_b32 v7, v22, v6
	buffer_store_dword v5, off, s[0:3], 0 offset:304
	buffer_store_dword v4, off, s[0:3], 0 offset:308
	buffer_store_dword v3, off, s[0:3], 0 offset:312
	buffer_store_dword v2, off, s[0:3], 0 offset:316
	v_cmp_gt_u32_e32 vcc, 16, v65
	s_waitcnt lgkmcnt(0)
	s_barrier
	v_add_f32_e32 v2, v6, v7
	ds_bpermute_b32 v3, v20, v2
	s_waitcnt lgkmcnt(0)
	s_and_saveexec_b64 s[4:5], vcc
	s_cbranch_execz .LBB672_207
; %bb.206:
	v_add_f32_e32 v2, v2, v3
	v_lshlrev_b32_e32 v3, 2, v64
	ds_write2st64_b32 v3, v12, v2 offset1:1
.LBB672_207:
	s_or_b64 exec, exec, s[4:5]
	v_lshlrev_b32_e32 v2, 2, v56
	s_waitcnt lgkmcnt(0)
	s_barrier
	ds_read2_b32 v[12:13], v2 offset1:16
	ds_read2_b32 v[14:15], v2 offset0:32 offset1:48
	ds_read2_b32 v[6:7], v2 offset0:64 offset1:80
	;; [unrolled: 1-line block ×3, first 2 shown]
	s_waitcnt lgkmcnt(0)
	s_barrier
	buffer_load_dword v20, off, s[0:3], 0 offset:256
	buffer_load_dword v21, off, s[0:3], 0 offset:260
	;; [unrolled: 1-line block ×16, first 2 shown]
	v_lshlrev_b32_e32 v19, 3, v55
	v_lshlrev_b32_e32 v18, 5, v56
	;; [unrolled: 1-line block ×3, first 2 shown]
	v_or3_b32 v43, v28, v18, v19
	v_max3_f32 v19, v12, s52, v13
	v_max3_f32 v19, v19, v14, v15
	v_sub_f32_e32 v12, v12, v19
	v_sub_f32_e32 v13, v13, v19
	v_mul_f32_e32 v12, 0x3fb8aa3b, v12
	v_sub_f32_e32 v14, v14, v19
	v_mul_f32_e32 v13, 0x3fb8aa3b, v13
	v_exp_f32_e32 v12, v12
	v_sub_f32_e32 v15, v15, v19
	v_mul_f32_e32 v14, 0x3fb8aa3b, v14
	v_exp_f32_e32 v13, v13
	v_mul_f32_e32 v15, 0x3fb8aa3b, v15
	v_exp_f32_e32 v14, v14
	v_exp_f32_e32 v15, v15
	v_fma_f32 v6, v12, v6, 0
	v_fmac_f32_e32 v6, v13, v7
	v_fmac_f32_e32 v6, v14, v10
	;; [unrolled: 1-line block ×3, first 2 shown]
	v_cmp_eq_u32_e32 vcc, 1, v63
	v_add_f32_e32 v10, 0x358637bd, v6
	v_cndmask_b32_e32 v12, v12, v13, vcc
	v_cmp_eq_u32_e32 vcc, 2, v63
	v_div_scale_f32 v11, s[4:5], v10, v10, 1.0
	v_cndmask_b32_e32 v7, v12, v14, vcc
	v_rcp_f32_e32 v12, v11
	v_cmp_eq_u32_e32 vcc, 3, v63
	v_cndmask_b32_e32 v7, v7, v15, vcc
	v_div_scale_f32 v13, vcc, 1.0, v10, 1.0
	v_fma_f32 v14, -v11, v12, 1.0
	v_fmac_f32_e32 v12, v14, v12
	v_mul_f32_e32 v14, v13, v12
	v_fma_f32 v15, -v11, v14, v13
	v_fmac_f32_e32 v14, v15, v12
	v_fma_f32 v11, -v11, v14, v13
	v_div_fmas_f32 v11, v11, v12, v14
	v_div_fixup_f32 v10, v11, v10, 1.0
	v_mul_f32_e32 v10, v7, v10
	s_mul_i32 s18, s51, 3
	v_cmp_gt_u32_e32 vcc, 3, v0
	s_waitcnt vmcnt(14)
	v_pk_mul_f32 v[14:15], v[10:11], v[20:21] op_sel_hi:[0,1]
	v_cvt_f16_f32_e32 v7, v14
	s_waitcnt vmcnt(12)
	v_pk_mul_f32 v[12:13], v[10:11], v[22:23] op_sel_hi:[0,1]
	buffer_store_dword v14, off, s[0:3], 0 offset:256
	buffer_store_dword v15, off, s[0:3], 0 offset:260
	;; [unrolled: 1-line block ×3, first 2 shown]
	s_waitcnt vmcnt(13)
	v_pk_mul_f32 v[20:21], v[10:11], v[24:25] op_sel_hi:[0,1]
	v_cvt_f16_f32_e32 v14, v12
	s_waitcnt vmcnt(11)
	v_pk_mul_f32 v[22:23], v[10:11], v[26:27] op_sel_hi:[0,1]
	v_cvt_f16_f32_e32 v11, v15
	v_cvt_f16_f32_e32 v15, v13
	buffer_store_dword v13, off, s[0:3], 0 offset:268
	buffer_store_dword v22, off, s[0:3], 0 offset:272
	;; [unrolled: 1-line block ×3, first 2 shown]
	v_pack_b32_f16 v12, v7, v11
	v_cvt_f16_f32_e32 v11, v23
	v_pack_b32_f16 v13, v14, v15
	v_cvt_f16_f32_e32 v7, v22
	v_cvt_f16_f32_e32 v15, v20
	;; [unrolled: 1-line block ×3, first 2 shown]
	s_waitcnt vmcnt(12)
	v_pk_mul_f32 v[4:5], v[10:11], v[4:5] op_sel_hi:[0,1]
	v_pack_b32_f16 v14, v7, v11
	s_waitcnt vmcnt(10)
	v_pk_mul_f32 v[2:3], v[10:11], v[2:3] op_sel_hi:[0,1]
	v_pack_b32_f16 v15, v15, v22
	v_cvt_f16_f32_e32 v11, v5
	buffer_store_dword v20, off, s[0:3], 0 offset:280
	buffer_store_dword v21, off, s[0:3], 0 offset:284
	ds_write2st64_b64 v43, v[12:13], v[14:15] offset1:1
	buffer_store_dword v2, off, s[0:3], 0 offset:288
	buffer_store_dword v3, off, s[0:3], 0 offset:292
	v_cvt_f16_f32_e32 v2, v2
	v_cvt_f16_f32_e32 v3, v3
	;; [unrolled: 1-line block ×3, first 2 shown]
	buffer_store_dword v4, off, s[0:3], 0 offset:296
	buffer_store_dword v5, off, s[0:3], 0 offset:300
	s_waitcnt vmcnt(12)
	v_pk_mul_f32 v[4:5], v[10:11], v[16:17] op_sel_hi:[0,1]
	v_pk_mul_f32 v[8:9], v[10:11], v[8:9] op_sel_hi:[0,1]
	v_pack_b32_f16 v2, v2, v3
	v_pack_b32_f16 v3, v7, v11
	buffer_store_dword v8, off, s[0:3], 0 offset:304
	buffer_store_dword v9, off, s[0:3], 0 offset:308
	v_cvt_f16_f32_e32 v7, v8
	v_cvt_f16_f32_e32 v8, v9
	;; [unrolled: 1-line block ×4, first 2 shown]
	buffer_store_dword v4, off, s[0:3], 0 offset:312
	buffer_store_dword v5, off, s[0:3], 0 offset:316
	v_pack_b32_f16 v4, v7, v8
	v_pack_b32_f16 v5, v9, v10
	ds_write2st64_b64 v43, v[2:3], v[4:5] offset0:2 offset1:3
	s_and_saveexec_b64 s[4:5], vcc
	s_cbranch_execz .LBB672_209
; %bb.208:
	v_add_co_u32_e32 v4, vcc, s25, v56
	v_addc_co_u32_e64 v5, s[6:7], 0, 0, vcc
	v_mov_b32_e32 v2, s18
	v_mad_u64_u32 v[4:5], s[6:7], s8, v2, v[4:5]
	v_mov_b32_e32 v3, 0
	s_mul_i32 s6, s9, s18
	v_mov_b32_e32 v2, s24
	v_add_u32_e32 v5, s6, v5
	v_mad_u64_u32 v[2:3], s[6:7], v4, s50, v[2:3]
	v_mov_b32_e32 v4, v3
	v_mad_u64_u32 v[4:5], s[6:7], v5, s50, v[4:5]
	v_mov_b32_e32 v3, v4
	v_lshlrev_b64 v[2:3], 2, v[2:3]
	v_mov_b32_e32 v5, s47
	v_add_co_u32_e32 v4, vcc, s46, v2
	v_addc_co_u32_e32 v5, vcc, v5, v3, vcc
	global_store_dword v[4:5], v19, off
	v_mov_b32_e32 v4, s45
	v_add_co_u32_e32 v2, vcc, s44, v2
	v_addc_co_u32_e32 v3, vcc, v4, v3, vcc
	global_store_dword v[2:3], v6, off
.LBB672_209:
	s_or_b64 exec, exec, s[4:5]
	v_lshl_or_b32 v30, v55, 9, v18
	s_waitcnt lgkmcnt(0)
	s_barrier
	s_load_dword s4, s[42:43], 0x0
	ds_read_b128 v[2:5], v30
	ds_read_b128 v[6:9], v30 offset:16
	ds_read_b128 v[10:13], v30 offset:2048
	;; [unrolled: 1-line block ×7, first 2 shown]
	v_mov_b32_e32 v35, 0x80
	v_mov_b32_e32 v45, 0x140
	s_mov_b64 s[10:11], -1
	s_waitcnt lgkmcnt(0)
	s_mov_b32 s5, s4
	s_mov_b32 s6, s4
	;; [unrolled: 1-line block ×3, first 2 shown]
	s_movk_i32 s9, 0x80
	s_movk_i32 s19, 0x7f
	s_mov_b32 s20, 0xffffff
	v_mov_b32_e32 v47, 0
	v_bfrev_b32_e32 v48, 60
	s_branch .LBB672_213
.LBB672_210:                            ;   in Loop: Header=BB672_213 Depth=1
	s_or_b64 exec, exec, s[16:17]
.LBB672_211:                            ;   in Loop: Header=BB672_213 Depth=1
	s_or_b64 exec, exec, s[14:15]
.LBB672_212:                            ;   in Loop: Header=BB672_213 Depth=1
	s_or_b64 exec, exec, s[12:13]
	v_cvt_pkrtz_f16_f32 v60, v46, v49
	v_cvt_pkrtz_f16_f32 v61, v44, v51
	s_xor_b64 s[12:13], s[10:11], -1
	s_mov_b64 s[10:11], 0
	v_mov_b32_e32 v62, v39
	v_mfma_f32_16x16x16f16 v[64:67], v[60:61], v[30:31], v[34:37]
	v_mov_b32_e32 v61, v41
	v_mov_b32_e32 v60, v59
	s_and_b64 vcc, exec, s[12:13]
	s_nop 3
	v_cvt_pkrtz_f16_f32 v36, v50, v52
	v_cvt_pkrtz_f16_f32 v37, v42, v53
	v_mov_b32_e32 v35, v58
	s_nop 0
	v_mfma_f32_16x16x16f16 v[50:53], v[36:37], v[32:33], v[64:67]
	s_nop 7
	s_nop 2
	v_pk_mul_f32 v[50:51], v[50:51], s[4:5]
	v_pk_mul_f32 v[36:37], v[52:53], s[6:7]
	v_cvt_f16_f32_e32 v34, v50
	v_cvt_f16_f32_e32 v38, v51
	;; [unrolled: 1-line block ×4, first 2 shown]
	v_pack_b32_f16 v34, v34, v38
	v_pack_b32_f16 v36, v36, v37
	buffer_store_dword v34, v45, s[0:3], 0 offen
	buffer_store_dword v36, v45, s[0:3], 0 offen offset:4
	v_mov_b32_e32 v45, 0x148
	s_cbranch_vccnz .LBB672_595
.LBB672_213:                            ; =>This Inner Loop Header: Depth=1
	buffer_load_dword v36, v35, s[0:3], 0 offen
	buffer_load_dword v34, v35, s[0:3], 0 offen offset:4
	buffer_load_dword v40, v35, s[0:3], 0 offen offset:8
	;; [unrolled: 1-line block ×3, first 2 shown]
	v_mov_b32_e32 v35, 0
	s_waitcnt vmcnt(3)
	v_cmp_ne_u16_sdwa s[14:15], v36, v47 src0_sel:BYTE_0 src1_sel:DWORD
	s_and_saveexec_b64 s[12:13], s[14:15]
	s_cbranch_execz .LBB672_219
; %bb.214:                              ;   in Loop: Header=BB672_213 Depth=1
	v_cmp_ne_u16_sdwa s[16:17], v36, s9 src0_sel:BYTE_0 src1_sel:DWORD
	v_bfrev_b32_e32 v35, 1
	s_and_saveexec_b64 s[14:15], s[16:17]
	s_cbranch_execz .LBB672_218
; %bb.215:                              ;   in Loop: Header=BB672_213 Depth=1
	v_and_b32_e32 v37, 0x7f, v36
	v_cmp_ne_u32_e32 vcc, s19, v37
	v_mov_b32_e32 v35, 0x7f800001
	s_and_saveexec_b64 s[16:17], vcc
	s_cbranch_execz .LBB672_217
; %bb.216:                              ;   in Loop: Header=BB672_213 Depth=1
	v_and_b32_e32 v35, 7, v36
	v_ffbh_u32_e32 v44, v35
	v_min_u32_e32 v44, 32, v44
	v_subrev_u32_e32 v46, 28, v44
	v_lshlrev_b64 v[50:51], v46, v[36:37]
	v_lshrrev_b32_e32 v42, 3, v37
	v_sub_u32_e32 v44, 29, v44
	v_and_b32_e32 v46, 7, v50
	v_cmp_gt_u32_e32 vcc, 8, v37
	v_cndmask_b32_e32 v37, v42, v44, vcc
	v_cndmask_b32_e32 v35, v35, v46, vcc
	v_lshlrev_b32_e32 v42, 24, v36
	v_lshlrev_b32_e32 v35, 20, v35
	v_and_b32_e32 v42, 0x80000000, v42
	v_lshl_add_u32 v37, v37, 23, v48
	v_or3_b32 v35, v42, v37, v35
.LBB672_217:                            ;   in Loop: Header=BB672_213 Depth=1
	s_or_b64 exec, exec, s[16:17]
.LBB672_218:                            ;   in Loop: Header=BB672_213 Depth=1
	s_or_b64 exec, exec, s[14:15]
.LBB672_219:                            ;   in Loop: Header=BB672_213 Depth=1
	s_or_b64 exec, exec, s[12:13]
	v_lshrrev_b16_e32 v42, 8, v36
	v_cmp_ne_u16_e32 vcc, 0, v42
	v_mov_b32_e32 v37, 0
	s_and_saveexec_b64 s[12:13], vcc
	s_cbranch_execz .LBB672_225
; %bb.220:                              ;   in Loop: Header=BB672_213 Depth=1
	v_cmp_ne_u16_e32 vcc, s9, v42
	v_bfrev_b32_e32 v37, 1
	s_and_saveexec_b64 s[14:15], vcc
	s_cbranch_execz .LBB672_224
; %bb.221:                              ;   in Loop: Header=BB672_213 Depth=1
	v_and_b32_e32 v44, 0x7f, v42
	v_cmp_ne_u32_e32 vcc, s19, v44
	v_mov_b32_e32 v37, 0x7f800001
	s_and_saveexec_b64 s[16:17], vcc
	s_cbranch_execz .LBB672_223
; %bb.222:                              ;   in Loop: Header=BB672_213 Depth=1
	v_and_b32_e32 v37, 7, v42
	v_ffbh_u32_e32 v49, v37
	v_min_u32_e32 v49, 32, v49
	v_subrev_u32_e32 v50, 28, v49
	v_lshlrev_b64 v[50:51], v50, v[42:43]
	v_lshrrev_b32_e32 v46, 3, v44
	v_sub_u32_e32 v42, 29, v49
	v_and_b32_e32 v49, 7, v50
	v_cmp_gt_u32_e32 vcc, 8, v44
	v_cndmask_b32_e32 v42, v46, v42, vcc
	v_cndmask_b32_e32 v37, v37, v49, vcc
	v_lshlrev_b32_e32 v44, 16, v36
	v_lshlrev_b32_e32 v37, 20, v37
	v_and_b32_e32 v44, 0x80000000, v44
	v_lshl_add_u32 v42, v42, 23, v48
	v_or3_b32 v37, v44, v42, v37
.LBB672_223:                            ;   in Loop: Header=BB672_213 Depth=1
	s_or_b64 exec, exec, s[16:17]
.LBB672_224:                            ;   in Loop: Header=BB672_213 Depth=1
	s_or_b64 exec, exec, s[14:15]
.LBB672_225:                            ;   in Loop: Header=BB672_213 Depth=1
	s_or_b64 exec, exec, s[12:13]
	v_lshrrev_b32_e32 v42, 16, v36
	v_cmp_ne_u16_sdwa s[14:15], v42, v47 src0_sel:BYTE_0 src1_sel:DWORD
	v_mov_b32_e32 v46, 0
	v_mov_b32_e32 v44, 0
	s_and_saveexec_b64 s[12:13], s[14:15]
	s_cbranch_execz .LBB672_231
; %bb.226:                              ;   in Loop: Header=BB672_213 Depth=1
	v_cmp_ne_u16_sdwa s[16:17], v42, s9 src0_sel:BYTE_0 src1_sel:DWORD
	v_bfrev_b32_e32 v44, 1
	s_and_saveexec_b64 s[14:15], s[16:17]
	s_cbranch_execz .LBB672_230
; %bb.227:                              ;   in Loop: Header=BB672_213 Depth=1
	v_bfe_u32 v49, v36, 16, 7
	v_cmp_ne_u32_e32 vcc, s19, v49
	v_mov_b32_e32 v44, 0x7f800001
	s_and_saveexec_b64 s[16:17], vcc
	s_cbranch_execz .LBB672_229
; %bb.228:                              ;   in Loop: Header=BB672_213 Depth=1
	v_and_b32_e32 v44, 7, v42
	v_ffbh_u32_e32 v50, v44
	v_min_u32_e32 v53, 32, v50
	v_subrev_u32_e32 v50, 28, v53
	v_lshlrev_b64 v[50:51], v50, v[42:43]
	v_lshrrev_b32_e32 v52, 3, v49
	v_sub_u32_e32 v51, 29, v53
	v_and_b32_e32 v50, 7, v50
	v_cmp_gt_u32_e32 vcc, 8, v49
	v_cndmask_b32_e32 v49, v52, v51, vcc
	v_cndmask_b32_e32 v44, v44, v50, vcc
	v_lshlrev_b32_e32 v42, 24, v42
	v_lshlrev_b32_e32 v44, 20, v44
	v_and_b32_e32 v42, 0x80000000, v42
	v_lshl_add_u32 v49, v49, 23, v48
	v_or3_b32 v44, v42, v49, v44
.LBB672_229:                            ;   in Loop: Header=BB672_213 Depth=1
	s_or_b64 exec, exec, s[16:17]
.LBB672_230:                            ;   in Loop: Header=BB672_213 Depth=1
	s_or_b64 exec, exec, s[14:15]
.LBB672_231:                            ;   in Loop: Header=BB672_213 Depth=1
	s_or_b64 exec, exec, s[12:13]
	v_cmp_lt_u32_e32 vcc, s20, v36
	s_and_saveexec_b64 s[12:13], vcc
	s_cbranch_execz .LBB672_237
; %bb.232:                              ;   in Loop: Header=BB672_213 Depth=1
	v_lshrrev_b32_e32 v42, 24, v36
	v_cmp_ne_u32_e32 vcc, s9, v42
	v_bfrev_b32_e32 v46, 1
	s_and_saveexec_b64 s[14:15], vcc
	s_cbranch_execz .LBB672_236
; %bb.233:                              ;   in Loop: Header=BB672_213 Depth=1
	v_bfe_u32 v36, v36, 24, 7
	v_cmp_ne_u32_e32 vcc, s19, v36
	v_mov_b32_e32 v46, 0x7f800001
	s_and_saveexec_b64 s[16:17], vcc
	s_cbranch_execz .LBB672_235
; %bb.234:                              ;   in Loop: Header=BB672_213 Depth=1
	v_and_b32_e32 v46, 7, v42
	v_ffbh_u32_e32 v50, v46
	v_min_u32_e32 v52, 32, v50
	v_subrev_u32_e32 v50, 28, v52
	v_lshlrev_b64 v[50:51], v50, v[42:43]
	v_lshrrev_b32_e32 v49, 3, v36
	v_sub_u32_e32 v51, 29, v52
	v_and_b32_e32 v50, 7, v50
	v_cmp_gt_u32_e32 vcc, 8, v36
	v_cndmask_b32_e32 v36, v49, v51, vcc
	v_cndmask_b32_e32 v46, v46, v50, vcc
	v_lshlrev_b32_e32 v42, 24, v42
	v_lshlrev_b32_e32 v46, 20, v46
	v_and_b32_e32 v42, 0x80000000, v42
	v_lshl_add_u32 v36, v36, 23, v48
	v_or3_b32 v46, v42, v36, v46
.LBB672_235:                            ;   in Loop: Header=BB672_213 Depth=1
	s_or_b64 exec, exec, s[16:17]
.LBB672_236:                            ;   in Loop: Header=BB672_213 Depth=1
	s_or_b64 exec, exec, s[14:15]
.LBB672_237:                            ;   in Loop: Header=BB672_213 Depth=1
	s_or_b64 exec, exec, s[12:13]
	s_waitcnt vmcnt(2)
	v_cmp_ne_u16_sdwa s[14:15], v34, v47 src0_sel:BYTE_0 src1_sel:DWORD
	v_mov_b32_e32 v42, 0
	v_mov_b32_e32 v49, 0
	s_and_saveexec_b64 s[12:13], s[14:15]
	s_cbranch_execz .LBB672_243
; %bb.238:                              ;   in Loop: Header=BB672_213 Depth=1
	v_cmp_ne_u16_sdwa s[16:17], v34, s9 src0_sel:BYTE_0 src1_sel:DWORD
	v_bfrev_b32_e32 v49, 1
	s_and_saveexec_b64 s[14:15], s[16:17]
	s_cbranch_execz .LBB672_242
; %bb.239:                              ;   in Loop: Header=BB672_213 Depth=1
	v_and_b32_e32 v36, 0x7f, v34
	v_cmp_ne_u32_e32 vcc, s19, v36
	v_mov_b32_e32 v49, 0x7f800001
	s_and_saveexec_b64 s[16:17], vcc
	s_cbranch_execz .LBB672_241
; %bb.240:                              ;   in Loop: Header=BB672_213 Depth=1
	v_and_b32_e32 v49, 7, v34
	v_ffbh_u32_e32 v50, v49
	v_min_u32_e32 v53, 32, v50
	v_subrev_u32_e32 v50, 28, v53
	v_lshlrev_b64 v[50:51], v50, v[34:35]
	v_lshrrev_b32_e32 v52, 3, v36
	v_sub_u32_e32 v51, 29, v53
	v_and_b32_e32 v50, 7, v50
	v_cmp_gt_u32_e32 vcc, 8, v36
	v_cndmask_b32_e32 v36, v52, v51, vcc
	v_cndmask_b32_e32 v49, v49, v50, vcc
	v_lshlrev_b32_e32 v50, 24, v34
	v_lshlrev_b32_e32 v49, 20, v49
	v_and_b32_e32 v50, 0x80000000, v50
	v_lshl_add_u32 v36, v36, 23, v48
	v_or3_b32 v49, v50, v36, v49
.LBB672_241:                            ;   in Loop: Header=BB672_213 Depth=1
	s_or_b64 exec, exec, s[16:17]
.LBB672_242:                            ;   in Loop: Header=BB672_213 Depth=1
	s_or_b64 exec, exec, s[14:15]
.LBB672_243:                            ;   in Loop: Header=BB672_213 Depth=1
	s_or_b64 exec, exec, s[12:13]
	v_lshrrev_b16_e32 v36, 8, v34
	v_cmp_ne_u16_e32 vcc, 0, v36
	s_and_saveexec_b64 s[12:13], vcc
	s_cbranch_execz .LBB672_249
; %bb.244:                              ;   in Loop: Header=BB672_213 Depth=1
	v_cmp_ne_u16_e32 vcc, s9, v36
	v_bfrev_b32_e32 v42, 1
	s_and_saveexec_b64 s[14:15], vcc
	s_cbranch_execz .LBB672_248
; %bb.245:                              ;   in Loop: Header=BB672_213 Depth=1
	v_and_b32_e32 v50, 0x7f, v36
	v_cmp_ne_u32_e32 vcc, s19, v50
	v_mov_b32_e32 v42, 0x7f800001
	s_and_saveexec_b64 s[16:17], vcc
	s_cbranch_execz .LBB672_247
; %bb.246:                              ;   in Loop: Header=BB672_213 Depth=1
	v_and_b32_e32 v42, 7, v36
	v_ffbh_u32_e32 v52, v42
	v_min_u32_e32 v63, 32, v52
	v_subrev_u32_e32 v52, 28, v63
	v_lshlrev_b64 v[52:53], v52, v[36:37]
	v_lshrrev_b32_e32 v51, 3, v50
	v_sub_u32_e32 v36, 29, v63
	v_and_b32_e32 v52, 7, v52
	v_cmp_gt_u32_e32 vcc, 8, v50
	v_cndmask_b32_e32 v36, v51, v36, vcc
	v_cndmask_b32_e32 v42, v42, v52, vcc
	v_lshlrev_b32_e32 v50, 16, v34
	v_lshlrev_b32_e32 v42, 20, v42
	v_and_b32_e32 v50, 0x80000000, v50
	v_lshl_add_u32 v36, v36, 23, v48
	v_or3_b32 v42, v50, v36, v42
.LBB672_247:                            ;   in Loop: Header=BB672_213 Depth=1
	s_or_b64 exec, exec, s[16:17]
.LBB672_248:                            ;   in Loop: Header=BB672_213 Depth=1
	s_or_b64 exec, exec, s[14:15]
.LBB672_249:                            ;   in Loop: Header=BB672_213 Depth=1
	s_or_b64 exec, exec, s[12:13]
	v_lshrrev_b32_e32 v36, 16, v34
	v_cmp_ne_u16_sdwa s[14:15], v36, v47 src0_sel:BYTE_0 src1_sel:DWORD
	v_mov_b32_e32 v51, 0
	v_mov_b32_e32 v50, 0
	s_and_saveexec_b64 s[12:13], s[14:15]
	s_cbranch_execz .LBB672_255
; %bb.250:                              ;   in Loop: Header=BB672_213 Depth=1
	v_cmp_ne_u16_sdwa s[16:17], v36, s9 src0_sel:BYTE_0 src1_sel:DWORD
	v_bfrev_b32_e32 v50, 1
	s_and_saveexec_b64 s[14:15], s[16:17]
	s_cbranch_execz .LBB672_254
; %bb.251:                              ;   in Loop: Header=BB672_213 Depth=1
	v_bfe_u32 v52, v34, 16, 7
	v_cmp_ne_u32_e32 vcc, s19, v52
	v_mov_b32_e32 v50, 0x7f800001
	s_and_saveexec_b64 s[16:17], vcc
	s_cbranch_execz .LBB672_253
; %bb.252:                              ;   in Loop: Header=BB672_213 Depth=1
	v_and_b32_e32 v50, 7, v36
	v_ffbh_u32_e32 v63, v50
	v_min_u32_e32 v63, 32, v63
	v_subrev_u32_e32 v64, 28, v63
	v_lshlrev_b64 v[64:65], v64, v[36:37]
	v_lshrrev_b32_e32 v53, 3, v52
	v_sub_u32_e32 v63, 29, v63
	v_and_b32_e32 v64, 7, v64
	v_cmp_gt_u32_e32 vcc, 8, v52
	v_cndmask_b32_e32 v52, v53, v63, vcc
	v_cndmask_b32_e32 v50, v50, v64, vcc
	v_lshlrev_b32_e32 v36, 24, v36
	v_lshlrev_b32_e32 v50, 20, v50
	v_and_b32_e32 v36, 0x80000000, v36
	v_lshl_add_u32 v52, v52, 23, v48
	v_or3_b32 v50, v36, v52, v50
.LBB672_253:                            ;   in Loop: Header=BB672_213 Depth=1
	s_or_b64 exec, exec, s[16:17]
.LBB672_254:                            ;   in Loop: Header=BB672_213 Depth=1
	s_or_b64 exec, exec, s[14:15]
.LBB672_255:                            ;   in Loop: Header=BB672_213 Depth=1
	s_or_b64 exec, exec, s[12:13]
	v_cmp_lt_u32_e32 vcc, s20, v34
	s_and_saveexec_b64 s[12:13], vcc
	s_cbranch_execz .LBB672_261
; %bb.256:                              ;   in Loop: Header=BB672_213 Depth=1
	v_lshrrev_b32_e32 v36, 24, v34
	v_cmp_ne_u32_e32 vcc, s9, v36
	v_bfrev_b32_e32 v51, 1
	s_and_saveexec_b64 s[14:15], vcc
	s_cbranch_execz .LBB672_260
; %bb.257:                              ;   in Loop: Header=BB672_213 Depth=1
	v_bfe_u32 v34, v34, 24, 7
	v_cmp_ne_u32_e32 vcc, s19, v34
	v_mov_b32_e32 v51, 0x7f800001
	s_and_saveexec_b64 s[16:17], vcc
	s_cbranch_execz .LBB672_259
; %bb.258:                              ;   in Loop: Header=BB672_213 Depth=1
	v_and_b32_e32 v51, 7, v36
	v_ffbh_u32_e32 v52, v51
	v_min_u32_e32 v64, 32, v52
	v_subrev_u32_e32 v52, 28, v64
	v_lshlrev_b64 v[52:53], v52, v[36:37]
	v_lshrrev_b32_e32 v63, 3, v34
	v_sub_u32_e32 v53, 29, v64
	v_and_b32_e32 v52, 7, v52
	v_cmp_gt_u32_e32 vcc, 8, v34
	v_cndmask_b32_e32 v34, v63, v53, vcc
	v_cndmask_b32_e32 v51, v51, v52, vcc
	v_lshlrev_b32_e32 v36, 24, v36
	v_lshlrev_b32_e32 v51, 20, v51
	v_and_b32_e32 v36, 0x80000000, v36
	v_lshl_add_u32 v34, v34, 23, v48
	v_or3_b32 v51, v36, v34, v51
.LBB672_259:                            ;   in Loop: Header=BB672_213 Depth=1
	s_or_b64 exec, exec, s[16:17]
.LBB672_260:                            ;   in Loop: Header=BB672_213 Depth=1
	s_or_b64 exec, exec, s[14:15]
.LBB672_261:                            ;   in Loop: Header=BB672_213 Depth=1
	s_or_b64 exec, exec, s[12:13]
	v_cvt_pkrtz_f16_f32 v34, v35, v37
	v_cvt_pkrtz_f16_f32 v35, v44, v46
	;; [unrolled: 1-line block ×4, first 2 shown]
	v_mov_b32_e32 v44, 0
	v_mfma_f32_16x16x16f16 v[34:37], v[34:35], v[2:3], 0
	s_waitcnt vmcnt(1)
	v_cmp_ne_u16_sdwa s[14:15], v40, v47 src0_sel:BYTE_0 src1_sel:DWORD
	v_mov_b32_e32 v46, 0
	v_mfma_f32_16x16x16f16 v[34:37], v[52:53], v[4:5], v[34:37]
	s_and_saveexec_b64 s[12:13], s[14:15]
	s_cbranch_execz .LBB672_267
; %bb.262:                              ;   in Loop: Header=BB672_213 Depth=1
	v_cmp_ne_u16_sdwa s[16:17], v40, s9 src0_sel:BYTE_0 src1_sel:DWORD
	v_bfrev_b32_e32 v46, 1
	s_and_saveexec_b64 s[14:15], s[16:17]
	s_cbranch_execz .LBB672_266
; %bb.263:                              ;   in Loop: Header=BB672_213 Depth=1
	v_and_b32_e32 v42, 0x7f, v40
	v_cmp_ne_u32_e32 vcc, s19, v42
	v_mov_b32_e32 v46, 0x7f800001
	s_and_saveexec_b64 s[16:17], vcc
	s_cbranch_execz .LBB672_265
; %bb.264:                              ;   in Loop: Header=BB672_213 Depth=1
	v_and_b32_e32 v46, 7, v40
	v_ffbh_u32_e32 v50, v46
	v_min_u32_e32 v52, 32, v50
	v_subrev_u32_e32 v50, 28, v52
	v_lshlrev_b64 v[50:51], v50, v[40:41]
	v_lshrrev_b32_e32 v49, 3, v42
	v_sub_u32_e32 v51, 29, v52
	v_and_b32_e32 v50, 7, v50
	v_cmp_gt_u32_e32 vcc, 8, v42
	v_cndmask_b32_e32 v42, v49, v51, vcc
	v_cndmask_b32_e32 v46, v46, v50, vcc
	v_lshlrev_b32_e32 v49, 24, v40
	v_lshlrev_b32_e32 v46, 20, v46
	v_and_b32_e32 v49, 0x80000000, v49
	v_lshl_add_u32 v42, v42, 23, v48
	v_or3_b32 v46, v49, v42, v46
.LBB672_265:                            ;   in Loop: Header=BB672_213 Depth=1
	s_or_b64 exec, exec, s[16:17]
.LBB672_266:                            ;   in Loop: Header=BB672_213 Depth=1
	s_or_b64 exec, exec, s[14:15]
.LBB672_267:                            ;   in Loop: Header=BB672_213 Depth=1
	s_or_b64 exec, exec, s[12:13]
	v_lshrrev_b16_e32 v42, 8, v40
	v_cmp_ne_u16_e32 vcc, 0, v42
	v_mov_b32_e32 v50, 0
	s_and_saveexec_b64 s[12:13], vcc
	s_cbranch_execz .LBB672_273
; %bb.268:                              ;   in Loop: Header=BB672_213 Depth=1
	v_cmp_ne_u16_e32 vcc, s9, v42
	v_bfrev_b32_e32 v50, 1
	s_and_saveexec_b64 s[14:15], vcc
	s_cbranch_execz .LBB672_272
; %bb.269:                              ;   in Loop: Header=BB672_213 Depth=1
	v_and_b32_e32 v49, 0x7f, v42
	v_cmp_ne_u32_e32 vcc, s19, v49
	v_mov_b32_e32 v50, 0x7f800001
	s_and_saveexec_b64 s[16:17], vcc
	s_cbranch_execz .LBB672_271
; %bb.270:                              ;   in Loop: Header=BB672_213 Depth=1
	v_and_b32_e32 v52, 7, v42
	v_ffbh_u32_e32 v50, v52
	v_min_u32_e32 v63, 32, v50
	v_subrev_u32_e32 v50, 28, v63
	v_lshlrev_b64 v[50:51], v50, v[42:43]
	v_lshrrev_b32_e32 v53, 3, v49
	v_sub_u32_e32 v42, 29, v63
	v_and_b32_e32 v50, 7, v50
	v_cmp_gt_u32_e32 vcc, 8, v49
	v_cndmask_b32_e32 v42, v53, v42, vcc
	v_cndmask_b32_e32 v49, v52, v50, vcc
	v_lshlrev_b32_e32 v50, 16, v40
	v_lshlrev_b32_e32 v49, 20, v49
	v_and_b32_e32 v50, 0x80000000, v50
	v_lshl_add_u32 v42, v42, 23, v48
	v_or3_b32 v50, v50, v42, v49
.LBB672_271:                            ;   in Loop: Header=BB672_213 Depth=1
	s_or_b64 exec, exec, s[16:17]
.LBB672_272:                            ;   in Loop: Header=BB672_213 Depth=1
	s_or_b64 exec, exec, s[14:15]
.LBB672_273:                            ;   in Loop: Header=BB672_213 Depth=1
	s_or_b64 exec, exec, s[12:13]
	v_lshrrev_b32_e32 v42, 16, v40
	v_cmp_ne_u16_sdwa s[14:15], v42, v47 src0_sel:BYTE_0 src1_sel:DWORD
	s_and_saveexec_b64 s[12:13], s[14:15]
	s_cbranch_execz .LBB672_279
; %bb.274:                              ;   in Loop: Header=BB672_213 Depth=1
	v_cmp_ne_u16_sdwa s[16:17], v42, s9 src0_sel:BYTE_0 src1_sel:DWORD
	v_bfrev_b32_e32 v44, 1
	s_and_saveexec_b64 s[14:15], s[16:17]
	s_cbranch_execz .LBB672_278
; %bb.275:                              ;   in Loop: Header=BB672_213 Depth=1
	v_bfe_u32 v49, v40, 16, 7
	v_cmp_ne_u32_e32 vcc, s19, v49
	v_mov_b32_e32 v44, 0x7f800001
	s_and_saveexec_b64 s[16:17], vcc
	s_cbranch_execz .LBB672_277
; %bb.276:                              ;   in Loop: Header=BB672_213 Depth=1
	v_and_b32_e32 v44, 7, v42
	v_ffbh_u32_e32 v52, v44
	v_min_u32_e32 v63, 32, v52
	v_subrev_u32_e32 v52, 28, v63
	v_lshlrev_b64 v[52:53], v52, v[42:43]
	v_lshrrev_b32_e32 v51, 3, v49
	v_sub_u32_e32 v53, 29, v63
	v_and_b32_e32 v52, 7, v52
	v_cmp_gt_u32_e32 vcc, 8, v49
	v_cndmask_b32_e32 v49, v51, v53, vcc
	v_cndmask_b32_e32 v44, v44, v52, vcc
	v_lshlrev_b32_e32 v42, 24, v42
	v_lshlrev_b32_e32 v44, 20, v44
	v_and_b32_e32 v42, 0x80000000, v42
	v_lshl_add_u32 v49, v49, 23, v48
	v_or3_b32 v44, v42, v49, v44
.LBB672_277:                            ;   in Loop: Header=BB672_213 Depth=1
	s_or_b64 exec, exec, s[16:17]
.LBB672_278:                            ;   in Loop: Header=BB672_213 Depth=1
	s_or_b64 exec, exec, s[14:15]
.LBB672_279:                            ;   in Loop: Header=BB672_213 Depth=1
	s_or_b64 exec, exec, s[12:13]
	v_cmp_lt_u32_e32 vcc, s20, v40
	v_mov_b32_e32 v51, 0
	v_mov_b32_e32 v52, 0
	s_and_saveexec_b64 s[12:13], vcc
	s_cbranch_execz .LBB672_285
; %bb.280:                              ;   in Loop: Header=BB672_213 Depth=1
	v_lshrrev_b32_e32 v42, 24, v40
	v_cmp_ne_u32_e32 vcc, s9, v42
	v_bfrev_b32_e32 v52, 1
	s_and_saveexec_b64 s[14:15], vcc
	s_cbranch_execz .LBB672_284
; %bb.281:                              ;   in Loop: Header=BB672_213 Depth=1
	v_bfe_u32 v40, v40, 24, 7
	v_cmp_ne_u32_e32 vcc, s19, v40
	v_mov_b32_e32 v52, 0x7f800001
	s_and_saveexec_b64 s[16:17], vcc
	s_cbranch_execz .LBB672_283
; %bb.282:                              ;   in Loop: Header=BB672_213 Depth=1
	v_and_b32_e32 v49, 7, v42
	v_ffbh_u32_e32 v52, v49
	v_min_u32_e32 v64, 32, v52
	v_subrev_u32_e32 v52, 28, v64
	v_lshlrev_b64 v[52:53], v52, v[42:43]
	v_lshrrev_b32_e32 v63, 3, v40
	v_sub_u32_e32 v53, 29, v64
	v_and_b32_e32 v52, 7, v52
	v_cmp_gt_u32_e32 vcc, 8, v40
	v_cndmask_b32_e32 v40, v63, v53, vcc
	v_cndmask_b32_e32 v49, v49, v52, vcc
	v_lshlrev_b32_e32 v42, 24, v42
	v_lshlrev_b32_e32 v49, 20, v49
	v_and_b32_e32 v42, 0x80000000, v42
	v_lshl_add_u32 v40, v40, 23, v48
	v_or3_b32 v52, v42, v40, v49
.LBB672_283:                            ;   in Loop: Header=BB672_213 Depth=1
	s_or_b64 exec, exec, s[16:17]
.LBB672_284:                            ;   in Loop: Header=BB672_213 Depth=1
	s_or_b64 exec, exec, s[14:15]
.LBB672_285:                            ;   in Loop: Header=BB672_213 Depth=1
	s_or_b64 exec, exec, s[12:13]
	s_waitcnt vmcnt(0)
	v_cmp_ne_u16_sdwa s[14:15], v38, v47 src0_sel:BYTE_0 src1_sel:DWORD
	s_and_saveexec_b64 s[12:13], s[14:15]
	s_cbranch_execz .LBB672_291
; %bb.286:                              ;   in Loop: Header=BB672_213 Depth=1
	v_cmp_ne_u16_sdwa s[16:17], v38, s9 src0_sel:BYTE_0 src1_sel:DWORD
	v_bfrev_b32_e32 v51, 1
	s_and_saveexec_b64 s[14:15], s[16:17]
	s_cbranch_execz .LBB672_290
; %bb.287:                              ;   in Loop: Header=BB672_213 Depth=1
	v_and_b32_e32 v40, 0x7f, v38
	v_cmp_ne_u32_e32 vcc, s19, v40
	v_mov_b32_e32 v51, 0x7f800001
	s_and_saveexec_b64 s[16:17], vcc
	s_cbranch_execz .LBB672_289
; %bb.288:                              ;   in Loop: Header=BB672_213 Depth=1
	v_and_b32_e32 v42, 7, v38
	v_ffbh_u32_e32 v51, v42
	v_min_u32_e32 v51, 32, v51
	v_subrev_u32_e32 v53, 28, v51
	v_lshlrev_b64 v[64:65], v53, v[38:39]
	v_lshrrev_b32_e32 v49, 3, v40
	v_sub_u32_e32 v51, 29, v51
	v_and_b32_e32 v53, 7, v64
	v_cmp_gt_u32_e32 vcc, 8, v40
	v_cndmask_b32_e32 v40, v49, v51, vcc
	v_cndmask_b32_e32 v42, v42, v53, vcc
	v_lshlrev_b32_e32 v49, 24, v38
	v_lshlrev_b32_e32 v42, 20, v42
	v_and_b32_e32 v49, 0x80000000, v49
	v_lshl_add_u32 v40, v40, 23, v48
	v_or3_b32 v51, v49, v40, v42
.LBB672_289:                            ;   in Loop: Header=BB672_213 Depth=1
	s_or_b64 exec, exec, s[16:17]
.LBB672_290:                            ;   in Loop: Header=BB672_213 Depth=1
	s_or_b64 exec, exec, s[14:15]
.LBB672_291:                            ;   in Loop: Header=BB672_213 Depth=1
	s_or_b64 exec, exec, s[12:13]
	v_lshrrev_b16_e32 v40, 8, v38
	v_cmp_ne_u16_e32 vcc, 0, v40
	v_mov_b32_e32 v53, 0
	v_mov_b32_e32 v63, 0
	s_and_saveexec_b64 s[12:13], vcc
	s_cbranch_execz .LBB672_297
; %bb.292:                              ;   in Loop: Header=BB672_213 Depth=1
	v_cmp_ne_u16_e32 vcc, s9, v40
	v_bfrev_b32_e32 v63, 1
	s_and_saveexec_b64 s[14:15], vcc
	s_cbranch_execz .LBB672_296
; %bb.293:                              ;   in Loop: Header=BB672_213 Depth=1
	v_and_b32_e32 v42, 0x7f, v40
	v_cmp_ne_u32_e32 vcc, s19, v42
	v_mov_b32_e32 v63, 0x7f800001
	s_and_saveexec_b64 s[16:17], vcc
	s_cbranch_execz .LBB672_295
; %bb.294:                              ;   in Loop: Header=BB672_213 Depth=1
	v_and_b32_e32 v49, 7, v40
	v_ffbh_u32_e32 v64, v49
	v_min_u32_e32 v66, 32, v64
	v_subrev_u32_e32 v64, 28, v66
	v_lshlrev_b64 v[64:65], v64, v[40:41]
	v_lshrrev_b32_e32 v63, 3, v42
	v_sub_u32_e32 v40, 29, v66
	v_and_b32_e32 v64, 7, v64
	v_cmp_gt_u32_e32 vcc, 8, v42
	v_cndmask_b32_e32 v40, v63, v40, vcc
	v_cndmask_b32_e32 v42, v49, v64, vcc
	v_lshlrev_b32_e32 v49, 16, v38
	v_lshlrev_b32_e32 v42, 20, v42
	v_and_b32_e32 v49, 0x80000000, v49
	v_lshl_add_u32 v40, v40, 23, v48
	v_or3_b32 v63, v49, v40, v42
.LBB672_295:                            ;   in Loop: Header=BB672_213 Depth=1
	s_or_b64 exec, exec, s[16:17]
.LBB672_296:                            ;   in Loop: Header=BB672_213 Depth=1
	s_or_b64 exec, exec, s[14:15]
.LBB672_297:                            ;   in Loop: Header=BB672_213 Depth=1
	s_or_b64 exec, exec, s[12:13]
	v_lshrrev_b32_e32 v40, 16, v38
	v_cmp_ne_u16_sdwa s[14:15], v40, v47 src0_sel:BYTE_0 src1_sel:DWORD
	s_and_saveexec_b64 s[12:13], s[14:15]
	s_cbranch_execz .LBB672_303
; %bb.298:                              ;   in Loop: Header=BB672_213 Depth=1
	v_cmp_ne_u16_sdwa s[16:17], v40, s9 src0_sel:BYTE_0 src1_sel:DWORD
	v_bfrev_b32_e32 v53, 1
	s_and_saveexec_b64 s[14:15], s[16:17]
	s_cbranch_execz .LBB672_302
; %bb.299:                              ;   in Loop: Header=BB672_213 Depth=1
	v_bfe_u32 v42, v38, 16, 7
	v_cmp_ne_u32_e32 vcc, s19, v42
	v_mov_b32_e32 v53, 0x7f800001
	s_and_saveexec_b64 s[16:17], vcc
	s_cbranch_execz .LBB672_301
; %bb.300:                              ;   in Loop: Header=BB672_213 Depth=1
	v_and_b32_e32 v49, 7, v40
	v_ffbh_u32_e32 v64, v49
	v_min_u32_e32 v66, 32, v64
	v_subrev_u32_e32 v64, 28, v66
	v_lshlrev_b64 v[64:65], v64, v[40:41]
	v_lshrrev_b32_e32 v53, 3, v42
	v_sub_u32_e32 v65, 29, v66
	v_and_b32_e32 v64, 7, v64
	v_cmp_gt_u32_e32 vcc, 8, v42
	v_cndmask_b32_e32 v42, v53, v65, vcc
	v_cndmask_b32_e32 v49, v49, v64, vcc
	v_lshlrev_b32_e32 v40, 24, v40
	v_lshlrev_b32_e32 v49, 20, v49
	v_and_b32_e32 v40, 0x80000000, v40
	v_lshl_add_u32 v42, v42, 23, v48
	v_or3_b32 v53, v40, v42, v49
.LBB672_301:                            ;   in Loop: Header=BB672_213 Depth=1
	s_or_b64 exec, exec, s[16:17]
.LBB672_302:                            ;   in Loop: Header=BB672_213 Depth=1
	s_or_b64 exec, exec, s[14:15]
.LBB672_303:                            ;   in Loop: Header=BB672_213 Depth=1
	s_or_b64 exec, exec, s[12:13]
	v_cmp_lt_u32_e32 vcc, s20, v38
	v_mov_b32_e32 v49, 0
	v_mov_b32_e32 v64, 0
	s_and_saveexec_b64 s[12:13], vcc
	s_cbranch_execz .LBB672_309
; %bb.304:                              ;   in Loop: Header=BB672_213 Depth=1
	v_lshrrev_b32_e32 v40, 24, v38
	v_cmp_ne_u32_e32 vcc, s9, v40
	v_bfrev_b32_e32 v64, 1
	s_and_saveexec_b64 s[14:15], vcc
	s_cbranch_execz .LBB672_308
; %bb.305:                              ;   in Loop: Header=BB672_213 Depth=1
	v_bfe_u32 v38, v38, 24, 7
	v_cmp_ne_u32_e32 vcc, s19, v38
	v_mov_b32_e32 v64, 0x7f800001
	s_and_saveexec_b64 s[16:17], vcc
	s_cbranch_execz .LBB672_307
; %bb.306:                              ;   in Loop: Header=BB672_213 Depth=1
	v_and_b32_e32 v42, 7, v40
	v_ffbh_u32_e32 v64, v42
	v_min_u32_e32 v67, 32, v64
	v_subrev_u32_e32 v64, 28, v67
	v_lshlrev_b64 v[64:65], v64, v[40:41]
	v_lshrrev_b32_e32 v66, 3, v38
	v_sub_u32_e32 v65, 29, v67
	v_and_b32_e32 v64, 7, v64
	v_cmp_gt_u32_e32 vcc, 8, v38
	v_cndmask_b32_e32 v38, v66, v65, vcc
	v_cndmask_b32_e32 v42, v42, v64, vcc
	v_lshlrev_b32_e32 v40, 24, v40
	v_lshlrev_b32_e32 v42, 20, v42
	v_and_b32_e32 v40, 0x80000000, v40
	v_lshl_add_u32 v38, v38, 23, v48
	v_or3_b32 v64, v40, v38, v42
.LBB672_307:                            ;   in Loop: Header=BB672_213 Depth=1
	s_or_b64 exec, exec, s[16:17]
.LBB672_308:                            ;   in Loop: Header=BB672_213 Depth=1
	s_or_b64 exec, exec, s[14:15]
.LBB672_309:                            ;   in Loop: Header=BB672_213 Depth=1
	s_or_b64 exec, exec, s[12:13]
	v_cvt_pkrtz_f16_f32 v67, v44, v52
	buffer_load_dword v44, v62, s[0:3], 0 offen
	buffer_load_dword v42, v62, s[0:3], 0 offen offset:4
	buffer_load_dword v40, v62, s[0:3], 0 offen offset:8
	;; [unrolled: 1-line block ×3, first 2 shown]
	v_cvt_pkrtz_f16_f32 v66, v46, v50
	v_cvt_pkrtz_f16_f32 v50, v51, v63
	;; [unrolled: 1-line block ×3, first 2 shown]
	v_mfma_f32_16x16x16f16 v[34:37], v[66:67], v[6:7], v[34:37]
	s_waitcnt vmcnt(3)
	v_cmp_ne_u16_sdwa s[14:15], v44, v47 src0_sel:BYTE_0 src1_sel:DWORD
	v_mfma_f32_16x16x16f16 v[34:37], v[50:51], v[8:9], v[34:37]
	s_and_saveexec_b64 s[12:13], s[14:15]
	s_cbranch_execz .LBB672_315
; %bb.310:                              ;   in Loop: Header=BB672_213 Depth=1
	v_cmp_ne_u16_sdwa s[16:17], v44, s9 src0_sel:BYTE_0 src1_sel:DWORD
	v_bfrev_b32_e32 v49, 1
	s_and_saveexec_b64 s[14:15], s[16:17]
	s_cbranch_execz .LBB672_314
; %bb.311:                              ;   in Loop: Header=BB672_213 Depth=1
	v_and_b32_e32 v46, 0x7f, v44
	v_cmp_ne_u32_e32 vcc, s19, v46
	v_mov_b32_e32 v49, 0x7f800001
	s_and_saveexec_b64 s[16:17], vcc
	s_cbranch_execz .LBB672_313
; %bb.312:                              ;   in Loop: Header=BB672_213 Depth=1
	v_and_b32_e32 v49, 7, v44
	v_ffbh_u32_e32 v50, v49
	v_min_u32_e32 v53, 32, v50
	v_subrev_u32_e32 v50, 28, v53
	v_lshlrev_b64 v[50:51], v50, v[44:45]
	v_lshrrev_b32_e32 v52, 3, v46
	v_sub_u32_e32 v51, 29, v53
	v_and_b32_e32 v50, 7, v50
	v_cmp_gt_u32_e32 vcc, 8, v46
	v_cndmask_b32_e32 v46, v52, v51, vcc
	v_cndmask_b32_e32 v49, v49, v50, vcc
	v_lshlrev_b32_e32 v50, 24, v44
	v_lshlrev_b32_e32 v49, 20, v49
	v_and_b32_e32 v50, 0x80000000, v50
	v_lshl_add_u32 v46, v46, 23, v48
	v_or3_b32 v49, v50, v46, v49
.LBB672_313:                            ;   in Loop: Header=BB672_213 Depth=1
	s_or_b64 exec, exec, s[16:17]
.LBB672_314:                            ;   in Loop: Header=BB672_213 Depth=1
	s_or_b64 exec, exec, s[14:15]
.LBB672_315:                            ;   in Loop: Header=BB672_213 Depth=1
	s_or_b64 exec, exec, s[12:13]
	v_lshrrev_b16_e32 v46, 8, v44
	v_cmp_ne_u16_e32 vcc, 0, v46
	v_mov_b32_e32 v50, 0
	v_mov_b32_e32 v51, 0
	s_and_saveexec_b64 s[12:13], vcc
	s_cbranch_execz .LBB672_321
; %bb.316:                              ;   in Loop: Header=BB672_213 Depth=1
	v_cmp_ne_u16_e32 vcc, s9, v46
	v_bfrev_b32_e32 v51, 1
	s_and_saveexec_b64 s[14:15], vcc
	s_cbranch_execz .LBB672_320
; %bb.317:                              ;   in Loop: Header=BB672_213 Depth=1
	v_and_b32_e32 v52, 0x7f, v46
	v_cmp_ne_u32_e32 vcc, s19, v52
	v_mov_b32_e32 v51, 0x7f800001
	s_and_saveexec_b64 s[16:17], vcc
	s_cbranch_execz .LBB672_319
; %bb.318:                              ;   in Loop: Header=BB672_213 Depth=1
	v_and_b32_e32 v51, 7, v46
	v_ffbh_u32_e32 v62, v51
	v_min_u32_e32 v64, 32, v62
	v_subrev_u32_e32 v62, 28, v64
	v_lshlrev_b64 v[62:63], v62, v[46:47]
	v_lshrrev_b32_e32 v53, 3, v52
	v_sub_u32_e32 v46, 29, v64
	v_and_b32_e32 v62, 7, v62
	v_cmp_gt_u32_e32 vcc, 8, v52
	v_cndmask_b32_e32 v46, v53, v46, vcc
	v_cndmask_b32_e32 v51, v51, v62, vcc
	v_lshlrev_b32_e32 v52, 16, v44
	v_lshlrev_b32_e32 v51, 20, v51
	v_and_b32_e32 v52, 0x80000000, v52
	v_lshl_add_u32 v46, v46, 23, v48
	v_or3_b32 v51, v52, v46, v51
.LBB672_319:                            ;   in Loop: Header=BB672_213 Depth=1
	s_or_b64 exec, exec, s[16:17]
.LBB672_320:                            ;   in Loop: Header=BB672_213 Depth=1
	s_or_b64 exec, exec, s[14:15]
.LBB672_321:                            ;   in Loop: Header=BB672_213 Depth=1
	s_or_b64 exec, exec, s[12:13]
	v_lshrrev_b32_e32 v46, 16, v44
	v_cmp_ne_u16_sdwa s[14:15], v46, v47 src0_sel:BYTE_0 src1_sel:DWORD
	s_and_saveexec_b64 s[12:13], s[14:15]
	s_cbranch_execz .LBB672_327
; %bb.322:                              ;   in Loop: Header=BB672_213 Depth=1
	v_cmp_ne_u16_sdwa s[16:17], v46, s9 src0_sel:BYTE_0 src1_sel:DWORD
	v_bfrev_b32_e32 v50, 1
	s_and_saveexec_b64 s[14:15], s[16:17]
	s_cbranch_execz .LBB672_326
; %bb.323:                              ;   in Loop: Header=BB672_213 Depth=1
	v_bfe_u32 v52, v44, 16, 7
	v_cmp_ne_u32_e32 vcc, s19, v52
	v_mov_b32_e32 v50, 0x7f800001
	s_and_saveexec_b64 s[16:17], vcc
	s_cbranch_execz .LBB672_325
; %bb.324:                              ;   in Loop: Header=BB672_213 Depth=1
	v_and_b32_e32 v50, 7, v46
	v_ffbh_u32_e32 v62, v50
	v_min_u32_e32 v64, 32, v62
	v_subrev_u32_e32 v62, 28, v64
	v_lshlrev_b64 v[62:63], v62, v[46:47]
	v_lshrrev_b32_e32 v53, 3, v52
	v_sub_u32_e32 v63, 29, v64
	v_and_b32_e32 v62, 7, v62
	v_cmp_gt_u32_e32 vcc, 8, v52
	v_cndmask_b32_e32 v52, v53, v63, vcc
	v_cndmask_b32_e32 v50, v50, v62, vcc
	v_lshlrev_b32_e32 v46, 24, v46
	v_lshlrev_b32_e32 v50, 20, v50
	v_and_b32_e32 v46, 0x80000000, v46
	v_lshl_add_u32 v52, v52, 23, v48
	v_or3_b32 v50, v46, v52, v50
.LBB672_325:                            ;   in Loop: Header=BB672_213 Depth=1
	s_or_b64 exec, exec, s[16:17]
.LBB672_326:                            ;   in Loop: Header=BB672_213 Depth=1
	s_or_b64 exec, exec, s[14:15]
.LBB672_327:                            ;   in Loop: Header=BB672_213 Depth=1
	s_or_b64 exec, exec, s[12:13]
	v_cmp_lt_u32_e32 vcc, s20, v44
	v_mov_b32_e32 v52, 0
	v_mov_b32_e32 v53, 0
	s_and_saveexec_b64 s[12:13], vcc
	s_cbranch_execz .LBB672_333
; %bb.328:                              ;   in Loop: Header=BB672_213 Depth=1
	v_lshrrev_b32_e32 v46, 24, v44
	v_cmp_ne_u32_e32 vcc, s9, v46
	v_bfrev_b32_e32 v53, 1
	s_and_saveexec_b64 s[14:15], vcc
	s_cbranch_execz .LBB672_332
; %bb.329:                              ;   in Loop: Header=BB672_213 Depth=1
	v_bfe_u32 v44, v44, 24, 7
	v_cmp_ne_u32_e32 vcc, s19, v44
	v_mov_b32_e32 v53, 0x7f800001
	s_and_saveexec_b64 s[16:17], vcc
	s_cbranch_execz .LBB672_331
; %bb.330:                              ;   in Loop: Header=BB672_213 Depth=1
	v_and_b32_e32 v53, 7, v46
	v_ffbh_u32_e32 v62, v53
	v_min_u32_e32 v65, 32, v62
	v_subrev_u32_e32 v62, 28, v65
	v_lshlrev_b64 v[62:63], v62, v[46:47]
	v_lshrrev_b32_e32 v64, 3, v44
	v_sub_u32_e32 v63, 29, v65
	v_and_b32_e32 v62, 7, v62
	v_cmp_gt_u32_e32 vcc, 8, v44
	v_cndmask_b32_e32 v44, v64, v63, vcc
	v_cndmask_b32_e32 v53, v53, v62, vcc
	v_lshlrev_b32_e32 v46, 24, v46
	v_lshlrev_b32_e32 v53, 20, v53
	v_and_b32_e32 v46, 0x80000000, v46
	v_lshl_add_u32 v44, v44, 23, v48
	v_or3_b32 v53, v46, v44, v53
.LBB672_331:                            ;   in Loop: Header=BB672_213 Depth=1
	s_or_b64 exec, exec, s[16:17]
.LBB672_332:                            ;   in Loop: Header=BB672_213 Depth=1
	s_or_b64 exec, exec, s[14:15]
.LBB672_333:                            ;   in Loop: Header=BB672_213 Depth=1
	s_or_b64 exec, exec, s[12:13]
	s_waitcnt vmcnt(2)
	v_cmp_ne_u16_sdwa s[14:15], v42, v47 src0_sel:BYTE_0 src1_sel:DWORD
	s_and_saveexec_b64 s[12:13], s[14:15]
	s_cbranch_execz .LBB672_339
; %bb.334:                              ;   in Loop: Header=BB672_213 Depth=1
	v_cmp_ne_u16_sdwa s[16:17], v42, s9 src0_sel:BYTE_0 src1_sel:DWORD
	v_bfrev_b32_e32 v52, 1
	s_and_saveexec_b64 s[14:15], s[16:17]
	s_cbranch_execz .LBB672_338
; %bb.335:                              ;   in Loop: Header=BB672_213 Depth=1
	v_and_b32_e32 v44, 0x7f, v42
	v_cmp_ne_u32_e32 vcc, s19, v44
	v_mov_b32_e32 v52, 0x7f800001
	s_and_saveexec_b64 s[16:17], vcc
	s_cbranch_execz .LBB672_337
; %bb.336:                              ;   in Loop: Header=BB672_213 Depth=1
	v_and_b32_e32 v46, 7, v42
	v_ffbh_u32_e32 v62, v46
	v_min_u32_e32 v64, 32, v62
	v_subrev_u32_e32 v62, 28, v64
	v_lshlrev_b64 v[62:63], v62, v[42:43]
	v_lshrrev_b32_e32 v52, 3, v44
	v_sub_u32_e32 v63, 29, v64
	v_and_b32_e32 v62, 7, v62
	v_cmp_gt_u32_e32 vcc, 8, v44
	v_cndmask_b32_e32 v44, v52, v63, vcc
	v_cndmask_b32_e32 v46, v46, v62, vcc
	v_lshlrev_b32_e32 v52, 24, v42
	v_lshlrev_b32_e32 v46, 20, v46
	v_and_b32_e32 v52, 0x80000000, v52
	v_lshl_add_u32 v44, v44, 23, v48
	v_or3_b32 v52, v52, v44, v46
.LBB672_337:                            ;   in Loop: Header=BB672_213 Depth=1
	s_or_b64 exec, exec, s[16:17]
.LBB672_338:                            ;   in Loop: Header=BB672_213 Depth=1
	s_or_b64 exec, exec, s[14:15]
.LBB672_339:                            ;   in Loop: Header=BB672_213 Depth=1
	s_or_b64 exec, exec, s[12:13]
	v_lshrrev_b16_e32 v44, 8, v42
	v_cmp_ne_u16_e32 vcc, 0, v44
	v_mov_b32_e32 v62, 0
	v_mov_b32_e32 v63, 0
	s_and_saveexec_b64 s[12:13], vcc
	s_cbranch_execz .LBB672_345
; %bb.340:                              ;   in Loop: Header=BB672_213 Depth=1
	v_cmp_ne_u16_e32 vcc, s9, v44
	v_bfrev_b32_e32 v63, 1
	s_and_saveexec_b64 s[14:15], vcc
	s_cbranch_execz .LBB672_344
; %bb.341:                              ;   in Loop: Header=BB672_213 Depth=1
	v_and_b32_e32 v46, 0x7f, v44
	v_cmp_ne_u32_e32 vcc, s19, v46
	v_mov_b32_e32 v63, 0x7f800001
	s_and_saveexec_b64 s[16:17], vcc
	s_cbranch_execz .LBB672_343
; %bb.342:                              ;   in Loop: Header=BB672_213 Depth=1
	v_and_b32_e32 v63, 7, v44
	v_ffbh_u32_e32 v64, v63
	v_min_u32_e32 v67, 32, v64
	v_subrev_u32_e32 v64, 28, v67
	v_lshlrev_b64 v[64:65], v64, v[44:45]
	v_lshrrev_b32_e32 v66, 3, v46
	v_sub_u32_e32 v44, 29, v67
	v_and_b32_e32 v64, 7, v64
	v_cmp_gt_u32_e32 vcc, 8, v46
	v_cndmask_b32_e32 v44, v66, v44, vcc
	v_cndmask_b32_e32 v46, v63, v64, vcc
	v_lshlrev_b32_e32 v63, 16, v42
	v_lshlrev_b32_e32 v46, 20, v46
	v_and_b32_e32 v63, 0x80000000, v63
	v_lshl_add_u32 v44, v44, 23, v48
	v_or3_b32 v63, v63, v44, v46
.LBB672_343:                            ;   in Loop: Header=BB672_213 Depth=1
	s_or_b64 exec, exec, s[16:17]
.LBB672_344:                            ;   in Loop: Header=BB672_213 Depth=1
	s_or_b64 exec, exec, s[14:15]
.LBB672_345:                            ;   in Loop: Header=BB672_213 Depth=1
	s_or_b64 exec, exec, s[12:13]
	v_lshrrev_b32_e32 v44, 16, v42
	v_cmp_ne_u16_sdwa s[14:15], v44, v47 src0_sel:BYTE_0 src1_sel:DWORD
	s_and_saveexec_b64 s[12:13], s[14:15]
	s_cbranch_execz .LBB672_351
; %bb.346:                              ;   in Loop: Header=BB672_213 Depth=1
	v_cmp_ne_u16_sdwa s[16:17], v44, s9 src0_sel:BYTE_0 src1_sel:DWORD
	v_bfrev_b32_e32 v62, 1
	s_and_saveexec_b64 s[14:15], s[16:17]
	s_cbranch_execz .LBB672_350
; %bb.347:                              ;   in Loop: Header=BB672_213 Depth=1
	v_bfe_u32 v46, v42, 16, 7
	v_cmp_ne_u32_e32 vcc, s19, v46
	v_mov_b32_e32 v62, 0x7f800001
	s_and_saveexec_b64 s[16:17], vcc
	s_cbranch_execz .LBB672_349
; %bb.348:                              ;   in Loop: Header=BB672_213 Depth=1
	v_and_b32_e32 v62, 7, v44
	v_ffbh_u32_e32 v64, v62
	v_min_u32_e32 v67, 32, v64
	v_subrev_u32_e32 v64, 28, v67
	v_lshlrev_b64 v[64:65], v64, v[44:45]
	v_lshrrev_b32_e32 v66, 3, v46
	v_sub_u32_e32 v65, 29, v67
	v_and_b32_e32 v64, 7, v64
	v_cmp_gt_u32_e32 vcc, 8, v46
	v_cndmask_b32_e32 v46, v66, v65, vcc
	v_cndmask_b32_e32 v62, v62, v64, vcc
	v_lshlrev_b32_e32 v44, 24, v44
	v_lshlrev_b32_e32 v62, 20, v62
	v_and_b32_e32 v44, 0x80000000, v44
	v_lshl_add_u32 v46, v46, 23, v48
	v_or3_b32 v62, v44, v46, v62
.LBB672_349:                            ;   in Loop: Header=BB672_213 Depth=1
	s_or_b64 exec, exec, s[16:17]
.LBB672_350:                            ;   in Loop: Header=BB672_213 Depth=1
	s_or_b64 exec, exec, s[14:15]
.LBB672_351:                            ;   in Loop: Header=BB672_213 Depth=1
	s_or_b64 exec, exec, s[12:13]
	v_cmp_lt_u32_e32 vcc, s20, v42
	v_mov_b32_e32 v46, 0
	v_mov_b32_e32 v64, 0
	s_and_saveexec_b64 s[12:13], vcc
	s_cbranch_execz .LBB672_357
; %bb.352:                              ;   in Loop: Header=BB672_213 Depth=1
	v_lshrrev_b32_e32 v44, 24, v42
	v_cmp_ne_u32_e32 vcc, s9, v44
	v_bfrev_b32_e32 v64, 1
	s_and_saveexec_b64 s[14:15], vcc
	s_cbranch_execz .LBB672_356
; %bb.353:                              ;   in Loop: Header=BB672_213 Depth=1
	v_bfe_u32 v42, v42, 24, 7
	v_cmp_ne_u32_e32 vcc, s19, v42
	v_mov_b32_e32 v64, 0x7f800001
	s_and_saveexec_b64 s[16:17], vcc
	s_cbranch_execz .LBB672_355
; %bb.354:                              ;   in Loop: Header=BB672_213 Depth=1
	v_and_b32_e32 v66, 7, v44
	v_ffbh_u32_e32 v64, v66
	v_min_u32_e32 v68, 32, v64
	v_subrev_u32_e32 v64, 28, v68
	v_lshlrev_b64 v[64:65], v64, v[44:45]
	v_lshrrev_b32_e32 v67, 3, v42
	v_sub_u32_e32 v65, 29, v68
	v_and_b32_e32 v64, 7, v64
	v_cmp_gt_u32_e32 vcc, 8, v42
	v_cndmask_b32_e32 v42, v67, v65, vcc
	v_cndmask_b32_e32 v64, v66, v64, vcc
	v_lshlrev_b32_e32 v44, 24, v44
	v_lshlrev_b32_e32 v64, 20, v64
	v_and_b32_e32 v44, 0x80000000, v44
	v_lshl_add_u32 v42, v42, 23, v48
	v_or3_b32 v64, v44, v42, v64
.LBB672_355:                            ;   in Loop: Header=BB672_213 Depth=1
	s_or_b64 exec, exec, s[16:17]
.LBB672_356:                            ;   in Loop: Header=BB672_213 Depth=1
	s_or_b64 exec, exec, s[14:15]
.LBB672_357:                            ;   in Loop: Header=BB672_213 Depth=1
	s_or_b64 exec, exec, s[12:13]
	v_cvt_pkrtz_f16_f32 v66, v49, v51
	v_cvt_pkrtz_f16_f32 v67, v50, v53
	;; [unrolled: 1-line block ×4, first 2 shown]
	s_waitcnt vmcnt(1)
	v_cmp_ne_u16_sdwa s[14:15], v40, v47 src0_sel:BYTE_0 src1_sel:DWORD
	v_mfma_f32_16x16x16f16 v[34:37], v[66:67], v[10:11], v[34:37]
	v_mfma_f32_16x16x16f16 v[34:37], v[50:51], v[12:13], v[34:37]
	s_and_saveexec_b64 s[12:13], s[14:15]
	s_cbranch_execz .LBB672_363
; %bb.358:                              ;   in Loop: Header=BB672_213 Depth=1
	v_cmp_ne_u16_sdwa s[16:17], v40, s9 src0_sel:BYTE_0 src1_sel:DWORD
	v_bfrev_b32_e32 v46, 1
	s_and_saveexec_b64 s[14:15], s[16:17]
	s_cbranch_execz .LBB672_362
; %bb.359:                              ;   in Loop: Header=BB672_213 Depth=1
	v_and_b32_e32 v42, 0x7f, v40
	v_cmp_ne_u32_e32 vcc, s19, v42
	v_mov_b32_e32 v46, 0x7f800001
	s_and_saveexec_b64 s[16:17], vcc
	s_cbranch_execz .LBB672_361
; %bb.360:                              ;   in Loop: Header=BB672_213 Depth=1
	v_and_b32_e32 v44, 7, v40
	v_ffbh_u32_e32 v49, v44
	v_min_u32_e32 v49, 32, v49
	v_subrev_u32_e32 v50, 28, v49
	v_lshlrev_b64 v[50:51], v50, v[40:41]
	v_lshrrev_b32_e32 v46, 3, v42
	v_sub_u32_e32 v49, 29, v49
	v_and_b32_e32 v50, 7, v50
	v_cmp_gt_u32_e32 vcc, 8, v42
	v_cndmask_b32_e32 v42, v46, v49, vcc
	v_cndmask_b32_e32 v44, v44, v50, vcc
	v_lshlrev_b32_e32 v46, 24, v40
	v_lshlrev_b32_e32 v44, 20, v44
	v_and_b32_e32 v46, 0x80000000, v46
	v_lshl_add_u32 v42, v42, 23, v48
	v_or3_b32 v46, v46, v42, v44
.LBB672_361:                            ;   in Loop: Header=BB672_213 Depth=1
	s_or_b64 exec, exec, s[16:17]
.LBB672_362:                            ;   in Loop: Header=BB672_213 Depth=1
	s_or_b64 exec, exec, s[14:15]
.LBB672_363:                            ;   in Loop: Header=BB672_213 Depth=1
	s_or_b64 exec, exec, s[12:13]
	v_lshrrev_b16_e32 v42, 8, v40
	v_cmp_ne_u16_e32 vcc, 0, v42
	v_mov_b32_e32 v44, 0
	v_mov_b32_e32 v50, 0
	s_and_saveexec_b64 s[12:13], vcc
	s_cbranch_execz .LBB672_369
; %bb.364:                              ;   in Loop: Header=BB672_213 Depth=1
	v_cmp_ne_u16_e32 vcc, s9, v42
	v_bfrev_b32_e32 v50, 1
	s_and_saveexec_b64 s[14:15], vcc
	s_cbranch_execz .LBB672_368
; %bb.365:                              ;   in Loop: Header=BB672_213 Depth=1
	v_and_b32_e32 v49, 0x7f, v42
	v_cmp_ne_u32_e32 vcc, s19, v49
	v_mov_b32_e32 v50, 0x7f800001
	s_and_saveexec_b64 s[16:17], vcc
	s_cbranch_execz .LBB672_367
; %bb.366:                              ;   in Loop: Header=BB672_213 Depth=1
	v_and_b32_e32 v52, 7, v42
	v_ffbh_u32_e32 v50, v52
	v_min_u32_e32 v62, 32, v50
	v_subrev_u32_e32 v50, 28, v62
	v_lshlrev_b64 v[50:51], v50, v[42:43]
	v_lshrrev_b32_e32 v53, 3, v49
	v_sub_u32_e32 v42, 29, v62
	v_and_b32_e32 v50, 7, v50
	v_cmp_gt_u32_e32 vcc, 8, v49
	v_cndmask_b32_e32 v42, v53, v42, vcc
	v_cndmask_b32_e32 v49, v52, v50, vcc
	v_lshlrev_b32_e32 v50, 16, v40
	v_lshlrev_b32_e32 v49, 20, v49
	v_and_b32_e32 v50, 0x80000000, v50
	v_lshl_add_u32 v42, v42, 23, v48
	v_or3_b32 v50, v50, v42, v49
.LBB672_367:                            ;   in Loop: Header=BB672_213 Depth=1
	s_or_b64 exec, exec, s[16:17]
.LBB672_368:                            ;   in Loop: Header=BB672_213 Depth=1
	s_or_b64 exec, exec, s[14:15]
.LBB672_369:                            ;   in Loop: Header=BB672_213 Depth=1
	s_or_b64 exec, exec, s[12:13]
	v_lshrrev_b32_e32 v42, 16, v40
	v_cmp_ne_u16_sdwa s[14:15], v42, v47 src0_sel:BYTE_0 src1_sel:DWORD
	s_and_saveexec_b64 s[12:13], s[14:15]
	s_cbranch_execz .LBB672_375
; %bb.370:                              ;   in Loop: Header=BB672_213 Depth=1
	v_cmp_ne_u16_sdwa s[16:17], v42, s9 src0_sel:BYTE_0 src1_sel:DWORD
	v_bfrev_b32_e32 v44, 1
	s_and_saveexec_b64 s[14:15], s[16:17]
	s_cbranch_execz .LBB672_374
; %bb.371:                              ;   in Loop: Header=BB672_213 Depth=1
	v_bfe_u32 v49, v40, 16, 7
	v_cmp_ne_u32_e32 vcc, s19, v49
	v_mov_b32_e32 v44, 0x7f800001
	s_and_saveexec_b64 s[16:17], vcc
	s_cbranch_execz .LBB672_373
; %bb.372:                              ;   in Loop: Header=BB672_213 Depth=1
	v_and_b32_e32 v44, 7, v42
	v_ffbh_u32_e32 v52, v44
	v_min_u32_e32 v62, 32, v52
	v_subrev_u32_e32 v52, 28, v62
	v_lshlrev_b64 v[52:53], v52, v[42:43]
	v_lshrrev_b32_e32 v51, 3, v49
	v_sub_u32_e32 v53, 29, v62
	v_and_b32_e32 v52, 7, v52
	v_cmp_gt_u32_e32 vcc, 8, v49
	v_cndmask_b32_e32 v49, v51, v53, vcc
	v_cndmask_b32_e32 v44, v44, v52, vcc
	v_lshlrev_b32_e32 v42, 24, v42
	v_lshlrev_b32_e32 v44, 20, v44
	v_and_b32_e32 v42, 0x80000000, v42
	v_lshl_add_u32 v49, v49, 23, v48
	v_or3_b32 v44, v42, v49, v44
.LBB672_373:                            ;   in Loop: Header=BB672_213 Depth=1
	s_or_b64 exec, exec, s[16:17]
.LBB672_374:                            ;   in Loop: Header=BB672_213 Depth=1
	s_or_b64 exec, exec, s[14:15]
.LBB672_375:                            ;   in Loop: Header=BB672_213 Depth=1
	s_or_b64 exec, exec, s[12:13]
	v_cmp_lt_u32_e32 vcc, s20, v40
	v_mov_b32_e32 v51, 0
	v_mov_b32_e32 v52, 0
	s_and_saveexec_b64 s[12:13], vcc
	s_cbranch_execz .LBB672_381
; %bb.376:                              ;   in Loop: Header=BB672_213 Depth=1
	v_lshrrev_b32_e32 v42, 24, v40
	v_cmp_ne_u32_e32 vcc, s9, v42
	v_bfrev_b32_e32 v52, 1
	s_and_saveexec_b64 s[14:15], vcc
	s_cbranch_execz .LBB672_380
; %bb.377:                              ;   in Loop: Header=BB672_213 Depth=1
	v_bfe_u32 v40, v40, 24, 7
	v_cmp_ne_u32_e32 vcc, s19, v40
	v_mov_b32_e32 v52, 0x7f800001
	s_and_saveexec_b64 s[16:17], vcc
	s_cbranch_execz .LBB672_379
; %bb.378:                              ;   in Loop: Header=BB672_213 Depth=1
	v_and_b32_e32 v49, 7, v42
	v_ffbh_u32_e32 v52, v49
	v_min_u32_e32 v63, 32, v52
	v_subrev_u32_e32 v52, 28, v63
	v_lshlrev_b64 v[52:53], v52, v[42:43]
	v_lshrrev_b32_e32 v62, 3, v40
	v_sub_u32_e32 v53, 29, v63
	v_and_b32_e32 v52, 7, v52
	v_cmp_gt_u32_e32 vcc, 8, v40
	v_cndmask_b32_e32 v40, v62, v53, vcc
	v_cndmask_b32_e32 v49, v49, v52, vcc
	v_lshlrev_b32_e32 v42, 24, v42
	v_lshlrev_b32_e32 v49, 20, v49
	v_and_b32_e32 v42, 0x80000000, v42
	v_lshl_add_u32 v40, v40, 23, v48
	v_or3_b32 v52, v42, v40, v49
.LBB672_379:                            ;   in Loop: Header=BB672_213 Depth=1
	s_or_b64 exec, exec, s[16:17]
.LBB672_380:                            ;   in Loop: Header=BB672_213 Depth=1
	s_or_b64 exec, exec, s[14:15]
.LBB672_381:                            ;   in Loop: Header=BB672_213 Depth=1
	s_or_b64 exec, exec, s[12:13]
	s_waitcnt vmcnt(0)
	v_cmp_ne_u16_sdwa s[14:15], v38, v47 src0_sel:BYTE_0 src1_sel:DWORD
	s_and_saveexec_b64 s[12:13], s[14:15]
	s_cbranch_execz .LBB672_387
; %bb.382:                              ;   in Loop: Header=BB672_213 Depth=1
	v_cmp_ne_u16_sdwa s[16:17], v38, s9 src0_sel:BYTE_0 src1_sel:DWORD
	v_bfrev_b32_e32 v51, 1
	s_and_saveexec_b64 s[14:15], s[16:17]
	s_cbranch_execz .LBB672_386
; %bb.383:                              ;   in Loop: Header=BB672_213 Depth=1
	v_and_b32_e32 v40, 0x7f, v38
	v_cmp_ne_u32_e32 vcc, s19, v40
	v_mov_b32_e32 v51, 0x7f800001
	s_and_saveexec_b64 s[16:17], vcc
	s_cbranch_execz .LBB672_385
; %bb.384:                              ;   in Loop: Header=BB672_213 Depth=1
	v_and_b32_e32 v42, 7, v38
	v_ffbh_u32_e32 v51, v42
	v_min_u32_e32 v51, 32, v51
	v_subrev_u32_e32 v53, 28, v51
	v_lshlrev_b64 v[62:63], v53, v[38:39]
	v_lshrrev_b32_e32 v49, 3, v40
	v_sub_u32_e32 v51, 29, v51
	v_and_b32_e32 v53, 7, v62
	v_cmp_gt_u32_e32 vcc, 8, v40
	v_cndmask_b32_e32 v40, v49, v51, vcc
	v_cndmask_b32_e32 v42, v42, v53, vcc
	v_lshlrev_b32_e32 v49, 24, v38
	v_lshlrev_b32_e32 v42, 20, v42
	v_and_b32_e32 v49, 0x80000000, v49
	v_lshl_add_u32 v40, v40, 23, v48
	v_or3_b32 v51, v49, v40, v42
.LBB672_385:                            ;   in Loop: Header=BB672_213 Depth=1
	s_or_b64 exec, exec, s[16:17]
.LBB672_386:                            ;   in Loop: Header=BB672_213 Depth=1
	s_or_b64 exec, exec, s[14:15]
.LBB672_387:                            ;   in Loop: Header=BB672_213 Depth=1
	s_or_b64 exec, exec, s[12:13]
	v_lshrrev_b16_e32 v40, 8, v38
	v_cmp_ne_u16_e32 vcc, 0, v40
	v_mov_b32_e32 v53, 0
	v_mov_b32_e32 v62, 0
	s_and_saveexec_b64 s[12:13], vcc
	s_cbranch_execz .LBB672_393
; %bb.388:                              ;   in Loop: Header=BB672_213 Depth=1
	v_cmp_ne_u16_e32 vcc, s9, v40
	v_bfrev_b32_e32 v62, 1
	s_and_saveexec_b64 s[14:15], vcc
	s_cbranch_execz .LBB672_392
; %bb.389:                              ;   in Loop: Header=BB672_213 Depth=1
	v_and_b32_e32 v42, 0x7f, v40
	v_cmp_ne_u32_e32 vcc, s19, v42
	v_mov_b32_e32 v62, 0x7f800001
	s_and_saveexec_b64 s[16:17], vcc
	s_cbranch_execz .LBB672_391
; %bb.390:                              ;   in Loop: Header=BB672_213 Depth=1
	v_and_b32_e32 v49, 7, v40
	v_ffbh_u32_e32 v62, v49
	v_min_u32_e32 v65, 32, v62
	v_subrev_u32_e32 v62, 28, v65
	v_lshlrev_b64 v[62:63], v62, v[40:41]
	v_lshrrev_b32_e32 v64, 3, v42
	v_sub_u32_e32 v40, 29, v65
	v_and_b32_e32 v62, 7, v62
	v_cmp_gt_u32_e32 vcc, 8, v42
	v_cndmask_b32_e32 v40, v64, v40, vcc
	v_cndmask_b32_e32 v42, v49, v62, vcc
	v_lshlrev_b32_e32 v49, 16, v38
	v_lshlrev_b32_e32 v42, 20, v42
	v_and_b32_e32 v49, 0x80000000, v49
	v_lshl_add_u32 v40, v40, 23, v48
	v_or3_b32 v62, v49, v40, v42
.LBB672_391:                            ;   in Loop: Header=BB672_213 Depth=1
	s_or_b64 exec, exec, s[16:17]
.LBB672_392:                            ;   in Loop: Header=BB672_213 Depth=1
	s_or_b64 exec, exec, s[14:15]
.LBB672_393:                            ;   in Loop: Header=BB672_213 Depth=1
	s_or_b64 exec, exec, s[12:13]
	v_lshrrev_b32_e32 v40, 16, v38
	v_cmp_ne_u16_sdwa s[14:15], v40, v47 src0_sel:BYTE_0 src1_sel:DWORD
	s_and_saveexec_b64 s[12:13], s[14:15]
	s_cbranch_execz .LBB672_399
; %bb.394:                              ;   in Loop: Header=BB672_213 Depth=1
	v_cmp_ne_u16_sdwa s[16:17], v40, s9 src0_sel:BYTE_0 src1_sel:DWORD
	v_bfrev_b32_e32 v53, 1
	s_and_saveexec_b64 s[14:15], s[16:17]
	s_cbranch_execz .LBB672_398
; %bb.395:                              ;   in Loop: Header=BB672_213 Depth=1
	v_bfe_u32 v42, v38, 16, 7
	v_cmp_ne_u32_e32 vcc, s19, v42
	v_mov_b32_e32 v53, 0x7f800001
	s_and_saveexec_b64 s[16:17], vcc
	s_cbranch_execz .LBB672_397
; %bb.396:                              ;   in Loop: Header=BB672_213 Depth=1
	v_and_b32_e32 v49, 7, v40
	v_ffbh_u32_e32 v63, v49
	v_min_u32_e32 v63, 32, v63
	v_subrev_u32_e32 v64, 28, v63
	v_lshlrev_b64 v[64:65], v64, v[40:41]
	v_lshrrev_b32_e32 v53, 3, v42
	v_sub_u32_e32 v63, 29, v63
	v_and_b32_e32 v64, 7, v64
	v_cmp_gt_u32_e32 vcc, 8, v42
	v_cndmask_b32_e32 v42, v53, v63, vcc
	v_cndmask_b32_e32 v49, v49, v64, vcc
	v_lshlrev_b32_e32 v40, 24, v40
	v_lshlrev_b32_e32 v49, 20, v49
	v_and_b32_e32 v40, 0x80000000, v40
	v_lshl_add_u32 v42, v42, 23, v48
	v_or3_b32 v53, v40, v42, v49
.LBB672_397:                            ;   in Loop: Header=BB672_213 Depth=1
	s_or_b64 exec, exec, s[16:17]
.LBB672_398:                            ;   in Loop: Header=BB672_213 Depth=1
	s_or_b64 exec, exec, s[14:15]
.LBB672_399:                            ;   in Loop: Header=BB672_213 Depth=1
	s_or_b64 exec, exec, s[12:13]
	v_cmp_lt_u32_e32 vcc, s20, v38
	v_mov_b32_e32 v49, 0
	v_mov_b32_e32 v63, 0
	s_and_saveexec_b64 s[12:13], vcc
	s_cbranch_execz .LBB672_405
; %bb.400:                              ;   in Loop: Header=BB672_213 Depth=1
	v_lshrrev_b32_e32 v40, 24, v38
	v_cmp_ne_u32_e32 vcc, s9, v40
	v_bfrev_b32_e32 v63, 1
	s_and_saveexec_b64 s[14:15], vcc
	s_cbranch_execz .LBB672_404
; %bb.401:                              ;   in Loop: Header=BB672_213 Depth=1
	v_bfe_u32 v38, v38, 24, 7
	v_cmp_ne_u32_e32 vcc, s19, v38
	v_mov_b32_e32 v63, 0x7f800001
	s_and_saveexec_b64 s[16:17], vcc
	s_cbranch_execz .LBB672_403
; %bb.402:                              ;   in Loop: Header=BB672_213 Depth=1
	v_and_b32_e32 v42, 7, v40
	v_ffbh_u32_e32 v64, v42
	v_min_u32_e32 v66, 32, v64
	v_subrev_u32_e32 v64, 28, v66
	v_lshlrev_b64 v[64:65], v64, v[40:41]
	v_lshrrev_b32_e32 v63, 3, v38
	v_sub_u32_e32 v65, 29, v66
	v_and_b32_e32 v64, 7, v64
	v_cmp_gt_u32_e32 vcc, 8, v38
	v_cndmask_b32_e32 v38, v63, v65, vcc
	v_cndmask_b32_e32 v42, v42, v64, vcc
	v_lshlrev_b32_e32 v40, 24, v40
	v_lshlrev_b32_e32 v42, 20, v42
	v_and_b32_e32 v40, 0x80000000, v40
	v_lshl_add_u32 v38, v38, 23, v48
	v_or3_b32 v63, v40, v38, v42
.LBB672_403:                            ;   in Loop: Header=BB672_213 Depth=1
	s_or_b64 exec, exec, s[16:17]
.LBB672_404:                            ;   in Loop: Header=BB672_213 Depth=1
	s_or_b64 exec, exec, s[14:15]
.LBB672_405:                            ;   in Loop: Header=BB672_213 Depth=1
	s_or_b64 exec, exec, s[12:13]
	v_cvt_pkrtz_f16_f32 v65, v44, v52
	buffer_load_dword v44, v61, s[0:3], 0 offen
	buffer_load_dword v42, v61, s[0:3], 0 offen offset:4
	buffer_load_dword v40, v61, s[0:3], 0 offen offset:8
	buffer_load_dword v38, v61, s[0:3], 0 offen offset:12
	v_cvt_pkrtz_f16_f32 v64, v46, v50
	v_cvt_pkrtz_f16_f32 v50, v51, v62
	;; [unrolled: 1-line block ×3, first 2 shown]
	v_mfma_f32_16x16x16f16 v[34:37], v[64:65], v[14:15], v[34:37]
	s_waitcnt vmcnt(3)
	v_cmp_ne_u16_sdwa s[14:15], v44, v47 src0_sel:BYTE_0 src1_sel:DWORD
	v_mfma_f32_16x16x16f16 v[34:37], v[50:51], v[16:17], v[34:37]
	s_and_saveexec_b64 s[12:13], s[14:15]
	s_cbranch_execz .LBB672_411
; %bb.406:                              ;   in Loop: Header=BB672_213 Depth=1
	v_cmp_ne_u16_sdwa s[16:17], v44, s9 src0_sel:BYTE_0 src1_sel:DWORD
	v_bfrev_b32_e32 v49, 1
	s_and_saveexec_b64 s[14:15], s[16:17]
	s_cbranch_execz .LBB672_410
; %bb.407:                              ;   in Loop: Header=BB672_213 Depth=1
	v_and_b32_e32 v46, 0x7f, v44
	v_cmp_ne_u32_e32 vcc, s19, v46
	v_mov_b32_e32 v49, 0x7f800001
	s_and_saveexec_b64 s[16:17], vcc
	s_cbranch_execz .LBB672_409
; %bb.408:                              ;   in Loop: Header=BB672_213 Depth=1
	v_and_b32_e32 v49, 7, v44
	v_ffbh_u32_e32 v50, v49
	v_min_u32_e32 v53, 32, v50
	v_subrev_u32_e32 v50, 28, v53
	v_lshlrev_b64 v[50:51], v50, v[44:45]
	v_lshrrev_b32_e32 v52, 3, v46
	v_sub_u32_e32 v51, 29, v53
	v_and_b32_e32 v50, 7, v50
	v_cmp_gt_u32_e32 vcc, 8, v46
	v_cndmask_b32_e32 v46, v52, v51, vcc
	v_cndmask_b32_e32 v49, v49, v50, vcc
	v_lshlrev_b32_e32 v50, 24, v44
	v_lshlrev_b32_e32 v49, 20, v49
	v_and_b32_e32 v50, 0x80000000, v50
	v_lshl_add_u32 v46, v46, 23, v48
	v_or3_b32 v49, v50, v46, v49
.LBB672_409:                            ;   in Loop: Header=BB672_213 Depth=1
	s_or_b64 exec, exec, s[16:17]
.LBB672_410:                            ;   in Loop: Header=BB672_213 Depth=1
	s_or_b64 exec, exec, s[14:15]
.LBB672_411:                            ;   in Loop: Header=BB672_213 Depth=1
	s_or_b64 exec, exec, s[12:13]
	v_lshrrev_b16_e32 v46, 8, v44
	v_cmp_ne_u16_e32 vcc, 0, v46
	v_mov_b32_e32 v50, 0
	v_mov_b32_e32 v51, 0
	s_and_saveexec_b64 s[12:13], vcc
	s_cbranch_execz .LBB672_417
; %bb.412:                              ;   in Loop: Header=BB672_213 Depth=1
	v_cmp_ne_u16_e32 vcc, s9, v46
	v_bfrev_b32_e32 v51, 1
	s_and_saveexec_b64 s[14:15], vcc
	s_cbranch_execz .LBB672_416
; %bb.413:                              ;   in Loop: Header=BB672_213 Depth=1
	v_and_b32_e32 v52, 0x7f, v46
	v_cmp_ne_u32_e32 vcc, s19, v52
	v_mov_b32_e32 v51, 0x7f800001
	s_and_saveexec_b64 s[16:17], vcc
	s_cbranch_execz .LBB672_415
; %bb.414:                              ;   in Loop: Header=BB672_213 Depth=1
	v_and_b32_e32 v51, 7, v46
	v_ffbh_u32_e32 v61, v51
	v_min_u32_e32 v61, 32, v61
	v_subrev_u32_e32 v62, 28, v61
	v_lshlrev_b64 v[62:63], v62, v[46:47]
	v_lshrrev_b32_e32 v53, 3, v52
	v_sub_u32_e32 v46, 29, v61
	v_and_b32_e32 v61, 7, v62
	v_cmp_gt_u32_e32 vcc, 8, v52
	v_cndmask_b32_e32 v46, v53, v46, vcc
	v_cndmask_b32_e32 v51, v51, v61, vcc
	v_lshlrev_b32_e32 v52, 16, v44
	v_lshlrev_b32_e32 v51, 20, v51
	v_and_b32_e32 v52, 0x80000000, v52
	v_lshl_add_u32 v46, v46, 23, v48
	v_or3_b32 v51, v52, v46, v51
.LBB672_415:                            ;   in Loop: Header=BB672_213 Depth=1
	s_or_b64 exec, exec, s[16:17]
.LBB672_416:                            ;   in Loop: Header=BB672_213 Depth=1
	s_or_b64 exec, exec, s[14:15]
.LBB672_417:                            ;   in Loop: Header=BB672_213 Depth=1
	s_or_b64 exec, exec, s[12:13]
	v_lshrrev_b32_e32 v46, 16, v44
	v_cmp_ne_u16_sdwa s[14:15], v46, v47 src0_sel:BYTE_0 src1_sel:DWORD
	s_and_saveexec_b64 s[12:13], s[14:15]
	s_cbranch_execz .LBB672_423
; %bb.418:                              ;   in Loop: Header=BB672_213 Depth=1
	v_cmp_ne_u16_sdwa s[16:17], v46, s9 src0_sel:BYTE_0 src1_sel:DWORD
	v_bfrev_b32_e32 v50, 1
	s_and_saveexec_b64 s[14:15], s[16:17]
	s_cbranch_execz .LBB672_422
; %bb.419:                              ;   in Loop: Header=BB672_213 Depth=1
	v_bfe_u32 v52, v44, 16, 7
	v_cmp_ne_u32_e32 vcc, s19, v52
	v_mov_b32_e32 v50, 0x7f800001
	s_and_saveexec_b64 s[16:17], vcc
	s_cbranch_execz .LBB672_421
; %bb.420:                              ;   in Loop: Header=BB672_213 Depth=1
	v_and_b32_e32 v50, 7, v46
	v_ffbh_u32_e32 v61, v50
	v_min_u32_e32 v61, 32, v61
	v_subrev_u32_e32 v62, 28, v61
	v_lshlrev_b64 v[62:63], v62, v[46:47]
	v_lshrrev_b32_e32 v53, 3, v52
	v_sub_u32_e32 v61, 29, v61
	v_and_b32_e32 v62, 7, v62
	v_cmp_gt_u32_e32 vcc, 8, v52
	v_cndmask_b32_e32 v52, v53, v61, vcc
	v_cndmask_b32_e32 v50, v50, v62, vcc
	v_lshlrev_b32_e32 v46, 24, v46
	v_lshlrev_b32_e32 v50, 20, v50
	v_and_b32_e32 v46, 0x80000000, v46
	v_lshl_add_u32 v52, v52, 23, v48
	v_or3_b32 v50, v46, v52, v50
.LBB672_421:                            ;   in Loop: Header=BB672_213 Depth=1
	s_or_b64 exec, exec, s[16:17]
.LBB672_422:                            ;   in Loop: Header=BB672_213 Depth=1
	s_or_b64 exec, exec, s[14:15]
.LBB672_423:                            ;   in Loop: Header=BB672_213 Depth=1
	s_or_b64 exec, exec, s[12:13]
	v_cmp_lt_u32_e32 vcc, s20, v44
	v_mov_b32_e32 v52, 0
	v_mov_b32_e32 v53, 0
	s_and_saveexec_b64 s[12:13], vcc
	s_cbranch_execz .LBB672_429
; %bb.424:                              ;   in Loop: Header=BB672_213 Depth=1
	v_lshrrev_b32_e32 v46, 24, v44
	v_cmp_ne_u32_e32 vcc, s9, v46
	v_bfrev_b32_e32 v53, 1
	s_and_saveexec_b64 s[14:15], vcc
	s_cbranch_execz .LBB672_428
; %bb.425:                              ;   in Loop: Header=BB672_213 Depth=1
	v_bfe_u32 v44, v44, 24, 7
	v_cmp_ne_u32_e32 vcc, s19, v44
	v_mov_b32_e32 v53, 0x7f800001
	s_and_saveexec_b64 s[16:17], vcc
	s_cbranch_execz .LBB672_427
; %bb.426:                              ;   in Loop: Header=BB672_213 Depth=1
	v_and_b32_e32 v53, 7, v46
	v_ffbh_u32_e32 v62, v53
	v_min_u32_e32 v64, 32, v62
	v_subrev_u32_e32 v62, 28, v64
	v_lshlrev_b64 v[62:63], v62, v[46:47]
	v_lshrrev_b32_e32 v61, 3, v44
	v_sub_u32_e32 v63, 29, v64
	v_and_b32_e32 v62, 7, v62
	v_cmp_gt_u32_e32 vcc, 8, v44
	v_cndmask_b32_e32 v44, v61, v63, vcc
	v_cndmask_b32_e32 v53, v53, v62, vcc
	v_lshlrev_b32_e32 v46, 24, v46
	v_lshlrev_b32_e32 v53, 20, v53
	v_and_b32_e32 v46, 0x80000000, v46
	v_lshl_add_u32 v44, v44, 23, v48
	v_or3_b32 v53, v46, v44, v53
.LBB672_427:                            ;   in Loop: Header=BB672_213 Depth=1
	s_or_b64 exec, exec, s[16:17]
.LBB672_428:                            ;   in Loop: Header=BB672_213 Depth=1
	s_or_b64 exec, exec, s[14:15]
.LBB672_429:                            ;   in Loop: Header=BB672_213 Depth=1
	s_or_b64 exec, exec, s[12:13]
	s_waitcnt vmcnt(2)
	v_cmp_ne_u16_sdwa s[14:15], v42, v47 src0_sel:BYTE_0 src1_sel:DWORD
	s_and_saveexec_b64 s[12:13], s[14:15]
	s_cbranch_execz .LBB672_435
; %bb.430:                              ;   in Loop: Header=BB672_213 Depth=1
	v_cmp_ne_u16_sdwa s[16:17], v42, s9 src0_sel:BYTE_0 src1_sel:DWORD
	v_bfrev_b32_e32 v52, 1
	s_and_saveexec_b64 s[14:15], s[16:17]
	s_cbranch_execz .LBB672_434
; %bb.431:                              ;   in Loop: Header=BB672_213 Depth=1
	v_and_b32_e32 v44, 0x7f, v42
	v_cmp_ne_u32_e32 vcc, s19, v44
	v_mov_b32_e32 v52, 0x7f800001
	s_and_saveexec_b64 s[16:17], vcc
	s_cbranch_execz .LBB672_433
; %bb.432:                              ;   in Loop: Header=BB672_213 Depth=1
	v_and_b32_e32 v46, 7, v42
	v_ffbh_u32_e32 v61, v46
	v_min_u32_e32 v61, 32, v61
	v_subrev_u32_e32 v62, 28, v61
	v_lshlrev_b64 v[62:63], v62, v[42:43]
	v_lshrrev_b32_e32 v52, 3, v44
	v_sub_u32_e32 v61, 29, v61
	v_and_b32_e32 v62, 7, v62
	v_cmp_gt_u32_e32 vcc, 8, v44
	v_cndmask_b32_e32 v44, v52, v61, vcc
	v_cndmask_b32_e32 v46, v46, v62, vcc
	v_lshlrev_b32_e32 v52, 24, v42
	v_lshlrev_b32_e32 v46, 20, v46
	v_and_b32_e32 v52, 0x80000000, v52
	v_lshl_add_u32 v44, v44, 23, v48
	v_or3_b32 v52, v52, v44, v46
.LBB672_433:                            ;   in Loop: Header=BB672_213 Depth=1
	s_or_b64 exec, exec, s[16:17]
.LBB672_434:                            ;   in Loop: Header=BB672_213 Depth=1
	s_or_b64 exec, exec, s[14:15]
.LBB672_435:                            ;   in Loop: Header=BB672_213 Depth=1
	s_or_b64 exec, exec, s[12:13]
	v_lshrrev_b16_e32 v44, 8, v42
	v_cmp_ne_u16_e32 vcc, 0, v44
	v_mov_b32_e32 v61, 0
	v_mov_b32_e32 v62, 0
	s_and_saveexec_b64 s[12:13], vcc
	s_cbranch_execz .LBB672_441
; %bb.436:                              ;   in Loop: Header=BB672_213 Depth=1
	v_cmp_ne_u16_e32 vcc, s9, v44
	v_bfrev_b32_e32 v62, 1
	s_and_saveexec_b64 s[14:15], vcc
	s_cbranch_execz .LBB672_440
; %bb.437:                              ;   in Loop: Header=BB672_213 Depth=1
	v_and_b32_e32 v46, 0x7f, v44
	v_cmp_ne_u32_e32 vcc, s19, v46
	v_mov_b32_e32 v62, 0x7f800001
	s_and_saveexec_b64 s[16:17], vcc
	s_cbranch_execz .LBB672_439
; %bb.438:                              ;   in Loop: Header=BB672_213 Depth=1
	v_and_b32_e32 v64, 7, v44
	v_ffbh_u32_e32 v62, v64
	v_min_u32_e32 v66, 32, v62
	v_subrev_u32_e32 v62, 28, v66
	v_lshlrev_b64 v[62:63], v62, v[44:45]
	v_lshrrev_b32_e32 v65, 3, v46
	v_sub_u32_e32 v44, 29, v66
	v_and_b32_e32 v62, 7, v62
	v_cmp_gt_u32_e32 vcc, 8, v46
	v_cndmask_b32_e32 v44, v65, v44, vcc
	v_cndmask_b32_e32 v46, v64, v62, vcc
	v_lshlrev_b32_e32 v62, 16, v42
	v_lshlrev_b32_e32 v46, 20, v46
	v_and_b32_e32 v62, 0x80000000, v62
	v_lshl_add_u32 v44, v44, 23, v48
	v_or3_b32 v62, v62, v44, v46
.LBB672_439:                            ;   in Loop: Header=BB672_213 Depth=1
	s_or_b64 exec, exec, s[16:17]
.LBB672_440:                            ;   in Loop: Header=BB672_213 Depth=1
	s_or_b64 exec, exec, s[14:15]
.LBB672_441:                            ;   in Loop: Header=BB672_213 Depth=1
	s_or_b64 exec, exec, s[12:13]
	v_lshrrev_b32_e32 v44, 16, v42
	v_cmp_ne_u16_sdwa s[14:15], v44, v47 src0_sel:BYTE_0 src1_sel:DWORD
	s_and_saveexec_b64 s[12:13], s[14:15]
	s_cbranch_execz .LBB672_447
; %bb.442:                              ;   in Loop: Header=BB672_213 Depth=1
	v_cmp_ne_u16_sdwa s[16:17], v44, s9 src0_sel:BYTE_0 src1_sel:DWORD
	v_bfrev_b32_e32 v61, 1
	s_and_saveexec_b64 s[14:15], s[16:17]
	s_cbranch_execz .LBB672_446
; %bb.443:                              ;   in Loop: Header=BB672_213 Depth=1
	v_bfe_u32 v46, v42, 16, 7
	v_cmp_ne_u32_e32 vcc, s19, v46
	v_mov_b32_e32 v61, 0x7f800001
	s_and_saveexec_b64 s[16:17], vcc
	s_cbranch_execz .LBB672_445
; %bb.444:                              ;   in Loop: Header=BB672_213 Depth=1
	v_and_b32_e32 v61, 7, v44
	v_ffbh_u32_e32 v64, v61
	v_min_u32_e32 v66, 32, v64
	v_subrev_u32_e32 v64, 28, v66
	v_lshlrev_b64 v[64:65], v64, v[44:45]
	v_lshrrev_b32_e32 v63, 3, v46
	v_sub_u32_e32 v65, 29, v66
	v_and_b32_e32 v64, 7, v64
	v_cmp_gt_u32_e32 vcc, 8, v46
	v_cndmask_b32_e32 v46, v63, v65, vcc
	v_cndmask_b32_e32 v61, v61, v64, vcc
	v_lshlrev_b32_e32 v44, 24, v44
	v_lshlrev_b32_e32 v61, 20, v61
	v_and_b32_e32 v44, 0x80000000, v44
	v_lshl_add_u32 v46, v46, 23, v48
	v_or3_b32 v61, v44, v46, v61
.LBB672_445:                            ;   in Loop: Header=BB672_213 Depth=1
	s_or_b64 exec, exec, s[16:17]
.LBB672_446:                            ;   in Loop: Header=BB672_213 Depth=1
	s_or_b64 exec, exec, s[14:15]
.LBB672_447:                            ;   in Loop: Header=BB672_213 Depth=1
	s_or_b64 exec, exec, s[12:13]
	v_cmp_lt_u32_e32 vcc, s20, v42
	v_mov_b32_e32 v46, 0
	v_mov_b32_e32 v63, 0
	s_and_saveexec_b64 s[12:13], vcc
	s_cbranch_execz .LBB672_453
; %bb.448:                              ;   in Loop: Header=BB672_213 Depth=1
	v_lshrrev_b32_e32 v44, 24, v42
	v_cmp_ne_u32_e32 vcc, s9, v44
	v_bfrev_b32_e32 v63, 1
	s_and_saveexec_b64 s[14:15], vcc
	s_cbranch_execz .LBB672_452
; %bb.449:                              ;   in Loop: Header=BB672_213 Depth=1
	v_bfe_u32 v42, v42, 24, 7
	v_cmp_ne_u32_e32 vcc, s19, v42
	v_mov_b32_e32 v63, 0x7f800001
	s_and_saveexec_b64 s[16:17], vcc
	s_cbranch_execz .LBB672_451
; %bb.450:                              ;   in Loop: Header=BB672_213 Depth=1
	v_and_b32_e32 v63, 7, v44
	v_ffbh_u32_e32 v64, v63
	v_min_u32_e32 v67, 32, v64
	v_subrev_u32_e32 v64, 28, v67
	v_lshlrev_b64 v[64:65], v64, v[44:45]
	v_lshrrev_b32_e32 v66, 3, v42
	v_sub_u32_e32 v65, 29, v67
	v_and_b32_e32 v64, 7, v64
	v_cmp_gt_u32_e32 vcc, 8, v42
	v_cndmask_b32_e32 v42, v66, v65, vcc
	v_cndmask_b32_e32 v63, v63, v64, vcc
	v_lshlrev_b32_e32 v44, 24, v44
	v_lshlrev_b32_e32 v63, 20, v63
	v_and_b32_e32 v44, 0x80000000, v44
	v_lshl_add_u32 v42, v42, 23, v48
	v_or3_b32 v63, v44, v42, v63
.LBB672_451:                            ;   in Loop: Header=BB672_213 Depth=1
	s_or_b64 exec, exec, s[16:17]
.LBB672_452:                            ;   in Loop: Header=BB672_213 Depth=1
	s_or_b64 exec, exec, s[14:15]
.LBB672_453:                            ;   in Loop: Header=BB672_213 Depth=1
	s_or_b64 exec, exec, s[12:13]
	v_cvt_pkrtz_f16_f32 v64, v49, v51
	v_cvt_pkrtz_f16_f32 v65, v50, v53
	;; [unrolled: 1-line block ×4, first 2 shown]
	s_waitcnt vmcnt(1)
	v_cmp_ne_u16_sdwa s[14:15], v40, v47 src0_sel:BYTE_0 src1_sel:DWORD
	v_mfma_f32_16x16x16f16 v[34:37], v[64:65], v[18:19], v[34:37]
	v_mfma_f32_16x16x16f16 v[34:37], v[50:51], v[20:21], v[34:37]
	s_and_saveexec_b64 s[12:13], s[14:15]
	s_cbranch_execz .LBB672_459
; %bb.454:                              ;   in Loop: Header=BB672_213 Depth=1
	v_cmp_ne_u16_sdwa s[16:17], v40, s9 src0_sel:BYTE_0 src1_sel:DWORD
	v_bfrev_b32_e32 v46, 1
	s_and_saveexec_b64 s[14:15], s[16:17]
	s_cbranch_execz .LBB672_458
; %bb.455:                              ;   in Loop: Header=BB672_213 Depth=1
	v_and_b32_e32 v42, 0x7f, v40
	v_cmp_ne_u32_e32 vcc, s19, v42
	v_mov_b32_e32 v46, 0x7f800001
	s_and_saveexec_b64 s[16:17], vcc
	s_cbranch_execz .LBB672_457
; %bb.456:                              ;   in Loop: Header=BB672_213 Depth=1
	v_and_b32_e32 v44, 7, v40
	v_ffbh_u32_e32 v49, v44
	v_min_u32_e32 v49, 32, v49
	v_subrev_u32_e32 v50, 28, v49
	v_lshlrev_b64 v[50:51], v50, v[40:41]
	v_lshrrev_b32_e32 v46, 3, v42
	v_sub_u32_e32 v49, 29, v49
	v_and_b32_e32 v50, 7, v50
	v_cmp_gt_u32_e32 vcc, 8, v42
	v_cndmask_b32_e32 v42, v46, v49, vcc
	v_cndmask_b32_e32 v44, v44, v50, vcc
	v_lshlrev_b32_e32 v46, 24, v40
	v_lshlrev_b32_e32 v44, 20, v44
	v_and_b32_e32 v46, 0x80000000, v46
	v_lshl_add_u32 v42, v42, 23, v48
	v_or3_b32 v46, v46, v42, v44
.LBB672_457:                            ;   in Loop: Header=BB672_213 Depth=1
	s_or_b64 exec, exec, s[16:17]
.LBB672_458:                            ;   in Loop: Header=BB672_213 Depth=1
	s_or_b64 exec, exec, s[14:15]
.LBB672_459:                            ;   in Loop: Header=BB672_213 Depth=1
	s_or_b64 exec, exec, s[12:13]
	v_lshrrev_b16_e32 v42, 8, v40
	v_cmp_ne_u16_e32 vcc, 0, v42
	v_mov_b32_e32 v44, 0
	v_mov_b32_e32 v50, 0
	s_and_saveexec_b64 s[12:13], vcc
	s_cbranch_execz .LBB672_465
; %bb.460:                              ;   in Loop: Header=BB672_213 Depth=1
	v_cmp_ne_u16_e32 vcc, s9, v42
	v_bfrev_b32_e32 v50, 1
	s_and_saveexec_b64 s[14:15], vcc
	s_cbranch_execz .LBB672_464
; %bb.461:                              ;   in Loop: Header=BB672_213 Depth=1
	v_and_b32_e32 v49, 0x7f, v42
	v_cmp_ne_u32_e32 vcc, s19, v49
	v_mov_b32_e32 v50, 0x7f800001
	s_and_saveexec_b64 s[16:17], vcc
	s_cbranch_execz .LBB672_463
; %bb.462:                              ;   in Loop: Header=BB672_213 Depth=1
	v_and_b32_e32 v52, 7, v42
	v_ffbh_u32_e32 v50, v52
	v_min_u32_e32 v61, 32, v50
	v_subrev_u32_e32 v50, 28, v61
	v_lshlrev_b64 v[50:51], v50, v[42:43]
	v_lshrrev_b32_e32 v53, 3, v49
	v_sub_u32_e32 v42, 29, v61
	v_and_b32_e32 v50, 7, v50
	v_cmp_gt_u32_e32 vcc, 8, v49
	v_cndmask_b32_e32 v42, v53, v42, vcc
	v_cndmask_b32_e32 v49, v52, v50, vcc
	v_lshlrev_b32_e32 v50, 16, v40
	v_lshlrev_b32_e32 v49, 20, v49
	v_and_b32_e32 v50, 0x80000000, v50
	v_lshl_add_u32 v42, v42, 23, v48
	v_or3_b32 v50, v50, v42, v49
.LBB672_463:                            ;   in Loop: Header=BB672_213 Depth=1
	s_or_b64 exec, exec, s[16:17]
.LBB672_464:                            ;   in Loop: Header=BB672_213 Depth=1
	s_or_b64 exec, exec, s[14:15]
.LBB672_465:                            ;   in Loop: Header=BB672_213 Depth=1
	s_or_b64 exec, exec, s[12:13]
	v_lshrrev_b32_e32 v42, 16, v40
	v_cmp_ne_u16_sdwa s[14:15], v42, v47 src0_sel:BYTE_0 src1_sel:DWORD
	s_and_saveexec_b64 s[12:13], s[14:15]
	s_cbranch_execz .LBB672_471
; %bb.466:                              ;   in Loop: Header=BB672_213 Depth=1
	v_cmp_ne_u16_sdwa s[16:17], v42, s9 src0_sel:BYTE_0 src1_sel:DWORD
	v_bfrev_b32_e32 v44, 1
	s_and_saveexec_b64 s[14:15], s[16:17]
	s_cbranch_execz .LBB672_470
; %bb.467:                              ;   in Loop: Header=BB672_213 Depth=1
	v_bfe_u32 v49, v40, 16, 7
	v_cmp_ne_u32_e32 vcc, s19, v49
	v_mov_b32_e32 v44, 0x7f800001
	s_and_saveexec_b64 s[16:17], vcc
	s_cbranch_execz .LBB672_469
; %bb.468:                              ;   in Loop: Header=BB672_213 Depth=1
	v_and_b32_e32 v44, 7, v42
	v_ffbh_u32_e32 v52, v44
	v_min_u32_e32 v61, 32, v52
	v_subrev_u32_e32 v52, 28, v61
	v_lshlrev_b64 v[52:53], v52, v[42:43]
	v_lshrrev_b32_e32 v51, 3, v49
	v_sub_u32_e32 v53, 29, v61
	v_and_b32_e32 v52, 7, v52
	v_cmp_gt_u32_e32 vcc, 8, v49
	v_cndmask_b32_e32 v49, v51, v53, vcc
	v_cndmask_b32_e32 v44, v44, v52, vcc
	v_lshlrev_b32_e32 v42, 24, v42
	v_lshlrev_b32_e32 v44, 20, v44
	v_and_b32_e32 v42, 0x80000000, v42
	v_lshl_add_u32 v49, v49, 23, v48
	v_or3_b32 v44, v42, v49, v44
.LBB672_469:                            ;   in Loop: Header=BB672_213 Depth=1
	s_or_b64 exec, exec, s[16:17]
.LBB672_470:                            ;   in Loop: Header=BB672_213 Depth=1
	s_or_b64 exec, exec, s[14:15]
.LBB672_471:                            ;   in Loop: Header=BB672_213 Depth=1
	s_or_b64 exec, exec, s[12:13]
	v_cmp_lt_u32_e32 vcc, s20, v40
	v_mov_b32_e32 v51, 0
	v_mov_b32_e32 v52, 0
	s_and_saveexec_b64 s[12:13], vcc
	s_cbranch_execz .LBB672_477
; %bb.472:                              ;   in Loop: Header=BB672_213 Depth=1
	v_lshrrev_b32_e32 v42, 24, v40
	v_cmp_ne_u32_e32 vcc, s9, v42
	v_bfrev_b32_e32 v52, 1
	s_and_saveexec_b64 s[14:15], vcc
	s_cbranch_execz .LBB672_476
; %bb.473:                              ;   in Loop: Header=BB672_213 Depth=1
	v_bfe_u32 v40, v40, 24, 7
	v_cmp_ne_u32_e32 vcc, s19, v40
	v_mov_b32_e32 v52, 0x7f800001
	s_and_saveexec_b64 s[16:17], vcc
	s_cbranch_execz .LBB672_475
; %bb.474:                              ;   in Loop: Header=BB672_213 Depth=1
	v_and_b32_e32 v49, 7, v42
	v_ffbh_u32_e32 v52, v49
	v_min_u32_e32 v62, 32, v52
	v_subrev_u32_e32 v52, 28, v62
	v_lshlrev_b64 v[52:53], v52, v[42:43]
	v_lshrrev_b32_e32 v61, 3, v40
	v_sub_u32_e32 v53, 29, v62
	v_and_b32_e32 v52, 7, v52
	v_cmp_gt_u32_e32 vcc, 8, v40
	v_cndmask_b32_e32 v40, v61, v53, vcc
	v_cndmask_b32_e32 v49, v49, v52, vcc
	v_lshlrev_b32_e32 v42, 24, v42
	v_lshlrev_b32_e32 v49, 20, v49
	v_and_b32_e32 v42, 0x80000000, v42
	v_lshl_add_u32 v40, v40, 23, v48
	v_or3_b32 v52, v42, v40, v49
.LBB672_475:                            ;   in Loop: Header=BB672_213 Depth=1
	s_or_b64 exec, exec, s[16:17]
.LBB672_476:                            ;   in Loop: Header=BB672_213 Depth=1
	s_or_b64 exec, exec, s[14:15]
.LBB672_477:                            ;   in Loop: Header=BB672_213 Depth=1
	s_or_b64 exec, exec, s[12:13]
	s_waitcnt vmcnt(0)
	v_cmp_ne_u16_sdwa s[14:15], v38, v47 src0_sel:BYTE_0 src1_sel:DWORD
	s_and_saveexec_b64 s[12:13], s[14:15]
	s_cbranch_execz .LBB672_483
; %bb.478:                              ;   in Loop: Header=BB672_213 Depth=1
	v_cmp_ne_u16_sdwa s[16:17], v38, s9 src0_sel:BYTE_0 src1_sel:DWORD
	v_bfrev_b32_e32 v51, 1
	s_and_saveexec_b64 s[14:15], s[16:17]
	s_cbranch_execz .LBB672_482
; %bb.479:                              ;   in Loop: Header=BB672_213 Depth=1
	v_and_b32_e32 v40, 0x7f, v38
	v_cmp_ne_u32_e32 vcc, s19, v40
	v_mov_b32_e32 v51, 0x7f800001
	s_and_saveexec_b64 s[16:17], vcc
	s_cbranch_execz .LBB672_481
; %bb.480:                              ;   in Loop: Header=BB672_213 Depth=1
	v_and_b32_e32 v42, 7, v38
	v_ffbh_u32_e32 v51, v42
	v_min_u32_e32 v51, 32, v51
	v_subrev_u32_e32 v53, 28, v51
	v_lshlrev_b64 v[62:63], v53, v[38:39]
	v_lshrrev_b32_e32 v49, 3, v40
	v_sub_u32_e32 v51, 29, v51
	v_and_b32_e32 v53, 7, v62
	v_cmp_gt_u32_e32 vcc, 8, v40
	v_cndmask_b32_e32 v40, v49, v51, vcc
	v_cndmask_b32_e32 v42, v42, v53, vcc
	v_lshlrev_b32_e32 v49, 24, v38
	v_lshlrev_b32_e32 v42, 20, v42
	v_and_b32_e32 v49, 0x80000000, v49
	v_lshl_add_u32 v40, v40, 23, v48
	v_or3_b32 v51, v49, v40, v42
.LBB672_481:                            ;   in Loop: Header=BB672_213 Depth=1
	s_or_b64 exec, exec, s[16:17]
.LBB672_482:                            ;   in Loop: Header=BB672_213 Depth=1
	s_or_b64 exec, exec, s[14:15]
.LBB672_483:                            ;   in Loop: Header=BB672_213 Depth=1
	s_or_b64 exec, exec, s[12:13]
	v_lshrrev_b16_e32 v40, 8, v38
	v_cmp_ne_u16_e32 vcc, 0, v40
	v_mov_b32_e32 v53, 0
	v_mov_b32_e32 v61, 0
	s_and_saveexec_b64 s[12:13], vcc
	s_cbranch_execz .LBB672_489
; %bb.484:                              ;   in Loop: Header=BB672_213 Depth=1
	v_cmp_ne_u16_e32 vcc, s9, v40
	v_bfrev_b32_e32 v61, 1
	s_and_saveexec_b64 s[14:15], vcc
	s_cbranch_execz .LBB672_488
; %bb.485:                              ;   in Loop: Header=BB672_213 Depth=1
	v_and_b32_e32 v42, 0x7f, v40
	v_cmp_ne_u32_e32 vcc, s19, v42
	v_mov_b32_e32 v61, 0x7f800001
	s_and_saveexec_b64 s[16:17], vcc
	s_cbranch_execz .LBB672_487
; %bb.486:                              ;   in Loop: Header=BB672_213 Depth=1
	v_and_b32_e32 v49, 7, v40
	v_ffbh_u32_e32 v62, v49
	v_min_u32_e32 v64, 32, v62
	v_subrev_u32_e32 v62, 28, v64
	v_lshlrev_b64 v[62:63], v62, v[40:41]
	v_lshrrev_b32_e32 v61, 3, v42
	v_sub_u32_e32 v40, 29, v64
	v_and_b32_e32 v62, 7, v62
	v_cmp_gt_u32_e32 vcc, 8, v42
	v_cndmask_b32_e32 v40, v61, v40, vcc
	v_cndmask_b32_e32 v42, v49, v62, vcc
	v_lshlrev_b32_e32 v49, 16, v38
	v_lshlrev_b32_e32 v42, 20, v42
	v_and_b32_e32 v49, 0x80000000, v49
	v_lshl_add_u32 v40, v40, 23, v48
	v_or3_b32 v61, v49, v40, v42
.LBB672_487:                            ;   in Loop: Header=BB672_213 Depth=1
	s_or_b64 exec, exec, s[16:17]
.LBB672_488:                            ;   in Loop: Header=BB672_213 Depth=1
	s_or_b64 exec, exec, s[14:15]
.LBB672_489:                            ;   in Loop: Header=BB672_213 Depth=1
	s_or_b64 exec, exec, s[12:13]
	v_lshrrev_b32_e32 v40, 16, v38
	v_cmp_ne_u16_sdwa s[14:15], v40, v47 src0_sel:BYTE_0 src1_sel:DWORD
	s_and_saveexec_b64 s[12:13], s[14:15]
	s_cbranch_execz .LBB672_495
; %bb.490:                              ;   in Loop: Header=BB672_213 Depth=1
	v_cmp_ne_u16_sdwa s[16:17], v40, s9 src0_sel:BYTE_0 src1_sel:DWORD
	v_bfrev_b32_e32 v53, 1
	s_and_saveexec_b64 s[14:15], s[16:17]
	s_cbranch_execz .LBB672_494
; %bb.491:                              ;   in Loop: Header=BB672_213 Depth=1
	v_bfe_u32 v42, v38, 16, 7
	v_cmp_ne_u32_e32 vcc, s19, v42
	v_mov_b32_e32 v53, 0x7f800001
	s_and_saveexec_b64 s[16:17], vcc
	s_cbranch_execz .LBB672_493
; %bb.492:                              ;   in Loop: Header=BB672_213 Depth=1
	v_and_b32_e32 v49, 7, v40
	v_ffbh_u32_e32 v62, v49
	v_min_u32_e32 v64, 32, v62
	v_subrev_u32_e32 v62, 28, v64
	v_lshlrev_b64 v[62:63], v62, v[40:41]
	v_lshrrev_b32_e32 v53, 3, v42
	v_sub_u32_e32 v63, 29, v64
	v_and_b32_e32 v62, 7, v62
	v_cmp_gt_u32_e32 vcc, 8, v42
	v_cndmask_b32_e32 v42, v53, v63, vcc
	v_cndmask_b32_e32 v49, v49, v62, vcc
	v_lshlrev_b32_e32 v40, 24, v40
	v_lshlrev_b32_e32 v49, 20, v49
	v_and_b32_e32 v40, 0x80000000, v40
	v_lshl_add_u32 v42, v42, 23, v48
	v_or3_b32 v53, v40, v42, v49
.LBB672_493:                            ;   in Loop: Header=BB672_213 Depth=1
	s_or_b64 exec, exec, s[16:17]
.LBB672_494:                            ;   in Loop: Header=BB672_213 Depth=1
	s_or_b64 exec, exec, s[14:15]
.LBB672_495:                            ;   in Loop: Header=BB672_213 Depth=1
	s_or_b64 exec, exec, s[12:13]
	v_cmp_lt_u32_e32 vcc, s20, v38
	v_mov_b32_e32 v49, 0
	v_mov_b32_e32 v62, 0
	s_and_saveexec_b64 s[12:13], vcc
	s_cbranch_execz .LBB672_501
; %bb.496:                              ;   in Loop: Header=BB672_213 Depth=1
	v_lshrrev_b32_e32 v40, 24, v38
	v_cmp_ne_u32_e32 vcc, s9, v40
	v_bfrev_b32_e32 v62, 1
	s_and_saveexec_b64 s[14:15], vcc
	s_cbranch_execz .LBB672_500
; %bb.497:                              ;   in Loop: Header=BB672_213 Depth=1
	v_bfe_u32 v38, v38, 24, 7
	v_cmp_ne_u32_e32 vcc, s19, v38
	v_mov_b32_e32 v62, 0x7f800001
	s_and_saveexec_b64 s[16:17], vcc
	s_cbranch_execz .LBB672_499
; %bb.498:                              ;   in Loop: Header=BB672_213 Depth=1
	v_and_b32_e32 v42, 7, v40
	v_ffbh_u32_e32 v62, v42
	v_min_u32_e32 v65, 32, v62
	v_subrev_u32_e32 v62, 28, v65
	v_lshlrev_b64 v[62:63], v62, v[40:41]
	v_lshrrev_b32_e32 v64, 3, v38
	v_sub_u32_e32 v63, 29, v65
	v_and_b32_e32 v62, 7, v62
	v_cmp_gt_u32_e32 vcc, 8, v38
	v_cndmask_b32_e32 v38, v64, v63, vcc
	v_cndmask_b32_e32 v42, v42, v62, vcc
	v_lshlrev_b32_e32 v40, 24, v40
	v_lshlrev_b32_e32 v42, 20, v42
	v_and_b32_e32 v40, 0x80000000, v40
	v_lshl_add_u32 v38, v38, 23, v48
	v_or3_b32 v62, v40, v38, v42
.LBB672_499:                            ;   in Loop: Header=BB672_213 Depth=1
	s_or_b64 exec, exec, s[16:17]
.LBB672_500:                            ;   in Loop: Header=BB672_213 Depth=1
	s_or_b64 exec, exec, s[14:15]
.LBB672_501:                            ;   in Loop: Header=BB672_213 Depth=1
	s_or_b64 exec, exec, s[12:13]
	v_cvt_pkrtz_f16_f32 v65, v44, v52
	buffer_load_dword v44, v60, s[0:3], 0 offen
	buffer_load_dword v42, v60, s[0:3], 0 offen offset:4
	buffer_load_dword v40, v60, s[0:3], 0 offen offset:8
	;; [unrolled: 1-line block ×3, first 2 shown]
	v_cvt_pkrtz_f16_f32 v64, v46, v50
	v_cvt_pkrtz_f16_f32 v50, v51, v61
	;; [unrolled: 1-line block ×3, first 2 shown]
	v_mfma_f32_16x16x16f16 v[34:37], v[64:65], v[22:23], v[34:37]
	s_waitcnt vmcnt(3)
	v_cmp_ne_u16_sdwa s[14:15], v44, v47 src0_sel:BYTE_0 src1_sel:DWORD
	v_mfma_f32_16x16x16f16 v[34:37], v[50:51], v[24:25], v[34:37]
	s_and_saveexec_b64 s[12:13], s[14:15]
	s_cbranch_execz .LBB672_507
; %bb.502:                              ;   in Loop: Header=BB672_213 Depth=1
	v_cmp_ne_u16_sdwa s[16:17], v44, s9 src0_sel:BYTE_0 src1_sel:DWORD
	v_bfrev_b32_e32 v49, 1
	s_and_saveexec_b64 s[14:15], s[16:17]
	s_cbranch_execz .LBB672_506
; %bb.503:                              ;   in Loop: Header=BB672_213 Depth=1
	v_and_b32_e32 v46, 0x7f, v44
	v_cmp_ne_u32_e32 vcc, s19, v46
	v_mov_b32_e32 v49, 0x7f800001
	s_and_saveexec_b64 s[16:17], vcc
	s_cbranch_execz .LBB672_505
; %bb.504:                              ;   in Loop: Header=BB672_213 Depth=1
	v_and_b32_e32 v49, 7, v44
	v_ffbh_u32_e32 v50, v49
	v_min_u32_e32 v53, 32, v50
	v_subrev_u32_e32 v50, 28, v53
	v_lshlrev_b64 v[50:51], v50, v[44:45]
	v_lshrrev_b32_e32 v52, 3, v46
	v_sub_u32_e32 v51, 29, v53
	v_and_b32_e32 v50, 7, v50
	v_cmp_gt_u32_e32 vcc, 8, v46
	v_cndmask_b32_e32 v46, v52, v51, vcc
	v_cndmask_b32_e32 v49, v49, v50, vcc
	v_lshlrev_b32_e32 v50, 24, v44
	v_lshlrev_b32_e32 v49, 20, v49
	v_and_b32_e32 v50, 0x80000000, v50
	v_lshl_add_u32 v46, v46, 23, v48
	v_or3_b32 v49, v50, v46, v49
.LBB672_505:                            ;   in Loop: Header=BB672_213 Depth=1
	s_or_b64 exec, exec, s[16:17]
.LBB672_506:                            ;   in Loop: Header=BB672_213 Depth=1
	s_or_b64 exec, exec, s[14:15]
.LBB672_507:                            ;   in Loop: Header=BB672_213 Depth=1
	s_or_b64 exec, exec, s[12:13]
	v_lshrrev_b16_e32 v46, 8, v44
	v_cmp_ne_u16_e32 vcc, 0, v46
	v_mov_b32_e32 v50, 0
	v_mov_b32_e32 v51, 0
	s_and_saveexec_b64 s[12:13], vcc
	s_cbranch_execz .LBB672_513
; %bb.508:                              ;   in Loop: Header=BB672_213 Depth=1
	v_cmp_ne_u16_e32 vcc, s9, v46
	v_bfrev_b32_e32 v51, 1
	s_and_saveexec_b64 s[14:15], vcc
	s_cbranch_execz .LBB672_512
; %bb.509:                              ;   in Loop: Header=BB672_213 Depth=1
	v_and_b32_e32 v52, 0x7f, v46
	v_cmp_ne_u32_e32 vcc, s19, v52
	v_mov_b32_e32 v51, 0x7f800001
	s_and_saveexec_b64 s[16:17], vcc
	s_cbranch_execz .LBB672_511
; %bb.510:                              ;   in Loop: Header=BB672_213 Depth=1
	v_and_b32_e32 v51, 7, v46
	v_ffbh_u32_e32 v60, v51
	v_min_u32_e32 v62, 32, v60
	v_subrev_u32_e32 v60, 28, v62
	v_lshlrev_b64 v[60:61], v60, v[46:47]
	v_lshrrev_b32_e32 v53, 3, v52
	v_sub_u32_e32 v46, 29, v62
	v_and_b32_e32 v60, 7, v60
	v_cmp_gt_u32_e32 vcc, 8, v52
	v_cndmask_b32_e32 v46, v53, v46, vcc
	v_cndmask_b32_e32 v51, v51, v60, vcc
	v_lshlrev_b32_e32 v52, 16, v44
	v_lshlrev_b32_e32 v51, 20, v51
	v_and_b32_e32 v52, 0x80000000, v52
	v_lshl_add_u32 v46, v46, 23, v48
	v_or3_b32 v51, v52, v46, v51
.LBB672_511:                            ;   in Loop: Header=BB672_213 Depth=1
	s_or_b64 exec, exec, s[16:17]
.LBB672_512:                            ;   in Loop: Header=BB672_213 Depth=1
	s_or_b64 exec, exec, s[14:15]
.LBB672_513:                            ;   in Loop: Header=BB672_213 Depth=1
	s_or_b64 exec, exec, s[12:13]
	v_lshrrev_b32_e32 v46, 16, v44
	v_cmp_ne_u16_sdwa s[14:15], v46, v47 src0_sel:BYTE_0 src1_sel:DWORD
	s_and_saveexec_b64 s[12:13], s[14:15]
	s_cbranch_execz .LBB672_519
; %bb.514:                              ;   in Loop: Header=BB672_213 Depth=1
	v_cmp_ne_u16_sdwa s[16:17], v46, s9 src0_sel:BYTE_0 src1_sel:DWORD
	v_bfrev_b32_e32 v50, 1
	s_and_saveexec_b64 s[14:15], s[16:17]
	s_cbranch_execz .LBB672_518
; %bb.515:                              ;   in Loop: Header=BB672_213 Depth=1
	v_bfe_u32 v52, v44, 16, 7
	v_cmp_ne_u32_e32 vcc, s19, v52
	v_mov_b32_e32 v50, 0x7f800001
	s_and_saveexec_b64 s[16:17], vcc
	s_cbranch_execz .LBB672_517
; %bb.516:                              ;   in Loop: Header=BB672_213 Depth=1
	v_and_b32_e32 v50, 7, v46
	v_ffbh_u32_e32 v60, v50
	v_min_u32_e32 v62, 32, v60
	v_subrev_u32_e32 v60, 28, v62
	v_lshlrev_b64 v[60:61], v60, v[46:47]
	v_lshrrev_b32_e32 v53, 3, v52
	v_sub_u32_e32 v61, 29, v62
	v_and_b32_e32 v60, 7, v60
	v_cmp_gt_u32_e32 vcc, 8, v52
	v_cndmask_b32_e32 v52, v53, v61, vcc
	v_cndmask_b32_e32 v50, v50, v60, vcc
	v_lshlrev_b32_e32 v46, 24, v46
	v_lshlrev_b32_e32 v50, 20, v50
	v_and_b32_e32 v46, 0x80000000, v46
	v_lshl_add_u32 v52, v52, 23, v48
	v_or3_b32 v50, v46, v52, v50
.LBB672_517:                            ;   in Loop: Header=BB672_213 Depth=1
	s_or_b64 exec, exec, s[16:17]
.LBB672_518:                            ;   in Loop: Header=BB672_213 Depth=1
	s_or_b64 exec, exec, s[14:15]
.LBB672_519:                            ;   in Loop: Header=BB672_213 Depth=1
	s_or_b64 exec, exec, s[12:13]
	v_cmp_lt_u32_e32 vcc, s20, v44
	v_mov_b32_e32 v52, 0
	v_mov_b32_e32 v53, 0
	s_and_saveexec_b64 s[12:13], vcc
	s_cbranch_execz .LBB672_525
; %bb.520:                              ;   in Loop: Header=BB672_213 Depth=1
	v_lshrrev_b32_e32 v46, 24, v44
	v_cmp_ne_u32_e32 vcc, s9, v46
	v_bfrev_b32_e32 v53, 1
	s_and_saveexec_b64 s[14:15], vcc
	s_cbranch_execz .LBB672_524
; %bb.521:                              ;   in Loop: Header=BB672_213 Depth=1
	v_bfe_u32 v44, v44, 24, 7
	v_cmp_ne_u32_e32 vcc, s19, v44
	v_mov_b32_e32 v53, 0x7f800001
	s_and_saveexec_b64 s[16:17], vcc
	s_cbranch_execz .LBB672_523
; %bb.522:                              ;   in Loop: Header=BB672_213 Depth=1
	v_and_b32_e32 v53, 7, v46
	v_ffbh_u32_e32 v60, v53
	v_min_u32_e32 v63, 32, v60
	v_subrev_u32_e32 v60, 28, v63
	v_lshlrev_b64 v[60:61], v60, v[46:47]
	v_lshrrev_b32_e32 v62, 3, v44
	v_sub_u32_e32 v61, 29, v63
	v_and_b32_e32 v60, 7, v60
	v_cmp_gt_u32_e32 vcc, 8, v44
	v_cndmask_b32_e32 v44, v62, v61, vcc
	v_cndmask_b32_e32 v53, v53, v60, vcc
	v_lshlrev_b32_e32 v46, 24, v46
	v_lshlrev_b32_e32 v53, 20, v53
	v_and_b32_e32 v46, 0x80000000, v46
	v_lshl_add_u32 v44, v44, 23, v48
	v_or3_b32 v53, v46, v44, v53
.LBB672_523:                            ;   in Loop: Header=BB672_213 Depth=1
	s_or_b64 exec, exec, s[16:17]
.LBB672_524:                            ;   in Loop: Header=BB672_213 Depth=1
	s_or_b64 exec, exec, s[14:15]
.LBB672_525:                            ;   in Loop: Header=BB672_213 Depth=1
	s_or_b64 exec, exec, s[12:13]
	s_waitcnt vmcnt(2)
	v_cmp_ne_u16_sdwa s[14:15], v42, v47 src0_sel:BYTE_0 src1_sel:DWORD
	s_and_saveexec_b64 s[12:13], s[14:15]
	s_cbranch_execz .LBB672_531
; %bb.526:                              ;   in Loop: Header=BB672_213 Depth=1
	v_cmp_ne_u16_sdwa s[16:17], v42, s9 src0_sel:BYTE_0 src1_sel:DWORD
	v_bfrev_b32_e32 v52, 1
	s_and_saveexec_b64 s[14:15], s[16:17]
	s_cbranch_execz .LBB672_530
; %bb.527:                              ;   in Loop: Header=BB672_213 Depth=1
	v_and_b32_e32 v44, 0x7f, v42
	v_cmp_ne_u32_e32 vcc, s19, v44
	v_mov_b32_e32 v52, 0x7f800001
	s_and_saveexec_b64 s[16:17], vcc
	s_cbranch_execz .LBB672_529
; %bb.528:                              ;   in Loop: Header=BB672_213 Depth=1
	v_and_b32_e32 v46, 7, v42
	v_ffbh_u32_e32 v60, v46
	v_min_u32_e32 v62, 32, v60
	v_subrev_u32_e32 v60, 28, v62
	v_lshlrev_b64 v[60:61], v60, v[42:43]
	v_lshrrev_b32_e32 v52, 3, v44
	v_sub_u32_e32 v61, 29, v62
	v_and_b32_e32 v60, 7, v60
	v_cmp_gt_u32_e32 vcc, 8, v44
	v_cndmask_b32_e32 v44, v52, v61, vcc
	v_cndmask_b32_e32 v46, v46, v60, vcc
	v_lshlrev_b32_e32 v52, 24, v42
	v_lshlrev_b32_e32 v46, 20, v46
	v_and_b32_e32 v52, 0x80000000, v52
	v_lshl_add_u32 v44, v44, 23, v48
	v_or3_b32 v52, v52, v44, v46
.LBB672_529:                            ;   in Loop: Header=BB672_213 Depth=1
	s_or_b64 exec, exec, s[16:17]
.LBB672_530:                            ;   in Loop: Header=BB672_213 Depth=1
	s_or_b64 exec, exec, s[14:15]
.LBB672_531:                            ;   in Loop: Header=BB672_213 Depth=1
	s_or_b64 exec, exec, s[12:13]
	v_lshrrev_b16_e32 v44, 8, v42
	v_cmp_ne_u16_e32 vcc, 0, v44
	v_mov_b32_e32 v60, 0
	v_mov_b32_e32 v61, 0
	s_and_saveexec_b64 s[12:13], vcc
	s_cbranch_execz .LBB672_537
; %bb.532:                              ;   in Loop: Header=BB672_213 Depth=1
	v_cmp_ne_u16_e32 vcc, s9, v44
	v_bfrev_b32_e32 v61, 1
	s_and_saveexec_b64 s[14:15], vcc
	s_cbranch_execz .LBB672_536
; %bb.533:                              ;   in Loop: Header=BB672_213 Depth=1
	v_and_b32_e32 v46, 0x7f, v44
	v_cmp_ne_u32_e32 vcc, s19, v46
	v_mov_b32_e32 v61, 0x7f800001
	s_and_saveexec_b64 s[16:17], vcc
	s_cbranch_execz .LBB672_535
; %bb.534:                              ;   in Loop: Header=BB672_213 Depth=1
	v_and_b32_e32 v61, 7, v44
	v_ffbh_u32_e32 v62, v61
	v_min_u32_e32 v65, 32, v62
	v_subrev_u32_e32 v62, 28, v65
	v_lshlrev_b64 v[62:63], v62, v[44:45]
	v_lshrrev_b32_e32 v64, 3, v46
	v_sub_u32_e32 v44, 29, v65
	v_and_b32_e32 v62, 7, v62
	v_cmp_gt_u32_e32 vcc, 8, v46
	v_cndmask_b32_e32 v44, v64, v44, vcc
	v_cndmask_b32_e32 v46, v61, v62, vcc
	v_lshlrev_b32_e32 v61, 16, v42
	v_lshlrev_b32_e32 v46, 20, v46
	v_and_b32_e32 v61, 0x80000000, v61
	v_lshl_add_u32 v44, v44, 23, v48
	v_or3_b32 v61, v61, v44, v46
.LBB672_535:                            ;   in Loop: Header=BB672_213 Depth=1
	s_or_b64 exec, exec, s[16:17]
.LBB672_536:                            ;   in Loop: Header=BB672_213 Depth=1
	s_or_b64 exec, exec, s[14:15]
.LBB672_537:                            ;   in Loop: Header=BB672_213 Depth=1
	s_or_b64 exec, exec, s[12:13]
	v_lshrrev_b32_e32 v44, 16, v42
	v_cmp_ne_u16_sdwa s[14:15], v44, v47 src0_sel:BYTE_0 src1_sel:DWORD
	s_and_saveexec_b64 s[12:13], s[14:15]
	s_cbranch_execz .LBB672_543
; %bb.538:                              ;   in Loop: Header=BB672_213 Depth=1
	v_cmp_ne_u16_sdwa s[16:17], v44, s9 src0_sel:BYTE_0 src1_sel:DWORD
	v_bfrev_b32_e32 v60, 1
	s_and_saveexec_b64 s[14:15], s[16:17]
	s_cbranch_execz .LBB672_542
; %bb.539:                              ;   in Loop: Header=BB672_213 Depth=1
	v_bfe_u32 v46, v42, 16, 7
	v_cmp_ne_u32_e32 vcc, s19, v46
	v_mov_b32_e32 v60, 0x7f800001
	s_and_saveexec_b64 s[16:17], vcc
	s_cbranch_execz .LBB672_541
; %bb.540:                              ;   in Loop: Header=BB672_213 Depth=1
	v_and_b32_e32 v60, 7, v44
	v_ffbh_u32_e32 v62, v60
	v_min_u32_e32 v65, 32, v62
	v_subrev_u32_e32 v62, 28, v65
	v_lshlrev_b64 v[62:63], v62, v[44:45]
	v_lshrrev_b32_e32 v64, 3, v46
	v_sub_u32_e32 v63, 29, v65
	v_and_b32_e32 v62, 7, v62
	v_cmp_gt_u32_e32 vcc, 8, v46
	v_cndmask_b32_e32 v46, v64, v63, vcc
	v_cndmask_b32_e32 v60, v60, v62, vcc
	v_lshlrev_b32_e32 v44, 24, v44
	v_lshlrev_b32_e32 v60, 20, v60
	v_and_b32_e32 v44, 0x80000000, v44
	v_lshl_add_u32 v46, v46, 23, v48
	v_or3_b32 v60, v44, v46, v60
.LBB672_541:                            ;   in Loop: Header=BB672_213 Depth=1
	s_or_b64 exec, exec, s[16:17]
.LBB672_542:                            ;   in Loop: Header=BB672_213 Depth=1
	s_or_b64 exec, exec, s[14:15]
.LBB672_543:                            ;   in Loop: Header=BB672_213 Depth=1
	s_or_b64 exec, exec, s[12:13]
	v_cmp_lt_u32_e32 vcc, s20, v42
	v_mov_b32_e32 v46, 0
	v_mov_b32_e32 v62, 0
	s_and_saveexec_b64 s[12:13], vcc
	s_cbranch_execz .LBB672_549
; %bb.544:                              ;   in Loop: Header=BB672_213 Depth=1
	v_lshrrev_b32_e32 v44, 24, v42
	v_cmp_ne_u32_e32 vcc, s9, v44
	v_bfrev_b32_e32 v62, 1
	s_and_saveexec_b64 s[14:15], vcc
	s_cbranch_execz .LBB672_548
; %bb.545:                              ;   in Loop: Header=BB672_213 Depth=1
	v_bfe_u32 v42, v42, 24, 7
	v_cmp_ne_u32_e32 vcc, s19, v42
	v_mov_b32_e32 v62, 0x7f800001
	s_and_saveexec_b64 s[16:17], vcc
	s_cbranch_execz .LBB672_547
; %bb.546:                              ;   in Loop: Header=BB672_213 Depth=1
	v_and_b32_e32 v64, 7, v44
	v_ffbh_u32_e32 v62, v64
	v_min_u32_e32 v66, 32, v62
	v_subrev_u32_e32 v62, 28, v66
	v_lshlrev_b64 v[62:63], v62, v[44:45]
	v_lshrrev_b32_e32 v65, 3, v42
	v_sub_u32_e32 v63, 29, v66
	v_and_b32_e32 v62, 7, v62
	v_cmp_gt_u32_e32 vcc, 8, v42
	v_cndmask_b32_e32 v42, v65, v63, vcc
	v_cndmask_b32_e32 v62, v64, v62, vcc
	v_lshlrev_b32_e32 v44, 24, v44
	v_lshlrev_b32_e32 v62, 20, v62
	v_and_b32_e32 v44, 0x80000000, v44
	v_lshl_add_u32 v42, v42, 23, v48
	v_or3_b32 v62, v44, v42, v62
.LBB672_547:                            ;   in Loop: Header=BB672_213 Depth=1
	s_or_b64 exec, exec, s[16:17]
.LBB672_548:                            ;   in Loop: Header=BB672_213 Depth=1
	s_or_b64 exec, exec, s[14:15]
.LBB672_549:                            ;   in Loop: Header=BB672_213 Depth=1
	s_or_b64 exec, exec, s[12:13]
	v_cvt_pkrtz_f16_f32 v64, v49, v51
	v_cvt_pkrtz_f16_f32 v65, v50, v53
	v_cvt_pkrtz_f16_f32 v50, v52, v61
	v_cvt_pkrtz_f16_f32 v51, v60, v62
	s_waitcnt vmcnt(1)
	v_cmp_ne_u16_sdwa s[14:15], v40, v47 src0_sel:BYTE_0 src1_sel:DWORD
	v_mfma_f32_16x16x16f16 v[34:37], v[64:65], v[26:27], v[34:37]
	v_mfma_f32_16x16x16f16 v[34:37], v[50:51], v[28:29], v[34:37]
	s_and_saveexec_b64 s[12:13], s[14:15]
	s_cbranch_execz .LBB672_555
; %bb.550:                              ;   in Loop: Header=BB672_213 Depth=1
	v_cmp_ne_u16_sdwa s[16:17], v40, s9 src0_sel:BYTE_0 src1_sel:DWORD
	v_bfrev_b32_e32 v46, 1
	s_and_saveexec_b64 s[14:15], s[16:17]
	s_cbranch_execz .LBB672_554
; %bb.551:                              ;   in Loop: Header=BB672_213 Depth=1
	v_and_b32_e32 v42, 0x7f, v40
	v_cmp_ne_u32_e32 vcc, s19, v42
	v_mov_b32_e32 v46, 0x7f800001
	s_and_saveexec_b64 s[16:17], vcc
	s_cbranch_execz .LBB672_553
; %bb.552:                              ;   in Loop: Header=BB672_213 Depth=1
	v_and_b32_e32 v44, 7, v40
	v_ffbh_u32_e32 v49, v44
	v_min_u32_e32 v49, 32, v49
	v_subrev_u32_e32 v50, 28, v49
	v_lshlrev_b64 v[50:51], v50, v[40:41]
	v_lshrrev_b32_e32 v46, 3, v42
	v_sub_u32_e32 v49, 29, v49
	v_and_b32_e32 v50, 7, v50
	v_cmp_gt_u32_e32 vcc, 8, v42
	v_cndmask_b32_e32 v42, v46, v49, vcc
	v_cndmask_b32_e32 v44, v44, v50, vcc
	v_lshlrev_b32_e32 v46, 24, v40
	v_lshlrev_b32_e32 v44, 20, v44
	v_and_b32_e32 v46, 0x80000000, v46
	v_lshl_add_u32 v42, v42, 23, v48
	v_or3_b32 v46, v46, v42, v44
.LBB672_553:                            ;   in Loop: Header=BB672_213 Depth=1
	s_or_b64 exec, exec, s[16:17]
.LBB672_554:                            ;   in Loop: Header=BB672_213 Depth=1
	s_or_b64 exec, exec, s[14:15]
.LBB672_555:                            ;   in Loop: Header=BB672_213 Depth=1
	s_or_b64 exec, exec, s[12:13]
	v_lshrrev_b16_e32 v42, 8, v40
	v_cmp_ne_u16_e32 vcc, 0, v42
	v_mov_b32_e32 v44, 0
	v_mov_b32_e32 v49, 0
	s_and_saveexec_b64 s[12:13], vcc
	s_cbranch_execz .LBB672_561
; %bb.556:                              ;   in Loop: Header=BB672_213 Depth=1
	v_cmp_ne_u16_e32 vcc, s9, v42
	v_bfrev_b32_e32 v49, 1
	s_and_saveexec_b64 s[14:15], vcc
	s_cbranch_execz .LBB672_560
; %bb.557:                              ;   in Loop: Header=BB672_213 Depth=1
	v_and_b32_e32 v50, 0x7f, v42
	v_cmp_ne_u32_e32 vcc, s19, v50
	v_mov_b32_e32 v49, 0x7f800001
	s_and_saveexec_b64 s[16:17], vcc
	s_cbranch_execz .LBB672_559
; %bb.558:                              ;   in Loop: Header=BB672_213 Depth=1
	v_and_b32_e32 v49, 7, v42
	v_ffbh_u32_e32 v52, v49
	v_min_u32_e32 v60, 32, v52
	v_subrev_u32_e32 v52, 28, v60
	v_lshlrev_b64 v[52:53], v52, v[42:43]
	v_lshrrev_b32_e32 v51, 3, v50
	v_sub_u32_e32 v42, 29, v60
	v_and_b32_e32 v52, 7, v52
	v_cmp_gt_u32_e32 vcc, 8, v50
	v_cndmask_b32_e32 v42, v51, v42, vcc
	v_cndmask_b32_e32 v49, v49, v52, vcc
	v_lshlrev_b32_e32 v50, 16, v40
	v_lshlrev_b32_e32 v49, 20, v49
	v_and_b32_e32 v50, 0x80000000, v50
	v_lshl_add_u32 v42, v42, 23, v48
	v_or3_b32 v49, v50, v42, v49
.LBB672_559:                            ;   in Loop: Header=BB672_213 Depth=1
	s_or_b64 exec, exec, s[16:17]
.LBB672_560:                            ;   in Loop: Header=BB672_213 Depth=1
	s_or_b64 exec, exec, s[14:15]
.LBB672_561:                            ;   in Loop: Header=BB672_213 Depth=1
	s_or_b64 exec, exec, s[12:13]
	v_lshrrev_b32_e32 v42, 16, v40
	v_cmp_ne_u16_sdwa s[14:15], v42, v47 src0_sel:BYTE_0 src1_sel:DWORD
	s_and_saveexec_b64 s[12:13], s[14:15]
	s_cbranch_execz .LBB672_567
; %bb.562:                              ;   in Loop: Header=BB672_213 Depth=1
	v_cmp_ne_u16_sdwa s[16:17], v42, s9 src0_sel:BYTE_0 src1_sel:DWORD
	v_bfrev_b32_e32 v44, 1
	s_and_saveexec_b64 s[14:15], s[16:17]
	s_cbranch_execz .LBB672_566
; %bb.563:                              ;   in Loop: Header=BB672_213 Depth=1
	v_bfe_u32 v50, v40, 16, 7
	v_cmp_ne_u32_e32 vcc, s19, v50
	v_mov_b32_e32 v44, 0x7f800001
	s_and_saveexec_b64 s[16:17], vcc
	s_cbranch_execz .LBB672_565
; %bb.564:                              ;   in Loop: Header=BB672_213 Depth=1
	v_and_b32_e32 v44, 7, v42
	v_ffbh_u32_e32 v52, v44
	v_min_u32_e32 v60, 32, v52
	v_subrev_u32_e32 v52, 28, v60
	v_lshlrev_b64 v[52:53], v52, v[42:43]
	v_lshrrev_b32_e32 v51, 3, v50
	v_sub_u32_e32 v53, 29, v60
	v_and_b32_e32 v52, 7, v52
	v_cmp_gt_u32_e32 vcc, 8, v50
	v_cndmask_b32_e32 v50, v51, v53, vcc
	v_cndmask_b32_e32 v44, v44, v52, vcc
	v_lshlrev_b32_e32 v42, 24, v42
	v_lshlrev_b32_e32 v44, 20, v44
	v_and_b32_e32 v42, 0x80000000, v42
	v_lshl_add_u32 v50, v50, 23, v48
	v_or3_b32 v44, v42, v50, v44
.LBB672_565:                            ;   in Loop: Header=BB672_213 Depth=1
	s_or_b64 exec, exec, s[16:17]
.LBB672_566:                            ;   in Loop: Header=BB672_213 Depth=1
	s_or_b64 exec, exec, s[14:15]
.LBB672_567:                            ;   in Loop: Header=BB672_213 Depth=1
	s_or_b64 exec, exec, s[12:13]
	v_cmp_lt_u32_e32 vcc, s20, v40
	v_mov_b32_e32 v50, 0
	v_mov_b32_e32 v51, 0
	s_and_saveexec_b64 s[12:13], vcc
	s_cbranch_execz .LBB672_573
; %bb.568:                              ;   in Loop: Header=BB672_213 Depth=1
	v_lshrrev_b32_e32 v42, 24, v40
	v_cmp_ne_u32_e32 vcc, s9, v42
	v_bfrev_b32_e32 v51, 1
	s_and_saveexec_b64 s[14:15], vcc
	s_cbranch_execz .LBB672_572
; %bb.569:                              ;   in Loop: Header=BB672_213 Depth=1
	v_bfe_u32 v40, v40, 24, 7
	v_cmp_ne_u32_e32 vcc, s19, v40
	v_mov_b32_e32 v51, 0x7f800001
	s_and_saveexec_b64 s[16:17], vcc
	s_cbranch_execz .LBB672_571
; %bb.570:                              ;   in Loop: Header=BB672_213 Depth=1
	v_and_b32_e32 v51, 7, v42
	v_ffbh_u32_e32 v52, v51
	v_min_u32_e32 v61, 32, v52
	v_subrev_u32_e32 v52, 28, v61
	v_lshlrev_b64 v[52:53], v52, v[42:43]
	v_lshrrev_b32_e32 v60, 3, v40
	v_sub_u32_e32 v53, 29, v61
	v_and_b32_e32 v52, 7, v52
	v_cmp_gt_u32_e32 vcc, 8, v40
	v_cndmask_b32_e32 v40, v60, v53, vcc
	v_cndmask_b32_e32 v51, v51, v52, vcc
	v_lshlrev_b32_e32 v42, 24, v42
	v_lshlrev_b32_e32 v51, 20, v51
	v_and_b32_e32 v42, 0x80000000, v42
	v_lshl_add_u32 v40, v40, 23, v48
	v_or3_b32 v51, v42, v40, v51
.LBB672_571:                            ;   in Loop: Header=BB672_213 Depth=1
	s_or_b64 exec, exec, s[16:17]
.LBB672_572:                            ;   in Loop: Header=BB672_213 Depth=1
	s_or_b64 exec, exec, s[14:15]
.LBB672_573:                            ;   in Loop: Header=BB672_213 Depth=1
	s_or_b64 exec, exec, s[12:13]
	s_waitcnt vmcnt(0)
	v_cmp_ne_u16_sdwa s[14:15], v38, v47 src0_sel:BYTE_0 src1_sel:DWORD
	s_and_saveexec_b64 s[12:13], s[14:15]
	s_cbranch_execz .LBB672_579
; %bb.574:                              ;   in Loop: Header=BB672_213 Depth=1
	v_cmp_ne_u16_sdwa s[16:17], v38, s9 src0_sel:BYTE_0 src1_sel:DWORD
	v_bfrev_b32_e32 v50, 1
	s_and_saveexec_b64 s[14:15], s[16:17]
	s_cbranch_execz .LBB672_578
; %bb.575:                              ;   in Loop: Header=BB672_213 Depth=1
	v_and_b32_e32 v40, 0x7f, v38
	v_cmp_ne_u32_e32 vcc, s19, v40
	v_mov_b32_e32 v50, 0x7f800001
	s_and_saveexec_b64 s[16:17], vcc
	s_cbranch_execz .LBB672_577
; %bb.576:                              ;   in Loop: Header=BB672_213 Depth=1
	v_and_b32_e32 v42, 7, v38
	v_ffbh_u32_e32 v52, v42
	v_min_u32_e32 v60, 32, v52
	v_subrev_u32_e32 v52, 28, v60
	v_lshlrev_b64 v[52:53], v52, v[38:39]
	v_lshrrev_b32_e32 v50, 3, v40
	v_sub_u32_e32 v53, 29, v60
	v_and_b32_e32 v52, 7, v52
	v_cmp_gt_u32_e32 vcc, 8, v40
	v_cndmask_b32_e32 v40, v50, v53, vcc
	v_cndmask_b32_e32 v42, v42, v52, vcc
	v_lshlrev_b32_e32 v50, 24, v38
	v_lshlrev_b32_e32 v42, 20, v42
	v_and_b32_e32 v50, 0x80000000, v50
	v_lshl_add_u32 v40, v40, 23, v48
	v_or3_b32 v50, v50, v40, v42
.LBB672_577:                            ;   in Loop: Header=BB672_213 Depth=1
	s_or_b64 exec, exec, s[16:17]
.LBB672_578:                            ;   in Loop: Header=BB672_213 Depth=1
	s_or_b64 exec, exec, s[14:15]
.LBB672_579:                            ;   in Loop: Header=BB672_213 Depth=1
	s_or_b64 exec, exec, s[12:13]
	v_lshrrev_b16_e32 v40, 8, v38
	v_cmp_ne_u16_e32 vcc, 0, v40
	v_mov_b32_e32 v42, 0
	v_mov_b32_e32 v52, 0
	s_and_saveexec_b64 s[12:13], vcc
	s_cbranch_execz .LBB672_585
; %bb.580:                              ;   in Loop: Header=BB672_213 Depth=1
	v_cmp_ne_u16_e32 vcc, s9, v40
	v_bfrev_b32_e32 v52, 1
	s_and_saveexec_b64 s[14:15], vcc
	s_cbranch_execz .LBB672_584
; %bb.581:                              ;   in Loop: Header=BB672_213 Depth=1
	v_and_b32_e32 v53, 0x7f, v40
	v_cmp_ne_u32_e32 vcc, s19, v53
	v_mov_b32_e32 v52, 0x7f800001
	s_and_saveexec_b64 s[16:17], vcc
	s_cbranch_execz .LBB672_583
; %bb.582:                              ;   in Loop: Header=BB672_213 Depth=1
	v_and_b32_e32 v52, 7, v40
	v_ffbh_u32_e32 v60, v52
	v_min_u32_e32 v63, 32, v60
	v_subrev_u32_e32 v60, 28, v63
	v_lshlrev_b64 v[60:61], v60, v[40:41]
	v_lshrrev_b32_e32 v62, 3, v53
	v_sub_u32_e32 v40, 29, v63
	v_and_b32_e32 v60, 7, v60
	v_cmp_gt_u32_e32 vcc, 8, v53
	v_cndmask_b32_e32 v40, v62, v40, vcc
	v_cndmask_b32_e32 v52, v52, v60, vcc
	v_lshlrev_b32_e32 v53, 16, v38
	v_lshlrev_b32_e32 v52, 20, v52
	v_and_b32_e32 v53, 0x80000000, v53
	v_lshl_add_u32 v40, v40, 23, v48
	v_or3_b32 v52, v53, v40, v52
.LBB672_583:                            ;   in Loop: Header=BB672_213 Depth=1
	s_or_b64 exec, exec, s[16:17]
.LBB672_584:                            ;   in Loop: Header=BB672_213 Depth=1
	s_or_b64 exec, exec, s[14:15]
.LBB672_585:                            ;   in Loop: Header=BB672_213 Depth=1
	s_or_b64 exec, exec, s[12:13]
	v_lshrrev_b32_e32 v40, 16, v38
	v_cmp_ne_u16_sdwa s[14:15], v40, v47 src0_sel:BYTE_0 src1_sel:DWORD
	s_and_saveexec_b64 s[12:13], s[14:15]
	s_cbranch_execz .LBB672_591
; %bb.586:                              ;   in Loop: Header=BB672_213 Depth=1
	v_cmp_ne_u16_sdwa s[16:17], v40, s9 src0_sel:BYTE_0 src1_sel:DWORD
	v_bfrev_b32_e32 v42, 1
	s_and_saveexec_b64 s[14:15], s[16:17]
	s_cbranch_execz .LBB672_590
; %bb.587:                              ;   in Loop: Header=BB672_213 Depth=1
	v_bfe_u32 v53, v38, 16, 7
	v_cmp_ne_u32_e32 vcc, s19, v53
	v_mov_b32_e32 v42, 0x7f800001
	s_and_saveexec_b64 s[16:17], vcc
	s_cbranch_execz .LBB672_589
; %bb.588:                              ;   in Loop: Header=BB672_213 Depth=1
	v_and_b32_e32 v42, 7, v40
	v_ffbh_u32_e32 v60, v42
	v_min_u32_e32 v63, 32, v60
	v_subrev_u32_e32 v60, 28, v63
	v_lshlrev_b64 v[60:61], v60, v[40:41]
	v_lshrrev_b32_e32 v62, 3, v53
	v_sub_u32_e32 v61, 29, v63
	v_and_b32_e32 v60, 7, v60
	v_cmp_gt_u32_e32 vcc, 8, v53
	v_cndmask_b32_e32 v53, v62, v61, vcc
	v_cndmask_b32_e32 v42, v42, v60, vcc
	v_lshlrev_b32_e32 v40, 24, v40
	v_lshlrev_b32_e32 v42, 20, v42
	v_and_b32_e32 v40, 0x80000000, v40
	v_lshl_add_u32 v53, v53, 23, v48
	v_or3_b32 v42, v40, v53, v42
.LBB672_589:                            ;   in Loop: Header=BB672_213 Depth=1
	s_or_b64 exec, exec, s[16:17]
.LBB672_590:                            ;   in Loop: Header=BB672_213 Depth=1
	s_or_b64 exec, exec, s[14:15]
.LBB672_591:                            ;   in Loop: Header=BB672_213 Depth=1
	s_or_b64 exec, exec, s[12:13]
	v_cmp_lt_u32_e32 vcc, s20, v38
	v_mov_b32_e32 v53, 0
	s_and_saveexec_b64 s[12:13], vcc
	s_cbranch_execz .LBB672_212
; %bb.592:                              ;   in Loop: Header=BB672_213 Depth=1
	v_lshrrev_b32_e32 v40, 24, v38
	v_cmp_ne_u32_e32 vcc, s9, v40
	v_bfrev_b32_e32 v53, 1
	s_and_saveexec_b64 s[14:15], vcc
	s_cbranch_execz .LBB672_211
; %bb.593:                              ;   in Loop: Header=BB672_213 Depth=1
	v_bfe_u32 v38, v38, 24, 7
	v_cmp_ne_u32_e32 vcc, s19, v38
	v_mov_b32_e32 v53, 0x7f800001
	s_and_saveexec_b64 s[16:17], vcc
	s_cbranch_execz .LBB672_210
; %bb.594:                              ;   in Loop: Header=BB672_213 Depth=1
	v_and_b32_e32 v53, 7, v40
	v_ffbh_u32_e32 v60, v53
	v_min_u32_e32 v63, 32, v60
	v_subrev_u32_e32 v60, 28, v63
	v_lshlrev_b64 v[60:61], v60, v[40:41]
	v_lshrrev_b32_e32 v62, 3, v38
	v_sub_u32_e32 v61, 29, v63
	v_and_b32_e32 v60, 7, v60
	v_cmp_gt_u32_e32 vcc, 8, v38
	v_cndmask_b32_e32 v38, v62, v61, vcc
	v_cndmask_b32_e32 v53, v53, v60, vcc
	v_lshlrev_b32_e32 v40, 24, v40
	v_lshlrev_b32_e32 v53, 20, v53
	v_and_b32_e32 v40, 0x80000000, v40
	v_lshl_add_u32 v38, v38, 23, v48
	v_or3_b32 v53, v40, v38, v53
	s_branch .LBB672_210
.LBB672_595:
	s_barrier
	buffer_load_dword v2, off, s[0:3], 0 offset:320
	buffer_load_dword v5, off, s[0:3], 0 offset:332
	;; [unrolled: 1-line block ×4, first 2 shown]
	v_cmp_gt_u32_e32 vcc, 64, v0
	v_cmp_ne_u32_e64 s[4:5], 3, v55
	s_and_b64 s[4:5], vcc, s[4:5]
	s_waitcnt vmcnt(0)
	ds_write2st64_b64 v43, v[2:3], v[4:5] offset1:1
	s_waitcnt lgkmcnt(0)
	s_barrier
	s_and_saveexec_b64 s[6:7], s[4:5]
	s_cbranch_execz .LBB672_597
; %bb.596:
	s_mul_i32 s4, s18, s8
	s_lshl_b32 s6, s50, 7
	s_mul_hi_u32 s5, s4, s6
	s_mul_i32 s4, s4, s6
	s_lshl_b64 s[4:5], s[4:5], 1
	s_add_u32 s7, s48, s4
	v_lshlrev_b32_e32 v4, 6, v56
	s_addc_u32 s8, s49, s5
	s_lshl_b32 s4, s24, 7
	s_mov_b32 s5, 0
	v_lshl_or_b32 v0, v0, 10, v4
	s_lshl_b64 s[4:5], s[4:5], 1
	v_lshlrev_b32_e32 v2, 5, v55
	v_and_b32_e32 v3, 16, v57
	v_and_b32_e32 v0, 0x1a00, v0
	s_add_u32 s7, s7, s4
	v_or3_b32 v0, v0, v2, v3
	s_addc_u32 s8, s8, s5
	v_mad_u64_u32 v[6:7], s[4:5], s6, v54, 0
	ds_read_b128 v[2:5], v0
	v_lshlrev_b64 v[6:7], 1, v[6:7]
	v_mov_b32_e32 v0, s8
	v_add_co_u32_e32 v6, vcc, s7, v6
	v_addc_co_u32_e32 v7, vcc, v0, v7, vcc
	v_add_co_u32_e32 v0, vcc, v6, v1
	v_addc_co_u32_e32 v1, vcc, 0, v7, vcc
	s_waitcnt lgkmcnt(0)
	global_store_dwordx4 v[0:1], v[2:5], off
.LBB672_597:
	s_endpgm
	.section	.rodata,"a",@progbits
	.p2align	6, 0x0
	.amdhsa_kernel _Z39paged_attention_ll4mi_QKV_mfma16_kernelIDF16_hLN4vllm18Fp8KVCacheDataTypeE1EDF16_Li32ELi128ELi256ELb0ELi3EL8MFMAType0EEvPKT_PKT0_S8_ifPKiSA_SA_iPKfiiiPfSD_PS3_PT2_iSC_SC_
		.amdhsa_group_segment_fixed_size 8192
		.amdhsa_private_segment_fixed_size 352
		.amdhsa_kernarg_size 400
		.amdhsa_user_sgpr_count 8
		.amdhsa_user_sgpr_private_segment_buffer 1
		.amdhsa_user_sgpr_dispatch_ptr 0
		.amdhsa_user_sgpr_queue_ptr 0
		.amdhsa_user_sgpr_kernarg_segment_ptr 1
		.amdhsa_user_sgpr_dispatch_id 0
		.amdhsa_user_sgpr_flat_scratch_init 1
		.amdhsa_user_sgpr_kernarg_preload_length 0
		.amdhsa_user_sgpr_kernarg_preload_offset 0
		.amdhsa_user_sgpr_private_segment_size 0
		.amdhsa_uses_dynamic_stack 0
		.amdhsa_system_sgpr_private_segment_wavefront_offset 1
		.amdhsa_system_sgpr_workgroup_id_x 1
		.amdhsa_system_sgpr_workgroup_id_y 1
		.amdhsa_system_sgpr_workgroup_id_z 1
		.amdhsa_system_sgpr_workgroup_info 0
		.amdhsa_system_vgpr_workitem_id 0
		.amdhsa_next_free_vgpr 78
		.amdhsa_next_free_sgpr 53
		.amdhsa_accum_offset 80
		.amdhsa_reserve_vcc 1
		.amdhsa_reserve_flat_scratch 0
		.amdhsa_float_round_mode_32 0
		.amdhsa_float_round_mode_16_64 0
		.amdhsa_float_denorm_mode_32 3
		.amdhsa_float_denorm_mode_16_64 3
		.amdhsa_dx10_clamp 1
		.amdhsa_ieee_mode 1
		.amdhsa_fp16_overflow 0
		.amdhsa_tg_split 0
		.amdhsa_exception_fp_ieee_invalid_op 0
		.amdhsa_exception_fp_denorm_src 0
		.amdhsa_exception_fp_ieee_div_zero 0
		.amdhsa_exception_fp_ieee_overflow 0
		.amdhsa_exception_fp_ieee_underflow 0
		.amdhsa_exception_fp_ieee_inexact 0
		.amdhsa_exception_int_div_zero 0
	.end_amdhsa_kernel
	.section	.text._Z39paged_attention_ll4mi_QKV_mfma16_kernelIDF16_hLN4vllm18Fp8KVCacheDataTypeE1EDF16_Li32ELi128ELi256ELb0ELi3EL8MFMAType0EEvPKT_PKT0_S8_ifPKiSA_SA_iPKfiiiPfSD_PS3_PT2_iSC_SC_,"axG",@progbits,_Z39paged_attention_ll4mi_QKV_mfma16_kernelIDF16_hLN4vllm18Fp8KVCacheDataTypeE1EDF16_Li32ELi128ELi256ELb0ELi3EL8MFMAType0EEvPKT_PKT0_S8_ifPKiSA_SA_iPKfiiiPfSD_PS3_PT2_iSC_SC_,comdat
.Lfunc_end672:
	.size	_Z39paged_attention_ll4mi_QKV_mfma16_kernelIDF16_hLN4vllm18Fp8KVCacheDataTypeE1EDF16_Li32ELi128ELi256ELb0ELi3EL8MFMAType0EEvPKT_PKT0_S8_ifPKiSA_SA_iPKfiiiPfSD_PS3_PT2_iSC_SC_, .Lfunc_end672-_Z39paged_attention_ll4mi_QKV_mfma16_kernelIDF16_hLN4vllm18Fp8KVCacheDataTypeE1EDF16_Li32ELi128ELi256ELb0ELi3EL8MFMAType0EEvPKT_PKT0_S8_ifPKiSA_SA_iPKfiiiPfSD_PS3_PT2_iSC_SC_
                                        ; -- End function
	.section	.AMDGPU.csdata,"",@progbits
; Kernel info:
; codeLenInByte = 21164
; NumSgprs: 57
; NumVgprs: 78
; NumAgprs: 0
; TotalNumVgprs: 78
; ScratchSize: 352
; MemoryBound: 0
; FloatMode: 240
; IeeeMode: 1
; LDSByteSize: 8192 bytes/workgroup (compile time only)
; SGPRBlocks: 7
; VGPRBlocks: 9
; NumSGPRsForWavesPerEU: 57
; NumVGPRsForWavesPerEU: 78
; AccumOffset: 80
; Occupancy: 6
; WaveLimiterHint : 1
; COMPUTE_PGM_RSRC2:SCRATCH_EN: 1
; COMPUTE_PGM_RSRC2:USER_SGPR: 8
; COMPUTE_PGM_RSRC2:TRAP_HANDLER: 0
; COMPUTE_PGM_RSRC2:TGID_X_EN: 1
; COMPUTE_PGM_RSRC2:TGID_Y_EN: 1
; COMPUTE_PGM_RSRC2:TGID_Z_EN: 1
; COMPUTE_PGM_RSRC2:TIDIG_COMP_CNT: 0
; COMPUTE_PGM_RSRC3_GFX90A:ACCUM_OFFSET: 19
; COMPUTE_PGM_RSRC3_GFX90A:TG_SPLIT: 0
	.section	.text._Z39paged_attention_ll4mi_QKV_mfma16_kernelIDF16_hLN4vllm18Fp8KVCacheDataTypeE1EDF16_Li32ELi128ELi256ELb0ELi4EL8MFMAType0EEvPKT_PKT0_S8_ifPKiSA_SA_iPKfiiiPfSD_PS3_PT2_iSC_SC_,"axG",@progbits,_Z39paged_attention_ll4mi_QKV_mfma16_kernelIDF16_hLN4vllm18Fp8KVCacheDataTypeE1EDF16_Li32ELi128ELi256ELb0ELi4EL8MFMAType0EEvPKT_PKT0_S8_ifPKiSA_SA_iPKfiiiPfSD_PS3_PT2_iSC_SC_,comdat
	.protected	_Z39paged_attention_ll4mi_QKV_mfma16_kernelIDF16_hLN4vllm18Fp8KVCacheDataTypeE1EDF16_Li32ELi128ELi256ELb0ELi4EL8MFMAType0EEvPKT_PKT0_S8_ifPKiSA_SA_iPKfiiiPfSD_PS3_PT2_iSC_SC_ ; -- Begin function _Z39paged_attention_ll4mi_QKV_mfma16_kernelIDF16_hLN4vllm18Fp8KVCacheDataTypeE1EDF16_Li32ELi128ELi256ELb0ELi4EL8MFMAType0EEvPKT_PKT0_S8_ifPKiSA_SA_iPKfiiiPfSD_PS3_PT2_iSC_SC_
	.globl	_Z39paged_attention_ll4mi_QKV_mfma16_kernelIDF16_hLN4vllm18Fp8KVCacheDataTypeE1EDF16_Li32ELi128ELi256ELb0ELi4EL8MFMAType0EEvPKT_PKT0_S8_ifPKiSA_SA_iPKfiiiPfSD_PS3_PT2_iSC_SC_
	.p2align	8
	.type	_Z39paged_attention_ll4mi_QKV_mfma16_kernelIDF16_hLN4vllm18Fp8KVCacheDataTypeE1EDF16_Li32ELi128ELi256ELb0ELi4EL8MFMAType0EEvPKT_PKT0_S8_ifPKiSA_SA_iPKfiiiPfSD_PS3_PT2_iSC_SC_,@function
_Z39paged_attention_ll4mi_QKV_mfma16_kernelIDF16_hLN4vllm18Fp8KVCacheDataTypeE1EDF16_Li32ELi128ELi256ELb0ELi4EL8MFMAType0EEvPKT_PKT0_S8_ifPKiSA_SA_iPKfiiiPfSD_PS3_PT2_iSC_SC_: ; @_Z39paged_attention_ll4mi_QKV_mfma16_kernelIDF16_hLN4vllm18Fp8KVCacheDataTypeE1EDF16_Li32ELi128ELi256ELb0ELi4EL8MFMAType0EEvPKT_PKT0_S8_ifPKiSA_SA_iPKfiiiPfSD_PS3_PT2_iSC_SC_
; %bb.0:
	s_load_dwordx2 s[6:7], s[4:5], 0x30
	s_add_u32 s0, s0, s11
	s_addc_u32 s1, s1, 0
	s_mov_b32 s26, s9
	s_mov_b64 s[12:13], 0
	s_waitcnt lgkmcnt(0)
	s_cmp_lg_u64 s[6:7], 0
	s_cselect_b64 s[16:17], -1, 0
	s_and_b64 vcc, exec, s[16:17]
	s_cbranch_vccz .LBB673_7
; %bb.1:
	s_add_i32 s14, s8, 1
	s_mov_b32 s15, 0
	s_lshl_b64 s[18:19], s[14:15], 2
	s_add_u32 s18, s6, s18
	s_mov_b32 s9, s15
	s_addc_u32 s19, s7, s19
	s_lshl_b64 s[14:15], s[8:9], 2
	s_add_u32 s14, s6, s14
	s_addc_u32 s15, s7, s15
	s_load_dword s11, s[18:19], 0x0
	s_load_dword s20, s[14:15], 0x0
	s_waitcnt lgkmcnt(0)
	s_sub_i32 s11, s11, s20
	s_cmp_eq_u32 s11, 1
	s_cselect_b64 s[14:15], -1, 0
	s_andn2_b64 vcc, exec, s[12:13]
	s_cbranch_vccnz .LBB673_3
.LBB673_2:
	s_mov_b32 s9, 0
	s_mov_b64 s[14:15], -1
.LBB673_3:
	s_andn2_b64 vcc, exec, s[14:15]
	s_cbranch_vccnz .LBB673_597
; %bb.4:
	s_load_dwordx2 s[12:13], s[4:5], 0x28
	s_lshl_b64 s[18:19], s[8:9], 2
	s_waitcnt lgkmcnt(0)
	s_add_u32 s12, s12, s18
	s_addc_u32 s13, s13, s19
	s_load_dword s33, s[12:13], 0x0
	s_lshl_b32 s20, s26, 8
	s_waitcnt lgkmcnt(0)
	s_cmp_ge_i32 s20, s33
	s_cbranch_scc1 .LBB673_597
; %bb.5:
	s_add_i32 s14, s33, 31
	s_load_dwordx2 s[12:13], s[4:5], 0x20
	s_load_dword s11, s[4:5], 0x38
	s_ashr_i32 s15, s14, 31
	v_and_b32_e32 v1, 0xcf, v0
	s_lshr_b32 s15, s15, 27
	v_add_u32_e32 v1, s20, v1
	s_add_i32 s14, s14, s15
	v_ashrrev_i32_e32 v2, 31, v1
	s_ashr_i32 s23, s14, 5
	v_lshrrev_b32_e32 v10, 27, v2
	s_add_i32 s23, s23, -1
	v_add_u32_e32 v2, v1, v10
	s_waitcnt lgkmcnt(0)
	s_mul_i32 s14, s8, s11
	s_mov_b32 s15, 0
	v_ashrrev_i32_e32 v2, 5, v2
	v_mov_b32_e32 v11, s23
	v_cmp_gt_i32_e32 vcc, s33, v1
	s_lshl_b64 s[14:15], s[14:15], 2
	v_cndmask_b32_e32 v2, v11, v2, vcc
	s_add_u32 s21, s12, s14
	v_ashrrev_i32_e32 v3, 31, v2
	s_addc_u32 s22, s13, s15
	v_lshlrev_b64 v[2:3], 2, v[2:3]
	v_mov_b32_e32 v5, s22
	v_add_co_u32_e32 v4, vcc, s21, v2
	v_or_b32_e32 v2, 16, v1
	v_addc_co_u32_e32 v5, vcc, v5, v3, vcc
	v_add_u32_e32 v3, v2, v10
	v_ashrrev_i32_e32 v3, 5, v3
	v_cmp_gt_i32_e32 vcc, s33, v2
	v_cndmask_b32_e32 v2, v11, v3, vcc
	v_ashrrev_i32_e32 v3, 31, v2
	v_lshlrev_b64 v[2:3], 2, v[2:3]
	v_mov_b32_e32 v7, s22
	v_add_co_u32_e32 v6, vcc, s21, v2
	v_or_b32_e32 v2, 32, v1
	v_addc_co_u32_e32 v7, vcc, v7, v3, vcc
	v_add_u32_e32 v3, v2, v10
	v_ashrrev_i32_e32 v3, 5, v3
	v_cmp_gt_i32_e32 vcc, s33, v2
	v_cndmask_b32_e32 v2, v11, v3, vcc
	v_ashrrev_i32_e32 v3, 31, v2
	;; [unrolled: 10-line block ×3, first 2 shown]
	v_lshlrev_b64 v[2:3], 2, v[2:3]
	v_mov_b32_e32 v1, s22
	v_add_co_u32_e32 v12, vcc, s21, v2
	v_addc_co_u32_e32 v13, vcc, v1, v3, vcc
	global_load_dword v2, v[4:5], off
	global_load_dword v10, v[6:7], off
	;; [unrolled: 1-line block ×4, first 2 shown]
	s_load_dwordx4 s[12:15], s[4:5], 0x8
	s_andn2_b64 vcc, exec, s[16:17]
	s_cbranch_vccnz .LBB673_8
; %bb.6:
	s_add_u32 s6, s6, s18
	s_addc_u32 s7, s7, s19
	s_load_dword s11, s[6:7], 0x0
	s_branch .LBB673_9
.LBB673_7:
	s_mov_b64 s[14:15], 0
	s_branch .LBB673_2
.LBB673_8:
	s_mov_b32 s11, s8
.LBB673_9:
	s_load_dwordx2 s[52:53], s[4:5], 0x68
	s_load_dwordx8 s[40:47], s[4:5], 0x48
	v_and_b32_e32 v55, 15, v0
	v_bfe_u32 v65, v0, 4, 2
	s_lshl_b32 s27, s10, 2
	v_lshlrev_b32_e32 v1, 3, v55
	v_lshrrev_b32_e32 v66, 6, v0
	v_or_b32_e32 v54, s27, v65
	v_cmp_gt_u32_e64 s[6:7], 64, v0
	v_lshlrev_b32_e32 v1, 1, v1
	v_lshlrev_b32_e32 v56, 5, v65
	;; [unrolled: 1-line block ×3, first 2 shown]
	s_and_saveexec_b64 s[16:17], s[6:7]
	s_cbranch_execz .LBB673_11
; %bb.10:
	s_load_dwordx2 s[18:19], s[4:5], 0x0
	s_waitcnt lgkmcnt(0)
	s_ashr_i32 s24, s40, 31
	s_mul_hi_u32 s25, s11, s40
	s_mul_i32 s24, s11, s24
	s_add_i32 s25, s25, s24
	s_mul_i32 s24, s11, s40
	s_lshl_b64 s[24:25], s[24:25], 1
	v_lshlrev_b32_e32 v4, 7, v54
	s_add_u32 s11, s18, s24
	v_ashrrev_i32_e32 v5, 31, v4
	s_addc_u32 s18, s19, s25
	v_lshlrev_b64 v[4:5], 1, v[4:5]
	v_mov_b32_e32 v3, s18
	v_add_co_u32_e32 v4, vcc, s11, v4
	v_addc_co_u32_e32 v3, vcc, v3, v5, vcc
	v_add_co_u32_e32 v4, vcc, v4, v1
	v_addc_co_u32_e32 v5, vcc, 0, v3, vcc
	global_load_dwordx4 v[4:7], v[4:5], off
	v_lshlrev_b32_e32 v8, 8, v0
	v_lshlrev_b32_e32 v3, 8, v55
	v_and_b32_e32 v8, 0x600, v8
	s_movk_i32 s11, 0x800
	v_and_or_b32 v3, v3, s11, v8
	v_lshl_or_b32 v8, v66, 7, v56
	v_and_b32_e32 v9, 16, v57
	v_or3_b32 v3, v3, v8, v9
	s_waitcnt vmcnt(0)
	ds_write_b128 v3, v[4:7]
.LBB673_11:
	s_or_b64 exec, exec, s[16:17]
	s_waitcnt lgkmcnt(0)
	s_mul_i32 s16, s10, s42
	s_add_u32 s10, s12, s16
	s_addc_u32 s11, s13, 0
	v_and_b32_e32 v3, 48, v0
	s_ashr_i32 s12, s20, 31
	v_or_b32_e32 v11, s20, v3
	s_lshr_b32 s12, s12, 27
	v_add_u32_e32 v4, s12, v11
	v_ashrrev_i32_e32 v4, 5, v4
	v_mov_b32_e32 v12, s23
	v_cmp_gt_i32_e32 vcc, s33, v11
	v_cndmask_b32_e32 v4, v12, v4, vcc
	v_ashrrev_i32_e32 v5, 31, v4
	v_lshlrev_b64 v[4:5], 2, v[4:5]
	v_mov_b32_e32 v6, s22
	v_add_co_u32_e32 v4, vcc, s21, v4
	v_addc_co_u32_e32 v5, vcc, v6, v5, vcc
	v_or_b32_e32 v6, 64, v11
	v_add_u32_e32 v7, s12, v6
	v_ashrrev_i32_e32 v7, 5, v7
	v_cmp_gt_i32_e32 vcc, s33, v6
	v_cndmask_b32_e32 v6, v12, v7, vcc
	v_ashrrev_i32_e32 v7, 31, v6
	v_lshlrev_b64 v[6:7], 2, v[6:7]
	v_mov_b32_e32 v8, s22
	v_add_co_u32_e32 v6, vcc, s21, v6
	v_addc_co_u32_e32 v7, vcc, v8, v7, vcc
	v_or_b32_e32 v8, 0x80, v11
	v_add_u32_e32 v9, s12, v8
	v_ashrrev_i32_e32 v9, 5, v9
	v_cmp_gt_i32_e32 vcc, s33, v8
	v_cndmask_b32_e32 v8, v12, v9, vcc
	v_ashrrev_i32_e32 v9, 31, v8
	v_lshlrev_b64 v[8:9], 2, v[8:9]
	v_mov_b32_e32 v13, s22
	v_add_co_u32_e32 v8, vcc, s21, v8
	s_load_dwordx2 s[54:55], s[4:5], 0x94
	s_waitcnt lgkmcnt(0)
	s_barrier
	v_addc_co_u32_e32 v9, vcc, v13, v9, vcc
	global_load_dword v50, v[4:5], off
	global_load_dword v60, v[6:7], off
	;; [unrolled: 1-line block ×3, first 2 shown]
	v_or_b32_e32 v4, 0xc0, v11
	v_add_u32_e32 v5, s12, v4
	v_ashrrev_i32_e32 v5, 5, v5
	v_cmp_gt_i32_e32 vcc, s33, v4
	v_cndmask_b32_e32 v4, v12, v5, vcc
	v_ashrrev_i32_e32 v5, 31, v4
	v_lshlrev_b64 v[4:5], 2, v[4:5]
	v_mov_b32_e32 v6, s22
	v_add_co_u32_e32 v4, vcc, s21, v4
	v_addc_co_u32_e32 v5, vcc, v6, v5, vcc
	global_load_dword v63, v[4:5], off
	v_pk_mov_b32 v[24:25], s[10:11], s[10:11] op_sel:[0,1]
	v_lshlrev_b32_e32 v28, 5, v3
	s_waitcnt vmcnt(7)
	v_mad_i64_i32 v[2:3], s[10:11], v2, s41, v[24:25]
	v_lshlrev_b32_e32 v23, 4, v55
	v_add_co_u32_e32 v2, vcc, v2, v23
	v_addc_co_u32_e32 v3, vcc, 0, v3, vcc
	v_add_co_u32_e32 v12, vcc, v2, v28
	v_addc_co_u32_e32 v13, vcc, 0, v3, vcc
	s_waitcnt vmcnt(6)
	v_mad_i64_i32 v[10:11], s[10:11], v10, s41, v[24:25]
	v_or_b32_e32 v29, 0x100, v23
	v_add_co_u32_e32 v10, vcc, v10, v29
	v_addc_co_u32_e32 v11, vcc, 0, v11, vcc
	v_add_co_u32_e32 v20, vcc, v10, v28
	v_addc_co_u32_e32 v21, vcc, 0, v11, vcc
	s_waitcnt vmcnt(5)
	v_mad_i64_i32 v[18:19], s[10:11], v18, s41, v[24:25]
	v_add_co_u32_e32 v18, vcc, v18, v23
	v_addc_co_u32_e32 v19, vcc, 0, v19, vcc
	v_add_co_u32_e32 v26, vcc, v18, v28
	v_addc_co_u32_e32 v27, vcc, 0, v19, vcc
	s_waitcnt vmcnt(4)
	v_mad_i64_i32 v[22:23], s[10:11], v22, s41, v[24:25]
	v_add_co_u32_e32 v22, vcc, v22, v29
	v_addc_co_u32_e32 v23, vcc, 0, v23, vcc
	v_add_co_u32_e32 v30, vcc, v22, v28
	v_addc_co_u32_e32 v31, vcc, 0, v23, vcc
	s_add_u32 s10, s14, s16
	global_load_dwordx4 v[6:9], v[12:13], off
	global_load_dwordx4 v[2:5], v[12:13], off offset:2048
	s_nop 0
	global_load_dwordx4 v[10:13], v[20:21], off
	global_load_dwordx4 v[14:17], v[20:21], off offset:2048
	global_load_dwordx4 v[34:37], v[26:27], off
	s_nop 0
	global_load_dwordx4 v[18:21], v[26:27], off offset:2048
	s_nop 0
	global_load_dwordx4 v[26:29], v[30:31], off
	global_load_dwordx4 v[22:25], v[30:31], off offset:2048
	s_addc_u32 s11, s15, 0
	v_and_b32_e32 v30, 16, v0
	v_mov_b32_e32 v31, s11
	v_add_co_u32_e32 v51, vcc, s10, v30
	v_lshl_or_b32 v67, v66, 4, v55
	v_addc_co_u32_e32 v52, vcc, 0, v31, vcc
	v_lshlrev_b32_e32 v53, 5, v67
	v_add_co_u32_e32 v42, vcc, v51, v53
	v_addc_co_u32_e32 v43, vcc, 0, v52, vcc
	v_or_b32_e32 v53, 0x800, v53
	v_add_co_u32_e32 v58, vcc, v51, v53
	s_waitcnt vmcnt(11)
	v_mad_i64_i32 v[30:31], s[10:11], v50, s41, v[42:43]
	s_waitcnt vmcnt(10)
	v_mad_i64_i32 v[38:39], s[10:11], v60, s41, v[42:43]
	;; [unrolled: 2-line block ×3, first 2 shown]
	global_load_dwordx4 v[30:33], v[30:31], off
	v_addc_co_u32_e32 v59, vcc, 0, v52, vcc
	global_load_dwordx4 v[38:41], v[38:39], off
	v_mad_i64_i32 v[60:61], s[10:11], v60, s41, v[58:59]
	v_mad_i64_i32 v[50:51], s[10:11], v50, s41, v[58:59]
	s_waitcnt vmcnt(10)
	v_mad_i64_i32 v[42:43], s[10:11], v63, s41, v[42:43]
	global_load_dwordx4 v[46:49], v[44:45], off
	s_nop 0
	global_load_dwordx4 v[42:45], v[42:43], off
	v_and_b32_e32 v68, 63, v0
	global_load_dwordx4 v[70:73], v[60:61], off
	v_mad_i64_i32 v[60:61], s[10:11], v62, s41, v[58:59]
	v_mad_i64_i32 v[58:59], s[10:11], v63, s41, v[58:59]
	global_load_dwordx4 v[50:53], v[50:51], off
	s_mov_b32 s14, 0
	global_load_dwordx4 v[78:81], v[58:59], off
	global_load_dwordx4 v[74:77], v[60:61], off
	s_movk_i32 s15, 0x80
	s_movk_i32 s16, 0x7f
	s_mov_b32 s17, 0xffffff
	s_waitcnt vmcnt(15)
	buffer_store_dword v9, off, s[0:3], 0 offset:12
	buffer_store_dword v8, off, s[0:3], 0 offset:8
	;; [unrolled: 1-line block ×3, first 2 shown]
	buffer_store_dword v6, off, s[0:3], 0
	s_waitcnt vmcnt(18)
	buffer_store_dword v5, off, s[0:3], 0 offset:28
	buffer_store_dword v4, off, s[0:3], 0 offset:24
	;; [unrolled: 1-line block ×4, first 2 shown]
	s_waitcnt vmcnt(21)
	buffer_store_dword v13, off, s[0:3], 0 offset:44
	buffer_store_dword v12, off, s[0:3], 0 offset:40
	;; [unrolled: 1-line block ×4, first 2 shown]
	s_load_dword s10, s[4:5], 0x1c
	s_load_dwordx4 s[48:51], s[4:5], 0x80
	v_mov_b32_e32 v2, 0x80
	v_add_u32_e32 v58, 16, v2
	v_add_u32_e32 v64, 32, v2
	;; [unrolled: 1-line block ×7, first 2 shown]
	v_and_b32_e32 v2, 3, v0
	v_lshlrev_b32_e32 v2, 5, v2
	s_waitcnt vmcnt(24)
	buffer_store_dword v17, off, s[0:3], 0 offset:60
	buffer_store_dword v16, off, s[0:3], 0 offset:56
	;; [unrolled: 1-line block ×4, first 2 shown]
	s_waitcnt vmcnt(27)
	buffer_store_dword v37, off, s[0:3], 0 offset:76
	buffer_store_dword v36, off, s[0:3], 0 offset:72
	;; [unrolled: 1-line block ×4, first 2 shown]
	v_lshl_or_b32 v14, v65, 9, v2
	ds_read_b128 v[2:5], v14
	ds_read_b128 v[6:9], v14 offset:16
	ds_read_b128 v[10:13], v14 offset:2048
	;; [unrolled: 1-line block ×3, first 2 shown]
	s_waitcnt vmcnt(30)
	buffer_store_dword v21, off, s[0:3], 0 offset:92
	buffer_store_dword v20, off, s[0:3], 0 offset:88
	buffer_store_dword v19, off, s[0:3], 0 offset:84
	buffer_store_dword v18, off, s[0:3], 0 offset:80
	s_waitcnt vmcnt(33)
	buffer_store_dword v29, off, s[0:3], 0 offset:108
	buffer_store_dword v28, off, s[0:3], 0 offset:104
	buffer_store_dword v27, off, s[0:3], 0 offset:100
	buffer_store_dword v26, off, s[0:3], 0 offset:96
	;; [unrolled: 5-line block ×8, first 2 shown]
	buffer_store_dword v73, off, s[0:3], 0 offset:188
	buffer_store_dword v72, off, s[0:3], 0 offset:184
	;; [unrolled: 1-line block ×4, first 2 shown]
	s_waitcnt vmcnt(56)
	buffer_store_dword v77, off, s[0:3], 0 offset:220
	buffer_store_dword v76, off, s[0:3], 0 offset:216
	;; [unrolled: 1-line block ×5, first 2 shown]
	s_waitcnt lgkmcnt(0)
	s_load_dword s4, s[48:49], 0x0
	v_mov_b32_e32 v18, s10
	v_mov_b32_e32 v27, 0
	;; [unrolled: 1-line block ×4, first 2 shown]
	s_waitcnt lgkmcnt(0)
	v_mul_f32_e32 v22, s4, v18
	v_mov_b32_e32 v24, v22
	v_mov_b32_e32 v25, v22
	v_bfrev_b32_e32 v33, 60
	buffer_store_dword v80, off, s[0:3], 0 offset:248
	buffer_store_dword v79, off, s[0:3], 0 offset:244
	;; [unrolled: 1-line block ×3, first 2 shown]
	s_branch .LBB673_15
.LBB673_12:                             ;   in Loop: Header=BB673_15 Depth=1
	s_or_b64 exec, exec, s[12:13]
.LBB673_13:                             ;   in Loop: Header=BB673_15 Depth=1
	s_or_b64 exec, exec, s[10:11]
.LBB673_14:                             ;   in Loop: Header=BB673_15 Depth=1
	s_or_b64 exec, exec, s[4:5]
	v_cvt_pkrtz_f16_f32 v40, v34, v32
	v_cvt_pkrtz_f16_f32 v41, v23, v36
	;; [unrolled: 1-line block ×4, first 2 shown]
	v_add_u32_e32 v26, s14, v31
	v_mfma_f32_16x16x16f16 v[18:21], v[40:41], v[14:15], v[18:21]
	s_add_i32 s14, s14, 16
	v_mov_b32_e32 v23, v22
	s_cmp_eq_u32 s14, 64
	v_add_u32_e32 v27, 32, v27
	v_mfma_f32_16x16x16f16 v[18:21], v[34:35], v[16:17], v[18:21]
	s_nop 7
	s_nop 2
	v_pk_mul_f32 v[18:19], v[24:25], v[18:19]
	v_pk_mul_f32 v[20:21], v[22:23], v[20:21]
	buffer_store_dword v19, v26, s[0:3], 0 offen offset:4
	buffer_store_dword v18, v26, s[0:3], 0 offen
	buffer_store_dword v21, v26, s[0:3], 0 offen offset:12
	buffer_store_dword v20, v26, s[0:3], 0 offen offset:8
	s_cbranch_scc1 .LBB673_205
.LBB673_15:                             ; =>This Inner Loop Header: Depth=1
	buffer_load_dword v20, v27, s[0:3], 0 offen
	buffer_load_dword v18, v27, s[0:3], 0 offen offset:4
	buffer_load_dword v28, v27, s[0:3], 0 offen offset:8
	;; [unrolled: 1-line block ×3, first 2 shown]
	v_mov_b32_e32 v19, 0
	s_waitcnt vmcnt(3)
	v_cmp_ne_u16_sdwa s[10:11], v20, v29 src0_sel:BYTE_0 src1_sel:DWORD
	s_and_saveexec_b64 s[4:5], s[10:11]
	s_cbranch_execz .LBB673_21
; %bb.16:                               ;   in Loop: Header=BB673_15 Depth=1
	v_cmp_ne_u16_sdwa s[12:13], v20, s15 src0_sel:BYTE_0 src1_sel:DWORD
	v_bfrev_b32_e32 v19, 1
	s_and_saveexec_b64 s[10:11], s[12:13]
	s_cbranch_execz .LBB673_20
; %bb.17:                               ;   in Loop: Header=BB673_15 Depth=1
	v_and_b32_e32 v21, 0x7f, v20
	v_cmp_ne_u32_e32 vcc, s16, v21
	v_mov_b32_e32 v19, 0x7f800001
	s_and_saveexec_b64 s[12:13], vcc
	s_cbranch_execz .LBB673_19
; %bb.18:                               ;   in Loop: Header=BB673_15 Depth=1
	v_and_b32_e32 v19, 7, v20
	v_ffbh_u32_e32 v30, v19
	v_min_u32_e32 v30, 32, v30
	v_subrev_u32_e32 v32, 28, v30
	v_lshlrev_b64 v[34:35], v32, v[20:21]
	v_lshrrev_b32_e32 v23, 3, v21
	v_sub_u32_e32 v30, 29, v30
	v_and_b32_e32 v32, 7, v34
	v_cmp_gt_u32_e32 vcc, 8, v21
	v_cndmask_b32_e32 v21, v23, v30, vcc
	v_cndmask_b32_e32 v19, v19, v32, vcc
	v_lshlrev_b32_e32 v23, 24, v20
	v_lshlrev_b32_e32 v19, 20, v19
	v_and_b32_e32 v23, 0x80000000, v23
	v_lshl_add_u32 v21, v21, 23, v33
	v_or3_b32 v19, v23, v21, v19
.LBB673_19:                             ;   in Loop: Header=BB673_15 Depth=1
	s_or_b64 exec, exec, s[12:13]
.LBB673_20:                             ;   in Loop: Header=BB673_15 Depth=1
	s_or_b64 exec, exec, s[10:11]
.LBB673_21:                             ;   in Loop: Header=BB673_15 Depth=1
	s_or_b64 exec, exec, s[4:5]
	v_lshrrev_b16_e32 v30, 8, v20
	v_cmp_ne_u16_e32 vcc, 0, v30
	v_mov_b32_e32 v21, 0
	v_mov_b32_e32 v23, 0
	s_and_saveexec_b64 s[4:5], vcc
	s_cbranch_execz .LBB673_27
; %bb.22:                               ;   in Loop: Header=BB673_15 Depth=1
	v_cmp_ne_u16_e32 vcc, s15, v30
	v_bfrev_b32_e32 v23, 1
	s_and_saveexec_b64 s[10:11], vcc
	s_cbranch_execz .LBB673_26
; %bb.23:                               ;   in Loop: Header=BB673_15 Depth=1
	v_and_b32_e32 v32, 0x7f, v30
	v_cmp_ne_u32_e32 vcc, s16, v32
	v_mov_b32_e32 v23, 0x7f800001
	s_and_saveexec_b64 s[12:13], vcc
	s_cbranch_execz .LBB673_25
; %bb.24:                               ;   in Loop: Header=BB673_15 Depth=1
	v_and_b32_e32 v23, 7, v30
	v_ffbh_u32_e32 v34, v23
	v_min_u32_e32 v37, 32, v34
	v_subrev_u32_e32 v34, 28, v37
	v_lshlrev_b64 v[34:35], v34, v[30:31]
	v_lshrrev_b32_e32 v36, 3, v32
	v_sub_u32_e32 v30, 29, v37
	v_and_b32_e32 v34, 7, v34
	v_cmp_gt_u32_e32 vcc, 8, v32
	v_cndmask_b32_e32 v30, v36, v30, vcc
	v_cndmask_b32_e32 v23, v23, v34, vcc
	v_lshlrev_b32_e32 v32, 16, v20
	v_lshlrev_b32_e32 v23, 20, v23
	v_and_b32_e32 v32, 0x80000000, v32
	v_lshl_add_u32 v30, v30, 23, v33
	v_or3_b32 v23, v32, v30, v23
.LBB673_25:                             ;   in Loop: Header=BB673_15 Depth=1
	s_or_b64 exec, exec, s[12:13]
.LBB673_26:                             ;   in Loop: Header=BB673_15 Depth=1
	s_or_b64 exec, exec, s[10:11]
.LBB673_27:                             ;   in Loop: Header=BB673_15 Depth=1
	s_or_b64 exec, exec, s[4:5]
	v_lshrrev_b32_e32 v30, 16, v20
	v_cmp_ne_u16_sdwa s[10:11], v30, v29 src0_sel:BYTE_0 src1_sel:DWORD
	s_and_saveexec_b64 s[4:5], s[10:11]
	s_cbranch_execz .LBB673_33
; %bb.28:                               ;   in Loop: Header=BB673_15 Depth=1
	v_cmp_ne_u16_sdwa s[12:13], v30, s15 src0_sel:BYTE_0 src1_sel:DWORD
	v_bfrev_b32_e32 v21, 1
	s_and_saveexec_b64 s[10:11], s[12:13]
	s_cbranch_execz .LBB673_32
; %bb.29:                               ;   in Loop: Header=BB673_15 Depth=1
	v_bfe_u32 v32, v20, 16, 7
	v_cmp_ne_u32_e32 vcc, s16, v32
	v_mov_b32_e32 v21, 0x7f800001
	s_and_saveexec_b64 s[12:13], vcc
	s_cbranch_execz .LBB673_31
; %bb.30:                               ;   in Loop: Header=BB673_15 Depth=1
	v_and_b32_e32 v21, 7, v30
	v_ffbh_u32_e32 v34, v21
	v_min_u32_e32 v37, 32, v34
	v_subrev_u32_e32 v34, 28, v37
	v_lshlrev_b64 v[34:35], v34, v[30:31]
	v_lshrrev_b32_e32 v36, 3, v32
	v_sub_u32_e32 v35, 29, v37
	v_and_b32_e32 v34, 7, v34
	v_cmp_gt_u32_e32 vcc, 8, v32
	v_cndmask_b32_e32 v32, v36, v35, vcc
	v_cndmask_b32_e32 v21, v21, v34, vcc
	v_lshlrev_b32_e32 v30, 24, v30
	v_lshlrev_b32_e32 v21, 20, v21
	v_and_b32_e32 v30, 0x80000000, v30
	v_lshl_add_u32 v32, v32, 23, v33
	v_or3_b32 v21, v30, v32, v21
.LBB673_31:                             ;   in Loop: Header=BB673_15 Depth=1
	s_or_b64 exec, exec, s[12:13]
.LBB673_32:                             ;   in Loop: Header=BB673_15 Depth=1
	s_or_b64 exec, exec, s[10:11]
.LBB673_33:                             ;   in Loop: Header=BB673_15 Depth=1
	s_or_b64 exec, exec, s[4:5]
	v_cmp_lt_u32_e32 vcc, s17, v20
	v_mov_b32_e32 v34, 0
	v_mov_b32_e32 v35, 0
	s_and_saveexec_b64 s[4:5], vcc
	s_cbranch_execz .LBB673_39
; %bb.34:                               ;   in Loop: Header=BB673_15 Depth=1
	v_lshrrev_b32_e32 v30, 24, v20
	v_cmp_ne_u32_e32 vcc, s15, v30
	v_bfrev_b32_e32 v35, 1
	s_and_saveexec_b64 s[10:11], vcc
	s_cbranch_execz .LBB673_38
; %bb.35:                               ;   in Loop: Header=BB673_15 Depth=1
	v_bfe_u32 v20, v20, 24, 7
	v_cmp_ne_u32_e32 vcc, s16, v20
	v_mov_b32_e32 v35, 0x7f800001
	s_and_saveexec_b64 s[12:13], vcc
	s_cbranch_execz .LBB673_37
; %bb.36:                               ;   in Loop: Header=BB673_15 Depth=1
	v_and_b32_e32 v32, 7, v30
	v_ffbh_u32_e32 v36, v32
	v_min_u32_e32 v38, 32, v36
	v_subrev_u32_e32 v36, 28, v38
	v_lshlrev_b64 v[36:37], v36, v[30:31]
	v_lshrrev_b32_e32 v35, 3, v20
	v_sub_u32_e32 v37, 29, v38
	v_and_b32_e32 v36, 7, v36
	v_cmp_gt_u32_e32 vcc, 8, v20
	v_cndmask_b32_e32 v20, v35, v37, vcc
	v_cndmask_b32_e32 v32, v32, v36, vcc
	v_lshlrev_b32_e32 v30, 24, v30
	v_lshlrev_b32_e32 v32, 20, v32
	v_and_b32_e32 v30, 0x80000000, v30
	v_lshl_add_u32 v20, v20, 23, v33
	v_or3_b32 v35, v30, v20, v32
.LBB673_37:                             ;   in Loop: Header=BB673_15 Depth=1
	s_or_b64 exec, exec, s[12:13]
.LBB673_38:                             ;   in Loop: Header=BB673_15 Depth=1
	s_or_b64 exec, exec, s[10:11]
.LBB673_39:                             ;   in Loop: Header=BB673_15 Depth=1
	s_or_b64 exec, exec, s[4:5]
	s_waitcnt vmcnt(2)
	v_cmp_ne_u16_sdwa s[10:11], v18, v29 src0_sel:BYTE_0 src1_sel:DWORD
	s_and_saveexec_b64 s[4:5], s[10:11]
	s_cbranch_execz .LBB673_45
; %bb.40:                               ;   in Loop: Header=BB673_15 Depth=1
	v_cmp_ne_u16_sdwa s[12:13], v18, s15 src0_sel:BYTE_0 src1_sel:DWORD
	v_bfrev_b32_e32 v34, 1
	s_and_saveexec_b64 s[10:11], s[12:13]
	s_cbranch_execz .LBB673_44
; %bb.41:                               ;   in Loop: Header=BB673_15 Depth=1
	v_and_b32_e32 v20, 0x7f, v18
	v_cmp_ne_u32_e32 vcc, s16, v20
	v_mov_b32_e32 v34, 0x7f800001
	s_and_saveexec_b64 s[12:13], vcc
	s_cbranch_execz .LBB673_43
; %bb.42:                               ;   in Loop: Header=BB673_15 Depth=1
	v_and_b32_e32 v30, 7, v18
	v_ffbh_u32_e32 v34, v30
	v_min_u32_e32 v34, 32, v34
	v_subrev_u32_e32 v36, 28, v34
	v_lshlrev_b64 v[36:37], v36, v[18:19]
	v_lshrrev_b32_e32 v32, 3, v20
	v_sub_u32_e32 v34, 29, v34
	v_and_b32_e32 v36, 7, v36
	v_cmp_gt_u32_e32 vcc, 8, v20
	v_cndmask_b32_e32 v20, v32, v34, vcc
	v_cndmask_b32_e32 v30, v30, v36, vcc
	v_lshlrev_b32_e32 v32, 24, v18
	v_lshlrev_b32_e32 v30, 20, v30
	v_and_b32_e32 v32, 0x80000000, v32
	v_lshl_add_u32 v20, v20, 23, v33
	v_or3_b32 v34, v32, v20, v30
.LBB673_43:                             ;   in Loop: Header=BB673_15 Depth=1
	s_or_b64 exec, exec, s[12:13]
.LBB673_44:                             ;   in Loop: Header=BB673_15 Depth=1
	s_or_b64 exec, exec, s[10:11]
.LBB673_45:                             ;   in Loop: Header=BB673_15 Depth=1
	s_or_b64 exec, exec, s[4:5]
	v_lshrrev_b16_e32 v20, 8, v18
	v_cmp_ne_u16_e32 vcc, 0, v20
	v_mov_b32_e32 v30, 0
	v_mov_b32_e32 v36, 0
	s_and_saveexec_b64 s[4:5], vcc
	s_cbranch_execz .LBB673_51
; %bb.46:                               ;   in Loop: Header=BB673_15 Depth=1
	v_cmp_ne_u16_e32 vcc, s15, v20
	v_bfrev_b32_e32 v36, 1
	s_and_saveexec_b64 s[10:11], vcc
	s_cbranch_execz .LBB673_50
; %bb.47:                               ;   in Loop: Header=BB673_15 Depth=1
	v_and_b32_e32 v32, 0x7f, v20
	v_cmp_ne_u32_e32 vcc, s16, v32
	v_mov_b32_e32 v36, 0x7f800001
	s_and_saveexec_b64 s[12:13], vcc
	s_cbranch_execz .LBB673_49
; %bb.48:                               ;   in Loop: Header=BB673_15 Depth=1
	v_and_b32_e32 v38, 7, v20
	v_ffbh_u32_e32 v36, v38
	v_min_u32_e32 v40, 32, v36
	v_subrev_u32_e32 v36, 28, v40
	v_lshlrev_b64 v[36:37], v36, v[20:21]
	v_lshrrev_b32_e32 v39, 3, v32
	v_sub_u32_e32 v20, 29, v40
	v_and_b32_e32 v36, 7, v36
	v_cmp_gt_u32_e32 vcc, 8, v32
	v_cndmask_b32_e32 v20, v39, v20, vcc
	v_cndmask_b32_e32 v32, v38, v36, vcc
	v_lshlrev_b32_e32 v36, 16, v18
	v_lshlrev_b32_e32 v32, 20, v32
	v_and_b32_e32 v36, 0x80000000, v36
	v_lshl_add_u32 v20, v20, 23, v33
	v_or3_b32 v36, v36, v20, v32
.LBB673_49:                             ;   in Loop: Header=BB673_15 Depth=1
	s_or_b64 exec, exec, s[12:13]
.LBB673_50:                             ;   in Loop: Header=BB673_15 Depth=1
	s_or_b64 exec, exec, s[10:11]
.LBB673_51:                             ;   in Loop: Header=BB673_15 Depth=1
	s_or_b64 exec, exec, s[4:5]
	v_lshrrev_b32_e32 v20, 16, v18
	v_cmp_ne_u16_sdwa s[10:11], v20, v29 src0_sel:BYTE_0 src1_sel:DWORD
	s_and_saveexec_b64 s[4:5], s[10:11]
	s_cbranch_execz .LBB673_57
; %bb.52:                               ;   in Loop: Header=BB673_15 Depth=1
	v_cmp_ne_u16_sdwa s[12:13], v20, s15 src0_sel:BYTE_0 src1_sel:DWORD
	v_bfrev_b32_e32 v30, 1
	s_and_saveexec_b64 s[10:11], s[12:13]
	s_cbranch_execz .LBB673_56
; %bb.53:                               ;   in Loop: Header=BB673_15 Depth=1
	v_bfe_u32 v32, v18, 16, 7
	v_cmp_ne_u32_e32 vcc, s16, v32
	v_mov_b32_e32 v30, 0x7f800001
	s_and_saveexec_b64 s[12:13], vcc
	s_cbranch_execz .LBB673_55
; %bb.54:                               ;   in Loop: Header=BB673_15 Depth=1
	v_and_b32_e32 v30, 7, v20
	v_ffbh_u32_e32 v38, v30
	v_min_u32_e32 v40, 32, v38
	v_subrev_u32_e32 v38, 28, v40
	v_lshlrev_b64 v[38:39], v38, v[20:21]
	v_lshrrev_b32_e32 v37, 3, v32
	v_sub_u32_e32 v39, 29, v40
	v_and_b32_e32 v38, 7, v38
	v_cmp_gt_u32_e32 vcc, 8, v32
	v_cndmask_b32_e32 v32, v37, v39, vcc
	v_cndmask_b32_e32 v30, v30, v38, vcc
	v_lshlrev_b32_e32 v20, 24, v20
	v_lshlrev_b32_e32 v30, 20, v30
	v_and_b32_e32 v20, 0x80000000, v20
	v_lshl_add_u32 v32, v32, 23, v33
	v_or3_b32 v30, v20, v32, v30
.LBB673_55:                             ;   in Loop: Header=BB673_15 Depth=1
	s_or_b64 exec, exec, s[12:13]
.LBB673_56:                             ;   in Loop: Header=BB673_15 Depth=1
	s_or_b64 exec, exec, s[10:11]
.LBB673_57:                             ;   in Loop: Header=BB673_15 Depth=1
	s_or_b64 exec, exec, s[4:5]
	v_cmp_lt_u32_e32 vcc, s17, v18
	v_mov_b32_e32 v32, 0
	v_mov_b32_e32 v37, 0
	s_and_saveexec_b64 s[4:5], vcc
	s_cbranch_execz .LBB673_63
; %bb.58:                               ;   in Loop: Header=BB673_15 Depth=1
	v_lshrrev_b32_e32 v20, 24, v18
	v_cmp_ne_u32_e32 vcc, s15, v20
	v_bfrev_b32_e32 v37, 1
	s_and_saveexec_b64 s[10:11], vcc
	s_cbranch_execz .LBB673_62
; %bb.59:                               ;   in Loop: Header=BB673_15 Depth=1
	v_bfe_u32 v18, v18, 24, 7
	v_cmp_ne_u32_e32 vcc, s16, v18
	v_mov_b32_e32 v37, 0x7f800001
	s_and_saveexec_b64 s[12:13], vcc
	s_cbranch_execz .LBB673_61
; %bb.60:                               ;   in Loop: Header=BB673_15 Depth=1
	v_and_b32_e32 v37, 7, v20
	v_ffbh_u32_e32 v38, v37
	v_min_u32_e32 v41, 32, v38
	v_subrev_u32_e32 v38, 28, v41
	v_lshlrev_b64 v[38:39], v38, v[20:21]
	v_lshrrev_b32_e32 v40, 3, v18
	v_sub_u32_e32 v39, 29, v41
	v_and_b32_e32 v38, 7, v38
	v_cmp_gt_u32_e32 vcc, 8, v18
	v_cndmask_b32_e32 v18, v40, v39, vcc
	v_cndmask_b32_e32 v37, v37, v38, vcc
	v_lshlrev_b32_e32 v20, 24, v20
	v_lshlrev_b32_e32 v37, 20, v37
	v_and_b32_e32 v20, 0x80000000, v20
	v_lshl_add_u32 v18, v18, 23, v33
	v_or3_b32 v37, v20, v18, v37
.LBB673_61:                             ;   in Loop: Header=BB673_15 Depth=1
	s_or_b64 exec, exec, s[12:13]
.LBB673_62:                             ;   in Loop: Header=BB673_15 Depth=1
	s_or_b64 exec, exec, s[10:11]
.LBB673_63:                             ;   in Loop: Header=BB673_15 Depth=1
	s_or_b64 exec, exec, s[4:5]
	v_cvt_pkrtz_f16_f32 v18, v19, v23
	v_cvt_pkrtz_f16_f32 v19, v21, v35
	;; [unrolled: 1-line block ×4, first 2 shown]
	s_waitcnt vmcnt(1)
	v_cmp_ne_u16_sdwa s[10:11], v28, v29 src0_sel:BYTE_0 src1_sel:DWORD
	v_mfma_f32_16x16x16f16 v[18:21], v[18:19], v[2:3], 0
	v_mfma_f32_16x16x16f16 v[18:21], v[34:35], v[4:5], v[18:21]
	s_and_saveexec_b64 s[4:5], s[10:11]
	s_cbranch_execz .LBB673_69
; %bb.64:                               ;   in Loop: Header=BB673_15 Depth=1
	v_cmp_ne_u16_sdwa s[12:13], v28, s15 src0_sel:BYTE_0 src1_sel:DWORD
	v_bfrev_b32_e32 v32, 1
	s_and_saveexec_b64 s[10:11], s[12:13]
	s_cbranch_execz .LBB673_68
; %bb.65:                               ;   in Loop: Header=BB673_15 Depth=1
	v_and_b32_e32 v23, 0x7f, v28
	v_cmp_ne_u32_e32 vcc, s16, v23
	v_mov_b32_e32 v32, 0x7f800001
	s_and_saveexec_b64 s[12:13], vcc
	s_cbranch_execz .LBB673_67
; %bb.66:                               ;   in Loop: Header=BB673_15 Depth=1
	v_and_b32_e32 v30, 7, v28
	v_ffbh_u32_e32 v34, v30
	v_min_u32_e32 v36, 32, v34
	v_subrev_u32_e32 v34, 28, v36
	v_lshlrev_b64 v[34:35], v34, v[28:29]
	v_lshrrev_b32_e32 v32, 3, v23
	v_sub_u32_e32 v35, 29, v36
	v_and_b32_e32 v34, 7, v34
	v_cmp_gt_u32_e32 vcc, 8, v23
	v_cndmask_b32_e32 v23, v32, v35, vcc
	v_cndmask_b32_e32 v30, v30, v34, vcc
	v_lshlrev_b32_e32 v32, 24, v28
	v_lshlrev_b32_e32 v30, 20, v30
	v_and_b32_e32 v32, 0x80000000, v32
	v_lshl_add_u32 v23, v23, 23, v33
	v_or3_b32 v32, v32, v23, v30
.LBB673_67:                             ;   in Loop: Header=BB673_15 Depth=1
	s_or_b64 exec, exec, s[12:13]
.LBB673_68:                             ;   in Loop: Header=BB673_15 Depth=1
	s_or_b64 exec, exec, s[10:11]
.LBB673_69:                             ;   in Loop: Header=BB673_15 Depth=1
	s_or_b64 exec, exec, s[4:5]
	v_lshrrev_b16_e32 v30, 8, v28
	v_cmp_ne_u16_e32 vcc, 0, v30
	v_mov_b32_e32 v34, 0
	v_mov_b32_e32 v35, 0
	s_and_saveexec_b64 s[4:5], vcc
	s_cbranch_execz .LBB673_75
; %bb.70:                               ;   in Loop: Header=BB673_15 Depth=1
	v_cmp_ne_u16_e32 vcc, s15, v30
	v_bfrev_b32_e32 v35, 1
	s_and_saveexec_b64 s[10:11], vcc
	s_cbranch_execz .LBB673_74
; %bb.71:                               ;   in Loop: Header=BB673_15 Depth=1
	v_and_b32_e32 v23, 0x7f, v30
	v_cmp_ne_u32_e32 vcc, s16, v23
	v_mov_b32_e32 v35, 0x7f800001
	s_and_saveexec_b64 s[12:13], vcc
	s_cbranch_execz .LBB673_73
; %bb.72:                               ;   in Loop: Header=BB673_15 Depth=1
	v_and_b32_e32 v35, 7, v30
	v_ffbh_u32_e32 v36, v35
	v_min_u32_e32 v39, 32, v36
	v_subrev_u32_e32 v36, 28, v39
	v_lshlrev_b64 v[36:37], v36, v[30:31]
	v_lshrrev_b32_e32 v38, 3, v23
	v_sub_u32_e32 v30, 29, v39
	v_and_b32_e32 v36, 7, v36
	v_cmp_gt_u32_e32 vcc, 8, v23
	v_cndmask_b32_e32 v23, v38, v30, vcc
	v_cndmask_b32_e32 v30, v35, v36, vcc
	v_lshlrev_b32_e32 v35, 16, v28
	v_lshlrev_b32_e32 v30, 20, v30
	v_and_b32_e32 v35, 0x80000000, v35
	v_lshl_add_u32 v23, v23, 23, v33
	v_or3_b32 v35, v35, v23, v30
.LBB673_73:                             ;   in Loop: Header=BB673_15 Depth=1
	s_or_b64 exec, exec, s[12:13]
.LBB673_74:                             ;   in Loop: Header=BB673_15 Depth=1
	s_or_b64 exec, exec, s[10:11]
.LBB673_75:                             ;   in Loop: Header=BB673_15 Depth=1
	s_or_b64 exec, exec, s[4:5]
	v_lshrrev_b32_e32 v30, 16, v28
	v_cmp_ne_u16_sdwa s[10:11], v30, v29 src0_sel:BYTE_0 src1_sel:DWORD
	s_and_saveexec_b64 s[4:5], s[10:11]
	s_cbranch_execz .LBB673_81
; %bb.76:                               ;   in Loop: Header=BB673_15 Depth=1
	v_cmp_ne_u16_sdwa s[12:13], v30, s15 src0_sel:BYTE_0 src1_sel:DWORD
	v_bfrev_b32_e32 v34, 1
	s_and_saveexec_b64 s[10:11], s[12:13]
	s_cbranch_execz .LBB673_80
; %bb.77:                               ;   in Loop: Header=BB673_15 Depth=1
	v_bfe_u32 v23, v28, 16, 7
	v_cmp_ne_u32_e32 vcc, s16, v23
	v_mov_b32_e32 v34, 0x7f800001
	s_and_saveexec_b64 s[12:13], vcc
	s_cbranch_execz .LBB673_79
; %bb.78:                               ;   in Loop: Header=BB673_15 Depth=1
	v_and_b32_e32 v34, 7, v30
	v_ffbh_u32_e32 v36, v34
	v_min_u32_e32 v39, 32, v36
	v_subrev_u32_e32 v36, 28, v39
	v_lshlrev_b64 v[36:37], v36, v[30:31]
	v_lshrrev_b32_e32 v38, 3, v23
	v_sub_u32_e32 v37, 29, v39
	v_and_b32_e32 v36, 7, v36
	v_cmp_gt_u32_e32 vcc, 8, v23
	v_cndmask_b32_e32 v23, v38, v37, vcc
	v_cndmask_b32_e32 v34, v34, v36, vcc
	v_lshlrev_b32_e32 v30, 24, v30
	v_lshlrev_b32_e32 v34, 20, v34
	v_and_b32_e32 v30, 0x80000000, v30
	v_lshl_add_u32 v23, v23, 23, v33
	v_or3_b32 v34, v30, v23, v34
.LBB673_79:                             ;   in Loop: Header=BB673_15 Depth=1
	s_or_b64 exec, exec, s[12:13]
.LBB673_80:                             ;   in Loop: Header=BB673_15 Depth=1
	s_or_b64 exec, exec, s[10:11]
.LBB673_81:                             ;   in Loop: Header=BB673_15 Depth=1
	s_or_b64 exec, exec, s[4:5]
	v_cmp_lt_u32_e32 vcc, s17, v28
	v_mov_b32_e32 v36, 0
	v_mov_b32_e32 v37, 0
	s_and_saveexec_b64 s[4:5], vcc
	s_cbranch_execz .LBB673_87
; %bb.82:                               ;   in Loop: Header=BB673_15 Depth=1
	v_lshrrev_b32_e32 v30, 24, v28
	v_cmp_ne_u32_e32 vcc, s15, v30
	v_bfrev_b32_e32 v37, 1
	s_and_saveexec_b64 s[10:11], vcc
	s_cbranch_execz .LBB673_86
; %bb.83:                               ;   in Loop: Header=BB673_15 Depth=1
	v_bfe_u32 v23, v28, 24, 7
	v_cmp_ne_u32_e32 vcc, s16, v23
	v_mov_b32_e32 v37, 0x7f800001
	s_and_saveexec_b64 s[12:13], vcc
	s_cbranch_execz .LBB673_85
; %bb.84:                               ;   in Loop: Header=BB673_15 Depth=1
	v_and_b32_e32 v28, 7, v30
	v_ffbh_u32_e32 v38, v28
	v_min_u32_e32 v40, 32, v38
	v_subrev_u32_e32 v38, 28, v40
	v_lshlrev_b64 v[38:39], v38, v[30:31]
	v_lshrrev_b32_e32 v37, 3, v23
	v_sub_u32_e32 v39, 29, v40
	v_and_b32_e32 v38, 7, v38
	v_cmp_gt_u32_e32 vcc, 8, v23
	v_cndmask_b32_e32 v23, v37, v39, vcc
	v_cndmask_b32_e32 v28, v28, v38, vcc
	v_lshlrev_b32_e32 v30, 24, v30
	v_lshlrev_b32_e32 v28, 20, v28
	v_and_b32_e32 v30, 0x80000000, v30
	v_lshl_add_u32 v23, v23, 23, v33
	v_or3_b32 v37, v30, v23, v28
.LBB673_85:                             ;   in Loop: Header=BB673_15 Depth=1
	s_or_b64 exec, exec, s[12:13]
.LBB673_86:                             ;   in Loop: Header=BB673_15 Depth=1
	s_or_b64 exec, exec, s[10:11]
.LBB673_87:                             ;   in Loop: Header=BB673_15 Depth=1
	s_or_b64 exec, exec, s[4:5]
	s_waitcnt vmcnt(0)
	v_cmp_ne_u16_sdwa s[10:11], v26, v29 src0_sel:BYTE_0 src1_sel:DWORD
	s_and_saveexec_b64 s[4:5], s[10:11]
	s_cbranch_execz .LBB673_93
; %bb.88:                               ;   in Loop: Header=BB673_15 Depth=1
	v_cmp_ne_u16_sdwa s[12:13], v26, s15 src0_sel:BYTE_0 src1_sel:DWORD
	v_bfrev_b32_e32 v36, 1
	s_and_saveexec_b64 s[10:11], s[12:13]
	s_cbranch_execz .LBB673_92
; %bb.89:                               ;   in Loop: Header=BB673_15 Depth=1
	v_and_b32_e32 v23, 0x7f, v26
	v_cmp_ne_u32_e32 vcc, s16, v23
	v_mov_b32_e32 v36, 0x7f800001
	s_and_saveexec_b64 s[12:13], vcc
	s_cbranch_execz .LBB673_91
; %bb.90:                               ;   in Loop: Header=BB673_15 Depth=1
	v_and_b32_e32 v28, 7, v26
	v_ffbh_u32_e32 v36, v28
	v_min_u32_e32 v36, 32, v36
	v_subrev_u32_e32 v38, 28, v36
	v_lshlrev_b64 v[38:39], v38, v[26:27]
	v_lshrrev_b32_e32 v30, 3, v23
	v_sub_u32_e32 v36, 29, v36
	v_and_b32_e32 v38, 7, v38
	v_cmp_gt_u32_e32 vcc, 8, v23
	v_cndmask_b32_e32 v23, v30, v36, vcc
	v_cndmask_b32_e32 v28, v28, v38, vcc
	v_lshlrev_b32_e32 v30, 24, v26
	v_lshlrev_b32_e32 v28, 20, v28
	v_and_b32_e32 v30, 0x80000000, v30
	v_lshl_add_u32 v23, v23, 23, v33
	v_or3_b32 v36, v30, v23, v28
.LBB673_91:                             ;   in Loop: Header=BB673_15 Depth=1
	s_or_b64 exec, exec, s[12:13]
.LBB673_92:                             ;   in Loop: Header=BB673_15 Depth=1
	s_or_b64 exec, exec, s[10:11]
.LBB673_93:                             ;   in Loop: Header=BB673_15 Depth=1
	s_or_b64 exec, exec, s[4:5]
	v_lshrrev_b16_e32 v28, 8, v26
	v_cmp_ne_u16_e32 vcc, 0, v28
	v_mov_b32_e32 v38, 0
	v_mov_b32_e32 v39, 0
	s_and_saveexec_b64 s[4:5], vcc
	s_cbranch_execz .LBB673_99
; %bb.94:                               ;   in Loop: Header=BB673_15 Depth=1
	v_cmp_ne_u16_e32 vcc, s15, v28
	v_bfrev_b32_e32 v39, 1
	s_and_saveexec_b64 s[10:11], vcc
	s_cbranch_execz .LBB673_98
; %bb.95:                               ;   in Loop: Header=BB673_15 Depth=1
	v_and_b32_e32 v23, 0x7f, v28
	v_cmp_ne_u32_e32 vcc, s16, v23
	v_mov_b32_e32 v39, 0x7f800001
	s_and_saveexec_b64 s[12:13], vcc
	s_cbranch_execz .LBB673_97
; %bb.96:                               ;   in Loop: Header=BB673_15 Depth=1
	v_and_b32_e32 v30, 7, v28
	v_ffbh_u32_e32 v40, v30
	v_min_u32_e32 v42, 32, v40
	v_subrev_u32_e32 v40, 28, v42
	v_lshlrev_b64 v[40:41], v40, v[28:29]
	v_lshrrev_b32_e32 v39, 3, v23
	v_sub_u32_e32 v28, 29, v42
	v_and_b32_e32 v40, 7, v40
	v_cmp_gt_u32_e32 vcc, 8, v23
	v_cndmask_b32_e32 v23, v39, v28, vcc
	v_cndmask_b32_e32 v28, v30, v40, vcc
	v_lshlrev_b32_e32 v30, 16, v26
	v_lshlrev_b32_e32 v28, 20, v28
	v_and_b32_e32 v30, 0x80000000, v30
	v_lshl_add_u32 v23, v23, 23, v33
	v_or3_b32 v39, v30, v23, v28
.LBB673_97:                             ;   in Loop: Header=BB673_15 Depth=1
	s_or_b64 exec, exec, s[12:13]
.LBB673_98:                             ;   in Loop: Header=BB673_15 Depth=1
	s_or_b64 exec, exec, s[10:11]
.LBB673_99:                             ;   in Loop: Header=BB673_15 Depth=1
	s_or_b64 exec, exec, s[4:5]
	v_lshrrev_b32_e32 v28, 16, v26
	v_cmp_ne_u16_sdwa s[10:11], v28, v29 src0_sel:BYTE_0 src1_sel:DWORD
	s_and_saveexec_b64 s[4:5], s[10:11]
	s_cbranch_execz .LBB673_105
; %bb.100:                              ;   in Loop: Header=BB673_15 Depth=1
	v_cmp_ne_u16_sdwa s[12:13], v28, s15 src0_sel:BYTE_0 src1_sel:DWORD
	v_bfrev_b32_e32 v38, 1
	s_and_saveexec_b64 s[10:11], s[12:13]
	s_cbranch_execz .LBB673_104
; %bb.101:                              ;   in Loop: Header=BB673_15 Depth=1
	v_bfe_u32 v23, v26, 16, 7
	v_cmp_ne_u32_e32 vcc, s16, v23
	v_mov_b32_e32 v38, 0x7f800001
	s_and_saveexec_b64 s[12:13], vcc
	s_cbranch_execz .LBB673_103
; %bb.102:                              ;   in Loop: Header=BB673_15 Depth=1
	v_and_b32_e32 v30, 7, v28
	v_ffbh_u32_e32 v40, v30
	v_min_u32_e32 v42, 32, v40
	v_subrev_u32_e32 v40, 28, v42
	v_lshlrev_b64 v[40:41], v40, v[28:29]
	v_lshrrev_b32_e32 v38, 3, v23
	v_sub_u32_e32 v41, 29, v42
	v_and_b32_e32 v40, 7, v40
	v_cmp_gt_u32_e32 vcc, 8, v23
	v_cndmask_b32_e32 v23, v38, v41, vcc
	v_cndmask_b32_e32 v30, v30, v40, vcc
	v_lshlrev_b32_e32 v28, 24, v28
	v_lshlrev_b32_e32 v30, 20, v30
	v_and_b32_e32 v28, 0x80000000, v28
	v_lshl_add_u32 v23, v23, 23, v33
	v_or3_b32 v38, v28, v23, v30
.LBB673_103:                            ;   in Loop: Header=BB673_15 Depth=1
	s_or_b64 exec, exec, s[12:13]
.LBB673_104:                            ;   in Loop: Header=BB673_15 Depth=1
	s_or_b64 exec, exec, s[10:11]
.LBB673_105:                            ;   in Loop: Header=BB673_15 Depth=1
	s_or_b64 exec, exec, s[4:5]
	v_cmp_lt_u32_e32 vcc, s17, v26
	v_mov_b32_e32 v23, 0
	v_mov_b32_e32 v40, 0
	s_and_saveexec_b64 s[4:5], vcc
	s_cbranch_execz .LBB673_111
; %bb.106:                              ;   in Loop: Header=BB673_15 Depth=1
	v_lshrrev_b32_e32 v28, 24, v26
	v_cmp_ne_u32_e32 vcc, s15, v28
	v_bfrev_b32_e32 v40, 1
	s_and_saveexec_b64 s[10:11], vcc
	s_cbranch_execz .LBB673_110
; %bb.107:                              ;   in Loop: Header=BB673_15 Depth=1
	v_bfe_u32 v26, v26, 24, 7
	v_cmp_ne_u32_e32 vcc, s16, v26
	v_mov_b32_e32 v40, 0x7f800001
	s_and_saveexec_b64 s[12:13], vcc
	s_cbranch_execz .LBB673_109
; %bb.108:                              ;   in Loop: Header=BB673_15 Depth=1
	v_and_b32_e32 v30, 7, v28
	v_ffbh_u32_e32 v40, v30
	v_min_u32_e32 v43, 32, v40
	v_subrev_u32_e32 v40, 28, v43
	v_lshlrev_b64 v[40:41], v40, v[28:29]
	v_lshrrev_b32_e32 v42, 3, v26
	v_sub_u32_e32 v41, 29, v43
	v_and_b32_e32 v40, 7, v40
	v_cmp_gt_u32_e32 vcc, 8, v26
	v_cndmask_b32_e32 v26, v42, v41, vcc
	v_cndmask_b32_e32 v30, v30, v40, vcc
	v_lshlrev_b32_e32 v28, 24, v28
	v_lshlrev_b32_e32 v30, 20, v30
	v_and_b32_e32 v28, 0x80000000, v28
	v_lshl_add_u32 v26, v26, 23, v33
	v_or3_b32 v40, v28, v26, v30
.LBB673_109:                            ;   in Loop: Header=BB673_15 Depth=1
	s_or_b64 exec, exec, s[12:13]
.LBB673_110:                            ;   in Loop: Header=BB673_15 Depth=1
	s_or_b64 exec, exec, s[10:11]
.LBB673_111:                            ;   in Loop: Header=BB673_15 Depth=1
	s_or_b64 exec, exec, s[4:5]
	v_cvt_pkrtz_f16_f32 v42, v32, v35
	buffer_load_dword v32, v27, s[0:3], 0 offen offset:16
	buffer_load_dword v30, v27, s[0:3], 0 offen offset:20
	buffer_load_dword v28, v27, s[0:3], 0 offen offset:24
	buffer_load_dword v26, v27, s[0:3], 0 offen offset:28
	v_cvt_pkrtz_f16_f32 v43, v34, v37
	v_cvt_pkrtz_f16_f32 v34, v36, v39
	;; [unrolled: 1-line block ×3, first 2 shown]
	v_mfma_f32_16x16x16f16 v[18:21], v[42:43], v[6:7], v[18:21]
	s_waitcnt vmcnt(3)
	v_cmp_ne_u16_sdwa s[10:11], v32, v29 src0_sel:BYTE_0 src1_sel:DWORD
	v_mfma_f32_16x16x16f16 v[18:21], v[34:35], v[8:9], v[18:21]
	s_and_saveexec_b64 s[4:5], s[10:11]
	s_cbranch_execz .LBB673_117
; %bb.112:                              ;   in Loop: Header=BB673_15 Depth=1
	v_cmp_ne_u16_sdwa s[12:13], v32, s15 src0_sel:BYTE_0 src1_sel:DWORD
	v_bfrev_b32_e32 v23, 1
	s_and_saveexec_b64 s[10:11], s[12:13]
	s_cbranch_execz .LBB673_116
; %bb.113:                              ;   in Loop: Header=BB673_15 Depth=1
	v_and_b32_e32 v34, 0x7f, v32
	v_cmp_ne_u32_e32 vcc, s16, v34
	v_mov_b32_e32 v23, 0x7f800001
	s_and_saveexec_b64 s[12:13], vcc
	s_cbranch_execz .LBB673_115
; %bb.114:                              ;   in Loop: Header=BB673_15 Depth=1
	v_and_b32_e32 v23, 7, v32
	v_ffbh_u32_e32 v36, v23
	v_min_u32_e32 v38, 32, v36
	v_subrev_u32_e32 v36, 28, v38
	v_lshlrev_b64 v[36:37], v36, v[32:33]
	v_lshrrev_b32_e32 v35, 3, v34
	v_sub_u32_e32 v37, 29, v38
	v_and_b32_e32 v36, 7, v36
	v_cmp_gt_u32_e32 vcc, 8, v34
	v_cndmask_b32_e32 v34, v35, v37, vcc
	v_cndmask_b32_e32 v23, v23, v36, vcc
	v_lshlrev_b32_e32 v35, 24, v32
	v_lshlrev_b32_e32 v23, 20, v23
	v_and_b32_e32 v35, 0x80000000, v35
	v_lshl_add_u32 v34, v34, 23, v33
	v_or3_b32 v23, v35, v34, v23
.LBB673_115:                            ;   in Loop: Header=BB673_15 Depth=1
	s_or_b64 exec, exec, s[12:13]
.LBB673_116:                            ;   in Loop: Header=BB673_15 Depth=1
	s_or_b64 exec, exec, s[10:11]
.LBB673_117:                            ;   in Loop: Header=BB673_15 Depth=1
	s_or_b64 exec, exec, s[4:5]
	v_lshrrev_b16_e32 v34, 8, v32
	v_cmp_ne_u16_e32 vcc, 0, v34
	v_mov_b32_e32 v35, 0
	v_mov_b32_e32 v36, 0
	s_and_saveexec_b64 s[4:5], vcc
	s_cbranch_execz .LBB673_123
; %bb.118:                              ;   in Loop: Header=BB673_15 Depth=1
	v_cmp_ne_u16_e32 vcc, s15, v34
	v_bfrev_b32_e32 v36, 1
	s_and_saveexec_b64 s[10:11], vcc
	s_cbranch_execz .LBB673_122
; %bb.119:                              ;   in Loop: Header=BB673_15 Depth=1
	v_and_b32_e32 v37, 0x7f, v34
	v_cmp_ne_u32_e32 vcc, s16, v37
	v_mov_b32_e32 v36, 0x7f800001
	s_and_saveexec_b64 s[12:13], vcc
	s_cbranch_execz .LBB673_121
; %bb.120:                              ;   in Loop: Header=BB673_15 Depth=1
	v_and_b32_e32 v36, 7, v34
	v_ffbh_u32_e32 v38, v36
	v_min_u32_e32 v41, 32, v38
	v_subrev_u32_e32 v38, 28, v41
	v_lshlrev_b64 v[38:39], v38, v[34:35]
	v_lshrrev_b32_e32 v40, 3, v37
	v_sub_u32_e32 v34, 29, v41
	v_and_b32_e32 v38, 7, v38
	v_cmp_gt_u32_e32 vcc, 8, v37
	v_cndmask_b32_e32 v34, v40, v34, vcc
	v_cndmask_b32_e32 v36, v36, v38, vcc
	v_lshlrev_b32_e32 v37, 16, v32
	v_lshlrev_b32_e32 v36, 20, v36
	v_and_b32_e32 v37, 0x80000000, v37
	v_lshl_add_u32 v34, v34, 23, v33
	v_or3_b32 v36, v37, v34, v36
.LBB673_121:                            ;   in Loop: Header=BB673_15 Depth=1
	s_or_b64 exec, exec, s[12:13]
.LBB673_122:                            ;   in Loop: Header=BB673_15 Depth=1
	s_or_b64 exec, exec, s[10:11]
.LBB673_123:                            ;   in Loop: Header=BB673_15 Depth=1
	s_or_b64 exec, exec, s[4:5]
	v_lshrrev_b32_e32 v34, 16, v32
	v_cmp_ne_u16_sdwa s[10:11], v34, v29 src0_sel:BYTE_0 src1_sel:DWORD
	s_and_saveexec_b64 s[4:5], s[10:11]
	s_cbranch_execz .LBB673_129
; %bb.124:                              ;   in Loop: Header=BB673_15 Depth=1
	v_cmp_ne_u16_sdwa s[12:13], v34, s15 src0_sel:BYTE_0 src1_sel:DWORD
	v_bfrev_b32_e32 v35, 1
	s_and_saveexec_b64 s[10:11], s[12:13]
	s_cbranch_execz .LBB673_128
; %bb.125:                              ;   in Loop: Header=BB673_15 Depth=1
	v_bfe_u32 v37, v32, 16, 7
	v_cmp_ne_u32_e32 vcc, s16, v37
	v_mov_b32_e32 v35, 0x7f800001
	s_and_saveexec_b64 s[12:13], vcc
	s_cbranch_execz .LBB673_127
; %bb.126:                              ;   in Loop: Header=BB673_15 Depth=1
	v_and_b32_e32 v35, 7, v34
	v_ffbh_u32_e32 v38, v35
	v_min_u32_e32 v41, 32, v38
	v_subrev_u32_e32 v38, 28, v41
	v_lshlrev_b64 v[38:39], v38, v[34:35]
	v_lshrrev_b32_e32 v40, 3, v37
	v_sub_u32_e32 v39, 29, v41
	v_and_b32_e32 v38, 7, v38
	v_cmp_gt_u32_e32 vcc, 8, v37
	v_cndmask_b32_e32 v37, v40, v39, vcc
	v_cndmask_b32_e32 v35, v35, v38, vcc
	v_lshlrev_b32_e32 v34, 24, v34
	v_lshlrev_b32_e32 v35, 20, v35
	v_and_b32_e32 v34, 0x80000000, v34
	v_lshl_add_u32 v37, v37, 23, v33
	v_or3_b32 v35, v34, v37, v35
.LBB673_127:                            ;   in Loop: Header=BB673_15 Depth=1
	s_or_b64 exec, exec, s[12:13]
.LBB673_128:                            ;   in Loop: Header=BB673_15 Depth=1
	s_or_b64 exec, exec, s[10:11]
.LBB673_129:                            ;   in Loop: Header=BB673_15 Depth=1
	s_or_b64 exec, exec, s[4:5]
	v_cmp_lt_u32_e32 vcc, s17, v32
	v_mov_b32_e32 v37, 0
	v_mov_b32_e32 v38, 0
	s_and_saveexec_b64 s[4:5], vcc
	s_cbranch_execz .LBB673_135
; %bb.130:                              ;   in Loop: Header=BB673_15 Depth=1
	v_lshrrev_b32_e32 v34, 24, v32
	v_cmp_ne_u32_e32 vcc, s15, v34
	v_bfrev_b32_e32 v38, 1
	s_and_saveexec_b64 s[10:11], vcc
	s_cbranch_execz .LBB673_134
; %bb.131:                              ;   in Loop: Header=BB673_15 Depth=1
	v_bfe_u32 v32, v32, 24, 7
	v_cmp_ne_u32_e32 vcc, s16, v32
	v_mov_b32_e32 v38, 0x7f800001
	s_and_saveexec_b64 s[12:13], vcc
	s_cbranch_execz .LBB673_133
; %bb.132:                              ;   in Loop: Header=BB673_15 Depth=1
	v_and_b32_e32 v40, 7, v34
	v_ffbh_u32_e32 v38, v40
	v_min_u32_e32 v42, 32, v38
	v_subrev_u32_e32 v38, 28, v42
	v_lshlrev_b64 v[38:39], v38, v[34:35]
	v_lshrrev_b32_e32 v41, 3, v32
	v_sub_u32_e32 v39, 29, v42
	v_and_b32_e32 v38, 7, v38
	v_cmp_gt_u32_e32 vcc, 8, v32
	v_cndmask_b32_e32 v32, v41, v39, vcc
	v_cndmask_b32_e32 v38, v40, v38, vcc
	v_lshlrev_b32_e32 v34, 24, v34
	v_lshlrev_b32_e32 v38, 20, v38
	v_and_b32_e32 v34, 0x80000000, v34
	v_lshl_add_u32 v32, v32, 23, v33
	v_or3_b32 v38, v34, v32, v38
.LBB673_133:                            ;   in Loop: Header=BB673_15 Depth=1
	s_or_b64 exec, exec, s[12:13]
.LBB673_134:                            ;   in Loop: Header=BB673_15 Depth=1
	s_or_b64 exec, exec, s[10:11]
.LBB673_135:                            ;   in Loop: Header=BB673_15 Depth=1
	s_or_b64 exec, exec, s[4:5]
	s_waitcnt vmcnt(2)
	v_cmp_ne_u16_sdwa s[10:11], v30, v29 src0_sel:BYTE_0 src1_sel:DWORD
	s_and_saveexec_b64 s[4:5], s[10:11]
	s_cbranch_execz .LBB673_141
; %bb.136:                              ;   in Loop: Header=BB673_15 Depth=1
	v_cmp_ne_u16_sdwa s[12:13], v30, s15 src0_sel:BYTE_0 src1_sel:DWORD
	v_bfrev_b32_e32 v37, 1
	s_and_saveexec_b64 s[10:11], s[12:13]
	s_cbranch_execz .LBB673_140
; %bb.137:                              ;   in Loop: Header=BB673_15 Depth=1
	v_and_b32_e32 v32, 0x7f, v30
	v_cmp_ne_u32_e32 vcc, s16, v32
	v_mov_b32_e32 v37, 0x7f800001
	s_and_saveexec_b64 s[12:13], vcc
	s_cbranch_execz .LBB673_139
; %bb.138:                              ;   in Loop: Header=BB673_15 Depth=1
	v_and_b32_e32 v34, 7, v30
	v_ffbh_u32_e32 v39, v34
	v_min_u32_e32 v39, 32, v39
	v_subrev_u32_e32 v40, 28, v39
	v_lshlrev_b64 v[40:41], v40, v[30:31]
	v_lshrrev_b32_e32 v37, 3, v32
	v_sub_u32_e32 v39, 29, v39
	v_and_b32_e32 v40, 7, v40
	v_cmp_gt_u32_e32 vcc, 8, v32
	v_cndmask_b32_e32 v32, v37, v39, vcc
	v_cndmask_b32_e32 v34, v34, v40, vcc
	v_lshlrev_b32_e32 v37, 24, v30
	v_lshlrev_b32_e32 v34, 20, v34
	v_and_b32_e32 v37, 0x80000000, v37
	v_lshl_add_u32 v32, v32, 23, v33
	v_or3_b32 v37, v37, v32, v34
.LBB673_139:                            ;   in Loop: Header=BB673_15 Depth=1
	s_or_b64 exec, exec, s[12:13]
.LBB673_140:                            ;   in Loop: Header=BB673_15 Depth=1
	s_or_b64 exec, exec, s[10:11]
.LBB673_141:                            ;   in Loop: Header=BB673_15 Depth=1
	s_or_b64 exec, exec, s[4:5]
	v_lshrrev_b16_e32 v32, 8, v30
	v_cmp_ne_u16_e32 vcc, 0, v32
	v_mov_b32_e32 v39, 0
	v_mov_b32_e32 v40, 0
	s_and_saveexec_b64 s[4:5], vcc
	s_cbranch_execz .LBB673_147
; %bb.142:                              ;   in Loop: Header=BB673_15 Depth=1
	v_cmp_ne_u16_e32 vcc, s15, v32
	v_bfrev_b32_e32 v40, 1
	s_and_saveexec_b64 s[10:11], vcc
	s_cbranch_execz .LBB673_146
; %bb.143:                              ;   in Loop: Header=BB673_15 Depth=1
	v_and_b32_e32 v34, 0x7f, v32
	v_cmp_ne_u32_e32 vcc, s16, v34
	v_mov_b32_e32 v40, 0x7f800001
	s_and_saveexec_b64 s[12:13], vcc
	s_cbranch_execz .LBB673_145
; %bb.144:                              ;   in Loop: Header=BB673_15 Depth=1
	v_and_b32_e32 v42, 7, v32
	v_ffbh_u32_e32 v40, v42
	v_min_u32_e32 v44, 32, v40
	v_subrev_u32_e32 v40, 28, v44
	v_lshlrev_b64 v[40:41], v40, v[32:33]
	v_lshrrev_b32_e32 v43, 3, v34
	v_sub_u32_e32 v32, 29, v44
	v_and_b32_e32 v40, 7, v40
	v_cmp_gt_u32_e32 vcc, 8, v34
	v_cndmask_b32_e32 v32, v43, v32, vcc
	v_cndmask_b32_e32 v34, v42, v40, vcc
	v_lshlrev_b32_e32 v40, 16, v30
	v_lshlrev_b32_e32 v34, 20, v34
	v_and_b32_e32 v40, 0x80000000, v40
	v_lshl_add_u32 v32, v32, 23, v33
	v_or3_b32 v40, v40, v32, v34
.LBB673_145:                            ;   in Loop: Header=BB673_15 Depth=1
	s_or_b64 exec, exec, s[12:13]
.LBB673_146:                            ;   in Loop: Header=BB673_15 Depth=1
	s_or_b64 exec, exec, s[10:11]
.LBB673_147:                            ;   in Loop: Header=BB673_15 Depth=1
	s_or_b64 exec, exec, s[4:5]
	v_lshrrev_b32_e32 v32, 16, v30
	v_cmp_ne_u16_sdwa s[10:11], v32, v29 src0_sel:BYTE_0 src1_sel:DWORD
	s_and_saveexec_b64 s[4:5], s[10:11]
	s_cbranch_execz .LBB673_153
; %bb.148:                              ;   in Loop: Header=BB673_15 Depth=1
	v_cmp_ne_u16_sdwa s[12:13], v32, s15 src0_sel:BYTE_0 src1_sel:DWORD
	v_bfrev_b32_e32 v39, 1
	s_and_saveexec_b64 s[10:11], s[12:13]
	s_cbranch_execz .LBB673_152
; %bb.149:                              ;   in Loop: Header=BB673_15 Depth=1
	v_bfe_u32 v34, v30, 16, 7
	v_cmp_ne_u32_e32 vcc, s16, v34
	v_mov_b32_e32 v39, 0x7f800001
	s_and_saveexec_b64 s[12:13], vcc
	s_cbranch_execz .LBB673_151
; %bb.150:                              ;   in Loop: Header=BB673_15 Depth=1
	v_and_b32_e32 v39, 7, v32
	v_ffbh_u32_e32 v42, v39
	v_min_u32_e32 v44, 32, v42
	v_subrev_u32_e32 v42, 28, v44
	v_lshlrev_b64 v[42:43], v42, v[32:33]
	v_lshrrev_b32_e32 v41, 3, v34
	v_sub_u32_e32 v43, 29, v44
	v_and_b32_e32 v42, 7, v42
	v_cmp_gt_u32_e32 vcc, 8, v34
	v_cndmask_b32_e32 v34, v41, v43, vcc
	v_cndmask_b32_e32 v39, v39, v42, vcc
	v_lshlrev_b32_e32 v32, 24, v32
	v_lshlrev_b32_e32 v39, 20, v39
	v_and_b32_e32 v32, 0x80000000, v32
	v_lshl_add_u32 v34, v34, 23, v33
	v_or3_b32 v39, v32, v34, v39
.LBB673_151:                            ;   in Loop: Header=BB673_15 Depth=1
	s_or_b64 exec, exec, s[12:13]
.LBB673_152:                            ;   in Loop: Header=BB673_15 Depth=1
	s_or_b64 exec, exec, s[10:11]
.LBB673_153:                            ;   in Loop: Header=BB673_15 Depth=1
	s_or_b64 exec, exec, s[4:5]
	v_cmp_lt_u32_e32 vcc, s17, v30
	v_mov_b32_e32 v34, 0
	v_mov_b32_e32 v41, 0
	s_and_saveexec_b64 s[4:5], vcc
	s_cbranch_execz .LBB673_159
; %bb.154:                              ;   in Loop: Header=BB673_15 Depth=1
	v_lshrrev_b32_e32 v32, 24, v30
	v_cmp_ne_u32_e32 vcc, s15, v32
	v_bfrev_b32_e32 v41, 1
	s_and_saveexec_b64 s[10:11], vcc
	s_cbranch_execz .LBB673_158
; %bb.155:                              ;   in Loop: Header=BB673_15 Depth=1
	v_bfe_u32 v30, v30, 24, 7
	v_cmp_ne_u32_e32 vcc, s16, v30
	v_mov_b32_e32 v41, 0x7f800001
	s_and_saveexec_b64 s[12:13], vcc
	s_cbranch_execz .LBB673_157
; %bb.156:                              ;   in Loop: Header=BB673_15 Depth=1
	v_and_b32_e32 v41, 7, v32
	v_ffbh_u32_e32 v42, v41
	v_min_u32_e32 v45, 32, v42
	v_subrev_u32_e32 v42, 28, v45
	v_lshlrev_b64 v[42:43], v42, v[32:33]
	v_lshrrev_b32_e32 v44, 3, v30
	v_sub_u32_e32 v43, 29, v45
	v_and_b32_e32 v42, 7, v42
	v_cmp_gt_u32_e32 vcc, 8, v30
	v_cndmask_b32_e32 v30, v44, v43, vcc
	v_cndmask_b32_e32 v41, v41, v42, vcc
	v_lshlrev_b32_e32 v32, 24, v32
	v_lshlrev_b32_e32 v41, 20, v41
	v_and_b32_e32 v32, 0x80000000, v32
	v_lshl_add_u32 v30, v30, 23, v33
	v_or3_b32 v41, v32, v30, v41
.LBB673_157:                            ;   in Loop: Header=BB673_15 Depth=1
	s_or_b64 exec, exec, s[12:13]
.LBB673_158:                            ;   in Loop: Header=BB673_15 Depth=1
	s_or_b64 exec, exec, s[10:11]
.LBB673_159:                            ;   in Loop: Header=BB673_15 Depth=1
	s_or_b64 exec, exec, s[4:5]
	v_cvt_pkrtz_f16_f32 v42, v23, v36
	v_cvt_pkrtz_f16_f32 v43, v35, v38
	v_cvt_pkrtz_f16_f32 v36, v37, v40
	v_cvt_pkrtz_f16_f32 v37, v39, v41
	s_waitcnt vmcnt(1)
	v_cmp_ne_u16_sdwa s[10:11], v28, v29 src0_sel:BYTE_0 src1_sel:DWORD
	v_mfma_f32_16x16x16f16 v[18:21], v[42:43], v[10:11], v[18:21]
	v_mfma_f32_16x16x16f16 v[18:21], v[36:37], v[12:13], v[18:21]
	s_and_saveexec_b64 s[4:5], s[10:11]
	s_cbranch_execz .LBB673_165
; %bb.160:                              ;   in Loop: Header=BB673_15 Depth=1
	v_cmp_ne_u16_sdwa s[12:13], v28, s15 src0_sel:BYTE_0 src1_sel:DWORD
	v_bfrev_b32_e32 v34, 1
	s_and_saveexec_b64 s[10:11], s[12:13]
	s_cbranch_execz .LBB673_164
; %bb.161:                              ;   in Loop: Header=BB673_15 Depth=1
	v_and_b32_e32 v23, 0x7f, v28
	v_cmp_ne_u32_e32 vcc, s16, v23
	v_mov_b32_e32 v34, 0x7f800001
	s_and_saveexec_b64 s[12:13], vcc
	s_cbranch_execz .LBB673_163
; %bb.162:                              ;   in Loop: Header=BB673_15 Depth=1
	v_and_b32_e32 v30, 7, v28
	v_ffbh_u32_e32 v34, v30
	v_min_u32_e32 v36, 32, v34
	v_subrev_u32_e32 v34, 28, v36
	v_lshlrev_b64 v[34:35], v34, v[28:29]
	v_lshrrev_b32_e32 v32, 3, v23
	v_sub_u32_e32 v35, 29, v36
	v_and_b32_e32 v34, 7, v34
	v_cmp_gt_u32_e32 vcc, 8, v23
	v_cndmask_b32_e32 v23, v32, v35, vcc
	v_cndmask_b32_e32 v30, v30, v34, vcc
	v_lshlrev_b32_e32 v32, 24, v28
	v_lshlrev_b32_e32 v30, 20, v30
	v_and_b32_e32 v32, 0x80000000, v32
	v_lshl_add_u32 v23, v23, 23, v33
	v_or3_b32 v34, v32, v23, v30
.LBB673_163:                            ;   in Loop: Header=BB673_15 Depth=1
	s_or_b64 exec, exec, s[12:13]
.LBB673_164:                            ;   in Loop: Header=BB673_15 Depth=1
	s_or_b64 exec, exec, s[10:11]
.LBB673_165:                            ;   in Loop: Header=BB673_15 Depth=1
	s_or_b64 exec, exec, s[4:5]
	v_lshrrev_b16_e32 v30, 8, v28
	v_cmp_ne_u16_e32 vcc, 0, v30
	v_mov_b32_e32 v23, 0
	v_mov_b32_e32 v32, 0
	s_and_saveexec_b64 s[4:5], vcc
	s_cbranch_execz .LBB673_171
; %bb.166:                              ;   in Loop: Header=BB673_15 Depth=1
	v_cmp_ne_u16_e32 vcc, s15, v30
	v_bfrev_b32_e32 v32, 1
	s_and_saveexec_b64 s[10:11], vcc
	s_cbranch_execz .LBB673_170
; %bb.167:                              ;   in Loop: Header=BB673_15 Depth=1
	v_and_b32_e32 v35, 0x7f, v30
	v_cmp_ne_u32_e32 vcc, s16, v35
	v_mov_b32_e32 v32, 0x7f800001
	s_and_saveexec_b64 s[12:13], vcc
	s_cbranch_execz .LBB673_169
; %bb.168:                              ;   in Loop: Header=BB673_15 Depth=1
	v_and_b32_e32 v32, 7, v30
	v_ffbh_u32_e32 v36, v32
	v_min_u32_e32 v39, 32, v36
	v_subrev_u32_e32 v36, 28, v39
	v_lshlrev_b64 v[36:37], v36, v[30:31]
	v_lshrrev_b32_e32 v38, 3, v35
	v_sub_u32_e32 v30, 29, v39
	v_and_b32_e32 v36, 7, v36
	v_cmp_gt_u32_e32 vcc, 8, v35
	v_cndmask_b32_e32 v30, v38, v30, vcc
	v_cndmask_b32_e32 v32, v32, v36, vcc
	v_lshlrev_b32_e32 v35, 16, v28
	v_lshlrev_b32_e32 v32, 20, v32
	v_and_b32_e32 v35, 0x80000000, v35
	v_lshl_add_u32 v30, v30, 23, v33
	v_or3_b32 v32, v35, v30, v32
.LBB673_169:                            ;   in Loop: Header=BB673_15 Depth=1
	s_or_b64 exec, exec, s[12:13]
.LBB673_170:                            ;   in Loop: Header=BB673_15 Depth=1
	s_or_b64 exec, exec, s[10:11]
.LBB673_171:                            ;   in Loop: Header=BB673_15 Depth=1
	s_or_b64 exec, exec, s[4:5]
	v_lshrrev_b32_e32 v30, 16, v28
	v_cmp_ne_u16_sdwa s[10:11], v30, v29 src0_sel:BYTE_0 src1_sel:DWORD
	s_and_saveexec_b64 s[4:5], s[10:11]
	s_cbranch_execz .LBB673_177
; %bb.172:                              ;   in Loop: Header=BB673_15 Depth=1
	v_cmp_ne_u16_sdwa s[12:13], v30, s15 src0_sel:BYTE_0 src1_sel:DWORD
	v_bfrev_b32_e32 v23, 1
	s_and_saveexec_b64 s[10:11], s[12:13]
	s_cbranch_execz .LBB673_176
; %bb.173:                              ;   in Loop: Header=BB673_15 Depth=1
	v_bfe_u32 v35, v28, 16, 7
	v_cmp_ne_u32_e32 vcc, s16, v35
	v_mov_b32_e32 v23, 0x7f800001
	s_and_saveexec_b64 s[12:13], vcc
	s_cbranch_execz .LBB673_175
; %bb.174:                              ;   in Loop: Header=BB673_15 Depth=1
	v_and_b32_e32 v23, 7, v30
	v_ffbh_u32_e32 v36, v23
	v_min_u32_e32 v39, 32, v36
	v_subrev_u32_e32 v36, 28, v39
	v_lshlrev_b64 v[36:37], v36, v[30:31]
	v_lshrrev_b32_e32 v38, 3, v35
	v_sub_u32_e32 v37, 29, v39
	v_and_b32_e32 v36, 7, v36
	v_cmp_gt_u32_e32 vcc, 8, v35
	v_cndmask_b32_e32 v35, v38, v37, vcc
	v_cndmask_b32_e32 v23, v23, v36, vcc
	v_lshlrev_b32_e32 v30, 24, v30
	v_lshlrev_b32_e32 v23, 20, v23
	v_and_b32_e32 v30, 0x80000000, v30
	v_lshl_add_u32 v35, v35, 23, v33
	v_or3_b32 v23, v30, v35, v23
.LBB673_175:                            ;   in Loop: Header=BB673_15 Depth=1
	s_or_b64 exec, exec, s[12:13]
.LBB673_176:                            ;   in Loop: Header=BB673_15 Depth=1
	s_or_b64 exec, exec, s[10:11]
.LBB673_177:                            ;   in Loop: Header=BB673_15 Depth=1
	s_or_b64 exec, exec, s[4:5]
	v_cmp_lt_u32_e32 vcc, s17, v28
	v_mov_b32_e32 v35, 0
	v_mov_b32_e32 v36, 0
	s_and_saveexec_b64 s[4:5], vcc
	s_cbranch_execz .LBB673_183
; %bb.178:                              ;   in Loop: Header=BB673_15 Depth=1
	v_lshrrev_b32_e32 v30, 24, v28
	v_cmp_ne_u32_e32 vcc, s15, v30
	v_bfrev_b32_e32 v36, 1
	s_and_saveexec_b64 s[10:11], vcc
	s_cbranch_execz .LBB673_182
; %bb.179:                              ;   in Loop: Header=BB673_15 Depth=1
	v_bfe_u32 v28, v28, 24, 7
	v_cmp_ne_u32_e32 vcc, s16, v28
	v_mov_b32_e32 v36, 0x7f800001
	s_and_saveexec_b64 s[12:13], vcc
	s_cbranch_execz .LBB673_181
; %bb.180:                              ;   in Loop: Header=BB673_15 Depth=1
	v_and_b32_e32 v38, 7, v30
	v_ffbh_u32_e32 v36, v38
	v_min_u32_e32 v40, 32, v36
	v_subrev_u32_e32 v36, 28, v40
	v_lshlrev_b64 v[36:37], v36, v[30:31]
	v_lshrrev_b32_e32 v39, 3, v28
	v_sub_u32_e32 v37, 29, v40
	v_and_b32_e32 v36, 7, v36
	v_cmp_gt_u32_e32 vcc, 8, v28
	v_cndmask_b32_e32 v28, v39, v37, vcc
	v_cndmask_b32_e32 v36, v38, v36, vcc
	v_lshlrev_b32_e32 v30, 24, v30
	v_lshlrev_b32_e32 v36, 20, v36
	v_and_b32_e32 v30, 0x80000000, v30
	v_lshl_add_u32 v28, v28, 23, v33
	v_or3_b32 v36, v30, v28, v36
.LBB673_181:                            ;   in Loop: Header=BB673_15 Depth=1
	s_or_b64 exec, exec, s[12:13]
.LBB673_182:                            ;   in Loop: Header=BB673_15 Depth=1
	s_or_b64 exec, exec, s[10:11]
.LBB673_183:                            ;   in Loop: Header=BB673_15 Depth=1
	s_or_b64 exec, exec, s[4:5]
	s_waitcnt vmcnt(0)
	v_cmp_ne_u16_sdwa s[10:11], v26, v29 src0_sel:BYTE_0 src1_sel:DWORD
	s_and_saveexec_b64 s[4:5], s[10:11]
	s_cbranch_execz .LBB673_189
; %bb.184:                              ;   in Loop: Header=BB673_15 Depth=1
	v_cmp_ne_u16_sdwa s[12:13], v26, s15 src0_sel:BYTE_0 src1_sel:DWORD
	v_bfrev_b32_e32 v35, 1
	s_and_saveexec_b64 s[10:11], s[12:13]
	s_cbranch_execz .LBB673_188
; %bb.185:                              ;   in Loop: Header=BB673_15 Depth=1
	v_and_b32_e32 v28, 0x7f, v26
	v_cmp_ne_u32_e32 vcc, s16, v28
	v_mov_b32_e32 v35, 0x7f800001
	s_and_saveexec_b64 s[12:13], vcc
	s_cbranch_execz .LBB673_187
; %bb.186:                              ;   in Loop: Header=BB673_15 Depth=1
	v_and_b32_e32 v30, 7, v26
	v_ffbh_u32_e32 v37, v30
	v_min_u32_e32 v37, 32, v37
	v_subrev_u32_e32 v38, 28, v37
	v_lshlrev_b64 v[38:39], v38, v[26:27]
	v_lshrrev_b32_e32 v35, 3, v28
	v_sub_u32_e32 v37, 29, v37
	v_and_b32_e32 v38, 7, v38
	v_cmp_gt_u32_e32 vcc, 8, v28
	v_cndmask_b32_e32 v28, v35, v37, vcc
	v_cndmask_b32_e32 v30, v30, v38, vcc
	v_lshlrev_b32_e32 v35, 24, v26
	v_lshlrev_b32_e32 v30, 20, v30
	v_and_b32_e32 v35, 0x80000000, v35
	v_lshl_add_u32 v28, v28, 23, v33
	v_or3_b32 v35, v35, v28, v30
.LBB673_187:                            ;   in Loop: Header=BB673_15 Depth=1
	s_or_b64 exec, exec, s[12:13]
.LBB673_188:                            ;   in Loop: Header=BB673_15 Depth=1
	s_or_b64 exec, exec, s[10:11]
.LBB673_189:                            ;   in Loop: Header=BB673_15 Depth=1
	s_or_b64 exec, exec, s[4:5]
	v_lshrrev_b16_e32 v28, 8, v26
	v_cmp_ne_u16_e32 vcc, 0, v28
	v_mov_b32_e32 v30, 0
	v_mov_b32_e32 v37, 0
	s_and_saveexec_b64 s[4:5], vcc
	s_cbranch_execz .LBB673_195
; %bb.190:                              ;   in Loop: Header=BB673_15 Depth=1
	v_cmp_ne_u16_e32 vcc, s15, v28
	v_bfrev_b32_e32 v37, 1
	s_and_saveexec_b64 s[10:11], vcc
	s_cbranch_execz .LBB673_194
; %bb.191:                              ;   in Loop: Header=BB673_15 Depth=1
	v_and_b32_e32 v38, 0x7f, v28
	v_cmp_ne_u32_e32 vcc, s16, v38
	v_mov_b32_e32 v37, 0x7f800001
	s_and_saveexec_b64 s[12:13], vcc
	s_cbranch_execz .LBB673_193
; %bb.192:                              ;   in Loop: Header=BB673_15 Depth=1
	v_and_b32_e32 v37, 7, v28
	v_ffbh_u32_e32 v40, v37
	v_min_u32_e32 v42, 32, v40
	v_subrev_u32_e32 v40, 28, v42
	v_lshlrev_b64 v[40:41], v40, v[28:29]
	v_lshrrev_b32_e32 v39, 3, v38
	v_sub_u32_e32 v28, 29, v42
	v_and_b32_e32 v40, 7, v40
	v_cmp_gt_u32_e32 vcc, 8, v38
	v_cndmask_b32_e32 v28, v39, v28, vcc
	v_cndmask_b32_e32 v37, v37, v40, vcc
	v_lshlrev_b32_e32 v38, 16, v26
	v_lshlrev_b32_e32 v37, 20, v37
	v_and_b32_e32 v38, 0x80000000, v38
	v_lshl_add_u32 v28, v28, 23, v33
	v_or3_b32 v37, v38, v28, v37
.LBB673_193:                            ;   in Loop: Header=BB673_15 Depth=1
	s_or_b64 exec, exec, s[12:13]
.LBB673_194:                            ;   in Loop: Header=BB673_15 Depth=1
	s_or_b64 exec, exec, s[10:11]
.LBB673_195:                            ;   in Loop: Header=BB673_15 Depth=1
	s_or_b64 exec, exec, s[4:5]
	v_lshrrev_b32_e32 v28, 16, v26
	v_cmp_ne_u16_sdwa s[10:11], v28, v29 src0_sel:BYTE_0 src1_sel:DWORD
	s_and_saveexec_b64 s[4:5], s[10:11]
	s_cbranch_execz .LBB673_201
; %bb.196:                              ;   in Loop: Header=BB673_15 Depth=1
	v_cmp_ne_u16_sdwa s[12:13], v28, s15 src0_sel:BYTE_0 src1_sel:DWORD
	v_bfrev_b32_e32 v30, 1
	s_and_saveexec_b64 s[10:11], s[12:13]
	s_cbranch_execz .LBB673_200
; %bb.197:                              ;   in Loop: Header=BB673_15 Depth=1
	v_bfe_u32 v38, v26, 16, 7
	v_cmp_ne_u32_e32 vcc, s16, v38
	v_mov_b32_e32 v30, 0x7f800001
	s_and_saveexec_b64 s[12:13], vcc
	s_cbranch_execz .LBB673_199
; %bb.198:                              ;   in Loop: Header=BB673_15 Depth=1
	v_and_b32_e32 v30, 7, v28
	v_ffbh_u32_e32 v40, v30
	v_min_u32_e32 v42, 32, v40
	v_subrev_u32_e32 v40, 28, v42
	v_lshlrev_b64 v[40:41], v40, v[28:29]
	v_lshrrev_b32_e32 v39, 3, v38
	v_sub_u32_e32 v41, 29, v42
	v_and_b32_e32 v40, 7, v40
	v_cmp_gt_u32_e32 vcc, 8, v38
	v_cndmask_b32_e32 v38, v39, v41, vcc
	v_cndmask_b32_e32 v30, v30, v40, vcc
	v_lshlrev_b32_e32 v28, 24, v28
	v_lshlrev_b32_e32 v30, 20, v30
	v_and_b32_e32 v28, 0x80000000, v28
	v_lshl_add_u32 v38, v38, 23, v33
	v_or3_b32 v30, v28, v38, v30
.LBB673_199:                            ;   in Loop: Header=BB673_15 Depth=1
	s_or_b64 exec, exec, s[12:13]
.LBB673_200:                            ;   in Loop: Header=BB673_15 Depth=1
	s_or_b64 exec, exec, s[10:11]
.LBB673_201:                            ;   in Loop: Header=BB673_15 Depth=1
	s_or_b64 exec, exec, s[4:5]
	v_cmp_lt_u32_e32 vcc, s17, v26
	v_mov_b32_e32 v38, 0
	s_and_saveexec_b64 s[4:5], vcc
	s_cbranch_execz .LBB673_14
; %bb.202:                              ;   in Loop: Header=BB673_15 Depth=1
	v_lshrrev_b32_e32 v28, 24, v26
	v_cmp_ne_u32_e32 vcc, s15, v28
	v_bfrev_b32_e32 v38, 1
	s_and_saveexec_b64 s[10:11], vcc
	s_cbranch_execz .LBB673_13
; %bb.203:                              ;   in Loop: Header=BB673_15 Depth=1
	v_bfe_u32 v26, v26, 24, 7
	v_cmp_ne_u32_e32 vcc, s16, v26
	v_mov_b32_e32 v38, 0x7f800001
	s_and_saveexec_b64 s[12:13], vcc
	s_cbranch_execz .LBB673_12
; %bb.204:                              ;   in Loop: Header=BB673_15 Depth=1
	v_and_b32_e32 v40, 7, v28
	v_ffbh_u32_e32 v38, v40
	v_min_u32_e32 v42, 32, v38
	v_subrev_u32_e32 v38, 28, v42
	v_lshlrev_b64 v[38:39], v38, v[28:29]
	v_lshrrev_b32_e32 v41, 3, v26
	v_sub_u32_e32 v39, 29, v42
	v_and_b32_e32 v38, 7, v38
	v_cmp_gt_u32_e32 vcc, 8, v26
	v_cndmask_b32_e32 v26, v41, v39, vcc
	v_cndmask_b32_e32 v38, v40, v38, vcc
	v_lshlrev_b32_e32 v28, 24, v28
	v_lshlrev_b32_e32 v38, 20, v38
	v_and_b32_e32 v28, 0x80000000, v28
	v_lshl_add_u32 v26, v26, 23, v33
	v_or3_b32 v38, v28, v26, v38
	s_branch .LBB673_12
.LBB673_205:
	buffer_load_dword v13, off, s[0:3], 0 offset:256
	buffer_load_dword v14, off, s[0:3], 0 offset:260
	;; [unrolled: 1-line block ×16, first 2 shown]
	v_and_b32_e32 v12, 0xc0, v0
	v_add_u32_e32 v12, s20, v12
	v_lshl_or_b32 v12, v65, 2, v12
	v_or_b32_e32 v23, 1, v12
	v_mov_b32_e32 v19, 0xff7fffff
	v_or_b32_e32 v24, 2, v12
	v_or_b32_e32 v25, 3, v12
	v_cmp_gt_i32_e64 s[28:29], s33, v12
	v_cmp_gt_i32_e64 s[30:31], s33, v23
	s_mov_b32 s48, 0xff7fffff
	v_or_b32_e32 v26, 16, v12
	v_or_b32_e32 v27, 17, v12
	;; [unrolled: 1-line block ×12, first 2 shown]
	v_cmp_gt_i32_e64 s[34:35], s33, v24
	v_cmp_gt_i32_e64 s[36:37], s33, v25
	v_mbcnt_lo_u32_b32 v20, -1, 0
	v_cmp_gt_i32_e64 s[38:39], s33, v26
	v_cmp_gt_i32_e64 s[40:41], s33, v27
	v_mbcnt_hi_u32_b32 v20, -1, v20
	v_cmp_gt_i32_e64 s[22:23], s33, v28
	v_cmp_gt_i32_e64 s[24:25], s33, v29
	v_and_b32_e32 v21, 64, v20
	v_cmp_gt_i32_e64 s[18:19], s33, v30
	v_cmp_gt_i32_e64 s[20:21], s33, v31
	v_xor_b32_e32 v22, 32, v20
	v_add_u32_e32 v21, 64, v21
	v_cmp_gt_i32_e64 s[14:15], s33, v32
	v_cmp_gt_i32_e64 s[16:17], s33, v33
	v_cmp_lt_i32_e32 vcc, v22, v21
	v_cmp_gt_i32_e64 s[10:11], s33, v34
	v_cmp_gt_i32_e64 s[12:13], s33, v35
	v_cndmask_b32_e32 v22, v20, v22, vcc
	v_cmp_gt_i32_e32 vcc, s33, v36
	v_cmp_gt_i32_e64 s[4:5], s33, v37
	v_lshlrev_b32_e32 v22, 2, v22
	s_waitcnt vmcnt(15)
	v_cndmask_b32_e64 v12, v19, v13, s[28:29]
	s_waitcnt vmcnt(14)
	v_cndmask_b32_e64 v23, v19, v14, s[30:31]
	;; [unrolled: 2-line block ×4, first 2 shown]
	v_max3_f32 v12, v12, s48, v23
	s_waitcnt vmcnt(11)
	v_cndmask_b32_e64 v26, v19, v17, s[38:39]
	s_waitcnt vmcnt(10)
	v_cndmask_b32_e64 v27, v19, v18, s[40:41]
	v_max3_f32 v12, v12, v24, v25
	s_waitcnt vmcnt(9)
	v_cndmask_b32_e64 v28, v19, v11, s[22:23]
	s_waitcnt vmcnt(8)
	v_cndmask_b32_e64 v29, v19, v10, s[24:25]
	;; [unrolled: 5-line block ×5, first 2 shown]
	v_max3_f32 v12, v12, v32, v33
	s_waitcnt vmcnt(1)
	v_cndmask_b32_e32 v36, v19, v3, vcc
	s_waitcnt vmcnt(0)
	v_cndmask_b32_e64 v19, v19, v2, s[4:5]
	v_max3_f32 v12, v12, v34, v35
	v_max3_f32 v12, v12, v36, v19
	ds_bpermute_b32 v19, v22, v12
	v_xor_b32_e32 v23, 16, v20
	v_cmp_lt_i32_e64 s[42:43], v23, v21
	v_cndmask_b32_e64 v20, v20, v23, s[42:43]
	v_lshlrev_b32_e32 v20, 2, v20
	s_waitcnt lgkmcnt(0)
	v_max_f32_e32 v19, v19, v19
	v_max_f32_e32 v12, v12, v19
	ds_bpermute_b32 v19, v20, v12
	s_waitcnt lgkmcnt(0)
	v_max_f32_e32 v19, v19, v19
	v_max_f32_e32 v12, v12, v19
	v_sub_f32_e32 v13, v13, v12
	v_sub_f32_e32 v14, v14, v12
	;; [unrolled: 1-line block ×3, first 2 shown]
	v_mul_f32_e32 v13, 0x3fb8aa3b, v13
	v_mul_f32_e32 v14, 0x3fb8aa3b, v14
	v_mul_f32_e32 v15, 0x3fb8aa3b, v15
	v_exp_f32_e32 v13, v13
	v_exp_f32_e32 v14, v14
	;; [unrolled: 1-line block ×3, first 2 shown]
	v_sub_f32_e32 v16, v16, v12
	v_cndmask_b32_e64 v13, 0, v13, s[28:29]
	v_mul_f32_e32 v16, 0x3fb8aa3b, v16
	v_cndmask_b32_e64 v14, 0, v14, s[30:31]
	v_cndmask_b32_e64 v15, 0, v15, s[34:35]
	v_add_f32_e32 v19, 0, v13
	buffer_store_dword v13, off, s[0:3], 0 offset:256
	buffer_store_dword v14, off, s[0:3], 0 offset:260
	;; [unrolled: 1-line block ×3, first 2 shown]
	v_sub_f32_e32 v13, v17, v12
	v_exp_f32_e32 v16, v16
	v_add_f32_e32 v19, v19, v14
	v_mul_f32_e32 v13, 0x3fb8aa3b, v13
	v_sub_f32_e32 v14, v18, v12
	v_exp_f32_e32 v13, v13
	v_mul_f32_e32 v14, 0x3fb8aa3b, v14
	v_sub_f32_e32 v11, v11, v12
	v_exp_f32_e32 v14, v14
	;; [unrolled: 3-line block ×3, first 2 shown]
	v_mul_f32_e32 v10, 0x3fb8aa3b, v10
	v_sub_f32_e32 v9, v9, v12
	v_cndmask_b32_e64 v16, 0, v16, s[36:37]
	v_add_f32_e32 v19, v19, v15
	v_exp_f32_e32 v10, v10
	v_mul_f32_e32 v9, 0x3fb8aa3b, v9
	v_sub_f32_e32 v8, v8, v12
	v_add_f32_e32 v19, v19, v16
	v_cndmask_b32_e64 v13, 0, v13, s[38:39]
	v_exp_f32_e32 v9, v9
	v_mul_f32_e32 v8, 0x3fb8aa3b, v8
	v_sub_f32_e32 v7, v7, v12
	v_add_f32_e32 v15, v19, v13
	v_cndmask_b32_e64 v14, 0, v14, s[40:41]
	;; [unrolled: 5-line block ×5, first 2 shown]
	v_exp_f32_e32 v5, v5
	v_mul_f32_e32 v4, 0x3fb8aa3b, v4
	v_sub_f32_e32 v3, v3, v12
	buffer_store_dword v16, off, s[0:3], 0 offset:268
	buffer_store_dword v13, off, s[0:3], 0 offset:272
	;; [unrolled: 1-line block ×5, first 2 shown]
	v_add_f32_e32 v10, v15, v9
	v_cndmask_b32_e64 v8, 0, v8, s[20:21]
	v_exp_f32_e32 v4, v4
	v_mul_f32_e32 v3, 0x3fb8aa3b, v3
	v_sub_f32_e32 v2, v2, v12
	v_add_f32_e32 v10, v10, v8
	v_cndmask_b32_e64 v7, 0, v7, s[14:15]
	v_exp_f32_e32 v3, v3
	v_mul_f32_e32 v2, 0x3fb8aa3b, v2
	v_add_f32_e32 v10, v10, v7
	v_cndmask_b32_e64 v6, 0, v6, s[16:17]
	v_exp_f32_e32 v2, v2
	v_add_f32_e32 v10, v10, v6
	v_cndmask_b32_e64 v5, 0, v5, s[10:11]
	buffer_store_dword v9, off, s[0:3], 0 offset:288
	buffer_store_dword v8, off, s[0:3], 0 offset:292
	;; [unrolled: 1-line block ×4, first 2 shown]
	v_add_f32_e32 v6, v10, v5
	v_cndmask_b32_e64 v4, 0, v4, s[12:13]
	v_add_f32_e32 v6, v6, v4
	v_cndmask_b32_e32 v3, 0, v3, vcc
	v_add_f32_e32 v6, v6, v3
	v_cndmask_b32_e64 v2, 0, v2, s[4:5]
	v_add_f32_e32 v6, v6, v2
	ds_bpermute_b32 v7, v22, v6
	buffer_store_dword v5, off, s[0:3], 0 offset:304
	buffer_store_dword v4, off, s[0:3], 0 offset:308
	buffer_store_dword v3, off, s[0:3], 0 offset:312
	buffer_store_dword v2, off, s[0:3], 0 offset:316
	v_cmp_gt_u32_e32 vcc, 16, v68
	s_waitcnt lgkmcnt(0)
	s_barrier
	v_add_f32_e32 v2, v6, v7
	ds_bpermute_b32 v3, v20, v2
	s_waitcnt lgkmcnt(0)
	s_and_saveexec_b64 s[4:5], vcc
	s_cbranch_execz .LBB673_207
; %bb.206:
	v_add_f32_e32 v2, v2, v3
	v_lshlrev_b32_e32 v3, 2, v67
	ds_write2st64_b32 v3, v12, v2 offset1:1
.LBB673_207:
	s_or_b64 exec, exec, s[4:5]
	v_lshlrev_b32_e32 v2, 2, v55
	s_waitcnt lgkmcnt(0)
	s_barrier
	ds_read2_b32 v[12:13], v2 offset1:16
	ds_read2_b32 v[14:15], v2 offset0:32 offset1:48
	ds_read2_b32 v[6:7], v2 offset0:64 offset1:80
	;; [unrolled: 1-line block ×3, first 2 shown]
	s_waitcnt lgkmcnt(0)
	s_barrier
	buffer_load_dword v20, off, s[0:3], 0 offset:256
	buffer_load_dword v21, off, s[0:3], 0 offset:260
	;; [unrolled: 1-line block ×16, first 2 shown]
	v_lshlrev_b32_e32 v19, 3, v65
	v_lshlrev_b32_e32 v18, 5, v55
	;; [unrolled: 1-line block ×3, first 2 shown]
	v_or3_b32 v39, v28, v18, v19
	v_max3_f32 v19, v12, s48, v13
	v_max3_f32 v19, v19, v14, v15
	v_sub_f32_e32 v12, v12, v19
	v_sub_f32_e32 v13, v13, v19
	v_mul_f32_e32 v12, 0x3fb8aa3b, v12
	v_sub_f32_e32 v14, v14, v19
	v_mul_f32_e32 v13, 0x3fb8aa3b, v13
	v_exp_f32_e32 v12, v12
	v_sub_f32_e32 v15, v15, v19
	v_mul_f32_e32 v14, 0x3fb8aa3b, v14
	v_exp_f32_e32 v13, v13
	v_mul_f32_e32 v15, 0x3fb8aa3b, v15
	v_exp_f32_e32 v14, v14
	v_exp_f32_e32 v15, v15
	v_fma_f32 v6, v12, v6, 0
	v_fmac_f32_e32 v6, v13, v7
	v_fmac_f32_e32 v6, v14, v10
	;; [unrolled: 1-line block ×3, first 2 shown]
	v_cmp_eq_u32_e32 vcc, 1, v66
	v_add_f32_e32 v10, 0x358637bd, v6
	v_cndmask_b32_e32 v12, v12, v13, vcc
	v_cmp_eq_u32_e32 vcc, 2, v66
	v_div_scale_f32 v11, s[4:5], v10, v10, 1.0
	v_cndmask_b32_e32 v7, v12, v14, vcc
	v_rcp_f32_e32 v12, v11
	v_cmp_eq_u32_e32 vcc, 3, v66
	v_cndmask_b32_e32 v7, v7, v15, vcc
	v_div_scale_f32 v13, vcc, 1.0, v10, 1.0
	v_fma_f32 v14, -v11, v12, 1.0
	v_fmac_f32_e32 v12, v14, v12
	v_mul_f32_e32 v14, v13, v12
	v_fma_f32 v15, -v11, v14, v13
	v_fmac_f32_e32 v14, v15, v12
	v_fma_f32 v11, -v11, v14, v13
	v_div_fmas_f32 v11, v11, v12, v14
	v_div_fixup_f32 v10, v11, v10, 1.0
	v_mul_f32_e32 v10, v7, v10
	s_lshl_b32 s20, s55, 2
	v_cmp_gt_u32_e32 vcc, 4, v0
	s_waitcnt vmcnt(14)
	v_pk_mul_f32 v[14:15], v[10:11], v[20:21] op_sel_hi:[0,1]
	v_cvt_f16_f32_e32 v7, v14
	s_waitcnt vmcnt(12)
	v_pk_mul_f32 v[12:13], v[10:11], v[22:23] op_sel_hi:[0,1]
	buffer_store_dword v14, off, s[0:3], 0 offset:256
	buffer_store_dword v15, off, s[0:3], 0 offset:260
	;; [unrolled: 1-line block ×3, first 2 shown]
	s_waitcnt vmcnt(13)
	v_pk_mul_f32 v[20:21], v[10:11], v[24:25] op_sel_hi:[0,1]
	v_cvt_f16_f32_e32 v14, v12
	s_waitcnt vmcnt(11)
	v_pk_mul_f32 v[22:23], v[10:11], v[26:27] op_sel_hi:[0,1]
	v_cvt_f16_f32_e32 v11, v15
	v_cvt_f16_f32_e32 v15, v13
	buffer_store_dword v13, off, s[0:3], 0 offset:268
	buffer_store_dword v22, off, s[0:3], 0 offset:272
	;; [unrolled: 1-line block ×3, first 2 shown]
	v_pack_b32_f16 v12, v7, v11
	v_cvt_f16_f32_e32 v11, v23
	v_pack_b32_f16 v13, v14, v15
	v_cvt_f16_f32_e32 v7, v22
	v_cvt_f16_f32_e32 v15, v20
	;; [unrolled: 1-line block ×3, first 2 shown]
	s_waitcnt vmcnt(12)
	v_pk_mul_f32 v[4:5], v[10:11], v[4:5] op_sel_hi:[0,1]
	v_pack_b32_f16 v14, v7, v11
	s_waitcnt vmcnt(10)
	v_pk_mul_f32 v[2:3], v[10:11], v[2:3] op_sel_hi:[0,1]
	v_pack_b32_f16 v15, v15, v22
	v_cvt_f16_f32_e32 v11, v5
	buffer_store_dword v20, off, s[0:3], 0 offset:280
	buffer_store_dword v21, off, s[0:3], 0 offset:284
	ds_write2st64_b64 v39, v[12:13], v[14:15] offset1:1
	buffer_store_dword v2, off, s[0:3], 0 offset:288
	buffer_store_dword v3, off, s[0:3], 0 offset:292
	v_cvt_f16_f32_e32 v2, v2
	v_cvt_f16_f32_e32 v3, v3
	;; [unrolled: 1-line block ×3, first 2 shown]
	buffer_store_dword v4, off, s[0:3], 0 offset:296
	buffer_store_dword v5, off, s[0:3], 0 offset:300
	s_waitcnt vmcnt(12)
	v_pk_mul_f32 v[4:5], v[10:11], v[16:17] op_sel_hi:[0,1]
	v_pk_mul_f32 v[8:9], v[10:11], v[8:9] op_sel_hi:[0,1]
	v_pack_b32_f16 v2, v2, v3
	v_pack_b32_f16 v3, v7, v11
	buffer_store_dword v8, off, s[0:3], 0 offset:304
	buffer_store_dword v9, off, s[0:3], 0 offset:308
	v_cvt_f16_f32_e32 v7, v8
	v_cvt_f16_f32_e32 v8, v9
	;; [unrolled: 1-line block ×4, first 2 shown]
	buffer_store_dword v4, off, s[0:3], 0 offset:312
	buffer_store_dword v5, off, s[0:3], 0 offset:316
	v_pack_b32_f16 v4, v7, v8
	v_pack_b32_f16 v5, v9, v10
	ds_write2st64_b64 v39, v[2:3], v[4:5] offset0:2 offset1:3
	s_and_saveexec_b64 s[4:5], vcc
	s_cbranch_execz .LBB673_209
; %bb.208:
	v_or_b32_e32 v2, s27, v0
	v_mov_b32_e32 v3, 0
	v_mov_b32_e32 v4, s20
	v_mad_u64_u32 v[4:5], s[10:11], s8, v4, v[2:3]
	v_mov_b32_e32 v2, s26
	s_mul_i32 s9, s9, s20
	v_mad_u64_u32 v[2:3], s[10:11], v4, s54, v[2:3]
	v_add_u32_e32 v5, s9, v5
	v_mov_b32_e32 v4, v3
	v_mad_u64_u32 v[4:5], s[10:11], v5, s54, v[4:5]
	v_mov_b32_e32 v3, v4
	v_lshlrev_b64 v[2:3], 2, v[2:3]
	v_mov_b32_e32 v5, s47
	v_add_co_u32_e32 v4, vcc, s46, v2
	v_addc_co_u32_e32 v5, vcc, v5, v3, vcc
	global_store_dword v[4:5], v19, off
	v_mov_b32_e32 v4, s45
	v_add_co_u32_e32 v2, vcc, s44, v2
	v_addc_co_u32_e32 v3, vcc, v4, v3, vcc
	global_store_dword v[2:3], v6, off
.LBB673_209:
	s_or_b64 exec, exec, s[4:5]
	v_lshl_or_b32 v30, v65, 9, v18
	s_waitcnt lgkmcnt(0)
	s_barrier
	s_load_dword s4, s[50:51], 0x0
	ds_read_b128 v[2:5], v30
	ds_read_b128 v[6:9], v30 offset:16
	ds_read_b128 v[10:13], v30 offset:2048
	;; [unrolled: 1-line block ×7, first 2 shown]
	v_mov_b32_e32 v35, 0x80
	v_mov_b32_e32 v41, 0x140
	s_mov_b64 s[12:13], -1
	s_waitcnt lgkmcnt(0)
	s_mov_b32 s5, s4
	s_mov_b32 s10, s4
	;; [unrolled: 1-line block ×3, first 2 shown]
	s_movk_i32 s9, 0x80
	s_movk_i32 s21, 0x7f
	s_mov_b32 s22, 0xffffff
	v_mov_b32_e32 v43, 0
	v_bfrev_b32_e32 v45, 60
	s_branch .LBB673_213
.LBB673_210:                            ;   in Loop: Header=BB673_213 Depth=1
	s_or_b64 exec, exec, s[18:19]
.LBB673_211:                            ;   in Loop: Header=BB673_213 Depth=1
	s_or_b64 exec, exec, s[16:17]
.LBB673_212:                            ;   in Loop: Header=BB673_213 Depth=1
	s_or_b64 exec, exec, s[14:15]
	v_cvt_pkrtz_f16_f32 v46, v46, v47
	v_cvt_pkrtz_f16_f32 v47, v44, v49
	s_xor_b64 s[14:15], s[12:13], -1
	s_mov_b64 s[12:13], 0
	v_mov_b32_e32 v64, v59
	v_mfma_f32_16x16x16f16 v[66:69], v[46:47], v[30:31], v[34:37]
	v_mov_b32_e32 v63, v60
	v_mov_b32_e32 v62, v61
	s_and_b64 vcc, exec, s[14:15]
	s_nop 3
	v_cvt_pkrtz_f16_f32 v36, v48, v50
	v_cvt_pkrtz_f16_f32 v37, v42, v51
	v_mov_b32_e32 v35, v58
	s_nop 0
	v_mfma_f32_16x16x16f16 v[46:49], v[36:37], v[32:33], v[66:69]
	s_nop 7
	s_nop 2
	v_pk_mul_f32 v[46:47], v[46:47], s[4:5]
	v_pk_mul_f32 v[36:37], v[48:49], s[10:11]
	v_cvt_f16_f32_e32 v34, v46
	v_cvt_f16_f32_e32 v38, v47
	;; [unrolled: 1-line block ×4, first 2 shown]
	v_pack_b32_f16 v34, v34, v38
	v_pack_b32_f16 v36, v36, v37
	buffer_store_dword v34, v41, s[0:3], 0 offen
	buffer_store_dword v36, v41, s[0:3], 0 offen offset:4
	v_mov_b32_e32 v41, 0x148
	s_cbranch_vccnz .LBB673_595
.LBB673_213:                            ; =>This Inner Loop Header: Depth=1
	buffer_load_dword v36, v35, s[0:3], 0 offen
	buffer_load_dword v34, v35, s[0:3], 0 offen offset:4
	buffer_load_dword v40, v35, s[0:3], 0 offen offset:8
	buffer_load_dword v38, v35, s[0:3], 0 offen offset:12
	v_mov_b32_e32 v35, 0
	s_waitcnt vmcnt(3)
	v_cmp_ne_u16_sdwa s[16:17], v36, v43 src0_sel:BYTE_0 src1_sel:DWORD
	s_and_saveexec_b64 s[14:15], s[16:17]
	s_cbranch_execz .LBB673_219
; %bb.214:                              ;   in Loop: Header=BB673_213 Depth=1
	v_cmp_ne_u16_sdwa s[18:19], v36, s9 src0_sel:BYTE_0 src1_sel:DWORD
	v_bfrev_b32_e32 v35, 1
	s_and_saveexec_b64 s[16:17], s[18:19]
	s_cbranch_execz .LBB673_218
; %bb.215:                              ;   in Loop: Header=BB673_213 Depth=1
	v_and_b32_e32 v37, 0x7f, v36
	v_cmp_ne_u32_e32 vcc, s21, v37
	v_mov_b32_e32 v35, 0x7f800001
	s_and_saveexec_b64 s[18:19], vcc
	s_cbranch_execz .LBB673_217
; %bb.216:                              ;   in Loop: Header=BB673_213 Depth=1
	v_and_b32_e32 v35, 7, v36
	v_ffbh_u32_e32 v44, v35
	v_min_u32_e32 v44, 32, v44
	v_subrev_u32_e32 v46, 28, v44
	v_lshlrev_b64 v[46:47], v46, v[36:37]
	v_lshrrev_b32_e32 v42, 3, v37
	v_sub_u32_e32 v44, 29, v44
	v_and_b32_e32 v46, 7, v46
	v_cmp_gt_u32_e32 vcc, 8, v37
	v_cndmask_b32_e32 v37, v42, v44, vcc
	v_cndmask_b32_e32 v35, v35, v46, vcc
	v_lshlrev_b32_e32 v42, 24, v36
	v_lshlrev_b32_e32 v35, 20, v35
	v_and_b32_e32 v42, 0x80000000, v42
	v_lshl_add_u32 v37, v37, 23, v45
	v_or3_b32 v35, v42, v37, v35
.LBB673_217:                            ;   in Loop: Header=BB673_213 Depth=1
	s_or_b64 exec, exec, s[18:19]
.LBB673_218:                            ;   in Loop: Header=BB673_213 Depth=1
	s_or_b64 exec, exec, s[16:17]
.LBB673_219:                            ;   in Loop: Header=BB673_213 Depth=1
	s_or_b64 exec, exec, s[14:15]
	v_lshrrev_b16_e32 v42, 8, v36
	v_cmp_ne_u16_e32 vcc, 0, v42
	v_mov_b32_e32 v37, 0
	s_and_saveexec_b64 s[14:15], vcc
	s_cbranch_execz .LBB673_225
; %bb.220:                              ;   in Loop: Header=BB673_213 Depth=1
	v_cmp_ne_u16_e32 vcc, s9, v42
	v_bfrev_b32_e32 v37, 1
	s_and_saveexec_b64 s[16:17], vcc
	s_cbranch_execz .LBB673_224
; %bb.221:                              ;   in Loop: Header=BB673_213 Depth=1
	v_and_b32_e32 v44, 0x7f, v42
	v_cmp_ne_u32_e32 vcc, s21, v44
	v_mov_b32_e32 v37, 0x7f800001
	s_and_saveexec_b64 s[18:19], vcc
	s_cbranch_execz .LBB673_223
; %bb.222:                              ;   in Loop: Header=BB673_213 Depth=1
	v_and_b32_e32 v37, 7, v42
	v_ffbh_u32_e32 v46, v37
	v_min_u32_e32 v49, 32, v46
	v_subrev_u32_e32 v46, 28, v49
	v_lshlrev_b64 v[46:47], v46, v[42:43]
	v_lshrrev_b32_e32 v48, 3, v44
	v_sub_u32_e32 v42, 29, v49
	v_and_b32_e32 v46, 7, v46
	v_cmp_gt_u32_e32 vcc, 8, v44
	v_cndmask_b32_e32 v42, v48, v42, vcc
	v_cndmask_b32_e32 v37, v37, v46, vcc
	v_lshlrev_b32_e32 v44, 16, v36
	v_lshlrev_b32_e32 v37, 20, v37
	v_and_b32_e32 v44, 0x80000000, v44
	v_lshl_add_u32 v42, v42, 23, v45
	v_or3_b32 v37, v44, v42, v37
.LBB673_223:                            ;   in Loop: Header=BB673_213 Depth=1
	s_or_b64 exec, exec, s[18:19]
.LBB673_224:                            ;   in Loop: Header=BB673_213 Depth=1
	s_or_b64 exec, exec, s[16:17]
.LBB673_225:                            ;   in Loop: Header=BB673_213 Depth=1
	s_or_b64 exec, exec, s[14:15]
	v_lshrrev_b32_e32 v42, 16, v36
	v_cmp_ne_u16_sdwa s[16:17], v42, v43 src0_sel:BYTE_0 src1_sel:DWORD
	v_mov_b32_e32 v46, 0
	v_mov_b32_e32 v44, 0
	s_and_saveexec_b64 s[14:15], s[16:17]
	s_cbranch_execz .LBB673_231
; %bb.226:                              ;   in Loop: Header=BB673_213 Depth=1
	v_cmp_ne_u16_sdwa s[18:19], v42, s9 src0_sel:BYTE_0 src1_sel:DWORD
	v_bfrev_b32_e32 v44, 1
	s_and_saveexec_b64 s[16:17], s[18:19]
	s_cbranch_execz .LBB673_230
; %bb.227:                              ;   in Loop: Header=BB673_213 Depth=1
	v_bfe_u32 v47, v36, 16, 7
	v_cmp_ne_u32_e32 vcc, s21, v47
	v_mov_b32_e32 v44, 0x7f800001
	s_and_saveexec_b64 s[18:19], vcc
	s_cbranch_execz .LBB673_229
; %bb.228:                              ;   in Loop: Header=BB673_213 Depth=1
	v_and_b32_e32 v44, 7, v42
	v_ffbh_u32_e32 v48, v44
	v_min_u32_e32 v51, 32, v48
	v_subrev_u32_e32 v48, 28, v51
	v_lshlrev_b64 v[48:49], v48, v[42:43]
	v_lshrrev_b32_e32 v50, 3, v47
	v_sub_u32_e32 v49, 29, v51
	v_and_b32_e32 v48, 7, v48
	v_cmp_gt_u32_e32 vcc, 8, v47
	v_cndmask_b32_e32 v47, v50, v49, vcc
	v_cndmask_b32_e32 v44, v44, v48, vcc
	v_lshlrev_b32_e32 v42, 24, v42
	v_lshlrev_b32_e32 v44, 20, v44
	v_and_b32_e32 v42, 0x80000000, v42
	v_lshl_add_u32 v47, v47, 23, v45
	v_or3_b32 v44, v42, v47, v44
.LBB673_229:                            ;   in Loop: Header=BB673_213 Depth=1
	s_or_b64 exec, exec, s[18:19]
.LBB673_230:                            ;   in Loop: Header=BB673_213 Depth=1
	s_or_b64 exec, exec, s[16:17]
.LBB673_231:                            ;   in Loop: Header=BB673_213 Depth=1
	s_or_b64 exec, exec, s[14:15]
	v_cmp_lt_u32_e32 vcc, s22, v36
	s_and_saveexec_b64 s[14:15], vcc
	s_cbranch_execz .LBB673_237
; %bb.232:                              ;   in Loop: Header=BB673_213 Depth=1
	v_lshrrev_b32_e32 v42, 24, v36
	v_cmp_ne_u32_e32 vcc, s9, v42
	v_bfrev_b32_e32 v46, 1
	s_and_saveexec_b64 s[16:17], vcc
	s_cbranch_execz .LBB673_236
; %bb.233:                              ;   in Loop: Header=BB673_213 Depth=1
	v_bfe_u32 v36, v36, 24, 7
	v_cmp_ne_u32_e32 vcc, s21, v36
	v_mov_b32_e32 v46, 0x7f800001
	s_and_saveexec_b64 s[18:19], vcc
	s_cbranch_execz .LBB673_235
; %bb.234:                              ;   in Loop: Header=BB673_213 Depth=1
	v_and_b32_e32 v48, 7, v42
	v_ffbh_u32_e32 v46, v48
	v_min_u32_e32 v50, 32, v46
	v_subrev_u32_e32 v46, 28, v50
	v_lshlrev_b64 v[46:47], v46, v[42:43]
	v_lshrrev_b32_e32 v49, 3, v36
	v_sub_u32_e32 v47, 29, v50
	v_and_b32_e32 v46, 7, v46
	v_cmp_gt_u32_e32 vcc, 8, v36
	v_cndmask_b32_e32 v36, v49, v47, vcc
	v_cndmask_b32_e32 v46, v48, v46, vcc
	v_lshlrev_b32_e32 v42, 24, v42
	v_lshlrev_b32_e32 v46, 20, v46
	v_and_b32_e32 v42, 0x80000000, v42
	v_lshl_add_u32 v36, v36, 23, v45
	v_or3_b32 v46, v42, v36, v46
.LBB673_235:                            ;   in Loop: Header=BB673_213 Depth=1
	s_or_b64 exec, exec, s[18:19]
.LBB673_236:                            ;   in Loop: Header=BB673_213 Depth=1
	s_or_b64 exec, exec, s[16:17]
.LBB673_237:                            ;   in Loop: Header=BB673_213 Depth=1
	s_or_b64 exec, exec, s[14:15]
	s_waitcnt vmcnt(2)
	v_cmp_ne_u16_sdwa s[16:17], v34, v43 src0_sel:BYTE_0 src1_sel:DWORD
	v_mov_b32_e32 v42, 0
	v_mov_b32_e32 v47, 0
	s_and_saveexec_b64 s[14:15], s[16:17]
	s_cbranch_execz .LBB673_243
; %bb.238:                              ;   in Loop: Header=BB673_213 Depth=1
	v_cmp_ne_u16_sdwa s[18:19], v34, s9 src0_sel:BYTE_0 src1_sel:DWORD
	v_bfrev_b32_e32 v47, 1
	s_and_saveexec_b64 s[16:17], s[18:19]
	s_cbranch_execz .LBB673_242
; %bb.239:                              ;   in Loop: Header=BB673_213 Depth=1
	v_and_b32_e32 v36, 0x7f, v34
	v_cmp_ne_u32_e32 vcc, s21, v36
	v_mov_b32_e32 v47, 0x7f800001
	s_and_saveexec_b64 s[18:19], vcc
	s_cbranch_execz .LBB673_241
; %bb.240:                              ;   in Loop: Header=BB673_213 Depth=1
	v_and_b32_e32 v47, 7, v34
	v_ffbh_u32_e32 v48, v47
	v_min_u32_e32 v51, 32, v48
	v_subrev_u32_e32 v48, 28, v51
	v_lshlrev_b64 v[48:49], v48, v[34:35]
	v_lshrrev_b32_e32 v50, 3, v36
	v_sub_u32_e32 v49, 29, v51
	v_and_b32_e32 v48, 7, v48
	v_cmp_gt_u32_e32 vcc, 8, v36
	v_cndmask_b32_e32 v36, v50, v49, vcc
	v_cndmask_b32_e32 v47, v47, v48, vcc
	v_lshlrev_b32_e32 v48, 24, v34
	v_lshlrev_b32_e32 v47, 20, v47
	v_and_b32_e32 v48, 0x80000000, v48
	v_lshl_add_u32 v36, v36, 23, v45
	v_or3_b32 v47, v48, v36, v47
.LBB673_241:                            ;   in Loop: Header=BB673_213 Depth=1
	s_or_b64 exec, exec, s[18:19]
.LBB673_242:                            ;   in Loop: Header=BB673_213 Depth=1
	s_or_b64 exec, exec, s[16:17]
.LBB673_243:                            ;   in Loop: Header=BB673_213 Depth=1
	s_or_b64 exec, exec, s[14:15]
	v_lshrrev_b16_e32 v36, 8, v34
	v_cmp_ne_u16_e32 vcc, 0, v36
	s_and_saveexec_b64 s[14:15], vcc
	s_cbranch_execz .LBB673_249
; %bb.244:                              ;   in Loop: Header=BB673_213 Depth=1
	v_cmp_ne_u16_e32 vcc, s9, v36
	v_bfrev_b32_e32 v42, 1
	s_and_saveexec_b64 s[16:17], vcc
	s_cbranch_execz .LBB673_248
; %bb.245:                              ;   in Loop: Header=BB673_213 Depth=1
	v_and_b32_e32 v48, 0x7f, v36
	v_cmp_ne_u32_e32 vcc, s21, v48
	v_mov_b32_e32 v42, 0x7f800001
	s_and_saveexec_b64 s[18:19], vcc
	s_cbranch_execz .LBB673_247
; %bb.246:                              ;   in Loop: Header=BB673_213 Depth=1
	v_and_b32_e32 v42, 7, v36
	v_ffbh_u32_e32 v50, v42
	v_min_u32_e32 v52, 32, v50
	v_subrev_u32_e32 v50, 28, v52
	v_lshlrev_b64 v[50:51], v50, v[36:37]
	v_lshrrev_b32_e32 v49, 3, v48
	v_sub_u32_e32 v36, 29, v52
	v_and_b32_e32 v50, 7, v50
	v_cmp_gt_u32_e32 vcc, 8, v48
	v_cndmask_b32_e32 v36, v49, v36, vcc
	v_cndmask_b32_e32 v42, v42, v50, vcc
	v_lshlrev_b32_e32 v48, 16, v34
	v_lshlrev_b32_e32 v42, 20, v42
	v_and_b32_e32 v48, 0x80000000, v48
	v_lshl_add_u32 v36, v36, 23, v45
	v_or3_b32 v42, v48, v36, v42
.LBB673_247:                            ;   in Loop: Header=BB673_213 Depth=1
	s_or_b64 exec, exec, s[18:19]
.LBB673_248:                            ;   in Loop: Header=BB673_213 Depth=1
	s_or_b64 exec, exec, s[16:17]
.LBB673_249:                            ;   in Loop: Header=BB673_213 Depth=1
	s_or_b64 exec, exec, s[14:15]
	v_lshrrev_b32_e32 v36, 16, v34
	v_cmp_ne_u16_sdwa s[16:17], v36, v43 src0_sel:BYTE_0 src1_sel:DWORD
	v_mov_b32_e32 v49, 0
	v_mov_b32_e32 v48, 0
	s_and_saveexec_b64 s[14:15], s[16:17]
	s_cbranch_execz .LBB673_255
; %bb.250:                              ;   in Loop: Header=BB673_213 Depth=1
	v_cmp_ne_u16_sdwa s[18:19], v36, s9 src0_sel:BYTE_0 src1_sel:DWORD
	v_bfrev_b32_e32 v48, 1
	s_and_saveexec_b64 s[16:17], s[18:19]
	s_cbranch_execz .LBB673_254
; %bb.251:                              ;   in Loop: Header=BB673_213 Depth=1
	v_bfe_u32 v50, v34, 16, 7
	v_cmp_ne_u32_e32 vcc, s21, v50
	v_mov_b32_e32 v48, 0x7f800001
	s_and_saveexec_b64 s[18:19], vcc
	s_cbranch_execz .LBB673_253
; %bb.252:                              ;   in Loop: Header=BB673_213 Depth=1
	v_and_b32_e32 v48, 7, v36
	v_ffbh_u32_e32 v52, v48
	v_min_u32_e32 v65, 32, v52
	v_subrev_u32_e32 v52, 28, v65
	v_lshlrev_b64 v[52:53], v52, v[36:37]
	v_lshrrev_b32_e32 v51, 3, v50
	v_sub_u32_e32 v53, 29, v65
	v_and_b32_e32 v52, 7, v52
	v_cmp_gt_u32_e32 vcc, 8, v50
	v_cndmask_b32_e32 v50, v51, v53, vcc
	v_cndmask_b32_e32 v48, v48, v52, vcc
	v_lshlrev_b32_e32 v36, 24, v36
	v_lshlrev_b32_e32 v48, 20, v48
	v_and_b32_e32 v36, 0x80000000, v36
	v_lshl_add_u32 v50, v50, 23, v45
	v_or3_b32 v48, v36, v50, v48
.LBB673_253:                            ;   in Loop: Header=BB673_213 Depth=1
	s_or_b64 exec, exec, s[18:19]
.LBB673_254:                            ;   in Loop: Header=BB673_213 Depth=1
	s_or_b64 exec, exec, s[16:17]
.LBB673_255:                            ;   in Loop: Header=BB673_213 Depth=1
	s_or_b64 exec, exec, s[14:15]
	v_cmp_lt_u32_e32 vcc, s22, v34
	s_and_saveexec_b64 s[14:15], vcc
	s_cbranch_execz .LBB673_261
; %bb.256:                              ;   in Loop: Header=BB673_213 Depth=1
	v_lshrrev_b32_e32 v36, 24, v34
	v_cmp_ne_u32_e32 vcc, s9, v36
	v_bfrev_b32_e32 v49, 1
	s_and_saveexec_b64 s[16:17], vcc
	s_cbranch_execz .LBB673_260
; %bb.257:                              ;   in Loop: Header=BB673_213 Depth=1
	v_bfe_u32 v34, v34, 24, 7
	v_cmp_ne_u32_e32 vcc, s21, v34
	v_mov_b32_e32 v49, 0x7f800001
	s_and_saveexec_b64 s[18:19], vcc
	s_cbranch_execz .LBB673_259
; %bb.258:                              ;   in Loop: Header=BB673_213 Depth=1
	v_and_b32_e32 v49, 7, v36
	v_ffbh_u32_e32 v50, v49
	v_min_u32_e32 v53, 32, v50
	v_subrev_u32_e32 v50, 28, v53
	v_lshlrev_b64 v[50:51], v50, v[36:37]
	v_lshrrev_b32_e32 v52, 3, v34
	v_sub_u32_e32 v51, 29, v53
	v_and_b32_e32 v50, 7, v50
	v_cmp_gt_u32_e32 vcc, 8, v34
	v_cndmask_b32_e32 v34, v52, v51, vcc
	v_cndmask_b32_e32 v49, v49, v50, vcc
	v_lshlrev_b32_e32 v36, 24, v36
	v_lshlrev_b32_e32 v49, 20, v49
	v_and_b32_e32 v36, 0x80000000, v36
	v_lshl_add_u32 v34, v34, 23, v45
	v_or3_b32 v49, v36, v34, v49
.LBB673_259:                            ;   in Loop: Header=BB673_213 Depth=1
	s_or_b64 exec, exec, s[18:19]
.LBB673_260:                            ;   in Loop: Header=BB673_213 Depth=1
	s_or_b64 exec, exec, s[16:17]
.LBB673_261:                            ;   in Loop: Header=BB673_213 Depth=1
	s_or_b64 exec, exec, s[14:15]
	v_cvt_pkrtz_f16_f32 v34, v35, v37
	v_cvt_pkrtz_f16_f32 v35, v44, v46
	;; [unrolled: 1-line block ×4, first 2 shown]
	v_mov_b32_e32 v44, 0
	v_mfma_f32_16x16x16f16 v[34:37], v[34:35], v[2:3], 0
	s_waitcnt vmcnt(1)
	v_cmp_ne_u16_sdwa s[16:17], v40, v43 src0_sel:BYTE_0 src1_sel:DWORD
	v_mov_b32_e32 v46, 0
	v_mfma_f32_16x16x16f16 v[34:37], v[50:51], v[4:5], v[34:37]
	s_and_saveexec_b64 s[14:15], s[16:17]
	s_cbranch_execz .LBB673_267
; %bb.262:                              ;   in Loop: Header=BB673_213 Depth=1
	v_cmp_ne_u16_sdwa s[18:19], v40, s9 src0_sel:BYTE_0 src1_sel:DWORD
	v_bfrev_b32_e32 v46, 1
	s_and_saveexec_b64 s[16:17], s[18:19]
	s_cbranch_execz .LBB673_266
; %bb.263:                              ;   in Loop: Header=BB673_213 Depth=1
	v_and_b32_e32 v42, 0x7f, v40
	v_cmp_ne_u32_e32 vcc, s21, v42
	v_mov_b32_e32 v46, 0x7f800001
	s_and_saveexec_b64 s[18:19], vcc
	s_cbranch_execz .LBB673_265
; %bb.264:                              ;   in Loop: Header=BB673_213 Depth=1
	v_and_b32_e32 v48, 7, v40
	v_ffbh_u32_e32 v46, v48
	v_min_u32_e32 v50, 32, v46
	v_subrev_u32_e32 v46, 28, v50
	v_lshlrev_b64 v[46:47], v46, v[40:41]
	v_lshrrev_b32_e32 v49, 3, v42
	v_sub_u32_e32 v47, 29, v50
	v_and_b32_e32 v46, 7, v46
	v_cmp_gt_u32_e32 vcc, 8, v42
	v_cndmask_b32_e32 v42, v49, v47, vcc
	v_cndmask_b32_e32 v46, v48, v46, vcc
	v_lshlrev_b32_e32 v47, 24, v40
	v_lshlrev_b32_e32 v46, 20, v46
	v_and_b32_e32 v47, 0x80000000, v47
	v_lshl_add_u32 v42, v42, 23, v45
	v_or3_b32 v46, v47, v42, v46
.LBB673_265:                            ;   in Loop: Header=BB673_213 Depth=1
	s_or_b64 exec, exec, s[18:19]
.LBB673_266:                            ;   in Loop: Header=BB673_213 Depth=1
	s_or_b64 exec, exec, s[16:17]
.LBB673_267:                            ;   in Loop: Header=BB673_213 Depth=1
	s_or_b64 exec, exec, s[14:15]
	v_lshrrev_b16_e32 v42, 8, v40
	v_cmp_ne_u16_e32 vcc, 0, v42
	v_mov_b32_e32 v48, 0
	s_and_saveexec_b64 s[14:15], vcc
	s_cbranch_execz .LBB673_273
; %bb.268:                              ;   in Loop: Header=BB673_213 Depth=1
	v_cmp_ne_u16_e32 vcc, s9, v42
	v_bfrev_b32_e32 v48, 1
	s_and_saveexec_b64 s[16:17], vcc
	s_cbranch_execz .LBB673_272
; %bb.269:                              ;   in Loop: Header=BB673_213 Depth=1
	v_and_b32_e32 v47, 0x7f, v42
	v_cmp_ne_u32_e32 vcc, s21, v47
	v_mov_b32_e32 v48, 0x7f800001
	s_and_saveexec_b64 s[18:19], vcc
	s_cbranch_execz .LBB673_271
; %bb.270:                              ;   in Loop: Header=BB673_213 Depth=1
	v_and_b32_e32 v50, 7, v42
	v_ffbh_u32_e32 v48, v50
	v_min_u32_e32 v52, 32, v48
	v_subrev_u32_e32 v48, 28, v52
	v_lshlrev_b64 v[48:49], v48, v[42:43]
	v_lshrrev_b32_e32 v51, 3, v47
	v_sub_u32_e32 v42, 29, v52
	v_and_b32_e32 v48, 7, v48
	v_cmp_gt_u32_e32 vcc, 8, v47
	v_cndmask_b32_e32 v42, v51, v42, vcc
	v_cndmask_b32_e32 v47, v50, v48, vcc
	v_lshlrev_b32_e32 v48, 16, v40
	v_lshlrev_b32_e32 v47, 20, v47
	v_and_b32_e32 v48, 0x80000000, v48
	v_lshl_add_u32 v42, v42, 23, v45
	v_or3_b32 v48, v48, v42, v47
.LBB673_271:                            ;   in Loop: Header=BB673_213 Depth=1
	s_or_b64 exec, exec, s[18:19]
.LBB673_272:                            ;   in Loop: Header=BB673_213 Depth=1
	s_or_b64 exec, exec, s[16:17]
.LBB673_273:                            ;   in Loop: Header=BB673_213 Depth=1
	s_or_b64 exec, exec, s[14:15]
	v_lshrrev_b32_e32 v42, 16, v40
	v_cmp_ne_u16_sdwa s[16:17], v42, v43 src0_sel:BYTE_0 src1_sel:DWORD
	s_and_saveexec_b64 s[14:15], s[16:17]
	s_cbranch_execz .LBB673_279
; %bb.274:                              ;   in Loop: Header=BB673_213 Depth=1
	v_cmp_ne_u16_sdwa s[18:19], v42, s9 src0_sel:BYTE_0 src1_sel:DWORD
	v_bfrev_b32_e32 v44, 1
	s_and_saveexec_b64 s[16:17], s[18:19]
	s_cbranch_execz .LBB673_278
; %bb.275:                              ;   in Loop: Header=BB673_213 Depth=1
	v_bfe_u32 v47, v40, 16, 7
	v_cmp_ne_u32_e32 vcc, s21, v47
	v_mov_b32_e32 v44, 0x7f800001
	s_and_saveexec_b64 s[18:19], vcc
	s_cbranch_execz .LBB673_277
; %bb.276:                              ;   in Loop: Header=BB673_213 Depth=1
	v_and_b32_e32 v44, 7, v42
	v_ffbh_u32_e32 v50, v44
	v_min_u32_e32 v52, 32, v50
	v_subrev_u32_e32 v50, 28, v52
	v_lshlrev_b64 v[50:51], v50, v[42:43]
	v_lshrrev_b32_e32 v49, 3, v47
	v_sub_u32_e32 v51, 29, v52
	v_and_b32_e32 v50, 7, v50
	v_cmp_gt_u32_e32 vcc, 8, v47
	v_cndmask_b32_e32 v47, v49, v51, vcc
	v_cndmask_b32_e32 v44, v44, v50, vcc
	v_lshlrev_b32_e32 v42, 24, v42
	v_lshlrev_b32_e32 v44, 20, v44
	v_and_b32_e32 v42, 0x80000000, v42
	v_lshl_add_u32 v47, v47, 23, v45
	v_or3_b32 v44, v42, v47, v44
.LBB673_277:                            ;   in Loop: Header=BB673_213 Depth=1
	s_or_b64 exec, exec, s[18:19]
.LBB673_278:                            ;   in Loop: Header=BB673_213 Depth=1
	s_or_b64 exec, exec, s[16:17]
.LBB673_279:                            ;   in Loop: Header=BB673_213 Depth=1
	s_or_b64 exec, exec, s[14:15]
	v_cmp_lt_u32_e32 vcc, s22, v40
	v_mov_b32_e32 v49, 0
	v_mov_b32_e32 v50, 0
	s_and_saveexec_b64 s[14:15], vcc
	s_cbranch_execz .LBB673_285
; %bb.280:                              ;   in Loop: Header=BB673_213 Depth=1
	v_lshrrev_b32_e32 v42, 24, v40
	v_cmp_ne_u32_e32 vcc, s9, v42
	v_bfrev_b32_e32 v50, 1
	s_and_saveexec_b64 s[16:17], vcc
	s_cbranch_execz .LBB673_284
; %bb.281:                              ;   in Loop: Header=BB673_213 Depth=1
	v_bfe_u32 v40, v40, 24, 7
	v_cmp_ne_u32_e32 vcc, s21, v40
	v_mov_b32_e32 v50, 0x7f800001
	s_and_saveexec_b64 s[18:19], vcc
	s_cbranch_execz .LBB673_283
; %bb.282:                              ;   in Loop: Header=BB673_213 Depth=1
	v_and_b32_e32 v47, 7, v42
	v_ffbh_u32_e32 v50, v47
	v_min_u32_e32 v53, 32, v50
	v_subrev_u32_e32 v50, 28, v53
	v_lshlrev_b64 v[50:51], v50, v[42:43]
	v_lshrrev_b32_e32 v52, 3, v40
	v_sub_u32_e32 v51, 29, v53
	v_and_b32_e32 v50, 7, v50
	v_cmp_gt_u32_e32 vcc, 8, v40
	v_cndmask_b32_e32 v40, v52, v51, vcc
	v_cndmask_b32_e32 v47, v47, v50, vcc
	v_lshlrev_b32_e32 v42, 24, v42
	v_lshlrev_b32_e32 v47, 20, v47
	v_and_b32_e32 v42, 0x80000000, v42
	v_lshl_add_u32 v40, v40, 23, v45
	v_or3_b32 v50, v42, v40, v47
.LBB673_283:                            ;   in Loop: Header=BB673_213 Depth=1
	s_or_b64 exec, exec, s[18:19]
.LBB673_284:                            ;   in Loop: Header=BB673_213 Depth=1
	s_or_b64 exec, exec, s[16:17]
.LBB673_285:                            ;   in Loop: Header=BB673_213 Depth=1
	s_or_b64 exec, exec, s[14:15]
	s_waitcnt vmcnt(0)
	v_cmp_ne_u16_sdwa s[16:17], v38, v43 src0_sel:BYTE_0 src1_sel:DWORD
	s_and_saveexec_b64 s[14:15], s[16:17]
	s_cbranch_execz .LBB673_291
; %bb.286:                              ;   in Loop: Header=BB673_213 Depth=1
	v_cmp_ne_u16_sdwa s[18:19], v38, s9 src0_sel:BYTE_0 src1_sel:DWORD
	v_bfrev_b32_e32 v49, 1
	s_and_saveexec_b64 s[16:17], s[18:19]
	s_cbranch_execz .LBB673_290
; %bb.287:                              ;   in Loop: Header=BB673_213 Depth=1
	v_and_b32_e32 v40, 0x7f, v38
	v_cmp_ne_u32_e32 vcc, s21, v40
	v_mov_b32_e32 v49, 0x7f800001
	s_and_saveexec_b64 s[18:19], vcc
	s_cbranch_execz .LBB673_289
; %bb.288:                              ;   in Loop: Header=BB673_213 Depth=1
	v_and_b32_e32 v42, 7, v38
	v_ffbh_u32_e32 v49, v42
	v_min_u32_e32 v49, 32, v49
	v_subrev_u32_e32 v51, 28, v49
	v_lshlrev_b64 v[52:53], v51, v[38:39]
	v_lshrrev_b32_e32 v47, 3, v40
	v_sub_u32_e32 v49, 29, v49
	v_and_b32_e32 v51, 7, v52
	v_cmp_gt_u32_e32 vcc, 8, v40
	v_cndmask_b32_e32 v40, v47, v49, vcc
	v_cndmask_b32_e32 v42, v42, v51, vcc
	v_lshlrev_b32_e32 v47, 24, v38
	v_lshlrev_b32_e32 v42, 20, v42
	v_and_b32_e32 v47, 0x80000000, v47
	v_lshl_add_u32 v40, v40, 23, v45
	v_or3_b32 v49, v47, v40, v42
.LBB673_289:                            ;   in Loop: Header=BB673_213 Depth=1
	s_or_b64 exec, exec, s[18:19]
.LBB673_290:                            ;   in Loop: Header=BB673_213 Depth=1
	s_or_b64 exec, exec, s[16:17]
.LBB673_291:                            ;   in Loop: Header=BB673_213 Depth=1
	s_or_b64 exec, exec, s[14:15]
	v_lshrrev_b16_e32 v40, 8, v38
	v_cmp_ne_u16_e32 vcc, 0, v40
	v_mov_b32_e32 v51, 0
	v_mov_b32_e32 v52, 0
	s_and_saveexec_b64 s[14:15], vcc
	s_cbranch_execz .LBB673_297
; %bb.292:                              ;   in Loop: Header=BB673_213 Depth=1
	v_cmp_ne_u16_e32 vcc, s9, v40
	v_bfrev_b32_e32 v52, 1
	s_and_saveexec_b64 s[16:17], vcc
	s_cbranch_execz .LBB673_296
; %bb.293:                              ;   in Loop: Header=BB673_213 Depth=1
	v_and_b32_e32 v42, 0x7f, v40
	v_cmp_ne_u32_e32 vcc, s21, v42
	v_mov_b32_e32 v52, 0x7f800001
	s_and_saveexec_b64 s[18:19], vcc
	s_cbranch_execz .LBB673_295
; %bb.294:                              ;   in Loop: Header=BB673_213 Depth=1
	v_and_b32_e32 v47, 7, v40
	v_ffbh_u32_e32 v52, v47
	v_min_u32_e32 v66, 32, v52
	v_subrev_u32_e32 v52, 28, v66
	v_lshlrev_b64 v[52:53], v52, v[40:41]
	v_lshrrev_b32_e32 v65, 3, v42
	v_sub_u32_e32 v40, 29, v66
	v_and_b32_e32 v52, 7, v52
	v_cmp_gt_u32_e32 vcc, 8, v42
	v_cndmask_b32_e32 v40, v65, v40, vcc
	v_cndmask_b32_e32 v42, v47, v52, vcc
	v_lshlrev_b32_e32 v47, 16, v38
	v_lshlrev_b32_e32 v42, 20, v42
	v_and_b32_e32 v47, 0x80000000, v47
	v_lshl_add_u32 v40, v40, 23, v45
	v_or3_b32 v52, v47, v40, v42
.LBB673_295:                            ;   in Loop: Header=BB673_213 Depth=1
	s_or_b64 exec, exec, s[18:19]
.LBB673_296:                            ;   in Loop: Header=BB673_213 Depth=1
	s_or_b64 exec, exec, s[16:17]
.LBB673_297:                            ;   in Loop: Header=BB673_213 Depth=1
	s_or_b64 exec, exec, s[14:15]
	v_lshrrev_b32_e32 v40, 16, v38
	v_cmp_ne_u16_sdwa s[16:17], v40, v43 src0_sel:BYTE_0 src1_sel:DWORD
	s_and_saveexec_b64 s[14:15], s[16:17]
	s_cbranch_execz .LBB673_303
; %bb.298:                              ;   in Loop: Header=BB673_213 Depth=1
	v_cmp_ne_u16_sdwa s[18:19], v40, s9 src0_sel:BYTE_0 src1_sel:DWORD
	v_bfrev_b32_e32 v51, 1
	s_and_saveexec_b64 s[16:17], s[18:19]
	s_cbranch_execz .LBB673_302
; %bb.299:                              ;   in Loop: Header=BB673_213 Depth=1
	v_bfe_u32 v42, v38, 16, 7
	v_cmp_ne_u32_e32 vcc, s21, v42
	v_mov_b32_e32 v51, 0x7f800001
	s_and_saveexec_b64 s[18:19], vcc
	s_cbranch_execz .LBB673_301
; %bb.300:                              ;   in Loop: Header=BB673_213 Depth=1
	v_and_b32_e32 v47, 7, v40
	v_ffbh_u32_e32 v53, v47
	v_min_u32_e32 v53, 32, v53
	v_subrev_u32_e32 v65, 28, v53
	v_lshlrev_b64 v[66:67], v65, v[40:41]
	v_lshrrev_b32_e32 v51, 3, v42
	v_sub_u32_e32 v53, 29, v53
	v_and_b32_e32 v65, 7, v66
	v_cmp_gt_u32_e32 vcc, 8, v42
	v_cndmask_b32_e32 v42, v51, v53, vcc
	v_cndmask_b32_e32 v47, v47, v65, vcc
	v_lshlrev_b32_e32 v40, 24, v40
	v_lshlrev_b32_e32 v47, 20, v47
	v_and_b32_e32 v40, 0x80000000, v40
	v_lshl_add_u32 v42, v42, 23, v45
	v_or3_b32 v51, v40, v42, v47
.LBB673_301:                            ;   in Loop: Header=BB673_213 Depth=1
	s_or_b64 exec, exec, s[18:19]
.LBB673_302:                            ;   in Loop: Header=BB673_213 Depth=1
	s_or_b64 exec, exec, s[16:17]
.LBB673_303:                            ;   in Loop: Header=BB673_213 Depth=1
	s_or_b64 exec, exec, s[14:15]
	v_cmp_lt_u32_e32 vcc, s22, v38
	v_mov_b32_e32 v47, 0
	v_mov_b32_e32 v53, 0
	s_and_saveexec_b64 s[14:15], vcc
	s_cbranch_execz .LBB673_309
; %bb.304:                              ;   in Loop: Header=BB673_213 Depth=1
	v_lshrrev_b32_e32 v40, 24, v38
	v_cmp_ne_u32_e32 vcc, s9, v40
	v_bfrev_b32_e32 v53, 1
	s_and_saveexec_b64 s[16:17], vcc
	s_cbranch_execz .LBB673_308
; %bb.305:                              ;   in Loop: Header=BB673_213 Depth=1
	v_bfe_u32 v38, v38, 24, 7
	v_cmp_ne_u32_e32 vcc, s21, v38
	v_mov_b32_e32 v53, 0x7f800001
	s_and_saveexec_b64 s[18:19], vcc
	s_cbranch_execz .LBB673_307
; %bb.306:                              ;   in Loop: Header=BB673_213 Depth=1
	v_and_b32_e32 v42, 7, v40
	v_ffbh_u32_e32 v65, v42
	v_min_u32_e32 v65, 32, v65
	v_subrev_u32_e32 v66, 28, v65
	v_lshlrev_b64 v[66:67], v66, v[40:41]
	v_lshrrev_b32_e32 v53, 3, v38
	v_sub_u32_e32 v65, 29, v65
	v_and_b32_e32 v66, 7, v66
	v_cmp_gt_u32_e32 vcc, 8, v38
	v_cndmask_b32_e32 v38, v53, v65, vcc
	v_cndmask_b32_e32 v42, v42, v66, vcc
	v_lshlrev_b32_e32 v40, 24, v40
	v_lshlrev_b32_e32 v42, 20, v42
	v_and_b32_e32 v40, 0x80000000, v40
	v_lshl_add_u32 v38, v38, 23, v45
	v_or3_b32 v53, v40, v38, v42
.LBB673_307:                            ;   in Loop: Header=BB673_213 Depth=1
	s_or_b64 exec, exec, s[18:19]
.LBB673_308:                            ;   in Loop: Header=BB673_213 Depth=1
	s_or_b64 exec, exec, s[16:17]
.LBB673_309:                            ;   in Loop: Header=BB673_213 Depth=1
	s_or_b64 exec, exec, s[14:15]
	v_cvt_pkrtz_f16_f32 v67, v44, v50
	buffer_load_dword v44, v64, s[0:3], 0 offen
	buffer_load_dword v42, v64, s[0:3], 0 offen offset:4
	buffer_load_dword v40, v64, s[0:3], 0 offen offset:8
	;; [unrolled: 1-line block ×3, first 2 shown]
	v_cvt_pkrtz_f16_f32 v66, v46, v48
	v_cvt_pkrtz_f16_f32 v48, v49, v52
	;; [unrolled: 1-line block ×3, first 2 shown]
	v_mfma_f32_16x16x16f16 v[34:37], v[66:67], v[6:7], v[34:37]
	s_waitcnt vmcnt(3)
	v_cmp_ne_u16_sdwa s[16:17], v44, v43 src0_sel:BYTE_0 src1_sel:DWORD
	v_mfma_f32_16x16x16f16 v[34:37], v[48:49], v[8:9], v[34:37]
	s_and_saveexec_b64 s[14:15], s[16:17]
	s_cbranch_execz .LBB673_315
; %bb.310:                              ;   in Loop: Header=BB673_213 Depth=1
	v_cmp_ne_u16_sdwa s[18:19], v44, s9 src0_sel:BYTE_0 src1_sel:DWORD
	v_bfrev_b32_e32 v47, 1
	s_and_saveexec_b64 s[16:17], s[18:19]
	s_cbranch_execz .LBB673_314
; %bb.311:                              ;   in Loop: Header=BB673_213 Depth=1
	v_and_b32_e32 v46, 0x7f, v44
	v_cmp_ne_u32_e32 vcc, s21, v46
	v_mov_b32_e32 v47, 0x7f800001
	s_and_saveexec_b64 s[18:19], vcc
	s_cbranch_execz .LBB673_313
; %bb.312:                              ;   in Loop: Header=BB673_213 Depth=1
	v_and_b32_e32 v47, 7, v44
	v_ffbh_u32_e32 v48, v47
	v_min_u32_e32 v51, 32, v48
	v_subrev_u32_e32 v48, 28, v51
	v_lshlrev_b64 v[48:49], v48, v[44:45]
	v_lshrrev_b32_e32 v50, 3, v46
	v_sub_u32_e32 v49, 29, v51
	v_and_b32_e32 v48, 7, v48
	v_cmp_gt_u32_e32 vcc, 8, v46
	v_cndmask_b32_e32 v46, v50, v49, vcc
	v_cndmask_b32_e32 v47, v47, v48, vcc
	v_lshlrev_b32_e32 v48, 24, v44
	v_lshlrev_b32_e32 v47, 20, v47
	v_and_b32_e32 v48, 0x80000000, v48
	v_lshl_add_u32 v46, v46, 23, v45
	v_or3_b32 v47, v48, v46, v47
.LBB673_313:                            ;   in Loop: Header=BB673_213 Depth=1
	s_or_b64 exec, exec, s[18:19]
.LBB673_314:                            ;   in Loop: Header=BB673_213 Depth=1
	s_or_b64 exec, exec, s[16:17]
.LBB673_315:                            ;   in Loop: Header=BB673_213 Depth=1
	s_or_b64 exec, exec, s[14:15]
	v_lshrrev_b16_e32 v46, 8, v44
	v_cmp_ne_u16_e32 vcc, 0, v46
	v_mov_b32_e32 v48, 0
	v_mov_b32_e32 v49, 0
	s_and_saveexec_b64 s[14:15], vcc
	s_cbranch_execz .LBB673_321
; %bb.316:                              ;   in Loop: Header=BB673_213 Depth=1
	v_cmp_ne_u16_e32 vcc, s9, v46
	v_bfrev_b32_e32 v49, 1
	s_and_saveexec_b64 s[16:17], vcc
	s_cbranch_execz .LBB673_320
; %bb.317:                              ;   in Loop: Header=BB673_213 Depth=1
	v_and_b32_e32 v50, 0x7f, v46
	v_cmp_ne_u32_e32 vcc, s21, v50
	v_mov_b32_e32 v49, 0x7f800001
	s_and_saveexec_b64 s[18:19], vcc
	s_cbranch_execz .LBB673_319
; %bb.318:                              ;   in Loop: Header=BB673_213 Depth=1
	v_and_b32_e32 v49, 7, v46
	v_ffbh_u32_e32 v52, v49
	v_min_u32_e32 v64, 32, v52
	v_subrev_u32_e32 v52, 28, v64
	v_lshlrev_b64 v[52:53], v52, v[46:47]
	v_lshrrev_b32_e32 v51, 3, v50
	v_sub_u32_e32 v46, 29, v64
	v_and_b32_e32 v52, 7, v52
	v_cmp_gt_u32_e32 vcc, 8, v50
	v_cndmask_b32_e32 v46, v51, v46, vcc
	v_cndmask_b32_e32 v49, v49, v52, vcc
	v_lshlrev_b32_e32 v50, 16, v44
	v_lshlrev_b32_e32 v49, 20, v49
	v_and_b32_e32 v50, 0x80000000, v50
	v_lshl_add_u32 v46, v46, 23, v45
	v_or3_b32 v49, v50, v46, v49
.LBB673_319:                            ;   in Loop: Header=BB673_213 Depth=1
	s_or_b64 exec, exec, s[18:19]
.LBB673_320:                            ;   in Loop: Header=BB673_213 Depth=1
	s_or_b64 exec, exec, s[16:17]
.LBB673_321:                            ;   in Loop: Header=BB673_213 Depth=1
	s_or_b64 exec, exec, s[14:15]
	v_lshrrev_b32_e32 v46, 16, v44
	v_cmp_ne_u16_sdwa s[16:17], v46, v43 src0_sel:BYTE_0 src1_sel:DWORD
	s_and_saveexec_b64 s[14:15], s[16:17]
	s_cbranch_execz .LBB673_327
; %bb.322:                              ;   in Loop: Header=BB673_213 Depth=1
	v_cmp_ne_u16_sdwa s[18:19], v46, s9 src0_sel:BYTE_0 src1_sel:DWORD
	v_bfrev_b32_e32 v48, 1
	s_and_saveexec_b64 s[16:17], s[18:19]
	s_cbranch_execz .LBB673_326
; %bb.323:                              ;   in Loop: Header=BB673_213 Depth=1
	v_bfe_u32 v50, v44, 16, 7
	v_cmp_ne_u32_e32 vcc, s21, v50
	v_mov_b32_e32 v48, 0x7f800001
	s_and_saveexec_b64 s[18:19], vcc
	s_cbranch_execz .LBB673_325
; %bb.324:                              ;   in Loop: Header=BB673_213 Depth=1
	v_and_b32_e32 v48, 7, v46
	v_ffbh_u32_e32 v52, v48
	v_min_u32_e32 v64, 32, v52
	v_subrev_u32_e32 v52, 28, v64
	v_lshlrev_b64 v[52:53], v52, v[46:47]
	v_lshrrev_b32_e32 v51, 3, v50
	v_sub_u32_e32 v53, 29, v64
	v_and_b32_e32 v52, 7, v52
	v_cmp_gt_u32_e32 vcc, 8, v50
	v_cndmask_b32_e32 v50, v51, v53, vcc
	v_cndmask_b32_e32 v48, v48, v52, vcc
	v_lshlrev_b32_e32 v46, 24, v46
	v_lshlrev_b32_e32 v48, 20, v48
	v_and_b32_e32 v46, 0x80000000, v46
	v_lshl_add_u32 v50, v50, 23, v45
	v_or3_b32 v48, v46, v50, v48
.LBB673_325:                            ;   in Loop: Header=BB673_213 Depth=1
	s_or_b64 exec, exec, s[18:19]
.LBB673_326:                            ;   in Loop: Header=BB673_213 Depth=1
	s_or_b64 exec, exec, s[16:17]
.LBB673_327:                            ;   in Loop: Header=BB673_213 Depth=1
	s_or_b64 exec, exec, s[14:15]
	v_cmp_lt_u32_e32 vcc, s22, v44
	v_mov_b32_e32 v50, 0
	v_mov_b32_e32 v51, 0
	s_and_saveexec_b64 s[14:15], vcc
	s_cbranch_execz .LBB673_333
; %bb.328:                              ;   in Loop: Header=BB673_213 Depth=1
	v_lshrrev_b32_e32 v46, 24, v44
	v_cmp_ne_u32_e32 vcc, s9, v46
	v_bfrev_b32_e32 v51, 1
	s_and_saveexec_b64 s[16:17], vcc
	s_cbranch_execz .LBB673_332
; %bb.329:                              ;   in Loop: Header=BB673_213 Depth=1
	v_bfe_u32 v44, v44, 24, 7
	v_cmp_ne_u32_e32 vcc, s21, v44
	v_mov_b32_e32 v51, 0x7f800001
	s_and_saveexec_b64 s[18:19], vcc
	s_cbranch_execz .LBB673_331
; %bb.330:                              ;   in Loop: Header=BB673_213 Depth=1
	v_and_b32_e32 v51, 7, v46
	v_ffbh_u32_e32 v52, v51
	v_min_u32_e32 v65, 32, v52
	v_subrev_u32_e32 v52, 28, v65
	v_lshlrev_b64 v[52:53], v52, v[46:47]
	v_lshrrev_b32_e32 v64, 3, v44
	v_sub_u32_e32 v53, 29, v65
	v_and_b32_e32 v52, 7, v52
	v_cmp_gt_u32_e32 vcc, 8, v44
	v_cndmask_b32_e32 v44, v64, v53, vcc
	v_cndmask_b32_e32 v51, v51, v52, vcc
	v_lshlrev_b32_e32 v46, 24, v46
	v_lshlrev_b32_e32 v51, 20, v51
	v_and_b32_e32 v46, 0x80000000, v46
	v_lshl_add_u32 v44, v44, 23, v45
	v_or3_b32 v51, v46, v44, v51
.LBB673_331:                            ;   in Loop: Header=BB673_213 Depth=1
	s_or_b64 exec, exec, s[18:19]
.LBB673_332:                            ;   in Loop: Header=BB673_213 Depth=1
	s_or_b64 exec, exec, s[16:17]
.LBB673_333:                            ;   in Loop: Header=BB673_213 Depth=1
	s_or_b64 exec, exec, s[14:15]
	s_waitcnt vmcnt(2)
	v_cmp_ne_u16_sdwa s[16:17], v42, v43 src0_sel:BYTE_0 src1_sel:DWORD
	s_and_saveexec_b64 s[14:15], s[16:17]
	s_cbranch_execz .LBB673_339
; %bb.334:                              ;   in Loop: Header=BB673_213 Depth=1
	v_cmp_ne_u16_sdwa s[18:19], v42, s9 src0_sel:BYTE_0 src1_sel:DWORD
	v_bfrev_b32_e32 v50, 1
	s_and_saveexec_b64 s[16:17], s[18:19]
	s_cbranch_execz .LBB673_338
; %bb.335:                              ;   in Loop: Header=BB673_213 Depth=1
	v_and_b32_e32 v44, 0x7f, v42
	v_cmp_ne_u32_e32 vcc, s21, v44
	v_mov_b32_e32 v50, 0x7f800001
	s_and_saveexec_b64 s[18:19], vcc
	s_cbranch_execz .LBB673_337
; %bb.336:                              ;   in Loop: Header=BB673_213 Depth=1
	v_and_b32_e32 v46, 7, v42
	v_ffbh_u32_e32 v52, v46
	v_min_u32_e32 v64, 32, v52
	v_subrev_u32_e32 v52, 28, v64
	v_lshlrev_b64 v[52:53], v52, v[42:43]
	v_lshrrev_b32_e32 v50, 3, v44
	v_sub_u32_e32 v53, 29, v64
	v_and_b32_e32 v52, 7, v52
	v_cmp_gt_u32_e32 vcc, 8, v44
	v_cndmask_b32_e32 v44, v50, v53, vcc
	v_cndmask_b32_e32 v46, v46, v52, vcc
	v_lshlrev_b32_e32 v50, 24, v42
	v_lshlrev_b32_e32 v46, 20, v46
	v_and_b32_e32 v50, 0x80000000, v50
	v_lshl_add_u32 v44, v44, 23, v45
	v_or3_b32 v50, v50, v44, v46
.LBB673_337:                            ;   in Loop: Header=BB673_213 Depth=1
	s_or_b64 exec, exec, s[18:19]
.LBB673_338:                            ;   in Loop: Header=BB673_213 Depth=1
	s_or_b64 exec, exec, s[16:17]
.LBB673_339:                            ;   in Loop: Header=BB673_213 Depth=1
	s_or_b64 exec, exec, s[14:15]
	v_lshrrev_b16_e32 v44, 8, v42
	v_cmp_ne_u16_e32 vcc, 0, v44
	v_mov_b32_e32 v52, 0
	v_mov_b32_e32 v53, 0
	s_and_saveexec_b64 s[14:15], vcc
	s_cbranch_execz .LBB673_345
; %bb.340:                              ;   in Loop: Header=BB673_213 Depth=1
	v_cmp_ne_u16_e32 vcc, s9, v44
	v_bfrev_b32_e32 v53, 1
	s_and_saveexec_b64 s[16:17], vcc
	s_cbranch_execz .LBB673_344
; %bb.341:                              ;   in Loop: Header=BB673_213 Depth=1
	v_and_b32_e32 v46, 0x7f, v44
	v_cmp_ne_u32_e32 vcc, s21, v46
	v_mov_b32_e32 v53, 0x7f800001
	s_and_saveexec_b64 s[18:19], vcc
	s_cbranch_execz .LBB673_343
; %bb.342:                              ;   in Loop: Header=BB673_213 Depth=1
	v_and_b32_e32 v53, 7, v44
	v_ffbh_u32_e32 v64, v53
	v_min_u32_e32 v67, 32, v64
	v_subrev_u32_e32 v64, 28, v67
	v_lshlrev_b64 v[64:65], v64, v[44:45]
	v_lshrrev_b32_e32 v66, 3, v46
	v_sub_u32_e32 v44, 29, v67
	v_and_b32_e32 v64, 7, v64
	v_cmp_gt_u32_e32 vcc, 8, v46
	v_cndmask_b32_e32 v44, v66, v44, vcc
	v_cndmask_b32_e32 v46, v53, v64, vcc
	v_lshlrev_b32_e32 v53, 16, v42
	v_lshlrev_b32_e32 v46, 20, v46
	v_and_b32_e32 v53, 0x80000000, v53
	v_lshl_add_u32 v44, v44, 23, v45
	v_or3_b32 v53, v53, v44, v46
.LBB673_343:                            ;   in Loop: Header=BB673_213 Depth=1
	s_or_b64 exec, exec, s[18:19]
.LBB673_344:                            ;   in Loop: Header=BB673_213 Depth=1
	s_or_b64 exec, exec, s[16:17]
.LBB673_345:                            ;   in Loop: Header=BB673_213 Depth=1
	s_or_b64 exec, exec, s[14:15]
	v_lshrrev_b32_e32 v44, 16, v42
	v_cmp_ne_u16_sdwa s[16:17], v44, v43 src0_sel:BYTE_0 src1_sel:DWORD
	s_and_saveexec_b64 s[14:15], s[16:17]
	s_cbranch_execz .LBB673_351
; %bb.346:                              ;   in Loop: Header=BB673_213 Depth=1
	v_cmp_ne_u16_sdwa s[18:19], v44, s9 src0_sel:BYTE_0 src1_sel:DWORD
	v_bfrev_b32_e32 v52, 1
	s_and_saveexec_b64 s[16:17], s[18:19]
	s_cbranch_execz .LBB673_350
; %bb.347:                              ;   in Loop: Header=BB673_213 Depth=1
	v_bfe_u32 v46, v42, 16, 7
	v_cmp_ne_u32_e32 vcc, s21, v46
	v_mov_b32_e32 v52, 0x7f800001
	s_and_saveexec_b64 s[18:19], vcc
	s_cbranch_execz .LBB673_349
; %bb.348:                              ;   in Loop: Header=BB673_213 Depth=1
	v_and_b32_e32 v52, 7, v44
	v_ffbh_u32_e32 v64, v52
	v_min_u32_e32 v67, 32, v64
	v_subrev_u32_e32 v64, 28, v67
	v_lshlrev_b64 v[64:65], v64, v[44:45]
	v_lshrrev_b32_e32 v66, 3, v46
	v_sub_u32_e32 v65, 29, v67
	v_and_b32_e32 v64, 7, v64
	v_cmp_gt_u32_e32 vcc, 8, v46
	v_cndmask_b32_e32 v46, v66, v65, vcc
	v_cndmask_b32_e32 v52, v52, v64, vcc
	v_lshlrev_b32_e32 v44, 24, v44
	v_lshlrev_b32_e32 v52, 20, v52
	v_and_b32_e32 v44, 0x80000000, v44
	v_lshl_add_u32 v46, v46, 23, v45
	v_or3_b32 v52, v44, v46, v52
.LBB673_349:                            ;   in Loop: Header=BB673_213 Depth=1
	s_or_b64 exec, exec, s[18:19]
.LBB673_350:                            ;   in Loop: Header=BB673_213 Depth=1
	s_or_b64 exec, exec, s[16:17]
.LBB673_351:                            ;   in Loop: Header=BB673_213 Depth=1
	s_or_b64 exec, exec, s[14:15]
	v_cmp_lt_u32_e32 vcc, s22, v42
	v_mov_b32_e32 v46, 0
	v_mov_b32_e32 v64, 0
	s_and_saveexec_b64 s[14:15], vcc
	s_cbranch_execz .LBB673_357
; %bb.352:                              ;   in Loop: Header=BB673_213 Depth=1
	v_lshrrev_b32_e32 v44, 24, v42
	v_cmp_ne_u32_e32 vcc, s9, v44
	v_bfrev_b32_e32 v64, 1
	s_and_saveexec_b64 s[16:17], vcc
	s_cbranch_execz .LBB673_356
; %bb.353:                              ;   in Loop: Header=BB673_213 Depth=1
	v_bfe_u32 v42, v42, 24, 7
	v_cmp_ne_u32_e32 vcc, s21, v42
	v_mov_b32_e32 v64, 0x7f800001
	s_and_saveexec_b64 s[18:19], vcc
	s_cbranch_execz .LBB673_355
; %bb.354:                              ;   in Loop: Header=BB673_213 Depth=1
	v_and_b32_e32 v66, 7, v44
	v_ffbh_u32_e32 v64, v66
	v_min_u32_e32 v68, 32, v64
	v_subrev_u32_e32 v64, 28, v68
	v_lshlrev_b64 v[64:65], v64, v[44:45]
	v_lshrrev_b32_e32 v67, 3, v42
	v_sub_u32_e32 v65, 29, v68
	v_and_b32_e32 v64, 7, v64
	v_cmp_gt_u32_e32 vcc, 8, v42
	v_cndmask_b32_e32 v42, v67, v65, vcc
	v_cndmask_b32_e32 v64, v66, v64, vcc
	v_lshlrev_b32_e32 v44, 24, v44
	v_lshlrev_b32_e32 v64, 20, v64
	v_and_b32_e32 v44, 0x80000000, v44
	v_lshl_add_u32 v42, v42, 23, v45
	v_or3_b32 v64, v44, v42, v64
.LBB673_355:                            ;   in Loop: Header=BB673_213 Depth=1
	s_or_b64 exec, exec, s[18:19]
.LBB673_356:                            ;   in Loop: Header=BB673_213 Depth=1
	s_or_b64 exec, exec, s[16:17]
.LBB673_357:                            ;   in Loop: Header=BB673_213 Depth=1
	s_or_b64 exec, exec, s[14:15]
	v_cvt_pkrtz_f16_f32 v66, v47, v49
	v_cvt_pkrtz_f16_f32 v67, v48, v51
	;; [unrolled: 1-line block ×4, first 2 shown]
	s_waitcnt vmcnt(1)
	v_cmp_ne_u16_sdwa s[16:17], v40, v43 src0_sel:BYTE_0 src1_sel:DWORD
	v_mfma_f32_16x16x16f16 v[34:37], v[66:67], v[10:11], v[34:37]
	v_mfma_f32_16x16x16f16 v[34:37], v[48:49], v[12:13], v[34:37]
	s_and_saveexec_b64 s[14:15], s[16:17]
	s_cbranch_execz .LBB673_363
; %bb.358:                              ;   in Loop: Header=BB673_213 Depth=1
	v_cmp_ne_u16_sdwa s[18:19], v40, s9 src0_sel:BYTE_0 src1_sel:DWORD
	v_bfrev_b32_e32 v46, 1
	s_and_saveexec_b64 s[16:17], s[18:19]
	s_cbranch_execz .LBB673_362
; %bb.359:                              ;   in Loop: Header=BB673_213 Depth=1
	v_and_b32_e32 v42, 0x7f, v40
	v_cmp_ne_u32_e32 vcc, s21, v42
	v_mov_b32_e32 v46, 0x7f800001
	s_and_saveexec_b64 s[18:19], vcc
	s_cbranch_execz .LBB673_361
; %bb.360:                              ;   in Loop: Header=BB673_213 Depth=1
	v_and_b32_e32 v44, 7, v40
	v_ffbh_u32_e32 v46, v44
	v_min_u32_e32 v49, 32, v46
	v_subrev_u32_e32 v46, 28, v49
	v_lshlrev_b64 v[46:47], v46, v[40:41]
	v_lshrrev_b32_e32 v48, 3, v42
	v_sub_u32_e32 v47, 29, v49
	v_and_b32_e32 v46, 7, v46
	v_cmp_gt_u32_e32 vcc, 8, v42
	v_cndmask_b32_e32 v42, v48, v47, vcc
	v_cndmask_b32_e32 v44, v44, v46, vcc
	v_lshlrev_b32_e32 v46, 24, v40
	v_lshlrev_b32_e32 v44, 20, v44
	v_and_b32_e32 v46, 0x80000000, v46
	v_lshl_add_u32 v42, v42, 23, v45
	v_or3_b32 v46, v46, v42, v44
.LBB673_361:                            ;   in Loop: Header=BB673_213 Depth=1
	s_or_b64 exec, exec, s[18:19]
.LBB673_362:                            ;   in Loop: Header=BB673_213 Depth=1
	s_or_b64 exec, exec, s[16:17]
.LBB673_363:                            ;   in Loop: Header=BB673_213 Depth=1
	s_or_b64 exec, exec, s[14:15]
	v_lshrrev_b16_e32 v42, 8, v40
	v_cmp_ne_u16_e32 vcc, 0, v42
	v_mov_b32_e32 v44, 0
	v_mov_b32_e32 v48, 0
	s_and_saveexec_b64 s[14:15], vcc
	s_cbranch_execz .LBB673_369
; %bb.364:                              ;   in Loop: Header=BB673_213 Depth=1
	v_cmp_ne_u16_e32 vcc, s9, v42
	v_bfrev_b32_e32 v48, 1
	s_and_saveexec_b64 s[16:17], vcc
	s_cbranch_execz .LBB673_368
; %bb.365:                              ;   in Loop: Header=BB673_213 Depth=1
	v_and_b32_e32 v47, 0x7f, v42
	v_cmp_ne_u32_e32 vcc, s21, v47
	v_mov_b32_e32 v48, 0x7f800001
	s_and_saveexec_b64 s[18:19], vcc
	s_cbranch_execz .LBB673_367
; %bb.366:                              ;   in Loop: Header=BB673_213 Depth=1
	v_and_b32_e32 v50, 7, v42
	v_ffbh_u32_e32 v48, v50
	v_min_u32_e32 v52, 32, v48
	v_subrev_u32_e32 v48, 28, v52
	v_lshlrev_b64 v[48:49], v48, v[42:43]
	v_lshrrev_b32_e32 v51, 3, v47
	v_sub_u32_e32 v42, 29, v52
	v_and_b32_e32 v48, 7, v48
	v_cmp_gt_u32_e32 vcc, 8, v47
	v_cndmask_b32_e32 v42, v51, v42, vcc
	v_cndmask_b32_e32 v47, v50, v48, vcc
	v_lshlrev_b32_e32 v48, 16, v40
	v_lshlrev_b32_e32 v47, 20, v47
	v_and_b32_e32 v48, 0x80000000, v48
	v_lshl_add_u32 v42, v42, 23, v45
	v_or3_b32 v48, v48, v42, v47
.LBB673_367:                            ;   in Loop: Header=BB673_213 Depth=1
	s_or_b64 exec, exec, s[18:19]
.LBB673_368:                            ;   in Loop: Header=BB673_213 Depth=1
	s_or_b64 exec, exec, s[16:17]
.LBB673_369:                            ;   in Loop: Header=BB673_213 Depth=1
	s_or_b64 exec, exec, s[14:15]
	v_lshrrev_b32_e32 v42, 16, v40
	v_cmp_ne_u16_sdwa s[16:17], v42, v43 src0_sel:BYTE_0 src1_sel:DWORD
	s_and_saveexec_b64 s[14:15], s[16:17]
	s_cbranch_execz .LBB673_375
; %bb.370:                              ;   in Loop: Header=BB673_213 Depth=1
	v_cmp_ne_u16_sdwa s[18:19], v42, s9 src0_sel:BYTE_0 src1_sel:DWORD
	v_bfrev_b32_e32 v44, 1
	s_and_saveexec_b64 s[16:17], s[18:19]
	s_cbranch_execz .LBB673_374
; %bb.371:                              ;   in Loop: Header=BB673_213 Depth=1
	v_bfe_u32 v47, v40, 16, 7
	v_cmp_ne_u32_e32 vcc, s21, v47
	v_mov_b32_e32 v44, 0x7f800001
	s_and_saveexec_b64 s[18:19], vcc
	s_cbranch_execz .LBB673_373
; %bb.372:                              ;   in Loop: Header=BB673_213 Depth=1
	v_and_b32_e32 v44, 7, v42
	v_ffbh_u32_e32 v50, v44
	v_min_u32_e32 v52, 32, v50
	v_subrev_u32_e32 v50, 28, v52
	v_lshlrev_b64 v[50:51], v50, v[42:43]
	v_lshrrev_b32_e32 v49, 3, v47
	v_sub_u32_e32 v51, 29, v52
	v_and_b32_e32 v50, 7, v50
	v_cmp_gt_u32_e32 vcc, 8, v47
	v_cndmask_b32_e32 v47, v49, v51, vcc
	v_cndmask_b32_e32 v44, v44, v50, vcc
	v_lshlrev_b32_e32 v42, 24, v42
	v_lshlrev_b32_e32 v44, 20, v44
	v_and_b32_e32 v42, 0x80000000, v42
	v_lshl_add_u32 v47, v47, 23, v45
	v_or3_b32 v44, v42, v47, v44
.LBB673_373:                            ;   in Loop: Header=BB673_213 Depth=1
	s_or_b64 exec, exec, s[18:19]
.LBB673_374:                            ;   in Loop: Header=BB673_213 Depth=1
	s_or_b64 exec, exec, s[16:17]
.LBB673_375:                            ;   in Loop: Header=BB673_213 Depth=1
	s_or_b64 exec, exec, s[14:15]
	v_cmp_lt_u32_e32 vcc, s22, v40
	v_mov_b32_e32 v49, 0
	v_mov_b32_e32 v50, 0
	s_and_saveexec_b64 s[14:15], vcc
	s_cbranch_execz .LBB673_381
; %bb.376:                              ;   in Loop: Header=BB673_213 Depth=1
	v_lshrrev_b32_e32 v42, 24, v40
	v_cmp_ne_u32_e32 vcc, s9, v42
	v_bfrev_b32_e32 v50, 1
	s_and_saveexec_b64 s[16:17], vcc
	s_cbranch_execz .LBB673_380
; %bb.377:                              ;   in Loop: Header=BB673_213 Depth=1
	v_bfe_u32 v40, v40, 24, 7
	v_cmp_ne_u32_e32 vcc, s21, v40
	v_mov_b32_e32 v50, 0x7f800001
	s_and_saveexec_b64 s[18:19], vcc
	s_cbranch_execz .LBB673_379
; %bb.378:                              ;   in Loop: Header=BB673_213 Depth=1
	v_and_b32_e32 v47, 7, v42
	v_ffbh_u32_e32 v50, v47
	v_min_u32_e32 v53, 32, v50
	v_subrev_u32_e32 v50, 28, v53
	v_lshlrev_b64 v[50:51], v50, v[42:43]
	v_lshrrev_b32_e32 v52, 3, v40
	v_sub_u32_e32 v51, 29, v53
	v_and_b32_e32 v50, 7, v50
	v_cmp_gt_u32_e32 vcc, 8, v40
	v_cndmask_b32_e32 v40, v52, v51, vcc
	v_cndmask_b32_e32 v47, v47, v50, vcc
	v_lshlrev_b32_e32 v42, 24, v42
	v_lshlrev_b32_e32 v47, 20, v47
	v_and_b32_e32 v42, 0x80000000, v42
	v_lshl_add_u32 v40, v40, 23, v45
	v_or3_b32 v50, v42, v40, v47
.LBB673_379:                            ;   in Loop: Header=BB673_213 Depth=1
	s_or_b64 exec, exec, s[18:19]
.LBB673_380:                            ;   in Loop: Header=BB673_213 Depth=1
	s_or_b64 exec, exec, s[16:17]
.LBB673_381:                            ;   in Loop: Header=BB673_213 Depth=1
	s_or_b64 exec, exec, s[14:15]
	s_waitcnt vmcnt(0)
	v_cmp_ne_u16_sdwa s[16:17], v38, v43 src0_sel:BYTE_0 src1_sel:DWORD
	s_and_saveexec_b64 s[14:15], s[16:17]
	s_cbranch_execz .LBB673_387
; %bb.382:                              ;   in Loop: Header=BB673_213 Depth=1
	v_cmp_ne_u16_sdwa s[18:19], v38, s9 src0_sel:BYTE_0 src1_sel:DWORD
	v_bfrev_b32_e32 v49, 1
	s_and_saveexec_b64 s[16:17], s[18:19]
	s_cbranch_execz .LBB673_386
; %bb.383:                              ;   in Loop: Header=BB673_213 Depth=1
	v_and_b32_e32 v40, 0x7f, v38
	v_cmp_ne_u32_e32 vcc, s21, v40
	v_mov_b32_e32 v49, 0x7f800001
	s_and_saveexec_b64 s[18:19], vcc
	s_cbranch_execz .LBB673_385
; %bb.384:                              ;   in Loop: Header=BB673_213 Depth=1
	v_and_b32_e32 v42, 7, v38
	v_ffbh_u32_e32 v49, v42
	v_min_u32_e32 v49, 32, v49
	v_subrev_u32_e32 v51, 28, v49
	v_lshlrev_b64 v[52:53], v51, v[38:39]
	v_lshrrev_b32_e32 v47, 3, v40
	v_sub_u32_e32 v49, 29, v49
	v_and_b32_e32 v51, 7, v52
	v_cmp_gt_u32_e32 vcc, 8, v40
	v_cndmask_b32_e32 v40, v47, v49, vcc
	v_cndmask_b32_e32 v42, v42, v51, vcc
	v_lshlrev_b32_e32 v47, 24, v38
	v_lshlrev_b32_e32 v42, 20, v42
	v_and_b32_e32 v47, 0x80000000, v47
	v_lshl_add_u32 v40, v40, 23, v45
	v_or3_b32 v49, v47, v40, v42
.LBB673_385:                            ;   in Loop: Header=BB673_213 Depth=1
	s_or_b64 exec, exec, s[18:19]
.LBB673_386:                            ;   in Loop: Header=BB673_213 Depth=1
	s_or_b64 exec, exec, s[16:17]
.LBB673_387:                            ;   in Loop: Header=BB673_213 Depth=1
	s_or_b64 exec, exec, s[14:15]
	v_lshrrev_b16_e32 v40, 8, v38
	v_cmp_ne_u16_e32 vcc, 0, v40
	v_mov_b32_e32 v51, 0
	v_mov_b32_e32 v52, 0
	s_and_saveexec_b64 s[14:15], vcc
	s_cbranch_execz .LBB673_393
; %bb.388:                              ;   in Loop: Header=BB673_213 Depth=1
	v_cmp_ne_u16_e32 vcc, s9, v40
	v_bfrev_b32_e32 v52, 1
	s_and_saveexec_b64 s[16:17], vcc
	s_cbranch_execz .LBB673_392
; %bb.389:                              ;   in Loop: Header=BB673_213 Depth=1
	v_and_b32_e32 v42, 0x7f, v40
	v_cmp_ne_u32_e32 vcc, s21, v42
	v_mov_b32_e32 v52, 0x7f800001
	s_and_saveexec_b64 s[18:19], vcc
	s_cbranch_execz .LBB673_391
; %bb.390:                              ;   in Loop: Header=BB673_213 Depth=1
	v_and_b32_e32 v47, 7, v40
	v_ffbh_u32_e32 v52, v47
	v_min_u32_e32 v65, 32, v52
	v_subrev_u32_e32 v52, 28, v65
	v_lshlrev_b64 v[52:53], v52, v[40:41]
	v_lshrrev_b32_e32 v64, 3, v42
	v_sub_u32_e32 v40, 29, v65
	v_and_b32_e32 v52, 7, v52
	v_cmp_gt_u32_e32 vcc, 8, v42
	v_cndmask_b32_e32 v40, v64, v40, vcc
	v_cndmask_b32_e32 v42, v47, v52, vcc
	v_lshlrev_b32_e32 v47, 16, v38
	v_lshlrev_b32_e32 v42, 20, v42
	v_and_b32_e32 v47, 0x80000000, v47
	v_lshl_add_u32 v40, v40, 23, v45
	v_or3_b32 v52, v47, v40, v42
.LBB673_391:                            ;   in Loop: Header=BB673_213 Depth=1
	s_or_b64 exec, exec, s[18:19]
.LBB673_392:                            ;   in Loop: Header=BB673_213 Depth=1
	s_or_b64 exec, exec, s[16:17]
.LBB673_393:                            ;   in Loop: Header=BB673_213 Depth=1
	s_or_b64 exec, exec, s[14:15]
	v_lshrrev_b32_e32 v40, 16, v38
	v_cmp_ne_u16_sdwa s[16:17], v40, v43 src0_sel:BYTE_0 src1_sel:DWORD
	s_and_saveexec_b64 s[14:15], s[16:17]
	s_cbranch_execz .LBB673_399
; %bb.394:                              ;   in Loop: Header=BB673_213 Depth=1
	v_cmp_ne_u16_sdwa s[18:19], v40, s9 src0_sel:BYTE_0 src1_sel:DWORD
	v_bfrev_b32_e32 v51, 1
	s_and_saveexec_b64 s[16:17], s[18:19]
	s_cbranch_execz .LBB673_398
; %bb.395:                              ;   in Loop: Header=BB673_213 Depth=1
	v_bfe_u32 v42, v38, 16, 7
	v_cmp_ne_u32_e32 vcc, s21, v42
	v_mov_b32_e32 v51, 0x7f800001
	s_and_saveexec_b64 s[18:19], vcc
	s_cbranch_execz .LBB673_397
; %bb.396:                              ;   in Loop: Header=BB673_213 Depth=1
	v_and_b32_e32 v47, 7, v40
	v_ffbh_u32_e32 v53, v47
	v_min_u32_e32 v53, 32, v53
	v_subrev_u32_e32 v64, 28, v53
	v_lshlrev_b64 v[64:65], v64, v[40:41]
	v_lshrrev_b32_e32 v51, 3, v42
	v_sub_u32_e32 v53, 29, v53
	v_and_b32_e32 v64, 7, v64
	v_cmp_gt_u32_e32 vcc, 8, v42
	v_cndmask_b32_e32 v42, v51, v53, vcc
	v_cndmask_b32_e32 v47, v47, v64, vcc
	v_lshlrev_b32_e32 v40, 24, v40
	v_lshlrev_b32_e32 v47, 20, v47
	v_and_b32_e32 v40, 0x80000000, v40
	v_lshl_add_u32 v42, v42, 23, v45
	v_or3_b32 v51, v40, v42, v47
.LBB673_397:                            ;   in Loop: Header=BB673_213 Depth=1
	s_or_b64 exec, exec, s[18:19]
.LBB673_398:                            ;   in Loop: Header=BB673_213 Depth=1
	s_or_b64 exec, exec, s[16:17]
.LBB673_399:                            ;   in Loop: Header=BB673_213 Depth=1
	s_or_b64 exec, exec, s[14:15]
	v_cmp_lt_u32_e32 vcc, s22, v38
	v_mov_b32_e32 v47, 0
	v_mov_b32_e32 v53, 0
	s_and_saveexec_b64 s[14:15], vcc
	s_cbranch_execz .LBB673_405
; %bb.400:                              ;   in Loop: Header=BB673_213 Depth=1
	v_lshrrev_b32_e32 v40, 24, v38
	v_cmp_ne_u32_e32 vcc, s9, v40
	v_bfrev_b32_e32 v53, 1
	s_and_saveexec_b64 s[16:17], vcc
	s_cbranch_execz .LBB673_404
; %bb.401:                              ;   in Loop: Header=BB673_213 Depth=1
	v_bfe_u32 v38, v38, 24, 7
	v_cmp_ne_u32_e32 vcc, s21, v38
	v_mov_b32_e32 v53, 0x7f800001
	s_and_saveexec_b64 s[18:19], vcc
	s_cbranch_execz .LBB673_403
; %bb.402:                              ;   in Loop: Header=BB673_213 Depth=1
	v_and_b32_e32 v42, 7, v40
	v_ffbh_u32_e32 v64, v42
	v_min_u32_e32 v66, 32, v64
	v_subrev_u32_e32 v64, 28, v66
	v_lshlrev_b64 v[64:65], v64, v[40:41]
	v_lshrrev_b32_e32 v53, 3, v38
	v_sub_u32_e32 v65, 29, v66
	v_and_b32_e32 v64, 7, v64
	v_cmp_gt_u32_e32 vcc, 8, v38
	v_cndmask_b32_e32 v38, v53, v65, vcc
	v_cndmask_b32_e32 v42, v42, v64, vcc
	v_lshlrev_b32_e32 v40, 24, v40
	v_lshlrev_b32_e32 v42, 20, v42
	v_and_b32_e32 v40, 0x80000000, v40
	v_lshl_add_u32 v38, v38, 23, v45
	v_or3_b32 v53, v40, v38, v42
.LBB673_403:                            ;   in Loop: Header=BB673_213 Depth=1
	s_or_b64 exec, exec, s[18:19]
.LBB673_404:                            ;   in Loop: Header=BB673_213 Depth=1
	s_or_b64 exec, exec, s[16:17]
.LBB673_405:                            ;   in Loop: Header=BB673_213 Depth=1
	s_or_b64 exec, exec, s[14:15]
	v_cvt_pkrtz_f16_f32 v65, v44, v50
	buffer_load_dword v44, v63, s[0:3], 0 offen
	buffer_load_dword v42, v63, s[0:3], 0 offen offset:4
	buffer_load_dword v40, v63, s[0:3], 0 offen offset:8
	;; [unrolled: 1-line block ×3, first 2 shown]
	v_cvt_pkrtz_f16_f32 v64, v46, v48
	v_cvt_pkrtz_f16_f32 v48, v49, v52
	;; [unrolled: 1-line block ×3, first 2 shown]
	v_mfma_f32_16x16x16f16 v[34:37], v[64:65], v[14:15], v[34:37]
	s_waitcnt vmcnt(3)
	v_cmp_ne_u16_sdwa s[16:17], v44, v43 src0_sel:BYTE_0 src1_sel:DWORD
	v_mfma_f32_16x16x16f16 v[34:37], v[48:49], v[16:17], v[34:37]
	s_and_saveexec_b64 s[14:15], s[16:17]
	s_cbranch_execz .LBB673_411
; %bb.406:                              ;   in Loop: Header=BB673_213 Depth=1
	v_cmp_ne_u16_sdwa s[18:19], v44, s9 src0_sel:BYTE_0 src1_sel:DWORD
	v_bfrev_b32_e32 v47, 1
	s_and_saveexec_b64 s[16:17], s[18:19]
	s_cbranch_execz .LBB673_410
; %bb.407:                              ;   in Loop: Header=BB673_213 Depth=1
	v_and_b32_e32 v46, 0x7f, v44
	v_cmp_ne_u32_e32 vcc, s21, v46
	v_mov_b32_e32 v47, 0x7f800001
	s_and_saveexec_b64 s[18:19], vcc
	s_cbranch_execz .LBB673_409
; %bb.408:                              ;   in Loop: Header=BB673_213 Depth=1
	v_and_b32_e32 v47, 7, v44
	v_ffbh_u32_e32 v48, v47
	v_min_u32_e32 v51, 32, v48
	v_subrev_u32_e32 v48, 28, v51
	v_lshlrev_b64 v[48:49], v48, v[44:45]
	v_lshrrev_b32_e32 v50, 3, v46
	v_sub_u32_e32 v49, 29, v51
	v_and_b32_e32 v48, 7, v48
	v_cmp_gt_u32_e32 vcc, 8, v46
	v_cndmask_b32_e32 v46, v50, v49, vcc
	v_cndmask_b32_e32 v47, v47, v48, vcc
	v_lshlrev_b32_e32 v48, 24, v44
	v_lshlrev_b32_e32 v47, 20, v47
	v_and_b32_e32 v48, 0x80000000, v48
	v_lshl_add_u32 v46, v46, 23, v45
	v_or3_b32 v47, v48, v46, v47
.LBB673_409:                            ;   in Loop: Header=BB673_213 Depth=1
	s_or_b64 exec, exec, s[18:19]
.LBB673_410:                            ;   in Loop: Header=BB673_213 Depth=1
	s_or_b64 exec, exec, s[16:17]
.LBB673_411:                            ;   in Loop: Header=BB673_213 Depth=1
	s_or_b64 exec, exec, s[14:15]
	v_lshrrev_b16_e32 v46, 8, v44
	v_cmp_ne_u16_e32 vcc, 0, v46
	v_mov_b32_e32 v48, 0
	v_mov_b32_e32 v49, 0
	s_and_saveexec_b64 s[14:15], vcc
	s_cbranch_execz .LBB673_417
; %bb.412:                              ;   in Loop: Header=BB673_213 Depth=1
	v_cmp_ne_u16_e32 vcc, s9, v46
	v_bfrev_b32_e32 v49, 1
	s_and_saveexec_b64 s[16:17], vcc
	s_cbranch_execz .LBB673_416
; %bb.413:                              ;   in Loop: Header=BB673_213 Depth=1
	v_and_b32_e32 v50, 0x7f, v46
	v_cmp_ne_u32_e32 vcc, s21, v50
	v_mov_b32_e32 v49, 0x7f800001
	s_and_saveexec_b64 s[18:19], vcc
	s_cbranch_execz .LBB673_415
; %bb.414:                              ;   in Loop: Header=BB673_213 Depth=1
	v_and_b32_e32 v49, 7, v46
	v_ffbh_u32_e32 v52, v49
	v_min_u32_e32 v63, 32, v52
	v_subrev_u32_e32 v52, 28, v63
	v_lshlrev_b64 v[52:53], v52, v[46:47]
	v_lshrrev_b32_e32 v51, 3, v50
	v_sub_u32_e32 v46, 29, v63
	v_and_b32_e32 v52, 7, v52
	v_cmp_gt_u32_e32 vcc, 8, v50
	v_cndmask_b32_e32 v46, v51, v46, vcc
	v_cndmask_b32_e32 v49, v49, v52, vcc
	v_lshlrev_b32_e32 v50, 16, v44
	v_lshlrev_b32_e32 v49, 20, v49
	v_and_b32_e32 v50, 0x80000000, v50
	v_lshl_add_u32 v46, v46, 23, v45
	v_or3_b32 v49, v50, v46, v49
.LBB673_415:                            ;   in Loop: Header=BB673_213 Depth=1
	s_or_b64 exec, exec, s[18:19]
.LBB673_416:                            ;   in Loop: Header=BB673_213 Depth=1
	s_or_b64 exec, exec, s[16:17]
.LBB673_417:                            ;   in Loop: Header=BB673_213 Depth=1
	s_or_b64 exec, exec, s[14:15]
	v_lshrrev_b32_e32 v46, 16, v44
	v_cmp_ne_u16_sdwa s[16:17], v46, v43 src0_sel:BYTE_0 src1_sel:DWORD
	s_and_saveexec_b64 s[14:15], s[16:17]
	s_cbranch_execz .LBB673_423
; %bb.418:                              ;   in Loop: Header=BB673_213 Depth=1
	v_cmp_ne_u16_sdwa s[18:19], v46, s9 src0_sel:BYTE_0 src1_sel:DWORD
	v_bfrev_b32_e32 v48, 1
	s_and_saveexec_b64 s[16:17], s[18:19]
	s_cbranch_execz .LBB673_422
; %bb.419:                              ;   in Loop: Header=BB673_213 Depth=1
	v_bfe_u32 v50, v44, 16, 7
	v_cmp_ne_u32_e32 vcc, s21, v50
	v_mov_b32_e32 v48, 0x7f800001
	s_and_saveexec_b64 s[18:19], vcc
	s_cbranch_execz .LBB673_421
; %bb.420:                              ;   in Loop: Header=BB673_213 Depth=1
	v_and_b32_e32 v48, 7, v46
	v_ffbh_u32_e32 v52, v48
	v_min_u32_e32 v63, 32, v52
	v_subrev_u32_e32 v52, 28, v63
	v_lshlrev_b64 v[52:53], v52, v[46:47]
	v_lshrrev_b32_e32 v51, 3, v50
	v_sub_u32_e32 v53, 29, v63
	v_and_b32_e32 v52, 7, v52
	v_cmp_gt_u32_e32 vcc, 8, v50
	v_cndmask_b32_e32 v50, v51, v53, vcc
	v_cndmask_b32_e32 v48, v48, v52, vcc
	v_lshlrev_b32_e32 v46, 24, v46
	v_lshlrev_b32_e32 v48, 20, v48
	v_and_b32_e32 v46, 0x80000000, v46
	v_lshl_add_u32 v50, v50, 23, v45
	v_or3_b32 v48, v46, v50, v48
.LBB673_421:                            ;   in Loop: Header=BB673_213 Depth=1
	s_or_b64 exec, exec, s[18:19]
.LBB673_422:                            ;   in Loop: Header=BB673_213 Depth=1
	s_or_b64 exec, exec, s[16:17]
.LBB673_423:                            ;   in Loop: Header=BB673_213 Depth=1
	s_or_b64 exec, exec, s[14:15]
	v_cmp_lt_u32_e32 vcc, s22, v44
	v_mov_b32_e32 v50, 0
	v_mov_b32_e32 v51, 0
	s_and_saveexec_b64 s[14:15], vcc
	s_cbranch_execz .LBB673_429
; %bb.424:                              ;   in Loop: Header=BB673_213 Depth=1
	v_lshrrev_b32_e32 v46, 24, v44
	v_cmp_ne_u32_e32 vcc, s9, v46
	v_bfrev_b32_e32 v51, 1
	s_and_saveexec_b64 s[16:17], vcc
	s_cbranch_execz .LBB673_428
; %bb.425:                              ;   in Loop: Header=BB673_213 Depth=1
	v_bfe_u32 v44, v44, 24, 7
	v_cmp_ne_u32_e32 vcc, s21, v44
	v_mov_b32_e32 v51, 0x7f800001
	s_and_saveexec_b64 s[18:19], vcc
	s_cbranch_execz .LBB673_427
; %bb.426:                              ;   in Loop: Header=BB673_213 Depth=1
	v_and_b32_e32 v51, 7, v46
	v_ffbh_u32_e32 v52, v51
	v_min_u32_e32 v64, 32, v52
	v_subrev_u32_e32 v52, 28, v64
	v_lshlrev_b64 v[52:53], v52, v[46:47]
	v_lshrrev_b32_e32 v63, 3, v44
	v_sub_u32_e32 v53, 29, v64
	v_and_b32_e32 v52, 7, v52
	v_cmp_gt_u32_e32 vcc, 8, v44
	v_cndmask_b32_e32 v44, v63, v53, vcc
	v_cndmask_b32_e32 v51, v51, v52, vcc
	v_lshlrev_b32_e32 v46, 24, v46
	v_lshlrev_b32_e32 v51, 20, v51
	v_and_b32_e32 v46, 0x80000000, v46
	v_lshl_add_u32 v44, v44, 23, v45
	v_or3_b32 v51, v46, v44, v51
.LBB673_427:                            ;   in Loop: Header=BB673_213 Depth=1
	s_or_b64 exec, exec, s[18:19]
.LBB673_428:                            ;   in Loop: Header=BB673_213 Depth=1
	s_or_b64 exec, exec, s[16:17]
.LBB673_429:                            ;   in Loop: Header=BB673_213 Depth=1
	s_or_b64 exec, exec, s[14:15]
	s_waitcnt vmcnt(2)
	v_cmp_ne_u16_sdwa s[16:17], v42, v43 src0_sel:BYTE_0 src1_sel:DWORD
	s_and_saveexec_b64 s[14:15], s[16:17]
	s_cbranch_execz .LBB673_435
; %bb.430:                              ;   in Loop: Header=BB673_213 Depth=1
	v_cmp_ne_u16_sdwa s[18:19], v42, s9 src0_sel:BYTE_0 src1_sel:DWORD
	v_bfrev_b32_e32 v50, 1
	s_and_saveexec_b64 s[16:17], s[18:19]
	s_cbranch_execz .LBB673_434
; %bb.431:                              ;   in Loop: Header=BB673_213 Depth=1
	v_and_b32_e32 v44, 0x7f, v42
	v_cmp_ne_u32_e32 vcc, s21, v44
	v_mov_b32_e32 v50, 0x7f800001
	s_and_saveexec_b64 s[18:19], vcc
	s_cbranch_execz .LBB673_433
; %bb.432:                              ;   in Loop: Header=BB673_213 Depth=1
	v_and_b32_e32 v46, 7, v42
	v_ffbh_u32_e32 v52, v46
	v_min_u32_e32 v63, 32, v52
	v_subrev_u32_e32 v52, 28, v63
	v_lshlrev_b64 v[52:53], v52, v[42:43]
	v_lshrrev_b32_e32 v50, 3, v44
	v_sub_u32_e32 v53, 29, v63
	v_and_b32_e32 v52, 7, v52
	v_cmp_gt_u32_e32 vcc, 8, v44
	v_cndmask_b32_e32 v44, v50, v53, vcc
	v_cndmask_b32_e32 v46, v46, v52, vcc
	v_lshlrev_b32_e32 v50, 24, v42
	v_lshlrev_b32_e32 v46, 20, v46
	v_and_b32_e32 v50, 0x80000000, v50
	v_lshl_add_u32 v44, v44, 23, v45
	v_or3_b32 v50, v50, v44, v46
.LBB673_433:                            ;   in Loop: Header=BB673_213 Depth=1
	s_or_b64 exec, exec, s[18:19]
.LBB673_434:                            ;   in Loop: Header=BB673_213 Depth=1
	s_or_b64 exec, exec, s[16:17]
.LBB673_435:                            ;   in Loop: Header=BB673_213 Depth=1
	s_or_b64 exec, exec, s[14:15]
	v_lshrrev_b16_e32 v44, 8, v42
	v_cmp_ne_u16_e32 vcc, 0, v44
	v_mov_b32_e32 v52, 0
	v_mov_b32_e32 v53, 0
	s_and_saveexec_b64 s[14:15], vcc
	s_cbranch_execz .LBB673_441
; %bb.436:                              ;   in Loop: Header=BB673_213 Depth=1
	v_cmp_ne_u16_e32 vcc, s9, v44
	v_bfrev_b32_e32 v53, 1
	s_and_saveexec_b64 s[16:17], vcc
	s_cbranch_execz .LBB673_440
; %bb.437:                              ;   in Loop: Header=BB673_213 Depth=1
	v_and_b32_e32 v46, 0x7f, v44
	v_cmp_ne_u32_e32 vcc, s21, v46
	v_mov_b32_e32 v53, 0x7f800001
	s_and_saveexec_b64 s[18:19], vcc
	s_cbranch_execz .LBB673_439
; %bb.438:                              ;   in Loop: Header=BB673_213 Depth=1
	v_and_b32_e32 v53, 7, v44
	v_ffbh_u32_e32 v64, v53
	v_min_u32_e32 v66, 32, v64
	v_subrev_u32_e32 v64, 28, v66
	v_lshlrev_b64 v[64:65], v64, v[44:45]
	v_lshrrev_b32_e32 v63, 3, v46
	v_sub_u32_e32 v44, 29, v66
	v_and_b32_e32 v64, 7, v64
	v_cmp_gt_u32_e32 vcc, 8, v46
	v_cndmask_b32_e32 v44, v63, v44, vcc
	v_cndmask_b32_e32 v46, v53, v64, vcc
	v_lshlrev_b32_e32 v53, 16, v42
	v_lshlrev_b32_e32 v46, 20, v46
	v_and_b32_e32 v53, 0x80000000, v53
	v_lshl_add_u32 v44, v44, 23, v45
	v_or3_b32 v53, v53, v44, v46
.LBB673_439:                            ;   in Loop: Header=BB673_213 Depth=1
	s_or_b64 exec, exec, s[18:19]
.LBB673_440:                            ;   in Loop: Header=BB673_213 Depth=1
	s_or_b64 exec, exec, s[16:17]
.LBB673_441:                            ;   in Loop: Header=BB673_213 Depth=1
	s_or_b64 exec, exec, s[14:15]
	v_lshrrev_b32_e32 v44, 16, v42
	v_cmp_ne_u16_sdwa s[16:17], v44, v43 src0_sel:BYTE_0 src1_sel:DWORD
	s_and_saveexec_b64 s[14:15], s[16:17]
	s_cbranch_execz .LBB673_447
; %bb.442:                              ;   in Loop: Header=BB673_213 Depth=1
	v_cmp_ne_u16_sdwa s[18:19], v44, s9 src0_sel:BYTE_0 src1_sel:DWORD
	v_bfrev_b32_e32 v52, 1
	s_and_saveexec_b64 s[16:17], s[18:19]
	s_cbranch_execz .LBB673_446
; %bb.443:                              ;   in Loop: Header=BB673_213 Depth=1
	v_bfe_u32 v46, v42, 16, 7
	v_cmp_ne_u32_e32 vcc, s21, v46
	v_mov_b32_e32 v52, 0x7f800001
	s_and_saveexec_b64 s[18:19], vcc
	s_cbranch_execz .LBB673_445
; %bb.444:                              ;   in Loop: Header=BB673_213 Depth=1
	v_and_b32_e32 v52, 7, v44
	v_ffbh_u32_e32 v64, v52
	v_min_u32_e32 v66, 32, v64
	v_subrev_u32_e32 v64, 28, v66
	v_lshlrev_b64 v[64:65], v64, v[44:45]
	v_lshrrev_b32_e32 v63, 3, v46
	v_sub_u32_e32 v65, 29, v66
	v_and_b32_e32 v64, 7, v64
	v_cmp_gt_u32_e32 vcc, 8, v46
	v_cndmask_b32_e32 v46, v63, v65, vcc
	v_cndmask_b32_e32 v52, v52, v64, vcc
	v_lshlrev_b32_e32 v44, 24, v44
	v_lshlrev_b32_e32 v52, 20, v52
	v_and_b32_e32 v44, 0x80000000, v44
	v_lshl_add_u32 v46, v46, 23, v45
	v_or3_b32 v52, v44, v46, v52
.LBB673_445:                            ;   in Loop: Header=BB673_213 Depth=1
	s_or_b64 exec, exec, s[18:19]
.LBB673_446:                            ;   in Loop: Header=BB673_213 Depth=1
	s_or_b64 exec, exec, s[16:17]
.LBB673_447:                            ;   in Loop: Header=BB673_213 Depth=1
	s_or_b64 exec, exec, s[14:15]
	v_cmp_lt_u32_e32 vcc, s22, v42
	v_mov_b32_e32 v46, 0
	v_mov_b32_e32 v63, 0
	s_and_saveexec_b64 s[14:15], vcc
	s_cbranch_execz .LBB673_453
; %bb.448:                              ;   in Loop: Header=BB673_213 Depth=1
	v_lshrrev_b32_e32 v44, 24, v42
	v_cmp_ne_u32_e32 vcc, s9, v44
	v_bfrev_b32_e32 v63, 1
	s_and_saveexec_b64 s[16:17], vcc
	s_cbranch_execz .LBB673_452
; %bb.449:                              ;   in Loop: Header=BB673_213 Depth=1
	v_bfe_u32 v42, v42, 24, 7
	v_cmp_ne_u32_e32 vcc, s21, v42
	v_mov_b32_e32 v63, 0x7f800001
	s_and_saveexec_b64 s[18:19], vcc
	s_cbranch_execz .LBB673_451
; %bb.450:                              ;   in Loop: Header=BB673_213 Depth=1
	v_and_b32_e32 v63, 7, v44
	v_ffbh_u32_e32 v64, v63
	v_min_u32_e32 v67, 32, v64
	v_subrev_u32_e32 v64, 28, v67
	v_lshlrev_b64 v[64:65], v64, v[44:45]
	v_lshrrev_b32_e32 v66, 3, v42
	v_sub_u32_e32 v65, 29, v67
	v_and_b32_e32 v64, 7, v64
	v_cmp_gt_u32_e32 vcc, 8, v42
	v_cndmask_b32_e32 v42, v66, v65, vcc
	v_cndmask_b32_e32 v63, v63, v64, vcc
	v_lshlrev_b32_e32 v44, 24, v44
	v_lshlrev_b32_e32 v63, 20, v63
	v_and_b32_e32 v44, 0x80000000, v44
	v_lshl_add_u32 v42, v42, 23, v45
	v_or3_b32 v63, v44, v42, v63
.LBB673_451:                            ;   in Loop: Header=BB673_213 Depth=1
	s_or_b64 exec, exec, s[18:19]
.LBB673_452:                            ;   in Loop: Header=BB673_213 Depth=1
	s_or_b64 exec, exec, s[16:17]
.LBB673_453:                            ;   in Loop: Header=BB673_213 Depth=1
	s_or_b64 exec, exec, s[14:15]
	v_cvt_pkrtz_f16_f32 v64, v47, v49
	v_cvt_pkrtz_f16_f32 v65, v48, v51
	;; [unrolled: 1-line block ×4, first 2 shown]
	s_waitcnt vmcnt(1)
	v_cmp_ne_u16_sdwa s[16:17], v40, v43 src0_sel:BYTE_0 src1_sel:DWORD
	v_mfma_f32_16x16x16f16 v[34:37], v[64:65], v[18:19], v[34:37]
	v_mfma_f32_16x16x16f16 v[34:37], v[48:49], v[20:21], v[34:37]
	s_and_saveexec_b64 s[14:15], s[16:17]
	s_cbranch_execz .LBB673_459
; %bb.454:                              ;   in Loop: Header=BB673_213 Depth=1
	v_cmp_ne_u16_sdwa s[18:19], v40, s9 src0_sel:BYTE_0 src1_sel:DWORD
	v_bfrev_b32_e32 v46, 1
	s_and_saveexec_b64 s[16:17], s[18:19]
	s_cbranch_execz .LBB673_458
; %bb.455:                              ;   in Loop: Header=BB673_213 Depth=1
	v_and_b32_e32 v42, 0x7f, v40
	v_cmp_ne_u32_e32 vcc, s21, v42
	v_mov_b32_e32 v46, 0x7f800001
	s_and_saveexec_b64 s[18:19], vcc
	s_cbranch_execz .LBB673_457
; %bb.456:                              ;   in Loop: Header=BB673_213 Depth=1
	v_and_b32_e32 v44, 7, v40
	v_ffbh_u32_e32 v46, v44
	v_min_u32_e32 v49, 32, v46
	v_subrev_u32_e32 v46, 28, v49
	v_lshlrev_b64 v[46:47], v46, v[40:41]
	v_lshrrev_b32_e32 v48, 3, v42
	v_sub_u32_e32 v47, 29, v49
	v_and_b32_e32 v46, 7, v46
	v_cmp_gt_u32_e32 vcc, 8, v42
	v_cndmask_b32_e32 v42, v48, v47, vcc
	v_cndmask_b32_e32 v44, v44, v46, vcc
	v_lshlrev_b32_e32 v46, 24, v40
	v_lshlrev_b32_e32 v44, 20, v44
	v_and_b32_e32 v46, 0x80000000, v46
	v_lshl_add_u32 v42, v42, 23, v45
	v_or3_b32 v46, v46, v42, v44
.LBB673_457:                            ;   in Loop: Header=BB673_213 Depth=1
	s_or_b64 exec, exec, s[18:19]
.LBB673_458:                            ;   in Loop: Header=BB673_213 Depth=1
	s_or_b64 exec, exec, s[16:17]
.LBB673_459:                            ;   in Loop: Header=BB673_213 Depth=1
	s_or_b64 exec, exec, s[14:15]
	v_lshrrev_b16_e32 v42, 8, v40
	v_cmp_ne_u16_e32 vcc, 0, v42
	v_mov_b32_e32 v44, 0
	v_mov_b32_e32 v48, 0
	s_and_saveexec_b64 s[14:15], vcc
	s_cbranch_execz .LBB673_465
; %bb.460:                              ;   in Loop: Header=BB673_213 Depth=1
	v_cmp_ne_u16_e32 vcc, s9, v42
	v_bfrev_b32_e32 v48, 1
	s_and_saveexec_b64 s[16:17], vcc
	s_cbranch_execz .LBB673_464
; %bb.461:                              ;   in Loop: Header=BB673_213 Depth=1
	v_and_b32_e32 v47, 0x7f, v42
	v_cmp_ne_u32_e32 vcc, s21, v47
	v_mov_b32_e32 v48, 0x7f800001
	s_and_saveexec_b64 s[18:19], vcc
	s_cbranch_execz .LBB673_463
; %bb.462:                              ;   in Loop: Header=BB673_213 Depth=1
	v_and_b32_e32 v50, 7, v42
	v_ffbh_u32_e32 v48, v50
	v_min_u32_e32 v52, 32, v48
	v_subrev_u32_e32 v48, 28, v52
	v_lshlrev_b64 v[48:49], v48, v[42:43]
	v_lshrrev_b32_e32 v51, 3, v47
	v_sub_u32_e32 v42, 29, v52
	v_and_b32_e32 v48, 7, v48
	v_cmp_gt_u32_e32 vcc, 8, v47
	v_cndmask_b32_e32 v42, v51, v42, vcc
	v_cndmask_b32_e32 v47, v50, v48, vcc
	v_lshlrev_b32_e32 v48, 16, v40
	v_lshlrev_b32_e32 v47, 20, v47
	v_and_b32_e32 v48, 0x80000000, v48
	v_lshl_add_u32 v42, v42, 23, v45
	v_or3_b32 v48, v48, v42, v47
.LBB673_463:                            ;   in Loop: Header=BB673_213 Depth=1
	s_or_b64 exec, exec, s[18:19]
.LBB673_464:                            ;   in Loop: Header=BB673_213 Depth=1
	s_or_b64 exec, exec, s[16:17]
.LBB673_465:                            ;   in Loop: Header=BB673_213 Depth=1
	s_or_b64 exec, exec, s[14:15]
	v_lshrrev_b32_e32 v42, 16, v40
	v_cmp_ne_u16_sdwa s[16:17], v42, v43 src0_sel:BYTE_0 src1_sel:DWORD
	s_and_saveexec_b64 s[14:15], s[16:17]
	s_cbranch_execz .LBB673_471
; %bb.466:                              ;   in Loop: Header=BB673_213 Depth=1
	v_cmp_ne_u16_sdwa s[18:19], v42, s9 src0_sel:BYTE_0 src1_sel:DWORD
	v_bfrev_b32_e32 v44, 1
	s_and_saveexec_b64 s[16:17], s[18:19]
	s_cbranch_execz .LBB673_470
; %bb.467:                              ;   in Loop: Header=BB673_213 Depth=1
	v_bfe_u32 v47, v40, 16, 7
	v_cmp_ne_u32_e32 vcc, s21, v47
	v_mov_b32_e32 v44, 0x7f800001
	s_and_saveexec_b64 s[18:19], vcc
	s_cbranch_execz .LBB673_469
; %bb.468:                              ;   in Loop: Header=BB673_213 Depth=1
	v_and_b32_e32 v44, 7, v42
	v_ffbh_u32_e32 v50, v44
	v_min_u32_e32 v52, 32, v50
	v_subrev_u32_e32 v50, 28, v52
	v_lshlrev_b64 v[50:51], v50, v[42:43]
	v_lshrrev_b32_e32 v49, 3, v47
	v_sub_u32_e32 v51, 29, v52
	v_and_b32_e32 v50, 7, v50
	v_cmp_gt_u32_e32 vcc, 8, v47
	v_cndmask_b32_e32 v47, v49, v51, vcc
	v_cndmask_b32_e32 v44, v44, v50, vcc
	v_lshlrev_b32_e32 v42, 24, v42
	v_lshlrev_b32_e32 v44, 20, v44
	v_and_b32_e32 v42, 0x80000000, v42
	v_lshl_add_u32 v47, v47, 23, v45
	v_or3_b32 v44, v42, v47, v44
.LBB673_469:                            ;   in Loop: Header=BB673_213 Depth=1
	s_or_b64 exec, exec, s[18:19]
.LBB673_470:                            ;   in Loop: Header=BB673_213 Depth=1
	s_or_b64 exec, exec, s[16:17]
.LBB673_471:                            ;   in Loop: Header=BB673_213 Depth=1
	s_or_b64 exec, exec, s[14:15]
	v_cmp_lt_u32_e32 vcc, s22, v40
	v_mov_b32_e32 v49, 0
	v_mov_b32_e32 v50, 0
	s_and_saveexec_b64 s[14:15], vcc
	s_cbranch_execz .LBB673_477
; %bb.472:                              ;   in Loop: Header=BB673_213 Depth=1
	v_lshrrev_b32_e32 v42, 24, v40
	v_cmp_ne_u32_e32 vcc, s9, v42
	v_bfrev_b32_e32 v50, 1
	s_and_saveexec_b64 s[16:17], vcc
	s_cbranch_execz .LBB673_476
; %bb.473:                              ;   in Loop: Header=BB673_213 Depth=1
	v_bfe_u32 v40, v40, 24, 7
	v_cmp_ne_u32_e32 vcc, s21, v40
	v_mov_b32_e32 v50, 0x7f800001
	s_and_saveexec_b64 s[18:19], vcc
	s_cbranch_execz .LBB673_475
; %bb.474:                              ;   in Loop: Header=BB673_213 Depth=1
	v_and_b32_e32 v47, 7, v42
	v_ffbh_u32_e32 v50, v47
	v_min_u32_e32 v53, 32, v50
	v_subrev_u32_e32 v50, 28, v53
	v_lshlrev_b64 v[50:51], v50, v[42:43]
	v_lshrrev_b32_e32 v52, 3, v40
	v_sub_u32_e32 v51, 29, v53
	v_and_b32_e32 v50, 7, v50
	v_cmp_gt_u32_e32 vcc, 8, v40
	v_cndmask_b32_e32 v40, v52, v51, vcc
	v_cndmask_b32_e32 v47, v47, v50, vcc
	v_lshlrev_b32_e32 v42, 24, v42
	v_lshlrev_b32_e32 v47, 20, v47
	v_and_b32_e32 v42, 0x80000000, v42
	v_lshl_add_u32 v40, v40, 23, v45
	v_or3_b32 v50, v42, v40, v47
.LBB673_475:                            ;   in Loop: Header=BB673_213 Depth=1
	s_or_b64 exec, exec, s[18:19]
.LBB673_476:                            ;   in Loop: Header=BB673_213 Depth=1
	s_or_b64 exec, exec, s[16:17]
.LBB673_477:                            ;   in Loop: Header=BB673_213 Depth=1
	s_or_b64 exec, exec, s[14:15]
	s_waitcnt vmcnt(0)
	v_cmp_ne_u16_sdwa s[16:17], v38, v43 src0_sel:BYTE_0 src1_sel:DWORD
	s_and_saveexec_b64 s[14:15], s[16:17]
	s_cbranch_execz .LBB673_483
; %bb.478:                              ;   in Loop: Header=BB673_213 Depth=1
	v_cmp_ne_u16_sdwa s[18:19], v38, s9 src0_sel:BYTE_0 src1_sel:DWORD
	v_bfrev_b32_e32 v49, 1
	s_and_saveexec_b64 s[16:17], s[18:19]
	s_cbranch_execz .LBB673_482
; %bb.479:                              ;   in Loop: Header=BB673_213 Depth=1
	v_and_b32_e32 v40, 0x7f, v38
	v_cmp_ne_u32_e32 vcc, s21, v40
	v_mov_b32_e32 v49, 0x7f800001
	s_and_saveexec_b64 s[18:19], vcc
	s_cbranch_execz .LBB673_481
; %bb.480:                              ;   in Loop: Header=BB673_213 Depth=1
	v_and_b32_e32 v42, 7, v38
	v_ffbh_u32_e32 v49, v42
	v_min_u32_e32 v49, 32, v49
	v_subrev_u32_e32 v51, 28, v49
	v_lshlrev_b64 v[52:53], v51, v[38:39]
	v_lshrrev_b32_e32 v47, 3, v40
	v_sub_u32_e32 v49, 29, v49
	v_and_b32_e32 v51, 7, v52
	v_cmp_gt_u32_e32 vcc, 8, v40
	v_cndmask_b32_e32 v40, v47, v49, vcc
	v_cndmask_b32_e32 v42, v42, v51, vcc
	v_lshlrev_b32_e32 v47, 24, v38
	v_lshlrev_b32_e32 v42, 20, v42
	v_and_b32_e32 v47, 0x80000000, v47
	v_lshl_add_u32 v40, v40, 23, v45
	v_or3_b32 v49, v47, v40, v42
.LBB673_481:                            ;   in Loop: Header=BB673_213 Depth=1
	s_or_b64 exec, exec, s[18:19]
.LBB673_482:                            ;   in Loop: Header=BB673_213 Depth=1
	s_or_b64 exec, exec, s[16:17]
.LBB673_483:                            ;   in Loop: Header=BB673_213 Depth=1
	s_or_b64 exec, exec, s[14:15]
	v_lshrrev_b16_e32 v40, 8, v38
	v_cmp_ne_u16_e32 vcc, 0, v40
	v_mov_b32_e32 v51, 0
	v_mov_b32_e32 v52, 0
	s_and_saveexec_b64 s[14:15], vcc
	s_cbranch_execz .LBB673_489
; %bb.484:                              ;   in Loop: Header=BB673_213 Depth=1
	v_cmp_ne_u16_e32 vcc, s9, v40
	v_bfrev_b32_e32 v52, 1
	s_and_saveexec_b64 s[16:17], vcc
	s_cbranch_execz .LBB673_488
; %bb.485:                              ;   in Loop: Header=BB673_213 Depth=1
	v_and_b32_e32 v42, 0x7f, v40
	v_cmp_ne_u32_e32 vcc, s21, v42
	v_mov_b32_e32 v52, 0x7f800001
	s_and_saveexec_b64 s[18:19], vcc
	s_cbranch_execz .LBB673_487
; %bb.486:                              ;   in Loop: Header=BB673_213 Depth=1
	v_and_b32_e32 v47, 7, v40
	v_ffbh_u32_e32 v52, v47
	v_min_u32_e32 v64, 32, v52
	v_subrev_u32_e32 v52, 28, v64
	v_lshlrev_b64 v[52:53], v52, v[40:41]
	v_lshrrev_b32_e32 v63, 3, v42
	v_sub_u32_e32 v40, 29, v64
	v_and_b32_e32 v52, 7, v52
	v_cmp_gt_u32_e32 vcc, 8, v42
	v_cndmask_b32_e32 v40, v63, v40, vcc
	v_cndmask_b32_e32 v42, v47, v52, vcc
	v_lshlrev_b32_e32 v47, 16, v38
	v_lshlrev_b32_e32 v42, 20, v42
	v_and_b32_e32 v47, 0x80000000, v47
	v_lshl_add_u32 v40, v40, 23, v45
	v_or3_b32 v52, v47, v40, v42
.LBB673_487:                            ;   in Loop: Header=BB673_213 Depth=1
	s_or_b64 exec, exec, s[18:19]
.LBB673_488:                            ;   in Loop: Header=BB673_213 Depth=1
	s_or_b64 exec, exec, s[16:17]
.LBB673_489:                            ;   in Loop: Header=BB673_213 Depth=1
	s_or_b64 exec, exec, s[14:15]
	v_lshrrev_b32_e32 v40, 16, v38
	v_cmp_ne_u16_sdwa s[16:17], v40, v43 src0_sel:BYTE_0 src1_sel:DWORD
	s_and_saveexec_b64 s[14:15], s[16:17]
	s_cbranch_execz .LBB673_495
; %bb.490:                              ;   in Loop: Header=BB673_213 Depth=1
	v_cmp_ne_u16_sdwa s[18:19], v40, s9 src0_sel:BYTE_0 src1_sel:DWORD
	v_bfrev_b32_e32 v51, 1
	s_and_saveexec_b64 s[16:17], s[18:19]
	s_cbranch_execz .LBB673_494
; %bb.491:                              ;   in Loop: Header=BB673_213 Depth=1
	v_bfe_u32 v42, v38, 16, 7
	v_cmp_ne_u32_e32 vcc, s21, v42
	v_mov_b32_e32 v51, 0x7f800001
	s_and_saveexec_b64 s[18:19], vcc
	s_cbranch_execz .LBB673_493
; %bb.492:                              ;   in Loop: Header=BB673_213 Depth=1
	v_and_b32_e32 v47, 7, v40
	v_ffbh_u32_e32 v53, v47
	v_min_u32_e32 v53, 32, v53
	v_subrev_u32_e32 v63, 28, v53
	v_lshlrev_b64 v[64:65], v63, v[40:41]
	v_lshrrev_b32_e32 v51, 3, v42
	v_sub_u32_e32 v53, 29, v53
	v_and_b32_e32 v63, 7, v64
	v_cmp_gt_u32_e32 vcc, 8, v42
	v_cndmask_b32_e32 v42, v51, v53, vcc
	v_cndmask_b32_e32 v47, v47, v63, vcc
	v_lshlrev_b32_e32 v40, 24, v40
	v_lshlrev_b32_e32 v47, 20, v47
	v_and_b32_e32 v40, 0x80000000, v40
	v_lshl_add_u32 v42, v42, 23, v45
	v_or3_b32 v51, v40, v42, v47
.LBB673_493:                            ;   in Loop: Header=BB673_213 Depth=1
	s_or_b64 exec, exec, s[18:19]
.LBB673_494:                            ;   in Loop: Header=BB673_213 Depth=1
	s_or_b64 exec, exec, s[16:17]
.LBB673_495:                            ;   in Loop: Header=BB673_213 Depth=1
	s_or_b64 exec, exec, s[14:15]
	v_cmp_lt_u32_e32 vcc, s22, v38
	v_mov_b32_e32 v47, 0
	v_mov_b32_e32 v53, 0
	s_and_saveexec_b64 s[14:15], vcc
	s_cbranch_execz .LBB673_501
; %bb.496:                              ;   in Loop: Header=BB673_213 Depth=1
	v_lshrrev_b32_e32 v40, 24, v38
	v_cmp_ne_u32_e32 vcc, s9, v40
	v_bfrev_b32_e32 v53, 1
	s_and_saveexec_b64 s[16:17], vcc
	s_cbranch_execz .LBB673_500
; %bb.497:                              ;   in Loop: Header=BB673_213 Depth=1
	v_bfe_u32 v38, v38, 24, 7
	v_cmp_ne_u32_e32 vcc, s21, v38
	v_mov_b32_e32 v53, 0x7f800001
	s_and_saveexec_b64 s[18:19], vcc
	s_cbranch_execz .LBB673_499
; %bb.498:                              ;   in Loop: Header=BB673_213 Depth=1
	v_and_b32_e32 v42, 7, v40
	v_ffbh_u32_e32 v63, v42
	v_min_u32_e32 v63, 32, v63
	v_subrev_u32_e32 v64, 28, v63
	v_lshlrev_b64 v[64:65], v64, v[40:41]
	v_lshrrev_b32_e32 v53, 3, v38
	v_sub_u32_e32 v63, 29, v63
	v_and_b32_e32 v64, 7, v64
	v_cmp_gt_u32_e32 vcc, 8, v38
	v_cndmask_b32_e32 v38, v53, v63, vcc
	v_cndmask_b32_e32 v42, v42, v64, vcc
	v_lshlrev_b32_e32 v40, 24, v40
	v_lshlrev_b32_e32 v42, 20, v42
	v_and_b32_e32 v40, 0x80000000, v40
	v_lshl_add_u32 v38, v38, 23, v45
	v_or3_b32 v53, v40, v38, v42
.LBB673_499:                            ;   in Loop: Header=BB673_213 Depth=1
	s_or_b64 exec, exec, s[18:19]
.LBB673_500:                            ;   in Loop: Header=BB673_213 Depth=1
	s_or_b64 exec, exec, s[16:17]
.LBB673_501:                            ;   in Loop: Header=BB673_213 Depth=1
	s_or_b64 exec, exec, s[14:15]
	v_cvt_pkrtz_f16_f32 v65, v44, v50
	buffer_load_dword v44, v62, s[0:3], 0 offen
	buffer_load_dword v42, v62, s[0:3], 0 offen offset:4
	buffer_load_dword v40, v62, s[0:3], 0 offen offset:8
	;; [unrolled: 1-line block ×3, first 2 shown]
	v_cvt_pkrtz_f16_f32 v64, v46, v48
	v_cvt_pkrtz_f16_f32 v48, v49, v52
	;; [unrolled: 1-line block ×3, first 2 shown]
	v_mfma_f32_16x16x16f16 v[34:37], v[64:65], v[22:23], v[34:37]
	s_waitcnt vmcnt(3)
	v_cmp_ne_u16_sdwa s[16:17], v44, v43 src0_sel:BYTE_0 src1_sel:DWORD
	v_mfma_f32_16x16x16f16 v[34:37], v[48:49], v[24:25], v[34:37]
	s_and_saveexec_b64 s[14:15], s[16:17]
	s_cbranch_execz .LBB673_507
; %bb.502:                              ;   in Loop: Header=BB673_213 Depth=1
	v_cmp_ne_u16_sdwa s[18:19], v44, s9 src0_sel:BYTE_0 src1_sel:DWORD
	v_bfrev_b32_e32 v47, 1
	s_and_saveexec_b64 s[16:17], s[18:19]
	s_cbranch_execz .LBB673_506
; %bb.503:                              ;   in Loop: Header=BB673_213 Depth=1
	v_and_b32_e32 v46, 0x7f, v44
	v_cmp_ne_u32_e32 vcc, s21, v46
	v_mov_b32_e32 v47, 0x7f800001
	s_and_saveexec_b64 s[18:19], vcc
	s_cbranch_execz .LBB673_505
; %bb.504:                              ;   in Loop: Header=BB673_213 Depth=1
	v_and_b32_e32 v47, 7, v44
	v_ffbh_u32_e32 v48, v47
	v_min_u32_e32 v51, 32, v48
	v_subrev_u32_e32 v48, 28, v51
	v_lshlrev_b64 v[48:49], v48, v[44:45]
	v_lshrrev_b32_e32 v50, 3, v46
	v_sub_u32_e32 v49, 29, v51
	v_and_b32_e32 v48, 7, v48
	v_cmp_gt_u32_e32 vcc, 8, v46
	v_cndmask_b32_e32 v46, v50, v49, vcc
	v_cndmask_b32_e32 v47, v47, v48, vcc
	v_lshlrev_b32_e32 v48, 24, v44
	v_lshlrev_b32_e32 v47, 20, v47
	v_and_b32_e32 v48, 0x80000000, v48
	v_lshl_add_u32 v46, v46, 23, v45
	v_or3_b32 v47, v48, v46, v47
.LBB673_505:                            ;   in Loop: Header=BB673_213 Depth=1
	s_or_b64 exec, exec, s[18:19]
.LBB673_506:                            ;   in Loop: Header=BB673_213 Depth=1
	s_or_b64 exec, exec, s[16:17]
.LBB673_507:                            ;   in Loop: Header=BB673_213 Depth=1
	s_or_b64 exec, exec, s[14:15]
	v_lshrrev_b16_e32 v46, 8, v44
	v_cmp_ne_u16_e32 vcc, 0, v46
	v_mov_b32_e32 v48, 0
	v_mov_b32_e32 v49, 0
	s_and_saveexec_b64 s[14:15], vcc
	s_cbranch_execz .LBB673_513
; %bb.508:                              ;   in Loop: Header=BB673_213 Depth=1
	v_cmp_ne_u16_e32 vcc, s9, v46
	v_bfrev_b32_e32 v49, 1
	s_and_saveexec_b64 s[16:17], vcc
	s_cbranch_execz .LBB673_512
; %bb.509:                              ;   in Loop: Header=BB673_213 Depth=1
	v_and_b32_e32 v50, 0x7f, v46
	v_cmp_ne_u32_e32 vcc, s21, v50
	v_mov_b32_e32 v49, 0x7f800001
	s_and_saveexec_b64 s[18:19], vcc
	s_cbranch_execz .LBB673_511
; %bb.510:                              ;   in Loop: Header=BB673_213 Depth=1
	v_and_b32_e32 v49, 7, v46
	v_ffbh_u32_e32 v52, v49
	v_min_u32_e32 v62, 32, v52
	v_subrev_u32_e32 v52, 28, v62
	v_lshlrev_b64 v[52:53], v52, v[46:47]
	v_lshrrev_b32_e32 v51, 3, v50
	v_sub_u32_e32 v46, 29, v62
	v_and_b32_e32 v52, 7, v52
	v_cmp_gt_u32_e32 vcc, 8, v50
	v_cndmask_b32_e32 v46, v51, v46, vcc
	v_cndmask_b32_e32 v49, v49, v52, vcc
	v_lshlrev_b32_e32 v50, 16, v44
	v_lshlrev_b32_e32 v49, 20, v49
	v_and_b32_e32 v50, 0x80000000, v50
	v_lshl_add_u32 v46, v46, 23, v45
	v_or3_b32 v49, v50, v46, v49
.LBB673_511:                            ;   in Loop: Header=BB673_213 Depth=1
	s_or_b64 exec, exec, s[18:19]
.LBB673_512:                            ;   in Loop: Header=BB673_213 Depth=1
	s_or_b64 exec, exec, s[16:17]
.LBB673_513:                            ;   in Loop: Header=BB673_213 Depth=1
	s_or_b64 exec, exec, s[14:15]
	v_lshrrev_b32_e32 v46, 16, v44
	v_cmp_ne_u16_sdwa s[16:17], v46, v43 src0_sel:BYTE_0 src1_sel:DWORD
	s_and_saveexec_b64 s[14:15], s[16:17]
	s_cbranch_execz .LBB673_519
; %bb.514:                              ;   in Loop: Header=BB673_213 Depth=1
	v_cmp_ne_u16_sdwa s[18:19], v46, s9 src0_sel:BYTE_0 src1_sel:DWORD
	v_bfrev_b32_e32 v48, 1
	s_and_saveexec_b64 s[16:17], s[18:19]
	s_cbranch_execz .LBB673_518
; %bb.515:                              ;   in Loop: Header=BB673_213 Depth=1
	v_bfe_u32 v50, v44, 16, 7
	v_cmp_ne_u32_e32 vcc, s21, v50
	v_mov_b32_e32 v48, 0x7f800001
	s_and_saveexec_b64 s[18:19], vcc
	s_cbranch_execz .LBB673_517
; %bb.516:                              ;   in Loop: Header=BB673_213 Depth=1
	v_and_b32_e32 v48, 7, v46
	v_ffbh_u32_e32 v52, v48
	v_min_u32_e32 v62, 32, v52
	v_subrev_u32_e32 v52, 28, v62
	v_lshlrev_b64 v[52:53], v52, v[46:47]
	v_lshrrev_b32_e32 v51, 3, v50
	v_sub_u32_e32 v53, 29, v62
	v_and_b32_e32 v52, 7, v52
	v_cmp_gt_u32_e32 vcc, 8, v50
	v_cndmask_b32_e32 v50, v51, v53, vcc
	v_cndmask_b32_e32 v48, v48, v52, vcc
	v_lshlrev_b32_e32 v46, 24, v46
	v_lshlrev_b32_e32 v48, 20, v48
	v_and_b32_e32 v46, 0x80000000, v46
	v_lshl_add_u32 v50, v50, 23, v45
	v_or3_b32 v48, v46, v50, v48
.LBB673_517:                            ;   in Loop: Header=BB673_213 Depth=1
	s_or_b64 exec, exec, s[18:19]
.LBB673_518:                            ;   in Loop: Header=BB673_213 Depth=1
	s_or_b64 exec, exec, s[16:17]
.LBB673_519:                            ;   in Loop: Header=BB673_213 Depth=1
	s_or_b64 exec, exec, s[14:15]
	v_cmp_lt_u32_e32 vcc, s22, v44
	v_mov_b32_e32 v50, 0
	v_mov_b32_e32 v51, 0
	s_and_saveexec_b64 s[14:15], vcc
	s_cbranch_execz .LBB673_525
; %bb.520:                              ;   in Loop: Header=BB673_213 Depth=1
	v_lshrrev_b32_e32 v46, 24, v44
	v_cmp_ne_u32_e32 vcc, s9, v46
	v_bfrev_b32_e32 v51, 1
	s_and_saveexec_b64 s[16:17], vcc
	s_cbranch_execz .LBB673_524
; %bb.521:                              ;   in Loop: Header=BB673_213 Depth=1
	v_bfe_u32 v44, v44, 24, 7
	v_cmp_ne_u32_e32 vcc, s21, v44
	v_mov_b32_e32 v51, 0x7f800001
	s_and_saveexec_b64 s[18:19], vcc
	s_cbranch_execz .LBB673_523
; %bb.522:                              ;   in Loop: Header=BB673_213 Depth=1
	v_and_b32_e32 v51, 7, v46
	v_ffbh_u32_e32 v52, v51
	v_min_u32_e32 v63, 32, v52
	v_subrev_u32_e32 v52, 28, v63
	v_lshlrev_b64 v[52:53], v52, v[46:47]
	v_lshrrev_b32_e32 v62, 3, v44
	v_sub_u32_e32 v53, 29, v63
	v_and_b32_e32 v52, 7, v52
	v_cmp_gt_u32_e32 vcc, 8, v44
	v_cndmask_b32_e32 v44, v62, v53, vcc
	v_cndmask_b32_e32 v51, v51, v52, vcc
	v_lshlrev_b32_e32 v46, 24, v46
	v_lshlrev_b32_e32 v51, 20, v51
	v_and_b32_e32 v46, 0x80000000, v46
	v_lshl_add_u32 v44, v44, 23, v45
	v_or3_b32 v51, v46, v44, v51
.LBB673_523:                            ;   in Loop: Header=BB673_213 Depth=1
	s_or_b64 exec, exec, s[18:19]
.LBB673_524:                            ;   in Loop: Header=BB673_213 Depth=1
	s_or_b64 exec, exec, s[16:17]
.LBB673_525:                            ;   in Loop: Header=BB673_213 Depth=1
	s_or_b64 exec, exec, s[14:15]
	s_waitcnt vmcnt(2)
	v_cmp_ne_u16_sdwa s[16:17], v42, v43 src0_sel:BYTE_0 src1_sel:DWORD
	s_and_saveexec_b64 s[14:15], s[16:17]
	s_cbranch_execz .LBB673_531
; %bb.526:                              ;   in Loop: Header=BB673_213 Depth=1
	v_cmp_ne_u16_sdwa s[18:19], v42, s9 src0_sel:BYTE_0 src1_sel:DWORD
	v_bfrev_b32_e32 v50, 1
	s_and_saveexec_b64 s[16:17], s[18:19]
	s_cbranch_execz .LBB673_530
; %bb.527:                              ;   in Loop: Header=BB673_213 Depth=1
	v_and_b32_e32 v44, 0x7f, v42
	v_cmp_ne_u32_e32 vcc, s21, v44
	v_mov_b32_e32 v50, 0x7f800001
	s_and_saveexec_b64 s[18:19], vcc
	s_cbranch_execz .LBB673_529
; %bb.528:                              ;   in Loop: Header=BB673_213 Depth=1
	v_and_b32_e32 v46, 7, v42
	v_ffbh_u32_e32 v52, v46
	v_min_u32_e32 v62, 32, v52
	v_subrev_u32_e32 v52, 28, v62
	v_lshlrev_b64 v[52:53], v52, v[42:43]
	v_lshrrev_b32_e32 v50, 3, v44
	v_sub_u32_e32 v53, 29, v62
	v_and_b32_e32 v52, 7, v52
	v_cmp_gt_u32_e32 vcc, 8, v44
	v_cndmask_b32_e32 v44, v50, v53, vcc
	v_cndmask_b32_e32 v46, v46, v52, vcc
	v_lshlrev_b32_e32 v50, 24, v42
	v_lshlrev_b32_e32 v46, 20, v46
	v_and_b32_e32 v50, 0x80000000, v50
	v_lshl_add_u32 v44, v44, 23, v45
	v_or3_b32 v50, v50, v44, v46
.LBB673_529:                            ;   in Loop: Header=BB673_213 Depth=1
	s_or_b64 exec, exec, s[18:19]
.LBB673_530:                            ;   in Loop: Header=BB673_213 Depth=1
	s_or_b64 exec, exec, s[16:17]
.LBB673_531:                            ;   in Loop: Header=BB673_213 Depth=1
	s_or_b64 exec, exec, s[14:15]
	v_lshrrev_b16_e32 v44, 8, v42
	v_cmp_ne_u16_e32 vcc, 0, v44
	v_mov_b32_e32 v52, 0
	v_mov_b32_e32 v53, 0
	s_and_saveexec_b64 s[14:15], vcc
	s_cbranch_execz .LBB673_537
; %bb.532:                              ;   in Loop: Header=BB673_213 Depth=1
	v_cmp_ne_u16_e32 vcc, s9, v44
	v_bfrev_b32_e32 v53, 1
	s_and_saveexec_b64 s[16:17], vcc
	s_cbranch_execz .LBB673_536
; %bb.533:                              ;   in Loop: Header=BB673_213 Depth=1
	v_and_b32_e32 v46, 0x7f, v44
	v_cmp_ne_u32_e32 vcc, s21, v46
	v_mov_b32_e32 v53, 0x7f800001
	s_and_saveexec_b64 s[18:19], vcc
	s_cbranch_execz .LBB673_535
; %bb.534:                              ;   in Loop: Header=BB673_213 Depth=1
	v_and_b32_e32 v53, 7, v44
	v_ffbh_u32_e32 v62, v53
	v_min_u32_e32 v65, 32, v62
	v_subrev_u32_e32 v62, 28, v65
	v_lshlrev_b64 v[62:63], v62, v[44:45]
	v_lshrrev_b32_e32 v64, 3, v46
	v_sub_u32_e32 v44, 29, v65
	v_and_b32_e32 v62, 7, v62
	v_cmp_gt_u32_e32 vcc, 8, v46
	v_cndmask_b32_e32 v44, v64, v44, vcc
	v_cndmask_b32_e32 v46, v53, v62, vcc
	v_lshlrev_b32_e32 v53, 16, v42
	v_lshlrev_b32_e32 v46, 20, v46
	v_and_b32_e32 v53, 0x80000000, v53
	v_lshl_add_u32 v44, v44, 23, v45
	v_or3_b32 v53, v53, v44, v46
.LBB673_535:                            ;   in Loop: Header=BB673_213 Depth=1
	s_or_b64 exec, exec, s[18:19]
.LBB673_536:                            ;   in Loop: Header=BB673_213 Depth=1
	s_or_b64 exec, exec, s[16:17]
.LBB673_537:                            ;   in Loop: Header=BB673_213 Depth=1
	s_or_b64 exec, exec, s[14:15]
	v_lshrrev_b32_e32 v44, 16, v42
	v_cmp_ne_u16_sdwa s[16:17], v44, v43 src0_sel:BYTE_0 src1_sel:DWORD
	s_and_saveexec_b64 s[14:15], s[16:17]
	s_cbranch_execz .LBB673_543
; %bb.538:                              ;   in Loop: Header=BB673_213 Depth=1
	v_cmp_ne_u16_sdwa s[18:19], v44, s9 src0_sel:BYTE_0 src1_sel:DWORD
	v_bfrev_b32_e32 v52, 1
	s_and_saveexec_b64 s[16:17], s[18:19]
	s_cbranch_execz .LBB673_542
; %bb.539:                              ;   in Loop: Header=BB673_213 Depth=1
	v_bfe_u32 v46, v42, 16, 7
	v_cmp_ne_u32_e32 vcc, s21, v46
	v_mov_b32_e32 v52, 0x7f800001
	s_and_saveexec_b64 s[18:19], vcc
	s_cbranch_execz .LBB673_541
; %bb.540:                              ;   in Loop: Header=BB673_213 Depth=1
	v_and_b32_e32 v52, 7, v44
	v_ffbh_u32_e32 v62, v52
	v_min_u32_e32 v65, 32, v62
	v_subrev_u32_e32 v62, 28, v65
	v_lshlrev_b64 v[62:63], v62, v[44:45]
	v_lshrrev_b32_e32 v64, 3, v46
	v_sub_u32_e32 v63, 29, v65
	v_and_b32_e32 v62, 7, v62
	v_cmp_gt_u32_e32 vcc, 8, v46
	v_cndmask_b32_e32 v46, v64, v63, vcc
	v_cndmask_b32_e32 v52, v52, v62, vcc
	v_lshlrev_b32_e32 v44, 24, v44
	v_lshlrev_b32_e32 v52, 20, v52
	v_and_b32_e32 v44, 0x80000000, v44
	v_lshl_add_u32 v46, v46, 23, v45
	v_or3_b32 v52, v44, v46, v52
.LBB673_541:                            ;   in Loop: Header=BB673_213 Depth=1
	s_or_b64 exec, exec, s[18:19]
.LBB673_542:                            ;   in Loop: Header=BB673_213 Depth=1
	s_or_b64 exec, exec, s[16:17]
.LBB673_543:                            ;   in Loop: Header=BB673_213 Depth=1
	s_or_b64 exec, exec, s[14:15]
	v_cmp_lt_u32_e32 vcc, s22, v42
	v_mov_b32_e32 v46, 0
	v_mov_b32_e32 v62, 0
	s_and_saveexec_b64 s[14:15], vcc
	s_cbranch_execz .LBB673_549
; %bb.544:                              ;   in Loop: Header=BB673_213 Depth=1
	v_lshrrev_b32_e32 v44, 24, v42
	v_cmp_ne_u32_e32 vcc, s9, v44
	v_bfrev_b32_e32 v62, 1
	s_and_saveexec_b64 s[16:17], vcc
	s_cbranch_execz .LBB673_548
; %bb.545:                              ;   in Loop: Header=BB673_213 Depth=1
	v_bfe_u32 v42, v42, 24, 7
	v_cmp_ne_u32_e32 vcc, s21, v42
	v_mov_b32_e32 v62, 0x7f800001
	s_and_saveexec_b64 s[18:19], vcc
	s_cbranch_execz .LBB673_547
; %bb.546:                              ;   in Loop: Header=BB673_213 Depth=1
	v_and_b32_e32 v64, 7, v44
	v_ffbh_u32_e32 v62, v64
	v_min_u32_e32 v66, 32, v62
	v_subrev_u32_e32 v62, 28, v66
	v_lshlrev_b64 v[62:63], v62, v[44:45]
	v_lshrrev_b32_e32 v65, 3, v42
	v_sub_u32_e32 v63, 29, v66
	v_and_b32_e32 v62, 7, v62
	v_cmp_gt_u32_e32 vcc, 8, v42
	v_cndmask_b32_e32 v42, v65, v63, vcc
	v_cndmask_b32_e32 v62, v64, v62, vcc
	v_lshlrev_b32_e32 v44, 24, v44
	v_lshlrev_b32_e32 v62, 20, v62
	v_and_b32_e32 v44, 0x80000000, v44
	v_lshl_add_u32 v42, v42, 23, v45
	v_or3_b32 v62, v44, v42, v62
.LBB673_547:                            ;   in Loop: Header=BB673_213 Depth=1
	s_or_b64 exec, exec, s[18:19]
.LBB673_548:                            ;   in Loop: Header=BB673_213 Depth=1
	s_or_b64 exec, exec, s[16:17]
.LBB673_549:                            ;   in Loop: Header=BB673_213 Depth=1
	s_or_b64 exec, exec, s[14:15]
	v_cvt_pkrtz_f16_f32 v64, v47, v49
	v_cvt_pkrtz_f16_f32 v65, v48, v51
	;; [unrolled: 1-line block ×4, first 2 shown]
	s_waitcnt vmcnt(1)
	v_cmp_ne_u16_sdwa s[16:17], v40, v43 src0_sel:BYTE_0 src1_sel:DWORD
	v_mfma_f32_16x16x16f16 v[34:37], v[64:65], v[26:27], v[34:37]
	v_mfma_f32_16x16x16f16 v[34:37], v[48:49], v[28:29], v[34:37]
	s_and_saveexec_b64 s[14:15], s[16:17]
	s_cbranch_execz .LBB673_555
; %bb.550:                              ;   in Loop: Header=BB673_213 Depth=1
	v_cmp_ne_u16_sdwa s[18:19], v40, s9 src0_sel:BYTE_0 src1_sel:DWORD
	v_bfrev_b32_e32 v46, 1
	s_and_saveexec_b64 s[16:17], s[18:19]
	s_cbranch_execz .LBB673_554
; %bb.551:                              ;   in Loop: Header=BB673_213 Depth=1
	v_and_b32_e32 v42, 0x7f, v40
	v_cmp_ne_u32_e32 vcc, s21, v42
	v_mov_b32_e32 v46, 0x7f800001
	s_and_saveexec_b64 s[18:19], vcc
	s_cbranch_execz .LBB673_553
; %bb.552:                              ;   in Loop: Header=BB673_213 Depth=1
	v_and_b32_e32 v44, 7, v40
	v_ffbh_u32_e32 v46, v44
	v_min_u32_e32 v49, 32, v46
	v_subrev_u32_e32 v46, 28, v49
	v_lshlrev_b64 v[46:47], v46, v[40:41]
	v_lshrrev_b32_e32 v48, 3, v42
	v_sub_u32_e32 v47, 29, v49
	v_and_b32_e32 v46, 7, v46
	v_cmp_gt_u32_e32 vcc, 8, v42
	v_cndmask_b32_e32 v42, v48, v47, vcc
	v_cndmask_b32_e32 v44, v44, v46, vcc
	v_lshlrev_b32_e32 v46, 24, v40
	v_lshlrev_b32_e32 v44, 20, v44
	v_and_b32_e32 v46, 0x80000000, v46
	v_lshl_add_u32 v42, v42, 23, v45
	v_or3_b32 v46, v46, v42, v44
.LBB673_553:                            ;   in Loop: Header=BB673_213 Depth=1
	s_or_b64 exec, exec, s[18:19]
.LBB673_554:                            ;   in Loop: Header=BB673_213 Depth=1
	s_or_b64 exec, exec, s[16:17]
.LBB673_555:                            ;   in Loop: Header=BB673_213 Depth=1
	s_or_b64 exec, exec, s[14:15]
	v_lshrrev_b16_e32 v42, 8, v40
	v_cmp_ne_u16_e32 vcc, 0, v42
	v_mov_b32_e32 v44, 0
	v_mov_b32_e32 v47, 0
	s_and_saveexec_b64 s[14:15], vcc
	s_cbranch_execz .LBB673_561
; %bb.556:                              ;   in Loop: Header=BB673_213 Depth=1
	v_cmp_ne_u16_e32 vcc, s9, v42
	v_bfrev_b32_e32 v47, 1
	s_and_saveexec_b64 s[16:17], vcc
	s_cbranch_execz .LBB673_560
; %bb.557:                              ;   in Loop: Header=BB673_213 Depth=1
	v_and_b32_e32 v48, 0x7f, v42
	v_cmp_ne_u32_e32 vcc, s21, v48
	v_mov_b32_e32 v47, 0x7f800001
	s_and_saveexec_b64 s[18:19], vcc
	s_cbranch_execz .LBB673_559
; %bb.558:                              ;   in Loop: Header=BB673_213 Depth=1
	v_and_b32_e32 v47, 7, v42
	v_ffbh_u32_e32 v50, v47
	v_min_u32_e32 v52, 32, v50
	v_subrev_u32_e32 v50, 28, v52
	v_lshlrev_b64 v[50:51], v50, v[42:43]
	v_lshrrev_b32_e32 v49, 3, v48
	v_sub_u32_e32 v42, 29, v52
	v_and_b32_e32 v50, 7, v50
	v_cmp_gt_u32_e32 vcc, 8, v48
	v_cndmask_b32_e32 v42, v49, v42, vcc
	v_cndmask_b32_e32 v47, v47, v50, vcc
	v_lshlrev_b32_e32 v48, 16, v40
	v_lshlrev_b32_e32 v47, 20, v47
	v_and_b32_e32 v48, 0x80000000, v48
	v_lshl_add_u32 v42, v42, 23, v45
	v_or3_b32 v47, v48, v42, v47
.LBB673_559:                            ;   in Loop: Header=BB673_213 Depth=1
	s_or_b64 exec, exec, s[18:19]
.LBB673_560:                            ;   in Loop: Header=BB673_213 Depth=1
	s_or_b64 exec, exec, s[16:17]
.LBB673_561:                            ;   in Loop: Header=BB673_213 Depth=1
	s_or_b64 exec, exec, s[14:15]
	v_lshrrev_b32_e32 v42, 16, v40
	v_cmp_ne_u16_sdwa s[16:17], v42, v43 src0_sel:BYTE_0 src1_sel:DWORD
	s_and_saveexec_b64 s[14:15], s[16:17]
	s_cbranch_execz .LBB673_567
; %bb.562:                              ;   in Loop: Header=BB673_213 Depth=1
	v_cmp_ne_u16_sdwa s[18:19], v42, s9 src0_sel:BYTE_0 src1_sel:DWORD
	v_bfrev_b32_e32 v44, 1
	s_and_saveexec_b64 s[16:17], s[18:19]
	s_cbranch_execz .LBB673_566
; %bb.563:                              ;   in Loop: Header=BB673_213 Depth=1
	v_bfe_u32 v48, v40, 16, 7
	v_cmp_ne_u32_e32 vcc, s21, v48
	v_mov_b32_e32 v44, 0x7f800001
	s_and_saveexec_b64 s[18:19], vcc
	s_cbranch_execz .LBB673_565
; %bb.564:                              ;   in Loop: Header=BB673_213 Depth=1
	v_and_b32_e32 v44, 7, v42
	v_ffbh_u32_e32 v50, v44
	v_min_u32_e32 v52, 32, v50
	v_subrev_u32_e32 v50, 28, v52
	v_lshlrev_b64 v[50:51], v50, v[42:43]
	v_lshrrev_b32_e32 v49, 3, v48
	v_sub_u32_e32 v51, 29, v52
	v_and_b32_e32 v50, 7, v50
	v_cmp_gt_u32_e32 vcc, 8, v48
	v_cndmask_b32_e32 v48, v49, v51, vcc
	v_cndmask_b32_e32 v44, v44, v50, vcc
	v_lshlrev_b32_e32 v42, 24, v42
	v_lshlrev_b32_e32 v44, 20, v44
	v_and_b32_e32 v42, 0x80000000, v42
	v_lshl_add_u32 v48, v48, 23, v45
	v_or3_b32 v44, v42, v48, v44
.LBB673_565:                            ;   in Loop: Header=BB673_213 Depth=1
	s_or_b64 exec, exec, s[18:19]
.LBB673_566:                            ;   in Loop: Header=BB673_213 Depth=1
	s_or_b64 exec, exec, s[16:17]
.LBB673_567:                            ;   in Loop: Header=BB673_213 Depth=1
	s_or_b64 exec, exec, s[14:15]
	v_cmp_lt_u32_e32 vcc, s22, v40
	v_mov_b32_e32 v48, 0
	v_mov_b32_e32 v49, 0
	s_and_saveexec_b64 s[14:15], vcc
	s_cbranch_execz .LBB673_573
; %bb.568:                              ;   in Loop: Header=BB673_213 Depth=1
	v_lshrrev_b32_e32 v42, 24, v40
	v_cmp_ne_u32_e32 vcc, s9, v42
	v_bfrev_b32_e32 v49, 1
	s_and_saveexec_b64 s[16:17], vcc
	s_cbranch_execz .LBB673_572
; %bb.569:                              ;   in Loop: Header=BB673_213 Depth=1
	v_bfe_u32 v40, v40, 24, 7
	v_cmp_ne_u32_e32 vcc, s21, v40
	v_mov_b32_e32 v49, 0x7f800001
	s_and_saveexec_b64 s[18:19], vcc
	s_cbranch_execz .LBB673_571
; %bb.570:                              ;   in Loop: Header=BB673_213 Depth=1
	v_and_b32_e32 v49, 7, v42
	v_ffbh_u32_e32 v50, v49
	v_min_u32_e32 v53, 32, v50
	v_subrev_u32_e32 v50, 28, v53
	v_lshlrev_b64 v[50:51], v50, v[42:43]
	v_lshrrev_b32_e32 v52, 3, v40
	v_sub_u32_e32 v51, 29, v53
	v_and_b32_e32 v50, 7, v50
	v_cmp_gt_u32_e32 vcc, 8, v40
	v_cndmask_b32_e32 v40, v52, v51, vcc
	v_cndmask_b32_e32 v49, v49, v50, vcc
	v_lshlrev_b32_e32 v42, 24, v42
	v_lshlrev_b32_e32 v49, 20, v49
	v_and_b32_e32 v42, 0x80000000, v42
	v_lshl_add_u32 v40, v40, 23, v45
	v_or3_b32 v49, v42, v40, v49
.LBB673_571:                            ;   in Loop: Header=BB673_213 Depth=1
	s_or_b64 exec, exec, s[18:19]
.LBB673_572:                            ;   in Loop: Header=BB673_213 Depth=1
	s_or_b64 exec, exec, s[16:17]
.LBB673_573:                            ;   in Loop: Header=BB673_213 Depth=1
	s_or_b64 exec, exec, s[14:15]
	s_waitcnt vmcnt(0)
	v_cmp_ne_u16_sdwa s[16:17], v38, v43 src0_sel:BYTE_0 src1_sel:DWORD
	s_and_saveexec_b64 s[14:15], s[16:17]
	s_cbranch_execz .LBB673_579
; %bb.574:                              ;   in Loop: Header=BB673_213 Depth=1
	v_cmp_ne_u16_sdwa s[18:19], v38, s9 src0_sel:BYTE_0 src1_sel:DWORD
	v_bfrev_b32_e32 v48, 1
	s_and_saveexec_b64 s[16:17], s[18:19]
	s_cbranch_execz .LBB673_578
; %bb.575:                              ;   in Loop: Header=BB673_213 Depth=1
	v_and_b32_e32 v40, 0x7f, v38
	v_cmp_ne_u32_e32 vcc, s21, v40
	v_mov_b32_e32 v48, 0x7f800001
	s_and_saveexec_b64 s[18:19], vcc
	s_cbranch_execz .LBB673_577
; %bb.576:                              ;   in Loop: Header=BB673_213 Depth=1
	v_and_b32_e32 v42, 7, v38
	v_ffbh_u32_e32 v50, v42
	v_min_u32_e32 v52, 32, v50
	v_subrev_u32_e32 v50, 28, v52
	v_lshlrev_b64 v[50:51], v50, v[38:39]
	v_lshrrev_b32_e32 v48, 3, v40
	v_sub_u32_e32 v51, 29, v52
	v_and_b32_e32 v50, 7, v50
	v_cmp_gt_u32_e32 vcc, 8, v40
	v_cndmask_b32_e32 v40, v48, v51, vcc
	v_cndmask_b32_e32 v42, v42, v50, vcc
	v_lshlrev_b32_e32 v48, 24, v38
	v_lshlrev_b32_e32 v42, 20, v42
	v_and_b32_e32 v48, 0x80000000, v48
	v_lshl_add_u32 v40, v40, 23, v45
	v_or3_b32 v48, v48, v40, v42
.LBB673_577:                            ;   in Loop: Header=BB673_213 Depth=1
	s_or_b64 exec, exec, s[18:19]
.LBB673_578:                            ;   in Loop: Header=BB673_213 Depth=1
	s_or_b64 exec, exec, s[16:17]
.LBB673_579:                            ;   in Loop: Header=BB673_213 Depth=1
	s_or_b64 exec, exec, s[14:15]
	v_lshrrev_b16_e32 v40, 8, v38
	v_cmp_ne_u16_e32 vcc, 0, v40
	v_mov_b32_e32 v42, 0
	v_mov_b32_e32 v50, 0
	s_and_saveexec_b64 s[14:15], vcc
	s_cbranch_execz .LBB673_585
; %bb.580:                              ;   in Loop: Header=BB673_213 Depth=1
	v_cmp_ne_u16_e32 vcc, s9, v40
	v_bfrev_b32_e32 v50, 1
	s_and_saveexec_b64 s[16:17], vcc
	s_cbranch_execz .LBB673_584
; %bb.581:                              ;   in Loop: Header=BB673_213 Depth=1
	v_and_b32_e32 v51, 0x7f, v40
	v_cmp_ne_u32_e32 vcc, s21, v51
	v_mov_b32_e32 v50, 0x7f800001
	s_and_saveexec_b64 s[18:19], vcc
	s_cbranch_execz .LBB673_583
; %bb.582:                              ;   in Loop: Header=BB673_213 Depth=1
	v_and_b32_e32 v50, 7, v40
	v_ffbh_u32_e32 v52, v50
	v_min_u32_e32 v63, 32, v52
	v_subrev_u32_e32 v52, 28, v63
	v_lshlrev_b64 v[52:53], v52, v[40:41]
	v_lshrrev_b32_e32 v62, 3, v51
	v_sub_u32_e32 v40, 29, v63
	v_and_b32_e32 v52, 7, v52
	v_cmp_gt_u32_e32 vcc, 8, v51
	v_cndmask_b32_e32 v40, v62, v40, vcc
	v_cndmask_b32_e32 v50, v50, v52, vcc
	v_lshlrev_b32_e32 v51, 16, v38
	v_lshlrev_b32_e32 v50, 20, v50
	v_and_b32_e32 v51, 0x80000000, v51
	v_lshl_add_u32 v40, v40, 23, v45
	v_or3_b32 v50, v51, v40, v50
.LBB673_583:                            ;   in Loop: Header=BB673_213 Depth=1
	s_or_b64 exec, exec, s[18:19]
.LBB673_584:                            ;   in Loop: Header=BB673_213 Depth=1
	s_or_b64 exec, exec, s[16:17]
.LBB673_585:                            ;   in Loop: Header=BB673_213 Depth=1
	s_or_b64 exec, exec, s[14:15]
	v_lshrrev_b32_e32 v40, 16, v38
	v_cmp_ne_u16_sdwa s[16:17], v40, v43 src0_sel:BYTE_0 src1_sel:DWORD
	s_and_saveexec_b64 s[14:15], s[16:17]
	s_cbranch_execz .LBB673_591
; %bb.586:                              ;   in Loop: Header=BB673_213 Depth=1
	v_cmp_ne_u16_sdwa s[18:19], v40, s9 src0_sel:BYTE_0 src1_sel:DWORD
	v_bfrev_b32_e32 v42, 1
	s_and_saveexec_b64 s[16:17], s[18:19]
	s_cbranch_execz .LBB673_590
; %bb.587:                              ;   in Loop: Header=BB673_213 Depth=1
	v_bfe_u32 v51, v38, 16, 7
	v_cmp_ne_u32_e32 vcc, s21, v51
	v_mov_b32_e32 v42, 0x7f800001
	s_and_saveexec_b64 s[18:19], vcc
	s_cbranch_execz .LBB673_589
; %bb.588:                              ;   in Loop: Header=BB673_213 Depth=1
	v_and_b32_e32 v42, 7, v40
	v_ffbh_u32_e32 v52, v42
	v_min_u32_e32 v63, 32, v52
	v_subrev_u32_e32 v52, 28, v63
	v_lshlrev_b64 v[52:53], v52, v[40:41]
	v_lshrrev_b32_e32 v62, 3, v51
	v_sub_u32_e32 v53, 29, v63
	v_and_b32_e32 v52, 7, v52
	v_cmp_gt_u32_e32 vcc, 8, v51
	v_cndmask_b32_e32 v51, v62, v53, vcc
	v_cndmask_b32_e32 v42, v42, v52, vcc
	v_lshlrev_b32_e32 v40, 24, v40
	v_lshlrev_b32_e32 v42, 20, v42
	v_and_b32_e32 v40, 0x80000000, v40
	v_lshl_add_u32 v51, v51, 23, v45
	v_or3_b32 v42, v40, v51, v42
.LBB673_589:                            ;   in Loop: Header=BB673_213 Depth=1
	s_or_b64 exec, exec, s[18:19]
.LBB673_590:                            ;   in Loop: Header=BB673_213 Depth=1
	s_or_b64 exec, exec, s[16:17]
.LBB673_591:                            ;   in Loop: Header=BB673_213 Depth=1
	s_or_b64 exec, exec, s[14:15]
	v_cmp_lt_u32_e32 vcc, s22, v38
	v_mov_b32_e32 v51, 0
	s_and_saveexec_b64 s[14:15], vcc
	s_cbranch_execz .LBB673_212
; %bb.592:                              ;   in Loop: Header=BB673_213 Depth=1
	v_lshrrev_b32_e32 v40, 24, v38
	v_cmp_ne_u32_e32 vcc, s9, v40
	v_bfrev_b32_e32 v51, 1
	s_and_saveexec_b64 s[16:17], vcc
	s_cbranch_execz .LBB673_211
; %bb.593:                              ;   in Loop: Header=BB673_213 Depth=1
	v_bfe_u32 v38, v38, 24, 7
	v_cmp_ne_u32_e32 vcc, s21, v38
	v_mov_b32_e32 v51, 0x7f800001
	s_and_saveexec_b64 s[18:19], vcc
	s_cbranch_execz .LBB673_210
; %bb.594:                              ;   in Loop: Header=BB673_213 Depth=1
	v_and_b32_e32 v51, 7, v40
	v_ffbh_u32_e32 v52, v51
	v_min_u32_e32 v63, 32, v52
	v_subrev_u32_e32 v52, 28, v63
	v_lshlrev_b64 v[52:53], v52, v[40:41]
	v_lshrrev_b32_e32 v62, 3, v38
	v_sub_u32_e32 v53, 29, v63
	v_and_b32_e32 v52, 7, v52
	v_cmp_gt_u32_e32 vcc, 8, v38
	v_cndmask_b32_e32 v38, v62, v53, vcc
	v_cndmask_b32_e32 v51, v51, v52, vcc
	v_lshlrev_b32_e32 v40, 24, v40
	v_lshlrev_b32_e32 v51, 20, v51
	v_and_b32_e32 v40, 0x80000000, v40
	v_lshl_add_u32 v38, v38, 23, v45
	v_or3_b32 v51, v40, v38, v51
	s_branch .LBB673_210
.LBB673_595:
	s_barrier
	buffer_load_dword v2, off, s[0:3], 0 offset:320
	buffer_load_dword v5, off, s[0:3], 0 offset:332
	;; [unrolled: 1-line block ×4, first 2 shown]
	s_waitcnt vmcnt(0)
	ds_write2st64_b64 v39, v[2:3], v[4:5] offset1:1
	s_waitcnt lgkmcnt(0)
	s_barrier
	s_and_saveexec_b64 s[4:5], s[6:7]
	s_cbranch_execz .LBB673_597
; %bb.596:
	s_lshl_b32 s6, s54, 7
	s_mul_i32 s4, s20, s8
	s_mul_hi_u32 s5, s4, s6
	s_mul_i32 s4, s4, s6
	s_lshl_b64 s[4:5], s[4:5], 1
	s_add_u32 s7, s52, s4
	v_lshlrev_b32_e32 v3, 6, v55
	s_addc_u32 s8, s53, s5
	s_lshl_b32 s4, s26, 7
	s_mov_b32 s5, 0
	v_lshl_or_b32 v0, v0, 10, v3
	s_lshl_b64 s[4:5], s[4:5], 1
	v_and_b32_e32 v2, 16, v57
	v_and_b32_e32 v0, 0x1a00, v0
	s_add_u32 s7, s7, s4
	v_or3_b32 v0, v0, v56, v2
	s_addc_u32 s8, s8, s5
	v_mad_u64_u32 v[6:7], s[4:5], s6, v54, 0
	ds_read_b128 v[2:5], v0
	v_lshlrev_b64 v[6:7], 1, v[6:7]
	v_mov_b32_e32 v0, s8
	v_add_co_u32_e32 v6, vcc, s7, v6
	v_addc_co_u32_e32 v7, vcc, v0, v7, vcc
	v_add_co_u32_e32 v0, vcc, v6, v1
	v_addc_co_u32_e32 v1, vcc, 0, v7, vcc
	s_waitcnt lgkmcnt(0)
	global_store_dwordx4 v[0:1], v[2:5], off
.LBB673_597:
	s_endpgm
	.section	.rodata,"a",@progbits
	.p2align	6, 0x0
	.amdhsa_kernel _Z39paged_attention_ll4mi_QKV_mfma16_kernelIDF16_hLN4vllm18Fp8KVCacheDataTypeE1EDF16_Li32ELi128ELi256ELb0ELi4EL8MFMAType0EEvPKT_PKT0_S8_ifPKiSA_SA_iPKfiiiPfSD_PS3_PT2_iSC_SC_
		.amdhsa_group_segment_fixed_size 8192
		.amdhsa_private_segment_fixed_size 352
		.amdhsa_kernarg_size 400
		.amdhsa_user_sgpr_count 8
		.amdhsa_user_sgpr_private_segment_buffer 1
		.amdhsa_user_sgpr_dispatch_ptr 0
		.amdhsa_user_sgpr_queue_ptr 0
		.amdhsa_user_sgpr_kernarg_segment_ptr 1
		.amdhsa_user_sgpr_dispatch_id 0
		.amdhsa_user_sgpr_flat_scratch_init 1
		.amdhsa_user_sgpr_kernarg_preload_length 0
		.amdhsa_user_sgpr_kernarg_preload_offset 0
		.amdhsa_user_sgpr_private_segment_size 0
		.amdhsa_uses_dynamic_stack 0
		.amdhsa_system_sgpr_private_segment_wavefront_offset 1
		.amdhsa_system_sgpr_workgroup_id_x 1
		.amdhsa_system_sgpr_workgroup_id_y 1
		.amdhsa_system_sgpr_workgroup_id_z 1
		.amdhsa_system_sgpr_workgroup_info 0
		.amdhsa_system_vgpr_workitem_id 0
		.amdhsa_next_free_vgpr 82
		.amdhsa_next_free_sgpr 56
		.amdhsa_accum_offset 84
		.amdhsa_reserve_vcc 1
		.amdhsa_reserve_flat_scratch 0
		.amdhsa_float_round_mode_32 0
		.amdhsa_float_round_mode_16_64 0
		.amdhsa_float_denorm_mode_32 3
		.amdhsa_float_denorm_mode_16_64 3
		.amdhsa_dx10_clamp 1
		.amdhsa_ieee_mode 1
		.amdhsa_fp16_overflow 0
		.amdhsa_tg_split 0
		.amdhsa_exception_fp_ieee_invalid_op 0
		.amdhsa_exception_fp_denorm_src 0
		.amdhsa_exception_fp_ieee_div_zero 0
		.amdhsa_exception_fp_ieee_overflow 0
		.amdhsa_exception_fp_ieee_underflow 0
		.amdhsa_exception_fp_ieee_inexact 0
		.amdhsa_exception_int_div_zero 0
	.end_amdhsa_kernel
	.section	.text._Z39paged_attention_ll4mi_QKV_mfma16_kernelIDF16_hLN4vllm18Fp8KVCacheDataTypeE1EDF16_Li32ELi128ELi256ELb0ELi4EL8MFMAType0EEvPKT_PKT0_S8_ifPKiSA_SA_iPKfiiiPfSD_PS3_PT2_iSC_SC_,"axG",@progbits,_Z39paged_attention_ll4mi_QKV_mfma16_kernelIDF16_hLN4vllm18Fp8KVCacheDataTypeE1EDF16_Li32ELi128ELi256ELb0ELi4EL8MFMAType0EEvPKT_PKT0_S8_ifPKiSA_SA_iPKfiiiPfSD_PS3_PT2_iSC_SC_,comdat
.Lfunc_end673:
	.size	_Z39paged_attention_ll4mi_QKV_mfma16_kernelIDF16_hLN4vllm18Fp8KVCacheDataTypeE1EDF16_Li32ELi128ELi256ELb0ELi4EL8MFMAType0EEvPKT_PKT0_S8_ifPKiSA_SA_iPKfiiiPfSD_PS3_PT2_iSC_SC_, .Lfunc_end673-_Z39paged_attention_ll4mi_QKV_mfma16_kernelIDF16_hLN4vllm18Fp8KVCacheDataTypeE1EDF16_Li32ELi128ELi256ELb0ELi4EL8MFMAType0EEvPKT_PKT0_S8_ifPKiSA_SA_iPKfiiiPfSD_PS3_PT2_iSC_SC_
                                        ; -- End function
	.section	.AMDGPU.csdata,"",@progbits
; Kernel info:
; codeLenInByte = 21120
; NumSgprs: 60
; NumVgprs: 82
; NumAgprs: 0
; TotalNumVgprs: 82
; ScratchSize: 352
; MemoryBound: 0
; FloatMode: 240
; IeeeMode: 1
; LDSByteSize: 8192 bytes/workgroup (compile time only)
; SGPRBlocks: 7
; VGPRBlocks: 10
; NumSGPRsForWavesPerEU: 60
; NumVGPRsForWavesPerEU: 82
; AccumOffset: 84
; Occupancy: 5
; WaveLimiterHint : 1
; COMPUTE_PGM_RSRC2:SCRATCH_EN: 1
; COMPUTE_PGM_RSRC2:USER_SGPR: 8
; COMPUTE_PGM_RSRC2:TRAP_HANDLER: 0
; COMPUTE_PGM_RSRC2:TGID_X_EN: 1
; COMPUTE_PGM_RSRC2:TGID_Y_EN: 1
; COMPUTE_PGM_RSRC2:TGID_Z_EN: 1
; COMPUTE_PGM_RSRC2:TIDIG_COMP_CNT: 0
; COMPUTE_PGM_RSRC3_GFX90A:ACCUM_OFFSET: 20
; COMPUTE_PGM_RSRC3_GFX90A:TG_SPLIT: 0
	.section	.text._Z38paged_attention_ll4mi_QKV_mfma4_kernelI14__hip_bfloat16hLN4vllm18Fp8KVCacheDataTypeE1ES0_Li16ELi64ELi256ELb1ELi1EEvPKT_PKT0_S8_ifPKiSA_SA_iPKfiiiPfSD_PS3_PT2_iSC_SC_,"axG",@progbits,_Z38paged_attention_ll4mi_QKV_mfma4_kernelI14__hip_bfloat16hLN4vllm18Fp8KVCacheDataTypeE1ES0_Li16ELi64ELi256ELb1ELi1EEvPKT_PKT0_S8_ifPKiSA_SA_iPKfiiiPfSD_PS3_PT2_iSC_SC_,comdat
	.protected	_Z38paged_attention_ll4mi_QKV_mfma4_kernelI14__hip_bfloat16hLN4vllm18Fp8KVCacheDataTypeE1ES0_Li16ELi64ELi256ELb1ELi1EEvPKT_PKT0_S8_ifPKiSA_SA_iPKfiiiPfSD_PS3_PT2_iSC_SC_ ; -- Begin function _Z38paged_attention_ll4mi_QKV_mfma4_kernelI14__hip_bfloat16hLN4vllm18Fp8KVCacheDataTypeE1ES0_Li16ELi64ELi256ELb1ELi1EEvPKT_PKT0_S8_ifPKiSA_SA_iPKfiiiPfSD_PS3_PT2_iSC_SC_
	.globl	_Z38paged_attention_ll4mi_QKV_mfma4_kernelI14__hip_bfloat16hLN4vllm18Fp8KVCacheDataTypeE1ES0_Li16ELi64ELi256ELb1ELi1EEvPKT_PKT0_S8_ifPKiSA_SA_iPKfiiiPfSD_PS3_PT2_iSC_SC_
	.p2align	8
	.type	_Z38paged_attention_ll4mi_QKV_mfma4_kernelI14__hip_bfloat16hLN4vllm18Fp8KVCacheDataTypeE1ES0_Li16ELi64ELi256ELb1ELi1EEvPKT_PKT0_S8_ifPKiSA_SA_iPKfiiiPfSD_PS3_PT2_iSC_SC_,@function
_Z38paged_attention_ll4mi_QKV_mfma4_kernelI14__hip_bfloat16hLN4vllm18Fp8KVCacheDataTypeE1ES0_Li16ELi64ELi256ELb1ELi1EEvPKT_PKT0_S8_ifPKiSA_SA_iPKfiiiPfSD_PS3_PT2_iSC_SC_: ; @_Z38paged_attention_ll4mi_QKV_mfma4_kernelI14__hip_bfloat16hLN4vllm18Fp8KVCacheDataTypeE1ES0_Li16ELi64ELi256ELb1ELi1EEvPKT_PKT0_S8_ifPKiSA_SA_iPKfiiiPfSD_PS3_PT2_iSC_SC_
; %bb.0:
	s_load_dwordx2 s[2:3], s[4:5], 0x30
	s_mov_b32 s24, s7
	s_mov_b64 s[0:1], 0
	s_waitcnt lgkmcnt(0)
	s_cmp_lg_u64 s[2:3], 0
	s_cselect_b64 s[10:11], -1, 0
	s_and_b64 vcc, exec, s[10:11]
	s_cbranch_vccz .LBB674_10
; %bb.1:
	s_add_i32 s12, s6, 1
	s_mov_b32 s13, 0
	s_lshl_b64 s[14:15], s[12:13], 2
	s_add_u32 s14, s2, s14
	s_mov_b32 s7, s13
	s_addc_u32 s15, s3, s15
	s_lshl_b64 s[12:13], s[6:7], 2
	s_add_u32 s12, s2, s12
	s_addc_u32 s13, s3, s13
	s_load_dword s9, s[14:15], 0x0
	s_load_dword s16, s[12:13], 0x0
	s_waitcnt lgkmcnt(0)
	s_sub_i32 s9, s9, s16
	s_cmp_eq_u32 s9, 1
	s_cselect_b64 s[12:13], -1, 0
	s_andn2_b64 vcc, exec, s[0:1]
	s_cbranch_vccnz .LBB674_3
.LBB674_2:
	s_mov_b32 s7, 0
	s_mov_b64 s[12:13], -1
.LBB674_3:
	s_andn2_b64 vcc, exec, s[12:13]
	s_cbranch_vccnz .LBB674_793
; %bb.4:
	s_load_dword s9, s[4:5], 0x9c
	s_load_dwordx2 s[0:1], s[4:5], 0x28
	s_add_u32 s28, s4, 0x90
	s_addc_u32 s29, s5, 0
	s_lshl_b64 s[20:21], s[6:7], 2
	s_waitcnt lgkmcnt(0)
	s_and_b32 s9, s9, 0xffff
	s_add_u32 s0, s0, s20
	s_addc_u32 s1, s1, s21
	s_load_dword s7, s[0:1], 0x0
	s_mul_i32 s9, s24, s9
	s_waitcnt lgkmcnt(0)
	s_cmp_ge_i32 s9, s7
	s_cbranch_scc1 .LBB674_793
; %bb.5:
	v_and_b32_e32 v2, 0xc0, v0
	v_add_u32_e32 v4, s9, v2
	v_lshrrev_b32_e32 v1, 6, v0
	v_cmp_gt_i32_e64 s[0:1], s7, v4
	v_cmp_le_i32_e32 vcc, s7, v4
                                        ; implicit-def: $sgpr23
                                        ; implicit-def: $sgpr22
	s_and_saveexec_b64 s[12:13], vcc
	s_xor_b64 s[12:13], exec, s[12:13]
	s_cbranch_execz .LBB674_7
; %bb.6:
	v_mul_u32_u24_e32 v2, 20, v1
	v_or_b32_e32 v2, 0xa00, v2
	v_mov_b32_e32 v3, 0xa50
	v_mov_b32_e32 v4, 0xff7fffff
	v_mad_u32_u24 v3, v1, 20, v3
	ds_write2_b32 v2, v4, v4 offset1:1
	v_mov_b32_e32 v2, 0
	ds_write2_b32 v3, v2, v2 offset1:1
	v_mov_b32_e32 v3, 0xa08
	s_mov_b32 s22, 0xff7fffff
	s_mov_b32 s23, 0
	v_mad_u32_u24 v3, v1, 20, v3
	v_mov_b32_e32 v5, 0xa58
	v_mad_u32_u24 v5, v1, 20, v5
	ds_write2_b32 v3, v4, v4 offset1:1
	ds_write2_b32 v5, v2, v2 offset1:1
                                        ; implicit-def: $vgpr4
.LBB674_7:
	s_or_saveexec_b64 s[30:31], s[12:13]
	s_load_dwordx2 s[26:27], s[4:5], 0x68
	s_load_dwordx4 s[16:19], s[4:5], 0x58
	s_load_dword s33, s[28:29], 0x4
	s_load_dwordx4 s[12:15], s[4:5], 0x80
	v_and_b32_e32 v42, 63, v0
	v_and_b32_e32 v43, 3, v0
	v_mov_b32_e32 v21, s23
	v_mov_b32_e32 v25, s22
	;; [unrolled: 1-line block ×5, first 2 shown]
                                        ; implicit-def: $vgpr14_vgpr15
                                        ; implicit-def: $vgpr10_vgpr11
                                        ; implicit-def: $vgpr6_vgpr7
                                        ; implicit-def: $vgpr2_vgpr3
	s_xor_b64 exec, exec, s[30:31]
	s_cbranch_execz .LBB674_403
; %bb.8:
	s_add_i32 s34, s7, 15
	s_ashr_i32 s35, s34, 31
	s_load_dwordx2 s[22:23], s[4:5], 0x20
	s_load_dword s25, s[4:5], 0x38
	s_lshr_b32 s35, s35, 28
	v_add_u32_e32 v44, s9, v0
	s_add_i32 s34, s34, s35
	v_ashrrev_i32_e32 v2, 31, v44
	s_ashr_i32 s34, s34, 4
	v_lshrrev_b32_e32 v2, 28, v2
	s_add_i32 s36, s34, -1
	v_add_u32_e32 v2, v44, v2
	v_ashrrev_i32_e32 v2, 4, v2
	v_mov_b32_e32 v3, s36
	v_cmp_gt_i32_e32 vcc, s7, v44
	s_waitcnt lgkmcnt(0)
	s_mul_i32 s34, s6, s25
	s_mov_b32 s35, 0
	v_cndmask_b32_e32 v2, v3, v2, vcc
	s_lshl_b64 s[34:35], s[34:35], 2
	v_ashrrev_i32_e32 v3, 31, v2
	s_add_u32 s22, s22, s34
	v_lshlrev_b64 v[2:3], 2, v[2:3]
	v_add_co_u32_e32 v8, vcc, s22, v2
	v_ashrrev_i32_e32 v2, 31, v4
	v_lshrrev_b32_e32 v2, 28, v2
	v_add_u32_e32 v2, v4, v2
	s_addc_u32 s23, s23, s35
	v_ashrrev_i32_e32 v4, 4, v2
	v_mov_b32_e32 v5, s23
	v_min_i32_e32 v2, s36, v4
	v_addc_co_u32_e32 v9, vcc, v5, v3, vcc
	v_ashrrev_i32_e32 v3, 31, v2
	v_lshlrev_b64 v[2:3], 2, v[2:3]
	v_add_co_u32_e32 v10, vcc, s22, v2
	v_add_u32_e32 v2, 1, v4
	v_min_i32_e32 v2, s36, v2
	v_addc_co_u32_e32 v11, vcc, v5, v3, vcc
	v_ashrrev_i32_e32 v3, 31, v2
	v_lshlrev_b64 v[2:3], 2, v[2:3]
	v_add_co_u32_e32 v12, vcc, s22, v2
	v_add_u32_e32 v2, 2, v4
	;; [unrolled: 6-line block ×3, first 2 shown]
	v_min_i32_e32 v2, s36, v2
	v_addc_co_u32_e32 v15, vcc, v5, v3, vcc
	v_ashrrev_i32_e32 v3, 31, v2
	v_lshlrev_b64 v[2:3], 2, v[2:3]
	v_mov_b32_e32 v4, s23
	v_add_co_u32_e32 v16, vcc, s22, v2
	v_addc_co_u32_e32 v17, vcc, v4, v3, vcc
	global_load_dword v6, v[8:9], off
	global_load_dword v5, v[10:11], off
	;; [unrolled: 1-line block ×5, first 2 shown]
	s_load_dwordx2 s[34:35], s[4:5], 0x8
	s_andn2_b64 vcc, exec, s[10:11]
	s_cbranch_vccnz .LBB674_11
; %bb.9:
	s_add_u32 s2, s2, s20
	s_addc_u32 s3, s3, s21
	s_load_dword s9, s[2:3], 0x0
	s_branch .LBB674_12
.LBB674_10:
	s_mov_b64 s[12:13], 0
	s_branch .LBB674_2
.LBB674_11:
	s_mov_b32 s9, s6
.LBB674_12:
	s_load_dwordx2 s[10:11], s[4:5], 0x10
	s_load_dwordx4 s[20:23], s[4:5], 0x48
	v_cmp_eq_u32_e32 vcc, 0, v43
	s_mov_b32 s37, 0
	v_mov_b32_e32 v45, 0
	v_mov_b32_e32 v18, 0
	;; [unrolled: 1-line block ×5, first 2 shown]
	s_and_saveexec_b64 s[2:3], vcc
	s_cbranch_execz .LBB674_14
; %bb.13:
	s_load_dwordx2 s[38:39], s[4:5], 0x0
	s_waitcnt lgkmcnt(0)
	s_ashr_i32 s23, s20, 31
	s_mul_hi_u32 s25, s9, s20
	s_mul_i32 s23, s9, s23
	s_add_i32 s41, s25, s23
	s_mul_i32 s40, s9, s20
	s_lshl_b64 s[40:41], s[40:41], 1
	s_add_u32 s9, s38, s40
	s_addc_u32 s20, s39, s41
	s_lshl_b32 s36, s8, 6
	s_lshl_b64 s[36:37], s[36:37], 1
	s_add_u32 s36, s9, s36
	s_addc_u32 s37, s20, s37
	v_lshlrev_b32_e32 v7, 2, v42
	global_load_dwordx4 v[18:21], v7, s[36:37]
.LBB674_14:
	s_or_b64 exec, exec, s[2:3]
	s_waitcnt lgkmcnt(0)
	s_mul_i32 s20, s8, s22
	s_add_u32 s2, s20, s34
	s_addc_u32 s3, 0, s35
	v_pk_mov_b32 v[8:9], s[2:3], s[2:3] op_sel:[0,1]
	s_waitcnt vmcnt(4)
	v_mad_i64_i32 v[6:7], s[2:3], v6, s21, v[8:9]
	v_lshlrev_b32_e32 v8, 4, v0
	v_and_b32_e32 v8, 0xf0, v8
	v_add_co_u32_e64 v6, s[2:3], v6, v8
	v_addc_co_u32_e64 v7, s[2:3], 0, v7, s[2:3]
	global_load_dwordx4 v[34:37], v[6:7], off
	global_load_dwordx4 v[30:33], v[6:7], off offset:256
	global_load_dwordx4 v[26:29], v[6:7], off offset:512
	;; [unrolled: 1-line block ×3, first 2 shown]
	s_and_saveexec_b64 s[2:3], vcc
	s_cbranch_execz .LBB674_16
; %bb.15:
	s_load_dwordx2 s[22:23], s[4:5], 0x40
	s_mov_b32 s9, 0
	s_lshl_b64 s[34:35], s[8:9], 2
	s_waitcnt lgkmcnt(0)
	s_add_u32 s22, s22, s34
	s_addc_u32 s23, s23, s35
	s_load_dword s9, s[22:23], 0x0
	s_waitcnt lgkmcnt(0)
	v_mov_b32_e32 v45, s9
.LBB674_16:
	s_or_b64 exec, exec, s[2:3]
	s_add_u32 s2, s10, s20
	s_addc_u32 s3, s11, 0
	v_lshlrev_b32_e32 v6, 4, v42
	v_mov_b32_e32 v7, s3
	v_add_co_u32_e64 v8, s[2:3], s2, v6
	s_waitcnt vmcnt(7)
	v_mul_hi_i32 v6, v5, s21
	v_ashrrev_i32_e32 v6, 31, v6
	v_lshrrev_b32_e32 v38, 29, v6
	v_mov_b32_e32 v39, 0
	v_addc_co_u32_e64 v9, s[2:3], 0, v7, s[2:3]
	v_mad_i64_i32 v[6:7], s[2:3], v5, s21, v[38:39]
	v_and_b32_e32 v5, -8, v6
	v_add_co_u32_e64 v6, s[2:3], v8, v5
	s_waitcnt vmcnt(6)
	v_mul_hi_i32 v5, v4, s21
	v_ashrrev_i32_e32 v5, 31, v5
	v_lshrrev_b32_e32 v38, 29, v5
	v_addc_co_u32_e64 v7, s[2:3], v9, v7, s[2:3]
	v_mad_i64_i32 v[4:5], s[2:3], v4, s21, v[38:39]
	v_and_b32_e32 v4, -8, v4
	v_add_co_u32_e64 v4, s[2:3], v8, v4
	v_addc_co_u32_e64 v5, s[2:3], v9, v5, s[2:3]
	global_load_dwordx4 v[14:17], v[6:7], off
	global_load_dwordx4 v[10:13], v[4:5], off
	s_waitcnt vmcnt(7)
	v_mul_hi_i32 v4, v3, s21
	v_ashrrev_i32_e32 v4, 31, v4
	v_lshrrev_b32_e32 v38, 29, v4
	v_mad_i64_i32 v[4:5], s[2:3], v3, s21, v[38:39]
	v_and_b32_e32 v3, -8, v4
	v_add_co_u32_e64 v40, s[2:3], v8, v3
	s_waitcnt vmcnt(6)
	v_mul_hi_i32 v3, v2, s21
	v_ashrrev_i32_e32 v3, 31, v3
	v_lshrrev_b32_e32 v38, 29, v3
	v_addc_co_u32_e64 v41, s[2:3], v9, v5, s[2:3]
	v_mad_i64_i32 v[2:3], s[2:3], v2, s21, v[38:39]
	v_and_b32_e32 v2, -8, v2
	v_add_co_u32_e64 v46, s[2:3], v8, v2
	v_addc_co_u32_e64 v47, s[2:3], v9, v3, s[2:3]
	global_load_dwordx4 v[6:9], v[40:41], off
	global_load_dwordx4 v[2:5], v[46:47], off
	s_waitcnt vmcnt(7)
	v_cmp_ne_u16_sdwa s[2:3], v34, v39 src0_sel:BYTE_0 src1_sel:DWORD
	v_mov_b32_e32 v46, 0
	s_and_saveexec_b64 s[10:11], s[2:3]
	s_cbranch_execz .LBB674_22
; %bb.17:
	s_movk_i32 s2, 0x80
	v_cmp_ne_u16_sdwa s[2:3], v34, s2 src0_sel:BYTE_0 src1_sel:DWORD
	v_mov_b32_e32 v46, 0xffff8000
	s_and_saveexec_b64 s[20:21], s[2:3]
	s_cbranch_execz .LBB674_21
; %bb.18:
	s_movk_i32 s2, 0x7f
	v_and_b32_e32 v38, 0x7f, v34
	v_cmp_ne_u32_e64 s[2:3], s2, v38
	v_mov_b32_e32 v46, 0x7f80
	s_and_saveexec_b64 s[22:23], s[2:3]
	s_cbranch_execz .LBB674_20
; %bb.19:
	v_and_b32_e32 v40, 7, v34
	v_ffbh_u32_e32 v40, v40
	v_min_u32_e32 v40, 32, v40
	v_lshrrev_b32_e32 v41, 3, v38
	v_subrev_u32_e32 v46, 28, v40
	v_sub_u32_e32 v40, 29, v40
	v_cmp_gt_u32_e64 s[2:3], 8, v38
	v_cndmask_b32_e64 v38, v41, v40, s[2:3]
	v_cndmask_b32_e64 v40, 0, v46, s[2:3]
	v_lshlrev_b64 v[40:41], v40, v[34:35]
	v_lshlrev_b32_e32 v40, 20, v40
	v_lshlrev_b32_e32 v41, 24, v34
	v_bfrev_b32_e32 v46, 60
	v_and_b32_e32 v40, 0x700000, v40
	v_and_b32_e32 v41, 0x80000000, v41
	v_lshl_add_u32 v38, v38, 23, v46
	v_or3_b32 v38, v41, v38, v40
	v_lshrrev_b32_e32 v46, 16, v38
.LBB674_20:
	s_or_b64 exec, exec, s[22:23]
.LBB674_21:
	s_or_b64 exec, exec, s[20:21]
.LBB674_22:
	s_or_b64 exec, exec, s[10:11]
	v_lshrrev_b16_e32 v38, 8, v34
	v_cmp_ne_u16_e64 s[2:3], 0, v38
	s_and_saveexec_b64 s[10:11], s[2:3]
	s_cbranch_execz .LBB674_28
; %bb.23:
	s_movk_i32 s2, 0x80
	v_cmp_ne_u16_e64 s[2:3], s2, v38
	v_mov_b32_e32 v39, 0xffff8000
	s_and_saveexec_b64 s[20:21], s[2:3]
	s_cbranch_execz .LBB674_27
; %bb.24:
	s_movk_i32 s2, 0x7f
	v_and_b32_e32 v40, 0x7f, v38
	v_cmp_ne_u32_e64 s[2:3], s2, v40
	v_mov_b32_e32 v39, 0x7f80
	s_and_saveexec_b64 s[22:23], s[2:3]
	s_cbranch_execz .LBB674_26
; %bb.25:
	v_and_b32_e32 v41, 7, v38
	v_ffbh_u32_e32 v39, v41
	v_min_u32_e32 v48, 32, v39
	v_subrev_u32_e32 v39, 28, v48
	v_lshlrev_b64 v[38:39], v39, v[38:39]
	v_lshrrev_b32_e32 v47, 3, v40
	v_sub_u32_e32 v39, 29, v48
	v_and_b32_e32 v38, 7, v38
	v_cmp_gt_u32_e64 s[2:3], 8, v40
	v_cndmask_b32_e64 v39, v47, v39, s[2:3]
	v_cndmask_b32_e64 v38, v41, v38, s[2:3]
	v_lshlrev_b32_e32 v40, 16, v34
	v_bfrev_b32_e32 v41, 60
	v_lshlrev_b32_e32 v38, 20, v38
	v_and_b32_e32 v40, 0x80000000, v40
	v_lshl_add_u32 v39, v39, 23, v41
	v_or3_b32 v38, v40, v39, v38
	v_lshrrev_b32_e32 v39, 16, v38
.LBB674_26:
	s_or_b64 exec, exec, s[22:23]
.LBB674_27:
	s_or_b64 exec, exec, s[20:21]
.LBB674_28:
	s_or_b64 exec, exec, s[10:11]
	s_movk_i32 s2, 0xff
	v_and_b32_sdwa v40, v34, s2 dst_sel:DWORD dst_unused:UNUSED_PAD src0_sel:WORD_1 src1_sel:DWORD
	v_lshrrev_b32_e32 v38, 16, v34
	v_cmp_ne_u16_e64 s[2:3], 0, v40
	v_mov_b32_e32 v41, 0
	v_mov_b32_e32 v47, 0
	s_and_saveexec_b64 s[10:11], s[2:3]
	s_cbranch_execz .LBB674_34
; %bb.29:
	s_movk_i32 s2, 0x80
	v_cmp_ne_u16_e64 s[2:3], s2, v40
	v_mov_b32_e32 v47, 0xffff8000
	s_and_saveexec_b64 s[20:21], s[2:3]
	s_cbranch_execz .LBB674_33
; %bb.30:
	v_bfe_u32 v40, v34, 16, 7
	s_movk_i32 s2, 0x7f
	v_cmp_ne_u32_e64 s[2:3], s2, v40
	v_mov_b32_e32 v47, 0x7f80
	s_and_saveexec_b64 s[22:23], s[2:3]
	s_cbranch_execz .LBB674_32
; %bb.31:
	v_and_b32_e32 v47, 7, v38
	v_ffbh_u32_e32 v48, v47
	v_min_u32_e32 v51, 32, v48
	v_subrev_u32_e32 v48, 28, v51
	v_lshlrev_b64 v[48:49], v48, v[38:39]
	v_and_b32_e32 v48, 7, v48
	v_cmp_gt_u32_e64 s[2:3], 8, v40
	v_lshrrev_b32_e32 v50, 3, v40
	v_sub_u32_e32 v38, 29, v51
	v_cndmask_b32_e64 v40, v47, v48, s[2:3]
	v_mov_b32_e32 v47, 24
	v_cndmask_b32_e64 v38, v50, v38, s[2:3]
	v_lshlrev_b32_sdwa v47, v47, v34 dst_sel:DWORD dst_unused:UNUSED_PAD src0_sel:DWORD src1_sel:WORD_1
	v_bfrev_b32_e32 v48, 60
	v_lshlrev_b32_e32 v40, 20, v40
	v_and_b32_e32 v47, 0x80000000, v47
	v_lshl_add_u32 v38, v38, 23, v48
	v_or3_b32 v38, v47, v38, v40
	v_lshrrev_b32_e32 v47, 16, v38
.LBB674_32:
	s_or_b64 exec, exec, s[22:23]
.LBB674_33:
	s_or_b64 exec, exec, s[20:21]
.LBB674_34:
	s_or_b64 exec, exec, s[10:11]
	s_mov_b32 s2, 0xffffff
	v_cmp_lt_u32_e64 s[2:3], s2, v34
	v_mov_b32_e32 v48, 0
	s_and_saveexec_b64 s[10:11], s[2:3]
	s_cbranch_execz .LBB674_40
; %bb.35:
	v_lshrrev_b32_e32 v38, 24, v34
	s_movk_i32 s2, 0x80
	v_cmp_ne_u32_e64 s[2:3], s2, v38
	v_mov_b32_e32 v48, 0xffff8000
	s_and_saveexec_b64 s[20:21], s[2:3]
	s_cbranch_execz .LBB674_39
; %bb.36:
	v_bfe_u32 v40, v34, 24, 7
	s_movk_i32 s2, 0x7f
	v_cmp_ne_u32_e64 s[2:3], s2, v40
	v_mov_b32_e32 v48, 0x7f80
	s_and_saveexec_b64 s[22:23], s[2:3]
	s_cbranch_execz .LBB674_38
; %bb.37:
	v_and_b32_e32 v50, 7, v38
	v_ffbh_u32_e32 v48, v50
	v_min_u32_e32 v52, 32, v48
	v_subrev_u32_e32 v48, 28, v52
	v_lshlrev_b64 v[48:49], v48, v[38:39]
	v_lshrrev_b32_e32 v51, 3, v40
	v_sub_u32_e32 v49, 29, v52
	v_and_b32_e32 v48, 7, v48
	v_cmp_gt_u32_e64 s[2:3], 8, v40
	v_cndmask_b32_e64 v40, v51, v49, s[2:3]
	v_cndmask_b32_e64 v48, v50, v48, s[2:3]
	v_lshlrev_b32_e32 v38, 24, v38
	v_bfrev_b32_e32 v49, 60
	v_lshlrev_b32_e32 v48, 20, v48
	v_and_b32_e32 v38, 0x80000000, v38
	v_lshl_add_u32 v40, v40, 23, v49
	v_or3_b32 v38, v38, v40, v48
	v_lshrrev_b32_e32 v48, 16, v38
.LBB674_38:
	s_or_b64 exec, exec, s[22:23]
.LBB674_39:
	s_or_b64 exec, exec, s[20:21]
.LBB674_40:
	s_or_b64 exec, exec, s[10:11]
	v_mov_b32_e32 v49, 0
	v_mov_b32_e32 v40, v35
	v_cmp_ne_u16_sdwa s[2:3], v35, v49 src0_sel:BYTE_0 src1_sel:DWORD
	v_mov_b32_e32 v50, 0
	s_and_saveexec_b64 s[10:11], s[2:3]
	s_cbranch_execz .LBB674_46
; %bb.41:
	s_movk_i32 s2, 0x80
	v_cmp_ne_u16_sdwa s[2:3], v35, s2 src0_sel:BYTE_0 src1_sel:DWORD
	v_mov_b32_e32 v50, 0xffff8000
	s_and_saveexec_b64 s[20:21], s[2:3]
	s_cbranch_execz .LBB674_45
; %bb.42:
	s_movk_i32 s2, 0x7f
	v_and_b32_e32 v38, 0x7f, v35
	v_cmp_ne_u32_e64 s[2:3], s2, v38
	v_mov_b32_e32 v50, 0x7f80
	s_and_saveexec_b64 s[22:23], s[2:3]
	s_cbranch_execz .LBB674_44
; %bb.43:
	v_and_b32_e32 v50, 7, v35
	v_ffbh_u32_e32 v50, v50
	v_min_u32_e32 v50, 32, v50
	v_lshrrev_b32_e32 v51, 3, v38
	v_subrev_u32_e32 v52, 28, v50
	v_sub_u32_e32 v50, 29, v50
	v_cmp_gt_u32_e64 s[2:3], 8, v38
	v_cndmask_b32_e64 v38, v51, v50, s[2:3]
	v_cndmask_b32_e64 v50, 0, v52, s[2:3]
	v_lshlrev_b64 v[50:51], v50, v[40:41]
	v_lshlrev_b32_e32 v41, 20, v50
	v_lshlrev_b32_e32 v50, 24, v40
	v_bfrev_b32_e32 v51, 60
	v_and_b32_e32 v41, 0x700000, v41
	v_and_b32_e32 v50, 0x80000000, v50
	v_lshl_add_u32 v38, v38, 23, v51
	v_or3_b32 v38, v50, v38, v41
	v_lshrrev_b32_e32 v50, 16, v38
.LBB674_44:
	s_or_b64 exec, exec, s[22:23]
.LBB674_45:
	s_or_b64 exec, exec, s[20:21]
.LBB674_46:
	s_or_b64 exec, exec, s[10:11]
	v_lshrrev_b16_e32 v38, 8, v40
	v_cmp_ne_u16_e64 s[2:3], 0, v38
	s_and_saveexec_b64 s[10:11], s[2:3]
	s_cbranch_execz .LBB674_52
; %bb.47:
	s_movk_i32 s2, 0x80
	v_cmp_ne_u16_e64 s[2:3], s2, v38
	v_mov_b32_e32 v49, 0xffff8000
	s_and_saveexec_b64 s[20:21], s[2:3]
	s_cbranch_execz .LBB674_51
; %bb.48:
	s_movk_i32 s2, 0x7f
	v_and_b32_e32 v41, 0x7f, v38
	v_cmp_ne_u32_e64 s[2:3], s2, v41
	v_mov_b32_e32 v49, 0x7f80
	s_and_saveexec_b64 s[22:23], s[2:3]
	s_cbranch_execz .LBB674_50
; %bb.49:
	v_and_b32_e32 v49, 7, v38
	v_ffbh_u32_e32 v52, v49
	v_min_u32_e32 v54, 32, v52
	v_subrev_u32_e32 v52, 28, v54
	v_lshlrev_b64 v[52:53], v52, v[38:39]
	v_lshrrev_b32_e32 v51, 3, v41
	v_sub_u32_e32 v38, 29, v54
	v_and_b32_e32 v52, 7, v52
	v_cmp_gt_u32_e64 s[2:3], 8, v41
	v_cndmask_b32_e64 v38, v51, v38, s[2:3]
	v_cndmask_b32_e64 v41, v49, v52, s[2:3]
	v_lshlrev_b32_e32 v40, 16, v40
	v_bfrev_b32_e32 v49, 60
	v_lshlrev_b32_e32 v41, 20, v41
	v_and_b32_e32 v40, 0x80000000, v40
	v_lshl_add_u32 v38, v38, 23, v49
	v_or3_b32 v38, v40, v38, v41
	v_lshrrev_b32_e32 v49, 16, v38
.LBB674_50:
	s_or_b64 exec, exec, s[22:23]
.LBB674_51:
	s_or_b64 exec, exec, s[20:21]
.LBB674_52:
	s_or_b64 exec, exec, s[10:11]
	s_movk_i32 s2, 0xff
	v_and_b32_sdwa v51, v35, s2 dst_sel:DWORD dst_unused:UNUSED_PAD src0_sel:WORD_1 src1_sel:DWORD
	v_lshrrev_b32_e32 v38, 16, v35
	v_cmp_ne_u16_e64 s[2:3], 0, v51
	v_mov_b32_e32 v40, 0
	v_mov_b32_e32 v41, 0
	s_and_saveexec_b64 s[10:11], s[2:3]
	s_cbranch_execz .LBB674_58
; %bb.53:
	s_movk_i32 s2, 0x80
	v_cmp_ne_u16_e64 s[2:3], s2, v51
	v_mov_b32_e32 v41, 0xffff8000
	s_and_saveexec_b64 s[20:21], s[2:3]
	s_cbranch_execz .LBB674_57
; %bb.54:
	v_bfe_u32 v51, v35, 16, 7
	s_movk_i32 s2, 0x7f
	v_cmp_ne_u32_e64 s[2:3], s2, v51
	v_mov_b32_e32 v41, 0x7f80
	s_and_saveexec_b64 s[22:23], s[2:3]
	s_cbranch_execz .LBB674_56
; %bb.55:
	v_and_b32_e32 v41, 7, v38
	v_ffbh_u32_e32 v52, v41
	v_min_u32_e32 v55, 32, v52
	v_subrev_u32_e32 v52, 28, v55
	v_lshlrev_b64 v[52:53], v52, v[38:39]
	v_lshrrev_b32_e32 v54, 3, v51
	v_sub_u32_e32 v38, 29, v55
	v_and_b32_e32 v52, 7, v52
	v_cmp_gt_u32_e64 s[2:3], 8, v51
	v_mov_b32_e32 v51, 24
	v_cndmask_b32_e64 v38, v54, v38, s[2:3]
	v_cndmask_b32_e64 v41, v41, v52, s[2:3]
	v_lshlrev_b32_sdwa v51, v51, v35 dst_sel:DWORD dst_unused:UNUSED_PAD src0_sel:DWORD src1_sel:WORD_1
	v_bfrev_b32_e32 v52, 60
	v_lshlrev_b32_e32 v41, 20, v41
	v_and_b32_e32 v51, 0x80000000, v51
	v_lshl_add_u32 v38, v38, 23, v52
	v_or3_b32 v38, v51, v38, v41
	v_lshrrev_b32_e32 v41, 16, v38
.LBB674_56:
	s_or_b64 exec, exec, s[22:23]
.LBB674_57:
	s_or_b64 exec, exec, s[20:21]
.LBB674_58:
	s_or_b64 exec, exec, s[10:11]
	s_mov_b32 s2, -1
	s_mov_b32 s3, 0xffffff
	v_cmp_lt_u64_e64 s[2:3], s[2:3], v[34:35]
	s_and_saveexec_b64 s[10:11], s[2:3]
	s_cbranch_execz .LBB674_64
; %bb.59:
	v_lshrrev_b32_e32 v34, 24, v35
	s_movk_i32 s2, 0x80
	v_cmp_ne_u32_e64 s[2:3], s2, v34
	v_mov_b32_e32 v40, 0xffff8000
	s_and_saveexec_b64 s[20:21], s[2:3]
	s_cbranch_execz .LBB674_63
; %bb.60:
	v_bfe_u32 v35, v35, 24, 7
	s_movk_i32 s2, 0x7f
	v_cmp_ne_u32_e64 s[2:3], s2, v35
	v_mov_b32_e32 v40, 0x7f80
	s_and_saveexec_b64 s[22:23], s[2:3]
	s_cbranch_execz .LBB674_62
; %bb.61:
	v_and_b32_e32 v38, 7, v34
	v_ffbh_u32_e32 v51, v38
	v_min_u32_e32 v51, 32, v51
	v_subrev_u32_e32 v52, 28, v51
	v_lshlrev_b64 v[52:53], v52, v[34:35]
	v_lshrrev_b32_e32 v40, 3, v35
	v_sub_u32_e32 v51, 29, v51
	v_and_b32_e32 v52, 7, v52
	v_cmp_gt_u32_e64 s[2:3], 8, v35
	v_cndmask_b32_e64 v35, v40, v51, s[2:3]
	v_cndmask_b32_e64 v38, v38, v52, s[2:3]
	v_lshlrev_b32_e32 v34, 24, v34
	v_bfrev_b32_e32 v40, 60
	v_lshlrev_b32_e32 v38, 20, v38
	v_and_b32_e32 v34, 0x80000000, v34
	v_lshl_add_u32 v35, v35, 23, v40
	v_or3_b32 v34, v34, v35, v38
	v_lshrrev_b32_e32 v40, 16, v34
.LBB674_62:
	s_or_b64 exec, exec, s[22:23]
.LBB674_63:
	s_or_b64 exec, exec, s[20:21]
.LBB674_64:
	s_or_b64 exec, exec, s[10:11]
	s_mov_b32 s2, 0x5040100
	v_perm_b32 v35, v48, v47, s2
	v_perm_b32 v34, v39, v46, s2
	;; [unrolled: 1-line block ×4, first 2 shown]
	v_mfma_f32_4x4x4bf16_1k a[0:3], v[18:19], v[34:35], 0 cbsz:4
	v_mov_b32_e32 v39, 0
	v_mfma_f32_4x4x4bf16_1k a[0:3], v[20:21], v[40:41], a[0:3] cbsz:4
	v_mov_b32_e32 v40, 0
	v_cmp_ne_u16_sdwa s[2:3], v36, v40 src0_sel:BYTE_0 src1_sel:DWORD
	s_and_saveexec_b64 s[10:11], s[2:3]
	s_cbranch_execz .LBB674_70
; %bb.65:
	s_movk_i32 s2, 0x80
	v_cmp_ne_u16_sdwa s[2:3], v36, s2 src0_sel:BYTE_0 src1_sel:DWORD
	v_mov_b32_e32 v39, 0xffff8000
	s_and_saveexec_b64 s[20:21], s[2:3]
	s_cbranch_execz .LBB674_69
; %bb.66:
	s_movk_i32 s2, 0x7f
	v_and_b32_e32 v34, 0x7f, v36
	v_cmp_ne_u32_e64 s[2:3], s2, v34
	v_mov_b32_e32 v39, 0x7f80
	s_and_saveexec_b64 s[22:23], s[2:3]
	s_cbranch_execz .LBB674_68
; %bb.67:
	v_and_b32_e32 v35, 7, v36
	v_ffbh_u32_e32 v35, v35
	v_min_u32_e32 v35, 32, v35
	v_subrev_u32_e32 v39, 28, v35
	v_cmp_gt_u32_e64 s[2:3], 8, v34
	v_lshrrev_b32_e32 v38, 3, v34
	v_sub_u32_e32 v35, 29, v35
	v_cndmask_b32_e64 v34, 0, v39, s[2:3]
	v_cndmask_b32_e64 v38, v38, v35, s[2:3]
	v_lshlrev_b64 v[34:35], v34, v[36:37]
	v_lshlrev_b32_e32 v34, 20, v34
	v_lshlrev_b32_e32 v35, 24, v36
	v_bfrev_b32_e32 v39, 60
	v_and_b32_e32 v34, 0x700000, v34
	v_and_b32_e32 v35, 0x80000000, v35
	v_lshl_add_u32 v38, v38, 23, v39
	v_or3_b32 v34, v35, v38, v34
	v_lshrrev_b32_e32 v39, 16, v34
.LBB674_68:
	s_or_b64 exec, exec, s[22:23]
.LBB674_69:
	s_or_b64 exec, exec, s[20:21]
.LBB674_70:
	s_or_b64 exec, exec, s[10:11]
	v_lshrrev_b16_e32 v34, 8, v36
	v_cmp_ne_u16_e64 s[2:3], 0, v34
	s_and_saveexec_b64 s[10:11], s[2:3]
	s_cbranch_execz .LBB674_76
; %bb.71:
	s_movk_i32 s2, 0x80
	v_cmp_ne_u16_e64 s[2:3], s2, v34
	v_mov_b32_e32 v40, 0xffff8000
	s_and_saveexec_b64 s[20:21], s[2:3]
	s_cbranch_execz .LBB674_75
; %bb.72:
	s_movk_i32 s2, 0x7f
	v_and_b32_e32 v35, 0x7f, v34
	v_cmp_ne_u32_e64 s[2:3], s2, v35
	v_mov_b32_e32 v40, 0x7f80
	s_and_saveexec_b64 s[22:23], s[2:3]
	s_cbranch_execz .LBB674_74
; %bb.73:
	v_and_b32_e32 v38, 7, v34
	v_ffbh_u32_e32 v40, v38
	v_min_u32_e32 v47, 32, v40
	v_subrev_u32_e32 v40, 28, v47
	v_lshlrev_b64 v[40:41], v40, v[34:35]
	v_lshrrev_b32_e32 v46, 3, v35
	v_sub_u32_e32 v34, 29, v47
	v_and_b32_e32 v40, 7, v40
	v_cmp_gt_u32_e64 s[2:3], 8, v35
	v_cndmask_b32_e64 v34, v46, v34, s[2:3]
	v_cndmask_b32_e64 v35, v38, v40, s[2:3]
	v_lshlrev_b32_e32 v38, 16, v36
	v_bfrev_b32_e32 v40, 60
	v_lshlrev_b32_e32 v35, 20, v35
	v_and_b32_e32 v38, 0x80000000, v38
	v_lshl_add_u32 v34, v34, 23, v40
	v_or3_b32 v34, v38, v34, v35
	v_lshrrev_b32_e32 v40, 16, v34
.LBB674_74:
	s_or_b64 exec, exec, s[22:23]
.LBB674_75:
	s_or_b64 exec, exec, s[20:21]
.LBB674_76:
	s_or_b64 exec, exec, s[10:11]
	s_movk_i32 s2, 0xff
	v_and_b32_sdwa v38, v36, s2 dst_sel:DWORD dst_unused:UNUSED_PAD src0_sel:WORD_1 src1_sel:DWORD
	v_lshrrev_b32_e32 v34, 16, v36
	v_cmp_ne_u16_e64 s[2:3], 0, v38
	v_mov_b32_e32 v35, 0
	v_mov_b32_e32 v41, 0
	s_and_saveexec_b64 s[10:11], s[2:3]
	s_cbranch_execz .LBB674_82
; %bb.77:
	s_movk_i32 s2, 0x80
	v_cmp_ne_u16_e64 s[2:3], s2, v38
	v_mov_b32_e32 v41, 0xffff8000
	s_and_saveexec_b64 s[20:21], s[2:3]
	s_cbranch_execz .LBB674_81
; %bb.78:
	v_bfe_u32 v38, v36, 16, 7
	s_movk_i32 s2, 0x7f
	v_cmp_ne_u32_e64 s[2:3], s2, v38
	v_mov_b32_e32 v41, 0x7f80
	s_and_saveexec_b64 s[22:23], s[2:3]
	s_cbranch_execz .LBB674_80
; %bb.79:
	v_and_b32_e32 v41, 7, v34
	v_ffbh_u32_e32 v46, v41
	v_min_u32_e32 v49, 32, v46
	v_subrev_u32_e32 v46, 28, v49
	v_lshlrev_b64 v[46:47], v46, v[34:35]
	v_and_b32_e32 v46, 7, v46
	v_cmp_gt_u32_e64 s[2:3], 8, v38
	v_lshrrev_b32_e32 v48, 3, v38
	v_sub_u32_e32 v34, 29, v49
	v_cndmask_b32_e64 v38, v41, v46, s[2:3]
	v_mov_b32_e32 v41, 24
	v_cndmask_b32_e64 v34, v48, v34, s[2:3]
	v_lshlrev_b32_sdwa v41, v41, v36 dst_sel:DWORD dst_unused:UNUSED_PAD src0_sel:DWORD src1_sel:WORD_1
	v_bfrev_b32_e32 v46, 60
	v_lshlrev_b32_e32 v38, 20, v38
	v_and_b32_e32 v41, 0x80000000, v41
	v_lshl_add_u32 v34, v34, 23, v46
	v_or3_b32 v34, v41, v34, v38
	v_lshrrev_b32_e32 v41, 16, v34
.LBB674_80:
	s_or_b64 exec, exec, s[22:23]
.LBB674_81:
	s_or_b64 exec, exec, s[20:21]
.LBB674_82:
	s_or_b64 exec, exec, s[10:11]
	s_mov_b32 s2, 0xffffff
	v_cmp_lt_u32_e64 s[2:3], s2, v36
	v_mov_b32_e32 v46, 0
	s_and_saveexec_b64 s[10:11], s[2:3]
	s_cbranch_execz .LBB674_88
; %bb.83:
	v_lshrrev_b32_e32 v34, 24, v36
	s_movk_i32 s2, 0x80
	v_cmp_ne_u32_e64 s[2:3], s2, v34
	v_mov_b32_e32 v46, 0xffff8000
	s_and_saveexec_b64 s[20:21], s[2:3]
	s_cbranch_execz .LBB674_87
; %bb.84:
	v_bfe_u32 v38, v36, 24, 7
	s_movk_i32 s2, 0x7f
	v_cmp_ne_u32_e64 s[2:3], s2, v38
	v_mov_b32_e32 v46, 0x7f80
	s_and_saveexec_b64 s[22:23], s[2:3]
	s_cbranch_execz .LBB674_86
; %bb.85:
	v_and_b32_e32 v48, 7, v34
	v_ffbh_u32_e32 v46, v48
	v_min_u32_e32 v50, 32, v46
	v_subrev_u32_e32 v46, 28, v50
	v_lshlrev_b64 v[46:47], v46, v[34:35]
	v_lshrrev_b32_e32 v49, 3, v38
	v_sub_u32_e32 v47, 29, v50
	v_and_b32_e32 v46, 7, v46
	v_cmp_gt_u32_e64 s[2:3], 8, v38
	v_cndmask_b32_e64 v38, v49, v47, s[2:3]
	v_cndmask_b32_e64 v46, v48, v46, s[2:3]
	v_lshlrev_b32_e32 v34, 24, v34
	v_bfrev_b32_e32 v47, 60
	v_lshlrev_b32_e32 v46, 20, v46
	v_and_b32_e32 v34, 0x80000000, v34
	v_lshl_add_u32 v38, v38, 23, v47
	v_or3_b32 v34, v34, v38, v46
	v_lshrrev_b32_e32 v46, 16, v34
.LBB674_86:
	s_or_b64 exec, exec, s[22:23]
.LBB674_87:
	s_or_b64 exec, exec, s[20:21]
.LBB674_88:
	s_or_b64 exec, exec, s[10:11]
	v_mov_b32_e32 v47, 0
	v_mov_b32_e32 v34, v37
	v_cmp_ne_u16_sdwa s[2:3], v37, v47 src0_sel:BYTE_0 src1_sel:DWORD
	v_mov_b32_e32 v48, 0
	s_and_saveexec_b64 s[10:11], s[2:3]
	s_cbranch_execz .LBB674_94
; %bb.89:
	s_movk_i32 s2, 0x80
	v_cmp_ne_u16_sdwa s[2:3], v37, s2 src0_sel:BYTE_0 src1_sel:DWORD
	v_mov_b32_e32 v48, 0xffff8000
	s_and_saveexec_b64 s[20:21], s[2:3]
	s_cbranch_execz .LBB674_93
; %bb.90:
	s_movk_i32 s2, 0x7f
	v_and_b32_e32 v38, 0x7f, v37
	v_cmp_ne_u32_e64 s[2:3], s2, v38
	v_mov_b32_e32 v48, 0x7f80
	s_and_saveexec_b64 s[22:23], s[2:3]
	s_cbranch_execz .LBB674_92
; %bb.91:
	v_and_b32_e32 v48, 7, v37
	v_ffbh_u32_e32 v48, v48
	v_min_u32_e32 v48, 32, v48
	v_lshrrev_b32_e32 v49, 3, v38
	v_subrev_u32_e32 v50, 28, v48
	v_sub_u32_e32 v48, 29, v48
	v_cmp_gt_u32_e64 s[2:3], 8, v38
	v_cndmask_b32_e64 v38, v49, v48, s[2:3]
	v_cndmask_b32_e64 v48, 0, v50, s[2:3]
	v_lshlrev_b64 v[48:49], v48, v[34:35]
	v_lshlrev_b32_e32 v35, 20, v48
	v_lshlrev_b32_e32 v48, 24, v34
	v_bfrev_b32_e32 v49, 60
	v_and_b32_e32 v35, 0x700000, v35
	v_and_b32_e32 v48, 0x80000000, v48
	v_lshl_add_u32 v38, v38, 23, v49
	v_or3_b32 v35, v48, v38, v35
	v_lshrrev_b32_e32 v48, 16, v35
.LBB674_92:
	s_or_b64 exec, exec, s[22:23]
.LBB674_93:
	s_or_b64 exec, exec, s[20:21]
.LBB674_94:
	s_or_b64 exec, exec, s[10:11]
	v_lshrrev_b16_e32 v38, 8, v34
	v_cmp_ne_u16_e64 s[2:3], 0, v38
	s_and_saveexec_b64 s[10:11], s[2:3]
	s_cbranch_execz .LBB674_100
; %bb.95:
	s_movk_i32 s2, 0x80
	v_cmp_ne_u16_e64 s[2:3], s2, v38
	v_mov_b32_e32 v47, 0xffff8000
	s_and_saveexec_b64 s[20:21], s[2:3]
	s_cbranch_execz .LBB674_99
; %bb.96:
	s_movk_i32 s2, 0x7f
	v_and_b32_e32 v35, 0x7f, v38
	v_cmp_ne_u32_e64 s[2:3], s2, v35
	v_mov_b32_e32 v47, 0x7f80
	s_and_saveexec_b64 s[22:23], s[2:3]
	s_cbranch_execz .LBB674_98
; %bb.97:
	v_and_b32_e32 v47, 7, v38
	v_ffbh_u32_e32 v50, v47
	v_min_u32_e32 v52, 32, v50
	v_subrev_u32_e32 v50, 28, v52
	v_lshlrev_b64 v[50:51], v50, v[38:39]
	v_lshrrev_b32_e32 v49, 3, v35
	v_sub_u32_e32 v38, 29, v52
	v_and_b32_e32 v50, 7, v50
	v_cmp_gt_u32_e64 s[2:3], 8, v35
	v_cndmask_b32_e64 v35, v49, v38, s[2:3]
	v_cndmask_b32_e64 v38, v47, v50, s[2:3]
	v_lshlrev_b32_e32 v34, 16, v34
	v_bfrev_b32_e32 v47, 60
	v_lshlrev_b32_e32 v38, 20, v38
	v_and_b32_e32 v34, 0x80000000, v34
	v_lshl_add_u32 v35, v35, 23, v47
	v_or3_b32 v34, v34, v35, v38
	v_lshrrev_b32_e32 v47, 16, v34
.LBB674_98:
	s_or_b64 exec, exec, s[22:23]
.LBB674_99:
	s_or_b64 exec, exec, s[20:21]
.LBB674_100:
	s_or_b64 exec, exec, s[10:11]
	s_movk_i32 s2, 0xff
	v_and_b32_sdwa v49, v37, s2 dst_sel:DWORD dst_unused:UNUSED_PAD src0_sel:WORD_1 src1_sel:DWORD
	v_lshrrev_b32_e32 v34, 16, v37
	v_cmp_ne_u16_e64 s[2:3], 0, v49
	v_mov_b32_e32 v35, 0
	v_mov_b32_e32 v38, 0
	s_and_saveexec_b64 s[10:11], s[2:3]
	s_cbranch_execz .LBB674_106
; %bb.101:
	s_movk_i32 s2, 0x80
	v_cmp_ne_u16_e64 s[2:3], s2, v49
	v_mov_b32_e32 v38, 0xffff8000
	s_and_saveexec_b64 s[20:21], s[2:3]
	s_cbranch_execz .LBB674_105
; %bb.102:
	v_bfe_u32 v49, v37, 16, 7
	s_movk_i32 s2, 0x7f
	v_cmp_ne_u32_e64 s[2:3], s2, v49
	v_mov_b32_e32 v38, 0x7f80
	s_and_saveexec_b64 s[22:23], s[2:3]
	s_cbranch_execz .LBB674_104
; %bb.103:
	v_and_b32_e32 v38, 7, v34
	v_ffbh_u32_e32 v50, v38
	v_min_u32_e32 v53, 32, v50
	v_subrev_u32_e32 v50, 28, v53
	v_lshlrev_b64 v[50:51], v50, v[34:35]
	v_lshrrev_b32_e32 v52, 3, v49
	v_sub_u32_e32 v34, 29, v53
	v_and_b32_e32 v50, 7, v50
	v_cmp_gt_u32_e64 s[2:3], 8, v49
	v_mov_b32_e32 v49, 24
	v_cndmask_b32_e64 v34, v52, v34, s[2:3]
	v_cndmask_b32_e64 v38, v38, v50, s[2:3]
	v_lshlrev_b32_sdwa v49, v49, v37 dst_sel:DWORD dst_unused:UNUSED_PAD src0_sel:DWORD src1_sel:WORD_1
	v_bfrev_b32_e32 v50, 60
	v_lshlrev_b32_e32 v38, 20, v38
	v_and_b32_e32 v49, 0x80000000, v49
	v_lshl_add_u32 v34, v34, 23, v50
	v_or3_b32 v34, v49, v34, v38
	v_lshrrev_b32_e32 v38, 16, v34
.LBB674_104:
	s_or_b64 exec, exec, s[22:23]
.LBB674_105:
	s_or_b64 exec, exec, s[20:21]
.LBB674_106:
	s_or_b64 exec, exec, s[10:11]
	s_mov_b32 s2, -1
	s_mov_b32 s3, 0xffffff
	v_cmp_lt_u64_e64 s[2:3], s[2:3], v[36:37]
	s_and_saveexec_b64 s[10:11], s[2:3]
	s_cbranch_execz .LBB674_112
; %bb.107:
	v_lshrrev_b32_e32 v34, 24, v37
	s_movk_i32 s2, 0x80
	v_cmp_ne_u32_e64 s[2:3], s2, v34
	v_mov_b32_e32 v35, 0xffff8000
	s_and_saveexec_b64 s[20:21], s[2:3]
	s_cbranch_execz .LBB674_111
; %bb.108:
	v_bfe_u32 v36, v37, 24, 7
	s_movk_i32 s2, 0x7f
	v_cmp_ne_u32_e64 s[2:3], s2, v36
	v_mov_b32_e32 v35, 0x7f80
	s_and_saveexec_b64 s[22:23], s[2:3]
	s_cbranch_execz .LBB674_110
; %bb.109:
	v_and_b32_e32 v35, 7, v34
	v_ffbh_u32_e32 v49, v35
	v_min_u32_e32 v49, 32, v49
	v_subrev_u32_e32 v50, 28, v49
	v_lshlrev_b64 v[50:51], v50, v[34:35]
	v_lshrrev_b32_e32 v37, 3, v36
	v_sub_u32_e32 v49, 29, v49
	v_and_b32_e32 v50, 7, v50
	v_cmp_gt_u32_e64 s[2:3], 8, v36
	v_cndmask_b32_e64 v36, v37, v49, s[2:3]
	v_cndmask_b32_e64 v35, v35, v50, s[2:3]
	v_lshlrev_b32_e32 v34, 24, v34
	v_bfrev_b32_e32 v37, 60
	v_lshlrev_b32_e32 v35, 20, v35
	v_and_b32_e32 v34, 0x80000000, v34
	v_lshl_add_u32 v36, v36, 23, v37
	v_or3_b32 v34, v34, v36, v35
	v_lshrrev_b32_e32 v35, 16, v34
.LBB674_110:
	s_or_b64 exec, exec, s[22:23]
.LBB674_111:
	s_or_b64 exec, exec, s[20:21]
.LBB674_112:
	s_or_b64 exec, exec, s[10:11]
	s_mov_b32 s2, 0x5040100
	v_perm_b32 v37, v46, v41, s2
	v_perm_b32 v36, v40, v39, s2
	;; [unrolled: 1-line block ×4, first 2 shown]
	v_mfma_f32_4x4x4bf16_1k a[0:3], v[18:19], v[36:37], a[0:3] cbsz:4 abid:1
	v_mov_b32_e32 v37, 0
	v_mfma_f32_4x4x4bf16_1k a[0:3], v[20:21], v[34:35], a[0:3] cbsz:4 abid:1
	s_waitcnt vmcnt(6)
	v_cmp_ne_u16_sdwa s[2:3], v30, v37 src0_sel:BYTE_0 src1_sel:DWORD
	v_mov_b32_e32 v38, 0
	s_and_saveexec_b64 s[10:11], s[2:3]
	s_cbranch_execz .LBB674_118
; %bb.113:
	s_movk_i32 s2, 0x80
	v_cmp_ne_u16_sdwa s[2:3], v30, s2 src0_sel:BYTE_0 src1_sel:DWORD
	v_mov_b32_e32 v38, 0xffff8000
	s_and_saveexec_b64 s[20:21], s[2:3]
	s_cbranch_execz .LBB674_117
; %bb.114:
	s_movk_i32 s2, 0x7f
	v_and_b32_e32 v34, 0x7f, v30
	v_cmp_ne_u32_e64 s[2:3], s2, v34
	v_mov_b32_e32 v38, 0x7f80
	s_and_saveexec_b64 s[22:23], s[2:3]
	s_cbranch_execz .LBB674_116
; %bb.115:
	v_and_b32_e32 v35, 7, v30
	v_ffbh_u32_e32 v35, v35
	v_min_u32_e32 v35, 32, v35
	v_subrev_u32_e32 v38, 28, v35
	v_cmp_gt_u32_e64 s[2:3], 8, v34
	v_lshrrev_b32_e32 v36, 3, v34
	v_sub_u32_e32 v35, 29, v35
	v_cndmask_b32_e64 v34, 0, v38, s[2:3]
	v_cndmask_b32_e64 v36, v36, v35, s[2:3]
	v_lshlrev_b64 v[34:35], v34, v[30:31]
	v_lshlrev_b32_e32 v34, 20, v34
	v_lshlrev_b32_e32 v35, 24, v30
	v_bfrev_b32_e32 v38, 60
	v_and_b32_e32 v34, 0x700000, v34
	v_and_b32_e32 v35, 0x80000000, v35
	v_lshl_add_u32 v36, v36, 23, v38
	v_or3_b32 v34, v35, v36, v34
	v_lshrrev_b32_e32 v38, 16, v34
.LBB674_116:
	s_or_b64 exec, exec, s[22:23]
.LBB674_117:
	s_or_b64 exec, exec, s[20:21]
.LBB674_118:
	s_or_b64 exec, exec, s[10:11]
	v_lshrrev_b16_e32 v34, 8, v30
	v_cmp_ne_u16_e64 s[2:3], 0, v34
	s_and_saveexec_b64 s[10:11], s[2:3]
	s_cbranch_execz .LBB674_124
; %bb.119:
	s_movk_i32 s2, 0x80
	v_cmp_ne_u16_e64 s[2:3], s2, v34
	v_mov_b32_e32 v37, 0xffff8000
	s_and_saveexec_b64 s[20:21], s[2:3]
	s_cbranch_execz .LBB674_123
; %bb.120:
	s_movk_i32 s2, 0x7f
	v_and_b32_e32 v35, 0x7f, v34
	v_cmp_ne_u32_e64 s[2:3], s2, v35
	v_mov_b32_e32 v37, 0x7f80
	s_and_saveexec_b64 s[22:23], s[2:3]
	s_cbranch_execz .LBB674_122
; %bb.121:
	v_and_b32_e32 v39, 7, v34
	v_ffbh_u32_e32 v36, v39
	v_min_u32_e32 v41, 32, v36
	v_subrev_u32_e32 v36, 28, v41
	v_lshlrev_b64 v[36:37], v36, v[34:35]
	v_lshrrev_b32_e32 v40, 3, v35
	v_sub_u32_e32 v34, 29, v41
	v_and_b32_e32 v36, 7, v36
	v_cmp_gt_u32_e64 s[2:3], 8, v35
	v_cndmask_b32_e64 v34, v40, v34, s[2:3]
	v_cndmask_b32_e64 v35, v39, v36, s[2:3]
	v_lshlrev_b32_e32 v36, 16, v30
	v_bfrev_b32_e32 v37, 60
	v_lshlrev_b32_e32 v35, 20, v35
	v_and_b32_e32 v36, 0x80000000, v36
	v_lshl_add_u32 v34, v34, 23, v37
	v_or3_b32 v34, v36, v34, v35
	v_lshrrev_b32_e32 v37, 16, v34
.LBB674_122:
	s_or_b64 exec, exec, s[22:23]
.LBB674_123:
	s_or_b64 exec, exec, s[20:21]
.LBB674_124:
	s_or_b64 exec, exec, s[10:11]
	s_movk_i32 s2, 0xff
	v_and_b32_sdwa v36, v30, s2 dst_sel:DWORD dst_unused:UNUSED_PAD src0_sel:WORD_1 src1_sel:DWORD
	v_lshrrev_b32_e32 v34, 16, v30
	v_cmp_ne_u16_e64 s[2:3], 0, v36
	v_mov_b32_e32 v35, 0
	v_mov_b32_e32 v39, 0
	s_and_saveexec_b64 s[10:11], s[2:3]
	s_cbranch_execz .LBB674_130
; %bb.125:
	s_movk_i32 s2, 0x80
	v_cmp_ne_u16_e64 s[2:3], s2, v36
	v_mov_b32_e32 v39, 0xffff8000
	s_and_saveexec_b64 s[20:21], s[2:3]
	s_cbranch_execz .LBB674_129
; %bb.126:
	v_bfe_u32 v36, v30, 16, 7
	s_movk_i32 s2, 0x7f
	v_cmp_ne_u32_e64 s[2:3], s2, v36
	v_mov_b32_e32 v39, 0x7f80
	s_and_saveexec_b64 s[22:23], s[2:3]
	s_cbranch_execz .LBB674_128
; %bb.127:
	v_and_b32_e32 v39, 7, v34
	v_ffbh_u32_e32 v40, v39
	v_min_u32_e32 v47, 32, v40
	v_subrev_u32_e32 v40, 28, v47
	v_lshlrev_b64 v[40:41], v40, v[34:35]
	v_and_b32_e32 v40, 7, v40
	v_cmp_gt_u32_e64 s[2:3], 8, v36
	v_lshrrev_b32_e32 v46, 3, v36
	v_sub_u32_e32 v34, 29, v47
	v_cndmask_b32_e64 v36, v39, v40, s[2:3]
	v_mov_b32_e32 v39, 24
	v_cndmask_b32_e64 v34, v46, v34, s[2:3]
	v_lshlrev_b32_sdwa v39, v39, v30 dst_sel:DWORD dst_unused:UNUSED_PAD src0_sel:DWORD src1_sel:WORD_1
	v_bfrev_b32_e32 v40, 60
	v_lshlrev_b32_e32 v36, 20, v36
	v_and_b32_e32 v39, 0x80000000, v39
	v_lshl_add_u32 v34, v34, 23, v40
	v_or3_b32 v34, v39, v34, v36
	v_lshrrev_b32_e32 v39, 16, v34
.LBB674_128:
	s_or_b64 exec, exec, s[22:23]
.LBB674_129:
	s_or_b64 exec, exec, s[20:21]
.LBB674_130:
	s_or_b64 exec, exec, s[10:11]
	s_mov_b32 s2, 0xffffff
	v_cmp_lt_u32_e64 s[2:3], s2, v30
	v_mov_b32_e32 v40, 0
	s_and_saveexec_b64 s[10:11], s[2:3]
	s_cbranch_execz .LBB674_136
; %bb.131:
	v_lshrrev_b32_e32 v34, 24, v30
	s_movk_i32 s2, 0x80
	v_cmp_ne_u32_e64 s[2:3], s2, v34
	v_mov_b32_e32 v40, 0xffff8000
	s_and_saveexec_b64 s[20:21], s[2:3]
	s_cbranch_execz .LBB674_135
; %bb.132:
	v_bfe_u32 v36, v30, 24, 7
	s_movk_i32 s2, 0x7f
	v_cmp_ne_u32_e64 s[2:3], s2, v36
	v_mov_b32_e32 v40, 0x7f80
	s_and_saveexec_b64 s[22:23], s[2:3]
	s_cbranch_execz .LBB674_134
; %bb.133:
	v_and_b32_e32 v46, 7, v34
	v_ffbh_u32_e32 v40, v46
	v_min_u32_e32 v48, 32, v40
	v_subrev_u32_e32 v40, 28, v48
	v_lshlrev_b64 v[40:41], v40, v[34:35]
	v_lshrrev_b32_e32 v47, 3, v36
	v_sub_u32_e32 v41, 29, v48
	v_and_b32_e32 v40, 7, v40
	v_cmp_gt_u32_e64 s[2:3], 8, v36
	v_cndmask_b32_e64 v36, v47, v41, s[2:3]
	v_cndmask_b32_e64 v40, v46, v40, s[2:3]
	v_lshlrev_b32_e32 v34, 24, v34
	v_bfrev_b32_e32 v41, 60
	v_lshlrev_b32_e32 v40, 20, v40
	v_and_b32_e32 v34, 0x80000000, v34
	v_lshl_add_u32 v36, v36, 23, v41
	v_or3_b32 v34, v34, v36, v40
	v_lshrrev_b32_e32 v40, 16, v34
.LBB674_134:
	s_or_b64 exec, exec, s[22:23]
.LBB674_135:
	s_or_b64 exec, exec, s[20:21]
.LBB674_136:
	s_or_b64 exec, exec, s[10:11]
	v_mov_b32_e32 v41, 0
	v_mov_b32_e32 v34, v31
	v_cmp_ne_u16_sdwa s[2:3], v31, v41 src0_sel:BYTE_0 src1_sel:DWORD
	v_mov_b32_e32 v46, 0
	s_and_saveexec_b64 s[10:11], s[2:3]
	s_cbranch_execz .LBB674_142
; %bb.137:
	s_movk_i32 s2, 0x80
	v_cmp_ne_u16_sdwa s[2:3], v31, s2 src0_sel:BYTE_0 src1_sel:DWORD
	v_mov_b32_e32 v46, 0xffff8000
	s_and_saveexec_b64 s[20:21], s[2:3]
	s_cbranch_execz .LBB674_141
; %bb.138:
	s_movk_i32 s2, 0x7f
	v_and_b32_e32 v36, 0x7f, v31
	v_cmp_ne_u32_e64 s[2:3], s2, v36
	v_mov_b32_e32 v46, 0x7f80
	s_and_saveexec_b64 s[22:23], s[2:3]
	s_cbranch_execz .LBB674_140
; %bb.139:
	v_and_b32_e32 v46, 7, v31
	v_ffbh_u32_e32 v46, v46
	v_min_u32_e32 v46, 32, v46
	v_lshrrev_b32_e32 v47, 3, v36
	v_subrev_u32_e32 v48, 28, v46
	v_sub_u32_e32 v46, 29, v46
	v_cmp_gt_u32_e64 s[2:3], 8, v36
	v_cndmask_b32_e64 v36, v47, v46, s[2:3]
	v_cndmask_b32_e64 v46, 0, v48, s[2:3]
	v_lshlrev_b64 v[46:47], v46, v[34:35]
	v_lshlrev_b32_e32 v35, 20, v46
	v_lshlrev_b32_e32 v46, 24, v34
	v_bfrev_b32_e32 v47, 60
	v_and_b32_e32 v35, 0x700000, v35
	v_and_b32_e32 v46, 0x80000000, v46
	v_lshl_add_u32 v36, v36, 23, v47
	v_or3_b32 v35, v46, v36, v35
	v_lshrrev_b32_e32 v46, 16, v35
.LBB674_140:
	s_or_b64 exec, exec, s[22:23]
.LBB674_141:
	s_or_b64 exec, exec, s[20:21]
.LBB674_142:
	s_or_b64 exec, exec, s[10:11]
	v_lshrrev_b16_e32 v36, 8, v34
	v_cmp_ne_u16_e64 s[2:3], 0, v36
	s_and_saveexec_b64 s[10:11], s[2:3]
	s_cbranch_execz .LBB674_148
; %bb.143:
	s_movk_i32 s2, 0x80
	v_cmp_ne_u16_e64 s[2:3], s2, v36
	v_mov_b32_e32 v41, 0xffff8000
	s_and_saveexec_b64 s[20:21], s[2:3]
	s_cbranch_execz .LBB674_147
; %bb.144:
	s_movk_i32 s2, 0x7f
	v_and_b32_e32 v35, 0x7f, v36
	v_cmp_ne_u32_e64 s[2:3], s2, v35
	v_mov_b32_e32 v41, 0x7f80
	s_and_saveexec_b64 s[22:23], s[2:3]
	s_cbranch_execz .LBB674_146
; %bb.145:
	v_and_b32_e32 v41, 7, v36
	v_ffbh_u32_e32 v48, v41
	v_min_u32_e32 v50, 32, v48
	v_subrev_u32_e32 v48, 28, v50
	v_lshlrev_b64 v[48:49], v48, v[36:37]
	v_lshrrev_b32_e32 v47, 3, v35
	v_sub_u32_e32 v36, 29, v50
	v_and_b32_e32 v48, 7, v48
	v_cmp_gt_u32_e64 s[2:3], 8, v35
	v_cndmask_b32_e64 v35, v47, v36, s[2:3]
	v_cndmask_b32_e64 v36, v41, v48, s[2:3]
	v_lshlrev_b32_e32 v34, 16, v34
	v_bfrev_b32_e32 v41, 60
	v_lshlrev_b32_e32 v36, 20, v36
	v_and_b32_e32 v34, 0x80000000, v34
	v_lshl_add_u32 v35, v35, 23, v41
	v_or3_b32 v34, v34, v35, v36
	v_lshrrev_b32_e32 v41, 16, v34
.LBB674_146:
	s_or_b64 exec, exec, s[22:23]
.LBB674_147:
	s_or_b64 exec, exec, s[20:21]
.LBB674_148:
	s_or_b64 exec, exec, s[10:11]
	s_movk_i32 s2, 0xff
	v_and_b32_sdwa v47, v31, s2 dst_sel:DWORD dst_unused:UNUSED_PAD src0_sel:WORD_1 src1_sel:DWORD
	v_lshrrev_b32_e32 v34, 16, v31
	v_cmp_ne_u16_e64 s[2:3], 0, v47
	v_mov_b32_e32 v35, 0
	v_mov_b32_e32 v36, 0
	s_and_saveexec_b64 s[10:11], s[2:3]
	s_cbranch_execz .LBB674_154
; %bb.149:
	s_movk_i32 s2, 0x80
	v_cmp_ne_u16_e64 s[2:3], s2, v47
	v_mov_b32_e32 v36, 0xffff8000
	s_and_saveexec_b64 s[20:21], s[2:3]
	s_cbranch_execz .LBB674_153
; %bb.150:
	v_bfe_u32 v47, v31, 16, 7
	s_movk_i32 s2, 0x7f
	v_cmp_ne_u32_e64 s[2:3], s2, v47
	v_mov_b32_e32 v36, 0x7f80
	s_and_saveexec_b64 s[22:23], s[2:3]
	s_cbranch_execz .LBB674_152
; %bb.151:
	v_and_b32_e32 v36, 7, v34
	v_ffbh_u32_e32 v48, v36
	v_min_u32_e32 v51, 32, v48
	v_subrev_u32_e32 v48, 28, v51
	v_lshlrev_b64 v[48:49], v48, v[34:35]
	v_lshrrev_b32_e32 v50, 3, v47
	v_sub_u32_e32 v34, 29, v51
	v_and_b32_e32 v48, 7, v48
	v_cmp_gt_u32_e64 s[2:3], 8, v47
	v_mov_b32_e32 v47, 24
	v_cndmask_b32_e64 v34, v50, v34, s[2:3]
	v_cndmask_b32_e64 v36, v36, v48, s[2:3]
	v_lshlrev_b32_sdwa v47, v47, v31 dst_sel:DWORD dst_unused:UNUSED_PAD src0_sel:DWORD src1_sel:WORD_1
	v_bfrev_b32_e32 v48, 60
	v_lshlrev_b32_e32 v36, 20, v36
	v_and_b32_e32 v47, 0x80000000, v47
	v_lshl_add_u32 v34, v34, 23, v48
	v_or3_b32 v34, v47, v34, v36
	v_lshrrev_b32_e32 v36, 16, v34
.LBB674_152:
	s_or_b64 exec, exec, s[22:23]
.LBB674_153:
	s_or_b64 exec, exec, s[20:21]
.LBB674_154:
	s_or_b64 exec, exec, s[10:11]
	s_mov_b32 s2, -1
	s_mov_b32 s3, 0xffffff
	v_cmp_lt_u64_e64 s[2:3], s[2:3], v[30:31]
	s_and_saveexec_b64 s[10:11], s[2:3]
	s_cbranch_execz .LBB674_160
; %bb.155:
	v_lshrrev_b32_e32 v30, 24, v31
	s_movk_i32 s2, 0x80
	v_cmp_ne_u32_e64 s[2:3], s2, v30
	v_mov_b32_e32 v35, 0xffff8000
	s_and_saveexec_b64 s[20:21], s[2:3]
	s_cbranch_execz .LBB674_159
; %bb.156:
	v_bfe_u32 v31, v31, 24, 7
	s_movk_i32 s2, 0x7f
	v_cmp_ne_u32_e64 s[2:3], s2, v31
	v_mov_b32_e32 v35, 0x7f80
	s_and_saveexec_b64 s[22:23], s[2:3]
	s_cbranch_execz .LBB674_158
; %bb.157:
	v_and_b32_e32 v47, 7, v30
	v_ffbh_u32_e32 v34, v47
	v_min_u32_e32 v49, 32, v34
	v_subrev_u32_e32 v34, 28, v49
	v_lshlrev_b64 v[34:35], v34, v[30:31]
	v_lshrrev_b32_e32 v48, 3, v31
	v_sub_u32_e32 v35, 29, v49
	v_and_b32_e32 v34, 7, v34
	v_cmp_gt_u32_e64 s[2:3], 8, v31
	v_cndmask_b32_e64 v31, v48, v35, s[2:3]
	v_cndmask_b32_e64 v34, v47, v34, s[2:3]
	v_lshlrev_b32_e32 v30, 24, v30
	v_bfrev_b32_e32 v35, 60
	v_lshlrev_b32_e32 v34, 20, v34
	v_and_b32_e32 v30, 0x80000000, v30
	v_lshl_add_u32 v31, v31, 23, v35
	v_or3_b32 v30, v30, v31, v34
	v_lshrrev_b32_e32 v35, 16, v30
.LBB674_158:
	s_or_b64 exec, exec, s[22:23]
.LBB674_159:
	s_or_b64 exec, exec, s[20:21]
.LBB674_160:
	s_or_b64 exec, exec, s[10:11]
	s_mov_b32 s2, 0x5040100
	v_perm_b32 v31, v40, v39, s2
	v_perm_b32 v30, v37, v38, s2
	;; [unrolled: 1-line block ×4, first 2 shown]
	v_mfma_f32_4x4x4bf16_1k a[0:3], v[18:19], v[30:31], a[0:3] cbsz:4 abid:2
	v_mov_b32_e32 v36, 0
	v_mfma_f32_4x4x4bf16_1k a[0:3], v[20:21], v[34:35], a[0:3] cbsz:4 abid:2
	v_mov_b32_e32 v35, 0
	v_cmp_ne_u16_sdwa s[2:3], v32, v35 src0_sel:BYTE_0 src1_sel:DWORD
	s_and_saveexec_b64 s[10:11], s[2:3]
	s_cbranch_execz .LBB674_166
; %bb.161:
	s_movk_i32 s2, 0x80
	v_cmp_ne_u16_sdwa s[2:3], v32, s2 src0_sel:BYTE_0 src1_sel:DWORD
	v_mov_b32_e32 v36, 0xffff8000
	s_and_saveexec_b64 s[20:21], s[2:3]
	s_cbranch_execz .LBB674_165
; %bb.162:
	s_movk_i32 s2, 0x7f
	v_and_b32_e32 v30, 0x7f, v32
	v_cmp_ne_u32_e64 s[2:3], s2, v30
	v_mov_b32_e32 v36, 0x7f80
	s_and_saveexec_b64 s[22:23], s[2:3]
	s_cbranch_execz .LBB674_164
; %bb.163:
	v_and_b32_e32 v31, 7, v32
	v_ffbh_u32_e32 v31, v31
	v_min_u32_e32 v31, 32, v31
	v_subrev_u32_e32 v36, 28, v31
	v_cmp_gt_u32_e64 s[2:3], 8, v30
	v_lshrrev_b32_e32 v34, 3, v30
	v_sub_u32_e32 v31, 29, v31
	v_cndmask_b32_e64 v30, 0, v36, s[2:3]
	v_cndmask_b32_e64 v34, v34, v31, s[2:3]
	v_lshlrev_b64 v[30:31], v30, v[32:33]
	v_lshlrev_b32_e32 v30, 20, v30
	v_lshlrev_b32_e32 v31, 24, v32
	v_bfrev_b32_e32 v36, 60
	v_and_b32_e32 v30, 0x700000, v30
	v_and_b32_e32 v31, 0x80000000, v31
	v_lshl_add_u32 v34, v34, 23, v36
	v_or3_b32 v30, v31, v34, v30
	v_lshrrev_b32_e32 v36, 16, v30
.LBB674_164:
	s_or_b64 exec, exec, s[22:23]
.LBB674_165:
	s_or_b64 exec, exec, s[20:21]
.LBB674_166:
	s_or_b64 exec, exec, s[10:11]
	v_lshrrev_b16_e32 v30, 8, v32
	v_cmp_ne_u16_e64 s[2:3], 0, v30
	s_and_saveexec_b64 s[10:11], s[2:3]
	s_cbranch_execz .LBB674_172
; %bb.167:
	s_movk_i32 s2, 0x80
	v_cmp_ne_u16_e64 s[2:3], s2, v30
	v_mov_b32_e32 v35, 0xffff8000
	s_and_saveexec_b64 s[20:21], s[2:3]
	s_cbranch_execz .LBB674_171
; %bb.168:
	s_movk_i32 s2, 0x7f
	v_and_b32_e32 v31, 0x7f, v30
	v_cmp_ne_u32_e64 s[2:3], s2, v31
	v_mov_b32_e32 v35, 0x7f80
	s_and_saveexec_b64 s[22:23], s[2:3]
	s_cbranch_execz .LBB674_170
; %bb.169:
	v_and_b32_e32 v37, 7, v30
	v_ffbh_u32_e32 v34, v37
	v_min_u32_e32 v39, 32, v34
	v_subrev_u32_e32 v34, 28, v39
	v_lshlrev_b64 v[34:35], v34, v[30:31]
	v_lshrrev_b32_e32 v38, 3, v31
	v_sub_u32_e32 v30, 29, v39
	v_and_b32_e32 v34, 7, v34
	v_cmp_gt_u32_e64 s[2:3], 8, v31
	v_cndmask_b32_e64 v30, v38, v30, s[2:3]
	v_cndmask_b32_e64 v31, v37, v34, s[2:3]
	v_lshlrev_b32_e32 v34, 16, v32
	v_bfrev_b32_e32 v35, 60
	v_lshlrev_b32_e32 v31, 20, v31
	v_and_b32_e32 v34, 0x80000000, v34
	v_lshl_add_u32 v30, v30, 23, v35
	v_or3_b32 v30, v34, v30, v31
	v_lshrrev_b32_e32 v35, 16, v30
.LBB674_170:
	s_or_b64 exec, exec, s[22:23]
.LBB674_171:
	s_or_b64 exec, exec, s[20:21]
.LBB674_172:
	s_or_b64 exec, exec, s[10:11]
	s_movk_i32 s2, 0xff
	v_and_b32_sdwa v34, v32, s2 dst_sel:DWORD dst_unused:UNUSED_PAD src0_sel:WORD_1 src1_sel:DWORD
	v_lshrrev_b32_e32 v30, 16, v32
	v_cmp_ne_u16_e64 s[2:3], 0, v34
	v_mov_b32_e32 v31, 0
	v_mov_b32_e32 v37, 0
	s_and_saveexec_b64 s[10:11], s[2:3]
	s_cbranch_execz .LBB674_178
; %bb.173:
	s_movk_i32 s2, 0x80
	v_cmp_ne_u16_e64 s[2:3], s2, v34
	v_mov_b32_e32 v37, 0xffff8000
	s_and_saveexec_b64 s[20:21], s[2:3]
	s_cbranch_execz .LBB674_177
; %bb.174:
	v_bfe_u32 v34, v32, 16, 7
	s_movk_i32 s2, 0x7f
	v_cmp_ne_u32_e64 s[2:3], s2, v34
	v_mov_b32_e32 v37, 0x7f80
	s_and_saveexec_b64 s[22:23], s[2:3]
	s_cbranch_execz .LBB674_176
; %bb.175:
	v_and_b32_e32 v37, 7, v30
	v_ffbh_u32_e32 v38, v37
	v_min_u32_e32 v41, 32, v38
	v_subrev_u32_e32 v38, 28, v41
	v_lshlrev_b64 v[38:39], v38, v[30:31]
	v_and_b32_e32 v38, 7, v38
	v_cmp_gt_u32_e64 s[2:3], 8, v34
	v_lshrrev_b32_e32 v40, 3, v34
	v_sub_u32_e32 v30, 29, v41
	v_cndmask_b32_e64 v34, v37, v38, s[2:3]
	v_mov_b32_e32 v37, 24
	v_cndmask_b32_e64 v30, v40, v30, s[2:3]
	v_lshlrev_b32_sdwa v37, v37, v32 dst_sel:DWORD dst_unused:UNUSED_PAD src0_sel:DWORD src1_sel:WORD_1
	v_bfrev_b32_e32 v38, 60
	v_lshlrev_b32_e32 v34, 20, v34
	v_and_b32_e32 v37, 0x80000000, v37
	v_lshl_add_u32 v30, v30, 23, v38
	v_or3_b32 v30, v37, v30, v34
	v_lshrrev_b32_e32 v37, 16, v30
.LBB674_176:
	s_or_b64 exec, exec, s[22:23]
.LBB674_177:
	s_or_b64 exec, exec, s[20:21]
.LBB674_178:
	s_or_b64 exec, exec, s[10:11]
	s_mov_b32 s2, 0xffffff
	v_cmp_lt_u32_e64 s[2:3], s2, v32
	v_mov_b32_e32 v38, 0
	s_and_saveexec_b64 s[10:11], s[2:3]
	s_cbranch_execz .LBB674_184
; %bb.179:
	v_lshrrev_b32_e32 v30, 24, v32
	s_movk_i32 s2, 0x80
	v_cmp_ne_u32_e64 s[2:3], s2, v30
	v_mov_b32_e32 v38, 0xffff8000
	s_and_saveexec_b64 s[20:21], s[2:3]
	s_cbranch_execz .LBB674_183
; %bb.180:
	v_bfe_u32 v34, v32, 24, 7
	s_movk_i32 s2, 0x7f
	v_cmp_ne_u32_e64 s[2:3], s2, v34
	v_mov_b32_e32 v38, 0x7f80
	s_and_saveexec_b64 s[22:23], s[2:3]
	s_cbranch_execz .LBB674_182
; %bb.181:
	v_and_b32_e32 v40, 7, v30
	v_ffbh_u32_e32 v38, v40
	v_min_u32_e32 v46, 32, v38
	v_subrev_u32_e32 v38, 28, v46
	v_lshlrev_b64 v[38:39], v38, v[30:31]
	v_lshrrev_b32_e32 v41, 3, v34
	v_sub_u32_e32 v39, 29, v46
	v_and_b32_e32 v38, 7, v38
	v_cmp_gt_u32_e64 s[2:3], 8, v34
	v_cndmask_b32_e64 v34, v41, v39, s[2:3]
	v_cndmask_b32_e64 v38, v40, v38, s[2:3]
	v_lshlrev_b32_e32 v30, 24, v30
	v_bfrev_b32_e32 v39, 60
	v_lshlrev_b32_e32 v38, 20, v38
	v_and_b32_e32 v30, 0x80000000, v30
	v_lshl_add_u32 v34, v34, 23, v39
	v_or3_b32 v30, v30, v34, v38
	v_lshrrev_b32_e32 v38, 16, v30
.LBB674_182:
	s_or_b64 exec, exec, s[22:23]
.LBB674_183:
	s_or_b64 exec, exec, s[20:21]
.LBB674_184:
	s_or_b64 exec, exec, s[10:11]
	v_mov_b32_e32 v39, 0
	v_mov_b32_e32 v30, v33
	v_cmp_ne_u16_sdwa s[2:3], v33, v39 src0_sel:BYTE_0 src1_sel:DWORD
	v_mov_b32_e32 v40, 0
	s_and_saveexec_b64 s[10:11], s[2:3]
	s_cbranch_execz .LBB674_190
; %bb.185:
	s_movk_i32 s2, 0x80
	v_cmp_ne_u16_sdwa s[2:3], v33, s2 src0_sel:BYTE_0 src1_sel:DWORD
	v_mov_b32_e32 v40, 0xffff8000
	s_and_saveexec_b64 s[20:21], s[2:3]
	s_cbranch_execz .LBB674_189
; %bb.186:
	s_movk_i32 s2, 0x7f
	v_and_b32_e32 v34, 0x7f, v33
	v_cmp_ne_u32_e64 s[2:3], s2, v34
	v_mov_b32_e32 v40, 0x7f80
	s_and_saveexec_b64 s[22:23], s[2:3]
	s_cbranch_execz .LBB674_188
; %bb.187:
	v_and_b32_e32 v40, 7, v33
	v_ffbh_u32_e32 v40, v40
	v_min_u32_e32 v40, 32, v40
	v_lshrrev_b32_e32 v41, 3, v34
	v_subrev_u32_e32 v46, 28, v40
	v_sub_u32_e32 v40, 29, v40
	v_cmp_gt_u32_e64 s[2:3], 8, v34
	v_cndmask_b32_e64 v34, v41, v40, s[2:3]
	v_cndmask_b32_e64 v40, 0, v46, s[2:3]
	v_lshlrev_b64 v[40:41], v40, v[30:31]
	v_lshlrev_b32_e32 v31, 20, v40
	v_lshlrev_b32_e32 v40, 24, v30
	v_bfrev_b32_e32 v41, 60
	v_and_b32_e32 v31, 0x700000, v31
	v_and_b32_e32 v40, 0x80000000, v40
	v_lshl_add_u32 v34, v34, 23, v41
	v_or3_b32 v31, v40, v34, v31
	v_lshrrev_b32_e32 v40, 16, v31
.LBB674_188:
	s_or_b64 exec, exec, s[22:23]
.LBB674_189:
	s_or_b64 exec, exec, s[20:21]
.LBB674_190:
	s_or_b64 exec, exec, s[10:11]
	v_lshrrev_b16_e32 v34, 8, v30
	v_cmp_ne_u16_e64 s[2:3], 0, v34
	s_and_saveexec_b64 s[10:11], s[2:3]
	s_cbranch_execz .LBB674_196
; %bb.191:
	s_movk_i32 s2, 0x80
	v_cmp_ne_u16_e64 s[2:3], s2, v34
	v_mov_b32_e32 v39, 0xffff8000
	s_and_saveexec_b64 s[20:21], s[2:3]
	s_cbranch_execz .LBB674_195
; %bb.192:
	s_movk_i32 s2, 0x7f
	v_and_b32_e32 v31, 0x7f, v34
	v_cmp_ne_u32_e64 s[2:3], s2, v31
	v_mov_b32_e32 v39, 0x7f80
	s_and_saveexec_b64 s[22:23], s[2:3]
	s_cbranch_execz .LBB674_194
; %bb.193:
	v_and_b32_e32 v39, 7, v34
	v_ffbh_u32_e32 v46, v39
	v_min_u32_e32 v48, 32, v46
	v_subrev_u32_e32 v46, 28, v48
	v_lshlrev_b64 v[46:47], v46, v[34:35]
	v_lshrrev_b32_e32 v41, 3, v31
	v_sub_u32_e32 v34, 29, v48
	v_and_b32_e32 v46, 7, v46
	v_cmp_gt_u32_e64 s[2:3], 8, v31
	v_cndmask_b32_e64 v31, v41, v34, s[2:3]
	v_cndmask_b32_e64 v34, v39, v46, s[2:3]
	v_lshlrev_b32_e32 v30, 16, v30
	v_bfrev_b32_e32 v39, 60
	v_lshlrev_b32_e32 v34, 20, v34
	v_and_b32_e32 v30, 0x80000000, v30
	v_lshl_add_u32 v31, v31, 23, v39
	v_or3_b32 v30, v30, v31, v34
	v_lshrrev_b32_e32 v39, 16, v30
.LBB674_194:
	s_or_b64 exec, exec, s[22:23]
.LBB674_195:
	s_or_b64 exec, exec, s[20:21]
.LBB674_196:
	s_or_b64 exec, exec, s[10:11]
	s_movk_i32 s2, 0xff
	v_and_b32_sdwa v41, v33, s2 dst_sel:DWORD dst_unused:UNUSED_PAD src0_sel:WORD_1 src1_sel:DWORD
	v_lshrrev_b32_e32 v30, 16, v33
	v_cmp_ne_u16_e64 s[2:3], 0, v41
	v_mov_b32_e32 v31, 0
	v_mov_b32_e32 v34, 0
	s_and_saveexec_b64 s[10:11], s[2:3]
	s_cbranch_execz .LBB674_202
; %bb.197:
	s_movk_i32 s2, 0x80
	v_cmp_ne_u16_e64 s[2:3], s2, v41
	v_mov_b32_e32 v34, 0xffff8000
	s_and_saveexec_b64 s[20:21], s[2:3]
	s_cbranch_execz .LBB674_201
; %bb.198:
	v_bfe_u32 v41, v33, 16, 7
	s_movk_i32 s2, 0x7f
	v_cmp_ne_u32_e64 s[2:3], s2, v41
	v_mov_b32_e32 v34, 0x7f80
	s_and_saveexec_b64 s[22:23], s[2:3]
	s_cbranch_execz .LBB674_200
; %bb.199:
	v_and_b32_e32 v34, 7, v30
	v_ffbh_u32_e32 v46, v34
	v_min_u32_e32 v49, 32, v46
	v_subrev_u32_e32 v46, 28, v49
	v_lshlrev_b64 v[46:47], v46, v[30:31]
	v_lshrrev_b32_e32 v48, 3, v41
	v_sub_u32_e32 v30, 29, v49
	v_and_b32_e32 v46, 7, v46
	v_cmp_gt_u32_e64 s[2:3], 8, v41
	v_mov_b32_e32 v41, 24
	v_cndmask_b32_e64 v30, v48, v30, s[2:3]
	v_cndmask_b32_e64 v34, v34, v46, s[2:3]
	v_lshlrev_b32_sdwa v41, v41, v33 dst_sel:DWORD dst_unused:UNUSED_PAD src0_sel:DWORD src1_sel:WORD_1
	v_bfrev_b32_e32 v46, 60
	v_lshlrev_b32_e32 v34, 20, v34
	v_and_b32_e32 v41, 0x80000000, v41
	v_lshl_add_u32 v30, v30, 23, v46
	v_or3_b32 v30, v41, v30, v34
	v_lshrrev_b32_e32 v34, 16, v30
.LBB674_200:
	s_or_b64 exec, exec, s[22:23]
.LBB674_201:
	s_or_b64 exec, exec, s[20:21]
.LBB674_202:
	s_or_b64 exec, exec, s[10:11]
	s_mov_b32 s2, -1
	s_mov_b32 s3, 0xffffff
	v_cmp_lt_u64_e64 s[2:3], s[2:3], v[32:33]
	s_and_saveexec_b64 s[10:11], s[2:3]
	s_cbranch_execz .LBB674_208
; %bb.203:
	v_lshrrev_b32_e32 v30, 24, v33
	s_movk_i32 s2, 0x80
	v_cmp_ne_u32_e64 s[2:3], s2, v30
	v_mov_b32_e32 v31, 0xffff8000
	s_and_saveexec_b64 s[20:21], s[2:3]
	s_cbranch_execz .LBB674_207
; %bb.204:
	v_bfe_u32 v32, v33, 24, 7
	s_movk_i32 s2, 0x7f
	v_cmp_ne_u32_e64 s[2:3], s2, v32
	v_mov_b32_e32 v31, 0x7f80
	s_and_saveexec_b64 s[22:23], s[2:3]
	s_cbranch_execz .LBB674_206
; %bb.205:
	v_and_b32_e32 v31, 7, v30
	v_ffbh_u32_e32 v41, v31
	v_min_u32_e32 v41, 32, v41
	v_subrev_u32_e32 v46, 28, v41
	v_lshlrev_b64 v[46:47], v46, v[30:31]
	v_lshrrev_b32_e32 v33, 3, v32
	v_sub_u32_e32 v41, 29, v41
	v_and_b32_e32 v46, 7, v46
	v_cmp_gt_u32_e64 s[2:3], 8, v32
	v_cndmask_b32_e64 v32, v33, v41, s[2:3]
	v_cndmask_b32_e64 v31, v31, v46, s[2:3]
	v_lshlrev_b32_e32 v30, 24, v30
	v_bfrev_b32_e32 v33, 60
	v_lshlrev_b32_e32 v31, 20, v31
	v_and_b32_e32 v30, 0x80000000, v30
	v_lshl_add_u32 v32, v32, 23, v33
	v_or3_b32 v30, v30, v32, v31
	v_lshrrev_b32_e32 v31, 16, v30
.LBB674_206:
	s_or_b64 exec, exec, s[22:23]
.LBB674_207:
	s_or_b64 exec, exec, s[20:21]
.LBB674_208:
	s_or_b64 exec, exec, s[10:11]
	s_mov_b32 s2, 0x5040100
	v_perm_b32 v33, v38, v37, s2
	v_perm_b32 v32, v35, v36, s2
	;; [unrolled: 1-line block ×4, first 2 shown]
	v_mfma_f32_4x4x4bf16_1k a[0:3], v[18:19], v[32:33], a[0:3] cbsz:4 abid:3
	v_mov_b32_e32 v33, 0
	v_mfma_f32_4x4x4bf16_1k a[0:3], v[20:21], v[30:31], a[0:3] cbsz:4 abid:3
	s_waitcnt vmcnt(5)
	v_cmp_ne_u16_sdwa s[2:3], v26, v33 src0_sel:BYTE_0 src1_sel:DWORD
	v_mov_b32_e32 v34, 0
	s_and_saveexec_b64 s[10:11], s[2:3]
	s_cbranch_execz .LBB674_214
; %bb.209:
	s_movk_i32 s2, 0x80
	v_cmp_ne_u16_sdwa s[2:3], v26, s2 src0_sel:BYTE_0 src1_sel:DWORD
	v_mov_b32_e32 v34, 0xffff8000
	s_and_saveexec_b64 s[20:21], s[2:3]
	s_cbranch_execz .LBB674_213
; %bb.210:
	s_movk_i32 s2, 0x7f
	v_and_b32_e32 v30, 0x7f, v26
	v_cmp_ne_u32_e64 s[2:3], s2, v30
	v_mov_b32_e32 v34, 0x7f80
	s_and_saveexec_b64 s[22:23], s[2:3]
	s_cbranch_execz .LBB674_212
; %bb.211:
	v_and_b32_e32 v31, 7, v26
	v_ffbh_u32_e32 v31, v31
	v_min_u32_e32 v31, 32, v31
	v_subrev_u32_e32 v34, 28, v31
	v_cmp_gt_u32_e64 s[2:3], 8, v30
	v_lshrrev_b32_e32 v32, 3, v30
	v_sub_u32_e32 v31, 29, v31
	v_cndmask_b32_e64 v30, 0, v34, s[2:3]
	v_cndmask_b32_e64 v32, v32, v31, s[2:3]
	v_lshlrev_b64 v[30:31], v30, v[26:27]
	v_lshlrev_b32_e32 v30, 20, v30
	v_lshlrev_b32_e32 v31, 24, v26
	v_bfrev_b32_e32 v34, 60
	v_and_b32_e32 v30, 0x700000, v30
	v_and_b32_e32 v31, 0x80000000, v31
	v_lshl_add_u32 v32, v32, 23, v34
	v_or3_b32 v30, v31, v32, v30
	v_lshrrev_b32_e32 v34, 16, v30
.LBB674_212:
	s_or_b64 exec, exec, s[22:23]
.LBB674_213:
	s_or_b64 exec, exec, s[20:21]
.LBB674_214:
	s_or_b64 exec, exec, s[10:11]
	v_lshrrev_b16_e32 v30, 8, v26
	v_cmp_ne_u16_e64 s[2:3], 0, v30
	s_and_saveexec_b64 s[10:11], s[2:3]
	s_cbranch_execz .LBB674_220
; %bb.215:
	s_movk_i32 s2, 0x80
	v_cmp_ne_u16_e64 s[2:3], s2, v30
	v_mov_b32_e32 v33, 0xffff8000
	s_and_saveexec_b64 s[20:21], s[2:3]
	s_cbranch_execz .LBB674_219
; %bb.216:
	s_movk_i32 s2, 0x7f
	v_and_b32_e32 v31, 0x7f, v30
	v_cmp_ne_u32_e64 s[2:3], s2, v31
	v_mov_b32_e32 v33, 0x7f80
	s_and_saveexec_b64 s[22:23], s[2:3]
	s_cbranch_execz .LBB674_218
; %bb.217:
	v_and_b32_e32 v35, 7, v30
	v_ffbh_u32_e32 v32, v35
	v_min_u32_e32 v37, 32, v32
	v_subrev_u32_e32 v32, 28, v37
	v_lshlrev_b64 v[32:33], v32, v[30:31]
	v_lshrrev_b32_e32 v36, 3, v31
	v_sub_u32_e32 v30, 29, v37
	v_and_b32_e32 v32, 7, v32
	v_cmp_gt_u32_e64 s[2:3], 8, v31
	v_cndmask_b32_e64 v30, v36, v30, s[2:3]
	v_cndmask_b32_e64 v31, v35, v32, s[2:3]
	v_lshlrev_b32_e32 v32, 16, v26
	v_bfrev_b32_e32 v33, 60
	v_lshlrev_b32_e32 v31, 20, v31
	v_and_b32_e32 v32, 0x80000000, v32
	v_lshl_add_u32 v30, v30, 23, v33
	v_or3_b32 v30, v32, v30, v31
	v_lshrrev_b32_e32 v33, 16, v30
.LBB674_218:
	s_or_b64 exec, exec, s[22:23]
.LBB674_219:
	s_or_b64 exec, exec, s[20:21]
.LBB674_220:
	s_or_b64 exec, exec, s[10:11]
	s_movk_i32 s2, 0xff
	v_and_b32_sdwa v32, v26, s2 dst_sel:DWORD dst_unused:UNUSED_PAD src0_sel:WORD_1 src1_sel:DWORD
	v_lshrrev_b32_e32 v30, 16, v26
	v_cmp_ne_u16_e64 s[2:3], 0, v32
	v_mov_b32_e32 v31, 0
	v_mov_b32_e32 v35, 0
	s_and_saveexec_b64 s[10:11], s[2:3]
	s_cbranch_execz .LBB674_226
; %bb.221:
	s_movk_i32 s2, 0x80
	v_cmp_ne_u16_e64 s[2:3], s2, v32
	v_mov_b32_e32 v35, 0xffff8000
	s_and_saveexec_b64 s[20:21], s[2:3]
	s_cbranch_execz .LBB674_225
; %bb.222:
	v_bfe_u32 v32, v26, 16, 7
	s_movk_i32 s2, 0x7f
	v_cmp_ne_u32_e64 s[2:3], s2, v32
	v_mov_b32_e32 v35, 0x7f80
	s_and_saveexec_b64 s[22:23], s[2:3]
	s_cbranch_execz .LBB674_224
; %bb.223:
	v_and_b32_e32 v35, 7, v30
	v_ffbh_u32_e32 v36, v35
	v_min_u32_e32 v39, 32, v36
	v_subrev_u32_e32 v36, 28, v39
	v_lshlrev_b64 v[36:37], v36, v[30:31]
	v_and_b32_e32 v36, 7, v36
	v_cmp_gt_u32_e64 s[2:3], 8, v32
	v_lshrrev_b32_e32 v38, 3, v32
	v_sub_u32_e32 v30, 29, v39
	v_cndmask_b32_e64 v32, v35, v36, s[2:3]
	v_mov_b32_e32 v35, 24
	v_cndmask_b32_e64 v30, v38, v30, s[2:3]
	v_lshlrev_b32_sdwa v35, v35, v26 dst_sel:DWORD dst_unused:UNUSED_PAD src0_sel:DWORD src1_sel:WORD_1
	v_bfrev_b32_e32 v36, 60
	v_lshlrev_b32_e32 v32, 20, v32
	v_and_b32_e32 v35, 0x80000000, v35
	v_lshl_add_u32 v30, v30, 23, v36
	v_or3_b32 v30, v35, v30, v32
	v_lshrrev_b32_e32 v35, 16, v30
.LBB674_224:
	s_or_b64 exec, exec, s[22:23]
.LBB674_225:
	s_or_b64 exec, exec, s[20:21]
.LBB674_226:
	s_or_b64 exec, exec, s[10:11]
	s_mov_b32 s2, 0xffffff
	v_cmp_lt_u32_e64 s[2:3], s2, v26
	v_mov_b32_e32 v36, 0
	s_and_saveexec_b64 s[10:11], s[2:3]
	s_cbranch_execz .LBB674_232
; %bb.227:
	v_lshrrev_b32_e32 v30, 24, v26
	s_movk_i32 s2, 0x80
	v_cmp_ne_u32_e64 s[2:3], s2, v30
	v_mov_b32_e32 v36, 0xffff8000
	s_and_saveexec_b64 s[20:21], s[2:3]
	s_cbranch_execz .LBB674_231
; %bb.228:
	v_bfe_u32 v32, v26, 24, 7
	s_movk_i32 s2, 0x7f
	v_cmp_ne_u32_e64 s[2:3], s2, v32
	v_mov_b32_e32 v36, 0x7f80
	s_and_saveexec_b64 s[22:23], s[2:3]
	s_cbranch_execz .LBB674_230
; %bb.229:
	v_and_b32_e32 v38, 7, v30
	v_ffbh_u32_e32 v36, v38
	v_min_u32_e32 v40, 32, v36
	v_subrev_u32_e32 v36, 28, v40
	v_lshlrev_b64 v[36:37], v36, v[30:31]
	v_lshrrev_b32_e32 v39, 3, v32
	v_sub_u32_e32 v37, 29, v40
	v_and_b32_e32 v36, 7, v36
	v_cmp_gt_u32_e64 s[2:3], 8, v32
	v_cndmask_b32_e64 v32, v39, v37, s[2:3]
	v_cndmask_b32_e64 v36, v38, v36, s[2:3]
	v_lshlrev_b32_e32 v30, 24, v30
	v_bfrev_b32_e32 v37, 60
	v_lshlrev_b32_e32 v36, 20, v36
	v_and_b32_e32 v30, 0x80000000, v30
	v_lshl_add_u32 v32, v32, 23, v37
	v_or3_b32 v30, v30, v32, v36
	v_lshrrev_b32_e32 v36, 16, v30
.LBB674_230:
	s_or_b64 exec, exec, s[22:23]
.LBB674_231:
	s_or_b64 exec, exec, s[20:21]
.LBB674_232:
	s_or_b64 exec, exec, s[10:11]
	v_mov_b32_e32 v37, 0
	v_mov_b32_e32 v30, v27
	v_cmp_ne_u16_sdwa s[2:3], v27, v37 src0_sel:BYTE_0 src1_sel:DWORD
	v_mov_b32_e32 v38, 0
	s_and_saveexec_b64 s[10:11], s[2:3]
	s_cbranch_execz .LBB674_238
; %bb.233:
	s_movk_i32 s2, 0x80
	v_cmp_ne_u16_sdwa s[2:3], v27, s2 src0_sel:BYTE_0 src1_sel:DWORD
	v_mov_b32_e32 v38, 0xffff8000
	s_and_saveexec_b64 s[20:21], s[2:3]
	s_cbranch_execz .LBB674_237
; %bb.234:
	s_movk_i32 s2, 0x7f
	v_and_b32_e32 v32, 0x7f, v27
	v_cmp_ne_u32_e64 s[2:3], s2, v32
	v_mov_b32_e32 v38, 0x7f80
	s_and_saveexec_b64 s[22:23], s[2:3]
	s_cbranch_execz .LBB674_236
; %bb.235:
	v_and_b32_e32 v38, 7, v27
	v_ffbh_u32_e32 v38, v38
	v_min_u32_e32 v38, 32, v38
	v_lshrrev_b32_e32 v39, 3, v32
	v_subrev_u32_e32 v40, 28, v38
	v_sub_u32_e32 v38, 29, v38
	v_cmp_gt_u32_e64 s[2:3], 8, v32
	v_cndmask_b32_e64 v32, v39, v38, s[2:3]
	v_cndmask_b32_e64 v38, 0, v40, s[2:3]
	v_lshlrev_b64 v[38:39], v38, v[30:31]
	v_lshlrev_b32_e32 v31, 20, v38
	v_lshlrev_b32_e32 v38, 24, v30
	v_bfrev_b32_e32 v39, 60
	v_and_b32_e32 v31, 0x700000, v31
	v_and_b32_e32 v38, 0x80000000, v38
	v_lshl_add_u32 v32, v32, 23, v39
	v_or3_b32 v31, v38, v32, v31
	v_lshrrev_b32_e32 v38, 16, v31
.LBB674_236:
	s_or_b64 exec, exec, s[22:23]
.LBB674_237:
	s_or_b64 exec, exec, s[20:21]
.LBB674_238:
	s_or_b64 exec, exec, s[10:11]
	v_lshrrev_b16_e32 v32, 8, v30
	v_cmp_ne_u16_e64 s[2:3], 0, v32
	s_and_saveexec_b64 s[10:11], s[2:3]
	s_cbranch_execz .LBB674_244
; %bb.239:
	s_movk_i32 s2, 0x80
	v_cmp_ne_u16_e64 s[2:3], s2, v32
	v_mov_b32_e32 v37, 0xffff8000
	s_and_saveexec_b64 s[20:21], s[2:3]
	s_cbranch_execz .LBB674_243
; %bb.240:
	s_movk_i32 s2, 0x7f
	v_and_b32_e32 v31, 0x7f, v32
	v_cmp_ne_u32_e64 s[2:3], s2, v31
	v_mov_b32_e32 v37, 0x7f80
	s_and_saveexec_b64 s[22:23], s[2:3]
	s_cbranch_execz .LBB674_242
; %bb.241:
	v_and_b32_e32 v37, 7, v32
	v_ffbh_u32_e32 v40, v37
	v_min_u32_e32 v46, 32, v40
	v_subrev_u32_e32 v40, 28, v46
	v_lshlrev_b64 v[40:41], v40, v[32:33]
	v_lshrrev_b32_e32 v39, 3, v31
	v_sub_u32_e32 v32, 29, v46
	v_and_b32_e32 v40, 7, v40
	v_cmp_gt_u32_e64 s[2:3], 8, v31
	v_cndmask_b32_e64 v31, v39, v32, s[2:3]
	v_cndmask_b32_e64 v32, v37, v40, s[2:3]
	v_lshlrev_b32_e32 v30, 16, v30
	v_bfrev_b32_e32 v37, 60
	v_lshlrev_b32_e32 v32, 20, v32
	v_and_b32_e32 v30, 0x80000000, v30
	v_lshl_add_u32 v31, v31, 23, v37
	v_or3_b32 v30, v30, v31, v32
	v_lshrrev_b32_e32 v37, 16, v30
.LBB674_242:
	s_or_b64 exec, exec, s[22:23]
.LBB674_243:
	s_or_b64 exec, exec, s[20:21]
.LBB674_244:
	s_or_b64 exec, exec, s[10:11]
	s_movk_i32 s2, 0xff
	v_and_b32_sdwa v39, v27, s2 dst_sel:DWORD dst_unused:UNUSED_PAD src0_sel:WORD_1 src1_sel:DWORD
	v_lshrrev_b32_e32 v30, 16, v27
	v_cmp_ne_u16_e64 s[2:3], 0, v39
	v_mov_b32_e32 v31, 0
	v_mov_b32_e32 v32, 0
	s_and_saveexec_b64 s[10:11], s[2:3]
	s_cbranch_execz .LBB674_250
; %bb.245:
	s_movk_i32 s2, 0x80
	v_cmp_ne_u16_e64 s[2:3], s2, v39
	v_mov_b32_e32 v32, 0xffff8000
	s_and_saveexec_b64 s[20:21], s[2:3]
	s_cbranch_execz .LBB674_249
; %bb.246:
	v_bfe_u32 v39, v27, 16, 7
	s_movk_i32 s2, 0x7f
	v_cmp_ne_u32_e64 s[2:3], s2, v39
	v_mov_b32_e32 v32, 0x7f80
	s_and_saveexec_b64 s[22:23], s[2:3]
	s_cbranch_execz .LBB674_248
; %bb.247:
	v_and_b32_e32 v32, 7, v30
	v_ffbh_u32_e32 v40, v32
	v_min_u32_e32 v47, 32, v40
	v_subrev_u32_e32 v40, 28, v47
	v_lshlrev_b64 v[40:41], v40, v[30:31]
	v_lshrrev_b32_e32 v46, 3, v39
	v_sub_u32_e32 v30, 29, v47
	v_and_b32_e32 v40, 7, v40
	v_cmp_gt_u32_e64 s[2:3], 8, v39
	v_mov_b32_e32 v39, 24
	v_cndmask_b32_e64 v30, v46, v30, s[2:3]
	v_cndmask_b32_e64 v32, v32, v40, s[2:3]
	v_lshlrev_b32_sdwa v39, v39, v27 dst_sel:DWORD dst_unused:UNUSED_PAD src0_sel:DWORD src1_sel:WORD_1
	v_bfrev_b32_e32 v40, 60
	v_lshlrev_b32_e32 v32, 20, v32
	v_and_b32_e32 v39, 0x80000000, v39
	v_lshl_add_u32 v30, v30, 23, v40
	v_or3_b32 v30, v39, v30, v32
	v_lshrrev_b32_e32 v32, 16, v30
.LBB674_248:
	s_or_b64 exec, exec, s[22:23]
.LBB674_249:
	s_or_b64 exec, exec, s[20:21]
.LBB674_250:
	s_or_b64 exec, exec, s[10:11]
	s_mov_b32 s2, -1
	s_mov_b32 s3, 0xffffff
	v_cmp_lt_u64_e64 s[2:3], s[2:3], v[26:27]
	s_and_saveexec_b64 s[10:11], s[2:3]
	s_cbranch_execz .LBB674_256
; %bb.251:
	v_lshrrev_b32_e32 v26, 24, v27
	s_movk_i32 s2, 0x80
	v_cmp_ne_u32_e64 s[2:3], s2, v26
	v_mov_b32_e32 v31, 0xffff8000
	s_and_saveexec_b64 s[20:21], s[2:3]
	s_cbranch_execz .LBB674_255
; %bb.252:
	v_bfe_u32 v27, v27, 24, 7
	s_movk_i32 s2, 0x7f
	v_cmp_ne_u32_e64 s[2:3], s2, v27
	v_mov_b32_e32 v31, 0x7f80
	s_and_saveexec_b64 s[22:23], s[2:3]
	s_cbranch_execz .LBB674_254
; %bb.253:
	v_and_b32_e32 v39, 7, v26
	v_ffbh_u32_e32 v30, v39
	v_min_u32_e32 v41, 32, v30
	v_subrev_u32_e32 v30, 28, v41
	v_lshlrev_b64 v[30:31], v30, v[26:27]
	v_lshrrev_b32_e32 v40, 3, v27
	v_sub_u32_e32 v31, 29, v41
	v_and_b32_e32 v30, 7, v30
	v_cmp_gt_u32_e64 s[2:3], 8, v27
	v_cndmask_b32_e64 v27, v40, v31, s[2:3]
	v_cndmask_b32_e64 v30, v39, v30, s[2:3]
	v_lshlrev_b32_e32 v26, 24, v26
	v_bfrev_b32_e32 v31, 60
	v_lshlrev_b32_e32 v30, 20, v30
	v_and_b32_e32 v26, 0x80000000, v26
	v_lshl_add_u32 v27, v27, 23, v31
	v_or3_b32 v26, v26, v27, v30
	v_lshrrev_b32_e32 v31, 16, v26
.LBB674_254:
	s_or_b64 exec, exec, s[22:23]
.LBB674_255:
	s_or_b64 exec, exec, s[20:21]
.LBB674_256:
	s_or_b64 exec, exec, s[10:11]
	s_mov_b32 s2, 0x5040100
	v_perm_b32 v27, v36, v35, s2
	v_perm_b32 v26, v33, v34, s2
	;; [unrolled: 1-line block ×4, first 2 shown]
	v_mfma_f32_4x4x4bf16_1k a[0:3], v[18:19], v[26:27], a[0:3] cbsz:4 abid:4
	v_mov_b32_e32 v32, 0
	v_mfma_f32_4x4x4bf16_1k a[0:3], v[20:21], v[30:31], a[0:3] cbsz:4 abid:4
	v_mov_b32_e32 v31, 0
	v_cmp_ne_u16_sdwa s[2:3], v28, v31 src0_sel:BYTE_0 src1_sel:DWORD
	s_and_saveexec_b64 s[10:11], s[2:3]
	s_cbranch_execz .LBB674_262
; %bb.257:
	s_movk_i32 s2, 0x80
	v_cmp_ne_u16_sdwa s[2:3], v28, s2 src0_sel:BYTE_0 src1_sel:DWORD
	v_mov_b32_e32 v32, 0xffff8000
	s_and_saveexec_b64 s[20:21], s[2:3]
	s_cbranch_execz .LBB674_261
; %bb.258:
	s_movk_i32 s2, 0x7f
	v_and_b32_e32 v26, 0x7f, v28
	v_cmp_ne_u32_e64 s[2:3], s2, v26
	v_mov_b32_e32 v32, 0x7f80
	s_and_saveexec_b64 s[22:23], s[2:3]
	s_cbranch_execz .LBB674_260
; %bb.259:
	v_and_b32_e32 v27, 7, v28
	v_ffbh_u32_e32 v27, v27
	v_min_u32_e32 v27, 32, v27
	v_subrev_u32_e32 v32, 28, v27
	v_cmp_gt_u32_e64 s[2:3], 8, v26
	v_lshrrev_b32_e32 v30, 3, v26
	v_sub_u32_e32 v27, 29, v27
	v_cndmask_b32_e64 v26, 0, v32, s[2:3]
	v_cndmask_b32_e64 v30, v30, v27, s[2:3]
	v_lshlrev_b64 v[26:27], v26, v[28:29]
	v_lshlrev_b32_e32 v26, 20, v26
	v_lshlrev_b32_e32 v27, 24, v28
	v_bfrev_b32_e32 v32, 60
	v_and_b32_e32 v26, 0x700000, v26
	v_and_b32_e32 v27, 0x80000000, v27
	v_lshl_add_u32 v30, v30, 23, v32
	v_or3_b32 v26, v27, v30, v26
	v_lshrrev_b32_e32 v32, 16, v26
.LBB674_260:
	s_or_b64 exec, exec, s[22:23]
.LBB674_261:
	s_or_b64 exec, exec, s[20:21]
.LBB674_262:
	s_or_b64 exec, exec, s[10:11]
	v_lshrrev_b16_e32 v26, 8, v28
	v_cmp_ne_u16_e64 s[2:3], 0, v26
	s_and_saveexec_b64 s[10:11], s[2:3]
	s_cbranch_execz .LBB674_268
; %bb.263:
	s_movk_i32 s2, 0x80
	v_cmp_ne_u16_e64 s[2:3], s2, v26
	v_mov_b32_e32 v31, 0xffff8000
	s_and_saveexec_b64 s[20:21], s[2:3]
	s_cbranch_execz .LBB674_267
; %bb.264:
	s_movk_i32 s2, 0x7f
	v_and_b32_e32 v27, 0x7f, v26
	v_cmp_ne_u32_e64 s[2:3], s2, v27
	v_mov_b32_e32 v31, 0x7f80
	s_and_saveexec_b64 s[22:23], s[2:3]
	s_cbranch_execz .LBB674_266
; %bb.265:
	v_and_b32_e32 v33, 7, v26
	v_ffbh_u32_e32 v30, v33
	v_min_u32_e32 v35, 32, v30
	v_subrev_u32_e32 v30, 28, v35
	v_lshlrev_b64 v[30:31], v30, v[26:27]
	v_lshrrev_b32_e32 v34, 3, v27
	v_sub_u32_e32 v26, 29, v35
	v_and_b32_e32 v30, 7, v30
	v_cmp_gt_u32_e64 s[2:3], 8, v27
	v_cndmask_b32_e64 v26, v34, v26, s[2:3]
	v_cndmask_b32_e64 v27, v33, v30, s[2:3]
	v_lshlrev_b32_e32 v30, 16, v28
	v_bfrev_b32_e32 v31, 60
	v_lshlrev_b32_e32 v27, 20, v27
	v_and_b32_e32 v30, 0x80000000, v30
	v_lshl_add_u32 v26, v26, 23, v31
	v_or3_b32 v26, v30, v26, v27
	v_lshrrev_b32_e32 v31, 16, v26
.LBB674_266:
	s_or_b64 exec, exec, s[22:23]
.LBB674_267:
	s_or_b64 exec, exec, s[20:21]
.LBB674_268:
	s_or_b64 exec, exec, s[10:11]
	s_movk_i32 s2, 0xff
	v_and_b32_sdwa v30, v28, s2 dst_sel:DWORD dst_unused:UNUSED_PAD src0_sel:WORD_1 src1_sel:DWORD
	v_lshrrev_b32_e32 v26, 16, v28
	v_cmp_ne_u16_e64 s[2:3], 0, v30
	v_mov_b32_e32 v27, 0
	v_mov_b32_e32 v33, 0
	s_and_saveexec_b64 s[10:11], s[2:3]
	s_cbranch_execz .LBB674_274
; %bb.269:
	s_movk_i32 s2, 0x80
	v_cmp_ne_u16_e64 s[2:3], s2, v30
	v_mov_b32_e32 v33, 0xffff8000
	s_and_saveexec_b64 s[20:21], s[2:3]
	s_cbranch_execz .LBB674_273
; %bb.270:
	v_bfe_u32 v30, v28, 16, 7
	s_movk_i32 s2, 0x7f
	v_cmp_ne_u32_e64 s[2:3], s2, v30
	v_mov_b32_e32 v33, 0x7f80
	s_and_saveexec_b64 s[22:23], s[2:3]
	s_cbranch_execz .LBB674_272
; %bb.271:
	v_and_b32_e32 v33, 7, v26
	v_ffbh_u32_e32 v34, v33
	v_min_u32_e32 v37, 32, v34
	v_subrev_u32_e32 v34, 28, v37
	v_lshlrev_b64 v[34:35], v34, v[26:27]
	v_and_b32_e32 v34, 7, v34
	v_cmp_gt_u32_e64 s[2:3], 8, v30
	v_lshrrev_b32_e32 v36, 3, v30
	v_sub_u32_e32 v26, 29, v37
	v_cndmask_b32_e64 v30, v33, v34, s[2:3]
	v_mov_b32_e32 v33, 24
	v_cndmask_b32_e64 v26, v36, v26, s[2:3]
	v_lshlrev_b32_sdwa v33, v33, v28 dst_sel:DWORD dst_unused:UNUSED_PAD src0_sel:DWORD src1_sel:WORD_1
	v_bfrev_b32_e32 v34, 60
	v_lshlrev_b32_e32 v30, 20, v30
	v_and_b32_e32 v33, 0x80000000, v33
	v_lshl_add_u32 v26, v26, 23, v34
	v_or3_b32 v26, v33, v26, v30
	v_lshrrev_b32_e32 v33, 16, v26
.LBB674_272:
	s_or_b64 exec, exec, s[22:23]
.LBB674_273:
	s_or_b64 exec, exec, s[20:21]
.LBB674_274:
	s_or_b64 exec, exec, s[10:11]
	s_mov_b32 s2, 0xffffff
	v_cmp_lt_u32_e64 s[2:3], s2, v28
	v_mov_b32_e32 v34, 0
	s_and_saveexec_b64 s[10:11], s[2:3]
	s_cbranch_execz .LBB674_280
; %bb.275:
	v_lshrrev_b32_e32 v26, 24, v28
	s_movk_i32 s2, 0x80
	v_cmp_ne_u32_e64 s[2:3], s2, v26
	v_mov_b32_e32 v34, 0xffff8000
	s_and_saveexec_b64 s[20:21], s[2:3]
	s_cbranch_execz .LBB674_279
; %bb.276:
	v_bfe_u32 v30, v28, 24, 7
	s_movk_i32 s2, 0x7f
	v_cmp_ne_u32_e64 s[2:3], s2, v30
	v_mov_b32_e32 v34, 0x7f80
	s_and_saveexec_b64 s[22:23], s[2:3]
	s_cbranch_execz .LBB674_278
; %bb.277:
	v_and_b32_e32 v36, 7, v26
	v_ffbh_u32_e32 v34, v36
	v_min_u32_e32 v38, 32, v34
	v_subrev_u32_e32 v34, 28, v38
	v_lshlrev_b64 v[34:35], v34, v[26:27]
	v_lshrrev_b32_e32 v37, 3, v30
	v_sub_u32_e32 v35, 29, v38
	v_and_b32_e32 v34, 7, v34
	v_cmp_gt_u32_e64 s[2:3], 8, v30
	v_cndmask_b32_e64 v30, v37, v35, s[2:3]
	v_cndmask_b32_e64 v34, v36, v34, s[2:3]
	v_lshlrev_b32_e32 v26, 24, v26
	v_bfrev_b32_e32 v35, 60
	v_lshlrev_b32_e32 v34, 20, v34
	v_and_b32_e32 v26, 0x80000000, v26
	v_lshl_add_u32 v30, v30, 23, v35
	v_or3_b32 v26, v26, v30, v34
	v_lshrrev_b32_e32 v34, 16, v26
.LBB674_278:
	s_or_b64 exec, exec, s[22:23]
.LBB674_279:
	s_or_b64 exec, exec, s[20:21]
.LBB674_280:
	s_or_b64 exec, exec, s[10:11]
	v_mov_b32_e32 v35, 0
	v_mov_b32_e32 v26, v29
	v_cmp_ne_u16_sdwa s[2:3], v29, v35 src0_sel:BYTE_0 src1_sel:DWORD
	v_mov_b32_e32 v36, 0
	s_and_saveexec_b64 s[10:11], s[2:3]
	s_cbranch_execz .LBB674_286
; %bb.281:
	s_movk_i32 s2, 0x80
	v_cmp_ne_u16_sdwa s[2:3], v29, s2 src0_sel:BYTE_0 src1_sel:DWORD
	v_mov_b32_e32 v36, 0xffff8000
	s_and_saveexec_b64 s[20:21], s[2:3]
	s_cbranch_execz .LBB674_285
; %bb.282:
	s_movk_i32 s2, 0x7f
	v_and_b32_e32 v30, 0x7f, v29
	v_cmp_ne_u32_e64 s[2:3], s2, v30
	v_mov_b32_e32 v36, 0x7f80
	s_and_saveexec_b64 s[22:23], s[2:3]
	s_cbranch_execz .LBB674_284
; %bb.283:
	v_and_b32_e32 v36, 7, v29
	v_ffbh_u32_e32 v36, v36
	v_min_u32_e32 v36, 32, v36
	v_lshrrev_b32_e32 v37, 3, v30
	v_subrev_u32_e32 v38, 28, v36
	v_sub_u32_e32 v36, 29, v36
	v_cmp_gt_u32_e64 s[2:3], 8, v30
	v_cndmask_b32_e64 v30, v37, v36, s[2:3]
	v_cndmask_b32_e64 v36, 0, v38, s[2:3]
	v_lshlrev_b64 v[36:37], v36, v[26:27]
	v_lshlrev_b32_e32 v27, 20, v36
	v_lshlrev_b32_e32 v36, 24, v26
	v_bfrev_b32_e32 v37, 60
	v_and_b32_e32 v27, 0x700000, v27
	v_and_b32_e32 v36, 0x80000000, v36
	v_lshl_add_u32 v30, v30, 23, v37
	v_or3_b32 v27, v36, v30, v27
	v_lshrrev_b32_e32 v36, 16, v27
.LBB674_284:
	s_or_b64 exec, exec, s[22:23]
.LBB674_285:
	s_or_b64 exec, exec, s[20:21]
.LBB674_286:
	s_or_b64 exec, exec, s[10:11]
	v_lshrrev_b16_e32 v30, 8, v26
	v_cmp_ne_u16_e64 s[2:3], 0, v30
	s_and_saveexec_b64 s[10:11], s[2:3]
	s_cbranch_execz .LBB674_292
; %bb.287:
	s_movk_i32 s2, 0x80
	v_cmp_ne_u16_e64 s[2:3], s2, v30
	v_mov_b32_e32 v35, 0xffff8000
	s_and_saveexec_b64 s[20:21], s[2:3]
	s_cbranch_execz .LBB674_291
; %bb.288:
	s_movk_i32 s2, 0x7f
	v_and_b32_e32 v27, 0x7f, v30
	v_cmp_ne_u32_e64 s[2:3], s2, v27
	v_mov_b32_e32 v35, 0x7f80
	s_and_saveexec_b64 s[22:23], s[2:3]
	s_cbranch_execz .LBB674_290
; %bb.289:
	v_and_b32_e32 v35, 7, v30
	v_ffbh_u32_e32 v38, v35
	v_min_u32_e32 v40, 32, v38
	v_subrev_u32_e32 v38, 28, v40
	v_lshlrev_b64 v[38:39], v38, v[30:31]
	v_lshrrev_b32_e32 v37, 3, v27
	v_sub_u32_e32 v30, 29, v40
	v_and_b32_e32 v38, 7, v38
	v_cmp_gt_u32_e64 s[2:3], 8, v27
	v_cndmask_b32_e64 v27, v37, v30, s[2:3]
	v_cndmask_b32_e64 v30, v35, v38, s[2:3]
	v_lshlrev_b32_e32 v26, 16, v26
	v_bfrev_b32_e32 v35, 60
	v_lshlrev_b32_e32 v30, 20, v30
	v_and_b32_e32 v26, 0x80000000, v26
	v_lshl_add_u32 v27, v27, 23, v35
	v_or3_b32 v26, v26, v27, v30
	v_lshrrev_b32_e32 v35, 16, v26
.LBB674_290:
	s_or_b64 exec, exec, s[22:23]
.LBB674_291:
	s_or_b64 exec, exec, s[20:21]
.LBB674_292:
	s_or_b64 exec, exec, s[10:11]
	s_movk_i32 s2, 0xff
	v_and_b32_sdwa v37, v29, s2 dst_sel:DWORD dst_unused:UNUSED_PAD src0_sel:WORD_1 src1_sel:DWORD
	v_lshrrev_b32_e32 v26, 16, v29
	v_cmp_ne_u16_e64 s[2:3], 0, v37
	v_mov_b32_e32 v27, 0
	v_mov_b32_e32 v30, 0
	s_and_saveexec_b64 s[10:11], s[2:3]
	s_cbranch_execz .LBB674_298
; %bb.293:
	s_movk_i32 s2, 0x80
	v_cmp_ne_u16_e64 s[2:3], s2, v37
	v_mov_b32_e32 v30, 0xffff8000
	s_and_saveexec_b64 s[20:21], s[2:3]
	s_cbranch_execz .LBB674_297
; %bb.294:
	v_bfe_u32 v37, v29, 16, 7
	s_movk_i32 s2, 0x7f
	v_cmp_ne_u32_e64 s[2:3], s2, v37
	v_mov_b32_e32 v30, 0x7f80
	s_and_saveexec_b64 s[22:23], s[2:3]
	s_cbranch_execz .LBB674_296
; %bb.295:
	v_and_b32_e32 v30, 7, v26
	v_ffbh_u32_e32 v38, v30
	v_min_u32_e32 v41, 32, v38
	v_subrev_u32_e32 v38, 28, v41
	v_lshlrev_b64 v[38:39], v38, v[26:27]
	v_lshrrev_b32_e32 v40, 3, v37
	v_sub_u32_e32 v26, 29, v41
	v_and_b32_e32 v38, 7, v38
	v_cmp_gt_u32_e64 s[2:3], 8, v37
	v_mov_b32_e32 v37, 24
	v_cndmask_b32_e64 v26, v40, v26, s[2:3]
	v_cndmask_b32_e64 v30, v30, v38, s[2:3]
	v_lshlrev_b32_sdwa v37, v37, v29 dst_sel:DWORD dst_unused:UNUSED_PAD src0_sel:DWORD src1_sel:WORD_1
	v_bfrev_b32_e32 v38, 60
	v_lshlrev_b32_e32 v30, 20, v30
	v_and_b32_e32 v37, 0x80000000, v37
	v_lshl_add_u32 v26, v26, 23, v38
	v_or3_b32 v26, v37, v26, v30
	v_lshrrev_b32_e32 v30, 16, v26
.LBB674_296:
	s_or_b64 exec, exec, s[22:23]
.LBB674_297:
	s_or_b64 exec, exec, s[20:21]
.LBB674_298:
	s_or_b64 exec, exec, s[10:11]
	s_mov_b32 s2, -1
	s_mov_b32 s3, 0xffffff
	v_cmp_lt_u64_e64 s[2:3], s[2:3], v[28:29]
	s_and_saveexec_b64 s[10:11], s[2:3]
	s_cbranch_execz .LBB674_304
; %bb.299:
	v_lshrrev_b32_e32 v26, 24, v29
	s_movk_i32 s2, 0x80
	v_cmp_ne_u32_e64 s[2:3], s2, v26
	v_mov_b32_e32 v27, 0xffff8000
	s_and_saveexec_b64 s[20:21], s[2:3]
	s_cbranch_execz .LBB674_303
; %bb.300:
	v_bfe_u32 v28, v29, 24, 7
	s_movk_i32 s2, 0x7f
	v_cmp_ne_u32_e64 s[2:3], s2, v28
	v_mov_b32_e32 v27, 0x7f80
	s_and_saveexec_b64 s[22:23], s[2:3]
	s_cbranch_execz .LBB674_302
; %bb.301:
	v_and_b32_e32 v27, 7, v26
	v_ffbh_u32_e32 v37, v27
	v_min_u32_e32 v37, 32, v37
	v_subrev_u32_e32 v38, 28, v37
	v_lshlrev_b64 v[38:39], v38, v[26:27]
	v_lshrrev_b32_e32 v29, 3, v28
	v_sub_u32_e32 v37, 29, v37
	v_and_b32_e32 v38, 7, v38
	v_cmp_gt_u32_e64 s[2:3], 8, v28
	v_cndmask_b32_e64 v28, v29, v37, s[2:3]
	v_cndmask_b32_e64 v27, v27, v38, s[2:3]
	v_lshlrev_b32_e32 v26, 24, v26
	v_bfrev_b32_e32 v29, 60
	v_lshlrev_b32_e32 v27, 20, v27
	v_and_b32_e32 v26, 0x80000000, v26
	v_lshl_add_u32 v28, v28, 23, v29
	v_or3_b32 v26, v26, v28, v27
	v_lshrrev_b32_e32 v27, 16, v26
.LBB674_302:
	s_or_b64 exec, exec, s[22:23]
.LBB674_303:
	s_or_b64 exec, exec, s[20:21]
.LBB674_304:
	s_or_b64 exec, exec, s[10:11]
	s_mov_b32 s2, 0x5040100
	v_perm_b32 v29, v34, v33, s2
	v_perm_b32 v28, v31, v32, s2
	;; [unrolled: 1-line block ×4, first 2 shown]
	v_mfma_f32_4x4x4bf16_1k a[0:3], v[18:19], v[28:29], a[0:3] cbsz:4 abid:5
	v_mov_b32_e32 v29, 0
	v_mfma_f32_4x4x4bf16_1k a[0:3], v[20:21], v[26:27], a[0:3] cbsz:4 abid:5
	s_waitcnt vmcnt(4)
	v_cmp_ne_u16_sdwa s[2:3], v22, v29 src0_sel:BYTE_0 src1_sel:DWORD
	v_mov_b32_e32 v30, 0
	s_and_saveexec_b64 s[10:11], s[2:3]
	s_cbranch_execz .LBB674_310
; %bb.305:
	s_movk_i32 s2, 0x80
	v_cmp_ne_u16_sdwa s[2:3], v22, s2 src0_sel:BYTE_0 src1_sel:DWORD
	v_mov_b32_e32 v30, 0xffff8000
	s_and_saveexec_b64 s[20:21], s[2:3]
	s_cbranch_execz .LBB674_309
; %bb.306:
	s_movk_i32 s2, 0x7f
	v_and_b32_e32 v26, 0x7f, v22
	v_cmp_ne_u32_e64 s[2:3], s2, v26
	v_mov_b32_e32 v30, 0x7f80
	s_and_saveexec_b64 s[22:23], s[2:3]
	s_cbranch_execz .LBB674_308
; %bb.307:
	v_and_b32_e32 v27, 7, v22
	v_ffbh_u32_e32 v27, v27
	v_min_u32_e32 v27, 32, v27
	v_subrev_u32_e32 v30, 28, v27
	v_cmp_gt_u32_e64 s[2:3], 8, v26
	v_lshrrev_b32_e32 v28, 3, v26
	v_sub_u32_e32 v27, 29, v27
	v_cndmask_b32_e64 v26, 0, v30, s[2:3]
	v_cndmask_b32_e64 v28, v28, v27, s[2:3]
	v_lshlrev_b64 v[26:27], v26, v[22:23]
	v_lshlrev_b32_e32 v26, 20, v26
	v_lshlrev_b32_e32 v27, 24, v22
	v_bfrev_b32_e32 v30, 60
	v_and_b32_e32 v26, 0x700000, v26
	v_and_b32_e32 v27, 0x80000000, v27
	v_lshl_add_u32 v28, v28, 23, v30
	v_or3_b32 v26, v27, v28, v26
	v_lshrrev_b32_e32 v30, 16, v26
.LBB674_308:
	s_or_b64 exec, exec, s[22:23]
.LBB674_309:
	s_or_b64 exec, exec, s[20:21]
.LBB674_310:
	s_or_b64 exec, exec, s[10:11]
	v_lshrrev_b16_e32 v26, 8, v22
	v_cmp_ne_u16_e64 s[2:3], 0, v26
	s_and_saveexec_b64 s[10:11], s[2:3]
	s_cbranch_execz .LBB674_316
; %bb.311:
	s_movk_i32 s2, 0x80
	v_cmp_ne_u16_e64 s[2:3], s2, v26
	v_mov_b32_e32 v29, 0xffff8000
	s_and_saveexec_b64 s[20:21], s[2:3]
	s_cbranch_execz .LBB674_315
; %bb.312:
	s_movk_i32 s2, 0x7f
	v_and_b32_e32 v27, 0x7f, v26
	v_cmp_ne_u32_e64 s[2:3], s2, v27
	v_mov_b32_e32 v29, 0x7f80
	s_and_saveexec_b64 s[22:23], s[2:3]
	s_cbranch_execz .LBB674_314
; %bb.313:
	v_and_b32_e32 v31, 7, v26
	v_ffbh_u32_e32 v28, v31
	v_min_u32_e32 v33, 32, v28
	v_subrev_u32_e32 v28, 28, v33
	v_lshlrev_b64 v[28:29], v28, v[26:27]
	v_lshrrev_b32_e32 v32, 3, v27
	v_sub_u32_e32 v26, 29, v33
	v_and_b32_e32 v28, 7, v28
	v_cmp_gt_u32_e64 s[2:3], 8, v27
	v_cndmask_b32_e64 v26, v32, v26, s[2:3]
	v_cndmask_b32_e64 v27, v31, v28, s[2:3]
	v_lshlrev_b32_e32 v28, 16, v22
	v_bfrev_b32_e32 v29, 60
	v_lshlrev_b32_e32 v27, 20, v27
	v_and_b32_e32 v28, 0x80000000, v28
	v_lshl_add_u32 v26, v26, 23, v29
	v_or3_b32 v26, v28, v26, v27
	v_lshrrev_b32_e32 v29, 16, v26
.LBB674_314:
	s_or_b64 exec, exec, s[22:23]
.LBB674_315:
	s_or_b64 exec, exec, s[20:21]
.LBB674_316:
	s_or_b64 exec, exec, s[10:11]
	s_movk_i32 s2, 0xff
	v_and_b32_sdwa v28, v22, s2 dst_sel:DWORD dst_unused:UNUSED_PAD src0_sel:WORD_1 src1_sel:DWORD
	v_lshrrev_b32_e32 v26, 16, v22
	v_cmp_ne_u16_e64 s[2:3], 0, v28
	v_mov_b32_e32 v27, 0
	v_mov_b32_e32 v31, 0
	s_and_saveexec_b64 s[10:11], s[2:3]
	s_cbranch_execz .LBB674_322
; %bb.317:
	s_movk_i32 s2, 0x80
	v_cmp_ne_u16_e64 s[2:3], s2, v28
	v_mov_b32_e32 v31, 0xffff8000
	s_and_saveexec_b64 s[20:21], s[2:3]
	s_cbranch_execz .LBB674_321
; %bb.318:
	v_bfe_u32 v28, v22, 16, 7
	s_movk_i32 s2, 0x7f
	v_cmp_ne_u32_e64 s[2:3], s2, v28
	v_mov_b32_e32 v31, 0x7f80
	s_and_saveexec_b64 s[22:23], s[2:3]
	s_cbranch_execz .LBB674_320
; %bb.319:
	v_and_b32_e32 v31, 7, v26
	v_ffbh_u32_e32 v32, v31
	v_min_u32_e32 v35, 32, v32
	v_subrev_u32_e32 v32, 28, v35
	v_lshlrev_b64 v[32:33], v32, v[26:27]
	v_and_b32_e32 v32, 7, v32
	v_cmp_gt_u32_e64 s[2:3], 8, v28
	v_lshrrev_b32_e32 v34, 3, v28
	v_sub_u32_e32 v26, 29, v35
	v_cndmask_b32_e64 v28, v31, v32, s[2:3]
	v_mov_b32_e32 v31, 24
	v_cndmask_b32_e64 v26, v34, v26, s[2:3]
	v_lshlrev_b32_sdwa v31, v31, v22 dst_sel:DWORD dst_unused:UNUSED_PAD src0_sel:DWORD src1_sel:WORD_1
	v_bfrev_b32_e32 v32, 60
	v_lshlrev_b32_e32 v28, 20, v28
	v_and_b32_e32 v31, 0x80000000, v31
	v_lshl_add_u32 v26, v26, 23, v32
	v_or3_b32 v26, v31, v26, v28
	v_lshrrev_b32_e32 v31, 16, v26
.LBB674_320:
	s_or_b64 exec, exec, s[22:23]
.LBB674_321:
	s_or_b64 exec, exec, s[20:21]
.LBB674_322:
	s_or_b64 exec, exec, s[10:11]
	s_mov_b32 s2, 0xffffff
	v_cmp_lt_u32_e64 s[2:3], s2, v22
	v_mov_b32_e32 v32, 0
	s_and_saveexec_b64 s[10:11], s[2:3]
	s_cbranch_execz .LBB674_328
; %bb.323:
	v_lshrrev_b32_e32 v26, 24, v22
	s_movk_i32 s2, 0x80
	v_cmp_ne_u32_e64 s[2:3], s2, v26
	v_mov_b32_e32 v32, 0xffff8000
	s_and_saveexec_b64 s[20:21], s[2:3]
	s_cbranch_execz .LBB674_327
; %bb.324:
	v_bfe_u32 v28, v22, 24, 7
	s_movk_i32 s2, 0x7f
	v_cmp_ne_u32_e64 s[2:3], s2, v28
	v_mov_b32_e32 v32, 0x7f80
	s_and_saveexec_b64 s[22:23], s[2:3]
	s_cbranch_execz .LBB674_326
; %bb.325:
	v_and_b32_e32 v34, 7, v26
	v_ffbh_u32_e32 v32, v34
	v_min_u32_e32 v36, 32, v32
	v_subrev_u32_e32 v32, 28, v36
	v_lshlrev_b64 v[32:33], v32, v[26:27]
	v_lshrrev_b32_e32 v35, 3, v28
	v_sub_u32_e32 v33, 29, v36
	v_and_b32_e32 v32, 7, v32
	v_cmp_gt_u32_e64 s[2:3], 8, v28
	v_cndmask_b32_e64 v28, v35, v33, s[2:3]
	v_cndmask_b32_e64 v32, v34, v32, s[2:3]
	v_lshlrev_b32_e32 v26, 24, v26
	v_bfrev_b32_e32 v33, 60
	v_lshlrev_b32_e32 v32, 20, v32
	v_and_b32_e32 v26, 0x80000000, v26
	v_lshl_add_u32 v28, v28, 23, v33
	v_or3_b32 v26, v26, v28, v32
	v_lshrrev_b32_e32 v32, 16, v26
.LBB674_326:
	s_or_b64 exec, exec, s[22:23]
.LBB674_327:
	s_or_b64 exec, exec, s[20:21]
.LBB674_328:
	s_or_b64 exec, exec, s[10:11]
	v_mov_b32_e32 v33, 0
	v_mov_b32_e32 v26, v23
	v_cmp_ne_u16_sdwa s[2:3], v23, v33 src0_sel:BYTE_0 src1_sel:DWORD
	v_mov_b32_e32 v34, 0
	s_and_saveexec_b64 s[10:11], s[2:3]
	s_cbranch_execz .LBB674_334
; %bb.329:
	s_movk_i32 s2, 0x80
	v_cmp_ne_u16_sdwa s[2:3], v23, s2 src0_sel:BYTE_0 src1_sel:DWORD
	v_mov_b32_e32 v34, 0xffff8000
	s_and_saveexec_b64 s[20:21], s[2:3]
	s_cbranch_execz .LBB674_333
; %bb.330:
	s_movk_i32 s2, 0x7f
	v_and_b32_e32 v28, 0x7f, v23
	v_cmp_ne_u32_e64 s[2:3], s2, v28
	v_mov_b32_e32 v34, 0x7f80
	s_and_saveexec_b64 s[22:23], s[2:3]
	s_cbranch_execz .LBB674_332
; %bb.331:
	v_and_b32_e32 v34, 7, v23
	v_ffbh_u32_e32 v34, v34
	v_min_u32_e32 v34, 32, v34
	v_lshrrev_b32_e32 v35, 3, v28
	v_subrev_u32_e32 v36, 28, v34
	v_sub_u32_e32 v34, 29, v34
	v_cmp_gt_u32_e64 s[2:3], 8, v28
	v_cndmask_b32_e64 v28, v35, v34, s[2:3]
	v_cndmask_b32_e64 v34, 0, v36, s[2:3]
	v_lshlrev_b64 v[34:35], v34, v[26:27]
	v_lshlrev_b32_e32 v27, 20, v34
	v_lshlrev_b32_e32 v34, 24, v26
	v_bfrev_b32_e32 v35, 60
	v_and_b32_e32 v27, 0x700000, v27
	v_and_b32_e32 v34, 0x80000000, v34
	v_lshl_add_u32 v28, v28, 23, v35
	v_or3_b32 v27, v34, v28, v27
	v_lshrrev_b32_e32 v34, 16, v27
.LBB674_332:
	s_or_b64 exec, exec, s[22:23]
.LBB674_333:
	s_or_b64 exec, exec, s[20:21]
.LBB674_334:
	s_or_b64 exec, exec, s[10:11]
	v_lshrrev_b16_e32 v28, 8, v26
	v_cmp_ne_u16_e64 s[2:3], 0, v28
	s_and_saveexec_b64 s[10:11], s[2:3]
	s_cbranch_execz .LBB674_340
; %bb.335:
	s_movk_i32 s2, 0x80
	v_cmp_ne_u16_e64 s[2:3], s2, v28
	v_mov_b32_e32 v33, 0xffff8000
	s_and_saveexec_b64 s[20:21], s[2:3]
	s_cbranch_execz .LBB674_339
; %bb.336:
	s_movk_i32 s2, 0x7f
	v_and_b32_e32 v27, 0x7f, v28
	v_cmp_ne_u32_e64 s[2:3], s2, v27
	v_mov_b32_e32 v33, 0x7f80
	s_and_saveexec_b64 s[22:23], s[2:3]
	s_cbranch_execz .LBB674_338
; %bb.337:
	v_and_b32_e32 v33, 7, v28
	v_ffbh_u32_e32 v36, v33
	v_min_u32_e32 v38, 32, v36
	v_subrev_u32_e32 v36, 28, v38
	v_lshlrev_b64 v[36:37], v36, v[28:29]
	v_lshrrev_b32_e32 v35, 3, v27
	v_sub_u32_e32 v28, 29, v38
	v_and_b32_e32 v36, 7, v36
	v_cmp_gt_u32_e64 s[2:3], 8, v27
	v_cndmask_b32_e64 v27, v35, v28, s[2:3]
	v_cndmask_b32_e64 v28, v33, v36, s[2:3]
	v_lshlrev_b32_e32 v26, 16, v26
	v_bfrev_b32_e32 v33, 60
	v_lshlrev_b32_e32 v28, 20, v28
	v_and_b32_e32 v26, 0x80000000, v26
	v_lshl_add_u32 v27, v27, 23, v33
	v_or3_b32 v26, v26, v27, v28
	v_lshrrev_b32_e32 v33, 16, v26
.LBB674_338:
	s_or_b64 exec, exec, s[22:23]
.LBB674_339:
	s_or_b64 exec, exec, s[20:21]
.LBB674_340:
	s_or_b64 exec, exec, s[10:11]
	s_movk_i32 s2, 0xff
	v_and_b32_sdwa v35, v23, s2 dst_sel:DWORD dst_unused:UNUSED_PAD src0_sel:WORD_1 src1_sel:DWORD
	v_lshrrev_b32_e32 v26, 16, v23
	v_cmp_ne_u16_e64 s[2:3], 0, v35
	v_mov_b32_e32 v27, 0
	v_mov_b32_e32 v28, 0
	s_and_saveexec_b64 s[10:11], s[2:3]
	s_cbranch_execz .LBB674_346
; %bb.341:
	s_movk_i32 s2, 0x80
	v_cmp_ne_u16_e64 s[2:3], s2, v35
	v_mov_b32_e32 v28, 0xffff8000
	s_and_saveexec_b64 s[20:21], s[2:3]
	s_cbranch_execz .LBB674_345
; %bb.342:
	v_bfe_u32 v35, v23, 16, 7
	s_movk_i32 s2, 0x7f
	v_cmp_ne_u32_e64 s[2:3], s2, v35
	v_mov_b32_e32 v28, 0x7f80
	s_and_saveexec_b64 s[22:23], s[2:3]
	s_cbranch_execz .LBB674_344
; %bb.343:
	v_and_b32_e32 v28, 7, v26
	v_ffbh_u32_e32 v36, v28
	v_min_u32_e32 v39, 32, v36
	v_subrev_u32_e32 v36, 28, v39
	v_lshlrev_b64 v[36:37], v36, v[26:27]
	v_lshrrev_b32_e32 v38, 3, v35
	v_sub_u32_e32 v26, 29, v39
	v_and_b32_e32 v36, 7, v36
	v_cmp_gt_u32_e64 s[2:3], 8, v35
	v_mov_b32_e32 v35, 24
	v_cndmask_b32_e64 v26, v38, v26, s[2:3]
	v_cndmask_b32_e64 v28, v28, v36, s[2:3]
	v_lshlrev_b32_sdwa v35, v35, v23 dst_sel:DWORD dst_unused:UNUSED_PAD src0_sel:DWORD src1_sel:WORD_1
	v_bfrev_b32_e32 v36, 60
	v_lshlrev_b32_e32 v28, 20, v28
	v_and_b32_e32 v35, 0x80000000, v35
	v_lshl_add_u32 v26, v26, 23, v36
	v_or3_b32 v26, v35, v26, v28
	v_lshrrev_b32_e32 v28, 16, v26
.LBB674_344:
	s_or_b64 exec, exec, s[22:23]
.LBB674_345:
	s_or_b64 exec, exec, s[20:21]
.LBB674_346:
	s_or_b64 exec, exec, s[10:11]
	s_mov_b32 s2, -1
	s_mov_b32 s3, 0xffffff
	v_cmp_lt_u64_e64 s[2:3], s[2:3], v[22:23]
	s_and_saveexec_b64 s[10:11], s[2:3]
	s_cbranch_execz .LBB674_352
; %bb.347:
	v_lshrrev_b32_e32 v22, 24, v23
	s_movk_i32 s2, 0x80
	v_cmp_ne_u32_e64 s[2:3], s2, v22
	v_mov_b32_e32 v27, 0xffff8000
	s_and_saveexec_b64 s[20:21], s[2:3]
	s_cbranch_execz .LBB674_351
; %bb.348:
	v_bfe_u32 v23, v23, 24, 7
	s_movk_i32 s2, 0x7f
	v_cmp_ne_u32_e64 s[2:3], s2, v23
	v_mov_b32_e32 v27, 0x7f80
	s_and_saveexec_b64 s[22:23], s[2:3]
	s_cbranch_execz .LBB674_350
; %bb.349:
	v_and_b32_e32 v35, 7, v22
	v_ffbh_u32_e32 v26, v35
	v_min_u32_e32 v37, 32, v26
	v_subrev_u32_e32 v26, 28, v37
	v_lshlrev_b64 v[26:27], v26, v[22:23]
	v_lshrrev_b32_e32 v36, 3, v23
	v_sub_u32_e32 v27, 29, v37
	v_and_b32_e32 v26, 7, v26
	v_cmp_gt_u32_e64 s[2:3], 8, v23
	v_cndmask_b32_e64 v23, v36, v27, s[2:3]
	v_cndmask_b32_e64 v26, v35, v26, s[2:3]
	v_lshlrev_b32_e32 v22, 24, v22
	v_bfrev_b32_e32 v27, 60
	v_lshlrev_b32_e32 v26, 20, v26
	v_and_b32_e32 v22, 0x80000000, v22
	v_lshl_add_u32 v23, v23, 23, v27
	v_or3_b32 v22, v22, v23, v26
	v_lshrrev_b32_e32 v27, 16, v22
.LBB674_350:
	s_or_b64 exec, exec, s[22:23]
.LBB674_351:
	s_or_b64 exec, exec, s[20:21]
.LBB674_352:
	s_or_b64 exec, exec, s[10:11]
	s_mov_b32 s2, 0x5040100
	v_perm_b32 v23, v32, v31, s2
	v_perm_b32 v22, v29, v30, s2
	;; [unrolled: 1-line block ×4, first 2 shown]
	v_mfma_f32_4x4x4bf16_1k a[0:3], v[18:19], v[22:23], a[0:3] cbsz:4 abid:6
	v_mov_b32_e32 v28, 0
	v_mfma_f32_4x4x4bf16_1k a[0:3], v[20:21], v[26:27], a[0:3] cbsz:4 abid:6
	v_mov_b32_e32 v27, 0
	v_cmp_ne_u16_sdwa s[2:3], v24, v27 src0_sel:BYTE_0 src1_sel:DWORD
	s_and_saveexec_b64 s[10:11], s[2:3]
	s_cbranch_execz .LBB674_358
; %bb.353:
	s_movk_i32 s2, 0x80
	v_cmp_ne_u16_sdwa s[2:3], v24, s2 src0_sel:BYTE_0 src1_sel:DWORD
	v_mov_b32_e32 v28, 0xffff8000
	s_and_saveexec_b64 s[20:21], s[2:3]
	s_cbranch_execz .LBB674_357
; %bb.354:
	s_movk_i32 s2, 0x7f
	v_and_b32_e32 v22, 0x7f, v24
	v_cmp_ne_u32_e64 s[2:3], s2, v22
	v_mov_b32_e32 v28, 0x7f80
	s_and_saveexec_b64 s[22:23], s[2:3]
	s_cbranch_execz .LBB674_356
; %bb.355:
	v_and_b32_e32 v23, 7, v24
	v_ffbh_u32_e32 v23, v23
	v_min_u32_e32 v23, 32, v23
	v_subrev_u32_e32 v28, 28, v23
	v_cmp_gt_u32_e64 s[2:3], 8, v22
	v_lshrrev_b32_e32 v26, 3, v22
	v_sub_u32_e32 v23, 29, v23
	v_cndmask_b32_e64 v22, 0, v28, s[2:3]
	v_cndmask_b32_e64 v26, v26, v23, s[2:3]
	v_lshlrev_b64 v[22:23], v22, v[24:25]
	v_lshlrev_b32_e32 v22, 20, v22
	v_lshlrev_b32_e32 v23, 24, v24
	v_bfrev_b32_e32 v28, 60
	v_and_b32_e32 v22, 0x700000, v22
	v_and_b32_e32 v23, 0x80000000, v23
	v_lshl_add_u32 v26, v26, 23, v28
	v_or3_b32 v22, v23, v26, v22
	v_lshrrev_b32_e32 v28, 16, v22
.LBB674_356:
	s_or_b64 exec, exec, s[22:23]
.LBB674_357:
	s_or_b64 exec, exec, s[20:21]
.LBB674_358:
	s_or_b64 exec, exec, s[10:11]
	v_lshrrev_b16_e32 v22, 8, v24
	v_cmp_ne_u16_e64 s[2:3], 0, v22
	s_and_saveexec_b64 s[10:11], s[2:3]
	s_cbranch_execz .LBB674_364
; %bb.359:
	s_movk_i32 s2, 0x80
	v_cmp_ne_u16_e64 s[2:3], s2, v22
	v_mov_b32_e32 v27, 0xffff8000
	s_and_saveexec_b64 s[20:21], s[2:3]
	s_cbranch_execz .LBB674_363
; %bb.360:
	s_movk_i32 s2, 0x7f
	v_and_b32_e32 v23, 0x7f, v22
	v_cmp_ne_u32_e64 s[2:3], s2, v23
	v_mov_b32_e32 v27, 0x7f80
	s_and_saveexec_b64 s[22:23], s[2:3]
	s_cbranch_execz .LBB674_362
; %bb.361:
	v_and_b32_e32 v29, 7, v22
	v_ffbh_u32_e32 v26, v29
	v_min_u32_e32 v31, 32, v26
	v_subrev_u32_e32 v26, 28, v31
	v_lshlrev_b64 v[26:27], v26, v[22:23]
	v_lshrrev_b32_e32 v30, 3, v23
	v_sub_u32_e32 v22, 29, v31
	v_and_b32_e32 v26, 7, v26
	v_cmp_gt_u32_e64 s[2:3], 8, v23
	v_cndmask_b32_e64 v22, v30, v22, s[2:3]
	v_cndmask_b32_e64 v23, v29, v26, s[2:3]
	v_lshlrev_b32_e32 v26, 16, v24
	v_bfrev_b32_e32 v27, 60
	v_lshlrev_b32_e32 v23, 20, v23
	v_and_b32_e32 v26, 0x80000000, v26
	v_lshl_add_u32 v22, v22, 23, v27
	v_or3_b32 v22, v26, v22, v23
	v_lshrrev_b32_e32 v27, 16, v22
.LBB674_362:
	s_or_b64 exec, exec, s[22:23]
.LBB674_363:
	s_or_b64 exec, exec, s[20:21]
.LBB674_364:
	s_or_b64 exec, exec, s[10:11]
	s_movk_i32 s2, 0xff
	v_and_b32_sdwa v26, v24, s2 dst_sel:DWORD dst_unused:UNUSED_PAD src0_sel:WORD_1 src1_sel:DWORD
	v_lshrrev_b32_e32 v22, 16, v24
	v_cmp_ne_u16_e64 s[2:3], 0, v26
	v_mov_b32_e32 v23, 0
	v_mov_b32_e32 v29, 0
	s_and_saveexec_b64 s[10:11], s[2:3]
	s_cbranch_execz .LBB674_370
; %bb.365:
	s_movk_i32 s2, 0x80
	v_cmp_ne_u16_e64 s[2:3], s2, v26
	v_mov_b32_e32 v29, 0xffff8000
	s_and_saveexec_b64 s[20:21], s[2:3]
	s_cbranch_execz .LBB674_369
; %bb.366:
	v_bfe_u32 v26, v24, 16, 7
	s_movk_i32 s2, 0x7f
	v_cmp_ne_u32_e64 s[2:3], s2, v26
	v_mov_b32_e32 v29, 0x7f80
	s_and_saveexec_b64 s[22:23], s[2:3]
	s_cbranch_execz .LBB674_368
; %bb.367:
	v_and_b32_e32 v29, 7, v22
	v_ffbh_u32_e32 v30, v29
	v_min_u32_e32 v33, 32, v30
	v_subrev_u32_e32 v30, 28, v33
	v_lshlrev_b64 v[30:31], v30, v[22:23]
	v_and_b32_e32 v30, 7, v30
	v_cmp_gt_u32_e64 s[2:3], 8, v26
	v_lshrrev_b32_e32 v32, 3, v26
	v_sub_u32_e32 v22, 29, v33
	v_cndmask_b32_e64 v26, v29, v30, s[2:3]
	v_mov_b32_e32 v29, 24
	v_cndmask_b32_e64 v22, v32, v22, s[2:3]
	v_lshlrev_b32_sdwa v29, v29, v24 dst_sel:DWORD dst_unused:UNUSED_PAD src0_sel:DWORD src1_sel:WORD_1
	v_bfrev_b32_e32 v30, 60
	v_lshlrev_b32_e32 v26, 20, v26
	v_and_b32_e32 v29, 0x80000000, v29
	v_lshl_add_u32 v22, v22, 23, v30
	v_or3_b32 v22, v29, v22, v26
	v_lshrrev_b32_e32 v29, 16, v22
.LBB674_368:
	s_or_b64 exec, exec, s[22:23]
.LBB674_369:
	s_or_b64 exec, exec, s[20:21]
.LBB674_370:
	s_or_b64 exec, exec, s[10:11]
	s_mov_b32 s2, 0xffffff
	v_cmp_lt_u32_e64 s[2:3], s2, v24
	v_mov_b32_e32 v30, 0
	s_and_saveexec_b64 s[10:11], s[2:3]
	s_cbranch_execz .LBB674_376
; %bb.371:
	v_lshrrev_b32_e32 v22, 24, v24
	s_movk_i32 s2, 0x80
	v_cmp_ne_u32_e64 s[2:3], s2, v22
	v_mov_b32_e32 v30, 0xffff8000
	s_and_saveexec_b64 s[20:21], s[2:3]
	s_cbranch_execz .LBB674_375
; %bb.372:
	v_bfe_u32 v26, v24, 24, 7
	s_movk_i32 s2, 0x7f
	v_cmp_ne_u32_e64 s[2:3], s2, v26
	v_mov_b32_e32 v30, 0x7f80
	s_and_saveexec_b64 s[22:23], s[2:3]
	s_cbranch_execz .LBB674_374
; %bb.373:
	v_and_b32_e32 v32, 7, v22
	v_ffbh_u32_e32 v30, v32
	v_min_u32_e32 v34, 32, v30
	v_subrev_u32_e32 v30, 28, v34
	v_lshlrev_b64 v[30:31], v30, v[22:23]
	v_lshrrev_b32_e32 v33, 3, v26
	v_sub_u32_e32 v31, 29, v34
	v_and_b32_e32 v30, 7, v30
	v_cmp_gt_u32_e64 s[2:3], 8, v26
	v_cndmask_b32_e64 v26, v33, v31, s[2:3]
	v_cndmask_b32_e64 v30, v32, v30, s[2:3]
	v_lshlrev_b32_e32 v22, 24, v22
	v_bfrev_b32_e32 v31, 60
	v_lshlrev_b32_e32 v30, 20, v30
	v_and_b32_e32 v22, 0x80000000, v22
	v_lshl_add_u32 v26, v26, 23, v31
	v_or3_b32 v22, v22, v26, v30
	v_lshrrev_b32_e32 v30, 16, v22
.LBB674_374:
	s_or_b64 exec, exec, s[22:23]
.LBB674_375:
	s_or_b64 exec, exec, s[20:21]
.LBB674_376:
	s_or_b64 exec, exec, s[10:11]
	v_mov_b32_e32 v31, 0
	v_mov_b32_e32 v22, v25
	v_cmp_ne_u16_sdwa s[2:3], v25, v31 src0_sel:BYTE_0 src1_sel:DWORD
	v_mov_b32_e32 v32, 0
	s_and_saveexec_b64 s[10:11], s[2:3]
	s_cbranch_execz .LBB674_382
; %bb.377:
	s_movk_i32 s2, 0x80
	v_cmp_ne_u16_sdwa s[2:3], v25, s2 src0_sel:BYTE_0 src1_sel:DWORD
	v_mov_b32_e32 v32, 0xffff8000
	s_and_saveexec_b64 s[20:21], s[2:3]
	s_cbranch_execz .LBB674_381
; %bb.378:
	s_movk_i32 s2, 0x7f
	v_and_b32_e32 v26, 0x7f, v25
	v_cmp_ne_u32_e64 s[2:3], s2, v26
	v_mov_b32_e32 v32, 0x7f80
	s_and_saveexec_b64 s[22:23], s[2:3]
	s_cbranch_execz .LBB674_380
; %bb.379:
	v_and_b32_e32 v32, 7, v25
	v_ffbh_u32_e32 v32, v32
	v_min_u32_e32 v32, 32, v32
	v_lshrrev_b32_e32 v33, 3, v26
	v_subrev_u32_e32 v34, 28, v32
	v_sub_u32_e32 v32, 29, v32
	v_cmp_gt_u32_e64 s[2:3], 8, v26
	v_cndmask_b32_e64 v26, v33, v32, s[2:3]
	v_cndmask_b32_e64 v32, 0, v34, s[2:3]
	v_lshlrev_b64 v[32:33], v32, v[22:23]
	v_lshlrev_b32_e32 v23, 20, v32
	v_lshlrev_b32_e32 v32, 24, v22
	v_bfrev_b32_e32 v33, 60
	v_and_b32_e32 v23, 0x700000, v23
	v_and_b32_e32 v32, 0x80000000, v32
	v_lshl_add_u32 v26, v26, 23, v33
	v_or3_b32 v23, v32, v26, v23
	v_lshrrev_b32_e32 v32, 16, v23
.LBB674_380:
	s_or_b64 exec, exec, s[22:23]
.LBB674_381:
	s_or_b64 exec, exec, s[20:21]
.LBB674_382:
	s_or_b64 exec, exec, s[10:11]
	v_lshrrev_b16_e32 v26, 8, v22
	v_cmp_ne_u16_e64 s[2:3], 0, v26
	s_and_saveexec_b64 s[10:11], s[2:3]
	s_cbranch_execz .LBB674_388
; %bb.383:
	s_movk_i32 s2, 0x80
	v_cmp_ne_u16_e64 s[2:3], s2, v26
	v_mov_b32_e32 v31, 0xffff8000
	s_and_saveexec_b64 s[20:21], s[2:3]
	s_cbranch_execz .LBB674_387
; %bb.384:
	s_movk_i32 s2, 0x7f
	v_and_b32_e32 v23, 0x7f, v26
	v_cmp_ne_u32_e64 s[2:3], s2, v23
	v_mov_b32_e32 v31, 0x7f80
	s_and_saveexec_b64 s[22:23], s[2:3]
	s_cbranch_execz .LBB674_386
; %bb.385:
	v_and_b32_e32 v31, 7, v26
	v_ffbh_u32_e32 v34, v31
	v_min_u32_e32 v36, 32, v34
	v_subrev_u32_e32 v34, 28, v36
	v_lshlrev_b64 v[34:35], v34, v[26:27]
	v_lshrrev_b32_e32 v33, 3, v23
	v_sub_u32_e32 v26, 29, v36
	v_and_b32_e32 v34, 7, v34
	v_cmp_gt_u32_e64 s[2:3], 8, v23
	v_cndmask_b32_e64 v23, v33, v26, s[2:3]
	v_cndmask_b32_e64 v26, v31, v34, s[2:3]
	v_lshlrev_b32_e32 v22, 16, v22
	v_bfrev_b32_e32 v31, 60
	v_lshlrev_b32_e32 v26, 20, v26
	v_and_b32_e32 v22, 0x80000000, v22
	v_lshl_add_u32 v23, v23, 23, v31
	v_or3_b32 v22, v22, v23, v26
	v_lshrrev_b32_e32 v31, 16, v22
.LBB674_386:
	s_or_b64 exec, exec, s[22:23]
.LBB674_387:
	s_or_b64 exec, exec, s[20:21]
.LBB674_388:
	s_or_b64 exec, exec, s[10:11]
	s_movk_i32 s2, 0xff
	v_and_b32_sdwa v33, v25, s2 dst_sel:DWORD dst_unused:UNUSED_PAD src0_sel:WORD_1 src1_sel:DWORD
	v_lshrrev_b32_e32 v22, 16, v25
	v_cmp_ne_u16_e64 s[2:3], 0, v33
	v_mov_b32_e32 v23, 0
	v_mov_b32_e32 v26, 0
	s_and_saveexec_b64 s[10:11], s[2:3]
	s_cbranch_execz .LBB674_394
; %bb.389:
	s_movk_i32 s2, 0x80
	v_cmp_ne_u16_e64 s[2:3], s2, v33
	v_mov_b32_e32 v26, 0xffff8000
	s_and_saveexec_b64 s[20:21], s[2:3]
	s_cbranch_execz .LBB674_393
; %bb.390:
	v_bfe_u32 v33, v25, 16, 7
	s_movk_i32 s2, 0x7f
	v_cmp_ne_u32_e64 s[2:3], s2, v33
	v_mov_b32_e32 v26, 0x7f80
	s_and_saveexec_b64 s[22:23], s[2:3]
	s_cbranch_execz .LBB674_392
; %bb.391:
	v_and_b32_e32 v26, 7, v22
	v_ffbh_u32_e32 v34, v26
	v_min_u32_e32 v37, 32, v34
	v_subrev_u32_e32 v34, 28, v37
	v_lshlrev_b64 v[34:35], v34, v[22:23]
	v_lshrrev_b32_e32 v36, 3, v33
	v_sub_u32_e32 v22, 29, v37
	v_and_b32_e32 v34, 7, v34
	v_cmp_gt_u32_e64 s[2:3], 8, v33
	v_mov_b32_e32 v33, 24
	v_cndmask_b32_e64 v22, v36, v22, s[2:3]
	v_cndmask_b32_e64 v26, v26, v34, s[2:3]
	v_lshlrev_b32_sdwa v33, v33, v25 dst_sel:DWORD dst_unused:UNUSED_PAD src0_sel:DWORD src1_sel:WORD_1
	v_bfrev_b32_e32 v34, 60
	v_lshlrev_b32_e32 v26, 20, v26
	v_and_b32_e32 v33, 0x80000000, v33
	v_lshl_add_u32 v22, v22, 23, v34
	v_or3_b32 v22, v33, v22, v26
	v_lshrrev_b32_e32 v26, 16, v22
.LBB674_392:
	s_or_b64 exec, exec, s[22:23]
.LBB674_393:
	s_or_b64 exec, exec, s[20:21]
.LBB674_394:
	s_or_b64 exec, exec, s[10:11]
	s_mov_b32 s2, -1
	s_mov_b32 s3, 0xffffff
	v_cmp_lt_u64_e64 s[2:3], s[2:3], v[24:25]
	s_and_saveexec_b64 s[10:11], s[2:3]
	s_cbranch_execz .LBB674_400
; %bb.395:
	v_lshrrev_b32_e32 v22, 24, v25
	s_movk_i32 s2, 0x80
	v_cmp_ne_u32_e64 s[2:3], s2, v22
	v_mov_b32_e32 v23, 0xffff8000
	s_and_saveexec_b64 s[20:21], s[2:3]
	s_cbranch_execz .LBB674_399
; %bb.396:
	v_bfe_u32 v24, v25, 24, 7
	s_movk_i32 s2, 0x7f
	v_cmp_ne_u32_e64 s[2:3], s2, v24
	v_mov_b32_e32 v23, 0x7f80
	s_and_saveexec_b64 s[22:23], s[2:3]
	s_cbranch_execz .LBB674_398
; %bb.397:
	v_and_b32_e32 v23, 7, v22
	v_ffbh_u32_e32 v33, v23
	v_min_u32_e32 v33, 32, v33
	v_subrev_u32_e32 v34, 28, v33
	v_lshlrev_b64 v[34:35], v34, v[22:23]
	v_lshrrev_b32_e32 v25, 3, v24
	v_sub_u32_e32 v33, 29, v33
	v_and_b32_e32 v34, 7, v34
	v_cmp_gt_u32_e64 s[2:3], 8, v24
	v_cndmask_b32_e64 v24, v25, v33, s[2:3]
	v_cndmask_b32_e64 v23, v23, v34, s[2:3]
	v_lshlrev_b32_e32 v22, 24, v22
	v_bfrev_b32_e32 v25, 60
	v_lshlrev_b32_e32 v23, 20, v23
	v_and_b32_e32 v22, 0x80000000, v22
	v_lshl_add_u32 v24, v24, 23, v25
	v_or3_b32 v22, v22, v24, v23
	v_lshrrev_b32_e32 v23, 16, v22
.LBB674_398:
	s_or_b64 exec, exec, s[22:23]
.LBB674_399:
	s_or_b64 exec, exec, s[20:21]
.LBB674_400:
	s_or_b64 exec, exec, s[10:11]
	s_mov_b32 s3, 0x5040100
	s_load_dword s2, s[4:5], 0x1c
	v_perm_b32 v25, v30, v29, s3
	v_perm_b32 v24, v27, v28, s3
	s_load_dword s4, s[12:13], 0x0
	v_perm_b32 v23, v23, v26, s3
	v_mfma_f32_4x4x4bf16_1k a[0:3], v[18:19], v[24:25], a[0:3] cbsz:4 abid:7
	v_perm_b32 v22, v31, v32, s3
	s_waitcnt lgkmcnt(0)
	v_mov_b32_e32 v18, s2
	v_mul_f32_e32 v18, s4, v18
	v_mfma_f32_4x4x4bf16_1k a[0:3], v[20:21], v[22:23], a[0:3] cbsz:4 abid:7
	v_mov_b32_e32 v25, 0xff7fffff
	s_nop 3
	v_accvgpr_read_b32 v21, a1
	v_accvgpr_read_b32 v20, a0
	v_pk_mul_f32 v[20:21], v[20:21], v[18:19] op_sel_hi:[1,0]
	v_accvgpr_read_b32 v23, a3
	v_accvgpr_read_b32 v22, a2
	v_pk_mul_f32 v[18:19], v[22:23], v[18:19] op_sel_hi:[1,0]
	v_cndmask_b32_e64 v22, 0, 1.0, vcc
	v_cmp_eq_u32_e32 vcc, 1, v43
	s_nop 0
	v_mfma_f32_4x4x1f32 a[0:3], v20, v22, 0
	v_cndmask_b32_e64 v20, 0, 1.0, vcc
	v_cmp_eq_u32_e32 vcc, 2, v43
	s_nop 0
	v_mfma_f32_4x4x1f32 a[0:3], v21, v20, a[0:3]
	;; [unrolled: 4-line block ×3, first 2 shown]
	v_cndmask_b32_e64 v18, 0, 1.0, vcc
	s_nop 1
	v_mfma_f32_4x4x1f32 a[0:3], v19, v18, a[0:3]
	v_and_b32_e32 v18, -4, v44
	v_subrev_u32_e32 v19, s7, v18
	v_add_u32_e32 v20, 1, v19
	v_cvt_f32_i32_e32 v20, v20
	v_add_u32_e32 v21, 2, v19
	v_cvt_f32_i32_e32 v21, v21
	v_accvgpr_read_b32 v22, a0
	v_fma_f32 v20, v45, v20, v22
	v_accvgpr_read_b32 v22, a1
	v_fma_f32 v21, v45, v21, v22
	v_add_u32_e32 v22, 3, v19
	v_cvt_f32_i32_e32 v22, v22
	v_add_u32_e32 v19, 4, v19
	v_max_f32_e32 v24, 0xff7fffff, v20
	v_cmp_gt_i32_e32 vcc, s7, v18
	v_cvt_f32_i32_e32 v19, v19
	v_cndmask_b32_e32 v24, v25, v24, vcc
	v_or_b32_e32 v25, 1, v18
	v_accvgpr_read_b32 v23, a2
	v_max_f32_e32 v26, v24, v21
	v_cmp_gt_i32_e64 s[2:3], s7, v25
	v_fma_f32 v22, v45, v22, v23
	v_cndmask_b32_e64 v24, v24, v26, s[2:3]
	v_or_b32_e32 v18, 2, v18
	v_accvgpr_read_b32 v23, a3
	v_max_f32_e32 v25, v24, v22
	v_cmp_gt_i32_e64 s[4:5], s7, v18
	v_fmac_f32_e32 v23, v45, v19
	v_cndmask_b32_e64 v18, v24, v25, s[4:5]
	v_or_b32_e32 v24, 3, v44
	v_max_f32_e32 v25, v18, v23
	v_cmp_gt_i32_e64 s[10:11], s7, v24
	v_lshlrev_b32_e32 v19, 2, v0
	v_cndmask_b32_e64 v18, v18, v25, s[10:11]
	v_and_or_b32 v19, v19, 48, v43
	;;#ASMSTART
	v_nop
 v_nop
 v_max_f32_dpp v18, v18, v18 row_ror:4
	;;#ASMEND
	v_lshlrev_b32_e32 v24, 2, v19
	;;#ASMSTART
	v_nop
 v_nop
 v_max_f32_dpp v18, v18, v18 row_ror:8
	;;#ASMEND
	ds_bpermute_b32 v18, v24, v18
	s_waitcnt lgkmcnt(0)
	;;#ASMSTART
	v_nop
 v_nop
 v_max_f32_dpp v18, v18, v18 row_ror:4
	;;#ASMEND
	;;#ASMSTART
	v_nop
 v_nop
 v_max_f32_dpp v25, v18, v18 row_ror:8
	;;#ASMEND
	v_sub_f32_e32 v18, v20, v25
	v_mul_f32_e32 v18, 0x3fb8aa3b, v18
	v_sub_f32_e32 v19, v21, v25
	v_exp_f32_e32 v18, v18
	v_mul_f32_e32 v19, 0x3fb8aa3b, v19
	v_sub_f32_e32 v21, v22, v25
	v_exp_f32_e32 v19, v19
	;; [unrolled: 3-line block ×3, first 2 shown]
	v_mul_f32_e32 v22, 0x3fb8aa3b, v22
	v_exp_f32_e32 v22, v22
	v_cndmask_b32_e32 v18, 0, v18, vcc
	v_add_f32_e32 v20, 0, v18
	v_cndmask_b32_e64 v19, 0, v19, s[2:3]
	v_add_f32_e32 v23, v20, v19
	v_cndmask_b32_e64 v20, 0, v21, s[4:5]
	;; [unrolled: 2-line block ×3, first 2 shown]
	v_add_f32_e32 v22, v23, v21
	;;#ASMSTART
	v_nop
 v_nop
 v_add_f32_dpp v22, v22, v22 row_ror:4
	;;#ASMEND
	;;#ASMSTART
	v_nop
 v_nop
 v_add_f32_dpp v22, v22, v22 row_ror:8
	;;#ASMEND
	ds_bpermute_b32 v22, v24, v22
	s_waitcnt lgkmcnt(0)
	;;#ASMSTART
	v_nop
 v_nop
 v_add_f32_dpp v22, v22, v22 row_ror:4
	;;#ASMEND
	v_cmp_gt_u32_e32 vcc, 4, v42
	;;#ASMSTART
	v_nop
 v_nop
 v_add_f32_dpp v22, v22, v22 row_ror:8
	;;#ASMEND
	s_and_saveexec_b64 s[2:3], vcc
	s_cbranch_execz .LBB674_402
; %bb.401:
	v_mul_u32_u24_e32 v23, 20, v1
	v_lshl_add_u32 v23, v43, 2, v23
	v_add_u32_e32 v23, 0x800, v23
	ds_write2_b32 v23, v25, v22 offset0:128 offset1:148
.LBB674_402:
	s_or_b64 exec, exec, s[2:3]
.LBB674_403:
	s_or_b64 exec, exec, s[30:31]
	s_waitcnt lgkmcnt(0)
	s_barrier
	s_load_dword s2, s[28:29], 0x8
	v_lshlrev_b32_e32 v22, 2, v43
	v_add_u32_e32 v22, 0x800, v22
	ds_read2_b32 v[28:29], v22 offset0:128 offset1:133
	ds_read2_b32 v[30:31], v22 offset0:138 offset1:143
	s_mul_i32 s3, s33, s6
	s_waitcnt lgkmcnt(0)
	s_mul_i32 s2, s3, s2
	s_mov_b32 s3, 0xff7fffff
	v_max3_f32 v23, v28, s3, v29
	v_max3_f32 v26, v23, v30, v31
	v_sub_f32_e32 v23, v28, v26
	ds_read2_b32 v[32:33], v22 offset0:148 offset1:153
	v_mul_f32_e32 v23, 0x3fb8aa3b, v23
	v_sub_f32_e32 v27, v29, v26
	v_exp_f32_e32 v24, v23
	v_mul_f32_e32 v27, 0x3fb8aa3b, v27
	ds_read2_b32 v[28:29], v22 offset0:158 offset1:163
	v_sub_f32_e32 v22, v30, v26
	v_exp_f32_e32 v34, v27
	v_mul_f32_e32 v22, 0x3fb8aa3b, v22
	v_sub_f32_e32 v27, v31, v26
	v_exp_f32_e32 v22, v22
	v_mul_f32_e32 v27, 0x3fb8aa3b, v27
	v_exp_f32_e32 v30, v27
	s_waitcnt lgkmcnt(1)
	v_fma_f32 v27, v24, v32, 0
	v_fmac_f32_e32 v27, v34, v33
	s_waitcnt lgkmcnt(0)
	v_fmac_f32_e32 v27, v22, v28
	v_mov_b32_e32 v23, 0
	v_fmac_f32_e32 v27, v30, v29
	s_mov_b32 s3, 0
	v_cmp_eq_u32_e32 vcc, 0, v43
	s_and_saveexec_b64 s[4:5], vcc
	s_cbranch_execz .LBB674_405
; %bb.404:
	s_lshl_b64 s[6:7], s[2:3], 2
	s_add_u32 s9, s16, s6
	s_mov_b32 s25, s3
	s_addc_u32 s12, s17, s7
	s_lshl_b64 s[10:11], s[24:25], 2
	s_add_u32 s9, s9, s10
	s_addc_u32 s12, s12, s11
	s_add_u32 s6, s18, s6
	s_addc_u32 s7, s19, s7
	;; [unrolled: 2-line block ×3, first 2 shown]
	s_mul_i32 s6, s33, s8
	s_mov_b32 s7, s3
	s_lshl_b64 s[6:7], s[6:7], 2
	s_add_u32 s10, s9, s6
	s_addc_u32 s11, s12, s7
	s_add_u32 s6, s13, s6
	s_addc_u32 s7, s16, s7
	global_store_dword v23, v26, s[6:7]
	global_store_dword v23, v27, s[10:11]
.LBB674_405:
	s_or_b64 exec, exec, s[4:5]
	v_mov_b32_e32 v22, 0
	s_and_saveexec_b64 s[4:5], s[0:1]
	s_cbranch_execz .LBB674_791
; %bb.406:
	v_mov_b32_e32 v28, 0
	s_waitcnt vmcnt(3)
	v_cmp_ne_u16_sdwa s[6:7], v14, v28 src0_sel:BYTE_0 src1_sel:DWORD
	v_mov_b32_e32 v29, 0
	s_and_saveexec_b64 s[0:1], s[6:7]
	s_cbranch_execz .LBB674_412
; %bb.407:
	s_movk_i32 s3, 0x80
	v_cmp_ne_u16_sdwa s[10:11], v14, s3 src0_sel:BYTE_0 src1_sel:DWORD
	v_mov_b32_e32 v29, 0xffff8000
	s_and_saveexec_b64 s[6:7], s[10:11]
	s_cbranch_execz .LBB674_411
; %bb.408:
	s_movk_i32 s3, 0x7f
	v_and_b32_e32 v22, 0x7f, v14
	v_cmp_ne_u32_e32 vcc, s3, v22
	v_mov_b32_e32 v29, 0x7f80
	s_and_saveexec_b64 s[10:11], vcc
	s_cbranch_execz .LBB674_410
; %bb.409:
	v_and_b32_e32 v23, 7, v14
	v_ffbh_u32_e32 v23, v23
	v_min_u32_e32 v23, 32, v23
	v_subrev_u32_e32 v29, 28, v23
	v_cmp_gt_u32_e32 vcc, 8, v22
	v_lshrrev_b32_e32 v24, 3, v22
	v_sub_u32_e32 v23, 29, v23
	v_cndmask_b32_e32 v22, 0, v29, vcc
	v_cndmask_b32_e32 v24, v24, v23, vcc
	v_lshlrev_b64 v[22:23], v22, v[14:15]
	v_lshlrev_b32_e32 v22, 20, v22
	v_lshlrev_b32_e32 v23, 24, v14
	v_bfrev_b32_e32 v29, 60
	v_and_b32_e32 v22, 0x700000, v22
	v_and_b32_e32 v23, 0x80000000, v23
	v_lshl_add_u32 v24, v24, 23, v29
	v_or3_b32 v22, v23, v24, v22
	v_lshrrev_b32_e32 v29, 16, v22
.LBB674_410:
	s_or_b64 exec, exec, s[10:11]
.LBB674_411:
	s_or_b64 exec, exec, s[6:7]
.LBB674_412:
	s_or_b64 exec, exec, s[0:1]
	v_lshrrev_b16_e32 v22, 8, v14
	v_cmp_ne_u16_e32 vcc, 0, v22
	s_and_saveexec_b64 s[0:1], vcc
	s_cbranch_execz .LBB674_418
; %bb.413:
	s_movk_i32 s3, 0x80
	v_cmp_ne_u16_e32 vcc, s3, v22
	v_mov_b32_e32 v28, 0xffff8000
	s_and_saveexec_b64 s[6:7], vcc
	s_cbranch_execz .LBB674_417
; %bb.414:
	s_movk_i32 s3, 0x7f
	v_and_b32_e32 v23, 0x7f, v22
	v_cmp_ne_u32_e32 vcc, s3, v23
	v_mov_b32_e32 v28, 0x7f80
	s_and_saveexec_b64 s[10:11], vcc
	s_cbranch_execz .LBB674_416
; %bb.415:
	v_and_b32_e32 v24, 7, v22
	v_ffbh_u32_e32 v30, v24
	v_min_u32_e32 v32, 32, v30
	v_subrev_u32_e32 v30, 28, v32
	v_lshlrev_b64 v[30:31], v30, v[22:23]
	v_lshrrev_b32_e32 v28, 3, v23
	v_sub_u32_e32 v22, 29, v32
	v_and_b32_e32 v30, 7, v30
	v_cmp_gt_u32_e32 vcc, 8, v23
	v_cndmask_b32_e32 v22, v28, v22, vcc
	v_cndmask_b32_e32 v23, v24, v30, vcc
	v_lshlrev_b32_e32 v24, 16, v14
	v_bfrev_b32_e32 v28, 60
	v_lshlrev_b32_e32 v23, 20, v23
	v_and_b32_e32 v24, 0x80000000, v24
	v_lshl_add_u32 v22, v22, 23, v28
	v_or3_b32 v22, v24, v22, v23
	v_lshrrev_b32_e32 v28, 16, v22
.LBB674_416:
	s_or_b64 exec, exec, s[10:11]
.LBB674_417:
	s_or_b64 exec, exec, s[6:7]
.LBB674_418:
	s_or_b64 exec, exec, s[0:1]
	s_movk_i32 s0, 0xff
	v_and_b32_sdwa v24, v14, s0 dst_sel:DWORD dst_unused:UNUSED_PAD src0_sel:WORD_1 src1_sel:DWORD
	v_lshrrev_b32_e32 v22, 16, v14
	v_cmp_ne_u16_e32 vcc, 0, v24
	v_mov_b32_e32 v23, 0
	v_mov_b32_e32 v30, 0
	s_and_saveexec_b64 s[0:1], vcc
	s_cbranch_execz .LBB674_424
; %bb.419:
	s_movk_i32 s3, 0x80
	v_cmp_ne_u16_e32 vcc, s3, v24
	v_mov_b32_e32 v30, 0xffff8000
	s_and_saveexec_b64 s[6:7], vcc
	s_cbranch_execz .LBB674_423
; %bb.420:
	v_bfe_u32 v24, v14, 16, 7
	s_movk_i32 s3, 0x7f
	v_cmp_ne_u32_e32 vcc, s3, v24
	v_mov_b32_e32 v30, 0x7f80
	s_and_saveexec_b64 s[10:11], vcc
	s_cbranch_execz .LBB674_422
; %bb.421:
	v_and_b32_e32 v32, 7, v22
	v_ffbh_u32_e32 v30, v32
	v_min_u32_e32 v34, 32, v30
	v_subrev_u32_e32 v30, 28, v34
	v_lshlrev_b64 v[30:31], v30, v[22:23]
	v_and_b32_e32 v30, 7, v30
	v_cmp_gt_u32_e32 vcc, 8, v24
	v_lshrrev_b32_e32 v33, 3, v24
	v_sub_u32_e32 v22, 29, v34
	v_cndmask_b32_e32 v24, v32, v30, vcc
	v_mov_b32_e32 v30, 24
	v_cndmask_b32_e32 v22, v33, v22, vcc
	v_lshlrev_b32_sdwa v30, v30, v14 dst_sel:DWORD dst_unused:UNUSED_PAD src0_sel:DWORD src1_sel:WORD_1
	v_bfrev_b32_e32 v31, 60
	v_lshlrev_b32_e32 v24, 20, v24
	v_and_b32_e32 v30, 0x80000000, v30
	v_lshl_add_u32 v22, v22, 23, v31
	v_or3_b32 v22, v30, v22, v24
	v_lshrrev_b32_e32 v30, 16, v22
.LBB674_422:
	s_or_b64 exec, exec, s[10:11]
.LBB674_423:
	s_or_b64 exec, exec, s[6:7]
.LBB674_424:
	s_or_b64 exec, exec, s[0:1]
	s_mov_b32 s0, 0xffffff
	v_cmp_lt_u32_e32 vcc, s0, v14
	v_mov_b32_e32 v31, 0
	s_and_saveexec_b64 s[0:1], vcc
	s_cbranch_execz .LBB674_430
; %bb.425:
	v_lshrrev_b32_e32 v22, 24, v14
	s_movk_i32 s3, 0x80
	v_cmp_ne_u32_e32 vcc, s3, v22
	v_mov_b32_e32 v31, 0xffff8000
	s_and_saveexec_b64 s[6:7], vcc
	s_cbranch_execz .LBB674_429
; %bb.426:
	v_bfe_u32 v24, v14, 24, 7
	s_movk_i32 s3, 0x7f
	v_cmp_ne_u32_e32 vcc, s3, v24
	v_mov_b32_e32 v31, 0x7f80
	s_and_saveexec_b64 s[10:11], vcc
	s_cbranch_execz .LBB674_428
; %bb.427:
	v_and_b32_e32 v31, 7, v22
	v_ffbh_u32_e32 v32, v31
	v_min_u32_e32 v35, 32, v32
	v_subrev_u32_e32 v32, 28, v35
	v_lshlrev_b64 v[32:33], v32, v[22:23]
	v_lshrrev_b32_e32 v34, 3, v24
	v_sub_u32_e32 v33, 29, v35
	v_and_b32_e32 v32, 7, v32
	v_cmp_gt_u32_e32 vcc, 8, v24
	v_cndmask_b32_e32 v24, v34, v33, vcc
	v_cndmask_b32_e32 v31, v31, v32, vcc
	v_lshlrev_b32_e32 v22, 24, v22
	v_bfrev_b32_e32 v32, 60
	v_lshlrev_b32_e32 v31, 20, v31
	v_and_b32_e32 v22, 0x80000000, v22
	v_lshl_add_u32 v24, v24, 23, v32
	v_or3_b32 v22, v22, v24, v31
	v_lshrrev_b32_e32 v31, 16, v22
.LBB674_428:
	s_or_b64 exec, exec, s[10:11]
.LBB674_429:
	s_or_b64 exec, exec, s[6:7]
.LBB674_430:
	s_or_b64 exec, exec, s[0:1]
	v_mov_b32_e32 v32, 0
	v_mov_b32_e32 v22, v15
	v_cmp_ne_u16_sdwa s[6:7], v15, v32 src0_sel:BYTE_0 src1_sel:DWORD
	v_mov_b32_e32 v33, 0
	s_and_saveexec_b64 s[0:1], s[6:7]
	s_cbranch_execz .LBB674_436
; %bb.431:
	s_movk_i32 s3, 0x80
	v_cmp_ne_u16_sdwa s[10:11], v15, s3 src0_sel:BYTE_0 src1_sel:DWORD
	v_mov_b32_e32 v33, 0xffff8000
	s_and_saveexec_b64 s[6:7], s[10:11]
	s_cbranch_execz .LBB674_435
; %bb.432:
	s_movk_i32 s3, 0x7f
	v_and_b32_e32 v24, 0x7f, v15
	v_cmp_ne_u32_e32 vcc, s3, v24
	v_mov_b32_e32 v33, 0x7f80
	s_and_saveexec_b64 s[10:11], vcc
	s_cbranch_execz .LBB674_434
; %bb.433:
	v_and_b32_e32 v33, 7, v15
	v_ffbh_u32_e32 v33, v33
	v_min_u32_e32 v33, 32, v33
	v_lshrrev_b32_e32 v34, 3, v24
	v_subrev_u32_e32 v35, 28, v33
	v_sub_u32_e32 v33, 29, v33
	v_cmp_gt_u32_e32 vcc, 8, v24
	v_cndmask_b32_e32 v24, v34, v33, vcc
	v_cndmask_b32_e32 v33, 0, v35, vcc
	v_lshlrev_b64 v[34:35], v33, v[22:23]
	v_lshlrev_b32_e32 v23, 20, v34
	v_lshlrev_b32_e32 v33, 24, v22
	v_bfrev_b32_e32 v34, 60
	v_and_b32_e32 v23, 0x700000, v23
	v_and_b32_e32 v33, 0x80000000, v33
	v_lshl_add_u32 v24, v24, 23, v34
	v_or3_b32 v23, v33, v24, v23
	v_lshrrev_b32_e32 v33, 16, v23
.LBB674_434:
	s_or_b64 exec, exec, s[10:11]
.LBB674_435:
	s_or_b64 exec, exec, s[6:7]
.LBB674_436:
	s_or_b64 exec, exec, s[0:1]
	v_lshrrev_b16_e32 v24, 8, v22
	v_cmp_ne_u16_e32 vcc, 0, v24
	s_and_saveexec_b64 s[0:1], vcc
	s_cbranch_execz .LBB674_442
; %bb.437:
	s_movk_i32 s3, 0x80
	v_cmp_ne_u16_e32 vcc, s3, v24
	v_mov_b32_e32 v32, 0xffff8000
	s_and_saveexec_b64 s[6:7], vcc
	s_cbranch_execz .LBB674_441
; %bb.438:
	s_movk_i32 s3, 0x7f
	v_and_b32_e32 v23, 0x7f, v24
	v_cmp_ne_u32_e32 vcc, s3, v23
	v_mov_b32_e32 v32, 0x7f80
	s_and_saveexec_b64 s[10:11], vcc
	s_cbranch_execz .LBB674_440
; %bb.439:
	v_and_b32_e32 v32, 7, v24
	v_ffbh_u32_e32 v34, v32
	v_min_u32_e32 v37, 32, v34
	v_subrev_u32_e32 v34, 28, v37
	v_lshlrev_b64 v[34:35], v34, v[24:25]
	v_lshrrev_b32_e32 v36, 3, v23
	v_sub_u32_e32 v24, 29, v37
	v_and_b32_e32 v34, 7, v34
	v_cmp_gt_u32_e32 vcc, 8, v23
	v_cndmask_b32_e32 v23, v36, v24, vcc
	v_cndmask_b32_e32 v24, v32, v34, vcc
	v_lshlrev_b32_e32 v22, 16, v22
	v_bfrev_b32_e32 v32, 60
	v_lshlrev_b32_e32 v24, 20, v24
	v_and_b32_e32 v22, 0x80000000, v22
	v_lshl_add_u32 v23, v23, 23, v32
	v_or3_b32 v22, v22, v23, v24
	v_lshrrev_b32_e32 v32, 16, v22
.LBB674_440:
	s_or_b64 exec, exec, s[10:11]
.LBB674_441:
	s_or_b64 exec, exec, s[6:7]
.LBB674_442:
	s_or_b64 exec, exec, s[0:1]
	s_movk_i32 s0, 0xff
	v_and_b32_sdwa v34, v15, s0 dst_sel:DWORD dst_unused:UNUSED_PAD src0_sel:WORD_1 src1_sel:DWORD
	v_lshrrev_b32_e32 v22, 16, v15
	v_cmp_ne_u16_e32 vcc, 0, v34
	v_mov_b32_e32 v23, 0
	v_mov_b32_e32 v24, 0
	s_and_saveexec_b64 s[0:1], vcc
	s_cbranch_execz .LBB674_448
; %bb.443:
	s_movk_i32 s3, 0x80
	v_cmp_ne_u16_e32 vcc, s3, v34
	v_mov_b32_e32 v24, 0xffff8000
	s_and_saveexec_b64 s[6:7], vcc
	s_cbranch_execz .LBB674_447
; %bb.444:
	v_bfe_u32 v34, v15, 16, 7
	s_movk_i32 s3, 0x7f
	v_cmp_ne_u32_e32 vcc, s3, v34
	v_mov_b32_e32 v24, 0x7f80
	s_and_saveexec_b64 s[10:11], vcc
	s_cbranch_execz .LBB674_446
; %bb.445:
	v_and_b32_e32 v24, 7, v22
	v_ffbh_u32_e32 v36, v24
	v_min_u32_e32 v38, 32, v36
	v_subrev_u32_e32 v36, 28, v38
	v_lshlrev_b64 v[36:37], v36, v[22:23]
	v_lshrrev_b32_e32 v35, 3, v34
	v_sub_u32_e32 v22, 29, v38
	v_and_b32_e32 v36, 7, v36
	v_cmp_gt_u32_e32 vcc, 8, v34
	v_mov_b32_e32 v34, 24
	v_cndmask_b32_e32 v22, v35, v22, vcc
	v_cndmask_b32_e32 v24, v24, v36, vcc
	v_lshlrev_b32_sdwa v34, v34, v15 dst_sel:DWORD dst_unused:UNUSED_PAD src0_sel:DWORD src1_sel:WORD_1
	v_bfrev_b32_e32 v35, 60
	v_lshlrev_b32_e32 v24, 20, v24
	v_and_b32_e32 v34, 0x80000000, v34
	v_lshl_add_u32 v22, v22, 23, v35
	v_or3_b32 v22, v34, v22, v24
	v_lshrrev_b32_e32 v24, 16, v22
.LBB674_446:
	s_or_b64 exec, exec, s[10:11]
.LBB674_447:
	s_or_b64 exec, exec, s[6:7]
.LBB674_448:
	s_or_b64 exec, exec, s[0:1]
	s_mov_b32 s0, -1
	s_mov_b32 s1, 0xffffff
	v_cmp_lt_u64_e32 vcc, s[0:1], v[14:15]
	s_and_saveexec_b64 s[0:1], vcc
	s_cbranch_execz .LBB674_454
; %bb.449:
	v_lshrrev_b32_e32 v14, 24, v15
	s_movk_i32 s3, 0x80
	v_cmp_ne_u32_e32 vcc, s3, v14
	v_mov_b32_e32 v23, 0xffff8000
	s_and_saveexec_b64 s[6:7], vcc
	s_cbranch_execz .LBB674_453
; %bb.450:
	v_bfe_u32 v15, v15, 24, 7
	s_movk_i32 s3, 0x7f
	v_cmp_ne_u32_e32 vcc, s3, v15
	v_mov_b32_e32 v23, 0x7f80
	s_and_saveexec_b64 s[10:11], vcc
	s_cbranch_execz .LBB674_452
; %bb.451:
	v_and_b32_e32 v34, 7, v14
	v_ffbh_u32_e32 v22, v34
	v_min_u32_e32 v36, 32, v22
	v_subrev_u32_e32 v22, 28, v36
	v_lshlrev_b64 v[22:23], v22, v[14:15]
	v_lshrrev_b32_e32 v35, 3, v15
	v_sub_u32_e32 v23, 29, v36
	v_and_b32_e32 v22, 7, v22
	v_cmp_gt_u32_e32 vcc, 8, v15
	v_cndmask_b32_e32 v15, v35, v23, vcc
	v_cndmask_b32_e32 v22, v34, v22, vcc
	v_lshlrev_b32_e32 v14, 24, v14
	v_bfrev_b32_e32 v23, 60
	v_lshlrev_b32_e32 v22, 20, v22
	v_and_b32_e32 v14, 0x80000000, v14
	v_lshl_add_u32 v15, v15, 23, v23
	v_or3_b32 v14, v14, v15, v22
	v_lshrrev_b32_e32 v23, 16, v14
.LBB674_452:
	s_or_b64 exec, exec, s[10:11]
.LBB674_453:
	s_or_b64 exec, exec, s[6:7]
.LBB674_454:
	s_or_b64 exec, exec, s[0:1]
	v_add_f32_e32 v14, 0x358637bd, v27
	v_div_scale_f32 v15, s[0:1], v14, v14, 1.0
	v_rcp_f32_e32 v22, v15
	v_div_scale_f32 v27, vcc, 1.0, v14, 1.0
	v_sub_f32_e32 v25, v25, v26
	v_fma_f32 v34, -v15, v22, 1.0
	v_fmac_f32_e32 v22, v34, v22
	v_mul_f32_e32 v34, v27, v22
	v_fma_f32 v35, -v15, v34, v27
	v_mul_f32_e32 v25, 0x3fb8aa3b, v25
	v_fmac_f32_e32 v34, v35, v22
	v_exp_f32_e32 v25, v25
	v_fma_f32 v15, -v15, v34, v27
	v_div_fmas_f32 v15, v15, v22, v34
	v_div_fixup_f32 v14, v15, v14, 1.0
	v_mul_f32_e32 v14, v25, v14
	v_pk_mul_f32 v[20:21], v[20:21], v[14:15] op_sel_hi:[1,0]
	v_pk_mul_f32 v[14:15], v[18:19], v[14:15] op_sel_hi:[1,0]
	v_bfe_u32 v18, v15, 16, 1
	v_bfe_u32 v19, v14, 16, 1
	s_movk_i32 s0, 0x7fff
	v_add3_u32 v14, v14, v19, s0
	v_add3_u32 v15, v15, v18, s0
	s_mov_b32 s1, 0x7060302
	v_perm_b32 v14, v15, v14, s1
	v_bfe_u32 v15, v21, 16, 1
	v_bfe_u32 v18, v20, 16, 1
	v_add3_u32 v18, v20, v18, s0
	v_add3_u32 v15, v21, v15, s0
	v_perm_b32 v15, v15, v18, s1
	s_mov_b32 s0, 0x5040100
	v_perm_b32 v19, v31, v30, s0
	v_perm_b32 v18, v28, v29, s0
	;; [unrolled: 1-line block ×4, first 2 shown]
	v_mfma_f32_4x4x4bf16_1k a[0:3], v[14:15], v[18:19], 0 cbsz:4
	v_mov_b32_e32 v21, 0
	v_mfma_f32_4x4x4bf16_1k a[0:3], v[14:15], v[22:23], a[0:3] cbsz:4 abid:1
	v_mov_b32_e32 v22, 0
	v_cmp_ne_u16_sdwa s[6:7], v16, v22 src0_sel:BYTE_0 src1_sel:DWORD
	s_and_saveexec_b64 s[0:1], s[6:7]
	s_cbranch_execz .LBB674_460
; %bb.455:
	s_movk_i32 s3, 0x80
	v_cmp_ne_u16_sdwa s[10:11], v16, s3 src0_sel:BYTE_0 src1_sel:DWORD
	v_mov_b32_e32 v21, 0xffff8000
	s_and_saveexec_b64 s[6:7], s[10:11]
	s_cbranch_execz .LBB674_459
; %bb.456:
	s_movk_i32 s3, 0x7f
	v_and_b32_e32 v18, 0x7f, v16
	v_cmp_ne_u32_e32 vcc, s3, v18
	v_mov_b32_e32 v21, 0x7f80
	s_and_saveexec_b64 s[10:11], vcc
	s_cbranch_execz .LBB674_458
; %bb.457:
	v_and_b32_e32 v19, 7, v16
	v_ffbh_u32_e32 v19, v19
	v_min_u32_e32 v19, 32, v19
	v_subrev_u32_e32 v21, 28, v19
	v_cmp_gt_u32_e32 vcc, 8, v18
	v_lshrrev_b32_e32 v20, 3, v18
	v_sub_u32_e32 v19, 29, v19
	v_cndmask_b32_e32 v18, 0, v21, vcc
	v_cndmask_b32_e32 v20, v20, v19, vcc
	v_lshlrev_b64 v[18:19], v18, v[16:17]
	v_lshlrev_b32_e32 v18, 20, v18
	v_lshlrev_b32_e32 v19, 24, v16
	v_bfrev_b32_e32 v21, 60
	v_and_b32_e32 v18, 0x700000, v18
	v_and_b32_e32 v19, 0x80000000, v19
	v_lshl_add_u32 v20, v20, 23, v21
	v_or3_b32 v18, v19, v20, v18
	v_lshrrev_b32_e32 v21, 16, v18
.LBB674_458:
	s_or_b64 exec, exec, s[10:11]
.LBB674_459:
	s_or_b64 exec, exec, s[6:7]
.LBB674_460:
	s_or_b64 exec, exec, s[0:1]
	v_lshrrev_b16_e32 v18, 8, v16
	v_cmp_ne_u16_e32 vcc, 0, v18
	s_and_saveexec_b64 s[0:1], vcc
	s_cbranch_execz .LBB674_466
; %bb.461:
	s_movk_i32 s3, 0x80
	v_cmp_ne_u16_e32 vcc, s3, v18
	v_mov_b32_e32 v22, 0xffff8000
	s_and_saveexec_b64 s[6:7], vcc
	s_cbranch_execz .LBB674_465
; %bb.462:
	s_movk_i32 s3, 0x7f
	v_and_b32_e32 v19, 0x7f, v18
	v_cmp_ne_u32_e32 vcc, s3, v19
	v_mov_b32_e32 v22, 0x7f80
	s_and_saveexec_b64 s[10:11], vcc
	s_cbranch_execz .LBB674_464
; %bb.463:
	v_and_b32_e32 v20, 7, v18
	v_ffbh_u32_e32 v22, v20
	v_min_u32_e32 v25, 32, v22
	v_subrev_u32_e32 v22, 28, v25
	v_lshlrev_b64 v[22:23], v22, v[18:19]
	v_lshrrev_b32_e32 v24, 3, v19
	v_sub_u32_e32 v18, 29, v25
	v_and_b32_e32 v22, 7, v22
	v_cmp_gt_u32_e32 vcc, 8, v19
	v_cndmask_b32_e32 v18, v24, v18, vcc
	v_cndmask_b32_e32 v19, v20, v22, vcc
	v_lshlrev_b32_e32 v20, 16, v16
	v_bfrev_b32_e32 v22, 60
	v_lshlrev_b32_e32 v19, 20, v19
	v_and_b32_e32 v20, 0x80000000, v20
	v_lshl_add_u32 v18, v18, 23, v22
	v_or3_b32 v18, v20, v18, v19
	v_lshrrev_b32_e32 v22, 16, v18
.LBB674_464:
	s_or_b64 exec, exec, s[10:11]
.LBB674_465:
	s_or_b64 exec, exec, s[6:7]
.LBB674_466:
	s_or_b64 exec, exec, s[0:1]
	s_movk_i32 s0, 0xff
	v_and_b32_sdwa v20, v16, s0 dst_sel:DWORD dst_unused:UNUSED_PAD src0_sel:WORD_1 src1_sel:DWORD
	v_lshrrev_b32_e32 v18, 16, v16
	v_cmp_ne_u16_e32 vcc, 0, v20
	v_mov_b32_e32 v19, 0
	v_mov_b32_e32 v23, 0
	s_and_saveexec_b64 s[0:1], vcc
	s_cbranch_execz .LBB674_472
; %bb.467:
	s_movk_i32 s3, 0x80
	v_cmp_ne_u16_e32 vcc, s3, v20
	v_mov_b32_e32 v23, 0xffff8000
	s_and_saveexec_b64 s[6:7], vcc
	s_cbranch_execz .LBB674_471
; %bb.468:
	v_bfe_u32 v20, v16, 16, 7
	s_movk_i32 s3, 0x7f
	v_cmp_ne_u32_e32 vcc, s3, v20
	v_mov_b32_e32 v23, 0x7f80
	s_and_saveexec_b64 s[10:11], vcc
	s_cbranch_execz .LBB674_470
; %bb.469:
	v_and_b32_e32 v23, 7, v18
	v_ffbh_u32_e32 v24, v23
	v_min_u32_e32 v27, 32, v24
	v_subrev_u32_e32 v24, 28, v27
	v_lshlrev_b64 v[24:25], v24, v[18:19]
	v_and_b32_e32 v24, 7, v24
	v_cmp_gt_u32_e32 vcc, 8, v20
	v_lshrrev_b32_e32 v26, 3, v20
	v_sub_u32_e32 v18, 29, v27
	v_cndmask_b32_e32 v20, v23, v24, vcc
	v_mov_b32_e32 v23, 24
	v_cndmask_b32_e32 v18, v26, v18, vcc
	v_lshlrev_b32_sdwa v23, v23, v16 dst_sel:DWORD dst_unused:UNUSED_PAD src0_sel:DWORD src1_sel:WORD_1
	v_bfrev_b32_e32 v24, 60
	v_lshlrev_b32_e32 v20, 20, v20
	v_and_b32_e32 v23, 0x80000000, v23
	v_lshl_add_u32 v18, v18, 23, v24
	v_or3_b32 v18, v23, v18, v20
	v_lshrrev_b32_e32 v23, 16, v18
.LBB674_470:
	s_or_b64 exec, exec, s[10:11]
.LBB674_471:
	s_or_b64 exec, exec, s[6:7]
.LBB674_472:
	s_or_b64 exec, exec, s[0:1]
	s_mov_b32 s0, 0xffffff
	v_cmp_lt_u32_e32 vcc, s0, v16
	v_mov_b32_e32 v24, 0
	s_and_saveexec_b64 s[0:1], vcc
	s_cbranch_execz .LBB674_478
; %bb.473:
	v_lshrrev_b32_e32 v18, 24, v16
	s_movk_i32 s3, 0x80
	v_cmp_ne_u32_e32 vcc, s3, v18
	v_mov_b32_e32 v24, 0xffff8000
	s_and_saveexec_b64 s[6:7], vcc
	s_cbranch_execz .LBB674_477
; %bb.474:
	v_bfe_u32 v20, v16, 24, 7
	s_movk_i32 s3, 0x7f
	v_cmp_ne_u32_e32 vcc, s3, v20
	v_mov_b32_e32 v24, 0x7f80
	s_and_saveexec_b64 s[10:11], vcc
	s_cbranch_execz .LBB674_476
; %bb.475:
	v_and_b32_e32 v26, 7, v18
	v_ffbh_u32_e32 v24, v26
	v_min_u32_e32 v28, 32, v24
	v_subrev_u32_e32 v24, 28, v28
	v_lshlrev_b64 v[24:25], v24, v[18:19]
	v_lshrrev_b32_e32 v27, 3, v20
	v_sub_u32_e32 v25, 29, v28
	v_and_b32_e32 v24, 7, v24
	v_cmp_gt_u32_e32 vcc, 8, v20
	v_cndmask_b32_e32 v20, v27, v25, vcc
	v_cndmask_b32_e32 v24, v26, v24, vcc
	v_lshlrev_b32_e32 v18, 24, v18
	v_bfrev_b32_e32 v25, 60
	v_lshlrev_b32_e32 v24, 20, v24
	v_and_b32_e32 v18, 0x80000000, v18
	v_lshl_add_u32 v20, v20, 23, v25
	v_or3_b32 v18, v18, v20, v24
	v_lshrrev_b32_e32 v24, 16, v18
.LBB674_476:
	s_or_b64 exec, exec, s[10:11]
.LBB674_477:
	s_or_b64 exec, exec, s[6:7]
.LBB674_478:
	s_or_b64 exec, exec, s[0:1]
	v_mov_b32_e32 v25, 0
	v_mov_b32_e32 v18, v17
	v_cmp_ne_u16_sdwa s[6:7], v17, v25 src0_sel:BYTE_0 src1_sel:DWORD
	v_mov_b32_e32 v26, 0
	s_and_saveexec_b64 s[0:1], s[6:7]
	s_cbranch_execz .LBB674_484
; %bb.479:
	s_movk_i32 s3, 0x80
	v_cmp_ne_u16_sdwa s[10:11], v17, s3 src0_sel:BYTE_0 src1_sel:DWORD
	v_mov_b32_e32 v26, 0xffff8000
	s_and_saveexec_b64 s[6:7], s[10:11]
	s_cbranch_execz .LBB674_483
; %bb.480:
	s_movk_i32 s3, 0x7f
	v_and_b32_e32 v20, 0x7f, v17
	v_cmp_ne_u32_e32 vcc, s3, v20
	v_mov_b32_e32 v26, 0x7f80
	s_and_saveexec_b64 s[10:11], vcc
	s_cbranch_execz .LBB674_482
; %bb.481:
	v_and_b32_e32 v26, 7, v17
	v_ffbh_u32_e32 v26, v26
	v_min_u32_e32 v26, 32, v26
	v_lshrrev_b32_e32 v27, 3, v20
	v_subrev_u32_e32 v28, 28, v26
	v_sub_u32_e32 v26, 29, v26
	v_cmp_gt_u32_e32 vcc, 8, v20
	v_cndmask_b32_e32 v20, v27, v26, vcc
	v_cndmask_b32_e32 v26, 0, v28, vcc
	v_lshlrev_b64 v[26:27], v26, v[18:19]
	v_lshlrev_b32_e32 v19, 20, v26
	v_lshlrev_b32_e32 v26, 24, v18
	v_bfrev_b32_e32 v27, 60
	v_and_b32_e32 v19, 0x700000, v19
	v_and_b32_e32 v26, 0x80000000, v26
	v_lshl_add_u32 v20, v20, 23, v27
	v_or3_b32 v19, v26, v20, v19
	v_lshrrev_b32_e32 v26, 16, v19
.LBB674_482:
	s_or_b64 exec, exec, s[10:11]
.LBB674_483:
	s_or_b64 exec, exec, s[6:7]
.LBB674_484:
	s_or_b64 exec, exec, s[0:1]
	v_lshrrev_b16_e32 v20, 8, v18
	v_cmp_ne_u16_e32 vcc, 0, v20
	s_and_saveexec_b64 s[0:1], vcc
	s_cbranch_execz .LBB674_490
; %bb.485:
	s_movk_i32 s3, 0x80
	v_cmp_ne_u16_e32 vcc, s3, v20
	v_mov_b32_e32 v25, 0xffff8000
	s_and_saveexec_b64 s[6:7], vcc
	s_cbranch_execz .LBB674_489
; %bb.486:
	s_movk_i32 s3, 0x7f
	v_and_b32_e32 v19, 0x7f, v20
	v_cmp_ne_u32_e32 vcc, s3, v19
	v_mov_b32_e32 v25, 0x7f80
	s_and_saveexec_b64 s[10:11], vcc
	s_cbranch_execz .LBB674_488
; %bb.487:
	v_and_b32_e32 v25, 7, v20
	v_ffbh_u32_e32 v28, v25
	v_min_u32_e32 v30, 32, v28
	v_subrev_u32_e32 v28, 28, v30
	v_lshlrev_b64 v[28:29], v28, v[20:21]
	v_lshrrev_b32_e32 v27, 3, v19
	v_sub_u32_e32 v20, 29, v30
	v_and_b32_e32 v28, 7, v28
	v_cmp_gt_u32_e32 vcc, 8, v19
	v_cndmask_b32_e32 v19, v27, v20, vcc
	v_cndmask_b32_e32 v20, v25, v28, vcc
	v_lshlrev_b32_e32 v18, 16, v18
	v_bfrev_b32_e32 v25, 60
	v_lshlrev_b32_e32 v20, 20, v20
	v_and_b32_e32 v18, 0x80000000, v18
	v_lshl_add_u32 v19, v19, 23, v25
	v_or3_b32 v18, v18, v19, v20
	v_lshrrev_b32_e32 v25, 16, v18
.LBB674_488:
	s_or_b64 exec, exec, s[10:11]
.LBB674_489:
	s_or_b64 exec, exec, s[6:7]
.LBB674_490:
	s_or_b64 exec, exec, s[0:1]
	s_movk_i32 s0, 0xff
	v_and_b32_sdwa v27, v17, s0 dst_sel:DWORD dst_unused:UNUSED_PAD src0_sel:WORD_1 src1_sel:DWORD
	v_lshrrev_b32_e32 v18, 16, v17
	v_cmp_ne_u16_e32 vcc, 0, v27
	v_mov_b32_e32 v19, 0
	v_mov_b32_e32 v20, 0
	s_and_saveexec_b64 s[0:1], vcc
	s_cbranch_execz .LBB674_496
; %bb.491:
	s_movk_i32 s3, 0x80
	v_cmp_ne_u16_e32 vcc, s3, v27
	v_mov_b32_e32 v20, 0xffff8000
	s_and_saveexec_b64 s[6:7], vcc
	s_cbranch_execz .LBB674_495
; %bb.492:
	v_bfe_u32 v27, v17, 16, 7
	s_movk_i32 s3, 0x7f
	v_cmp_ne_u32_e32 vcc, s3, v27
	v_mov_b32_e32 v20, 0x7f80
	s_and_saveexec_b64 s[10:11], vcc
	s_cbranch_execz .LBB674_494
; %bb.493:
	v_and_b32_e32 v20, 7, v18
	v_ffbh_u32_e32 v28, v20
	v_min_u32_e32 v31, 32, v28
	v_subrev_u32_e32 v28, 28, v31
	v_lshlrev_b64 v[28:29], v28, v[18:19]
	v_lshrrev_b32_e32 v30, 3, v27
	v_sub_u32_e32 v18, 29, v31
	v_and_b32_e32 v28, 7, v28
	v_cmp_gt_u32_e32 vcc, 8, v27
	v_mov_b32_e32 v27, 24
	v_cndmask_b32_e32 v18, v30, v18, vcc
	v_cndmask_b32_e32 v20, v20, v28, vcc
	v_lshlrev_b32_sdwa v27, v27, v17 dst_sel:DWORD dst_unused:UNUSED_PAD src0_sel:DWORD src1_sel:WORD_1
	v_bfrev_b32_e32 v28, 60
	v_lshlrev_b32_e32 v20, 20, v20
	v_and_b32_e32 v27, 0x80000000, v27
	v_lshl_add_u32 v18, v18, 23, v28
	v_or3_b32 v18, v27, v18, v20
	v_lshrrev_b32_e32 v20, 16, v18
.LBB674_494:
	s_or_b64 exec, exec, s[10:11]
.LBB674_495:
	s_or_b64 exec, exec, s[6:7]
.LBB674_496:
	s_or_b64 exec, exec, s[0:1]
	s_mov_b32 s0, -1
	s_mov_b32 s1, 0xffffff
	v_cmp_lt_u64_e32 vcc, s[0:1], v[16:17]
	s_and_saveexec_b64 s[0:1], vcc
	s_cbranch_execz .LBB674_502
; %bb.497:
	v_lshrrev_b32_e32 v16, 24, v17
	s_movk_i32 s3, 0x80
	v_cmp_ne_u32_e32 vcc, s3, v16
	v_mov_b32_e32 v19, 0xffff8000
	s_and_saveexec_b64 s[6:7], vcc
	s_cbranch_execz .LBB674_501
; %bb.498:
	v_bfe_u32 v17, v17, 24, 7
	s_movk_i32 s3, 0x7f
	v_cmp_ne_u32_e32 vcc, s3, v17
	v_mov_b32_e32 v19, 0x7f80
	s_and_saveexec_b64 s[10:11], vcc
	s_cbranch_execz .LBB674_500
; %bb.499:
	v_and_b32_e32 v27, 7, v16
	v_ffbh_u32_e32 v18, v27
	v_min_u32_e32 v29, 32, v18
	v_subrev_u32_e32 v18, 28, v29
	v_lshlrev_b64 v[18:19], v18, v[16:17]
	v_lshrrev_b32_e32 v28, 3, v17
	v_sub_u32_e32 v19, 29, v29
	v_and_b32_e32 v18, 7, v18
	v_cmp_gt_u32_e32 vcc, 8, v17
	v_cndmask_b32_e32 v17, v28, v19, vcc
	v_cndmask_b32_e32 v18, v27, v18, vcc
	v_lshlrev_b32_e32 v16, 24, v16
	v_bfrev_b32_e32 v19, 60
	v_lshlrev_b32_e32 v18, 20, v18
	v_and_b32_e32 v16, 0x80000000, v16
	v_lshl_add_u32 v17, v17, 23, v19
	v_or3_b32 v16, v16, v17, v18
	v_lshrrev_b32_e32 v19, 16, v16
.LBB674_500:
	s_or_b64 exec, exec, s[10:11]
.LBB674_501:
	s_or_b64 exec, exec, s[6:7]
.LBB674_502:
	s_or_b64 exec, exec, s[0:1]
	s_mov_b32 s0, 0x5040100
	v_perm_b32 v17, v24, v23, s0
	v_perm_b32 v16, v22, v21, s0
	;; [unrolled: 1-line block ×4, first 2 shown]
	v_mfma_f32_4x4x4bf16_1k a[0:3], v[14:15], v[16:17], a[0:3] cbsz:4 abid:2
	v_mov_b32_e32 v20, 0
	v_mfma_f32_4x4x4bf16_1k a[0:3], v[14:15], v[18:19], a[0:3] cbsz:4 abid:3
	v_mov_b32_e32 v19, 0
	s_waitcnt vmcnt(2)
	v_cmp_ne_u16_sdwa s[6:7], v10, v19 src0_sel:BYTE_0 src1_sel:DWORD
	s_and_saveexec_b64 s[0:1], s[6:7]
	s_cbranch_execz .LBB674_508
; %bb.503:
	s_movk_i32 s3, 0x80
	v_cmp_ne_u16_sdwa s[10:11], v10, s3 src0_sel:BYTE_0 src1_sel:DWORD
	v_mov_b32_e32 v20, 0xffff8000
	s_and_saveexec_b64 s[6:7], s[10:11]
	s_cbranch_execz .LBB674_507
; %bb.504:
	s_movk_i32 s3, 0x7f
	v_and_b32_e32 v16, 0x7f, v10
	v_cmp_ne_u32_e32 vcc, s3, v16
	v_mov_b32_e32 v20, 0x7f80
	s_and_saveexec_b64 s[10:11], vcc
	s_cbranch_execz .LBB674_506
; %bb.505:
	v_and_b32_e32 v17, 7, v10
	v_ffbh_u32_e32 v17, v17
	v_min_u32_e32 v17, 32, v17
	v_subrev_u32_e32 v20, 28, v17
	v_cmp_gt_u32_e32 vcc, 8, v16
	v_lshrrev_b32_e32 v18, 3, v16
	v_sub_u32_e32 v17, 29, v17
	v_cndmask_b32_e32 v16, 0, v20, vcc
	v_cndmask_b32_e32 v18, v18, v17, vcc
	v_lshlrev_b64 v[16:17], v16, v[10:11]
	v_lshlrev_b32_e32 v16, 20, v16
	v_lshlrev_b32_e32 v17, 24, v10
	v_bfrev_b32_e32 v20, 60
	v_and_b32_e32 v16, 0x700000, v16
	v_and_b32_e32 v17, 0x80000000, v17
	v_lshl_add_u32 v18, v18, 23, v20
	v_or3_b32 v16, v17, v18, v16
	v_lshrrev_b32_e32 v20, 16, v16
.LBB674_506:
	s_or_b64 exec, exec, s[10:11]
.LBB674_507:
	s_or_b64 exec, exec, s[6:7]
.LBB674_508:
	s_or_b64 exec, exec, s[0:1]
	v_lshrrev_b16_e32 v16, 8, v10
	v_cmp_ne_u16_e32 vcc, 0, v16
	s_and_saveexec_b64 s[0:1], vcc
	s_cbranch_execz .LBB674_514
; %bb.509:
	s_movk_i32 s3, 0x80
	v_cmp_ne_u16_e32 vcc, s3, v16
	v_mov_b32_e32 v19, 0xffff8000
	s_and_saveexec_b64 s[6:7], vcc
	s_cbranch_execz .LBB674_513
; %bb.510:
	s_movk_i32 s3, 0x7f
	v_and_b32_e32 v17, 0x7f, v16
	v_cmp_ne_u32_e32 vcc, s3, v17
	v_mov_b32_e32 v19, 0x7f80
	s_and_saveexec_b64 s[10:11], vcc
	s_cbranch_execz .LBB674_512
; %bb.511:
	v_and_b32_e32 v21, 7, v16
	v_ffbh_u32_e32 v18, v21
	v_min_u32_e32 v23, 32, v18
	v_subrev_u32_e32 v18, 28, v23
	v_lshlrev_b64 v[18:19], v18, v[16:17]
	v_lshrrev_b32_e32 v22, 3, v17
	v_sub_u32_e32 v16, 29, v23
	v_and_b32_e32 v18, 7, v18
	v_cmp_gt_u32_e32 vcc, 8, v17
	v_cndmask_b32_e32 v16, v22, v16, vcc
	v_cndmask_b32_e32 v17, v21, v18, vcc
	v_lshlrev_b32_e32 v18, 16, v10
	v_bfrev_b32_e32 v19, 60
	v_lshlrev_b32_e32 v17, 20, v17
	v_and_b32_e32 v18, 0x80000000, v18
	v_lshl_add_u32 v16, v16, 23, v19
	v_or3_b32 v16, v18, v16, v17
	v_lshrrev_b32_e32 v19, 16, v16
.LBB674_512:
	s_or_b64 exec, exec, s[10:11]
.LBB674_513:
	s_or_b64 exec, exec, s[6:7]
.LBB674_514:
	s_or_b64 exec, exec, s[0:1]
	s_movk_i32 s0, 0xff
	v_and_b32_sdwa v18, v10, s0 dst_sel:DWORD dst_unused:UNUSED_PAD src0_sel:WORD_1 src1_sel:DWORD
	v_lshrrev_b32_e32 v16, 16, v10
	v_cmp_ne_u16_e32 vcc, 0, v18
	v_mov_b32_e32 v17, 0
	v_mov_b32_e32 v21, 0
	s_and_saveexec_b64 s[0:1], vcc
	s_cbranch_execz .LBB674_520
; %bb.515:
	s_movk_i32 s3, 0x80
	v_cmp_ne_u16_e32 vcc, s3, v18
	v_mov_b32_e32 v21, 0xffff8000
	s_and_saveexec_b64 s[6:7], vcc
	s_cbranch_execz .LBB674_519
; %bb.516:
	v_bfe_u32 v18, v10, 16, 7
	s_movk_i32 s3, 0x7f
	v_cmp_ne_u32_e32 vcc, s3, v18
	v_mov_b32_e32 v21, 0x7f80
	s_and_saveexec_b64 s[10:11], vcc
	s_cbranch_execz .LBB674_518
; %bb.517:
	v_and_b32_e32 v21, 7, v16
	v_ffbh_u32_e32 v22, v21
	v_min_u32_e32 v25, 32, v22
	v_subrev_u32_e32 v22, 28, v25
	v_lshlrev_b64 v[22:23], v22, v[16:17]
	v_and_b32_e32 v22, 7, v22
	v_cmp_gt_u32_e32 vcc, 8, v18
	v_lshrrev_b32_e32 v24, 3, v18
	v_sub_u32_e32 v16, 29, v25
	v_cndmask_b32_e32 v18, v21, v22, vcc
	v_mov_b32_e32 v21, 24
	v_cndmask_b32_e32 v16, v24, v16, vcc
	v_lshlrev_b32_sdwa v21, v21, v10 dst_sel:DWORD dst_unused:UNUSED_PAD src0_sel:DWORD src1_sel:WORD_1
	v_bfrev_b32_e32 v22, 60
	v_lshlrev_b32_e32 v18, 20, v18
	v_and_b32_e32 v21, 0x80000000, v21
	v_lshl_add_u32 v16, v16, 23, v22
	v_or3_b32 v16, v21, v16, v18
	v_lshrrev_b32_e32 v21, 16, v16
.LBB674_518:
	s_or_b64 exec, exec, s[10:11]
.LBB674_519:
	s_or_b64 exec, exec, s[6:7]
.LBB674_520:
	s_or_b64 exec, exec, s[0:1]
	s_mov_b32 s0, 0xffffff
	v_cmp_lt_u32_e32 vcc, s0, v10
	v_mov_b32_e32 v22, 0
	s_and_saveexec_b64 s[0:1], vcc
	s_cbranch_execz .LBB674_526
; %bb.521:
	v_lshrrev_b32_e32 v16, 24, v10
	s_movk_i32 s3, 0x80
	v_cmp_ne_u32_e32 vcc, s3, v16
	v_mov_b32_e32 v22, 0xffff8000
	s_and_saveexec_b64 s[6:7], vcc
	s_cbranch_execz .LBB674_525
; %bb.522:
	v_bfe_u32 v18, v10, 24, 7
	s_movk_i32 s3, 0x7f
	v_cmp_ne_u32_e32 vcc, s3, v18
	v_mov_b32_e32 v22, 0x7f80
	s_and_saveexec_b64 s[10:11], vcc
	s_cbranch_execz .LBB674_524
; %bb.523:
	v_and_b32_e32 v24, 7, v16
	v_ffbh_u32_e32 v22, v24
	v_min_u32_e32 v26, 32, v22
	v_subrev_u32_e32 v22, 28, v26
	v_lshlrev_b64 v[22:23], v22, v[16:17]
	v_lshrrev_b32_e32 v25, 3, v18
	v_sub_u32_e32 v23, 29, v26
	v_and_b32_e32 v22, 7, v22
	v_cmp_gt_u32_e32 vcc, 8, v18
	v_cndmask_b32_e32 v18, v25, v23, vcc
	v_cndmask_b32_e32 v22, v24, v22, vcc
	v_lshlrev_b32_e32 v16, 24, v16
	v_bfrev_b32_e32 v23, 60
	v_lshlrev_b32_e32 v22, 20, v22
	v_and_b32_e32 v16, 0x80000000, v16
	v_lshl_add_u32 v18, v18, 23, v23
	v_or3_b32 v16, v16, v18, v22
	v_lshrrev_b32_e32 v22, 16, v16
.LBB674_524:
	s_or_b64 exec, exec, s[10:11]
.LBB674_525:
	s_or_b64 exec, exec, s[6:7]
.LBB674_526:
	s_or_b64 exec, exec, s[0:1]
	v_mov_b32_e32 v23, 0
	v_mov_b32_e32 v16, v11
	v_cmp_ne_u16_sdwa s[6:7], v11, v23 src0_sel:BYTE_0 src1_sel:DWORD
	v_mov_b32_e32 v24, 0
	s_and_saveexec_b64 s[0:1], s[6:7]
	s_cbranch_execz .LBB674_532
; %bb.527:
	s_movk_i32 s3, 0x80
	v_cmp_ne_u16_sdwa s[10:11], v11, s3 src0_sel:BYTE_0 src1_sel:DWORD
	v_mov_b32_e32 v24, 0xffff8000
	s_and_saveexec_b64 s[6:7], s[10:11]
	s_cbranch_execz .LBB674_531
; %bb.528:
	s_movk_i32 s3, 0x7f
	v_and_b32_e32 v18, 0x7f, v11
	v_cmp_ne_u32_e32 vcc, s3, v18
	v_mov_b32_e32 v24, 0x7f80
	s_and_saveexec_b64 s[10:11], vcc
	s_cbranch_execz .LBB674_530
; %bb.529:
	v_and_b32_e32 v24, 7, v11
	v_ffbh_u32_e32 v24, v24
	v_min_u32_e32 v24, 32, v24
	v_lshrrev_b32_e32 v25, 3, v18
	v_subrev_u32_e32 v26, 28, v24
	v_sub_u32_e32 v24, 29, v24
	v_cmp_gt_u32_e32 vcc, 8, v18
	v_cndmask_b32_e32 v18, v25, v24, vcc
	v_cndmask_b32_e32 v24, 0, v26, vcc
	v_lshlrev_b64 v[24:25], v24, v[16:17]
	v_lshlrev_b32_e32 v17, 20, v24
	v_lshlrev_b32_e32 v24, 24, v16
	v_bfrev_b32_e32 v25, 60
	v_and_b32_e32 v17, 0x700000, v17
	v_and_b32_e32 v24, 0x80000000, v24
	v_lshl_add_u32 v18, v18, 23, v25
	v_or3_b32 v17, v24, v18, v17
	v_lshrrev_b32_e32 v24, 16, v17
.LBB674_530:
	s_or_b64 exec, exec, s[10:11]
.LBB674_531:
	s_or_b64 exec, exec, s[6:7]
.LBB674_532:
	s_or_b64 exec, exec, s[0:1]
	v_lshrrev_b16_e32 v18, 8, v16
	v_cmp_ne_u16_e32 vcc, 0, v18
	s_and_saveexec_b64 s[0:1], vcc
	s_cbranch_execz .LBB674_538
; %bb.533:
	s_movk_i32 s3, 0x80
	v_cmp_ne_u16_e32 vcc, s3, v18
	v_mov_b32_e32 v23, 0xffff8000
	s_and_saveexec_b64 s[6:7], vcc
	s_cbranch_execz .LBB674_537
; %bb.534:
	s_movk_i32 s3, 0x7f
	v_and_b32_e32 v17, 0x7f, v18
	v_cmp_ne_u32_e32 vcc, s3, v17
	v_mov_b32_e32 v23, 0x7f80
	s_and_saveexec_b64 s[10:11], vcc
	s_cbranch_execz .LBB674_536
; %bb.535:
	v_and_b32_e32 v23, 7, v18
	v_ffbh_u32_e32 v26, v23
	v_min_u32_e32 v28, 32, v26
	v_subrev_u32_e32 v26, 28, v28
	v_lshlrev_b64 v[26:27], v26, v[18:19]
	v_lshrrev_b32_e32 v25, 3, v17
	v_sub_u32_e32 v18, 29, v28
	v_and_b32_e32 v26, 7, v26
	v_cmp_gt_u32_e32 vcc, 8, v17
	v_cndmask_b32_e32 v17, v25, v18, vcc
	v_cndmask_b32_e32 v18, v23, v26, vcc
	v_lshlrev_b32_e32 v16, 16, v16
	v_bfrev_b32_e32 v23, 60
	v_lshlrev_b32_e32 v18, 20, v18
	v_and_b32_e32 v16, 0x80000000, v16
	v_lshl_add_u32 v17, v17, 23, v23
	v_or3_b32 v16, v16, v17, v18
	v_lshrrev_b32_e32 v23, 16, v16
.LBB674_536:
	s_or_b64 exec, exec, s[10:11]
.LBB674_537:
	s_or_b64 exec, exec, s[6:7]
.LBB674_538:
	s_or_b64 exec, exec, s[0:1]
	s_movk_i32 s0, 0xff
	v_and_b32_sdwa v25, v11, s0 dst_sel:DWORD dst_unused:UNUSED_PAD src0_sel:WORD_1 src1_sel:DWORD
	v_lshrrev_b32_e32 v16, 16, v11
	v_cmp_ne_u16_e32 vcc, 0, v25
	v_mov_b32_e32 v17, 0
	v_mov_b32_e32 v18, 0
	s_and_saveexec_b64 s[0:1], vcc
	s_cbranch_execz .LBB674_544
; %bb.539:
	s_movk_i32 s3, 0x80
	v_cmp_ne_u16_e32 vcc, s3, v25
	v_mov_b32_e32 v18, 0xffff8000
	s_and_saveexec_b64 s[6:7], vcc
	s_cbranch_execz .LBB674_543
; %bb.540:
	v_bfe_u32 v25, v11, 16, 7
	s_movk_i32 s3, 0x7f
	v_cmp_ne_u32_e32 vcc, s3, v25
	v_mov_b32_e32 v18, 0x7f80
	s_and_saveexec_b64 s[10:11], vcc
	s_cbranch_execz .LBB674_542
; %bb.541:
	v_and_b32_e32 v18, 7, v16
	v_ffbh_u32_e32 v26, v18
	v_min_u32_e32 v29, 32, v26
	v_subrev_u32_e32 v26, 28, v29
	v_lshlrev_b64 v[26:27], v26, v[16:17]
	v_lshrrev_b32_e32 v28, 3, v25
	v_sub_u32_e32 v16, 29, v29
	v_and_b32_e32 v26, 7, v26
	v_cmp_gt_u32_e32 vcc, 8, v25
	v_mov_b32_e32 v25, 24
	v_cndmask_b32_e32 v16, v28, v16, vcc
	v_cndmask_b32_e32 v18, v18, v26, vcc
	v_lshlrev_b32_sdwa v25, v25, v11 dst_sel:DWORD dst_unused:UNUSED_PAD src0_sel:DWORD src1_sel:WORD_1
	v_bfrev_b32_e32 v26, 60
	v_lshlrev_b32_e32 v18, 20, v18
	v_and_b32_e32 v25, 0x80000000, v25
	v_lshl_add_u32 v16, v16, 23, v26
	v_or3_b32 v16, v25, v16, v18
	v_lshrrev_b32_e32 v18, 16, v16
.LBB674_542:
	s_or_b64 exec, exec, s[10:11]
.LBB674_543:
	s_or_b64 exec, exec, s[6:7]
.LBB674_544:
	s_or_b64 exec, exec, s[0:1]
	s_mov_b32 s0, -1
	s_mov_b32 s1, 0xffffff
	v_cmp_lt_u64_e32 vcc, s[0:1], v[10:11]
	s_and_saveexec_b64 s[0:1], vcc
	s_cbranch_execz .LBB674_550
; %bb.545:
	v_lshrrev_b32_e32 v10, 24, v11
	s_movk_i32 s3, 0x80
	v_cmp_ne_u32_e32 vcc, s3, v10
	v_mov_b32_e32 v17, 0xffff8000
	s_and_saveexec_b64 s[6:7], vcc
	s_cbranch_execz .LBB674_549
; %bb.546:
	v_bfe_u32 v11, v11, 24, 7
	s_movk_i32 s3, 0x7f
	v_cmp_ne_u32_e32 vcc, s3, v11
	v_mov_b32_e32 v17, 0x7f80
	s_and_saveexec_b64 s[10:11], vcc
	s_cbranch_execz .LBB674_548
; %bb.547:
	v_and_b32_e32 v25, 7, v10
	v_ffbh_u32_e32 v16, v25
	v_min_u32_e32 v27, 32, v16
	v_subrev_u32_e32 v16, 28, v27
	v_lshlrev_b64 v[16:17], v16, v[10:11]
	v_lshrrev_b32_e32 v26, 3, v11
	v_sub_u32_e32 v17, 29, v27
	v_and_b32_e32 v16, 7, v16
	v_cmp_gt_u32_e32 vcc, 8, v11
	v_cndmask_b32_e32 v11, v26, v17, vcc
	v_cndmask_b32_e32 v16, v25, v16, vcc
	v_lshlrev_b32_e32 v10, 24, v10
	v_bfrev_b32_e32 v17, 60
	v_lshlrev_b32_e32 v16, 20, v16
	v_and_b32_e32 v10, 0x80000000, v10
	v_lshl_add_u32 v11, v11, 23, v17
	v_or3_b32 v10, v10, v11, v16
	v_lshrrev_b32_e32 v17, 16, v10
.LBB674_548:
	s_or_b64 exec, exec, s[10:11]
.LBB674_549:
	s_or_b64 exec, exec, s[6:7]
.LBB674_550:
	s_or_b64 exec, exec, s[0:1]
	s_mov_b32 s0, 0x5040100
	v_perm_b32 v11, v22, v21, s0
	v_perm_b32 v10, v19, v20, s0
	;; [unrolled: 1-line block ×4, first 2 shown]
	v_mfma_f32_4x4x4bf16_1k a[0:3], v[14:15], v[10:11], a[0:3] cbsz:4 abid:4
	v_mov_b32_e32 v18, 0
	v_mfma_f32_4x4x4bf16_1k a[0:3], v[14:15], v[16:17], a[0:3] cbsz:4 abid:5
	v_mov_b32_e32 v17, 0
	v_cmp_ne_u16_sdwa s[6:7], v12, v17 src0_sel:BYTE_0 src1_sel:DWORD
	s_and_saveexec_b64 s[0:1], s[6:7]
	s_cbranch_execz .LBB674_556
; %bb.551:
	s_movk_i32 s3, 0x80
	v_cmp_ne_u16_sdwa s[10:11], v12, s3 src0_sel:BYTE_0 src1_sel:DWORD
	v_mov_b32_e32 v18, 0xffff8000
	s_and_saveexec_b64 s[6:7], s[10:11]
	s_cbranch_execz .LBB674_555
; %bb.552:
	s_movk_i32 s3, 0x7f
	v_and_b32_e32 v10, 0x7f, v12
	v_cmp_ne_u32_e32 vcc, s3, v10
	v_mov_b32_e32 v18, 0x7f80
	s_and_saveexec_b64 s[10:11], vcc
	s_cbranch_execz .LBB674_554
; %bb.553:
	v_and_b32_e32 v11, 7, v12
	v_ffbh_u32_e32 v11, v11
	v_min_u32_e32 v11, 32, v11
	v_subrev_u32_e32 v18, 28, v11
	v_cmp_gt_u32_e32 vcc, 8, v10
	v_lshrrev_b32_e32 v16, 3, v10
	v_sub_u32_e32 v11, 29, v11
	v_cndmask_b32_e32 v10, 0, v18, vcc
	v_cndmask_b32_e32 v16, v16, v11, vcc
	v_lshlrev_b64 v[10:11], v10, v[12:13]
	v_lshlrev_b32_e32 v10, 20, v10
	v_lshlrev_b32_e32 v11, 24, v12
	v_bfrev_b32_e32 v18, 60
	v_and_b32_e32 v10, 0x700000, v10
	v_and_b32_e32 v11, 0x80000000, v11
	v_lshl_add_u32 v16, v16, 23, v18
	v_or3_b32 v10, v11, v16, v10
	v_lshrrev_b32_e32 v18, 16, v10
.LBB674_554:
	s_or_b64 exec, exec, s[10:11]
.LBB674_555:
	s_or_b64 exec, exec, s[6:7]
.LBB674_556:
	s_or_b64 exec, exec, s[0:1]
	v_lshrrev_b16_e32 v10, 8, v12
	v_cmp_ne_u16_e32 vcc, 0, v10
	s_and_saveexec_b64 s[0:1], vcc
	s_cbranch_execz .LBB674_562
; %bb.557:
	s_movk_i32 s3, 0x80
	v_cmp_ne_u16_e32 vcc, s3, v10
	v_mov_b32_e32 v17, 0xffff8000
	s_and_saveexec_b64 s[6:7], vcc
	s_cbranch_execz .LBB674_561
; %bb.558:
	s_movk_i32 s3, 0x7f
	v_and_b32_e32 v11, 0x7f, v10
	v_cmp_ne_u32_e32 vcc, s3, v11
	v_mov_b32_e32 v17, 0x7f80
	s_and_saveexec_b64 s[10:11], vcc
	s_cbranch_execz .LBB674_560
; %bb.559:
	v_and_b32_e32 v19, 7, v10
	v_ffbh_u32_e32 v16, v19
	v_min_u32_e32 v21, 32, v16
	v_subrev_u32_e32 v16, 28, v21
	v_lshlrev_b64 v[16:17], v16, v[10:11]
	v_lshrrev_b32_e32 v20, 3, v11
	v_sub_u32_e32 v10, 29, v21
	v_and_b32_e32 v16, 7, v16
	v_cmp_gt_u32_e32 vcc, 8, v11
	v_cndmask_b32_e32 v10, v20, v10, vcc
	v_cndmask_b32_e32 v11, v19, v16, vcc
	v_lshlrev_b32_e32 v16, 16, v12
	v_bfrev_b32_e32 v17, 60
	v_lshlrev_b32_e32 v11, 20, v11
	v_and_b32_e32 v16, 0x80000000, v16
	v_lshl_add_u32 v10, v10, 23, v17
	v_or3_b32 v10, v16, v10, v11
	v_lshrrev_b32_e32 v17, 16, v10
.LBB674_560:
	s_or_b64 exec, exec, s[10:11]
.LBB674_561:
	s_or_b64 exec, exec, s[6:7]
.LBB674_562:
	s_or_b64 exec, exec, s[0:1]
	s_movk_i32 s0, 0xff
	v_and_b32_sdwa v16, v12, s0 dst_sel:DWORD dst_unused:UNUSED_PAD src0_sel:WORD_1 src1_sel:DWORD
	v_lshrrev_b32_e32 v10, 16, v12
	v_cmp_ne_u16_e32 vcc, 0, v16
	v_mov_b32_e32 v11, 0
	v_mov_b32_e32 v19, 0
	s_and_saveexec_b64 s[0:1], vcc
	s_cbranch_execz .LBB674_568
; %bb.563:
	s_movk_i32 s3, 0x80
	v_cmp_ne_u16_e32 vcc, s3, v16
	v_mov_b32_e32 v19, 0xffff8000
	s_and_saveexec_b64 s[6:7], vcc
	s_cbranch_execz .LBB674_567
; %bb.564:
	v_bfe_u32 v16, v12, 16, 7
	s_movk_i32 s3, 0x7f
	v_cmp_ne_u32_e32 vcc, s3, v16
	v_mov_b32_e32 v19, 0x7f80
	s_and_saveexec_b64 s[10:11], vcc
	s_cbranch_execz .LBB674_566
; %bb.565:
	v_and_b32_e32 v19, 7, v10
	v_ffbh_u32_e32 v20, v19
	v_min_u32_e32 v23, 32, v20
	v_subrev_u32_e32 v20, 28, v23
	v_lshlrev_b64 v[20:21], v20, v[10:11]
	v_and_b32_e32 v20, 7, v20
	v_cmp_gt_u32_e32 vcc, 8, v16
	v_lshrrev_b32_e32 v22, 3, v16
	v_sub_u32_e32 v10, 29, v23
	v_cndmask_b32_e32 v16, v19, v20, vcc
	v_mov_b32_e32 v19, 24
	v_cndmask_b32_e32 v10, v22, v10, vcc
	v_lshlrev_b32_sdwa v19, v19, v12 dst_sel:DWORD dst_unused:UNUSED_PAD src0_sel:DWORD src1_sel:WORD_1
	v_bfrev_b32_e32 v20, 60
	v_lshlrev_b32_e32 v16, 20, v16
	v_and_b32_e32 v19, 0x80000000, v19
	v_lshl_add_u32 v10, v10, 23, v20
	v_or3_b32 v10, v19, v10, v16
	v_lshrrev_b32_e32 v19, 16, v10
.LBB674_566:
	s_or_b64 exec, exec, s[10:11]
.LBB674_567:
	s_or_b64 exec, exec, s[6:7]
.LBB674_568:
	s_or_b64 exec, exec, s[0:1]
	s_mov_b32 s0, 0xffffff
	v_cmp_lt_u32_e32 vcc, s0, v12
	v_mov_b32_e32 v20, 0
	s_and_saveexec_b64 s[0:1], vcc
	s_cbranch_execz .LBB674_574
; %bb.569:
	v_lshrrev_b32_e32 v10, 24, v12
	s_movk_i32 s3, 0x80
	v_cmp_ne_u32_e32 vcc, s3, v10
	v_mov_b32_e32 v20, 0xffff8000
	s_and_saveexec_b64 s[6:7], vcc
	s_cbranch_execz .LBB674_573
; %bb.570:
	v_bfe_u32 v16, v12, 24, 7
	s_movk_i32 s3, 0x7f
	v_cmp_ne_u32_e32 vcc, s3, v16
	v_mov_b32_e32 v20, 0x7f80
	s_and_saveexec_b64 s[10:11], vcc
	s_cbranch_execz .LBB674_572
; %bb.571:
	v_and_b32_e32 v22, 7, v10
	v_ffbh_u32_e32 v20, v22
	v_min_u32_e32 v24, 32, v20
	v_subrev_u32_e32 v20, 28, v24
	v_lshlrev_b64 v[20:21], v20, v[10:11]
	v_lshrrev_b32_e32 v23, 3, v16
	v_sub_u32_e32 v21, 29, v24
	v_and_b32_e32 v20, 7, v20
	v_cmp_gt_u32_e32 vcc, 8, v16
	v_cndmask_b32_e32 v16, v23, v21, vcc
	v_cndmask_b32_e32 v20, v22, v20, vcc
	v_lshlrev_b32_e32 v10, 24, v10
	v_bfrev_b32_e32 v21, 60
	v_lshlrev_b32_e32 v20, 20, v20
	v_and_b32_e32 v10, 0x80000000, v10
	v_lshl_add_u32 v16, v16, 23, v21
	v_or3_b32 v10, v10, v16, v20
	v_lshrrev_b32_e32 v20, 16, v10
.LBB674_572:
	s_or_b64 exec, exec, s[10:11]
.LBB674_573:
	s_or_b64 exec, exec, s[6:7]
.LBB674_574:
	s_or_b64 exec, exec, s[0:1]
	v_mov_b32_e32 v21, 0
	v_mov_b32_e32 v10, v13
	v_cmp_ne_u16_sdwa s[6:7], v13, v21 src0_sel:BYTE_0 src1_sel:DWORD
	v_mov_b32_e32 v22, 0
	s_and_saveexec_b64 s[0:1], s[6:7]
	s_cbranch_execz .LBB674_580
; %bb.575:
	s_movk_i32 s3, 0x80
	v_cmp_ne_u16_sdwa s[10:11], v13, s3 src0_sel:BYTE_0 src1_sel:DWORD
	v_mov_b32_e32 v22, 0xffff8000
	s_and_saveexec_b64 s[6:7], s[10:11]
	s_cbranch_execz .LBB674_579
; %bb.576:
	s_movk_i32 s3, 0x7f
	v_and_b32_e32 v16, 0x7f, v13
	v_cmp_ne_u32_e32 vcc, s3, v16
	v_mov_b32_e32 v22, 0x7f80
	s_and_saveexec_b64 s[10:11], vcc
	s_cbranch_execz .LBB674_578
; %bb.577:
	v_and_b32_e32 v22, 7, v13
	v_ffbh_u32_e32 v22, v22
	v_min_u32_e32 v22, 32, v22
	v_lshrrev_b32_e32 v23, 3, v16
	v_subrev_u32_e32 v24, 28, v22
	v_sub_u32_e32 v22, 29, v22
	v_cmp_gt_u32_e32 vcc, 8, v16
	v_cndmask_b32_e32 v16, v23, v22, vcc
	v_cndmask_b32_e32 v22, 0, v24, vcc
	v_lshlrev_b64 v[22:23], v22, v[10:11]
	v_lshlrev_b32_e32 v11, 20, v22
	v_lshlrev_b32_e32 v22, 24, v10
	v_bfrev_b32_e32 v23, 60
	v_and_b32_e32 v11, 0x700000, v11
	v_and_b32_e32 v22, 0x80000000, v22
	v_lshl_add_u32 v16, v16, 23, v23
	v_or3_b32 v11, v22, v16, v11
	v_lshrrev_b32_e32 v22, 16, v11
.LBB674_578:
	s_or_b64 exec, exec, s[10:11]
.LBB674_579:
	s_or_b64 exec, exec, s[6:7]
.LBB674_580:
	s_or_b64 exec, exec, s[0:1]
	v_lshrrev_b16_e32 v16, 8, v10
	v_cmp_ne_u16_e32 vcc, 0, v16
	s_and_saveexec_b64 s[0:1], vcc
	s_cbranch_execz .LBB674_586
; %bb.581:
	s_movk_i32 s3, 0x80
	v_cmp_ne_u16_e32 vcc, s3, v16
	v_mov_b32_e32 v21, 0xffff8000
	s_and_saveexec_b64 s[6:7], vcc
	s_cbranch_execz .LBB674_585
; %bb.582:
	s_movk_i32 s3, 0x7f
	v_and_b32_e32 v11, 0x7f, v16
	v_cmp_ne_u32_e32 vcc, s3, v11
	v_mov_b32_e32 v21, 0x7f80
	s_and_saveexec_b64 s[10:11], vcc
	s_cbranch_execz .LBB674_584
; %bb.583:
	v_and_b32_e32 v21, 7, v16
	v_ffbh_u32_e32 v24, v21
	v_min_u32_e32 v26, 32, v24
	v_subrev_u32_e32 v24, 28, v26
	v_lshlrev_b64 v[24:25], v24, v[16:17]
	v_lshrrev_b32_e32 v23, 3, v11
	v_sub_u32_e32 v16, 29, v26
	v_and_b32_e32 v24, 7, v24
	v_cmp_gt_u32_e32 vcc, 8, v11
	v_cndmask_b32_e32 v11, v23, v16, vcc
	v_cndmask_b32_e32 v16, v21, v24, vcc
	v_lshlrev_b32_e32 v10, 16, v10
	v_bfrev_b32_e32 v21, 60
	v_lshlrev_b32_e32 v16, 20, v16
	v_and_b32_e32 v10, 0x80000000, v10
	v_lshl_add_u32 v11, v11, 23, v21
	v_or3_b32 v10, v10, v11, v16
	v_lshrrev_b32_e32 v21, 16, v10
.LBB674_584:
	s_or_b64 exec, exec, s[10:11]
.LBB674_585:
	s_or_b64 exec, exec, s[6:7]
.LBB674_586:
	s_or_b64 exec, exec, s[0:1]
	s_movk_i32 s0, 0xff
	v_and_b32_sdwa v23, v13, s0 dst_sel:DWORD dst_unused:UNUSED_PAD src0_sel:WORD_1 src1_sel:DWORD
	v_lshrrev_b32_e32 v10, 16, v13
	v_cmp_ne_u16_e32 vcc, 0, v23
	v_mov_b32_e32 v11, 0
	v_mov_b32_e32 v16, 0
	s_and_saveexec_b64 s[0:1], vcc
	s_cbranch_execz .LBB674_592
; %bb.587:
	s_movk_i32 s3, 0x80
	v_cmp_ne_u16_e32 vcc, s3, v23
	v_mov_b32_e32 v16, 0xffff8000
	s_and_saveexec_b64 s[6:7], vcc
	s_cbranch_execz .LBB674_591
; %bb.588:
	v_bfe_u32 v23, v13, 16, 7
	s_movk_i32 s3, 0x7f
	v_cmp_ne_u32_e32 vcc, s3, v23
	v_mov_b32_e32 v16, 0x7f80
	s_and_saveexec_b64 s[10:11], vcc
	s_cbranch_execz .LBB674_590
; %bb.589:
	v_and_b32_e32 v16, 7, v10
	v_ffbh_u32_e32 v24, v16
	v_min_u32_e32 v27, 32, v24
	v_subrev_u32_e32 v24, 28, v27
	v_lshlrev_b64 v[24:25], v24, v[10:11]
	v_lshrrev_b32_e32 v26, 3, v23
	v_sub_u32_e32 v10, 29, v27
	v_and_b32_e32 v24, 7, v24
	v_cmp_gt_u32_e32 vcc, 8, v23
	v_mov_b32_e32 v23, 24
	v_cndmask_b32_e32 v10, v26, v10, vcc
	v_cndmask_b32_e32 v16, v16, v24, vcc
	v_lshlrev_b32_sdwa v23, v23, v13 dst_sel:DWORD dst_unused:UNUSED_PAD src0_sel:DWORD src1_sel:WORD_1
	v_bfrev_b32_e32 v24, 60
	v_lshlrev_b32_e32 v16, 20, v16
	v_and_b32_e32 v23, 0x80000000, v23
	v_lshl_add_u32 v10, v10, 23, v24
	v_or3_b32 v10, v23, v10, v16
	v_lshrrev_b32_e32 v16, 16, v10
.LBB674_590:
	s_or_b64 exec, exec, s[10:11]
.LBB674_591:
	s_or_b64 exec, exec, s[6:7]
.LBB674_592:
	s_or_b64 exec, exec, s[0:1]
	s_mov_b32 s0, -1
	s_mov_b32 s1, 0xffffff
	v_cmp_lt_u64_e32 vcc, s[0:1], v[12:13]
	s_and_saveexec_b64 s[0:1], vcc
	s_cbranch_execz .LBB674_598
; %bb.593:
	v_lshrrev_b32_e32 v10, 24, v13
	s_movk_i32 s3, 0x80
	v_cmp_ne_u32_e32 vcc, s3, v10
	v_mov_b32_e32 v11, 0xffff8000
	s_and_saveexec_b64 s[6:7], vcc
	s_cbranch_execz .LBB674_597
; %bb.594:
	v_bfe_u32 v12, v13, 24, 7
	s_movk_i32 s3, 0x7f
	v_cmp_ne_u32_e32 vcc, s3, v12
	v_mov_b32_e32 v11, 0x7f80
	s_and_saveexec_b64 s[10:11], vcc
	s_cbranch_execz .LBB674_596
; %bb.595:
	v_and_b32_e32 v11, 7, v10
	v_ffbh_u32_e32 v23, v11
	v_min_u32_e32 v23, 32, v23
	v_subrev_u32_e32 v24, 28, v23
	v_lshlrev_b64 v[24:25], v24, v[10:11]
	v_lshrrev_b32_e32 v13, 3, v12
	v_sub_u32_e32 v23, 29, v23
	v_and_b32_e32 v24, 7, v24
	v_cmp_gt_u32_e32 vcc, 8, v12
	v_cndmask_b32_e32 v12, v13, v23, vcc
	v_cndmask_b32_e32 v11, v11, v24, vcc
	v_lshlrev_b32_e32 v10, 24, v10
	v_bfrev_b32_e32 v13, 60
	v_lshlrev_b32_e32 v11, 20, v11
	v_and_b32_e32 v10, 0x80000000, v10
	v_lshl_add_u32 v12, v12, 23, v13
	v_or3_b32 v10, v10, v12, v11
	v_lshrrev_b32_e32 v11, 16, v10
.LBB674_596:
	s_or_b64 exec, exec, s[10:11]
.LBB674_597:
	s_or_b64 exec, exec, s[6:7]
.LBB674_598:
	s_or_b64 exec, exec, s[0:1]
	s_mov_b32 s0, 0x5040100
	v_perm_b32 v13, v20, v19, s0
	v_perm_b32 v12, v17, v18, s0
	;; [unrolled: 1-line block ×4, first 2 shown]
	v_mfma_f32_4x4x4bf16_1k a[0:3], v[14:15], v[12:13], a[0:3] cbsz:4 abid:6
	v_mov_b32_e32 v13, 0
	v_mfma_f32_4x4x4bf16_1k a[0:3], v[14:15], v[10:11], a[0:3] cbsz:4 abid:7
	s_waitcnt vmcnt(1)
	v_cmp_ne_u16_sdwa s[6:7], v6, v13 src0_sel:BYTE_0 src1_sel:DWORD
	v_mov_b32_e32 v16, 0
	s_and_saveexec_b64 s[0:1], s[6:7]
	s_cbranch_execz .LBB674_604
; %bb.599:
	s_movk_i32 s3, 0x80
	v_cmp_ne_u16_sdwa s[10:11], v6, s3 src0_sel:BYTE_0 src1_sel:DWORD
	v_mov_b32_e32 v16, 0xffff8000
	s_and_saveexec_b64 s[6:7], s[10:11]
	s_cbranch_execz .LBB674_603
; %bb.600:
	s_movk_i32 s3, 0x7f
	v_and_b32_e32 v10, 0x7f, v6
	v_cmp_ne_u32_e32 vcc, s3, v10
	v_mov_b32_e32 v16, 0x7f80
	s_and_saveexec_b64 s[10:11], vcc
	s_cbranch_execz .LBB674_602
; %bb.601:
	v_and_b32_e32 v11, 7, v6
	v_ffbh_u32_e32 v11, v11
	v_min_u32_e32 v11, 32, v11
	v_subrev_u32_e32 v16, 28, v11
	v_cmp_gt_u32_e32 vcc, 8, v10
	v_lshrrev_b32_e32 v12, 3, v10
	v_sub_u32_e32 v11, 29, v11
	v_cndmask_b32_e32 v10, 0, v16, vcc
	v_cndmask_b32_e32 v12, v12, v11, vcc
	v_lshlrev_b64 v[10:11], v10, v[6:7]
	v_lshlrev_b32_e32 v10, 20, v10
	v_lshlrev_b32_e32 v11, 24, v6
	v_bfrev_b32_e32 v16, 60
	v_and_b32_e32 v10, 0x700000, v10
	v_and_b32_e32 v11, 0x80000000, v11
	v_lshl_add_u32 v12, v12, 23, v16
	v_or3_b32 v10, v11, v12, v10
	v_lshrrev_b32_e32 v16, 16, v10
.LBB674_602:
	s_or_b64 exec, exec, s[10:11]
.LBB674_603:
	s_or_b64 exec, exec, s[6:7]
.LBB674_604:
	s_or_b64 exec, exec, s[0:1]
	v_lshrrev_b16_e32 v10, 8, v6
	v_cmp_ne_u16_e32 vcc, 0, v10
	s_and_saveexec_b64 s[0:1], vcc
	s_cbranch_execz .LBB674_610
; %bb.605:
	s_movk_i32 s3, 0x80
	v_cmp_ne_u16_e32 vcc, s3, v10
	v_mov_b32_e32 v13, 0xffff8000
	s_and_saveexec_b64 s[6:7], vcc
	s_cbranch_execz .LBB674_609
; %bb.606:
	s_movk_i32 s3, 0x7f
	v_and_b32_e32 v11, 0x7f, v10
	v_cmp_ne_u32_e32 vcc, s3, v11
	v_mov_b32_e32 v13, 0x7f80
	s_and_saveexec_b64 s[10:11], vcc
	s_cbranch_execz .LBB674_608
; %bb.607:
	v_and_b32_e32 v17, 7, v10
	v_ffbh_u32_e32 v12, v17
	v_min_u32_e32 v19, 32, v12
	v_subrev_u32_e32 v12, 28, v19
	v_lshlrev_b64 v[12:13], v12, v[10:11]
	v_lshrrev_b32_e32 v18, 3, v11
	v_sub_u32_e32 v10, 29, v19
	v_and_b32_e32 v12, 7, v12
	v_cmp_gt_u32_e32 vcc, 8, v11
	v_cndmask_b32_e32 v10, v18, v10, vcc
	v_cndmask_b32_e32 v11, v17, v12, vcc
	v_lshlrev_b32_e32 v12, 16, v6
	v_bfrev_b32_e32 v13, 60
	v_lshlrev_b32_e32 v11, 20, v11
	v_and_b32_e32 v12, 0x80000000, v12
	v_lshl_add_u32 v10, v10, 23, v13
	v_or3_b32 v10, v12, v10, v11
	v_lshrrev_b32_e32 v13, 16, v10
.LBB674_608:
	s_or_b64 exec, exec, s[10:11]
.LBB674_609:
	s_or_b64 exec, exec, s[6:7]
.LBB674_610:
	s_or_b64 exec, exec, s[0:1]
	s_movk_i32 s0, 0xff
	v_and_b32_sdwa v12, v6, s0 dst_sel:DWORD dst_unused:UNUSED_PAD src0_sel:WORD_1 src1_sel:DWORD
	v_lshrrev_b32_e32 v10, 16, v6
	v_cmp_ne_u16_e32 vcc, 0, v12
	v_mov_b32_e32 v11, 0
	v_mov_b32_e32 v17, 0
	s_and_saveexec_b64 s[0:1], vcc
	s_cbranch_execz .LBB674_616
; %bb.611:
	s_movk_i32 s3, 0x80
	v_cmp_ne_u16_e32 vcc, s3, v12
	v_mov_b32_e32 v17, 0xffff8000
	s_and_saveexec_b64 s[6:7], vcc
	s_cbranch_execz .LBB674_615
; %bb.612:
	v_bfe_u32 v12, v6, 16, 7
	s_movk_i32 s3, 0x7f
	v_cmp_ne_u32_e32 vcc, s3, v12
	v_mov_b32_e32 v17, 0x7f80
	s_and_saveexec_b64 s[10:11], vcc
	s_cbranch_execz .LBB674_614
; %bb.613:
	v_and_b32_e32 v17, 7, v10
	v_ffbh_u32_e32 v18, v17
	v_min_u32_e32 v21, 32, v18
	v_subrev_u32_e32 v18, 28, v21
	v_lshlrev_b64 v[18:19], v18, v[10:11]
	v_and_b32_e32 v18, 7, v18
	v_cmp_gt_u32_e32 vcc, 8, v12
	v_lshrrev_b32_e32 v20, 3, v12
	v_sub_u32_e32 v10, 29, v21
	v_cndmask_b32_e32 v12, v17, v18, vcc
	v_mov_b32_e32 v17, 24
	v_cndmask_b32_e32 v10, v20, v10, vcc
	v_lshlrev_b32_sdwa v17, v17, v6 dst_sel:DWORD dst_unused:UNUSED_PAD src0_sel:DWORD src1_sel:WORD_1
	v_bfrev_b32_e32 v18, 60
	v_lshlrev_b32_e32 v12, 20, v12
	v_and_b32_e32 v17, 0x80000000, v17
	v_lshl_add_u32 v10, v10, 23, v18
	v_or3_b32 v10, v17, v10, v12
	v_lshrrev_b32_e32 v17, 16, v10
.LBB674_614:
	s_or_b64 exec, exec, s[10:11]
.LBB674_615:
	s_or_b64 exec, exec, s[6:7]
.LBB674_616:
	s_or_b64 exec, exec, s[0:1]
	s_mov_b32 s0, 0xffffff
	v_cmp_lt_u32_e32 vcc, s0, v6
	v_mov_b32_e32 v18, 0
	s_and_saveexec_b64 s[0:1], vcc
	s_cbranch_execz .LBB674_622
; %bb.617:
	v_lshrrev_b32_e32 v10, 24, v6
	s_movk_i32 s3, 0x80
	v_cmp_ne_u32_e32 vcc, s3, v10
	v_mov_b32_e32 v18, 0xffff8000
	s_and_saveexec_b64 s[6:7], vcc
	s_cbranch_execz .LBB674_621
; %bb.618:
	v_bfe_u32 v12, v6, 24, 7
	s_movk_i32 s3, 0x7f
	v_cmp_ne_u32_e32 vcc, s3, v12
	v_mov_b32_e32 v18, 0x7f80
	s_and_saveexec_b64 s[10:11], vcc
	s_cbranch_execz .LBB674_620
; %bb.619:
	v_and_b32_e32 v20, 7, v10
	v_ffbh_u32_e32 v18, v20
	v_min_u32_e32 v22, 32, v18
	v_subrev_u32_e32 v18, 28, v22
	v_lshlrev_b64 v[18:19], v18, v[10:11]
	v_lshrrev_b32_e32 v21, 3, v12
	v_sub_u32_e32 v19, 29, v22
	v_and_b32_e32 v18, 7, v18
	v_cmp_gt_u32_e32 vcc, 8, v12
	v_cndmask_b32_e32 v12, v21, v19, vcc
	v_cndmask_b32_e32 v18, v20, v18, vcc
	v_lshlrev_b32_e32 v10, 24, v10
	v_bfrev_b32_e32 v19, 60
	v_lshlrev_b32_e32 v18, 20, v18
	v_and_b32_e32 v10, 0x80000000, v10
	v_lshl_add_u32 v12, v12, 23, v19
	v_or3_b32 v10, v10, v12, v18
	v_lshrrev_b32_e32 v18, 16, v10
.LBB674_620:
	s_or_b64 exec, exec, s[10:11]
.LBB674_621:
	s_or_b64 exec, exec, s[6:7]
.LBB674_622:
	s_or_b64 exec, exec, s[0:1]
	v_mov_b32_e32 v19, 0
	v_mov_b32_e32 v10, v7
	v_cmp_ne_u16_sdwa s[6:7], v7, v19 src0_sel:BYTE_0 src1_sel:DWORD
	v_mov_b32_e32 v20, 0
	s_and_saveexec_b64 s[0:1], s[6:7]
	s_cbranch_execz .LBB674_628
; %bb.623:
	s_movk_i32 s3, 0x80
	v_cmp_ne_u16_sdwa s[10:11], v7, s3 src0_sel:BYTE_0 src1_sel:DWORD
	v_mov_b32_e32 v20, 0xffff8000
	s_and_saveexec_b64 s[6:7], s[10:11]
	s_cbranch_execz .LBB674_627
; %bb.624:
	s_movk_i32 s3, 0x7f
	v_and_b32_e32 v12, 0x7f, v7
	v_cmp_ne_u32_e32 vcc, s3, v12
	v_mov_b32_e32 v20, 0x7f80
	s_and_saveexec_b64 s[10:11], vcc
	s_cbranch_execz .LBB674_626
; %bb.625:
	v_and_b32_e32 v20, 7, v7
	v_ffbh_u32_e32 v20, v20
	v_min_u32_e32 v20, 32, v20
	v_lshrrev_b32_e32 v21, 3, v12
	v_subrev_u32_e32 v22, 28, v20
	v_sub_u32_e32 v20, 29, v20
	v_cmp_gt_u32_e32 vcc, 8, v12
	v_cndmask_b32_e32 v12, v21, v20, vcc
	v_cndmask_b32_e32 v20, 0, v22, vcc
	v_lshlrev_b64 v[20:21], v20, v[10:11]
	v_lshlrev_b32_e32 v11, 20, v20
	v_lshlrev_b32_e32 v20, 24, v10
	v_bfrev_b32_e32 v21, 60
	v_and_b32_e32 v11, 0x700000, v11
	v_and_b32_e32 v20, 0x80000000, v20
	v_lshl_add_u32 v12, v12, 23, v21
	v_or3_b32 v11, v20, v12, v11
	v_lshrrev_b32_e32 v20, 16, v11
.LBB674_626:
	s_or_b64 exec, exec, s[10:11]
.LBB674_627:
	s_or_b64 exec, exec, s[6:7]
.LBB674_628:
	s_or_b64 exec, exec, s[0:1]
	v_lshrrev_b16_e32 v12, 8, v10
	v_cmp_ne_u16_e32 vcc, 0, v12
	s_and_saveexec_b64 s[0:1], vcc
	s_cbranch_execz .LBB674_634
; %bb.629:
	s_movk_i32 s3, 0x80
	v_cmp_ne_u16_e32 vcc, s3, v12
	v_mov_b32_e32 v19, 0xffff8000
	s_and_saveexec_b64 s[6:7], vcc
	s_cbranch_execz .LBB674_633
; %bb.630:
	s_movk_i32 s3, 0x7f
	v_and_b32_e32 v11, 0x7f, v12
	v_cmp_ne_u32_e32 vcc, s3, v11
	v_mov_b32_e32 v19, 0x7f80
	s_and_saveexec_b64 s[10:11], vcc
	s_cbranch_execz .LBB674_632
; %bb.631:
	v_and_b32_e32 v19, 7, v12
	v_ffbh_u32_e32 v22, v19
	v_min_u32_e32 v24, 32, v22
	v_subrev_u32_e32 v22, 28, v24
	v_lshlrev_b64 v[22:23], v22, v[12:13]
	v_lshrrev_b32_e32 v21, 3, v11
	v_sub_u32_e32 v12, 29, v24
	v_and_b32_e32 v22, 7, v22
	v_cmp_gt_u32_e32 vcc, 8, v11
	v_cndmask_b32_e32 v11, v21, v12, vcc
	v_cndmask_b32_e32 v12, v19, v22, vcc
	v_lshlrev_b32_e32 v10, 16, v10
	v_bfrev_b32_e32 v19, 60
	v_lshlrev_b32_e32 v12, 20, v12
	v_and_b32_e32 v10, 0x80000000, v10
	v_lshl_add_u32 v11, v11, 23, v19
	v_or3_b32 v10, v10, v11, v12
	v_lshrrev_b32_e32 v19, 16, v10
.LBB674_632:
	s_or_b64 exec, exec, s[10:11]
.LBB674_633:
	s_or_b64 exec, exec, s[6:7]
.LBB674_634:
	s_or_b64 exec, exec, s[0:1]
	s_movk_i32 s0, 0xff
	v_and_b32_sdwa v21, v7, s0 dst_sel:DWORD dst_unused:UNUSED_PAD src0_sel:WORD_1 src1_sel:DWORD
	v_lshrrev_b32_e32 v10, 16, v7
	v_cmp_ne_u16_e32 vcc, 0, v21
	v_mov_b32_e32 v11, 0
	v_mov_b32_e32 v12, 0
	s_and_saveexec_b64 s[0:1], vcc
	s_cbranch_execz .LBB674_640
; %bb.635:
	s_movk_i32 s3, 0x80
	v_cmp_ne_u16_e32 vcc, s3, v21
	v_mov_b32_e32 v12, 0xffff8000
	s_and_saveexec_b64 s[6:7], vcc
	s_cbranch_execz .LBB674_639
; %bb.636:
	v_bfe_u32 v21, v7, 16, 7
	s_movk_i32 s3, 0x7f
	v_cmp_ne_u32_e32 vcc, s3, v21
	v_mov_b32_e32 v12, 0x7f80
	s_and_saveexec_b64 s[10:11], vcc
	s_cbranch_execz .LBB674_638
; %bb.637:
	v_and_b32_e32 v12, 7, v10
	v_ffbh_u32_e32 v22, v12
	v_min_u32_e32 v25, 32, v22
	v_subrev_u32_e32 v22, 28, v25
	v_lshlrev_b64 v[22:23], v22, v[10:11]
	v_lshrrev_b32_e32 v24, 3, v21
	v_sub_u32_e32 v10, 29, v25
	v_and_b32_e32 v22, 7, v22
	v_cmp_gt_u32_e32 vcc, 8, v21
	v_mov_b32_e32 v21, 24
	v_cndmask_b32_e32 v10, v24, v10, vcc
	v_cndmask_b32_e32 v12, v12, v22, vcc
	v_lshlrev_b32_sdwa v21, v21, v7 dst_sel:DWORD dst_unused:UNUSED_PAD src0_sel:DWORD src1_sel:WORD_1
	v_bfrev_b32_e32 v22, 60
	v_lshlrev_b32_e32 v12, 20, v12
	v_and_b32_e32 v21, 0x80000000, v21
	v_lshl_add_u32 v10, v10, 23, v22
	v_or3_b32 v10, v21, v10, v12
	v_lshrrev_b32_e32 v12, 16, v10
.LBB674_638:
	s_or_b64 exec, exec, s[10:11]
.LBB674_639:
	s_or_b64 exec, exec, s[6:7]
.LBB674_640:
	s_or_b64 exec, exec, s[0:1]
	s_mov_b32 s0, -1
	s_mov_b32 s1, 0xffffff
	v_cmp_lt_u64_e32 vcc, s[0:1], v[6:7]
	s_and_saveexec_b64 s[0:1], vcc
	s_cbranch_execz .LBB674_646
; %bb.641:
	v_lshrrev_b32_e32 v6, 24, v7
	s_movk_i32 s3, 0x80
	v_cmp_ne_u32_e32 vcc, s3, v6
	v_mov_b32_e32 v11, 0xffff8000
	s_and_saveexec_b64 s[6:7], vcc
	s_cbranch_execz .LBB674_645
; %bb.642:
	v_bfe_u32 v7, v7, 24, 7
	s_movk_i32 s3, 0x7f
	v_cmp_ne_u32_e32 vcc, s3, v7
	v_mov_b32_e32 v11, 0x7f80
	s_and_saveexec_b64 s[10:11], vcc
	s_cbranch_execz .LBB674_644
; %bb.643:
	v_and_b32_e32 v21, 7, v6
	v_ffbh_u32_e32 v10, v21
	v_min_u32_e32 v23, 32, v10
	v_subrev_u32_e32 v10, 28, v23
	v_lshlrev_b64 v[10:11], v10, v[6:7]
	v_lshrrev_b32_e32 v22, 3, v7
	v_sub_u32_e32 v11, 29, v23
	v_and_b32_e32 v10, 7, v10
	v_cmp_gt_u32_e32 vcc, 8, v7
	v_cndmask_b32_e32 v7, v22, v11, vcc
	v_cndmask_b32_e32 v10, v21, v10, vcc
	v_lshlrev_b32_e32 v6, 24, v6
	v_bfrev_b32_e32 v11, 60
	v_lshlrev_b32_e32 v10, 20, v10
	v_and_b32_e32 v6, 0x80000000, v6
	v_lshl_add_u32 v7, v7, 23, v11
	v_or3_b32 v6, v6, v7, v10
	v_lshrrev_b32_e32 v11, 16, v6
.LBB674_644:
	s_or_b64 exec, exec, s[10:11]
.LBB674_645:
	s_or_b64 exec, exec, s[6:7]
.LBB674_646:
	s_or_b64 exec, exec, s[0:1]
	s_mov_b32 s0, 0x5040100
	v_perm_b32 v7, v18, v17, s0
	v_perm_b32 v6, v13, v16, s0
	;; [unrolled: 1-line block ×4, first 2 shown]
	v_mfma_f32_4x4x4bf16_1k a[0:3], v[14:15], v[6:7], a[0:3] cbsz:4 abid:8
	v_mov_b32_e32 v12, 0
	v_mfma_f32_4x4x4bf16_1k a[0:3], v[14:15], v[10:11], a[0:3] cbsz:4 abid:9
	v_mov_b32_e32 v11, 0
	v_cmp_ne_u16_sdwa s[6:7], v8, v11 src0_sel:BYTE_0 src1_sel:DWORD
	s_and_saveexec_b64 s[0:1], s[6:7]
	s_cbranch_execz .LBB674_652
; %bb.647:
	s_movk_i32 s3, 0x80
	v_cmp_ne_u16_sdwa s[10:11], v8, s3 src0_sel:BYTE_0 src1_sel:DWORD
	v_mov_b32_e32 v12, 0xffff8000
	s_and_saveexec_b64 s[6:7], s[10:11]
	s_cbranch_execz .LBB674_651
; %bb.648:
	s_movk_i32 s3, 0x7f
	v_and_b32_e32 v6, 0x7f, v8
	v_cmp_ne_u32_e32 vcc, s3, v6
	v_mov_b32_e32 v12, 0x7f80
	s_and_saveexec_b64 s[10:11], vcc
	s_cbranch_execz .LBB674_650
; %bb.649:
	v_and_b32_e32 v7, 7, v8
	v_ffbh_u32_e32 v7, v7
	v_min_u32_e32 v7, 32, v7
	v_subrev_u32_e32 v12, 28, v7
	v_cmp_gt_u32_e32 vcc, 8, v6
	v_lshrrev_b32_e32 v10, 3, v6
	v_sub_u32_e32 v7, 29, v7
	v_cndmask_b32_e32 v6, 0, v12, vcc
	v_cndmask_b32_e32 v10, v10, v7, vcc
	v_lshlrev_b64 v[6:7], v6, v[8:9]
	v_lshlrev_b32_e32 v6, 20, v6
	v_lshlrev_b32_e32 v7, 24, v8
	v_bfrev_b32_e32 v12, 60
	v_and_b32_e32 v6, 0x700000, v6
	v_and_b32_e32 v7, 0x80000000, v7
	v_lshl_add_u32 v10, v10, 23, v12
	v_or3_b32 v6, v7, v10, v6
	v_lshrrev_b32_e32 v12, 16, v6
.LBB674_650:
	s_or_b64 exec, exec, s[10:11]
.LBB674_651:
	s_or_b64 exec, exec, s[6:7]
.LBB674_652:
	s_or_b64 exec, exec, s[0:1]
	v_lshrrev_b16_e32 v6, 8, v8
	v_cmp_ne_u16_e32 vcc, 0, v6
	s_and_saveexec_b64 s[0:1], vcc
	s_cbranch_execz .LBB674_658
; %bb.653:
	s_movk_i32 s3, 0x80
	v_cmp_ne_u16_e32 vcc, s3, v6
	v_mov_b32_e32 v11, 0xffff8000
	s_and_saveexec_b64 s[6:7], vcc
	s_cbranch_execz .LBB674_657
; %bb.654:
	s_movk_i32 s3, 0x7f
	v_and_b32_e32 v7, 0x7f, v6
	v_cmp_ne_u32_e32 vcc, s3, v7
	v_mov_b32_e32 v11, 0x7f80
	s_and_saveexec_b64 s[10:11], vcc
	s_cbranch_execz .LBB674_656
; %bb.655:
	v_and_b32_e32 v13, 7, v6
	v_ffbh_u32_e32 v10, v13
	v_min_u32_e32 v17, 32, v10
	v_subrev_u32_e32 v10, 28, v17
	v_lshlrev_b64 v[10:11], v10, v[6:7]
	v_lshrrev_b32_e32 v16, 3, v7
	v_sub_u32_e32 v6, 29, v17
	v_and_b32_e32 v10, 7, v10
	v_cmp_gt_u32_e32 vcc, 8, v7
	v_cndmask_b32_e32 v6, v16, v6, vcc
	v_cndmask_b32_e32 v7, v13, v10, vcc
	v_lshlrev_b32_e32 v10, 16, v8
	v_bfrev_b32_e32 v11, 60
	v_lshlrev_b32_e32 v7, 20, v7
	v_and_b32_e32 v10, 0x80000000, v10
	v_lshl_add_u32 v6, v6, 23, v11
	v_or3_b32 v6, v10, v6, v7
	v_lshrrev_b32_e32 v11, 16, v6
.LBB674_656:
	s_or_b64 exec, exec, s[10:11]
.LBB674_657:
	s_or_b64 exec, exec, s[6:7]
.LBB674_658:
	s_or_b64 exec, exec, s[0:1]
	s_movk_i32 s0, 0xff
	v_and_b32_sdwa v10, v8, s0 dst_sel:DWORD dst_unused:UNUSED_PAD src0_sel:WORD_1 src1_sel:DWORD
	v_lshrrev_b32_e32 v6, 16, v8
	v_cmp_ne_u16_e32 vcc, 0, v10
	v_mov_b32_e32 v7, 0
	v_mov_b32_e32 v13, 0
	s_and_saveexec_b64 s[0:1], vcc
	s_cbranch_execz .LBB674_664
; %bb.659:
	s_movk_i32 s3, 0x80
	v_cmp_ne_u16_e32 vcc, s3, v10
	v_mov_b32_e32 v13, 0xffff8000
	s_and_saveexec_b64 s[6:7], vcc
	s_cbranch_execz .LBB674_663
; %bb.660:
	v_bfe_u32 v10, v8, 16, 7
	s_movk_i32 s3, 0x7f
	v_cmp_ne_u32_e32 vcc, s3, v10
	v_mov_b32_e32 v13, 0x7f80
	s_and_saveexec_b64 s[10:11], vcc
	s_cbranch_execz .LBB674_662
; %bb.661:
	v_and_b32_e32 v13, 7, v6
	v_ffbh_u32_e32 v16, v13
	v_min_u32_e32 v19, 32, v16
	v_subrev_u32_e32 v16, 28, v19
	v_lshlrev_b64 v[16:17], v16, v[6:7]
	v_and_b32_e32 v16, 7, v16
	v_cmp_gt_u32_e32 vcc, 8, v10
	v_lshrrev_b32_e32 v18, 3, v10
	v_sub_u32_e32 v6, 29, v19
	v_cndmask_b32_e32 v10, v13, v16, vcc
	v_mov_b32_e32 v13, 24
	v_cndmask_b32_e32 v6, v18, v6, vcc
	v_lshlrev_b32_sdwa v13, v13, v8 dst_sel:DWORD dst_unused:UNUSED_PAD src0_sel:DWORD src1_sel:WORD_1
	v_bfrev_b32_e32 v16, 60
	v_lshlrev_b32_e32 v10, 20, v10
	v_and_b32_e32 v13, 0x80000000, v13
	v_lshl_add_u32 v6, v6, 23, v16
	v_or3_b32 v6, v13, v6, v10
	v_lshrrev_b32_e32 v13, 16, v6
.LBB674_662:
	s_or_b64 exec, exec, s[10:11]
.LBB674_663:
	s_or_b64 exec, exec, s[6:7]
.LBB674_664:
	s_or_b64 exec, exec, s[0:1]
	s_mov_b32 s0, 0xffffff
	v_cmp_lt_u32_e32 vcc, s0, v8
	v_mov_b32_e32 v16, 0
	s_and_saveexec_b64 s[0:1], vcc
	s_cbranch_execz .LBB674_670
; %bb.665:
	v_lshrrev_b32_e32 v6, 24, v8
	s_movk_i32 s3, 0x80
	v_cmp_ne_u32_e32 vcc, s3, v6
	v_mov_b32_e32 v16, 0xffff8000
	s_and_saveexec_b64 s[6:7], vcc
	s_cbranch_execz .LBB674_669
; %bb.666:
	v_bfe_u32 v10, v8, 24, 7
	s_movk_i32 s3, 0x7f
	v_cmp_ne_u32_e32 vcc, s3, v10
	v_mov_b32_e32 v16, 0x7f80
	s_and_saveexec_b64 s[10:11], vcc
	s_cbranch_execz .LBB674_668
; %bb.667:
	v_and_b32_e32 v18, 7, v6
	v_ffbh_u32_e32 v16, v18
	v_min_u32_e32 v20, 32, v16
	v_subrev_u32_e32 v16, 28, v20
	v_lshlrev_b64 v[16:17], v16, v[6:7]
	v_lshrrev_b32_e32 v19, 3, v10
	v_sub_u32_e32 v17, 29, v20
	v_and_b32_e32 v16, 7, v16
	v_cmp_gt_u32_e32 vcc, 8, v10
	v_cndmask_b32_e32 v10, v19, v17, vcc
	v_cndmask_b32_e32 v16, v18, v16, vcc
	v_lshlrev_b32_e32 v6, 24, v6
	v_bfrev_b32_e32 v17, 60
	v_lshlrev_b32_e32 v16, 20, v16
	v_and_b32_e32 v6, 0x80000000, v6
	v_lshl_add_u32 v10, v10, 23, v17
	v_or3_b32 v6, v6, v10, v16
	v_lshrrev_b32_e32 v16, 16, v6
.LBB674_668:
	s_or_b64 exec, exec, s[10:11]
.LBB674_669:
	s_or_b64 exec, exec, s[6:7]
.LBB674_670:
	s_or_b64 exec, exec, s[0:1]
	v_mov_b32_e32 v17, 0
	v_mov_b32_e32 v6, v9
	v_cmp_ne_u16_sdwa s[6:7], v9, v17 src0_sel:BYTE_0 src1_sel:DWORD
	v_mov_b32_e32 v18, 0
	s_and_saveexec_b64 s[0:1], s[6:7]
	s_cbranch_execz .LBB674_676
; %bb.671:
	s_movk_i32 s3, 0x80
	v_cmp_ne_u16_sdwa s[10:11], v9, s3 src0_sel:BYTE_0 src1_sel:DWORD
	v_mov_b32_e32 v18, 0xffff8000
	s_and_saveexec_b64 s[6:7], s[10:11]
	s_cbranch_execz .LBB674_675
; %bb.672:
	s_movk_i32 s3, 0x7f
	v_and_b32_e32 v10, 0x7f, v9
	v_cmp_ne_u32_e32 vcc, s3, v10
	v_mov_b32_e32 v18, 0x7f80
	s_and_saveexec_b64 s[10:11], vcc
	s_cbranch_execz .LBB674_674
; %bb.673:
	v_and_b32_e32 v18, 7, v9
	v_ffbh_u32_e32 v18, v18
	v_min_u32_e32 v18, 32, v18
	v_lshrrev_b32_e32 v19, 3, v10
	v_subrev_u32_e32 v20, 28, v18
	v_sub_u32_e32 v18, 29, v18
	v_cmp_gt_u32_e32 vcc, 8, v10
	v_cndmask_b32_e32 v10, v19, v18, vcc
	v_cndmask_b32_e32 v18, 0, v20, vcc
	v_lshlrev_b64 v[18:19], v18, v[6:7]
	v_lshlrev_b32_e32 v7, 20, v18
	v_lshlrev_b32_e32 v18, 24, v6
	v_bfrev_b32_e32 v19, 60
	v_and_b32_e32 v7, 0x700000, v7
	v_and_b32_e32 v18, 0x80000000, v18
	v_lshl_add_u32 v10, v10, 23, v19
	v_or3_b32 v7, v18, v10, v7
	v_lshrrev_b32_e32 v18, 16, v7
.LBB674_674:
	s_or_b64 exec, exec, s[10:11]
.LBB674_675:
	s_or_b64 exec, exec, s[6:7]
.LBB674_676:
	s_or_b64 exec, exec, s[0:1]
	v_lshrrev_b16_e32 v10, 8, v6
	v_cmp_ne_u16_e32 vcc, 0, v10
	s_and_saveexec_b64 s[0:1], vcc
	s_cbranch_execz .LBB674_682
; %bb.677:
	s_movk_i32 s3, 0x80
	v_cmp_ne_u16_e32 vcc, s3, v10
	v_mov_b32_e32 v17, 0xffff8000
	s_and_saveexec_b64 s[6:7], vcc
	s_cbranch_execz .LBB674_681
; %bb.678:
	s_movk_i32 s3, 0x7f
	v_and_b32_e32 v7, 0x7f, v10
	v_cmp_ne_u32_e32 vcc, s3, v7
	v_mov_b32_e32 v17, 0x7f80
	s_and_saveexec_b64 s[10:11], vcc
	s_cbranch_execz .LBB674_680
; %bb.679:
	v_and_b32_e32 v17, 7, v10
	v_ffbh_u32_e32 v20, v17
	v_min_u32_e32 v22, 32, v20
	v_subrev_u32_e32 v20, 28, v22
	v_lshlrev_b64 v[20:21], v20, v[10:11]
	v_lshrrev_b32_e32 v19, 3, v7
	v_sub_u32_e32 v10, 29, v22
	v_and_b32_e32 v20, 7, v20
	v_cmp_gt_u32_e32 vcc, 8, v7
	v_cndmask_b32_e32 v7, v19, v10, vcc
	v_cndmask_b32_e32 v10, v17, v20, vcc
	v_lshlrev_b32_e32 v6, 16, v6
	v_bfrev_b32_e32 v17, 60
	v_lshlrev_b32_e32 v10, 20, v10
	v_and_b32_e32 v6, 0x80000000, v6
	v_lshl_add_u32 v7, v7, 23, v17
	v_or3_b32 v6, v6, v7, v10
	v_lshrrev_b32_e32 v17, 16, v6
.LBB674_680:
	s_or_b64 exec, exec, s[10:11]
.LBB674_681:
	s_or_b64 exec, exec, s[6:7]
.LBB674_682:
	s_or_b64 exec, exec, s[0:1]
	s_movk_i32 s0, 0xff
	v_and_b32_sdwa v19, v9, s0 dst_sel:DWORD dst_unused:UNUSED_PAD src0_sel:WORD_1 src1_sel:DWORD
	v_lshrrev_b32_e32 v6, 16, v9
	v_cmp_ne_u16_e32 vcc, 0, v19
	v_mov_b32_e32 v7, 0
	v_mov_b32_e32 v10, 0
	s_and_saveexec_b64 s[0:1], vcc
	s_cbranch_execz .LBB674_688
; %bb.683:
	s_movk_i32 s3, 0x80
	v_cmp_ne_u16_e32 vcc, s3, v19
	v_mov_b32_e32 v10, 0xffff8000
	s_and_saveexec_b64 s[6:7], vcc
	s_cbranch_execz .LBB674_687
; %bb.684:
	v_bfe_u32 v19, v9, 16, 7
	s_movk_i32 s3, 0x7f
	v_cmp_ne_u32_e32 vcc, s3, v19
	v_mov_b32_e32 v10, 0x7f80
	s_and_saveexec_b64 s[10:11], vcc
	s_cbranch_execz .LBB674_686
; %bb.685:
	v_and_b32_e32 v10, 7, v6
	v_ffbh_u32_e32 v20, v10
	v_min_u32_e32 v23, 32, v20
	v_subrev_u32_e32 v20, 28, v23
	v_lshlrev_b64 v[20:21], v20, v[6:7]
	v_lshrrev_b32_e32 v22, 3, v19
	v_sub_u32_e32 v6, 29, v23
	v_and_b32_e32 v20, 7, v20
	v_cmp_gt_u32_e32 vcc, 8, v19
	v_mov_b32_e32 v19, 24
	v_cndmask_b32_e32 v6, v22, v6, vcc
	v_cndmask_b32_e32 v10, v10, v20, vcc
	v_lshlrev_b32_sdwa v19, v19, v9 dst_sel:DWORD dst_unused:UNUSED_PAD src0_sel:DWORD src1_sel:WORD_1
	v_bfrev_b32_e32 v20, 60
	v_lshlrev_b32_e32 v10, 20, v10
	v_and_b32_e32 v19, 0x80000000, v19
	v_lshl_add_u32 v6, v6, 23, v20
	v_or3_b32 v6, v19, v6, v10
	v_lshrrev_b32_e32 v10, 16, v6
.LBB674_686:
	s_or_b64 exec, exec, s[10:11]
.LBB674_687:
	s_or_b64 exec, exec, s[6:7]
.LBB674_688:
	s_or_b64 exec, exec, s[0:1]
	s_mov_b32 s0, -1
	s_mov_b32 s1, 0xffffff
	v_cmp_lt_u64_e32 vcc, s[0:1], v[8:9]
	s_and_saveexec_b64 s[0:1], vcc
	s_cbranch_execz .LBB674_694
; %bb.689:
	v_lshrrev_b32_e32 v6, 24, v9
	s_movk_i32 s3, 0x80
	v_cmp_ne_u32_e32 vcc, s3, v6
	v_mov_b32_e32 v7, 0xffff8000
	s_and_saveexec_b64 s[6:7], vcc
	s_cbranch_execz .LBB674_693
; %bb.690:
	v_bfe_u32 v8, v9, 24, 7
	s_movk_i32 s3, 0x7f
	v_cmp_ne_u32_e32 vcc, s3, v8
	v_mov_b32_e32 v7, 0x7f80
	s_and_saveexec_b64 s[10:11], vcc
	s_cbranch_execz .LBB674_692
; %bb.691:
	v_and_b32_e32 v7, 7, v6
	v_ffbh_u32_e32 v19, v7
	v_min_u32_e32 v19, 32, v19
	v_subrev_u32_e32 v20, 28, v19
	v_lshlrev_b64 v[20:21], v20, v[6:7]
	v_lshrrev_b32_e32 v9, 3, v8
	v_sub_u32_e32 v19, 29, v19
	v_and_b32_e32 v20, 7, v20
	v_cmp_gt_u32_e32 vcc, 8, v8
	v_cndmask_b32_e32 v8, v9, v19, vcc
	v_cndmask_b32_e32 v7, v7, v20, vcc
	v_lshlrev_b32_e32 v6, 24, v6
	v_bfrev_b32_e32 v9, 60
	v_lshlrev_b32_e32 v7, 20, v7
	v_and_b32_e32 v6, 0x80000000, v6
	v_lshl_add_u32 v8, v8, 23, v9
	v_or3_b32 v6, v6, v8, v7
	v_lshrrev_b32_e32 v7, 16, v6
.LBB674_692:
	s_or_b64 exec, exec, s[10:11]
.LBB674_693:
	s_or_b64 exec, exec, s[6:7]
.LBB674_694:
	s_or_b64 exec, exec, s[0:1]
	s_mov_b32 s0, 0x5040100
	v_perm_b32 v9, v16, v13, s0
	v_perm_b32 v8, v11, v12, s0
	;; [unrolled: 1-line block ×4, first 2 shown]
	v_mfma_f32_4x4x4bf16_1k a[0:3], v[14:15], v[8:9], a[0:3] cbsz:4 abid:10
	v_mov_b32_e32 v9, 0
	v_mfma_f32_4x4x4bf16_1k a[0:3], v[14:15], v[6:7], a[0:3] cbsz:4 abid:11
	s_waitcnt vmcnt(0)
	v_cmp_ne_u16_sdwa s[6:7], v2, v9 src0_sel:BYTE_0 src1_sel:DWORD
	v_mov_b32_e32 v10, 0
	s_and_saveexec_b64 s[0:1], s[6:7]
	s_cbranch_execz .LBB674_700
; %bb.695:
	s_movk_i32 s3, 0x80
	v_cmp_ne_u16_sdwa s[10:11], v2, s3 src0_sel:BYTE_0 src1_sel:DWORD
	v_mov_b32_e32 v10, 0xffff8000
	s_and_saveexec_b64 s[6:7], s[10:11]
	s_cbranch_execz .LBB674_699
; %bb.696:
	s_movk_i32 s3, 0x7f
	v_and_b32_e32 v6, 0x7f, v2
	v_cmp_ne_u32_e32 vcc, s3, v6
	v_mov_b32_e32 v10, 0x7f80
	s_and_saveexec_b64 s[10:11], vcc
	s_cbranch_execz .LBB674_698
; %bb.697:
	v_and_b32_e32 v7, 7, v2
	v_ffbh_u32_e32 v7, v7
	v_min_u32_e32 v7, 32, v7
	v_subrev_u32_e32 v10, 28, v7
	v_cmp_gt_u32_e32 vcc, 8, v6
	v_lshrrev_b32_e32 v8, 3, v6
	v_sub_u32_e32 v7, 29, v7
	v_cndmask_b32_e32 v6, 0, v10, vcc
	v_cndmask_b32_e32 v8, v8, v7, vcc
	v_lshlrev_b64 v[6:7], v6, v[2:3]
	v_lshlrev_b32_e32 v6, 20, v6
	v_lshlrev_b32_e32 v7, 24, v2
	v_bfrev_b32_e32 v10, 60
	v_and_b32_e32 v6, 0x700000, v6
	v_and_b32_e32 v7, 0x80000000, v7
	v_lshl_add_u32 v8, v8, 23, v10
	v_or3_b32 v6, v7, v8, v6
	v_lshrrev_b32_e32 v10, 16, v6
.LBB674_698:
	s_or_b64 exec, exec, s[10:11]
.LBB674_699:
	s_or_b64 exec, exec, s[6:7]
.LBB674_700:
	s_or_b64 exec, exec, s[0:1]
	v_lshrrev_b16_e32 v6, 8, v2
	v_cmp_ne_u16_e32 vcc, 0, v6
	s_and_saveexec_b64 s[0:1], vcc
	s_cbranch_execz .LBB674_706
; %bb.701:
	s_movk_i32 s3, 0x80
	v_cmp_ne_u16_e32 vcc, s3, v6
	v_mov_b32_e32 v9, 0xffff8000
	s_and_saveexec_b64 s[6:7], vcc
	s_cbranch_execz .LBB674_705
; %bb.702:
	s_movk_i32 s3, 0x7f
	v_and_b32_e32 v7, 0x7f, v6
	v_cmp_ne_u32_e32 vcc, s3, v7
	v_mov_b32_e32 v9, 0x7f80
	s_and_saveexec_b64 s[10:11], vcc
	s_cbranch_execz .LBB674_704
; %bb.703:
	v_and_b32_e32 v11, 7, v6
	v_ffbh_u32_e32 v8, v11
	v_min_u32_e32 v13, 32, v8
	v_subrev_u32_e32 v8, 28, v13
	v_lshlrev_b64 v[8:9], v8, v[6:7]
	v_lshrrev_b32_e32 v12, 3, v7
	v_sub_u32_e32 v6, 29, v13
	v_and_b32_e32 v8, 7, v8
	v_cmp_gt_u32_e32 vcc, 8, v7
	v_cndmask_b32_e32 v6, v12, v6, vcc
	v_cndmask_b32_e32 v7, v11, v8, vcc
	v_lshlrev_b32_e32 v8, 16, v2
	v_bfrev_b32_e32 v9, 60
	v_lshlrev_b32_e32 v7, 20, v7
	v_and_b32_e32 v8, 0x80000000, v8
	v_lshl_add_u32 v6, v6, 23, v9
	v_or3_b32 v6, v8, v6, v7
	v_lshrrev_b32_e32 v9, 16, v6
.LBB674_704:
	s_or_b64 exec, exec, s[10:11]
.LBB674_705:
	s_or_b64 exec, exec, s[6:7]
.LBB674_706:
	s_or_b64 exec, exec, s[0:1]
	s_movk_i32 s0, 0xff
	v_and_b32_sdwa v8, v2, s0 dst_sel:DWORD dst_unused:UNUSED_PAD src0_sel:WORD_1 src1_sel:DWORD
	v_lshrrev_b32_e32 v6, 16, v2
	v_cmp_ne_u16_e32 vcc, 0, v8
	v_mov_b32_e32 v7, 0
	v_mov_b32_e32 v11, 0
	s_and_saveexec_b64 s[0:1], vcc
	s_cbranch_execz .LBB674_712
; %bb.707:
	s_movk_i32 s3, 0x80
	v_cmp_ne_u16_e32 vcc, s3, v8
	v_mov_b32_e32 v11, 0xffff8000
	s_and_saveexec_b64 s[6:7], vcc
	s_cbranch_execz .LBB674_711
; %bb.708:
	v_bfe_u32 v8, v2, 16, 7
	s_movk_i32 s3, 0x7f
	v_cmp_ne_u32_e32 vcc, s3, v8
	v_mov_b32_e32 v11, 0x7f80
	s_and_saveexec_b64 s[10:11], vcc
	s_cbranch_execz .LBB674_710
; %bb.709:
	v_and_b32_e32 v11, 7, v6
	v_ffbh_u32_e32 v12, v11
	v_min_u32_e32 v17, 32, v12
	v_subrev_u32_e32 v12, 28, v17
	v_lshlrev_b64 v[12:13], v12, v[6:7]
	v_and_b32_e32 v12, 7, v12
	v_cmp_gt_u32_e32 vcc, 8, v8
	v_lshrrev_b32_e32 v16, 3, v8
	v_sub_u32_e32 v6, 29, v17
	v_cndmask_b32_e32 v8, v11, v12, vcc
	v_mov_b32_e32 v11, 24
	v_cndmask_b32_e32 v6, v16, v6, vcc
	v_lshlrev_b32_sdwa v11, v11, v2 dst_sel:DWORD dst_unused:UNUSED_PAD src0_sel:DWORD src1_sel:WORD_1
	v_bfrev_b32_e32 v12, 60
	v_lshlrev_b32_e32 v8, 20, v8
	v_and_b32_e32 v11, 0x80000000, v11
	v_lshl_add_u32 v6, v6, 23, v12
	v_or3_b32 v6, v11, v6, v8
	v_lshrrev_b32_e32 v11, 16, v6
.LBB674_710:
	s_or_b64 exec, exec, s[10:11]
.LBB674_711:
	s_or_b64 exec, exec, s[6:7]
.LBB674_712:
	s_or_b64 exec, exec, s[0:1]
	s_mov_b32 s0, 0xffffff
	v_cmp_lt_u32_e32 vcc, s0, v2
	v_mov_b32_e32 v12, 0
	s_and_saveexec_b64 s[0:1], vcc
	s_cbranch_execz .LBB674_718
; %bb.713:
	v_lshrrev_b32_e32 v6, 24, v2
	s_movk_i32 s3, 0x80
	v_cmp_ne_u32_e32 vcc, s3, v6
	v_mov_b32_e32 v12, 0xffff8000
	s_and_saveexec_b64 s[6:7], vcc
	s_cbranch_execz .LBB674_717
; %bb.714:
	v_bfe_u32 v8, v2, 24, 7
	s_movk_i32 s3, 0x7f
	v_cmp_ne_u32_e32 vcc, s3, v8
	v_mov_b32_e32 v12, 0x7f80
	s_and_saveexec_b64 s[10:11], vcc
	s_cbranch_execz .LBB674_716
; %bb.715:
	v_and_b32_e32 v16, 7, v6
	v_ffbh_u32_e32 v12, v16
	v_min_u32_e32 v18, 32, v12
	v_subrev_u32_e32 v12, 28, v18
	v_lshlrev_b64 v[12:13], v12, v[6:7]
	v_lshrrev_b32_e32 v17, 3, v8
	v_sub_u32_e32 v13, 29, v18
	v_and_b32_e32 v12, 7, v12
	v_cmp_gt_u32_e32 vcc, 8, v8
	v_cndmask_b32_e32 v8, v17, v13, vcc
	v_cndmask_b32_e32 v12, v16, v12, vcc
	v_lshlrev_b32_e32 v6, 24, v6
	v_bfrev_b32_e32 v13, 60
	v_lshlrev_b32_e32 v12, 20, v12
	v_and_b32_e32 v6, 0x80000000, v6
	v_lshl_add_u32 v8, v8, 23, v13
	v_or3_b32 v6, v6, v8, v12
	v_lshrrev_b32_e32 v12, 16, v6
.LBB674_716:
	s_or_b64 exec, exec, s[10:11]
.LBB674_717:
	s_or_b64 exec, exec, s[6:7]
.LBB674_718:
	s_or_b64 exec, exec, s[0:1]
	v_mov_b32_e32 v13, 0
	v_mov_b32_e32 v6, v3
	v_cmp_ne_u16_sdwa s[6:7], v3, v13 src0_sel:BYTE_0 src1_sel:DWORD
	v_mov_b32_e32 v16, 0
	s_and_saveexec_b64 s[0:1], s[6:7]
	s_cbranch_execz .LBB674_724
; %bb.719:
	s_movk_i32 s3, 0x80
	v_cmp_ne_u16_sdwa s[10:11], v3, s3 src0_sel:BYTE_0 src1_sel:DWORD
	v_mov_b32_e32 v16, 0xffff8000
	s_and_saveexec_b64 s[6:7], s[10:11]
	s_cbranch_execz .LBB674_723
; %bb.720:
	s_movk_i32 s3, 0x7f
	v_and_b32_e32 v8, 0x7f, v3
	v_cmp_ne_u32_e32 vcc, s3, v8
	v_mov_b32_e32 v16, 0x7f80
	s_and_saveexec_b64 s[10:11], vcc
	s_cbranch_execz .LBB674_722
; %bb.721:
	v_and_b32_e32 v16, 7, v3
	v_ffbh_u32_e32 v16, v16
	v_min_u32_e32 v16, 32, v16
	v_lshrrev_b32_e32 v17, 3, v8
	v_subrev_u32_e32 v18, 28, v16
	v_sub_u32_e32 v16, 29, v16
	v_cmp_gt_u32_e32 vcc, 8, v8
	v_cndmask_b32_e32 v8, v17, v16, vcc
	v_cndmask_b32_e32 v16, 0, v18, vcc
	v_lshlrev_b64 v[16:17], v16, v[6:7]
	v_lshlrev_b32_e32 v7, 20, v16
	v_lshlrev_b32_e32 v16, 24, v6
	v_bfrev_b32_e32 v17, 60
	v_and_b32_e32 v7, 0x700000, v7
	v_and_b32_e32 v16, 0x80000000, v16
	v_lshl_add_u32 v8, v8, 23, v17
	v_or3_b32 v7, v16, v8, v7
	v_lshrrev_b32_e32 v16, 16, v7
.LBB674_722:
	s_or_b64 exec, exec, s[10:11]
.LBB674_723:
	s_or_b64 exec, exec, s[6:7]
.LBB674_724:
	s_or_b64 exec, exec, s[0:1]
	v_lshrrev_b16_e32 v8, 8, v6
	v_cmp_ne_u16_e32 vcc, 0, v8
	s_and_saveexec_b64 s[0:1], vcc
	s_cbranch_execz .LBB674_730
; %bb.725:
	s_movk_i32 s3, 0x80
	v_cmp_ne_u16_e32 vcc, s3, v8
	v_mov_b32_e32 v13, 0xffff8000
	s_and_saveexec_b64 s[6:7], vcc
	s_cbranch_execz .LBB674_729
; %bb.726:
	s_movk_i32 s3, 0x7f
	v_and_b32_e32 v7, 0x7f, v8
	v_cmp_ne_u32_e32 vcc, s3, v7
	v_mov_b32_e32 v13, 0x7f80
	s_and_saveexec_b64 s[10:11], vcc
	s_cbranch_execz .LBB674_728
; %bb.727:
	v_and_b32_e32 v13, 7, v8
	v_ffbh_u32_e32 v18, v13
	v_min_u32_e32 v20, 32, v18
	v_subrev_u32_e32 v18, 28, v20
	v_lshlrev_b64 v[18:19], v18, v[8:9]
	v_lshrrev_b32_e32 v17, 3, v7
	v_sub_u32_e32 v8, 29, v20
	v_and_b32_e32 v18, 7, v18
	v_cmp_gt_u32_e32 vcc, 8, v7
	v_cndmask_b32_e32 v7, v17, v8, vcc
	v_cndmask_b32_e32 v8, v13, v18, vcc
	v_lshlrev_b32_e32 v6, 16, v6
	v_bfrev_b32_e32 v13, 60
	v_lshlrev_b32_e32 v8, 20, v8
	v_and_b32_e32 v6, 0x80000000, v6
	v_lshl_add_u32 v7, v7, 23, v13
	v_or3_b32 v6, v6, v7, v8
	v_lshrrev_b32_e32 v13, 16, v6
.LBB674_728:
	s_or_b64 exec, exec, s[10:11]
.LBB674_729:
	s_or_b64 exec, exec, s[6:7]
.LBB674_730:
	s_or_b64 exec, exec, s[0:1]
	s_movk_i32 s0, 0xff
	v_and_b32_sdwa v17, v3, s0 dst_sel:DWORD dst_unused:UNUSED_PAD src0_sel:WORD_1 src1_sel:DWORD
	v_lshrrev_b32_e32 v6, 16, v3
	v_cmp_ne_u16_e32 vcc, 0, v17
	v_mov_b32_e32 v7, 0
	v_mov_b32_e32 v8, 0
	s_and_saveexec_b64 s[0:1], vcc
	s_cbranch_execz .LBB674_736
; %bb.731:
	s_movk_i32 s3, 0x80
	v_cmp_ne_u16_e32 vcc, s3, v17
	v_mov_b32_e32 v8, 0xffff8000
	s_and_saveexec_b64 s[6:7], vcc
	s_cbranch_execz .LBB674_735
; %bb.732:
	v_bfe_u32 v17, v3, 16, 7
	s_movk_i32 s3, 0x7f
	v_cmp_ne_u32_e32 vcc, s3, v17
	v_mov_b32_e32 v8, 0x7f80
	s_and_saveexec_b64 s[10:11], vcc
	s_cbranch_execz .LBB674_734
; %bb.733:
	v_and_b32_e32 v8, 7, v6
	v_ffbh_u32_e32 v18, v8
	v_min_u32_e32 v21, 32, v18
	v_subrev_u32_e32 v18, 28, v21
	v_lshlrev_b64 v[18:19], v18, v[6:7]
	v_lshrrev_b32_e32 v20, 3, v17
	v_sub_u32_e32 v6, 29, v21
	v_and_b32_e32 v18, 7, v18
	v_cmp_gt_u32_e32 vcc, 8, v17
	v_mov_b32_e32 v17, 24
	v_cndmask_b32_e32 v6, v20, v6, vcc
	v_cndmask_b32_e32 v8, v8, v18, vcc
	v_lshlrev_b32_sdwa v17, v17, v3 dst_sel:DWORD dst_unused:UNUSED_PAD src0_sel:DWORD src1_sel:WORD_1
	v_bfrev_b32_e32 v18, 60
	v_lshlrev_b32_e32 v8, 20, v8
	v_and_b32_e32 v17, 0x80000000, v17
	v_lshl_add_u32 v6, v6, 23, v18
	v_or3_b32 v6, v17, v6, v8
	v_lshrrev_b32_e32 v8, 16, v6
.LBB674_734:
	s_or_b64 exec, exec, s[10:11]
.LBB674_735:
	s_or_b64 exec, exec, s[6:7]
.LBB674_736:
	s_or_b64 exec, exec, s[0:1]
	s_mov_b32 s0, -1
	s_mov_b32 s1, 0xffffff
	v_cmp_lt_u64_e32 vcc, s[0:1], v[2:3]
	s_and_saveexec_b64 s[0:1], vcc
	s_cbranch_execz .LBB674_742
; %bb.737:
	v_lshrrev_b32_e32 v2, 24, v3
	s_movk_i32 s3, 0x80
	v_cmp_ne_u32_e32 vcc, s3, v2
	v_mov_b32_e32 v7, 0xffff8000
	s_and_saveexec_b64 s[6:7], vcc
	s_cbranch_execz .LBB674_741
; %bb.738:
	v_bfe_u32 v3, v3, 24, 7
	s_movk_i32 s3, 0x7f
	v_cmp_ne_u32_e32 vcc, s3, v3
	v_mov_b32_e32 v7, 0x7f80
	s_and_saveexec_b64 s[10:11], vcc
	s_cbranch_execz .LBB674_740
; %bb.739:
	v_and_b32_e32 v17, 7, v2
	v_ffbh_u32_e32 v6, v17
	v_min_u32_e32 v19, 32, v6
	v_subrev_u32_e32 v6, 28, v19
	v_lshlrev_b64 v[6:7], v6, v[2:3]
	v_lshrrev_b32_e32 v18, 3, v3
	v_sub_u32_e32 v7, 29, v19
	v_and_b32_e32 v6, 7, v6
	v_cmp_gt_u32_e32 vcc, 8, v3
	v_cndmask_b32_e32 v3, v18, v7, vcc
	v_cndmask_b32_e32 v6, v17, v6, vcc
	v_lshlrev_b32_e32 v2, 24, v2
	v_bfrev_b32_e32 v7, 60
	v_lshlrev_b32_e32 v6, 20, v6
	v_and_b32_e32 v2, 0x80000000, v2
	v_lshl_add_u32 v3, v3, 23, v7
	v_or3_b32 v2, v2, v3, v6
	v_lshrrev_b32_e32 v7, 16, v2
.LBB674_740:
	s_or_b64 exec, exec, s[10:11]
.LBB674_741:
	s_or_b64 exec, exec, s[6:7]
.LBB674_742:
	s_or_b64 exec, exec, s[0:1]
	s_mov_b32 s0, 0x5040100
	v_perm_b32 v3, v12, v11, s0
	v_perm_b32 v2, v9, v10, s0
	;; [unrolled: 1-line block ×4, first 2 shown]
	v_mfma_f32_4x4x4bf16_1k a[0:3], v[14:15], v[2:3], a[0:3] cbsz:4 abid:12
	v_mov_b32_e32 v8, 0
	v_mfma_f32_4x4x4bf16_1k a[0:3], v[14:15], v[6:7], a[0:3] cbsz:4 abid:13
	v_mov_b32_e32 v7, 0
	v_cmp_ne_u16_sdwa s[6:7], v4, v7 src0_sel:BYTE_0 src1_sel:DWORD
	s_and_saveexec_b64 s[0:1], s[6:7]
	s_cbranch_execz .LBB674_748
; %bb.743:
	s_movk_i32 s3, 0x80
	v_cmp_ne_u16_sdwa s[10:11], v4, s3 src0_sel:BYTE_0 src1_sel:DWORD
	v_mov_b32_e32 v8, 0xffff8000
	s_and_saveexec_b64 s[6:7], s[10:11]
	s_cbranch_execz .LBB674_747
; %bb.744:
	s_movk_i32 s3, 0x7f
	v_and_b32_e32 v2, 0x7f, v4
	v_cmp_ne_u32_e32 vcc, s3, v2
	v_mov_b32_e32 v8, 0x7f80
	s_and_saveexec_b64 s[10:11], vcc
	s_cbranch_execz .LBB674_746
; %bb.745:
	v_and_b32_e32 v3, 7, v4
	v_ffbh_u32_e32 v3, v3
	v_min_u32_e32 v3, 32, v3
	v_subrev_u32_e32 v8, 28, v3
	v_cmp_gt_u32_e32 vcc, 8, v2
	v_lshrrev_b32_e32 v6, 3, v2
	v_sub_u32_e32 v3, 29, v3
	v_cndmask_b32_e32 v2, 0, v8, vcc
	v_cndmask_b32_e32 v6, v6, v3, vcc
	v_lshlrev_b64 v[2:3], v2, v[4:5]
	v_lshlrev_b32_e32 v2, 20, v2
	v_lshlrev_b32_e32 v3, 24, v4
	v_bfrev_b32_e32 v8, 60
	v_and_b32_e32 v2, 0x700000, v2
	v_and_b32_e32 v3, 0x80000000, v3
	v_lshl_add_u32 v6, v6, 23, v8
	v_or3_b32 v2, v3, v6, v2
	v_lshrrev_b32_e32 v8, 16, v2
.LBB674_746:
	s_or_b64 exec, exec, s[10:11]
.LBB674_747:
	s_or_b64 exec, exec, s[6:7]
.LBB674_748:
	s_or_b64 exec, exec, s[0:1]
	v_lshrrev_b16_e32 v2, 8, v4
	v_cmp_ne_u16_e32 vcc, 0, v2
	s_and_saveexec_b64 s[0:1], vcc
	s_cbranch_execz .LBB674_754
; %bb.749:
	s_movk_i32 s3, 0x80
	v_cmp_ne_u16_e32 vcc, s3, v2
	v_mov_b32_e32 v7, 0xffff8000
	s_and_saveexec_b64 s[6:7], vcc
	s_cbranch_execz .LBB674_753
; %bb.750:
	s_movk_i32 s3, 0x7f
	v_and_b32_e32 v3, 0x7f, v2
	v_cmp_ne_u32_e32 vcc, s3, v3
	v_mov_b32_e32 v7, 0x7f80
	s_and_saveexec_b64 s[10:11], vcc
	s_cbranch_execz .LBB674_752
; %bb.751:
	v_and_b32_e32 v9, 7, v2
	v_ffbh_u32_e32 v6, v9
	v_min_u32_e32 v11, 32, v6
	v_subrev_u32_e32 v6, 28, v11
	v_lshlrev_b64 v[6:7], v6, v[2:3]
	v_lshrrev_b32_e32 v10, 3, v3
	v_sub_u32_e32 v2, 29, v11
	v_and_b32_e32 v6, 7, v6
	v_cmp_gt_u32_e32 vcc, 8, v3
	v_cndmask_b32_e32 v2, v10, v2, vcc
	v_cndmask_b32_e32 v3, v9, v6, vcc
	v_lshlrev_b32_e32 v6, 16, v4
	v_bfrev_b32_e32 v7, 60
	v_lshlrev_b32_e32 v3, 20, v3
	v_and_b32_e32 v6, 0x80000000, v6
	v_lshl_add_u32 v2, v2, 23, v7
	v_or3_b32 v2, v6, v2, v3
	v_lshrrev_b32_e32 v7, 16, v2
.LBB674_752:
	s_or_b64 exec, exec, s[10:11]
.LBB674_753:
	s_or_b64 exec, exec, s[6:7]
.LBB674_754:
	s_or_b64 exec, exec, s[0:1]
	s_movk_i32 s0, 0xff
	v_and_b32_sdwa v6, v4, s0 dst_sel:DWORD dst_unused:UNUSED_PAD src0_sel:WORD_1 src1_sel:DWORD
	v_lshrrev_b32_e32 v2, 16, v4
	v_cmp_ne_u16_e32 vcc, 0, v6
	v_mov_b32_e32 v3, 0
	v_mov_b32_e32 v9, 0
	s_and_saveexec_b64 s[0:1], vcc
	s_cbranch_execz .LBB674_760
; %bb.755:
	s_movk_i32 s3, 0x80
	v_cmp_ne_u16_e32 vcc, s3, v6
	v_mov_b32_e32 v9, 0xffff8000
	s_and_saveexec_b64 s[6:7], vcc
	s_cbranch_execz .LBB674_759
; %bb.756:
	v_bfe_u32 v6, v4, 16, 7
	s_movk_i32 s3, 0x7f
	v_cmp_ne_u32_e32 vcc, s3, v6
	v_mov_b32_e32 v9, 0x7f80
	s_and_saveexec_b64 s[10:11], vcc
	s_cbranch_execz .LBB674_758
; %bb.757:
	v_and_b32_e32 v9, 7, v2
	v_ffbh_u32_e32 v10, v9
	v_min_u32_e32 v13, 32, v10
	v_subrev_u32_e32 v10, 28, v13
	v_lshlrev_b64 v[10:11], v10, v[2:3]
	v_and_b32_e32 v10, 7, v10
	v_cmp_gt_u32_e32 vcc, 8, v6
	v_lshrrev_b32_e32 v12, 3, v6
	v_sub_u32_e32 v2, 29, v13
	v_cndmask_b32_e32 v6, v9, v10, vcc
	v_mov_b32_e32 v9, 24
	v_cndmask_b32_e32 v2, v12, v2, vcc
	v_lshlrev_b32_sdwa v9, v9, v4 dst_sel:DWORD dst_unused:UNUSED_PAD src0_sel:DWORD src1_sel:WORD_1
	v_bfrev_b32_e32 v10, 60
	v_lshlrev_b32_e32 v6, 20, v6
	v_and_b32_e32 v9, 0x80000000, v9
	v_lshl_add_u32 v2, v2, 23, v10
	v_or3_b32 v2, v9, v2, v6
	v_lshrrev_b32_e32 v9, 16, v2
.LBB674_758:
	s_or_b64 exec, exec, s[10:11]
.LBB674_759:
	s_or_b64 exec, exec, s[6:7]
.LBB674_760:
	s_or_b64 exec, exec, s[0:1]
	s_mov_b32 s0, 0xffffff
	v_cmp_lt_u32_e32 vcc, s0, v4
	v_mov_b32_e32 v10, 0
	s_and_saveexec_b64 s[0:1], vcc
	s_cbranch_execz .LBB674_766
; %bb.761:
	v_lshrrev_b32_e32 v2, 24, v4
	s_movk_i32 s3, 0x80
	v_cmp_ne_u32_e32 vcc, s3, v2
	v_mov_b32_e32 v10, 0xffff8000
	s_and_saveexec_b64 s[6:7], vcc
	s_cbranch_execz .LBB674_765
; %bb.762:
	v_bfe_u32 v6, v4, 24, 7
	s_movk_i32 s3, 0x7f
	v_cmp_ne_u32_e32 vcc, s3, v6
	v_mov_b32_e32 v10, 0x7f80
	s_and_saveexec_b64 s[10:11], vcc
	s_cbranch_execz .LBB674_764
; %bb.763:
	v_and_b32_e32 v12, 7, v2
	v_ffbh_u32_e32 v10, v12
	v_min_u32_e32 v16, 32, v10
	v_subrev_u32_e32 v10, 28, v16
	v_lshlrev_b64 v[10:11], v10, v[2:3]
	v_lshrrev_b32_e32 v13, 3, v6
	v_sub_u32_e32 v11, 29, v16
	v_and_b32_e32 v10, 7, v10
	v_cmp_gt_u32_e32 vcc, 8, v6
	v_cndmask_b32_e32 v6, v13, v11, vcc
	v_cndmask_b32_e32 v10, v12, v10, vcc
	v_lshlrev_b32_e32 v2, 24, v2
	v_bfrev_b32_e32 v11, 60
	v_lshlrev_b32_e32 v10, 20, v10
	v_and_b32_e32 v2, 0x80000000, v2
	v_lshl_add_u32 v6, v6, 23, v11
	v_or3_b32 v2, v2, v6, v10
	v_lshrrev_b32_e32 v10, 16, v2
.LBB674_764:
	s_or_b64 exec, exec, s[10:11]
.LBB674_765:
	s_or_b64 exec, exec, s[6:7]
.LBB674_766:
	s_or_b64 exec, exec, s[0:1]
	v_mov_b32_e32 v11, 0
	v_mov_b32_e32 v2, v5
	v_cmp_ne_u16_sdwa s[6:7], v5, v11 src0_sel:BYTE_0 src1_sel:DWORD
	v_mov_b32_e32 v12, 0
	s_and_saveexec_b64 s[0:1], s[6:7]
	s_cbranch_execz .LBB674_772
; %bb.767:
	s_movk_i32 s3, 0x80
	v_cmp_ne_u16_sdwa s[10:11], v5, s3 src0_sel:BYTE_0 src1_sel:DWORD
	v_mov_b32_e32 v12, 0xffff8000
	s_and_saveexec_b64 s[6:7], s[10:11]
	s_cbranch_execz .LBB674_771
; %bb.768:
	s_movk_i32 s3, 0x7f
	v_and_b32_e32 v6, 0x7f, v5
	v_cmp_ne_u32_e32 vcc, s3, v6
	v_mov_b32_e32 v12, 0x7f80
	s_and_saveexec_b64 s[10:11], vcc
	s_cbranch_execz .LBB674_770
; %bb.769:
	v_and_b32_e32 v12, 7, v5
	v_ffbh_u32_e32 v12, v12
	v_min_u32_e32 v12, 32, v12
	v_lshrrev_b32_e32 v13, 3, v6
	v_subrev_u32_e32 v16, 28, v12
	v_sub_u32_e32 v12, 29, v12
	v_cmp_gt_u32_e32 vcc, 8, v6
	v_cndmask_b32_e32 v6, v13, v12, vcc
	v_cndmask_b32_e32 v12, 0, v16, vcc
	v_lshlrev_b64 v[12:13], v12, v[2:3]
	v_lshlrev_b32_e32 v3, 20, v12
	v_lshlrev_b32_e32 v12, 24, v2
	v_bfrev_b32_e32 v13, 60
	v_and_b32_e32 v3, 0x700000, v3
	v_and_b32_e32 v12, 0x80000000, v12
	v_lshl_add_u32 v6, v6, 23, v13
	v_or3_b32 v3, v12, v6, v3
	v_lshrrev_b32_e32 v12, 16, v3
.LBB674_770:
	s_or_b64 exec, exec, s[10:11]
.LBB674_771:
	s_or_b64 exec, exec, s[6:7]
.LBB674_772:
	s_or_b64 exec, exec, s[0:1]
	v_lshrrev_b16_e32 v6, 8, v2
	v_cmp_ne_u16_e32 vcc, 0, v6
	s_and_saveexec_b64 s[0:1], vcc
	s_cbranch_execz .LBB674_778
; %bb.773:
	s_movk_i32 s3, 0x80
	v_cmp_ne_u16_e32 vcc, s3, v6
	v_mov_b32_e32 v11, 0xffff8000
	s_and_saveexec_b64 s[6:7], vcc
	s_cbranch_execz .LBB674_777
; %bb.774:
	s_movk_i32 s3, 0x7f
	v_and_b32_e32 v3, 0x7f, v6
	v_cmp_ne_u32_e32 vcc, s3, v3
	v_mov_b32_e32 v11, 0x7f80
	s_and_saveexec_b64 s[10:11], vcc
	s_cbranch_execz .LBB674_776
; %bb.775:
	v_and_b32_e32 v11, 7, v6
	v_ffbh_u32_e32 v16, v11
	v_min_u32_e32 v18, 32, v16
	v_subrev_u32_e32 v16, 28, v18
	v_lshlrev_b64 v[16:17], v16, v[6:7]
	v_lshrrev_b32_e32 v13, 3, v3
	v_sub_u32_e32 v6, 29, v18
	v_and_b32_e32 v16, 7, v16
	v_cmp_gt_u32_e32 vcc, 8, v3
	v_cndmask_b32_e32 v3, v13, v6, vcc
	v_cndmask_b32_e32 v6, v11, v16, vcc
	v_lshlrev_b32_e32 v2, 16, v2
	v_bfrev_b32_e32 v11, 60
	v_lshlrev_b32_e32 v6, 20, v6
	v_and_b32_e32 v2, 0x80000000, v2
	v_lshl_add_u32 v3, v3, 23, v11
	v_or3_b32 v2, v2, v3, v6
	v_lshrrev_b32_e32 v11, 16, v2
.LBB674_776:
	s_or_b64 exec, exec, s[10:11]
.LBB674_777:
	s_or_b64 exec, exec, s[6:7]
.LBB674_778:
	s_or_b64 exec, exec, s[0:1]
	s_movk_i32 s0, 0xff
	v_and_b32_sdwa v13, v5, s0 dst_sel:DWORD dst_unused:UNUSED_PAD src0_sel:WORD_1 src1_sel:DWORD
	v_lshrrev_b32_e32 v2, 16, v5
	v_cmp_ne_u16_e32 vcc, 0, v13
	v_mov_b32_e32 v3, 0
	v_mov_b32_e32 v6, 0
	s_and_saveexec_b64 s[0:1], vcc
	s_cbranch_execz .LBB674_784
; %bb.779:
	s_movk_i32 s3, 0x80
	v_cmp_ne_u16_e32 vcc, s3, v13
	v_mov_b32_e32 v6, 0xffff8000
	s_and_saveexec_b64 s[6:7], vcc
	s_cbranch_execz .LBB674_783
; %bb.780:
	v_bfe_u32 v13, v5, 16, 7
	s_movk_i32 s3, 0x7f
	v_cmp_ne_u32_e32 vcc, s3, v13
	v_mov_b32_e32 v6, 0x7f80
	s_and_saveexec_b64 s[10:11], vcc
	s_cbranch_execz .LBB674_782
; %bb.781:
	v_and_b32_e32 v6, 7, v2
	v_ffbh_u32_e32 v16, v6
	v_min_u32_e32 v19, 32, v16
	v_subrev_u32_e32 v16, 28, v19
	v_lshlrev_b64 v[16:17], v16, v[2:3]
	v_lshrrev_b32_e32 v18, 3, v13
	v_sub_u32_e32 v2, 29, v19
	v_and_b32_e32 v16, 7, v16
	v_cmp_gt_u32_e32 vcc, 8, v13
	v_mov_b32_e32 v13, 24
	v_cndmask_b32_e32 v2, v18, v2, vcc
	v_cndmask_b32_e32 v6, v6, v16, vcc
	v_lshlrev_b32_sdwa v13, v13, v5 dst_sel:DWORD dst_unused:UNUSED_PAD src0_sel:DWORD src1_sel:WORD_1
	v_bfrev_b32_e32 v16, 60
	v_lshlrev_b32_e32 v6, 20, v6
	v_and_b32_e32 v13, 0x80000000, v13
	v_lshl_add_u32 v2, v2, 23, v16
	v_or3_b32 v2, v13, v2, v6
	v_lshrrev_b32_e32 v6, 16, v2
.LBB674_782:
	s_or_b64 exec, exec, s[10:11]
.LBB674_783:
	s_or_b64 exec, exec, s[6:7]
.LBB674_784:
	s_or_b64 exec, exec, s[0:1]
	s_mov_b32 s0, -1
	s_mov_b32 s1, 0xffffff
	v_cmp_lt_u64_e32 vcc, s[0:1], v[4:5]
	s_and_saveexec_b64 s[0:1], vcc
	s_cbranch_execz .LBB674_790
; %bb.785:
	v_lshrrev_b32_e32 v2, 24, v5
	s_movk_i32 s3, 0x80
	v_cmp_ne_u32_e32 vcc, s3, v2
	v_mov_b32_e32 v3, 0xffff8000
	s_and_saveexec_b64 s[6:7], vcc
	s_cbranch_execz .LBB674_789
; %bb.786:
	v_bfe_u32 v4, v5, 24, 7
	s_movk_i32 s3, 0x7f
	v_cmp_ne_u32_e32 vcc, s3, v4
	v_mov_b32_e32 v3, 0x7f80
	s_and_saveexec_b64 s[10:11], vcc
	s_cbranch_execz .LBB674_788
; %bb.787:
	v_and_b32_e32 v3, 7, v2
	v_ffbh_u32_e32 v13, v3
	v_min_u32_e32 v13, 32, v13
	v_subrev_u32_e32 v16, 28, v13
	v_lshlrev_b64 v[16:17], v16, v[2:3]
	v_lshrrev_b32_e32 v5, 3, v4
	v_sub_u32_e32 v13, 29, v13
	v_and_b32_e32 v16, 7, v16
	v_cmp_gt_u32_e32 vcc, 8, v4
	v_cndmask_b32_e32 v4, v5, v13, vcc
	v_cndmask_b32_e32 v3, v3, v16, vcc
	v_lshlrev_b32_e32 v2, 24, v2
	v_bfrev_b32_e32 v5, 60
	v_lshlrev_b32_e32 v3, 20, v3
	v_and_b32_e32 v2, 0x80000000, v2
	v_lshl_add_u32 v4, v4, 23, v5
	v_or3_b32 v2, v2, v4, v3
	v_lshrrev_b32_e32 v3, 16, v2
.LBB674_788:
	s_or_b64 exec, exec, s[10:11]
.LBB674_789:
	s_or_b64 exec, exec, s[6:7]
.LBB674_790:
	s_or_b64 exec, exec, s[0:1]
	s_mov_b32 s0, 0x5040100
	v_perm_b32 v5, v10, v9, s0
	v_perm_b32 v4, v7, v8, s0
	;; [unrolled: 1-line block ×4, first 2 shown]
	v_mfma_f32_4x4x4bf16_1k a[0:3], v[14:15], v[4:5], a[0:3] cbsz:4 abid:14
	s_load_dword s0, s[14:15], 0x0
	v_mfma_f32_4x4x4bf16_1k a[0:3], v[14:15], v[2:3], a[0:3] cbsz:4 abid:15
	s_nop 4
	v_accvgpr_read_b32 v5, a1
	v_accvgpr_read_b32 v4, a0
	;; [unrolled: 1-line block ×4, first 2 shown]
	s_waitcnt lgkmcnt(0)
	v_pk_mul_f32 v[4:5], v[4:5], s[0:1] op_sel_hi:[1,0]
	v_pk_mul_f32 v[2:3], v[2:3], s[0:1] op_sel_hi:[1,0]
	v_bfe_u32 v6, v5, 16, 1
	v_bfe_u32 v7, v4, 16, 1
	s_movk_i32 s0, 0x7fff
	v_add3_u32 v4, v4, v7, s0
	v_add3_u32 v5, v5, v6, s0
	v_bfe_u32 v6, v3, 16, 1
	v_bfe_u32 v7, v2, 16, 1
	v_add3_u32 v2, v2, v7, s0
	v_add3_u32 v3, v3, v6, s0
	s_mov_b32 s0, 0x7060302
	v_perm_b32 v23, v3, v2, s0
	v_perm_b32 v22, v5, v4, s0
.LBB674_791:
	s_or_b64 exec, exec, s[4:5]
	v_lshlrev_b32_e32 v1, 3, v1
	v_mad_u32_u24 v1, v42, 40, v1
	v_cmp_gt_u32_e32 vcc, 64, v0
	ds_write_b64 v1, v[22:23]
	s_waitcnt lgkmcnt(0)
	s_barrier
	s_and_saveexec_b64 s[0:1], vcc
	s_cbranch_execz .LBB674_793
; %bb.792:
	s_lshl_b32 s0, s2, 6
	s_mov_b32 s1, 0
	s_lshl_b64 s[2:3], s[0:1], 1
	s_add_u32 s2, s26, s2
	s_addc_u32 s3, s27, s3
	s_lshl_b32 s0, s24, 6
	s_lshl_b64 s[0:1], s[0:1], 1
	s_add_u32 s0, s2, s0
	s_mul_i32 s2, s8, s33
	v_lshl_or_b32 v0, s2, 6, v0
	v_mov_b32_e32 v1, 0
	s_waitcnt vmcnt(1)
	v_mul_u32_u24_e32 v7, 40, v42
	s_waitcnt vmcnt(0)
	v_lshlrev_b64 v[4:5], 1, v[0:1]
	ds_read2_b64 v[0:3], v7 offset1:1
	s_addc_u32 s1, s3, s1
	v_mov_b32_e32 v6, s1
	v_add_co_u32_e32 v8, vcc, s0, v4
	v_addc_co_u32_e32 v9, vcc, v6, v5, vcc
	ds_read2_b64 v[4:7], v7 offset0:2 offset1:3
	s_waitcnt lgkmcnt(1)
	v_lshlrev_b32_e32 v0, 16, v0
	v_add_f32_e32 v0, 0, v0
	v_and_b32_e32 v0, 0xffff0000, v0
	v_lshlrev_b32_e32 v1, 16, v2
	v_add_f32_e32 v0, v0, v1
	v_and_b32_e32 v0, 0xffff0000, v0
	s_waitcnt lgkmcnt(0)
	v_lshlrev_b32_e32 v1, 16, v4
	v_add_f32_e32 v0, v0, v1
	v_and_b32_e32 v0, 0xffff0000, v0
	v_lshlrev_b32_e32 v1, 16, v6
	v_add_f32_e32 v0, v0, v1
	global_store_short_d16_hi v[8:9], v0, off
.LBB674_793:
	s_endpgm
	.section	.rodata,"a",@progbits
	.p2align	6, 0x0
	.amdhsa_kernel _Z38paged_attention_ll4mi_QKV_mfma4_kernelI14__hip_bfloat16hLN4vllm18Fp8KVCacheDataTypeE1ES0_Li16ELi64ELi256ELb1ELi1EEvPKT_PKT0_S8_ifPKiSA_SA_iPKfiiiPfSD_PS3_PT2_iSC_SC_
		.amdhsa_group_segment_fixed_size 2720
		.amdhsa_private_segment_fixed_size 0
		.amdhsa_kernarg_size 400
		.amdhsa_user_sgpr_count 6
		.amdhsa_user_sgpr_private_segment_buffer 1
		.amdhsa_user_sgpr_dispatch_ptr 0
		.amdhsa_user_sgpr_queue_ptr 0
		.amdhsa_user_sgpr_kernarg_segment_ptr 1
		.amdhsa_user_sgpr_dispatch_id 0
		.amdhsa_user_sgpr_flat_scratch_init 0
		.amdhsa_user_sgpr_kernarg_preload_length 0
		.amdhsa_user_sgpr_kernarg_preload_offset 0
		.amdhsa_user_sgpr_private_segment_size 0
		.amdhsa_uses_dynamic_stack 0
		.amdhsa_system_sgpr_private_segment_wavefront_offset 0
		.amdhsa_system_sgpr_workgroup_id_x 1
		.amdhsa_system_sgpr_workgroup_id_y 1
		.amdhsa_system_sgpr_workgroup_id_z 1
		.amdhsa_system_sgpr_workgroup_info 0
		.amdhsa_system_vgpr_workitem_id 0
		.amdhsa_next_free_vgpr 60
		.amdhsa_next_free_sgpr 42
		.amdhsa_accum_offset 56
		.amdhsa_reserve_vcc 1
		.amdhsa_reserve_flat_scratch 0
		.amdhsa_float_round_mode_32 0
		.amdhsa_float_round_mode_16_64 0
		.amdhsa_float_denorm_mode_32 3
		.amdhsa_float_denorm_mode_16_64 3
		.amdhsa_dx10_clamp 1
		.amdhsa_ieee_mode 1
		.amdhsa_fp16_overflow 0
		.amdhsa_tg_split 0
		.amdhsa_exception_fp_ieee_invalid_op 0
		.amdhsa_exception_fp_denorm_src 0
		.amdhsa_exception_fp_ieee_div_zero 0
		.amdhsa_exception_fp_ieee_overflow 0
		.amdhsa_exception_fp_ieee_underflow 0
		.amdhsa_exception_fp_ieee_inexact 0
		.amdhsa_exception_int_div_zero 0
	.end_amdhsa_kernel
	.section	.text._Z38paged_attention_ll4mi_QKV_mfma4_kernelI14__hip_bfloat16hLN4vllm18Fp8KVCacheDataTypeE1ES0_Li16ELi64ELi256ELb1ELi1EEvPKT_PKT0_S8_ifPKiSA_SA_iPKfiiiPfSD_PS3_PT2_iSC_SC_,"axG",@progbits,_Z38paged_attention_ll4mi_QKV_mfma4_kernelI14__hip_bfloat16hLN4vllm18Fp8KVCacheDataTypeE1ES0_Li16ELi64ELi256ELb1ELi1EEvPKT_PKT0_S8_ifPKiSA_SA_iPKfiiiPfSD_PS3_PT2_iSC_SC_,comdat
.Lfunc_end674:
	.size	_Z38paged_attention_ll4mi_QKV_mfma4_kernelI14__hip_bfloat16hLN4vllm18Fp8KVCacheDataTypeE1ES0_Li16ELi64ELi256ELb1ELi1EEvPKT_PKT0_S8_ifPKiSA_SA_iPKfiiiPfSD_PS3_PT2_iSC_SC_, .Lfunc_end674-_Z38paged_attention_ll4mi_QKV_mfma4_kernelI14__hip_bfloat16hLN4vllm18Fp8KVCacheDataTypeE1ES0_Li16ELi64ELi256ELb1ELi1EEvPKT_PKT0_S8_ifPKiSA_SA_iPKfiiiPfSD_PS3_PT2_iSC_SC_
                                        ; -- End function
	.section	.AMDGPU.csdata,"",@progbits
; Kernel info:
; codeLenInByte = 29164
; NumSgprs: 46
; NumVgprs: 56
; NumAgprs: 4
; TotalNumVgprs: 60
; ScratchSize: 0
; MemoryBound: 0
; FloatMode: 240
; IeeeMode: 1
; LDSByteSize: 2720 bytes/workgroup (compile time only)
; SGPRBlocks: 5
; VGPRBlocks: 7
; NumSGPRsForWavesPerEU: 46
; NumVGPRsForWavesPerEU: 60
; AccumOffset: 56
; Occupancy: 8
; WaveLimiterHint : 1
; COMPUTE_PGM_RSRC2:SCRATCH_EN: 0
; COMPUTE_PGM_RSRC2:USER_SGPR: 6
; COMPUTE_PGM_RSRC2:TRAP_HANDLER: 0
; COMPUTE_PGM_RSRC2:TGID_X_EN: 1
; COMPUTE_PGM_RSRC2:TGID_Y_EN: 1
; COMPUTE_PGM_RSRC2:TGID_Z_EN: 1
; COMPUTE_PGM_RSRC2:TIDIG_COMP_CNT: 0
; COMPUTE_PGM_RSRC3_GFX90A:ACCUM_OFFSET: 13
; COMPUTE_PGM_RSRC3_GFX90A:TG_SPLIT: 0
	.section	.text._Z38paged_attention_ll4mi_QKV_mfma4_kernelI14__hip_bfloat16hLN4vllm18Fp8KVCacheDataTypeE1ES0_Li16ELi64ELi256ELb1ELi2EEvPKT_PKT0_S8_ifPKiSA_SA_iPKfiiiPfSD_PS3_PT2_iSC_SC_,"axG",@progbits,_Z38paged_attention_ll4mi_QKV_mfma4_kernelI14__hip_bfloat16hLN4vllm18Fp8KVCacheDataTypeE1ES0_Li16ELi64ELi256ELb1ELi2EEvPKT_PKT0_S8_ifPKiSA_SA_iPKfiiiPfSD_PS3_PT2_iSC_SC_,comdat
	.protected	_Z38paged_attention_ll4mi_QKV_mfma4_kernelI14__hip_bfloat16hLN4vllm18Fp8KVCacheDataTypeE1ES0_Li16ELi64ELi256ELb1ELi2EEvPKT_PKT0_S8_ifPKiSA_SA_iPKfiiiPfSD_PS3_PT2_iSC_SC_ ; -- Begin function _Z38paged_attention_ll4mi_QKV_mfma4_kernelI14__hip_bfloat16hLN4vllm18Fp8KVCacheDataTypeE1ES0_Li16ELi64ELi256ELb1ELi2EEvPKT_PKT0_S8_ifPKiSA_SA_iPKfiiiPfSD_PS3_PT2_iSC_SC_
	.globl	_Z38paged_attention_ll4mi_QKV_mfma4_kernelI14__hip_bfloat16hLN4vllm18Fp8KVCacheDataTypeE1ES0_Li16ELi64ELi256ELb1ELi2EEvPKT_PKT0_S8_ifPKiSA_SA_iPKfiiiPfSD_PS3_PT2_iSC_SC_
	.p2align	8
	.type	_Z38paged_attention_ll4mi_QKV_mfma4_kernelI14__hip_bfloat16hLN4vllm18Fp8KVCacheDataTypeE1ES0_Li16ELi64ELi256ELb1ELi2EEvPKT_PKT0_S8_ifPKiSA_SA_iPKfiiiPfSD_PS3_PT2_iSC_SC_,@function
_Z38paged_attention_ll4mi_QKV_mfma4_kernelI14__hip_bfloat16hLN4vllm18Fp8KVCacheDataTypeE1ES0_Li16ELi64ELi256ELb1ELi2EEvPKT_PKT0_S8_ifPKiSA_SA_iPKfiiiPfSD_PS3_PT2_iSC_SC_: ; @_Z38paged_attention_ll4mi_QKV_mfma4_kernelI14__hip_bfloat16hLN4vllm18Fp8KVCacheDataTypeE1ES0_Li16ELi64ELi256ELb1ELi2EEvPKT_PKT0_S8_ifPKiSA_SA_iPKfiiiPfSD_PS3_PT2_iSC_SC_
; %bb.0:
	s_load_dwordx2 s[2:3], s[4:5], 0x30
	s_mov_b32 s10, s7
	s_mov_b64 s[0:1], 0
	s_waitcnt lgkmcnt(0)
	s_cmp_lg_u64 s[2:3], 0
	s_cselect_b64 s[20:21], -1, 0
	s_and_b64 vcc, exec, s[20:21]
	s_cbranch_vccz .LBB675_10
; %bb.1:
	s_add_i32 s12, s6, 1
	s_mov_b32 s13, 0
	s_lshl_b64 s[14:15], s[12:13], 2
	s_add_u32 s14, s2, s14
	s_mov_b32 s7, s13
	s_addc_u32 s15, s3, s15
	s_lshl_b64 s[12:13], s[6:7], 2
	s_add_u32 s12, s2, s12
	s_addc_u32 s13, s3, s13
	s_load_dword s9, s[14:15], 0x0
	s_load_dword s11, s[12:13], 0x0
	s_waitcnt lgkmcnt(0)
	s_sub_i32 s9, s9, s11
	s_cmp_eq_u32 s9, 1
	s_cselect_b64 s[12:13], -1, 0
	s_andn2_b64 vcc, exec, s[0:1]
	s_cbranch_vccnz .LBB675_3
.LBB675_2:
	s_mov_b32 s7, 0
	s_mov_b64 s[12:13], -1
.LBB675_3:
	s_andn2_b64 vcc, exec, s[12:13]
	s_cbranch_vccnz .LBB675_793
; %bb.4:
	s_load_dword s9, s[4:5], 0x9c
	s_load_dwordx2 s[0:1], s[4:5], 0x28
	s_add_u32 s26, s4, 0x90
	s_addc_u32 s27, s5, 0
	s_lshl_b64 s[22:23], s[6:7], 2
	s_waitcnt lgkmcnt(0)
	s_and_b32 s9, s9, 0xffff
	s_add_u32 s0, s0, s22
	s_addc_u32 s1, s1, s23
	s_load_dword s7, s[0:1], 0x0
	s_mul_i32 s9, s10, s9
	s_waitcnt lgkmcnt(0)
	s_cmp_ge_i32 s9, s7
	s_cbranch_scc1 .LBB675_793
; %bb.5:
	v_and_b32_e32 v2, 0xc0, v0
	v_add_u32_e32 v4, s9, v2
	v_lshrrev_b32_e32 v1, 6, v0
	v_cmp_gt_i32_e64 s[0:1], s7, v4
	v_cmp_le_i32_e32 vcc, s7, v4
                                        ; implicit-def: $sgpr30
                                        ; implicit-def: $sgpr11
	s_and_saveexec_b64 s[12:13], vcc
	s_xor_b64 s[12:13], exec, s[12:13]
	s_cbranch_execz .LBB675_7
; %bb.6:
	v_mul_u32_u24_e32 v2, 20, v1
	v_or_b32_e32 v2, 0xa00, v2
	v_mov_b32_e32 v3, 0xa50
	v_mov_b32_e32 v4, 0xff7fffff
	v_mad_u32_u24 v3, v1, 20, v3
	ds_write2_b32 v2, v4, v4 offset1:1
	v_mov_b32_e32 v2, 0
	ds_write2_b32 v3, v2, v2 offset1:1
	v_mov_b32_e32 v3, 0xa08
	s_mov_b32 s11, 0xff7fffff
	s_mov_b32 s30, 0
	v_mad_u32_u24 v3, v1, 20, v3
	v_mov_b32_e32 v5, 0xa58
	v_mad_u32_u24 v5, v1, 20, v5
	ds_write2_b32 v3, v4, v4 offset1:1
	ds_write2_b32 v5, v2, v2 offset1:1
                                        ; implicit-def: $vgpr4
.LBB675_7:
	s_or_saveexec_b64 s[28:29], s[12:13]
	s_load_dwordx2 s[24:25], s[4:5], 0x68
	s_load_dwordx4 s[16:19], s[4:5], 0x58
	s_load_dword s38, s[26:27], 0x4
	s_load_dwordx4 s[12:15], s[4:5], 0x80
	v_and_b32_e32 v42, 63, v0
	v_and_b32_e32 v43, 3, v0
	s_lshl_b32 s33, s8, 1
	v_mov_b32_e32 v21, s30
	v_mov_b32_e32 v25, s11
	;; [unrolled: 1-line block ×5, first 2 shown]
                                        ; implicit-def: $vgpr14_vgpr15
                                        ; implicit-def: $vgpr10_vgpr11
                                        ; implicit-def: $vgpr6_vgpr7
                                        ; implicit-def: $vgpr2_vgpr3
	s_xor_b64 exec, exec, s[28:29]
	s_cbranch_execz .LBB675_403
; %bb.8:
	s_add_i32 s34, s7, 15
	s_ashr_i32 s35, s34, 31
	s_load_dwordx2 s[30:31], s[4:5], 0x20
	s_load_dword s11, s[4:5], 0x38
	s_lshr_b32 s35, s35, 28
	v_add_u32_e32 v44, s9, v0
	s_add_i32 s34, s34, s35
	v_ashrrev_i32_e32 v2, 31, v44
	s_ashr_i32 s34, s34, 4
	v_lshrrev_b32_e32 v2, 28, v2
	s_add_i32 s36, s34, -1
	v_add_u32_e32 v2, v44, v2
	v_ashrrev_i32_e32 v2, 4, v2
	v_mov_b32_e32 v3, s36
	v_cmp_gt_i32_e32 vcc, s7, v44
	s_waitcnt lgkmcnt(0)
	s_mul_i32 s34, s6, s11
	s_mov_b32 s35, 0
	v_cndmask_b32_e32 v2, v3, v2, vcc
	s_lshl_b64 s[34:35], s[34:35], 2
	v_ashrrev_i32_e32 v3, 31, v2
	s_add_u32 s11, s30, s34
	v_lshlrev_b64 v[2:3], 2, v[2:3]
	v_add_co_u32_e32 v8, vcc, s11, v2
	v_ashrrev_i32_e32 v2, 31, v4
	v_lshrrev_b32_e32 v2, 28, v2
	v_add_u32_e32 v2, v4, v2
	s_addc_u32 s30, s31, s35
	v_ashrrev_i32_e32 v4, 4, v2
	v_mov_b32_e32 v5, s30
	v_min_i32_e32 v2, s36, v4
	v_addc_co_u32_e32 v9, vcc, v5, v3, vcc
	v_ashrrev_i32_e32 v3, 31, v2
	v_lshlrev_b64 v[2:3], 2, v[2:3]
	v_add_co_u32_e32 v10, vcc, s11, v2
	v_add_u32_e32 v2, 1, v4
	v_min_i32_e32 v2, s36, v2
	v_addc_co_u32_e32 v11, vcc, v5, v3, vcc
	v_ashrrev_i32_e32 v3, 31, v2
	v_lshlrev_b64 v[2:3], 2, v[2:3]
	v_add_co_u32_e32 v12, vcc, s11, v2
	v_add_u32_e32 v2, 2, v4
	;; [unrolled: 6-line block ×3, first 2 shown]
	v_min_i32_e32 v2, s36, v2
	v_addc_co_u32_e32 v15, vcc, v5, v3, vcc
	v_ashrrev_i32_e32 v3, 31, v2
	v_lshlrev_b64 v[2:3], 2, v[2:3]
	v_mov_b32_e32 v4, s30
	v_add_co_u32_e32 v16, vcc, s11, v2
	v_addc_co_u32_e32 v17, vcc, v4, v3, vcc
	global_load_dword v6, v[8:9], off
	global_load_dword v5, v[10:11], off
	;; [unrolled: 1-line block ×5, first 2 shown]
	s_load_dwordx2 s[34:35], s[4:5], 0x8
	s_andn2_b64 vcc, exec, s[20:21]
	s_cbranch_vccnz .LBB675_11
; %bb.9:
	s_add_u32 s2, s2, s22
	s_addc_u32 s3, s3, s23
	s_load_dword s9, s[2:3], 0x0
	s_branch .LBB675_12
.LBB675_10:
	s_mov_b64 s[12:13], 0
	s_branch .LBB675_2
.LBB675_11:
	s_mov_b32 s9, s6
.LBB675_12:
	s_load_dwordx2 s[30:31], s[4:5], 0x10
	s_load_dwordx4 s[20:23], s[4:5], 0x48
	v_cmp_gt_u32_e32 vcc, 2, v43
	s_mov_b32 s37, 0
	v_mov_b32_e32 v45, 0
	v_mov_b32_e32 v18, 0
	;; [unrolled: 1-line block ×5, first 2 shown]
	s_and_saveexec_b64 s[2:3], vcc
	s_cbranch_execz .LBB675_14
; %bb.13:
	s_load_dwordx2 s[40:41], s[4:5], 0x0
	s_waitcnt lgkmcnt(0)
	s_ashr_i32 s11, s20, 31
	s_mul_hi_u32 s23, s9, s20
	s_mul_i32 s11, s9, s11
	s_add_i32 s43, s23, s11
	s_mul_i32 s42, s9, s20
	s_lshl_b64 s[42:43], s[42:43], 1
	s_add_u32 s9, s40, s42
	s_addc_u32 s11, s41, s43
	s_lshl_b32 s36, s8, 7
	s_lshl_b64 s[36:37], s[36:37], 1
	s_add_u32 s36, s9, s36
	v_lshlrev_b32_e32 v7, 3, v43
	v_lshrrev_b32_e32 v8, 2, v42
	s_addc_u32 s37, s11, s37
	v_add_lshl_u32 v7, v7, v8, 4
	global_load_dwordx4 v[18:21], v7, s[36:37]
.LBB675_14:
	s_or_b64 exec, exec, s[2:3]
	s_waitcnt lgkmcnt(0)
	s_mul_i32 s8, s8, s22
	s_add_u32 s2, s8, s34
	s_addc_u32 s3, 0, s35
	v_pk_mov_b32 v[8:9], s[2:3], s[2:3] op_sel:[0,1]
	s_waitcnt vmcnt(4)
	v_mad_i64_i32 v[6:7], s[2:3], v6, s21, v[8:9]
	v_lshlrev_b32_e32 v8, 4, v0
	v_and_b32_e32 v8, 0xf0, v8
	v_add_co_u32_e64 v6, s[2:3], v6, v8
	v_addc_co_u32_e64 v7, s[2:3], 0, v7, s[2:3]
	global_load_dwordx4 v[34:37], v[6:7], off
	global_load_dwordx4 v[30:33], v[6:7], off offset:256
	global_load_dwordx4 v[26:29], v[6:7], off offset:512
	;; [unrolled: 1-line block ×3, first 2 shown]
	s_and_saveexec_b64 s[2:3], vcc
	s_cbranch_execz .LBB675_16
; %bb.15:
	s_load_dwordx2 s[22:23], s[4:5], 0x40
	v_or_b32_e32 v6, s33, v43
	v_mov_b32_e32 v7, 0
	v_lshlrev_b64 v[6:7], 2, v[6:7]
	s_waitcnt lgkmcnt(0)
	v_mov_b32_e32 v8, s23
	v_add_co_u32_e32 v6, vcc, s22, v6
	v_addc_co_u32_e32 v7, vcc, v8, v7, vcc
	global_load_dword v45, v[6:7], off
.LBB675_16:
	s_or_b64 exec, exec, s[2:3]
	s_add_u32 s2, s30, s8
	v_lshlrev_b32_e32 v6, 4, v42
	v_add_co_u32_e32 v8, vcc, s2, v6
	s_waitcnt vmcnt(7)
	v_mul_hi_i32 v6, v5, s21
	s_addc_u32 s3, s31, 0
	v_ashrrev_i32_e32 v6, 31, v6
	v_mov_b32_e32 v7, s3
	v_lshrrev_b32_e32 v38, 29, v6
	v_mov_b32_e32 v39, 0
	v_addc_co_u32_e32 v9, vcc, 0, v7, vcc
	v_mad_i64_i32 v[6:7], s[2:3], v5, s21, v[38:39]
	v_and_b32_e32 v5, -8, v6
	v_add_co_u32_e32 v6, vcc, v8, v5
	s_waitcnt vmcnt(6)
	v_mul_hi_i32 v5, v4, s21
	v_ashrrev_i32_e32 v5, 31, v5
	v_lshrrev_b32_e32 v38, 29, v5
	v_mad_i64_i32 v[4:5], s[2:3], v4, s21, v[38:39]
	v_addc_co_u32_e32 v7, vcc, v9, v7, vcc
	v_and_b32_e32 v4, -8, v4
	v_add_co_u32_e32 v4, vcc, v8, v4
	v_addc_co_u32_e32 v5, vcc, v9, v5, vcc
	global_load_dwordx4 v[14:17], v[6:7], off
	global_load_dwordx4 v[10:13], v[4:5], off
	s_waitcnt vmcnt(7)
	v_mul_hi_i32 v4, v3, s21
	v_ashrrev_i32_e32 v4, 31, v4
	v_lshrrev_b32_e32 v38, 29, v4
	v_mad_i64_i32 v[4:5], s[2:3], v3, s21, v[38:39]
	v_and_b32_e32 v3, -8, v4
	v_add_co_u32_e32 v40, vcc, v8, v3
	s_waitcnt vmcnt(6)
	v_mul_hi_i32 v3, v2, s21
	v_ashrrev_i32_e32 v3, 31, v3
	v_lshrrev_b32_e32 v38, 29, v3
	v_mad_i64_i32 v[2:3], s[2:3], v2, s21, v[38:39]
	v_addc_co_u32_e32 v41, vcc, v9, v5, vcc
	v_and_b32_e32 v2, -8, v2
	v_add_co_u32_e32 v46, vcc, v8, v2
	v_addc_co_u32_e32 v47, vcc, v9, v3, vcc
	global_load_dwordx4 v[6:9], v[40:41], off
	global_load_dwordx4 v[2:5], v[46:47], off
	s_waitcnt vmcnt(7)
	v_cmp_ne_u16_sdwa s[8:9], v34, v39 src0_sel:BYTE_0 src1_sel:DWORD
	v_mov_b32_e32 v46, 0
	s_and_saveexec_b64 s[2:3], s[8:9]
	s_cbranch_execz .LBB675_22
; %bb.17:
	s_movk_i32 s8, 0x80
	v_cmp_ne_u16_sdwa s[20:21], v34, s8 src0_sel:BYTE_0 src1_sel:DWORD
	v_mov_b32_e32 v46, 0xffff8000
	s_and_saveexec_b64 s[8:9], s[20:21]
	s_cbranch_execz .LBB675_21
; %bb.18:
	s_movk_i32 s11, 0x7f
	v_and_b32_e32 v38, 0x7f, v34
	v_cmp_ne_u32_e32 vcc, s11, v38
	v_mov_b32_e32 v46, 0x7f80
	s_and_saveexec_b64 s[20:21], vcc
	s_cbranch_execz .LBB675_20
; %bb.19:
	v_and_b32_e32 v40, 7, v34
	v_ffbh_u32_e32 v40, v40
	v_min_u32_e32 v40, 32, v40
	v_lshrrev_b32_e32 v41, 3, v38
	v_subrev_u32_e32 v46, 28, v40
	v_sub_u32_e32 v40, 29, v40
	v_cmp_gt_u32_e32 vcc, 8, v38
	v_cndmask_b32_e32 v38, v41, v40, vcc
	v_cndmask_b32_e32 v40, 0, v46, vcc
	v_lshlrev_b64 v[40:41], v40, v[34:35]
	v_lshlrev_b32_e32 v40, 20, v40
	v_lshlrev_b32_e32 v41, 24, v34
	v_bfrev_b32_e32 v46, 60
	v_and_b32_e32 v40, 0x700000, v40
	v_and_b32_e32 v41, 0x80000000, v41
	v_lshl_add_u32 v38, v38, 23, v46
	v_or3_b32 v38, v41, v38, v40
	v_lshrrev_b32_e32 v46, 16, v38
.LBB675_20:
	s_or_b64 exec, exec, s[20:21]
.LBB675_21:
	s_or_b64 exec, exec, s[8:9]
.LBB675_22:
	s_or_b64 exec, exec, s[2:3]
	v_lshrrev_b16_e32 v38, 8, v34
	v_cmp_ne_u16_e32 vcc, 0, v38
	s_and_saveexec_b64 s[2:3], vcc
	s_cbranch_execz .LBB675_28
; %bb.23:
	s_movk_i32 s8, 0x80
	v_cmp_ne_u16_e32 vcc, s8, v38
	v_mov_b32_e32 v39, 0xffff8000
	s_and_saveexec_b64 s[8:9], vcc
	s_cbranch_execz .LBB675_27
; %bb.24:
	s_movk_i32 s11, 0x7f
	v_and_b32_e32 v40, 0x7f, v38
	v_cmp_ne_u32_e32 vcc, s11, v40
	v_mov_b32_e32 v39, 0x7f80
	s_and_saveexec_b64 s[20:21], vcc
	s_cbranch_execz .LBB675_26
; %bb.25:
	v_and_b32_e32 v41, 7, v38
	v_ffbh_u32_e32 v39, v41
	v_min_u32_e32 v48, 32, v39
	v_subrev_u32_e32 v39, 28, v48
	v_lshlrev_b64 v[38:39], v39, v[38:39]
	v_lshrrev_b32_e32 v47, 3, v40
	v_sub_u32_e32 v39, 29, v48
	v_and_b32_e32 v38, 7, v38
	v_cmp_gt_u32_e32 vcc, 8, v40
	v_cndmask_b32_e32 v39, v47, v39, vcc
	v_cndmask_b32_e32 v38, v41, v38, vcc
	v_lshlrev_b32_e32 v40, 16, v34
	v_bfrev_b32_e32 v41, 60
	v_lshlrev_b32_e32 v38, 20, v38
	v_and_b32_e32 v40, 0x80000000, v40
	v_lshl_add_u32 v39, v39, 23, v41
	v_or3_b32 v38, v40, v39, v38
	v_lshrrev_b32_e32 v39, 16, v38
.LBB675_26:
	s_or_b64 exec, exec, s[20:21]
.LBB675_27:
	s_or_b64 exec, exec, s[8:9]
.LBB675_28:
	s_or_b64 exec, exec, s[2:3]
	s_movk_i32 s2, 0xff
	v_and_b32_sdwa v40, v34, s2 dst_sel:DWORD dst_unused:UNUSED_PAD src0_sel:WORD_1 src1_sel:DWORD
	v_lshrrev_b32_e32 v38, 16, v34
	v_cmp_ne_u16_e32 vcc, 0, v40
	v_mov_b32_e32 v41, 0
	v_mov_b32_e32 v47, 0
	s_and_saveexec_b64 s[2:3], vcc
	s_cbranch_execz .LBB675_34
; %bb.29:
	s_movk_i32 s8, 0x80
	v_cmp_ne_u16_e32 vcc, s8, v40
	v_mov_b32_e32 v47, 0xffff8000
	s_and_saveexec_b64 s[8:9], vcc
	s_cbranch_execz .LBB675_33
; %bb.30:
	v_bfe_u32 v40, v34, 16, 7
	s_movk_i32 s11, 0x7f
	v_cmp_ne_u32_e32 vcc, s11, v40
	v_mov_b32_e32 v47, 0x7f80
	s_and_saveexec_b64 s[20:21], vcc
	s_cbranch_execz .LBB675_32
; %bb.31:
	v_and_b32_e32 v47, 7, v38
	v_ffbh_u32_e32 v48, v47
	v_min_u32_e32 v51, 32, v48
	v_subrev_u32_e32 v48, 28, v51
	v_lshlrev_b64 v[48:49], v48, v[38:39]
	v_and_b32_e32 v48, 7, v48
	v_cmp_gt_u32_e32 vcc, 8, v40
	v_lshrrev_b32_e32 v50, 3, v40
	v_sub_u32_e32 v38, 29, v51
	v_cndmask_b32_e32 v40, v47, v48, vcc
	v_mov_b32_e32 v47, 24
	v_cndmask_b32_e32 v38, v50, v38, vcc
	v_lshlrev_b32_sdwa v47, v47, v34 dst_sel:DWORD dst_unused:UNUSED_PAD src0_sel:DWORD src1_sel:WORD_1
	v_bfrev_b32_e32 v48, 60
	v_lshlrev_b32_e32 v40, 20, v40
	v_and_b32_e32 v47, 0x80000000, v47
	v_lshl_add_u32 v38, v38, 23, v48
	v_or3_b32 v38, v47, v38, v40
	v_lshrrev_b32_e32 v47, 16, v38
.LBB675_32:
	s_or_b64 exec, exec, s[20:21]
.LBB675_33:
	s_or_b64 exec, exec, s[8:9]
.LBB675_34:
	s_or_b64 exec, exec, s[2:3]
	s_mov_b32 s2, 0xffffff
	v_cmp_lt_u32_e32 vcc, s2, v34
	v_mov_b32_e32 v48, 0
	s_and_saveexec_b64 s[2:3], vcc
	s_cbranch_execz .LBB675_40
; %bb.35:
	v_lshrrev_b32_e32 v38, 24, v34
	s_movk_i32 s8, 0x80
	v_cmp_ne_u32_e32 vcc, s8, v38
	v_mov_b32_e32 v48, 0xffff8000
	s_and_saveexec_b64 s[8:9], vcc
	s_cbranch_execz .LBB675_39
; %bb.36:
	v_bfe_u32 v40, v34, 24, 7
	s_movk_i32 s11, 0x7f
	v_cmp_ne_u32_e32 vcc, s11, v40
	v_mov_b32_e32 v48, 0x7f80
	s_and_saveexec_b64 s[20:21], vcc
	s_cbranch_execz .LBB675_38
; %bb.37:
	v_and_b32_e32 v50, 7, v38
	v_ffbh_u32_e32 v48, v50
	v_min_u32_e32 v52, 32, v48
	v_subrev_u32_e32 v48, 28, v52
	v_lshlrev_b64 v[48:49], v48, v[38:39]
	v_lshrrev_b32_e32 v51, 3, v40
	v_sub_u32_e32 v49, 29, v52
	v_and_b32_e32 v48, 7, v48
	v_cmp_gt_u32_e32 vcc, 8, v40
	v_cndmask_b32_e32 v40, v51, v49, vcc
	v_cndmask_b32_e32 v48, v50, v48, vcc
	v_lshlrev_b32_e32 v38, 24, v38
	v_bfrev_b32_e32 v49, 60
	v_lshlrev_b32_e32 v48, 20, v48
	v_and_b32_e32 v38, 0x80000000, v38
	v_lshl_add_u32 v40, v40, 23, v49
	v_or3_b32 v38, v38, v40, v48
	v_lshrrev_b32_e32 v48, 16, v38
.LBB675_38:
	s_or_b64 exec, exec, s[20:21]
.LBB675_39:
	s_or_b64 exec, exec, s[8:9]
.LBB675_40:
	s_or_b64 exec, exec, s[2:3]
	v_mov_b32_e32 v49, 0
	v_mov_b32_e32 v40, v35
	v_cmp_ne_u16_sdwa s[8:9], v35, v49 src0_sel:BYTE_0 src1_sel:DWORD
	v_mov_b32_e32 v50, 0
	s_and_saveexec_b64 s[2:3], s[8:9]
	s_cbranch_execz .LBB675_46
; %bb.41:
	s_movk_i32 s8, 0x80
	v_cmp_ne_u16_sdwa s[20:21], v35, s8 src0_sel:BYTE_0 src1_sel:DWORD
	v_mov_b32_e32 v50, 0xffff8000
	s_and_saveexec_b64 s[8:9], s[20:21]
	s_cbranch_execz .LBB675_45
; %bb.42:
	s_movk_i32 s11, 0x7f
	v_and_b32_e32 v38, 0x7f, v35
	v_cmp_ne_u32_e32 vcc, s11, v38
	v_mov_b32_e32 v50, 0x7f80
	s_and_saveexec_b64 s[20:21], vcc
	s_cbranch_execz .LBB675_44
; %bb.43:
	v_and_b32_e32 v50, 7, v35
	v_ffbh_u32_e32 v50, v50
	v_min_u32_e32 v50, 32, v50
	v_lshrrev_b32_e32 v51, 3, v38
	v_subrev_u32_e32 v52, 28, v50
	v_sub_u32_e32 v50, 29, v50
	v_cmp_gt_u32_e32 vcc, 8, v38
	v_cndmask_b32_e32 v38, v51, v50, vcc
	v_cndmask_b32_e32 v50, 0, v52, vcc
	v_lshlrev_b64 v[50:51], v50, v[40:41]
	v_lshlrev_b32_e32 v41, 20, v50
	v_lshlrev_b32_e32 v50, 24, v40
	v_bfrev_b32_e32 v51, 60
	v_and_b32_e32 v41, 0x700000, v41
	v_and_b32_e32 v50, 0x80000000, v50
	v_lshl_add_u32 v38, v38, 23, v51
	v_or3_b32 v38, v50, v38, v41
	v_lshrrev_b32_e32 v50, 16, v38
.LBB675_44:
	s_or_b64 exec, exec, s[20:21]
.LBB675_45:
	s_or_b64 exec, exec, s[8:9]
.LBB675_46:
	s_or_b64 exec, exec, s[2:3]
	v_lshrrev_b16_e32 v38, 8, v40
	v_cmp_ne_u16_e32 vcc, 0, v38
	s_and_saveexec_b64 s[2:3], vcc
	s_cbranch_execz .LBB675_52
; %bb.47:
	s_movk_i32 s8, 0x80
	v_cmp_ne_u16_e32 vcc, s8, v38
	v_mov_b32_e32 v49, 0xffff8000
	s_and_saveexec_b64 s[8:9], vcc
	s_cbranch_execz .LBB675_51
; %bb.48:
	s_movk_i32 s11, 0x7f
	v_and_b32_e32 v41, 0x7f, v38
	v_cmp_ne_u32_e32 vcc, s11, v41
	v_mov_b32_e32 v49, 0x7f80
	s_and_saveexec_b64 s[20:21], vcc
	s_cbranch_execz .LBB675_50
; %bb.49:
	v_and_b32_e32 v49, 7, v38
	v_ffbh_u32_e32 v52, v49
	v_min_u32_e32 v54, 32, v52
	v_subrev_u32_e32 v52, 28, v54
	v_lshlrev_b64 v[52:53], v52, v[38:39]
	v_lshrrev_b32_e32 v51, 3, v41
	v_sub_u32_e32 v38, 29, v54
	v_and_b32_e32 v52, 7, v52
	v_cmp_gt_u32_e32 vcc, 8, v41
	v_cndmask_b32_e32 v38, v51, v38, vcc
	v_cndmask_b32_e32 v41, v49, v52, vcc
	v_lshlrev_b32_e32 v40, 16, v40
	v_bfrev_b32_e32 v49, 60
	v_lshlrev_b32_e32 v41, 20, v41
	v_and_b32_e32 v40, 0x80000000, v40
	v_lshl_add_u32 v38, v38, 23, v49
	v_or3_b32 v38, v40, v38, v41
	v_lshrrev_b32_e32 v49, 16, v38
.LBB675_50:
	s_or_b64 exec, exec, s[20:21]
.LBB675_51:
	s_or_b64 exec, exec, s[8:9]
.LBB675_52:
	s_or_b64 exec, exec, s[2:3]
	s_movk_i32 s2, 0xff
	v_and_b32_sdwa v51, v35, s2 dst_sel:DWORD dst_unused:UNUSED_PAD src0_sel:WORD_1 src1_sel:DWORD
	v_lshrrev_b32_e32 v38, 16, v35
	v_cmp_ne_u16_e32 vcc, 0, v51
	v_mov_b32_e32 v40, 0
	v_mov_b32_e32 v41, 0
	s_and_saveexec_b64 s[2:3], vcc
	s_cbranch_execz .LBB675_58
; %bb.53:
	s_movk_i32 s8, 0x80
	v_cmp_ne_u16_e32 vcc, s8, v51
	v_mov_b32_e32 v41, 0xffff8000
	s_and_saveexec_b64 s[8:9], vcc
	s_cbranch_execz .LBB675_57
; %bb.54:
	v_bfe_u32 v51, v35, 16, 7
	s_movk_i32 s11, 0x7f
	v_cmp_ne_u32_e32 vcc, s11, v51
	v_mov_b32_e32 v41, 0x7f80
	s_and_saveexec_b64 s[20:21], vcc
	s_cbranch_execz .LBB675_56
; %bb.55:
	v_and_b32_e32 v41, 7, v38
	v_ffbh_u32_e32 v52, v41
	v_min_u32_e32 v55, 32, v52
	v_subrev_u32_e32 v52, 28, v55
	v_lshlrev_b64 v[52:53], v52, v[38:39]
	v_lshrrev_b32_e32 v54, 3, v51
	v_sub_u32_e32 v38, 29, v55
	v_and_b32_e32 v52, 7, v52
	v_cmp_gt_u32_e32 vcc, 8, v51
	v_mov_b32_e32 v51, 24
	v_cndmask_b32_e32 v38, v54, v38, vcc
	v_cndmask_b32_e32 v41, v41, v52, vcc
	v_lshlrev_b32_sdwa v51, v51, v35 dst_sel:DWORD dst_unused:UNUSED_PAD src0_sel:DWORD src1_sel:WORD_1
	v_bfrev_b32_e32 v52, 60
	v_lshlrev_b32_e32 v41, 20, v41
	v_and_b32_e32 v51, 0x80000000, v51
	v_lshl_add_u32 v38, v38, 23, v52
	v_or3_b32 v38, v51, v38, v41
	v_lshrrev_b32_e32 v41, 16, v38
.LBB675_56:
	s_or_b64 exec, exec, s[20:21]
.LBB675_57:
	s_or_b64 exec, exec, s[8:9]
.LBB675_58:
	s_or_b64 exec, exec, s[2:3]
	s_mov_b32 s2, -1
	s_mov_b32 s3, 0xffffff
	v_cmp_lt_u64_e32 vcc, s[2:3], v[34:35]
	s_and_saveexec_b64 s[2:3], vcc
	s_cbranch_execz .LBB675_64
; %bb.59:
	v_lshrrev_b32_e32 v34, 24, v35
	s_movk_i32 s8, 0x80
	v_cmp_ne_u32_e32 vcc, s8, v34
	v_mov_b32_e32 v40, 0xffff8000
	s_and_saveexec_b64 s[8:9], vcc
	s_cbranch_execz .LBB675_63
; %bb.60:
	v_bfe_u32 v35, v35, 24, 7
	s_movk_i32 s11, 0x7f
	v_cmp_ne_u32_e32 vcc, s11, v35
	v_mov_b32_e32 v40, 0x7f80
	s_and_saveexec_b64 s[20:21], vcc
	s_cbranch_execz .LBB675_62
; %bb.61:
	v_and_b32_e32 v38, 7, v34
	v_ffbh_u32_e32 v51, v38
	v_min_u32_e32 v51, 32, v51
	v_subrev_u32_e32 v52, 28, v51
	v_lshlrev_b64 v[52:53], v52, v[34:35]
	v_lshrrev_b32_e32 v40, 3, v35
	v_sub_u32_e32 v51, 29, v51
	v_and_b32_e32 v52, 7, v52
	v_cmp_gt_u32_e32 vcc, 8, v35
	v_cndmask_b32_e32 v35, v40, v51, vcc
	v_cndmask_b32_e32 v38, v38, v52, vcc
	v_lshlrev_b32_e32 v34, 24, v34
	v_bfrev_b32_e32 v40, 60
	v_lshlrev_b32_e32 v38, 20, v38
	v_and_b32_e32 v34, 0x80000000, v34
	v_lshl_add_u32 v35, v35, 23, v40
	v_or3_b32 v34, v34, v35, v38
	v_lshrrev_b32_e32 v40, 16, v34
.LBB675_62:
	s_or_b64 exec, exec, s[20:21]
.LBB675_63:
	s_or_b64 exec, exec, s[8:9]
.LBB675_64:
	s_or_b64 exec, exec, s[2:3]
	s_mov_b32 s2, 0x5040100
	v_perm_b32 v35, v48, v47, s2
	v_perm_b32 v34, v39, v46, s2
	;; [unrolled: 1-line block ×4, first 2 shown]
	v_mfma_f32_4x4x4bf16_1k a[0:3], v[18:19], v[34:35], 0 cbsz:4
	v_mov_b32_e32 v39, 0
	v_mfma_f32_4x4x4bf16_1k a[0:3], v[20:21], v[40:41], a[0:3] cbsz:4
	v_mov_b32_e32 v40, 0
	v_cmp_ne_u16_sdwa s[8:9], v36, v40 src0_sel:BYTE_0 src1_sel:DWORD
	s_and_saveexec_b64 s[2:3], s[8:9]
	s_cbranch_execz .LBB675_70
; %bb.65:
	s_movk_i32 s8, 0x80
	v_cmp_ne_u16_sdwa s[20:21], v36, s8 src0_sel:BYTE_0 src1_sel:DWORD
	v_mov_b32_e32 v39, 0xffff8000
	s_and_saveexec_b64 s[8:9], s[20:21]
	s_cbranch_execz .LBB675_69
; %bb.66:
	s_movk_i32 s11, 0x7f
	v_and_b32_e32 v34, 0x7f, v36
	v_cmp_ne_u32_e32 vcc, s11, v34
	v_mov_b32_e32 v39, 0x7f80
	s_and_saveexec_b64 s[20:21], vcc
	s_cbranch_execz .LBB675_68
; %bb.67:
	v_and_b32_e32 v35, 7, v36
	v_ffbh_u32_e32 v35, v35
	v_min_u32_e32 v35, 32, v35
	v_subrev_u32_e32 v39, 28, v35
	v_cmp_gt_u32_e32 vcc, 8, v34
	v_lshrrev_b32_e32 v38, 3, v34
	v_sub_u32_e32 v35, 29, v35
	v_cndmask_b32_e32 v34, 0, v39, vcc
	v_cndmask_b32_e32 v38, v38, v35, vcc
	v_lshlrev_b64 v[34:35], v34, v[36:37]
	v_lshlrev_b32_e32 v34, 20, v34
	v_lshlrev_b32_e32 v35, 24, v36
	v_bfrev_b32_e32 v39, 60
	v_and_b32_e32 v34, 0x700000, v34
	v_and_b32_e32 v35, 0x80000000, v35
	v_lshl_add_u32 v38, v38, 23, v39
	v_or3_b32 v34, v35, v38, v34
	v_lshrrev_b32_e32 v39, 16, v34
.LBB675_68:
	s_or_b64 exec, exec, s[20:21]
.LBB675_69:
	s_or_b64 exec, exec, s[8:9]
.LBB675_70:
	s_or_b64 exec, exec, s[2:3]
	v_lshrrev_b16_e32 v34, 8, v36
	v_cmp_ne_u16_e32 vcc, 0, v34
	s_and_saveexec_b64 s[2:3], vcc
	s_cbranch_execz .LBB675_76
; %bb.71:
	s_movk_i32 s8, 0x80
	v_cmp_ne_u16_e32 vcc, s8, v34
	v_mov_b32_e32 v40, 0xffff8000
	s_and_saveexec_b64 s[8:9], vcc
	s_cbranch_execz .LBB675_75
; %bb.72:
	s_movk_i32 s11, 0x7f
	v_and_b32_e32 v35, 0x7f, v34
	v_cmp_ne_u32_e32 vcc, s11, v35
	v_mov_b32_e32 v40, 0x7f80
	s_and_saveexec_b64 s[20:21], vcc
	s_cbranch_execz .LBB675_74
; %bb.73:
	v_and_b32_e32 v38, 7, v34
	v_ffbh_u32_e32 v40, v38
	v_min_u32_e32 v47, 32, v40
	v_subrev_u32_e32 v40, 28, v47
	v_lshlrev_b64 v[40:41], v40, v[34:35]
	v_lshrrev_b32_e32 v46, 3, v35
	v_sub_u32_e32 v34, 29, v47
	v_and_b32_e32 v40, 7, v40
	v_cmp_gt_u32_e32 vcc, 8, v35
	v_cndmask_b32_e32 v34, v46, v34, vcc
	v_cndmask_b32_e32 v35, v38, v40, vcc
	v_lshlrev_b32_e32 v38, 16, v36
	v_bfrev_b32_e32 v40, 60
	v_lshlrev_b32_e32 v35, 20, v35
	v_and_b32_e32 v38, 0x80000000, v38
	v_lshl_add_u32 v34, v34, 23, v40
	v_or3_b32 v34, v38, v34, v35
	v_lshrrev_b32_e32 v40, 16, v34
.LBB675_74:
	s_or_b64 exec, exec, s[20:21]
.LBB675_75:
	s_or_b64 exec, exec, s[8:9]
.LBB675_76:
	s_or_b64 exec, exec, s[2:3]
	s_movk_i32 s2, 0xff
	v_and_b32_sdwa v38, v36, s2 dst_sel:DWORD dst_unused:UNUSED_PAD src0_sel:WORD_1 src1_sel:DWORD
	v_lshrrev_b32_e32 v34, 16, v36
	v_cmp_ne_u16_e32 vcc, 0, v38
	v_mov_b32_e32 v35, 0
	v_mov_b32_e32 v41, 0
	s_and_saveexec_b64 s[2:3], vcc
	s_cbranch_execz .LBB675_82
; %bb.77:
	s_movk_i32 s8, 0x80
	v_cmp_ne_u16_e32 vcc, s8, v38
	v_mov_b32_e32 v41, 0xffff8000
	s_and_saveexec_b64 s[8:9], vcc
	s_cbranch_execz .LBB675_81
; %bb.78:
	v_bfe_u32 v38, v36, 16, 7
	s_movk_i32 s11, 0x7f
	v_cmp_ne_u32_e32 vcc, s11, v38
	v_mov_b32_e32 v41, 0x7f80
	s_and_saveexec_b64 s[20:21], vcc
	s_cbranch_execz .LBB675_80
; %bb.79:
	v_and_b32_e32 v41, 7, v34
	v_ffbh_u32_e32 v46, v41
	v_min_u32_e32 v49, 32, v46
	v_subrev_u32_e32 v46, 28, v49
	v_lshlrev_b64 v[46:47], v46, v[34:35]
	v_and_b32_e32 v46, 7, v46
	v_cmp_gt_u32_e32 vcc, 8, v38
	v_lshrrev_b32_e32 v48, 3, v38
	v_sub_u32_e32 v34, 29, v49
	v_cndmask_b32_e32 v38, v41, v46, vcc
	v_mov_b32_e32 v41, 24
	v_cndmask_b32_e32 v34, v48, v34, vcc
	v_lshlrev_b32_sdwa v41, v41, v36 dst_sel:DWORD dst_unused:UNUSED_PAD src0_sel:DWORD src1_sel:WORD_1
	v_bfrev_b32_e32 v46, 60
	v_lshlrev_b32_e32 v38, 20, v38
	v_and_b32_e32 v41, 0x80000000, v41
	v_lshl_add_u32 v34, v34, 23, v46
	v_or3_b32 v34, v41, v34, v38
	v_lshrrev_b32_e32 v41, 16, v34
.LBB675_80:
	s_or_b64 exec, exec, s[20:21]
.LBB675_81:
	s_or_b64 exec, exec, s[8:9]
.LBB675_82:
	s_or_b64 exec, exec, s[2:3]
	s_mov_b32 s2, 0xffffff
	v_cmp_lt_u32_e32 vcc, s2, v36
	v_mov_b32_e32 v46, 0
	s_and_saveexec_b64 s[2:3], vcc
	s_cbranch_execz .LBB675_88
; %bb.83:
	v_lshrrev_b32_e32 v34, 24, v36
	s_movk_i32 s8, 0x80
	v_cmp_ne_u32_e32 vcc, s8, v34
	v_mov_b32_e32 v46, 0xffff8000
	s_and_saveexec_b64 s[8:9], vcc
	s_cbranch_execz .LBB675_87
; %bb.84:
	v_bfe_u32 v38, v36, 24, 7
	s_movk_i32 s11, 0x7f
	v_cmp_ne_u32_e32 vcc, s11, v38
	v_mov_b32_e32 v46, 0x7f80
	s_and_saveexec_b64 s[20:21], vcc
	s_cbranch_execz .LBB675_86
; %bb.85:
	v_and_b32_e32 v48, 7, v34
	v_ffbh_u32_e32 v46, v48
	v_min_u32_e32 v50, 32, v46
	v_subrev_u32_e32 v46, 28, v50
	v_lshlrev_b64 v[46:47], v46, v[34:35]
	v_lshrrev_b32_e32 v49, 3, v38
	v_sub_u32_e32 v47, 29, v50
	v_and_b32_e32 v46, 7, v46
	v_cmp_gt_u32_e32 vcc, 8, v38
	v_cndmask_b32_e32 v38, v49, v47, vcc
	v_cndmask_b32_e32 v46, v48, v46, vcc
	v_lshlrev_b32_e32 v34, 24, v34
	v_bfrev_b32_e32 v47, 60
	v_lshlrev_b32_e32 v46, 20, v46
	v_and_b32_e32 v34, 0x80000000, v34
	v_lshl_add_u32 v38, v38, 23, v47
	v_or3_b32 v34, v34, v38, v46
	v_lshrrev_b32_e32 v46, 16, v34
.LBB675_86:
	s_or_b64 exec, exec, s[20:21]
.LBB675_87:
	s_or_b64 exec, exec, s[8:9]
.LBB675_88:
	s_or_b64 exec, exec, s[2:3]
	v_mov_b32_e32 v47, 0
	v_mov_b32_e32 v34, v37
	v_cmp_ne_u16_sdwa s[8:9], v37, v47 src0_sel:BYTE_0 src1_sel:DWORD
	v_mov_b32_e32 v48, 0
	s_and_saveexec_b64 s[2:3], s[8:9]
	s_cbranch_execz .LBB675_94
; %bb.89:
	s_movk_i32 s8, 0x80
	v_cmp_ne_u16_sdwa s[20:21], v37, s8 src0_sel:BYTE_0 src1_sel:DWORD
	v_mov_b32_e32 v48, 0xffff8000
	s_and_saveexec_b64 s[8:9], s[20:21]
	s_cbranch_execz .LBB675_93
; %bb.90:
	s_movk_i32 s11, 0x7f
	v_and_b32_e32 v38, 0x7f, v37
	v_cmp_ne_u32_e32 vcc, s11, v38
	v_mov_b32_e32 v48, 0x7f80
	s_and_saveexec_b64 s[20:21], vcc
	s_cbranch_execz .LBB675_92
; %bb.91:
	v_and_b32_e32 v48, 7, v37
	v_ffbh_u32_e32 v48, v48
	v_min_u32_e32 v48, 32, v48
	v_lshrrev_b32_e32 v49, 3, v38
	v_subrev_u32_e32 v50, 28, v48
	v_sub_u32_e32 v48, 29, v48
	v_cmp_gt_u32_e32 vcc, 8, v38
	v_cndmask_b32_e32 v38, v49, v48, vcc
	v_cndmask_b32_e32 v48, 0, v50, vcc
	v_lshlrev_b64 v[48:49], v48, v[34:35]
	v_lshlrev_b32_e32 v35, 20, v48
	v_lshlrev_b32_e32 v48, 24, v34
	v_bfrev_b32_e32 v49, 60
	v_and_b32_e32 v35, 0x700000, v35
	v_and_b32_e32 v48, 0x80000000, v48
	v_lshl_add_u32 v38, v38, 23, v49
	v_or3_b32 v35, v48, v38, v35
	v_lshrrev_b32_e32 v48, 16, v35
.LBB675_92:
	s_or_b64 exec, exec, s[20:21]
.LBB675_93:
	s_or_b64 exec, exec, s[8:9]
.LBB675_94:
	s_or_b64 exec, exec, s[2:3]
	v_lshrrev_b16_e32 v38, 8, v34
	v_cmp_ne_u16_e32 vcc, 0, v38
	s_and_saveexec_b64 s[2:3], vcc
	s_cbranch_execz .LBB675_100
; %bb.95:
	s_movk_i32 s8, 0x80
	v_cmp_ne_u16_e32 vcc, s8, v38
	v_mov_b32_e32 v47, 0xffff8000
	s_and_saveexec_b64 s[8:9], vcc
	s_cbranch_execz .LBB675_99
; %bb.96:
	s_movk_i32 s11, 0x7f
	v_and_b32_e32 v35, 0x7f, v38
	v_cmp_ne_u32_e32 vcc, s11, v35
	v_mov_b32_e32 v47, 0x7f80
	s_and_saveexec_b64 s[20:21], vcc
	s_cbranch_execz .LBB675_98
; %bb.97:
	v_and_b32_e32 v47, 7, v38
	v_ffbh_u32_e32 v50, v47
	v_min_u32_e32 v52, 32, v50
	v_subrev_u32_e32 v50, 28, v52
	v_lshlrev_b64 v[50:51], v50, v[38:39]
	v_lshrrev_b32_e32 v49, 3, v35
	v_sub_u32_e32 v38, 29, v52
	v_and_b32_e32 v50, 7, v50
	v_cmp_gt_u32_e32 vcc, 8, v35
	v_cndmask_b32_e32 v35, v49, v38, vcc
	v_cndmask_b32_e32 v38, v47, v50, vcc
	v_lshlrev_b32_e32 v34, 16, v34
	v_bfrev_b32_e32 v47, 60
	v_lshlrev_b32_e32 v38, 20, v38
	v_and_b32_e32 v34, 0x80000000, v34
	v_lshl_add_u32 v35, v35, 23, v47
	v_or3_b32 v34, v34, v35, v38
	v_lshrrev_b32_e32 v47, 16, v34
.LBB675_98:
	s_or_b64 exec, exec, s[20:21]
.LBB675_99:
	s_or_b64 exec, exec, s[8:9]
.LBB675_100:
	s_or_b64 exec, exec, s[2:3]
	s_movk_i32 s2, 0xff
	v_and_b32_sdwa v49, v37, s2 dst_sel:DWORD dst_unused:UNUSED_PAD src0_sel:WORD_1 src1_sel:DWORD
	v_lshrrev_b32_e32 v34, 16, v37
	v_cmp_ne_u16_e32 vcc, 0, v49
	v_mov_b32_e32 v35, 0
	v_mov_b32_e32 v38, 0
	s_and_saveexec_b64 s[2:3], vcc
	s_cbranch_execz .LBB675_106
; %bb.101:
	s_movk_i32 s8, 0x80
	v_cmp_ne_u16_e32 vcc, s8, v49
	v_mov_b32_e32 v38, 0xffff8000
	s_and_saveexec_b64 s[8:9], vcc
	s_cbranch_execz .LBB675_105
; %bb.102:
	v_bfe_u32 v49, v37, 16, 7
	s_movk_i32 s11, 0x7f
	v_cmp_ne_u32_e32 vcc, s11, v49
	v_mov_b32_e32 v38, 0x7f80
	s_and_saveexec_b64 s[20:21], vcc
	s_cbranch_execz .LBB675_104
; %bb.103:
	v_and_b32_e32 v38, 7, v34
	v_ffbh_u32_e32 v50, v38
	v_min_u32_e32 v53, 32, v50
	v_subrev_u32_e32 v50, 28, v53
	v_lshlrev_b64 v[50:51], v50, v[34:35]
	v_lshrrev_b32_e32 v52, 3, v49
	v_sub_u32_e32 v34, 29, v53
	v_and_b32_e32 v50, 7, v50
	v_cmp_gt_u32_e32 vcc, 8, v49
	v_mov_b32_e32 v49, 24
	v_cndmask_b32_e32 v34, v52, v34, vcc
	v_cndmask_b32_e32 v38, v38, v50, vcc
	v_lshlrev_b32_sdwa v49, v49, v37 dst_sel:DWORD dst_unused:UNUSED_PAD src0_sel:DWORD src1_sel:WORD_1
	v_bfrev_b32_e32 v50, 60
	v_lshlrev_b32_e32 v38, 20, v38
	v_and_b32_e32 v49, 0x80000000, v49
	v_lshl_add_u32 v34, v34, 23, v50
	v_or3_b32 v34, v49, v34, v38
	v_lshrrev_b32_e32 v38, 16, v34
.LBB675_104:
	s_or_b64 exec, exec, s[20:21]
.LBB675_105:
	s_or_b64 exec, exec, s[8:9]
.LBB675_106:
	s_or_b64 exec, exec, s[2:3]
	s_mov_b32 s2, -1
	s_mov_b32 s3, 0xffffff
	v_cmp_lt_u64_e32 vcc, s[2:3], v[36:37]
	s_and_saveexec_b64 s[2:3], vcc
	s_cbranch_execz .LBB675_112
; %bb.107:
	v_lshrrev_b32_e32 v34, 24, v37
	s_movk_i32 s8, 0x80
	v_cmp_ne_u32_e32 vcc, s8, v34
	v_mov_b32_e32 v35, 0xffff8000
	s_and_saveexec_b64 s[8:9], vcc
	s_cbranch_execz .LBB675_111
; %bb.108:
	v_bfe_u32 v36, v37, 24, 7
	s_movk_i32 s11, 0x7f
	v_cmp_ne_u32_e32 vcc, s11, v36
	v_mov_b32_e32 v35, 0x7f80
	s_and_saveexec_b64 s[20:21], vcc
	s_cbranch_execz .LBB675_110
; %bb.109:
	v_and_b32_e32 v35, 7, v34
	v_ffbh_u32_e32 v49, v35
	v_min_u32_e32 v49, 32, v49
	v_subrev_u32_e32 v50, 28, v49
	v_lshlrev_b64 v[50:51], v50, v[34:35]
	v_lshrrev_b32_e32 v37, 3, v36
	v_sub_u32_e32 v49, 29, v49
	v_and_b32_e32 v50, 7, v50
	v_cmp_gt_u32_e32 vcc, 8, v36
	v_cndmask_b32_e32 v36, v37, v49, vcc
	v_cndmask_b32_e32 v35, v35, v50, vcc
	v_lshlrev_b32_e32 v34, 24, v34
	v_bfrev_b32_e32 v37, 60
	v_lshlrev_b32_e32 v35, 20, v35
	v_and_b32_e32 v34, 0x80000000, v34
	v_lshl_add_u32 v36, v36, 23, v37
	v_or3_b32 v34, v34, v36, v35
	v_lshrrev_b32_e32 v35, 16, v34
.LBB675_110:
	s_or_b64 exec, exec, s[20:21]
.LBB675_111:
	s_or_b64 exec, exec, s[8:9]
.LBB675_112:
	s_or_b64 exec, exec, s[2:3]
	s_mov_b32 s2, 0x5040100
	v_perm_b32 v37, v46, v41, s2
	v_perm_b32 v36, v40, v39, s2
	;; [unrolled: 1-line block ×4, first 2 shown]
	v_mfma_f32_4x4x4bf16_1k a[0:3], v[18:19], v[36:37], a[0:3] cbsz:4 abid:1
	v_mov_b32_e32 v37, 0
	v_mfma_f32_4x4x4bf16_1k a[0:3], v[20:21], v[34:35], a[0:3] cbsz:4 abid:1
	s_waitcnt vmcnt(6)
	v_cmp_ne_u16_sdwa s[8:9], v30, v37 src0_sel:BYTE_0 src1_sel:DWORD
	v_mov_b32_e32 v38, 0
	s_and_saveexec_b64 s[2:3], s[8:9]
	s_cbranch_execz .LBB675_118
; %bb.113:
	s_movk_i32 s8, 0x80
	v_cmp_ne_u16_sdwa s[20:21], v30, s8 src0_sel:BYTE_0 src1_sel:DWORD
	v_mov_b32_e32 v38, 0xffff8000
	s_and_saveexec_b64 s[8:9], s[20:21]
	s_cbranch_execz .LBB675_117
; %bb.114:
	s_movk_i32 s11, 0x7f
	v_and_b32_e32 v34, 0x7f, v30
	v_cmp_ne_u32_e32 vcc, s11, v34
	v_mov_b32_e32 v38, 0x7f80
	s_and_saveexec_b64 s[20:21], vcc
	s_cbranch_execz .LBB675_116
; %bb.115:
	v_and_b32_e32 v35, 7, v30
	v_ffbh_u32_e32 v35, v35
	v_min_u32_e32 v35, 32, v35
	v_subrev_u32_e32 v38, 28, v35
	v_cmp_gt_u32_e32 vcc, 8, v34
	v_lshrrev_b32_e32 v36, 3, v34
	v_sub_u32_e32 v35, 29, v35
	v_cndmask_b32_e32 v34, 0, v38, vcc
	v_cndmask_b32_e32 v36, v36, v35, vcc
	v_lshlrev_b64 v[34:35], v34, v[30:31]
	v_lshlrev_b32_e32 v34, 20, v34
	v_lshlrev_b32_e32 v35, 24, v30
	v_bfrev_b32_e32 v38, 60
	v_and_b32_e32 v34, 0x700000, v34
	v_and_b32_e32 v35, 0x80000000, v35
	v_lshl_add_u32 v36, v36, 23, v38
	v_or3_b32 v34, v35, v36, v34
	v_lshrrev_b32_e32 v38, 16, v34
.LBB675_116:
	s_or_b64 exec, exec, s[20:21]
.LBB675_117:
	s_or_b64 exec, exec, s[8:9]
.LBB675_118:
	s_or_b64 exec, exec, s[2:3]
	v_lshrrev_b16_e32 v34, 8, v30
	v_cmp_ne_u16_e32 vcc, 0, v34
	s_and_saveexec_b64 s[2:3], vcc
	s_cbranch_execz .LBB675_124
; %bb.119:
	s_movk_i32 s8, 0x80
	v_cmp_ne_u16_e32 vcc, s8, v34
	v_mov_b32_e32 v37, 0xffff8000
	s_and_saveexec_b64 s[8:9], vcc
	s_cbranch_execz .LBB675_123
; %bb.120:
	s_movk_i32 s11, 0x7f
	v_and_b32_e32 v35, 0x7f, v34
	v_cmp_ne_u32_e32 vcc, s11, v35
	v_mov_b32_e32 v37, 0x7f80
	s_and_saveexec_b64 s[20:21], vcc
	s_cbranch_execz .LBB675_122
; %bb.121:
	v_and_b32_e32 v39, 7, v34
	v_ffbh_u32_e32 v36, v39
	v_min_u32_e32 v41, 32, v36
	v_subrev_u32_e32 v36, 28, v41
	v_lshlrev_b64 v[36:37], v36, v[34:35]
	v_lshrrev_b32_e32 v40, 3, v35
	v_sub_u32_e32 v34, 29, v41
	v_and_b32_e32 v36, 7, v36
	v_cmp_gt_u32_e32 vcc, 8, v35
	v_cndmask_b32_e32 v34, v40, v34, vcc
	v_cndmask_b32_e32 v35, v39, v36, vcc
	v_lshlrev_b32_e32 v36, 16, v30
	v_bfrev_b32_e32 v37, 60
	v_lshlrev_b32_e32 v35, 20, v35
	v_and_b32_e32 v36, 0x80000000, v36
	v_lshl_add_u32 v34, v34, 23, v37
	v_or3_b32 v34, v36, v34, v35
	v_lshrrev_b32_e32 v37, 16, v34
.LBB675_122:
	s_or_b64 exec, exec, s[20:21]
.LBB675_123:
	s_or_b64 exec, exec, s[8:9]
.LBB675_124:
	s_or_b64 exec, exec, s[2:3]
	s_movk_i32 s2, 0xff
	v_and_b32_sdwa v36, v30, s2 dst_sel:DWORD dst_unused:UNUSED_PAD src0_sel:WORD_1 src1_sel:DWORD
	v_lshrrev_b32_e32 v34, 16, v30
	v_cmp_ne_u16_e32 vcc, 0, v36
	v_mov_b32_e32 v35, 0
	v_mov_b32_e32 v39, 0
	s_and_saveexec_b64 s[2:3], vcc
	s_cbranch_execz .LBB675_130
; %bb.125:
	s_movk_i32 s8, 0x80
	v_cmp_ne_u16_e32 vcc, s8, v36
	v_mov_b32_e32 v39, 0xffff8000
	s_and_saveexec_b64 s[8:9], vcc
	s_cbranch_execz .LBB675_129
; %bb.126:
	v_bfe_u32 v36, v30, 16, 7
	s_movk_i32 s11, 0x7f
	v_cmp_ne_u32_e32 vcc, s11, v36
	v_mov_b32_e32 v39, 0x7f80
	s_and_saveexec_b64 s[20:21], vcc
	s_cbranch_execz .LBB675_128
; %bb.127:
	v_and_b32_e32 v39, 7, v34
	v_ffbh_u32_e32 v40, v39
	v_min_u32_e32 v47, 32, v40
	v_subrev_u32_e32 v40, 28, v47
	v_lshlrev_b64 v[40:41], v40, v[34:35]
	v_and_b32_e32 v40, 7, v40
	v_cmp_gt_u32_e32 vcc, 8, v36
	v_lshrrev_b32_e32 v46, 3, v36
	v_sub_u32_e32 v34, 29, v47
	v_cndmask_b32_e32 v36, v39, v40, vcc
	v_mov_b32_e32 v39, 24
	v_cndmask_b32_e32 v34, v46, v34, vcc
	v_lshlrev_b32_sdwa v39, v39, v30 dst_sel:DWORD dst_unused:UNUSED_PAD src0_sel:DWORD src1_sel:WORD_1
	v_bfrev_b32_e32 v40, 60
	v_lshlrev_b32_e32 v36, 20, v36
	v_and_b32_e32 v39, 0x80000000, v39
	v_lshl_add_u32 v34, v34, 23, v40
	v_or3_b32 v34, v39, v34, v36
	v_lshrrev_b32_e32 v39, 16, v34
.LBB675_128:
	s_or_b64 exec, exec, s[20:21]
.LBB675_129:
	s_or_b64 exec, exec, s[8:9]
.LBB675_130:
	s_or_b64 exec, exec, s[2:3]
	s_mov_b32 s2, 0xffffff
	v_cmp_lt_u32_e32 vcc, s2, v30
	v_mov_b32_e32 v40, 0
	s_and_saveexec_b64 s[2:3], vcc
	s_cbranch_execz .LBB675_136
; %bb.131:
	v_lshrrev_b32_e32 v34, 24, v30
	s_movk_i32 s8, 0x80
	v_cmp_ne_u32_e32 vcc, s8, v34
	v_mov_b32_e32 v40, 0xffff8000
	s_and_saveexec_b64 s[8:9], vcc
	s_cbranch_execz .LBB675_135
; %bb.132:
	v_bfe_u32 v36, v30, 24, 7
	s_movk_i32 s11, 0x7f
	v_cmp_ne_u32_e32 vcc, s11, v36
	v_mov_b32_e32 v40, 0x7f80
	s_and_saveexec_b64 s[20:21], vcc
	s_cbranch_execz .LBB675_134
; %bb.133:
	v_and_b32_e32 v46, 7, v34
	v_ffbh_u32_e32 v40, v46
	v_min_u32_e32 v48, 32, v40
	v_subrev_u32_e32 v40, 28, v48
	v_lshlrev_b64 v[40:41], v40, v[34:35]
	v_lshrrev_b32_e32 v47, 3, v36
	v_sub_u32_e32 v41, 29, v48
	v_and_b32_e32 v40, 7, v40
	v_cmp_gt_u32_e32 vcc, 8, v36
	v_cndmask_b32_e32 v36, v47, v41, vcc
	v_cndmask_b32_e32 v40, v46, v40, vcc
	v_lshlrev_b32_e32 v34, 24, v34
	v_bfrev_b32_e32 v41, 60
	v_lshlrev_b32_e32 v40, 20, v40
	v_and_b32_e32 v34, 0x80000000, v34
	v_lshl_add_u32 v36, v36, 23, v41
	v_or3_b32 v34, v34, v36, v40
	v_lshrrev_b32_e32 v40, 16, v34
.LBB675_134:
	s_or_b64 exec, exec, s[20:21]
.LBB675_135:
	s_or_b64 exec, exec, s[8:9]
.LBB675_136:
	s_or_b64 exec, exec, s[2:3]
	v_mov_b32_e32 v41, 0
	v_mov_b32_e32 v34, v31
	v_cmp_ne_u16_sdwa s[8:9], v31, v41 src0_sel:BYTE_0 src1_sel:DWORD
	v_mov_b32_e32 v46, 0
	s_and_saveexec_b64 s[2:3], s[8:9]
	s_cbranch_execz .LBB675_142
; %bb.137:
	s_movk_i32 s8, 0x80
	v_cmp_ne_u16_sdwa s[20:21], v31, s8 src0_sel:BYTE_0 src1_sel:DWORD
	v_mov_b32_e32 v46, 0xffff8000
	s_and_saveexec_b64 s[8:9], s[20:21]
	s_cbranch_execz .LBB675_141
; %bb.138:
	s_movk_i32 s11, 0x7f
	v_and_b32_e32 v36, 0x7f, v31
	v_cmp_ne_u32_e32 vcc, s11, v36
	v_mov_b32_e32 v46, 0x7f80
	s_and_saveexec_b64 s[20:21], vcc
	s_cbranch_execz .LBB675_140
; %bb.139:
	v_and_b32_e32 v46, 7, v31
	v_ffbh_u32_e32 v46, v46
	v_min_u32_e32 v46, 32, v46
	v_lshrrev_b32_e32 v47, 3, v36
	v_subrev_u32_e32 v48, 28, v46
	v_sub_u32_e32 v46, 29, v46
	v_cmp_gt_u32_e32 vcc, 8, v36
	v_cndmask_b32_e32 v36, v47, v46, vcc
	v_cndmask_b32_e32 v46, 0, v48, vcc
	v_lshlrev_b64 v[46:47], v46, v[34:35]
	v_lshlrev_b32_e32 v35, 20, v46
	v_lshlrev_b32_e32 v46, 24, v34
	v_bfrev_b32_e32 v47, 60
	v_and_b32_e32 v35, 0x700000, v35
	v_and_b32_e32 v46, 0x80000000, v46
	v_lshl_add_u32 v36, v36, 23, v47
	v_or3_b32 v35, v46, v36, v35
	v_lshrrev_b32_e32 v46, 16, v35
.LBB675_140:
	s_or_b64 exec, exec, s[20:21]
.LBB675_141:
	s_or_b64 exec, exec, s[8:9]
.LBB675_142:
	s_or_b64 exec, exec, s[2:3]
	v_lshrrev_b16_e32 v36, 8, v34
	v_cmp_ne_u16_e32 vcc, 0, v36
	s_and_saveexec_b64 s[2:3], vcc
	s_cbranch_execz .LBB675_148
; %bb.143:
	s_movk_i32 s8, 0x80
	v_cmp_ne_u16_e32 vcc, s8, v36
	v_mov_b32_e32 v41, 0xffff8000
	s_and_saveexec_b64 s[8:9], vcc
	s_cbranch_execz .LBB675_147
; %bb.144:
	s_movk_i32 s11, 0x7f
	v_and_b32_e32 v35, 0x7f, v36
	v_cmp_ne_u32_e32 vcc, s11, v35
	v_mov_b32_e32 v41, 0x7f80
	s_and_saveexec_b64 s[20:21], vcc
	s_cbranch_execz .LBB675_146
; %bb.145:
	v_and_b32_e32 v41, 7, v36
	v_ffbh_u32_e32 v48, v41
	v_min_u32_e32 v50, 32, v48
	v_subrev_u32_e32 v48, 28, v50
	v_lshlrev_b64 v[48:49], v48, v[36:37]
	v_lshrrev_b32_e32 v47, 3, v35
	v_sub_u32_e32 v36, 29, v50
	v_and_b32_e32 v48, 7, v48
	v_cmp_gt_u32_e32 vcc, 8, v35
	v_cndmask_b32_e32 v35, v47, v36, vcc
	v_cndmask_b32_e32 v36, v41, v48, vcc
	v_lshlrev_b32_e32 v34, 16, v34
	v_bfrev_b32_e32 v41, 60
	v_lshlrev_b32_e32 v36, 20, v36
	v_and_b32_e32 v34, 0x80000000, v34
	v_lshl_add_u32 v35, v35, 23, v41
	v_or3_b32 v34, v34, v35, v36
	v_lshrrev_b32_e32 v41, 16, v34
.LBB675_146:
	s_or_b64 exec, exec, s[20:21]
.LBB675_147:
	s_or_b64 exec, exec, s[8:9]
.LBB675_148:
	s_or_b64 exec, exec, s[2:3]
	s_movk_i32 s2, 0xff
	v_and_b32_sdwa v47, v31, s2 dst_sel:DWORD dst_unused:UNUSED_PAD src0_sel:WORD_1 src1_sel:DWORD
	v_lshrrev_b32_e32 v34, 16, v31
	v_cmp_ne_u16_e32 vcc, 0, v47
	v_mov_b32_e32 v35, 0
	v_mov_b32_e32 v36, 0
	s_and_saveexec_b64 s[2:3], vcc
	s_cbranch_execz .LBB675_154
; %bb.149:
	s_movk_i32 s8, 0x80
	v_cmp_ne_u16_e32 vcc, s8, v47
	v_mov_b32_e32 v36, 0xffff8000
	s_and_saveexec_b64 s[8:9], vcc
	s_cbranch_execz .LBB675_153
; %bb.150:
	v_bfe_u32 v47, v31, 16, 7
	s_movk_i32 s11, 0x7f
	v_cmp_ne_u32_e32 vcc, s11, v47
	v_mov_b32_e32 v36, 0x7f80
	s_and_saveexec_b64 s[20:21], vcc
	s_cbranch_execz .LBB675_152
; %bb.151:
	v_and_b32_e32 v36, 7, v34
	v_ffbh_u32_e32 v48, v36
	v_min_u32_e32 v51, 32, v48
	v_subrev_u32_e32 v48, 28, v51
	v_lshlrev_b64 v[48:49], v48, v[34:35]
	v_lshrrev_b32_e32 v50, 3, v47
	v_sub_u32_e32 v34, 29, v51
	v_and_b32_e32 v48, 7, v48
	v_cmp_gt_u32_e32 vcc, 8, v47
	v_mov_b32_e32 v47, 24
	v_cndmask_b32_e32 v34, v50, v34, vcc
	v_cndmask_b32_e32 v36, v36, v48, vcc
	v_lshlrev_b32_sdwa v47, v47, v31 dst_sel:DWORD dst_unused:UNUSED_PAD src0_sel:DWORD src1_sel:WORD_1
	v_bfrev_b32_e32 v48, 60
	v_lshlrev_b32_e32 v36, 20, v36
	v_and_b32_e32 v47, 0x80000000, v47
	v_lshl_add_u32 v34, v34, 23, v48
	v_or3_b32 v34, v47, v34, v36
	v_lshrrev_b32_e32 v36, 16, v34
.LBB675_152:
	s_or_b64 exec, exec, s[20:21]
.LBB675_153:
	s_or_b64 exec, exec, s[8:9]
.LBB675_154:
	s_or_b64 exec, exec, s[2:3]
	s_mov_b32 s2, -1
	s_mov_b32 s3, 0xffffff
	v_cmp_lt_u64_e32 vcc, s[2:3], v[30:31]
	s_and_saveexec_b64 s[2:3], vcc
	s_cbranch_execz .LBB675_160
; %bb.155:
	v_lshrrev_b32_e32 v30, 24, v31
	s_movk_i32 s8, 0x80
	v_cmp_ne_u32_e32 vcc, s8, v30
	v_mov_b32_e32 v35, 0xffff8000
	s_and_saveexec_b64 s[8:9], vcc
	s_cbranch_execz .LBB675_159
; %bb.156:
	v_bfe_u32 v31, v31, 24, 7
	s_movk_i32 s11, 0x7f
	v_cmp_ne_u32_e32 vcc, s11, v31
	v_mov_b32_e32 v35, 0x7f80
	s_and_saveexec_b64 s[20:21], vcc
	s_cbranch_execz .LBB675_158
; %bb.157:
	v_and_b32_e32 v47, 7, v30
	v_ffbh_u32_e32 v34, v47
	v_min_u32_e32 v49, 32, v34
	v_subrev_u32_e32 v34, 28, v49
	v_lshlrev_b64 v[34:35], v34, v[30:31]
	v_lshrrev_b32_e32 v48, 3, v31
	v_sub_u32_e32 v35, 29, v49
	v_and_b32_e32 v34, 7, v34
	v_cmp_gt_u32_e32 vcc, 8, v31
	v_cndmask_b32_e32 v31, v48, v35, vcc
	v_cndmask_b32_e32 v34, v47, v34, vcc
	v_lshlrev_b32_e32 v30, 24, v30
	v_bfrev_b32_e32 v35, 60
	v_lshlrev_b32_e32 v34, 20, v34
	v_and_b32_e32 v30, 0x80000000, v30
	v_lshl_add_u32 v31, v31, 23, v35
	v_or3_b32 v30, v30, v31, v34
	v_lshrrev_b32_e32 v35, 16, v30
.LBB675_158:
	s_or_b64 exec, exec, s[20:21]
.LBB675_159:
	s_or_b64 exec, exec, s[8:9]
.LBB675_160:
	s_or_b64 exec, exec, s[2:3]
	s_mov_b32 s2, 0x5040100
	v_perm_b32 v31, v40, v39, s2
	v_perm_b32 v30, v37, v38, s2
	;; [unrolled: 1-line block ×4, first 2 shown]
	v_mfma_f32_4x4x4bf16_1k a[0:3], v[18:19], v[30:31], a[0:3] cbsz:4 abid:2
	v_mov_b32_e32 v36, 0
	v_mfma_f32_4x4x4bf16_1k a[0:3], v[20:21], v[34:35], a[0:3] cbsz:4 abid:2
	v_mov_b32_e32 v35, 0
	v_cmp_ne_u16_sdwa s[8:9], v32, v35 src0_sel:BYTE_0 src1_sel:DWORD
	s_and_saveexec_b64 s[2:3], s[8:9]
	s_cbranch_execz .LBB675_166
; %bb.161:
	s_movk_i32 s8, 0x80
	v_cmp_ne_u16_sdwa s[20:21], v32, s8 src0_sel:BYTE_0 src1_sel:DWORD
	v_mov_b32_e32 v36, 0xffff8000
	s_and_saveexec_b64 s[8:9], s[20:21]
	s_cbranch_execz .LBB675_165
; %bb.162:
	s_movk_i32 s11, 0x7f
	v_and_b32_e32 v30, 0x7f, v32
	v_cmp_ne_u32_e32 vcc, s11, v30
	v_mov_b32_e32 v36, 0x7f80
	s_and_saveexec_b64 s[20:21], vcc
	s_cbranch_execz .LBB675_164
; %bb.163:
	v_and_b32_e32 v31, 7, v32
	v_ffbh_u32_e32 v31, v31
	v_min_u32_e32 v31, 32, v31
	v_subrev_u32_e32 v36, 28, v31
	v_cmp_gt_u32_e32 vcc, 8, v30
	v_lshrrev_b32_e32 v34, 3, v30
	v_sub_u32_e32 v31, 29, v31
	v_cndmask_b32_e32 v30, 0, v36, vcc
	v_cndmask_b32_e32 v34, v34, v31, vcc
	v_lshlrev_b64 v[30:31], v30, v[32:33]
	v_lshlrev_b32_e32 v30, 20, v30
	v_lshlrev_b32_e32 v31, 24, v32
	v_bfrev_b32_e32 v36, 60
	v_and_b32_e32 v30, 0x700000, v30
	v_and_b32_e32 v31, 0x80000000, v31
	v_lshl_add_u32 v34, v34, 23, v36
	v_or3_b32 v30, v31, v34, v30
	v_lshrrev_b32_e32 v36, 16, v30
.LBB675_164:
	s_or_b64 exec, exec, s[20:21]
.LBB675_165:
	s_or_b64 exec, exec, s[8:9]
.LBB675_166:
	s_or_b64 exec, exec, s[2:3]
	v_lshrrev_b16_e32 v30, 8, v32
	v_cmp_ne_u16_e32 vcc, 0, v30
	s_and_saveexec_b64 s[2:3], vcc
	s_cbranch_execz .LBB675_172
; %bb.167:
	s_movk_i32 s8, 0x80
	v_cmp_ne_u16_e32 vcc, s8, v30
	v_mov_b32_e32 v35, 0xffff8000
	s_and_saveexec_b64 s[8:9], vcc
	s_cbranch_execz .LBB675_171
; %bb.168:
	s_movk_i32 s11, 0x7f
	v_and_b32_e32 v31, 0x7f, v30
	v_cmp_ne_u32_e32 vcc, s11, v31
	v_mov_b32_e32 v35, 0x7f80
	s_and_saveexec_b64 s[20:21], vcc
	s_cbranch_execz .LBB675_170
; %bb.169:
	v_and_b32_e32 v37, 7, v30
	v_ffbh_u32_e32 v34, v37
	v_min_u32_e32 v39, 32, v34
	v_subrev_u32_e32 v34, 28, v39
	v_lshlrev_b64 v[34:35], v34, v[30:31]
	v_lshrrev_b32_e32 v38, 3, v31
	v_sub_u32_e32 v30, 29, v39
	v_and_b32_e32 v34, 7, v34
	v_cmp_gt_u32_e32 vcc, 8, v31
	v_cndmask_b32_e32 v30, v38, v30, vcc
	v_cndmask_b32_e32 v31, v37, v34, vcc
	v_lshlrev_b32_e32 v34, 16, v32
	v_bfrev_b32_e32 v35, 60
	v_lshlrev_b32_e32 v31, 20, v31
	v_and_b32_e32 v34, 0x80000000, v34
	v_lshl_add_u32 v30, v30, 23, v35
	v_or3_b32 v30, v34, v30, v31
	v_lshrrev_b32_e32 v35, 16, v30
.LBB675_170:
	s_or_b64 exec, exec, s[20:21]
.LBB675_171:
	s_or_b64 exec, exec, s[8:9]
.LBB675_172:
	s_or_b64 exec, exec, s[2:3]
	s_movk_i32 s2, 0xff
	v_and_b32_sdwa v34, v32, s2 dst_sel:DWORD dst_unused:UNUSED_PAD src0_sel:WORD_1 src1_sel:DWORD
	v_lshrrev_b32_e32 v30, 16, v32
	v_cmp_ne_u16_e32 vcc, 0, v34
	v_mov_b32_e32 v31, 0
	v_mov_b32_e32 v37, 0
	s_and_saveexec_b64 s[2:3], vcc
	s_cbranch_execz .LBB675_178
; %bb.173:
	s_movk_i32 s8, 0x80
	v_cmp_ne_u16_e32 vcc, s8, v34
	v_mov_b32_e32 v37, 0xffff8000
	s_and_saveexec_b64 s[8:9], vcc
	s_cbranch_execz .LBB675_177
; %bb.174:
	v_bfe_u32 v34, v32, 16, 7
	s_movk_i32 s11, 0x7f
	v_cmp_ne_u32_e32 vcc, s11, v34
	v_mov_b32_e32 v37, 0x7f80
	s_and_saveexec_b64 s[20:21], vcc
	s_cbranch_execz .LBB675_176
; %bb.175:
	v_and_b32_e32 v37, 7, v30
	v_ffbh_u32_e32 v38, v37
	v_min_u32_e32 v41, 32, v38
	v_subrev_u32_e32 v38, 28, v41
	v_lshlrev_b64 v[38:39], v38, v[30:31]
	v_and_b32_e32 v38, 7, v38
	v_cmp_gt_u32_e32 vcc, 8, v34
	v_lshrrev_b32_e32 v40, 3, v34
	v_sub_u32_e32 v30, 29, v41
	v_cndmask_b32_e32 v34, v37, v38, vcc
	v_mov_b32_e32 v37, 24
	v_cndmask_b32_e32 v30, v40, v30, vcc
	v_lshlrev_b32_sdwa v37, v37, v32 dst_sel:DWORD dst_unused:UNUSED_PAD src0_sel:DWORD src1_sel:WORD_1
	v_bfrev_b32_e32 v38, 60
	v_lshlrev_b32_e32 v34, 20, v34
	v_and_b32_e32 v37, 0x80000000, v37
	v_lshl_add_u32 v30, v30, 23, v38
	v_or3_b32 v30, v37, v30, v34
	v_lshrrev_b32_e32 v37, 16, v30
.LBB675_176:
	s_or_b64 exec, exec, s[20:21]
.LBB675_177:
	s_or_b64 exec, exec, s[8:9]
.LBB675_178:
	s_or_b64 exec, exec, s[2:3]
	s_mov_b32 s2, 0xffffff
	v_cmp_lt_u32_e32 vcc, s2, v32
	v_mov_b32_e32 v38, 0
	s_and_saveexec_b64 s[2:3], vcc
	s_cbranch_execz .LBB675_184
; %bb.179:
	v_lshrrev_b32_e32 v30, 24, v32
	s_movk_i32 s8, 0x80
	v_cmp_ne_u32_e32 vcc, s8, v30
	v_mov_b32_e32 v38, 0xffff8000
	s_and_saveexec_b64 s[8:9], vcc
	s_cbranch_execz .LBB675_183
; %bb.180:
	v_bfe_u32 v34, v32, 24, 7
	s_movk_i32 s11, 0x7f
	v_cmp_ne_u32_e32 vcc, s11, v34
	v_mov_b32_e32 v38, 0x7f80
	s_and_saveexec_b64 s[20:21], vcc
	s_cbranch_execz .LBB675_182
; %bb.181:
	v_and_b32_e32 v40, 7, v30
	v_ffbh_u32_e32 v38, v40
	v_min_u32_e32 v46, 32, v38
	v_subrev_u32_e32 v38, 28, v46
	v_lshlrev_b64 v[38:39], v38, v[30:31]
	v_lshrrev_b32_e32 v41, 3, v34
	v_sub_u32_e32 v39, 29, v46
	v_and_b32_e32 v38, 7, v38
	v_cmp_gt_u32_e32 vcc, 8, v34
	v_cndmask_b32_e32 v34, v41, v39, vcc
	v_cndmask_b32_e32 v38, v40, v38, vcc
	v_lshlrev_b32_e32 v30, 24, v30
	v_bfrev_b32_e32 v39, 60
	v_lshlrev_b32_e32 v38, 20, v38
	v_and_b32_e32 v30, 0x80000000, v30
	v_lshl_add_u32 v34, v34, 23, v39
	v_or3_b32 v30, v30, v34, v38
	v_lshrrev_b32_e32 v38, 16, v30
.LBB675_182:
	s_or_b64 exec, exec, s[20:21]
.LBB675_183:
	s_or_b64 exec, exec, s[8:9]
.LBB675_184:
	s_or_b64 exec, exec, s[2:3]
	v_mov_b32_e32 v39, 0
	v_mov_b32_e32 v30, v33
	v_cmp_ne_u16_sdwa s[8:9], v33, v39 src0_sel:BYTE_0 src1_sel:DWORD
	v_mov_b32_e32 v40, 0
	s_and_saveexec_b64 s[2:3], s[8:9]
	s_cbranch_execz .LBB675_190
; %bb.185:
	s_movk_i32 s8, 0x80
	v_cmp_ne_u16_sdwa s[20:21], v33, s8 src0_sel:BYTE_0 src1_sel:DWORD
	v_mov_b32_e32 v40, 0xffff8000
	s_and_saveexec_b64 s[8:9], s[20:21]
	s_cbranch_execz .LBB675_189
; %bb.186:
	s_movk_i32 s11, 0x7f
	v_and_b32_e32 v34, 0x7f, v33
	v_cmp_ne_u32_e32 vcc, s11, v34
	v_mov_b32_e32 v40, 0x7f80
	s_and_saveexec_b64 s[20:21], vcc
	s_cbranch_execz .LBB675_188
; %bb.187:
	v_and_b32_e32 v40, 7, v33
	v_ffbh_u32_e32 v40, v40
	v_min_u32_e32 v40, 32, v40
	v_lshrrev_b32_e32 v41, 3, v34
	v_subrev_u32_e32 v46, 28, v40
	v_sub_u32_e32 v40, 29, v40
	v_cmp_gt_u32_e32 vcc, 8, v34
	v_cndmask_b32_e32 v34, v41, v40, vcc
	v_cndmask_b32_e32 v40, 0, v46, vcc
	v_lshlrev_b64 v[40:41], v40, v[30:31]
	v_lshlrev_b32_e32 v31, 20, v40
	v_lshlrev_b32_e32 v40, 24, v30
	v_bfrev_b32_e32 v41, 60
	v_and_b32_e32 v31, 0x700000, v31
	v_and_b32_e32 v40, 0x80000000, v40
	v_lshl_add_u32 v34, v34, 23, v41
	v_or3_b32 v31, v40, v34, v31
	v_lshrrev_b32_e32 v40, 16, v31
.LBB675_188:
	s_or_b64 exec, exec, s[20:21]
.LBB675_189:
	s_or_b64 exec, exec, s[8:9]
.LBB675_190:
	s_or_b64 exec, exec, s[2:3]
	v_lshrrev_b16_e32 v34, 8, v30
	v_cmp_ne_u16_e32 vcc, 0, v34
	s_and_saveexec_b64 s[2:3], vcc
	s_cbranch_execz .LBB675_196
; %bb.191:
	s_movk_i32 s8, 0x80
	v_cmp_ne_u16_e32 vcc, s8, v34
	v_mov_b32_e32 v39, 0xffff8000
	s_and_saveexec_b64 s[8:9], vcc
	s_cbranch_execz .LBB675_195
; %bb.192:
	s_movk_i32 s11, 0x7f
	v_and_b32_e32 v31, 0x7f, v34
	v_cmp_ne_u32_e32 vcc, s11, v31
	v_mov_b32_e32 v39, 0x7f80
	s_and_saveexec_b64 s[20:21], vcc
	s_cbranch_execz .LBB675_194
; %bb.193:
	v_and_b32_e32 v39, 7, v34
	v_ffbh_u32_e32 v46, v39
	v_min_u32_e32 v48, 32, v46
	v_subrev_u32_e32 v46, 28, v48
	v_lshlrev_b64 v[46:47], v46, v[34:35]
	v_lshrrev_b32_e32 v41, 3, v31
	v_sub_u32_e32 v34, 29, v48
	v_and_b32_e32 v46, 7, v46
	v_cmp_gt_u32_e32 vcc, 8, v31
	v_cndmask_b32_e32 v31, v41, v34, vcc
	v_cndmask_b32_e32 v34, v39, v46, vcc
	v_lshlrev_b32_e32 v30, 16, v30
	v_bfrev_b32_e32 v39, 60
	v_lshlrev_b32_e32 v34, 20, v34
	v_and_b32_e32 v30, 0x80000000, v30
	v_lshl_add_u32 v31, v31, 23, v39
	v_or3_b32 v30, v30, v31, v34
	v_lshrrev_b32_e32 v39, 16, v30
.LBB675_194:
	s_or_b64 exec, exec, s[20:21]
.LBB675_195:
	s_or_b64 exec, exec, s[8:9]
.LBB675_196:
	s_or_b64 exec, exec, s[2:3]
	s_movk_i32 s2, 0xff
	v_and_b32_sdwa v41, v33, s2 dst_sel:DWORD dst_unused:UNUSED_PAD src0_sel:WORD_1 src1_sel:DWORD
	v_lshrrev_b32_e32 v30, 16, v33
	v_cmp_ne_u16_e32 vcc, 0, v41
	v_mov_b32_e32 v31, 0
	v_mov_b32_e32 v34, 0
	s_and_saveexec_b64 s[2:3], vcc
	s_cbranch_execz .LBB675_202
; %bb.197:
	s_movk_i32 s8, 0x80
	v_cmp_ne_u16_e32 vcc, s8, v41
	v_mov_b32_e32 v34, 0xffff8000
	s_and_saveexec_b64 s[8:9], vcc
	s_cbranch_execz .LBB675_201
; %bb.198:
	v_bfe_u32 v41, v33, 16, 7
	s_movk_i32 s11, 0x7f
	v_cmp_ne_u32_e32 vcc, s11, v41
	v_mov_b32_e32 v34, 0x7f80
	s_and_saveexec_b64 s[20:21], vcc
	s_cbranch_execz .LBB675_200
; %bb.199:
	v_and_b32_e32 v34, 7, v30
	v_ffbh_u32_e32 v46, v34
	v_min_u32_e32 v49, 32, v46
	v_subrev_u32_e32 v46, 28, v49
	v_lshlrev_b64 v[46:47], v46, v[30:31]
	v_lshrrev_b32_e32 v48, 3, v41
	v_sub_u32_e32 v30, 29, v49
	v_and_b32_e32 v46, 7, v46
	v_cmp_gt_u32_e32 vcc, 8, v41
	v_mov_b32_e32 v41, 24
	v_cndmask_b32_e32 v30, v48, v30, vcc
	v_cndmask_b32_e32 v34, v34, v46, vcc
	v_lshlrev_b32_sdwa v41, v41, v33 dst_sel:DWORD dst_unused:UNUSED_PAD src0_sel:DWORD src1_sel:WORD_1
	v_bfrev_b32_e32 v46, 60
	v_lshlrev_b32_e32 v34, 20, v34
	v_and_b32_e32 v41, 0x80000000, v41
	v_lshl_add_u32 v30, v30, 23, v46
	v_or3_b32 v30, v41, v30, v34
	v_lshrrev_b32_e32 v34, 16, v30
.LBB675_200:
	s_or_b64 exec, exec, s[20:21]
.LBB675_201:
	s_or_b64 exec, exec, s[8:9]
.LBB675_202:
	s_or_b64 exec, exec, s[2:3]
	s_mov_b32 s2, -1
	s_mov_b32 s3, 0xffffff
	v_cmp_lt_u64_e32 vcc, s[2:3], v[32:33]
	s_and_saveexec_b64 s[2:3], vcc
	s_cbranch_execz .LBB675_208
; %bb.203:
	v_lshrrev_b32_e32 v30, 24, v33
	s_movk_i32 s8, 0x80
	v_cmp_ne_u32_e32 vcc, s8, v30
	v_mov_b32_e32 v31, 0xffff8000
	s_and_saveexec_b64 s[8:9], vcc
	s_cbranch_execz .LBB675_207
; %bb.204:
	v_bfe_u32 v32, v33, 24, 7
	s_movk_i32 s11, 0x7f
	v_cmp_ne_u32_e32 vcc, s11, v32
	v_mov_b32_e32 v31, 0x7f80
	s_and_saveexec_b64 s[20:21], vcc
	s_cbranch_execz .LBB675_206
; %bb.205:
	v_and_b32_e32 v31, 7, v30
	v_ffbh_u32_e32 v41, v31
	v_min_u32_e32 v41, 32, v41
	v_subrev_u32_e32 v46, 28, v41
	v_lshlrev_b64 v[46:47], v46, v[30:31]
	v_lshrrev_b32_e32 v33, 3, v32
	v_sub_u32_e32 v41, 29, v41
	v_and_b32_e32 v46, 7, v46
	v_cmp_gt_u32_e32 vcc, 8, v32
	v_cndmask_b32_e32 v32, v33, v41, vcc
	v_cndmask_b32_e32 v31, v31, v46, vcc
	v_lshlrev_b32_e32 v30, 24, v30
	v_bfrev_b32_e32 v33, 60
	v_lshlrev_b32_e32 v31, 20, v31
	v_and_b32_e32 v30, 0x80000000, v30
	v_lshl_add_u32 v32, v32, 23, v33
	v_or3_b32 v30, v30, v32, v31
	v_lshrrev_b32_e32 v31, 16, v30
.LBB675_206:
	s_or_b64 exec, exec, s[20:21]
.LBB675_207:
	s_or_b64 exec, exec, s[8:9]
.LBB675_208:
	s_or_b64 exec, exec, s[2:3]
	s_mov_b32 s2, 0x5040100
	v_perm_b32 v33, v38, v37, s2
	v_perm_b32 v32, v35, v36, s2
	;; [unrolled: 1-line block ×4, first 2 shown]
	v_mfma_f32_4x4x4bf16_1k a[0:3], v[18:19], v[32:33], a[0:3] cbsz:4 abid:3
	v_mov_b32_e32 v33, 0
	v_mfma_f32_4x4x4bf16_1k a[0:3], v[20:21], v[30:31], a[0:3] cbsz:4 abid:3
	s_waitcnt vmcnt(5)
	v_cmp_ne_u16_sdwa s[8:9], v26, v33 src0_sel:BYTE_0 src1_sel:DWORD
	v_mov_b32_e32 v34, 0
	s_and_saveexec_b64 s[2:3], s[8:9]
	s_cbranch_execz .LBB675_214
; %bb.209:
	s_movk_i32 s8, 0x80
	v_cmp_ne_u16_sdwa s[20:21], v26, s8 src0_sel:BYTE_0 src1_sel:DWORD
	v_mov_b32_e32 v34, 0xffff8000
	s_and_saveexec_b64 s[8:9], s[20:21]
	s_cbranch_execz .LBB675_213
; %bb.210:
	s_movk_i32 s11, 0x7f
	v_and_b32_e32 v30, 0x7f, v26
	v_cmp_ne_u32_e32 vcc, s11, v30
	v_mov_b32_e32 v34, 0x7f80
	s_and_saveexec_b64 s[20:21], vcc
	s_cbranch_execz .LBB675_212
; %bb.211:
	v_and_b32_e32 v31, 7, v26
	v_ffbh_u32_e32 v31, v31
	v_min_u32_e32 v31, 32, v31
	v_subrev_u32_e32 v34, 28, v31
	v_cmp_gt_u32_e32 vcc, 8, v30
	v_lshrrev_b32_e32 v32, 3, v30
	v_sub_u32_e32 v31, 29, v31
	v_cndmask_b32_e32 v30, 0, v34, vcc
	v_cndmask_b32_e32 v32, v32, v31, vcc
	v_lshlrev_b64 v[30:31], v30, v[26:27]
	v_lshlrev_b32_e32 v30, 20, v30
	v_lshlrev_b32_e32 v31, 24, v26
	v_bfrev_b32_e32 v34, 60
	v_and_b32_e32 v30, 0x700000, v30
	v_and_b32_e32 v31, 0x80000000, v31
	v_lshl_add_u32 v32, v32, 23, v34
	v_or3_b32 v30, v31, v32, v30
	v_lshrrev_b32_e32 v34, 16, v30
.LBB675_212:
	s_or_b64 exec, exec, s[20:21]
.LBB675_213:
	s_or_b64 exec, exec, s[8:9]
.LBB675_214:
	s_or_b64 exec, exec, s[2:3]
	v_lshrrev_b16_e32 v30, 8, v26
	v_cmp_ne_u16_e32 vcc, 0, v30
	s_and_saveexec_b64 s[2:3], vcc
	s_cbranch_execz .LBB675_220
; %bb.215:
	s_movk_i32 s8, 0x80
	v_cmp_ne_u16_e32 vcc, s8, v30
	v_mov_b32_e32 v33, 0xffff8000
	s_and_saveexec_b64 s[8:9], vcc
	s_cbranch_execz .LBB675_219
; %bb.216:
	s_movk_i32 s11, 0x7f
	v_and_b32_e32 v31, 0x7f, v30
	v_cmp_ne_u32_e32 vcc, s11, v31
	v_mov_b32_e32 v33, 0x7f80
	s_and_saveexec_b64 s[20:21], vcc
	s_cbranch_execz .LBB675_218
; %bb.217:
	v_and_b32_e32 v35, 7, v30
	v_ffbh_u32_e32 v32, v35
	v_min_u32_e32 v37, 32, v32
	v_subrev_u32_e32 v32, 28, v37
	v_lshlrev_b64 v[32:33], v32, v[30:31]
	v_lshrrev_b32_e32 v36, 3, v31
	v_sub_u32_e32 v30, 29, v37
	v_and_b32_e32 v32, 7, v32
	v_cmp_gt_u32_e32 vcc, 8, v31
	v_cndmask_b32_e32 v30, v36, v30, vcc
	v_cndmask_b32_e32 v31, v35, v32, vcc
	v_lshlrev_b32_e32 v32, 16, v26
	v_bfrev_b32_e32 v33, 60
	v_lshlrev_b32_e32 v31, 20, v31
	v_and_b32_e32 v32, 0x80000000, v32
	v_lshl_add_u32 v30, v30, 23, v33
	v_or3_b32 v30, v32, v30, v31
	v_lshrrev_b32_e32 v33, 16, v30
.LBB675_218:
	s_or_b64 exec, exec, s[20:21]
.LBB675_219:
	s_or_b64 exec, exec, s[8:9]
.LBB675_220:
	s_or_b64 exec, exec, s[2:3]
	s_movk_i32 s2, 0xff
	v_and_b32_sdwa v32, v26, s2 dst_sel:DWORD dst_unused:UNUSED_PAD src0_sel:WORD_1 src1_sel:DWORD
	v_lshrrev_b32_e32 v30, 16, v26
	v_cmp_ne_u16_e32 vcc, 0, v32
	v_mov_b32_e32 v31, 0
	v_mov_b32_e32 v35, 0
	s_and_saveexec_b64 s[2:3], vcc
	s_cbranch_execz .LBB675_226
; %bb.221:
	s_movk_i32 s8, 0x80
	v_cmp_ne_u16_e32 vcc, s8, v32
	v_mov_b32_e32 v35, 0xffff8000
	s_and_saveexec_b64 s[8:9], vcc
	s_cbranch_execz .LBB675_225
; %bb.222:
	v_bfe_u32 v32, v26, 16, 7
	s_movk_i32 s11, 0x7f
	v_cmp_ne_u32_e32 vcc, s11, v32
	v_mov_b32_e32 v35, 0x7f80
	s_and_saveexec_b64 s[20:21], vcc
	s_cbranch_execz .LBB675_224
; %bb.223:
	v_and_b32_e32 v35, 7, v30
	v_ffbh_u32_e32 v36, v35
	v_min_u32_e32 v39, 32, v36
	v_subrev_u32_e32 v36, 28, v39
	v_lshlrev_b64 v[36:37], v36, v[30:31]
	v_and_b32_e32 v36, 7, v36
	v_cmp_gt_u32_e32 vcc, 8, v32
	v_lshrrev_b32_e32 v38, 3, v32
	v_sub_u32_e32 v30, 29, v39
	v_cndmask_b32_e32 v32, v35, v36, vcc
	v_mov_b32_e32 v35, 24
	v_cndmask_b32_e32 v30, v38, v30, vcc
	v_lshlrev_b32_sdwa v35, v35, v26 dst_sel:DWORD dst_unused:UNUSED_PAD src0_sel:DWORD src1_sel:WORD_1
	v_bfrev_b32_e32 v36, 60
	v_lshlrev_b32_e32 v32, 20, v32
	v_and_b32_e32 v35, 0x80000000, v35
	v_lshl_add_u32 v30, v30, 23, v36
	v_or3_b32 v30, v35, v30, v32
	v_lshrrev_b32_e32 v35, 16, v30
.LBB675_224:
	s_or_b64 exec, exec, s[20:21]
.LBB675_225:
	s_or_b64 exec, exec, s[8:9]
.LBB675_226:
	s_or_b64 exec, exec, s[2:3]
	s_mov_b32 s2, 0xffffff
	v_cmp_lt_u32_e32 vcc, s2, v26
	v_mov_b32_e32 v36, 0
	s_and_saveexec_b64 s[2:3], vcc
	s_cbranch_execz .LBB675_232
; %bb.227:
	v_lshrrev_b32_e32 v30, 24, v26
	s_movk_i32 s8, 0x80
	v_cmp_ne_u32_e32 vcc, s8, v30
	v_mov_b32_e32 v36, 0xffff8000
	s_and_saveexec_b64 s[8:9], vcc
	s_cbranch_execz .LBB675_231
; %bb.228:
	v_bfe_u32 v32, v26, 24, 7
	s_movk_i32 s11, 0x7f
	v_cmp_ne_u32_e32 vcc, s11, v32
	v_mov_b32_e32 v36, 0x7f80
	s_and_saveexec_b64 s[20:21], vcc
	s_cbranch_execz .LBB675_230
; %bb.229:
	v_and_b32_e32 v38, 7, v30
	v_ffbh_u32_e32 v36, v38
	v_min_u32_e32 v40, 32, v36
	v_subrev_u32_e32 v36, 28, v40
	v_lshlrev_b64 v[36:37], v36, v[30:31]
	v_lshrrev_b32_e32 v39, 3, v32
	v_sub_u32_e32 v37, 29, v40
	v_and_b32_e32 v36, 7, v36
	v_cmp_gt_u32_e32 vcc, 8, v32
	v_cndmask_b32_e32 v32, v39, v37, vcc
	v_cndmask_b32_e32 v36, v38, v36, vcc
	v_lshlrev_b32_e32 v30, 24, v30
	v_bfrev_b32_e32 v37, 60
	v_lshlrev_b32_e32 v36, 20, v36
	v_and_b32_e32 v30, 0x80000000, v30
	v_lshl_add_u32 v32, v32, 23, v37
	v_or3_b32 v30, v30, v32, v36
	v_lshrrev_b32_e32 v36, 16, v30
.LBB675_230:
	s_or_b64 exec, exec, s[20:21]
.LBB675_231:
	s_or_b64 exec, exec, s[8:9]
.LBB675_232:
	s_or_b64 exec, exec, s[2:3]
	v_mov_b32_e32 v37, 0
	v_mov_b32_e32 v30, v27
	v_cmp_ne_u16_sdwa s[8:9], v27, v37 src0_sel:BYTE_0 src1_sel:DWORD
	v_mov_b32_e32 v38, 0
	s_and_saveexec_b64 s[2:3], s[8:9]
	s_cbranch_execz .LBB675_238
; %bb.233:
	s_movk_i32 s8, 0x80
	v_cmp_ne_u16_sdwa s[20:21], v27, s8 src0_sel:BYTE_0 src1_sel:DWORD
	v_mov_b32_e32 v38, 0xffff8000
	s_and_saveexec_b64 s[8:9], s[20:21]
	s_cbranch_execz .LBB675_237
; %bb.234:
	s_movk_i32 s11, 0x7f
	v_and_b32_e32 v32, 0x7f, v27
	v_cmp_ne_u32_e32 vcc, s11, v32
	v_mov_b32_e32 v38, 0x7f80
	s_and_saveexec_b64 s[20:21], vcc
	s_cbranch_execz .LBB675_236
; %bb.235:
	v_and_b32_e32 v38, 7, v27
	v_ffbh_u32_e32 v38, v38
	v_min_u32_e32 v38, 32, v38
	v_lshrrev_b32_e32 v39, 3, v32
	v_subrev_u32_e32 v40, 28, v38
	v_sub_u32_e32 v38, 29, v38
	v_cmp_gt_u32_e32 vcc, 8, v32
	v_cndmask_b32_e32 v32, v39, v38, vcc
	v_cndmask_b32_e32 v38, 0, v40, vcc
	v_lshlrev_b64 v[38:39], v38, v[30:31]
	v_lshlrev_b32_e32 v31, 20, v38
	v_lshlrev_b32_e32 v38, 24, v30
	v_bfrev_b32_e32 v39, 60
	v_and_b32_e32 v31, 0x700000, v31
	v_and_b32_e32 v38, 0x80000000, v38
	v_lshl_add_u32 v32, v32, 23, v39
	v_or3_b32 v31, v38, v32, v31
	v_lshrrev_b32_e32 v38, 16, v31
.LBB675_236:
	s_or_b64 exec, exec, s[20:21]
.LBB675_237:
	s_or_b64 exec, exec, s[8:9]
.LBB675_238:
	s_or_b64 exec, exec, s[2:3]
	v_lshrrev_b16_e32 v32, 8, v30
	v_cmp_ne_u16_e32 vcc, 0, v32
	s_and_saveexec_b64 s[2:3], vcc
	s_cbranch_execz .LBB675_244
; %bb.239:
	s_movk_i32 s8, 0x80
	v_cmp_ne_u16_e32 vcc, s8, v32
	v_mov_b32_e32 v37, 0xffff8000
	s_and_saveexec_b64 s[8:9], vcc
	s_cbranch_execz .LBB675_243
; %bb.240:
	s_movk_i32 s11, 0x7f
	v_and_b32_e32 v31, 0x7f, v32
	v_cmp_ne_u32_e32 vcc, s11, v31
	v_mov_b32_e32 v37, 0x7f80
	s_and_saveexec_b64 s[20:21], vcc
	s_cbranch_execz .LBB675_242
; %bb.241:
	v_and_b32_e32 v37, 7, v32
	v_ffbh_u32_e32 v40, v37
	v_min_u32_e32 v46, 32, v40
	v_subrev_u32_e32 v40, 28, v46
	v_lshlrev_b64 v[40:41], v40, v[32:33]
	v_lshrrev_b32_e32 v39, 3, v31
	v_sub_u32_e32 v32, 29, v46
	v_and_b32_e32 v40, 7, v40
	v_cmp_gt_u32_e32 vcc, 8, v31
	v_cndmask_b32_e32 v31, v39, v32, vcc
	v_cndmask_b32_e32 v32, v37, v40, vcc
	v_lshlrev_b32_e32 v30, 16, v30
	v_bfrev_b32_e32 v37, 60
	v_lshlrev_b32_e32 v32, 20, v32
	v_and_b32_e32 v30, 0x80000000, v30
	v_lshl_add_u32 v31, v31, 23, v37
	v_or3_b32 v30, v30, v31, v32
	v_lshrrev_b32_e32 v37, 16, v30
.LBB675_242:
	s_or_b64 exec, exec, s[20:21]
.LBB675_243:
	s_or_b64 exec, exec, s[8:9]
.LBB675_244:
	s_or_b64 exec, exec, s[2:3]
	s_movk_i32 s2, 0xff
	v_and_b32_sdwa v39, v27, s2 dst_sel:DWORD dst_unused:UNUSED_PAD src0_sel:WORD_1 src1_sel:DWORD
	v_lshrrev_b32_e32 v30, 16, v27
	v_cmp_ne_u16_e32 vcc, 0, v39
	v_mov_b32_e32 v31, 0
	v_mov_b32_e32 v32, 0
	s_and_saveexec_b64 s[2:3], vcc
	s_cbranch_execz .LBB675_250
; %bb.245:
	s_movk_i32 s8, 0x80
	v_cmp_ne_u16_e32 vcc, s8, v39
	v_mov_b32_e32 v32, 0xffff8000
	s_and_saveexec_b64 s[8:9], vcc
	s_cbranch_execz .LBB675_249
; %bb.246:
	v_bfe_u32 v39, v27, 16, 7
	s_movk_i32 s11, 0x7f
	v_cmp_ne_u32_e32 vcc, s11, v39
	v_mov_b32_e32 v32, 0x7f80
	s_and_saveexec_b64 s[20:21], vcc
	s_cbranch_execz .LBB675_248
; %bb.247:
	v_and_b32_e32 v32, 7, v30
	v_ffbh_u32_e32 v40, v32
	v_min_u32_e32 v47, 32, v40
	v_subrev_u32_e32 v40, 28, v47
	v_lshlrev_b64 v[40:41], v40, v[30:31]
	v_lshrrev_b32_e32 v46, 3, v39
	v_sub_u32_e32 v30, 29, v47
	v_and_b32_e32 v40, 7, v40
	v_cmp_gt_u32_e32 vcc, 8, v39
	v_mov_b32_e32 v39, 24
	v_cndmask_b32_e32 v30, v46, v30, vcc
	v_cndmask_b32_e32 v32, v32, v40, vcc
	v_lshlrev_b32_sdwa v39, v39, v27 dst_sel:DWORD dst_unused:UNUSED_PAD src0_sel:DWORD src1_sel:WORD_1
	v_bfrev_b32_e32 v40, 60
	v_lshlrev_b32_e32 v32, 20, v32
	v_and_b32_e32 v39, 0x80000000, v39
	v_lshl_add_u32 v30, v30, 23, v40
	v_or3_b32 v30, v39, v30, v32
	v_lshrrev_b32_e32 v32, 16, v30
.LBB675_248:
	s_or_b64 exec, exec, s[20:21]
.LBB675_249:
	s_or_b64 exec, exec, s[8:9]
.LBB675_250:
	s_or_b64 exec, exec, s[2:3]
	s_mov_b32 s2, -1
	s_mov_b32 s3, 0xffffff
	v_cmp_lt_u64_e32 vcc, s[2:3], v[26:27]
	s_and_saveexec_b64 s[2:3], vcc
	s_cbranch_execz .LBB675_256
; %bb.251:
	v_lshrrev_b32_e32 v26, 24, v27
	s_movk_i32 s8, 0x80
	v_cmp_ne_u32_e32 vcc, s8, v26
	v_mov_b32_e32 v31, 0xffff8000
	s_and_saveexec_b64 s[8:9], vcc
	s_cbranch_execz .LBB675_255
; %bb.252:
	v_bfe_u32 v27, v27, 24, 7
	s_movk_i32 s11, 0x7f
	v_cmp_ne_u32_e32 vcc, s11, v27
	v_mov_b32_e32 v31, 0x7f80
	s_and_saveexec_b64 s[20:21], vcc
	s_cbranch_execz .LBB675_254
; %bb.253:
	v_and_b32_e32 v39, 7, v26
	v_ffbh_u32_e32 v30, v39
	v_min_u32_e32 v41, 32, v30
	v_subrev_u32_e32 v30, 28, v41
	v_lshlrev_b64 v[30:31], v30, v[26:27]
	v_lshrrev_b32_e32 v40, 3, v27
	v_sub_u32_e32 v31, 29, v41
	v_and_b32_e32 v30, 7, v30
	v_cmp_gt_u32_e32 vcc, 8, v27
	v_cndmask_b32_e32 v27, v40, v31, vcc
	v_cndmask_b32_e32 v30, v39, v30, vcc
	v_lshlrev_b32_e32 v26, 24, v26
	v_bfrev_b32_e32 v31, 60
	v_lshlrev_b32_e32 v30, 20, v30
	v_and_b32_e32 v26, 0x80000000, v26
	v_lshl_add_u32 v27, v27, 23, v31
	v_or3_b32 v26, v26, v27, v30
	v_lshrrev_b32_e32 v31, 16, v26
.LBB675_254:
	s_or_b64 exec, exec, s[20:21]
.LBB675_255:
	s_or_b64 exec, exec, s[8:9]
.LBB675_256:
	s_or_b64 exec, exec, s[2:3]
	s_mov_b32 s2, 0x5040100
	v_perm_b32 v27, v36, v35, s2
	v_perm_b32 v26, v33, v34, s2
	;; [unrolled: 1-line block ×4, first 2 shown]
	v_mfma_f32_4x4x4bf16_1k a[0:3], v[18:19], v[26:27], a[0:3] cbsz:4 abid:4
	v_mov_b32_e32 v32, 0
	v_mfma_f32_4x4x4bf16_1k a[0:3], v[20:21], v[30:31], a[0:3] cbsz:4 abid:4
	v_mov_b32_e32 v31, 0
	v_cmp_ne_u16_sdwa s[8:9], v28, v31 src0_sel:BYTE_0 src1_sel:DWORD
	s_and_saveexec_b64 s[2:3], s[8:9]
	s_cbranch_execz .LBB675_262
; %bb.257:
	s_movk_i32 s8, 0x80
	v_cmp_ne_u16_sdwa s[20:21], v28, s8 src0_sel:BYTE_0 src1_sel:DWORD
	v_mov_b32_e32 v32, 0xffff8000
	s_and_saveexec_b64 s[8:9], s[20:21]
	s_cbranch_execz .LBB675_261
; %bb.258:
	s_movk_i32 s11, 0x7f
	v_and_b32_e32 v26, 0x7f, v28
	v_cmp_ne_u32_e32 vcc, s11, v26
	v_mov_b32_e32 v32, 0x7f80
	s_and_saveexec_b64 s[20:21], vcc
	s_cbranch_execz .LBB675_260
; %bb.259:
	v_and_b32_e32 v27, 7, v28
	v_ffbh_u32_e32 v27, v27
	v_min_u32_e32 v27, 32, v27
	v_subrev_u32_e32 v32, 28, v27
	v_cmp_gt_u32_e32 vcc, 8, v26
	v_lshrrev_b32_e32 v30, 3, v26
	v_sub_u32_e32 v27, 29, v27
	v_cndmask_b32_e32 v26, 0, v32, vcc
	v_cndmask_b32_e32 v30, v30, v27, vcc
	v_lshlrev_b64 v[26:27], v26, v[28:29]
	v_lshlrev_b32_e32 v26, 20, v26
	v_lshlrev_b32_e32 v27, 24, v28
	v_bfrev_b32_e32 v32, 60
	v_and_b32_e32 v26, 0x700000, v26
	v_and_b32_e32 v27, 0x80000000, v27
	v_lshl_add_u32 v30, v30, 23, v32
	v_or3_b32 v26, v27, v30, v26
	v_lshrrev_b32_e32 v32, 16, v26
.LBB675_260:
	s_or_b64 exec, exec, s[20:21]
.LBB675_261:
	s_or_b64 exec, exec, s[8:9]
.LBB675_262:
	s_or_b64 exec, exec, s[2:3]
	v_lshrrev_b16_e32 v26, 8, v28
	v_cmp_ne_u16_e32 vcc, 0, v26
	s_and_saveexec_b64 s[2:3], vcc
	s_cbranch_execz .LBB675_268
; %bb.263:
	s_movk_i32 s8, 0x80
	v_cmp_ne_u16_e32 vcc, s8, v26
	v_mov_b32_e32 v31, 0xffff8000
	s_and_saveexec_b64 s[8:9], vcc
	s_cbranch_execz .LBB675_267
; %bb.264:
	s_movk_i32 s11, 0x7f
	v_and_b32_e32 v27, 0x7f, v26
	v_cmp_ne_u32_e32 vcc, s11, v27
	v_mov_b32_e32 v31, 0x7f80
	s_and_saveexec_b64 s[20:21], vcc
	s_cbranch_execz .LBB675_266
; %bb.265:
	v_and_b32_e32 v33, 7, v26
	v_ffbh_u32_e32 v30, v33
	v_min_u32_e32 v35, 32, v30
	v_subrev_u32_e32 v30, 28, v35
	v_lshlrev_b64 v[30:31], v30, v[26:27]
	v_lshrrev_b32_e32 v34, 3, v27
	v_sub_u32_e32 v26, 29, v35
	v_and_b32_e32 v30, 7, v30
	v_cmp_gt_u32_e32 vcc, 8, v27
	v_cndmask_b32_e32 v26, v34, v26, vcc
	v_cndmask_b32_e32 v27, v33, v30, vcc
	v_lshlrev_b32_e32 v30, 16, v28
	v_bfrev_b32_e32 v31, 60
	v_lshlrev_b32_e32 v27, 20, v27
	v_and_b32_e32 v30, 0x80000000, v30
	v_lshl_add_u32 v26, v26, 23, v31
	v_or3_b32 v26, v30, v26, v27
	v_lshrrev_b32_e32 v31, 16, v26
.LBB675_266:
	s_or_b64 exec, exec, s[20:21]
.LBB675_267:
	s_or_b64 exec, exec, s[8:9]
.LBB675_268:
	s_or_b64 exec, exec, s[2:3]
	s_movk_i32 s2, 0xff
	v_and_b32_sdwa v30, v28, s2 dst_sel:DWORD dst_unused:UNUSED_PAD src0_sel:WORD_1 src1_sel:DWORD
	v_lshrrev_b32_e32 v26, 16, v28
	v_cmp_ne_u16_e32 vcc, 0, v30
	v_mov_b32_e32 v27, 0
	v_mov_b32_e32 v33, 0
	s_and_saveexec_b64 s[2:3], vcc
	s_cbranch_execz .LBB675_274
; %bb.269:
	s_movk_i32 s8, 0x80
	v_cmp_ne_u16_e32 vcc, s8, v30
	v_mov_b32_e32 v33, 0xffff8000
	s_and_saveexec_b64 s[8:9], vcc
	s_cbranch_execz .LBB675_273
; %bb.270:
	v_bfe_u32 v30, v28, 16, 7
	s_movk_i32 s11, 0x7f
	v_cmp_ne_u32_e32 vcc, s11, v30
	v_mov_b32_e32 v33, 0x7f80
	s_and_saveexec_b64 s[20:21], vcc
	s_cbranch_execz .LBB675_272
; %bb.271:
	v_and_b32_e32 v33, 7, v26
	v_ffbh_u32_e32 v34, v33
	v_min_u32_e32 v37, 32, v34
	v_subrev_u32_e32 v34, 28, v37
	v_lshlrev_b64 v[34:35], v34, v[26:27]
	v_and_b32_e32 v34, 7, v34
	v_cmp_gt_u32_e32 vcc, 8, v30
	v_lshrrev_b32_e32 v36, 3, v30
	v_sub_u32_e32 v26, 29, v37
	v_cndmask_b32_e32 v30, v33, v34, vcc
	v_mov_b32_e32 v33, 24
	v_cndmask_b32_e32 v26, v36, v26, vcc
	v_lshlrev_b32_sdwa v33, v33, v28 dst_sel:DWORD dst_unused:UNUSED_PAD src0_sel:DWORD src1_sel:WORD_1
	v_bfrev_b32_e32 v34, 60
	v_lshlrev_b32_e32 v30, 20, v30
	v_and_b32_e32 v33, 0x80000000, v33
	v_lshl_add_u32 v26, v26, 23, v34
	v_or3_b32 v26, v33, v26, v30
	v_lshrrev_b32_e32 v33, 16, v26
.LBB675_272:
	s_or_b64 exec, exec, s[20:21]
.LBB675_273:
	s_or_b64 exec, exec, s[8:9]
.LBB675_274:
	s_or_b64 exec, exec, s[2:3]
	s_mov_b32 s2, 0xffffff
	v_cmp_lt_u32_e32 vcc, s2, v28
	v_mov_b32_e32 v34, 0
	s_and_saveexec_b64 s[2:3], vcc
	s_cbranch_execz .LBB675_280
; %bb.275:
	v_lshrrev_b32_e32 v26, 24, v28
	s_movk_i32 s8, 0x80
	v_cmp_ne_u32_e32 vcc, s8, v26
	v_mov_b32_e32 v34, 0xffff8000
	s_and_saveexec_b64 s[8:9], vcc
	s_cbranch_execz .LBB675_279
; %bb.276:
	v_bfe_u32 v30, v28, 24, 7
	s_movk_i32 s11, 0x7f
	v_cmp_ne_u32_e32 vcc, s11, v30
	v_mov_b32_e32 v34, 0x7f80
	s_and_saveexec_b64 s[20:21], vcc
	s_cbranch_execz .LBB675_278
; %bb.277:
	v_and_b32_e32 v36, 7, v26
	v_ffbh_u32_e32 v34, v36
	v_min_u32_e32 v38, 32, v34
	v_subrev_u32_e32 v34, 28, v38
	v_lshlrev_b64 v[34:35], v34, v[26:27]
	v_lshrrev_b32_e32 v37, 3, v30
	v_sub_u32_e32 v35, 29, v38
	v_and_b32_e32 v34, 7, v34
	v_cmp_gt_u32_e32 vcc, 8, v30
	v_cndmask_b32_e32 v30, v37, v35, vcc
	v_cndmask_b32_e32 v34, v36, v34, vcc
	v_lshlrev_b32_e32 v26, 24, v26
	v_bfrev_b32_e32 v35, 60
	v_lshlrev_b32_e32 v34, 20, v34
	v_and_b32_e32 v26, 0x80000000, v26
	v_lshl_add_u32 v30, v30, 23, v35
	v_or3_b32 v26, v26, v30, v34
	v_lshrrev_b32_e32 v34, 16, v26
.LBB675_278:
	s_or_b64 exec, exec, s[20:21]
.LBB675_279:
	s_or_b64 exec, exec, s[8:9]
.LBB675_280:
	s_or_b64 exec, exec, s[2:3]
	v_mov_b32_e32 v35, 0
	v_mov_b32_e32 v26, v29
	v_cmp_ne_u16_sdwa s[8:9], v29, v35 src0_sel:BYTE_0 src1_sel:DWORD
	v_mov_b32_e32 v36, 0
	s_and_saveexec_b64 s[2:3], s[8:9]
	s_cbranch_execz .LBB675_286
; %bb.281:
	s_movk_i32 s8, 0x80
	v_cmp_ne_u16_sdwa s[20:21], v29, s8 src0_sel:BYTE_0 src1_sel:DWORD
	v_mov_b32_e32 v36, 0xffff8000
	s_and_saveexec_b64 s[8:9], s[20:21]
	s_cbranch_execz .LBB675_285
; %bb.282:
	s_movk_i32 s11, 0x7f
	v_and_b32_e32 v30, 0x7f, v29
	v_cmp_ne_u32_e32 vcc, s11, v30
	v_mov_b32_e32 v36, 0x7f80
	s_and_saveexec_b64 s[20:21], vcc
	s_cbranch_execz .LBB675_284
; %bb.283:
	v_and_b32_e32 v36, 7, v29
	v_ffbh_u32_e32 v36, v36
	v_min_u32_e32 v36, 32, v36
	v_lshrrev_b32_e32 v37, 3, v30
	v_subrev_u32_e32 v38, 28, v36
	v_sub_u32_e32 v36, 29, v36
	v_cmp_gt_u32_e32 vcc, 8, v30
	v_cndmask_b32_e32 v30, v37, v36, vcc
	v_cndmask_b32_e32 v36, 0, v38, vcc
	v_lshlrev_b64 v[36:37], v36, v[26:27]
	v_lshlrev_b32_e32 v27, 20, v36
	v_lshlrev_b32_e32 v36, 24, v26
	v_bfrev_b32_e32 v37, 60
	v_and_b32_e32 v27, 0x700000, v27
	v_and_b32_e32 v36, 0x80000000, v36
	v_lshl_add_u32 v30, v30, 23, v37
	v_or3_b32 v27, v36, v30, v27
	v_lshrrev_b32_e32 v36, 16, v27
.LBB675_284:
	s_or_b64 exec, exec, s[20:21]
.LBB675_285:
	s_or_b64 exec, exec, s[8:9]
.LBB675_286:
	s_or_b64 exec, exec, s[2:3]
	v_lshrrev_b16_e32 v30, 8, v26
	v_cmp_ne_u16_e32 vcc, 0, v30
	s_and_saveexec_b64 s[2:3], vcc
	s_cbranch_execz .LBB675_292
; %bb.287:
	s_movk_i32 s8, 0x80
	v_cmp_ne_u16_e32 vcc, s8, v30
	v_mov_b32_e32 v35, 0xffff8000
	s_and_saveexec_b64 s[8:9], vcc
	s_cbranch_execz .LBB675_291
; %bb.288:
	s_movk_i32 s11, 0x7f
	v_and_b32_e32 v27, 0x7f, v30
	v_cmp_ne_u32_e32 vcc, s11, v27
	v_mov_b32_e32 v35, 0x7f80
	s_and_saveexec_b64 s[20:21], vcc
	s_cbranch_execz .LBB675_290
; %bb.289:
	v_and_b32_e32 v35, 7, v30
	v_ffbh_u32_e32 v38, v35
	v_min_u32_e32 v40, 32, v38
	v_subrev_u32_e32 v38, 28, v40
	v_lshlrev_b64 v[38:39], v38, v[30:31]
	v_lshrrev_b32_e32 v37, 3, v27
	v_sub_u32_e32 v30, 29, v40
	v_and_b32_e32 v38, 7, v38
	v_cmp_gt_u32_e32 vcc, 8, v27
	v_cndmask_b32_e32 v27, v37, v30, vcc
	v_cndmask_b32_e32 v30, v35, v38, vcc
	v_lshlrev_b32_e32 v26, 16, v26
	v_bfrev_b32_e32 v35, 60
	v_lshlrev_b32_e32 v30, 20, v30
	v_and_b32_e32 v26, 0x80000000, v26
	v_lshl_add_u32 v27, v27, 23, v35
	v_or3_b32 v26, v26, v27, v30
	v_lshrrev_b32_e32 v35, 16, v26
.LBB675_290:
	s_or_b64 exec, exec, s[20:21]
.LBB675_291:
	s_or_b64 exec, exec, s[8:9]
.LBB675_292:
	s_or_b64 exec, exec, s[2:3]
	s_movk_i32 s2, 0xff
	v_and_b32_sdwa v37, v29, s2 dst_sel:DWORD dst_unused:UNUSED_PAD src0_sel:WORD_1 src1_sel:DWORD
	v_lshrrev_b32_e32 v26, 16, v29
	v_cmp_ne_u16_e32 vcc, 0, v37
	v_mov_b32_e32 v27, 0
	v_mov_b32_e32 v30, 0
	s_and_saveexec_b64 s[2:3], vcc
	s_cbranch_execz .LBB675_298
; %bb.293:
	s_movk_i32 s8, 0x80
	v_cmp_ne_u16_e32 vcc, s8, v37
	v_mov_b32_e32 v30, 0xffff8000
	s_and_saveexec_b64 s[8:9], vcc
	s_cbranch_execz .LBB675_297
; %bb.294:
	v_bfe_u32 v37, v29, 16, 7
	s_movk_i32 s11, 0x7f
	v_cmp_ne_u32_e32 vcc, s11, v37
	v_mov_b32_e32 v30, 0x7f80
	s_and_saveexec_b64 s[20:21], vcc
	s_cbranch_execz .LBB675_296
; %bb.295:
	v_and_b32_e32 v30, 7, v26
	v_ffbh_u32_e32 v38, v30
	v_min_u32_e32 v41, 32, v38
	v_subrev_u32_e32 v38, 28, v41
	v_lshlrev_b64 v[38:39], v38, v[26:27]
	v_lshrrev_b32_e32 v40, 3, v37
	v_sub_u32_e32 v26, 29, v41
	v_and_b32_e32 v38, 7, v38
	v_cmp_gt_u32_e32 vcc, 8, v37
	v_mov_b32_e32 v37, 24
	v_cndmask_b32_e32 v26, v40, v26, vcc
	v_cndmask_b32_e32 v30, v30, v38, vcc
	v_lshlrev_b32_sdwa v37, v37, v29 dst_sel:DWORD dst_unused:UNUSED_PAD src0_sel:DWORD src1_sel:WORD_1
	v_bfrev_b32_e32 v38, 60
	v_lshlrev_b32_e32 v30, 20, v30
	v_and_b32_e32 v37, 0x80000000, v37
	v_lshl_add_u32 v26, v26, 23, v38
	v_or3_b32 v26, v37, v26, v30
	v_lshrrev_b32_e32 v30, 16, v26
.LBB675_296:
	s_or_b64 exec, exec, s[20:21]
.LBB675_297:
	s_or_b64 exec, exec, s[8:9]
.LBB675_298:
	s_or_b64 exec, exec, s[2:3]
	s_mov_b32 s2, -1
	s_mov_b32 s3, 0xffffff
	v_cmp_lt_u64_e32 vcc, s[2:3], v[28:29]
	s_and_saveexec_b64 s[2:3], vcc
	s_cbranch_execz .LBB675_304
; %bb.299:
	v_lshrrev_b32_e32 v26, 24, v29
	s_movk_i32 s8, 0x80
	v_cmp_ne_u32_e32 vcc, s8, v26
	v_mov_b32_e32 v27, 0xffff8000
	s_and_saveexec_b64 s[8:9], vcc
	s_cbranch_execz .LBB675_303
; %bb.300:
	v_bfe_u32 v28, v29, 24, 7
	s_movk_i32 s11, 0x7f
	v_cmp_ne_u32_e32 vcc, s11, v28
	v_mov_b32_e32 v27, 0x7f80
	s_and_saveexec_b64 s[20:21], vcc
	s_cbranch_execz .LBB675_302
; %bb.301:
	v_and_b32_e32 v27, 7, v26
	v_ffbh_u32_e32 v37, v27
	v_min_u32_e32 v37, 32, v37
	v_subrev_u32_e32 v38, 28, v37
	v_lshlrev_b64 v[38:39], v38, v[26:27]
	v_lshrrev_b32_e32 v29, 3, v28
	v_sub_u32_e32 v37, 29, v37
	v_and_b32_e32 v38, 7, v38
	v_cmp_gt_u32_e32 vcc, 8, v28
	v_cndmask_b32_e32 v28, v29, v37, vcc
	v_cndmask_b32_e32 v27, v27, v38, vcc
	v_lshlrev_b32_e32 v26, 24, v26
	v_bfrev_b32_e32 v29, 60
	v_lshlrev_b32_e32 v27, 20, v27
	v_and_b32_e32 v26, 0x80000000, v26
	v_lshl_add_u32 v28, v28, 23, v29
	v_or3_b32 v26, v26, v28, v27
	v_lshrrev_b32_e32 v27, 16, v26
.LBB675_302:
	s_or_b64 exec, exec, s[20:21]
.LBB675_303:
	s_or_b64 exec, exec, s[8:9]
.LBB675_304:
	s_or_b64 exec, exec, s[2:3]
	s_mov_b32 s2, 0x5040100
	v_perm_b32 v29, v34, v33, s2
	v_perm_b32 v28, v31, v32, s2
	;; [unrolled: 1-line block ×4, first 2 shown]
	v_mfma_f32_4x4x4bf16_1k a[0:3], v[18:19], v[28:29], a[0:3] cbsz:4 abid:5
	v_mov_b32_e32 v29, 0
	v_mfma_f32_4x4x4bf16_1k a[0:3], v[20:21], v[26:27], a[0:3] cbsz:4 abid:5
	s_waitcnt vmcnt(4)
	v_cmp_ne_u16_sdwa s[8:9], v22, v29 src0_sel:BYTE_0 src1_sel:DWORD
	v_mov_b32_e32 v30, 0
	s_and_saveexec_b64 s[2:3], s[8:9]
	s_cbranch_execz .LBB675_310
; %bb.305:
	s_movk_i32 s8, 0x80
	v_cmp_ne_u16_sdwa s[20:21], v22, s8 src0_sel:BYTE_0 src1_sel:DWORD
	v_mov_b32_e32 v30, 0xffff8000
	s_and_saveexec_b64 s[8:9], s[20:21]
	s_cbranch_execz .LBB675_309
; %bb.306:
	s_movk_i32 s11, 0x7f
	v_and_b32_e32 v26, 0x7f, v22
	v_cmp_ne_u32_e32 vcc, s11, v26
	v_mov_b32_e32 v30, 0x7f80
	s_and_saveexec_b64 s[20:21], vcc
	s_cbranch_execz .LBB675_308
; %bb.307:
	v_and_b32_e32 v27, 7, v22
	v_ffbh_u32_e32 v27, v27
	v_min_u32_e32 v27, 32, v27
	v_subrev_u32_e32 v30, 28, v27
	v_cmp_gt_u32_e32 vcc, 8, v26
	v_lshrrev_b32_e32 v28, 3, v26
	v_sub_u32_e32 v27, 29, v27
	v_cndmask_b32_e32 v26, 0, v30, vcc
	v_cndmask_b32_e32 v28, v28, v27, vcc
	v_lshlrev_b64 v[26:27], v26, v[22:23]
	v_lshlrev_b32_e32 v26, 20, v26
	v_lshlrev_b32_e32 v27, 24, v22
	v_bfrev_b32_e32 v30, 60
	v_and_b32_e32 v26, 0x700000, v26
	v_and_b32_e32 v27, 0x80000000, v27
	v_lshl_add_u32 v28, v28, 23, v30
	v_or3_b32 v26, v27, v28, v26
	v_lshrrev_b32_e32 v30, 16, v26
.LBB675_308:
	s_or_b64 exec, exec, s[20:21]
.LBB675_309:
	s_or_b64 exec, exec, s[8:9]
.LBB675_310:
	s_or_b64 exec, exec, s[2:3]
	v_lshrrev_b16_e32 v26, 8, v22
	v_cmp_ne_u16_e32 vcc, 0, v26
	s_and_saveexec_b64 s[2:3], vcc
	s_cbranch_execz .LBB675_316
; %bb.311:
	s_movk_i32 s8, 0x80
	v_cmp_ne_u16_e32 vcc, s8, v26
	v_mov_b32_e32 v29, 0xffff8000
	s_and_saveexec_b64 s[8:9], vcc
	s_cbranch_execz .LBB675_315
; %bb.312:
	s_movk_i32 s11, 0x7f
	v_and_b32_e32 v27, 0x7f, v26
	v_cmp_ne_u32_e32 vcc, s11, v27
	v_mov_b32_e32 v29, 0x7f80
	s_and_saveexec_b64 s[20:21], vcc
	s_cbranch_execz .LBB675_314
; %bb.313:
	v_and_b32_e32 v31, 7, v26
	v_ffbh_u32_e32 v28, v31
	v_min_u32_e32 v33, 32, v28
	v_subrev_u32_e32 v28, 28, v33
	v_lshlrev_b64 v[28:29], v28, v[26:27]
	v_lshrrev_b32_e32 v32, 3, v27
	v_sub_u32_e32 v26, 29, v33
	v_and_b32_e32 v28, 7, v28
	v_cmp_gt_u32_e32 vcc, 8, v27
	v_cndmask_b32_e32 v26, v32, v26, vcc
	v_cndmask_b32_e32 v27, v31, v28, vcc
	v_lshlrev_b32_e32 v28, 16, v22
	v_bfrev_b32_e32 v29, 60
	v_lshlrev_b32_e32 v27, 20, v27
	v_and_b32_e32 v28, 0x80000000, v28
	v_lshl_add_u32 v26, v26, 23, v29
	v_or3_b32 v26, v28, v26, v27
	v_lshrrev_b32_e32 v29, 16, v26
.LBB675_314:
	s_or_b64 exec, exec, s[20:21]
.LBB675_315:
	s_or_b64 exec, exec, s[8:9]
.LBB675_316:
	s_or_b64 exec, exec, s[2:3]
	s_movk_i32 s2, 0xff
	v_and_b32_sdwa v28, v22, s2 dst_sel:DWORD dst_unused:UNUSED_PAD src0_sel:WORD_1 src1_sel:DWORD
	v_lshrrev_b32_e32 v26, 16, v22
	v_cmp_ne_u16_e32 vcc, 0, v28
	v_mov_b32_e32 v27, 0
	v_mov_b32_e32 v31, 0
	s_and_saveexec_b64 s[2:3], vcc
	s_cbranch_execz .LBB675_322
; %bb.317:
	s_movk_i32 s8, 0x80
	v_cmp_ne_u16_e32 vcc, s8, v28
	v_mov_b32_e32 v31, 0xffff8000
	s_and_saveexec_b64 s[8:9], vcc
	s_cbranch_execz .LBB675_321
; %bb.318:
	v_bfe_u32 v28, v22, 16, 7
	s_movk_i32 s11, 0x7f
	v_cmp_ne_u32_e32 vcc, s11, v28
	v_mov_b32_e32 v31, 0x7f80
	s_and_saveexec_b64 s[20:21], vcc
	s_cbranch_execz .LBB675_320
; %bb.319:
	v_and_b32_e32 v31, 7, v26
	v_ffbh_u32_e32 v32, v31
	v_min_u32_e32 v35, 32, v32
	v_subrev_u32_e32 v32, 28, v35
	v_lshlrev_b64 v[32:33], v32, v[26:27]
	v_and_b32_e32 v32, 7, v32
	v_cmp_gt_u32_e32 vcc, 8, v28
	v_lshrrev_b32_e32 v34, 3, v28
	v_sub_u32_e32 v26, 29, v35
	v_cndmask_b32_e32 v28, v31, v32, vcc
	v_mov_b32_e32 v31, 24
	v_cndmask_b32_e32 v26, v34, v26, vcc
	v_lshlrev_b32_sdwa v31, v31, v22 dst_sel:DWORD dst_unused:UNUSED_PAD src0_sel:DWORD src1_sel:WORD_1
	v_bfrev_b32_e32 v32, 60
	v_lshlrev_b32_e32 v28, 20, v28
	v_and_b32_e32 v31, 0x80000000, v31
	v_lshl_add_u32 v26, v26, 23, v32
	v_or3_b32 v26, v31, v26, v28
	v_lshrrev_b32_e32 v31, 16, v26
.LBB675_320:
	s_or_b64 exec, exec, s[20:21]
.LBB675_321:
	s_or_b64 exec, exec, s[8:9]
.LBB675_322:
	s_or_b64 exec, exec, s[2:3]
	s_mov_b32 s2, 0xffffff
	v_cmp_lt_u32_e32 vcc, s2, v22
	v_mov_b32_e32 v32, 0
	s_and_saveexec_b64 s[2:3], vcc
	s_cbranch_execz .LBB675_328
; %bb.323:
	v_lshrrev_b32_e32 v26, 24, v22
	s_movk_i32 s8, 0x80
	v_cmp_ne_u32_e32 vcc, s8, v26
	v_mov_b32_e32 v32, 0xffff8000
	s_and_saveexec_b64 s[8:9], vcc
	s_cbranch_execz .LBB675_327
; %bb.324:
	v_bfe_u32 v28, v22, 24, 7
	s_movk_i32 s11, 0x7f
	v_cmp_ne_u32_e32 vcc, s11, v28
	v_mov_b32_e32 v32, 0x7f80
	s_and_saveexec_b64 s[20:21], vcc
	s_cbranch_execz .LBB675_326
; %bb.325:
	v_and_b32_e32 v34, 7, v26
	v_ffbh_u32_e32 v32, v34
	v_min_u32_e32 v36, 32, v32
	v_subrev_u32_e32 v32, 28, v36
	v_lshlrev_b64 v[32:33], v32, v[26:27]
	v_lshrrev_b32_e32 v35, 3, v28
	v_sub_u32_e32 v33, 29, v36
	v_and_b32_e32 v32, 7, v32
	v_cmp_gt_u32_e32 vcc, 8, v28
	v_cndmask_b32_e32 v28, v35, v33, vcc
	v_cndmask_b32_e32 v32, v34, v32, vcc
	v_lshlrev_b32_e32 v26, 24, v26
	v_bfrev_b32_e32 v33, 60
	v_lshlrev_b32_e32 v32, 20, v32
	v_and_b32_e32 v26, 0x80000000, v26
	v_lshl_add_u32 v28, v28, 23, v33
	v_or3_b32 v26, v26, v28, v32
	v_lshrrev_b32_e32 v32, 16, v26
.LBB675_326:
	s_or_b64 exec, exec, s[20:21]
.LBB675_327:
	s_or_b64 exec, exec, s[8:9]
.LBB675_328:
	s_or_b64 exec, exec, s[2:3]
	v_mov_b32_e32 v33, 0
	v_mov_b32_e32 v26, v23
	v_cmp_ne_u16_sdwa s[8:9], v23, v33 src0_sel:BYTE_0 src1_sel:DWORD
	v_mov_b32_e32 v34, 0
	s_and_saveexec_b64 s[2:3], s[8:9]
	s_cbranch_execz .LBB675_334
; %bb.329:
	s_movk_i32 s8, 0x80
	v_cmp_ne_u16_sdwa s[20:21], v23, s8 src0_sel:BYTE_0 src1_sel:DWORD
	v_mov_b32_e32 v34, 0xffff8000
	s_and_saveexec_b64 s[8:9], s[20:21]
	s_cbranch_execz .LBB675_333
; %bb.330:
	s_movk_i32 s11, 0x7f
	v_and_b32_e32 v28, 0x7f, v23
	v_cmp_ne_u32_e32 vcc, s11, v28
	v_mov_b32_e32 v34, 0x7f80
	s_and_saveexec_b64 s[20:21], vcc
	s_cbranch_execz .LBB675_332
; %bb.331:
	v_and_b32_e32 v34, 7, v23
	v_ffbh_u32_e32 v34, v34
	v_min_u32_e32 v34, 32, v34
	v_lshrrev_b32_e32 v35, 3, v28
	v_subrev_u32_e32 v36, 28, v34
	v_sub_u32_e32 v34, 29, v34
	v_cmp_gt_u32_e32 vcc, 8, v28
	v_cndmask_b32_e32 v28, v35, v34, vcc
	v_cndmask_b32_e32 v34, 0, v36, vcc
	v_lshlrev_b64 v[34:35], v34, v[26:27]
	v_lshlrev_b32_e32 v27, 20, v34
	v_lshlrev_b32_e32 v34, 24, v26
	v_bfrev_b32_e32 v35, 60
	v_and_b32_e32 v27, 0x700000, v27
	v_and_b32_e32 v34, 0x80000000, v34
	v_lshl_add_u32 v28, v28, 23, v35
	v_or3_b32 v27, v34, v28, v27
	v_lshrrev_b32_e32 v34, 16, v27
.LBB675_332:
	s_or_b64 exec, exec, s[20:21]
.LBB675_333:
	s_or_b64 exec, exec, s[8:9]
.LBB675_334:
	s_or_b64 exec, exec, s[2:3]
	v_lshrrev_b16_e32 v28, 8, v26
	v_cmp_ne_u16_e32 vcc, 0, v28
	s_and_saveexec_b64 s[2:3], vcc
	s_cbranch_execz .LBB675_340
; %bb.335:
	s_movk_i32 s8, 0x80
	v_cmp_ne_u16_e32 vcc, s8, v28
	v_mov_b32_e32 v33, 0xffff8000
	s_and_saveexec_b64 s[8:9], vcc
	s_cbranch_execz .LBB675_339
; %bb.336:
	s_movk_i32 s11, 0x7f
	v_and_b32_e32 v27, 0x7f, v28
	v_cmp_ne_u32_e32 vcc, s11, v27
	v_mov_b32_e32 v33, 0x7f80
	s_and_saveexec_b64 s[20:21], vcc
	s_cbranch_execz .LBB675_338
; %bb.337:
	v_and_b32_e32 v33, 7, v28
	v_ffbh_u32_e32 v36, v33
	v_min_u32_e32 v38, 32, v36
	v_subrev_u32_e32 v36, 28, v38
	v_lshlrev_b64 v[36:37], v36, v[28:29]
	v_lshrrev_b32_e32 v35, 3, v27
	v_sub_u32_e32 v28, 29, v38
	v_and_b32_e32 v36, 7, v36
	v_cmp_gt_u32_e32 vcc, 8, v27
	v_cndmask_b32_e32 v27, v35, v28, vcc
	v_cndmask_b32_e32 v28, v33, v36, vcc
	v_lshlrev_b32_e32 v26, 16, v26
	v_bfrev_b32_e32 v33, 60
	v_lshlrev_b32_e32 v28, 20, v28
	v_and_b32_e32 v26, 0x80000000, v26
	v_lshl_add_u32 v27, v27, 23, v33
	v_or3_b32 v26, v26, v27, v28
	v_lshrrev_b32_e32 v33, 16, v26
.LBB675_338:
	s_or_b64 exec, exec, s[20:21]
.LBB675_339:
	s_or_b64 exec, exec, s[8:9]
.LBB675_340:
	s_or_b64 exec, exec, s[2:3]
	s_movk_i32 s2, 0xff
	v_and_b32_sdwa v35, v23, s2 dst_sel:DWORD dst_unused:UNUSED_PAD src0_sel:WORD_1 src1_sel:DWORD
	v_lshrrev_b32_e32 v26, 16, v23
	v_cmp_ne_u16_e32 vcc, 0, v35
	v_mov_b32_e32 v27, 0
	v_mov_b32_e32 v28, 0
	s_and_saveexec_b64 s[2:3], vcc
	s_cbranch_execz .LBB675_346
; %bb.341:
	s_movk_i32 s8, 0x80
	v_cmp_ne_u16_e32 vcc, s8, v35
	v_mov_b32_e32 v28, 0xffff8000
	s_and_saveexec_b64 s[8:9], vcc
	s_cbranch_execz .LBB675_345
; %bb.342:
	v_bfe_u32 v35, v23, 16, 7
	s_movk_i32 s11, 0x7f
	v_cmp_ne_u32_e32 vcc, s11, v35
	v_mov_b32_e32 v28, 0x7f80
	s_and_saveexec_b64 s[20:21], vcc
	s_cbranch_execz .LBB675_344
; %bb.343:
	v_and_b32_e32 v28, 7, v26
	v_ffbh_u32_e32 v36, v28
	v_min_u32_e32 v39, 32, v36
	v_subrev_u32_e32 v36, 28, v39
	v_lshlrev_b64 v[36:37], v36, v[26:27]
	v_lshrrev_b32_e32 v38, 3, v35
	v_sub_u32_e32 v26, 29, v39
	v_and_b32_e32 v36, 7, v36
	v_cmp_gt_u32_e32 vcc, 8, v35
	v_mov_b32_e32 v35, 24
	v_cndmask_b32_e32 v26, v38, v26, vcc
	v_cndmask_b32_e32 v28, v28, v36, vcc
	v_lshlrev_b32_sdwa v35, v35, v23 dst_sel:DWORD dst_unused:UNUSED_PAD src0_sel:DWORD src1_sel:WORD_1
	v_bfrev_b32_e32 v36, 60
	v_lshlrev_b32_e32 v28, 20, v28
	v_and_b32_e32 v35, 0x80000000, v35
	v_lshl_add_u32 v26, v26, 23, v36
	v_or3_b32 v26, v35, v26, v28
	v_lshrrev_b32_e32 v28, 16, v26
.LBB675_344:
	s_or_b64 exec, exec, s[20:21]
.LBB675_345:
	s_or_b64 exec, exec, s[8:9]
.LBB675_346:
	s_or_b64 exec, exec, s[2:3]
	s_mov_b32 s2, -1
	s_mov_b32 s3, 0xffffff
	v_cmp_lt_u64_e32 vcc, s[2:3], v[22:23]
	s_and_saveexec_b64 s[2:3], vcc
	s_cbranch_execz .LBB675_352
; %bb.347:
	v_lshrrev_b32_e32 v22, 24, v23
	s_movk_i32 s8, 0x80
	v_cmp_ne_u32_e32 vcc, s8, v22
	v_mov_b32_e32 v27, 0xffff8000
	s_and_saveexec_b64 s[8:9], vcc
	s_cbranch_execz .LBB675_351
; %bb.348:
	v_bfe_u32 v23, v23, 24, 7
	s_movk_i32 s11, 0x7f
	v_cmp_ne_u32_e32 vcc, s11, v23
	v_mov_b32_e32 v27, 0x7f80
	s_and_saveexec_b64 s[20:21], vcc
	s_cbranch_execz .LBB675_350
; %bb.349:
	v_and_b32_e32 v35, 7, v22
	v_ffbh_u32_e32 v26, v35
	v_min_u32_e32 v37, 32, v26
	v_subrev_u32_e32 v26, 28, v37
	v_lshlrev_b64 v[26:27], v26, v[22:23]
	v_lshrrev_b32_e32 v36, 3, v23
	v_sub_u32_e32 v27, 29, v37
	v_and_b32_e32 v26, 7, v26
	v_cmp_gt_u32_e32 vcc, 8, v23
	v_cndmask_b32_e32 v23, v36, v27, vcc
	v_cndmask_b32_e32 v26, v35, v26, vcc
	v_lshlrev_b32_e32 v22, 24, v22
	v_bfrev_b32_e32 v27, 60
	v_lshlrev_b32_e32 v26, 20, v26
	v_and_b32_e32 v22, 0x80000000, v22
	v_lshl_add_u32 v23, v23, 23, v27
	v_or3_b32 v22, v22, v23, v26
	v_lshrrev_b32_e32 v27, 16, v22
.LBB675_350:
	s_or_b64 exec, exec, s[20:21]
.LBB675_351:
	s_or_b64 exec, exec, s[8:9]
.LBB675_352:
	s_or_b64 exec, exec, s[2:3]
	s_mov_b32 s2, 0x5040100
	v_perm_b32 v23, v32, v31, s2
	v_perm_b32 v22, v29, v30, s2
	;; [unrolled: 1-line block ×4, first 2 shown]
	v_mfma_f32_4x4x4bf16_1k a[0:3], v[18:19], v[22:23], a[0:3] cbsz:4 abid:6
	v_mov_b32_e32 v28, 0
	v_mfma_f32_4x4x4bf16_1k a[0:3], v[20:21], v[26:27], a[0:3] cbsz:4 abid:6
	v_mov_b32_e32 v27, 0
	v_cmp_ne_u16_sdwa s[8:9], v24, v27 src0_sel:BYTE_0 src1_sel:DWORD
	s_and_saveexec_b64 s[2:3], s[8:9]
	s_cbranch_execz .LBB675_358
; %bb.353:
	s_movk_i32 s8, 0x80
	v_cmp_ne_u16_sdwa s[20:21], v24, s8 src0_sel:BYTE_0 src1_sel:DWORD
	v_mov_b32_e32 v28, 0xffff8000
	s_and_saveexec_b64 s[8:9], s[20:21]
	s_cbranch_execz .LBB675_357
; %bb.354:
	s_movk_i32 s11, 0x7f
	v_and_b32_e32 v22, 0x7f, v24
	v_cmp_ne_u32_e32 vcc, s11, v22
	v_mov_b32_e32 v28, 0x7f80
	s_and_saveexec_b64 s[20:21], vcc
	s_cbranch_execz .LBB675_356
; %bb.355:
	v_and_b32_e32 v23, 7, v24
	v_ffbh_u32_e32 v23, v23
	v_min_u32_e32 v23, 32, v23
	v_subrev_u32_e32 v28, 28, v23
	v_cmp_gt_u32_e32 vcc, 8, v22
	v_lshrrev_b32_e32 v26, 3, v22
	v_sub_u32_e32 v23, 29, v23
	v_cndmask_b32_e32 v22, 0, v28, vcc
	v_cndmask_b32_e32 v26, v26, v23, vcc
	v_lshlrev_b64 v[22:23], v22, v[24:25]
	v_lshlrev_b32_e32 v22, 20, v22
	v_lshlrev_b32_e32 v23, 24, v24
	v_bfrev_b32_e32 v28, 60
	v_and_b32_e32 v22, 0x700000, v22
	v_and_b32_e32 v23, 0x80000000, v23
	v_lshl_add_u32 v26, v26, 23, v28
	v_or3_b32 v22, v23, v26, v22
	v_lshrrev_b32_e32 v28, 16, v22
.LBB675_356:
	s_or_b64 exec, exec, s[20:21]
.LBB675_357:
	s_or_b64 exec, exec, s[8:9]
.LBB675_358:
	s_or_b64 exec, exec, s[2:3]
	v_lshrrev_b16_e32 v22, 8, v24
	v_cmp_ne_u16_e32 vcc, 0, v22
	s_and_saveexec_b64 s[2:3], vcc
	s_cbranch_execz .LBB675_364
; %bb.359:
	s_movk_i32 s8, 0x80
	v_cmp_ne_u16_e32 vcc, s8, v22
	v_mov_b32_e32 v27, 0xffff8000
	s_and_saveexec_b64 s[8:9], vcc
	s_cbranch_execz .LBB675_363
; %bb.360:
	s_movk_i32 s11, 0x7f
	v_and_b32_e32 v23, 0x7f, v22
	v_cmp_ne_u32_e32 vcc, s11, v23
	v_mov_b32_e32 v27, 0x7f80
	s_and_saveexec_b64 s[20:21], vcc
	s_cbranch_execz .LBB675_362
; %bb.361:
	v_and_b32_e32 v29, 7, v22
	v_ffbh_u32_e32 v26, v29
	v_min_u32_e32 v31, 32, v26
	v_subrev_u32_e32 v26, 28, v31
	v_lshlrev_b64 v[26:27], v26, v[22:23]
	v_lshrrev_b32_e32 v30, 3, v23
	v_sub_u32_e32 v22, 29, v31
	v_and_b32_e32 v26, 7, v26
	v_cmp_gt_u32_e32 vcc, 8, v23
	v_cndmask_b32_e32 v22, v30, v22, vcc
	v_cndmask_b32_e32 v23, v29, v26, vcc
	v_lshlrev_b32_e32 v26, 16, v24
	v_bfrev_b32_e32 v27, 60
	v_lshlrev_b32_e32 v23, 20, v23
	v_and_b32_e32 v26, 0x80000000, v26
	v_lshl_add_u32 v22, v22, 23, v27
	v_or3_b32 v22, v26, v22, v23
	v_lshrrev_b32_e32 v27, 16, v22
.LBB675_362:
	s_or_b64 exec, exec, s[20:21]
.LBB675_363:
	s_or_b64 exec, exec, s[8:9]
.LBB675_364:
	s_or_b64 exec, exec, s[2:3]
	s_movk_i32 s2, 0xff
	v_and_b32_sdwa v26, v24, s2 dst_sel:DWORD dst_unused:UNUSED_PAD src0_sel:WORD_1 src1_sel:DWORD
	v_lshrrev_b32_e32 v22, 16, v24
	v_cmp_ne_u16_e32 vcc, 0, v26
	v_mov_b32_e32 v23, 0
	v_mov_b32_e32 v29, 0
	s_and_saveexec_b64 s[2:3], vcc
	s_cbranch_execz .LBB675_370
; %bb.365:
	s_movk_i32 s8, 0x80
	v_cmp_ne_u16_e32 vcc, s8, v26
	v_mov_b32_e32 v29, 0xffff8000
	s_and_saveexec_b64 s[8:9], vcc
	s_cbranch_execz .LBB675_369
; %bb.366:
	v_bfe_u32 v26, v24, 16, 7
	s_movk_i32 s11, 0x7f
	v_cmp_ne_u32_e32 vcc, s11, v26
	v_mov_b32_e32 v29, 0x7f80
	s_and_saveexec_b64 s[20:21], vcc
	s_cbranch_execz .LBB675_368
; %bb.367:
	v_and_b32_e32 v29, 7, v22
	v_ffbh_u32_e32 v30, v29
	v_min_u32_e32 v33, 32, v30
	v_subrev_u32_e32 v30, 28, v33
	v_lshlrev_b64 v[30:31], v30, v[22:23]
	v_and_b32_e32 v30, 7, v30
	v_cmp_gt_u32_e32 vcc, 8, v26
	v_lshrrev_b32_e32 v32, 3, v26
	v_sub_u32_e32 v22, 29, v33
	v_cndmask_b32_e32 v26, v29, v30, vcc
	v_mov_b32_e32 v29, 24
	v_cndmask_b32_e32 v22, v32, v22, vcc
	v_lshlrev_b32_sdwa v29, v29, v24 dst_sel:DWORD dst_unused:UNUSED_PAD src0_sel:DWORD src1_sel:WORD_1
	v_bfrev_b32_e32 v30, 60
	v_lshlrev_b32_e32 v26, 20, v26
	v_and_b32_e32 v29, 0x80000000, v29
	v_lshl_add_u32 v22, v22, 23, v30
	v_or3_b32 v22, v29, v22, v26
	v_lshrrev_b32_e32 v29, 16, v22
.LBB675_368:
	s_or_b64 exec, exec, s[20:21]
.LBB675_369:
	s_or_b64 exec, exec, s[8:9]
.LBB675_370:
	s_or_b64 exec, exec, s[2:3]
	s_mov_b32 s2, 0xffffff
	v_cmp_lt_u32_e32 vcc, s2, v24
	v_mov_b32_e32 v30, 0
	s_and_saveexec_b64 s[2:3], vcc
	s_cbranch_execz .LBB675_376
; %bb.371:
	v_lshrrev_b32_e32 v22, 24, v24
	s_movk_i32 s8, 0x80
	v_cmp_ne_u32_e32 vcc, s8, v22
	v_mov_b32_e32 v30, 0xffff8000
	s_and_saveexec_b64 s[8:9], vcc
	s_cbranch_execz .LBB675_375
; %bb.372:
	v_bfe_u32 v26, v24, 24, 7
	s_movk_i32 s11, 0x7f
	v_cmp_ne_u32_e32 vcc, s11, v26
	v_mov_b32_e32 v30, 0x7f80
	s_and_saveexec_b64 s[20:21], vcc
	s_cbranch_execz .LBB675_374
; %bb.373:
	v_and_b32_e32 v32, 7, v22
	v_ffbh_u32_e32 v30, v32
	v_min_u32_e32 v34, 32, v30
	v_subrev_u32_e32 v30, 28, v34
	v_lshlrev_b64 v[30:31], v30, v[22:23]
	v_lshrrev_b32_e32 v33, 3, v26
	v_sub_u32_e32 v31, 29, v34
	v_and_b32_e32 v30, 7, v30
	v_cmp_gt_u32_e32 vcc, 8, v26
	v_cndmask_b32_e32 v26, v33, v31, vcc
	v_cndmask_b32_e32 v30, v32, v30, vcc
	v_lshlrev_b32_e32 v22, 24, v22
	v_bfrev_b32_e32 v31, 60
	v_lshlrev_b32_e32 v30, 20, v30
	v_and_b32_e32 v22, 0x80000000, v22
	v_lshl_add_u32 v26, v26, 23, v31
	v_or3_b32 v22, v22, v26, v30
	v_lshrrev_b32_e32 v30, 16, v22
.LBB675_374:
	s_or_b64 exec, exec, s[20:21]
.LBB675_375:
	s_or_b64 exec, exec, s[8:9]
.LBB675_376:
	s_or_b64 exec, exec, s[2:3]
	v_mov_b32_e32 v31, 0
	v_mov_b32_e32 v22, v25
	v_cmp_ne_u16_sdwa s[8:9], v25, v31 src0_sel:BYTE_0 src1_sel:DWORD
	v_mov_b32_e32 v32, 0
	s_and_saveexec_b64 s[2:3], s[8:9]
	s_cbranch_execz .LBB675_382
; %bb.377:
	s_movk_i32 s8, 0x80
	v_cmp_ne_u16_sdwa s[20:21], v25, s8 src0_sel:BYTE_0 src1_sel:DWORD
	v_mov_b32_e32 v32, 0xffff8000
	s_and_saveexec_b64 s[8:9], s[20:21]
	s_cbranch_execz .LBB675_381
; %bb.378:
	s_movk_i32 s11, 0x7f
	v_and_b32_e32 v26, 0x7f, v25
	v_cmp_ne_u32_e32 vcc, s11, v26
	v_mov_b32_e32 v32, 0x7f80
	s_and_saveexec_b64 s[20:21], vcc
	s_cbranch_execz .LBB675_380
; %bb.379:
	v_and_b32_e32 v32, 7, v25
	v_ffbh_u32_e32 v32, v32
	v_min_u32_e32 v32, 32, v32
	v_lshrrev_b32_e32 v33, 3, v26
	v_subrev_u32_e32 v34, 28, v32
	v_sub_u32_e32 v32, 29, v32
	v_cmp_gt_u32_e32 vcc, 8, v26
	v_cndmask_b32_e32 v26, v33, v32, vcc
	v_cndmask_b32_e32 v32, 0, v34, vcc
	v_lshlrev_b64 v[32:33], v32, v[22:23]
	v_lshlrev_b32_e32 v23, 20, v32
	v_lshlrev_b32_e32 v32, 24, v22
	v_bfrev_b32_e32 v33, 60
	v_and_b32_e32 v23, 0x700000, v23
	v_and_b32_e32 v32, 0x80000000, v32
	v_lshl_add_u32 v26, v26, 23, v33
	v_or3_b32 v23, v32, v26, v23
	v_lshrrev_b32_e32 v32, 16, v23
.LBB675_380:
	s_or_b64 exec, exec, s[20:21]
.LBB675_381:
	s_or_b64 exec, exec, s[8:9]
.LBB675_382:
	s_or_b64 exec, exec, s[2:3]
	v_lshrrev_b16_e32 v26, 8, v22
	v_cmp_ne_u16_e32 vcc, 0, v26
	s_and_saveexec_b64 s[2:3], vcc
	s_cbranch_execz .LBB675_388
; %bb.383:
	s_movk_i32 s8, 0x80
	v_cmp_ne_u16_e32 vcc, s8, v26
	v_mov_b32_e32 v31, 0xffff8000
	s_and_saveexec_b64 s[8:9], vcc
	s_cbranch_execz .LBB675_387
; %bb.384:
	s_movk_i32 s11, 0x7f
	v_and_b32_e32 v23, 0x7f, v26
	v_cmp_ne_u32_e32 vcc, s11, v23
	v_mov_b32_e32 v31, 0x7f80
	s_and_saveexec_b64 s[20:21], vcc
	s_cbranch_execz .LBB675_386
; %bb.385:
	v_and_b32_e32 v31, 7, v26
	v_ffbh_u32_e32 v34, v31
	v_min_u32_e32 v36, 32, v34
	v_subrev_u32_e32 v34, 28, v36
	v_lshlrev_b64 v[34:35], v34, v[26:27]
	v_lshrrev_b32_e32 v33, 3, v23
	v_sub_u32_e32 v26, 29, v36
	v_and_b32_e32 v34, 7, v34
	v_cmp_gt_u32_e32 vcc, 8, v23
	v_cndmask_b32_e32 v23, v33, v26, vcc
	v_cndmask_b32_e32 v26, v31, v34, vcc
	v_lshlrev_b32_e32 v22, 16, v22
	v_bfrev_b32_e32 v31, 60
	v_lshlrev_b32_e32 v26, 20, v26
	v_and_b32_e32 v22, 0x80000000, v22
	v_lshl_add_u32 v23, v23, 23, v31
	v_or3_b32 v22, v22, v23, v26
	v_lshrrev_b32_e32 v31, 16, v22
.LBB675_386:
	s_or_b64 exec, exec, s[20:21]
.LBB675_387:
	s_or_b64 exec, exec, s[8:9]
.LBB675_388:
	s_or_b64 exec, exec, s[2:3]
	s_movk_i32 s2, 0xff
	v_and_b32_sdwa v33, v25, s2 dst_sel:DWORD dst_unused:UNUSED_PAD src0_sel:WORD_1 src1_sel:DWORD
	v_lshrrev_b32_e32 v22, 16, v25
	v_cmp_ne_u16_e32 vcc, 0, v33
	v_mov_b32_e32 v23, 0
	v_mov_b32_e32 v26, 0
	s_and_saveexec_b64 s[2:3], vcc
	s_cbranch_execz .LBB675_394
; %bb.389:
	s_movk_i32 s8, 0x80
	v_cmp_ne_u16_e32 vcc, s8, v33
	v_mov_b32_e32 v26, 0xffff8000
	s_and_saveexec_b64 s[8:9], vcc
	s_cbranch_execz .LBB675_393
; %bb.390:
	v_bfe_u32 v33, v25, 16, 7
	s_movk_i32 s11, 0x7f
	v_cmp_ne_u32_e32 vcc, s11, v33
	v_mov_b32_e32 v26, 0x7f80
	s_and_saveexec_b64 s[20:21], vcc
	s_cbranch_execz .LBB675_392
; %bb.391:
	v_and_b32_e32 v26, 7, v22
	v_ffbh_u32_e32 v34, v26
	v_min_u32_e32 v37, 32, v34
	v_subrev_u32_e32 v34, 28, v37
	v_lshlrev_b64 v[34:35], v34, v[22:23]
	v_lshrrev_b32_e32 v36, 3, v33
	v_sub_u32_e32 v22, 29, v37
	v_and_b32_e32 v34, 7, v34
	v_cmp_gt_u32_e32 vcc, 8, v33
	v_mov_b32_e32 v33, 24
	v_cndmask_b32_e32 v22, v36, v22, vcc
	v_cndmask_b32_e32 v26, v26, v34, vcc
	v_lshlrev_b32_sdwa v33, v33, v25 dst_sel:DWORD dst_unused:UNUSED_PAD src0_sel:DWORD src1_sel:WORD_1
	v_bfrev_b32_e32 v34, 60
	v_lshlrev_b32_e32 v26, 20, v26
	v_and_b32_e32 v33, 0x80000000, v33
	v_lshl_add_u32 v22, v22, 23, v34
	v_or3_b32 v22, v33, v22, v26
	v_lshrrev_b32_e32 v26, 16, v22
.LBB675_392:
	s_or_b64 exec, exec, s[20:21]
.LBB675_393:
	s_or_b64 exec, exec, s[8:9]
.LBB675_394:
	s_or_b64 exec, exec, s[2:3]
	s_mov_b32 s2, -1
	s_mov_b32 s3, 0xffffff
	v_cmp_lt_u64_e32 vcc, s[2:3], v[24:25]
	s_and_saveexec_b64 s[2:3], vcc
	s_cbranch_execz .LBB675_400
; %bb.395:
	v_lshrrev_b32_e32 v22, 24, v25
	s_movk_i32 s8, 0x80
	v_cmp_ne_u32_e32 vcc, s8, v22
	v_mov_b32_e32 v23, 0xffff8000
	s_and_saveexec_b64 s[8:9], vcc
	s_cbranch_execz .LBB675_399
; %bb.396:
	v_bfe_u32 v24, v25, 24, 7
	s_movk_i32 s11, 0x7f
	v_cmp_ne_u32_e32 vcc, s11, v24
	v_mov_b32_e32 v23, 0x7f80
	s_and_saveexec_b64 s[20:21], vcc
	s_cbranch_execz .LBB675_398
; %bb.397:
	v_and_b32_e32 v23, 7, v22
	v_ffbh_u32_e32 v33, v23
	v_min_u32_e32 v33, 32, v33
	v_subrev_u32_e32 v34, 28, v33
	v_lshlrev_b64 v[34:35], v34, v[22:23]
	v_lshrrev_b32_e32 v25, 3, v24
	v_sub_u32_e32 v33, 29, v33
	v_and_b32_e32 v34, 7, v34
	v_cmp_gt_u32_e32 vcc, 8, v24
	v_cndmask_b32_e32 v24, v25, v33, vcc
	v_cndmask_b32_e32 v23, v23, v34, vcc
	v_lshlrev_b32_e32 v22, 24, v22
	v_bfrev_b32_e32 v25, 60
	v_lshlrev_b32_e32 v23, 20, v23
	v_and_b32_e32 v22, 0x80000000, v22
	v_lshl_add_u32 v24, v24, 23, v25
	v_or3_b32 v22, v22, v24, v23
	v_lshrrev_b32_e32 v23, 16, v22
.LBB675_398:
	s_or_b64 exec, exec, s[20:21]
.LBB675_399:
	s_or_b64 exec, exec, s[8:9]
.LBB675_400:
	s_or_b64 exec, exec, s[2:3]
	s_mov_b32 s3, 0x5040100
	s_load_dword s2, s[4:5], 0x1c
	v_perm_b32 v25, v30, v29, s3
	v_perm_b32 v24, v27, v28, s3
	;; [unrolled: 1-line block ×4, first 2 shown]
	v_mfma_f32_4x4x4bf16_1k a[0:3], v[18:19], v[24:25], a[0:3] cbsz:4 abid:7
	s_load_dword s3, s[12:13], 0x0
	v_mfma_f32_4x4x4bf16_1k a[0:3], v[20:21], v[22:23], a[0:3] cbsz:4 abid:7
	s_waitcnt lgkmcnt(0)
	v_mov_b32_e32 v18, s2
	v_cmp_eq_u32_e32 vcc, 0, v43
	v_mov_b32_e32 v25, 0xff7fffff
	v_mul_f32_e32 v20, s3, v18
	v_accvgpr_read_b32 v23, a1
	v_accvgpr_read_b32 v22, a0
	v_pk_mul_f32 v[22:23], v[22:23], v[20:21] op_sel_hi:[1,0]
	v_accvgpr_read_b32 v19, a3
	v_accvgpr_read_b32 v18, a2
	v_pk_mul_f32 v[18:19], v[18:19], v[20:21] op_sel_hi:[1,0]
	v_cndmask_b32_e64 v20, 0, 1.0, vcc
	v_cmp_eq_u32_e32 vcc, 1, v43
	s_nop 0
	v_mfma_f32_4x4x1f32 a[0:3], v22, v20, 0
	v_cndmask_b32_e64 v20, 0, 1.0, vcc
	v_cmp_eq_u32_e32 vcc, 2, v43
	s_nop 0
	v_mfma_f32_4x4x1f32 a[0:3], v23, v20, a[0:3]
	;; [unrolled: 4-line block ×3, first 2 shown]
	v_cndmask_b32_e64 v18, 0, 1.0, vcc
	s_nop 1
	v_mfma_f32_4x4x1f32 a[0:3], v19, v18, a[0:3]
	v_and_b32_e32 v18, -4, v44
	v_subrev_u32_e32 v19, s7, v18
	v_add_u32_e32 v20, 1, v19
	v_cvt_f32_i32_e32 v20, v20
	v_add_u32_e32 v21, 2, v19
	v_cvt_f32_i32_e32 v21, v21
	v_accvgpr_read_b32 v22, a0
	v_fma_f32 v20, v45, v20, v22
	v_accvgpr_read_b32 v22, a1
	v_fma_f32 v21, v45, v21, v22
	v_add_u32_e32 v22, 3, v19
	v_cvt_f32_i32_e32 v22, v22
	v_add_u32_e32 v19, 4, v19
	v_max_f32_e32 v24, 0xff7fffff, v20
	v_cmp_gt_i32_e32 vcc, s7, v18
	v_cvt_f32_i32_e32 v19, v19
	v_cndmask_b32_e32 v24, v25, v24, vcc
	v_or_b32_e32 v25, 1, v18
	v_accvgpr_read_b32 v23, a2
	v_max_f32_e32 v26, v24, v21
	v_cmp_gt_i32_e64 s[2:3], s7, v25
	v_fma_f32 v22, v45, v22, v23
	v_cndmask_b32_e64 v24, v24, v26, s[2:3]
	v_or_b32_e32 v18, 2, v18
	v_accvgpr_read_b32 v23, a3
	v_max_f32_e32 v25, v24, v22
	v_cmp_gt_i32_e64 s[4:5], s7, v18
	v_fmac_f32_e32 v23, v45, v19
	v_cndmask_b32_e64 v18, v24, v25, s[4:5]
	v_or_b32_e32 v24, 3, v44
	v_max_f32_e32 v25, v18, v23
	v_cmp_gt_i32_e64 s[8:9], s7, v24
	v_lshlrev_b32_e32 v19, 2, v0
	v_cndmask_b32_e64 v18, v18, v25, s[8:9]
	v_and_or_b32 v19, v19, 48, v43
	;;#ASMSTART
	v_nop
 v_nop
 v_max_f32_dpp v18, v18, v18 row_ror:4
	;;#ASMEND
	v_lshlrev_b32_e32 v24, 2, v19
	;;#ASMSTART
	v_nop
 v_nop
 v_max_f32_dpp v18, v18, v18 row_ror:8
	;;#ASMEND
	ds_bpermute_b32 v18, v24, v18
	s_waitcnt lgkmcnt(0)
	;;#ASMSTART
	v_nop
 v_nop
 v_max_f32_dpp v18, v18, v18 row_ror:4
	;;#ASMEND
	;;#ASMSTART
	v_nop
 v_nop
 v_max_f32_dpp v25, v18, v18 row_ror:8
	;;#ASMEND
	v_sub_f32_e32 v18, v20, v25
	v_mul_f32_e32 v18, 0x3fb8aa3b, v18
	v_sub_f32_e32 v19, v21, v25
	v_exp_f32_e32 v18, v18
	v_mul_f32_e32 v19, 0x3fb8aa3b, v19
	v_sub_f32_e32 v21, v22, v25
	v_exp_f32_e32 v19, v19
	;; [unrolled: 3-line block ×3, first 2 shown]
	v_mul_f32_e32 v22, 0x3fb8aa3b, v22
	v_exp_f32_e32 v22, v22
	v_cndmask_b32_e32 v18, 0, v18, vcc
	v_add_f32_e32 v20, 0, v18
	v_cndmask_b32_e64 v19, 0, v19, s[2:3]
	v_add_f32_e32 v23, v20, v19
	v_cndmask_b32_e64 v20, 0, v21, s[4:5]
	;; [unrolled: 2-line block ×3, first 2 shown]
	v_add_f32_e32 v22, v23, v21
	;;#ASMSTART
	v_nop
 v_nop
 v_add_f32_dpp v22, v22, v22 row_ror:4
	;;#ASMEND
	;;#ASMSTART
	v_nop
 v_nop
 v_add_f32_dpp v22, v22, v22 row_ror:8
	;;#ASMEND
	ds_bpermute_b32 v22, v24, v22
	s_waitcnt lgkmcnt(0)
	;;#ASMSTART
	v_nop
 v_nop
 v_add_f32_dpp v22, v22, v22 row_ror:4
	;;#ASMEND
	v_cmp_gt_u32_e32 vcc, 4, v42
	;;#ASMSTART
	v_nop
 v_nop
 v_add_f32_dpp v22, v22, v22 row_ror:8
	;;#ASMEND
	s_and_saveexec_b64 s[2:3], vcc
	s_cbranch_execz .LBB675_402
; %bb.401:
	v_mul_u32_u24_e32 v23, 20, v1
	v_lshl_add_u32 v23, v43, 2, v23
	v_add_u32_e32 v23, 0x800, v23
	ds_write2_b32 v23, v25, v22 offset0:128 offset1:148
.LBB675_402:
	s_or_b64 exec, exec, s[2:3]
.LBB675_403:
	s_or_b64 exec, exec, s[28:29]
	s_waitcnt lgkmcnt(0)
	s_barrier
	s_load_dword s2, s[26:27], 0x8
	v_lshlrev_b32_e32 v22, 2, v43
	v_add_u32_e32 v24, 0x800, v22
	ds_read2_b32 v[22:23], v24 offset0:128 offset1:133
	ds_read2_b32 v[28:29], v24 offset0:138 offset1:143
	s_mul_i32 s3, s6, s38
	s_waitcnt lgkmcnt(0)
	s_mul_i32 s3, s3, s2
	s_lshl_b32 s2, s3, 1
	s_mov_b32 s3, 0xff7fffff
	v_max3_f32 v26, v22, s3, v23
	v_max3_f32 v26, v26, v28, v29
	v_sub_f32_e32 v22, v22, v26
	v_mul_f32_e32 v22, 0x3fb8aa3b, v22
	v_exp_f32_e32 v27, v22
	v_sub_f32_e32 v22, v23, v26
	ds_read2_b32 v[30:31], v24 offset0:148 offset1:153
	v_mul_f32_e32 v22, 0x3fb8aa3b, v22
	v_exp_f32_e32 v32, v22
	ds_read2_b32 v[22:23], v24 offset0:158 offset1:163
	v_sub_f32_e32 v24, v28, v26
	v_mul_f32_e32 v24, 0x3fb8aa3b, v24
	v_sub_f32_e32 v28, v29, v26
	v_exp_f32_e32 v24, v24
	v_mul_f32_e32 v28, 0x3fb8aa3b, v28
	v_exp_f32_e32 v28, v28
	s_waitcnt lgkmcnt(1)
	v_fma_f32 v27, v27, v30, 0
	v_fmac_f32_e32 v27, v32, v31
	s_waitcnt lgkmcnt(0)
	v_fmac_f32_e32 v27, v24, v22
	v_fmac_f32_e32 v27, v28, v23
	v_cmp_gt_u32_e32 vcc, 2, v43
	s_and_saveexec_b64 s[4:5], vcc
	s_cbranch_execz .LBB675_405
; %bb.404:
	s_mov_b32 s3, 0
	s_lshl_b64 s[6:7], s[2:3], 2
	s_add_u32 s12, s16, s6
	s_mov_b32 s11, s3
	s_addc_u32 s13, s17, s7
	s_lshl_b64 s[8:9], s[10:11], 2
	s_add_u32 s3, s12, s8
	s_addc_u32 s11, s13, s9
	v_or_b32_e32 v22, s33, v43
	s_add_u32 s6, s18, s6
	v_mul_lo_u32 v22, s38, v22
	v_mov_b32_e32 v23, 0
	s_addc_u32 s7, s19, s7
	v_lshlrev_b64 v[22:23], 2, v[22:23]
	s_add_u32 s6, s6, s8
	v_mov_b32_e32 v24, s11
	v_add_co_u32_e32 v28, vcc, s3, v22
	s_addc_u32 s7, s7, s9
	v_addc_co_u32_e32 v29, vcc, v24, v23, vcc
	v_mov_b32_e32 v24, s7
	v_add_co_u32_e32 v22, vcc, s6, v22
	v_addc_co_u32_e32 v23, vcc, v24, v23, vcc
	global_store_dword v[22:23], v26, off
	global_store_dword v[28:29], v27, off
.LBB675_405:
	s_or_b64 exec, exec, s[4:5]
	v_mov_b32_e32 v23, 0
	v_mov_b32_e32 v22, 0
	s_and_saveexec_b64 s[4:5], s[0:1]
	s_cbranch_execz .LBB675_791
; %bb.406:
	v_mov_b32_e32 v28, 0
	s_waitcnt vmcnt(3)
	v_cmp_ne_u16_sdwa s[6:7], v14, v28 src0_sel:BYTE_0 src1_sel:DWORD
	v_mov_b32_e32 v29, 0
	s_and_saveexec_b64 s[0:1], s[6:7]
	s_cbranch_execz .LBB675_412
; %bb.407:
	s_movk_i32 s3, 0x80
	v_cmp_ne_u16_sdwa s[8:9], v14, s3 src0_sel:BYTE_0 src1_sel:DWORD
	v_mov_b32_e32 v29, 0xffff8000
	s_and_saveexec_b64 s[6:7], s[8:9]
	s_cbranch_execz .LBB675_411
; %bb.408:
	s_movk_i32 s3, 0x7f
	v_and_b32_e32 v22, 0x7f, v14
	v_cmp_ne_u32_e32 vcc, s3, v22
	v_mov_b32_e32 v29, 0x7f80
	s_and_saveexec_b64 s[8:9], vcc
	s_cbranch_execz .LBB675_410
; %bb.409:
	v_and_b32_e32 v23, 7, v14
	v_ffbh_u32_e32 v23, v23
	v_min_u32_e32 v23, 32, v23
	v_subrev_u32_e32 v29, 28, v23
	v_cmp_gt_u32_e32 vcc, 8, v22
	v_lshrrev_b32_e32 v24, 3, v22
	v_sub_u32_e32 v23, 29, v23
	v_cndmask_b32_e32 v22, 0, v29, vcc
	v_cndmask_b32_e32 v24, v24, v23, vcc
	v_lshlrev_b64 v[22:23], v22, v[14:15]
	v_lshlrev_b32_e32 v22, 20, v22
	v_lshlrev_b32_e32 v23, 24, v14
	v_bfrev_b32_e32 v29, 60
	v_and_b32_e32 v22, 0x700000, v22
	v_and_b32_e32 v23, 0x80000000, v23
	v_lshl_add_u32 v24, v24, 23, v29
	v_or3_b32 v22, v23, v24, v22
	v_lshrrev_b32_e32 v29, 16, v22
.LBB675_410:
	s_or_b64 exec, exec, s[8:9]
.LBB675_411:
	s_or_b64 exec, exec, s[6:7]
.LBB675_412:
	s_or_b64 exec, exec, s[0:1]
	v_lshrrev_b16_e32 v22, 8, v14
	v_cmp_ne_u16_e32 vcc, 0, v22
	s_and_saveexec_b64 s[0:1], vcc
	s_cbranch_execz .LBB675_418
; %bb.413:
	s_movk_i32 s3, 0x80
	v_cmp_ne_u16_e32 vcc, s3, v22
	v_mov_b32_e32 v28, 0xffff8000
	s_and_saveexec_b64 s[6:7], vcc
	s_cbranch_execz .LBB675_417
; %bb.414:
	s_movk_i32 s3, 0x7f
	v_and_b32_e32 v23, 0x7f, v22
	v_cmp_ne_u32_e32 vcc, s3, v23
	v_mov_b32_e32 v28, 0x7f80
	s_and_saveexec_b64 s[8:9], vcc
	s_cbranch_execz .LBB675_416
; %bb.415:
	v_and_b32_e32 v24, 7, v22
	v_ffbh_u32_e32 v30, v24
	v_min_u32_e32 v32, 32, v30
	v_subrev_u32_e32 v30, 28, v32
	v_lshlrev_b64 v[30:31], v30, v[22:23]
	v_lshrrev_b32_e32 v28, 3, v23
	v_sub_u32_e32 v22, 29, v32
	v_and_b32_e32 v30, 7, v30
	v_cmp_gt_u32_e32 vcc, 8, v23
	v_cndmask_b32_e32 v22, v28, v22, vcc
	v_cndmask_b32_e32 v23, v24, v30, vcc
	v_lshlrev_b32_e32 v24, 16, v14
	v_bfrev_b32_e32 v28, 60
	v_lshlrev_b32_e32 v23, 20, v23
	v_and_b32_e32 v24, 0x80000000, v24
	v_lshl_add_u32 v22, v22, 23, v28
	v_or3_b32 v22, v24, v22, v23
	v_lshrrev_b32_e32 v28, 16, v22
.LBB675_416:
	s_or_b64 exec, exec, s[8:9]
.LBB675_417:
	s_or_b64 exec, exec, s[6:7]
.LBB675_418:
	s_or_b64 exec, exec, s[0:1]
	s_movk_i32 s0, 0xff
	v_and_b32_sdwa v24, v14, s0 dst_sel:DWORD dst_unused:UNUSED_PAD src0_sel:WORD_1 src1_sel:DWORD
	v_lshrrev_b32_e32 v22, 16, v14
	v_cmp_ne_u16_e32 vcc, 0, v24
	v_mov_b32_e32 v23, 0
	v_mov_b32_e32 v30, 0
	s_and_saveexec_b64 s[0:1], vcc
	s_cbranch_execz .LBB675_424
; %bb.419:
	s_movk_i32 s3, 0x80
	v_cmp_ne_u16_e32 vcc, s3, v24
	v_mov_b32_e32 v30, 0xffff8000
	s_and_saveexec_b64 s[6:7], vcc
	s_cbranch_execz .LBB675_423
; %bb.420:
	v_bfe_u32 v24, v14, 16, 7
	s_movk_i32 s3, 0x7f
	v_cmp_ne_u32_e32 vcc, s3, v24
	v_mov_b32_e32 v30, 0x7f80
	s_and_saveexec_b64 s[8:9], vcc
	s_cbranch_execz .LBB675_422
; %bb.421:
	v_and_b32_e32 v32, 7, v22
	v_ffbh_u32_e32 v30, v32
	v_min_u32_e32 v34, 32, v30
	v_subrev_u32_e32 v30, 28, v34
	v_lshlrev_b64 v[30:31], v30, v[22:23]
	v_and_b32_e32 v30, 7, v30
	v_cmp_gt_u32_e32 vcc, 8, v24
	v_lshrrev_b32_e32 v33, 3, v24
	v_sub_u32_e32 v22, 29, v34
	v_cndmask_b32_e32 v24, v32, v30, vcc
	v_mov_b32_e32 v30, 24
	v_cndmask_b32_e32 v22, v33, v22, vcc
	v_lshlrev_b32_sdwa v30, v30, v14 dst_sel:DWORD dst_unused:UNUSED_PAD src0_sel:DWORD src1_sel:WORD_1
	v_bfrev_b32_e32 v31, 60
	v_lshlrev_b32_e32 v24, 20, v24
	v_and_b32_e32 v30, 0x80000000, v30
	v_lshl_add_u32 v22, v22, 23, v31
	v_or3_b32 v22, v30, v22, v24
	v_lshrrev_b32_e32 v30, 16, v22
.LBB675_422:
	s_or_b64 exec, exec, s[8:9]
.LBB675_423:
	s_or_b64 exec, exec, s[6:7]
.LBB675_424:
	s_or_b64 exec, exec, s[0:1]
	s_mov_b32 s0, 0xffffff
	v_cmp_lt_u32_e32 vcc, s0, v14
	v_mov_b32_e32 v31, 0
	s_and_saveexec_b64 s[0:1], vcc
	s_cbranch_execz .LBB675_430
; %bb.425:
	v_lshrrev_b32_e32 v22, 24, v14
	s_movk_i32 s3, 0x80
	v_cmp_ne_u32_e32 vcc, s3, v22
	v_mov_b32_e32 v31, 0xffff8000
	s_and_saveexec_b64 s[6:7], vcc
	s_cbranch_execz .LBB675_429
; %bb.426:
	v_bfe_u32 v24, v14, 24, 7
	s_movk_i32 s3, 0x7f
	v_cmp_ne_u32_e32 vcc, s3, v24
	v_mov_b32_e32 v31, 0x7f80
	s_and_saveexec_b64 s[8:9], vcc
	s_cbranch_execz .LBB675_428
; %bb.427:
	v_and_b32_e32 v31, 7, v22
	v_ffbh_u32_e32 v32, v31
	v_min_u32_e32 v35, 32, v32
	v_subrev_u32_e32 v32, 28, v35
	v_lshlrev_b64 v[32:33], v32, v[22:23]
	v_lshrrev_b32_e32 v34, 3, v24
	v_sub_u32_e32 v33, 29, v35
	v_and_b32_e32 v32, 7, v32
	v_cmp_gt_u32_e32 vcc, 8, v24
	v_cndmask_b32_e32 v24, v34, v33, vcc
	v_cndmask_b32_e32 v31, v31, v32, vcc
	v_lshlrev_b32_e32 v22, 24, v22
	v_bfrev_b32_e32 v32, 60
	v_lshlrev_b32_e32 v31, 20, v31
	v_and_b32_e32 v22, 0x80000000, v22
	v_lshl_add_u32 v24, v24, 23, v32
	v_or3_b32 v22, v22, v24, v31
	v_lshrrev_b32_e32 v31, 16, v22
.LBB675_428:
	s_or_b64 exec, exec, s[8:9]
.LBB675_429:
	s_or_b64 exec, exec, s[6:7]
.LBB675_430:
	s_or_b64 exec, exec, s[0:1]
	v_mov_b32_e32 v32, 0
	v_mov_b32_e32 v22, v15
	v_cmp_ne_u16_sdwa s[6:7], v15, v32 src0_sel:BYTE_0 src1_sel:DWORD
	v_mov_b32_e32 v33, 0
	s_and_saveexec_b64 s[0:1], s[6:7]
	s_cbranch_execz .LBB675_436
; %bb.431:
	s_movk_i32 s3, 0x80
	v_cmp_ne_u16_sdwa s[8:9], v15, s3 src0_sel:BYTE_0 src1_sel:DWORD
	v_mov_b32_e32 v33, 0xffff8000
	s_and_saveexec_b64 s[6:7], s[8:9]
	s_cbranch_execz .LBB675_435
; %bb.432:
	s_movk_i32 s3, 0x7f
	v_and_b32_e32 v24, 0x7f, v15
	v_cmp_ne_u32_e32 vcc, s3, v24
	v_mov_b32_e32 v33, 0x7f80
	s_and_saveexec_b64 s[8:9], vcc
	s_cbranch_execz .LBB675_434
; %bb.433:
	v_and_b32_e32 v33, 7, v15
	v_ffbh_u32_e32 v33, v33
	v_min_u32_e32 v33, 32, v33
	v_lshrrev_b32_e32 v34, 3, v24
	v_subrev_u32_e32 v35, 28, v33
	v_sub_u32_e32 v33, 29, v33
	v_cmp_gt_u32_e32 vcc, 8, v24
	v_cndmask_b32_e32 v24, v34, v33, vcc
	v_cndmask_b32_e32 v33, 0, v35, vcc
	v_lshlrev_b64 v[34:35], v33, v[22:23]
	v_lshlrev_b32_e32 v23, 20, v34
	v_lshlrev_b32_e32 v33, 24, v22
	v_bfrev_b32_e32 v34, 60
	v_and_b32_e32 v23, 0x700000, v23
	v_and_b32_e32 v33, 0x80000000, v33
	v_lshl_add_u32 v24, v24, 23, v34
	v_or3_b32 v23, v33, v24, v23
	v_lshrrev_b32_e32 v33, 16, v23
.LBB675_434:
	s_or_b64 exec, exec, s[8:9]
.LBB675_435:
	s_or_b64 exec, exec, s[6:7]
.LBB675_436:
	s_or_b64 exec, exec, s[0:1]
	v_lshrrev_b16_e32 v24, 8, v22
	v_cmp_ne_u16_e32 vcc, 0, v24
	s_and_saveexec_b64 s[0:1], vcc
	s_cbranch_execz .LBB675_442
; %bb.437:
	s_movk_i32 s3, 0x80
	v_cmp_ne_u16_e32 vcc, s3, v24
	v_mov_b32_e32 v32, 0xffff8000
	s_and_saveexec_b64 s[6:7], vcc
	s_cbranch_execz .LBB675_441
; %bb.438:
	s_movk_i32 s3, 0x7f
	v_and_b32_e32 v23, 0x7f, v24
	v_cmp_ne_u32_e32 vcc, s3, v23
	v_mov_b32_e32 v32, 0x7f80
	s_and_saveexec_b64 s[8:9], vcc
	s_cbranch_execz .LBB675_440
; %bb.439:
	v_and_b32_e32 v32, 7, v24
	v_ffbh_u32_e32 v34, v32
	v_min_u32_e32 v37, 32, v34
	v_subrev_u32_e32 v34, 28, v37
	v_lshlrev_b64 v[34:35], v34, v[24:25]
	v_lshrrev_b32_e32 v36, 3, v23
	v_sub_u32_e32 v24, 29, v37
	v_and_b32_e32 v34, 7, v34
	v_cmp_gt_u32_e32 vcc, 8, v23
	v_cndmask_b32_e32 v23, v36, v24, vcc
	v_cndmask_b32_e32 v24, v32, v34, vcc
	v_lshlrev_b32_e32 v22, 16, v22
	v_bfrev_b32_e32 v32, 60
	v_lshlrev_b32_e32 v24, 20, v24
	v_and_b32_e32 v22, 0x80000000, v22
	v_lshl_add_u32 v23, v23, 23, v32
	v_or3_b32 v22, v22, v23, v24
	v_lshrrev_b32_e32 v32, 16, v22
.LBB675_440:
	s_or_b64 exec, exec, s[8:9]
.LBB675_441:
	s_or_b64 exec, exec, s[6:7]
.LBB675_442:
	s_or_b64 exec, exec, s[0:1]
	s_movk_i32 s0, 0xff
	v_and_b32_sdwa v34, v15, s0 dst_sel:DWORD dst_unused:UNUSED_PAD src0_sel:WORD_1 src1_sel:DWORD
	v_lshrrev_b32_e32 v22, 16, v15
	v_cmp_ne_u16_e32 vcc, 0, v34
	v_mov_b32_e32 v23, 0
	v_mov_b32_e32 v24, 0
	s_and_saveexec_b64 s[0:1], vcc
	s_cbranch_execz .LBB675_448
; %bb.443:
	s_movk_i32 s3, 0x80
	v_cmp_ne_u16_e32 vcc, s3, v34
	v_mov_b32_e32 v24, 0xffff8000
	s_and_saveexec_b64 s[6:7], vcc
	s_cbranch_execz .LBB675_447
; %bb.444:
	v_bfe_u32 v34, v15, 16, 7
	s_movk_i32 s3, 0x7f
	v_cmp_ne_u32_e32 vcc, s3, v34
	v_mov_b32_e32 v24, 0x7f80
	s_and_saveexec_b64 s[8:9], vcc
	s_cbranch_execz .LBB675_446
; %bb.445:
	v_and_b32_e32 v24, 7, v22
	v_ffbh_u32_e32 v36, v24
	v_min_u32_e32 v38, 32, v36
	v_subrev_u32_e32 v36, 28, v38
	v_lshlrev_b64 v[36:37], v36, v[22:23]
	v_lshrrev_b32_e32 v35, 3, v34
	v_sub_u32_e32 v22, 29, v38
	v_and_b32_e32 v36, 7, v36
	v_cmp_gt_u32_e32 vcc, 8, v34
	v_mov_b32_e32 v34, 24
	v_cndmask_b32_e32 v22, v35, v22, vcc
	v_cndmask_b32_e32 v24, v24, v36, vcc
	v_lshlrev_b32_sdwa v34, v34, v15 dst_sel:DWORD dst_unused:UNUSED_PAD src0_sel:DWORD src1_sel:WORD_1
	v_bfrev_b32_e32 v35, 60
	v_lshlrev_b32_e32 v24, 20, v24
	v_and_b32_e32 v34, 0x80000000, v34
	v_lshl_add_u32 v22, v22, 23, v35
	v_or3_b32 v22, v34, v22, v24
	v_lshrrev_b32_e32 v24, 16, v22
.LBB675_446:
	s_or_b64 exec, exec, s[8:9]
.LBB675_447:
	s_or_b64 exec, exec, s[6:7]
.LBB675_448:
	s_or_b64 exec, exec, s[0:1]
	s_mov_b32 s0, -1
	s_mov_b32 s1, 0xffffff
	v_cmp_lt_u64_e32 vcc, s[0:1], v[14:15]
	s_and_saveexec_b64 s[0:1], vcc
	s_cbranch_execz .LBB675_454
; %bb.449:
	v_lshrrev_b32_e32 v14, 24, v15
	s_movk_i32 s3, 0x80
	v_cmp_ne_u32_e32 vcc, s3, v14
	v_mov_b32_e32 v23, 0xffff8000
	s_and_saveexec_b64 s[6:7], vcc
	s_cbranch_execz .LBB675_453
; %bb.450:
	v_bfe_u32 v15, v15, 24, 7
	s_movk_i32 s3, 0x7f
	v_cmp_ne_u32_e32 vcc, s3, v15
	v_mov_b32_e32 v23, 0x7f80
	s_and_saveexec_b64 s[8:9], vcc
	s_cbranch_execz .LBB675_452
; %bb.451:
	v_and_b32_e32 v34, 7, v14
	v_ffbh_u32_e32 v22, v34
	v_min_u32_e32 v36, 32, v22
	v_subrev_u32_e32 v22, 28, v36
	v_lshlrev_b64 v[22:23], v22, v[14:15]
	v_lshrrev_b32_e32 v35, 3, v15
	v_sub_u32_e32 v23, 29, v36
	v_and_b32_e32 v22, 7, v22
	v_cmp_gt_u32_e32 vcc, 8, v15
	v_cndmask_b32_e32 v15, v35, v23, vcc
	v_cndmask_b32_e32 v22, v34, v22, vcc
	v_lshlrev_b32_e32 v14, 24, v14
	v_bfrev_b32_e32 v23, 60
	v_lshlrev_b32_e32 v22, 20, v22
	v_and_b32_e32 v14, 0x80000000, v14
	v_lshl_add_u32 v15, v15, 23, v23
	v_or3_b32 v14, v14, v15, v22
	v_lshrrev_b32_e32 v23, 16, v14
.LBB675_452:
	s_or_b64 exec, exec, s[8:9]
.LBB675_453:
	s_or_b64 exec, exec, s[6:7]
.LBB675_454:
	s_or_b64 exec, exec, s[0:1]
	v_add_f32_e32 v14, 0x358637bd, v27
	v_div_scale_f32 v15, s[0:1], v14, v14, 1.0
	v_rcp_f32_e32 v22, v15
	v_div_scale_f32 v27, vcc, 1.0, v14, 1.0
	v_sub_f32_e32 v25, v25, v26
	v_fma_f32 v34, -v15, v22, 1.0
	v_fmac_f32_e32 v22, v34, v22
	v_mul_f32_e32 v34, v27, v22
	v_fma_f32 v35, -v15, v34, v27
	v_mul_f32_e32 v25, 0x3fb8aa3b, v25
	v_fmac_f32_e32 v34, v35, v22
	v_exp_f32_e32 v25, v25
	v_fma_f32 v15, -v15, v34, v27
	v_div_fmas_f32 v15, v15, v22, v34
	v_div_fixup_f32 v14, v15, v14, 1.0
	v_mul_f32_e32 v14, v25, v14
	v_pk_mul_f32 v[20:21], v[20:21], v[14:15] op_sel_hi:[1,0]
	v_pk_mul_f32 v[14:15], v[18:19], v[14:15] op_sel_hi:[1,0]
	v_bfe_u32 v18, v15, 16, 1
	v_bfe_u32 v19, v14, 16, 1
	s_movk_i32 s0, 0x7fff
	v_add3_u32 v14, v14, v19, s0
	v_add3_u32 v15, v15, v18, s0
	s_mov_b32 s1, 0x7060302
	v_perm_b32 v14, v15, v14, s1
	v_bfe_u32 v15, v21, 16, 1
	v_bfe_u32 v18, v20, 16, 1
	v_add3_u32 v18, v20, v18, s0
	v_add3_u32 v15, v21, v15, s0
	v_perm_b32 v15, v15, v18, s1
	s_mov_b32 s0, 0x5040100
	v_perm_b32 v19, v31, v30, s0
	v_perm_b32 v18, v28, v29, s0
	;; [unrolled: 1-line block ×4, first 2 shown]
	v_mfma_f32_4x4x4bf16_1k a[0:3], v[14:15], v[18:19], 0 cbsz:4
	v_mov_b32_e32 v21, 0
	v_mfma_f32_4x4x4bf16_1k a[0:3], v[14:15], v[22:23], a[0:3] cbsz:4 abid:1
	v_mov_b32_e32 v22, 0
	v_cmp_ne_u16_sdwa s[6:7], v16, v22 src0_sel:BYTE_0 src1_sel:DWORD
	s_and_saveexec_b64 s[0:1], s[6:7]
	s_cbranch_execz .LBB675_460
; %bb.455:
	s_movk_i32 s3, 0x80
	v_cmp_ne_u16_sdwa s[8:9], v16, s3 src0_sel:BYTE_0 src1_sel:DWORD
	v_mov_b32_e32 v21, 0xffff8000
	s_and_saveexec_b64 s[6:7], s[8:9]
	s_cbranch_execz .LBB675_459
; %bb.456:
	s_movk_i32 s3, 0x7f
	v_and_b32_e32 v18, 0x7f, v16
	v_cmp_ne_u32_e32 vcc, s3, v18
	v_mov_b32_e32 v21, 0x7f80
	s_and_saveexec_b64 s[8:9], vcc
	s_cbranch_execz .LBB675_458
; %bb.457:
	v_and_b32_e32 v19, 7, v16
	v_ffbh_u32_e32 v19, v19
	v_min_u32_e32 v19, 32, v19
	v_subrev_u32_e32 v21, 28, v19
	v_cmp_gt_u32_e32 vcc, 8, v18
	v_lshrrev_b32_e32 v20, 3, v18
	v_sub_u32_e32 v19, 29, v19
	v_cndmask_b32_e32 v18, 0, v21, vcc
	v_cndmask_b32_e32 v20, v20, v19, vcc
	v_lshlrev_b64 v[18:19], v18, v[16:17]
	v_lshlrev_b32_e32 v18, 20, v18
	v_lshlrev_b32_e32 v19, 24, v16
	v_bfrev_b32_e32 v21, 60
	v_and_b32_e32 v18, 0x700000, v18
	v_and_b32_e32 v19, 0x80000000, v19
	v_lshl_add_u32 v20, v20, 23, v21
	v_or3_b32 v18, v19, v20, v18
	v_lshrrev_b32_e32 v21, 16, v18
.LBB675_458:
	s_or_b64 exec, exec, s[8:9]
.LBB675_459:
	s_or_b64 exec, exec, s[6:7]
.LBB675_460:
	s_or_b64 exec, exec, s[0:1]
	v_lshrrev_b16_e32 v18, 8, v16
	v_cmp_ne_u16_e32 vcc, 0, v18
	s_and_saveexec_b64 s[0:1], vcc
	s_cbranch_execz .LBB675_466
; %bb.461:
	s_movk_i32 s3, 0x80
	v_cmp_ne_u16_e32 vcc, s3, v18
	v_mov_b32_e32 v22, 0xffff8000
	s_and_saveexec_b64 s[6:7], vcc
	s_cbranch_execz .LBB675_465
; %bb.462:
	s_movk_i32 s3, 0x7f
	v_and_b32_e32 v19, 0x7f, v18
	v_cmp_ne_u32_e32 vcc, s3, v19
	v_mov_b32_e32 v22, 0x7f80
	s_and_saveexec_b64 s[8:9], vcc
	s_cbranch_execz .LBB675_464
; %bb.463:
	v_and_b32_e32 v20, 7, v18
	v_ffbh_u32_e32 v22, v20
	v_min_u32_e32 v25, 32, v22
	v_subrev_u32_e32 v22, 28, v25
	v_lshlrev_b64 v[22:23], v22, v[18:19]
	v_lshrrev_b32_e32 v24, 3, v19
	v_sub_u32_e32 v18, 29, v25
	v_and_b32_e32 v22, 7, v22
	v_cmp_gt_u32_e32 vcc, 8, v19
	v_cndmask_b32_e32 v18, v24, v18, vcc
	v_cndmask_b32_e32 v19, v20, v22, vcc
	v_lshlrev_b32_e32 v20, 16, v16
	v_bfrev_b32_e32 v22, 60
	v_lshlrev_b32_e32 v19, 20, v19
	v_and_b32_e32 v20, 0x80000000, v20
	v_lshl_add_u32 v18, v18, 23, v22
	v_or3_b32 v18, v20, v18, v19
	v_lshrrev_b32_e32 v22, 16, v18
.LBB675_464:
	s_or_b64 exec, exec, s[8:9]
.LBB675_465:
	s_or_b64 exec, exec, s[6:7]
.LBB675_466:
	s_or_b64 exec, exec, s[0:1]
	s_movk_i32 s0, 0xff
	v_and_b32_sdwa v20, v16, s0 dst_sel:DWORD dst_unused:UNUSED_PAD src0_sel:WORD_1 src1_sel:DWORD
	v_lshrrev_b32_e32 v18, 16, v16
	v_cmp_ne_u16_e32 vcc, 0, v20
	v_mov_b32_e32 v19, 0
	v_mov_b32_e32 v23, 0
	s_and_saveexec_b64 s[0:1], vcc
	s_cbranch_execz .LBB675_472
; %bb.467:
	s_movk_i32 s3, 0x80
	v_cmp_ne_u16_e32 vcc, s3, v20
	v_mov_b32_e32 v23, 0xffff8000
	s_and_saveexec_b64 s[6:7], vcc
	s_cbranch_execz .LBB675_471
; %bb.468:
	v_bfe_u32 v20, v16, 16, 7
	s_movk_i32 s3, 0x7f
	v_cmp_ne_u32_e32 vcc, s3, v20
	v_mov_b32_e32 v23, 0x7f80
	s_and_saveexec_b64 s[8:9], vcc
	s_cbranch_execz .LBB675_470
; %bb.469:
	v_and_b32_e32 v23, 7, v18
	v_ffbh_u32_e32 v24, v23
	v_min_u32_e32 v27, 32, v24
	v_subrev_u32_e32 v24, 28, v27
	v_lshlrev_b64 v[24:25], v24, v[18:19]
	v_and_b32_e32 v24, 7, v24
	v_cmp_gt_u32_e32 vcc, 8, v20
	v_lshrrev_b32_e32 v26, 3, v20
	v_sub_u32_e32 v18, 29, v27
	v_cndmask_b32_e32 v20, v23, v24, vcc
	v_mov_b32_e32 v23, 24
	v_cndmask_b32_e32 v18, v26, v18, vcc
	v_lshlrev_b32_sdwa v23, v23, v16 dst_sel:DWORD dst_unused:UNUSED_PAD src0_sel:DWORD src1_sel:WORD_1
	v_bfrev_b32_e32 v24, 60
	v_lshlrev_b32_e32 v20, 20, v20
	v_and_b32_e32 v23, 0x80000000, v23
	v_lshl_add_u32 v18, v18, 23, v24
	v_or3_b32 v18, v23, v18, v20
	v_lshrrev_b32_e32 v23, 16, v18
.LBB675_470:
	s_or_b64 exec, exec, s[8:9]
.LBB675_471:
	s_or_b64 exec, exec, s[6:7]
.LBB675_472:
	s_or_b64 exec, exec, s[0:1]
	s_mov_b32 s0, 0xffffff
	v_cmp_lt_u32_e32 vcc, s0, v16
	v_mov_b32_e32 v24, 0
	s_and_saveexec_b64 s[0:1], vcc
	s_cbranch_execz .LBB675_478
; %bb.473:
	v_lshrrev_b32_e32 v18, 24, v16
	s_movk_i32 s3, 0x80
	v_cmp_ne_u32_e32 vcc, s3, v18
	v_mov_b32_e32 v24, 0xffff8000
	s_and_saveexec_b64 s[6:7], vcc
	s_cbranch_execz .LBB675_477
; %bb.474:
	v_bfe_u32 v20, v16, 24, 7
	s_movk_i32 s3, 0x7f
	v_cmp_ne_u32_e32 vcc, s3, v20
	v_mov_b32_e32 v24, 0x7f80
	s_and_saveexec_b64 s[8:9], vcc
	s_cbranch_execz .LBB675_476
; %bb.475:
	v_and_b32_e32 v26, 7, v18
	v_ffbh_u32_e32 v24, v26
	v_min_u32_e32 v28, 32, v24
	v_subrev_u32_e32 v24, 28, v28
	v_lshlrev_b64 v[24:25], v24, v[18:19]
	v_lshrrev_b32_e32 v27, 3, v20
	v_sub_u32_e32 v25, 29, v28
	v_and_b32_e32 v24, 7, v24
	v_cmp_gt_u32_e32 vcc, 8, v20
	v_cndmask_b32_e32 v20, v27, v25, vcc
	v_cndmask_b32_e32 v24, v26, v24, vcc
	v_lshlrev_b32_e32 v18, 24, v18
	v_bfrev_b32_e32 v25, 60
	v_lshlrev_b32_e32 v24, 20, v24
	v_and_b32_e32 v18, 0x80000000, v18
	v_lshl_add_u32 v20, v20, 23, v25
	v_or3_b32 v18, v18, v20, v24
	v_lshrrev_b32_e32 v24, 16, v18
.LBB675_476:
	s_or_b64 exec, exec, s[8:9]
.LBB675_477:
	s_or_b64 exec, exec, s[6:7]
.LBB675_478:
	s_or_b64 exec, exec, s[0:1]
	v_mov_b32_e32 v25, 0
	v_mov_b32_e32 v18, v17
	v_cmp_ne_u16_sdwa s[6:7], v17, v25 src0_sel:BYTE_0 src1_sel:DWORD
	v_mov_b32_e32 v26, 0
	s_and_saveexec_b64 s[0:1], s[6:7]
	s_cbranch_execz .LBB675_484
; %bb.479:
	s_movk_i32 s3, 0x80
	v_cmp_ne_u16_sdwa s[8:9], v17, s3 src0_sel:BYTE_0 src1_sel:DWORD
	v_mov_b32_e32 v26, 0xffff8000
	s_and_saveexec_b64 s[6:7], s[8:9]
	s_cbranch_execz .LBB675_483
; %bb.480:
	s_movk_i32 s3, 0x7f
	v_and_b32_e32 v20, 0x7f, v17
	v_cmp_ne_u32_e32 vcc, s3, v20
	v_mov_b32_e32 v26, 0x7f80
	s_and_saveexec_b64 s[8:9], vcc
	s_cbranch_execz .LBB675_482
; %bb.481:
	v_and_b32_e32 v26, 7, v17
	v_ffbh_u32_e32 v26, v26
	v_min_u32_e32 v26, 32, v26
	v_lshrrev_b32_e32 v27, 3, v20
	v_subrev_u32_e32 v28, 28, v26
	v_sub_u32_e32 v26, 29, v26
	v_cmp_gt_u32_e32 vcc, 8, v20
	v_cndmask_b32_e32 v20, v27, v26, vcc
	v_cndmask_b32_e32 v26, 0, v28, vcc
	v_lshlrev_b64 v[26:27], v26, v[18:19]
	v_lshlrev_b32_e32 v19, 20, v26
	v_lshlrev_b32_e32 v26, 24, v18
	v_bfrev_b32_e32 v27, 60
	v_and_b32_e32 v19, 0x700000, v19
	v_and_b32_e32 v26, 0x80000000, v26
	v_lshl_add_u32 v20, v20, 23, v27
	v_or3_b32 v19, v26, v20, v19
	v_lshrrev_b32_e32 v26, 16, v19
.LBB675_482:
	s_or_b64 exec, exec, s[8:9]
.LBB675_483:
	s_or_b64 exec, exec, s[6:7]
.LBB675_484:
	s_or_b64 exec, exec, s[0:1]
	v_lshrrev_b16_e32 v20, 8, v18
	v_cmp_ne_u16_e32 vcc, 0, v20
	s_and_saveexec_b64 s[0:1], vcc
	s_cbranch_execz .LBB675_490
; %bb.485:
	s_movk_i32 s3, 0x80
	v_cmp_ne_u16_e32 vcc, s3, v20
	v_mov_b32_e32 v25, 0xffff8000
	s_and_saveexec_b64 s[6:7], vcc
	s_cbranch_execz .LBB675_489
; %bb.486:
	s_movk_i32 s3, 0x7f
	v_and_b32_e32 v19, 0x7f, v20
	v_cmp_ne_u32_e32 vcc, s3, v19
	v_mov_b32_e32 v25, 0x7f80
	s_and_saveexec_b64 s[8:9], vcc
	s_cbranch_execz .LBB675_488
; %bb.487:
	v_and_b32_e32 v25, 7, v20
	v_ffbh_u32_e32 v28, v25
	v_min_u32_e32 v30, 32, v28
	v_subrev_u32_e32 v28, 28, v30
	v_lshlrev_b64 v[28:29], v28, v[20:21]
	v_lshrrev_b32_e32 v27, 3, v19
	v_sub_u32_e32 v20, 29, v30
	v_and_b32_e32 v28, 7, v28
	v_cmp_gt_u32_e32 vcc, 8, v19
	v_cndmask_b32_e32 v19, v27, v20, vcc
	v_cndmask_b32_e32 v20, v25, v28, vcc
	v_lshlrev_b32_e32 v18, 16, v18
	v_bfrev_b32_e32 v25, 60
	v_lshlrev_b32_e32 v20, 20, v20
	v_and_b32_e32 v18, 0x80000000, v18
	v_lshl_add_u32 v19, v19, 23, v25
	v_or3_b32 v18, v18, v19, v20
	v_lshrrev_b32_e32 v25, 16, v18
.LBB675_488:
	s_or_b64 exec, exec, s[8:9]
.LBB675_489:
	s_or_b64 exec, exec, s[6:7]
.LBB675_490:
	s_or_b64 exec, exec, s[0:1]
	s_movk_i32 s0, 0xff
	v_and_b32_sdwa v27, v17, s0 dst_sel:DWORD dst_unused:UNUSED_PAD src0_sel:WORD_1 src1_sel:DWORD
	v_lshrrev_b32_e32 v18, 16, v17
	v_cmp_ne_u16_e32 vcc, 0, v27
	v_mov_b32_e32 v19, 0
	v_mov_b32_e32 v20, 0
	s_and_saveexec_b64 s[0:1], vcc
	s_cbranch_execz .LBB675_496
; %bb.491:
	s_movk_i32 s3, 0x80
	v_cmp_ne_u16_e32 vcc, s3, v27
	v_mov_b32_e32 v20, 0xffff8000
	s_and_saveexec_b64 s[6:7], vcc
	s_cbranch_execz .LBB675_495
; %bb.492:
	v_bfe_u32 v27, v17, 16, 7
	s_movk_i32 s3, 0x7f
	v_cmp_ne_u32_e32 vcc, s3, v27
	v_mov_b32_e32 v20, 0x7f80
	s_and_saveexec_b64 s[8:9], vcc
	s_cbranch_execz .LBB675_494
; %bb.493:
	v_and_b32_e32 v20, 7, v18
	v_ffbh_u32_e32 v28, v20
	v_min_u32_e32 v31, 32, v28
	v_subrev_u32_e32 v28, 28, v31
	v_lshlrev_b64 v[28:29], v28, v[18:19]
	v_lshrrev_b32_e32 v30, 3, v27
	v_sub_u32_e32 v18, 29, v31
	v_and_b32_e32 v28, 7, v28
	v_cmp_gt_u32_e32 vcc, 8, v27
	v_mov_b32_e32 v27, 24
	v_cndmask_b32_e32 v18, v30, v18, vcc
	v_cndmask_b32_e32 v20, v20, v28, vcc
	v_lshlrev_b32_sdwa v27, v27, v17 dst_sel:DWORD dst_unused:UNUSED_PAD src0_sel:DWORD src1_sel:WORD_1
	v_bfrev_b32_e32 v28, 60
	v_lshlrev_b32_e32 v20, 20, v20
	v_and_b32_e32 v27, 0x80000000, v27
	v_lshl_add_u32 v18, v18, 23, v28
	v_or3_b32 v18, v27, v18, v20
	v_lshrrev_b32_e32 v20, 16, v18
.LBB675_494:
	s_or_b64 exec, exec, s[8:9]
.LBB675_495:
	s_or_b64 exec, exec, s[6:7]
.LBB675_496:
	s_or_b64 exec, exec, s[0:1]
	s_mov_b32 s0, -1
	s_mov_b32 s1, 0xffffff
	v_cmp_lt_u64_e32 vcc, s[0:1], v[16:17]
	s_and_saveexec_b64 s[0:1], vcc
	s_cbranch_execz .LBB675_502
; %bb.497:
	v_lshrrev_b32_e32 v16, 24, v17
	s_movk_i32 s3, 0x80
	v_cmp_ne_u32_e32 vcc, s3, v16
	v_mov_b32_e32 v19, 0xffff8000
	s_and_saveexec_b64 s[6:7], vcc
	s_cbranch_execz .LBB675_501
; %bb.498:
	v_bfe_u32 v17, v17, 24, 7
	s_movk_i32 s3, 0x7f
	v_cmp_ne_u32_e32 vcc, s3, v17
	v_mov_b32_e32 v19, 0x7f80
	s_and_saveexec_b64 s[8:9], vcc
	s_cbranch_execz .LBB675_500
; %bb.499:
	v_and_b32_e32 v27, 7, v16
	v_ffbh_u32_e32 v18, v27
	v_min_u32_e32 v29, 32, v18
	v_subrev_u32_e32 v18, 28, v29
	v_lshlrev_b64 v[18:19], v18, v[16:17]
	v_lshrrev_b32_e32 v28, 3, v17
	v_sub_u32_e32 v19, 29, v29
	v_and_b32_e32 v18, 7, v18
	v_cmp_gt_u32_e32 vcc, 8, v17
	v_cndmask_b32_e32 v17, v28, v19, vcc
	v_cndmask_b32_e32 v18, v27, v18, vcc
	v_lshlrev_b32_e32 v16, 24, v16
	v_bfrev_b32_e32 v19, 60
	v_lshlrev_b32_e32 v18, 20, v18
	v_and_b32_e32 v16, 0x80000000, v16
	v_lshl_add_u32 v17, v17, 23, v19
	v_or3_b32 v16, v16, v17, v18
	v_lshrrev_b32_e32 v19, 16, v16
.LBB675_500:
	s_or_b64 exec, exec, s[8:9]
.LBB675_501:
	s_or_b64 exec, exec, s[6:7]
.LBB675_502:
	s_or_b64 exec, exec, s[0:1]
	s_mov_b32 s0, 0x5040100
	v_perm_b32 v17, v24, v23, s0
	v_perm_b32 v16, v22, v21, s0
	;; [unrolled: 1-line block ×4, first 2 shown]
	v_mfma_f32_4x4x4bf16_1k a[0:3], v[14:15], v[16:17], a[0:3] cbsz:4 abid:2
	v_mov_b32_e32 v20, 0
	v_mfma_f32_4x4x4bf16_1k a[0:3], v[14:15], v[18:19], a[0:3] cbsz:4 abid:3
	v_mov_b32_e32 v19, 0
	s_waitcnt vmcnt(2)
	v_cmp_ne_u16_sdwa s[6:7], v10, v19 src0_sel:BYTE_0 src1_sel:DWORD
	s_and_saveexec_b64 s[0:1], s[6:7]
	s_cbranch_execz .LBB675_508
; %bb.503:
	s_movk_i32 s3, 0x80
	v_cmp_ne_u16_sdwa s[8:9], v10, s3 src0_sel:BYTE_0 src1_sel:DWORD
	v_mov_b32_e32 v20, 0xffff8000
	s_and_saveexec_b64 s[6:7], s[8:9]
	s_cbranch_execz .LBB675_507
; %bb.504:
	s_movk_i32 s3, 0x7f
	v_and_b32_e32 v16, 0x7f, v10
	v_cmp_ne_u32_e32 vcc, s3, v16
	v_mov_b32_e32 v20, 0x7f80
	s_and_saveexec_b64 s[8:9], vcc
	s_cbranch_execz .LBB675_506
; %bb.505:
	v_and_b32_e32 v17, 7, v10
	v_ffbh_u32_e32 v17, v17
	v_min_u32_e32 v17, 32, v17
	v_subrev_u32_e32 v20, 28, v17
	v_cmp_gt_u32_e32 vcc, 8, v16
	v_lshrrev_b32_e32 v18, 3, v16
	v_sub_u32_e32 v17, 29, v17
	v_cndmask_b32_e32 v16, 0, v20, vcc
	v_cndmask_b32_e32 v18, v18, v17, vcc
	v_lshlrev_b64 v[16:17], v16, v[10:11]
	v_lshlrev_b32_e32 v16, 20, v16
	v_lshlrev_b32_e32 v17, 24, v10
	v_bfrev_b32_e32 v20, 60
	v_and_b32_e32 v16, 0x700000, v16
	v_and_b32_e32 v17, 0x80000000, v17
	v_lshl_add_u32 v18, v18, 23, v20
	v_or3_b32 v16, v17, v18, v16
	v_lshrrev_b32_e32 v20, 16, v16
.LBB675_506:
	s_or_b64 exec, exec, s[8:9]
.LBB675_507:
	s_or_b64 exec, exec, s[6:7]
.LBB675_508:
	s_or_b64 exec, exec, s[0:1]
	v_lshrrev_b16_e32 v16, 8, v10
	v_cmp_ne_u16_e32 vcc, 0, v16
	s_and_saveexec_b64 s[0:1], vcc
	s_cbranch_execz .LBB675_514
; %bb.509:
	s_movk_i32 s3, 0x80
	v_cmp_ne_u16_e32 vcc, s3, v16
	v_mov_b32_e32 v19, 0xffff8000
	s_and_saveexec_b64 s[6:7], vcc
	s_cbranch_execz .LBB675_513
; %bb.510:
	s_movk_i32 s3, 0x7f
	v_and_b32_e32 v17, 0x7f, v16
	v_cmp_ne_u32_e32 vcc, s3, v17
	v_mov_b32_e32 v19, 0x7f80
	s_and_saveexec_b64 s[8:9], vcc
	s_cbranch_execz .LBB675_512
; %bb.511:
	v_and_b32_e32 v21, 7, v16
	v_ffbh_u32_e32 v18, v21
	v_min_u32_e32 v23, 32, v18
	v_subrev_u32_e32 v18, 28, v23
	v_lshlrev_b64 v[18:19], v18, v[16:17]
	v_lshrrev_b32_e32 v22, 3, v17
	v_sub_u32_e32 v16, 29, v23
	v_and_b32_e32 v18, 7, v18
	v_cmp_gt_u32_e32 vcc, 8, v17
	v_cndmask_b32_e32 v16, v22, v16, vcc
	v_cndmask_b32_e32 v17, v21, v18, vcc
	v_lshlrev_b32_e32 v18, 16, v10
	v_bfrev_b32_e32 v19, 60
	v_lshlrev_b32_e32 v17, 20, v17
	v_and_b32_e32 v18, 0x80000000, v18
	v_lshl_add_u32 v16, v16, 23, v19
	v_or3_b32 v16, v18, v16, v17
	v_lshrrev_b32_e32 v19, 16, v16
.LBB675_512:
	s_or_b64 exec, exec, s[8:9]
.LBB675_513:
	s_or_b64 exec, exec, s[6:7]
.LBB675_514:
	s_or_b64 exec, exec, s[0:1]
	s_movk_i32 s0, 0xff
	v_and_b32_sdwa v18, v10, s0 dst_sel:DWORD dst_unused:UNUSED_PAD src0_sel:WORD_1 src1_sel:DWORD
	v_lshrrev_b32_e32 v16, 16, v10
	v_cmp_ne_u16_e32 vcc, 0, v18
	v_mov_b32_e32 v17, 0
	v_mov_b32_e32 v21, 0
	s_and_saveexec_b64 s[0:1], vcc
	s_cbranch_execz .LBB675_520
; %bb.515:
	s_movk_i32 s3, 0x80
	v_cmp_ne_u16_e32 vcc, s3, v18
	v_mov_b32_e32 v21, 0xffff8000
	s_and_saveexec_b64 s[6:7], vcc
	s_cbranch_execz .LBB675_519
; %bb.516:
	v_bfe_u32 v18, v10, 16, 7
	s_movk_i32 s3, 0x7f
	v_cmp_ne_u32_e32 vcc, s3, v18
	v_mov_b32_e32 v21, 0x7f80
	s_and_saveexec_b64 s[8:9], vcc
	s_cbranch_execz .LBB675_518
; %bb.517:
	v_and_b32_e32 v21, 7, v16
	v_ffbh_u32_e32 v22, v21
	v_min_u32_e32 v25, 32, v22
	v_subrev_u32_e32 v22, 28, v25
	v_lshlrev_b64 v[22:23], v22, v[16:17]
	v_and_b32_e32 v22, 7, v22
	v_cmp_gt_u32_e32 vcc, 8, v18
	v_lshrrev_b32_e32 v24, 3, v18
	v_sub_u32_e32 v16, 29, v25
	v_cndmask_b32_e32 v18, v21, v22, vcc
	v_mov_b32_e32 v21, 24
	v_cndmask_b32_e32 v16, v24, v16, vcc
	v_lshlrev_b32_sdwa v21, v21, v10 dst_sel:DWORD dst_unused:UNUSED_PAD src0_sel:DWORD src1_sel:WORD_1
	v_bfrev_b32_e32 v22, 60
	v_lshlrev_b32_e32 v18, 20, v18
	v_and_b32_e32 v21, 0x80000000, v21
	v_lshl_add_u32 v16, v16, 23, v22
	v_or3_b32 v16, v21, v16, v18
	v_lshrrev_b32_e32 v21, 16, v16
.LBB675_518:
	s_or_b64 exec, exec, s[8:9]
.LBB675_519:
	s_or_b64 exec, exec, s[6:7]
.LBB675_520:
	s_or_b64 exec, exec, s[0:1]
	s_mov_b32 s0, 0xffffff
	v_cmp_lt_u32_e32 vcc, s0, v10
	v_mov_b32_e32 v22, 0
	s_and_saveexec_b64 s[0:1], vcc
	s_cbranch_execz .LBB675_526
; %bb.521:
	v_lshrrev_b32_e32 v16, 24, v10
	s_movk_i32 s3, 0x80
	v_cmp_ne_u32_e32 vcc, s3, v16
	v_mov_b32_e32 v22, 0xffff8000
	s_and_saveexec_b64 s[6:7], vcc
	s_cbranch_execz .LBB675_525
; %bb.522:
	v_bfe_u32 v18, v10, 24, 7
	s_movk_i32 s3, 0x7f
	v_cmp_ne_u32_e32 vcc, s3, v18
	v_mov_b32_e32 v22, 0x7f80
	s_and_saveexec_b64 s[8:9], vcc
	s_cbranch_execz .LBB675_524
; %bb.523:
	v_and_b32_e32 v24, 7, v16
	v_ffbh_u32_e32 v22, v24
	v_min_u32_e32 v26, 32, v22
	v_subrev_u32_e32 v22, 28, v26
	v_lshlrev_b64 v[22:23], v22, v[16:17]
	v_lshrrev_b32_e32 v25, 3, v18
	v_sub_u32_e32 v23, 29, v26
	v_and_b32_e32 v22, 7, v22
	v_cmp_gt_u32_e32 vcc, 8, v18
	v_cndmask_b32_e32 v18, v25, v23, vcc
	v_cndmask_b32_e32 v22, v24, v22, vcc
	v_lshlrev_b32_e32 v16, 24, v16
	v_bfrev_b32_e32 v23, 60
	v_lshlrev_b32_e32 v22, 20, v22
	v_and_b32_e32 v16, 0x80000000, v16
	v_lshl_add_u32 v18, v18, 23, v23
	v_or3_b32 v16, v16, v18, v22
	v_lshrrev_b32_e32 v22, 16, v16
.LBB675_524:
	s_or_b64 exec, exec, s[8:9]
.LBB675_525:
	s_or_b64 exec, exec, s[6:7]
.LBB675_526:
	s_or_b64 exec, exec, s[0:1]
	v_mov_b32_e32 v23, 0
	v_mov_b32_e32 v16, v11
	v_cmp_ne_u16_sdwa s[6:7], v11, v23 src0_sel:BYTE_0 src1_sel:DWORD
	v_mov_b32_e32 v24, 0
	s_and_saveexec_b64 s[0:1], s[6:7]
	s_cbranch_execz .LBB675_532
; %bb.527:
	s_movk_i32 s3, 0x80
	v_cmp_ne_u16_sdwa s[8:9], v11, s3 src0_sel:BYTE_0 src1_sel:DWORD
	v_mov_b32_e32 v24, 0xffff8000
	s_and_saveexec_b64 s[6:7], s[8:9]
	s_cbranch_execz .LBB675_531
; %bb.528:
	s_movk_i32 s3, 0x7f
	v_and_b32_e32 v18, 0x7f, v11
	v_cmp_ne_u32_e32 vcc, s3, v18
	v_mov_b32_e32 v24, 0x7f80
	s_and_saveexec_b64 s[8:9], vcc
	s_cbranch_execz .LBB675_530
; %bb.529:
	v_and_b32_e32 v24, 7, v11
	v_ffbh_u32_e32 v24, v24
	v_min_u32_e32 v24, 32, v24
	v_lshrrev_b32_e32 v25, 3, v18
	v_subrev_u32_e32 v26, 28, v24
	v_sub_u32_e32 v24, 29, v24
	v_cmp_gt_u32_e32 vcc, 8, v18
	v_cndmask_b32_e32 v18, v25, v24, vcc
	v_cndmask_b32_e32 v24, 0, v26, vcc
	v_lshlrev_b64 v[24:25], v24, v[16:17]
	v_lshlrev_b32_e32 v17, 20, v24
	v_lshlrev_b32_e32 v24, 24, v16
	v_bfrev_b32_e32 v25, 60
	v_and_b32_e32 v17, 0x700000, v17
	v_and_b32_e32 v24, 0x80000000, v24
	v_lshl_add_u32 v18, v18, 23, v25
	v_or3_b32 v17, v24, v18, v17
	v_lshrrev_b32_e32 v24, 16, v17
.LBB675_530:
	s_or_b64 exec, exec, s[8:9]
.LBB675_531:
	s_or_b64 exec, exec, s[6:7]
.LBB675_532:
	s_or_b64 exec, exec, s[0:1]
	v_lshrrev_b16_e32 v18, 8, v16
	v_cmp_ne_u16_e32 vcc, 0, v18
	s_and_saveexec_b64 s[0:1], vcc
	s_cbranch_execz .LBB675_538
; %bb.533:
	s_movk_i32 s3, 0x80
	v_cmp_ne_u16_e32 vcc, s3, v18
	v_mov_b32_e32 v23, 0xffff8000
	s_and_saveexec_b64 s[6:7], vcc
	s_cbranch_execz .LBB675_537
; %bb.534:
	s_movk_i32 s3, 0x7f
	v_and_b32_e32 v17, 0x7f, v18
	v_cmp_ne_u32_e32 vcc, s3, v17
	v_mov_b32_e32 v23, 0x7f80
	s_and_saveexec_b64 s[8:9], vcc
	s_cbranch_execz .LBB675_536
; %bb.535:
	v_and_b32_e32 v23, 7, v18
	v_ffbh_u32_e32 v26, v23
	v_min_u32_e32 v28, 32, v26
	v_subrev_u32_e32 v26, 28, v28
	v_lshlrev_b64 v[26:27], v26, v[18:19]
	v_lshrrev_b32_e32 v25, 3, v17
	v_sub_u32_e32 v18, 29, v28
	v_and_b32_e32 v26, 7, v26
	v_cmp_gt_u32_e32 vcc, 8, v17
	v_cndmask_b32_e32 v17, v25, v18, vcc
	v_cndmask_b32_e32 v18, v23, v26, vcc
	v_lshlrev_b32_e32 v16, 16, v16
	v_bfrev_b32_e32 v23, 60
	v_lshlrev_b32_e32 v18, 20, v18
	v_and_b32_e32 v16, 0x80000000, v16
	v_lshl_add_u32 v17, v17, 23, v23
	v_or3_b32 v16, v16, v17, v18
	v_lshrrev_b32_e32 v23, 16, v16
.LBB675_536:
	s_or_b64 exec, exec, s[8:9]
.LBB675_537:
	s_or_b64 exec, exec, s[6:7]
.LBB675_538:
	s_or_b64 exec, exec, s[0:1]
	s_movk_i32 s0, 0xff
	v_and_b32_sdwa v25, v11, s0 dst_sel:DWORD dst_unused:UNUSED_PAD src0_sel:WORD_1 src1_sel:DWORD
	v_lshrrev_b32_e32 v16, 16, v11
	v_cmp_ne_u16_e32 vcc, 0, v25
	v_mov_b32_e32 v17, 0
	v_mov_b32_e32 v18, 0
	s_and_saveexec_b64 s[0:1], vcc
	s_cbranch_execz .LBB675_544
; %bb.539:
	s_movk_i32 s3, 0x80
	v_cmp_ne_u16_e32 vcc, s3, v25
	v_mov_b32_e32 v18, 0xffff8000
	s_and_saveexec_b64 s[6:7], vcc
	s_cbranch_execz .LBB675_543
; %bb.540:
	v_bfe_u32 v25, v11, 16, 7
	s_movk_i32 s3, 0x7f
	v_cmp_ne_u32_e32 vcc, s3, v25
	v_mov_b32_e32 v18, 0x7f80
	s_and_saveexec_b64 s[8:9], vcc
	s_cbranch_execz .LBB675_542
; %bb.541:
	v_and_b32_e32 v18, 7, v16
	v_ffbh_u32_e32 v26, v18
	v_min_u32_e32 v29, 32, v26
	v_subrev_u32_e32 v26, 28, v29
	v_lshlrev_b64 v[26:27], v26, v[16:17]
	v_lshrrev_b32_e32 v28, 3, v25
	v_sub_u32_e32 v16, 29, v29
	v_and_b32_e32 v26, 7, v26
	v_cmp_gt_u32_e32 vcc, 8, v25
	v_mov_b32_e32 v25, 24
	v_cndmask_b32_e32 v16, v28, v16, vcc
	v_cndmask_b32_e32 v18, v18, v26, vcc
	v_lshlrev_b32_sdwa v25, v25, v11 dst_sel:DWORD dst_unused:UNUSED_PAD src0_sel:DWORD src1_sel:WORD_1
	v_bfrev_b32_e32 v26, 60
	v_lshlrev_b32_e32 v18, 20, v18
	v_and_b32_e32 v25, 0x80000000, v25
	v_lshl_add_u32 v16, v16, 23, v26
	v_or3_b32 v16, v25, v16, v18
	v_lshrrev_b32_e32 v18, 16, v16
.LBB675_542:
	s_or_b64 exec, exec, s[8:9]
.LBB675_543:
	s_or_b64 exec, exec, s[6:7]
.LBB675_544:
	s_or_b64 exec, exec, s[0:1]
	s_mov_b32 s0, -1
	s_mov_b32 s1, 0xffffff
	v_cmp_lt_u64_e32 vcc, s[0:1], v[10:11]
	s_and_saveexec_b64 s[0:1], vcc
	s_cbranch_execz .LBB675_550
; %bb.545:
	v_lshrrev_b32_e32 v10, 24, v11
	s_movk_i32 s3, 0x80
	v_cmp_ne_u32_e32 vcc, s3, v10
	v_mov_b32_e32 v17, 0xffff8000
	s_and_saveexec_b64 s[6:7], vcc
	s_cbranch_execz .LBB675_549
; %bb.546:
	v_bfe_u32 v11, v11, 24, 7
	s_movk_i32 s3, 0x7f
	v_cmp_ne_u32_e32 vcc, s3, v11
	v_mov_b32_e32 v17, 0x7f80
	s_and_saveexec_b64 s[8:9], vcc
	s_cbranch_execz .LBB675_548
; %bb.547:
	v_and_b32_e32 v25, 7, v10
	v_ffbh_u32_e32 v16, v25
	v_min_u32_e32 v27, 32, v16
	v_subrev_u32_e32 v16, 28, v27
	v_lshlrev_b64 v[16:17], v16, v[10:11]
	v_lshrrev_b32_e32 v26, 3, v11
	v_sub_u32_e32 v17, 29, v27
	v_and_b32_e32 v16, 7, v16
	v_cmp_gt_u32_e32 vcc, 8, v11
	v_cndmask_b32_e32 v11, v26, v17, vcc
	v_cndmask_b32_e32 v16, v25, v16, vcc
	v_lshlrev_b32_e32 v10, 24, v10
	v_bfrev_b32_e32 v17, 60
	v_lshlrev_b32_e32 v16, 20, v16
	v_and_b32_e32 v10, 0x80000000, v10
	v_lshl_add_u32 v11, v11, 23, v17
	v_or3_b32 v10, v10, v11, v16
	v_lshrrev_b32_e32 v17, 16, v10
.LBB675_548:
	s_or_b64 exec, exec, s[8:9]
.LBB675_549:
	s_or_b64 exec, exec, s[6:7]
.LBB675_550:
	s_or_b64 exec, exec, s[0:1]
	s_mov_b32 s0, 0x5040100
	v_perm_b32 v11, v22, v21, s0
	v_perm_b32 v10, v19, v20, s0
	;; [unrolled: 1-line block ×4, first 2 shown]
	v_mfma_f32_4x4x4bf16_1k a[0:3], v[14:15], v[10:11], a[0:3] cbsz:4 abid:4
	v_mov_b32_e32 v18, 0
	v_mfma_f32_4x4x4bf16_1k a[0:3], v[14:15], v[16:17], a[0:3] cbsz:4 abid:5
	v_mov_b32_e32 v17, 0
	v_cmp_ne_u16_sdwa s[6:7], v12, v17 src0_sel:BYTE_0 src1_sel:DWORD
	s_and_saveexec_b64 s[0:1], s[6:7]
	s_cbranch_execz .LBB675_556
; %bb.551:
	s_movk_i32 s3, 0x80
	v_cmp_ne_u16_sdwa s[8:9], v12, s3 src0_sel:BYTE_0 src1_sel:DWORD
	v_mov_b32_e32 v18, 0xffff8000
	s_and_saveexec_b64 s[6:7], s[8:9]
	s_cbranch_execz .LBB675_555
; %bb.552:
	s_movk_i32 s3, 0x7f
	v_and_b32_e32 v10, 0x7f, v12
	v_cmp_ne_u32_e32 vcc, s3, v10
	v_mov_b32_e32 v18, 0x7f80
	s_and_saveexec_b64 s[8:9], vcc
	s_cbranch_execz .LBB675_554
; %bb.553:
	v_and_b32_e32 v11, 7, v12
	v_ffbh_u32_e32 v11, v11
	v_min_u32_e32 v11, 32, v11
	v_subrev_u32_e32 v18, 28, v11
	v_cmp_gt_u32_e32 vcc, 8, v10
	v_lshrrev_b32_e32 v16, 3, v10
	v_sub_u32_e32 v11, 29, v11
	v_cndmask_b32_e32 v10, 0, v18, vcc
	v_cndmask_b32_e32 v16, v16, v11, vcc
	v_lshlrev_b64 v[10:11], v10, v[12:13]
	v_lshlrev_b32_e32 v10, 20, v10
	v_lshlrev_b32_e32 v11, 24, v12
	v_bfrev_b32_e32 v18, 60
	v_and_b32_e32 v10, 0x700000, v10
	v_and_b32_e32 v11, 0x80000000, v11
	v_lshl_add_u32 v16, v16, 23, v18
	v_or3_b32 v10, v11, v16, v10
	v_lshrrev_b32_e32 v18, 16, v10
.LBB675_554:
	s_or_b64 exec, exec, s[8:9]
.LBB675_555:
	s_or_b64 exec, exec, s[6:7]
.LBB675_556:
	s_or_b64 exec, exec, s[0:1]
	v_lshrrev_b16_e32 v10, 8, v12
	v_cmp_ne_u16_e32 vcc, 0, v10
	s_and_saveexec_b64 s[0:1], vcc
	s_cbranch_execz .LBB675_562
; %bb.557:
	s_movk_i32 s3, 0x80
	v_cmp_ne_u16_e32 vcc, s3, v10
	v_mov_b32_e32 v17, 0xffff8000
	s_and_saveexec_b64 s[6:7], vcc
	s_cbranch_execz .LBB675_561
; %bb.558:
	s_movk_i32 s3, 0x7f
	v_and_b32_e32 v11, 0x7f, v10
	v_cmp_ne_u32_e32 vcc, s3, v11
	v_mov_b32_e32 v17, 0x7f80
	s_and_saveexec_b64 s[8:9], vcc
	s_cbranch_execz .LBB675_560
; %bb.559:
	v_and_b32_e32 v19, 7, v10
	v_ffbh_u32_e32 v16, v19
	v_min_u32_e32 v21, 32, v16
	v_subrev_u32_e32 v16, 28, v21
	v_lshlrev_b64 v[16:17], v16, v[10:11]
	v_lshrrev_b32_e32 v20, 3, v11
	v_sub_u32_e32 v10, 29, v21
	v_and_b32_e32 v16, 7, v16
	v_cmp_gt_u32_e32 vcc, 8, v11
	v_cndmask_b32_e32 v10, v20, v10, vcc
	v_cndmask_b32_e32 v11, v19, v16, vcc
	v_lshlrev_b32_e32 v16, 16, v12
	v_bfrev_b32_e32 v17, 60
	v_lshlrev_b32_e32 v11, 20, v11
	v_and_b32_e32 v16, 0x80000000, v16
	v_lshl_add_u32 v10, v10, 23, v17
	v_or3_b32 v10, v16, v10, v11
	v_lshrrev_b32_e32 v17, 16, v10
.LBB675_560:
	s_or_b64 exec, exec, s[8:9]
.LBB675_561:
	s_or_b64 exec, exec, s[6:7]
.LBB675_562:
	s_or_b64 exec, exec, s[0:1]
	s_movk_i32 s0, 0xff
	v_and_b32_sdwa v16, v12, s0 dst_sel:DWORD dst_unused:UNUSED_PAD src0_sel:WORD_1 src1_sel:DWORD
	v_lshrrev_b32_e32 v10, 16, v12
	v_cmp_ne_u16_e32 vcc, 0, v16
	v_mov_b32_e32 v11, 0
	v_mov_b32_e32 v19, 0
	s_and_saveexec_b64 s[0:1], vcc
	s_cbranch_execz .LBB675_568
; %bb.563:
	s_movk_i32 s3, 0x80
	v_cmp_ne_u16_e32 vcc, s3, v16
	v_mov_b32_e32 v19, 0xffff8000
	s_and_saveexec_b64 s[6:7], vcc
	s_cbranch_execz .LBB675_567
; %bb.564:
	v_bfe_u32 v16, v12, 16, 7
	s_movk_i32 s3, 0x7f
	v_cmp_ne_u32_e32 vcc, s3, v16
	v_mov_b32_e32 v19, 0x7f80
	s_and_saveexec_b64 s[8:9], vcc
	s_cbranch_execz .LBB675_566
; %bb.565:
	v_and_b32_e32 v19, 7, v10
	v_ffbh_u32_e32 v20, v19
	v_min_u32_e32 v23, 32, v20
	v_subrev_u32_e32 v20, 28, v23
	v_lshlrev_b64 v[20:21], v20, v[10:11]
	v_and_b32_e32 v20, 7, v20
	v_cmp_gt_u32_e32 vcc, 8, v16
	v_lshrrev_b32_e32 v22, 3, v16
	v_sub_u32_e32 v10, 29, v23
	v_cndmask_b32_e32 v16, v19, v20, vcc
	v_mov_b32_e32 v19, 24
	v_cndmask_b32_e32 v10, v22, v10, vcc
	v_lshlrev_b32_sdwa v19, v19, v12 dst_sel:DWORD dst_unused:UNUSED_PAD src0_sel:DWORD src1_sel:WORD_1
	v_bfrev_b32_e32 v20, 60
	v_lshlrev_b32_e32 v16, 20, v16
	v_and_b32_e32 v19, 0x80000000, v19
	v_lshl_add_u32 v10, v10, 23, v20
	v_or3_b32 v10, v19, v10, v16
	v_lshrrev_b32_e32 v19, 16, v10
.LBB675_566:
	s_or_b64 exec, exec, s[8:9]
.LBB675_567:
	s_or_b64 exec, exec, s[6:7]
.LBB675_568:
	s_or_b64 exec, exec, s[0:1]
	s_mov_b32 s0, 0xffffff
	v_cmp_lt_u32_e32 vcc, s0, v12
	v_mov_b32_e32 v20, 0
	s_and_saveexec_b64 s[0:1], vcc
	s_cbranch_execz .LBB675_574
; %bb.569:
	v_lshrrev_b32_e32 v10, 24, v12
	s_movk_i32 s3, 0x80
	v_cmp_ne_u32_e32 vcc, s3, v10
	v_mov_b32_e32 v20, 0xffff8000
	s_and_saveexec_b64 s[6:7], vcc
	s_cbranch_execz .LBB675_573
; %bb.570:
	v_bfe_u32 v16, v12, 24, 7
	s_movk_i32 s3, 0x7f
	v_cmp_ne_u32_e32 vcc, s3, v16
	v_mov_b32_e32 v20, 0x7f80
	s_and_saveexec_b64 s[8:9], vcc
	s_cbranch_execz .LBB675_572
; %bb.571:
	v_and_b32_e32 v22, 7, v10
	v_ffbh_u32_e32 v20, v22
	v_min_u32_e32 v24, 32, v20
	v_subrev_u32_e32 v20, 28, v24
	v_lshlrev_b64 v[20:21], v20, v[10:11]
	v_lshrrev_b32_e32 v23, 3, v16
	v_sub_u32_e32 v21, 29, v24
	v_and_b32_e32 v20, 7, v20
	v_cmp_gt_u32_e32 vcc, 8, v16
	v_cndmask_b32_e32 v16, v23, v21, vcc
	v_cndmask_b32_e32 v20, v22, v20, vcc
	v_lshlrev_b32_e32 v10, 24, v10
	v_bfrev_b32_e32 v21, 60
	v_lshlrev_b32_e32 v20, 20, v20
	v_and_b32_e32 v10, 0x80000000, v10
	v_lshl_add_u32 v16, v16, 23, v21
	v_or3_b32 v10, v10, v16, v20
	v_lshrrev_b32_e32 v20, 16, v10
.LBB675_572:
	s_or_b64 exec, exec, s[8:9]
.LBB675_573:
	s_or_b64 exec, exec, s[6:7]
.LBB675_574:
	s_or_b64 exec, exec, s[0:1]
	v_mov_b32_e32 v21, 0
	v_mov_b32_e32 v10, v13
	v_cmp_ne_u16_sdwa s[6:7], v13, v21 src0_sel:BYTE_0 src1_sel:DWORD
	v_mov_b32_e32 v22, 0
	s_and_saveexec_b64 s[0:1], s[6:7]
	s_cbranch_execz .LBB675_580
; %bb.575:
	s_movk_i32 s3, 0x80
	v_cmp_ne_u16_sdwa s[8:9], v13, s3 src0_sel:BYTE_0 src1_sel:DWORD
	v_mov_b32_e32 v22, 0xffff8000
	s_and_saveexec_b64 s[6:7], s[8:9]
	s_cbranch_execz .LBB675_579
; %bb.576:
	s_movk_i32 s3, 0x7f
	v_and_b32_e32 v16, 0x7f, v13
	v_cmp_ne_u32_e32 vcc, s3, v16
	v_mov_b32_e32 v22, 0x7f80
	s_and_saveexec_b64 s[8:9], vcc
	s_cbranch_execz .LBB675_578
; %bb.577:
	v_and_b32_e32 v22, 7, v13
	v_ffbh_u32_e32 v22, v22
	v_min_u32_e32 v22, 32, v22
	v_lshrrev_b32_e32 v23, 3, v16
	v_subrev_u32_e32 v24, 28, v22
	v_sub_u32_e32 v22, 29, v22
	v_cmp_gt_u32_e32 vcc, 8, v16
	v_cndmask_b32_e32 v16, v23, v22, vcc
	v_cndmask_b32_e32 v22, 0, v24, vcc
	v_lshlrev_b64 v[22:23], v22, v[10:11]
	v_lshlrev_b32_e32 v11, 20, v22
	v_lshlrev_b32_e32 v22, 24, v10
	v_bfrev_b32_e32 v23, 60
	v_and_b32_e32 v11, 0x700000, v11
	v_and_b32_e32 v22, 0x80000000, v22
	v_lshl_add_u32 v16, v16, 23, v23
	v_or3_b32 v11, v22, v16, v11
	v_lshrrev_b32_e32 v22, 16, v11
.LBB675_578:
	s_or_b64 exec, exec, s[8:9]
.LBB675_579:
	s_or_b64 exec, exec, s[6:7]
.LBB675_580:
	s_or_b64 exec, exec, s[0:1]
	v_lshrrev_b16_e32 v16, 8, v10
	v_cmp_ne_u16_e32 vcc, 0, v16
	s_and_saveexec_b64 s[0:1], vcc
	s_cbranch_execz .LBB675_586
; %bb.581:
	s_movk_i32 s3, 0x80
	v_cmp_ne_u16_e32 vcc, s3, v16
	v_mov_b32_e32 v21, 0xffff8000
	s_and_saveexec_b64 s[6:7], vcc
	s_cbranch_execz .LBB675_585
; %bb.582:
	s_movk_i32 s3, 0x7f
	v_and_b32_e32 v11, 0x7f, v16
	v_cmp_ne_u32_e32 vcc, s3, v11
	v_mov_b32_e32 v21, 0x7f80
	s_and_saveexec_b64 s[8:9], vcc
	s_cbranch_execz .LBB675_584
; %bb.583:
	v_and_b32_e32 v21, 7, v16
	v_ffbh_u32_e32 v24, v21
	v_min_u32_e32 v26, 32, v24
	v_subrev_u32_e32 v24, 28, v26
	v_lshlrev_b64 v[24:25], v24, v[16:17]
	v_lshrrev_b32_e32 v23, 3, v11
	v_sub_u32_e32 v16, 29, v26
	v_and_b32_e32 v24, 7, v24
	v_cmp_gt_u32_e32 vcc, 8, v11
	v_cndmask_b32_e32 v11, v23, v16, vcc
	v_cndmask_b32_e32 v16, v21, v24, vcc
	v_lshlrev_b32_e32 v10, 16, v10
	v_bfrev_b32_e32 v21, 60
	v_lshlrev_b32_e32 v16, 20, v16
	v_and_b32_e32 v10, 0x80000000, v10
	v_lshl_add_u32 v11, v11, 23, v21
	v_or3_b32 v10, v10, v11, v16
	v_lshrrev_b32_e32 v21, 16, v10
.LBB675_584:
	s_or_b64 exec, exec, s[8:9]
.LBB675_585:
	s_or_b64 exec, exec, s[6:7]
.LBB675_586:
	s_or_b64 exec, exec, s[0:1]
	s_movk_i32 s0, 0xff
	v_and_b32_sdwa v23, v13, s0 dst_sel:DWORD dst_unused:UNUSED_PAD src0_sel:WORD_1 src1_sel:DWORD
	v_lshrrev_b32_e32 v10, 16, v13
	v_cmp_ne_u16_e32 vcc, 0, v23
	v_mov_b32_e32 v11, 0
	v_mov_b32_e32 v16, 0
	s_and_saveexec_b64 s[0:1], vcc
	s_cbranch_execz .LBB675_592
; %bb.587:
	s_movk_i32 s3, 0x80
	v_cmp_ne_u16_e32 vcc, s3, v23
	v_mov_b32_e32 v16, 0xffff8000
	s_and_saveexec_b64 s[6:7], vcc
	s_cbranch_execz .LBB675_591
; %bb.588:
	v_bfe_u32 v23, v13, 16, 7
	s_movk_i32 s3, 0x7f
	v_cmp_ne_u32_e32 vcc, s3, v23
	v_mov_b32_e32 v16, 0x7f80
	s_and_saveexec_b64 s[8:9], vcc
	s_cbranch_execz .LBB675_590
; %bb.589:
	v_and_b32_e32 v16, 7, v10
	v_ffbh_u32_e32 v24, v16
	v_min_u32_e32 v27, 32, v24
	v_subrev_u32_e32 v24, 28, v27
	v_lshlrev_b64 v[24:25], v24, v[10:11]
	v_lshrrev_b32_e32 v26, 3, v23
	v_sub_u32_e32 v10, 29, v27
	v_and_b32_e32 v24, 7, v24
	v_cmp_gt_u32_e32 vcc, 8, v23
	v_mov_b32_e32 v23, 24
	v_cndmask_b32_e32 v10, v26, v10, vcc
	v_cndmask_b32_e32 v16, v16, v24, vcc
	v_lshlrev_b32_sdwa v23, v23, v13 dst_sel:DWORD dst_unused:UNUSED_PAD src0_sel:DWORD src1_sel:WORD_1
	v_bfrev_b32_e32 v24, 60
	v_lshlrev_b32_e32 v16, 20, v16
	v_and_b32_e32 v23, 0x80000000, v23
	v_lshl_add_u32 v10, v10, 23, v24
	v_or3_b32 v10, v23, v10, v16
	v_lshrrev_b32_e32 v16, 16, v10
.LBB675_590:
	s_or_b64 exec, exec, s[8:9]
.LBB675_591:
	s_or_b64 exec, exec, s[6:7]
.LBB675_592:
	s_or_b64 exec, exec, s[0:1]
	s_mov_b32 s0, -1
	s_mov_b32 s1, 0xffffff
	v_cmp_lt_u64_e32 vcc, s[0:1], v[12:13]
	s_and_saveexec_b64 s[0:1], vcc
	s_cbranch_execz .LBB675_598
; %bb.593:
	v_lshrrev_b32_e32 v10, 24, v13
	s_movk_i32 s3, 0x80
	v_cmp_ne_u32_e32 vcc, s3, v10
	v_mov_b32_e32 v11, 0xffff8000
	s_and_saveexec_b64 s[6:7], vcc
	s_cbranch_execz .LBB675_597
; %bb.594:
	v_bfe_u32 v12, v13, 24, 7
	s_movk_i32 s3, 0x7f
	v_cmp_ne_u32_e32 vcc, s3, v12
	v_mov_b32_e32 v11, 0x7f80
	s_and_saveexec_b64 s[8:9], vcc
	s_cbranch_execz .LBB675_596
; %bb.595:
	v_and_b32_e32 v11, 7, v10
	v_ffbh_u32_e32 v23, v11
	v_min_u32_e32 v23, 32, v23
	v_subrev_u32_e32 v24, 28, v23
	v_lshlrev_b64 v[24:25], v24, v[10:11]
	v_lshrrev_b32_e32 v13, 3, v12
	v_sub_u32_e32 v23, 29, v23
	v_and_b32_e32 v24, 7, v24
	v_cmp_gt_u32_e32 vcc, 8, v12
	v_cndmask_b32_e32 v12, v13, v23, vcc
	v_cndmask_b32_e32 v11, v11, v24, vcc
	v_lshlrev_b32_e32 v10, 24, v10
	v_bfrev_b32_e32 v13, 60
	v_lshlrev_b32_e32 v11, 20, v11
	v_and_b32_e32 v10, 0x80000000, v10
	v_lshl_add_u32 v12, v12, 23, v13
	v_or3_b32 v10, v10, v12, v11
	v_lshrrev_b32_e32 v11, 16, v10
.LBB675_596:
	s_or_b64 exec, exec, s[8:9]
.LBB675_597:
	s_or_b64 exec, exec, s[6:7]
.LBB675_598:
	s_or_b64 exec, exec, s[0:1]
	s_mov_b32 s0, 0x5040100
	v_perm_b32 v13, v20, v19, s0
	v_perm_b32 v12, v17, v18, s0
	;; [unrolled: 1-line block ×4, first 2 shown]
	v_mfma_f32_4x4x4bf16_1k a[0:3], v[14:15], v[12:13], a[0:3] cbsz:4 abid:6
	v_mov_b32_e32 v13, 0
	v_mfma_f32_4x4x4bf16_1k a[0:3], v[14:15], v[10:11], a[0:3] cbsz:4 abid:7
	s_waitcnt vmcnt(1)
	v_cmp_ne_u16_sdwa s[6:7], v6, v13 src0_sel:BYTE_0 src1_sel:DWORD
	v_mov_b32_e32 v16, 0
	s_and_saveexec_b64 s[0:1], s[6:7]
	s_cbranch_execz .LBB675_604
; %bb.599:
	s_movk_i32 s3, 0x80
	v_cmp_ne_u16_sdwa s[8:9], v6, s3 src0_sel:BYTE_0 src1_sel:DWORD
	v_mov_b32_e32 v16, 0xffff8000
	s_and_saveexec_b64 s[6:7], s[8:9]
	s_cbranch_execz .LBB675_603
; %bb.600:
	s_movk_i32 s3, 0x7f
	v_and_b32_e32 v10, 0x7f, v6
	v_cmp_ne_u32_e32 vcc, s3, v10
	v_mov_b32_e32 v16, 0x7f80
	s_and_saveexec_b64 s[8:9], vcc
	s_cbranch_execz .LBB675_602
; %bb.601:
	v_and_b32_e32 v11, 7, v6
	v_ffbh_u32_e32 v11, v11
	v_min_u32_e32 v11, 32, v11
	v_subrev_u32_e32 v16, 28, v11
	v_cmp_gt_u32_e32 vcc, 8, v10
	v_lshrrev_b32_e32 v12, 3, v10
	v_sub_u32_e32 v11, 29, v11
	v_cndmask_b32_e32 v10, 0, v16, vcc
	v_cndmask_b32_e32 v12, v12, v11, vcc
	v_lshlrev_b64 v[10:11], v10, v[6:7]
	v_lshlrev_b32_e32 v10, 20, v10
	v_lshlrev_b32_e32 v11, 24, v6
	v_bfrev_b32_e32 v16, 60
	v_and_b32_e32 v10, 0x700000, v10
	v_and_b32_e32 v11, 0x80000000, v11
	v_lshl_add_u32 v12, v12, 23, v16
	v_or3_b32 v10, v11, v12, v10
	v_lshrrev_b32_e32 v16, 16, v10
.LBB675_602:
	s_or_b64 exec, exec, s[8:9]
.LBB675_603:
	s_or_b64 exec, exec, s[6:7]
.LBB675_604:
	s_or_b64 exec, exec, s[0:1]
	v_lshrrev_b16_e32 v10, 8, v6
	v_cmp_ne_u16_e32 vcc, 0, v10
	s_and_saveexec_b64 s[0:1], vcc
	s_cbranch_execz .LBB675_610
; %bb.605:
	s_movk_i32 s3, 0x80
	v_cmp_ne_u16_e32 vcc, s3, v10
	v_mov_b32_e32 v13, 0xffff8000
	s_and_saveexec_b64 s[6:7], vcc
	s_cbranch_execz .LBB675_609
; %bb.606:
	s_movk_i32 s3, 0x7f
	v_and_b32_e32 v11, 0x7f, v10
	v_cmp_ne_u32_e32 vcc, s3, v11
	v_mov_b32_e32 v13, 0x7f80
	s_and_saveexec_b64 s[8:9], vcc
	s_cbranch_execz .LBB675_608
; %bb.607:
	v_and_b32_e32 v17, 7, v10
	v_ffbh_u32_e32 v12, v17
	v_min_u32_e32 v19, 32, v12
	v_subrev_u32_e32 v12, 28, v19
	v_lshlrev_b64 v[12:13], v12, v[10:11]
	v_lshrrev_b32_e32 v18, 3, v11
	v_sub_u32_e32 v10, 29, v19
	v_and_b32_e32 v12, 7, v12
	v_cmp_gt_u32_e32 vcc, 8, v11
	v_cndmask_b32_e32 v10, v18, v10, vcc
	v_cndmask_b32_e32 v11, v17, v12, vcc
	v_lshlrev_b32_e32 v12, 16, v6
	v_bfrev_b32_e32 v13, 60
	v_lshlrev_b32_e32 v11, 20, v11
	v_and_b32_e32 v12, 0x80000000, v12
	v_lshl_add_u32 v10, v10, 23, v13
	v_or3_b32 v10, v12, v10, v11
	v_lshrrev_b32_e32 v13, 16, v10
.LBB675_608:
	s_or_b64 exec, exec, s[8:9]
.LBB675_609:
	s_or_b64 exec, exec, s[6:7]
.LBB675_610:
	s_or_b64 exec, exec, s[0:1]
	s_movk_i32 s0, 0xff
	v_and_b32_sdwa v12, v6, s0 dst_sel:DWORD dst_unused:UNUSED_PAD src0_sel:WORD_1 src1_sel:DWORD
	v_lshrrev_b32_e32 v10, 16, v6
	v_cmp_ne_u16_e32 vcc, 0, v12
	v_mov_b32_e32 v11, 0
	v_mov_b32_e32 v17, 0
	s_and_saveexec_b64 s[0:1], vcc
	s_cbranch_execz .LBB675_616
; %bb.611:
	s_movk_i32 s3, 0x80
	v_cmp_ne_u16_e32 vcc, s3, v12
	v_mov_b32_e32 v17, 0xffff8000
	s_and_saveexec_b64 s[6:7], vcc
	s_cbranch_execz .LBB675_615
; %bb.612:
	v_bfe_u32 v12, v6, 16, 7
	s_movk_i32 s3, 0x7f
	v_cmp_ne_u32_e32 vcc, s3, v12
	v_mov_b32_e32 v17, 0x7f80
	s_and_saveexec_b64 s[8:9], vcc
	s_cbranch_execz .LBB675_614
; %bb.613:
	v_and_b32_e32 v17, 7, v10
	v_ffbh_u32_e32 v18, v17
	v_min_u32_e32 v21, 32, v18
	v_subrev_u32_e32 v18, 28, v21
	v_lshlrev_b64 v[18:19], v18, v[10:11]
	v_and_b32_e32 v18, 7, v18
	v_cmp_gt_u32_e32 vcc, 8, v12
	v_lshrrev_b32_e32 v20, 3, v12
	v_sub_u32_e32 v10, 29, v21
	v_cndmask_b32_e32 v12, v17, v18, vcc
	v_mov_b32_e32 v17, 24
	v_cndmask_b32_e32 v10, v20, v10, vcc
	v_lshlrev_b32_sdwa v17, v17, v6 dst_sel:DWORD dst_unused:UNUSED_PAD src0_sel:DWORD src1_sel:WORD_1
	v_bfrev_b32_e32 v18, 60
	v_lshlrev_b32_e32 v12, 20, v12
	v_and_b32_e32 v17, 0x80000000, v17
	v_lshl_add_u32 v10, v10, 23, v18
	v_or3_b32 v10, v17, v10, v12
	v_lshrrev_b32_e32 v17, 16, v10
.LBB675_614:
	s_or_b64 exec, exec, s[8:9]
.LBB675_615:
	s_or_b64 exec, exec, s[6:7]
.LBB675_616:
	s_or_b64 exec, exec, s[0:1]
	s_mov_b32 s0, 0xffffff
	v_cmp_lt_u32_e32 vcc, s0, v6
	v_mov_b32_e32 v18, 0
	s_and_saveexec_b64 s[0:1], vcc
	s_cbranch_execz .LBB675_622
; %bb.617:
	v_lshrrev_b32_e32 v10, 24, v6
	s_movk_i32 s3, 0x80
	v_cmp_ne_u32_e32 vcc, s3, v10
	v_mov_b32_e32 v18, 0xffff8000
	s_and_saveexec_b64 s[6:7], vcc
	s_cbranch_execz .LBB675_621
; %bb.618:
	v_bfe_u32 v12, v6, 24, 7
	s_movk_i32 s3, 0x7f
	v_cmp_ne_u32_e32 vcc, s3, v12
	v_mov_b32_e32 v18, 0x7f80
	s_and_saveexec_b64 s[8:9], vcc
	s_cbranch_execz .LBB675_620
; %bb.619:
	v_and_b32_e32 v20, 7, v10
	v_ffbh_u32_e32 v18, v20
	v_min_u32_e32 v22, 32, v18
	v_subrev_u32_e32 v18, 28, v22
	v_lshlrev_b64 v[18:19], v18, v[10:11]
	v_lshrrev_b32_e32 v21, 3, v12
	v_sub_u32_e32 v19, 29, v22
	v_and_b32_e32 v18, 7, v18
	v_cmp_gt_u32_e32 vcc, 8, v12
	v_cndmask_b32_e32 v12, v21, v19, vcc
	v_cndmask_b32_e32 v18, v20, v18, vcc
	v_lshlrev_b32_e32 v10, 24, v10
	v_bfrev_b32_e32 v19, 60
	v_lshlrev_b32_e32 v18, 20, v18
	v_and_b32_e32 v10, 0x80000000, v10
	v_lshl_add_u32 v12, v12, 23, v19
	v_or3_b32 v10, v10, v12, v18
	v_lshrrev_b32_e32 v18, 16, v10
.LBB675_620:
	s_or_b64 exec, exec, s[8:9]
.LBB675_621:
	s_or_b64 exec, exec, s[6:7]
.LBB675_622:
	s_or_b64 exec, exec, s[0:1]
	v_mov_b32_e32 v19, 0
	v_mov_b32_e32 v10, v7
	v_cmp_ne_u16_sdwa s[6:7], v7, v19 src0_sel:BYTE_0 src1_sel:DWORD
	v_mov_b32_e32 v20, 0
	s_and_saveexec_b64 s[0:1], s[6:7]
	s_cbranch_execz .LBB675_628
; %bb.623:
	s_movk_i32 s3, 0x80
	v_cmp_ne_u16_sdwa s[8:9], v7, s3 src0_sel:BYTE_0 src1_sel:DWORD
	v_mov_b32_e32 v20, 0xffff8000
	s_and_saveexec_b64 s[6:7], s[8:9]
	s_cbranch_execz .LBB675_627
; %bb.624:
	s_movk_i32 s3, 0x7f
	v_and_b32_e32 v12, 0x7f, v7
	v_cmp_ne_u32_e32 vcc, s3, v12
	v_mov_b32_e32 v20, 0x7f80
	s_and_saveexec_b64 s[8:9], vcc
	s_cbranch_execz .LBB675_626
; %bb.625:
	v_and_b32_e32 v20, 7, v7
	v_ffbh_u32_e32 v20, v20
	v_min_u32_e32 v20, 32, v20
	v_lshrrev_b32_e32 v21, 3, v12
	v_subrev_u32_e32 v22, 28, v20
	v_sub_u32_e32 v20, 29, v20
	v_cmp_gt_u32_e32 vcc, 8, v12
	v_cndmask_b32_e32 v12, v21, v20, vcc
	v_cndmask_b32_e32 v20, 0, v22, vcc
	v_lshlrev_b64 v[20:21], v20, v[10:11]
	v_lshlrev_b32_e32 v11, 20, v20
	v_lshlrev_b32_e32 v20, 24, v10
	v_bfrev_b32_e32 v21, 60
	v_and_b32_e32 v11, 0x700000, v11
	v_and_b32_e32 v20, 0x80000000, v20
	v_lshl_add_u32 v12, v12, 23, v21
	v_or3_b32 v11, v20, v12, v11
	v_lshrrev_b32_e32 v20, 16, v11
.LBB675_626:
	s_or_b64 exec, exec, s[8:9]
.LBB675_627:
	s_or_b64 exec, exec, s[6:7]
.LBB675_628:
	s_or_b64 exec, exec, s[0:1]
	v_lshrrev_b16_e32 v12, 8, v10
	v_cmp_ne_u16_e32 vcc, 0, v12
	s_and_saveexec_b64 s[0:1], vcc
	s_cbranch_execz .LBB675_634
; %bb.629:
	s_movk_i32 s3, 0x80
	v_cmp_ne_u16_e32 vcc, s3, v12
	v_mov_b32_e32 v19, 0xffff8000
	s_and_saveexec_b64 s[6:7], vcc
	s_cbranch_execz .LBB675_633
; %bb.630:
	s_movk_i32 s3, 0x7f
	v_and_b32_e32 v11, 0x7f, v12
	v_cmp_ne_u32_e32 vcc, s3, v11
	v_mov_b32_e32 v19, 0x7f80
	s_and_saveexec_b64 s[8:9], vcc
	s_cbranch_execz .LBB675_632
; %bb.631:
	v_and_b32_e32 v19, 7, v12
	v_ffbh_u32_e32 v22, v19
	v_min_u32_e32 v24, 32, v22
	v_subrev_u32_e32 v22, 28, v24
	v_lshlrev_b64 v[22:23], v22, v[12:13]
	v_lshrrev_b32_e32 v21, 3, v11
	v_sub_u32_e32 v12, 29, v24
	v_and_b32_e32 v22, 7, v22
	v_cmp_gt_u32_e32 vcc, 8, v11
	v_cndmask_b32_e32 v11, v21, v12, vcc
	v_cndmask_b32_e32 v12, v19, v22, vcc
	v_lshlrev_b32_e32 v10, 16, v10
	v_bfrev_b32_e32 v19, 60
	v_lshlrev_b32_e32 v12, 20, v12
	v_and_b32_e32 v10, 0x80000000, v10
	v_lshl_add_u32 v11, v11, 23, v19
	v_or3_b32 v10, v10, v11, v12
	v_lshrrev_b32_e32 v19, 16, v10
.LBB675_632:
	s_or_b64 exec, exec, s[8:9]
.LBB675_633:
	s_or_b64 exec, exec, s[6:7]
.LBB675_634:
	s_or_b64 exec, exec, s[0:1]
	s_movk_i32 s0, 0xff
	v_and_b32_sdwa v21, v7, s0 dst_sel:DWORD dst_unused:UNUSED_PAD src0_sel:WORD_1 src1_sel:DWORD
	v_lshrrev_b32_e32 v10, 16, v7
	v_cmp_ne_u16_e32 vcc, 0, v21
	v_mov_b32_e32 v11, 0
	v_mov_b32_e32 v12, 0
	s_and_saveexec_b64 s[0:1], vcc
	s_cbranch_execz .LBB675_640
; %bb.635:
	s_movk_i32 s3, 0x80
	v_cmp_ne_u16_e32 vcc, s3, v21
	v_mov_b32_e32 v12, 0xffff8000
	s_and_saveexec_b64 s[6:7], vcc
	s_cbranch_execz .LBB675_639
; %bb.636:
	v_bfe_u32 v21, v7, 16, 7
	s_movk_i32 s3, 0x7f
	v_cmp_ne_u32_e32 vcc, s3, v21
	v_mov_b32_e32 v12, 0x7f80
	s_and_saveexec_b64 s[8:9], vcc
	s_cbranch_execz .LBB675_638
; %bb.637:
	v_and_b32_e32 v12, 7, v10
	v_ffbh_u32_e32 v22, v12
	v_min_u32_e32 v25, 32, v22
	v_subrev_u32_e32 v22, 28, v25
	v_lshlrev_b64 v[22:23], v22, v[10:11]
	v_lshrrev_b32_e32 v24, 3, v21
	v_sub_u32_e32 v10, 29, v25
	v_and_b32_e32 v22, 7, v22
	v_cmp_gt_u32_e32 vcc, 8, v21
	v_mov_b32_e32 v21, 24
	v_cndmask_b32_e32 v10, v24, v10, vcc
	v_cndmask_b32_e32 v12, v12, v22, vcc
	v_lshlrev_b32_sdwa v21, v21, v7 dst_sel:DWORD dst_unused:UNUSED_PAD src0_sel:DWORD src1_sel:WORD_1
	v_bfrev_b32_e32 v22, 60
	v_lshlrev_b32_e32 v12, 20, v12
	v_and_b32_e32 v21, 0x80000000, v21
	v_lshl_add_u32 v10, v10, 23, v22
	v_or3_b32 v10, v21, v10, v12
	v_lshrrev_b32_e32 v12, 16, v10
.LBB675_638:
	s_or_b64 exec, exec, s[8:9]
.LBB675_639:
	s_or_b64 exec, exec, s[6:7]
.LBB675_640:
	s_or_b64 exec, exec, s[0:1]
	s_mov_b32 s0, -1
	s_mov_b32 s1, 0xffffff
	v_cmp_lt_u64_e32 vcc, s[0:1], v[6:7]
	s_and_saveexec_b64 s[0:1], vcc
	s_cbranch_execz .LBB675_646
; %bb.641:
	v_lshrrev_b32_e32 v6, 24, v7
	s_movk_i32 s3, 0x80
	v_cmp_ne_u32_e32 vcc, s3, v6
	v_mov_b32_e32 v11, 0xffff8000
	s_and_saveexec_b64 s[6:7], vcc
	s_cbranch_execz .LBB675_645
; %bb.642:
	v_bfe_u32 v7, v7, 24, 7
	s_movk_i32 s3, 0x7f
	v_cmp_ne_u32_e32 vcc, s3, v7
	v_mov_b32_e32 v11, 0x7f80
	s_and_saveexec_b64 s[8:9], vcc
	s_cbranch_execz .LBB675_644
; %bb.643:
	v_and_b32_e32 v21, 7, v6
	v_ffbh_u32_e32 v10, v21
	v_min_u32_e32 v23, 32, v10
	v_subrev_u32_e32 v10, 28, v23
	v_lshlrev_b64 v[10:11], v10, v[6:7]
	v_lshrrev_b32_e32 v22, 3, v7
	v_sub_u32_e32 v11, 29, v23
	v_and_b32_e32 v10, 7, v10
	v_cmp_gt_u32_e32 vcc, 8, v7
	v_cndmask_b32_e32 v7, v22, v11, vcc
	v_cndmask_b32_e32 v10, v21, v10, vcc
	v_lshlrev_b32_e32 v6, 24, v6
	v_bfrev_b32_e32 v11, 60
	v_lshlrev_b32_e32 v10, 20, v10
	v_and_b32_e32 v6, 0x80000000, v6
	v_lshl_add_u32 v7, v7, 23, v11
	v_or3_b32 v6, v6, v7, v10
	v_lshrrev_b32_e32 v11, 16, v6
.LBB675_644:
	s_or_b64 exec, exec, s[8:9]
.LBB675_645:
	s_or_b64 exec, exec, s[6:7]
.LBB675_646:
	s_or_b64 exec, exec, s[0:1]
	s_mov_b32 s0, 0x5040100
	v_perm_b32 v7, v18, v17, s0
	v_perm_b32 v6, v13, v16, s0
	;; [unrolled: 1-line block ×4, first 2 shown]
	v_mfma_f32_4x4x4bf16_1k a[0:3], v[14:15], v[6:7], a[0:3] cbsz:4 abid:8
	v_mov_b32_e32 v12, 0
	v_mfma_f32_4x4x4bf16_1k a[0:3], v[14:15], v[10:11], a[0:3] cbsz:4 abid:9
	v_mov_b32_e32 v11, 0
	v_cmp_ne_u16_sdwa s[6:7], v8, v11 src0_sel:BYTE_0 src1_sel:DWORD
	s_and_saveexec_b64 s[0:1], s[6:7]
	s_cbranch_execz .LBB675_652
; %bb.647:
	s_movk_i32 s3, 0x80
	v_cmp_ne_u16_sdwa s[8:9], v8, s3 src0_sel:BYTE_0 src1_sel:DWORD
	v_mov_b32_e32 v12, 0xffff8000
	s_and_saveexec_b64 s[6:7], s[8:9]
	s_cbranch_execz .LBB675_651
; %bb.648:
	s_movk_i32 s3, 0x7f
	v_and_b32_e32 v6, 0x7f, v8
	v_cmp_ne_u32_e32 vcc, s3, v6
	v_mov_b32_e32 v12, 0x7f80
	s_and_saveexec_b64 s[8:9], vcc
	s_cbranch_execz .LBB675_650
; %bb.649:
	v_and_b32_e32 v7, 7, v8
	v_ffbh_u32_e32 v7, v7
	v_min_u32_e32 v7, 32, v7
	v_subrev_u32_e32 v12, 28, v7
	v_cmp_gt_u32_e32 vcc, 8, v6
	v_lshrrev_b32_e32 v10, 3, v6
	v_sub_u32_e32 v7, 29, v7
	v_cndmask_b32_e32 v6, 0, v12, vcc
	v_cndmask_b32_e32 v10, v10, v7, vcc
	v_lshlrev_b64 v[6:7], v6, v[8:9]
	v_lshlrev_b32_e32 v6, 20, v6
	v_lshlrev_b32_e32 v7, 24, v8
	v_bfrev_b32_e32 v12, 60
	v_and_b32_e32 v6, 0x700000, v6
	v_and_b32_e32 v7, 0x80000000, v7
	v_lshl_add_u32 v10, v10, 23, v12
	v_or3_b32 v6, v7, v10, v6
	v_lshrrev_b32_e32 v12, 16, v6
.LBB675_650:
	s_or_b64 exec, exec, s[8:9]
.LBB675_651:
	s_or_b64 exec, exec, s[6:7]
.LBB675_652:
	s_or_b64 exec, exec, s[0:1]
	v_lshrrev_b16_e32 v6, 8, v8
	v_cmp_ne_u16_e32 vcc, 0, v6
	s_and_saveexec_b64 s[0:1], vcc
	s_cbranch_execz .LBB675_658
; %bb.653:
	s_movk_i32 s3, 0x80
	v_cmp_ne_u16_e32 vcc, s3, v6
	v_mov_b32_e32 v11, 0xffff8000
	s_and_saveexec_b64 s[6:7], vcc
	s_cbranch_execz .LBB675_657
; %bb.654:
	s_movk_i32 s3, 0x7f
	v_and_b32_e32 v7, 0x7f, v6
	v_cmp_ne_u32_e32 vcc, s3, v7
	v_mov_b32_e32 v11, 0x7f80
	s_and_saveexec_b64 s[8:9], vcc
	s_cbranch_execz .LBB675_656
; %bb.655:
	v_and_b32_e32 v13, 7, v6
	v_ffbh_u32_e32 v10, v13
	v_min_u32_e32 v17, 32, v10
	v_subrev_u32_e32 v10, 28, v17
	v_lshlrev_b64 v[10:11], v10, v[6:7]
	v_lshrrev_b32_e32 v16, 3, v7
	v_sub_u32_e32 v6, 29, v17
	v_and_b32_e32 v10, 7, v10
	v_cmp_gt_u32_e32 vcc, 8, v7
	v_cndmask_b32_e32 v6, v16, v6, vcc
	v_cndmask_b32_e32 v7, v13, v10, vcc
	v_lshlrev_b32_e32 v10, 16, v8
	v_bfrev_b32_e32 v11, 60
	v_lshlrev_b32_e32 v7, 20, v7
	v_and_b32_e32 v10, 0x80000000, v10
	v_lshl_add_u32 v6, v6, 23, v11
	v_or3_b32 v6, v10, v6, v7
	v_lshrrev_b32_e32 v11, 16, v6
.LBB675_656:
	s_or_b64 exec, exec, s[8:9]
.LBB675_657:
	s_or_b64 exec, exec, s[6:7]
.LBB675_658:
	s_or_b64 exec, exec, s[0:1]
	s_movk_i32 s0, 0xff
	v_and_b32_sdwa v10, v8, s0 dst_sel:DWORD dst_unused:UNUSED_PAD src0_sel:WORD_1 src1_sel:DWORD
	v_lshrrev_b32_e32 v6, 16, v8
	v_cmp_ne_u16_e32 vcc, 0, v10
	v_mov_b32_e32 v7, 0
	v_mov_b32_e32 v13, 0
	s_and_saveexec_b64 s[0:1], vcc
	s_cbranch_execz .LBB675_664
; %bb.659:
	s_movk_i32 s3, 0x80
	v_cmp_ne_u16_e32 vcc, s3, v10
	v_mov_b32_e32 v13, 0xffff8000
	s_and_saveexec_b64 s[6:7], vcc
	s_cbranch_execz .LBB675_663
; %bb.660:
	v_bfe_u32 v10, v8, 16, 7
	s_movk_i32 s3, 0x7f
	v_cmp_ne_u32_e32 vcc, s3, v10
	v_mov_b32_e32 v13, 0x7f80
	s_and_saveexec_b64 s[8:9], vcc
	s_cbranch_execz .LBB675_662
; %bb.661:
	v_and_b32_e32 v13, 7, v6
	v_ffbh_u32_e32 v16, v13
	v_min_u32_e32 v19, 32, v16
	v_subrev_u32_e32 v16, 28, v19
	v_lshlrev_b64 v[16:17], v16, v[6:7]
	v_and_b32_e32 v16, 7, v16
	v_cmp_gt_u32_e32 vcc, 8, v10
	v_lshrrev_b32_e32 v18, 3, v10
	v_sub_u32_e32 v6, 29, v19
	v_cndmask_b32_e32 v10, v13, v16, vcc
	v_mov_b32_e32 v13, 24
	v_cndmask_b32_e32 v6, v18, v6, vcc
	v_lshlrev_b32_sdwa v13, v13, v8 dst_sel:DWORD dst_unused:UNUSED_PAD src0_sel:DWORD src1_sel:WORD_1
	v_bfrev_b32_e32 v16, 60
	v_lshlrev_b32_e32 v10, 20, v10
	v_and_b32_e32 v13, 0x80000000, v13
	v_lshl_add_u32 v6, v6, 23, v16
	v_or3_b32 v6, v13, v6, v10
	v_lshrrev_b32_e32 v13, 16, v6
.LBB675_662:
	s_or_b64 exec, exec, s[8:9]
.LBB675_663:
	s_or_b64 exec, exec, s[6:7]
.LBB675_664:
	s_or_b64 exec, exec, s[0:1]
	s_mov_b32 s0, 0xffffff
	v_cmp_lt_u32_e32 vcc, s0, v8
	v_mov_b32_e32 v16, 0
	s_and_saveexec_b64 s[0:1], vcc
	s_cbranch_execz .LBB675_670
; %bb.665:
	v_lshrrev_b32_e32 v6, 24, v8
	s_movk_i32 s3, 0x80
	v_cmp_ne_u32_e32 vcc, s3, v6
	v_mov_b32_e32 v16, 0xffff8000
	s_and_saveexec_b64 s[6:7], vcc
	s_cbranch_execz .LBB675_669
; %bb.666:
	v_bfe_u32 v10, v8, 24, 7
	s_movk_i32 s3, 0x7f
	v_cmp_ne_u32_e32 vcc, s3, v10
	v_mov_b32_e32 v16, 0x7f80
	s_and_saveexec_b64 s[8:9], vcc
	s_cbranch_execz .LBB675_668
; %bb.667:
	v_and_b32_e32 v18, 7, v6
	v_ffbh_u32_e32 v16, v18
	v_min_u32_e32 v20, 32, v16
	v_subrev_u32_e32 v16, 28, v20
	v_lshlrev_b64 v[16:17], v16, v[6:7]
	v_lshrrev_b32_e32 v19, 3, v10
	v_sub_u32_e32 v17, 29, v20
	v_and_b32_e32 v16, 7, v16
	v_cmp_gt_u32_e32 vcc, 8, v10
	v_cndmask_b32_e32 v10, v19, v17, vcc
	v_cndmask_b32_e32 v16, v18, v16, vcc
	v_lshlrev_b32_e32 v6, 24, v6
	v_bfrev_b32_e32 v17, 60
	v_lshlrev_b32_e32 v16, 20, v16
	v_and_b32_e32 v6, 0x80000000, v6
	v_lshl_add_u32 v10, v10, 23, v17
	v_or3_b32 v6, v6, v10, v16
	v_lshrrev_b32_e32 v16, 16, v6
.LBB675_668:
	s_or_b64 exec, exec, s[8:9]
.LBB675_669:
	s_or_b64 exec, exec, s[6:7]
.LBB675_670:
	s_or_b64 exec, exec, s[0:1]
	v_mov_b32_e32 v17, 0
	v_mov_b32_e32 v6, v9
	v_cmp_ne_u16_sdwa s[6:7], v9, v17 src0_sel:BYTE_0 src1_sel:DWORD
	v_mov_b32_e32 v18, 0
	s_and_saveexec_b64 s[0:1], s[6:7]
	s_cbranch_execz .LBB675_676
; %bb.671:
	s_movk_i32 s3, 0x80
	v_cmp_ne_u16_sdwa s[8:9], v9, s3 src0_sel:BYTE_0 src1_sel:DWORD
	v_mov_b32_e32 v18, 0xffff8000
	s_and_saveexec_b64 s[6:7], s[8:9]
	s_cbranch_execz .LBB675_675
; %bb.672:
	s_movk_i32 s3, 0x7f
	v_and_b32_e32 v10, 0x7f, v9
	v_cmp_ne_u32_e32 vcc, s3, v10
	v_mov_b32_e32 v18, 0x7f80
	s_and_saveexec_b64 s[8:9], vcc
	s_cbranch_execz .LBB675_674
; %bb.673:
	v_and_b32_e32 v18, 7, v9
	v_ffbh_u32_e32 v18, v18
	v_min_u32_e32 v18, 32, v18
	v_lshrrev_b32_e32 v19, 3, v10
	v_subrev_u32_e32 v20, 28, v18
	v_sub_u32_e32 v18, 29, v18
	v_cmp_gt_u32_e32 vcc, 8, v10
	v_cndmask_b32_e32 v10, v19, v18, vcc
	v_cndmask_b32_e32 v18, 0, v20, vcc
	v_lshlrev_b64 v[18:19], v18, v[6:7]
	v_lshlrev_b32_e32 v7, 20, v18
	v_lshlrev_b32_e32 v18, 24, v6
	v_bfrev_b32_e32 v19, 60
	v_and_b32_e32 v7, 0x700000, v7
	v_and_b32_e32 v18, 0x80000000, v18
	v_lshl_add_u32 v10, v10, 23, v19
	v_or3_b32 v7, v18, v10, v7
	v_lshrrev_b32_e32 v18, 16, v7
.LBB675_674:
	s_or_b64 exec, exec, s[8:9]
.LBB675_675:
	s_or_b64 exec, exec, s[6:7]
.LBB675_676:
	s_or_b64 exec, exec, s[0:1]
	v_lshrrev_b16_e32 v10, 8, v6
	v_cmp_ne_u16_e32 vcc, 0, v10
	s_and_saveexec_b64 s[0:1], vcc
	s_cbranch_execz .LBB675_682
; %bb.677:
	s_movk_i32 s3, 0x80
	v_cmp_ne_u16_e32 vcc, s3, v10
	v_mov_b32_e32 v17, 0xffff8000
	s_and_saveexec_b64 s[6:7], vcc
	s_cbranch_execz .LBB675_681
; %bb.678:
	s_movk_i32 s3, 0x7f
	v_and_b32_e32 v7, 0x7f, v10
	v_cmp_ne_u32_e32 vcc, s3, v7
	v_mov_b32_e32 v17, 0x7f80
	s_and_saveexec_b64 s[8:9], vcc
	s_cbranch_execz .LBB675_680
; %bb.679:
	v_and_b32_e32 v17, 7, v10
	v_ffbh_u32_e32 v20, v17
	v_min_u32_e32 v22, 32, v20
	v_subrev_u32_e32 v20, 28, v22
	v_lshlrev_b64 v[20:21], v20, v[10:11]
	v_lshrrev_b32_e32 v19, 3, v7
	v_sub_u32_e32 v10, 29, v22
	v_and_b32_e32 v20, 7, v20
	v_cmp_gt_u32_e32 vcc, 8, v7
	v_cndmask_b32_e32 v7, v19, v10, vcc
	v_cndmask_b32_e32 v10, v17, v20, vcc
	v_lshlrev_b32_e32 v6, 16, v6
	v_bfrev_b32_e32 v17, 60
	v_lshlrev_b32_e32 v10, 20, v10
	v_and_b32_e32 v6, 0x80000000, v6
	v_lshl_add_u32 v7, v7, 23, v17
	v_or3_b32 v6, v6, v7, v10
	v_lshrrev_b32_e32 v17, 16, v6
.LBB675_680:
	s_or_b64 exec, exec, s[8:9]
.LBB675_681:
	s_or_b64 exec, exec, s[6:7]
.LBB675_682:
	s_or_b64 exec, exec, s[0:1]
	s_movk_i32 s0, 0xff
	v_and_b32_sdwa v19, v9, s0 dst_sel:DWORD dst_unused:UNUSED_PAD src0_sel:WORD_1 src1_sel:DWORD
	v_lshrrev_b32_e32 v6, 16, v9
	v_cmp_ne_u16_e32 vcc, 0, v19
	v_mov_b32_e32 v7, 0
	v_mov_b32_e32 v10, 0
	s_and_saveexec_b64 s[0:1], vcc
	s_cbranch_execz .LBB675_688
; %bb.683:
	s_movk_i32 s3, 0x80
	v_cmp_ne_u16_e32 vcc, s3, v19
	v_mov_b32_e32 v10, 0xffff8000
	s_and_saveexec_b64 s[6:7], vcc
	s_cbranch_execz .LBB675_687
; %bb.684:
	v_bfe_u32 v19, v9, 16, 7
	s_movk_i32 s3, 0x7f
	v_cmp_ne_u32_e32 vcc, s3, v19
	v_mov_b32_e32 v10, 0x7f80
	s_and_saveexec_b64 s[8:9], vcc
	s_cbranch_execz .LBB675_686
; %bb.685:
	v_and_b32_e32 v10, 7, v6
	v_ffbh_u32_e32 v20, v10
	v_min_u32_e32 v23, 32, v20
	v_subrev_u32_e32 v20, 28, v23
	v_lshlrev_b64 v[20:21], v20, v[6:7]
	v_lshrrev_b32_e32 v22, 3, v19
	v_sub_u32_e32 v6, 29, v23
	v_and_b32_e32 v20, 7, v20
	v_cmp_gt_u32_e32 vcc, 8, v19
	v_mov_b32_e32 v19, 24
	v_cndmask_b32_e32 v6, v22, v6, vcc
	v_cndmask_b32_e32 v10, v10, v20, vcc
	v_lshlrev_b32_sdwa v19, v19, v9 dst_sel:DWORD dst_unused:UNUSED_PAD src0_sel:DWORD src1_sel:WORD_1
	v_bfrev_b32_e32 v20, 60
	v_lshlrev_b32_e32 v10, 20, v10
	v_and_b32_e32 v19, 0x80000000, v19
	v_lshl_add_u32 v6, v6, 23, v20
	v_or3_b32 v6, v19, v6, v10
	v_lshrrev_b32_e32 v10, 16, v6
.LBB675_686:
	s_or_b64 exec, exec, s[8:9]
.LBB675_687:
	s_or_b64 exec, exec, s[6:7]
.LBB675_688:
	s_or_b64 exec, exec, s[0:1]
	s_mov_b32 s0, -1
	s_mov_b32 s1, 0xffffff
	v_cmp_lt_u64_e32 vcc, s[0:1], v[8:9]
	s_and_saveexec_b64 s[0:1], vcc
	s_cbranch_execz .LBB675_694
; %bb.689:
	v_lshrrev_b32_e32 v6, 24, v9
	s_movk_i32 s3, 0x80
	v_cmp_ne_u32_e32 vcc, s3, v6
	v_mov_b32_e32 v7, 0xffff8000
	s_and_saveexec_b64 s[6:7], vcc
	s_cbranch_execz .LBB675_693
; %bb.690:
	v_bfe_u32 v8, v9, 24, 7
	s_movk_i32 s3, 0x7f
	v_cmp_ne_u32_e32 vcc, s3, v8
	v_mov_b32_e32 v7, 0x7f80
	s_and_saveexec_b64 s[8:9], vcc
	s_cbranch_execz .LBB675_692
; %bb.691:
	v_and_b32_e32 v7, 7, v6
	v_ffbh_u32_e32 v19, v7
	v_min_u32_e32 v19, 32, v19
	v_subrev_u32_e32 v20, 28, v19
	v_lshlrev_b64 v[20:21], v20, v[6:7]
	v_lshrrev_b32_e32 v9, 3, v8
	v_sub_u32_e32 v19, 29, v19
	v_and_b32_e32 v20, 7, v20
	v_cmp_gt_u32_e32 vcc, 8, v8
	v_cndmask_b32_e32 v8, v9, v19, vcc
	v_cndmask_b32_e32 v7, v7, v20, vcc
	v_lshlrev_b32_e32 v6, 24, v6
	v_bfrev_b32_e32 v9, 60
	v_lshlrev_b32_e32 v7, 20, v7
	v_and_b32_e32 v6, 0x80000000, v6
	v_lshl_add_u32 v8, v8, 23, v9
	v_or3_b32 v6, v6, v8, v7
	v_lshrrev_b32_e32 v7, 16, v6
.LBB675_692:
	s_or_b64 exec, exec, s[8:9]
.LBB675_693:
	s_or_b64 exec, exec, s[6:7]
.LBB675_694:
	s_or_b64 exec, exec, s[0:1]
	s_mov_b32 s0, 0x5040100
	v_perm_b32 v9, v16, v13, s0
	v_perm_b32 v8, v11, v12, s0
	;; [unrolled: 1-line block ×4, first 2 shown]
	v_mfma_f32_4x4x4bf16_1k a[0:3], v[14:15], v[8:9], a[0:3] cbsz:4 abid:10
	v_mov_b32_e32 v9, 0
	v_mfma_f32_4x4x4bf16_1k a[0:3], v[14:15], v[6:7], a[0:3] cbsz:4 abid:11
	s_waitcnt vmcnt(0)
	v_cmp_ne_u16_sdwa s[6:7], v2, v9 src0_sel:BYTE_0 src1_sel:DWORD
	v_mov_b32_e32 v10, 0
	s_and_saveexec_b64 s[0:1], s[6:7]
	s_cbranch_execz .LBB675_700
; %bb.695:
	s_movk_i32 s3, 0x80
	v_cmp_ne_u16_sdwa s[8:9], v2, s3 src0_sel:BYTE_0 src1_sel:DWORD
	v_mov_b32_e32 v10, 0xffff8000
	s_and_saveexec_b64 s[6:7], s[8:9]
	s_cbranch_execz .LBB675_699
; %bb.696:
	s_movk_i32 s3, 0x7f
	v_and_b32_e32 v6, 0x7f, v2
	v_cmp_ne_u32_e32 vcc, s3, v6
	v_mov_b32_e32 v10, 0x7f80
	s_and_saveexec_b64 s[8:9], vcc
	s_cbranch_execz .LBB675_698
; %bb.697:
	v_and_b32_e32 v7, 7, v2
	v_ffbh_u32_e32 v7, v7
	v_min_u32_e32 v7, 32, v7
	v_subrev_u32_e32 v10, 28, v7
	v_cmp_gt_u32_e32 vcc, 8, v6
	v_lshrrev_b32_e32 v8, 3, v6
	v_sub_u32_e32 v7, 29, v7
	v_cndmask_b32_e32 v6, 0, v10, vcc
	v_cndmask_b32_e32 v8, v8, v7, vcc
	v_lshlrev_b64 v[6:7], v6, v[2:3]
	v_lshlrev_b32_e32 v6, 20, v6
	v_lshlrev_b32_e32 v7, 24, v2
	v_bfrev_b32_e32 v10, 60
	v_and_b32_e32 v6, 0x700000, v6
	v_and_b32_e32 v7, 0x80000000, v7
	v_lshl_add_u32 v8, v8, 23, v10
	v_or3_b32 v6, v7, v8, v6
	v_lshrrev_b32_e32 v10, 16, v6
.LBB675_698:
	s_or_b64 exec, exec, s[8:9]
.LBB675_699:
	s_or_b64 exec, exec, s[6:7]
.LBB675_700:
	s_or_b64 exec, exec, s[0:1]
	v_lshrrev_b16_e32 v6, 8, v2
	v_cmp_ne_u16_e32 vcc, 0, v6
	s_and_saveexec_b64 s[0:1], vcc
	s_cbranch_execz .LBB675_706
; %bb.701:
	s_movk_i32 s3, 0x80
	v_cmp_ne_u16_e32 vcc, s3, v6
	v_mov_b32_e32 v9, 0xffff8000
	s_and_saveexec_b64 s[6:7], vcc
	s_cbranch_execz .LBB675_705
; %bb.702:
	s_movk_i32 s3, 0x7f
	v_and_b32_e32 v7, 0x7f, v6
	v_cmp_ne_u32_e32 vcc, s3, v7
	v_mov_b32_e32 v9, 0x7f80
	s_and_saveexec_b64 s[8:9], vcc
	s_cbranch_execz .LBB675_704
; %bb.703:
	v_and_b32_e32 v11, 7, v6
	v_ffbh_u32_e32 v8, v11
	v_min_u32_e32 v13, 32, v8
	v_subrev_u32_e32 v8, 28, v13
	v_lshlrev_b64 v[8:9], v8, v[6:7]
	v_lshrrev_b32_e32 v12, 3, v7
	v_sub_u32_e32 v6, 29, v13
	v_and_b32_e32 v8, 7, v8
	v_cmp_gt_u32_e32 vcc, 8, v7
	v_cndmask_b32_e32 v6, v12, v6, vcc
	v_cndmask_b32_e32 v7, v11, v8, vcc
	v_lshlrev_b32_e32 v8, 16, v2
	v_bfrev_b32_e32 v9, 60
	v_lshlrev_b32_e32 v7, 20, v7
	v_and_b32_e32 v8, 0x80000000, v8
	v_lshl_add_u32 v6, v6, 23, v9
	v_or3_b32 v6, v8, v6, v7
	v_lshrrev_b32_e32 v9, 16, v6
.LBB675_704:
	s_or_b64 exec, exec, s[8:9]
.LBB675_705:
	s_or_b64 exec, exec, s[6:7]
.LBB675_706:
	s_or_b64 exec, exec, s[0:1]
	s_movk_i32 s0, 0xff
	v_and_b32_sdwa v8, v2, s0 dst_sel:DWORD dst_unused:UNUSED_PAD src0_sel:WORD_1 src1_sel:DWORD
	v_lshrrev_b32_e32 v6, 16, v2
	v_cmp_ne_u16_e32 vcc, 0, v8
	v_mov_b32_e32 v7, 0
	v_mov_b32_e32 v11, 0
	s_and_saveexec_b64 s[0:1], vcc
	s_cbranch_execz .LBB675_712
; %bb.707:
	s_movk_i32 s3, 0x80
	v_cmp_ne_u16_e32 vcc, s3, v8
	v_mov_b32_e32 v11, 0xffff8000
	s_and_saveexec_b64 s[6:7], vcc
	s_cbranch_execz .LBB675_711
; %bb.708:
	v_bfe_u32 v8, v2, 16, 7
	s_movk_i32 s3, 0x7f
	v_cmp_ne_u32_e32 vcc, s3, v8
	v_mov_b32_e32 v11, 0x7f80
	s_and_saveexec_b64 s[8:9], vcc
	s_cbranch_execz .LBB675_710
; %bb.709:
	v_and_b32_e32 v11, 7, v6
	v_ffbh_u32_e32 v12, v11
	v_min_u32_e32 v17, 32, v12
	v_subrev_u32_e32 v12, 28, v17
	v_lshlrev_b64 v[12:13], v12, v[6:7]
	v_and_b32_e32 v12, 7, v12
	v_cmp_gt_u32_e32 vcc, 8, v8
	v_lshrrev_b32_e32 v16, 3, v8
	v_sub_u32_e32 v6, 29, v17
	v_cndmask_b32_e32 v8, v11, v12, vcc
	v_mov_b32_e32 v11, 24
	v_cndmask_b32_e32 v6, v16, v6, vcc
	v_lshlrev_b32_sdwa v11, v11, v2 dst_sel:DWORD dst_unused:UNUSED_PAD src0_sel:DWORD src1_sel:WORD_1
	v_bfrev_b32_e32 v12, 60
	v_lshlrev_b32_e32 v8, 20, v8
	v_and_b32_e32 v11, 0x80000000, v11
	v_lshl_add_u32 v6, v6, 23, v12
	v_or3_b32 v6, v11, v6, v8
	v_lshrrev_b32_e32 v11, 16, v6
.LBB675_710:
	s_or_b64 exec, exec, s[8:9]
.LBB675_711:
	s_or_b64 exec, exec, s[6:7]
.LBB675_712:
	s_or_b64 exec, exec, s[0:1]
	s_mov_b32 s0, 0xffffff
	v_cmp_lt_u32_e32 vcc, s0, v2
	v_mov_b32_e32 v12, 0
	s_and_saveexec_b64 s[0:1], vcc
	s_cbranch_execz .LBB675_718
; %bb.713:
	v_lshrrev_b32_e32 v6, 24, v2
	s_movk_i32 s3, 0x80
	v_cmp_ne_u32_e32 vcc, s3, v6
	v_mov_b32_e32 v12, 0xffff8000
	s_and_saveexec_b64 s[6:7], vcc
	s_cbranch_execz .LBB675_717
; %bb.714:
	v_bfe_u32 v8, v2, 24, 7
	s_movk_i32 s3, 0x7f
	v_cmp_ne_u32_e32 vcc, s3, v8
	v_mov_b32_e32 v12, 0x7f80
	s_and_saveexec_b64 s[8:9], vcc
	s_cbranch_execz .LBB675_716
; %bb.715:
	v_and_b32_e32 v16, 7, v6
	v_ffbh_u32_e32 v12, v16
	v_min_u32_e32 v18, 32, v12
	v_subrev_u32_e32 v12, 28, v18
	v_lshlrev_b64 v[12:13], v12, v[6:7]
	v_lshrrev_b32_e32 v17, 3, v8
	v_sub_u32_e32 v13, 29, v18
	v_and_b32_e32 v12, 7, v12
	v_cmp_gt_u32_e32 vcc, 8, v8
	v_cndmask_b32_e32 v8, v17, v13, vcc
	v_cndmask_b32_e32 v12, v16, v12, vcc
	v_lshlrev_b32_e32 v6, 24, v6
	v_bfrev_b32_e32 v13, 60
	v_lshlrev_b32_e32 v12, 20, v12
	v_and_b32_e32 v6, 0x80000000, v6
	v_lshl_add_u32 v8, v8, 23, v13
	v_or3_b32 v6, v6, v8, v12
	v_lshrrev_b32_e32 v12, 16, v6
.LBB675_716:
	s_or_b64 exec, exec, s[8:9]
.LBB675_717:
	s_or_b64 exec, exec, s[6:7]
.LBB675_718:
	s_or_b64 exec, exec, s[0:1]
	v_mov_b32_e32 v13, 0
	v_mov_b32_e32 v6, v3
	v_cmp_ne_u16_sdwa s[6:7], v3, v13 src0_sel:BYTE_0 src1_sel:DWORD
	v_mov_b32_e32 v16, 0
	s_and_saveexec_b64 s[0:1], s[6:7]
	s_cbranch_execz .LBB675_724
; %bb.719:
	s_movk_i32 s3, 0x80
	v_cmp_ne_u16_sdwa s[8:9], v3, s3 src0_sel:BYTE_0 src1_sel:DWORD
	v_mov_b32_e32 v16, 0xffff8000
	s_and_saveexec_b64 s[6:7], s[8:9]
	s_cbranch_execz .LBB675_723
; %bb.720:
	s_movk_i32 s3, 0x7f
	v_and_b32_e32 v8, 0x7f, v3
	v_cmp_ne_u32_e32 vcc, s3, v8
	v_mov_b32_e32 v16, 0x7f80
	s_and_saveexec_b64 s[8:9], vcc
	s_cbranch_execz .LBB675_722
; %bb.721:
	v_and_b32_e32 v16, 7, v3
	v_ffbh_u32_e32 v16, v16
	v_min_u32_e32 v16, 32, v16
	v_lshrrev_b32_e32 v17, 3, v8
	v_subrev_u32_e32 v18, 28, v16
	v_sub_u32_e32 v16, 29, v16
	v_cmp_gt_u32_e32 vcc, 8, v8
	v_cndmask_b32_e32 v8, v17, v16, vcc
	v_cndmask_b32_e32 v16, 0, v18, vcc
	v_lshlrev_b64 v[16:17], v16, v[6:7]
	v_lshlrev_b32_e32 v7, 20, v16
	v_lshlrev_b32_e32 v16, 24, v6
	v_bfrev_b32_e32 v17, 60
	v_and_b32_e32 v7, 0x700000, v7
	v_and_b32_e32 v16, 0x80000000, v16
	v_lshl_add_u32 v8, v8, 23, v17
	v_or3_b32 v7, v16, v8, v7
	v_lshrrev_b32_e32 v16, 16, v7
.LBB675_722:
	s_or_b64 exec, exec, s[8:9]
.LBB675_723:
	s_or_b64 exec, exec, s[6:7]
.LBB675_724:
	s_or_b64 exec, exec, s[0:1]
	v_lshrrev_b16_e32 v8, 8, v6
	v_cmp_ne_u16_e32 vcc, 0, v8
	s_and_saveexec_b64 s[0:1], vcc
	s_cbranch_execz .LBB675_730
; %bb.725:
	s_movk_i32 s3, 0x80
	v_cmp_ne_u16_e32 vcc, s3, v8
	v_mov_b32_e32 v13, 0xffff8000
	s_and_saveexec_b64 s[6:7], vcc
	s_cbranch_execz .LBB675_729
; %bb.726:
	s_movk_i32 s3, 0x7f
	v_and_b32_e32 v7, 0x7f, v8
	v_cmp_ne_u32_e32 vcc, s3, v7
	v_mov_b32_e32 v13, 0x7f80
	s_and_saveexec_b64 s[8:9], vcc
	s_cbranch_execz .LBB675_728
; %bb.727:
	v_and_b32_e32 v13, 7, v8
	v_ffbh_u32_e32 v18, v13
	v_min_u32_e32 v20, 32, v18
	v_subrev_u32_e32 v18, 28, v20
	v_lshlrev_b64 v[18:19], v18, v[8:9]
	v_lshrrev_b32_e32 v17, 3, v7
	v_sub_u32_e32 v8, 29, v20
	v_and_b32_e32 v18, 7, v18
	v_cmp_gt_u32_e32 vcc, 8, v7
	v_cndmask_b32_e32 v7, v17, v8, vcc
	v_cndmask_b32_e32 v8, v13, v18, vcc
	v_lshlrev_b32_e32 v6, 16, v6
	v_bfrev_b32_e32 v13, 60
	v_lshlrev_b32_e32 v8, 20, v8
	v_and_b32_e32 v6, 0x80000000, v6
	v_lshl_add_u32 v7, v7, 23, v13
	v_or3_b32 v6, v6, v7, v8
	v_lshrrev_b32_e32 v13, 16, v6
.LBB675_728:
	s_or_b64 exec, exec, s[8:9]
.LBB675_729:
	s_or_b64 exec, exec, s[6:7]
.LBB675_730:
	s_or_b64 exec, exec, s[0:1]
	s_movk_i32 s0, 0xff
	v_and_b32_sdwa v17, v3, s0 dst_sel:DWORD dst_unused:UNUSED_PAD src0_sel:WORD_1 src1_sel:DWORD
	v_lshrrev_b32_e32 v6, 16, v3
	v_cmp_ne_u16_e32 vcc, 0, v17
	v_mov_b32_e32 v7, 0
	v_mov_b32_e32 v8, 0
	s_and_saveexec_b64 s[0:1], vcc
	s_cbranch_execz .LBB675_736
; %bb.731:
	s_movk_i32 s3, 0x80
	v_cmp_ne_u16_e32 vcc, s3, v17
	v_mov_b32_e32 v8, 0xffff8000
	s_and_saveexec_b64 s[6:7], vcc
	s_cbranch_execz .LBB675_735
; %bb.732:
	v_bfe_u32 v17, v3, 16, 7
	s_movk_i32 s3, 0x7f
	v_cmp_ne_u32_e32 vcc, s3, v17
	v_mov_b32_e32 v8, 0x7f80
	s_and_saveexec_b64 s[8:9], vcc
	s_cbranch_execz .LBB675_734
; %bb.733:
	v_and_b32_e32 v8, 7, v6
	v_ffbh_u32_e32 v18, v8
	v_min_u32_e32 v21, 32, v18
	v_subrev_u32_e32 v18, 28, v21
	v_lshlrev_b64 v[18:19], v18, v[6:7]
	v_lshrrev_b32_e32 v20, 3, v17
	v_sub_u32_e32 v6, 29, v21
	v_and_b32_e32 v18, 7, v18
	v_cmp_gt_u32_e32 vcc, 8, v17
	v_mov_b32_e32 v17, 24
	v_cndmask_b32_e32 v6, v20, v6, vcc
	v_cndmask_b32_e32 v8, v8, v18, vcc
	v_lshlrev_b32_sdwa v17, v17, v3 dst_sel:DWORD dst_unused:UNUSED_PAD src0_sel:DWORD src1_sel:WORD_1
	v_bfrev_b32_e32 v18, 60
	v_lshlrev_b32_e32 v8, 20, v8
	v_and_b32_e32 v17, 0x80000000, v17
	v_lshl_add_u32 v6, v6, 23, v18
	v_or3_b32 v6, v17, v6, v8
	v_lshrrev_b32_e32 v8, 16, v6
.LBB675_734:
	s_or_b64 exec, exec, s[8:9]
.LBB675_735:
	s_or_b64 exec, exec, s[6:7]
.LBB675_736:
	s_or_b64 exec, exec, s[0:1]
	s_mov_b32 s0, -1
	s_mov_b32 s1, 0xffffff
	v_cmp_lt_u64_e32 vcc, s[0:1], v[2:3]
	s_and_saveexec_b64 s[0:1], vcc
	s_cbranch_execz .LBB675_742
; %bb.737:
	v_lshrrev_b32_e32 v2, 24, v3
	s_movk_i32 s3, 0x80
	v_cmp_ne_u32_e32 vcc, s3, v2
	v_mov_b32_e32 v7, 0xffff8000
	s_and_saveexec_b64 s[6:7], vcc
	s_cbranch_execz .LBB675_741
; %bb.738:
	v_bfe_u32 v3, v3, 24, 7
	s_movk_i32 s3, 0x7f
	v_cmp_ne_u32_e32 vcc, s3, v3
	v_mov_b32_e32 v7, 0x7f80
	s_and_saveexec_b64 s[8:9], vcc
	s_cbranch_execz .LBB675_740
; %bb.739:
	v_and_b32_e32 v17, 7, v2
	v_ffbh_u32_e32 v6, v17
	v_min_u32_e32 v19, 32, v6
	v_subrev_u32_e32 v6, 28, v19
	v_lshlrev_b64 v[6:7], v6, v[2:3]
	v_lshrrev_b32_e32 v18, 3, v3
	v_sub_u32_e32 v7, 29, v19
	v_and_b32_e32 v6, 7, v6
	v_cmp_gt_u32_e32 vcc, 8, v3
	v_cndmask_b32_e32 v3, v18, v7, vcc
	v_cndmask_b32_e32 v6, v17, v6, vcc
	v_lshlrev_b32_e32 v2, 24, v2
	v_bfrev_b32_e32 v7, 60
	v_lshlrev_b32_e32 v6, 20, v6
	v_and_b32_e32 v2, 0x80000000, v2
	v_lshl_add_u32 v3, v3, 23, v7
	v_or3_b32 v2, v2, v3, v6
	v_lshrrev_b32_e32 v7, 16, v2
.LBB675_740:
	s_or_b64 exec, exec, s[8:9]
.LBB675_741:
	s_or_b64 exec, exec, s[6:7]
.LBB675_742:
	s_or_b64 exec, exec, s[0:1]
	s_mov_b32 s0, 0x5040100
	v_perm_b32 v3, v12, v11, s0
	v_perm_b32 v2, v9, v10, s0
	;; [unrolled: 1-line block ×4, first 2 shown]
	v_mfma_f32_4x4x4bf16_1k a[0:3], v[14:15], v[2:3], a[0:3] cbsz:4 abid:12
	v_mov_b32_e32 v8, 0
	v_mfma_f32_4x4x4bf16_1k a[0:3], v[14:15], v[6:7], a[0:3] cbsz:4 abid:13
	v_mov_b32_e32 v7, 0
	v_cmp_ne_u16_sdwa s[6:7], v4, v7 src0_sel:BYTE_0 src1_sel:DWORD
	s_and_saveexec_b64 s[0:1], s[6:7]
	s_cbranch_execz .LBB675_748
; %bb.743:
	s_movk_i32 s3, 0x80
	v_cmp_ne_u16_sdwa s[8:9], v4, s3 src0_sel:BYTE_0 src1_sel:DWORD
	v_mov_b32_e32 v8, 0xffff8000
	s_and_saveexec_b64 s[6:7], s[8:9]
	s_cbranch_execz .LBB675_747
; %bb.744:
	s_movk_i32 s3, 0x7f
	v_and_b32_e32 v2, 0x7f, v4
	v_cmp_ne_u32_e32 vcc, s3, v2
	v_mov_b32_e32 v8, 0x7f80
	s_and_saveexec_b64 s[8:9], vcc
	s_cbranch_execz .LBB675_746
; %bb.745:
	v_and_b32_e32 v3, 7, v4
	v_ffbh_u32_e32 v3, v3
	v_min_u32_e32 v3, 32, v3
	v_subrev_u32_e32 v8, 28, v3
	v_cmp_gt_u32_e32 vcc, 8, v2
	v_lshrrev_b32_e32 v6, 3, v2
	v_sub_u32_e32 v3, 29, v3
	v_cndmask_b32_e32 v2, 0, v8, vcc
	v_cndmask_b32_e32 v6, v6, v3, vcc
	v_lshlrev_b64 v[2:3], v2, v[4:5]
	v_lshlrev_b32_e32 v2, 20, v2
	v_lshlrev_b32_e32 v3, 24, v4
	v_bfrev_b32_e32 v8, 60
	v_and_b32_e32 v2, 0x700000, v2
	v_and_b32_e32 v3, 0x80000000, v3
	v_lshl_add_u32 v6, v6, 23, v8
	v_or3_b32 v2, v3, v6, v2
	v_lshrrev_b32_e32 v8, 16, v2
.LBB675_746:
	s_or_b64 exec, exec, s[8:9]
.LBB675_747:
	s_or_b64 exec, exec, s[6:7]
.LBB675_748:
	s_or_b64 exec, exec, s[0:1]
	v_lshrrev_b16_e32 v2, 8, v4
	v_cmp_ne_u16_e32 vcc, 0, v2
	s_and_saveexec_b64 s[0:1], vcc
	s_cbranch_execz .LBB675_754
; %bb.749:
	s_movk_i32 s3, 0x80
	v_cmp_ne_u16_e32 vcc, s3, v2
	v_mov_b32_e32 v7, 0xffff8000
	s_and_saveexec_b64 s[6:7], vcc
	s_cbranch_execz .LBB675_753
; %bb.750:
	s_movk_i32 s3, 0x7f
	v_and_b32_e32 v3, 0x7f, v2
	v_cmp_ne_u32_e32 vcc, s3, v3
	v_mov_b32_e32 v7, 0x7f80
	s_and_saveexec_b64 s[8:9], vcc
	s_cbranch_execz .LBB675_752
; %bb.751:
	v_and_b32_e32 v9, 7, v2
	v_ffbh_u32_e32 v6, v9
	v_min_u32_e32 v11, 32, v6
	v_subrev_u32_e32 v6, 28, v11
	v_lshlrev_b64 v[6:7], v6, v[2:3]
	v_lshrrev_b32_e32 v10, 3, v3
	v_sub_u32_e32 v2, 29, v11
	v_and_b32_e32 v6, 7, v6
	v_cmp_gt_u32_e32 vcc, 8, v3
	v_cndmask_b32_e32 v2, v10, v2, vcc
	v_cndmask_b32_e32 v3, v9, v6, vcc
	v_lshlrev_b32_e32 v6, 16, v4
	v_bfrev_b32_e32 v7, 60
	v_lshlrev_b32_e32 v3, 20, v3
	v_and_b32_e32 v6, 0x80000000, v6
	v_lshl_add_u32 v2, v2, 23, v7
	v_or3_b32 v2, v6, v2, v3
	v_lshrrev_b32_e32 v7, 16, v2
.LBB675_752:
	s_or_b64 exec, exec, s[8:9]
.LBB675_753:
	s_or_b64 exec, exec, s[6:7]
.LBB675_754:
	s_or_b64 exec, exec, s[0:1]
	s_movk_i32 s0, 0xff
	v_and_b32_sdwa v6, v4, s0 dst_sel:DWORD dst_unused:UNUSED_PAD src0_sel:WORD_1 src1_sel:DWORD
	v_lshrrev_b32_e32 v2, 16, v4
	v_cmp_ne_u16_e32 vcc, 0, v6
	v_mov_b32_e32 v3, 0
	v_mov_b32_e32 v9, 0
	s_and_saveexec_b64 s[0:1], vcc
	s_cbranch_execz .LBB675_760
; %bb.755:
	s_movk_i32 s3, 0x80
	v_cmp_ne_u16_e32 vcc, s3, v6
	v_mov_b32_e32 v9, 0xffff8000
	s_and_saveexec_b64 s[6:7], vcc
	s_cbranch_execz .LBB675_759
; %bb.756:
	v_bfe_u32 v6, v4, 16, 7
	s_movk_i32 s3, 0x7f
	v_cmp_ne_u32_e32 vcc, s3, v6
	v_mov_b32_e32 v9, 0x7f80
	s_and_saveexec_b64 s[8:9], vcc
	s_cbranch_execz .LBB675_758
; %bb.757:
	v_and_b32_e32 v9, 7, v2
	v_ffbh_u32_e32 v10, v9
	v_min_u32_e32 v13, 32, v10
	v_subrev_u32_e32 v10, 28, v13
	v_lshlrev_b64 v[10:11], v10, v[2:3]
	v_and_b32_e32 v10, 7, v10
	v_cmp_gt_u32_e32 vcc, 8, v6
	v_lshrrev_b32_e32 v12, 3, v6
	v_sub_u32_e32 v2, 29, v13
	v_cndmask_b32_e32 v6, v9, v10, vcc
	v_mov_b32_e32 v9, 24
	v_cndmask_b32_e32 v2, v12, v2, vcc
	v_lshlrev_b32_sdwa v9, v9, v4 dst_sel:DWORD dst_unused:UNUSED_PAD src0_sel:DWORD src1_sel:WORD_1
	v_bfrev_b32_e32 v10, 60
	v_lshlrev_b32_e32 v6, 20, v6
	v_and_b32_e32 v9, 0x80000000, v9
	v_lshl_add_u32 v2, v2, 23, v10
	v_or3_b32 v2, v9, v2, v6
	v_lshrrev_b32_e32 v9, 16, v2
.LBB675_758:
	s_or_b64 exec, exec, s[8:9]
.LBB675_759:
	s_or_b64 exec, exec, s[6:7]
.LBB675_760:
	s_or_b64 exec, exec, s[0:1]
	s_mov_b32 s0, 0xffffff
	v_cmp_lt_u32_e32 vcc, s0, v4
	v_mov_b32_e32 v10, 0
	s_and_saveexec_b64 s[0:1], vcc
	s_cbranch_execz .LBB675_766
; %bb.761:
	v_lshrrev_b32_e32 v2, 24, v4
	s_movk_i32 s3, 0x80
	v_cmp_ne_u32_e32 vcc, s3, v2
	v_mov_b32_e32 v10, 0xffff8000
	s_and_saveexec_b64 s[6:7], vcc
	s_cbranch_execz .LBB675_765
; %bb.762:
	v_bfe_u32 v6, v4, 24, 7
	s_movk_i32 s3, 0x7f
	v_cmp_ne_u32_e32 vcc, s3, v6
	v_mov_b32_e32 v10, 0x7f80
	s_and_saveexec_b64 s[8:9], vcc
	s_cbranch_execz .LBB675_764
; %bb.763:
	v_and_b32_e32 v12, 7, v2
	v_ffbh_u32_e32 v10, v12
	v_min_u32_e32 v16, 32, v10
	v_subrev_u32_e32 v10, 28, v16
	v_lshlrev_b64 v[10:11], v10, v[2:3]
	v_lshrrev_b32_e32 v13, 3, v6
	v_sub_u32_e32 v11, 29, v16
	v_and_b32_e32 v10, 7, v10
	v_cmp_gt_u32_e32 vcc, 8, v6
	v_cndmask_b32_e32 v6, v13, v11, vcc
	v_cndmask_b32_e32 v10, v12, v10, vcc
	v_lshlrev_b32_e32 v2, 24, v2
	v_bfrev_b32_e32 v11, 60
	v_lshlrev_b32_e32 v10, 20, v10
	v_and_b32_e32 v2, 0x80000000, v2
	v_lshl_add_u32 v6, v6, 23, v11
	v_or3_b32 v2, v2, v6, v10
	v_lshrrev_b32_e32 v10, 16, v2
.LBB675_764:
	s_or_b64 exec, exec, s[8:9]
.LBB675_765:
	s_or_b64 exec, exec, s[6:7]
.LBB675_766:
	s_or_b64 exec, exec, s[0:1]
	v_mov_b32_e32 v11, 0
	v_mov_b32_e32 v2, v5
	v_cmp_ne_u16_sdwa s[6:7], v5, v11 src0_sel:BYTE_0 src1_sel:DWORD
	v_mov_b32_e32 v12, 0
	s_and_saveexec_b64 s[0:1], s[6:7]
	s_cbranch_execz .LBB675_772
; %bb.767:
	s_movk_i32 s3, 0x80
	v_cmp_ne_u16_sdwa s[8:9], v5, s3 src0_sel:BYTE_0 src1_sel:DWORD
	v_mov_b32_e32 v12, 0xffff8000
	s_and_saveexec_b64 s[6:7], s[8:9]
	s_cbranch_execz .LBB675_771
; %bb.768:
	s_movk_i32 s3, 0x7f
	v_and_b32_e32 v6, 0x7f, v5
	v_cmp_ne_u32_e32 vcc, s3, v6
	v_mov_b32_e32 v12, 0x7f80
	s_and_saveexec_b64 s[8:9], vcc
	s_cbranch_execz .LBB675_770
; %bb.769:
	v_and_b32_e32 v12, 7, v5
	v_ffbh_u32_e32 v12, v12
	v_min_u32_e32 v12, 32, v12
	v_lshrrev_b32_e32 v13, 3, v6
	v_subrev_u32_e32 v16, 28, v12
	v_sub_u32_e32 v12, 29, v12
	v_cmp_gt_u32_e32 vcc, 8, v6
	v_cndmask_b32_e32 v6, v13, v12, vcc
	v_cndmask_b32_e32 v12, 0, v16, vcc
	v_lshlrev_b64 v[12:13], v12, v[2:3]
	v_lshlrev_b32_e32 v3, 20, v12
	v_lshlrev_b32_e32 v12, 24, v2
	v_bfrev_b32_e32 v13, 60
	v_and_b32_e32 v3, 0x700000, v3
	v_and_b32_e32 v12, 0x80000000, v12
	v_lshl_add_u32 v6, v6, 23, v13
	v_or3_b32 v3, v12, v6, v3
	v_lshrrev_b32_e32 v12, 16, v3
.LBB675_770:
	s_or_b64 exec, exec, s[8:9]
.LBB675_771:
	s_or_b64 exec, exec, s[6:7]
.LBB675_772:
	s_or_b64 exec, exec, s[0:1]
	v_lshrrev_b16_e32 v6, 8, v2
	v_cmp_ne_u16_e32 vcc, 0, v6
	s_and_saveexec_b64 s[0:1], vcc
	s_cbranch_execz .LBB675_778
; %bb.773:
	s_movk_i32 s3, 0x80
	v_cmp_ne_u16_e32 vcc, s3, v6
	v_mov_b32_e32 v11, 0xffff8000
	s_and_saveexec_b64 s[6:7], vcc
	s_cbranch_execz .LBB675_777
; %bb.774:
	s_movk_i32 s3, 0x7f
	v_and_b32_e32 v3, 0x7f, v6
	v_cmp_ne_u32_e32 vcc, s3, v3
	v_mov_b32_e32 v11, 0x7f80
	s_and_saveexec_b64 s[8:9], vcc
	s_cbranch_execz .LBB675_776
; %bb.775:
	v_and_b32_e32 v11, 7, v6
	v_ffbh_u32_e32 v16, v11
	v_min_u32_e32 v18, 32, v16
	v_subrev_u32_e32 v16, 28, v18
	v_lshlrev_b64 v[16:17], v16, v[6:7]
	v_lshrrev_b32_e32 v13, 3, v3
	v_sub_u32_e32 v6, 29, v18
	v_and_b32_e32 v16, 7, v16
	v_cmp_gt_u32_e32 vcc, 8, v3
	v_cndmask_b32_e32 v3, v13, v6, vcc
	v_cndmask_b32_e32 v6, v11, v16, vcc
	v_lshlrev_b32_e32 v2, 16, v2
	v_bfrev_b32_e32 v11, 60
	v_lshlrev_b32_e32 v6, 20, v6
	v_and_b32_e32 v2, 0x80000000, v2
	v_lshl_add_u32 v3, v3, 23, v11
	v_or3_b32 v2, v2, v3, v6
	v_lshrrev_b32_e32 v11, 16, v2
.LBB675_776:
	s_or_b64 exec, exec, s[8:9]
.LBB675_777:
	s_or_b64 exec, exec, s[6:7]
.LBB675_778:
	s_or_b64 exec, exec, s[0:1]
	s_movk_i32 s0, 0xff
	v_and_b32_sdwa v13, v5, s0 dst_sel:DWORD dst_unused:UNUSED_PAD src0_sel:WORD_1 src1_sel:DWORD
	v_lshrrev_b32_e32 v2, 16, v5
	v_cmp_ne_u16_e32 vcc, 0, v13
	v_mov_b32_e32 v3, 0
	v_mov_b32_e32 v6, 0
	s_and_saveexec_b64 s[0:1], vcc
	s_cbranch_execz .LBB675_784
; %bb.779:
	s_movk_i32 s3, 0x80
	v_cmp_ne_u16_e32 vcc, s3, v13
	v_mov_b32_e32 v6, 0xffff8000
	s_and_saveexec_b64 s[6:7], vcc
	s_cbranch_execz .LBB675_783
; %bb.780:
	v_bfe_u32 v13, v5, 16, 7
	s_movk_i32 s3, 0x7f
	v_cmp_ne_u32_e32 vcc, s3, v13
	v_mov_b32_e32 v6, 0x7f80
	s_and_saveexec_b64 s[8:9], vcc
	s_cbranch_execz .LBB675_782
; %bb.781:
	v_and_b32_e32 v6, 7, v2
	v_ffbh_u32_e32 v16, v6
	v_min_u32_e32 v19, 32, v16
	v_subrev_u32_e32 v16, 28, v19
	v_lshlrev_b64 v[16:17], v16, v[2:3]
	v_lshrrev_b32_e32 v18, 3, v13
	v_sub_u32_e32 v2, 29, v19
	v_and_b32_e32 v16, 7, v16
	v_cmp_gt_u32_e32 vcc, 8, v13
	v_mov_b32_e32 v13, 24
	v_cndmask_b32_e32 v2, v18, v2, vcc
	v_cndmask_b32_e32 v6, v6, v16, vcc
	v_lshlrev_b32_sdwa v13, v13, v5 dst_sel:DWORD dst_unused:UNUSED_PAD src0_sel:DWORD src1_sel:WORD_1
	v_bfrev_b32_e32 v16, 60
	v_lshlrev_b32_e32 v6, 20, v6
	v_and_b32_e32 v13, 0x80000000, v13
	v_lshl_add_u32 v2, v2, 23, v16
	v_or3_b32 v2, v13, v2, v6
	v_lshrrev_b32_e32 v6, 16, v2
.LBB675_782:
	s_or_b64 exec, exec, s[8:9]
.LBB675_783:
	s_or_b64 exec, exec, s[6:7]
.LBB675_784:
	s_or_b64 exec, exec, s[0:1]
	s_mov_b32 s0, -1
	s_mov_b32 s1, 0xffffff
	v_cmp_lt_u64_e32 vcc, s[0:1], v[4:5]
	s_and_saveexec_b64 s[0:1], vcc
	s_cbranch_execz .LBB675_790
; %bb.785:
	v_lshrrev_b32_e32 v2, 24, v5
	s_movk_i32 s3, 0x80
	v_cmp_ne_u32_e32 vcc, s3, v2
	v_mov_b32_e32 v3, 0xffff8000
	s_and_saveexec_b64 s[6:7], vcc
	s_cbranch_execz .LBB675_789
; %bb.786:
	v_bfe_u32 v4, v5, 24, 7
	s_movk_i32 s3, 0x7f
	v_cmp_ne_u32_e32 vcc, s3, v4
	v_mov_b32_e32 v3, 0x7f80
	s_and_saveexec_b64 s[8:9], vcc
	s_cbranch_execz .LBB675_788
; %bb.787:
	v_and_b32_e32 v3, 7, v2
	v_ffbh_u32_e32 v13, v3
	v_min_u32_e32 v13, 32, v13
	v_subrev_u32_e32 v16, 28, v13
	v_lshlrev_b64 v[16:17], v16, v[2:3]
	v_lshrrev_b32_e32 v5, 3, v4
	v_sub_u32_e32 v13, 29, v13
	v_and_b32_e32 v16, 7, v16
	v_cmp_gt_u32_e32 vcc, 8, v4
	v_cndmask_b32_e32 v4, v5, v13, vcc
	v_cndmask_b32_e32 v3, v3, v16, vcc
	v_lshlrev_b32_e32 v2, 24, v2
	v_bfrev_b32_e32 v5, 60
	v_lshlrev_b32_e32 v3, 20, v3
	v_and_b32_e32 v2, 0x80000000, v2
	v_lshl_add_u32 v4, v4, 23, v5
	v_or3_b32 v2, v2, v4, v3
	v_lshrrev_b32_e32 v3, 16, v2
.LBB675_788:
	s_or_b64 exec, exec, s[8:9]
.LBB675_789:
	s_or_b64 exec, exec, s[6:7]
.LBB675_790:
	s_or_b64 exec, exec, s[0:1]
	s_mov_b32 s0, 0x5040100
	v_perm_b32 v5, v10, v9, s0
	v_perm_b32 v4, v7, v8, s0
	;; [unrolled: 1-line block ×4, first 2 shown]
	v_mfma_f32_4x4x4bf16_1k a[0:3], v[14:15], v[4:5], a[0:3] cbsz:4 abid:14
	s_load_dword s0, s[14:15], 0x0
	v_mfma_f32_4x4x4bf16_1k a[0:3], v[14:15], v[2:3], a[0:3] cbsz:4 abid:15
	s_nop 4
	v_accvgpr_read_b32 v5, a1
	v_accvgpr_read_b32 v4, a0
	;; [unrolled: 1-line block ×4, first 2 shown]
	s_waitcnt lgkmcnt(0)
	v_pk_mul_f32 v[4:5], v[4:5], s[0:1] op_sel_hi:[1,0]
	v_pk_mul_f32 v[2:3], v[2:3], s[0:1] op_sel_hi:[1,0]
	v_bfe_u32 v6, v5, 16, 1
	v_bfe_u32 v7, v4, 16, 1
	s_movk_i32 s0, 0x7fff
	v_add3_u32 v4, v4, v7, s0
	v_add3_u32 v5, v5, v6, s0
	v_bfe_u32 v6, v3, 16, 1
	v_bfe_u32 v7, v2, 16, 1
	v_add3_u32 v2, v2, v7, s0
	v_add3_u32 v3, v3, v6, s0
	s_mov_b32 s0, 0x7060302
	v_perm_b32 v23, v3, v2, s0
	v_perm_b32 v22, v5, v4, s0
.LBB675_791:
	s_or_b64 exec, exec, s[4:5]
	v_lshlrev_b32_e32 v1, 3, v1
	v_mad_u32_u24 v1, v42, 40, v1
	v_cmp_gt_u32_e32 vcc, 64, v0
	ds_write_b64 v1, v[22:23]
	s_waitcnt lgkmcnt(0)
	s_barrier
	s_and_saveexec_b64 s[0:1], vcc
	s_cbranch_execz .LBB675_793
; %bb.792:
	v_mul_u32_u24_e32 v1, 40, v42
	s_waitcnt vmcnt(0)
	ds_read2_b64 v[2:5], v1 offset1:1
	ds_read2_b64 v[6:9], v1 offset0:2 offset1:3
	s_mov_b32 s1, 0
	s_lshl_b32 s0, s2, 6
	s_lshl_b64 s[2:3], s[0:1], 1
	s_waitcnt lgkmcnt(1)
	v_and_b32_e32 v1, 0xffff0000, v2
	v_add_f32_e32 v1, 0, v1
	v_and_b32_e32 v3, 0xffff0000, v4
	v_and_b32_e32 v1, 0xffff0000, v1
	v_add_f32_e32 v1, v1, v3
	s_waitcnt lgkmcnt(0)
	v_and_b32_e32 v5, 0xffff0000, v6
	v_and_b32_e32 v1, 0xffff0000, v1
	v_add_f32_e32 v1, v1, v5
	v_and_b32_e32 v1, 0xffff0000, v1
	v_and_b32_e32 v3, 0xffff0000, v8
	v_add_f32_e32 v7, v1, v3
	v_lshlrev_b32_e32 v1, 16, v2
	s_add_u32 s2, s24, s2
	v_add_f32_e32 v1, 0, v1
	s_addc_u32 s3, s25, s3
	s_lshl_b32 s0, s10, 6
	v_and_b32_e32 v1, 0xffff0000, v1
	v_lshlrev_b32_e32 v2, 16, v4
	s_lshl_b64 s[0:1], s[0:1], 1
	v_add_f32_e32 v1, v1, v2
	s_add_u32 s0, s2, s0
	v_and_b32_e32 v1, 0xffff0000, v1
	v_lshlrev_b32_e32 v2, 16, v6
	s_addc_u32 s1, s3, s1
	s_lshl_b32 s2, s38, 6
	v_add_f32_e32 v1, v1, v2
	v_and_b32_e32 v1, 0xffff0000, v1
	v_lshlrev_b32_e32 v2, 16, v8
	s_mul_i32 s3, s2, s33
	v_add_f32_e32 v1, v1, v2
	v_or_b32_e32 v2, s3, v0
	v_mov_b32_e32 v3, 0
	v_lshlrev_b64 v[4:5], 1, v[2:3]
	v_mov_b32_e32 v2, s1
	v_add_co_u32_e32 v4, vcc, s0, v4
	s_add_i32 s3, s3, s2
	v_addc_co_u32_e32 v5, vcc, v2, v5, vcc
	v_or_b32_e32 v2, s3, v0
	global_store_short_d16_hi v[4:5], v1, off
	v_lshlrev_b64 v[0:1], 1, v[2:3]
	v_mov_b32_e32 v2, s1
	v_add_co_u32_e32 v0, vcc, s0, v0
	v_addc_co_u32_e32 v1, vcc, v2, v1, vcc
	global_store_short_d16_hi v[0:1], v7, off
.LBB675_793:
	s_endpgm
	.section	.rodata,"a",@progbits
	.p2align	6, 0x0
	.amdhsa_kernel _Z38paged_attention_ll4mi_QKV_mfma4_kernelI14__hip_bfloat16hLN4vllm18Fp8KVCacheDataTypeE1ES0_Li16ELi64ELi256ELb1ELi2EEvPKT_PKT0_S8_ifPKiSA_SA_iPKfiiiPfSD_PS3_PT2_iSC_SC_
		.amdhsa_group_segment_fixed_size 2720
		.amdhsa_private_segment_fixed_size 0
		.amdhsa_kernarg_size 400
		.amdhsa_user_sgpr_count 6
		.amdhsa_user_sgpr_private_segment_buffer 1
		.amdhsa_user_sgpr_dispatch_ptr 0
		.amdhsa_user_sgpr_queue_ptr 0
		.amdhsa_user_sgpr_kernarg_segment_ptr 1
		.amdhsa_user_sgpr_dispatch_id 0
		.amdhsa_user_sgpr_flat_scratch_init 0
		.amdhsa_user_sgpr_kernarg_preload_length 0
		.amdhsa_user_sgpr_kernarg_preload_offset 0
		.amdhsa_user_sgpr_private_segment_size 0
		.amdhsa_uses_dynamic_stack 0
		.amdhsa_system_sgpr_private_segment_wavefront_offset 0
		.amdhsa_system_sgpr_workgroup_id_x 1
		.amdhsa_system_sgpr_workgroup_id_y 1
		.amdhsa_system_sgpr_workgroup_id_z 1
		.amdhsa_system_sgpr_workgroup_info 0
		.amdhsa_system_vgpr_workitem_id 0
		.amdhsa_next_free_vgpr 60
		.amdhsa_next_free_sgpr 44
		.amdhsa_accum_offset 56
		.amdhsa_reserve_vcc 1
		.amdhsa_reserve_flat_scratch 0
		.amdhsa_float_round_mode_32 0
		.amdhsa_float_round_mode_16_64 0
		.amdhsa_float_denorm_mode_32 3
		.amdhsa_float_denorm_mode_16_64 3
		.amdhsa_dx10_clamp 1
		.amdhsa_ieee_mode 1
		.amdhsa_fp16_overflow 0
		.amdhsa_tg_split 0
		.amdhsa_exception_fp_ieee_invalid_op 0
		.amdhsa_exception_fp_denorm_src 0
		.amdhsa_exception_fp_ieee_div_zero 0
		.amdhsa_exception_fp_ieee_overflow 0
		.amdhsa_exception_fp_ieee_underflow 0
		.amdhsa_exception_fp_ieee_inexact 0
		.amdhsa_exception_int_div_zero 0
	.end_amdhsa_kernel
	.section	.text._Z38paged_attention_ll4mi_QKV_mfma4_kernelI14__hip_bfloat16hLN4vllm18Fp8KVCacheDataTypeE1ES0_Li16ELi64ELi256ELb1ELi2EEvPKT_PKT0_S8_ifPKiSA_SA_iPKfiiiPfSD_PS3_PT2_iSC_SC_,"axG",@progbits,_Z38paged_attention_ll4mi_QKV_mfma4_kernelI14__hip_bfloat16hLN4vllm18Fp8KVCacheDataTypeE1ES0_Li16ELi64ELi256ELb1ELi2EEvPKT_PKT0_S8_ifPKiSA_SA_iPKfiiiPfSD_PS3_PT2_iSC_SC_,comdat
.Lfunc_end675:
	.size	_Z38paged_attention_ll4mi_QKV_mfma4_kernelI14__hip_bfloat16hLN4vllm18Fp8KVCacheDataTypeE1ES0_Li16ELi64ELi256ELb1ELi2EEvPKT_PKT0_S8_ifPKiSA_SA_iPKfiiiPfSD_PS3_PT2_iSC_SC_, .Lfunc_end675-_Z38paged_attention_ll4mi_QKV_mfma4_kernelI14__hip_bfloat16hLN4vllm18Fp8KVCacheDataTypeE1ES0_Li16ELi64ELi256ELb1ELi2EEvPKT_PKT0_S8_ifPKiSA_SA_iPKfiiiPfSD_PS3_PT2_iSC_SC_
                                        ; -- End function
	.section	.AMDGPU.csdata,"",@progbits
; Kernel info:
; codeLenInByte = 27864
; NumSgprs: 48
; NumVgprs: 56
; NumAgprs: 4
; TotalNumVgprs: 60
; ScratchSize: 0
; MemoryBound: 0
; FloatMode: 240
; IeeeMode: 1
; LDSByteSize: 2720 bytes/workgroup (compile time only)
; SGPRBlocks: 5
; VGPRBlocks: 7
; NumSGPRsForWavesPerEU: 48
; NumVGPRsForWavesPerEU: 60
; AccumOffset: 56
; Occupancy: 8
; WaveLimiterHint : 1
; COMPUTE_PGM_RSRC2:SCRATCH_EN: 0
; COMPUTE_PGM_RSRC2:USER_SGPR: 6
; COMPUTE_PGM_RSRC2:TRAP_HANDLER: 0
; COMPUTE_PGM_RSRC2:TGID_X_EN: 1
; COMPUTE_PGM_RSRC2:TGID_Y_EN: 1
; COMPUTE_PGM_RSRC2:TGID_Z_EN: 1
; COMPUTE_PGM_RSRC2:TIDIG_COMP_CNT: 0
; COMPUTE_PGM_RSRC3_GFX90A:ACCUM_OFFSET: 13
; COMPUTE_PGM_RSRC3_GFX90A:TG_SPLIT: 0
	.section	.text._Z38paged_attention_ll4mi_QKV_mfma4_kernelI14__hip_bfloat16hLN4vllm18Fp8KVCacheDataTypeE1ES0_Li16ELi64ELi256ELb1ELi3EEvPKT_PKT0_S8_ifPKiSA_SA_iPKfiiiPfSD_PS3_PT2_iSC_SC_,"axG",@progbits,_Z38paged_attention_ll4mi_QKV_mfma4_kernelI14__hip_bfloat16hLN4vllm18Fp8KVCacheDataTypeE1ES0_Li16ELi64ELi256ELb1ELi3EEvPKT_PKT0_S8_ifPKiSA_SA_iPKfiiiPfSD_PS3_PT2_iSC_SC_,comdat
	.protected	_Z38paged_attention_ll4mi_QKV_mfma4_kernelI14__hip_bfloat16hLN4vllm18Fp8KVCacheDataTypeE1ES0_Li16ELi64ELi256ELb1ELi3EEvPKT_PKT0_S8_ifPKiSA_SA_iPKfiiiPfSD_PS3_PT2_iSC_SC_ ; -- Begin function _Z38paged_attention_ll4mi_QKV_mfma4_kernelI14__hip_bfloat16hLN4vllm18Fp8KVCacheDataTypeE1ES0_Li16ELi64ELi256ELb1ELi3EEvPKT_PKT0_S8_ifPKiSA_SA_iPKfiiiPfSD_PS3_PT2_iSC_SC_
	.globl	_Z38paged_attention_ll4mi_QKV_mfma4_kernelI14__hip_bfloat16hLN4vllm18Fp8KVCacheDataTypeE1ES0_Li16ELi64ELi256ELb1ELi3EEvPKT_PKT0_S8_ifPKiSA_SA_iPKfiiiPfSD_PS3_PT2_iSC_SC_
	.p2align	8
	.type	_Z38paged_attention_ll4mi_QKV_mfma4_kernelI14__hip_bfloat16hLN4vllm18Fp8KVCacheDataTypeE1ES0_Li16ELi64ELi256ELb1ELi3EEvPKT_PKT0_S8_ifPKiSA_SA_iPKfiiiPfSD_PS3_PT2_iSC_SC_,@function
_Z38paged_attention_ll4mi_QKV_mfma4_kernelI14__hip_bfloat16hLN4vllm18Fp8KVCacheDataTypeE1ES0_Li16ELi64ELi256ELb1ELi3EEvPKT_PKT0_S8_ifPKiSA_SA_iPKfiiiPfSD_PS3_PT2_iSC_SC_: ; @_Z38paged_attention_ll4mi_QKV_mfma4_kernelI14__hip_bfloat16hLN4vllm18Fp8KVCacheDataTypeE1ES0_Li16ELi64ELi256ELb1ELi3EEvPKT_PKT0_S8_ifPKiSA_SA_iPKfiiiPfSD_PS3_PT2_iSC_SC_
; %bb.0:
	s_load_dwordx2 s[2:3], s[4:5], 0x30
	s_mov_b32 s10, s7
	s_mov_b64 s[0:1], 0
	s_waitcnt lgkmcnt(0)
	s_cmp_lg_u64 s[2:3], 0
	s_cselect_b64 s[20:21], -1, 0
	s_and_b64 vcc, exec, s[20:21]
	s_cbranch_vccz .LBB676_10
; %bb.1:
	s_add_i32 s12, s6, 1
	s_mov_b32 s13, 0
	s_lshl_b64 s[14:15], s[12:13], 2
	s_add_u32 s14, s2, s14
	s_mov_b32 s7, s13
	s_addc_u32 s15, s3, s15
	s_lshl_b64 s[12:13], s[6:7], 2
	s_add_u32 s12, s2, s12
	s_addc_u32 s13, s3, s13
	s_load_dword s9, s[14:15], 0x0
	s_load_dword s11, s[12:13], 0x0
	s_waitcnt lgkmcnt(0)
	s_sub_i32 s9, s9, s11
	s_cmp_eq_u32 s9, 1
	s_cselect_b64 s[12:13], -1, 0
	s_andn2_b64 vcc, exec, s[0:1]
	s_cbranch_vccnz .LBB676_3
.LBB676_2:
	s_mov_b32 s7, 0
	s_mov_b64 s[12:13], -1
.LBB676_3:
	s_andn2_b64 vcc, exec, s[12:13]
	s_cbranch_vccnz .LBB676_793
; %bb.4:
	s_load_dword s9, s[4:5], 0x9c
	s_load_dwordx2 s[0:1], s[4:5], 0x28
	s_add_u32 s26, s4, 0x90
	s_addc_u32 s27, s5, 0
	s_lshl_b64 s[22:23], s[6:7], 2
	s_waitcnt lgkmcnt(0)
	s_and_b32 s9, s9, 0xffff
	s_add_u32 s0, s0, s22
	s_addc_u32 s1, s1, s23
	s_load_dword s7, s[0:1], 0x0
	s_mul_i32 s9, s10, s9
	s_waitcnt lgkmcnt(0)
	s_cmp_ge_i32 s9, s7
	s_cbranch_scc1 .LBB676_793
; %bb.5:
	v_and_b32_e32 v2, 0xc0, v0
	v_add_u32_e32 v4, s9, v2
	v_lshrrev_b32_e32 v1, 6, v0
	v_cmp_gt_i32_e64 s[0:1], s7, v4
	v_cmp_le_i32_e32 vcc, s7, v4
                                        ; implicit-def: $sgpr30
                                        ; implicit-def: $sgpr11
	s_and_saveexec_b64 s[12:13], vcc
	s_xor_b64 s[12:13], exec, s[12:13]
	s_cbranch_execz .LBB676_7
; %bb.6:
	v_mul_u32_u24_e32 v2, 20, v1
	v_or_b32_e32 v2, 0xa00, v2
	v_mov_b32_e32 v3, 0xa50
	v_mov_b32_e32 v4, 0xff7fffff
	v_mad_u32_u24 v3, v1, 20, v3
	ds_write2_b32 v2, v4, v4 offset1:1
	v_mov_b32_e32 v2, 0
	ds_write2_b32 v3, v2, v2 offset1:1
	v_mov_b32_e32 v3, 0xa08
	s_mov_b32 s11, 0xff7fffff
	s_mov_b32 s30, 0
	v_mad_u32_u24 v3, v1, 20, v3
	v_mov_b32_e32 v5, 0xa58
	v_mad_u32_u24 v5, v1, 20, v5
	ds_write2_b32 v3, v4, v4 offset1:1
	ds_write2_b32 v5, v2, v2 offset1:1
                                        ; implicit-def: $vgpr4
.LBB676_7:
	s_or_saveexec_b64 s[28:29], s[12:13]
	s_load_dwordx2 s[24:25], s[4:5], 0x68
	s_load_dwordx4 s[16:19], s[4:5], 0x58
	s_load_dword s40, s[26:27], 0x4
	s_load_dwordx4 s[12:15], s[4:5], 0x80
	v_and_b32_e32 v42, 63, v0
	v_and_b32_e32 v43, 3, v0
	s_mul_i32 s33, s8, 3
	v_mov_b32_e32 v21, s30
	v_mov_b32_e32 v25, s11
	;; [unrolled: 1-line block ×5, first 2 shown]
                                        ; implicit-def: $vgpr14_vgpr15
                                        ; implicit-def: $vgpr10_vgpr11
                                        ; implicit-def: $vgpr6_vgpr7
                                        ; implicit-def: $vgpr2_vgpr3
	s_xor_b64 exec, exec, s[28:29]
	s_cbranch_execz .LBB676_403
; %bb.8:
	s_add_i32 s34, s7, 15
	s_ashr_i32 s35, s34, 31
	s_load_dwordx2 s[30:31], s[4:5], 0x20
	s_load_dword s11, s[4:5], 0x38
	s_lshr_b32 s35, s35, 28
	v_add_u32_e32 v44, s9, v0
	s_add_i32 s34, s34, s35
	v_ashrrev_i32_e32 v2, 31, v44
	s_ashr_i32 s34, s34, 4
	v_lshrrev_b32_e32 v2, 28, v2
	s_add_i32 s36, s34, -1
	v_add_u32_e32 v2, v44, v2
	v_ashrrev_i32_e32 v2, 4, v2
	v_mov_b32_e32 v3, s36
	v_cmp_gt_i32_e32 vcc, s7, v44
	s_waitcnt lgkmcnt(0)
	s_mul_i32 s34, s6, s11
	s_mov_b32 s35, 0
	v_cndmask_b32_e32 v2, v3, v2, vcc
	s_lshl_b64 s[34:35], s[34:35], 2
	v_ashrrev_i32_e32 v3, 31, v2
	s_add_u32 s11, s30, s34
	v_lshlrev_b64 v[2:3], 2, v[2:3]
	v_add_co_u32_e32 v8, vcc, s11, v2
	v_ashrrev_i32_e32 v2, 31, v4
	v_lshrrev_b32_e32 v2, 28, v2
	v_add_u32_e32 v2, v4, v2
	s_addc_u32 s30, s31, s35
	v_ashrrev_i32_e32 v4, 4, v2
	v_mov_b32_e32 v5, s30
	v_min_i32_e32 v2, s36, v4
	v_addc_co_u32_e32 v9, vcc, v5, v3, vcc
	v_ashrrev_i32_e32 v3, 31, v2
	v_lshlrev_b64 v[2:3], 2, v[2:3]
	v_add_co_u32_e32 v10, vcc, s11, v2
	v_add_u32_e32 v2, 1, v4
	v_min_i32_e32 v2, s36, v2
	v_addc_co_u32_e32 v11, vcc, v5, v3, vcc
	v_ashrrev_i32_e32 v3, 31, v2
	v_lshlrev_b64 v[2:3], 2, v[2:3]
	v_add_co_u32_e32 v12, vcc, s11, v2
	v_add_u32_e32 v2, 2, v4
	;; [unrolled: 6-line block ×3, first 2 shown]
	v_min_i32_e32 v2, s36, v2
	v_addc_co_u32_e32 v15, vcc, v5, v3, vcc
	v_ashrrev_i32_e32 v3, 31, v2
	v_lshlrev_b64 v[2:3], 2, v[2:3]
	v_mov_b32_e32 v4, s30
	v_add_co_u32_e32 v16, vcc, s11, v2
	v_addc_co_u32_e32 v17, vcc, v4, v3, vcc
	global_load_dword v6, v[8:9], off
	global_load_dword v5, v[10:11], off
	;; [unrolled: 1-line block ×5, first 2 shown]
	s_load_dwordx2 s[34:35], s[4:5], 0x8
	s_andn2_b64 vcc, exec, s[20:21]
	s_cbranch_vccnz .LBB676_11
; %bb.9:
	s_add_u32 s2, s2, s22
	s_addc_u32 s3, s3, s23
	s_load_dword s9, s[2:3], 0x0
	s_branch .LBB676_12
.LBB676_10:
	s_mov_b64 s[12:13], 0
	s_branch .LBB676_2
.LBB676_11:
	s_mov_b32 s9, s6
.LBB676_12:
	s_load_dwordx2 s[30:31], s[4:5], 0x10
	s_load_dwordx4 s[20:23], s[4:5], 0x48
	v_cmp_eq_u32_e32 vcc, 3, v43
	v_cmp_ne_u32_e64 s[2:3], 3, v43
	s_mov_b32 s39, 0
	v_mov_b32_e32 v45, 0
	v_mov_b32_e32 v18, 0
	;; [unrolled: 1-line block ×5, first 2 shown]
	s_and_saveexec_b64 s[36:37], s[2:3]
	s_cbranch_execz .LBB676_14
; %bb.13:
	s_load_dwordx2 s[42:43], s[4:5], 0x0
	s_waitcnt lgkmcnt(0)
	s_ashr_i32 s11, s20, 31
	s_mul_hi_u32 s23, s9, s20
	s_mul_i32 s11, s9, s11
	s_add_i32 s45, s23, s11
	s_mul_i32 s44, s9, s20
	s_lshl_b64 s[44:45], s[44:45], 1
	s_add_u32 s9, s42, s44
	s_mul_i32 s38, s8, 0xc0
	s_addc_u32 s11, s43, s45
	s_lshl_b64 s[38:39], s[38:39], 1
	s_add_u32 s38, s9, s38
	v_lshlrev_b32_e32 v7, 3, v43
	v_lshrrev_b32_e32 v8, 2, v42
	s_addc_u32 s39, s11, s39
	v_add_lshl_u32 v7, v7, v8, 4
	global_load_dwordx4 v[18:21], v7, s[38:39]
.LBB676_14:
	s_or_b64 exec, exec, s[36:37]
	s_waitcnt lgkmcnt(0)
	s_mul_i32 s11, s8, s22
	s_add_u32 s8, s11, s34
	s_addc_u32 s9, 0, s35
	v_pk_mov_b32 v[8:9], s[8:9], s[8:9] op_sel:[0,1]
	s_waitcnt vmcnt(4)
	v_mad_i64_i32 v[6:7], s[8:9], v6, s21, v[8:9]
	v_lshlrev_b32_e32 v8, 4, v0
	v_and_b32_e32 v8, 0xf0, v8
	v_add_co_u32_e64 v6, s[8:9], v6, v8
	v_addc_co_u32_e64 v7, s[8:9], 0, v7, s[8:9]
	global_load_dwordx4 v[34:37], v[6:7], off
	global_load_dwordx4 v[30:33], v[6:7], off offset:256
	global_load_dwordx4 v[26:29], v[6:7], off offset:512
	;; [unrolled: 1-line block ×3, first 2 shown]
	s_and_saveexec_b64 s[8:9], s[2:3]
	s_cbranch_execz .LBB676_16
; %bb.15:
	s_load_dwordx2 s[2:3], s[4:5], 0x40
	v_add_u32_e32 v6, s33, v43
	v_mov_b32_e32 v7, 0
	v_lshlrev_b64 v[6:7], 2, v[6:7]
	s_waitcnt lgkmcnt(0)
	v_mov_b32_e32 v8, s3
	v_add_co_u32_e64 v6, s[2:3], s2, v6
	v_addc_co_u32_e64 v7, s[2:3], v8, v7, s[2:3]
	global_load_dword v45, v[6:7], off
.LBB676_16:
	s_or_b64 exec, exec, s[8:9]
	s_add_u32 s2, s30, s11
	s_addc_u32 s3, s31, 0
	v_lshlrev_b32_e32 v6, 4, v42
	v_mov_b32_e32 v7, s3
	v_add_co_u32_e64 v8, s[2:3], s2, v6
	s_waitcnt vmcnt(7)
	v_mul_hi_i32 v6, v5, s21
	v_ashrrev_i32_e32 v6, 31, v6
	v_lshrrev_b32_e32 v38, 29, v6
	v_mov_b32_e32 v39, 0
	v_addc_co_u32_e64 v9, s[2:3], 0, v7, s[2:3]
	v_mad_i64_i32 v[6:7], s[2:3], v5, s21, v[38:39]
	v_and_b32_e32 v5, -8, v6
	v_add_co_u32_e64 v6, s[2:3], v8, v5
	s_waitcnt vmcnt(6)
	v_mul_hi_i32 v5, v4, s21
	v_ashrrev_i32_e32 v5, 31, v5
	v_lshrrev_b32_e32 v38, 29, v5
	v_addc_co_u32_e64 v7, s[2:3], v9, v7, s[2:3]
	v_mad_i64_i32 v[4:5], s[2:3], v4, s21, v[38:39]
	v_and_b32_e32 v4, -8, v4
	v_add_co_u32_e64 v4, s[2:3], v8, v4
	v_addc_co_u32_e64 v5, s[2:3], v9, v5, s[2:3]
	global_load_dwordx4 v[14:17], v[6:7], off
	global_load_dwordx4 v[10:13], v[4:5], off
	s_waitcnt vmcnt(7)
	v_mul_hi_i32 v4, v3, s21
	v_ashrrev_i32_e32 v4, 31, v4
	v_lshrrev_b32_e32 v38, 29, v4
	v_mad_i64_i32 v[4:5], s[2:3], v3, s21, v[38:39]
	v_and_b32_e32 v3, -8, v4
	v_add_co_u32_e64 v40, s[2:3], v8, v3
	s_waitcnt vmcnt(6)
	v_mul_hi_i32 v3, v2, s21
	v_ashrrev_i32_e32 v3, 31, v3
	v_lshrrev_b32_e32 v38, 29, v3
	v_addc_co_u32_e64 v41, s[2:3], v9, v5, s[2:3]
	v_mad_i64_i32 v[2:3], s[2:3], v2, s21, v[38:39]
	v_and_b32_e32 v2, -8, v2
	v_add_co_u32_e64 v46, s[2:3], v8, v2
	v_addc_co_u32_e64 v47, s[2:3], v9, v3, s[2:3]
	global_load_dwordx4 v[6:9], v[40:41], off
	global_load_dwordx4 v[2:5], v[46:47], off
	s_waitcnt vmcnt(7)
	v_cmp_ne_u16_sdwa s[2:3], v34, v39 src0_sel:BYTE_0 src1_sel:DWORD
	v_mov_b32_e32 v46, 0
	s_and_saveexec_b64 s[8:9], s[2:3]
	s_cbranch_execz .LBB676_22
; %bb.17:
	s_movk_i32 s2, 0x80
	v_cmp_ne_u16_sdwa s[2:3], v34, s2 src0_sel:BYTE_0 src1_sel:DWORD
	v_mov_b32_e32 v46, 0xffff8000
	s_and_saveexec_b64 s[20:21], s[2:3]
	s_cbranch_execz .LBB676_21
; %bb.18:
	s_movk_i32 s2, 0x7f
	v_and_b32_e32 v38, 0x7f, v34
	v_cmp_ne_u32_e64 s[2:3], s2, v38
	v_mov_b32_e32 v46, 0x7f80
	s_and_saveexec_b64 s[22:23], s[2:3]
	s_cbranch_execz .LBB676_20
; %bb.19:
	v_and_b32_e32 v40, 7, v34
	v_ffbh_u32_e32 v40, v40
	v_min_u32_e32 v40, 32, v40
	v_lshrrev_b32_e32 v41, 3, v38
	v_subrev_u32_e32 v46, 28, v40
	v_sub_u32_e32 v40, 29, v40
	v_cmp_gt_u32_e64 s[2:3], 8, v38
	v_cndmask_b32_e64 v38, v41, v40, s[2:3]
	v_cndmask_b32_e64 v40, 0, v46, s[2:3]
	v_lshlrev_b64 v[40:41], v40, v[34:35]
	v_lshlrev_b32_e32 v40, 20, v40
	v_lshlrev_b32_e32 v41, 24, v34
	v_bfrev_b32_e32 v46, 60
	v_and_b32_e32 v40, 0x700000, v40
	v_and_b32_e32 v41, 0x80000000, v41
	v_lshl_add_u32 v38, v38, 23, v46
	v_or3_b32 v38, v41, v38, v40
	v_lshrrev_b32_e32 v46, 16, v38
.LBB676_20:
	s_or_b64 exec, exec, s[22:23]
.LBB676_21:
	s_or_b64 exec, exec, s[20:21]
.LBB676_22:
	s_or_b64 exec, exec, s[8:9]
	v_lshrrev_b16_e32 v38, 8, v34
	v_cmp_ne_u16_e64 s[2:3], 0, v38
	s_and_saveexec_b64 s[8:9], s[2:3]
	s_cbranch_execz .LBB676_28
; %bb.23:
	s_movk_i32 s2, 0x80
	v_cmp_ne_u16_e64 s[2:3], s2, v38
	v_mov_b32_e32 v39, 0xffff8000
	s_and_saveexec_b64 s[20:21], s[2:3]
	s_cbranch_execz .LBB676_27
; %bb.24:
	s_movk_i32 s2, 0x7f
	v_and_b32_e32 v40, 0x7f, v38
	v_cmp_ne_u32_e64 s[2:3], s2, v40
	v_mov_b32_e32 v39, 0x7f80
	s_and_saveexec_b64 s[22:23], s[2:3]
	s_cbranch_execz .LBB676_26
; %bb.25:
	v_and_b32_e32 v41, 7, v38
	v_ffbh_u32_e32 v39, v41
	v_min_u32_e32 v48, 32, v39
	v_subrev_u32_e32 v39, 28, v48
	v_lshlrev_b64 v[38:39], v39, v[38:39]
	v_lshrrev_b32_e32 v47, 3, v40
	v_sub_u32_e32 v39, 29, v48
	v_and_b32_e32 v38, 7, v38
	v_cmp_gt_u32_e64 s[2:3], 8, v40
	v_cndmask_b32_e64 v39, v47, v39, s[2:3]
	v_cndmask_b32_e64 v38, v41, v38, s[2:3]
	v_lshlrev_b32_e32 v40, 16, v34
	v_bfrev_b32_e32 v41, 60
	v_lshlrev_b32_e32 v38, 20, v38
	v_and_b32_e32 v40, 0x80000000, v40
	v_lshl_add_u32 v39, v39, 23, v41
	v_or3_b32 v38, v40, v39, v38
	v_lshrrev_b32_e32 v39, 16, v38
.LBB676_26:
	s_or_b64 exec, exec, s[22:23]
.LBB676_27:
	s_or_b64 exec, exec, s[20:21]
.LBB676_28:
	s_or_b64 exec, exec, s[8:9]
	s_movk_i32 s2, 0xff
	v_and_b32_sdwa v40, v34, s2 dst_sel:DWORD dst_unused:UNUSED_PAD src0_sel:WORD_1 src1_sel:DWORD
	v_lshrrev_b32_e32 v38, 16, v34
	v_cmp_ne_u16_e64 s[2:3], 0, v40
	v_mov_b32_e32 v41, 0
	v_mov_b32_e32 v47, 0
	s_and_saveexec_b64 s[8:9], s[2:3]
	s_cbranch_execz .LBB676_34
; %bb.29:
	s_movk_i32 s2, 0x80
	v_cmp_ne_u16_e64 s[2:3], s2, v40
	v_mov_b32_e32 v47, 0xffff8000
	s_and_saveexec_b64 s[20:21], s[2:3]
	s_cbranch_execz .LBB676_33
; %bb.30:
	v_bfe_u32 v40, v34, 16, 7
	s_movk_i32 s2, 0x7f
	v_cmp_ne_u32_e64 s[2:3], s2, v40
	v_mov_b32_e32 v47, 0x7f80
	s_and_saveexec_b64 s[22:23], s[2:3]
	s_cbranch_execz .LBB676_32
; %bb.31:
	v_and_b32_e32 v47, 7, v38
	v_ffbh_u32_e32 v48, v47
	v_min_u32_e32 v51, 32, v48
	v_subrev_u32_e32 v48, 28, v51
	v_lshlrev_b64 v[48:49], v48, v[38:39]
	v_and_b32_e32 v48, 7, v48
	v_cmp_gt_u32_e64 s[2:3], 8, v40
	v_lshrrev_b32_e32 v50, 3, v40
	v_sub_u32_e32 v38, 29, v51
	v_cndmask_b32_e64 v40, v47, v48, s[2:3]
	v_mov_b32_e32 v47, 24
	v_cndmask_b32_e64 v38, v50, v38, s[2:3]
	v_lshlrev_b32_sdwa v47, v47, v34 dst_sel:DWORD dst_unused:UNUSED_PAD src0_sel:DWORD src1_sel:WORD_1
	v_bfrev_b32_e32 v48, 60
	v_lshlrev_b32_e32 v40, 20, v40
	v_and_b32_e32 v47, 0x80000000, v47
	v_lshl_add_u32 v38, v38, 23, v48
	v_or3_b32 v38, v47, v38, v40
	v_lshrrev_b32_e32 v47, 16, v38
.LBB676_32:
	s_or_b64 exec, exec, s[22:23]
.LBB676_33:
	s_or_b64 exec, exec, s[20:21]
.LBB676_34:
	s_or_b64 exec, exec, s[8:9]
	s_mov_b32 s2, 0xffffff
	v_cmp_lt_u32_e64 s[2:3], s2, v34
	v_mov_b32_e32 v48, 0
	s_and_saveexec_b64 s[8:9], s[2:3]
	s_cbranch_execz .LBB676_40
; %bb.35:
	v_lshrrev_b32_e32 v38, 24, v34
	s_movk_i32 s2, 0x80
	v_cmp_ne_u32_e64 s[2:3], s2, v38
	v_mov_b32_e32 v48, 0xffff8000
	s_and_saveexec_b64 s[20:21], s[2:3]
	s_cbranch_execz .LBB676_39
; %bb.36:
	v_bfe_u32 v40, v34, 24, 7
	s_movk_i32 s2, 0x7f
	v_cmp_ne_u32_e64 s[2:3], s2, v40
	v_mov_b32_e32 v48, 0x7f80
	s_and_saveexec_b64 s[22:23], s[2:3]
	s_cbranch_execz .LBB676_38
; %bb.37:
	v_and_b32_e32 v50, 7, v38
	v_ffbh_u32_e32 v48, v50
	v_min_u32_e32 v52, 32, v48
	v_subrev_u32_e32 v48, 28, v52
	v_lshlrev_b64 v[48:49], v48, v[38:39]
	v_lshrrev_b32_e32 v51, 3, v40
	v_sub_u32_e32 v49, 29, v52
	v_and_b32_e32 v48, 7, v48
	v_cmp_gt_u32_e64 s[2:3], 8, v40
	v_cndmask_b32_e64 v40, v51, v49, s[2:3]
	v_cndmask_b32_e64 v48, v50, v48, s[2:3]
	v_lshlrev_b32_e32 v38, 24, v38
	v_bfrev_b32_e32 v49, 60
	v_lshlrev_b32_e32 v48, 20, v48
	v_and_b32_e32 v38, 0x80000000, v38
	v_lshl_add_u32 v40, v40, 23, v49
	v_or3_b32 v38, v38, v40, v48
	v_lshrrev_b32_e32 v48, 16, v38
.LBB676_38:
	s_or_b64 exec, exec, s[22:23]
.LBB676_39:
	s_or_b64 exec, exec, s[20:21]
.LBB676_40:
	s_or_b64 exec, exec, s[8:9]
	v_mov_b32_e32 v49, 0
	v_mov_b32_e32 v40, v35
	v_cmp_ne_u16_sdwa s[2:3], v35, v49 src0_sel:BYTE_0 src1_sel:DWORD
	v_mov_b32_e32 v50, 0
	s_and_saveexec_b64 s[8:9], s[2:3]
	s_cbranch_execz .LBB676_46
; %bb.41:
	s_movk_i32 s2, 0x80
	v_cmp_ne_u16_sdwa s[2:3], v35, s2 src0_sel:BYTE_0 src1_sel:DWORD
	v_mov_b32_e32 v50, 0xffff8000
	s_and_saveexec_b64 s[20:21], s[2:3]
	s_cbranch_execz .LBB676_45
; %bb.42:
	s_movk_i32 s2, 0x7f
	v_and_b32_e32 v38, 0x7f, v35
	v_cmp_ne_u32_e64 s[2:3], s2, v38
	v_mov_b32_e32 v50, 0x7f80
	s_and_saveexec_b64 s[22:23], s[2:3]
	s_cbranch_execz .LBB676_44
; %bb.43:
	v_and_b32_e32 v50, 7, v35
	v_ffbh_u32_e32 v50, v50
	v_min_u32_e32 v50, 32, v50
	v_lshrrev_b32_e32 v51, 3, v38
	v_subrev_u32_e32 v52, 28, v50
	v_sub_u32_e32 v50, 29, v50
	v_cmp_gt_u32_e64 s[2:3], 8, v38
	v_cndmask_b32_e64 v38, v51, v50, s[2:3]
	v_cndmask_b32_e64 v50, 0, v52, s[2:3]
	v_lshlrev_b64 v[50:51], v50, v[40:41]
	v_lshlrev_b32_e32 v41, 20, v50
	v_lshlrev_b32_e32 v50, 24, v40
	v_bfrev_b32_e32 v51, 60
	v_and_b32_e32 v41, 0x700000, v41
	v_and_b32_e32 v50, 0x80000000, v50
	v_lshl_add_u32 v38, v38, 23, v51
	v_or3_b32 v38, v50, v38, v41
	v_lshrrev_b32_e32 v50, 16, v38
.LBB676_44:
	s_or_b64 exec, exec, s[22:23]
.LBB676_45:
	s_or_b64 exec, exec, s[20:21]
.LBB676_46:
	s_or_b64 exec, exec, s[8:9]
	v_lshrrev_b16_e32 v38, 8, v40
	v_cmp_ne_u16_e64 s[2:3], 0, v38
	s_and_saveexec_b64 s[8:9], s[2:3]
	s_cbranch_execz .LBB676_52
; %bb.47:
	s_movk_i32 s2, 0x80
	v_cmp_ne_u16_e64 s[2:3], s2, v38
	v_mov_b32_e32 v49, 0xffff8000
	s_and_saveexec_b64 s[20:21], s[2:3]
	s_cbranch_execz .LBB676_51
; %bb.48:
	s_movk_i32 s2, 0x7f
	v_and_b32_e32 v41, 0x7f, v38
	v_cmp_ne_u32_e64 s[2:3], s2, v41
	v_mov_b32_e32 v49, 0x7f80
	s_and_saveexec_b64 s[22:23], s[2:3]
	s_cbranch_execz .LBB676_50
; %bb.49:
	v_and_b32_e32 v49, 7, v38
	v_ffbh_u32_e32 v52, v49
	v_min_u32_e32 v54, 32, v52
	v_subrev_u32_e32 v52, 28, v54
	v_lshlrev_b64 v[52:53], v52, v[38:39]
	v_lshrrev_b32_e32 v51, 3, v41
	v_sub_u32_e32 v38, 29, v54
	v_and_b32_e32 v52, 7, v52
	v_cmp_gt_u32_e64 s[2:3], 8, v41
	v_cndmask_b32_e64 v38, v51, v38, s[2:3]
	v_cndmask_b32_e64 v41, v49, v52, s[2:3]
	v_lshlrev_b32_e32 v40, 16, v40
	v_bfrev_b32_e32 v49, 60
	v_lshlrev_b32_e32 v41, 20, v41
	v_and_b32_e32 v40, 0x80000000, v40
	v_lshl_add_u32 v38, v38, 23, v49
	v_or3_b32 v38, v40, v38, v41
	v_lshrrev_b32_e32 v49, 16, v38
.LBB676_50:
	s_or_b64 exec, exec, s[22:23]
.LBB676_51:
	s_or_b64 exec, exec, s[20:21]
.LBB676_52:
	s_or_b64 exec, exec, s[8:9]
	s_movk_i32 s2, 0xff
	v_and_b32_sdwa v51, v35, s2 dst_sel:DWORD dst_unused:UNUSED_PAD src0_sel:WORD_1 src1_sel:DWORD
	v_lshrrev_b32_e32 v38, 16, v35
	v_cmp_ne_u16_e64 s[2:3], 0, v51
	v_mov_b32_e32 v40, 0
	v_mov_b32_e32 v41, 0
	s_and_saveexec_b64 s[8:9], s[2:3]
	s_cbranch_execz .LBB676_58
; %bb.53:
	s_movk_i32 s2, 0x80
	v_cmp_ne_u16_e64 s[2:3], s2, v51
	v_mov_b32_e32 v41, 0xffff8000
	s_and_saveexec_b64 s[20:21], s[2:3]
	s_cbranch_execz .LBB676_57
; %bb.54:
	v_bfe_u32 v51, v35, 16, 7
	s_movk_i32 s2, 0x7f
	v_cmp_ne_u32_e64 s[2:3], s2, v51
	v_mov_b32_e32 v41, 0x7f80
	s_and_saveexec_b64 s[22:23], s[2:3]
	s_cbranch_execz .LBB676_56
; %bb.55:
	v_and_b32_e32 v41, 7, v38
	v_ffbh_u32_e32 v52, v41
	v_min_u32_e32 v55, 32, v52
	v_subrev_u32_e32 v52, 28, v55
	v_lshlrev_b64 v[52:53], v52, v[38:39]
	v_lshrrev_b32_e32 v54, 3, v51
	v_sub_u32_e32 v38, 29, v55
	v_and_b32_e32 v52, 7, v52
	v_cmp_gt_u32_e64 s[2:3], 8, v51
	v_mov_b32_e32 v51, 24
	v_cndmask_b32_e64 v38, v54, v38, s[2:3]
	v_cndmask_b32_e64 v41, v41, v52, s[2:3]
	v_lshlrev_b32_sdwa v51, v51, v35 dst_sel:DWORD dst_unused:UNUSED_PAD src0_sel:DWORD src1_sel:WORD_1
	v_bfrev_b32_e32 v52, 60
	v_lshlrev_b32_e32 v41, 20, v41
	v_and_b32_e32 v51, 0x80000000, v51
	v_lshl_add_u32 v38, v38, 23, v52
	v_or3_b32 v38, v51, v38, v41
	v_lshrrev_b32_e32 v41, 16, v38
.LBB676_56:
	s_or_b64 exec, exec, s[22:23]
.LBB676_57:
	s_or_b64 exec, exec, s[20:21]
.LBB676_58:
	s_or_b64 exec, exec, s[8:9]
	s_mov_b32 s2, -1
	s_mov_b32 s3, 0xffffff
	v_cmp_lt_u64_e64 s[2:3], s[2:3], v[34:35]
	s_and_saveexec_b64 s[8:9], s[2:3]
	s_cbranch_execz .LBB676_64
; %bb.59:
	v_lshrrev_b32_e32 v34, 24, v35
	s_movk_i32 s2, 0x80
	v_cmp_ne_u32_e64 s[2:3], s2, v34
	v_mov_b32_e32 v40, 0xffff8000
	s_and_saveexec_b64 s[20:21], s[2:3]
	s_cbranch_execz .LBB676_63
; %bb.60:
	v_bfe_u32 v35, v35, 24, 7
	s_movk_i32 s2, 0x7f
	v_cmp_ne_u32_e64 s[2:3], s2, v35
	v_mov_b32_e32 v40, 0x7f80
	s_and_saveexec_b64 s[22:23], s[2:3]
	s_cbranch_execz .LBB676_62
; %bb.61:
	v_and_b32_e32 v38, 7, v34
	v_ffbh_u32_e32 v51, v38
	v_min_u32_e32 v51, 32, v51
	v_subrev_u32_e32 v52, 28, v51
	v_lshlrev_b64 v[52:53], v52, v[34:35]
	v_lshrrev_b32_e32 v40, 3, v35
	v_sub_u32_e32 v51, 29, v51
	v_and_b32_e32 v52, 7, v52
	v_cmp_gt_u32_e64 s[2:3], 8, v35
	v_cndmask_b32_e64 v35, v40, v51, s[2:3]
	v_cndmask_b32_e64 v38, v38, v52, s[2:3]
	v_lshlrev_b32_e32 v34, 24, v34
	v_bfrev_b32_e32 v40, 60
	v_lshlrev_b32_e32 v38, 20, v38
	v_and_b32_e32 v34, 0x80000000, v34
	v_lshl_add_u32 v35, v35, 23, v40
	v_or3_b32 v34, v34, v35, v38
	v_lshrrev_b32_e32 v40, 16, v34
.LBB676_62:
	s_or_b64 exec, exec, s[22:23]
.LBB676_63:
	s_or_b64 exec, exec, s[20:21]
.LBB676_64:
	s_or_b64 exec, exec, s[8:9]
	s_mov_b32 s2, 0x5040100
	v_perm_b32 v35, v48, v47, s2
	v_perm_b32 v34, v39, v46, s2
	;; [unrolled: 1-line block ×4, first 2 shown]
	v_mfma_f32_4x4x4bf16_1k a[0:3], v[18:19], v[34:35], 0 cbsz:4
	v_mov_b32_e32 v39, 0
	v_mfma_f32_4x4x4bf16_1k a[0:3], v[20:21], v[40:41], a[0:3] cbsz:4
	v_mov_b32_e32 v40, 0
	v_cmp_ne_u16_sdwa s[2:3], v36, v40 src0_sel:BYTE_0 src1_sel:DWORD
	s_and_saveexec_b64 s[8:9], s[2:3]
	s_cbranch_execz .LBB676_70
; %bb.65:
	s_movk_i32 s2, 0x80
	v_cmp_ne_u16_sdwa s[2:3], v36, s2 src0_sel:BYTE_0 src1_sel:DWORD
	v_mov_b32_e32 v39, 0xffff8000
	s_and_saveexec_b64 s[20:21], s[2:3]
	s_cbranch_execz .LBB676_69
; %bb.66:
	s_movk_i32 s2, 0x7f
	v_and_b32_e32 v34, 0x7f, v36
	v_cmp_ne_u32_e64 s[2:3], s2, v34
	v_mov_b32_e32 v39, 0x7f80
	s_and_saveexec_b64 s[22:23], s[2:3]
	s_cbranch_execz .LBB676_68
; %bb.67:
	v_and_b32_e32 v35, 7, v36
	v_ffbh_u32_e32 v35, v35
	v_min_u32_e32 v35, 32, v35
	v_subrev_u32_e32 v39, 28, v35
	v_cmp_gt_u32_e64 s[2:3], 8, v34
	v_lshrrev_b32_e32 v38, 3, v34
	v_sub_u32_e32 v35, 29, v35
	v_cndmask_b32_e64 v34, 0, v39, s[2:3]
	v_cndmask_b32_e64 v38, v38, v35, s[2:3]
	v_lshlrev_b64 v[34:35], v34, v[36:37]
	v_lshlrev_b32_e32 v34, 20, v34
	v_lshlrev_b32_e32 v35, 24, v36
	v_bfrev_b32_e32 v39, 60
	v_and_b32_e32 v34, 0x700000, v34
	v_and_b32_e32 v35, 0x80000000, v35
	v_lshl_add_u32 v38, v38, 23, v39
	v_or3_b32 v34, v35, v38, v34
	v_lshrrev_b32_e32 v39, 16, v34
.LBB676_68:
	s_or_b64 exec, exec, s[22:23]
.LBB676_69:
	s_or_b64 exec, exec, s[20:21]
.LBB676_70:
	s_or_b64 exec, exec, s[8:9]
	v_lshrrev_b16_e32 v34, 8, v36
	v_cmp_ne_u16_e64 s[2:3], 0, v34
	s_and_saveexec_b64 s[8:9], s[2:3]
	s_cbranch_execz .LBB676_76
; %bb.71:
	s_movk_i32 s2, 0x80
	v_cmp_ne_u16_e64 s[2:3], s2, v34
	v_mov_b32_e32 v40, 0xffff8000
	s_and_saveexec_b64 s[20:21], s[2:3]
	s_cbranch_execz .LBB676_75
; %bb.72:
	s_movk_i32 s2, 0x7f
	v_and_b32_e32 v35, 0x7f, v34
	v_cmp_ne_u32_e64 s[2:3], s2, v35
	v_mov_b32_e32 v40, 0x7f80
	s_and_saveexec_b64 s[22:23], s[2:3]
	s_cbranch_execz .LBB676_74
; %bb.73:
	v_and_b32_e32 v38, 7, v34
	v_ffbh_u32_e32 v40, v38
	v_min_u32_e32 v47, 32, v40
	v_subrev_u32_e32 v40, 28, v47
	v_lshlrev_b64 v[40:41], v40, v[34:35]
	v_lshrrev_b32_e32 v46, 3, v35
	v_sub_u32_e32 v34, 29, v47
	v_and_b32_e32 v40, 7, v40
	v_cmp_gt_u32_e64 s[2:3], 8, v35
	v_cndmask_b32_e64 v34, v46, v34, s[2:3]
	v_cndmask_b32_e64 v35, v38, v40, s[2:3]
	v_lshlrev_b32_e32 v38, 16, v36
	v_bfrev_b32_e32 v40, 60
	v_lshlrev_b32_e32 v35, 20, v35
	v_and_b32_e32 v38, 0x80000000, v38
	v_lshl_add_u32 v34, v34, 23, v40
	v_or3_b32 v34, v38, v34, v35
	v_lshrrev_b32_e32 v40, 16, v34
.LBB676_74:
	s_or_b64 exec, exec, s[22:23]
.LBB676_75:
	s_or_b64 exec, exec, s[20:21]
.LBB676_76:
	s_or_b64 exec, exec, s[8:9]
	s_movk_i32 s2, 0xff
	v_and_b32_sdwa v38, v36, s2 dst_sel:DWORD dst_unused:UNUSED_PAD src0_sel:WORD_1 src1_sel:DWORD
	v_lshrrev_b32_e32 v34, 16, v36
	v_cmp_ne_u16_e64 s[2:3], 0, v38
	v_mov_b32_e32 v35, 0
	v_mov_b32_e32 v41, 0
	s_and_saveexec_b64 s[8:9], s[2:3]
	s_cbranch_execz .LBB676_82
; %bb.77:
	s_movk_i32 s2, 0x80
	v_cmp_ne_u16_e64 s[2:3], s2, v38
	v_mov_b32_e32 v41, 0xffff8000
	s_and_saveexec_b64 s[20:21], s[2:3]
	s_cbranch_execz .LBB676_81
; %bb.78:
	v_bfe_u32 v38, v36, 16, 7
	s_movk_i32 s2, 0x7f
	v_cmp_ne_u32_e64 s[2:3], s2, v38
	v_mov_b32_e32 v41, 0x7f80
	s_and_saveexec_b64 s[22:23], s[2:3]
	s_cbranch_execz .LBB676_80
; %bb.79:
	v_and_b32_e32 v41, 7, v34
	v_ffbh_u32_e32 v46, v41
	v_min_u32_e32 v49, 32, v46
	v_subrev_u32_e32 v46, 28, v49
	v_lshlrev_b64 v[46:47], v46, v[34:35]
	v_and_b32_e32 v46, 7, v46
	v_cmp_gt_u32_e64 s[2:3], 8, v38
	v_lshrrev_b32_e32 v48, 3, v38
	v_sub_u32_e32 v34, 29, v49
	v_cndmask_b32_e64 v38, v41, v46, s[2:3]
	v_mov_b32_e32 v41, 24
	v_cndmask_b32_e64 v34, v48, v34, s[2:3]
	v_lshlrev_b32_sdwa v41, v41, v36 dst_sel:DWORD dst_unused:UNUSED_PAD src0_sel:DWORD src1_sel:WORD_1
	v_bfrev_b32_e32 v46, 60
	v_lshlrev_b32_e32 v38, 20, v38
	v_and_b32_e32 v41, 0x80000000, v41
	v_lshl_add_u32 v34, v34, 23, v46
	v_or3_b32 v34, v41, v34, v38
	v_lshrrev_b32_e32 v41, 16, v34
.LBB676_80:
	s_or_b64 exec, exec, s[22:23]
.LBB676_81:
	s_or_b64 exec, exec, s[20:21]
.LBB676_82:
	s_or_b64 exec, exec, s[8:9]
	s_mov_b32 s2, 0xffffff
	v_cmp_lt_u32_e64 s[2:3], s2, v36
	v_mov_b32_e32 v46, 0
	s_and_saveexec_b64 s[8:9], s[2:3]
	s_cbranch_execz .LBB676_88
; %bb.83:
	v_lshrrev_b32_e32 v34, 24, v36
	s_movk_i32 s2, 0x80
	v_cmp_ne_u32_e64 s[2:3], s2, v34
	v_mov_b32_e32 v46, 0xffff8000
	s_and_saveexec_b64 s[20:21], s[2:3]
	s_cbranch_execz .LBB676_87
; %bb.84:
	v_bfe_u32 v38, v36, 24, 7
	s_movk_i32 s2, 0x7f
	v_cmp_ne_u32_e64 s[2:3], s2, v38
	v_mov_b32_e32 v46, 0x7f80
	s_and_saveexec_b64 s[22:23], s[2:3]
	s_cbranch_execz .LBB676_86
; %bb.85:
	v_and_b32_e32 v48, 7, v34
	v_ffbh_u32_e32 v46, v48
	v_min_u32_e32 v50, 32, v46
	v_subrev_u32_e32 v46, 28, v50
	v_lshlrev_b64 v[46:47], v46, v[34:35]
	v_lshrrev_b32_e32 v49, 3, v38
	v_sub_u32_e32 v47, 29, v50
	v_and_b32_e32 v46, 7, v46
	v_cmp_gt_u32_e64 s[2:3], 8, v38
	v_cndmask_b32_e64 v38, v49, v47, s[2:3]
	v_cndmask_b32_e64 v46, v48, v46, s[2:3]
	v_lshlrev_b32_e32 v34, 24, v34
	v_bfrev_b32_e32 v47, 60
	v_lshlrev_b32_e32 v46, 20, v46
	v_and_b32_e32 v34, 0x80000000, v34
	v_lshl_add_u32 v38, v38, 23, v47
	v_or3_b32 v34, v34, v38, v46
	v_lshrrev_b32_e32 v46, 16, v34
.LBB676_86:
	s_or_b64 exec, exec, s[22:23]
.LBB676_87:
	s_or_b64 exec, exec, s[20:21]
.LBB676_88:
	s_or_b64 exec, exec, s[8:9]
	v_mov_b32_e32 v47, 0
	v_mov_b32_e32 v34, v37
	v_cmp_ne_u16_sdwa s[2:3], v37, v47 src0_sel:BYTE_0 src1_sel:DWORD
	v_mov_b32_e32 v48, 0
	s_and_saveexec_b64 s[8:9], s[2:3]
	s_cbranch_execz .LBB676_94
; %bb.89:
	s_movk_i32 s2, 0x80
	v_cmp_ne_u16_sdwa s[2:3], v37, s2 src0_sel:BYTE_0 src1_sel:DWORD
	v_mov_b32_e32 v48, 0xffff8000
	s_and_saveexec_b64 s[20:21], s[2:3]
	s_cbranch_execz .LBB676_93
; %bb.90:
	s_movk_i32 s2, 0x7f
	v_and_b32_e32 v38, 0x7f, v37
	v_cmp_ne_u32_e64 s[2:3], s2, v38
	v_mov_b32_e32 v48, 0x7f80
	s_and_saveexec_b64 s[22:23], s[2:3]
	s_cbranch_execz .LBB676_92
; %bb.91:
	v_and_b32_e32 v48, 7, v37
	v_ffbh_u32_e32 v48, v48
	v_min_u32_e32 v48, 32, v48
	v_lshrrev_b32_e32 v49, 3, v38
	v_subrev_u32_e32 v50, 28, v48
	v_sub_u32_e32 v48, 29, v48
	v_cmp_gt_u32_e64 s[2:3], 8, v38
	v_cndmask_b32_e64 v38, v49, v48, s[2:3]
	v_cndmask_b32_e64 v48, 0, v50, s[2:3]
	v_lshlrev_b64 v[48:49], v48, v[34:35]
	v_lshlrev_b32_e32 v35, 20, v48
	v_lshlrev_b32_e32 v48, 24, v34
	v_bfrev_b32_e32 v49, 60
	v_and_b32_e32 v35, 0x700000, v35
	v_and_b32_e32 v48, 0x80000000, v48
	v_lshl_add_u32 v38, v38, 23, v49
	v_or3_b32 v35, v48, v38, v35
	v_lshrrev_b32_e32 v48, 16, v35
.LBB676_92:
	s_or_b64 exec, exec, s[22:23]
.LBB676_93:
	s_or_b64 exec, exec, s[20:21]
.LBB676_94:
	s_or_b64 exec, exec, s[8:9]
	v_lshrrev_b16_e32 v38, 8, v34
	v_cmp_ne_u16_e64 s[2:3], 0, v38
	s_and_saveexec_b64 s[8:9], s[2:3]
	s_cbranch_execz .LBB676_100
; %bb.95:
	s_movk_i32 s2, 0x80
	v_cmp_ne_u16_e64 s[2:3], s2, v38
	v_mov_b32_e32 v47, 0xffff8000
	s_and_saveexec_b64 s[20:21], s[2:3]
	s_cbranch_execz .LBB676_99
; %bb.96:
	s_movk_i32 s2, 0x7f
	v_and_b32_e32 v35, 0x7f, v38
	v_cmp_ne_u32_e64 s[2:3], s2, v35
	v_mov_b32_e32 v47, 0x7f80
	s_and_saveexec_b64 s[22:23], s[2:3]
	s_cbranch_execz .LBB676_98
; %bb.97:
	v_and_b32_e32 v47, 7, v38
	v_ffbh_u32_e32 v50, v47
	v_min_u32_e32 v52, 32, v50
	v_subrev_u32_e32 v50, 28, v52
	v_lshlrev_b64 v[50:51], v50, v[38:39]
	v_lshrrev_b32_e32 v49, 3, v35
	v_sub_u32_e32 v38, 29, v52
	v_and_b32_e32 v50, 7, v50
	v_cmp_gt_u32_e64 s[2:3], 8, v35
	v_cndmask_b32_e64 v35, v49, v38, s[2:3]
	v_cndmask_b32_e64 v38, v47, v50, s[2:3]
	v_lshlrev_b32_e32 v34, 16, v34
	v_bfrev_b32_e32 v47, 60
	v_lshlrev_b32_e32 v38, 20, v38
	v_and_b32_e32 v34, 0x80000000, v34
	v_lshl_add_u32 v35, v35, 23, v47
	v_or3_b32 v34, v34, v35, v38
	v_lshrrev_b32_e32 v47, 16, v34
.LBB676_98:
	s_or_b64 exec, exec, s[22:23]
.LBB676_99:
	s_or_b64 exec, exec, s[20:21]
.LBB676_100:
	s_or_b64 exec, exec, s[8:9]
	s_movk_i32 s2, 0xff
	v_and_b32_sdwa v49, v37, s2 dst_sel:DWORD dst_unused:UNUSED_PAD src0_sel:WORD_1 src1_sel:DWORD
	v_lshrrev_b32_e32 v34, 16, v37
	v_cmp_ne_u16_e64 s[2:3], 0, v49
	v_mov_b32_e32 v35, 0
	v_mov_b32_e32 v38, 0
	s_and_saveexec_b64 s[8:9], s[2:3]
	s_cbranch_execz .LBB676_106
; %bb.101:
	s_movk_i32 s2, 0x80
	v_cmp_ne_u16_e64 s[2:3], s2, v49
	v_mov_b32_e32 v38, 0xffff8000
	s_and_saveexec_b64 s[20:21], s[2:3]
	s_cbranch_execz .LBB676_105
; %bb.102:
	v_bfe_u32 v49, v37, 16, 7
	s_movk_i32 s2, 0x7f
	v_cmp_ne_u32_e64 s[2:3], s2, v49
	v_mov_b32_e32 v38, 0x7f80
	s_and_saveexec_b64 s[22:23], s[2:3]
	s_cbranch_execz .LBB676_104
; %bb.103:
	v_and_b32_e32 v38, 7, v34
	v_ffbh_u32_e32 v50, v38
	v_min_u32_e32 v53, 32, v50
	v_subrev_u32_e32 v50, 28, v53
	v_lshlrev_b64 v[50:51], v50, v[34:35]
	v_lshrrev_b32_e32 v52, 3, v49
	v_sub_u32_e32 v34, 29, v53
	v_and_b32_e32 v50, 7, v50
	v_cmp_gt_u32_e64 s[2:3], 8, v49
	v_mov_b32_e32 v49, 24
	v_cndmask_b32_e64 v34, v52, v34, s[2:3]
	v_cndmask_b32_e64 v38, v38, v50, s[2:3]
	v_lshlrev_b32_sdwa v49, v49, v37 dst_sel:DWORD dst_unused:UNUSED_PAD src0_sel:DWORD src1_sel:WORD_1
	v_bfrev_b32_e32 v50, 60
	v_lshlrev_b32_e32 v38, 20, v38
	v_and_b32_e32 v49, 0x80000000, v49
	v_lshl_add_u32 v34, v34, 23, v50
	v_or3_b32 v34, v49, v34, v38
	v_lshrrev_b32_e32 v38, 16, v34
.LBB676_104:
	s_or_b64 exec, exec, s[22:23]
.LBB676_105:
	s_or_b64 exec, exec, s[20:21]
.LBB676_106:
	s_or_b64 exec, exec, s[8:9]
	s_mov_b32 s2, -1
	s_mov_b32 s3, 0xffffff
	v_cmp_lt_u64_e64 s[2:3], s[2:3], v[36:37]
	s_and_saveexec_b64 s[8:9], s[2:3]
	s_cbranch_execz .LBB676_112
; %bb.107:
	v_lshrrev_b32_e32 v34, 24, v37
	s_movk_i32 s2, 0x80
	v_cmp_ne_u32_e64 s[2:3], s2, v34
	v_mov_b32_e32 v35, 0xffff8000
	s_and_saveexec_b64 s[20:21], s[2:3]
	s_cbranch_execz .LBB676_111
; %bb.108:
	v_bfe_u32 v36, v37, 24, 7
	s_movk_i32 s2, 0x7f
	v_cmp_ne_u32_e64 s[2:3], s2, v36
	v_mov_b32_e32 v35, 0x7f80
	s_and_saveexec_b64 s[22:23], s[2:3]
	s_cbranch_execz .LBB676_110
; %bb.109:
	v_and_b32_e32 v35, 7, v34
	v_ffbh_u32_e32 v49, v35
	v_min_u32_e32 v49, 32, v49
	v_subrev_u32_e32 v50, 28, v49
	v_lshlrev_b64 v[50:51], v50, v[34:35]
	v_lshrrev_b32_e32 v37, 3, v36
	v_sub_u32_e32 v49, 29, v49
	v_and_b32_e32 v50, 7, v50
	v_cmp_gt_u32_e64 s[2:3], 8, v36
	v_cndmask_b32_e64 v36, v37, v49, s[2:3]
	v_cndmask_b32_e64 v35, v35, v50, s[2:3]
	v_lshlrev_b32_e32 v34, 24, v34
	v_bfrev_b32_e32 v37, 60
	v_lshlrev_b32_e32 v35, 20, v35
	v_and_b32_e32 v34, 0x80000000, v34
	v_lshl_add_u32 v36, v36, 23, v37
	v_or3_b32 v34, v34, v36, v35
	v_lshrrev_b32_e32 v35, 16, v34
.LBB676_110:
	s_or_b64 exec, exec, s[22:23]
.LBB676_111:
	s_or_b64 exec, exec, s[20:21]
.LBB676_112:
	s_or_b64 exec, exec, s[8:9]
	s_mov_b32 s2, 0x5040100
	v_perm_b32 v37, v46, v41, s2
	v_perm_b32 v36, v40, v39, s2
	;; [unrolled: 1-line block ×4, first 2 shown]
	v_mfma_f32_4x4x4bf16_1k a[0:3], v[18:19], v[36:37], a[0:3] cbsz:4 abid:1
	v_mov_b32_e32 v37, 0
	v_mfma_f32_4x4x4bf16_1k a[0:3], v[20:21], v[34:35], a[0:3] cbsz:4 abid:1
	s_waitcnt vmcnt(6)
	v_cmp_ne_u16_sdwa s[2:3], v30, v37 src0_sel:BYTE_0 src1_sel:DWORD
	v_mov_b32_e32 v38, 0
	s_and_saveexec_b64 s[8:9], s[2:3]
	s_cbranch_execz .LBB676_118
; %bb.113:
	s_movk_i32 s2, 0x80
	v_cmp_ne_u16_sdwa s[2:3], v30, s2 src0_sel:BYTE_0 src1_sel:DWORD
	v_mov_b32_e32 v38, 0xffff8000
	s_and_saveexec_b64 s[20:21], s[2:3]
	s_cbranch_execz .LBB676_117
; %bb.114:
	s_movk_i32 s2, 0x7f
	v_and_b32_e32 v34, 0x7f, v30
	v_cmp_ne_u32_e64 s[2:3], s2, v34
	v_mov_b32_e32 v38, 0x7f80
	s_and_saveexec_b64 s[22:23], s[2:3]
	s_cbranch_execz .LBB676_116
; %bb.115:
	v_and_b32_e32 v35, 7, v30
	v_ffbh_u32_e32 v35, v35
	v_min_u32_e32 v35, 32, v35
	v_subrev_u32_e32 v38, 28, v35
	v_cmp_gt_u32_e64 s[2:3], 8, v34
	v_lshrrev_b32_e32 v36, 3, v34
	v_sub_u32_e32 v35, 29, v35
	v_cndmask_b32_e64 v34, 0, v38, s[2:3]
	v_cndmask_b32_e64 v36, v36, v35, s[2:3]
	v_lshlrev_b64 v[34:35], v34, v[30:31]
	v_lshlrev_b32_e32 v34, 20, v34
	v_lshlrev_b32_e32 v35, 24, v30
	v_bfrev_b32_e32 v38, 60
	v_and_b32_e32 v34, 0x700000, v34
	v_and_b32_e32 v35, 0x80000000, v35
	v_lshl_add_u32 v36, v36, 23, v38
	v_or3_b32 v34, v35, v36, v34
	v_lshrrev_b32_e32 v38, 16, v34
.LBB676_116:
	s_or_b64 exec, exec, s[22:23]
.LBB676_117:
	s_or_b64 exec, exec, s[20:21]
.LBB676_118:
	s_or_b64 exec, exec, s[8:9]
	v_lshrrev_b16_e32 v34, 8, v30
	v_cmp_ne_u16_e64 s[2:3], 0, v34
	s_and_saveexec_b64 s[8:9], s[2:3]
	s_cbranch_execz .LBB676_124
; %bb.119:
	s_movk_i32 s2, 0x80
	v_cmp_ne_u16_e64 s[2:3], s2, v34
	v_mov_b32_e32 v37, 0xffff8000
	s_and_saveexec_b64 s[20:21], s[2:3]
	s_cbranch_execz .LBB676_123
; %bb.120:
	s_movk_i32 s2, 0x7f
	v_and_b32_e32 v35, 0x7f, v34
	v_cmp_ne_u32_e64 s[2:3], s2, v35
	v_mov_b32_e32 v37, 0x7f80
	s_and_saveexec_b64 s[22:23], s[2:3]
	s_cbranch_execz .LBB676_122
; %bb.121:
	v_and_b32_e32 v39, 7, v34
	v_ffbh_u32_e32 v36, v39
	v_min_u32_e32 v41, 32, v36
	v_subrev_u32_e32 v36, 28, v41
	v_lshlrev_b64 v[36:37], v36, v[34:35]
	v_lshrrev_b32_e32 v40, 3, v35
	v_sub_u32_e32 v34, 29, v41
	v_and_b32_e32 v36, 7, v36
	v_cmp_gt_u32_e64 s[2:3], 8, v35
	v_cndmask_b32_e64 v34, v40, v34, s[2:3]
	v_cndmask_b32_e64 v35, v39, v36, s[2:3]
	v_lshlrev_b32_e32 v36, 16, v30
	v_bfrev_b32_e32 v37, 60
	v_lshlrev_b32_e32 v35, 20, v35
	v_and_b32_e32 v36, 0x80000000, v36
	v_lshl_add_u32 v34, v34, 23, v37
	v_or3_b32 v34, v36, v34, v35
	v_lshrrev_b32_e32 v37, 16, v34
.LBB676_122:
	s_or_b64 exec, exec, s[22:23]
.LBB676_123:
	s_or_b64 exec, exec, s[20:21]
.LBB676_124:
	s_or_b64 exec, exec, s[8:9]
	s_movk_i32 s2, 0xff
	v_and_b32_sdwa v36, v30, s2 dst_sel:DWORD dst_unused:UNUSED_PAD src0_sel:WORD_1 src1_sel:DWORD
	v_lshrrev_b32_e32 v34, 16, v30
	v_cmp_ne_u16_e64 s[2:3], 0, v36
	v_mov_b32_e32 v35, 0
	v_mov_b32_e32 v39, 0
	s_and_saveexec_b64 s[8:9], s[2:3]
	s_cbranch_execz .LBB676_130
; %bb.125:
	s_movk_i32 s2, 0x80
	v_cmp_ne_u16_e64 s[2:3], s2, v36
	v_mov_b32_e32 v39, 0xffff8000
	s_and_saveexec_b64 s[20:21], s[2:3]
	s_cbranch_execz .LBB676_129
; %bb.126:
	v_bfe_u32 v36, v30, 16, 7
	s_movk_i32 s2, 0x7f
	v_cmp_ne_u32_e64 s[2:3], s2, v36
	v_mov_b32_e32 v39, 0x7f80
	s_and_saveexec_b64 s[22:23], s[2:3]
	s_cbranch_execz .LBB676_128
; %bb.127:
	v_and_b32_e32 v39, 7, v34
	v_ffbh_u32_e32 v40, v39
	v_min_u32_e32 v47, 32, v40
	v_subrev_u32_e32 v40, 28, v47
	v_lshlrev_b64 v[40:41], v40, v[34:35]
	v_and_b32_e32 v40, 7, v40
	v_cmp_gt_u32_e64 s[2:3], 8, v36
	v_lshrrev_b32_e32 v46, 3, v36
	v_sub_u32_e32 v34, 29, v47
	v_cndmask_b32_e64 v36, v39, v40, s[2:3]
	v_mov_b32_e32 v39, 24
	v_cndmask_b32_e64 v34, v46, v34, s[2:3]
	v_lshlrev_b32_sdwa v39, v39, v30 dst_sel:DWORD dst_unused:UNUSED_PAD src0_sel:DWORD src1_sel:WORD_1
	v_bfrev_b32_e32 v40, 60
	v_lshlrev_b32_e32 v36, 20, v36
	v_and_b32_e32 v39, 0x80000000, v39
	v_lshl_add_u32 v34, v34, 23, v40
	v_or3_b32 v34, v39, v34, v36
	v_lshrrev_b32_e32 v39, 16, v34
.LBB676_128:
	s_or_b64 exec, exec, s[22:23]
.LBB676_129:
	s_or_b64 exec, exec, s[20:21]
.LBB676_130:
	s_or_b64 exec, exec, s[8:9]
	s_mov_b32 s2, 0xffffff
	v_cmp_lt_u32_e64 s[2:3], s2, v30
	v_mov_b32_e32 v40, 0
	s_and_saveexec_b64 s[8:9], s[2:3]
	s_cbranch_execz .LBB676_136
; %bb.131:
	v_lshrrev_b32_e32 v34, 24, v30
	s_movk_i32 s2, 0x80
	v_cmp_ne_u32_e64 s[2:3], s2, v34
	v_mov_b32_e32 v40, 0xffff8000
	s_and_saveexec_b64 s[20:21], s[2:3]
	s_cbranch_execz .LBB676_135
; %bb.132:
	v_bfe_u32 v36, v30, 24, 7
	s_movk_i32 s2, 0x7f
	v_cmp_ne_u32_e64 s[2:3], s2, v36
	v_mov_b32_e32 v40, 0x7f80
	s_and_saveexec_b64 s[22:23], s[2:3]
	s_cbranch_execz .LBB676_134
; %bb.133:
	v_and_b32_e32 v46, 7, v34
	v_ffbh_u32_e32 v40, v46
	v_min_u32_e32 v48, 32, v40
	v_subrev_u32_e32 v40, 28, v48
	v_lshlrev_b64 v[40:41], v40, v[34:35]
	v_lshrrev_b32_e32 v47, 3, v36
	v_sub_u32_e32 v41, 29, v48
	v_and_b32_e32 v40, 7, v40
	v_cmp_gt_u32_e64 s[2:3], 8, v36
	v_cndmask_b32_e64 v36, v47, v41, s[2:3]
	v_cndmask_b32_e64 v40, v46, v40, s[2:3]
	v_lshlrev_b32_e32 v34, 24, v34
	v_bfrev_b32_e32 v41, 60
	v_lshlrev_b32_e32 v40, 20, v40
	v_and_b32_e32 v34, 0x80000000, v34
	v_lshl_add_u32 v36, v36, 23, v41
	v_or3_b32 v34, v34, v36, v40
	v_lshrrev_b32_e32 v40, 16, v34
.LBB676_134:
	s_or_b64 exec, exec, s[22:23]
.LBB676_135:
	s_or_b64 exec, exec, s[20:21]
.LBB676_136:
	s_or_b64 exec, exec, s[8:9]
	v_mov_b32_e32 v41, 0
	v_mov_b32_e32 v34, v31
	v_cmp_ne_u16_sdwa s[2:3], v31, v41 src0_sel:BYTE_0 src1_sel:DWORD
	v_mov_b32_e32 v46, 0
	s_and_saveexec_b64 s[8:9], s[2:3]
	s_cbranch_execz .LBB676_142
; %bb.137:
	s_movk_i32 s2, 0x80
	v_cmp_ne_u16_sdwa s[2:3], v31, s2 src0_sel:BYTE_0 src1_sel:DWORD
	v_mov_b32_e32 v46, 0xffff8000
	s_and_saveexec_b64 s[20:21], s[2:3]
	s_cbranch_execz .LBB676_141
; %bb.138:
	s_movk_i32 s2, 0x7f
	v_and_b32_e32 v36, 0x7f, v31
	v_cmp_ne_u32_e64 s[2:3], s2, v36
	v_mov_b32_e32 v46, 0x7f80
	s_and_saveexec_b64 s[22:23], s[2:3]
	s_cbranch_execz .LBB676_140
; %bb.139:
	v_and_b32_e32 v46, 7, v31
	v_ffbh_u32_e32 v46, v46
	v_min_u32_e32 v46, 32, v46
	v_lshrrev_b32_e32 v47, 3, v36
	v_subrev_u32_e32 v48, 28, v46
	v_sub_u32_e32 v46, 29, v46
	v_cmp_gt_u32_e64 s[2:3], 8, v36
	v_cndmask_b32_e64 v36, v47, v46, s[2:3]
	v_cndmask_b32_e64 v46, 0, v48, s[2:3]
	v_lshlrev_b64 v[46:47], v46, v[34:35]
	v_lshlrev_b32_e32 v35, 20, v46
	v_lshlrev_b32_e32 v46, 24, v34
	v_bfrev_b32_e32 v47, 60
	v_and_b32_e32 v35, 0x700000, v35
	v_and_b32_e32 v46, 0x80000000, v46
	v_lshl_add_u32 v36, v36, 23, v47
	v_or3_b32 v35, v46, v36, v35
	v_lshrrev_b32_e32 v46, 16, v35
.LBB676_140:
	s_or_b64 exec, exec, s[22:23]
.LBB676_141:
	s_or_b64 exec, exec, s[20:21]
.LBB676_142:
	s_or_b64 exec, exec, s[8:9]
	v_lshrrev_b16_e32 v36, 8, v34
	v_cmp_ne_u16_e64 s[2:3], 0, v36
	s_and_saveexec_b64 s[8:9], s[2:3]
	s_cbranch_execz .LBB676_148
; %bb.143:
	s_movk_i32 s2, 0x80
	v_cmp_ne_u16_e64 s[2:3], s2, v36
	v_mov_b32_e32 v41, 0xffff8000
	s_and_saveexec_b64 s[20:21], s[2:3]
	s_cbranch_execz .LBB676_147
; %bb.144:
	s_movk_i32 s2, 0x7f
	v_and_b32_e32 v35, 0x7f, v36
	v_cmp_ne_u32_e64 s[2:3], s2, v35
	v_mov_b32_e32 v41, 0x7f80
	s_and_saveexec_b64 s[22:23], s[2:3]
	s_cbranch_execz .LBB676_146
; %bb.145:
	v_and_b32_e32 v41, 7, v36
	v_ffbh_u32_e32 v48, v41
	v_min_u32_e32 v50, 32, v48
	v_subrev_u32_e32 v48, 28, v50
	v_lshlrev_b64 v[48:49], v48, v[36:37]
	v_lshrrev_b32_e32 v47, 3, v35
	v_sub_u32_e32 v36, 29, v50
	v_and_b32_e32 v48, 7, v48
	v_cmp_gt_u32_e64 s[2:3], 8, v35
	v_cndmask_b32_e64 v35, v47, v36, s[2:3]
	v_cndmask_b32_e64 v36, v41, v48, s[2:3]
	v_lshlrev_b32_e32 v34, 16, v34
	v_bfrev_b32_e32 v41, 60
	v_lshlrev_b32_e32 v36, 20, v36
	v_and_b32_e32 v34, 0x80000000, v34
	v_lshl_add_u32 v35, v35, 23, v41
	v_or3_b32 v34, v34, v35, v36
	v_lshrrev_b32_e32 v41, 16, v34
.LBB676_146:
	s_or_b64 exec, exec, s[22:23]
.LBB676_147:
	s_or_b64 exec, exec, s[20:21]
.LBB676_148:
	s_or_b64 exec, exec, s[8:9]
	s_movk_i32 s2, 0xff
	v_and_b32_sdwa v47, v31, s2 dst_sel:DWORD dst_unused:UNUSED_PAD src0_sel:WORD_1 src1_sel:DWORD
	v_lshrrev_b32_e32 v34, 16, v31
	v_cmp_ne_u16_e64 s[2:3], 0, v47
	v_mov_b32_e32 v35, 0
	v_mov_b32_e32 v36, 0
	s_and_saveexec_b64 s[8:9], s[2:3]
	s_cbranch_execz .LBB676_154
; %bb.149:
	s_movk_i32 s2, 0x80
	v_cmp_ne_u16_e64 s[2:3], s2, v47
	v_mov_b32_e32 v36, 0xffff8000
	s_and_saveexec_b64 s[20:21], s[2:3]
	s_cbranch_execz .LBB676_153
; %bb.150:
	v_bfe_u32 v47, v31, 16, 7
	s_movk_i32 s2, 0x7f
	v_cmp_ne_u32_e64 s[2:3], s2, v47
	v_mov_b32_e32 v36, 0x7f80
	s_and_saveexec_b64 s[22:23], s[2:3]
	s_cbranch_execz .LBB676_152
; %bb.151:
	v_and_b32_e32 v36, 7, v34
	v_ffbh_u32_e32 v48, v36
	v_min_u32_e32 v51, 32, v48
	v_subrev_u32_e32 v48, 28, v51
	v_lshlrev_b64 v[48:49], v48, v[34:35]
	v_lshrrev_b32_e32 v50, 3, v47
	v_sub_u32_e32 v34, 29, v51
	v_and_b32_e32 v48, 7, v48
	v_cmp_gt_u32_e64 s[2:3], 8, v47
	v_mov_b32_e32 v47, 24
	v_cndmask_b32_e64 v34, v50, v34, s[2:3]
	v_cndmask_b32_e64 v36, v36, v48, s[2:3]
	v_lshlrev_b32_sdwa v47, v47, v31 dst_sel:DWORD dst_unused:UNUSED_PAD src0_sel:DWORD src1_sel:WORD_1
	v_bfrev_b32_e32 v48, 60
	v_lshlrev_b32_e32 v36, 20, v36
	v_and_b32_e32 v47, 0x80000000, v47
	v_lshl_add_u32 v34, v34, 23, v48
	v_or3_b32 v34, v47, v34, v36
	v_lshrrev_b32_e32 v36, 16, v34
.LBB676_152:
	s_or_b64 exec, exec, s[22:23]
.LBB676_153:
	s_or_b64 exec, exec, s[20:21]
.LBB676_154:
	s_or_b64 exec, exec, s[8:9]
	s_mov_b32 s2, -1
	s_mov_b32 s3, 0xffffff
	v_cmp_lt_u64_e64 s[2:3], s[2:3], v[30:31]
	s_and_saveexec_b64 s[8:9], s[2:3]
	s_cbranch_execz .LBB676_160
; %bb.155:
	v_lshrrev_b32_e32 v30, 24, v31
	s_movk_i32 s2, 0x80
	v_cmp_ne_u32_e64 s[2:3], s2, v30
	v_mov_b32_e32 v35, 0xffff8000
	s_and_saveexec_b64 s[20:21], s[2:3]
	s_cbranch_execz .LBB676_159
; %bb.156:
	v_bfe_u32 v31, v31, 24, 7
	s_movk_i32 s2, 0x7f
	v_cmp_ne_u32_e64 s[2:3], s2, v31
	v_mov_b32_e32 v35, 0x7f80
	s_and_saveexec_b64 s[22:23], s[2:3]
	s_cbranch_execz .LBB676_158
; %bb.157:
	v_and_b32_e32 v47, 7, v30
	v_ffbh_u32_e32 v34, v47
	v_min_u32_e32 v49, 32, v34
	v_subrev_u32_e32 v34, 28, v49
	v_lshlrev_b64 v[34:35], v34, v[30:31]
	v_lshrrev_b32_e32 v48, 3, v31
	v_sub_u32_e32 v35, 29, v49
	v_and_b32_e32 v34, 7, v34
	v_cmp_gt_u32_e64 s[2:3], 8, v31
	v_cndmask_b32_e64 v31, v48, v35, s[2:3]
	v_cndmask_b32_e64 v34, v47, v34, s[2:3]
	v_lshlrev_b32_e32 v30, 24, v30
	v_bfrev_b32_e32 v35, 60
	v_lshlrev_b32_e32 v34, 20, v34
	v_and_b32_e32 v30, 0x80000000, v30
	v_lshl_add_u32 v31, v31, 23, v35
	v_or3_b32 v30, v30, v31, v34
	v_lshrrev_b32_e32 v35, 16, v30
.LBB676_158:
	s_or_b64 exec, exec, s[22:23]
.LBB676_159:
	s_or_b64 exec, exec, s[20:21]
.LBB676_160:
	s_or_b64 exec, exec, s[8:9]
	s_mov_b32 s2, 0x5040100
	v_perm_b32 v31, v40, v39, s2
	v_perm_b32 v30, v37, v38, s2
	;; [unrolled: 1-line block ×4, first 2 shown]
	v_mfma_f32_4x4x4bf16_1k a[0:3], v[18:19], v[30:31], a[0:3] cbsz:4 abid:2
	v_mov_b32_e32 v36, 0
	v_mfma_f32_4x4x4bf16_1k a[0:3], v[20:21], v[34:35], a[0:3] cbsz:4 abid:2
	v_mov_b32_e32 v35, 0
	v_cmp_ne_u16_sdwa s[2:3], v32, v35 src0_sel:BYTE_0 src1_sel:DWORD
	s_and_saveexec_b64 s[8:9], s[2:3]
	s_cbranch_execz .LBB676_166
; %bb.161:
	s_movk_i32 s2, 0x80
	v_cmp_ne_u16_sdwa s[2:3], v32, s2 src0_sel:BYTE_0 src1_sel:DWORD
	v_mov_b32_e32 v36, 0xffff8000
	s_and_saveexec_b64 s[20:21], s[2:3]
	s_cbranch_execz .LBB676_165
; %bb.162:
	s_movk_i32 s2, 0x7f
	v_and_b32_e32 v30, 0x7f, v32
	v_cmp_ne_u32_e64 s[2:3], s2, v30
	v_mov_b32_e32 v36, 0x7f80
	s_and_saveexec_b64 s[22:23], s[2:3]
	s_cbranch_execz .LBB676_164
; %bb.163:
	v_and_b32_e32 v31, 7, v32
	v_ffbh_u32_e32 v31, v31
	v_min_u32_e32 v31, 32, v31
	v_subrev_u32_e32 v36, 28, v31
	v_cmp_gt_u32_e64 s[2:3], 8, v30
	v_lshrrev_b32_e32 v34, 3, v30
	v_sub_u32_e32 v31, 29, v31
	v_cndmask_b32_e64 v30, 0, v36, s[2:3]
	v_cndmask_b32_e64 v34, v34, v31, s[2:3]
	v_lshlrev_b64 v[30:31], v30, v[32:33]
	v_lshlrev_b32_e32 v30, 20, v30
	v_lshlrev_b32_e32 v31, 24, v32
	v_bfrev_b32_e32 v36, 60
	v_and_b32_e32 v30, 0x700000, v30
	v_and_b32_e32 v31, 0x80000000, v31
	v_lshl_add_u32 v34, v34, 23, v36
	v_or3_b32 v30, v31, v34, v30
	v_lshrrev_b32_e32 v36, 16, v30
.LBB676_164:
	s_or_b64 exec, exec, s[22:23]
.LBB676_165:
	s_or_b64 exec, exec, s[20:21]
.LBB676_166:
	s_or_b64 exec, exec, s[8:9]
	v_lshrrev_b16_e32 v30, 8, v32
	v_cmp_ne_u16_e64 s[2:3], 0, v30
	s_and_saveexec_b64 s[8:9], s[2:3]
	s_cbranch_execz .LBB676_172
; %bb.167:
	s_movk_i32 s2, 0x80
	v_cmp_ne_u16_e64 s[2:3], s2, v30
	v_mov_b32_e32 v35, 0xffff8000
	s_and_saveexec_b64 s[20:21], s[2:3]
	s_cbranch_execz .LBB676_171
; %bb.168:
	s_movk_i32 s2, 0x7f
	v_and_b32_e32 v31, 0x7f, v30
	v_cmp_ne_u32_e64 s[2:3], s2, v31
	v_mov_b32_e32 v35, 0x7f80
	s_and_saveexec_b64 s[22:23], s[2:3]
	s_cbranch_execz .LBB676_170
; %bb.169:
	v_and_b32_e32 v37, 7, v30
	v_ffbh_u32_e32 v34, v37
	v_min_u32_e32 v39, 32, v34
	v_subrev_u32_e32 v34, 28, v39
	v_lshlrev_b64 v[34:35], v34, v[30:31]
	v_lshrrev_b32_e32 v38, 3, v31
	v_sub_u32_e32 v30, 29, v39
	v_and_b32_e32 v34, 7, v34
	v_cmp_gt_u32_e64 s[2:3], 8, v31
	v_cndmask_b32_e64 v30, v38, v30, s[2:3]
	v_cndmask_b32_e64 v31, v37, v34, s[2:3]
	v_lshlrev_b32_e32 v34, 16, v32
	v_bfrev_b32_e32 v35, 60
	v_lshlrev_b32_e32 v31, 20, v31
	v_and_b32_e32 v34, 0x80000000, v34
	v_lshl_add_u32 v30, v30, 23, v35
	v_or3_b32 v30, v34, v30, v31
	v_lshrrev_b32_e32 v35, 16, v30
.LBB676_170:
	s_or_b64 exec, exec, s[22:23]
.LBB676_171:
	s_or_b64 exec, exec, s[20:21]
.LBB676_172:
	s_or_b64 exec, exec, s[8:9]
	s_movk_i32 s2, 0xff
	v_and_b32_sdwa v34, v32, s2 dst_sel:DWORD dst_unused:UNUSED_PAD src0_sel:WORD_1 src1_sel:DWORD
	v_lshrrev_b32_e32 v30, 16, v32
	v_cmp_ne_u16_e64 s[2:3], 0, v34
	v_mov_b32_e32 v31, 0
	v_mov_b32_e32 v37, 0
	s_and_saveexec_b64 s[8:9], s[2:3]
	s_cbranch_execz .LBB676_178
; %bb.173:
	s_movk_i32 s2, 0x80
	v_cmp_ne_u16_e64 s[2:3], s2, v34
	v_mov_b32_e32 v37, 0xffff8000
	s_and_saveexec_b64 s[20:21], s[2:3]
	s_cbranch_execz .LBB676_177
; %bb.174:
	v_bfe_u32 v34, v32, 16, 7
	s_movk_i32 s2, 0x7f
	v_cmp_ne_u32_e64 s[2:3], s2, v34
	v_mov_b32_e32 v37, 0x7f80
	s_and_saveexec_b64 s[22:23], s[2:3]
	s_cbranch_execz .LBB676_176
; %bb.175:
	v_and_b32_e32 v37, 7, v30
	v_ffbh_u32_e32 v38, v37
	v_min_u32_e32 v41, 32, v38
	v_subrev_u32_e32 v38, 28, v41
	v_lshlrev_b64 v[38:39], v38, v[30:31]
	v_and_b32_e32 v38, 7, v38
	v_cmp_gt_u32_e64 s[2:3], 8, v34
	v_lshrrev_b32_e32 v40, 3, v34
	v_sub_u32_e32 v30, 29, v41
	v_cndmask_b32_e64 v34, v37, v38, s[2:3]
	v_mov_b32_e32 v37, 24
	v_cndmask_b32_e64 v30, v40, v30, s[2:3]
	v_lshlrev_b32_sdwa v37, v37, v32 dst_sel:DWORD dst_unused:UNUSED_PAD src0_sel:DWORD src1_sel:WORD_1
	v_bfrev_b32_e32 v38, 60
	v_lshlrev_b32_e32 v34, 20, v34
	v_and_b32_e32 v37, 0x80000000, v37
	v_lshl_add_u32 v30, v30, 23, v38
	v_or3_b32 v30, v37, v30, v34
	v_lshrrev_b32_e32 v37, 16, v30
.LBB676_176:
	s_or_b64 exec, exec, s[22:23]
.LBB676_177:
	s_or_b64 exec, exec, s[20:21]
.LBB676_178:
	s_or_b64 exec, exec, s[8:9]
	s_mov_b32 s2, 0xffffff
	v_cmp_lt_u32_e64 s[2:3], s2, v32
	v_mov_b32_e32 v38, 0
	s_and_saveexec_b64 s[8:9], s[2:3]
	s_cbranch_execz .LBB676_184
; %bb.179:
	v_lshrrev_b32_e32 v30, 24, v32
	s_movk_i32 s2, 0x80
	v_cmp_ne_u32_e64 s[2:3], s2, v30
	v_mov_b32_e32 v38, 0xffff8000
	s_and_saveexec_b64 s[20:21], s[2:3]
	s_cbranch_execz .LBB676_183
; %bb.180:
	v_bfe_u32 v34, v32, 24, 7
	s_movk_i32 s2, 0x7f
	v_cmp_ne_u32_e64 s[2:3], s2, v34
	v_mov_b32_e32 v38, 0x7f80
	s_and_saveexec_b64 s[22:23], s[2:3]
	s_cbranch_execz .LBB676_182
; %bb.181:
	v_and_b32_e32 v40, 7, v30
	v_ffbh_u32_e32 v38, v40
	v_min_u32_e32 v46, 32, v38
	v_subrev_u32_e32 v38, 28, v46
	v_lshlrev_b64 v[38:39], v38, v[30:31]
	v_lshrrev_b32_e32 v41, 3, v34
	v_sub_u32_e32 v39, 29, v46
	v_and_b32_e32 v38, 7, v38
	v_cmp_gt_u32_e64 s[2:3], 8, v34
	v_cndmask_b32_e64 v34, v41, v39, s[2:3]
	v_cndmask_b32_e64 v38, v40, v38, s[2:3]
	v_lshlrev_b32_e32 v30, 24, v30
	v_bfrev_b32_e32 v39, 60
	v_lshlrev_b32_e32 v38, 20, v38
	v_and_b32_e32 v30, 0x80000000, v30
	v_lshl_add_u32 v34, v34, 23, v39
	v_or3_b32 v30, v30, v34, v38
	v_lshrrev_b32_e32 v38, 16, v30
.LBB676_182:
	s_or_b64 exec, exec, s[22:23]
.LBB676_183:
	s_or_b64 exec, exec, s[20:21]
.LBB676_184:
	s_or_b64 exec, exec, s[8:9]
	v_mov_b32_e32 v39, 0
	v_mov_b32_e32 v30, v33
	v_cmp_ne_u16_sdwa s[2:3], v33, v39 src0_sel:BYTE_0 src1_sel:DWORD
	v_mov_b32_e32 v40, 0
	s_and_saveexec_b64 s[8:9], s[2:3]
	s_cbranch_execz .LBB676_190
; %bb.185:
	s_movk_i32 s2, 0x80
	v_cmp_ne_u16_sdwa s[2:3], v33, s2 src0_sel:BYTE_0 src1_sel:DWORD
	v_mov_b32_e32 v40, 0xffff8000
	s_and_saveexec_b64 s[20:21], s[2:3]
	s_cbranch_execz .LBB676_189
; %bb.186:
	s_movk_i32 s2, 0x7f
	v_and_b32_e32 v34, 0x7f, v33
	v_cmp_ne_u32_e64 s[2:3], s2, v34
	v_mov_b32_e32 v40, 0x7f80
	s_and_saveexec_b64 s[22:23], s[2:3]
	s_cbranch_execz .LBB676_188
; %bb.187:
	v_and_b32_e32 v40, 7, v33
	v_ffbh_u32_e32 v40, v40
	v_min_u32_e32 v40, 32, v40
	v_lshrrev_b32_e32 v41, 3, v34
	v_subrev_u32_e32 v46, 28, v40
	v_sub_u32_e32 v40, 29, v40
	v_cmp_gt_u32_e64 s[2:3], 8, v34
	v_cndmask_b32_e64 v34, v41, v40, s[2:3]
	v_cndmask_b32_e64 v40, 0, v46, s[2:3]
	v_lshlrev_b64 v[40:41], v40, v[30:31]
	v_lshlrev_b32_e32 v31, 20, v40
	v_lshlrev_b32_e32 v40, 24, v30
	v_bfrev_b32_e32 v41, 60
	v_and_b32_e32 v31, 0x700000, v31
	v_and_b32_e32 v40, 0x80000000, v40
	v_lshl_add_u32 v34, v34, 23, v41
	v_or3_b32 v31, v40, v34, v31
	v_lshrrev_b32_e32 v40, 16, v31
.LBB676_188:
	s_or_b64 exec, exec, s[22:23]
.LBB676_189:
	s_or_b64 exec, exec, s[20:21]
.LBB676_190:
	s_or_b64 exec, exec, s[8:9]
	v_lshrrev_b16_e32 v34, 8, v30
	v_cmp_ne_u16_e64 s[2:3], 0, v34
	s_and_saveexec_b64 s[8:9], s[2:3]
	s_cbranch_execz .LBB676_196
; %bb.191:
	s_movk_i32 s2, 0x80
	v_cmp_ne_u16_e64 s[2:3], s2, v34
	v_mov_b32_e32 v39, 0xffff8000
	s_and_saveexec_b64 s[20:21], s[2:3]
	s_cbranch_execz .LBB676_195
; %bb.192:
	s_movk_i32 s2, 0x7f
	v_and_b32_e32 v31, 0x7f, v34
	v_cmp_ne_u32_e64 s[2:3], s2, v31
	v_mov_b32_e32 v39, 0x7f80
	s_and_saveexec_b64 s[22:23], s[2:3]
	s_cbranch_execz .LBB676_194
; %bb.193:
	v_and_b32_e32 v39, 7, v34
	v_ffbh_u32_e32 v46, v39
	v_min_u32_e32 v48, 32, v46
	v_subrev_u32_e32 v46, 28, v48
	v_lshlrev_b64 v[46:47], v46, v[34:35]
	v_lshrrev_b32_e32 v41, 3, v31
	v_sub_u32_e32 v34, 29, v48
	v_and_b32_e32 v46, 7, v46
	v_cmp_gt_u32_e64 s[2:3], 8, v31
	v_cndmask_b32_e64 v31, v41, v34, s[2:3]
	v_cndmask_b32_e64 v34, v39, v46, s[2:3]
	v_lshlrev_b32_e32 v30, 16, v30
	v_bfrev_b32_e32 v39, 60
	v_lshlrev_b32_e32 v34, 20, v34
	v_and_b32_e32 v30, 0x80000000, v30
	v_lshl_add_u32 v31, v31, 23, v39
	v_or3_b32 v30, v30, v31, v34
	v_lshrrev_b32_e32 v39, 16, v30
.LBB676_194:
	s_or_b64 exec, exec, s[22:23]
.LBB676_195:
	s_or_b64 exec, exec, s[20:21]
.LBB676_196:
	s_or_b64 exec, exec, s[8:9]
	s_movk_i32 s2, 0xff
	v_and_b32_sdwa v41, v33, s2 dst_sel:DWORD dst_unused:UNUSED_PAD src0_sel:WORD_1 src1_sel:DWORD
	v_lshrrev_b32_e32 v30, 16, v33
	v_cmp_ne_u16_e64 s[2:3], 0, v41
	v_mov_b32_e32 v31, 0
	v_mov_b32_e32 v34, 0
	s_and_saveexec_b64 s[8:9], s[2:3]
	s_cbranch_execz .LBB676_202
; %bb.197:
	s_movk_i32 s2, 0x80
	v_cmp_ne_u16_e64 s[2:3], s2, v41
	v_mov_b32_e32 v34, 0xffff8000
	s_and_saveexec_b64 s[20:21], s[2:3]
	s_cbranch_execz .LBB676_201
; %bb.198:
	v_bfe_u32 v41, v33, 16, 7
	s_movk_i32 s2, 0x7f
	v_cmp_ne_u32_e64 s[2:3], s2, v41
	v_mov_b32_e32 v34, 0x7f80
	s_and_saveexec_b64 s[22:23], s[2:3]
	s_cbranch_execz .LBB676_200
; %bb.199:
	v_and_b32_e32 v34, 7, v30
	v_ffbh_u32_e32 v46, v34
	v_min_u32_e32 v49, 32, v46
	v_subrev_u32_e32 v46, 28, v49
	v_lshlrev_b64 v[46:47], v46, v[30:31]
	v_lshrrev_b32_e32 v48, 3, v41
	v_sub_u32_e32 v30, 29, v49
	v_and_b32_e32 v46, 7, v46
	v_cmp_gt_u32_e64 s[2:3], 8, v41
	v_mov_b32_e32 v41, 24
	v_cndmask_b32_e64 v30, v48, v30, s[2:3]
	v_cndmask_b32_e64 v34, v34, v46, s[2:3]
	v_lshlrev_b32_sdwa v41, v41, v33 dst_sel:DWORD dst_unused:UNUSED_PAD src0_sel:DWORD src1_sel:WORD_1
	v_bfrev_b32_e32 v46, 60
	v_lshlrev_b32_e32 v34, 20, v34
	v_and_b32_e32 v41, 0x80000000, v41
	v_lshl_add_u32 v30, v30, 23, v46
	v_or3_b32 v30, v41, v30, v34
	v_lshrrev_b32_e32 v34, 16, v30
.LBB676_200:
	s_or_b64 exec, exec, s[22:23]
.LBB676_201:
	s_or_b64 exec, exec, s[20:21]
.LBB676_202:
	s_or_b64 exec, exec, s[8:9]
	s_mov_b32 s2, -1
	s_mov_b32 s3, 0xffffff
	v_cmp_lt_u64_e64 s[2:3], s[2:3], v[32:33]
	s_and_saveexec_b64 s[8:9], s[2:3]
	s_cbranch_execz .LBB676_208
; %bb.203:
	v_lshrrev_b32_e32 v30, 24, v33
	s_movk_i32 s2, 0x80
	v_cmp_ne_u32_e64 s[2:3], s2, v30
	v_mov_b32_e32 v31, 0xffff8000
	s_and_saveexec_b64 s[20:21], s[2:3]
	s_cbranch_execz .LBB676_207
; %bb.204:
	v_bfe_u32 v32, v33, 24, 7
	s_movk_i32 s2, 0x7f
	v_cmp_ne_u32_e64 s[2:3], s2, v32
	v_mov_b32_e32 v31, 0x7f80
	s_and_saveexec_b64 s[22:23], s[2:3]
	s_cbranch_execz .LBB676_206
; %bb.205:
	v_and_b32_e32 v31, 7, v30
	v_ffbh_u32_e32 v41, v31
	v_min_u32_e32 v41, 32, v41
	v_subrev_u32_e32 v46, 28, v41
	v_lshlrev_b64 v[46:47], v46, v[30:31]
	v_lshrrev_b32_e32 v33, 3, v32
	v_sub_u32_e32 v41, 29, v41
	v_and_b32_e32 v46, 7, v46
	v_cmp_gt_u32_e64 s[2:3], 8, v32
	v_cndmask_b32_e64 v32, v33, v41, s[2:3]
	v_cndmask_b32_e64 v31, v31, v46, s[2:3]
	v_lshlrev_b32_e32 v30, 24, v30
	v_bfrev_b32_e32 v33, 60
	v_lshlrev_b32_e32 v31, 20, v31
	v_and_b32_e32 v30, 0x80000000, v30
	v_lshl_add_u32 v32, v32, 23, v33
	v_or3_b32 v30, v30, v32, v31
	v_lshrrev_b32_e32 v31, 16, v30
.LBB676_206:
	s_or_b64 exec, exec, s[22:23]
.LBB676_207:
	s_or_b64 exec, exec, s[20:21]
.LBB676_208:
	s_or_b64 exec, exec, s[8:9]
	s_mov_b32 s2, 0x5040100
	v_perm_b32 v33, v38, v37, s2
	v_perm_b32 v32, v35, v36, s2
	;; [unrolled: 1-line block ×4, first 2 shown]
	v_mfma_f32_4x4x4bf16_1k a[0:3], v[18:19], v[32:33], a[0:3] cbsz:4 abid:3
	v_mov_b32_e32 v33, 0
	v_mfma_f32_4x4x4bf16_1k a[0:3], v[20:21], v[30:31], a[0:3] cbsz:4 abid:3
	s_waitcnt vmcnt(5)
	v_cmp_ne_u16_sdwa s[2:3], v26, v33 src0_sel:BYTE_0 src1_sel:DWORD
	v_mov_b32_e32 v34, 0
	s_and_saveexec_b64 s[8:9], s[2:3]
	s_cbranch_execz .LBB676_214
; %bb.209:
	s_movk_i32 s2, 0x80
	v_cmp_ne_u16_sdwa s[2:3], v26, s2 src0_sel:BYTE_0 src1_sel:DWORD
	v_mov_b32_e32 v34, 0xffff8000
	s_and_saveexec_b64 s[20:21], s[2:3]
	s_cbranch_execz .LBB676_213
; %bb.210:
	s_movk_i32 s2, 0x7f
	v_and_b32_e32 v30, 0x7f, v26
	v_cmp_ne_u32_e64 s[2:3], s2, v30
	v_mov_b32_e32 v34, 0x7f80
	s_and_saveexec_b64 s[22:23], s[2:3]
	s_cbranch_execz .LBB676_212
; %bb.211:
	v_and_b32_e32 v31, 7, v26
	v_ffbh_u32_e32 v31, v31
	v_min_u32_e32 v31, 32, v31
	v_subrev_u32_e32 v34, 28, v31
	v_cmp_gt_u32_e64 s[2:3], 8, v30
	v_lshrrev_b32_e32 v32, 3, v30
	v_sub_u32_e32 v31, 29, v31
	v_cndmask_b32_e64 v30, 0, v34, s[2:3]
	v_cndmask_b32_e64 v32, v32, v31, s[2:3]
	v_lshlrev_b64 v[30:31], v30, v[26:27]
	v_lshlrev_b32_e32 v30, 20, v30
	v_lshlrev_b32_e32 v31, 24, v26
	v_bfrev_b32_e32 v34, 60
	v_and_b32_e32 v30, 0x700000, v30
	v_and_b32_e32 v31, 0x80000000, v31
	v_lshl_add_u32 v32, v32, 23, v34
	v_or3_b32 v30, v31, v32, v30
	v_lshrrev_b32_e32 v34, 16, v30
.LBB676_212:
	s_or_b64 exec, exec, s[22:23]
.LBB676_213:
	s_or_b64 exec, exec, s[20:21]
.LBB676_214:
	s_or_b64 exec, exec, s[8:9]
	v_lshrrev_b16_e32 v30, 8, v26
	v_cmp_ne_u16_e64 s[2:3], 0, v30
	s_and_saveexec_b64 s[8:9], s[2:3]
	s_cbranch_execz .LBB676_220
; %bb.215:
	s_movk_i32 s2, 0x80
	v_cmp_ne_u16_e64 s[2:3], s2, v30
	v_mov_b32_e32 v33, 0xffff8000
	s_and_saveexec_b64 s[20:21], s[2:3]
	s_cbranch_execz .LBB676_219
; %bb.216:
	s_movk_i32 s2, 0x7f
	v_and_b32_e32 v31, 0x7f, v30
	v_cmp_ne_u32_e64 s[2:3], s2, v31
	v_mov_b32_e32 v33, 0x7f80
	s_and_saveexec_b64 s[22:23], s[2:3]
	s_cbranch_execz .LBB676_218
; %bb.217:
	v_and_b32_e32 v35, 7, v30
	v_ffbh_u32_e32 v32, v35
	v_min_u32_e32 v37, 32, v32
	v_subrev_u32_e32 v32, 28, v37
	v_lshlrev_b64 v[32:33], v32, v[30:31]
	v_lshrrev_b32_e32 v36, 3, v31
	v_sub_u32_e32 v30, 29, v37
	v_and_b32_e32 v32, 7, v32
	v_cmp_gt_u32_e64 s[2:3], 8, v31
	v_cndmask_b32_e64 v30, v36, v30, s[2:3]
	v_cndmask_b32_e64 v31, v35, v32, s[2:3]
	v_lshlrev_b32_e32 v32, 16, v26
	v_bfrev_b32_e32 v33, 60
	v_lshlrev_b32_e32 v31, 20, v31
	v_and_b32_e32 v32, 0x80000000, v32
	v_lshl_add_u32 v30, v30, 23, v33
	v_or3_b32 v30, v32, v30, v31
	v_lshrrev_b32_e32 v33, 16, v30
.LBB676_218:
	s_or_b64 exec, exec, s[22:23]
.LBB676_219:
	s_or_b64 exec, exec, s[20:21]
.LBB676_220:
	s_or_b64 exec, exec, s[8:9]
	s_movk_i32 s2, 0xff
	v_and_b32_sdwa v32, v26, s2 dst_sel:DWORD dst_unused:UNUSED_PAD src0_sel:WORD_1 src1_sel:DWORD
	v_lshrrev_b32_e32 v30, 16, v26
	v_cmp_ne_u16_e64 s[2:3], 0, v32
	v_mov_b32_e32 v31, 0
	v_mov_b32_e32 v35, 0
	s_and_saveexec_b64 s[8:9], s[2:3]
	s_cbranch_execz .LBB676_226
; %bb.221:
	s_movk_i32 s2, 0x80
	v_cmp_ne_u16_e64 s[2:3], s2, v32
	v_mov_b32_e32 v35, 0xffff8000
	s_and_saveexec_b64 s[20:21], s[2:3]
	s_cbranch_execz .LBB676_225
; %bb.222:
	v_bfe_u32 v32, v26, 16, 7
	s_movk_i32 s2, 0x7f
	v_cmp_ne_u32_e64 s[2:3], s2, v32
	v_mov_b32_e32 v35, 0x7f80
	s_and_saveexec_b64 s[22:23], s[2:3]
	s_cbranch_execz .LBB676_224
; %bb.223:
	v_and_b32_e32 v35, 7, v30
	v_ffbh_u32_e32 v36, v35
	v_min_u32_e32 v39, 32, v36
	v_subrev_u32_e32 v36, 28, v39
	v_lshlrev_b64 v[36:37], v36, v[30:31]
	v_and_b32_e32 v36, 7, v36
	v_cmp_gt_u32_e64 s[2:3], 8, v32
	v_lshrrev_b32_e32 v38, 3, v32
	v_sub_u32_e32 v30, 29, v39
	v_cndmask_b32_e64 v32, v35, v36, s[2:3]
	v_mov_b32_e32 v35, 24
	v_cndmask_b32_e64 v30, v38, v30, s[2:3]
	v_lshlrev_b32_sdwa v35, v35, v26 dst_sel:DWORD dst_unused:UNUSED_PAD src0_sel:DWORD src1_sel:WORD_1
	v_bfrev_b32_e32 v36, 60
	v_lshlrev_b32_e32 v32, 20, v32
	v_and_b32_e32 v35, 0x80000000, v35
	v_lshl_add_u32 v30, v30, 23, v36
	v_or3_b32 v30, v35, v30, v32
	v_lshrrev_b32_e32 v35, 16, v30
.LBB676_224:
	s_or_b64 exec, exec, s[22:23]
.LBB676_225:
	s_or_b64 exec, exec, s[20:21]
.LBB676_226:
	s_or_b64 exec, exec, s[8:9]
	s_mov_b32 s2, 0xffffff
	v_cmp_lt_u32_e64 s[2:3], s2, v26
	v_mov_b32_e32 v36, 0
	s_and_saveexec_b64 s[8:9], s[2:3]
	s_cbranch_execz .LBB676_232
; %bb.227:
	v_lshrrev_b32_e32 v30, 24, v26
	s_movk_i32 s2, 0x80
	v_cmp_ne_u32_e64 s[2:3], s2, v30
	v_mov_b32_e32 v36, 0xffff8000
	s_and_saveexec_b64 s[20:21], s[2:3]
	s_cbranch_execz .LBB676_231
; %bb.228:
	v_bfe_u32 v32, v26, 24, 7
	s_movk_i32 s2, 0x7f
	v_cmp_ne_u32_e64 s[2:3], s2, v32
	v_mov_b32_e32 v36, 0x7f80
	s_and_saveexec_b64 s[22:23], s[2:3]
	s_cbranch_execz .LBB676_230
; %bb.229:
	v_and_b32_e32 v38, 7, v30
	v_ffbh_u32_e32 v36, v38
	v_min_u32_e32 v40, 32, v36
	v_subrev_u32_e32 v36, 28, v40
	v_lshlrev_b64 v[36:37], v36, v[30:31]
	v_lshrrev_b32_e32 v39, 3, v32
	v_sub_u32_e32 v37, 29, v40
	v_and_b32_e32 v36, 7, v36
	v_cmp_gt_u32_e64 s[2:3], 8, v32
	v_cndmask_b32_e64 v32, v39, v37, s[2:3]
	v_cndmask_b32_e64 v36, v38, v36, s[2:3]
	v_lshlrev_b32_e32 v30, 24, v30
	v_bfrev_b32_e32 v37, 60
	v_lshlrev_b32_e32 v36, 20, v36
	v_and_b32_e32 v30, 0x80000000, v30
	v_lshl_add_u32 v32, v32, 23, v37
	v_or3_b32 v30, v30, v32, v36
	v_lshrrev_b32_e32 v36, 16, v30
.LBB676_230:
	s_or_b64 exec, exec, s[22:23]
.LBB676_231:
	s_or_b64 exec, exec, s[20:21]
.LBB676_232:
	s_or_b64 exec, exec, s[8:9]
	v_mov_b32_e32 v37, 0
	v_mov_b32_e32 v30, v27
	v_cmp_ne_u16_sdwa s[2:3], v27, v37 src0_sel:BYTE_0 src1_sel:DWORD
	v_mov_b32_e32 v38, 0
	s_and_saveexec_b64 s[8:9], s[2:3]
	s_cbranch_execz .LBB676_238
; %bb.233:
	s_movk_i32 s2, 0x80
	v_cmp_ne_u16_sdwa s[2:3], v27, s2 src0_sel:BYTE_0 src1_sel:DWORD
	v_mov_b32_e32 v38, 0xffff8000
	s_and_saveexec_b64 s[20:21], s[2:3]
	s_cbranch_execz .LBB676_237
; %bb.234:
	s_movk_i32 s2, 0x7f
	v_and_b32_e32 v32, 0x7f, v27
	v_cmp_ne_u32_e64 s[2:3], s2, v32
	v_mov_b32_e32 v38, 0x7f80
	s_and_saveexec_b64 s[22:23], s[2:3]
	s_cbranch_execz .LBB676_236
; %bb.235:
	v_and_b32_e32 v38, 7, v27
	v_ffbh_u32_e32 v38, v38
	v_min_u32_e32 v38, 32, v38
	v_lshrrev_b32_e32 v39, 3, v32
	v_subrev_u32_e32 v40, 28, v38
	v_sub_u32_e32 v38, 29, v38
	v_cmp_gt_u32_e64 s[2:3], 8, v32
	v_cndmask_b32_e64 v32, v39, v38, s[2:3]
	v_cndmask_b32_e64 v38, 0, v40, s[2:3]
	v_lshlrev_b64 v[38:39], v38, v[30:31]
	v_lshlrev_b32_e32 v31, 20, v38
	v_lshlrev_b32_e32 v38, 24, v30
	v_bfrev_b32_e32 v39, 60
	v_and_b32_e32 v31, 0x700000, v31
	v_and_b32_e32 v38, 0x80000000, v38
	v_lshl_add_u32 v32, v32, 23, v39
	v_or3_b32 v31, v38, v32, v31
	v_lshrrev_b32_e32 v38, 16, v31
.LBB676_236:
	s_or_b64 exec, exec, s[22:23]
.LBB676_237:
	s_or_b64 exec, exec, s[20:21]
.LBB676_238:
	s_or_b64 exec, exec, s[8:9]
	v_lshrrev_b16_e32 v32, 8, v30
	v_cmp_ne_u16_e64 s[2:3], 0, v32
	s_and_saveexec_b64 s[8:9], s[2:3]
	s_cbranch_execz .LBB676_244
; %bb.239:
	s_movk_i32 s2, 0x80
	v_cmp_ne_u16_e64 s[2:3], s2, v32
	v_mov_b32_e32 v37, 0xffff8000
	s_and_saveexec_b64 s[20:21], s[2:3]
	s_cbranch_execz .LBB676_243
; %bb.240:
	s_movk_i32 s2, 0x7f
	v_and_b32_e32 v31, 0x7f, v32
	v_cmp_ne_u32_e64 s[2:3], s2, v31
	v_mov_b32_e32 v37, 0x7f80
	s_and_saveexec_b64 s[22:23], s[2:3]
	s_cbranch_execz .LBB676_242
; %bb.241:
	v_and_b32_e32 v37, 7, v32
	v_ffbh_u32_e32 v40, v37
	v_min_u32_e32 v46, 32, v40
	v_subrev_u32_e32 v40, 28, v46
	v_lshlrev_b64 v[40:41], v40, v[32:33]
	v_lshrrev_b32_e32 v39, 3, v31
	v_sub_u32_e32 v32, 29, v46
	v_and_b32_e32 v40, 7, v40
	v_cmp_gt_u32_e64 s[2:3], 8, v31
	v_cndmask_b32_e64 v31, v39, v32, s[2:3]
	v_cndmask_b32_e64 v32, v37, v40, s[2:3]
	v_lshlrev_b32_e32 v30, 16, v30
	v_bfrev_b32_e32 v37, 60
	v_lshlrev_b32_e32 v32, 20, v32
	v_and_b32_e32 v30, 0x80000000, v30
	v_lshl_add_u32 v31, v31, 23, v37
	v_or3_b32 v30, v30, v31, v32
	v_lshrrev_b32_e32 v37, 16, v30
.LBB676_242:
	s_or_b64 exec, exec, s[22:23]
.LBB676_243:
	s_or_b64 exec, exec, s[20:21]
.LBB676_244:
	s_or_b64 exec, exec, s[8:9]
	s_movk_i32 s2, 0xff
	v_and_b32_sdwa v39, v27, s2 dst_sel:DWORD dst_unused:UNUSED_PAD src0_sel:WORD_1 src1_sel:DWORD
	v_lshrrev_b32_e32 v30, 16, v27
	v_cmp_ne_u16_e64 s[2:3], 0, v39
	v_mov_b32_e32 v31, 0
	v_mov_b32_e32 v32, 0
	s_and_saveexec_b64 s[8:9], s[2:3]
	s_cbranch_execz .LBB676_250
; %bb.245:
	s_movk_i32 s2, 0x80
	v_cmp_ne_u16_e64 s[2:3], s2, v39
	v_mov_b32_e32 v32, 0xffff8000
	s_and_saveexec_b64 s[20:21], s[2:3]
	s_cbranch_execz .LBB676_249
; %bb.246:
	v_bfe_u32 v39, v27, 16, 7
	s_movk_i32 s2, 0x7f
	v_cmp_ne_u32_e64 s[2:3], s2, v39
	v_mov_b32_e32 v32, 0x7f80
	s_and_saveexec_b64 s[22:23], s[2:3]
	s_cbranch_execz .LBB676_248
; %bb.247:
	v_and_b32_e32 v32, 7, v30
	v_ffbh_u32_e32 v40, v32
	v_min_u32_e32 v47, 32, v40
	v_subrev_u32_e32 v40, 28, v47
	v_lshlrev_b64 v[40:41], v40, v[30:31]
	v_lshrrev_b32_e32 v46, 3, v39
	v_sub_u32_e32 v30, 29, v47
	v_and_b32_e32 v40, 7, v40
	v_cmp_gt_u32_e64 s[2:3], 8, v39
	v_mov_b32_e32 v39, 24
	v_cndmask_b32_e64 v30, v46, v30, s[2:3]
	v_cndmask_b32_e64 v32, v32, v40, s[2:3]
	v_lshlrev_b32_sdwa v39, v39, v27 dst_sel:DWORD dst_unused:UNUSED_PAD src0_sel:DWORD src1_sel:WORD_1
	v_bfrev_b32_e32 v40, 60
	v_lshlrev_b32_e32 v32, 20, v32
	v_and_b32_e32 v39, 0x80000000, v39
	v_lshl_add_u32 v30, v30, 23, v40
	v_or3_b32 v30, v39, v30, v32
	v_lshrrev_b32_e32 v32, 16, v30
.LBB676_248:
	s_or_b64 exec, exec, s[22:23]
.LBB676_249:
	s_or_b64 exec, exec, s[20:21]
.LBB676_250:
	s_or_b64 exec, exec, s[8:9]
	s_mov_b32 s2, -1
	s_mov_b32 s3, 0xffffff
	v_cmp_lt_u64_e64 s[2:3], s[2:3], v[26:27]
	s_and_saveexec_b64 s[8:9], s[2:3]
	s_cbranch_execz .LBB676_256
; %bb.251:
	v_lshrrev_b32_e32 v26, 24, v27
	s_movk_i32 s2, 0x80
	v_cmp_ne_u32_e64 s[2:3], s2, v26
	v_mov_b32_e32 v31, 0xffff8000
	s_and_saveexec_b64 s[20:21], s[2:3]
	s_cbranch_execz .LBB676_255
; %bb.252:
	v_bfe_u32 v27, v27, 24, 7
	s_movk_i32 s2, 0x7f
	v_cmp_ne_u32_e64 s[2:3], s2, v27
	v_mov_b32_e32 v31, 0x7f80
	s_and_saveexec_b64 s[22:23], s[2:3]
	s_cbranch_execz .LBB676_254
; %bb.253:
	v_and_b32_e32 v39, 7, v26
	v_ffbh_u32_e32 v30, v39
	v_min_u32_e32 v41, 32, v30
	v_subrev_u32_e32 v30, 28, v41
	v_lshlrev_b64 v[30:31], v30, v[26:27]
	v_lshrrev_b32_e32 v40, 3, v27
	v_sub_u32_e32 v31, 29, v41
	v_and_b32_e32 v30, 7, v30
	v_cmp_gt_u32_e64 s[2:3], 8, v27
	v_cndmask_b32_e64 v27, v40, v31, s[2:3]
	v_cndmask_b32_e64 v30, v39, v30, s[2:3]
	v_lshlrev_b32_e32 v26, 24, v26
	v_bfrev_b32_e32 v31, 60
	v_lshlrev_b32_e32 v30, 20, v30
	v_and_b32_e32 v26, 0x80000000, v26
	v_lshl_add_u32 v27, v27, 23, v31
	v_or3_b32 v26, v26, v27, v30
	v_lshrrev_b32_e32 v31, 16, v26
.LBB676_254:
	s_or_b64 exec, exec, s[22:23]
.LBB676_255:
	s_or_b64 exec, exec, s[20:21]
.LBB676_256:
	s_or_b64 exec, exec, s[8:9]
	s_mov_b32 s2, 0x5040100
	v_perm_b32 v27, v36, v35, s2
	v_perm_b32 v26, v33, v34, s2
	;; [unrolled: 1-line block ×4, first 2 shown]
	v_mfma_f32_4x4x4bf16_1k a[0:3], v[18:19], v[26:27], a[0:3] cbsz:4 abid:4
	v_mov_b32_e32 v32, 0
	v_mfma_f32_4x4x4bf16_1k a[0:3], v[20:21], v[30:31], a[0:3] cbsz:4 abid:4
	v_mov_b32_e32 v31, 0
	v_cmp_ne_u16_sdwa s[2:3], v28, v31 src0_sel:BYTE_0 src1_sel:DWORD
	s_and_saveexec_b64 s[8:9], s[2:3]
	s_cbranch_execz .LBB676_262
; %bb.257:
	s_movk_i32 s2, 0x80
	v_cmp_ne_u16_sdwa s[2:3], v28, s2 src0_sel:BYTE_0 src1_sel:DWORD
	v_mov_b32_e32 v32, 0xffff8000
	s_and_saveexec_b64 s[20:21], s[2:3]
	s_cbranch_execz .LBB676_261
; %bb.258:
	s_movk_i32 s2, 0x7f
	v_and_b32_e32 v26, 0x7f, v28
	v_cmp_ne_u32_e64 s[2:3], s2, v26
	v_mov_b32_e32 v32, 0x7f80
	s_and_saveexec_b64 s[22:23], s[2:3]
	s_cbranch_execz .LBB676_260
; %bb.259:
	v_and_b32_e32 v27, 7, v28
	v_ffbh_u32_e32 v27, v27
	v_min_u32_e32 v27, 32, v27
	v_subrev_u32_e32 v32, 28, v27
	v_cmp_gt_u32_e64 s[2:3], 8, v26
	v_lshrrev_b32_e32 v30, 3, v26
	v_sub_u32_e32 v27, 29, v27
	v_cndmask_b32_e64 v26, 0, v32, s[2:3]
	v_cndmask_b32_e64 v30, v30, v27, s[2:3]
	v_lshlrev_b64 v[26:27], v26, v[28:29]
	v_lshlrev_b32_e32 v26, 20, v26
	v_lshlrev_b32_e32 v27, 24, v28
	v_bfrev_b32_e32 v32, 60
	v_and_b32_e32 v26, 0x700000, v26
	v_and_b32_e32 v27, 0x80000000, v27
	v_lshl_add_u32 v30, v30, 23, v32
	v_or3_b32 v26, v27, v30, v26
	v_lshrrev_b32_e32 v32, 16, v26
.LBB676_260:
	s_or_b64 exec, exec, s[22:23]
.LBB676_261:
	s_or_b64 exec, exec, s[20:21]
.LBB676_262:
	s_or_b64 exec, exec, s[8:9]
	v_lshrrev_b16_e32 v26, 8, v28
	v_cmp_ne_u16_e64 s[2:3], 0, v26
	s_and_saveexec_b64 s[8:9], s[2:3]
	s_cbranch_execz .LBB676_268
; %bb.263:
	s_movk_i32 s2, 0x80
	v_cmp_ne_u16_e64 s[2:3], s2, v26
	v_mov_b32_e32 v31, 0xffff8000
	s_and_saveexec_b64 s[20:21], s[2:3]
	s_cbranch_execz .LBB676_267
; %bb.264:
	s_movk_i32 s2, 0x7f
	v_and_b32_e32 v27, 0x7f, v26
	v_cmp_ne_u32_e64 s[2:3], s2, v27
	v_mov_b32_e32 v31, 0x7f80
	s_and_saveexec_b64 s[22:23], s[2:3]
	s_cbranch_execz .LBB676_266
; %bb.265:
	v_and_b32_e32 v33, 7, v26
	v_ffbh_u32_e32 v30, v33
	v_min_u32_e32 v35, 32, v30
	v_subrev_u32_e32 v30, 28, v35
	v_lshlrev_b64 v[30:31], v30, v[26:27]
	v_lshrrev_b32_e32 v34, 3, v27
	v_sub_u32_e32 v26, 29, v35
	v_and_b32_e32 v30, 7, v30
	v_cmp_gt_u32_e64 s[2:3], 8, v27
	v_cndmask_b32_e64 v26, v34, v26, s[2:3]
	v_cndmask_b32_e64 v27, v33, v30, s[2:3]
	v_lshlrev_b32_e32 v30, 16, v28
	v_bfrev_b32_e32 v31, 60
	v_lshlrev_b32_e32 v27, 20, v27
	v_and_b32_e32 v30, 0x80000000, v30
	v_lshl_add_u32 v26, v26, 23, v31
	v_or3_b32 v26, v30, v26, v27
	v_lshrrev_b32_e32 v31, 16, v26
.LBB676_266:
	s_or_b64 exec, exec, s[22:23]
.LBB676_267:
	s_or_b64 exec, exec, s[20:21]
.LBB676_268:
	s_or_b64 exec, exec, s[8:9]
	s_movk_i32 s2, 0xff
	v_and_b32_sdwa v30, v28, s2 dst_sel:DWORD dst_unused:UNUSED_PAD src0_sel:WORD_1 src1_sel:DWORD
	v_lshrrev_b32_e32 v26, 16, v28
	v_cmp_ne_u16_e64 s[2:3], 0, v30
	v_mov_b32_e32 v27, 0
	v_mov_b32_e32 v33, 0
	s_and_saveexec_b64 s[8:9], s[2:3]
	s_cbranch_execz .LBB676_274
; %bb.269:
	s_movk_i32 s2, 0x80
	v_cmp_ne_u16_e64 s[2:3], s2, v30
	v_mov_b32_e32 v33, 0xffff8000
	s_and_saveexec_b64 s[20:21], s[2:3]
	s_cbranch_execz .LBB676_273
; %bb.270:
	v_bfe_u32 v30, v28, 16, 7
	s_movk_i32 s2, 0x7f
	v_cmp_ne_u32_e64 s[2:3], s2, v30
	v_mov_b32_e32 v33, 0x7f80
	s_and_saveexec_b64 s[22:23], s[2:3]
	s_cbranch_execz .LBB676_272
; %bb.271:
	v_and_b32_e32 v33, 7, v26
	v_ffbh_u32_e32 v34, v33
	v_min_u32_e32 v37, 32, v34
	v_subrev_u32_e32 v34, 28, v37
	v_lshlrev_b64 v[34:35], v34, v[26:27]
	v_and_b32_e32 v34, 7, v34
	v_cmp_gt_u32_e64 s[2:3], 8, v30
	v_lshrrev_b32_e32 v36, 3, v30
	v_sub_u32_e32 v26, 29, v37
	v_cndmask_b32_e64 v30, v33, v34, s[2:3]
	v_mov_b32_e32 v33, 24
	v_cndmask_b32_e64 v26, v36, v26, s[2:3]
	v_lshlrev_b32_sdwa v33, v33, v28 dst_sel:DWORD dst_unused:UNUSED_PAD src0_sel:DWORD src1_sel:WORD_1
	v_bfrev_b32_e32 v34, 60
	v_lshlrev_b32_e32 v30, 20, v30
	v_and_b32_e32 v33, 0x80000000, v33
	v_lshl_add_u32 v26, v26, 23, v34
	v_or3_b32 v26, v33, v26, v30
	v_lshrrev_b32_e32 v33, 16, v26
.LBB676_272:
	s_or_b64 exec, exec, s[22:23]
.LBB676_273:
	s_or_b64 exec, exec, s[20:21]
.LBB676_274:
	s_or_b64 exec, exec, s[8:9]
	s_mov_b32 s2, 0xffffff
	v_cmp_lt_u32_e64 s[2:3], s2, v28
	v_mov_b32_e32 v34, 0
	s_and_saveexec_b64 s[8:9], s[2:3]
	s_cbranch_execz .LBB676_280
; %bb.275:
	v_lshrrev_b32_e32 v26, 24, v28
	s_movk_i32 s2, 0x80
	v_cmp_ne_u32_e64 s[2:3], s2, v26
	v_mov_b32_e32 v34, 0xffff8000
	s_and_saveexec_b64 s[20:21], s[2:3]
	s_cbranch_execz .LBB676_279
; %bb.276:
	v_bfe_u32 v30, v28, 24, 7
	s_movk_i32 s2, 0x7f
	v_cmp_ne_u32_e64 s[2:3], s2, v30
	v_mov_b32_e32 v34, 0x7f80
	s_and_saveexec_b64 s[22:23], s[2:3]
	s_cbranch_execz .LBB676_278
; %bb.277:
	v_and_b32_e32 v36, 7, v26
	v_ffbh_u32_e32 v34, v36
	v_min_u32_e32 v38, 32, v34
	v_subrev_u32_e32 v34, 28, v38
	v_lshlrev_b64 v[34:35], v34, v[26:27]
	v_lshrrev_b32_e32 v37, 3, v30
	v_sub_u32_e32 v35, 29, v38
	v_and_b32_e32 v34, 7, v34
	v_cmp_gt_u32_e64 s[2:3], 8, v30
	v_cndmask_b32_e64 v30, v37, v35, s[2:3]
	v_cndmask_b32_e64 v34, v36, v34, s[2:3]
	v_lshlrev_b32_e32 v26, 24, v26
	v_bfrev_b32_e32 v35, 60
	v_lshlrev_b32_e32 v34, 20, v34
	v_and_b32_e32 v26, 0x80000000, v26
	v_lshl_add_u32 v30, v30, 23, v35
	v_or3_b32 v26, v26, v30, v34
	v_lshrrev_b32_e32 v34, 16, v26
.LBB676_278:
	s_or_b64 exec, exec, s[22:23]
.LBB676_279:
	s_or_b64 exec, exec, s[20:21]
.LBB676_280:
	s_or_b64 exec, exec, s[8:9]
	v_mov_b32_e32 v35, 0
	v_mov_b32_e32 v26, v29
	v_cmp_ne_u16_sdwa s[2:3], v29, v35 src0_sel:BYTE_0 src1_sel:DWORD
	v_mov_b32_e32 v36, 0
	s_and_saveexec_b64 s[8:9], s[2:3]
	s_cbranch_execz .LBB676_286
; %bb.281:
	s_movk_i32 s2, 0x80
	v_cmp_ne_u16_sdwa s[2:3], v29, s2 src0_sel:BYTE_0 src1_sel:DWORD
	v_mov_b32_e32 v36, 0xffff8000
	s_and_saveexec_b64 s[20:21], s[2:3]
	s_cbranch_execz .LBB676_285
; %bb.282:
	s_movk_i32 s2, 0x7f
	v_and_b32_e32 v30, 0x7f, v29
	v_cmp_ne_u32_e64 s[2:3], s2, v30
	v_mov_b32_e32 v36, 0x7f80
	s_and_saveexec_b64 s[22:23], s[2:3]
	s_cbranch_execz .LBB676_284
; %bb.283:
	v_and_b32_e32 v36, 7, v29
	v_ffbh_u32_e32 v36, v36
	v_min_u32_e32 v36, 32, v36
	v_lshrrev_b32_e32 v37, 3, v30
	v_subrev_u32_e32 v38, 28, v36
	v_sub_u32_e32 v36, 29, v36
	v_cmp_gt_u32_e64 s[2:3], 8, v30
	v_cndmask_b32_e64 v30, v37, v36, s[2:3]
	v_cndmask_b32_e64 v36, 0, v38, s[2:3]
	v_lshlrev_b64 v[36:37], v36, v[26:27]
	v_lshlrev_b32_e32 v27, 20, v36
	v_lshlrev_b32_e32 v36, 24, v26
	v_bfrev_b32_e32 v37, 60
	v_and_b32_e32 v27, 0x700000, v27
	v_and_b32_e32 v36, 0x80000000, v36
	v_lshl_add_u32 v30, v30, 23, v37
	v_or3_b32 v27, v36, v30, v27
	v_lshrrev_b32_e32 v36, 16, v27
.LBB676_284:
	s_or_b64 exec, exec, s[22:23]
.LBB676_285:
	s_or_b64 exec, exec, s[20:21]
.LBB676_286:
	s_or_b64 exec, exec, s[8:9]
	v_lshrrev_b16_e32 v30, 8, v26
	v_cmp_ne_u16_e64 s[2:3], 0, v30
	s_and_saveexec_b64 s[8:9], s[2:3]
	s_cbranch_execz .LBB676_292
; %bb.287:
	s_movk_i32 s2, 0x80
	v_cmp_ne_u16_e64 s[2:3], s2, v30
	v_mov_b32_e32 v35, 0xffff8000
	s_and_saveexec_b64 s[20:21], s[2:3]
	s_cbranch_execz .LBB676_291
; %bb.288:
	s_movk_i32 s2, 0x7f
	v_and_b32_e32 v27, 0x7f, v30
	v_cmp_ne_u32_e64 s[2:3], s2, v27
	v_mov_b32_e32 v35, 0x7f80
	s_and_saveexec_b64 s[22:23], s[2:3]
	s_cbranch_execz .LBB676_290
; %bb.289:
	v_and_b32_e32 v35, 7, v30
	v_ffbh_u32_e32 v38, v35
	v_min_u32_e32 v40, 32, v38
	v_subrev_u32_e32 v38, 28, v40
	v_lshlrev_b64 v[38:39], v38, v[30:31]
	v_lshrrev_b32_e32 v37, 3, v27
	v_sub_u32_e32 v30, 29, v40
	v_and_b32_e32 v38, 7, v38
	v_cmp_gt_u32_e64 s[2:3], 8, v27
	v_cndmask_b32_e64 v27, v37, v30, s[2:3]
	v_cndmask_b32_e64 v30, v35, v38, s[2:3]
	v_lshlrev_b32_e32 v26, 16, v26
	v_bfrev_b32_e32 v35, 60
	v_lshlrev_b32_e32 v30, 20, v30
	v_and_b32_e32 v26, 0x80000000, v26
	v_lshl_add_u32 v27, v27, 23, v35
	v_or3_b32 v26, v26, v27, v30
	v_lshrrev_b32_e32 v35, 16, v26
.LBB676_290:
	s_or_b64 exec, exec, s[22:23]
.LBB676_291:
	s_or_b64 exec, exec, s[20:21]
.LBB676_292:
	s_or_b64 exec, exec, s[8:9]
	s_movk_i32 s2, 0xff
	v_and_b32_sdwa v37, v29, s2 dst_sel:DWORD dst_unused:UNUSED_PAD src0_sel:WORD_1 src1_sel:DWORD
	v_lshrrev_b32_e32 v26, 16, v29
	v_cmp_ne_u16_e64 s[2:3], 0, v37
	v_mov_b32_e32 v27, 0
	v_mov_b32_e32 v30, 0
	s_and_saveexec_b64 s[8:9], s[2:3]
	s_cbranch_execz .LBB676_298
; %bb.293:
	s_movk_i32 s2, 0x80
	v_cmp_ne_u16_e64 s[2:3], s2, v37
	v_mov_b32_e32 v30, 0xffff8000
	s_and_saveexec_b64 s[20:21], s[2:3]
	s_cbranch_execz .LBB676_297
; %bb.294:
	v_bfe_u32 v37, v29, 16, 7
	s_movk_i32 s2, 0x7f
	v_cmp_ne_u32_e64 s[2:3], s2, v37
	v_mov_b32_e32 v30, 0x7f80
	s_and_saveexec_b64 s[22:23], s[2:3]
	s_cbranch_execz .LBB676_296
; %bb.295:
	v_and_b32_e32 v30, 7, v26
	v_ffbh_u32_e32 v38, v30
	v_min_u32_e32 v41, 32, v38
	v_subrev_u32_e32 v38, 28, v41
	v_lshlrev_b64 v[38:39], v38, v[26:27]
	v_lshrrev_b32_e32 v40, 3, v37
	v_sub_u32_e32 v26, 29, v41
	v_and_b32_e32 v38, 7, v38
	v_cmp_gt_u32_e64 s[2:3], 8, v37
	v_mov_b32_e32 v37, 24
	v_cndmask_b32_e64 v26, v40, v26, s[2:3]
	v_cndmask_b32_e64 v30, v30, v38, s[2:3]
	v_lshlrev_b32_sdwa v37, v37, v29 dst_sel:DWORD dst_unused:UNUSED_PAD src0_sel:DWORD src1_sel:WORD_1
	v_bfrev_b32_e32 v38, 60
	v_lshlrev_b32_e32 v30, 20, v30
	v_and_b32_e32 v37, 0x80000000, v37
	v_lshl_add_u32 v26, v26, 23, v38
	v_or3_b32 v26, v37, v26, v30
	v_lshrrev_b32_e32 v30, 16, v26
.LBB676_296:
	s_or_b64 exec, exec, s[22:23]
.LBB676_297:
	s_or_b64 exec, exec, s[20:21]
.LBB676_298:
	s_or_b64 exec, exec, s[8:9]
	s_mov_b32 s2, -1
	s_mov_b32 s3, 0xffffff
	v_cmp_lt_u64_e64 s[2:3], s[2:3], v[28:29]
	s_and_saveexec_b64 s[8:9], s[2:3]
	s_cbranch_execz .LBB676_304
; %bb.299:
	v_lshrrev_b32_e32 v26, 24, v29
	s_movk_i32 s2, 0x80
	v_cmp_ne_u32_e64 s[2:3], s2, v26
	v_mov_b32_e32 v27, 0xffff8000
	s_and_saveexec_b64 s[20:21], s[2:3]
	s_cbranch_execz .LBB676_303
; %bb.300:
	v_bfe_u32 v28, v29, 24, 7
	s_movk_i32 s2, 0x7f
	v_cmp_ne_u32_e64 s[2:3], s2, v28
	v_mov_b32_e32 v27, 0x7f80
	s_and_saveexec_b64 s[22:23], s[2:3]
	s_cbranch_execz .LBB676_302
; %bb.301:
	v_and_b32_e32 v27, 7, v26
	v_ffbh_u32_e32 v37, v27
	v_min_u32_e32 v37, 32, v37
	v_subrev_u32_e32 v38, 28, v37
	v_lshlrev_b64 v[38:39], v38, v[26:27]
	v_lshrrev_b32_e32 v29, 3, v28
	v_sub_u32_e32 v37, 29, v37
	v_and_b32_e32 v38, 7, v38
	v_cmp_gt_u32_e64 s[2:3], 8, v28
	v_cndmask_b32_e64 v28, v29, v37, s[2:3]
	v_cndmask_b32_e64 v27, v27, v38, s[2:3]
	v_lshlrev_b32_e32 v26, 24, v26
	v_bfrev_b32_e32 v29, 60
	v_lshlrev_b32_e32 v27, 20, v27
	v_and_b32_e32 v26, 0x80000000, v26
	v_lshl_add_u32 v28, v28, 23, v29
	v_or3_b32 v26, v26, v28, v27
	v_lshrrev_b32_e32 v27, 16, v26
.LBB676_302:
	s_or_b64 exec, exec, s[22:23]
.LBB676_303:
	s_or_b64 exec, exec, s[20:21]
.LBB676_304:
	s_or_b64 exec, exec, s[8:9]
	s_mov_b32 s2, 0x5040100
	v_perm_b32 v29, v34, v33, s2
	v_perm_b32 v28, v31, v32, s2
	;; [unrolled: 1-line block ×4, first 2 shown]
	v_mfma_f32_4x4x4bf16_1k a[0:3], v[18:19], v[28:29], a[0:3] cbsz:4 abid:5
	v_mov_b32_e32 v29, 0
	v_mfma_f32_4x4x4bf16_1k a[0:3], v[20:21], v[26:27], a[0:3] cbsz:4 abid:5
	s_waitcnt vmcnt(4)
	v_cmp_ne_u16_sdwa s[2:3], v22, v29 src0_sel:BYTE_0 src1_sel:DWORD
	v_mov_b32_e32 v30, 0
	s_and_saveexec_b64 s[8:9], s[2:3]
	s_cbranch_execz .LBB676_310
; %bb.305:
	s_movk_i32 s2, 0x80
	v_cmp_ne_u16_sdwa s[2:3], v22, s2 src0_sel:BYTE_0 src1_sel:DWORD
	v_mov_b32_e32 v30, 0xffff8000
	s_and_saveexec_b64 s[20:21], s[2:3]
	s_cbranch_execz .LBB676_309
; %bb.306:
	s_movk_i32 s2, 0x7f
	v_and_b32_e32 v26, 0x7f, v22
	v_cmp_ne_u32_e64 s[2:3], s2, v26
	v_mov_b32_e32 v30, 0x7f80
	s_and_saveexec_b64 s[22:23], s[2:3]
	s_cbranch_execz .LBB676_308
; %bb.307:
	v_and_b32_e32 v27, 7, v22
	v_ffbh_u32_e32 v27, v27
	v_min_u32_e32 v27, 32, v27
	v_subrev_u32_e32 v30, 28, v27
	v_cmp_gt_u32_e64 s[2:3], 8, v26
	v_lshrrev_b32_e32 v28, 3, v26
	v_sub_u32_e32 v27, 29, v27
	v_cndmask_b32_e64 v26, 0, v30, s[2:3]
	v_cndmask_b32_e64 v28, v28, v27, s[2:3]
	v_lshlrev_b64 v[26:27], v26, v[22:23]
	v_lshlrev_b32_e32 v26, 20, v26
	v_lshlrev_b32_e32 v27, 24, v22
	v_bfrev_b32_e32 v30, 60
	v_and_b32_e32 v26, 0x700000, v26
	v_and_b32_e32 v27, 0x80000000, v27
	v_lshl_add_u32 v28, v28, 23, v30
	v_or3_b32 v26, v27, v28, v26
	v_lshrrev_b32_e32 v30, 16, v26
.LBB676_308:
	s_or_b64 exec, exec, s[22:23]
.LBB676_309:
	s_or_b64 exec, exec, s[20:21]
.LBB676_310:
	s_or_b64 exec, exec, s[8:9]
	v_lshrrev_b16_e32 v26, 8, v22
	v_cmp_ne_u16_e64 s[2:3], 0, v26
	s_and_saveexec_b64 s[8:9], s[2:3]
	s_cbranch_execz .LBB676_316
; %bb.311:
	s_movk_i32 s2, 0x80
	v_cmp_ne_u16_e64 s[2:3], s2, v26
	v_mov_b32_e32 v29, 0xffff8000
	s_and_saveexec_b64 s[20:21], s[2:3]
	s_cbranch_execz .LBB676_315
; %bb.312:
	s_movk_i32 s2, 0x7f
	v_and_b32_e32 v27, 0x7f, v26
	v_cmp_ne_u32_e64 s[2:3], s2, v27
	v_mov_b32_e32 v29, 0x7f80
	s_and_saveexec_b64 s[22:23], s[2:3]
	s_cbranch_execz .LBB676_314
; %bb.313:
	v_and_b32_e32 v31, 7, v26
	v_ffbh_u32_e32 v28, v31
	v_min_u32_e32 v33, 32, v28
	v_subrev_u32_e32 v28, 28, v33
	v_lshlrev_b64 v[28:29], v28, v[26:27]
	v_lshrrev_b32_e32 v32, 3, v27
	v_sub_u32_e32 v26, 29, v33
	v_and_b32_e32 v28, 7, v28
	v_cmp_gt_u32_e64 s[2:3], 8, v27
	v_cndmask_b32_e64 v26, v32, v26, s[2:3]
	v_cndmask_b32_e64 v27, v31, v28, s[2:3]
	v_lshlrev_b32_e32 v28, 16, v22
	v_bfrev_b32_e32 v29, 60
	v_lshlrev_b32_e32 v27, 20, v27
	v_and_b32_e32 v28, 0x80000000, v28
	v_lshl_add_u32 v26, v26, 23, v29
	v_or3_b32 v26, v28, v26, v27
	v_lshrrev_b32_e32 v29, 16, v26
.LBB676_314:
	s_or_b64 exec, exec, s[22:23]
.LBB676_315:
	s_or_b64 exec, exec, s[20:21]
.LBB676_316:
	s_or_b64 exec, exec, s[8:9]
	s_movk_i32 s2, 0xff
	v_and_b32_sdwa v28, v22, s2 dst_sel:DWORD dst_unused:UNUSED_PAD src0_sel:WORD_1 src1_sel:DWORD
	v_lshrrev_b32_e32 v26, 16, v22
	v_cmp_ne_u16_e64 s[2:3], 0, v28
	v_mov_b32_e32 v27, 0
	v_mov_b32_e32 v31, 0
	s_and_saveexec_b64 s[8:9], s[2:3]
	s_cbranch_execz .LBB676_322
; %bb.317:
	s_movk_i32 s2, 0x80
	v_cmp_ne_u16_e64 s[2:3], s2, v28
	v_mov_b32_e32 v31, 0xffff8000
	s_and_saveexec_b64 s[20:21], s[2:3]
	s_cbranch_execz .LBB676_321
; %bb.318:
	v_bfe_u32 v28, v22, 16, 7
	s_movk_i32 s2, 0x7f
	v_cmp_ne_u32_e64 s[2:3], s2, v28
	v_mov_b32_e32 v31, 0x7f80
	s_and_saveexec_b64 s[22:23], s[2:3]
	s_cbranch_execz .LBB676_320
; %bb.319:
	v_and_b32_e32 v31, 7, v26
	v_ffbh_u32_e32 v32, v31
	v_min_u32_e32 v35, 32, v32
	v_subrev_u32_e32 v32, 28, v35
	v_lshlrev_b64 v[32:33], v32, v[26:27]
	v_and_b32_e32 v32, 7, v32
	v_cmp_gt_u32_e64 s[2:3], 8, v28
	v_lshrrev_b32_e32 v34, 3, v28
	v_sub_u32_e32 v26, 29, v35
	v_cndmask_b32_e64 v28, v31, v32, s[2:3]
	v_mov_b32_e32 v31, 24
	v_cndmask_b32_e64 v26, v34, v26, s[2:3]
	v_lshlrev_b32_sdwa v31, v31, v22 dst_sel:DWORD dst_unused:UNUSED_PAD src0_sel:DWORD src1_sel:WORD_1
	v_bfrev_b32_e32 v32, 60
	v_lshlrev_b32_e32 v28, 20, v28
	v_and_b32_e32 v31, 0x80000000, v31
	v_lshl_add_u32 v26, v26, 23, v32
	v_or3_b32 v26, v31, v26, v28
	v_lshrrev_b32_e32 v31, 16, v26
.LBB676_320:
	s_or_b64 exec, exec, s[22:23]
.LBB676_321:
	s_or_b64 exec, exec, s[20:21]
.LBB676_322:
	s_or_b64 exec, exec, s[8:9]
	s_mov_b32 s2, 0xffffff
	v_cmp_lt_u32_e64 s[2:3], s2, v22
	v_mov_b32_e32 v32, 0
	s_and_saveexec_b64 s[8:9], s[2:3]
	s_cbranch_execz .LBB676_328
; %bb.323:
	v_lshrrev_b32_e32 v26, 24, v22
	s_movk_i32 s2, 0x80
	v_cmp_ne_u32_e64 s[2:3], s2, v26
	v_mov_b32_e32 v32, 0xffff8000
	s_and_saveexec_b64 s[20:21], s[2:3]
	s_cbranch_execz .LBB676_327
; %bb.324:
	v_bfe_u32 v28, v22, 24, 7
	s_movk_i32 s2, 0x7f
	v_cmp_ne_u32_e64 s[2:3], s2, v28
	v_mov_b32_e32 v32, 0x7f80
	s_and_saveexec_b64 s[22:23], s[2:3]
	s_cbranch_execz .LBB676_326
; %bb.325:
	v_and_b32_e32 v34, 7, v26
	v_ffbh_u32_e32 v32, v34
	v_min_u32_e32 v36, 32, v32
	v_subrev_u32_e32 v32, 28, v36
	v_lshlrev_b64 v[32:33], v32, v[26:27]
	v_lshrrev_b32_e32 v35, 3, v28
	v_sub_u32_e32 v33, 29, v36
	v_and_b32_e32 v32, 7, v32
	v_cmp_gt_u32_e64 s[2:3], 8, v28
	v_cndmask_b32_e64 v28, v35, v33, s[2:3]
	v_cndmask_b32_e64 v32, v34, v32, s[2:3]
	v_lshlrev_b32_e32 v26, 24, v26
	v_bfrev_b32_e32 v33, 60
	v_lshlrev_b32_e32 v32, 20, v32
	v_and_b32_e32 v26, 0x80000000, v26
	v_lshl_add_u32 v28, v28, 23, v33
	v_or3_b32 v26, v26, v28, v32
	v_lshrrev_b32_e32 v32, 16, v26
.LBB676_326:
	s_or_b64 exec, exec, s[22:23]
.LBB676_327:
	s_or_b64 exec, exec, s[20:21]
.LBB676_328:
	s_or_b64 exec, exec, s[8:9]
	v_mov_b32_e32 v33, 0
	v_mov_b32_e32 v26, v23
	v_cmp_ne_u16_sdwa s[2:3], v23, v33 src0_sel:BYTE_0 src1_sel:DWORD
	v_mov_b32_e32 v34, 0
	s_and_saveexec_b64 s[8:9], s[2:3]
	s_cbranch_execz .LBB676_334
; %bb.329:
	s_movk_i32 s2, 0x80
	v_cmp_ne_u16_sdwa s[2:3], v23, s2 src0_sel:BYTE_0 src1_sel:DWORD
	v_mov_b32_e32 v34, 0xffff8000
	s_and_saveexec_b64 s[20:21], s[2:3]
	s_cbranch_execz .LBB676_333
; %bb.330:
	s_movk_i32 s2, 0x7f
	v_and_b32_e32 v28, 0x7f, v23
	v_cmp_ne_u32_e64 s[2:3], s2, v28
	v_mov_b32_e32 v34, 0x7f80
	s_and_saveexec_b64 s[22:23], s[2:3]
	s_cbranch_execz .LBB676_332
; %bb.331:
	v_and_b32_e32 v34, 7, v23
	v_ffbh_u32_e32 v34, v34
	v_min_u32_e32 v34, 32, v34
	v_lshrrev_b32_e32 v35, 3, v28
	v_subrev_u32_e32 v36, 28, v34
	v_sub_u32_e32 v34, 29, v34
	v_cmp_gt_u32_e64 s[2:3], 8, v28
	v_cndmask_b32_e64 v28, v35, v34, s[2:3]
	v_cndmask_b32_e64 v34, 0, v36, s[2:3]
	v_lshlrev_b64 v[34:35], v34, v[26:27]
	v_lshlrev_b32_e32 v27, 20, v34
	v_lshlrev_b32_e32 v34, 24, v26
	v_bfrev_b32_e32 v35, 60
	v_and_b32_e32 v27, 0x700000, v27
	v_and_b32_e32 v34, 0x80000000, v34
	v_lshl_add_u32 v28, v28, 23, v35
	v_or3_b32 v27, v34, v28, v27
	v_lshrrev_b32_e32 v34, 16, v27
.LBB676_332:
	s_or_b64 exec, exec, s[22:23]
.LBB676_333:
	s_or_b64 exec, exec, s[20:21]
.LBB676_334:
	s_or_b64 exec, exec, s[8:9]
	v_lshrrev_b16_e32 v28, 8, v26
	v_cmp_ne_u16_e64 s[2:3], 0, v28
	s_and_saveexec_b64 s[8:9], s[2:3]
	s_cbranch_execz .LBB676_340
; %bb.335:
	s_movk_i32 s2, 0x80
	v_cmp_ne_u16_e64 s[2:3], s2, v28
	v_mov_b32_e32 v33, 0xffff8000
	s_and_saveexec_b64 s[20:21], s[2:3]
	s_cbranch_execz .LBB676_339
; %bb.336:
	s_movk_i32 s2, 0x7f
	v_and_b32_e32 v27, 0x7f, v28
	v_cmp_ne_u32_e64 s[2:3], s2, v27
	v_mov_b32_e32 v33, 0x7f80
	s_and_saveexec_b64 s[22:23], s[2:3]
	s_cbranch_execz .LBB676_338
; %bb.337:
	v_and_b32_e32 v33, 7, v28
	v_ffbh_u32_e32 v36, v33
	v_min_u32_e32 v38, 32, v36
	v_subrev_u32_e32 v36, 28, v38
	v_lshlrev_b64 v[36:37], v36, v[28:29]
	v_lshrrev_b32_e32 v35, 3, v27
	v_sub_u32_e32 v28, 29, v38
	v_and_b32_e32 v36, 7, v36
	v_cmp_gt_u32_e64 s[2:3], 8, v27
	v_cndmask_b32_e64 v27, v35, v28, s[2:3]
	v_cndmask_b32_e64 v28, v33, v36, s[2:3]
	v_lshlrev_b32_e32 v26, 16, v26
	v_bfrev_b32_e32 v33, 60
	v_lshlrev_b32_e32 v28, 20, v28
	v_and_b32_e32 v26, 0x80000000, v26
	v_lshl_add_u32 v27, v27, 23, v33
	v_or3_b32 v26, v26, v27, v28
	v_lshrrev_b32_e32 v33, 16, v26
.LBB676_338:
	s_or_b64 exec, exec, s[22:23]
.LBB676_339:
	s_or_b64 exec, exec, s[20:21]
.LBB676_340:
	s_or_b64 exec, exec, s[8:9]
	s_movk_i32 s2, 0xff
	v_and_b32_sdwa v35, v23, s2 dst_sel:DWORD dst_unused:UNUSED_PAD src0_sel:WORD_1 src1_sel:DWORD
	v_lshrrev_b32_e32 v26, 16, v23
	v_cmp_ne_u16_e64 s[2:3], 0, v35
	v_mov_b32_e32 v27, 0
	v_mov_b32_e32 v28, 0
	s_and_saveexec_b64 s[8:9], s[2:3]
	s_cbranch_execz .LBB676_346
; %bb.341:
	s_movk_i32 s2, 0x80
	v_cmp_ne_u16_e64 s[2:3], s2, v35
	v_mov_b32_e32 v28, 0xffff8000
	s_and_saveexec_b64 s[20:21], s[2:3]
	s_cbranch_execz .LBB676_345
; %bb.342:
	v_bfe_u32 v35, v23, 16, 7
	s_movk_i32 s2, 0x7f
	v_cmp_ne_u32_e64 s[2:3], s2, v35
	v_mov_b32_e32 v28, 0x7f80
	s_and_saveexec_b64 s[22:23], s[2:3]
	s_cbranch_execz .LBB676_344
; %bb.343:
	v_and_b32_e32 v28, 7, v26
	v_ffbh_u32_e32 v36, v28
	v_min_u32_e32 v39, 32, v36
	v_subrev_u32_e32 v36, 28, v39
	v_lshlrev_b64 v[36:37], v36, v[26:27]
	v_lshrrev_b32_e32 v38, 3, v35
	v_sub_u32_e32 v26, 29, v39
	v_and_b32_e32 v36, 7, v36
	v_cmp_gt_u32_e64 s[2:3], 8, v35
	v_mov_b32_e32 v35, 24
	v_cndmask_b32_e64 v26, v38, v26, s[2:3]
	v_cndmask_b32_e64 v28, v28, v36, s[2:3]
	v_lshlrev_b32_sdwa v35, v35, v23 dst_sel:DWORD dst_unused:UNUSED_PAD src0_sel:DWORD src1_sel:WORD_1
	v_bfrev_b32_e32 v36, 60
	v_lshlrev_b32_e32 v28, 20, v28
	v_and_b32_e32 v35, 0x80000000, v35
	v_lshl_add_u32 v26, v26, 23, v36
	v_or3_b32 v26, v35, v26, v28
	v_lshrrev_b32_e32 v28, 16, v26
.LBB676_344:
	s_or_b64 exec, exec, s[22:23]
.LBB676_345:
	s_or_b64 exec, exec, s[20:21]
.LBB676_346:
	s_or_b64 exec, exec, s[8:9]
	s_mov_b32 s2, -1
	s_mov_b32 s3, 0xffffff
	v_cmp_lt_u64_e64 s[2:3], s[2:3], v[22:23]
	s_and_saveexec_b64 s[8:9], s[2:3]
	s_cbranch_execz .LBB676_352
; %bb.347:
	v_lshrrev_b32_e32 v22, 24, v23
	s_movk_i32 s2, 0x80
	v_cmp_ne_u32_e64 s[2:3], s2, v22
	v_mov_b32_e32 v27, 0xffff8000
	s_and_saveexec_b64 s[20:21], s[2:3]
	s_cbranch_execz .LBB676_351
; %bb.348:
	v_bfe_u32 v23, v23, 24, 7
	s_movk_i32 s2, 0x7f
	v_cmp_ne_u32_e64 s[2:3], s2, v23
	v_mov_b32_e32 v27, 0x7f80
	s_and_saveexec_b64 s[22:23], s[2:3]
	s_cbranch_execz .LBB676_350
; %bb.349:
	v_and_b32_e32 v35, 7, v22
	v_ffbh_u32_e32 v26, v35
	v_min_u32_e32 v37, 32, v26
	v_subrev_u32_e32 v26, 28, v37
	v_lshlrev_b64 v[26:27], v26, v[22:23]
	v_lshrrev_b32_e32 v36, 3, v23
	v_sub_u32_e32 v27, 29, v37
	v_and_b32_e32 v26, 7, v26
	v_cmp_gt_u32_e64 s[2:3], 8, v23
	v_cndmask_b32_e64 v23, v36, v27, s[2:3]
	v_cndmask_b32_e64 v26, v35, v26, s[2:3]
	v_lshlrev_b32_e32 v22, 24, v22
	v_bfrev_b32_e32 v27, 60
	v_lshlrev_b32_e32 v26, 20, v26
	v_and_b32_e32 v22, 0x80000000, v22
	v_lshl_add_u32 v23, v23, 23, v27
	v_or3_b32 v22, v22, v23, v26
	v_lshrrev_b32_e32 v27, 16, v22
.LBB676_350:
	s_or_b64 exec, exec, s[22:23]
.LBB676_351:
	s_or_b64 exec, exec, s[20:21]
.LBB676_352:
	s_or_b64 exec, exec, s[8:9]
	s_mov_b32 s2, 0x5040100
	v_perm_b32 v23, v32, v31, s2
	v_perm_b32 v22, v29, v30, s2
	v_perm_b32 v27, v27, v28, s2
	v_perm_b32 v26, v33, v34, s2
	v_mfma_f32_4x4x4bf16_1k a[0:3], v[18:19], v[22:23], a[0:3] cbsz:4 abid:6
	v_mov_b32_e32 v28, 0
	v_mfma_f32_4x4x4bf16_1k a[0:3], v[20:21], v[26:27], a[0:3] cbsz:4 abid:6
	v_mov_b32_e32 v27, 0
	v_cmp_ne_u16_sdwa s[2:3], v24, v27 src0_sel:BYTE_0 src1_sel:DWORD
	s_and_saveexec_b64 s[8:9], s[2:3]
	s_cbranch_execz .LBB676_358
; %bb.353:
	s_movk_i32 s2, 0x80
	v_cmp_ne_u16_sdwa s[2:3], v24, s2 src0_sel:BYTE_0 src1_sel:DWORD
	v_mov_b32_e32 v28, 0xffff8000
	s_and_saveexec_b64 s[20:21], s[2:3]
	s_cbranch_execz .LBB676_357
; %bb.354:
	s_movk_i32 s2, 0x7f
	v_and_b32_e32 v22, 0x7f, v24
	v_cmp_ne_u32_e64 s[2:3], s2, v22
	v_mov_b32_e32 v28, 0x7f80
	s_and_saveexec_b64 s[22:23], s[2:3]
	s_cbranch_execz .LBB676_356
; %bb.355:
	v_and_b32_e32 v23, 7, v24
	v_ffbh_u32_e32 v23, v23
	v_min_u32_e32 v23, 32, v23
	v_subrev_u32_e32 v28, 28, v23
	v_cmp_gt_u32_e64 s[2:3], 8, v22
	v_lshrrev_b32_e32 v26, 3, v22
	v_sub_u32_e32 v23, 29, v23
	v_cndmask_b32_e64 v22, 0, v28, s[2:3]
	v_cndmask_b32_e64 v26, v26, v23, s[2:3]
	v_lshlrev_b64 v[22:23], v22, v[24:25]
	v_lshlrev_b32_e32 v22, 20, v22
	v_lshlrev_b32_e32 v23, 24, v24
	v_bfrev_b32_e32 v28, 60
	v_and_b32_e32 v22, 0x700000, v22
	v_and_b32_e32 v23, 0x80000000, v23
	v_lshl_add_u32 v26, v26, 23, v28
	v_or3_b32 v22, v23, v26, v22
	v_lshrrev_b32_e32 v28, 16, v22
.LBB676_356:
	s_or_b64 exec, exec, s[22:23]
.LBB676_357:
	s_or_b64 exec, exec, s[20:21]
.LBB676_358:
	s_or_b64 exec, exec, s[8:9]
	v_lshrrev_b16_e32 v22, 8, v24
	v_cmp_ne_u16_e64 s[2:3], 0, v22
	s_and_saveexec_b64 s[8:9], s[2:3]
	s_cbranch_execz .LBB676_364
; %bb.359:
	s_movk_i32 s2, 0x80
	v_cmp_ne_u16_e64 s[2:3], s2, v22
	v_mov_b32_e32 v27, 0xffff8000
	s_and_saveexec_b64 s[20:21], s[2:3]
	s_cbranch_execz .LBB676_363
; %bb.360:
	s_movk_i32 s2, 0x7f
	v_and_b32_e32 v23, 0x7f, v22
	v_cmp_ne_u32_e64 s[2:3], s2, v23
	v_mov_b32_e32 v27, 0x7f80
	s_and_saveexec_b64 s[22:23], s[2:3]
	s_cbranch_execz .LBB676_362
; %bb.361:
	v_and_b32_e32 v29, 7, v22
	v_ffbh_u32_e32 v26, v29
	v_min_u32_e32 v31, 32, v26
	v_subrev_u32_e32 v26, 28, v31
	v_lshlrev_b64 v[26:27], v26, v[22:23]
	v_lshrrev_b32_e32 v30, 3, v23
	v_sub_u32_e32 v22, 29, v31
	v_and_b32_e32 v26, 7, v26
	v_cmp_gt_u32_e64 s[2:3], 8, v23
	v_cndmask_b32_e64 v22, v30, v22, s[2:3]
	v_cndmask_b32_e64 v23, v29, v26, s[2:3]
	v_lshlrev_b32_e32 v26, 16, v24
	v_bfrev_b32_e32 v27, 60
	v_lshlrev_b32_e32 v23, 20, v23
	v_and_b32_e32 v26, 0x80000000, v26
	v_lshl_add_u32 v22, v22, 23, v27
	v_or3_b32 v22, v26, v22, v23
	v_lshrrev_b32_e32 v27, 16, v22
.LBB676_362:
	s_or_b64 exec, exec, s[22:23]
.LBB676_363:
	s_or_b64 exec, exec, s[20:21]
.LBB676_364:
	s_or_b64 exec, exec, s[8:9]
	s_movk_i32 s2, 0xff
	v_and_b32_sdwa v26, v24, s2 dst_sel:DWORD dst_unused:UNUSED_PAD src0_sel:WORD_1 src1_sel:DWORD
	v_lshrrev_b32_e32 v22, 16, v24
	v_cmp_ne_u16_e64 s[2:3], 0, v26
	v_mov_b32_e32 v23, 0
	v_mov_b32_e32 v29, 0
	s_and_saveexec_b64 s[8:9], s[2:3]
	s_cbranch_execz .LBB676_370
; %bb.365:
	s_movk_i32 s2, 0x80
	v_cmp_ne_u16_e64 s[2:3], s2, v26
	v_mov_b32_e32 v29, 0xffff8000
	s_and_saveexec_b64 s[20:21], s[2:3]
	s_cbranch_execz .LBB676_369
; %bb.366:
	v_bfe_u32 v26, v24, 16, 7
	s_movk_i32 s2, 0x7f
	v_cmp_ne_u32_e64 s[2:3], s2, v26
	v_mov_b32_e32 v29, 0x7f80
	s_and_saveexec_b64 s[22:23], s[2:3]
	s_cbranch_execz .LBB676_368
; %bb.367:
	v_and_b32_e32 v29, 7, v22
	v_ffbh_u32_e32 v30, v29
	v_min_u32_e32 v33, 32, v30
	v_subrev_u32_e32 v30, 28, v33
	v_lshlrev_b64 v[30:31], v30, v[22:23]
	v_and_b32_e32 v30, 7, v30
	v_cmp_gt_u32_e64 s[2:3], 8, v26
	v_lshrrev_b32_e32 v32, 3, v26
	v_sub_u32_e32 v22, 29, v33
	v_cndmask_b32_e64 v26, v29, v30, s[2:3]
	v_mov_b32_e32 v29, 24
	v_cndmask_b32_e64 v22, v32, v22, s[2:3]
	v_lshlrev_b32_sdwa v29, v29, v24 dst_sel:DWORD dst_unused:UNUSED_PAD src0_sel:DWORD src1_sel:WORD_1
	v_bfrev_b32_e32 v30, 60
	v_lshlrev_b32_e32 v26, 20, v26
	v_and_b32_e32 v29, 0x80000000, v29
	v_lshl_add_u32 v22, v22, 23, v30
	v_or3_b32 v22, v29, v22, v26
	v_lshrrev_b32_e32 v29, 16, v22
.LBB676_368:
	s_or_b64 exec, exec, s[22:23]
.LBB676_369:
	s_or_b64 exec, exec, s[20:21]
.LBB676_370:
	s_or_b64 exec, exec, s[8:9]
	s_mov_b32 s2, 0xffffff
	v_cmp_lt_u32_e64 s[2:3], s2, v24
	v_mov_b32_e32 v30, 0
	s_and_saveexec_b64 s[8:9], s[2:3]
	s_cbranch_execz .LBB676_376
; %bb.371:
	v_lshrrev_b32_e32 v22, 24, v24
	s_movk_i32 s2, 0x80
	v_cmp_ne_u32_e64 s[2:3], s2, v22
	v_mov_b32_e32 v30, 0xffff8000
	s_and_saveexec_b64 s[20:21], s[2:3]
	s_cbranch_execz .LBB676_375
; %bb.372:
	v_bfe_u32 v26, v24, 24, 7
	s_movk_i32 s2, 0x7f
	v_cmp_ne_u32_e64 s[2:3], s2, v26
	v_mov_b32_e32 v30, 0x7f80
	s_and_saveexec_b64 s[22:23], s[2:3]
	s_cbranch_execz .LBB676_374
; %bb.373:
	v_and_b32_e32 v32, 7, v22
	v_ffbh_u32_e32 v30, v32
	v_min_u32_e32 v34, 32, v30
	v_subrev_u32_e32 v30, 28, v34
	v_lshlrev_b64 v[30:31], v30, v[22:23]
	v_lshrrev_b32_e32 v33, 3, v26
	v_sub_u32_e32 v31, 29, v34
	v_and_b32_e32 v30, 7, v30
	v_cmp_gt_u32_e64 s[2:3], 8, v26
	v_cndmask_b32_e64 v26, v33, v31, s[2:3]
	v_cndmask_b32_e64 v30, v32, v30, s[2:3]
	v_lshlrev_b32_e32 v22, 24, v22
	v_bfrev_b32_e32 v31, 60
	v_lshlrev_b32_e32 v30, 20, v30
	v_and_b32_e32 v22, 0x80000000, v22
	v_lshl_add_u32 v26, v26, 23, v31
	v_or3_b32 v22, v22, v26, v30
	v_lshrrev_b32_e32 v30, 16, v22
.LBB676_374:
	s_or_b64 exec, exec, s[22:23]
.LBB676_375:
	s_or_b64 exec, exec, s[20:21]
.LBB676_376:
	s_or_b64 exec, exec, s[8:9]
	v_mov_b32_e32 v31, 0
	v_mov_b32_e32 v22, v25
	v_cmp_ne_u16_sdwa s[2:3], v25, v31 src0_sel:BYTE_0 src1_sel:DWORD
	v_mov_b32_e32 v32, 0
	s_and_saveexec_b64 s[8:9], s[2:3]
	s_cbranch_execz .LBB676_382
; %bb.377:
	s_movk_i32 s2, 0x80
	v_cmp_ne_u16_sdwa s[2:3], v25, s2 src0_sel:BYTE_0 src1_sel:DWORD
	v_mov_b32_e32 v32, 0xffff8000
	s_and_saveexec_b64 s[20:21], s[2:3]
	s_cbranch_execz .LBB676_381
; %bb.378:
	s_movk_i32 s2, 0x7f
	v_and_b32_e32 v26, 0x7f, v25
	v_cmp_ne_u32_e64 s[2:3], s2, v26
	v_mov_b32_e32 v32, 0x7f80
	s_and_saveexec_b64 s[22:23], s[2:3]
	s_cbranch_execz .LBB676_380
; %bb.379:
	v_and_b32_e32 v32, 7, v25
	v_ffbh_u32_e32 v32, v32
	v_min_u32_e32 v32, 32, v32
	v_lshrrev_b32_e32 v33, 3, v26
	v_subrev_u32_e32 v34, 28, v32
	v_sub_u32_e32 v32, 29, v32
	v_cmp_gt_u32_e64 s[2:3], 8, v26
	v_cndmask_b32_e64 v26, v33, v32, s[2:3]
	v_cndmask_b32_e64 v32, 0, v34, s[2:3]
	v_lshlrev_b64 v[32:33], v32, v[22:23]
	v_lshlrev_b32_e32 v23, 20, v32
	v_lshlrev_b32_e32 v32, 24, v22
	v_bfrev_b32_e32 v33, 60
	v_and_b32_e32 v23, 0x700000, v23
	v_and_b32_e32 v32, 0x80000000, v32
	v_lshl_add_u32 v26, v26, 23, v33
	v_or3_b32 v23, v32, v26, v23
	v_lshrrev_b32_e32 v32, 16, v23
.LBB676_380:
	s_or_b64 exec, exec, s[22:23]
.LBB676_381:
	s_or_b64 exec, exec, s[20:21]
.LBB676_382:
	s_or_b64 exec, exec, s[8:9]
	v_lshrrev_b16_e32 v26, 8, v22
	v_cmp_ne_u16_e64 s[2:3], 0, v26
	s_and_saveexec_b64 s[8:9], s[2:3]
	s_cbranch_execz .LBB676_388
; %bb.383:
	s_movk_i32 s2, 0x80
	v_cmp_ne_u16_e64 s[2:3], s2, v26
	v_mov_b32_e32 v31, 0xffff8000
	s_and_saveexec_b64 s[20:21], s[2:3]
	s_cbranch_execz .LBB676_387
; %bb.384:
	s_movk_i32 s2, 0x7f
	v_and_b32_e32 v23, 0x7f, v26
	v_cmp_ne_u32_e64 s[2:3], s2, v23
	v_mov_b32_e32 v31, 0x7f80
	s_and_saveexec_b64 s[22:23], s[2:3]
	s_cbranch_execz .LBB676_386
; %bb.385:
	v_and_b32_e32 v31, 7, v26
	v_ffbh_u32_e32 v34, v31
	v_min_u32_e32 v36, 32, v34
	v_subrev_u32_e32 v34, 28, v36
	v_lshlrev_b64 v[34:35], v34, v[26:27]
	v_lshrrev_b32_e32 v33, 3, v23
	v_sub_u32_e32 v26, 29, v36
	v_and_b32_e32 v34, 7, v34
	v_cmp_gt_u32_e64 s[2:3], 8, v23
	v_cndmask_b32_e64 v23, v33, v26, s[2:3]
	v_cndmask_b32_e64 v26, v31, v34, s[2:3]
	v_lshlrev_b32_e32 v22, 16, v22
	v_bfrev_b32_e32 v31, 60
	v_lshlrev_b32_e32 v26, 20, v26
	v_and_b32_e32 v22, 0x80000000, v22
	v_lshl_add_u32 v23, v23, 23, v31
	v_or3_b32 v22, v22, v23, v26
	v_lshrrev_b32_e32 v31, 16, v22
.LBB676_386:
	s_or_b64 exec, exec, s[22:23]
.LBB676_387:
	s_or_b64 exec, exec, s[20:21]
.LBB676_388:
	s_or_b64 exec, exec, s[8:9]
	s_movk_i32 s2, 0xff
	v_and_b32_sdwa v33, v25, s2 dst_sel:DWORD dst_unused:UNUSED_PAD src0_sel:WORD_1 src1_sel:DWORD
	v_lshrrev_b32_e32 v22, 16, v25
	v_cmp_ne_u16_e64 s[2:3], 0, v33
	v_mov_b32_e32 v23, 0
	v_mov_b32_e32 v26, 0
	s_and_saveexec_b64 s[8:9], s[2:3]
	s_cbranch_execz .LBB676_394
; %bb.389:
	s_movk_i32 s2, 0x80
	v_cmp_ne_u16_e64 s[2:3], s2, v33
	v_mov_b32_e32 v26, 0xffff8000
	s_and_saveexec_b64 s[20:21], s[2:3]
	s_cbranch_execz .LBB676_393
; %bb.390:
	v_bfe_u32 v33, v25, 16, 7
	s_movk_i32 s2, 0x7f
	v_cmp_ne_u32_e64 s[2:3], s2, v33
	v_mov_b32_e32 v26, 0x7f80
	s_and_saveexec_b64 s[22:23], s[2:3]
	s_cbranch_execz .LBB676_392
; %bb.391:
	v_and_b32_e32 v26, 7, v22
	v_ffbh_u32_e32 v34, v26
	v_min_u32_e32 v37, 32, v34
	v_subrev_u32_e32 v34, 28, v37
	v_lshlrev_b64 v[34:35], v34, v[22:23]
	v_lshrrev_b32_e32 v36, 3, v33
	v_sub_u32_e32 v22, 29, v37
	v_and_b32_e32 v34, 7, v34
	v_cmp_gt_u32_e64 s[2:3], 8, v33
	v_mov_b32_e32 v33, 24
	v_cndmask_b32_e64 v22, v36, v22, s[2:3]
	v_cndmask_b32_e64 v26, v26, v34, s[2:3]
	v_lshlrev_b32_sdwa v33, v33, v25 dst_sel:DWORD dst_unused:UNUSED_PAD src0_sel:DWORD src1_sel:WORD_1
	v_bfrev_b32_e32 v34, 60
	v_lshlrev_b32_e32 v26, 20, v26
	v_and_b32_e32 v33, 0x80000000, v33
	v_lshl_add_u32 v22, v22, 23, v34
	v_or3_b32 v22, v33, v22, v26
	v_lshrrev_b32_e32 v26, 16, v22
.LBB676_392:
	s_or_b64 exec, exec, s[22:23]
.LBB676_393:
	s_or_b64 exec, exec, s[20:21]
.LBB676_394:
	s_or_b64 exec, exec, s[8:9]
	s_mov_b32 s2, -1
	s_mov_b32 s3, 0xffffff
	v_cmp_lt_u64_e64 s[2:3], s[2:3], v[24:25]
	s_and_saveexec_b64 s[8:9], s[2:3]
	s_cbranch_execz .LBB676_400
; %bb.395:
	v_lshrrev_b32_e32 v22, 24, v25
	s_movk_i32 s2, 0x80
	v_cmp_ne_u32_e64 s[2:3], s2, v22
	v_mov_b32_e32 v23, 0xffff8000
	s_and_saveexec_b64 s[20:21], s[2:3]
	s_cbranch_execz .LBB676_399
; %bb.396:
	v_bfe_u32 v24, v25, 24, 7
	s_movk_i32 s2, 0x7f
	v_cmp_ne_u32_e64 s[2:3], s2, v24
	v_mov_b32_e32 v23, 0x7f80
	s_and_saveexec_b64 s[22:23], s[2:3]
	s_cbranch_execz .LBB676_398
; %bb.397:
	v_and_b32_e32 v23, 7, v22
	v_ffbh_u32_e32 v33, v23
	v_min_u32_e32 v33, 32, v33
	v_subrev_u32_e32 v34, 28, v33
	v_lshlrev_b64 v[34:35], v34, v[22:23]
	v_lshrrev_b32_e32 v25, 3, v24
	v_sub_u32_e32 v33, 29, v33
	v_and_b32_e32 v34, 7, v34
	v_cmp_gt_u32_e64 s[2:3], 8, v24
	v_cndmask_b32_e64 v24, v25, v33, s[2:3]
	v_cndmask_b32_e64 v23, v23, v34, s[2:3]
	v_lshlrev_b32_e32 v22, 24, v22
	v_bfrev_b32_e32 v25, 60
	v_lshlrev_b32_e32 v23, 20, v23
	v_and_b32_e32 v22, 0x80000000, v22
	v_lshl_add_u32 v24, v24, 23, v25
	v_or3_b32 v22, v22, v24, v23
	v_lshrrev_b32_e32 v23, 16, v22
.LBB676_398:
	s_or_b64 exec, exec, s[22:23]
.LBB676_399:
	s_or_b64 exec, exec, s[20:21]
.LBB676_400:
	s_or_b64 exec, exec, s[8:9]
	s_mov_b32 s3, 0x5040100
	s_load_dword s2, s[4:5], 0x1c
	v_perm_b32 v25, v30, v29, s3
	v_perm_b32 v24, v27, v28, s3
	;; [unrolled: 1-line block ×4, first 2 shown]
	v_mfma_f32_4x4x4bf16_1k a[0:3], v[18:19], v[24:25], a[0:3] cbsz:4 abid:7
	s_load_dword s3, s[12:13], 0x0
	v_mfma_f32_4x4x4bf16_1k a[0:3], v[20:21], v[22:23], a[0:3] cbsz:4 abid:7
	s_waitcnt lgkmcnt(0)
	v_mov_b32_e32 v18, s2
	v_mov_b32_e32 v25, 0xff7fffff
	v_mul_f32_e32 v20, s3, v18
	v_cmp_eq_u32_e64 s[2:3], 0, v43
	v_accvgpr_read_b32 v23, a1
	v_accvgpr_read_b32 v22, a0
	v_pk_mul_f32 v[22:23], v[22:23], v[20:21] op_sel_hi:[1,0]
	v_accvgpr_read_b32 v19, a3
	v_accvgpr_read_b32 v18, a2
	v_pk_mul_f32 v[18:19], v[18:19], v[20:21] op_sel_hi:[1,0]
	v_cndmask_b32_e64 v20, 0, 1.0, s[2:3]
	v_cmp_eq_u32_e64 s[2:3], 1, v43
	s_nop 0
	v_mfma_f32_4x4x1f32 a[0:3], v22, v20, 0
	v_cndmask_b32_e64 v20, 0, 1.0, s[2:3]
	v_cmp_eq_u32_e64 s[2:3], 2, v43
	s_nop 0
	v_mfma_f32_4x4x1f32 a[0:3], v23, v20, a[0:3]
	v_cndmask_b32_e64 v20, 0, 1.0, s[2:3]
	s_nop 1
	v_mfma_f32_4x4x1f32 a[0:3], v18, v20, a[0:3]
	v_cndmask_b32_e64 v18, 0, 1.0, vcc
	s_nop 1
	v_mfma_f32_4x4x1f32 a[0:3], v19, v18, a[0:3]
	v_and_b32_e32 v18, -4, v44
	v_subrev_u32_e32 v19, s7, v18
	v_add_u32_e32 v20, 1, v19
	v_cvt_f32_i32_e32 v20, v20
	v_add_u32_e32 v21, 2, v19
	v_cvt_f32_i32_e32 v21, v21
	v_accvgpr_read_b32 v22, a0
	v_fma_f32 v20, v45, v20, v22
	v_accvgpr_read_b32 v22, a1
	v_fma_f32 v21, v45, v21, v22
	v_add_u32_e32 v22, 3, v19
	v_cvt_f32_i32_e32 v22, v22
	v_add_u32_e32 v19, 4, v19
	v_max_f32_e32 v24, 0xff7fffff, v20
	v_cmp_gt_i32_e32 vcc, s7, v18
	v_cvt_f32_i32_e32 v19, v19
	v_cndmask_b32_e32 v24, v25, v24, vcc
	v_or_b32_e32 v25, 1, v18
	v_accvgpr_read_b32 v23, a2
	v_max_f32_e32 v26, v24, v21
	v_cmp_gt_i32_e64 s[2:3], s7, v25
	v_fma_f32 v22, v45, v22, v23
	v_cndmask_b32_e64 v24, v24, v26, s[2:3]
	v_or_b32_e32 v18, 2, v18
	v_accvgpr_read_b32 v23, a3
	v_max_f32_e32 v25, v24, v22
	v_cmp_gt_i32_e64 s[4:5], s7, v18
	v_fmac_f32_e32 v23, v45, v19
	v_cndmask_b32_e64 v18, v24, v25, s[4:5]
	v_or_b32_e32 v24, 3, v44
	v_max_f32_e32 v25, v18, v23
	v_cmp_gt_i32_e64 s[8:9], s7, v24
	v_lshlrev_b32_e32 v19, 2, v0
	v_cndmask_b32_e64 v18, v18, v25, s[8:9]
	v_and_or_b32 v19, v19, 48, v43
	;;#ASMSTART
	v_nop
 v_nop
 v_max_f32_dpp v18, v18, v18 row_ror:4
	;;#ASMEND
	v_lshlrev_b32_e32 v24, 2, v19
	;;#ASMSTART
	v_nop
 v_nop
 v_max_f32_dpp v18, v18, v18 row_ror:8
	;;#ASMEND
	ds_bpermute_b32 v18, v24, v18
	s_waitcnt lgkmcnt(0)
	;;#ASMSTART
	v_nop
 v_nop
 v_max_f32_dpp v18, v18, v18 row_ror:4
	;;#ASMEND
	;;#ASMSTART
	v_nop
 v_nop
 v_max_f32_dpp v25, v18, v18 row_ror:8
	;;#ASMEND
	v_sub_f32_e32 v18, v20, v25
	v_mul_f32_e32 v18, 0x3fb8aa3b, v18
	v_sub_f32_e32 v19, v21, v25
	v_exp_f32_e32 v18, v18
	v_mul_f32_e32 v19, 0x3fb8aa3b, v19
	v_sub_f32_e32 v21, v22, v25
	v_exp_f32_e32 v19, v19
	v_mul_f32_e32 v21, 0x3fb8aa3b, v21
	v_sub_f32_e32 v22, v23, v25
	v_exp_f32_e32 v21, v21
	v_mul_f32_e32 v22, 0x3fb8aa3b, v22
	v_exp_f32_e32 v22, v22
	v_cndmask_b32_e32 v18, 0, v18, vcc
	v_add_f32_e32 v20, 0, v18
	v_cndmask_b32_e64 v19, 0, v19, s[2:3]
	v_add_f32_e32 v23, v20, v19
	v_cndmask_b32_e64 v20, 0, v21, s[4:5]
	;; [unrolled: 2-line block ×3, first 2 shown]
	v_add_f32_e32 v22, v23, v21
	;;#ASMSTART
	v_nop
 v_nop
 v_add_f32_dpp v22, v22, v22 row_ror:4
	;;#ASMEND
	;;#ASMSTART
	v_nop
 v_nop
 v_add_f32_dpp v22, v22, v22 row_ror:8
	;;#ASMEND
	ds_bpermute_b32 v22, v24, v22
	s_waitcnt lgkmcnt(0)
	;;#ASMSTART
	v_nop
 v_nop
 v_add_f32_dpp v22, v22, v22 row_ror:4
	;;#ASMEND
	v_cmp_gt_u32_e32 vcc, 4, v42
	;;#ASMSTART
	v_nop
 v_nop
 v_add_f32_dpp v22, v22, v22 row_ror:8
	;;#ASMEND
	s_and_saveexec_b64 s[2:3], vcc
	s_cbranch_execz .LBB676_402
; %bb.401:
	v_mul_u32_u24_e32 v23, 20, v1
	v_lshl_add_u32 v23, v43, 2, v23
	v_add_u32_e32 v23, 0x800, v23
	ds_write2_b32 v23, v25, v22 offset0:128 offset1:148
.LBB676_402:
	s_or_b64 exec, exec, s[2:3]
.LBB676_403:
	s_or_b64 exec, exec, s[28:29]
	s_waitcnt lgkmcnt(0)
	s_barrier
	s_load_dword s2, s[26:27], 0x8
	v_lshlrev_b32_e32 v22, 2, v43
	v_add_u32_e32 v24, 0x800, v22
	ds_read2_b32 v[22:23], v24 offset0:128 offset1:133
	ds_read2_b32 v[28:29], v24 offset0:138 offset1:143
	s_mul_i32 s3, s6, s40
	s_waitcnt lgkmcnt(0)
	s_mul_i32 s2, s3, s2
	s_mov_b32 s3, 0xff7fffff
	v_max3_f32 v26, v22, s3, v23
	v_max3_f32 v26, v26, v28, v29
	v_sub_f32_e32 v22, v22, v26
	v_mul_f32_e32 v22, 0x3fb8aa3b, v22
	v_exp_f32_e32 v27, v22
	v_sub_f32_e32 v22, v23, v26
	ds_read2_b32 v[30:31], v24 offset0:148 offset1:153
	v_mul_f32_e32 v22, 0x3fb8aa3b, v22
	v_exp_f32_e32 v32, v22
	ds_read2_b32 v[22:23], v24 offset0:158 offset1:163
	v_sub_f32_e32 v24, v28, v26
	v_mul_f32_e32 v24, 0x3fb8aa3b, v24
	v_sub_f32_e32 v28, v29, v26
	v_exp_f32_e32 v24, v24
	v_mul_f32_e32 v28, 0x3fb8aa3b, v28
	v_exp_f32_e32 v28, v28
	s_waitcnt lgkmcnt(1)
	v_fma_f32 v27, v27, v30, 0
	v_fmac_f32_e32 v27, v32, v31
	s_waitcnt lgkmcnt(0)
	v_fmac_f32_e32 v27, v24, v22
	s_mul_i32 s2, s2, 3
	v_fmac_f32_e32 v27, v28, v23
	v_cmp_ne_u32_e32 vcc, 3, v43
	s_and_saveexec_b64 s[4:5], vcc
	s_cbranch_execz .LBB676_405
; %bb.404:
	s_mov_b32 s3, 0
	s_lshl_b64 s[6:7], s[2:3], 2
	s_add_u32 s12, s16, s6
	s_mov_b32 s11, s3
	s_addc_u32 s13, s17, s7
	s_lshl_b64 s[8:9], s[10:11], 2
	s_add_u32 s3, s12, s8
	s_addc_u32 s11, s13, s9
	v_add_u32_e32 v22, s33, v43
	s_add_u32 s6, s18, s6
	v_mul_lo_u32 v22, s40, v22
	v_mov_b32_e32 v23, 0
	s_addc_u32 s7, s19, s7
	v_lshlrev_b64 v[22:23], 2, v[22:23]
	s_add_u32 s6, s6, s8
	v_mov_b32_e32 v24, s11
	v_add_co_u32_e32 v28, vcc, s3, v22
	s_addc_u32 s7, s7, s9
	v_addc_co_u32_e32 v29, vcc, v24, v23, vcc
	v_mov_b32_e32 v24, s7
	v_add_co_u32_e32 v22, vcc, s6, v22
	v_addc_co_u32_e32 v23, vcc, v24, v23, vcc
	global_store_dword v[22:23], v26, off
	global_store_dword v[28:29], v27, off
.LBB676_405:
	s_or_b64 exec, exec, s[4:5]
	v_mov_b32_e32 v23, 0
	v_mov_b32_e32 v22, 0
	s_and_saveexec_b64 s[4:5], s[0:1]
	s_cbranch_execz .LBB676_791
; %bb.406:
	v_mov_b32_e32 v28, 0
	s_waitcnt vmcnt(3)
	v_cmp_ne_u16_sdwa s[6:7], v14, v28 src0_sel:BYTE_0 src1_sel:DWORD
	v_mov_b32_e32 v29, 0
	s_and_saveexec_b64 s[0:1], s[6:7]
	s_cbranch_execz .LBB676_412
; %bb.407:
	s_movk_i32 s3, 0x80
	v_cmp_ne_u16_sdwa s[8:9], v14, s3 src0_sel:BYTE_0 src1_sel:DWORD
	v_mov_b32_e32 v29, 0xffff8000
	s_and_saveexec_b64 s[6:7], s[8:9]
	s_cbranch_execz .LBB676_411
; %bb.408:
	s_movk_i32 s3, 0x7f
	v_and_b32_e32 v22, 0x7f, v14
	v_cmp_ne_u32_e32 vcc, s3, v22
	v_mov_b32_e32 v29, 0x7f80
	s_and_saveexec_b64 s[8:9], vcc
	s_cbranch_execz .LBB676_410
; %bb.409:
	v_and_b32_e32 v23, 7, v14
	v_ffbh_u32_e32 v23, v23
	v_min_u32_e32 v23, 32, v23
	v_subrev_u32_e32 v29, 28, v23
	v_cmp_gt_u32_e32 vcc, 8, v22
	v_lshrrev_b32_e32 v24, 3, v22
	v_sub_u32_e32 v23, 29, v23
	v_cndmask_b32_e32 v22, 0, v29, vcc
	v_cndmask_b32_e32 v24, v24, v23, vcc
	v_lshlrev_b64 v[22:23], v22, v[14:15]
	v_lshlrev_b32_e32 v22, 20, v22
	v_lshlrev_b32_e32 v23, 24, v14
	v_bfrev_b32_e32 v29, 60
	v_and_b32_e32 v22, 0x700000, v22
	v_and_b32_e32 v23, 0x80000000, v23
	v_lshl_add_u32 v24, v24, 23, v29
	v_or3_b32 v22, v23, v24, v22
	v_lshrrev_b32_e32 v29, 16, v22
.LBB676_410:
	s_or_b64 exec, exec, s[8:9]
.LBB676_411:
	s_or_b64 exec, exec, s[6:7]
.LBB676_412:
	s_or_b64 exec, exec, s[0:1]
	v_lshrrev_b16_e32 v22, 8, v14
	v_cmp_ne_u16_e32 vcc, 0, v22
	s_and_saveexec_b64 s[0:1], vcc
	s_cbranch_execz .LBB676_418
; %bb.413:
	s_movk_i32 s3, 0x80
	v_cmp_ne_u16_e32 vcc, s3, v22
	v_mov_b32_e32 v28, 0xffff8000
	s_and_saveexec_b64 s[6:7], vcc
	s_cbranch_execz .LBB676_417
; %bb.414:
	s_movk_i32 s3, 0x7f
	v_and_b32_e32 v23, 0x7f, v22
	v_cmp_ne_u32_e32 vcc, s3, v23
	v_mov_b32_e32 v28, 0x7f80
	s_and_saveexec_b64 s[8:9], vcc
	s_cbranch_execz .LBB676_416
; %bb.415:
	v_and_b32_e32 v24, 7, v22
	v_ffbh_u32_e32 v30, v24
	v_min_u32_e32 v32, 32, v30
	v_subrev_u32_e32 v30, 28, v32
	v_lshlrev_b64 v[30:31], v30, v[22:23]
	v_lshrrev_b32_e32 v28, 3, v23
	v_sub_u32_e32 v22, 29, v32
	v_and_b32_e32 v30, 7, v30
	v_cmp_gt_u32_e32 vcc, 8, v23
	v_cndmask_b32_e32 v22, v28, v22, vcc
	v_cndmask_b32_e32 v23, v24, v30, vcc
	v_lshlrev_b32_e32 v24, 16, v14
	v_bfrev_b32_e32 v28, 60
	v_lshlrev_b32_e32 v23, 20, v23
	v_and_b32_e32 v24, 0x80000000, v24
	v_lshl_add_u32 v22, v22, 23, v28
	v_or3_b32 v22, v24, v22, v23
	v_lshrrev_b32_e32 v28, 16, v22
.LBB676_416:
	s_or_b64 exec, exec, s[8:9]
.LBB676_417:
	s_or_b64 exec, exec, s[6:7]
.LBB676_418:
	s_or_b64 exec, exec, s[0:1]
	s_movk_i32 s0, 0xff
	v_and_b32_sdwa v24, v14, s0 dst_sel:DWORD dst_unused:UNUSED_PAD src0_sel:WORD_1 src1_sel:DWORD
	v_lshrrev_b32_e32 v22, 16, v14
	v_cmp_ne_u16_e32 vcc, 0, v24
	v_mov_b32_e32 v23, 0
	v_mov_b32_e32 v30, 0
	s_and_saveexec_b64 s[0:1], vcc
	s_cbranch_execz .LBB676_424
; %bb.419:
	s_movk_i32 s3, 0x80
	v_cmp_ne_u16_e32 vcc, s3, v24
	v_mov_b32_e32 v30, 0xffff8000
	s_and_saveexec_b64 s[6:7], vcc
	s_cbranch_execz .LBB676_423
; %bb.420:
	v_bfe_u32 v24, v14, 16, 7
	s_movk_i32 s3, 0x7f
	v_cmp_ne_u32_e32 vcc, s3, v24
	v_mov_b32_e32 v30, 0x7f80
	s_and_saveexec_b64 s[8:9], vcc
	s_cbranch_execz .LBB676_422
; %bb.421:
	v_and_b32_e32 v32, 7, v22
	v_ffbh_u32_e32 v30, v32
	v_min_u32_e32 v34, 32, v30
	v_subrev_u32_e32 v30, 28, v34
	v_lshlrev_b64 v[30:31], v30, v[22:23]
	v_and_b32_e32 v30, 7, v30
	v_cmp_gt_u32_e32 vcc, 8, v24
	v_lshrrev_b32_e32 v33, 3, v24
	v_sub_u32_e32 v22, 29, v34
	v_cndmask_b32_e32 v24, v32, v30, vcc
	v_mov_b32_e32 v30, 24
	v_cndmask_b32_e32 v22, v33, v22, vcc
	v_lshlrev_b32_sdwa v30, v30, v14 dst_sel:DWORD dst_unused:UNUSED_PAD src0_sel:DWORD src1_sel:WORD_1
	v_bfrev_b32_e32 v31, 60
	v_lshlrev_b32_e32 v24, 20, v24
	v_and_b32_e32 v30, 0x80000000, v30
	v_lshl_add_u32 v22, v22, 23, v31
	v_or3_b32 v22, v30, v22, v24
	v_lshrrev_b32_e32 v30, 16, v22
.LBB676_422:
	s_or_b64 exec, exec, s[8:9]
.LBB676_423:
	s_or_b64 exec, exec, s[6:7]
.LBB676_424:
	s_or_b64 exec, exec, s[0:1]
	s_mov_b32 s0, 0xffffff
	v_cmp_lt_u32_e32 vcc, s0, v14
	v_mov_b32_e32 v31, 0
	s_and_saveexec_b64 s[0:1], vcc
	s_cbranch_execz .LBB676_430
; %bb.425:
	v_lshrrev_b32_e32 v22, 24, v14
	s_movk_i32 s3, 0x80
	v_cmp_ne_u32_e32 vcc, s3, v22
	v_mov_b32_e32 v31, 0xffff8000
	s_and_saveexec_b64 s[6:7], vcc
	s_cbranch_execz .LBB676_429
; %bb.426:
	v_bfe_u32 v24, v14, 24, 7
	s_movk_i32 s3, 0x7f
	v_cmp_ne_u32_e32 vcc, s3, v24
	v_mov_b32_e32 v31, 0x7f80
	s_and_saveexec_b64 s[8:9], vcc
	s_cbranch_execz .LBB676_428
; %bb.427:
	v_and_b32_e32 v31, 7, v22
	v_ffbh_u32_e32 v32, v31
	v_min_u32_e32 v35, 32, v32
	v_subrev_u32_e32 v32, 28, v35
	v_lshlrev_b64 v[32:33], v32, v[22:23]
	v_lshrrev_b32_e32 v34, 3, v24
	v_sub_u32_e32 v33, 29, v35
	v_and_b32_e32 v32, 7, v32
	v_cmp_gt_u32_e32 vcc, 8, v24
	v_cndmask_b32_e32 v24, v34, v33, vcc
	v_cndmask_b32_e32 v31, v31, v32, vcc
	v_lshlrev_b32_e32 v22, 24, v22
	v_bfrev_b32_e32 v32, 60
	v_lshlrev_b32_e32 v31, 20, v31
	v_and_b32_e32 v22, 0x80000000, v22
	v_lshl_add_u32 v24, v24, 23, v32
	v_or3_b32 v22, v22, v24, v31
	v_lshrrev_b32_e32 v31, 16, v22
.LBB676_428:
	s_or_b64 exec, exec, s[8:9]
.LBB676_429:
	s_or_b64 exec, exec, s[6:7]
.LBB676_430:
	s_or_b64 exec, exec, s[0:1]
	v_mov_b32_e32 v32, 0
	v_mov_b32_e32 v22, v15
	v_cmp_ne_u16_sdwa s[6:7], v15, v32 src0_sel:BYTE_0 src1_sel:DWORD
	v_mov_b32_e32 v33, 0
	s_and_saveexec_b64 s[0:1], s[6:7]
	s_cbranch_execz .LBB676_436
; %bb.431:
	s_movk_i32 s3, 0x80
	v_cmp_ne_u16_sdwa s[8:9], v15, s3 src0_sel:BYTE_0 src1_sel:DWORD
	v_mov_b32_e32 v33, 0xffff8000
	s_and_saveexec_b64 s[6:7], s[8:9]
	s_cbranch_execz .LBB676_435
; %bb.432:
	s_movk_i32 s3, 0x7f
	v_and_b32_e32 v24, 0x7f, v15
	v_cmp_ne_u32_e32 vcc, s3, v24
	v_mov_b32_e32 v33, 0x7f80
	s_and_saveexec_b64 s[8:9], vcc
	s_cbranch_execz .LBB676_434
; %bb.433:
	v_and_b32_e32 v33, 7, v15
	v_ffbh_u32_e32 v33, v33
	v_min_u32_e32 v33, 32, v33
	v_lshrrev_b32_e32 v34, 3, v24
	v_subrev_u32_e32 v35, 28, v33
	v_sub_u32_e32 v33, 29, v33
	v_cmp_gt_u32_e32 vcc, 8, v24
	v_cndmask_b32_e32 v24, v34, v33, vcc
	v_cndmask_b32_e32 v33, 0, v35, vcc
	v_lshlrev_b64 v[34:35], v33, v[22:23]
	v_lshlrev_b32_e32 v23, 20, v34
	v_lshlrev_b32_e32 v33, 24, v22
	v_bfrev_b32_e32 v34, 60
	v_and_b32_e32 v23, 0x700000, v23
	v_and_b32_e32 v33, 0x80000000, v33
	v_lshl_add_u32 v24, v24, 23, v34
	v_or3_b32 v23, v33, v24, v23
	v_lshrrev_b32_e32 v33, 16, v23
.LBB676_434:
	s_or_b64 exec, exec, s[8:9]
.LBB676_435:
	s_or_b64 exec, exec, s[6:7]
.LBB676_436:
	s_or_b64 exec, exec, s[0:1]
	v_lshrrev_b16_e32 v24, 8, v22
	v_cmp_ne_u16_e32 vcc, 0, v24
	s_and_saveexec_b64 s[0:1], vcc
	s_cbranch_execz .LBB676_442
; %bb.437:
	s_movk_i32 s3, 0x80
	v_cmp_ne_u16_e32 vcc, s3, v24
	v_mov_b32_e32 v32, 0xffff8000
	s_and_saveexec_b64 s[6:7], vcc
	s_cbranch_execz .LBB676_441
; %bb.438:
	s_movk_i32 s3, 0x7f
	v_and_b32_e32 v23, 0x7f, v24
	v_cmp_ne_u32_e32 vcc, s3, v23
	v_mov_b32_e32 v32, 0x7f80
	s_and_saveexec_b64 s[8:9], vcc
	s_cbranch_execz .LBB676_440
; %bb.439:
	v_and_b32_e32 v32, 7, v24
	v_ffbh_u32_e32 v34, v32
	v_min_u32_e32 v37, 32, v34
	v_subrev_u32_e32 v34, 28, v37
	v_lshlrev_b64 v[34:35], v34, v[24:25]
	v_lshrrev_b32_e32 v36, 3, v23
	v_sub_u32_e32 v24, 29, v37
	v_and_b32_e32 v34, 7, v34
	v_cmp_gt_u32_e32 vcc, 8, v23
	v_cndmask_b32_e32 v23, v36, v24, vcc
	v_cndmask_b32_e32 v24, v32, v34, vcc
	v_lshlrev_b32_e32 v22, 16, v22
	v_bfrev_b32_e32 v32, 60
	v_lshlrev_b32_e32 v24, 20, v24
	v_and_b32_e32 v22, 0x80000000, v22
	v_lshl_add_u32 v23, v23, 23, v32
	v_or3_b32 v22, v22, v23, v24
	v_lshrrev_b32_e32 v32, 16, v22
.LBB676_440:
	s_or_b64 exec, exec, s[8:9]
.LBB676_441:
	s_or_b64 exec, exec, s[6:7]
.LBB676_442:
	s_or_b64 exec, exec, s[0:1]
	s_movk_i32 s0, 0xff
	v_and_b32_sdwa v34, v15, s0 dst_sel:DWORD dst_unused:UNUSED_PAD src0_sel:WORD_1 src1_sel:DWORD
	v_lshrrev_b32_e32 v22, 16, v15
	v_cmp_ne_u16_e32 vcc, 0, v34
	v_mov_b32_e32 v23, 0
	v_mov_b32_e32 v24, 0
	s_and_saveexec_b64 s[0:1], vcc
	s_cbranch_execz .LBB676_448
; %bb.443:
	s_movk_i32 s3, 0x80
	v_cmp_ne_u16_e32 vcc, s3, v34
	v_mov_b32_e32 v24, 0xffff8000
	s_and_saveexec_b64 s[6:7], vcc
	s_cbranch_execz .LBB676_447
; %bb.444:
	v_bfe_u32 v34, v15, 16, 7
	s_movk_i32 s3, 0x7f
	v_cmp_ne_u32_e32 vcc, s3, v34
	v_mov_b32_e32 v24, 0x7f80
	s_and_saveexec_b64 s[8:9], vcc
	s_cbranch_execz .LBB676_446
; %bb.445:
	v_and_b32_e32 v24, 7, v22
	v_ffbh_u32_e32 v36, v24
	v_min_u32_e32 v38, 32, v36
	v_subrev_u32_e32 v36, 28, v38
	v_lshlrev_b64 v[36:37], v36, v[22:23]
	v_lshrrev_b32_e32 v35, 3, v34
	v_sub_u32_e32 v22, 29, v38
	v_and_b32_e32 v36, 7, v36
	v_cmp_gt_u32_e32 vcc, 8, v34
	v_mov_b32_e32 v34, 24
	v_cndmask_b32_e32 v22, v35, v22, vcc
	v_cndmask_b32_e32 v24, v24, v36, vcc
	v_lshlrev_b32_sdwa v34, v34, v15 dst_sel:DWORD dst_unused:UNUSED_PAD src0_sel:DWORD src1_sel:WORD_1
	v_bfrev_b32_e32 v35, 60
	v_lshlrev_b32_e32 v24, 20, v24
	v_and_b32_e32 v34, 0x80000000, v34
	v_lshl_add_u32 v22, v22, 23, v35
	v_or3_b32 v22, v34, v22, v24
	v_lshrrev_b32_e32 v24, 16, v22
.LBB676_446:
	s_or_b64 exec, exec, s[8:9]
.LBB676_447:
	s_or_b64 exec, exec, s[6:7]
.LBB676_448:
	s_or_b64 exec, exec, s[0:1]
	s_mov_b32 s0, -1
	s_mov_b32 s1, 0xffffff
	v_cmp_lt_u64_e32 vcc, s[0:1], v[14:15]
	s_and_saveexec_b64 s[0:1], vcc
	s_cbranch_execz .LBB676_454
; %bb.449:
	v_lshrrev_b32_e32 v14, 24, v15
	s_movk_i32 s3, 0x80
	v_cmp_ne_u32_e32 vcc, s3, v14
	v_mov_b32_e32 v23, 0xffff8000
	s_and_saveexec_b64 s[6:7], vcc
	s_cbranch_execz .LBB676_453
; %bb.450:
	v_bfe_u32 v15, v15, 24, 7
	s_movk_i32 s3, 0x7f
	v_cmp_ne_u32_e32 vcc, s3, v15
	v_mov_b32_e32 v23, 0x7f80
	s_and_saveexec_b64 s[8:9], vcc
	s_cbranch_execz .LBB676_452
; %bb.451:
	v_and_b32_e32 v34, 7, v14
	v_ffbh_u32_e32 v22, v34
	v_min_u32_e32 v36, 32, v22
	v_subrev_u32_e32 v22, 28, v36
	v_lshlrev_b64 v[22:23], v22, v[14:15]
	v_lshrrev_b32_e32 v35, 3, v15
	v_sub_u32_e32 v23, 29, v36
	v_and_b32_e32 v22, 7, v22
	v_cmp_gt_u32_e32 vcc, 8, v15
	v_cndmask_b32_e32 v15, v35, v23, vcc
	v_cndmask_b32_e32 v22, v34, v22, vcc
	v_lshlrev_b32_e32 v14, 24, v14
	v_bfrev_b32_e32 v23, 60
	v_lshlrev_b32_e32 v22, 20, v22
	v_and_b32_e32 v14, 0x80000000, v14
	v_lshl_add_u32 v15, v15, 23, v23
	v_or3_b32 v14, v14, v15, v22
	v_lshrrev_b32_e32 v23, 16, v14
.LBB676_452:
	s_or_b64 exec, exec, s[8:9]
.LBB676_453:
	s_or_b64 exec, exec, s[6:7]
.LBB676_454:
	s_or_b64 exec, exec, s[0:1]
	v_add_f32_e32 v14, 0x358637bd, v27
	v_div_scale_f32 v15, s[0:1], v14, v14, 1.0
	v_rcp_f32_e32 v22, v15
	v_div_scale_f32 v27, vcc, 1.0, v14, 1.0
	v_sub_f32_e32 v25, v25, v26
	v_fma_f32 v34, -v15, v22, 1.0
	v_fmac_f32_e32 v22, v34, v22
	v_mul_f32_e32 v34, v27, v22
	v_fma_f32 v35, -v15, v34, v27
	v_mul_f32_e32 v25, 0x3fb8aa3b, v25
	v_fmac_f32_e32 v34, v35, v22
	v_exp_f32_e32 v25, v25
	v_fma_f32 v15, -v15, v34, v27
	v_div_fmas_f32 v15, v15, v22, v34
	v_div_fixup_f32 v14, v15, v14, 1.0
	v_mul_f32_e32 v14, v25, v14
	v_pk_mul_f32 v[20:21], v[20:21], v[14:15] op_sel_hi:[1,0]
	v_pk_mul_f32 v[14:15], v[18:19], v[14:15] op_sel_hi:[1,0]
	v_bfe_u32 v18, v15, 16, 1
	v_bfe_u32 v19, v14, 16, 1
	s_movk_i32 s0, 0x7fff
	v_add3_u32 v14, v14, v19, s0
	v_add3_u32 v15, v15, v18, s0
	s_mov_b32 s1, 0x7060302
	v_perm_b32 v14, v15, v14, s1
	v_bfe_u32 v15, v21, 16, 1
	v_bfe_u32 v18, v20, 16, 1
	v_add3_u32 v18, v20, v18, s0
	v_add3_u32 v15, v21, v15, s0
	v_perm_b32 v15, v15, v18, s1
	s_mov_b32 s0, 0x5040100
	v_perm_b32 v19, v31, v30, s0
	v_perm_b32 v18, v28, v29, s0
	;; [unrolled: 1-line block ×4, first 2 shown]
	v_mfma_f32_4x4x4bf16_1k a[0:3], v[14:15], v[18:19], 0 cbsz:4
	v_mov_b32_e32 v21, 0
	v_mfma_f32_4x4x4bf16_1k a[0:3], v[14:15], v[22:23], a[0:3] cbsz:4 abid:1
	v_mov_b32_e32 v22, 0
	v_cmp_ne_u16_sdwa s[6:7], v16, v22 src0_sel:BYTE_0 src1_sel:DWORD
	s_and_saveexec_b64 s[0:1], s[6:7]
	s_cbranch_execz .LBB676_460
; %bb.455:
	s_movk_i32 s3, 0x80
	v_cmp_ne_u16_sdwa s[8:9], v16, s3 src0_sel:BYTE_0 src1_sel:DWORD
	v_mov_b32_e32 v21, 0xffff8000
	s_and_saveexec_b64 s[6:7], s[8:9]
	s_cbranch_execz .LBB676_459
; %bb.456:
	s_movk_i32 s3, 0x7f
	v_and_b32_e32 v18, 0x7f, v16
	v_cmp_ne_u32_e32 vcc, s3, v18
	v_mov_b32_e32 v21, 0x7f80
	s_and_saveexec_b64 s[8:9], vcc
	s_cbranch_execz .LBB676_458
; %bb.457:
	v_and_b32_e32 v19, 7, v16
	v_ffbh_u32_e32 v19, v19
	v_min_u32_e32 v19, 32, v19
	v_subrev_u32_e32 v21, 28, v19
	v_cmp_gt_u32_e32 vcc, 8, v18
	v_lshrrev_b32_e32 v20, 3, v18
	v_sub_u32_e32 v19, 29, v19
	v_cndmask_b32_e32 v18, 0, v21, vcc
	v_cndmask_b32_e32 v20, v20, v19, vcc
	v_lshlrev_b64 v[18:19], v18, v[16:17]
	v_lshlrev_b32_e32 v18, 20, v18
	v_lshlrev_b32_e32 v19, 24, v16
	v_bfrev_b32_e32 v21, 60
	v_and_b32_e32 v18, 0x700000, v18
	v_and_b32_e32 v19, 0x80000000, v19
	v_lshl_add_u32 v20, v20, 23, v21
	v_or3_b32 v18, v19, v20, v18
	v_lshrrev_b32_e32 v21, 16, v18
.LBB676_458:
	s_or_b64 exec, exec, s[8:9]
.LBB676_459:
	s_or_b64 exec, exec, s[6:7]
.LBB676_460:
	s_or_b64 exec, exec, s[0:1]
	v_lshrrev_b16_e32 v18, 8, v16
	v_cmp_ne_u16_e32 vcc, 0, v18
	s_and_saveexec_b64 s[0:1], vcc
	s_cbranch_execz .LBB676_466
; %bb.461:
	s_movk_i32 s3, 0x80
	v_cmp_ne_u16_e32 vcc, s3, v18
	v_mov_b32_e32 v22, 0xffff8000
	s_and_saveexec_b64 s[6:7], vcc
	s_cbranch_execz .LBB676_465
; %bb.462:
	s_movk_i32 s3, 0x7f
	v_and_b32_e32 v19, 0x7f, v18
	v_cmp_ne_u32_e32 vcc, s3, v19
	v_mov_b32_e32 v22, 0x7f80
	s_and_saveexec_b64 s[8:9], vcc
	s_cbranch_execz .LBB676_464
; %bb.463:
	v_and_b32_e32 v20, 7, v18
	v_ffbh_u32_e32 v22, v20
	v_min_u32_e32 v25, 32, v22
	v_subrev_u32_e32 v22, 28, v25
	v_lshlrev_b64 v[22:23], v22, v[18:19]
	v_lshrrev_b32_e32 v24, 3, v19
	v_sub_u32_e32 v18, 29, v25
	v_and_b32_e32 v22, 7, v22
	v_cmp_gt_u32_e32 vcc, 8, v19
	v_cndmask_b32_e32 v18, v24, v18, vcc
	v_cndmask_b32_e32 v19, v20, v22, vcc
	v_lshlrev_b32_e32 v20, 16, v16
	v_bfrev_b32_e32 v22, 60
	v_lshlrev_b32_e32 v19, 20, v19
	v_and_b32_e32 v20, 0x80000000, v20
	v_lshl_add_u32 v18, v18, 23, v22
	v_or3_b32 v18, v20, v18, v19
	v_lshrrev_b32_e32 v22, 16, v18
.LBB676_464:
	s_or_b64 exec, exec, s[8:9]
.LBB676_465:
	s_or_b64 exec, exec, s[6:7]
.LBB676_466:
	s_or_b64 exec, exec, s[0:1]
	s_movk_i32 s0, 0xff
	v_and_b32_sdwa v20, v16, s0 dst_sel:DWORD dst_unused:UNUSED_PAD src0_sel:WORD_1 src1_sel:DWORD
	v_lshrrev_b32_e32 v18, 16, v16
	v_cmp_ne_u16_e32 vcc, 0, v20
	v_mov_b32_e32 v19, 0
	v_mov_b32_e32 v23, 0
	s_and_saveexec_b64 s[0:1], vcc
	s_cbranch_execz .LBB676_472
; %bb.467:
	s_movk_i32 s3, 0x80
	v_cmp_ne_u16_e32 vcc, s3, v20
	v_mov_b32_e32 v23, 0xffff8000
	s_and_saveexec_b64 s[6:7], vcc
	s_cbranch_execz .LBB676_471
; %bb.468:
	v_bfe_u32 v20, v16, 16, 7
	s_movk_i32 s3, 0x7f
	v_cmp_ne_u32_e32 vcc, s3, v20
	v_mov_b32_e32 v23, 0x7f80
	s_and_saveexec_b64 s[8:9], vcc
	s_cbranch_execz .LBB676_470
; %bb.469:
	v_and_b32_e32 v23, 7, v18
	v_ffbh_u32_e32 v24, v23
	v_min_u32_e32 v27, 32, v24
	v_subrev_u32_e32 v24, 28, v27
	v_lshlrev_b64 v[24:25], v24, v[18:19]
	v_and_b32_e32 v24, 7, v24
	v_cmp_gt_u32_e32 vcc, 8, v20
	v_lshrrev_b32_e32 v26, 3, v20
	v_sub_u32_e32 v18, 29, v27
	v_cndmask_b32_e32 v20, v23, v24, vcc
	v_mov_b32_e32 v23, 24
	v_cndmask_b32_e32 v18, v26, v18, vcc
	v_lshlrev_b32_sdwa v23, v23, v16 dst_sel:DWORD dst_unused:UNUSED_PAD src0_sel:DWORD src1_sel:WORD_1
	v_bfrev_b32_e32 v24, 60
	v_lshlrev_b32_e32 v20, 20, v20
	v_and_b32_e32 v23, 0x80000000, v23
	v_lshl_add_u32 v18, v18, 23, v24
	v_or3_b32 v18, v23, v18, v20
	v_lshrrev_b32_e32 v23, 16, v18
.LBB676_470:
	s_or_b64 exec, exec, s[8:9]
.LBB676_471:
	s_or_b64 exec, exec, s[6:7]
.LBB676_472:
	s_or_b64 exec, exec, s[0:1]
	s_mov_b32 s0, 0xffffff
	v_cmp_lt_u32_e32 vcc, s0, v16
	v_mov_b32_e32 v24, 0
	s_and_saveexec_b64 s[0:1], vcc
	s_cbranch_execz .LBB676_478
; %bb.473:
	v_lshrrev_b32_e32 v18, 24, v16
	s_movk_i32 s3, 0x80
	v_cmp_ne_u32_e32 vcc, s3, v18
	v_mov_b32_e32 v24, 0xffff8000
	s_and_saveexec_b64 s[6:7], vcc
	s_cbranch_execz .LBB676_477
; %bb.474:
	v_bfe_u32 v20, v16, 24, 7
	s_movk_i32 s3, 0x7f
	v_cmp_ne_u32_e32 vcc, s3, v20
	v_mov_b32_e32 v24, 0x7f80
	s_and_saveexec_b64 s[8:9], vcc
	s_cbranch_execz .LBB676_476
; %bb.475:
	v_and_b32_e32 v26, 7, v18
	v_ffbh_u32_e32 v24, v26
	v_min_u32_e32 v28, 32, v24
	v_subrev_u32_e32 v24, 28, v28
	v_lshlrev_b64 v[24:25], v24, v[18:19]
	v_lshrrev_b32_e32 v27, 3, v20
	v_sub_u32_e32 v25, 29, v28
	v_and_b32_e32 v24, 7, v24
	v_cmp_gt_u32_e32 vcc, 8, v20
	v_cndmask_b32_e32 v20, v27, v25, vcc
	v_cndmask_b32_e32 v24, v26, v24, vcc
	v_lshlrev_b32_e32 v18, 24, v18
	v_bfrev_b32_e32 v25, 60
	v_lshlrev_b32_e32 v24, 20, v24
	v_and_b32_e32 v18, 0x80000000, v18
	v_lshl_add_u32 v20, v20, 23, v25
	v_or3_b32 v18, v18, v20, v24
	v_lshrrev_b32_e32 v24, 16, v18
.LBB676_476:
	s_or_b64 exec, exec, s[8:9]
.LBB676_477:
	s_or_b64 exec, exec, s[6:7]
.LBB676_478:
	s_or_b64 exec, exec, s[0:1]
	v_mov_b32_e32 v25, 0
	v_mov_b32_e32 v18, v17
	v_cmp_ne_u16_sdwa s[6:7], v17, v25 src0_sel:BYTE_0 src1_sel:DWORD
	v_mov_b32_e32 v26, 0
	s_and_saveexec_b64 s[0:1], s[6:7]
	s_cbranch_execz .LBB676_484
; %bb.479:
	s_movk_i32 s3, 0x80
	v_cmp_ne_u16_sdwa s[8:9], v17, s3 src0_sel:BYTE_0 src1_sel:DWORD
	v_mov_b32_e32 v26, 0xffff8000
	s_and_saveexec_b64 s[6:7], s[8:9]
	s_cbranch_execz .LBB676_483
; %bb.480:
	s_movk_i32 s3, 0x7f
	v_and_b32_e32 v20, 0x7f, v17
	v_cmp_ne_u32_e32 vcc, s3, v20
	v_mov_b32_e32 v26, 0x7f80
	s_and_saveexec_b64 s[8:9], vcc
	s_cbranch_execz .LBB676_482
; %bb.481:
	v_and_b32_e32 v26, 7, v17
	v_ffbh_u32_e32 v26, v26
	v_min_u32_e32 v26, 32, v26
	v_lshrrev_b32_e32 v27, 3, v20
	v_subrev_u32_e32 v28, 28, v26
	v_sub_u32_e32 v26, 29, v26
	v_cmp_gt_u32_e32 vcc, 8, v20
	v_cndmask_b32_e32 v20, v27, v26, vcc
	v_cndmask_b32_e32 v26, 0, v28, vcc
	v_lshlrev_b64 v[26:27], v26, v[18:19]
	v_lshlrev_b32_e32 v19, 20, v26
	v_lshlrev_b32_e32 v26, 24, v18
	v_bfrev_b32_e32 v27, 60
	v_and_b32_e32 v19, 0x700000, v19
	v_and_b32_e32 v26, 0x80000000, v26
	v_lshl_add_u32 v20, v20, 23, v27
	v_or3_b32 v19, v26, v20, v19
	v_lshrrev_b32_e32 v26, 16, v19
.LBB676_482:
	s_or_b64 exec, exec, s[8:9]
.LBB676_483:
	s_or_b64 exec, exec, s[6:7]
.LBB676_484:
	s_or_b64 exec, exec, s[0:1]
	v_lshrrev_b16_e32 v20, 8, v18
	v_cmp_ne_u16_e32 vcc, 0, v20
	s_and_saveexec_b64 s[0:1], vcc
	s_cbranch_execz .LBB676_490
; %bb.485:
	s_movk_i32 s3, 0x80
	v_cmp_ne_u16_e32 vcc, s3, v20
	v_mov_b32_e32 v25, 0xffff8000
	s_and_saveexec_b64 s[6:7], vcc
	s_cbranch_execz .LBB676_489
; %bb.486:
	s_movk_i32 s3, 0x7f
	v_and_b32_e32 v19, 0x7f, v20
	v_cmp_ne_u32_e32 vcc, s3, v19
	v_mov_b32_e32 v25, 0x7f80
	s_and_saveexec_b64 s[8:9], vcc
	s_cbranch_execz .LBB676_488
; %bb.487:
	v_and_b32_e32 v25, 7, v20
	v_ffbh_u32_e32 v28, v25
	v_min_u32_e32 v30, 32, v28
	v_subrev_u32_e32 v28, 28, v30
	v_lshlrev_b64 v[28:29], v28, v[20:21]
	v_lshrrev_b32_e32 v27, 3, v19
	v_sub_u32_e32 v20, 29, v30
	v_and_b32_e32 v28, 7, v28
	v_cmp_gt_u32_e32 vcc, 8, v19
	v_cndmask_b32_e32 v19, v27, v20, vcc
	v_cndmask_b32_e32 v20, v25, v28, vcc
	v_lshlrev_b32_e32 v18, 16, v18
	v_bfrev_b32_e32 v25, 60
	v_lshlrev_b32_e32 v20, 20, v20
	v_and_b32_e32 v18, 0x80000000, v18
	v_lshl_add_u32 v19, v19, 23, v25
	v_or3_b32 v18, v18, v19, v20
	v_lshrrev_b32_e32 v25, 16, v18
.LBB676_488:
	s_or_b64 exec, exec, s[8:9]
.LBB676_489:
	s_or_b64 exec, exec, s[6:7]
.LBB676_490:
	s_or_b64 exec, exec, s[0:1]
	s_movk_i32 s0, 0xff
	v_and_b32_sdwa v27, v17, s0 dst_sel:DWORD dst_unused:UNUSED_PAD src0_sel:WORD_1 src1_sel:DWORD
	v_lshrrev_b32_e32 v18, 16, v17
	v_cmp_ne_u16_e32 vcc, 0, v27
	v_mov_b32_e32 v19, 0
	v_mov_b32_e32 v20, 0
	s_and_saveexec_b64 s[0:1], vcc
	s_cbranch_execz .LBB676_496
; %bb.491:
	s_movk_i32 s3, 0x80
	v_cmp_ne_u16_e32 vcc, s3, v27
	v_mov_b32_e32 v20, 0xffff8000
	s_and_saveexec_b64 s[6:7], vcc
	s_cbranch_execz .LBB676_495
; %bb.492:
	v_bfe_u32 v27, v17, 16, 7
	s_movk_i32 s3, 0x7f
	v_cmp_ne_u32_e32 vcc, s3, v27
	v_mov_b32_e32 v20, 0x7f80
	s_and_saveexec_b64 s[8:9], vcc
	s_cbranch_execz .LBB676_494
; %bb.493:
	v_and_b32_e32 v20, 7, v18
	v_ffbh_u32_e32 v28, v20
	v_min_u32_e32 v31, 32, v28
	v_subrev_u32_e32 v28, 28, v31
	v_lshlrev_b64 v[28:29], v28, v[18:19]
	v_lshrrev_b32_e32 v30, 3, v27
	v_sub_u32_e32 v18, 29, v31
	v_and_b32_e32 v28, 7, v28
	v_cmp_gt_u32_e32 vcc, 8, v27
	v_mov_b32_e32 v27, 24
	v_cndmask_b32_e32 v18, v30, v18, vcc
	v_cndmask_b32_e32 v20, v20, v28, vcc
	v_lshlrev_b32_sdwa v27, v27, v17 dst_sel:DWORD dst_unused:UNUSED_PAD src0_sel:DWORD src1_sel:WORD_1
	v_bfrev_b32_e32 v28, 60
	v_lshlrev_b32_e32 v20, 20, v20
	v_and_b32_e32 v27, 0x80000000, v27
	v_lshl_add_u32 v18, v18, 23, v28
	v_or3_b32 v18, v27, v18, v20
	v_lshrrev_b32_e32 v20, 16, v18
.LBB676_494:
	s_or_b64 exec, exec, s[8:9]
.LBB676_495:
	s_or_b64 exec, exec, s[6:7]
.LBB676_496:
	s_or_b64 exec, exec, s[0:1]
	s_mov_b32 s0, -1
	s_mov_b32 s1, 0xffffff
	v_cmp_lt_u64_e32 vcc, s[0:1], v[16:17]
	s_and_saveexec_b64 s[0:1], vcc
	s_cbranch_execz .LBB676_502
; %bb.497:
	v_lshrrev_b32_e32 v16, 24, v17
	s_movk_i32 s3, 0x80
	v_cmp_ne_u32_e32 vcc, s3, v16
	v_mov_b32_e32 v19, 0xffff8000
	s_and_saveexec_b64 s[6:7], vcc
	s_cbranch_execz .LBB676_501
; %bb.498:
	v_bfe_u32 v17, v17, 24, 7
	s_movk_i32 s3, 0x7f
	v_cmp_ne_u32_e32 vcc, s3, v17
	v_mov_b32_e32 v19, 0x7f80
	s_and_saveexec_b64 s[8:9], vcc
	s_cbranch_execz .LBB676_500
; %bb.499:
	v_and_b32_e32 v27, 7, v16
	v_ffbh_u32_e32 v18, v27
	v_min_u32_e32 v29, 32, v18
	v_subrev_u32_e32 v18, 28, v29
	v_lshlrev_b64 v[18:19], v18, v[16:17]
	v_lshrrev_b32_e32 v28, 3, v17
	v_sub_u32_e32 v19, 29, v29
	v_and_b32_e32 v18, 7, v18
	v_cmp_gt_u32_e32 vcc, 8, v17
	v_cndmask_b32_e32 v17, v28, v19, vcc
	v_cndmask_b32_e32 v18, v27, v18, vcc
	v_lshlrev_b32_e32 v16, 24, v16
	v_bfrev_b32_e32 v19, 60
	v_lshlrev_b32_e32 v18, 20, v18
	v_and_b32_e32 v16, 0x80000000, v16
	v_lshl_add_u32 v17, v17, 23, v19
	v_or3_b32 v16, v16, v17, v18
	v_lshrrev_b32_e32 v19, 16, v16
.LBB676_500:
	s_or_b64 exec, exec, s[8:9]
.LBB676_501:
	s_or_b64 exec, exec, s[6:7]
.LBB676_502:
	s_or_b64 exec, exec, s[0:1]
	s_mov_b32 s0, 0x5040100
	v_perm_b32 v17, v24, v23, s0
	v_perm_b32 v16, v22, v21, s0
	v_perm_b32 v19, v19, v20, s0
	v_perm_b32 v18, v25, v26, s0
	v_mfma_f32_4x4x4bf16_1k a[0:3], v[14:15], v[16:17], a[0:3] cbsz:4 abid:2
	v_mov_b32_e32 v20, 0
	v_mfma_f32_4x4x4bf16_1k a[0:3], v[14:15], v[18:19], a[0:3] cbsz:4 abid:3
	v_mov_b32_e32 v19, 0
	s_waitcnt vmcnt(2)
	v_cmp_ne_u16_sdwa s[6:7], v10, v19 src0_sel:BYTE_0 src1_sel:DWORD
	s_and_saveexec_b64 s[0:1], s[6:7]
	s_cbranch_execz .LBB676_508
; %bb.503:
	s_movk_i32 s3, 0x80
	v_cmp_ne_u16_sdwa s[8:9], v10, s3 src0_sel:BYTE_0 src1_sel:DWORD
	v_mov_b32_e32 v20, 0xffff8000
	s_and_saveexec_b64 s[6:7], s[8:9]
	s_cbranch_execz .LBB676_507
; %bb.504:
	s_movk_i32 s3, 0x7f
	v_and_b32_e32 v16, 0x7f, v10
	v_cmp_ne_u32_e32 vcc, s3, v16
	v_mov_b32_e32 v20, 0x7f80
	s_and_saveexec_b64 s[8:9], vcc
	s_cbranch_execz .LBB676_506
; %bb.505:
	v_and_b32_e32 v17, 7, v10
	v_ffbh_u32_e32 v17, v17
	v_min_u32_e32 v17, 32, v17
	v_subrev_u32_e32 v20, 28, v17
	v_cmp_gt_u32_e32 vcc, 8, v16
	v_lshrrev_b32_e32 v18, 3, v16
	v_sub_u32_e32 v17, 29, v17
	v_cndmask_b32_e32 v16, 0, v20, vcc
	v_cndmask_b32_e32 v18, v18, v17, vcc
	v_lshlrev_b64 v[16:17], v16, v[10:11]
	v_lshlrev_b32_e32 v16, 20, v16
	v_lshlrev_b32_e32 v17, 24, v10
	v_bfrev_b32_e32 v20, 60
	v_and_b32_e32 v16, 0x700000, v16
	v_and_b32_e32 v17, 0x80000000, v17
	v_lshl_add_u32 v18, v18, 23, v20
	v_or3_b32 v16, v17, v18, v16
	v_lshrrev_b32_e32 v20, 16, v16
.LBB676_506:
	s_or_b64 exec, exec, s[8:9]
.LBB676_507:
	s_or_b64 exec, exec, s[6:7]
.LBB676_508:
	s_or_b64 exec, exec, s[0:1]
	v_lshrrev_b16_e32 v16, 8, v10
	v_cmp_ne_u16_e32 vcc, 0, v16
	s_and_saveexec_b64 s[0:1], vcc
	s_cbranch_execz .LBB676_514
; %bb.509:
	s_movk_i32 s3, 0x80
	v_cmp_ne_u16_e32 vcc, s3, v16
	v_mov_b32_e32 v19, 0xffff8000
	s_and_saveexec_b64 s[6:7], vcc
	s_cbranch_execz .LBB676_513
; %bb.510:
	s_movk_i32 s3, 0x7f
	v_and_b32_e32 v17, 0x7f, v16
	v_cmp_ne_u32_e32 vcc, s3, v17
	v_mov_b32_e32 v19, 0x7f80
	s_and_saveexec_b64 s[8:9], vcc
	s_cbranch_execz .LBB676_512
; %bb.511:
	v_and_b32_e32 v21, 7, v16
	v_ffbh_u32_e32 v18, v21
	v_min_u32_e32 v23, 32, v18
	v_subrev_u32_e32 v18, 28, v23
	v_lshlrev_b64 v[18:19], v18, v[16:17]
	v_lshrrev_b32_e32 v22, 3, v17
	v_sub_u32_e32 v16, 29, v23
	v_and_b32_e32 v18, 7, v18
	v_cmp_gt_u32_e32 vcc, 8, v17
	v_cndmask_b32_e32 v16, v22, v16, vcc
	v_cndmask_b32_e32 v17, v21, v18, vcc
	v_lshlrev_b32_e32 v18, 16, v10
	v_bfrev_b32_e32 v19, 60
	v_lshlrev_b32_e32 v17, 20, v17
	v_and_b32_e32 v18, 0x80000000, v18
	v_lshl_add_u32 v16, v16, 23, v19
	v_or3_b32 v16, v18, v16, v17
	v_lshrrev_b32_e32 v19, 16, v16
.LBB676_512:
	s_or_b64 exec, exec, s[8:9]
.LBB676_513:
	s_or_b64 exec, exec, s[6:7]
.LBB676_514:
	s_or_b64 exec, exec, s[0:1]
	s_movk_i32 s0, 0xff
	v_and_b32_sdwa v18, v10, s0 dst_sel:DWORD dst_unused:UNUSED_PAD src0_sel:WORD_1 src1_sel:DWORD
	v_lshrrev_b32_e32 v16, 16, v10
	v_cmp_ne_u16_e32 vcc, 0, v18
	v_mov_b32_e32 v17, 0
	v_mov_b32_e32 v21, 0
	s_and_saveexec_b64 s[0:1], vcc
	s_cbranch_execz .LBB676_520
; %bb.515:
	s_movk_i32 s3, 0x80
	v_cmp_ne_u16_e32 vcc, s3, v18
	v_mov_b32_e32 v21, 0xffff8000
	s_and_saveexec_b64 s[6:7], vcc
	s_cbranch_execz .LBB676_519
; %bb.516:
	v_bfe_u32 v18, v10, 16, 7
	s_movk_i32 s3, 0x7f
	v_cmp_ne_u32_e32 vcc, s3, v18
	v_mov_b32_e32 v21, 0x7f80
	s_and_saveexec_b64 s[8:9], vcc
	s_cbranch_execz .LBB676_518
; %bb.517:
	v_and_b32_e32 v21, 7, v16
	v_ffbh_u32_e32 v22, v21
	v_min_u32_e32 v25, 32, v22
	v_subrev_u32_e32 v22, 28, v25
	v_lshlrev_b64 v[22:23], v22, v[16:17]
	v_and_b32_e32 v22, 7, v22
	v_cmp_gt_u32_e32 vcc, 8, v18
	v_lshrrev_b32_e32 v24, 3, v18
	v_sub_u32_e32 v16, 29, v25
	v_cndmask_b32_e32 v18, v21, v22, vcc
	v_mov_b32_e32 v21, 24
	v_cndmask_b32_e32 v16, v24, v16, vcc
	v_lshlrev_b32_sdwa v21, v21, v10 dst_sel:DWORD dst_unused:UNUSED_PAD src0_sel:DWORD src1_sel:WORD_1
	v_bfrev_b32_e32 v22, 60
	v_lshlrev_b32_e32 v18, 20, v18
	v_and_b32_e32 v21, 0x80000000, v21
	v_lshl_add_u32 v16, v16, 23, v22
	v_or3_b32 v16, v21, v16, v18
	v_lshrrev_b32_e32 v21, 16, v16
.LBB676_518:
	s_or_b64 exec, exec, s[8:9]
.LBB676_519:
	s_or_b64 exec, exec, s[6:7]
.LBB676_520:
	s_or_b64 exec, exec, s[0:1]
	s_mov_b32 s0, 0xffffff
	v_cmp_lt_u32_e32 vcc, s0, v10
	v_mov_b32_e32 v22, 0
	s_and_saveexec_b64 s[0:1], vcc
	s_cbranch_execz .LBB676_526
; %bb.521:
	v_lshrrev_b32_e32 v16, 24, v10
	s_movk_i32 s3, 0x80
	v_cmp_ne_u32_e32 vcc, s3, v16
	v_mov_b32_e32 v22, 0xffff8000
	s_and_saveexec_b64 s[6:7], vcc
	s_cbranch_execz .LBB676_525
; %bb.522:
	v_bfe_u32 v18, v10, 24, 7
	s_movk_i32 s3, 0x7f
	v_cmp_ne_u32_e32 vcc, s3, v18
	v_mov_b32_e32 v22, 0x7f80
	s_and_saveexec_b64 s[8:9], vcc
	s_cbranch_execz .LBB676_524
; %bb.523:
	v_and_b32_e32 v24, 7, v16
	v_ffbh_u32_e32 v22, v24
	v_min_u32_e32 v26, 32, v22
	v_subrev_u32_e32 v22, 28, v26
	v_lshlrev_b64 v[22:23], v22, v[16:17]
	v_lshrrev_b32_e32 v25, 3, v18
	v_sub_u32_e32 v23, 29, v26
	v_and_b32_e32 v22, 7, v22
	v_cmp_gt_u32_e32 vcc, 8, v18
	v_cndmask_b32_e32 v18, v25, v23, vcc
	v_cndmask_b32_e32 v22, v24, v22, vcc
	v_lshlrev_b32_e32 v16, 24, v16
	v_bfrev_b32_e32 v23, 60
	v_lshlrev_b32_e32 v22, 20, v22
	v_and_b32_e32 v16, 0x80000000, v16
	v_lshl_add_u32 v18, v18, 23, v23
	v_or3_b32 v16, v16, v18, v22
	v_lshrrev_b32_e32 v22, 16, v16
.LBB676_524:
	s_or_b64 exec, exec, s[8:9]
.LBB676_525:
	s_or_b64 exec, exec, s[6:7]
.LBB676_526:
	s_or_b64 exec, exec, s[0:1]
	v_mov_b32_e32 v23, 0
	v_mov_b32_e32 v16, v11
	v_cmp_ne_u16_sdwa s[6:7], v11, v23 src0_sel:BYTE_0 src1_sel:DWORD
	v_mov_b32_e32 v24, 0
	s_and_saveexec_b64 s[0:1], s[6:7]
	s_cbranch_execz .LBB676_532
; %bb.527:
	s_movk_i32 s3, 0x80
	v_cmp_ne_u16_sdwa s[8:9], v11, s3 src0_sel:BYTE_0 src1_sel:DWORD
	v_mov_b32_e32 v24, 0xffff8000
	s_and_saveexec_b64 s[6:7], s[8:9]
	s_cbranch_execz .LBB676_531
; %bb.528:
	s_movk_i32 s3, 0x7f
	v_and_b32_e32 v18, 0x7f, v11
	v_cmp_ne_u32_e32 vcc, s3, v18
	v_mov_b32_e32 v24, 0x7f80
	s_and_saveexec_b64 s[8:9], vcc
	s_cbranch_execz .LBB676_530
; %bb.529:
	v_and_b32_e32 v24, 7, v11
	v_ffbh_u32_e32 v24, v24
	v_min_u32_e32 v24, 32, v24
	v_lshrrev_b32_e32 v25, 3, v18
	v_subrev_u32_e32 v26, 28, v24
	v_sub_u32_e32 v24, 29, v24
	v_cmp_gt_u32_e32 vcc, 8, v18
	v_cndmask_b32_e32 v18, v25, v24, vcc
	v_cndmask_b32_e32 v24, 0, v26, vcc
	v_lshlrev_b64 v[24:25], v24, v[16:17]
	v_lshlrev_b32_e32 v17, 20, v24
	v_lshlrev_b32_e32 v24, 24, v16
	v_bfrev_b32_e32 v25, 60
	v_and_b32_e32 v17, 0x700000, v17
	v_and_b32_e32 v24, 0x80000000, v24
	v_lshl_add_u32 v18, v18, 23, v25
	v_or3_b32 v17, v24, v18, v17
	v_lshrrev_b32_e32 v24, 16, v17
.LBB676_530:
	s_or_b64 exec, exec, s[8:9]
.LBB676_531:
	s_or_b64 exec, exec, s[6:7]
.LBB676_532:
	s_or_b64 exec, exec, s[0:1]
	v_lshrrev_b16_e32 v18, 8, v16
	v_cmp_ne_u16_e32 vcc, 0, v18
	s_and_saveexec_b64 s[0:1], vcc
	s_cbranch_execz .LBB676_538
; %bb.533:
	s_movk_i32 s3, 0x80
	v_cmp_ne_u16_e32 vcc, s3, v18
	v_mov_b32_e32 v23, 0xffff8000
	s_and_saveexec_b64 s[6:7], vcc
	s_cbranch_execz .LBB676_537
; %bb.534:
	s_movk_i32 s3, 0x7f
	v_and_b32_e32 v17, 0x7f, v18
	v_cmp_ne_u32_e32 vcc, s3, v17
	v_mov_b32_e32 v23, 0x7f80
	s_and_saveexec_b64 s[8:9], vcc
	s_cbranch_execz .LBB676_536
; %bb.535:
	v_and_b32_e32 v23, 7, v18
	v_ffbh_u32_e32 v26, v23
	v_min_u32_e32 v28, 32, v26
	v_subrev_u32_e32 v26, 28, v28
	v_lshlrev_b64 v[26:27], v26, v[18:19]
	v_lshrrev_b32_e32 v25, 3, v17
	v_sub_u32_e32 v18, 29, v28
	v_and_b32_e32 v26, 7, v26
	v_cmp_gt_u32_e32 vcc, 8, v17
	v_cndmask_b32_e32 v17, v25, v18, vcc
	v_cndmask_b32_e32 v18, v23, v26, vcc
	v_lshlrev_b32_e32 v16, 16, v16
	v_bfrev_b32_e32 v23, 60
	v_lshlrev_b32_e32 v18, 20, v18
	v_and_b32_e32 v16, 0x80000000, v16
	v_lshl_add_u32 v17, v17, 23, v23
	v_or3_b32 v16, v16, v17, v18
	v_lshrrev_b32_e32 v23, 16, v16
.LBB676_536:
	s_or_b64 exec, exec, s[8:9]
.LBB676_537:
	s_or_b64 exec, exec, s[6:7]
.LBB676_538:
	s_or_b64 exec, exec, s[0:1]
	s_movk_i32 s0, 0xff
	v_and_b32_sdwa v25, v11, s0 dst_sel:DWORD dst_unused:UNUSED_PAD src0_sel:WORD_1 src1_sel:DWORD
	v_lshrrev_b32_e32 v16, 16, v11
	v_cmp_ne_u16_e32 vcc, 0, v25
	v_mov_b32_e32 v17, 0
	v_mov_b32_e32 v18, 0
	s_and_saveexec_b64 s[0:1], vcc
	s_cbranch_execz .LBB676_544
; %bb.539:
	s_movk_i32 s3, 0x80
	v_cmp_ne_u16_e32 vcc, s3, v25
	v_mov_b32_e32 v18, 0xffff8000
	s_and_saveexec_b64 s[6:7], vcc
	s_cbranch_execz .LBB676_543
; %bb.540:
	v_bfe_u32 v25, v11, 16, 7
	s_movk_i32 s3, 0x7f
	v_cmp_ne_u32_e32 vcc, s3, v25
	v_mov_b32_e32 v18, 0x7f80
	s_and_saveexec_b64 s[8:9], vcc
	s_cbranch_execz .LBB676_542
; %bb.541:
	v_and_b32_e32 v18, 7, v16
	v_ffbh_u32_e32 v26, v18
	v_min_u32_e32 v29, 32, v26
	v_subrev_u32_e32 v26, 28, v29
	v_lshlrev_b64 v[26:27], v26, v[16:17]
	v_lshrrev_b32_e32 v28, 3, v25
	v_sub_u32_e32 v16, 29, v29
	v_and_b32_e32 v26, 7, v26
	v_cmp_gt_u32_e32 vcc, 8, v25
	v_mov_b32_e32 v25, 24
	v_cndmask_b32_e32 v16, v28, v16, vcc
	v_cndmask_b32_e32 v18, v18, v26, vcc
	v_lshlrev_b32_sdwa v25, v25, v11 dst_sel:DWORD dst_unused:UNUSED_PAD src0_sel:DWORD src1_sel:WORD_1
	v_bfrev_b32_e32 v26, 60
	v_lshlrev_b32_e32 v18, 20, v18
	v_and_b32_e32 v25, 0x80000000, v25
	v_lshl_add_u32 v16, v16, 23, v26
	v_or3_b32 v16, v25, v16, v18
	v_lshrrev_b32_e32 v18, 16, v16
.LBB676_542:
	s_or_b64 exec, exec, s[8:9]
.LBB676_543:
	s_or_b64 exec, exec, s[6:7]
.LBB676_544:
	s_or_b64 exec, exec, s[0:1]
	s_mov_b32 s0, -1
	s_mov_b32 s1, 0xffffff
	v_cmp_lt_u64_e32 vcc, s[0:1], v[10:11]
	s_and_saveexec_b64 s[0:1], vcc
	s_cbranch_execz .LBB676_550
; %bb.545:
	v_lshrrev_b32_e32 v10, 24, v11
	s_movk_i32 s3, 0x80
	v_cmp_ne_u32_e32 vcc, s3, v10
	v_mov_b32_e32 v17, 0xffff8000
	s_and_saveexec_b64 s[6:7], vcc
	s_cbranch_execz .LBB676_549
; %bb.546:
	v_bfe_u32 v11, v11, 24, 7
	s_movk_i32 s3, 0x7f
	v_cmp_ne_u32_e32 vcc, s3, v11
	v_mov_b32_e32 v17, 0x7f80
	s_and_saveexec_b64 s[8:9], vcc
	s_cbranch_execz .LBB676_548
; %bb.547:
	v_and_b32_e32 v25, 7, v10
	v_ffbh_u32_e32 v16, v25
	v_min_u32_e32 v27, 32, v16
	v_subrev_u32_e32 v16, 28, v27
	v_lshlrev_b64 v[16:17], v16, v[10:11]
	v_lshrrev_b32_e32 v26, 3, v11
	v_sub_u32_e32 v17, 29, v27
	v_and_b32_e32 v16, 7, v16
	v_cmp_gt_u32_e32 vcc, 8, v11
	v_cndmask_b32_e32 v11, v26, v17, vcc
	v_cndmask_b32_e32 v16, v25, v16, vcc
	v_lshlrev_b32_e32 v10, 24, v10
	v_bfrev_b32_e32 v17, 60
	v_lshlrev_b32_e32 v16, 20, v16
	v_and_b32_e32 v10, 0x80000000, v10
	v_lshl_add_u32 v11, v11, 23, v17
	v_or3_b32 v10, v10, v11, v16
	v_lshrrev_b32_e32 v17, 16, v10
.LBB676_548:
	s_or_b64 exec, exec, s[8:9]
.LBB676_549:
	s_or_b64 exec, exec, s[6:7]
.LBB676_550:
	s_or_b64 exec, exec, s[0:1]
	s_mov_b32 s0, 0x5040100
	v_perm_b32 v11, v22, v21, s0
	v_perm_b32 v10, v19, v20, s0
	v_perm_b32 v17, v17, v18, s0
	v_perm_b32 v16, v23, v24, s0
	v_mfma_f32_4x4x4bf16_1k a[0:3], v[14:15], v[10:11], a[0:3] cbsz:4 abid:4
	v_mov_b32_e32 v18, 0
	v_mfma_f32_4x4x4bf16_1k a[0:3], v[14:15], v[16:17], a[0:3] cbsz:4 abid:5
	v_mov_b32_e32 v17, 0
	v_cmp_ne_u16_sdwa s[6:7], v12, v17 src0_sel:BYTE_0 src1_sel:DWORD
	s_and_saveexec_b64 s[0:1], s[6:7]
	s_cbranch_execz .LBB676_556
; %bb.551:
	s_movk_i32 s3, 0x80
	v_cmp_ne_u16_sdwa s[8:9], v12, s3 src0_sel:BYTE_0 src1_sel:DWORD
	v_mov_b32_e32 v18, 0xffff8000
	s_and_saveexec_b64 s[6:7], s[8:9]
	s_cbranch_execz .LBB676_555
; %bb.552:
	s_movk_i32 s3, 0x7f
	v_and_b32_e32 v10, 0x7f, v12
	v_cmp_ne_u32_e32 vcc, s3, v10
	v_mov_b32_e32 v18, 0x7f80
	s_and_saveexec_b64 s[8:9], vcc
	s_cbranch_execz .LBB676_554
; %bb.553:
	v_and_b32_e32 v11, 7, v12
	v_ffbh_u32_e32 v11, v11
	v_min_u32_e32 v11, 32, v11
	v_subrev_u32_e32 v18, 28, v11
	v_cmp_gt_u32_e32 vcc, 8, v10
	v_lshrrev_b32_e32 v16, 3, v10
	v_sub_u32_e32 v11, 29, v11
	v_cndmask_b32_e32 v10, 0, v18, vcc
	v_cndmask_b32_e32 v16, v16, v11, vcc
	v_lshlrev_b64 v[10:11], v10, v[12:13]
	v_lshlrev_b32_e32 v10, 20, v10
	v_lshlrev_b32_e32 v11, 24, v12
	v_bfrev_b32_e32 v18, 60
	v_and_b32_e32 v10, 0x700000, v10
	v_and_b32_e32 v11, 0x80000000, v11
	v_lshl_add_u32 v16, v16, 23, v18
	v_or3_b32 v10, v11, v16, v10
	v_lshrrev_b32_e32 v18, 16, v10
.LBB676_554:
	s_or_b64 exec, exec, s[8:9]
.LBB676_555:
	s_or_b64 exec, exec, s[6:7]
.LBB676_556:
	s_or_b64 exec, exec, s[0:1]
	v_lshrrev_b16_e32 v10, 8, v12
	v_cmp_ne_u16_e32 vcc, 0, v10
	s_and_saveexec_b64 s[0:1], vcc
	s_cbranch_execz .LBB676_562
; %bb.557:
	s_movk_i32 s3, 0x80
	v_cmp_ne_u16_e32 vcc, s3, v10
	v_mov_b32_e32 v17, 0xffff8000
	s_and_saveexec_b64 s[6:7], vcc
	s_cbranch_execz .LBB676_561
; %bb.558:
	s_movk_i32 s3, 0x7f
	v_and_b32_e32 v11, 0x7f, v10
	v_cmp_ne_u32_e32 vcc, s3, v11
	v_mov_b32_e32 v17, 0x7f80
	s_and_saveexec_b64 s[8:9], vcc
	s_cbranch_execz .LBB676_560
; %bb.559:
	v_and_b32_e32 v19, 7, v10
	v_ffbh_u32_e32 v16, v19
	v_min_u32_e32 v21, 32, v16
	v_subrev_u32_e32 v16, 28, v21
	v_lshlrev_b64 v[16:17], v16, v[10:11]
	v_lshrrev_b32_e32 v20, 3, v11
	v_sub_u32_e32 v10, 29, v21
	v_and_b32_e32 v16, 7, v16
	v_cmp_gt_u32_e32 vcc, 8, v11
	v_cndmask_b32_e32 v10, v20, v10, vcc
	v_cndmask_b32_e32 v11, v19, v16, vcc
	v_lshlrev_b32_e32 v16, 16, v12
	v_bfrev_b32_e32 v17, 60
	v_lshlrev_b32_e32 v11, 20, v11
	v_and_b32_e32 v16, 0x80000000, v16
	v_lshl_add_u32 v10, v10, 23, v17
	v_or3_b32 v10, v16, v10, v11
	v_lshrrev_b32_e32 v17, 16, v10
.LBB676_560:
	s_or_b64 exec, exec, s[8:9]
.LBB676_561:
	s_or_b64 exec, exec, s[6:7]
.LBB676_562:
	s_or_b64 exec, exec, s[0:1]
	s_movk_i32 s0, 0xff
	v_and_b32_sdwa v16, v12, s0 dst_sel:DWORD dst_unused:UNUSED_PAD src0_sel:WORD_1 src1_sel:DWORD
	v_lshrrev_b32_e32 v10, 16, v12
	v_cmp_ne_u16_e32 vcc, 0, v16
	v_mov_b32_e32 v11, 0
	v_mov_b32_e32 v19, 0
	s_and_saveexec_b64 s[0:1], vcc
	s_cbranch_execz .LBB676_568
; %bb.563:
	s_movk_i32 s3, 0x80
	v_cmp_ne_u16_e32 vcc, s3, v16
	v_mov_b32_e32 v19, 0xffff8000
	s_and_saveexec_b64 s[6:7], vcc
	s_cbranch_execz .LBB676_567
; %bb.564:
	v_bfe_u32 v16, v12, 16, 7
	s_movk_i32 s3, 0x7f
	v_cmp_ne_u32_e32 vcc, s3, v16
	v_mov_b32_e32 v19, 0x7f80
	s_and_saveexec_b64 s[8:9], vcc
	s_cbranch_execz .LBB676_566
; %bb.565:
	v_and_b32_e32 v19, 7, v10
	v_ffbh_u32_e32 v20, v19
	v_min_u32_e32 v23, 32, v20
	v_subrev_u32_e32 v20, 28, v23
	v_lshlrev_b64 v[20:21], v20, v[10:11]
	v_and_b32_e32 v20, 7, v20
	v_cmp_gt_u32_e32 vcc, 8, v16
	v_lshrrev_b32_e32 v22, 3, v16
	v_sub_u32_e32 v10, 29, v23
	v_cndmask_b32_e32 v16, v19, v20, vcc
	v_mov_b32_e32 v19, 24
	v_cndmask_b32_e32 v10, v22, v10, vcc
	v_lshlrev_b32_sdwa v19, v19, v12 dst_sel:DWORD dst_unused:UNUSED_PAD src0_sel:DWORD src1_sel:WORD_1
	v_bfrev_b32_e32 v20, 60
	v_lshlrev_b32_e32 v16, 20, v16
	v_and_b32_e32 v19, 0x80000000, v19
	v_lshl_add_u32 v10, v10, 23, v20
	v_or3_b32 v10, v19, v10, v16
	v_lshrrev_b32_e32 v19, 16, v10
.LBB676_566:
	s_or_b64 exec, exec, s[8:9]
.LBB676_567:
	s_or_b64 exec, exec, s[6:7]
.LBB676_568:
	s_or_b64 exec, exec, s[0:1]
	s_mov_b32 s0, 0xffffff
	v_cmp_lt_u32_e32 vcc, s0, v12
	v_mov_b32_e32 v20, 0
	s_and_saveexec_b64 s[0:1], vcc
	s_cbranch_execz .LBB676_574
; %bb.569:
	v_lshrrev_b32_e32 v10, 24, v12
	s_movk_i32 s3, 0x80
	v_cmp_ne_u32_e32 vcc, s3, v10
	v_mov_b32_e32 v20, 0xffff8000
	s_and_saveexec_b64 s[6:7], vcc
	s_cbranch_execz .LBB676_573
; %bb.570:
	v_bfe_u32 v16, v12, 24, 7
	s_movk_i32 s3, 0x7f
	v_cmp_ne_u32_e32 vcc, s3, v16
	v_mov_b32_e32 v20, 0x7f80
	s_and_saveexec_b64 s[8:9], vcc
	s_cbranch_execz .LBB676_572
; %bb.571:
	v_and_b32_e32 v22, 7, v10
	v_ffbh_u32_e32 v20, v22
	v_min_u32_e32 v24, 32, v20
	v_subrev_u32_e32 v20, 28, v24
	v_lshlrev_b64 v[20:21], v20, v[10:11]
	v_lshrrev_b32_e32 v23, 3, v16
	v_sub_u32_e32 v21, 29, v24
	v_and_b32_e32 v20, 7, v20
	v_cmp_gt_u32_e32 vcc, 8, v16
	v_cndmask_b32_e32 v16, v23, v21, vcc
	v_cndmask_b32_e32 v20, v22, v20, vcc
	v_lshlrev_b32_e32 v10, 24, v10
	v_bfrev_b32_e32 v21, 60
	v_lshlrev_b32_e32 v20, 20, v20
	v_and_b32_e32 v10, 0x80000000, v10
	v_lshl_add_u32 v16, v16, 23, v21
	v_or3_b32 v10, v10, v16, v20
	v_lshrrev_b32_e32 v20, 16, v10
.LBB676_572:
	s_or_b64 exec, exec, s[8:9]
.LBB676_573:
	s_or_b64 exec, exec, s[6:7]
.LBB676_574:
	s_or_b64 exec, exec, s[0:1]
	v_mov_b32_e32 v21, 0
	v_mov_b32_e32 v10, v13
	v_cmp_ne_u16_sdwa s[6:7], v13, v21 src0_sel:BYTE_0 src1_sel:DWORD
	v_mov_b32_e32 v22, 0
	s_and_saveexec_b64 s[0:1], s[6:7]
	s_cbranch_execz .LBB676_580
; %bb.575:
	s_movk_i32 s3, 0x80
	v_cmp_ne_u16_sdwa s[8:9], v13, s3 src0_sel:BYTE_0 src1_sel:DWORD
	v_mov_b32_e32 v22, 0xffff8000
	s_and_saveexec_b64 s[6:7], s[8:9]
	s_cbranch_execz .LBB676_579
; %bb.576:
	s_movk_i32 s3, 0x7f
	v_and_b32_e32 v16, 0x7f, v13
	v_cmp_ne_u32_e32 vcc, s3, v16
	v_mov_b32_e32 v22, 0x7f80
	s_and_saveexec_b64 s[8:9], vcc
	s_cbranch_execz .LBB676_578
; %bb.577:
	v_and_b32_e32 v22, 7, v13
	v_ffbh_u32_e32 v22, v22
	v_min_u32_e32 v22, 32, v22
	v_lshrrev_b32_e32 v23, 3, v16
	v_subrev_u32_e32 v24, 28, v22
	v_sub_u32_e32 v22, 29, v22
	v_cmp_gt_u32_e32 vcc, 8, v16
	v_cndmask_b32_e32 v16, v23, v22, vcc
	v_cndmask_b32_e32 v22, 0, v24, vcc
	v_lshlrev_b64 v[22:23], v22, v[10:11]
	v_lshlrev_b32_e32 v11, 20, v22
	v_lshlrev_b32_e32 v22, 24, v10
	v_bfrev_b32_e32 v23, 60
	v_and_b32_e32 v11, 0x700000, v11
	v_and_b32_e32 v22, 0x80000000, v22
	v_lshl_add_u32 v16, v16, 23, v23
	v_or3_b32 v11, v22, v16, v11
	v_lshrrev_b32_e32 v22, 16, v11
.LBB676_578:
	s_or_b64 exec, exec, s[8:9]
.LBB676_579:
	s_or_b64 exec, exec, s[6:7]
.LBB676_580:
	s_or_b64 exec, exec, s[0:1]
	v_lshrrev_b16_e32 v16, 8, v10
	v_cmp_ne_u16_e32 vcc, 0, v16
	s_and_saveexec_b64 s[0:1], vcc
	s_cbranch_execz .LBB676_586
; %bb.581:
	s_movk_i32 s3, 0x80
	v_cmp_ne_u16_e32 vcc, s3, v16
	v_mov_b32_e32 v21, 0xffff8000
	s_and_saveexec_b64 s[6:7], vcc
	s_cbranch_execz .LBB676_585
; %bb.582:
	s_movk_i32 s3, 0x7f
	v_and_b32_e32 v11, 0x7f, v16
	v_cmp_ne_u32_e32 vcc, s3, v11
	v_mov_b32_e32 v21, 0x7f80
	s_and_saveexec_b64 s[8:9], vcc
	s_cbranch_execz .LBB676_584
; %bb.583:
	v_and_b32_e32 v21, 7, v16
	v_ffbh_u32_e32 v24, v21
	v_min_u32_e32 v26, 32, v24
	v_subrev_u32_e32 v24, 28, v26
	v_lshlrev_b64 v[24:25], v24, v[16:17]
	v_lshrrev_b32_e32 v23, 3, v11
	v_sub_u32_e32 v16, 29, v26
	v_and_b32_e32 v24, 7, v24
	v_cmp_gt_u32_e32 vcc, 8, v11
	v_cndmask_b32_e32 v11, v23, v16, vcc
	v_cndmask_b32_e32 v16, v21, v24, vcc
	v_lshlrev_b32_e32 v10, 16, v10
	v_bfrev_b32_e32 v21, 60
	v_lshlrev_b32_e32 v16, 20, v16
	v_and_b32_e32 v10, 0x80000000, v10
	v_lshl_add_u32 v11, v11, 23, v21
	v_or3_b32 v10, v10, v11, v16
	v_lshrrev_b32_e32 v21, 16, v10
.LBB676_584:
	s_or_b64 exec, exec, s[8:9]
.LBB676_585:
	s_or_b64 exec, exec, s[6:7]
.LBB676_586:
	s_or_b64 exec, exec, s[0:1]
	s_movk_i32 s0, 0xff
	v_and_b32_sdwa v23, v13, s0 dst_sel:DWORD dst_unused:UNUSED_PAD src0_sel:WORD_1 src1_sel:DWORD
	v_lshrrev_b32_e32 v10, 16, v13
	v_cmp_ne_u16_e32 vcc, 0, v23
	v_mov_b32_e32 v11, 0
	v_mov_b32_e32 v16, 0
	s_and_saveexec_b64 s[0:1], vcc
	s_cbranch_execz .LBB676_592
; %bb.587:
	s_movk_i32 s3, 0x80
	v_cmp_ne_u16_e32 vcc, s3, v23
	v_mov_b32_e32 v16, 0xffff8000
	s_and_saveexec_b64 s[6:7], vcc
	s_cbranch_execz .LBB676_591
; %bb.588:
	v_bfe_u32 v23, v13, 16, 7
	s_movk_i32 s3, 0x7f
	v_cmp_ne_u32_e32 vcc, s3, v23
	v_mov_b32_e32 v16, 0x7f80
	s_and_saveexec_b64 s[8:9], vcc
	s_cbranch_execz .LBB676_590
; %bb.589:
	v_and_b32_e32 v16, 7, v10
	v_ffbh_u32_e32 v24, v16
	v_min_u32_e32 v27, 32, v24
	v_subrev_u32_e32 v24, 28, v27
	v_lshlrev_b64 v[24:25], v24, v[10:11]
	v_lshrrev_b32_e32 v26, 3, v23
	v_sub_u32_e32 v10, 29, v27
	v_and_b32_e32 v24, 7, v24
	v_cmp_gt_u32_e32 vcc, 8, v23
	v_mov_b32_e32 v23, 24
	v_cndmask_b32_e32 v10, v26, v10, vcc
	v_cndmask_b32_e32 v16, v16, v24, vcc
	v_lshlrev_b32_sdwa v23, v23, v13 dst_sel:DWORD dst_unused:UNUSED_PAD src0_sel:DWORD src1_sel:WORD_1
	v_bfrev_b32_e32 v24, 60
	v_lshlrev_b32_e32 v16, 20, v16
	v_and_b32_e32 v23, 0x80000000, v23
	v_lshl_add_u32 v10, v10, 23, v24
	v_or3_b32 v10, v23, v10, v16
	v_lshrrev_b32_e32 v16, 16, v10
.LBB676_590:
	s_or_b64 exec, exec, s[8:9]
.LBB676_591:
	s_or_b64 exec, exec, s[6:7]
.LBB676_592:
	s_or_b64 exec, exec, s[0:1]
	s_mov_b32 s0, -1
	s_mov_b32 s1, 0xffffff
	v_cmp_lt_u64_e32 vcc, s[0:1], v[12:13]
	s_and_saveexec_b64 s[0:1], vcc
	s_cbranch_execz .LBB676_598
; %bb.593:
	v_lshrrev_b32_e32 v10, 24, v13
	s_movk_i32 s3, 0x80
	v_cmp_ne_u32_e32 vcc, s3, v10
	v_mov_b32_e32 v11, 0xffff8000
	s_and_saveexec_b64 s[6:7], vcc
	s_cbranch_execz .LBB676_597
; %bb.594:
	v_bfe_u32 v12, v13, 24, 7
	s_movk_i32 s3, 0x7f
	v_cmp_ne_u32_e32 vcc, s3, v12
	v_mov_b32_e32 v11, 0x7f80
	s_and_saveexec_b64 s[8:9], vcc
	s_cbranch_execz .LBB676_596
; %bb.595:
	v_and_b32_e32 v11, 7, v10
	v_ffbh_u32_e32 v23, v11
	v_min_u32_e32 v23, 32, v23
	v_subrev_u32_e32 v24, 28, v23
	v_lshlrev_b64 v[24:25], v24, v[10:11]
	v_lshrrev_b32_e32 v13, 3, v12
	v_sub_u32_e32 v23, 29, v23
	v_and_b32_e32 v24, 7, v24
	v_cmp_gt_u32_e32 vcc, 8, v12
	v_cndmask_b32_e32 v12, v13, v23, vcc
	v_cndmask_b32_e32 v11, v11, v24, vcc
	v_lshlrev_b32_e32 v10, 24, v10
	v_bfrev_b32_e32 v13, 60
	v_lshlrev_b32_e32 v11, 20, v11
	v_and_b32_e32 v10, 0x80000000, v10
	v_lshl_add_u32 v12, v12, 23, v13
	v_or3_b32 v10, v10, v12, v11
	v_lshrrev_b32_e32 v11, 16, v10
.LBB676_596:
	s_or_b64 exec, exec, s[8:9]
.LBB676_597:
	s_or_b64 exec, exec, s[6:7]
.LBB676_598:
	s_or_b64 exec, exec, s[0:1]
	s_mov_b32 s0, 0x5040100
	v_perm_b32 v13, v20, v19, s0
	v_perm_b32 v12, v17, v18, s0
	;; [unrolled: 1-line block ×4, first 2 shown]
	v_mfma_f32_4x4x4bf16_1k a[0:3], v[14:15], v[12:13], a[0:3] cbsz:4 abid:6
	v_mov_b32_e32 v13, 0
	v_mfma_f32_4x4x4bf16_1k a[0:3], v[14:15], v[10:11], a[0:3] cbsz:4 abid:7
	s_waitcnt vmcnt(1)
	v_cmp_ne_u16_sdwa s[6:7], v6, v13 src0_sel:BYTE_0 src1_sel:DWORD
	v_mov_b32_e32 v16, 0
	s_and_saveexec_b64 s[0:1], s[6:7]
	s_cbranch_execz .LBB676_604
; %bb.599:
	s_movk_i32 s3, 0x80
	v_cmp_ne_u16_sdwa s[8:9], v6, s3 src0_sel:BYTE_0 src1_sel:DWORD
	v_mov_b32_e32 v16, 0xffff8000
	s_and_saveexec_b64 s[6:7], s[8:9]
	s_cbranch_execz .LBB676_603
; %bb.600:
	s_movk_i32 s3, 0x7f
	v_and_b32_e32 v10, 0x7f, v6
	v_cmp_ne_u32_e32 vcc, s3, v10
	v_mov_b32_e32 v16, 0x7f80
	s_and_saveexec_b64 s[8:9], vcc
	s_cbranch_execz .LBB676_602
; %bb.601:
	v_and_b32_e32 v11, 7, v6
	v_ffbh_u32_e32 v11, v11
	v_min_u32_e32 v11, 32, v11
	v_subrev_u32_e32 v16, 28, v11
	v_cmp_gt_u32_e32 vcc, 8, v10
	v_lshrrev_b32_e32 v12, 3, v10
	v_sub_u32_e32 v11, 29, v11
	v_cndmask_b32_e32 v10, 0, v16, vcc
	v_cndmask_b32_e32 v12, v12, v11, vcc
	v_lshlrev_b64 v[10:11], v10, v[6:7]
	v_lshlrev_b32_e32 v10, 20, v10
	v_lshlrev_b32_e32 v11, 24, v6
	v_bfrev_b32_e32 v16, 60
	v_and_b32_e32 v10, 0x700000, v10
	v_and_b32_e32 v11, 0x80000000, v11
	v_lshl_add_u32 v12, v12, 23, v16
	v_or3_b32 v10, v11, v12, v10
	v_lshrrev_b32_e32 v16, 16, v10
.LBB676_602:
	s_or_b64 exec, exec, s[8:9]
.LBB676_603:
	s_or_b64 exec, exec, s[6:7]
.LBB676_604:
	s_or_b64 exec, exec, s[0:1]
	v_lshrrev_b16_e32 v10, 8, v6
	v_cmp_ne_u16_e32 vcc, 0, v10
	s_and_saveexec_b64 s[0:1], vcc
	s_cbranch_execz .LBB676_610
; %bb.605:
	s_movk_i32 s3, 0x80
	v_cmp_ne_u16_e32 vcc, s3, v10
	v_mov_b32_e32 v13, 0xffff8000
	s_and_saveexec_b64 s[6:7], vcc
	s_cbranch_execz .LBB676_609
; %bb.606:
	s_movk_i32 s3, 0x7f
	v_and_b32_e32 v11, 0x7f, v10
	v_cmp_ne_u32_e32 vcc, s3, v11
	v_mov_b32_e32 v13, 0x7f80
	s_and_saveexec_b64 s[8:9], vcc
	s_cbranch_execz .LBB676_608
; %bb.607:
	v_and_b32_e32 v17, 7, v10
	v_ffbh_u32_e32 v12, v17
	v_min_u32_e32 v19, 32, v12
	v_subrev_u32_e32 v12, 28, v19
	v_lshlrev_b64 v[12:13], v12, v[10:11]
	v_lshrrev_b32_e32 v18, 3, v11
	v_sub_u32_e32 v10, 29, v19
	v_and_b32_e32 v12, 7, v12
	v_cmp_gt_u32_e32 vcc, 8, v11
	v_cndmask_b32_e32 v10, v18, v10, vcc
	v_cndmask_b32_e32 v11, v17, v12, vcc
	v_lshlrev_b32_e32 v12, 16, v6
	v_bfrev_b32_e32 v13, 60
	v_lshlrev_b32_e32 v11, 20, v11
	v_and_b32_e32 v12, 0x80000000, v12
	v_lshl_add_u32 v10, v10, 23, v13
	v_or3_b32 v10, v12, v10, v11
	v_lshrrev_b32_e32 v13, 16, v10
.LBB676_608:
	s_or_b64 exec, exec, s[8:9]
.LBB676_609:
	s_or_b64 exec, exec, s[6:7]
.LBB676_610:
	s_or_b64 exec, exec, s[0:1]
	s_movk_i32 s0, 0xff
	v_and_b32_sdwa v12, v6, s0 dst_sel:DWORD dst_unused:UNUSED_PAD src0_sel:WORD_1 src1_sel:DWORD
	v_lshrrev_b32_e32 v10, 16, v6
	v_cmp_ne_u16_e32 vcc, 0, v12
	v_mov_b32_e32 v11, 0
	v_mov_b32_e32 v17, 0
	s_and_saveexec_b64 s[0:1], vcc
	s_cbranch_execz .LBB676_616
; %bb.611:
	s_movk_i32 s3, 0x80
	v_cmp_ne_u16_e32 vcc, s3, v12
	v_mov_b32_e32 v17, 0xffff8000
	s_and_saveexec_b64 s[6:7], vcc
	s_cbranch_execz .LBB676_615
; %bb.612:
	v_bfe_u32 v12, v6, 16, 7
	s_movk_i32 s3, 0x7f
	v_cmp_ne_u32_e32 vcc, s3, v12
	v_mov_b32_e32 v17, 0x7f80
	s_and_saveexec_b64 s[8:9], vcc
	s_cbranch_execz .LBB676_614
; %bb.613:
	v_and_b32_e32 v17, 7, v10
	v_ffbh_u32_e32 v18, v17
	v_min_u32_e32 v21, 32, v18
	v_subrev_u32_e32 v18, 28, v21
	v_lshlrev_b64 v[18:19], v18, v[10:11]
	v_and_b32_e32 v18, 7, v18
	v_cmp_gt_u32_e32 vcc, 8, v12
	v_lshrrev_b32_e32 v20, 3, v12
	v_sub_u32_e32 v10, 29, v21
	v_cndmask_b32_e32 v12, v17, v18, vcc
	v_mov_b32_e32 v17, 24
	v_cndmask_b32_e32 v10, v20, v10, vcc
	v_lshlrev_b32_sdwa v17, v17, v6 dst_sel:DWORD dst_unused:UNUSED_PAD src0_sel:DWORD src1_sel:WORD_1
	v_bfrev_b32_e32 v18, 60
	v_lshlrev_b32_e32 v12, 20, v12
	v_and_b32_e32 v17, 0x80000000, v17
	v_lshl_add_u32 v10, v10, 23, v18
	v_or3_b32 v10, v17, v10, v12
	v_lshrrev_b32_e32 v17, 16, v10
.LBB676_614:
	s_or_b64 exec, exec, s[8:9]
.LBB676_615:
	s_or_b64 exec, exec, s[6:7]
.LBB676_616:
	s_or_b64 exec, exec, s[0:1]
	s_mov_b32 s0, 0xffffff
	v_cmp_lt_u32_e32 vcc, s0, v6
	v_mov_b32_e32 v18, 0
	s_and_saveexec_b64 s[0:1], vcc
	s_cbranch_execz .LBB676_622
; %bb.617:
	v_lshrrev_b32_e32 v10, 24, v6
	s_movk_i32 s3, 0x80
	v_cmp_ne_u32_e32 vcc, s3, v10
	v_mov_b32_e32 v18, 0xffff8000
	s_and_saveexec_b64 s[6:7], vcc
	s_cbranch_execz .LBB676_621
; %bb.618:
	v_bfe_u32 v12, v6, 24, 7
	s_movk_i32 s3, 0x7f
	v_cmp_ne_u32_e32 vcc, s3, v12
	v_mov_b32_e32 v18, 0x7f80
	s_and_saveexec_b64 s[8:9], vcc
	s_cbranch_execz .LBB676_620
; %bb.619:
	v_and_b32_e32 v20, 7, v10
	v_ffbh_u32_e32 v18, v20
	v_min_u32_e32 v22, 32, v18
	v_subrev_u32_e32 v18, 28, v22
	v_lshlrev_b64 v[18:19], v18, v[10:11]
	v_lshrrev_b32_e32 v21, 3, v12
	v_sub_u32_e32 v19, 29, v22
	v_and_b32_e32 v18, 7, v18
	v_cmp_gt_u32_e32 vcc, 8, v12
	v_cndmask_b32_e32 v12, v21, v19, vcc
	v_cndmask_b32_e32 v18, v20, v18, vcc
	v_lshlrev_b32_e32 v10, 24, v10
	v_bfrev_b32_e32 v19, 60
	v_lshlrev_b32_e32 v18, 20, v18
	v_and_b32_e32 v10, 0x80000000, v10
	v_lshl_add_u32 v12, v12, 23, v19
	v_or3_b32 v10, v10, v12, v18
	v_lshrrev_b32_e32 v18, 16, v10
.LBB676_620:
	s_or_b64 exec, exec, s[8:9]
.LBB676_621:
	s_or_b64 exec, exec, s[6:7]
.LBB676_622:
	s_or_b64 exec, exec, s[0:1]
	v_mov_b32_e32 v19, 0
	v_mov_b32_e32 v10, v7
	v_cmp_ne_u16_sdwa s[6:7], v7, v19 src0_sel:BYTE_0 src1_sel:DWORD
	v_mov_b32_e32 v20, 0
	s_and_saveexec_b64 s[0:1], s[6:7]
	s_cbranch_execz .LBB676_628
; %bb.623:
	s_movk_i32 s3, 0x80
	v_cmp_ne_u16_sdwa s[8:9], v7, s3 src0_sel:BYTE_0 src1_sel:DWORD
	v_mov_b32_e32 v20, 0xffff8000
	s_and_saveexec_b64 s[6:7], s[8:9]
	s_cbranch_execz .LBB676_627
; %bb.624:
	s_movk_i32 s3, 0x7f
	v_and_b32_e32 v12, 0x7f, v7
	v_cmp_ne_u32_e32 vcc, s3, v12
	v_mov_b32_e32 v20, 0x7f80
	s_and_saveexec_b64 s[8:9], vcc
	s_cbranch_execz .LBB676_626
; %bb.625:
	v_and_b32_e32 v20, 7, v7
	v_ffbh_u32_e32 v20, v20
	v_min_u32_e32 v20, 32, v20
	v_lshrrev_b32_e32 v21, 3, v12
	v_subrev_u32_e32 v22, 28, v20
	v_sub_u32_e32 v20, 29, v20
	v_cmp_gt_u32_e32 vcc, 8, v12
	v_cndmask_b32_e32 v12, v21, v20, vcc
	v_cndmask_b32_e32 v20, 0, v22, vcc
	v_lshlrev_b64 v[20:21], v20, v[10:11]
	v_lshlrev_b32_e32 v11, 20, v20
	v_lshlrev_b32_e32 v20, 24, v10
	v_bfrev_b32_e32 v21, 60
	v_and_b32_e32 v11, 0x700000, v11
	v_and_b32_e32 v20, 0x80000000, v20
	v_lshl_add_u32 v12, v12, 23, v21
	v_or3_b32 v11, v20, v12, v11
	v_lshrrev_b32_e32 v20, 16, v11
.LBB676_626:
	s_or_b64 exec, exec, s[8:9]
.LBB676_627:
	s_or_b64 exec, exec, s[6:7]
.LBB676_628:
	s_or_b64 exec, exec, s[0:1]
	v_lshrrev_b16_e32 v12, 8, v10
	v_cmp_ne_u16_e32 vcc, 0, v12
	s_and_saveexec_b64 s[0:1], vcc
	s_cbranch_execz .LBB676_634
; %bb.629:
	s_movk_i32 s3, 0x80
	v_cmp_ne_u16_e32 vcc, s3, v12
	v_mov_b32_e32 v19, 0xffff8000
	s_and_saveexec_b64 s[6:7], vcc
	s_cbranch_execz .LBB676_633
; %bb.630:
	s_movk_i32 s3, 0x7f
	v_and_b32_e32 v11, 0x7f, v12
	v_cmp_ne_u32_e32 vcc, s3, v11
	v_mov_b32_e32 v19, 0x7f80
	s_and_saveexec_b64 s[8:9], vcc
	s_cbranch_execz .LBB676_632
; %bb.631:
	v_and_b32_e32 v19, 7, v12
	v_ffbh_u32_e32 v22, v19
	v_min_u32_e32 v24, 32, v22
	v_subrev_u32_e32 v22, 28, v24
	v_lshlrev_b64 v[22:23], v22, v[12:13]
	v_lshrrev_b32_e32 v21, 3, v11
	v_sub_u32_e32 v12, 29, v24
	v_and_b32_e32 v22, 7, v22
	v_cmp_gt_u32_e32 vcc, 8, v11
	v_cndmask_b32_e32 v11, v21, v12, vcc
	v_cndmask_b32_e32 v12, v19, v22, vcc
	v_lshlrev_b32_e32 v10, 16, v10
	v_bfrev_b32_e32 v19, 60
	v_lshlrev_b32_e32 v12, 20, v12
	v_and_b32_e32 v10, 0x80000000, v10
	v_lshl_add_u32 v11, v11, 23, v19
	v_or3_b32 v10, v10, v11, v12
	v_lshrrev_b32_e32 v19, 16, v10
.LBB676_632:
	s_or_b64 exec, exec, s[8:9]
.LBB676_633:
	s_or_b64 exec, exec, s[6:7]
.LBB676_634:
	s_or_b64 exec, exec, s[0:1]
	s_movk_i32 s0, 0xff
	v_and_b32_sdwa v21, v7, s0 dst_sel:DWORD dst_unused:UNUSED_PAD src0_sel:WORD_1 src1_sel:DWORD
	v_lshrrev_b32_e32 v10, 16, v7
	v_cmp_ne_u16_e32 vcc, 0, v21
	v_mov_b32_e32 v11, 0
	v_mov_b32_e32 v12, 0
	s_and_saveexec_b64 s[0:1], vcc
	s_cbranch_execz .LBB676_640
; %bb.635:
	s_movk_i32 s3, 0x80
	v_cmp_ne_u16_e32 vcc, s3, v21
	v_mov_b32_e32 v12, 0xffff8000
	s_and_saveexec_b64 s[6:7], vcc
	s_cbranch_execz .LBB676_639
; %bb.636:
	v_bfe_u32 v21, v7, 16, 7
	s_movk_i32 s3, 0x7f
	v_cmp_ne_u32_e32 vcc, s3, v21
	v_mov_b32_e32 v12, 0x7f80
	s_and_saveexec_b64 s[8:9], vcc
	s_cbranch_execz .LBB676_638
; %bb.637:
	v_and_b32_e32 v12, 7, v10
	v_ffbh_u32_e32 v22, v12
	v_min_u32_e32 v25, 32, v22
	v_subrev_u32_e32 v22, 28, v25
	v_lshlrev_b64 v[22:23], v22, v[10:11]
	v_lshrrev_b32_e32 v24, 3, v21
	v_sub_u32_e32 v10, 29, v25
	v_and_b32_e32 v22, 7, v22
	v_cmp_gt_u32_e32 vcc, 8, v21
	v_mov_b32_e32 v21, 24
	v_cndmask_b32_e32 v10, v24, v10, vcc
	v_cndmask_b32_e32 v12, v12, v22, vcc
	v_lshlrev_b32_sdwa v21, v21, v7 dst_sel:DWORD dst_unused:UNUSED_PAD src0_sel:DWORD src1_sel:WORD_1
	v_bfrev_b32_e32 v22, 60
	v_lshlrev_b32_e32 v12, 20, v12
	v_and_b32_e32 v21, 0x80000000, v21
	v_lshl_add_u32 v10, v10, 23, v22
	v_or3_b32 v10, v21, v10, v12
	v_lshrrev_b32_e32 v12, 16, v10
.LBB676_638:
	s_or_b64 exec, exec, s[8:9]
.LBB676_639:
	s_or_b64 exec, exec, s[6:7]
.LBB676_640:
	s_or_b64 exec, exec, s[0:1]
	s_mov_b32 s0, -1
	s_mov_b32 s1, 0xffffff
	v_cmp_lt_u64_e32 vcc, s[0:1], v[6:7]
	s_and_saveexec_b64 s[0:1], vcc
	s_cbranch_execz .LBB676_646
; %bb.641:
	v_lshrrev_b32_e32 v6, 24, v7
	s_movk_i32 s3, 0x80
	v_cmp_ne_u32_e32 vcc, s3, v6
	v_mov_b32_e32 v11, 0xffff8000
	s_and_saveexec_b64 s[6:7], vcc
	s_cbranch_execz .LBB676_645
; %bb.642:
	v_bfe_u32 v7, v7, 24, 7
	s_movk_i32 s3, 0x7f
	v_cmp_ne_u32_e32 vcc, s3, v7
	v_mov_b32_e32 v11, 0x7f80
	s_and_saveexec_b64 s[8:9], vcc
	s_cbranch_execz .LBB676_644
; %bb.643:
	v_and_b32_e32 v21, 7, v6
	v_ffbh_u32_e32 v10, v21
	v_min_u32_e32 v23, 32, v10
	v_subrev_u32_e32 v10, 28, v23
	v_lshlrev_b64 v[10:11], v10, v[6:7]
	v_lshrrev_b32_e32 v22, 3, v7
	v_sub_u32_e32 v11, 29, v23
	v_and_b32_e32 v10, 7, v10
	v_cmp_gt_u32_e32 vcc, 8, v7
	v_cndmask_b32_e32 v7, v22, v11, vcc
	v_cndmask_b32_e32 v10, v21, v10, vcc
	v_lshlrev_b32_e32 v6, 24, v6
	v_bfrev_b32_e32 v11, 60
	v_lshlrev_b32_e32 v10, 20, v10
	v_and_b32_e32 v6, 0x80000000, v6
	v_lshl_add_u32 v7, v7, 23, v11
	v_or3_b32 v6, v6, v7, v10
	v_lshrrev_b32_e32 v11, 16, v6
.LBB676_644:
	s_or_b64 exec, exec, s[8:9]
.LBB676_645:
	s_or_b64 exec, exec, s[6:7]
.LBB676_646:
	s_or_b64 exec, exec, s[0:1]
	s_mov_b32 s0, 0x5040100
	v_perm_b32 v7, v18, v17, s0
	v_perm_b32 v6, v13, v16, s0
	;; [unrolled: 1-line block ×4, first 2 shown]
	v_mfma_f32_4x4x4bf16_1k a[0:3], v[14:15], v[6:7], a[0:3] cbsz:4 abid:8
	v_mov_b32_e32 v12, 0
	v_mfma_f32_4x4x4bf16_1k a[0:3], v[14:15], v[10:11], a[0:3] cbsz:4 abid:9
	v_mov_b32_e32 v11, 0
	v_cmp_ne_u16_sdwa s[6:7], v8, v11 src0_sel:BYTE_0 src1_sel:DWORD
	s_and_saveexec_b64 s[0:1], s[6:7]
	s_cbranch_execz .LBB676_652
; %bb.647:
	s_movk_i32 s3, 0x80
	v_cmp_ne_u16_sdwa s[8:9], v8, s3 src0_sel:BYTE_0 src1_sel:DWORD
	v_mov_b32_e32 v12, 0xffff8000
	s_and_saveexec_b64 s[6:7], s[8:9]
	s_cbranch_execz .LBB676_651
; %bb.648:
	s_movk_i32 s3, 0x7f
	v_and_b32_e32 v6, 0x7f, v8
	v_cmp_ne_u32_e32 vcc, s3, v6
	v_mov_b32_e32 v12, 0x7f80
	s_and_saveexec_b64 s[8:9], vcc
	s_cbranch_execz .LBB676_650
; %bb.649:
	v_and_b32_e32 v7, 7, v8
	v_ffbh_u32_e32 v7, v7
	v_min_u32_e32 v7, 32, v7
	v_subrev_u32_e32 v12, 28, v7
	v_cmp_gt_u32_e32 vcc, 8, v6
	v_lshrrev_b32_e32 v10, 3, v6
	v_sub_u32_e32 v7, 29, v7
	v_cndmask_b32_e32 v6, 0, v12, vcc
	v_cndmask_b32_e32 v10, v10, v7, vcc
	v_lshlrev_b64 v[6:7], v6, v[8:9]
	v_lshlrev_b32_e32 v6, 20, v6
	v_lshlrev_b32_e32 v7, 24, v8
	v_bfrev_b32_e32 v12, 60
	v_and_b32_e32 v6, 0x700000, v6
	v_and_b32_e32 v7, 0x80000000, v7
	v_lshl_add_u32 v10, v10, 23, v12
	v_or3_b32 v6, v7, v10, v6
	v_lshrrev_b32_e32 v12, 16, v6
.LBB676_650:
	s_or_b64 exec, exec, s[8:9]
.LBB676_651:
	s_or_b64 exec, exec, s[6:7]
.LBB676_652:
	s_or_b64 exec, exec, s[0:1]
	v_lshrrev_b16_e32 v6, 8, v8
	v_cmp_ne_u16_e32 vcc, 0, v6
	s_and_saveexec_b64 s[0:1], vcc
	s_cbranch_execz .LBB676_658
; %bb.653:
	s_movk_i32 s3, 0x80
	v_cmp_ne_u16_e32 vcc, s3, v6
	v_mov_b32_e32 v11, 0xffff8000
	s_and_saveexec_b64 s[6:7], vcc
	s_cbranch_execz .LBB676_657
; %bb.654:
	s_movk_i32 s3, 0x7f
	v_and_b32_e32 v7, 0x7f, v6
	v_cmp_ne_u32_e32 vcc, s3, v7
	v_mov_b32_e32 v11, 0x7f80
	s_and_saveexec_b64 s[8:9], vcc
	s_cbranch_execz .LBB676_656
; %bb.655:
	v_and_b32_e32 v13, 7, v6
	v_ffbh_u32_e32 v10, v13
	v_min_u32_e32 v17, 32, v10
	v_subrev_u32_e32 v10, 28, v17
	v_lshlrev_b64 v[10:11], v10, v[6:7]
	v_lshrrev_b32_e32 v16, 3, v7
	v_sub_u32_e32 v6, 29, v17
	v_and_b32_e32 v10, 7, v10
	v_cmp_gt_u32_e32 vcc, 8, v7
	v_cndmask_b32_e32 v6, v16, v6, vcc
	v_cndmask_b32_e32 v7, v13, v10, vcc
	v_lshlrev_b32_e32 v10, 16, v8
	v_bfrev_b32_e32 v11, 60
	v_lshlrev_b32_e32 v7, 20, v7
	v_and_b32_e32 v10, 0x80000000, v10
	v_lshl_add_u32 v6, v6, 23, v11
	v_or3_b32 v6, v10, v6, v7
	v_lshrrev_b32_e32 v11, 16, v6
.LBB676_656:
	s_or_b64 exec, exec, s[8:9]
.LBB676_657:
	s_or_b64 exec, exec, s[6:7]
.LBB676_658:
	s_or_b64 exec, exec, s[0:1]
	s_movk_i32 s0, 0xff
	v_and_b32_sdwa v10, v8, s0 dst_sel:DWORD dst_unused:UNUSED_PAD src0_sel:WORD_1 src1_sel:DWORD
	v_lshrrev_b32_e32 v6, 16, v8
	v_cmp_ne_u16_e32 vcc, 0, v10
	v_mov_b32_e32 v7, 0
	v_mov_b32_e32 v13, 0
	s_and_saveexec_b64 s[0:1], vcc
	s_cbranch_execz .LBB676_664
; %bb.659:
	s_movk_i32 s3, 0x80
	v_cmp_ne_u16_e32 vcc, s3, v10
	v_mov_b32_e32 v13, 0xffff8000
	s_and_saveexec_b64 s[6:7], vcc
	s_cbranch_execz .LBB676_663
; %bb.660:
	v_bfe_u32 v10, v8, 16, 7
	s_movk_i32 s3, 0x7f
	v_cmp_ne_u32_e32 vcc, s3, v10
	v_mov_b32_e32 v13, 0x7f80
	s_and_saveexec_b64 s[8:9], vcc
	s_cbranch_execz .LBB676_662
; %bb.661:
	v_and_b32_e32 v13, 7, v6
	v_ffbh_u32_e32 v16, v13
	v_min_u32_e32 v19, 32, v16
	v_subrev_u32_e32 v16, 28, v19
	v_lshlrev_b64 v[16:17], v16, v[6:7]
	v_and_b32_e32 v16, 7, v16
	v_cmp_gt_u32_e32 vcc, 8, v10
	v_lshrrev_b32_e32 v18, 3, v10
	v_sub_u32_e32 v6, 29, v19
	v_cndmask_b32_e32 v10, v13, v16, vcc
	v_mov_b32_e32 v13, 24
	v_cndmask_b32_e32 v6, v18, v6, vcc
	v_lshlrev_b32_sdwa v13, v13, v8 dst_sel:DWORD dst_unused:UNUSED_PAD src0_sel:DWORD src1_sel:WORD_1
	v_bfrev_b32_e32 v16, 60
	v_lshlrev_b32_e32 v10, 20, v10
	v_and_b32_e32 v13, 0x80000000, v13
	v_lshl_add_u32 v6, v6, 23, v16
	v_or3_b32 v6, v13, v6, v10
	v_lshrrev_b32_e32 v13, 16, v6
.LBB676_662:
	s_or_b64 exec, exec, s[8:9]
.LBB676_663:
	s_or_b64 exec, exec, s[6:7]
.LBB676_664:
	s_or_b64 exec, exec, s[0:1]
	s_mov_b32 s0, 0xffffff
	v_cmp_lt_u32_e32 vcc, s0, v8
	v_mov_b32_e32 v16, 0
	s_and_saveexec_b64 s[0:1], vcc
	s_cbranch_execz .LBB676_670
; %bb.665:
	v_lshrrev_b32_e32 v6, 24, v8
	s_movk_i32 s3, 0x80
	v_cmp_ne_u32_e32 vcc, s3, v6
	v_mov_b32_e32 v16, 0xffff8000
	s_and_saveexec_b64 s[6:7], vcc
	s_cbranch_execz .LBB676_669
; %bb.666:
	v_bfe_u32 v10, v8, 24, 7
	s_movk_i32 s3, 0x7f
	v_cmp_ne_u32_e32 vcc, s3, v10
	v_mov_b32_e32 v16, 0x7f80
	s_and_saveexec_b64 s[8:9], vcc
	s_cbranch_execz .LBB676_668
; %bb.667:
	v_and_b32_e32 v18, 7, v6
	v_ffbh_u32_e32 v16, v18
	v_min_u32_e32 v20, 32, v16
	v_subrev_u32_e32 v16, 28, v20
	v_lshlrev_b64 v[16:17], v16, v[6:7]
	v_lshrrev_b32_e32 v19, 3, v10
	v_sub_u32_e32 v17, 29, v20
	v_and_b32_e32 v16, 7, v16
	v_cmp_gt_u32_e32 vcc, 8, v10
	v_cndmask_b32_e32 v10, v19, v17, vcc
	v_cndmask_b32_e32 v16, v18, v16, vcc
	v_lshlrev_b32_e32 v6, 24, v6
	v_bfrev_b32_e32 v17, 60
	v_lshlrev_b32_e32 v16, 20, v16
	v_and_b32_e32 v6, 0x80000000, v6
	v_lshl_add_u32 v10, v10, 23, v17
	v_or3_b32 v6, v6, v10, v16
	v_lshrrev_b32_e32 v16, 16, v6
.LBB676_668:
	s_or_b64 exec, exec, s[8:9]
.LBB676_669:
	s_or_b64 exec, exec, s[6:7]
.LBB676_670:
	s_or_b64 exec, exec, s[0:1]
	v_mov_b32_e32 v17, 0
	v_mov_b32_e32 v6, v9
	v_cmp_ne_u16_sdwa s[6:7], v9, v17 src0_sel:BYTE_0 src1_sel:DWORD
	v_mov_b32_e32 v18, 0
	s_and_saveexec_b64 s[0:1], s[6:7]
	s_cbranch_execz .LBB676_676
; %bb.671:
	s_movk_i32 s3, 0x80
	v_cmp_ne_u16_sdwa s[8:9], v9, s3 src0_sel:BYTE_0 src1_sel:DWORD
	v_mov_b32_e32 v18, 0xffff8000
	s_and_saveexec_b64 s[6:7], s[8:9]
	s_cbranch_execz .LBB676_675
; %bb.672:
	s_movk_i32 s3, 0x7f
	v_and_b32_e32 v10, 0x7f, v9
	v_cmp_ne_u32_e32 vcc, s3, v10
	v_mov_b32_e32 v18, 0x7f80
	s_and_saveexec_b64 s[8:9], vcc
	s_cbranch_execz .LBB676_674
; %bb.673:
	v_and_b32_e32 v18, 7, v9
	v_ffbh_u32_e32 v18, v18
	v_min_u32_e32 v18, 32, v18
	v_lshrrev_b32_e32 v19, 3, v10
	v_subrev_u32_e32 v20, 28, v18
	v_sub_u32_e32 v18, 29, v18
	v_cmp_gt_u32_e32 vcc, 8, v10
	v_cndmask_b32_e32 v10, v19, v18, vcc
	v_cndmask_b32_e32 v18, 0, v20, vcc
	v_lshlrev_b64 v[18:19], v18, v[6:7]
	v_lshlrev_b32_e32 v7, 20, v18
	v_lshlrev_b32_e32 v18, 24, v6
	v_bfrev_b32_e32 v19, 60
	v_and_b32_e32 v7, 0x700000, v7
	v_and_b32_e32 v18, 0x80000000, v18
	v_lshl_add_u32 v10, v10, 23, v19
	v_or3_b32 v7, v18, v10, v7
	v_lshrrev_b32_e32 v18, 16, v7
.LBB676_674:
	s_or_b64 exec, exec, s[8:9]
.LBB676_675:
	s_or_b64 exec, exec, s[6:7]
.LBB676_676:
	s_or_b64 exec, exec, s[0:1]
	v_lshrrev_b16_e32 v10, 8, v6
	v_cmp_ne_u16_e32 vcc, 0, v10
	s_and_saveexec_b64 s[0:1], vcc
	s_cbranch_execz .LBB676_682
; %bb.677:
	s_movk_i32 s3, 0x80
	v_cmp_ne_u16_e32 vcc, s3, v10
	v_mov_b32_e32 v17, 0xffff8000
	s_and_saveexec_b64 s[6:7], vcc
	s_cbranch_execz .LBB676_681
; %bb.678:
	s_movk_i32 s3, 0x7f
	v_and_b32_e32 v7, 0x7f, v10
	v_cmp_ne_u32_e32 vcc, s3, v7
	v_mov_b32_e32 v17, 0x7f80
	s_and_saveexec_b64 s[8:9], vcc
	s_cbranch_execz .LBB676_680
; %bb.679:
	v_and_b32_e32 v17, 7, v10
	v_ffbh_u32_e32 v20, v17
	v_min_u32_e32 v22, 32, v20
	v_subrev_u32_e32 v20, 28, v22
	v_lshlrev_b64 v[20:21], v20, v[10:11]
	v_lshrrev_b32_e32 v19, 3, v7
	v_sub_u32_e32 v10, 29, v22
	v_and_b32_e32 v20, 7, v20
	v_cmp_gt_u32_e32 vcc, 8, v7
	v_cndmask_b32_e32 v7, v19, v10, vcc
	v_cndmask_b32_e32 v10, v17, v20, vcc
	v_lshlrev_b32_e32 v6, 16, v6
	v_bfrev_b32_e32 v17, 60
	v_lshlrev_b32_e32 v10, 20, v10
	v_and_b32_e32 v6, 0x80000000, v6
	v_lshl_add_u32 v7, v7, 23, v17
	v_or3_b32 v6, v6, v7, v10
	v_lshrrev_b32_e32 v17, 16, v6
.LBB676_680:
	s_or_b64 exec, exec, s[8:9]
.LBB676_681:
	s_or_b64 exec, exec, s[6:7]
.LBB676_682:
	s_or_b64 exec, exec, s[0:1]
	s_movk_i32 s0, 0xff
	v_and_b32_sdwa v19, v9, s0 dst_sel:DWORD dst_unused:UNUSED_PAD src0_sel:WORD_1 src1_sel:DWORD
	v_lshrrev_b32_e32 v6, 16, v9
	v_cmp_ne_u16_e32 vcc, 0, v19
	v_mov_b32_e32 v7, 0
	v_mov_b32_e32 v10, 0
	s_and_saveexec_b64 s[0:1], vcc
	s_cbranch_execz .LBB676_688
; %bb.683:
	s_movk_i32 s3, 0x80
	v_cmp_ne_u16_e32 vcc, s3, v19
	v_mov_b32_e32 v10, 0xffff8000
	s_and_saveexec_b64 s[6:7], vcc
	s_cbranch_execz .LBB676_687
; %bb.684:
	v_bfe_u32 v19, v9, 16, 7
	s_movk_i32 s3, 0x7f
	v_cmp_ne_u32_e32 vcc, s3, v19
	v_mov_b32_e32 v10, 0x7f80
	s_and_saveexec_b64 s[8:9], vcc
	s_cbranch_execz .LBB676_686
; %bb.685:
	v_and_b32_e32 v10, 7, v6
	v_ffbh_u32_e32 v20, v10
	v_min_u32_e32 v23, 32, v20
	v_subrev_u32_e32 v20, 28, v23
	v_lshlrev_b64 v[20:21], v20, v[6:7]
	v_lshrrev_b32_e32 v22, 3, v19
	v_sub_u32_e32 v6, 29, v23
	v_and_b32_e32 v20, 7, v20
	v_cmp_gt_u32_e32 vcc, 8, v19
	v_mov_b32_e32 v19, 24
	v_cndmask_b32_e32 v6, v22, v6, vcc
	v_cndmask_b32_e32 v10, v10, v20, vcc
	v_lshlrev_b32_sdwa v19, v19, v9 dst_sel:DWORD dst_unused:UNUSED_PAD src0_sel:DWORD src1_sel:WORD_1
	v_bfrev_b32_e32 v20, 60
	v_lshlrev_b32_e32 v10, 20, v10
	v_and_b32_e32 v19, 0x80000000, v19
	v_lshl_add_u32 v6, v6, 23, v20
	v_or3_b32 v6, v19, v6, v10
	v_lshrrev_b32_e32 v10, 16, v6
.LBB676_686:
	s_or_b64 exec, exec, s[8:9]
.LBB676_687:
	s_or_b64 exec, exec, s[6:7]
.LBB676_688:
	s_or_b64 exec, exec, s[0:1]
	s_mov_b32 s0, -1
	s_mov_b32 s1, 0xffffff
	v_cmp_lt_u64_e32 vcc, s[0:1], v[8:9]
	s_and_saveexec_b64 s[0:1], vcc
	s_cbranch_execz .LBB676_694
; %bb.689:
	v_lshrrev_b32_e32 v6, 24, v9
	s_movk_i32 s3, 0x80
	v_cmp_ne_u32_e32 vcc, s3, v6
	v_mov_b32_e32 v7, 0xffff8000
	s_and_saveexec_b64 s[6:7], vcc
	s_cbranch_execz .LBB676_693
; %bb.690:
	v_bfe_u32 v8, v9, 24, 7
	s_movk_i32 s3, 0x7f
	v_cmp_ne_u32_e32 vcc, s3, v8
	v_mov_b32_e32 v7, 0x7f80
	s_and_saveexec_b64 s[8:9], vcc
	s_cbranch_execz .LBB676_692
; %bb.691:
	v_and_b32_e32 v7, 7, v6
	v_ffbh_u32_e32 v19, v7
	v_min_u32_e32 v19, 32, v19
	v_subrev_u32_e32 v20, 28, v19
	v_lshlrev_b64 v[20:21], v20, v[6:7]
	v_lshrrev_b32_e32 v9, 3, v8
	v_sub_u32_e32 v19, 29, v19
	v_and_b32_e32 v20, 7, v20
	v_cmp_gt_u32_e32 vcc, 8, v8
	v_cndmask_b32_e32 v8, v9, v19, vcc
	v_cndmask_b32_e32 v7, v7, v20, vcc
	v_lshlrev_b32_e32 v6, 24, v6
	v_bfrev_b32_e32 v9, 60
	v_lshlrev_b32_e32 v7, 20, v7
	v_and_b32_e32 v6, 0x80000000, v6
	v_lshl_add_u32 v8, v8, 23, v9
	v_or3_b32 v6, v6, v8, v7
	v_lshrrev_b32_e32 v7, 16, v6
.LBB676_692:
	s_or_b64 exec, exec, s[8:9]
.LBB676_693:
	s_or_b64 exec, exec, s[6:7]
.LBB676_694:
	s_or_b64 exec, exec, s[0:1]
	s_mov_b32 s0, 0x5040100
	v_perm_b32 v9, v16, v13, s0
	v_perm_b32 v8, v11, v12, s0
	v_perm_b32 v7, v7, v10, s0
	v_perm_b32 v6, v17, v18, s0
	v_mfma_f32_4x4x4bf16_1k a[0:3], v[14:15], v[8:9], a[0:3] cbsz:4 abid:10
	v_mov_b32_e32 v9, 0
	v_mfma_f32_4x4x4bf16_1k a[0:3], v[14:15], v[6:7], a[0:3] cbsz:4 abid:11
	s_waitcnt vmcnt(0)
	v_cmp_ne_u16_sdwa s[6:7], v2, v9 src0_sel:BYTE_0 src1_sel:DWORD
	v_mov_b32_e32 v10, 0
	s_and_saveexec_b64 s[0:1], s[6:7]
	s_cbranch_execz .LBB676_700
; %bb.695:
	s_movk_i32 s3, 0x80
	v_cmp_ne_u16_sdwa s[8:9], v2, s3 src0_sel:BYTE_0 src1_sel:DWORD
	v_mov_b32_e32 v10, 0xffff8000
	s_and_saveexec_b64 s[6:7], s[8:9]
	s_cbranch_execz .LBB676_699
; %bb.696:
	s_movk_i32 s3, 0x7f
	v_and_b32_e32 v6, 0x7f, v2
	v_cmp_ne_u32_e32 vcc, s3, v6
	v_mov_b32_e32 v10, 0x7f80
	s_and_saveexec_b64 s[8:9], vcc
	s_cbranch_execz .LBB676_698
; %bb.697:
	v_and_b32_e32 v7, 7, v2
	v_ffbh_u32_e32 v7, v7
	v_min_u32_e32 v7, 32, v7
	v_subrev_u32_e32 v10, 28, v7
	v_cmp_gt_u32_e32 vcc, 8, v6
	v_lshrrev_b32_e32 v8, 3, v6
	v_sub_u32_e32 v7, 29, v7
	v_cndmask_b32_e32 v6, 0, v10, vcc
	v_cndmask_b32_e32 v8, v8, v7, vcc
	v_lshlrev_b64 v[6:7], v6, v[2:3]
	v_lshlrev_b32_e32 v6, 20, v6
	v_lshlrev_b32_e32 v7, 24, v2
	v_bfrev_b32_e32 v10, 60
	v_and_b32_e32 v6, 0x700000, v6
	v_and_b32_e32 v7, 0x80000000, v7
	v_lshl_add_u32 v8, v8, 23, v10
	v_or3_b32 v6, v7, v8, v6
	v_lshrrev_b32_e32 v10, 16, v6
.LBB676_698:
	s_or_b64 exec, exec, s[8:9]
.LBB676_699:
	s_or_b64 exec, exec, s[6:7]
.LBB676_700:
	s_or_b64 exec, exec, s[0:1]
	v_lshrrev_b16_e32 v6, 8, v2
	v_cmp_ne_u16_e32 vcc, 0, v6
	s_and_saveexec_b64 s[0:1], vcc
	s_cbranch_execz .LBB676_706
; %bb.701:
	s_movk_i32 s3, 0x80
	v_cmp_ne_u16_e32 vcc, s3, v6
	v_mov_b32_e32 v9, 0xffff8000
	s_and_saveexec_b64 s[6:7], vcc
	s_cbranch_execz .LBB676_705
; %bb.702:
	s_movk_i32 s3, 0x7f
	v_and_b32_e32 v7, 0x7f, v6
	v_cmp_ne_u32_e32 vcc, s3, v7
	v_mov_b32_e32 v9, 0x7f80
	s_and_saveexec_b64 s[8:9], vcc
	s_cbranch_execz .LBB676_704
; %bb.703:
	v_and_b32_e32 v11, 7, v6
	v_ffbh_u32_e32 v8, v11
	v_min_u32_e32 v13, 32, v8
	v_subrev_u32_e32 v8, 28, v13
	v_lshlrev_b64 v[8:9], v8, v[6:7]
	v_lshrrev_b32_e32 v12, 3, v7
	v_sub_u32_e32 v6, 29, v13
	v_and_b32_e32 v8, 7, v8
	v_cmp_gt_u32_e32 vcc, 8, v7
	v_cndmask_b32_e32 v6, v12, v6, vcc
	v_cndmask_b32_e32 v7, v11, v8, vcc
	v_lshlrev_b32_e32 v8, 16, v2
	v_bfrev_b32_e32 v9, 60
	v_lshlrev_b32_e32 v7, 20, v7
	v_and_b32_e32 v8, 0x80000000, v8
	v_lshl_add_u32 v6, v6, 23, v9
	v_or3_b32 v6, v8, v6, v7
	v_lshrrev_b32_e32 v9, 16, v6
.LBB676_704:
	s_or_b64 exec, exec, s[8:9]
.LBB676_705:
	s_or_b64 exec, exec, s[6:7]
.LBB676_706:
	s_or_b64 exec, exec, s[0:1]
	s_movk_i32 s0, 0xff
	v_and_b32_sdwa v8, v2, s0 dst_sel:DWORD dst_unused:UNUSED_PAD src0_sel:WORD_1 src1_sel:DWORD
	v_lshrrev_b32_e32 v6, 16, v2
	v_cmp_ne_u16_e32 vcc, 0, v8
	v_mov_b32_e32 v7, 0
	v_mov_b32_e32 v11, 0
	s_and_saveexec_b64 s[0:1], vcc
	s_cbranch_execz .LBB676_712
; %bb.707:
	s_movk_i32 s3, 0x80
	v_cmp_ne_u16_e32 vcc, s3, v8
	v_mov_b32_e32 v11, 0xffff8000
	s_and_saveexec_b64 s[6:7], vcc
	s_cbranch_execz .LBB676_711
; %bb.708:
	v_bfe_u32 v8, v2, 16, 7
	s_movk_i32 s3, 0x7f
	v_cmp_ne_u32_e32 vcc, s3, v8
	v_mov_b32_e32 v11, 0x7f80
	s_and_saveexec_b64 s[8:9], vcc
	s_cbranch_execz .LBB676_710
; %bb.709:
	v_and_b32_e32 v11, 7, v6
	v_ffbh_u32_e32 v12, v11
	v_min_u32_e32 v17, 32, v12
	v_subrev_u32_e32 v12, 28, v17
	v_lshlrev_b64 v[12:13], v12, v[6:7]
	v_and_b32_e32 v12, 7, v12
	v_cmp_gt_u32_e32 vcc, 8, v8
	v_lshrrev_b32_e32 v16, 3, v8
	v_sub_u32_e32 v6, 29, v17
	v_cndmask_b32_e32 v8, v11, v12, vcc
	v_mov_b32_e32 v11, 24
	v_cndmask_b32_e32 v6, v16, v6, vcc
	v_lshlrev_b32_sdwa v11, v11, v2 dst_sel:DWORD dst_unused:UNUSED_PAD src0_sel:DWORD src1_sel:WORD_1
	v_bfrev_b32_e32 v12, 60
	v_lshlrev_b32_e32 v8, 20, v8
	v_and_b32_e32 v11, 0x80000000, v11
	v_lshl_add_u32 v6, v6, 23, v12
	v_or3_b32 v6, v11, v6, v8
	v_lshrrev_b32_e32 v11, 16, v6
.LBB676_710:
	s_or_b64 exec, exec, s[8:9]
.LBB676_711:
	s_or_b64 exec, exec, s[6:7]
.LBB676_712:
	s_or_b64 exec, exec, s[0:1]
	s_mov_b32 s0, 0xffffff
	v_cmp_lt_u32_e32 vcc, s0, v2
	v_mov_b32_e32 v12, 0
	s_and_saveexec_b64 s[0:1], vcc
	s_cbranch_execz .LBB676_718
; %bb.713:
	v_lshrrev_b32_e32 v6, 24, v2
	s_movk_i32 s3, 0x80
	v_cmp_ne_u32_e32 vcc, s3, v6
	v_mov_b32_e32 v12, 0xffff8000
	s_and_saveexec_b64 s[6:7], vcc
	s_cbranch_execz .LBB676_717
; %bb.714:
	v_bfe_u32 v8, v2, 24, 7
	s_movk_i32 s3, 0x7f
	v_cmp_ne_u32_e32 vcc, s3, v8
	v_mov_b32_e32 v12, 0x7f80
	s_and_saveexec_b64 s[8:9], vcc
	s_cbranch_execz .LBB676_716
; %bb.715:
	v_and_b32_e32 v16, 7, v6
	v_ffbh_u32_e32 v12, v16
	v_min_u32_e32 v18, 32, v12
	v_subrev_u32_e32 v12, 28, v18
	v_lshlrev_b64 v[12:13], v12, v[6:7]
	v_lshrrev_b32_e32 v17, 3, v8
	v_sub_u32_e32 v13, 29, v18
	v_and_b32_e32 v12, 7, v12
	v_cmp_gt_u32_e32 vcc, 8, v8
	v_cndmask_b32_e32 v8, v17, v13, vcc
	v_cndmask_b32_e32 v12, v16, v12, vcc
	v_lshlrev_b32_e32 v6, 24, v6
	v_bfrev_b32_e32 v13, 60
	v_lshlrev_b32_e32 v12, 20, v12
	v_and_b32_e32 v6, 0x80000000, v6
	v_lshl_add_u32 v8, v8, 23, v13
	v_or3_b32 v6, v6, v8, v12
	v_lshrrev_b32_e32 v12, 16, v6
.LBB676_716:
	s_or_b64 exec, exec, s[8:9]
.LBB676_717:
	s_or_b64 exec, exec, s[6:7]
.LBB676_718:
	s_or_b64 exec, exec, s[0:1]
	v_mov_b32_e32 v13, 0
	v_mov_b32_e32 v6, v3
	v_cmp_ne_u16_sdwa s[6:7], v3, v13 src0_sel:BYTE_0 src1_sel:DWORD
	v_mov_b32_e32 v16, 0
	s_and_saveexec_b64 s[0:1], s[6:7]
	s_cbranch_execz .LBB676_724
; %bb.719:
	s_movk_i32 s3, 0x80
	v_cmp_ne_u16_sdwa s[8:9], v3, s3 src0_sel:BYTE_0 src1_sel:DWORD
	v_mov_b32_e32 v16, 0xffff8000
	s_and_saveexec_b64 s[6:7], s[8:9]
	s_cbranch_execz .LBB676_723
; %bb.720:
	s_movk_i32 s3, 0x7f
	v_and_b32_e32 v8, 0x7f, v3
	v_cmp_ne_u32_e32 vcc, s3, v8
	v_mov_b32_e32 v16, 0x7f80
	s_and_saveexec_b64 s[8:9], vcc
	s_cbranch_execz .LBB676_722
; %bb.721:
	v_and_b32_e32 v16, 7, v3
	v_ffbh_u32_e32 v16, v16
	v_min_u32_e32 v16, 32, v16
	v_lshrrev_b32_e32 v17, 3, v8
	v_subrev_u32_e32 v18, 28, v16
	v_sub_u32_e32 v16, 29, v16
	v_cmp_gt_u32_e32 vcc, 8, v8
	v_cndmask_b32_e32 v8, v17, v16, vcc
	v_cndmask_b32_e32 v16, 0, v18, vcc
	v_lshlrev_b64 v[16:17], v16, v[6:7]
	v_lshlrev_b32_e32 v7, 20, v16
	v_lshlrev_b32_e32 v16, 24, v6
	v_bfrev_b32_e32 v17, 60
	v_and_b32_e32 v7, 0x700000, v7
	v_and_b32_e32 v16, 0x80000000, v16
	v_lshl_add_u32 v8, v8, 23, v17
	v_or3_b32 v7, v16, v8, v7
	v_lshrrev_b32_e32 v16, 16, v7
.LBB676_722:
	s_or_b64 exec, exec, s[8:9]
.LBB676_723:
	s_or_b64 exec, exec, s[6:7]
.LBB676_724:
	s_or_b64 exec, exec, s[0:1]
	v_lshrrev_b16_e32 v8, 8, v6
	v_cmp_ne_u16_e32 vcc, 0, v8
	s_and_saveexec_b64 s[0:1], vcc
	s_cbranch_execz .LBB676_730
; %bb.725:
	s_movk_i32 s3, 0x80
	v_cmp_ne_u16_e32 vcc, s3, v8
	v_mov_b32_e32 v13, 0xffff8000
	s_and_saveexec_b64 s[6:7], vcc
	s_cbranch_execz .LBB676_729
; %bb.726:
	s_movk_i32 s3, 0x7f
	v_and_b32_e32 v7, 0x7f, v8
	v_cmp_ne_u32_e32 vcc, s3, v7
	v_mov_b32_e32 v13, 0x7f80
	s_and_saveexec_b64 s[8:9], vcc
	s_cbranch_execz .LBB676_728
; %bb.727:
	v_and_b32_e32 v13, 7, v8
	v_ffbh_u32_e32 v18, v13
	v_min_u32_e32 v20, 32, v18
	v_subrev_u32_e32 v18, 28, v20
	v_lshlrev_b64 v[18:19], v18, v[8:9]
	v_lshrrev_b32_e32 v17, 3, v7
	v_sub_u32_e32 v8, 29, v20
	v_and_b32_e32 v18, 7, v18
	v_cmp_gt_u32_e32 vcc, 8, v7
	v_cndmask_b32_e32 v7, v17, v8, vcc
	v_cndmask_b32_e32 v8, v13, v18, vcc
	v_lshlrev_b32_e32 v6, 16, v6
	v_bfrev_b32_e32 v13, 60
	v_lshlrev_b32_e32 v8, 20, v8
	v_and_b32_e32 v6, 0x80000000, v6
	v_lshl_add_u32 v7, v7, 23, v13
	v_or3_b32 v6, v6, v7, v8
	v_lshrrev_b32_e32 v13, 16, v6
.LBB676_728:
	s_or_b64 exec, exec, s[8:9]
.LBB676_729:
	s_or_b64 exec, exec, s[6:7]
.LBB676_730:
	s_or_b64 exec, exec, s[0:1]
	s_movk_i32 s0, 0xff
	v_and_b32_sdwa v17, v3, s0 dst_sel:DWORD dst_unused:UNUSED_PAD src0_sel:WORD_1 src1_sel:DWORD
	v_lshrrev_b32_e32 v6, 16, v3
	v_cmp_ne_u16_e32 vcc, 0, v17
	v_mov_b32_e32 v7, 0
	v_mov_b32_e32 v8, 0
	s_and_saveexec_b64 s[0:1], vcc
	s_cbranch_execz .LBB676_736
; %bb.731:
	s_movk_i32 s3, 0x80
	v_cmp_ne_u16_e32 vcc, s3, v17
	v_mov_b32_e32 v8, 0xffff8000
	s_and_saveexec_b64 s[6:7], vcc
	s_cbranch_execz .LBB676_735
; %bb.732:
	v_bfe_u32 v17, v3, 16, 7
	s_movk_i32 s3, 0x7f
	v_cmp_ne_u32_e32 vcc, s3, v17
	v_mov_b32_e32 v8, 0x7f80
	s_and_saveexec_b64 s[8:9], vcc
	s_cbranch_execz .LBB676_734
; %bb.733:
	v_and_b32_e32 v8, 7, v6
	v_ffbh_u32_e32 v18, v8
	v_min_u32_e32 v21, 32, v18
	v_subrev_u32_e32 v18, 28, v21
	v_lshlrev_b64 v[18:19], v18, v[6:7]
	v_lshrrev_b32_e32 v20, 3, v17
	v_sub_u32_e32 v6, 29, v21
	v_and_b32_e32 v18, 7, v18
	v_cmp_gt_u32_e32 vcc, 8, v17
	v_mov_b32_e32 v17, 24
	v_cndmask_b32_e32 v6, v20, v6, vcc
	v_cndmask_b32_e32 v8, v8, v18, vcc
	v_lshlrev_b32_sdwa v17, v17, v3 dst_sel:DWORD dst_unused:UNUSED_PAD src0_sel:DWORD src1_sel:WORD_1
	v_bfrev_b32_e32 v18, 60
	v_lshlrev_b32_e32 v8, 20, v8
	v_and_b32_e32 v17, 0x80000000, v17
	v_lshl_add_u32 v6, v6, 23, v18
	v_or3_b32 v6, v17, v6, v8
	v_lshrrev_b32_e32 v8, 16, v6
.LBB676_734:
	s_or_b64 exec, exec, s[8:9]
.LBB676_735:
	s_or_b64 exec, exec, s[6:7]
.LBB676_736:
	s_or_b64 exec, exec, s[0:1]
	s_mov_b32 s0, -1
	s_mov_b32 s1, 0xffffff
	v_cmp_lt_u64_e32 vcc, s[0:1], v[2:3]
	s_and_saveexec_b64 s[0:1], vcc
	s_cbranch_execz .LBB676_742
; %bb.737:
	v_lshrrev_b32_e32 v2, 24, v3
	s_movk_i32 s3, 0x80
	v_cmp_ne_u32_e32 vcc, s3, v2
	v_mov_b32_e32 v7, 0xffff8000
	s_and_saveexec_b64 s[6:7], vcc
	s_cbranch_execz .LBB676_741
; %bb.738:
	v_bfe_u32 v3, v3, 24, 7
	s_movk_i32 s3, 0x7f
	v_cmp_ne_u32_e32 vcc, s3, v3
	v_mov_b32_e32 v7, 0x7f80
	s_and_saveexec_b64 s[8:9], vcc
	s_cbranch_execz .LBB676_740
; %bb.739:
	v_and_b32_e32 v17, 7, v2
	v_ffbh_u32_e32 v6, v17
	v_min_u32_e32 v19, 32, v6
	v_subrev_u32_e32 v6, 28, v19
	v_lshlrev_b64 v[6:7], v6, v[2:3]
	v_lshrrev_b32_e32 v18, 3, v3
	v_sub_u32_e32 v7, 29, v19
	v_and_b32_e32 v6, 7, v6
	v_cmp_gt_u32_e32 vcc, 8, v3
	v_cndmask_b32_e32 v3, v18, v7, vcc
	v_cndmask_b32_e32 v6, v17, v6, vcc
	v_lshlrev_b32_e32 v2, 24, v2
	v_bfrev_b32_e32 v7, 60
	v_lshlrev_b32_e32 v6, 20, v6
	v_and_b32_e32 v2, 0x80000000, v2
	v_lshl_add_u32 v3, v3, 23, v7
	v_or3_b32 v2, v2, v3, v6
	v_lshrrev_b32_e32 v7, 16, v2
.LBB676_740:
	s_or_b64 exec, exec, s[8:9]
.LBB676_741:
	s_or_b64 exec, exec, s[6:7]
.LBB676_742:
	s_or_b64 exec, exec, s[0:1]
	s_mov_b32 s0, 0x5040100
	v_perm_b32 v3, v12, v11, s0
	v_perm_b32 v2, v9, v10, s0
	;; [unrolled: 1-line block ×4, first 2 shown]
	v_mfma_f32_4x4x4bf16_1k a[0:3], v[14:15], v[2:3], a[0:3] cbsz:4 abid:12
	v_mov_b32_e32 v8, 0
	v_mfma_f32_4x4x4bf16_1k a[0:3], v[14:15], v[6:7], a[0:3] cbsz:4 abid:13
	v_mov_b32_e32 v7, 0
	v_cmp_ne_u16_sdwa s[6:7], v4, v7 src0_sel:BYTE_0 src1_sel:DWORD
	s_and_saveexec_b64 s[0:1], s[6:7]
	s_cbranch_execz .LBB676_748
; %bb.743:
	s_movk_i32 s3, 0x80
	v_cmp_ne_u16_sdwa s[8:9], v4, s3 src0_sel:BYTE_0 src1_sel:DWORD
	v_mov_b32_e32 v8, 0xffff8000
	s_and_saveexec_b64 s[6:7], s[8:9]
	s_cbranch_execz .LBB676_747
; %bb.744:
	s_movk_i32 s3, 0x7f
	v_and_b32_e32 v2, 0x7f, v4
	v_cmp_ne_u32_e32 vcc, s3, v2
	v_mov_b32_e32 v8, 0x7f80
	s_and_saveexec_b64 s[8:9], vcc
	s_cbranch_execz .LBB676_746
; %bb.745:
	v_and_b32_e32 v3, 7, v4
	v_ffbh_u32_e32 v3, v3
	v_min_u32_e32 v3, 32, v3
	v_subrev_u32_e32 v8, 28, v3
	v_cmp_gt_u32_e32 vcc, 8, v2
	v_lshrrev_b32_e32 v6, 3, v2
	v_sub_u32_e32 v3, 29, v3
	v_cndmask_b32_e32 v2, 0, v8, vcc
	v_cndmask_b32_e32 v6, v6, v3, vcc
	v_lshlrev_b64 v[2:3], v2, v[4:5]
	v_lshlrev_b32_e32 v2, 20, v2
	v_lshlrev_b32_e32 v3, 24, v4
	v_bfrev_b32_e32 v8, 60
	v_and_b32_e32 v2, 0x700000, v2
	v_and_b32_e32 v3, 0x80000000, v3
	v_lshl_add_u32 v6, v6, 23, v8
	v_or3_b32 v2, v3, v6, v2
	v_lshrrev_b32_e32 v8, 16, v2
.LBB676_746:
	s_or_b64 exec, exec, s[8:9]
.LBB676_747:
	s_or_b64 exec, exec, s[6:7]
.LBB676_748:
	s_or_b64 exec, exec, s[0:1]
	v_lshrrev_b16_e32 v2, 8, v4
	v_cmp_ne_u16_e32 vcc, 0, v2
	s_and_saveexec_b64 s[0:1], vcc
	s_cbranch_execz .LBB676_754
; %bb.749:
	s_movk_i32 s3, 0x80
	v_cmp_ne_u16_e32 vcc, s3, v2
	v_mov_b32_e32 v7, 0xffff8000
	s_and_saveexec_b64 s[6:7], vcc
	s_cbranch_execz .LBB676_753
; %bb.750:
	s_movk_i32 s3, 0x7f
	v_and_b32_e32 v3, 0x7f, v2
	v_cmp_ne_u32_e32 vcc, s3, v3
	v_mov_b32_e32 v7, 0x7f80
	s_and_saveexec_b64 s[8:9], vcc
	s_cbranch_execz .LBB676_752
; %bb.751:
	v_and_b32_e32 v9, 7, v2
	v_ffbh_u32_e32 v6, v9
	v_min_u32_e32 v11, 32, v6
	v_subrev_u32_e32 v6, 28, v11
	v_lshlrev_b64 v[6:7], v6, v[2:3]
	v_lshrrev_b32_e32 v10, 3, v3
	v_sub_u32_e32 v2, 29, v11
	v_and_b32_e32 v6, 7, v6
	v_cmp_gt_u32_e32 vcc, 8, v3
	v_cndmask_b32_e32 v2, v10, v2, vcc
	v_cndmask_b32_e32 v3, v9, v6, vcc
	v_lshlrev_b32_e32 v6, 16, v4
	v_bfrev_b32_e32 v7, 60
	v_lshlrev_b32_e32 v3, 20, v3
	v_and_b32_e32 v6, 0x80000000, v6
	v_lshl_add_u32 v2, v2, 23, v7
	v_or3_b32 v2, v6, v2, v3
	v_lshrrev_b32_e32 v7, 16, v2
.LBB676_752:
	s_or_b64 exec, exec, s[8:9]
.LBB676_753:
	s_or_b64 exec, exec, s[6:7]
.LBB676_754:
	s_or_b64 exec, exec, s[0:1]
	s_movk_i32 s0, 0xff
	v_and_b32_sdwa v6, v4, s0 dst_sel:DWORD dst_unused:UNUSED_PAD src0_sel:WORD_1 src1_sel:DWORD
	v_lshrrev_b32_e32 v2, 16, v4
	v_cmp_ne_u16_e32 vcc, 0, v6
	v_mov_b32_e32 v3, 0
	v_mov_b32_e32 v9, 0
	s_and_saveexec_b64 s[0:1], vcc
	s_cbranch_execz .LBB676_760
; %bb.755:
	s_movk_i32 s3, 0x80
	v_cmp_ne_u16_e32 vcc, s3, v6
	v_mov_b32_e32 v9, 0xffff8000
	s_and_saveexec_b64 s[6:7], vcc
	s_cbranch_execz .LBB676_759
; %bb.756:
	v_bfe_u32 v6, v4, 16, 7
	s_movk_i32 s3, 0x7f
	v_cmp_ne_u32_e32 vcc, s3, v6
	v_mov_b32_e32 v9, 0x7f80
	s_and_saveexec_b64 s[8:9], vcc
	s_cbranch_execz .LBB676_758
; %bb.757:
	v_and_b32_e32 v9, 7, v2
	v_ffbh_u32_e32 v10, v9
	v_min_u32_e32 v13, 32, v10
	v_subrev_u32_e32 v10, 28, v13
	v_lshlrev_b64 v[10:11], v10, v[2:3]
	v_and_b32_e32 v10, 7, v10
	v_cmp_gt_u32_e32 vcc, 8, v6
	v_lshrrev_b32_e32 v12, 3, v6
	v_sub_u32_e32 v2, 29, v13
	v_cndmask_b32_e32 v6, v9, v10, vcc
	v_mov_b32_e32 v9, 24
	v_cndmask_b32_e32 v2, v12, v2, vcc
	v_lshlrev_b32_sdwa v9, v9, v4 dst_sel:DWORD dst_unused:UNUSED_PAD src0_sel:DWORD src1_sel:WORD_1
	v_bfrev_b32_e32 v10, 60
	v_lshlrev_b32_e32 v6, 20, v6
	v_and_b32_e32 v9, 0x80000000, v9
	v_lshl_add_u32 v2, v2, 23, v10
	v_or3_b32 v2, v9, v2, v6
	v_lshrrev_b32_e32 v9, 16, v2
.LBB676_758:
	s_or_b64 exec, exec, s[8:9]
.LBB676_759:
	s_or_b64 exec, exec, s[6:7]
.LBB676_760:
	s_or_b64 exec, exec, s[0:1]
	s_mov_b32 s0, 0xffffff
	v_cmp_lt_u32_e32 vcc, s0, v4
	v_mov_b32_e32 v10, 0
	s_and_saveexec_b64 s[0:1], vcc
	s_cbranch_execz .LBB676_766
; %bb.761:
	v_lshrrev_b32_e32 v2, 24, v4
	s_movk_i32 s3, 0x80
	v_cmp_ne_u32_e32 vcc, s3, v2
	v_mov_b32_e32 v10, 0xffff8000
	s_and_saveexec_b64 s[6:7], vcc
	s_cbranch_execz .LBB676_765
; %bb.762:
	v_bfe_u32 v6, v4, 24, 7
	s_movk_i32 s3, 0x7f
	v_cmp_ne_u32_e32 vcc, s3, v6
	v_mov_b32_e32 v10, 0x7f80
	s_and_saveexec_b64 s[8:9], vcc
	s_cbranch_execz .LBB676_764
; %bb.763:
	v_and_b32_e32 v12, 7, v2
	v_ffbh_u32_e32 v10, v12
	v_min_u32_e32 v16, 32, v10
	v_subrev_u32_e32 v10, 28, v16
	v_lshlrev_b64 v[10:11], v10, v[2:3]
	v_lshrrev_b32_e32 v13, 3, v6
	v_sub_u32_e32 v11, 29, v16
	v_and_b32_e32 v10, 7, v10
	v_cmp_gt_u32_e32 vcc, 8, v6
	v_cndmask_b32_e32 v6, v13, v11, vcc
	v_cndmask_b32_e32 v10, v12, v10, vcc
	v_lshlrev_b32_e32 v2, 24, v2
	v_bfrev_b32_e32 v11, 60
	v_lshlrev_b32_e32 v10, 20, v10
	v_and_b32_e32 v2, 0x80000000, v2
	v_lshl_add_u32 v6, v6, 23, v11
	v_or3_b32 v2, v2, v6, v10
	v_lshrrev_b32_e32 v10, 16, v2
.LBB676_764:
	s_or_b64 exec, exec, s[8:9]
.LBB676_765:
	s_or_b64 exec, exec, s[6:7]
.LBB676_766:
	s_or_b64 exec, exec, s[0:1]
	v_mov_b32_e32 v11, 0
	v_mov_b32_e32 v2, v5
	v_cmp_ne_u16_sdwa s[6:7], v5, v11 src0_sel:BYTE_0 src1_sel:DWORD
	v_mov_b32_e32 v12, 0
	s_and_saveexec_b64 s[0:1], s[6:7]
	s_cbranch_execz .LBB676_772
; %bb.767:
	s_movk_i32 s3, 0x80
	v_cmp_ne_u16_sdwa s[8:9], v5, s3 src0_sel:BYTE_0 src1_sel:DWORD
	v_mov_b32_e32 v12, 0xffff8000
	s_and_saveexec_b64 s[6:7], s[8:9]
	s_cbranch_execz .LBB676_771
; %bb.768:
	s_movk_i32 s3, 0x7f
	v_and_b32_e32 v6, 0x7f, v5
	v_cmp_ne_u32_e32 vcc, s3, v6
	v_mov_b32_e32 v12, 0x7f80
	s_and_saveexec_b64 s[8:9], vcc
	s_cbranch_execz .LBB676_770
; %bb.769:
	v_and_b32_e32 v12, 7, v5
	v_ffbh_u32_e32 v12, v12
	v_min_u32_e32 v12, 32, v12
	v_lshrrev_b32_e32 v13, 3, v6
	v_subrev_u32_e32 v16, 28, v12
	v_sub_u32_e32 v12, 29, v12
	v_cmp_gt_u32_e32 vcc, 8, v6
	v_cndmask_b32_e32 v6, v13, v12, vcc
	v_cndmask_b32_e32 v12, 0, v16, vcc
	v_lshlrev_b64 v[12:13], v12, v[2:3]
	v_lshlrev_b32_e32 v3, 20, v12
	v_lshlrev_b32_e32 v12, 24, v2
	v_bfrev_b32_e32 v13, 60
	v_and_b32_e32 v3, 0x700000, v3
	v_and_b32_e32 v12, 0x80000000, v12
	v_lshl_add_u32 v6, v6, 23, v13
	v_or3_b32 v3, v12, v6, v3
	v_lshrrev_b32_e32 v12, 16, v3
.LBB676_770:
	s_or_b64 exec, exec, s[8:9]
.LBB676_771:
	s_or_b64 exec, exec, s[6:7]
.LBB676_772:
	s_or_b64 exec, exec, s[0:1]
	v_lshrrev_b16_e32 v6, 8, v2
	v_cmp_ne_u16_e32 vcc, 0, v6
	s_and_saveexec_b64 s[0:1], vcc
	s_cbranch_execz .LBB676_778
; %bb.773:
	s_movk_i32 s3, 0x80
	v_cmp_ne_u16_e32 vcc, s3, v6
	v_mov_b32_e32 v11, 0xffff8000
	s_and_saveexec_b64 s[6:7], vcc
	s_cbranch_execz .LBB676_777
; %bb.774:
	s_movk_i32 s3, 0x7f
	v_and_b32_e32 v3, 0x7f, v6
	v_cmp_ne_u32_e32 vcc, s3, v3
	v_mov_b32_e32 v11, 0x7f80
	s_and_saveexec_b64 s[8:9], vcc
	s_cbranch_execz .LBB676_776
; %bb.775:
	v_and_b32_e32 v11, 7, v6
	v_ffbh_u32_e32 v16, v11
	v_min_u32_e32 v18, 32, v16
	v_subrev_u32_e32 v16, 28, v18
	v_lshlrev_b64 v[16:17], v16, v[6:7]
	v_lshrrev_b32_e32 v13, 3, v3
	v_sub_u32_e32 v6, 29, v18
	v_and_b32_e32 v16, 7, v16
	v_cmp_gt_u32_e32 vcc, 8, v3
	v_cndmask_b32_e32 v3, v13, v6, vcc
	v_cndmask_b32_e32 v6, v11, v16, vcc
	v_lshlrev_b32_e32 v2, 16, v2
	v_bfrev_b32_e32 v11, 60
	v_lshlrev_b32_e32 v6, 20, v6
	v_and_b32_e32 v2, 0x80000000, v2
	v_lshl_add_u32 v3, v3, 23, v11
	v_or3_b32 v2, v2, v3, v6
	v_lshrrev_b32_e32 v11, 16, v2
.LBB676_776:
	s_or_b64 exec, exec, s[8:9]
.LBB676_777:
	s_or_b64 exec, exec, s[6:7]
.LBB676_778:
	s_or_b64 exec, exec, s[0:1]
	s_movk_i32 s0, 0xff
	v_and_b32_sdwa v13, v5, s0 dst_sel:DWORD dst_unused:UNUSED_PAD src0_sel:WORD_1 src1_sel:DWORD
	v_lshrrev_b32_e32 v2, 16, v5
	v_cmp_ne_u16_e32 vcc, 0, v13
	v_mov_b32_e32 v3, 0
	v_mov_b32_e32 v6, 0
	s_and_saveexec_b64 s[0:1], vcc
	s_cbranch_execz .LBB676_784
; %bb.779:
	s_movk_i32 s3, 0x80
	v_cmp_ne_u16_e32 vcc, s3, v13
	v_mov_b32_e32 v6, 0xffff8000
	s_and_saveexec_b64 s[6:7], vcc
	s_cbranch_execz .LBB676_783
; %bb.780:
	v_bfe_u32 v13, v5, 16, 7
	s_movk_i32 s3, 0x7f
	v_cmp_ne_u32_e32 vcc, s3, v13
	v_mov_b32_e32 v6, 0x7f80
	s_and_saveexec_b64 s[8:9], vcc
	s_cbranch_execz .LBB676_782
; %bb.781:
	v_and_b32_e32 v6, 7, v2
	v_ffbh_u32_e32 v16, v6
	v_min_u32_e32 v19, 32, v16
	v_subrev_u32_e32 v16, 28, v19
	v_lshlrev_b64 v[16:17], v16, v[2:3]
	v_lshrrev_b32_e32 v18, 3, v13
	v_sub_u32_e32 v2, 29, v19
	v_and_b32_e32 v16, 7, v16
	v_cmp_gt_u32_e32 vcc, 8, v13
	v_mov_b32_e32 v13, 24
	v_cndmask_b32_e32 v2, v18, v2, vcc
	v_cndmask_b32_e32 v6, v6, v16, vcc
	v_lshlrev_b32_sdwa v13, v13, v5 dst_sel:DWORD dst_unused:UNUSED_PAD src0_sel:DWORD src1_sel:WORD_1
	v_bfrev_b32_e32 v16, 60
	v_lshlrev_b32_e32 v6, 20, v6
	v_and_b32_e32 v13, 0x80000000, v13
	v_lshl_add_u32 v2, v2, 23, v16
	v_or3_b32 v2, v13, v2, v6
	v_lshrrev_b32_e32 v6, 16, v2
.LBB676_782:
	s_or_b64 exec, exec, s[8:9]
.LBB676_783:
	s_or_b64 exec, exec, s[6:7]
.LBB676_784:
	s_or_b64 exec, exec, s[0:1]
	s_mov_b32 s0, -1
	s_mov_b32 s1, 0xffffff
	v_cmp_lt_u64_e32 vcc, s[0:1], v[4:5]
	s_and_saveexec_b64 s[0:1], vcc
	s_cbranch_execz .LBB676_790
; %bb.785:
	v_lshrrev_b32_e32 v2, 24, v5
	s_movk_i32 s3, 0x80
	v_cmp_ne_u32_e32 vcc, s3, v2
	v_mov_b32_e32 v3, 0xffff8000
	s_and_saveexec_b64 s[6:7], vcc
	s_cbranch_execz .LBB676_789
; %bb.786:
	v_bfe_u32 v4, v5, 24, 7
	s_movk_i32 s3, 0x7f
	v_cmp_ne_u32_e32 vcc, s3, v4
	v_mov_b32_e32 v3, 0x7f80
	s_and_saveexec_b64 s[8:9], vcc
	s_cbranch_execz .LBB676_788
; %bb.787:
	v_and_b32_e32 v3, 7, v2
	v_ffbh_u32_e32 v13, v3
	v_min_u32_e32 v13, 32, v13
	v_subrev_u32_e32 v16, 28, v13
	v_lshlrev_b64 v[16:17], v16, v[2:3]
	v_lshrrev_b32_e32 v5, 3, v4
	v_sub_u32_e32 v13, 29, v13
	v_and_b32_e32 v16, 7, v16
	v_cmp_gt_u32_e32 vcc, 8, v4
	v_cndmask_b32_e32 v4, v5, v13, vcc
	v_cndmask_b32_e32 v3, v3, v16, vcc
	v_lshlrev_b32_e32 v2, 24, v2
	v_bfrev_b32_e32 v5, 60
	v_lshlrev_b32_e32 v3, 20, v3
	v_and_b32_e32 v2, 0x80000000, v2
	v_lshl_add_u32 v4, v4, 23, v5
	v_or3_b32 v2, v2, v4, v3
	v_lshrrev_b32_e32 v3, 16, v2
.LBB676_788:
	s_or_b64 exec, exec, s[8:9]
.LBB676_789:
	s_or_b64 exec, exec, s[6:7]
.LBB676_790:
	s_or_b64 exec, exec, s[0:1]
	s_mov_b32 s0, 0x5040100
	v_perm_b32 v5, v10, v9, s0
	v_perm_b32 v4, v7, v8, s0
	;; [unrolled: 1-line block ×4, first 2 shown]
	v_mfma_f32_4x4x4bf16_1k a[0:3], v[14:15], v[4:5], a[0:3] cbsz:4 abid:14
	s_load_dword s0, s[14:15], 0x0
	v_mfma_f32_4x4x4bf16_1k a[0:3], v[14:15], v[2:3], a[0:3] cbsz:4 abid:15
	s_nop 4
	v_accvgpr_read_b32 v5, a1
	v_accvgpr_read_b32 v4, a0
	;; [unrolled: 1-line block ×4, first 2 shown]
	s_waitcnt lgkmcnt(0)
	v_pk_mul_f32 v[4:5], v[4:5], s[0:1] op_sel_hi:[1,0]
	v_pk_mul_f32 v[2:3], v[2:3], s[0:1] op_sel_hi:[1,0]
	v_bfe_u32 v6, v5, 16, 1
	v_bfe_u32 v7, v4, 16, 1
	s_movk_i32 s0, 0x7fff
	v_add3_u32 v4, v4, v7, s0
	v_add3_u32 v5, v5, v6, s0
	v_bfe_u32 v6, v3, 16, 1
	v_bfe_u32 v7, v2, 16, 1
	v_add3_u32 v2, v2, v7, s0
	v_add3_u32 v3, v3, v6, s0
	s_mov_b32 s0, 0x7060302
	v_perm_b32 v23, v3, v2, s0
	v_perm_b32 v22, v5, v4, s0
.LBB676_791:
	s_or_b64 exec, exec, s[4:5]
	v_lshlrev_b32_e32 v1, 3, v1
	v_mad_u32_u24 v1, v42, 40, v1
	v_cmp_gt_u32_e32 vcc, 64, v0
	ds_write_b64 v1, v[22:23]
	s_waitcnt lgkmcnt(0)
	s_barrier
	s_and_saveexec_b64 s[0:1], vcc
	s_cbranch_execz .LBB676_793
; %bb.792:
	v_mul_u32_u24_e32 v1, 40, v42
	s_waitcnt vmcnt(0)
	ds_read2_b64 v[2:5], v1 offset1:1
	ds_read2_b64 v[6:9], v1 offset0:2 offset1:3
	s_mov_b32 s1, 0
	s_lshl_b32 s0, s2, 6
	s_lshl_b64 s[2:3], s[0:1], 1
	s_waitcnt lgkmcnt(1)
	v_and_b32_e32 v1, 0xffff0000, v2
	v_lshlrev_b32_e32 v3, 16, v3
	v_add_f32_e32 v1, 0, v1
	v_add_f32_e32 v3, 0, v3
	v_and_b32_e32 v1, 0xffff0000, v1
	v_and_b32_e32 v10, 0xffff0000, v4
	;; [unrolled: 1-line block ×3, first 2 shown]
	v_add_f32_e32 v1, v1, v10
	v_lshlrev_b32_e32 v5, 16, v5
	v_and_b32_e32 v1, 0xffff0000, v1
	v_add_f32_e32 v3, v3, v5
	s_waitcnt lgkmcnt(0)
	v_and_b32_e32 v5, 0xffff0000, v6
	v_and_b32_e32 v3, 0xffff0000, v3
	v_add_f32_e32 v1, v1, v5
	v_lshlrev_b32_e32 v5, 16, v7
	v_and_b32_e32 v1, 0xffff0000, v1
	v_add_f32_e32 v3, v3, v5
	v_and_b32_e32 v5, 0xffff0000, v8
	v_lshlrev_b32_e32 v2, 16, v2
	v_and_b32_e32 v3, 0xffff0000, v3
	v_add_f32_e32 v1, v1, v5
	v_lshlrev_b32_e32 v5, 16, v9
	s_add_u32 s2, s24, s2
	v_add_f32_e32 v2, 0, v2
	v_add_f32_e32 v7, v3, v5
	s_addc_u32 s3, s25, s3
	s_lshl_b32 s0, s10, 6
	v_and_b32_e32 v2, 0xffff0000, v2
	v_lshlrev_b32_e32 v3, 16, v4
	s_lshl_b64 s[0:1], s[0:1], 1
	v_add_f32_e32 v2, v2, v3
	s_add_u32 s0, s2, s0
	v_and_b32_e32 v2, 0xffff0000, v2
	v_lshlrev_b32_e32 v3, 16, v6
	s_addc_u32 s1, s3, s1
	s_lshl_b32 s2, s40, 6
	v_add_f32_e32 v2, v2, v3
	v_and_b32_e32 v2, 0xffff0000, v2
	v_lshlrev_b32_e32 v3, 16, v8
	s_mul_i32 s3, s2, s33
	v_add_f32_e32 v6, v2, v3
	v_or_b32_e32 v2, s3, v0
	v_mov_b32_e32 v3, 0
	v_lshlrev_b64 v[4:5], 1, v[2:3]
	v_mov_b32_e32 v2, s1
	v_add_co_u32_e32 v4, vcc, s0, v4
	s_add_i32 s3, s3, s2
	v_addc_co_u32_e32 v5, vcc, v2, v5, vcc
	v_or_b32_e32 v2, s3, v0
	global_store_short_d16_hi v[4:5], v6, off
	v_lshlrev_b64 v[4:5], 1, v[2:3]
	v_mov_b32_e32 v2, s1
	v_add_co_u32_e32 v4, vcc, s0, v4
	s_add_i32 s3, s3, s2
	v_addc_co_u32_e32 v5, vcc, v2, v5, vcc
	v_or_b32_e32 v2, s3, v0
	global_store_short_d16_hi v[4:5], v1, off
	v_lshlrev_b64 v[0:1], 1, v[2:3]
	v_mov_b32_e32 v2, s1
	v_add_co_u32_e32 v0, vcc, s0, v0
	v_addc_co_u32_e32 v1, vcc, v2, v1, vcc
	global_store_short_d16_hi v[0:1], v7, off
.LBB676_793:
	s_endpgm
	.section	.rodata,"a",@progbits
	.p2align	6, 0x0
	.amdhsa_kernel _Z38paged_attention_ll4mi_QKV_mfma4_kernelI14__hip_bfloat16hLN4vllm18Fp8KVCacheDataTypeE1ES0_Li16ELi64ELi256ELb1ELi3EEvPKT_PKT0_S8_ifPKiSA_SA_iPKfiiiPfSD_PS3_PT2_iSC_SC_
		.amdhsa_group_segment_fixed_size 2720
		.amdhsa_private_segment_fixed_size 0
		.amdhsa_kernarg_size 400
		.amdhsa_user_sgpr_count 6
		.amdhsa_user_sgpr_private_segment_buffer 1
		.amdhsa_user_sgpr_dispatch_ptr 0
		.amdhsa_user_sgpr_queue_ptr 0
		.amdhsa_user_sgpr_kernarg_segment_ptr 1
		.amdhsa_user_sgpr_dispatch_id 0
		.amdhsa_user_sgpr_flat_scratch_init 0
		.amdhsa_user_sgpr_kernarg_preload_length 0
		.amdhsa_user_sgpr_kernarg_preload_offset 0
		.amdhsa_user_sgpr_private_segment_size 0
		.amdhsa_uses_dynamic_stack 0
		.amdhsa_system_sgpr_private_segment_wavefront_offset 0
		.amdhsa_system_sgpr_workgroup_id_x 1
		.amdhsa_system_sgpr_workgroup_id_y 1
		.amdhsa_system_sgpr_workgroup_id_z 1
		.amdhsa_system_sgpr_workgroup_info 0
		.amdhsa_system_vgpr_workitem_id 0
		.amdhsa_next_free_vgpr 60
		.amdhsa_next_free_sgpr 46
		.amdhsa_accum_offset 56
		.amdhsa_reserve_vcc 1
		.amdhsa_reserve_flat_scratch 0
		.amdhsa_float_round_mode_32 0
		.amdhsa_float_round_mode_16_64 0
		.amdhsa_float_denorm_mode_32 3
		.amdhsa_float_denorm_mode_16_64 3
		.amdhsa_dx10_clamp 1
		.amdhsa_ieee_mode 1
		.amdhsa_fp16_overflow 0
		.amdhsa_tg_split 0
		.amdhsa_exception_fp_ieee_invalid_op 0
		.amdhsa_exception_fp_denorm_src 0
		.amdhsa_exception_fp_ieee_div_zero 0
		.amdhsa_exception_fp_ieee_overflow 0
		.amdhsa_exception_fp_ieee_underflow 0
		.amdhsa_exception_fp_ieee_inexact 0
		.amdhsa_exception_int_div_zero 0
	.end_amdhsa_kernel
	.section	.text._Z38paged_attention_ll4mi_QKV_mfma4_kernelI14__hip_bfloat16hLN4vllm18Fp8KVCacheDataTypeE1ES0_Li16ELi64ELi256ELb1ELi3EEvPKT_PKT0_S8_ifPKiSA_SA_iPKfiiiPfSD_PS3_PT2_iSC_SC_,"axG",@progbits,_Z38paged_attention_ll4mi_QKV_mfma4_kernelI14__hip_bfloat16hLN4vllm18Fp8KVCacheDataTypeE1ES0_Li16ELi64ELi256ELb1ELi3EEvPKT_PKT0_S8_ifPKiSA_SA_iPKfiiiPfSD_PS3_PT2_iSC_SC_,comdat
.Lfunc_end676:
	.size	_Z38paged_attention_ll4mi_QKV_mfma4_kernelI14__hip_bfloat16hLN4vllm18Fp8KVCacheDataTypeE1ES0_Li16ELi64ELi256ELb1ELi3EEvPKT_PKT0_S8_ifPKiSA_SA_iPKfiiiPfSD_PS3_PT2_iSC_SC_, .Lfunc_end676-_Z38paged_attention_ll4mi_QKV_mfma4_kernelI14__hip_bfloat16hLN4vllm18Fp8KVCacheDataTypeE1ES0_Li16ELi64ELi256ELb1ELi3EEvPKT_PKT0_S8_ifPKiSA_SA_iPKfiiiPfSD_PS3_PT2_iSC_SC_
                                        ; -- End function
	.section	.AMDGPU.csdata,"",@progbits
; Kernel info:
; codeLenInByte = 29432
; NumSgprs: 50
; NumVgprs: 56
; NumAgprs: 4
; TotalNumVgprs: 60
; ScratchSize: 0
; MemoryBound: 0
; FloatMode: 240
; IeeeMode: 1
; LDSByteSize: 2720 bytes/workgroup (compile time only)
; SGPRBlocks: 6
; VGPRBlocks: 7
; NumSGPRsForWavesPerEU: 50
; NumVGPRsForWavesPerEU: 60
; AccumOffset: 56
; Occupancy: 8
; WaveLimiterHint : 1
; COMPUTE_PGM_RSRC2:SCRATCH_EN: 0
; COMPUTE_PGM_RSRC2:USER_SGPR: 6
; COMPUTE_PGM_RSRC2:TRAP_HANDLER: 0
; COMPUTE_PGM_RSRC2:TGID_X_EN: 1
; COMPUTE_PGM_RSRC2:TGID_Y_EN: 1
; COMPUTE_PGM_RSRC2:TGID_Z_EN: 1
; COMPUTE_PGM_RSRC2:TIDIG_COMP_CNT: 0
; COMPUTE_PGM_RSRC3_GFX90A:ACCUM_OFFSET: 13
; COMPUTE_PGM_RSRC3_GFX90A:TG_SPLIT: 0
	.section	.text._Z38paged_attention_ll4mi_QKV_mfma4_kernelI14__hip_bfloat16hLN4vllm18Fp8KVCacheDataTypeE1ES0_Li16ELi64ELi256ELb1ELi4EEvPKT_PKT0_S8_ifPKiSA_SA_iPKfiiiPfSD_PS3_PT2_iSC_SC_,"axG",@progbits,_Z38paged_attention_ll4mi_QKV_mfma4_kernelI14__hip_bfloat16hLN4vllm18Fp8KVCacheDataTypeE1ES0_Li16ELi64ELi256ELb1ELi4EEvPKT_PKT0_S8_ifPKiSA_SA_iPKfiiiPfSD_PS3_PT2_iSC_SC_,comdat
	.protected	_Z38paged_attention_ll4mi_QKV_mfma4_kernelI14__hip_bfloat16hLN4vllm18Fp8KVCacheDataTypeE1ES0_Li16ELi64ELi256ELb1ELi4EEvPKT_PKT0_S8_ifPKiSA_SA_iPKfiiiPfSD_PS3_PT2_iSC_SC_ ; -- Begin function _Z38paged_attention_ll4mi_QKV_mfma4_kernelI14__hip_bfloat16hLN4vllm18Fp8KVCacheDataTypeE1ES0_Li16ELi64ELi256ELb1ELi4EEvPKT_PKT0_S8_ifPKiSA_SA_iPKfiiiPfSD_PS3_PT2_iSC_SC_
	.globl	_Z38paged_attention_ll4mi_QKV_mfma4_kernelI14__hip_bfloat16hLN4vllm18Fp8KVCacheDataTypeE1ES0_Li16ELi64ELi256ELb1ELi4EEvPKT_PKT0_S8_ifPKiSA_SA_iPKfiiiPfSD_PS3_PT2_iSC_SC_
	.p2align	8
	.type	_Z38paged_attention_ll4mi_QKV_mfma4_kernelI14__hip_bfloat16hLN4vllm18Fp8KVCacheDataTypeE1ES0_Li16ELi64ELi256ELb1ELi4EEvPKT_PKT0_S8_ifPKiSA_SA_iPKfiiiPfSD_PS3_PT2_iSC_SC_,@function
_Z38paged_attention_ll4mi_QKV_mfma4_kernelI14__hip_bfloat16hLN4vllm18Fp8KVCacheDataTypeE1ES0_Li16ELi64ELi256ELb1ELi4EEvPKT_PKT0_S8_ifPKiSA_SA_iPKfiiiPfSD_PS3_PT2_iSC_SC_: ; @_Z38paged_attention_ll4mi_QKV_mfma4_kernelI14__hip_bfloat16hLN4vllm18Fp8KVCacheDataTypeE1ES0_Li16ELi64ELi256ELb1ELi4EEvPKT_PKT0_S8_ifPKiSA_SA_iPKfiiiPfSD_PS3_PT2_iSC_SC_
; %bb.0:
	s_load_dwordx2 s[2:3], s[4:5], 0x30
	s_mov_b32 s10, s7
	s_mov_b64 s[0:1], 0
	s_waitcnt lgkmcnt(0)
	s_cmp_lg_u64 s[2:3], 0
	s_cselect_b64 s[20:21], -1, 0
	s_and_b64 vcc, exec, s[20:21]
	s_cbranch_vccz .LBB677_786
; %bb.1:
	s_add_i32 s12, s6, 1
	s_mov_b32 s13, 0
	s_lshl_b64 s[14:15], s[12:13], 2
	s_add_u32 s14, s2, s14
	s_mov_b32 s7, s13
	s_addc_u32 s15, s3, s15
	s_lshl_b64 s[12:13], s[6:7], 2
	s_add_u32 s12, s2, s12
	s_addc_u32 s13, s3, s13
	s_load_dword s9, s[14:15], 0x0
	s_load_dword s11, s[12:13], 0x0
	s_mov_b64 s[36:37], s[6:7]
	s_waitcnt lgkmcnt(0)
	s_sub_i32 s9, s9, s11
	s_cmp_eq_u32 s9, 1
	s_cselect_b64 s[12:13], -1, 0
	s_andn2_b64 vcc, exec, s[0:1]
	s_cbranch_vccnz .LBB677_3
.LBB677_2:
	s_mov_b32 s7, 0
	s_mov_b64 s[12:13], -1
	s_mov_b64 s[36:37], s[6:7]
.LBB677_3:
	s_andn2_b64 vcc, exec, s[12:13]
	s_cbranch_vccnz .LBB677_785
; %bb.4:
	s_load_dword s7, s[4:5], 0x9c
	s_load_dwordx2 s[0:1], s[4:5], 0x28
	s_add_u32 s30, s4, 0x90
	s_addc_u32 s31, s5, 0
	s_lshl_b64 s[22:23], s[36:37], 2
	s_waitcnt lgkmcnt(0)
	s_and_b32 s9, s7, 0xffff
	s_add_u32 s0, s0, s22
	s_addc_u32 s1, s1, s23
	s_load_dword s7, s[0:1], 0x0
	s_mul_i32 s9, s10, s9
	s_waitcnt lgkmcnt(0)
	s_cmp_ge_i32 s9, s7
	s_cbranch_scc1 .LBB677_785
; %bb.5:
	v_and_b32_e32 v2, 0xc0, v0
	v_and_b32_e32 v44, 3, v0
	s_lshl_b32 s33, s8, 2
	v_add_u32_e32 v4, s9, v2
	v_lshrrev_b32_e32 v1, 6, v0
	v_cmp_gt_i32_e64 s[0:1], s7, v4
	v_cmp_le_i32_e32 vcc, s7, v4
	v_or_b32_e32 v38, s33, v44
                                        ; implicit-def: $sgpr24
                                        ; implicit-def: $sgpr11
	s_and_saveexec_b64 s[12:13], vcc
	s_xor_b64 s[12:13], exec, s[12:13]
	s_cbranch_execz .LBB677_7
; %bb.6:
	v_mul_u32_u24_e32 v2, 20, v1
	v_or_b32_e32 v2, 0xa00, v2
	v_mov_b32_e32 v3, 0xa50
	v_mov_b32_e32 v4, 0xff7fffff
	v_mad_u32_u24 v3, v1, 20, v3
	ds_write2_b32 v2, v4, v4 offset1:1
	v_mov_b32_e32 v2, 0
	ds_write2_b32 v3, v2, v2 offset1:1
	v_mov_b32_e32 v3, 0xa08
	s_mov_b32 s11, 0xff7fffff
	s_mov_b32 s24, 0
	v_mad_u32_u24 v3, v1, 20, v3
	v_mov_b32_e32 v5, 0xa58
	v_or_b32_e32 v38, s33, v44
	v_mad_u32_u24 v5, v1, 20, v5
	ds_write2_b32 v3, v4, v4 offset1:1
	ds_write2_b32 v5, v2, v2 offset1:1
                                        ; implicit-def: $vgpr4
.LBB677_7:
	s_or_saveexec_b64 s[34:35], s[12:13]
	s_load_dwordx2 s[28:29], s[4:5], 0x68
	s_load_dwordx4 s[16:19], s[4:5], 0x58
	s_load_dword s44, s[30:31], 0x4
	s_load_dwordx4 s[12:15], s[4:5], 0x80
	v_and_b32_e32 v43, 63, v0
	v_mov_b32_e32 v21, s24
	v_mov_b32_e32 v25, s11
	;; [unrolled: 1-line block ×5, first 2 shown]
                                        ; implicit-def: $vgpr14_vgpr15
                                        ; implicit-def: $vgpr10_vgpr11
                                        ; implicit-def: $vgpr6_vgpr7
                                        ; implicit-def: $vgpr2_vgpr3
	s_xor_b64 exec, exec, s[34:35]
	s_cbranch_execz .LBB677_397
; %bb.8:
	s_add_i32 s26, s7, 15
	s_ashr_i32 s27, s26, 31
	s_load_dwordx2 s[24:25], s[4:5], 0x20
	s_load_dword s11, s[4:5], 0x38
	s_lshr_b32 s27, s27, 28
	v_add_u32_e32 v45, s9, v0
	s_add_i32 s26, s26, s27
	v_ashrrev_i32_e32 v2, 31, v45
	s_ashr_i32 s26, s26, 4
	v_lshrrev_b32_e32 v2, 28, v2
	s_add_i32 s40, s26, -1
	v_add_u32_e32 v2, v45, v2
	v_ashrrev_i32_e32 v2, 4, v2
	v_mov_b32_e32 v3, s40
	v_cmp_gt_i32_e32 vcc, s7, v45
	s_waitcnt lgkmcnt(0)
	s_mul_i32 s38, s6, s11
	s_mov_b32 s39, 0
	v_cndmask_b32_e32 v2, v3, v2, vcc
	s_lshl_b64 s[26:27], s[38:39], 2
	v_ashrrev_i32_e32 v3, 31, v2
	s_add_u32 s11, s24, s26
	v_lshlrev_b64 v[2:3], 2, v[2:3]
	v_add_co_u32_e32 v8, vcc, s11, v2
	v_ashrrev_i32_e32 v2, 31, v4
	v_lshrrev_b32_e32 v2, 28, v2
	v_add_u32_e32 v2, v4, v2
	s_addc_u32 s24, s25, s27
	v_ashrrev_i32_e32 v4, 4, v2
	v_mov_b32_e32 v5, s24
	v_min_i32_e32 v2, s40, v4
	v_addc_co_u32_e32 v9, vcc, v5, v3, vcc
	v_ashrrev_i32_e32 v3, 31, v2
	v_lshlrev_b64 v[2:3], 2, v[2:3]
	v_add_co_u32_e32 v10, vcc, s11, v2
	v_add_u32_e32 v2, 1, v4
	v_min_i32_e32 v2, s40, v2
	v_addc_co_u32_e32 v11, vcc, v5, v3, vcc
	v_ashrrev_i32_e32 v3, 31, v2
	v_lshlrev_b64 v[2:3], 2, v[2:3]
	v_add_co_u32_e32 v12, vcc, s11, v2
	v_add_u32_e32 v2, 2, v4
	;; [unrolled: 6-line block ×3, first 2 shown]
	v_min_i32_e32 v2, s40, v2
	v_addc_co_u32_e32 v15, vcc, v5, v3, vcc
	v_ashrrev_i32_e32 v3, 31, v2
	v_lshlrev_b64 v[2:3], 2, v[2:3]
	v_mov_b32_e32 v4, s24
	v_add_co_u32_e32 v16, vcc, s11, v2
	v_addc_co_u32_e32 v17, vcc, v4, v3, vcc
	global_load_dword v6, v[8:9], off
	global_load_dword v5, v[10:11], off
	;; [unrolled: 1-line block ×5, first 2 shown]
	s_load_dwordx2 s[42:43], s[4:5], 0x40
	s_load_dwordx4 s[24:27], s[4:5], 0x0
	s_load_dwordx2 s[40:41], s[4:5], 0x10
	s_andn2_b64 vcc, exec, s[20:21]
	s_cbranch_vccnz .LBB677_10
; %bb.9:
	s_add_u32 s2, s2, s22
	s_addc_u32 s3, s3, s23
	s_load_dword s38, s[2:3], 0x0
	s_waitcnt lgkmcnt(0)
	s_mov_b64 s[36:37], s[38:39]
.LBB677_10:
	s_load_dwordx4 s[20:23], s[4:5], 0x48
	v_lshrrev_b32_e32 v7, 2, v43
	v_lshlrev_b32_e32 v8, 3, v44
	v_add_lshl_u32 v7, v8, v7, 4
	v_mov_b32_e32 v39, 0
	s_waitcnt lgkmcnt(0)
	s_ashr_i32 s3, s20, 31
	s_mul_hi_u32 s9, s36, s20
	s_mul_i32 s3, s36, s3
	s_mul_i32 s11, s37, s20
	s_add_i32 s3, s9, s3
	s_mul_i32 s2, s36, s20
	s_add_i32 s3, s3, s11
	s_lshl_b64 s[2:3], s[2:3], 1
	s_add_u32 s9, s24, s2
	s_addc_u32 s11, s25, s3
	s_lshl_b32 s38, s8, 8
	s_lshl_b64 s[2:3], s[38:39], 1
	s_add_u32 s2, s9, s2
	s_addc_u32 s3, s11, s3
	s_mul_i32 s8, s8, s22
	global_load_dwordx4 v[18:21], v7, s[2:3]
	s_add_u32 s2, s8, s26
	s_addc_u32 s3, 0, s27
	v_pk_mov_b32 v[8:9], s[2:3], s[2:3] op_sel:[0,1]
	s_waitcnt vmcnt(5)
	v_mad_i64_i32 v[6:7], s[2:3], v6, s21, v[8:9]
	v_lshlrev_b32_e32 v8, 4, v0
	v_and_b32_e32 v8, 0xf0, v8
	v_add_co_u32_e32 v6, vcc, v6, v8
	v_addc_co_u32_e32 v7, vcc, 0, v7, vcc
	global_load_dwordx4 v[34:37], v[6:7], off
	global_load_dwordx4 v[30:33], v[6:7], off offset:256
	global_load_dwordx4 v[26:29], v[6:7], off offset:512
	;; [unrolled: 1-line block ×3, first 2 shown]
	v_lshlrev_b64 v[6:7], 2, v[38:39]
	v_mov_b32_e32 v8, s43
	v_add_co_u32_e32 v6, vcc, s42, v6
	v_addc_co_u32_e32 v7, vcc, v8, v7, vcc
	global_load_dword v46, v[6:7], off
	s_add_u32 s2, s40, s8
	v_lshlrev_b32_e32 v6, 4, v43
	s_addc_u32 s3, s41, 0
	v_add_co_u32_e32 v42, vcc, s2, v6
	s_waitcnt vmcnt(9)
	v_mul_hi_i32 v6, v5, s21
	v_mov_b32_e32 v7, s3
	v_ashrrev_i32_e32 v6, 31, v6
	v_addc_co_u32_e32 v47, vcc, 0, v7, vcc
	v_lshrrev_b32_e32 v6, 29, v6
	v_mov_b32_e32 v7, v39
	v_mad_i64_i32 v[6:7], s[2:3], v5, s21, v[6:7]
	v_and_b32_e32 v5, -8, v6
	v_add_co_u32_e32 v6, vcc, v42, v5
	s_waitcnt vmcnt(8)
	v_mul_hi_i32 v5, v4, s21
	v_ashrrev_i32_e32 v5, 31, v5
	v_lshrrev_b32_e32 v8, 29, v5
	v_mov_b32_e32 v9, v39
	v_mad_i64_i32 v[4:5], s[2:3], v4, s21, v[8:9]
	v_addc_co_u32_e32 v7, vcc, v47, v7, vcc
	v_and_b32_e32 v4, -8, v4
	v_add_co_u32_e32 v4, vcc, v42, v4
	v_addc_co_u32_e32 v5, vcc, v47, v5, vcc
	global_load_dwordx4 v[14:17], v[6:7], off
	global_load_dwordx4 v[10:13], v[4:5], off
	s_waitcnt vmcnt(9)
	v_mul_hi_i32 v4, v3, s21
	v_ashrrev_i32_e32 v4, 31, v4
	v_lshrrev_b32_e32 v4, 29, v4
	v_mov_b32_e32 v5, v39
	v_mad_i64_i32 v[4:5], s[2:3], v3, s21, v[4:5]
	v_and_b32_e32 v3, -8, v4
	v_add_co_u32_e32 v40, vcc, v42, v3
	s_waitcnt vmcnt(8)
	v_mul_hi_i32 v3, v2, s21
	v_ashrrev_i32_e32 v3, 31, v3
	v_addc_co_u32_e32 v41, vcc, v47, v5, vcc
	v_lshrrev_b32_e32 v4, 29, v3
	v_mov_b32_e32 v5, v39
	v_mad_i64_i32 v[2:3], s[2:3], v2, s21, v[4:5]
	v_and_b32_e32 v2, -8, v2
	v_add_co_u32_e32 v48, vcc, v42, v2
	v_addc_co_u32_e32 v49, vcc, v47, v3, vcc
	global_load_dwordx4 v[6:9], v[40:41], off
	global_load_dwordx4 v[2:5], v[48:49], off
	v_mov_b32_e32 v47, 0
	s_waitcnt vmcnt(8)
	v_cmp_ne_u16_sdwa s[8:9], v34, v39 src0_sel:BYTE_0 src1_sel:DWORD
	s_and_saveexec_b64 s[2:3], s[8:9]
	s_cbranch_execz .LBB677_16
; %bb.11:
	s_movk_i32 s8, 0x80
	v_cmp_ne_u16_sdwa s[20:21], v34, s8 src0_sel:BYTE_0 src1_sel:DWORD
	v_mov_b32_e32 v47, 0xffff8000
	s_and_saveexec_b64 s[8:9], s[20:21]
	s_cbranch_execz .LBB677_15
; %bb.12:
	s_movk_i32 s11, 0x7f
	v_and_b32_e32 v40, 0x7f, v34
	v_cmp_ne_u32_e32 vcc, s11, v40
	v_mov_b32_e32 v47, 0x7f80
	s_and_saveexec_b64 s[20:21], vcc
	s_cbranch_execz .LBB677_14
; %bb.13:
	v_and_b32_e32 v41, 7, v34
	v_ffbh_u32_e32 v41, v41
	v_min_u32_e32 v41, 32, v41
	v_subrev_u32_e32 v47, 28, v41
	v_cmp_gt_u32_e32 vcc, 8, v40
	v_lshrrev_b32_e32 v42, 3, v40
	v_sub_u32_e32 v41, 29, v41
	v_cndmask_b32_e32 v40, 0, v47, vcc
	v_cndmask_b32_e32 v42, v42, v41, vcc
	v_lshlrev_b64 v[40:41], v40, v[34:35]
	v_lshlrev_b32_e32 v40, 20, v40
	v_lshlrev_b32_e32 v41, 24, v34
	v_bfrev_b32_e32 v47, 60
	v_and_b32_e32 v40, 0x700000, v40
	v_and_b32_e32 v41, 0x80000000, v41
	v_lshl_add_u32 v42, v42, 23, v47
	v_or3_b32 v40, v41, v42, v40
	v_lshrrev_b32_e32 v47, 16, v40
.LBB677_14:
	s_or_b64 exec, exec, s[20:21]
.LBB677_15:
	s_or_b64 exec, exec, s[8:9]
.LBB677_16:
	s_or_b64 exec, exec, s[2:3]
	v_lshrrev_b16_e32 v40, 8, v34
	v_cmp_ne_u16_e32 vcc, 0, v40
	s_and_saveexec_b64 s[2:3], vcc
	s_cbranch_execz .LBB677_22
; %bb.17:
	s_movk_i32 s8, 0x80
	v_cmp_ne_u16_sdwa s[20:21], v34, s8 src0_sel:BYTE_1 src1_sel:DWORD
	v_mov_b32_e32 v39, 0xffff8000
	s_and_saveexec_b64 s[8:9], s[20:21]
	s_cbranch_execz .LBB677_21
; %bb.18:
	s_movk_i32 s11, 0x7f
	v_and_b32_e32 v41, 0x7f, v40
	v_cmp_ne_u32_e32 vcc, s11, v41
	v_mov_b32_e32 v39, 0x7f80
	s_and_saveexec_b64 s[20:21], vcc
	s_cbranch_execz .LBB677_20
; %bb.19:
	v_and_b32_e32 v39, 7, v40
	v_ffbh_u32_e32 v48, v39
	v_min_u32_e32 v50, 32, v48
	v_subrev_u32_e32 v48, 28, v50
	v_lshlrev_b64 v[48:49], v48, v[40:41]
	v_lshrrev_b32_e32 v42, 3, v41
	v_sub_u32_e32 v40, 29, v50
	v_and_b32_e32 v48, 7, v48
	v_cmp_gt_u32_e32 vcc, 8, v41
	v_cndmask_b32_e32 v40, v42, v40, vcc
	v_cndmask_b32_e32 v39, v39, v48, vcc
	v_lshlrev_b32_e32 v41, 16, v34
	v_bfrev_b32_e32 v42, 60
	v_lshlrev_b32_e32 v39, 20, v39
	v_and_b32_e32 v41, 0x80000000, v41
	v_lshl_add_u32 v40, v40, 23, v42
	v_or3_b32 v39, v41, v40, v39
	v_lshrrev_b32_e32 v39, 16, v39
.LBB677_20:
	s_or_b64 exec, exec, s[20:21]
.LBB677_21:
	s_or_b64 exec, exec, s[8:9]
.LBB677_22:
	s_or_b64 exec, exec, s[2:3]
	s_movk_i32 s2, 0xff
	v_and_b32_sdwa v42, v34, s2 dst_sel:DWORD dst_unused:UNUSED_PAD src0_sel:WORD_1 src1_sel:DWORD
	v_lshrrev_b32_e32 v40, 16, v34
	v_cmp_ne_u16_e32 vcc, 0, v42
	v_mov_b32_e32 v41, 0
	v_mov_b32_e32 v48, 0
	s_and_saveexec_b64 s[2:3], vcc
	s_cbranch_execz .LBB677_28
; %bb.23:
	s_movk_i32 s8, 0x80
	v_cmp_ne_u16_e32 vcc, s8, v42
	v_mov_b32_e32 v48, 0xffff8000
	s_and_saveexec_b64 s[8:9], vcc
	s_cbranch_execz .LBB677_27
; %bb.24:
	v_bfe_u32 v42, v34, 16, 7
	s_movk_i32 s11, 0x7f
	v_cmp_ne_u32_e32 vcc, s11, v42
	v_mov_b32_e32 v48, 0x7f80
	s_and_saveexec_b64 s[20:21], vcc
	s_cbranch_execz .LBB677_26
; %bb.25:
	v_and_b32_e32 v50, 7, v40
	v_ffbh_u32_e32 v48, v50
	v_min_u32_e32 v52, 32, v48
	v_subrev_u32_e32 v48, 28, v52
	v_lshlrev_b64 v[48:49], v48, v[40:41]
	v_and_b32_e32 v48, 7, v48
	v_cmp_gt_u32_e32 vcc, 8, v42
	v_lshrrev_b32_e32 v51, 3, v42
	v_sub_u32_e32 v40, 29, v52
	v_cndmask_b32_e32 v42, v50, v48, vcc
	v_mov_b32_e32 v48, 24
	v_cndmask_b32_e32 v40, v51, v40, vcc
	v_lshlrev_b32_sdwa v48, v48, v34 dst_sel:DWORD dst_unused:UNUSED_PAD src0_sel:DWORD src1_sel:WORD_1
	v_bfrev_b32_e32 v49, 60
	v_lshlrev_b32_e32 v42, 20, v42
	v_and_b32_e32 v48, 0x80000000, v48
	v_lshl_add_u32 v40, v40, 23, v49
	v_or3_b32 v40, v48, v40, v42
	v_lshrrev_b32_e32 v48, 16, v40
.LBB677_26:
	s_or_b64 exec, exec, s[20:21]
.LBB677_27:
	s_or_b64 exec, exec, s[8:9]
.LBB677_28:
	s_or_b64 exec, exec, s[2:3]
	s_mov_b32 s2, 0xffffff
	v_cmp_lt_u32_e32 vcc, s2, v34
	v_mov_b32_e32 v49, 0
	s_and_saveexec_b64 s[2:3], vcc
	s_cbranch_execz .LBB677_34
; %bb.29:
	v_lshrrev_b32_e32 v40, 24, v34
	s_movk_i32 s8, 0x80
	v_cmp_ne_u32_e32 vcc, s8, v40
	v_mov_b32_e32 v49, 0xffff8000
	s_and_saveexec_b64 s[8:9], vcc
	s_cbranch_execz .LBB677_33
; %bb.30:
	v_bfe_u32 v42, v34, 24, 7
	s_movk_i32 s11, 0x7f
	v_cmp_ne_u32_e32 vcc, s11, v42
	v_mov_b32_e32 v49, 0x7f80
	s_and_saveexec_b64 s[20:21], vcc
	s_cbranch_execz .LBB677_32
; %bb.31:
	v_and_b32_e32 v49, 7, v40
	v_ffbh_u32_e32 v50, v49
	v_min_u32_e32 v53, 32, v50
	v_subrev_u32_e32 v50, 28, v53
	v_lshlrev_b64 v[50:51], v50, v[40:41]
	v_lshrrev_b32_e32 v52, 3, v42
	v_sub_u32_e32 v51, 29, v53
	v_and_b32_e32 v50, 7, v50
	v_cmp_gt_u32_e32 vcc, 8, v42
	v_cndmask_b32_e32 v42, v52, v51, vcc
	v_cndmask_b32_e32 v49, v49, v50, vcc
	v_lshlrev_b32_e32 v40, 24, v40
	v_bfrev_b32_e32 v50, 60
	v_lshlrev_b32_e32 v49, 20, v49
	v_and_b32_e32 v40, 0x80000000, v40
	v_lshl_add_u32 v42, v42, 23, v50
	v_or3_b32 v40, v40, v42, v49
	v_lshrrev_b32_e32 v49, 16, v40
.LBB677_32:
	s_or_b64 exec, exec, s[20:21]
.LBB677_33:
	s_or_b64 exec, exec, s[8:9]
.LBB677_34:
	s_or_b64 exec, exec, s[2:3]
	v_mov_b32_e32 v50, 0
	v_mov_b32_e32 v40, v35
	v_cmp_ne_u16_sdwa s[8:9], v35, v50 src0_sel:BYTE_0 src1_sel:DWORD
	v_mov_b32_e32 v51, 0
	s_and_saveexec_b64 s[2:3], s[8:9]
	s_cbranch_execz .LBB677_40
; %bb.35:
	s_movk_i32 s8, 0x80
	v_cmp_ne_u16_sdwa s[20:21], v35, s8 src0_sel:BYTE_0 src1_sel:DWORD
	v_mov_b32_e32 v51, 0xffff8000
	s_and_saveexec_b64 s[8:9], s[20:21]
	s_cbranch_execz .LBB677_39
; %bb.36:
	s_movk_i32 s11, 0x7f
	v_and_b32_e32 v42, 0x7f, v35
	v_cmp_ne_u32_e32 vcc, s11, v42
	v_mov_b32_e32 v51, 0x7f80
	s_and_saveexec_b64 s[20:21], vcc
	s_cbranch_execz .LBB677_38
; %bb.37:
	v_and_b32_e32 v51, 7, v35
	v_ffbh_u32_e32 v51, v51
	v_min_u32_e32 v51, 32, v51
	v_lshrrev_b32_e32 v52, 3, v42
	v_subrev_u32_e32 v53, 28, v51
	v_sub_u32_e32 v51, 29, v51
	v_cmp_gt_u32_e32 vcc, 8, v42
	v_cndmask_b32_e32 v42, v52, v51, vcc
	v_cndmask_b32_e32 v51, 0, v53, vcc
	v_lshlrev_b64 v[52:53], v51, v[40:41]
	v_lshlrev_b32_e32 v41, 20, v52
	v_lshlrev_b32_e32 v51, 24, v40
	v_bfrev_b32_e32 v52, 60
	v_and_b32_e32 v41, 0x700000, v41
	v_and_b32_e32 v51, 0x80000000, v51
	v_lshl_add_u32 v42, v42, 23, v52
	v_or3_b32 v41, v51, v42, v41
	v_lshrrev_b32_e32 v51, 16, v41
.LBB677_38:
	s_or_b64 exec, exec, s[20:21]
.LBB677_39:
	s_or_b64 exec, exec, s[8:9]
.LBB677_40:
	s_or_b64 exec, exec, s[2:3]
	v_lshrrev_b16_e32 v42, 8, v40
	v_cmp_ne_u16_e32 vcc, 0, v42
	s_and_saveexec_b64 s[2:3], vcc
	s_cbranch_execz .LBB677_46
; %bb.41:
	s_movk_i32 s8, 0x80
	v_cmp_ne_u16_e32 vcc, s8, v42
	v_mov_b32_e32 v50, 0xffff8000
	s_and_saveexec_b64 s[8:9], vcc
	s_cbranch_execz .LBB677_45
; %bb.42:
	s_movk_i32 s11, 0x7f
	v_and_b32_e32 v41, 0x7f, v42
	v_cmp_ne_u32_e32 vcc, s11, v41
	v_mov_b32_e32 v50, 0x7f80
	s_and_saveexec_b64 s[20:21], vcc
	s_cbranch_execz .LBB677_44
; %bb.43:
	v_and_b32_e32 v50, 7, v42
	v_ffbh_u32_e32 v52, v50
	v_min_u32_e32 v55, 32, v52
	v_subrev_u32_e32 v52, 28, v55
	v_lshlrev_b64 v[52:53], v52, v[42:43]
	v_lshrrev_b32_e32 v54, 3, v41
	v_sub_u32_e32 v42, 29, v55
	v_and_b32_e32 v52, 7, v52
	v_cmp_gt_u32_e32 vcc, 8, v41
	v_cndmask_b32_e32 v41, v54, v42, vcc
	v_cndmask_b32_e32 v42, v50, v52, vcc
	v_lshlrev_b32_e32 v40, 16, v40
	v_bfrev_b32_e32 v50, 60
	v_lshlrev_b32_e32 v42, 20, v42
	v_and_b32_e32 v40, 0x80000000, v40
	v_lshl_add_u32 v41, v41, 23, v50
	v_or3_b32 v40, v40, v41, v42
	v_lshrrev_b32_e32 v50, 16, v40
.LBB677_44:
	s_or_b64 exec, exec, s[20:21]
.LBB677_45:
	s_or_b64 exec, exec, s[8:9]
.LBB677_46:
	s_or_b64 exec, exec, s[2:3]
	s_movk_i32 s2, 0xff
	v_and_b32_sdwa v52, v35, s2 dst_sel:DWORD dst_unused:UNUSED_PAD src0_sel:WORD_1 src1_sel:DWORD
	v_lshrrev_b32_e32 v40, 16, v35
	v_cmp_ne_u16_e32 vcc, 0, v52
	v_mov_b32_e32 v41, 0
	v_mov_b32_e32 v42, 0
	s_and_saveexec_b64 s[2:3], vcc
	s_cbranch_execz .LBB677_52
; %bb.47:
	s_movk_i32 s8, 0x80
	v_cmp_ne_u16_e32 vcc, s8, v52
	v_mov_b32_e32 v42, 0xffff8000
	s_and_saveexec_b64 s[8:9], vcc
	s_cbranch_execz .LBB677_51
; %bb.48:
	v_bfe_u32 v52, v35, 16, 7
	s_movk_i32 s11, 0x7f
	v_cmp_ne_u32_e32 vcc, s11, v52
	v_mov_b32_e32 v42, 0x7f80
	s_and_saveexec_b64 s[20:21], vcc
	s_cbranch_execz .LBB677_50
; %bb.49:
	v_and_b32_e32 v42, 7, v40
	v_ffbh_u32_e32 v54, v42
	v_min_u32_e32 v56, 32, v54
	v_subrev_u32_e32 v54, 28, v56
	v_lshlrev_b64 v[54:55], v54, v[40:41]
	v_lshrrev_b32_e32 v53, 3, v52
	v_sub_u32_e32 v40, 29, v56
	v_and_b32_e32 v54, 7, v54
	v_cmp_gt_u32_e32 vcc, 8, v52
	v_mov_b32_e32 v52, 24
	v_cndmask_b32_e32 v40, v53, v40, vcc
	v_cndmask_b32_e32 v42, v42, v54, vcc
	v_lshlrev_b32_sdwa v52, v52, v35 dst_sel:DWORD dst_unused:UNUSED_PAD src0_sel:DWORD src1_sel:WORD_1
	v_bfrev_b32_e32 v53, 60
	v_lshlrev_b32_e32 v42, 20, v42
	v_and_b32_e32 v52, 0x80000000, v52
	v_lshl_add_u32 v40, v40, 23, v53
	v_or3_b32 v40, v52, v40, v42
	v_lshrrev_b32_e32 v42, 16, v40
.LBB677_50:
	s_or_b64 exec, exec, s[20:21]
.LBB677_51:
	s_or_b64 exec, exec, s[8:9]
.LBB677_52:
	s_or_b64 exec, exec, s[2:3]
	s_mov_b32 s2, -1
	s_mov_b32 s3, 0xffffff
	v_cmp_lt_u64_e32 vcc, s[2:3], v[34:35]
	s_and_saveexec_b64 s[2:3], vcc
	s_cbranch_execz .LBB677_58
; %bb.53:
	v_lshrrev_b32_e32 v34, 24, v35
	s_movk_i32 s8, 0x80
	v_cmp_ne_u32_e32 vcc, s8, v34
	v_mov_b32_e32 v41, 0xffff8000
	s_and_saveexec_b64 s[8:9], vcc
	s_cbranch_execz .LBB677_57
; %bb.54:
	v_bfe_u32 v35, v35, 24, 7
	s_movk_i32 s11, 0x7f
	v_cmp_ne_u32_e32 vcc, s11, v35
	v_mov_b32_e32 v41, 0x7f80
	s_and_saveexec_b64 s[20:21], vcc
	s_cbranch_execz .LBB677_56
; %bb.55:
	v_and_b32_e32 v52, 7, v34
	v_ffbh_u32_e32 v40, v52
	v_min_u32_e32 v54, 32, v40
	v_subrev_u32_e32 v40, 28, v54
	v_lshlrev_b64 v[40:41], v40, v[34:35]
	v_lshrrev_b32_e32 v53, 3, v35
	v_sub_u32_e32 v41, 29, v54
	v_and_b32_e32 v40, 7, v40
	v_cmp_gt_u32_e32 vcc, 8, v35
	v_cndmask_b32_e32 v35, v53, v41, vcc
	v_cndmask_b32_e32 v40, v52, v40, vcc
	v_lshlrev_b32_e32 v34, 24, v34
	v_bfrev_b32_e32 v41, 60
	v_lshlrev_b32_e32 v40, 20, v40
	v_and_b32_e32 v34, 0x80000000, v34
	v_lshl_add_u32 v35, v35, 23, v41
	v_or3_b32 v34, v34, v35, v40
	v_lshrrev_b32_e32 v41, 16, v34
.LBB677_56:
	s_or_b64 exec, exec, s[20:21]
.LBB677_57:
	s_or_b64 exec, exec, s[8:9]
.LBB677_58:
	s_or_b64 exec, exec, s[2:3]
	s_mov_b32 s2, 0x5040100
	v_perm_b32 v35, v49, v48, s2
	v_perm_b32 v34, v39, v47, s2
	;; [unrolled: 1-line block ×4, first 2 shown]
	v_mfma_f32_4x4x4bf16_1k a[0:3], v[18:19], v[34:35], 0 cbsz:4
	v_mov_b32_e32 v39, 0
	v_mfma_f32_4x4x4bf16_1k a[0:3], v[20:21], v[40:41], a[0:3] cbsz:4
	v_mov_b32_e32 v41, 0
	v_cmp_ne_u16_sdwa s[8:9], v36, v41 src0_sel:BYTE_0 src1_sel:DWORD
	s_and_saveexec_b64 s[2:3], s[8:9]
	s_cbranch_execz .LBB677_64
; %bb.59:
	s_movk_i32 s8, 0x80
	v_cmp_ne_u16_sdwa s[20:21], v36, s8 src0_sel:BYTE_0 src1_sel:DWORD
	v_mov_b32_e32 v39, 0xffff8000
	s_and_saveexec_b64 s[8:9], s[20:21]
	s_cbranch_execz .LBB677_63
; %bb.60:
	s_movk_i32 s11, 0x7f
	v_and_b32_e32 v34, 0x7f, v36
	v_cmp_ne_u32_e32 vcc, s11, v34
	v_mov_b32_e32 v39, 0x7f80
	s_and_saveexec_b64 s[20:21], vcc
	s_cbranch_execz .LBB677_62
; %bb.61:
	v_and_b32_e32 v35, 7, v36
	v_ffbh_u32_e32 v35, v35
	v_min_u32_e32 v35, 32, v35
	v_subrev_u32_e32 v40, 28, v35
	v_cmp_gt_u32_e32 vcc, 8, v34
	v_lshrrev_b32_e32 v39, 3, v34
	v_sub_u32_e32 v35, 29, v35
	v_cndmask_b32_e32 v34, 0, v40, vcc
	v_cndmask_b32_e32 v39, v39, v35, vcc
	v_lshlrev_b64 v[34:35], v34, v[36:37]
	v_lshlrev_b32_e32 v34, 20, v34
	v_lshlrev_b32_e32 v35, 24, v36
	v_bfrev_b32_e32 v40, 60
	v_and_b32_e32 v34, 0x700000, v34
	v_and_b32_e32 v35, 0x80000000, v35
	v_lshl_add_u32 v39, v39, 23, v40
	v_or3_b32 v34, v35, v39, v34
	v_lshrrev_b32_e32 v39, 16, v34
.LBB677_62:
	s_or_b64 exec, exec, s[20:21]
.LBB677_63:
	s_or_b64 exec, exec, s[8:9]
.LBB677_64:
	s_or_b64 exec, exec, s[2:3]
	v_lshrrev_b16_e32 v34, 8, v36
	v_cmp_ne_u16_e32 vcc, 0, v34
	s_and_saveexec_b64 s[2:3], vcc
	s_cbranch_execz .LBB677_70
; %bb.65:
	s_movk_i32 s8, 0x80
	v_cmp_ne_u16_e32 vcc, s8, v34
	v_mov_b32_e32 v41, 0xffff8000
	s_and_saveexec_b64 s[8:9], vcc
	s_cbranch_execz .LBB677_69
; %bb.66:
	s_movk_i32 s11, 0x7f
	v_and_b32_e32 v35, 0x7f, v34
	v_cmp_ne_u32_e32 vcc, s11, v35
	v_mov_b32_e32 v41, 0x7f80
	s_and_saveexec_b64 s[20:21], vcc
	s_cbranch_execz .LBB677_68
; %bb.67:
	v_and_b32_e32 v42, 7, v34
	v_ffbh_u32_e32 v40, v42
	v_min_u32_e32 v48, 32, v40
	v_subrev_u32_e32 v40, 28, v48
	v_lshlrev_b64 v[40:41], v40, v[34:35]
	v_lshrrev_b32_e32 v47, 3, v35
	v_sub_u32_e32 v34, 29, v48
	v_and_b32_e32 v40, 7, v40
	v_cmp_gt_u32_e32 vcc, 8, v35
	v_cndmask_b32_e32 v34, v47, v34, vcc
	v_cndmask_b32_e32 v35, v42, v40, vcc
	v_lshlrev_b32_e32 v40, 16, v36
	v_bfrev_b32_e32 v41, 60
	v_lshlrev_b32_e32 v35, 20, v35
	v_and_b32_e32 v40, 0x80000000, v40
	v_lshl_add_u32 v34, v34, 23, v41
	v_or3_b32 v34, v40, v34, v35
	v_lshrrev_b32_e32 v41, 16, v34
.LBB677_68:
	s_or_b64 exec, exec, s[20:21]
.LBB677_69:
	s_or_b64 exec, exec, s[8:9]
.LBB677_70:
	s_or_b64 exec, exec, s[2:3]
	s_movk_i32 s2, 0xff
	v_and_b32_sdwa v40, v36, s2 dst_sel:DWORD dst_unused:UNUSED_PAD src0_sel:WORD_1 src1_sel:DWORD
	v_lshrrev_b32_e32 v34, 16, v36
	v_cmp_ne_u16_e32 vcc, 0, v40
	v_mov_b32_e32 v35, 0
	v_mov_b32_e32 v42, 0
	s_and_saveexec_b64 s[2:3], vcc
	s_cbranch_execz .LBB677_76
; %bb.71:
	s_movk_i32 s8, 0x80
	v_cmp_ne_u16_e32 vcc, s8, v40
	v_mov_b32_e32 v42, 0xffff8000
	s_and_saveexec_b64 s[8:9], vcc
	s_cbranch_execz .LBB677_75
; %bb.72:
	v_bfe_u32 v40, v36, 16, 7
	s_movk_i32 s11, 0x7f
	v_cmp_ne_u32_e32 vcc, s11, v40
	v_mov_b32_e32 v42, 0x7f80
	s_and_saveexec_b64 s[20:21], vcc
	s_cbranch_execz .LBB677_74
; %bb.73:
	v_and_b32_e32 v42, 7, v34
	v_ffbh_u32_e32 v48, v42
	v_min_u32_e32 v50, 32, v48
	v_subrev_u32_e32 v48, 28, v50
	v_lshlrev_b64 v[48:49], v48, v[34:35]
	v_and_b32_e32 v48, 7, v48
	v_cmp_gt_u32_e32 vcc, 8, v40
	v_lshrrev_b32_e32 v47, 3, v40
	v_sub_u32_e32 v34, 29, v50
	v_cndmask_b32_e32 v40, v42, v48, vcc
	v_mov_b32_e32 v42, 24
	v_cndmask_b32_e32 v34, v47, v34, vcc
	v_lshlrev_b32_sdwa v42, v42, v36 dst_sel:DWORD dst_unused:UNUSED_PAD src0_sel:DWORD src1_sel:WORD_1
	v_bfrev_b32_e32 v47, 60
	v_lshlrev_b32_e32 v40, 20, v40
	v_and_b32_e32 v42, 0x80000000, v42
	v_lshl_add_u32 v34, v34, 23, v47
	v_or3_b32 v34, v42, v34, v40
	v_lshrrev_b32_e32 v42, 16, v34
.LBB677_74:
	s_or_b64 exec, exec, s[20:21]
.LBB677_75:
	s_or_b64 exec, exec, s[8:9]
.LBB677_76:
	s_or_b64 exec, exec, s[2:3]
	s_mov_b32 s2, 0xffffff
	v_cmp_lt_u32_e32 vcc, s2, v36
	v_mov_b32_e32 v47, 0
	s_and_saveexec_b64 s[2:3], vcc
	s_cbranch_execz .LBB677_82
; %bb.77:
	v_lshrrev_b32_e32 v34, 24, v36
	s_movk_i32 s8, 0x80
	v_cmp_ne_u32_e32 vcc, s8, v34
	v_mov_b32_e32 v47, 0xffff8000
	s_and_saveexec_b64 s[8:9], vcc
	s_cbranch_execz .LBB677_81
; %bb.78:
	v_bfe_u32 v40, v36, 24, 7
	s_movk_i32 s11, 0x7f
	v_cmp_ne_u32_e32 vcc, s11, v40
	v_mov_b32_e32 v47, 0x7f80
	s_and_saveexec_b64 s[20:21], vcc
	s_cbranch_execz .LBB677_80
; %bb.79:
	v_and_b32_e32 v47, 7, v34
	v_ffbh_u32_e32 v48, v47
	v_min_u32_e32 v51, 32, v48
	v_subrev_u32_e32 v48, 28, v51
	v_lshlrev_b64 v[48:49], v48, v[34:35]
	v_lshrrev_b32_e32 v50, 3, v40
	v_sub_u32_e32 v49, 29, v51
	v_and_b32_e32 v48, 7, v48
	v_cmp_gt_u32_e32 vcc, 8, v40
	v_cndmask_b32_e32 v40, v50, v49, vcc
	v_cndmask_b32_e32 v47, v47, v48, vcc
	v_lshlrev_b32_e32 v34, 24, v34
	v_bfrev_b32_e32 v48, 60
	v_lshlrev_b32_e32 v47, 20, v47
	v_and_b32_e32 v34, 0x80000000, v34
	v_lshl_add_u32 v40, v40, 23, v48
	v_or3_b32 v34, v34, v40, v47
	v_lshrrev_b32_e32 v47, 16, v34
.LBB677_80:
	s_or_b64 exec, exec, s[20:21]
.LBB677_81:
	s_or_b64 exec, exec, s[8:9]
.LBB677_82:
	s_or_b64 exec, exec, s[2:3]
	v_mov_b32_e32 v48, 0
	v_mov_b32_e32 v34, v37
	v_cmp_ne_u16_sdwa s[8:9], v37, v48 src0_sel:BYTE_0 src1_sel:DWORD
	v_mov_b32_e32 v49, 0
	s_and_saveexec_b64 s[2:3], s[8:9]
	s_cbranch_execz .LBB677_88
; %bb.83:
	s_movk_i32 s8, 0x80
	v_cmp_ne_u16_sdwa s[20:21], v37, s8 src0_sel:BYTE_0 src1_sel:DWORD
	v_mov_b32_e32 v49, 0xffff8000
	s_and_saveexec_b64 s[8:9], s[20:21]
	s_cbranch_execz .LBB677_87
; %bb.84:
	s_movk_i32 s11, 0x7f
	v_and_b32_e32 v40, 0x7f, v37
	v_cmp_ne_u32_e32 vcc, s11, v40
	v_mov_b32_e32 v49, 0x7f80
	s_and_saveexec_b64 s[20:21], vcc
	s_cbranch_execz .LBB677_86
; %bb.85:
	v_and_b32_e32 v49, 7, v37
	v_ffbh_u32_e32 v49, v49
	v_min_u32_e32 v49, 32, v49
	v_lshrrev_b32_e32 v50, 3, v40
	v_subrev_u32_e32 v51, 28, v49
	v_sub_u32_e32 v49, 29, v49
	v_cmp_gt_u32_e32 vcc, 8, v40
	v_cndmask_b32_e32 v40, v50, v49, vcc
	v_cndmask_b32_e32 v49, 0, v51, vcc
	v_lshlrev_b64 v[50:51], v49, v[34:35]
	v_lshlrev_b32_e32 v35, 20, v50
	v_lshlrev_b32_e32 v49, 24, v34
	v_bfrev_b32_e32 v50, 60
	v_and_b32_e32 v35, 0x700000, v35
	v_and_b32_e32 v49, 0x80000000, v49
	v_lshl_add_u32 v40, v40, 23, v50
	v_or3_b32 v35, v49, v40, v35
	v_lshrrev_b32_e32 v49, 16, v35
.LBB677_86:
	s_or_b64 exec, exec, s[20:21]
.LBB677_87:
	s_or_b64 exec, exec, s[8:9]
.LBB677_88:
	s_or_b64 exec, exec, s[2:3]
	v_lshrrev_b16_e32 v40, 8, v34
	v_cmp_ne_u16_e32 vcc, 0, v40
	s_and_saveexec_b64 s[2:3], vcc
	s_cbranch_execz .LBB677_94
; %bb.89:
	s_movk_i32 s8, 0x80
	v_cmp_ne_u16_e32 vcc, s8, v40
	v_mov_b32_e32 v48, 0xffff8000
	s_and_saveexec_b64 s[8:9], vcc
	s_cbranch_execz .LBB677_93
; %bb.90:
	s_movk_i32 s11, 0x7f
	v_and_b32_e32 v35, 0x7f, v40
	v_cmp_ne_u32_e32 vcc, s11, v35
	v_mov_b32_e32 v48, 0x7f80
	s_and_saveexec_b64 s[20:21], vcc
	s_cbranch_execz .LBB677_92
; %bb.91:
	v_and_b32_e32 v48, 7, v40
	v_ffbh_u32_e32 v50, v48
	v_min_u32_e32 v53, 32, v50
	v_subrev_u32_e32 v50, 28, v53
	v_lshlrev_b64 v[50:51], v50, v[40:41]
	v_lshrrev_b32_e32 v52, 3, v35
	v_sub_u32_e32 v40, 29, v53
	v_and_b32_e32 v50, 7, v50
	v_cmp_gt_u32_e32 vcc, 8, v35
	v_cndmask_b32_e32 v35, v52, v40, vcc
	v_cndmask_b32_e32 v40, v48, v50, vcc
	v_lshlrev_b32_e32 v34, 16, v34
	v_bfrev_b32_e32 v48, 60
	v_lshlrev_b32_e32 v40, 20, v40
	v_and_b32_e32 v34, 0x80000000, v34
	v_lshl_add_u32 v35, v35, 23, v48
	v_or3_b32 v34, v34, v35, v40
	v_lshrrev_b32_e32 v48, 16, v34
.LBB677_92:
	s_or_b64 exec, exec, s[20:21]
.LBB677_93:
	s_or_b64 exec, exec, s[8:9]
.LBB677_94:
	s_or_b64 exec, exec, s[2:3]
	s_movk_i32 s2, 0xff
	v_and_b32_sdwa v50, v37, s2 dst_sel:DWORD dst_unused:UNUSED_PAD src0_sel:WORD_1 src1_sel:DWORD
	v_lshrrev_b32_e32 v34, 16, v37
	v_cmp_ne_u16_e32 vcc, 0, v50
	v_mov_b32_e32 v35, 0
	v_mov_b32_e32 v40, 0
	s_and_saveexec_b64 s[2:3], vcc
	s_cbranch_execz .LBB677_100
; %bb.95:
	s_movk_i32 s8, 0x80
	v_cmp_ne_u16_e32 vcc, s8, v50
	v_mov_b32_e32 v40, 0xffff8000
	s_and_saveexec_b64 s[8:9], vcc
	s_cbranch_execz .LBB677_99
; %bb.96:
	v_bfe_u32 v50, v37, 16, 7
	s_movk_i32 s11, 0x7f
	v_cmp_ne_u32_e32 vcc, s11, v50
	v_mov_b32_e32 v40, 0x7f80
	s_and_saveexec_b64 s[20:21], vcc
	s_cbranch_execz .LBB677_98
; %bb.97:
	v_and_b32_e32 v40, 7, v34
	v_ffbh_u32_e32 v52, v40
	v_min_u32_e32 v54, 32, v52
	v_subrev_u32_e32 v52, 28, v54
	v_lshlrev_b64 v[52:53], v52, v[34:35]
	v_lshrrev_b32_e32 v51, 3, v50
	v_sub_u32_e32 v34, 29, v54
	v_and_b32_e32 v52, 7, v52
	v_cmp_gt_u32_e32 vcc, 8, v50
	v_mov_b32_e32 v50, 24
	v_cndmask_b32_e32 v34, v51, v34, vcc
	v_cndmask_b32_e32 v40, v40, v52, vcc
	v_lshlrev_b32_sdwa v50, v50, v37 dst_sel:DWORD dst_unused:UNUSED_PAD src0_sel:DWORD src1_sel:WORD_1
	v_bfrev_b32_e32 v51, 60
	v_lshlrev_b32_e32 v40, 20, v40
	v_and_b32_e32 v50, 0x80000000, v50
	v_lshl_add_u32 v34, v34, 23, v51
	v_or3_b32 v34, v50, v34, v40
	v_lshrrev_b32_e32 v40, 16, v34
.LBB677_98:
	s_or_b64 exec, exec, s[20:21]
.LBB677_99:
	s_or_b64 exec, exec, s[8:9]
.LBB677_100:
	s_or_b64 exec, exec, s[2:3]
	s_mov_b32 s2, -1
	s_mov_b32 s3, 0xffffff
	v_cmp_lt_u64_e32 vcc, s[2:3], v[36:37]
	s_and_saveexec_b64 s[2:3], vcc
	s_cbranch_execz .LBB677_106
; %bb.101:
	v_lshrrev_b32_e32 v34, 24, v37
	s_movk_i32 s8, 0x80
	v_cmp_ne_u32_e32 vcc, s8, v34
	v_mov_b32_e32 v35, 0xffff8000
	s_and_saveexec_b64 s[8:9], vcc
	s_cbranch_execz .LBB677_105
; %bb.102:
	v_bfe_u32 v36, v37, 24, 7
	s_movk_i32 s11, 0x7f
	v_cmp_ne_u32_e32 vcc, s11, v36
	v_mov_b32_e32 v35, 0x7f80
	s_and_saveexec_b64 s[20:21], vcc
	s_cbranch_execz .LBB677_104
; %bb.103:
	v_and_b32_e32 v35, 7, v34
	v_ffbh_u32_e32 v50, v35
	v_min_u32_e32 v52, 32, v50
	v_subrev_u32_e32 v50, 28, v52
	v_lshlrev_b64 v[50:51], v50, v[34:35]
	v_lshrrev_b32_e32 v37, 3, v36
	v_sub_u32_e32 v51, 29, v52
	v_and_b32_e32 v50, 7, v50
	v_cmp_gt_u32_e32 vcc, 8, v36
	v_cndmask_b32_e32 v36, v37, v51, vcc
	v_cndmask_b32_e32 v35, v35, v50, vcc
	v_lshlrev_b32_e32 v34, 24, v34
	v_bfrev_b32_e32 v37, 60
	v_lshlrev_b32_e32 v35, 20, v35
	v_and_b32_e32 v34, 0x80000000, v34
	v_lshl_add_u32 v36, v36, 23, v37
	v_or3_b32 v34, v34, v36, v35
	v_lshrrev_b32_e32 v35, 16, v34
.LBB677_104:
	s_or_b64 exec, exec, s[20:21]
.LBB677_105:
	s_or_b64 exec, exec, s[8:9]
.LBB677_106:
	s_or_b64 exec, exec, s[2:3]
	s_mov_b32 s2, 0x5040100
	v_perm_b32 v37, v47, v42, s2
	v_perm_b32 v36, v41, v39, s2
	;; [unrolled: 1-line block ×4, first 2 shown]
	v_mfma_f32_4x4x4bf16_1k a[0:3], v[18:19], v[36:37], a[0:3] cbsz:4 abid:1
	v_mov_b32_e32 v37, 0
	v_mfma_f32_4x4x4bf16_1k a[0:3], v[20:21], v[34:35], a[0:3] cbsz:4 abid:1
	s_waitcnt vmcnt(7)
	v_cmp_ne_u16_sdwa s[8:9], v30, v37 src0_sel:BYTE_0 src1_sel:DWORD
	v_mov_b32_e32 v39, 0
	s_and_saveexec_b64 s[2:3], s[8:9]
	s_cbranch_execz .LBB677_112
; %bb.107:
	s_movk_i32 s8, 0x80
	v_cmp_ne_u16_sdwa s[20:21], v30, s8 src0_sel:BYTE_0 src1_sel:DWORD
	v_mov_b32_e32 v39, 0xffff8000
	s_and_saveexec_b64 s[8:9], s[20:21]
	s_cbranch_execz .LBB677_111
; %bb.108:
	s_movk_i32 s11, 0x7f
	v_and_b32_e32 v34, 0x7f, v30
	v_cmp_ne_u32_e32 vcc, s11, v34
	v_mov_b32_e32 v39, 0x7f80
	s_and_saveexec_b64 s[20:21], vcc
	s_cbranch_execz .LBB677_110
; %bb.109:
	v_and_b32_e32 v35, 7, v30
	v_ffbh_u32_e32 v35, v35
	v_min_u32_e32 v35, 32, v35
	v_subrev_u32_e32 v39, 28, v35
	v_cmp_gt_u32_e32 vcc, 8, v34
	v_lshrrev_b32_e32 v36, 3, v34
	v_sub_u32_e32 v35, 29, v35
	v_cndmask_b32_e32 v34, 0, v39, vcc
	v_cndmask_b32_e32 v36, v36, v35, vcc
	v_lshlrev_b64 v[34:35], v34, v[30:31]
	v_lshlrev_b32_e32 v34, 20, v34
	v_lshlrev_b32_e32 v35, 24, v30
	v_bfrev_b32_e32 v39, 60
	v_and_b32_e32 v34, 0x700000, v34
	v_and_b32_e32 v35, 0x80000000, v35
	v_lshl_add_u32 v36, v36, 23, v39
	v_or3_b32 v34, v35, v36, v34
	v_lshrrev_b32_e32 v39, 16, v34
.LBB677_110:
	s_or_b64 exec, exec, s[20:21]
.LBB677_111:
	s_or_b64 exec, exec, s[8:9]
.LBB677_112:
	s_or_b64 exec, exec, s[2:3]
	v_lshrrev_b16_e32 v34, 8, v30
	v_cmp_ne_u16_e32 vcc, 0, v34
	s_and_saveexec_b64 s[2:3], vcc
	s_cbranch_execz .LBB677_118
; %bb.113:
	s_movk_i32 s8, 0x80
	v_cmp_ne_u16_e32 vcc, s8, v34
	v_mov_b32_e32 v37, 0xffff8000
	s_and_saveexec_b64 s[8:9], vcc
	s_cbranch_execz .LBB677_117
; %bb.114:
	s_movk_i32 s11, 0x7f
	v_and_b32_e32 v35, 0x7f, v34
	v_cmp_ne_u32_e32 vcc, s11, v35
	v_mov_b32_e32 v37, 0x7f80
	s_and_saveexec_b64 s[20:21], vcc
	s_cbranch_execz .LBB677_116
; %bb.115:
	v_and_b32_e32 v40, 7, v34
	v_ffbh_u32_e32 v36, v40
	v_min_u32_e32 v42, 32, v36
	v_subrev_u32_e32 v36, 28, v42
	v_lshlrev_b64 v[36:37], v36, v[34:35]
	v_lshrrev_b32_e32 v41, 3, v35
	v_sub_u32_e32 v34, 29, v42
	v_and_b32_e32 v36, 7, v36
	v_cmp_gt_u32_e32 vcc, 8, v35
	v_cndmask_b32_e32 v34, v41, v34, vcc
	v_cndmask_b32_e32 v35, v40, v36, vcc
	v_lshlrev_b32_e32 v36, 16, v30
	v_bfrev_b32_e32 v37, 60
	v_lshlrev_b32_e32 v35, 20, v35
	v_and_b32_e32 v36, 0x80000000, v36
	v_lshl_add_u32 v34, v34, 23, v37
	v_or3_b32 v34, v36, v34, v35
	v_lshrrev_b32_e32 v37, 16, v34
.LBB677_116:
	s_or_b64 exec, exec, s[20:21]
.LBB677_117:
	s_or_b64 exec, exec, s[8:9]
.LBB677_118:
	s_or_b64 exec, exec, s[2:3]
	s_movk_i32 s2, 0xff
	v_and_b32_sdwa v36, v30, s2 dst_sel:DWORD dst_unused:UNUSED_PAD src0_sel:WORD_1 src1_sel:DWORD
	v_lshrrev_b32_e32 v34, 16, v30
	v_cmp_ne_u16_e32 vcc, 0, v36
	v_mov_b32_e32 v35, 0
	v_mov_b32_e32 v40, 0
	s_and_saveexec_b64 s[2:3], vcc
	s_cbranch_execz .LBB677_124
; %bb.119:
	s_movk_i32 s8, 0x80
	v_cmp_ne_u16_e32 vcc, s8, v36
	v_mov_b32_e32 v40, 0xffff8000
	s_and_saveexec_b64 s[8:9], vcc
	s_cbranch_execz .LBB677_123
; %bb.120:
	v_bfe_u32 v36, v30, 16, 7
	s_movk_i32 s11, 0x7f
	v_cmp_ne_u32_e32 vcc, s11, v36
	v_mov_b32_e32 v40, 0x7f80
	s_and_saveexec_b64 s[20:21], vcc
	s_cbranch_execz .LBB677_122
; %bb.121:
	v_and_b32_e32 v42, 7, v34
	v_ffbh_u32_e32 v40, v42
	v_min_u32_e32 v48, 32, v40
	v_subrev_u32_e32 v40, 28, v48
	v_lshlrev_b64 v[40:41], v40, v[34:35]
	v_and_b32_e32 v40, 7, v40
	v_cmp_gt_u32_e32 vcc, 8, v36
	v_lshrrev_b32_e32 v47, 3, v36
	v_sub_u32_e32 v34, 29, v48
	v_cndmask_b32_e32 v36, v42, v40, vcc
	v_mov_b32_e32 v40, 24
	v_cndmask_b32_e32 v34, v47, v34, vcc
	v_lshlrev_b32_sdwa v40, v40, v30 dst_sel:DWORD dst_unused:UNUSED_PAD src0_sel:DWORD src1_sel:WORD_1
	v_bfrev_b32_e32 v41, 60
	v_lshlrev_b32_e32 v36, 20, v36
	v_and_b32_e32 v40, 0x80000000, v40
	v_lshl_add_u32 v34, v34, 23, v41
	v_or3_b32 v34, v40, v34, v36
	v_lshrrev_b32_e32 v40, 16, v34
.LBB677_122:
	s_or_b64 exec, exec, s[20:21]
.LBB677_123:
	s_or_b64 exec, exec, s[8:9]
.LBB677_124:
	s_or_b64 exec, exec, s[2:3]
	s_mov_b32 s2, 0xffffff
	v_cmp_lt_u32_e32 vcc, s2, v30
	v_mov_b32_e32 v41, 0
	s_and_saveexec_b64 s[2:3], vcc
	s_cbranch_execz .LBB677_130
; %bb.125:
	v_lshrrev_b32_e32 v34, 24, v30
	s_movk_i32 s8, 0x80
	v_cmp_ne_u32_e32 vcc, s8, v34
	v_mov_b32_e32 v41, 0xffff8000
	s_and_saveexec_b64 s[8:9], vcc
	s_cbranch_execz .LBB677_129
; %bb.126:
	v_bfe_u32 v36, v30, 24, 7
	s_movk_i32 s11, 0x7f
	v_cmp_ne_u32_e32 vcc, s11, v36
	v_mov_b32_e32 v41, 0x7f80
	s_and_saveexec_b64 s[20:21], vcc
	s_cbranch_execz .LBB677_128
; %bb.127:
	v_and_b32_e32 v41, 7, v34
	v_ffbh_u32_e32 v47, v41
	v_min_u32_e32 v47, 32, v47
	v_subrev_u32_e32 v48, 28, v47
	v_lshlrev_b64 v[48:49], v48, v[34:35]
	v_lshrrev_b32_e32 v42, 3, v36
	v_sub_u32_e32 v47, 29, v47
	v_and_b32_e32 v48, 7, v48
	v_cmp_gt_u32_e32 vcc, 8, v36
	v_cndmask_b32_e32 v36, v42, v47, vcc
	v_cndmask_b32_e32 v41, v41, v48, vcc
	v_lshlrev_b32_e32 v34, 24, v34
	v_bfrev_b32_e32 v42, 60
	v_lshlrev_b32_e32 v41, 20, v41
	v_and_b32_e32 v34, 0x80000000, v34
	v_lshl_add_u32 v36, v36, 23, v42
	v_or3_b32 v34, v34, v36, v41
	v_lshrrev_b32_e32 v41, 16, v34
.LBB677_128:
	s_or_b64 exec, exec, s[20:21]
.LBB677_129:
	s_or_b64 exec, exec, s[8:9]
.LBB677_130:
	s_or_b64 exec, exec, s[2:3]
	v_mov_b32_e32 v42, 0
	v_mov_b32_e32 v34, v31
	v_cmp_ne_u16_sdwa s[8:9], v31, v42 src0_sel:BYTE_0 src1_sel:DWORD
	v_mov_b32_e32 v47, 0
	s_and_saveexec_b64 s[2:3], s[8:9]
	s_cbranch_execz .LBB677_136
; %bb.131:
	s_movk_i32 s8, 0x80
	v_cmp_ne_u16_sdwa s[20:21], v31, s8 src0_sel:BYTE_0 src1_sel:DWORD
	v_mov_b32_e32 v47, 0xffff8000
	s_and_saveexec_b64 s[8:9], s[20:21]
	s_cbranch_execz .LBB677_135
; %bb.132:
	s_movk_i32 s11, 0x7f
	v_and_b32_e32 v36, 0x7f, v31
	v_cmp_ne_u32_e32 vcc, s11, v36
	v_mov_b32_e32 v47, 0x7f80
	s_and_saveexec_b64 s[20:21], vcc
	s_cbranch_execz .LBB677_134
; %bb.133:
	v_and_b32_e32 v47, 7, v31
	v_ffbh_u32_e32 v47, v47
	v_min_u32_e32 v47, 32, v47
	v_lshrrev_b32_e32 v48, 3, v36
	v_subrev_u32_e32 v49, 28, v47
	v_sub_u32_e32 v47, 29, v47
	v_cmp_gt_u32_e32 vcc, 8, v36
	v_cndmask_b32_e32 v36, v48, v47, vcc
	v_cndmask_b32_e32 v47, 0, v49, vcc
	v_lshlrev_b64 v[48:49], v47, v[34:35]
	v_lshlrev_b32_e32 v35, 20, v48
	v_lshlrev_b32_e32 v47, 24, v34
	v_bfrev_b32_e32 v48, 60
	v_and_b32_e32 v35, 0x700000, v35
	v_and_b32_e32 v47, 0x80000000, v47
	v_lshl_add_u32 v36, v36, 23, v48
	v_or3_b32 v35, v47, v36, v35
	v_lshrrev_b32_e32 v47, 16, v35
.LBB677_134:
	s_or_b64 exec, exec, s[20:21]
.LBB677_135:
	s_or_b64 exec, exec, s[8:9]
.LBB677_136:
	s_or_b64 exec, exec, s[2:3]
	v_lshrrev_b16_e32 v36, 8, v34
	v_cmp_ne_u16_e32 vcc, 0, v36
	s_and_saveexec_b64 s[2:3], vcc
	s_cbranch_execz .LBB677_142
; %bb.137:
	s_movk_i32 s8, 0x80
	v_cmp_ne_u16_e32 vcc, s8, v36
	v_mov_b32_e32 v42, 0xffff8000
	s_and_saveexec_b64 s[8:9], vcc
	s_cbranch_execz .LBB677_141
; %bb.138:
	s_movk_i32 s11, 0x7f
	v_and_b32_e32 v35, 0x7f, v36
	v_cmp_ne_u32_e32 vcc, s11, v35
	v_mov_b32_e32 v42, 0x7f80
	s_and_saveexec_b64 s[20:21], vcc
	s_cbranch_execz .LBB677_140
; %bb.139:
	v_and_b32_e32 v42, 7, v36
	v_ffbh_u32_e32 v48, v42
	v_min_u32_e32 v51, 32, v48
	v_subrev_u32_e32 v48, 28, v51
	v_lshlrev_b64 v[48:49], v48, v[36:37]
	v_lshrrev_b32_e32 v50, 3, v35
	v_sub_u32_e32 v36, 29, v51
	v_and_b32_e32 v48, 7, v48
	v_cmp_gt_u32_e32 vcc, 8, v35
	v_cndmask_b32_e32 v35, v50, v36, vcc
	v_cndmask_b32_e32 v36, v42, v48, vcc
	v_lshlrev_b32_e32 v34, 16, v34
	v_bfrev_b32_e32 v42, 60
	v_lshlrev_b32_e32 v36, 20, v36
	v_and_b32_e32 v34, 0x80000000, v34
	v_lshl_add_u32 v35, v35, 23, v42
	v_or3_b32 v34, v34, v35, v36
	v_lshrrev_b32_e32 v42, 16, v34
.LBB677_140:
	s_or_b64 exec, exec, s[20:21]
.LBB677_141:
	s_or_b64 exec, exec, s[8:9]
.LBB677_142:
	s_or_b64 exec, exec, s[2:3]
	s_movk_i32 s2, 0xff
	v_and_b32_sdwa v48, v31, s2 dst_sel:DWORD dst_unused:UNUSED_PAD src0_sel:WORD_1 src1_sel:DWORD
	v_lshrrev_b32_e32 v34, 16, v31
	v_cmp_ne_u16_e32 vcc, 0, v48
	v_mov_b32_e32 v35, 0
	v_mov_b32_e32 v36, 0
	s_and_saveexec_b64 s[2:3], vcc
	s_cbranch_execz .LBB677_148
; %bb.143:
	s_movk_i32 s8, 0x80
	v_cmp_ne_u16_e32 vcc, s8, v48
	v_mov_b32_e32 v36, 0xffff8000
	s_and_saveexec_b64 s[8:9], vcc
	s_cbranch_execz .LBB677_147
; %bb.144:
	v_bfe_u32 v48, v31, 16, 7
	s_movk_i32 s11, 0x7f
	v_cmp_ne_u32_e32 vcc, s11, v48
	v_mov_b32_e32 v36, 0x7f80
	s_and_saveexec_b64 s[20:21], vcc
	s_cbranch_execz .LBB677_146
; %bb.145:
	v_and_b32_e32 v36, 7, v34
	v_ffbh_u32_e32 v50, v36
	v_min_u32_e32 v52, 32, v50
	v_subrev_u32_e32 v50, 28, v52
	v_lshlrev_b64 v[50:51], v50, v[34:35]
	v_lshrrev_b32_e32 v49, 3, v48
	v_sub_u32_e32 v34, 29, v52
	v_and_b32_e32 v50, 7, v50
	v_cmp_gt_u32_e32 vcc, 8, v48
	v_mov_b32_e32 v48, 24
	v_cndmask_b32_e32 v34, v49, v34, vcc
	v_cndmask_b32_e32 v36, v36, v50, vcc
	v_lshlrev_b32_sdwa v48, v48, v31 dst_sel:DWORD dst_unused:UNUSED_PAD src0_sel:DWORD src1_sel:WORD_1
	v_bfrev_b32_e32 v49, 60
	v_lshlrev_b32_e32 v36, 20, v36
	v_and_b32_e32 v48, 0x80000000, v48
	v_lshl_add_u32 v34, v34, 23, v49
	v_or3_b32 v34, v48, v34, v36
	v_lshrrev_b32_e32 v36, 16, v34
.LBB677_146:
	s_or_b64 exec, exec, s[20:21]
.LBB677_147:
	s_or_b64 exec, exec, s[8:9]
.LBB677_148:
	s_or_b64 exec, exec, s[2:3]
	s_mov_b32 s2, -1
	s_mov_b32 s3, 0xffffff
	v_cmp_lt_u64_e32 vcc, s[2:3], v[30:31]
	s_and_saveexec_b64 s[2:3], vcc
	s_cbranch_execz .LBB677_154
; %bb.149:
	v_lshrrev_b32_e32 v30, 24, v31
	s_movk_i32 s8, 0x80
	v_cmp_ne_u32_e32 vcc, s8, v30
	v_mov_b32_e32 v35, 0xffff8000
	s_and_saveexec_b64 s[8:9], vcc
	s_cbranch_execz .LBB677_153
; %bb.150:
	v_bfe_u32 v31, v31, 24, 7
	s_movk_i32 s11, 0x7f
	v_cmp_ne_u32_e32 vcc, s11, v31
	v_mov_b32_e32 v35, 0x7f80
	s_and_saveexec_b64 s[20:21], vcc
	s_cbranch_execz .LBB677_152
; %bb.151:
	v_and_b32_e32 v48, 7, v30
	v_ffbh_u32_e32 v34, v48
	v_min_u32_e32 v50, 32, v34
	v_subrev_u32_e32 v34, 28, v50
	v_lshlrev_b64 v[34:35], v34, v[30:31]
	v_lshrrev_b32_e32 v49, 3, v31
	v_sub_u32_e32 v35, 29, v50
	v_and_b32_e32 v34, 7, v34
	v_cmp_gt_u32_e32 vcc, 8, v31
	v_cndmask_b32_e32 v31, v49, v35, vcc
	v_cndmask_b32_e32 v34, v48, v34, vcc
	v_lshlrev_b32_e32 v30, 24, v30
	v_bfrev_b32_e32 v35, 60
	v_lshlrev_b32_e32 v34, 20, v34
	v_and_b32_e32 v30, 0x80000000, v30
	v_lshl_add_u32 v31, v31, 23, v35
	v_or3_b32 v30, v30, v31, v34
	v_lshrrev_b32_e32 v35, 16, v30
.LBB677_152:
	s_or_b64 exec, exec, s[20:21]
.LBB677_153:
	s_or_b64 exec, exec, s[8:9]
.LBB677_154:
	s_or_b64 exec, exec, s[2:3]
	s_mov_b32 s2, 0x5040100
	v_perm_b32 v31, v41, v40, s2
	v_perm_b32 v30, v37, v39, s2
	;; [unrolled: 1-line block ×4, first 2 shown]
	v_mfma_f32_4x4x4bf16_1k a[0:3], v[18:19], v[30:31], a[0:3] cbsz:4 abid:2
	v_mov_b32_e32 v36, 0
	v_mfma_f32_4x4x4bf16_1k a[0:3], v[20:21], v[34:35], a[0:3] cbsz:4 abid:2
	v_mov_b32_e32 v35, 0
	v_cmp_ne_u16_sdwa s[8:9], v32, v35 src0_sel:BYTE_0 src1_sel:DWORD
	s_and_saveexec_b64 s[2:3], s[8:9]
	s_cbranch_execz .LBB677_160
; %bb.155:
	s_movk_i32 s8, 0x80
	v_cmp_ne_u16_sdwa s[20:21], v32, s8 src0_sel:BYTE_0 src1_sel:DWORD
	v_mov_b32_e32 v36, 0xffff8000
	s_and_saveexec_b64 s[8:9], s[20:21]
	s_cbranch_execz .LBB677_159
; %bb.156:
	s_movk_i32 s11, 0x7f
	v_and_b32_e32 v30, 0x7f, v32
	v_cmp_ne_u32_e32 vcc, s11, v30
	v_mov_b32_e32 v36, 0x7f80
	s_and_saveexec_b64 s[20:21], vcc
	s_cbranch_execz .LBB677_158
; %bb.157:
	v_and_b32_e32 v31, 7, v32
	v_ffbh_u32_e32 v31, v31
	v_min_u32_e32 v31, 32, v31
	v_subrev_u32_e32 v36, 28, v31
	v_cmp_gt_u32_e32 vcc, 8, v30
	v_lshrrev_b32_e32 v34, 3, v30
	v_sub_u32_e32 v31, 29, v31
	v_cndmask_b32_e32 v30, 0, v36, vcc
	v_cndmask_b32_e32 v34, v34, v31, vcc
	v_lshlrev_b64 v[30:31], v30, v[32:33]
	v_lshlrev_b32_e32 v30, 20, v30
	v_lshlrev_b32_e32 v31, 24, v32
	v_bfrev_b32_e32 v36, 60
	v_and_b32_e32 v30, 0x700000, v30
	v_and_b32_e32 v31, 0x80000000, v31
	v_lshl_add_u32 v34, v34, 23, v36
	v_or3_b32 v30, v31, v34, v30
	v_lshrrev_b32_e32 v36, 16, v30
.LBB677_158:
	s_or_b64 exec, exec, s[20:21]
.LBB677_159:
	s_or_b64 exec, exec, s[8:9]
.LBB677_160:
	s_or_b64 exec, exec, s[2:3]
	v_lshrrev_b16_e32 v30, 8, v32
	v_cmp_ne_u16_e32 vcc, 0, v30
	s_and_saveexec_b64 s[2:3], vcc
	s_cbranch_execz .LBB677_166
; %bb.161:
	s_movk_i32 s8, 0x80
	v_cmp_ne_u16_e32 vcc, s8, v30
	v_mov_b32_e32 v35, 0xffff8000
	s_and_saveexec_b64 s[8:9], vcc
	s_cbranch_execz .LBB677_165
; %bb.162:
	s_movk_i32 s11, 0x7f
	v_and_b32_e32 v31, 0x7f, v30
	v_cmp_ne_u32_e32 vcc, s11, v31
	v_mov_b32_e32 v35, 0x7f80
	s_and_saveexec_b64 s[20:21], vcc
	s_cbranch_execz .LBB677_164
; %bb.163:
	v_and_b32_e32 v37, 7, v30
	v_ffbh_u32_e32 v34, v37
	v_min_u32_e32 v40, 32, v34
	v_subrev_u32_e32 v34, 28, v40
	v_lshlrev_b64 v[34:35], v34, v[30:31]
	v_lshrrev_b32_e32 v39, 3, v31
	v_sub_u32_e32 v30, 29, v40
	v_and_b32_e32 v34, 7, v34
	v_cmp_gt_u32_e32 vcc, 8, v31
	v_cndmask_b32_e32 v30, v39, v30, vcc
	v_cndmask_b32_e32 v31, v37, v34, vcc
	v_lshlrev_b32_e32 v34, 16, v32
	v_bfrev_b32_e32 v35, 60
	v_lshlrev_b32_e32 v31, 20, v31
	v_and_b32_e32 v34, 0x80000000, v34
	v_lshl_add_u32 v30, v30, 23, v35
	v_or3_b32 v30, v34, v30, v31
	v_lshrrev_b32_e32 v35, 16, v30
.LBB677_164:
	s_or_b64 exec, exec, s[20:21]
.LBB677_165:
	s_or_b64 exec, exec, s[8:9]
.LBB677_166:
	s_or_b64 exec, exec, s[2:3]
	s_movk_i32 s2, 0xff
	v_and_b32_sdwa v34, v32, s2 dst_sel:DWORD dst_unused:UNUSED_PAD src0_sel:WORD_1 src1_sel:DWORD
	v_lshrrev_b32_e32 v30, 16, v32
	v_cmp_ne_u16_e32 vcc, 0, v34
	v_mov_b32_e32 v31, 0
	v_mov_b32_e32 v37, 0
	s_and_saveexec_b64 s[2:3], vcc
	s_cbranch_execz .LBB677_172
; %bb.167:
	s_movk_i32 s8, 0x80
	v_cmp_ne_u16_e32 vcc, s8, v34
	v_mov_b32_e32 v37, 0xffff8000
	s_and_saveexec_b64 s[8:9], vcc
	s_cbranch_execz .LBB677_171
; %bb.168:
	v_bfe_u32 v34, v32, 16, 7
	s_movk_i32 s11, 0x7f
	v_cmp_ne_u32_e32 vcc, s11, v34
	v_mov_b32_e32 v37, 0x7f80
	s_and_saveexec_b64 s[20:21], vcc
	s_cbranch_execz .LBB677_170
; %bb.169:
	v_and_b32_e32 v37, 7, v30
	v_ffbh_u32_e32 v40, v37
	v_min_u32_e32 v42, 32, v40
	v_subrev_u32_e32 v40, 28, v42
	v_lshlrev_b64 v[40:41], v40, v[30:31]
	v_and_b32_e32 v40, 7, v40
	v_cmp_gt_u32_e32 vcc, 8, v34
	v_lshrrev_b32_e32 v39, 3, v34
	v_sub_u32_e32 v30, 29, v42
	v_cndmask_b32_e32 v34, v37, v40, vcc
	v_mov_b32_e32 v37, 24
	v_cndmask_b32_e32 v30, v39, v30, vcc
	v_lshlrev_b32_sdwa v37, v37, v32 dst_sel:DWORD dst_unused:UNUSED_PAD src0_sel:DWORD src1_sel:WORD_1
	v_bfrev_b32_e32 v39, 60
	v_lshlrev_b32_e32 v34, 20, v34
	v_and_b32_e32 v37, 0x80000000, v37
	v_lshl_add_u32 v30, v30, 23, v39
	v_or3_b32 v30, v37, v30, v34
	v_lshrrev_b32_e32 v37, 16, v30
.LBB677_170:
	s_or_b64 exec, exec, s[20:21]
.LBB677_171:
	s_or_b64 exec, exec, s[8:9]
.LBB677_172:
	s_or_b64 exec, exec, s[2:3]
	s_mov_b32 s2, 0xffffff
	v_cmp_lt_u32_e32 vcc, s2, v32
	v_mov_b32_e32 v39, 0
	s_and_saveexec_b64 s[2:3], vcc
	s_cbranch_execz .LBB677_178
; %bb.173:
	v_lshrrev_b32_e32 v30, 24, v32
	s_movk_i32 s8, 0x80
	v_cmp_ne_u32_e32 vcc, s8, v30
	v_mov_b32_e32 v39, 0xffff8000
	s_and_saveexec_b64 s[8:9], vcc
	s_cbranch_execz .LBB677_177
; %bb.174:
	v_bfe_u32 v34, v32, 24, 7
	s_movk_i32 s11, 0x7f
	v_cmp_ne_u32_e32 vcc, s11, v34
	v_mov_b32_e32 v39, 0x7f80
	s_and_saveexec_b64 s[20:21], vcc
	s_cbranch_execz .LBB677_176
; %bb.175:
	v_and_b32_e32 v39, 7, v30
	v_ffbh_u32_e32 v40, v39
	v_min_u32_e32 v47, 32, v40
	v_subrev_u32_e32 v40, 28, v47
	v_lshlrev_b64 v[40:41], v40, v[30:31]
	v_lshrrev_b32_e32 v42, 3, v34
	v_sub_u32_e32 v41, 29, v47
	v_and_b32_e32 v40, 7, v40
	v_cmp_gt_u32_e32 vcc, 8, v34
	v_cndmask_b32_e32 v34, v42, v41, vcc
	v_cndmask_b32_e32 v39, v39, v40, vcc
	v_lshlrev_b32_e32 v30, 24, v30
	v_bfrev_b32_e32 v40, 60
	v_lshlrev_b32_e32 v39, 20, v39
	v_and_b32_e32 v30, 0x80000000, v30
	v_lshl_add_u32 v34, v34, 23, v40
	v_or3_b32 v30, v30, v34, v39
	v_lshrrev_b32_e32 v39, 16, v30
.LBB677_176:
	s_or_b64 exec, exec, s[20:21]
.LBB677_177:
	s_or_b64 exec, exec, s[8:9]
.LBB677_178:
	s_or_b64 exec, exec, s[2:3]
	v_mov_b32_e32 v40, 0
	v_mov_b32_e32 v30, v33
	v_cmp_ne_u16_sdwa s[8:9], v33, v40 src0_sel:BYTE_0 src1_sel:DWORD
	v_mov_b32_e32 v41, 0
	s_and_saveexec_b64 s[2:3], s[8:9]
	s_cbranch_execz .LBB677_184
; %bb.179:
	s_movk_i32 s8, 0x80
	v_cmp_ne_u16_sdwa s[20:21], v33, s8 src0_sel:BYTE_0 src1_sel:DWORD
	v_mov_b32_e32 v41, 0xffff8000
	s_and_saveexec_b64 s[8:9], s[20:21]
	s_cbranch_execz .LBB677_183
; %bb.180:
	s_movk_i32 s11, 0x7f
	v_and_b32_e32 v34, 0x7f, v33
	v_cmp_ne_u32_e32 vcc, s11, v34
	v_mov_b32_e32 v41, 0x7f80
	s_and_saveexec_b64 s[20:21], vcc
	s_cbranch_execz .LBB677_182
; %bb.181:
	v_and_b32_e32 v41, 7, v33
	v_ffbh_u32_e32 v41, v41
	v_min_u32_e32 v41, 32, v41
	v_lshrrev_b32_e32 v42, 3, v34
	v_subrev_u32_e32 v47, 28, v41
	v_sub_u32_e32 v41, 29, v41
	v_cmp_gt_u32_e32 vcc, 8, v34
	v_cndmask_b32_e32 v34, v42, v41, vcc
	v_cndmask_b32_e32 v41, 0, v47, vcc
	v_lshlrev_b64 v[48:49], v41, v[30:31]
	v_lshlrev_b32_e32 v31, 20, v48
	v_lshlrev_b32_e32 v41, 24, v30
	v_bfrev_b32_e32 v42, 60
	v_and_b32_e32 v31, 0x700000, v31
	v_and_b32_e32 v41, 0x80000000, v41
	v_lshl_add_u32 v34, v34, 23, v42
	v_or3_b32 v31, v41, v34, v31
	v_lshrrev_b32_e32 v41, 16, v31
.LBB677_182:
	s_or_b64 exec, exec, s[20:21]
.LBB677_183:
	s_or_b64 exec, exec, s[8:9]
.LBB677_184:
	s_or_b64 exec, exec, s[2:3]
	v_lshrrev_b16_e32 v34, 8, v30
	v_cmp_ne_u16_e32 vcc, 0, v34
	s_and_saveexec_b64 s[2:3], vcc
	s_cbranch_execz .LBB677_190
; %bb.185:
	s_movk_i32 s8, 0x80
	v_cmp_ne_u16_e32 vcc, s8, v34
	v_mov_b32_e32 v40, 0xffff8000
	s_and_saveexec_b64 s[8:9], vcc
	s_cbranch_execz .LBB677_189
; %bb.186:
	s_movk_i32 s11, 0x7f
	v_and_b32_e32 v31, 0x7f, v34
	v_cmp_ne_u32_e32 vcc, s11, v31
	v_mov_b32_e32 v40, 0x7f80
	s_and_saveexec_b64 s[20:21], vcc
	s_cbranch_execz .LBB677_188
; %bb.187:
	v_and_b32_e32 v40, 7, v34
	v_ffbh_u32_e32 v47, v40
	v_min_u32_e32 v47, 32, v47
	v_subrev_u32_e32 v48, 28, v47
	v_lshlrev_b64 v[48:49], v48, v[34:35]
	v_lshrrev_b32_e32 v42, 3, v31
	v_sub_u32_e32 v34, 29, v47
	v_and_b32_e32 v47, 7, v48
	v_cmp_gt_u32_e32 vcc, 8, v31
	v_cndmask_b32_e32 v31, v42, v34, vcc
	v_cndmask_b32_e32 v34, v40, v47, vcc
	v_lshlrev_b32_e32 v30, 16, v30
	v_bfrev_b32_e32 v40, 60
	v_lshlrev_b32_e32 v34, 20, v34
	v_and_b32_e32 v30, 0x80000000, v30
	v_lshl_add_u32 v31, v31, 23, v40
	v_or3_b32 v30, v30, v31, v34
	v_lshrrev_b32_e32 v40, 16, v30
.LBB677_188:
	s_or_b64 exec, exec, s[20:21]
.LBB677_189:
	s_or_b64 exec, exec, s[8:9]
.LBB677_190:
	s_or_b64 exec, exec, s[2:3]
	s_movk_i32 s2, 0xff
	v_and_b32_sdwa v42, v33, s2 dst_sel:DWORD dst_unused:UNUSED_PAD src0_sel:WORD_1 src1_sel:DWORD
	v_lshrrev_b32_e32 v30, 16, v33
	v_cmp_ne_u16_e32 vcc, 0, v42
	v_mov_b32_e32 v31, 0
	v_mov_b32_e32 v34, 0
	s_and_saveexec_b64 s[2:3], vcc
	s_cbranch_execz .LBB677_196
; %bb.191:
	s_movk_i32 s8, 0x80
	v_cmp_ne_u16_e32 vcc, s8, v42
	v_mov_b32_e32 v34, 0xffff8000
	s_and_saveexec_b64 s[8:9], vcc
	s_cbranch_execz .LBB677_195
; %bb.192:
	v_bfe_u32 v42, v33, 16, 7
	s_movk_i32 s11, 0x7f
	v_cmp_ne_u32_e32 vcc, s11, v42
	v_mov_b32_e32 v34, 0x7f80
	s_and_saveexec_b64 s[20:21], vcc
	s_cbranch_execz .LBB677_194
; %bb.193:
	v_and_b32_e32 v34, 7, v30
	v_ffbh_u32_e32 v48, v34
	v_min_u32_e32 v50, 32, v48
	v_subrev_u32_e32 v48, 28, v50
	v_lshlrev_b64 v[48:49], v48, v[30:31]
	v_lshrrev_b32_e32 v47, 3, v42
	v_sub_u32_e32 v30, 29, v50
	v_and_b32_e32 v48, 7, v48
	v_cmp_gt_u32_e32 vcc, 8, v42
	v_mov_b32_e32 v42, 24
	v_cndmask_b32_e32 v30, v47, v30, vcc
	v_cndmask_b32_e32 v34, v34, v48, vcc
	v_lshlrev_b32_sdwa v42, v42, v33 dst_sel:DWORD dst_unused:UNUSED_PAD src0_sel:DWORD src1_sel:WORD_1
	v_bfrev_b32_e32 v47, 60
	v_lshlrev_b32_e32 v34, 20, v34
	v_and_b32_e32 v42, 0x80000000, v42
	v_lshl_add_u32 v30, v30, 23, v47
	v_or3_b32 v30, v42, v30, v34
	v_lshrrev_b32_e32 v34, 16, v30
.LBB677_194:
	s_or_b64 exec, exec, s[20:21]
.LBB677_195:
	s_or_b64 exec, exec, s[8:9]
.LBB677_196:
	s_or_b64 exec, exec, s[2:3]
	s_mov_b32 s2, -1
	s_mov_b32 s3, 0xffffff
	v_cmp_lt_u64_e32 vcc, s[2:3], v[32:33]
	s_and_saveexec_b64 s[2:3], vcc
	s_cbranch_execz .LBB677_202
; %bb.197:
	v_lshrrev_b32_e32 v30, 24, v33
	s_movk_i32 s8, 0x80
	v_cmp_ne_u32_e32 vcc, s8, v30
	v_mov_b32_e32 v31, 0xffff8000
	s_and_saveexec_b64 s[8:9], vcc
	s_cbranch_execz .LBB677_201
; %bb.198:
	v_bfe_u32 v32, v33, 24, 7
	s_movk_i32 s11, 0x7f
	v_cmp_ne_u32_e32 vcc, s11, v32
	v_mov_b32_e32 v31, 0x7f80
	s_and_saveexec_b64 s[20:21], vcc
	s_cbranch_execz .LBB677_200
; %bb.199:
	v_and_b32_e32 v31, 7, v30
	v_ffbh_u32_e32 v42, v31
	v_min_u32_e32 v42, 32, v42
	v_subrev_u32_e32 v47, 28, v42
	v_lshlrev_b64 v[48:49], v47, v[30:31]
	v_lshrrev_b32_e32 v33, 3, v32
	v_sub_u32_e32 v42, 29, v42
	v_and_b32_e32 v47, 7, v48
	v_cmp_gt_u32_e32 vcc, 8, v32
	v_cndmask_b32_e32 v32, v33, v42, vcc
	v_cndmask_b32_e32 v31, v31, v47, vcc
	v_lshlrev_b32_e32 v30, 24, v30
	v_bfrev_b32_e32 v33, 60
	v_lshlrev_b32_e32 v31, 20, v31
	v_and_b32_e32 v30, 0x80000000, v30
	v_lshl_add_u32 v32, v32, 23, v33
	v_or3_b32 v30, v30, v32, v31
	v_lshrrev_b32_e32 v31, 16, v30
.LBB677_200:
	s_or_b64 exec, exec, s[20:21]
.LBB677_201:
	s_or_b64 exec, exec, s[8:9]
.LBB677_202:
	s_or_b64 exec, exec, s[2:3]
	s_mov_b32 s2, 0x5040100
	v_perm_b32 v33, v39, v37, s2
	v_perm_b32 v32, v35, v36, s2
	;; [unrolled: 1-line block ×4, first 2 shown]
	v_mfma_f32_4x4x4bf16_1k a[0:3], v[18:19], v[32:33], a[0:3] cbsz:4 abid:3
	v_mov_b32_e32 v33, 0
	v_mfma_f32_4x4x4bf16_1k a[0:3], v[20:21], v[30:31], a[0:3] cbsz:4 abid:3
	s_waitcnt vmcnt(6)
	v_cmp_ne_u16_sdwa s[8:9], v26, v33 src0_sel:BYTE_0 src1_sel:DWORD
	v_mov_b32_e32 v34, 0
	s_and_saveexec_b64 s[2:3], s[8:9]
	s_cbranch_execz .LBB677_208
; %bb.203:
	s_movk_i32 s8, 0x80
	v_cmp_ne_u16_sdwa s[20:21], v26, s8 src0_sel:BYTE_0 src1_sel:DWORD
	v_mov_b32_e32 v34, 0xffff8000
	s_and_saveexec_b64 s[8:9], s[20:21]
	s_cbranch_execz .LBB677_207
; %bb.204:
	s_movk_i32 s11, 0x7f
	v_and_b32_e32 v30, 0x7f, v26
	v_cmp_ne_u32_e32 vcc, s11, v30
	v_mov_b32_e32 v34, 0x7f80
	s_and_saveexec_b64 s[20:21], vcc
	s_cbranch_execz .LBB677_206
; %bb.205:
	v_and_b32_e32 v31, 7, v26
	v_ffbh_u32_e32 v31, v31
	v_min_u32_e32 v31, 32, v31
	v_subrev_u32_e32 v34, 28, v31
	v_cmp_gt_u32_e32 vcc, 8, v30
	v_lshrrev_b32_e32 v32, 3, v30
	v_sub_u32_e32 v31, 29, v31
	v_cndmask_b32_e32 v30, 0, v34, vcc
	v_cndmask_b32_e32 v32, v32, v31, vcc
	v_lshlrev_b64 v[30:31], v30, v[26:27]
	v_lshlrev_b32_e32 v30, 20, v30
	v_lshlrev_b32_e32 v31, 24, v26
	v_bfrev_b32_e32 v34, 60
	v_and_b32_e32 v30, 0x700000, v30
	v_and_b32_e32 v31, 0x80000000, v31
	v_lshl_add_u32 v32, v32, 23, v34
	v_or3_b32 v30, v31, v32, v30
	v_lshrrev_b32_e32 v34, 16, v30
.LBB677_206:
	s_or_b64 exec, exec, s[20:21]
.LBB677_207:
	s_or_b64 exec, exec, s[8:9]
.LBB677_208:
	s_or_b64 exec, exec, s[2:3]
	v_lshrrev_b16_e32 v30, 8, v26
	v_cmp_ne_u16_e32 vcc, 0, v30
	s_and_saveexec_b64 s[2:3], vcc
	s_cbranch_execz .LBB677_214
; %bb.209:
	s_movk_i32 s8, 0x80
	v_cmp_ne_u16_e32 vcc, s8, v30
	v_mov_b32_e32 v33, 0xffff8000
	s_and_saveexec_b64 s[8:9], vcc
	s_cbranch_execz .LBB677_213
; %bb.210:
	s_movk_i32 s11, 0x7f
	v_and_b32_e32 v31, 0x7f, v30
	v_cmp_ne_u32_e32 vcc, s11, v31
	v_mov_b32_e32 v33, 0x7f80
	s_and_saveexec_b64 s[20:21], vcc
	s_cbranch_execz .LBB677_212
; %bb.211:
	v_and_b32_e32 v35, 7, v30
	v_ffbh_u32_e32 v32, v35
	v_min_u32_e32 v37, 32, v32
	v_subrev_u32_e32 v32, 28, v37
	v_lshlrev_b64 v[32:33], v32, v[30:31]
	v_lshrrev_b32_e32 v36, 3, v31
	v_sub_u32_e32 v30, 29, v37
	v_and_b32_e32 v32, 7, v32
	v_cmp_gt_u32_e32 vcc, 8, v31
	v_cndmask_b32_e32 v30, v36, v30, vcc
	v_cndmask_b32_e32 v31, v35, v32, vcc
	v_lshlrev_b32_e32 v32, 16, v26
	v_bfrev_b32_e32 v33, 60
	v_lshlrev_b32_e32 v31, 20, v31
	v_and_b32_e32 v32, 0x80000000, v32
	v_lshl_add_u32 v30, v30, 23, v33
	v_or3_b32 v30, v32, v30, v31
	v_lshrrev_b32_e32 v33, 16, v30
.LBB677_212:
	s_or_b64 exec, exec, s[20:21]
.LBB677_213:
	s_or_b64 exec, exec, s[8:9]
.LBB677_214:
	s_or_b64 exec, exec, s[2:3]
	s_movk_i32 s2, 0xff
	v_and_b32_sdwa v32, v26, s2 dst_sel:DWORD dst_unused:UNUSED_PAD src0_sel:WORD_1 src1_sel:DWORD
	v_lshrrev_b32_e32 v30, 16, v26
	v_cmp_ne_u16_e32 vcc, 0, v32
	v_mov_b32_e32 v31, 0
	v_mov_b32_e32 v35, 0
	s_and_saveexec_b64 s[2:3], vcc
	s_cbranch_execz .LBB677_220
; %bb.215:
	s_movk_i32 s8, 0x80
	v_cmp_ne_u16_e32 vcc, s8, v32
	v_mov_b32_e32 v35, 0xffff8000
	s_and_saveexec_b64 s[8:9], vcc
	s_cbranch_execz .LBB677_219
; %bb.216:
	v_bfe_u32 v32, v26, 16, 7
	s_movk_i32 s11, 0x7f
	v_cmp_ne_u32_e32 vcc, s11, v32
	v_mov_b32_e32 v35, 0x7f80
	s_and_saveexec_b64 s[20:21], vcc
	s_cbranch_execz .LBB677_218
; %bb.217:
	v_and_b32_e32 v35, 7, v30
	v_ffbh_u32_e32 v36, v35
	v_min_u32_e32 v40, 32, v36
	v_subrev_u32_e32 v36, 28, v40
	v_lshlrev_b64 v[36:37], v36, v[30:31]
	v_and_b32_e32 v36, 7, v36
	v_cmp_gt_u32_e32 vcc, 8, v32
	v_lshrrev_b32_e32 v39, 3, v32
	v_sub_u32_e32 v30, 29, v40
	v_cndmask_b32_e32 v32, v35, v36, vcc
	v_mov_b32_e32 v35, 24
	v_cndmask_b32_e32 v30, v39, v30, vcc
	v_lshlrev_b32_sdwa v35, v35, v26 dst_sel:DWORD dst_unused:UNUSED_PAD src0_sel:DWORD src1_sel:WORD_1
	v_bfrev_b32_e32 v36, 60
	v_lshlrev_b32_e32 v32, 20, v32
	v_and_b32_e32 v35, 0x80000000, v35
	v_lshl_add_u32 v30, v30, 23, v36
	v_or3_b32 v30, v35, v30, v32
	v_lshrrev_b32_e32 v35, 16, v30
.LBB677_218:
	s_or_b64 exec, exec, s[20:21]
.LBB677_219:
	s_or_b64 exec, exec, s[8:9]
.LBB677_220:
	s_or_b64 exec, exec, s[2:3]
	s_mov_b32 s2, 0xffffff
	v_cmp_lt_u32_e32 vcc, s2, v26
	v_mov_b32_e32 v36, 0
	s_and_saveexec_b64 s[2:3], vcc
	s_cbranch_execz .LBB677_226
; %bb.221:
	v_lshrrev_b32_e32 v30, 24, v26
	s_movk_i32 s8, 0x80
	v_cmp_ne_u32_e32 vcc, s8, v30
	v_mov_b32_e32 v36, 0xffff8000
	s_and_saveexec_b64 s[8:9], vcc
	s_cbranch_execz .LBB677_225
; %bb.222:
	v_bfe_u32 v32, v26, 24, 7
	s_movk_i32 s11, 0x7f
	v_cmp_ne_u32_e32 vcc, s11, v32
	v_mov_b32_e32 v36, 0x7f80
	s_and_saveexec_b64 s[20:21], vcc
	s_cbranch_execz .LBB677_224
; %bb.223:
	v_and_b32_e32 v39, 7, v30
	v_ffbh_u32_e32 v36, v39
	v_min_u32_e32 v41, 32, v36
	v_subrev_u32_e32 v36, 28, v41
	v_lshlrev_b64 v[36:37], v36, v[30:31]
	v_lshrrev_b32_e32 v40, 3, v32
	v_sub_u32_e32 v37, 29, v41
	v_and_b32_e32 v36, 7, v36
	v_cmp_gt_u32_e32 vcc, 8, v32
	v_cndmask_b32_e32 v32, v40, v37, vcc
	v_cndmask_b32_e32 v36, v39, v36, vcc
	v_lshlrev_b32_e32 v30, 24, v30
	v_bfrev_b32_e32 v37, 60
	v_lshlrev_b32_e32 v36, 20, v36
	v_and_b32_e32 v30, 0x80000000, v30
	v_lshl_add_u32 v32, v32, 23, v37
	v_or3_b32 v30, v30, v32, v36
	v_lshrrev_b32_e32 v36, 16, v30
.LBB677_224:
	s_or_b64 exec, exec, s[20:21]
.LBB677_225:
	s_or_b64 exec, exec, s[8:9]
.LBB677_226:
	s_or_b64 exec, exec, s[2:3]
	v_mov_b32_e32 v37, 0
	v_mov_b32_e32 v30, v27
	v_cmp_ne_u16_sdwa s[8:9], v27, v37 src0_sel:BYTE_0 src1_sel:DWORD
	v_mov_b32_e32 v39, 0
	s_and_saveexec_b64 s[2:3], s[8:9]
	s_cbranch_execz .LBB677_232
; %bb.227:
	s_movk_i32 s8, 0x80
	v_cmp_ne_u16_sdwa s[20:21], v27, s8 src0_sel:BYTE_0 src1_sel:DWORD
	v_mov_b32_e32 v39, 0xffff8000
	s_and_saveexec_b64 s[8:9], s[20:21]
	s_cbranch_execz .LBB677_231
; %bb.228:
	s_movk_i32 s11, 0x7f
	v_and_b32_e32 v32, 0x7f, v27
	v_cmp_ne_u32_e32 vcc, s11, v32
	v_mov_b32_e32 v39, 0x7f80
	s_and_saveexec_b64 s[20:21], vcc
	s_cbranch_execz .LBB677_230
; %bb.229:
	v_and_b32_e32 v39, 7, v27
	v_ffbh_u32_e32 v39, v39
	v_min_u32_e32 v39, 32, v39
	v_lshrrev_b32_e32 v40, 3, v32
	v_subrev_u32_e32 v41, 28, v39
	v_sub_u32_e32 v39, 29, v39
	v_cmp_gt_u32_e32 vcc, 8, v32
	v_cndmask_b32_e32 v32, v40, v39, vcc
	v_cndmask_b32_e32 v39, 0, v41, vcc
	v_lshlrev_b64 v[40:41], v39, v[30:31]
	v_lshlrev_b32_e32 v31, 20, v40
	v_lshlrev_b32_e32 v39, 24, v30
	v_bfrev_b32_e32 v40, 60
	v_and_b32_e32 v31, 0x700000, v31
	v_and_b32_e32 v39, 0x80000000, v39
	v_lshl_add_u32 v32, v32, 23, v40
	v_or3_b32 v31, v39, v32, v31
	v_lshrrev_b32_e32 v39, 16, v31
.LBB677_230:
	s_or_b64 exec, exec, s[20:21]
.LBB677_231:
	s_or_b64 exec, exec, s[8:9]
.LBB677_232:
	s_or_b64 exec, exec, s[2:3]
	v_lshrrev_b16_e32 v32, 8, v30
	v_cmp_ne_u16_e32 vcc, 0, v32
	s_and_saveexec_b64 s[2:3], vcc
	s_cbranch_execz .LBB677_238
; %bb.233:
	s_movk_i32 s8, 0x80
	v_cmp_ne_u16_e32 vcc, s8, v32
	v_mov_b32_e32 v37, 0xffff8000
	s_and_saveexec_b64 s[8:9], vcc
	s_cbranch_execz .LBB677_237
; %bb.234:
	s_movk_i32 s11, 0x7f
	v_and_b32_e32 v31, 0x7f, v32
	v_cmp_ne_u32_e32 vcc, s11, v31
	v_mov_b32_e32 v37, 0x7f80
	s_and_saveexec_b64 s[20:21], vcc
	s_cbranch_execz .LBB677_236
; %bb.235:
	v_and_b32_e32 v37, 7, v32
	v_ffbh_u32_e32 v40, v37
	v_min_u32_e32 v47, 32, v40
	v_subrev_u32_e32 v40, 28, v47
	v_lshlrev_b64 v[40:41], v40, v[32:33]
	v_lshrrev_b32_e32 v42, 3, v31
	v_sub_u32_e32 v32, 29, v47
	v_and_b32_e32 v40, 7, v40
	v_cmp_gt_u32_e32 vcc, 8, v31
	v_cndmask_b32_e32 v31, v42, v32, vcc
	v_cndmask_b32_e32 v32, v37, v40, vcc
	v_lshlrev_b32_e32 v30, 16, v30
	v_bfrev_b32_e32 v37, 60
	v_lshlrev_b32_e32 v32, 20, v32
	v_and_b32_e32 v30, 0x80000000, v30
	v_lshl_add_u32 v31, v31, 23, v37
	v_or3_b32 v30, v30, v31, v32
	v_lshrrev_b32_e32 v37, 16, v30
.LBB677_236:
	s_or_b64 exec, exec, s[20:21]
.LBB677_237:
	s_or_b64 exec, exec, s[8:9]
.LBB677_238:
	s_or_b64 exec, exec, s[2:3]
	s_movk_i32 s2, 0xff
	v_and_b32_sdwa v40, v27, s2 dst_sel:DWORD dst_unused:UNUSED_PAD src0_sel:WORD_1 src1_sel:DWORD
	v_lshrrev_b32_e32 v30, 16, v27
	v_cmp_ne_u16_e32 vcc, 0, v40
	v_mov_b32_e32 v31, 0
	v_mov_b32_e32 v32, 0
	s_and_saveexec_b64 s[2:3], vcc
	s_cbranch_execz .LBB677_244
; %bb.239:
	s_movk_i32 s8, 0x80
	v_cmp_ne_u16_e32 vcc, s8, v40
	v_mov_b32_e32 v32, 0xffff8000
	s_and_saveexec_b64 s[8:9], vcc
	s_cbranch_execz .LBB677_243
; %bb.240:
	v_bfe_u32 v40, v27, 16, 7
	s_movk_i32 s11, 0x7f
	v_cmp_ne_u32_e32 vcc, s11, v40
	v_mov_b32_e32 v32, 0x7f80
	s_and_saveexec_b64 s[20:21], vcc
	s_cbranch_execz .LBB677_242
; %bb.241:
	v_and_b32_e32 v32, 7, v30
	v_ffbh_u32_e32 v42, v32
	v_min_u32_e32 v42, 32, v42
	v_subrev_u32_e32 v47, 28, v42
	v_lshlrev_b64 v[48:49], v47, v[30:31]
	v_lshrrev_b32_e32 v41, 3, v40
	v_sub_u32_e32 v30, 29, v42
	v_and_b32_e32 v42, 7, v48
	v_cmp_gt_u32_e32 vcc, 8, v40
	v_mov_b32_e32 v40, 24
	v_cndmask_b32_e32 v30, v41, v30, vcc
	v_cndmask_b32_e32 v32, v32, v42, vcc
	v_lshlrev_b32_sdwa v40, v40, v27 dst_sel:DWORD dst_unused:UNUSED_PAD src0_sel:DWORD src1_sel:WORD_1
	v_bfrev_b32_e32 v41, 60
	v_lshlrev_b32_e32 v32, 20, v32
	v_and_b32_e32 v40, 0x80000000, v40
	v_lshl_add_u32 v30, v30, 23, v41
	v_or3_b32 v30, v40, v30, v32
	v_lshrrev_b32_e32 v32, 16, v30
.LBB677_242:
	s_or_b64 exec, exec, s[20:21]
.LBB677_243:
	s_or_b64 exec, exec, s[8:9]
.LBB677_244:
	s_or_b64 exec, exec, s[2:3]
	s_mov_b32 s2, -1
	s_mov_b32 s3, 0xffffff
	v_cmp_lt_u64_e32 vcc, s[2:3], v[26:27]
	s_and_saveexec_b64 s[2:3], vcc
	s_cbranch_execz .LBB677_250
; %bb.245:
	v_lshrrev_b32_e32 v26, 24, v27
	s_movk_i32 s8, 0x80
	v_cmp_ne_u32_e32 vcc, s8, v26
	v_mov_b32_e32 v31, 0xffff8000
	s_and_saveexec_b64 s[8:9], vcc
	s_cbranch_execz .LBB677_249
; %bb.246:
	v_bfe_u32 v27, v27, 24, 7
	s_movk_i32 s11, 0x7f
	v_cmp_ne_u32_e32 vcc, s11, v27
	v_mov_b32_e32 v31, 0x7f80
	s_and_saveexec_b64 s[20:21], vcc
	s_cbranch_execz .LBB677_248
; %bb.247:
	v_and_b32_e32 v40, 7, v26
	v_ffbh_u32_e32 v30, v40
	v_min_u32_e32 v42, 32, v30
	v_subrev_u32_e32 v30, 28, v42
	v_lshlrev_b64 v[30:31], v30, v[26:27]
	v_lshrrev_b32_e32 v41, 3, v27
	v_sub_u32_e32 v31, 29, v42
	v_and_b32_e32 v30, 7, v30
	v_cmp_gt_u32_e32 vcc, 8, v27
	v_cndmask_b32_e32 v27, v41, v31, vcc
	v_cndmask_b32_e32 v30, v40, v30, vcc
	v_lshlrev_b32_e32 v26, 24, v26
	v_bfrev_b32_e32 v31, 60
	v_lshlrev_b32_e32 v30, 20, v30
	v_and_b32_e32 v26, 0x80000000, v26
	v_lshl_add_u32 v27, v27, 23, v31
	v_or3_b32 v26, v26, v27, v30
	v_lshrrev_b32_e32 v31, 16, v26
.LBB677_248:
	s_or_b64 exec, exec, s[20:21]
.LBB677_249:
	s_or_b64 exec, exec, s[8:9]
.LBB677_250:
	s_or_b64 exec, exec, s[2:3]
	s_mov_b32 s2, 0x5040100
	v_perm_b32 v27, v36, v35, s2
	v_perm_b32 v26, v33, v34, s2
	;; [unrolled: 1-line block ×4, first 2 shown]
	v_mfma_f32_4x4x4bf16_1k a[0:3], v[18:19], v[26:27], a[0:3] cbsz:4 abid:4
	v_mov_b32_e32 v32, 0
	v_mfma_f32_4x4x4bf16_1k a[0:3], v[20:21], v[30:31], a[0:3] cbsz:4 abid:4
	v_mov_b32_e32 v31, 0
	v_cmp_ne_u16_sdwa s[8:9], v28, v31 src0_sel:BYTE_0 src1_sel:DWORD
	s_and_saveexec_b64 s[2:3], s[8:9]
	s_cbranch_execz .LBB677_256
; %bb.251:
	s_movk_i32 s8, 0x80
	v_cmp_ne_u16_sdwa s[20:21], v28, s8 src0_sel:BYTE_0 src1_sel:DWORD
	v_mov_b32_e32 v32, 0xffff8000
	s_and_saveexec_b64 s[8:9], s[20:21]
	s_cbranch_execz .LBB677_255
; %bb.252:
	s_movk_i32 s11, 0x7f
	v_and_b32_e32 v26, 0x7f, v28
	v_cmp_ne_u32_e32 vcc, s11, v26
	v_mov_b32_e32 v32, 0x7f80
	s_and_saveexec_b64 s[20:21], vcc
	s_cbranch_execz .LBB677_254
; %bb.253:
	v_and_b32_e32 v27, 7, v28
	v_ffbh_u32_e32 v27, v27
	v_min_u32_e32 v27, 32, v27
	v_subrev_u32_e32 v32, 28, v27
	v_cmp_gt_u32_e32 vcc, 8, v26
	v_lshrrev_b32_e32 v30, 3, v26
	v_sub_u32_e32 v27, 29, v27
	v_cndmask_b32_e32 v26, 0, v32, vcc
	v_cndmask_b32_e32 v30, v30, v27, vcc
	v_lshlrev_b64 v[26:27], v26, v[28:29]
	v_lshlrev_b32_e32 v26, 20, v26
	v_lshlrev_b32_e32 v27, 24, v28
	v_bfrev_b32_e32 v32, 60
	v_and_b32_e32 v26, 0x700000, v26
	v_and_b32_e32 v27, 0x80000000, v27
	v_lshl_add_u32 v30, v30, 23, v32
	v_or3_b32 v26, v27, v30, v26
	v_lshrrev_b32_e32 v32, 16, v26
.LBB677_254:
	s_or_b64 exec, exec, s[20:21]
.LBB677_255:
	s_or_b64 exec, exec, s[8:9]
.LBB677_256:
	s_or_b64 exec, exec, s[2:3]
	v_lshrrev_b16_e32 v26, 8, v28
	v_cmp_ne_u16_e32 vcc, 0, v26
	s_and_saveexec_b64 s[2:3], vcc
	s_cbranch_execz .LBB677_262
; %bb.257:
	s_movk_i32 s8, 0x80
	v_cmp_ne_u16_e32 vcc, s8, v26
	v_mov_b32_e32 v31, 0xffff8000
	s_and_saveexec_b64 s[8:9], vcc
	s_cbranch_execz .LBB677_261
; %bb.258:
	s_movk_i32 s11, 0x7f
	v_and_b32_e32 v27, 0x7f, v26
	v_cmp_ne_u32_e32 vcc, s11, v27
	v_mov_b32_e32 v31, 0x7f80
	s_and_saveexec_b64 s[20:21], vcc
	s_cbranch_execz .LBB677_260
; %bb.259:
	v_and_b32_e32 v33, 7, v26
	v_ffbh_u32_e32 v30, v33
	v_min_u32_e32 v35, 32, v30
	v_subrev_u32_e32 v30, 28, v35
	v_lshlrev_b64 v[30:31], v30, v[26:27]
	v_lshrrev_b32_e32 v34, 3, v27
	v_sub_u32_e32 v26, 29, v35
	v_and_b32_e32 v30, 7, v30
	v_cmp_gt_u32_e32 vcc, 8, v27
	v_cndmask_b32_e32 v26, v34, v26, vcc
	v_cndmask_b32_e32 v27, v33, v30, vcc
	v_lshlrev_b32_e32 v30, 16, v28
	v_bfrev_b32_e32 v31, 60
	v_lshlrev_b32_e32 v27, 20, v27
	v_and_b32_e32 v30, 0x80000000, v30
	v_lshl_add_u32 v26, v26, 23, v31
	v_or3_b32 v26, v30, v26, v27
	v_lshrrev_b32_e32 v31, 16, v26
.LBB677_260:
	s_or_b64 exec, exec, s[20:21]
.LBB677_261:
	s_or_b64 exec, exec, s[8:9]
.LBB677_262:
	s_or_b64 exec, exec, s[2:3]
	s_movk_i32 s2, 0xff
	v_and_b32_sdwa v30, v28, s2 dst_sel:DWORD dst_unused:UNUSED_PAD src0_sel:WORD_1 src1_sel:DWORD
	v_lshrrev_b32_e32 v26, 16, v28
	v_cmp_ne_u16_e32 vcc, 0, v30
	v_mov_b32_e32 v27, 0
	v_mov_b32_e32 v33, 0
	s_and_saveexec_b64 s[2:3], vcc
	s_cbranch_execz .LBB677_268
; %bb.263:
	s_movk_i32 s8, 0x80
	v_cmp_ne_u16_e32 vcc, s8, v30
	v_mov_b32_e32 v33, 0xffff8000
	s_and_saveexec_b64 s[8:9], vcc
	s_cbranch_execz .LBB677_267
; %bb.264:
	v_bfe_u32 v30, v28, 16, 7
	s_movk_i32 s11, 0x7f
	v_cmp_ne_u32_e32 vcc, s11, v30
	v_mov_b32_e32 v33, 0x7f80
	s_and_saveexec_b64 s[20:21], vcc
	s_cbranch_execz .LBB677_266
; %bb.265:
	v_and_b32_e32 v33, 7, v26
	v_ffbh_u32_e32 v34, v33
	v_min_u32_e32 v37, 32, v34
	v_subrev_u32_e32 v34, 28, v37
	v_lshlrev_b64 v[34:35], v34, v[26:27]
	v_and_b32_e32 v34, 7, v34
	v_cmp_gt_u32_e32 vcc, 8, v30
	v_lshrrev_b32_e32 v36, 3, v30
	v_sub_u32_e32 v26, 29, v37
	v_cndmask_b32_e32 v30, v33, v34, vcc
	v_mov_b32_e32 v33, 24
	v_cndmask_b32_e32 v26, v36, v26, vcc
	v_lshlrev_b32_sdwa v33, v33, v28 dst_sel:DWORD dst_unused:UNUSED_PAD src0_sel:DWORD src1_sel:WORD_1
	v_bfrev_b32_e32 v34, 60
	v_lshlrev_b32_e32 v30, 20, v30
	v_and_b32_e32 v33, 0x80000000, v33
	v_lshl_add_u32 v26, v26, 23, v34
	v_or3_b32 v26, v33, v26, v30
	v_lshrrev_b32_e32 v33, 16, v26
.LBB677_266:
	s_or_b64 exec, exec, s[20:21]
.LBB677_267:
	s_or_b64 exec, exec, s[8:9]
.LBB677_268:
	s_or_b64 exec, exec, s[2:3]
	s_mov_b32 s2, 0xffffff
	v_cmp_lt_u32_e32 vcc, s2, v28
	v_mov_b32_e32 v34, 0
	s_and_saveexec_b64 s[2:3], vcc
	s_cbranch_execz .LBB677_274
; %bb.269:
	v_lshrrev_b32_e32 v26, 24, v28
	s_movk_i32 s8, 0x80
	v_cmp_ne_u32_e32 vcc, s8, v26
	v_mov_b32_e32 v34, 0xffff8000
	s_and_saveexec_b64 s[8:9], vcc
	s_cbranch_execz .LBB677_273
; %bb.270:
	v_bfe_u32 v30, v28, 24, 7
	s_movk_i32 s11, 0x7f
	v_cmp_ne_u32_e32 vcc, s11, v30
	v_mov_b32_e32 v34, 0x7f80
	s_and_saveexec_b64 s[20:21], vcc
	s_cbranch_execz .LBB677_272
; %bb.271:
	v_and_b32_e32 v36, 7, v26
	v_ffbh_u32_e32 v34, v36
	v_min_u32_e32 v39, 32, v34
	v_subrev_u32_e32 v34, 28, v39
	v_lshlrev_b64 v[34:35], v34, v[26:27]
	v_lshrrev_b32_e32 v37, 3, v30
	v_sub_u32_e32 v35, 29, v39
	v_and_b32_e32 v34, 7, v34
	v_cmp_gt_u32_e32 vcc, 8, v30
	v_cndmask_b32_e32 v30, v37, v35, vcc
	v_cndmask_b32_e32 v34, v36, v34, vcc
	v_lshlrev_b32_e32 v26, 24, v26
	v_bfrev_b32_e32 v35, 60
	v_lshlrev_b32_e32 v34, 20, v34
	v_and_b32_e32 v26, 0x80000000, v26
	v_lshl_add_u32 v30, v30, 23, v35
	v_or3_b32 v26, v26, v30, v34
	v_lshrrev_b32_e32 v34, 16, v26
.LBB677_272:
	s_or_b64 exec, exec, s[20:21]
.LBB677_273:
	s_or_b64 exec, exec, s[8:9]
.LBB677_274:
	s_or_b64 exec, exec, s[2:3]
	v_mov_b32_e32 v35, 0
	v_mov_b32_e32 v26, v29
	v_cmp_ne_u16_sdwa s[8:9], v29, v35 src0_sel:BYTE_0 src1_sel:DWORD
	v_mov_b32_e32 v36, 0
	s_and_saveexec_b64 s[2:3], s[8:9]
	s_cbranch_execz .LBB677_280
; %bb.275:
	s_movk_i32 s8, 0x80
	v_cmp_ne_u16_sdwa s[20:21], v29, s8 src0_sel:BYTE_0 src1_sel:DWORD
	v_mov_b32_e32 v36, 0xffff8000
	s_and_saveexec_b64 s[8:9], s[20:21]
	s_cbranch_execz .LBB677_279
; %bb.276:
	s_movk_i32 s11, 0x7f
	v_and_b32_e32 v30, 0x7f, v29
	v_cmp_ne_u32_e32 vcc, s11, v30
	v_mov_b32_e32 v36, 0x7f80
	s_and_saveexec_b64 s[20:21], vcc
	s_cbranch_execz .LBB677_278
; %bb.277:
	v_and_b32_e32 v36, 7, v29
	v_ffbh_u32_e32 v36, v36
	v_min_u32_e32 v36, 32, v36
	v_lshrrev_b32_e32 v37, 3, v30
	v_subrev_u32_e32 v39, 28, v36
	v_sub_u32_e32 v36, 29, v36
	v_cmp_gt_u32_e32 vcc, 8, v30
	v_cndmask_b32_e32 v30, v37, v36, vcc
	v_cndmask_b32_e32 v36, 0, v39, vcc
	v_lshlrev_b64 v[36:37], v36, v[26:27]
	v_lshlrev_b32_e32 v27, 20, v36
	v_lshlrev_b32_e32 v36, 24, v26
	v_bfrev_b32_e32 v37, 60
	v_and_b32_e32 v27, 0x700000, v27
	v_and_b32_e32 v36, 0x80000000, v36
	v_lshl_add_u32 v30, v30, 23, v37
	v_or3_b32 v27, v36, v30, v27
	v_lshrrev_b32_e32 v36, 16, v27
.LBB677_278:
	s_or_b64 exec, exec, s[20:21]
.LBB677_279:
	s_or_b64 exec, exec, s[8:9]
.LBB677_280:
	s_or_b64 exec, exec, s[2:3]
	v_lshrrev_b16_e32 v30, 8, v26
	v_cmp_ne_u16_e32 vcc, 0, v30
	s_and_saveexec_b64 s[2:3], vcc
	s_cbranch_execz .LBB677_286
; %bb.281:
	s_movk_i32 s8, 0x80
	v_cmp_ne_u16_e32 vcc, s8, v30
	v_mov_b32_e32 v35, 0xffff8000
	s_and_saveexec_b64 s[8:9], vcc
	s_cbranch_execz .LBB677_285
; %bb.282:
	s_movk_i32 s11, 0x7f
	v_and_b32_e32 v27, 0x7f, v30
	v_cmp_ne_u32_e32 vcc, s11, v27
	v_mov_b32_e32 v35, 0x7f80
	s_and_saveexec_b64 s[20:21], vcc
	s_cbranch_execz .LBB677_284
; %bb.283:
	v_and_b32_e32 v35, 7, v30
	v_ffbh_u32_e32 v39, v35
	v_min_u32_e32 v39, 32, v39
	v_subrev_u32_e32 v40, 28, v39
	v_lshlrev_b64 v[40:41], v40, v[30:31]
	v_lshrrev_b32_e32 v37, 3, v27
	v_sub_u32_e32 v30, 29, v39
	v_and_b32_e32 v39, 7, v40
	v_cmp_gt_u32_e32 vcc, 8, v27
	v_cndmask_b32_e32 v27, v37, v30, vcc
	v_cndmask_b32_e32 v30, v35, v39, vcc
	v_lshlrev_b32_e32 v26, 16, v26
	v_bfrev_b32_e32 v35, 60
	v_lshlrev_b32_e32 v30, 20, v30
	v_and_b32_e32 v26, 0x80000000, v26
	v_lshl_add_u32 v27, v27, 23, v35
	v_or3_b32 v26, v26, v27, v30
	v_lshrrev_b32_e32 v35, 16, v26
.LBB677_284:
	s_or_b64 exec, exec, s[20:21]
.LBB677_285:
	s_or_b64 exec, exec, s[8:9]
.LBB677_286:
	s_or_b64 exec, exec, s[2:3]
	s_movk_i32 s2, 0xff
	v_and_b32_sdwa v37, v29, s2 dst_sel:DWORD dst_unused:UNUSED_PAD src0_sel:WORD_1 src1_sel:DWORD
	v_lshrrev_b32_e32 v26, 16, v29
	v_cmp_ne_u16_e32 vcc, 0, v37
	v_mov_b32_e32 v27, 0
	v_mov_b32_e32 v30, 0
	s_and_saveexec_b64 s[2:3], vcc
	s_cbranch_execz .LBB677_292
; %bb.287:
	s_movk_i32 s8, 0x80
	v_cmp_ne_u16_e32 vcc, s8, v37
	v_mov_b32_e32 v30, 0xffff8000
	s_and_saveexec_b64 s[8:9], vcc
	s_cbranch_execz .LBB677_291
; %bb.288:
	v_bfe_u32 v37, v29, 16, 7
	s_movk_i32 s11, 0x7f
	v_cmp_ne_u32_e32 vcc, s11, v37
	v_mov_b32_e32 v30, 0x7f80
	s_and_saveexec_b64 s[20:21], vcc
	s_cbranch_execz .LBB677_290
; %bb.289:
	v_and_b32_e32 v30, 7, v26
	v_ffbh_u32_e32 v40, v30
	v_min_u32_e32 v42, 32, v40
	v_subrev_u32_e32 v40, 28, v42
	v_lshlrev_b64 v[40:41], v40, v[26:27]
	v_lshrrev_b32_e32 v39, 3, v37
	v_sub_u32_e32 v26, 29, v42
	v_and_b32_e32 v40, 7, v40
	v_cmp_gt_u32_e32 vcc, 8, v37
	v_mov_b32_e32 v37, 24
	v_cndmask_b32_e32 v26, v39, v26, vcc
	v_cndmask_b32_e32 v30, v30, v40, vcc
	v_lshlrev_b32_sdwa v37, v37, v29 dst_sel:DWORD dst_unused:UNUSED_PAD src0_sel:DWORD src1_sel:WORD_1
	v_bfrev_b32_e32 v39, 60
	v_lshlrev_b32_e32 v30, 20, v30
	v_and_b32_e32 v37, 0x80000000, v37
	v_lshl_add_u32 v26, v26, 23, v39
	v_or3_b32 v26, v37, v26, v30
	v_lshrrev_b32_e32 v30, 16, v26
.LBB677_290:
	s_or_b64 exec, exec, s[20:21]
.LBB677_291:
	s_or_b64 exec, exec, s[8:9]
.LBB677_292:
	s_or_b64 exec, exec, s[2:3]
	s_mov_b32 s2, -1
	s_mov_b32 s3, 0xffffff
	v_cmp_lt_u64_e32 vcc, s[2:3], v[28:29]
	s_and_saveexec_b64 s[2:3], vcc
	s_cbranch_execz .LBB677_298
; %bb.293:
	v_lshrrev_b32_e32 v26, 24, v29
	s_movk_i32 s8, 0x80
	v_cmp_ne_u32_e32 vcc, s8, v26
	v_mov_b32_e32 v27, 0xffff8000
	s_and_saveexec_b64 s[8:9], vcc
	s_cbranch_execz .LBB677_297
; %bb.294:
	v_bfe_u32 v28, v29, 24, 7
	s_movk_i32 s11, 0x7f
	v_cmp_ne_u32_e32 vcc, s11, v28
	v_mov_b32_e32 v27, 0x7f80
	s_and_saveexec_b64 s[20:21], vcc
	s_cbranch_execz .LBB677_296
; %bb.295:
	v_and_b32_e32 v27, 7, v26
	v_ffbh_u32_e32 v37, v27
	v_min_u32_e32 v37, 32, v37
	v_subrev_u32_e32 v39, 28, v37
	v_lshlrev_b64 v[40:41], v39, v[26:27]
	v_lshrrev_b32_e32 v29, 3, v28
	v_sub_u32_e32 v37, 29, v37
	v_and_b32_e32 v39, 7, v40
	v_cmp_gt_u32_e32 vcc, 8, v28
	v_cndmask_b32_e32 v28, v29, v37, vcc
	v_cndmask_b32_e32 v27, v27, v39, vcc
	v_lshlrev_b32_e32 v26, 24, v26
	v_bfrev_b32_e32 v29, 60
	v_lshlrev_b32_e32 v27, 20, v27
	v_and_b32_e32 v26, 0x80000000, v26
	v_lshl_add_u32 v28, v28, 23, v29
	v_or3_b32 v26, v26, v28, v27
	v_lshrrev_b32_e32 v27, 16, v26
.LBB677_296:
	s_or_b64 exec, exec, s[20:21]
.LBB677_297:
	s_or_b64 exec, exec, s[8:9]
.LBB677_298:
	s_or_b64 exec, exec, s[2:3]
	s_mov_b32 s2, 0x5040100
	v_perm_b32 v29, v34, v33, s2
	v_perm_b32 v28, v31, v32, s2
	;; [unrolled: 1-line block ×4, first 2 shown]
	v_mfma_f32_4x4x4bf16_1k a[0:3], v[18:19], v[28:29], a[0:3] cbsz:4 abid:5
	v_mov_b32_e32 v29, 0
	v_mfma_f32_4x4x4bf16_1k a[0:3], v[20:21], v[26:27], a[0:3] cbsz:4 abid:5
	s_waitcnt vmcnt(5)
	v_cmp_ne_u16_sdwa s[8:9], v22, v29 src0_sel:BYTE_0 src1_sel:DWORD
	v_mov_b32_e32 v30, 0
	s_and_saveexec_b64 s[2:3], s[8:9]
	s_cbranch_execz .LBB677_304
; %bb.299:
	s_movk_i32 s8, 0x80
	v_cmp_ne_u16_sdwa s[20:21], v22, s8 src0_sel:BYTE_0 src1_sel:DWORD
	v_mov_b32_e32 v30, 0xffff8000
	s_and_saveexec_b64 s[8:9], s[20:21]
	s_cbranch_execz .LBB677_303
; %bb.300:
	s_movk_i32 s11, 0x7f
	v_and_b32_e32 v26, 0x7f, v22
	v_cmp_ne_u32_e32 vcc, s11, v26
	v_mov_b32_e32 v30, 0x7f80
	s_and_saveexec_b64 s[20:21], vcc
	s_cbranch_execz .LBB677_302
; %bb.301:
	v_and_b32_e32 v27, 7, v22
	v_ffbh_u32_e32 v27, v27
	v_min_u32_e32 v27, 32, v27
	v_subrev_u32_e32 v30, 28, v27
	v_cmp_gt_u32_e32 vcc, 8, v26
	v_lshrrev_b32_e32 v28, 3, v26
	v_sub_u32_e32 v27, 29, v27
	v_cndmask_b32_e32 v26, 0, v30, vcc
	v_cndmask_b32_e32 v28, v28, v27, vcc
	v_lshlrev_b64 v[26:27], v26, v[22:23]
	v_lshlrev_b32_e32 v26, 20, v26
	v_lshlrev_b32_e32 v27, 24, v22
	v_bfrev_b32_e32 v30, 60
	v_and_b32_e32 v26, 0x700000, v26
	v_and_b32_e32 v27, 0x80000000, v27
	v_lshl_add_u32 v28, v28, 23, v30
	v_or3_b32 v26, v27, v28, v26
	v_lshrrev_b32_e32 v30, 16, v26
.LBB677_302:
	s_or_b64 exec, exec, s[20:21]
.LBB677_303:
	s_or_b64 exec, exec, s[8:9]
.LBB677_304:
	s_or_b64 exec, exec, s[2:3]
	v_lshrrev_b16_e32 v26, 8, v22
	v_cmp_ne_u16_e32 vcc, 0, v26
	s_and_saveexec_b64 s[2:3], vcc
	s_cbranch_execz .LBB677_310
; %bb.305:
	s_movk_i32 s8, 0x80
	v_cmp_ne_u16_e32 vcc, s8, v26
	v_mov_b32_e32 v29, 0xffff8000
	s_and_saveexec_b64 s[8:9], vcc
	s_cbranch_execz .LBB677_309
; %bb.306:
	s_movk_i32 s11, 0x7f
	v_and_b32_e32 v27, 0x7f, v26
	v_cmp_ne_u32_e32 vcc, s11, v27
	v_mov_b32_e32 v29, 0x7f80
	s_and_saveexec_b64 s[20:21], vcc
	s_cbranch_execz .LBB677_308
; %bb.307:
	v_and_b32_e32 v31, 7, v26
	v_ffbh_u32_e32 v28, v31
	v_min_u32_e32 v33, 32, v28
	v_subrev_u32_e32 v28, 28, v33
	v_lshlrev_b64 v[28:29], v28, v[26:27]
	v_lshrrev_b32_e32 v32, 3, v27
	v_sub_u32_e32 v26, 29, v33
	v_and_b32_e32 v28, 7, v28
	v_cmp_gt_u32_e32 vcc, 8, v27
	v_cndmask_b32_e32 v26, v32, v26, vcc
	v_cndmask_b32_e32 v27, v31, v28, vcc
	v_lshlrev_b32_e32 v28, 16, v22
	v_bfrev_b32_e32 v29, 60
	v_lshlrev_b32_e32 v27, 20, v27
	v_and_b32_e32 v28, 0x80000000, v28
	v_lshl_add_u32 v26, v26, 23, v29
	v_or3_b32 v26, v28, v26, v27
	v_lshrrev_b32_e32 v29, 16, v26
.LBB677_308:
	s_or_b64 exec, exec, s[20:21]
.LBB677_309:
	s_or_b64 exec, exec, s[8:9]
.LBB677_310:
	s_or_b64 exec, exec, s[2:3]
	s_movk_i32 s2, 0xff
	v_and_b32_sdwa v28, v22, s2 dst_sel:DWORD dst_unused:UNUSED_PAD src0_sel:WORD_1 src1_sel:DWORD
	v_lshrrev_b32_e32 v26, 16, v22
	v_cmp_ne_u16_e32 vcc, 0, v28
	v_mov_b32_e32 v27, 0
	v_mov_b32_e32 v31, 0
	s_and_saveexec_b64 s[2:3], vcc
	s_cbranch_execz .LBB677_316
; %bb.311:
	s_movk_i32 s8, 0x80
	v_cmp_ne_u16_e32 vcc, s8, v28
	v_mov_b32_e32 v31, 0xffff8000
	s_and_saveexec_b64 s[8:9], vcc
	s_cbranch_execz .LBB677_315
; %bb.312:
	v_bfe_u32 v28, v22, 16, 7
	s_movk_i32 s11, 0x7f
	v_cmp_ne_u32_e32 vcc, s11, v28
	v_mov_b32_e32 v31, 0x7f80
	s_and_saveexec_b64 s[20:21], vcc
	s_cbranch_execz .LBB677_314
; %bb.313:
	v_and_b32_e32 v31, 7, v26
	v_ffbh_u32_e32 v32, v31
	v_min_u32_e32 v35, 32, v32
	v_subrev_u32_e32 v32, 28, v35
	v_lshlrev_b64 v[32:33], v32, v[26:27]
	v_and_b32_e32 v32, 7, v32
	v_cmp_gt_u32_e32 vcc, 8, v28
	v_lshrrev_b32_e32 v34, 3, v28
	v_sub_u32_e32 v26, 29, v35
	v_cndmask_b32_e32 v28, v31, v32, vcc
	v_mov_b32_e32 v31, 24
	v_cndmask_b32_e32 v26, v34, v26, vcc
	v_lshlrev_b32_sdwa v31, v31, v22 dst_sel:DWORD dst_unused:UNUSED_PAD src0_sel:DWORD src1_sel:WORD_1
	v_bfrev_b32_e32 v32, 60
	v_lshlrev_b32_e32 v28, 20, v28
	v_and_b32_e32 v31, 0x80000000, v31
	v_lshl_add_u32 v26, v26, 23, v32
	v_or3_b32 v26, v31, v26, v28
	v_lshrrev_b32_e32 v31, 16, v26
.LBB677_314:
	s_or_b64 exec, exec, s[20:21]
.LBB677_315:
	s_or_b64 exec, exec, s[8:9]
.LBB677_316:
	s_or_b64 exec, exec, s[2:3]
	s_mov_b32 s2, 0xffffff
	v_cmp_lt_u32_e32 vcc, s2, v22
	v_mov_b32_e32 v32, 0
	s_and_saveexec_b64 s[2:3], vcc
	s_cbranch_execz .LBB677_322
; %bb.317:
	v_lshrrev_b32_e32 v26, 24, v22
	s_movk_i32 s8, 0x80
	v_cmp_ne_u32_e32 vcc, s8, v26
	v_mov_b32_e32 v32, 0xffff8000
	s_and_saveexec_b64 s[8:9], vcc
	s_cbranch_execz .LBB677_321
; %bb.318:
	v_bfe_u32 v28, v22, 24, 7
	s_movk_i32 s11, 0x7f
	v_cmp_ne_u32_e32 vcc, s11, v28
	v_mov_b32_e32 v32, 0x7f80
	s_and_saveexec_b64 s[20:21], vcc
	s_cbranch_execz .LBB677_320
; %bb.319:
	v_and_b32_e32 v34, 7, v26
	v_ffbh_u32_e32 v32, v34
	v_min_u32_e32 v36, 32, v32
	v_subrev_u32_e32 v32, 28, v36
	v_lshlrev_b64 v[32:33], v32, v[26:27]
	v_lshrrev_b32_e32 v35, 3, v28
	v_sub_u32_e32 v33, 29, v36
	v_and_b32_e32 v32, 7, v32
	v_cmp_gt_u32_e32 vcc, 8, v28
	v_cndmask_b32_e32 v28, v35, v33, vcc
	v_cndmask_b32_e32 v32, v34, v32, vcc
	v_lshlrev_b32_e32 v26, 24, v26
	v_bfrev_b32_e32 v33, 60
	v_lshlrev_b32_e32 v32, 20, v32
	v_and_b32_e32 v26, 0x80000000, v26
	v_lshl_add_u32 v28, v28, 23, v33
	v_or3_b32 v26, v26, v28, v32
	v_lshrrev_b32_e32 v32, 16, v26
.LBB677_320:
	s_or_b64 exec, exec, s[20:21]
.LBB677_321:
	s_or_b64 exec, exec, s[8:9]
.LBB677_322:
	s_or_b64 exec, exec, s[2:3]
	v_mov_b32_e32 v33, 0
	v_mov_b32_e32 v26, v23
	v_cmp_ne_u16_sdwa s[8:9], v23, v33 src0_sel:BYTE_0 src1_sel:DWORD
	v_mov_b32_e32 v34, 0
	s_and_saveexec_b64 s[2:3], s[8:9]
	s_cbranch_execz .LBB677_328
; %bb.323:
	s_movk_i32 s8, 0x80
	v_cmp_ne_u16_sdwa s[20:21], v23, s8 src0_sel:BYTE_0 src1_sel:DWORD
	v_mov_b32_e32 v34, 0xffff8000
	s_and_saveexec_b64 s[8:9], s[20:21]
	s_cbranch_execz .LBB677_327
; %bb.324:
	s_movk_i32 s11, 0x7f
	v_and_b32_e32 v28, 0x7f, v23
	v_cmp_ne_u32_e32 vcc, s11, v28
	v_mov_b32_e32 v34, 0x7f80
	s_and_saveexec_b64 s[20:21], vcc
	s_cbranch_execz .LBB677_326
; %bb.325:
	v_and_b32_e32 v34, 7, v23
	v_ffbh_u32_e32 v34, v34
	v_min_u32_e32 v34, 32, v34
	v_lshrrev_b32_e32 v35, 3, v28
	v_subrev_u32_e32 v36, 28, v34
	v_sub_u32_e32 v34, 29, v34
	v_cmp_gt_u32_e32 vcc, 8, v28
	v_cndmask_b32_e32 v28, v35, v34, vcc
	v_cndmask_b32_e32 v34, 0, v36, vcc
	v_lshlrev_b64 v[34:35], v34, v[26:27]
	v_lshlrev_b32_e32 v27, 20, v34
	v_lshlrev_b32_e32 v34, 24, v26
	v_bfrev_b32_e32 v35, 60
	v_and_b32_e32 v27, 0x700000, v27
	v_and_b32_e32 v34, 0x80000000, v34
	v_lshl_add_u32 v28, v28, 23, v35
	v_or3_b32 v27, v34, v28, v27
	v_lshrrev_b32_e32 v34, 16, v27
.LBB677_326:
	s_or_b64 exec, exec, s[20:21]
.LBB677_327:
	s_or_b64 exec, exec, s[8:9]
.LBB677_328:
	s_or_b64 exec, exec, s[2:3]
	v_lshrrev_b16_e32 v28, 8, v26
	v_cmp_ne_u16_e32 vcc, 0, v28
	s_and_saveexec_b64 s[2:3], vcc
	s_cbranch_execz .LBB677_334
; %bb.329:
	s_movk_i32 s8, 0x80
	v_cmp_ne_u16_e32 vcc, s8, v28
	v_mov_b32_e32 v33, 0xffff8000
	s_and_saveexec_b64 s[8:9], vcc
	s_cbranch_execz .LBB677_333
; %bb.330:
	s_movk_i32 s11, 0x7f
	v_and_b32_e32 v27, 0x7f, v28
	v_cmp_ne_u32_e32 vcc, s11, v27
	v_mov_b32_e32 v33, 0x7f80
	s_and_saveexec_b64 s[20:21], vcc
	s_cbranch_execz .LBB677_332
; %bb.331:
	v_and_b32_e32 v33, 7, v28
	v_ffbh_u32_e32 v36, v33
	v_min_u32_e32 v39, 32, v36
	v_subrev_u32_e32 v36, 28, v39
	v_lshlrev_b64 v[36:37], v36, v[28:29]
	v_lshrrev_b32_e32 v35, 3, v27
	v_sub_u32_e32 v28, 29, v39
	v_and_b32_e32 v36, 7, v36
	v_cmp_gt_u32_e32 vcc, 8, v27
	v_cndmask_b32_e32 v27, v35, v28, vcc
	v_cndmask_b32_e32 v28, v33, v36, vcc
	v_lshlrev_b32_e32 v26, 16, v26
	v_bfrev_b32_e32 v33, 60
	v_lshlrev_b32_e32 v28, 20, v28
	v_and_b32_e32 v26, 0x80000000, v26
	v_lshl_add_u32 v27, v27, 23, v33
	v_or3_b32 v26, v26, v27, v28
	v_lshrrev_b32_e32 v33, 16, v26
.LBB677_332:
	s_or_b64 exec, exec, s[20:21]
.LBB677_333:
	s_or_b64 exec, exec, s[8:9]
.LBB677_334:
	s_or_b64 exec, exec, s[2:3]
	s_movk_i32 s2, 0xff
	v_and_b32_sdwa v35, v23, s2 dst_sel:DWORD dst_unused:UNUSED_PAD src0_sel:WORD_1 src1_sel:DWORD
	v_lshrrev_b32_e32 v26, 16, v23
	v_cmp_ne_u16_e32 vcc, 0, v35
	v_mov_b32_e32 v27, 0
	v_mov_b32_e32 v28, 0
	s_and_saveexec_b64 s[2:3], vcc
	s_cbranch_execz .LBB677_340
; %bb.335:
	s_movk_i32 s8, 0x80
	v_cmp_ne_u16_e32 vcc, s8, v35
	v_mov_b32_e32 v28, 0xffff8000
	s_and_saveexec_b64 s[8:9], vcc
	s_cbranch_execz .LBB677_339
; %bb.336:
	v_bfe_u32 v35, v23, 16, 7
	s_movk_i32 s11, 0x7f
	v_cmp_ne_u32_e32 vcc, s11, v35
	v_mov_b32_e32 v28, 0x7f80
	s_and_saveexec_b64 s[20:21], vcc
	s_cbranch_execz .LBB677_338
; %bb.337:
	v_and_b32_e32 v28, 7, v26
	v_ffbh_u32_e32 v36, v28
	v_min_u32_e32 v40, 32, v36
	v_subrev_u32_e32 v36, 28, v40
	v_lshlrev_b64 v[36:37], v36, v[26:27]
	v_lshrrev_b32_e32 v39, 3, v35
	v_sub_u32_e32 v26, 29, v40
	v_and_b32_e32 v36, 7, v36
	v_cmp_gt_u32_e32 vcc, 8, v35
	v_mov_b32_e32 v35, 24
	v_cndmask_b32_e32 v26, v39, v26, vcc
	v_cndmask_b32_e32 v28, v28, v36, vcc
	v_lshlrev_b32_sdwa v35, v35, v23 dst_sel:DWORD dst_unused:UNUSED_PAD src0_sel:DWORD src1_sel:WORD_1
	v_bfrev_b32_e32 v36, 60
	v_lshlrev_b32_e32 v28, 20, v28
	v_and_b32_e32 v35, 0x80000000, v35
	v_lshl_add_u32 v26, v26, 23, v36
	v_or3_b32 v26, v35, v26, v28
	v_lshrrev_b32_e32 v28, 16, v26
.LBB677_338:
	s_or_b64 exec, exec, s[20:21]
.LBB677_339:
	s_or_b64 exec, exec, s[8:9]
.LBB677_340:
	s_or_b64 exec, exec, s[2:3]
	s_mov_b32 s2, -1
	s_mov_b32 s3, 0xffffff
	v_cmp_lt_u64_e32 vcc, s[2:3], v[22:23]
	s_and_saveexec_b64 s[2:3], vcc
	s_cbranch_execz .LBB677_346
; %bb.341:
	v_lshrrev_b32_e32 v22, 24, v23
	s_movk_i32 s8, 0x80
	v_cmp_ne_u32_e32 vcc, s8, v22
	v_mov_b32_e32 v27, 0xffff8000
	s_and_saveexec_b64 s[8:9], vcc
	s_cbranch_execz .LBB677_345
; %bb.342:
	v_bfe_u32 v23, v23, 24, 7
	s_movk_i32 s11, 0x7f
	v_cmp_ne_u32_e32 vcc, s11, v23
	v_mov_b32_e32 v27, 0x7f80
	s_and_saveexec_b64 s[20:21], vcc
	s_cbranch_execz .LBB677_344
; %bb.343:
	v_and_b32_e32 v35, 7, v22
	v_ffbh_u32_e32 v26, v35
	v_min_u32_e32 v37, 32, v26
	v_subrev_u32_e32 v26, 28, v37
	v_lshlrev_b64 v[26:27], v26, v[22:23]
	v_lshrrev_b32_e32 v36, 3, v23
	v_sub_u32_e32 v27, 29, v37
	v_and_b32_e32 v26, 7, v26
	v_cmp_gt_u32_e32 vcc, 8, v23
	v_cndmask_b32_e32 v23, v36, v27, vcc
	v_cndmask_b32_e32 v26, v35, v26, vcc
	v_lshlrev_b32_e32 v22, 24, v22
	v_bfrev_b32_e32 v27, 60
	v_lshlrev_b32_e32 v26, 20, v26
	v_and_b32_e32 v22, 0x80000000, v22
	v_lshl_add_u32 v23, v23, 23, v27
	v_or3_b32 v22, v22, v23, v26
	v_lshrrev_b32_e32 v27, 16, v22
.LBB677_344:
	s_or_b64 exec, exec, s[20:21]
.LBB677_345:
	s_or_b64 exec, exec, s[8:9]
.LBB677_346:
	s_or_b64 exec, exec, s[2:3]
	s_mov_b32 s2, 0x5040100
	v_perm_b32 v23, v32, v31, s2
	v_perm_b32 v22, v29, v30, s2
	;; [unrolled: 1-line block ×4, first 2 shown]
	v_mfma_f32_4x4x4bf16_1k a[0:3], v[18:19], v[22:23], a[0:3] cbsz:4 abid:6
	v_mov_b32_e32 v28, 0
	v_mfma_f32_4x4x4bf16_1k a[0:3], v[20:21], v[26:27], a[0:3] cbsz:4 abid:6
	v_mov_b32_e32 v27, 0
	v_cmp_ne_u16_sdwa s[8:9], v24, v27 src0_sel:BYTE_0 src1_sel:DWORD
	s_and_saveexec_b64 s[2:3], s[8:9]
	s_cbranch_execz .LBB677_352
; %bb.347:
	s_movk_i32 s8, 0x80
	v_cmp_ne_u16_sdwa s[20:21], v24, s8 src0_sel:BYTE_0 src1_sel:DWORD
	v_mov_b32_e32 v28, 0xffff8000
	s_and_saveexec_b64 s[8:9], s[20:21]
	s_cbranch_execz .LBB677_351
; %bb.348:
	s_movk_i32 s11, 0x7f
	v_and_b32_e32 v22, 0x7f, v24
	v_cmp_ne_u32_e32 vcc, s11, v22
	v_mov_b32_e32 v28, 0x7f80
	s_and_saveexec_b64 s[20:21], vcc
	s_cbranch_execz .LBB677_350
; %bb.349:
	v_and_b32_e32 v23, 7, v24
	v_ffbh_u32_e32 v23, v23
	v_min_u32_e32 v23, 32, v23
	v_subrev_u32_e32 v28, 28, v23
	v_cmp_gt_u32_e32 vcc, 8, v22
	v_lshrrev_b32_e32 v26, 3, v22
	v_sub_u32_e32 v23, 29, v23
	v_cndmask_b32_e32 v22, 0, v28, vcc
	v_cndmask_b32_e32 v26, v26, v23, vcc
	v_lshlrev_b64 v[22:23], v22, v[24:25]
	v_lshlrev_b32_e32 v22, 20, v22
	v_lshlrev_b32_e32 v23, 24, v24
	v_bfrev_b32_e32 v28, 60
	v_and_b32_e32 v22, 0x700000, v22
	v_and_b32_e32 v23, 0x80000000, v23
	v_lshl_add_u32 v26, v26, 23, v28
	v_or3_b32 v22, v23, v26, v22
	v_lshrrev_b32_e32 v28, 16, v22
.LBB677_350:
	s_or_b64 exec, exec, s[20:21]
.LBB677_351:
	s_or_b64 exec, exec, s[8:9]
.LBB677_352:
	s_or_b64 exec, exec, s[2:3]
	v_lshrrev_b16_e32 v22, 8, v24
	v_cmp_ne_u16_e32 vcc, 0, v22
	s_and_saveexec_b64 s[2:3], vcc
	s_cbranch_execz .LBB677_358
; %bb.353:
	s_movk_i32 s8, 0x80
	v_cmp_ne_u16_e32 vcc, s8, v22
	v_mov_b32_e32 v27, 0xffff8000
	s_and_saveexec_b64 s[8:9], vcc
	s_cbranch_execz .LBB677_357
; %bb.354:
	s_movk_i32 s11, 0x7f
	v_and_b32_e32 v23, 0x7f, v22
	v_cmp_ne_u32_e32 vcc, s11, v23
	v_mov_b32_e32 v27, 0x7f80
	s_and_saveexec_b64 s[20:21], vcc
	s_cbranch_execz .LBB677_356
; %bb.355:
	v_and_b32_e32 v29, 7, v22
	v_ffbh_u32_e32 v26, v29
	v_min_u32_e32 v31, 32, v26
	v_subrev_u32_e32 v26, 28, v31
	v_lshlrev_b64 v[26:27], v26, v[22:23]
	v_lshrrev_b32_e32 v30, 3, v23
	v_sub_u32_e32 v22, 29, v31
	v_and_b32_e32 v26, 7, v26
	v_cmp_gt_u32_e32 vcc, 8, v23
	v_cndmask_b32_e32 v22, v30, v22, vcc
	v_cndmask_b32_e32 v23, v29, v26, vcc
	v_lshlrev_b32_e32 v26, 16, v24
	v_bfrev_b32_e32 v27, 60
	v_lshlrev_b32_e32 v23, 20, v23
	v_and_b32_e32 v26, 0x80000000, v26
	v_lshl_add_u32 v22, v22, 23, v27
	v_or3_b32 v22, v26, v22, v23
	v_lshrrev_b32_e32 v27, 16, v22
.LBB677_356:
	s_or_b64 exec, exec, s[20:21]
.LBB677_357:
	s_or_b64 exec, exec, s[8:9]
.LBB677_358:
	s_or_b64 exec, exec, s[2:3]
	s_movk_i32 s2, 0xff
	v_and_b32_sdwa v26, v24, s2 dst_sel:DWORD dst_unused:UNUSED_PAD src0_sel:WORD_1 src1_sel:DWORD
	v_lshrrev_b32_e32 v22, 16, v24
	v_cmp_ne_u16_e32 vcc, 0, v26
	v_mov_b32_e32 v23, 0
	v_mov_b32_e32 v29, 0
	s_and_saveexec_b64 s[2:3], vcc
	s_cbranch_execz .LBB677_364
; %bb.359:
	s_movk_i32 s8, 0x80
	v_cmp_ne_u16_e32 vcc, s8, v26
	v_mov_b32_e32 v29, 0xffff8000
	s_and_saveexec_b64 s[8:9], vcc
	s_cbranch_execz .LBB677_363
; %bb.360:
	v_bfe_u32 v26, v24, 16, 7
	s_movk_i32 s11, 0x7f
	v_cmp_ne_u32_e32 vcc, s11, v26
	v_mov_b32_e32 v29, 0x7f80
	s_and_saveexec_b64 s[20:21], vcc
	s_cbranch_execz .LBB677_362
; %bb.361:
	v_and_b32_e32 v29, 7, v22
	v_ffbh_u32_e32 v30, v29
	v_min_u32_e32 v33, 32, v30
	v_subrev_u32_e32 v30, 28, v33
	v_lshlrev_b64 v[30:31], v30, v[22:23]
	v_and_b32_e32 v30, 7, v30
	v_cmp_gt_u32_e32 vcc, 8, v26
	v_lshrrev_b32_e32 v32, 3, v26
	v_sub_u32_e32 v22, 29, v33
	v_cndmask_b32_e32 v26, v29, v30, vcc
	v_mov_b32_e32 v29, 24
	v_cndmask_b32_e32 v22, v32, v22, vcc
	v_lshlrev_b32_sdwa v29, v29, v24 dst_sel:DWORD dst_unused:UNUSED_PAD src0_sel:DWORD src1_sel:WORD_1
	v_bfrev_b32_e32 v30, 60
	v_lshlrev_b32_e32 v26, 20, v26
	v_and_b32_e32 v29, 0x80000000, v29
	v_lshl_add_u32 v22, v22, 23, v30
	v_or3_b32 v22, v29, v22, v26
	v_lshrrev_b32_e32 v29, 16, v22
.LBB677_362:
	s_or_b64 exec, exec, s[20:21]
.LBB677_363:
	s_or_b64 exec, exec, s[8:9]
.LBB677_364:
	s_or_b64 exec, exec, s[2:3]
	s_mov_b32 s2, 0xffffff
	v_cmp_lt_u32_e32 vcc, s2, v24
	v_mov_b32_e32 v30, 0
	s_and_saveexec_b64 s[2:3], vcc
	s_cbranch_execz .LBB677_370
; %bb.365:
	v_lshrrev_b32_e32 v22, 24, v24
	s_movk_i32 s8, 0x80
	v_cmp_ne_u32_e32 vcc, s8, v22
	v_mov_b32_e32 v30, 0xffff8000
	s_and_saveexec_b64 s[8:9], vcc
	s_cbranch_execz .LBB677_369
; %bb.366:
	v_bfe_u32 v26, v24, 24, 7
	s_movk_i32 s11, 0x7f
	v_cmp_ne_u32_e32 vcc, s11, v26
	v_mov_b32_e32 v30, 0x7f80
	s_and_saveexec_b64 s[20:21], vcc
	s_cbranch_execz .LBB677_368
; %bb.367:
	v_and_b32_e32 v32, 7, v22
	v_ffbh_u32_e32 v30, v32
	v_min_u32_e32 v34, 32, v30
	v_subrev_u32_e32 v30, 28, v34
	v_lshlrev_b64 v[30:31], v30, v[22:23]
	v_lshrrev_b32_e32 v33, 3, v26
	v_sub_u32_e32 v31, 29, v34
	v_and_b32_e32 v30, 7, v30
	v_cmp_gt_u32_e32 vcc, 8, v26
	v_cndmask_b32_e32 v26, v33, v31, vcc
	v_cndmask_b32_e32 v30, v32, v30, vcc
	v_lshlrev_b32_e32 v22, 24, v22
	v_bfrev_b32_e32 v31, 60
	v_lshlrev_b32_e32 v30, 20, v30
	v_and_b32_e32 v22, 0x80000000, v22
	v_lshl_add_u32 v26, v26, 23, v31
	v_or3_b32 v22, v22, v26, v30
	v_lshrrev_b32_e32 v30, 16, v22
.LBB677_368:
	s_or_b64 exec, exec, s[20:21]
.LBB677_369:
	s_or_b64 exec, exec, s[8:9]
.LBB677_370:
	s_or_b64 exec, exec, s[2:3]
	v_mov_b32_e32 v31, 0
	v_mov_b32_e32 v22, v25
	v_cmp_ne_u16_sdwa s[8:9], v25, v31 src0_sel:BYTE_0 src1_sel:DWORD
	v_mov_b32_e32 v32, 0
	s_and_saveexec_b64 s[2:3], s[8:9]
	s_cbranch_execz .LBB677_376
; %bb.371:
	s_movk_i32 s8, 0x80
	v_cmp_ne_u16_sdwa s[20:21], v25, s8 src0_sel:BYTE_0 src1_sel:DWORD
	v_mov_b32_e32 v32, 0xffff8000
	s_and_saveexec_b64 s[8:9], s[20:21]
	s_cbranch_execz .LBB677_375
; %bb.372:
	s_movk_i32 s11, 0x7f
	v_and_b32_e32 v26, 0x7f, v25
	v_cmp_ne_u32_e32 vcc, s11, v26
	v_mov_b32_e32 v32, 0x7f80
	s_and_saveexec_b64 s[20:21], vcc
	s_cbranch_execz .LBB677_374
; %bb.373:
	v_and_b32_e32 v32, 7, v25
	v_ffbh_u32_e32 v32, v32
	v_min_u32_e32 v32, 32, v32
	v_lshrrev_b32_e32 v33, 3, v26
	v_subrev_u32_e32 v34, 28, v32
	v_sub_u32_e32 v32, 29, v32
	v_cmp_gt_u32_e32 vcc, 8, v26
	v_cndmask_b32_e32 v26, v33, v32, vcc
	v_cndmask_b32_e32 v32, 0, v34, vcc
	v_lshlrev_b64 v[32:33], v32, v[22:23]
	v_lshlrev_b32_e32 v23, 20, v32
	v_lshlrev_b32_e32 v32, 24, v22
	v_bfrev_b32_e32 v33, 60
	v_and_b32_e32 v23, 0x700000, v23
	v_and_b32_e32 v32, 0x80000000, v32
	v_lshl_add_u32 v26, v26, 23, v33
	v_or3_b32 v23, v32, v26, v23
	v_lshrrev_b32_e32 v32, 16, v23
.LBB677_374:
	s_or_b64 exec, exec, s[20:21]
.LBB677_375:
	s_or_b64 exec, exec, s[8:9]
.LBB677_376:
	s_or_b64 exec, exec, s[2:3]
	v_lshrrev_b16_e32 v26, 8, v22
	v_cmp_ne_u16_e32 vcc, 0, v26
	s_and_saveexec_b64 s[2:3], vcc
	s_cbranch_execz .LBB677_382
; %bb.377:
	s_movk_i32 s8, 0x80
	v_cmp_ne_u16_e32 vcc, s8, v26
	v_mov_b32_e32 v31, 0xffff8000
	s_and_saveexec_b64 s[8:9], vcc
	s_cbranch_execz .LBB677_381
; %bb.378:
	s_movk_i32 s11, 0x7f
	v_and_b32_e32 v23, 0x7f, v26
	v_cmp_ne_u32_e32 vcc, s11, v23
	v_mov_b32_e32 v31, 0x7f80
	s_and_saveexec_b64 s[20:21], vcc
	s_cbranch_execz .LBB677_380
; %bb.379:
	v_and_b32_e32 v31, 7, v26
	v_ffbh_u32_e32 v34, v31
	v_min_u32_e32 v36, 32, v34
	v_subrev_u32_e32 v34, 28, v36
	v_lshlrev_b64 v[34:35], v34, v[26:27]
	v_lshrrev_b32_e32 v33, 3, v23
	v_sub_u32_e32 v26, 29, v36
	v_and_b32_e32 v34, 7, v34
	v_cmp_gt_u32_e32 vcc, 8, v23
	v_cndmask_b32_e32 v23, v33, v26, vcc
	v_cndmask_b32_e32 v26, v31, v34, vcc
	v_lshlrev_b32_e32 v22, 16, v22
	v_bfrev_b32_e32 v31, 60
	v_lshlrev_b32_e32 v26, 20, v26
	v_and_b32_e32 v22, 0x80000000, v22
	v_lshl_add_u32 v23, v23, 23, v31
	v_or3_b32 v22, v22, v23, v26
	v_lshrrev_b32_e32 v31, 16, v22
.LBB677_380:
	s_or_b64 exec, exec, s[20:21]
.LBB677_381:
	s_or_b64 exec, exec, s[8:9]
.LBB677_382:
	s_or_b64 exec, exec, s[2:3]
	s_movk_i32 s2, 0xff
	v_and_b32_sdwa v33, v25, s2 dst_sel:DWORD dst_unused:UNUSED_PAD src0_sel:WORD_1 src1_sel:DWORD
	v_lshrrev_b32_e32 v22, 16, v25
	v_cmp_ne_u16_e32 vcc, 0, v33
	v_mov_b32_e32 v23, 0
	v_mov_b32_e32 v26, 0
	s_and_saveexec_b64 s[2:3], vcc
	s_cbranch_execz .LBB677_388
; %bb.383:
	s_movk_i32 s8, 0x80
	v_cmp_ne_u16_e32 vcc, s8, v33
	v_mov_b32_e32 v26, 0xffff8000
	s_and_saveexec_b64 s[8:9], vcc
	s_cbranch_execz .LBB677_387
; %bb.384:
	v_bfe_u32 v33, v25, 16, 7
	s_movk_i32 s11, 0x7f
	v_cmp_ne_u32_e32 vcc, s11, v33
	v_mov_b32_e32 v26, 0x7f80
	s_and_saveexec_b64 s[20:21], vcc
	s_cbranch_execz .LBB677_386
; %bb.385:
	v_and_b32_e32 v26, 7, v22
	v_ffbh_u32_e32 v34, v26
	v_min_u32_e32 v37, 32, v34
	v_subrev_u32_e32 v34, 28, v37
	v_lshlrev_b64 v[34:35], v34, v[22:23]
	v_lshrrev_b32_e32 v36, 3, v33
	v_sub_u32_e32 v22, 29, v37
	v_and_b32_e32 v34, 7, v34
	v_cmp_gt_u32_e32 vcc, 8, v33
	v_mov_b32_e32 v33, 24
	v_cndmask_b32_e32 v22, v36, v22, vcc
	v_cndmask_b32_e32 v26, v26, v34, vcc
	v_lshlrev_b32_sdwa v33, v33, v25 dst_sel:DWORD dst_unused:UNUSED_PAD src0_sel:DWORD src1_sel:WORD_1
	v_bfrev_b32_e32 v34, 60
	v_lshlrev_b32_e32 v26, 20, v26
	v_and_b32_e32 v33, 0x80000000, v33
	v_lshl_add_u32 v22, v22, 23, v34
	v_or3_b32 v22, v33, v22, v26
	v_lshrrev_b32_e32 v26, 16, v22
.LBB677_386:
	s_or_b64 exec, exec, s[20:21]
.LBB677_387:
	s_or_b64 exec, exec, s[8:9]
.LBB677_388:
	s_or_b64 exec, exec, s[2:3]
	s_mov_b32 s2, -1
	s_mov_b32 s3, 0xffffff
	v_cmp_lt_u64_e32 vcc, s[2:3], v[24:25]
	s_and_saveexec_b64 s[2:3], vcc
	s_cbranch_execz .LBB677_394
; %bb.389:
	v_lshrrev_b32_e32 v22, 24, v25
	s_movk_i32 s8, 0x80
	v_cmp_ne_u32_e32 vcc, s8, v22
	v_mov_b32_e32 v23, 0xffff8000
	s_and_saveexec_b64 s[8:9], vcc
	s_cbranch_execz .LBB677_393
; %bb.390:
	v_bfe_u32 v24, v25, 24, 7
	s_movk_i32 s11, 0x7f
	v_cmp_ne_u32_e32 vcc, s11, v24
	v_mov_b32_e32 v23, 0x7f80
	s_and_saveexec_b64 s[20:21], vcc
	s_cbranch_execz .LBB677_392
; %bb.391:
	v_and_b32_e32 v23, 7, v22
	v_ffbh_u32_e32 v33, v23
	v_min_u32_e32 v33, 32, v33
	v_subrev_u32_e32 v34, 28, v33
	v_lshlrev_b64 v[34:35], v34, v[22:23]
	v_lshrrev_b32_e32 v25, 3, v24
	v_sub_u32_e32 v33, 29, v33
	v_and_b32_e32 v34, 7, v34
	v_cmp_gt_u32_e32 vcc, 8, v24
	v_cndmask_b32_e32 v24, v25, v33, vcc
	v_cndmask_b32_e32 v23, v23, v34, vcc
	v_lshlrev_b32_e32 v22, 24, v22
	v_bfrev_b32_e32 v25, 60
	v_lshlrev_b32_e32 v23, 20, v23
	v_and_b32_e32 v22, 0x80000000, v22
	v_lshl_add_u32 v24, v24, 23, v25
	v_or3_b32 v22, v22, v24, v23
	v_lshrrev_b32_e32 v23, 16, v22
.LBB677_392:
	s_or_b64 exec, exec, s[20:21]
.LBB677_393:
	s_or_b64 exec, exec, s[8:9]
.LBB677_394:
	s_or_b64 exec, exec, s[2:3]
	s_mov_b32 s3, 0x5040100
	s_load_dword s2, s[4:5], 0x1c
	v_perm_b32 v25, v30, v29, s3
	v_perm_b32 v24, v27, v28, s3
	;; [unrolled: 1-line block ×4, first 2 shown]
	v_mfma_f32_4x4x4bf16_1k a[0:3], v[18:19], v[24:25], a[0:3] cbsz:4 abid:7
	s_load_dword s3, s[12:13], 0x0
	v_mfma_f32_4x4x4bf16_1k a[0:3], v[20:21], v[22:23], a[0:3] cbsz:4 abid:7
	s_waitcnt lgkmcnt(0)
	v_mov_b32_e32 v18, s2
	v_cmp_eq_u32_e32 vcc, 0, v44
	v_mov_b32_e32 v25, 0xff7fffff
	v_mul_f32_e32 v20, s3, v18
	v_accvgpr_read_b32 v23, a1
	v_accvgpr_read_b32 v22, a0
	v_pk_mul_f32 v[22:23], v[22:23], v[20:21] op_sel_hi:[1,0]
	v_accvgpr_read_b32 v19, a3
	v_accvgpr_read_b32 v18, a2
	v_pk_mul_f32 v[18:19], v[18:19], v[20:21] op_sel_hi:[1,0]
	v_cndmask_b32_e64 v20, 0, 1.0, vcc
	v_cmp_eq_u32_e32 vcc, 1, v44
	s_nop 0
	v_mfma_f32_4x4x1f32 a[0:3], v22, v20, 0
	v_cndmask_b32_e64 v20, 0, 1.0, vcc
	v_cmp_eq_u32_e32 vcc, 2, v44
	s_nop 0
	v_mfma_f32_4x4x1f32 a[0:3], v23, v20, a[0:3]
	;; [unrolled: 4-line block ×3, first 2 shown]
	v_cndmask_b32_e64 v18, 0, 1.0, vcc
	s_nop 1
	v_mfma_f32_4x4x1f32 a[0:3], v19, v18, a[0:3]
	v_and_b32_e32 v18, -4, v45
	v_subrev_u32_e32 v19, s7, v18
	v_add_u32_e32 v20, 1, v19
	v_cvt_f32_i32_e32 v20, v20
	v_add_u32_e32 v21, 2, v19
	v_cvt_f32_i32_e32 v21, v21
	v_accvgpr_read_b32 v22, a0
	s_waitcnt vmcnt(4)
	v_fma_f32 v20, v46, v20, v22
	v_accvgpr_read_b32 v22, a1
	v_fma_f32 v21, v46, v21, v22
	v_add_u32_e32 v22, 3, v19
	v_cvt_f32_i32_e32 v22, v22
	v_add_u32_e32 v19, 4, v19
	v_max_f32_e32 v24, 0xff7fffff, v20
	v_cmp_gt_i32_e32 vcc, s7, v18
	v_cvt_f32_i32_e32 v19, v19
	v_cndmask_b32_e32 v24, v25, v24, vcc
	v_or_b32_e32 v25, 1, v18
	v_accvgpr_read_b32 v23, a2
	v_max_f32_e32 v26, v24, v21
	v_cmp_gt_i32_e64 s[2:3], s7, v25
	v_fma_f32 v22, v46, v22, v23
	v_cndmask_b32_e64 v24, v24, v26, s[2:3]
	v_or_b32_e32 v18, 2, v18
	v_accvgpr_read_b32 v23, a3
	v_max_f32_e32 v25, v24, v22
	v_cmp_gt_i32_e64 s[4:5], s7, v18
	v_fmac_f32_e32 v23, v46, v19
	v_cndmask_b32_e64 v18, v24, v25, s[4:5]
	v_or_b32_e32 v24, 3, v45
	v_max_f32_e32 v25, v18, v23
	v_cmp_gt_i32_e64 s[8:9], s7, v24
	v_lshlrev_b32_e32 v19, 2, v0
	v_cndmask_b32_e64 v18, v18, v25, s[8:9]
	v_and_or_b32 v19, v19, 48, v44
	;;#ASMSTART
	v_nop
 v_nop
 v_max_f32_dpp v18, v18, v18 row_ror:4
	;;#ASMEND
	v_lshlrev_b32_e32 v24, 2, v19
	;;#ASMSTART
	v_nop
 v_nop
 v_max_f32_dpp v18, v18, v18 row_ror:8
	;;#ASMEND
	ds_bpermute_b32 v18, v24, v18
	s_waitcnt lgkmcnt(0)
	;;#ASMSTART
	v_nop
 v_nop
 v_max_f32_dpp v18, v18, v18 row_ror:4
	;;#ASMEND
	;;#ASMSTART
	v_nop
 v_nop
 v_max_f32_dpp v25, v18, v18 row_ror:8
	;;#ASMEND
	v_sub_f32_e32 v18, v20, v25
	v_mul_f32_e32 v18, 0x3fb8aa3b, v18
	v_sub_f32_e32 v19, v21, v25
	v_exp_f32_e32 v18, v18
	v_mul_f32_e32 v19, 0x3fb8aa3b, v19
	v_sub_f32_e32 v21, v22, v25
	v_exp_f32_e32 v19, v19
	v_mul_f32_e32 v21, 0x3fb8aa3b, v21
	v_sub_f32_e32 v22, v23, v25
	v_exp_f32_e32 v21, v21
	v_mul_f32_e32 v22, 0x3fb8aa3b, v22
	v_exp_f32_e32 v22, v22
	v_cndmask_b32_e32 v18, 0, v18, vcc
	v_add_f32_e32 v20, 0, v18
	v_cndmask_b32_e64 v19, 0, v19, s[2:3]
	v_add_f32_e32 v23, v20, v19
	v_cndmask_b32_e64 v20, 0, v21, s[4:5]
	;; [unrolled: 2-line block ×3, first 2 shown]
	v_add_f32_e32 v22, v23, v21
	;;#ASMSTART
	v_nop
 v_nop
 v_add_f32_dpp v22, v22, v22 row_ror:4
	;;#ASMEND
	;;#ASMSTART
	v_nop
 v_nop
 v_add_f32_dpp v22, v22, v22 row_ror:8
	;;#ASMEND
	ds_bpermute_b32 v22, v24, v22
	s_waitcnt lgkmcnt(0)
	;;#ASMSTART
	v_nop
 v_nop
 v_add_f32_dpp v22, v22, v22 row_ror:4
	;;#ASMEND
	v_cmp_gt_u32_e32 vcc, 4, v43
	;;#ASMSTART
	v_nop
 v_nop
 v_add_f32_dpp v22, v22, v22 row_ror:8
	;;#ASMEND
	s_and_saveexec_b64 s[2:3], vcc
	s_cbranch_execz .LBB677_396
; %bb.395:
	v_mul_u32_u24_e32 v23, 20, v1
	v_lshl_add_u32 v23, v44, 2, v23
	v_add_u32_e32 v23, 0x800, v23
	ds_write2_b32 v23, v25, v22 offset0:128 offset1:148
.LBB677_396:
	s_or_b64 exec, exec, s[2:3]
.LBB677_397:
	s_or_b64 exec, exec, s[34:35]
	v_lshlrev_b32_e32 v22, 2, v44
	v_add_u32_e32 v24, 0x800, v22
	s_waitcnt lgkmcnt(0)
	s_barrier
	s_load_dword s2, s[30:31], 0x8
	ds_read2_b32 v[22:23], v24 offset0:128 offset1:133
	ds_read2_b32 v[28:29], v24 offset0:138 offset1:143
	s_mov_b32 s7, 0xff7fffff
	s_mul_i32 s3, s6, s44
	ds_read2_b32 v[30:31], v24 offset0:148 offset1:153
	s_waitcnt lgkmcnt(0)
	v_max3_f32 v26, v22, s7, v23
	v_max3_f32 v26, v26, v28, v29
	v_sub_f32_e32 v22, v22, v26
	v_mul_f32_e32 v22, 0x3fb8aa3b, v22
	v_exp_f32_e32 v27, v22
	v_sub_f32_e32 v22, v23, v26
	v_mul_f32_e32 v22, 0x3fb8aa3b, v22
	s_mul_i32 s3, s3, s2
	v_exp_f32_e32 v32, v22
	ds_read2_b32 v[22:23], v24 offset0:158 offset1:163
	v_sub_f32_e32 v24, v28, v26
	s_lshl_b32 s2, s3, 2
	s_mov_b32 s3, 0
	v_mul_f32_e32 v24, 0x3fb8aa3b, v24
	v_sub_f32_e32 v28, v29, v26
	s_lshl_b64 s[4:5], s[2:3], 2
	v_exp_f32_e32 v24, v24
	v_mul_f32_e32 v28, 0x3fb8aa3b, v28
	s_mov_b32 s11, s3
	s_add_u32 s3, s16, s4
	v_exp_f32_e32 v28, v28
	s_addc_u32 s6, s17, s5
	v_fma_f32 v27, v27, v30, 0
	s_add_u32 s7, s18, s4
	v_fmac_f32_e32 v27, v32, v31
	s_addc_u32 s8, s19, s5
	s_lshl_b64 s[4:5], s[10:11], 2
	s_waitcnt lgkmcnt(0)
	v_fmac_f32_e32 v27, v24, v22
	s_add_u32 s7, s7, s4
	v_fmac_f32_e32 v27, v28, v23
	v_mul_lo_u32 v22, s44, v38
	v_mov_b32_e32 v23, 0
	s_addc_u32 s8, s8, s5
	v_lshlrev_b64 v[28:29], 2, v[22:23]
	s_add_u32 s3, s3, s4
	v_mov_b32_e32 v22, s8
	v_add_co_u32_e32 v30, vcc, s7, v28
	s_addc_u32 s4, s6, s5
	v_addc_co_u32_e32 v31, vcc, v22, v29, vcc
	v_mov_b32_e32 v22, s4
	v_add_co_u32_e32 v28, vcc, s3, v28
	v_addc_co_u32_e32 v29, vcc, v22, v29, vcc
	v_mov_b32_e32 v22, v23
	global_store_dword v[30:31], v26, off
	global_store_dword v[28:29], v27, off
	s_and_saveexec_b64 s[4:5], s[0:1]
	s_cbranch_execz .LBB677_783
; %bb.398:
	v_mov_b32_e32 v28, 0
	s_waitcnt vmcnt(5)
	v_cmp_ne_u16_sdwa s[6:7], v14, v28 src0_sel:BYTE_0 src1_sel:DWORD
	v_mov_b32_e32 v29, 0
	s_and_saveexec_b64 s[0:1], s[6:7]
	s_cbranch_execz .LBB677_404
; %bb.399:
	s_movk_i32 s3, 0x80
	v_cmp_ne_u16_sdwa s[8:9], v14, s3 src0_sel:BYTE_0 src1_sel:DWORD
	v_mov_b32_e32 v29, 0xffff8000
	s_and_saveexec_b64 s[6:7], s[8:9]
	s_cbranch_execz .LBB677_403
; %bb.400:
	s_movk_i32 s3, 0x7f
	v_and_b32_e32 v22, 0x7f, v14
	v_cmp_ne_u32_e32 vcc, s3, v22
	v_mov_b32_e32 v29, 0x7f80
	s_and_saveexec_b64 s[8:9], vcc
	s_cbranch_execz .LBB677_402
; %bb.401:
	v_and_b32_e32 v23, 7, v14
	v_ffbh_u32_e32 v23, v23
	v_min_u32_e32 v23, 32, v23
	v_subrev_u32_e32 v29, 28, v23
	v_cmp_gt_u32_e32 vcc, 8, v22
	v_lshrrev_b32_e32 v24, 3, v22
	v_sub_u32_e32 v23, 29, v23
	v_cndmask_b32_e32 v22, 0, v29, vcc
	v_cndmask_b32_e32 v24, v24, v23, vcc
	v_lshlrev_b64 v[22:23], v22, v[14:15]
	v_lshlrev_b32_e32 v22, 20, v22
	v_lshlrev_b32_e32 v23, 24, v14
	v_bfrev_b32_e32 v29, 60
	v_and_b32_e32 v22, 0x700000, v22
	v_and_b32_e32 v23, 0x80000000, v23
	v_lshl_add_u32 v24, v24, 23, v29
	v_or3_b32 v22, v23, v24, v22
	v_lshrrev_b32_e32 v29, 16, v22
.LBB677_402:
	s_or_b64 exec, exec, s[8:9]
.LBB677_403:
	s_or_b64 exec, exec, s[6:7]
.LBB677_404:
	s_or_b64 exec, exec, s[0:1]
	v_lshrrev_b16_e32 v22, 8, v14
	v_cmp_ne_u16_e32 vcc, 0, v22
	s_and_saveexec_b64 s[0:1], vcc
	s_cbranch_execz .LBB677_410
; %bb.405:
	s_movk_i32 s3, 0x80
	v_cmp_ne_u16_e32 vcc, s3, v22
	v_mov_b32_e32 v28, 0xffff8000
	s_and_saveexec_b64 s[6:7], vcc
	s_cbranch_execz .LBB677_409
; %bb.406:
	s_movk_i32 s3, 0x7f
	v_and_b32_e32 v23, 0x7f, v22
	v_cmp_ne_u32_e32 vcc, s3, v23
	v_mov_b32_e32 v28, 0x7f80
	s_and_saveexec_b64 s[8:9], vcc
	s_cbranch_execz .LBB677_408
; %bb.407:
	v_and_b32_e32 v24, 7, v22
	v_ffbh_u32_e32 v30, v24
	v_min_u32_e32 v32, 32, v30
	v_subrev_u32_e32 v30, 28, v32
	v_lshlrev_b64 v[30:31], v30, v[22:23]
	v_lshrrev_b32_e32 v28, 3, v23
	v_sub_u32_e32 v22, 29, v32
	v_and_b32_e32 v30, 7, v30
	v_cmp_gt_u32_e32 vcc, 8, v23
	v_cndmask_b32_e32 v22, v28, v22, vcc
	v_cndmask_b32_e32 v23, v24, v30, vcc
	v_lshlrev_b32_e32 v24, 16, v14
	v_bfrev_b32_e32 v28, 60
	v_lshlrev_b32_e32 v23, 20, v23
	v_and_b32_e32 v24, 0x80000000, v24
	v_lshl_add_u32 v22, v22, 23, v28
	v_or3_b32 v22, v24, v22, v23
	v_lshrrev_b32_e32 v28, 16, v22
.LBB677_408:
	s_or_b64 exec, exec, s[8:9]
.LBB677_409:
	s_or_b64 exec, exec, s[6:7]
.LBB677_410:
	s_or_b64 exec, exec, s[0:1]
	s_movk_i32 s0, 0xff
	v_and_b32_sdwa v24, v14, s0 dst_sel:DWORD dst_unused:UNUSED_PAD src0_sel:WORD_1 src1_sel:DWORD
	v_lshrrev_b32_e32 v22, 16, v14
	v_cmp_ne_u16_e32 vcc, 0, v24
	v_mov_b32_e32 v23, 0
	v_mov_b32_e32 v30, 0
	s_and_saveexec_b64 s[0:1], vcc
	s_cbranch_execz .LBB677_416
; %bb.411:
	s_movk_i32 s3, 0x80
	v_cmp_ne_u16_e32 vcc, s3, v24
	v_mov_b32_e32 v30, 0xffff8000
	s_and_saveexec_b64 s[6:7], vcc
	s_cbranch_execz .LBB677_415
; %bb.412:
	v_bfe_u32 v24, v14, 16, 7
	s_movk_i32 s3, 0x7f
	v_cmp_ne_u32_e32 vcc, s3, v24
	v_mov_b32_e32 v30, 0x7f80
	s_and_saveexec_b64 s[8:9], vcc
	s_cbranch_execz .LBB677_414
; %bb.413:
	v_and_b32_e32 v32, 7, v22
	v_ffbh_u32_e32 v30, v32
	v_min_u32_e32 v34, 32, v30
	v_subrev_u32_e32 v30, 28, v34
	v_lshlrev_b64 v[30:31], v30, v[22:23]
	v_and_b32_e32 v30, 7, v30
	v_cmp_gt_u32_e32 vcc, 8, v24
	v_lshrrev_b32_e32 v33, 3, v24
	v_sub_u32_e32 v22, 29, v34
	v_cndmask_b32_e32 v24, v32, v30, vcc
	v_mov_b32_e32 v30, 24
	v_cndmask_b32_e32 v22, v33, v22, vcc
	v_lshlrev_b32_sdwa v30, v30, v14 dst_sel:DWORD dst_unused:UNUSED_PAD src0_sel:DWORD src1_sel:WORD_1
	v_bfrev_b32_e32 v31, 60
	v_lshlrev_b32_e32 v24, 20, v24
	v_and_b32_e32 v30, 0x80000000, v30
	v_lshl_add_u32 v22, v22, 23, v31
	v_or3_b32 v22, v30, v22, v24
	v_lshrrev_b32_e32 v30, 16, v22
.LBB677_414:
	s_or_b64 exec, exec, s[8:9]
.LBB677_415:
	s_or_b64 exec, exec, s[6:7]
.LBB677_416:
	s_or_b64 exec, exec, s[0:1]
	s_mov_b32 s0, 0xffffff
	v_cmp_lt_u32_e32 vcc, s0, v14
	v_mov_b32_e32 v31, 0
	s_and_saveexec_b64 s[0:1], vcc
	s_cbranch_execz .LBB677_422
; %bb.417:
	v_lshrrev_b32_e32 v22, 24, v14
	s_movk_i32 s3, 0x80
	v_cmp_ne_u32_e32 vcc, s3, v22
	v_mov_b32_e32 v31, 0xffff8000
	s_and_saveexec_b64 s[6:7], vcc
	s_cbranch_execz .LBB677_421
; %bb.418:
	v_bfe_u32 v24, v14, 24, 7
	s_movk_i32 s3, 0x7f
	v_cmp_ne_u32_e32 vcc, s3, v24
	v_mov_b32_e32 v31, 0x7f80
	s_and_saveexec_b64 s[8:9], vcc
	s_cbranch_execz .LBB677_420
; %bb.419:
	v_and_b32_e32 v31, 7, v22
	v_ffbh_u32_e32 v32, v31
	v_min_u32_e32 v35, 32, v32
	v_subrev_u32_e32 v32, 28, v35
	v_lshlrev_b64 v[32:33], v32, v[22:23]
	v_lshrrev_b32_e32 v34, 3, v24
	v_sub_u32_e32 v33, 29, v35
	v_and_b32_e32 v32, 7, v32
	v_cmp_gt_u32_e32 vcc, 8, v24
	v_cndmask_b32_e32 v24, v34, v33, vcc
	v_cndmask_b32_e32 v31, v31, v32, vcc
	v_lshlrev_b32_e32 v22, 24, v22
	v_bfrev_b32_e32 v32, 60
	v_lshlrev_b32_e32 v31, 20, v31
	v_and_b32_e32 v22, 0x80000000, v22
	v_lshl_add_u32 v24, v24, 23, v32
	v_or3_b32 v22, v22, v24, v31
	v_lshrrev_b32_e32 v31, 16, v22
.LBB677_420:
	s_or_b64 exec, exec, s[8:9]
.LBB677_421:
	s_or_b64 exec, exec, s[6:7]
.LBB677_422:
	s_or_b64 exec, exec, s[0:1]
	v_mov_b32_e32 v32, 0
	v_mov_b32_e32 v22, v15
	v_cmp_ne_u16_sdwa s[6:7], v15, v32 src0_sel:BYTE_0 src1_sel:DWORD
	v_mov_b32_e32 v33, 0
	s_and_saveexec_b64 s[0:1], s[6:7]
	s_cbranch_execz .LBB677_428
; %bb.423:
	s_movk_i32 s3, 0x80
	v_cmp_ne_u16_sdwa s[8:9], v15, s3 src0_sel:BYTE_0 src1_sel:DWORD
	v_mov_b32_e32 v33, 0xffff8000
	s_and_saveexec_b64 s[6:7], s[8:9]
	s_cbranch_execz .LBB677_427
; %bb.424:
	s_movk_i32 s3, 0x7f
	v_and_b32_e32 v24, 0x7f, v15
	v_cmp_ne_u32_e32 vcc, s3, v24
	v_mov_b32_e32 v33, 0x7f80
	s_and_saveexec_b64 s[8:9], vcc
	s_cbranch_execz .LBB677_426
; %bb.425:
	v_and_b32_e32 v33, 7, v15
	v_ffbh_u32_e32 v33, v33
	v_min_u32_e32 v33, 32, v33
	v_lshrrev_b32_e32 v34, 3, v24
	v_subrev_u32_e32 v35, 28, v33
	v_sub_u32_e32 v33, 29, v33
	v_cmp_gt_u32_e32 vcc, 8, v24
	v_cndmask_b32_e32 v24, v34, v33, vcc
	v_cndmask_b32_e32 v33, 0, v35, vcc
	v_lshlrev_b64 v[34:35], v33, v[22:23]
	v_lshlrev_b32_e32 v23, 20, v34
	v_lshlrev_b32_e32 v33, 24, v22
	v_bfrev_b32_e32 v34, 60
	v_and_b32_e32 v23, 0x700000, v23
	v_and_b32_e32 v33, 0x80000000, v33
	v_lshl_add_u32 v24, v24, 23, v34
	v_or3_b32 v23, v33, v24, v23
	v_lshrrev_b32_e32 v33, 16, v23
.LBB677_426:
	s_or_b64 exec, exec, s[8:9]
.LBB677_427:
	s_or_b64 exec, exec, s[6:7]
.LBB677_428:
	s_or_b64 exec, exec, s[0:1]
	v_lshrrev_b16_e32 v24, 8, v22
	v_cmp_ne_u16_e32 vcc, 0, v24
	s_and_saveexec_b64 s[0:1], vcc
	s_cbranch_execz .LBB677_434
; %bb.429:
	s_movk_i32 s3, 0x80
	v_cmp_ne_u16_e32 vcc, s3, v24
	v_mov_b32_e32 v32, 0xffff8000
	s_and_saveexec_b64 s[6:7], vcc
	s_cbranch_execz .LBB677_433
; %bb.430:
	s_movk_i32 s3, 0x7f
	v_and_b32_e32 v23, 0x7f, v24
	v_cmp_ne_u32_e32 vcc, s3, v23
	v_mov_b32_e32 v32, 0x7f80
	s_and_saveexec_b64 s[8:9], vcc
	s_cbranch_execz .LBB677_432
; %bb.431:
	v_and_b32_e32 v32, 7, v24
	v_ffbh_u32_e32 v34, v32
	v_min_u32_e32 v37, 32, v34
	v_subrev_u32_e32 v34, 28, v37
	v_lshlrev_b64 v[34:35], v34, v[24:25]
	v_lshrrev_b32_e32 v36, 3, v23
	v_sub_u32_e32 v24, 29, v37
	v_and_b32_e32 v34, 7, v34
	v_cmp_gt_u32_e32 vcc, 8, v23
	v_cndmask_b32_e32 v23, v36, v24, vcc
	v_cndmask_b32_e32 v24, v32, v34, vcc
	v_lshlrev_b32_e32 v22, 16, v22
	v_bfrev_b32_e32 v32, 60
	v_lshlrev_b32_e32 v24, 20, v24
	v_and_b32_e32 v22, 0x80000000, v22
	v_lshl_add_u32 v23, v23, 23, v32
	v_or3_b32 v22, v22, v23, v24
	v_lshrrev_b32_e32 v32, 16, v22
.LBB677_432:
	s_or_b64 exec, exec, s[8:9]
.LBB677_433:
	s_or_b64 exec, exec, s[6:7]
.LBB677_434:
	s_or_b64 exec, exec, s[0:1]
	s_movk_i32 s0, 0xff
	v_and_b32_sdwa v34, v15, s0 dst_sel:DWORD dst_unused:UNUSED_PAD src0_sel:WORD_1 src1_sel:DWORD
	v_lshrrev_b32_e32 v22, 16, v15
	v_cmp_ne_u16_e32 vcc, 0, v34
	v_mov_b32_e32 v23, 0
	v_mov_b32_e32 v24, 0
	s_and_saveexec_b64 s[0:1], vcc
	s_cbranch_execz .LBB677_440
; %bb.435:
	s_movk_i32 s3, 0x80
	v_cmp_ne_u16_e32 vcc, s3, v34
	v_mov_b32_e32 v24, 0xffff8000
	s_and_saveexec_b64 s[6:7], vcc
	s_cbranch_execz .LBB677_439
; %bb.436:
	v_bfe_u32 v34, v15, 16, 7
	s_movk_i32 s3, 0x7f
	v_cmp_ne_u32_e32 vcc, s3, v34
	v_mov_b32_e32 v24, 0x7f80
	s_and_saveexec_b64 s[8:9], vcc
	s_cbranch_execz .LBB677_438
; %bb.437:
	v_and_b32_e32 v24, 7, v22
	v_ffbh_u32_e32 v36, v24
	v_min_u32_e32 v38, 32, v36
	v_subrev_u32_e32 v36, 28, v38
	v_lshlrev_b64 v[36:37], v36, v[22:23]
	v_lshrrev_b32_e32 v35, 3, v34
	v_sub_u32_e32 v22, 29, v38
	v_and_b32_e32 v36, 7, v36
	v_cmp_gt_u32_e32 vcc, 8, v34
	v_mov_b32_e32 v34, 24
	v_cndmask_b32_e32 v22, v35, v22, vcc
	v_cndmask_b32_e32 v24, v24, v36, vcc
	v_lshlrev_b32_sdwa v34, v34, v15 dst_sel:DWORD dst_unused:UNUSED_PAD src0_sel:DWORD src1_sel:WORD_1
	v_bfrev_b32_e32 v35, 60
	v_lshlrev_b32_e32 v24, 20, v24
	v_and_b32_e32 v34, 0x80000000, v34
	v_lshl_add_u32 v22, v22, 23, v35
	v_or3_b32 v22, v34, v22, v24
	v_lshrrev_b32_e32 v24, 16, v22
.LBB677_438:
	s_or_b64 exec, exec, s[8:9]
.LBB677_439:
	s_or_b64 exec, exec, s[6:7]
.LBB677_440:
	s_or_b64 exec, exec, s[0:1]
	s_mov_b32 s0, -1
	s_mov_b32 s1, 0xffffff
	v_cmp_lt_u64_e32 vcc, s[0:1], v[14:15]
	s_and_saveexec_b64 s[0:1], vcc
	s_cbranch_execz .LBB677_446
; %bb.441:
	v_lshrrev_b32_e32 v14, 24, v15
	s_movk_i32 s3, 0x80
	v_cmp_ne_u32_e32 vcc, s3, v14
	v_mov_b32_e32 v23, 0xffff8000
	s_and_saveexec_b64 s[6:7], vcc
	s_cbranch_execz .LBB677_445
; %bb.442:
	v_bfe_u32 v15, v15, 24, 7
	s_movk_i32 s3, 0x7f
	v_cmp_ne_u32_e32 vcc, s3, v15
	v_mov_b32_e32 v23, 0x7f80
	s_and_saveexec_b64 s[8:9], vcc
	s_cbranch_execz .LBB677_444
; %bb.443:
	v_and_b32_e32 v34, 7, v14
	v_ffbh_u32_e32 v22, v34
	v_min_u32_e32 v36, 32, v22
	v_subrev_u32_e32 v22, 28, v36
	v_lshlrev_b64 v[22:23], v22, v[14:15]
	v_lshrrev_b32_e32 v35, 3, v15
	v_sub_u32_e32 v23, 29, v36
	v_and_b32_e32 v22, 7, v22
	v_cmp_gt_u32_e32 vcc, 8, v15
	v_cndmask_b32_e32 v15, v35, v23, vcc
	v_cndmask_b32_e32 v22, v34, v22, vcc
	v_lshlrev_b32_e32 v14, 24, v14
	v_bfrev_b32_e32 v23, 60
	v_lshlrev_b32_e32 v22, 20, v22
	v_and_b32_e32 v14, 0x80000000, v14
	v_lshl_add_u32 v15, v15, 23, v23
	v_or3_b32 v14, v14, v15, v22
	v_lshrrev_b32_e32 v23, 16, v14
.LBB677_444:
	s_or_b64 exec, exec, s[8:9]
.LBB677_445:
	s_or_b64 exec, exec, s[6:7]
.LBB677_446:
	s_or_b64 exec, exec, s[0:1]
	v_add_f32_e32 v14, 0x358637bd, v27
	v_div_scale_f32 v15, s[0:1], v14, v14, 1.0
	v_rcp_f32_e32 v22, v15
	v_div_scale_f32 v27, vcc, 1.0, v14, 1.0
	v_sub_f32_e32 v25, v25, v26
	v_fma_f32 v34, -v15, v22, 1.0
	v_fmac_f32_e32 v22, v34, v22
	v_mul_f32_e32 v34, v27, v22
	v_fma_f32 v35, -v15, v34, v27
	v_mul_f32_e32 v25, 0x3fb8aa3b, v25
	v_fmac_f32_e32 v34, v35, v22
	v_exp_f32_e32 v25, v25
	v_fma_f32 v15, -v15, v34, v27
	v_div_fmas_f32 v15, v15, v22, v34
	v_div_fixup_f32 v14, v15, v14, 1.0
	v_mul_f32_e32 v14, v25, v14
	v_pk_mul_f32 v[20:21], v[20:21], v[14:15] op_sel_hi:[1,0]
	v_pk_mul_f32 v[14:15], v[18:19], v[14:15] op_sel_hi:[1,0]
	v_bfe_u32 v18, v15, 16, 1
	v_bfe_u32 v19, v14, 16, 1
	s_movk_i32 s0, 0x7fff
	v_add3_u32 v14, v14, v19, s0
	v_add3_u32 v15, v15, v18, s0
	s_mov_b32 s1, 0x7060302
	v_perm_b32 v14, v15, v14, s1
	v_bfe_u32 v15, v21, 16, 1
	v_bfe_u32 v18, v20, 16, 1
	v_add3_u32 v18, v20, v18, s0
	v_add3_u32 v15, v21, v15, s0
	v_perm_b32 v15, v15, v18, s1
	s_mov_b32 s0, 0x5040100
	v_perm_b32 v19, v31, v30, s0
	v_perm_b32 v18, v28, v29, s0
	;; [unrolled: 1-line block ×4, first 2 shown]
	v_mfma_f32_4x4x4bf16_1k a[0:3], v[14:15], v[18:19], 0 cbsz:4
	v_mov_b32_e32 v21, 0
	v_mfma_f32_4x4x4bf16_1k a[0:3], v[14:15], v[22:23], a[0:3] cbsz:4 abid:1
	v_mov_b32_e32 v22, 0
	v_cmp_ne_u16_sdwa s[6:7], v16, v22 src0_sel:BYTE_0 src1_sel:DWORD
	s_and_saveexec_b64 s[0:1], s[6:7]
	s_cbranch_execz .LBB677_452
; %bb.447:
	s_movk_i32 s3, 0x80
	v_cmp_ne_u16_sdwa s[8:9], v16, s3 src0_sel:BYTE_0 src1_sel:DWORD
	v_mov_b32_e32 v21, 0xffff8000
	s_and_saveexec_b64 s[6:7], s[8:9]
	s_cbranch_execz .LBB677_451
; %bb.448:
	s_movk_i32 s3, 0x7f
	v_and_b32_e32 v18, 0x7f, v16
	v_cmp_ne_u32_e32 vcc, s3, v18
	v_mov_b32_e32 v21, 0x7f80
	s_and_saveexec_b64 s[8:9], vcc
	s_cbranch_execz .LBB677_450
; %bb.449:
	v_and_b32_e32 v19, 7, v16
	v_ffbh_u32_e32 v19, v19
	v_min_u32_e32 v19, 32, v19
	v_subrev_u32_e32 v21, 28, v19
	v_cmp_gt_u32_e32 vcc, 8, v18
	v_lshrrev_b32_e32 v20, 3, v18
	v_sub_u32_e32 v19, 29, v19
	v_cndmask_b32_e32 v18, 0, v21, vcc
	v_cndmask_b32_e32 v20, v20, v19, vcc
	v_lshlrev_b64 v[18:19], v18, v[16:17]
	v_lshlrev_b32_e32 v18, 20, v18
	v_lshlrev_b32_e32 v19, 24, v16
	v_bfrev_b32_e32 v21, 60
	v_and_b32_e32 v18, 0x700000, v18
	v_and_b32_e32 v19, 0x80000000, v19
	v_lshl_add_u32 v20, v20, 23, v21
	v_or3_b32 v18, v19, v20, v18
	v_lshrrev_b32_e32 v21, 16, v18
.LBB677_450:
	s_or_b64 exec, exec, s[8:9]
.LBB677_451:
	s_or_b64 exec, exec, s[6:7]
.LBB677_452:
	s_or_b64 exec, exec, s[0:1]
	v_lshrrev_b16_e32 v18, 8, v16
	v_cmp_ne_u16_e32 vcc, 0, v18
	s_and_saveexec_b64 s[0:1], vcc
	s_cbranch_execz .LBB677_458
; %bb.453:
	s_movk_i32 s3, 0x80
	v_cmp_ne_u16_e32 vcc, s3, v18
	v_mov_b32_e32 v22, 0xffff8000
	s_and_saveexec_b64 s[6:7], vcc
	s_cbranch_execz .LBB677_457
; %bb.454:
	s_movk_i32 s3, 0x7f
	v_and_b32_e32 v19, 0x7f, v18
	v_cmp_ne_u32_e32 vcc, s3, v19
	v_mov_b32_e32 v22, 0x7f80
	s_and_saveexec_b64 s[8:9], vcc
	s_cbranch_execz .LBB677_456
; %bb.455:
	v_and_b32_e32 v20, 7, v18
	v_ffbh_u32_e32 v22, v20
	v_min_u32_e32 v25, 32, v22
	v_subrev_u32_e32 v22, 28, v25
	v_lshlrev_b64 v[22:23], v22, v[18:19]
	v_lshrrev_b32_e32 v24, 3, v19
	v_sub_u32_e32 v18, 29, v25
	v_and_b32_e32 v22, 7, v22
	v_cmp_gt_u32_e32 vcc, 8, v19
	v_cndmask_b32_e32 v18, v24, v18, vcc
	v_cndmask_b32_e32 v19, v20, v22, vcc
	v_lshlrev_b32_e32 v20, 16, v16
	v_bfrev_b32_e32 v22, 60
	v_lshlrev_b32_e32 v19, 20, v19
	v_and_b32_e32 v20, 0x80000000, v20
	v_lshl_add_u32 v18, v18, 23, v22
	v_or3_b32 v18, v20, v18, v19
	v_lshrrev_b32_e32 v22, 16, v18
.LBB677_456:
	s_or_b64 exec, exec, s[8:9]
.LBB677_457:
	s_or_b64 exec, exec, s[6:7]
.LBB677_458:
	s_or_b64 exec, exec, s[0:1]
	s_movk_i32 s0, 0xff
	v_and_b32_sdwa v20, v16, s0 dst_sel:DWORD dst_unused:UNUSED_PAD src0_sel:WORD_1 src1_sel:DWORD
	v_lshrrev_b32_e32 v18, 16, v16
	v_cmp_ne_u16_e32 vcc, 0, v20
	v_mov_b32_e32 v19, 0
	v_mov_b32_e32 v23, 0
	s_and_saveexec_b64 s[0:1], vcc
	s_cbranch_execz .LBB677_464
; %bb.459:
	s_movk_i32 s3, 0x80
	v_cmp_ne_u16_e32 vcc, s3, v20
	v_mov_b32_e32 v23, 0xffff8000
	s_and_saveexec_b64 s[6:7], vcc
	s_cbranch_execz .LBB677_463
; %bb.460:
	v_bfe_u32 v20, v16, 16, 7
	s_movk_i32 s3, 0x7f
	v_cmp_ne_u32_e32 vcc, s3, v20
	v_mov_b32_e32 v23, 0x7f80
	s_and_saveexec_b64 s[8:9], vcc
	s_cbranch_execz .LBB677_462
; %bb.461:
	v_and_b32_e32 v23, 7, v18
	v_ffbh_u32_e32 v24, v23
	v_min_u32_e32 v27, 32, v24
	v_subrev_u32_e32 v24, 28, v27
	v_lshlrev_b64 v[24:25], v24, v[18:19]
	v_and_b32_e32 v24, 7, v24
	v_cmp_gt_u32_e32 vcc, 8, v20
	v_lshrrev_b32_e32 v26, 3, v20
	v_sub_u32_e32 v18, 29, v27
	v_cndmask_b32_e32 v20, v23, v24, vcc
	v_mov_b32_e32 v23, 24
	v_cndmask_b32_e32 v18, v26, v18, vcc
	v_lshlrev_b32_sdwa v23, v23, v16 dst_sel:DWORD dst_unused:UNUSED_PAD src0_sel:DWORD src1_sel:WORD_1
	v_bfrev_b32_e32 v24, 60
	v_lshlrev_b32_e32 v20, 20, v20
	v_and_b32_e32 v23, 0x80000000, v23
	v_lshl_add_u32 v18, v18, 23, v24
	v_or3_b32 v18, v23, v18, v20
	v_lshrrev_b32_e32 v23, 16, v18
.LBB677_462:
	s_or_b64 exec, exec, s[8:9]
.LBB677_463:
	s_or_b64 exec, exec, s[6:7]
.LBB677_464:
	s_or_b64 exec, exec, s[0:1]
	s_mov_b32 s0, 0xffffff
	v_cmp_lt_u32_e32 vcc, s0, v16
	v_mov_b32_e32 v24, 0
	s_and_saveexec_b64 s[0:1], vcc
	s_cbranch_execz .LBB677_470
; %bb.465:
	v_lshrrev_b32_e32 v18, 24, v16
	s_movk_i32 s3, 0x80
	v_cmp_ne_u32_e32 vcc, s3, v18
	v_mov_b32_e32 v24, 0xffff8000
	s_and_saveexec_b64 s[6:7], vcc
	s_cbranch_execz .LBB677_469
; %bb.466:
	v_bfe_u32 v20, v16, 24, 7
	s_movk_i32 s3, 0x7f
	v_cmp_ne_u32_e32 vcc, s3, v20
	v_mov_b32_e32 v24, 0x7f80
	s_and_saveexec_b64 s[8:9], vcc
	s_cbranch_execz .LBB677_468
; %bb.467:
	v_and_b32_e32 v26, 7, v18
	v_ffbh_u32_e32 v24, v26
	v_min_u32_e32 v28, 32, v24
	v_subrev_u32_e32 v24, 28, v28
	v_lshlrev_b64 v[24:25], v24, v[18:19]
	v_lshrrev_b32_e32 v27, 3, v20
	v_sub_u32_e32 v25, 29, v28
	v_and_b32_e32 v24, 7, v24
	v_cmp_gt_u32_e32 vcc, 8, v20
	v_cndmask_b32_e32 v20, v27, v25, vcc
	v_cndmask_b32_e32 v24, v26, v24, vcc
	v_lshlrev_b32_e32 v18, 24, v18
	v_bfrev_b32_e32 v25, 60
	v_lshlrev_b32_e32 v24, 20, v24
	v_and_b32_e32 v18, 0x80000000, v18
	v_lshl_add_u32 v20, v20, 23, v25
	v_or3_b32 v18, v18, v20, v24
	v_lshrrev_b32_e32 v24, 16, v18
.LBB677_468:
	s_or_b64 exec, exec, s[8:9]
.LBB677_469:
	s_or_b64 exec, exec, s[6:7]
.LBB677_470:
	s_or_b64 exec, exec, s[0:1]
	v_mov_b32_e32 v25, 0
	v_mov_b32_e32 v18, v17
	v_cmp_ne_u16_sdwa s[6:7], v17, v25 src0_sel:BYTE_0 src1_sel:DWORD
	v_mov_b32_e32 v26, 0
	s_and_saveexec_b64 s[0:1], s[6:7]
	s_cbranch_execz .LBB677_476
; %bb.471:
	s_movk_i32 s3, 0x80
	v_cmp_ne_u16_sdwa s[8:9], v17, s3 src0_sel:BYTE_0 src1_sel:DWORD
	v_mov_b32_e32 v26, 0xffff8000
	s_and_saveexec_b64 s[6:7], s[8:9]
	s_cbranch_execz .LBB677_475
; %bb.472:
	s_movk_i32 s3, 0x7f
	v_and_b32_e32 v20, 0x7f, v17
	v_cmp_ne_u32_e32 vcc, s3, v20
	v_mov_b32_e32 v26, 0x7f80
	s_and_saveexec_b64 s[8:9], vcc
	s_cbranch_execz .LBB677_474
; %bb.473:
	v_and_b32_e32 v26, 7, v17
	v_ffbh_u32_e32 v26, v26
	v_min_u32_e32 v26, 32, v26
	v_lshrrev_b32_e32 v27, 3, v20
	v_subrev_u32_e32 v28, 28, v26
	v_sub_u32_e32 v26, 29, v26
	v_cmp_gt_u32_e32 vcc, 8, v20
	v_cndmask_b32_e32 v20, v27, v26, vcc
	v_cndmask_b32_e32 v26, 0, v28, vcc
	v_lshlrev_b64 v[26:27], v26, v[18:19]
	v_lshlrev_b32_e32 v19, 20, v26
	v_lshlrev_b32_e32 v26, 24, v18
	v_bfrev_b32_e32 v27, 60
	v_and_b32_e32 v19, 0x700000, v19
	v_and_b32_e32 v26, 0x80000000, v26
	v_lshl_add_u32 v20, v20, 23, v27
	v_or3_b32 v19, v26, v20, v19
	v_lshrrev_b32_e32 v26, 16, v19
.LBB677_474:
	s_or_b64 exec, exec, s[8:9]
.LBB677_475:
	s_or_b64 exec, exec, s[6:7]
.LBB677_476:
	s_or_b64 exec, exec, s[0:1]
	v_lshrrev_b16_e32 v20, 8, v18
	v_cmp_ne_u16_e32 vcc, 0, v20
	s_and_saveexec_b64 s[0:1], vcc
	s_cbranch_execz .LBB677_482
; %bb.477:
	s_movk_i32 s3, 0x80
	v_cmp_ne_u16_e32 vcc, s3, v20
	v_mov_b32_e32 v25, 0xffff8000
	s_and_saveexec_b64 s[6:7], vcc
	s_cbranch_execz .LBB677_481
; %bb.478:
	s_movk_i32 s3, 0x7f
	v_and_b32_e32 v19, 0x7f, v20
	v_cmp_ne_u32_e32 vcc, s3, v19
	v_mov_b32_e32 v25, 0x7f80
	s_and_saveexec_b64 s[8:9], vcc
	s_cbranch_execz .LBB677_480
; %bb.479:
	v_and_b32_e32 v25, 7, v20
	v_ffbh_u32_e32 v28, v25
	v_min_u32_e32 v30, 32, v28
	v_subrev_u32_e32 v28, 28, v30
	v_lshlrev_b64 v[28:29], v28, v[20:21]
	v_lshrrev_b32_e32 v27, 3, v19
	v_sub_u32_e32 v20, 29, v30
	v_and_b32_e32 v28, 7, v28
	v_cmp_gt_u32_e32 vcc, 8, v19
	v_cndmask_b32_e32 v19, v27, v20, vcc
	v_cndmask_b32_e32 v20, v25, v28, vcc
	v_lshlrev_b32_e32 v18, 16, v18
	v_bfrev_b32_e32 v25, 60
	v_lshlrev_b32_e32 v20, 20, v20
	v_and_b32_e32 v18, 0x80000000, v18
	v_lshl_add_u32 v19, v19, 23, v25
	v_or3_b32 v18, v18, v19, v20
	v_lshrrev_b32_e32 v25, 16, v18
.LBB677_480:
	s_or_b64 exec, exec, s[8:9]
.LBB677_481:
	s_or_b64 exec, exec, s[6:7]
.LBB677_482:
	s_or_b64 exec, exec, s[0:1]
	s_movk_i32 s0, 0xff
	v_and_b32_sdwa v27, v17, s0 dst_sel:DWORD dst_unused:UNUSED_PAD src0_sel:WORD_1 src1_sel:DWORD
	v_lshrrev_b32_e32 v18, 16, v17
	v_cmp_ne_u16_e32 vcc, 0, v27
	v_mov_b32_e32 v19, 0
	v_mov_b32_e32 v20, 0
	s_and_saveexec_b64 s[0:1], vcc
	s_cbranch_execz .LBB677_488
; %bb.483:
	s_movk_i32 s3, 0x80
	v_cmp_ne_u16_e32 vcc, s3, v27
	v_mov_b32_e32 v20, 0xffff8000
	s_and_saveexec_b64 s[6:7], vcc
	s_cbranch_execz .LBB677_487
; %bb.484:
	v_bfe_u32 v27, v17, 16, 7
	s_movk_i32 s3, 0x7f
	v_cmp_ne_u32_e32 vcc, s3, v27
	v_mov_b32_e32 v20, 0x7f80
	s_and_saveexec_b64 s[8:9], vcc
	s_cbranch_execz .LBB677_486
; %bb.485:
	v_and_b32_e32 v20, 7, v18
	v_ffbh_u32_e32 v28, v20
	v_min_u32_e32 v31, 32, v28
	v_subrev_u32_e32 v28, 28, v31
	v_lshlrev_b64 v[28:29], v28, v[18:19]
	v_lshrrev_b32_e32 v30, 3, v27
	v_sub_u32_e32 v18, 29, v31
	v_and_b32_e32 v28, 7, v28
	v_cmp_gt_u32_e32 vcc, 8, v27
	v_mov_b32_e32 v27, 24
	v_cndmask_b32_e32 v18, v30, v18, vcc
	v_cndmask_b32_e32 v20, v20, v28, vcc
	v_lshlrev_b32_sdwa v27, v27, v17 dst_sel:DWORD dst_unused:UNUSED_PAD src0_sel:DWORD src1_sel:WORD_1
	v_bfrev_b32_e32 v28, 60
	v_lshlrev_b32_e32 v20, 20, v20
	v_and_b32_e32 v27, 0x80000000, v27
	v_lshl_add_u32 v18, v18, 23, v28
	v_or3_b32 v18, v27, v18, v20
	v_lshrrev_b32_e32 v20, 16, v18
.LBB677_486:
	s_or_b64 exec, exec, s[8:9]
.LBB677_487:
	s_or_b64 exec, exec, s[6:7]
.LBB677_488:
	s_or_b64 exec, exec, s[0:1]
	s_mov_b32 s0, -1
	s_mov_b32 s1, 0xffffff
	v_cmp_lt_u64_e32 vcc, s[0:1], v[16:17]
	s_and_saveexec_b64 s[0:1], vcc
	s_cbranch_execz .LBB677_494
; %bb.489:
	v_lshrrev_b32_e32 v16, 24, v17
	s_movk_i32 s3, 0x80
	v_cmp_ne_u32_e32 vcc, s3, v16
	v_mov_b32_e32 v19, 0xffff8000
	s_and_saveexec_b64 s[6:7], vcc
	s_cbranch_execz .LBB677_493
; %bb.490:
	v_bfe_u32 v17, v17, 24, 7
	s_movk_i32 s3, 0x7f
	v_cmp_ne_u32_e32 vcc, s3, v17
	v_mov_b32_e32 v19, 0x7f80
	s_and_saveexec_b64 s[8:9], vcc
	s_cbranch_execz .LBB677_492
; %bb.491:
	v_and_b32_e32 v27, 7, v16
	v_ffbh_u32_e32 v18, v27
	v_min_u32_e32 v29, 32, v18
	v_subrev_u32_e32 v18, 28, v29
	v_lshlrev_b64 v[18:19], v18, v[16:17]
	v_lshrrev_b32_e32 v28, 3, v17
	v_sub_u32_e32 v19, 29, v29
	v_and_b32_e32 v18, 7, v18
	v_cmp_gt_u32_e32 vcc, 8, v17
	v_cndmask_b32_e32 v17, v28, v19, vcc
	v_cndmask_b32_e32 v18, v27, v18, vcc
	v_lshlrev_b32_e32 v16, 24, v16
	v_bfrev_b32_e32 v19, 60
	v_lshlrev_b32_e32 v18, 20, v18
	v_and_b32_e32 v16, 0x80000000, v16
	v_lshl_add_u32 v17, v17, 23, v19
	v_or3_b32 v16, v16, v17, v18
	v_lshrrev_b32_e32 v19, 16, v16
.LBB677_492:
	s_or_b64 exec, exec, s[8:9]
.LBB677_493:
	s_or_b64 exec, exec, s[6:7]
.LBB677_494:
	s_or_b64 exec, exec, s[0:1]
	s_mov_b32 s0, 0x5040100
	v_perm_b32 v17, v24, v23, s0
	v_perm_b32 v16, v22, v21, s0
	;; [unrolled: 1-line block ×4, first 2 shown]
	v_mfma_f32_4x4x4bf16_1k a[0:3], v[14:15], v[16:17], a[0:3] cbsz:4 abid:2
	v_mov_b32_e32 v20, 0
	v_mfma_f32_4x4x4bf16_1k a[0:3], v[14:15], v[18:19], a[0:3] cbsz:4 abid:3
	v_mov_b32_e32 v19, 0
	s_waitcnt vmcnt(4)
	v_cmp_ne_u16_sdwa s[6:7], v10, v19 src0_sel:BYTE_0 src1_sel:DWORD
	s_and_saveexec_b64 s[0:1], s[6:7]
	s_cbranch_execz .LBB677_500
; %bb.495:
	s_movk_i32 s3, 0x80
	v_cmp_ne_u16_sdwa s[8:9], v10, s3 src0_sel:BYTE_0 src1_sel:DWORD
	v_mov_b32_e32 v20, 0xffff8000
	s_and_saveexec_b64 s[6:7], s[8:9]
	s_cbranch_execz .LBB677_499
; %bb.496:
	s_movk_i32 s3, 0x7f
	v_and_b32_e32 v16, 0x7f, v10
	v_cmp_ne_u32_e32 vcc, s3, v16
	v_mov_b32_e32 v20, 0x7f80
	s_and_saveexec_b64 s[8:9], vcc
	s_cbranch_execz .LBB677_498
; %bb.497:
	v_and_b32_e32 v17, 7, v10
	v_ffbh_u32_e32 v17, v17
	v_min_u32_e32 v17, 32, v17
	v_subrev_u32_e32 v20, 28, v17
	v_cmp_gt_u32_e32 vcc, 8, v16
	v_lshrrev_b32_e32 v18, 3, v16
	v_sub_u32_e32 v17, 29, v17
	v_cndmask_b32_e32 v16, 0, v20, vcc
	v_cndmask_b32_e32 v18, v18, v17, vcc
	v_lshlrev_b64 v[16:17], v16, v[10:11]
	v_lshlrev_b32_e32 v16, 20, v16
	v_lshlrev_b32_e32 v17, 24, v10
	v_bfrev_b32_e32 v20, 60
	v_and_b32_e32 v16, 0x700000, v16
	v_and_b32_e32 v17, 0x80000000, v17
	v_lshl_add_u32 v18, v18, 23, v20
	v_or3_b32 v16, v17, v18, v16
	v_lshrrev_b32_e32 v20, 16, v16
.LBB677_498:
	s_or_b64 exec, exec, s[8:9]
.LBB677_499:
	s_or_b64 exec, exec, s[6:7]
.LBB677_500:
	s_or_b64 exec, exec, s[0:1]
	v_lshrrev_b16_e32 v16, 8, v10
	v_cmp_ne_u16_e32 vcc, 0, v16
	s_and_saveexec_b64 s[0:1], vcc
	s_cbranch_execz .LBB677_506
; %bb.501:
	s_movk_i32 s3, 0x80
	v_cmp_ne_u16_e32 vcc, s3, v16
	v_mov_b32_e32 v19, 0xffff8000
	s_and_saveexec_b64 s[6:7], vcc
	s_cbranch_execz .LBB677_505
; %bb.502:
	s_movk_i32 s3, 0x7f
	v_and_b32_e32 v17, 0x7f, v16
	v_cmp_ne_u32_e32 vcc, s3, v17
	v_mov_b32_e32 v19, 0x7f80
	s_and_saveexec_b64 s[8:9], vcc
	s_cbranch_execz .LBB677_504
; %bb.503:
	v_and_b32_e32 v21, 7, v16
	v_ffbh_u32_e32 v18, v21
	v_min_u32_e32 v23, 32, v18
	v_subrev_u32_e32 v18, 28, v23
	v_lshlrev_b64 v[18:19], v18, v[16:17]
	v_lshrrev_b32_e32 v22, 3, v17
	v_sub_u32_e32 v16, 29, v23
	v_and_b32_e32 v18, 7, v18
	v_cmp_gt_u32_e32 vcc, 8, v17
	v_cndmask_b32_e32 v16, v22, v16, vcc
	v_cndmask_b32_e32 v17, v21, v18, vcc
	v_lshlrev_b32_e32 v18, 16, v10
	v_bfrev_b32_e32 v19, 60
	v_lshlrev_b32_e32 v17, 20, v17
	v_and_b32_e32 v18, 0x80000000, v18
	v_lshl_add_u32 v16, v16, 23, v19
	v_or3_b32 v16, v18, v16, v17
	v_lshrrev_b32_e32 v19, 16, v16
.LBB677_504:
	s_or_b64 exec, exec, s[8:9]
.LBB677_505:
	s_or_b64 exec, exec, s[6:7]
.LBB677_506:
	s_or_b64 exec, exec, s[0:1]
	s_movk_i32 s0, 0xff
	v_and_b32_sdwa v18, v10, s0 dst_sel:DWORD dst_unused:UNUSED_PAD src0_sel:WORD_1 src1_sel:DWORD
	v_lshrrev_b32_e32 v16, 16, v10
	v_cmp_ne_u16_e32 vcc, 0, v18
	v_mov_b32_e32 v17, 0
	v_mov_b32_e32 v21, 0
	s_and_saveexec_b64 s[0:1], vcc
	s_cbranch_execz .LBB677_512
; %bb.507:
	s_movk_i32 s3, 0x80
	v_cmp_ne_u16_e32 vcc, s3, v18
	v_mov_b32_e32 v21, 0xffff8000
	s_and_saveexec_b64 s[6:7], vcc
	s_cbranch_execz .LBB677_511
; %bb.508:
	v_bfe_u32 v18, v10, 16, 7
	s_movk_i32 s3, 0x7f
	v_cmp_ne_u32_e32 vcc, s3, v18
	v_mov_b32_e32 v21, 0x7f80
	s_and_saveexec_b64 s[8:9], vcc
	s_cbranch_execz .LBB677_510
; %bb.509:
	v_and_b32_e32 v21, 7, v16
	v_ffbh_u32_e32 v22, v21
	v_min_u32_e32 v25, 32, v22
	v_subrev_u32_e32 v22, 28, v25
	v_lshlrev_b64 v[22:23], v22, v[16:17]
	v_and_b32_e32 v22, 7, v22
	v_cmp_gt_u32_e32 vcc, 8, v18
	v_lshrrev_b32_e32 v24, 3, v18
	v_sub_u32_e32 v16, 29, v25
	v_cndmask_b32_e32 v18, v21, v22, vcc
	v_mov_b32_e32 v21, 24
	v_cndmask_b32_e32 v16, v24, v16, vcc
	v_lshlrev_b32_sdwa v21, v21, v10 dst_sel:DWORD dst_unused:UNUSED_PAD src0_sel:DWORD src1_sel:WORD_1
	v_bfrev_b32_e32 v22, 60
	v_lshlrev_b32_e32 v18, 20, v18
	v_and_b32_e32 v21, 0x80000000, v21
	v_lshl_add_u32 v16, v16, 23, v22
	v_or3_b32 v16, v21, v16, v18
	v_lshrrev_b32_e32 v21, 16, v16
.LBB677_510:
	s_or_b64 exec, exec, s[8:9]
.LBB677_511:
	s_or_b64 exec, exec, s[6:7]
.LBB677_512:
	s_or_b64 exec, exec, s[0:1]
	s_mov_b32 s0, 0xffffff
	v_cmp_lt_u32_e32 vcc, s0, v10
	v_mov_b32_e32 v22, 0
	s_and_saveexec_b64 s[0:1], vcc
	s_cbranch_execz .LBB677_518
; %bb.513:
	v_lshrrev_b32_e32 v16, 24, v10
	s_movk_i32 s3, 0x80
	v_cmp_ne_u32_e32 vcc, s3, v16
	v_mov_b32_e32 v22, 0xffff8000
	s_and_saveexec_b64 s[6:7], vcc
	s_cbranch_execz .LBB677_517
; %bb.514:
	v_bfe_u32 v18, v10, 24, 7
	s_movk_i32 s3, 0x7f
	v_cmp_ne_u32_e32 vcc, s3, v18
	v_mov_b32_e32 v22, 0x7f80
	s_and_saveexec_b64 s[8:9], vcc
	s_cbranch_execz .LBB677_516
; %bb.515:
	v_and_b32_e32 v24, 7, v16
	v_ffbh_u32_e32 v22, v24
	v_min_u32_e32 v26, 32, v22
	v_subrev_u32_e32 v22, 28, v26
	v_lshlrev_b64 v[22:23], v22, v[16:17]
	v_lshrrev_b32_e32 v25, 3, v18
	v_sub_u32_e32 v23, 29, v26
	v_and_b32_e32 v22, 7, v22
	v_cmp_gt_u32_e32 vcc, 8, v18
	v_cndmask_b32_e32 v18, v25, v23, vcc
	v_cndmask_b32_e32 v22, v24, v22, vcc
	v_lshlrev_b32_e32 v16, 24, v16
	v_bfrev_b32_e32 v23, 60
	v_lshlrev_b32_e32 v22, 20, v22
	v_and_b32_e32 v16, 0x80000000, v16
	v_lshl_add_u32 v18, v18, 23, v23
	v_or3_b32 v16, v16, v18, v22
	v_lshrrev_b32_e32 v22, 16, v16
.LBB677_516:
	s_or_b64 exec, exec, s[8:9]
.LBB677_517:
	s_or_b64 exec, exec, s[6:7]
.LBB677_518:
	s_or_b64 exec, exec, s[0:1]
	v_mov_b32_e32 v23, 0
	v_mov_b32_e32 v16, v11
	v_cmp_ne_u16_sdwa s[6:7], v11, v23 src0_sel:BYTE_0 src1_sel:DWORD
	v_mov_b32_e32 v24, 0
	s_and_saveexec_b64 s[0:1], s[6:7]
	s_cbranch_execz .LBB677_524
; %bb.519:
	s_movk_i32 s3, 0x80
	v_cmp_ne_u16_sdwa s[8:9], v11, s3 src0_sel:BYTE_0 src1_sel:DWORD
	v_mov_b32_e32 v24, 0xffff8000
	s_and_saveexec_b64 s[6:7], s[8:9]
	s_cbranch_execz .LBB677_523
; %bb.520:
	s_movk_i32 s3, 0x7f
	v_and_b32_e32 v18, 0x7f, v11
	v_cmp_ne_u32_e32 vcc, s3, v18
	v_mov_b32_e32 v24, 0x7f80
	s_and_saveexec_b64 s[8:9], vcc
	s_cbranch_execz .LBB677_522
; %bb.521:
	v_and_b32_e32 v24, 7, v11
	v_ffbh_u32_e32 v24, v24
	v_min_u32_e32 v24, 32, v24
	v_lshrrev_b32_e32 v25, 3, v18
	v_subrev_u32_e32 v26, 28, v24
	v_sub_u32_e32 v24, 29, v24
	v_cmp_gt_u32_e32 vcc, 8, v18
	v_cndmask_b32_e32 v18, v25, v24, vcc
	v_cndmask_b32_e32 v24, 0, v26, vcc
	v_lshlrev_b64 v[24:25], v24, v[16:17]
	v_lshlrev_b32_e32 v17, 20, v24
	v_lshlrev_b32_e32 v24, 24, v16
	v_bfrev_b32_e32 v25, 60
	v_and_b32_e32 v17, 0x700000, v17
	v_and_b32_e32 v24, 0x80000000, v24
	v_lshl_add_u32 v18, v18, 23, v25
	v_or3_b32 v17, v24, v18, v17
	v_lshrrev_b32_e32 v24, 16, v17
.LBB677_522:
	s_or_b64 exec, exec, s[8:9]
.LBB677_523:
	s_or_b64 exec, exec, s[6:7]
.LBB677_524:
	s_or_b64 exec, exec, s[0:1]
	v_lshrrev_b16_e32 v18, 8, v16
	v_cmp_ne_u16_e32 vcc, 0, v18
	s_and_saveexec_b64 s[0:1], vcc
	s_cbranch_execz .LBB677_530
; %bb.525:
	s_movk_i32 s3, 0x80
	v_cmp_ne_u16_e32 vcc, s3, v18
	v_mov_b32_e32 v23, 0xffff8000
	s_and_saveexec_b64 s[6:7], vcc
	s_cbranch_execz .LBB677_529
; %bb.526:
	s_movk_i32 s3, 0x7f
	v_and_b32_e32 v17, 0x7f, v18
	v_cmp_ne_u32_e32 vcc, s3, v17
	v_mov_b32_e32 v23, 0x7f80
	s_and_saveexec_b64 s[8:9], vcc
	s_cbranch_execz .LBB677_528
; %bb.527:
	v_and_b32_e32 v23, 7, v18
	v_ffbh_u32_e32 v26, v23
	v_min_u32_e32 v28, 32, v26
	v_subrev_u32_e32 v26, 28, v28
	v_lshlrev_b64 v[26:27], v26, v[18:19]
	v_lshrrev_b32_e32 v25, 3, v17
	v_sub_u32_e32 v18, 29, v28
	v_and_b32_e32 v26, 7, v26
	v_cmp_gt_u32_e32 vcc, 8, v17
	v_cndmask_b32_e32 v17, v25, v18, vcc
	v_cndmask_b32_e32 v18, v23, v26, vcc
	v_lshlrev_b32_e32 v16, 16, v16
	v_bfrev_b32_e32 v23, 60
	v_lshlrev_b32_e32 v18, 20, v18
	v_and_b32_e32 v16, 0x80000000, v16
	v_lshl_add_u32 v17, v17, 23, v23
	v_or3_b32 v16, v16, v17, v18
	v_lshrrev_b32_e32 v23, 16, v16
.LBB677_528:
	s_or_b64 exec, exec, s[8:9]
.LBB677_529:
	s_or_b64 exec, exec, s[6:7]
.LBB677_530:
	s_or_b64 exec, exec, s[0:1]
	s_movk_i32 s0, 0xff
	v_and_b32_sdwa v25, v11, s0 dst_sel:DWORD dst_unused:UNUSED_PAD src0_sel:WORD_1 src1_sel:DWORD
	v_lshrrev_b32_e32 v16, 16, v11
	v_cmp_ne_u16_e32 vcc, 0, v25
	v_mov_b32_e32 v17, 0
	v_mov_b32_e32 v18, 0
	s_and_saveexec_b64 s[0:1], vcc
	s_cbranch_execz .LBB677_536
; %bb.531:
	s_movk_i32 s3, 0x80
	v_cmp_ne_u16_e32 vcc, s3, v25
	v_mov_b32_e32 v18, 0xffff8000
	s_and_saveexec_b64 s[6:7], vcc
	s_cbranch_execz .LBB677_535
; %bb.532:
	v_bfe_u32 v25, v11, 16, 7
	s_movk_i32 s3, 0x7f
	v_cmp_ne_u32_e32 vcc, s3, v25
	v_mov_b32_e32 v18, 0x7f80
	s_and_saveexec_b64 s[8:9], vcc
	s_cbranch_execz .LBB677_534
; %bb.533:
	v_and_b32_e32 v18, 7, v16
	v_ffbh_u32_e32 v26, v18
	v_min_u32_e32 v29, 32, v26
	v_subrev_u32_e32 v26, 28, v29
	v_lshlrev_b64 v[26:27], v26, v[16:17]
	v_lshrrev_b32_e32 v28, 3, v25
	v_sub_u32_e32 v16, 29, v29
	v_and_b32_e32 v26, 7, v26
	v_cmp_gt_u32_e32 vcc, 8, v25
	v_mov_b32_e32 v25, 24
	v_cndmask_b32_e32 v16, v28, v16, vcc
	v_cndmask_b32_e32 v18, v18, v26, vcc
	v_lshlrev_b32_sdwa v25, v25, v11 dst_sel:DWORD dst_unused:UNUSED_PAD src0_sel:DWORD src1_sel:WORD_1
	v_bfrev_b32_e32 v26, 60
	v_lshlrev_b32_e32 v18, 20, v18
	v_and_b32_e32 v25, 0x80000000, v25
	v_lshl_add_u32 v16, v16, 23, v26
	v_or3_b32 v16, v25, v16, v18
	v_lshrrev_b32_e32 v18, 16, v16
.LBB677_534:
	s_or_b64 exec, exec, s[8:9]
.LBB677_535:
	s_or_b64 exec, exec, s[6:7]
.LBB677_536:
	s_or_b64 exec, exec, s[0:1]
	s_mov_b32 s0, -1
	s_mov_b32 s1, 0xffffff
	v_cmp_lt_u64_e32 vcc, s[0:1], v[10:11]
	s_and_saveexec_b64 s[0:1], vcc
	s_cbranch_execz .LBB677_542
; %bb.537:
	v_lshrrev_b32_e32 v10, 24, v11
	s_movk_i32 s3, 0x80
	v_cmp_ne_u32_e32 vcc, s3, v10
	v_mov_b32_e32 v17, 0xffff8000
	s_and_saveexec_b64 s[6:7], vcc
	s_cbranch_execz .LBB677_541
; %bb.538:
	v_bfe_u32 v11, v11, 24, 7
	s_movk_i32 s3, 0x7f
	v_cmp_ne_u32_e32 vcc, s3, v11
	v_mov_b32_e32 v17, 0x7f80
	s_and_saveexec_b64 s[8:9], vcc
	s_cbranch_execz .LBB677_540
; %bb.539:
	v_and_b32_e32 v25, 7, v10
	v_ffbh_u32_e32 v16, v25
	v_min_u32_e32 v27, 32, v16
	v_subrev_u32_e32 v16, 28, v27
	v_lshlrev_b64 v[16:17], v16, v[10:11]
	v_lshrrev_b32_e32 v26, 3, v11
	v_sub_u32_e32 v17, 29, v27
	v_and_b32_e32 v16, 7, v16
	v_cmp_gt_u32_e32 vcc, 8, v11
	v_cndmask_b32_e32 v11, v26, v17, vcc
	v_cndmask_b32_e32 v16, v25, v16, vcc
	v_lshlrev_b32_e32 v10, 24, v10
	v_bfrev_b32_e32 v17, 60
	v_lshlrev_b32_e32 v16, 20, v16
	v_and_b32_e32 v10, 0x80000000, v10
	v_lshl_add_u32 v11, v11, 23, v17
	v_or3_b32 v10, v10, v11, v16
	v_lshrrev_b32_e32 v17, 16, v10
.LBB677_540:
	s_or_b64 exec, exec, s[8:9]
.LBB677_541:
	s_or_b64 exec, exec, s[6:7]
.LBB677_542:
	s_or_b64 exec, exec, s[0:1]
	s_mov_b32 s0, 0x5040100
	v_perm_b32 v11, v22, v21, s0
	v_perm_b32 v10, v19, v20, s0
	;; [unrolled: 1-line block ×4, first 2 shown]
	v_mfma_f32_4x4x4bf16_1k a[0:3], v[14:15], v[10:11], a[0:3] cbsz:4 abid:4
	v_mov_b32_e32 v18, 0
	v_mfma_f32_4x4x4bf16_1k a[0:3], v[14:15], v[16:17], a[0:3] cbsz:4 abid:5
	v_mov_b32_e32 v17, 0
	v_cmp_ne_u16_sdwa s[6:7], v12, v17 src0_sel:BYTE_0 src1_sel:DWORD
	s_and_saveexec_b64 s[0:1], s[6:7]
	s_cbranch_execz .LBB677_548
; %bb.543:
	s_movk_i32 s3, 0x80
	v_cmp_ne_u16_sdwa s[8:9], v12, s3 src0_sel:BYTE_0 src1_sel:DWORD
	v_mov_b32_e32 v18, 0xffff8000
	s_and_saveexec_b64 s[6:7], s[8:9]
	s_cbranch_execz .LBB677_547
; %bb.544:
	s_movk_i32 s3, 0x7f
	v_and_b32_e32 v10, 0x7f, v12
	v_cmp_ne_u32_e32 vcc, s3, v10
	v_mov_b32_e32 v18, 0x7f80
	s_and_saveexec_b64 s[8:9], vcc
	s_cbranch_execz .LBB677_546
; %bb.545:
	v_and_b32_e32 v11, 7, v12
	v_ffbh_u32_e32 v11, v11
	v_min_u32_e32 v11, 32, v11
	v_subrev_u32_e32 v18, 28, v11
	v_cmp_gt_u32_e32 vcc, 8, v10
	v_lshrrev_b32_e32 v16, 3, v10
	v_sub_u32_e32 v11, 29, v11
	v_cndmask_b32_e32 v10, 0, v18, vcc
	v_cndmask_b32_e32 v16, v16, v11, vcc
	v_lshlrev_b64 v[10:11], v10, v[12:13]
	v_lshlrev_b32_e32 v10, 20, v10
	v_lshlrev_b32_e32 v11, 24, v12
	v_bfrev_b32_e32 v18, 60
	v_and_b32_e32 v10, 0x700000, v10
	v_and_b32_e32 v11, 0x80000000, v11
	v_lshl_add_u32 v16, v16, 23, v18
	v_or3_b32 v10, v11, v16, v10
	v_lshrrev_b32_e32 v18, 16, v10
.LBB677_546:
	s_or_b64 exec, exec, s[8:9]
.LBB677_547:
	s_or_b64 exec, exec, s[6:7]
.LBB677_548:
	s_or_b64 exec, exec, s[0:1]
	v_lshrrev_b16_e32 v10, 8, v12
	v_cmp_ne_u16_e32 vcc, 0, v10
	s_and_saveexec_b64 s[0:1], vcc
	s_cbranch_execz .LBB677_554
; %bb.549:
	s_movk_i32 s3, 0x80
	v_cmp_ne_u16_e32 vcc, s3, v10
	v_mov_b32_e32 v17, 0xffff8000
	s_and_saveexec_b64 s[6:7], vcc
	s_cbranch_execz .LBB677_553
; %bb.550:
	s_movk_i32 s3, 0x7f
	v_and_b32_e32 v11, 0x7f, v10
	v_cmp_ne_u32_e32 vcc, s3, v11
	v_mov_b32_e32 v17, 0x7f80
	s_and_saveexec_b64 s[8:9], vcc
	s_cbranch_execz .LBB677_552
; %bb.551:
	v_and_b32_e32 v19, 7, v10
	v_ffbh_u32_e32 v16, v19
	v_min_u32_e32 v21, 32, v16
	v_subrev_u32_e32 v16, 28, v21
	v_lshlrev_b64 v[16:17], v16, v[10:11]
	v_lshrrev_b32_e32 v20, 3, v11
	v_sub_u32_e32 v10, 29, v21
	v_and_b32_e32 v16, 7, v16
	v_cmp_gt_u32_e32 vcc, 8, v11
	v_cndmask_b32_e32 v10, v20, v10, vcc
	v_cndmask_b32_e32 v11, v19, v16, vcc
	v_lshlrev_b32_e32 v16, 16, v12
	v_bfrev_b32_e32 v17, 60
	v_lshlrev_b32_e32 v11, 20, v11
	v_and_b32_e32 v16, 0x80000000, v16
	v_lshl_add_u32 v10, v10, 23, v17
	v_or3_b32 v10, v16, v10, v11
	v_lshrrev_b32_e32 v17, 16, v10
.LBB677_552:
	s_or_b64 exec, exec, s[8:9]
.LBB677_553:
	s_or_b64 exec, exec, s[6:7]
.LBB677_554:
	s_or_b64 exec, exec, s[0:1]
	s_movk_i32 s0, 0xff
	v_and_b32_sdwa v16, v12, s0 dst_sel:DWORD dst_unused:UNUSED_PAD src0_sel:WORD_1 src1_sel:DWORD
	v_lshrrev_b32_e32 v10, 16, v12
	v_cmp_ne_u16_e32 vcc, 0, v16
	v_mov_b32_e32 v11, 0
	v_mov_b32_e32 v19, 0
	s_and_saveexec_b64 s[0:1], vcc
	s_cbranch_execz .LBB677_560
; %bb.555:
	s_movk_i32 s3, 0x80
	v_cmp_ne_u16_e32 vcc, s3, v16
	v_mov_b32_e32 v19, 0xffff8000
	s_and_saveexec_b64 s[6:7], vcc
	s_cbranch_execz .LBB677_559
; %bb.556:
	v_bfe_u32 v16, v12, 16, 7
	s_movk_i32 s3, 0x7f
	v_cmp_ne_u32_e32 vcc, s3, v16
	v_mov_b32_e32 v19, 0x7f80
	s_and_saveexec_b64 s[8:9], vcc
	s_cbranch_execz .LBB677_558
; %bb.557:
	v_and_b32_e32 v19, 7, v10
	v_ffbh_u32_e32 v20, v19
	v_min_u32_e32 v23, 32, v20
	v_subrev_u32_e32 v20, 28, v23
	v_lshlrev_b64 v[20:21], v20, v[10:11]
	v_and_b32_e32 v20, 7, v20
	v_cmp_gt_u32_e32 vcc, 8, v16
	v_lshrrev_b32_e32 v22, 3, v16
	v_sub_u32_e32 v10, 29, v23
	v_cndmask_b32_e32 v16, v19, v20, vcc
	v_mov_b32_e32 v19, 24
	v_cndmask_b32_e32 v10, v22, v10, vcc
	v_lshlrev_b32_sdwa v19, v19, v12 dst_sel:DWORD dst_unused:UNUSED_PAD src0_sel:DWORD src1_sel:WORD_1
	v_bfrev_b32_e32 v20, 60
	v_lshlrev_b32_e32 v16, 20, v16
	v_and_b32_e32 v19, 0x80000000, v19
	v_lshl_add_u32 v10, v10, 23, v20
	v_or3_b32 v10, v19, v10, v16
	v_lshrrev_b32_e32 v19, 16, v10
.LBB677_558:
	s_or_b64 exec, exec, s[8:9]
.LBB677_559:
	s_or_b64 exec, exec, s[6:7]
.LBB677_560:
	s_or_b64 exec, exec, s[0:1]
	s_mov_b32 s0, 0xffffff
	v_cmp_lt_u32_e32 vcc, s0, v12
	v_mov_b32_e32 v20, 0
	s_and_saveexec_b64 s[0:1], vcc
	s_cbranch_execz .LBB677_566
; %bb.561:
	v_lshrrev_b32_e32 v10, 24, v12
	s_movk_i32 s3, 0x80
	v_cmp_ne_u32_e32 vcc, s3, v10
	v_mov_b32_e32 v20, 0xffff8000
	s_and_saveexec_b64 s[6:7], vcc
	s_cbranch_execz .LBB677_565
; %bb.562:
	v_bfe_u32 v16, v12, 24, 7
	s_movk_i32 s3, 0x7f
	v_cmp_ne_u32_e32 vcc, s3, v16
	v_mov_b32_e32 v20, 0x7f80
	s_and_saveexec_b64 s[8:9], vcc
	s_cbranch_execz .LBB677_564
; %bb.563:
	v_and_b32_e32 v22, 7, v10
	v_ffbh_u32_e32 v20, v22
	v_min_u32_e32 v24, 32, v20
	v_subrev_u32_e32 v20, 28, v24
	v_lshlrev_b64 v[20:21], v20, v[10:11]
	v_lshrrev_b32_e32 v23, 3, v16
	v_sub_u32_e32 v21, 29, v24
	v_and_b32_e32 v20, 7, v20
	v_cmp_gt_u32_e32 vcc, 8, v16
	v_cndmask_b32_e32 v16, v23, v21, vcc
	v_cndmask_b32_e32 v20, v22, v20, vcc
	v_lshlrev_b32_e32 v10, 24, v10
	v_bfrev_b32_e32 v21, 60
	v_lshlrev_b32_e32 v20, 20, v20
	v_and_b32_e32 v10, 0x80000000, v10
	v_lshl_add_u32 v16, v16, 23, v21
	v_or3_b32 v10, v10, v16, v20
	v_lshrrev_b32_e32 v20, 16, v10
.LBB677_564:
	s_or_b64 exec, exec, s[8:9]
.LBB677_565:
	s_or_b64 exec, exec, s[6:7]
.LBB677_566:
	s_or_b64 exec, exec, s[0:1]
	v_mov_b32_e32 v21, 0
	v_mov_b32_e32 v10, v13
	v_cmp_ne_u16_sdwa s[6:7], v13, v21 src0_sel:BYTE_0 src1_sel:DWORD
	v_mov_b32_e32 v22, 0
	s_and_saveexec_b64 s[0:1], s[6:7]
	s_cbranch_execz .LBB677_572
; %bb.567:
	s_movk_i32 s3, 0x80
	v_cmp_ne_u16_sdwa s[8:9], v13, s3 src0_sel:BYTE_0 src1_sel:DWORD
	v_mov_b32_e32 v22, 0xffff8000
	s_and_saveexec_b64 s[6:7], s[8:9]
	s_cbranch_execz .LBB677_571
; %bb.568:
	s_movk_i32 s3, 0x7f
	v_and_b32_e32 v16, 0x7f, v13
	v_cmp_ne_u32_e32 vcc, s3, v16
	v_mov_b32_e32 v22, 0x7f80
	s_and_saveexec_b64 s[8:9], vcc
	s_cbranch_execz .LBB677_570
; %bb.569:
	v_and_b32_e32 v22, 7, v13
	v_ffbh_u32_e32 v22, v22
	v_min_u32_e32 v22, 32, v22
	v_lshrrev_b32_e32 v23, 3, v16
	v_subrev_u32_e32 v24, 28, v22
	v_sub_u32_e32 v22, 29, v22
	v_cmp_gt_u32_e32 vcc, 8, v16
	v_cndmask_b32_e32 v16, v23, v22, vcc
	v_cndmask_b32_e32 v22, 0, v24, vcc
	v_lshlrev_b64 v[22:23], v22, v[10:11]
	v_lshlrev_b32_e32 v11, 20, v22
	v_lshlrev_b32_e32 v22, 24, v10
	v_bfrev_b32_e32 v23, 60
	v_and_b32_e32 v11, 0x700000, v11
	v_and_b32_e32 v22, 0x80000000, v22
	v_lshl_add_u32 v16, v16, 23, v23
	v_or3_b32 v11, v22, v16, v11
	v_lshrrev_b32_e32 v22, 16, v11
.LBB677_570:
	s_or_b64 exec, exec, s[8:9]
.LBB677_571:
	s_or_b64 exec, exec, s[6:7]
.LBB677_572:
	s_or_b64 exec, exec, s[0:1]
	v_lshrrev_b16_e32 v16, 8, v10
	v_cmp_ne_u16_e32 vcc, 0, v16
	s_and_saveexec_b64 s[0:1], vcc
	s_cbranch_execz .LBB677_578
; %bb.573:
	s_movk_i32 s3, 0x80
	v_cmp_ne_u16_e32 vcc, s3, v16
	v_mov_b32_e32 v21, 0xffff8000
	s_and_saveexec_b64 s[6:7], vcc
	s_cbranch_execz .LBB677_577
; %bb.574:
	s_movk_i32 s3, 0x7f
	v_and_b32_e32 v11, 0x7f, v16
	v_cmp_ne_u32_e32 vcc, s3, v11
	v_mov_b32_e32 v21, 0x7f80
	s_and_saveexec_b64 s[8:9], vcc
	s_cbranch_execz .LBB677_576
; %bb.575:
	v_and_b32_e32 v21, 7, v16
	v_ffbh_u32_e32 v24, v21
	v_min_u32_e32 v26, 32, v24
	v_subrev_u32_e32 v24, 28, v26
	v_lshlrev_b64 v[24:25], v24, v[16:17]
	v_lshrrev_b32_e32 v23, 3, v11
	v_sub_u32_e32 v16, 29, v26
	v_and_b32_e32 v24, 7, v24
	v_cmp_gt_u32_e32 vcc, 8, v11
	v_cndmask_b32_e32 v11, v23, v16, vcc
	v_cndmask_b32_e32 v16, v21, v24, vcc
	v_lshlrev_b32_e32 v10, 16, v10
	v_bfrev_b32_e32 v21, 60
	v_lshlrev_b32_e32 v16, 20, v16
	v_and_b32_e32 v10, 0x80000000, v10
	v_lshl_add_u32 v11, v11, 23, v21
	v_or3_b32 v10, v10, v11, v16
	v_lshrrev_b32_e32 v21, 16, v10
.LBB677_576:
	s_or_b64 exec, exec, s[8:9]
.LBB677_577:
	s_or_b64 exec, exec, s[6:7]
.LBB677_578:
	s_or_b64 exec, exec, s[0:1]
	s_movk_i32 s0, 0xff
	v_and_b32_sdwa v23, v13, s0 dst_sel:DWORD dst_unused:UNUSED_PAD src0_sel:WORD_1 src1_sel:DWORD
	v_lshrrev_b32_e32 v10, 16, v13
	v_cmp_ne_u16_e32 vcc, 0, v23
	v_mov_b32_e32 v11, 0
	v_mov_b32_e32 v16, 0
	s_and_saveexec_b64 s[0:1], vcc
	s_cbranch_execz .LBB677_584
; %bb.579:
	s_movk_i32 s3, 0x80
	v_cmp_ne_u16_e32 vcc, s3, v23
	v_mov_b32_e32 v16, 0xffff8000
	s_and_saveexec_b64 s[6:7], vcc
	s_cbranch_execz .LBB677_583
; %bb.580:
	v_bfe_u32 v23, v13, 16, 7
	s_movk_i32 s3, 0x7f
	v_cmp_ne_u32_e32 vcc, s3, v23
	v_mov_b32_e32 v16, 0x7f80
	s_and_saveexec_b64 s[8:9], vcc
	s_cbranch_execz .LBB677_582
; %bb.581:
	v_and_b32_e32 v16, 7, v10
	v_ffbh_u32_e32 v24, v16
	v_min_u32_e32 v27, 32, v24
	v_subrev_u32_e32 v24, 28, v27
	v_lshlrev_b64 v[24:25], v24, v[10:11]
	v_lshrrev_b32_e32 v26, 3, v23
	v_sub_u32_e32 v10, 29, v27
	v_and_b32_e32 v24, 7, v24
	v_cmp_gt_u32_e32 vcc, 8, v23
	v_mov_b32_e32 v23, 24
	v_cndmask_b32_e32 v10, v26, v10, vcc
	v_cndmask_b32_e32 v16, v16, v24, vcc
	v_lshlrev_b32_sdwa v23, v23, v13 dst_sel:DWORD dst_unused:UNUSED_PAD src0_sel:DWORD src1_sel:WORD_1
	v_bfrev_b32_e32 v24, 60
	v_lshlrev_b32_e32 v16, 20, v16
	v_and_b32_e32 v23, 0x80000000, v23
	v_lshl_add_u32 v10, v10, 23, v24
	v_or3_b32 v10, v23, v10, v16
	v_lshrrev_b32_e32 v16, 16, v10
.LBB677_582:
	s_or_b64 exec, exec, s[8:9]
.LBB677_583:
	s_or_b64 exec, exec, s[6:7]
.LBB677_584:
	s_or_b64 exec, exec, s[0:1]
	s_mov_b32 s0, -1
	s_mov_b32 s1, 0xffffff
	v_cmp_lt_u64_e32 vcc, s[0:1], v[12:13]
	s_and_saveexec_b64 s[0:1], vcc
	s_cbranch_execz .LBB677_590
; %bb.585:
	v_lshrrev_b32_e32 v10, 24, v13
	s_movk_i32 s3, 0x80
	v_cmp_ne_u32_e32 vcc, s3, v10
	v_mov_b32_e32 v11, 0xffff8000
	s_and_saveexec_b64 s[6:7], vcc
	s_cbranch_execz .LBB677_589
; %bb.586:
	v_bfe_u32 v12, v13, 24, 7
	s_movk_i32 s3, 0x7f
	v_cmp_ne_u32_e32 vcc, s3, v12
	v_mov_b32_e32 v11, 0x7f80
	s_and_saveexec_b64 s[8:9], vcc
	s_cbranch_execz .LBB677_588
; %bb.587:
	v_and_b32_e32 v11, 7, v10
	v_ffbh_u32_e32 v23, v11
	v_min_u32_e32 v23, 32, v23
	v_subrev_u32_e32 v24, 28, v23
	v_lshlrev_b64 v[24:25], v24, v[10:11]
	v_lshrrev_b32_e32 v13, 3, v12
	v_sub_u32_e32 v23, 29, v23
	v_and_b32_e32 v24, 7, v24
	v_cmp_gt_u32_e32 vcc, 8, v12
	v_cndmask_b32_e32 v12, v13, v23, vcc
	v_cndmask_b32_e32 v11, v11, v24, vcc
	v_lshlrev_b32_e32 v10, 24, v10
	v_bfrev_b32_e32 v13, 60
	v_lshlrev_b32_e32 v11, 20, v11
	v_and_b32_e32 v10, 0x80000000, v10
	v_lshl_add_u32 v12, v12, 23, v13
	v_or3_b32 v10, v10, v12, v11
	v_lshrrev_b32_e32 v11, 16, v10
.LBB677_588:
	s_or_b64 exec, exec, s[8:9]
.LBB677_589:
	s_or_b64 exec, exec, s[6:7]
.LBB677_590:
	s_or_b64 exec, exec, s[0:1]
	s_mov_b32 s0, 0x5040100
	v_perm_b32 v13, v20, v19, s0
	v_perm_b32 v12, v17, v18, s0
	;; [unrolled: 1-line block ×4, first 2 shown]
	v_mfma_f32_4x4x4bf16_1k a[0:3], v[14:15], v[12:13], a[0:3] cbsz:4 abid:6
	v_mov_b32_e32 v13, 0
	v_mfma_f32_4x4x4bf16_1k a[0:3], v[14:15], v[10:11], a[0:3] cbsz:4 abid:7
	s_waitcnt vmcnt(3)
	v_cmp_ne_u16_sdwa s[6:7], v6, v13 src0_sel:BYTE_0 src1_sel:DWORD
	v_mov_b32_e32 v16, 0
	s_and_saveexec_b64 s[0:1], s[6:7]
	s_cbranch_execz .LBB677_596
; %bb.591:
	s_movk_i32 s3, 0x80
	v_cmp_ne_u16_sdwa s[8:9], v6, s3 src0_sel:BYTE_0 src1_sel:DWORD
	v_mov_b32_e32 v16, 0xffff8000
	s_and_saveexec_b64 s[6:7], s[8:9]
	s_cbranch_execz .LBB677_595
; %bb.592:
	s_movk_i32 s3, 0x7f
	v_and_b32_e32 v10, 0x7f, v6
	v_cmp_ne_u32_e32 vcc, s3, v10
	v_mov_b32_e32 v16, 0x7f80
	s_and_saveexec_b64 s[8:9], vcc
	s_cbranch_execz .LBB677_594
; %bb.593:
	v_and_b32_e32 v11, 7, v6
	v_ffbh_u32_e32 v11, v11
	v_min_u32_e32 v11, 32, v11
	v_subrev_u32_e32 v16, 28, v11
	v_cmp_gt_u32_e32 vcc, 8, v10
	v_lshrrev_b32_e32 v12, 3, v10
	v_sub_u32_e32 v11, 29, v11
	v_cndmask_b32_e32 v10, 0, v16, vcc
	v_cndmask_b32_e32 v12, v12, v11, vcc
	v_lshlrev_b64 v[10:11], v10, v[6:7]
	v_lshlrev_b32_e32 v10, 20, v10
	v_lshlrev_b32_e32 v11, 24, v6
	v_bfrev_b32_e32 v16, 60
	v_and_b32_e32 v10, 0x700000, v10
	v_and_b32_e32 v11, 0x80000000, v11
	v_lshl_add_u32 v12, v12, 23, v16
	v_or3_b32 v10, v11, v12, v10
	v_lshrrev_b32_e32 v16, 16, v10
.LBB677_594:
	s_or_b64 exec, exec, s[8:9]
.LBB677_595:
	s_or_b64 exec, exec, s[6:7]
.LBB677_596:
	s_or_b64 exec, exec, s[0:1]
	v_lshrrev_b16_e32 v10, 8, v6
	v_cmp_ne_u16_e32 vcc, 0, v10
	s_and_saveexec_b64 s[0:1], vcc
	s_cbranch_execz .LBB677_602
; %bb.597:
	s_movk_i32 s3, 0x80
	v_cmp_ne_u16_e32 vcc, s3, v10
	v_mov_b32_e32 v13, 0xffff8000
	s_and_saveexec_b64 s[6:7], vcc
	s_cbranch_execz .LBB677_601
; %bb.598:
	s_movk_i32 s3, 0x7f
	v_and_b32_e32 v11, 0x7f, v10
	v_cmp_ne_u32_e32 vcc, s3, v11
	v_mov_b32_e32 v13, 0x7f80
	s_and_saveexec_b64 s[8:9], vcc
	s_cbranch_execz .LBB677_600
; %bb.599:
	v_and_b32_e32 v17, 7, v10
	v_ffbh_u32_e32 v12, v17
	v_min_u32_e32 v19, 32, v12
	v_subrev_u32_e32 v12, 28, v19
	v_lshlrev_b64 v[12:13], v12, v[10:11]
	v_lshrrev_b32_e32 v18, 3, v11
	v_sub_u32_e32 v10, 29, v19
	v_and_b32_e32 v12, 7, v12
	v_cmp_gt_u32_e32 vcc, 8, v11
	v_cndmask_b32_e32 v10, v18, v10, vcc
	v_cndmask_b32_e32 v11, v17, v12, vcc
	v_lshlrev_b32_e32 v12, 16, v6
	v_bfrev_b32_e32 v13, 60
	v_lshlrev_b32_e32 v11, 20, v11
	v_and_b32_e32 v12, 0x80000000, v12
	v_lshl_add_u32 v10, v10, 23, v13
	v_or3_b32 v10, v12, v10, v11
	v_lshrrev_b32_e32 v13, 16, v10
.LBB677_600:
	s_or_b64 exec, exec, s[8:9]
.LBB677_601:
	s_or_b64 exec, exec, s[6:7]
.LBB677_602:
	s_or_b64 exec, exec, s[0:1]
	s_movk_i32 s0, 0xff
	v_and_b32_sdwa v12, v6, s0 dst_sel:DWORD dst_unused:UNUSED_PAD src0_sel:WORD_1 src1_sel:DWORD
	v_lshrrev_b32_e32 v10, 16, v6
	v_cmp_ne_u16_e32 vcc, 0, v12
	v_mov_b32_e32 v11, 0
	v_mov_b32_e32 v17, 0
	s_and_saveexec_b64 s[0:1], vcc
	s_cbranch_execz .LBB677_608
; %bb.603:
	s_movk_i32 s3, 0x80
	v_cmp_ne_u16_e32 vcc, s3, v12
	v_mov_b32_e32 v17, 0xffff8000
	s_and_saveexec_b64 s[6:7], vcc
	s_cbranch_execz .LBB677_607
; %bb.604:
	v_bfe_u32 v12, v6, 16, 7
	s_movk_i32 s3, 0x7f
	v_cmp_ne_u32_e32 vcc, s3, v12
	v_mov_b32_e32 v17, 0x7f80
	s_and_saveexec_b64 s[8:9], vcc
	s_cbranch_execz .LBB677_606
; %bb.605:
	v_and_b32_e32 v17, 7, v10
	v_ffbh_u32_e32 v18, v17
	v_min_u32_e32 v21, 32, v18
	v_subrev_u32_e32 v18, 28, v21
	v_lshlrev_b64 v[18:19], v18, v[10:11]
	v_and_b32_e32 v18, 7, v18
	v_cmp_gt_u32_e32 vcc, 8, v12
	v_lshrrev_b32_e32 v20, 3, v12
	v_sub_u32_e32 v10, 29, v21
	v_cndmask_b32_e32 v12, v17, v18, vcc
	v_mov_b32_e32 v17, 24
	v_cndmask_b32_e32 v10, v20, v10, vcc
	v_lshlrev_b32_sdwa v17, v17, v6 dst_sel:DWORD dst_unused:UNUSED_PAD src0_sel:DWORD src1_sel:WORD_1
	v_bfrev_b32_e32 v18, 60
	v_lshlrev_b32_e32 v12, 20, v12
	v_and_b32_e32 v17, 0x80000000, v17
	v_lshl_add_u32 v10, v10, 23, v18
	v_or3_b32 v10, v17, v10, v12
	v_lshrrev_b32_e32 v17, 16, v10
.LBB677_606:
	s_or_b64 exec, exec, s[8:9]
.LBB677_607:
	s_or_b64 exec, exec, s[6:7]
.LBB677_608:
	s_or_b64 exec, exec, s[0:1]
	s_mov_b32 s0, 0xffffff
	v_cmp_lt_u32_e32 vcc, s0, v6
	v_mov_b32_e32 v18, 0
	s_and_saveexec_b64 s[0:1], vcc
	s_cbranch_execz .LBB677_614
; %bb.609:
	v_lshrrev_b32_e32 v10, 24, v6
	s_movk_i32 s3, 0x80
	v_cmp_ne_u32_e32 vcc, s3, v10
	v_mov_b32_e32 v18, 0xffff8000
	s_and_saveexec_b64 s[6:7], vcc
	s_cbranch_execz .LBB677_613
; %bb.610:
	v_bfe_u32 v12, v6, 24, 7
	s_movk_i32 s3, 0x7f
	v_cmp_ne_u32_e32 vcc, s3, v12
	v_mov_b32_e32 v18, 0x7f80
	s_and_saveexec_b64 s[8:9], vcc
	s_cbranch_execz .LBB677_612
; %bb.611:
	v_and_b32_e32 v20, 7, v10
	v_ffbh_u32_e32 v18, v20
	v_min_u32_e32 v22, 32, v18
	v_subrev_u32_e32 v18, 28, v22
	v_lshlrev_b64 v[18:19], v18, v[10:11]
	v_lshrrev_b32_e32 v21, 3, v12
	v_sub_u32_e32 v19, 29, v22
	v_and_b32_e32 v18, 7, v18
	v_cmp_gt_u32_e32 vcc, 8, v12
	v_cndmask_b32_e32 v12, v21, v19, vcc
	v_cndmask_b32_e32 v18, v20, v18, vcc
	v_lshlrev_b32_e32 v10, 24, v10
	v_bfrev_b32_e32 v19, 60
	v_lshlrev_b32_e32 v18, 20, v18
	v_and_b32_e32 v10, 0x80000000, v10
	v_lshl_add_u32 v12, v12, 23, v19
	v_or3_b32 v10, v10, v12, v18
	v_lshrrev_b32_e32 v18, 16, v10
.LBB677_612:
	s_or_b64 exec, exec, s[8:9]
.LBB677_613:
	s_or_b64 exec, exec, s[6:7]
.LBB677_614:
	s_or_b64 exec, exec, s[0:1]
	v_mov_b32_e32 v19, 0
	v_mov_b32_e32 v10, v7
	v_cmp_ne_u16_sdwa s[6:7], v7, v19 src0_sel:BYTE_0 src1_sel:DWORD
	v_mov_b32_e32 v20, 0
	s_and_saveexec_b64 s[0:1], s[6:7]
	s_cbranch_execz .LBB677_620
; %bb.615:
	s_movk_i32 s3, 0x80
	v_cmp_ne_u16_sdwa s[8:9], v7, s3 src0_sel:BYTE_0 src1_sel:DWORD
	v_mov_b32_e32 v20, 0xffff8000
	s_and_saveexec_b64 s[6:7], s[8:9]
	s_cbranch_execz .LBB677_619
; %bb.616:
	s_movk_i32 s3, 0x7f
	v_and_b32_e32 v12, 0x7f, v7
	v_cmp_ne_u32_e32 vcc, s3, v12
	v_mov_b32_e32 v20, 0x7f80
	s_and_saveexec_b64 s[8:9], vcc
	s_cbranch_execz .LBB677_618
; %bb.617:
	v_and_b32_e32 v20, 7, v7
	v_ffbh_u32_e32 v20, v20
	v_min_u32_e32 v20, 32, v20
	v_lshrrev_b32_e32 v21, 3, v12
	v_subrev_u32_e32 v22, 28, v20
	v_sub_u32_e32 v20, 29, v20
	v_cmp_gt_u32_e32 vcc, 8, v12
	v_cndmask_b32_e32 v12, v21, v20, vcc
	v_cndmask_b32_e32 v20, 0, v22, vcc
	v_lshlrev_b64 v[20:21], v20, v[10:11]
	v_lshlrev_b32_e32 v11, 20, v20
	v_lshlrev_b32_e32 v20, 24, v10
	v_bfrev_b32_e32 v21, 60
	v_and_b32_e32 v11, 0x700000, v11
	v_and_b32_e32 v20, 0x80000000, v20
	v_lshl_add_u32 v12, v12, 23, v21
	v_or3_b32 v11, v20, v12, v11
	v_lshrrev_b32_e32 v20, 16, v11
.LBB677_618:
	s_or_b64 exec, exec, s[8:9]
.LBB677_619:
	s_or_b64 exec, exec, s[6:7]
.LBB677_620:
	s_or_b64 exec, exec, s[0:1]
	v_lshrrev_b16_e32 v12, 8, v10
	v_cmp_ne_u16_e32 vcc, 0, v12
	s_and_saveexec_b64 s[0:1], vcc
	s_cbranch_execz .LBB677_626
; %bb.621:
	s_movk_i32 s3, 0x80
	v_cmp_ne_u16_e32 vcc, s3, v12
	v_mov_b32_e32 v19, 0xffff8000
	s_and_saveexec_b64 s[6:7], vcc
	s_cbranch_execz .LBB677_625
; %bb.622:
	s_movk_i32 s3, 0x7f
	v_and_b32_e32 v11, 0x7f, v12
	v_cmp_ne_u32_e32 vcc, s3, v11
	v_mov_b32_e32 v19, 0x7f80
	s_and_saveexec_b64 s[8:9], vcc
	s_cbranch_execz .LBB677_624
; %bb.623:
	v_and_b32_e32 v19, 7, v12
	v_ffbh_u32_e32 v22, v19
	v_min_u32_e32 v24, 32, v22
	v_subrev_u32_e32 v22, 28, v24
	v_lshlrev_b64 v[22:23], v22, v[12:13]
	v_lshrrev_b32_e32 v21, 3, v11
	v_sub_u32_e32 v12, 29, v24
	v_and_b32_e32 v22, 7, v22
	v_cmp_gt_u32_e32 vcc, 8, v11
	v_cndmask_b32_e32 v11, v21, v12, vcc
	v_cndmask_b32_e32 v12, v19, v22, vcc
	v_lshlrev_b32_e32 v10, 16, v10
	v_bfrev_b32_e32 v19, 60
	v_lshlrev_b32_e32 v12, 20, v12
	v_and_b32_e32 v10, 0x80000000, v10
	v_lshl_add_u32 v11, v11, 23, v19
	v_or3_b32 v10, v10, v11, v12
	v_lshrrev_b32_e32 v19, 16, v10
.LBB677_624:
	s_or_b64 exec, exec, s[8:9]
.LBB677_625:
	s_or_b64 exec, exec, s[6:7]
.LBB677_626:
	s_or_b64 exec, exec, s[0:1]
	s_movk_i32 s0, 0xff
	v_and_b32_sdwa v21, v7, s0 dst_sel:DWORD dst_unused:UNUSED_PAD src0_sel:WORD_1 src1_sel:DWORD
	v_lshrrev_b32_e32 v10, 16, v7
	v_cmp_ne_u16_e32 vcc, 0, v21
	v_mov_b32_e32 v11, 0
	v_mov_b32_e32 v12, 0
	s_and_saveexec_b64 s[0:1], vcc
	s_cbranch_execz .LBB677_632
; %bb.627:
	s_movk_i32 s3, 0x80
	v_cmp_ne_u16_e32 vcc, s3, v21
	v_mov_b32_e32 v12, 0xffff8000
	s_and_saveexec_b64 s[6:7], vcc
	s_cbranch_execz .LBB677_631
; %bb.628:
	v_bfe_u32 v21, v7, 16, 7
	s_movk_i32 s3, 0x7f
	v_cmp_ne_u32_e32 vcc, s3, v21
	v_mov_b32_e32 v12, 0x7f80
	s_and_saveexec_b64 s[8:9], vcc
	s_cbranch_execz .LBB677_630
; %bb.629:
	v_and_b32_e32 v12, 7, v10
	v_ffbh_u32_e32 v22, v12
	v_min_u32_e32 v25, 32, v22
	v_subrev_u32_e32 v22, 28, v25
	v_lshlrev_b64 v[22:23], v22, v[10:11]
	v_lshrrev_b32_e32 v24, 3, v21
	v_sub_u32_e32 v10, 29, v25
	v_and_b32_e32 v22, 7, v22
	v_cmp_gt_u32_e32 vcc, 8, v21
	v_mov_b32_e32 v21, 24
	v_cndmask_b32_e32 v10, v24, v10, vcc
	v_cndmask_b32_e32 v12, v12, v22, vcc
	v_lshlrev_b32_sdwa v21, v21, v7 dst_sel:DWORD dst_unused:UNUSED_PAD src0_sel:DWORD src1_sel:WORD_1
	v_bfrev_b32_e32 v22, 60
	v_lshlrev_b32_e32 v12, 20, v12
	v_and_b32_e32 v21, 0x80000000, v21
	v_lshl_add_u32 v10, v10, 23, v22
	v_or3_b32 v10, v21, v10, v12
	v_lshrrev_b32_e32 v12, 16, v10
.LBB677_630:
	s_or_b64 exec, exec, s[8:9]
.LBB677_631:
	s_or_b64 exec, exec, s[6:7]
.LBB677_632:
	s_or_b64 exec, exec, s[0:1]
	s_mov_b32 s0, -1
	s_mov_b32 s1, 0xffffff
	v_cmp_lt_u64_e32 vcc, s[0:1], v[6:7]
	s_and_saveexec_b64 s[0:1], vcc
	s_cbranch_execz .LBB677_638
; %bb.633:
	v_lshrrev_b32_e32 v6, 24, v7
	s_movk_i32 s3, 0x80
	v_cmp_ne_u32_e32 vcc, s3, v6
	v_mov_b32_e32 v11, 0xffff8000
	s_and_saveexec_b64 s[6:7], vcc
	s_cbranch_execz .LBB677_637
; %bb.634:
	v_bfe_u32 v7, v7, 24, 7
	s_movk_i32 s3, 0x7f
	v_cmp_ne_u32_e32 vcc, s3, v7
	v_mov_b32_e32 v11, 0x7f80
	s_and_saveexec_b64 s[8:9], vcc
	s_cbranch_execz .LBB677_636
; %bb.635:
	v_and_b32_e32 v21, 7, v6
	v_ffbh_u32_e32 v10, v21
	v_min_u32_e32 v23, 32, v10
	v_subrev_u32_e32 v10, 28, v23
	v_lshlrev_b64 v[10:11], v10, v[6:7]
	v_lshrrev_b32_e32 v22, 3, v7
	v_sub_u32_e32 v11, 29, v23
	v_and_b32_e32 v10, 7, v10
	v_cmp_gt_u32_e32 vcc, 8, v7
	v_cndmask_b32_e32 v7, v22, v11, vcc
	v_cndmask_b32_e32 v10, v21, v10, vcc
	v_lshlrev_b32_e32 v6, 24, v6
	v_bfrev_b32_e32 v11, 60
	v_lshlrev_b32_e32 v10, 20, v10
	v_and_b32_e32 v6, 0x80000000, v6
	v_lshl_add_u32 v7, v7, 23, v11
	v_or3_b32 v6, v6, v7, v10
	v_lshrrev_b32_e32 v11, 16, v6
.LBB677_636:
	s_or_b64 exec, exec, s[8:9]
.LBB677_637:
	s_or_b64 exec, exec, s[6:7]
.LBB677_638:
	s_or_b64 exec, exec, s[0:1]
	s_mov_b32 s0, 0x5040100
	v_perm_b32 v7, v18, v17, s0
	v_perm_b32 v6, v13, v16, s0
	;; [unrolled: 1-line block ×4, first 2 shown]
	v_mfma_f32_4x4x4bf16_1k a[0:3], v[14:15], v[6:7], a[0:3] cbsz:4 abid:8
	v_mov_b32_e32 v12, 0
	v_mfma_f32_4x4x4bf16_1k a[0:3], v[14:15], v[10:11], a[0:3] cbsz:4 abid:9
	v_mov_b32_e32 v11, 0
	v_cmp_ne_u16_sdwa s[6:7], v8, v11 src0_sel:BYTE_0 src1_sel:DWORD
	s_and_saveexec_b64 s[0:1], s[6:7]
	s_cbranch_execz .LBB677_644
; %bb.639:
	s_movk_i32 s3, 0x80
	v_cmp_ne_u16_sdwa s[8:9], v8, s3 src0_sel:BYTE_0 src1_sel:DWORD
	v_mov_b32_e32 v12, 0xffff8000
	s_and_saveexec_b64 s[6:7], s[8:9]
	s_cbranch_execz .LBB677_643
; %bb.640:
	s_movk_i32 s3, 0x7f
	v_and_b32_e32 v6, 0x7f, v8
	v_cmp_ne_u32_e32 vcc, s3, v6
	v_mov_b32_e32 v12, 0x7f80
	s_and_saveexec_b64 s[8:9], vcc
	s_cbranch_execz .LBB677_642
; %bb.641:
	v_and_b32_e32 v7, 7, v8
	v_ffbh_u32_e32 v7, v7
	v_min_u32_e32 v7, 32, v7
	v_subrev_u32_e32 v12, 28, v7
	v_cmp_gt_u32_e32 vcc, 8, v6
	v_lshrrev_b32_e32 v10, 3, v6
	v_sub_u32_e32 v7, 29, v7
	v_cndmask_b32_e32 v6, 0, v12, vcc
	v_cndmask_b32_e32 v10, v10, v7, vcc
	v_lshlrev_b64 v[6:7], v6, v[8:9]
	v_lshlrev_b32_e32 v6, 20, v6
	v_lshlrev_b32_e32 v7, 24, v8
	v_bfrev_b32_e32 v12, 60
	v_and_b32_e32 v6, 0x700000, v6
	v_and_b32_e32 v7, 0x80000000, v7
	v_lshl_add_u32 v10, v10, 23, v12
	v_or3_b32 v6, v7, v10, v6
	v_lshrrev_b32_e32 v12, 16, v6
.LBB677_642:
	s_or_b64 exec, exec, s[8:9]
.LBB677_643:
	s_or_b64 exec, exec, s[6:7]
.LBB677_644:
	s_or_b64 exec, exec, s[0:1]
	v_lshrrev_b16_e32 v6, 8, v8
	v_cmp_ne_u16_e32 vcc, 0, v6
	s_and_saveexec_b64 s[0:1], vcc
	s_cbranch_execz .LBB677_650
; %bb.645:
	s_movk_i32 s3, 0x80
	v_cmp_ne_u16_e32 vcc, s3, v6
	v_mov_b32_e32 v11, 0xffff8000
	s_and_saveexec_b64 s[6:7], vcc
	s_cbranch_execz .LBB677_649
; %bb.646:
	s_movk_i32 s3, 0x7f
	v_and_b32_e32 v7, 0x7f, v6
	v_cmp_ne_u32_e32 vcc, s3, v7
	v_mov_b32_e32 v11, 0x7f80
	s_and_saveexec_b64 s[8:9], vcc
	s_cbranch_execz .LBB677_648
; %bb.647:
	v_and_b32_e32 v13, 7, v6
	v_ffbh_u32_e32 v10, v13
	v_min_u32_e32 v17, 32, v10
	v_subrev_u32_e32 v10, 28, v17
	v_lshlrev_b64 v[10:11], v10, v[6:7]
	v_lshrrev_b32_e32 v16, 3, v7
	v_sub_u32_e32 v6, 29, v17
	v_and_b32_e32 v10, 7, v10
	v_cmp_gt_u32_e32 vcc, 8, v7
	v_cndmask_b32_e32 v6, v16, v6, vcc
	v_cndmask_b32_e32 v7, v13, v10, vcc
	v_lshlrev_b32_e32 v10, 16, v8
	v_bfrev_b32_e32 v11, 60
	v_lshlrev_b32_e32 v7, 20, v7
	v_and_b32_e32 v10, 0x80000000, v10
	v_lshl_add_u32 v6, v6, 23, v11
	v_or3_b32 v6, v10, v6, v7
	v_lshrrev_b32_e32 v11, 16, v6
.LBB677_648:
	s_or_b64 exec, exec, s[8:9]
.LBB677_649:
	s_or_b64 exec, exec, s[6:7]
.LBB677_650:
	s_or_b64 exec, exec, s[0:1]
	s_movk_i32 s0, 0xff
	v_and_b32_sdwa v10, v8, s0 dst_sel:DWORD dst_unused:UNUSED_PAD src0_sel:WORD_1 src1_sel:DWORD
	v_lshrrev_b32_e32 v6, 16, v8
	v_cmp_ne_u16_e32 vcc, 0, v10
	v_mov_b32_e32 v7, 0
	v_mov_b32_e32 v13, 0
	s_and_saveexec_b64 s[0:1], vcc
	s_cbranch_execz .LBB677_656
; %bb.651:
	s_movk_i32 s3, 0x80
	v_cmp_ne_u16_e32 vcc, s3, v10
	v_mov_b32_e32 v13, 0xffff8000
	s_and_saveexec_b64 s[6:7], vcc
	s_cbranch_execz .LBB677_655
; %bb.652:
	v_bfe_u32 v10, v8, 16, 7
	s_movk_i32 s3, 0x7f
	v_cmp_ne_u32_e32 vcc, s3, v10
	v_mov_b32_e32 v13, 0x7f80
	s_and_saveexec_b64 s[8:9], vcc
	s_cbranch_execz .LBB677_654
; %bb.653:
	v_and_b32_e32 v13, 7, v6
	v_ffbh_u32_e32 v16, v13
	v_min_u32_e32 v19, 32, v16
	v_subrev_u32_e32 v16, 28, v19
	v_lshlrev_b64 v[16:17], v16, v[6:7]
	v_and_b32_e32 v16, 7, v16
	v_cmp_gt_u32_e32 vcc, 8, v10
	v_lshrrev_b32_e32 v18, 3, v10
	v_sub_u32_e32 v6, 29, v19
	v_cndmask_b32_e32 v10, v13, v16, vcc
	v_mov_b32_e32 v13, 24
	v_cndmask_b32_e32 v6, v18, v6, vcc
	v_lshlrev_b32_sdwa v13, v13, v8 dst_sel:DWORD dst_unused:UNUSED_PAD src0_sel:DWORD src1_sel:WORD_1
	v_bfrev_b32_e32 v16, 60
	v_lshlrev_b32_e32 v10, 20, v10
	v_and_b32_e32 v13, 0x80000000, v13
	v_lshl_add_u32 v6, v6, 23, v16
	v_or3_b32 v6, v13, v6, v10
	v_lshrrev_b32_e32 v13, 16, v6
.LBB677_654:
	s_or_b64 exec, exec, s[8:9]
.LBB677_655:
	s_or_b64 exec, exec, s[6:7]
.LBB677_656:
	s_or_b64 exec, exec, s[0:1]
	s_mov_b32 s0, 0xffffff
	v_cmp_lt_u32_e32 vcc, s0, v8
	v_mov_b32_e32 v16, 0
	s_and_saveexec_b64 s[0:1], vcc
	s_cbranch_execz .LBB677_662
; %bb.657:
	v_lshrrev_b32_e32 v6, 24, v8
	s_movk_i32 s3, 0x80
	v_cmp_ne_u32_e32 vcc, s3, v6
	v_mov_b32_e32 v16, 0xffff8000
	s_and_saveexec_b64 s[6:7], vcc
	s_cbranch_execz .LBB677_661
; %bb.658:
	v_bfe_u32 v10, v8, 24, 7
	s_movk_i32 s3, 0x7f
	v_cmp_ne_u32_e32 vcc, s3, v10
	v_mov_b32_e32 v16, 0x7f80
	s_and_saveexec_b64 s[8:9], vcc
	s_cbranch_execz .LBB677_660
; %bb.659:
	v_and_b32_e32 v18, 7, v6
	v_ffbh_u32_e32 v16, v18
	v_min_u32_e32 v20, 32, v16
	v_subrev_u32_e32 v16, 28, v20
	v_lshlrev_b64 v[16:17], v16, v[6:7]
	v_lshrrev_b32_e32 v19, 3, v10
	v_sub_u32_e32 v17, 29, v20
	v_and_b32_e32 v16, 7, v16
	v_cmp_gt_u32_e32 vcc, 8, v10
	v_cndmask_b32_e32 v10, v19, v17, vcc
	v_cndmask_b32_e32 v16, v18, v16, vcc
	v_lshlrev_b32_e32 v6, 24, v6
	v_bfrev_b32_e32 v17, 60
	v_lshlrev_b32_e32 v16, 20, v16
	v_and_b32_e32 v6, 0x80000000, v6
	v_lshl_add_u32 v10, v10, 23, v17
	v_or3_b32 v6, v6, v10, v16
	v_lshrrev_b32_e32 v16, 16, v6
.LBB677_660:
	s_or_b64 exec, exec, s[8:9]
.LBB677_661:
	s_or_b64 exec, exec, s[6:7]
.LBB677_662:
	s_or_b64 exec, exec, s[0:1]
	v_mov_b32_e32 v17, 0
	v_mov_b32_e32 v6, v9
	v_cmp_ne_u16_sdwa s[6:7], v9, v17 src0_sel:BYTE_0 src1_sel:DWORD
	v_mov_b32_e32 v18, 0
	s_and_saveexec_b64 s[0:1], s[6:7]
	s_cbranch_execz .LBB677_668
; %bb.663:
	s_movk_i32 s3, 0x80
	v_cmp_ne_u16_sdwa s[8:9], v9, s3 src0_sel:BYTE_0 src1_sel:DWORD
	v_mov_b32_e32 v18, 0xffff8000
	s_and_saveexec_b64 s[6:7], s[8:9]
	s_cbranch_execz .LBB677_667
; %bb.664:
	s_movk_i32 s3, 0x7f
	v_and_b32_e32 v10, 0x7f, v9
	v_cmp_ne_u32_e32 vcc, s3, v10
	v_mov_b32_e32 v18, 0x7f80
	s_and_saveexec_b64 s[8:9], vcc
	s_cbranch_execz .LBB677_666
; %bb.665:
	v_and_b32_e32 v18, 7, v9
	v_ffbh_u32_e32 v18, v18
	v_min_u32_e32 v18, 32, v18
	v_lshrrev_b32_e32 v19, 3, v10
	v_subrev_u32_e32 v20, 28, v18
	v_sub_u32_e32 v18, 29, v18
	v_cmp_gt_u32_e32 vcc, 8, v10
	v_cndmask_b32_e32 v10, v19, v18, vcc
	v_cndmask_b32_e32 v18, 0, v20, vcc
	v_lshlrev_b64 v[18:19], v18, v[6:7]
	v_lshlrev_b32_e32 v7, 20, v18
	v_lshlrev_b32_e32 v18, 24, v6
	v_bfrev_b32_e32 v19, 60
	v_and_b32_e32 v7, 0x700000, v7
	v_and_b32_e32 v18, 0x80000000, v18
	v_lshl_add_u32 v10, v10, 23, v19
	v_or3_b32 v7, v18, v10, v7
	v_lshrrev_b32_e32 v18, 16, v7
.LBB677_666:
	s_or_b64 exec, exec, s[8:9]
.LBB677_667:
	s_or_b64 exec, exec, s[6:7]
.LBB677_668:
	s_or_b64 exec, exec, s[0:1]
	v_lshrrev_b16_e32 v10, 8, v6
	v_cmp_ne_u16_e32 vcc, 0, v10
	s_and_saveexec_b64 s[0:1], vcc
	s_cbranch_execz .LBB677_674
; %bb.669:
	s_movk_i32 s3, 0x80
	v_cmp_ne_u16_e32 vcc, s3, v10
	v_mov_b32_e32 v17, 0xffff8000
	s_and_saveexec_b64 s[6:7], vcc
	s_cbranch_execz .LBB677_673
; %bb.670:
	s_movk_i32 s3, 0x7f
	v_and_b32_e32 v7, 0x7f, v10
	v_cmp_ne_u32_e32 vcc, s3, v7
	v_mov_b32_e32 v17, 0x7f80
	s_and_saveexec_b64 s[8:9], vcc
	s_cbranch_execz .LBB677_672
; %bb.671:
	v_and_b32_e32 v17, 7, v10
	v_ffbh_u32_e32 v20, v17
	v_min_u32_e32 v22, 32, v20
	v_subrev_u32_e32 v20, 28, v22
	v_lshlrev_b64 v[20:21], v20, v[10:11]
	v_lshrrev_b32_e32 v19, 3, v7
	v_sub_u32_e32 v10, 29, v22
	v_and_b32_e32 v20, 7, v20
	v_cmp_gt_u32_e32 vcc, 8, v7
	v_cndmask_b32_e32 v7, v19, v10, vcc
	v_cndmask_b32_e32 v10, v17, v20, vcc
	v_lshlrev_b32_e32 v6, 16, v6
	v_bfrev_b32_e32 v17, 60
	v_lshlrev_b32_e32 v10, 20, v10
	v_and_b32_e32 v6, 0x80000000, v6
	v_lshl_add_u32 v7, v7, 23, v17
	v_or3_b32 v6, v6, v7, v10
	v_lshrrev_b32_e32 v17, 16, v6
.LBB677_672:
	s_or_b64 exec, exec, s[8:9]
.LBB677_673:
	s_or_b64 exec, exec, s[6:7]
.LBB677_674:
	s_or_b64 exec, exec, s[0:1]
	s_movk_i32 s0, 0xff
	v_and_b32_sdwa v19, v9, s0 dst_sel:DWORD dst_unused:UNUSED_PAD src0_sel:WORD_1 src1_sel:DWORD
	v_lshrrev_b32_e32 v6, 16, v9
	v_cmp_ne_u16_e32 vcc, 0, v19
	v_mov_b32_e32 v7, 0
	v_mov_b32_e32 v10, 0
	s_and_saveexec_b64 s[0:1], vcc
	s_cbranch_execz .LBB677_680
; %bb.675:
	s_movk_i32 s3, 0x80
	v_cmp_ne_u16_e32 vcc, s3, v19
	v_mov_b32_e32 v10, 0xffff8000
	s_and_saveexec_b64 s[6:7], vcc
	s_cbranch_execz .LBB677_679
; %bb.676:
	v_bfe_u32 v19, v9, 16, 7
	s_movk_i32 s3, 0x7f
	v_cmp_ne_u32_e32 vcc, s3, v19
	v_mov_b32_e32 v10, 0x7f80
	s_and_saveexec_b64 s[8:9], vcc
	s_cbranch_execz .LBB677_678
; %bb.677:
	v_and_b32_e32 v10, 7, v6
	v_ffbh_u32_e32 v20, v10
	v_min_u32_e32 v23, 32, v20
	v_subrev_u32_e32 v20, 28, v23
	v_lshlrev_b64 v[20:21], v20, v[6:7]
	v_lshrrev_b32_e32 v22, 3, v19
	v_sub_u32_e32 v6, 29, v23
	v_and_b32_e32 v20, 7, v20
	v_cmp_gt_u32_e32 vcc, 8, v19
	v_mov_b32_e32 v19, 24
	v_cndmask_b32_e32 v6, v22, v6, vcc
	v_cndmask_b32_e32 v10, v10, v20, vcc
	v_lshlrev_b32_sdwa v19, v19, v9 dst_sel:DWORD dst_unused:UNUSED_PAD src0_sel:DWORD src1_sel:WORD_1
	v_bfrev_b32_e32 v20, 60
	v_lshlrev_b32_e32 v10, 20, v10
	v_and_b32_e32 v19, 0x80000000, v19
	v_lshl_add_u32 v6, v6, 23, v20
	v_or3_b32 v6, v19, v6, v10
	v_lshrrev_b32_e32 v10, 16, v6
.LBB677_678:
	s_or_b64 exec, exec, s[8:9]
.LBB677_679:
	s_or_b64 exec, exec, s[6:7]
.LBB677_680:
	s_or_b64 exec, exec, s[0:1]
	s_mov_b32 s0, -1
	s_mov_b32 s1, 0xffffff
	v_cmp_lt_u64_e32 vcc, s[0:1], v[8:9]
	s_and_saveexec_b64 s[0:1], vcc
	s_cbranch_execz .LBB677_686
; %bb.681:
	v_lshrrev_b32_e32 v6, 24, v9
	s_movk_i32 s3, 0x80
	v_cmp_ne_u32_e32 vcc, s3, v6
	v_mov_b32_e32 v7, 0xffff8000
	s_and_saveexec_b64 s[6:7], vcc
	s_cbranch_execz .LBB677_685
; %bb.682:
	v_bfe_u32 v8, v9, 24, 7
	s_movk_i32 s3, 0x7f
	v_cmp_ne_u32_e32 vcc, s3, v8
	v_mov_b32_e32 v7, 0x7f80
	s_and_saveexec_b64 s[8:9], vcc
	s_cbranch_execz .LBB677_684
; %bb.683:
	v_and_b32_e32 v7, 7, v6
	v_ffbh_u32_e32 v19, v7
	v_min_u32_e32 v19, 32, v19
	v_subrev_u32_e32 v20, 28, v19
	v_lshlrev_b64 v[20:21], v20, v[6:7]
	v_lshrrev_b32_e32 v9, 3, v8
	v_sub_u32_e32 v19, 29, v19
	v_and_b32_e32 v20, 7, v20
	v_cmp_gt_u32_e32 vcc, 8, v8
	v_cndmask_b32_e32 v8, v9, v19, vcc
	v_cndmask_b32_e32 v7, v7, v20, vcc
	v_lshlrev_b32_e32 v6, 24, v6
	v_bfrev_b32_e32 v9, 60
	v_lshlrev_b32_e32 v7, 20, v7
	v_and_b32_e32 v6, 0x80000000, v6
	v_lshl_add_u32 v8, v8, 23, v9
	v_or3_b32 v6, v6, v8, v7
	v_lshrrev_b32_e32 v7, 16, v6
.LBB677_684:
	s_or_b64 exec, exec, s[8:9]
.LBB677_685:
	s_or_b64 exec, exec, s[6:7]
.LBB677_686:
	s_or_b64 exec, exec, s[0:1]
	s_mov_b32 s0, 0x5040100
	v_perm_b32 v9, v16, v13, s0
	v_perm_b32 v8, v11, v12, s0
	;; [unrolled: 1-line block ×4, first 2 shown]
	v_mfma_f32_4x4x4bf16_1k a[0:3], v[14:15], v[8:9], a[0:3] cbsz:4 abid:10
	v_mov_b32_e32 v9, 0
	v_mfma_f32_4x4x4bf16_1k a[0:3], v[14:15], v[6:7], a[0:3] cbsz:4 abid:11
	s_waitcnt vmcnt(2)
	v_cmp_ne_u16_sdwa s[6:7], v2, v9 src0_sel:BYTE_0 src1_sel:DWORD
	v_mov_b32_e32 v10, 0
	s_and_saveexec_b64 s[0:1], s[6:7]
	s_cbranch_execz .LBB677_692
; %bb.687:
	s_movk_i32 s3, 0x80
	v_cmp_ne_u16_sdwa s[8:9], v2, s3 src0_sel:BYTE_0 src1_sel:DWORD
	v_mov_b32_e32 v10, 0xffff8000
	s_and_saveexec_b64 s[6:7], s[8:9]
	s_cbranch_execz .LBB677_691
; %bb.688:
	s_movk_i32 s3, 0x7f
	v_and_b32_e32 v6, 0x7f, v2
	v_cmp_ne_u32_e32 vcc, s3, v6
	v_mov_b32_e32 v10, 0x7f80
	s_and_saveexec_b64 s[8:9], vcc
	s_cbranch_execz .LBB677_690
; %bb.689:
	v_and_b32_e32 v7, 7, v2
	v_ffbh_u32_e32 v7, v7
	v_min_u32_e32 v7, 32, v7
	v_subrev_u32_e32 v10, 28, v7
	v_cmp_gt_u32_e32 vcc, 8, v6
	v_lshrrev_b32_e32 v8, 3, v6
	v_sub_u32_e32 v7, 29, v7
	v_cndmask_b32_e32 v6, 0, v10, vcc
	v_cndmask_b32_e32 v8, v8, v7, vcc
	v_lshlrev_b64 v[6:7], v6, v[2:3]
	v_lshlrev_b32_e32 v6, 20, v6
	v_lshlrev_b32_e32 v7, 24, v2
	v_bfrev_b32_e32 v10, 60
	v_and_b32_e32 v6, 0x700000, v6
	v_and_b32_e32 v7, 0x80000000, v7
	v_lshl_add_u32 v8, v8, 23, v10
	v_or3_b32 v6, v7, v8, v6
	v_lshrrev_b32_e32 v10, 16, v6
.LBB677_690:
	s_or_b64 exec, exec, s[8:9]
.LBB677_691:
	s_or_b64 exec, exec, s[6:7]
.LBB677_692:
	s_or_b64 exec, exec, s[0:1]
	v_lshrrev_b16_e32 v6, 8, v2
	v_cmp_ne_u16_e32 vcc, 0, v6
	s_and_saveexec_b64 s[0:1], vcc
	s_cbranch_execz .LBB677_698
; %bb.693:
	s_movk_i32 s3, 0x80
	v_cmp_ne_u16_e32 vcc, s3, v6
	v_mov_b32_e32 v9, 0xffff8000
	s_and_saveexec_b64 s[6:7], vcc
	s_cbranch_execz .LBB677_697
; %bb.694:
	s_movk_i32 s3, 0x7f
	v_and_b32_e32 v7, 0x7f, v6
	v_cmp_ne_u32_e32 vcc, s3, v7
	v_mov_b32_e32 v9, 0x7f80
	s_and_saveexec_b64 s[8:9], vcc
	s_cbranch_execz .LBB677_696
; %bb.695:
	v_and_b32_e32 v11, 7, v6
	v_ffbh_u32_e32 v8, v11
	v_min_u32_e32 v13, 32, v8
	v_subrev_u32_e32 v8, 28, v13
	v_lshlrev_b64 v[8:9], v8, v[6:7]
	v_lshrrev_b32_e32 v12, 3, v7
	v_sub_u32_e32 v6, 29, v13
	v_and_b32_e32 v8, 7, v8
	v_cmp_gt_u32_e32 vcc, 8, v7
	v_cndmask_b32_e32 v6, v12, v6, vcc
	v_cndmask_b32_e32 v7, v11, v8, vcc
	v_lshlrev_b32_e32 v8, 16, v2
	v_bfrev_b32_e32 v9, 60
	v_lshlrev_b32_e32 v7, 20, v7
	v_and_b32_e32 v8, 0x80000000, v8
	v_lshl_add_u32 v6, v6, 23, v9
	v_or3_b32 v6, v8, v6, v7
	v_lshrrev_b32_e32 v9, 16, v6
.LBB677_696:
	s_or_b64 exec, exec, s[8:9]
.LBB677_697:
	s_or_b64 exec, exec, s[6:7]
.LBB677_698:
	s_or_b64 exec, exec, s[0:1]
	s_movk_i32 s0, 0xff
	v_and_b32_sdwa v8, v2, s0 dst_sel:DWORD dst_unused:UNUSED_PAD src0_sel:WORD_1 src1_sel:DWORD
	v_lshrrev_b32_e32 v6, 16, v2
	v_cmp_ne_u16_e32 vcc, 0, v8
	v_mov_b32_e32 v7, 0
	v_mov_b32_e32 v11, 0
	s_and_saveexec_b64 s[0:1], vcc
	s_cbranch_execz .LBB677_704
; %bb.699:
	s_movk_i32 s3, 0x80
	v_cmp_ne_u16_e32 vcc, s3, v8
	v_mov_b32_e32 v11, 0xffff8000
	s_and_saveexec_b64 s[6:7], vcc
	s_cbranch_execz .LBB677_703
; %bb.700:
	v_bfe_u32 v8, v2, 16, 7
	s_movk_i32 s3, 0x7f
	v_cmp_ne_u32_e32 vcc, s3, v8
	v_mov_b32_e32 v11, 0x7f80
	s_and_saveexec_b64 s[8:9], vcc
	s_cbranch_execz .LBB677_702
; %bb.701:
	v_and_b32_e32 v11, 7, v6
	v_ffbh_u32_e32 v12, v11
	v_min_u32_e32 v17, 32, v12
	v_subrev_u32_e32 v12, 28, v17
	v_lshlrev_b64 v[12:13], v12, v[6:7]
	v_and_b32_e32 v12, 7, v12
	v_cmp_gt_u32_e32 vcc, 8, v8
	v_lshrrev_b32_e32 v16, 3, v8
	v_sub_u32_e32 v6, 29, v17
	v_cndmask_b32_e32 v8, v11, v12, vcc
	v_mov_b32_e32 v11, 24
	v_cndmask_b32_e32 v6, v16, v6, vcc
	v_lshlrev_b32_sdwa v11, v11, v2 dst_sel:DWORD dst_unused:UNUSED_PAD src0_sel:DWORD src1_sel:WORD_1
	v_bfrev_b32_e32 v12, 60
	v_lshlrev_b32_e32 v8, 20, v8
	v_and_b32_e32 v11, 0x80000000, v11
	v_lshl_add_u32 v6, v6, 23, v12
	v_or3_b32 v6, v11, v6, v8
	v_lshrrev_b32_e32 v11, 16, v6
.LBB677_702:
	s_or_b64 exec, exec, s[8:9]
.LBB677_703:
	s_or_b64 exec, exec, s[6:7]
.LBB677_704:
	s_or_b64 exec, exec, s[0:1]
	s_mov_b32 s0, 0xffffff
	v_cmp_lt_u32_e32 vcc, s0, v2
	v_mov_b32_e32 v12, 0
	s_and_saveexec_b64 s[0:1], vcc
	s_cbranch_execz .LBB677_710
; %bb.705:
	v_lshrrev_b32_e32 v6, 24, v2
	s_movk_i32 s3, 0x80
	v_cmp_ne_u32_e32 vcc, s3, v6
	v_mov_b32_e32 v12, 0xffff8000
	s_and_saveexec_b64 s[6:7], vcc
	s_cbranch_execz .LBB677_709
; %bb.706:
	v_bfe_u32 v8, v2, 24, 7
	s_movk_i32 s3, 0x7f
	v_cmp_ne_u32_e32 vcc, s3, v8
	v_mov_b32_e32 v12, 0x7f80
	s_and_saveexec_b64 s[8:9], vcc
	s_cbranch_execz .LBB677_708
; %bb.707:
	v_and_b32_e32 v16, 7, v6
	v_ffbh_u32_e32 v12, v16
	v_min_u32_e32 v18, 32, v12
	v_subrev_u32_e32 v12, 28, v18
	v_lshlrev_b64 v[12:13], v12, v[6:7]
	v_lshrrev_b32_e32 v17, 3, v8
	v_sub_u32_e32 v13, 29, v18
	v_and_b32_e32 v12, 7, v12
	v_cmp_gt_u32_e32 vcc, 8, v8
	v_cndmask_b32_e32 v8, v17, v13, vcc
	v_cndmask_b32_e32 v12, v16, v12, vcc
	v_lshlrev_b32_e32 v6, 24, v6
	v_bfrev_b32_e32 v13, 60
	v_lshlrev_b32_e32 v12, 20, v12
	v_and_b32_e32 v6, 0x80000000, v6
	v_lshl_add_u32 v8, v8, 23, v13
	v_or3_b32 v6, v6, v8, v12
	v_lshrrev_b32_e32 v12, 16, v6
.LBB677_708:
	s_or_b64 exec, exec, s[8:9]
.LBB677_709:
	s_or_b64 exec, exec, s[6:7]
.LBB677_710:
	s_or_b64 exec, exec, s[0:1]
	v_mov_b32_e32 v13, 0
	v_mov_b32_e32 v6, v3
	v_cmp_ne_u16_sdwa s[6:7], v3, v13 src0_sel:BYTE_0 src1_sel:DWORD
	v_mov_b32_e32 v16, 0
	s_and_saveexec_b64 s[0:1], s[6:7]
	s_cbranch_execz .LBB677_716
; %bb.711:
	s_movk_i32 s3, 0x80
	v_cmp_ne_u16_sdwa s[8:9], v3, s3 src0_sel:BYTE_0 src1_sel:DWORD
	v_mov_b32_e32 v16, 0xffff8000
	s_and_saveexec_b64 s[6:7], s[8:9]
	s_cbranch_execz .LBB677_715
; %bb.712:
	s_movk_i32 s3, 0x7f
	v_and_b32_e32 v8, 0x7f, v3
	v_cmp_ne_u32_e32 vcc, s3, v8
	v_mov_b32_e32 v16, 0x7f80
	s_and_saveexec_b64 s[8:9], vcc
	s_cbranch_execz .LBB677_714
; %bb.713:
	v_and_b32_e32 v16, 7, v3
	v_ffbh_u32_e32 v16, v16
	v_min_u32_e32 v16, 32, v16
	v_lshrrev_b32_e32 v17, 3, v8
	v_subrev_u32_e32 v18, 28, v16
	v_sub_u32_e32 v16, 29, v16
	v_cmp_gt_u32_e32 vcc, 8, v8
	v_cndmask_b32_e32 v8, v17, v16, vcc
	v_cndmask_b32_e32 v16, 0, v18, vcc
	v_lshlrev_b64 v[16:17], v16, v[6:7]
	v_lshlrev_b32_e32 v7, 20, v16
	v_lshlrev_b32_e32 v16, 24, v6
	v_bfrev_b32_e32 v17, 60
	v_and_b32_e32 v7, 0x700000, v7
	v_and_b32_e32 v16, 0x80000000, v16
	v_lshl_add_u32 v8, v8, 23, v17
	v_or3_b32 v7, v16, v8, v7
	v_lshrrev_b32_e32 v16, 16, v7
.LBB677_714:
	s_or_b64 exec, exec, s[8:9]
.LBB677_715:
	s_or_b64 exec, exec, s[6:7]
.LBB677_716:
	s_or_b64 exec, exec, s[0:1]
	v_lshrrev_b16_e32 v8, 8, v6
	v_cmp_ne_u16_e32 vcc, 0, v8
	s_and_saveexec_b64 s[0:1], vcc
	s_cbranch_execz .LBB677_722
; %bb.717:
	s_movk_i32 s3, 0x80
	v_cmp_ne_u16_e32 vcc, s3, v8
	v_mov_b32_e32 v13, 0xffff8000
	s_and_saveexec_b64 s[6:7], vcc
	s_cbranch_execz .LBB677_721
; %bb.718:
	s_movk_i32 s3, 0x7f
	v_and_b32_e32 v7, 0x7f, v8
	v_cmp_ne_u32_e32 vcc, s3, v7
	v_mov_b32_e32 v13, 0x7f80
	s_and_saveexec_b64 s[8:9], vcc
	s_cbranch_execz .LBB677_720
; %bb.719:
	v_and_b32_e32 v13, 7, v8
	v_ffbh_u32_e32 v18, v13
	v_min_u32_e32 v20, 32, v18
	v_subrev_u32_e32 v18, 28, v20
	v_lshlrev_b64 v[18:19], v18, v[8:9]
	v_lshrrev_b32_e32 v17, 3, v7
	v_sub_u32_e32 v8, 29, v20
	v_and_b32_e32 v18, 7, v18
	v_cmp_gt_u32_e32 vcc, 8, v7
	v_cndmask_b32_e32 v7, v17, v8, vcc
	v_cndmask_b32_e32 v8, v13, v18, vcc
	v_lshlrev_b32_e32 v6, 16, v6
	v_bfrev_b32_e32 v13, 60
	v_lshlrev_b32_e32 v8, 20, v8
	v_and_b32_e32 v6, 0x80000000, v6
	v_lshl_add_u32 v7, v7, 23, v13
	v_or3_b32 v6, v6, v7, v8
	v_lshrrev_b32_e32 v13, 16, v6
.LBB677_720:
	s_or_b64 exec, exec, s[8:9]
.LBB677_721:
	s_or_b64 exec, exec, s[6:7]
.LBB677_722:
	s_or_b64 exec, exec, s[0:1]
	s_movk_i32 s0, 0xff
	v_and_b32_sdwa v17, v3, s0 dst_sel:DWORD dst_unused:UNUSED_PAD src0_sel:WORD_1 src1_sel:DWORD
	v_lshrrev_b32_e32 v6, 16, v3
	v_cmp_ne_u16_e32 vcc, 0, v17
	v_mov_b32_e32 v7, 0
	v_mov_b32_e32 v8, 0
	s_and_saveexec_b64 s[0:1], vcc
	s_cbranch_execz .LBB677_728
; %bb.723:
	s_movk_i32 s3, 0x80
	v_cmp_ne_u16_e32 vcc, s3, v17
	v_mov_b32_e32 v8, 0xffff8000
	s_and_saveexec_b64 s[6:7], vcc
	s_cbranch_execz .LBB677_727
; %bb.724:
	v_bfe_u32 v17, v3, 16, 7
	s_movk_i32 s3, 0x7f
	v_cmp_ne_u32_e32 vcc, s3, v17
	v_mov_b32_e32 v8, 0x7f80
	s_and_saveexec_b64 s[8:9], vcc
	s_cbranch_execz .LBB677_726
; %bb.725:
	v_and_b32_e32 v8, 7, v6
	v_ffbh_u32_e32 v18, v8
	v_min_u32_e32 v21, 32, v18
	v_subrev_u32_e32 v18, 28, v21
	v_lshlrev_b64 v[18:19], v18, v[6:7]
	v_lshrrev_b32_e32 v20, 3, v17
	v_sub_u32_e32 v6, 29, v21
	v_and_b32_e32 v18, 7, v18
	v_cmp_gt_u32_e32 vcc, 8, v17
	v_mov_b32_e32 v17, 24
	v_cndmask_b32_e32 v6, v20, v6, vcc
	v_cndmask_b32_e32 v8, v8, v18, vcc
	v_lshlrev_b32_sdwa v17, v17, v3 dst_sel:DWORD dst_unused:UNUSED_PAD src0_sel:DWORD src1_sel:WORD_1
	v_bfrev_b32_e32 v18, 60
	v_lshlrev_b32_e32 v8, 20, v8
	v_and_b32_e32 v17, 0x80000000, v17
	v_lshl_add_u32 v6, v6, 23, v18
	v_or3_b32 v6, v17, v6, v8
	v_lshrrev_b32_e32 v8, 16, v6
.LBB677_726:
	s_or_b64 exec, exec, s[8:9]
.LBB677_727:
	s_or_b64 exec, exec, s[6:7]
.LBB677_728:
	s_or_b64 exec, exec, s[0:1]
	s_mov_b32 s0, -1
	s_mov_b32 s1, 0xffffff
	v_cmp_lt_u64_e32 vcc, s[0:1], v[2:3]
	s_and_saveexec_b64 s[0:1], vcc
	s_cbranch_execz .LBB677_734
; %bb.729:
	v_lshrrev_b32_e32 v2, 24, v3
	s_movk_i32 s3, 0x80
	v_cmp_ne_u32_e32 vcc, s3, v2
	v_mov_b32_e32 v7, 0xffff8000
	s_and_saveexec_b64 s[6:7], vcc
	s_cbranch_execz .LBB677_733
; %bb.730:
	v_bfe_u32 v3, v3, 24, 7
	s_movk_i32 s3, 0x7f
	v_cmp_ne_u32_e32 vcc, s3, v3
	v_mov_b32_e32 v7, 0x7f80
	s_and_saveexec_b64 s[8:9], vcc
	s_cbranch_execz .LBB677_732
; %bb.731:
	v_and_b32_e32 v17, 7, v2
	v_ffbh_u32_e32 v6, v17
	v_min_u32_e32 v19, 32, v6
	v_subrev_u32_e32 v6, 28, v19
	v_lshlrev_b64 v[6:7], v6, v[2:3]
	v_lshrrev_b32_e32 v18, 3, v3
	v_sub_u32_e32 v7, 29, v19
	v_and_b32_e32 v6, 7, v6
	v_cmp_gt_u32_e32 vcc, 8, v3
	v_cndmask_b32_e32 v3, v18, v7, vcc
	v_cndmask_b32_e32 v6, v17, v6, vcc
	v_lshlrev_b32_e32 v2, 24, v2
	v_bfrev_b32_e32 v7, 60
	v_lshlrev_b32_e32 v6, 20, v6
	v_and_b32_e32 v2, 0x80000000, v2
	v_lshl_add_u32 v3, v3, 23, v7
	v_or3_b32 v2, v2, v3, v6
	v_lshrrev_b32_e32 v7, 16, v2
.LBB677_732:
	s_or_b64 exec, exec, s[8:9]
.LBB677_733:
	s_or_b64 exec, exec, s[6:7]
.LBB677_734:
	s_or_b64 exec, exec, s[0:1]
	s_mov_b32 s0, 0x5040100
	v_perm_b32 v3, v12, v11, s0
	v_perm_b32 v2, v9, v10, s0
	;; [unrolled: 1-line block ×4, first 2 shown]
	v_mfma_f32_4x4x4bf16_1k a[0:3], v[14:15], v[2:3], a[0:3] cbsz:4 abid:12
	v_mov_b32_e32 v8, 0
	v_mfma_f32_4x4x4bf16_1k a[0:3], v[14:15], v[6:7], a[0:3] cbsz:4 abid:13
	v_mov_b32_e32 v7, 0
	v_cmp_ne_u16_sdwa s[6:7], v4, v7 src0_sel:BYTE_0 src1_sel:DWORD
	s_and_saveexec_b64 s[0:1], s[6:7]
	s_cbranch_execz .LBB677_740
; %bb.735:
	s_movk_i32 s3, 0x80
	v_cmp_ne_u16_sdwa s[8:9], v4, s3 src0_sel:BYTE_0 src1_sel:DWORD
	v_mov_b32_e32 v8, 0xffff8000
	s_and_saveexec_b64 s[6:7], s[8:9]
	s_cbranch_execz .LBB677_739
; %bb.736:
	s_movk_i32 s3, 0x7f
	v_and_b32_e32 v2, 0x7f, v4
	v_cmp_ne_u32_e32 vcc, s3, v2
	v_mov_b32_e32 v8, 0x7f80
	s_and_saveexec_b64 s[8:9], vcc
	s_cbranch_execz .LBB677_738
; %bb.737:
	v_and_b32_e32 v3, 7, v4
	v_ffbh_u32_e32 v3, v3
	v_min_u32_e32 v3, 32, v3
	v_subrev_u32_e32 v8, 28, v3
	v_cmp_gt_u32_e32 vcc, 8, v2
	v_lshrrev_b32_e32 v6, 3, v2
	v_sub_u32_e32 v3, 29, v3
	v_cndmask_b32_e32 v2, 0, v8, vcc
	v_cndmask_b32_e32 v6, v6, v3, vcc
	v_lshlrev_b64 v[2:3], v2, v[4:5]
	v_lshlrev_b32_e32 v2, 20, v2
	v_lshlrev_b32_e32 v3, 24, v4
	v_bfrev_b32_e32 v8, 60
	v_and_b32_e32 v2, 0x700000, v2
	v_and_b32_e32 v3, 0x80000000, v3
	v_lshl_add_u32 v6, v6, 23, v8
	v_or3_b32 v2, v3, v6, v2
	v_lshrrev_b32_e32 v8, 16, v2
.LBB677_738:
	s_or_b64 exec, exec, s[8:9]
.LBB677_739:
	s_or_b64 exec, exec, s[6:7]
.LBB677_740:
	s_or_b64 exec, exec, s[0:1]
	v_lshrrev_b16_e32 v2, 8, v4
	v_cmp_ne_u16_e32 vcc, 0, v2
	s_and_saveexec_b64 s[0:1], vcc
	s_cbranch_execz .LBB677_746
; %bb.741:
	s_movk_i32 s3, 0x80
	v_cmp_ne_u16_e32 vcc, s3, v2
	v_mov_b32_e32 v7, 0xffff8000
	s_and_saveexec_b64 s[6:7], vcc
	s_cbranch_execz .LBB677_745
; %bb.742:
	s_movk_i32 s3, 0x7f
	v_and_b32_e32 v3, 0x7f, v2
	v_cmp_ne_u32_e32 vcc, s3, v3
	v_mov_b32_e32 v7, 0x7f80
	s_and_saveexec_b64 s[8:9], vcc
	s_cbranch_execz .LBB677_744
; %bb.743:
	v_and_b32_e32 v9, 7, v2
	v_ffbh_u32_e32 v6, v9
	v_min_u32_e32 v11, 32, v6
	v_subrev_u32_e32 v6, 28, v11
	v_lshlrev_b64 v[6:7], v6, v[2:3]
	v_lshrrev_b32_e32 v10, 3, v3
	v_sub_u32_e32 v2, 29, v11
	v_and_b32_e32 v6, 7, v6
	v_cmp_gt_u32_e32 vcc, 8, v3
	v_cndmask_b32_e32 v2, v10, v2, vcc
	v_cndmask_b32_e32 v3, v9, v6, vcc
	v_lshlrev_b32_e32 v6, 16, v4
	v_bfrev_b32_e32 v7, 60
	v_lshlrev_b32_e32 v3, 20, v3
	v_and_b32_e32 v6, 0x80000000, v6
	v_lshl_add_u32 v2, v2, 23, v7
	v_or3_b32 v2, v6, v2, v3
	v_lshrrev_b32_e32 v7, 16, v2
.LBB677_744:
	s_or_b64 exec, exec, s[8:9]
.LBB677_745:
	s_or_b64 exec, exec, s[6:7]
.LBB677_746:
	s_or_b64 exec, exec, s[0:1]
	s_movk_i32 s0, 0xff
	v_and_b32_sdwa v6, v4, s0 dst_sel:DWORD dst_unused:UNUSED_PAD src0_sel:WORD_1 src1_sel:DWORD
	v_lshrrev_b32_e32 v2, 16, v4
	v_cmp_ne_u16_e32 vcc, 0, v6
	v_mov_b32_e32 v3, 0
	v_mov_b32_e32 v9, 0
	s_and_saveexec_b64 s[0:1], vcc
	s_cbranch_execz .LBB677_752
; %bb.747:
	s_movk_i32 s3, 0x80
	v_cmp_ne_u16_e32 vcc, s3, v6
	v_mov_b32_e32 v9, 0xffff8000
	s_and_saveexec_b64 s[6:7], vcc
	s_cbranch_execz .LBB677_751
; %bb.748:
	v_bfe_u32 v6, v4, 16, 7
	s_movk_i32 s3, 0x7f
	v_cmp_ne_u32_e32 vcc, s3, v6
	v_mov_b32_e32 v9, 0x7f80
	s_and_saveexec_b64 s[8:9], vcc
	s_cbranch_execz .LBB677_750
; %bb.749:
	v_and_b32_e32 v9, 7, v2
	v_ffbh_u32_e32 v10, v9
	v_min_u32_e32 v13, 32, v10
	v_subrev_u32_e32 v10, 28, v13
	v_lshlrev_b64 v[10:11], v10, v[2:3]
	v_and_b32_e32 v10, 7, v10
	v_cmp_gt_u32_e32 vcc, 8, v6
	v_lshrrev_b32_e32 v12, 3, v6
	v_sub_u32_e32 v2, 29, v13
	v_cndmask_b32_e32 v6, v9, v10, vcc
	v_mov_b32_e32 v9, 24
	v_cndmask_b32_e32 v2, v12, v2, vcc
	v_lshlrev_b32_sdwa v9, v9, v4 dst_sel:DWORD dst_unused:UNUSED_PAD src0_sel:DWORD src1_sel:WORD_1
	v_bfrev_b32_e32 v10, 60
	v_lshlrev_b32_e32 v6, 20, v6
	v_and_b32_e32 v9, 0x80000000, v9
	v_lshl_add_u32 v2, v2, 23, v10
	v_or3_b32 v2, v9, v2, v6
	v_lshrrev_b32_e32 v9, 16, v2
.LBB677_750:
	s_or_b64 exec, exec, s[8:9]
.LBB677_751:
	s_or_b64 exec, exec, s[6:7]
.LBB677_752:
	s_or_b64 exec, exec, s[0:1]
	s_mov_b32 s0, 0xffffff
	v_cmp_lt_u32_e32 vcc, s0, v4
	v_mov_b32_e32 v10, 0
	s_and_saveexec_b64 s[0:1], vcc
	s_cbranch_execz .LBB677_758
; %bb.753:
	v_lshrrev_b32_e32 v2, 24, v4
	s_movk_i32 s3, 0x80
	v_cmp_ne_u32_e32 vcc, s3, v2
	v_mov_b32_e32 v10, 0xffff8000
	s_and_saveexec_b64 s[6:7], vcc
	s_cbranch_execz .LBB677_757
; %bb.754:
	v_bfe_u32 v6, v4, 24, 7
	s_movk_i32 s3, 0x7f
	v_cmp_ne_u32_e32 vcc, s3, v6
	v_mov_b32_e32 v10, 0x7f80
	s_and_saveexec_b64 s[8:9], vcc
	s_cbranch_execz .LBB677_756
; %bb.755:
	v_and_b32_e32 v12, 7, v2
	v_ffbh_u32_e32 v10, v12
	v_min_u32_e32 v16, 32, v10
	v_subrev_u32_e32 v10, 28, v16
	v_lshlrev_b64 v[10:11], v10, v[2:3]
	v_lshrrev_b32_e32 v13, 3, v6
	v_sub_u32_e32 v11, 29, v16
	v_and_b32_e32 v10, 7, v10
	v_cmp_gt_u32_e32 vcc, 8, v6
	v_cndmask_b32_e32 v6, v13, v11, vcc
	v_cndmask_b32_e32 v10, v12, v10, vcc
	v_lshlrev_b32_e32 v2, 24, v2
	v_bfrev_b32_e32 v11, 60
	v_lshlrev_b32_e32 v10, 20, v10
	v_and_b32_e32 v2, 0x80000000, v2
	v_lshl_add_u32 v6, v6, 23, v11
	v_or3_b32 v2, v2, v6, v10
	v_lshrrev_b32_e32 v10, 16, v2
.LBB677_756:
	s_or_b64 exec, exec, s[8:9]
.LBB677_757:
	s_or_b64 exec, exec, s[6:7]
.LBB677_758:
	s_or_b64 exec, exec, s[0:1]
	v_mov_b32_e32 v11, 0
	v_mov_b32_e32 v2, v5
	v_cmp_ne_u16_sdwa s[6:7], v5, v11 src0_sel:BYTE_0 src1_sel:DWORD
	v_mov_b32_e32 v12, 0
	s_and_saveexec_b64 s[0:1], s[6:7]
	s_cbranch_execz .LBB677_764
; %bb.759:
	s_movk_i32 s3, 0x80
	v_cmp_ne_u16_sdwa s[8:9], v5, s3 src0_sel:BYTE_0 src1_sel:DWORD
	v_mov_b32_e32 v12, 0xffff8000
	s_and_saveexec_b64 s[6:7], s[8:9]
	s_cbranch_execz .LBB677_763
; %bb.760:
	s_movk_i32 s3, 0x7f
	v_and_b32_e32 v6, 0x7f, v5
	v_cmp_ne_u32_e32 vcc, s3, v6
	v_mov_b32_e32 v12, 0x7f80
	s_and_saveexec_b64 s[8:9], vcc
	s_cbranch_execz .LBB677_762
; %bb.761:
	v_and_b32_e32 v12, 7, v5
	v_ffbh_u32_e32 v12, v12
	v_min_u32_e32 v12, 32, v12
	v_lshrrev_b32_e32 v13, 3, v6
	v_subrev_u32_e32 v16, 28, v12
	v_sub_u32_e32 v12, 29, v12
	v_cmp_gt_u32_e32 vcc, 8, v6
	v_cndmask_b32_e32 v6, v13, v12, vcc
	v_cndmask_b32_e32 v12, 0, v16, vcc
	v_lshlrev_b64 v[12:13], v12, v[2:3]
	v_lshlrev_b32_e32 v3, 20, v12
	v_lshlrev_b32_e32 v12, 24, v2
	v_bfrev_b32_e32 v13, 60
	v_and_b32_e32 v3, 0x700000, v3
	v_and_b32_e32 v12, 0x80000000, v12
	v_lshl_add_u32 v6, v6, 23, v13
	v_or3_b32 v3, v12, v6, v3
	v_lshrrev_b32_e32 v12, 16, v3
.LBB677_762:
	s_or_b64 exec, exec, s[8:9]
.LBB677_763:
	s_or_b64 exec, exec, s[6:7]
.LBB677_764:
	s_or_b64 exec, exec, s[0:1]
	v_lshrrev_b16_e32 v6, 8, v2
	v_cmp_ne_u16_e32 vcc, 0, v6
	s_and_saveexec_b64 s[0:1], vcc
	s_cbranch_execz .LBB677_770
; %bb.765:
	s_movk_i32 s3, 0x80
	v_cmp_ne_u16_e32 vcc, s3, v6
	v_mov_b32_e32 v11, 0xffff8000
	s_and_saveexec_b64 s[6:7], vcc
	s_cbranch_execz .LBB677_769
; %bb.766:
	s_movk_i32 s3, 0x7f
	v_and_b32_e32 v3, 0x7f, v6
	v_cmp_ne_u32_e32 vcc, s3, v3
	v_mov_b32_e32 v11, 0x7f80
	s_and_saveexec_b64 s[8:9], vcc
	s_cbranch_execz .LBB677_768
; %bb.767:
	v_and_b32_e32 v11, 7, v6
	v_ffbh_u32_e32 v16, v11
	v_min_u32_e32 v18, 32, v16
	v_subrev_u32_e32 v16, 28, v18
	v_lshlrev_b64 v[16:17], v16, v[6:7]
	v_lshrrev_b32_e32 v13, 3, v3
	v_sub_u32_e32 v6, 29, v18
	v_and_b32_e32 v16, 7, v16
	v_cmp_gt_u32_e32 vcc, 8, v3
	v_cndmask_b32_e32 v3, v13, v6, vcc
	v_cndmask_b32_e32 v6, v11, v16, vcc
	v_lshlrev_b32_e32 v2, 16, v2
	v_bfrev_b32_e32 v11, 60
	v_lshlrev_b32_e32 v6, 20, v6
	v_and_b32_e32 v2, 0x80000000, v2
	v_lshl_add_u32 v3, v3, 23, v11
	v_or3_b32 v2, v2, v3, v6
	v_lshrrev_b32_e32 v11, 16, v2
.LBB677_768:
	s_or_b64 exec, exec, s[8:9]
.LBB677_769:
	s_or_b64 exec, exec, s[6:7]
.LBB677_770:
	s_or_b64 exec, exec, s[0:1]
	s_movk_i32 s0, 0xff
	v_and_b32_sdwa v13, v5, s0 dst_sel:DWORD dst_unused:UNUSED_PAD src0_sel:WORD_1 src1_sel:DWORD
	v_lshrrev_b32_e32 v2, 16, v5
	v_cmp_ne_u16_e32 vcc, 0, v13
	v_mov_b32_e32 v3, 0
	v_mov_b32_e32 v6, 0
	s_and_saveexec_b64 s[0:1], vcc
	s_cbranch_execz .LBB677_776
; %bb.771:
	s_movk_i32 s3, 0x80
	v_cmp_ne_u16_e32 vcc, s3, v13
	v_mov_b32_e32 v6, 0xffff8000
	s_and_saveexec_b64 s[6:7], vcc
	s_cbranch_execz .LBB677_775
; %bb.772:
	v_bfe_u32 v13, v5, 16, 7
	s_movk_i32 s3, 0x7f
	v_cmp_ne_u32_e32 vcc, s3, v13
	v_mov_b32_e32 v6, 0x7f80
	s_and_saveexec_b64 s[8:9], vcc
	s_cbranch_execz .LBB677_774
; %bb.773:
	v_and_b32_e32 v6, 7, v2
	v_ffbh_u32_e32 v16, v6
	v_min_u32_e32 v19, 32, v16
	v_subrev_u32_e32 v16, 28, v19
	v_lshlrev_b64 v[16:17], v16, v[2:3]
	v_lshrrev_b32_e32 v18, 3, v13
	v_sub_u32_e32 v2, 29, v19
	v_and_b32_e32 v16, 7, v16
	v_cmp_gt_u32_e32 vcc, 8, v13
	v_mov_b32_e32 v13, 24
	v_cndmask_b32_e32 v2, v18, v2, vcc
	v_cndmask_b32_e32 v6, v6, v16, vcc
	v_lshlrev_b32_sdwa v13, v13, v5 dst_sel:DWORD dst_unused:UNUSED_PAD src0_sel:DWORD src1_sel:WORD_1
	v_bfrev_b32_e32 v16, 60
	v_lshlrev_b32_e32 v6, 20, v6
	v_and_b32_e32 v13, 0x80000000, v13
	v_lshl_add_u32 v2, v2, 23, v16
	v_or3_b32 v2, v13, v2, v6
	v_lshrrev_b32_e32 v6, 16, v2
.LBB677_774:
	s_or_b64 exec, exec, s[8:9]
.LBB677_775:
	s_or_b64 exec, exec, s[6:7]
.LBB677_776:
	s_or_b64 exec, exec, s[0:1]
	s_mov_b32 s0, -1
	s_mov_b32 s1, 0xffffff
	v_cmp_lt_u64_e32 vcc, s[0:1], v[4:5]
	s_and_saveexec_b64 s[0:1], vcc
	s_cbranch_execz .LBB677_782
; %bb.777:
	v_lshrrev_b32_e32 v2, 24, v5
	s_movk_i32 s3, 0x80
	v_cmp_ne_u32_e32 vcc, s3, v2
	v_mov_b32_e32 v3, 0xffff8000
	s_and_saveexec_b64 s[6:7], vcc
	s_cbranch_execz .LBB677_781
; %bb.778:
	v_bfe_u32 v4, v5, 24, 7
	s_movk_i32 s3, 0x7f
	v_cmp_ne_u32_e32 vcc, s3, v4
	v_mov_b32_e32 v3, 0x7f80
	s_and_saveexec_b64 s[8:9], vcc
	s_cbranch_execz .LBB677_780
; %bb.779:
	v_and_b32_e32 v3, 7, v2
	v_ffbh_u32_e32 v13, v3
	v_min_u32_e32 v13, 32, v13
	v_subrev_u32_e32 v16, 28, v13
	v_lshlrev_b64 v[16:17], v16, v[2:3]
	v_lshrrev_b32_e32 v5, 3, v4
	v_sub_u32_e32 v13, 29, v13
	v_and_b32_e32 v16, 7, v16
	v_cmp_gt_u32_e32 vcc, 8, v4
	v_cndmask_b32_e32 v4, v5, v13, vcc
	v_cndmask_b32_e32 v3, v3, v16, vcc
	v_lshlrev_b32_e32 v2, 24, v2
	v_bfrev_b32_e32 v5, 60
	v_lshlrev_b32_e32 v3, 20, v3
	v_and_b32_e32 v2, 0x80000000, v2
	v_lshl_add_u32 v4, v4, 23, v5
	v_or3_b32 v2, v2, v4, v3
	v_lshrrev_b32_e32 v3, 16, v2
.LBB677_780:
	s_or_b64 exec, exec, s[8:9]
.LBB677_781:
	s_or_b64 exec, exec, s[6:7]
.LBB677_782:
	s_or_b64 exec, exec, s[0:1]
	s_mov_b32 s0, 0x5040100
	v_perm_b32 v5, v10, v9, s0
	v_perm_b32 v4, v7, v8, s0
	;; [unrolled: 1-line block ×4, first 2 shown]
	v_mfma_f32_4x4x4bf16_1k a[0:3], v[14:15], v[4:5], a[0:3] cbsz:4 abid:14
	s_load_dword s0, s[14:15], 0x0
	v_mfma_f32_4x4x4bf16_1k a[0:3], v[14:15], v[2:3], a[0:3] cbsz:4 abid:15
	s_nop 4
	v_accvgpr_read_b32 v5, a1
	v_accvgpr_read_b32 v4, a0
	;; [unrolled: 1-line block ×4, first 2 shown]
	s_waitcnt lgkmcnt(0)
	v_pk_mul_f32 v[4:5], v[4:5], s[0:1] op_sel_hi:[1,0]
	v_pk_mul_f32 v[2:3], v[2:3], s[0:1] op_sel_hi:[1,0]
	v_bfe_u32 v6, v5, 16, 1
	v_bfe_u32 v7, v4, 16, 1
	s_movk_i32 s0, 0x7fff
	v_add3_u32 v4, v4, v7, s0
	v_add3_u32 v5, v5, v6, s0
	v_bfe_u32 v6, v3, 16, 1
	v_bfe_u32 v7, v2, 16, 1
	v_add3_u32 v2, v2, v7, s0
	v_add3_u32 v3, v3, v6, s0
	s_mov_b32 s0, 0x7060302
	v_perm_b32 v23, v3, v2, s0
	v_perm_b32 v22, v5, v4, s0
.LBB677_783:
	s_or_b64 exec, exec, s[4:5]
	v_lshlrev_b32_e32 v1, 3, v1
	v_mad_u32_u24 v1, v43, 40, v1
	v_cmp_gt_u32_e32 vcc, 64, v0
	ds_write_b64 v1, v[22:23]
	s_waitcnt lgkmcnt(0)
	s_barrier
	s_and_saveexec_b64 s[0:1], vcc
	s_cbranch_execz .LBB677_785
; %bb.784:
	v_mul_u32_u24_e32 v1, 40, v43
	s_waitcnt vmcnt(2)
	ds_read2_b64 v[2:5], v1 offset1:1
	ds_read2_b64 v[6:9], v1 offset0:2 offset1:3
	s_mov_b32 s1, 0
	s_lshl_b32 s0, s2, 6
	s_lshl_b64 s[2:3], s[0:1], 1
	s_waitcnt lgkmcnt(1)
	v_lshlrev_b32_e32 v1, 16, v2
	v_and_b32_e32 v2, 0xffff0000, v2
	v_add_f32_e32 v1, 0, v1
	v_add_f32_e32 v2, 0, v2
	v_lshlrev_b32_e32 v10, 16, v3
	v_and_b32_e32 v3, 0xffff0000, v3
	v_and_b32_e32 v1, 0xffff0000, v1
	;; [unrolled: 1-line block ×3, first 2 shown]
	v_add_f32_e32 v3, 0, v3
	v_lshlrev_b32_e32 v11, 16, v4
	v_and_b32_e32 v4, 0xffff0000, v4
	v_add_f32_e32 v10, 0, v10
	v_and_b32_e32 v3, 0xffff0000, v3
	v_add_f32_e32 v1, v1, v11
	v_add_f32_e32 v2, v2, v4
	v_lshlrev_b32_e32 v4, 16, v5
	v_and_b32_e32 v5, 0xffff0000, v5
	v_and_b32_e32 v10, 0xffff0000, v10
	;; [unrolled: 1-line block ×3, first 2 shown]
	v_add_f32_e32 v3, v3, v5
	s_waitcnt lgkmcnt(0)
	v_lshlrev_b32_e32 v5, 16, v6
	v_and_b32_e32 v2, 0xffff0000, v2
	v_add_f32_e32 v4, v10, v4
	v_add_f32_e32 v1, v1, v5
	v_and_b32_e32 v5, 0xffff0000, v6
	v_and_b32_e32 v4, 0xffff0000, v4
	v_add_f32_e32 v2, v2, v5
	v_lshlrev_b32_e32 v5, 16, v7
	s_add_u32 s2, s28, s2
	v_and_b32_e32 v3, 0xffff0000, v3
	v_add_f32_e32 v4, v4, v5
	v_and_b32_e32 v5, 0xffff0000, v7
	s_addc_u32 s3, s29, s3
	s_lshl_b32 s0, s10, 6
	v_and_b32_e32 v1, 0xffff0000, v1
	v_add_f32_e32 v3, v3, v5
	v_lshlrev_b32_e32 v5, 16, v8
	s_lshl_b64 s[0:1], s[0:1], 1
	v_and_b32_e32 v2, 0xffff0000, v2
	v_add_f32_e32 v1, v1, v5
	v_and_b32_e32 v5, 0xffff0000, v8
	s_add_u32 s0, s2, s0
	v_and_b32_e32 v4, 0xffff0000, v4
	v_add_f32_e32 v6, v2, v5
	v_lshlrev_b32_e32 v2, 16, v9
	s_addc_u32 s1, s3, s1
	s_lshl_b32 s2, s44, 6
	v_and_b32_e32 v3, 0xffff0000, v3
	v_add_f32_e32 v7, v4, v2
	v_and_b32_e32 v2, 0xffff0000, v9
	s_mul_i32 s3, s2, s33
	v_add_f32_e32 v8, v3, v2
	v_or_b32_e32 v2, s3, v0
	v_mov_b32_e32 v3, 0
	v_lshlrev_b64 v[4:5], 1, v[2:3]
	v_mov_b32_e32 v2, s1
	v_add_co_u32_e32 v4, vcc, s0, v4
	s_add_i32 s3, s3, s2
	v_addc_co_u32_e32 v5, vcc, v2, v5, vcc
	v_or_b32_e32 v2, s3, v0
	global_store_short_d16_hi v[4:5], v1, off
	v_lshlrev_b64 v[4:5], 1, v[2:3]
	v_mov_b32_e32 v1, s1
	v_add_co_u32_e32 v4, vcc, s0, v4
	s_add_i32 s3, s3, s2
	v_addc_co_u32_e32 v5, vcc, v1, v5, vcc
	v_or_b32_e32 v2, s3, v0
	global_store_short_d16_hi v[4:5], v6, off
	v_lshlrev_b64 v[4:5], 1, v[2:3]
	s_add_i32 s3, s3, s2
	v_add_co_u32_e32 v4, vcc, s0, v4
	v_or_b32_e32 v2, s3, v0
	v_addc_co_u32_e32 v5, vcc, v1, v5, vcc
	v_lshlrev_b64 v[0:1], 1, v[2:3]
	v_mov_b32_e32 v2, s1
	v_add_co_u32_e32 v0, vcc, s0, v0
	v_addc_co_u32_e32 v1, vcc, v2, v1, vcc
	global_store_short_d16_hi v[4:5], v7, off
	global_store_short_d16_hi v[0:1], v8, off
.LBB677_785:
	s_endpgm
.LBB677_786:
	s_mov_b64 s[12:13], 0
                                        ; implicit-def: $sgpr36_sgpr37
	s_branch .LBB677_2
	.section	.rodata,"a",@progbits
	.p2align	6, 0x0
	.amdhsa_kernel _Z38paged_attention_ll4mi_QKV_mfma4_kernelI14__hip_bfloat16hLN4vllm18Fp8KVCacheDataTypeE1ES0_Li16ELi64ELi256ELb1ELi4EEvPKT_PKT0_S8_ifPKiSA_SA_iPKfiiiPfSD_PS3_PT2_iSC_SC_
		.amdhsa_group_segment_fixed_size 2720
		.amdhsa_private_segment_fixed_size 0
		.amdhsa_kernarg_size 400
		.amdhsa_user_sgpr_count 6
		.amdhsa_user_sgpr_private_segment_buffer 1
		.amdhsa_user_sgpr_dispatch_ptr 0
		.amdhsa_user_sgpr_queue_ptr 0
		.amdhsa_user_sgpr_kernarg_segment_ptr 1
		.amdhsa_user_sgpr_dispatch_id 0
		.amdhsa_user_sgpr_flat_scratch_init 0
		.amdhsa_user_sgpr_kernarg_preload_length 0
		.amdhsa_user_sgpr_kernarg_preload_offset 0
		.amdhsa_user_sgpr_private_segment_size 0
		.amdhsa_uses_dynamic_stack 0
		.amdhsa_system_sgpr_private_segment_wavefront_offset 0
		.amdhsa_system_sgpr_workgroup_id_x 1
		.amdhsa_system_sgpr_workgroup_id_y 1
		.amdhsa_system_sgpr_workgroup_id_z 1
		.amdhsa_system_sgpr_workgroup_info 0
		.amdhsa_system_vgpr_workitem_id 0
		.amdhsa_next_free_vgpr 64
		.amdhsa_next_free_sgpr 45
		.amdhsa_accum_offset 60
		.amdhsa_reserve_vcc 1
		.amdhsa_reserve_flat_scratch 0
		.amdhsa_float_round_mode_32 0
		.amdhsa_float_round_mode_16_64 0
		.amdhsa_float_denorm_mode_32 3
		.amdhsa_float_denorm_mode_16_64 3
		.amdhsa_dx10_clamp 1
		.amdhsa_ieee_mode 1
		.amdhsa_fp16_overflow 0
		.amdhsa_tg_split 0
		.amdhsa_exception_fp_ieee_invalid_op 0
		.amdhsa_exception_fp_denorm_src 0
		.amdhsa_exception_fp_ieee_div_zero 0
		.amdhsa_exception_fp_ieee_overflow 0
		.amdhsa_exception_fp_ieee_underflow 0
		.amdhsa_exception_fp_ieee_inexact 0
		.amdhsa_exception_int_div_zero 0
	.end_amdhsa_kernel
	.section	.text._Z38paged_attention_ll4mi_QKV_mfma4_kernelI14__hip_bfloat16hLN4vllm18Fp8KVCacheDataTypeE1ES0_Li16ELi64ELi256ELb1ELi4EEvPKT_PKT0_S8_ifPKiSA_SA_iPKfiiiPfSD_PS3_PT2_iSC_SC_,"axG",@progbits,_Z38paged_attention_ll4mi_QKV_mfma4_kernelI14__hip_bfloat16hLN4vllm18Fp8KVCacheDataTypeE1ES0_Li16ELi64ELi256ELb1ELi4EEvPKT_PKT0_S8_ifPKiSA_SA_iPKfiiiPfSD_PS3_PT2_iSC_SC_,comdat
.Lfunc_end677:
	.size	_Z38paged_attention_ll4mi_QKV_mfma4_kernelI14__hip_bfloat16hLN4vllm18Fp8KVCacheDataTypeE1ES0_Li16ELi64ELi256ELb1ELi4EEvPKT_PKT0_S8_ifPKiSA_SA_iPKfiiiPfSD_PS3_PT2_iSC_SC_, .Lfunc_end677-_Z38paged_attention_ll4mi_QKV_mfma4_kernelI14__hip_bfloat16hLN4vllm18Fp8KVCacheDataTypeE1ES0_Li16ELi64ELi256ELb1ELi4EEvPKT_PKT0_S8_ifPKiSA_SA_iPKfiiiPfSD_PS3_PT2_iSC_SC_
                                        ; -- End function
	.section	.AMDGPU.csdata,"",@progbits
; Kernel info:
; codeLenInByte = 27996
; NumSgprs: 49
; NumVgprs: 57
; NumAgprs: 4
; TotalNumVgprs: 64
; ScratchSize: 0
; MemoryBound: 0
; FloatMode: 240
; IeeeMode: 1
; LDSByteSize: 2720 bytes/workgroup (compile time only)
; SGPRBlocks: 6
; VGPRBlocks: 7
; NumSGPRsForWavesPerEU: 49
; NumVGPRsForWavesPerEU: 64
; AccumOffset: 60
; Occupancy: 8
; WaveLimiterHint : 1
; COMPUTE_PGM_RSRC2:SCRATCH_EN: 0
; COMPUTE_PGM_RSRC2:USER_SGPR: 6
; COMPUTE_PGM_RSRC2:TRAP_HANDLER: 0
; COMPUTE_PGM_RSRC2:TGID_X_EN: 1
; COMPUTE_PGM_RSRC2:TGID_Y_EN: 1
; COMPUTE_PGM_RSRC2:TGID_Z_EN: 1
; COMPUTE_PGM_RSRC2:TIDIG_COMP_CNT: 0
; COMPUTE_PGM_RSRC3_GFX90A:ACCUM_OFFSET: 14
; COMPUTE_PGM_RSRC3_GFX90A:TG_SPLIT: 0
	.section	.text._Z39paged_attention_ll4mi_QKV_mfma16_kernelI14__hip_bfloat16hLN4vllm18Fp8KVCacheDataTypeE1ES0_Li16ELi64ELi256ELb1ELi5EL8MFMAType1EEvPKT_PKT0_S9_ifPKiSB_SB_iPKfiiiPfSE_PS4_PT2_iSD_SD_,"axG",@progbits,_Z39paged_attention_ll4mi_QKV_mfma16_kernelI14__hip_bfloat16hLN4vllm18Fp8KVCacheDataTypeE1ES0_Li16ELi64ELi256ELb1ELi5EL8MFMAType1EEvPKT_PKT0_S9_ifPKiSB_SB_iPKfiiiPfSE_PS4_PT2_iSD_SD_,comdat
	.protected	_Z39paged_attention_ll4mi_QKV_mfma16_kernelI14__hip_bfloat16hLN4vllm18Fp8KVCacheDataTypeE1ES0_Li16ELi64ELi256ELb1ELi5EL8MFMAType1EEvPKT_PKT0_S9_ifPKiSB_SB_iPKfiiiPfSE_PS4_PT2_iSD_SD_ ; -- Begin function _Z39paged_attention_ll4mi_QKV_mfma16_kernelI14__hip_bfloat16hLN4vllm18Fp8KVCacheDataTypeE1ES0_Li16ELi64ELi256ELb1ELi5EL8MFMAType1EEvPKT_PKT0_S9_ifPKiSB_SB_iPKfiiiPfSE_PS4_PT2_iSD_SD_
	.globl	_Z39paged_attention_ll4mi_QKV_mfma16_kernelI14__hip_bfloat16hLN4vllm18Fp8KVCacheDataTypeE1ES0_Li16ELi64ELi256ELb1ELi5EL8MFMAType1EEvPKT_PKT0_S9_ifPKiSB_SB_iPKfiiiPfSE_PS4_PT2_iSD_SD_
	.p2align	8
	.type	_Z39paged_attention_ll4mi_QKV_mfma16_kernelI14__hip_bfloat16hLN4vllm18Fp8KVCacheDataTypeE1ES0_Li16ELi64ELi256ELb1ELi5EL8MFMAType1EEvPKT_PKT0_S9_ifPKiSB_SB_iPKfiiiPfSE_PS4_PT2_iSD_SD_,@function
_Z39paged_attention_ll4mi_QKV_mfma16_kernelI14__hip_bfloat16hLN4vllm18Fp8KVCacheDataTypeE1ES0_Li16ELi64ELi256ELb1ELi5EL8MFMAType1EEvPKT_PKT0_S9_ifPKiSB_SB_iPKfiiiPfSE_PS4_PT2_iSD_SD_: ; @_Z39paged_attention_ll4mi_QKV_mfma16_kernelI14__hip_bfloat16hLN4vllm18Fp8KVCacheDataTypeE1ES0_Li16ELi64ELi256ELb1ELi5EL8MFMAType1EEvPKT_PKT0_S9_ifPKiSB_SB_iPKfiiiPfSE_PS4_PT2_iSD_SD_
; %bb.0:
	s_load_dwordx2 s[12:13], s[4:5], 0x30
	s_add_u32 flat_scratch_lo, s6, s11
	s_addc_u32 flat_scratch_hi, s7, 0
	s_add_u32 s0, s0, s11
	s_addc_u32 s1, s1, 0
	s_waitcnt lgkmcnt(0)
	s_cmp_lg_u64 s[12:13], 0
	s_cselect_b64 s[14:15], -1, 0
	s_mov_b32 s6, s9
	s_mov_b64 s[16:17], 0
	s_and_b64 vcc, exec, s[14:15]
	s_mov_b32 s32, 0
	s_cbranch_vccz .LBB678_11
; %bb.1:
	s_add_i32 s18, s8, 1
	s_mov_b32 s19, 0
	s_lshl_b64 s[20:21], s[18:19], 2
	s_add_u32 s20, s12, s20
	s_mov_b32 s9, s19
	s_addc_u32 s21, s13, s21
	s_lshl_b64 s[18:19], s[8:9], 2
	s_add_u32 s18, s12, s18
	s_addc_u32 s19, s13, s19
	s_load_dword s7, s[20:21], 0x0
	s_load_dword s11, s[18:19], 0x0
	s_waitcnt lgkmcnt(0)
	s_sub_i32 s7, s7, s11
	s_cmp_eq_u32 s7, 1
	s_cselect_b64 s[18:19], -1, 0
	s_andn2_b64 vcc, exec, s[16:17]
	s_cbranch_vccnz .LBB678_3
.LBB678_2:
	s_mov_b32 s9, 0
	s_mov_b64 s[18:19], -1
.LBB678_3:
	s_andn2_b64 vcc, exec, s[18:19]
	s_cbranch_vccnz .LBB678_10
; %bb.4:
	s_load_dwordx2 s[18:19], s[4:5], 0x28
	s_lshl_b64 s[16:17], s[8:9], 2
	s_waitcnt lgkmcnt(0)
	s_add_u32 s18, s18, s16
	s_addc_u32 s19, s19, s17
	s_load_dword s7, s[18:19], 0x0
	s_lshl_b32 s6, s6, 8
	s_waitcnt lgkmcnt(0)
	s_cmp_ge_i32 s6, s7
	s_cbranch_scc1 .LBB678_10
; %bb.5:
	s_andn2_b64 vcc, exec, s[14:15]
	s_cbranch_vccnz .LBB678_7
; %bb.6:
	s_add_u32 s6, s12, s16
	s_addc_u32 s7, s13, s17
	s_load_dword s8, s[6:7], 0x0
.LBB678_7:
	v_and_b32_e32 v1, 15, v0
	s_movk_i32 s6, 0x50
	v_cmp_gt_u32_e32 vcc, s6, v0
	v_cmp_gt_u32_e64 s[6:7], 8, v1
	s_and_b64 s[12:13], s[6:7], vcc
	s_and_saveexec_b64 s[6:7], s[12:13]
	s_cbranch_execz .LBB678_9
; %bb.8:
	s_load_dword s11, s[4:5], 0x48
	s_load_dwordx2 s[12:13], s[4:5], 0x0
	v_lshrrev_b32_e32 v6, 4, v0
	s_mul_i32 s10, s10, 5
	v_add_lshl_u32 v2, v6, s10, 6
	s_waitcnt lgkmcnt(0)
	s_ashr_i32 s9, s11, 31
	s_mul_hi_u32 s14, s8, s11
	s_mul_i32 s9, s8, s9
	s_add_i32 s9, s14, s9
	s_mul_i32 s8, s8, s11
	s_lshl_b64 s[8:9], s[8:9], 1
	s_add_u32 s8, s12, s8
	v_ashrrev_i32_e32 v3, 31, v2
	s_addc_u32 s9, s13, s9
	v_lshlrev_b64 v[2:3], 1, v[2:3]
	v_mov_b32_e32 v4, s9
	v_add_co_u32_e32 v2, vcc, s8, v2
	v_addc_co_u32_e32 v3, vcc, v4, v3, vcc
	v_lshlrev_b32_e32 v4, 4, v1
	v_add_co_u32_e32 v2, vcc, v2, v4
	v_addc_co_u32_e32 v3, vcc, 0, v3, vcc
	global_load_dwordx4 v[2:5], v[2:3], off
	v_lshlrev_b32_e32 v0, 4, v0
	v_lshlrev_b32_e32 v1, 8, v1
	v_and_b32_e32 v0, 16, v0
	v_lshlrev_b32_e32 v6, 5, v6
	v_and_b32_e32 v1, 0xe00, v1
	v_or3_b32 v0, v1, v6, v0
	s_waitcnt vmcnt(0)
	ds_write_b128 v0, v[2:5]
.LBB678_9:
	s_or_b64 exec, exec, s[6:7]
	s_waitcnt lgkmcnt(0)
	s_add_u32 s8, s4, 0x90
	s_addc_u32 s9, s5, 0
	s_getpc_b64 s[4:5]
	s_add_u32 s4, s4, __PRETTY_FUNCTION__._Z39paged_attention_ll4mi_QKV_mfma16_kernelI14__hip_bfloat16hLN4vllm18Fp8KVCacheDataTypeE1ES0_Li16ELi64ELi256ELb1ELi5EL8MFMAType1EEvPKT_PKT0_S9_ifPKiSB_SB_iPKfiiiPfSE_PS4_PT2_iSD_SD_@rel32@lo+4
	s_addc_u32 s5, s5, __PRETTY_FUNCTION__._Z39paged_attention_ll4mi_QKV_mfma16_kernelI14__hip_bfloat16hLN4vllm18Fp8KVCacheDataTypeE1ES0_Li16ELi64ELi256ELb1ELi5EL8MFMAType1EEvPKT_PKT0_S9_ifPKiSB_SB_iPKfiiiPfSE_PS4_PT2_iSD_SD_@rel32@hi+12
	v_mov_b32_e32 v0, 0x288
	v_mov_b32_e32 v1, s4
	;; [unrolled: 1-line block ×3, first 2 shown]
	s_barrier
	s_getpc_b64 s[6:7]
	s_add_u32 s6, s6, __assert_fail@rel32@lo+4
	s_addc_u32 s7, s7, __assert_fail@rel32@hi+12
	s_swappc_b64 s[30:31], s[6:7]
	; divergent unreachable
.LBB678_10:
	s_endpgm
.LBB678_11:
	s_mov_b64 s[18:19], 0
	s_branch .LBB678_2
	.section	.rodata,"a",@progbits
	.p2align	6, 0x0
	.amdhsa_kernel _Z39paged_attention_ll4mi_QKV_mfma16_kernelI14__hip_bfloat16hLN4vllm18Fp8KVCacheDataTypeE1ES0_Li16ELi64ELi256ELb1ELi5EL8MFMAType1EEvPKT_PKT0_S9_ifPKiSB_SB_iPKfiiiPfSE_PS4_PT2_iSD_SD_
		.amdhsa_group_segment_fixed_size 8192
		.amdhsa_private_segment_fixed_size 64
		.amdhsa_kernarg_size 400
		.amdhsa_user_sgpr_count 8
		.amdhsa_user_sgpr_private_segment_buffer 1
		.amdhsa_user_sgpr_dispatch_ptr 0
		.amdhsa_user_sgpr_queue_ptr 0
		.amdhsa_user_sgpr_kernarg_segment_ptr 1
		.amdhsa_user_sgpr_dispatch_id 0
		.amdhsa_user_sgpr_flat_scratch_init 1
		.amdhsa_user_sgpr_kernarg_preload_length 0
		.amdhsa_user_sgpr_kernarg_preload_offset 0
		.amdhsa_user_sgpr_private_segment_size 0
		.amdhsa_uses_dynamic_stack 0
		.amdhsa_system_sgpr_private_segment_wavefront_offset 1
		.amdhsa_system_sgpr_workgroup_id_x 1
		.amdhsa_system_sgpr_workgroup_id_y 1
		.amdhsa_system_sgpr_workgroup_id_z 1
		.amdhsa_system_sgpr_workgroup_info 0
		.amdhsa_system_vgpr_workitem_id 0
		.amdhsa_next_free_vgpr 45
		.amdhsa_next_free_sgpr 34
		.amdhsa_accum_offset 44
		.amdhsa_reserve_vcc 1
		.amdhsa_reserve_flat_scratch 1
		.amdhsa_float_round_mode_32 0
		.amdhsa_float_round_mode_16_64 0
		.amdhsa_float_denorm_mode_32 3
		.amdhsa_float_denorm_mode_16_64 3
		.amdhsa_dx10_clamp 1
		.amdhsa_ieee_mode 1
		.amdhsa_fp16_overflow 0
		.amdhsa_tg_split 0
		.amdhsa_exception_fp_ieee_invalid_op 0
		.amdhsa_exception_fp_denorm_src 0
		.amdhsa_exception_fp_ieee_div_zero 0
		.amdhsa_exception_fp_ieee_overflow 0
		.amdhsa_exception_fp_ieee_underflow 0
		.amdhsa_exception_fp_ieee_inexact 0
		.amdhsa_exception_int_div_zero 0
	.end_amdhsa_kernel
	.section	.text._Z39paged_attention_ll4mi_QKV_mfma16_kernelI14__hip_bfloat16hLN4vllm18Fp8KVCacheDataTypeE1ES0_Li16ELi64ELi256ELb1ELi5EL8MFMAType1EEvPKT_PKT0_S9_ifPKiSB_SB_iPKfiiiPfSE_PS4_PT2_iSD_SD_,"axG",@progbits,_Z39paged_attention_ll4mi_QKV_mfma16_kernelI14__hip_bfloat16hLN4vllm18Fp8KVCacheDataTypeE1ES0_Li16ELi64ELi256ELb1ELi5EL8MFMAType1EEvPKT_PKT0_S9_ifPKiSB_SB_iPKfiiiPfSE_PS4_PT2_iSD_SD_,comdat
.Lfunc_end678:
	.size	_Z39paged_attention_ll4mi_QKV_mfma16_kernelI14__hip_bfloat16hLN4vllm18Fp8KVCacheDataTypeE1ES0_Li16ELi64ELi256ELb1ELi5EL8MFMAType1EEvPKT_PKT0_S9_ifPKiSB_SB_iPKfiiiPfSE_PS4_PT2_iSD_SD_, .Lfunc_end678-_Z39paged_attention_ll4mi_QKV_mfma16_kernelI14__hip_bfloat16hLN4vllm18Fp8KVCacheDataTypeE1ES0_Li16ELi64ELi256ELb1ELi5EL8MFMAType1EEvPKT_PKT0_S9_ifPKiSB_SB_iPKfiiiPfSE_PS4_PT2_iSD_SD_
                                        ; -- End function
	.section	.AMDGPU.csdata,"",@progbits
; Kernel info:
; codeLenInByte = 504
; NumSgprs: 40
; NumVgprs: 42
; NumAgprs: 1
; TotalNumVgprs: 45
; ScratchSize: 64
; MemoryBound: 0
; FloatMode: 240
; IeeeMode: 1
; LDSByteSize: 8192 bytes/workgroup (compile time only)
; SGPRBlocks: 4
; VGPRBlocks: 5
; NumSGPRsForWavesPerEU: 40
; NumVGPRsForWavesPerEU: 45
; AccumOffset: 44
; Occupancy: 8
; WaveLimiterHint : 1
; COMPUTE_PGM_RSRC2:SCRATCH_EN: 1
; COMPUTE_PGM_RSRC2:USER_SGPR: 8
; COMPUTE_PGM_RSRC2:TRAP_HANDLER: 0
; COMPUTE_PGM_RSRC2:TGID_X_EN: 1
; COMPUTE_PGM_RSRC2:TGID_Y_EN: 1
; COMPUTE_PGM_RSRC2:TGID_Z_EN: 1
; COMPUTE_PGM_RSRC2:TIDIG_COMP_CNT: 0
; COMPUTE_PGM_RSRC3_GFX90A:ACCUM_OFFSET: 10
; COMPUTE_PGM_RSRC3_GFX90A:TG_SPLIT: 0
	.section	.text._Z39paged_attention_ll4mi_QKV_mfma16_kernelI14__hip_bfloat16hLN4vllm18Fp8KVCacheDataTypeE1ES0_Li16ELi64ELi256ELb1ELi6EL8MFMAType1EEvPKT_PKT0_S9_ifPKiSB_SB_iPKfiiiPfSE_PS4_PT2_iSD_SD_,"axG",@progbits,_Z39paged_attention_ll4mi_QKV_mfma16_kernelI14__hip_bfloat16hLN4vllm18Fp8KVCacheDataTypeE1ES0_Li16ELi64ELi256ELb1ELi6EL8MFMAType1EEvPKT_PKT0_S9_ifPKiSB_SB_iPKfiiiPfSE_PS4_PT2_iSD_SD_,comdat
	.protected	_Z39paged_attention_ll4mi_QKV_mfma16_kernelI14__hip_bfloat16hLN4vllm18Fp8KVCacheDataTypeE1ES0_Li16ELi64ELi256ELb1ELi6EL8MFMAType1EEvPKT_PKT0_S9_ifPKiSB_SB_iPKfiiiPfSE_PS4_PT2_iSD_SD_ ; -- Begin function _Z39paged_attention_ll4mi_QKV_mfma16_kernelI14__hip_bfloat16hLN4vllm18Fp8KVCacheDataTypeE1ES0_Li16ELi64ELi256ELb1ELi6EL8MFMAType1EEvPKT_PKT0_S9_ifPKiSB_SB_iPKfiiiPfSE_PS4_PT2_iSD_SD_
	.globl	_Z39paged_attention_ll4mi_QKV_mfma16_kernelI14__hip_bfloat16hLN4vllm18Fp8KVCacheDataTypeE1ES0_Li16ELi64ELi256ELb1ELi6EL8MFMAType1EEvPKT_PKT0_S9_ifPKiSB_SB_iPKfiiiPfSE_PS4_PT2_iSD_SD_
	.p2align	8
	.type	_Z39paged_attention_ll4mi_QKV_mfma16_kernelI14__hip_bfloat16hLN4vllm18Fp8KVCacheDataTypeE1ES0_Li16ELi64ELi256ELb1ELi6EL8MFMAType1EEvPKT_PKT0_S9_ifPKiSB_SB_iPKfiiiPfSE_PS4_PT2_iSD_SD_,@function
_Z39paged_attention_ll4mi_QKV_mfma16_kernelI14__hip_bfloat16hLN4vllm18Fp8KVCacheDataTypeE1ES0_Li16ELi64ELi256ELb1ELi6EL8MFMAType1EEvPKT_PKT0_S9_ifPKiSB_SB_iPKfiiiPfSE_PS4_PT2_iSD_SD_: ; @_Z39paged_attention_ll4mi_QKV_mfma16_kernelI14__hip_bfloat16hLN4vllm18Fp8KVCacheDataTypeE1ES0_Li16ELi64ELi256ELb1ELi6EL8MFMAType1EEvPKT_PKT0_S9_ifPKiSB_SB_iPKfiiiPfSE_PS4_PT2_iSD_SD_
; %bb.0:
	s_load_dwordx2 s[12:13], s[4:5], 0x30
	s_add_u32 flat_scratch_lo, s6, s11
	s_addc_u32 flat_scratch_hi, s7, 0
	s_add_u32 s0, s0, s11
	s_addc_u32 s1, s1, 0
	s_waitcnt lgkmcnt(0)
	s_cmp_lg_u64 s[12:13], 0
	s_cselect_b64 s[14:15], -1, 0
	s_mov_b32 s6, s9
	s_mov_b64 s[16:17], 0
	s_and_b64 vcc, exec, s[14:15]
	s_mov_b32 s32, 0
	s_cbranch_vccz .LBB679_11
; %bb.1:
	s_add_i32 s18, s8, 1
	s_mov_b32 s19, 0
	s_lshl_b64 s[20:21], s[18:19], 2
	s_add_u32 s20, s12, s20
	s_mov_b32 s9, s19
	s_addc_u32 s21, s13, s21
	s_lshl_b64 s[18:19], s[8:9], 2
	s_add_u32 s18, s12, s18
	s_addc_u32 s19, s13, s19
	s_load_dword s7, s[20:21], 0x0
	s_load_dword s11, s[18:19], 0x0
	s_waitcnt lgkmcnt(0)
	s_sub_i32 s7, s7, s11
	s_cmp_eq_u32 s7, 1
	s_cselect_b64 s[18:19], -1, 0
	s_andn2_b64 vcc, exec, s[16:17]
	s_cbranch_vccnz .LBB679_3
.LBB679_2:
	s_mov_b32 s9, 0
	s_mov_b64 s[18:19], -1
.LBB679_3:
	s_andn2_b64 vcc, exec, s[18:19]
	s_cbranch_vccnz .LBB679_10
; %bb.4:
	s_load_dwordx2 s[18:19], s[4:5], 0x28
	s_lshl_b64 s[16:17], s[8:9], 2
	s_waitcnt lgkmcnt(0)
	s_add_u32 s18, s18, s16
	s_addc_u32 s19, s19, s17
	s_load_dword s7, s[18:19], 0x0
	s_lshl_b32 s6, s6, 8
	s_waitcnt lgkmcnt(0)
	s_cmp_ge_i32 s6, s7
	s_cbranch_scc1 .LBB679_10
; %bb.5:
	s_andn2_b64 vcc, exec, s[14:15]
	s_cbranch_vccnz .LBB679_7
; %bb.6:
	s_add_u32 s6, s12, s16
	s_addc_u32 s7, s13, s17
	s_load_dword s8, s[6:7], 0x0
.LBB679_7:
	v_and_b32_e32 v1, 15, v0
	s_movk_i32 s6, 0x60
	v_cmp_gt_u32_e32 vcc, s6, v0
	v_cmp_gt_u32_e64 s[6:7], 8, v1
	s_and_b64 s[12:13], s[6:7], vcc
	s_and_saveexec_b64 s[6:7], s[12:13]
	s_cbranch_execz .LBB679_9
; %bb.8:
	s_load_dword s11, s[4:5], 0x48
	s_load_dwordx2 s[12:13], s[4:5], 0x0
	v_lshrrev_b32_e32 v6, 4, v0
	s_mul_i32 s10, s10, 6
	v_add_lshl_u32 v2, v6, s10, 6
	s_waitcnt lgkmcnt(0)
	s_ashr_i32 s9, s11, 31
	s_mul_hi_u32 s14, s8, s11
	s_mul_i32 s9, s8, s9
	s_add_i32 s9, s14, s9
	s_mul_i32 s8, s8, s11
	s_lshl_b64 s[8:9], s[8:9], 1
	s_add_u32 s8, s12, s8
	v_ashrrev_i32_e32 v3, 31, v2
	s_addc_u32 s9, s13, s9
	v_lshlrev_b64 v[2:3], 1, v[2:3]
	v_mov_b32_e32 v4, s9
	v_add_co_u32_e32 v2, vcc, s8, v2
	v_addc_co_u32_e32 v3, vcc, v4, v3, vcc
	v_lshlrev_b32_e32 v4, 4, v1
	v_add_co_u32_e32 v2, vcc, v2, v4
	v_addc_co_u32_e32 v3, vcc, 0, v3, vcc
	global_load_dwordx4 v[2:5], v[2:3], off
	v_lshlrev_b32_e32 v0, 4, v0
	v_lshlrev_b32_e32 v1, 8, v1
	v_and_b32_e32 v0, 16, v0
	v_lshlrev_b32_e32 v6, 5, v6
	v_and_b32_e32 v1, 0xe00, v1
	v_or3_b32 v0, v1, v6, v0
	s_waitcnt vmcnt(0)
	ds_write_b128 v0, v[2:5]
.LBB679_9:
	s_or_b64 exec, exec, s[6:7]
	s_waitcnt lgkmcnt(0)
	s_add_u32 s8, s4, 0x90
	s_addc_u32 s9, s5, 0
	s_getpc_b64 s[4:5]
	s_add_u32 s4, s4, __PRETTY_FUNCTION__._Z39paged_attention_ll4mi_QKV_mfma16_kernelI14__hip_bfloat16hLN4vllm18Fp8KVCacheDataTypeE1ES0_Li16ELi64ELi256ELb1ELi6EL8MFMAType1EEvPKT_PKT0_S9_ifPKiSB_SB_iPKfiiiPfSE_PS4_PT2_iSD_SD_@rel32@lo+4
	s_addc_u32 s5, s5, __PRETTY_FUNCTION__._Z39paged_attention_ll4mi_QKV_mfma16_kernelI14__hip_bfloat16hLN4vllm18Fp8KVCacheDataTypeE1ES0_Li16ELi64ELi256ELb1ELi6EL8MFMAType1EEvPKT_PKT0_S9_ifPKiSB_SB_iPKfiiiPfSE_PS4_PT2_iSD_SD_@rel32@hi+12
	v_mov_b32_e32 v0, 0x288
	v_mov_b32_e32 v1, s4
	;; [unrolled: 1-line block ×3, first 2 shown]
	s_barrier
	s_getpc_b64 s[6:7]
	s_add_u32 s6, s6, __assert_fail@rel32@lo+4
	s_addc_u32 s7, s7, __assert_fail@rel32@hi+12
	s_swappc_b64 s[30:31], s[6:7]
	; divergent unreachable
.LBB679_10:
	s_endpgm
.LBB679_11:
	s_mov_b64 s[18:19], 0
	s_branch .LBB679_2
	.section	.rodata,"a",@progbits
	.p2align	6, 0x0
	.amdhsa_kernel _Z39paged_attention_ll4mi_QKV_mfma16_kernelI14__hip_bfloat16hLN4vllm18Fp8KVCacheDataTypeE1ES0_Li16ELi64ELi256ELb1ELi6EL8MFMAType1EEvPKT_PKT0_S9_ifPKiSB_SB_iPKfiiiPfSE_PS4_PT2_iSD_SD_
		.amdhsa_group_segment_fixed_size 8192
		.amdhsa_private_segment_fixed_size 64
		.amdhsa_kernarg_size 400
		.amdhsa_user_sgpr_count 8
		.amdhsa_user_sgpr_private_segment_buffer 1
		.amdhsa_user_sgpr_dispatch_ptr 0
		.amdhsa_user_sgpr_queue_ptr 0
		.amdhsa_user_sgpr_kernarg_segment_ptr 1
		.amdhsa_user_sgpr_dispatch_id 0
		.amdhsa_user_sgpr_flat_scratch_init 1
		.amdhsa_user_sgpr_kernarg_preload_length 0
		.amdhsa_user_sgpr_kernarg_preload_offset 0
		.amdhsa_user_sgpr_private_segment_size 0
		.amdhsa_uses_dynamic_stack 0
		.amdhsa_system_sgpr_private_segment_wavefront_offset 1
		.amdhsa_system_sgpr_workgroup_id_x 1
		.amdhsa_system_sgpr_workgroup_id_y 1
		.amdhsa_system_sgpr_workgroup_id_z 1
		.amdhsa_system_sgpr_workgroup_info 0
		.amdhsa_system_vgpr_workitem_id 0
		.amdhsa_next_free_vgpr 45
		.amdhsa_next_free_sgpr 34
		.amdhsa_accum_offset 44
		.amdhsa_reserve_vcc 1
		.amdhsa_reserve_flat_scratch 1
		.amdhsa_float_round_mode_32 0
		.amdhsa_float_round_mode_16_64 0
		.amdhsa_float_denorm_mode_32 3
		.amdhsa_float_denorm_mode_16_64 3
		.amdhsa_dx10_clamp 1
		.amdhsa_ieee_mode 1
		.amdhsa_fp16_overflow 0
		.amdhsa_tg_split 0
		.amdhsa_exception_fp_ieee_invalid_op 0
		.amdhsa_exception_fp_denorm_src 0
		.amdhsa_exception_fp_ieee_div_zero 0
		.amdhsa_exception_fp_ieee_overflow 0
		.amdhsa_exception_fp_ieee_underflow 0
		.amdhsa_exception_fp_ieee_inexact 0
		.amdhsa_exception_int_div_zero 0
	.end_amdhsa_kernel
	.section	.text._Z39paged_attention_ll4mi_QKV_mfma16_kernelI14__hip_bfloat16hLN4vllm18Fp8KVCacheDataTypeE1ES0_Li16ELi64ELi256ELb1ELi6EL8MFMAType1EEvPKT_PKT0_S9_ifPKiSB_SB_iPKfiiiPfSE_PS4_PT2_iSD_SD_,"axG",@progbits,_Z39paged_attention_ll4mi_QKV_mfma16_kernelI14__hip_bfloat16hLN4vllm18Fp8KVCacheDataTypeE1ES0_Li16ELi64ELi256ELb1ELi6EL8MFMAType1EEvPKT_PKT0_S9_ifPKiSB_SB_iPKfiiiPfSE_PS4_PT2_iSD_SD_,comdat
.Lfunc_end679:
	.size	_Z39paged_attention_ll4mi_QKV_mfma16_kernelI14__hip_bfloat16hLN4vllm18Fp8KVCacheDataTypeE1ES0_Li16ELi64ELi256ELb1ELi6EL8MFMAType1EEvPKT_PKT0_S9_ifPKiSB_SB_iPKfiiiPfSE_PS4_PT2_iSD_SD_, .Lfunc_end679-_Z39paged_attention_ll4mi_QKV_mfma16_kernelI14__hip_bfloat16hLN4vllm18Fp8KVCacheDataTypeE1ES0_Li16ELi64ELi256ELb1ELi6EL8MFMAType1EEvPKT_PKT0_S9_ifPKiSB_SB_iPKfiiiPfSE_PS4_PT2_iSD_SD_
                                        ; -- End function
	.section	.AMDGPU.csdata,"",@progbits
; Kernel info:
; codeLenInByte = 504
; NumSgprs: 40
; NumVgprs: 42
; NumAgprs: 1
; TotalNumVgprs: 45
; ScratchSize: 64
; MemoryBound: 0
; FloatMode: 240
; IeeeMode: 1
; LDSByteSize: 8192 bytes/workgroup (compile time only)
; SGPRBlocks: 4
; VGPRBlocks: 5
; NumSGPRsForWavesPerEU: 40
; NumVGPRsForWavesPerEU: 45
; AccumOffset: 44
; Occupancy: 8
; WaveLimiterHint : 1
; COMPUTE_PGM_RSRC2:SCRATCH_EN: 1
; COMPUTE_PGM_RSRC2:USER_SGPR: 8
; COMPUTE_PGM_RSRC2:TRAP_HANDLER: 0
; COMPUTE_PGM_RSRC2:TGID_X_EN: 1
; COMPUTE_PGM_RSRC2:TGID_Y_EN: 1
; COMPUTE_PGM_RSRC2:TGID_Z_EN: 1
; COMPUTE_PGM_RSRC2:TIDIG_COMP_CNT: 0
; COMPUTE_PGM_RSRC3_GFX90A:ACCUM_OFFSET: 10
; COMPUTE_PGM_RSRC3_GFX90A:TG_SPLIT: 0
	.section	.text._Z39paged_attention_ll4mi_QKV_mfma16_kernelI14__hip_bfloat16hLN4vllm18Fp8KVCacheDataTypeE1ES0_Li16ELi64ELi256ELb1ELi7EL8MFMAType1EEvPKT_PKT0_S9_ifPKiSB_SB_iPKfiiiPfSE_PS4_PT2_iSD_SD_,"axG",@progbits,_Z39paged_attention_ll4mi_QKV_mfma16_kernelI14__hip_bfloat16hLN4vllm18Fp8KVCacheDataTypeE1ES0_Li16ELi64ELi256ELb1ELi7EL8MFMAType1EEvPKT_PKT0_S9_ifPKiSB_SB_iPKfiiiPfSE_PS4_PT2_iSD_SD_,comdat
	.protected	_Z39paged_attention_ll4mi_QKV_mfma16_kernelI14__hip_bfloat16hLN4vllm18Fp8KVCacheDataTypeE1ES0_Li16ELi64ELi256ELb1ELi7EL8MFMAType1EEvPKT_PKT0_S9_ifPKiSB_SB_iPKfiiiPfSE_PS4_PT2_iSD_SD_ ; -- Begin function _Z39paged_attention_ll4mi_QKV_mfma16_kernelI14__hip_bfloat16hLN4vllm18Fp8KVCacheDataTypeE1ES0_Li16ELi64ELi256ELb1ELi7EL8MFMAType1EEvPKT_PKT0_S9_ifPKiSB_SB_iPKfiiiPfSE_PS4_PT2_iSD_SD_
	.globl	_Z39paged_attention_ll4mi_QKV_mfma16_kernelI14__hip_bfloat16hLN4vllm18Fp8KVCacheDataTypeE1ES0_Li16ELi64ELi256ELb1ELi7EL8MFMAType1EEvPKT_PKT0_S9_ifPKiSB_SB_iPKfiiiPfSE_PS4_PT2_iSD_SD_
	.p2align	8
	.type	_Z39paged_attention_ll4mi_QKV_mfma16_kernelI14__hip_bfloat16hLN4vllm18Fp8KVCacheDataTypeE1ES0_Li16ELi64ELi256ELb1ELi7EL8MFMAType1EEvPKT_PKT0_S9_ifPKiSB_SB_iPKfiiiPfSE_PS4_PT2_iSD_SD_,@function
_Z39paged_attention_ll4mi_QKV_mfma16_kernelI14__hip_bfloat16hLN4vllm18Fp8KVCacheDataTypeE1ES0_Li16ELi64ELi256ELb1ELi7EL8MFMAType1EEvPKT_PKT0_S9_ifPKiSB_SB_iPKfiiiPfSE_PS4_PT2_iSD_SD_: ; @_Z39paged_attention_ll4mi_QKV_mfma16_kernelI14__hip_bfloat16hLN4vllm18Fp8KVCacheDataTypeE1ES0_Li16ELi64ELi256ELb1ELi7EL8MFMAType1EEvPKT_PKT0_S9_ifPKiSB_SB_iPKfiiiPfSE_PS4_PT2_iSD_SD_
; %bb.0:
	s_load_dwordx2 s[12:13], s[4:5], 0x30
	s_add_u32 flat_scratch_lo, s6, s11
	s_addc_u32 flat_scratch_hi, s7, 0
	s_add_u32 s0, s0, s11
	s_addc_u32 s1, s1, 0
	s_waitcnt lgkmcnt(0)
	s_cmp_lg_u64 s[12:13], 0
	s_cselect_b64 s[14:15], -1, 0
	s_mov_b32 s6, s9
	s_mov_b64 s[16:17], 0
	s_and_b64 vcc, exec, s[14:15]
	s_mov_b32 s32, 0
	s_cbranch_vccz .LBB680_11
; %bb.1:
	s_add_i32 s18, s8, 1
	s_mov_b32 s19, 0
	s_lshl_b64 s[20:21], s[18:19], 2
	s_add_u32 s20, s12, s20
	s_mov_b32 s9, s19
	s_addc_u32 s21, s13, s21
	s_lshl_b64 s[18:19], s[8:9], 2
	s_add_u32 s18, s12, s18
	s_addc_u32 s19, s13, s19
	s_load_dword s7, s[20:21], 0x0
	s_load_dword s11, s[18:19], 0x0
	s_waitcnt lgkmcnt(0)
	s_sub_i32 s7, s7, s11
	s_cmp_eq_u32 s7, 1
	s_cselect_b64 s[18:19], -1, 0
	s_andn2_b64 vcc, exec, s[16:17]
	s_cbranch_vccnz .LBB680_3
.LBB680_2:
	s_mov_b32 s9, 0
	s_mov_b64 s[18:19], -1
.LBB680_3:
	s_andn2_b64 vcc, exec, s[18:19]
	s_cbranch_vccnz .LBB680_10
; %bb.4:
	s_load_dwordx2 s[18:19], s[4:5], 0x28
	s_lshl_b64 s[16:17], s[8:9], 2
	s_waitcnt lgkmcnt(0)
	s_add_u32 s18, s18, s16
	s_addc_u32 s19, s19, s17
	s_load_dword s7, s[18:19], 0x0
	s_lshl_b32 s6, s6, 8
	s_waitcnt lgkmcnt(0)
	s_cmp_ge_i32 s6, s7
	s_cbranch_scc1 .LBB680_10
; %bb.5:
	s_andn2_b64 vcc, exec, s[14:15]
	s_cbranch_vccnz .LBB680_7
; %bb.6:
	s_add_u32 s6, s12, s16
	s_addc_u32 s7, s13, s17
	s_load_dword s8, s[6:7], 0x0
.LBB680_7:
	v_and_b32_e32 v1, 15, v0
	s_movk_i32 s6, 0x70
	v_cmp_gt_u32_e32 vcc, s6, v0
	v_cmp_gt_u32_e64 s[6:7], 8, v1
	s_and_b64 s[12:13], s[6:7], vcc
	s_and_saveexec_b64 s[6:7], s[12:13]
	s_cbranch_execz .LBB680_9
; %bb.8:
	s_load_dword s11, s[4:5], 0x48
	s_load_dwordx2 s[12:13], s[4:5], 0x0
	v_lshrrev_b32_e32 v6, 4, v0
	s_mul_i32 s10, s10, 7
	v_add_lshl_u32 v2, v6, s10, 6
	s_waitcnt lgkmcnt(0)
	s_ashr_i32 s9, s11, 31
	s_mul_hi_u32 s14, s8, s11
	s_mul_i32 s9, s8, s9
	s_add_i32 s9, s14, s9
	s_mul_i32 s8, s8, s11
	s_lshl_b64 s[8:9], s[8:9], 1
	s_add_u32 s8, s12, s8
	v_ashrrev_i32_e32 v3, 31, v2
	s_addc_u32 s9, s13, s9
	v_lshlrev_b64 v[2:3], 1, v[2:3]
	v_mov_b32_e32 v4, s9
	v_add_co_u32_e32 v2, vcc, s8, v2
	v_addc_co_u32_e32 v3, vcc, v4, v3, vcc
	v_lshlrev_b32_e32 v4, 4, v1
	v_add_co_u32_e32 v2, vcc, v2, v4
	v_addc_co_u32_e32 v3, vcc, 0, v3, vcc
	global_load_dwordx4 v[2:5], v[2:3], off
	v_lshlrev_b32_e32 v0, 4, v0
	v_lshlrev_b32_e32 v1, 8, v1
	v_and_b32_e32 v0, 16, v0
	v_lshlrev_b32_e32 v6, 5, v6
	v_and_b32_e32 v1, 0xe00, v1
	v_or3_b32 v0, v1, v6, v0
	s_waitcnt vmcnt(0)
	ds_write_b128 v0, v[2:5]
.LBB680_9:
	s_or_b64 exec, exec, s[6:7]
	s_waitcnt lgkmcnt(0)
	s_add_u32 s8, s4, 0x90
	s_addc_u32 s9, s5, 0
	s_getpc_b64 s[4:5]
	s_add_u32 s4, s4, __PRETTY_FUNCTION__._Z39paged_attention_ll4mi_QKV_mfma16_kernelI14__hip_bfloat16hLN4vllm18Fp8KVCacheDataTypeE1ES0_Li16ELi64ELi256ELb1ELi7EL8MFMAType1EEvPKT_PKT0_S9_ifPKiSB_SB_iPKfiiiPfSE_PS4_PT2_iSD_SD_@rel32@lo+4
	s_addc_u32 s5, s5, __PRETTY_FUNCTION__._Z39paged_attention_ll4mi_QKV_mfma16_kernelI14__hip_bfloat16hLN4vllm18Fp8KVCacheDataTypeE1ES0_Li16ELi64ELi256ELb1ELi7EL8MFMAType1EEvPKT_PKT0_S9_ifPKiSB_SB_iPKfiiiPfSE_PS4_PT2_iSD_SD_@rel32@hi+12
	v_mov_b32_e32 v0, 0x288
	v_mov_b32_e32 v1, s4
	;; [unrolled: 1-line block ×3, first 2 shown]
	s_barrier
	s_getpc_b64 s[6:7]
	s_add_u32 s6, s6, __assert_fail@rel32@lo+4
	s_addc_u32 s7, s7, __assert_fail@rel32@hi+12
	s_swappc_b64 s[30:31], s[6:7]
	; divergent unreachable
.LBB680_10:
	s_endpgm
.LBB680_11:
	s_mov_b64 s[18:19], 0
	s_branch .LBB680_2
	.section	.rodata,"a",@progbits
	.p2align	6, 0x0
	.amdhsa_kernel _Z39paged_attention_ll4mi_QKV_mfma16_kernelI14__hip_bfloat16hLN4vllm18Fp8KVCacheDataTypeE1ES0_Li16ELi64ELi256ELb1ELi7EL8MFMAType1EEvPKT_PKT0_S9_ifPKiSB_SB_iPKfiiiPfSE_PS4_PT2_iSD_SD_
		.amdhsa_group_segment_fixed_size 8192
		.amdhsa_private_segment_fixed_size 64
		.amdhsa_kernarg_size 400
		.amdhsa_user_sgpr_count 8
		.amdhsa_user_sgpr_private_segment_buffer 1
		.amdhsa_user_sgpr_dispatch_ptr 0
		.amdhsa_user_sgpr_queue_ptr 0
		.amdhsa_user_sgpr_kernarg_segment_ptr 1
		.amdhsa_user_sgpr_dispatch_id 0
		.amdhsa_user_sgpr_flat_scratch_init 1
		.amdhsa_user_sgpr_kernarg_preload_length 0
		.amdhsa_user_sgpr_kernarg_preload_offset 0
		.amdhsa_user_sgpr_private_segment_size 0
		.amdhsa_uses_dynamic_stack 0
		.amdhsa_system_sgpr_private_segment_wavefront_offset 1
		.amdhsa_system_sgpr_workgroup_id_x 1
		.amdhsa_system_sgpr_workgroup_id_y 1
		.amdhsa_system_sgpr_workgroup_id_z 1
		.amdhsa_system_sgpr_workgroup_info 0
		.amdhsa_system_vgpr_workitem_id 0
		.amdhsa_next_free_vgpr 45
		.amdhsa_next_free_sgpr 34
		.amdhsa_accum_offset 44
		.amdhsa_reserve_vcc 1
		.amdhsa_reserve_flat_scratch 1
		.amdhsa_float_round_mode_32 0
		.amdhsa_float_round_mode_16_64 0
		.amdhsa_float_denorm_mode_32 3
		.amdhsa_float_denorm_mode_16_64 3
		.amdhsa_dx10_clamp 1
		.amdhsa_ieee_mode 1
		.amdhsa_fp16_overflow 0
		.amdhsa_tg_split 0
		.amdhsa_exception_fp_ieee_invalid_op 0
		.amdhsa_exception_fp_denorm_src 0
		.amdhsa_exception_fp_ieee_div_zero 0
		.amdhsa_exception_fp_ieee_overflow 0
		.amdhsa_exception_fp_ieee_underflow 0
		.amdhsa_exception_fp_ieee_inexact 0
		.amdhsa_exception_int_div_zero 0
	.end_amdhsa_kernel
	.section	.text._Z39paged_attention_ll4mi_QKV_mfma16_kernelI14__hip_bfloat16hLN4vllm18Fp8KVCacheDataTypeE1ES0_Li16ELi64ELi256ELb1ELi7EL8MFMAType1EEvPKT_PKT0_S9_ifPKiSB_SB_iPKfiiiPfSE_PS4_PT2_iSD_SD_,"axG",@progbits,_Z39paged_attention_ll4mi_QKV_mfma16_kernelI14__hip_bfloat16hLN4vllm18Fp8KVCacheDataTypeE1ES0_Li16ELi64ELi256ELb1ELi7EL8MFMAType1EEvPKT_PKT0_S9_ifPKiSB_SB_iPKfiiiPfSE_PS4_PT2_iSD_SD_,comdat
.Lfunc_end680:
	.size	_Z39paged_attention_ll4mi_QKV_mfma16_kernelI14__hip_bfloat16hLN4vllm18Fp8KVCacheDataTypeE1ES0_Li16ELi64ELi256ELb1ELi7EL8MFMAType1EEvPKT_PKT0_S9_ifPKiSB_SB_iPKfiiiPfSE_PS4_PT2_iSD_SD_, .Lfunc_end680-_Z39paged_attention_ll4mi_QKV_mfma16_kernelI14__hip_bfloat16hLN4vllm18Fp8KVCacheDataTypeE1ES0_Li16ELi64ELi256ELb1ELi7EL8MFMAType1EEvPKT_PKT0_S9_ifPKiSB_SB_iPKfiiiPfSE_PS4_PT2_iSD_SD_
                                        ; -- End function
	.section	.AMDGPU.csdata,"",@progbits
; Kernel info:
; codeLenInByte = 504
; NumSgprs: 40
; NumVgprs: 42
; NumAgprs: 1
; TotalNumVgprs: 45
; ScratchSize: 64
; MemoryBound: 0
; FloatMode: 240
; IeeeMode: 1
; LDSByteSize: 8192 bytes/workgroup (compile time only)
; SGPRBlocks: 4
; VGPRBlocks: 5
; NumSGPRsForWavesPerEU: 40
; NumVGPRsForWavesPerEU: 45
; AccumOffset: 44
; Occupancy: 8
; WaveLimiterHint : 1
; COMPUTE_PGM_RSRC2:SCRATCH_EN: 1
; COMPUTE_PGM_RSRC2:USER_SGPR: 8
; COMPUTE_PGM_RSRC2:TRAP_HANDLER: 0
; COMPUTE_PGM_RSRC2:TGID_X_EN: 1
; COMPUTE_PGM_RSRC2:TGID_Y_EN: 1
; COMPUTE_PGM_RSRC2:TGID_Z_EN: 1
; COMPUTE_PGM_RSRC2:TIDIG_COMP_CNT: 0
; COMPUTE_PGM_RSRC3_GFX90A:ACCUM_OFFSET: 10
; COMPUTE_PGM_RSRC3_GFX90A:TG_SPLIT: 0
	.section	.text._Z39paged_attention_ll4mi_QKV_mfma16_kernelI14__hip_bfloat16hLN4vllm18Fp8KVCacheDataTypeE1ES0_Li16ELi64ELi256ELb1ELi8EL8MFMAType1EEvPKT_PKT0_S9_ifPKiSB_SB_iPKfiiiPfSE_PS4_PT2_iSD_SD_,"axG",@progbits,_Z39paged_attention_ll4mi_QKV_mfma16_kernelI14__hip_bfloat16hLN4vllm18Fp8KVCacheDataTypeE1ES0_Li16ELi64ELi256ELb1ELi8EL8MFMAType1EEvPKT_PKT0_S9_ifPKiSB_SB_iPKfiiiPfSE_PS4_PT2_iSD_SD_,comdat
	.protected	_Z39paged_attention_ll4mi_QKV_mfma16_kernelI14__hip_bfloat16hLN4vllm18Fp8KVCacheDataTypeE1ES0_Li16ELi64ELi256ELb1ELi8EL8MFMAType1EEvPKT_PKT0_S9_ifPKiSB_SB_iPKfiiiPfSE_PS4_PT2_iSD_SD_ ; -- Begin function _Z39paged_attention_ll4mi_QKV_mfma16_kernelI14__hip_bfloat16hLN4vllm18Fp8KVCacheDataTypeE1ES0_Li16ELi64ELi256ELb1ELi8EL8MFMAType1EEvPKT_PKT0_S9_ifPKiSB_SB_iPKfiiiPfSE_PS4_PT2_iSD_SD_
	.globl	_Z39paged_attention_ll4mi_QKV_mfma16_kernelI14__hip_bfloat16hLN4vllm18Fp8KVCacheDataTypeE1ES0_Li16ELi64ELi256ELb1ELi8EL8MFMAType1EEvPKT_PKT0_S9_ifPKiSB_SB_iPKfiiiPfSE_PS4_PT2_iSD_SD_
	.p2align	8
	.type	_Z39paged_attention_ll4mi_QKV_mfma16_kernelI14__hip_bfloat16hLN4vllm18Fp8KVCacheDataTypeE1ES0_Li16ELi64ELi256ELb1ELi8EL8MFMAType1EEvPKT_PKT0_S9_ifPKiSB_SB_iPKfiiiPfSE_PS4_PT2_iSD_SD_,@function
_Z39paged_attention_ll4mi_QKV_mfma16_kernelI14__hip_bfloat16hLN4vllm18Fp8KVCacheDataTypeE1ES0_Li16ELi64ELi256ELb1ELi8EL8MFMAType1EEvPKT_PKT0_S9_ifPKiSB_SB_iPKfiiiPfSE_PS4_PT2_iSD_SD_: ; @_Z39paged_attention_ll4mi_QKV_mfma16_kernelI14__hip_bfloat16hLN4vllm18Fp8KVCacheDataTypeE1ES0_Li16ELi64ELi256ELb1ELi8EL8MFMAType1EEvPKT_PKT0_S9_ifPKiSB_SB_iPKfiiiPfSE_PS4_PT2_iSD_SD_
; %bb.0:
	s_load_dwordx2 s[12:13], s[4:5], 0x30
	s_add_u32 flat_scratch_lo, s6, s11
	s_addc_u32 flat_scratch_hi, s7, 0
	s_add_u32 s0, s0, s11
	s_addc_u32 s1, s1, 0
	s_waitcnt lgkmcnt(0)
	s_cmp_lg_u64 s[12:13], 0
	s_cselect_b64 s[14:15], -1, 0
	s_mov_b32 s6, s9
	s_mov_b64 s[16:17], 0
	s_and_b64 vcc, exec, s[14:15]
	s_mov_b32 s32, 0
	s_cbranch_vccz .LBB681_11
; %bb.1:
	s_add_i32 s18, s8, 1
	s_mov_b32 s19, 0
	s_lshl_b64 s[20:21], s[18:19], 2
	s_add_u32 s20, s12, s20
	s_mov_b32 s9, s19
	s_addc_u32 s21, s13, s21
	s_lshl_b64 s[18:19], s[8:9], 2
	s_add_u32 s18, s12, s18
	s_addc_u32 s19, s13, s19
	s_load_dword s7, s[20:21], 0x0
	s_load_dword s11, s[18:19], 0x0
	s_waitcnt lgkmcnt(0)
	s_sub_i32 s7, s7, s11
	s_cmp_eq_u32 s7, 1
	s_cselect_b64 s[18:19], -1, 0
	s_andn2_b64 vcc, exec, s[16:17]
	s_cbranch_vccnz .LBB681_3
.LBB681_2:
	s_mov_b32 s9, 0
	s_mov_b64 s[18:19], -1
.LBB681_3:
	s_andn2_b64 vcc, exec, s[18:19]
	s_cbranch_vccnz .LBB681_10
; %bb.4:
	s_load_dwordx2 s[18:19], s[4:5], 0x28
	s_lshl_b64 s[16:17], s[8:9], 2
	s_waitcnt lgkmcnt(0)
	s_add_u32 s18, s18, s16
	s_addc_u32 s19, s19, s17
	s_load_dword s7, s[18:19], 0x0
	s_lshl_b32 s6, s6, 8
	s_waitcnt lgkmcnt(0)
	s_cmp_ge_i32 s6, s7
	s_cbranch_scc1 .LBB681_10
; %bb.5:
	s_andn2_b64 vcc, exec, s[14:15]
	s_cbranch_vccnz .LBB681_7
; %bb.6:
	s_add_u32 s6, s12, s16
	s_addc_u32 s7, s13, s17
	s_load_dword s8, s[6:7], 0x0
.LBB681_7:
	v_and_b32_e32 v1, 15, v0
	s_movk_i32 s6, 0x80
	v_cmp_gt_u32_e32 vcc, s6, v0
	v_cmp_gt_u32_e64 s[6:7], 8, v1
	s_and_b64 s[12:13], vcc, s[6:7]
	s_and_saveexec_b64 s[6:7], s[12:13]
	s_cbranch_execz .LBB681_9
; %bb.8:
	s_load_dword s9, s[4:5], 0x48
	s_load_dwordx2 s[12:13], s[4:5], 0x0
	v_lshrrev_b32_e32 v6, 4, v0
	v_lshlrev_b32_e32 v2, 6, v6
	v_lshl_or_b32 v2, s10, 9, v2
	s_waitcnt lgkmcnt(0)
	s_ashr_i32 s11, s9, 31
	s_mul_hi_u32 s15, s8, s9
	s_mul_i32 s14, s8, s9
	s_mul_i32 s8, s8, s11
	s_add_i32 s15, s15, s8
	s_lshl_b64 s[8:9], s[14:15], 1
	s_add_u32 s8, s12, s8
	v_ashrrev_i32_e32 v3, 31, v2
	s_addc_u32 s9, s13, s9
	v_lshlrev_b64 v[2:3], 1, v[2:3]
	v_mov_b32_e32 v4, s9
	v_add_co_u32_e32 v2, vcc, s8, v2
	v_addc_co_u32_e32 v3, vcc, v4, v3, vcc
	v_lshlrev_b32_e32 v4, 4, v1
	v_add_co_u32_e32 v2, vcc, v2, v4
	v_addc_co_u32_e32 v3, vcc, 0, v3, vcc
	global_load_dwordx4 v[2:5], v[2:3], off
	v_lshlrev_b32_e32 v0, 4, v0
	v_lshlrev_b32_e32 v1, 8, v1
	v_and_b32_e32 v0, 16, v0
	v_lshlrev_b32_e32 v6, 5, v6
	v_and_b32_e32 v1, 0xe00, v1
	v_or3_b32 v0, v1, v6, v0
	s_waitcnt vmcnt(0)
	ds_write_b128 v0, v[2:5]
.LBB681_9:
	s_or_b64 exec, exec, s[6:7]
	s_waitcnt lgkmcnt(0)
	s_add_u32 s8, s4, 0x90
	s_addc_u32 s9, s5, 0
	s_getpc_b64 s[4:5]
	s_add_u32 s4, s4, __PRETTY_FUNCTION__._Z39paged_attention_ll4mi_QKV_mfma16_kernelI14__hip_bfloat16hLN4vllm18Fp8KVCacheDataTypeE1ES0_Li16ELi64ELi256ELb1ELi8EL8MFMAType1EEvPKT_PKT0_S9_ifPKiSB_SB_iPKfiiiPfSE_PS4_PT2_iSD_SD_@rel32@lo+4
	s_addc_u32 s5, s5, __PRETTY_FUNCTION__._Z39paged_attention_ll4mi_QKV_mfma16_kernelI14__hip_bfloat16hLN4vllm18Fp8KVCacheDataTypeE1ES0_Li16ELi64ELi256ELb1ELi8EL8MFMAType1EEvPKT_PKT0_S9_ifPKiSB_SB_iPKfiiiPfSE_PS4_PT2_iSD_SD_@rel32@hi+12
	v_mov_b32_e32 v0, 0x288
	v_mov_b32_e32 v1, s4
	;; [unrolled: 1-line block ×3, first 2 shown]
	s_barrier
	s_getpc_b64 s[6:7]
	s_add_u32 s6, s6, __assert_fail@rel32@lo+4
	s_addc_u32 s7, s7, __assert_fail@rel32@hi+12
	s_swappc_b64 s[30:31], s[6:7]
	; divergent unreachable
.LBB681_10:
	s_endpgm
.LBB681_11:
	s_mov_b64 s[18:19], 0
	s_branch .LBB681_2
	.section	.rodata,"a",@progbits
	.p2align	6, 0x0
	.amdhsa_kernel _Z39paged_attention_ll4mi_QKV_mfma16_kernelI14__hip_bfloat16hLN4vllm18Fp8KVCacheDataTypeE1ES0_Li16ELi64ELi256ELb1ELi8EL8MFMAType1EEvPKT_PKT0_S9_ifPKiSB_SB_iPKfiiiPfSE_PS4_PT2_iSD_SD_
		.amdhsa_group_segment_fixed_size 8192
		.amdhsa_private_segment_fixed_size 64
		.amdhsa_kernarg_size 400
		.amdhsa_user_sgpr_count 8
		.amdhsa_user_sgpr_private_segment_buffer 1
		.amdhsa_user_sgpr_dispatch_ptr 0
		.amdhsa_user_sgpr_queue_ptr 0
		.amdhsa_user_sgpr_kernarg_segment_ptr 1
		.amdhsa_user_sgpr_dispatch_id 0
		.amdhsa_user_sgpr_flat_scratch_init 1
		.amdhsa_user_sgpr_kernarg_preload_length 0
		.amdhsa_user_sgpr_kernarg_preload_offset 0
		.amdhsa_user_sgpr_private_segment_size 0
		.amdhsa_uses_dynamic_stack 0
		.amdhsa_system_sgpr_private_segment_wavefront_offset 1
		.amdhsa_system_sgpr_workgroup_id_x 1
		.amdhsa_system_sgpr_workgroup_id_y 1
		.amdhsa_system_sgpr_workgroup_id_z 1
		.amdhsa_system_sgpr_workgroup_info 0
		.amdhsa_system_vgpr_workitem_id 0
		.amdhsa_next_free_vgpr 45
		.amdhsa_next_free_sgpr 34
		.amdhsa_accum_offset 44
		.amdhsa_reserve_vcc 1
		.amdhsa_reserve_flat_scratch 1
		.amdhsa_float_round_mode_32 0
		.amdhsa_float_round_mode_16_64 0
		.amdhsa_float_denorm_mode_32 3
		.amdhsa_float_denorm_mode_16_64 3
		.amdhsa_dx10_clamp 1
		.amdhsa_ieee_mode 1
		.amdhsa_fp16_overflow 0
		.amdhsa_tg_split 0
		.amdhsa_exception_fp_ieee_invalid_op 0
		.amdhsa_exception_fp_denorm_src 0
		.amdhsa_exception_fp_ieee_div_zero 0
		.amdhsa_exception_fp_ieee_overflow 0
		.amdhsa_exception_fp_ieee_underflow 0
		.amdhsa_exception_fp_ieee_inexact 0
		.amdhsa_exception_int_div_zero 0
	.end_amdhsa_kernel
	.section	.text._Z39paged_attention_ll4mi_QKV_mfma16_kernelI14__hip_bfloat16hLN4vllm18Fp8KVCacheDataTypeE1ES0_Li16ELi64ELi256ELb1ELi8EL8MFMAType1EEvPKT_PKT0_S9_ifPKiSB_SB_iPKfiiiPfSE_PS4_PT2_iSD_SD_,"axG",@progbits,_Z39paged_attention_ll4mi_QKV_mfma16_kernelI14__hip_bfloat16hLN4vllm18Fp8KVCacheDataTypeE1ES0_Li16ELi64ELi256ELb1ELi8EL8MFMAType1EEvPKT_PKT0_S9_ifPKiSB_SB_iPKfiiiPfSE_PS4_PT2_iSD_SD_,comdat
.Lfunc_end681:
	.size	_Z39paged_attention_ll4mi_QKV_mfma16_kernelI14__hip_bfloat16hLN4vllm18Fp8KVCacheDataTypeE1ES0_Li16ELi64ELi256ELb1ELi8EL8MFMAType1EEvPKT_PKT0_S9_ifPKiSB_SB_iPKfiiiPfSE_PS4_PT2_iSD_SD_, .Lfunc_end681-_Z39paged_attention_ll4mi_QKV_mfma16_kernelI14__hip_bfloat16hLN4vllm18Fp8KVCacheDataTypeE1ES0_Li16ELi64ELi256ELb1ELi8EL8MFMAType1EEvPKT_PKT0_S9_ifPKiSB_SB_iPKfiiiPfSE_PS4_PT2_iSD_SD_
                                        ; -- End function
	.section	.AMDGPU.csdata,"",@progbits
; Kernel info:
; codeLenInByte = 504
; NumSgprs: 40
; NumVgprs: 42
; NumAgprs: 1
; TotalNumVgprs: 45
; ScratchSize: 64
; MemoryBound: 0
; FloatMode: 240
; IeeeMode: 1
; LDSByteSize: 8192 bytes/workgroup (compile time only)
; SGPRBlocks: 4
; VGPRBlocks: 5
; NumSGPRsForWavesPerEU: 40
; NumVGPRsForWavesPerEU: 45
; AccumOffset: 44
; Occupancy: 8
; WaveLimiterHint : 1
; COMPUTE_PGM_RSRC2:SCRATCH_EN: 1
; COMPUTE_PGM_RSRC2:USER_SGPR: 8
; COMPUTE_PGM_RSRC2:TRAP_HANDLER: 0
; COMPUTE_PGM_RSRC2:TGID_X_EN: 1
; COMPUTE_PGM_RSRC2:TGID_Y_EN: 1
; COMPUTE_PGM_RSRC2:TGID_Z_EN: 1
; COMPUTE_PGM_RSRC2:TIDIG_COMP_CNT: 0
; COMPUTE_PGM_RSRC3_GFX90A:ACCUM_OFFSET: 10
; COMPUTE_PGM_RSRC3_GFX90A:TG_SPLIT: 0
	.section	.text._Z39paged_attention_ll4mi_QKV_mfma16_kernelI14__hip_bfloat16hLN4vllm18Fp8KVCacheDataTypeE1ES0_Li16ELi64ELi256ELb1ELi9EL8MFMAType1EEvPKT_PKT0_S9_ifPKiSB_SB_iPKfiiiPfSE_PS4_PT2_iSD_SD_,"axG",@progbits,_Z39paged_attention_ll4mi_QKV_mfma16_kernelI14__hip_bfloat16hLN4vllm18Fp8KVCacheDataTypeE1ES0_Li16ELi64ELi256ELb1ELi9EL8MFMAType1EEvPKT_PKT0_S9_ifPKiSB_SB_iPKfiiiPfSE_PS4_PT2_iSD_SD_,comdat
	.protected	_Z39paged_attention_ll4mi_QKV_mfma16_kernelI14__hip_bfloat16hLN4vllm18Fp8KVCacheDataTypeE1ES0_Li16ELi64ELi256ELb1ELi9EL8MFMAType1EEvPKT_PKT0_S9_ifPKiSB_SB_iPKfiiiPfSE_PS4_PT2_iSD_SD_ ; -- Begin function _Z39paged_attention_ll4mi_QKV_mfma16_kernelI14__hip_bfloat16hLN4vllm18Fp8KVCacheDataTypeE1ES0_Li16ELi64ELi256ELb1ELi9EL8MFMAType1EEvPKT_PKT0_S9_ifPKiSB_SB_iPKfiiiPfSE_PS4_PT2_iSD_SD_
	.globl	_Z39paged_attention_ll4mi_QKV_mfma16_kernelI14__hip_bfloat16hLN4vllm18Fp8KVCacheDataTypeE1ES0_Li16ELi64ELi256ELb1ELi9EL8MFMAType1EEvPKT_PKT0_S9_ifPKiSB_SB_iPKfiiiPfSE_PS4_PT2_iSD_SD_
	.p2align	8
	.type	_Z39paged_attention_ll4mi_QKV_mfma16_kernelI14__hip_bfloat16hLN4vllm18Fp8KVCacheDataTypeE1ES0_Li16ELi64ELi256ELb1ELi9EL8MFMAType1EEvPKT_PKT0_S9_ifPKiSB_SB_iPKfiiiPfSE_PS4_PT2_iSD_SD_,@function
_Z39paged_attention_ll4mi_QKV_mfma16_kernelI14__hip_bfloat16hLN4vllm18Fp8KVCacheDataTypeE1ES0_Li16ELi64ELi256ELb1ELi9EL8MFMAType1EEvPKT_PKT0_S9_ifPKiSB_SB_iPKfiiiPfSE_PS4_PT2_iSD_SD_: ; @_Z39paged_attention_ll4mi_QKV_mfma16_kernelI14__hip_bfloat16hLN4vllm18Fp8KVCacheDataTypeE1ES0_Li16ELi64ELi256ELb1ELi9EL8MFMAType1EEvPKT_PKT0_S9_ifPKiSB_SB_iPKfiiiPfSE_PS4_PT2_iSD_SD_
; %bb.0:
	s_load_dwordx2 s[12:13], s[4:5], 0x30
	s_add_u32 flat_scratch_lo, s6, s11
	s_addc_u32 flat_scratch_hi, s7, 0
	s_add_u32 s0, s0, s11
	s_addc_u32 s1, s1, 0
	s_waitcnt lgkmcnt(0)
	s_cmp_lg_u64 s[12:13], 0
	s_cselect_b64 s[14:15], -1, 0
	s_mov_b32 s6, s9
	s_mov_b64 s[16:17], 0
	s_and_b64 vcc, exec, s[14:15]
	s_mov_b32 s32, 0
	s_cbranch_vccz .LBB682_11
; %bb.1:
	s_add_i32 s18, s8, 1
	s_mov_b32 s19, 0
	s_lshl_b64 s[20:21], s[18:19], 2
	s_add_u32 s20, s12, s20
	s_mov_b32 s9, s19
	s_addc_u32 s21, s13, s21
	s_lshl_b64 s[18:19], s[8:9], 2
	s_add_u32 s18, s12, s18
	s_addc_u32 s19, s13, s19
	s_load_dword s7, s[20:21], 0x0
	s_load_dword s11, s[18:19], 0x0
	s_waitcnt lgkmcnt(0)
	s_sub_i32 s7, s7, s11
	s_cmp_eq_u32 s7, 1
	s_cselect_b64 s[18:19], -1, 0
	s_andn2_b64 vcc, exec, s[16:17]
	s_cbranch_vccnz .LBB682_3
.LBB682_2:
	s_mov_b32 s9, 0
	s_mov_b64 s[18:19], -1
.LBB682_3:
	s_andn2_b64 vcc, exec, s[18:19]
	s_cbranch_vccnz .LBB682_10
; %bb.4:
	s_load_dwordx2 s[18:19], s[4:5], 0x28
	s_lshl_b64 s[16:17], s[8:9], 2
	s_waitcnt lgkmcnt(0)
	s_add_u32 s18, s18, s16
	s_addc_u32 s19, s19, s17
	s_load_dword s7, s[18:19], 0x0
	s_lshl_b32 s6, s6, 8
	s_waitcnt lgkmcnt(0)
	s_cmp_ge_i32 s6, s7
	s_cbranch_scc1 .LBB682_10
; %bb.5:
	s_andn2_b64 vcc, exec, s[14:15]
	s_cbranch_vccnz .LBB682_7
; %bb.6:
	s_add_u32 s6, s12, s16
	s_addc_u32 s7, s13, s17
	s_load_dword s8, s[6:7], 0x0
.LBB682_7:
	v_and_b32_e32 v1, 15, v0
	s_movk_i32 s6, 0x90
	v_cmp_gt_u32_e32 vcc, s6, v0
	v_cmp_gt_u32_e64 s[6:7], 8, v1
	s_and_b64 s[12:13], s[6:7], vcc
	s_and_saveexec_b64 s[6:7], s[12:13]
	s_cbranch_execz .LBB682_9
; %bb.8:
	s_load_dword s11, s[4:5], 0x48
	s_load_dwordx2 s[12:13], s[4:5], 0x0
	v_lshrrev_b32_e32 v6, 4, v0
	s_mul_i32 s10, s10, 9
	v_add_lshl_u32 v2, v6, s10, 6
	s_waitcnt lgkmcnt(0)
	s_ashr_i32 s9, s11, 31
	s_mul_hi_u32 s14, s8, s11
	s_mul_i32 s9, s8, s9
	s_add_i32 s9, s14, s9
	s_mul_i32 s8, s8, s11
	s_lshl_b64 s[8:9], s[8:9], 1
	s_add_u32 s8, s12, s8
	v_ashrrev_i32_e32 v3, 31, v2
	s_addc_u32 s9, s13, s9
	v_lshlrev_b64 v[2:3], 1, v[2:3]
	v_mov_b32_e32 v4, s9
	v_add_co_u32_e32 v2, vcc, s8, v2
	v_addc_co_u32_e32 v3, vcc, v4, v3, vcc
	v_lshlrev_b32_e32 v4, 4, v1
	v_add_co_u32_e32 v2, vcc, v2, v4
	v_addc_co_u32_e32 v3, vcc, 0, v3, vcc
	global_load_dwordx4 v[2:5], v[2:3], off
	v_lshlrev_b32_e32 v0, 4, v0
	v_lshlrev_b32_e32 v1, 8, v1
	v_and_b32_e32 v0, 16, v0
	v_lshlrev_b32_e32 v6, 5, v6
	v_and_b32_e32 v1, 0xe00, v1
	v_or3_b32 v0, v1, v6, v0
	s_waitcnt vmcnt(0)
	ds_write_b128 v0, v[2:5]
.LBB682_9:
	s_or_b64 exec, exec, s[6:7]
	s_waitcnt lgkmcnt(0)
	s_add_u32 s8, s4, 0x90
	s_addc_u32 s9, s5, 0
	s_getpc_b64 s[4:5]
	s_add_u32 s4, s4, __PRETTY_FUNCTION__._Z39paged_attention_ll4mi_QKV_mfma16_kernelI14__hip_bfloat16hLN4vllm18Fp8KVCacheDataTypeE1ES0_Li16ELi64ELi256ELb1ELi9EL8MFMAType1EEvPKT_PKT0_S9_ifPKiSB_SB_iPKfiiiPfSE_PS4_PT2_iSD_SD_@rel32@lo+4
	s_addc_u32 s5, s5, __PRETTY_FUNCTION__._Z39paged_attention_ll4mi_QKV_mfma16_kernelI14__hip_bfloat16hLN4vllm18Fp8KVCacheDataTypeE1ES0_Li16ELi64ELi256ELb1ELi9EL8MFMAType1EEvPKT_PKT0_S9_ifPKiSB_SB_iPKfiiiPfSE_PS4_PT2_iSD_SD_@rel32@hi+12
	v_mov_b32_e32 v0, 0x288
	v_mov_b32_e32 v1, s4
	;; [unrolled: 1-line block ×3, first 2 shown]
	s_barrier
	s_getpc_b64 s[6:7]
	s_add_u32 s6, s6, __assert_fail@rel32@lo+4
	s_addc_u32 s7, s7, __assert_fail@rel32@hi+12
	s_swappc_b64 s[30:31], s[6:7]
	; divergent unreachable
.LBB682_10:
	s_endpgm
.LBB682_11:
	s_mov_b64 s[18:19], 0
	s_branch .LBB682_2
	.section	.rodata,"a",@progbits
	.p2align	6, 0x0
	.amdhsa_kernel _Z39paged_attention_ll4mi_QKV_mfma16_kernelI14__hip_bfloat16hLN4vllm18Fp8KVCacheDataTypeE1ES0_Li16ELi64ELi256ELb1ELi9EL8MFMAType1EEvPKT_PKT0_S9_ifPKiSB_SB_iPKfiiiPfSE_PS4_PT2_iSD_SD_
		.amdhsa_group_segment_fixed_size 8192
		.amdhsa_private_segment_fixed_size 64
		.amdhsa_kernarg_size 400
		.amdhsa_user_sgpr_count 8
		.amdhsa_user_sgpr_private_segment_buffer 1
		.amdhsa_user_sgpr_dispatch_ptr 0
		.amdhsa_user_sgpr_queue_ptr 0
		.amdhsa_user_sgpr_kernarg_segment_ptr 1
		.amdhsa_user_sgpr_dispatch_id 0
		.amdhsa_user_sgpr_flat_scratch_init 1
		.amdhsa_user_sgpr_kernarg_preload_length 0
		.amdhsa_user_sgpr_kernarg_preload_offset 0
		.amdhsa_user_sgpr_private_segment_size 0
		.amdhsa_uses_dynamic_stack 0
		.amdhsa_system_sgpr_private_segment_wavefront_offset 1
		.amdhsa_system_sgpr_workgroup_id_x 1
		.amdhsa_system_sgpr_workgroup_id_y 1
		.amdhsa_system_sgpr_workgroup_id_z 1
		.amdhsa_system_sgpr_workgroup_info 0
		.amdhsa_system_vgpr_workitem_id 0
		.amdhsa_next_free_vgpr 45
		.amdhsa_next_free_sgpr 34
		.amdhsa_accum_offset 44
		.amdhsa_reserve_vcc 1
		.amdhsa_reserve_flat_scratch 1
		.amdhsa_float_round_mode_32 0
		.amdhsa_float_round_mode_16_64 0
		.amdhsa_float_denorm_mode_32 3
		.amdhsa_float_denorm_mode_16_64 3
		.amdhsa_dx10_clamp 1
		.amdhsa_ieee_mode 1
		.amdhsa_fp16_overflow 0
		.amdhsa_tg_split 0
		.amdhsa_exception_fp_ieee_invalid_op 0
		.amdhsa_exception_fp_denorm_src 0
		.amdhsa_exception_fp_ieee_div_zero 0
		.amdhsa_exception_fp_ieee_overflow 0
		.amdhsa_exception_fp_ieee_underflow 0
		.amdhsa_exception_fp_ieee_inexact 0
		.amdhsa_exception_int_div_zero 0
	.end_amdhsa_kernel
	.section	.text._Z39paged_attention_ll4mi_QKV_mfma16_kernelI14__hip_bfloat16hLN4vllm18Fp8KVCacheDataTypeE1ES0_Li16ELi64ELi256ELb1ELi9EL8MFMAType1EEvPKT_PKT0_S9_ifPKiSB_SB_iPKfiiiPfSE_PS4_PT2_iSD_SD_,"axG",@progbits,_Z39paged_attention_ll4mi_QKV_mfma16_kernelI14__hip_bfloat16hLN4vllm18Fp8KVCacheDataTypeE1ES0_Li16ELi64ELi256ELb1ELi9EL8MFMAType1EEvPKT_PKT0_S9_ifPKiSB_SB_iPKfiiiPfSE_PS4_PT2_iSD_SD_,comdat
.Lfunc_end682:
	.size	_Z39paged_attention_ll4mi_QKV_mfma16_kernelI14__hip_bfloat16hLN4vllm18Fp8KVCacheDataTypeE1ES0_Li16ELi64ELi256ELb1ELi9EL8MFMAType1EEvPKT_PKT0_S9_ifPKiSB_SB_iPKfiiiPfSE_PS4_PT2_iSD_SD_, .Lfunc_end682-_Z39paged_attention_ll4mi_QKV_mfma16_kernelI14__hip_bfloat16hLN4vllm18Fp8KVCacheDataTypeE1ES0_Li16ELi64ELi256ELb1ELi9EL8MFMAType1EEvPKT_PKT0_S9_ifPKiSB_SB_iPKfiiiPfSE_PS4_PT2_iSD_SD_
                                        ; -- End function
	.section	.AMDGPU.csdata,"",@progbits
; Kernel info:
; codeLenInByte = 504
; NumSgprs: 40
; NumVgprs: 42
; NumAgprs: 1
; TotalNumVgprs: 45
; ScratchSize: 64
; MemoryBound: 0
; FloatMode: 240
; IeeeMode: 1
; LDSByteSize: 8192 bytes/workgroup (compile time only)
; SGPRBlocks: 4
; VGPRBlocks: 5
; NumSGPRsForWavesPerEU: 40
; NumVGPRsForWavesPerEU: 45
; AccumOffset: 44
; Occupancy: 8
; WaveLimiterHint : 1
; COMPUTE_PGM_RSRC2:SCRATCH_EN: 1
; COMPUTE_PGM_RSRC2:USER_SGPR: 8
; COMPUTE_PGM_RSRC2:TRAP_HANDLER: 0
; COMPUTE_PGM_RSRC2:TGID_X_EN: 1
; COMPUTE_PGM_RSRC2:TGID_Y_EN: 1
; COMPUTE_PGM_RSRC2:TGID_Z_EN: 1
; COMPUTE_PGM_RSRC2:TIDIG_COMP_CNT: 0
; COMPUTE_PGM_RSRC3_GFX90A:ACCUM_OFFSET: 10
; COMPUTE_PGM_RSRC3_GFX90A:TG_SPLIT: 0
	.section	.text._Z39paged_attention_ll4mi_QKV_mfma16_kernelI14__hip_bfloat16hLN4vllm18Fp8KVCacheDataTypeE1ES0_Li16ELi64ELi256ELb1ELi10EL8MFMAType1EEvPKT_PKT0_S9_ifPKiSB_SB_iPKfiiiPfSE_PS4_PT2_iSD_SD_,"axG",@progbits,_Z39paged_attention_ll4mi_QKV_mfma16_kernelI14__hip_bfloat16hLN4vllm18Fp8KVCacheDataTypeE1ES0_Li16ELi64ELi256ELb1ELi10EL8MFMAType1EEvPKT_PKT0_S9_ifPKiSB_SB_iPKfiiiPfSE_PS4_PT2_iSD_SD_,comdat
	.protected	_Z39paged_attention_ll4mi_QKV_mfma16_kernelI14__hip_bfloat16hLN4vllm18Fp8KVCacheDataTypeE1ES0_Li16ELi64ELi256ELb1ELi10EL8MFMAType1EEvPKT_PKT0_S9_ifPKiSB_SB_iPKfiiiPfSE_PS4_PT2_iSD_SD_ ; -- Begin function _Z39paged_attention_ll4mi_QKV_mfma16_kernelI14__hip_bfloat16hLN4vllm18Fp8KVCacheDataTypeE1ES0_Li16ELi64ELi256ELb1ELi10EL8MFMAType1EEvPKT_PKT0_S9_ifPKiSB_SB_iPKfiiiPfSE_PS4_PT2_iSD_SD_
	.globl	_Z39paged_attention_ll4mi_QKV_mfma16_kernelI14__hip_bfloat16hLN4vllm18Fp8KVCacheDataTypeE1ES0_Li16ELi64ELi256ELb1ELi10EL8MFMAType1EEvPKT_PKT0_S9_ifPKiSB_SB_iPKfiiiPfSE_PS4_PT2_iSD_SD_
	.p2align	8
	.type	_Z39paged_attention_ll4mi_QKV_mfma16_kernelI14__hip_bfloat16hLN4vllm18Fp8KVCacheDataTypeE1ES0_Li16ELi64ELi256ELb1ELi10EL8MFMAType1EEvPKT_PKT0_S9_ifPKiSB_SB_iPKfiiiPfSE_PS4_PT2_iSD_SD_,@function
_Z39paged_attention_ll4mi_QKV_mfma16_kernelI14__hip_bfloat16hLN4vllm18Fp8KVCacheDataTypeE1ES0_Li16ELi64ELi256ELb1ELi10EL8MFMAType1EEvPKT_PKT0_S9_ifPKiSB_SB_iPKfiiiPfSE_PS4_PT2_iSD_SD_: ; @_Z39paged_attention_ll4mi_QKV_mfma16_kernelI14__hip_bfloat16hLN4vllm18Fp8KVCacheDataTypeE1ES0_Li16ELi64ELi256ELb1ELi10EL8MFMAType1EEvPKT_PKT0_S9_ifPKiSB_SB_iPKfiiiPfSE_PS4_PT2_iSD_SD_
; %bb.0:
	s_load_dwordx2 s[12:13], s[4:5], 0x30
	s_add_u32 flat_scratch_lo, s6, s11
	s_addc_u32 flat_scratch_hi, s7, 0
	s_add_u32 s0, s0, s11
	s_addc_u32 s1, s1, 0
	s_waitcnt lgkmcnt(0)
	s_cmp_lg_u64 s[12:13], 0
	s_cselect_b64 s[14:15], -1, 0
	s_mov_b32 s6, s9
	s_mov_b64 s[16:17], 0
	s_and_b64 vcc, exec, s[14:15]
	s_mov_b32 s32, 0
	s_cbranch_vccz .LBB683_11
; %bb.1:
	s_add_i32 s18, s8, 1
	s_mov_b32 s19, 0
	s_lshl_b64 s[20:21], s[18:19], 2
	s_add_u32 s20, s12, s20
	s_mov_b32 s9, s19
	s_addc_u32 s21, s13, s21
	s_lshl_b64 s[18:19], s[8:9], 2
	s_add_u32 s18, s12, s18
	s_addc_u32 s19, s13, s19
	s_load_dword s7, s[20:21], 0x0
	s_load_dword s11, s[18:19], 0x0
	s_waitcnt lgkmcnt(0)
	s_sub_i32 s7, s7, s11
	s_cmp_eq_u32 s7, 1
	s_cselect_b64 s[18:19], -1, 0
	s_andn2_b64 vcc, exec, s[16:17]
	s_cbranch_vccnz .LBB683_3
.LBB683_2:
	s_mov_b32 s9, 0
	s_mov_b64 s[18:19], -1
.LBB683_3:
	s_andn2_b64 vcc, exec, s[18:19]
	s_cbranch_vccnz .LBB683_10
; %bb.4:
	s_load_dwordx2 s[18:19], s[4:5], 0x28
	s_lshl_b64 s[16:17], s[8:9], 2
	s_waitcnt lgkmcnt(0)
	s_add_u32 s18, s18, s16
	s_addc_u32 s19, s19, s17
	s_load_dword s7, s[18:19], 0x0
	s_lshl_b32 s6, s6, 8
	s_waitcnt lgkmcnt(0)
	s_cmp_ge_i32 s6, s7
	s_cbranch_scc1 .LBB683_10
; %bb.5:
	s_andn2_b64 vcc, exec, s[14:15]
	s_cbranch_vccnz .LBB683_7
; %bb.6:
	s_add_u32 s6, s12, s16
	s_addc_u32 s7, s13, s17
	s_load_dword s8, s[6:7], 0x0
.LBB683_7:
	v_and_b32_e32 v1, 15, v0
	s_movk_i32 s6, 0xa0
	v_cmp_gt_u32_e32 vcc, s6, v0
	v_cmp_gt_u32_e64 s[6:7], 8, v1
	s_and_b64 s[12:13], s[6:7], vcc
	s_and_saveexec_b64 s[6:7], s[12:13]
	s_cbranch_execz .LBB683_9
; %bb.8:
	s_load_dword s11, s[4:5], 0x48
	s_load_dwordx2 s[12:13], s[4:5], 0x0
	v_lshrrev_b32_e32 v6, 4, v0
	s_mul_i32 s10, s10, 10
	v_add_lshl_u32 v2, v6, s10, 6
	s_waitcnt lgkmcnt(0)
	s_ashr_i32 s9, s11, 31
	s_mul_hi_u32 s14, s8, s11
	s_mul_i32 s9, s8, s9
	s_add_i32 s9, s14, s9
	s_mul_i32 s8, s8, s11
	s_lshl_b64 s[8:9], s[8:9], 1
	s_add_u32 s8, s12, s8
	v_ashrrev_i32_e32 v3, 31, v2
	s_addc_u32 s9, s13, s9
	v_lshlrev_b64 v[2:3], 1, v[2:3]
	v_mov_b32_e32 v4, s9
	v_add_co_u32_e32 v2, vcc, s8, v2
	v_addc_co_u32_e32 v3, vcc, v4, v3, vcc
	v_lshlrev_b32_e32 v4, 4, v1
	v_add_co_u32_e32 v2, vcc, v2, v4
	v_addc_co_u32_e32 v3, vcc, 0, v3, vcc
	global_load_dwordx4 v[2:5], v[2:3], off
	v_lshlrev_b32_e32 v0, 4, v0
	v_lshlrev_b32_e32 v1, 8, v1
	v_and_b32_e32 v0, 16, v0
	v_lshlrev_b32_e32 v6, 5, v6
	v_and_b32_e32 v1, 0xe00, v1
	v_or3_b32 v0, v1, v6, v0
	s_waitcnt vmcnt(0)
	ds_write_b128 v0, v[2:5]
.LBB683_9:
	s_or_b64 exec, exec, s[6:7]
	s_waitcnt lgkmcnt(0)
	s_add_u32 s8, s4, 0x90
	s_addc_u32 s9, s5, 0
	s_getpc_b64 s[4:5]
	s_add_u32 s4, s4, __PRETTY_FUNCTION__._Z39paged_attention_ll4mi_QKV_mfma16_kernelI14__hip_bfloat16hLN4vllm18Fp8KVCacheDataTypeE1ES0_Li16ELi64ELi256ELb1ELi10EL8MFMAType1EEvPKT_PKT0_S9_ifPKiSB_SB_iPKfiiiPfSE_PS4_PT2_iSD_SD_@rel32@lo+4
	s_addc_u32 s5, s5, __PRETTY_FUNCTION__._Z39paged_attention_ll4mi_QKV_mfma16_kernelI14__hip_bfloat16hLN4vllm18Fp8KVCacheDataTypeE1ES0_Li16ELi64ELi256ELb1ELi10EL8MFMAType1EEvPKT_PKT0_S9_ifPKiSB_SB_iPKfiiiPfSE_PS4_PT2_iSD_SD_@rel32@hi+12
	v_mov_b32_e32 v0, 0x288
	v_mov_b32_e32 v1, s4
	;; [unrolled: 1-line block ×3, first 2 shown]
	s_barrier
	s_getpc_b64 s[6:7]
	s_add_u32 s6, s6, __assert_fail@rel32@lo+4
	s_addc_u32 s7, s7, __assert_fail@rel32@hi+12
	s_swappc_b64 s[30:31], s[6:7]
	; divergent unreachable
.LBB683_10:
	s_endpgm
.LBB683_11:
	s_mov_b64 s[18:19], 0
	s_branch .LBB683_2
	.section	.rodata,"a",@progbits
	.p2align	6, 0x0
	.amdhsa_kernel _Z39paged_attention_ll4mi_QKV_mfma16_kernelI14__hip_bfloat16hLN4vllm18Fp8KVCacheDataTypeE1ES0_Li16ELi64ELi256ELb1ELi10EL8MFMAType1EEvPKT_PKT0_S9_ifPKiSB_SB_iPKfiiiPfSE_PS4_PT2_iSD_SD_
		.amdhsa_group_segment_fixed_size 8192
		.amdhsa_private_segment_fixed_size 64
		.amdhsa_kernarg_size 400
		.amdhsa_user_sgpr_count 8
		.amdhsa_user_sgpr_private_segment_buffer 1
		.amdhsa_user_sgpr_dispatch_ptr 0
		.amdhsa_user_sgpr_queue_ptr 0
		.amdhsa_user_sgpr_kernarg_segment_ptr 1
		.amdhsa_user_sgpr_dispatch_id 0
		.amdhsa_user_sgpr_flat_scratch_init 1
		.amdhsa_user_sgpr_kernarg_preload_length 0
		.amdhsa_user_sgpr_kernarg_preload_offset 0
		.amdhsa_user_sgpr_private_segment_size 0
		.amdhsa_uses_dynamic_stack 0
		.amdhsa_system_sgpr_private_segment_wavefront_offset 1
		.amdhsa_system_sgpr_workgroup_id_x 1
		.amdhsa_system_sgpr_workgroup_id_y 1
		.amdhsa_system_sgpr_workgroup_id_z 1
		.amdhsa_system_sgpr_workgroup_info 0
		.amdhsa_system_vgpr_workitem_id 0
		.amdhsa_next_free_vgpr 45
		.amdhsa_next_free_sgpr 34
		.amdhsa_accum_offset 44
		.amdhsa_reserve_vcc 1
		.amdhsa_reserve_flat_scratch 1
		.amdhsa_float_round_mode_32 0
		.amdhsa_float_round_mode_16_64 0
		.amdhsa_float_denorm_mode_32 3
		.amdhsa_float_denorm_mode_16_64 3
		.amdhsa_dx10_clamp 1
		.amdhsa_ieee_mode 1
		.amdhsa_fp16_overflow 0
		.amdhsa_tg_split 0
		.amdhsa_exception_fp_ieee_invalid_op 0
		.amdhsa_exception_fp_denorm_src 0
		.amdhsa_exception_fp_ieee_div_zero 0
		.amdhsa_exception_fp_ieee_overflow 0
		.amdhsa_exception_fp_ieee_underflow 0
		.amdhsa_exception_fp_ieee_inexact 0
		.amdhsa_exception_int_div_zero 0
	.end_amdhsa_kernel
	.section	.text._Z39paged_attention_ll4mi_QKV_mfma16_kernelI14__hip_bfloat16hLN4vllm18Fp8KVCacheDataTypeE1ES0_Li16ELi64ELi256ELb1ELi10EL8MFMAType1EEvPKT_PKT0_S9_ifPKiSB_SB_iPKfiiiPfSE_PS4_PT2_iSD_SD_,"axG",@progbits,_Z39paged_attention_ll4mi_QKV_mfma16_kernelI14__hip_bfloat16hLN4vllm18Fp8KVCacheDataTypeE1ES0_Li16ELi64ELi256ELb1ELi10EL8MFMAType1EEvPKT_PKT0_S9_ifPKiSB_SB_iPKfiiiPfSE_PS4_PT2_iSD_SD_,comdat
.Lfunc_end683:
	.size	_Z39paged_attention_ll4mi_QKV_mfma16_kernelI14__hip_bfloat16hLN4vllm18Fp8KVCacheDataTypeE1ES0_Li16ELi64ELi256ELb1ELi10EL8MFMAType1EEvPKT_PKT0_S9_ifPKiSB_SB_iPKfiiiPfSE_PS4_PT2_iSD_SD_, .Lfunc_end683-_Z39paged_attention_ll4mi_QKV_mfma16_kernelI14__hip_bfloat16hLN4vllm18Fp8KVCacheDataTypeE1ES0_Li16ELi64ELi256ELb1ELi10EL8MFMAType1EEvPKT_PKT0_S9_ifPKiSB_SB_iPKfiiiPfSE_PS4_PT2_iSD_SD_
                                        ; -- End function
	.section	.AMDGPU.csdata,"",@progbits
; Kernel info:
; codeLenInByte = 504
; NumSgprs: 40
; NumVgprs: 42
; NumAgprs: 1
; TotalNumVgprs: 45
; ScratchSize: 64
; MemoryBound: 0
; FloatMode: 240
; IeeeMode: 1
; LDSByteSize: 8192 bytes/workgroup (compile time only)
; SGPRBlocks: 4
; VGPRBlocks: 5
; NumSGPRsForWavesPerEU: 40
; NumVGPRsForWavesPerEU: 45
; AccumOffset: 44
; Occupancy: 8
; WaveLimiterHint : 1
; COMPUTE_PGM_RSRC2:SCRATCH_EN: 1
; COMPUTE_PGM_RSRC2:USER_SGPR: 8
; COMPUTE_PGM_RSRC2:TRAP_HANDLER: 0
; COMPUTE_PGM_RSRC2:TGID_X_EN: 1
; COMPUTE_PGM_RSRC2:TGID_Y_EN: 1
; COMPUTE_PGM_RSRC2:TGID_Z_EN: 1
; COMPUTE_PGM_RSRC2:TIDIG_COMP_CNT: 0
; COMPUTE_PGM_RSRC3_GFX90A:ACCUM_OFFSET: 10
; COMPUTE_PGM_RSRC3_GFX90A:TG_SPLIT: 0
	.section	.text._Z39paged_attention_ll4mi_QKV_mfma16_kernelI14__hip_bfloat16hLN4vllm18Fp8KVCacheDataTypeE1ES0_Li16ELi64ELi256ELb1ELi11EL8MFMAType1EEvPKT_PKT0_S9_ifPKiSB_SB_iPKfiiiPfSE_PS4_PT2_iSD_SD_,"axG",@progbits,_Z39paged_attention_ll4mi_QKV_mfma16_kernelI14__hip_bfloat16hLN4vllm18Fp8KVCacheDataTypeE1ES0_Li16ELi64ELi256ELb1ELi11EL8MFMAType1EEvPKT_PKT0_S9_ifPKiSB_SB_iPKfiiiPfSE_PS4_PT2_iSD_SD_,comdat
	.protected	_Z39paged_attention_ll4mi_QKV_mfma16_kernelI14__hip_bfloat16hLN4vllm18Fp8KVCacheDataTypeE1ES0_Li16ELi64ELi256ELb1ELi11EL8MFMAType1EEvPKT_PKT0_S9_ifPKiSB_SB_iPKfiiiPfSE_PS4_PT2_iSD_SD_ ; -- Begin function _Z39paged_attention_ll4mi_QKV_mfma16_kernelI14__hip_bfloat16hLN4vllm18Fp8KVCacheDataTypeE1ES0_Li16ELi64ELi256ELb1ELi11EL8MFMAType1EEvPKT_PKT0_S9_ifPKiSB_SB_iPKfiiiPfSE_PS4_PT2_iSD_SD_
	.globl	_Z39paged_attention_ll4mi_QKV_mfma16_kernelI14__hip_bfloat16hLN4vllm18Fp8KVCacheDataTypeE1ES0_Li16ELi64ELi256ELb1ELi11EL8MFMAType1EEvPKT_PKT0_S9_ifPKiSB_SB_iPKfiiiPfSE_PS4_PT2_iSD_SD_
	.p2align	8
	.type	_Z39paged_attention_ll4mi_QKV_mfma16_kernelI14__hip_bfloat16hLN4vllm18Fp8KVCacheDataTypeE1ES0_Li16ELi64ELi256ELb1ELi11EL8MFMAType1EEvPKT_PKT0_S9_ifPKiSB_SB_iPKfiiiPfSE_PS4_PT2_iSD_SD_,@function
_Z39paged_attention_ll4mi_QKV_mfma16_kernelI14__hip_bfloat16hLN4vllm18Fp8KVCacheDataTypeE1ES0_Li16ELi64ELi256ELb1ELi11EL8MFMAType1EEvPKT_PKT0_S9_ifPKiSB_SB_iPKfiiiPfSE_PS4_PT2_iSD_SD_: ; @_Z39paged_attention_ll4mi_QKV_mfma16_kernelI14__hip_bfloat16hLN4vllm18Fp8KVCacheDataTypeE1ES0_Li16ELi64ELi256ELb1ELi11EL8MFMAType1EEvPKT_PKT0_S9_ifPKiSB_SB_iPKfiiiPfSE_PS4_PT2_iSD_SD_
; %bb.0:
	s_load_dwordx2 s[12:13], s[4:5], 0x30
	s_add_u32 flat_scratch_lo, s6, s11
	s_addc_u32 flat_scratch_hi, s7, 0
	s_add_u32 s0, s0, s11
	s_addc_u32 s1, s1, 0
	s_waitcnt lgkmcnt(0)
	s_cmp_lg_u64 s[12:13], 0
	s_cselect_b64 s[14:15], -1, 0
	s_mov_b32 s6, s9
	s_mov_b64 s[16:17], 0
	s_and_b64 vcc, exec, s[14:15]
	s_mov_b32 s32, 0
	s_cbranch_vccz .LBB684_11
; %bb.1:
	s_add_i32 s18, s8, 1
	s_mov_b32 s19, 0
	s_lshl_b64 s[20:21], s[18:19], 2
	s_add_u32 s20, s12, s20
	s_mov_b32 s9, s19
	s_addc_u32 s21, s13, s21
	s_lshl_b64 s[18:19], s[8:9], 2
	s_add_u32 s18, s12, s18
	s_addc_u32 s19, s13, s19
	s_load_dword s7, s[20:21], 0x0
	s_load_dword s11, s[18:19], 0x0
	s_waitcnt lgkmcnt(0)
	s_sub_i32 s7, s7, s11
	s_cmp_eq_u32 s7, 1
	s_cselect_b64 s[18:19], -1, 0
	s_andn2_b64 vcc, exec, s[16:17]
	s_cbranch_vccnz .LBB684_3
.LBB684_2:
	s_mov_b32 s9, 0
	s_mov_b64 s[18:19], -1
.LBB684_3:
	s_andn2_b64 vcc, exec, s[18:19]
	s_cbranch_vccnz .LBB684_10
; %bb.4:
	s_load_dwordx2 s[18:19], s[4:5], 0x28
	s_lshl_b64 s[16:17], s[8:9], 2
	s_waitcnt lgkmcnt(0)
	s_add_u32 s18, s18, s16
	s_addc_u32 s19, s19, s17
	s_load_dword s7, s[18:19], 0x0
	s_lshl_b32 s6, s6, 8
	s_waitcnt lgkmcnt(0)
	s_cmp_ge_i32 s6, s7
	s_cbranch_scc1 .LBB684_10
; %bb.5:
	s_andn2_b64 vcc, exec, s[14:15]
	s_cbranch_vccnz .LBB684_7
; %bb.6:
	s_add_u32 s6, s12, s16
	s_addc_u32 s7, s13, s17
	s_load_dword s8, s[6:7], 0x0
.LBB684_7:
	v_and_b32_e32 v1, 15, v0
	s_movk_i32 s6, 0xb0
	v_cmp_gt_u32_e32 vcc, s6, v0
	v_cmp_gt_u32_e64 s[6:7], 8, v1
	s_and_b64 s[12:13], s[6:7], vcc
	s_and_saveexec_b64 s[6:7], s[12:13]
	s_cbranch_execz .LBB684_9
; %bb.8:
	s_load_dword s11, s[4:5], 0x48
	s_load_dwordx2 s[12:13], s[4:5], 0x0
	v_lshrrev_b32_e32 v6, 4, v0
	s_mul_i32 s10, s10, 11
	v_add_lshl_u32 v2, v6, s10, 6
	s_waitcnt lgkmcnt(0)
	s_ashr_i32 s9, s11, 31
	s_mul_hi_u32 s14, s8, s11
	s_mul_i32 s9, s8, s9
	s_add_i32 s9, s14, s9
	s_mul_i32 s8, s8, s11
	s_lshl_b64 s[8:9], s[8:9], 1
	s_add_u32 s8, s12, s8
	v_ashrrev_i32_e32 v3, 31, v2
	s_addc_u32 s9, s13, s9
	v_lshlrev_b64 v[2:3], 1, v[2:3]
	v_mov_b32_e32 v4, s9
	v_add_co_u32_e32 v2, vcc, s8, v2
	v_addc_co_u32_e32 v3, vcc, v4, v3, vcc
	v_lshlrev_b32_e32 v4, 4, v1
	v_add_co_u32_e32 v2, vcc, v2, v4
	v_addc_co_u32_e32 v3, vcc, 0, v3, vcc
	global_load_dwordx4 v[2:5], v[2:3], off
	v_lshlrev_b32_e32 v0, 4, v0
	v_lshlrev_b32_e32 v1, 8, v1
	v_and_b32_e32 v0, 16, v0
	v_lshlrev_b32_e32 v6, 5, v6
	v_and_b32_e32 v1, 0xe00, v1
	v_or3_b32 v0, v1, v6, v0
	s_waitcnt vmcnt(0)
	ds_write_b128 v0, v[2:5]
.LBB684_9:
	s_or_b64 exec, exec, s[6:7]
	s_waitcnt lgkmcnt(0)
	s_add_u32 s8, s4, 0x90
	s_addc_u32 s9, s5, 0
	s_getpc_b64 s[4:5]
	s_add_u32 s4, s4, __PRETTY_FUNCTION__._Z39paged_attention_ll4mi_QKV_mfma16_kernelI14__hip_bfloat16hLN4vllm18Fp8KVCacheDataTypeE1ES0_Li16ELi64ELi256ELb1ELi11EL8MFMAType1EEvPKT_PKT0_S9_ifPKiSB_SB_iPKfiiiPfSE_PS4_PT2_iSD_SD_@rel32@lo+4
	s_addc_u32 s5, s5, __PRETTY_FUNCTION__._Z39paged_attention_ll4mi_QKV_mfma16_kernelI14__hip_bfloat16hLN4vllm18Fp8KVCacheDataTypeE1ES0_Li16ELi64ELi256ELb1ELi11EL8MFMAType1EEvPKT_PKT0_S9_ifPKiSB_SB_iPKfiiiPfSE_PS4_PT2_iSD_SD_@rel32@hi+12
	v_mov_b32_e32 v0, 0x288
	v_mov_b32_e32 v1, s4
	v_mov_b32_e32 v2, s5
	s_barrier
	s_getpc_b64 s[6:7]
	s_add_u32 s6, s6, __assert_fail@rel32@lo+4
	s_addc_u32 s7, s7, __assert_fail@rel32@hi+12
	s_swappc_b64 s[30:31], s[6:7]
	; divergent unreachable
.LBB684_10:
	s_endpgm
.LBB684_11:
	s_mov_b64 s[18:19], 0
	s_branch .LBB684_2
	.section	.rodata,"a",@progbits
	.p2align	6, 0x0
	.amdhsa_kernel _Z39paged_attention_ll4mi_QKV_mfma16_kernelI14__hip_bfloat16hLN4vllm18Fp8KVCacheDataTypeE1ES0_Li16ELi64ELi256ELb1ELi11EL8MFMAType1EEvPKT_PKT0_S9_ifPKiSB_SB_iPKfiiiPfSE_PS4_PT2_iSD_SD_
		.amdhsa_group_segment_fixed_size 8192
		.amdhsa_private_segment_fixed_size 64
		.amdhsa_kernarg_size 400
		.amdhsa_user_sgpr_count 8
		.amdhsa_user_sgpr_private_segment_buffer 1
		.amdhsa_user_sgpr_dispatch_ptr 0
		.amdhsa_user_sgpr_queue_ptr 0
		.amdhsa_user_sgpr_kernarg_segment_ptr 1
		.amdhsa_user_sgpr_dispatch_id 0
		.amdhsa_user_sgpr_flat_scratch_init 1
		.amdhsa_user_sgpr_kernarg_preload_length 0
		.amdhsa_user_sgpr_kernarg_preload_offset 0
		.amdhsa_user_sgpr_private_segment_size 0
		.amdhsa_uses_dynamic_stack 0
		.amdhsa_system_sgpr_private_segment_wavefront_offset 1
		.amdhsa_system_sgpr_workgroup_id_x 1
		.amdhsa_system_sgpr_workgroup_id_y 1
		.amdhsa_system_sgpr_workgroup_id_z 1
		.amdhsa_system_sgpr_workgroup_info 0
		.amdhsa_system_vgpr_workitem_id 0
		.amdhsa_next_free_vgpr 45
		.amdhsa_next_free_sgpr 34
		.amdhsa_accum_offset 44
		.amdhsa_reserve_vcc 1
		.amdhsa_reserve_flat_scratch 1
		.amdhsa_float_round_mode_32 0
		.amdhsa_float_round_mode_16_64 0
		.amdhsa_float_denorm_mode_32 3
		.amdhsa_float_denorm_mode_16_64 3
		.amdhsa_dx10_clamp 1
		.amdhsa_ieee_mode 1
		.amdhsa_fp16_overflow 0
		.amdhsa_tg_split 0
		.amdhsa_exception_fp_ieee_invalid_op 0
		.amdhsa_exception_fp_denorm_src 0
		.amdhsa_exception_fp_ieee_div_zero 0
		.amdhsa_exception_fp_ieee_overflow 0
		.amdhsa_exception_fp_ieee_underflow 0
		.amdhsa_exception_fp_ieee_inexact 0
		.amdhsa_exception_int_div_zero 0
	.end_amdhsa_kernel
	.section	.text._Z39paged_attention_ll4mi_QKV_mfma16_kernelI14__hip_bfloat16hLN4vllm18Fp8KVCacheDataTypeE1ES0_Li16ELi64ELi256ELb1ELi11EL8MFMAType1EEvPKT_PKT0_S9_ifPKiSB_SB_iPKfiiiPfSE_PS4_PT2_iSD_SD_,"axG",@progbits,_Z39paged_attention_ll4mi_QKV_mfma16_kernelI14__hip_bfloat16hLN4vllm18Fp8KVCacheDataTypeE1ES0_Li16ELi64ELi256ELb1ELi11EL8MFMAType1EEvPKT_PKT0_S9_ifPKiSB_SB_iPKfiiiPfSE_PS4_PT2_iSD_SD_,comdat
.Lfunc_end684:
	.size	_Z39paged_attention_ll4mi_QKV_mfma16_kernelI14__hip_bfloat16hLN4vllm18Fp8KVCacheDataTypeE1ES0_Li16ELi64ELi256ELb1ELi11EL8MFMAType1EEvPKT_PKT0_S9_ifPKiSB_SB_iPKfiiiPfSE_PS4_PT2_iSD_SD_, .Lfunc_end684-_Z39paged_attention_ll4mi_QKV_mfma16_kernelI14__hip_bfloat16hLN4vllm18Fp8KVCacheDataTypeE1ES0_Li16ELi64ELi256ELb1ELi11EL8MFMAType1EEvPKT_PKT0_S9_ifPKiSB_SB_iPKfiiiPfSE_PS4_PT2_iSD_SD_
                                        ; -- End function
	.section	.AMDGPU.csdata,"",@progbits
; Kernel info:
; codeLenInByte = 504
; NumSgprs: 40
; NumVgprs: 42
; NumAgprs: 1
; TotalNumVgprs: 45
; ScratchSize: 64
; MemoryBound: 0
; FloatMode: 240
; IeeeMode: 1
; LDSByteSize: 8192 bytes/workgroup (compile time only)
; SGPRBlocks: 4
; VGPRBlocks: 5
; NumSGPRsForWavesPerEU: 40
; NumVGPRsForWavesPerEU: 45
; AccumOffset: 44
; Occupancy: 8
; WaveLimiterHint : 1
; COMPUTE_PGM_RSRC2:SCRATCH_EN: 1
; COMPUTE_PGM_RSRC2:USER_SGPR: 8
; COMPUTE_PGM_RSRC2:TRAP_HANDLER: 0
; COMPUTE_PGM_RSRC2:TGID_X_EN: 1
; COMPUTE_PGM_RSRC2:TGID_Y_EN: 1
; COMPUTE_PGM_RSRC2:TGID_Z_EN: 1
; COMPUTE_PGM_RSRC2:TIDIG_COMP_CNT: 0
; COMPUTE_PGM_RSRC3_GFX90A:ACCUM_OFFSET: 10
; COMPUTE_PGM_RSRC3_GFX90A:TG_SPLIT: 0
	.section	.text._Z39paged_attention_ll4mi_QKV_mfma16_kernelI14__hip_bfloat16hLN4vllm18Fp8KVCacheDataTypeE1ES0_Li16ELi64ELi256ELb1ELi12EL8MFMAType1EEvPKT_PKT0_S9_ifPKiSB_SB_iPKfiiiPfSE_PS4_PT2_iSD_SD_,"axG",@progbits,_Z39paged_attention_ll4mi_QKV_mfma16_kernelI14__hip_bfloat16hLN4vllm18Fp8KVCacheDataTypeE1ES0_Li16ELi64ELi256ELb1ELi12EL8MFMAType1EEvPKT_PKT0_S9_ifPKiSB_SB_iPKfiiiPfSE_PS4_PT2_iSD_SD_,comdat
	.protected	_Z39paged_attention_ll4mi_QKV_mfma16_kernelI14__hip_bfloat16hLN4vllm18Fp8KVCacheDataTypeE1ES0_Li16ELi64ELi256ELb1ELi12EL8MFMAType1EEvPKT_PKT0_S9_ifPKiSB_SB_iPKfiiiPfSE_PS4_PT2_iSD_SD_ ; -- Begin function _Z39paged_attention_ll4mi_QKV_mfma16_kernelI14__hip_bfloat16hLN4vllm18Fp8KVCacheDataTypeE1ES0_Li16ELi64ELi256ELb1ELi12EL8MFMAType1EEvPKT_PKT0_S9_ifPKiSB_SB_iPKfiiiPfSE_PS4_PT2_iSD_SD_
	.globl	_Z39paged_attention_ll4mi_QKV_mfma16_kernelI14__hip_bfloat16hLN4vllm18Fp8KVCacheDataTypeE1ES0_Li16ELi64ELi256ELb1ELi12EL8MFMAType1EEvPKT_PKT0_S9_ifPKiSB_SB_iPKfiiiPfSE_PS4_PT2_iSD_SD_
	.p2align	8
	.type	_Z39paged_attention_ll4mi_QKV_mfma16_kernelI14__hip_bfloat16hLN4vllm18Fp8KVCacheDataTypeE1ES0_Li16ELi64ELi256ELb1ELi12EL8MFMAType1EEvPKT_PKT0_S9_ifPKiSB_SB_iPKfiiiPfSE_PS4_PT2_iSD_SD_,@function
_Z39paged_attention_ll4mi_QKV_mfma16_kernelI14__hip_bfloat16hLN4vllm18Fp8KVCacheDataTypeE1ES0_Li16ELi64ELi256ELb1ELi12EL8MFMAType1EEvPKT_PKT0_S9_ifPKiSB_SB_iPKfiiiPfSE_PS4_PT2_iSD_SD_: ; @_Z39paged_attention_ll4mi_QKV_mfma16_kernelI14__hip_bfloat16hLN4vllm18Fp8KVCacheDataTypeE1ES0_Li16ELi64ELi256ELb1ELi12EL8MFMAType1EEvPKT_PKT0_S9_ifPKiSB_SB_iPKfiiiPfSE_PS4_PT2_iSD_SD_
; %bb.0:
	s_load_dwordx2 s[12:13], s[4:5], 0x30
	s_add_u32 flat_scratch_lo, s6, s11
	s_addc_u32 flat_scratch_hi, s7, 0
	s_add_u32 s0, s0, s11
	s_addc_u32 s1, s1, 0
	s_waitcnt lgkmcnt(0)
	s_cmp_lg_u64 s[12:13], 0
	s_cselect_b64 s[14:15], -1, 0
	s_mov_b32 s6, s9
	s_mov_b64 s[16:17], 0
	s_and_b64 vcc, exec, s[14:15]
	s_mov_b32 s32, 0
	s_cbranch_vccz .LBB685_11
; %bb.1:
	s_add_i32 s18, s8, 1
	s_mov_b32 s19, 0
	s_lshl_b64 s[20:21], s[18:19], 2
	s_add_u32 s20, s12, s20
	s_mov_b32 s9, s19
	s_addc_u32 s21, s13, s21
	s_lshl_b64 s[18:19], s[8:9], 2
	s_add_u32 s18, s12, s18
	s_addc_u32 s19, s13, s19
	s_load_dword s7, s[20:21], 0x0
	s_load_dword s11, s[18:19], 0x0
	s_waitcnt lgkmcnt(0)
	s_sub_i32 s7, s7, s11
	s_cmp_eq_u32 s7, 1
	s_cselect_b64 s[18:19], -1, 0
	s_andn2_b64 vcc, exec, s[16:17]
	s_cbranch_vccnz .LBB685_3
.LBB685_2:
	s_mov_b32 s9, 0
	s_mov_b64 s[18:19], -1
.LBB685_3:
	s_andn2_b64 vcc, exec, s[18:19]
	s_cbranch_vccnz .LBB685_10
; %bb.4:
	s_load_dwordx2 s[18:19], s[4:5], 0x28
	s_lshl_b64 s[16:17], s[8:9], 2
	s_waitcnt lgkmcnt(0)
	s_add_u32 s18, s18, s16
	s_addc_u32 s19, s19, s17
	s_load_dword s7, s[18:19], 0x0
	s_lshl_b32 s6, s6, 8
	s_waitcnt lgkmcnt(0)
	s_cmp_ge_i32 s6, s7
	s_cbranch_scc1 .LBB685_10
; %bb.5:
	s_andn2_b64 vcc, exec, s[14:15]
	s_cbranch_vccnz .LBB685_7
; %bb.6:
	s_add_u32 s6, s12, s16
	s_addc_u32 s7, s13, s17
	s_load_dword s8, s[6:7], 0x0
.LBB685_7:
	v_and_b32_e32 v1, 15, v0
	s_movk_i32 s6, 0xc0
	v_cmp_gt_u32_e32 vcc, s6, v0
	v_cmp_gt_u32_e64 s[6:7], 8, v1
	s_and_b64 s[12:13], vcc, s[6:7]
	s_and_saveexec_b64 s[6:7], s[12:13]
	s_cbranch_execz .LBB685_9
; %bb.8:
	s_load_dword s11, s[4:5], 0x48
	s_load_dwordx2 s[12:13], s[4:5], 0x0
	v_lshrrev_b32_e32 v6, 4, v0
	s_mul_i32 s10, s10, 12
	v_add_lshl_u32 v2, v6, s10, 6
	s_waitcnt lgkmcnt(0)
	s_ashr_i32 s9, s11, 31
	s_mul_hi_u32 s14, s8, s11
	s_mul_i32 s9, s8, s9
	s_add_i32 s9, s14, s9
	s_mul_i32 s8, s8, s11
	s_lshl_b64 s[8:9], s[8:9], 1
	s_add_u32 s8, s12, s8
	v_ashrrev_i32_e32 v3, 31, v2
	s_addc_u32 s9, s13, s9
	v_lshlrev_b64 v[2:3], 1, v[2:3]
	v_mov_b32_e32 v4, s9
	v_add_co_u32_e32 v2, vcc, s8, v2
	v_addc_co_u32_e32 v3, vcc, v4, v3, vcc
	v_lshlrev_b32_e32 v4, 4, v1
	v_add_co_u32_e32 v2, vcc, v2, v4
	v_addc_co_u32_e32 v3, vcc, 0, v3, vcc
	global_load_dwordx4 v[2:5], v[2:3], off
	v_lshlrev_b32_e32 v0, 4, v0
	v_lshlrev_b32_e32 v1, 8, v1
	v_and_b32_e32 v0, 16, v0
	v_lshlrev_b32_e32 v6, 5, v6
	v_and_b32_e32 v1, 0xe00, v1
	v_or3_b32 v0, v1, v6, v0
	s_waitcnt vmcnt(0)
	ds_write_b128 v0, v[2:5]
.LBB685_9:
	s_or_b64 exec, exec, s[6:7]
	s_waitcnt lgkmcnt(0)
	s_add_u32 s8, s4, 0x90
	s_addc_u32 s9, s5, 0
	s_getpc_b64 s[4:5]
	s_add_u32 s4, s4, __PRETTY_FUNCTION__._Z39paged_attention_ll4mi_QKV_mfma16_kernelI14__hip_bfloat16hLN4vllm18Fp8KVCacheDataTypeE1ES0_Li16ELi64ELi256ELb1ELi12EL8MFMAType1EEvPKT_PKT0_S9_ifPKiSB_SB_iPKfiiiPfSE_PS4_PT2_iSD_SD_@rel32@lo+4
	s_addc_u32 s5, s5, __PRETTY_FUNCTION__._Z39paged_attention_ll4mi_QKV_mfma16_kernelI14__hip_bfloat16hLN4vllm18Fp8KVCacheDataTypeE1ES0_Li16ELi64ELi256ELb1ELi12EL8MFMAType1EEvPKT_PKT0_S9_ifPKiSB_SB_iPKfiiiPfSE_PS4_PT2_iSD_SD_@rel32@hi+12
	v_mov_b32_e32 v0, 0x288
	v_mov_b32_e32 v1, s4
	;; [unrolled: 1-line block ×3, first 2 shown]
	s_barrier
	s_getpc_b64 s[6:7]
	s_add_u32 s6, s6, __assert_fail@rel32@lo+4
	s_addc_u32 s7, s7, __assert_fail@rel32@hi+12
	s_swappc_b64 s[30:31], s[6:7]
	; divergent unreachable
.LBB685_10:
	s_endpgm
.LBB685_11:
	s_mov_b64 s[18:19], 0
	s_branch .LBB685_2
	.section	.rodata,"a",@progbits
	.p2align	6, 0x0
	.amdhsa_kernel _Z39paged_attention_ll4mi_QKV_mfma16_kernelI14__hip_bfloat16hLN4vllm18Fp8KVCacheDataTypeE1ES0_Li16ELi64ELi256ELb1ELi12EL8MFMAType1EEvPKT_PKT0_S9_ifPKiSB_SB_iPKfiiiPfSE_PS4_PT2_iSD_SD_
		.amdhsa_group_segment_fixed_size 8192
		.amdhsa_private_segment_fixed_size 64
		.amdhsa_kernarg_size 400
		.amdhsa_user_sgpr_count 8
		.amdhsa_user_sgpr_private_segment_buffer 1
		.amdhsa_user_sgpr_dispatch_ptr 0
		.amdhsa_user_sgpr_queue_ptr 0
		.amdhsa_user_sgpr_kernarg_segment_ptr 1
		.amdhsa_user_sgpr_dispatch_id 0
		.amdhsa_user_sgpr_flat_scratch_init 1
		.amdhsa_user_sgpr_kernarg_preload_length 0
		.amdhsa_user_sgpr_kernarg_preload_offset 0
		.amdhsa_user_sgpr_private_segment_size 0
		.amdhsa_uses_dynamic_stack 0
		.amdhsa_system_sgpr_private_segment_wavefront_offset 1
		.amdhsa_system_sgpr_workgroup_id_x 1
		.amdhsa_system_sgpr_workgroup_id_y 1
		.amdhsa_system_sgpr_workgroup_id_z 1
		.amdhsa_system_sgpr_workgroup_info 0
		.amdhsa_system_vgpr_workitem_id 0
		.amdhsa_next_free_vgpr 45
		.amdhsa_next_free_sgpr 34
		.amdhsa_accum_offset 44
		.amdhsa_reserve_vcc 1
		.amdhsa_reserve_flat_scratch 1
		.amdhsa_float_round_mode_32 0
		.amdhsa_float_round_mode_16_64 0
		.amdhsa_float_denorm_mode_32 3
		.amdhsa_float_denorm_mode_16_64 3
		.amdhsa_dx10_clamp 1
		.amdhsa_ieee_mode 1
		.amdhsa_fp16_overflow 0
		.amdhsa_tg_split 0
		.amdhsa_exception_fp_ieee_invalid_op 0
		.amdhsa_exception_fp_denorm_src 0
		.amdhsa_exception_fp_ieee_div_zero 0
		.amdhsa_exception_fp_ieee_overflow 0
		.amdhsa_exception_fp_ieee_underflow 0
		.amdhsa_exception_fp_ieee_inexact 0
		.amdhsa_exception_int_div_zero 0
	.end_amdhsa_kernel
	.section	.text._Z39paged_attention_ll4mi_QKV_mfma16_kernelI14__hip_bfloat16hLN4vllm18Fp8KVCacheDataTypeE1ES0_Li16ELi64ELi256ELb1ELi12EL8MFMAType1EEvPKT_PKT0_S9_ifPKiSB_SB_iPKfiiiPfSE_PS4_PT2_iSD_SD_,"axG",@progbits,_Z39paged_attention_ll4mi_QKV_mfma16_kernelI14__hip_bfloat16hLN4vllm18Fp8KVCacheDataTypeE1ES0_Li16ELi64ELi256ELb1ELi12EL8MFMAType1EEvPKT_PKT0_S9_ifPKiSB_SB_iPKfiiiPfSE_PS4_PT2_iSD_SD_,comdat
.Lfunc_end685:
	.size	_Z39paged_attention_ll4mi_QKV_mfma16_kernelI14__hip_bfloat16hLN4vllm18Fp8KVCacheDataTypeE1ES0_Li16ELi64ELi256ELb1ELi12EL8MFMAType1EEvPKT_PKT0_S9_ifPKiSB_SB_iPKfiiiPfSE_PS4_PT2_iSD_SD_, .Lfunc_end685-_Z39paged_attention_ll4mi_QKV_mfma16_kernelI14__hip_bfloat16hLN4vllm18Fp8KVCacheDataTypeE1ES0_Li16ELi64ELi256ELb1ELi12EL8MFMAType1EEvPKT_PKT0_S9_ifPKiSB_SB_iPKfiiiPfSE_PS4_PT2_iSD_SD_
                                        ; -- End function
	.section	.AMDGPU.csdata,"",@progbits
; Kernel info:
; codeLenInByte = 504
; NumSgprs: 40
; NumVgprs: 42
; NumAgprs: 1
; TotalNumVgprs: 45
; ScratchSize: 64
; MemoryBound: 0
; FloatMode: 240
; IeeeMode: 1
; LDSByteSize: 8192 bytes/workgroup (compile time only)
; SGPRBlocks: 4
; VGPRBlocks: 5
; NumSGPRsForWavesPerEU: 40
; NumVGPRsForWavesPerEU: 45
; AccumOffset: 44
; Occupancy: 8
; WaveLimiterHint : 1
; COMPUTE_PGM_RSRC2:SCRATCH_EN: 1
; COMPUTE_PGM_RSRC2:USER_SGPR: 8
; COMPUTE_PGM_RSRC2:TRAP_HANDLER: 0
; COMPUTE_PGM_RSRC2:TGID_X_EN: 1
; COMPUTE_PGM_RSRC2:TGID_Y_EN: 1
; COMPUTE_PGM_RSRC2:TGID_Z_EN: 1
; COMPUTE_PGM_RSRC2:TIDIG_COMP_CNT: 0
; COMPUTE_PGM_RSRC3_GFX90A:ACCUM_OFFSET: 10
; COMPUTE_PGM_RSRC3_GFX90A:TG_SPLIT: 0
	.section	.text._Z39paged_attention_ll4mi_QKV_mfma16_kernelI14__hip_bfloat16hLN4vllm18Fp8KVCacheDataTypeE1ES0_Li16ELi64ELi256ELb1ELi13EL8MFMAType1EEvPKT_PKT0_S9_ifPKiSB_SB_iPKfiiiPfSE_PS4_PT2_iSD_SD_,"axG",@progbits,_Z39paged_attention_ll4mi_QKV_mfma16_kernelI14__hip_bfloat16hLN4vllm18Fp8KVCacheDataTypeE1ES0_Li16ELi64ELi256ELb1ELi13EL8MFMAType1EEvPKT_PKT0_S9_ifPKiSB_SB_iPKfiiiPfSE_PS4_PT2_iSD_SD_,comdat
	.protected	_Z39paged_attention_ll4mi_QKV_mfma16_kernelI14__hip_bfloat16hLN4vllm18Fp8KVCacheDataTypeE1ES0_Li16ELi64ELi256ELb1ELi13EL8MFMAType1EEvPKT_PKT0_S9_ifPKiSB_SB_iPKfiiiPfSE_PS4_PT2_iSD_SD_ ; -- Begin function _Z39paged_attention_ll4mi_QKV_mfma16_kernelI14__hip_bfloat16hLN4vllm18Fp8KVCacheDataTypeE1ES0_Li16ELi64ELi256ELb1ELi13EL8MFMAType1EEvPKT_PKT0_S9_ifPKiSB_SB_iPKfiiiPfSE_PS4_PT2_iSD_SD_
	.globl	_Z39paged_attention_ll4mi_QKV_mfma16_kernelI14__hip_bfloat16hLN4vllm18Fp8KVCacheDataTypeE1ES0_Li16ELi64ELi256ELb1ELi13EL8MFMAType1EEvPKT_PKT0_S9_ifPKiSB_SB_iPKfiiiPfSE_PS4_PT2_iSD_SD_
	.p2align	8
	.type	_Z39paged_attention_ll4mi_QKV_mfma16_kernelI14__hip_bfloat16hLN4vllm18Fp8KVCacheDataTypeE1ES0_Li16ELi64ELi256ELb1ELi13EL8MFMAType1EEvPKT_PKT0_S9_ifPKiSB_SB_iPKfiiiPfSE_PS4_PT2_iSD_SD_,@function
_Z39paged_attention_ll4mi_QKV_mfma16_kernelI14__hip_bfloat16hLN4vllm18Fp8KVCacheDataTypeE1ES0_Li16ELi64ELi256ELb1ELi13EL8MFMAType1EEvPKT_PKT0_S9_ifPKiSB_SB_iPKfiiiPfSE_PS4_PT2_iSD_SD_: ; @_Z39paged_attention_ll4mi_QKV_mfma16_kernelI14__hip_bfloat16hLN4vllm18Fp8KVCacheDataTypeE1ES0_Li16ELi64ELi256ELb1ELi13EL8MFMAType1EEvPKT_PKT0_S9_ifPKiSB_SB_iPKfiiiPfSE_PS4_PT2_iSD_SD_
; %bb.0:
	s_load_dwordx2 s[12:13], s[4:5], 0x30
	s_add_u32 flat_scratch_lo, s6, s11
	s_addc_u32 flat_scratch_hi, s7, 0
	s_add_u32 s0, s0, s11
	s_addc_u32 s1, s1, 0
	s_waitcnt lgkmcnt(0)
	s_cmp_lg_u64 s[12:13], 0
	s_cselect_b64 s[14:15], -1, 0
	s_mov_b32 s6, s9
	s_mov_b64 s[16:17], 0
	s_and_b64 vcc, exec, s[14:15]
	s_mov_b32 s32, 0
	s_cbranch_vccz .LBB686_11
; %bb.1:
	s_add_i32 s18, s8, 1
	s_mov_b32 s19, 0
	s_lshl_b64 s[20:21], s[18:19], 2
	s_add_u32 s20, s12, s20
	s_mov_b32 s9, s19
	s_addc_u32 s21, s13, s21
	s_lshl_b64 s[18:19], s[8:9], 2
	s_add_u32 s18, s12, s18
	s_addc_u32 s19, s13, s19
	s_load_dword s7, s[20:21], 0x0
	s_load_dword s11, s[18:19], 0x0
	s_waitcnt lgkmcnt(0)
	s_sub_i32 s7, s7, s11
	s_cmp_eq_u32 s7, 1
	s_cselect_b64 s[18:19], -1, 0
	s_andn2_b64 vcc, exec, s[16:17]
	s_cbranch_vccnz .LBB686_3
.LBB686_2:
	s_mov_b32 s9, 0
	s_mov_b64 s[18:19], -1
.LBB686_3:
	s_andn2_b64 vcc, exec, s[18:19]
	s_cbranch_vccnz .LBB686_10
; %bb.4:
	s_load_dwordx2 s[18:19], s[4:5], 0x28
	s_lshl_b64 s[16:17], s[8:9], 2
	s_waitcnt lgkmcnt(0)
	s_add_u32 s18, s18, s16
	s_addc_u32 s19, s19, s17
	s_load_dword s7, s[18:19], 0x0
	s_lshl_b32 s6, s6, 8
	s_waitcnt lgkmcnt(0)
	s_cmp_ge_i32 s6, s7
	s_cbranch_scc1 .LBB686_10
; %bb.5:
	s_andn2_b64 vcc, exec, s[14:15]
	s_cbranch_vccnz .LBB686_7
; %bb.6:
	s_add_u32 s6, s12, s16
	s_addc_u32 s7, s13, s17
	s_load_dword s8, s[6:7], 0x0
.LBB686_7:
	v_and_b32_e32 v1, 15, v0
	s_movk_i32 s6, 0xd0
	v_cmp_gt_u32_e32 vcc, s6, v0
	v_cmp_gt_u32_e64 s[6:7], 8, v1
	s_and_b64 s[12:13], s[6:7], vcc
	s_and_saveexec_b64 s[6:7], s[12:13]
	s_cbranch_execz .LBB686_9
; %bb.8:
	s_load_dword s11, s[4:5], 0x48
	s_load_dwordx2 s[12:13], s[4:5], 0x0
	v_lshrrev_b32_e32 v6, 4, v0
	s_mul_i32 s10, s10, 13
	v_add_lshl_u32 v2, v6, s10, 6
	s_waitcnt lgkmcnt(0)
	s_ashr_i32 s9, s11, 31
	s_mul_hi_u32 s14, s8, s11
	s_mul_i32 s9, s8, s9
	s_add_i32 s9, s14, s9
	s_mul_i32 s8, s8, s11
	s_lshl_b64 s[8:9], s[8:9], 1
	s_add_u32 s8, s12, s8
	v_ashrrev_i32_e32 v3, 31, v2
	s_addc_u32 s9, s13, s9
	v_lshlrev_b64 v[2:3], 1, v[2:3]
	v_mov_b32_e32 v4, s9
	v_add_co_u32_e32 v2, vcc, s8, v2
	v_addc_co_u32_e32 v3, vcc, v4, v3, vcc
	v_lshlrev_b32_e32 v4, 4, v1
	v_add_co_u32_e32 v2, vcc, v2, v4
	v_addc_co_u32_e32 v3, vcc, 0, v3, vcc
	global_load_dwordx4 v[2:5], v[2:3], off
	v_lshlrev_b32_e32 v0, 4, v0
	v_lshlrev_b32_e32 v1, 8, v1
	v_and_b32_e32 v0, 16, v0
	v_lshlrev_b32_e32 v6, 5, v6
	v_and_b32_e32 v1, 0xe00, v1
	v_or3_b32 v0, v1, v6, v0
	s_waitcnt vmcnt(0)
	ds_write_b128 v0, v[2:5]
.LBB686_9:
	s_or_b64 exec, exec, s[6:7]
	s_waitcnt lgkmcnt(0)
	s_add_u32 s8, s4, 0x90
	s_addc_u32 s9, s5, 0
	s_getpc_b64 s[4:5]
	s_add_u32 s4, s4, __PRETTY_FUNCTION__._Z39paged_attention_ll4mi_QKV_mfma16_kernelI14__hip_bfloat16hLN4vllm18Fp8KVCacheDataTypeE1ES0_Li16ELi64ELi256ELb1ELi13EL8MFMAType1EEvPKT_PKT0_S9_ifPKiSB_SB_iPKfiiiPfSE_PS4_PT2_iSD_SD_@rel32@lo+4
	s_addc_u32 s5, s5, __PRETTY_FUNCTION__._Z39paged_attention_ll4mi_QKV_mfma16_kernelI14__hip_bfloat16hLN4vllm18Fp8KVCacheDataTypeE1ES0_Li16ELi64ELi256ELb1ELi13EL8MFMAType1EEvPKT_PKT0_S9_ifPKiSB_SB_iPKfiiiPfSE_PS4_PT2_iSD_SD_@rel32@hi+12
	v_mov_b32_e32 v0, 0x288
	v_mov_b32_e32 v1, s4
	;; [unrolled: 1-line block ×3, first 2 shown]
	s_barrier
	s_getpc_b64 s[6:7]
	s_add_u32 s6, s6, __assert_fail@rel32@lo+4
	s_addc_u32 s7, s7, __assert_fail@rel32@hi+12
	s_swappc_b64 s[30:31], s[6:7]
	; divergent unreachable
.LBB686_10:
	s_endpgm
.LBB686_11:
	s_mov_b64 s[18:19], 0
	s_branch .LBB686_2
	.section	.rodata,"a",@progbits
	.p2align	6, 0x0
	.amdhsa_kernel _Z39paged_attention_ll4mi_QKV_mfma16_kernelI14__hip_bfloat16hLN4vllm18Fp8KVCacheDataTypeE1ES0_Li16ELi64ELi256ELb1ELi13EL8MFMAType1EEvPKT_PKT0_S9_ifPKiSB_SB_iPKfiiiPfSE_PS4_PT2_iSD_SD_
		.amdhsa_group_segment_fixed_size 8192
		.amdhsa_private_segment_fixed_size 64
		.amdhsa_kernarg_size 400
		.amdhsa_user_sgpr_count 8
		.amdhsa_user_sgpr_private_segment_buffer 1
		.amdhsa_user_sgpr_dispatch_ptr 0
		.amdhsa_user_sgpr_queue_ptr 0
		.amdhsa_user_sgpr_kernarg_segment_ptr 1
		.amdhsa_user_sgpr_dispatch_id 0
		.amdhsa_user_sgpr_flat_scratch_init 1
		.amdhsa_user_sgpr_kernarg_preload_length 0
		.amdhsa_user_sgpr_kernarg_preload_offset 0
		.amdhsa_user_sgpr_private_segment_size 0
		.amdhsa_uses_dynamic_stack 0
		.amdhsa_system_sgpr_private_segment_wavefront_offset 1
		.amdhsa_system_sgpr_workgroup_id_x 1
		.amdhsa_system_sgpr_workgroup_id_y 1
		.amdhsa_system_sgpr_workgroup_id_z 1
		.amdhsa_system_sgpr_workgroup_info 0
		.amdhsa_system_vgpr_workitem_id 0
		.amdhsa_next_free_vgpr 45
		.amdhsa_next_free_sgpr 34
		.amdhsa_accum_offset 44
		.amdhsa_reserve_vcc 1
		.amdhsa_reserve_flat_scratch 1
		.amdhsa_float_round_mode_32 0
		.amdhsa_float_round_mode_16_64 0
		.amdhsa_float_denorm_mode_32 3
		.amdhsa_float_denorm_mode_16_64 3
		.amdhsa_dx10_clamp 1
		.amdhsa_ieee_mode 1
		.amdhsa_fp16_overflow 0
		.amdhsa_tg_split 0
		.amdhsa_exception_fp_ieee_invalid_op 0
		.amdhsa_exception_fp_denorm_src 0
		.amdhsa_exception_fp_ieee_div_zero 0
		.amdhsa_exception_fp_ieee_overflow 0
		.amdhsa_exception_fp_ieee_underflow 0
		.amdhsa_exception_fp_ieee_inexact 0
		.amdhsa_exception_int_div_zero 0
	.end_amdhsa_kernel
	.section	.text._Z39paged_attention_ll4mi_QKV_mfma16_kernelI14__hip_bfloat16hLN4vllm18Fp8KVCacheDataTypeE1ES0_Li16ELi64ELi256ELb1ELi13EL8MFMAType1EEvPKT_PKT0_S9_ifPKiSB_SB_iPKfiiiPfSE_PS4_PT2_iSD_SD_,"axG",@progbits,_Z39paged_attention_ll4mi_QKV_mfma16_kernelI14__hip_bfloat16hLN4vllm18Fp8KVCacheDataTypeE1ES0_Li16ELi64ELi256ELb1ELi13EL8MFMAType1EEvPKT_PKT0_S9_ifPKiSB_SB_iPKfiiiPfSE_PS4_PT2_iSD_SD_,comdat
.Lfunc_end686:
	.size	_Z39paged_attention_ll4mi_QKV_mfma16_kernelI14__hip_bfloat16hLN4vllm18Fp8KVCacheDataTypeE1ES0_Li16ELi64ELi256ELb1ELi13EL8MFMAType1EEvPKT_PKT0_S9_ifPKiSB_SB_iPKfiiiPfSE_PS4_PT2_iSD_SD_, .Lfunc_end686-_Z39paged_attention_ll4mi_QKV_mfma16_kernelI14__hip_bfloat16hLN4vllm18Fp8KVCacheDataTypeE1ES0_Li16ELi64ELi256ELb1ELi13EL8MFMAType1EEvPKT_PKT0_S9_ifPKiSB_SB_iPKfiiiPfSE_PS4_PT2_iSD_SD_
                                        ; -- End function
	.section	.AMDGPU.csdata,"",@progbits
; Kernel info:
; codeLenInByte = 504
; NumSgprs: 40
; NumVgprs: 42
; NumAgprs: 1
; TotalNumVgprs: 45
; ScratchSize: 64
; MemoryBound: 0
; FloatMode: 240
; IeeeMode: 1
; LDSByteSize: 8192 bytes/workgroup (compile time only)
; SGPRBlocks: 4
; VGPRBlocks: 5
; NumSGPRsForWavesPerEU: 40
; NumVGPRsForWavesPerEU: 45
; AccumOffset: 44
; Occupancy: 8
; WaveLimiterHint : 1
; COMPUTE_PGM_RSRC2:SCRATCH_EN: 1
; COMPUTE_PGM_RSRC2:USER_SGPR: 8
; COMPUTE_PGM_RSRC2:TRAP_HANDLER: 0
; COMPUTE_PGM_RSRC2:TGID_X_EN: 1
; COMPUTE_PGM_RSRC2:TGID_Y_EN: 1
; COMPUTE_PGM_RSRC2:TGID_Z_EN: 1
; COMPUTE_PGM_RSRC2:TIDIG_COMP_CNT: 0
; COMPUTE_PGM_RSRC3_GFX90A:ACCUM_OFFSET: 10
; COMPUTE_PGM_RSRC3_GFX90A:TG_SPLIT: 0
	.section	.text._Z39paged_attention_ll4mi_QKV_mfma16_kernelI14__hip_bfloat16hLN4vllm18Fp8KVCacheDataTypeE1ES0_Li16ELi64ELi256ELb1ELi14EL8MFMAType1EEvPKT_PKT0_S9_ifPKiSB_SB_iPKfiiiPfSE_PS4_PT2_iSD_SD_,"axG",@progbits,_Z39paged_attention_ll4mi_QKV_mfma16_kernelI14__hip_bfloat16hLN4vllm18Fp8KVCacheDataTypeE1ES0_Li16ELi64ELi256ELb1ELi14EL8MFMAType1EEvPKT_PKT0_S9_ifPKiSB_SB_iPKfiiiPfSE_PS4_PT2_iSD_SD_,comdat
	.protected	_Z39paged_attention_ll4mi_QKV_mfma16_kernelI14__hip_bfloat16hLN4vllm18Fp8KVCacheDataTypeE1ES0_Li16ELi64ELi256ELb1ELi14EL8MFMAType1EEvPKT_PKT0_S9_ifPKiSB_SB_iPKfiiiPfSE_PS4_PT2_iSD_SD_ ; -- Begin function _Z39paged_attention_ll4mi_QKV_mfma16_kernelI14__hip_bfloat16hLN4vllm18Fp8KVCacheDataTypeE1ES0_Li16ELi64ELi256ELb1ELi14EL8MFMAType1EEvPKT_PKT0_S9_ifPKiSB_SB_iPKfiiiPfSE_PS4_PT2_iSD_SD_
	.globl	_Z39paged_attention_ll4mi_QKV_mfma16_kernelI14__hip_bfloat16hLN4vllm18Fp8KVCacheDataTypeE1ES0_Li16ELi64ELi256ELb1ELi14EL8MFMAType1EEvPKT_PKT0_S9_ifPKiSB_SB_iPKfiiiPfSE_PS4_PT2_iSD_SD_
	.p2align	8
	.type	_Z39paged_attention_ll4mi_QKV_mfma16_kernelI14__hip_bfloat16hLN4vllm18Fp8KVCacheDataTypeE1ES0_Li16ELi64ELi256ELb1ELi14EL8MFMAType1EEvPKT_PKT0_S9_ifPKiSB_SB_iPKfiiiPfSE_PS4_PT2_iSD_SD_,@function
_Z39paged_attention_ll4mi_QKV_mfma16_kernelI14__hip_bfloat16hLN4vllm18Fp8KVCacheDataTypeE1ES0_Li16ELi64ELi256ELb1ELi14EL8MFMAType1EEvPKT_PKT0_S9_ifPKiSB_SB_iPKfiiiPfSE_PS4_PT2_iSD_SD_: ; @_Z39paged_attention_ll4mi_QKV_mfma16_kernelI14__hip_bfloat16hLN4vllm18Fp8KVCacheDataTypeE1ES0_Li16ELi64ELi256ELb1ELi14EL8MFMAType1EEvPKT_PKT0_S9_ifPKiSB_SB_iPKfiiiPfSE_PS4_PT2_iSD_SD_
; %bb.0:
	s_load_dwordx2 s[12:13], s[4:5], 0x30
	s_add_u32 flat_scratch_lo, s6, s11
	s_addc_u32 flat_scratch_hi, s7, 0
	s_add_u32 s0, s0, s11
	s_addc_u32 s1, s1, 0
	s_waitcnt lgkmcnt(0)
	s_cmp_lg_u64 s[12:13], 0
	s_cselect_b64 s[14:15], -1, 0
	s_mov_b32 s6, s9
	s_mov_b64 s[16:17], 0
	s_and_b64 vcc, exec, s[14:15]
	s_mov_b32 s32, 0
	s_cbranch_vccz .LBB687_11
; %bb.1:
	s_add_i32 s18, s8, 1
	s_mov_b32 s19, 0
	s_lshl_b64 s[20:21], s[18:19], 2
	s_add_u32 s20, s12, s20
	s_mov_b32 s9, s19
	s_addc_u32 s21, s13, s21
	s_lshl_b64 s[18:19], s[8:9], 2
	s_add_u32 s18, s12, s18
	s_addc_u32 s19, s13, s19
	s_load_dword s7, s[20:21], 0x0
	s_load_dword s11, s[18:19], 0x0
	s_waitcnt lgkmcnt(0)
	s_sub_i32 s7, s7, s11
	s_cmp_eq_u32 s7, 1
	s_cselect_b64 s[18:19], -1, 0
	s_andn2_b64 vcc, exec, s[16:17]
	s_cbranch_vccnz .LBB687_3
.LBB687_2:
	s_mov_b32 s9, 0
	s_mov_b64 s[18:19], -1
.LBB687_3:
	s_andn2_b64 vcc, exec, s[18:19]
	s_cbranch_vccnz .LBB687_10
; %bb.4:
	s_load_dwordx2 s[18:19], s[4:5], 0x28
	s_lshl_b64 s[16:17], s[8:9], 2
	s_waitcnt lgkmcnt(0)
	s_add_u32 s18, s18, s16
	s_addc_u32 s19, s19, s17
	s_load_dword s7, s[18:19], 0x0
	s_lshl_b32 s6, s6, 8
	s_waitcnt lgkmcnt(0)
	s_cmp_ge_i32 s6, s7
	s_cbranch_scc1 .LBB687_10
; %bb.5:
	s_andn2_b64 vcc, exec, s[14:15]
	s_cbranch_vccnz .LBB687_7
; %bb.6:
	s_add_u32 s6, s12, s16
	s_addc_u32 s7, s13, s17
	s_load_dword s8, s[6:7], 0x0
.LBB687_7:
	v_and_b32_e32 v1, 15, v0
	s_movk_i32 s6, 0xe0
	v_cmp_gt_u32_e32 vcc, s6, v0
	v_cmp_gt_u32_e64 s[6:7], 8, v1
	s_and_b64 s[12:13], s[6:7], vcc
	s_and_saveexec_b64 s[6:7], s[12:13]
	s_cbranch_execz .LBB687_9
; %bb.8:
	s_load_dword s11, s[4:5], 0x48
	s_load_dwordx2 s[12:13], s[4:5], 0x0
	v_lshrrev_b32_e32 v6, 4, v0
	s_mul_i32 s10, s10, 14
	v_add_lshl_u32 v2, v6, s10, 6
	s_waitcnt lgkmcnt(0)
	s_ashr_i32 s9, s11, 31
	s_mul_hi_u32 s14, s8, s11
	s_mul_i32 s9, s8, s9
	s_add_i32 s9, s14, s9
	s_mul_i32 s8, s8, s11
	s_lshl_b64 s[8:9], s[8:9], 1
	s_add_u32 s8, s12, s8
	v_ashrrev_i32_e32 v3, 31, v2
	s_addc_u32 s9, s13, s9
	v_lshlrev_b64 v[2:3], 1, v[2:3]
	v_mov_b32_e32 v4, s9
	v_add_co_u32_e32 v2, vcc, s8, v2
	v_addc_co_u32_e32 v3, vcc, v4, v3, vcc
	v_lshlrev_b32_e32 v4, 4, v1
	v_add_co_u32_e32 v2, vcc, v2, v4
	v_addc_co_u32_e32 v3, vcc, 0, v3, vcc
	global_load_dwordx4 v[2:5], v[2:3], off
	v_lshlrev_b32_e32 v0, 4, v0
	v_lshlrev_b32_e32 v1, 8, v1
	v_and_b32_e32 v0, 16, v0
	v_lshlrev_b32_e32 v6, 5, v6
	v_and_b32_e32 v1, 0xe00, v1
	v_or3_b32 v0, v1, v6, v0
	s_waitcnt vmcnt(0)
	ds_write_b128 v0, v[2:5]
.LBB687_9:
	s_or_b64 exec, exec, s[6:7]
	s_waitcnt lgkmcnt(0)
	s_add_u32 s8, s4, 0x90
	s_addc_u32 s9, s5, 0
	s_getpc_b64 s[4:5]
	s_add_u32 s4, s4, __PRETTY_FUNCTION__._Z39paged_attention_ll4mi_QKV_mfma16_kernelI14__hip_bfloat16hLN4vllm18Fp8KVCacheDataTypeE1ES0_Li16ELi64ELi256ELb1ELi14EL8MFMAType1EEvPKT_PKT0_S9_ifPKiSB_SB_iPKfiiiPfSE_PS4_PT2_iSD_SD_@rel32@lo+4
	s_addc_u32 s5, s5, __PRETTY_FUNCTION__._Z39paged_attention_ll4mi_QKV_mfma16_kernelI14__hip_bfloat16hLN4vllm18Fp8KVCacheDataTypeE1ES0_Li16ELi64ELi256ELb1ELi14EL8MFMAType1EEvPKT_PKT0_S9_ifPKiSB_SB_iPKfiiiPfSE_PS4_PT2_iSD_SD_@rel32@hi+12
	v_mov_b32_e32 v0, 0x288
	v_mov_b32_e32 v1, s4
	v_mov_b32_e32 v2, s5
	s_barrier
	s_getpc_b64 s[6:7]
	s_add_u32 s6, s6, __assert_fail@rel32@lo+4
	s_addc_u32 s7, s7, __assert_fail@rel32@hi+12
	s_swappc_b64 s[30:31], s[6:7]
	; divergent unreachable
.LBB687_10:
	s_endpgm
.LBB687_11:
	s_mov_b64 s[18:19], 0
	s_branch .LBB687_2
	.section	.rodata,"a",@progbits
	.p2align	6, 0x0
	.amdhsa_kernel _Z39paged_attention_ll4mi_QKV_mfma16_kernelI14__hip_bfloat16hLN4vllm18Fp8KVCacheDataTypeE1ES0_Li16ELi64ELi256ELb1ELi14EL8MFMAType1EEvPKT_PKT0_S9_ifPKiSB_SB_iPKfiiiPfSE_PS4_PT2_iSD_SD_
		.amdhsa_group_segment_fixed_size 8192
		.amdhsa_private_segment_fixed_size 64
		.amdhsa_kernarg_size 400
		.amdhsa_user_sgpr_count 8
		.amdhsa_user_sgpr_private_segment_buffer 1
		.amdhsa_user_sgpr_dispatch_ptr 0
		.amdhsa_user_sgpr_queue_ptr 0
		.amdhsa_user_sgpr_kernarg_segment_ptr 1
		.amdhsa_user_sgpr_dispatch_id 0
		.amdhsa_user_sgpr_flat_scratch_init 1
		.amdhsa_user_sgpr_kernarg_preload_length 0
		.amdhsa_user_sgpr_kernarg_preload_offset 0
		.amdhsa_user_sgpr_private_segment_size 0
		.amdhsa_uses_dynamic_stack 0
		.amdhsa_system_sgpr_private_segment_wavefront_offset 1
		.amdhsa_system_sgpr_workgroup_id_x 1
		.amdhsa_system_sgpr_workgroup_id_y 1
		.amdhsa_system_sgpr_workgroup_id_z 1
		.amdhsa_system_sgpr_workgroup_info 0
		.amdhsa_system_vgpr_workitem_id 0
		.amdhsa_next_free_vgpr 45
		.amdhsa_next_free_sgpr 34
		.amdhsa_accum_offset 44
		.amdhsa_reserve_vcc 1
		.amdhsa_reserve_flat_scratch 1
		.amdhsa_float_round_mode_32 0
		.amdhsa_float_round_mode_16_64 0
		.amdhsa_float_denorm_mode_32 3
		.amdhsa_float_denorm_mode_16_64 3
		.amdhsa_dx10_clamp 1
		.amdhsa_ieee_mode 1
		.amdhsa_fp16_overflow 0
		.amdhsa_tg_split 0
		.amdhsa_exception_fp_ieee_invalid_op 0
		.amdhsa_exception_fp_denorm_src 0
		.amdhsa_exception_fp_ieee_div_zero 0
		.amdhsa_exception_fp_ieee_overflow 0
		.amdhsa_exception_fp_ieee_underflow 0
		.amdhsa_exception_fp_ieee_inexact 0
		.amdhsa_exception_int_div_zero 0
	.end_amdhsa_kernel
	.section	.text._Z39paged_attention_ll4mi_QKV_mfma16_kernelI14__hip_bfloat16hLN4vllm18Fp8KVCacheDataTypeE1ES0_Li16ELi64ELi256ELb1ELi14EL8MFMAType1EEvPKT_PKT0_S9_ifPKiSB_SB_iPKfiiiPfSE_PS4_PT2_iSD_SD_,"axG",@progbits,_Z39paged_attention_ll4mi_QKV_mfma16_kernelI14__hip_bfloat16hLN4vllm18Fp8KVCacheDataTypeE1ES0_Li16ELi64ELi256ELb1ELi14EL8MFMAType1EEvPKT_PKT0_S9_ifPKiSB_SB_iPKfiiiPfSE_PS4_PT2_iSD_SD_,comdat
.Lfunc_end687:
	.size	_Z39paged_attention_ll4mi_QKV_mfma16_kernelI14__hip_bfloat16hLN4vllm18Fp8KVCacheDataTypeE1ES0_Li16ELi64ELi256ELb1ELi14EL8MFMAType1EEvPKT_PKT0_S9_ifPKiSB_SB_iPKfiiiPfSE_PS4_PT2_iSD_SD_, .Lfunc_end687-_Z39paged_attention_ll4mi_QKV_mfma16_kernelI14__hip_bfloat16hLN4vllm18Fp8KVCacheDataTypeE1ES0_Li16ELi64ELi256ELb1ELi14EL8MFMAType1EEvPKT_PKT0_S9_ifPKiSB_SB_iPKfiiiPfSE_PS4_PT2_iSD_SD_
                                        ; -- End function
	.section	.AMDGPU.csdata,"",@progbits
; Kernel info:
; codeLenInByte = 504
; NumSgprs: 40
; NumVgprs: 42
; NumAgprs: 1
; TotalNumVgprs: 45
; ScratchSize: 64
; MemoryBound: 0
; FloatMode: 240
; IeeeMode: 1
; LDSByteSize: 8192 bytes/workgroup (compile time only)
; SGPRBlocks: 4
; VGPRBlocks: 5
; NumSGPRsForWavesPerEU: 40
; NumVGPRsForWavesPerEU: 45
; AccumOffset: 44
; Occupancy: 8
; WaveLimiterHint : 1
; COMPUTE_PGM_RSRC2:SCRATCH_EN: 1
; COMPUTE_PGM_RSRC2:USER_SGPR: 8
; COMPUTE_PGM_RSRC2:TRAP_HANDLER: 0
; COMPUTE_PGM_RSRC2:TGID_X_EN: 1
; COMPUTE_PGM_RSRC2:TGID_Y_EN: 1
; COMPUTE_PGM_RSRC2:TGID_Z_EN: 1
; COMPUTE_PGM_RSRC2:TIDIG_COMP_CNT: 0
; COMPUTE_PGM_RSRC3_GFX90A:ACCUM_OFFSET: 10
; COMPUTE_PGM_RSRC3_GFX90A:TG_SPLIT: 0
	.section	.text._Z39paged_attention_ll4mi_QKV_mfma16_kernelI14__hip_bfloat16hLN4vllm18Fp8KVCacheDataTypeE1ES0_Li16ELi64ELi256ELb1ELi15EL8MFMAType1EEvPKT_PKT0_S9_ifPKiSB_SB_iPKfiiiPfSE_PS4_PT2_iSD_SD_,"axG",@progbits,_Z39paged_attention_ll4mi_QKV_mfma16_kernelI14__hip_bfloat16hLN4vllm18Fp8KVCacheDataTypeE1ES0_Li16ELi64ELi256ELb1ELi15EL8MFMAType1EEvPKT_PKT0_S9_ifPKiSB_SB_iPKfiiiPfSE_PS4_PT2_iSD_SD_,comdat
	.protected	_Z39paged_attention_ll4mi_QKV_mfma16_kernelI14__hip_bfloat16hLN4vllm18Fp8KVCacheDataTypeE1ES0_Li16ELi64ELi256ELb1ELi15EL8MFMAType1EEvPKT_PKT0_S9_ifPKiSB_SB_iPKfiiiPfSE_PS4_PT2_iSD_SD_ ; -- Begin function _Z39paged_attention_ll4mi_QKV_mfma16_kernelI14__hip_bfloat16hLN4vllm18Fp8KVCacheDataTypeE1ES0_Li16ELi64ELi256ELb1ELi15EL8MFMAType1EEvPKT_PKT0_S9_ifPKiSB_SB_iPKfiiiPfSE_PS4_PT2_iSD_SD_
	.globl	_Z39paged_attention_ll4mi_QKV_mfma16_kernelI14__hip_bfloat16hLN4vllm18Fp8KVCacheDataTypeE1ES0_Li16ELi64ELi256ELb1ELi15EL8MFMAType1EEvPKT_PKT0_S9_ifPKiSB_SB_iPKfiiiPfSE_PS4_PT2_iSD_SD_
	.p2align	8
	.type	_Z39paged_attention_ll4mi_QKV_mfma16_kernelI14__hip_bfloat16hLN4vllm18Fp8KVCacheDataTypeE1ES0_Li16ELi64ELi256ELb1ELi15EL8MFMAType1EEvPKT_PKT0_S9_ifPKiSB_SB_iPKfiiiPfSE_PS4_PT2_iSD_SD_,@function
_Z39paged_attention_ll4mi_QKV_mfma16_kernelI14__hip_bfloat16hLN4vllm18Fp8KVCacheDataTypeE1ES0_Li16ELi64ELi256ELb1ELi15EL8MFMAType1EEvPKT_PKT0_S9_ifPKiSB_SB_iPKfiiiPfSE_PS4_PT2_iSD_SD_: ; @_Z39paged_attention_ll4mi_QKV_mfma16_kernelI14__hip_bfloat16hLN4vllm18Fp8KVCacheDataTypeE1ES0_Li16ELi64ELi256ELb1ELi15EL8MFMAType1EEvPKT_PKT0_S9_ifPKiSB_SB_iPKfiiiPfSE_PS4_PT2_iSD_SD_
; %bb.0:
	s_load_dwordx2 s[12:13], s[4:5], 0x30
	s_add_u32 flat_scratch_lo, s6, s11
	s_addc_u32 flat_scratch_hi, s7, 0
	s_add_u32 s0, s0, s11
	s_addc_u32 s1, s1, 0
	s_waitcnt lgkmcnt(0)
	s_cmp_lg_u64 s[12:13], 0
	s_cselect_b64 s[14:15], -1, 0
	s_mov_b32 s6, s9
	s_mov_b64 s[16:17], 0
	s_and_b64 vcc, exec, s[14:15]
	s_mov_b32 s32, 0
	s_cbranch_vccz .LBB688_11
; %bb.1:
	s_add_i32 s18, s8, 1
	s_mov_b32 s19, 0
	s_lshl_b64 s[20:21], s[18:19], 2
	s_add_u32 s20, s12, s20
	s_mov_b32 s9, s19
	s_addc_u32 s21, s13, s21
	s_lshl_b64 s[18:19], s[8:9], 2
	s_add_u32 s18, s12, s18
	s_addc_u32 s19, s13, s19
	s_load_dword s7, s[20:21], 0x0
	s_load_dword s11, s[18:19], 0x0
	s_waitcnt lgkmcnt(0)
	s_sub_i32 s7, s7, s11
	s_cmp_eq_u32 s7, 1
	s_cselect_b64 s[18:19], -1, 0
	s_andn2_b64 vcc, exec, s[16:17]
	s_cbranch_vccnz .LBB688_3
.LBB688_2:
	s_mov_b32 s9, 0
	s_mov_b64 s[18:19], -1
.LBB688_3:
	s_andn2_b64 vcc, exec, s[18:19]
	s_cbranch_vccnz .LBB688_10
; %bb.4:
	s_load_dwordx2 s[18:19], s[4:5], 0x28
	s_lshl_b64 s[16:17], s[8:9], 2
	s_waitcnt lgkmcnt(0)
	s_add_u32 s18, s18, s16
	s_addc_u32 s19, s19, s17
	s_load_dword s7, s[18:19], 0x0
	s_lshl_b32 s6, s6, 8
	s_waitcnt lgkmcnt(0)
	s_cmp_ge_i32 s6, s7
	s_cbranch_scc1 .LBB688_10
; %bb.5:
	s_andn2_b64 vcc, exec, s[14:15]
	s_cbranch_vccnz .LBB688_7
; %bb.6:
	s_add_u32 s6, s12, s16
	s_addc_u32 s7, s13, s17
	s_load_dword s8, s[6:7], 0x0
.LBB688_7:
	v_and_b32_e32 v1, 15, v0
	s_movk_i32 s6, 0xf0
	v_cmp_gt_u32_e32 vcc, s6, v0
	v_cmp_gt_u32_e64 s[6:7], 8, v1
	s_and_b64 s[12:13], s[6:7], vcc
	s_and_saveexec_b64 s[6:7], s[12:13]
	s_cbranch_execz .LBB688_9
; %bb.8:
	s_load_dword s11, s[4:5], 0x48
	s_load_dwordx2 s[12:13], s[4:5], 0x0
	v_lshrrev_b32_e32 v6, 4, v0
	s_mul_i32 s10, s10, 15
	v_add_lshl_u32 v2, v6, s10, 6
	s_waitcnt lgkmcnt(0)
	s_ashr_i32 s9, s11, 31
	s_mul_hi_u32 s14, s8, s11
	s_mul_i32 s9, s8, s9
	s_add_i32 s9, s14, s9
	s_mul_i32 s8, s8, s11
	s_lshl_b64 s[8:9], s[8:9], 1
	s_add_u32 s8, s12, s8
	v_ashrrev_i32_e32 v3, 31, v2
	s_addc_u32 s9, s13, s9
	v_lshlrev_b64 v[2:3], 1, v[2:3]
	v_mov_b32_e32 v4, s9
	v_add_co_u32_e32 v2, vcc, s8, v2
	v_addc_co_u32_e32 v3, vcc, v4, v3, vcc
	v_lshlrev_b32_e32 v4, 4, v1
	v_add_co_u32_e32 v2, vcc, v2, v4
	v_addc_co_u32_e32 v3, vcc, 0, v3, vcc
	global_load_dwordx4 v[2:5], v[2:3], off
	v_lshlrev_b32_e32 v0, 4, v0
	v_lshlrev_b32_e32 v1, 8, v1
	v_and_b32_e32 v0, 16, v0
	v_lshlrev_b32_e32 v6, 5, v6
	v_and_b32_e32 v1, 0xe00, v1
	v_or3_b32 v0, v1, v6, v0
	s_waitcnt vmcnt(0)
	ds_write_b128 v0, v[2:5]
.LBB688_9:
	s_or_b64 exec, exec, s[6:7]
	s_waitcnt lgkmcnt(0)
	s_add_u32 s8, s4, 0x90
	s_addc_u32 s9, s5, 0
	s_getpc_b64 s[4:5]
	s_add_u32 s4, s4, __PRETTY_FUNCTION__._Z39paged_attention_ll4mi_QKV_mfma16_kernelI14__hip_bfloat16hLN4vllm18Fp8KVCacheDataTypeE1ES0_Li16ELi64ELi256ELb1ELi15EL8MFMAType1EEvPKT_PKT0_S9_ifPKiSB_SB_iPKfiiiPfSE_PS4_PT2_iSD_SD_@rel32@lo+4
	s_addc_u32 s5, s5, __PRETTY_FUNCTION__._Z39paged_attention_ll4mi_QKV_mfma16_kernelI14__hip_bfloat16hLN4vllm18Fp8KVCacheDataTypeE1ES0_Li16ELi64ELi256ELb1ELi15EL8MFMAType1EEvPKT_PKT0_S9_ifPKiSB_SB_iPKfiiiPfSE_PS4_PT2_iSD_SD_@rel32@hi+12
	v_mov_b32_e32 v0, 0x288
	v_mov_b32_e32 v1, s4
	;; [unrolled: 1-line block ×3, first 2 shown]
	s_barrier
	s_getpc_b64 s[6:7]
	s_add_u32 s6, s6, __assert_fail@rel32@lo+4
	s_addc_u32 s7, s7, __assert_fail@rel32@hi+12
	s_swappc_b64 s[30:31], s[6:7]
	; divergent unreachable
.LBB688_10:
	s_endpgm
.LBB688_11:
	s_mov_b64 s[18:19], 0
	s_branch .LBB688_2
	.section	.rodata,"a",@progbits
	.p2align	6, 0x0
	.amdhsa_kernel _Z39paged_attention_ll4mi_QKV_mfma16_kernelI14__hip_bfloat16hLN4vllm18Fp8KVCacheDataTypeE1ES0_Li16ELi64ELi256ELb1ELi15EL8MFMAType1EEvPKT_PKT0_S9_ifPKiSB_SB_iPKfiiiPfSE_PS4_PT2_iSD_SD_
		.amdhsa_group_segment_fixed_size 8192
		.amdhsa_private_segment_fixed_size 64
		.amdhsa_kernarg_size 400
		.amdhsa_user_sgpr_count 8
		.amdhsa_user_sgpr_private_segment_buffer 1
		.amdhsa_user_sgpr_dispatch_ptr 0
		.amdhsa_user_sgpr_queue_ptr 0
		.amdhsa_user_sgpr_kernarg_segment_ptr 1
		.amdhsa_user_sgpr_dispatch_id 0
		.amdhsa_user_sgpr_flat_scratch_init 1
		.amdhsa_user_sgpr_kernarg_preload_length 0
		.amdhsa_user_sgpr_kernarg_preload_offset 0
		.amdhsa_user_sgpr_private_segment_size 0
		.amdhsa_uses_dynamic_stack 0
		.amdhsa_system_sgpr_private_segment_wavefront_offset 1
		.amdhsa_system_sgpr_workgroup_id_x 1
		.amdhsa_system_sgpr_workgroup_id_y 1
		.amdhsa_system_sgpr_workgroup_id_z 1
		.amdhsa_system_sgpr_workgroup_info 0
		.amdhsa_system_vgpr_workitem_id 0
		.amdhsa_next_free_vgpr 45
		.amdhsa_next_free_sgpr 34
		.amdhsa_accum_offset 44
		.amdhsa_reserve_vcc 1
		.amdhsa_reserve_flat_scratch 1
		.amdhsa_float_round_mode_32 0
		.amdhsa_float_round_mode_16_64 0
		.amdhsa_float_denorm_mode_32 3
		.amdhsa_float_denorm_mode_16_64 3
		.amdhsa_dx10_clamp 1
		.amdhsa_ieee_mode 1
		.amdhsa_fp16_overflow 0
		.amdhsa_tg_split 0
		.amdhsa_exception_fp_ieee_invalid_op 0
		.amdhsa_exception_fp_denorm_src 0
		.amdhsa_exception_fp_ieee_div_zero 0
		.amdhsa_exception_fp_ieee_overflow 0
		.amdhsa_exception_fp_ieee_underflow 0
		.amdhsa_exception_fp_ieee_inexact 0
		.amdhsa_exception_int_div_zero 0
	.end_amdhsa_kernel
	.section	.text._Z39paged_attention_ll4mi_QKV_mfma16_kernelI14__hip_bfloat16hLN4vllm18Fp8KVCacheDataTypeE1ES0_Li16ELi64ELi256ELb1ELi15EL8MFMAType1EEvPKT_PKT0_S9_ifPKiSB_SB_iPKfiiiPfSE_PS4_PT2_iSD_SD_,"axG",@progbits,_Z39paged_attention_ll4mi_QKV_mfma16_kernelI14__hip_bfloat16hLN4vllm18Fp8KVCacheDataTypeE1ES0_Li16ELi64ELi256ELb1ELi15EL8MFMAType1EEvPKT_PKT0_S9_ifPKiSB_SB_iPKfiiiPfSE_PS4_PT2_iSD_SD_,comdat
.Lfunc_end688:
	.size	_Z39paged_attention_ll4mi_QKV_mfma16_kernelI14__hip_bfloat16hLN4vllm18Fp8KVCacheDataTypeE1ES0_Li16ELi64ELi256ELb1ELi15EL8MFMAType1EEvPKT_PKT0_S9_ifPKiSB_SB_iPKfiiiPfSE_PS4_PT2_iSD_SD_, .Lfunc_end688-_Z39paged_attention_ll4mi_QKV_mfma16_kernelI14__hip_bfloat16hLN4vllm18Fp8KVCacheDataTypeE1ES0_Li16ELi64ELi256ELb1ELi15EL8MFMAType1EEvPKT_PKT0_S9_ifPKiSB_SB_iPKfiiiPfSE_PS4_PT2_iSD_SD_
                                        ; -- End function
	.section	.AMDGPU.csdata,"",@progbits
; Kernel info:
; codeLenInByte = 504
; NumSgprs: 40
; NumVgprs: 42
; NumAgprs: 1
; TotalNumVgprs: 45
; ScratchSize: 64
; MemoryBound: 0
; FloatMode: 240
; IeeeMode: 1
; LDSByteSize: 8192 bytes/workgroup (compile time only)
; SGPRBlocks: 4
; VGPRBlocks: 5
; NumSGPRsForWavesPerEU: 40
; NumVGPRsForWavesPerEU: 45
; AccumOffset: 44
; Occupancy: 8
; WaveLimiterHint : 1
; COMPUTE_PGM_RSRC2:SCRATCH_EN: 1
; COMPUTE_PGM_RSRC2:USER_SGPR: 8
; COMPUTE_PGM_RSRC2:TRAP_HANDLER: 0
; COMPUTE_PGM_RSRC2:TGID_X_EN: 1
; COMPUTE_PGM_RSRC2:TGID_Y_EN: 1
; COMPUTE_PGM_RSRC2:TGID_Z_EN: 1
; COMPUTE_PGM_RSRC2:TIDIG_COMP_CNT: 0
; COMPUTE_PGM_RSRC3_GFX90A:ACCUM_OFFSET: 10
; COMPUTE_PGM_RSRC3_GFX90A:TG_SPLIT: 0
	.section	.text._Z39paged_attention_ll4mi_QKV_mfma16_kernelI14__hip_bfloat16hLN4vllm18Fp8KVCacheDataTypeE1ES0_Li16ELi64ELi256ELb1ELi16EL8MFMAType1EEvPKT_PKT0_S9_ifPKiSB_SB_iPKfiiiPfSE_PS4_PT2_iSD_SD_,"axG",@progbits,_Z39paged_attention_ll4mi_QKV_mfma16_kernelI14__hip_bfloat16hLN4vllm18Fp8KVCacheDataTypeE1ES0_Li16ELi64ELi256ELb1ELi16EL8MFMAType1EEvPKT_PKT0_S9_ifPKiSB_SB_iPKfiiiPfSE_PS4_PT2_iSD_SD_,comdat
	.protected	_Z39paged_attention_ll4mi_QKV_mfma16_kernelI14__hip_bfloat16hLN4vllm18Fp8KVCacheDataTypeE1ES0_Li16ELi64ELi256ELb1ELi16EL8MFMAType1EEvPKT_PKT0_S9_ifPKiSB_SB_iPKfiiiPfSE_PS4_PT2_iSD_SD_ ; -- Begin function _Z39paged_attention_ll4mi_QKV_mfma16_kernelI14__hip_bfloat16hLN4vllm18Fp8KVCacheDataTypeE1ES0_Li16ELi64ELi256ELb1ELi16EL8MFMAType1EEvPKT_PKT0_S9_ifPKiSB_SB_iPKfiiiPfSE_PS4_PT2_iSD_SD_
	.globl	_Z39paged_attention_ll4mi_QKV_mfma16_kernelI14__hip_bfloat16hLN4vllm18Fp8KVCacheDataTypeE1ES0_Li16ELi64ELi256ELb1ELi16EL8MFMAType1EEvPKT_PKT0_S9_ifPKiSB_SB_iPKfiiiPfSE_PS4_PT2_iSD_SD_
	.p2align	8
	.type	_Z39paged_attention_ll4mi_QKV_mfma16_kernelI14__hip_bfloat16hLN4vllm18Fp8KVCacheDataTypeE1ES0_Li16ELi64ELi256ELb1ELi16EL8MFMAType1EEvPKT_PKT0_S9_ifPKiSB_SB_iPKfiiiPfSE_PS4_PT2_iSD_SD_,@function
_Z39paged_attention_ll4mi_QKV_mfma16_kernelI14__hip_bfloat16hLN4vllm18Fp8KVCacheDataTypeE1ES0_Li16ELi64ELi256ELb1ELi16EL8MFMAType1EEvPKT_PKT0_S9_ifPKiSB_SB_iPKfiiiPfSE_PS4_PT2_iSD_SD_: ; @_Z39paged_attention_ll4mi_QKV_mfma16_kernelI14__hip_bfloat16hLN4vllm18Fp8KVCacheDataTypeE1ES0_Li16ELi64ELi256ELb1ELi16EL8MFMAType1EEvPKT_PKT0_S9_ifPKiSB_SB_iPKfiiiPfSE_PS4_PT2_iSD_SD_
; %bb.0:
	s_load_dwordx2 s[12:13], s[4:5], 0x30
	s_add_u32 flat_scratch_lo, s6, s11
	s_addc_u32 flat_scratch_hi, s7, 0
	s_add_u32 s0, s0, s11
	s_addc_u32 s1, s1, 0
	s_waitcnt lgkmcnt(0)
	s_cmp_lg_u64 s[12:13], 0
	s_cselect_b64 s[14:15], -1, 0
	s_mov_b32 s6, s9
	s_mov_b64 s[16:17], 0
	s_and_b64 vcc, exec, s[14:15]
	s_mov_b32 s32, 0
	s_cbranch_vccz .LBB689_11
; %bb.1:
	s_add_i32 s18, s8, 1
	s_mov_b32 s19, 0
	s_lshl_b64 s[20:21], s[18:19], 2
	s_add_u32 s20, s12, s20
	s_mov_b32 s9, s19
	s_addc_u32 s21, s13, s21
	s_lshl_b64 s[18:19], s[8:9], 2
	s_add_u32 s18, s12, s18
	s_addc_u32 s19, s13, s19
	s_load_dword s7, s[20:21], 0x0
	s_load_dword s11, s[18:19], 0x0
	s_waitcnt lgkmcnt(0)
	s_sub_i32 s7, s7, s11
	s_cmp_eq_u32 s7, 1
	s_cselect_b64 s[18:19], -1, 0
	s_andn2_b64 vcc, exec, s[16:17]
	s_cbranch_vccnz .LBB689_3
.LBB689_2:
	s_mov_b32 s9, 0
	s_mov_b64 s[18:19], -1
.LBB689_3:
	s_andn2_b64 vcc, exec, s[18:19]
	s_cbranch_vccnz .LBB689_10
; %bb.4:
	s_load_dwordx2 s[18:19], s[4:5], 0x28
	s_lshl_b64 s[16:17], s[8:9], 2
	s_waitcnt lgkmcnt(0)
	s_add_u32 s18, s18, s16
	s_addc_u32 s19, s19, s17
	s_load_dword s7, s[18:19], 0x0
	s_lshl_b32 s6, s6, 8
	s_waitcnt lgkmcnt(0)
	s_cmp_ge_i32 s6, s7
	s_cbranch_scc1 .LBB689_10
; %bb.5:
	s_andn2_b64 vcc, exec, s[14:15]
	s_cbranch_vccnz .LBB689_7
; %bb.6:
	s_add_u32 s6, s12, s16
	s_addc_u32 s7, s13, s17
	s_load_dword s8, s[6:7], 0x0
.LBB689_7:
	v_and_b32_e32 v1, 15, v0
	s_movk_i32 s6, 0x100
	v_cmp_gt_u32_e32 vcc, s6, v0
	v_cmp_gt_u32_e64 s[6:7], 8, v1
	s_and_b64 s[12:13], vcc, s[6:7]
	s_and_saveexec_b64 s[6:7], s[12:13]
	s_cbranch_execz .LBB689_9
; %bb.8:
	s_load_dword s9, s[4:5], 0x48
	s_load_dwordx2 s[12:13], s[4:5], 0x0
	v_lshrrev_b32_e32 v6, 4, v0
	v_lshlrev_b32_e32 v2, 6, v6
	v_lshl_or_b32 v2, s10, 10, v2
	s_waitcnt lgkmcnt(0)
	s_ashr_i32 s11, s9, 31
	s_mul_hi_u32 s15, s8, s9
	s_mul_i32 s14, s8, s9
	s_mul_i32 s8, s8, s11
	s_add_i32 s15, s15, s8
	s_lshl_b64 s[8:9], s[14:15], 1
	s_add_u32 s8, s12, s8
	v_ashrrev_i32_e32 v3, 31, v2
	s_addc_u32 s9, s13, s9
	v_lshlrev_b64 v[2:3], 1, v[2:3]
	v_mov_b32_e32 v4, s9
	v_add_co_u32_e32 v2, vcc, s8, v2
	v_addc_co_u32_e32 v3, vcc, v4, v3, vcc
	v_lshlrev_b32_e32 v4, 4, v1
	v_add_co_u32_e32 v2, vcc, v2, v4
	v_addc_co_u32_e32 v3, vcc, 0, v3, vcc
	global_load_dwordx4 v[2:5], v[2:3], off
	v_lshlrev_b32_e32 v0, 4, v0
	v_lshlrev_b32_e32 v1, 8, v1
	v_and_b32_e32 v0, 16, v0
	v_lshlrev_b32_e32 v6, 5, v6
	v_and_b32_e32 v1, 0xe00, v1
	v_or3_b32 v0, v1, v6, v0
	s_waitcnt vmcnt(0)
	ds_write_b128 v0, v[2:5]
.LBB689_9:
	s_or_b64 exec, exec, s[6:7]
	s_waitcnt lgkmcnt(0)
	s_add_u32 s8, s4, 0x90
	s_addc_u32 s9, s5, 0
	s_getpc_b64 s[4:5]
	s_add_u32 s4, s4, __PRETTY_FUNCTION__._Z39paged_attention_ll4mi_QKV_mfma16_kernelI14__hip_bfloat16hLN4vllm18Fp8KVCacheDataTypeE1ES0_Li16ELi64ELi256ELb1ELi16EL8MFMAType1EEvPKT_PKT0_S9_ifPKiSB_SB_iPKfiiiPfSE_PS4_PT2_iSD_SD_@rel32@lo+4
	s_addc_u32 s5, s5, __PRETTY_FUNCTION__._Z39paged_attention_ll4mi_QKV_mfma16_kernelI14__hip_bfloat16hLN4vllm18Fp8KVCacheDataTypeE1ES0_Li16ELi64ELi256ELb1ELi16EL8MFMAType1EEvPKT_PKT0_S9_ifPKiSB_SB_iPKfiiiPfSE_PS4_PT2_iSD_SD_@rel32@hi+12
	v_mov_b32_e32 v0, 0x288
	v_mov_b32_e32 v1, s4
	;; [unrolled: 1-line block ×3, first 2 shown]
	s_barrier
	s_getpc_b64 s[6:7]
	s_add_u32 s6, s6, __assert_fail@rel32@lo+4
	s_addc_u32 s7, s7, __assert_fail@rel32@hi+12
	s_swappc_b64 s[30:31], s[6:7]
	; divergent unreachable
.LBB689_10:
	s_endpgm
.LBB689_11:
	s_mov_b64 s[18:19], 0
	s_branch .LBB689_2
	.section	.rodata,"a",@progbits
	.p2align	6, 0x0
	.amdhsa_kernel _Z39paged_attention_ll4mi_QKV_mfma16_kernelI14__hip_bfloat16hLN4vllm18Fp8KVCacheDataTypeE1ES0_Li16ELi64ELi256ELb1ELi16EL8MFMAType1EEvPKT_PKT0_S9_ifPKiSB_SB_iPKfiiiPfSE_PS4_PT2_iSD_SD_
		.amdhsa_group_segment_fixed_size 8192
		.amdhsa_private_segment_fixed_size 64
		.amdhsa_kernarg_size 400
		.amdhsa_user_sgpr_count 8
		.amdhsa_user_sgpr_private_segment_buffer 1
		.amdhsa_user_sgpr_dispatch_ptr 0
		.amdhsa_user_sgpr_queue_ptr 0
		.amdhsa_user_sgpr_kernarg_segment_ptr 1
		.amdhsa_user_sgpr_dispatch_id 0
		.amdhsa_user_sgpr_flat_scratch_init 1
		.amdhsa_user_sgpr_kernarg_preload_length 0
		.amdhsa_user_sgpr_kernarg_preload_offset 0
		.amdhsa_user_sgpr_private_segment_size 0
		.amdhsa_uses_dynamic_stack 0
		.amdhsa_system_sgpr_private_segment_wavefront_offset 1
		.amdhsa_system_sgpr_workgroup_id_x 1
		.amdhsa_system_sgpr_workgroup_id_y 1
		.amdhsa_system_sgpr_workgroup_id_z 1
		.amdhsa_system_sgpr_workgroup_info 0
		.amdhsa_system_vgpr_workitem_id 0
		.amdhsa_next_free_vgpr 45
		.amdhsa_next_free_sgpr 34
		.amdhsa_accum_offset 44
		.amdhsa_reserve_vcc 1
		.amdhsa_reserve_flat_scratch 1
		.amdhsa_float_round_mode_32 0
		.amdhsa_float_round_mode_16_64 0
		.amdhsa_float_denorm_mode_32 3
		.amdhsa_float_denorm_mode_16_64 3
		.amdhsa_dx10_clamp 1
		.amdhsa_ieee_mode 1
		.amdhsa_fp16_overflow 0
		.amdhsa_tg_split 0
		.amdhsa_exception_fp_ieee_invalid_op 0
		.amdhsa_exception_fp_denorm_src 0
		.amdhsa_exception_fp_ieee_div_zero 0
		.amdhsa_exception_fp_ieee_overflow 0
		.amdhsa_exception_fp_ieee_underflow 0
		.amdhsa_exception_fp_ieee_inexact 0
		.amdhsa_exception_int_div_zero 0
	.end_amdhsa_kernel
	.section	.text._Z39paged_attention_ll4mi_QKV_mfma16_kernelI14__hip_bfloat16hLN4vllm18Fp8KVCacheDataTypeE1ES0_Li16ELi64ELi256ELb1ELi16EL8MFMAType1EEvPKT_PKT0_S9_ifPKiSB_SB_iPKfiiiPfSE_PS4_PT2_iSD_SD_,"axG",@progbits,_Z39paged_attention_ll4mi_QKV_mfma16_kernelI14__hip_bfloat16hLN4vllm18Fp8KVCacheDataTypeE1ES0_Li16ELi64ELi256ELb1ELi16EL8MFMAType1EEvPKT_PKT0_S9_ifPKiSB_SB_iPKfiiiPfSE_PS4_PT2_iSD_SD_,comdat
.Lfunc_end689:
	.size	_Z39paged_attention_ll4mi_QKV_mfma16_kernelI14__hip_bfloat16hLN4vllm18Fp8KVCacheDataTypeE1ES0_Li16ELi64ELi256ELb1ELi16EL8MFMAType1EEvPKT_PKT0_S9_ifPKiSB_SB_iPKfiiiPfSE_PS4_PT2_iSD_SD_, .Lfunc_end689-_Z39paged_attention_ll4mi_QKV_mfma16_kernelI14__hip_bfloat16hLN4vllm18Fp8KVCacheDataTypeE1ES0_Li16ELi64ELi256ELb1ELi16EL8MFMAType1EEvPKT_PKT0_S9_ifPKiSB_SB_iPKfiiiPfSE_PS4_PT2_iSD_SD_
                                        ; -- End function
	.section	.AMDGPU.csdata,"",@progbits
; Kernel info:
; codeLenInByte = 504
; NumSgprs: 40
; NumVgprs: 42
; NumAgprs: 1
; TotalNumVgprs: 45
; ScratchSize: 64
; MemoryBound: 0
; FloatMode: 240
; IeeeMode: 1
; LDSByteSize: 8192 bytes/workgroup (compile time only)
; SGPRBlocks: 4
; VGPRBlocks: 5
; NumSGPRsForWavesPerEU: 40
; NumVGPRsForWavesPerEU: 45
; AccumOffset: 44
; Occupancy: 8
; WaveLimiterHint : 1
; COMPUTE_PGM_RSRC2:SCRATCH_EN: 1
; COMPUTE_PGM_RSRC2:USER_SGPR: 8
; COMPUTE_PGM_RSRC2:TRAP_HANDLER: 0
; COMPUTE_PGM_RSRC2:TGID_X_EN: 1
; COMPUTE_PGM_RSRC2:TGID_Y_EN: 1
; COMPUTE_PGM_RSRC2:TGID_Z_EN: 1
; COMPUTE_PGM_RSRC2:TIDIG_COMP_CNT: 0
; COMPUTE_PGM_RSRC3_GFX90A:ACCUM_OFFSET: 10
; COMPUTE_PGM_RSRC3_GFX90A:TG_SPLIT: 0
	.section	.text._Z39paged_attention_ll4mi_QKV_mfma16_kernelI14__hip_bfloat16hLN4vllm18Fp8KVCacheDataTypeE1ES0_Li16ELi64ELi256ELb1ELi1EL8MFMAType1EEvPKT_PKT0_S9_ifPKiSB_SB_iPKfiiiPfSE_PS4_PT2_iSD_SD_,"axG",@progbits,_Z39paged_attention_ll4mi_QKV_mfma16_kernelI14__hip_bfloat16hLN4vllm18Fp8KVCacheDataTypeE1ES0_Li16ELi64ELi256ELb1ELi1EL8MFMAType1EEvPKT_PKT0_S9_ifPKiSB_SB_iPKfiiiPfSE_PS4_PT2_iSD_SD_,comdat
	.protected	_Z39paged_attention_ll4mi_QKV_mfma16_kernelI14__hip_bfloat16hLN4vllm18Fp8KVCacheDataTypeE1ES0_Li16ELi64ELi256ELb1ELi1EL8MFMAType1EEvPKT_PKT0_S9_ifPKiSB_SB_iPKfiiiPfSE_PS4_PT2_iSD_SD_ ; -- Begin function _Z39paged_attention_ll4mi_QKV_mfma16_kernelI14__hip_bfloat16hLN4vllm18Fp8KVCacheDataTypeE1ES0_Li16ELi64ELi256ELb1ELi1EL8MFMAType1EEvPKT_PKT0_S9_ifPKiSB_SB_iPKfiiiPfSE_PS4_PT2_iSD_SD_
	.globl	_Z39paged_attention_ll4mi_QKV_mfma16_kernelI14__hip_bfloat16hLN4vllm18Fp8KVCacheDataTypeE1ES0_Li16ELi64ELi256ELb1ELi1EL8MFMAType1EEvPKT_PKT0_S9_ifPKiSB_SB_iPKfiiiPfSE_PS4_PT2_iSD_SD_
	.p2align	8
	.type	_Z39paged_attention_ll4mi_QKV_mfma16_kernelI14__hip_bfloat16hLN4vllm18Fp8KVCacheDataTypeE1ES0_Li16ELi64ELi256ELb1ELi1EL8MFMAType1EEvPKT_PKT0_S9_ifPKiSB_SB_iPKfiiiPfSE_PS4_PT2_iSD_SD_,@function
_Z39paged_attention_ll4mi_QKV_mfma16_kernelI14__hip_bfloat16hLN4vllm18Fp8KVCacheDataTypeE1ES0_Li16ELi64ELi256ELb1ELi1EL8MFMAType1EEvPKT_PKT0_S9_ifPKiSB_SB_iPKfiiiPfSE_PS4_PT2_iSD_SD_: ; @_Z39paged_attention_ll4mi_QKV_mfma16_kernelI14__hip_bfloat16hLN4vllm18Fp8KVCacheDataTypeE1ES0_Li16ELi64ELi256ELb1ELi1EL8MFMAType1EEvPKT_PKT0_S9_ifPKiSB_SB_iPKfiiiPfSE_PS4_PT2_iSD_SD_
; %bb.0:
	s_load_dwordx2 s[12:13], s[4:5], 0x30
	s_add_u32 flat_scratch_lo, s6, s11
	s_addc_u32 flat_scratch_hi, s7, 0
	s_add_u32 s0, s0, s11
	s_addc_u32 s1, s1, 0
	s_waitcnt lgkmcnt(0)
	s_cmp_lg_u64 s[12:13], 0
	s_cselect_b64 s[14:15], -1, 0
	s_mov_b32 s6, s9
	s_mov_b64 s[16:17], 0
	s_and_b64 vcc, exec, s[14:15]
	s_mov_b32 s32, 0
	s_cbranch_vccz .LBB690_11
; %bb.1:
	s_add_i32 s18, s8, 1
	s_mov_b32 s19, 0
	s_lshl_b64 s[20:21], s[18:19], 2
	s_add_u32 s20, s12, s20
	s_mov_b32 s9, s19
	s_addc_u32 s21, s13, s21
	s_lshl_b64 s[18:19], s[8:9], 2
	s_add_u32 s18, s12, s18
	s_addc_u32 s19, s13, s19
	s_load_dword s7, s[20:21], 0x0
	s_load_dword s11, s[18:19], 0x0
	s_waitcnt lgkmcnt(0)
	s_sub_i32 s7, s7, s11
	s_cmp_eq_u32 s7, 1
	s_cselect_b64 s[18:19], -1, 0
	s_andn2_b64 vcc, exec, s[16:17]
	s_cbranch_vccnz .LBB690_3
.LBB690_2:
	s_mov_b32 s9, 0
	s_mov_b64 s[18:19], -1
.LBB690_3:
	s_andn2_b64 vcc, exec, s[18:19]
	s_cbranch_vccnz .LBB690_10
; %bb.4:
	s_load_dwordx2 s[18:19], s[4:5], 0x28
	s_lshl_b64 s[16:17], s[8:9], 2
	s_waitcnt lgkmcnt(0)
	s_add_u32 s18, s18, s16
	s_addc_u32 s19, s19, s17
	s_load_dword s7, s[18:19], 0x0
	s_lshl_b32 s6, s6, 8
	s_waitcnt lgkmcnt(0)
	s_cmp_ge_i32 s6, s7
	s_cbranch_scc1 .LBB690_10
; %bb.5:
	s_andn2_b64 vcc, exec, s[14:15]
	s_cbranch_vccnz .LBB690_7
; %bb.6:
	s_add_u32 s6, s12, s16
	s_addc_u32 s7, s13, s17
	s_load_dword s8, s[6:7], 0x0
.LBB690_7:
	v_cmp_gt_u32_e32 vcc, 8, v0
	s_and_saveexec_b64 s[6:7], vcc
	s_cbranch_execz .LBB690_9
; %bb.8:
	s_load_dword s9, s[4:5], 0x48
	s_load_dwordx2 s[12:13], s[4:5], 0x0
	v_lshlrev_b32_e32 v1, 4, v0
	v_lshlrev_b32_e32 v0, 8, v0
	s_waitcnt lgkmcnt(0)
	s_ashr_i32 s11, s9, 31
	s_mul_hi_u32 s15, s8, s9
	s_mul_i32 s14, s8, s9
	s_mul_i32 s8, s8, s11
	s_add_i32 s15, s15, s8
	s_lshl_b64 s[8:9], s[14:15], 1
	s_add_u32 s11, s12, s8
	s_addc_u32 s12, s13, s9
	s_lshl_b32 s8, s10, 6
	s_ashr_i32 s9, s8, 31
	s_lshl_b64 s[8:9], s[8:9], 1
	s_add_u32 s8, s11, s8
	s_addc_u32 s9, s12, s9
	global_load_dwordx4 v[2:5], v1, s[8:9]
	v_and_b32_e32 v1, 16, v1
	s_mov_b32 s8, 0xfe00
	v_and_or_b32 v0, v0, s8, v1
	s_waitcnt vmcnt(0)
	ds_write_b128 v0, v[2:5]
.LBB690_9:
	s_or_b64 exec, exec, s[6:7]
	s_waitcnt lgkmcnt(0)
	s_add_u32 s8, s4, 0x90
	s_addc_u32 s9, s5, 0
	s_getpc_b64 s[4:5]
	s_add_u32 s4, s4, __PRETTY_FUNCTION__._Z39paged_attention_ll4mi_QKV_mfma16_kernelI14__hip_bfloat16hLN4vllm18Fp8KVCacheDataTypeE1ES0_Li16ELi64ELi256ELb1ELi1EL8MFMAType1EEvPKT_PKT0_S9_ifPKiSB_SB_iPKfiiiPfSE_PS4_PT2_iSD_SD_@rel32@lo+4
	s_addc_u32 s5, s5, __PRETTY_FUNCTION__._Z39paged_attention_ll4mi_QKV_mfma16_kernelI14__hip_bfloat16hLN4vllm18Fp8KVCacheDataTypeE1ES0_Li16ELi64ELi256ELb1ELi1EL8MFMAType1EEvPKT_PKT0_S9_ifPKiSB_SB_iPKfiiiPfSE_PS4_PT2_iSD_SD_@rel32@hi+12
	v_mov_b32_e32 v0, 0x288
	v_mov_b32_e32 v1, s4
	;; [unrolled: 1-line block ×3, first 2 shown]
	s_barrier
	s_getpc_b64 s[6:7]
	s_add_u32 s6, s6, __assert_fail@rel32@lo+4
	s_addc_u32 s7, s7, __assert_fail@rel32@hi+12
	s_swappc_b64 s[30:31], s[6:7]
	; divergent unreachable
.LBB690_10:
	s_endpgm
.LBB690_11:
	s_mov_b64 s[18:19], 0
	s_branch .LBB690_2
	.section	.rodata,"a",@progbits
	.p2align	6, 0x0
	.amdhsa_kernel _Z39paged_attention_ll4mi_QKV_mfma16_kernelI14__hip_bfloat16hLN4vllm18Fp8KVCacheDataTypeE1ES0_Li16ELi64ELi256ELb1ELi1EL8MFMAType1EEvPKT_PKT0_S9_ifPKiSB_SB_iPKfiiiPfSE_PS4_PT2_iSD_SD_
		.amdhsa_group_segment_fixed_size 8192
		.amdhsa_private_segment_fixed_size 64
		.amdhsa_kernarg_size 400
		.amdhsa_user_sgpr_count 8
		.amdhsa_user_sgpr_private_segment_buffer 1
		.amdhsa_user_sgpr_dispatch_ptr 0
		.amdhsa_user_sgpr_queue_ptr 0
		.amdhsa_user_sgpr_kernarg_segment_ptr 1
		.amdhsa_user_sgpr_dispatch_id 0
		.amdhsa_user_sgpr_flat_scratch_init 1
		.amdhsa_user_sgpr_kernarg_preload_length 0
		.amdhsa_user_sgpr_kernarg_preload_offset 0
		.amdhsa_user_sgpr_private_segment_size 0
		.amdhsa_uses_dynamic_stack 0
		.amdhsa_system_sgpr_private_segment_wavefront_offset 1
		.amdhsa_system_sgpr_workgroup_id_x 1
		.amdhsa_system_sgpr_workgroup_id_y 1
		.amdhsa_system_sgpr_workgroup_id_z 1
		.amdhsa_system_sgpr_workgroup_info 0
		.amdhsa_system_vgpr_workitem_id 0
		.amdhsa_next_free_vgpr 45
		.amdhsa_next_free_sgpr 34
		.amdhsa_accum_offset 44
		.amdhsa_reserve_vcc 1
		.amdhsa_reserve_flat_scratch 1
		.amdhsa_float_round_mode_32 0
		.amdhsa_float_round_mode_16_64 0
		.amdhsa_float_denorm_mode_32 3
		.amdhsa_float_denorm_mode_16_64 3
		.amdhsa_dx10_clamp 1
		.amdhsa_ieee_mode 1
		.amdhsa_fp16_overflow 0
		.amdhsa_tg_split 0
		.amdhsa_exception_fp_ieee_invalid_op 0
		.amdhsa_exception_fp_denorm_src 0
		.amdhsa_exception_fp_ieee_div_zero 0
		.amdhsa_exception_fp_ieee_overflow 0
		.amdhsa_exception_fp_ieee_underflow 0
		.amdhsa_exception_fp_ieee_inexact 0
		.amdhsa_exception_int_div_zero 0
	.end_amdhsa_kernel
	.section	.text._Z39paged_attention_ll4mi_QKV_mfma16_kernelI14__hip_bfloat16hLN4vllm18Fp8KVCacheDataTypeE1ES0_Li16ELi64ELi256ELb1ELi1EL8MFMAType1EEvPKT_PKT0_S9_ifPKiSB_SB_iPKfiiiPfSE_PS4_PT2_iSD_SD_,"axG",@progbits,_Z39paged_attention_ll4mi_QKV_mfma16_kernelI14__hip_bfloat16hLN4vllm18Fp8KVCacheDataTypeE1ES0_Li16ELi64ELi256ELb1ELi1EL8MFMAType1EEvPKT_PKT0_S9_ifPKiSB_SB_iPKfiiiPfSE_PS4_PT2_iSD_SD_,comdat
.Lfunc_end690:
	.size	_Z39paged_attention_ll4mi_QKV_mfma16_kernelI14__hip_bfloat16hLN4vllm18Fp8KVCacheDataTypeE1ES0_Li16ELi64ELi256ELb1ELi1EL8MFMAType1EEvPKT_PKT0_S9_ifPKiSB_SB_iPKfiiiPfSE_PS4_PT2_iSD_SD_, .Lfunc_end690-_Z39paged_attention_ll4mi_QKV_mfma16_kernelI14__hip_bfloat16hLN4vllm18Fp8KVCacheDataTypeE1ES0_Li16ELi64ELi256ELb1ELi1EL8MFMAType1EEvPKT_PKT0_S9_ifPKiSB_SB_iPKfiiiPfSE_PS4_PT2_iSD_SD_
                                        ; -- End function
	.section	.AMDGPU.csdata,"",@progbits
; Kernel info:
; codeLenInByte = 448
; NumSgprs: 40
; NumVgprs: 42
; NumAgprs: 1
; TotalNumVgprs: 45
; ScratchSize: 64
; MemoryBound: 0
; FloatMode: 240
; IeeeMode: 1
; LDSByteSize: 8192 bytes/workgroup (compile time only)
; SGPRBlocks: 4
; VGPRBlocks: 5
; NumSGPRsForWavesPerEU: 40
; NumVGPRsForWavesPerEU: 45
; AccumOffset: 44
; Occupancy: 8
; WaveLimiterHint : 1
; COMPUTE_PGM_RSRC2:SCRATCH_EN: 1
; COMPUTE_PGM_RSRC2:USER_SGPR: 8
; COMPUTE_PGM_RSRC2:TRAP_HANDLER: 0
; COMPUTE_PGM_RSRC2:TGID_X_EN: 1
; COMPUTE_PGM_RSRC2:TGID_Y_EN: 1
; COMPUTE_PGM_RSRC2:TGID_Z_EN: 1
; COMPUTE_PGM_RSRC2:TIDIG_COMP_CNT: 0
; COMPUTE_PGM_RSRC3_GFX90A:ACCUM_OFFSET: 10
; COMPUTE_PGM_RSRC3_GFX90A:TG_SPLIT: 0
	.section	.text._Z39paged_attention_ll4mi_QKV_mfma16_kernelI14__hip_bfloat16hLN4vllm18Fp8KVCacheDataTypeE1ES0_Li16ELi64ELi256ELb1ELi2EL8MFMAType1EEvPKT_PKT0_S9_ifPKiSB_SB_iPKfiiiPfSE_PS4_PT2_iSD_SD_,"axG",@progbits,_Z39paged_attention_ll4mi_QKV_mfma16_kernelI14__hip_bfloat16hLN4vllm18Fp8KVCacheDataTypeE1ES0_Li16ELi64ELi256ELb1ELi2EL8MFMAType1EEvPKT_PKT0_S9_ifPKiSB_SB_iPKfiiiPfSE_PS4_PT2_iSD_SD_,comdat
	.protected	_Z39paged_attention_ll4mi_QKV_mfma16_kernelI14__hip_bfloat16hLN4vllm18Fp8KVCacheDataTypeE1ES0_Li16ELi64ELi256ELb1ELi2EL8MFMAType1EEvPKT_PKT0_S9_ifPKiSB_SB_iPKfiiiPfSE_PS4_PT2_iSD_SD_ ; -- Begin function _Z39paged_attention_ll4mi_QKV_mfma16_kernelI14__hip_bfloat16hLN4vllm18Fp8KVCacheDataTypeE1ES0_Li16ELi64ELi256ELb1ELi2EL8MFMAType1EEvPKT_PKT0_S9_ifPKiSB_SB_iPKfiiiPfSE_PS4_PT2_iSD_SD_
	.globl	_Z39paged_attention_ll4mi_QKV_mfma16_kernelI14__hip_bfloat16hLN4vllm18Fp8KVCacheDataTypeE1ES0_Li16ELi64ELi256ELb1ELi2EL8MFMAType1EEvPKT_PKT0_S9_ifPKiSB_SB_iPKfiiiPfSE_PS4_PT2_iSD_SD_
	.p2align	8
	.type	_Z39paged_attention_ll4mi_QKV_mfma16_kernelI14__hip_bfloat16hLN4vllm18Fp8KVCacheDataTypeE1ES0_Li16ELi64ELi256ELb1ELi2EL8MFMAType1EEvPKT_PKT0_S9_ifPKiSB_SB_iPKfiiiPfSE_PS4_PT2_iSD_SD_,@function
_Z39paged_attention_ll4mi_QKV_mfma16_kernelI14__hip_bfloat16hLN4vllm18Fp8KVCacheDataTypeE1ES0_Li16ELi64ELi256ELb1ELi2EL8MFMAType1EEvPKT_PKT0_S9_ifPKiSB_SB_iPKfiiiPfSE_PS4_PT2_iSD_SD_: ; @_Z39paged_attention_ll4mi_QKV_mfma16_kernelI14__hip_bfloat16hLN4vllm18Fp8KVCacheDataTypeE1ES0_Li16ELi64ELi256ELb1ELi2EL8MFMAType1EEvPKT_PKT0_S9_ifPKiSB_SB_iPKfiiiPfSE_PS4_PT2_iSD_SD_
; %bb.0:
	s_load_dwordx2 s[12:13], s[4:5], 0x30
	s_add_u32 flat_scratch_lo, s6, s11
	s_addc_u32 flat_scratch_hi, s7, 0
	s_add_u32 s0, s0, s11
	s_addc_u32 s1, s1, 0
	s_waitcnt lgkmcnt(0)
	s_cmp_lg_u64 s[12:13], 0
	s_cselect_b64 s[14:15], -1, 0
	s_mov_b32 s6, s9
	s_mov_b64 s[16:17], 0
	s_and_b64 vcc, exec, s[14:15]
	s_mov_b32 s32, 0
	s_cbranch_vccz .LBB691_11
; %bb.1:
	s_add_i32 s18, s8, 1
	s_mov_b32 s19, 0
	s_lshl_b64 s[20:21], s[18:19], 2
	s_add_u32 s20, s12, s20
	s_mov_b32 s9, s19
	s_addc_u32 s21, s13, s21
	s_lshl_b64 s[18:19], s[8:9], 2
	s_add_u32 s18, s12, s18
	s_addc_u32 s19, s13, s19
	s_load_dword s7, s[20:21], 0x0
	s_load_dword s11, s[18:19], 0x0
	s_waitcnt lgkmcnt(0)
	s_sub_i32 s7, s7, s11
	s_cmp_eq_u32 s7, 1
	s_cselect_b64 s[18:19], -1, 0
	s_andn2_b64 vcc, exec, s[16:17]
	s_cbranch_vccnz .LBB691_3
.LBB691_2:
	s_mov_b32 s9, 0
	s_mov_b64 s[18:19], -1
.LBB691_3:
	s_andn2_b64 vcc, exec, s[18:19]
	s_cbranch_vccnz .LBB691_10
; %bb.4:
	s_load_dwordx2 s[18:19], s[4:5], 0x28
	s_lshl_b64 s[16:17], s[8:9], 2
	s_waitcnt lgkmcnt(0)
	s_add_u32 s18, s18, s16
	s_addc_u32 s19, s19, s17
	s_load_dword s7, s[18:19], 0x0
	s_lshl_b32 s6, s6, 8
	s_waitcnt lgkmcnt(0)
	s_cmp_ge_i32 s6, s7
	s_cbranch_scc1 .LBB691_10
; %bb.5:
	s_andn2_b64 vcc, exec, s[14:15]
	s_cbranch_vccnz .LBB691_7
; %bb.6:
	s_add_u32 s6, s12, s16
	s_addc_u32 s7, s13, s17
	s_load_dword s8, s[6:7], 0x0
.LBB691_7:
	v_and_b32_e32 v1, 15, v0
	v_cmp_gt_u32_e32 vcc, 32, v0
	v_cmp_gt_u32_e64 s[6:7], 8, v1
	s_and_b64 s[12:13], s[6:7], vcc
	s_and_saveexec_b64 s[6:7], s[12:13]
	s_cbranch_execz .LBB691_9
; %bb.8:
	s_load_dword s9, s[4:5], 0x48
	s_load_dwordx2 s[12:13], s[4:5], 0x0
	v_lshrrev_b32_e32 v6, 4, v0
	v_lshlrev_b32_e32 v2, 6, v6
	v_lshl_or_b32 v2, s10, 7, v2
	s_waitcnt lgkmcnt(0)
	s_ashr_i32 s11, s9, 31
	s_mul_hi_u32 s15, s8, s9
	s_mul_i32 s14, s8, s9
	s_mul_i32 s8, s8, s11
	s_add_i32 s15, s15, s8
	s_lshl_b64 s[8:9], s[14:15], 1
	s_add_u32 s8, s12, s8
	v_ashrrev_i32_e32 v3, 31, v2
	s_addc_u32 s9, s13, s9
	v_lshlrev_b64 v[2:3], 1, v[2:3]
	v_mov_b32_e32 v4, s9
	v_add_co_u32_e32 v2, vcc, s8, v2
	v_addc_co_u32_e32 v3, vcc, v4, v3, vcc
	v_lshlrev_b32_e32 v4, 4, v1
	v_add_co_u32_e32 v2, vcc, v2, v4
	v_addc_co_u32_e32 v3, vcc, 0, v3, vcc
	global_load_dwordx4 v[2:5], v[2:3], off
	v_lshlrev_b32_e32 v0, 4, v0
	v_lshlrev_b32_e32 v1, 8, v1
	v_and_b32_e32 v0, 16, v0
	v_lshlrev_b32_e32 v6, 5, v6
	v_and_b32_e32 v1, 0xe00, v1
	v_or3_b32 v0, v1, v6, v0
	s_waitcnt vmcnt(0)
	ds_write_b128 v0, v[2:5]
.LBB691_9:
	s_or_b64 exec, exec, s[6:7]
	s_waitcnt lgkmcnt(0)
	s_add_u32 s8, s4, 0x90
	s_addc_u32 s9, s5, 0
	s_getpc_b64 s[4:5]
	s_add_u32 s4, s4, __PRETTY_FUNCTION__._Z39paged_attention_ll4mi_QKV_mfma16_kernelI14__hip_bfloat16hLN4vllm18Fp8KVCacheDataTypeE1ES0_Li16ELi64ELi256ELb1ELi2EL8MFMAType1EEvPKT_PKT0_S9_ifPKiSB_SB_iPKfiiiPfSE_PS4_PT2_iSD_SD_@rel32@lo+4
	s_addc_u32 s5, s5, __PRETTY_FUNCTION__._Z39paged_attention_ll4mi_QKV_mfma16_kernelI14__hip_bfloat16hLN4vllm18Fp8KVCacheDataTypeE1ES0_Li16ELi64ELi256ELb1ELi2EL8MFMAType1EEvPKT_PKT0_S9_ifPKiSB_SB_iPKfiiiPfSE_PS4_PT2_iSD_SD_@rel32@hi+12
	v_mov_b32_e32 v0, 0x288
	v_mov_b32_e32 v1, s4
	;; [unrolled: 1-line block ×3, first 2 shown]
	s_barrier
	s_getpc_b64 s[6:7]
	s_add_u32 s6, s6, __assert_fail@rel32@lo+4
	s_addc_u32 s7, s7, __assert_fail@rel32@hi+12
	s_swappc_b64 s[30:31], s[6:7]
	; divergent unreachable
.LBB691_10:
	s_endpgm
.LBB691_11:
	s_mov_b64 s[18:19], 0
	s_branch .LBB691_2
	.section	.rodata,"a",@progbits
	.p2align	6, 0x0
	.amdhsa_kernel _Z39paged_attention_ll4mi_QKV_mfma16_kernelI14__hip_bfloat16hLN4vllm18Fp8KVCacheDataTypeE1ES0_Li16ELi64ELi256ELb1ELi2EL8MFMAType1EEvPKT_PKT0_S9_ifPKiSB_SB_iPKfiiiPfSE_PS4_PT2_iSD_SD_
		.amdhsa_group_segment_fixed_size 8192
		.amdhsa_private_segment_fixed_size 64
		.amdhsa_kernarg_size 400
		.amdhsa_user_sgpr_count 8
		.amdhsa_user_sgpr_private_segment_buffer 1
		.amdhsa_user_sgpr_dispatch_ptr 0
		.amdhsa_user_sgpr_queue_ptr 0
		.amdhsa_user_sgpr_kernarg_segment_ptr 1
		.amdhsa_user_sgpr_dispatch_id 0
		.amdhsa_user_sgpr_flat_scratch_init 1
		.amdhsa_user_sgpr_kernarg_preload_length 0
		.amdhsa_user_sgpr_kernarg_preload_offset 0
		.amdhsa_user_sgpr_private_segment_size 0
		.amdhsa_uses_dynamic_stack 0
		.amdhsa_system_sgpr_private_segment_wavefront_offset 1
		.amdhsa_system_sgpr_workgroup_id_x 1
		.amdhsa_system_sgpr_workgroup_id_y 1
		.amdhsa_system_sgpr_workgroup_id_z 1
		.amdhsa_system_sgpr_workgroup_info 0
		.amdhsa_system_vgpr_workitem_id 0
		.amdhsa_next_free_vgpr 45
		.amdhsa_next_free_sgpr 34
		.amdhsa_accum_offset 44
		.amdhsa_reserve_vcc 1
		.amdhsa_reserve_flat_scratch 1
		.amdhsa_float_round_mode_32 0
		.amdhsa_float_round_mode_16_64 0
		.amdhsa_float_denorm_mode_32 3
		.amdhsa_float_denorm_mode_16_64 3
		.amdhsa_dx10_clamp 1
		.amdhsa_ieee_mode 1
		.amdhsa_fp16_overflow 0
		.amdhsa_tg_split 0
		.amdhsa_exception_fp_ieee_invalid_op 0
		.amdhsa_exception_fp_denorm_src 0
		.amdhsa_exception_fp_ieee_div_zero 0
		.amdhsa_exception_fp_ieee_overflow 0
		.amdhsa_exception_fp_ieee_underflow 0
		.amdhsa_exception_fp_ieee_inexact 0
		.amdhsa_exception_int_div_zero 0
	.end_amdhsa_kernel
	.section	.text._Z39paged_attention_ll4mi_QKV_mfma16_kernelI14__hip_bfloat16hLN4vllm18Fp8KVCacheDataTypeE1ES0_Li16ELi64ELi256ELb1ELi2EL8MFMAType1EEvPKT_PKT0_S9_ifPKiSB_SB_iPKfiiiPfSE_PS4_PT2_iSD_SD_,"axG",@progbits,_Z39paged_attention_ll4mi_QKV_mfma16_kernelI14__hip_bfloat16hLN4vllm18Fp8KVCacheDataTypeE1ES0_Li16ELi64ELi256ELb1ELi2EL8MFMAType1EEvPKT_PKT0_S9_ifPKiSB_SB_iPKfiiiPfSE_PS4_PT2_iSD_SD_,comdat
.Lfunc_end691:
	.size	_Z39paged_attention_ll4mi_QKV_mfma16_kernelI14__hip_bfloat16hLN4vllm18Fp8KVCacheDataTypeE1ES0_Li16ELi64ELi256ELb1ELi2EL8MFMAType1EEvPKT_PKT0_S9_ifPKiSB_SB_iPKfiiiPfSE_PS4_PT2_iSD_SD_, .Lfunc_end691-_Z39paged_attention_ll4mi_QKV_mfma16_kernelI14__hip_bfloat16hLN4vllm18Fp8KVCacheDataTypeE1ES0_Li16ELi64ELi256ELb1ELi2EL8MFMAType1EEvPKT_PKT0_S9_ifPKiSB_SB_iPKfiiiPfSE_PS4_PT2_iSD_SD_
                                        ; -- End function
	.section	.AMDGPU.csdata,"",@progbits
; Kernel info:
; codeLenInByte = 500
; NumSgprs: 40
; NumVgprs: 42
; NumAgprs: 1
; TotalNumVgprs: 45
; ScratchSize: 64
; MemoryBound: 0
; FloatMode: 240
; IeeeMode: 1
; LDSByteSize: 8192 bytes/workgroup (compile time only)
; SGPRBlocks: 4
; VGPRBlocks: 5
; NumSGPRsForWavesPerEU: 40
; NumVGPRsForWavesPerEU: 45
; AccumOffset: 44
; Occupancy: 8
; WaveLimiterHint : 1
; COMPUTE_PGM_RSRC2:SCRATCH_EN: 1
; COMPUTE_PGM_RSRC2:USER_SGPR: 8
; COMPUTE_PGM_RSRC2:TRAP_HANDLER: 0
; COMPUTE_PGM_RSRC2:TGID_X_EN: 1
; COMPUTE_PGM_RSRC2:TGID_Y_EN: 1
; COMPUTE_PGM_RSRC2:TGID_Z_EN: 1
; COMPUTE_PGM_RSRC2:TIDIG_COMP_CNT: 0
; COMPUTE_PGM_RSRC3_GFX90A:ACCUM_OFFSET: 10
; COMPUTE_PGM_RSRC3_GFX90A:TG_SPLIT: 0
	.section	.text._Z39paged_attention_ll4mi_QKV_mfma16_kernelI14__hip_bfloat16hLN4vllm18Fp8KVCacheDataTypeE1ES0_Li16ELi64ELi256ELb1ELi3EL8MFMAType1EEvPKT_PKT0_S9_ifPKiSB_SB_iPKfiiiPfSE_PS4_PT2_iSD_SD_,"axG",@progbits,_Z39paged_attention_ll4mi_QKV_mfma16_kernelI14__hip_bfloat16hLN4vllm18Fp8KVCacheDataTypeE1ES0_Li16ELi64ELi256ELb1ELi3EL8MFMAType1EEvPKT_PKT0_S9_ifPKiSB_SB_iPKfiiiPfSE_PS4_PT2_iSD_SD_,comdat
	.protected	_Z39paged_attention_ll4mi_QKV_mfma16_kernelI14__hip_bfloat16hLN4vllm18Fp8KVCacheDataTypeE1ES0_Li16ELi64ELi256ELb1ELi3EL8MFMAType1EEvPKT_PKT0_S9_ifPKiSB_SB_iPKfiiiPfSE_PS4_PT2_iSD_SD_ ; -- Begin function _Z39paged_attention_ll4mi_QKV_mfma16_kernelI14__hip_bfloat16hLN4vllm18Fp8KVCacheDataTypeE1ES0_Li16ELi64ELi256ELb1ELi3EL8MFMAType1EEvPKT_PKT0_S9_ifPKiSB_SB_iPKfiiiPfSE_PS4_PT2_iSD_SD_
	.globl	_Z39paged_attention_ll4mi_QKV_mfma16_kernelI14__hip_bfloat16hLN4vllm18Fp8KVCacheDataTypeE1ES0_Li16ELi64ELi256ELb1ELi3EL8MFMAType1EEvPKT_PKT0_S9_ifPKiSB_SB_iPKfiiiPfSE_PS4_PT2_iSD_SD_
	.p2align	8
	.type	_Z39paged_attention_ll4mi_QKV_mfma16_kernelI14__hip_bfloat16hLN4vllm18Fp8KVCacheDataTypeE1ES0_Li16ELi64ELi256ELb1ELi3EL8MFMAType1EEvPKT_PKT0_S9_ifPKiSB_SB_iPKfiiiPfSE_PS4_PT2_iSD_SD_,@function
_Z39paged_attention_ll4mi_QKV_mfma16_kernelI14__hip_bfloat16hLN4vllm18Fp8KVCacheDataTypeE1ES0_Li16ELi64ELi256ELb1ELi3EL8MFMAType1EEvPKT_PKT0_S9_ifPKiSB_SB_iPKfiiiPfSE_PS4_PT2_iSD_SD_: ; @_Z39paged_attention_ll4mi_QKV_mfma16_kernelI14__hip_bfloat16hLN4vllm18Fp8KVCacheDataTypeE1ES0_Li16ELi64ELi256ELb1ELi3EL8MFMAType1EEvPKT_PKT0_S9_ifPKiSB_SB_iPKfiiiPfSE_PS4_PT2_iSD_SD_
; %bb.0:
	s_load_dwordx2 s[12:13], s[4:5], 0x30
	s_add_u32 flat_scratch_lo, s6, s11
	s_addc_u32 flat_scratch_hi, s7, 0
	s_add_u32 s0, s0, s11
	s_addc_u32 s1, s1, 0
	s_waitcnt lgkmcnt(0)
	s_cmp_lg_u64 s[12:13], 0
	s_cselect_b64 s[14:15], -1, 0
	s_mov_b32 s6, s9
	s_mov_b64 s[16:17], 0
	s_and_b64 vcc, exec, s[14:15]
	s_mov_b32 s32, 0
	s_cbranch_vccz .LBB692_11
; %bb.1:
	s_add_i32 s18, s8, 1
	s_mov_b32 s19, 0
	s_lshl_b64 s[20:21], s[18:19], 2
	s_add_u32 s20, s12, s20
	s_mov_b32 s9, s19
	s_addc_u32 s21, s13, s21
	s_lshl_b64 s[18:19], s[8:9], 2
	s_add_u32 s18, s12, s18
	s_addc_u32 s19, s13, s19
	s_load_dword s7, s[20:21], 0x0
	s_load_dword s11, s[18:19], 0x0
	s_waitcnt lgkmcnt(0)
	s_sub_i32 s7, s7, s11
	s_cmp_eq_u32 s7, 1
	s_cselect_b64 s[18:19], -1, 0
	s_andn2_b64 vcc, exec, s[16:17]
	s_cbranch_vccnz .LBB692_3
.LBB692_2:
	s_mov_b32 s9, 0
	s_mov_b64 s[18:19], -1
.LBB692_3:
	s_andn2_b64 vcc, exec, s[18:19]
	s_cbranch_vccnz .LBB692_10
; %bb.4:
	s_load_dwordx2 s[18:19], s[4:5], 0x28
	s_lshl_b64 s[16:17], s[8:9], 2
	s_waitcnt lgkmcnt(0)
	s_add_u32 s18, s18, s16
	s_addc_u32 s19, s19, s17
	s_load_dword s7, s[18:19], 0x0
	s_lshl_b32 s6, s6, 8
	s_waitcnt lgkmcnt(0)
	s_cmp_ge_i32 s6, s7
	s_cbranch_scc1 .LBB692_10
; %bb.5:
	s_andn2_b64 vcc, exec, s[14:15]
	s_cbranch_vccnz .LBB692_7
; %bb.6:
	s_add_u32 s6, s12, s16
	s_addc_u32 s7, s13, s17
	s_load_dword s8, s[6:7], 0x0
.LBB692_7:
	v_and_b32_e32 v1, 15, v0
	v_cmp_gt_u32_e32 vcc, 48, v0
	v_cmp_gt_u32_e64 s[6:7], 8, v1
	s_and_b64 s[12:13], s[6:7], vcc
	s_and_saveexec_b64 s[6:7], s[12:13]
	s_cbranch_execz .LBB692_9
; %bb.8:
	s_load_dword s11, s[4:5], 0x48
	s_load_dwordx2 s[12:13], s[4:5], 0x0
	v_lshrrev_b32_e32 v6, 4, v0
	s_mul_i32 s10, s10, 3
	v_add_lshl_u32 v2, v6, s10, 6
	s_waitcnt lgkmcnt(0)
	s_ashr_i32 s9, s11, 31
	s_mul_hi_u32 s14, s8, s11
	s_mul_i32 s9, s8, s9
	s_add_i32 s9, s14, s9
	s_mul_i32 s8, s8, s11
	s_lshl_b64 s[8:9], s[8:9], 1
	s_add_u32 s8, s12, s8
	v_ashrrev_i32_e32 v3, 31, v2
	s_addc_u32 s9, s13, s9
	v_lshlrev_b64 v[2:3], 1, v[2:3]
	v_mov_b32_e32 v4, s9
	v_add_co_u32_e32 v2, vcc, s8, v2
	v_addc_co_u32_e32 v3, vcc, v4, v3, vcc
	v_lshlrev_b32_e32 v4, 4, v1
	v_add_co_u32_e32 v2, vcc, v2, v4
	v_addc_co_u32_e32 v3, vcc, 0, v3, vcc
	global_load_dwordx4 v[2:5], v[2:3], off
	v_lshlrev_b32_e32 v0, 4, v0
	v_lshlrev_b32_e32 v1, 8, v1
	v_and_b32_e32 v0, 16, v0
	v_lshlrev_b32_e32 v6, 5, v6
	v_and_b32_e32 v1, 0xe00, v1
	v_or3_b32 v0, v1, v6, v0
	s_waitcnt vmcnt(0)
	ds_write_b128 v0, v[2:5]
.LBB692_9:
	s_or_b64 exec, exec, s[6:7]
	s_waitcnt lgkmcnt(0)
	s_add_u32 s8, s4, 0x90
	s_addc_u32 s9, s5, 0
	s_getpc_b64 s[4:5]
	s_add_u32 s4, s4, __PRETTY_FUNCTION__._Z39paged_attention_ll4mi_QKV_mfma16_kernelI14__hip_bfloat16hLN4vllm18Fp8KVCacheDataTypeE1ES0_Li16ELi64ELi256ELb1ELi3EL8MFMAType1EEvPKT_PKT0_S9_ifPKiSB_SB_iPKfiiiPfSE_PS4_PT2_iSD_SD_@rel32@lo+4
	s_addc_u32 s5, s5, __PRETTY_FUNCTION__._Z39paged_attention_ll4mi_QKV_mfma16_kernelI14__hip_bfloat16hLN4vllm18Fp8KVCacheDataTypeE1ES0_Li16ELi64ELi256ELb1ELi3EL8MFMAType1EEvPKT_PKT0_S9_ifPKiSB_SB_iPKfiiiPfSE_PS4_PT2_iSD_SD_@rel32@hi+12
	v_mov_b32_e32 v0, 0x288
	v_mov_b32_e32 v1, s4
	;; [unrolled: 1-line block ×3, first 2 shown]
	s_barrier
	s_getpc_b64 s[6:7]
	s_add_u32 s6, s6, __assert_fail@rel32@lo+4
	s_addc_u32 s7, s7, __assert_fail@rel32@hi+12
	s_swappc_b64 s[30:31], s[6:7]
	; divergent unreachable
.LBB692_10:
	s_endpgm
.LBB692_11:
	s_mov_b64 s[18:19], 0
	s_branch .LBB692_2
	.section	.rodata,"a",@progbits
	.p2align	6, 0x0
	.amdhsa_kernel _Z39paged_attention_ll4mi_QKV_mfma16_kernelI14__hip_bfloat16hLN4vllm18Fp8KVCacheDataTypeE1ES0_Li16ELi64ELi256ELb1ELi3EL8MFMAType1EEvPKT_PKT0_S9_ifPKiSB_SB_iPKfiiiPfSE_PS4_PT2_iSD_SD_
		.amdhsa_group_segment_fixed_size 8192
		.amdhsa_private_segment_fixed_size 64
		.amdhsa_kernarg_size 400
		.amdhsa_user_sgpr_count 8
		.amdhsa_user_sgpr_private_segment_buffer 1
		.amdhsa_user_sgpr_dispatch_ptr 0
		.amdhsa_user_sgpr_queue_ptr 0
		.amdhsa_user_sgpr_kernarg_segment_ptr 1
		.amdhsa_user_sgpr_dispatch_id 0
		.amdhsa_user_sgpr_flat_scratch_init 1
		.amdhsa_user_sgpr_kernarg_preload_length 0
		.amdhsa_user_sgpr_kernarg_preload_offset 0
		.amdhsa_user_sgpr_private_segment_size 0
		.amdhsa_uses_dynamic_stack 0
		.amdhsa_system_sgpr_private_segment_wavefront_offset 1
		.amdhsa_system_sgpr_workgroup_id_x 1
		.amdhsa_system_sgpr_workgroup_id_y 1
		.amdhsa_system_sgpr_workgroup_id_z 1
		.amdhsa_system_sgpr_workgroup_info 0
		.amdhsa_system_vgpr_workitem_id 0
		.amdhsa_next_free_vgpr 45
		.amdhsa_next_free_sgpr 34
		.amdhsa_accum_offset 44
		.amdhsa_reserve_vcc 1
		.amdhsa_reserve_flat_scratch 1
		.amdhsa_float_round_mode_32 0
		.amdhsa_float_round_mode_16_64 0
		.amdhsa_float_denorm_mode_32 3
		.amdhsa_float_denorm_mode_16_64 3
		.amdhsa_dx10_clamp 1
		.amdhsa_ieee_mode 1
		.amdhsa_fp16_overflow 0
		.amdhsa_tg_split 0
		.amdhsa_exception_fp_ieee_invalid_op 0
		.amdhsa_exception_fp_denorm_src 0
		.amdhsa_exception_fp_ieee_div_zero 0
		.amdhsa_exception_fp_ieee_overflow 0
		.amdhsa_exception_fp_ieee_underflow 0
		.amdhsa_exception_fp_ieee_inexact 0
		.amdhsa_exception_int_div_zero 0
	.end_amdhsa_kernel
	.section	.text._Z39paged_attention_ll4mi_QKV_mfma16_kernelI14__hip_bfloat16hLN4vllm18Fp8KVCacheDataTypeE1ES0_Li16ELi64ELi256ELb1ELi3EL8MFMAType1EEvPKT_PKT0_S9_ifPKiSB_SB_iPKfiiiPfSE_PS4_PT2_iSD_SD_,"axG",@progbits,_Z39paged_attention_ll4mi_QKV_mfma16_kernelI14__hip_bfloat16hLN4vllm18Fp8KVCacheDataTypeE1ES0_Li16ELi64ELi256ELb1ELi3EL8MFMAType1EEvPKT_PKT0_S9_ifPKiSB_SB_iPKfiiiPfSE_PS4_PT2_iSD_SD_,comdat
.Lfunc_end692:
	.size	_Z39paged_attention_ll4mi_QKV_mfma16_kernelI14__hip_bfloat16hLN4vllm18Fp8KVCacheDataTypeE1ES0_Li16ELi64ELi256ELb1ELi3EL8MFMAType1EEvPKT_PKT0_S9_ifPKiSB_SB_iPKfiiiPfSE_PS4_PT2_iSD_SD_, .Lfunc_end692-_Z39paged_attention_ll4mi_QKV_mfma16_kernelI14__hip_bfloat16hLN4vllm18Fp8KVCacheDataTypeE1ES0_Li16ELi64ELi256ELb1ELi3EL8MFMAType1EEvPKT_PKT0_S9_ifPKiSB_SB_iPKfiiiPfSE_PS4_PT2_iSD_SD_
                                        ; -- End function
	.section	.AMDGPU.csdata,"",@progbits
; Kernel info:
; codeLenInByte = 500
; NumSgprs: 40
; NumVgprs: 42
; NumAgprs: 1
; TotalNumVgprs: 45
; ScratchSize: 64
; MemoryBound: 0
; FloatMode: 240
; IeeeMode: 1
; LDSByteSize: 8192 bytes/workgroup (compile time only)
; SGPRBlocks: 4
; VGPRBlocks: 5
; NumSGPRsForWavesPerEU: 40
; NumVGPRsForWavesPerEU: 45
; AccumOffset: 44
; Occupancy: 8
; WaveLimiterHint : 1
; COMPUTE_PGM_RSRC2:SCRATCH_EN: 1
; COMPUTE_PGM_RSRC2:USER_SGPR: 8
; COMPUTE_PGM_RSRC2:TRAP_HANDLER: 0
; COMPUTE_PGM_RSRC2:TGID_X_EN: 1
; COMPUTE_PGM_RSRC2:TGID_Y_EN: 1
; COMPUTE_PGM_RSRC2:TGID_Z_EN: 1
; COMPUTE_PGM_RSRC2:TIDIG_COMP_CNT: 0
; COMPUTE_PGM_RSRC3_GFX90A:ACCUM_OFFSET: 10
; COMPUTE_PGM_RSRC3_GFX90A:TG_SPLIT: 0
	.section	.text._Z39paged_attention_ll4mi_QKV_mfma16_kernelI14__hip_bfloat16hLN4vllm18Fp8KVCacheDataTypeE1ES0_Li16ELi64ELi256ELb1ELi4EL8MFMAType1EEvPKT_PKT0_S9_ifPKiSB_SB_iPKfiiiPfSE_PS4_PT2_iSD_SD_,"axG",@progbits,_Z39paged_attention_ll4mi_QKV_mfma16_kernelI14__hip_bfloat16hLN4vllm18Fp8KVCacheDataTypeE1ES0_Li16ELi64ELi256ELb1ELi4EL8MFMAType1EEvPKT_PKT0_S9_ifPKiSB_SB_iPKfiiiPfSE_PS4_PT2_iSD_SD_,comdat
	.protected	_Z39paged_attention_ll4mi_QKV_mfma16_kernelI14__hip_bfloat16hLN4vllm18Fp8KVCacheDataTypeE1ES0_Li16ELi64ELi256ELb1ELi4EL8MFMAType1EEvPKT_PKT0_S9_ifPKiSB_SB_iPKfiiiPfSE_PS4_PT2_iSD_SD_ ; -- Begin function _Z39paged_attention_ll4mi_QKV_mfma16_kernelI14__hip_bfloat16hLN4vllm18Fp8KVCacheDataTypeE1ES0_Li16ELi64ELi256ELb1ELi4EL8MFMAType1EEvPKT_PKT0_S9_ifPKiSB_SB_iPKfiiiPfSE_PS4_PT2_iSD_SD_
	.globl	_Z39paged_attention_ll4mi_QKV_mfma16_kernelI14__hip_bfloat16hLN4vllm18Fp8KVCacheDataTypeE1ES0_Li16ELi64ELi256ELb1ELi4EL8MFMAType1EEvPKT_PKT0_S9_ifPKiSB_SB_iPKfiiiPfSE_PS4_PT2_iSD_SD_
	.p2align	8
	.type	_Z39paged_attention_ll4mi_QKV_mfma16_kernelI14__hip_bfloat16hLN4vllm18Fp8KVCacheDataTypeE1ES0_Li16ELi64ELi256ELb1ELi4EL8MFMAType1EEvPKT_PKT0_S9_ifPKiSB_SB_iPKfiiiPfSE_PS4_PT2_iSD_SD_,@function
_Z39paged_attention_ll4mi_QKV_mfma16_kernelI14__hip_bfloat16hLN4vllm18Fp8KVCacheDataTypeE1ES0_Li16ELi64ELi256ELb1ELi4EL8MFMAType1EEvPKT_PKT0_S9_ifPKiSB_SB_iPKfiiiPfSE_PS4_PT2_iSD_SD_: ; @_Z39paged_attention_ll4mi_QKV_mfma16_kernelI14__hip_bfloat16hLN4vllm18Fp8KVCacheDataTypeE1ES0_Li16ELi64ELi256ELb1ELi4EL8MFMAType1EEvPKT_PKT0_S9_ifPKiSB_SB_iPKfiiiPfSE_PS4_PT2_iSD_SD_
; %bb.0:
	s_load_dwordx2 s[12:13], s[4:5], 0x30
	s_add_u32 flat_scratch_lo, s6, s11
	s_addc_u32 flat_scratch_hi, s7, 0
	s_add_u32 s0, s0, s11
	s_addc_u32 s1, s1, 0
	s_waitcnt lgkmcnt(0)
	s_cmp_lg_u64 s[12:13], 0
	s_cselect_b64 s[14:15], -1, 0
	s_mov_b32 s6, s9
	s_mov_b64 s[16:17], 0
	s_and_b64 vcc, exec, s[14:15]
	s_mov_b32 s32, 0
	s_cbranch_vccz .LBB693_11
; %bb.1:
	s_add_i32 s18, s8, 1
	s_mov_b32 s19, 0
	s_lshl_b64 s[20:21], s[18:19], 2
	s_add_u32 s20, s12, s20
	s_mov_b32 s9, s19
	s_addc_u32 s21, s13, s21
	s_lshl_b64 s[18:19], s[8:9], 2
	s_add_u32 s18, s12, s18
	s_addc_u32 s19, s13, s19
	s_load_dword s7, s[20:21], 0x0
	s_load_dword s11, s[18:19], 0x0
	s_waitcnt lgkmcnt(0)
	s_sub_i32 s7, s7, s11
	s_cmp_eq_u32 s7, 1
	s_cselect_b64 s[18:19], -1, 0
	s_andn2_b64 vcc, exec, s[16:17]
	s_cbranch_vccnz .LBB693_3
.LBB693_2:
	s_mov_b32 s9, 0
	s_mov_b64 s[18:19], -1
.LBB693_3:
	s_andn2_b64 vcc, exec, s[18:19]
	s_cbranch_vccnz .LBB693_10
; %bb.4:
	s_load_dwordx2 s[18:19], s[4:5], 0x28
	s_lshl_b64 s[16:17], s[8:9], 2
	s_waitcnt lgkmcnt(0)
	s_add_u32 s18, s18, s16
	s_addc_u32 s19, s19, s17
	s_load_dword s7, s[18:19], 0x0
	s_lshl_b32 s6, s6, 8
	s_waitcnt lgkmcnt(0)
	s_cmp_ge_i32 s6, s7
	s_cbranch_scc1 .LBB693_10
; %bb.5:
	s_andn2_b64 vcc, exec, s[14:15]
	s_cbranch_vccnz .LBB693_7
; %bb.6:
	s_add_u32 s6, s12, s16
	s_addc_u32 s7, s13, s17
	s_load_dword s8, s[6:7], 0x0
.LBB693_7:
	v_and_b32_e32 v1, 15, v0
	v_cmp_gt_u32_e32 vcc, 64, v0
	v_cmp_gt_u32_e64 s[6:7], 8, v1
	s_and_b64 s[12:13], vcc, s[6:7]
	s_and_saveexec_b64 s[6:7], s[12:13]
	s_cbranch_execz .LBB693_9
; %bb.8:
	s_load_dword s9, s[4:5], 0x48
	s_load_dwordx2 s[12:13], s[4:5], 0x0
	v_lshrrev_b32_e32 v6, 4, v0
	v_lshlrev_b32_e32 v2, 6, v6
	v_lshl_or_b32 v2, s10, 8, v2
	s_waitcnt lgkmcnt(0)
	s_ashr_i32 s11, s9, 31
	s_mul_hi_u32 s15, s8, s9
	s_mul_i32 s14, s8, s9
	s_mul_i32 s8, s8, s11
	s_add_i32 s15, s15, s8
	s_lshl_b64 s[8:9], s[14:15], 1
	s_add_u32 s8, s12, s8
	v_ashrrev_i32_e32 v3, 31, v2
	s_addc_u32 s9, s13, s9
	v_lshlrev_b64 v[2:3], 1, v[2:3]
	v_mov_b32_e32 v4, s9
	v_add_co_u32_e32 v2, vcc, s8, v2
	v_addc_co_u32_e32 v3, vcc, v4, v3, vcc
	v_lshlrev_b32_e32 v4, 4, v1
	v_add_co_u32_e32 v2, vcc, v2, v4
	v_addc_co_u32_e32 v3, vcc, 0, v3, vcc
	global_load_dwordx4 v[2:5], v[2:3], off
	v_lshlrev_b32_e32 v0, 4, v0
	v_lshlrev_b32_e32 v1, 8, v1
	v_and_b32_e32 v0, 16, v0
	v_lshlrev_b32_e32 v6, 5, v6
	v_and_b32_e32 v1, 0xe00, v1
	v_or3_b32 v0, v1, v6, v0
	s_waitcnt vmcnt(0)
	ds_write_b128 v0, v[2:5]
.LBB693_9:
	s_or_b64 exec, exec, s[6:7]
	s_waitcnt lgkmcnt(0)
	s_add_u32 s8, s4, 0x90
	s_addc_u32 s9, s5, 0
	s_getpc_b64 s[4:5]
	s_add_u32 s4, s4, __PRETTY_FUNCTION__._Z39paged_attention_ll4mi_QKV_mfma16_kernelI14__hip_bfloat16hLN4vllm18Fp8KVCacheDataTypeE1ES0_Li16ELi64ELi256ELb1ELi4EL8MFMAType1EEvPKT_PKT0_S9_ifPKiSB_SB_iPKfiiiPfSE_PS4_PT2_iSD_SD_@rel32@lo+4
	s_addc_u32 s5, s5, __PRETTY_FUNCTION__._Z39paged_attention_ll4mi_QKV_mfma16_kernelI14__hip_bfloat16hLN4vllm18Fp8KVCacheDataTypeE1ES0_Li16ELi64ELi256ELb1ELi4EL8MFMAType1EEvPKT_PKT0_S9_ifPKiSB_SB_iPKfiiiPfSE_PS4_PT2_iSD_SD_@rel32@hi+12
	v_mov_b32_e32 v0, 0x288
	v_mov_b32_e32 v1, s4
	v_mov_b32_e32 v2, s5
	s_barrier
	s_getpc_b64 s[6:7]
	s_add_u32 s6, s6, __assert_fail@rel32@lo+4
	s_addc_u32 s7, s7, __assert_fail@rel32@hi+12
	s_swappc_b64 s[30:31], s[6:7]
	; divergent unreachable
.LBB693_10:
	s_endpgm
.LBB693_11:
	s_mov_b64 s[18:19], 0
	s_branch .LBB693_2
	.section	.rodata,"a",@progbits
	.p2align	6, 0x0
	.amdhsa_kernel _Z39paged_attention_ll4mi_QKV_mfma16_kernelI14__hip_bfloat16hLN4vllm18Fp8KVCacheDataTypeE1ES0_Li16ELi64ELi256ELb1ELi4EL8MFMAType1EEvPKT_PKT0_S9_ifPKiSB_SB_iPKfiiiPfSE_PS4_PT2_iSD_SD_
		.amdhsa_group_segment_fixed_size 8192
		.amdhsa_private_segment_fixed_size 64
		.amdhsa_kernarg_size 400
		.amdhsa_user_sgpr_count 8
		.amdhsa_user_sgpr_private_segment_buffer 1
		.amdhsa_user_sgpr_dispatch_ptr 0
		.amdhsa_user_sgpr_queue_ptr 0
		.amdhsa_user_sgpr_kernarg_segment_ptr 1
		.amdhsa_user_sgpr_dispatch_id 0
		.amdhsa_user_sgpr_flat_scratch_init 1
		.amdhsa_user_sgpr_kernarg_preload_length 0
		.amdhsa_user_sgpr_kernarg_preload_offset 0
		.amdhsa_user_sgpr_private_segment_size 0
		.amdhsa_uses_dynamic_stack 0
		.amdhsa_system_sgpr_private_segment_wavefront_offset 1
		.amdhsa_system_sgpr_workgroup_id_x 1
		.amdhsa_system_sgpr_workgroup_id_y 1
		.amdhsa_system_sgpr_workgroup_id_z 1
		.amdhsa_system_sgpr_workgroup_info 0
		.amdhsa_system_vgpr_workitem_id 0
		.amdhsa_next_free_vgpr 45
		.amdhsa_next_free_sgpr 34
		.amdhsa_accum_offset 44
		.amdhsa_reserve_vcc 1
		.amdhsa_reserve_flat_scratch 1
		.amdhsa_float_round_mode_32 0
		.amdhsa_float_round_mode_16_64 0
		.amdhsa_float_denorm_mode_32 3
		.amdhsa_float_denorm_mode_16_64 3
		.amdhsa_dx10_clamp 1
		.amdhsa_ieee_mode 1
		.amdhsa_fp16_overflow 0
		.amdhsa_tg_split 0
		.amdhsa_exception_fp_ieee_invalid_op 0
		.amdhsa_exception_fp_denorm_src 0
		.amdhsa_exception_fp_ieee_div_zero 0
		.amdhsa_exception_fp_ieee_overflow 0
		.amdhsa_exception_fp_ieee_underflow 0
		.amdhsa_exception_fp_ieee_inexact 0
		.amdhsa_exception_int_div_zero 0
	.end_amdhsa_kernel
	.section	.text._Z39paged_attention_ll4mi_QKV_mfma16_kernelI14__hip_bfloat16hLN4vllm18Fp8KVCacheDataTypeE1ES0_Li16ELi64ELi256ELb1ELi4EL8MFMAType1EEvPKT_PKT0_S9_ifPKiSB_SB_iPKfiiiPfSE_PS4_PT2_iSD_SD_,"axG",@progbits,_Z39paged_attention_ll4mi_QKV_mfma16_kernelI14__hip_bfloat16hLN4vllm18Fp8KVCacheDataTypeE1ES0_Li16ELi64ELi256ELb1ELi4EL8MFMAType1EEvPKT_PKT0_S9_ifPKiSB_SB_iPKfiiiPfSE_PS4_PT2_iSD_SD_,comdat
.Lfunc_end693:
	.size	_Z39paged_attention_ll4mi_QKV_mfma16_kernelI14__hip_bfloat16hLN4vllm18Fp8KVCacheDataTypeE1ES0_Li16ELi64ELi256ELb1ELi4EL8MFMAType1EEvPKT_PKT0_S9_ifPKiSB_SB_iPKfiiiPfSE_PS4_PT2_iSD_SD_, .Lfunc_end693-_Z39paged_attention_ll4mi_QKV_mfma16_kernelI14__hip_bfloat16hLN4vllm18Fp8KVCacheDataTypeE1ES0_Li16ELi64ELi256ELb1ELi4EL8MFMAType1EEvPKT_PKT0_S9_ifPKiSB_SB_iPKfiiiPfSE_PS4_PT2_iSD_SD_
                                        ; -- End function
	.section	.AMDGPU.csdata,"",@progbits
; Kernel info:
; codeLenInByte = 500
; NumSgprs: 40
; NumVgprs: 42
; NumAgprs: 1
; TotalNumVgprs: 45
; ScratchSize: 64
; MemoryBound: 0
; FloatMode: 240
; IeeeMode: 1
; LDSByteSize: 8192 bytes/workgroup (compile time only)
; SGPRBlocks: 4
; VGPRBlocks: 5
; NumSGPRsForWavesPerEU: 40
; NumVGPRsForWavesPerEU: 45
; AccumOffset: 44
; Occupancy: 8
; WaveLimiterHint : 1
; COMPUTE_PGM_RSRC2:SCRATCH_EN: 1
; COMPUTE_PGM_RSRC2:USER_SGPR: 8
; COMPUTE_PGM_RSRC2:TRAP_HANDLER: 0
; COMPUTE_PGM_RSRC2:TGID_X_EN: 1
; COMPUTE_PGM_RSRC2:TGID_Y_EN: 1
; COMPUTE_PGM_RSRC2:TGID_Z_EN: 1
; COMPUTE_PGM_RSRC2:TIDIG_COMP_CNT: 0
; COMPUTE_PGM_RSRC3_GFX90A:ACCUM_OFFSET: 10
; COMPUTE_PGM_RSRC3_GFX90A:TG_SPLIT: 0
	.section	.text._Z38paged_attention_ll4mi_QKV_mfma4_kernelI14__hip_bfloat16hLN4vllm18Fp8KVCacheDataTypeE1ES0_Li16ELi64ELi256ELb0ELi1EEvPKT_PKT0_S8_ifPKiSA_SA_iPKfiiiPfSD_PS3_PT2_iSC_SC_,"axG",@progbits,_Z38paged_attention_ll4mi_QKV_mfma4_kernelI14__hip_bfloat16hLN4vllm18Fp8KVCacheDataTypeE1ES0_Li16ELi64ELi256ELb0ELi1EEvPKT_PKT0_S8_ifPKiSA_SA_iPKfiiiPfSD_PS3_PT2_iSC_SC_,comdat
	.protected	_Z38paged_attention_ll4mi_QKV_mfma4_kernelI14__hip_bfloat16hLN4vllm18Fp8KVCacheDataTypeE1ES0_Li16ELi64ELi256ELb0ELi1EEvPKT_PKT0_S8_ifPKiSA_SA_iPKfiiiPfSD_PS3_PT2_iSC_SC_ ; -- Begin function _Z38paged_attention_ll4mi_QKV_mfma4_kernelI14__hip_bfloat16hLN4vllm18Fp8KVCacheDataTypeE1ES0_Li16ELi64ELi256ELb0ELi1EEvPKT_PKT0_S8_ifPKiSA_SA_iPKfiiiPfSD_PS3_PT2_iSC_SC_
	.globl	_Z38paged_attention_ll4mi_QKV_mfma4_kernelI14__hip_bfloat16hLN4vllm18Fp8KVCacheDataTypeE1ES0_Li16ELi64ELi256ELb0ELi1EEvPKT_PKT0_S8_ifPKiSA_SA_iPKfiiiPfSD_PS3_PT2_iSC_SC_
	.p2align	8
	.type	_Z38paged_attention_ll4mi_QKV_mfma4_kernelI14__hip_bfloat16hLN4vllm18Fp8KVCacheDataTypeE1ES0_Li16ELi64ELi256ELb0ELi1EEvPKT_PKT0_S8_ifPKiSA_SA_iPKfiiiPfSD_PS3_PT2_iSC_SC_,@function
_Z38paged_attention_ll4mi_QKV_mfma4_kernelI14__hip_bfloat16hLN4vllm18Fp8KVCacheDataTypeE1ES0_Li16ELi64ELi256ELb0ELi1EEvPKT_PKT0_S8_ifPKiSA_SA_iPKfiiiPfSD_PS3_PT2_iSC_SC_: ; @_Z38paged_attention_ll4mi_QKV_mfma4_kernelI14__hip_bfloat16hLN4vllm18Fp8KVCacheDataTypeE1ES0_Li16ELi64ELi256ELb0ELi1EEvPKT_PKT0_S8_ifPKiSA_SA_iPKfiiiPfSD_PS3_PT2_iSC_SC_
; %bb.0:
	s_load_dwordx2 s[2:3], s[4:5], 0x30
	s_mov_b32 s28, s7
	s_mov_b64 s[0:1], 0
	s_waitcnt lgkmcnt(0)
	s_cmp_lg_u64 s[2:3], 0
	s_cselect_b64 s[10:11], -1, 0
	s_and_b64 vcc, exec, s[10:11]
	s_cbranch_vccz .LBB694_10
; %bb.1:
	s_add_i32 s12, s6, 1
	s_mov_b32 s13, 0
	s_lshl_b64 s[14:15], s[12:13], 2
	s_add_u32 s14, s2, s14
	s_mov_b32 s7, s13
	s_addc_u32 s15, s3, s15
	s_lshl_b64 s[12:13], s[6:7], 2
	s_add_u32 s12, s2, s12
	s_addc_u32 s13, s3, s13
	s_load_dword s9, s[14:15], 0x0
	s_load_dword s16, s[12:13], 0x0
	s_waitcnt lgkmcnt(0)
	s_sub_i32 s9, s9, s16
	s_cmp_eq_u32 s9, 1
	s_cselect_b64 s[12:13], -1, 0
	s_andn2_b64 vcc, exec, s[0:1]
	s_cbranch_vccnz .LBB694_3
.LBB694_2:
	s_mov_b32 s7, 0
	s_mov_b64 s[12:13], -1
.LBB694_3:
	s_andn2_b64 vcc, exec, s[12:13]
	s_cbranch_vccnz .LBB694_791
; %bb.4:
	s_load_dword s9, s[4:5], 0x9c
	s_load_dwordx2 s[0:1], s[4:5], 0x28
	s_add_u32 s34, s4, 0x90
	s_addc_u32 s35, s5, 0
	s_lshl_b64 s[20:21], s[6:7], 2
	s_waitcnt lgkmcnt(0)
	s_and_b32 s9, s9, 0xffff
	s_add_u32 s0, s0, s20
	s_addc_u32 s1, s1, s21
	s_load_dword s7, s[0:1], 0x0
	s_mul_i32 s22, s28, s9
	s_waitcnt lgkmcnt(0)
	s_cmp_ge_i32 s22, s7
	s_cbranch_scc1 .LBB694_791
; %bb.5:
	v_and_b32_e32 v2, 0xc0, v0
	v_add_u32_e32 v4, s22, v2
	v_lshrrev_b32_e32 v1, 6, v0
	v_cmp_gt_i32_e64 s[0:1], s7, v4
	v_cmp_le_i32_e32 vcc, s7, v4
                                        ; implicit-def: $sgpr24
                                        ; implicit-def: $sgpr23
	s_and_saveexec_b64 s[12:13], vcc
	s_xor_b64 s[12:13], exec, s[12:13]
	s_cbranch_execz .LBB694_7
; %bb.6:
	v_mul_u32_u24_e32 v2, 20, v1
	v_or_b32_e32 v2, 0xa00, v2
	v_mov_b32_e32 v3, 0xa50
	v_mov_b32_e32 v4, 0xff7fffff
	v_mad_u32_u24 v3, v1, 20, v3
	ds_write2_b32 v2, v4, v4 offset1:1
	v_mov_b32_e32 v2, 0
	ds_write2_b32 v3, v2, v2 offset1:1
	v_mov_b32_e32 v3, 0xa08
	s_mov_b32 s23, 0xff7fffff
	s_mov_b32 s24, 0
	v_mad_u32_u24 v3, v1, 20, v3
	v_mov_b32_e32 v5, 0xa58
	v_mad_u32_u24 v5, v1, 20, v5
	ds_write2_b32 v3, v4, v4 offset1:1
	ds_write2_b32 v5, v2, v2 offset1:1
                                        ; implicit-def: $vgpr4
.LBB694_7:
	s_or_saveexec_b64 s[36:37], s[12:13]
	s_load_dwordx2 s[30:31], s[4:5], 0x68
	s_load_dwordx4 s[16:19], s[4:5], 0x58
	s_load_dword s9, s[34:35], 0x4
	s_load_dwordx4 s[12:15], s[4:5], 0x80
	v_and_b32_e32 v42, 63, v0
	v_and_b32_e32 v43, 3, v0
	v_mov_b32_e32 v21, s24
	v_mov_b32_e32 v25, s23
	;; [unrolled: 1-line block ×5, first 2 shown]
                                        ; implicit-def: $vgpr14_vgpr15
                                        ; implicit-def: $vgpr10_vgpr11
                                        ; implicit-def: $vgpr6_vgpr7
                                        ; implicit-def: $vgpr2_vgpr3
	s_xor_b64 exec, exec, s[36:37]
	s_cbranch_execz .LBB694_401
; %bb.8:
	s_add_i32 s26, s7, 15
	s_ashr_i32 s27, s26, 31
	s_load_dwordx2 s[24:25], s[4:5], 0x20
	s_load_dword s23, s[4:5], 0x38
	s_lshr_b32 s27, s27, 28
	v_add_u32_e32 v44, s22, v0
	s_add_i32 s26, s26, s27
	v_ashrrev_i32_e32 v2, 31, v44
	s_ashr_i32 s26, s26, 4
	v_lshrrev_b32_e32 v2, 28, v2
	s_add_i32 s29, s26, -1
	v_add_u32_e32 v2, v44, v2
	v_ashrrev_i32_e32 v2, 4, v2
	v_mov_b32_e32 v3, s29
	v_cmp_gt_i32_e32 vcc, s7, v44
	s_waitcnt lgkmcnt(0)
	s_mul_i32 s26, s6, s23
	s_mov_b32 s27, 0
	v_cndmask_b32_e32 v2, v3, v2, vcc
	s_lshl_b64 s[26:27], s[26:27], 2
	v_ashrrev_i32_e32 v3, 31, v2
	s_add_u32 s23, s24, s26
	v_lshlrev_b64 v[2:3], 2, v[2:3]
	v_add_co_u32_e32 v8, vcc, s23, v2
	v_ashrrev_i32_e32 v2, 31, v4
	v_lshrrev_b32_e32 v2, 28, v2
	v_add_u32_e32 v2, v4, v2
	s_addc_u32 s24, s25, s27
	v_ashrrev_i32_e32 v4, 4, v2
	v_mov_b32_e32 v5, s24
	v_min_i32_e32 v2, s29, v4
	v_addc_co_u32_e32 v9, vcc, v5, v3, vcc
	v_ashrrev_i32_e32 v3, 31, v2
	v_lshlrev_b64 v[2:3], 2, v[2:3]
	v_add_co_u32_e32 v10, vcc, s23, v2
	v_add_u32_e32 v2, 1, v4
	v_min_i32_e32 v2, s29, v2
	v_addc_co_u32_e32 v11, vcc, v5, v3, vcc
	v_ashrrev_i32_e32 v3, 31, v2
	v_lshlrev_b64 v[2:3], 2, v[2:3]
	v_add_co_u32_e32 v12, vcc, s23, v2
	v_add_u32_e32 v2, 2, v4
	;; [unrolled: 6-line block ×3, first 2 shown]
	v_min_i32_e32 v2, s29, v2
	v_addc_co_u32_e32 v15, vcc, v5, v3, vcc
	v_ashrrev_i32_e32 v3, 31, v2
	v_lshlrev_b64 v[2:3], 2, v[2:3]
	v_mov_b32_e32 v4, s24
	v_add_co_u32_e32 v16, vcc, s23, v2
	v_addc_co_u32_e32 v17, vcc, v4, v3, vcc
	global_load_dword v6, v[8:9], off
	global_load_dword v5, v[10:11], off
	;; [unrolled: 1-line block ×5, first 2 shown]
	s_load_dwordx4 s[24:27], s[4:5], 0x8
	s_andn2_b64 vcc, exec, s[10:11]
	s_cbranch_vccnz .LBB694_11
; %bb.9:
	s_add_u32 s2, s2, s20
	s_addc_u32 s3, s3, s21
	s_load_dword s10, s[2:3], 0x0
	s_branch .LBB694_12
.LBB694_10:
	s_mov_b64 s[12:13], 0
	s_branch .LBB694_2
.LBB694_11:
	s_mov_b32 s10, s6
.LBB694_12:
	s_load_dwordx4 s[20:23], s[4:5], 0x48
	v_cmp_eq_u32_e32 vcc, 0, v43
	s_mov_b32 s11, 0
	v_mov_b32_e32 v39, 0
	v_mov_b32_e32 v18, 0
	;; [unrolled: 1-line block ×5, first 2 shown]
	s_and_saveexec_b64 s[2:3], vcc
	s_cbranch_execz .LBB694_14
; %bb.13:
	s_load_dwordx2 s[38:39], s[4:5], 0x0
	s_waitcnt lgkmcnt(0)
	s_ashr_i32 s23, s20, 31
	s_mul_hi_u32 s29, s10, s20
	s_mul_i32 s23, s10, s23
	s_add_i32 s41, s29, s23
	s_mul_i32 s40, s10, s20
	s_lshl_b64 s[40:41], s[40:41], 1
	s_add_u32 s20, s38, s40
	s_addc_u32 s23, s39, s41
	s_lshl_b32 s10, s8, 6
	s_lshl_b64 s[10:11], s[10:11], 1
	s_add_u32 s10, s20, s10
	s_addc_u32 s11, s23, s11
	v_lshlrev_b32_e32 v7, 2, v42
	global_load_dwordx4 v[18:21], v7, s[10:11]
.LBB694_14:
	s_or_b64 exec, exec, s[2:3]
	s_waitcnt lgkmcnt(0)
	s_mul_i32 s10, s8, s22
	s_add_u32 s2, s10, s24
	s_addc_u32 s3, 0, s25
	v_pk_mov_b32 v[8:9], s[2:3], s[2:3] op_sel:[0,1]
	s_waitcnt vmcnt(4)
	v_mad_i64_i32 v[6:7], s[2:3], v6, s21, v[8:9]
	v_lshlrev_b32_e32 v8, 4, v0
	v_and_b32_e32 v8, 0xf0, v8
	v_add_co_u32_e64 v6, s[2:3], v6, v8
	v_addc_co_u32_e64 v7, s[2:3], 0, v7, s[2:3]
	s_add_u32 s2, s26, s10
	global_load_dwordx4 v[34:37], v[6:7], off
	global_load_dwordx4 v[30:33], v[6:7], off offset:256
	global_load_dwordx4 v[26:29], v[6:7], off offset:512
	;; [unrolled: 1-line block ×3, first 2 shown]
	s_addc_u32 s3, s27, 0
	v_lshlrev_b32_e32 v6, 4, v42
	v_mov_b32_e32 v7, s3
	v_add_co_u32_e64 v8, s[2:3], s2, v6
	s_waitcnt vmcnt(7)
	v_mul_hi_i32 v6, v5, s21
	v_ashrrev_i32_e32 v6, 31, v6
	v_lshrrev_b32_e32 v38, 29, v6
	v_addc_co_u32_e64 v9, s[2:3], 0, v7, s[2:3]
	v_mad_i64_i32 v[6:7], s[2:3], v5, s21, v[38:39]
	v_and_b32_e32 v5, -8, v6
	v_add_co_u32_e64 v6, s[2:3], v8, v5
	s_waitcnt vmcnt(6)
	v_mul_hi_i32 v5, v4, s21
	v_ashrrev_i32_e32 v5, 31, v5
	v_lshrrev_b32_e32 v38, 29, v5
	v_addc_co_u32_e64 v7, s[2:3], v9, v7, s[2:3]
	v_mad_i64_i32 v[4:5], s[2:3], v4, s21, v[38:39]
	v_and_b32_e32 v4, -8, v4
	v_add_co_u32_e64 v4, s[2:3], v8, v4
	v_addc_co_u32_e64 v5, s[2:3], v9, v5, s[2:3]
	global_load_dwordx4 v[14:17], v[6:7], off
	global_load_dwordx4 v[10:13], v[4:5], off
	s_waitcnt vmcnt(7)
	v_mul_hi_i32 v4, v3, s21
	v_ashrrev_i32_e32 v4, 31, v4
	v_lshrrev_b32_e32 v38, 29, v4
	v_mad_i64_i32 v[4:5], s[2:3], v3, s21, v[38:39]
	v_and_b32_e32 v3, -8, v4
	v_add_co_u32_e64 v40, s[2:3], v8, v3
	s_waitcnt vmcnt(6)
	v_mul_hi_i32 v3, v2, s21
	v_ashrrev_i32_e32 v3, 31, v3
	v_lshrrev_b32_e32 v38, 29, v3
	v_addc_co_u32_e64 v41, s[2:3], v9, v5, s[2:3]
	v_mad_i64_i32 v[2:3], s[2:3], v2, s21, v[38:39]
	v_and_b32_e32 v2, -8, v2
	v_add_co_u32_e64 v46, s[2:3], v8, v2
	v_addc_co_u32_e64 v47, s[2:3], v9, v3, s[2:3]
	global_load_dwordx4 v[6:9], v[40:41], off
	global_load_dwordx4 v[2:5], v[46:47], off
	s_waitcnt vmcnt(7)
	v_cmp_ne_u16_sdwa s[2:3], v34, v39 src0_sel:BYTE_0 src1_sel:DWORD
	s_and_saveexec_b64 s[10:11], s[2:3]
	s_cbranch_execz .LBB694_20
; %bb.15:
	s_movk_i32 s2, 0x80
	v_cmp_ne_u16_sdwa s[2:3], v34, s2 src0_sel:BYTE_0 src1_sel:DWORD
	v_mov_b32_e32 v39, 0xffff8000
	s_and_saveexec_b64 s[20:21], s[2:3]
	s_cbranch_execz .LBB694_19
; %bb.16:
	s_movk_i32 s2, 0x7f
	v_and_b32_e32 v38, 0x7f, v34
	v_cmp_ne_u32_e64 s[2:3], s2, v38
	v_mov_b32_e32 v39, 0x7f80
	s_and_saveexec_b64 s[22:23], s[2:3]
	s_cbranch_execz .LBB694_18
; %bb.17:
	v_and_b32_e32 v39, 7, v34
	v_ffbh_u32_e32 v39, v39
	v_min_u32_e32 v39, 32, v39
	v_subrev_u32_e32 v41, 28, v39
	v_cmp_gt_u32_e64 s[2:3], 8, v38
	v_lshrrev_b32_e32 v40, 3, v38
	v_sub_u32_e32 v39, 29, v39
	v_cndmask_b32_e64 v38, 0, v41, s[2:3]
	v_cndmask_b32_e64 v40, v40, v39, s[2:3]
	v_lshlrev_b64 v[38:39], v38, v[34:35]
	v_lshlrev_b32_e32 v38, 20, v38
	v_lshlrev_b32_e32 v39, 24, v34
	v_bfrev_b32_e32 v41, 60
	v_and_b32_e32 v38, 0x700000, v38
	v_and_b32_e32 v39, 0x80000000, v39
	v_lshl_add_u32 v40, v40, 23, v41
	v_or3_b32 v38, v39, v40, v38
	v_lshrrev_b32_e32 v39, 16, v38
.LBB694_18:
	s_or_b64 exec, exec, s[22:23]
.LBB694_19:
	s_or_b64 exec, exec, s[20:21]
.LBB694_20:
	s_or_b64 exec, exec, s[10:11]
	v_lshrrev_b16_e32 v38, 8, v34
	v_cmp_ne_u16_e64 s[2:3], 0, v38
	v_mov_b32_e32 v46, 0
	v_mov_b32_e32 v45, 0
	s_and_saveexec_b64 s[10:11], s[2:3]
	s_cbranch_execz .LBB694_26
; %bb.21:
	s_movk_i32 s2, 0x80
	v_cmp_ne_u16_e64 s[2:3], s2, v38
	v_mov_b32_e32 v45, 0xffff8000
	s_and_saveexec_b64 s[20:21], s[2:3]
	s_cbranch_execz .LBB694_25
; %bb.22:
	s_movk_i32 s2, 0x7f
	v_and_b32_e32 v40, 0x7f, v38
	v_cmp_ne_u32_e64 s[2:3], s2, v40
	v_mov_b32_e32 v45, 0x7f80
	s_and_saveexec_b64 s[22:23], s[2:3]
	s_cbranch_execz .LBB694_24
; %bb.23:
	v_and_b32_e32 v41, 7, v38
	v_ffbh_u32_e32 v47, v41
	v_min_u32_e32 v47, 32, v47
	v_subrev_u32_e32 v48, 28, v47
	v_lshlrev_b64 v[48:49], v48, v[38:39]
	v_lshrrev_b32_e32 v45, 3, v40
	v_sub_u32_e32 v38, 29, v47
	v_and_b32_e32 v47, 7, v48
	v_cmp_gt_u32_e64 s[2:3], 8, v40
	v_cndmask_b32_e64 v38, v45, v38, s[2:3]
	v_cndmask_b32_e64 v40, v41, v47, s[2:3]
	v_lshlrev_b32_e32 v41, 16, v34
	v_bfrev_b32_e32 v45, 60
	v_lshlrev_b32_e32 v40, 20, v40
	v_and_b32_e32 v41, 0x80000000, v41
	v_lshl_add_u32 v38, v38, 23, v45
	v_or3_b32 v38, v41, v38, v40
	v_lshrrev_b32_e32 v45, 16, v38
.LBB694_24:
	s_or_b64 exec, exec, s[22:23]
.LBB694_25:
	s_or_b64 exec, exec, s[20:21]
.LBB694_26:
	s_or_b64 exec, exec, s[10:11]
	s_movk_i32 s2, 0xff
	v_and_b32_sdwa v40, v34, s2 dst_sel:DWORD dst_unused:UNUSED_PAD src0_sel:WORD_1 src1_sel:DWORD
	v_lshrrev_b32_e32 v38, 16, v34
	v_cmp_ne_u16_e64 s[2:3], 0, v40
	s_and_saveexec_b64 s[10:11], s[2:3]
	s_cbranch_execz .LBB694_32
; %bb.27:
	s_movk_i32 s2, 0x80
	v_cmp_ne_u16_e64 s[2:3], s2, v40
	v_mov_b32_e32 v46, 0xffff8000
	s_and_saveexec_b64 s[20:21], s[2:3]
	s_cbranch_execz .LBB694_31
; %bb.28:
	v_bfe_u32 v40, v34, 16, 7
	s_movk_i32 s2, 0x7f
	v_cmp_ne_u32_e64 s[2:3], s2, v40
	v_mov_b32_e32 v46, 0x7f80
	s_and_saveexec_b64 s[22:23], s[2:3]
	s_cbranch_execz .LBB694_30
; %bb.29:
	v_and_b32_e32 v41, 7, v38
	v_ffbh_u32_e32 v46, v41
	v_min_u32_e32 v49, 32, v46
	v_subrev_u32_e32 v46, 28, v49
	v_lshlrev_b64 v[46:47], v46, v[38:39]
	v_and_b32_e32 v46, 7, v46
	v_cmp_gt_u32_e64 s[2:3], 8, v40
	v_lshrrev_b32_e32 v48, 3, v40
	v_sub_u32_e32 v38, 29, v49
	v_cndmask_b32_e64 v40, v41, v46, s[2:3]
	v_mov_b32_e32 v41, 24
	v_cndmask_b32_e64 v38, v48, v38, s[2:3]
	v_lshlrev_b32_sdwa v41, v41, v34 dst_sel:DWORD dst_unused:UNUSED_PAD src0_sel:DWORD src1_sel:WORD_1
	v_bfrev_b32_e32 v46, 60
	v_lshlrev_b32_e32 v40, 20, v40
	v_and_b32_e32 v41, 0x80000000, v41
	v_lshl_add_u32 v38, v38, 23, v46
	v_or3_b32 v38, v41, v38, v40
	v_lshrrev_b32_e32 v46, 16, v38
.LBB694_30:
	s_or_b64 exec, exec, s[22:23]
.LBB694_31:
	s_or_b64 exec, exec, s[20:21]
.LBB694_32:
	s_or_b64 exec, exec, s[10:11]
	s_mov_b32 s2, 0xffffff
	v_cmp_lt_u32_e64 s[2:3], s2, v34
	v_mov_b32_e32 v41, 0
	v_mov_b32_e32 v47, 0
	s_and_saveexec_b64 s[10:11], s[2:3]
	s_cbranch_execz .LBB694_38
; %bb.33:
	v_lshrrev_b32_e32 v38, 24, v34
	s_movk_i32 s2, 0x80
	v_cmp_ne_u32_e64 s[2:3], s2, v38
	v_mov_b32_e32 v47, 0xffff8000
	s_and_saveexec_b64 s[20:21], s[2:3]
	s_cbranch_execz .LBB694_37
; %bb.34:
	v_bfe_u32 v40, v34, 24, 7
	s_movk_i32 s2, 0x7f
	v_cmp_ne_u32_e64 s[2:3], s2, v40
	v_mov_b32_e32 v47, 0x7f80
	s_and_saveexec_b64 s[22:23], s[2:3]
	s_cbranch_execz .LBB694_36
; %bb.35:
	v_and_b32_e32 v47, 7, v38
	v_ffbh_u32_e32 v48, v47
	v_min_u32_e32 v51, 32, v48
	v_subrev_u32_e32 v48, 28, v51
	v_lshlrev_b64 v[48:49], v48, v[38:39]
	v_lshrrev_b32_e32 v50, 3, v40
	v_sub_u32_e32 v49, 29, v51
	v_and_b32_e32 v48, 7, v48
	v_cmp_gt_u32_e64 s[2:3], 8, v40
	v_cndmask_b32_e64 v40, v50, v49, s[2:3]
	v_cndmask_b32_e64 v47, v47, v48, s[2:3]
	v_lshlrev_b32_e32 v38, 24, v38
	v_bfrev_b32_e32 v48, 60
	v_lshlrev_b32_e32 v47, 20, v47
	v_and_b32_e32 v38, 0x80000000, v38
	v_lshl_add_u32 v40, v40, 23, v48
	v_or3_b32 v38, v38, v40, v47
	v_lshrrev_b32_e32 v47, 16, v38
.LBB694_36:
	s_or_b64 exec, exec, s[22:23]
.LBB694_37:
	s_or_b64 exec, exec, s[20:21]
.LBB694_38:
	s_or_b64 exec, exec, s[10:11]
	v_mov_b32_e32 v40, v35
	v_cmp_ne_u16_sdwa s[2:3], v35, v41 src0_sel:BYTE_0 src1_sel:DWORD
	s_and_saveexec_b64 s[10:11], s[2:3]
	s_cbranch_execz .LBB694_44
; %bb.39:
	s_movk_i32 s2, 0x80
	v_cmp_ne_u16_sdwa s[2:3], v35, s2 src0_sel:BYTE_0 src1_sel:DWORD
	v_mov_b32_e32 v38, 0xffff8000
	s_and_saveexec_b64 s[20:21], s[2:3]
	s_cbranch_execz .LBB694_43
; %bb.40:
	s_movk_i32 s2, 0x7f
	v_and_b32_e32 v48, 0x7f, v35
	v_cmp_ne_u32_e64 s[2:3], s2, v48
	v_mov_b32_e32 v38, 0x7f80
	s_and_saveexec_b64 s[22:23], s[2:3]
	s_cbranch_execz .LBB694_42
; %bb.41:
	v_and_b32_e32 v38, 7, v35
	v_ffbh_u32_e32 v38, v38
	v_min_u32_e32 v38, 32, v38
	v_subrev_u32_e32 v50, 28, v38
	v_cmp_gt_u32_e64 s[2:3], 8, v48
	v_lshrrev_b32_e32 v49, 3, v48
	v_sub_u32_e32 v38, 29, v38
	v_cndmask_b32_e64 v48, 0, v50, s[2:3]
	v_cndmask_b32_e64 v38, v49, v38, s[2:3]
	v_lshlrev_b64 v[48:49], v48, v[40:41]
	v_lshlrev_b32_e32 v41, 20, v48
	v_lshlrev_b32_e32 v48, 24, v40
	v_bfrev_b32_e32 v49, 60
	v_and_b32_e32 v41, 0x700000, v41
	v_and_b32_e32 v48, 0x80000000, v48
	v_lshl_add_u32 v38, v38, 23, v49
	v_or3_b32 v38, v48, v38, v41
	v_lshrrev_b32_e32 v38, 16, v38
.LBB694_42:
	s_or_b64 exec, exec, s[22:23]
.LBB694_43:
	s_or_b64 exec, exec, s[20:21]
	v_mov_b32_e32 v41, v38
.LBB694_44:
	s_or_b64 exec, exec, s[10:11]
	v_lshrrev_b16_e32 v38, 8, v40
	v_cmp_ne_u16_e64 s[2:3], 0, v38
	v_mov_b32_e32 v49, 0
	v_mov_b32_e32 v48, 0
	s_and_saveexec_b64 s[10:11], s[2:3]
	s_cbranch_execz .LBB694_50
; %bb.45:
	s_movk_i32 s2, 0x80
	v_cmp_ne_u16_e64 s[2:3], s2, v38
	v_mov_b32_e32 v48, 0xffff8000
	s_and_saveexec_b64 s[20:21], s[2:3]
	s_cbranch_execz .LBB694_49
; %bb.46:
	s_movk_i32 s2, 0x7f
	v_and_b32_e32 v50, 0x7f, v38
	v_cmp_ne_u32_e64 s[2:3], s2, v50
	v_mov_b32_e32 v48, 0x7f80
	s_and_saveexec_b64 s[22:23], s[2:3]
	s_cbranch_execz .LBB694_48
; %bb.47:
	v_and_b32_e32 v48, 7, v38
	v_ffbh_u32_e32 v52, v48
	v_min_u32_e32 v54, 32, v52
	v_subrev_u32_e32 v52, 28, v54
	v_lshlrev_b64 v[52:53], v52, v[38:39]
	v_lshrrev_b32_e32 v51, 3, v50
	v_sub_u32_e32 v38, 29, v54
	v_and_b32_e32 v52, 7, v52
	v_cmp_gt_u32_e64 s[2:3], 8, v50
	v_cndmask_b32_e64 v38, v51, v38, s[2:3]
	v_cndmask_b32_e64 v48, v48, v52, s[2:3]
	v_lshlrev_b32_e32 v40, 16, v40
	v_bfrev_b32_e32 v50, 60
	v_lshlrev_b32_e32 v48, 20, v48
	v_and_b32_e32 v40, 0x80000000, v40
	v_lshl_add_u32 v38, v38, 23, v50
	v_or3_b32 v38, v40, v38, v48
	v_lshrrev_b32_e32 v48, 16, v38
.LBB694_48:
	s_or_b64 exec, exec, s[22:23]
.LBB694_49:
	s_or_b64 exec, exec, s[20:21]
.LBB694_50:
	s_or_b64 exec, exec, s[10:11]
	s_movk_i32 s2, 0xff
	v_and_b32_sdwa v40, v35, s2 dst_sel:DWORD dst_unused:UNUSED_PAD src0_sel:WORD_1 src1_sel:DWORD
	v_lshrrev_b32_e32 v38, 16, v35
	v_cmp_ne_u16_e64 s[2:3], 0, v40
	s_and_saveexec_b64 s[10:11], s[2:3]
	s_cbranch_execz .LBB694_56
; %bb.51:
	s_movk_i32 s2, 0x80
	v_cmp_ne_u16_e64 s[2:3], s2, v40
	v_mov_b32_e32 v49, 0xffff8000
	s_and_saveexec_b64 s[20:21], s[2:3]
	s_cbranch_execz .LBB694_55
; %bb.52:
	v_bfe_u32 v40, v35, 16, 7
	s_movk_i32 s2, 0x7f
	v_cmp_ne_u32_e64 s[2:3], s2, v40
	v_mov_b32_e32 v49, 0x7f80
	s_and_saveexec_b64 s[22:23], s[2:3]
	s_cbranch_execz .LBB694_54
; %bb.53:
	v_and_b32_e32 v49, 7, v38
	v_ffbh_u32_e32 v50, v49
	v_min_u32_e32 v53, 32, v50
	v_subrev_u32_e32 v50, 28, v53
	v_lshlrev_b64 v[50:51], v50, v[38:39]
	v_and_b32_e32 v50, 7, v50
	v_cmp_gt_u32_e64 s[2:3], 8, v40
	v_lshrrev_b32_e32 v52, 3, v40
	v_sub_u32_e32 v38, 29, v53
	v_cndmask_b32_e64 v40, v49, v50, s[2:3]
	v_mov_b32_e32 v49, 24
	v_cndmask_b32_e64 v38, v52, v38, s[2:3]
	v_lshlrev_b32_sdwa v49, v49, v35 dst_sel:DWORD dst_unused:UNUSED_PAD src0_sel:DWORD src1_sel:WORD_1
	v_bfrev_b32_e32 v50, 60
	v_lshlrev_b32_e32 v40, 20, v40
	v_and_b32_e32 v49, 0x80000000, v49
	v_lshl_add_u32 v38, v38, 23, v50
	v_or3_b32 v38, v49, v38, v40
	v_lshrrev_b32_e32 v49, 16, v38
.LBB694_54:
	s_or_b64 exec, exec, s[22:23]
.LBB694_55:
	s_or_b64 exec, exec, s[20:21]
.LBB694_56:
	s_or_b64 exec, exec, s[10:11]
	s_mov_b32 s2, -1
	s_mov_b32 s3, 0xffffff
	v_cmp_lt_u64_e64 s[2:3], s[2:3], v[34:35]
	v_mov_b32_e32 v40, 0
	v_mov_b32_e32 v38, 0
	s_and_saveexec_b64 s[10:11], s[2:3]
	s_cbranch_execz .LBB694_62
; %bb.57:
	v_lshrrev_b32_e32 v34, 24, v35
	s_movk_i32 s2, 0x80
	v_cmp_ne_u32_e64 s[2:3], s2, v34
	v_mov_b32_e32 v38, 0xffff8000
	s_and_saveexec_b64 s[20:21], s[2:3]
	s_cbranch_execz .LBB694_61
; %bb.58:
	v_bfe_u32 v35, v35, 24, 7
	s_movk_i32 s2, 0x7f
	v_cmp_ne_u32_e64 s[2:3], s2, v35
	v_mov_b32_e32 v38, 0x7f80
	s_and_saveexec_b64 s[22:23], s[2:3]
	s_cbranch_execz .LBB694_60
; %bb.59:
	v_and_b32_e32 v38, 7, v34
	v_ffbh_u32_e32 v50, v38
	v_min_u32_e32 v53, 32, v50
	v_subrev_u32_e32 v50, 28, v53
	v_lshlrev_b64 v[50:51], v50, v[34:35]
	v_lshrrev_b32_e32 v52, 3, v35
	v_sub_u32_e32 v51, 29, v53
	v_and_b32_e32 v50, 7, v50
	v_cmp_gt_u32_e64 s[2:3], 8, v35
	v_cndmask_b32_e64 v35, v52, v51, s[2:3]
	v_cndmask_b32_e64 v38, v38, v50, s[2:3]
	v_lshlrev_b32_e32 v34, 24, v34
	v_bfrev_b32_e32 v50, 60
	v_lshlrev_b32_e32 v38, 20, v38
	v_and_b32_e32 v34, 0x80000000, v34
	v_lshl_add_u32 v35, v35, 23, v50
	v_or3_b32 v34, v34, v35, v38
	v_lshrrev_b32_e32 v38, 16, v34
.LBB694_60:
	s_or_b64 exec, exec, s[22:23]
.LBB694_61:
	s_or_b64 exec, exec, s[20:21]
.LBB694_62:
	s_or_b64 exec, exec, s[10:11]
	s_mov_b32 s2, 0x5040100
	v_perm_b32 v35, v47, v46, s2
	v_perm_b32 v34, v45, v39, s2
	;; [unrolled: 1-line block ×4, first 2 shown]
	v_mfma_f32_4x4x4bf16_1k a[0:3], v[18:19], v[34:35], 0 cbsz:4
	v_cmp_ne_u16_sdwa s[2:3], v36, v40 src0_sel:BYTE_0 src1_sel:DWORD
	v_mfma_f32_4x4x4bf16_1k a[0:3], v[20:21], v[38:39], a[0:3] cbsz:4
	s_and_saveexec_b64 s[10:11], s[2:3]
	s_cbranch_execz .LBB694_68
; %bb.63:
	s_movk_i32 s2, 0x80
	v_cmp_ne_u16_sdwa s[2:3], v36, s2 src0_sel:BYTE_0 src1_sel:DWORD
	v_mov_b32_e32 v40, 0xffff8000
	s_and_saveexec_b64 s[20:21], s[2:3]
	s_cbranch_execz .LBB694_67
; %bb.64:
	s_movk_i32 s2, 0x7f
	v_and_b32_e32 v34, 0x7f, v36
	v_cmp_ne_u32_e64 s[2:3], s2, v34
	v_mov_b32_e32 v40, 0x7f80
	s_and_saveexec_b64 s[22:23], s[2:3]
	s_cbranch_execz .LBB694_66
; %bb.65:
	v_and_b32_e32 v35, 7, v36
	v_ffbh_u32_e32 v35, v35
	v_min_u32_e32 v35, 32, v35
	v_subrev_u32_e32 v39, 28, v35
	v_cmp_gt_u32_e64 s[2:3], 8, v34
	v_lshrrev_b32_e32 v38, 3, v34
	v_sub_u32_e32 v35, 29, v35
	v_cndmask_b32_e64 v34, 0, v39, s[2:3]
	v_cndmask_b32_e64 v38, v38, v35, s[2:3]
	v_lshlrev_b64 v[34:35], v34, v[36:37]
	v_lshlrev_b32_e32 v34, 20, v34
	v_lshlrev_b32_e32 v35, 24, v36
	v_bfrev_b32_e32 v39, 60
	v_and_b32_e32 v34, 0x700000, v34
	v_and_b32_e32 v35, 0x80000000, v35
	v_lshl_add_u32 v38, v38, 23, v39
	v_or3_b32 v34, v35, v38, v34
	v_lshrrev_b32_e32 v40, 16, v34
.LBB694_66:
	s_or_b64 exec, exec, s[22:23]
.LBB694_67:
	s_or_b64 exec, exec, s[20:21]
.LBB694_68:
	s_or_b64 exec, exec, s[10:11]
	v_lshrrev_b16_e32 v34, 8, v36
	v_cmp_ne_u16_e64 s[2:3], 0, v34
	v_mov_b32_e32 v41, 0
	v_mov_b32_e32 v39, 0
	s_and_saveexec_b64 s[10:11], s[2:3]
	s_cbranch_execz .LBB694_74
; %bb.69:
	s_movk_i32 s2, 0x80
	v_cmp_ne_u16_e64 s[2:3], s2, v34
	v_mov_b32_e32 v39, 0xffff8000
	s_and_saveexec_b64 s[20:21], s[2:3]
	s_cbranch_execz .LBB694_73
; %bb.70:
	s_movk_i32 s2, 0x7f
	v_and_b32_e32 v35, 0x7f, v34
	v_cmp_ne_u32_e64 s[2:3], s2, v35
	v_mov_b32_e32 v39, 0x7f80
	s_and_saveexec_b64 s[22:23], s[2:3]
	s_cbranch_execz .LBB694_72
; %bb.71:
	v_and_b32_e32 v45, 7, v34
	v_ffbh_u32_e32 v38, v45
	v_min_u32_e32 v47, 32, v38
	v_subrev_u32_e32 v38, 28, v47
	v_lshlrev_b64 v[38:39], v38, v[34:35]
	v_lshrrev_b32_e32 v46, 3, v35
	v_sub_u32_e32 v34, 29, v47
	v_and_b32_e32 v38, 7, v38
	v_cmp_gt_u32_e64 s[2:3], 8, v35
	v_cndmask_b32_e64 v34, v46, v34, s[2:3]
	v_cndmask_b32_e64 v35, v45, v38, s[2:3]
	v_lshlrev_b32_e32 v38, 16, v36
	v_bfrev_b32_e32 v39, 60
	v_lshlrev_b32_e32 v35, 20, v35
	v_and_b32_e32 v38, 0x80000000, v38
	v_lshl_add_u32 v34, v34, 23, v39
	v_or3_b32 v34, v38, v34, v35
	v_lshrrev_b32_e32 v39, 16, v34
.LBB694_72:
	s_or_b64 exec, exec, s[22:23]
.LBB694_73:
	s_or_b64 exec, exec, s[20:21]
.LBB694_74:
	s_or_b64 exec, exec, s[10:11]
	s_movk_i32 s2, 0xff
	v_and_b32_sdwa v35, v36, s2 dst_sel:DWORD dst_unused:UNUSED_PAD src0_sel:WORD_1 src1_sel:DWORD
	v_lshrrev_b32_e32 v34, 16, v36
	v_cmp_ne_u16_e64 s[2:3], 0, v35
	s_and_saveexec_b64 s[10:11], s[2:3]
	s_cbranch_execz .LBB694_80
; %bb.75:
	s_movk_i32 s2, 0x80
	v_cmp_ne_u16_e64 s[2:3], s2, v35
	v_mov_b32_e32 v41, 0xffff8000
	s_and_saveexec_b64 s[20:21], s[2:3]
	s_cbranch_execz .LBB694_79
; %bb.76:
	v_bfe_u32 v35, v36, 16, 7
	s_movk_i32 s2, 0x7f
	v_cmp_ne_u32_e64 s[2:3], s2, v35
	v_mov_b32_e32 v41, 0x7f80
	s_and_saveexec_b64 s[22:23], s[2:3]
	s_cbranch_execz .LBB694_78
; %bb.77:
	v_and_b32_e32 v38, 7, v34
	v_ffbh_u32_e32 v45, v38
	v_min_u32_e32 v45, 32, v45
	v_subrev_u32_e32 v46, 28, v45
	v_lshlrev_b64 v[46:47], v46, v[34:35]
	v_sub_u32_e32 v34, 29, v45
	v_and_b32_e32 v45, 7, v46
	v_cmp_gt_u32_e64 s[2:3], 8, v35
	v_lshrrev_b32_e32 v41, 3, v35
	v_cndmask_b32_e64 v35, v38, v45, s[2:3]
	v_mov_b32_e32 v38, 24
	v_cndmask_b32_e64 v34, v41, v34, s[2:3]
	v_lshlrev_b32_sdwa v38, v38, v36 dst_sel:DWORD dst_unused:UNUSED_PAD src0_sel:DWORD src1_sel:WORD_1
	v_bfrev_b32_e32 v41, 60
	v_lshlrev_b32_e32 v35, 20, v35
	v_and_b32_e32 v38, 0x80000000, v38
	v_lshl_add_u32 v34, v34, 23, v41
	v_or3_b32 v34, v38, v34, v35
	v_lshrrev_b32_e32 v41, 16, v34
.LBB694_78:
	s_or_b64 exec, exec, s[22:23]
.LBB694_79:
	s_or_b64 exec, exec, s[20:21]
.LBB694_80:
	s_or_b64 exec, exec, s[10:11]
	s_mov_b32 s2, 0xffffff
	v_cmp_lt_u32_e64 s[2:3], s2, v36
	v_mov_b32_e32 v35, 0
	v_mov_b32_e32 v45, 0
	s_and_saveexec_b64 s[10:11], s[2:3]
	s_cbranch_execz .LBB694_86
; %bb.81:
	v_lshrrev_b32_e32 v34, 24, v36
	s_movk_i32 s2, 0x80
	v_cmp_ne_u32_e64 s[2:3], s2, v34
	v_mov_b32_e32 v45, 0xffff8000
	s_and_saveexec_b64 s[20:21], s[2:3]
	s_cbranch_execz .LBB694_85
; %bb.82:
	v_bfe_u32 v38, v36, 24, 7
	s_movk_i32 s2, 0x7f
	v_cmp_ne_u32_e64 s[2:3], s2, v38
	v_mov_b32_e32 v45, 0x7f80
	s_and_saveexec_b64 s[22:23], s[2:3]
	s_cbranch_execz .LBB694_84
; %bb.83:
	v_and_b32_e32 v45, 7, v34
	v_ffbh_u32_e32 v46, v45
	v_min_u32_e32 v49, 32, v46
	v_subrev_u32_e32 v46, 28, v49
	v_lshlrev_b64 v[46:47], v46, v[34:35]
	v_lshrrev_b32_e32 v48, 3, v38
	v_sub_u32_e32 v47, 29, v49
	v_and_b32_e32 v46, 7, v46
	v_cmp_gt_u32_e64 s[2:3], 8, v38
	v_cndmask_b32_e64 v38, v48, v47, s[2:3]
	v_cndmask_b32_e64 v45, v45, v46, s[2:3]
	v_lshlrev_b32_e32 v34, 24, v34
	v_bfrev_b32_e32 v46, 60
	v_lshlrev_b32_e32 v45, 20, v45
	v_and_b32_e32 v34, 0x80000000, v34
	v_lshl_add_u32 v38, v38, 23, v46
	v_or3_b32 v34, v34, v38, v45
	v_lshrrev_b32_e32 v45, 16, v34
.LBB694_84:
	s_or_b64 exec, exec, s[22:23]
.LBB694_85:
	s_or_b64 exec, exec, s[20:21]
.LBB694_86:
	s_or_b64 exec, exec, s[10:11]
	v_mov_b32_e32 v34, v37
	v_cmp_ne_u16_sdwa s[2:3], v37, v35 src0_sel:BYTE_0 src1_sel:DWORD
	s_and_saveexec_b64 s[10:11], s[2:3]
	s_cbranch_execz .LBB694_92
; %bb.87:
	s_movk_i32 s2, 0x80
	v_cmp_ne_u16_sdwa s[2:3], v37, s2 src0_sel:BYTE_0 src1_sel:DWORD
	v_mov_b32_e32 v38, 0xffff8000
	s_and_saveexec_b64 s[20:21], s[2:3]
	s_cbranch_execz .LBB694_91
; %bb.88:
	s_movk_i32 s2, 0x7f
	v_and_b32_e32 v46, 0x7f, v37
	v_cmp_ne_u32_e64 s[2:3], s2, v46
	v_mov_b32_e32 v38, 0x7f80
	s_and_saveexec_b64 s[22:23], s[2:3]
	s_cbranch_execz .LBB694_90
; %bb.89:
	v_and_b32_e32 v38, 7, v37
	v_ffbh_u32_e32 v38, v38
	v_min_u32_e32 v38, 32, v38
	v_subrev_u32_e32 v48, 28, v38
	v_cmp_gt_u32_e64 s[2:3], 8, v46
	v_lshrrev_b32_e32 v47, 3, v46
	v_sub_u32_e32 v38, 29, v38
	v_cndmask_b32_e64 v46, 0, v48, s[2:3]
	v_cndmask_b32_e64 v38, v47, v38, s[2:3]
	v_lshlrev_b64 v[46:47], v46, v[34:35]
	v_lshlrev_b32_e32 v35, 20, v46
	v_lshlrev_b32_e32 v46, 24, v34
	v_bfrev_b32_e32 v47, 60
	v_and_b32_e32 v35, 0x700000, v35
	v_and_b32_e32 v46, 0x80000000, v46
	v_lshl_add_u32 v38, v38, 23, v47
	v_or3_b32 v35, v46, v38, v35
	v_lshrrev_b32_e32 v38, 16, v35
.LBB694_90:
	s_or_b64 exec, exec, s[22:23]
.LBB694_91:
	s_or_b64 exec, exec, s[20:21]
	v_mov_b32_e32 v35, v38
.LBB694_92:
	s_or_b64 exec, exec, s[10:11]
	v_lshrrev_b16_e32 v38, 8, v34
	v_cmp_ne_u16_e64 s[2:3], 0, v38
	v_mov_b32_e32 v47, 0
	v_mov_b32_e32 v46, 0
	s_and_saveexec_b64 s[10:11], s[2:3]
	s_cbranch_execz .LBB694_98
; %bb.93:
	s_movk_i32 s2, 0x80
	v_cmp_ne_u16_e64 s[2:3], s2, v38
	v_mov_b32_e32 v46, 0xffff8000
	s_and_saveexec_b64 s[20:21], s[2:3]
	s_cbranch_execz .LBB694_97
; %bb.94:
	s_movk_i32 s2, 0x7f
	v_and_b32_e32 v48, 0x7f, v38
	v_cmp_ne_u32_e64 s[2:3], s2, v48
	v_mov_b32_e32 v46, 0x7f80
	s_and_saveexec_b64 s[22:23], s[2:3]
	s_cbranch_execz .LBB694_96
; %bb.95:
	v_and_b32_e32 v46, 7, v38
	v_ffbh_u32_e32 v50, v46
	v_min_u32_e32 v52, 32, v50
	v_subrev_u32_e32 v50, 28, v52
	v_lshlrev_b64 v[50:51], v50, v[38:39]
	v_lshrrev_b32_e32 v49, 3, v48
	v_sub_u32_e32 v38, 29, v52
	v_and_b32_e32 v50, 7, v50
	v_cmp_gt_u32_e64 s[2:3], 8, v48
	v_cndmask_b32_e64 v38, v49, v38, s[2:3]
	v_cndmask_b32_e64 v46, v46, v50, s[2:3]
	v_lshlrev_b32_e32 v34, 16, v34
	v_bfrev_b32_e32 v48, 60
	v_lshlrev_b32_e32 v46, 20, v46
	v_and_b32_e32 v34, 0x80000000, v34
	v_lshl_add_u32 v38, v38, 23, v48
	v_or3_b32 v34, v34, v38, v46
	v_lshrrev_b32_e32 v46, 16, v34
.LBB694_96:
	s_or_b64 exec, exec, s[22:23]
.LBB694_97:
	s_or_b64 exec, exec, s[20:21]
.LBB694_98:
	s_or_b64 exec, exec, s[10:11]
	s_movk_i32 s2, 0xff
	v_and_b32_sdwa v38, v37, s2 dst_sel:DWORD dst_unused:UNUSED_PAD src0_sel:WORD_1 src1_sel:DWORD
	v_lshrrev_b32_e32 v34, 16, v37
	v_cmp_ne_u16_e64 s[2:3], 0, v38
	s_and_saveexec_b64 s[10:11], s[2:3]
	s_cbranch_execz .LBB694_104
; %bb.99:
	s_movk_i32 s2, 0x80
	v_cmp_ne_u16_e64 s[2:3], s2, v38
	v_mov_b32_e32 v47, 0xffff8000
	s_and_saveexec_b64 s[20:21], s[2:3]
	s_cbranch_execz .LBB694_103
; %bb.100:
	v_bfe_u32 v38, v37, 16, 7
	s_movk_i32 s2, 0x7f
	v_cmp_ne_u32_e64 s[2:3], s2, v38
	v_mov_b32_e32 v47, 0x7f80
	s_and_saveexec_b64 s[22:23], s[2:3]
	s_cbranch_execz .LBB694_102
; %bb.101:
	v_and_b32_e32 v47, 7, v34
	v_ffbh_u32_e32 v48, v47
	v_min_u32_e32 v51, 32, v48
	v_subrev_u32_e32 v48, 28, v51
	v_lshlrev_b64 v[48:49], v48, v[34:35]
	v_and_b32_e32 v48, 7, v48
	v_cmp_gt_u32_e64 s[2:3], 8, v38
	v_lshrrev_b32_e32 v50, 3, v38
	v_sub_u32_e32 v34, 29, v51
	v_cndmask_b32_e64 v38, v47, v48, s[2:3]
	v_mov_b32_e32 v47, 24
	v_cndmask_b32_e64 v34, v50, v34, s[2:3]
	v_lshlrev_b32_sdwa v47, v47, v37 dst_sel:DWORD dst_unused:UNUSED_PAD src0_sel:DWORD src1_sel:WORD_1
	v_bfrev_b32_e32 v48, 60
	v_lshlrev_b32_e32 v38, 20, v38
	v_and_b32_e32 v47, 0x80000000, v47
	v_lshl_add_u32 v34, v34, 23, v48
	v_or3_b32 v34, v47, v34, v38
	v_lshrrev_b32_e32 v47, 16, v34
.LBB694_102:
	s_or_b64 exec, exec, s[22:23]
.LBB694_103:
	s_or_b64 exec, exec, s[20:21]
.LBB694_104:
	s_or_b64 exec, exec, s[10:11]
	s_mov_b32 s2, -1
	s_mov_b32 s3, 0xffffff
	v_cmp_lt_u64_e64 s[2:3], s[2:3], v[36:37]
	v_mov_b32_e32 v38, 0
	v_mov_b32_e32 v36, 0
	s_and_saveexec_b64 s[10:11], s[2:3]
	s_cbranch_execz .LBB694_110
; %bb.105:
	v_lshrrev_b32_e32 v34, 24, v37
	s_movk_i32 s2, 0x80
	v_cmp_ne_u32_e64 s[2:3], s2, v34
	v_mov_b32_e32 v36, 0xffff8000
	s_and_saveexec_b64 s[20:21], s[2:3]
	s_cbranch_execz .LBB694_109
; %bb.106:
	v_bfe_u32 v37, v37, 24, 7
	s_movk_i32 s2, 0x7f
	v_cmp_ne_u32_e64 s[2:3], s2, v37
	v_mov_b32_e32 v36, 0x7f80
	s_and_saveexec_b64 s[22:23], s[2:3]
	s_cbranch_execz .LBB694_108
; %bb.107:
	v_and_b32_e32 v36, 7, v34
	v_ffbh_u32_e32 v48, v36
	v_min_u32_e32 v51, 32, v48
	v_subrev_u32_e32 v48, 28, v51
	v_lshlrev_b64 v[48:49], v48, v[34:35]
	v_lshrrev_b32_e32 v50, 3, v37
	v_sub_u32_e32 v49, 29, v51
	v_and_b32_e32 v48, 7, v48
	v_cmp_gt_u32_e64 s[2:3], 8, v37
	v_cndmask_b32_e64 v37, v50, v49, s[2:3]
	v_cndmask_b32_e64 v36, v36, v48, s[2:3]
	v_lshlrev_b32_e32 v34, 24, v34
	v_bfrev_b32_e32 v48, 60
	v_lshlrev_b32_e32 v36, 20, v36
	v_and_b32_e32 v34, 0x80000000, v34
	v_lshl_add_u32 v37, v37, 23, v48
	v_or3_b32 v34, v34, v37, v36
	v_lshrrev_b32_e32 v36, 16, v34
.LBB694_108:
	s_or_b64 exec, exec, s[22:23]
.LBB694_109:
	s_or_b64 exec, exec, s[20:21]
.LBB694_110:
	s_or_b64 exec, exec, s[10:11]
	s_mov_b32 s2, 0x5040100
	v_perm_b32 v41, v45, v41, s2
	v_perm_b32 v40, v39, v40, s2
	;; [unrolled: 1-line block ×4, first 2 shown]
	v_mfma_f32_4x4x4bf16_1k a[0:3], v[18:19], v[40:41], a[0:3] cbsz:4 abid:1
	s_waitcnt vmcnt(6)
	v_cmp_ne_u16_sdwa s[2:3], v30, v38 src0_sel:BYTE_0 src1_sel:DWORD
	v_mfma_f32_4x4x4bf16_1k a[0:3], v[20:21], v[36:37], a[0:3] cbsz:4 abid:1
	s_and_saveexec_b64 s[10:11], s[2:3]
	s_cbranch_execz .LBB694_116
; %bb.111:
	s_movk_i32 s2, 0x80
	v_cmp_ne_u16_sdwa s[2:3], v30, s2 src0_sel:BYTE_0 src1_sel:DWORD
	v_mov_b32_e32 v38, 0xffff8000
	s_and_saveexec_b64 s[20:21], s[2:3]
	s_cbranch_execz .LBB694_115
; %bb.112:
	s_movk_i32 s2, 0x7f
	v_and_b32_e32 v34, 0x7f, v30
	v_cmp_ne_u32_e64 s[2:3], s2, v34
	v_mov_b32_e32 v38, 0x7f80
	s_and_saveexec_b64 s[22:23], s[2:3]
	s_cbranch_execz .LBB694_114
; %bb.113:
	v_and_b32_e32 v35, 7, v30
	v_ffbh_u32_e32 v35, v35
	v_min_u32_e32 v35, 32, v35
	v_subrev_u32_e32 v37, 28, v35
	v_cmp_gt_u32_e64 s[2:3], 8, v34
	v_lshrrev_b32_e32 v36, 3, v34
	v_sub_u32_e32 v35, 29, v35
	v_cndmask_b32_e64 v34, 0, v37, s[2:3]
	v_cndmask_b32_e64 v36, v36, v35, s[2:3]
	v_lshlrev_b64 v[34:35], v34, v[30:31]
	v_lshlrev_b32_e32 v34, 20, v34
	v_lshlrev_b32_e32 v35, 24, v30
	v_bfrev_b32_e32 v37, 60
	v_and_b32_e32 v34, 0x700000, v34
	v_and_b32_e32 v35, 0x80000000, v35
	v_lshl_add_u32 v36, v36, 23, v37
	v_or3_b32 v34, v35, v36, v34
	v_lshrrev_b32_e32 v38, 16, v34
.LBB694_114:
	s_or_b64 exec, exec, s[22:23]
.LBB694_115:
	s_or_b64 exec, exec, s[20:21]
.LBB694_116:
	s_or_b64 exec, exec, s[10:11]
	v_lshrrev_b16_e32 v34, 8, v30
	v_cmp_ne_u16_e64 s[2:3], 0, v34
	v_mov_b32_e32 v39, 0
	v_mov_b32_e32 v37, 0
	s_and_saveexec_b64 s[10:11], s[2:3]
	s_cbranch_execz .LBB694_122
; %bb.117:
	s_movk_i32 s2, 0x80
	v_cmp_ne_u16_e64 s[2:3], s2, v34
	v_mov_b32_e32 v37, 0xffff8000
	s_and_saveexec_b64 s[20:21], s[2:3]
	s_cbranch_execz .LBB694_121
; %bb.118:
	s_movk_i32 s2, 0x7f
	v_and_b32_e32 v35, 0x7f, v34
	v_cmp_ne_u32_e64 s[2:3], s2, v35
	v_mov_b32_e32 v37, 0x7f80
	s_and_saveexec_b64 s[22:23], s[2:3]
	s_cbranch_execz .LBB694_120
; %bb.119:
	v_and_b32_e32 v40, 7, v34
	v_ffbh_u32_e32 v36, v40
	v_min_u32_e32 v45, 32, v36
	v_subrev_u32_e32 v36, 28, v45
	v_lshlrev_b64 v[36:37], v36, v[34:35]
	v_lshrrev_b32_e32 v41, 3, v35
	v_sub_u32_e32 v34, 29, v45
	v_and_b32_e32 v36, 7, v36
	v_cmp_gt_u32_e64 s[2:3], 8, v35
	v_cndmask_b32_e64 v34, v41, v34, s[2:3]
	v_cndmask_b32_e64 v35, v40, v36, s[2:3]
	v_lshlrev_b32_e32 v36, 16, v30
	v_bfrev_b32_e32 v37, 60
	v_lshlrev_b32_e32 v35, 20, v35
	v_and_b32_e32 v36, 0x80000000, v36
	v_lshl_add_u32 v34, v34, 23, v37
	v_or3_b32 v34, v36, v34, v35
	v_lshrrev_b32_e32 v37, 16, v34
.LBB694_120:
	s_or_b64 exec, exec, s[22:23]
.LBB694_121:
	s_or_b64 exec, exec, s[20:21]
.LBB694_122:
	s_or_b64 exec, exec, s[10:11]
	s_movk_i32 s2, 0xff
	v_and_b32_sdwa v35, v30, s2 dst_sel:DWORD dst_unused:UNUSED_PAD src0_sel:WORD_1 src1_sel:DWORD
	v_lshrrev_b32_e32 v34, 16, v30
	v_cmp_ne_u16_e64 s[2:3], 0, v35
	s_and_saveexec_b64 s[10:11], s[2:3]
	s_cbranch_execz .LBB694_128
; %bb.123:
	s_movk_i32 s2, 0x80
	v_cmp_ne_u16_e64 s[2:3], s2, v35
	v_mov_b32_e32 v39, 0xffff8000
	s_and_saveexec_b64 s[20:21], s[2:3]
	s_cbranch_execz .LBB694_127
; %bb.124:
	v_bfe_u32 v35, v30, 16, 7
	s_movk_i32 s2, 0x7f
	v_cmp_ne_u32_e64 s[2:3], s2, v35
	v_mov_b32_e32 v39, 0x7f80
	s_and_saveexec_b64 s[22:23], s[2:3]
	s_cbranch_execz .LBB694_126
; %bb.125:
	v_and_b32_e32 v36, 7, v34
	v_ffbh_u32_e32 v40, v36
	v_min_u32_e32 v45, 32, v40
	v_subrev_u32_e32 v40, 28, v45
	v_lshlrev_b64 v[40:41], v40, v[34:35]
	v_and_b32_e32 v40, 7, v40
	v_cmp_gt_u32_e64 s[2:3], 8, v35
	v_lshrrev_b32_e32 v39, 3, v35
	v_sub_u32_e32 v34, 29, v45
	v_cndmask_b32_e64 v35, v36, v40, s[2:3]
	v_mov_b32_e32 v36, 24
	v_cndmask_b32_e64 v34, v39, v34, s[2:3]
	v_lshlrev_b32_sdwa v36, v36, v30 dst_sel:DWORD dst_unused:UNUSED_PAD src0_sel:DWORD src1_sel:WORD_1
	v_bfrev_b32_e32 v39, 60
	v_lshlrev_b32_e32 v35, 20, v35
	v_and_b32_e32 v36, 0x80000000, v36
	v_lshl_add_u32 v34, v34, 23, v39
	v_or3_b32 v34, v36, v34, v35
	v_lshrrev_b32_e32 v39, 16, v34
.LBB694_126:
	s_or_b64 exec, exec, s[22:23]
.LBB694_127:
	s_or_b64 exec, exec, s[20:21]
.LBB694_128:
	s_or_b64 exec, exec, s[10:11]
	s_mov_b32 s2, 0xffffff
	v_cmp_lt_u32_e64 s[2:3], s2, v30
	v_mov_b32_e32 v35, 0
	v_mov_b32_e32 v40, 0
	s_and_saveexec_b64 s[10:11], s[2:3]
	s_cbranch_execz .LBB694_134
; %bb.129:
	v_lshrrev_b32_e32 v34, 24, v30
	s_movk_i32 s2, 0x80
	v_cmp_ne_u32_e64 s[2:3], s2, v34
	v_mov_b32_e32 v40, 0xffff8000
	s_and_saveexec_b64 s[20:21], s[2:3]
	s_cbranch_execz .LBB694_133
; %bb.130:
	v_bfe_u32 v36, v30, 24, 7
	s_movk_i32 s2, 0x7f
	v_cmp_ne_u32_e64 s[2:3], s2, v36
	v_mov_b32_e32 v40, 0x7f80
	s_and_saveexec_b64 s[22:23], s[2:3]
	s_cbranch_execz .LBB694_132
; %bb.131:
	v_and_b32_e32 v45, 7, v34
	v_ffbh_u32_e32 v40, v45
	v_min_u32_e32 v47, 32, v40
	v_subrev_u32_e32 v40, 28, v47
	v_lshlrev_b64 v[40:41], v40, v[34:35]
	v_lshrrev_b32_e32 v46, 3, v36
	v_sub_u32_e32 v41, 29, v47
	v_and_b32_e32 v40, 7, v40
	v_cmp_gt_u32_e64 s[2:3], 8, v36
	v_cndmask_b32_e64 v36, v46, v41, s[2:3]
	v_cndmask_b32_e64 v40, v45, v40, s[2:3]
	v_lshlrev_b32_e32 v34, 24, v34
	v_bfrev_b32_e32 v41, 60
	v_lshlrev_b32_e32 v40, 20, v40
	v_and_b32_e32 v34, 0x80000000, v34
	v_lshl_add_u32 v36, v36, 23, v41
	v_or3_b32 v34, v34, v36, v40
	v_lshrrev_b32_e32 v40, 16, v34
.LBB694_132:
	s_or_b64 exec, exec, s[22:23]
.LBB694_133:
	s_or_b64 exec, exec, s[20:21]
.LBB694_134:
	s_or_b64 exec, exec, s[10:11]
	v_mov_b32_e32 v34, v31
	v_cmp_ne_u16_sdwa s[2:3], v31, v35 src0_sel:BYTE_0 src1_sel:DWORD
	s_and_saveexec_b64 s[10:11], s[2:3]
	s_cbranch_execz .LBB694_140
; %bb.135:
	s_movk_i32 s2, 0x80
	v_cmp_ne_u16_sdwa s[2:3], v31, s2 src0_sel:BYTE_0 src1_sel:DWORD
	v_mov_b32_e32 v36, 0xffff8000
	s_and_saveexec_b64 s[20:21], s[2:3]
	s_cbranch_execz .LBB694_139
; %bb.136:
	s_movk_i32 s2, 0x7f
	v_and_b32_e32 v41, 0x7f, v31
	v_cmp_ne_u32_e64 s[2:3], s2, v41
	v_mov_b32_e32 v36, 0x7f80
	s_and_saveexec_b64 s[22:23], s[2:3]
	s_cbranch_execz .LBB694_138
; %bb.137:
	v_and_b32_e32 v36, 7, v31
	v_ffbh_u32_e32 v36, v36
	v_min_u32_e32 v36, 32, v36
	v_subrev_u32_e32 v46, 28, v36
	v_cmp_gt_u32_e64 s[2:3], 8, v41
	v_lshrrev_b32_e32 v45, 3, v41
	v_cndmask_b32_e64 v41, 0, v46, s[2:3]
	v_sub_u32_e32 v36, 29, v36
	v_lshlrev_b64 v[46:47], v41, v[34:35]
	v_cndmask_b32_e64 v36, v45, v36, s[2:3]
	v_lshlrev_b32_e32 v35, 20, v46
	v_lshlrev_b32_e32 v41, 24, v34
	v_bfrev_b32_e32 v45, 60
	v_and_b32_e32 v35, 0x700000, v35
	v_and_b32_e32 v41, 0x80000000, v41
	v_lshl_add_u32 v36, v36, 23, v45
	v_or3_b32 v35, v41, v36, v35
	v_lshrrev_b32_e32 v36, 16, v35
.LBB694_138:
	s_or_b64 exec, exec, s[22:23]
.LBB694_139:
	s_or_b64 exec, exec, s[20:21]
	v_mov_b32_e32 v35, v36
.LBB694_140:
	s_or_b64 exec, exec, s[10:11]
	v_lshrrev_b16_e32 v36, 8, v34
	v_cmp_ne_u16_e64 s[2:3], 0, v36
	v_mov_b32_e32 v45, 0
	v_mov_b32_e32 v41, 0
	s_and_saveexec_b64 s[10:11], s[2:3]
	s_cbranch_execz .LBB694_146
; %bb.141:
	s_movk_i32 s2, 0x80
	v_cmp_ne_u16_e64 s[2:3], s2, v36
	v_mov_b32_e32 v41, 0xffff8000
	s_and_saveexec_b64 s[20:21], s[2:3]
	s_cbranch_execz .LBB694_145
; %bb.142:
	s_movk_i32 s2, 0x7f
	v_and_b32_e32 v46, 0x7f, v36
	v_cmp_ne_u32_e64 s[2:3], s2, v46
	v_mov_b32_e32 v41, 0x7f80
	s_and_saveexec_b64 s[22:23], s[2:3]
	s_cbranch_execz .LBB694_144
; %bb.143:
	v_and_b32_e32 v41, 7, v36
	v_ffbh_u32_e32 v48, v41
	v_min_u32_e32 v50, 32, v48
	v_subrev_u32_e32 v48, 28, v50
	v_lshlrev_b64 v[48:49], v48, v[36:37]
	v_lshrrev_b32_e32 v47, 3, v46
	v_sub_u32_e32 v36, 29, v50
	v_and_b32_e32 v48, 7, v48
	v_cmp_gt_u32_e64 s[2:3], 8, v46
	v_cndmask_b32_e64 v36, v47, v36, s[2:3]
	v_cndmask_b32_e64 v41, v41, v48, s[2:3]
	v_lshlrev_b32_e32 v34, 16, v34
	v_bfrev_b32_e32 v46, 60
	v_lshlrev_b32_e32 v41, 20, v41
	v_and_b32_e32 v34, 0x80000000, v34
	v_lshl_add_u32 v36, v36, 23, v46
	v_or3_b32 v34, v34, v36, v41
	v_lshrrev_b32_e32 v41, 16, v34
.LBB694_144:
	s_or_b64 exec, exec, s[22:23]
.LBB694_145:
	s_or_b64 exec, exec, s[20:21]
.LBB694_146:
	s_or_b64 exec, exec, s[10:11]
	s_movk_i32 s2, 0xff
	v_and_b32_sdwa v36, v31, s2 dst_sel:DWORD dst_unused:UNUSED_PAD src0_sel:WORD_1 src1_sel:DWORD
	v_lshrrev_b32_e32 v34, 16, v31
	v_cmp_ne_u16_e64 s[2:3], 0, v36
	s_and_saveexec_b64 s[10:11], s[2:3]
	s_cbranch_execz .LBB694_152
; %bb.147:
	s_movk_i32 s2, 0x80
	v_cmp_ne_u16_e64 s[2:3], s2, v36
	v_mov_b32_e32 v45, 0xffff8000
	s_and_saveexec_b64 s[20:21], s[2:3]
	s_cbranch_execz .LBB694_151
; %bb.148:
	v_bfe_u32 v36, v31, 16, 7
	s_movk_i32 s2, 0x7f
	v_cmp_ne_u32_e64 s[2:3], s2, v36
	v_mov_b32_e32 v45, 0x7f80
	s_and_saveexec_b64 s[22:23], s[2:3]
	s_cbranch_execz .LBB694_150
; %bb.149:
	v_and_b32_e32 v45, 7, v34
	v_ffbh_u32_e32 v46, v45
	v_min_u32_e32 v49, 32, v46
	v_subrev_u32_e32 v46, 28, v49
	v_lshlrev_b64 v[46:47], v46, v[34:35]
	v_and_b32_e32 v46, 7, v46
	v_cmp_gt_u32_e64 s[2:3], 8, v36
	v_lshrrev_b32_e32 v48, 3, v36
	v_sub_u32_e32 v34, 29, v49
	v_cndmask_b32_e64 v36, v45, v46, s[2:3]
	v_mov_b32_e32 v45, 24
	v_cndmask_b32_e64 v34, v48, v34, s[2:3]
	v_lshlrev_b32_sdwa v45, v45, v31 dst_sel:DWORD dst_unused:UNUSED_PAD src0_sel:DWORD src1_sel:WORD_1
	v_bfrev_b32_e32 v46, 60
	v_lshlrev_b32_e32 v36, 20, v36
	v_and_b32_e32 v45, 0x80000000, v45
	v_lshl_add_u32 v34, v34, 23, v46
	v_or3_b32 v34, v45, v34, v36
	v_lshrrev_b32_e32 v45, 16, v34
.LBB694_150:
	s_or_b64 exec, exec, s[22:23]
.LBB694_151:
	s_or_b64 exec, exec, s[20:21]
.LBB694_152:
	s_or_b64 exec, exec, s[10:11]
	s_mov_b32 s2, -1
	s_mov_b32 s3, 0xffffff
	v_cmp_lt_u64_e64 s[2:3], s[2:3], v[30:31]
	v_mov_b32_e32 v36, 0
	v_mov_b32_e32 v34, 0
	s_and_saveexec_b64 s[10:11], s[2:3]
	s_cbranch_execz .LBB694_158
; %bb.153:
	v_lshrrev_b32_e32 v30, 24, v31
	s_movk_i32 s2, 0x80
	v_cmp_ne_u32_e64 s[2:3], s2, v30
	v_mov_b32_e32 v34, 0xffff8000
	s_and_saveexec_b64 s[20:21], s[2:3]
	s_cbranch_execz .LBB694_157
; %bb.154:
	v_bfe_u32 v31, v31, 24, 7
	s_movk_i32 s2, 0x7f
	v_cmp_ne_u32_e64 s[2:3], s2, v31
	v_mov_b32_e32 v34, 0x7f80
	s_and_saveexec_b64 s[22:23], s[2:3]
	s_cbranch_execz .LBB694_156
; %bb.155:
	v_and_b32_e32 v34, 7, v30
	v_ffbh_u32_e32 v46, v34
	v_min_u32_e32 v49, 32, v46
	v_subrev_u32_e32 v46, 28, v49
	v_lshlrev_b64 v[46:47], v46, v[30:31]
	v_lshrrev_b32_e32 v48, 3, v31
	v_sub_u32_e32 v47, 29, v49
	v_and_b32_e32 v46, 7, v46
	v_cmp_gt_u32_e64 s[2:3], 8, v31
	v_cndmask_b32_e64 v31, v48, v47, s[2:3]
	v_cndmask_b32_e64 v34, v34, v46, s[2:3]
	v_lshlrev_b32_e32 v30, 24, v30
	v_bfrev_b32_e32 v46, 60
	v_lshlrev_b32_e32 v34, 20, v34
	v_and_b32_e32 v30, 0x80000000, v30
	v_lshl_add_u32 v31, v31, 23, v46
	v_or3_b32 v30, v30, v31, v34
	v_lshrrev_b32_e32 v34, 16, v30
.LBB694_156:
	s_or_b64 exec, exec, s[22:23]
.LBB694_157:
	s_or_b64 exec, exec, s[20:21]
.LBB694_158:
	s_or_b64 exec, exec, s[10:11]
	s_mov_b32 s2, 0x5040100
	v_perm_b32 v31, v40, v39, s2
	v_perm_b32 v30, v37, v38, s2
	v_perm_b32 v39, v34, v45, s2
	v_perm_b32 v38, v41, v35, s2
	v_mfma_f32_4x4x4bf16_1k a[0:3], v[18:19], v[30:31], a[0:3] cbsz:4 abid:2
	v_cmp_ne_u16_sdwa s[2:3], v32, v36 src0_sel:BYTE_0 src1_sel:DWORD
	v_mfma_f32_4x4x4bf16_1k a[0:3], v[20:21], v[38:39], a[0:3] cbsz:4 abid:2
	s_and_saveexec_b64 s[10:11], s[2:3]
	s_cbranch_execz .LBB694_164
; %bb.159:
	s_movk_i32 s2, 0x80
	v_cmp_ne_u16_sdwa s[2:3], v32, s2 src0_sel:BYTE_0 src1_sel:DWORD
	v_mov_b32_e32 v36, 0xffff8000
	s_and_saveexec_b64 s[20:21], s[2:3]
	s_cbranch_execz .LBB694_163
; %bb.160:
	s_movk_i32 s2, 0x7f
	v_and_b32_e32 v30, 0x7f, v32
	v_cmp_ne_u32_e64 s[2:3], s2, v30
	v_mov_b32_e32 v36, 0x7f80
	s_and_saveexec_b64 s[22:23], s[2:3]
	s_cbranch_execz .LBB694_162
; %bb.161:
	v_and_b32_e32 v31, 7, v32
	v_ffbh_u32_e32 v31, v31
	v_min_u32_e32 v31, 32, v31
	v_subrev_u32_e32 v35, 28, v31
	v_cmp_gt_u32_e64 s[2:3], 8, v30
	v_lshrrev_b32_e32 v34, 3, v30
	v_sub_u32_e32 v31, 29, v31
	v_cndmask_b32_e64 v30, 0, v35, s[2:3]
	v_cndmask_b32_e64 v34, v34, v31, s[2:3]
	v_lshlrev_b64 v[30:31], v30, v[32:33]
	v_lshlrev_b32_e32 v30, 20, v30
	v_lshlrev_b32_e32 v31, 24, v32
	v_bfrev_b32_e32 v35, 60
	v_and_b32_e32 v30, 0x700000, v30
	v_and_b32_e32 v31, 0x80000000, v31
	v_lshl_add_u32 v34, v34, 23, v35
	v_or3_b32 v30, v31, v34, v30
	v_lshrrev_b32_e32 v36, 16, v30
.LBB694_162:
	s_or_b64 exec, exec, s[22:23]
.LBB694_163:
	s_or_b64 exec, exec, s[20:21]
.LBB694_164:
	s_or_b64 exec, exec, s[10:11]
	v_lshrrev_b16_e32 v30, 8, v32
	v_cmp_ne_u16_e64 s[2:3], 0, v30
	v_mov_b32_e32 v37, 0
	v_mov_b32_e32 v35, 0
	s_and_saveexec_b64 s[10:11], s[2:3]
	s_cbranch_execz .LBB694_170
; %bb.165:
	s_movk_i32 s2, 0x80
	v_cmp_ne_u16_e64 s[2:3], s2, v30
	v_mov_b32_e32 v35, 0xffff8000
	s_and_saveexec_b64 s[20:21], s[2:3]
	s_cbranch_execz .LBB694_169
; %bb.166:
	s_movk_i32 s2, 0x7f
	v_and_b32_e32 v31, 0x7f, v30
	v_cmp_ne_u32_e64 s[2:3], s2, v31
	v_mov_b32_e32 v35, 0x7f80
	s_and_saveexec_b64 s[22:23], s[2:3]
	s_cbranch_execz .LBB694_168
; %bb.167:
	v_and_b32_e32 v38, 7, v30
	v_ffbh_u32_e32 v34, v38
	v_min_u32_e32 v40, 32, v34
	v_subrev_u32_e32 v34, 28, v40
	v_lshlrev_b64 v[34:35], v34, v[30:31]
	v_lshrrev_b32_e32 v39, 3, v31
	v_sub_u32_e32 v30, 29, v40
	v_and_b32_e32 v34, 7, v34
	v_cmp_gt_u32_e64 s[2:3], 8, v31
	v_cndmask_b32_e64 v30, v39, v30, s[2:3]
	v_cndmask_b32_e64 v31, v38, v34, s[2:3]
	v_lshlrev_b32_e32 v34, 16, v32
	v_bfrev_b32_e32 v35, 60
	v_lshlrev_b32_e32 v31, 20, v31
	v_and_b32_e32 v34, 0x80000000, v34
	v_lshl_add_u32 v30, v30, 23, v35
	v_or3_b32 v30, v34, v30, v31
	v_lshrrev_b32_e32 v35, 16, v30
.LBB694_168:
	s_or_b64 exec, exec, s[22:23]
.LBB694_169:
	s_or_b64 exec, exec, s[20:21]
.LBB694_170:
	s_or_b64 exec, exec, s[10:11]
	s_movk_i32 s2, 0xff
	v_and_b32_sdwa v31, v32, s2 dst_sel:DWORD dst_unused:UNUSED_PAD src0_sel:WORD_1 src1_sel:DWORD
	v_lshrrev_b32_e32 v30, 16, v32
	v_cmp_ne_u16_e64 s[2:3], 0, v31
	s_and_saveexec_b64 s[10:11], s[2:3]
	s_cbranch_execz .LBB694_176
; %bb.171:
	s_movk_i32 s2, 0x80
	v_cmp_ne_u16_e64 s[2:3], s2, v31
	v_mov_b32_e32 v37, 0xffff8000
	s_and_saveexec_b64 s[20:21], s[2:3]
	s_cbranch_execz .LBB694_175
; %bb.172:
	v_bfe_u32 v31, v32, 16, 7
	s_movk_i32 s2, 0x7f
	v_cmp_ne_u32_e64 s[2:3], s2, v31
	v_mov_b32_e32 v37, 0x7f80
	s_and_saveexec_b64 s[22:23], s[2:3]
	s_cbranch_execz .LBB694_174
; %bb.173:
	v_and_b32_e32 v34, 7, v30
	v_ffbh_u32_e32 v38, v34
	v_min_u32_e32 v40, 32, v38
	v_subrev_u32_e32 v38, 28, v40
	v_lshlrev_b64 v[38:39], v38, v[30:31]
	v_and_b32_e32 v38, 7, v38
	v_cmp_gt_u32_e64 s[2:3], 8, v31
	v_lshrrev_b32_e32 v37, 3, v31
	v_sub_u32_e32 v30, 29, v40
	v_cndmask_b32_e64 v31, v34, v38, s[2:3]
	v_mov_b32_e32 v34, 24
	v_cndmask_b32_e64 v30, v37, v30, s[2:3]
	v_lshlrev_b32_sdwa v34, v34, v32 dst_sel:DWORD dst_unused:UNUSED_PAD src0_sel:DWORD src1_sel:WORD_1
	v_bfrev_b32_e32 v37, 60
	v_lshlrev_b32_e32 v31, 20, v31
	v_and_b32_e32 v34, 0x80000000, v34
	v_lshl_add_u32 v30, v30, 23, v37
	v_or3_b32 v30, v34, v30, v31
	v_lshrrev_b32_e32 v37, 16, v30
.LBB694_174:
	s_or_b64 exec, exec, s[22:23]
.LBB694_175:
	s_or_b64 exec, exec, s[20:21]
.LBB694_176:
	s_or_b64 exec, exec, s[10:11]
	s_mov_b32 s2, 0xffffff
	v_cmp_lt_u32_e64 s[2:3], s2, v32
	v_mov_b32_e32 v31, 0
	v_mov_b32_e32 v38, 0
	s_and_saveexec_b64 s[10:11], s[2:3]
	s_cbranch_execz .LBB694_182
; %bb.177:
	v_lshrrev_b32_e32 v30, 24, v32
	s_movk_i32 s2, 0x80
	v_cmp_ne_u32_e64 s[2:3], s2, v30
	v_mov_b32_e32 v38, 0xffff8000
	s_and_saveexec_b64 s[20:21], s[2:3]
	s_cbranch_execz .LBB694_181
; %bb.178:
	v_bfe_u32 v34, v32, 24, 7
	s_movk_i32 s2, 0x7f
	v_cmp_ne_u32_e64 s[2:3], s2, v34
	v_mov_b32_e32 v38, 0x7f80
	s_and_saveexec_b64 s[22:23], s[2:3]
	s_cbranch_execz .LBB694_180
; %bb.179:
	v_and_b32_e32 v40, 7, v30
	v_ffbh_u32_e32 v38, v40
	v_min_u32_e32 v45, 32, v38
	v_subrev_u32_e32 v38, 28, v45
	v_lshlrev_b64 v[38:39], v38, v[30:31]
	v_lshrrev_b32_e32 v41, 3, v34
	v_sub_u32_e32 v39, 29, v45
	v_and_b32_e32 v38, 7, v38
	v_cmp_gt_u32_e64 s[2:3], 8, v34
	v_cndmask_b32_e64 v34, v41, v39, s[2:3]
	v_cndmask_b32_e64 v38, v40, v38, s[2:3]
	v_lshlrev_b32_e32 v30, 24, v30
	v_bfrev_b32_e32 v39, 60
	v_lshlrev_b32_e32 v38, 20, v38
	v_and_b32_e32 v30, 0x80000000, v30
	v_lshl_add_u32 v34, v34, 23, v39
	v_or3_b32 v30, v30, v34, v38
	v_lshrrev_b32_e32 v38, 16, v30
.LBB694_180:
	s_or_b64 exec, exec, s[22:23]
.LBB694_181:
	s_or_b64 exec, exec, s[20:21]
.LBB694_182:
	s_or_b64 exec, exec, s[10:11]
	v_mov_b32_e32 v30, v33
	v_cmp_ne_u16_sdwa s[2:3], v33, v31 src0_sel:BYTE_0 src1_sel:DWORD
	s_and_saveexec_b64 s[10:11], s[2:3]
	s_cbranch_execz .LBB694_188
; %bb.183:
	s_movk_i32 s2, 0x80
	v_cmp_ne_u16_sdwa s[2:3], v33, s2 src0_sel:BYTE_0 src1_sel:DWORD
	v_mov_b32_e32 v34, 0xffff8000
	s_and_saveexec_b64 s[20:21], s[2:3]
	s_cbranch_execz .LBB694_187
; %bb.184:
	s_movk_i32 s2, 0x7f
	v_and_b32_e32 v39, 0x7f, v33
	v_cmp_ne_u32_e64 s[2:3], s2, v39
	v_mov_b32_e32 v34, 0x7f80
	s_and_saveexec_b64 s[22:23], s[2:3]
	s_cbranch_execz .LBB694_186
; %bb.185:
	v_and_b32_e32 v34, 7, v33
	v_ffbh_u32_e32 v34, v34
	v_min_u32_e32 v34, 32, v34
	v_subrev_u32_e32 v41, 28, v34
	v_cmp_gt_u32_e64 s[2:3], 8, v39
	v_lshrrev_b32_e32 v40, 3, v39
	v_sub_u32_e32 v34, 29, v34
	v_cndmask_b32_e64 v39, 0, v41, s[2:3]
	v_cndmask_b32_e64 v34, v40, v34, s[2:3]
	v_lshlrev_b64 v[40:41], v39, v[30:31]
	v_lshlrev_b32_e32 v31, 20, v40
	v_lshlrev_b32_e32 v39, 24, v30
	v_bfrev_b32_e32 v40, 60
	v_and_b32_e32 v31, 0x700000, v31
	v_and_b32_e32 v39, 0x80000000, v39
	v_lshl_add_u32 v34, v34, 23, v40
	v_or3_b32 v31, v39, v34, v31
	v_lshrrev_b32_e32 v34, 16, v31
.LBB694_186:
	s_or_b64 exec, exec, s[22:23]
.LBB694_187:
	s_or_b64 exec, exec, s[20:21]
	v_mov_b32_e32 v31, v34
.LBB694_188:
	s_or_b64 exec, exec, s[10:11]
	v_lshrrev_b16_e32 v34, 8, v30
	v_cmp_ne_u16_e64 s[2:3], 0, v34
	v_mov_b32_e32 v40, 0
	v_mov_b32_e32 v39, 0
	s_and_saveexec_b64 s[10:11], s[2:3]
	s_cbranch_execz .LBB694_194
; %bb.189:
	s_movk_i32 s2, 0x80
	v_cmp_ne_u16_e64 s[2:3], s2, v34
	v_mov_b32_e32 v39, 0xffff8000
	s_and_saveexec_b64 s[20:21], s[2:3]
	s_cbranch_execz .LBB694_193
; %bb.190:
	s_movk_i32 s2, 0x7f
	v_and_b32_e32 v41, 0x7f, v34
	v_cmp_ne_u32_e64 s[2:3], s2, v41
	v_mov_b32_e32 v39, 0x7f80
	s_and_saveexec_b64 s[22:23], s[2:3]
	s_cbranch_execz .LBB694_192
; %bb.191:
	v_and_b32_e32 v39, 7, v34
	v_ffbh_u32_e32 v46, v39
	v_min_u32_e32 v48, 32, v46
	v_subrev_u32_e32 v46, 28, v48
	v_lshlrev_b64 v[46:47], v46, v[34:35]
	v_lshrrev_b32_e32 v45, 3, v41
	v_sub_u32_e32 v34, 29, v48
	v_and_b32_e32 v46, 7, v46
	v_cmp_gt_u32_e64 s[2:3], 8, v41
	v_cndmask_b32_e64 v34, v45, v34, s[2:3]
	v_cndmask_b32_e64 v39, v39, v46, s[2:3]
	v_lshlrev_b32_e32 v30, 16, v30
	v_bfrev_b32_e32 v41, 60
	v_lshlrev_b32_e32 v39, 20, v39
	v_and_b32_e32 v30, 0x80000000, v30
	v_lshl_add_u32 v34, v34, 23, v41
	v_or3_b32 v30, v30, v34, v39
	v_lshrrev_b32_e32 v39, 16, v30
.LBB694_192:
	s_or_b64 exec, exec, s[22:23]
.LBB694_193:
	s_or_b64 exec, exec, s[20:21]
.LBB694_194:
	s_or_b64 exec, exec, s[10:11]
	s_movk_i32 s2, 0xff
	v_and_b32_sdwa v34, v33, s2 dst_sel:DWORD dst_unused:UNUSED_PAD src0_sel:WORD_1 src1_sel:DWORD
	v_lshrrev_b32_e32 v30, 16, v33
	v_cmp_ne_u16_e64 s[2:3], 0, v34
	s_and_saveexec_b64 s[10:11], s[2:3]
	s_cbranch_execz .LBB694_200
; %bb.195:
	s_movk_i32 s2, 0x80
	v_cmp_ne_u16_e64 s[2:3], s2, v34
	v_mov_b32_e32 v40, 0xffff8000
	s_and_saveexec_b64 s[20:21], s[2:3]
	s_cbranch_execz .LBB694_199
; %bb.196:
	v_bfe_u32 v34, v33, 16, 7
	s_movk_i32 s2, 0x7f
	v_cmp_ne_u32_e64 s[2:3], s2, v34
	v_mov_b32_e32 v40, 0x7f80
	s_and_saveexec_b64 s[22:23], s[2:3]
	s_cbranch_execz .LBB694_198
; %bb.197:
	v_and_b32_e32 v45, 7, v30
	v_ffbh_u32_e32 v40, v45
	v_min_u32_e32 v47, 32, v40
	v_subrev_u32_e32 v40, 28, v47
	v_lshlrev_b64 v[40:41], v40, v[30:31]
	v_and_b32_e32 v40, 7, v40
	v_cmp_gt_u32_e64 s[2:3], 8, v34
	v_lshrrev_b32_e32 v46, 3, v34
	v_sub_u32_e32 v30, 29, v47
	v_cndmask_b32_e64 v34, v45, v40, s[2:3]
	v_mov_b32_e32 v40, 24
	v_cndmask_b32_e64 v30, v46, v30, s[2:3]
	v_lshlrev_b32_sdwa v40, v40, v33 dst_sel:DWORD dst_unused:UNUSED_PAD src0_sel:DWORD src1_sel:WORD_1
	v_bfrev_b32_e32 v41, 60
	v_lshlrev_b32_e32 v34, 20, v34
	v_and_b32_e32 v40, 0x80000000, v40
	v_lshl_add_u32 v30, v30, 23, v41
	v_or3_b32 v30, v40, v30, v34
	v_lshrrev_b32_e32 v40, 16, v30
.LBB694_198:
	s_or_b64 exec, exec, s[22:23]
.LBB694_199:
	s_or_b64 exec, exec, s[20:21]
.LBB694_200:
	s_or_b64 exec, exec, s[10:11]
	s_mov_b32 s2, -1
	s_mov_b32 s3, 0xffffff
	v_cmp_lt_u64_e64 s[2:3], s[2:3], v[32:33]
	v_mov_b32_e32 v34, 0
	v_mov_b32_e32 v32, 0
	s_and_saveexec_b64 s[10:11], s[2:3]
	s_cbranch_execz .LBB694_206
; %bb.201:
	v_lshrrev_b32_e32 v30, 24, v33
	s_movk_i32 s2, 0x80
	v_cmp_ne_u32_e64 s[2:3], s2, v30
	v_mov_b32_e32 v32, 0xffff8000
	s_and_saveexec_b64 s[20:21], s[2:3]
	s_cbranch_execz .LBB694_205
; %bb.202:
	v_bfe_u32 v33, v33, 24, 7
	s_movk_i32 s2, 0x7f
	v_cmp_ne_u32_e64 s[2:3], s2, v33
	v_mov_b32_e32 v32, 0x7f80
	s_and_saveexec_b64 s[22:23], s[2:3]
	s_cbranch_execz .LBB694_204
; %bb.203:
	v_and_b32_e32 v32, 7, v30
	v_ffbh_u32_e32 v45, v32
	v_min_u32_e32 v45, 32, v45
	v_subrev_u32_e32 v46, 28, v45
	v_lshlrev_b64 v[46:47], v46, v[30:31]
	v_lshrrev_b32_e32 v41, 3, v33
	v_sub_u32_e32 v45, 29, v45
	v_and_b32_e32 v46, 7, v46
	v_cmp_gt_u32_e64 s[2:3], 8, v33
	v_cndmask_b32_e64 v33, v41, v45, s[2:3]
	v_cndmask_b32_e64 v32, v32, v46, s[2:3]
	v_lshlrev_b32_e32 v30, 24, v30
	v_bfrev_b32_e32 v41, 60
	v_lshlrev_b32_e32 v32, 20, v32
	v_and_b32_e32 v30, 0x80000000, v30
	v_lshl_add_u32 v33, v33, 23, v41
	v_or3_b32 v30, v30, v33, v32
	v_lshrrev_b32_e32 v32, 16, v30
.LBB694_204:
	s_or_b64 exec, exec, s[22:23]
.LBB694_205:
	s_or_b64 exec, exec, s[20:21]
.LBB694_206:
	s_or_b64 exec, exec, s[10:11]
	s_mov_b32 s2, 0x5040100
	v_perm_b32 v37, v38, v37, s2
	v_perm_b32 v36, v35, v36, s2
	;; [unrolled: 1-line block ×4, first 2 shown]
	v_mfma_f32_4x4x4bf16_1k a[0:3], v[18:19], v[36:37], a[0:3] cbsz:4 abid:3
	s_waitcnt vmcnt(5)
	v_cmp_ne_u16_sdwa s[2:3], v26, v34 src0_sel:BYTE_0 src1_sel:DWORD
	v_mfma_f32_4x4x4bf16_1k a[0:3], v[20:21], v[32:33], a[0:3] cbsz:4 abid:3
	s_and_saveexec_b64 s[10:11], s[2:3]
	s_cbranch_execz .LBB694_212
; %bb.207:
	s_movk_i32 s2, 0x80
	v_cmp_ne_u16_sdwa s[2:3], v26, s2 src0_sel:BYTE_0 src1_sel:DWORD
	v_mov_b32_e32 v34, 0xffff8000
	s_and_saveexec_b64 s[20:21], s[2:3]
	s_cbranch_execz .LBB694_211
; %bb.208:
	s_movk_i32 s2, 0x7f
	v_and_b32_e32 v30, 0x7f, v26
	v_cmp_ne_u32_e64 s[2:3], s2, v30
	v_mov_b32_e32 v34, 0x7f80
	s_and_saveexec_b64 s[22:23], s[2:3]
	s_cbranch_execz .LBB694_210
; %bb.209:
	v_and_b32_e32 v31, 7, v26
	v_ffbh_u32_e32 v31, v31
	v_min_u32_e32 v31, 32, v31
	v_subrev_u32_e32 v33, 28, v31
	v_cmp_gt_u32_e64 s[2:3], 8, v30
	v_lshrrev_b32_e32 v32, 3, v30
	v_sub_u32_e32 v31, 29, v31
	v_cndmask_b32_e64 v30, 0, v33, s[2:3]
	v_cndmask_b32_e64 v32, v32, v31, s[2:3]
	v_lshlrev_b64 v[30:31], v30, v[26:27]
	v_lshlrev_b32_e32 v30, 20, v30
	v_lshlrev_b32_e32 v31, 24, v26
	v_bfrev_b32_e32 v33, 60
	v_and_b32_e32 v30, 0x700000, v30
	v_and_b32_e32 v31, 0x80000000, v31
	v_lshl_add_u32 v32, v32, 23, v33
	v_or3_b32 v30, v31, v32, v30
	v_lshrrev_b32_e32 v34, 16, v30
.LBB694_210:
	s_or_b64 exec, exec, s[22:23]
.LBB694_211:
	s_or_b64 exec, exec, s[20:21]
.LBB694_212:
	s_or_b64 exec, exec, s[10:11]
	v_lshrrev_b16_e32 v30, 8, v26
	v_cmp_ne_u16_e64 s[2:3], 0, v30
	v_mov_b32_e32 v35, 0
	v_mov_b32_e32 v33, 0
	s_and_saveexec_b64 s[10:11], s[2:3]
	s_cbranch_execz .LBB694_218
; %bb.213:
	s_movk_i32 s2, 0x80
	v_cmp_ne_u16_e64 s[2:3], s2, v30
	v_mov_b32_e32 v33, 0xffff8000
	s_and_saveexec_b64 s[20:21], s[2:3]
	s_cbranch_execz .LBB694_217
; %bb.214:
	s_movk_i32 s2, 0x7f
	v_and_b32_e32 v31, 0x7f, v30
	v_cmp_ne_u32_e64 s[2:3], s2, v31
	v_mov_b32_e32 v33, 0x7f80
	s_and_saveexec_b64 s[22:23], s[2:3]
	s_cbranch_execz .LBB694_216
; %bb.215:
	v_and_b32_e32 v36, 7, v30
	v_ffbh_u32_e32 v32, v36
	v_min_u32_e32 v38, 32, v32
	v_subrev_u32_e32 v32, 28, v38
	v_lshlrev_b64 v[32:33], v32, v[30:31]
	v_lshrrev_b32_e32 v37, 3, v31
	v_sub_u32_e32 v30, 29, v38
	v_and_b32_e32 v32, 7, v32
	v_cmp_gt_u32_e64 s[2:3], 8, v31
	v_cndmask_b32_e64 v30, v37, v30, s[2:3]
	v_cndmask_b32_e64 v31, v36, v32, s[2:3]
	v_lshlrev_b32_e32 v32, 16, v26
	v_bfrev_b32_e32 v33, 60
	v_lshlrev_b32_e32 v31, 20, v31
	v_and_b32_e32 v32, 0x80000000, v32
	v_lshl_add_u32 v30, v30, 23, v33
	v_or3_b32 v30, v32, v30, v31
	v_lshrrev_b32_e32 v33, 16, v30
.LBB694_216:
	s_or_b64 exec, exec, s[22:23]
.LBB694_217:
	s_or_b64 exec, exec, s[20:21]
.LBB694_218:
	s_or_b64 exec, exec, s[10:11]
	s_movk_i32 s2, 0xff
	v_and_b32_sdwa v31, v26, s2 dst_sel:DWORD dst_unused:UNUSED_PAD src0_sel:WORD_1 src1_sel:DWORD
	v_lshrrev_b32_e32 v30, 16, v26
	v_cmp_ne_u16_e64 s[2:3], 0, v31
	s_and_saveexec_b64 s[10:11], s[2:3]
	s_cbranch_execz .LBB694_224
; %bb.219:
	s_movk_i32 s2, 0x80
	v_cmp_ne_u16_e64 s[2:3], s2, v31
	v_mov_b32_e32 v35, 0xffff8000
	s_and_saveexec_b64 s[20:21], s[2:3]
	s_cbranch_execz .LBB694_223
; %bb.220:
	v_bfe_u32 v31, v26, 16, 7
	s_movk_i32 s2, 0x7f
	v_cmp_ne_u32_e64 s[2:3], s2, v31
	v_mov_b32_e32 v35, 0x7f80
	s_and_saveexec_b64 s[22:23], s[2:3]
	s_cbranch_execz .LBB694_222
; %bb.221:
	v_and_b32_e32 v32, 7, v30
	v_ffbh_u32_e32 v36, v32
	v_min_u32_e32 v38, 32, v36
	v_subrev_u32_e32 v36, 28, v38
	v_lshlrev_b64 v[36:37], v36, v[30:31]
	v_and_b32_e32 v36, 7, v36
	v_cmp_gt_u32_e64 s[2:3], 8, v31
	v_lshrrev_b32_e32 v35, 3, v31
	v_sub_u32_e32 v30, 29, v38
	v_cndmask_b32_e64 v31, v32, v36, s[2:3]
	v_mov_b32_e32 v32, 24
	v_cndmask_b32_e64 v30, v35, v30, s[2:3]
	v_lshlrev_b32_sdwa v32, v32, v26 dst_sel:DWORD dst_unused:UNUSED_PAD src0_sel:DWORD src1_sel:WORD_1
	v_bfrev_b32_e32 v35, 60
	v_lshlrev_b32_e32 v31, 20, v31
	v_and_b32_e32 v32, 0x80000000, v32
	v_lshl_add_u32 v30, v30, 23, v35
	v_or3_b32 v30, v32, v30, v31
	v_lshrrev_b32_e32 v35, 16, v30
.LBB694_222:
	s_or_b64 exec, exec, s[22:23]
.LBB694_223:
	s_or_b64 exec, exec, s[20:21]
.LBB694_224:
	s_or_b64 exec, exec, s[10:11]
	s_mov_b32 s2, 0xffffff
	v_cmp_lt_u32_e64 s[2:3], s2, v26
	v_mov_b32_e32 v31, 0
	v_mov_b32_e32 v36, 0
	s_and_saveexec_b64 s[10:11], s[2:3]
	s_cbranch_execz .LBB694_230
; %bb.225:
	v_lshrrev_b32_e32 v30, 24, v26
	s_movk_i32 s2, 0x80
	v_cmp_ne_u32_e64 s[2:3], s2, v30
	v_mov_b32_e32 v36, 0xffff8000
	s_and_saveexec_b64 s[20:21], s[2:3]
	s_cbranch_execz .LBB694_229
; %bb.226:
	v_bfe_u32 v32, v26, 24, 7
	s_movk_i32 s2, 0x7f
	v_cmp_ne_u32_e64 s[2:3], s2, v32
	v_mov_b32_e32 v36, 0x7f80
	s_and_saveexec_b64 s[22:23], s[2:3]
	s_cbranch_execz .LBB694_228
; %bb.227:
	v_and_b32_e32 v38, 7, v30
	v_ffbh_u32_e32 v36, v38
	v_min_u32_e32 v40, 32, v36
	v_subrev_u32_e32 v36, 28, v40
	v_lshlrev_b64 v[36:37], v36, v[30:31]
	v_lshrrev_b32_e32 v39, 3, v32
	v_sub_u32_e32 v37, 29, v40
	v_and_b32_e32 v36, 7, v36
	v_cmp_gt_u32_e64 s[2:3], 8, v32
	v_cndmask_b32_e64 v32, v39, v37, s[2:3]
	v_cndmask_b32_e64 v36, v38, v36, s[2:3]
	v_lshlrev_b32_e32 v30, 24, v30
	v_bfrev_b32_e32 v37, 60
	v_lshlrev_b32_e32 v36, 20, v36
	v_and_b32_e32 v30, 0x80000000, v30
	v_lshl_add_u32 v32, v32, 23, v37
	v_or3_b32 v30, v30, v32, v36
	v_lshrrev_b32_e32 v36, 16, v30
.LBB694_228:
	s_or_b64 exec, exec, s[22:23]
.LBB694_229:
	s_or_b64 exec, exec, s[20:21]
.LBB694_230:
	s_or_b64 exec, exec, s[10:11]
	v_mov_b32_e32 v30, v27
	v_cmp_ne_u16_sdwa s[2:3], v27, v31 src0_sel:BYTE_0 src1_sel:DWORD
	s_and_saveexec_b64 s[10:11], s[2:3]
	s_cbranch_execz .LBB694_236
; %bb.231:
	s_movk_i32 s2, 0x80
	v_cmp_ne_u16_sdwa s[2:3], v27, s2 src0_sel:BYTE_0 src1_sel:DWORD
	v_mov_b32_e32 v32, 0xffff8000
	s_and_saveexec_b64 s[20:21], s[2:3]
	s_cbranch_execz .LBB694_235
; %bb.232:
	s_movk_i32 s2, 0x7f
	v_and_b32_e32 v37, 0x7f, v27
	v_cmp_ne_u32_e64 s[2:3], s2, v37
	v_mov_b32_e32 v32, 0x7f80
	s_and_saveexec_b64 s[22:23], s[2:3]
	s_cbranch_execz .LBB694_234
; %bb.233:
	v_and_b32_e32 v32, 7, v27
	v_ffbh_u32_e32 v32, v32
	v_min_u32_e32 v32, 32, v32
	v_subrev_u32_e32 v39, 28, v32
	v_cmp_gt_u32_e64 s[2:3], 8, v37
	v_lshrrev_b32_e32 v38, 3, v37
	v_sub_u32_e32 v32, 29, v32
	v_cndmask_b32_e64 v37, 0, v39, s[2:3]
	v_cndmask_b32_e64 v32, v38, v32, s[2:3]
	v_lshlrev_b64 v[38:39], v37, v[30:31]
	v_lshlrev_b32_e32 v31, 20, v38
	v_lshlrev_b32_e32 v37, 24, v30
	v_bfrev_b32_e32 v38, 60
	v_and_b32_e32 v31, 0x700000, v31
	v_and_b32_e32 v37, 0x80000000, v37
	v_lshl_add_u32 v32, v32, 23, v38
	v_or3_b32 v31, v37, v32, v31
	v_lshrrev_b32_e32 v32, 16, v31
.LBB694_234:
	s_or_b64 exec, exec, s[22:23]
.LBB694_235:
	s_or_b64 exec, exec, s[20:21]
	v_mov_b32_e32 v31, v32
.LBB694_236:
	s_or_b64 exec, exec, s[10:11]
	v_lshrrev_b16_e32 v32, 8, v30
	v_cmp_ne_u16_e64 s[2:3], 0, v32
	v_mov_b32_e32 v38, 0
	v_mov_b32_e32 v37, 0
	s_and_saveexec_b64 s[10:11], s[2:3]
	s_cbranch_execz .LBB694_242
; %bb.237:
	s_movk_i32 s2, 0x80
	v_cmp_ne_u16_e64 s[2:3], s2, v32
	v_mov_b32_e32 v37, 0xffff8000
	s_and_saveexec_b64 s[20:21], s[2:3]
	s_cbranch_execz .LBB694_241
; %bb.238:
	s_movk_i32 s2, 0x7f
	v_and_b32_e32 v39, 0x7f, v32
	v_cmp_ne_u32_e64 s[2:3], s2, v39
	v_mov_b32_e32 v37, 0x7f80
	s_and_saveexec_b64 s[22:23], s[2:3]
	s_cbranch_execz .LBB694_240
; %bb.239:
	v_and_b32_e32 v37, 7, v32
	v_ffbh_u32_e32 v40, v37
	v_min_u32_e32 v46, 32, v40
	v_subrev_u32_e32 v40, 28, v46
	v_lshlrev_b64 v[40:41], v40, v[32:33]
	v_lshrrev_b32_e32 v45, 3, v39
	v_sub_u32_e32 v32, 29, v46
	v_and_b32_e32 v40, 7, v40
	v_cmp_gt_u32_e64 s[2:3], 8, v39
	v_cndmask_b32_e64 v32, v45, v32, s[2:3]
	v_cndmask_b32_e64 v37, v37, v40, s[2:3]
	v_lshlrev_b32_e32 v30, 16, v30
	v_bfrev_b32_e32 v39, 60
	v_lshlrev_b32_e32 v37, 20, v37
	v_and_b32_e32 v30, 0x80000000, v30
	v_lshl_add_u32 v32, v32, 23, v39
	v_or3_b32 v30, v30, v32, v37
	v_lshrrev_b32_e32 v37, 16, v30
.LBB694_240:
	s_or_b64 exec, exec, s[22:23]
.LBB694_241:
	s_or_b64 exec, exec, s[20:21]
.LBB694_242:
	s_or_b64 exec, exec, s[10:11]
	s_movk_i32 s2, 0xff
	v_and_b32_sdwa v32, v27, s2 dst_sel:DWORD dst_unused:UNUSED_PAD src0_sel:WORD_1 src1_sel:DWORD
	v_lshrrev_b32_e32 v30, 16, v27
	v_cmp_ne_u16_e64 s[2:3], 0, v32
	s_and_saveexec_b64 s[10:11], s[2:3]
	s_cbranch_execz .LBB694_248
; %bb.243:
	s_movk_i32 s2, 0x80
	v_cmp_ne_u16_e64 s[2:3], s2, v32
	v_mov_b32_e32 v38, 0xffff8000
	s_and_saveexec_b64 s[20:21], s[2:3]
	s_cbranch_execz .LBB694_247
; %bb.244:
	v_bfe_u32 v32, v27, 16, 7
	s_movk_i32 s2, 0x7f
	v_cmp_ne_u32_e64 s[2:3], s2, v32
	v_mov_b32_e32 v38, 0x7f80
	s_and_saveexec_b64 s[22:23], s[2:3]
	s_cbranch_execz .LBB694_246
; %bb.245:
	v_and_b32_e32 v40, 7, v30
	v_ffbh_u32_e32 v38, v40
	v_min_u32_e32 v45, 32, v38
	v_subrev_u32_e32 v38, 28, v45
	v_lshlrev_b64 v[38:39], v38, v[30:31]
	v_and_b32_e32 v38, 7, v38
	v_cmp_gt_u32_e64 s[2:3], 8, v32
	v_lshrrev_b32_e32 v41, 3, v32
	v_sub_u32_e32 v30, 29, v45
	v_cndmask_b32_e64 v32, v40, v38, s[2:3]
	v_mov_b32_e32 v38, 24
	v_cndmask_b32_e64 v30, v41, v30, s[2:3]
	v_lshlrev_b32_sdwa v38, v38, v27 dst_sel:DWORD dst_unused:UNUSED_PAD src0_sel:DWORD src1_sel:WORD_1
	v_bfrev_b32_e32 v39, 60
	v_lshlrev_b32_e32 v32, 20, v32
	v_and_b32_e32 v38, 0x80000000, v38
	v_lshl_add_u32 v30, v30, 23, v39
	v_or3_b32 v30, v38, v30, v32
	v_lshrrev_b32_e32 v38, 16, v30
.LBB694_246:
	s_or_b64 exec, exec, s[22:23]
.LBB694_247:
	s_or_b64 exec, exec, s[20:21]
.LBB694_248:
	s_or_b64 exec, exec, s[10:11]
	s_mov_b32 s2, -1
	s_mov_b32 s3, 0xffffff
	v_cmp_lt_u64_e64 s[2:3], s[2:3], v[26:27]
	v_mov_b32_e32 v32, 0
	v_mov_b32_e32 v30, 0
	s_and_saveexec_b64 s[10:11], s[2:3]
	s_cbranch_execz .LBB694_254
; %bb.249:
	v_lshrrev_b32_e32 v26, 24, v27
	s_movk_i32 s2, 0x80
	v_cmp_ne_u32_e64 s[2:3], s2, v26
	v_mov_b32_e32 v30, 0xffff8000
	s_and_saveexec_b64 s[20:21], s[2:3]
	s_cbranch_execz .LBB694_253
; %bb.250:
	v_bfe_u32 v27, v27, 24, 7
	s_movk_i32 s2, 0x7f
	v_cmp_ne_u32_e64 s[2:3], s2, v27
	v_mov_b32_e32 v30, 0x7f80
	s_and_saveexec_b64 s[22:23], s[2:3]
	s_cbranch_execz .LBB694_252
; %bb.251:
	v_and_b32_e32 v30, 7, v26
	v_ffbh_u32_e32 v40, v30
	v_min_u32_e32 v45, 32, v40
	v_subrev_u32_e32 v40, 28, v45
	v_lshlrev_b64 v[40:41], v40, v[26:27]
	v_lshrrev_b32_e32 v39, 3, v27
	v_sub_u32_e32 v41, 29, v45
	v_and_b32_e32 v40, 7, v40
	v_cmp_gt_u32_e64 s[2:3], 8, v27
	v_cndmask_b32_e64 v27, v39, v41, s[2:3]
	v_cndmask_b32_e64 v30, v30, v40, s[2:3]
	v_lshlrev_b32_e32 v26, 24, v26
	v_bfrev_b32_e32 v39, 60
	v_lshlrev_b32_e32 v30, 20, v30
	v_and_b32_e32 v26, 0x80000000, v26
	v_lshl_add_u32 v27, v27, 23, v39
	v_or3_b32 v26, v26, v27, v30
	v_lshrrev_b32_e32 v30, 16, v26
.LBB694_252:
	s_or_b64 exec, exec, s[22:23]
.LBB694_253:
	s_or_b64 exec, exec, s[20:21]
.LBB694_254:
	s_or_b64 exec, exec, s[10:11]
	s_mov_b32 s2, 0x5040100
	v_perm_b32 v27, v36, v35, s2
	v_perm_b32 v26, v33, v34, s2
	;; [unrolled: 1-line block ×4, first 2 shown]
	v_mfma_f32_4x4x4bf16_1k a[0:3], v[18:19], v[26:27], a[0:3] cbsz:4 abid:4
	v_cmp_ne_u16_sdwa s[2:3], v28, v32 src0_sel:BYTE_0 src1_sel:DWORD
	v_mfma_f32_4x4x4bf16_1k a[0:3], v[20:21], v[34:35], a[0:3] cbsz:4 abid:4
	s_and_saveexec_b64 s[10:11], s[2:3]
	s_cbranch_execz .LBB694_260
; %bb.255:
	s_movk_i32 s2, 0x80
	v_cmp_ne_u16_sdwa s[2:3], v28, s2 src0_sel:BYTE_0 src1_sel:DWORD
	v_mov_b32_e32 v32, 0xffff8000
	s_and_saveexec_b64 s[20:21], s[2:3]
	s_cbranch_execz .LBB694_259
; %bb.256:
	s_movk_i32 s2, 0x7f
	v_and_b32_e32 v26, 0x7f, v28
	v_cmp_ne_u32_e64 s[2:3], s2, v26
	v_mov_b32_e32 v32, 0x7f80
	s_and_saveexec_b64 s[22:23], s[2:3]
	s_cbranch_execz .LBB694_258
; %bb.257:
	v_and_b32_e32 v27, 7, v28
	v_ffbh_u32_e32 v27, v27
	v_min_u32_e32 v27, 32, v27
	v_subrev_u32_e32 v31, 28, v27
	v_cmp_gt_u32_e64 s[2:3], 8, v26
	v_lshrrev_b32_e32 v30, 3, v26
	v_sub_u32_e32 v27, 29, v27
	v_cndmask_b32_e64 v26, 0, v31, s[2:3]
	v_cndmask_b32_e64 v30, v30, v27, s[2:3]
	v_lshlrev_b64 v[26:27], v26, v[28:29]
	v_lshlrev_b32_e32 v26, 20, v26
	v_lshlrev_b32_e32 v27, 24, v28
	v_bfrev_b32_e32 v31, 60
	v_and_b32_e32 v26, 0x700000, v26
	v_and_b32_e32 v27, 0x80000000, v27
	v_lshl_add_u32 v30, v30, 23, v31
	v_or3_b32 v26, v27, v30, v26
	v_lshrrev_b32_e32 v32, 16, v26
.LBB694_258:
	s_or_b64 exec, exec, s[22:23]
.LBB694_259:
	s_or_b64 exec, exec, s[20:21]
.LBB694_260:
	s_or_b64 exec, exec, s[10:11]
	v_lshrrev_b16_e32 v26, 8, v28
	v_cmp_ne_u16_e64 s[2:3], 0, v26
	v_mov_b32_e32 v33, 0
	v_mov_b32_e32 v31, 0
	s_and_saveexec_b64 s[10:11], s[2:3]
	s_cbranch_execz .LBB694_266
; %bb.261:
	s_movk_i32 s2, 0x80
	v_cmp_ne_u16_e64 s[2:3], s2, v26
	v_mov_b32_e32 v31, 0xffff8000
	s_and_saveexec_b64 s[20:21], s[2:3]
	s_cbranch_execz .LBB694_265
; %bb.262:
	s_movk_i32 s2, 0x7f
	v_and_b32_e32 v27, 0x7f, v26
	v_cmp_ne_u32_e64 s[2:3], s2, v27
	v_mov_b32_e32 v31, 0x7f80
	s_and_saveexec_b64 s[22:23], s[2:3]
	s_cbranch_execz .LBB694_264
; %bb.263:
	v_and_b32_e32 v34, 7, v26
	v_ffbh_u32_e32 v30, v34
	v_min_u32_e32 v36, 32, v30
	v_subrev_u32_e32 v30, 28, v36
	v_lshlrev_b64 v[30:31], v30, v[26:27]
	v_lshrrev_b32_e32 v35, 3, v27
	v_sub_u32_e32 v26, 29, v36
	v_and_b32_e32 v30, 7, v30
	v_cmp_gt_u32_e64 s[2:3], 8, v27
	v_cndmask_b32_e64 v26, v35, v26, s[2:3]
	v_cndmask_b32_e64 v27, v34, v30, s[2:3]
	v_lshlrev_b32_e32 v30, 16, v28
	v_bfrev_b32_e32 v31, 60
	v_lshlrev_b32_e32 v27, 20, v27
	v_and_b32_e32 v30, 0x80000000, v30
	v_lshl_add_u32 v26, v26, 23, v31
	v_or3_b32 v26, v30, v26, v27
	v_lshrrev_b32_e32 v31, 16, v26
.LBB694_264:
	s_or_b64 exec, exec, s[22:23]
.LBB694_265:
	s_or_b64 exec, exec, s[20:21]
.LBB694_266:
	s_or_b64 exec, exec, s[10:11]
	s_movk_i32 s2, 0xff
	v_and_b32_sdwa v27, v28, s2 dst_sel:DWORD dst_unused:UNUSED_PAD src0_sel:WORD_1 src1_sel:DWORD
	v_lshrrev_b32_e32 v26, 16, v28
	v_cmp_ne_u16_e64 s[2:3], 0, v27
	s_and_saveexec_b64 s[10:11], s[2:3]
	s_cbranch_execz .LBB694_272
; %bb.267:
	s_movk_i32 s2, 0x80
	v_cmp_ne_u16_e64 s[2:3], s2, v27
	v_mov_b32_e32 v33, 0xffff8000
	s_and_saveexec_b64 s[20:21], s[2:3]
	s_cbranch_execz .LBB694_271
; %bb.268:
	v_bfe_u32 v27, v28, 16, 7
	s_movk_i32 s2, 0x7f
	v_cmp_ne_u32_e64 s[2:3], s2, v27
	v_mov_b32_e32 v33, 0x7f80
	s_and_saveexec_b64 s[22:23], s[2:3]
	s_cbranch_execz .LBB694_270
; %bb.269:
	v_and_b32_e32 v30, 7, v26
	v_ffbh_u32_e32 v34, v30
	v_min_u32_e32 v36, 32, v34
	v_subrev_u32_e32 v34, 28, v36
	v_lshlrev_b64 v[34:35], v34, v[26:27]
	v_and_b32_e32 v34, 7, v34
	v_cmp_gt_u32_e64 s[2:3], 8, v27
	v_lshrrev_b32_e32 v33, 3, v27
	v_sub_u32_e32 v26, 29, v36
	v_cndmask_b32_e64 v27, v30, v34, s[2:3]
	v_mov_b32_e32 v30, 24
	v_cndmask_b32_e64 v26, v33, v26, s[2:3]
	v_lshlrev_b32_sdwa v30, v30, v28 dst_sel:DWORD dst_unused:UNUSED_PAD src0_sel:DWORD src1_sel:WORD_1
	v_bfrev_b32_e32 v33, 60
	v_lshlrev_b32_e32 v27, 20, v27
	v_and_b32_e32 v30, 0x80000000, v30
	v_lshl_add_u32 v26, v26, 23, v33
	v_or3_b32 v26, v30, v26, v27
	v_lshrrev_b32_e32 v33, 16, v26
.LBB694_270:
	s_or_b64 exec, exec, s[22:23]
.LBB694_271:
	s_or_b64 exec, exec, s[20:21]
.LBB694_272:
	s_or_b64 exec, exec, s[10:11]
	s_mov_b32 s2, 0xffffff
	v_cmp_lt_u32_e64 s[2:3], s2, v28
	v_mov_b32_e32 v27, 0
	v_mov_b32_e32 v34, 0
	s_and_saveexec_b64 s[10:11], s[2:3]
	s_cbranch_execz .LBB694_278
; %bb.273:
	v_lshrrev_b32_e32 v26, 24, v28
	s_movk_i32 s2, 0x80
	v_cmp_ne_u32_e64 s[2:3], s2, v26
	v_mov_b32_e32 v34, 0xffff8000
	s_and_saveexec_b64 s[20:21], s[2:3]
	s_cbranch_execz .LBB694_277
; %bb.274:
	v_bfe_u32 v30, v28, 24, 7
	s_movk_i32 s2, 0x7f
	v_cmp_ne_u32_e64 s[2:3], s2, v30
	v_mov_b32_e32 v34, 0x7f80
	s_and_saveexec_b64 s[22:23], s[2:3]
	s_cbranch_execz .LBB694_276
; %bb.275:
	v_and_b32_e32 v36, 7, v26
	v_ffbh_u32_e32 v34, v36
	v_min_u32_e32 v38, 32, v34
	v_subrev_u32_e32 v34, 28, v38
	v_lshlrev_b64 v[34:35], v34, v[26:27]
	v_lshrrev_b32_e32 v37, 3, v30
	v_sub_u32_e32 v35, 29, v38
	v_and_b32_e32 v34, 7, v34
	v_cmp_gt_u32_e64 s[2:3], 8, v30
	v_cndmask_b32_e64 v30, v37, v35, s[2:3]
	v_cndmask_b32_e64 v34, v36, v34, s[2:3]
	v_lshlrev_b32_e32 v26, 24, v26
	v_bfrev_b32_e32 v35, 60
	v_lshlrev_b32_e32 v34, 20, v34
	v_and_b32_e32 v26, 0x80000000, v26
	v_lshl_add_u32 v30, v30, 23, v35
	v_or3_b32 v26, v26, v30, v34
	v_lshrrev_b32_e32 v34, 16, v26
.LBB694_276:
	s_or_b64 exec, exec, s[22:23]
.LBB694_277:
	s_or_b64 exec, exec, s[20:21]
.LBB694_278:
	s_or_b64 exec, exec, s[10:11]
	v_mov_b32_e32 v26, v29
	v_cmp_ne_u16_sdwa s[2:3], v29, v27 src0_sel:BYTE_0 src1_sel:DWORD
	s_and_saveexec_b64 s[10:11], s[2:3]
	s_cbranch_execz .LBB694_284
; %bb.279:
	s_movk_i32 s2, 0x80
	v_cmp_ne_u16_sdwa s[2:3], v29, s2 src0_sel:BYTE_0 src1_sel:DWORD
	v_mov_b32_e32 v30, 0xffff8000
	s_and_saveexec_b64 s[20:21], s[2:3]
	s_cbranch_execz .LBB694_283
; %bb.280:
	s_movk_i32 s2, 0x7f
	v_and_b32_e32 v35, 0x7f, v29
	v_cmp_ne_u32_e64 s[2:3], s2, v35
	v_mov_b32_e32 v30, 0x7f80
	s_and_saveexec_b64 s[22:23], s[2:3]
	s_cbranch_execz .LBB694_282
; %bb.281:
	v_and_b32_e32 v30, 7, v29
	v_ffbh_u32_e32 v30, v30
	v_min_u32_e32 v30, 32, v30
	v_subrev_u32_e32 v37, 28, v30
	v_cmp_gt_u32_e64 s[2:3], 8, v35
	v_lshrrev_b32_e32 v36, 3, v35
	v_sub_u32_e32 v30, 29, v30
	v_cndmask_b32_e64 v35, 0, v37, s[2:3]
	v_cndmask_b32_e64 v30, v36, v30, s[2:3]
	v_lshlrev_b64 v[36:37], v35, v[26:27]
	v_lshlrev_b32_e32 v27, 20, v36
	v_lshlrev_b32_e32 v35, 24, v26
	v_bfrev_b32_e32 v36, 60
	v_and_b32_e32 v27, 0x700000, v27
	v_and_b32_e32 v35, 0x80000000, v35
	v_lshl_add_u32 v30, v30, 23, v36
	v_or3_b32 v27, v35, v30, v27
	v_lshrrev_b32_e32 v30, 16, v27
.LBB694_282:
	s_or_b64 exec, exec, s[22:23]
.LBB694_283:
	s_or_b64 exec, exec, s[20:21]
	v_mov_b32_e32 v27, v30
.LBB694_284:
	s_or_b64 exec, exec, s[10:11]
	v_lshrrev_b16_e32 v30, 8, v26
	v_cmp_ne_u16_e64 s[2:3], 0, v30
	v_mov_b32_e32 v36, 0
	v_mov_b32_e32 v35, 0
	s_and_saveexec_b64 s[10:11], s[2:3]
	s_cbranch_execz .LBB694_290
; %bb.285:
	s_movk_i32 s2, 0x80
	v_cmp_ne_u16_e64 s[2:3], s2, v30
	v_mov_b32_e32 v35, 0xffff8000
	s_and_saveexec_b64 s[20:21], s[2:3]
	s_cbranch_execz .LBB694_289
; %bb.286:
	s_movk_i32 s2, 0x7f
	v_and_b32_e32 v37, 0x7f, v30
	v_cmp_ne_u32_e64 s[2:3], s2, v37
	v_mov_b32_e32 v35, 0x7f80
	s_and_saveexec_b64 s[22:23], s[2:3]
	s_cbranch_execz .LBB694_288
; %bb.287:
	v_and_b32_e32 v35, 7, v30
	v_ffbh_u32_e32 v38, v35
	v_min_u32_e32 v41, 32, v38
	v_subrev_u32_e32 v38, 28, v41
	v_lshlrev_b64 v[38:39], v38, v[30:31]
	v_lshrrev_b32_e32 v40, 3, v37
	v_sub_u32_e32 v30, 29, v41
	v_and_b32_e32 v38, 7, v38
	v_cmp_gt_u32_e64 s[2:3], 8, v37
	v_cndmask_b32_e64 v30, v40, v30, s[2:3]
	v_cndmask_b32_e64 v35, v35, v38, s[2:3]
	v_lshlrev_b32_e32 v26, 16, v26
	v_bfrev_b32_e32 v37, 60
	v_lshlrev_b32_e32 v35, 20, v35
	v_and_b32_e32 v26, 0x80000000, v26
	v_lshl_add_u32 v30, v30, 23, v37
	v_or3_b32 v26, v26, v30, v35
	v_lshrrev_b32_e32 v35, 16, v26
.LBB694_288:
	s_or_b64 exec, exec, s[22:23]
.LBB694_289:
	s_or_b64 exec, exec, s[20:21]
.LBB694_290:
	s_or_b64 exec, exec, s[10:11]
	s_movk_i32 s2, 0xff
	v_and_b32_sdwa v30, v29, s2 dst_sel:DWORD dst_unused:UNUSED_PAD src0_sel:WORD_1 src1_sel:DWORD
	v_lshrrev_b32_e32 v26, 16, v29
	v_cmp_ne_u16_e64 s[2:3], 0, v30
	s_and_saveexec_b64 s[10:11], s[2:3]
	s_cbranch_execz .LBB694_296
; %bb.291:
	s_movk_i32 s2, 0x80
	v_cmp_ne_u16_e64 s[2:3], s2, v30
	v_mov_b32_e32 v36, 0xffff8000
	s_and_saveexec_b64 s[20:21], s[2:3]
	s_cbranch_execz .LBB694_295
; %bb.292:
	v_bfe_u32 v30, v29, 16, 7
	s_movk_i32 s2, 0x7f
	v_cmp_ne_u32_e64 s[2:3], s2, v30
	v_mov_b32_e32 v36, 0x7f80
	s_and_saveexec_b64 s[22:23], s[2:3]
	s_cbranch_execz .LBB694_294
; %bb.293:
	v_and_b32_e32 v38, 7, v26
	v_ffbh_u32_e32 v36, v38
	v_min_u32_e32 v40, 32, v36
	v_subrev_u32_e32 v36, 28, v40
	v_lshlrev_b64 v[36:37], v36, v[26:27]
	v_and_b32_e32 v36, 7, v36
	v_cmp_gt_u32_e64 s[2:3], 8, v30
	v_lshrrev_b32_e32 v39, 3, v30
	v_sub_u32_e32 v26, 29, v40
	v_cndmask_b32_e64 v30, v38, v36, s[2:3]
	v_mov_b32_e32 v36, 24
	v_cndmask_b32_e64 v26, v39, v26, s[2:3]
	v_lshlrev_b32_sdwa v36, v36, v29 dst_sel:DWORD dst_unused:UNUSED_PAD src0_sel:DWORD src1_sel:WORD_1
	v_bfrev_b32_e32 v37, 60
	v_lshlrev_b32_e32 v30, 20, v30
	v_and_b32_e32 v36, 0x80000000, v36
	v_lshl_add_u32 v26, v26, 23, v37
	v_or3_b32 v26, v36, v26, v30
	v_lshrrev_b32_e32 v36, 16, v26
.LBB694_294:
	s_or_b64 exec, exec, s[22:23]
.LBB694_295:
	s_or_b64 exec, exec, s[20:21]
.LBB694_296:
	s_or_b64 exec, exec, s[10:11]
	s_mov_b32 s2, -1
	s_mov_b32 s3, 0xffffff
	v_cmp_lt_u64_e64 s[2:3], s[2:3], v[28:29]
	v_mov_b32_e32 v30, 0
	v_mov_b32_e32 v28, 0
	s_and_saveexec_b64 s[10:11], s[2:3]
	s_cbranch_execz .LBB694_302
; %bb.297:
	v_lshrrev_b32_e32 v26, 24, v29
	s_movk_i32 s2, 0x80
	v_cmp_ne_u32_e64 s[2:3], s2, v26
	v_mov_b32_e32 v28, 0xffff8000
	s_and_saveexec_b64 s[20:21], s[2:3]
	s_cbranch_execz .LBB694_301
; %bb.298:
	v_bfe_u32 v29, v29, 24, 7
	s_movk_i32 s2, 0x7f
	v_cmp_ne_u32_e64 s[2:3], s2, v29
	v_mov_b32_e32 v28, 0x7f80
	s_and_saveexec_b64 s[22:23], s[2:3]
	s_cbranch_execz .LBB694_300
; %bb.299:
	v_and_b32_e32 v28, 7, v26
	v_ffbh_u32_e32 v38, v28
	v_min_u32_e32 v40, 32, v38
	v_subrev_u32_e32 v38, 28, v40
	v_lshlrev_b64 v[38:39], v38, v[26:27]
	v_lshrrev_b32_e32 v37, 3, v29
	v_sub_u32_e32 v39, 29, v40
	v_and_b32_e32 v38, 7, v38
	v_cmp_gt_u32_e64 s[2:3], 8, v29
	v_cndmask_b32_e64 v29, v37, v39, s[2:3]
	v_cndmask_b32_e64 v28, v28, v38, s[2:3]
	v_lshlrev_b32_e32 v26, 24, v26
	v_bfrev_b32_e32 v37, 60
	v_lshlrev_b32_e32 v28, 20, v28
	v_and_b32_e32 v26, 0x80000000, v26
	v_lshl_add_u32 v29, v29, 23, v37
	v_or3_b32 v26, v26, v29, v28
	v_lshrrev_b32_e32 v28, 16, v26
.LBB694_300:
	s_or_b64 exec, exec, s[22:23]
.LBB694_301:
	s_or_b64 exec, exec, s[20:21]
.LBB694_302:
	s_or_b64 exec, exec, s[10:11]
	s_mov_b32 s2, 0x5040100
	v_perm_b32 v33, v34, v33, s2
	v_perm_b32 v32, v31, v32, s2
	;; [unrolled: 1-line block ×4, first 2 shown]
	v_mfma_f32_4x4x4bf16_1k a[0:3], v[18:19], v[32:33], a[0:3] cbsz:4 abid:5
	s_waitcnt vmcnt(4)
	v_cmp_ne_u16_sdwa s[2:3], v22, v30 src0_sel:BYTE_0 src1_sel:DWORD
	v_mfma_f32_4x4x4bf16_1k a[0:3], v[20:21], v[28:29], a[0:3] cbsz:4 abid:5
	s_and_saveexec_b64 s[10:11], s[2:3]
	s_cbranch_execz .LBB694_308
; %bb.303:
	s_movk_i32 s2, 0x80
	v_cmp_ne_u16_sdwa s[2:3], v22, s2 src0_sel:BYTE_0 src1_sel:DWORD
	v_mov_b32_e32 v30, 0xffff8000
	s_and_saveexec_b64 s[20:21], s[2:3]
	s_cbranch_execz .LBB694_307
; %bb.304:
	s_movk_i32 s2, 0x7f
	v_and_b32_e32 v26, 0x7f, v22
	v_cmp_ne_u32_e64 s[2:3], s2, v26
	v_mov_b32_e32 v30, 0x7f80
	s_and_saveexec_b64 s[22:23], s[2:3]
	s_cbranch_execz .LBB694_306
; %bb.305:
	v_and_b32_e32 v27, 7, v22
	v_ffbh_u32_e32 v27, v27
	v_min_u32_e32 v27, 32, v27
	v_subrev_u32_e32 v29, 28, v27
	v_cmp_gt_u32_e64 s[2:3], 8, v26
	v_lshrrev_b32_e32 v28, 3, v26
	v_sub_u32_e32 v27, 29, v27
	v_cndmask_b32_e64 v26, 0, v29, s[2:3]
	v_cndmask_b32_e64 v28, v28, v27, s[2:3]
	v_lshlrev_b64 v[26:27], v26, v[22:23]
	v_lshlrev_b32_e32 v26, 20, v26
	v_lshlrev_b32_e32 v27, 24, v22
	v_bfrev_b32_e32 v29, 60
	v_and_b32_e32 v26, 0x700000, v26
	v_and_b32_e32 v27, 0x80000000, v27
	v_lshl_add_u32 v28, v28, 23, v29
	v_or3_b32 v26, v27, v28, v26
	v_lshrrev_b32_e32 v30, 16, v26
.LBB694_306:
	s_or_b64 exec, exec, s[22:23]
.LBB694_307:
	s_or_b64 exec, exec, s[20:21]
.LBB694_308:
	s_or_b64 exec, exec, s[10:11]
	v_lshrrev_b16_e32 v26, 8, v22
	v_cmp_ne_u16_e64 s[2:3], 0, v26
	v_mov_b32_e32 v31, 0
	v_mov_b32_e32 v29, 0
	s_and_saveexec_b64 s[10:11], s[2:3]
	s_cbranch_execz .LBB694_314
; %bb.309:
	s_movk_i32 s2, 0x80
	v_cmp_ne_u16_e64 s[2:3], s2, v26
	v_mov_b32_e32 v29, 0xffff8000
	s_and_saveexec_b64 s[20:21], s[2:3]
	s_cbranch_execz .LBB694_313
; %bb.310:
	s_movk_i32 s2, 0x7f
	v_and_b32_e32 v27, 0x7f, v26
	v_cmp_ne_u32_e64 s[2:3], s2, v27
	v_mov_b32_e32 v29, 0x7f80
	s_and_saveexec_b64 s[22:23], s[2:3]
	s_cbranch_execz .LBB694_312
; %bb.311:
	v_and_b32_e32 v32, 7, v26
	v_ffbh_u32_e32 v28, v32
	v_min_u32_e32 v34, 32, v28
	v_subrev_u32_e32 v28, 28, v34
	v_lshlrev_b64 v[28:29], v28, v[26:27]
	v_lshrrev_b32_e32 v33, 3, v27
	v_sub_u32_e32 v26, 29, v34
	v_and_b32_e32 v28, 7, v28
	v_cmp_gt_u32_e64 s[2:3], 8, v27
	v_cndmask_b32_e64 v26, v33, v26, s[2:3]
	v_cndmask_b32_e64 v27, v32, v28, s[2:3]
	v_lshlrev_b32_e32 v28, 16, v22
	v_bfrev_b32_e32 v29, 60
	v_lshlrev_b32_e32 v27, 20, v27
	v_and_b32_e32 v28, 0x80000000, v28
	v_lshl_add_u32 v26, v26, 23, v29
	v_or3_b32 v26, v28, v26, v27
	v_lshrrev_b32_e32 v29, 16, v26
.LBB694_312:
	s_or_b64 exec, exec, s[22:23]
.LBB694_313:
	s_or_b64 exec, exec, s[20:21]
.LBB694_314:
	s_or_b64 exec, exec, s[10:11]
	s_movk_i32 s2, 0xff
	v_and_b32_sdwa v27, v22, s2 dst_sel:DWORD dst_unused:UNUSED_PAD src0_sel:WORD_1 src1_sel:DWORD
	v_lshrrev_b32_e32 v26, 16, v22
	v_cmp_ne_u16_e64 s[2:3], 0, v27
	s_and_saveexec_b64 s[10:11], s[2:3]
	s_cbranch_execz .LBB694_320
; %bb.315:
	s_movk_i32 s2, 0x80
	v_cmp_ne_u16_e64 s[2:3], s2, v27
	v_mov_b32_e32 v31, 0xffff8000
	s_and_saveexec_b64 s[20:21], s[2:3]
	s_cbranch_execz .LBB694_319
; %bb.316:
	v_bfe_u32 v27, v22, 16, 7
	s_movk_i32 s2, 0x7f
	v_cmp_ne_u32_e64 s[2:3], s2, v27
	v_mov_b32_e32 v31, 0x7f80
	s_and_saveexec_b64 s[22:23], s[2:3]
	s_cbranch_execz .LBB694_318
; %bb.317:
	v_and_b32_e32 v28, 7, v26
	v_ffbh_u32_e32 v32, v28
	v_min_u32_e32 v34, 32, v32
	v_subrev_u32_e32 v32, 28, v34
	v_lshlrev_b64 v[32:33], v32, v[26:27]
	v_and_b32_e32 v32, 7, v32
	v_cmp_gt_u32_e64 s[2:3], 8, v27
	v_lshrrev_b32_e32 v31, 3, v27
	v_sub_u32_e32 v26, 29, v34
	v_cndmask_b32_e64 v27, v28, v32, s[2:3]
	v_mov_b32_e32 v28, 24
	v_cndmask_b32_e64 v26, v31, v26, s[2:3]
	v_lshlrev_b32_sdwa v28, v28, v22 dst_sel:DWORD dst_unused:UNUSED_PAD src0_sel:DWORD src1_sel:WORD_1
	v_bfrev_b32_e32 v31, 60
	v_lshlrev_b32_e32 v27, 20, v27
	v_and_b32_e32 v28, 0x80000000, v28
	v_lshl_add_u32 v26, v26, 23, v31
	v_or3_b32 v26, v28, v26, v27
	v_lshrrev_b32_e32 v31, 16, v26
.LBB694_318:
	s_or_b64 exec, exec, s[22:23]
.LBB694_319:
	s_or_b64 exec, exec, s[20:21]
.LBB694_320:
	s_or_b64 exec, exec, s[10:11]
	s_mov_b32 s2, 0xffffff
	v_cmp_lt_u32_e64 s[2:3], s2, v22
	v_mov_b32_e32 v27, 0
	v_mov_b32_e32 v32, 0
	s_and_saveexec_b64 s[10:11], s[2:3]
	s_cbranch_execz .LBB694_326
; %bb.321:
	v_lshrrev_b32_e32 v26, 24, v22
	s_movk_i32 s2, 0x80
	v_cmp_ne_u32_e64 s[2:3], s2, v26
	v_mov_b32_e32 v32, 0xffff8000
	s_and_saveexec_b64 s[20:21], s[2:3]
	s_cbranch_execz .LBB694_325
; %bb.322:
	v_bfe_u32 v28, v22, 24, 7
	s_movk_i32 s2, 0x7f
	v_cmp_ne_u32_e64 s[2:3], s2, v28
	v_mov_b32_e32 v32, 0x7f80
	s_and_saveexec_b64 s[22:23], s[2:3]
	s_cbranch_execz .LBB694_324
; %bb.323:
	v_and_b32_e32 v34, 7, v26
	v_ffbh_u32_e32 v32, v34
	v_min_u32_e32 v36, 32, v32
	v_subrev_u32_e32 v32, 28, v36
	v_lshlrev_b64 v[32:33], v32, v[26:27]
	v_lshrrev_b32_e32 v35, 3, v28
	v_sub_u32_e32 v33, 29, v36
	v_and_b32_e32 v32, 7, v32
	v_cmp_gt_u32_e64 s[2:3], 8, v28
	v_cndmask_b32_e64 v28, v35, v33, s[2:3]
	v_cndmask_b32_e64 v32, v34, v32, s[2:3]
	v_lshlrev_b32_e32 v26, 24, v26
	v_bfrev_b32_e32 v33, 60
	v_lshlrev_b32_e32 v32, 20, v32
	v_and_b32_e32 v26, 0x80000000, v26
	v_lshl_add_u32 v28, v28, 23, v33
	v_or3_b32 v26, v26, v28, v32
	v_lshrrev_b32_e32 v32, 16, v26
.LBB694_324:
	s_or_b64 exec, exec, s[22:23]
.LBB694_325:
	s_or_b64 exec, exec, s[20:21]
.LBB694_326:
	s_or_b64 exec, exec, s[10:11]
	v_mov_b32_e32 v26, v23
	v_cmp_ne_u16_sdwa s[2:3], v23, v27 src0_sel:BYTE_0 src1_sel:DWORD
	s_and_saveexec_b64 s[10:11], s[2:3]
	s_cbranch_execz .LBB694_332
; %bb.327:
	s_movk_i32 s2, 0x80
	v_cmp_ne_u16_sdwa s[2:3], v23, s2 src0_sel:BYTE_0 src1_sel:DWORD
	v_mov_b32_e32 v28, 0xffff8000
	s_and_saveexec_b64 s[20:21], s[2:3]
	s_cbranch_execz .LBB694_331
; %bb.328:
	s_movk_i32 s2, 0x7f
	v_and_b32_e32 v33, 0x7f, v23
	v_cmp_ne_u32_e64 s[2:3], s2, v33
	v_mov_b32_e32 v28, 0x7f80
	s_and_saveexec_b64 s[22:23], s[2:3]
	s_cbranch_execz .LBB694_330
; %bb.329:
	v_and_b32_e32 v28, 7, v23
	v_ffbh_u32_e32 v28, v28
	v_min_u32_e32 v28, 32, v28
	v_subrev_u32_e32 v35, 28, v28
	v_cmp_gt_u32_e64 s[2:3], 8, v33
	v_lshrrev_b32_e32 v34, 3, v33
	v_sub_u32_e32 v28, 29, v28
	v_cndmask_b32_e64 v33, 0, v35, s[2:3]
	v_cndmask_b32_e64 v28, v34, v28, s[2:3]
	v_lshlrev_b64 v[34:35], v33, v[26:27]
	v_lshlrev_b32_e32 v27, 20, v34
	v_lshlrev_b32_e32 v33, 24, v26
	v_bfrev_b32_e32 v34, 60
	v_and_b32_e32 v27, 0x700000, v27
	v_and_b32_e32 v33, 0x80000000, v33
	v_lshl_add_u32 v28, v28, 23, v34
	v_or3_b32 v27, v33, v28, v27
	v_lshrrev_b32_e32 v28, 16, v27
.LBB694_330:
	s_or_b64 exec, exec, s[22:23]
.LBB694_331:
	s_or_b64 exec, exec, s[20:21]
	v_mov_b32_e32 v27, v28
.LBB694_332:
	s_or_b64 exec, exec, s[10:11]
	v_lshrrev_b16_e32 v28, 8, v26
	v_cmp_ne_u16_e64 s[2:3], 0, v28
	v_mov_b32_e32 v34, 0
	v_mov_b32_e32 v33, 0
	s_and_saveexec_b64 s[10:11], s[2:3]
	s_cbranch_execz .LBB694_338
; %bb.333:
	s_movk_i32 s2, 0x80
	v_cmp_ne_u16_e64 s[2:3], s2, v28
	v_mov_b32_e32 v33, 0xffff8000
	s_and_saveexec_b64 s[20:21], s[2:3]
	s_cbranch_execz .LBB694_337
; %bb.334:
	s_movk_i32 s2, 0x7f
	v_and_b32_e32 v35, 0x7f, v28
	v_cmp_ne_u32_e64 s[2:3], s2, v35
	v_mov_b32_e32 v33, 0x7f80
	s_and_saveexec_b64 s[22:23], s[2:3]
	s_cbranch_execz .LBB694_336
; %bb.335:
	v_and_b32_e32 v33, 7, v28
	v_ffbh_u32_e32 v36, v33
	v_min_u32_e32 v39, 32, v36
	v_subrev_u32_e32 v36, 28, v39
	v_lshlrev_b64 v[36:37], v36, v[28:29]
	v_lshrrev_b32_e32 v38, 3, v35
	v_sub_u32_e32 v28, 29, v39
	v_and_b32_e32 v36, 7, v36
	v_cmp_gt_u32_e64 s[2:3], 8, v35
	v_cndmask_b32_e64 v28, v38, v28, s[2:3]
	v_cndmask_b32_e64 v33, v33, v36, s[2:3]
	v_lshlrev_b32_e32 v26, 16, v26
	v_bfrev_b32_e32 v35, 60
	v_lshlrev_b32_e32 v33, 20, v33
	v_and_b32_e32 v26, 0x80000000, v26
	v_lshl_add_u32 v28, v28, 23, v35
	v_or3_b32 v26, v26, v28, v33
	v_lshrrev_b32_e32 v33, 16, v26
.LBB694_336:
	s_or_b64 exec, exec, s[22:23]
.LBB694_337:
	s_or_b64 exec, exec, s[20:21]
.LBB694_338:
	s_or_b64 exec, exec, s[10:11]
	s_movk_i32 s2, 0xff
	v_and_b32_sdwa v28, v23, s2 dst_sel:DWORD dst_unused:UNUSED_PAD src0_sel:WORD_1 src1_sel:DWORD
	v_lshrrev_b32_e32 v26, 16, v23
	v_cmp_ne_u16_e64 s[2:3], 0, v28
	s_and_saveexec_b64 s[10:11], s[2:3]
	s_cbranch_execz .LBB694_344
; %bb.339:
	s_movk_i32 s2, 0x80
	v_cmp_ne_u16_e64 s[2:3], s2, v28
	v_mov_b32_e32 v34, 0xffff8000
	s_and_saveexec_b64 s[20:21], s[2:3]
	s_cbranch_execz .LBB694_343
; %bb.340:
	v_bfe_u32 v28, v23, 16, 7
	s_movk_i32 s2, 0x7f
	v_cmp_ne_u32_e64 s[2:3], s2, v28
	v_mov_b32_e32 v34, 0x7f80
	s_and_saveexec_b64 s[22:23], s[2:3]
	s_cbranch_execz .LBB694_342
; %bb.341:
	v_and_b32_e32 v36, 7, v26
	v_ffbh_u32_e32 v34, v36
	v_min_u32_e32 v38, 32, v34
	v_subrev_u32_e32 v34, 28, v38
	v_lshlrev_b64 v[34:35], v34, v[26:27]
	v_and_b32_e32 v34, 7, v34
	v_cmp_gt_u32_e64 s[2:3], 8, v28
	v_lshrrev_b32_e32 v37, 3, v28
	v_sub_u32_e32 v26, 29, v38
	v_cndmask_b32_e64 v28, v36, v34, s[2:3]
	v_mov_b32_e32 v34, 24
	v_cndmask_b32_e64 v26, v37, v26, s[2:3]
	v_lshlrev_b32_sdwa v34, v34, v23 dst_sel:DWORD dst_unused:UNUSED_PAD src0_sel:DWORD src1_sel:WORD_1
	v_bfrev_b32_e32 v35, 60
	v_lshlrev_b32_e32 v28, 20, v28
	v_and_b32_e32 v34, 0x80000000, v34
	v_lshl_add_u32 v26, v26, 23, v35
	v_or3_b32 v26, v34, v26, v28
	v_lshrrev_b32_e32 v34, 16, v26
.LBB694_342:
	s_or_b64 exec, exec, s[22:23]
.LBB694_343:
	s_or_b64 exec, exec, s[20:21]
.LBB694_344:
	s_or_b64 exec, exec, s[10:11]
	s_mov_b32 s2, -1
	s_mov_b32 s3, 0xffffff
	v_cmp_lt_u64_e64 s[2:3], s[2:3], v[22:23]
	v_mov_b32_e32 v28, 0
	v_mov_b32_e32 v26, 0
	s_and_saveexec_b64 s[10:11], s[2:3]
	s_cbranch_execz .LBB694_350
; %bb.345:
	v_lshrrev_b32_e32 v22, 24, v23
	s_movk_i32 s2, 0x80
	v_cmp_ne_u32_e64 s[2:3], s2, v22
	v_mov_b32_e32 v26, 0xffff8000
	s_and_saveexec_b64 s[20:21], s[2:3]
	s_cbranch_execz .LBB694_349
; %bb.346:
	v_bfe_u32 v23, v23, 24, 7
	s_movk_i32 s2, 0x7f
	v_cmp_ne_u32_e64 s[2:3], s2, v23
	v_mov_b32_e32 v26, 0x7f80
	s_and_saveexec_b64 s[22:23], s[2:3]
	s_cbranch_execz .LBB694_348
; %bb.347:
	v_and_b32_e32 v26, 7, v22
	v_ffbh_u32_e32 v36, v26
	v_min_u32_e32 v38, 32, v36
	v_subrev_u32_e32 v36, 28, v38
	v_lshlrev_b64 v[36:37], v36, v[22:23]
	v_lshrrev_b32_e32 v35, 3, v23
	v_sub_u32_e32 v37, 29, v38
	v_and_b32_e32 v36, 7, v36
	v_cmp_gt_u32_e64 s[2:3], 8, v23
	v_cndmask_b32_e64 v23, v35, v37, s[2:3]
	v_cndmask_b32_e64 v26, v26, v36, s[2:3]
	v_lshlrev_b32_e32 v22, 24, v22
	v_bfrev_b32_e32 v35, 60
	v_lshlrev_b32_e32 v26, 20, v26
	v_and_b32_e32 v22, 0x80000000, v22
	v_lshl_add_u32 v23, v23, 23, v35
	v_or3_b32 v22, v22, v23, v26
	v_lshrrev_b32_e32 v26, 16, v22
.LBB694_348:
	s_or_b64 exec, exec, s[22:23]
.LBB694_349:
	s_or_b64 exec, exec, s[20:21]
.LBB694_350:
	s_or_b64 exec, exec, s[10:11]
	s_mov_b32 s2, 0x5040100
	v_perm_b32 v23, v32, v31, s2
	v_perm_b32 v22, v29, v30, s2
	;; [unrolled: 1-line block ×4, first 2 shown]
	v_mfma_f32_4x4x4bf16_1k a[0:3], v[18:19], v[22:23], a[0:3] cbsz:4 abid:6
	v_cmp_ne_u16_sdwa s[2:3], v24, v28 src0_sel:BYTE_0 src1_sel:DWORD
	v_mfma_f32_4x4x4bf16_1k a[0:3], v[20:21], v[30:31], a[0:3] cbsz:4 abid:6
	s_and_saveexec_b64 s[10:11], s[2:3]
	s_cbranch_execz .LBB694_356
; %bb.351:
	s_movk_i32 s2, 0x80
	v_cmp_ne_u16_sdwa s[2:3], v24, s2 src0_sel:BYTE_0 src1_sel:DWORD
	v_mov_b32_e32 v28, 0xffff8000
	s_and_saveexec_b64 s[20:21], s[2:3]
	s_cbranch_execz .LBB694_355
; %bb.352:
	s_movk_i32 s2, 0x7f
	v_and_b32_e32 v22, 0x7f, v24
	v_cmp_ne_u32_e64 s[2:3], s2, v22
	v_mov_b32_e32 v28, 0x7f80
	s_and_saveexec_b64 s[22:23], s[2:3]
	s_cbranch_execz .LBB694_354
; %bb.353:
	v_and_b32_e32 v23, 7, v24
	v_ffbh_u32_e32 v23, v23
	v_min_u32_e32 v23, 32, v23
	v_subrev_u32_e32 v27, 28, v23
	v_cmp_gt_u32_e64 s[2:3], 8, v22
	v_lshrrev_b32_e32 v26, 3, v22
	v_sub_u32_e32 v23, 29, v23
	v_cndmask_b32_e64 v22, 0, v27, s[2:3]
	v_cndmask_b32_e64 v26, v26, v23, s[2:3]
	v_lshlrev_b64 v[22:23], v22, v[24:25]
	v_lshlrev_b32_e32 v22, 20, v22
	v_lshlrev_b32_e32 v23, 24, v24
	v_bfrev_b32_e32 v27, 60
	v_and_b32_e32 v22, 0x700000, v22
	v_and_b32_e32 v23, 0x80000000, v23
	v_lshl_add_u32 v26, v26, 23, v27
	v_or3_b32 v22, v23, v26, v22
	v_lshrrev_b32_e32 v28, 16, v22
.LBB694_354:
	s_or_b64 exec, exec, s[22:23]
.LBB694_355:
	s_or_b64 exec, exec, s[20:21]
.LBB694_356:
	s_or_b64 exec, exec, s[10:11]
	v_lshrrev_b16_e32 v22, 8, v24
	v_cmp_ne_u16_e64 s[2:3], 0, v22
	v_mov_b32_e32 v29, 0
	v_mov_b32_e32 v27, 0
	s_and_saveexec_b64 s[10:11], s[2:3]
	s_cbranch_execz .LBB694_362
; %bb.357:
	s_movk_i32 s2, 0x80
	v_cmp_ne_u16_e64 s[2:3], s2, v22
	v_mov_b32_e32 v27, 0xffff8000
	s_and_saveexec_b64 s[20:21], s[2:3]
	s_cbranch_execz .LBB694_361
; %bb.358:
	s_movk_i32 s2, 0x7f
	v_and_b32_e32 v23, 0x7f, v22
	v_cmp_ne_u32_e64 s[2:3], s2, v23
	v_mov_b32_e32 v27, 0x7f80
	s_and_saveexec_b64 s[22:23], s[2:3]
	s_cbranch_execz .LBB694_360
; %bb.359:
	v_and_b32_e32 v30, 7, v22
	v_ffbh_u32_e32 v26, v30
	v_min_u32_e32 v32, 32, v26
	v_subrev_u32_e32 v26, 28, v32
	v_lshlrev_b64 v[26:27], v26, v[22:23]
	v_lshrrev_b32_e32 v31, 3, v23
	v_sub_u32_e32 v22, 29, v32
	v_and_b32_e32 v26, 7, v26
	v_cmp_gt_u32_e64 s[2:3], 8, v23
	v_cndmask_b32_e64 v22, v31, v22, s[2:3]
	v_cndmask_b32_e64 v23, v30, v26, s[2:3]
	v_lshlrev_b32_e32 v26, 16, v24
	v_bfrev_b32_e32 v27, 60
	v_lshlrev_b32_e32 v23, 20, v23
	v_and_b32_e32 v26, 0x80000000, v26
	v_lshl_add_u32 v22, v22, 23, v27
	v_or3_b32 v22, v26, v22, v23
	v_lshrrev_b32_e32 v27, 16, v22
.LBB694_360:
	s_or_b64 exec, exec, s[22:23]
.LBB694_361:
	s_or_b64 exec, exec, s[20:21]
.LBB694_362:
	s_or_b64 exec, exec, s[10:11]
	s_movk_i32 s2, 0xff
	v_and_b32_sdwa v23, v24, s2 dst_sel:DWORD dst_unused:UNUSED_PAD src0_sel:WORD_1 src1_sel:DWORD
	v_lshrrev_b32_e32 v22, 16, v24
	v_cmp_ne_u16_e64 s[2:3], 0, v23
	s_and_saveexec_b64 s[10:11], s[2:3]
	s_cbranch_execz .LBB694_368
; %bb.363:
	s_movk_i32 s2, 0x80
	v_cmp_ne_u16_e64 s[2:3], s2, v23
	v_mov_b32_e32 v29, 0xffff8000
	s_and_saveexec_b64 s[20:21], s[2:3]
	s_cbranch_execz .LBB694_367
; %bb.364:
	v_bfe_u32 v23, v24, 16, 7
	s_movk_i32 s2, 0x7f
	v_cmp_ne_u32_e64 s[2:3], s2, v23
	v_mov_b32_e32 v29, 0x7f80
	s_and_saveexec_b64 s[22:23], s[2:3]
	s_cbranch_execz .LBB694_366
; %bb.365:
	v_and_b32_e32 v26, 7, v22
	v_ffbh_u32_e32 v30, v26
	v_min_u32_e32 v32, 32, v30
	v_subrev_u32_e32 v30, 28, v32
	v_lshlrev_b64 v[30:31], v30, v[22:23]
	v_and_b32_e32 v30, 7, v30
	v_cmp_gt_u32_e64 s[2:3], 8, v23
	v_lshrrev_b32_e32 v29, 3, v23
	v_sub_u32_e32 v22, 29, v32
	v_cndmask_b32_e64 v23, v26, v30, s[2:3]
	v_mov_b32_e32 v26, 24
	v_cndmask_b32_e64 v22, v29, v22, s[2:3]
	v_lshlrev_b32_sdwa v26, v26, v24 dst_sel:DWORD dst_unused:UNUSED_PAD src0_sel:DWORD src1_sel:WORD_1
	v_bfrev_b32_e32 v29, 60
	v_lshlrev_b32_e32 v23, 20, v23
	v_and_b32_e32 v26, 0x80000000, v26
	v_lshl_add_u32 v22, v22, 23, v29
	v_or3_b32 v22, v26, v22, v23
	v_lshrrev_b32_e32 v29, 16, v22
.LBB694_366:
	s_or_b64 exec, exec, s[22:23]
.LBB694_367:
	s_or_b64 exec, exec, s[20:21]
.LBB694_368:
	s_or_b64 exec, exec, s[10:11]
	s_mov_b32 s2, 0xffffff
	v_cmp_lt_u32_e64 s[2:3], s2, v24
	v_mov_b32_e32 v23, 0
	v_mov_b32_e32 v30, 0
	s_and_saveexec_b64 s[10:11], s[2:3]
	s_cbranch_execz .LBB694_374
; %bb.369:
	v_lshrrev_b32_e32 v22, 24, v24
	s_movk_i32 s2, 0x80
	v_cmp_ne_u32_e64 s[2:3], s2, v22
	v_mov_b32_e32 v30, 0xffff8000
	s_and_saveexec_b64 s[20:21], s[2:3]
	s_cbranch_execz .LBB694_373
; %bb.370:
	v_bfe_u32 v26, v24, 24, 7
	s_movk_i32 s2, 0x7f
	v_cmp_ne_u32_e64 s[2:3], s2, v26
	v_mov_b32_e32 v30, 0x7f80
	s_and_saveexec_b64 s[22:23], s[2:3]
	s_cbranch_execz .LBB694_372
; %bb.371:
	v_and_b32_e32 v32, 7, v22
	v_ffbh_u32_e32 v30, v32
	v_min_u32_e32 v34, 32, v30
	v_subrev_u32_e32 v30, 28, v34
	v_lshlrev_b64 v[30:31], v30, v[22:23]
	v_lshrrev_b32_e32 v33, 3, v26
	v_sub_u32_e32 v31, 29, v34
	v_and_b32_e32 v30, 7, v30
	v_cmp_gt_u32_e64 s[2:3], 8, v26
	v_cndmask_b32_e64 v26, v33, v31, s[2:3]
	v_cndmask_b32_e64 v30, v32, v30, s[2:3]
	v_lshlrev_b32_e32 v22, 24, v22
	v_bfrev_b32_e32 v31, 60
	v_lshlrev_b32_e32 v30, 20, v30
	v_and_b32_e32 v22, 0x80000000, v22
	v_lshl_add_u32 v26, v26, 23, v31
	v_or3_b32 v22, v22, v26, v30
	v_lshrrev_b32_e32 v30, 16, v22
.LBB694_372:
	s_or_b64 exec, exec, s[22:23]
.LBB694_373:
	s_or_b64 exec, exec, s[20:21]
.LBB694_374:
	s_or_b64 exec, exec, s[10:11]
	v_mov_b32_e32 v22, v25
	v_cmp_ne_u16_sdwa s[2:3], v25, v23 src0_sel:BYTE_0 src1_sel:DWORD
	s_and_saveexec_b64 s[10:11], s[2:3]
	s_cbranch_execz .LBB694_380
; %bb.375:
	s_movk_i32 s2, 0x80
	v_cmp_ne_u16_sdwa s[2:3], v25, s2 src0_sel:BYTE_0 src1_sel:DWORD
	v_mov_b32_e32 v26, 0xffff8000
	s_and_saveexec_b64 s[20:21], s[2:3]
	s_cbranch_execz .LBB694_379
; %bb.376:
	s_movk_i32 s2, 0x7f
	v_and_b32_e32 v31, 0x7f, v25
	v_cmp_ne_u32_e64 s[2:3], s2, v31
	v_mov_b32_e32 v26, 0x7f80
	s_and_saveexec_b64 s[22:23], s[2:3]
	s_cbranch_execz .LBB694_378
; %bb.377:
	v_and_b32_e32 v26, 7, v25
	v_ffbh_u32_e32 v26, v26
	v_min_u32_e32 v26, 32, v26
	v_subrev_u32_e32 v33, 28, v26
	v_cmp_gt_u32_e64 s[2:3], 8, v31
	v_lshrrev_b32_e32 v32, 3, v31
	v_sub_u32_e32 v26, 29, v26
	v_cndmask_b32_e64 v31, 0, v33, s[2:3]
	v_cndmask_b32_e64 v26, v32, v26, s[2:3]
	v_lshlrev_b64 v[32:33], v31, v[22:23]
	v_lshlrev_b32_e32 v23, 20, v32
	v_lshlrev_b32_e32 v31, 24, v22
	v_bfrev_b32_e32 v32, 60
	v_and_b32_e32 v23, 0x700000, v23
	v_and_b32_e32 v31, 0x80000000, v31
	v_lshl_add_u32 v26, v26, 23, v32
	v_or3_b32 v23, v31, v26, v23
	v_lshrrev_b32_e32 v26, 16, v23
.LBB694_378:
	s_or_b64 exec, exec, s[22:23]
.LBB694_379:
	s_or_b64 exec, exec, s[20:21]
	v_mov_b32_e32 v23, v26
.LBB694_380:
	s_or_b64 exec, exec, s[10:11]
	v_lshrrev_b16_e32 v26, 8, v22
	v_cmp_ne_u16_e64 s[2:3], 0, v26
	v_mov_b32_e32 v32, 0
	v_mov_b32_e32 v31, 0
	s_and_saveexec_b64 s[10:11], s[2:3]
	s_cbranch_execz .LBB694_386
; %bb.381:
	s_movk_i32 s2, 0x80
	v_cmp_ne_u16_e64 s[2:3], s2, v26
	v_mov_b32_e32 v31, 0xffff8000
	s_and_saveexec_b64 s[20:21], s[2:3]
	s_cbranch_execz .LBB694_385
; %bb.382:
	s_movk_i32 s2, 0x7f
	v_and_b32_e32 v33, 0x7f, v26
	v_cmp_ne_u32_e64 s[2:3], s2, v33
	v_mov_b32_e32 v31, 0x7f80
	s_and_saveexec_b64 s[22:23], s[2:3]
	s_cbranch_execz .LBB694_384
; %bb.383:
	v_and_b32_e32 v31, 7, v26
	v_ffbh_u32_e32 v34, v31
	v_min_u32_e32 v37, 32, v34
	v_subrev_u32_e32 v34, 28, v37
	v_lshlrev_b64 v[34:35], v34, v[26:27]
	v_lshrrev_b32_e32 v36, 3, v33
	v_sub_u32_e32 v26, 29, v37
	v_and_b32_e32 v34, 7, v34
	v_cmp_gt_u32_e64 s[2:3], 8, v33
	v_cndmask_b32_e64 v26, v36, v26, s[2:3]
	v_cndmask_b32_e64 v31, v31, v34, s[2:3]
	v_lshlrev_b32_e32 v22, 16, v22
	v_bfrev_b32_e32 v33, 60
	v_lshlrev_b32_e32 v31, 20, v31
	v_and_b32_e32 v22, 0x80000000, v22
	v_lshl_add_u32 v26, v26, 23, v33
	v_or3_b32 v22, v22, v26, v31
	v_lshrrev_b32_e32 v31, 16, v22
.LBB694_384:
	s_or_b64 exec, exec, s[22:23]
.LBB694_385:
	s_or_b64 exec, exec, s[20:21]
.LBB694_386:
	s_or_b64 exec, exec, s[10:11]
	s_movk_i32 s2, 0xff
	v_and_b32_sdwa v26, v25, s2 dst_sel:DWORD dst_unused:UNUSED_PAD src0_sel:WORD_1 src1_sel:DWORD
	v_lshrrev_b32_e32 v22, 16, v25
	v_cmp_ne_u16_e64 s[2:3], 0, v26
	s_and_saveexec_b64 s[10:11], s[2:3]
	s_cbranch_execz .LBB694_392
; %bb.387:
	s_movk_i32 s2, 0x80
	v_cmp_ne_u16_e64 s[2:3], s2, v26
	v_mov_b32_e32 v32, 0xffff8000
	s_and_saveexec_b64 s[20:21], s[2:3]
	s_cbranch_execz .LBB694_391
; %bb.388:
	v_bfe_u32 v26, v25, 16, 7
	s_movk_i32 s2, 0x7f
	v_cmp_ne_u32_e64 s[2:3], s2, v26
	v_mov_b32_e32 v32, 0x7f80
	s_and_saveexec_b64 s[22:23], s[2:3]
	s_cbranch_execz .LBB694_390
; %bb.389:
	v_and_b32_e32 v34, 7, v22
	v_ffbh_u32_e32 v32, v34
	v_min_u32_e32 v36, 32, v32
	v_subrev_u32_e32 v32, 28, v36
	v_lshlrev_b64 v[32:33], v32, v[22:23]
	v_and_b32_e32 v32, 7, v32
	v_cmp_gt_u32_e64 s[2:3], 8, v26
	v_lshrrev_b32_e32 v35, 3, v26
	v_sub_u32_e32 v22, 29, v36
	v_cndmask_b32_e64 v26, v34, v32, s[2:3]
	v_mov_b32_e32 v32, 24
	v_cndmask_b32_e64 v22, v35, v22, s[2:3]
	v_lshlrev_b32_sdwa v32, v32, v25 dst_sel:DWORD dst_unused:UNUSED_PAD src0_sel:DWORD src1_sel:WORD_1
	v_bfrev_b32_e32 v33, 60
	v_lshlrev_b32_e32 v26, 20, v26
	v_and_b32_e32 v32, 0x80000000, v32
	v_lshl_add_u32 v22, v22, 23, v33
	v_or3_b32 v22, v32, v22, v26
	v_lshrrev_b32_e32 v32, 16, v22
.LBB694_390:
	s_or_b64 exec, exec, s[22:23]
.LBB694_391:
	s_or_b64 exec, exec, s[20:21]
.LBB694_392:
	s_or_b64 exec, exec, s[10:11]
	s_mov_b32 s2, -1
	s_mov_b32 s3, 0xffffff
	v_cmp_lt_u64_e64 s[2:3], s[2:3], v[24:25]
	v_mov_b32_e32 v24, 0
	s_and_saveexec_b64 s[10:11], s[2:3]
	s_cbranch_execz .LBB694_398
; %bb.393:
	v_lshrrev_b32_e32 v22, 24, v25
	s_movk_i32 s2, 0x80
	v_cmp_ne_u32_e64 s[2:3], s2, v22
	v_mov_b32_e32 v24, 0xffff8000
	s_and_saveexec_b64 s[20:21], s[2:3]
	s_cbranch_execz .LBB694_397
; %bb.394:
	v_bfe_u32 v25, v25, 24, 7
	s_movk_i32 s2, 0x7f
	v_cmp_ne_u32_e64 s[2:3], s2, v25
	v_mov_b32_e32 v24, 0x7f80
	s_and_saveexec_b64 s[22:23], s[2:3]
	s_cbranch_execz .LBB694_396
; %bb.395:
	v_and_b32_e32 v24, 7, v22
	v_ffbh_u32_e32 v33, v24
	v_min_u32_e32 v33, 32, v33
	v_subrev_u32_e32 v34, 28, v33
	v_lshlrev_b64 v[34:35], v34, v[22:23]
	v_lshrrev_b32_e32 v26, 3, v25
	v_sub_u32_e32 v33, 29, v33
	v_and_b32_e32 v34, 7, v34
	v_cmp_gt_u32_e64 s[2:3], 8, v25
	v_cndmask_b32_e64 v25, v26, v33, s[2:3]
	v_cndmask_b32_e64 v24, v24, v34, s[2:3]
	v_lshlrev_b32_e32 v22, 24, v22
	v_bfrev_b32_e32 v26, 60
	v_lshlrev_b32_e32 v24, 20, v24
	v_and_b32_e32 v22, 0x80000000, v22
	v_lshl_add_u32 v25, v25, 23, v26
	v_or3_b32 v22, v22, v25, v24
	v_lshrrev_b32_e32 v24, 16, v22
.LBB694_396:
	s_or_b64 exec, exec, s[22:23]
.LBB694_397:
	s_or_b64 exec, exec, s[20:21]
.LBB694_398:
	s_or_b64 exec, exec, s[10:11]
	s_mov_b32 s3, 0x5040100
	s_load_dword s2, s[4:5], 0x1c
	v_perm_b32 v29, v30, v29, s3
	v_perm_b32 v28, v27, v28, s3
	s_load_dword s4, s[12:13], 0x0
	v_perm_b32 v25, v24, v32, s3
	v_mfma_f32_4x4x4bf16_1k a[0:3], v[18:19], v[28:29], a[0:3] cbsz:4 abid:7
	v_perm_b32 v24, v31, v23, s3
	s_waitcnt lgkmcnt(0)
	v_mov_b32_e32 v18, s2
	v_mul_f32_e32 v18, s4, v18
	v_mfma_f32_4x4x4bf16_1k a[0:3], v[20:21], v[24:25], a[0:3] cbsz:4 abid:7
	s_nop 4
	v_accvgpr_read_b32 v21, a1
	v_accvgpr_read_b32 v20, a0
	v_pk_mul_f32 v[20:21], v[20:21], v[18:19] op_sel_hi:[1,0]
	v_accvgpr_read_b32 v23, a3
	v_accvgpr_read_b32 v22, a2
	v_pk_mul_f32 v[18:19], v[22:23], v[18:19] op_sel_hi:[1,0]
	v_cndmask_b32_e64 v22, 0, 1.0, vcc
	v_cmp_eq_u32_e32 vcc, 1, v43
	s_nop 0
	v_mfma_f32_4x4x1f32 a[0:3], v20, v22, 0
	v_cndmask_b32_e64 v20, 0, 1.0, vcc
	v_cmp_eq_u32_e32 vcc, 2, v43
	v_mov_b32_e32 v22, 0xff7fffff
	v_mfma_f32_4x4x1f32 a[0:3], v21, v20, a[0:3]
	v_cndmask_b32_e64 v20, 0, 1.0, vcc
	v_cmp_eq_u32_e32 vcc, 3, v43
	s_nop 0
	v_mfma_f32_4x4x1f32 a[0:3], v18, v20, a[0:3]
	v_cndmask_b32_e64 v18, 0, 1.0, vcc
	s_nop 1
	v_mfma_f32_4x4x1f32 a[0:3], v19, v18, a[0:3]
	v_and_b32_e32 v18, -4, v44
	v_cmp_gt_i32_e32 vcc, s7, v18
	v_lshlrev_b32_e32 v19, 2, v0
	v_and_or_b32 v19, v19, 48, v43
	v_lshlrev_b32_e32 v26, 2, v19
	v_accvgpr_read_b32 v20, a0
	v_max_f32_e32 v21, v20, v20
	v_max_f32_e32 v21, 0xff7fffff, v21
	v_accvgpr_read_b32 v23, a1
	v_cndmask_b32_e32 v21, v22, v21, vcc
	v_or_b32_e32 v22, 1, v18
	v_max_f32_e32 v24, v23, v23
	v_max_f32_e32 v24, v21, v24
	v_cmp_gt_i32_e64 s[2:3], s7, v22
	v_accvgpr_read_b32 v22, a2
	v_cndmask_b32_e64 v21, v21, v24, s[2:3]
	v_or_b32_e32 v18, 2, v18
	v_max_f32_e32 v24, v22, v22
	v_max_f32_e32 v24, v21, v24
	v_cmp_gt_i32_e64 s[4:5], s7, v18
	v_cndmask_b32_e64 v18, v21, v24, s[4:5]
	v_accvgpr_read_b32 v24, a3
	v_or_b32_e32 v21, 3, v44
	v_max_f32_e32 v25, v24, v24
	v_max_f32_e32 v25, v18, v25
	v_cmp_gt_i32_e64 s[10:11], s7, v21
	v_cndmask_b32_e64 v18, v18, v25, s[10:11]
	;;#ASMSTART
	v_nop
 v_nop
 v_max_f32_dpp v18, v18, v18 row_ror:4
	;;#ASMEND
	;;#ASMSTART
	v_nop
 v_nop
 v_max_f32_dpp v18, v18, v18 row_ror:8
	;;#ASMEND
	ds_bpermute_b32 v18, v26, v18
	s_waitcnt lgkmcnt(0)
	;;#ASMSTART
	v_nop
 v_nop
 v_max_f32_dpp v18, v18, v18 row_ror:4
	;;#ASMEND
	;;#ASMSTART
	v_nop
 v_nop
 v_max_f32_dpp v25, v18, v18 row_ror:8
	;;#ASMEND
	v_sub_f32_e32 v18, v20, v25
	v_mul_f32_e32 v18, 0x3fb8aa3b, v18
	v_sub_f32_e32 v19, v23, v25
	v_exp_f32_e32 v18, v18
	v_mul_f32_e32 v19, 0x3fb8aa3b, v19
	v_sub_f32_e32 v21, v22, v25
	v_exp_f32_e32 v19, v19
	;; [unrolled: 3-line block ×3, first 2 shown]
	v_mul_f32_e32 v22, 0x3fb8aa3b, v22
	v_exp_f32_e32 v22, v22
	v_cndmask_b32_e32 v18, 0, v18, vcc
	v_add_f32_e32 v20, 0, v18
	v_cndmask_b32_e64 v19, 0, v19, s[2:3]
	v_add_f32_e32 v23, v20, v19
	v_cndmask_b32_e64 v20, 0, v21, s[4:5]
	;; [unrolled: 2-line block ×3, first 2 shown]
	v_add_f32_e32 v22, v23, v21
	;;#ASMSTART
	v_nop
 v_nop
 v_add_f32_dpp v22, v22, v22 row_ror:4
	;;#ASMEND
	;;#ASMSTART
	v_nop
 v_nop
 v_add_f32_dpp v22, v22, v22 row_ror:8
	;;#ASMEND
	ds_bpermute_b32 v22, v26, v22
	s_waitcnt lgkmcnt(0)
	;;#ASMSTART
	v_nop
 v_nop
 v_add_f32_dpp v22, v22, v22 row_ror:4
	;;#ASMEND
	v_cmp_gt_u32_e32 vcc, 4, v42
	;;#ASMSTART
	v_nop
 v_nop
 v_add_f32_dpp v22, v22, v22 row_ror:8
	;;#ASMEND
	s_and_saveexec_b64 s[2:3], vcc
	s_cbranch_execz .LBB694_400
; %bb.399:
	v_mul_u32_u24_e32 v23, 20, v1
	v_lshl_add_u32 v23, v43, 2, v23
	v_add_u32_e32 v23, 0x800, v23
	ds_write2_b32 v23, v25, v22 offset0:128 offset1:148
.LBB694_400:
	s_or_b64 exec, exec, s[2:3]
.LBB694_401:
	s_or_b64 exec, exec, s[36:37]
	s_waitcnt lgkmcnt(0)
	s_barrier
	s_load_dword s2, s[34:35], 0x8
	v_lshlrev_b32_e32 v22, 2, v43
	v_add_u32_e32 v22, 0x800, v22
	ds_read2_b32 v[28:29], v22 offset0:128 offset1:133
	ds_read2_b32 v[30:31], v22 offset0:138 offset1:143
	s_mul_i32 s3, s9, s6
	s_waitcnt lgkmcnt(0)
	s_mul_i32 s2, s3, s2
	s_mov_b32 s3, 0xff7fffff
	v_max3_f32 v23, v28, s3, v29
	v_max3_f32 v26, v23, v30, v31
	v_sub_f32_e32 v23, v28, v26
	ds_read2_b32 v[32:33], v22 offset0:148 offset1:153
	v_mul_f32_e32 v23, 0x3fb8aa3b, v23
	v_sub_f32_e32 v27, v29, v26
	v_exp_f32_e32 v24, v23
	v_mul_f32_e32 v27, 0x3fb8aa3b, v27
	ds_read2_b32 v[28:29], v22 offset0:158 offset1:163
	v_sub_f32_e32 v22, v30, v26
	v_exp_f32_e32 v34, v27
	v_mul_f32_e32 v22, 0x3fb8aa3b, v22
	v_sub_f32_e32 v27, v31, v26
	v_exp_f32_e32 v22, v22
	v_mul_f32_e32 v27, 0x3fb8aa3b, v27
	v_exp_f32_e32 v30, v27
	s_waitcnt lgkmcnt(1)
	v_fma_f32 v27, v24, v32, 0
	v_fmac_f32_e32 v27, v34, v33
	s_waitcnt lgkmcnt(0)
	v_fmac_f32_e32 v27, v22, v28
	v_mov_b32_e32 v23, 0
	v_fmac_f32_e32 v27, v30, v29
	s_mov_b32 s3, 0
	v_cmp_eq_u32_e32 vcc, 0, v43
	s_and_saveexec_b64 s[4:5], vcc
	s_cbranch_execz .LBB694_403
; %bb.402:
	s_lshl_b64 s[6:7], s[2:3], 2
	s_add_u32 s12, s16, s6
	s_mov_b32 s29, s3
	s_addc_u32 s13, s17, s7
	s_lshl_b64 s[10:11], s[28:29], 2
	s_add_u32 s12, s12, s10
	s_addc_u32 s13, s13, s11
	s_add_u32 s6, s18, s6
	s_addc_u32 s7, s19, s7
	;; [unrolled: 2-line block ×3, first 2 shown]
	s_mul_i32 s6, s9, s8
	s_mov_b32 s7, s3
	s_lshl_b64 s[6:7], s[6:7], 2
	s_add_u32 s10, s12, s6
	s_addc_u32 s11, s13, s7
	s_add_u32 s6, s16, s6
	s_addc_u32 s7, s17, s7
	global_store_dword v23, v26, s[6:7]
	global_store_dword v23, v27, s[10:11]
.LBB694_403:
	s_or_b64 exec, exec, s[4:5]
	v_mov_b32_e32 v22, 0
	s_and_saveexec_b64 s[4:5], s[0:1]
	s_cbranch_execz .LBB694_789
; %bb.404:
	v_mov_b32_e32 v28, 0
	s_waitcnt vmcnt(3)
	v_cmp_ne_u16_sdwa s[6:7], v14, v28 src0_sel:BYTE_0 src1_sel:DWORD
	v_mov_b32_e32 v29, 0
	s_and_saveexec_b64 s[0:1], s[6:7]
	s_cbranch_execz .LBB694_410
; %bb.405:
	s_movk_i32 s3, 0x80
	v_cmp_ne_u16_sdwa s[10:11], v14, s3 src0_sel:BYTE_0 src1_sel:DWORD
	v_mov_b32_e32 v29, 0xffff8000
	s_and_saveexec_b64 s[6:7], s[10:11]
	s_cbranch_execz .LBB694_409
; %bb.406:
	s_movk_i32 s3, 0x7f
	v_and_b32_e32 v22, 0x7f, v14
	v_cmp_ne_u32_e32 vcc, s3, v22
	v_mov_b32_e32 v29, 0x7f80
	s_and_saveexec_b64 s[10:11], vcc
	s_cbranch_execz .LBB694_408
; %bb.407:
	v_and_b32_e32 v23, 7, v14
	v_ffbh_u32_e32 v23, v23
	v_min_u32_e32 v23, 32, v23
	v_subrev_u32_e32 v29, 28, v23
	v_cmp_gt_u32_e32 vcc, 8, v22
	v_lshrrev_b32_e32 v24, 3, v22
	v_sub_u32_e32 v23, 29, v23
	v_cndmask_b32_e32 v22, 0, v29, vcc
	v_cndmask_b32_e32 v24, v24, v23, vcc
	v_lshlrev_b64 v[22:23], v22, v[14:15]
	v_lshlrev_b32_e32 v22, 20, v22
	v_lshlrev_b32_e32 v23, 24, v14
	v_bfrev_b32_e32 v29, 60
	v_and_b32_e32 v22, 0x700000, v22
	v_and_b32_e32 v23, 0x80000000, v23
	v_lshl_add_u32 v24, v24, 23, v29
	v_or3_b32 v22, v23, v24, v22
	v_lshrrev_b32_e32 v29, 16, v22
.LBB694_408:
	s_or_b64 exec, exec, s[10:11]
.LBB694_409:
	s_or_b64 exec, exec, s[6:7]
.LBB694_410:
	s_or_b64 exec, exec, s[0:1]
	v_lshrrev_b16_e32 v22, 8, v14
	v_cmp_ne_u16_e32 vcc, 0, v22
	s_and_saveexec_b64 s[0:1], vcc
	s_cbranch_execz .LBB694_416
; %bb.411:
	s_movk_i32 s3, 0x80
	v_cmp_ne_u16_e32 vcc, s3, v22
	v_mov_b32_e32 v28, 0xffff8000
	s_and_saveexec_b64 s[6:7], vcc
	s_cbranch_execz .LBB694_415
; %bb.412:
	s_movk_i32 s3, 0x7f
	v_and_b32_e32 v23, 0x7f, v22
	v_cmp_ne_u32_e32 vcc, s3, v23
	v_mov_b32_e32 v28, 0x7f80
	s_and_saveexec_b64 s[10:11], vcc
	s_cbranch_execz .LBB694_414
; %bb.413:
	v_and_b32_e32 v24, 7, v22
	v_ffbh_u32_e32 v30, v24
	v_min_u32_e32 v32, 32, v30
	v_subrev_u32_e32 v30, 28, v32
	v_lshlrev_b64 v[30:31], v30, v[22:23]
	v_lshrrev_b32_e32 v28, 3, v23
	v_sub_u32_e32 v22, 29, v32
	v_and_b32_e32 v30, 7, v30
	v_cmp_gt_u32_e32 vcc, 8, v23
	v_cndmask_b32_e32 v22, v28, v22, vcc
	v_cndmask_b32_e32 v23, v24, v30, vcc
	v_lshlrev_b32_e32 v24, 16, v14
	v_bfrev_b32_e32 v28, 60
	v_lshlrev_b32_e32 v23, 20, v23
	v_and_b32_e32 v24, 0x80000000, v24
	v_lshl_add_u32 v22, v22, 23, v28
	v_or3_b32 v22, v24, v22, v23
	v_lshrrev_b32_e32 v28, 16, v22
.LBB694_414:
	s_or_b64 exec, exec, s[10:11]
.LBB694_415:
	s_or_b64 exec, exec, s[6:7]
.LBB694_416:
	s_or_b64 exec, exec, s[0:1]
	s_movk_i32 s0, 0xff
	v_and_b32_sdwa v24, v14, s0 dst_sel:DWORD dst_unused:UNUSED_PAD src0_sel:WORD_1 src1_sel:DWORD
	v_lshrrev_b32_e32 v22, 16, v14
	v_cmp_ne_u16_e32 vcc, 0, v24
	v_mov_b32_e32 v23, 0
	v_mov_b32_e32 v30, 0
	s_and_saveexec_b64 s[0:1], vcc
	s_cbranch_execz .LBB694_422
; %bb.417:
	s_movk_i32 s3, 0x80
	v_cmp_ne_u16_e32 vcc, s3, v24
	v_mov_b32_e32 v30, 0xffff8000
	s_and_saveexec_b64 s[6:7], vcc
	s_cbranch_execz .LBB694_421
; %bb.418:
	v_bfe_u32 v24, v14, 16, 7
	s_movk_i32 s3, 0x7f
	v_cmp_ne_u32_e32 vcc, s3, v24
	v_mov_b32_e32 v30, 0x7f80
	s_and_saveexec_b64 s[10:11], vcc
	s_cbranch_execz .LBB694_420
; %bb.419:
	v_and_b32_e32 v32, 7, v22
	v_ffbh_u32_e32 v30, v32
	v_min_u32_e32 v34, 32, v30
	v_subrev_u32_e32 v30, 28, v34
	v_lshlrev_b64 v[30:31], v30, v[22:23]
	v_and_b32_e32 v30, 7, v30
	v_cmp_gt_u32_e32 vcc, 8, v24
	v_lshrrev_b32_e32 v33, 3, v24
	v_sub_u32_e32 v22, 29, v34
	v_cndmask_b32_e32 v24, v32, v30, vcc
	v_mov_b32_e32 v30, 24
	v_cndmask_b32_e32 v22, v33, v22, vcc
	v_lshlrev_b32_sdwa v30, v30, v14 dst_sel:DWORD dst_unused:UNUSED_PAD src0_sel:DWORD src1_sel:WORD_1
	v_bfrev_b32_e32 v31, 60
	v_lshlrev_b32_e32 v24, 20, v24
	v_and_b32_e32 v30, 0x80000000, v30
	v_lshl_add_u32 v22, v22, 23, v31
	v_or3_b32 v22, v30, v22, v24
	v_lshrrev_b32_e32 v30, 16, v22
.LBB694_420:
	s_or_b64 exec, exec, s[10:11]
.LBB694_421:
	s_or_b64 exec, exec, s[6:7]
.LBB694_422:
	s_or_b64 exec, exec, s[0:1]
	s_mov_b32 s0, 0xffffff
	v_cmp_lt_u32_e32 vcc, s0, v14
	v_mov_b32_e32 v31, 0
	s_and_saveexec_b64 s[0:1], vcc
	s_cbranch_execz .LBB694_428
; %bb.423:
	v_lshrrev_b32_e32 v22, 24, v14
	s_movk_i32 s3, 0x80
	v_cmp_ne_u32_e32 vcc, s3, v22
	v_mov_b32_e32 v31, 0xffff8000
	s_and_saveexec_b64 s[6:7], vcc
	s_cbranch_execz .LBB694_427
; %bb.424:
	v_bfe_u32 v24, v14, 24, 7
	s_movk_i32 s3, 0x7f
	v_cmp_ne_u32_e32 vcc, s3, v24
	v_mov_b32_e32 v31, 0x7f80
	s_and_saveexec_b64 s[10:11], vcc
	s_cbranch_execz .LBB694_426
; %bb.425:
	v_and_b32_e32 v31, 7, v22
	v_ffbh_u32_e32 v32, v31
	v_min_u32_e32 v35, 32, v32
	v_subrev_u32_e32 v32, 28, v35
	v_lshlrev_b64 v[32:33], v32, v[22:23]
	v_lshrrev_b32_e32 v34, 3, v24
	v_sub_u32_e32 v33, 29, v35
	v_and_b32_e32 v32, 7, v32
	v_cmp_gt_u32_e32 vcc, 8, v24
	v_cndmask_b32_e32 v24, v34, v33, vcc
	v_cndmask_b32_e32 v31, v31, v32, vcc
	v_lshlrev_b32_e32 v22, 24, v22
	v_bfrev_b32_e32 v32, 60
	v_lshlrev_b32_e32 v31, 20, v31
	v_and_b32_e32 v22, 0x80000000, v22
	v_lshl_add_u32 v24, v24, 23, v32
	v_or3_b32 v22, v22, v24, v31
	v_lshrrev_b32_e32 v31, 16, v22
.LBB694_426:
	s_or_b64 exec, exec, s[10:11]
.LBB694_427:
	s_or_b64 exec, exec, s[6:7]
.LBB694_428:
	s_or_b64 exec, exec, s[0:1]
	v_mov_b32_e32 v32, 0
	v_mov_b32_e32 v22, v15
	v_cmp_ne_u16_sdwa s[6:7], v15, v32 src0_sel:BYTE_0 src1_sel:DWORD
	v_mov_b32_e32 v33, 0
	s_and_saveexec_b64 s[0:1], s[6:7]
	s_cbranch_execz .LBB694_434
; %bb.429:
	s_movk_i32 s3, 0x80
	v_cmp_ne_u16_sdwa s[10:11], v15, s3 src0_sel:BYTE_0 src1_sel:DWORD
	v_mov_b32_e32 v33, 0xffff8000
	s_and_saveexec_b64 s[6:7], s[10:11]
	s_cbranch_execz .LBB694_433
; %bb.430:
	s_movk_i32 s3, 0x7f
	v_and_b32_e32 v24, 0x7f, v15
	v_cmp_ne_u32_e32 vcc, s3, v24
	v_mov_b32_e32 v33, 0x7f80
	s_and_saveexec_b64 s[10:11], vcc
	s_cbranch_execz .LBB694_432
; %bb.431:
	v_and_b32_e32 v33, 7, v15
	v_ffbh_u32_e32 v33, v33
	v_min_u32_e32 v33, 32, v33
	v_lshrrev_b32_e32 v34, 3, v24
	v_subrev_u32_e32 v35, 28, v33
	v_sub_u32_e32 v33, 29, v33
	v_cmp_gt_u32_e32 vcc, 8, v24
	v_cndmask_b32_e32 v24, v34, v33, vcc
	v_cndmask_b32_e32 v33, 0, v35, vcc
	v_lshlrev_b64 v[34:35], v33, v[22:23]
	v_lshlrev_b32_e32 v23, 20, v34
	v_lshlrev_b32_e32 v33, 24, v22
	v_bfrev_b32_e32 v34, 60
	v_and_b32_e32 v23, 0x700000, v23
	v_and_b32_e32 v33, 0x80000000, v33
	v_lshl_add_u32 v24, v24, 23, v34
	v_or3_b32 v23, v33, v24, v23
	v_lshrrev_b32_e32 v33, 16, v23
.LBB694_432:
	s_or_b64 exec, exec, s[10:11]
.LBB694_433:
	s_or_b64 exec, exec, s[6:7]
.LBB694_434:
	s_or_b64 exec, exec, s[0:1]
	v_lshrrev_b16_e32 v24, 8, v22
	v_cmp_ne_u16_e32 vcc, 0, v24
	s_and_saveexec_b64 s[0:1], vcc
	s_cbranch_execz .LBB694_440
; %bb.435:
	s_movk_i32 s3, 0x80
	v_cmp_ne_u16_e32 vcc, s3, v24
	v_mov_b32_e32 v32, 0xffff8000
	s_and_saveexec_b64 s[6:7], vcc
	s_cbranch_execz .LBB694_439
; %bb.436:
	s_movk_i32 s3, 0x7f
	v_and_b32_e32 v23, 0x7f, v24
	v_cmp_ne_u32_e32 vcc, s3, v23
	v_mov_b32_e32 v32, 0x7f80
	s_and_saveexec_b64 s[10:11], vcc
	s_cbranch_execz .LBB694_438
; %bb.437:
	v_and_b32_e32 v32, 7, v24
	v_ffbh_u32_e32 v34, v32
	v_min_u32_e32 v37, 32, v34
	v_subrev_u32_e32 v34, 28, v37
	v_lshlrev_b64 v[34:35], v34, v[24:25]
	v_lshrrev_b32_e32 v36, 3, v23
	v_sub_u32_e32 v24, 29, v37
	v_and_b32_e32 v34, 7, v34
	v_cmp_gt_u32_e32 vcc, 8, v23
	v_cndmask_b32_e32 v23, v36, v24, vcc
	v_cndmask_b32_e32 v24, v32, v34, vcc
	v_lshlrev_b32_e32 v22, 16, v22
	v_bfrev_b32_e32 v32, 60
	v_lshlrev_b32_e32 v24, 20, v24
	v_and_b32_e32 v22, 0x80000000, v22
	v_lshl_add_u32 v23, v23, 23, v32
	v_or3_b32 v22, v22, v23, v24
	v_lshrrev_b32_e32 v32, 16, v22
.LBB694_438:
	s_or_b64 exec, exec, s[10:11]
.LBB694_439:
	s_or_b64 exec, exec, s[6:7]
.LBB694_440:
	s_or_b64 exec, exec, s[0:1]
	s_movk_i32 s0, 0xff
	v_and_b32_sdwa v34, v15, s0 dst_sel:DWORD dst_unused:UNUSED_PAD src0_sel:WORD_1 src1_sel:DWORD
	v_lshrrev_b32_e32 v22, 16, v15
	v_cmp_ne_u16_e32 vcc, 0, v34
	v_mov_b32_e32 v23, 0
	v_mov_b32_e32 v24, 0
	s_and_saveexec_b64 s[0:1], vcc
	s_cbranch_execz .LBB694_446
; %bb.441:
	s_movk_i32 s3, 0x80
	v_cmp_ne_u16_e32 vcc, s3, v34
	v_mov_b32_e32 v24, 0xffff8000
	s_and_saveexec_b64 s[6:7], vcc
	s_cbranch_execz .LBB694_445
; %bb.442:
	v_bfe_u32 v34, v15, 16, 7
	s_movk_i32 s3, 0x7f
	v_cmp_ne_u32_e32 vcc, s3, v34
	v_mov_b32_e32 v24, 0x7f80
	s_and_saveexec_b64 s[10:11], vcc
	s_cbranch_execz .LBB694_444
; %bb.443:
	v_and_b32_e32 v24, 7, v22
	v_ffbh_u32_e32 v36, v24
	v_min_u32_e32 v38, 32, v36
	v_subrev_u32_e32 v36, 28, v38
	v_lshlrev_b64 v[36:37], v36, v[22:23]
	v_lshrrev_b32_e32 v35, 3, v34
	v_sub_u32_e32 v22, 29, v38
	v_and_b32_e32 v36, 7, v36
	v_cmp_gt_u32_e32 vcc, 8, v34
	v_mov_b32_e32 v34, 24
	v_cndmask_b32_e32 v22, v35, v22, vcc
	v_cndmask_b32_e32 v24, v24, v36, vcc
	v_lshlrev_b32_sdwa v34, v34, v15 dst_sel:DWORD dst_unused:UNUSED_PAD src0_sel:DWORD src1_sel:WORD_1
	v_bfrev_b32_e32 v35, 60
	v_lshlrev_b32_e32 v24, 20, v24
	v_and_b32_e32 v34, 0x80000000, v34
	v_lshl_add_u32 v22, v22, 23, v35
	v_or3_b32 v22, v34, v22, v24
	v_lshrrev_b32_e32 v24, 16, v22
.LBB694_444:
	s_or_b64 exec, exec, s[10:11]
.LBB694_445:
	s_or_b64 exec, exec, s[6:7]
.LBB694_446:
	s_or_b64 exec, exec, s[0:1]
	s_mov_b32 s0, -1
	s_mov_b32 s1, 0xffffff
	v_cmp_lt_u64_e32 vcc, s[0:1], v[14:15]
	s_and_saveexec_b64 s[0:1], vcc
	s_cbranch_execz .LBB694_452
; %bb.447:
	v_lshrrev_b32_e32 v14, 24, v15
	s_movk_i32 s3, 0x80
	v_cmp_ne_u32_e32 vcc, s3, v14
	v_mov_b32_e32 v23, 0xffff8000
	s_and_saveexec_b64 s[6:7], vcc
	s_cbranch_execz .LBB694_451
; %bb.448:
	v_bfe_u32 v15, v15, 24, 7
	s_movk_i32 s3, 0x7f
	v_cmp_ne_u32_e32 vcc, s3, v15
	v_mov_b32_e32 v23, 0x7f80
	s_and_saveexec_b64 s[10:11], vcc
	s_cbranch_execz .LBB694_450
; %bb.449:
	v_and_b32_e32 v34, 7, v14
	v_ffbh_u32_e32 v22, v34
	v_min_u32_e32 v36, 32, v22
	v_subrev_u32_e32 v22, 28, v36
	v_lshlrev_b64 v[22:23], v22, v[14:15]
	v_lshrrev_b32_e32 v35, 3, v15
	v_sub_u32_e32 v23, 29, v36
	v_and_b32_e32 v22, 7, v22
	v_cmp_gt_u32_e32 vcc, 8, v15
	v_cndmask_b32_e32 v15, v35, v23, vcc
	v_cndmask_b32_e32 v22, v34, v22, vcc
	v_lshlrev_b32_e32 v14, 24, v14
	v_bfrev_b32_e32 v23, 60
	v_lshlrev_b32_e32 v22, 20, v22
	v_and_b32_e32 v14, 0x80000000, v14
	v_lshl_add_u32 v15, v15, 23, v23
	v_or3_b32 v14, v14, v15, v22
	v_lshrrev_b32_e32 v23, 16, v14
.LBB694_450:
	s_or_b64 exec, exec, s[10:11]
.LBB694_451:
	s_or_b64 exec, exec, s[6:7]
.LBB694_452:
	s_or_b64 exec, exec, s[0:1]
	v_add_f32_e32 v14, 0x358637bd, v27
	v_div_scale_f32 v15, s[0:1], v14, v14, 1.0
	v_rcp_f32_e32 v22, v15
	v_div_scale_f32 v27, vcc, 1.0, v14, 1.0
	v_sub_f32_e32 v25, v25, v26
	v_fma_f32 v34, -v15, v22, 1.0
	v_fmac_f32_e32 v22, v34, v22
	v_mul_f32_e32 v34, v27, v22
	v_fma_f32 v35, -v15, v34, v27
	v_mul_f32_e32 v25, 0x3fb8aa3b, v25
	v_fmac_f32_e32 v34, v35, v22
	v_exp_f32_e32 v25, v25
	v_fma_f32 v15, -v15, v34, v27
	v_div_fmas_f32 v15, v15, v22, v34
	v_div_fixup_f32 v14, v15, v14, 1.0
	v_mul_f32_e32 v14, v25, v14
	v_pk_mul_f32 v[20:21], v[20:21], v[14:15] op_sel_hi:[1,0]
	v_pk_mul_f32 v[14:15], v[18:19], v[14:15] op_sel_hi:[1,0]
	v_bfe_u32 v18, v15, 16, 1
	v_bfe_u32 v19, v14, 16, 1
	s_movk_i32 s0, 0x7fff
	v_add3_u32 v14, v14, v19, s0
	v_add3_u32 v15, v15, v18, s0
	s_mov_b32 s1, 0x7060302
	v_perm_b32 v14, v15, v14, s1
	v_bfe_u32 v15, v21, 16, 1
	v_bfe_u32 v18, v20, 16, 1
	v_add3_u32 v18, v20, v18, s0
	v_add3_u32 v15, v21, v15, s0
	v_perm_b32 v15, v15, v18, s1
	s_mov_b32 s0, 0x5040100
	v_perm_b32 v19, v31, v30, s0
	v_perm_b32 v18, v28, v29, s0
	;; [unrolled: 1-line block ×4, first 2 shown]
	v_mfma_f32_4x4x4bf16_1k a[0:3], v[14:15], v[18:19], 0 cbsz:4
	v_mov_b32_e32 v21, 0
	v_mfma_f32_4x4x4bf16_1k a[0:3], v[14:15], v[22:23], a[0:3] cbsz:4 abid:1
	v_mov_b32_e32 v22, 0
	v_cmp_ne_u16_sdwa s[6:7], v16, v22 src0_sel:BYTE_0 src1_sel:DWORD
	s_and_saveexec_b64 s[0:1], s[6:7]
	s_cbranch_execz .LBB694_458
; %bb.453:
	s_movk_i32 s3, 0x80
	v_cmp_ne_u16_sdwa s[10:11], v16, s3 src0_sel:BYTE_0 src1_sel:DWORD
	v_mov_b32_e32 v21, 0xffff8000
	s_and_saveexec_b64 s[6:7], s[10:11]
	s_cbranch_execz .LBB694_457
; %bb.454:
	s_movk_i32 s3, 0x7f
	v_and_b32_e32 v18, 0x7f, v16
	v_cmp_ne_u32_e32 vcc, s3, v18
	v_mov_b32_e32 v21, 0x7f80
	s_and_saveexec_b64 s[10:11], vcc
	s_cbranch_execz .LBB694_456
; %bb.455:
	v_and_b32_e32 v19, 7, v16
	v_ffbh_u32_e32 v19, v19
	v_min_u32_e32 v19, 32, v19
	v_subrev_u32_e32 v21, 28, v19
	v_cmp_gt_u32_e32 vcc, 8, v18
	v_lshrrev_b32_e32 v20, 3, v18
	v_sub_u32_e32 v19, 29, v19
	v_cndmask_b32_e32 v18, 0, v21, vcc
	v_cndmask_b32_e32 v20, v20, v19, vcc
	v_lshlrev_b64 v[18:19], v18, v[16:17]
	v_lshlrev_b32_e32 v18, 20, v18
	v_lshlrev_b32_e32 v19, 24, v16
	v_bfrev_b32_e32 v21, 60
	v_and_b32_e32 v18, 0x700000, v18
	v_and_b32_e32 v19, 0x80000000, v19
	v_lshl_add_u32 v20, v20, 23, v21
	v_or3_b32 v18, v19, v20, v18
	v_lshrrev_b32_e32 v21, 16, v18
.LBB694_456:
	s_or_b64 exec, exec, s[10:11]
.LBB694_457:
	s_or_b64 exec, exec, s[6:7]
.LBB694_458:
	s_or_b64 exec, exec, s[0:1]
	v_lshrrev_b16_e32 v18, 8, v16
	v_cmp_ne_u16_e32 vcc, 0, v18
	s_and_saveexec_b64 s[0:1], vcc
	s_cbranch_execz .LBB694_464
; %bb.459:
	s_movk_i32 s3, 0x80
	v_cmp_ne_u16_e32 vcc, s3, v18
	v_mov_b32_e32 v22, 0xffff8000
	s_and_saveexec_b64 s[6:7], vcc
	s_cbranch_execz .LBB694_463
; %bb.460:
	s_movk_i32 s3, 0x7f
	v_and_b32_e32 v19, 0x7f, v18
	v_cmp_ne_u32_e32 vcc, s3, v19
	v_mov_b32_e32 v22, 0x7f80
	s_and_saveexec_b64 s[10:11], vcc
	s_cbranch_execz .LBB694_462
; %bb.461:
	v_and_b32_e32 v20, 7, v18
	v_ffbh_u32_e32 v22, v20
	v_min_u32_e32 v25, 32, v22
	v_subrev_u32_e32 v22, 28, v25
	v_lshlrev_b64 v[22:23], v22, v[18:19]
	v_lshrrev_b32_e32 v24, 3, v19
	v_sub_u32_e32 v18, 29, v25
	v_and_b32_e32 v22, 7, v22
	v_cmp_gt_u32_e32 vcc, 8, v19
	v_cndmask_b32_e32 v18, v24, v18, vcc
	v_cndmask_b32_e32 v19, v20, v22, vcc
	v_lshlrev_b32_e32 v20, 16, v16
	v_bfrev_b32_e32 v22, 60
	v_lshlrev_b32_e32 v19, 20, v19
	v_and_b32_e32 v20, 0x80000000, v20
	v_lshl_add_u32 v18, v18, 23, v22
	v_or3_b32 v18, v20, v18, v19
	v_lshrrev_b32_e32 v22, 16, v18
.LBB694_462:
	s_or_b64 exec, exec, s[10:11]
.LBB694_463:
	s_or_b64 exec, exec, s[6:7]
.LBB694_464:
	s_or_b64 exec, exec, s[0:1]
	s_movk_i32 s0, 0xff
	v_and_b32_sdwa v20, v16, s0 dst_sel:DWORD dst_unused:UNUSED_PAD src0_sel:WORD_1 src1_sel:DWORD
	v_lshrrev_b32_e32 v18, 16, v16
	v_cmp_ne_u16_e32 vcc, 0, v20
	v_mov_b32_e32 v19, 0
	v_mov_b32_e32 v23, 0
	s_and_saveexec_b64 s[0:1], vcc
	s_cbranch_execz .LBB694_470
; %bb.465:
	s_movk_i32 s3, 0x80
	v_cmp_ne_u16_e32 vcc, s3, v20
	v_mov_b32_e32 v23, 0xffff8000
	s_and_saveexec_b64 s[6:7], vcc
	s_cbranch_execz .LBB694_469
; %bb.466:
	v_bfe_u32 v20, v16, 16, 7
	s_movk_i32 s3, 0x7f
	v_cmp_ne_u32_e32 vcc, s3, v20
	v_mov_b32_e32 v23, 0x7f80
	s_and_saveexec_b64 s[10:11], vcc
	s_cbranch_execz .LBB694_468
; %bb.467:
	v_and_b32_e32 v23, 7, v18
	v_ffbh_u32_e32 v24, v23
	v_min_u32_e32 v27, 32, v24
	v_subrev_u32_e32 v24, 28, v27
	v_lshlrev_b64 v[24:25], v24, v[18:19]
	v_and_b32_e32 v24, 7, v24
	v_cmp_gt_u32_e32 vcc, 8, v20
	v_lshrrev_b32_e32 v26, 3, v20
	v_sub_u32_e32 v18, 29, v27
	v_cndmask_b32_e32 v20, v23, v24, vcc
	v_mov_b32_e32 v23, 24
	v_cndmask_b32_e32 v18, v26, v18, vcc
	v_lshlrev_b32_sdwa v23, v23, v16 dst_sel:DWORD dst_unused:UNUSED_PAD src0_sel:DWORD src1_sel:WORD_1
	v_bfrev_b32_e32 v24, 60
	v_lshlrev_b32_e32 v20, 20, v20
	v_and_b32_e32 v23, 0x80000000, v23
	v_lshl_add_u32 v18, v18, 23, v24
	v_or3_b32 v18, v23, v18, v20
	v_lshrrev_b32_e32 v23, 16, v18
.LBB694_468:
	s_or_b64 exec, exec, s[10:11]
.LBB694_469:
	s_or_b64 exec, exec, s[6:7]
.LBB694_470:
	s_or_b64 exec, exec, s[0:1]
	s_mov_b32 s0, 0xffffff
	v_cmp_lt_u32_e32 vcc, s0, v16
	v_mov_b32_e32 v24, 0
	s_and_saveexec_b64 s[0:1], vcc
	s_cbranch_execz .LBB694_476
; %bb.471:
	v_lshrrev_b32_e32 v18, 24, v16
	s_movk_i32 s3, 0x80
	v_cmp_ne_u32_e32 vcc, s3, v18
	v_mov_b32_e32 v24, 0xffff8000
	s_and_saveexec_b64 s[6:7], vcc
	s_cbranch_execz .LBB694_475
; %bb.472:
	v_bfe_u32 v20, v16, 24, 7
	s_movk_i32 s3, 0x7f
	v_cmp_ne_u32_e32 vcc, s3, v20
	v_mov_b32_e32 v24, 0x7f80
	s_and_saveexec_b64 s[10:11], vcc
	s_cbranch_execz .LBB694_474
; %bb.473:
	v_and_b32_e32 v26, 7, v18
	v_ffbh_u32_e32 v24, v26
	v_min_u32_e32 v28, 32, v24
	v_subrev_u32_e32 v24, 28, v28
	v_lshlrev_b64 v[24:25], v24, v[18:19]
	v_lshrrev_b32_e32 v27, 3, v20
	v_sub_u32_e32 v25, 29, v28
	v_and_b32_e32 v24, 7, v24
	v_cmp_gt_u32_e32 vcc, 8, v20
	v_cndmask_b32_e32 v20, v27, v25, vcc
	v_cndmask_b32_e32 v24, v26, v24, vcc
	v_lshlrev_b32_e32 v18, 24, v18
	v_bfrev_b32_e32 v25, 60
	v_lshlrev_b32_e32 v24, 20, v24
	v_and_b32_e32 v18, 0x80000000, v18
	v_lshl_add_u32 v20, v20, 23, v25
	v_or3_b32 v18, v18, v20, v24
	v_lshrrev_b32_e32 v24, 16, v18
.LBB694_474:
	s_or_b64 exec, exec, s[10:11]
.LBB694_475:
	s_or_b64 exec, exec, s[6:7]
.LBB694_476:
	s_or_b64 exec, exec, s[0:1]
	v_mov_b32_e32 v25, 0
	v_mov_b32_e32 v18, v17
	v_cmp_ne_u16_sdwa s[6:7], v17, v25 src0_sel:BYTE_0 src1_sel:DWORD
	v_mov_b32_e32 v26, 0
	s_and_saveexec_b64 s[0:1], s[6:7]
	s_cbranch_execz .LBB694_482
; %bb.477:
	s_movk_i32 s3, 0x80
	v_cmp_ne_u16_sdwa s[10:11], v17, s3 src0_sel:BYTE_0 src1_sel:DWORD
	v_mov_b32_e32 v26, 0xffff8000
	s_and_saveexec_b64 s[6:7], s[10:11]
	s_cbranch_execz .LBB694_481
; %bb.478:
	s_movk_i32 s3, 0x7f
	v_and_b32_e32 v20, 0x7f, v17
	v_cmp_ne_u32_e32 vcc, s3, v20
	v_mov_b32_e32 v26, 0x7f80
	s_and_saveexec_b64 s[10:11], vcc
	s_cbranch_execz .LBB694_480
; %bb.479:
	v_and_b32_e32 v26, 7, v17
	v_ffbh_u32_e32 v26, v26
	v_min_u32_e32 v26, 32, v26
	v_lshrrev_b32_e32 v27, 3, v20
	v_subrev_u32_e32 v28, 28, v26
	v_sub_u32_e32 v26, 29, v26
	v_cmp_gt_u32_e32 vcc, 8, v20
	v_cndmask_b32_e32 v20, v27, v26, vcc
	v_cndmask_b32_e32 v26, 0, v28, vcc
	v_lshlrev_b64 v[26:27], v26, v[18:19]
	v_lshlrev_b32_e32 v19, 20, v26
	v_lshlrev_b32_e32 v26, 24, v18
	v_bfrev_b32_e32 v27, 60
	v_and_b32_e32 v19, 0x700000, v19
	v_and_b32_e32 v26, 0x80000000, v26
	v_lshl_add_u32 v20, v20, 23, v27
	v_or3_b32 v19, v26, v20, v19
	v_lshrrev_b32_e32 v26, 16, v19
.LBB694_480:
	s_or_b64 exec, exec, s[10:11]
.LBB694_481:
	s_or_b64 exec, exec, s[6:7]
.LBB694_482:
	s_or_b64 exec, exec, s[0:1]
	v_lshrrev_b16_e32 v20, 8, v18
	v_cmp_ne_u16_e32 vcc, 0, v20
	s_and_saveexec_b64 s[0:1], vcc
	s_cbranch_execz .LBB694_488
; %bb.483:
	s_movk_i32 s3, 0x80
	v_cmp_ne_u16_e32 vcc, s3, v20
	v_mov_b32_e32 v25, 0xffff8000
	s_and_saveexec_b64 s[6:7], vcc
	s_cbranch_execz .LBB694_487
; %bb.484:
	s_movk_i32 s3, 0x7f
	v_and_b32_e32 v19, 0x7f, v20
	v_cmp_ne_u32_e32 vcc, s3, v19
	v_mov_b32_e32 v25, 0x7f80
	s_and_saveexec_b64 s[10:11], vcc
	s_cbranch_execz .LBB694_486
; %bb.485:
	v_and_b32_e32 v25, 7, v20
	v_ffbh_u32_e32 v28, v25
	v_min_u32_e32 v30, 32, v28
	v_subrev_u32_e32 v28, 28, v30
	v_lshlrev_b64 v[28:29], v28, v[20:21]
	v_lshrrev_b32_e32 v27, 3, v19
	v_sub_u32_e32 v20, 29, v30
	v_and_b32_e32 v28, 7, v28
	v_cmp_gt_u32_e32 vcc, 8, v19
	v_cndmask_b32_e32 v19, v27, v20, vcc
	v_cndmask_b32_e32 v20, v25, v28, vcc
	v_lshlrev_b32_e32 v18, 16, v18
	v_bfrev_b32_e32 v25, 60
	v_lshlrev_b32_e32 v20, 20, v20
	v_and_b32_e32 v18, 0x80000000, v18
	v_lshl_add_u32 v19, v19, 23, v25
	v_or3_b32 v18, v18, v19, v20
	v_lshrrev_b32_e32 v25, 16, v18
.LBB694_486:
	s_or_b64 exec, exec, s[10:11]
.LBB694_487:
	s_or_b64 exec, exec, s[6:7]
.LBB694_488:
	s_or_b64 exec, exec, s[0:1]
	s_movk_i32 s0, 0xff
	v_and_b32_sdwa v27, v17, s0 dst_sel:DWORD dst_unused:UNUSED_PAD src0_sel:WORD_1 src1_sel:DWORD
	v_lshrrev_b32_e32 v18, 16, v17
	v_cmp_ne_u16_e32 vcc, 0, v27
	v_mov_b32_e32 v19, 0
	v_mov_b32_e32 v20, 0
	s_and_saveexec_b64 s[0:1], vcc
	s_cbranch_execz .LBB694_494
; %bb.489:
	s_movk_i32 s3, 0x80
	v_cmp_ne_u16_e32 vcc, s3, v27
	v_mov_b32_e32 v20, 0xffff8000
	s_and_saveexec_b64 s[6:7], vcc
	s_cbranch_execz .LBB694_493
; %bb.490:
	v_bfe_u32 v27, v17, 16, 7
	s_movk_i32 s3, 0x7f
	v_cmp_ne_u32_e32 vcc, s3, v27
	v_mov_b32_e32 v20, 0x7f80
	s_and_saveexec_b64 s[10:11], vcc
	s_cbranch_execz .LBB694_492
; %bb.491:
	v_and_b32_e32 v20, 7, v18
	v_ffbh_u32_e32 v28, v20
	v_min_u32_e32 v31, 32, v28
	v_subrev_u32_e32 v28, 28, v31
	v_lshlrev_b64 v[28:29], v28, v[18:19]
	v_lshrrev_b32_e32 v30, 3, v27
	v_sub_u32_e32 v18, 29, v31
	v_and_b32_e32 v28, 7, v28
	v_cmp_gt_u32_e32 vcc, 8, v27
	v_mov_b32_e32 v27, 24
	v_cndmask_b32_e32 v18, v30, v18, vcc
	v_cndmask_b32_e32 v20, v20, v28, vcc
	v_lshlrev_b32_sdwa v27, v27, v17 dst_sel:DWORD dst_unused:UNUSED_PAD src0_sel:DWORD src1_sel:WORD_1
	v_bfrev_b32_e32 v28, 60
	v_lshlrev_b32_e32 v20, 20, v20
	v_and_b32_e32 v27, 0x80000000, v27
	v_lshl_add_u32 v18, v18, 23, v28
	v_or3_b32 v18, v27, v18, v20
	v_lshrrev_b32_e32 v20, 16, v18
.LBB694_492:
	s_or_b64 exec, exec, s[10:11]
.LBB694_493:
	s_or_b64 exec, exec, s[6:7]
.LBB694_494:
	s_or_b64 exec, exec, s[0:1]
	s_mov_b32 s0, -1
	s_mov_b32 s1, 0xffffff
	v_cmp_lt_u64_e32 vcc, s[0:1], v[16:17]
	s_and_saveexec_b64 s[0:1], vcc
	s_cbranch_execz .LBB694_500
; %bb.495:
	v_lshrrev_b32_e32 v16, 24, v17
	s_movk_i32 s3, 0x80
	v_cmp_ne_u32_e32 vcc, s3, v16
	v_mov_b32_e32 v19, 0xffff8000
	s_and_saveexec_b64 s[6:7], vcc
	s_cbranch_execz .LBB694_499
; %bb.496:
	v_bfe_u32 v17, v17, 24, 7
	s_movk_i32 s3, 0x7f
	v_cmp_ne_u32_e32 vcc, s3, v17
	v_mov_b32_e32 v19, 0x7f80
	s_and_saveexec_b64 s[10:11], vcc
	s_cbranch_execz .LBB694_498
; %bb.497:
	v_and_b32_e32 v27, 7, v16
	v_ffbh_u32_e32 v18, v27
	v_min_u32_e32 v29, 32, v18
	v_subrev_u32_e32 v18, 28, v29
	v_lshlrev_b64 v[18:19], v18, v[16:17]
	v_lshrrev_b32_e32 v28, 3, v17
	v_sub_u32_e32 v19, 29, v29
	v_and_b32_e32 v18, 7, v18
	v_cmp_gt_u32_e32 vcc, 8, v17
	v_cndmask_b32_e32 v17, v28, v19, vcc
	v_cndmask_b32_e32 v18, v27, v18, vcc
	v_lshlrev_b32_e32 v16, 24, v16
	v_bfrev_b32_e32 v19, 60
	v_lshlrev_b32_e32 v18, 20, v18
	v_and_b32_e32 v16, 0x80000000, v16
	v_lshl_add_u32 v17, v17, 23, v19
	v_or3_b32 v16, v16, v17, v18
	v_lshrrev_b32_e32 v19, 16, v16
.LBB694_498:
	s_or_b64 exec, exec, s[10:11]
.LBB694_499:
	s_or_b64 exec, exec, s[6:7]
.LBB694_500:
	s_or_b64 exec, exec, s[0:1]
	s_mov_b32 s0, 0x5040100
	v_perm_b32 v17, v24, v23, s0
	v_perm_b32 v16, v22, v21, s0
	;; [unrolled: 1-line block ×4, first 2 shown]
	v_mfma_f32_4x4x4bf16_1k a[0:3], v[14:15], v[16:17], a[0:3] cbsz:4 abid:2
	v_mov_b32_e32 v20, 0
	v_mfma_f32_4x4x4bf16_1k a[0:3], v[14:15], v[18:19], a[0:3] cbsz:4 abid:3
	v_mov_b32_e32 v19, 0
	s_waitcnt vmcnt(2)
	v_cmp_ne_u16_sdwa s[6:7], v10, v19 src0_sel:BYTE_0 src1_sel:DWORD
	s_and_saveexec_b64 s[0:1], s[6:7]
	s_cbranch_execz .LBB694_506
; %bb.501:
	s_movk_i32 s3, 0x80
	v_cmp_ne_u16_sdwa s[10:11], v10, s3 src0_sel:BYTE_0 src1_sel:DWORD
	v_mov_b32_e32 v20, 0xffff8000
	s_and_saveexec_b64 s[6:7], s[10:11]
	s_cbranch_execz .LBB694_505
; %bb.502:
	s_movk_i32 s3, 0x7f
	v_and_b32_e32 v16, 0x7f, v10
	v_cmp_ne_u32_e32 vcc, s3, v16
	v_mov_b32_e32 v20, 0x7f80
	s_and_saveexec_b64 s[10:11], vcc
	s_cbranch_execz .LBB694_504
; %bb.503:
	v_and_b32_e32 v17, 7, v10
	v_ffbh_u32_e32 v17, v17
	v_min_u32_e32 v17, 32, v17
	v_subrev_u32_e32 v20, 28, v17
	v_cmp_gt_u32_e32 vcc, 8, v16
	v_lshrrev_b32_e32 v18, 3, v16
	v_sub_u32_e32 v17, 29, v17
	v_cndmask_b32_e32 v16, 0, v20, vcc
	v_cndmask_b32_e32 v18, v18, v17, vcc
	v_lshlrev_b64 v[16:17], v16, v[10:11]
	v_lshlrev_b32_e32 v16, 20, v16
	v_lshlrev_b32_e32 v17, 24, v10
	v_bfrev_b32_e32 v20, 60
	v_and_b32_e32 v16, 0x700000, v16
	v_and_b32_e32 v17, 0x80000000, v17
	v_lshl_add_u32 v18, v18, 23, v20
	v_or3_b32 v16, v17, v18, v16
	v_lshrrev_b32_e32 v20, 16, v16
.LBB694_504:
	s_or_b64 exec, exec, s[10:11]
.LBB694_505:
	s_or_b64 exec, exec, s[6:7]
.LBB694_506:
	s_or_b64 exec, exec, s[0:1]
	v_lshrrev_b16_e32 v16, 8, v10
	v_cmp_ne_u16_e32 vcc, 0, v16
	s_and_saveexec_b64 s[0:1], vcc
	s_cbranch_execz .LBB694_512
; %bb.507:
	s_movk_i32 s3, 0x80
	v_cmp_ne_u16_e32 vcc, s3, v16
	v_mov_b32_e32 v19, 0xffff8000
	s_and_saveexec_b64 s[6:7], vcc
	s_cbranch_execz .LBB694_511
; %bb.508:
	s_movk_i32 s3, 0x7f
	v_and_b32_e32 v17, 0x7f, v16
	v_cmp_ne_u32_e32 vcc, s3, v17
	v_mov_b32_e32 v19, 0x7f80
	s_and_saveexec_b64 s[10:11], vcc
	s_cbranch_execz .LBB694_510
; %bb.509:
	v_and_b32_e32 v21, 7, v16
	v_ffbh_u32_e32 v18, v21
	v_min_u32_e32 v23, 32, v18
	v_subrev_u32_e32 v18, 28, v23
	v_lshlrev_b64 v[18:19], v18, v[16:17]
	v_lshrrev_b32_e32 v22, 3, v17
	v_sub_u32_e32 v16, 29, v23
	v_and_b32_e32 v18, 7, v18
	v_cmp_gt_u32_e32 vcc, 8, v17
	v_cndmask_b32_e32 v16, v22, v16, vcc
	v_cndmask_b32_e32 v17, v21, v18, vcc
	v_lshlrev_b32_e32 v18, 16, v10
	v_bfrev_b32_e32 v19, 60
	v_lshlrev_b32_e32 v17, 20, v17
	v_and_b32_e32 v18, 0x80000000, v18
	v_lshl_add_u32 v16, v16, 23, v19
	v_or3_b32 v16, v18, v16, v17
	v_lshrrev_b32_e32 v19, 16, v16
.LBB694_510:
	s_or_b64 exec, exec, s[10:11]
.LBB694_511:
	s_or_b64 exec, exec, s[6:7]
.LBB694_512:
	s_or_b64 exec, exec, s[0:1]
	s_movk_i32 s0, 0xff
	v_and_b32_sdwa v18, v10, s0 dst_sel:DWORD dst_unused:UNUSED_PAD src0_sel:WORD_1 src1_sel:DWORD
	v_lshrrev_b32_e32 v16, 16, v10
	v_cmp_ne_u16_e32 vcc, 0, v18
	v_mov_b32_e32 v17, 0
	v_mov_b32_e32 v21, 0
	s_and_saveexec_b64 s[0:1], vcc
	s_cbranch_execz .LBB694_518
; %bb.513:
	s_movk_i32 s3, 0x80
	v_cmp_ne_u16_e32 vcc, s3, v18
	v_mov_b32_e32 v21, 0xffff8000
	s_and_saveexec_b64 s[6:7], vcc
	s_cbranch_execz .LBB694_517
; %bb.514:
	v_bfe_u32 v18, v10, 16, 7
	s_movk_i32 s3, 0x7f
	v_cmp_ne_u32_e32 vcc, s3, v18
	v_mov_b32_e32 v21, 0x7f80
	s_and_saveexec_b64 s[10:11], vcc
	s_cbranch_execz .LBB694_516
; %bb.515:
	v_and_b32_e32 v21, 7, v16
	v_ffbh_u32_e32 v22, v21
	v_min_u32_e32 v25, 32, v22
	v_subrev_u32_e32 v22, 28, v25
	v_lshlrev_b64 v[22:23], v22, v[16:17]
	v_and_b32_e32 v22, 7, v22
	v_cmp_gt_u32_e32 vcc, 8, v18
	v_lshrrev_b32_e32 v24, 3, v18
	v_sub_u32_e32 v16, 29, v25
	v_cndmask_b32_e32 v18, v21, v22, vcc
	v_mov_b32_e32 v21, 24
	v_cndmask_b32_e32 v16, v24, v16, vcc
	v_lshlrev_b32_sdwa v21, v21, v10 dst_sel:DWORD dst_unused:UNUSED_PAD src0_sel:DWORD src1_sel:WORD_1
	v_bfrev_b32_e32 v22, 60
	v_lshlrev_b32_e32 v18, 20, v18
	v_and_b32_e32 v21, 0x80000000, v21
	v_lshl_add_u32 v16, v16, 23, v22
	v_or3_b32 v16, v21, v16, v18
	v_lshrrev_b32_e32 v21, 16, v16
.LBB694_516:
	s_or_b64 exec, exec, s[10:11]
.LBB694_517:
	s_or_b64 exec, exec, s[6:7]
.LBB694_518:
	s_or_b64 exec, exec, s[0:1]
	s_mov_b32 s0, 0xffffff
	v_cmp_lt_u32_e32 vcc, s0, v10
	v_mov_b32_e32 v22, 0
	s_and_saveexec_b64 s[0:1], vcc
	s_cbranch_execz .LBB694_524
; %bb.519:
	v_lshrrev_b32_e32 v16, 24, v10
	s_movk_i32 s3, 0x80
	v_cmp_ne_u32_e32 vcc, s3, v16
	v_mov_b32_e32 v22, 0xffff8000
	s_and_saveexec_b64 s[6:7], vcc
	s_cbranch_execz .LBB694_523
; %bb.520:
	v_bfe_u32 v18, v10, 24, 7
	s_movk_i32 s3, 0x7f
	v_cmp_ne_u32_e32 vcc, s3, v18
	v_mov_b32_e32 v22, 0x7f80
	s_and_saveexec_b64 s[10:11], vcc
	s_cbranch_execz .LBB694_522
; %bb.521:
	v_and_b32_e32 v24, 7, v16
	v_ffbh_u32_e32 v22, v24
	v_min_u32_e32 v26, 32, v22
	v_subrev_u32_e32 v22, 28, v26
	v_lshlrev_b64 v[22:23], v22, v[16:17]
	v_lshrrev_b32_e32 v25, 3, v18
	v_sub_u32_e32 v23, 29, v26
	v_and_b32_e32 v22, 7, v22
	v_cmp_gt_u32_e32 vcc, 8, v18
	v_cndmask_b32_e32 v18, v25, v23, vcc
	v_cndmask_b32_e32 v22, v24, v22, vcc
	v_lshlrev_b32_e32 v16, 24, v16
	v_bfrev_b32_e32 v23, 60
	v_lshlrev_b32_e32 v22, 20, v22
	v_and_b32_e32 v16, 0x80000000, v16
	v_lshl_add_u32 v18, v18, 23, v23
	v_or3_b32 v16, v16, v18, v22
	v_lshrrev_b32_e32 v22, 16, v16
.LBB694_522:
	s_or_b64 exec, exec, s[10:11]
.LBB694_523:
	s_or_b64 exec, exec, s[6:7]
.LBB694_524:
	s_or_b64 exec, exec, s[0:1]
	v_mov_b32_e32 v23, 0
	v_mov_b32_e32 v16, v11
	v_cmp_ne_u16_sdwa s[6:7], v11, v23 src0_sel:BYTE_0 src1_sel:DWORD
	v_mov_b32_e32 v24, 0
	s_and_saveexec_b64 s[0:1], s[6:7]
	s_cbranch_execz .LBB694_530
; %bb.525:
	s_movk_i32 s3, 0x80
	v_cmp_ne_u16_sdwa s[10:11], v11, s3 src0_sel:BYTE_0 src1_sel:DWORD
	v_mov_b32_e32 v24, 0xffff8000
	s_and_saveexec_b64 s[6:7], s[10:11]
	s_cbranch_execz .LBB694_529
; %bb.526:
	s_movk_i32 s3, 0x7f
	v_and_b32_e32 v18, 0x7f, v11
	v_cmp_ne_u32_e32 vcc, s3, v18
	v_mov_b32_e32 v24, 0x7f80
	s_and_saveexec_b64 s[10:11], vcc
	s_cbranch_execz .LBB694_528
; %bb.527:
	v_and_b32_e32 v24, 7, v11
	v_ffbh_u32_e32 v24, v24
	v_min_u32_e32 v24, 32, v24
	v_lshrrev_b32_e32 v25, 3, v18
	v_subrev_u32_e32 v26, 28, v24
	v_sub_u32_e32 v24, 29, v24
	v_cmp_gt_u32_e32 vcc, 8, v18
	v_cndmask_b32_e32 v18, v25, v24, vcc
	v_cndmask_b32_e32 v24, 0, v26, vcc
	v_lshlrev_b64 v[24:25], v24, v[16:17]
	v_lshlrev_b32_e32 v17, 20, v24
	v_lshlrev_b32_e32 v24, 24, v16
	v_bfrev_b32_e32 v25, 60
	v_and_b32_e32 v17, 0x700000, v17
	v_and_b32_e32 v24, 0x80000000, v24
	v_lshl_add_u32 v18, v18, 23, v25
	v_or3_b32 v17, v24, v18, v17
	v_lshrrev_b32_e32 v24, 16, v17
.LBB694_528:
	s_or_b64 exec, exec, s[10:11]
.LBB694_529:
	s_or_b64 exec, exec, s[6:7]
.LBB694_530:
	s_or_b64 exec, exec, s[0:1]
	v_lshrrev_b16_e32 v18, 8, v16
	v_cmp_ne_u16_e32 vcc, 0, v18
	s_and_saveexec_b64 s[0:1], vcc
	s_cbranch_execz .LBB694_536
; %bb.531:
	s_movk_i32 s3, 0x80
	v_cmp_ne_u16_e32 vcc, s3, v18
	v_mov_b32_e32 v23, 0xffff8000
	s_and_saveexec_b64 s[6:7], vcc
	s_cbranch_execz .LBB694_535
; %bb.532:
	s_movk_i32 s3, 0x7f
	v_and_b32_e32 v17, 0x7f, v18
	v_cmp_ne_u32_e32 vcc, s3, v17
	v_mov_b32_e32 v23, 0x7f80
	s_and_saveexec_b64 s[10:11], vcc
	s_cbranch_execz .LBB694_534
; %bb.533:
	v_and_b32_e32 v23, 7, v18
	v_ffbh_u32_e32 v26, v23
	v_min_u32_e32 v28, 32, v26
	v_subrev_u32_e32 v26, 28, v28
	v_lshlrev_b64 v[26:27], v26, v[18:19]
	v_lshrrev_b32_e32 v25, 3, v17
	v_sub_u32_e32 v18, 29, v28
	v_and_b32_e32 v26, 7, v26
	v_cmp_gt_u32_e32 vcc, 8, v17
	v_cndmask_b32_e32 v17, v25, v18, vcc
	v_cndmask_b32_e32 v18, v23, v26, vcc
	v_lshlrev_b32_e32 v16, 16, v16
	v_bfrev_b32_e32 v23, 60
	v_lshlrev_b32_e32 v18, 20, v18
	v_and_b32_e32 v16, 0x80000000, v16
	v_lshl_add_u32 v17, v17, 23, v23
	v_or3_b32 v16, v16, v17, v18
	v_lshrrev_b32_e32 v23, 16, v16
.LBB694_534:
	s_or_b64 exec, exec, s[10:11]
.LBB694_535:
	s_or_b64 exec, exec, s[6:7]
.LBB694_536:
	s_or_b64 exec, exec, s[0:1]
	s_movk_i32 s0, 0xff
	v_and_b32_sdwa v25, v11, s0 dst_sel:DWORD dst_unused:UNUSED_PAD src0_sel:WORD_1 src1_sel:DWORD
	v_lshrrev_b32_e32 v16, 16, v11
	v_cmp_ne_u16_e32 vcc, 0, v25
	v_mov_b32_e32 v17, 0
	v_mov_b32_e32 v18, 0
	s_and_saveexec_b64 s[0:1], vcc
	s_cbranch_execz .LBB694_542
; %bb.537:
	s_movk_i32 s3, 0x80
	v_cmp_ne_u16_e32 vcc, s3, v25
	v_mov_b32_e32 v18, 0xffff8000
	s_and_saveexec_b64 s[6:7], vcc
	s_cbranch_execz .LBB694_541
; %bb.538:
	v_bfe_u32 v25, v11, 16, 7
	s_movk_i32 s3, 0x7f
	v_cmp_ne_u32_e32 vcc, s3, v25
	v_mov_b32_e32 v18, 0x7f80
	s_and_saveexec_b64 s[10:11], vcc
	s_cbranch_execz .LBB694_540
; %bb.539:
	v_and_b32_e32 v18, 7, v16
	v_ffbh_u32_e32 v26, v18
	v_min_u32_e32 v29, 32, v26
	v_subrev_u32_e32 v26, 28, v29
	v_lshlrev_b64 v[26:27], v26, v[16:17]
	v_lshrrev_b32_e32 v28, 3, v25
	v_sub_u32_e32 v16, 29, v29
	v_and_b32_e32 v26, 7, v26
	v_cmp_gt_u32_e32 vcc, 8, v25
	v_mov_b32_e32 v25, 24
	v_cndmask_b32_e32 v16, v28, v16, vcc
	v_cndmask_b32_e32 v18, v18, v26, vcc
	v_lshlrev_b32_sdwa v25, v25, v11 dst_sel:DWORD dst_unused:UNUSED_PAD src0_sel:DWORD src1_sel:WORD_1
	v_bfrev_b32_e32 v26, 60
	v_lshlrev_b32_e32 v18, 20, v18
	v_and_b32_e32 v25, 0x80000000, v25
	v_lshl_add_u32 v16, v16, 23, v26
	v_or3_b32 v16, v25, v16, v18
	v_lshrrev_b32_e32 v18, 16, v16
.LBB694_540:
	s_or_b64 exec, exec, s[10:11]
.LBB694_541:
	s_or_b64 exec, exec, s[6:7]
.LBB694_542:
	s_or_b64 exec, exec, s[0:1]
	s_mov_b32 s0, -1
	s_mov_b32 s1, 0xffffff
	v_cmp_lt_u64_e32 vcc, s[0:1], v[10:11]
	s_and_saveexec_b64 s[0:1], vcc
	s_cbranch_execz .LBB694_548
; %bb.543:
	v_lshrrev_b32_e32 v10, 24, v11
	s_movk_i32 s3, 0x80
	v_cmp_ne_u32_e32 vcc, s3, v10
	v_mov_b32_e32 v17, 0xffff8000
	s_and_saveexec_b64 s[6:7], vcc
	s_cbranch_execz .LBB694_547
; %bb.544:
	v_bfe_u32 v11, v11, 24, 7
	s_movk_i32 s3, 0x7f
	v_cmp_ne_u32_e32 vcc, s3, v11
	v_mov_b32_e32 v17, 0x7f80
	s_and_saveexec_b64 s[10:11], vcc
	s_cbranch_execz .LBB694_546
; %bb.545:
	v_and_b32_e32 v25, 7, v10
	v_ffbh_u32_e32 v16, v25
	v_min_u32_e32 v27, 32, v16
	v_subrev_u32_e32 v16, 28, v27
	v_lshlrev_b64 v[16:17], v16, v[10:11]
	v_lshrrev_b32_e32 v26, 3, v11
	v_sub_u32_e32 v17, 29, v27
	v_and_b32_e32 v16, 7, v16
	v_cmp_gt_u32_e32 vcc, 8, v11
	v_cndmask_b32_e32 v11, v26, v17, vcc
	v_cndmask_b32_e32 v16, v25, v16, vcc
	v_lshlrev_b32_e32 v10, 24, v10
	v_bfrev_b32_e32 v17, 60
	v_lshlrev_b32_e32 v16, 20, v16
	v_and_b32_e32 v10, 0x80000000, v10
	v_lshl_add_u32 v11, v11, 23, v17
	v_or3_b32 v10, v10, v11, v16
	v_lshrrev_b32_e32 v17, 16, v10
.LBB694_546:
	s_or_b64 exec, exec, s[10:11]
.LBB694_547:
	s_or_b64 exec, exec, s[6:7]
.LBB694_548:
	s_or_b64 exec, exec, s[0:1]
	s_mov_b32 s0, 0x5040100
	v_perm_b32 v11, v22, v21, s0
	v_perm_b32 v10, v19, v20, s0
	v_perm_b32 v17, v17, v18, s0
	v_perm_b32 v16, v23, v24, s0
	v_mfma_f32_4x4x4bf16_1k a[0:3], v[14:15], v[10:11], a[0:3] cbsz:4 abid:4
	v_mov_b32_e32 v18, 0
	v_mfma_f32_4x4x4bf16_1k a[0:3], v[14:15], v[16:17], a[0:3] cbsz:4 abid:5
	v_mov_b32_e32 v17, 0
	v_cmp_ne_u16_sdwa s[6:7], v12, v17 src0_sel:BYTE_0 src1_sel:DWORD
	s_and_saveexec_b64 s[0:1], s[6:7]
	s_cbranch_execz .LBB694_554
; %bb.549:
	s_movk_i32 s3, 0x80
	v_cmp_ne_u16_sdwa s[10:11], v12, s3 src0_sel:BYTE_0 src1_sel:DWORD
	v_mov_b32_e32 v18, 0xffff8000
	s_and_saveexec_b64 s[6:7], s[10:11]
	s_cbranch_execz .LBB694_553
; %bb.550:
	s_movk_i32 s3, 0x7f
	v_and_b32_e32 v10, 0x7f, v12
	v_cmp_ne_u32_e32 vcc, s3, v10
	v_mov_b32_e32 v18, 0x7f80
	s_and_saveexec_b64 s[10:11], vcc
	s_cbranch_execz .LBB694_552
; %bb.551:
	v_and_b32_e32 v11, 7, v12
	v_ffbh_u32_e32 v11, v11
	v_min_u32_e32 v11, 32, v11
	v_subrev_u32_e32 v18, 28, v11
	v_cmp_gt_u32_e32 vcc, 8, v10
	v_lshrrev_b32_e32 v16, 3, v10
	v_sub_u32_e32 v11, 29, v11
	v_cndmask_b32_e32 v10, 0, v18, vcc
	v_cndmask_b32_e32 v16, v16, v11, vcc
	v_lshlrev_b64 v[10:11], v10, v[12:13]
	v_lshlrev_b32_e32 v10, 20, v10
	v_lshlrev_b32_e32 v11, 24, v12
	v_bfrev_b32_e32 v18, 60
	v_and_b32_e32 v10, 0x700000, v10
	v_and_b32_e32 v11, 0x80000000, v11
	v_lshl_add_u32 v16, v16, 23, v18
	v_or3_b32 v10, v11, v16, v10
	v_lshrrev_b32_e32 v18, 16, v10
.LBB694_552:
	s_or_b64 exec, exec, s[10:11]
.LBB694_553:
	s_or_b64 exec, exec, s[6:7]
.LBB694_554:
	s_or_b64 exec, exec, s[0:1]
	v_lshrrev_b16_e32 v10, 8, v12
	v_cmp_ne_u16_e32 vcc, 0, v10
	s_and_saveexec_b64 s[0:1], vcc
	s_cbranch_execz .LBB694_560
; %bb.555:
	s_movk_i32 s3, 0x80
	v_cmp_ne_u16_e32 vcc, s3, v10
	v_mov_b32_e32 v17, 0xffff8000
	s_and_saveexec_b64 s[6:7], vcc
	s_cbranch_execz .LBB694_559
; %bb.556:
	s_movk_i32 s3, 0x7f
	v_and_b32_e32 v11, 0x7f, v10
	v_cmp_ne_u32_e32 vcc, s3, v11
	v_mov_b32_e32 v17, 0x7f80
	s_and_saveexec_b64 s[10:11], vcc
	s_cbranch_execz .LBB694_558
; %bb.557:
	v_and_b32_e32 v19, 7, v10
	v_ffbh_u32_e32 v16, v19
	v_min_u32_e32 v21, 32, v16
	v_subrev_u32_e32 v16, 28, v21
	v_lshlrev_b64 v[16:17], v16, v[10:11]
	v_lshrrev_b32_e32 v20, 3, v11
	v_sub_u32_e32 v10, 29, v21
	v_and_b32_e32 v16, 7, v16
	v_cmp_gt_u32_e32 vcc, 8, v11
	v_cndmask_b32_e32 v10, v20, v10, vcc
	v_cndmask_b32_e32 v11, v19, v16, vcc
	v_lshlrev_b32_e32 v16, 16, v12
	v_bfrev_b32_e32 v17, 60
	v_lshlrev_b32_e32 v11, 20, v11
	v_and_b32_e32 v16, 0x80000000, v16
	v_lshl_add_u32 v10, v10, 23, v17
	v_or3_b32 v10, v16, v10, v11
	v_lshrrev_b32_e32 v17, 16, v10
.LBB694_558:
	s_or_b64 exec, exec, s[10:11]
.LBB694_559:
	s_or_b64 exec, exec, s[6:7]
.LBB694_560:
	s_or_b64 exec, exec, s[0:1]
	s_movk_i32 s0, 0xff
	v_and_b32_sdwa v16, v12, s0 dst_sel:DWORD dst_unused:UNUSED_PAD src0_sel:WORD_1 src1_sel:DWORD
	v_lshrrev_b32_e32 v10, 16, v12
	v_cmp_ne_u16_e32 vcc, 0, v16
	v_mov_b32_e32 v11, 0
	v_mov_b32_e32 v19, 0
	s_and_saveexec_b64 s[0:1], vcc
	s_cbranch_execz .LBB694_566
; %bb.561:
	s_movk_i32 s3, 0x80
	v_cmp_ne_u16_e32 vcc, s3, v16
	v_mov_b32_e32 v19, 0xffff8000
	s_and_saveexec_b64 s[6:7], vcc
	s_cbranch_execz .LBB694_565
; %bb.562:
	v_bfe_u32 v16, v12, 16, 7
	s_movk_i32 s3, 0x7f
	v_cmp_ne_u32_e32 vcc, s3, v16
	v_mov_b32_e32 v19, 0x7f80
	s_and_saveexec_b64 s[10:11], vcc
	s_cbranch_execz .LBB694_564
; %bb.563:
	v_and_b32_e32 v19, 7, v10
	v_ffbh_u32_e32 v20, v19
	v_min_u32_e32 v23, 32, v20
	v_subrev_u32_e32 v20, 28, v23
	v_lshlrev_b64 v[20:21], v20, v[10:11]
	v_and_b32_e32 v20, 7, v20
	v_cmp_gt_u32_e32 vcc, 8, v16
	v_lshrrev_b32_e32 v22, 3, v16
	v_sub_u32_e32 v10, 29, v23
	v_cndmask_b32_e32 v16, v19, v20, vcc
	v_mov_b32_e32 v19, 24
	v_cndmask_b32_e32 v10, v22, v10, vcc
	v_lshlrev_b32_sdwa v19, v19, v12 dst_sel:DWORD dst_unused:UNUSED_PAD src0_sel:DWORD src1_sel:WORD_1
	v_bfrev_b32_e32 v20, 60
	v_lshlrev_b32_e32 v16, 20, v16
	v_and_b32_e32 v19, 0x80000000, v19
	v_lshl_add_u32 v10, v10, 23, v20
	v_or3_b32 v10, v19, v10, v16
	v_lshrrev_b32_e32 v19, 16, v10
.LBB694_564:
	s_or_b64 exec, exec, s[10:11]
.LBB694_565:
	s_or_b64 exec, exec, s[6:7]
.LBB694_566:
	s_or_b64 exec, exec, s[0:1]
	s_mov_b32 s0, 0xffffff
	v_cmp_lt_u32_e32 vcc, s0, v12
	v_mov_b32_e32 v20, 0
	s_and_saveexec_b64 s[0:1], vcc
	s_cbranch_execz .LBB694_572
; %bb.567:
	v_lshrrev_b32_e32 v10, 24, v12
	s_movk_i32 s3, 0x80
	v_cmp_ne_u32_e32 vcc, s3, v10
	v_mov_b32_e32 v20, 0xffff8000
	s_and_saveexec_b64 s[6:7], vcc
	s_cbranch_execz .LBB694_571
; %bb.568:
	v_bfe_u32 v16, v12, 24, 7
	s_movk_i32 s3, 0x7f
	v_cmp_ne_u32_e32 vcc, s3, v16
	v_mov_b32_e32 v20, 0x7f80
	s_and_saveexec_b64 s[10:11], vcc
	s_cbranch_execz .LBB694_570
; %bb.569:
	v_and_b32_e32 v22, 7, v10
	v_ffbh_u32_e32 v20, v22
	v_min_u32_e32 v24, 32, v20
	v_subrev_u32_e32 v20, 28, v24
	v_lshlrev_b64 v[20:21], v20, v[10:11]
	v_lshrrev_b32_e32 v23, 3, v16
	v_sub_u32_e32 v21, 29, v24
	v_and_b32_e32 v20, 7, v20
	v_cmp_gt_u32_e32 vcc, 8, v16
	v_cndmask_b32_e32 v16, v23, v21, vcc
	v_cndmask_b32_e32 v20, v22, v20, vcc
	v_lshlrev_b32_e32 v10, 24, v10
	v_bfrev_b32_e32 v21, 60
	v_lshlrev_b32_e32 v20, 20, v20
	v_and_b32_e32 v10, 0x80000000, v10
	v_lshl_add_u32 v16, v16, 23, v21
	v_or3_b32 v10, v10, v16, v20
	v_lshrrev_b32_e32 v20, 16, v10
.LBB694_570:
	s_or_b64 exec, exec, s[10:11]
.LBB694_571:
	s_or_b64 exec, exec, s[6:7]
.LBB694_572:
	s_or_b64 exec, exec, s[0:1]
	v_mov_b32_e32 v21, 0
	v_mov_b32_e32 v10, v13
	v_cmp_ne_u16_sdwa s[6:7], v13, v21 src0_sel:BYTE_0 src1_sel:DWORD
	v_mov_b32_e32 v22, 0
	s_and_saveexec_b64 s[0:1], s[6:7]
	s_cbranch_execz .LBB694_578
; %bb.573:
	s_movk_i32 s3, 0x80
	v_cmp_ne_u16_sdwa s[10:11], v13, s3 src0_sel:BYTE_0 src1_sel:DWORD
	v_mov_b32_e32 v22, 0xffff8000
	s_and_saveexec_b64 s[6:7], s[10:11]
	s_cbranch_execz .LBB694_577
; %bb.574:
	s_movk_i32 s3, 0x7f
	v_and_b32_e32 v16, 0x7f, v13
	v_cmp_ne_u32_e32 vcc, s3, v16
	v_mov_b32_e32 v22, 0x7f80
	s_and_saveexec_b64 s[10:11], vcc
	s_cbranch_execz .LBB694_576
; %bb.575:
	v_and_b32_e32 v22, 7, v13
	v_ffbh_u32_e32 v22, v22
	v_min_u32_e32 v22, 32, v22
	v_lshrrev_b32_e32 v23, 3, v16
	v_subrev_u32_e32 v24, 28, v22
	v_sub_u32_e32 v22, 29, v22
	v_cmp_gt_u32_e32 vcc, 8, v16
	v_cndmask_b32_e32 v16, v23, v22, vcc
	v_cndmask_b32_e32 v22, 0, v24, vcc
	v_lshlrev_b64 v[22:23], v22, v[10:11]
	v_lshlrev_b32_e32 v11, 20, v22
	v_lshlrev_b32_e32 v22, 24, v10
	v_bfrev_b32_e32 v23, 60
	v_and_b32_e32 v11, 0x700000, v11
	v_and_b32_e32 v22, 0x80000000, v22
	v_lshl_add_u32 v16, v16, 23, v23
	v_or3_b32 v11, v22, v16, v11
	v_lshrrev_b32_e32 v22, 16, v11
.LBB694_576:
	s_or_b64 exec, exec, s[10:11]
.LBB694_577:
	s_or_b64 exec, exec, s[6:7]
.LBB694_578:
	s_or_b64 exec, exec, s[0:1]
	v_lshrrev_b16_e32 v16, 8, v10
	v_cmp_ne_u16_e32 vcc, 0, v16
	s_and_saveexec_b64 s[0:1], vcc
	s_cbranch_execz .LBB694_584
; %bb.579:
	s_movk_i32 s3, 0x80
	v_cmp_ne_u16_e32 vcc, s3, v16
	v_mov_b32_e32 v21, 0xffff8000
	s_and_saveexec_b64 s[6:7], vcc
	s_cbranch_execz .LBB694_583
; %bb.580:
	s_movk_i32 s3, 0x7f
	v_and_b32_e32 v11, 0x7f, v16
	v_cmp_ne_u32_e32 vcc, s3, v11
	v_mov_b32_e32 v21, 0x7f80
	s_and_saveexec_b64 s[10:11], vcc
	s_cbranch_execz .LBB694_582
; %bb.581:
	v_and_b32_e32 v21, 7, v16
	v_ffbh_u32_e32 v24, v21
	v_min_u32_e32 v26, 32, v24
	v_subrev_u32_e32 v24, 28, v26
	v_lshlrev_b64 v[24:25], v24, v[16:17]
	v_lshrrev_b32_e32 v23, 3, v11
	v_sub_u32_e32 v16, 29, v26
	v_and_b32_e32 v24, 7, v24
	v_cmp_gt_u32_e32 vcc, 8, v11
	v_cndmask_b32_e32 v11, v23, v16, vcc
	v_cndmask_b32_e32 v16, v21, v24, vcc
	v_lshlrev_b32_e32 v10, 16, v10
	v_bfrev_b32_e32 v21, 60
	v_lshlrev_b32_e32 v16, 20, v16
	v_and_b32_e32 v10, 0x80000000, v10
	v_lshl_add_u32 v11, v11, 23, v21
	v_or3_b32 v10, v10, v11, v16
	v_lshrrev_b32_e32 v21, 16, v10
.LBB694_582:
	s_or_b64 exec, exec, s[10:11]
.LBB694_583:
	s_or_b64 exec, exec, s[6:7]
.LBB694_584:
	s_or_b64 exec, exec, s[0:1]
	s_movk_i32 s0, 0xff
	v_and_b32_sdwa v23, v13, s0 dst_sel:DWORD dst_unused:UNUSED_PAD src0_sel:WORD_1 src1_sel:DWORD
	v_lshrrev_b32_e32 v10, 16, v13
	v_cmp_ne_u16_e32 vcc, 0, v23
	v_mov_b32_e32 v11, 0
	v_mov_b32_e32 v16, 0
	s_and_saveexec_b64 s[0:1], vcc
	s_cbranch_execz .LBB694_590
; %bb.585:
	s_movk_i32 s3, 0x80
	v_cmp_ne_u16_e32 vcc, s3, v23
	v_mov_b32_e32 v16, 0xffff8000
	s_and_saveexec_b64 s[6:7], vcc
	s_cbranch_execz .LBB694_589
; %bb.586:
	v_bfe_u32 v23, v13, 16, 7
	s_movk_i32 s3, 0x7f
	v_cmp_ne_u32_e32 vcc, s3, v23
	v_mov_b32_e32 v16, 0x7f80
	s_and_saveexec_b64 s[10:11], vcc
	s_cbranch_execz .LBB694_588
; %bb.587:
	v_and_b32_e32 v16, 7, v10
	v_ffbh_u32_e32 v24, v16
	v_min_u32_e32 v27, 32, v24
	v_subrev_u32_e32 v24, 28, v27
	v_lshlrev_b64 v[24:25], v24, v[10:11]
	v_lshrrev_b32_e32 v26, 3, v23
	v_sub_u32_e32 v10, 29, v27
	v_and_b32_e32 v24, 7, v24
	v_cmp_gt_u32_e32 vcc, 8, v23
	v_mov_b32_e32 v23, 24
	v_cndmask_b32_e32 v10, v26, v10, vcc
	v_cndmask_b32_e32 v16, v16, v24, vcc
	v_lshlrev_b32_sdwa v23, v23, v13 dst_sel:DWORD dst_unused:UNUSED_PAD src0_sel:DWORD src1_sel:WORD_1
	v_bfrev_b32_e32 v24, 60
	v_lshlrev_b32_e32 v16, 20, v16
	v_and_b32_e32 v23, 0x80000000, v23
	v_lshl_add_u32 v10, v10, 23, v24
	v_or3_b32 v10, v23, v10, v16
	v_lshrrev_b32_e32 v16, 16, v10
.LBB694_588:
	s_or_b64 exec, exec, s[10:11]
.LBB694_589:
	s_or_b64 exec, exec, s[6:7]
.LBB694_590:
	s_or_b64 exec, exec, s[0:1]
	s_mov_b32 s0, -1
	s_mov_b32 s1, 0xffffff
	v_cmp_lt_u64_e32 vcc, s[0:1], v[12:13]
	s_and_saveexec_b64 s[0:1], vcc
	s_cbranch_execz .LBB694_596
; %bb.591:
	v_lshrrev_b32_e32 v10, 24, v13
	s_movk_i32 s3, 0x80
	v_cmp_ne_u32_e32 vcc, s3, v10
	v_mov_b32_e32 v11, 0xffff8000
	s_and_saveexec_b64 s[6:7], vcc
	s_cbranch_execz .LBB694_595
; %bb.592:
	v_bfe_u32 v12, v13, 24, 7
	s_movk_i32 s3, 0x7f
	v_cmp_ne_u32_e32 vcc, s3, v12
	v_mov_b32_e32 v11, 0x7f80
	s_and_saveexec_b64 s[10:11], vcc
	s_cbranch_execz .LBB694_594
; %bb.593:
	v_and_b32_e32 v11, 7, v10
	v_ffbh_u32_e32 v23, v11
	v_min_u32_e32 v23, 32, v23
	v_subrev_u32_e32 v24, 28, v23
	v_lshlrev_b64 v[24:25], v24, v[10:11]
	v_lshrrev_b32_e32 v13, 3, v12
	v_sub_u32_e32 v23, 29, v23
	v_and_b32_e32 v24, 7, v24
	v_cmp_gt_u32_e32 vcc, 8, v12
	v_cndmask_b32_e32 v12, v13, v23, vcc
	v_cndmask_b32_e32 v11, v11, v24, vcc
	v_lshlrev_b32_e32 v10, 24, v10
	v_bfrev_b32_e32 v13, 60
	v_lshlrev_b32_e32 v11, 20, v11
	v_and_b32_e32 v10, 0x80000000, v10
	v_lshl_add_u32 v12, v12, 23, v13
	v_or3_b32 v10, v10, v12, v11
	v_lshrrev_b32_e32 v11, 16, v10
.LBB694_594:
	s_or_b64 exec, exec, s[10:11]
.LBB694_595:
	s_or_b64 exec, exec, s[6:7]
.LBB694_596:
	s_or_b64 exec, exec, s[0:1]
	s_mov_b32 s0, 0x5040100
	v_perm_b32 v13, v20, v19, s0
	v_perm_b32 v12, v17, v18, s0
	;; [unrolled: 1-line block ×4, first 2 shown]
	v_mfma_f32_4x4x4bf16_1k a[0:3], v[14:15], v[12:13], a[0:3] cbsz:4 abid:6
	v_mov_b32_e32 v13, 0
	v_mfma_f32_4x4x4bf16_1k a[0:3], v[14:15], v[10:11], a[0:3] cbsz:4 abid:7
	s_waitcnt vmcnt(1)
	v_cmp_ne_u16_sdwa s[6:7], v6, v13 src0_sel:BYTE_0 src1_sel:DWORD
	v_mov_b32_e32 v16, 0
	s_and_saveexec_b64 s[0:1], s[6:7]
	s_cbranch_execz .LBB694_602
; %bb.597:
	s_movk_i32 s3, 0x80
	v_cmp_ne_u16_sdwa s[10:11], v6, s3 src0_sel:BYTE_0 src1_sel:DWORD
	v_mov_b32_e32 v16, 0xffff8000
	s_and_saveexec_b64 s[6:7], s[10:11]
	s_cbranch_execz .LBB694_601
; %bb.598:
	s_movk_i32 s3, 0x7f
	v_and_b32_e32 v10, 0x7f, v6
	v_cmp_ne_u32_e32 vcc, s3, v10
	v_mov_b32_e32 v16, 0x7f80
	s_and_saveexec_b64 s[10:11], vcc
	s_cbranch_execz .LBB694_600
; %bb.599:
	v_and_b32_e32 v11, 7, v6
	v_ffbh_u32_e32 v11, v11
	v_min_u32_e32 v11, 32, v11
	v_subrev_u32_e32 v16, 28, v11
	v_cmp_gt_u32_e32 vcc, 8, v10
	v_lshrrev_b32_e32 v12, 3, v10
	v_sub_u32_e32 v11, 29, v11
	v_cndmask_b32_e32 v10, 0, v16, vcc
	v_cndmask_b32_e32 v12, v12, v11, vcc
	v_lshlrev_b64 v[10:11], v10, v[6:7]
	v_lshlrev_b32_e32 v10, 20, v10
	v_lshlrev_b32_e32 v11, 24, v6
	v_bfrev_b32_e32 v16, 60
	v_and_b32_e32 v10, 0x700000, v10
	v_and_b32_e32 v11, 0x80000000, v11
	v_lshl_add_u32 v12, v12, 23, v16
	v_or3_b32 v10, v11, v12, v10
	v_lshrrev_b32_e32 v16, 16, v10
.LBB694_600:
	s_or_b64 exec, exec, s[10:11]
.LBB694_601:
	s_or_b64 exec, exec, s[6:7]
.LBB694_602:
	s_or_b64 exec, exec, s[0:1]
	v_lshrrev_b16_e32 v10, 8, v6
	v_cmp_ne_u16_e32 vcc, 0, v10
	s_and_saveexec_b64 s[0:1], vcc
	s_cbranch_execz .LBB694_608
; %bb.603:
	s_movk_i32 s3, 0x80
	v_cmp_ne_u16_e32 vcc, s3, v10
	v_mov_b32_e32 v13, 0xffff8000
	s_and_saveexec_b64 s[6:7], vcc
	s_cbranch_execz .LBB694_607
; %bb.604:
	s_movk_i32 s3, 0x7f
	v_and_b32_e32 v11, 0x7f, v10
	v_cmp_ne_u32_e32 vcc, s3, v11
	v_mov_b32_e32 v13, 0x7f80
	s_and_saveexec_b64 s[10:11], vcc
	s_cbranch_execz .LBB694_606
; %bb.605:
	v_and_b32_e32 v17, 7, v10
	v_ffbh_u32_e32 v12, v17
	v_min_u32_e32 v19, 32, v12
	v_subrev_u32_e32 v12, 28, v19
	v_lshlrev_b64 v[12:13], v12, v[10:11]
	v_lshrrev_b32_e32 v18, 3, v11
	v_sub_u32_e32 v10, 29, v19
	v_and_b32_e32 v12, 7, v12
	v_cmp_gt_u32_e32 vcc, 8, v11
	v_cndmask_b32_e32 v10, v18, v10, vcc
	v_cndmask_b32_e32 v11, v17, v12, vcc
	v_lshlrev_b32_e32 v12, 16, v6
	v_bfrev_b32_e32 v13, 60
	v_lshlrev_b32_e32 v11, 20, v11
	v_and_b32_e32 v12, 0x80000000, v12
	v_lshl_add_u32 v10, v10, 23, v13
	v_or3_b32 v10, v12, v10, v11
	v_lshrrev_b32_e32 v13, 16, v10
.LBB694_606:
	s_or_b64 exec, exec, s[10:11]
.LBB694_607:
	s_or_b64 exec, exec, s[6:7]
.LBB694_608:
	s_or_b64 exec, exec, s[0:1]
	s_movk_i32 s0, 0xff
	v_and_b32_sdwa v12, v6, s0 dst_sel:DWORD dst_unused:UNUSED_PAD src0_sel:WORD_1 src1_sel:DWORD
	v_lshrrev_b32_e32 v10, 16, v6
	v_cmp_ne_u16_e32 vcc, 0, v12
	v_mov_b32_e32 v11, 0
	v_mov_b32_e32 v17, 0
	s_and_saveexec_b64 s[0:1], vcc
	s_cbranch_execz .LBB694_614
; %bb.609:
	s_movk_i32 s3, 0x80
	v_cmp_ne_u16_e32 vcc, s3, v12
	v_mov_b32_e32 v17, 0xffff8000
	s_and_saveexec_b64 s[6:7], vcc
	s_cbranch_execz .LBB694_613
; %bb.610:
	v_bfe_u32 v12, v6, 16, 7
	s_movk_i32 s3, 0x7f
	v_cmp_ne_u32_e32 vcc, s3, v12
	v_mov_b32_e32 v17, 0x7f80
	s_and_saveexec_b64 s[10:11], vcc
	s_cbranch_execz .LBB694_612
; %bb.611:
	v_and_b32_e32 v17, 7, v10
	v_ffbh_u32_e32 v18, v17
	v_min_u32_e32 v21, 32, v18
	v_subrev_u32_e32 v18, 28, v21
	v_lshlrev_b64 v[18:19], v18, v[10:11]
	v_and_b32_e32 v18, 7, v18
	v_cmp_gt_u32_e32 vcc, 8, v12
	v_lshrrev_b32_e32 v20, 3, v12
	v_sub_u32_e32 v10, 29, v21
	v_cndmask_b32_e32 v12, v17, v18, vcc
	v_mov_b32_e32 v17, 24
	v_cndmask_b32_e32 v10, v20, v10, vcc
	v_lshlrev_b32_sdwa v17, v17, v6 dst_sel:DWORD dst_unused:UNUSED_PAD src0_sel:DWORD src1_sel:WORD_1
	v_bfrev_b32_e32 v18, 60
	v_lshlrev_b32_e32 v12, 20, v12
	v_and_b32_e32 v17, 0x80000000, v17
	v_lshl_add_u32 v10, v10, 23, v18
	v_or3_b32 v10, v17, v10, v12
	v_lshrrev_b32_e32 v17, 16, v10
.LBB694_612:
	s_or_b64 exec, exec, s[10:11]
.LBB694_613:
	s_or_b64 exec, exec, s[6:7]
.LBB694_614:
	s_or_b64 exec, exec, s[0:1]
	s_mov_b32 s0, 0xffffff
	v_cmp_lt_u32_e32 vcc, s0, v6
	v_mov_b32_e32 v18, 0
	s_and_saveexec_b64 s[0:1], vcc
	s_cbranch_execz .LBB694_620
; %bb.615:
	v_lshrrev_b32_e32 v10, 24, v6
	s_movk_i32 s3, 0x80
	v_cmp_ne_u32_e32 vcc, s3, v10
	v_mov_b32_e32 v18, 0xffff8000
	s_and_saveexec_b64 s[6:7], vcc
	s_cbranch_execz .LBB694_619
; %bb.616:
	v_bfe_u32 v12, v6, 24, 7
	s_movk_i32 s3, 0x7f
	v_cmp_ne_u32_e32 vcc, s3, v12
	v_mov_b32_e32 v18, 0x7f80
	s_and_saveexec_b64 s[10:11], vcc
	s_cbranch_execz .LBB694_618
; %bb.617:
	v_and_b32_e32 v20, 7, v10
	v_ffbh_u32_e32 v18, v20
	v_min_u32_e32 v22, 32, v18
	v_subrev_u32_e32 v18, 28, v22
	v_lshlrev_b64 v[18:19], v18, v[10:11]
	v_lshrrev_b32_e32 v21, 3, v12
	v_sub_u32_e32 v19, 29, v22
	v_and_b32_e32 v18, 7, v18
	v_cmp_gt_u32_e32 vcc, 8, v12
	v_cndmask_b32_e32 v12, v21, v19, vcc
	v_cndmask_b32_e32 v18, v20, v18, vcc
	v_lshlrev_b32_e32 v10, 24, v10
	v_bfrev_b32_e32 v19, 60
	v_lshlrev_b32_e32 v18, 20, v18
	v_and_b32_e32 v10, 0x80000000, v10
	v_lshl_add_u32 v12, v12, 23, v19
	v_or3_b32 v10, v10, v12, v18
	v_lshrrev_b32_e32 v18, 16, v10
.LBB694_618:
	s_or_b64 exec, exec, s[10:11]
.LBB694_619:
	s_or_b64 exec, exec, s[6:7]
.LBB694_620:
	s_or_b64 exec, exec, s[0:1]
	v_mov_b32_e32 v19, 0
	v_mov_b32_e32 v10, v7
	v_cmp_ne_u16_sdwa s[6:7], v7, v19 src0_sel:BYTE_0 src1_sel:DWORD
	v_mov_b32_e32 v20, 0
	s_and_saveexec_b64 s[0:1], s[6:7]
	s_cbranch_execz .LBB694_626
; %bb.621:
	s_movk_i32 s3, 0x80
	v_cmp_ne_u16_sdwa s[10:11], v7, s3 src0_sel:BYTE_0 src1_sel:DWORD
	v_mov_b32_e32 v20, 0xffff8000
	s_and_saveexec_b64 s[6:7], s[10:11]
	s_cbranch_execz .LBB694_625
; %bb.622:
	s_movk_i32 s3, 0x7f
	v_and_b32_e32 v12, 0x7f, v7
	v_cmp_ne_u32_e32 vcc, s3, v12
	v_mov_b32_e32 v20, 0x7f80
	s_and_saveexec_b64 s[10:11], vcc
	s_cbranch_execz .LBB694_624
; %bb.623:
	v_and_b32_e32 v20, 7, v7
	v_ffbh_u32_e32 v20, v20
	v_min_u32_e32 v20, 32, v20
	v_lshrrev_b32_e32 v21, 3, v12
	v_subrev_u32_e32 v22, 28, v20
	v_sub_u32_e32 v20, 29, v20
	v_cmp_gt_u32_e32 vcc, 8, v12
	v_cndmask_b32_e32 v12, v21, v20, vcc
	v_cndmask_b32_e32 v20, 0, v22, vcc
	v_lshlrev_b64 v[20:21], v20, v[10:11]
	v_lshlrev_b32_e32 v11, 20, v20
	v_lshlrev_b32_e32 v20, 24, v10
	v_bfrev_b32_e32 v21, 60
	v_and_b32_e32 v11, 0x700000, v11
	v_and_b32_e32 v20, 0x80000000, v20
	v_lshl_add_u32 v12, v12, 23, v21
	v_or3_b32 v11, v20, v12, v11
	v_lshrrev_b32_e32 v20, 16, v11
.LBB694_624:
	s_or_b64 exec, exec, s[10:11]
.LBB694_625:
	s_or_b64 exec, exec, s[6:7]
.LBB694_626:
	s_or_b64 exec, exec, s[0:1]
	v_lshrrev_b16_e32 v12, 8, v10
	v_cmp_ne_u16_e32 vcc, 0, v12
	s_and_saveexec_b64 s[0:1], vcc
	s_cbranch_execz .LBB694_632
; %bb.627:
	s_movk_i32 s3, 0x80
	v_cmp_ne_u16_e32 vcc, s3, v12
	v_mov_b32_e32 v19, 0xffff8000
	s_and_saveexec_b64 s[6:7], vcc
	s_cbranch_execz .LBB694_631
; %bb.628:
	s_movk_i32 s3, 0x7f
	v_and_b32_e32 v11, 0x7f, v12
	v_cmp_ne_u32_e32 vcc, s3, v11
	v_mov_b32_e32 v19, 0x7f80
	s_and_saveexec_b64 s[10:11], vcc
	s_cbranch_execz .LBB694_630
; %bb.629:
	v_and_b32_e32 v19, 7, v12
	v_ffbh_u32_e32 v22, v19
	v_min_u32_e32 v24, 32, v22
	v_subrev_u32_e32 v22, 28, v24
	v_lshlrev_b64 v[22:23], v22, v[12:13]
	v_lshrrev_b32_e32 v21, 3, v11
	v_sub_u32_e32 v12, 29, v24
	v_and_b32_e32 v22, 7, v22
	v_cmp_gt_u32_e32 vcc, 8, v11
	v_cndmask_b32_e32 v11, v21, v12, vcc
	v_cndmask_b32_e32 v12, v19, v22, vcc
	v_lshlrev_b32_e32 v10, 16, v10
	v_bfrev_b32_e32 v19, 60
	v_lshlrev_b32_e32 v12, 20, v12
	v_and_b32_e32 v10, 0x80000000, v10
	v_lshl_add_u32 v11, v11, 23, v19
	v_or3_b32 v10, v10, v11, v12
	v_lshrrev_b32_e32 v19, 16, v10
.LBB694_630:
	s_or_b64 exec, exec, s[10:11]
.LBB694_631:
	s_or_b64 exec, exec, s[6:7]
.LBB694_632:
	s_or_b64 exec, exec, s[0:1]
	s_movk_i32 s0, 0xff
	v_and_b32_sdwa v21, v7, s0 dst_sel:DWORD dst_unused:UNUSED_PAD src0_sel:WORD_1 src1_sel:DWORD
	v_lshrrev_b32_e32 v10, 16, v7
	v_cmp_ne_u16_e32 vcc, 0, v21
	v_mov_b32_e32 v11, 0
	v_mov_b32_e32 v12, 0
	s_and_saveexec_b64 s[0:1], vcc
	s_cbranch_execz .LBB694_638
; %bb.633:
	s_movk_i32 s3, 0x80
	v_cmp_ne_u16_e32 vcc, s3, v21
	v_mov_b32_e32 v12, 0xffff8000
	s_and_saveexec_b64 s[6:7], vcc
	s_cbranch_execz .LBB694_637
; %bb.634:
	v_bfe_u32 v21, v7, 16, 7
	s_movk_i32 s3, 0x7f
	v_cmp_ne_u32_e32 vcc, s3, v21
	v_mov_b32_e32 v12, 0x7f80
	s_and_saveexec_b64 s[10:11], vcc
	s_cbranch_execz .LBB694_636
; %bb.635:
	v_and_b32_e32 v12, 7, v10
	v_ffbh_u32_e32 v22, v12
	v_min_u32_e32 v25, 32, v22
	v_subrev_u32_e32 v22, 28, v25
	v_lshlrev_b64 v[22:23], v22, v[10:11]
	v_lshrrev_b32_e32 v24, 3, v21
	v_sub_u32_e32 v10, 29, v25
	v_and_b32_e32 v22, 7, v22
	v_cmp_gt_u32_e32 vcc, 8, v21
	v_mov_b32_e32 v21, 24
	v_cndmask_b32_e32 v10, v24, v10, vcc
	v_cndmask_b32_e32 v12, v12, v22, vcc
	v_lshlrev_b32_sdwa v21, v21, v7 dst_sel:DWORD dst_unused:UNUSED_PAD src0_sel:DWORD src1_sel:WORD_1
	v_bfrev_b32_e32 v22, 60
	v_lshlrev_b32_e32 v12, 20, v12
	v_and_b32_e32 v21, 0x80000000, v21
	v_lshl_add_u32 v10, v10, 23, v22
	v_or3_b32 v10, v21, v10, v12
	v_lshrrev_b32_e32 v12, 16, v10
.LBB694_636:
	s_or_b64 exec, exec, s[10:11]
.LBB694_637:
	s_or_b64 exec, exec, s[6:7]
.LBB694_638:
	s_or_b64 exec, exec, s[0:1]
	s_mov_b32 s0, -1
	s_mov_b32 s1, 0xffffff
	v_cmp_lt_u64_e32 vcc, s[0:1], v[6:7]
	s_and_saveexec_b64 s[0:1], vcc
	s_cbranch_execz .LBB694_644
; %bb.639:
	v_lshrrev_b32_e32 v6, 24, v7
	s_movk_i32 s3, 0x80
	v_cmp_ne_u32_e32 vcc, s3, v6
	v_mov_b32_e32 v11, 0xffff8000
	s_and_saveexec_b64 s[6:7], vcc
	s_cbranch_execz .LBB694_643
; %bb.640:
	v_bfe_u32 v7, v7, 24, 7
	s_movk_i32 s3, 0x7f
	v_cmp_ne_u32_e32 vcc, s3, v7
	v_mov_b32_e32 v11, 0x7f80
	s_and_saveexec_b64 s[10:11], vcc
	s_cbranch_execz .LBB694_642
; %bb.641:
	v_and_b32_e32 v21, 7, v6
	v_ffbh_u32_e32 v10, v21
	v_min_u32_e32 v23, 32, v10
	v_subrev_u32_e32 v10, 28, v23
	v_lshlrev_b64 v[10:11], v10, v[6:7]
	v_lshrrev_b32_e32 v22, 3, v7
	v_sub_u32_e32 v11, 29, v23
	v_and_b32_e32 v10, 7, v10
	v_cmp_gt_u32_e32 vcc, 8, v7
	v_cndmask_b32_e32 v7, v22, v11, vcc
	v_cndmask_b32_e32 v10, v21, v10, vcc
	v_lshlrev_b32_e32 v6, 24, v6
	v_bfrev_b32_e32 v11, 60
	v_lshlrev_b32_e32 v10, 20, v10
	v_and_b32_e32 v6, 0x80000000, v6
	v_lshl_add_u32 v7, v7, 23, v11
	v_or3_b32 v6, v6, v7, v10
	v_lshrrev_b32_e32 v11, 16, v6
.LBB694_642:
	s_or_b64 exec, exec, s[10:11]
.LBB694_643:
	s_or_b64 exec, exec, s[6:7]
.LBB694_644:
	s_or_b64 exec, exec, s[0:1]
	s_mov_b32 s0, 0x5040100
	v_perm_b32 v7, v18, v17, s0
	v_perm_b32 v6, v13, v16, s0
	;; [unrolled: 1-line block ×4, first 2 shown]
	v_mfma_f32_4x4x4bf16_1k a[0:3], v[14:15], v[6:7], a[0:3] cbsz:4 abid:8
	v_mov_b32_e32 v12, 0
	v_mfma_f32_4x4x4bf16_1k a[0:3], v[14:15], v[10:11], a[0:3] cbsz:4 abid:9
	v_mov_b32_e32 v11, 0
	v_cmp_ne_u16_sdwa s[6:7], v8, v11 src0_sel:BYTE_0 src1_sel:DWORD
	s_and_saveexec_b64 s[0:1], s[6:7]
	s_cbranch_execz .LBB694_650
; %bb.645:
	s_movk_i32 s3, 0x80
	v_cmp_ne_u16_sdwa s[10:11], v8, s3 src0_sel:BYTE_0 src1_sel:DWORD
	v_mov_b32_e32 v12, 0xffff8000
	s_and_saveexec_b64 s[6:7], s[10:11]
	s_cbranch_execz .LBB694_649
; %bb.646:
	s_movk_i32 s3, 0x7f
	v_and_b32_e32 v6, 0x7f, v8
	v_cmp_ne_u32_e32 vcc, s3, v6
	v_mov_b32_e32 v12, 0x7f80
	s_and_saveexec_b64 s[10:11], vcc
	s_cbranch_execz .LBB694_648
; %bb.647:
	v_and_b32_e32 v7, 7, v8
	v_ffbh_u32_e32 v7, v7
	v_min_u32_e32 v7, 32, v7
	v_subrev_u32_e32 v12, 28, v7
	v_cmp_gt_u32_e32 vcc, 8, v6
	v_lshrrev_b32_e32 v10, 3, v6
	v_sub_u32_e32 v7, 29, v7
	v_cndmask_b32_e32 v6, 0, v12, vcc
	v_cndmask_b32_e32 v10, v10, v7, vcc
	v_lshlrev_b64 v[6:7], v6, v[8:9]
	v_lshlrev_b32_e32 v6, 20, v6
	v_lshlrev_b32_e32 v7, 24, v8
	v_bfrev_b32_e32 v12, 60
	v_and_b32_e32 v6, 0x700000, v6
	v_and_b32_e32 v7, 0x80000000, v7
	v_lshl_add_u32 v10, v10, 23, v12
	v_or3_b32 v6, v7, v10, v6
	v_lshrrev_b32_e32 v12, 16, v6
.LBB694_648:
	s_or_b64 exec, exec, s[10:11]
.LBB694_649:
	s_or_b64 exec, exec, s[6:7]
.LBB694_650:
	s_or_b64 exec, exec, s[0:1]
	v_lshrrev_b16_e32 v6, 8, v8
	v_cmp_ne_u16_e32 vcc, 0, v6
	s_and_saveexec_b64 s[0:1], vcc
	s_cbranch_execz .LBB694_656
; %bb.651:
	s_movk_i32 s3, 0x80
	v_cmp_ne_u16_e32 vcc, s3, v6
	v_mov_b32_e32 v11, 0xffff8000
	s_and_saveexec_b64 s[6:7], vcc
	s_cbranch_execz .LBB694_655
; %bb.652:
	s_movk_i32 s3, 0x7f
	v_and_b32_e32 v7, 0x7f, v6
	v_cmp_ne_u32_e32 vcc, s3, v7
	v_mov_b32_e32 v11, 0x7f80
	s_and_saveexec_b64 s[10:11], vcc
	s_cbranch_execz .LBB694_654
; %bb.653:
	v_and_b32_e32 v13, 7, v6
	v_ffbh_u32_e32 v10, v13
	v_min_u32_e32 v17, 32, v10
	v_subrev_u32_e32 v10, 28, v17
	v_lshlrev_b64 v[10:11], v10, v[6:7]
	v_lshrrev_b32_e32 v16, 3, v7
	v_sub_u32_e32 v6, 29, v17
	v_and_b32_e32 v10, 7, v10
	v_cmp_gt_u32_e32 vcc, 8, v7
	v_cndmask_b32_e32 v6, v16, v6, vcc
	v_cndmask_b32_e32 v7, v13, v10, vcc
	v_lshlrev_b32_e32 v10, 16, v8
	v_bfrev_b32_e32 v11, 60
	v_lshlrev_b32_e32 v7, 20, v7
	v_and_b32_e32 v10, 0x80000000, v10
	v_lshl_add_u32 v6, v6, 23, v11
	v_or3_b32 v6, v10, v6, v7
	v_lshrrev_b32_e32 v11, 16, v6
.LBB694_654:
	s_or_b64 exec, exec, s[10:11]
.LBB694_655:
	s_or_b64 exec, exec, s[6:7]
.LBB694_656:
	s_or_b64 exec, exec, s[0:1]
	s_movk_i32 s0, 0xff
	v_and_b32_sdwa v10, v8, s0 dst_sel:DWORD dst_unused:UNUSED_PAD src0_sel:WORD_1 src1_sel:DWORD
	v_lshrrev_b32_e32 v6, 16, v8
	v_cmp_ne_u16_e32 vcc, 0, v10
	v_mov_b32_e32 v7, 0
	v_mov_b32_e32 v13, 0
	s_and_saveexec_b64 s[0:1], vcc
	s_cbranch_execz .LBB694_662
; %bb.657:
	s_movk_i32 s3, 0x80
	v_cmp_ne_u16_e32 vcc, s3, v10
	v_mov_b32_e32 v13, 0xffff8000
	s_and_saveexec_b64 s[6:7], vcc
	s_cbranch_execz .LBB694_661
; %bb.658:
	v_bfe_u32 v10, v8, 16, 7
	s_movk_i32 s3, 0x7f
	v_cmp_ne_u32_e32 vcc, s3, v10
	v_mov_b32_e32 v13, 0x7f80
	s_and_saveexec_b64 s[10:11], vcc
	s_cbranch_execz .LBB694_660
; %bb.659:
	v_and_b32_e32 v13, 7, v6
	v_ffbh_u32_e32 v16, v13
	v_min_u32_e32 v19, 32, v16
	v_subrev_u32_e32 v16, 28, v19
	v_lshlrev_b64 v[16:17], v16, v[6:7]
	v_and_b32_e32 v16, 7, v16
	v_cmp_gt_u32_e32 vcc, 8, v10
	v_lshrrev_b32_e32 v18, 3, v10
	v_sub_u32_e32 v6, 29, v19
	v_cndmask_b32_e32 v10, v13, v16, vcc
	v_mov_b32_e32 v13, 24
	v_cndmask_b32_e32 v6, v18, v6, vcc
	v_lshlrev_b32_sdwa v13, v13, v8 dst_sel:DWORD dst_unused:UNUSED_PAD src0_sel:DWORD src1_sel:WORD_1
	v_bfrev_b32_e32 v16, 60
	v_lshlrev_b32_e32 v10, 20, v10
	v_and_b32_e32 v13, 0x80000000, v13
	v_lshl_add_u32 v6, v6, 23, v16
	v_or3_b32 v6, v13, v6, v10
	v_lshrrev_b32_e32 v13, 16, v6
.LBB694_660:
	s_or_b64 exec, exec, s[10:11]
.LBB694_661:
	s_or_b64 exec, exec, s[6:7]
.LBB694_662:
	s_or_b64 exec, exec, s[0:1]
	s_mov_b32 s0, 0xffffff
	v_cmp_lt_u32_e32 vcc, s0, v8
	v_mov_b32_e32 v16, 0
	s_and_saveexec_b64 s[0:1], vcc
	s_cbranch_execz .LBB694_668
; %bb.663:
	v_lshrrev_b32_e32 v6, 24, v8
	s_movk_i32 s3, 0x80
	v_cmp_ne_u32_e32 vcc, s3, v6
	v_mov_b32_e32 v16, 0xffff8000
	s_and_saveexec_b64 s[6:7], vcc
	s_cbranch_execz .LBB694_667
; %bb.664:
	v_bfe_u32 v10, v8, 24, 7
	s_movk_i32 s3, 0x7f
	v_cmp_ne_u32_e32 vcc, s3, v10
	v_mov_b32_e32 v16, 0x7f80
	s_and_saveexec_b64 s[10:11], vcc
	s_cbranch_execz .LBB694_666
; %bb.665:
	v_and_b32_e32 v18, 7, v6
	v_ffbh_u32_e32 v16, v18
	v_min_u32_e32 v20, 32, v16
	v_subrev_u32_e32 v16, 28, v20
	v_lshlrev_b64 v[16:17], v16, v[6:7]
	v_lshrrev_b32_e32 v19, 3, v10
	v_sub_u32_e32 v17, 29, v20
	v_and_b32_e32 v16, 7, v16
	v_cmp_gt_u32_e32 vcc, 8, v10
	v_cndmask_b32_e32 v10, v19, v17, vcc
	v_cndmask_b32_e32 v16, v18, v16, vcc
	v_lshlrev_b32_e32 v6, 24, v6
	v_bfrev_b32_e32 v17, 60
	v_lshlrev_b32_e32 v16, 20, v16
	v_and_b32_e32 v6, 0x80000000, v6
	v_lshl_add_u32 v10, v10, 23, v17
	v_or3_b32 v6, v6, v10, v16
	v_lshrrev_b32_e32 v16, 16, v6
.LBB694_666:
	s_or_b64 exec, exec, s[10:11]
.LBB694_667:
	s_or_b64 exec, exec, s[6:7]
.LBB694_668:
	s_or_b64 exec, exec, s[0:1]
	v_mov_b32_e32 v17, 0
	v_mov_b32_e32 v6, v9
	v_cmp_ne_u16_sdwa s[6:7], v9, v17 src0_sel:BYTE_0 src1_sel:DWORD
	v_mov_b32_e32 v18, 0
	s_and_saveexec_b64 s[0:1], s[6:7]
	s_cbranch_execz .LBB694_674
; %bb.669:
	s_movk_i32 s3, 0x80
	v_cmp_ne_u16_sdwa s[10:11], v9, s3 src0_sel:BYTE_0 src1_sel:DWORD
	v_mov_b32_e32 v18, 0xffff8000
	s_and_saveexec_b64 s[6:7], s[10:11]
	s_cbranch_execz .LBB694_673
; %bb.670:
	s_movk_i32 s3, 0x7f
	v_and_b32_e32 v10, 0x7f, v9
	v_cmp_ne_u32_e32 vcc, s3, v10
	v_mov_b32_e32 v18, 0x7f80
	s_and_saveexec_b64 s[10:11], vcc
	s_cbranch_execz .LBB694_672
; %bb.671:
	v_and_b32_e32 v18, 7, v9
	v_ffbh_u32_e32 v18, v18
	v_min_u32_e32 v18, 32, v18
	v_lshrrev_b32_e32 v19, 3, v10
	v_subrev_u32_e32 v20, 28, v18
	v_sub_u32_e32 v18, 29, v18
	v_cmp_gt_u32_e32 vcc, 8, v10
	v_cndmask_b32_e32 v10, v19, v18, vcc
	v_cndmask_b32_e32 v18, 0, v20, vcc
	v_lshlrev_b64 v[18:19], v18, v[6:7]
	v_lshlrev_b32_e32 v7, 20, v18
	v_lshlrev_b32_e32 v18, 24, v6
	v_bfrev_b32_e32 v19, 60
	v_and_b32_e32 v7, 0x700000, v7
	v_and_b32_e32 v18, 0x80000000, v18
	v_lshl_add_u32 v10, v10, 23, v19
	v_or3_b32 v7, v18, v10, v7
	v_lshrrev_b32_e32 v18, 16, v7
.LBB694_672:
	s_or_b64 exec, exec, s[10:11]
.LBB694_673:
	s_or_b64 exec, exec, s[6:7]
.LBB694_674:
	s_or_b64 exec, exec, s[0:1]
	v_lshrrev_b16_e32 v10, 8, v6
	v_cmp_ne_u16_e32 vcc, 0, v10
	s_and_saveexec_b64 s[0:1], vcc
	s_cbranch_execz .LBB694_680
; %bb.675:
	s_movk_i32 s3, 0x80
	v_cmp_ne_u16_e32 vcc, s3, v10
	v_mov_b32_e32 v17, 0xffff8000
	s_and_saveexec_b64 s[6:7], vcc
	s_cbranch_execz .LBB694_679
; %bb.676:
	s_movk_i32 s3, 0x7f
	v_and_b32_e32 v7, 0x7f, v10
	v_cmp_ne_u32_e32 vcc, s3, v7
	v_mov_b32_e32 v17, 0x7f80
	s_and_saveexec_b64 s[10:11], vcc
	s_cbranch_execz .LBB694_678
; %bb.677:
	v_and_b32_e32 v17, 7, v10
	v_ffbh_u32_e32 v20, v17
	v_min_u32_e32 v22, 32, v20
	v_subrev_u32_e32 v20, 28, v22
	v_lshlrev_b64 v[20:21], v20, v[10:11]
	v_lshrrev_b32_e32 v19, 3, v7
	v_sub_u32_e32 v10, 29, v22
	v_and_b32_e32 v20, 7, v20
	v_cmp_gt_u32_e32 vcc, 8, v7
	v_cndmask_b32_e32 v7, v19, v10, vcc
	v_cndmask_b32_e32 v10, v17, v20, vcc
	v_lshlrev_b32_e32 v6, 16, v6
	v_bfrev_b32_e32 v17, 60
	v_lshlrev_b32_e32 v10, 20, v10
	v_and_b32_e32 v6, 0x80000000, v6
	v_lshl_add_u32 v7, v7, 23, v17
	v_or3_b32 v6, v6, v7, v10
	v_lshrrev_b32_e32 v17, 16, v6
.LBB694_678:
	s_or_b64 exec, exec, s[10:11]
.LBB694_679:
	s_or_b64 exec, exec, s[6:7]
.LBB694_680:
	s_or_b64 exec, exec, s[0:1]
	s_movk_i32 s0, 0xff
	v_and_b32_sdwa v19, v9, s0 dst_sel:DWORD dst_unused:UNUSED_PAD src0_sel:WORD_1 src1_sel:DWORD
	v_lshrrev_b32_e32 v6, 16, v9
	v_cmp_ne_u16_e32 vcc, 0, v19
	v_mov_b32_e32 v7, 0
	v_mov_b32_e32 v10, 0
	s_and_saveexec_b64 s[0:1], vcc
	s_cbranch_execz .LBB694_686
; %bb.681:
	s_movk_i32 s3, 0x80
	v_cmp_ne_u16_e32 vcc, s3, v19
	v_mov_b32_e32 v10, 0xffff8000
	s_and_saveexec_b64 s[6:7], vcc
	s_cbranch_execz .LBB694_685
; %bb.682:
	v_bfe_u32 v19, v9, 16, 7
	s_movk_i32 s3, 0x7f
	v_cmp_ne_u32_e32 vcc, s3, v19
	v_mov_b32_e32 v10, 0x7f80
	s_and_saveexec_b64 s[10:11], vcc
	s_cbranch_execz .LBB694_684
; %bb.683:
	v_and_b32_e32 v10, 7, v6
	v_ffbh_u32_e32 v20, v10
	v_min_u32_e32 v23, 32, v20
	v_subrev_u32_e32 v20, 28, v23
	v_lshlrev_b64 v[20:21], v20, v[6:7]
	v_lshrrev_b32_e32 v22, 3, v19
	v_sub_u32_e32 v6, 29, v23
	v_and_b32_e32 v20, 7, v20
	v_cmp_gt_u32_e32 vcc, 8, v19
	v_mov_b32_e32 v19, 24
	v_cndmask_b32_e32 v6, v22, v6, vcc
	v_cndmask_b32_e32 v10, v10, v20, vcc
	v_lshlrev_b32_sdwa v19, v19, v9 dst_sel:DWORD dst_unused:UNUSED_PAD src0_sel:DWORD src1_sel:WORD_1
	v_bfrev_b32_e32 v20, 60
	v_lshlrev_b32_e32 v10, 20, v10
	v_and_b32_e32 v19, 0x80000000, v19
	v_lshl_add_u32 v6, v6, 23, v20
	v_or3_b32 v6, v19, v6, v10
	v_lshrrev_b32_e32 v10, 16, v6
.LBB694_684:
	s_or_b64 exec, exec, s[10:11]
.LBB694_685:
	s_or_b64 exec, exec, s[6:7]
.LBB694_686:
	s_or_b64 exec, exec, s[0:1]
	s_mov_b32 s0, -1
	s_mov_b32 s1, 0xffffff
	v_cmp_lt_u64_e32 vcc, s[0:1], v[8:9]
	s_and_saveexec_b64 s[0:1], vcc
	s_cbranch_execz .LBB694_692
; %bb.687:
	v_lshrrev_b32_e32 v6, 24, v9
	s_movk_i32 s3, 0x80
	v_cmp_ne_u32_e32 vcc, s3, v6
	v_mov_b32_e32 v7, 0xffff8000
	s_and_saveexec_b64 s[6:7], vcc
	s_cbranch_execz .LBB694_691
; %bb.688:
	v_bfe_u32 v8, v9, 24, 7
	s_movk_i32 s3, 0x7f
	v_cmp_ne_u32_e32 vcc, s3, v8
	v_mov_b32_e32 v7, 0x7f80
	s_and_saveexec_b64 s[10:11], vcc
	s_cbranch_execz .LBB694_690
; %bb.689:
	v_and_b32_e32 v7, 7, v6
	v_ffbh_u32_e32 v19, v7
	v_min_u32_e32 v19, 32, v19
	v_subrev_u32_e32 v20, 28, v19
	v_lshlrev_b64 v[20:21], v20, v[6:7]
	v_lshrrev_b32_e32 v9, 3, v8
	v_sub_u32_e32 v19, 29, v19
	v_and_b32_e32 v20, 7, v20
	v_cmp_gt_u32_e32 vcc, 8, v8
	v_cndmask_b32_e32 v8, v9, v19, vcc
	v_cndmask_b32_e32 v7, v7, v20, vcc
	v_lshlrev_b32_e32 v6, 24, v6
	v_bfrev_b32_e32 v9, 60
	v_lshlrev_b32_e32 v7, 20, v7
	v_and_b32_e32 v6, 0x80000000, v6
	v_lshl_add_u32 v8, v8, 23, v9
	v_or3_b32 v6, v6, v8, v7
	v_lshrrev_b32_e32 v7, 16, v6
.LBB694_690:
	s_or_b64 exec, exec, s[10:11]
.LBB694_691:
	s_or_b64 exec, exec, s[6:7]
.LBB694_692:
	s_or_b64 exec, exec, s[0:1]
	s_mov_b32 s0, 0x5040100
	v_perm_b32 v9, v16, v13, s0
	v_perm_b32 v8, v11, v12, s0
	;; [unrolled: 1-line block ×4, first 2 shown]
	v_mfma_f32_4x4x4bf16_1k a[0:3], v[14:15], v[8:9], a[0:3] cbsz:4 abid:10
	v_mov_b32_e32 v9, 0
	v_mfma_f32_4x4x4bf16_1k a[0:3], v[14:15], v[6:7], a[0:3] cbsz:4 abid:11
	s_waitcnt vmcnt(0)
	v_cmp_ne_u16_sdwa s[6:7], v2, v9 src0_sel:BYTE_0 src1_sel:DWORD
	v_mov_b32_e32 v10, 0
	s_and_saveexec_b64 s[0:1], s[6:7]
	s_cbranch_execz .LBB694_698
; %bb.693:
	s_movk_i32 s3, 0x80
	v_cmp_ne_u16_sdwa s[10:11], v2, s3 src0_sel:BYTE_0 src1_sel:DWORD
	v_mov_b32_e32 v10, 0xffff8000
	s_and_saveexec_b64 s[6:7], s[10:11]
	s_cbranch_execz .LBB694_697
; %bb.694:
	s_movk_i32 s3, 0x7f
	v_and_b32_e32 v6, 0x7f, v2
	v_cmp_ne_u32_e32 vcc, s3, v6
	v_mov_b32_e32 v10, 0x7f80
	s_and_saveexec_b64 s[10:11], vcc
	s_cbranch_execz .LBB694_696
; %bb.695:
	v_and_b32_e32 v7, 7, v2
	v_ffbh_u32_e32 v7, v7
	v_min_u32_e32 v7, 32, v7
	v_subrev_u32_e32 v10, 28, v7
	v_cmp_gt_u32_e32 vcc, 8, v6
	v_lshrrev_b32_e32 v8, 3, v6
	v_sub_u32_e32 v7, 29, v7
	v_cndmask_b32_e32 v6, 0, v10, vcc
	v_cndmask_b32_e32 v8, v8, v7, vcc
	v_lshlrev_b64 v[6:7], v6, v[2:3]
	v_lshlrev_b32_e32 v6, 20, v6
	v_lshlrev_b32_e32 v7, 24, v2
	v_bfrev_b32_e32 v10, 60
	v_and_b32_e32 v6, 0x700000, v6
	v_and_b32_e32 v7, 0x80000000, v7
	v_lshl_add_u32 v8, v8, 23, v10
	v_or3_b32 v6, v7, v8, v6
	v_lshrrev_b32_e32 v10, 16, v6
.LBB694_696:
	s_or_b64 exec, exec, s[10:11]
.LBB694_697:
	s_or_b64 exec, exec, s[6:7]
.LBB694_698:
	s_or_b64 exec, exec, s[0:1]
	v_lshrrev_b16_e32 v6, 8, v2
	v_cmp_ne_u16_e32 vcc, 0, v6
	s_and_saveexec_b64 s[0:1], vcc
	s_cbranch_execz .LBB694_704
; %bb.699:
	s_movk_i32 s3, 0x80
	v_cmp_ne_u16_e32 vcc, s3, v6
	v_mov_b32_e32 v9, 0xffff8000
	s_and_saveexec_b64 s[6:7], vcc
	s_cbranch_execz .LBB694_703
; %bb.700:
	s_movk_i32 s3, 0x7f
	v_and_b32_e32 v7, 0x7f, v6
	v_cmp_ne_u32_e32 vcc, s3, v7
	v_mov_b32_e32 v9, 0x7f80
	s_and_saveexec_b64 s[10:11], vcc
	s_cbranch_execz .LBB694_702
; %bb.701:
	v_and_b32_e32 v11, 7, v6
	v_ffbh_u32_e32 v8, v11
	v_min_u32_e32 v13, 32, v8
	v_subrev_u32_e32 v8, 28, v13
	v_lshlrev_b64 v[8:9], v8, v[6:7]
	v_lshrrev_b32_e32 v12, 3, v7
	v_sub_u32_e32 v6, 29, v13
	v_and_b32_e32 v8, 7, v8
	v_cmp_gt_u32_e32 vcc, 8, v7
	v_cndmask_b32_e32 v6, v12, v6, vcc
	v_cndmask_b32_e32 v7, v11, v8, vcc
	v_lshlrev_b32_e32 v8, 16, v2
	v_bfrev_b32_e32 v9, 60
	v_lshlrev_b32_e32 v7, 20, v7
	v_and_b32_e32 v8, 0x80000000, v8
	v_lshl_add_u32 v6, v6, 23, v9
	v_or3_b32 v6, v8, v6, v7
	v_lshrrev_b32_e32 v9, 16, v6
.LBB694_702:
	s_or_b64 exec, exec, s[10:11]
.LBB694_703:
	s_or_b64 exec, exec, s[6:7]
.LBB694_704:
	s_or_b64 exec, exec, s[0:1]
	s_movk_i32 s0, 0xff
	v_and_b32_sdwa v8, v2, s0 dst_sel:DWORD dst_unused:UNUSED_PAD src0_sel:WORD_1 src1_sel:DWORD
	v_lshrrev_b32_e32 v6, 16, v2
	v_cmp_ne_u16_e32 vcc, 0, v8
	v_mov_b32_e32 v7, 0
	v_mov_b32_e32 v11, 0
	s_and_saveexec_b64 s[0:1], vcc
	s_cbranch_execz .LBB694_710
; %bb.705:
	s_movk_i32 s3, 0x80
	v_cmp_ne_u16_e32 vcc, s3, v8
	v_mov_b32_e32 v11, 0xffff8000
	s_and_saveexec_b64 s[6:7], vcc
	s_cbranch_execz .LBB694_709
; %bb.706:
	v_bfe_u32 v8, v2, 16, 7
	s_movk_i32 s3, 0x7f
	v_cmp_ne_u32_e32 vcc, s3, v8
	v_mov_b32_e32 v11, 0x7f80
	s_and_saveexec_b64 s[10:11], vcc
	s_cbranch_execz .LBB694_708
; %bb.707:
	v_and_b32_e32 v11, 7, v6
	v_ffbh_u32_e32 v12, v11
	v_min_u32_e32 v17, 32, v12
	v_subrev_u32_e32 v12, 28, v17
	v_lshlrev_b64 v[12:13], v12, v[6:7]
	v_and_b32_e32 v12, 7, v12
	v_cmp_gt_u32_e32 vcc, 8, v8
	v_lshrrev_b32_e32 v16, 3, v8
	v_sub_u32_e32 v6, 29, v17
	v_cndmask_b32_e32 v8, v11, v12, vcc
	v_mov_b32_e32 v11, 24
	v_cndmask_b32_e32 v6, v16, v6, vcc
	v_lshlrev_b32_sdwa v11, v11, v2 dst_sel:DWORD dst_unused:UNUSED_PAD src0_sel:DWORD src1_sel:WORD_1
	v_bfrev_b32_e32 v12, 60
	v_lshlrev_b32_e32 v8, 20, v8
	v_and_b32_e32 v11, 0x80000000, v11
	v_lshl_add_u32 v6, v6, 23, v12
	v_or3_b32 v6, v11, v6, v8
	v_lshrrev_b32_e32 v11, 16, v6
.LBB694_708:
	s_or_b64 exec, exec, s[10:11]
.LBB694_709:
	s_or_b64 exec, exec, s[6:7]
.LBB694_710:
	s_or_b64 exec, exec, s[0:1]
	s_mov_b32 s0, 0xffffff
	v_cmp_lt_u32_e32 vcc, s0, v2
	v_mov_b32_e32 v12, 0
	s_and_saveexec_b64 s[0:1], vcc
	s_cbranch_execz .LBB694_716
; %bb.711:
	v_lshrrev_b32_e32 v6, 24, v2
	s_movk_i32 s3, 0x80
	v_cmp_ne_u32_e32 vcc, s3, v6
	v_mov_b32_e32 v12, 0xffff8000
	s_and_saveexec_b64 s[6:7], vcc
	s_cbranch_execz .LBB694_715
; %bb.712:
	v_bfe_u32 v8, v2, 24, 7
	s_movk_i32 s3, 0x7f
	v_cmp_ne_u32_e32 vcc, s3, v8
	v_mov_b32_e32 v12, 0x7f80
	s_and_saveexec_b64 s[10:11], vcc
	s_cbranch_execz .LBB694_714
; %bb.713:
	v_and_b32_e32 v16, 7, v6
	v_ffbh_u32_e32 v12, v16
	v_min_u32_e32 v18, 32, v12
	v_subrev_u32_e32 v12, 28, v18
	v_lshlrev_b64 v[12:13], v12, v[6:7]
	v_lshrrev_b32_e32 v17, 3, v8
	v_sub_u32_e32 v13, 29, v18
	v_and_b32_e32 v12, 7, v12
	v_cmp_gt_u32_e32 vcc, 8, v8
	v_cndmask_b32_e32 v8, v17, v13, vcc
	v_cndmask_b32_e32 v12, v16, v12, vcc
	v_lshlrev_b32_e32 v6, 24, v6
	v_bfrev_b32_e32 v13, 60
	v_lshlrev_b32_e32 v12, 20, v12
	v_and_b32_e32 v6, 0x80000000, v6
	v_lshl_add_u32 v8, v8, 23, v13
	v_or3_b32 v6, v6, v8, v12
	v_lshrrev_b32_e32 v12, 16, v6
.LBB694_714:
	s_or_b64 exec, exec, s[10:11]
.LBB694_715:
	s_or_b64 exec, exec, s[6:7]
.LBB694_716:
	s_or_b64 exec, exec, s[0:1]
	v_mov_b32_e32 v13, 0
	v_mov_b32_e32 v6, v3
	v_cmp_ne_u16_sdwa s[6:7], v3, v13 src0_sel:BYTE_0 src1_sel:DWORD
	v_mov_b32_e32 v16, 0
	s_and_saveexec_b64 s[0:1], s[6:7]
	s_cbranch_execz .LBB694_722
; %bb.717:
	s_movk_i32 s3, 0x80
	v_cmp_ne_u16_sdwa s[10:11], v3, s3 src0_sel:BYTE_0 src1_sel:DWORD
	v_mov_b32_e32 v16, 0xffff8000
	s_and_saveexec_b64 s[6:7], s[10:11]
	s_cbranch_execz .LBB694_721
; %bb.718:
	s_movk_i32 s3, 0x7f
	v_and_b32_e32 v8, 0x7f, v3
	v_cmp_ne_u32_e32 vcc, s3, v8
	v_mov_b32_e32 v16, 0x7f80
	s_and_saveexec_b64 s[10:11], vcc
	s_cbranch_execz .LBB694_720
; %bb.719:
	v_and_b32_e32 v16, 7, v3
	v_ffbh_u32_e32 v16, v16
	v_min_u32_e32 v16, 32, v16
	v_lshrrev_b32_e32 v17, 3, v8
	v_subrev_u32_e32 v18, 28, v16
	v_sub_u32_e32 v16, 29, v16
	v_cmp_gt_u32_e32 vcc, 8, v8
	v_cndmask_b32_e32 v8, v17, v16, vcc
	v_cndmask_b32_e32 v16, 0, v18, vcc
	v_lshlrev_b64 v[16:17], v16, v[6:7]
	v_lshlrev_b32_e32 v7, 20, v16
	v_lshlrev_b32_e32 v16, 24, v6
	v_bfrev_b32_e32 v17, 60
	v_and_b32_e32 v7, 0x700000, v7
	v_and_b32_e32 v16, 0x80000000, v16
	v_lshl_add_u32 v8, v8, 23, v17
	v_or3_b32 v7, v16, v8, v7
	v_lshrrev_b32_e32 v16, 16, v7
.LBB694_720:
	s_or_b64 exec, exec, s[10:11]
.LBB694_721:
	s_or_b64 exec, exec, s[6:7]
.LBB694_722:
	s_or_b64 exec, exec, s[0:1]
	v_lshrrev_b16_e32 v8, 8, v6
	v_cmp_ne_u16_e32 vcc, 0, v8
	s_and_saveexec_b64 s[0:1], vcc
	s_cbranch_execz .LBB694_728
; %bb.723:
	s_movk_i32 s3, 0x80
	v_cmp_ne_u16_e32 vcc, s3, v8
	v_mov_b32_e32 v13, 0xffff8000
	s_and_saveexec_b64 s[6:7], vcc
	s_cbranch_execz .LBB694_727
; %bb.724:
	s_movk_i32 s3, 0x7f
	v_and_b32_e32 v7, 0x7f, v8
	v_cmp_ne_u32_e32 vcc, s3, v7
	v_mov_b32_e32 v13, 0x7f80
	s_and_saveexec_b64 s[10:11], vcc
	s_cbranch_execz .LBB694_726
; %bb.725:
	v_and_b32_e32 v13, 7, v8
	v_ffbh_u32_e32 v18, v13
	v_min_u32_e32 v20, 32, v18
	v_subrev_u32_e32 v18, 28, v20
	v_lshlrev_b64 v[18:19], v18, v[8:9]
	v_lshrrev_b32_e32 v17, 3, v7
	v_sub_u32_e32 v8, 29, v20
	v_and_b32_e32 v18, 7, v18
	v_cmp_gt_u32_e32 vcc, 8, v7
	v_cndmask_b32_e32 v7, v17, v8, vcc
	v_cndmask_b32_e32 v8, v13, v18, vcc
	v_lshlrev_b32_e32 v6, 16, v6
	v_bfrev_b32_e32 v13, 60
	v_lshlrev_b32_e32 v8, 20, v8
	v_and_b32_e32 v6, 0x80000000, v6
	v_lshl_add_u32 v7, v7, 23, v13
	v_or3_b32 v6, v6, v7, v8
	v_lshrrev_b32_e32 v13, 16, v6
.LBB694_726:
	s_or_b64 exec, exec, s[10:11]
.LBB694_727:
	s_or_b64 exec, exec, s[6:7]
.LBB694_728:
	s_or_b64 exec, exec, s[0:1]
	s_movk_i32 s0, 0xff
	v_and_b32_sdwa v17, v3, s0 dst_sel:DWORD dst_unused:UNUSED_PAD src0_sel:WORD_1 src1_sel:DWORD
	v_lshrrev_b32_e32 v6, 16, v3
	v_cmp_ne_u16_e32 vcc, 0, v17
	v_mov_b32_e32 v7, 0
	v_mov_b32_e32 v8, 0
	s_and_saveexec_b64 s[0:1], vcc
	s_cbranch_execz .LBB694_734
; %bb.729:
	s_movk_i32 s3, 0x80
	v_cmp_ne_u16_e32 vcc, s3, v17
	v_mov_b32_e32 v8, 0xffff8000
	s_and_saveexec_b64 s[6:7], vcc
	s_cbranch_execz .LBB694_733
; %bb.730:
	v_bfe_u32 v17, v3, 16, 7
	s_movk_i32 s3, 0x7f
	v_cmp_ne_u32_e32 vcc, s3, v17
	v_mov_b32_e32 v8, 0x7f80
	s_and_saveexec_b64 s[10:11], vcc
	s_cbranch_execz .LBB694_732
; %bb.731:
	v_and_b32_e32 v8, 7, v6
	v_ffbh_u32_e32 v18, v8
	v_min_u32_e32 v21, 32, v18
	v_subrev_u32_e32 v18, 28, v21
	v_lshlrev_b64 v[18:19], v18, v[6:7]
	v_lshrrev_b32_e32 v20, 3, v17
	v_sub_u32_e32 v6, 29, v21
	v_and_b32_e32 v18, 7, v18
	v_cmp_gt_u32_e32 vcc, 8, v17
	v_mov_b32_e32 v17, 24
	v_cndmask_b32_e32 v6, v20, v6, vcc
	v_cndmask_b32_e32 v8, v8, v18, vcc
	v_lshlrev_b32_sdwa v17, v17, v3 dst_sel:DWORD dst_unused:UNUSED_PAD src0_sel:DWORD src1_sel:WORD_1
	v_bfrev_b32_e32 v18, 60
	v_lshlrev_b32_e32 v8, 20, v8
	v_and_b32_e32 v17, 0x80000000, v17
	v_lshl_add_u32 v6, v6, 23, v18
	v_or3_b32 v6, v17, v6, v8
	v_lshrrev_b32_e32 v8, 16, v6
.LBB694_732:
	s_or_b64 exec, exec, s[10:11]
.LBB694_733:
	s_or_b64 exec, exec, s[6:7]
.LBB694_734:
	s_or_b64 exec, exec, s[0:1]
	s_mov_b32 s0, -1
	s_mov_b32 s1, 0xffffff
	v_cmp_lt_u64_e32 vcc, s[0:1], v[2:3]
	s_and_saveexec_b64 s[0:1], vcc
	s_cbranch_execz .LBB694_740
; %bb.735:
	v_lshrrev_b32_e32 v2, 24, v3
	s_movk_i32 s3, 0x80
	v_cmp_ne_u32_e32 vcc, s3, v2
	v_mov_b32_e32 v7, 0xffff8000
	s_and_saveexec_b64 s[6:7], vcc
	s_cbranch_execz .LBB694_739
; %bb.736:
	v_bfe_u32 v3, v3, 24, 7
	s_movk_i32 s3, 0x7f
	v_cmp_ne_u32_e32 vcc, s3, v3
	v_mov_b32_e32 v7, 0x7f80
	s_and_saveexec_b64 s[10:11], vcc
	s_cbranch_execz .LBB694_738
; %bb.737:
	v_and_b32_e32 v17, 7, v2
	v_ffbh_u32_e32 v6, v17
	v_min_u32_e32 v19, 32, v6
	v_subrev_u32_e32 v6, 28, v19
	v_lshlrev_b64 v[6:7], v6, v[2:3]
	v_lshrrev_b32_e32 v18, 3, v3
	v_sub_u32_e32 v7, 29, v19
	v_and_b32_e32 v6, 7, v6
	v_cmp_gt_u32_e32 vcc, 8, v3
	v_cndmask_b32_e32 v3, v18, v7, vcc
	v_cndmask_b32_e32 v6, v17, v6, vcc
	v_lshlrev_b32_e32 v2, 24, v2
	v_bfrev_b32_e32 v7, 60
	v_lshlrev_b32_e32 v6, 20, v6
	v_and_b32_e32 v2, 0x80000000, v2
	v_lshl_add_u32 v3, v3, 23, v7
	v_or3_b32 v2, v2, v3, v6
	v_lshrrev_b32_e32 v7, 16, v2
.LBB694_738:
	s_or_b64 exec, exec, s[10:11]
.LBB694_739:
	s_or_b64 exec, exec, s[6:7]
.LBB694_740:
	s_or_b64 exec, exec, s[0:1]
	s_mov_b32 s0, 0x5040100
	v_perm_b32 v3, v12, v11, s0
	v_perm_b32 v2, v9, v10, s0
	;; [unrolled: 1-line block ×4, first 2 shown]
	v_mfma_f32_4x4x4bf16_1k a[0:3], v[14:15], v[2:3], a[0:3] cbsz:4 abid:12
	v_mov_b32_e32 v8, 0
	v_mfma_f32_4x4x4bf16_1k a[0:3], v[14:15], v[6:7], a[0:3] cbsz:4 abid:13
	v_mov_b32_e32 v7, 0
	v_cmp_ne_u16_sdwa s[6:7], v4, v7 src0_sel:BYTE_0 src1_sel:DWORD
	s_and_saveexec_b64 s[0:1], s[6:7]
	s_cbranch_execz .LBB694_746
; %bb.741:
	s_movk_i32 s3, 0x80
	v_cmp_ne_u16_sdwa s[10:11], v4, s3 src0_sel:BYTE_0 src1_sel:DWORD
	v_mov_b32_e32 v8, 0xffff8000
	s_and_saveexec_b64 s[6:7], s[10:11]
	s_cbranch_execz .LBB694_745
; %bb.742:
	s_movk_i32 s3, 0x7f
	v_and_b32_e32 v2, 0x7f, v4
	v_cmp_ne_u32_e32 vcc, s3, v2
	v_mov_b32_e32 v8, 0x7f80
	s_and_saveexec_b64 s[10:11], vcc
	s_cbranch_execz .LBB694_744
; %bb.743:
	v_and_b32_e32 v3, 7, v4
	v_ffbh_u32_e32 v3, v3
	v_min_u32_e32 v3, 32, v3
	v_subrev_u32_e32 v8, 28, v3
	v_cmp_gt_u32_e32 vcc, 8, v2
	v_lshrrev_b32_e32 v6, 3, v2
	v_sub_u32_e32 v3, 29, v3
	v_cndmask_b32_e32 v2, 0, v8, vcc
	v_cndmask_b32_e32 v6, v6, v3, vcc
	v_lshlrev_b64 v[2:3], v2, v[4:5]
	v_lshlrev_b32_e32 v2, 20, v2
	v_lshlrev_b32_e32 v3, 24, v4
	v_bfrev_b32_e32 v8, 60
	v_and_b32_e32 v2, 0x700000, v2
	v_and_b32_e32 v3, 0x80000000, v3
	v_lshl_add_u32 v6, v6, 23, v8
	v_or3_b32 v2, v3, v6, v2
	v_lshrrev_b32_e32 v8, 16, v2
.LBB694_744:
	s_or_b64 exec, exec, s[10:11]
.LBB694_745:
	s_or_b64 exec, exec, s[6:7]
.LBB694_746:
	s_or_b64 exec, exec, s[0:1]
	v_lshrrev_b16_e32 v2, 8, v4
	v_cmp_ne_u16_e32 vcc, 0, v2
	s_and_saveexec_b64 s[0:1], vcc
	s_cbranch_execz .LBB694_752
; %bb.747:
	s_movk_i32 s3, 0x80
	v_cmp_ne_u16_e32 vcc, s3, v2
	v_mov_b32_e32 v7, 0xffff8000
	s_and_saveexec_b64 s[6:7], vcc
	s_cbranch_execz .LBB694_751
; %bb.748:
	s_movk_i32 s3, 0x7f
	v_and_b32_e32 v3, 0x7f, v2
	v_cmp_ne_u32_e32 vcc, s3, v3
	v_mov_b32_e32 v7, 0x7f80
	s_and_saveexec_b64 s[10:11], vcc
	s_cbranch_execz .LBB694_750
; %bb.749:
	v_and_b32_e32 v9, 7, v2
	v_ffbh_u32_e32 v6, v9
	v_min_u32_e32 v11, 32, v6
	v_subrev_u32_e32 v6, 28, v11
	v_lshlrev_b64 v[6:7], v6, v[2:3]
	v_lshrrev_b32_e32 v10, 3, v3
	v_sub_u32_e32 v2, 29, v11
	v_and_b32_e32 v6, 7, v6
	v_cmp_gt_u32_e32 vcc, 8, v3
	v_cndmask_b32_e32 v2, v10, v2, vcc
	v_cndmask_b32_e32 v3, v9, v6, vcc
	v_lshlrev_b32_e32 v6, 16, v4
	v_bfrev_b32_e32 v7, 60
	v_lshlrev_b32_e32 v3, 20, v3
	v_and_b32_e32 v6, 0x80000000, v6
	v_lshl_add_u32 v2, v2, 23, v7
	v_or3_b32 v2, v6, v2, v3
	v_lshrrev_b32_e32 v7, 16, v2
.LBB694_750:
	s_or_b64 exec, exec, s[10:11]
.LBB694_751:
	s_or_b64 exec, exec, s[6:7]
.LBB694_752:
	s_or_b64 exec, exec, s[0:1]
	s_movk_i32 s0, 0xff
	v_and_b32_sdwa v6, v4, s0 dst_sel:DWORD dst_unused:UNUSED_PAD src0_sel:WORD_1 src1_sel:DWORD
	v_lshrrev_b32_e32 v2, 16, v4
	v_cmp_ne_u16_e32 vcc, 0, v6
	v_mov_b32_e32 v3, 0
	v_mov_b32_e32 v9, 0
	s_and_saveexec_b64 s[0:1], vcc
	s_cbranch_execz .LBB694_758
; %bb.753:
	s_movk_i32 s3, 0x80
	v_cmp_ne_u16_e32 vcc, s3, v6
	v_mov_b32_e32 v9, 0xffff8000
	s_and_saveexec_b64 s[6:7], vcc
	s_cbranch_execz .LBB694_757
; %bb.754:
	v_bfe_u32 v6, v4, 16, 7
	s_movk_i32 s3, 0x7f
	v_cmp_ne_u32_e32 vcc, s3, v6
	v_mov_b32_e32 v9, 0x7f80
	s_and_saveexec_b64 s[10:11], vcc
	s_cbranch_execz .LBB694_756
; %bb.755:
	v_and_b32_e32 v9, 7, v2
	v_ffbh_u32_e32 v10, v9
	v_min_u32_e32 v13, 32, v10
	v_subrev_u32_e32 v10, 28, v13
	v_lshlrev_b64 v[10:11], v10, v[2:3]
	v_and_b32_e32 v10, 7, v10
	v_cmp_gt_u32_e32 vcc, 8, v6
	v_lshrrev_b32_e32 v12, 3, v6
	v_sub_u32_e32 v2, 29, v13
	v_cndmask_b32_e32 v6, v9, v10, vcc
	v_mov_b32_e32 v9, 24
	v_cndmask_b32_e32 v2, v12, v2, vcc
	v_lshlrev_b32_sdwa v9, v9, v4 dst_sel:DWORD dst_unused:UNUSED_PAD src0_sel:DWORD src1_sel:WORD_1
	v_bfrev_b32_e32 v10, 60
	v_lshlrev_b32_e32 v6, 20, v6
	v_and_b32_e32 v9, 0x80000000, v9
	v_lshl_add_u32 v2, v2, 23, v10
	v_or3_b32 v2, v9, v2, v6
	v_lshrrev_b32_e32 v9, 16, v2
.LBB694_756:
	s_or_b64 exec, exec, s[10:11]
.LBB694_757:
	s_or_b64 exec, exec, s[6:7]
.LBB694_758:
	s_or_b64 exec, exec, s[0:1]
	s_mov_b32 s0, 0xffffff
	v_cmp_lt_u32_e32 vcc, s0, v4
	v_mov_b32_e32 v10, 0
	s_and_saveexec_b64 s[0:1], vcc
	s_cbranch_execz .LBB694_764
; %bb.759:
	v_lshrrev_b32_e32 v2, 24, v4
	s_movk_i32 s3, 0x80
	v_cmp_ne_u32_e32 vcc, s3, v2
	v_mov_b32_e32 v10, 0xffff8000
	s_and_saveexec_b64 s[6:7], vcc
	s_cbranch_execz .LBB694_763
; %bb.760:
	v_bfe_u32 v6, v4, 24, 7
	s_movk_i32 s3, 0x7f
	v_cmp_ne_u32_e32 vcc, s3, v6
	v_mov_b32_e32 v10, 0x7f80
	s_and_saveexec_b64 s[10:11], vcc
	s_cbranch_execz .LBB694_762
; %bb.761:
	v_and_b32_e32 v12, 7, v2
	v_ffbh_u32_e32 v10, v12
	v_min_u32_e32 v16, 32, v10
	v_subrev_u32_e32 v10, 28, v16
	v_lshlrev_b64 v[10:11], v10, v[2:3]
	v_lshrrev_b32_e32 v13, 3, v6
	v_sub_u32_e32 v11, 29, v16
	v_and_b32_e32 v10, 7, v10
	v_cmp_gt_u32_e32 vcc, 8, v6
	v_cndmask_b32_e32 v6, v13, v11, vcc
	v_cndmask_b32_e32 v10, v12, v10, vcc
	v_lshlrev_b32_e32 v2, 24, v2
	v_bfrev_b32_e32 v11, 60
	v_lshlrev_b32_e32 v10, 20, v10
	v_and_b32_e32 v2, 0x80000000, v2
	v_lshl_add_u32 v6, v6, 23, v11
	v_or3_b32 v2, v2, v6, v10
	v_lshrrev_b32_e32 v10, 16, v2
.LBB694_762:
	s_or_b64 exec, exec, s[10:11]
.LBB694_763:
	s_or_b64 exec, exec, s[6:7]
.LBB694_764:
	s_or_b64 exec, exec, s[0:1]
	v_mov_b32_e32 v11, 0
	v_mov_b32_e32 v2, v5
	v_cmp_ne_u16_sdwa s[6:7], v5, v11 src0_sel:BYTE_0 src1_sel:DWORD
	v_mov_b32_e32 v12, 0
	s_and_saveexec_b64 s[0:1], s[6:7]
	s_cbranch_execz .LBB694_770
; %bb.765:
	s_movk_i32 s3, 0x80
	v_cmp_ne_u16_sdwa s[10:11], v5, s3 src0_sel:BYTE_0 src1_sel:DWORD
	v_mov_b32_e32 v12, 0xffff8000
	s_and_saveexec_b64 s[6:7], s[10:11]
	s_cbranch_execz .LBB694_769
; %bb.766:
	s_movk_i32 s3, 0x7f
	v_and_b32_e32 v6, 0x7f, v5
	v_cmp_ne_u32_e32 vcc, s3, v6
	v_mov_b32_e32 v12, 0x7f80
	s_and_saveexec_b64 s[10:11], vcc
	s_cbranch_execz .LBB694_768
; %bb.767:
	v_and_b32_e32 v12, 7, v5
	v_ffbh_u32_e32 v12, v12
	v_min_u32_e32 v12, 32, v12
	v_lshrrev_b32_e32 v13, 3, v6
	v_subrev_u32_e32 v16, 28, v12
	v_sub_u32_e32 v12, 29, v12
	v_cmp_gt_u32_e32 vcc, 8, v6
	v_cndmask_b32_e32 v6, v13, v12, vcc
	v_cndmask_b32_e32 v12, 0, v16, vcc
	v_lshlrev_b64 v[12:13], v12, v[2:3]
	v_lshlrev_b32_e32 v3, 20, v12
	v_lshlrev_b32_e32 v12, 24, v2
	v_bfrev_b32_e32 v13, 60
	v_and_b32_e32 v3, 0x700000, v3
	v_and_b32_e32 v12, 0x80000000, v12
	v_lshl_add_u32 v6, v6, 23, v13
	v_or3_b32 v3, v12, v6, v3
	v_lshrrev_b32_e32 v12, 16, v3
.LBB694_768:
	s_or_b64 exec, exec, s[10:11]
.LBB694_769:
	s_or_b64 exec, exec, s[6:7]
.LBB694_770:
	s_or_b64 exec, exec, s[0:1]
	v_lshrrev_b16_e32 v6, 8, v2
	v_cmp_ne_u16_e32 vcc, 0, v6
	s_and_saveexec_b64 s[0:1], vcc
	s_cbranch_execz .LBB694_776
; %bb.771:
	s_movk_i32 s3, 0x80
	v_cmp_ne_u16_e32 vcc, s3, v6
	v_mov_b32_e32 v11, 0xffff8000
	s_and_saveexec_b64 s[6:7], vcc
	s_cbranch_execz .LBB694_775
; %bb.772:
	s_movk_i32 s3, 0x7f
	v_and_b32_e32 v3, 0x7f, v6
	v_cmp_ne_u32_e32 vcc, s3, v3
	v_mov_b32_e32 v11, 0x7f80
	s_and_saveexec_b64 s[10:11], vcc
	s_cbranch_execz .LBB694_774
; %bb.773:
	v_and_b32_e32 v11, 7, v6
	v_ffbh_u32_e32 v16, v11
	v_min_u32_e32 v18, 32, v16
	v_subrev_u32_e32 v16, 28, v18
	v_lshlrev_b64 v[16:17], v16, v[6:7]
	v_lshrrev_b32_e32 v13, 3, v3
	v_sub_u32_e32 v6, 29, v18
	v_and_b32_e32 v16, 7, v16
	v_cmp_gt_u32_e32 vcc, 8, v3
	v_cndmask_b32_e32 v3, v13, v6, vcc
	v_cndmask_b32_e32 v6, v11, v16, vcc
	v_lshlrev_b32_e32 v2, 16, v2
	v_bfrev_b32_e32 v11, 60
	v_lshlrev_b32_e32 v6, 20, v6
	v_and_b32_e32 v2, 0x80000000, v2
	v_lshl_add_u32 v3, v3, 23, v11
	v_or3_b32 v2, v2, v3, v6
	v_lshrrev_b32_e32 v11, 16, v2
.LBB694_774:
	s_or_b64 exec, exec, s[10:11]
.LBB694_775:
	s_or_b64 exec, exec, s[6:7]
.LBB694_776:
	s_or_b64 exec, exec, s[0:1]
	s_movk_i32 s0, 0xff
	v_and_b32_sdwa v13, v5, s0 dst_sel:DWORD dst_unused:UNUSED_PAD src0_sel:WORD_1 src1_sel:DWORD
	v_lshrrev_b32_e32 v2, 16, v5
	v_cmp_ne_u16_e32 vcc, 0, v13
	v_mov_b32_e32 v3, 0
	v_mov_b32_e32 v6, 0
	s_and_saveexec_b64 s[0:1], vcc
	s_cbranch_execz .LBB694_782
; %bb.777:
	s_movk_i32 s3, 0x80
	v_cmp_ne_u16_e32 vcc, s3, v13
	v_mov_b32_e32 v6, 0xffff8000
	s_and_saveexec_b64 s[6:7], vcc
	s_cbranch_execz .LBB694_781
; %bb.778:
	v_bfe_u32 v13, v5, 16, 7
	s_movk_i32 s3, 0x7f
	v_cmp_ne_u32_e32 vcc, s3, v13
	v_mov_b32_e32 v6, 0x7f80
	s_and_saveexec_b64 s[10:11], vcc
	s_cbranch_execz .LBB694_780
; %bb.779:
	v_and_b32_e32 v6, 7, v2
	v_ffbh_u32_e32 v16, v6
	v_min_u32_e32 v19, 32, v16
	v_subrev_u32_e32 v16, 28, v19
	v_lshlrev_b64 v[16:17], v16, v[2:3]
	v_lshrrev_b32_e32 v18, 3, v13
	v_sub_u32_e32 v2, 29, v19
	v_and_b32_e32 v16, 7, v16
	v_cmp_gt_u32_e32 vcc, 8, v13
	v_mov_b32_e32 v13, 24
	v_cndmask_b32_e32 v2, v18, v2, vcc
	v_cndmask_b32_e32 v6, v6, v16, vcc
	v_lshlrev_b32_sdwa v13, v13, v5 dst_sel:DWORD dst_unused:UNUSED_PAD src0_sel:DWORD src1_sel:WORD_1
	v_bfrev_b32_e32 v16, 60
	v_lshlrev_b32_e32 v6, 20, v6
	v_and_b32_e32 v13, 0x80000000, v13
	v_lshl_add_u32 v2, v2, 23, v16
	v_or3_b32 v2, v13, v2, v6
	v_lshrrev_b32_e32 v6, 16, v2
.LBB694_780:
	s_or_b64 exec, exec, s[10:11]
.LBB694_781:
	s_or_b64 exec, exec, s[6:7]
.LBB694_782:
	s_or_b64 exec, exec, s[0:1]
	s_mov_b32 s0, -1
	s_mov_b32 s1, 0xffffff
	v_cmp_lt_u64_e32 vcc, s[0:1], v[4:5]
	s_and_saveexec_b64 s[0:1], vcc
	s_cbranch_execz .LBB694_788
; %bb.783:
	v_lshrrev_b32_e32 v2, 24, v5
	s_movk_i32 s3, 0x80
	v_cmp_ne_u32_e32 vcc, s3, v2
	v_mov_b32_e32 v3, 0xffff8000
	s_and_saveexec_b64 s[6:7], vcc
	s_cbranch_execz .LBB694_787
; %bb.784:
	v_bfe_u32 v4, v5, 24, 7
	s_movk_i32 s3, 0x7f
	v_cmp_ne_u32_e32 vcc, s3, v4
	v_mov_b32_e32 v3, 0x7f80
	s_and_saveexec_b64 s[10:11], vcc
	s_cbranch_execz .LBB694_786
; %bb.785:
	v_and_b32_e32 v3, 7, v2
	v_ffbh_u32_e32 v13, v3
	v_min_u32_e32 v13, 32, v13
	v_subrev_u32_e32 v16, 28, v13
	v_lshlrev_b64 v[16:17], v16, v[2:3]
	v_lshrrev_b32_e32 v5, 3, v4
	v_sub_u32_e32 v13, 29, v13
	v_and_b32_e32 v16, 7, v16
	v_cmp_gt_u32_e32 vcc, 8, v4
	v_cndmask_b32_e32 v4, v5, v13, vcc
	v_cndmask_b32_e32 v3, v3, v16, vcc
	v_lshlrev_b32_e32 v2, 24, v2
	v_bfrev_b32_e32 v5, 60
	v_lshlrev_b32_e32 v3, 20, v3
	v_and_b32_e32 v2, 0x80000000, v2
	v_lshl_add_u32 v4, v4, 23, v5
	v_or3_b32 v2, v2, v4, v3
	v_lshrrev_b32_e32 v3, 16, v2
.LBB694_786:
	s_or_b64 exec, exec, s[10:11]
.LBB694_787:
	s_or_b64 exec, exec, s[6:7]
.LBB694_788:
	s_or_b64 exec, exec, s[0:1]
	s_mov_b32 s0, 0x5040100
	v_perm_b32 v5, v10, v9, s0
	v_perm_b32 v4, v7, v8, s0
	;; [unrolled: 1-line block ×4, first 2 shown]
	v_mfma_f32_4x4x4bf16_1k a[0:3], v[14:15], v[4:5], a[0:3] cbsz:4 abid:14
	s_load_dword s0, s[14:15], 0x0
	v_mfma_f32_4x4x4bf16_1k a[0:3], v[14:15], v[2:3], a[0:3] cbsz:4 abid:15
	s_nop 4
	v_accvgpr_read_b32 v5, a1
	v_accvgpr_read_b32 v4, a0
	;; [unrolled: 1-line block ×4, first 2 shown]
	s_waitcnt lgkmcnt(0)
	v_pk_mul_f32 v[4:5], v[4:5], s[0:1] op_sel_hi:[1,0]
	v_pk_mul_f32 v[2:3], v[2:3], s[0:1] op_sel_hi:[1,0]
	v_bfe_u32 v6, v5, 16, 1
	v_bfe_u32 v7, v4, 16, 1
	s_movk_i32 s0, 0x7fff
	v_add3_u32 v4, v4, v7, s0
	v_add3_u32 v5, v5, v6, s0
	v_bfe_u32 v6, v3, 16, 1
	v_bfe_u32 v7, v2, 16, 1
	v_add3_u32 v2, v2, v7, s0
	v_add3_u32 v3, v3, v6, s0
	s_mov_b32 s0, 0x7060302
	v_perm_b32 v23, v3, v2, s0
	v_perm_b32 v22, v5, v4, s0
.LBB694_789:
	s_or_b64 exec, exec, s[4:5]
	v_lshlrev_b32_e32 v1, 3, v1
	v_mad_u32_u24 v1, v42, 40, v1
	v_cmp_gt_u32_e32 vcc, 64, v0
	ds_write_b64 v1, v[22:23]
	s_waitcnt lgkmcnt(0)
	s_barrier
	s_and_saveexec_b64 s[0:1], vcc
	s_cbranch_execz .LBB694_791
; %bb.790:
	s_lshl_b32 s0, s2, 6
	s_mov_b32 s1, 0
	s_lshl_b64 s[2:3], s[0:1], 1
	s_add_u32 s2, s30, s2
	s_mul_i32 s8, s8, s9
	s_addc_u32 s3, s31, s3
	s_lshl_b32 s0, s28, 6
	v_lshl_or_b32 v0, s8, 6, v0
	v_mov_b32_e32 v1, 0
	s_waitcnt vmcnt(1)
	v_mul_u32_u24_e32 v7, 40, v42
	s_lshl_b64 s[0:1], s[0:1], 1
	s_waitcnt vmcnt(0)
	v_lshlrev_b64 v[4:5], 1, v[0:1]
	ds_read2_b64 v[0:3], v7 offset1:1
	s_add_u32 s0, s2, s0
	s_addc_u32 s1, s3, s1
	v_mov_b32_e32 v6, s1
	v_add_co_u32_e32 v8, vcc, s0, v4
	v_addc_co_u32_e32 v9, vcc, v6, v5, vcc
	ds_read2_b64 v[4:7], v7 offset0:2 offset1:3
	s_waitcnt lgkmcnt(1)
	v_lshlrev_b32_e32 v0, 16, v0
	v_add_f32_e32 v0, 0, v0
	v_and_b32_e32 v0, 0xffff0000, v0
	v_lshlrev_b32_e32 v1, 16, v2
	v_add_f32_e32 v0, v0, v1
	v_and_b32_e32 v0, 0xffff0000, v0
	s_waitcnt lgkmcnt(0)
	v_lshlrev_b32_e32 v1, 16, v4
	v_add_f32_e32 v0, v0, v1
	v_and_b32_e32 v0, 0xffff0000, v0
	v_lshlrev_b32_e32 v1, 16, v6
	v_add_f32_e32 v0, v0, v1
	global_store_short_d16_hi v[8:9], v0, off
.LBB694_791:
	s_endpgm
	.section	.rodata,"a",@progbits
	.p2align	6, 0x0
	.amdhsa_kernel _Z38paged_attention_ll4mi_QKV_mfma4_kernelI14__hip_bfloat16hLN4vllm18Fp8KVCacheDataTypeE1ES0_Li16ELi64ELi256ELb0ELi1EEvPKT_PKT0_S8_ifPKiSA_SA_iPKfiiiPfSD_PS3_PT2_iSC_SC_
		.amdhsa_group_segment_fixed_size 2720
		.amdhsa_private_segment_fixed_size 0
		.amdhsa_kernarg_size 400
		.amdhsa_user_sgpr_count 6
		.amdhsa_user_sgpr_private_segment_buffer 1
		.amdhsa_user_sgpr_dispatch_ptr 0
		.amdhsa_user_sgpr_queue_ptr 0
		.amdhsa_user_sgpr_kernarg_segment_ptr 1
		.amdhsa_user_sgpr_dispatch_id 0
		.amdhsa_user_sgpr_flat_scratch_init 0
		.amdhsa_user_sgpr_kernarg_preload_length 0
		.amdhsa_user_sgpr_kernarg_preload_offset 0
		.amdhsa_user_sgpr_private_segment_size 0
		.amdhsa_uses_dynamic_stack 0
		.amdhsa_system_sgpr_private_segment_wavefront_offset 0
		.amdhsa_system_sgpr_workgroup_id_x 1
		.amdhsa_system_sgpr_workgroup_id_y 1
		.amdhsa_system_sgpr_workgroup_id_z 1
		.amdhsa_system_sgpr_workgroup_info 0
		.amdhsa_system_vgpr_workitem_id 0
		.amdhsa_next_free_vgpr 60
		.amdhsa_next_free_sgpr 42
		.amdhsa_accum_offset 56
		.amdhsa_reserve_vcc 1
		.amdhsa_reserve_flat_scratch 0
		.amdhsa_float_round_mode_32 0
		.amdhsa_float_round_mode_16_64 0
		.amdhsa_float_denorm_mode_32 3
		.amdhsa_float_denorm_mode_16_64 3
		.amdhsa_dx10_clamp 1
		.amdhsa_ieee_mode 1
		.amdhsa_fp16_overflow 0
		.amdhsa_tg_split 0
		.amdhsa_exception_fp_ieee_invalid_op 0
		.amdhsa_exception_fp_denorm_src 0
		.amdhsa_exception_fp_ieee_div_zero 0
		.amdhsa_exception_fp_ieee_overflow 0
		.amdhsa_exception_fp_ieee_underflow 0
		.amdhsa_exception_fp_ieee_inexact 0
		.amdhsa_exception_int_div_zero 0
	.end_amdhsa_kernel
	.section	.text._Z38paged_attention_ll4mi_QKV_mfma4_kernelI14__hip_bfloat16hLN4vllm18Fp8KVCacheDataTypeE1ES0_Li16ELi64ELi256ELb0ELi1EEvPKT_PKT0_S8_ifPKiSA_SA_iPKfiiiPfSD_PS3_PT2_iSC_SC_,"axG",@progbits,_Z38paged_attention_ll4mi_QKV_mfma4_kernelI14__hip_bfloat16hLN4vllm18Fp8KVCacheDataTypeE1ES0_Li16ELi64ELi256ELb0ELi1EEvPKT_PKT0_S8_ifPKiSA_SA_iPKfiiiPfSD_PS3_PT2_iSC_SC_,comdat
.Lfunc_end694:
	.size	_Z38paged_attention_ll4mi_QKV_mfma4_kernelI14__hip_bfloat16hLN4vllm18Fp8KVCacheDataTypeE1ES0_Li16ELi64ELi256ELb0ELi1EEvPKT_PKT0_S8_ifPKiSA_SA_iPKfiiiPfSD_PS3_PT2_iSC_SC_, .Lfunc_end694-_Z38paged_attention_ll4mi_QKV_mfma4_kernelI14__hip_bfloat16hLN4vllm18Fp8KVCacheDataTypeE1ES0_Li16ELi64ELi256ELb0ELi1EEvPKT_PKT0_S8_ifPKiSA_SA_iPKfiiiPfSD_PS3_PT2_iSC_SC_
                                        ; -- End function
	.section	.AMDGPU.csdata,"",@progbits
; Kernel info:
; codeLenInByte = 29044
; NumSgprs: 46
; NumVgprs: 55
; NumAgprs: 4
; TotalNumVgprs: 60
; ScratchSize: 0
; MemoryBound: 0
; FloatMode: 240
; IeeeMode: 1
; LDSByteSize: 2720 bytes/workgroup (compile time only)
; SGPRBlocks: 5
; VGPRBlocks: 7
; NumSGPRsForWavesPerEU: 46
; NumVGPRsForWavesPerEU: 60
; AccumOffset: 56
; Occupancy: 8
; WaveLimiterHint : 1
; COMPUTE_PGM_RSRC2:SCRATCH_EN: 0
; COMPUTE_PGM_RSRC2:USER_SGPR: 6
; COMPUTE_PGM_RSRC2:TRAP_HANDLER: 0
; COMPUTE_PGM_RSRC2:TGID_X_EN: 1
; COMPUTE_PGM_RSRC2:TGID_Y_EN: 1
; COMPUTE_PGM_RSRC2:TGID_Z_EN: 1
; COMPUTE_PGM_RSRC2:TIDIG_COMP_CNT: 0
; COMPUTE_PGM_RSRC3_GFX90A:ACCUM_OFFSET: 13
; COMPUTE_PGM_RSRC3_GFX90A:TG_SPLIT: 0
	.section	.text._Z38paged_attention_ll4mi_QKV_mfma4_kernelI14__hip_bfloat16hLN4vllm18Fp8KVCacheDataTypeE1ES0_Li16ELi64ELi256ELb0ELi2EEvPKT_PKT0_S8_ifPKiSA_SA_iPKfiiiPfSD_PS3_PT2_iSC_SC_,"axG",@progbits,_Z38paged_attention_ll4mi_QKV_mfma4_kernelI14__hip_bfloat16hLN4vllm18Fp8KVCacheDataTypeE1ES0_Li16ELi64ELi256ELb0ELi2EEvPKT_PKT0_S8_ifPKiSA_SA_iPKfiiiPfSD_PS3_PT2_iSC_SC_,comdat
	.protected	_Z38paged_attention_ll4mi_QKV_mfma4_kernelI14__hip_bfloat16hLN4vllm18Fp8KVCacheDataTypeE1ES0_Li16ELi64ELi256ELb0ELi2EEvPKT_PKT0_S8_ifPKiSA_SA_iPKfiiiPfSD_PS3_PT2_iSC_SC_ ; -- Begin function _Z38paged_attention_ll4mi_QKV_mfma4_kernelI14__hip_bfloat16hLN4vllm18Fp8KVCacheDataTypeE1ES0_Li16ELi64ELi256ELb0ELi2EEvPKT_PKT0_S8_ifPKiSA_SA_iPKfiiiPfSD_PS3_PT2_iSC_SC_
	.globl	_Z38paged_attention_ll4mi_QKV_mfma4_kernelI14__hip_bfloat16hLN4vllm18Fp8KVCacheDataTypeE1ES0_Li16ELi64ELi256ELb0ELi2EEvPKT_PKT0_S8_ifPKiSA_SA_iPKfiiiPfSD_PS3_PT2_iSC_SC_
	.p2align	8
	.type	_Z38paged_attention_ll4mi_QKV_mfma4_kernelI14__hip_bfloat16hLN4vllm18Fp8KVCacheDataTypeE1ES0_Li16ELi64ELi256ELb0ELi2EEvPKT_PKT0_S8_ifPKiSA_SA_iPKfiiiPfSD_PS3_PT2_iSC_SC_,@function
_Z38paged_attention_ll4mi_QKV_mfma4_kernelI14__hip_bfloat16hLN4vllm18Fp8KVCacheDataTypeE1ES0_Li16ELi64ELi256ELb0ELi2EEvPKT_PKT0_S8_ifPKiSA_SA_iPKfiiiPfSD_PS3_PT2_iSC_SC_: ; @_Z38paged_attention_ll4mi_QKV_mfma4_kernelI14__hip_bfloat16hLN4vllm18Fp8KVCacheDataTypeE1ES0_Li16ELi64ELi256ELb0ELi2EEvPKT_PKT0_S8_ifPKiSA_SA_iPKfiiiPfSD_PS3_PT2_iSC_SC_
; %bb.0:
	s_load_dwordx2 s[2:3], s[4:5], 0x30
	s_mov_b32 s28, s7
	s_mov_b64 s[0:1], 0
	s_waitcnt lgkmcnt(0)
	s_cmp_lg_u64 s[2:3], 0
	s_cselect_b64 s[10:11], -1, 0
	s_and_b64 vcc, exec, s[10:11]
	s_cbranch_vccz .LBB695_10
; %bb.1:
	s_add_i32 s12, s6, 1
	s_mov_b32 s13, 0
	s_lshl_b64 s[14:15], s[12:13], 2
	s_add_u32 s14, s2, s14
	s_mov_b32 s7, s13
	s_addc_u32 s15, s3, s15
	s_lshl_b64 s[12:13], s[6:7], 2
	s_add_u32 s12, s2, s12
	s_addc_u32 s13, s3, s13
	s_load_dword s9, s[14:15], 0x0
	s_load_dword s16, s[12:13], 0x0
	s_waitcnt lgkmcnt(0)
	s_sub_i32 s9, s9, s16
	s_cmp_eq_u32 s9, 1
	s_cselect_b64 s[12:13], -1, 0
	s_andn2_b64 vcc, exec, s[0:1]
	s_cbranch_vccnz .LBB695_3
.LBB695_2:
	s_mov_b32 s7, 0
	s_mov_b64 s[12:13], -1
.LBB695_3:
	s_andn2_b64 vcc, exec, s[12:13]
	s_cbranch_vccnz .LBB695_791
; %bb.4:
	s_load_dword s9, s[4:5], 0x9c
	s_load_dwordx2 s[0:1], s[4:5], 0x28
	s_add_u32 s34, s4, 0x90
	s_addc_u32 s35, s5, 0
	s_lshl_b64 s[20:21], s[6:7], 2
	s_waitcnt lgkmcnt(0)
	s_and_b32 s9, s9, 0xffff
	s_add_u32 s0, s0, s20
	s_addc_u32 s1, s1, s21
	s_load_dword s7, s[0:1], 0x0
	s_mul_i32 s9, s28, s9
	s_waitcnt lgkmcnt(0)
	s_cmp_ge_i32 s9, s7
	s_cbranch_scc1 .LBB695_791
; %bb.5:
	v_and_b32_e32 v2, 0xc0, v0
	v_add_u32_e32 v4, s9, v2
	v_lshrrev_b32_e32 v1, 6, v0
	v_cmp_gt_i32_e64 s[0:1], s7, v4
	v_cmp_le_i32_e32 vcc, s7, v4
                                        ; implicit-def: $sgpr23
                                        ; implicit-def: $sgpr22
	s_and_saveexec_b64 s[12:13], vcc
	s_xor_b64 s[12:13], exec, s[12:13]
	s_cbranch_execz .LBB695_7
; %bb.6:
	v_mul_u32_u24_e32 v2, 20, v1
	v_or_b32_e32 v2, 0xa00, v2
	v_mov_b32_e32 v3, 0xa50
	v_mov_b32_e32 v4, 0xff7fffff
	v_mad_u32_u24 v3, v1, 20, v3
	ds_write2_b32 v2, v4, v4 offset1:1
	v_mov_b32_e32 v2, 0
	ds_write2_b32 v3, v2, v2 offset1:1
	v_mov_b32_e32 v3, 0xa08
	s_mov_b32 s22, 0xff7fffff
	s_mov_b32 s23, 0
	v_mad_u32_u24 v3, v1, 20, v3
	v_mov_b32_e32 v5, 0xa58
	v_mad_u32_u24 v5, v1, 20, v5
	ds_write2_b32 v3, v4, v4 offset1:1
	ds_write2_b32 v5, v2, v2 offset1:1
                                        ; implicit-def: $vgpr4
.LBB695_7:
	s_or_saveexec_b64 s[36:37], s[12:13]
	s_load_dwordx2 s[30:31], s[4:5], 0x68
	s_load_dwordx4 s[16:19], s[4:5], 0x58
	s_load_dword s33, s[34:35], 0x4
	s_load_dwordx4 s[12:15], s[4:5], 0x80
	v_and_b32_e32 v42, 63, v0
	v_and_b32_e32 v43, 3, v0
	v_mov_b32_e32 v21, s23
	v_mov_b32_e32 v25, s22
	;; [unrolled: 1-line block ×5, first 2 shown]
                                        ; implicit-def: $vgpr14_vgpr15
                                        ; implicit-def: $vgpr10_vgpr11
                                        ; implicit-def: $vgpr6_vgpr7
                                        ; implicit-def: $vgpr2_vgpr3
	s_xor_b64 exec, exec, s[36:37]
	s_cbranch_execz .LBB695_401
; %bb.8:
	s_add_i32 s25, s7, 15
	s_ashr_i32 s26, s25, 31
	s_load_dwordx2 s[22:23], s[4:5], 0x20
	s_load_dword s24, s[4:5], 0x38
	s_lshr_b32 s26, s26, 28
	v_add_u32_e32 v44, s9, v0
	s_add_i32 s25, s25, s26
	v_ashrrev_i32_e32 v2, 31, v44
	s_ashr_i32 s25, s25, 4
	v_lshrrev_b32_e32 v2, 28, v2
	s_add_i32 s26, s25, -1
	v_add_u32_e32 v2, v44, v2
	v_ashrrev_i32_e32 v2, 4, v2
	v_mov_b32_e32 v3, s26
	v_cmp_gt_i32_e32 vcc, s7, v44
	s_waitcnt lgkmcnt(0)
	s_mul_i32 s24, s6, s24
	s_mov_b32 s25, 0
	v_cndmask_b32_e32 v2, v3, v2, vcc
	s_lshl_b64 s[24:25], s[24:25], 2
	v_ashrrev_i32_e32 v3, 31, v2
	s_add_u32 s22, s22, s24
	v_lshlrev_b64 v[2:3], 2, v[2:3]
	v_add_co_u32_e32 v8, vcc, s22, v2
	v_ashrrev_i32_e32 v2, 31, v4
	v_lshrrev_b32_e32 v2, 28, v2
	v_add_u32_e32 v2, v4, v2
	s_addc_u32 s23, s23, s25
	v_ashrrev_i32_e32 v4, 4, v2
	v_mov_b32_e32 v5, s23
	v_min_i32_e32 v2, s26, v4
	v_addc_co_u32_e32 v9, vcc, v5, v3, vcc
	v_ashrrev_i32_e32 v3, 31, v2
	v_lshlrev_b64 v[2:3], 2, v[2:3]
	v_add_co_u32_e32 v10, vcc, s22, v2
	v_add_u32_e32 v2, 1, v4
	v_min_i32_e32 v2, s26, v2
	v_addc_co_u32_e32 v11, vcc, v5, v3, vcc
	v_ashrrev_i32_e32 v3, 31, v2
	v_lshlrev_b64 v[2:3], 2, v[2:3]
	v_add_co_u32_e32 v12, vcc, s22, v2
	v_add_u32_e32 v2, 2, v4
	v_min_i32_e32 v2, s26, v2
	v_addc_co_u32_e32 v13, vcc, v5, v3, vcc
	v_ashrrev_i32_e32 v3, 31, v2
	v_lshlrev_b64 v[2:3], 2, v[2:3]
	v_add_co_u32_e32 v14, vcc, s22, v2
	v_add_u32_e32 v2, 3, v4
	v_min_i32_e32 v2, s26, v2
	v_addc_co_u32_e32 v15, vcc, v5, v3, vcc
	v_ashrrev_i32_e32 v3, 31, v2
	v_lshlrev_b64 v[2:3], 2, v[2:3]
	v_mov_b32_e32 v4, s23
	v_add_co_u32_e32 v16, vcc, s22, v2
	v_addc_co_u32_e32 v17, vcc, v4, v3, vcc
	global_load_dword v6, v[8:9], off
	global_load_dword v5, v[10:11], off
	;; [unrolled: 1-line block ×5, first 2 shown]
	s_load_dwordx4 s[24:27], s[4:5], 0x8
	s_andn2_b64 vcc, exec, s[10:11]
	s_cbranch_vccnz .LBB695_11
; %bb.9:
	s_add_u32 s2, s2, s20
	s_addc_u32 s3, s3, s21
	s_load_dword s9, s[2:3], 0x0
	s_branch .LBB695_12
.LBB695_10:
	s_mov_b64 s[12:13], 0
	s_branch .LBB695_2
.LBB695_11:
	s_mov_b32 s9, s6
.LBB695_12:
	s_load_dwordx4 s[20:23], s[4:5], 0x48
	v_cmp_gt_u32_e32 vcc, 2, v43
	s_mov_b32 s11, 0
	v_mov_b32_e32 v39, 0
	v_mov_b32_e32 v18, 0
	;; [unrolled: 1-line block ×5, first 2 shown]
	s_and_saveexec_b64 s[2:3], vcc
	s_cbranch_execz .LBB695_14
; %bb.13:
	s_load_dwordx2 s[38:39], s[4:5], 0x0
	s_waitcnt lgkmcnt(0)
	s_ashr_i32 s10, s20, 31
	s_mul_hi_u32 s23, s9, s20
	s_mul_i32 s10, s9, s10
	s_add_i32 s41, s23, s10
	s_mul_i32 s40, s9, s20
	s_lshl_b64 s[40:41], s[40:41], 1
	s_add_u32 s9, s38, s40
	s_addc_u32 s20, s39, s41
	s_lshl_b32 s10, s8, 7
	s_lshl_b64 s[10:11], s[10:11], 1
	s_add_u32 s10, s9, s10
	v_lshlrev_b32_e32 v7, 3, v43
	v_lshrrev_b32_e32 v8, 2, v42
	s_addc_u32 s11, s20, s11
	v_add_lshl_u32 v7, v7, v8, 4
	global_load_dwordx4 v[18:21], v7, s[10:11]
.LBB695_14:
	s_or_b64 exec, exec, s[2:3]
	s_waitcnt lgkmcnt(0)
	s_mul_i32 s9, s8, s22
	s_add_u32 s2, s9, s24
	s_addc_u32 s3, 0, s25
	v_pk_mov_b32 v[8:9], s[2:3], s[2:3] op_sel:[0,1]
	s_waitcnt vmcnt(4)
	v_mad_i64_i32 v[6:7], s[2:3], v6, s21, v[8:9]
	v_lshlrev_b32_e32 v8, 4, v0
	v_and_b32_e32 v8, 0xf0, v8
	v_add_co_u32_e32 v6, vcc, v6, v8
	v_addc_co_u32_e32 v7, vcc, 0, v7, vcc
	global_load_dwordx4 v[34:37], v[6:7], off
	global_load_dwordx4 v[30:33], v[6:7], off offset:256
	global_load_dwordx4 v[26:29], v[6:7], off offset:512
	;; [unrolled: 1-line block ×3, first 2 shown]
	s_add_u32 s2, s26, s9
	v_lshlrev_b32_e32 v6, 4, v42
	v_add_co_u32_e32 v8, vcc, s2, v6
	s_waitcnt vmcnt(7)
	v_mul_hi_i32 v6, v5, s21
	s_addc_u32 s3, s27, 0
	v_ashrrev_i32_e32 v6, 31, v6
	v_mov_b32_e32 v7, s3
	v_lshrrev_b32_e32 v38, 29, v6
	v_addc_co_u32_e32 v9, vcc, 0, v7, vcc
	v_mad_i64_i32 v[6:7], s[2:3], v5, s21, v[38:39]
	v_and_b32_e32 v5, -8, v6
	v_add_co_u32_e32 v6, vcc, v8, v5
	s_waitcnt vmcnt(6)
	v_mul_hi_i32 v5, v4, s21
	v_ashrrev_i32_e32 v5, 31, v5
	v_lshrrev_b32_e32 v38, 29, v5
	v_mad_i64_i32 v[4:5], s[2:3], v4, s21, v[38:39]
	v_addc_co_u32_e32 v7, vcc, v9, v7, vcc
	v_and_b32_e32 v4, -8, v4
	v_add_co_u32_e32 v4, vcc, v8, v4
	v_addc_co_u32_e32 v5, vcc, v9, v5, vcc
	global_load_dwordx4 v[14:17], v[6:7], off
	global_load_dwordx4 v[10:13], v[4:5], off
	s_waitcnt vmcnt(7)
	v_mul_hi_i32 v4, v3, s21
	v_ashrrev_i32_e32 v4, 31, v4
	v_lshrrev_b32_e32 v38, 29, v4
	v_mad_i64_i32 v[4:5], s[2:3], v3, s21, v[38:39]
	v_and_b32_e32 v3, -8, v4
	v_add_co_u32_e32 v40, vcc, v8, v3
	s_waitcnt vmcnt(6)
	v_mul_hi_i32 v3, v2, s21
	v_ashrrev_i32_e32 v3, 31, v3
	v_lshrrev_b32_e32 v38, 29, v3
	v_mad_i64_i32 v[2:3], s[2:3], v2, s21, v[38:39]
	v_addc_co_u32_e32 v41, vcc, v9, v5, vcc
	v_and_b32_e32 v2, -8, v2
	v_add_co_u32_e32 v46, vcc, v8, v2
	v_addc_co_u32_e32 v47, vcc, v9, v3, vcc
	global_load_dwordx4 v[6:9], v[40:41], off
	global_load_dwordx4 v[2:5], v[46:47], off
	s_waitcnt vmcnt(7)
	v_cmp_ne_u16_sdwa s[10:11], v34, v39 src0_sel:BYTE_0 src1_sel:DWORD
	s_and_saveexec_b64 s[2:3], s[10:11]
	s_cbranch_execz .LBB695_20
; %bb.15:
	s_movk_i32 s9, 0x80
	v_cmp_ne_u16_sdwa s[20:21], v34, s9 src0_sel:BYTE_0 src1_sel:DWORD
	v_mov_b32_e32 v39, 0xffff8000
	s_and_saveexec_b64 s[10:11], s[20:21]
	s_cbranch_execz .LBB695_19
; %bb.16:
	s_movk_i32 s9, 0x7f
	v_and_b32_e32 v38, 0x7f, v34
	v_cmp_ne_u32_e32 vcc, s9, v38
	v_mov_b32_e32 v39, 0x7f80
	s_and_saveexec_b64 s[20:21], vcc
	s_cbranch_execz .LBB695_18
; %bb.17:
	v_and_b32_e32 v39, 7, v34
	v_ffbh_u32_e32 v39, v39
	v_min_u32_e32 v39, 32, v39
	v_subrev_u32_e32 v41, 28, v39
	v_cmp_gt_u32_e32 vcc, 8, v38
	v_lshrrev_b32_e32 v40, 3, v38
	v_sub_u32_e32 v39, 29, v39
	v_cndmask_b32_e32 v38, 0, v41, vcc
	v_cndmask_b32_e32 v40, v40, v39, vcc
	v_lshlrev_b64 v[38:39], v38, v[34:35]
	v_lshlrev_b32_e32 v38, 20, v38
	v_lshlrev_b32_e32 v39, 24, v34
	v_bfrev_b32_e32 v41, 60
	v_and_b32_e32 v38, 0x700000, v38
	v_and_b32_e32 v39, 0x80000000, v39
	v_lshl_add_u32 v40, v40, 23, v41
	v_or3_b32 v38, v39, v40, v38
	v_lshrrev_b32_e32 v39, 16, v38
.LBB695_18:
	s_or_b64 exec, exec, s[20:21]
.LBB695_19:
	s_or_b64 exec, exec, s[10:11]
.LBB695_20:
	s_or_b64 exec, exec, s[2:3]
	v_lshrrev_b16_e32 v38, 8, v34
	v_cmp_ne_u16_e32 vcc, 0, v38
	v_mov_b32_e32 v46, 0
	v_mov_b32_e32 v45, 0
	s_and_saveexec_b64 s[2:3], vcc
	s_cbranch_execz .LBB695_26
; %bb.21:
	s_movk_i32 s9, 0x80
	v_cmp_ne_u16_e32 vcc, s9, v38
	v_mov_b32_e32 v45, 0xffff8000
	s_and_saveexec_b64 s[10:11], vcc
	s_cbranch_execz .LBB695_25
; %bb.22:
	s_movk_i32 s9, 0x7f
	v_and_b32_e32 v40, 0x7f, v38
	v_cmp_ne_u32_e32 vcc, s9, v40
	v_mov_b32_e32 v45, 0x7f80
	s_and_saveexec_b64 s[20:21], vcc
	s_cbranch_execz .LBB695_24
; %bb.23:
	v_and_b32_e32 v41, 7, v38
	v_ffbh_u32_e32 v47, v41
	v_min_u32_e32 v47, 32, v47
	v_subrev_u32_e32 v48, 28, v47
	v_lshlrev_b64 v[48:49], v48, v[38:39]
	v_lshrrev_b32_e32 v45, 3, v40
	v_sub_u32_e32 v38, 29, v47
	v_and_b32_e32 v47, 7, v48
	v_cmp_gt_u32_e32 vcc, 8, v40
	v_cndmask_b32_e32 v38, v45, v38, vcc
	v_cndmask_b32_e32 v40, v41, v47, vcc
	v_lshlrev_b32_e32 v41, 16, v34
	v_bfrev_b32_e32 v45, 60
	v_lshlrev_b32_e32 v40, 20, v40
	v_and_b32_e32 v41, 0x80000000, v41
	v_lshl_add_u32 v38, v38, 23, v45
	v_or3_b32 v38, v41, v38, v40
	v_lshrrev_b32_e32 v45, 16, v38
.LBB695_24:
	s_or_b64 exec, exec, s[20:21]
.LBB695_25:
	s_or_b64 exec, exec, s[10:11]
.LBB695_26:
	s_or_b64 exec, exec, s[2:3]
	s_movk_i32 s2, 0xff
	v_and_b32_sdwa v40, v34, s2 dst_sel:DWORD dst_unused:UNUSED_PAD src0_sel:WORD_1 src1_sel:DWORD
	v_lshrrev_b32_e32 v38, 16, v34
	v_cmp_ne_u16_e32 vcc, 0, v40
	s_and_saveexec_b64 s[2:3], vcc
	s_cbranch_execz .LBB695_32
; %bb.27:
	s_movk_i32 s9, 0x80
	v_cmp_ne_u16_e32 vcc, s9, v40
	v_mov_b32_e32 v46, 0xffff8000
	s_and_saveexec_b64 s[10:11], vcc
	s_cbranch_execz .LBB695_31
; %bb.28:
	v_bfe_u32 v40, v34, 16, 7
	s_movk_i32 s9, 0x7f
	v_cmp_ne_u32_e32 vcc, s9, v40
	v_mov_b32_e32 v46, 0x7f80
	s_and_saveexec_b64 s[20:21], vcc
	s_cbranch_execz .LBB695_30
; %bb.29:
	v_and_b32_e32 v41, 7, v38
	v_ffbh_u32_e32 v46, v41
	v_min_u32_e32 v49, 32, v46
	v_subrev_u32_e32 v46, 28, v49
	v_lshlrev_b64 v[46:47], v46, v[38:39]
	v_and_b32_e32 v46, 7, v46
	v_cmp_gt_u32_e32 vcc, 8, v40
	v_lshrrev_b32_e32 v48, 3, v40
	v_sub_u32_e32 v38, 29, v49
	v_cndmask_b32_e32 v40, v41, v46, vcc
	v_mov_b32_e32 v41, 24
	v_cndmask_b32_e32 v38, v48, v38, vcc
	v_lshlrev_b32_sdwa v41, v41, v34 dst_sel:DWORD dst_unused:UNUSED_PAD src0_sel:DWORD src1_sel:WORD_1
	v_bfrev_b32_e32 v46, 60
	v_lshlrev_b32_e32 v40, 20, v40
	v_and_b32_e32 v41, 0x80000000, v41
	v_lshl_add_u32 v38, v38, 23, v46
	v_or3_b32 v38, v41, v38, v40
	v_lshrrev_b32_e32 v46, 16, v38
.LBB695_30:
	s_or_b64 exec, exec, s[20:21]
.LBB695_31:
	s_or_b64 exec, exec, s[10:11]
.LBB695_32:
	s_or_b64 exec, exec, s[2:3]
	s_mov_b32 s2, 0xffffff
	v_cmp_lt_u32_e32 vcc, s2, v34
	v_mov_b32_e32 v41, 0
	v_mov_b32_e32 v47, 0
	s_and_saveexec_b64 s[2:3], vcc
	s_cbranch_execz .LBB695_38
; %bb.33:
	v_lshrrev_b32_e32 v38, 24, v34
	s_movk_i32 s9, 0x80
	v_cmp_ne_u32_e32 vcc, s9, v38
	v_mov_b32_e32 v47, 0xffff8000
	s_and_saveexec_b64 s[10:11], vcc
	s_cbranch_execz .LBB695_37
; %bb.34:
	v_bfe_u32 v40, v34, 24, 7
	s_movk_i32 s9, 0x7f
	v_cmp_ne_u32_e32 vcc, s9, v40
	v_mov_b32_e32 v47, 0x7f80
	s_and_saveexec_b64 s[20:21], vcc
	s_cbranch_execz .LBB695_36
; %bb.35:
	v_and_b32_e32 v47, 7, v38
	v_ffbh_u32_e32 v48, v47
	v_min_u32_e32 v51, 32, v48
	v_subrev_u32_e32 v48, 28, v51
	v_lshlrev_b64 v[48:49], v48, v[38:39]
	v_lshrrev_b32_e32 v50, 3, v40
	v_sub_u32_e32 v49, 29, v51
	v_and_b32_e32 v48, 7, v48
	v_cmp_gt_u32_e32 vcc, 8, v40
	v_cndmask_b32_e32 v40, v50, v49, vcc
	v_cndmask_b32_e32 v47, v47, v48, vcc
	v_lshlrev_b32_e32 v38, 24, v38
	v_bfrev_b32_e32 v48, 60
	v_lshlrev_b32_e32 v47, 20, v47
	v_and_b32_e32 v38, 0x80000000, v38
	v_lshl_add_u32 v40, v40, 23, v48
	v_or3_b32 v38, v38, v40, v47
	v_lshrrev_b32_e32 v47, 16, v38
.LBB695_36:
	s_or_b64 exec, exec, s[20:21]
.LBB695_37:
	s_or_b64 exec, exec, s[10:11]
.LBB695_38:
	s_or_b64 exec, exec, s[2:3]
	v_mov_b32_e32 v40, v35
	v_cmp_ne_u16_sdwa s[10:11], v35, v41 src0_sel:BYTE_0 src1_sel:DWORD
	s_and_saveexec_b64 s[2:3], s[10:11]
	s_cbranch_execz .LBB695_44
; %bb.39:
	s_movk_i32 s9, 0x80
	v_cmp_ne_u16_sdwa s[20:21], v35, s9 src0_sel:BYTE_0 src1_sel:DWORD
	v_mov_b32_e32 v38, 0xffff8000
	s_and_saveexec_b64 s[10:11], s[20:21]
	s_cbranch_execz .LBB695_43
; %bb.40:
	s_movk_i32 s9, 0x7f
	v_and_b32_e32 v48, 0x7f, v35
	v_cmp_ne_u32_e32 vcc, s9, v48
	v_mov_b32_e32 v38, 0x7f80
	s_and_saveexec_b64 s[20:21], vcc
	s_cbranch_execz .LBB695_42
; %bb.41:
	v_and_b32_e32 v38, 7, v35
	v_ffbh_u32_e32 v38, v38
	v_min_u32_e32 v38, 32, v38
	v_subrev_u32_e32 v50, 28, v38
	v_cmp_gt_u32_e32 vcc, 8, v48
	v_lshrrev_b32_e32 v49, 3, v48
	v_sub_u32_e32 v38, 29, v38
	v_cndmask_b32_e32 v48, 0, v50, vcc
	v_cndmask_b32_e32 v38, v49, v38, vcc
	v_lshlrev_b64 v[48:49], v48, v[40:41]
	v_lshlrev_b32_e32 v41, 20, v48
	v_lshlrev_b32_e32 v48, 24, v40
	v_bfrev_b32_e32 v49, 60
	v_and_b32_e32 v41, 0x700000, v41
	v_and_b32_e32 v48, 0x80000000, v48
	v_lshl_add_u32 v38, v38, 23, v49
	v_or3_b32 v38, v48, v38, v41
	v_lshrrev_b32_e32 v38, 16, v38
.LBB695_42:
	s_or_b64 exec, exec, s[20:21]
.LBB695_43:
	s_or_b64 exec, exec, s[10:11]
	v_mov_b32_e32 v41, v38
.LBB695_44:
	s_or_b64 exec, exec, s[2:3]
	v_lshrrev_b16_e32 v38, 8, v40
	v_cmp_ne_u16_e32 vcc, 0, v38
	v_mov_b32_e32 v49, 0
	v_mov_b32_e32 v48, 0
	s_and_saveexec_b64 s[2:3], vcc
	s_cbranch_execz .LBB695_50
; %bb.45:
	s_movk_i32 s9, 0x80
	v_cmp_ne_u16_e32 vcc, s9, v38
	v_mov_b32_e32 v48, 0xffff8000
	s_and_saveexec_b64 s[10:11], vcc
	s_cbranch_execz .LBB695_49
; %bb.46:
	s_movk_i32 s9, 0x7f
	v_and_b32_e32 v50, 0x7f, v38
	v_cmp_ne_u32_e32 vcc, s9, v50
	v_mov_b32_e32 v48, 0x7f80
	s_and_saveexec_b64 s[20:21], vcc
	s_cbranch_execz .LBB695_48
; %bb.47:
	v_and_b32_e32 v48, 7, v38
	v_ffbh_u32_e32 v52, v48
	v_min_u32_e32 v54, 32, v52
	v_subrev_u32_e32 v52, 28, v54
	v_lshlrev_b64 v[52:53], v52, v[38:39]
	v_lshrrev_b32_e32 v51, 3, v50
	v_sub_u32_e32 v38, 29, v54
	v_and_b32_e32 v52, 7, v52
	v_cmp_gt_u32_e32 vcc, 8, v50
	v_cndmask_b32_e32 v38, v51, v38, vcc
	v_cndmask_b32_e32 v48, v48, v52, vcc
	v_lshlrev_b32_e32 v40, 16, v40
	v_bfrev_b32_e32 v50, 60
	v_lshlrev_b32_e32 v48, 20, v48
	v_and_b32_e32 v40, 0x80000000, v40
	v_lshl_add_u32 v38, v38, 23, v50
	v_or3_b32 v38, v40, v38, v48
	v_lshrrev_b32_e32 v48, 16, v38
.LBB695_48:
	s_or_b64 exec, exec, s[20:21]
.LBB695_49:
	s_or_b64 exec, exec, s[10:11]
.LBB695_50:
	s_or_b64 exec, exec, s[2:3]
	s_movk_i32 s2, 0xff
	v_and_b32_sdwa v40, v35, s2 dst_sel:DWORD dst_unused:UNUSED_PAD src0_sel:WORD_1 src1_sel:DWORD
	v_lshrrev_b32_e32 v38, 16, v35
	v_cmp_ne_u16_e32 vcc, 0, v40
	s_and_saveexec_b64 s[2:3], vcc
	s_cbranch_execz .LBB695_56
; %bb.51:
	s_movk_i32 s9, 0x80
	v_cmp_ne_u16_e32 vcc, s9, v40
	v_mov_b32_e32 v49, 0xffff8000
	s_and_saveexec_b64 s[10:11], vcc
	s_cbranch_execz .LBB695_55
; %bb.52:
	v_bfe_u32 v40, v35, 16, 7
	s_movk_i32 s9, 0x7f
	v_cmp_ne_u32_e32 vcc, s9, v40
	v_mov_b32_e32 v49, 0x7f80
	s_and_saveexec_b64 s[20:21], vcc
	s_cbranch_execz .LBB695_54
; %bb.53:
	v_and_b32_e32 v49, 7, v38
	v_ffbh_u32_e32 v50, v49
	v_min_u32_e32 v53, 32, v50
	v_subrev_u32_e32 v50, 28, v53
	v_lshlrev_b64 v[50:51], v50, v[38:39]
	v_and_b32_e32 v50, 7, v50
	v_cmp_gt_u32_e32 vcc, 8, v40
	v_lshrrev_b32_e32 v52, 3, v40
	v_sub_u32_e32 v38, 29, v53
	v_cndmask_b32_e32 v40, v49, v50, vcc
	v_mov_b32_e32 v49, 24
	v_cndmask_b32_e32 v38, v52, v38, vcc
	v_lshlrev_b32_sdwa v49, v49, v35 dst_sel:DWORD dst_unused:UNUSED_PAD src0_sel:DWORD src1_sel:WORD_1
	v_bfrev_b32_e32 v50, 60
	v_lshlrev_b32_e32 v40, 20, v40
	v_and_b32_e32 v49, 0x80000000, v49
	v_lshl_add_u32 v38, v38, 23, v50
	v_or3_b32 v38, v49, v38, v40
	v_lshrrev_b32_e32 v49, 16, v38
.LBB695_54:
	s_or_b64 exec, exec, s[20:21]
.LBB695_55:
	s_or_b64 exec, exec, s[10:11]
.LBB695_56:
	s_or_b64 exec, exec, s[2:3]
	s_mov_b32 s2, -1
	s_mov_b32 s3, 0xffffff
	v_cmp_lt_u64_e32 vcc, s[2:3], v[34:35]
	v_mov_b32_e32 v40, 0
	v_mov_b32_e32 v38, 0
	s_and_saveexec_b64 s[2:3], vcc
	s_cbranch_execz .LBB695_62
; %bb.57:
	v_lshrrev_b32_e32 v34, 24, v35
	s_movk_i32 s9, 0x80
	v_cmp_ne_u32_e32 vcc, s9, v34
	v_mov_b32_e32 v38, 0xffff8000
	s_and_saveexec_b64 s[10:11], vcc
	s_cbranch_execz .LBB695_61
; %bb.58:
	v_bfe_u32 v35, v35, 24, 7
	s_movk_i32 s9, 0x7f
	v_cmp_ne_u32_e32 vcc, s9, v35
	v_mov_b32_e32 v38, 0x7f80
	s_and_saveexec_b64 s[20:21], vcc
	s_cbranch_execz .LBB695_60
; %bb.59:
	v_and_b32_e32 v38, 7, v34
	v_ffbh_u32_e32 v50, v38
	v_min_u32_e32 v53, 32, v50
	v_subrev_u32_e32 v50, 28, v53
	v_lshlrev_b64 v[50:51], v50, v[34:35]
	v_lshrrev_b32_e32 v52, 3, v35
	v_sub_u32_e32 v51, 29, v53
	v_and_b32_e32 v50, 7, v50
	v_cmp_gt_u32_e32 vcc, 8, v35
	v_cndmask_b32_e32 v35, v52, v51, vcc
	v_cndmask_b32_e32 v38, v38, v50, vcc
	v_lshlrev_b32_e32 v34, 24, v34
	v_bfrev_b32_e32 v50, 60
	v_lshlrev_b32_e32 v38, 20, v38
	v_and_b32_e32 v34, 0x80000000, v34
	v_lshl_add_u32 v35, v35, 23, v50
	v_or3_b32 v34, v34, v35, v38
	v_lshrrev_b32_e32 v38, 16, v34
.LBB695_60:
	s_or_b64 exec, exec, s[20:21]
.LBB695_61:
	s_or_b64 exec, exec, s[10:11]
.LBB695_62:
	s_or_b64 exec, exec, s[2:3]
	s_mov_b32 s2, 0x5040100
	v_perm_b32 v35, v47, v46, s2
	v_perm_b32 v34, v45, v39, s2
	;; [unrolled: 1-line block ×4, first 2 shown]
	v_mfma_f32_4x4x4bf16_1k a[0:3], v[18:19], v[34:35], 0 cbsz:4
	v_cmp_ne_u16_sdwa s[10:11], v36, v40 src0_sel:BYTE_0 src1_sel:DWORD
	v_mfma_f32_4x4x4bf16_1k a[0:3], v[20:21], v[38:39], a[0:3] cbsz:4
	s_and_saveexec_b64 s[2:3], s[10:11]
	s_cbranch_execz .LBB695_68
; %bb.63:
	s_movk_i32 s9, 0x80
	v_cmp_ne_u16_sdwa s[20:21], v36, s9 src0_sel:BYTE_0 src1_sel:DWORD
	v_mov_b32_e32 v40, 0xffff8000
	s_and_saveexec_b64 s[10:11], s[20:21]
	s_cbranch_execz .LBB695_67
; %bb.64:
	s_movk_i32 s9, 0x7f
	v_and_b32_e32 v34, 0x7f, v36
	v_cmp_ne_u32_e32 vcc, s9, v34
	v_mov_b32_e32 v40, 0x7f80
	s_and_saveexec_b64 s[20:21], vcc
	s_cbranch_execz .LBB695_66
; %bb.65:
	v_and_b32_e32 v35, 7, v36
	v_ffbh_u32_e32 v35, v35
	v_min_u32_e32 v35, 32, v35
	v_subrev_u32_e32 v39, 28, v35
	v_cmp_gt_u32_e32 vcc, 8, v34
	v_lshrrev_b32_e32 v38, 3, v34
	v_sub_u32_e32 v35, 29, v35
	v_cndmask_b32_e32 v34, 0, v39, vcc
	v_cndmask_b32_e32 v38, v38, v35, vcc
	v_lshlrev_b64 v[34:35], v34, v[36:37]
	v_lshlrev_b32_e32 v34, 20, v34
	v_lshlrev_b32_e32 v35, 24, v36
	v_bfrev_b32_e32 v39, 60
	v_and_b32_e32 v34, 0x700000, v34
	v_and_b32_e32 v35, 0x80000000, v35
	v_lshl_add_u32 v38, v38, 23, v39
	v_or3_b32 v34, v35, v38, v34
	v_lshrrev_b32_e32 v40, 16, v34
.LBB695_66:
	s_or_b64 exec, exec, s[20:21]
.LBB695_67:
	s_or_b64 exec, exec, s[10:11]
.LBB695_68:
	s_or_b64 exec, exec, s[2:3]
	v_lshrrev_b16_e32 v34, 8, v36
	v_cmp_ne_u16_e32 vcc, 0, v34
	v_mov_b32_e32 v41, 0
	v_mov_b32_e32 v39, 0
	s_and_saveexec_b64 s[2:3], vcc
	s_cbranch_execz .LBB695_74
; %bb.69:
	s_movk_i32 s9, 0x80
	v_cmp_ne_u16_e32 vcc, s9, v34
	v_mov_b32_e32 v39, 0xffff8000
	s_and_saveexec_b64 s[10:11], vcc
	s_cbranch_execz .LBB695_73
; %bb.70:
	s_movk_i32 s9, 0x7f
	v_and_b32_e32 v35, 0x7f, v34
	v_cmp_ne_u32_e32 vcc, s9, v35
	v_mov_b32_e32 v39, 0x7f80
	s_and_saveexec_b64 s[20:21], vcc
	s_cbranch_execz .LBB695_72
; %bb.71:
	v_and_b32_e32 v45, 7, v34
	v_ffbh_u32_e32 v38, v45
	v_min_u32_e32 v47, 32, v38
	v_subrev_u32_e32 v38, 28, v47
	v_lshlrev_b64 v[38:39], v38, v[34:35]
	v_lshrrev_b32_e32 v46, 3, v35
	v_sub_u32_e32 v34, 29, v47
	v_and_b32_e32 v38, 7, v38
	v_cmp_gt_u32_e32 vcc, 8, v35
	v_cndmask_b32_e32 v34, v46, v34, vcc
	v_cndmask_b32_e32 v35, v45, v38, vcc
	v_lshlrev_b32_e32 v38, 16, v36
	v_bfrev_b32_e32 v39, 60
	v_lshlrev_b32_e32 v35, 20, v35
	v_and_b32_e32 v38, 0x80000000, v38
	v_lshl_add_u32 v34, v34, 23, v39
	v_or3_b32 v34, v38, v34, v35
	v_lshrrev_b32_e32 v39, 16, v34
.LBB695_72:
	s_or_b64 exec, exec, s[20:21]
.LBB695_73:
	s_or_b64 exec, exec, s[10:11]
.LBB695_74:
	s_or_b64 exec, exec, s[2:3]
	s_movk_i32 s2, 0xff
	v_and_b32_sdwa v35, v36, s2 dst_sel:DWORD dst_unused:UNUSED_PAD src0_sel:WORD_1 src1_sel:DWORD
	v_lshrrev_b32_e32 v34, 16, v36
	v_cmp_ne_u16_e32 vcc, 0, v35
	s_and_saveexec_b64 s[2:3], vcc
	s_cbranch_execz .LBB695_80
; %bb.75:
	s_movk_i32 s9, 0x80
	v_cmp_ne_u16_e32 vcc, s9, v35
	v_mov_b32_e32 v41, 0xffff8000
	s_and_saveexec_b64 s[10:11], vcc
	s_cbranch_execz .LBB695_79
; %bb.76:
	v_bfe_u32 v35, v36, 16, 7
	s_movk_i32 s9, 0x7f
	v_cmp_ne_u32_e32 vcc, s9, v35
	v_mov_b32_e32 v41, 0x7f80
	s_and_saveexec_b64 s[20:21], vcc
	s_cbranch_execz .LBB695_78
; %bb.77:
	v_and_b32_e32 v38, 7, v34
	v_ffbh_u32_e32 v45, v38
	v_min_u32_e32 v45, 32, v45
	v_subrev_u32_e32 v46, 28, v45
	v_lshlrev_b64 v[46:47], v46, v[34:35]
	v_sub_u32_e32 v34, 29, v45
	v_and_b32_e32 v45, 7, v46
	v_cmp_gt_u32_e32 vcc, 8, v35
	v_lshrrev_b32_e32 v41, 3, v35
	v_cndmask_b32_e32 v35, v38, v45, vcc
	v_mov_b32_e32 v38, 24
	v_cndmask_b32_e32 v34, v41, v34, vcc
	v_lshlrev_b32_sdwa v38, v38, v36 dst_sel:DWORD dst_unused:UNUSED_PAD src0_sel:DWORD src1_sel:WORD_1
	v_bfrev_b32_e32 v41, 60
	v_lshlrev_b32_e32 v35, 20, v35
	v_and_b32_e32 v38, 0x80000000, v38
	v_lshl_add_u32 v34, v34, 23, v41
	v_or3_b32 v34, v38, v34, v35
	v_lshrrev_b32_e32 v41, 16, v34
.LBB695_78:
	s_or_b64 exec, exec, s[20:21]
.LBB695_79:
	s_or_b64 exec, exec, s[10:11]
.LBB695_80:
	s_or_b64 exec, exec, s[2:3]
	s_mov_b32 s2, 0xffffff
	v_cmp_lt_u32_e32 vcc, s2, v36
	v_mov_b32_e32 v35, 0
	v_mov_b32_e32 v45, 0
	s_and_saveexec_b64 s[2:3], vcc
	s_cbranch_execz .LBB695_86
; %bb.81:
	v_lshrrev_b32_e32 v34, 24, v36
	s_movk_i32 s9, 0x80
	v_cmp_ne_u32_e32 vcc, s9, v34
	v_mov_b32_e32 v45, 0xffff8000
	s_and_saveexec_b64 s[10:11], vcc
	s_cbranch_execz .LBB695_85
; %bb.82:
	v_bfe_u32 v38, v36, 24, 7
	s_movk_i32 s9, 0x7f
	v_cmp_ne_u32_e32 vcc, s9, v38
	v_mov_b32_e32 v45, 0x7f80
	s_and_saveexec_b64 s[20:21], vcc
	s_cbranch_execz .LBB695_84
; %bb.83:
	v_and_b32_e32 v45, 7, v34
	v_ffbh_u32_e32 v46, v45
	v_min_u32_e32 v49, 32, v46
	v_subrev_u32_e32 v46, 28, v49
	v_lshlrev_b64 v[46:47], v46, v[34:35]
	v_lshrrev_b32_e32 v48, 3, v38
	v_sub_u32_e32 v47, 29, v49
	v_and_b32_e32 v46, 7, v46
	v_cmp_gt_u32_e32 vcc, 8, v38
	v_cndmask_b32_e32 v38, v48, v47, vcc
	v_cndmask_b32_e32 v45, v45, v46, vcc
	v_lshlrev_b32_e32 v34, 24, v34
	v_bfrev_b32_e32 v46, 60
	v_lshlrev_b32_e32 v45, 20, v45
	v_and_b32_e32 v34, 0x80000000, v34
	v_lshl_add_u32 v38, v38, 23, v46
	v_or3_b32 v34, v34, v38, v45
	v_lshrrev_b32_e32 v45, 16, v34
.LBB695_84:
	s_or_b64 exec, exec, s[20:21]
.LBB695_85:
	s_or_b64 exec, exec, s[10:11]
.LBB695_86:
	s_or_b64 exec, exec, s[2:3]
	v_mov_b32_e32 v34, v37
	v_cmp_ne_u16_sdwa s[10:11], v37, v35 src0_sel:BYTE_0 src1_sel:DWORD
	s_and_saveexec_b64 s[2:3], s[10:11]
	s_cbranch_execz .LBB695_92
; %bb.87:
	s_movk_i32 s9, 0x80
	v_cmp_ne_u16_sdwa s[20:21], v37, s9 src0_sel:BYTE_0 src1_sel:DWORD
	v_mov_b32_e32 v38, 0xffff8000
	s_and_saveexec_b64 s[10:11], s[20:21]
	s_cbranch_execz .LBB695_91
; %bb.88:
	s_movk_i32 s9, 0x7f
	v_and_b32_e32 v46, 0x7f, v37
	v_cmp_ne_u32_e32 vcc, s9, v46
	v_mov_b32_e32 v38, 0x7f80
	s_and_saveexec_b64 s[20:21], vcc
	s_cbranch_execz .LBB695_90
; %bb.89:
	v_and_b32_e32 v38, 7, v37
	v_ffbh_u32_e32 v38, v38
	v_min_u32_e32 v38, 32, v38
	v_subrev_u32_e32 v48, 28, v38
	v_cmp_gt_u32_e32 vcc, 8, v46
	v_lshrrev_b32_e32 v47, 3, v46
	v_sub_u32_e32 v38, 29, v38
	v_cndmask_b32_e32 v46, 0, v48, vcc
	v_cndmask_b32_e32 v38, v47, v38, vcc
	v_lshlrev_b64 v[46:47], v46, v[34:35]
	v_lshlrev_b32_e32 v35, 20, v46
	v_lshlrev_b32_e32 v46, 24, v34
	v_bfrev_b32_e32 v47, 60
	v_and_b32_e32 v35, 0x700000, v35
	v_and_b32_e32 v46, 0x80000000, v46
	v_lshl_add_u32 v38, v38, 23, v47
	v_or3_b32 v35, v46, v38, v35
	v_lshrrev_b32_e32 v38, 16, v35
.LBB695_90:
	s_or_b64 exec, exec, s[20:21]
.LBB695_91:
	s_or_b64 exec, exec, s[10:11]
	v_mov_b32_e32 v35, v38
.LBB695_92:
	s_or_b64 exec, exec, s[2:3]
	v_lshrrev_b16_e32 v38, 8, v34
	v_cmp_ne_u16_e32 vcc, 0, v38
	v_mov_b32_e32 v47, 0
	v_mov_b32_e32 v46, 0
	s_and_saveexec_b64 s[2:3], vcc
	s_cbranch_execz .LBB695_98
; %bb.93:
	s_movk_i32 s9, 0x80
	v_cmp_ne_u16_e32 vcc, s9, v38
	v_mov_b32_e32 v46, 0xffff8000
	s_and_saveexec_b64 s[10:11], vcc
	s_cbranch_execz .LBB695_97
; %bb.94:
	s_movk_i32 s9, 0x7f
	v_and_b32_e32 v48, 0x7f, v38
	v_cmp_ne_u32_e32 vcc, s9, v48
	v_mov_b32_e32 v46, 0x7f80
	s_and_saveexec_b64 s[20:21], vcc
	s_cbranch_execz .LBB695_96
; %bb.95:
	v_and_b32_e32 v46, 7, v38
	v_ffbh_u32_e32 v50, v46
	v_min_u32_e32 v52, 32, v50
	v_subrev_u32_e32 v50, 28, v52
	v_lshlrev_b64 v[50:51], v50, v[38:39]
	v_lshrrev_b32_e32 v49, 3, v48
	v_sub_u32_e32 v38, 29, v52
	v_and_b32_e32 v50, 7, v50
	v_cmp_gt_u32_e32 vcc, 8, v48
	v_cndmask_b32_e32 v38, v49, v38, vcc
	v_cndmask_b32_e32 v46, v46, v50, vcc
	v_lshlrev_b32_e32 v34, 16, v34
	v_bfrev_b32_e32 v48, 60
	v_lshlrev_b32_e32 v46, 20, v46
	v_and_b32_e32 v34, 0x80000000, v34
	v_lshl_add_u32 v38, v38, 23, v48
	v_or3_b32 v34, v34, v38, v46
	v_lshrrev_b32_e32 v46, 16, v34
.LBB695_96:
	s_or_b64 exec, exec, s[20:21]
.LBB695_97:
	s_or_b64 exec, exec, s[10:11]
.LBB695_98:
	s_or_b64 exec, exec, s[2:3]
	s_movk_i32 s2, 0xff
	v_and_b32_sdwa v38, v37, s2 dst_sel:DWORD dst_unused:UNUSED_PAD src0_sel:WORD_1 src1_sel:DWORD
	v_lshrrev_b32_e32 v34, 16, v37
	v_cmp_ne_u16_e32 vcc, 0, v38
	s_and_saveexec_b64 s[2:3], vcc
	s_cbranch_execz .LBB695_104
; %bb.99:
	s_movk_i32 s9, 0x80
	v_cmp_ne_u16_e32 vcc, s9, v38
	v_mov_b32_e32 v47, 0xffff8000
	s_and_saveexec_b64 s[10:11], vcc
	s_cbranch_execz .LBB695_103
; %bb.100:
	v_bfe_u32 v38, v37, 16, 7
	s_movk_i32 s9, 0x7f
	v_cmp_ne_u32_e32 vcc, s9, v38
	v_mov_b32_e32 v47, 0x7f80
	s_and_saveexec_b64 s[20:21], vcc
	s_cbranch_execz .LBB695_102
; %bb.101:
	v_and_b32_e32 v47, 7, v34
	v_ffbh_u32_e32 v48, v47
	v_min_u32_e32 v51, 32, v48
	v_subrev_u32_e32 v48, 28, v51
	v_lshlrev_b64 v[48:49], v48, v[34:35]
	v_and_b32_e32 v48, 7, v48
	v_cmp_gt_u32_e32 vcc, 8, v38
	v_lshrrev_b32_e32 v50, 3, v38
	v_sub_u32_e32 v34, 29, v51
	v_cndmask_b32_e32 v38, v47, v48, vcc
	v_mov_b32_e32 v47, 24
	v_cndmask_b32_e32 v34, v50, v34, vcc
	v_lshlrev_b32_sdwa v47, v47, v37 dst_sel:DWORD dst_unused:UNUSED_PAD src0_sel:DWORD src1_sel:WORD_1
	v_bfrev_b32_e32 v48, 60
	v_lshlrev_b32_e32 v38, 20, v38
	v_and_b32_e32 v47, 0x80000000, v47
	v_lshl_add_u32 v34, v34, 23, v48
	v_or3_b32 v34, v47, v34, v38
	v_lshrrev_b32_e32 v47, 16, v34
.LBB695_102:
	s_or_b64 exec, exec, s[20:21]
.LBB695_103:
	s_or_b64 exec, exec, s[10:11]
.LBB695_104:
	s_or_b64 exec, exec, s[2:3]
	s_mov_b32 s2, -1
	s_mov_b32 s3, 0xffffff
	v_cmp_lt_u64_e32 vcc, s[2:3], v[36:37]
	v_mov_b32_e32 v38, 0
	v_mov_b32_e32 v36, 0
	s_and_saveexec_b64 s[2:3], vcc
	s_cbranch_execz .LBB695_110
; %bb.105:
	v_lshrrev_b32_e32 v34, 24, v37
	s_movk_i32 s9, 0x80
	v_cmp_ne_u32_e32 vcc, s9, v34
	v_mov_b32_e32 v36, 0xffff8000
	s_and_saveexec_b64 s[10:11], vcc
	s_cbranch_execz .LBB695_109
; %bb.106:
	v_bfe_u32 v37, v37, 24, 7
	s_movk_i32 s9, 0x7f
	v_cmp_ne_u32_e32 vcc, s9, v37
	v_mov_b32_e32 v36, 0x7f80
	s_and_saveexec_b64 s[20:21], vcc
	s_cbranch_execz .LBB695_108
; %bb.107:
	v_and_b32_e32 v36, 7, v34
	v_ffbh_u32_e32 v48, v36
	v_min_u32_e32 v51, 32, v48
	v_subrev_u32_e32 v48, 28, v51
	v_lshlrev_b64 v[48:49], v48, v[34:35]
	v_lshrrev_b32_e32 v50, 3, v37
	v_sub_u32_e32 v49, 29, v51
	v_and_b32_e32 v48, 7, v48
	v_cmp_gt_u32_e32 vcc, 8, v37
	v_cndmask_b32_e32 v37, v50, v49, vcc
	v_cndmask_b32_e32 v36, v36, v48, vcc
	v_lshlrev_b32_e32 v34, 24, v34
	v_bfrev_b32_e32 v48, 60
	v_lshlrev_b32_e32 v36, 20, v36
	v_and_b32_e32 v34, 0x80000000, v34
	v_lshl_add_u32 v37, v37, 23, v48
	v_or3_b32 v34, v34, v37, v36
	v_lshrrev_b32_e32 v36, 16, v34
.LBB695_108:
	s_or_b64 exec, exec, s[20:21]
.LBB695_109:
	s_or_b64 exec, exec, s[10:11]
.LBB695_110:
	s_or_b64 exec, exec, s[2:3]
	s_mov_b32 s2, 0x5040100
	v_perm_b32 v41, v45, v41, s2
	v_perm_b32 v40, v39, v40, s2
	;; [unrolled: 1-line block ×4, first 2 shown]
	v_mfma_f32_4x4x4bf16_1k a[0:3], v[18:19], v[40:41], a[0:3] cbsz:4 abid:1
	s_waitcnt vmcnt(6)
	v_cmp_ne_u16_sdwa s[10:11], v30, v38 src0_sel:BYTE_0 src1_sel:DWORD
	v_mfma_f32_4x4x4bf16_1k a[0:3], v[20:21], v[36:37], a[0:3] cbsz:4 abid:1
	s_and_saveexec_b64 s[2:3], s[10:11]
	s_cbranch_execz .LBB695_116
; %bb.111:
	s_movk_i32 s9, 0x80
	v_cmp_ne_u16_sdwa s[20:21], v30, s9 src0_sel:BYTE_0 src1_sel:DWORD
	v_mov_b32_e32 v38, 0xffff8000
	s_and_saveexec_b64 s[10:11], s[20:21]
	s_cbranch_execz .LBB695_115
; %bb.112:
	s_movk_i32 s9, 0x7f
	v_and_b32_e32 v34, 0x7f, v30
	v_cmp_ne_u32_e32 vcc, s9, v34
	v_mov_b32_e32 v38, 0x7f80
	s_and_saveexec_b64 s[20:21], vcc
	s_cbranch_execz .LBB695_114
; %bb.113:
	v_and_b32_e32 v35, 7, v30
	v_ffbh_u32_e32 v35, v35
	v_min_u32_e32 v35, 32, v35
	v_subrev_u32_e32 v37, 28, v35
	v_cmp_gt_u32_e32 vcc, 8, v34
	v_lshrrev_b32_e32 v36, 3, v34
	v_sub_u32_e32 v35, 29, v35
	v_cndmask_b32_e32 v34, 0, v37, vcc
	v_cndmask_b32_e32 v36, v36, v35, vcc
	v_lshlrev_b64 v[34:35], v34, v[30:31]
	v_lshlrev_b32_e32 v34, 20, v34
	v_lshlrev_b32_e32 v35, 24, v30
	v_bfrev_b32_e32 v37, 60
	v_and_b32_e32 v34, 0x700000, v34
	v_and_b32_e32 v35, 0x80000000, v35
	v_lshl_add_u32 v36, v36, 23, v37
	v_or3_b32 v34, v35, v36, v34
	v_lshrrev_b32_e32 v38, 16, v34
.LBB695_114:
	s_or_b64 exec, exec, s[20:21]
.LBB695_115:
	s_or_b64 exec, exec, s[10:11]
.LBB695_116:
	s_or_b64 exec, exec, s[2:3]
	v_lshrrev_b16_e32 v34, 8, v30
	v_cmp_ne_u16_e32 vcc, 0, v34
	v_mov_b32_e32 v39, 0
	v_mov_b32_e32 v37, 0
	s_and_saveexec_b64 s[2:3], vcc
	s_cbranch_execz .LBB695_122
; %bb.117:
	s_movk_i32 s9, 0x80
	v_cmp_ne_u16_e32 vcc, s9, v34
	v_mov_b32_e32 v37, 0xffff8000
	s_and_saveexec_b64 s[10:11], vcc
	s_cbranch_execz .LBB695_121
; %bb.118:
	s_movk_i32 s9, 0x7f
	v_and_b32_e32 v35, 0x7f, v34
	v_cmp_ne_u32_e32 vcc, s9, v35
	v_mov_b32_e32 v37, 0x7f80
	s_and_saveexec_b64 s[20:21], vcc
	s_cbranch_execz .LBB695_120
; %bb.119:
	v_and_b32_e32 v40, 7, v34
	v_ffbh_u32_e32 v36, v40
	v_min_u32_e32 v45, 32, v36
	v_subrev_u32_e32 v36, 28, v45
	v_lshlrev_b64 v[36:37], v36, v[34:35]
	v_lshrrev_b32_e32 v41, 3, v35
	v_sub_u32_e32 v34, 29, v45
	v_and_b32_e32 v36, 7, v36
	v_cmp_gt_u32_e32 vcc, 8, v35
	v_cndmask_b32_e32 v34, v41, v34, vcc
	v_cndmask_b32_e32 v35, v40, v36, vcc
	v_lshlrev_b32_e32 v36, 16, v30
	v_bfrev_b32_e32 v37, 60
	v_lshlrev_b32_e32 v35, 20, v35
	v_and_b32_e32 v36, 0x80000000, v36
	v_lshl_add_u32 v34, v34, 23, v37
	v_or3_b32 v34, v36, v34, v35
	v_lshrrev_b32_e32 v37, 16, v34
.LBB695_120:
	s_or_b64 exec, exec, s[20:21]
.LBB695_121:
	s_or_b64 exec, exec, s[10:11]
.LBB695_122:
	s_or_b64 exec, exec, s[2:3]
	s_movk_i32 s2, 0xff
	v_and_b32_sdwa v35, v30, s2 dst_sel:DWORD dst_unused:UNUSED_PAD src0_sel:WORD_1 src1_sel:DWORD
	v_lshrrev_b32_e32 v34, 16, v30
	v_cmp_ne_u16_e32 vcc, 0, v35
	s_and_saveexec_b64 s[2:3], vcc
	s_cbranch_execz .LBB695_128
; %bb.123:
	s_movk_i32 s9, 0x80
	v_cmp_ne_u16_e32 vcc, s9, v35
	v_mov_b32_e32 v39, 0xffff8000
	s_and_saveexec_b64 s[10:11], vcc
	s_cbranch_execz .LBB695_127
; %bb.124:
	v_bfe_u32 v35, v30, 16, 7
	s_movk_i32 s9, 0x7f
	v_cmp_ne_u32_e32 vcc, s9, v35
	v_mov_b32_e32 v39, 0x7f80
	s_and_saveexec_b64 s[20:21], vcc
	s_cbranch_execz .LBB695_126
; %bb.125:
	v_and_b32_e32 v36, 7, v34
	v_ffbh_u32_e32 v40, v36
	v_min_u32_e32 v45, 32, v40
	v_subrev_u32_e32 v40, 28, v45
	v_lshlrev_b64 v[40:41], v40, v[34:35]
	v_and_b32_e32 v40, 7, v40
	v_cmp_gt_u32_e32 vcc, 8, v35
	v_lshrrev_b32_e32 v39, 3, v35
	v_sub_u32_e32 v34, 29, v45
	v_cndmask_b32_e32 v35, v36, v40, vcc
	v_mov_b32_e32 v36, 24
	v_cndmask_b32_e32 v34, v39, v34, vcc
	v_lshlrev_b32_sdwa v36, v36, v30 dst_sel:DWORD dst_unused:UNUSED_PAD src0_sel:DWORD src1_sel:WORD_1
	v_bfrev_b32_e32 v39, 60
	v_lshlrev_b32_e32 v35, 20, v35
	v_and_b32_e32 v36, 0x80000000, v36
	v_lshl_add_u32 v34, v34, 23, v39
	v_or3_b32 v34, v36, v34, v35
	v_lshrrev_b32_e32 v39, 16, v34
.LBB695_126:
	s_or_b64 exec, exec, s[20:21]
.LBB695_127:
	s_or_b64 exec, exec, s[10:11]
.LBB695_128:
	s_or_b64 exec, exec, s[2:3]
	s_mov_b32 s2, 0xffffff
	v_cmp_lt_u32_e32 vcc, s2, v30
	v_mov_b32_e32 v35, 0
	v_mov_b32_e32 v40, 0
	s_and_saveexec_b64 s[2:3], vcc
	s_cbranch_execz .LBB695_134
; %bb.129:
	v_lshrrev_b32_e32 v34, 24, v30
	s_movk_i32 s9, 0x80
	v_cmp_ne_u32_e32 vcc, s9, v34
	v_mov_b32_e32 v40, 0xffff8000
	s_and_saveexec_b64 s[10:11], vcc
	s_cbranch_execz .LBB695_133
; %bb.130:
	v_bfe_u32 v36, v30, 24, 7
	s_movk_i32 s9, 0x7f
	v_cmp_ne_u32_e32 vcc, s9, v36
	v_mov_b32_e32 v40, 0x7f80
	s_and_saveexec_b64 s[20:21], vcc
	s_cbranch_execz .LBB695_132
; %bb.131:
	v_and_b32_e32 v45, 7, v34
	v_ffbh_u32_e32 v40, v45
	v_min_u32_e32 v47, 32, v40
	v_subrev_u32_e32 v40, 28, v47
	v_lshlrev_b64 v[40:41], v40, v[34:35]
	v_lshrrev_b32_e32 v46, 3, v36
	v_sub_u32_e32 v41, 29, v47
	v_and_b32_e32 v40, 7, v40
	v_cmp_gt_u32_e32 vcc, 8, v36
	v_cndmask_b32_e32 v36, v46, v41, vcc
	v_cndmask_b32_e32 v40, v45, v40, vcc
	v_lshlrev_b32_e32 v34, 24, v34
	v_bfrev_b32_e32 v41, 60
	v_lshlrev_b32_e32 v40, 20, v40
	v_and_b32_e32 v34, 0x80000000, v34
	v_lshl_add_u32 v36, v36, 23, v41
	v_or3_b32 v34, v34, v36, v40
	v_lshrrev_b32_e32 v40, 16, v34
.LBB695_132:
	s_or_b64 exec, exec, s[20:21]
.LBB695_133:
	s_or_b64 exec, exec, s[10:11]
.LBB695_134:
	s_or_b64 exec, exec, s[2:3]
	v_mov_b32_e32 v34, v31
	v_cmp_ne_u16_sdwa s[10:11], v31, v35 src0_sel:BYTE_0 src1_sel:DWORD
	s_and_saveexec_b64 s[2:3], s[10:11]
	s_cbranch_execz .LBB695_140
; %bb.135:
	s_movk_i32 s9, 0x80
	v_cmp_ne_u16_sdwa s[20:21], v31, s9 src0_sel:BYTE_0 src1_sel:DWORD
	v_mov_b32_e32 v36, 0xffff8000
	s_and_saveexec_b64 s[10:11], s[20:21]
	s_cbranch_execz .LBB695_139
; %bb.136:
	s_movk_i32 s9, 0x7f
	v_and_b32_e32 v41, 0x7f, v31
	v_cmp_ne_u32_e32 vcc, s9, v41
	v_mov_b32_e32 v36, 0x7f80
	s_and_saveexec_b64 s[20:21], vcc
	s_cbranch_execz .LBB695_138
; %bb.137:
	v_and_b32_e32 v36, 7, v31
	v_ffbh_u32_e32 v36, v36
	v_min_u32_e32 v36, 32, v36
	v_subrev_u32_e32 v46, 28, v36
	v_cmp_gt_u32_e32 vcc, 8, v41
	v_lshrrev_b32_e32 v45, 3, v41
	v_cndmask_b32_e32 v41, 0, v46, vcc
	v_sub_u32_e32 v36, 29, v36
	v_lshlrev_b64 v[46:47], v41, v[34:35]
	v_cndmask_b32_e32 v36, v45, v36, vcc
	v_lshlrev_b32_e32 v35, 20, v46
	v_lshlrev_b32_e32 v41, 24, v34
	v_bfrev_b32_e32 v45, 60
	v_and_b32_e32 v35, 0x700000, v35
	v_and_b32_e32 v41, 0x80000000, v41
	v_lshl_add_u32 v36, v36, 23, v45
	v_or3_b32 v35, v41, v36, v35
	v_lshrrev_b32_e32 v36, 16, v35
.LBB695_138:
	s_or_b64 exec, exec, s[20:21]
.LBB695_139:
	s_or_b64 exec, exec, s[10:11]
	v_mov_b32_e32 v35, v36
.LBB695_140:
	s_or_b64 exec, exec, s[2:3]
	v_lshrrev_b16_e32 v36, 8, v34
	v_cmp_ne_u16_e32 vcc, 0, v36
	v_mov_b32_e32 v45, 0
	v_mov_b32_e32 v41, 0
	s_and_saveexec_b64 s[2:3], vcc
	s_cbranch_execz .LBB695_146
; %bb.141:
	s_movk_i32 s9, 0x80
	v_cmp_ne_u16_e32 vcc, s9, v36
	v_mov_b32_e32 v41, 0xffff8000
	s_and_saveexec_b64 s[10:11], vcc
	s_cbranch_execz .LBB695_145
; %bb.142:
	s_movk_i32 s9, 0x7f
	v_and_b32_e32 v46, 0x7f, v36
	v_cmp_ne_u32_e32 vcc, s9, v46
	v_mov_b32_e32 v41, 0x7f80
	s_and_saveexec_b64 s[20:21], vcc
	s_cbranch_execz .LBB695_144
; %bb.143:
	v_and_b32_e32 v41, 7, v36
	v_ffbh_u32_e32 v48, v41
	v_min_u32_e32 v50, 32, v48
	v_subrev_u32_e32 v48, 28, v50
	v_lshlrev_b64 v[48:49], v48, v[36:37]
	v_lshrrev_b32_e32 v47, 3, v46
	v_sub_u32_e32 v36, 29, v50
	v_and_b32_e32 v48, 7, v48
	v_cmp_gt_u32_e32 vcc, 8, v46
	v_cndmask_b32_e32 v36, v47, v36, vcc
	v_cndmask_b32_e32 v41, v41, v48, vcc
	v_lshlrev_b32_e32 v34, 16, v34
	v_bfrev_b32_e32 v46, 60
	v_lshlrev_b32_e32 v41, 20, v41
	v_and_b32_e32 v34, 0x80000000, v34
	v_lshl_add_u32 v36, v36, 23, v46
	v_or3_b32 v34, v34, v36, v41
	v_lshrrev_b32_e32 v41, 16, v34
.LBB695_144:
	s_or_b64 exec, exec, s[20:21]
.LBB695_145:
	s_or_b64 exec, exec, s[10:11]
.LBB695_146:
	s_or_b64 exec, exec, s[2:3]
	s_movk_i32 s2, 0xff
	v_and_b32_sdwa v36, v31, s2 dst_sel:DWORD dst_unused:UNUSED_PAD src0_sel:WORD_1 src1_sel:DWORD
	v_lshrrev_b32_e32 v34, 16, v31
	v_cmp_ne_u16_e32 vcc, 0, v36
	s_and_saveexec_b64 s[2:3], vcc
	s_cbranch_execz .LBB695_152
; %bb.147:
	s_movk_i32 s9, 0x80
	v_cmp_ne_u16_e32 vcc, s9, v36
	v_mov_b32_e32 v45, 0xffff8000
	s_and_saveexec_b64 s[10:11], vcc
	s_cbranch_execz .LBB695_151
; %bb.148:
	v_bfe_u32 v36, v31, 16, 7
	s_movk_i32 s9, 0x7f
	v_cmp_ne_u32_e32 vcc, s9, v36
	v_mov_b32_e32 v45, 0x7f80
	s_and_saveexec_b64 s[20:21], vcc
	s_cbranch_execz .LBB695_150
; %bb.149:
	v_and_b32_e32 v45, 7, v34
	v_ffbh_u32_e32 v46, v45
	v_min_u32_e32 v49, 32, v46
	v_subrev_u32_e32 v46, 28, v49
	v_lshlrev_b64 v[46:47], v46, v[34:35]
	v_and_b32_e32 v46, 7, v46
	v_cmp_gt_u32_e32 vcc, 8, v36
	v_lshrrev_b32_e32 v48, 3, v36
	v_sub_u32_e32 v34, 29, v49
	v_cndmask_b32_e32 v36, v45, v46, vcc
	v_mov_b32_e32 v45, 24
	v_cndmask_b32_e32 v34, v48, v34, vcc
	v_lshlrev_b32_sdwa v45, v45, v31 dst_sel:DWORD dst_unused:UNUSED_PAD src0_sel:DWORD src1_sel:WORD_1
	v_bfrev_b32_e32 v46, 60
	v_lshlrev_b32_e32 v36, 20, v36
	v_and_b32_e32 v45, 0x80000000, v45
	v_lshl_add_u32 v34, v34, 23, v46
	v_or3_b32 v34, v45, v34, v36
	v_lshrrev_b32_e32 v45, 16, v34
.LBB695_150:
	s_or_b64 exec, exec, s[20:21]
.LBB695_151:
	s_or_b64 exec, exec, s[10:11]
.LBB695_152:
	s_or_b64 exec, exec, s[2:3]
	s_mov_b32 s2, -1
	s_mov_b32 s3, 0xffffff
	v_cmp_lt_u64_e32 vcc, s[2:3], v[30:31]
	v_mov_b32_e32 v36, 0
	v_mov_b32_e32 v34, 0
	s_and_saveexec_b64 s[2:3], vcc
	s_cbranch_execz .LBB695_158
; %bb.153:
	v_lshrrev_b32_e32 v30, 24, v31
	s_movk_i32 s9, 0x80
	v_cmp_ne_u32_e32 vcc, s9, v30
	v_mov_b32_e32 v34, 0xffff8000
	s_and_saveexec_b64 s[10:11], vcc
	s_cbranch_execz .LBB695_157
; %bb.154:
	v_bfe_u32 v31, v31, 24, 7
	s_movk_i32 s9, 0x7f
	v_cmp_ne_u32_e32 vcc, s9, v31
	v_mov_b32_e32 v34, 0x7f80
	s_and_saveexec_b64 s[20:21], vcc
	s_cbranch_execz .LBB695_156
; %bb.155:
	v_and_b32_e32 v34, 7, v30
	v_ffbh_u32_e32 v46, v34
	v_min_u32_e32 v49, 32, v46
	v_subrev_u32_e32 v46, 28, v49
	v_lshlrev_b64 v[46:47], v46, v[30:31]
	v_lshrrev_b32_e32 v48, 3, v31
	v_sub_u32_e32 v47, 29, v49
	v_and_b32_e32 v46, 7, v46
	v_cmp_gt_u32_e32 vcc, 8, v31
	v_cndmask_b32_e32 v31, v48, v47, vcc
	v_cndmask_b32_e32 v34, v34, v46, vcc
	v_lshlrev_b32_e32 v30, 24, v30
	v_bfrev_b32_e32 v46, 60
	v_lshlrev_b32_e32 v34, 20, v34
	v_and_b32_e32 v30, 0x80000000, v30
	v_lshl_add_u32 v31, v31, 23, v46
	v_or3_b32 v30, v30, v31, v34
	v_lshrrev_b32_e32 v34, 16, v30
.LBB695_156:
	s_or_b64 exec, exec, s[20:21]
.LBB695_157:
	s_or_b64 exec, exec, s[10:11]
.LBB695_158:
	s_or_b64 exec, exec, s[2:3]
	s_mov_b32 s2, 0x5040100
	v_perm_b32 v31, v40, v39, s2
	v_perm_b32 v30, v37, v38, s2
	;; [unrolled: 1-line block ×4, first 2 shown]
	v_mfma_f32_4x4x4bf16_1k a[0:3], v[18:19], v[30:31], a[0:3] cbsz:4 abid:2
	v_cmp_ne_u16_sdwa s[10:11], v32, v36 src0_sel:BYTE_0 src1_sel:DWORD
	v_mfma_f32_4x4x4bf16_1k a[0:3], v[20:21], v[38:39], a[0:3] cbsz:4 abid:2
	s_and_saveexec_b64 s[2:3], s[10:11]
	s_cbranch_execz .LBB695_164
; %bb.159:
	s_movk_i32 s9, 0x80
	v_cmp_ne_u16_sdwa s[20:21], v32, s9 src0_sel:BYTE_0 src1_sel:DWORD
	v_mov_b32_e32 v36, 0xffff8000
	s_and_saveexec_b64 s[10:11], s[20:21]
	s_cbranch_execz .LBB695_163
; %bb.160:
	s_movk_i32 s9, 0x7f
	v_and_b32_e32 v30, 0x7f, v32
	v_cmp_ne_u32_e32 vcc, s9, v30
	v_mov_b32_e32 v36, 0x7f80
	s_and_saveexec_b64 s[20:21], vcc
	s_cbranch_execz .LBB695_162
; %bb.161:
	v_and_b32_e32 v31, 7, v32
	v_ffbh_u32_e32 v31, v31
	v_min_u32_e32 v31, 32, v31
	v_subrev_u32_e32 v35, 28, v31
	v_cmp_gt_u32_e32 vcc, 8, v30
	v_lshrrev_b32_e32 v34, 3, v30
	v_sub_u32_e32 v31, 29, v31
	v_cndmask_b32_e32 v30, 0, v35, vcc
	v_cndmask_b32_e32 v34, v34, v31, vcc
	v_lshlrev_b64 v[30:31], v30, v[32:33]
	v_lshlrev_b32_e32 v30, 20, v30
	v_lshlrev_b32_e32 v31, 24, v32
	v_bfrev_b32_e32 v35, 60
	v_and_b32_e32 v30, 0x700000, v30
	v_and_b32_e32 v31, 0x80000000, v31
	v_lshl_add_u32 v34, v34, 23, v35
	v_or3_b32 v30, v31, v34, v30
	v_lshrrev_b32_e32 v36, 16, v30
.LBB695_162:
	s_or_b64 exec, exec, s[20:21]
.LBB695_163:
	s_or_b64 exec, exec, s[10:11]
.LBB695_164:
	s_or_b64 exec, exec, s[2:3]
	v_lshrrev_b16_e32 v30, 8, v32
	v_cmp_ne_u16_e32 vcc, 0, v30
	v_mov_b32_e32 v37, 0
	v_mov_b32_e32 v35, 0
	s_and_saveexec_b64 s[2:3], vcc
	s_cbranch_execz .LBB695_170
; %bb.165:
	s_movk_i32 s9, 0x80
	v_cmp_ne_u16_e32 vcc, s9, v30
	v_mov_b32_e32 v35, 0xffff8000
	s_and_saveexec_b64 s[10:11], vcc
	s_cbranch_execz .LBB695_169
; %bb.166:
	s_movk_i32 s9, 0x7f
	v_and_b32_e32 v31, 0x7f, v30
	v_cmp_ne_u32_e32 vcc, s9, v31
	v_mov_b32_e32 v35, 0x7f80
	s_and_saveexec_b64 s[20:21], vcc
	s_cbranch_execz .LBB695_168
; %bb.167:
	v_and_b32_e32 v38, 7, v30
	v_ffbh_u32_e32 v34, v38
	v_min_u32_e32 v40, 32, v34
	v_subrev_u32_e32 v34, 28, v40
	v_lshlrev_b64 v[34:35], v34, v[30:31]
	v_lshrrev_b32_e32 v39, 3, v31
	v_sub_u32_e32 v30, 29, v40
	v_and_b32_e32 v34, 7, v34
	v_cmp_gt_u32_e32 vcc, 8, v31
	v_cndmask_b32_e32 v30, v39, v30, vcc
	v_cndmask_b32_e32 v31, v38, v34, vcc
	v_lshlrev_b32_e32 v34, 16, v32
	v_bfrev_b32_e32 v35, 60
	v_lshlrev_b32_e32 v31, 20, v31
	v_and_b32_e32 v34, 0x80000000, v34
	v_lshl_add_u32 v30, v30, 23, v35
	v_or3_b32 v30, v34, v30, v31
	v_lshrrev_b32_e32 v35, 16, v30
.LBB695_168:
	s_or_b64 exec, exec, s[20:21]
.LBB695_169:
	s_or_b64 exec, exec, s[10:11]
.LBB695_170:
	s_or_b64 exec, exec, s[2:3]
	s_movk_i32 s2, 0xff
	v_and_b32_sdwa v31, v32, s2 dst_sel:DWORD dst_unused:UNUSED_PAD src0_sel:WORD_1 src1_sel:DWORD
	v_lshrrev_b32_e32 v30, 16, v32
	v_cmp_ne_u16_e32 vcc, 0, v31
	s_and_saveexec_b64 s[2:3], vcc
	s_cbranch_execz .LBB695_176
; %bb.171:
	s_movk_i32 s9, 0x80
	v_cmp_ne_u16_e32 vcc, s9, v31
	v_mov_b32_e32 v37, 0xffff8000
	s_and_saveexec_b64 s[10:11], vcc
	s_cbranch_execz .LBB695_175
; %bb.172:
	v_bfe_u32 v31, v32, 16, 7
	s_movk_i32 s9, 0x7f
	v_cmp_ne_u32_e32 vcc, s9, v31
	v_mov_b32_e32 v37, 0x7f80
	s_and_saveexec_b64 s[20:21], vcc
	s_cbranch_execz .LBB695_174
; %bb.173:
	v_and_b32_e32 v34, 7, v30
	v_ffbh_u32_e32 v38, v34
	v_min_u32_e32 v40, 32, v38
	v_subrev_u32_e32 v38, 28, v40
	v_lshlrev_b64 v[38:39], v38, v[30:31]
	v_and_b32_e32 v38, 7, v38
	v_cmp_gt_u32_e32 vcc, 8, v31
	v_lshrrev_b32_e32 v37, 3, v31
	v_sub_u32_e32 v30, 29, v40
	v_cndmask_b32_e32 v31, v34, v38, vcc
	v_mov_b32_e32 v34, 24
	v_cndmask_b32_e32 v30, v37, v30, vcc
	v_lshlrev_b32_sdwa v34, v34, v32 dst_sel:DWORD dst_unused:UNUSED_PAD src0_sel:DWORD src1_sel:WORD_1
	v_bfrev_b32_e32 v37, 60
	v_lshlrev_b32_e32 v31, 20, v31
	v_and_b32_e32 v34, 0x80000000, v34
	v_lshl_add_u32 v30, v30, 23, v37
	v_or3_b32 v30, v34, v30, v31
	v_lshrrev_b32_e32 v37, 16, v30
.LBB695_174:
	s_or_b64 exec, exec, s[20:21]
.LBB695_175:
	s_or_b64 exec, exec, s[10:11]
.LBB695_176:
	s_or_b64 exec, exec, s[2:3]
	s_mov_b32 s2, 0xffffff
	v_cmp_lt_u32_e32 vcc, s2, v32
	v_mov_b32_e32 v31, 0
	v_mov_b32_e32 v38, 0
	s_and_saveexec_b64 s[2:3], vcc
	s_cbranch_execz .LBB695_182
; %bb.177:
	v_lshrrev_b32_e32 v30, 24, v32
	s_movk_i32 s9, 0x80
	v_cmp_ne_u32_e32 vcc, s9, v30
	v_mov_b32_e32 v38, 0xffff8000
	s_and_saveexec_b64 s[10:11], vcc
	s_cbranch_execz .LBB695_181
; %bb.178:
	v_bfe_u32 v34, v32, 24, 7
	s_movk_i32 s9, 0x7f
	v_cmp_ne_u32_e32 vcc, s9, v34
	v_mov_b32_e32 v38, 0x7f80
	s_and_saveexec_b64 s[20:21], vcc
	s_cbranch_execz .LBB695_180
; %bb.179:
	v_and_b32_e32 v40, 7, v30
	v_ffbh_u32_e32 v38, v40
	v_min_u32_e32 v45, 32, v38
	v_subrev_u32_e32 v38, 28, v45
	v_lshlrev_b64 v[38:39], v38, v[30:31]
	v_lshrrev_b32_e32 v41, 3, v34
	v_sub_u32_e32 v39, 29, v45
	v_and_b32_e32 v38, 7, v38
	v_cmp_gt_u32_e32 vcc, 8, v34
	v_cndmask_b32_e32 v34, v41, v39, vcc
	v_cndmask_b32_e32 v38, v40, v38, vcc
	v_lshlrev_b32_e32 v30, 24, v30
	v_bfrev_b32_e32 v39, 60
	v_lshlrev_b32_e32 v38, 20, v38
	v_and_b32_e32 v30, 0x80000000, v30
	v_lshl_add_u32 v34, v34, 23, v39
	v_or3_b32 v30, v30, v34, v38
	v_lshrrev_b32_e32 v38, 16, v30
.LBB695_180:
	s_or_b64 exec, exec, s[20:21]
.LBB695_181:
	s_or_b64 exec, exec, s[10:11]
.LBB695_182:
	s_or_b64 exec, exec, s[2:3]
	v_mov_b32_e32 v30, v33
	v_cmp_ne_u16_sdwa s[10:11], v33, v31 src0_sel:BYTE_0 src1_sel:DWORD
	s_and_saveexec_b64 s[2:3], s[10:11]
	s_cbranch_execz .LBB695_188
; %bb.183:
	s_movk_i32 s9, 0x80
	v_cmp_ne_u16_sdwa s[20:21], v33, s9 src0_sel:BYTE_0 src1_sel:DWORD
	v_mov_b32_e32 v34, 0xffff8000
	s_and_saveexec_b64 s[10:11], s[20:21]
	s_cbranch_execz .LBB695_187
; %bb.184:
	s_movk_i32 s9, 0x7f
	v_and_b32_e32 v39, 0x7f, v33
	v_cmp_ne_u32_e32 vcc, s9, v39
	v_mov_b32_e32 v34, 0x7f80
	s_and_saveexec_b64 s[20:21], vcc
	s_cbranch_execz .LBB695_186
; %bb.185:
	v_and_b32_e32 v34, 7, v33
	v_ffbh_u32_e32 v34, v34
	v_min_u32_e32 v34, 32, v34
	v_subrev_u32_e32 v41, 28, v34
	v_cmp_gt_u32_e32 vcc, 8, v39
	v_lshrrev_b32_e32 v40, 3, v39
	v_sub_u32_e32 v34, 29, v34
	v_cndmask_b32_e32 v39, 0, v41, vcc
	v_cndmask_b32_e32 v34, v40, v34, vcc
	v_lshlrev_b64 v[40:41], v39, v[30:31]
	v_lshlrev_b32_e32 v31, 20, v40
	v_lshlrev_b32_e32 v39, 24, v30
	v_bfrev_b32_e32 v40, 60
	v_and_b32_e32 v31, 0x700000, v31
	v_and_b32_e32 v39, 0x80000000, v39
	v_lshl_add_u32 v34, v34, 23, v40
	v_or3_b32 v31, v39, v34, v31
	v_lshrrev_b32_e32 v34, 16, v31
.LBB695_186:
	s_or_b64 exec, exec, s[20:21]
.LBB695_187:
	s_or_b64 exec, exec, s[10:11]
	v_mov_b32_e32 v31, v34
.LBB695_188:
	s_or_b64 exec, exec, s[2:3]
	v_lshrrev_b16_e32 v34, 8, v30
	v_cmp_ne_u16_e32 vcc, 0, v34
	v_mov_b32_e32 v40, 0
	v_mov_b32_e32 v39, 0
	s_and_saveexec_b64 s[2:3], vcc
	s_cbranch_execz .LBB695_194
; %bb.189:
	s_movk_i32 s9, 0x80
	v_cmp_ne_u16_e32 vcc, s9, v34
	v_mov_b32_e32 v39, 0xffff8000
	s_and_saveexec_b64 s[10:11], vcc
	s_cbranch_execz .LBB695_193
; %bb.190:
	s_movk_i32 s9, 0x7f
	v_and_b32_e32 v41, 0x7f, v34
	v_cmp_ne_u32_e32 vcc, s9, v41
	v_mov_b32_e32 v39, 0x7f80
	s_and_saveexec_b64 s[20:21], vcc
	s_cbranch_execz .LBB695_192
; %bb.191:
	v_and_b32_e32 v39, 7, v34
	v_ffbh_u32_e32 v46, v39
	v_min_u32_e32 v48, 32, v46
	v_subrev_u32_e32 v46, 28, v48
	v_lshlrev_b64 v[46:47], v46, v[34:35]
	v_lshrrev_b32_e32 v45, 3, v41
	v_sub_u32_e32 v34, 29, v48
	v_and_b32_e32 v46, 7, v46
	v_cmp_gt_u32_e32 vcc, 8, v41
	v_cndmask_b32_e32 v34, v45, v34, vcc
	v_cndmask_b32_e32 v39, v39, v46, vcc
	v_lshlrev_b32_e32 v30, 16, v30
	v_bfrev_b32_e32 v41, 60
	v_lshlrev_b32_e32 v39, 20, v39
	v_and_b32_e32 v30, 0x80000000, v30
	v_lshl_add_u32 v34, v34, 23, v41
	v_or3_b32 v30, v30, v34, v39
	v_lshrrev_b32_e32 v39, 16, v30
.LBB695_192:
	s_or_b64 exec, exec, s[20:21]
.LBB695_193:
	s_or_b64 exec, exec, s[10:11]
.LBB695_194:
	s_or_b64 exec, exec, s[2:3]
	s_movk_i32 s2, 0xff
	v_and_b32_sdwa v34, v33, s2 dst_sel:DWORD dst_unused:UNUSED_PAD src0_sel:WORD_1 src1_sel:DWORD
	v_lshrrev_b32_e32 v30, 16, v33
	v_cmp_ne_u16_e32 vcc, 0, v34
	s_and_saveexec_b64 s[2:3], vcc
	s_cbranch_execz .LBB695_200
; %bb.195:
	s_movk_i32 s9, 0x80
	v_cmp_ne_u16_e32 vcc, s9, v34
	v_mov_b32_e32 v40, 0xffff8000
	s_and_saveexec_b64 s[10:11], vcc
	s_cbranch_execz .LBB695_199
; %bb.196:
	v_bfe_u32 v34, v33, 16, 7
	s_movk_i32 s9, 0x7f
	v_cmp_ne_u32_e32 vcc, s9, v34
	v_mov_b32_e32 v40, 0x7f80
	s_and_saveexec_b64 s[20:21], vcc
	s_cbranch_execz .LBB695_198
; %bb.197:
	v_and_b32_e32 v45, 7, v30
	v_ffbh_u32_e32 v40, v45
	v_min_u32_e32 v47, 32, v40
	v_subrev_u32_e32 v40, 28, v47
	v_lshlrev_b64 v[40:41], v40, v[30:31]
	v_and_b32_e32 v40, 7, v40
	v_cmp_gt_u32_e32 vcc, 8, v34
	v_lshrrev_b32_e32 v46, 3, v34
	v_sub_u32_e32 v30, 29, v47
	v_cndmask_b32_e32 v34, v45, v40, vcc
	v_mov_b32_e32 v40, 24
	v_cndmask_b32_e32 v30, v46, v30, vcc
	v_lshlrev_b32_sdwa v40, v40, v33 dst_sel:DWORD dst_unused:UNUSED_PAD src0_sel:DWORD src1_sel:WORD_1
	v_bfrev_b32_e32 v41, 60
	v_lshlrev_b32_e32 v34, 20, v34
	v_and_b32_e32 v40, 0x80000000, v40
	v_lshl_add_u32 v30, v30, 23, v41
	v_or3_b32 v30, v40, v30, v34
	v_lshrrev_b32_e32 v40, 16, v30
.LBB695_198:
	s_or_b64 exec, exec, s[20:21]
.LBB695_199:
	s_or_b64 exec, exec, s[10:11]
.LBB695_200:
	s_or_b64 exec, exec, s[2:3]
	s_mov_b32 s2, -1
	s_mov_b32 s3, 0xffffff
	v_cmp_lt_u64_e32 vcc, s[2:3], v[32:33]
	v_mov_b32_e32 v34, 0
	v_mov_b32_e32 v32, 0
	s_and_saveexec_b64 s[2:3], vcc
	s_cbranch_execz .LBB695_206
; %bb.201:
	v_lshrrev_b32_e32 v30, 24, v33
	s_movk_i32 s9, 0x80
	v_cmp_ne_u32_e32 vcc, s9, v30
	v_mov_b32_e32 v32, 0xffff8000
	s_and_saveexec_b64 s[10:11], vcc
	s_cbranch_execz .LBB695_205
; %bb.202:
	v_bfe_u32 v33, v33, 24, 7
	s_movk_i32 s9, 0x7f
	v_cmp_ne_u32_e32 vcc, s9, v33
	v_mov_b32_e32 v32, 0x7f80
	s_and_saveexec_b64 s[20:21], vcc
	s_cbranch_execz .LBB695_204
; %bb.203:
	v_and_b32_e32 v32, 7, v30
	v_ffbh_u32_e32 v45, v32
	v_min_u32_e32 v45, 32, v45
	v_subrev_u32_e32 v46, 28, v45
	v_lshlrev_b64 v[46:47], v46, v[30:31]
	v_lshrrev_b32_e32 v41, 3, v33
	v_sub_u32_e32 v45, 29, v45
	v_and_b32_e32 v46, 7, v46
	v_cmp_gt_u32_e32 vcc, 8, v33
	v_cndmask_b32_e32 v33, v41, v45, vcc
	v_cndmask_b32_e32 v32, v32, v46, vcc
	v_lshlrev_b32_e32 v30, 24, v30
	v_bfrev_b32_e32 v41, 60
	v_lshlrev_b32_e32 v32, 20, v32
	v_and_b32_e32 v30, 0x80000000, v30
	v_lshl_add_u32 v33, v33, 23, v41
	v_or3_b32 v30, v30, v33, v32
	v_lshrrev_b32_e32 v32, 16, v30
.LBB695_204:
	s_or_b64 exec, exec, s[20:21]
.LBB695_205:
	s_or_b64 exec, exec, s[10:11]
.LBB695_206:
	s_or_b64 exec, exec, s[2:3]
	s_mov_b32 s2, 0x5040100
	v_perm_b32 v37, v38, v37, s2
	v_perm_b32 v36, v35, v36, s2
	;; [unrolled: 1-line block ×4, first 2 shown]
	v_mfma_f32_4x4x4bf16_1k a[0:3], v[18:19], v[36:37], a[0:3] cbsz:4 abid:3
	s_waitcnt vmcnt(5)
	v_cmp_ne_u16_sdwa s[10:11], v26, v34 src0_sel:BYTE_0 src1_sel:DWORD
	v_mfma_f32_4x4x4bf16_1k a[0:3], v[20:21], v[32:33], a[0:3] cbsz:4 abid:3
	s_and_saveexec_b64 s[2:3], s[10:11]
	s_cbranch_execz .LBB695_212
; %bb.207:
	s_movk_i32 s9, 0x80
	v_cmp_ne_u16_sdwa s[20:21], v26, s9 src0_sel:BYTE_0 src1_sel:DWORD
	v_mov_b32_e32 v34, 0xffff8000
	s_and_saveexec_b64 s[10:11], s[20:21]
	s_cbranch_execz .LBB695_211
; %bb.208:
	s_movk_i32 s9, 0x7f
	v_and_b32_e32 v30, 0x7f, v26
	v_cmp_ne_u32_e32 vcc, s9, v30
	v_mov_b32_e32 v34, 0x7f80
	s_and_saveexec_b64 s[20:21], vcc
	s_cbranch_execz .LBB695_210
; %bb.209:
	v_and_b32_e32 v31, 7, v26
	v_ffbh_u32_e32 v31, v31
	v_min_u32_e32 v31, 32, v31
	v_subrev_u32_e32 v33, 28, v31
	v_cmp_gt_u32_e32 vcc, 8, v30
	v_lshrrev_b32_e32 v32, 3, v30
	v_sub_u32_e32 v31, 29, v31
	v_cndmask_b32_e32 v30, 0, v33, vcc
	v_cndmask_b32_e32 v32, v32, v31, vcc
	v_lshlrev_b64 v[30:31], v30, v[26:27]
	v_lshlrev_b32_e32 v30, 20, v30
	v_lshlrev_b32_e32 v31, 24, v26
	v_bfrev_b32_e32 v33, 60
	v_and_b32_e32 v30, 0x700000, v30
	v_and_b32_e32 v31, 0x80000000, v31
	v_lshl_add_u32 v32, v32, 23, v33
	v_or3_b32 v30, v31, v32, v30
	v_lshrrev_b32_e32 v34, 16, v30
.LBB695_210:
	s_or_b64 exec, exec, s[20:21]
.LBB695_211:
	s_or_b64 exec, exec, s[10:11]
.LBB695_212:
	s_or_b64 exec, exec, s[2:3]
	v_lshrrev_b16_e32 v30, 8, v26
	v_cmp_ne_u16_e32 vcc, 0, v30
	v_mov_b32_e32 v35, 0
	v_mov_b32_e32 v33, 0
	s_and_saveexec_b64 s[2:3], vcc
	s_cbranch_execz .LBB695_218
; %bb.213:
	s_movk_i32 s9, 0x80
	v_cmp_ne_u16_e32 vcc, s9, v30
	v_mov_b32_e32 v33, 0xffff8000
	s_and_saveexec_b64 s[10:11], vcc
	s_cbranch_execz .LBB695_217
; %bb.214:
	s_movk_i32 s9, 0x7f
	v_and_b32_e32 v31, 0x7f, v30
	v_cmp_ne_u32_e32 vcc, s9, v31
	v_mov_b32_e32 v33, 0x7f80
	s_and_saveexec_b64 s[20:21], vcc
	s_cbranch_execz .LBB695_216
; %bb.215:
	v_and_b32_e32 v36, 7, v30
	v_ffbh_u32_e32 v32, v36
	v_min_u32_e32 v38, 32, v32
	v_subrev_u32_e32 v32, 28, v38
	v_lshlrev_b64 v[32:33], v32, v[30:31]
	v_lshrrev_b32_e32 v37, 3, v31
	v_sub_u32_e32 v30, 29, v38
	v_and_b32_e32 v32, 7, v32
	v_cmp_gt_u32_e32 vcc, 8, v31
	v_cndmask_b32_e32 v30, v37, v30, vcc
	v_cndmask_b32_e32 v31, v36, v32, vcc
	v_lshlrev_b32_e32 v32, 16, v26
	v_bfrev_b32_e32 v33, 60
	v_lshlrev_b32_e32 v31, 20, v31
	v_and_b32_e32 v32, 0x80000000, v32
	v_lshl_add_u32 v30, v30, 23, v33
	v_or3_b32 v30, v32, v30, v31
	v_lshrrev_b32_e32 v33, 16, v30
.LBB695_216:
	s_or_b64 exec, exec, s[20:21]
.LBB695_217:
	s_or_b64 exec, exec, s[10:11]
.LBB695_218:
	s_or_b64 exec, exec, s[2:3]
	s_movk_i32 s2, 0xff
	v_and_b32_sdwa v31, v26, s2 dst_sel:DWORD dst_unused:UNUSED_PAD src0_sel:WORD_1 src1_sel:DWORD
	v_lshrrev_b32_e32 v30, 16, v26
	v_cmp_ne_u16_e32 vcc, 0, v31
	s_and_saveexec_b64 s[2:3], vcc
	s_cbranch_execz .LBB695_224
; %bb.219:
	s_movk_i32 s9, 0x80
	v_cmp_ne_u16_e32 vcc, s9, v31
	v_mov_b32_e32 v35, 0xffff8000
	s_and_saveexec_b64 s[10:11], vcc
	s_cbranch_execz .LBB695_223
; %bb.220:
	v_bfe_u32 v31, v26, 16, 7
	s_movk_i32 s9, 0x7f
	v_cmp_ne_u32_e32 vcc, s9, v31
	v_mov_b32_e32 v35, 0x7f80
	s_and_saveexec_b64 s[20:21], vcc
	s_cbranch_execz .LBB695_222
; %bb.221:
	v_and_b32_e32 v32, 7, v30
	v_ffbh_u32_e32 v36, v32
	v_min_u32_e32 v38, 32, v36
	v_subrev_u32_e32 v36, 28, v38
	v_lshlrev_b64 v[36:37], v36, v[30:31]
	v_and_b32_e32 v36, 7, v36
	v_cmp_gt_u32_e32 vcc, 8, v31
	v_lshrrev_b32_e32 v35, 3, v31
	v_sub_u32_e32 v30, 29, v38
	v_cndmask_b32_e32 v31, v32, v36, vcc
	v_mov_b32_e32 v32, 24
	v_cndmask_b32_e32 v30, v35, v30, vcc
	v_lshlrev_b32_sdwa v32, v32, v26 dst_sel:DWORD dst_unused:UNUSED_PAD src0_sel:DWORD src1_sel:WORD_1
	v_bfrev_b32_e32 v35, 60
	v_lshlrev_b32_e32 v31, 20, v31
	v_and_b32_e32 v32, 0x80000000, v32
	v_lshl_add_u32 v30, v30, 23, v35
	v_or3_b32 v30, v32, v30, v31
	v_lshrrev_b32_e32 v35, 16, v30
.LBB695_222:
	s_or_b64 exec, exec, s[20:21]
.LBB695_223:
	s_or_b64 exec, exec, s[10:11]
.LBB695_224:
	s_or_b64 exec, exec, s[2:3]
	s_mov_b32 s2, 0xffffff
	v_cmp_lt_u32_e32 vcc, s2, v26
	v_mov_b32_e32 v31, 0
	v_mov_b32_e32 v36, 0
	s_and_saveexec_b64 s[2:3], vcc
	s_cbranch_execz .LBB695_230
; %bb.225:
	v_lshrrev_b32_e32 v30, 24, v26
	s_movk_i32 s9, 0x80
	v_cmp_ne_u32_e32 vcc, s9, v30
	v_mov_b32_e32 v36, 0xffff8000
	s_and_saveexec_b64 s[10:11], vcc
	s_cbranch_execz .LBB695_229
; %bb.226:
	v_bfe_u32 v32, v26, 24, 7
	s_movk_i32 s9, 0x7f
	v_cmp_ne_u32_e32 vcc, s9, v32
	v_mov_b32_e32 v36, 0x7f80
	s_and_saveexec_b64 s[20:21], vcc
	s_cbranch_execz .LBB695_228
; %bb.227:
	v_and_b32_e32 v38, 7, v30
	v_ffbh_u32_e32 v36, v38
	v_min_u32_e32 v40, 32, v36
	v_subrev_u32_e32 v36, 28, v40
	v_lshlrev_b64 v[36:37], v36, v[30:31]
	v_lshrrev_b32_e32 v39, 3, v32
	v_sub_u32_e32 v37, 29, v40
	v_and_b32_e32 v36, 7, v36
	v_cmp_gt_u32_e32 vcc, 8, v32
	v_cndmask_b32_e32 v32, v39, v37, vcc
	v_cndmask_b32_e32 v36, v38, v36, vcc
	v_lshlrev_b32_e32 v30, 24, v30
	v_bfrev_b32_e32 v37, 60
	v_lshlrev_b32_e32 v36, 20, v36
	v_and_b32_e32 v30, 0x80000000, v30
	v_lshl_add_u32 v32, v32, 23, v37
	v_or3_b32 v30, v30, v32, v36
	v_lshrrev_b32_e32 v36, 16, v30
.LBB695_228:
	s_or_b64 exec, exec, s[20:21]
.LBB695_229:
	s_or_b64 exec, exec, s[10:11]
.LBB695_230:
	s_or_b64 exec, exec, s[2:3]
	v_mov_b32_e32 v30, v27
	v_cmp_ne_u16_sdwa s[10:11], v27, v31 src0_sel:BYTE_0 src1_sel:DWORD
	s_and_saveexec_b64 s[2:3], s[10:11]
	s_cbranch_execz .LBB695_236
; %bb.231:
	s_movk_i32 s9, 0x80
	v_cmp_ne_u16_sdwa s[20:21], v27, s9 src0_sel:BYTE_0 src1_sel:DWORD
	v_mov_b32_e32 v32, 0xffff8000
	s_and_saveexec_b64 s[10:11], s[20:21]
	s_cbranch_execz .LBB695_235
; %bb.232:
	s_movk_i32 s9, 0x7f
	v_and_b32_e32 v37, 0x7f, v27
	v_cmp_ne_u32_e32 vcc, s9, v37
	v_mov_b32_e32 v32, 0x7f80
	s_and_saveexec_b64 s[20:21], vcc
	s_cbranch_execz .LBB695_234
; %bb.233:
	v_and_b32_e32 v32, 7, v27
	v_ffbh_u32_e32 v32, v32
	v_min_u32_e32 v32, 32, v32
	v_subrev_u32_e32 v39, 28, v32
	v_cmp_gt_u32_e32 vcc, 8, v37
	v_lshrrev_b32_e32 v38, 3, v37
	v_sub_u32_e32 v32, 29, v32
	v_cndmask_b32_e32 v37, 0, v39, vcc
	v_cndmask_b32_e32 v32, v38, v32, vcc
	v_lshlrev_b64 v[38:39], v37, v[30:31]
	v_lshlrev_b32_e32 v31, 20, v38
	v_lshlrev_b32_e32 v37, 24, v30
	v_bfrev_b32_e32 v38, 60
	v_and_b32_e32 v31, 0x700000, v31
	v_and_b32_e32 v37, 0x80000000, v37
	v_lshl_add_u32 v32, v32, 23, v38
	v_or3_b32 v31, v37, v32, v31
	v_lshrrev_b32_e32 v32, 16, v31
.LBB695_234:
	s_or_b64 exec, exec, s[20:21]
.LBB695_235:
	s_or_b64 exec, exec, s[10:11]
	v_mov_b32_e32 v31, v32
.LBB695_236:
	s_or_b64 exec, exec, s[2:3]
	v_lshrrev_b16_e32 v32, 8, v30
	v_cmp_ne_u16_e32 vcc, 0, v32
	v_mov_b32_e32 v38, 0
	v_mov_b32_e32 v37, 0
	s_and_saveexec_b64 s[2:3], vcc
	s_cbranch_execz .LBB695_242
; %bb.237:
	s_movk_i32 s9, 0x80
	v_cmp_ne_u16_e32 vcc, s9, v32
	v_mov_b32_e32 v37, 0xffff8000
	s_and_saveexec_b64 s[10:11], vcc
	s_cbranch_execz .LBB695_241
; %bb.238:
	s_movk_i32 s9, 0x7f
	v_and_b32_e32 v39, 0x7f, v32
	v_cmp_ne_u32_e32 vcc, s9, v39
	v_mov_b32_e32 v37, 0x7f80
	s_and_saveexec_b64 s[20:21], vcc
	s_cbranch_execz .LBB695_240
; %bb.239:
	v_and_b32_e32 v37, 7, v32
	v_ffbh_u32_e32 v40, v37
	v_min_u32_e32 v46, 32, v40
	v_subrev_u32_e32 v40, 28, v46
	v_lshlrev_b64 v[40:41], v40, v[32:33]
	v_lshrrev_b32_e32 v45, 3, v39
	v_sub_u32_e32 v32, 29, v46
	v_and_b32_e32 v40, 7, v40
	v_cmp_gt_u32_e32 vcc, 8, v39
	v_cndmask_b32_e32 v32, v45, v32, vcc
	v_cndmask_b32_e32 v37, v37, v40, vcc
	v_lshlrev_b32_e32 v30, 16, v30
	v_bfrev_b32_e32 v39, 60
	v_lshlrev_b32_e32 v37, 20, v37
	v_and_b32_e32 v30, 0x80000000, v30
	v_lshl_add_u32 v32, v32, 23, v39
	v_or3_b32 v30, v30, v32, v37
	v_lshrrev_b32_e32 v37, 16, v30
.LBB695_240:
	s_or_b64 exec, exec, s[20:21]
.LBB695_241:
	s_or_b64 exec, exec, s[10:11]
.LBB695_242:
	s_or_b64 exec, exec, s[2:3]
	s_movk_i32 s2, 0xff
	v_and_b32_sdwa v32, v27, s2 dst_sel:DWORD dst_unused:UNUSED_PAD src0_sel:WORD_1 src1_sel:DWORD
	v_lshrrev_b32_e32 v30, 16, v27
	v_cmp_ne_u16_e32 vcc, 0, v32
	s_and_saveexec_b64 s[2:3], vcc
	s_cbranch_execz .LBB695_248
; %bb.243:
	s_movk_i32 s9, 0x80
	v_cmp_ne_u16_e32 vcc, s9, v32
	v_mov_b32_e32 v38, 0xffff8000
	s_and_saveexec_b64 s[10:11], vcc
	s_cbranch_execz .LBB695_247
; %bb.244:
	v_bfe_u32 v32, v27, 16, 7
	s_movk_i32 s9, 0x7f
	v_cmp_ne_u32_e32 vcc, s9, v32
	v_mov_b32_e32 v38, 0x7f80
	s_and_saveexec_b64 s[20:21], vcc
	s_cbranch_execz .LBB695_246
; %bb.245:
	v_and_b32_e32 v40, 7, v30
	v_ffbh_u32_e32 v38, v40
	v_min_u32_e32 v45, 32, v38
	v_subrev_u32_e32 v38, 28, v45
	v_lshlrev_b64 v[38:39], v38, v[30:31]
	v_and_b32_e32 v38, 7, v38
	v_cmp_gt_u32_e32 vcc, 8, v32
	v_lshrrev_b32_e32 v41, 3, v32
	v_sub_u32_e32 v30, 29, v45
	v_cndmask_b32_e32 v32, v40, v38, vcc
	v_mov_b32_e32 v38, 24
	v_cndmask_b32_e32 v30, v41, v30, vcc
	v_lshlrev_b32_sdwa v38, v38, v27 dst_sel:DWORD dst_unused:UNUSED_PAD src0_sel:DWORD src1_sel:WORD_1
	v_bfrev_b32_e32 v39, 60
	v_lshlrev_b32_e32 v32, 20, v32
	v_and_b32_e32 v38, 0x80000000, v38
	v_lshl_add_u32 v30, v30, 23, v39
	v_or3_b32 v30, v38, v30, v32
	v_lshrrev_b32_e32 v38, 16, v30
.LBB695_246:
	s_or_b64 exec, exec, s[20:21]
.LBB695_247:
	s_or_b64 exec, exec, s[10:11]
.LBB695_248:
	s_or_b64 exec, exec, s[2:3]
	s_mov_b32 s2, -1
	s_mov_b32 s3, 0xffffff
	v_cmp_lt_u64_e32 vcc, s[2:3], v[26:27]
	v_mov_b32_e32 v32, 0
	v_mov_b32_e32 v30, 0
	s_and_saveexec_b64 s[2:3], vcc
	s_cbranch_execz .LBB695_254
; %bb.249:
	v_lshrrev_b32_e32 v26, 24, v27
	s_movk_i32 s9, 0x80
	v_cmp_ne_u32_e32 vcc, s9, v26
	v_mov_b32_e32 v30, 0xffff8000
	s_and_saveexec_b64 s[10:11], vcc
	s_cbranch_execz .LBB695_253
; %bb.250:
	v_bfe_u32 v27, v27, 24, 7
	s_movk_i32 s9, 0x7f
	v_cmp_ne_u32_e32 vcc, s9, v27
	v_mov_b32_e32 v30, 0x7f80
	s_and_saveexec_b64 s[20:21], vcc
	s_cbranch_execz .LBB695_252
; %bb.251:
	v_and_b32_e32 v30, 7, v26
	v_ffbh_u32_e32 v40, v30
	v_min_u32_e32 v45, 32, v40
	v_subrev_u32_e32 v40, 28, v45
	v_lshlrev_b64 v[40:41], v40, v[26:27]
	v_lshrrev_b32_e32 v39, 3, v27
	v_sub_u32_e32 v41, 29, v45
	v_and_b32_e32 v40, 7, v40
	v_cmp_gt_u32_e32 vcc, 8, v27
	v_cndmask_b32_e32 v27, v39, v41, vcc
	v_cndmask_b32_e32 v30, v30, v40, vcc
	v_lshlrev_b32_e32 v26, 24, v26
	v_bfrev_b32_e32 v39, 60
	v_lshlrev_b32_e32 v30, 20, v30
	v_and_b32_e32 v26, 0x80000000, v26
	v_lshl_add_u32 v27, v27, 23, v39
	v_or3_b32 v26, v26, v27, v30
	v_lshrrev_b32_e32 v30, 16, v26
.LBB695_252:
	s_or_b64 exec, exec, s[20:21]
.LBB695_253:
	s_or_b64 exec, exec, s[10:11]
.LBB695_254:
	s_or_b64 exec, exec, s[2:3]
	s_mov_b32 s2, 0x5040100
	v_perm_b32 v27, v36, v35, s2
	v_perm_b32 v26, v33, v34, s2
	;; [unrolled: 1-line block ×4, first 2 shown]
	v_mfma_f32_4x4x4bf16_1k a[0:3], v[18:19], v[26:27], a[0:3] cbsz:4 abid:4
	v_cmp_ne_u16_sdwa s[10:11], v28, v32 src0_sel:BYTE_0 src1_sel:DWORD
	v_mfma_f32_4x4x4bf16_1k a[0:3], v[20:21], v[34:35], a[0:3] cbsz:4 abid:4
	s_and_saveexec_b64 s[2:3], s[10:11]
	s_cbranch_execz .LBB695_260
; %bb.255:
	s_movk_i32 s9, 0x80
	v_cmp_ne_u16_sdwa s[20:21], v28, s9 src0_sel:BYTE_0 src1_sel:DWORD
	v_mov_b32_e32 v32, 0xffff8000
	s_and_saveexec_b64 s[10:11], s[20:21]
	s_cbranch_execz .LBB695_259
; %bb.256:
	s_movk_i32 s9, 0x7f
	v_and_b32_e32 v26, 0x7f, v28
	v_cmp_ne_u32_e32 vcc, s9, v26
	v_mov_b32_e32 v32, 0x7f80
	s_and_saveexec_b64 s[20:21], vcc
	s_cbranch_execz .LBB695_258
; %bb.257:
	v_and_b32_e32 v27, 7, v28
	v_ffbh_u32_e32 v27, v27
	v_min_u32_e32 v27, 32, v27
	v_subrev_u32_e32 v31, 28, v27
	v_cmp_gt_u32_e32 vcc, 8, v26
	v_lshrrev_b32_e32 v30, 3, v26
	v_sub_u32_e32 v27, 29, v27
	v_cndmask_b32_e32 v26, 0, v31, vcc
	v_cndmask_b32_e32 v30, v30, v27, vcc
	v_lshlrev_b64 v[26:27], v26, v[28:29]
	v_lshlrev_b32_e32 v26, 20, v26
	v_lshlrev_b32_e32 v27, 24, v28
	v_bfrev_b32_e32 v31, 60
	v_and_b32_e32 v26, 0x700000, v26
	v_and_b32_e32 v27, 0x80000000, v27
	v_lshl_add_u32 v30, v30, 23, v31
	v_or3_b32 v26, v27, v30, v26
	v_lshrrev_b32_e32 v32, 16, v26
.LBB695_258:
	s_or_b64 exec, exec, s[20:21]
.LBB695_259:
	s_or_b64 exec, exec, s[10:11]
.LBB695_260:
	s_or_b64 exec, exec, s[2:3]
	v_lshrrev_b16_e32 v26, 8, v28
	v_cmp_ne_u16_e32 vcc, 0, v26
	v_mov_b32_e32 v33, 0
	v_mov_b32_e32 v31, 0
	s_and_saveexec_b64 s[2:3], vcc
	s_cbranch_execz .LBB695_266
; %bb.261:
	s_movk_i32 s9, 0x80
	v_cmp_ne_u16_e32 vcc, s9, v26
	v_mov_b32_e32 v31, 0xffff8000
	s_and_saveexec_b64 s[10:11], vcc
	s_cbranch_execz .LBB695_265
; %bb.262:
	s_movk_i32 s9, 0x7f
	v_and_b32_e32 v27, 0x7f, v26
	v_cmp_ne_u32_e32 vcc, s9, v27
	v_mov_b32_e32 v31, 0x7f80
	s_and_saveexec_b64 s[20:21], vcc
	s_cbranch_execz .LBB695_264
; %bb.263:
	v_and_b32_e32 v34, 7, v26
	v_ffbh_u32_e32 v30, v34
	v_min_u32_e32 v36, 32, v30
	v_subrev_u32_e32 v30, 28, v36
	v_lshlrev_b64 v[30:31], v30, v[26:27]
	v_lshrrev_b32_e32 v35, 3, v27
	v_sub_u32_e32 v26, 29, v36
	v_and_b32_e32 v30, 7, v30
	v_cmp_gt_u32_e32 vcc, 8, v27
	v_cndmask_b32_e32 v26, v35, v26, vcc
	v_cndmask_b32_e32 v27, v34, v30, vcc
	v_lshlrev_b32_e32 v30, 16, v28
	v_bfrev_b32_e32 v31, 60
	v_lshlrev_b32_e32 v27, 20, v27
	v_and_b32_e32 v30, 0x80000000, v30
	v_lshl_add_u32 v26, v26, 23, v31
	v_or3_b32 v26, v30, v26, v27
	v_lshrrev_b32_e32 v31, 16, v26
.LBB695_264:
	s_or_b64 exec, exec, s[20:21]
.LBB695_265:
	s_or_b64 exec, exec, s[10:11]
.LBB695_266:
	s_or_b64 exec, exec, s[2:3]
	s_movk_i32 s2, 0xff
	v_and_b32_sdwa v27, v28, s2 dst_sel:DWORD dst_unused:UNUSED_PAD src0_sel:WORD_1 src1_sel:DWORD
	v_lshrrev_b32_e32 v26, 16, v28
	v_cmp_ne_u16_e32 vcc, 0, v27
	s_and_saveexec_b64 s[2:3], vcc
	s_cbranch_execz .LBB695_272
; %bb.267:
	s_movk_i32 s9, 0x80
	v_cmp_ne_u16_e32 vcc, s9, v27
	v_mov_b32_e32 v33, 0xffff8000
	s_and_saveexec_b64 s[10:11], vcc
	s_cbranch_execz .LBB695_271
; %bb.268:
	v_bfe_u32 v27, v28, 16, 7
	s_movk_i32 s9, 0x7f
	v_cmp_ne_u32_e32 vcc, s9, v27
	v_mov_b32_e32 v33, 0x7f80
	s_and_saveexec_b64 s[20:21], vcc
	s_cbranch_execz .LBB695_270
; %bb.269:
	v_and_b32_e32 v30, 7, v26
	v_ffbh_u32_e32 v34, v30
	v_min_u32_e32 v36, 32, v34
	v_subrev_u32_e32 v34, 28, v36
	v_lshlrev_b64 v[34:35], v34, v[26:27]
	v_and_b32_e32 v34, 7, v34
	v_cmp_gt_u32_e32 vcc, 8, v27
	v_lshrrev_b32_e32 v33, 3, v27
	v_sub_u32_e32 v26, 29, v36
	v_cndmask_b32_e32 v27, v30, v34, vcc
	v_mov_b32_e32 v30, 24
	v_cndmask_b32_e32 v26, v33, v26, vcc
	v_lshlrev_b32_sdwa v30, v30, v28 dst_sel:DWORD dst_unused:UNUSED_PAD src0_sel:DWORD src1_sel:WORD_1
	v_bfrev_b32_e32 v33, 60
	v_lshlrev_b32_e32 v27, 20, v27
	v_and_b32_e32 v30, 0x80000000, v30
	v_lshl_add_u32 v26, v26, 23, v33
	v_or3_b32 v26, v30, v26, v27
	v_lshrrev_b32_e32 v33, 16, v26
.LBB695_270:
	s_or_b64 exec, exec, s[20:21]
.LBB695_271:
	s_or_b64 exec, exec, s[10:11]
.LBB695_272:
	s_or_b64 exec, exec, s[2:3]
	s_mov_b32 s2, 0xffffff
	v_cmp_lt_u32_e32 vcc, s2, v28
	v_mov_b32_e32 v27, 0
	v_mov_b32_e32 v34, 0
	s_and_saveexec_b64 s[2:3], vcc
	s_cbranch_execz .LBB695_278
; %bb.273:
	v_lshrrev_b32_e32 v26, 24, v28
	s_movk_i32 s9, 0x80
	v_cmp_ne_u32_e32 vcc, s9, v26
	v_mov_b32_e32 v34, 0xffff8000
	s_and_saveexec_b64 s[10:11], vcc
	s_cbranch_execz .LBB695_277
; %bb.274:
	v_bfe_u32 v30, v28, 24, 7
	s_movk_i32 s9, 0x7f
	v_cmp_ne_u32_e32 vcc, s9, v30
	v_mov_b32_e32 v34, 0x7f80
	s_and_saveexec_b64 s[20:21], vcc
	s_cbranch_execz .LBB695_276
; %bb.275:
	v_and_b32_e32 v36, 7, v26
	v_ffbh_u32_e32 v34, v36
	v_min_u32_e32 v38, 32, v34
	v_subrev_u32_e32 v34, 28, v38
	v_lshlrev_b64 v[34:35], v34, v[26:27]
	v_lshrrev_b32_e32 v37, 3, v30
	v_sub_u32_e32 v35, 29, v38
	v_and_b32_e32 v34, 7, v34
	v_cmp_gt_u32_e32 vcc, 8, v30
	v_cndmask_b32_e32 v30, v37, v35, vcc
	v_cndmask_b32_e32 v34, v36, v34, vcc
	v_lshlrev_b32_e32 v26, 24, v26
	v_bfrev_b32_e32 v35, 60
	v_lshlrev_b32_e32 v34, 20, v34
	v_and_b32_e32 v26, 0x80000000, v26
	v_lshl_add_u32 v30, v30, 23, v35
	v_or3_b32 v26, v26, v30, v34
	v_lshrrev_b32_e32 v34, 16, v26
.LBB695_276:
	s_or_b64 exec, exec, s[20:21]
.LBB695_277:
	s_or_b64 exec, exec, s[10:11]
.LBB695_278:
	s_or_b64 exec, exec, s[2:3]
	v_mov_b32_e32 v26, v29
	v_cmp_ne_u16_sdwa s[10:11], v29, v27 src0_sel:BYTE_0 src1_sel:DWORD
	s_and_saveexec_b64 s[2:3], s[10:11]
	s_cbranch_execz .LBB695_284
; %bb.279:
	s_movk_i32 s9, 0x80
	v_cmp_ne_u16_sdwa s[20:21], v29, s9 src0_sel:BYTE_0 src1_sel:DWORD
	v_mov_b32_e32 v30, 0xffff8000
	s_and_saveexec_b64 s[10:11], s[20:21]
	s_cbranch_execz .LBB695_283
; %bb.280:
	s_movk_i32 s9, 0x7f
	v_and_b32_e32 v35, 0x7f, v29
	v_cmp_ne_u32_e32 vcc, s9, v35
	v_mov_b32_e32 v30, 0x7f80
	s_and_saveexec_b64 s[20:21], vcc
	s_cbranch_execz .LBB695_282
; %bb.281:
	v_and_b32_e32 v30, 7, v29
	v_ffbh_u32_e32 v30, v30
	v_min_u32_e32 v30, 32, v30
	v_subrev_u32_e32 v37, 28, v30
	v_cmp_gt_u32_e32 vcc, 8, v35
	v_lshrrev_b32_e32 v36, 3, v35
	v_sub_u32_e32 v30, 29, v30
	v_cndmask_b32_e32 v35, 0, v37, vcc
	v_cndmask_b32_e32 v30, v36, v30, vcc
	v_lshlrev_b64 v[36:37], v35, v[26:27]
	v_lshlrev_b32_e32 v27, 20, v36
	v_lshlrev_b32_e32 v35, 24, v26
	v_bfrev_b32_e32 v36, 60
	v_and_b32_e32 v27, 0x700000, v27
	v_and_b32_e32 v35, 0x80000000, v35
	v_lshl_add_u32 v30, v30, 23, v36
	v_or3_b32 v27, v35, v30, v27
	v_lshrrev_b32_e32 v30, 16, v27
.LBB695_282:
	s_or_b64 exec, exec, s[20:21]
.LBB695_283:
	s_or_b64 exec, exec, s[10:11]
	v_mov_b32_e32 v27, v30
.LBB695_284:
	s_or_b64 exec, exec, s[2:3]
	v_lshrrev_b16_e32 v30, 8, v26
	v_cmp_ne_u16_e32 vcc, 0, v30
	v_mov_b32_e32 v36, 0
	v_mov_b32_e32 v35, 0
	s_and_saveexec_b64 s[2:3], vcc
	s_cbranch_execz .LBB695_290
; %bb.285:
	s_movk_i32 s9, 0x80
	v_cmp_ne_u16_e32 vcc, s9, v30
	v_mov_b32_e32 v35, 0xffff8000
	s_and_saveexec_b64 s[10:11], vcc
	s_cbranch_execz .LBB695_289
; %bb.286:
	s_movk_i32 s9, 0x7f
	v_and_b32_e32 v37, 0x7f, v30
	v_cmp_ne_u32_e32 vcc, s9, v37
	v_mov_b32_e32 v35, 0x7f80
	s_and_saveexec_b64 s[20:21], vcc
	s_cbranch_execz .LBB695_288
; %bb.287:
	v_and_b32_e32 v35, 7, v30
	v_ffbh_u32_e32 v38, v35
	v_min_u32_e32 v41, 32, v38
	v_subrev_u32_e32 v38, 28, v41
	v_lshlrev_b64 v[38:39], v38, v[30:31]
	v_lshrrev_b32_e32 v40, 3, v37
	v_sub_u32_e32 v30, 29, v41
	v_and_b32_e32 v38, 7, v38
	v_cmp_gt_u32_e32 vcc, 8, v37
	v_cndmask_b32_e32 v30, v40, v30, vcc
	v_cndmask_b32_e32 v35, v35, v38, vcc
	v_lshlrev_b32_e32 v26, 16, v26
	v_bfrev_b32_e32 v37, 60
	v_lshlrev_b32_e32 v35, 20, v35
	v_and_b32_e32 v26, 0x80000000, v26
	v_lshl_add_u32 v30, v30, 23, v37
	v_or3_b32 v26, v26, v30, v35
	v_lshrrev_b32_e32 v35, 16, v26
.LBB695_288:
	s_or_b64 exec, exec, s[20:21]
.LBB695_289:
	s_or_b64 exec, exec, s[10:11]
.LBB695_290:
	s_or_b64 exec, exec, s[2:3]
	s_movk_i32 s2, 0xff
	v_and_b32_sdwa v30, v29, s2 dst_sel:DWORD dst_unused:UNUSED_PAD src0_sel:WORD_1 src1_sel:DWORD
	v_lshrrev_b32_e32 v26, 16, v29
	v_cmp_ne_u16_e32 vcc, 0, v30
	s_and_saveexec_b64 s[2:3], vcc
	s_cbranch_execz .LBB695_296
; %bb.291:
	s_movk_i32 s9, 0x80
	v_cmp_ne_u16_e32 vcc, s9, v30
	v_mov_b32_e32 v36, 0xffff8000
	s_and_saveexec_b64 s[10:11], vcc
	s_cbranch_execz .LBB695_295
; %bb.292:
	v_bfe_u32 v30, v29, 16, 7
	s_movk_i32 s9, 0x7f
	v_cmp_ne_u32_e32 vcc, s9, v30
	v_mov_b32_e32 v36, 0x7f80
	s_and_saveexec_b64 s[20:21], vcc
	s_cbranch_execz .LBB695_294
; %bb.293:
	v_and_b32_e32 v38, 7, v26
	v_ffbh_u32_e32 v36, v38
	v_min_u32_e32 v40, 32, v36
	v_subrev_u32_e32 v36, 28, v40
	v_lshlrev_b64 v[36:37], v36, v[26:27]
	v_and_b32_e32 v36, 7, v36
	v_cmp_gt_u32_e32 vcc, 8, v30
	v_lshrrev_b32_e32 v39, 3, v30
	v_sub_u32_e32 v26, 29, v40
	v_cndmask_b32_e32 v30, v38, v36, vcc
	v_mov_b32_e32 v36, 24
	v_cndmask_b32_e32 v26, v39, v26, vcc
	v_lshlrev_b32_sdwa v36, v36, v29 dst_sel:DWORD dst_unused:UNUSED_PAD src0_sel:DWORD src1_sel:WORD_1
	v_bfrev_b32_e32 v37, 60
	v_lshlrev_b32_e32 v30, 20, v30
	v_and_b32_e32 v36, 0x80000000, v36
	v_lshl_add_u32 v26, v26, 23, v37
	v_or3_b32 v26, v36, v26, v30
	v_lshrrev_b32_e32 v36, 16, v26
.LBB695_294:
	s_or_b64 exec, exec, s[20:21]
.LBB695_295:
	s_or_b64 exec, exec, s[10:11]
.LBB695_296:
	s_or_b64 exec, exec, s[2:3]
	s_mov_b32 s2, -1
	s_mov_b32 s3, 0xffffff
	v_cmp_lt_u64_e32 vcc, s[2:3], v[28:29]
	v_mov_b32_e32 v30, 0
	v_mov_b32_e32 v28, 0
	s_and_saveexec_b64 s[2:3], vcc
	s_cbranch_execz .LBB695_302
; %bb.297:
	v_lshrrev_b32_e32 v26, 24, v29
	s_movk_i32 s9, 0x80
	v_cmp_ne_u32_e32 vcc, s9, v26
	v_mov_b32_e32 v28, 0xffff8000
	s_and_saveexec_b64 s[10:11], vcc
	s_cbranch_execz .LBB695_301
; %bb.298:
	v_bfe_u32 v29, v29, 24, 7
	s_movk_i32 s9, 0x7f
	v_cmp_ne_u32_e32 vcc, s9, v29
	v_mov_b32_e32 v28, 0x7f80
	s_and_saveexec_b64 s[20:21], vcc
	s_cbranch_execz .LBB695_300
; %bb.299:
	v_and_b32_e32 v28, 7, v26
	v_ffbh_u32_e32 v38, v28
	v_min_u32_e32 v40, 32, v38
	v_subrev_u32_e32 v38, 28, v40
	v_lshlrev_b64 v[38:39], v38, v[26:27]
	v_lshrrev_b32_e32 v37, 3, v29
	v_sub_u32_e32 v39, 29, v40
	v_and_b32_e32 v38, 7, v38
	v_cmp_gt_u32_e32 vcc, 8, v29
	v_cndmask_b32_e32 v29, v37, v39, vcc
	v_cndmask_b32_e32 v28, v28, v38, vcc
	v_lshlrev_b32_e32 v26, 24, v26
	v_bfrev_b32_e32 v37, 60
	v_lshlrev_b32_e32 v28, 20, v28
	v_and_b32_e32 v26, 0x80000000, v26
	v_lshl_add_u32 v29, v29, 23, v37
	v_or3_b32 v26, v26, v29, v28
	v_lshrrev_b32_e32 v28, 16, v26
.LBB695_300:
	s_or_b64 exec, exec, s[20:21]
.LBB695_301:
	s_or_b64 exec, exec, s[10:11]
.LBB695_302:
	s_or_b64 exec, exec, s[2:3]
	s_mov_b32 s2, 0x5040100
	v_perm_b32 v33, v34, v33, s2
	v_perm_b32 v32, v31, v32, s2
	;; [unrolled: 1-line block ×4, first 2 shown]
	v_mfma_f32_4x4x4bf16_1k a[0:3], v[18:19], v[32:33], a[0:3] cbsz:4 abid:5
	s_waitcnt vmcnt(4)
	v_cmp_ne_u16_sdwa s[10:11], v22, v30 src0_sel:BYTE_0 src1_sel:DWORD
	v_mfma_f32_4x4x4bf16_1k a[0:3], v[20:21], v[28:29], a[0:3] cbsz:4 abid:5
	s_and_saveexec_b64 s[2:3], s[10:11]
	s_cbranch_execz .LBB695_308
; %bb.303:
	s_movk_i32 s9, 0x80
	v_cmp_ne_u16_sdwa s[20:21], v22, s9 src0_sel:BYTE_0 src1_sel:DWORD
	v_mov_b32_e32 v30, 0xffff8000
	s_and_saveexec_b64 s[10:11], s[20:21]
	s_cbranch_execz .LBB695_307
; %bb.304:
	s_movk_i32 s9, 0x7f
	v_and_b32_e32 v26, 0x7f, v22
	v_cmp_ne_u32_e32 vcc, s9, v26
	v_mov_b32_e32 v30, 0x7f80
	s_and_saveexec_b64 s[20:21], vcc
	s_cbranch_execz .LBB695_306
; %bb.305:
	v_and_b32_e32 v27, 7, v22
	v_ffbh_u32_e32 v27, v27
	v_min_u32_e32 v27, 32, v27
	v_subrev_u32_e32 v29, 28, v27
	v_cmp_gt_u32_e32 vcc, 8, v26
	v_lshrrev_b32_e32 v28, 3, v26
	v_sub_u32_e32 v27, 29, v27
	v_cndmask_b32_e32 v26, 0, v29, vcc
	v_cndmask_b32_e32 v28, v28, v27, vcc
	v_lshlrev_b64 v[26:27], v26, v[22:23]
	v_lshlrev_b32_e32 v26, 20, v26
	v_lshlrev_b32_e32 v27, 24, v22
	v_bfrev_b32_e32 v29, 60
	v_and_b32_e32 v26, 0x700000, v26
	v_and_b32_e32 v27, 0x80000000, v27
	v_lshl_add_u32 v28, v28, 23, v29
	v_or3_b32 v26, v27, v28, v26
	v_lshrrev_b32_e32 v30, 16, v26
.LBB695_306:
	s_or_b64 exec, exec, s[20:21]
.LBB695_307:
	s_or_b64 exec, exec, s[10:11]
.LBB695_308:
	s_or_b64 exec, exec, s[2:3]
	v_lshrrev_b16_e32 v26, 8, v22
	v_cmp_ne_u16_e32 vcc, 0, v26
	v_mov_b32_e32 v31, 0
	v_mov_b32_e32 v29, 0
	s_and_saveexec_b64 s[2:3], vcc
	s_cbranch_execz .LBB695_314
; %bb.309:
	s_movk_i32 s9, 0x80
	v_cmp_ne_u16_e32 vcc, s9, v26
	v_mov_b32_e32 v29, 0xffff8000
	s_and_saveexec_b64 s[10:11], vcc
	s_cbranch_execz .LBB695_313
; %bb.310:
	s_movk_i32 s9, 0x7f
	v_and_b32_e32 v27, 0x7f, v26
	v_cmp_ne_u32_e32 vcc, s9, v27
	v_mov_b32_e32 v29, 0x7f80
	s_and_saveexec_b64 s[20:21], vcc
	s_cbranch_execz .LBB695_312
; %bb.311:
	v_and_b32_e32 v32, 7, v26
	v_ffbh_u32_e32 v28, v32
	v_min_u32_e32 v34, 32, v28
	v_subrev_u32_e32 v28, 28, v34
	v_lshlrev_b64 v[28:29], v28, v[26:27]
	v_lshrrev_b32_e32 v33, 3, v27
	v_sub_u32_e32 v26, 29, v34
	v_and_b32_e32 v28, 7, v28
	v_cmp_gt_u32_e32 vcc, 8, v27
	v_cndmask_b32_e32 v26, v33, v26, vcc
	v_cndmask_b32_e32 v27, v32, v28, vcc
	v_lshlrev_b32_e32 v28, 16, v22
	v_bfrev_b32_e32 v29, 60
	v_lshlrev_b32_e32 v27, 20, v27
	v_and_b32_e32 v28, 0x80000000, v28
	v_lshl_add_u32 v26, v26, 23, v29
	v_or3_b32 v26, v28, v26, v27
	v_lshrrev_b32_e32 v29, 16, v26
.LBB695_312:
	s_or_b64 exec, exec, s[20:21]
.LBB695_313:
	s_or_b64 exec, exec, s[10:11]
.LBB695_314:
	s_or_b64 exec, exec, s[2:3]
	s_movk_i32 s2, 0xff
	v_and_b32_sdwa v27, v22, s2 dst_sel:DWORD dst_unused:UNUSED_PAD src0_sel:WORD_1 src1_sel:DWORD
	v_lshrrev_b32_e32 v26, 16, v22
	v_cmp_ne_u16_e32 vcc, 0, v27
	s_and_saveexec_b64 s[2:3], vcc
	s_cbranch_execz .LBB695_320
; %bb.315:
	s_movk_i32 s9, 0x80
	v_cmp_ne_u16_e32 vcc, s9, v27
	v_mov_b32_e32 v31, 0xffff8000
	s_and_saveexec_b64 s[10:11], vcc
	s_cbranch_execz .LBB695_319
; %bb.316:
	v_bfe_u32 v27, v22, 16, 7
	s_movk_i32 s9, 0x7f
	v_cmp_ne_u32_e32 vcc, s9, v27
	v_mov_b32_e32 v31, 0x7f80
	s_and_saveexec_b64 s[20:21], vcc
	s_cbranch_execz .LBB695_318
; %bb.317:
	v_and_b32_e32 v28, 7, v26
	v_ffbh_u32_e32 v32, v28
	v_min_u32_e32 v34, 32, v32
	v_subrev_u32_e32 v32, 28, v34
	v_lshlrev_b64 v[32:33], v32, v[26:27]
	v_and_b32_e32 v32, 7, v32
	v_cmp_gt_u32_e32 vcc, 8, v27
	v_lshrrev_b32_e32 v31, 3, v27
	v_sub_u32_e32 v26, 29, v34
	v_cndmask_b32_e32 v27, v28, v32, vcc
	v_mov_b32_e32 v28, 24
	v_cndmask_b32_e32 v26, v31, v26, vcc
	v_lshlrev_b32_sdwa v28, v28, v22 dst_sel:DWORD dst_unused:UNUSED_PAD src0_sel:DWORD src1_sel:WORD_1
	v_bfrev_b32_e32 v31, 60
	v_lshlrev_b32_e32 v27, 20, v27
	v_and_b32_e32 v28, 0x80000000, v28
	v_lshl_add_u32 v26, v26, 23, v31
	v_or3_b32 v26, v28, v26, v27
	v_lshrrev_b32_e32 v31, 16, v26
.LBB695_318:
	s_or_b64 exec, exec, s[20:21]
.LBB695_319:
	s_or_b64 exec, exec, s[10:11]
.LBB695_320:
	s_or_b64 exec, exec, s[2:3]
	s_mov_b32 s2, 0xffffff
	v_cmp_lt_u32_e32 vcc, s2, v22
	v_mov_b32_e32 v27, 0
	v_mov_b32_e32 v32, 0
	s_and_saveexec_b64 s[2:3], vcc
	s_cbranch_execz .LBB695_326
; %bb.321:
	v_lshrrev_b32_e32 v26, 24, v22
	s_movk_i32 s9, 0x80
	v_cmp_ne_u32_e32 vcc, s9, v26
	v_mov_b32_e32 v32, 0xffff8000
	s_and_saveexec_b64 s[10:11], vcc
	s_cbranch_execz .LBB695_325
; %bb.322:
	v_bfe_u32 v28, v22, 24, 7
	s_movk_i32 s9, 0x7f
	v_cmp_ne_u32_e32 vcc, s9, v28
	v_mov_b32_e32 v32, 0x7f80
	s_and_saveexec_b64 s[20:21], vcc
	s_cbranch_execz .LBB695_324
; %bb.323:
	v_and_b32_e32 v34, 7, v26
	v_ffbh_u32_e32 v32, v34
	v_min_u32_e32 v36, 32, v32
	v_subrev_u32_e32 v32, 28, v36
	v_lshlrev_b64 v[32:33], v32, v[26:27]
	v_lshrrev_b32_e32 v35, 3, v28
	v_sub_u32_e32 v33, 29, v36
	v_and_b32_e32 v32, 7, v32
	v_cmp_gt_u32_e32 vcc, 8, v28
	v_cndmask_b32_e32 v28, v35, v33, vcc
	v_cndmask_b32_e32 v32, v34, v32, vcc
	v_lshlrev_b32_e32 v26, 24, v26
	v_bfrev_b32_e32 v33, 60
	v_lshlrev_b32_e32 v32, 20, v32
	v_and_b32_e32 v26, 0x80000000, v26
	v_lshl_add_u32 v28, v28, 23, v33
	v_or3_b32 v26, v26, v28, v32
	v_lshrrev_b32_e32 v32, 16, v26
.LBB695_324:
	s_or_b64 exec, exec, s[20:21]
.LBB695_325:
	s_or_b64 exec, exec, s[10:11]
.LBB695_326:
	s_or_b64 exec, exec, s[2:3]
	v_mov_b32_e32 v26, v23
	v_cmp_ne_u16_sdwa s[10:11], v23, v27 src0_sel:BYTE_0 src1_sel:DWORD
	s_and_saveexec_b64 s[2:3], s[10:11]
	s_cbranch_execz .LBB695_332
; %bb.327:
	s_movk_i32 s9, 0x80
	v_cmp_ne_u16_sdwa s[20:21], v23, s9 src0_sel:BYTE_0 src1_sel:DWORD
	v_mov_b32_e32 v28, 0xffff8000
	s_and_saveexec_b64 s[10:11], s[20:21]
	s_cbranch_execz .LBB695_331
; %bb.328:
	s_movk_i32 s9, 0x7f
	v_and_b32_e32 v33, 0x7f, v23
	v_cmp_ne_u32_e32 vcc, s9, v33
	v_mov_b32_e32 v28, 0x7f80
	s_and_saveexec_b64 s[20:21], vcc
	s_cbranch_execz .LBB695_330
; %bb.329:
	v_and_b32_e32 v28, 7, v23
	v_ffbh_u32_e32 v28, v28
	v_min_u32_e32 v28, 32, v28
	v_subrev_u32_e32 v35, 28, v28
	v_cmp_gt_u32_e32 vcc, 8, v33
	v_lshrrev_b32_e32 v34, 3, v33
	v_sub_u32_e32 v28, 29, v28
	v_cndmask_b32_e32 v33, 0, v35, vcc
	v_cndmask_b32_e32 v28, v34, v28, vcc
	v_lshlrev_b64 v[34:35], v33, v[26:27]
	v_lshlrev_b32_e32 v27, 20, v34
	v_lshlrev_b32_e32 v33, 24, v26
	v_bfrev_b32_e32 v34, 60
	v_and_b32_e32 v27, 0x700000, v27
	v_and_b32_e32 v33, 0x80000000, v33
	v_lshl_add_u32 v28, v28, 23, v34
	v_or3_b32 v27, v33, v28, v27
	v_lshrrev_b32_e32 v28, 16, v27
.LBB695_330:
	s_or_b64 exec, exec, s[20:21]
.LBB695_331:
	s_or_b64 exec, exec, s[10:11]
	v_mov_b32_e32 v27, v28
.LBB695_332:
	s_or_b64 exec, exec, s[2:3]
	v_lshrrev_b16_e32 v28, 8, v26
	v_cmp_ne_u16_e32 vcc, 0, v28
	v_mov_b32_e32 v34, 0
	v_mov_b32_e32 v33, 0
	s_and_saveexec_b64 s[2:3], vcc
	s_cbranch_execz .LBB695_338
; %bb.333:
	s_movk_i32 s9, 0x80
	v_cmp_ne_u16_e32 vcc, s9, v28
	v_mov_b32_e32 v33, 0xffff8000
	s_and_saveexec_b64 s[10:11], vcc
	s_cbranch_execz .LBB695_337
; %bb.334:
	s_movk_i32 s9, 0x7f
	v_and_b32_e32 v35, 0x7f, v28
	v_cmp_ne_u32_e32 vcc, s9, v35
	v_mov_b32_e32 v33, 0x7f80
	s_and_saveexec_b64 s[20:21], vcc
	s_cbranch_execz .LBB695_336
; %bb.335:
	v_and_b32_e32 v33, 7, v28
	v_ffbh_u32_e32 v36, v33
	v_min_u32_e32 v39, 32, v36
	v_subrev_u32_e32 v36, 28, v39
	v_lshlrev_b64 v[36:37], v36, v[28:29]
	v_lshrrev_b32_e32 v38, 3, v35
	v_sub_u32_e32 v28, 29, v39
	v_and_b32_e32 v36, 7, v36
	v_cmp_gt_u32_e32 vcc, 8, v35
	v_cndmask_b32_e32 v28, v38, v28, vcc
	v_cndmask_b32_e32 v33, v33, v36, vcc
	v_lshlrev_b32_e32 v26, 16, v26
	v_bfrev_b32_e32 v35, 60
	v_lshlrev_b32_e32 v33, 20, v33
	v_and_b32_e32 v26, 0x80000000, v26
	v_lshl_add_u32 v28, v28, 23, v35
	v_or3_b32 v26, v26, v28, v33
	v_lshrrev_b32_e32 v33, 16, v26
.LBB695_336:
	s_or_b64 exec, exec, s[20:21]
.LBB695_337:
	s_or_b64 exec, exec, s[10:11]
.LBB695_338:
	s_or_b64 exec, exec, s[2:3]
	s_movk_i32 s2, 0xff
	v_and_b32_sdwa v28, v23, s2 dst_sel:DWORD dst_unused:UNUSED_PAD src0_sel:WORD_1 src1_sel:DWORD
	v_lshrrev_b32_e32 v26, 16, v23
	v_cmp_ne_u16_e32 vcc, 0, v28
	s_and_saveexec_b64 s[2:3], vcc
	s_cbranch_execz .LBB695_344
; %bb.339:
	s_movk_i32 s9, 0x80
	v_cmp_ne_u16_e32 vcc, s9, v28
	v_mov_b32_e32 v34, 0xffff8000
	s_and_saveexec_b64 s[10:11], vcc
	s_cbranch_execz .LBB695_343
; %bb.340:
	v_bfe_u32 v28, v23, 16, 7
	s_movk_i32 s9, 0x7f
	v_cmp_ne_u32_e32 vcc, s9, v28
	v_mov_b32_e32 v34, 0x7f80
	s_and_saveexec_b64 s[20:21], vcc
	s_cbranch_execz .LBB695_342
; %bb.341:
	v_and_b32_e32 v36, 7, v26
	v_ffbh_u32_e32 v34, v36
	v_min_u32_e32 v38, 32, v34
	v_subrev_u32_e32 v34, 28, v38
	v_lshlrev_b64 v[34:35], v34, v[26:27]
	v_and_b32_e32 v34, 7, v34
	v_cmp_gt_u32_e32 vcc, 8, v28
	v_lshrrev_b32_e32 v37, 3, v28
	v_sub_u32_e32 v26, 29, v38
	v_cndmask_b32_e32 v28, v36, v34, vcc
	v_mov_b32_e32 v34, 24
	v_cndmask_b32_e32 v26, v37, v26, vcc
	v_lshlrev_b32_sdwa v34, v34, v23 dst_sel:DWORD dst_unused:UNUSED_PAD src0_sel:DWORD src1_sel:WORD_1
	v_bfrev_b32_e32 v35, 60
	v_lshlrev_b32_e32 v28, 20, v28
	v_and_b32_e32 v34, 0x80000000, v34
	v_lshl_add_u32 v26, v26, 23, v35
	v_or3_b32 v26, v34, v26, v28
	v_lshrrev_b32_e32 v34, 16, v26
.LBB695_342:
	s_or_b64 exec, exec, s[20:21]
.LBB695_343:
	s_or_b64 exec, exec, s[10:11]
.LBB695_344:
	s_or_b64 exec, exec, s[2:3]
	s_mov_b32 s2, -1
	s_mov_b32 s3, 0xffffff
	v_cmp_lt_u64_e32 vcc, s[2:3], v[22:23]
	v_mov_b32_e32 v28, 0
	v_mov_b32_e32 v26, 0
	s_and_saveexec_b64 s[2:3], vcc
	s_cbranch_execz .LBB695_350
; %bb.345:
	v_lshrrev_b32_e32 v22, 24, v23
	s_movk_i32 s9, 0x80
	v_cmp_ne_u32_e32 vcc, s9, v22
	v_mov_b32_e32 v26, 0xffff8000
	s_and_saveexec_b64 s[10:11], vcc
	s_cbranch_execz .LBB695_349
; %bb.346:
	v_bfe_u32 v23, v23, 24, 7
	s_movk_i32 s9, 0x7f
	v_cmp_ne_u32_e32 vcc, s9, v23
	v_mov_b32_e32 v26, 0x7f80
	s_and_saveexec_b64 s[20:21], vcc
	s_cbranch_execz .LBB695_348
; %bb.347:
	v_and_b32_e32 v26, 7, v22
	v_ffbh_u32_e32 v36, v26
	v_min_u32_e32 v38, 32, v36
	v_subrev_u32_e32 v36, 28, v38
	v_lshlrev_b64 v[36:37], v36, v[22:23]
	v_lshrrev_b32_e32 v35, 3, v23
	v_sub_u32_e32 v37, 29, v38
	v_and_b32_e32 v36, 7, v36
	v_cmp_gt_u32_e32 vcc, 8, v23
	v_cndmask_b32_e32 v23, v35, v37, vcc
	v_cndmask_b32_e32 v26, v26, v36, vcc
	v_lshlrev_b32_e32 v22, 24, v22
	v_bfrev_b32_e32 v35, 60
	v_lshlrev_b32_e32 v26, 20, v26
	v_and_b32_e32 v22, 0x80000000, v22
	v_lshl_add_u32 v23, v23, 23, v35
	v_or3_b32 v22, v22, v23, v26
	v_lshrrev_b32_e32 v26, 16, v22
.LBB695_348:
	s_or_b64 exec, exec, s[20:21]
.LBB695_349:
	s_or_b64 exec, exec, s[10:11]
.LBB695_350:
	s_or_b64 exec, exec, s[2:3]
	s_mov_b32 s2, 0x5040100
	v_perm_b32 v23, v32, v31, s2
	v_perm_b32 v22, v29, v30, s2
	;; [unrolled: 1-line block ×4, first 2 shown]
	v_mfma_f32_4x4x4bf16_1k a[0:3], v[18:19], v[22:23], a[0:3] cbsz:4 abid:6
	v_cmp_ne_u16_sdwa s[10:11], v24, v28 src0_sel:BYTE_0 src1_sel:DWORD
	v_mfma_f32_4x4x4bf16_1k a[0:3], v[20:21], v[30:31], a[0:3] cbsz:4 abid:6
	s_and_saveexec_b64 s[2:3], s[10:11]
	s_cbranch_execz .LBB695_356
; %bb.351:
	s_movk_i32 s9, 0x80
	v_cmp_ne_u16_sdwa s[20:21], v24, s9 src0_sel:BYTE_0 src1_sel:DWORD
	v_mov_b32_e32 v28, 0xffff8000
	s_and_saveexec_b64 s[10:11], s[20:21]
	s_cbranch_execz .LBB695_355
; %bb.352:
	s_movk_i32 s9, 0x7f
	v_and_b32_e32 v22, 0x7f, v24
	v_cmp_ne_u32_e32 vcc, s9, v22
	v_mov_b32_e32 v28, 0x7f80
	s_and_saveexec_b64 s[20:21], vcc
	s_cbranch_execz .LBB695_354
; %bb.353:
	v_and_b32_e32 v23, 7, v24
	v_ffbh_u32_e32 v23, v23
	v_min_u32_e32 v23, 32, v23
	v_subrev_u32_e32 v27, 28, v23
	v_cmp_gt_u32_e32 vcc, 8, v22
	v_lshrrev_b32_e32 v26, 3, v22
	v_sub_u32_e32 v23, 29, v23
	v_cndmask_b32_e32 v22, 0, v27, vcc
	v_cndmask_b32_e32 v26, v26, v23, vcc
	v_lshlrev_b64 v[22:23], v22, v[24:25]
	v_lshlrev_b32_e32 v22, 20, v22
	v_lshlrev_b32_e32 v23, 24, v24
	v_bfrev_b32_e32 v27, 60
	v_and_b32_e32 v22, 0x700000, v22
	v_and_b32_e32 v23, 0x80000000, v23
	v_lshl_add_u32 v26, v26, 23, v27
	v_or3_b32 v22, v23, v26, v22
	v_lshrrev_b32_e32 v28, 16, v22
.LBB695_354:
	s_or_b64 exec, exec, s[20:21]
.LBB695_355:
	s_or_b64 exec, exec, s[10:11]
.LBB695_356:
	s_or_b64 exec, exec, s[2:3]
	v_lshrrev_b16_e32 v22, 8, v24
	v_cmp_ne_u16_e32 vcc, 0, v22
	v_mov_b32_e32 v29, 0
	v_mov_b32_e32 v27, 0
	s_and_saveexec_b64 s[2:3], vcc
	s_cbranch_execz .LBB695_362
; %bb.357:
	s_movk_i32 s9, 0x80
	v_cmp_ne_u16_e32 vcc, s9, v22
	v_mov_b32_e32 v27, 0xffff8000
	s_and_saveexec_b64 s[10:11], vcc
	s_cbranch_execz .LBB695_361
; %bb.358:
	s_movk_i32 s9, 0x7f
	v_and_b32_e32 v23, 0x7f, v22
	v_cmp_ne_u32_e32 vcc, s9, v23
	v_mov_b32_e32 v27, 0x7f80
	s_and_saveexec_b64 s[20:21], vcc
	s_cbranch_execz .LBB695_360
; %bb.359:
	v_and_b32_e32 v30, 7, v22
	v_ffbh_u32_e32 v26, v30
	v_min_u32_e32 v32, 32, v26
	v_subrev_u32_e32 v26, 28, v32
	v_lshlrev_b64 v[26:27], v26, v[22:23]
	v_lshrrev_b32_e32 v31, 3, v23
	v_sub_u32_e32 v22, 29, v32
	v_and_b32_e32 v26, 7, v26
	v_cmp_gt_u32_e32 vcc, 8, v23
	v_cndmask_b32_e32 v22, v31, v22, vcc
	v_cndmask_b32_e32 v23, v30, v26, vcc
	v_lshlrev_b32_e32 v26, 16, v24
	v_bfrev_b32_e32 v27, 60
	v_lshlrev_b32_e32 v23, 20, v23
	v_and_b32_e32 v26, 0x80000000, v26
	v_lshl_add_u32 v22, v22, 23, v27
	v_or3_b32 v22, v26, v22, v23
	v_lshrrev_b32_e32 v27, 16, v22
.LBB695_360:
	s_or_b64 exec, exec, s[20:21]
.LBB695_361:
	s_or_b64 exec, exec, s[10:11]
.LBB695_362:
	s_or_b64 exec, exec, s[2:3]
	s_movk_i32 s2, 0xff
	v_and_b32_sdwa v23, v24, s2 dst_sel:DWORD dst_unused:UNUSED_PAD src0_sel:WORD_1 src1_sel:DWORD
	v_lshrrev_b32_e32 v22, 16, v24
	v_cmp_ne_u16_e32 vcc, 0, v23
	s_and_saveexec_b64 s[2:3], vcc
	s_cbranch_execz .LBB695_368
; %bb.363:
	s_movk_i32 s9, 0x80
	v_cmp_ne_u16_e32 vcc, s9, v23
	v_mov_b32_e32 v29, 0xffff8000
	s_and_saveexec_b64 s[10:11], vcc
	s_cbranch_execz .LBB695_367
; %bb.364:
	v_bfe_u32 v23, v24, 16, 7
	s_movk_i32 s9, 0x7f
	v_cmp_ne_u32_e32 vcc, s9, v23
	v_mov_b32_e32 v29, 0x7f80
	s_and_saveexec_b64 s[20:21], vcc
	s_cbranch_execz .LBB695_366
; %bb.365:
	v_and_b32_e32 v26, 7, v22
	v_ffbh_u32_e32 v30, v26
	v_min_u32_e32 v32, 32, v30
	v_subrev_u32_e32 v30, 28, v32
	v_lshlrev_b64 v[30:31], v30, v[22:23]
	v_and_b32_e32 v30, 7, v30
	v_cmp_gt_u32_e32 vcc, 8, v23
	v_lshrrev_b32_e32 v29, 3, v23
	v_sub_u32_e32 v22, 29, v32
	v_cndmask_b32_e32 v23, v26, v30, vcc
	v_mov_b32_e32 v26, 24
	v_cndmask_b32_e32 v22, v29, v22, vcc
	v_lshlrev_b32_sdwa v26, v26, v24 dst_sel:DWORD dst_unused:UNUSED_PAD src0_sel:DWORD src1_sel:WORD_1
	v_bfrev_b32_e32 v29, 60
	v_lshlrev_b32_e32 v23, 20, v23
	v_and_b32_e32 v26, 0x80000000, v26
	v_lshl_add_u32 v22, v22, 23, v29
	v_or3_b32 v22, v26, v22, v23
	v_lshrrev_b32_e32 v29, 16, v22
.LBB695_366:
	s_or_b64 exec, exec, s[20:21]
.LBB695_367:
	s_or_b64 exec, exec, s[10:11]
.LBB695_368:
	s_or_b64 exec, exec, s[2:3]
	s_mov_b32 s2, 0xffffff
	v_cmp_lt_u32_e32 vcc, s2, v24
	v_mov_b32_e32 v23, 0
	v_mov_b32_e32 v30, 0
	s_and_saveexec_b64 s[2:3], vcc
	s_cbranch_execz .LBB695_374
; %bb.369:
	v_lshrrev_b32_e32 v22, 24, v24
	s_movk_i32 s9, 0x80
	v_cmp_ne_u32_e32 vcc, s9, v22
	v_mov_b32_e32 v30, 0xffff8000
	s_and_saveexec_b64 s[10:11], vcc
	s_cbranch_execz .LBB695_373
; %bb.370:
	v_bfe_u32 v26, v24, 24, 7
	s_movk_i32 s9, 0x7f
	v_cmp_ne_u32_e32 vcc, s9, v26
	v_mov_b32_e32 v30, 0x7f80
	s_and_saveexec_b64 s[20:21], vcc
	s_cbranch_execz .LBB695_372
; %bb.371:
	v_and_b32_e32 v32, 7, v22
	v_ffbh_u32_e32 v30, v32
	v_min_u32_e32 v34, 32, v30
	v_subrev_u32_e32 v30, 28, v34
	v_lshlrev_b64 v[30:31], v30, v[22:23]
	v_lshrrev_b32_e32 v33, 3, v26
	v_sub_u32_e32 v31, 29, v34
	v_and_b32_e32 v30, 7, v30
	v_cmp_gt_u32_e32 vcc, 8, v26
	v_cndmask_b32_e32 v26, v33, v31, vcc
	v_cndmask_b32_e32 v30, v32, v30, vcc
	v_lshlrev_b32_e32 v22, 24, v22
	v_bfrev_b32_e32 v31, 60
	v_lshlrev_b32_e32 v30, 20, v30
	v_and_b32_e32 v22, 0x80000000, v22
	v_lshl_add_u32 v26, v26, 23, v31
	v_or3_b32 v22, v22, v26, v30
	v_lshrrev_b32_e32 v30, 16, v22
.LBB695_372:
	s_or_b64 exec, exec, s[20:21]
.LBB695_373:
	s_or_b64 exec, exec, s[10:11]
.LBB695_374:
	s_or_b64 exec, exec, s[2:3]
	v_mov_b32_e32 v22, v25
	v_cmp_ne_u16_sdwa s[10:11], v25, v23 src0_sel:BYTE_0 src1_sel:DWORD
	s_and_saveexec_b64 s[2:3], s[10:11]
	s_cbranch_execz .LBB695_380
; %bb.375:
	s_movk_i32 s9, 0x80
	v_cmp_ne_u16_sdwa s[20:21], v25, s9 src0_sel:BYTE_0 src1_sel:DWORD
	v_mov_b32_e32 v26, 0xffff8000
	s_and_saveexec_b64 s[10:11], s[20:21]
	s_cbranch_execz .LBB695_379
; %bb.376:
	s_movk_i32 s9, 0x7f
	v_and_b32_e32 v31, 0x7f, v25
	v_cmp_ne_u32_e32 vcc, s9, v31
	v_mov_b32_e32 v26, 0x7f80
	s_and_saveexec_b64 s[20:21], vcc
	s_cbranch_execz .LBB695_378
; %bb.377:
	v_and_b32_e32 v26, 7, v25
	v_ffbh_u32_e32 v26, v26
	v_min_u32_e32 v26, 32, v26
	v_subrev_u32_e32 v33, 28, v26
	v_cmp_gt_u32_e32 vcc, 8, v31
	v_lshrrev_b32_e32 v32, 3, v31
	v_sub_u32_e32 v26, 29, v26
	v_cndmask_b32_e32 v31, 0, v33, vcc
	v_cndmask_b32_e32 v26, v32, v26, vcc
	v_lshlrev_b64 v[32:33], v31, v[22:23]
	v_lshlrev_b32_e32 v23, 20, v32
	v_lshlrev_b32_e32 v31, 24, v22
	v_bfrev_b32_e32 v32, 60
	v_and_b32_e32 v23, 0x700000, v23
	v_and_b32_e32 v31, 0x80000000, v31
	v_lshl_add_u32 v26, v26, 23, v32
	v_or3_b32 v23, v31, v26, v23
	v_lshrrev_b32_e32 v26, 16, v23
.LBB695_378:
	s_or_b64 exec, exec, s[20:21]
.LBB695_379:
	s_or_b64 exec, exec, s[10:11]
	v_mov_b32_e32 v23, v26
.LBB695_380:
	s_or_b64 exec, exec, s[2:3]
	v_lshrrev_b16_e32 v26, 8, v22
	v_cmp_ne_u16_e32 vcc, 0, v26
	v_mov_b32_e32 v32, 0
	v_mov_b32_e32 v31, 0
	s_and_saveexec_b64 s[2:3], vcc
	s_cbranch_execz .LBB695_386
; %bb.381:
	s_movk_i32 s9, 0x80
	v_cmp_ne_u16_e32 vcc, s9, v26
	v_mov_b32_e32 v31, 0xffff8000
	s_and_saveexec_b64 s[10:11], vcc
	s_cbranch_execz .LBB695_385
; %bb.382:
	s_movk_i32 s9, 0x7f
	v_and_b32_e32 v33, 0x7f, v26
	v_cmp_ne_u32_e32 vcc, s9, v33
	v_mov_b32_e32 v31, 0x7f80
	s_and_saveexec_b64 s[20:21], vcc
	s_cbranch_execz .LBB695_384
; %bb.383:
	v_and_b32_e32 v31, 7, v26
	v_ffbh_u32_e32 v34, v31
	v_min_u32_e32 v37, 32, v34
	v_subrev_u32_e32 v34, 28, v37
	v_lshlrev_b64 v[34:35], v34, v[26:27]
	v_lshrrev_b32_e32 v36, 3, v33
	v_sub_u32_e32 v26, 29, v37
	v_and_b32_e32 v34, 7, v34
	v_cmp_gt_u32_e32 vcc, 8, v33
	v_cndmask_b32_e32 v26, v36, v26, vcc
	v_cndmask_b32_e32 v31, v31, v34, vcc
	v_lshlrev_b32_e32 v22, 16, v22
	v_bfrev_b32_e32 v33, 60
	v_lshlrev_b32_e32 v31, 20, v31
	v_and_b32_e32 v22, 0x80000000, v22
	v_lshl_add_u32 v26, v26, 23, v33
	v_or3_b32 v22, v22, v26, v31
	v_lshrrev_b32_e32 v31, 16, v22
.LBB695_384:
	s_or_b64 exec, exec, s[20:21]
.LBB695_385:
	s_or_b64 exec, exec, s[10:11]
.LBB695_386:
	s_or_b64 exec, exec, s[2:3]
	s_movk_i32 s2, 0xff
	v_and_b32_sdwa v26, v25, s2 dst_sel:DWORD dst_unused:UNUSED_PAD src0_sel:WORD_1 src1_sel:DWORD
	v_lshrrev_b32_e32 v22, 16, v25
	v_cmp_ne_u16_e32 vcc, 0, v26
	s_and_saveexec_b64 s[2:3], vcc
	s_cbranch_execz .LBB695_392
; %bb.387:
	s_movk_i32 s9, 0x80
	v_cmp_ne_u16_e32 vcc, s9, v26
	v_mov_b32_e32 v32, 0xffff8000
	s_and_saveexec_b64 s[10:11], vcc
	s_cbranch_execz .LBB695_391
; %bb.388:
	v_bfe_u32 v26, v25, 16, 7
	s_movk_i32 s9, 0x7f
	v_cmp_ne_u32_e32 vcc, s9, v26
	v_mov_b32_e32 v32, 0x7f80
	s_and_saveexec_b64 s[20:21], vcc
	s_cbranch_execz .LBB695_390
; %bb.389:
	v_and_b32_e32 v34, 7, v22
	v_ffbh_u32_e32 v32, v34
	v_min_u32_e32 v36, 32, v32
	v_subrev_u32_e32 v32, 28, v36
	v_lshlrev_b64 v[32:33], v32, v[22:23]
	v_and_b32_e32 v32, 7, v32
	v_cmp_gt_u32_e32 vcc, 8, v26
	v_lshrrev_b32_e32 v35, 3, v26
	v_sub_u32_e32 v22, 29, v36
	v_cndmask_b32_e32 v26, v34, v32, vcc
	v_mov_b32_e32 v32, 24
	v_cndmask_b32_e32 v22, v35, v22, vcc
	v_lshlrev_b32_sdwa v32, v32, v25 dst_sel:DWORD dst_unused:UNUSED_PAD src0_sel:DWORD src1_sel:WORD_1
	v_bfrev_b32_e32 v33, 60
	v_lshlrev_b32_e32 v26, 20, v26
	v_and_b32_e32 v32, 0x80000000, v32
	v_lshl_add_u32 v22, v22, 23, v33
	v_or3_b32 v22, v32, v22, v26
	v_lshrrev_b32_e32 v32, 16, v22
.LBB695_390:
	s_or_b64 exec, exec, s[20:21]
.LBB695_391:
	s_or_b64 exec, exec, s[10:11]
.LBB695_392:
	s_or_b64 exec, exec, s[2:3]
	s_mov_b32 s2, -1
	s_mov_b32 s3, 0xffffff
	v_cmp_lt_u64_e32 vcc, s[2:3], v[24:25]
	v_mov_b32_e32 v24, 0
	s_and_saveexec_b64 s[2:3], vcc
	s_cbranch_execz .LBB695_398
; %bb.393:
	v_lshrrev_b32_e32 v22, 24, v25
	s_movk_i32 s9, 0x80
	v_cmp_ne_u32_e32 vcc, s9, v22
	v_mov_b32_e32 v24, 0xffff8000
	s_and_saveexec_b64 s[10:11], vcc
	s_cbranch_execz .LBB695_397
; %bb.394:
	v_bfe_u32 v25, v25, 24, 7
	s_movk_i32 s9, 0x7f
	v_cmp_ne_u32_e32 vcc, s9, v25
	v_mov_b32_e32 v24, 0x7f80
	s_and_saveexec_b64 s[20:21], vcc
	s_cbranch_execz .LBB695_396
; %bb.395:
	v_and_b32_e32 v24, 7, v22
	v_ffbh_u32_e32 v33, v24
	v_min_u32_e32 v33, 32, v33
	v_subrev_u32_e32 v34, 28, v33
	v_lshlrev_b64 v[34:35], v34, v[22:23]
	v_lshrrev_b32_e32 v26, 3, v25
	v_sub_u32_e32 v33, 29, v33
	v_and_b32_e32 v34, 7, v34
	v_cmp_gt_u32_e32 vcc, 8, v25
	v_cndmask_b32_e32 v25, v26, v33, vcc
	v_cndmask_b32_e32 v24, v24, v34, vcc
	v_lshlrev_b32_e32 v22, 24, v22
	v_bfrev_b32_e32 v26, 60
	v_lshlrev_b32_e32 v24, 20, v24
	v_and_b32_e32 v22, 0x80000000, v22
	v_lshl_add_u32 v25, v25, 23, v26
	v_or3_b32 v22, v22, v25, v24
	v_lshrrev_b32_e32 v24, 16, v22
.LBB695_396:
	s_or_b64 exec, exec, s[20:21]
.LBB695_397:
	s_or_b64 exec, exec, s[10:11]
.LBB695_398:
	s_or_b64 exec, exec, s[2:3]
	s_mov_b32 s3, 0x5040100
	s_load_dword s2, s[4:5], 0x1c
	v_perm_b32 v29, v30, v29, s3
	v_perm_b32 v28, v27, v28, s3
	;; [unrolled: 1-line block ×4, first 2 shown]
	v_mfma_f32_4x4x4bf16_1k a[0:3], v[18:19], v[28:29], a[0:3] cbsz:4 abid:7
	s_load_dword s3, s[12:13], 0x0
	v_mfma_f32_4x4x4bf16_1k a[0:3], v[20:21], v[24:25], a[0:3] cbsz:4 abid:7
	s_waitcnt lgkmcnt(0)
	v_mov_b32_e32 v18, s2
	v_cmp_eq_u32_e32 vcc, 0, v43
	v_mul_f32_e32 v20, s3, v18
	s_nop 0
	v_accvgpr_read_b32 v23, a1
	v_accvgpr_read_b32 v22, a0
	v_pk_mul_f32 v[22:23], v[22:23], v[20:21] op_sel_hi:[1,0]
	v_accvgpr_read_b32 v19, a3
	v_accvgpr_read_b32 v18, a2
	v_pk_mul_f32 v[18:19], v[18:19], v[20:21] op_sel_hi:[1,0]
	v_cndmask_b32_e64 v20, 0, 1.0, vcc
	v_cmp_eq_u32_e32 vcc, 1, v43
	s_nop 0
	v_mfma_f32_4x4x1f32 a[0:3], v22, v20, 0
	v_cndmask_b32_e64 v20, 0, 1.0, vcc
	v_cmp_eq_u32_e32 vcc, 2, v43
	v_mov_b32_e32 v22, 0xff7fffff
	v_mfma_f32_4x4x1f32 a[0:3], v23, v20, a[0:3]
	v_cndmask_b32_e64 v20, 0, 1.0, vcc
	v_cmp_eq_u32_e32 vcc, 3, v43
	s_nop 0
	v_mfma_f32_4x4x1f32 a[0:3], v18, v20, a[0:3]
	v_cndmask_b32_e64 v18, 0, 1.0, vcc
	s_nop 1
	v_mfma_f32_4x4x1f32 a[0:3], v19, v18, a[0:3]
	v_and_b32_e32 v18, -4, v44
	v_cmp_gt_i32_e32 vcc, s7, v18
	v_lshlrev_b32_e32 v19, 2, v0
	v_and_or_b32 v19, v19, 48, v43
	v_lshlrev_b32_e32 v26, 2, v19
	v_accvgpr_read_b32 v20, a0
	v_max_f32_e32 v21, v20, v20
	v_max_f32_e32 v21, 0xff7fffff, v21
	v_accvgpr_read_b32 v23, a1
	v_cndmask_b32_e32 v21, v22, v21, vcc
	v_or_b32_e32 v22, 1, v18
	v_max_f32_e32 v24, v23, v23
	v_max_f32_e32 v24, v21, v24
	v_cmp_gt_i32_e64 s[2:3], s7, v22
	v_accvgpr_read_b32 v22, a2
	v_cndmask_b32_e64 v21, v21, v24, s[2:3]
	v_or_b32_e32 v18, 2, v18
	v_max_f32_e32 v24, v22, v22
	v_max_f32_e32 v24, v21, v24
	v_cmp_gt_i32_e64 s[4:5], s7, v18
	v_cndmask_b32_e64 v18, v21, v24, s[4:5]
	v_accvgpr_read_b32 v24, a3
	v_or_b32_e32 v21, 3, v44
	v_max_f32_e32 v25, v24, v24
	v_max_f32_e32 v25, v18, v25
	v_cmp_gt_i32_e64 s[10:11], s7, v21
	v_cndmask_b32_e64 v18, v18, v25, s[10:11]
	;;#ASMSTART
	v_nop
 v_nop
 v_max_f32_dpp v18, v18, v18 row_ror:4
	;;#ASMEND
	;;#ASMSTART
	v_nop
 v_nop
 v_max_f32_dpp v18, v18, v18 row_ror:8
	;;#ASMEND
	ds_bpermute_b32 v18, v26, v18
	s_waitcnt lgkmcnt(0)
	;;#ASMSTART
	v_nop
 v_nop
 v_max_f32_dpp v18, v18, v18 row_ror:4
	;;#ASMEND
	;;#ASMSTART
	v_nop
 v_nop
 v_max_f32_dpp v25, v18, v18 row_ror:8
	;;#ASMEND
	v_sub_f32_e32 v18, v20, v25
	v_mul_f32_e32 v18, 0x3fb8aa3b, v18
	v_sub_f32_e32 v19, v23, v25
	v_exp_f32_e32 v18, v18
	v_mul_f32_e32 v19, 0x3fb8aa3b, v19
	v_sub_f32_e32 v21, v22, v25
	v_exp_f32_e32 v19, v19
	;; [unrolled: 3-line block ×3, first 2 shown]
	v_mul_f32_e32 v22, 0x3fb8aa3b, v22
	v_exp_f32_e32 v22, v22
	v_cndmask_b32_e32 v18, 0, v18, vcc
	v_add_f32_e32 v20, 0, v18
	v_cndmask_b32_e64 v19, 0, v19, s[2:3]
	v_add_f32_e32 v23, v20, v19
	v_cndmask_b32_e64 v20, 0, v21, s[4:5]
	v_add_f32_e32 v23, v23, v20
	v_cndmask_b32_e64 v21, 0, v22, s[10:11]
	v_add_f32_e32 v22, v23, v21
	;;#ASMSTART
	v_nop
 v_nop
 v_add_f32_dpp v22, v22, v22 row_ror:4
	;;#ASMEND
	;;#ASMSTART
	v_nop
 v_nop
 v_add_f32_dpp v22, v22, v22 row_ror:8
	;;#ASMEND
	ds_bpermute_b32 v22, v26, v22
	s_waitcnt lgkmcnt(0)
	;;#ASMSTART
	v_nop
 v_nop
 v_add_f32_dpp v22, v22, v22 row_ror:4
	;;#ASMEND
	v_cmp_gt_u32_e32 vcc, 4, v42
	;;#ASMSTART
	v_nop
 v_nop
 v_add_f32_dpp v22, v22, v22 row_ror:8
	;;#ASMEND
	s_and_saveexec_b64 s[2:3], vcc
	s_cbranch_execz .LBB695_400
; %bb.399:
	v_mul_u32_u24_e32 v23, 20, v1
	v_lshl_add_u32 v23, v43, 2, v23
	v_add_u32_e32 v23, 0x800, v23
	ds_write2_b32 v23, v25, v22 offset0:128 offset1:148
.LBB695_400:
	s_or_b64 exec, exec, s[2:3]
.LBB695_401:
	s_or_b64 exec, exec, s[36:37]
	s_waitcnt lgkmcnt(0)
	s_barrier
	s_load_dword s2, s[34:35], 0x8
	v_lshlrev_b32_e32 v22, 2, v43
	v_add_u32_e32 v24, 0x800, v22
	ds_read2_b32 v[22:23], v24 offset0:128 offset1:133
	ds_read2_b32 v[28:29], v24 offset0:138 offset1:143
	s_mul_i32 s3, s6, s33
	s_waitcnt lgkmcnt(0)
	s_mul_i32 s3, s3, s2
	s_lshl_b32 s2, s3, 1
	s_mov_b32 s3, 0xff7fffff
	v_max3_f32 v26, v22, s3, v23
	v_max3_f32 v26, v26, v28, v29
	v_sub_f32_e32 v22, v22, v26
	v_mul_f32_e32 v22, 0x3fb8aa3b, v22
	v_exp_f32_e32 v27, v22
	v_sub_f32_e32 v22, v23, v26
	ds_read2_b32 v[30:31], v24 offset0:148 offset1:153
	v_mul_f32_e32 v22, 0x3fb8aa3b, v22
	v_exp_f32_e32 v32, v22
	ds_read2_b32 v[22:23], v24 offset0:158 offset1:163
	v_sub_f32_e32 v24, v28, v26
	v_mul_f32_e32 v24, 0x3fb8aa3b, v24
	v_sub_f32_e32 v28, v29, v26
	v_exp_f32_e32 v24, v24
	v_mul_f32_e32 v28, 0x3fb8aa3b, v28
	v_exp_f32_e32 v28, v28
	s_waitcnt lgkmcnt(1)
	v_fma_f32 v27, v27, v30, 0
	v_fmac_f32_e32 v27, v32, v31
	s_waitcnt lgkmcnt(0)
	v_fmac_f32_e32 v27, v24, v22
	s_lshl_b32 s10, s8, 1
	v_fmac_f32_e32 v27, v28, v23
	v_cmp_gt_u32_e32 vcc, 2, v43
	s_and_saveexec_b64 s[4:5], vcc
	s_cbranch_execz .LBB695_403
; %bb.402:
	s_mov_b32 s3, 0
	s_lshl_b64 s[6:7], s[2:3], 2
	s_add_u32 s11, s16, s6
	s_mov_b32 s29, s3
	s_addc_u32 s12, s17, s7
	s_lshl_b64 s[8:9], s[28:29], 2
	s_add_u32 s3, s11, s8
	s_addc_u32 s11, s12, s9
	v_or_b32_e32 v22, s10, v43
	s_add_u32 s6, s18, s6
	v_mul_lo_u32 v22, s33, v22
	v_mov_b32_e32 v23, 0
	s_addc_u32 s7, s19, s7
	v_lshlrev_b64 v[22:23], 2, v[22:23]
	s_add_u32 s6, s6, s8
	v_mov_b32_e32 v24, s11
	v_add_co_u32_e32 v28, vcc, s3, v22
	s_addc_u32 s7, s7, s9
	v_addc_co_u32_e32 v29, vcc, v24, v23, vcc
	v_mov_b32_e32 v24, s7
	v_add_co_u32_e32 v22, vcc, s6, v22
	v_addc_co_u32_e32 v23, vcc, v24, v23, vcc
	global_store_dword v[22:23], v26, off
	global_store_dword v[28:29], v27, off
.LBB695_403:
	s_or_b64 exec, exec, s[4:5]
	v_mov_b32_e32 v23, 0
	v_mov_b32_e32 v22, 0
	s_and_saveexec_b64 s[4:5], s[0:1]
	s_cbranch_execz .LBB695_789
; %bb.404:
	v_mov_b32_e32 v28, 0
	s_waitcnt vmcnt(3)
	v_cmp_ne_u16_sdwa s[6:7], v14, v28 src0_sel:BYTE_0 src1_sel:DWORD
	v_mov_b32_e32 v29, 0
	s_and_saveexec_b64 s[0:1], s[6:7]
	s_cbranch_execz .LBB695_410
; %bb.405:
	s_movk_i32 s3, 0x80
	v_cmp_ne_u16_sdwa s[8:9], v14, s3 src0_sel:BYTE_0 src1_sel:DWORD
	v_mov_b32_e32 v29, 0xffff8000
	s_and_saveexec_b64 s[6:7], s[8:9]
	s_cbranch_execz .LBB695_409
; %bb.406:
	s_movk_i32 s3, 0x7f
	v_and_b32_e32 v22, 0x7f, v14
	v_cmp_ne_u32_e32 vcc, s3, v22
	v_mov_b32_e32 v29, 0x7f80
	s_and_saveexec_b64 s[8:9], vcc
	s_cbranch_execz .LBB695_408
; %bb.407:
	v_and_b32_e32 v23, 7, v14
	v_ffbh_u32_e32 v23, v23
	v_min_u32_e32 v23, 32, v23
	v_subrev_u32_e32 v29, 28, v23
	v_cmp_gt_u32_e32 vcc, 8, v22
	v_lshrrev_b32_e32 v24, 3, v22
	v_sub_u32_e32 v23, 29, v23
	v_cndmask_b32_e32 v22, 0, v29, vcc
	v_cndmask_b32_e32 v24, v24, v23, vcc
	v_lshlrev_b64 v[22:23], v22, v[14:15]
	v_lshlrev_b32_e32 v22, 20, v22
	v_lshlrev_b32_e32 v23, 24, v14
	v_bfrev_b32_e32 v29, 60
	v_and_b32_e32 v22, 0x700000, v22
	v_and_b32_e32 v23, 0x80000000, v23
	v_lshl_add_u32 v24, v24, 23, v29
	v_or3_b32 v22, v23, v24, v22
	v_lshrrev_b32_e32 v29, 16, v22
.LBB695_408:
	s_or_b64 exec, exec, s[8:9]
.LBB695_409:
	s_or_b64 exec, exec, s[6:7]
.LBB695_410:
	s_or_b64 exec, exec, s[0:1]
	v_lshrrev_b16_e32 v22, 8, v14
	v_cmp_ne_u16_e32 vcc, 0, v22
	s_and_saveexec_b64 s[0:1], vcc
	s_cbranch_execz .LBB695_416
; %bb.411:
	s_movk_i32 s3, 0x80
	v_cmp_ne_u16_e32 vcc, s3, v22
	v_mov_b32_e32 v28, 0xffff8000
	s_and_saveexec_b64 s[6:7], vcc
	s_cbranch_execz .LBB695_415
; %bb.412:
	s_movk_i32 s3, 0x7f
	v_and_b32_e32 v23, 0x7f, v22
	v_cmp_ne_u32_e32 vcc, s3, v23
	v_mov_b32_e32 v28, 0x7f80
	s_and_saveexec_b64 s[8:9], vcc
	s_cbranch_execz .LBB695_414
; %bb.413:
	v_and_b32_e32 v24, 7, v22
	v_ffbh_u32_e32 v30, v24
	v_min_u32_e32 v32, 32, v30
	v_subrev_u32_e32 v30, 28, v32
	v_lshlrev_b64 v[30:31], v30, v[22:23]
	v_lshrrev_b32_e32 v28, 3, v23
	v_sub_u32_e32 v22, 29, v32
	v_and_b32_e32 v30, 7, v30
	v_cmp_gt_u32_e32 vcc, 8, v23
	v_cndmask_b32_e32 v22, v28, v22, vcc
	v_cndmask_b32_e32 v23, v24, v30, vcc
	v_lshlrev_b32_e32 v24, 16, v14
	v_bfrev_b32_e32 v28, 60
	v_lshlrev_b32_e32 v23, 20, v23
	v_and_b32_e32 v24, 0x80000000, v24
	v_lshl_add_u32 v22, v22, 23, v28
	v_or3_b32 v22, v24, v22, v23
	v_lshrrev_b32_e32 v28, 16, v22
.LBB695_414:
	s_or_b64 exec, exec, s[8:9]
.LBB695_415:
	s_or_b64 exec, exec, s[6:7]
.LBB695_416:
	s_or_b64 exec, exec, s[0:1]
	s_movk_i32 s0, 0xff
	v_and_b32_sdwa v24, v14, s0 dst_sel:DWORD dst_unused:UNUSED_PAD src0_sel:WORD_1 src1_sel:DWORD
	v_lshrrev_b32_e32 v22, 16, v14
	v_cmp_ne_u16_e32 vcc, 0, v24
	v_mov_b32_e32 v23, 0
	v_mov_b32_e32 v30, 0
	s_and_saveexec_b64 s[0:1], vcc
	s_cbranch_execz .LBB695_422
; %bb.417:
	s_movk_i32 s3, 0x80
	v_cmp_ne_u16_e32 vcc, s3, v24
	v_mov_b32_e32 v30, 0xffff8000
	s_and_saveexec_b64 s[6:7], vcc
	s_cbranch_execz .LBB695_421
; %bb.418:
	v_bfe_u32 v24, v14, 16, 7
	s_movk_i32 s3, 0x7f
	v_cmp_ne_u32_e32 vcc, s3, v24
	v_mov_b32_e32 v30, 0x7f80
	s_and_saveexec_b64 s[8:9], vcc
	s_cbranch_execz .LBB695_420
; %bb.419:
	v_and_b32_e32 v32, 7, v22
	v_ffbh_u32_e32 v30, v32
	v_min_u32_e32 v34, 32, v30
	v_subrev_u32_e32 v30, 28, v34
	v_lshlrev_b64 v[30:31], v30, v[22:23]
	v_and_b32_e32 v30, 7, v30
	v_cmp_gt_u32_e32 vcc, 8, v24
	v_lshrrev_b32_e32 v33, 3, v24
	v_sub_u32_e32 v22, 29, v34
	v_cndmask_b32_e32 v24, v32, v30, vcc
	v_mov_b32_e32 v30, 24
	v_cndmask_b32_e32 v22, v33, v22, vcc
	v_lshlrev_b32_sdwa v30, v30, v14 dst_sel:DWORD dst_unused:UNUSED_PAD src0_sel:DWORD src1_sel:WORD_1
	v_bfrev_b32_e32 v31, 60
	v_lshlrev_b32_e32 v24, 20, v24
	v_and_b32_e32 v30, 0x80000000, v30
	v_lshl_add_u32 v22, v22, 23, v31
	v_or3_b32 v22, v30, v22, v24
	v_lshrrev_b32_e32 v30, 16, v22
.LBB695_420:
	s_or_b64 exec, exec, s[8:9]
.LBB695_421:
	s_or_b64 exec, exec, s[6:7]
.LBB695_422:
	s_or_b64 exec, exec, s[0:1]
	s_mov_b32 s0, 0xffffff
	v_cmp_lt_u32_e32 vcc, s0, v14
	v_mov_b32_e32 v31, 0
	s_and_saveexec_b64 s[0:1], vcc
	s_cbranch_execz .LBB695_428
; %bb.423:
	v_lshrrev_b32_e32 v22, 24, v14
	s_movk_i32 s3, 0x80
	v_cmp_ne_u32_e32 vcc, s3, v22
	v_mov_b32_e32 v31, 0xffff8000
	s_and_saveexec_b64 s[6:7], vcc
	s_cbranch_execz .LBB695_427
; %bb.424:
	v_bfe_u32 v24, v14, 24, 7
	s_movk_i32 s3, 0x7f
	v_cmp_ne_u32_e32 vcc, s3, v24
	v_mov_b32_e32 v31, 0x7f80
	s_and_saveexec_b64 s[8:9], vcc
	s_cbranch_execz .LBB695_426
; %bb.425:
	v_and_b32_e32 v31, 7, v22
	v_ffbh_u32_e32 v32, v31
	v_min_u32_e32 v35, 32, v32
	v_subrev_u32_e32 v32, 28, v35
	v_lshlrev_b64 v[32:33], v32, v[22:23]
	v_lshrrev_b32_e32 v34, 3, v24
	v_sub_u32_e32 v33, 29, v35
	v_and_b32_e32 v32, 7, v32
	v_cmp_gt_u32_e32 vcc, 8, v24
	v_cndmask_b32_e32 v24, v34, v33, vcc
	v_cndmask_b32_e32 v31, v31, v32, vcc
	v_lshlrev_b32_e32 v22, 24, v22
	v_bfrev_b32_e32 v32, 60
	v_lshlrev_b32_e32 v31, 20, v31
	v_and_b32_e32 v22, 0x80000000, v22
	v_lshl_add_u32 v24, v24, 23, v32
	v_or3_b32 v22, v22, v24, v31
	v_lshrrev_b32_e32 v31, 16, v22
.LBB695_426:
	s_or_b64 exec, exec, s[8:9]
.LBB695_427:
	s_or_b64 exec, exec, s[6:7]
.LBB695_428:
	s_or_b64 exec, exec, s[0:1]
	v_mov_b32_e32 v32, 0
	v_mov_b32_e32 v22, v15
	v_cmp_ne_u16_sdwa s[6:7], v15, v32 src0_sel:BYTE_0 src1_sel:DWORD
	v_mov_b32_e32 v33, 0
	s_and_saveexec_b64 s[0:1], s[6:7]
	s_cbranch_execz .LBB695_434
; %bb.429:
	s_movk_i32 s3, 0x80
	v_cmp_ne_u16_sdwa s[8:9], v15, s3 src0_sel:BYTE_0 src1_sel:DWORD
	v_mov_b32_e32 v33, 0xffff8000
	s_and_saveexec_b64 s[6:7], s[8:9]
	s_cbranch_execz .LBB695_433
; %bb.430:
	s_movk_i32 s3, 0x7f
	v_and_b32_e32 v24, 0x7f, v15
	v_cmp_ne_u32_e32 vcc, s3, v24
	v_mov_b32_e32 v33, 0x7f80
	s_and_saveexec_b64 s[8:9], vcc
	s_cbranch_execz .LBB695_432
; %bb.431:
	v_and_b32_e32 v33, 7, v15
	v_ffbh_u32_e32 v33, v33
	v_min_u32_e32 v33, 32, v33
	v_lshrrev_b32_e32 v34, 3, v24
	v_subrev_u32_e32 v35, 28, v33
	v_sub_u32_e32 v33, 29, v33
	v_cmp_gt_u32_e32 vcc, 8, v24
	v_cndmask_b32_e32 v24, v34, v33, vcc
	v_cndmask_b32_e32 v33, 0, v35, vcc
	v_lshlrev_b64 v[34:35], v33, v[22:23]
	v_lshlrev_b32_e32 v23, 20, v34
	v_lshlrev_b32_e32 v33, 24, v22
	v_bfrev_b32_e32 v34, 60
	v_and_b32_e32 v23, 0x700000, v23
	v_and_b32_e32 v33, 0x80000000, v33
	v_lshl_add_u32 v24, v24, 23, v34
	v_or3_b32 v23, v33, v24, v23
	v_lshrrev_b32_e32 v33, 16, v23
.LBB695_432:
	s_or_b64 exec, exec, s[8:9]
.LBB695_433:
	s_or_b64 exec, exec, s[6:7]
.LBB695_434:
	s_or_b64 exec, exec, s[0:1]
	v_lshrrev_b16_e32 v24, 8, v22
	v_cmp_ne_u16_e32 vcc, 0, v24
	s_and_saveexec_b64 s[0:1], vcc
	s_cbranch_execz .LBB695_440
; %bb.435:
	s_movk_i32 s3, 0x80
	v_cmp_ne_u16_e32 vcc, s3, v24
	v_mov_b32_e32 v32, 0xffff8000
	s_and_saveexec_b64 s[6:7], vcc
	s_cbranch_execz .LBB695_439
; %bb.436:
	s_movk_i32 s3, 0x7f
	v_and_b32_e32 v23, 0x7f, v24
	v_cmp_ne_u32_e32 vcc, s3, v23
	v_mov_b32_e32 v32, 0x7f80
	s_and_saveexec_b64 s[8:9], vcc
	s_cbranch_execz .LBB695_438
; %bb.437:
	v_and_b32_e32 v32, 7, v24
	v_ffbh_u32_e32 v34, v32
	v_min_u32_e32 v37, 32, v34
	v_subrev_u32_e32 v34, 28, v37
	v_lshlrev_b64 v[34:35], v34, v[24:25]
	v_lshrrev_b32_e32 v36, 3, v23
	v_sub_u32_e32 v24, 29, v37
	v_and_b32_e32 v34, 7, v34
	v_cmp_gt_u32_e32 vcc, 8, v23
	v_cndmask_b32_e32 v23, v36, v24, vcc
	v_cndmask_b32_e32 v24, v32, v34, vcc
	v_lshlrev_b32_e32 v22, 16, v22
	v_bfrev_b32_e32 v32, 60
	v_lshlrev_b32_e32 v24, 20, v24
	v_and_b32_e32 v22, 0x80000000, v22
	v_lshl_add_u32 v23, v23, 23, v32
	v_or3_b32 v22, v22, v23, v24
	v_lshrrev_b32_e32 v32, 16, v22
.LBB695_438:
	s_or_b64 exec, exec, s[8:9]
.LBB695_439:
	s_or_b64 exec, exec, s[6:7]
.LBB695_440:
	s_or_b64 exec, exec, s[0:1]
	s_movk_i32 s0, 0xff
	v_and_b32_sdwa v34, v15, s0 dst_sel:DWORD dst_unused:UNUSED_PAD src0_sel:WORD_1 src1_sel:DWORD
	v_lshrrev_b32_e32 v22, 16, v15
	v_cmp_ne_u16_e32 vcc, 0, v34
	v_mov_b32_e32 v23, 0
	v_mov_b32_e32 v24, 0
	s_and_saveexec_b64 s[0:1], vcc
	s_cbranch_execz .LBB695_446
; %bb.441:
	s_movk_i32 s3, 0x80
	v_cmp_ne_u16_e32 vcc, s3, v34
	v_mov_b32_e32 v24, 0xffff8000
	s_and_saveexec_b64 s[6:7], vcc
	s_cbranch_execz .LBB695_445
; %bb.442:
	v_bfe_u32 v34, v15, 16, 7
	s_movk_i32 s3, 0x7f
	v_cmp_ne_u32_e32 vcc, s3, v34
	v_mov_b32_e32 v24, 0x7f80
	s_and_saveexec_b64 s[8:9], vcc
	s_cbranch_execz .LBB695_444
; %bb.443:
	v_and_b32_e32 v24, 7, v22
	v_ffbh_u32_e32 v36, v24
	v_min_u32_e32 v38, 32, v36
	v_subrev_u32_e32 v36, 28, v38
	v_lshlrev_b64 v[36:37], v36, v[22:23]
	v_lshrrev_b32_e32 v35, 3, v34
	v_sub_u32_e32 v22, 29, v38
	v_and_b32_e32 v36, 7, v36
	v_cmp_gt_u32_e32 vcc, 8, v34
	v_mov_b32_e32 v34, 24
	v_cndmask_b32_e32 v22, v35, v22, vcc
	v_cndmask_b32_e32 v24, v24, v36, vcc
	v_lshlrev_b32_sdwa v34, v34, v15 dst_sel:DWORD dst_unused:UNUSED_PAD src0_sel:DWORD src1_sel:WORD_1
	v_bfrev_b32_e32 v35, 60
	v_lshlrev_b32_e32 v24, 20, v24
	v_and_b32_e32 v34, 0x80000000, v34
	v_lshl_add_u32 v22, v22, 23, v35
	v_or3_b32 v22, v34, v22, v24
	v_lshrrev_b32_e32 v24, 16, v22
.LBB695_444:
	s_or_b64 exec, exec, s[8:9]
.LBB695_445:
	s_or_b64 exec, exec, s[6:7]
.LBB695_446:
	s_or_b64 exec, exec, s[0:1]
	s_mov_b32 s0, -1
	s_mov_b32 s1, 0xffffff
	v_cmp_lt_u64_e32 vcc, s[0:1], v[14:15]
	s_and_saveexec_b64 s[0:1], vcc
	s_cbranch_execz .LBB695_452
; %bb.447:
	v_lshrrev_b32_e32 v14, 24, v15
	s_movk_i32 s3, 0x80
	v_cmp_ne_u32_e32 vcc, s3, v14
	v_mov_b32_e32 v23, 0xffff8000
	s_and_saveexec_b64 s[6:7], vcc
	s_cbranch_execz .LBB695_451
; %bb.448:
	v_bfe_u32 v15, v15, 24, 7
	s_movk_i32 s3, 0x7f
	v_cmp_ne_u32_e32 vcc, s3, v15
	v_mov_b32_e32 v23, 0x7f80
	s_and_saveexec_b64 s[8:9], vcc
	s_cbranch_execz .LBB695_450
; %bb.449:
	v_and_b32_e32 v34, 7, v14
	v_ffbh_u32_e32 v22, v34
	v_min_u32_e32 v36, 32, v22
	v_subrev_u32_e32 v22, 28, v36
	v_lshlrev_b64 v[22:23], v22, v[14:15]
	v_lshrrev_b32_e32 v35, 3, v15
	v_sub_u32_e32 v23, 29, v36
	v_and_b32_e32 v22, 7, v22
	v_cmp_gt_u32_e32 vcc, 8, v15
	v_cndmask_b32_e32 v15, v35, v23, vcc
	v_cndmask_b32_e32 v22, v34, v22, vcc
	v_lshlrev_b32_e32 v14, 24, v14
	v_bfrev_b32_e32 v23, 60
	v_lshlrev_b32_e32 v22, 20, v22
	v_and_b32_e32 v14, 0x80000000, v14
	v_lshl_add_u32 v15, v15, 23, v23
	v_or3_b32 v14, v14, v15, v22
	v_lshrrev_b32_e32 v23, 16, v14
.LBB695_450:
	s_or_b64 exec, exec, s[8:9]
.LBB695_451:
	s_or_b64 exec, exec, s[6:7]
.LBB695_452:
	s_or_b64 exec, exec, s[0:1]
	v_add_f32_e32 v14, 0x358637bd, v27
	v_div_scale_f32 v15, s[0:1], v14, v14, 1.0
	v_rcp_f32_e32 v22, v15
	v_div_scale_f32 v27, vcc, 1.0, v14, 1.0
	v_sub_f32_e32 v25, v25, v26
	v_fma_f32 v34, -v15, v22, 1.0
	v_fmac_f32_e32 v22, v34, v22
	v_mul_f32_e32 v34, v27, v22
	v_fma_f32 v35, -v15, v34, v27
	v_mul_f32_e32 v25, 0x3fb8aa3b, v25
	v_fmac_f32_e32 v34, v35, v22
	v_exp_f32_e32 v25, v25
	v_fma_f32 v15, -v15, v34, v27
	v_div_fmas_f32 v15, v15, v22, v34
	v_div_fixup_f32 v14, v15, v14, 1.0
	v_mul_f32_e32 v14, v25, v14
	v_pk_mul_f32 v[20:21], v[20:21], v[14:15] op_sel_hi:[1,0]
	v_pk_mul_f32 v[14:15], v[18:19], v[14:15] op_sel_hi:[1,0]
	v_bfe_u32 v18, v15, 16, 1
	v_bfe_u32 v19, v14, 16, 1
	s_movk_i32 s0, 0x7fff
	v_add3_u32 v14, v14, v19, s0
	v_add3_u32 v15, v15, v18, s0
	s_mov_b32 s1, 0x7060302
	v_perm_b32 v14, v15, v14, s1
	v_bfe_u32 v15, v21, 16, 1
	v_bfe_u32 v18, v20, 16, 1
	v_add3_u32 v18, v20, v18, s0
	v_add3_u32 v15, v21, v15, s0
	v_perm_b32 v15, v15, v18, s1
	s_mov_b32 s0, 0x5040100
	v_perm_b32 v19, v31, v30, s0
	v_perm_b32 v18, v28, v29, s0
	;; [unrolled: 1-line block ×4, first 2 shown]
	v_mfma_f32_4x4x4bf16_1k a[0:3], v[14:15], v[18:19], 0 cbsz:4
	v_mov_b32_e32 v21, 0
	v_mfma_f32_4x4x4bf16_1k a[0:3], v[14:15], v[22:23], a[0:3] cbsz:4 abid:1
	v_mov_b32_e32 v22, 0
	v_cmp_ne_u16_sdwa s[6:7], v16, v22 src0_sel:BYTE_0 src1_sel:DWORD
	s_and_saveexec_b64 s[0:1], s[6:7]
	s_cbranch_execz .LBB695_458
; %bb.453:
	s_movk_i32 s3, 0x80
	v_cmp_ne_u16_sdwa s[8:9], v16, s3 src0_sel:BYTE_0 src1_sel:DWORD
	v_mov_b32_e32 v21, 0xffff8000
	s_and_saveexec_b64 s[6:7], s[8:9]
	s_cbranch_execz .LBB695_457
; %bb.454:
	s_movk_i32 s3, 0x7f
	v_and_b32_e32 v18, 0x7f, v16
	v_cmp_ne_u32_e32 vcc, s3, v18
	v_mov_b32_e32 v21, 0x7f80
	s_and_saveexec_b64 s[8:9], vcc
	s_cbranch_execz .LBB695_456
; %bb.455:
	v_and_b32_e32 v19, 7, v16
	v_ffbh_u32_e32 v19, v19
	v_min_u32_e32 v19, 32, v19
	v_subrev_u32_e32 v21, 28, v19
	v_cmp_gt_u32_e32 vcc, 8, v18
	v_lshrrev_b32_e32 v20, 3, v18
	v_sub_u32_e32 v19, 29, v19
	v_cndmask_b32_e32 v18, 0, v21, vcc
	v_cndmask_b32_e32 v20, v20, v19, vcc
	v_lshlrev_b64 v[18:19], v18, v[16:17]
	v_lshlrev_b32_e32 v18, 20, v18
	v_lshlrev_b32_e32 v19, 24, v16
	v_bfrev_b32_e32 v21, 60
	v_and_b32_e32 v18, 0x700000, v18
	v_and_b32_e32 v19, 0x80000000, v19
	v_lshl_add_u32 v20, v20, 23, v21
	v_or3_b32 v18, v19, v20, v18
	v_lshrrev_b32_e32 v21, 16, v18
.LBB695_456:
	s_or_b64 exec, exec, s[8:9]
.LBB695_457:
	s_or_b64 exec, exec, s[6:7]
.LBB695_458:
	s_or_b64 exec, exec, s[0:1]
	v_lshrrev_b16_e32 v18, 8, v16
	v_cmp_ne_u16_e32 vcc, 0, v18
	s_and_saveexec_b64 s[0:1], vcc
	s_cbranch_execz .LBB695_464
; %bb.459:
	s_movk_i32 s3, 0x80
	v_cmp_ne_u16_e32 vcc, s3, v18
	v_mov_b32_e32 v22, 0xffff8000
	s_and_saveexec_b64 s[6:7], vcc
	s_cbranch_execz .LBB695_463
; %bb.460:
	s_movk_i32 s3, 0x7f
	v_and_b32_e32 v19, 0x7f, v18
	v_cmp_ne_u32_e32 vcc, s3, v19
	v_mov_b32_e32 v22, 0x7f80
	s_and_saveexec_b64 s[8:9], vcc
	s_cbranch_execz .LBB695_462
; %bb.461:
	v_and_b32_e32 v20, 7, v18
	v_ffbh_u32_e32 v22, v20
	v_min_u32_e32 v25, 32, v22
	v_subrev_u32_e32 v22, 28, v25
	v_lshlrev_b64 v[22:23], v22, v[18:19]
	v_lshrrev_b32_e32 v24, 3, v19
	v_sub_u32_e32 v18, 29, v25
	v_and_b32_e32 v22, 7, v22
	v_cmp_gt_u32_e32 vcc, 8, v19
	v_cndmask_b32_e32 v18, v24, v18, vcc
	v_cndmask_b32_e32 v19, v20, v22, vcc
	v_lshlrev_b32_e32 v20, 16, v16
	v_bfrev_b32_e32 v22, 60
	v_lshlrev_b32_e32 v19, 20, v19
	v_and_b32_e32 v20, 0x80000000, v20
	v_lshl_add_u32 v18, v18, 23, v22
	v_or3_b32 v18, v20, v18, v19
	v_lshrrev_b32_e32 v22, 16, v18
.LBB695_462:
	s_or_b64 exec, exec, s[8:9]
.LBB695_463:
	s_or_b64 exec, exec, s[6:7]
.LBB695_464:
	s_or_b64 exec, exec, s[0:1]
	s_movk_i32 s0, 0xff
	v_and_b32_sdwa v20, v16, s0 dst_sel:DWORD dst_unused:UNUSED_PAD src0_sel:WORD_1 src1_sel:DWORD
	v_lshrrev_b32_e32 v18, 16, v16
	v_cmp_ne_u16_e32 vcc, 0, v20
	v_mov_b32_e32 v19, 0
	v_mov_b32_e32 v23, 0
	s_and_saveexec_b64 s[0:1], vcc
	s_cbranch_execz .LBB695_470
; %bb.465:
	s_movk_i32 s3, 0x80
	v_cmp_ne_u16_e32 vcc, s3, v20
	v_mov_b32_e32 v23, 0xffff8000
	s_and_saveexec_b64 s[6:7], vcc
	s_cbranch_execz .LBB695_469
; %bb.466:
	v_bfe_u32 v20, v16, 16, 7
	s_movk_i32 s3, 0x7f
	v_cmp_ne_u32_e32 vcc, s3, v20
	v_mov_b32_e32 v23, 0x7f80
	s_and_saveexec_b64 s[8:9], vcc
	s_cbranch_execz .LBB695_468
; %bb.467:
	v_and_b32_e32 v23, 7, v18
	v_ffbh_u32_e32 v24, v23
	v_min_u32_e32 v27, 32, v24
	v_subrev_u32_e32 v24, 28, v27
	v_lshlrev_b64 v[24:25], v24, v[18:19]
	v_and_b32_e32 v24, 7, v24
	v_cmp_gt_u32_e32 vcc, 8, v20
	v_lshrrev_b32_e32 v26, 3, v20
	v_sub_u32_e32 v18, 29, v27
	v_cndmask_b32_e32 v20, v23, v24, vcc
	v_mov_b32_e32 v23, 24
	v_cndmask_b32_e32 v18, v26, v18, vcc
	v_lshlrev_b32_sdwa v23, v23, v16 dst_sel:DWORD dst_unused:UNUSED_PAD src0_sel:DWORD src1_sel:WORD_1
	v_bfrev_b32_e32 v24, 60
	v_lshlrev_b32_e32 v20, 20, v20
	v_and_b32_e32 v23, 0x80000000, v23
	v_lshl_add_u32 v18, v18, 23, v24
	v_or3_b32 v18, v23, v18, v20
	v_lshrrev_b32_e32 v23, 16, v18
.LBB695_468:
	s_or_b64 exec, exec, s[8:9]
.LBB695_469:
	s_or_b64 exec, exec, s[6:7]
.LBB695_470:
	s_or_b64 exec, exec, s[0:1]
	s_mov_b32 s0, 0xffffff
	v_cmp_lt_u32_e32 vcc, s0, v16
	v_mov_b32_e32 v24, 0
	s_and_saveexec_b64 s[0:1], vcc
	s_cbranch_execz .LBB695_476
; %bb.471:
	v_lshrrev_b32_e32 v18, 24, v16
	s_movk_i32 s3, 0x80
	v_cmp_ne_u32_e32 vcc, s3, v18
	v_mov_b32_e32 v24, 0xffff8000
	s_and_saveexec_b64 s[6:7], vcc
	s_cbranch_execz .LBB695_475
; %bb.472:
	v_bfe_u32 v20, v16, 24, 7
	s_movk_i32 s3, 0x7f
	v_cmp_ne_u32_e32 vcc, s3, v20
	v_mov_b32_e32 v24, 0x7f80
	s_and_saveexec_b64 s[8:9], vcc
	s_cbranch_execz .LBB695_474
; %bb.473:
	v_and_b32_e32 v26, 7, v18
	v_ffbh_u32_e32 v24, v26
	v_min_u32_e32 v28, 32, v24
	v_subrev_u32_e32 v24, 28, v28
	v_lshlrev_b64 v[24:25], v24, v[18:19]
	v_lshrrev_b32_e32 v27, 3, v20
	v_sub_u32_e32 v25, 29, v28
	v_and_b32_e32 v24, 7, v24
	v_cmp_gt_u32_e32 vcc, 8, v20
	v_cndmask_b32_e32 v20, v27, v25, vcc
	v_cndmask_b32_e32 v24, v26, v24, vcc
	v_lshlrev_b32_e32 v18, 24, v18
	v_bfrev_b32_e32 v25, 60
	v_lshlrev_b32_e32 v24, 20, v24
	v_and_b32_e32 v18, 0x80000000, v18
	v_lshl_add_u32 v20, v20, 23, v25
	v_or3_b32 v18, v18, v20, v24
	v_lshrrev_b32_e32 v24, 16, v18
.LBB695_474:
	s_or_b64 exec, exec, s[8:9]
.LBB695_475:
	s_or_b64 exec, exec, s[6:7]
.LBB695_476:
	s_or_b64 exec, exec, s[0:1]
	v_mov_b32_e32 v25, 0
	v_mov_b32_e32 v18, v17
	v_cmp_ne_u16_sdwa s[6:7], v17, v25 src0_sel:BYTE_0 src1_sel:DWORD
	v_mov_b32_e32 v26, 0
	s_and_saveexec_b64 s[0:1], s[6:7]
	s_cbranch_execz .LBB695_482
; %bb.477:
	s_movk_i32 s3, 0x80
	v_cmp_ne_u16_sdwa s[8:9], v17, s3 src0_sel:BYTE_0 src1_sel:DWORD
	v_mov_b32_e32 v26, 0xffff8000
	s_and_saveexec_b64 s[6:7], s[8:9]
	s_cbranch_execz .LBB695_481
; %bb.478:
	s_movk_i32 s3, 0x7f
	v_and_b32_e32 v20, 0x7f, v17
	v_cmp_ne_u32_e32 vcc, s3, v20
	v_mov_b32_e32 v26, 0x7f80
	s_and_saveexec_b64 s[8:9], vcc
	s_cbranch_execz .LBB695_480
; %bb.479:
	v_and_b32_e32 v26, 7, v17
	v_ffbh_u32_e32 v26, v26
	v_min_u32_e32 v26, 32, v26
	v_lshrrev_b32_e32 v27, 3, v20
	v_subrev_u32_e32 v28, 28, v26
	v_sub_u32_e32 v26, 29, v26
	v_cmp_gt_u32_e32 vcc, 8, v20
	v_cndmask_b32_e32 v20, v27, v26, vcc
	v_cndmask_b32_e32 v26, 0, v28, vcc
	v_lshlrev_b64 v[26:27], v26, v[18:19]
	v_lshlrev_b32_e32 v19, 20, v26
	v_lshlrev_b32_e32 v26, 24, v18
	v_bfrev_b32_e32 v27, 60
	v_and_b32_e32 v19, 0x700000, v19
	v_and_b32_e32 v26, 0x80000000, v26
	v_lshl_add_u32 v20, v20, 23, v27
	v_or3_b32 v19, v26, v20, v19
	v_lshrrev_b32_e32 v26, 16, v19
.LBB695_480:
	s_or_b64 exec, exec, s[8:9]
.LBB695_481:
	s_or_b64 exec, exec, s[6:7]
.LBB695_482:
	s_or_b64 exec, exec, s[0:1]
	v_lshrrev_b16_e32 v20, 8, v18
	v_cmp_ne_u16_e32 vcc, 0, v20
	s_and_saveexec_b64 s[0:1], vcc
	s_cbranch_execz .LBB695_488
; %bb.483:
	s_movk_i32 s3, 0x80
	v_cmp_ne_u16_e32 vcc, s3, v20
	v_mov_b32_e32 v25, 0xffff8000
	s_and_saveexec_b64 s[6:7], vcc
	s_cbranch_execz .LBB695_487
; %bb.484:
	s_movk_i32 s3, 0x7f
	v_and_b32_e32 v19, 0x7f, v20
	v_cmp_ne_u32_e32 vcc, s3, v19
	v_mov_b32_e32 v25, 0x7f80
	s_and_saveexec_b64 s[8:9], vcc
	s_cbranch_execz .LBB695_486
; %bb.485:
	v_and_b32_e32 v25, 7, v20
	v_ffbh_u32_e32 v28, v25
	v_min_u32_e32 v30, 32, v28
	v_subrev_u32_e32 v28, 28, v30
	v_lshlrev_b64 v[28:29], v28, v[20:21]
	v_lshrrev_b32_e32 v27, 3, v19
	v_sub_u32_e32 v20, 29, v30
	v_and_b32_e32 v28, 7, v28
	v_cmp_gt_u32_e32 vcc, 8, v19
	v_cndmask_b32_e32 v19, v27, v20, vcc
	v_cndmask_b32_e32 v20, v25, v28, vcc
	v_lshlrev_b32_e32 v18, 16, v18
	v_bfrev_b32_e32 v25, 60
	v_lshlrev_b32_e32 v20, 20, v20
	v_and_b32_e32 v18, 0x80000000, v18
	v_lshl_add_u32 v19, v19, 23, v25
	v_or3_b32 v18, v18, v19, v20
	v_lshrrev_b32_e32 v25, 16, v18
.LBB695_486:
	s_or_b64 exec, exec, s[8:9]
.LBB695_487:
	s_or_b64 exec, exec, s[6:7]
.LBB695_488:
	s_or_b64 exec, exec, s[0:1]
	s_movk_i32 s0, 0xff
	v_and_b32_sdwa v27, v17, s0 dst_sel:DWORD dst_unused:UNUSED_PAD src0_sel:WORD_1 src1_sel:DWORD
	v_lshrrev_b32_e32 v18, 16, v17
	v_cmp_ne_u16_e32 vcc, 0, v27
	v_mov_b32_e32 v19, 0
	v_mov_b32_e32 v20, 0
	s_and_saveexec_b64 s[0:1], vcc
	s_cbranch_execz .LBB695_494
; %bb.489:
	s_movk_i32 s3, 0x80
	v_cmp_ne_u16_e32 vcc, s3, v27
	v_mov_b32_e32 v20, 0xffff8000
	s_and_saveexec_b64 s[6:7], vcc
	s_cbranch_execz .LBB695_493
; %bb.490:
	v_bfe_u32 v27, v17, 16, 7
	s_movk_i32 s3, 0x7f
	v_cmp_ne_u32_e32 vcc, s3, v27
	v_mov_b32_e32 v20, 0x7f80
	s_and_saveexec_b64 s[8:9], vcc
	s_cbranch_execz .LBB695_492
; %bb.491:
	v_and_b32_e32 v20, 7, v18
	v_ffbh_u32_e32 v28, v20
	v_min_u32_e32 v31, 32, v28
	v_subrev_u32_e32 v28, 28, v31
	v_lshlrev_b64 v[28:29], v28, v[18:19]
	v_lshrrev_b32_e32 v30, 3, v27
	v_sub_u32_e32 v18, 29, v31
	v_and_b32_e32 v28, 7, v28
	v_cmp_gt_u32_e32 vcc, 8, v27
	v_mov_b32_e32 v27, 24
	v_cndmask_b32_e32 v18, v30, v18, vcc
	v_cndmask_b32_e32 v20, v20, v28, vcc
	v_lshlrev_b32_sdwa v27, v27, v17 dst_sel:DWORD dst_unused:UNUSED_PAD src0_sel:DWORD src1_sel:WORD_1
	v_bfrev_b32_e32 v28, 60
	v_lshlrev_b32_e32 v20, 20, v20
	v_and_b32_e32 v27, 0x80000000, v27
	v_lshl_add_u32 v18, v18, 23, v28
	v_or3_b32 v18, v27, v18, v20
	v_lshrrev_b32_e32 v20, 16, v18
.LBB695_492:
	s_or_b64 exec, exec, s[8:9]
.LBB695_493:
	s_or_b64 exec, exec, s[6:7]
.LBB695_494:
	s_or_b64 exec, exec, s[0:1]
	s_mov_b32 s0, -1
	s_mov_b32 s1, 0xffffff
	v_cmp_lt_u64_e32 vcc, s[0:1], v[16:17]
	s_and_saveexec_b64 s[0:1], vcc
	s_cbranch_execz .LBB695_500
; %bb.495:
	v_lshrrev_b32_e32 v16, 24, v17
	s_movk_i32 s3, 0x80
	v_cmp_ne_u32_e32 vcc, s3, v16
	v_mov_b32_e32 v19, 0xffff8000
	s_and_saveexec_b64 s[6:7], vcc
	s_cbranch_execz .LBB695_499
; %bb.496:
	v_bfe_u32 v17, v17, 24, 7
	s_movk_i32 s3, 0x7f
	v_cmp_ne_u32_e32 vcc, s3, v17
	v_mov_b32_e32 v19, 0x7f80
	s_and_saveexec_b64 s[8:9], vcc
	s_cbranch_execz .LBB695_498
; %bb.497:
	v_and_b32_e32 v27, 7, v16
	v_ffbh_u32_e32 v18, v27
	v_min_u32_e32 v29, 32, v18
	v_subrev_u32_e32 v18, 28, v29
	v_lshlrev_b64 v[18:19], v18, v[16:17]
	v_lshrrev_b32_e32 v28, 3, v17
	v_sub_u32_e32 v19, 29, v29
	v_and_b32_e32 v18, 7, v18
	v_cmp_gt_u32_e32 vcc, 8, v17
	v_cndmask_b32_e32 v17, v28, v19, vcc
	v_cndmask_b32_e32 v18, v27, v18, vcc
	v_lshlrev_b32_e32 v16, 24, v16
	v_bfrev_b32_e32 v19, 60
	v_lshlrev_b32_e32 v18, 20, v18
	v_and_b32_e32 v16, 0x80000000, v16
	v_lshl_add_u32 v17, v17, 23, v19
	v_or3_b32 v16, v16, v17, v18
	v_lshrrev_b32_e32 v19, 16, v16
.LBB695_498:
	s_or_b64 exec, exec, s[8:9]
.LBB695_499:
	s_or_b64 exec, exec, s[6:7]
.LBB695_500:
	s_or_b64 exec, exec, s[0:1]
	s_mov_b32 s0, 0x5040100
	v_perm_b32 v17, v24, v23, s0
	v_perm_b32 v16, v22, v21, s0
	v_perm_b32 v19, v19, v20, s0
	v_perm_b32 v18, v25, v26, s0
	v_mfma_f32_4x4x4bf16_1k a[0:3], v[14:15], v[16:17], a[0:3] cbsz:4 abid:2
	v_mov_b32_e32 v20, 0
	v_mfma_f32_4x4x4bf16_1k a[0:3], v[14:15], v[18:19], a[0:3] cbsz:4 abid:3
	v_mov_b32_e32 v19, 0
	s_waitcnt vmcnt(2)
	v_cmp_ne_u16_sdwa s[6:7], v10, v19 src0_sel:BYTE_0 src1_sel:DWORD
	s_and_saveexec_b64 s[0:1], s[6:7]
	s_cbranch_execz .LBB695_506
; %bb.501:
	s_movk_i32 s3, 0x80
	v_cmp_ne_u16_sdwa s[8:9], v10, s3 src0_sel:BYTE_0 src1_sel:DWORD
	v_mov_b32_e32 v20, 0xffff8000
	s_and_saveexec_b64 s[6:7], s[8:9]
	s_cbranch_execz .LBB695_505
; %bb.502:
	s_movk_i32 s3, 0x7f
	v_and_b32_e32 v16, 0x7f, v10
	v_cmp_ne_u32_e32 vcc, s3, v16
	v_mov_b32_e32 v20, 0x7f80
	s_and_saveexec_b64 s[8:9], vcc
	s_cbranch_execz .LBB695_504
; %bb.503:
	v_and_b32_e32 v17, 7, v10
	v_ffbh_u32_e32 v17, v17
	v_min_u32_e32 v17, 32, v17
	v_subrev_u32_e32 v20, 28, v17
	v_cmp_gt_u32_e32 vcc, 8, v16
	v_lshrrev_b32_e32 v18, 3, v16
	v_sub_u32_e32 v17, 29, v17
	v_cndmask_b32_e32 v16, 0, v20, vcc
	v_cndmask_b32_e32 v18, v18, v17, vcc
	v_lshlrev_b64 v[16:17], v16, v[10:11]
	v_lshlrev_b32_e32 v16, 20, v16
	v_lshlrev_b32_e32 v17, 24, v10
	v_bfrev_b32_e32 v20, 60
	v_and_b32_e32 v16, 0x700000, v16
	v_and_b32_e32 v17, 0x80000000, v17
	v_lshl_add_u32 v18, v18, 23, v20
	v_or3_b32 v16, v17, v18, v16
	v_lshrrev_b32_e32 v20, 16, v16
.LBB695_504:
	s_or_b64 exec, exec, s[8:9]
.LBB695_505:
	s_or_b64 exec, exec, s[6:7]
.LBB695_506:
	s_or_b64 exec, exec, s[0:1]
	v_lshrrev_b16_e32 v16, 8, v10
	v_cmp_ne_u16_e32 vcc, 0, v16
	s_and_saveexec_b64 s[0:1], vcc
	s_cbranch_execz .LBB695_512
; %bb.507:
	s_movk_i32 s3, 0x80
	v_cmp_ne_u16_e32 vcc, s3, v16
	v_mov_b32_e32 v19, 0xffff8000
	s_and_saveexec_b64 s[6:7], vcc
	s_cbranch_execz .LBB695_511
; %bb.508:
	s_movk_i32 s3, 0x7f
	v_and_b32_e32 v17, 0x7f, v16
	v_cmp_ne_u32_e32 vcc, s3, v17
	v_mov_b32_e32 v19, 0x7f80
	s_and_saveexec_b64 s[8:9], vcc
	s_cbranch_execz .LBB695_510
; %bb.509:
	v_and_b32_e32 v21, 7, v16
	v_ffbh_u32_e32 v18, v21
	v_min_u32_e32 v23, 32, v18
	v_subrev_u32_e32 v18, 28, v23
	v_lshlrev_b64 v[18:19], v18, v[16:17]
	v_lshrrev_b32_e32 v22, 3, v17
	v_sub_u32_e32 v16, 29, v23
	v_and_b32_e32 v18, 7, v18
	v_cmp_gt_u32_e32 vcc, 8, v17
	v_cndmask_b32_e32 v16, v22, v16, vcc
	v_cndmask_b32_e32 v17, v21, v18, vcc
	v_lshlrev_b32_e32 v18, 16, v10
	v_bfrev_b32_e32 v19, 60
	v_lshlrev_b32_e32 v17, 20, v17
	v_and_b32_e32 v18, 0x80000000, v18
	v_lshl_add_u32 v16, v16, 23, v19
	v_or3_b32 v16, v18, v16, v17
	v_lshrrev_b32_e32 v19, 16, v16
.LBB695_510:
	s_or_b64 exec, exec, s[8:9]
.LBB695_511:
	s_or_b64 exec, exec, s[6:7]
.LBB695_512:
	s_or_b64 exec, exec, s[0:1]
	s_movk_i32 s0, 0xff
	v_and_b32_sdwa v18, v10, s0 dst_sel:DWORD dst_unused:UNUSED_PAD src0_sel:WORD_1 src1_sel:DWORD
	v_lshrrev_b32_e32 v16, 16, v10
	v_cmp_ne_u16_e32 vcc, 0, v18
	v_mov_b32_e32 v17, 0
	v_mov_b32_e32 v21, 0
	s_and_saveexec_b64 s[0:1], vcc
	s_cbranch_execz .LBB695_518
; %bb.513:
	s_movk_i32 s3, 0x80
	v_cmp_ne_u16_e32 vcc, s3, v18
	v_mov_b32_e32 v21, 0xffff8000
	s_and_saveexec_b64 s[6:7], vcc
	s_cbranch_execz .LBB695_517
; %bb.514:
	v_bfe_u32 v18, v10, 16, 7
	s_movk_i32 s3, 0x7f
	v_cmp_ne_u32_e32 vcc, s3, v18
	v_mov_b32_e32 v21, 0x7f80
	s_and_saveexec_b64 s[8:9], vcc
	s_cbranch_execz .LBB695_516
; %bb.515:
	v_and_b32_e32 v21, 7, v16
	v_ffbh_u32_e32 v22, v21
	v_min_u32_e32 v25, 32, v22
	v_subrev_u32_e32 v22, 28, v25
	v_lshlrev_b64 v[22:23], v22, v[16:17]
	v_and_b32_e32 v22, 7, v22
	v_cmp_gt_u32_e32 vcc, 8, v18
	v_lshrrev_b32_e32 v24, 3, v18
	v_sub_u32_e32 v16, 29, v25
	v_cndmask_b32_e32 v18, v21, v22, vcc
	v_mov_b32_e32 v21, 24
	v_cndmask_b32_e32 v16, v24, v16, vcc
	v_lshlrev_b32_sdwa v21, v21, v10 dst_sel:DWORD dst_unused:UNUSED_PAD src0_sel:DWORD src1_sel:WORD_1
	v_bfrev_b32_e32 v22, 60
	v_lshlrev_b32_e32 v18, 20, v18
	v_and_b32_e32 v21, 0x80000000, v21
	v_lshl_add_u32 v16, v16, 23, v22
	v_or3_b32 v16, v21, v16, v18
	v_lshrrev_b32_e32 v21, 16, v16
.LBB695_516:
	s_or_b64 exec, exec, s[8:9]
.LBB695_517:
	s_or_b64 exec, exec, s[6:7]
.LBB695_518:
	s_or_b64 exec, exec, s[0:1]
	s_mov_b32 s0, 0xffffff
	v_cmp_lt_u32_e32 vcc, s0, v10
	v_mov_b32_e32 v22, 0
	s_and_saveexec_b64 s[0:1], vcc
	s_cbranch_execz .LBB695_524
; %bb.519:
	v_lshrrev_b32_e32 v16, 24, v10
	s_movk_i32 s3, 0x80
	v_cmp_ne_u32_e32 vcc, s3, v16
	v_mov_b32_e32 v22, 0xffff8000
	s_and_saveexec_b64 s[6:7], vcc
	s_cbranch_execz .LBB695_523
; %bb.520:
	v_bfe_u32 v18, v10, 24, 7
	s_movk_i32 s3, 0x7f
	v_cmp_ne_u32_e32 vcc, s3, v18
	v_mov_b32_e32 v22, 0x7f80
	s_and_saveexec_b64 s[8:9], vcc
	s_cbranch_execz .LBB695_522
; %bb.521:
	v_and_b32_e32 v24, 7, v16
	v_ffbh_u32_e32 v22, v24
	v_min_u32_e32 v26, 32, v22
	v_subrev_u32_e32 v22, 28, v26
	v_lshlrev_b64 v[22:23], v22, v[16:17]
	v_lshrrev_b32_e32 v25, 3, v18
	v_sub_u32_e32 v23, 29, v26
	v_and_b32_e32 v22, 7, v22
	v_cmp_gt_u32_e32 vcc, 8, v18
	v_cndmask_b32_e32 v18, v25, v23, vcc
	v_cndmask_b32_e32 v22, v24, v22, vcc
	v_lshlrev_b32_e32 v16, 24, v16
	v_bfrev_b32_e32 v23, 60
	v_lshlrev_b32_e32 v22, 20, v22
	v_and_b32_e32 v16, 0x80000000, v16
	v_lshl_add_u32 v18, v18, 23, v23
	v_or3_b32 v16, v16, v18, v22
	v_lshrrev_b32_e32 v22, 16, v16
.LBB695_522:
	s_or_b64 exec, exec, s[8:9]
.LBB695_523:
	s_or_b64 exec, exec, s[6:7]
.LBB695_524:
	s_or_b64 exec, exec, s[0:1]
	v_mov_b32_e32 v23, 0
	v_mov_b32_e32 v16, v11
	v_cmp_ne_u16_sdwa s[6:7], v11, v23 src0_sel:BYTE_0 src1_sel:DWORD
	v_mov_b32_e32 v24, 0
	s_and_saveexec_b64 s[0:1], s[6:7]
	s_cbranch_execz .LBB695_530
; %bb.525:
	s_movk_i32 s3, 0x80
	v_cmp_ne_u16_sdwa s[8:9], v11, s3 src0_sel:BYTE_0 src1_sel:DWORD
	v_mov_b32_e32 v24, 0xffff8000
	s_and_saveexec_b64 s[6:7], s[8:9]
	s_cbranch_execz .LBB695_529
; %bb.526:
	s_movk_i32 s3, 0x7f
	v_and_b32_e32 v18, 0x7f, v11
	v_cmp_ne_u32_e32 vcc, s3, v18
	v_mov_b32_e32 v24, 0x7f80
	s_and_saveexec_b64 s[8:9], vcc
	s_cbranch_execz .LBB695_528
; %bb.527:
	v_and_b32_e32 v24, 7, v11
	v_ffbh_u32_e32 v24, v24
	v_min_u32_e32 v24, 32, v24
	v_lshrrev_b32_e32 v25, 3, v18
	v_subrev_u32_e32 v26, 28, v24
	v_sub_u32_e32 v24, 29, v24
	v_cmp_gt_u32_e32 vcc, 8, v18
	v_cndmask_b32_e32 v18, v25, v24, vcc
	v_cndmask_b32_e32 v24, 0, v26, vcc
	v_lshlrev_b64 v[24:25], v24, v[16:17]
	v_lshlrev_b32_e32 v17, 20, v24
	v_lshlrev_b32_e32 v24, 24, v16
	v_bfrev_b32_e32 v25, 60
	v_and_b32_e32 v17, 0x700000, v17
	v_and_b32_e32 v24, 0x80000000, v24
	v_lshl_add_u32 v18, v18, 23, v25
	v_or3_b32 v17, v24, v18, v17
	v_lshrrev_b32_e32 v24, 16, v17
.LBB695_528:
	s_or_b64 exec, exec, s[8:9]
.LBB695_529:
	s_or_b64 exec, exec, s[6:7]
.LBB695_530:
	s_or_b64 exec, exec, s[0:1]
	v_lshrrev_b16_e32 v18, 8, v16
	v_cmp_ne_u16_e32 vcc, 0, v18
	s_and_saveexec_b64 s[0:1], vcc
	s_cbranch_execz .LBB695_536
; %bb.531:
	s_movk_i32 s3, 0x80
	v_cmp_ne_u16_e32 vcc, s3, v18
	v_mov_b32_e32 v23, 0xffff8000
	s_and_saveexec_b64 s[6:7], vcc
	s_cbranch_execz .LBB695_535
; %bb.532:
	s_movk_i32 s3, 0x7f
	v_and_b32_e32 v17, 0x7f, v18
	v_cmp_ne_u32_e32 vcc, s3, v17
	v_mov_b32_e32 v23, 0x7f80
	s_and_saveexec_b64 s[8:9], vcc
	s_cbranch_execz .LBB695_534
; %bb.533:
	v_and_b32_e32 v23, 7, v18
	v_ffbh_u32_e32 v26, v23
	v_min_u32_e32 v28, 32, v26
	v_subrev_u32_e32 v26, 28, v28
	v_lshlrev_b64 v[26:27], v26, v[18:19]
	v_lshrrev_b32_e32 v25, 3, v17
	v_sub_u32_e32 v18, 29, v28
	v_and_b32_e32 v26, 7, v26
	v_cmp_gt_u32_e32 vcc, 8, v17
	v_cndmask_b32_e32 v17, v25, v18, vcc
	v_cndmask_b32_e32 v18, v23, v26, vcc
	v_lshlrev_b32_e32 v16, 16, v16
	v_bfrev_b32_e32 v23, 60
	v_lshlrev_b32_e32 v18, 20, v18
	v_and_b32_e32 v16, 0x80000000, v16
	v_lshl_add_u32 v17, v17, 23, v23
	v_or3_b32 v16, v16, v17, v18
	v_lshrrev_b32_e32 v23, 16, v16
.LBB695_534:
	s_or_b64 exec, exec, s[8:9]
.LBB695_535:
	s_or_b64 exec, exec, s[6:7]
.LBB695_536:
	s_or_b64 exec, exec, s[0:1]
	s_movk_i32 s0, 0xff
	v_and_b32_sdwa v25, v11, s0 dst_sel:DWORD dst_unused:UNUSED_PAD src0_sel:WORD_1 src1_sel:DWORD
	v_lshrrev_b32_e32 v16, 16, v11
	v_cmp_ne_u16_e32 vcc, 0, v25
	v_mov_b32_e32 v17, 0
	v_mov_b32_e32 v18, 0
	s_and_saveexec_b64 s[0:1], vcc
	s_cbranch_execz .LBB695_542
; %bb.537:
	s_movk_i32 s3, 0x80
	v_cmp_ne_u16_e32 vcc, s3, v25
	v_mov_b32_e32 v18, 0xffff8000
	s_and_saveexec_b64 s[6:7], vcc
	s_cbranch_execz .LBB695_541
; %bb.538:
	v_bfe_u32 v25, v11, 16, 7
	s_movk_i32 s3, 0x7f
	v_cmp_ne_u32_e32 vcc, s3, v25
	v_mov_b32_e32 v18, 0x7f80
	s_and_saveexec_b64 s[8:9], vcc
	s_cbranch_execz .LBB695_540
; %bb.539:
	v_and_b32_e32 v18, 7, v16
	v_ffbh_u32_e32 v26, v18
	v_min_u32_e32 v29, 32, v26
	v_subrev_u32_e32 v26, 28, v29
	v_lshlrev_b64 v[26:27], v26, v[16:17]
	v_lshrrev_b32_e32 v28, 3, v25
	v_sub_u32_e32 v16, 29, v29
	v_and_b32_e32 v26, 7, v26
	v_cmp_gt_u32_e32 vcc, 8, v25
	v_mov_b32_e32 v25, 24
	v_cndmask_b32_e32 v16, v28, v16, vcc
	v_cndmask_b32_e32 v18, v18, v26, vcc
	v_lshlrev_b32_sdwa v25, v25, v11 dst_sel:DWORD dst_unused:UNUSED_PAD src0_sel:DWORD src1_sel:WORD_1
	v_bfrev_b32_e32 v26, 60
	v_lshlrev_b32_e32 v18, 20, v18
	v_and_b32_e32 v25, 0x80000000, v25
	v_lshl_add_u32 v16, v16, 23, v26
	v_or3_b32 v16, v25, v16, v18
	v_lshrrev_b32_e32 v18, 16, v16
.LBB695_540:
	s_or_b64 exec, exec, s[8:9]
.LBB695_541:
	s_or_b64 exec, exec, s[6:7]
.LBB695_542:
	s_or_b64 exec, exec, s[0:1]
	s_mov_b32 s0, -1
	s_mov_b32 s1, 0xffffff
	v_cmp_lt_u64_e32 vcc, s[0:1], v[10:11]
	s_and_saveexec_b64 s[0:1], vcc
	s_cbranch_execz .LBB695_548
; %bb.543:
	v_lshrrev_b32_e32 v10, 24, v11
	s_movk_i32 s3, 0x80
	v_cmp_ne_u32_e32 vcc, s3, v10
	v_mov_b32_e32 v17, 0xffff8000
	s_and_saveexec_b64 s[6:7], vcc
	s_cbranch_execz .LBB695_547
; %bb.544:
	v_bfe_u32 v11, v11, 24, 7
	s_movk_i32 s3, 0x7f
	v_cmp_ne_u32_e32 vcc, s3, v11
	v_mov_b32_e32 v17, 0x7f80
	s_and_saveexec_b64 s[8:9], vcc
	s_cbranch_execz .LBB695_546
; %bb.545:
	v_and_b32_e32 v25, 7, v10
	v_ffbh_u32_e32 v16, v25
	v_min_u32_e32 v27, 32, v16
	v_subrev_u32_e32 v16, 28, v27
	v_lshlrev_b64 v[16:17], v16, v[10:11]
	v_lshrrev_b32_e32 v26, 3, v11
	v_sub_u32_e32 v17, 29, v27
	v_and_b32_e32 v16, 7, v16
	v_cmp_gt_u32_e32 vcc, 8, v11
	v_cndmask_b32_e32 v11, v26, v17, vcc
	v_cndmask_b32_e32 v16, v25, v16, vcc
	v_lshlrev_b32_e32 v10, 24, v10
	v_bfrev_b32_e32 v17, 60
	v_lshlrev_b32_e32 v16, 20, v16
	v_and_b32_e32 v10, 0x80000000, v10
	v_lshl_add_u32 v11, v11, 23, v17
	v_or3_b32 v10, v10, v11, v16
	v_lshrrev_b32_e32 v17, 16, v10
.LBB695_546:
	s_or_b64 exec, exec, s[8:9]
.LBB695_547:
	s_or_b64 exec, exec, s[6:7]
.LBB695_548:
	s_or_b64 exec, exec, s[0:1]
	s_mov_b32 s0, 0x5040100
	v_perm_b32 v11, v22, v21, s0
	v_perm_b32 v10, v19, v20, s0
	;; [unrolled: 1-line block ×4, first 2 shown]
	v_mfma_f32_4x4x4bf16_1k a[0:3], v[14:15], v[10:11], a[0:3] cbsz:4 abid:4
	v_mov_b32_e32 v18, 0
	v_mfma_f32_4x4x4bf16_1k a[0:3], v[14:15], v[16:17], a[0:3] cbsz:4 abid:5
	v_mov_b32_e32 v17, 0
	v_cmp_ne_u16_sdwa s[6:7], v12, v17 src0_sel:BYTE_0 src1_sel:DWORD
	s_and_saveexec_b64 s[0:1], s[6:7]
	s_cbranch_execz .LBB695_554
; %bb.549:
	s_movk_i32 s3, 0x80
	v_cmp_ne_u16_sdwa s[8:9], v12, s3 src0_sel:BYTE_0 src1_sel:DWORD
	v_mov_b32_e32 v18, 0xffff8000
	s_and_saveexec_b64 s[6:7], s[8:9]
	s_cbranch_execz .LBB695_553
; %bb.550:
	s_movk_i32 s3, 0x7f
	v_and_b32_e32 v10, 0x7f, v12
	v_cmp_ne_u32_e32 vcc, s3, v10
	v_mov_b32_e32 v18, 0x7f80
	s_and_saveexec_b64 s[8:9], vcc
	s_cbranch_execz .LBB695_552
; %bb.551:
	v_and_b32_e32 v11, 7, v12
	v_ffbh_u32_e32 v11, v11
	v_min_u32_e32 v11, 32, v11
	v_subrev_u32_e32 v18, 28, v11
	v_cmp_gt_u32_e32 vcc, 8, v10
	v_lshrrev_b32_e32 v16, 3, v10
	v_sub_u32_e32 v11, 29, v11
	v_cndmask_b32_e32 v10, 0, v18, vcc
	v_cndmask_b32_e32 v16, v16, v11, vcc
	v_lshlrev_b64 v[10:11], v10, v[12:13]
	v_lshlrev_b32_e32 v10, 20, v10
	v_lshlrev_b32_e32 v11, 24, v12
	v_bfrev_b32_e32 v18, 60
	v_and_b32_e32 v10, 0x700000, v10
	v_and_b32_e32 v11, 0x80000000, v11
	v_lshl_add_u32 v16, v16, 23, v18
	v_or3_b32 v10, v11, v16, v10
	v_lshrrev_b32_e32 v18, 16, v10
.LBB695_552:
	s_or_b64 exec, exec, s[8:9]
.LBB695_553:
	s_or_b64 exec, exec, s[6:7]
.LBB695_554:
	s_or_b64 exec, exec, s[0:1]
	v_lshrrev_b16_e32 v10, 8, v12
	v_cmp_ne_u16_e32 vcc, 0, v10
	s_and_saveexec_b64 s[0:1], vcc
	s_cbranch_execz .LBB695_560
; %bb.555:
	s_movk_i32 s3, 0x80
	v_cmp_ne_u16_e32 vcc, s3, v10
	v_mov_b32_e32 v17, 0xffff8000
	s_and_saveexec_b64 s[6:7], vcc
	s_cbranch_execz .LBB695_559
; %bb.556:
	s_movk_i32 s3, 0x7f
	v_and_b32_e32 v11, 0x7f, v10
	v_cmp_ne_u32_e32 vcc, s3, v11
	v_mov_b32_e32 v17, 0x7f80
	s_and_saveexec_b64 s[8:9], vcc
	s_cbranch_execz .LBB695_558
; %bb.557:
	v_and_b32_e32 v19, 7, v10
	v_ffbh_u32_e32 v16, v19
	v_min_u32_e32 v21, 32, v16
	v_subrev_u32_e32 v16, 28, v21
	v_lshlrev_b64 v[16:17], v16, v[10:11]
	v_lshrrev_b32_e32 v20, 3, v11
	v_sub_u32_e32 v10, 29, v21
	v_and_b32_e32 v16, 7, v16
	v_cmp_gt_u32_e32 vcc, 8, v11
	v_cndmask_b32_e32 v10, v20, v10, vcc
	v_cndmask_b32_e32 v11, v19, v16, vcc
	v_lshlrev_b32_e32 v16, 16, v12
	v_bfrev_b32_e32 v17, 60
	v_lshlrev_b32_e32 v11, 20, v11
	v_and_b32_e32 v16, 0x80000000, v16
	v_lshl_add_u32 v10, v10, 23, v17
	v_or3_b32 v10, v16, v10, v11
	v_lshrrev_b32_e32 v17, 16, v10
.LBB695_558:
	s_or_b64 exec, exec, s[8:9]
.LBB695_559:
	s_or_b64 exec, exec, s[6:7]
.LBB695_560:
	s_or_b64 exec, exec, s[0:1]
	s_movk_i32 s0, 0xff
	v_and_b32_sdwa v16, v12, s0 dst_sel:DWORD dst_unused:UNUSED_PAD src0_sel:WORD_1 src1_sel:DWORD
	v_lshrrev_b32_e32 v10, 16, v12
	v_cmp_ne_u16_e32 vcc, 0, v16
	v_mov_b32_e32 v11, 0
	v_mov_b32_e32 v19, 0
	s_and_saveexec_b64 s[0:1], vcc
	s_cbranch_execz .LBB695_566
; %bb.561:
	s_movk_i32 s3, 0x80
	v_cmp_ne_u16_e32 vcc, s3, v16
	v_mov_b32_e32 v19, 0xffff8000
	s_and_saveexec_b64 s[6:7], vcc
	s_cbranch_execz .LBB695_565
; %bb.562:
	v_bfe_u32 v16, v12, 16, 7
	s_movk_i32 s3, 0x7f
	v_cmp_ne_u32_e32 vcc, s3, v16
	v_mov_b32_e32 v19, 0x7f80
	s_and_saveexec_b64 s[8:9], vcc
	s_cbranch_execz .LBB695_564
; %bb.563:
	v_and_b32_e32 v19, 7, v10
	v_ffbh_u32_e32 v20, v19
	v_min_u32_e32 v23, 32, v20
	v_subrev_u32_e32 v20, 28, v23
	v_lshlrev_b64 v[20:21], v20, v[10:11]
	v_and_b32_e32 v20, 7, v20
	v_cmp_gt_u32_e32 vcc, 8, v16
	v_lshrrev_b32_e32 v22, 3, v16
	v_sub_u32_e32 v10, 29, v23
	v_cndmask_b32_e32 v16, v19, v20, vcc
	v_mov_b32_e32 v19, 24
	v_cndmask_b32_e32 v10, v22, v10, vcc
	v_lshlrev_b32_sdwa v19, v19, v12 dst_sel:DWORD dst_unused:UNUSED_PAD src0_sel:DWORD src1_sel:WORD_1
	v_bfrev_b32_e32 v20, 60
	v_lshlrev_b32_e32 v16, 20, v16
	v_and_b32_e32 v19, 0x80000000, v19
	v_lshl_add_u32 v10, v10, 23, v20
	v_or3_b32 v10, v19, v10, v16
	v_lshrrev_b32_e32 v19, 16, v10
.LBB695_564:
	s_or_b64 exec, exec, s[8:9]
.LBB695_565:
	s_or_b64 exec, exec, s[6:7]
.LBB695_566:
	s_or_b64 exec, exec, s[0:1]
	s_mov_b32 s0, 0xffffff
	v_cmp_lt_u32_e32 vcc, s0, v12
	v_mov_b32_e32 v20, 0
	s_and_saveexec_b64 s[0:1], vcc
	s_cbranch_execz .LBB695_572
; %bb.567:
	v_lshrrev_b32_e32 v10, 24, v12
	s_movk_i32 s3, 0x80
	v_cmp_ne_u32_e32 vcc, s3, v10
	v_mov_b32_e32 v20, 0xffff8000
	s_and_saveexec_b64 s[6:7], vcc
	s_cbranch_execz .LBB695_571
; %bb.568:
	v_bfe_u32 v16, v12, 24, 7
	s_movk_i32 s3, 0x7f
	v_cmp_ne_u32_e32 vcc, s3, v16
	v_mov_b32_e32 v20, 0x7f80
	s_and_saveexec_b64 s[8:9], vcc
	s_cbranch_execz .LBB695_570
; %bb.569:
	v_and_b32_e32 v22, 7, v10
	v_ffbh_u32_e32 v20, v22
	v_min_u32_e32 v24, 32, v20
	v_subrev_u32_e32 v20, 28, v24
	v_lshlrev_b64 v[20:21], v20, v[10:11]
	v_lshrrev_b32_e32 v23, 3, v16
	v_sub_u32_e32 v21, 29, v24
	v_and_b32_e32 v20, 7, v20
	v_cmp_gt_u32_e32 vcc, 8, v16
	v_cndmask_b32_e32 v16, v23, v21, vcc
	v_cndmask_b32_e32 v20, v22, v20, vcc
	v_lshlrev_b32_e32 v10, 24, v10
	v_bfrev_b32_e32 v21, 60
	v_lshlrev_b32_e32 v20, 20, v20
	v_and_b32_e32 v10, 0x80000000, v10
	v_lshl_add_u32 v16, v16, 23, v21
	v_or3_b32 v10, v10, v16, v20
	v_lshrrev_b32_e32 v20, 16, v10
.LBB695_570:
	s_or_b64 exec, exec, s[8:9]
.LBB695_571:
	s_or_b64 exec, exec, s[6:7]
.LBB695_572:
	s_or_b64 exec, exec, s[0:1]
	v_mov_b32_e32 v21, 0
	v_mov_b32_e32 v10, v13
	v_cmp_ne_u16_sdwa s[6:7], v13, v21 src0_sel:BYTE_0 src1_sel:DWORD
	v_mov_b32_e32 v22, 0
	s_and_saveexec_b64 s[0:1], s[6:7]
	s_cbranch_execz .LBB695_578
; %bb.573:
	s_movk_i32 s3, 0x80
	v_cmp_ne_u16_sdwa s[8:9], v13, s3 src0_sel:BYTE_0 src1_sel:DWORD
	v_mov_b32_e32 v22, 0xffff8000
	s_and_saveexec_b64 s[6:7], s[8:9]
	s_cbranch_execz .LBB695_577
; %bb.574:
	s_movk_i32 s3, 0x7f
	v_and_b32_e32 v16, 0x7f, v13
	v_cmp_ne_u32_e32 vcc, s3, v16
	v_mov_b32_e32 v22, 0x7f80
	s_and_saveexec_b64 s[8:9], vcc
	s_cbranch_execz .LBB695_576
; %bb.575:
	v_and_b32_e32 v22, 7, v13
	v_ffbh_u32_e32 v22, v22
	v_min_u32_e32 v22, 32, v22
	v_lshrrev_b32_e32 v23, 3, v16
	v_subrev_u32_e32 v24, 28, v22
	v_sub_u32_e32 v22, 29, v22
	v_cmp_gt_u32_e32 vcc, 8, v16
	v_cndmask_b32_e32 v16, v23, v22, vcc
	v_cndmask_b32_e32 v22, 0, v24, vcc
	v_lshlrev_b64 v[22:23], v22, v[10:11]
	v_lshlrev_b32_e32 v11, 20, v22
	v_lshlrev_b32_e32 v22, 24, v10
	v_bfrev_b32_e32 v23, 60
	v_and_b32_e32 v11, 0x700000, v11
	v_and_b32_e32 v22, 0x80000000, v22
	v_lshl_add_u32 v16, v16, 23, v23
	v_or3_b32 v11, v22, v16, v11
	v_lshrrev_b32_e32 v22, 16, v11
.LBB695_576:
	s_or_b64 exec, exec, s[8:9]
.LBB695_577:
	s_or_b64 exec, exec, s[6:7]
.LBB695_578:
	s_or_b64 exec, exec, s[0:1]
	v_lshrrev_b16_e32 v16, 8, v10
	v_cmp_ne_u16_e32 vcc, 0, v16
	s_and_saveexec_b64 s[0:1], vcc
	s_cbranch_execz .LBB695_584
; %bb.579:
	s_movk_i32 s3, 0x80
	v_cmp_ne_u16_e32 vcc, s3, v16
	v_mov_b32_e32 v21, 0xffff8000
	s_and_saveexec_b64 s[6:7], vcc
	s_cbranch_execz .LBB695_583
; %bb.580:
	s_movk_i32 s3, 0x7f
	v_and_b32_e32 v11, 0x7f, v16
	v_cmp_ne_u32_e32 vcc, s3, v11
	v_mov_b32_e32 v21, 0x7f80
	s_and_saveexec_b64 s[8:9], vcc
	s_cbranch_execz .LBB695_582
; %bb.581:
	v_and_b32_e32 v21, 7, v16
	v_ffbh_u32_e32 v24, v21
	v_min_u32_e32 v26, 32, v24
	v_subrev_u32_e32 v24, 28, v26
	v_lshlrev_b64 v[24:25], v24, v[16:17]
	v_lshrrev_b32_e32 v23, 3, v11
	v_sub_u32_e32 v16, 29, v26
	v_and_b32_e32 v24, 7, v24
	v_cmp_gt_u32_e32 vcc, 8, v11
	v_cndmask_b32_e32 v11, v23, v16, vcc
	v_cndmask_b32_e32 v16, v21, v24, vcc
	v_lshlrev_b32_e32 v10, 16, v10
	v_bfrev_b32_e32 v21, 60
	v_lshlrev_b32_e32 v16, 20, v16
	v_and_b32_e32 v10, 0x80000000, v10
	v_lshl_add_u32 v11, v11, 23, v21
	v_or3_b32 v10, v10, v11, v16
	v_lshrrev_b32_e32 v21, 16, v10
.LBB695_582:
	s_or_b64 exec, exec, s[8:9]
.LBB695_583:
	s_or_b64 exec, exec, s[6:7]
.LBB695_584:
	s_or_b64 exec, exec, s[0:1]
	s_movk_i32 s0, 0xff
	v_and_b32_sdwa v23, v13, s0 dst_sel:DWORD dst_unused:UNUSED_PAD src0_sel:WORD_1 src1_sel:DWORD
	v_lshrrev_b32_e32 v10, 16, v13
	v_cmp_ne_u16_e32 vcc, 0, v23
	v_mov_b32_e32 v11, 0
	v_mov_b32_e32 v16, 0
	s_and_saveexec_b64 s[0:1], vcc
	s_cbranch_execz .LBB695_590
; %bb.585:
	s_movk_i32 s3, 0x80
	v_cmp_ne_u16_e32 vcc, s3, v23
	v_mov_b32_e32 v16, 0xffff8000
	s_and_saveexec_b64 s[6:7], vcc
	s_cbranch_execz .LBB695_589
; %bb.586:
	v_bfe_u32 v23, v13, 16, 7
	s_movk_i32 s3, 0x7f
	v_cmp_ne_u32_e32 vcc, s3, v23
	v_mov_b32_e32 v16, 0x7f80
	s_and_saveexec_b64 s[8:9], vcc
	s_cbranch_execz .LBB695_588
; %bb.587:
	v_and_b32_e32 v16, 7, v10
	v_ffbh_u32_e32 v24, v16
	v_min_u32_e32 v27, 32, v24
	v_subrev_u32_e32 v24, 28, v27
	v_lshlrev_b64 v[24:25], v24, v[10:11]
	v_lshrrev_b32_e32 v26, 3, v23
	v_sub_u32_e32 v10, 29, v27
	v_and_b32_e32 v24, 7, v24
	v_cmp_gt_u32_e32 vcc, 8, v23
	v_mov_b32_e32 v23, 24
	v_cndmask_b32_e32 v10, v26, v10, vcc
	v_cndmask_b32_e32 v16, v16, v24, vcc
	v_lshlrev_b32_sdwa v23, v23, v13 dst_sel:DWORD dst_unused:UNUSED_PAD src0_sel:DWORD src1_sel:WORD_1
	v_bfrev_b32_e32 v24, 60
	v_lshlrev_b32_e32 v16, 20, v16
	v_and_b32_e32 v23, 0x80000000, v23
	v_lshl_add_u32 v10, v10, 23, v24
	v_or3_b32 v10, v23, v10, v16
	v_lshrrev_b32_e32 v16, 16, v10
.LBB695_588:
	s_or_b64 exec, exec, s[8:9]
.LBB695_589:
	s_or_b64 exec, exec, s[6:7]
.LBB695_590:
	s_or_b64 exec, exec, s[0:1]
	s_mov_b32 s0, -1
	s_mov_b32 s1, 0xffffff
	v_cmp_lt_u64_e32 vcc, s[0:1], v[12:13]
	s_and_saveexec_b64 s[0:1], vcc
	s_cbranch_execz .LBB695_596
; %bb.591:
	v_lshrrev_b32_e32 v10, 24, v13
	s_movk_i32 s3, 0x80
	v_cmp_ne_u32_e32 vcc, s3, v10
	v_mov_b32_e32 v11, 0xffff8000
	s_and_saveexec_b64 s[6:7], vcc
	s_cbranch_execz .LBB695_595
; %bb.592:
	v_bfe_u32 v12, v13, 24, 7
	s_movk_i32 s3, 0x7f
	v_cmp_ne_u32_e32 vcc, s3, v12
	v_mov_b32_e32 v11, 0x7f80
	s_and_saveexec_b64 s[8:9], vcc
	s_cbranch_execz .LBB695_594
; %bb.593:
	v_and_b32_e32 v11, 7, v10
	v_ffbh_u32_e32 v23, v11
	v_min_u32_e32 v23, 32, v23
	v_subrev_u32_e32 v24, 28, v23
	v_lshlrev_b64 v[24:25], v24, v[10:11]
	v_lshrrev_b32_e32 v13, 3, v12
	v_sub_u32_e32 v23, 29, v23
	v_and_b32_e32 v24, 7, v24
	v_cmp_gt_u32_e32 vcc, 8, v12
	v_cndmask_b32_e32 v12, v13, v23, vcc
	v_cndmask_b32_e32 v11, v11, v24, vcc
	v_lshlrev_b32_e32 v10, 24, v10
	v_bfrev_b32_e32 v13, 60
	v_lshlrev_b32_e32 v11, 20, v11
	v_and_b32_e32 v10, 0x80000000, v10
	v_lshl_add_u32 v12, v12, 23, v13
	v_or3_b32 v10, v10, v12, v11
	v_lshrrev_b32_e32 v11, 16, v10
.LBB695_594:
	s_or_b64 exec, exec, s[8:9]
.LBB695_595:
	s_or_b64 exec, exec, s[6:7]
.LBB695_596:
	s_or_b64 exec, exec, s[0:1]
	s_mov_b32 s0, 0x5040100
	v_perm_b32 v13, v20, v19, s0
	v_perm_b32 v12, v17, v18, s0
	;; [unrolled: 1-line block ×4, first 2 shown]
	v_mfma_f32_4x4x4bf16_1k a[0:3], v[14:15], v[12:13], a[0:3] cbsz:4 abid:6
	v_mov_b32_e32 v13, 0
	v_mfma_f32_4x4x4bf16_1k a[0:3], v[14:15], v[10:11], a[0:3] cbsz:4 abid:7
	s_waitcnt vmcnt(1)
	v_cmp_ne_u16_sdwa s[6:7], v6, v13 src0_sel:BYTE_0 src1_sel:DWORD
	v_mov_b32_e32 v16, 0
	s_and_saveexec_b64 s[0:1], s[6:7]
	s_cbranch_execz .LBB695_602
; %bb.597:
	s_movk_i32 s3, 0x80
	v_cmp_ne_u16_sdwa s[8:9], v6, s3 src0_sel:BYTE_0 src1_sel:DWORD
	v_mov_b32_e32 v16, 0xffff8000
	s_and_saveexec_b64 s[6:7], s[8:9]
	s_cbranch_execz .LBB695_601
; %bb.598:
	s_movk_i32 s3, 0x7f
	v_and_b32_e32 v10, 0x7f, v6
	v_cmp_ne_u32_e32 vcc, s3, v10
	v_mov_b32_e32 v16, 0x7f80
	s_and_saveexec_b64 s[8:9], vcc
	s_cbranch_execz .LBB695_600
; %bb.599:
	v_and_b32_e32 v11, 7, v6
	v_ffbh_u32_e32 v11, v11
	v_min_u32_e32 v11, 32, v11
	v_subrev_u32_e32 v16, 28, v11
	v_cmp_gt_u32_e32 vcc, 8, v10
	v_lshrrev_b32_e32 v12, 3, v10
	v_sub_u32_e32 v11, 29, v11
	v_cndmask_b32_e32 v10, 0, v16, vcc
	v_cndmask_b32_e32 v12, v12, v11, vcc
	v_lshlrev_b64 v[10:11], v10, v[6:7]
	v_lshlrev_b32_e32 v10, 20, v10
	v_lshlrev_b32_e32 v11, 24, v6
	v_bfrev_b32_e32 v16, 60
	v_and_b32_e32 v10, 0x700000, v10
	v_and_b32_e32 v11, 0x80000000, v11
	v_lshl_add_u32 v12, v12, 23, v16
	v_or3_b32 v10, v11, v12, v10
	v_lshrrev_b32_e32 v16, 16, v10
.LBB695_600:
	s_or_b64 exec, exec, s[8:9]
.LBB695_601:
	s_or_b64 exec, exec, s[6:7]
.LBB695_602:
	s_or_b64 exec, exec, s[0:1]
	v_lshrrev_b16_e32 v10, 8, v6
	v_cmp_ne_u16_e32 vcc, 0, v10
	s_and_saveexec_b64 s[0:1], vcc
	s_cbranch_execz .LBB695_608
; %bb.603:
	s_movk_i32 s3, 0x80
	v_cmp_ne_u16_e32 vcc, s3, v10
	v_mov_b32_e32 v13, 0xffff8000
	s_and_saveexec_b64 s[6:7], vcc
	s_cbranch_execz .LBB695_607
; %bb.604:
	s_movk_i32 s3, 0x7f
	v_and_b32_e32 v11, 0x7f, v10
	v_cmp_ne_u32_e32 vcc, s3, v11
	v_mov_b32_e32 v13, 0x7f80
	s_and_saveexec_b64 s[8:9], vcc
	s_cbranch_execz .LBB695_606
; %bb.605:
	v_and_b32_e32 v17, 7, v10
	v_ffbh_u32_e32 v12, v17
	v_min_u32_e32 v19, 32, v12
	v_subrev_u32_e32 v12, 28, v19
	v_lshlrev_b64 v[12:13], v12, v[10:11]
	v_lshrrev_b32_e32 v18, 3, v11
	v_sub_u32_e32 v10, 29, v19
	v_and_b32_e32 v12, 7, v12
	v_cmp_gt_u32_e32 vcc, 8, v11
	v_cndmask_b32_e32 v10, v18, v10, vcc
	v_cndmask_b32_e32 v11, v17, v12, vcc
	v_lshlrev_b32_e32 v12, 16, v6
	v_bfrev_b32_e32 v13, 60
	v_lshlrev_b32_e32 v11, 20, v11
	v_and_b32_e32 v12, 0x80000000, v12
	v_lshl_add_u32 v10, v10, 23, v13
	v_or3_b32 v10, v12, v10, v11
	v_lshrrev_b32_e32 v13, 16, v10
.LBB695_606:
	s_or_b64 exec, exec, s[8:9]
.LBB695_607:
	s_or_b64 exec, exec, s[6:7]
.LBB695_608:
	s_or_b64 exec, exec, s[0:1]
	s_movk_i32 s0, 0xff
	v_and_b32_sdwa v12, v6, s0 dst_sel:DWORD dst_unused:UNUSED_PAD src0_sel:WORD_1 src1_sel:DWORD
	v_lshrrev_b32_e32 v10, 16, v6
	v_cmp_ne_u16_e32 vcc, 0, v12
	v_mov_b32_e32 v11, 0
	v_mov_b32_e32 v17, 0
	s_and_saveexec_b64 s[0:1], vcc
	s_cbranch_execz .LBB695_614
; %bb.609:
	s_movk_i32 s3, 0x80
	v_cmp_ne_u16_e32 vcc, s3, v12
	v_mov_b32_e32 v17, 0xffff8000
	s_and_saveexec_b64 s[6:7], vcc
	s_cbranch_execz .LBB695_613
; %bb.610:
	v_bfe_u32 v12, v6, 16, 7
	s_movk_i32 s3, 0x7f
	v_cmp_ne_u32_e32 vcc, s3, v12
	v_mov_b32_e32 v17, 0x7f80
	s_and_saveexec_b64 s[8:9], vcc
	s_cbranch_execz .LBB695_612
; %bb.611:
	v_and_b32_e32 v17, 7, v10
	v_ffbh_u32_e32 v18, v17
	v_min_u32_e32 v21, 32, v18
	v_subrev_u32_e32 v18, 28, v21
	v_lshlrev_b64 v[18:19], v18, v[10:11]
	v_and_b32_e32 v18, 7, v18
	v_cmp_gt_u32_e32 vcc, 8, v12
	v_lshrrev_b32_e32 v20, 3, v12
	v_sub_u32_e32 v10, 29, v21
	v_cndmask_b32_e32 v12, v17, v18, vcc
	v_mov_b32_e32 v17, 24
	v_cndmask_b32_e32 v10, v20, v10, vcc
	v_lshlrev_b32_sdwa v17, v17, v6 dst_sel:DWORD dst_unused:UNUSED_PAD src0_sel:DWORD src1_sel:WORD_1
	v_bfrev_b32_e32 v18, 60
	v_lshlrev_b32_e32 v12, 20, v12
	v_and_b32_e32 v17, 0x80000000, v17
	v_lshl_add_u32 v10, v10, 23, v18
	v_or3_b32 v10, v17, v10, v12
	v_lshrrev_b32_e32 v17, 16, v10
.LBB695_612:
	s_or_b64 exec, exec, s[8:9]
.LBB695_613:
	s_or_b64 exec, exec, s[6:7]
.LBB695_614:
	s_or_b64 exec, exec, s[0:1]
	s_mov_b32 s0, 0xffffff
	v_cmp_lt_u32_e32 vcc, s0, v6
	v_mov_b32_e32 v18, 0
	s_and_saveexec_b64 s[0:1], vcc
	s_cbranch_execz .LBB695_620
; %bb.615:
	v_lshrrev_b32_e32 v10, 24, v6
	s_movk_i32 s3, 0x80
	v_cmp_ne_u32_e32 vcc, s3, v10
	v_mov_b32_e32 v18, 0xffff8000
	s_and_saveexec_b64 s[6:7], vcc
	s_cbranch_execz .LBB695_619
; %bb.616:
	v_bfe_u32 v12, v6, 24, 7
	s_movk_i32 s3, 0x7f
	v_cmp_ne_u32_e32 vcc, s3, v12
	v_mov_b32_e32 v18, 0x7f80
	s_and_saveexec_b64 s[8:9], vcc
	s_cbranch_execz .LBB695_618
; %bb.617:
	v_and_b32_e32 v20, 7, v10
	v_ffbh_u32_e32 v18, v20
	v_min_u32_e32 v22, 32, v18
	v_subrev_u32_e32 v18, 28, v22
	v_lshlrev_b64 v[18:19], v18, v[10:11]
	v_lshrrev_b32_e32 v21, 3, v12
	v_sub_u32_e32 v19, 29, v22
	v_and_b32_e32 v18, 7, v18
	v_cmp_gt_u32_e32 vcc, 8, v12
	v_cndmask_b32_e32 v12, v21, v19, vcc
	v_cndmask_b32_e32 v18, v20, v18, vcc
	v_lshlrev_b32_e32 v10, 24, v10
	v_bfrev_b32_e32 v19, 60
	v_lshlrev_b32_e32 v18, 20, v18
	v_and_b32_e32 v10, 0x80000000, v10
	v_lshl_add_u32 v12, v12, 23, v19
	v_or3_b32 v10, v10, v12, v18
	v_lshrrev_b32_e32 v18, 16, v10
.LBB695_618:
	s_or_b64 exec, exec, s[8:9]
.LBB695_619:
	s_or_b64 exec, exec, s[6:7]
.LBB695_620:
	s_or_b64 exec, exec, s[0:1]
	v_mov_b32_e32 v19, 0
	v_mov_b32_e32 v10, v7
	v_cmp_ne_u16_sdwa s[6:7], v7, v19 src0_sel:BYTE_0 src1_sel:DWORD
	v_mov_b32_e32 v20, 0
	s_and_saveexec_b64 s[0:1], s[6:7]
	s_cbranch_execz .LBB695_626
; %bb.621:
	s_movk_i32 s3, 0x80
	v_cmp_ne_u16_sdwa s[8:9], v7, s3 src0_sel:BYTE_0 src1_sel:DWORD
	v_mov_b32_e32 v20, 0xffff8000
	s_and_saveexec_b64 s[6:7], s[8:9]
	s_cbranch_execz .LBB695_625
; %bb.622:
	s_movk_i32 s3, 0x7f
	v_and_b32_e32 v12, 0x7f, v7
	v_cmp_ne_u32_e32 vcc, s3, v12
	v_mov_b32_e32 v20, 0x7f80
	s_and_saveexec_b64 s[8:9], vcc
	s_cbranch_execz .LBB695_624
; %bb.623:
	v_and_b32_e32 v20, 7, v7
	v_ffbh_u32_e32 v20, v20
	v_min_u32_e32 v20, 32, v20
	v_lshrrev_b32_e32 v21, 3, v12
	v_subrev_u32_e32 v22, 28, v20
	v_sub_u32_e32 v20, 29, v20
	v_cmp_gt_u32_e32 vcc, 8, v12
	v_cndmask_b32_e32 v12, v21, v20, vcc
	v_cndmask_b32_e32 v20, 0, v22, vcc
	v_lshlrev_b64 v[20:21], v20, v[10:11]
	v_lshlrev_b32_e32 v11, 20, v20
	v_lshlrev_b32_e32 v20, 24, v10
	v_bfrev_b32_e32 v21, 60
	v_and_b32_e32 v11, 0x700000, v11
	v_and_b32_e32 v20, 0x80000000, v20
	v_lshl_add_u32 v12, v12, 23, v21
	v_or3_b32 v11, v20, v12, v11
	v_lshrrev_b32_e32 v20, 16, v11
.LBB695_624:
	s_or_b64 exec, exec, s[8:9]
.LBB695_625:
	s_or_b64 exec, exec, s[6:7]
.LBB695_626:
	s_or_b64 exec, exec, s[0:1]
	v_lshrrev_b16_e32 v12, 8, v10
	v_cmp_ne_u16_e32 vcc, 0, v12
	s_and_saveexec_b64 s[0:1], vcc
	s_cbranch_execz .LBB695_632
; %bb.627:
	s_movk_i32 s3, 0x80
	v_cmp_ne_u16_e32 vcc, s3, v12
	v_mov_b32_e32 v19, 0xffff8000
	s_and_saveexec_b64 s[6:7], vcc
	s_cbranch_execz .LBB695_631
; %bb.628:
	s_movk_i32 s3, 0x7f
	v_and_b32_e32 v11, 0x7f, v12
	v_cmp_ne_u32_e32 vcc, s3, v11
	v_mov_b32_e32 v19, 0x7f80
	s_and_saveexec_b64 s[8:9], vcc
	s_cbranch_execz .LBB695_630
; %bb.629:
	v_and_b32_e32 v19, 7, v12
	v_ffbh_u32_e32 v22, v19
	v_min_u32_e32 v24, 32, v22
	v_subrev_u32_e32 v22, 28, v24
	v_lshlrev_b64 v[22:23], v22, v[12:13]
	v_lshrrev_b32_e32 v21, 3, v11
	v_sub_u32_e32 v12, 29, v24
	v_and_b32_e32 v22, 7, v22
	v_cmp_gt_u32_e32 vcc, 8, v11
	v_cndmask_b32_e32 v11, v21, v12, vcc
	v_cndmask_b32_e32 v12, v19, v22, vcc
	v_lshlrev_b32_e32 v10, 16, v10
	v_bfrev_b32_e32 v19, 60
	v_lshlrev_b32_e32 v12, 20, v12
	v_and_b32_e32 v10, 0x80000000, v10
	v_lshl_add_u32 v11, v11, 23, v19
	v_or3_b32 v10, v10, v11, v12
	v_lshrrev_b32_e32 v19, 16, v10
.LBB695_630:
	s_or_b64 exec, exec, s[8:9]
.LBB695_631:
	s_or_b64 exec, exec, s[6:7]
.LBB695_632:
	s_or_b64 exec, exec, s[0:1]
	s_movk_i32 s0, 0xff
	v_and_b32_sdwa v21, v7, s0 dst_sel:DWORD dst_unused:UNUSED_PAD src0_sel:WORD_1 src1_sel:DWORD
	v_lshrrev_b32_e32 v10, 16, v7
	v_cmp_ne_u16_e32 vcc, 0, v21
	v_mov_b32_e32 v11, 0
	v_mov_b32_e32 v12, 0
	s_and_saveexec_b64 s[0:1], vcc
	s_cbranch_execz .LBB695_638
; %bb.633:
	s_movk_i32 s3, 0x80
	v_cmp_ne_u16_e32 vcc, s3, v21
	v_mov_b32_e32 v12, 0xffff8000
	s_and_saveexec_b64 s[6:7], vcc
	s_cbranch_execz .LBB695_637
; %bb.634:
	v_bfe_u32 v21, v7, 16, 7
	s_movk_i32 s3, 0x7f
	v_cmp_ne_u32_e32 vcc, s3, v21
	v_mov_b32_e32 v12, 0x7f80
	s_and_saveexec_b64 s[8:9], vcc
	s_cbranch_execz .LBB695_636
; %bb.635:
	v_and_b32_e32 v12, 7, v10
	v_ffbh_u32_e32 v22, v12
	v_min_u32_e32 v25, 32, v22
	v_subrev_u32_e32 v22, 28, v25
	v_lshlrev_b64 v[22:23], v22, v[10:11]
	v_lshrrev_b32_e32 v24, 3, v21
	v_sub_u32_e32 v10, 29, v25
	v_and_b32_e32 v22, 7, v22
	v_cmp_gt_u32_e32 vcc, 8, v21
	v_mov_b32_e32 v21, 24
	v_cndmask_b32_e32 v10, v24, v10, vcc
	v_cndmask_b32_e32 v12, v12, v22, vcc
	v_lshlrev_b32_sdwa v21, v21, v7 dst_sel:DWORD dst_unused:UNUSED_PAD src0_sel:DWORD src1_sel:WORD_1
	v_bfrev_b32_e32 v22, 60
	v_lshlrev_b32_e32 v12, 20, v12
	v_and_b32_e32 v21, 0x80000000, v21
	v_lshl_add_u32 v10, v10, 23, v22
	v_or3_b32 v10, v21, v10, v12
	v_lshrrev_b32_e32 v12, 16, v10
.LBB695_636:
	s_or_b64 exec, exec, s[8:9]
.LBB695_637:
	s_or_b64 exec, exec, s[6:7]
.LBB695_638:
	s_or_b64 exec, exec, s[0:1]
	s_mov_b32 s0, -1
	s_mov_b32 s1, 0xffffff
	v_cmp_lt_u64_e32 vcc, s[0:1], v[6:7]
	s_and_saveexec_b64 s[0:1], vcc
	s_cbranch_execz .LBB695_644
; %bb.639:
	v_lshrrev_b32_e32 v6, 24, v7
	s_movk_i32 s3, 0x80
	v_cmp_ne_u32_e32 vcc, s3, v6
	v_mov_b32_e32 v11, 0xffff8000
	s_and_saveexec_b64 s[6:7], vcc
	s_cbranch_execz .LBB695_643
; %bb.640:
	v_bfe_u32 v7, v7, 24, 7
	s_movk_i32 s3, 0x7f
	v_cmp_ne_u32_e32 vcc, s3, v7
	v_mov_b32_e32 v11, 0x7f80
	s_and_saveexec_b64 s[8:9], vcc
	s_cbranch_execz .LBB695_642
; %bb.641:
	v_and_b32_e32 v21, 7, v6
	v_ffbh_u32_e32 v10, v21
	v_min_u32_e32 v23, 32, v10
	v_subrev_u32_e32 v10, 28, v23
	v_lshlrev_b64 v[10:11], v10, v[6:7]
	v_lshrrev_b32_e32 v22, 3, v7
	v_sub_u32_e32 v11, 29, v23
	v_and_b32_e32 v10, 7, v10
	v_cmp_gt_u32_e32 vcc, 8, v7
	v_cndmask_b32_e32 v7, v22, v11, vcc
	v_cndmask_b32_e32 v10, v21, v10, vcc
	v_lshlrev_b32_e32 v6, 24, v6
	v_bfrev_b32_e32 v11, 60
	v_lshlrev_b32_e32 v10, 20, v10
	v_and_b32_e32 v6, 0x80000000, v6
	v_lshl_add_u32 v7, v7, 23, v11
	v_or3_b32 v6, v6, v7, v10
	v_lshrrev_b32_e32 v11, 16, v6
.LBB695_642:
	s_or_b64 exec, exec, s[8:9]
.LBB695_643:
	s_or_b64 exec, exec, s[6:7]
.LBB695_644:
	s_or_b64 exec, exec, s[0:1]
	s_mov_b32 s0, 0x5040100
	v_perm_b32 v7, v18, v17, s0
	v_perm_b32 v6, v13, v16, s0
	;; [unrolled: 1-line block ×4, first 2 shown]
	v_mfma_f32_4x4x4bf16_1k a[0:3], v[14:15], v[6:7], a[0:3] cbsz:4 abid:8
	v_mov_b32_e32 v12, 0
	v_mfma_f32_4x4x4bf16_1k a[0:3], v[14:15], v[10:11], a[0:3] cbsz:4 abid:9
	v_mov_b32_e32 v11, 0
	v_cmp_ne_u16_sdwa s[6:7], v8, v11 src0_sel:BYTE_0 src1_sel:DWORD
	s_and_saveexec_b64 s[0:1], s[6:7]
	s_cbranch_execz .LBB695_650
; %bb.645:
	s_movk_i32 s3, 0x80
	v_cmp_ne_u16_sdwa s[8:9], v8, s3 src0_sel:BYTE_0 src1_sel:DWORD
	v_mov_b32_e32 v12, 0xffff8000
	s_and_saveexec_b64 s[6:7], s[8:9]
	s_cbranch_execz .LBB695_649
; %bb.646:
	s_movk_i32 s3, 0x7f
	v_and_b32_e32 v6, 0x7f, v8
	v_cmp_ne_u32_e32 vcc, s3, v6
	v_mov_b32_e32 v12, 0x7f80
	s_and_saveexec_b64 s[8:9], vcc
	s_cbranch_execz .LBB695_648
; %bb.647:
	v_and_b32_e32 v7, 7, v8
	v_ffbh_u32_e32 v7, v7
	v_min_u32_e32 v7, 32, v7
	v_subrev_u32_e32 v12, 28, v7
	v_cmp_gt_u32_e32 vcc, 8, v6
	v_lshrrev_b32_e32 v10, 3, v6
	v_sub_u32_e32 v7, 29, v7
	v_cndmask_b32_e32 v6, 0, v12, vcc
	v_cndmask_b32_e32 v10, v10, v7, vcc
	v_lshlrev_b64 v[6:7], v6, v[8:9]
	v_lshlrev_b32_e32 v6, 20, v6
	v_lshlrev_b32_e32 v7, 24, v8
	v_bfrev_b32_e32 v12, 60
	v_and_b32_e32 v6, 0x700000, v6
	v_and_b32_e32 v7, 0x80000000, v7
	v_lshl_add_u32 v10, v10, 23, v12
	v_or3_b32 v6, v7, v10, v6
	v_lshrrev_b32_e32 v12, 16, v6
.LBB695_648:
	s_or_b64 exec, exec, s[8:9]
.LBB695_649:
	s_or_b64 exec, exec, s[6:7]
.LBB695_650:
	s_or_b64 exec, exec, s[0:1]
	v_lshrrev_b16_e32 v6, 8, v8
	v_cmp_ne_u16_e32 vcc, 0, v6
	s_and_saveexec_b64 s[0:1], vcc
	s_cbranch_execz .LBB695_656
; %bb.651:
	s_movk_i32 s3, 0x80
	v_cmp_ne_u16_e32 vcc, s3, v6
	v_mov_b32_e32 v11, 0xffff8000
	s_and_saveexec_b64 s[6:7], vcc
	s_cbranch_execz .LBB695_655
; %bb.652:
	s_movk_i32 s3, 0x7f
	v_and_b32_e32 v7, 0x7f, v6
	v_cmp_ne_u32_e32 vcc, s3, v7
	v_mov_b32_e32 v11, 0x7f80
	s_and_saveexec_b64 s[8:9], vcc
	s_cbranch_execz .LBB695_654
; %bb.653:
	v_and_b32_e32 v13, 7, v6
	v_ffbh_u32_e32 v10, v13
	v_min_u32_e32 v17, 32, v10
	v_subrev_u32_e32 v10, 28, v17
	v_lshlrev_b64 v[10:11], v10, v[6:7]
	v_lshrrev_b32_e32 v16, 3, v7
	v_sub_u32_e32 v6, 29, v17
	v_and_b32_e32 v10, 7, v10
	v_cmp_gt_u32_e32 vcc, 8, v7
	v_cndmask_b32_e32 v6, v16, v6, vcc
	v_cndmask_b32_e32 v7, v13, v10, vcc
	v_lshlrev_b32_e32 v10, 16, v8
	v_bfrev_b32_e32 v11, 60
	v_lshlrev_b32_e32 v7, 20, v7
	v_and_b32_e32 v10, 0x80000000, v10
	v_lshl_add_u32 v6, v6, 23, v11
	v_or3_b32 v6, v10, v6, v7
	v_lshrrev_b32_e32 v11, 16, v6
.LBB695_654:
	s_or_b64 exec, exec, s[8:9]
.LBB695_655:
	s_or_b64 exec, exec, s[6:7]
.LBB695_656:
	s_or_b64 exec, exec, s[0:1]
	s_movk_i32 s0, 0xff
	v_and_b32_sdwa v10, v8, s0 dst_sel:DWORD dst_unused:UNUSED_PAD src0_sel:WORD_1 src1_sel:DWORD
	v_lshrrev_b32_e32 v6, 16, v8
	v_cmp_ne_u16_e32 vcc, 0, v10
	v_mov_b32_e32 v7, 0
	v_mov_b32_e32 v13, 0
	s_and_saveexec_b64 s[0:1], vcc
	s_cbranch_execz .LBB695_662
; %bb.657:
	s_movk_i32 s3, 0x80
	v_cmp_ne_u16_e32 vcc, s3, v10
	v_mov_b32_e32 v13, 0xffff8000
	s_and_saveexec_b64 s[6:7], vcc
	s_cbranch_execz .LBB695_661
; %bb.658:
	v_bfe_u32 v10, v8, 16, 7
	s_movk_i32 s3, 0x7f
	v_cmp_ne_u32_e32 vcc, s3, v10
	v_mov_b32_e32 v13, 0x7f80
	s_and_saveexec_b64 s[8:9], vcc
	s_cbranch_execz .LBB695_660
; %bb.659:
	v_and_b32_e32 v13, 7, v6
	v_ffbh_u32_e32 v16, v13
	v_min_u32_e32 v19, 32, v16
	v_subrev_u32_e32 v16, 28, v19
	v_lshlrev_b64 v[16:17], v16, v[6:7]
	v_and_b32_e32 v16, 7, v16
	v_cmp_gt_u32_e32 vcc, 8, v10
	v_lshrrev_b32_e32 v18, 3, v10
	v_sub_u32_e32 v6, 29, v19
	v_cndmask_b32_e32 v10, v13, v16, vcc
	v_mov_b32_e32 v13, 24
	v_cndmask_b32_e32 v6, v18, v6, vcc
	v_lshlrev_b32_sdwa v13, v13, v8 dst_sel:DWORD dst_unused:UNUSED_PAD src0_sel:DWORD src1_sel:WORD_1
	v_bfrev_b32_e32 v16, 60
	v_lshlrev_b32_e32 v10, 20, v10
	v_and_b32_e32 v13, 0x80000000, v13
	v_lshl_add_u32 v6, v6, 23, v16
	v_or3_b32 v6, v13, v6, v10
	v_lshrrev_b32_e32 v13, 16, v6
.LBB695_660:
	s_or_b64 exec, exec, s[8:9]
.LBB695_661:
	s_or_b64 exec, exec, s[6:7]
.LBB695_662:
	s_or_b64 exec, exec, s[0:1]
	s_mov_b32 s0, 0xffffff
	v_cmp_lt_u32_e32 vcc, s0, v8
	v_mov_b32_e32 v16, 0
	s_and_saveexec_b64 s[0:1], vcc
	s_cbranch_execz .LBB695_668
; %bb.663:
	v_lshrrev_b32_e32 v6, 24, v8
	s_movk_i32 s3, 0x80
	v_cmp_ne_u32_e32 vcc, s3, v6
	v_mov_b32_e32 v16, 0xffff8000
	s_and_saveexec_b64 s[6:7], vcc
	s_cbranch_execz .LBB695_667
; %bb.664:
	v_bfe_u32 v10, v8, 24, 7
	s_movk_i32 s3, 0x7f
	v_cmp_ne_u32_e32 vcc, s3, v10
	v_mov_b32_e32 v16, 0x7f80
	s_and_saveexec_b64 s[8:9], vcc
	s_cbranch_execz .LBB695_666
; %bb.665:
	v_and_b32_e32 v18, 7, v6
	v_ffbh_u32_e32 v16, v18
	v_min_u32_e32 v20, 32, v16
	v_subrev_u32_e32 v16, 28, v20
	v_lshlrev_b64 v[16:17], v16, v[6:7]
	v_lshrrev_b32_e32 v19, 3, v10
	v_sub_u32_e32 v17, 29, v20
	v_and_b32_e32 v16, 7, v16
	v_cmp_gt_u32_e32 vcc, 8, v10
	v_cndmask_b32_e32 v10, v19, v17, vcc
	v_cndmask_b32_e32 v16, v18, v16, vcc
	v_lshlrev_b32_e32 v6, 24, v6
	v_bfrev_b32_e32 v17, 60
	v_lshlrev_b32_e32 v16, 20, v16
	v_and_b32_e32 v6, 0x80000000, v6
	v_lshl_add_u32 v10, v10, 23, v17
	v_or3_b32 v6, v6, v10, v16
	v_lshrrev_b32_e32 v16, 16, v6
.LBB695_666:
	s_or_b64 exec, exec, s[8:9]
.LBB695_667:
	s_or_b64 exec, exec, s[6:7]
.LBB695_668:
	s_or_b64 exec, exec, s[0:1]
	v_mov_b32_e32 v17, 0
	v_mov_b32_e32 v6, v9
	v_cmp_ne_u16_sdwa s[6:7], v9, v17 src0_sel:BYTE_0 src1_sel:DWORD
	v_mov_b32_e32 v18, 0
	s_and_saveexec_b64 s[0:1], s[6:7]
	s_cbranch_execz .LBB695_674
; %bb.669:
	s_movk_i32 s3, 0x80
	v_cmp_ne_u16_sdwa s[8:9], v9, s3 src0_sel:BYTE_0 src1_sel:DWORD
	v_mov_b32_e32 v18, 0xffff8000
	s_and_saveexec_b64 s[6:7], s[8:9]
	s_cbranch_execz .LBB695_673
; %bb.670:
	s_movk_i32 s3, 0x7f
	v_and_b32_e32 v10, 0x7f, v9
	v_cmp_ne_u32_e32 vcc, s3, v10
	v_mov_b32_e32 v18, 0x7f80
	s_and_saveexec_b64 s[8:9], vcc
	s_cbranch_execz .LBB695_672
; %bb.671:
	v_and_b32_e32 v18, 7, v9
	v_ffbh_u32_e32 v18, v18
	v_min_u32_e32 v18, 32, v18
	v_lshrrev_b32_e32 v19, 3, v10
	v_subrev_u32_e32 v20, 28, v18
	v_sub_u32_e32 v18, 29, v18
	v_cmp_gt_u32_e32 vcc, 8, v10
	v_cndmask_b32_e32 v10, v19, v18, vcc
	v_cndmask_b32_e32 v18, 0, v20, vcc
	v_lshlrev_b64 v[18:19], v18, v[6:7]
	v_lshlrev_b32_e32 v7, 20, v18
	v_lshlrev_b32_e32 v18, 24, v6
	v_bfrev_b32_e32 v19, 60
	v_and_b32_e32 v7, 0x700000, v7
	v_and_b32_e32 v18, 0x80000000, v18
	v_lshl_add_u32 v10, v10, 23, v19
	v_or3_b32 v7, v18, v10, v7
	v_lshrrev_b32_e32 v18, 16, v7
.LBB695_672:
	s_or_b64 exec, exec, s[8:9]
.LBB695_673:
	s_or_b64 exec, exec, s[6:7]
.LBB695_674:
	s_or_b64 exec, exec, s[0:1]
	v_lshrrev_b16_e32 v10, 8, v6
	v_cmp_ne_u16_e32 vcc, 0, v10
	s_and_saveexec_b64 s[0:1], vcc
	s_cbranch_execz .LBB695_680
; %bb.675:
	s_movk_i32 s3, 0x80
	v_cmp_ne_u16_e32 vcc, s3, v10
	v_mov_b32_e32 v17, 0xffff8000
	s_and_saveexec_b64 s[6:7], vcc
	s_cbranch_execz .LBB695_679
; %bb.676:
	s_movk_i32 s3, 0x7f
	v_and_b32_e32 v7, 0x7f, v10
	v_cmp_ne_u32_e32 vcc, s3, v7
	v_mov_b32_e32 v17, 0x7f80
	s_and_saveexec_b64 s[8:9], vcc
	s_cbranch_execz .LBB695_678
; %bb.677:
	v_and_b32_e32 v17, 7, v10
	v_ffbh_u32_e32 v20, v17
	v_min_u32_e32 v22, 32, v20
	v_subrev_u32_e32 v20, 28, v22
	v_lshlrev_b64 v[20:21], v20, v[10:11]
	v_lshrrev_b32_e32 v19, 3, v7
	v_sub_u32_e32 v10, 29, v22
	v_and_b32_e32 v20, 7, v20
	v_cmp_gt_u32_e32 vcc, 8, v7
	v_cndmask_b32_e32 v7, v19, v10, vcc
	v_cndmask_b32_e32 v10, v17, v20, vcc
	v_lshlrev_b32_e32 v6, 16, v6
	v_bfrev_b32_e32 v17, 60
	v_lshlrev_b32_e32 v10, 20, v10
	v_and_b32_e32 v6, 0x80000000, v6
	v_lshl_add_u32 v7, v7, 23, v17
	v_or3_b32 v6, v6, v7, v10
	v_lshrrev_b32_e32 v17, 16, v6
.LBB695_678:
	s_or_b64 exec, exec, s[8:9]
.LBB695_679:
	s_or_b64 exec, exec, s[6:7]
.LBB695_680:
	s_or_b64 exec, exec, s[0:1]
	s_movk_i32 s0, 0xff
	v_and_b32_sdwa v19, v9, s0 dst_sel:DWORD dst_unused:UNUSED_PAD src0_sel:WORD_1 src1_sel:DWORD
	v_lshrrev_b32_e32 v6, 16, v9
	v_cmp_ne_u16_e32 vcc, 0, v19
	v_mov_b32_e32 v7, 0
	v_mov_b32_e32 v10, 0
	s_and_saveexec_b64 s[0:1], vcc
	s_cbranch_execz .LBB695_686
; %bb.681:
	s_movk_i32 s3, 0x80
	v_cmp_ne_u16_e32 vcc, s3, v19
	v_mov_b32_e32 v10, 0xffff8000
	s_and_saveexec_b64 s[6:7], vcc
	s_cbranch_execz .LBB695_685
; %bb.682:
	v_bfe_u32 v19, v9, 16, 7
	s_movk_i32 s3, 0x7f
	v_cmp_ne_u32_e32 vcc, s3, v19
	v_mov_b32_e32 v10, 0x7f80
	s_and_saveexec_b64 s[8:9], vcc
	s_cbranch_execz .LBB695_684
; %bb.683:
	v_and_b32_e32 v10, 7, v6
	v_ffbh_u32_e32 v20, v10
	v_min_u32_e32 v23, 32, v20
	v_subrev_u32_e32 v20, 28, v23
	v_lshlrev_b64 v[20:21], v20, v[6:7]
	v_lshrrev_b32_e32 v22, 3, v19
	v_sub_u32_e32 v6, 29, v23
	v_and_b32_e32 v20, 7, v20
	v_cmp_gt_u32_e32 vcc, 8, v19
	v_mov_b32_e32 v19, 24
	v_cndmask_b32_e32 v6, v22, v6, vcc
	v_cndmask_b32_e32 v10, v10, v20, vcc
	v_lshlrev_b32_sdwa v19, v19, v9 dst_sel:DWORD dst_unused:UNUSED_PAD src0_sel:DWORD src1_sel:WORD_1
	v_bfrev_b32_e32 v20, 60
	v_lshlrev_b32_e32 v10, 20, v10
	v_and_b32_e32 v19, 0x80000000, v19
	v_lshl_add_u32 v6, v6, 23, v20
	v_or3_b32 v6, v19, v6, v10
	v_lshrrev_b32_e32 v10, 16, v6
.LBB695_684:
	s_or_b64 exec, exec, s[8:9]
.LBB695_685:
	s_or_b64 exec, exec, s[6:7]
.LBB695_686:
	s_or_b64 exec, exec, s[0:1]
	s_mov_b32 s0, -1
	s_mov_b32 s1, 0xffffff
	v_cmp_lt_u64_e32 vcc, s[0:1], v[8:9]
	s_and_saveexec_b64 s[0:1], vcc
	s_cbranch_execz .LBB695_692
; %bb.687:
	v_lshrrev_b32_e32 v6, 24, v9
	s_movk_i32 s3, 0x80
	v_cmp_ne_u32_e32 vcc, s3, v6
	v_mov_b32_e32 v7, 0xffff8000
	s_and_saveexec_b64 s[6:7], vcc
	s_cbranch_execz .LBB695_691
; %bb.688:
	v_bfe_u32 v8, v9, 24, 7
	s_movk_i32 s3, 0x7f
	v_cmp_ne_u32_e32 vcc, s3, v8
	v_mov_b32_e32 v7, 0x7f80
	s_and_saveexec_b64 s[8:9], vcc
	s_cbranch_execz .LBB695_690
; %bb.689:
	v_and_b32_e32 v7, 7, v6
	v_ffbh_u32_e32 v19, v7
	v_min_u32_e32 v19, 32, v19
	v_subrev_u32_e32 v20, 28, v19
	v_lshlrev_b64 v[20:21], v20, v[6:7]
	v_lshrrev_b32_e32 v9, 3, v8
	v_sub_u32_e32 v19, 29, v19
	v_and_b32_e32 v20, 7, v20
	v_cmp_gt_u32_e32 vcc, 8, v8
	v_cndmask_b32_e32 v8, v9, v19, vcc
	v_cndmask_b32_e32 v7, v7, v20, vcc
	v_lshlrev_b32_e32 v6, 24, v6
	v_bfrev_b32_e32 v9, 60
	v_lshlrev_b32_e32 v7, 20, v7
	v_and_b32_e32 v6, 0x80000000, v6
	v_lshl_add_u32 v8, v8, 23, v9
	v_or3_b32 v6, v6, v8, v7
	v_lshrrev_b32_e32 v7, 16, v6
.LBB695_690:
	s_or_b64 exec, exec, s[8:9]
.LBB695_691:
	s_or_b64 exec, exec, s[6:7]
.LBB695_692:
	s_or_b64 exec, exec, s[0:1]
	s_mov_b32 s0, 0x5040100
	v_perm_b32 v9, v16, v13, s0
	v_perm_b32 v8, v11, v12, s0
	;; [unrolled: 1-line block ×4, first 2 shown]
	v_mfma_f32_4x4x4bf16_1k a[0:3], v[14:15], v[8:9], a[0:3] cbsz:4 abid:10
	v_mov_b32_e32 v9, 0
	v_mfma_f32_4x4x4bf16_1k a[0:3], v[14:15], v[6:7], a[0:3] cbsz:4 abid:11
	s_waitcnt vmcnt(0)
	v_cmp_ne_u16_sdwa s[6:7], v2, v9 src0_sel:BYTE_0 src1_sel:DWORD
	v_mov_b32_e32 v10, 0
	s_and_saveexec_b64 s[0:1], s[6:7]
	s_cbranch_execz .LBB695_698
; %bb.693:
	s_movk_i32 s3, 0x80
	v_cmp_ne_u16_sdwa s[8:9], v2, s3 src0_sel:BYTE_0 src1_sel:DWORD
	v_mov_b32_e32 v10, 0xffff8000
	s_and_saveexec_b64 s[6:7], s[8:9]
	s_cbranch_execz .LBB695_697
; %bb.694:
	s_movk_i32 s3, 0x7f
	v_and_b32_e32 v6, 0x7f, v2
	v_cmp_ne_u32_e32 vcc, s3, v6
	v_mov_b32_e32 v10, 0x7f80
	s_and_saveexec_b64 s[8:9], vcc
	s_cbranch_execz .LBB695_696
; %bb.695:
	v_and_b32_e32 v7, 7, v2
	v_ffbh_u32_e32 v7, v7
	v_min_u32_e32 v7, 32, v7
	v_subrev_u32_e32 v10, 28, v7
	v_cmp_gt_u32_e32 vcc, 8, v6
	v_lshrrev_b32_e32 v8, 3, v6
	v_sub_u32_e32 v7, 29, v7
	v_cndmask_b32_e32 v6, 0, v10, vcc
	v_cndmask_b32_e32 v8, v8, v7, vcc
	v_lshlrev_b64 v[6:7], v6, v[2:3]
	v_lshlrev_b32_e32 v6, 20, v6
	v_lshlrev_b32_e32 v7, 24, v2
	v_bfrev_b32_e32 v10, 60
	v_and_b32_e32 v6, 0x700000, v6
	v_and_b32_e32 v7, 0x80000000, v7
	v_lshl_add_u32 v8, v8, 23, v10
	v_or3_b32 v6, v7, v8, v6
	v_lshrrev_b32_e32 v10, 16, v6
.LBB695_696:
	s_or_b64 exec, exec, s[8:9]
.LBB695_697:
	s_or_b64 exec, exec, s[6:7]
.LBB695_698:
	s_or_b64 exec, exec, s[0:1]
	v_lshrrev_b16_e32 v6, 8, v2
	v_cmp_ne_u16_e32 vcc, 0, v6
	s_and_saveexec_b64 s[0:1], vcc
	s_cbranch_execz .LBB695_704
; %bb.699:
	s_movk_i32 s3, 0x80
	v_cmp_ne_u16_e32 vcc, s3, v6
	v_mov_b32_e32 v9, 0xffff8000
	s_and_saveexec_b64 s[6:7], vcc
	s_cbranch_execz .LBB695_703
; %bb.700:
	s_movk_i32 s3, 0x7f
	v_and_b32_e32 v7, 0x7f, v6
	v_cmp_ne_u32_e32 vcc, s3, v7
	v_mov_b32_e32 v9, 0x7f80
	s_and_saveexec_b64 s[8:9], vcc
	s_cbranch_execz .LBB695_702
; %bb.701:
	v_and_b32_e32 v11, 7, v6
	v_ffbh_u32_e32 v8, v11
	v_min_u32_e32 v13, 32, v8
	v_subrev_u32_e32 v8, 28, v13
	v_lshlrev_b64 v[8:9], v8, v[6:7]
	v_lshrrev_b32_e32 v12, 3, v7
	v_sub_u32_e32 v6, 29, v13
	v_and_b32_e32 v8, 7, v8
	v_cmp_gt_u32_e32 vcc, 8, v7
	v_cndmask_b32_e32 v6, v12, v6, vcc
	v_cndmask_b32_e32 v7, v11, v8, vcc
	v_lshlrev_b32_e32 v8, 16, v2
	v_bfrev_b32_e32 v9, 60
	v_lshlrev_b32_e32 v7, 20, v7
	v_and_b32_e32 v8, 0x80000000, v8
	v_lshl_add_u32 v6, v6, 23, v9
	v_or3_b32 v6, v8, v6, v7
	v_lshrrev_b32_e32 v9, 16, v6
.LBB695_702:
	s_or_b64 exec, exec, s[8:9]
.LBB695_703:
	s_or_b64 exec, exec, s[6:7]
.LBB695_704:
	s_or_b64 exec, exec, s[0:1]
	s_movk_i32 s0, 0xff
	v_and_b32_sdwa v8, v2, s0 dst_sel:DWORD dst_unused:UNUSED_PAD src0_sel:WORD_1 src1_sel:DWORD
	v_lshrrev_b32_e32 v6, 16, v2
	v_cmp_ne_u16_e32 vcc, 0, v8
	v_mov_b32_e32 v7, 0
	v_mov_b32_e32 v11, 0
	s_and_saveexec_b64 s[0:1], vcc
	s_cbranch_execz .LBB695_710
; %bb.705:
	s_movk_i32 s3, 0x80
	v_cmp_ne_u16_e32 vcc, s3, v8
	v_mov_b32_e32 v11, 0xffff8000
	s_and_saveexec_b64 s[6:7], vcc
	s_cbranch_execz .LBB695_709
; %bb.706:
	v_bfe_u32 v8, v2, 16, 7
	s_movk_i32 s3, 0x7f
	v_cmp_ne_u32_e32 vcc, s3, v8
	v_mov_b32_e32 v11, 0x7f80
	s_and_saveexec_b64 s[8:9], vcc
	s_cbranch_execz .LBB695_708
; %bb.707:
	v_and_b32_e32 v11, 7, v6
	v_ffbh_u32_e32 v12, v11
	v_min_u32_e32 v17, 32, v12
	v_subrev_u32_e32 v12, 28, v17
	v_lshlrev_b64 v[12:13], v12, v[6:7]
	v_and_b32_e32 v12, 7, v12
	v_cmp_gt_u32_e32 vcc, 8, v8
	v_lshrrev_b32_e32 v16, 3, v8
	v_sub_u32_e32 v6, 29, v17
	v_cndmask_b32_e32 v8, v11, v12, vcc
	v_mov_b32_e32 v11, 24
	v_cndmask_b32_e32 v6, v16, v6, vcc
	v_lshlrev_b32_sdwa v11, v11, v2 dst_sel:DWORD dst_unused:UNUSED_PAD src0_sel:DWORD src1_sel:WORD_1
	v_bfrev_b32_e32 v12, 60
	v_lshlrev_b32_e32 v8, 20, v8
	v_and_b32_e32 v11, 0x80000000, v11
	v_lshl_add_u32 v6, v6, 23, v12
	v_or3_b32 v6, v11, v6, v8
	v_lshrrev_b32_e32 v11, 16, v6
.LBB695_708:
	s_or_b64 exec, exec, s[8:9]
.LBB695_709:
	s_or_b64 exec, exec, s[6:7]
.LBB695_710:
	s_or_b64 exec, exec, s[0:1]
	s_mov_b32 s0, 0xffffff
	v_cmp_lt_u32_e32 vcc, s0, v2
	v_mov_b32_e32 v12, 0
	s_and_saveexec_b64 s[0:1], vcc
	s_cbranch_execz .LBB695_716
; %bb.711:
	v_lshrrev_b32_e32 v6, 24, v2
	s_movk_i32 s3, 0x80
	v_cmp_ne_u32_e32 vcc, s3, v6
	v_mov_b32_e32 v12, 0xffff8000
	s_and_saveexec_b64 s[6:7], vcc
	s_cbranch_execz .LBB695_715
; %bb.712:
	v_bfe_u32 v8, v2, 24, 7
	s_movk_i32 s3, 0x7f
	v_cmp_ne_u32_e32 vcc, s3, v8
	v_mov_b32_e32 v12, 0x7f80
	s_and_saveexec_b64 s[8:9], vcc
	s_cbranch_execz .LBB695_714
; %bb.713:
	v_and_b32_e32 v16, 7, v6
	v_ffbh_u32_e32 v12, v16
	v_min_u32_e32 v18, 32, v12
	v_subrev_u32_e32 v12, 28, v18
	v_lshlrev_b64 v[12:13], v12, v[6:7]
	v_lshrrev_b32_e32 v17, 3, v8
	v_sub_u32_e32 v13, 29, v18
	v_and_b32_e32 v12, 7, v12
	v_cmp_gt_u32_e32 vcc, 8, v8
	v_cndmask_b32_e32 v8, v17, v13, vcc
	v_cndmask_b32_e32 v12, v16, v12, vcc
	v_lshlrev_b32_e32 v6, 24, v6
	v_bfrev_b32_e32 v13, 60
	v_lshlrev_b32_e32 v12, 20, v12
	v_and_b32_e32 v6, 0x80000000, v6
	v_lshl_add_u32 v8, v8, 23, v13
	v_or3_b32 v6, v6, v8, v12
	v_lshrrev_b32_e32 v12, 16, v6
.LBB695_714:
	s_or_b64 exec, exec, s[8:9]
.LBB695_715:
	s_or_b64 exec, exec, s[6:7]
.LBB695_716:
	s_or_b64 exec, exec, s[0:1]
	v_mov_b32_e32 v13, 0
	v_mov_b32_e32 v6, v3
	v_cmp_ne_u16_sdwa s[6:7], v3, v13 src0_sel:BYTE_0 src1_sel:DWORD
	v_mov_b32_e32 v16, 0
	s_and_saveexec_b64 s[0:1], s[6:7]
	s_cbranch_execz .LBB695_722
; %bb.717:
	s_movk_i32 s3, 0x80
	v_cmp_ne_u16_sdwa s[8:9], v3, s3 src0_sel:BYTE_0 src1_sel:DWORD
	v_mov_b32_e32 v16, 0xffff8000
	s_and_saveexec_b64 s[6:7], s[8:9]
	s_cbranch_execz .LBB695_721
; %bb.718:
	s_movk_i32 s3, 0x7f
	v_and_b32_e32 v8, 0x7f, v3
	v_cmp_ne_u32_e32 vcc, s3, v8
	v_mov_b32_e32 v16, 0x7f80
	s_and_saveexec_b64 s[8:9], vcc
	s_cbranch_execz .LBB695_720
; %bb.719:
	v_and_b32_e32 v16, 7, v3
	v_ffbh_u32_e32 v16, v16
	v_min_u32_e32 v16, 32, v16
	v_lshrrev_b32_e32 v17, 3, v8
	v_subrev_u32_e32 v18, 28, v16
	v_sub_u32_e32 v16, 29, v16
	v_cmp_gt_u32_e32 vcc, 8, v8
	v_cndmask_b32_e32 v8, v17, v16, vcc
	v_cndmask_b32_e32 v16, 0, v18, vcc
	v_lshlrev_b64 v[16:17], v16, v[6:7]
	v_lshlrev_b32_e32 v7, 20, v16
	v_lshlrev_b32_e32 v16, 24, v6
	v_bfrev_b32_e32 v17, 60
	v_and_b32_e32 v7, 0x700000, v7
	v_and_b32_e32 v16, 0x80000000, v16
	v_lshl_add_u32 v8, v8, 23, v17
	v_or3_b32 v7, v16, v8, v7
	v_lshrrev_b32_e32 v16, 16, v7
.LBB695_720:
	s_or_b64 exec, exec, s[8:9]
.LBB695_721:
	s_or_b64 exec, exec, s[6:7]
.LBB695_722:
	s_or_b64 exec, exec, s[0:1]
	v_lshrrev_b16_e32 v8, 8, v6
	v_cmp_ne_u16_e32 vcc, 0, v8
	s_and_saveexec_b64 s[0:1], vcc
	s_cbranch_execz .LBB695_728
; %bb.723:
	s_movk_i32 s3, 0x80
	v_cmp_ne_u16_e32 vcc, s3, v8
	v_mov_b32_e32 v13, 0xffff8000
	s_and_saveexec_b64 s[6:7], vcc
	s_cbranch_execz .LBB695_727
; %bb.724:
	s_movk_i32 s3, 0x7f
	v_and_b32_e32 v7, 0x7f, v8
	v_cmp_ne_u32_e32 vcc, s3, v7
	v_mov_b32_e32 v13, 0x7f80
	s_and_saveexec_b64 s[8:9], vcc
	s_cbranch_execz .LBB695_726
; %bb.725:
	v_and_b32_e32 v13, 7, v8
	v_ffbh_u32_e32 v18, v13
	v_min_u32_e32 v20, 32, v18
	v_subrev_u32_e32 v18, 28, v20
	v_lshlrev_b64 v[18:19], v18, v[8:9]
	v_lshrrev_b32_e32 v17, 3, v7
	v_sub_u32_e32 v8, 29, v20
	v_and_b32_e32 v18, 7, v18
	v_cmp_gt_u32_e32 vcc, 8, v7
	v_cndmask_b32_e32 v7, v17, v8, vcc
	v_cndmask_b32_e32 v8, v13, v18, vcc
	v_lshlrev_b32_e32 v6, 16, v6
	v_bfrev_b32_e32 v13, 60
	v_lshlrev_b32_e32 v8, 20, v8
	v_and_b32_e32 v6, 0x80000000, v6
	v_lshl_add_u32 v7, v7, 23, v13
	v_or3_b32 v6, v6, v7, v8
	v_lshrrev_b32_e32 v13, 16, v6
.LBB695_726:
	s_or_b64 exec, exec, s[8:9]
.LBB695_727:
	s_or_b64 exec, exec, s[6:7]
.LBB695_728:
	s_or_b64 exec, exec, s[0:1]
	s_movk_i32 s0, 0xff
	v_and_b32_sdwa v17, v3, s0 dst_sel:DWORD dst_unused:UNUSED_PAD src0_sel:WORD_1 src1_sel:DWORD
	v_lshrrev_b32_e32 v6, 16, v3
	v_cmp_ne_u16_e32 vcc, 0, v17
	v_mov_b32_e32 v7, 0
	v_mov_b32_e32 v8, 0
	s_and_saveexec_b64 s[0:1], vcc
	s_cbranch_execz .LBB695_734
; %bb.729:
	s_movk_i32 s3, 0x80
	v_cmp_ne_u16_e32 vcc, s3, v17
	v_mov_b32_e32 v8, 0xffff8000
	s_and_saveexec_b64 s[6:7], vcc
	s_cbranch_execz .LBB695_733
; %bb.730:
	v_bfe_u32 v17, v3, 16, 7
	s_movk_i32 s3, 0x7f
	v_cmp_ne_u32_e32 vcc, s3, v17
	v_mov_b32_e32 v8, 0x7f80
	s_and_saveexec_b64 s[8:9], vcc
	s_cbranch_execz .LBB695_732
; %bb.731:
	v_and_b32_e32 v8, 7, v6
	v_ffbh_u32_e32 v18, v8
	v_min_u32_e32 v21, 32, v18
	v_subrev_u32_e32 v18, 28, v21
	v_lshlrev_b64 v[18:19], v18, v[6:7]
	v_lshrrev_b32_e32 v20, 3, v17
	v_sub_u32_e32 v6, 29, v21
	v_and_b32_e32 v18, 7, v18
	v_cmp_gt_u32_e32 vcc, 8, v17
	v_mov_b32_e32 v17, 24
	v_cndmask_b32_e32 v6, v20, v6, vcc
	v_cndmask_b32_e32 v8, v8, v18, vcc
	v_lshlrev_b32_sdwa v17, v17, v3 dst_sel:DWORD dst_unused:UNUSED_PAD src0_sel:DWORD src1_sel:WORD_1
	v_bfrev_b32_e32 v18, 60
	v_lshlrev_b32_e32 v8, 20, v8
	v_and_b32_e32 v17, 0x80000000, v17
	v_lshl_add_u32 v6, v6, 23, v18
	v_or3_b32 v6, v17, v6, v8
	v_lshrrev_b32_e32 v8, 16, v6
.LBB695_732:
	s_or_b64 exec, exec, s[8:9]
.LBB695_733:
	s_or_b64 exec, exec, s[6:7]
.LBB695_734:
	s_or_b64 exec, exec, s[0:1]
	s_mov_b32 s0, -1
	s_mov_b32 s1, 0xffffff
	v_cmp_lt_u64_e32 vcc, s[0:1], v[2:3]
	s_and_saveexec_b64 s[0:1], vcc
	s_cbranch_execz .LBB695_740
; %bb.735:
	v_lshrrev_b32_e32 v2, 24, v3
	s_movk_i32 s3, 0x80
	v_cmp_ne_u32_e32 vcc, s3, v2
	v_mov_b32_e32 v7, 0xffff8000
	s_and_saveexec_b64 s[6:7], vcc
	s_cbranch_execz .LBB695_739
; %bb.736:
	v_bfe_u32 v3, v3, 24, 7
	s_movk_i32 s3, 0x7f
	v_cmp_ne_u32_e32 vcc, s3, v3
	v_mov_b32_e32 v7, 0x7f80
	s_and_saveexec_b64 s[8:9], vcc
	s_cbranch_execz .LBB695_738
; %bb.737:
	v_and_b32_e32 v17, 7, v2
	v_ffbh_u32_e32 v6, v17
	v_min_u32_e32 v19, 32, v6
	v_subrev_u32_e32 v6, 28, v19
	v_lshlrev_b64 v[6:7], v6, v[2:3]
	v_lshrrev_b32_e32 v18, 3, v3
	v_sub_u32_e32 v7, 29, v19
	v_and_b32_e32 v6, 7, v6
	v_cmp_gt_u32_e32 vcc, 8, v3
	v_cndmask_b32_e32 v3, v18, v7, vcc
	v_cndmask_b32_e32 v6, v17, v6, vcc
	v_lshlrev_b32_e32 v2, 24, v2
	v_bfrev_b32_e32 v7, 60
	v_lshlrev_b32_e32 v6, 20, v6
	v_and_b32_e32 v2, 0x80000000, v2
	v_lshl_add_u32 v3, v3, 23, v7
	v_or3_b32 v2, v2, v3, v6
	v_lshrrev_b32_e32 v7, 16, v2
.LBB695_738:
	s_or_b64 exec, exec, s[8:9]
.LBB695_739:
	s_or_b64 exec, exec, s[6:7]
.LBB695_740:
	s_or_b64 exec, exec, s[0:1]
	s_mov_b32 s0, 0x5040100
	v_perm_b32 v3, v12, v11, s0
	v_perm_b32 v2, v9, v10, s0
	;; [unrolled: 1-line block ×4, first 2 shown]
	v_mfma_f32_4x4x4bf16_1k a[0:3], v[14:15], v[2:3], a[0:3] cbsz:4 abid:12
	v_mov_b32_e32 v8, 0
	v_mfma_f32_4x4x4bf16_1k a[0:3], v[14:15], v[6:7], a[0:3] cbsz:4 abid:13
	v_mov_b32_e32 v7, 0
	v_cmp_ne_u16_sdwa s[6:7], v4, v7 src0_sel:BYTE_0 src1_sel:DWORD
	s_and_saveexec_b64 s[0:1], s[6:7]
	s_cbranch_execz .LBB695_746
; %bb.741:
	s_movk_i32 s3, 0x80
	v_cmp_ne_u16_sdwa s[8:9], v4, s3 src0_sel:BYTE_0 src1_sel:DWORD
	v_mov_b32_e32 v8, 0xffff8000
	s_and_saveexec_b64 s[6:7], s[8:9]
	s_cbranch_execz .LBB695_745
; %bb.742:
	s_movk_i32 s3, 0x7f
	v_and_b32_e32 v2, 0x7f, v4
	v_cmp_ne_u32_e32 vcc, s3, v2
	v_mov_b32_e32 v8, 0x7f80
	s_and_saveexec_b64 s[8:9], vcc
	s_cbranch_execz .LBB695_744
; %bb.743:
	v_and_b32_e32 v3, 7, v4
	v_ffbh_u32_e32 v3, v3
	v_min_u32_e32 v3, 32, v3
	v_subrev_u32_e32 v8, 28, v3
	v_cmp_gt_u32_e32 vcc, 8, v2
	v_lshrrev_b32_e32 v6, 3, v2
	v_sub_u32_e32 v3, 29, v3
	v_cndmask_b32_e32 v2, 0, v8, vcc
	v_cndmask_b32_e32 v6, v6, v3, vcc
	v_lshlrev_b64 v[2:3], v2, v[4:5]
	v_lshlrev_b32_e32 v2, 20, v2
	v_lshlrev_b32_e32 v3, 24, v4
	v_bfrev_b32_e32 v8, 60
	v_and_b32_e32 v2, 0x700000, v2
	v_and_b32_e32 v3, 0x80000000, v3
	v_lshl_add_u32 v6, v6, 23, v8
	v_or3_b32 v2, v3, v6, v2
	v_lshrrev_b32_e32 v8, 16, v2
.LBB695_744:
	s_or_b64 exec, exec, s[8:9]
.LBB695_745:
	s_or_b64 exec, exec, s[6:7]
.LBB695_746:
	s_or_b64 exec, exec, s[0:1]
	v_lshrrev_b16_e32 v2, 8, v4
	v_cmp_ne_u16_e32 vcc, 0, v2
	s_and_saveexec_b64 s[0:1], vcc
	s_cbranch_execz .LBB695_752
; %bb.747:
	s_movk_i32 s3, 0x80
	v_cmp_ne_u16_e32 vcc, s3, v2
	v_mov_b32_e32 v7, 0xffff8000
	s_and_saveexec_b64 s[6:7], vcc
	s_cbranch_execz .LBB695_751
; %bb.748:
	s_movk_i32 s3, 0x7f
	v_and_b32_e32 v3, 0x7f, v2
	v_cmp_ne_u32_e32 vcc, s3, v3
	v_mov_b32_e32 v7, 0x7f80
	s_and_saveexec_b64 s[8:9], vcc
	s_cbranch_execz .LBB695_750
; %bb.749:
	v_and_b32_e32 v9, 7, v2
	v_ffbh_u32_e32 v6, v9
	v_min_u32_e32 v11, 32, v6
	v_subrev_u32_e32 v6, 28, v11
	v_lshlrev_b64 v[6:7], v6, v[2:3]
	v_lshrrev_b32_e32 v10, 3, v3
	v_sub_u32_e32 v2, 29, v11
	v_and_b32_e32 v6, 7, v6
	v_cmp_gt_u32_e32 vcc, 8, v3
	v_cndmask_b32_e32 v2, v10, v2, vcc
	v_cndmask_b32_e32 v3, v9, v6, vcc
	v_lshlrev_b32_e32 v6, 16, v4
	v_bfrev_b32_e32 v7, 60
	v_lshlrev_b32_e32 v3, 20, v3
	v_and_b32_e32 v6, 0x80000000, v6
	v_lshl_add_u32 v2, v2, 23, v7
	v_or3_b32 v2, v6, v2, v3
	v_lshrrev_b32_e32 v7, 16, v2
.LBB695_750:
	s_or_b64 exec, exec, s[8:9]
.LBB695_751:
	s_or_b64 exec, exec, s[6:7]
.LBB695_752:
	s_or_b64 exec, exec, s[0:1]
	s_movk_i32 s0, 0xff
	v_and_b32_sdwa v6, v4, s0 dst_sel:DWORD dst_unused:UNUSED_PAD src0_sel:WORD_1 src1_sel:DWORD
	v_lshrrev_b32_e32 v2, 16, v4
	v_cmp_ne_u16_e32 vcc, 0, v6
	v_mov_b32_e32 v3, 0
	v_mov_b32_e32 v9, 0
	s_and_saveexec_b64 s[0:1], vcc
	s_cbranch_execz .LBB695_758
; %bb.753:
	s_movk_i32 s3, 0x80
	v_cmp_ne_u16_e32 vcc, s3, v6
	v_mov_b32_e32 v9, 0xffff8000
	s_and_saveexec_b64 s[6:7], vcc
	s_cbranch_execz .LBB695_757
; %bb.754:
	v_bfe_u32 v6, v4, 16, 7
	s_movk_i32 s3, 0x7f
	v_cmp_ne_u32_e32 vcc, s3, v6
	v_mov_b32_e32 v9, 0x7f80
	s_and_saveexec_b64 s[8:9], vcc
	s_cbranch_execz .LBB695_756
; %bb.755:
	v_and_b32_e32 v9, 7, v2
	v_ffbh_u32_e32 v10, v9
	v_min_u32_e32 v13, 32, v10
	v_subrev_u32_e32 v10, 28, v13
	v_lshlrev_b64 v[10:11], v10, v[2:3]
	v_and_b32_e32 v10, 7, v10
	v_cmp_gt_u32_e32 vcc, 8, v6
	v_lshrrev_b32_e32 v12, 3, v6
	v_sub_u32_e32 v2, 29, v13
	v_cndmask_b32_e32 v6, v9, v10, vcc
	v_mov_b32_e32 v9, 24
	v_cndmask_b32_e32 v2, v12, v2, vcc
	v_lshlrev_b32_sdwa v9, v9, v4 dst_sel:DWORD dst_unused:UNUSED_PAD src0_sel:DWORD src1_sel:WORD_1
	v_bfrev_b32_e32 v10, 60
	v_lshlrev_b32_e32 v6, 20, v6
	v_and_b32_e32 v9, 0x80000000, v9
	v_lshl_add_u32 v2, v2, 23, v10
	v_or3_b32 v2, v9, v2, v6
	v_lshrrev_b32_e32 v9, 16, v2
.LBB695_756:
	s_or_b64 exec, exec, s[8:9]
.LBB695_757:
	s_or_b64 exec, exec, s[6:7]
.LBB695_758:
	s_or_b64 exec, exec, s[0:1]
	s_mov_b32 s0, 0xffffff
	v_cmp_lt_u32_e32 vcc, s0, v4
	v_mov_b32_e32 v10, 0
	s_and_saveexec_b64 s[0:1], vcc
	s_cbranch_execz .LBB695_764
; %bb.759:
	v_lshrrev_b32_e32 v2, 24, v4
	s_movk_i32 s3, 0x80
	v_cmp_ne_u32_e32 vcc, s3, v2
	v_mov_b32_e32 v10, 0xffff8000
	s_and_saveexec_b64 s[6:7], vcc
	s_cbranch_execz .LBB695_763
; %bb.760:
	v_bfe_u32 v6, v4, 24, 7
	s_movk_i32 s3, 0x7f
	v_cmp_ne_u32_e32 vcc, s3, v6
	v_mov_b32_e32 v10, 0x7f80
	s_and_saveexec_b64 s[8:9], vcc
	s_cbranch_execz .LBB695_762
; %bb.761:
	v_and_b32_e32 v12, 7, v2
	v_ffbh_u32_e32 v10, v12
	v_min_u32_e32 v16, 32, v10
	v_subrev_u32_e32 v10, 28, v16
	v_lshlrev_b64 v[10:11], v10, v[2:3]
	v_lshrrev_b32_e32 v13, 3, v6
	v_sub_u32_e32 v11, 29, v16
	v_and_b32_e32 v10, 7, v10
	v_cmp_gt_u32_e32 vcc, 8, v6
	v_cndmask_b32_e32 v6, v13, v11, vcc
	v_cndmask_b32_e32 v10, v12, v10, vcc
	v_lshlrev_b32_e32 v2, 24, v2
	v_bfrev_b32_e32 v11, 60
	v_lshlrev_b32_e32 v10, 20, v10
	v_and_b32_e32 v2, 0x80000000, v2
	v_lshl_add_u32 v6, v6, 23, v11
	v_or3_b32 v2, v2, v6, v10
	v_lshrrev_b32_e32 v10, 16, v2
.LBB695_762:
	s_or_b64 exec, exec, s[8:9]
.LBB695_763:
	s_or_b64 exec, exec, s[6:7]
.LBB695_764:
	s_or_b64 exec, exec, s[0:1]
	v_mov_b32_e32 v11, 0
	v_mov_b32_e32 v2, v5
	v_cmp_ne_u16_sdwa s[6:7], v5, v11 src0_sel:BYTE_0 src1_sel:DWORD
	v_mov_b32_e32 v12, 0
	s_and_saveexec_b64 s[0:1], s[6:7]
	s_cbranch_execz .LBB695_770
; %bb.765:
	s_movk_i32 s3, 0x80
	v_cmp_ne_u16_sdwa s[8:9], v5, s3 src0_sel:BYTE_0 src1_sel:DWORD
	v_mov_b32_e32 v12, 0xffff8000
	s_and_saveexec_b64 s[6:7], s[8:9]
	s_cbranch_execz .LBB695_769
; %bb.766:
	s_movk_i32 s3, 0x7f
	v_and_b32_e32 v6, 0x7f, v5
	v_cmp_ne_u32_e32 vcc, s3, v6
	v_mov_b32_e32 v12, 0x7f80
	s_and_saveexec_b64 s[8:9], vcc
	s_cbranch_execz .LBB695_768
; %bb.767:
	v_and_b32_e32 v12, 7, v5
	v_ffbh_u32_e32 v12, v12
	v_min_u32_e32 v12, 32, v12
	v_lshrrev_b32_e32 v13, 3, v6
	v_subrev_u32_e32 v16, 28, v12
	v_sub_u32_e32 v12, 29, v12
	v_cmp_gt_u32_e32 vcc, 8, v6
	v_cndmask_b32_e32 v6, v13, v12, vcc
	v_cndmask_b32_e32 v12, 0, v16, vcc
	v_lshlrev_b64 v[12:13], v12, v[2:3]
	v_lshlrev_b32_e32 v3, 20, v12
	v_lshlrev_b32_e32 v12, 24, v2
	v_bfrev_b32_e32 v13, 60
	v_and_b32_e32 v3, 0x700000, v3
	v_and_b32_e32 v12, 0x80000000, v12
	v_lshl_add_u32 v6, v6, 23, v13
	v_or3_b32 v3, v12, v6, v3
	v_lshrrev_b32_e32 v12, 16, v3
.LBB695_768:
	s_or_b64 exec, exec, s[8:9]
.LBB695_769:
	s_or_b64 exec, exec, s[6:7]
.LBB695_770:
	s_or_b64 exec, exec, s[0:1]
	v_lshrrev_b16_e32 v6, 8, v2
	v_cmp_ne_u16_e32 vcc, 0, v6
	s_and_saveexec_b64 s[0:1], vcc
	s_cbranch_execz .LBB695_776
; %bb.771:
	s_movk_i32 s3, 0x80
	v_cmp_ne_u16_e32 vcc, s3, v6
	v_mov_b32_e32 v11, 0xffff8000
	s_and_saveexec_b64 s[6:7], vcc
	s_cbranch_execz .LBB695_775
; %bb.772:
	s_movk_i32 s3, 0x7f
	v_and_b32_e32 v3, 0x7f, v6
	v_cmp_ne_u32_e32 vcc, s3, v3
	v_mov_b32_e32 v11, 0x7f80
	s_and_saveexec_b64 s[8:9], vcc
	s_cbranch_execz .LBB695_774
; %bb.773:
	v_and_b32_e32 v11, 7, v6
	v_ffbh_u32_e32 v16, v11
	v_min_u32_e32 v18, 32, v16
	v_subrev_u32_e32 v16, 28, v18
	v_lshlrev_b64 v[16:17], v16, v[6:7]
	v_lshrrev_b32_e32 v13, 3, v3
	v_sub_u32_e32 v6, 29, v18
	v_and_b32_e32 v16, 7, v16
	v_cmp_gt_u32_e32 vcc, 8, v3
	v_cndmask_b32_e32 v3, v13, v6, vcc
	v_cndmask_b32_e32 v6, v11, v16, vcc
	v_lshlrev_b32_e32 v2, 16, v2
	v_bfrev_b32_e32 v11, 60
	v_lshlrev_b32_e32 v6, 20, v6
	v_and_b32_e32 v2, 0x80000000, v2
	v_lshl_add_u32 v3, v3, 23, v11
	v_or3_b32 v2, v2, v3, v6
	v_lshrrev_b32_e32 v11, 16, v2
.LBB695_774:
	s_or_b64 exec, exec, s[8:9]
.LBB695_775:
	s_or_b64 exec, exec, s[6:7]
.LBB695_776:
	s_or_b64 exec, exec, s[0:1]
	s_movk_i32 s0, 0xff
	v_and_b32_sdwa v13, v5, s0 dst_sel:DWORD dst_unused:UNUSED_PAD src0_sel:WORD_1 src1_sel:DWORD
	v_lshrrev_b32_e32 v2, 16, v5
	v_cmp_ne_u16_e32 vcc, 0, v13
	v_mov_b32_e32 v3, 0
	v_mov_b32_e32 v6, 0
	s_and_saveexec_b64 s[0:1], vcc
	s_cbranch_execz .LBB695_782
; %bb.777:
	s_movk_i32 s3, 0x80
	v_cmp_ne_u16_e32 vcc, s3, v13
	v_mov_b32_e32 v6, 0xffff8000
	s_and_saveexec_b64 s[6:7], vcc
	s_cbranch_execz .LBB695_781
; %bb.778:
	v_bfe_u32 v13, v5, 16, 7
	s_movk_i32 s3, 0x7f
	v_cmp_ne_u32_e32 vcc, s3, v13
	v_mov_b32_e32 v6, 0x7f80
	s_and_saveexec_b64 s[8:9], vcc
	s_cbranch_execz .LBB695_780
; %bb.779:
	v_and_b32_e32 v6, 7, v2
	v_ffbh_u32_e32 v16, v6
	v_min_u32_e32 v19, 32, v16
	v_subrev_u32_e32 v16, 28, v19
	v_lshlrev_b64 v[16:17], v16, v[2:3]
	v_lshrrev_b32_e32 v18, 3, v13
	v_sub_u32_e32 v2, 29, v19
	v_and_b32_e32 v16, 7, v16
	v_cmp_gt_u32_e32 vcc, 8, v13
	v_mov_b32_e32 v13, 24
	v_cndmask_b32_e32 v2, v18, v2, vcc
	v_cndmask_b32_e32 v6, v6, v16, vcc
	v_lshlrev_b32_sdwa v13, v13, v5 dst_sel:DWORD dst_unused:UNUSED_PAD src0_sel:DWORD src1_sel:WORD_1
	v_bfrev_b32_e32 v16, 60
	v_lshlrev_b32_e32 v6, 20, v6
	v_and_b32_e32 v13, 0x80000000, v13
	v_lshl_add_u32 v2, v2, 23, v16
	v_or3_b32 v2, v13, v2, v6
	v_lshrrev_b32_e32 v6, 16, v2
.LBB695_780:
	s_or_b64 exec, exec, s[8:9]
.LBB695_781:
	s_or_b64 exec, exec, s[6:7]
.LBB695_782:
	s_or_b64 exec, exec, s[0:1]
	s_mov_b32 s0, -1
	s_mov_b32 s1, 0xffffff
	v_cmp_lt_u64_e32 vcc, s[0:1], v[4:5]
	s_and_saveexec_b64 s[0:1], vcc
	s_cbranch_execz .LBB695_788
; %bb.783:
	v_lshrrev_b32_e32 v2, 24, v5
	s_movk_i32 s3, 0x80
	v_cmp_ne_u32_e32 vcc, s3, v2
	v_mov_b32_e32 v3, 0xffff8000
	s_and_saveexec_b64 s[6:7], vcc
	s_cbranch_execz .LBB695_787
; %bb.784:
	v_bfe_u32 v4, v5, 24, 7
	s_movk_i32 s3, 0x7f
	v_cmp_ne_u32_e32 vcc, s3, v4
	v_mov_b32_e32 v3, 0x7f80
	s_and_saveexec_b64 s[8:9], vcc
	s_cbranch_execz .LBB695_786
; %bb.785:
	v_and_b32_e32 v3, 7, v2
	v_ffbh_u32_e32 v13, v3
	v_min_u32_e32 v13, 32, v13
	v_subrev_u32_e32 v16, 28, v13
	v_lshlrev_b64 v[16:17], v16, v[2:3]
	v_lshrrev_b32_e32 v5, 3, v4
	v_sub_u32_e32 v13, 29, v13
	v_and_b32_e32 v16, 7, v16
	v_cmp_gt_u32_e32 vcc, 8, v4
	v_cndmask_b32_e32 v4, v5, v13, vcc
	v_cndmask_b32_e32 v3, v3, v16, vcc
	v_lshlrev_b32_e32 v2, 24, v2
	v_bfrev_b32_e32 v5, 60
	v_lshlrev_b32_e32 v3, 20, v3
	v_and_b32_e32 v2, 0x80000000, v2
	v_lshl_add_u32 v4, v4, 23, v5
	v_or3_b32 v2, v2, v4, v3
	v_lshrrev_b32_e32 v3, 16, v2
.LBB695_786:
	s_or_b64 exec, exec, s[8:9]
.LBB695_787:
	s_or_b64 exec, exec, s[6:7]
.LBB695_788:
	s_or_b64 exec, exec, s[0:1]
	s_mov_b32 s0, 0x5040100
	v_perm_b32 v5, v10, v9, s0
	v_perm_b32 v4, v7, v8, s0
	;; [unrolled: 1-line block ×4, first 2 shown]
	v_mfma_f32_4x4x4bf16_1k a[0:3], v[14:15], v[4:5], a[0:3] cbsz:4 abid:14
	s_load_dword s0, s[14:15], 0x0
	v_mfma_f32_4x4x4bf16_1k a[0:3], v[14:15], v[2:3], a[0:3] cbsz:4 abid:15
	s_nop 4
	v_accvgpr_read_b32 v5, a1
	v_accvgpr_read_b32 v4, a0
	;; [unrolled: 1-line block ×4, first 2 shown]
	s_waitcnt lgkmcnt(0)
	v_pk_mul_f32 v[4:5], v[4:5], s[0:1] op_sel_hi:[1,0]
	v_pk_mul_f32 v[2:3], v[2:3], s[0:1] op_sel_hi:[1,0]
	v_bfe_u32 v6, v5, 16, 1
	v_bfe_u32 v7, v4, 16, 1
	s_movk_i32 s0, 0x7fff
	v_add3_u32 v4, v4, v7, s0
	v_add3_u32 v5, v5, v6, s0
	v_bfe_u32 v6, v3, 16, 1
	v_bfe_u32 v7, v2, 16, 1
	v_add3_u32 v2, v2, v7, s0
	v_add3_u32 v3, v3, v6, s0
	s_mov_b32 s0, 0x7060302
	v_perm_b32 v23, v3, v2, s0
	v_perm_b32 v22, v5, v4, s0
.LBB695_789:
	s_or_b64 exec, exec, s[4:5]
	v_lshlrev_b32_e32 v1, 3, v1
	v_mad_u32_u24 v1, v42, 40, v1
	v_cmp_gt_u32_e32 vcc, 64, v0
	ds_write_b64 v1, v[22:23]
	s_waitcnt lgkmcnt(0)
	s_barrier
	s_and_saveexec_b64 s[0:1], vcc
	s_cbranch_execz .LBB695_791
; %bb.790:
	v_mul_u32_u24_e32 v1, 40, v42
	s_waitcnt vmcnt(0)
	ds_read2_b64 v[2:5], v1 offset1:1
	ds_read2_b64 v[6:9], v1 offset0:2 offset1:3
	s_mov_b32 s1, 0
	s_lshl_b32 s0, s2, 6
	s_lshl_b64 s[2:3], s[0:1], 1
	s_waitcnt lgkmcnt(1)
	v_and_b32_e32 v1, 0xffff0000, v2
	v_add_f32_e32 v1, 0, v1
	v_and_b32_e32 v3, 0xffff0000, v4
	v_and_b32_e32 v1, 0xffff0000, v1
	v_add_f32_e32 v1, v1, v3
	s_waitcnt lgkmcnt(0)
	v_and_b32_e32 v5, 0xffff0000, v6
	v_and_b32_e32 v1, 0xffff0000, v1
	v_add_f32_e32 v1, v1, v5
	v_and_b32_e32 v1, 0xffff0000, v1
	v_and_b32_e32 v3, 0xffff0000, v8
	v_add_f32_e32 v7, v1, v3
	v_lshlrev_b32_e32 v1, 16, v2
	s_add_u32 s2, s30, s2
	v_add_f32_e32 v1, 0, v1
	s_addc_u32 s3, s31, s3
	s_lshl_b32 s0, s28, 6
	v_and_b32_e32 v1, 0xffff0000, v1
	v_lshlrev_b32_e32 v2, 16, v4
	s_lshl_b64 s[0:1], s[0:1], 1
	v_add_f32_e32 v1, v1, v2
	s_add_u32 s0, s2, s0
	v_and_b32_e32 v1, 0xffff0000, v1
	v_lshlrev_b32_e32 v2, 16, v6
	s_addc_u32 s1, s3, s1
	s_lshl_b32 s2, s33, 6
	v_add_f32_e32 v1, v1, v2
	v_and_b32_e32 v1, 0xffff0000, v1
	v_lshlrev_b32_e32 v2, 16, v8
	s_mul_i32 s3, s2, s10
	v_add_f32_e32 v1, v1, v2
	v_or_b32_e32 v2, s3, v0
	v_mov_b32_e32 v3, 0
	v_lshlrev_b64 v[4:5], 1, v[2:3]
	v_mov_b32_e32 v2, s1
	v_add_co_u32_e32 v4, vcc, s0, v4
	s_add_i32 s3, s3, s2
	v_addc_co_u32_e32 v5, vcc, v2, v5, vcc
	v_or_b32_e32 v2, s3, v0
	global_store_short_d16_hi v[4:5], v1, off
	v_lshlrev_b64 v[0:1], 1, v[2:3]
	v_mov_b32_e32 v2, s1
	v_add_co_u32_e32 v0, vcc, s0, v0
	v_addc_co_u32_e32 v1, vcc, v2, v1, vcc
	global_store_short_d16_hi v[0:1], v7, off
.LBB695_791:
	s_endpgm
	.section	.rodata,"a",@progbits
	.p2align	6, 0x0
	.amdhsa_kernel _Z38paged_attention_ll4mi_QKV_mfma4_kernelI14__hip_bfloat16hLN4vllm18Fp8KVCacheDataTypeE1ES0_Li16ELi64ELi256ELb0ELi2EEvPKT_PKT0_S8_ifPKiSA_SA_iPKfiiiPfSD_PS3_PT2_iSC_SC_
		.amdhsa_group_segment_fixed_size 2720
		.amdhsa_private_segment_fixed_size 0
		.amdhsa_kernarg_size 400
		.amdhsa_user_sgpr_count 6
		.amdhsa_user_sgpr_private_segment_buffer 1
		.amdhsa_user_sgpr_dispatch_ptr 0
		.amdhsa_user_sgpr_queue_ptr 0
		.amdhsa_user_sgpr_kernarg_segment_ptr 1
		.amdhsa_user_sgpr_dispatch_id 0
		.amdhsa_user_sgpr_flat_scratch_init 0
		.amdhsa_user_sgpr_kernarg_preload_length 0
		.amdhsa_user_sgpr_kernarg_preload_offset 0
		.amdhsa_user_sgpr_private_segment_size 0
		.amdhsa_uses_dynamic_stack 0
		.amdhsa_system_sgpr_private_segment_wavefront_offset 0
		.amdhsa_system_sgpr_workgroup_id_x 1
		.amdhsa_system_sgpr_workgroup_id_y 1
		.amdhsa_system_sgpr_workgroup_id_z 1
		.amdhsa_system_sgpr_workgroup_info 0
		.amdhsa_system_vgpr_workitem_id 0
		.amdhsa_next_free_vgpr 60
		.amdhsa_next_free_sgpr 42
		.amdhsa_accum_offset 56
		.amdhsa_reserve_vcc 1
		.amdhsa_reserve_flat_scratch 0
		.amdhsa_float_round_mode_32 0
		.amdhsa_float_round_mode_16_64 0
		.amdhsa_float_denorm_mode_32 3
		.amdhsa_float_denorm_mode_16_64 3
		.amdhsa_dx10_clamp 1
		.amdhsa_ieee_mode 1
		.amdhsa_fp16_overflow 0
		.amdhsa_tg_split 0
		.amdhsa_exception_fp_ieee_invalid_op 0
		.amdhsa_exception_fp_denorm_src 0
		.amdhsa_exception_fp_ieee_div_zero 0
		.amdhsa_exception_fp_ieee_overflow 0
		.amdhsa_exception_fp_ieee_underflow 0
		.amdhsa_exception_fp_ieee_inexact 0
		.amdhsa_exception_int_div_zero 0
	.end_amdhsa_kernel
	.section	.text._Z38paged_attention_ll4mi_QKV_mfma4_kernelI14__hip_bfloat16hLN4vllm18Fp8KVCacheDataTypeE1ES0_Li16ELi64ELi256ELb0ELi2EEvPKT_PKT0_S8_ifPKiSA_SA_iPKfiiiPfSD_PS3_PT2_iSC_SC_,"axG",@progbits,_Z38paged_attention_ll4mi_QKV_mfma4_kernelI14__hip_bfloat16hLN4vllm18Fp8KVCacheDataTypeE1ES0_Li16ELi64ELi256ELb0ELi2EEvPKT_PKT0_S8_ifPKiSA_SA_iPKfiiiPfSD_PS3_PT2_iSC_SC_,comdat
.Lfunc_end695:
	.size	_Z38paged_attention_ll4mi_QKV_mfma4_kernelI14__hip_bfloat16hLN4vllm18Fp8KVCacheDataTypeE1ES0_Li16ELi64ELi256ELb0ELi2EEvPKT_PKT0_S8_ifPKiSA_SA_iPKfiiiPfSD_PS3_PT2_iSC_SC_, .Lfunc_end695-_Z38paged_attention_ll4mi_QKV_mfma4_kernelI14__hip_bfloat16hLN4vllm18Fp8KVCacheDataTypeE1ES0_Li16ELi64ELi256ELb0ELi2EEvPKT_PKT0_S8_ifPKiSA_SA_iPKfiiiPfSD_PS3_PT2_iSC_SC_
                                        ; -- End function
	.section	.AMDGPU.csdata,"",@progbits
; Kernel info:
; codeLenInByte = 27736
; NumSgprs: 46
; NumVgprs: 55
; NumAgprs: 4
; TotalNumVgprs: 60
; ScratchSize: 0
; MemoryBound: 0
; FloatMode: 240
; IeeeMode: 1
; LDSByteSize: 2720 bytes/workgroup (compile time only)
; SGPRBlocks: 5
; VGPRBlocks: 7
; NumSGPRsForWavesPerEU: 46
; NumVGPRsForWavesPerEU: 60
; AccumOffset: 56
; Occupancy: 8
; WaveLimiterHint : 1
; COMPUTE_PGM_RSRC2:SCRATCH_EN: 0
; COMPUTE_PGM_RSRC2:USER_SGPR: 6
; COMPUTE_PGM_RSRC2:TRAP_HANDLER: 0
; COMPUTE_PGM_RSRC2:TGID_X_EN: 1
; COMPUTE_PGM_RSRC2:TGID_Y_EN: 1
; COMPUTE_PGM_RSRC2:TGID_Z_EN: 1
; COMPUTE_PGM_RSRC2:TIDIG_COMP_CNT: 0
; COMPUTE_PGM_RSRC3_GFX90A:ACCUM_OFFSET: 13
; COMPUTE_PGM_RSRC3_GFX90A:TG_SPLIT: 0
	.section	.text._Z38paged_attention_ll4mi_QKV_mfma4_kernelI14__hip_bfloat16hLN4vllm18Fp8KVCacheDataTypeE1ES0_Li16ELi64ELi256ELb0ELi3EEvPKT_PKT0_S8_ifPKiSA_SA_iPKfiiiPfSD_PS3_PT2_iSC_SC_,"axG",@progbits,_Z38paged_attention_ll4mi_QKV_mfma4_kernelI14__hip_bfloat16hLN4vllm18Fp8KVCacheDataTypeE1ES0_Li16ELi64ELi256ELb0ELi3EEvPKT_PKT0_S8_ifPKiSA_SA_iPKfiiiPfSD_PS3_PT2_iSC_SC_,comdat
	.protected	_Z38paged_attention_ll4mi_QKV_mfma4_kernelI14__hip_bfloat16hLN4vllm18Fp8KVCacheDataTypeE1ES0_Li16ELi64ELi256ELb0ELi3EEvPKT_PKT0_S8_ifPKiSA_SA_iPKfiiiPfSD_PS3_PT2_iSC_SC_ ; -- Begin function _Z38paged_attention_ll4mi_QKV_mfma4_kernelI14__hip_bfloat16hLN4vllm18Fp8KVCacheDataTypeE1ES0_Li16ELi64ELi256ELb0ELi3EEvPKT_PKT0_S8_ifPKiSA_SA_iPKfiiiPfSD_PS3_PT2_iSC_SC_
	.globl	_Z38paged_attention_ll4mi_QKV_mfma4_kernelI14__hip_bfloat16hLN4vllm18Fp8KVCacheDataTypeE1ES0_Li16ELi64ELi256ELb0ELi3EEvPKT_PKT0_S8_ifPKiSA_SA_iPKfiiiPfSD_PS3_PT2_iSC_SC_
	.p2align	8
	.type	_Z38paged_attention_ll4mi_QKV_mfma4_kernelI14__hip_bfloat16hLN4vllm18Fp8KVCacheDataTypeE1ES0_Li16ELi64ELi256ELb0ELi3EEvPKT_PKT0_S8_ifPKiSA_SA_iPKfiiiPfSD_PS3_PT2_iSC_SC_,@function
_Z38paged_attention_ll4mi_QKV_mfma4_kernelI14__hip_bfloat16hLN4vllm18Fp8KVCacheDataTypeE1ES0_Li16ELi64ELi256ELb0ELi3EEvPKT_PKT0_S8_ifPKiSA_SA_iPKfiiiPfSD_PS3_PT2_iSC_SC_: ; @_Z38paged_attention_ll4mi_QKV_mfma4_kernelI14__hip_bfloat16hLN4vllm18Fp8KVCacheDataTypeE1ES0_Li16ELi64ELi256ELb0ELi3EEvPKT_PKT0_S8_ifPKiSA_SA_iPKfiiiPfSD_PS3_PT2_iSC_SC_
; %bb.0:
	s_load_dwordx2 s[2:3], s[4:5], 0x30
	s_mov_b32 s28, s7
	s_mov_b64 s[0:1], 0
	s_waitcnt lgkmcnt(0)
	s_cmp_lg_u64 s[2:3], 0
	s_cselect_b64 s[10:11], -1, 0
	s_and_b64 vcc, exec, s[10:11]
	s_cbranch_vccz .LBB696_10
; %bb.1:
	s_add_i32 s12, s6, 1
	s_mov_b32 s13, 0
	s_lshl_b64 s[14:15], s[12:13], 2
	s_add_u32 s14, s2, s14
	s_mov_b32 s7, s13
	s_addc_u32 s15, s3, s15
	s_lshl_b64 s[12:13], s[6:7], 2
	s_add_u32 s12, s2, s12
	s_addc_u32 s13, s3, s13
	s_load_dword s9, s[14:15], 0x0
	s_load_dword s16, s[12:13], 0x0
	s_waitcnt lgkmcnt(0)
	s_sub_i32 s9, s9, s16
	s_cmp_eq_u32 s9, 1
	s_cselect_b64 s[12:13], -1, 0
	s_andn2_b64 vcc, exec, s[0:1]
	s_cbranch_vccnz .LBB696_3
.LBB696_2:
	s_mov_b32 s7, 0
	s_mov_b64 s[12:13], -1
.LBB696_3:
	s_andn2_b64 vcc, exec, s[12:13]
	s_cbranch_vccnz .LBB696_791
; %bb.4:
	s_load_dword s9, s[4:5], 0x9c
	s_load_dwordx2 s[0:1], s[4:5], 0x28
	s_add_u32 s34, s4, 0x90
	s_addc_u32 s35, s5, 0
	s_lshl_b64 s[20:21], s[6:7], 2
	s_waitcnt lgkmcnt(0)
	s_and_b32 s9, s9, 0xffff
	s_add_u32 s0, s0, s20
	s_addc_u32 s1, s1, s21
	s_load_dword s7, s[0:1], 0x0
	s_mul_i32 s9, s28, s9
	s_waitcnt lgkmcnt(0)
	s_cmp_ge_i32 s9, s7
	s_cbranch_scc1 .LBB696_791
; %bb.5:
	v_and_b32_e32 v2, 0xc0, v0
	v_add_u32_e32 v4, s9, v2
	v_lshrrev_b32_e32 v1, 6, v0
	v_cmp_gt_i32_e64 s[0:1], s7, v4
	v_cmp_le_i32_e32 vcc, s7, v4
                                        ; implicit-def: $sgpr23
                                        ; implicit-def: $sgpr22
	s_and_saveexec_b64 s[12:13], vcc
	s_xor_b64 s[12:13], exec, s[12:13]
	s_cbranch_execz .LBB696_7
; %bb.6:
	v_mul_u32_u24_e32 v2, 20, v1
	v_or_b32_e32 v2, 0xa00, v2
	v_mov_b32_e32 v3, 0xa50
	v_mov_b32_e32 v4, 0xff7fffff
	v_mad_u32_u24 v3, v1, 20, v3
	ds_write2_b32 v2, v4, v4 offset1:1
	v_mov_b32_e32 v2, 0
	ds_write2_b32 v3, v2, v2 offset1:1
	v_mov_b32_e32 v3, 0xa08
	s_mov_b32 s22, 0xff7fffff
	s_mov_b32 s23, 0
	v_mad_u32_u24 v3, v1, 20, v3
	v_mov_b32_e32 v5, 0xa58
	v_mad_u32_u24 v5, v1, 20, v5
	ds_write2_b32 v3, v4, v4 offset1:1
	ds_write2_b32 v5, v2, v2 offset1:1
                                        ; implicit-def: $vgpr4
.LBB696_7:
	s_or_saveexec_b64 s[36:37], s[12:13]
	s_load_dwordx2 s[30:31], s[4:5], 0x68
	s_load_dwordx4 s[16:19], s[4:5], 0x58
	s_load_dword s33, s[34:35], 0x4
	s_load_dwordx4 s[12:15], s[4:5], 0x80
	v_and_b32_e32 v42, 63, v0
	v_and_b32_e32 v43, 3, v0
	v_mov_b32_e32 v21, s23
	v_mov_b32_e32 v25, s22
	;; [unrolled: 1-line block ×5, first 2 shown]
                                        ; implicit-def: $vgpr14_vgpr15
                                        ; implicit-def: $vgpr10_vgpr11
                                        ; implicit-def: $vgpr6_vgpr7
                                        ; implicit-def: $vgpr2_vgpr3
	s_xor_b64 exec, exec, s[36:37]
	s_cbranch_execz .LBB696_401
; %bb.8:
	s_add_i32 s25, s7, 15
	s_ashr_i32 s26, s25, 31
	s_load_dwordx2 s[22:23], s[4:5], 0x20
	s_load_dword s24, s[4:5], 0x38
	s_lshr_b32 s26, s26, 28
	v_add_u32_e32 v44, s9, v0
	s_add_i32 s25, s25, s26
	v_ashrrev_i32_e32 v2, 31, v44
	s_ashr_i32 s25, s25, 4
	v_lshrrev_b32_e32 v2, 28, v2
	s_add_i32 s26, s25, -1
	v_add_u32_e32 v2, v44, v2
	v_ashrrev_i32_e32 v2, 4, v2
	v_mov_b32_e32 v3, s26
	v_cmp_gt_i32_e32 vcc, s7, v44
	s_waitcnt lgkmcnt(0)
	s_mul_i32 s24, s6, s24
	s_mov_b32 s25, 0
	v_cndmask_b32_e32 v2, v3, v2, vcc
	s_lshl_b64 s[24:25], s[24:25], 2
	v_ashrrev_i32_e32 v3, 31, v2
	s_add_u32 s22, s22, s24
	v_lshlrev_b64 v[2:3], 2, v[2:3]
	v_add_co_u32_e32 v8, vcc, s22, v2
	v_ashrrev_i32_e32 v2, 31, v4
	v_lshrrev_b32_e32 v2, 28, v2
	v_add_u32_e32 v2, v4, v2
	s_addc_u32 s23, s23, s25
	v_ashrrev_i32_e32 v4, 4, v2
	v_mov_b32_e32 v5, s23
	v_min_i32_e32 v2, s26, v4
	v_addc_co_u32_e32 v9, vcc, v5, v3, vcc
	v_ashrrev_i32_e32 v3, 31, v2
	v_lshlrev_b64 v[2:3], 2, v[2:3]
	v_add_co_u32_e32 v10, vcc, s22, v2
	v_add_u32_e32 v2, 1, v4
	v_min_i32_e32 v2, s26, v2
	v_addc_co_u32_e32 v11, vcc, v5, v3, vcc
	v_ashrrev_i32_e32 v3, 31, v2
	v_lshlrev_b64 v[2:3], 2, v[2:3]
	v_add_co_u32_e32 v12, vcc, s22, v2
	v_add_u32_e32 v2, 2, v4
	;; [unrolled: 6-line block ×3, first 2 shown]
	v_min_i32_e32 v2, s26, v2
	v_addc_co_u32_e32 v15, vcc, v5, v3, vcc
	v_ashrrev_i32_e32 v3, 31, v2
	v_lshlrev_b64 v[2:3], 2, v[2:3]
	v_mov_b32_e32 v4, s23
	v_add_co_u32_e32 v16, vcc, s22, v2
	v_addc_co_u32_e32 v17, vcc, v4, v3, vcc
	global_load_dword v6, v[8:9], off
	global_load_dword v5, v[10:11], off
	;; [unrolled: 1-line block ×5, first 2 shown]
	s_load_dwordx4 s[24:27], s[4:5], 0x8
	s_andn2_b64 vcc, exec, s[10:11]
	s_cbranch_vccnz .LBB696_11
; %bb.9:
	s_add_u32 s2, s2, s20
	s_addc_u32 s3, s3, s21
	s_load_dword s9, s[2:3], 0x0
	s_branch .LBB696_12
.LBB696_10:
	s_mov_b64 s[12:13], 0
	s_branch .LBB696_2
.LBB696_11:
	s_mov_b32 s9, s6
.LBB696_12:
	s_load_dwordx4 s[20:23], s[4:5], 0x48
	v_cmp_eq_u32_e32 vcc, 3, v43
	v_cmp_ne_u32_e64 s[2:3], 3, v43
	s_mov_b32 s39, 0
	v_mov_b32_e32 v39, 0
	v_mov_b32_e32 v18, 0
	;; [unrolled: 1-line block ×5, first 2 shown]
	s_and_saveexec_b64 s[10:11], s[2:3]
	s_cbranch_execz .LBB696_14
; %bb.13:
	s_load_dwordx2 s[2:3], s[4:5], 0x0
	s_waitcnt lgkmcnt(0)
	s_ashr_i32 s23, s20, 31
	s_mul_hi_u32 s29, s9, s20
	s_mul_i32 s23, s9, s23
	s_add_i32 s41, s29, s23
	s_mul_i32 s40, s9, s20
	s_lshl_b64 s[40:41], s[40:41], 1
	s_add_u32 s9, s2, s40
	s_mul_i32 s38, s8, 0xc0
	s_addc_u32 s20, s3, s41
	s_lshl_b64 s[2:3], s[38:39], 1
	s_add_u32 s2, s9, s2
	v_lshlrev_b32_e32 v7, 3, v43
	v_lshrrev_b32_e32 v8, 2, v42
	s_addc_u32 s3, s20, s3
	v_add_lshl_u32 v7, v7, v8, 4
	global_load_dwordx4 v[18:21], v7, s[2:3]
.LBB696_14:
	s_or_b64 exec, exec, s[10:11]
	s_waitcnt lgkmcnt(0)
	s_mul_i32 s9, s8, s22
	s_add_u32 s2, s9, s24
	s_addc_u32 s3, 0, s25
	v_pk_mov_b32 v[8:9], s[2:3], s[2:3] op_sel:[0,1]
	s_waitcnt vmcnt(4)
	v_mad_i64_i32 v[6:7], s[2:3], v6, s21, v[8:9]
	v_lshlrev_b32_e32 v8, 4, v0
	v_and_b32_e32 v8, 0xf0, v8
	v_add_co_u32_e64 v6, s[2:3], v6, v8
	v_addc_co_u32_e64 v7, s[2:3], 0, v7, s[2:3]
	s_add_u32 s2, s26, s9
	global_load_dwordx4 v[34:37], v[6:7], off
	global_load_dwordx4 v[30:33], v[6:7], off offset:256
	global_load_dwordx4 v[26:29], v[6:7], off offset:512
	global_load_dwordx4 v[22:25], v[6:7], off offset:768
	s_addc_u32 s3, s27, 0
	v_lshlrev_b32_e32 v6, 4, v42
	v_mov_b32_e32 v7, s3
	v_add_co_u32_e64 v8, s[2:3], s2, v6
	s_waitcnt vmcnt(7)
	v_mul_hi_i32 v6, v5, s21
	v_ashrrev_i32_e32 v6, 31, v6
	v_lshrrev_b32_e32 v38, 29, v6
	v_addc_co_u32_e64 v9, s[2:3], 0, v7, s[2:3]
	v_mad_i64_i32 v[6:7], s[2:3], v5, s21, v[38:39]
	v_and_b32_e32 v5, -8, v6
	v_add_co_u32_e64 v6, s[2:3], v8, v5
	s_waitcnt vmcnt(6)
	v_mul_hi_i32 v5, v4, s21
	v_ashrrev_i32_e32 v5, 31, v5
	v_lshrrev_b32_e32 v38, 29, v5
	v_addc_co_u32_e64 v7, s[2:3], v9, v7, s[2:3]
	v_mad_i64_i32 v[4:5], s[2:3], v4, s21, v[38:39]
	v_and_b32_e32 v4, -8, v4
	v_add_co_u32_e64 v4, s[2:3], v8, v4
	v_addc_co_u32_e64 v5, s[2:3], v9, v5, s[2:3]
	global_load_dwordx4 v[14:17], v[6:7], off
	global_load_dwordx4 v[10:13], v[4:5], off
	s_waitcnt vmcnt(7)
	v_mul_hi_i32 v4, v3, s21
	v_ashrrev_i32_e32 v4, 31, v4
	v_lshrrev_b32_e32 v38, 29, v4
	v_mad_i64_i32 v[4:5], s[2:3], v3, s21, v[38:39]
	v_and_b32_e32 v3, -8, v4
	v_add_co_u32_e64 v40, s[2:3], v8, v3
	s_waitcnt vmcnt(6)
	v_mul_hi_i32 v3, v2, s21
	v_ashrrev_i32_e32 v3, 31, v3
	v_lshrrev_b32_e32 v38, 29, v3
	v_addc_co_u32_e64 v41, s[2:3], v9, v5, s[2:3]
	v_mad_i64_i32 v[2:3], s[2:3], v2, s21, v[38:39]
	v_and_b32_e32 v2, -8, v2
	v_add_co_u32_e64 v46, s[2:3], v8, v2
	v_addc_co_u32_e64 v47, s[2:3], v9, v3, s[2:3]
	global_load_dwordx4 v[6:9], v[40:41], off
	global_load_dwordx4 v[2:5], v[46:47], off
	s_waitcnt vmcnt(7)
	v_cmp_ne_u16_sdwa s[2:3], v34, v39 src0_sel:BYTE_0 src1_sel:DWORD
	s_and_saveexec_b64 s[10:11], s[2:3]
	s_cbranch_execz .LBB696_20
; %bb.15:
	s_movk_i32 s2, 0x80
	v_cmp_ne_u16_sdwa s[2:3], v34, s2 src0_sel:BYTE_0 src1_sel:DWORD
	v_mov_b32_e32 v39, 0xffff8000
	s_and_saveexec_b64 s[20:21], s[2:3]
	s_cbranch_execz .LBB696_19
; %bb.16:
	s_movk_i32 s2, 0x7f
	v_and_b32_e32 v38, 0x7f, v34
	v_cmp_ne_u32_e64 s[2:3], s2, v38
	v_mov_b32_e32 v39, 0x7f80
	s_and_saveexec_b64 s[22:23], s[2:3]
	s_cbranch_execz .LBB696_18
; %bb.17:
	v_and_b32_e32 v39, 7, v34
	v_ffbh_u32_e32 v39, v39
	v_min_u32_e32 v39, 32, v39
	v_subrev_u32_e32 v41, 28, v39
	v_cmp_gt_u32_e64 s[2:3], 8, v38
	v_lshrrev_b32_e32 v40, 3, v38
	v_sub_u32_e32 v39, 29, v39
	v_cndmask_b32_e64 v38, 0, v41, s[2:3]
	v_cndmask_b32_e64 v40, v40, v39, s[2:3]
	v_lshlrev_b64 v[38:39], v38, v[34:35]
	v_lshlrev_b32_e32 v38, 20, v38
	v_lshlrev_b32_e32 v39, 24, v34
	v_bfrev_b32_e32 v41, 60
	v_and_b32_e32 v38, 0x700000, v38
	v_and_b32_e32 v39, 0x80000000, v39
	v_lshl_add_u32 v40, v40, 23, v41
	v_or3_b32 v38, v39, v40, v38
	v_lshrrev_b32_e32 v39, 16, v38
.LBB696_18:
	s_or_b64 exec, exec, s[22:23]
.LBB696_19:
	s_or_b64 exec, exec, s[20:21]
.LBB696_20:
	s_or_b64 exec, exec, s[10:11]
	v_lshrrev_b16_e32 v38, 8, v34
	v_cmp_ne_u16_e64 s[2:3], 0, v38
	v_mov_b32_e32 v46, 0
	v_mov_b32_e32 v45, 0
	s_and_saveexec_b64 s[10:11], s[2:3]
	s_cbranch_execz .LBB696_26
; %bb.21:
	s_movk_i32 s2, 0x80
	v_cmp_ne_u16_e64 s[2:3], s2, v38
	v_mov_b32_e32 v45, 0xffff8000
	s_and_saveexec_b64 s[20:21], s[2:3]
	s_cbranch_execz .LBB696_25
; %bb.22:
	s_movk_i32 s2, 0x7f
	v_and_b32_e32 v40, 0x7f, v38
	v_cmp_ne_u32_e64 s[2:3], s2, v40
	v_mov_b32_e32 v45, 0x7f80
	s_and_saveexec_b64 s[22:23], s[2:3]
	s_cbranch_execz .LBB696_24
; %bb.23:
	v_and_b32_e32 v41, 7, v38
	v_ffbh_u32_e32 v47, v41
	v_min_u32_e32 v47, 32, v47
	v_subrev_u32_e32 v48, 28, v47
	v_lshlrev_b64 v[48:49], v48, v[38:39]
	v_lshrrev_b32_e32 v45, 3, v40
	v_sub_u32_e32 v38, 29, v47
	v_and_b32_e32 v47, 7, v48
	v_cmp_gt_u32_e64 s[2:3], 8, v40
	v_cndmask_b32_e64 v38, v45, v38, s[2:3]
	v_cndmask_b32_e64 v40, v41, v47, s[2:3]
	v_lshlrev_b32_e32 v41, 16, v34
	v_bfrev_b32_e32 v45, 60
	v_lshlrev_b32_e32 v40, 20, v40
	v_and_b32_e32 v41, 0x80000000, v41
	v_lshl_add_u32 v38, v38, 23, v45
	v_or3_b32 v38, v41, v38, v40
	v_lshrrev_b32_e32 v45, 16, v38
.LBB696_24:
	s_or_b64 exec, exec, s[22:23]
.LBB696_25:
	s_or_b64 exec, exec, s[20:21]
.LBB696_26:
	s_or_b64 exec, exec, s[10:11]
	s_movk_i32 s2, 0xff
	v_and_b32_sdwa v40, v34, s2 dst_sel:DWORD dst_unused:UNUSED_PAD src0_sel:WORD_1 src1_sel:DWORD
	v_lshrrev_b32_e32 v38, 16, v34
	v_cmp_ne_u16_e64 s[2:3], 0, v40
	s_and_saveexec_b64 s[10:11], s[2:3]
	s_cbranch_execz .LBB696_32
; %bb.27:
	s_movk_i32 s2, 0x80
	v_cmp_ne_u16_e64 s[2:3], s2, v40
	v_mov_b32_e32 v46, 0xffff8000
	s_and_saveexec_b64 s[20:21], s[2:3]
	s_cbranch_execz .LBB696_31
; %bb.28:
	v_bfe_u32 v40, v34, 16, 7
	s_movk_i32 s2, 0x7f
	v_cmp_ne_u32_e64 s[2:3], s2, v40
	v_mov_b32_e32 v46, 0x7f80
	s_and_saveexec_b64 s[22:23], s[2:3]
	s_cbranch_execz .LBB696_30
; %bb.29:
	v_and_b32_e32 v41, 7, v38
	v_ffbh_u32_e32 v46, v41
	v_min_u32_e32 v49, 32, v46
	v_subrev_u32_e32 v46, 28, v49
	v_lshlrev_b64 v[46:47], v46, v[38:39]
	v_and_b32_e32 v46, 7, v46
	v_cmp_gt_u32_e64 s[2:3], 8, v40
	v_lshrrev_b32_e32 v48, 3, v40
	v_sub_u32_e32 v38, 29, v49
	v_cndmask_b32_e64 v40, v41, v46, s[2:3]
	v_mov_b32_e32 v41, 24
	v_cndmask_b32_e64 v38, v48, v38, s[2:3]
	v_lshlrev_b32_sdwa v41, v41, v34 dst_sel:DWORD dst_unused:UNUSED_PAD src0_sel:DWORD src1_sel:WORD_1
	v_bfrev_b32_e32 v46, 60
	v_lshlrev_b32_e32 v40, 20, v40
	v_and_b32_e32 v41, 0x80000000, v41
	v_lshl_add_u32 v38, v38, 23, v46
	v_or3_b32 v38, v41, v38, v40
	v_lshrrev_b32_e32 v46, 16, v38
.LBB696_30:
	s_or_b64 exec, exec, s[22:23]
.LBB696_31:
	s_or_b64 exec, exec, s[20:21]
.LBB696_32:
	s_or_b64 exec, exec, s[10:11]
	s_mov_b32 s2, 0xffffff
	v_cmp_lt_u32_e64 s[2:3], s2, v34
	v_mov_b32_e32 v41, 0
	v_mov_b32_e32 v47, 0
	s_and_saveexec_b64 s[10:11], s[2:3]
	s_cbranch_execz .LBB696_38
; %bb.33:
	v_lshrrev_b32_e32 v38, 24, v34
	s_movk_i32 s2, 0x80
	v_cmp_ne_u32_e64 s[2:3], s2, v38
	v_mov_b32_e32 v47, 0xffff8000
	s_and_saveexec_b64 s[20:21], s[2:3]
	s_cbranch_execz .LBB696_37
; %bb.34:
	v_bfe_u32 v40, v34, 24, 7
	s_movk_i32 s2, 0x7f
	v_cmp_ne_u32_e64 s[2:3], s2, v40
	v_mov_b32_e32 v47, 0x7f80
	s_and_saveexec_b64 s[22:23], s[2:3]
	s_cbranch_execz .LBB696_36
; %bb.35:
	v_and_b32_e32 v47, 7, v38
	v_ffbh_u32_e32 v48, v47
	v_min_u32_e32 v51, 32, v48
	v_subrev_u32_e32 v48, 28, v51
	v_lshlrev_b64 v[48:49], v48, v[38:39]
	v_lshrrev_b32_e32 v50, 3, v40
	v_sub_u32_e32 v49, 29, v51
	v_and_b32_e32 v48, 7, v48
	v_cmp_gt_u32_e64 s[2:3], 8, v40
	v_cndmask_b32_e64 v40, v50, v49, s[2:3]
	v_cndmask_b32_e64 v47, v47, v48, s[2:3]
	v_lshlrev_b32_e32 v38, 24, v38
	v_bfrev_b32_e32 v48, 60
	v_lshlrev_b32_e32 v47, 20, v47
	v_and_b32_e32 v38, 0x80000000, v38
	v_lshl_add_u32 v40, v40, 23, v48
	v_or3_b32 v38, v38, v40, v47
	v_lshrrev_b32_e32 v47, 16, v38
.LBB696_36:
	s_or_b64 exec, exec, s[22:23]
.LBB696_37:
	s_or_b64 exec, exec, s[20:21]
.LBB696_38:
	s_or_b64 exec, exec, s[10:11]
	v_mov_b32_e32 v40, v35
	v_cmp_ne_u16_sdwa s[2:3], v35, v41 src0_sel:BYTE_0 src1_sel:DWORD
	s_and_saveexec_b64 s[10:11], s[2:3]
	s_cbranch_execz .LBB696_44
; %bb.39:
	s_movk_i32 s2, 0x80
	v_cmp_ne_u16_sdwa s[2:3], v35, s2 src0_sel:BYTE_0 src1_sel:DWORD
	v_mov_b32_e32 v38, 0xffff8000
	s_and_saveexec_b64 s[20:21], s[2:3]
	s_cbranch_execz .LBB696_43
; %bb.40:
	s_movk_i32 s2, 0x7f
	v_and_b32_e32 v48, 0x7f, v35
	v_cmp_ne_u32_e64 s[2:3], s2, v48
	v_mov_b32_e32 v38, 0x7f80
	s_and_saveexec_b64 s[22:23], s[2:3]
	s_cbranch_execz .LBB696_42
; %bb.41:
	v_and_b32_e32 v38, 7, v35
	v_ffbh_u32_e32 v38, v38
	v_min_u32_e32 v38, 32, v38
	v_subrev_u32_e32 v50, 28, v38
	v_cmp_gt_u32_e64 s[2:3], 8, v48
	v_lshrrev_b32_e32 v49, 3, v48
	v_sub_u32_e32 v38, 29, v38
	v_cndmask_b32_e64 v48, 0, v50, s[2:3]
	v_cndmask_b32_e64 v38, v49, v38, s[2:3]
	v_lshlrev_b64 v[48:49], v48, v[40:41]
	v_lshlrev_b32_e32 v41, 20, v48
	v_lshlrev_b32_e32 v48, 24, v40
	v_bfrev_b32_e32 v49, 60
	v_and_b32_e32 v41, 0x700000, v41
	v_and_b32_e32 v48, 0x80000000, v48
	v_lshl_add_u32 v38, v38, 23, v49
	v_or3_b32 v38, v48, v38, v41
	v_lshrrev_b32_e32 v38, 16, v38
.LBB696_42:
	s_or_b64 exec, exec, s[22:23]
.LBB696_43:
	s_or_b64 exec, exec, s[20:21]
	v_mov_b32_e32 v41, v38
.LBB696_44:
	s_or_b64 exec, exec, s[10:11]
	v_lshrrev_b16_e32 v38, 8, v40
	v_cmp_ne_u16_e64 s[2:3], 0, v38
	v_mov_b32_e32 v49, 0
	v_mov_b32_e32 v48, 0
	s_and_saveexec_b64 s[10:11], s[2:3]
	s_cbranch_execz .LBB696_50
; %bb.45:
	s_movk_i32 s2, 0x80
	v_cmp_ne_u16_e64 s[2:3], s2, v38
	v_mov_b32_e32 v48, 0xffff8000
	s_and_saveexec_b64 s[20:21], s[2:3]
	s_cbranch_execz .LBB696_49
; %bb.46:
	s_movk_i32 s2, 0x7f
	v_and_b32_e32 v50, 0x7f, v38
	v_cmp_ne_u32_e64 s[2:3], s2, v50
	v_mov_b32_e32 v48, 0x7f80
	s_and_saveexec_b64 s[22:23], s[2:3]
	s_cbranch_execz .LBB696_48
; %bb.47:
	v_and_b32_e32 v48, 7, v38
	v_ffbh_u32_e32 v52, v48
	v_min_u32_e32 v54, 32, v52
	v_subrev_u32_e32 v52, 28, v54
	v_lshlrev_b64 v[52:53], v52, v[38:39]
	v_lshrrev_b32_e32 v51, 3, v50
	v_sub_u32_e32 v38, 29, v54
	v_and_b32_e32 v52, 7, v52
	v_cmp_gt_u32_e64 s[2:3], 8, v50
	v_cndmask_b32_e64 v38, v51, v38, s[2:3]
	v_cndmask_b32_e64 v48, v48, v52, s[2:3]
	v_lshlrev_b32_e32 v40, 16, v40
	v_bfrev_b32_e32 v50, 60
	v_lshlrev_b32_e32 v48, 20, v48
	v_and_b32_e32 v40, 0x80000000, v40
	v_lshl_add_u32 v38, v38, 23, v50
	v_or3_b32 v38, v40, v38, v48
	v_lshrrev_b32_e32 v48, 16, v38
.LBB696_48:
	s_or_b64 exec, exec, s[22:23]
.LBB696_49:
	s_or_b64 exec, exec, s[20:21]
.LBB696_50:
	s_or_b64 exec, exec, s[10:11]
	s_movk_i32 s2, 0xff
	v_and_b32_sdwa v40, v35, s2 dst_sel:DWORD dst_unused:UNUSED_PAD src0_sel:WORD_1 src1_sel:DWORD
	v_lshrrev_b32_e32 v38, 16, v35
	v_cmp_ne_u16_e64 s[2:3], 0, v40
	s_and_saveexec_b64 s[10:11], s[2:3]
	s_cbranch_execz .LBB696_56
; %bb.51:
	s_movk_i32 s2, 0x80
	v_cmp_ne_u16_e64 s[2:3], s2, v40
	v_mov_b32_e32 v49, 0xffff8000
	s_and_saveexec_b64 s[20:21], s[2:3]
	s_cbranch_execz .LBB696_55
; %bb.52:
	v_bfe_u32 v40, v35, 16, 7
	s_movk_i32 s2, 0x7f
	v_cmp_ne_u32_e64 s[2:3], s2, v40
	v_mov_b32_e32 v49, 0x7f80
	s_and_saveexec_b64 s[22:23], s[2:3]
	s_cbranch_execz .LBB696_54
; %bb.53:
	v_and_b32_e32 v49, 7, v38
	v_ffbh_u32_e32 v50, v49
	v_min_u32_e32 v53, 32, v50
	v_subrev_u32_e32 v50, 28, v53
	v_lshlrev_b64 v[50:51], v50, v[38:39]
	v_and_b32_e32 v50, 7, v50
	v_cmp_gt_u32_e64 s[2:3], 8, v40
	v_lshrrev_b32_e32 v52, 3, v40
	v_sub_u32_e32 v38, 29, v53
	v_cndmask_b32_e64 v40, v49, v50, s[2:3]
	v_mov_b32_e32 v49, 24
	v_cndmask_b32_e64 v38, v52, v38, s[2:3]
	v_lshlrev_b32_sdwa v49, v49, v35 dst_sel:DWORD dst_unused:UNUSED_PAD src0_sel:DWORD src1_sel:WORD_1
	v_bfrev_b32_e32 v50, 60
	v_lshlrev_b32_e32 v40, 20, v40
	v_and_b32_e32 v49, 0x80000000, v49
	v_lshl_add_u32 v38, v38, 23, v50
	v_or3_b32 v38, v49, v38, v40
	v_lshrrev_b32_e32 v49, 16, v38
.LBB696_54:
	s_or_b64 exec, exec, s[22:23]
.LBB696_55:
	s_or_b64 exec, exec, s[20:21]
.LBB696_56:
	s_or_b64 exec, exec, s[10:11]
	s_mov_b32 s2, -1
	s_mov_b32 s3, 0xffffff
	v_cmp_lt_u64_e64 s[2:3], s[2:3], v[34:35]
	v_mov_b32_e32 v40, 0
	v_mov_b32_e32 v38, 0
	s_and_saveexec_b64 s[10:11], s[2:3]
	s_cbranch_execz .LBB696_62
; %bb.57:
	v_lshrrev_b32_e32 v34, 24, v35
	s_movk_i32 s2, 0x80
	v_cmp_ne_u32_e64 s[2:3], s2, v34
	v_mov_b32_e32 v38, 0xffff8000
	s_and_saveexec_b64 s[20:21], s[2:3]
	s_cbranch_execz .LBB696_61
; %bb.58:
	v_bfe_u32 v35, v35, 24, 7
	s_movk_i32 s2, 0x7f
	v_cmp_ne_u32_e64 s[2:3], s2, v35
	v_mov_b32_e32 v38, 0x7f80
	s_and_saveexec_b64 s[22:23], s[2:3]
	s_cbranch_execz .LBB696_60
; %bb.59:
	v_and_b32_e32 v38, 7, v34
	v_ffbh_u32_e32 v50, v38
	v_min_u32_e32 v53, 32, v50
	v_subrev_u32_e32 v50, 28, v53
	v_lshlrev_b64 v[50:51], v50, v[34:35]
	v_lshrrev_b32_e32 v52, 3, v35
	v_sub_u32_e32 v51, 29, v53
	v_and_b32_e32 v50, 7, v50
	v_cmp_gt_u32_e64 s[2:3], 8, v35
	v_cndmask_b32_e64 v35, v52, v51, s[2:3]
	v_cndmask_b32_e64 v38, v38, v50, s[2:3]
	v_lshlrev_b32_e32 v34, 24, v34
	v_bfrev_b32_e32 v50, 60
	v_lshlrev_b32_e32 v38, 20, v38
	v_and_b32_e32 v34, 0x80000000, v34
	v_lshl_add_u32 v35, v35, 23, v50
	v_or3_b32 v34, v34, v35, v38
	v_lshrrev_b32_e32 v38, 16, v34
.LBB696_60:
	s_or_b64 exec, exec, s[22:23]
.LBB696_61:
	s_or_b64 exec, exec, s[20:21]
.LBB696_62:
	s_or_b64 exec, exec, s[10:11]
	s_mov_b32 s2, 0x5040100
	v_perm_b32 v35, v47, v46, s2
	v_perm_b32 v34, v45, v39, s2
	;; [unrolled: 1-line block ×4, first 2 shown]
	v_mfma_f32_4x4x4bf16_1k a[0:3], v[18:19], v[34:35], 0 cbsz:4
	v_cmp_ne_u16_sdwa s[2:3], v36, v40 src0_sel:BYTE_0 src1_sel:DWORD
	v_mfma_f32_4x4x4bf16_1k a[0:3], v[20:21], v[38:39], a[0:3] cbsz:4
	s_and_saveexec_b64 s[10:11], s[2:3]
	s_cbranch_execz .LBB696_68
; %bb.63:
	s_movk_i32 s2, 0x80
	v_cmp_ne_u16_sdwa s[2:3], v36, s2 src0_sel:BYTE_0 src1_sel:DWORD
	v_mov_b32_e32 v40, 0xffff8000
	s_and_saveexec_b64 s[20:21], s[2:3]
	s_cbranch_execz .LBB696_67
; %bb.64:
	s_movk_i32 s2, 0x7f
	v_and_b32_e32 v34, 0x7f, v36
	v_cmp_ne_u32_e64 s[2:3], s2, v34
	v_mov_b32_e32 v40, 0x7f80
	s_and_saveexec_b64 s[22:23], s[2:3]
	s_cbranch_execz .LBB696_66
; %bb.65:
	v_and_b32_e32 v35, 7, v36
	v_ffbh_u32_e32 v35, v35
	v_min_u32_e32 v35, 32, v35
	v_subrev_u32_e32 v39, 28, v35
	v_cmp_gt_u32_e64 s[2:3], 8, v34
	v_lshrrev_b32_e32 v38, 3, v34
	v_sub_u32_e32 v35, 29, v35
	v_cndmask_b32_e64 v34, 0, v39, s[2:3]
	v_cndmask_b32_e64 v38, v38, v35, s[2:3]
	v_lshlrev_b64 v[34:35], v34, v[36:37]
	v_lshlrev_b32_e32 v34, 20, v34
	v_lshlrev_b32_e32 v35, 24, v36
	v_bfrev_b32_e32 v39, 60
	v_and_b32_e32 v34, 0x700000, v34
	v_and_b32_e32 v35, 0x80000000, v35
	v_lshl_add_u32 v38, v38, 23, v39
	v_or3_b32 v34, v35, v38, v34
	v_lshrrev_b32_e32 v40, 16, v34
.LBB696_66:
	s_or_b64 exec, exec, s[22:23]
.LBB696_67:
	s_or_b64 exec, exec, s[20:21]
.LBB696_68:
	s_or_b64 exec, exec, s[10:11]
	v_lshrrev_b16_e32 v34, 8, v36
	v_cmp_ne_u16_e64 s[2:3], 0, v34
	v_mov_b32_e32 v41, 0
	v_mov_b32_e32 v39, 0
	s_and_saveexec_b64 s[10:11], s[2:3]
	s_cbranch_execz .LBB696_74
; %bb.69:
	s_movk_i32 s2, 0x80
	v_cmp_ne_u16_e64 s[2:3], s2, v34
	v_mov_b32_e32 v39, 0xffff8000
	s_and_saveexec_b64 s[20:21], s[2:3]
	s_cbranch_execz .LBB696_73
; %bb.70:
	s_movk_i32 s2, 0x7f
	v_and_b32_e32 v35, 0x7f, v34
	v_cmp_ne_u32_e64 s[2:3], s2, v35
	v_mov_b32_e32 v39, 0x7f80
	s_and_saveexec_b64 s[22:23], s[2:3]
	s_cbranch_execz .LBB696_72
; %bb.71:
	v_and_b32_e32 v45, 7, v34
	v_ffbh_u32_e32 v38, v45
	v_min_u32_e32 v47, 32, v38
	v_subrev_u32_e32 v38, 28, v47
	v_lshlrev_b64 v[38:39], v38, v[34:35]
	v_lshrrev_b32_e32 v46, 3, v35
	v_sub_u32_e32 v34, 29, v47
	v_and_b32_e32 v38, 7, v38
	v_cmp_gt_u32_e64 s[2:3], 8, v35
	v_cndmask_b32_e64 v34, v46, v34, s[2:3]
	v_cndmask_b32_e64 v35, v45, v38, s[2:3]
	v_lshlrev_b32_e32 v38, 16, v36
	v_bfrev_b32_e32 v39, 60
	v_lshlrev_b32_e32 v35, 20, v35
	v_and_b32_e32 v38, 0x80000000, v38
	v_lshl_add_u32 v34, v34, 23, v39
	v_or3_b32 v34, v38, v34, v35
	v_lshrrev_b32_e32 v39, 16, v34
.LBB696_72:
	s_or_b64 exec, exec, s[22:23]
.LBB696_73:
	s_or_b64 exec, exec, s[20:21]
.LBB696_74:
	s_or_b64 exec, exec, s[10:11]
	s_movk_i32 s2, 0xff
	v_and_b32_sdwa v35, v36, s2 dst_sel:DWORD dst_unused:UNUSED_PAD src0_sel:WORD_1 src1_sel:DWORD
	v_lshrrev_b32_e32 v34, 16, v36
	v_cmp_ne_u16_e64 s[2:3], 0, v35
	s_and_saveexec_b64 s[10:11], s[2:3]
	s_cbranch_execz .LBB696_80
; %bb.75:
	s_movk_i32 s2, 0x80
	v_cmp_ne_u16_e64 s[2:3], s2, v35
	v_mov_b32_e32 v41, 0xffff8000
	s_and_saveexec_b64 s[20:21], s[2:3]
	s_cbranch_execz .LBB696_79
; %bb.76:
	v_bfe_u32 v35, v36, 16, 7
	s_movk_i32 s2, 0x7f
	v_cmp_ne_u32_e64 s[2:3], s2, v35
	v_mov_b32_e32 v41, 0x7f80
	s_and_saveexec_b64 s[22:23], s[2:3]
	s_cbranch_execz .LBB696_78
; %bb.77:
	v_and_b32_e32 v38, 7, v34
	v_ffbh_u32_e32 v45, v38
	v_min_u32_e32 v45, 32, v45
	v_subrev_u32_e32 v46, 28, v45
	v_lshlrev_b64 v[46:47], v46, v[34:35]
	v_sub_u32_e32 v34, 29, v45
	v_and_b32_e32 v45, 7, v46
	v_cmp_gt_u32_e64 s[2:3], 8, v35
	v_lshrrev_b32_e32 v41, 3, v35
	v_cndmask_b32_e64 v35, v38, v45, s[2:3]
	v_mov_b32_e32 v38, 24
	v_cndmask_b32_e64 v34, v41, v34, s[2:3]
	v_lshlrev_b32_sdwa v38, v38, v36 dst_sel:DWORD dst_unused:UNUSED_PAD src0_sel:DWORD src1_sel:WORD_1
	v_bfrev_b32_e32 v41, 60
	v_lshlrev_b32_e32 v35, 20, v35
	v_and_b32_e32 v38, 0x80000000, v38
	v_lshl_add_u32 v34, v34, 23, v41
	v_or3_b32 v34, v38, v34, v35
	v_lshrrev_b32_e32 v41, 16, v34
.LBB696_78:
	s_or_b64 exec, exec, s[22:23]
.LBB696_79:
	s_or_b64 exec, exec, s[20:21]
.LBB696_80:
	s_or_b64 exec, exec, s[10:11]
	s_mov_b32 s2, 0xffffff
	v_cmp_lt_u32_e64 s[2:3], s2, v36
	v_mov_b32_e32 v35, 0
	v_mov_b32_e32 v45, 0
	s_and_saveexec_b64 s[10:11], s[2:3]
	s_cbranch_execz .LBB696_86
; %bb.81:
	v_lshrrev_b32_e32 v34, 24, v36
	s_movk_i32 s2, 0x80
	v_cmp_ne_u32_e64 s[2:3], s2, v34
	v_mov_b32_e32 v45, 0xffff8000
	s_and_saveexec_b64 s[20:21], s[2:3]
	s_cbranch_execz .LBB696_85
; %bb.82:
	v_bfe_u32 v38, v36, 24, 7
	s_movk_i32 s2, 0x7f
	v_cmp_ne_u32_e64 s[2:3], s2, v38
	v_mov_b32_e32 v45, 0x7f80
	s_and_saveexec_b64 s[22:23], s[2:3]
	s_cbranch_execz .LBB696_84
; %bb.83:
	v_and_b32_e32 v45, 7, v34
	v_ffbh_u32_e32 v46, v45
	v_min_u32_e32 v49, 32, v46
	v_subrev_u32_e32 v46, 28, v49
	v_lshlrev_b64 v[46:47], v46, v[34:35]
	v_lshrrev_b32_e32 v48, 3, v38
	v_sub_u32_e32 v47, 29, v49
	v_and_b32_e32 v46, 7, v46
	v_cmp_gt_u32_e64 s[2:3], 8, v38
	v_cndmask_b32_e64 v38, v48, v47, s[2:3]
	v_cndmask_b32_e64 v45, v45, v46, s[2:3]
	v_lshlrev_b32_e32 v34, 24, v34
	v_bfrev_b32_e32 v46, 60
	v_lshlrev_b32_e32 v45, 20, v45
	v_and_b32_e32 v34, 0x80000000, v34
	v_lshl_add_u32 v38, v38, 23, v46
	v_or3_b32 v34, v34, v38, v45
	v_lshrrev_b32_e32 v45, 16, v34
.LBB696_84:
	s_or_b64 exec, exec, s[22:23]
.LBB696_85:
	s_or_b64 exec, exec, s[20:21]
.LBB696_86:
	s_or_b64 exec, exec, s[10:11]
	v_mov_b32_e32 v34, v37
	v_cmp_ne_u16_sdwa s[2:3], v37, v35 src0_sel:BYTE_0 src1_sel:DWORD
	s_and_saveexec_b64 s[10:11], s[2:3]
	s_cbranch_execz .LBB696_92
; %bb.87:
	s_movk_i32 s2, 0x80
	v_cmp_ne_u16_sdwa s[2:3], v37, s2 src0_sel:BYTE_0 src1_sel:DWORD
	v_mov_b32_e32 v38, 0xffff8000
	s_and_saveexec_b64 s[20:21], s[2:3]
	s_cbranch_execz .LBB696_91
; %bb.88:
	s_movk_i32 s2, 0x7f
	v_and_b32_e32 v46, 0x7f, v37
	v_cmp_ne_u32_e64 s[2:3], s2, v46
	v_mov_b32_e32 v38, 0x7f80
	s_and_saveexec_b64 s[22:23], s[2:3]
	s_cbranch_execz .LBB696_90
; %bb.89:
	v_and_b32_e32 v38, 7, v37
	v_ffbh_u32_e32 v38, v38
	v_min_u32_e32 v38, 32, v38
	v_subrev_u32_e32 v48, 28, v38
	v_cmp_gt_u32_e64 s[2:3], 8, v46
	v_lshrrev_b32_e32 v47, 3, v46
	v_sub_u32_e32 v38, 29, v38
	v_cndmask_b32_e64 v46, 0, v48, s[2:3]
	v_cndmask_b32_e64 v38, v47, v38, s[2:3]
	v_lshlrev_b64 v[46:47], v46, v[34:35]
	v_lshlrev_b32_e32 v35, 20, v46
	v_lshlrev_b32_e32 v46, 24, v34
	v_bfrev_b32_e32 v47, 60
	v_and_b32_e32 v35, 0x700000, v35
	v_and_b32_e32 v46, 0x80000000, v46
	v_lshl_add_u32 v38, v38, 23, v47
	v_or3_b32 v35, v46, v38, v35
	v_lshrrev_b32_e32 v38, 16, v35
.LBB696_90:
	s_or_b64 exec, exec, s[22:23]
.LBB696_91:
	s_or_b64 exec, exec, s[20:21]
	v_mov_b32_e32 v35, v38
.LBB696_92:
	s_or_b64 exec, exec, s[10:11]
	v_lshrrev_b16_e32 v38, 8, v34
	v_cmp_ne_u16_e64 s[2:3], 0, v38
	v_mov_b32_e32 v47, 0
	v_mov_b32_e32 v46, 0
	s_and_saveexec_b64 s[10:11], s[2:3]
	s_cbranch_execz .LBB696_98
; %bb.93:
	s_movk_i32 s2, 0x80
	v_cmp_ne_u16_e64 s[2:3], s2, v38
	v_mov_b32_e32 v46, 0xffff8000
	s_and_saveexec_b64 s[20:21], s[2:3]
	s_cbranch_execz .LBB696_97
; %bb.94:
	s_movk_i32 s2, 0x7f
	v_and_b32_e32 v48, 0x7f, v38
	v_cmp_ne_u32_e64 s[2:3], s2, v48
	v_mov_b32_e32 v46, 0x7f80
	s_and_saveexec_b64 s[22:23], s[2:3]
	s_cbranch_execz .LBB696_96
; %bb.95:
	v_and_b32_e32 v46, 7, v38
	v_ffbh_u32_e32 v50, v46
	v_min_u32_e32 v52, 32, v50
	v_subrev_u32_e32 v50, 28, v52
	v_lshlrev_b64 v[50:51], v50, v[38:39]
	v_lshrrev_b32_e32 v49, 3, v48
	v_sub_u32_e32 v38, 29, v52
	v_and_b32_e32 v50, 7, v50
	v_cmp_gt_u32_e64 s[2:3], 8, v48
	v_cndmask_b32_e64 v38, v49, v38, s[2:3]
	v_cndmask_b32_e64 v46, v46, v50, s[2:3]
	v_lshlrev_b32_e32 v34, 16, v34
	v_bfrev_b32_e32 v48, 60
	v_lshlrev_b32_e32 v46, 20, v46
	v_and_b32_e32 v34, 0x80000000, v34
	v_lshl_add_u32 v38, v38, 23, v48
	v_or3_b32 v34, v34, v38, v46
	v_lshrrev_b32_e32 v46, 16, v34
.LBB696_96:
	s_or_b64 exec, exec, s[22:23]
.LBB696_97:
	s_or_b64 exec, exec, s[20:21]
.LBB696_98:
	s_or_b64 exec, exec, s[10:11]
	s_movk_i32 s2, 0xff
	v_and_b32_sdwa v38, v37, s2 dst_sel:DWORD dst_unused:UNUSED_PAD src0_sel:WORD_1 src1_sel:DWORD
	v_lshrrev_b32_e32 v34, 16, v37
	v_cmp_ne_u16_e64 s[2:3], 0, v38
	s_and_saveexec_b64 s[10:11], s[2:3]
	s_cbranch_execz .LBB696_104
; %bb.99:
	s_movk_i32 s2, 0x80
	v_cmp_ne_u16_e64 s[2:3], s2, v38
	v_mov_b32_e32 v47, 0xffff8000
	s_and_saveexec_b64 s[20:21], s[2:3]
	s_cbranch_execz .LBB696_103
; %bb.100:
	v_bfe_u32 v38, v37, 16, 7
	s_movk_i32 s2, 0x7f
	v_cmp_ne_u32_e64 s[2:3], s2, v38
	v_mov_b32_e32 v47, 0x7f80
	s_and_saveexec_b64 s[22:23], s[2:3]
	s_cbranch_execz .LBB696_102
; %bb.101:
	v_and_b32_e32 v47, 7, v34
	v_ffbh_u32_e32 v48, v47
	v_min_u32_e32 v51, 32, v48
	v_subrev_u32_e32 v48, 28, v51
	v_lshlrev_b64 v[48:49], v48, v[34:35]
	v_and_b32_e32 v48, 7, v48
	v_cmp_gt_u32_e64 s[2:3], 8, v38
	v_lshrrev_b32_e32 v50, 3, v38
	v_sub_u32_e32 v34, 29, v51
	v_cndmask_b32_e64 v38, v47, v48, s[2:3]
	v_mov_b32_e32 v47, 24
	v_cndmask_b32_e64 v34, v50, v34, s[2:3]
	v_lshlrev_b32_sdwa v47, v47, v37 dst_sel:DWORD dst_unused:UNUSED_PAD src0_sel:DWORD src1_sel:WORD_1
	v_bfrev_b32_e32 v48, 60
	v_lshlrev_b32_e32 v38, 20, v38
	v_and_b32_e32 v47, 0x80000000, v47
	v_lshl_add_u32 v34, v34, 23, v48
	v_or3_b32 v34, v47, v34, v38
	v_lshrrev_b32_e32 v47, 16, v34
.LBB696_102:
	s_or_b64 exec, exec, s[22:23]
.LBB696_103:
	s_or_b64 exec, exec, s[20:21]
.LBB696_104:
	s_or_b64 exec, exec, s[10:11]
	s_mov_b32 s2, -1
	s_mov_b32 s3, 0xffffff
	v_cmp_lt_u64_e64 s[2:3], s[2:3], v[36:37]
	v_mov_b32_e32 v38, 0
	v_mov_b32_e32 v36, 0
	s_and_saveexec_b64 s[10:11], s[2:3]
	s_cbranch_execz .LBB696_110
; %bb.105:
	v_lshrrev_b32_e32 v34, 24, v37
	s_movk_i32 s2, 0x80
	v_cmp_ne_u32_e64 s[2:3], s2, v34
	v_mov_b32_e32 v36, 0xffff8000
	s_and_saveexec_b64 s[20:21], s[2:3]
	s_cbranch_execz .LBB696_109
; %bb.106:
	v_bfe_u32 v37, v37, 24, 7
	s_movk_i32 s2, 0x7f
	v_cmp_ne_u32_e64 s[2:3], s2, v37
	v_mov_b32_e32 v36, 0x7f80
	s_and_saveexec_b64 s[22:23], s[2:3]
	s_cbranch_execz .LBB696_108
; %bb.107:
	v_and_b32_e32 v36, 7, v34
	v_ffbh_u32_e32 v48, v36
	v_min_u32_e32 v51, 32, v48
	v_subrev_u32_e32 v48, 28, v51
	v_lshlrev_b64 v[48:49], v48, v[34:35]
	v_lshrrev_b32_e32 v50, 3, v37
	v_sub_u32_e32 v49, 29, v51
	v_and_b32_e32 v48, 7, v48
	v_cmp_gt_u32_e64 s[2:3], 8, v37
	v_cndmask_b32_e64 v37, v50, v49, s[2:3]
	v_cndmask_b32_e64 v36, v36, v48, s[2:3]
	v_lshlrev_b32_e32 v34, 24, v34
	v_bfrev_b32_e32 v48, 60
	v_lshlrev_b32_e32 v36, 20, v36
	v_and_b32_e32 v34, 0x80000000, v34
	v_lshl_add_u32 v37, v37, 23, v48
	v_or3_b32 v34, v34, v37, v36
	v_lshrrev_b32_e32 v36, 16, v34
.LBB696_108:
	s_or_b64 exec, exec, s[22:23]
.LBB696_109:
	s_or_b64 exec, exec, s[20:21]
.LBB696_110:
	s_or_b64 exec, exec, s[10:11]
	s_mov_b32 s2, 0x5040100
	v_perm_b32 v41, v45, v41, s2
	v_perm_b32 v40, v39, v40, s2
	;; [unrolled: 1-line block ×4, first 2 shown]
	v_mfma_f32_4x4x4bf16_1k a[0:3], v[18:19], v[40:41], a[0:3] cbsz:4 abid:1
	s_waitcnt vmcnt(6)
	v_cmp_ne_u16_sdwa s[2:3], v30, v38 src0_sel:BYTE_0 src1_sel:DWORD
	v_mfma_f32_4x4x4bf16_1k a[0:3], v[20:21], v[36:37], a[0:3] cbsz:4 abid:1
	s_and_saveexec_b64 s[10:11], s[2:3]
	s_cbranch_execz .LBB696_116
; %bb.111:
	s_movk_i32 s2, 0x80
	v_cmp_ne_u16_sdwa s[2:3], v30, s2 src0_sel:BYTE_0 src1_sel:DWORD
	v_mov_b32_e32 v38, 0xffff8000
	s_and_saveexec_b64 s[20:21], s[2:3]
	s_cbranch_execz .LBB696_115
; %bb.112:
	s_movk_i32 s2, 0x7f
	v_and_b32_e32 v34, 0x7f, v30
	v_cmp_ne_u32_e64 s[2:3], s2, v34
	v_mov_b32_e32 v38, 0x7f80
	s_and_saveexec_b64 s[22:23], s[2:3]
	s_cbranch_execz .LBB696_114
; %bb.113:
	v_and_b32_e32 v35, 7, v30
	v_ffbh_u32_e32 v35, v35
	v_min_u32_e32 v35, 32, v35
	v_subrev_u32_e32 v37, 28, v35
	v_cmp_gt_u32_e64 s[2:3], 8, v34
	v_lshrrev_b32_e32 v36, 3, v34
	v_sub_u32_e32 v35, 29, v35
	v_cndmask_b32_e64 v34, 0, v37, s[2:3]
	v_cndmask_b32_e64 v36, v36, v35, s[2:3]
	v_lshlrev_b64 v[34:35], v34, v[30:31]
	v_lshlrev_b32_e32 v34, 20, v34
	v_lshlrev_b32_e32 v35, 24, v30
	v_bfrev_b32_e32 v37, 60
	v_and_b32_e32 v34, 0x700000, v34
	v_and_b32_e32 v35, 0x80000000, v35
	v_lshl_add_u32 v36, v36, 23, v37
	v_or3_b32 v34, v35, v36, v34
	v_lshrrev_b32_e32 v38, 16, v34
.LBB696_114:
	s_or_b64 exec, exec, s[22:23]
.LBB696_115:
	s_or_b64 exec, exec, s[20:21]
.LBB696_116:
	s_or_b64 exec, exec, s[10:11]
	v_lshrrev_b16_e32 v34, 8, v30
	v_cmp_ne_u16_e64 s[2:3], 0, v34
	v_mov_b32_e32 v39, 0
	v_mov_b32_e32 v37, 0
	s_and_saveexec_b64 s[10:11], s[2:3]
	s_cbranch_execz .LBB696_122
; %bb.117:
	s_movk_i32 s2, 0x80
	v_cmp_ne_u16_e64 s[2:3], s2, v34
	v_mov_b32_e32 v37, 0xffff8000
	s_and_saveexec_b64 s[20:21], s[2:3]
	s_cbranch_execz .LBB696_121
; %bb.118:
	s_movk_i32 s2, 0x7f
	v_and_b32_e32 v35, 0x7f, v34
	v_cmp_ne_u32_e64 s[2:3], s2, v35
	v_mov_b32_e32 v37, 0x7f80
	s_and_saveexec_b64 s[22:23], s[2:3]
	s_cbranch_execz .LBB696_120
; %bb.119:
	v_and_b32_e32 v40, 7, v34
	v_ffbh_u32_e32 v36, v40
	v_min_u32_e32 v45, 32, v36
	v_subrev_u32_e32 v36, 28, v45
	v_lshlrev_b64 v[36:37], v36, v[34:35]
	v_lshrrev_b32_e32 v41, 3, v35
	v_sub_u32_e32 v34, 29, v45
	v_and_b32_e32 v36, 7, v36
	v_cmp_gt_u32_e64 s[2:3], 8, v35
	v_cndmask_b32_e64 v34, v41, v34, s[2:3]
	v_cndmask_b32_e64 v35, v40, v36, s[2:3]
	v_lshlrev_b32_e32 v36, 16, v30
	v_bfrev_b32_e32 v37, 60
	v_lshlrev_b32_e32 v35, 20, v35
	v_and_b32_e32 v36, 0x80000000, v36
	v_lshl_add_u32 v34, v34, 23, v37
	v_or3_b32 v34, v36, v34, v35
	v_lshrrev_b32_e32 v37, 16, v34
.LBB696_120:
	s_or_b64 exec, exec, s[22:23]
.LBB696_121:
	s_or_b64 exec, exec, s[20:21]
.LBB696_122:
	s_or_b64 exec, exec, s[10:11]
	s_movk_i32 s2, 0xff
	v_and_b32_sdwa v35, v30, s2 dst_sel:DWORD dst_unused:UNUSED_PAD src0_sel:WORD_1 src1_sel:DWORD
	v_lshrrev_b32_e32 v34, 16, v30
	v_cmp_ne_u16_e64 s[2:3], 0, v35
	s_and_saveexec_b64 s[10:11], s[2:3]
	s_cbranch_execz .LBB696_128
; %bb.123:
	s_movk_i32 s2, 0x80
	v_cmp_ne_u16_e64 s[2:3], s2, v35
	v_mov_b32_e32 v39, 0xffff8000
	s_and_saveexec_b64 s[20:21], s[2:3]
	s_cbranch_execz .LBB696_127
; %bb.124:
	v_bfe_u32 v35, v30, 16, 7
	s_movk_i32 s2, 0x7f
	v_cmp_ne_u32_e64 s[2:3], s2, v35
	v_mov_b32_e32 v39, 0x7f80
	s_and_saveexec_b64 s[22:23], s[2:3]
	s_cbranch_execz .LBB696_126
; %bb.125:
	v_and_b32_e32 v36, 7, v34
	v_ffbh_u32_e32 v40, v36
	v_min_u32_e32 v45, 32, v40
	v_subrev_u32_e32 v40, 28, v45
	v_lshlrev_b64 v[40:41], v40, v[34:35]
	v_and_b32_e32 v40, 7, v40
	v_cmp_gt_u32_e64 s[2:3], 8, v35
	v_lshrrev_b32_e32 v39, 3, v35
	v_sub_u32_e32 v34, 29, v45
	v_cndmask_b32_e64 v35, v36, v40, s[2:3]
	v_mov_b32_e32 v36, 24
	v_cndmask_b32_e64 v34, v39, v34, s[2:3]
	v_lshlrev_b32_sdwa v36, v36, v30 dst_sel:DWORD dst_unused:UNUSED_PAD src0_sel:DWORD src1_sel:WORD_1
	v_bfrev_b32_e32 v39, 60
	v_lshlrev_b32_e32 v35, 20, v35
	v_and_b32_e32 v36, 0x80000000, v36
	v_lshl_add_u32 v34, v34, 23, v39
	v_or3_b32 v34, v36, v34, v35
	v_lshrrev_b32_e32 v39, 16, v34
.LBB696_126:
	s_or_b64 exec, exec, s[22:23]
.LBB696_127:
	s_or_b64 exec, exec, s[20:21]
.LBB696_128:
	s_or_b64 exec, exec, s[10:11]
	s_mov_b32 s2, 0xffffff
	v_cmp_lt_u32_e64 s[2:3], s2, v30
	v_mov_b32_e32 v35, 0
	v_mov_b32_e32 v40, 0
	s_and_saveexec_b64 s[10:11], s[2:3]
	s_cbranch_execz .LBB696_134
; %bb.129:
	v_lshrrev_b32_e32 v34, 24, v30
	s_movk_i32 s2, 0x80
	v_cmp_ne_u32_e64 s[2:3], s2, v34
	v_mov_b32_e32 v40, 0xffff8000
	s_and_saveexec_b64 s[20:21], s[2:3]
	s_cbranch_execz .LBB696_133
; %bb.130:
	v_bfe_u32 v36, v30, 24, 7
	s_movk_i32 s2, 0x7f
	v_cmp_ne_u32_e64 s[2:3], s2, v36
	v_mov_b32_e32 v40, 0x7f80
	s_and_saveexec_b64 s[22:23], s[2:3]
	s_cbranch_execz .LBB696_132
; %bb.131:
	v_and_b32_e32 v45, 7, v34
	v_ffbh_u32_e32 v40, v45
	v_min_u32_e32 v47, 32, v40
	v_subrev_u32_e32 v40, 28, v47
	v_lshlrev_b64 v[40:41], v40, v[34:35]
	v_lshrrev_b32_e32 v46, 3, v36
	v_sub_u32_e32 v41, 29, v47
	v_and_b32_e32 v40, 7, v40
	v_cmp_gt_u32_e64 s[2:3], 8, v36
	v_cndmask_b32_e64 v36, v46, v41, s[2:3]
	v_cndmask_b32_e64 v40, v45, v40, s[2:3]
	v_lshlrev_b32_e32 v34, 24, v34
	v_bfrev_b32_e32 v41, 60
	v_lshlrev_b32_e32 v40, 20, v40
	v_and_b32_e32 v34, 0x80000000, v34
	v_lshl_add_u32 v36, v36, 23, v41
	v_or3_b32 v34, v34, v36, v40
	v_lshrrev_b32_e32 v40, 16, v34
.LBB696_132:
	s_or_b64 exec, exec, s[22:23]
.LBB696_133:
	s_or_b64 exec, exec, s[20:21]
.LBB696_134:
	s_or_b64 exec, exec, s[10:11]
	v_mov_b32_e32 v34, v31
	v_cmp_ne_u16_sdwa s[2:3], v31, v35 src0_sel:BYTE_0 src1_sel:DWORD
	s_and_saveexec_b64 s[10:11], s[2:3]
	s_cbranch_execz .LBB696_140
; %bb.135:
	s_movk_i32 s2, 0x80
	v_cmp_ne_u16_sdwa s[2:3], v31, s2 src0_sel:BYTE_0 src1_sel:DWORD
	v_mov_b32_e32 v36, 0xffff8000
	s_and_saveexec_b64 s[20:21], s[2:3]
	s_cbranch_execz .LBB696_139
; %bb.136:
	s_movk_i32 s2, 0x7f
	v_and_b32_e32 v41, 0x7f, v31
	v_cmp_ne_u32_e64 s[2:3], s2, v41
	v_mov_b32_e32 v36, 0x7f80
	s_and_saveexec_b64 s[22:23], s[2:3]
	s_cbranch_execz .LBB696_138
; %bb.137:
	v_and_b32_e32 v36, 7, v31
	v_ffbh_u32_e32 v36, v36
	v_min_u32_e32 v36, 32, v36
	v_subrev_u32_e32 v46, 28, v36
	v_cmp_gt_u32_e64 s[2:3], 8, v41
	v_lshrrev_b32_e32 v45, 3, v41
	v_cndmask_b32_e64 v41, 0, v46, s[2:3]
	v_sub_u32_e32 v36, 29, v36
	v_lshlrev_b64 v[46:47], v41, v[34:35]
	v_cndmask_b32_e64 v36, v45, v36, s[2:3]
	v_lshlrev_b32_e32 v35, 20, v46
	v_lshlrev_b32_e32 v41, 24, v34
	v_bfrev_b32_e32 v45, 60
	v_and_b32_e32 v35, 0x700000, v35
	v_and_b32_e32 v41, 0x80000000, v41
	v_lshl_add_u32 v36, v36, 23, v45
	v_or3_b32 v35, v41, v36, v35
	v_lshrrev_b32_e32 v36, 16, v35
.LBB696_138:
	s_or_b64 exec, exec, s[22:23]
.LBB696_139:
	s_or_b64 exec, exec, s[20:21]
	v_mov_b32_e32 v35, v36
.LBB696_140:
	s_or_b64 exec, exec, s[10:11]
	v_lshrrev_b16_e32 v36, 8, v34
	v_cmp_ne_u16_e64 s[2:3], 0, v36
	v_mov_b32_e32 v45, 0
	v_mov_b32_e32 v41, 0
	s_and_saveexec_b64 s[10:11], s[2:3]
	s_cbranch_execz .LBB696_146
; %bb.141:
	s_movk_i32 s2, 0x80
	v_cmp_ne_u16_e64 s[2:3], s2, v36
	v_mov_b32_e32 v41, 0xffff8000
	s_and_saveexec_b64 s[20:21], s[2:3]
	s_cbranch_execz .LBB696_145
; %bb.142:
	s_movk_i32 s2, 0x7f
	v_and_b32_e32 v46, 0x7f, v36
	v_cmp_ne_u32_e64 s[2:3], s2, v46
	v_mov_b32_e32 v41, 0x7f80
	s_and_saveexec_b64 s[22:23], s[2:3]
	s_cbranch_execz .LBB696_144
; %bb.143:
	v_and_b32_e32 v41, 7, v36
	v_ffbh_u32_e32 v48, v41
	v_min_u32_e32 v50, 32, v48
	v_subrev_u32_e32 v48, 28, v50
	v_lshlrev_b64 v[48:49], v48, v[36:37]
	v_lshrrev_b32_e32 v47, 3, v46
	v_sub_u32_e32 v36, 29, v50
	v_and_b32_e32 v48, 7, v48
	v_cmp_gt_u32_e64 s[2:3], 8, v46
	v_cndmask_b32_e64 v36, v47, v36, s[2:3]
	v_cndmask_b32_e64 v41, v41, v48, s[2:3]
	v_lshlrev_b32_e32 v34, 16, v34
	v_bfrev_b32_e32 v46, 60
	v_lshlrev_b32_e32 v41, 20, v41
	v_and_b32_e32 v34, 0x80000000, v34
	v_lshl_add_u32 v36, v36, 23, v46
	v_or3_b32 v34, v34, v36, v41
	v_lshrrev_b32_e32 v41, 16, v34
.LBB696_144:
	s_or_b64 exec, exec, s[22:23]
.LBB696_145:
	s_or_b64 exec, exec, s[20:21]
.LBB696_146:
	s_or_b64 exec, exec, s[10:11]
	s_movk_i32 s2, 0xff
	v_and_b32_sdwa v36, v31, s2 dst_sel:DWORD dst_unused:UNUSED_PAD src0_sel:WORD_1 src1_sel:DWORD
	v_lshrrev_b32_e32 v34, 16, v31
	v_cmp_ne_u16_e64 s[2:3], 0, v36
	s_and_saveexec_b64 s[10:11], s[2:3]
	s_cbranch_execz .LBB696_152
; %bb.147:
	s_movk_i32 s2, 0x80
	v_cmp_ne_u16_e64 s[2:3], s2, v36
	v_mov_b32_e32 v45, 0xffff8000
	s_and_saveexec_b64 s[20:21], s[2:3]
	s_cbranch_execz .LBB696_151
; %bb.148:
	v_bfe_u32 v36, v31, 16, 7
	s_movk_i32 s2, 0x7f
	v_cmp_ne_u32_e64 s[2:3], s2, v36
	v_mov_b32_e32 v45, 0x7f80
	s_and_saveexec_b64 s[22:23], s[2:3]
	s_cbranch_execz .LBB696_150
; %bb.149:
	v_and_b32_e32 v45, 7, v34
	v_ffbh_u32_e32 v46, v45
	v_min_u32_e32 v49, 32, v46
	v_subrev_u32_e32 v46, 28, v49
	v_lshlrev_b64 v[46:47], v46, v[34:35]
	v_and_b32_e32 v46, 7, v46
	v_cmp_gt_u32_e64 s[2:3], 8, v36
	v_lshrrev_b32_e32 v48, 3, v36
	v_sub_u32_e32 v34, 29, v49
	v_cndmask_b32_e64 v36, v45, v46, s[2:3]
	v_mov_b32_e32 v45, 24
	v_cndmask_b32_e64 v34, v48, v34, s[2:3]
	v_lshlrev_b32_sdwa v45, v45, v31 dst_sel:DWORD dst_unused:UNUSED_PAD src0_sel:DWORD src1_sel:WORD_1
	v_bfrev_b32_e32 v46, 60
	v_lshlrev_b32_e32 v36, 20, v36
	v_and_b32_e32 v45, 0x80000000, v45
	v_lshl_add_u32 v34, v34, 23, v46
	v_or3_b32 v34, v45, v34, v36
	v_lshrrev_b32_e32 v45, 16, v34
.LBB696_150:
	s_or_b64 exec, exec, s[22:23]
.LBB696_151:
	s_or_b64 exec, exec, s[20:21]
.LBB696_152:
	s_or_b64 exec, exec, s[10:11]
	s_mov_b32 s2, -1
	s_mov_b32 s3, 0xffffff
	v_cmp_lt_u64_e64 s[2:3], s[2:3], v[30:31]
	v_mov_b32_e32 v36, 0
	v_mov_b32_e32 v34, 0
	s_and_saveexec_b64 s[10:11], s[2:3]
	s_cbranch_execz .LBB696_158
; %bb.153:
	v_lshrrev_b32_e32 v30, 24, v31
	s_movk_i32 s2, 0x80
	v_cmp_ne_u32_e64 s[2:3], s2, v30
	v_mov_b32_e32 v34, 0xffff8000
	s_and_saveexec_b64 s[20:21], s[2:3]
	s_cbranch_execz .LBB696_157
; %bb.154:
	v_bfe_u32 v31, v31, 24, 7
	s_movk_i32 s2, 0x7f
	v_cmp_ne_u32_e64 s[2:3], s2, v31
	v_mov_b32_e32 v34, 0x7f80
	s_and_saveexec_b64 s[22:23], s[2:3]
	s_cbranch_execz .LBB696_156
; %bb.155:
	v_and_b32_e32 v34, 7, v30
	v_ffbh_u32_e32 v46, v34
	v_min_u32_e32 v49, 32, v46
	v_subrev_u32_e32 v46, 28, v49
	v_lshlrev_b64 v[46:47], v46, v[30:31]
	v_lshrrev_b32_e32 v48, 3, v31
	v_sub_u32_e32 v47, 29, v49
	v_and_b32_e32 v46, 7, v46
	v_cmp_gt_u32_e64 s[2:3], 8, v31
	v_cndmask_b32_e64 v31, v48, v47, s[2:3]
	v_cndmask_b32_e64 v34, v34, v46, s[2:3]
	v_lshlrev_b32_e32 v30, 24, v30
	v_bfrev_b32_e32 v46, 60
	v_lshlrev_b32_e32 v34, 20, v34
	v_and_b32_e32 v30, 0x80000000, v30
	v_lshl_add_u32 v31, v31, 23, v46
	v_or3_b32 v30, v30, v31, v34
	v_lshrrev_b32_e32 v34, 16, v30
.LBB696_156:
	s_or_b64 exec, exec, s[22:23]
.LBB696_157:
	s_or_b64 exec, exec, s[20:21]
.LBB696_158:
	s_or_b64 exec, exec, s[10:11]
	s_mov_b32 s2, 0x5040100
	v_perm_b32 v31, v40, v39, s2
	v_perm_b32 v30, v37, v38, s2
	;; [unrolled: 1-line block ×4, first 2 shown]
	v_mfma_f32_4x4x4bf16_1k a[0:3], v[18:19], v[30:31], a[0:3] cbsz:4 abid:2
	v_cmp_ne_u16_sdwa s[2:3], v32, v36 src0_sel:BYTE_0 src1_sel:DWORD
	v_mfma_f32_4x4x4bf16_1k a[0:3], v[20:21], v[38:39], a[0:3] cbsz:4 abid:2
	s_and_saveexec_b64 s[10:11], s[2:3]
	s_cbranch_execz .LBB696_164
; %bb.159:
	s_movk_i32 s2, 0x80
	v_cmp_ne_u16_sdwa s[2:3], v32, s2 src0_sel:BYTE_0 src1_sel:DWORD
	v_mov_b32_e32 v36, 0xffff8000
	s_and_saveexec_b64 s[20:21], s[2:3]
	s_cbranch_execz .LBB696_163
; %bb.160:
	s_movk_i32 s2, 0x7f
	v_and_b32_e32 v30, 0x7f, v32
	v_cmp_ne_u32_e64 s[2:3], s2, v30
	v_mov_b32_e32 v36, 0x7f80
	s_and_saveexec_b64 s[22:23], s[2:3]
	s_cbranch_execz .LBB696_162
; %bb.161:
	v_and_b32_e32 v31, 7, v32
	v_ffbh_u32_e32 v31, v31
	v_min_u32_e32 v31, 32, v31
	v_subrev_u32_e32 v35, 28, v31
	v_cmp_gt_u32_e64 s[2:3], 8, v30
	v_lshrrev_b32_e32 v34, 3, v30
	v_sub_u32_e32 v31, 29, v31
	v_cndmask_b32_e64 v30, 0, v35, s[2:3]
	v_cndmask_b32_e64 v34, v34, v31, s[2:3]
	v_lshlrev_b64 v[30:31], v30, v[32:33]
	v_lshlrev_b32_e32 v30, 20, v30
	v_lshlrev_b32_e32 v31, 24, v32
	v_bfrev_b32_e32 v35, 60
	v_and_b32_e32 v30, 0x700000, v30
	v_and_b32_e32 v31, 0x80000000, v31
	v_lshl_add_u32 v34, v34, 23, v35
	v_or3_b32 v30, v31, v34, v30
	v_lshrrev_b32_e32 v36, 16, v30
.LBB696_162:
	s_or_b64 exec, exec, s[22:23]
.LBB696_163:
	s_or_b64 exec, exec, s[20:21]
.LBB696_164:
	s_or_b64 exec, exec, s[10:11]
	v_lshrrev_b16_e32 v30, 8, v32
	v_cmp_ne_u16_e64 s[2:3], 0, v30
	v_mov_b32_e32 v37, 0
	v_mov_b32_e32 v35, 0
	s_and_saveexec_b64 s[10:11], s[2:3]
	s_cbranch_execz .LBB696_170
; %bb.165:
	s_movk_i32 s2, 0x80
	v_cmp_ne_u16_e64 s[2:3], s2, v30
	v_mov_b32_e32 v35, 0xffff8000
	s_and_saveexec_b64 s[20:21], s[2:3]
	s_cbranch_execz .LBB696_169
; %bb.166:
	s_movk_i32 s2, 0x7f
	v_and_b32_e32 v31, 0x7f, v30
	v_cmp_ne_u32_e64 s[2:3], s2, v31
	v_mov_b32_e32 v35, 0x7f80
	s_and_saveexec_b64 s[22:23], s[2:3]
	s_cbranch_execz .LBB696_168
; %bb.167:
	v_and_b32_e32 v38, 7, v30
	v_ffbh_u32_e32 v34, v38
	v_min_u32_e32 v40, 32, v34
	v_subrev_u32_e32 v34, 28, v40
	v_lshlrev_b64 v[34:35], v34, v[30:31]
	v_lshrrev_b32_e32 v39, 3, v31
	v_sub_u32_e32 v30, 29, v40
	v_and_b32_e32 v34, 7, v34
	v_cmp_gt_u32_e64 s[2:3], 8, v31
	v_cndmask_b32_e64 v30, v39, v30, s[2:3]
	v_cndmask_b32_e64 v31, v38, v34, s[2:3]
	v_lshlrev_b32_e32 v34, 16, v32
	v_bfrev_b32_e32 v35, 60
	v_lshlrev_b32_e32 v31, 20, v31
	v_and_b32_e32 v34, 0x80000000, v34
	v_lshl_add_u32 v30, v30, 23, v35
	v_or3_b32 v30, v34, v30, v31
	v_lshrrev_b32_e32 v35, 16, v30
.LBB696_168:
	s_or_b64 exec, exec, s[22:23]
.LBB696_169:
	s_or_b64 exec, exec, s[20:21]
.LBB696_170:
	s_or_b64 exec, exec, s[10:11]
	s_movk_i32 s2, 0xff
	v_and_b32_sdwa v31, v32, s2 dst_sel:DWORD dst_unused:UNUSED_PAD src0_sel:WORD_1 src1_sel:DWORD
	v_lshrrev_b32_e32 v30, 16, v32
	v_cmp_ne_u16_e64 s[2:3], 0, v31
	s_and_saveexec_b64 s[10:11], s[2:3]
	s_cbranch_execz .LBB696_176
; %bb.171:
	s_movk_i32 s2, 0x80
	v_cmp_ne_u16_e64 s[2:3], s2, v31
	v_mov_b32_e32 v37, 0xffff8000
	s_and_saveexec_b64 s[20:21], s[2:3]
	s_cbranch_execz .LBB696_175
; %bb.172:
	v_bfe_u32 v31, v32, 16, 7
	s_movk_i32 s2, 0x7f
	v_cmp_ne_u32_e64 s[2:3], s2, v31
	v_mov_b32_e32 v37, 0x7f80
	s_and_saveexec_b64 s[22:23], s[2:3]
	s_cbranch_execz .LBB696_174
; %bb.173:
	v_and_b32_e32 v34, 7, v30
	v_ffbh_u32_e32 v38, v34
	v_min_u32_e32 v40, 32, v38
	v_subrev_u32_e32 v38, 28, v40
	v_lshlrev_b64 v[38:39], v38, v[30:31]
	v_and_b32_e32 v38, 7, v38
	v_cmp_gt_u32_e64 s[2:3], 8, v31
	v_lshrrev_b32_e32 v37, 3, v31
	v_sub_u32_e32 v30, 29, v40
	v_cndmask_b32_e64 v31, v34, v38, s[2:3]
	v_mov_b32_e32 v34, 24
	v_cndmask_b32_e64 v30, v37, v30, s[2:3]
	v_lshlrev_b32_sdwa v34, v34, v32 dst_sel:DWORD dst_unused:UNUSED_PAD src0_sel:DWORD src1_sel:WORD_1
	v_bfrev_b32_e32 v37, 60
	v_lshlrev_b32_e32 v31, 20, v31
	v_and_b32_e32 v34, 0x80000000, v34
	v_lshl_add_u32 v30, v30, 23, v37
	v_or3_b32 v30, v34, v30, v31
	v_lshrrev_b32_e32 v37, 16, v30
.LBB696_174:
	s_or_b64 exec, exec, s[22:23]
.LBB696_175:
	s_or_b64 exec, exec, s[20:21]
.LBB696_176:
	s_or_b64 exec, exec, s[10:11]
	s_mov_b32 s2, 0xffffff
	v_cmp_lt_u32_e64 s[2:3], s2, v32
	v_mov_b32_e32 v31, 0
	v_mov_b32_e32 v38, 0
	s_and_saveexec_b64 s[10:11], s[2:3]
	s_cbranch_execz .LBB696_182
; %bb.177:
	v_lshrrev_b32_e32 v30, 24, v32
	s_movk_i32 s2, 0x80
	v_cmp_ne_u32_e64 s[2:3], s2, v30
	v_mov_b32_e32 v38, 0xffff8000
	s_and_saveexec_b64 s[20:21], s[2:3]
	s_cbranch_execz .LBB696_181
; %bb.178:
	v_bfe_u32 v34, v32, 24, 7
	s_movk_i32 s2, 0x7f
	v_cmp_ne_u32_e64 s[2:3], s2, v34
	v_mov_b32_e32 v38, 0x7f80
	s_and_saveexec_b64 s[22:23], s[2:3]
	s_cbranch_execz .LBB696_180
; %bb.179:
	v_and_b32_e32 v40, 7, v30
	v_ffbh_u32_e32 v38, v40
	v_min_u32_e32 v45, 32, v38
	v_subrev_u32_e32 v38, 28, v45
	v_lshlrev_b64 v[38:39], v38, v[30:31]
	v_lshrrev_b32_e32 v41, 3, v34
	v_sub_u32_e32 v39, 29, v45
	v_and_b32_e32 v38, 7, v38
	v_cmp_gt_u32_e64 s[2:3], 8, v34
	v_cndmask_b32_e64 v34, v41, v39, s[2:3]
	v_cndmask_b32_e64 v38, v40, v38, s[2:3]
	v_lshlrev_b32_e32 v30, 24, v30
	v_bfrev_b32_e32 v39, 60
	v_lshlrev_b32_e32 v38, 20, v38
	v_and_b32_e32 v30, 0x80000000, v30
	v_lshl_add_u32 v34, v34, 23, v39
	v_or3_b32 v30, v30, v34, v38
	v_lshrrev_b32_e32 v38, 16, v30
.LBB696_180:
	s_or_b64 exec, exec, s[22:23]
.LBB696_181:
	s_or_b64 exec, exec, s[20:21]
.LBB696_182:
	s_or_b64 exec, exec, s[10:11]
	v_mov_b32_e32 v30, v33
	v_cmp_ne_u16_sdwa s[2:3], v33, v31 src0_sel:BYTE_0 src1_sel:DWORD
	s_and_saveexec_b64 s[10:11], s[2:3]
	s_cbranch_execz .LBB696_188
; %bb.183:
	s_movk_i32 s2, 0x80
	v_cmp_ne_u16_sdwa s[2:3], v33, s2 src0_sel:BYTE_0 src1_sel:DWORD
	v_mov_b32_e32 v34, 0xffff8000
	s_and_saveexec_b64 s[20:21], s[2:3]
	s_cbranch_execz .LBB696_187
; %bb.184:
	s_movk_i32 s2, 0x7f
	v_and_b32_e32 v39, 0x7f, v33
	v_cmp_ne_u32_e64 s[2:3], s2, v39
	v_mov_b32_e32 v34, 0x7f80
	s_and_saveexec_b64 s[22:23], s[2:3]
	s_cbranch_execz .LBB696_186
; %bb.185:
	v_and_b32_e32 v34, 7, v33
	v_ffbh_u32_e32 v34, v34
	v_min_u32_e32 v34, 32, v34
	v_subrev_u32_e32 v41, 28, v34
	v_cmp_gt_u32_e64 s[2:3], 8, v39
	v_lshrrev_b32_e32 v40, 3, v39
	v_sub_u32_e32 v34, 29, v34
	v_cndmask_b32_e64 v39, 0, v41, s[2:3]
	v_cndmask_b32_e64 v34, v40, v34, s[2:3]
	v_lshlrev_b64 v[40:41], v39, v[30:31]
	v_lshlrev_b32_e32 v31, 20, v40
	v_lshlrev_b32_e32 v39, 24, v30
	v_bfrev_b32_e32 v40, 60
	v_and_b32_e32 v31, 0x700000, v31
	v_and_b32_e32 v39, 0x80000000, v39
	v_lshl_add_u32 v34, v34, 23, v40
	v_or3_b32 v31, v39, v34, v31
	v_lshrrev_b32_e32 v34, 16, v31
.LBB696_186:
	s_or_b64 exec, exec, s[22:23]
.LBB696_187:
	s_or_b64 exec, exec, s[20:21]
	v_mov_b32_e32 v31, v34
.LBB696_188:
	s_or_b64 exec, exec, s[10:11]
	v_lshrrev_b16_e32 v34, 8, v30
	v_cmp_ne_u16_e64 s[2:3], 0, v34
	v_mov_b32_e32 v40, 0
	v_mov_b32_e32 v39, 0
	s_and_saveexec_b64 s[10:11], s[2:3]
	s_cbranch_execz .LBB696_194
; %bb.189:
	s_movk_i32 s2, 0x80
	v_cmp_ne_u16_e64 s[2:3], s2, v34
	v_mov_b32_e32 v39, 0xffff8000
	s_and_saveexec_b64 s[20:21], s[2:3]
	s_cbranch_execz .LBB696_193
; %bb.190:
	s_movk_i32 s2, 0x7f
	v_and_b32_e32 v41, 0x7f, v34
	v_cmp_ne_u32_e64 s[2:3], s2, v41
	v_mov_b32_e32 v39, 0x7f80
	s_and_saveexec_b64 s[22:23], s[2:3]
	s_cbranch_execz .LBB696_192
; %bb.191:
	v_and_b32_e32 v39, 7, v34
	v_ffbh_u32_e32 v46, v39
	v_min_u32_e32 v48, 32, v46
	v_subrev_u32_e32 v46, 28, v48
	v_lshlrev_b64 v[46:47], v46, v[34:35]
	v_lshrrev_b32_e32 v45, 3, v41
	v_sub_u32_e32 v34, 29, v48
	v_and_b32_e32 v46, 7, v46
	v_cmp_gt_u32_e64 s[2:3], 8, v41
	v_cndmask_b32_e64 v34, v45, v34, s[2:3]
	v_cndmask_b32_e64 v39, v39, v46, s[2:3]
	v_lshlrev_b32_e32 v30, 16, v30
	v_bfrev_b32_e32 v41, 60
	v_lshlrev_b32_e32 v39, 20, v39
	v_and_b32_e32 v30, 0x80000000, v30
	v_lshl_add_u32 v34, v34, 23, v41
	v_or3_b32 v30, v30, v34, v39
	v_lshrrev_b32_e32 v39, 16, v30
.LBB696_192:
	s_or_b64 exec, exec, s[22:23]
.LBB696_193:
	s_or_b64 exec, exec, s[20:21]
.LBB696_194:
	s_or_b64 exec, exec, s[10:11]
	s_movk_i32 s2, 0xff
	v_and_b32_sdwa v34, v33, s2 dst_sel:DWORD dst_unused:UNUSED_PAD src0_sel:WORD_1 src1_sel:DWORD
	v_lshrrev_b32_e32 v30, 16, v33
	v_cmp_ne_u16_e64 s[2:3], 0, v34
	s_and_saveexec_b64 s[10:11], s[2:3]
	s_cbranch_execz .LBB696_200
; %bb.195:
	s_movk_i32 s2, 0x80
	v_cmp_ne_u16_e64 s[2:3], s2, v34
	v_mov_b32_e32 v40, 0xffff8000
	s_and_saveexec_b64 s[20:21], s[2:3]
	s_cbranch_execz .LBB696_199
; %bb.196:
	v_bfe_u32 v34, v33, 16, 7
	s_movk_i32 s2, 0x7f
	v_cmp_ne_u32_e64 s[2:3], s2, v34
	v_mov_b32_e32 v40, 0x7f80
	s_and_saveexec_b64 s[22:23], s[2:3]
	s_cbranch_execz .LBB696_198
; %bb.197:
	v_and_b32_e32 v45, 7, v30
	v_ffbh_u32_e32 v40, v45
	v_min_u32_e32 v47, 32, v40
	v_subrev_u32_e32 v40, 28, v47
	v_lshlrev_b64 v[40:41], v40, v[30:31]
	v_and_b32_e32 v40, 7, v40
	v_cmp_gt_u32_e64 s[2:3], 8, v34
	v_lshrrev_b32_e32 v46, 3, v34
	v_sub_u32_e32 v30, 29, v47
	v_cndmask_b32_e64 v34, v45, v40, s[2:3]
	v_mov_b32_e32 v40, 24
	v_cndmask_b32_e64 v30, v46, v30, s[2:3]
	v_lshlrev_b32_sdwa v40, v40, v33 dst_sel:DWORD dst_unused:UNUSED_PAD src0_sel:DWORD src1_sel:WORD_1
	v_bfrev_b32_e32 v41, 60
	v_lshlrev_b32_e32 v34, 20, v34
	v_and_b32_e32 v40, 0x80000000, v40
	v_lshl_add_u32 v30, v30, 23, v41
	v_or3_b32 v30, v40, v30, v34
	v_lshrrev_b32_e32 v40, 16, v30
.LBB696_198:
	s_or_b64 exec, exec, s[22:23]
.LBB696_199:
	s_or_b64 exec, exec, s[20:21]
.LBB696_200:
	s_or_b64 exec, exec, s[10:11]
	s_mov_b32 s2, -1
	s_mov_b32 s3, 0xffffff
	v_cmp_lt_u64_e64 s[2:3], s[2:3], v[32:33]
	v_mov_b32_e32 v34, 0
	v_mov_b32_e32 v32, 0
	s_and_saveexec_b64 s[10:11], s[2:3]
	s_cbranch_execz .LBB696_206
; %bb.201:
	v_lshrrev_b32_e32 v30, 24, v33
	s_movk_i32 s2, 0x80
	v_cmp_ne_u32_e64 s[2:3], s2, v30
	v_mov_b32_e32 v32, 0xffff8000
	s_and_saveexec_b64 s[20:21], s[2:3]
	s_cbranch_execz .LBB696_205
; %bb.202:
	v_bfe_u32 v33, v33, 24, 7
	s_movk_i32 s2, 0x7f
	v_cmp_ne_u32_e64 s[2:3], s2, v33
	v_mov_b32_e32 v32, 0x7f80
	s_and_saveexec_b64 s[22:23], s[2:3]
	s_cbranch_execz .LBB696_204
; %bb.203:
	v_and_b32_e32 v32, 7, v30
	v_ffbh_u32_e32 v45, v32
	v_min_u32_e32 v45, 32, v45
	v_subrev_u32_e32 v46, 28, v45
	v_lshlrev_b64 v[46:47], v46, v[30:31]
	v_lshrrev_b32_e32 v41, 3, v33
	v_sub_u32_e32 v45, 29, v45
	v_and_b32_e32 v46, 7, v46
	v_cmp_gt_u32_e64 s[2:3], 8, v33
	v_cndmask_b32_e64 v33, v41, v45, s[2:3]
	v_cndmask_b32_e64 v32, v32, v46, s[2:3]
	v_lshlrev_b32_e32 v30, 24, v30
	v_bfrev_b32_e32 v41, 60
	v_lshlrev_b32_e32 v32, 20, v32
	v_and_b32_e32 v30, 0x80000000, v30
	v_lshl_add_u32 v33, v33, 23, v41
	v_or3_b32 v30, v30, v33, v32
	v_lshrrev_b32_e32 v32, 16, v30
.LBB696_204:
	s_or_b64 exec, exec, s[22:23]
.LBB696_205:
	s_or_b64 exec, exec, s[20:21]
.LBB696_206:
	s_or_b64 exec, exec, s[10:11]
	s_mov_b32 s2, 0x5040100
	v_perm_b32 v37, v38, v37, s2
	v_perm_b32 v36, v35, v36, s2
	;; [unrolled: 1-line block ×4, first 2 shown]
	v_mfma_f32_4x4x4bf16_1k a[0:3], v[18:19], v[36:37], a[0:3] cbsz:4 abid:3
	s_waitcnt vmcnt(5)
	v_cmp_ne_u16_sdwa s[2:3], v26, v34 src0_sel:BYTE_0 src1_sel:DWORD
	v_mfma_f32_4x4x4bf16_1k a[0:3], v[20:21], v[32:33], a[0:3] cbsz:4 abid:3
	s_and_saveexec_b64 s[10:11], s[2:3]
	s_cbranch_execz .LBB696_212
; %bb.207:
	s_movk_i32 s2, 0x80
	v_cmp_ne_u16_sdwa s[2:3], v26, s2 src0_sel:BYTE_0 src1_sel:DWORD
	v_mov_b32_e32 v34, 0xffff8000
	s_and_saveexec_b64 s[20:21], s[2:3]
	s_cbranch_execz .LBB696_211
; %bb.208:
	s_movk_i32 s2, 0x7f
	v_and_b32_e32 v30, 0x7f, v26
	v_cmp_ne_u32_e64 s[2:3], s2, v30
	v_mov_b32_e32 v34, 0x7f80
	s_and_saveexec_b64 s[22:23], s[2:3]
	s_cbranch_execz .LBB696_210
; %bb.209:
	v_and_b32_e32 v31, 7, v26
	v_ffbh_u32_e32 v31, v31
	v_min_u32_e32 v31, 32, v31
	v_subrev_u32_e32 v33, 28, v31
	v_cmp_gt_u32_e64 s[2:3], 8, v30
	v_lshrrev_b32_e32 v32, 3, v30
	v_sub_u32_e32 v31, 29, v31
	v_cndmask_b32_e64 v30, 0, v33, s[2:3]
	v_cndmask_b32_e64 v32, v32, v31, s[2:3]
	v_lshlrev_b64 v[30:31], v30, v[26:27]
	v_lshlrev_b32_e32 v30, 20, v30
	v_lshlrev_b32_e32 v31, 24, v26
	v_bfrev_b32_e32 v33, 60
	v_and_b32_e32 v30, 0x700000, v30
	v_and_b32_e32 v31, 0x80000000, v31
	v_lshl_add_u32 v32, v32, 23, v33
	v_or3_b32 v30, v31, v32, v30
	v_lshrrev_b32_e32 v34, 16, v30
.LBB696_210:
	s_or_b64 exec, exec, s[22:23]
.LBB696_211:
	s_or_b64 exec, exec, s[20:21]
.LBB696_212:
	s_or_b64 exec, exec, s[10:11]
	v_lshrrev_b16_e32 v30, 8, v26
	v_cmp_ne_u16_e64 s[2:3], 0, v30
	v_mov_b32_e32 v35, 0
	v_mov_b32_e32 v33, 0
	s_and_saveexec_b64 s[10:11], s[2:3]
	s_cbranch_execz .LBB696_218
; %bb.213:
	s_movk_i32 s2, 0x80
	v_cmp_ne_u16_e64 s[2:3], s2, v30
	v_mov_b32_e32 v33, 0xffff8000
	s_and_saveexec_b64 s[20:21], s[2:3]
	s_cbranch_execz .LBB696_217
; %bb.214:
	s_movk_i32 s2, 0x7f
	v_and_b32_e32 v31, 0x7f, v30
	v_cmp_ne_u32_e64 s[2:3], s2, v31
	v_mov_b32_e32 v33, 0x7f80
	s_and_saveexec_b64 s[22:23], s[2:3]
	s_cbranch_execz .LBB696_216
; %bb.215:
	v_and_b32_e32 v36, 7, v30
	v_ffbh_u32_e32 v32, v36
	v_min_u32_e32 v38, 32, v32
	v_subrev_u32_e32 v32, 28, v38
	v_lshlrev_b64 v[32:33], v32, v[30:31]
	v_lshrrev_b32_e32 v37, 3, v31
	v_sub_u32_e32 v30, 29, v38
	v_and_b32_e32 v32, 7, v32
	v_cmp_gt_u32_e64 s[2:3], 8, v31
	v_cndmask_b32_e64 v30, v37, v30, s[2:3]
	v_cndmask_b32_e64 v31, v36, v32, s[2:3]
	v_lshlrev_b32_e32 v32, 16, v26
	v_bfrev_b32_e32 v33, 60
	v_lshlrev_b32_e32 v31, 20, v31
	v_and_b32_e32 v32, 0x80000000, v32
	v_lshl_add_u32 v30, v30, 23, v33
	v_or3_b32 v30, v32, v30, v31
	v_lshrrev_b32_e32 v33, 16, v30
.LBB696_216:
	s_or_b64 exec, exec, s[22:23]
.LBB696_217:
	s_or_b64 exec, exec, s[20:21]
.LBB696_218:
	s_or_b64 exec, exec, s[10:11]
	s_movk_i32 s2, 0xff
	v_and_b32_sdwa v31, v26, s2 dst_sel:DWORD dst_unused:UNUSED_PAD src0_sel:WORD_1 src1_sel:DWORD
	v_lshrrev_b32_e32 v30, 16, v26
	v_cmp_ne_u16_e64 s[2:3], 0, v31
	s_and_saveexec_b64 s[10:11], s[2:3]
	s_cbranch_execz .LBB696_224
; %bb.219:
	s_movk_i32 s2, 0x80
	v_cmp_ne_u16_e64 s[2:3], s2, v31
	v_mov_b32_e32 v35, 0xffff8000
	s_and_saveexec_b64 s[20:21], s[2:3]
	s_cbranch_execz .LBB696_223
; %bb.220:
	v_bfe_u32 v31, v26, 16, 7
	s_movk_i32 s2, 0x7f
	v_cmp_ne_u32_e64 s[2:3], s2, v31
	v_mov_b32_e32 v35, 0x7f80
	s_and_saveexec_b64 s[22:23], s[2:3]
	s_cbranch_execz .LBB696_222
; %bb.221:
	v_and_b32_e32 v32, 7, v30
	v_ffbh_u32_e32 v36, v32
	v_min_u32_e32 v38, 32, v36
	v_subrev_u32_e32 v36, 28, v38
	v_lshlrev_b64 v[36:37], v36, v[30:31]
	v_and_b32_e32 v36, 7, v36
	v_cmp_gt_u32_e64 s[2:3], 8, v31
	v_lshrrev_b32_e32 v35, 3, v31
	v_sub_u32_e32 v30, 29, v38
	v_cndmask_b32_e64 v31, v32, v36, s[2:3]
	v_mov_b32_e32 v32, 24
	v_cndmask_b32_e64 v30, v35, v30, s[2:3]
	v_lshlrev_b32_sdwa v32, v32, v26 dst_sel:DWORD dst_unused:UNUSED_PAD src0_sel:DWORD src1_sel:WORD_1
	v_bfrev_b32_e32 v35, 60
	v_lshlrev_b32_e32 v31, 20, v31
	v_and_b32_e32 v32, 0x80000000, v32
	v_lshl_add_u32 v30, v30, 23, v35
	v_or3_b32 v30, v32, v30, v31
	v_lshrrev_b32_e32 v35, 16, v30
.LBB696_222:
	s_or_b64 exec, exec, s[22:23]
.LBB696_223:
	s_or_b64 exec, exec, s[20:21]
.LBB696_224:
	s_or_b64 exec, exec, s[10:11]
	s_mov_b32 s2, 0xffffff
	v_cmp_lt_u32_e64 s[2:3], s2, v26
	v_mov_b32_e32 v31, 0
	v_mov_b32_e32 v36, 0
	s_and_saveexec_b64 s[10:11], s[2:3]
	s_cbranch_execz .LBB696_230
; %bb.225:
	v_lshrrev_b32_e32 v30, 24, v26
	s_movk_i32 s2, 0x80
	v_cmp_ne_u32_e64 s[2:3], s2, v30
	v_mov_b32_e32 v36, 0xffff8000
	s_and_saveexec_b64 s[20:21], s[2:3]
	s_cbranch_execz .LBB696_229
; %bb.226:
	v_bfe_u32 v32, v26, 24, 7
	s_movk_i32 s2, 0x7f
	v_cmp_ne_u32_e64 s[2:3], s2, v32
	v_mov_b32_e32 v36, 0x7f80
	s_and_saveexec_b64 s[22:23], s[2:3]
	s_cbranch_execz .LBB696_228
; %bb.227:
	v_and_b32_e32 v38, 7, v30
	v_ffbh_u32_e32 v36, v38
	v_min_u32_e32 v40, 32, v36
	v_subrev_u32_e32 v36, 28, v40
	v_lshlrev_b64 v[36:37], v36, v[30:31]
	v_lshrrev_b32_e32 v39, 3, v32
	v_sub_u32_e32 v37, 29, v40
	v_and_b32_e32 v36, 7, v36
	v_cmp_gt_u32_e64 s[2:3], 8, v32
	v_cndmask_b32_e64 v32, v39, v37, s[2:3]
	v_cndmask_b32_e64 v36, v38, v36, s[2:3]
	v_lshlrev_b32_e32 v30, 24, v30
	v_bfrev_b32_e32 v37, 60
	v_lshlrev_b32_e32 v36, 20, v36
	v_and_b32_e32 v30, 0x80000000, v30
	v_lshl_add_u32 v32, v32, 23, v37
	v_or3_b32 v30, v30, v32, v36
	v_lshrrev_b32_e32 v36, 16, v30
.LBB696_228:
	s_or_b64 exec, exec, s[22:23]
.LBB696_229:
	s_or_b64 exec, exec, s[20:21]
.LBB696_230:
	s_or_b64 exec, exec, s[10:11]
	v_mov_b32_e32 v30, v27
	v_cmp_ne_u16_sdwa s[2:3], v27, v31 src0_sel:BYTE_0 src1_sel:DWORD
	s_and_saveexec_b64 s[10:11], s[2:3]
	s_cbranch_execz .LBB696_236
; %bb.231:
	s_movk_i32 s2, 0x80
	v_cmp_ne_u16_sdwa s[2:3], v27, s2 src0_sel:BYTE_0 src1_sel:DWORD
	v_mov_b32_e32 v32, 0xffff8000
	s_and_saveexec_b64 s[20:21], s[2:3]
	s_cbranch_execz .LBB696_235
; %bb.232:
	s_movk_i32 s2, 0x7f
	v_and_b32_e32 v37, 0x7f, v27
	v_cmp_ne_u32_e64 s[2:3], s2, v37
	v_mov_b32_e32 v32, 0x7f80
	s_and_saveexec_b64 s[22:23], s[2:3]
	s_cbranch_execz .LBB696_234
; %bb.233:
	v_and_b32_e32 v32, 7, v27
	v_ffbh_u32_e32 v32, v32
	v_min_u32_e32 v32, 32, v32
	v_subrev_u32_e32 v39, 28, v32
	v_cmp_gt_u32_e64 s[2:3], 8, v37
	v_lshrrev_b32_e32 v38, 3, v37
	v_sub_u32_e32 v32, 29, v32
	v_cndmask_b32_e64 v37, 0, v39, s[2:3]
	v_cndmask_b32_e64 v32, v38, v32, s[2:3]
	v_lshlrev_b64 v[38:39], v37, v[30:31]
	v_lshlrev_b32_e32 v31, 20, v38
	v_lshlrev_b32_e32 v37, 24, v30
	v_bfrev_b32_e32 v38, 60
	v_and_b32_e32 v31, 0x700000, v31
	v_and_b32_e32 v37, 0x80000000, v37
	v_lshl_add_u32 v32, v32, 23, v38
	v_or3_b32 v31, v37, v32, v31
	v_lshrrev_b32_e32 v32, 16, v31
.LBB696_234:
	s_or_b64 exec, exec, s[22:23]
.LBB696_235:
	s_or_b64 exec, exec, s[20:21]
	v_mov_b32_e32 v31, v32
.LBB696_236:
	s_or_b64 exec, exec, s[10:11]
	v_lshrrev_b16_e32 v32, 8, v30
	v_cmp_ne_u16_e64 s[2:3], 0, v32
	v_mov_b32_e32 v38, 0
	v_mov_b32_e32 v37, 0
	s_and_saveexec_b64 s[10:11], s[2:3]
	s_cbranch_execz .LBB696_242
; %bb.237:
	s_movk_i32 s2, 0x80
	v_cmp_ne_u16_e64 s[2:3], s2, v32
	v_mov_b32_e32 v37, 0xffff8000
	s_and_saveexec_b64 s[20:21], s[2:3]
	s_cbranch_execz .LBB696_241
; %bb.238:
	s_movk_i32 s2, 0x7f
	v_and_b32_e32 v39, 0x7f, v32
	v_cmp_ne_u32_e64 s[2:3], s2, v39
	v_mov_b32_e32 v37, 0x7f80
	s_and_saveexec_b64 s[22:23], s[2:3]
	s_cbranch_execz .LBB696_240
; %bb.239:
	v_and_b32_e32 v37, 7, v32
	v_ffbh_u32_e32 v40, v37
	v_min_u32_e32 v46, 32, v40
	v_subrev_u32_e32 v40, 28, v46
	v_lshlrev_b64 v[40:41], v40, v[32:33]
	v_lshrrev_b32_e32 v45, 3, v39
	v_sub_u32_e32 v32, 29, v46
	v_and_b32_e32 v40, 7, v40
	v_cmp_gt_u32_e64 s[2:3], 8, v39
	v_cndmask_b32_e64 v32, v45, v32, s[2:3]
	v_cndmask_b32_e64 v37, v37, v40, s[2:3]
	v_lshlrev_b32_e32 v30, 16, v30
	v_bfrev_b32_e32 v39, 60
	v_lshlrev_b32_e32 v37, 20, v37
	v_and_b32_e32 v30, 0x80000000, v30
	v_lshl_add_u32 v32, v32, 23, v39
	v_or3_b32 v30, v30, v32, v37
	v_lshrrev_b32_e32 v37, 16, v30
.LBB696_240:
	s_or_b64 exec, exec, s[22:23]
.LBB696_241:
	s_or_b64 exec, exec, s[20:21]
.LBB696_242:
	s_or_b64 exec, exec, s[10:11]
	s_movk_i32 s2, 0xff
	v_and_b32_sdwa v32, v27, s2 dst_sel:DWORD dst_unused:UNUSED_PAD src0_sel:WORD_1 src1_sel:DWORD
	v_lshrrev_b32_e32 v30, 16, v27
	v_cmp_ne_u16_e64 s[2:3], 0, v32
	s_and_saveexec_b64 s[10:11], s[2:3]
	s_cbranch_execz .LBB696_248
; %bb.243:
	s_movk_i32 s2, 0x80
	v_cmp_ne_u16_e64 s[2:3], s2, v32
	v_mov_b32_e32 v38, 0xffff8000
	s_and_saveexec_b64 s[20:21], s[2:3]
	s_cbranch_execz .LBB696_247
; %bb.244:
	v_bfe_u32 v32, v27, 16, 7
	s_movk_i32 s2, 0x7f
	v_cmp_ne_u32_e64 s[2:3], s2, v32
	v_mov_b32_e32 v38, 0x7f80
	s_and_saveexec_b64 s[22:23], s[2:3]
	s_cbranch_execz .LBB696_246
; %bb.245:
	v_and_b32_e32 v40, 7, v30
	v_ffbh_u32_e32 v38, v40
	v_min_u32_e32 v45, 32, v38
	v_subrev_u32_e32 v38, 28, v45
	v_lshlrev_b64 v[38:39], v38, v[30:31]
	v_and_b32_e32 v38, 7, v38
	v_cmp_gt_u32_e64 s[2:3], 8, v32
	v_lshrrev_b32_e32 v41, 3, v32
	v_sub_u32_e32 v30, 29, v45
	v_cndmask_b32_e64 v32, v40, v38, s[2:3]
	v_mov_b32_e32 v38, 24
	v_cndmask_b32_e64 v30, v41, v30, s[2:3]
	v_lshlrev_b32_sdwa v38, v38, v27 dst_sel:DWORD dst_unused:UNUSED_PAD src0_sel:DWORD src1_sel:WORD_1
	v_bfrev_b32_e32 v39, 60
	v_lshlrev_b32_e32 v32, 20, v32
	v_and_b32_e32 v38, 0x80000000, v38
	v_lshl_add_u32 v30, v30, 23, v39
	v_or3_b32 v30, v38, v30, v32
	v_lshrrev_b32_e32 v38, 16, v30
.LBB696_246:
	s_or_b64 exec, exec, s[22:23]
.LBB696_247:
	s_or_b64 exec, exec, s[20:21]
.LBB696_248:
	s_or_b64 exec, exec, s[10:11]
	s_mov_b32 s2, -1
	s_mov_b32 s3, 0xffffff
	v_cmp_lt_u64_e64 s[2:3], s[2:3], v[26:27]
	v_mov_b32_e32 v32, 0
	v_mov_b32_e32 v30, 0
	s_and_saveexec_b64 s[10:11], s[2:3]
	s_cbranch_execz .LBB696_254
; %bb.249:
	v_lshrrev_b32_e32 v26, 24, v27
	s_movk_i32 s2, 0x80
	v_cmp_ne_u32_e64 s[2:3], s2, v26
	v_mov_b32_e32 v30, 0xffff8000
	s_and_saveexec_b64 s[20:21], s[2:3]
	s_cbranch_execz .LBB696_253
; %bb.250:
	v_bfe_u32 v27, v27, 24, 7
	s_movk_i32 s2, 0x7f
	v_cmp_ne_u32_e64 s[2:3], s2, v27
	v_mov_b32_e32 v30, 0x7f80
	s_and_saveexec_b64 s[22:23], s[2:3]
	s_cbranch_execz .LBB696_252
; %bb.251:
	v_and_b32_e32 v30, 7, v26
	v_ffbh_u32_e32 v40, v30
	v_min_u32_e32 v45, 32, v40
	v_subrev_u32_e32 v40, 28, v45
	v_lshlrev_b64 v[40:41], v40, v[26:27]
	v_lshrrev_b32_e32 v39, 3, v27
	v_sub_u32_e32 v41, 29, v45
	v_and_b32_e32 v40, 7, v40
	v_cmp_gt_u32_e64 s[2:3], 8, v27
	v_cndmask_b32_e64 v27, v39, v41, s[2:3]
	v_cndmask_b32_e64 v30, v30, v40, s[2:3]
	v_lshlrev_b32_e32 v26, 24, v26
	v_bfrev_b32_e32 v39, 60
	v_lshlrev_b32_e32 v30, 20, v30
	v_and_b32_e32 v26, 0x80000000, v26
	v_lshl_add_u32 v27, v27, 23, v39
	v_or3_b32 v26, v26, v27, v30
	v_lshrrev_b32_e32 v30, 16, v26
.LBB696_252:
	s_or_b64 exec, exec, s[22:23]
.LBB696_253:
	s_or_b64 exec, exec, s[20:21]
.LBB696_254:
	s_or_b64 exec, exec, s[10:11]
	s_mov_b32 s2, 0x5040100
	v_perm_b32 v27, v36, v35, s2
	v_perm_b32 v26, v33, v34, s2
	v_perm_b32 v35, v30, v38, s2
	v_perm_b32 v34, v37, v31, s2
	v_mfma_f32_4x4x4bf16_1k a[0:3], v[18:19], v[26:27], a[0:3] cbsz:4 abid:4
	v_cmp_ne_u16_sdwa s[2:3], v28, v32 src0_sel:BYTE_0 src1_sel:DWORD
	v_mfma_f32_4x4x4bf16_1k a[0:3], v[20:21], v[34:35], a[0:3] cbsz:4 abid:4
	s_and_saveexec_b64 s[10:11], s[2:3]
	s_cbranch_execz .LBB696_260
; %bb.255:
	s_movk_i32 s2, 0x80
	v_cmp_ne_u16_sdwa s[2:3], v28, s2 src0_sel:BYTE_0 src1_sel:DWORD
	v_mov_b32_e32 v32, 0xffff8000
	s_and_saveexec_b64 s[20:21], s[2:3]
	s_cbranch_execz .LBB696_259
; %bb.256:
	s_movk_i32 s2, 0x7f
	v_and_b32_e32 v26, 0x7f, v28
	v_cmp_ne_u32_e64 s[2:3], s2, v26
	v_mov_b32_e32 v32, 0x7f80
	s_and_saveexec_b64 s[22:23], s[2:3]
	s_cbranch_execz .LBB696_258
; %bb.257:
	v_and_b32_e32 v27, 7, v28
	v_ffbh_u32_e32 v27, v27
	v_min_u32_e32 v27, 32, v27
	v_subrev_u32_e32 v31, 28, v27
	v_cmp_gt_u32_e64 s[2:3], 8, v26
	v_lshrrev_b32_e32 v30, 3, v26
	v_sub_u32_e32 v27, 29, v27
	v_cndmask_b32_e64 v26, 0, v31, s[2:3]
	v_cndmask_b32_e64 v30, v30, v27, s[2:3]
	v_lshlrev_b64 v[26:27], v26, v[28:29]
	v_lshlrev_b32_e32 v26, 20, v26
	v_lshlrev_b32_e32 v27, 24, v28
	v_bfrev_b32_e32 v31, 60
	v_and_b32_e32 v26, 0x700000, v26
	v_and_b32_e32 v27, 0x80000000, v27
	v_lshl_add_u32 v30, v30, 23, v31
	v_or3_b32 v26, v27, v30, v26
	v_lshrrev_b32_e32 v32, 16, v26
.LBB696_258:
	s_or_b64 exec, exec, s[22:23]
.LBB696_259:
	s_or_b64 exec, exec, s[20:21]
.LBB696_260:
	s_or_b64 exec, exec, s[10:11]
	v_lshrrev_b16_e32 v26, 8, v28
	v_cmp_ne_u16_e64 s[2:3], 0, v26
	v_mov_b32_e32 v33, 0
	v_mov_b32_e32 v31, 0
	s_and_saveexec_b64 s[10:11], s[2:3]
	s_cbranch_execz .LBB696_266
; %bb.261:
	s_movk_i32 s2, 0x80
	v_cmp_ne_u16_e64 s[2:3], s2, v26
	v_mov_b32_e32 v31, 0xffff8000
	s_and_saveexec_b64 s[20:21], s[2:3]
	s_cbranch_execz .LBB696_265
; %bb.262:
	s_movk_i32 s2, 0x7f
	v_and_b32_e32 v27, 0x7f, v26
	v_cmp_ne_u32_e64 s[2:3], s2, v27
	v_mov_b32_e32 v31, 0x7f80
	s_and_saveexec_b64 s[22:23], s[2:3]
	s_cbranch_execz .LBB696_264
; %bb.263:
	v_and_b32_e32 v34, 7, v26
	v_ffbh_u32_e32 v30, v34
	v_min_u32_e32 v36, 32, v30
	v_subrev_u32_e32 v30, 28, v36
	v_lshlrev_b64 v[30:31], v30, v[26:27]
	v_lshrrev_b32_e32 v35, 3, v27
	v_sub_u32_e32 v26, 29, v36
	v_and_b32_e32 v30, 7, v30
	v_cmp_gt_u32_e64 s[2:3], 8, v27
	v_cndmask_b32_e64 v26, v35, v26, s[2:3]
	v_cndmask_b32_e64 v27, v34, v30, s[2:3]
	v_lshlrev_b32_e32 v30, 16, v28
	v_bfrev_b32_e32 v31, 60
	v_lshlrev_b32_e32 v27, 20, v27
	v_and_b32_e32 v30, 0x80000000, v30
	v_lshl_add_u32 v26, v26, 23, v31
	v_or3_b32 v26, v30, v26, v27
	v_lshrrev_b32_e32 v31, 16, v26
.LBB696_264:
	s_or_b64 exec, exec, s[22:23]
.LBB696_265:
	s_or_b64 exec, exec, s[20:21]
.LBB696_266:
	s_or_b64 exec, exec, s[10:11]
	s_movk_i32 s2, 0xff
	v_and_b32_sdwa v27, v28, s2 dst_sel:DWORD dst_unused:UNUSED_PAD src0_sel:WORD_1 src1_sel:DWORD
	v_lshrrev_b32_e32 v26, 16, v28
	v_cmp_ne_u16_e64 s[2:3], 0, v27
	s_and_saveexec_b64 s[10:11], s[2:3]
	s_cbranch_execz .LBB696_272
; %bb.267:
	s_movk_i32 s2, 0x80
	v_cmp_ne_u16_e64 s[2:3], s2, v27
	v_mov_b32_e32 v33, 0xffff8000
	s_and_saveexec_b64 s[20:21], s[2:3]
	s_cbranch_execz .LBB696_271
; %bb.268:
	v_bfe_u32 v27, v28, 16, 7
	s_movk_i32 s2, 0x7f
	v_cmp_ne_u32_e64 s[2:3], s2, v27
	v_mov_b32_e32 v33, 0x7f80
	s_and_saveexec_b64 s[22:23], s[2:3]
	s_cbranch_execz .LBB696_270
; %bb.269:
	v_and_b32_e32 v30, 7, v26
	v_ffbh_u32_e32 v34, v30
	v_min_u32_e32 v36, 32, v34
	v_subrev_u32_e32 v34, 28, v36
	v_lshlrev_b64 v[34:35], v34, v[26:27]
	v_and_b32_e32 v34, 7, v34
	v_cmp_gt_u32_e64 s[2:3], 8, v27
	v_lshrrev_b32_e32 v33, 3, v27
	v_sub_u32_e32 v26, 29, v36
	v_cndmask_b32_e64 v27, v30, v34, s[2:3]
	v_mov_b32_e32 v30, 24
	v_cndmask_b32_e64 v26, v33, v26, s[2:3]
	v_lshlrev_b32_sdwa v30, v30, v28 dst_sel:DWORD dst_unused:UNUSED_PAD src0_sel:DWORD src1_sel:WORD_1
	v_bfrev_b32_e32 v33, 60
	v_lshlrev_b32_e32 v27, 20, v27
	v_and_b32_e32 v30, 0x80000000, v30
	v_lshl_add_u32 v26, v26, 23, v33
	v_or3_b32 v26, v30, v26, v27
	v_lshrrev_b32_e32 v33, 16, v26
.LBB696_270:
	s_or_b64 exec, exec, s[22:23]
.LBB696_271:
	s_or_b64 exec, exec, s[20:21]
.LBB696_272:
	s_or_b64 exec, exec, s[10:11]
	s_mov_b32 s2, 0xffffff
	v_cmp_lt_u32_e64 s[2:3], s2, v28
	v_mov_b32_e32 v27, 0
	v_mov_b32_e32 v34, 0
	s_and_saveexec_b64 s[10:11], s[2:3]
	s_cbranch_execz .LBB696_278
; %bb.273:
	v_lshrrev_b32_e32 v26, 24, v28
	s_movk_i32 s2, 0x80
	v_cmp_ne_u32_e64 s[2:3], s2, v26
	v_mov_b32_e32 v34, 0xffff8000
	s_and_saveexec_b64 s[20:21], s[2:3]
	s_cbranch_execz .LBB696_277
; %bb.274:
	v_bfe_u32 v30, v28, 24, 7
	s_movk_i32 s2, 0x7f
	v_cmp_ne_u32_e64 s[2:3], s2, v30
	v_mov_b32_e32 v34, 0x7f80
	s_and_saveexec_b64 s[22:23], s[2:3]
	s_cbranch_execz .LBB696_276
; %bb.275:
	v_and_b32_e32 v36, 7, v26
	v_ffbh_u32_e32 v34, v36
	v_min_u32_e32 v38, 32, v34
	v_subrev_u32_e32 v34, 28, v38
	v_lshlrev_b64 v[34:35], v34, v[26:27]
	v_lshrrev_b32_e32 v37, 3, v30
	v_sub_u32_e32 v35, 29, v38
	v_and_b32_e32 v34, 7, v34
	v_cmp_gt_u32_e64 s[2:3], 8, v30
	v_cndmask_b32_e64 v30, v37, v35, s[2:3]
	v_cndmask_b32_e64 v34, v36, v34, s[2:3]
	v_lshlrev_b32_e32 v26, 24, v26
	v_bfrev_b32_e32 v35, 60
	v_lshlrev_b32_e32 v34, 20, v34
	v_and_b32_e32 v26, 0x80000000, v26
	v_lshl_add_u32 v30, v30, 23, v35
	v_or3_b32 v26, v26, v30, v34
	v_lshrrev_b32_e32 v34, 16, v26
.LBB696_276:
	s_or_b64 exec, exec, s[22:23]
.LBB696_277:
	s_or_b64 exec, exec, s[20:21]
.LBB696_278:
	s_or_b64 exec, exec, s[10:11]
	v_mov_b32_e32 v26, v29
	v_cmp_ne_u16_sdwa s[2:3], v29, v27 src0_sel:BYTE_0 src1_sel:DWORD
	s_and_saveexec_b64 s[10:11], s[2:3]
	s_cbranch_execz .LBB696_284
; %bb.279:
	s_movk_i32 s2, 0x80
	v_cmp_ne_u16_sdwa s[2:3], v29, s2 src0_sel:BYTE_0 src1_sel:DWORD
	v_mov_b32_e32 v30, 0xffff8000
	s_and_saveexec_b64 s[20:21], s[2:3]
	s_cbranch_execz .LBB696_283
; %bb.280:
	s_movk_i32 s2, 0x7f
	v_and_b32_e32 v35, 0x7f, v29
	v_cmp_ne_u32_e64 s[2:3], s2, v35
	v_mov_b32_e32 v30, 0x7f80
	s_and_saveexec_b64 s[22:23], s[2:3]
	s_cbranch_execz .LBB696_282
; %bb.281:
	v_and_b32_e32 v30, 7, v29
	v_ffbh_u32_e32 v30, v30
	v_min_u32_e32 v30, 32, v30
	v_subrev_u32_e32 v37, 28, v30
	v_cmp_gt_u32_e64 s[2:3], 8, v35
	v_lshrrev_b32_e32 v36, 3, v35
	v_sub_u32_e32 v30, 29, v30
	v_cndmask_b32_e64 v35, 0, v37, s[2:3]
	v_cndmask_b32_e64 v30, v36, v30, s[2:3]
	v_lshlrev_b64 v[36:37], v35, v[26:27]
	v_lshlrev_b32_e32 v27, 20, v36
	v_lshlrev_b32_e32 v35, 24, v26
	v_bfrev_b32_e32 v36, 60
	v_and_b32_e32 v27, 0x700000, v27
	v_and_b32_e32 v35, 0x80000000, v35
	v_lshl_add_u32 v30, v30, 23, v36
	v_or3_b32 v27, v35, v30, v27
	v_lshrrev_b32_e32 v30, 16, v27
.LBB696_282:
	s_or_b64 exec, exec, s[22:23]
.LBB696_283:
	s_or_b64 exec, exec, s[20:21]
	v_mov_b32_e32 v27, v30
.LBB696_284:
	s_or_b64 exec, exec, s[10:11]
	v_lshrrev_b16_e32 v30, 8, v26
	v_cmp_ne_u16_e64 s[2:3], 0, v30
	v_mov_b32_e32 v36, 0
	v_mov_b32_e32 v35, 0
	s_and_saveexec_b64 s[10:11], s[2:3]
	s_cbranch_execz .LBB696_290
; %bb.285:
	s_movk_i32 s2, 0x80
	v_cmp_ne_u16_e64 s[2:3], s2, v30
	v_mov_b32_e32 v35, 0xffff8000
	s_and_saveexec_b64 s[20:21], s[2:3]
	s_cbranch_execz .LBB696_289
; %bb.286:
	s_movk_i32 s2, 0x7f
	v_and_b32_e32 v37, 0x7f, v30
	v_cmp_ne_u32_e64 s[2:3], s2, v37
	v_mov_b32_e32 v35, 0x7f80
	s_and_saveexec_b64 s[22:23], s[2:3]
	s_cbranch_execz .LBB696_288
; %bb.287:
	v_and_b32_e32 v35, 7, v30
	v_ffbh_u32_e32 v38, v35
	v_min_u32_e32 v41, 32, v38
	v_subrev_u32_e32 v38, 28, v41
	v_lshlrev_b64 v[38:39], v38, v[30:31]
	v_lshrrev_b32_e32 v40, 3, v37
	v_sub_u32_e32 v30, 29, v41
	v_and_b32_e32 v38, 7, v38
	v_cmp_gt_u32_e64 s[2:3], 8, v37
	v_cndmask_b32_e64 v30, v40, v30, s[2:3]
	v_cndmask_b32_e64 v35, v35, v38, s[2:3]
	v_lshlrev_b32_e32 v26, 16, v26
	v_bfrev_b32_e32 v37, 60
	v_lshlrev_b32_e32 v35, 20, v35
	v_and_b32_e32 v26, 0x80000000, v26
	v_lshl_add_u32 v30, v30, 23, v37
	v_or3_b32 v26, v26, v30, v35
	v_lshrrev_b32_e32 v35, 16, v26
.LBB696_288:
	s_or_b64 exec, exec, s[22:23]
.LBB696_289:
	s_or_b64 exec, exec, s[20:21]
.LBB696_290:
	s_or_b64 exec, exec, s[10:11]
	s_movk_i32 s2, 0xff
	v_and_b32_sdwa v30, v29, s2 dst_sel:DWORD dst_unused:UNUSED_PAD src0_sel:WORD_1 src1_sel:DWORD
	v_lshrrev_b32_e32 v26, 16, v29
	v_cmp_ne_u16_e64 s[2:3], 0, v30
	s_and_saveexec_b64 s[10:11], s[2:3]
	s_cbranch_execz .LBB696_296
; %bb.291:
	s_movk_i32 s2, 0x80
	v_cmp_ne_u16_e64 s[2:3], s2, v30
	v_mov_b32_e32 v36, 0xffff8000
	s_and_saveexec_b64 s[20:21], s[2:3]
	s_cbranch_execz .LBB696_295
; %bb.292:
	v_bfe_u32 v30, v29, 16, 7
	s_movk_i32 s2, 0x7f
	v_cmp_ne_u32_e64 s[2:3], s2, v30
	v_mov_b32_e32 v36, 0x7f80
	s_and_saveexec_b64 s[22:23], s[2:3]
	s_cbranch_execz .LBB696_294
; %bb.293:
	v_and_b32_e32 v38, 7, v26
	v_ffbh_u32_e32 v36, v38
	v_min_u32_e32 v40, 32, v36
	v_subrev_u32_e32 v36, 28, v40
	v_lshlrev_b64 v[36:37], v36, v[26:27]
	v_and_b32_e32 v36, 7, v36
	v_cmp_gt_u32_e64 s[2:3], 8, v30
	v_lshrrev_b32_e32 v39, 3, v30
	v_sub_u32_e32 v26, 29, v40
	v_cndmask_b32_e64 v30, v38, v36, s[2:3]
	v_mov_b32_e32 v36, 24
	v_cndmask_b32_e64 v26, v39, v26, s[2:3]
	v_lshlrev_b32_sdwa v36, v36, v29 dst_sel:DWORD dst_unused:UNUSED_PAD src0_sel:DWORD src1_sel:WORD_1
	v_bfrev_b32_e32 v37, 60
	v_lshlrev_b32_e32 v30, 20, v30
	v_and_b32_e32 v36, 0x80000000, v36
	v_lshl_add_u32 v26, v26, 23, v37
	v_or3_b32 v26, v36, v26, v30
	v_lshrrev_b32_e32 v36, 16, v26
.LBB696_294:
	s_or_b64 exec, exec, s[22:23]
.LBB696_295:
	s_or_b64 exec, exec, s[20:21]
.LBB696_296:
	s_or_b64 exec, exec, s[10:11]
	s_mov_b32 s2, -1
	s_mov_b32 s3, 0xffffff
	v_cmp_lt_u64_e64 s[2:3], s[2:3], v[28:29]
	v_mov_b32_e32 v30, 0
	v_mov_b32_e32 v28, 0
	s_and_saveexec_b64 s[10:11], s[2:3]
	s_cbranch_execz .LBB696_302
; %bb.297:
	v_lshrrev_b32_e32 v26, 24, v29
	s_movk_i32 s2, 0x80
	v_cmp_ne_u32_e64 s[2:3], s2, v26
	v_mov_b32_e32 v28, 0xffff8000
	s_and_saveexec_b64 s[20:21], s[2:3]
	s_cbranch_execz .LBB696_301
; %bb.298:
	v_bfe_u32 v29, v29, 24, 7
	s_movk_i32 s2, 0x7f
	v_cmp_ne_u32_e64 s[2:3], s2, v29
	v_mov_b32_e32 v28, 0x7f80
	s_and_saveexec_b64 s[22:23], s[2:3]
	s_cbranch_execz .LBB696_300
; %bb.299:
	v_and_b32_e32 v28, 7, v26
	v_ffbh_u32_e32 v38, v28
	v_min_u32_e32 v40, 32, v38
	v_subrev_u32_e32 v38, 28, v40
	v_lshlrev_b64 v[38:39], v38, v[26:27]
	v_lshrrev_b32_e32 v37, 3, v29
	v_sub_u32_e32 v39, 29, v40
	v_and_b32_e32 v38, 7, v38
	v_cmp_gt_u32_e64 s[2:3], 8, v29
	v_cndmask_b32_e64 v29, v37, v39, s[2:3]
	v_cndmask_b32_e64 v28, v28, v38, s[2:3]
	v_lshlrev_b32_e32 v26, 24, v26
	v_bfrev_b32_e32 v37, 60
	v_lshlrev_b32_e32 v28, 20, v28
	v_and_b32_e32 v26, 0x80000000, v26
	v_lshl_add_u32 v29, v29, 23, v37
	v_or3_b32 v26, v26, v29, v28
	v_lshrrev_b32_e32 v28, 16, v26
.LBB696_300:
	s_or_b64 exec, exec, s[22:23]
.LBB696_301:
	s_or_b64 exec, exec, s[20:21]
.LBB696_302:
	s_or_b64 exec, exec, s[10:11]
	s_mov_b32 s2, 0x5040100
	v_perm_b32 v33, v34, v33, s2
	v_perm_b32 v32, v31, v32, s2
	;; [unrolled: 1-line block ×4, first 2 shown]
	v_mfma_f32_4x4x4bf16_1k a[0:3], v[18:19], v[32:33], a[0:3] cbsz:4 abid:5
	s_waitcnt vmcnt(4)
	v_cmp_ne_u16_sdwa s[2:3], v22, v30 src0_sel:BYTE_0 src1_sel:DWORD
	v_mfma_f32_4x4x4bf16_1k a[0:3], v[20:21], v[28:29], a[0:3] cbsz:4 abid:5
	s_and_saveexec_b64 s[10:11], s[2:3]
	s_cbranch_execz .LBB696_308
; %bb.303:
	s_movk_i32 s2, 0x80
	v_cmp_ne_u16_sdwa s[2:3], v22, s2 src0_sel:BYTE_0 src1_sel:DWORD
	v_mov_b32_e32 v30, 0xffff8000
	s_and_saveexec_b64 s[20:21], s[2:3]
	s_cbranch_execz .LBB696_307
; %bb.304:
	s_movk_i32 s2, 0x7f
	v_and_b32_e32 v26, 0x7f, v22
	v_cmp_ne_u32_e64 s[2:3], s2, v26
	v_mov_b32_e32 v30, 0x7f80
	s_and_saveexec_b64 s[22:23], s[2:3]
	s_cbranch_execz .LBB696_306
; %bb.305:
	v_and_b32_e32 v27, 7, v22
	v_ffbh_u32_e32 v27, v27
	v_min_u32_e32 v27, 32, v27
	v_subrev_u32_e32 v29, 28, v27
	v_cmp_gt_u32_e64 s[2:3], 8, v26
	v_lshrrev_b32_e32 v28, 3, v26
	v_sub_u32_e32 v27, 29, v27
	v_cndmask_b32_e64 v26, 0, v29, s[2:3]
	v_cndmask_b32_e64 v28, v28, v27, s[2:3]
	v_lshlrev_b64 v[26:27], v26, v[22:23]
	v_lshlrev_b32_e32 v26, 20, v26
	v_lshlrev_b32_e32 v27, 24, v22
	v_bfrev_b32_e32 v29, 60
	v_and_b32_e32 v26, 0x700000, v26
	v_and_b32_e32 v27, 0x80000000, v27
	v_lshl_add_u32 v28, v28, 23, v29
	v_or3_b32 v26, v27, v28, v26
	v_lshrrev_b32_e32 v30, 16, v26
.LBB696_306:
	s_or_b64 exec, exec, s[22:23]
.LBB696_307:
	s_or_b64 exec, exec, s[20:21]
.LBB696_308:
	s_or_b64 exec, exec, s[10:11]
	v_lshrrev_b16_e32 v26, 8, v22
	v_cmp_ne_u16_e64 s[2:3], 0, v26
	v_mov_b32_e32 v31, 0
	v_mov_b32_e32 v29, 0
	s_and_saveexec_b64 s[10:11], s[2:3]
	s_cbranch_execz .LBB696_314
; %bb.309:
	s_movk_i32 s2, 0x80
	v_cmp_ne_u16_e64 s[2:3], s2, v26
	v_mov_b32_e32 v29, 0xffff8000
	s_and_saveexec_b64 s[20:21], s[2:3]
	s_cbranch_execz .LBB696_313
; %bb.310:
	s_movk_i32 s2, 0x7f
	v_and_b32_e32 v27, 0x7f, v26
	v_cmp_ne_u32_e64 s[2:3], s2, v27
	v_mov_b32_e32 v29, 0x7f80
	s_and_saveexec_b64 s[22:23], s[2:3]
	s_cbranch_execz .LBB696_312
; %bb.311:
	v_and_b32_e32 v32, 7, v26
	v_ffbh_u32_e32 v28, v32
	v_min_u32_e32 v34, 32, v28
	v_subrev_u32_e32 v28, 28, v34
	v_lshlrev_b64 v[28:29], v28, v[26:27]
	v_lshrrev_b32_e32 v33, 3, v27
	v_sub_u32_e32 v26, 29, v34
	v_and_b32_e32 v28, 7, v28
	v_cmp_gt_u32_e64 s[2:3], 8, v27
	v_cndmask_b32_e64 v26, v33, v26, s[2:3]
	v_cndmask_b32_e64 v27, v32, v28, s[2:3]
	v_lshlrev_b32_e32 v28, 16, v22
	v_bfrev_b32_e32 v29, 60
	v_lshlrev_b32_e32 v27, 20, v27
	v_and_b32_e32 v28, 0x80000000, v28
	v_lshl_add_u32 v26, v26, 23, v29
	v_or3_b32 v26, v28, v26, v27
	v_lshrrev_b32_e32 v29, 16, v26
.LBB696_312:
	s_or_b64 exec, exec, s[22:23]
.LBB696_313:
	s_or_b64 exec, exec, s[20:21]
.LBB696_314:
	s_or_b64 exec, exec, s[10:11]
	s_movk_i32 s2, 0xff
	v_and_b32_sdwa v27, v22, s2 dst_sel:DWORD dst_unused:UNUSED_PAD src0_sel:WORD_1 src1_sel:DWORD
	v_lshrrev_b32_e32 v26, 16, v22
	v_cmp_ne_u16_e64 s[2:3], 0, v27
	s_and_saveexec_b64 s[10:11], s[2:3]
	s_cbranch_execz .LBB696_320
; %bb.315:
	s_movk_i32 s2, 0x80
	v_cmp_ne_u16_e64 s[2:3], s2, v27
	v_mov_b32_e32 v31, 0xffff8000
	s_and_saveexec_b64 s[20:21], s[2:3]
	s_cbranch_execz .LBB696_319
; %bb.316:
	v_bfe_u32 v27, v22, 16, 7
	s_movk_i32 s2, 0x7f
	v_cmp_ne_u32_e64 s[2:3], s2, v27
	v_mov_b32_e32 v31, 0x7f80
	s_and_saveexec_b64 s[22:23], s[2:3]
	s_cbranch_execz .LBB696_318
; %bb.317:
	v_and_b32_e32 v28, 7, v26
	v_ffbh_u32_e32 v32, v28
	v_min_u32_e32 v34, 32, v32
	v_subrev_u32_e32 v32, 28, v34
	v_lshlrev_b64 v[32:33], v32, v[26:27]
	v_and_b32_e32 v32, 7, v32
	v_cmp_gt_u32_e64 s[2:3], 8, v27
	v_lshrrev_b32_e32 v31, 3, v27
	v_sub_u32_e32 v26, 29, v34
	v_cndmask_b32_e64 v27, v28, v32, s[2:3]
	v_mov_b32_e32 v28, 24
	v_cndmask_b32_e64 v26, v31, v26, s[2:3]
	v_lshlrev_b32_sdwa v28, v28, v22 dst_sel:DWORD dst_unused:UNUSED_PAD src0_sel:DWORD src1_sel:WORD_1
	v_bfrev_b32_e32 v31, 60
	v_lshlrev_b32_e32 v27, 20, v27
	v_and_b32_e32 v28, 0x80000000, v28
	v_lshl_add_u32 v26, v26, 23, v31
	v_or3_b32 v26, v28, v26, v27
	v_lshrrev_b32_e32 v31, 16, v26
.LBB696_318:
	s_or_b64 exec, exec, s[22:23]
.LBB696_319:
	s_or_b64 exec, exec, s[20:21]
.LBB696_320:
	s_or_b64 exec, exec, s[10:11]
	s_mov_b32 s2, 0xffffff
	v_cmp_lt_u32_e64 s[2:3], s2, v22
	v_mov_b32_e32 v27, 0
	v_mov_b32_e32 v32, 0
	s_and_saveexec_b64 s[10:11], s[2:3]
	s_cbranch_execz .LBB696_326
; %bb.321:
	v_lshrrev_b32_e32 v26, 24, v22
	s_movk_i32 s2, 0x80
	v_cmp_ne_u32_e64 s[2:3], s2, v26
	v_mov_b32_e32 v32, 0xffff8000
	s_and_saveexec_b64 s[20:21], s[2:3]
	s_cbranch_execz .LBB696_325
; %bb.322:
	v_bfe_u32 v28, v22, 24, 7
	s_movk_i32 s2, 0x7f
	v_cmp_ne_u32_e64 s[2:3], s2, v28
	v_mov_b32_e32 v32, 0x7f80
	s_and_saveexec_b64 s[22:23], s[2:3]
	s_cbranch_execz .LBB696_324
; %bb.323:
	v_and_b32_e32 v34, 7, v26
	v_ffbh_u32_e32 v32, v34
	v_min_u32_e32 v36, 32, v32
	v_subrev_u32_e32 v32, 28, v36
	v_lshlrev_b64 v[32:33], v32, v[26:27]
	v_lshrrev_b32_e32 v35, 3, v28
	v_sub_u32_e32 v33, 29, v36
	v_and_b32_e32 v32, 7, v32
	v_cmp_gt_u32_e64 s[2:3], 8, v28
	v_cndmask_b32_e64 v28, v35, v33, s[2:3]
	v_cndmask_b32_e64 v32, v34, v32, s[2:3]
	v_lshlrev_b32_e32 v26, 24, v26
	v_bfrev_b32_e32 v33, 60
	v_lshlrev_b32_e32 v32, 20, v32
	v_and_b32_e32 v26, 0x80000000, v26
	v_lshl_add_u32 v28, v28, 23, v33
	v_or3_b32 v26, v26, v28, v32
	v_lshrrev_b32_e32 v32, 16, v26
.LBB696_324:
	s_or_b64 exec, exec, s[22:23]
.LBB696_325:
	s_or_b64 exec, exec, s[20:21]
.LBB696_326:
	s_or_b64 exec, exec, s[10:11]
	v_mov_b32_e32 v26, v23
	v_cmp_ne_u16_sdwa s[2:3], v23, v27 src0_sel:BYTE_0 src1_sel:DWORD
	s_and_saveexec_b64 s[10:11], s[2:3]
	s_cbranch_execz .LBB696_332
; %bb.327:
	s_movk_i32 s2, 0x80
	v_cmp_ne_u16_sdwa s[2:3], v23, s2 src0_sel:BYTE_0 src1_sel:DWORD
	v_mov_b32_e32 v28, 0xffff8000
	s_and_saveexec_b64 s[20:21], s[2:3]
	s_cbranch_execz .LBB696_331
; %bb.328:
	s_movk_i32 s2, 0x7f
	v_and_b32_e32 v33, 0x7f, v23
	v_cmp_ne_u32_e64 s[2:3], s2, v33
	v_mov_b32_e32 v28, 0x7f80
	s_and_saveexec_b64 s[22:23], s[2:3]
	s_cbranch_execz .LBB696_330
; %bb.329:
	v_and_b32_e32 v28, 7, v23
	v_ffbh_u32_e32 v28, v28
	v_min_u32_e32 v28, 32, v28
	v_subrev_u32_e32 v35, 28, v28
	v_cmp_gt_u32_e64 s[2:3], 8, v33
	v_lshrrev_b32_e32 v34, 3, v33
	v_sub_u32_e32 v28, 29, v28
	v_cndmask_b32_e64 v33, 0, v35, s[2:3]
	v_cndmask_b32_e64 v28, v34, v28, s[2:3]
	v_lshlrev_b64 v[34:35], v33, v[26:27]
	v_lshlrev_b32_e32 v27, 20, v34
	v_lshlrev_b32_e32 v33, 24, v26
	v_bfrev_b32_e32 v34, 60
	v_and_b32_e32 v27, 0x700000, v27
	v_and_b32_e32 v33, 0x80000000, v33
	v_lshl_add_u32 v28, v28, 23, v34
	v_or3_b32 v27, v33, v28, v27
	v_lshrrev_b32_e32 v28, 16, v27
.LBB696_330:
	s_or_b64 exec, exec, s[22:23]
.LBB696_331:
	s_or_b64 exec, exec, s[20:21]
	v_mov_b32_e32 v27, v28
.LBB696_332:
	s_or_b64 exec, exec, s[10:11]
	v_lshrrev_b16_e32 v28, 8, v26
	v_cmp_ne_u16_e64 s[2:3], 0, v28
	v_mov_b32_e32 v34, 0
	v_mov_b32_e32 v33, 0
	s_and_saveexec_b64 s[10:11], s[2:3]
	s_cbranch_execz .LBB696_338
; %bb.333:
	s_movk_i32 s2, 0x80
	v_cmp_ne_u16_e64 s[2:3], s2, v28
	v_mov_b32_e32 v33, 0xffff8000
	s_and_saveexec_b64 s[20:21], s[2:3]
	s_cbranch_execz .LBB696_337
; %bb.334:
	s_movk_i32 s2, 0x7f
	v_and_b32_e32 v35, 0x7f, v28
	v_cmp_ne_u32_e64 s[2:3], s2, v35
	v_mov_b32_e32 v33, 0x7f80
	s_and_saveexec_b64 s[22:23], s[2:3]
	s_cbranch_execz .LBB696_336
; %bb.335:
	v_and_b32_e32 v33, 7, v28
	v_ffbh_u32_e32 v36, v33
	v_min_u32_e32 v39, 32, v36
	v_subrev_u32_e32 v36, 28, v39
	v_lshlrev_b64 v[36:37], v36, v[28:29]
	v_lshrrev_b32_e32 v38, 3, v35
	v_sub_u32_e32 v28, 29, v39
	v_and_b32_e32 v36, 7, v36
	v_cmp_gt_u32_e64 s[2:3], 8, v35
	v_cndmask_b32_e64 v28, v38, v28, s[2:3]
	v_cndmask_b32_e64 v33, v33, v36, s[2:3]
	v_lshlrev_b32_e32 v26, 16, v26
	v_bfrev_b32_e32 v35, 60
	v_lshlrev_b32_e32 v33, 20, v33
	v_and_b32_e32 v26, 0x80000000, v26
	v_lshl_add_u32 v28, v28, 23, v35
	v_or3_b32 v26, v26, v28, v33
	v_lshrrev_b32_e32 v33, 16, v26
.LBB696_336:
	s_or_b64 exec, exec, s[22:23]
.LBB696_337:
	s_or_b64 exec, exec, s[20:21]
.LBB696_338:
	s_or_b64 exec, exec, s[10:11]
	s_movk_i32 s2, 0xff
	v_and_b32_sdwa v28, v23, s2 dst_sel:DWORD dst_unused:UNUSED_PAD src0_sel:WORD_1 src1_sel:DWORD
	v_lshrrev_b32_e32 v26, 16, v23
	v_cmp_ne_u16_e64 s[2:3], 0, v28
	s_and_saveexec_b64 s[10:11], s[2:3]
	s_cbranch_execz .LBB696_344
; %bb.339:
	s_movk_i32 s2, 0x80
	v_cmp_ne_u16_e64 s[2:3], s2, v28
	v_mov_b32_e32 v34, 0xffff8000
	s_and_saveexec_b64 s[20:21], s[2:3]
	s_cbranch_execz .LBB696_343
; %bb.340:
	v_bfe_u32 v28, v23, 16, 7
	s_movk_i32 s2, 0x7f
	v_cmp_ne_u32_e64 s[2:3], s2, v28
	v_mov_b32_e32 v34, 0x7f80
	s_and_saveexec_b64 s[22:23], s[2:3]
	s_cbranch_execz .LBB696_342
; %bb.341:
	v_and_b32_e32 v36, 7, v26
	v_ffbh_u32_e32 v34, v36
	v_min_u32_e32 v38, 32, v34
	v_subrev_u32_e32 v34, 28, v38
	v_lshlrev_b64 v[34:35], v34, v[26:27]
	v_and_b32_e32 v34, 7, v34
	v_cmp_gt_u32_e64 s[2:3], 8, v28
	v_lshrrev_b32_e32 v37, 3, v28
	v_sub_u32_e32 v26, 29, v38
	v_cndmask_b32_e64 v28, v36, v34, s[2:3]
	v_mov_b32_e32 v34, 24
	v_cndmask_b32_e64 v26, v37, v26, s[2:3]
	v_lshlrev_b32_sdwa v34, v34, v23 dst_sel:DWORD dst_unused:UNUSED_PAD src0_sel:DWORD src1_sel:WORD_1
	v_bfrev_b32_e32 v35, 60
	v_lshlrev_b32_e32 v28, 20, v28
	v_and_b32_e32 v34, 0x80000000, v34
	v_lshl_add_u32 v26, v26, 23, v35
	v_or3_b32 v26, v34, v26, v28
	v_lshrrev_b32_e32 v34, 16, v26
.LBB696_342:
	s_or_b64 exec, exec, s[22:23]
.LBB696_343:
	s_or_b64 exec, exec, s[20:21]
.LBB696_344:
	s_or_b64 exec, exec, s[10:11]
	s_mov_b32 s2, -1
	s_mov_b32 s3, 0xffffff
	v_cmp_lt_u64_e64 s[2:3], s[2:3], v[22:23]
	v_mov_b32_e32 v28, 0
	v_mov_b32_e32 v26, 0
	s_and_saveexec_b64 s[10:11], s[2:3]
	s_cbranch_execz .LBB696_350
; %bb.345:
	v_lshrrev_b32_e32 v22, 24, v23
	s_movk_i32 s2, 0x80
	v_cmp_ne_u32_e64 s[2:3], s2, v22
	v_mov_b32_e32 v26, 0xffff8000
	s_and_saveexec_b64 s[20:21], s[2:3]
	s_cbranch_execz .LBB696_349
; %bb.346:
	v_bfe_u32 v23, v23, 24, 7
	s_movk_i32 s2, 0x7f
	v_cmp_ne_u32_e64 s[2:3], s2, v23
	v_mov_b32_e32 v26, 0x7f80
	s_and_saveexec_b64 s[22:23], s[2:3]
	s_cbranch_execz .LBB696_348
; %bb.347:
	v_and_b32_e32 v26, 7, v22
	v_ffbh_u32_e32 v36, v26
	v_min_u32_e32 v38, 32, v36
	v_subrev_u32_e32 v36, 28, v38
	v_lshlrev_b64 v[36:37], v36, v[22:23]
	v_lshrrev_b32_e32 v35, 3, v23
	v_sub_u32_e32 v37, 29, v38
	v_and_b32_e32 v36, 7, v36
	v_cmp_gt_u32_e64 s[2:3], 8, v23
	v_cndmask_b32_e64 v23, v35, v37, s[2:3]
	v_cndmask_b32_e64 v26, v26, v36, s[2:3]
	v_lshlrev_b32_e32 v22, 24, v22
	v_bfrev_b32_e32 v35, 60
	v_lshlrev_b32_e32 v26, 20, v26
	v_and_b32_e32 v22, 0x80000000, v22
	v_lshl_add_u32 v23, v23, 23, v35
	v_or3_b32 v22, v22, v23, v26
	v_lshrrev_b32_e32 v26, 16, v22
.LBB696_348:
	s_or_b64 exec, exec, s[22:23]
.LBB696_349:
	s_or_b64 exec, exec, s[20:21]
.LBB696_350:
	s_or_b64 exec, exec, s[10:11]
	s_mov_b32 s2, 0x5040100
	v_perm_b32 v23, v32, v31, s2
	v_perm_b32 v22, v29, v30, s2
	;; [unrolled: 1-line block ×4, first 2 shown]
	v_mfma_f32_4x4x4bf16_1k a[0:3], v[18:19], v[22:23], a[0:3] cbsz:4 abid:6
	v_cmp_ne_u16_sdwa s[2:3], v24, v28 src0_sel:BYTE_0 src1_sel:DWORD
	v_mfma_f32_4x4x4bf16_1k a[0:3], v[20:21], v[30:31], a[0:3] cbsz:4 abid:6
	s_and_saveexec_b64 s[10:11], s[2:3]
	s_cbranch_execz .LBB696_356
; %bb.351:
	s_movk_i32 s2, 0x80
	v_cmp_ne_u16_sdwa s[2:3], v24, s2 src0_sel:BYTE_0 src1_sel:DWORD
	v_mov_b32_e32 v28, 0xffff8000
	s_and_saveexec_b64 s[20:21], s[2:3]
	s_cbranch_execz .LBB696_355
; %bb.352:
	s_movk_i32 s2, 0x7f
	v_and_b32_e32 v22, 0x7f, v24
	v_cmp_ne_u32_e64 s[2:3], s2, v22
	v_mov_b32_e32 v28, 0x7f80
	s_and_saveexec_b64 s[22:23], s[2:3]
	s_cbranch_execz .LBB696_354
; %bb.353:
	v_and_b32_e32 v23, 7, v24
	v_ffbh_u32_e32 v23, v23
	v_min_u32_e32 v23, 32, v23
	v_subrev_u32_e32 v27, 28, v23
	v_cmp_gt_u32_e64 s[2:3], 8, v22
	v_lshrrev_b32_e32 v26, 3, v22
	v_sub_u32_e32 v23, 29, v23
	v_cndmask_b32_e64 v22, 0, v27, s[2:3]
	v_cndmask_b32_e64 v26, v26, v23, s[2:3]
	v_lshlrev_b64 v[22:23], v22, v[24:25]
	v_lshlrev_b32_e32 v22, 20, v22
	v_lshlrev_b32_e32 v23, 24, v24
	v_bfrev_b32_e32 v27, 60
	v_and_b32_e32 v22, 0x700000, v22
	v_and_b32_e32 v23, 0x80000000, v23
	v_lshl_add_u32 v26, v26, 23, v27
	v_or3_b32 v22, v23, v26, v22
	v_lshrrev_b32_e32 v28, 16, v22
.LBB696_354:
	s_or_b64 exec, exec, s[22:23]
.LBB696_355:
	s_or_b64 exec, exec, s[20:21]
.LBB696_356:
	s_or_b64 exec, exec, s[10:11]
	v_lshrrev_b16_e32 v22, 8, v24
	v_cmp_ne_u16_e64 s[2:3], 0, v22
	v_mov_b32_e32 v29, 0
	v_mov_b32_e32 v27, 0
	s_and_saveexec_b64 s[10:11], s[2:3]
	s_cbranch_execz .LBB696_362
; %bb.357:
	s_movk_i32 s2, 0x80
	v_cmp_ne_u16_e64 s[2:3], s2, v22
	v_mov_b32_e32 v27, 0xffff8000
	s_and_saveexec_b64 s[20:21], s[2:3]
	s_cbranch_execz .LBB696_361
; %bb.358:
	s_movk_i32 s2, 0x7f
	v_and_b32_e32 v23, 0x7f, v22
	v_cmp_ne_u32_e64 s[2:3], s2, v23
	v_mov_b32_e32 v27, 0x7f80
	s_and_saveexec_b64 s[22:23], s[2:3]
	s_cbranch_execz .LBB696_360
; %bb.359:
	v_and_b32_e32 v30, 7, v22
	v_ffbh_u32_e32 v26, v30
	v_min_u32_e32 v32, 32, v26
	v_subrev_u32_e32 v26, 28, v32
	v_lshlrev_b64 v[26:27], v26, v[22:23]
	v_lshrrev_b32_e32 v31, 3, v23
	v_sub_u32_e32 v22, 29, v32
	v_and_b32_e32 v26, 7, v26
	v_cmp_gt_u32_e64 s[2:3], 8, v23
	v_cndmask_b32_e64 v22, v31, v22, s[2:3]
	v_cndmask_b32_e64 v23, v30, v26, s[2:3]
	v_lshlrev_b32_e32 v26, 16, v24
	v_bfrev_b32_e32 v27, 60
	v_lshlrev_b32_e32 v23, 20, v23
	v_and_b32_e32 v26, 0x80000000, v26
	v_lshl_add_u32 v22, v22, 23, v27
	v_or3_b32 v22, v26, v22, v23
	v_lshrrev_b32_e32 v27, 16, v22
.LBB696_360:
	s_or_b64 exec, exec, s[22:23]
.LBB696_361:
	s_or_b64 exec, exec, s[20:21]
.LBB696_362:
	s_or_b64 exec, exec, s[10:11]
	s_movk_i32 s2, 0xff
	v_and_b32_sdwa v23, v24, s2 dst_sel:DWORD dst_unused:UNUSED_PAD src0_sel:WORD_1 src1_sel:DWORD
	v_lshrrev_b32_e32 v22, 16, v24
	v_cmp_ne_u16_e64 s[2:3], 0, v23
	s_and_saveexec_b64 s[10:11], s[2:3]
	s_cbranch_execz .LBB696_368
; %bb.363:
	s_movk_i32 s2, 0x80
	v_cmp_ne_u16_e64 s[2:3], s2, v23
	v_mov_b32_e32 v29, 0xffff8000
	s_and_saveexec_b64 s[20:21], s[2:3]
	s_cbranch_execz .LBB696_367
; %bb.364:
	v_bfe_u32 v23, v24, 16, 7
	s_movk_i32 s2, 0x7f
	v_cmp_ne_u32_e64 s[2:3], s2, v23
	v_mov_b32_e32 v29, 0x7f80
	s_and_saveexec_b64 s[22:23], s[2:3]
	s_cbranch_execz .LBB696_366
; %bb.365:
	v_and_b32_e32 v26, 7, v22
	v_ffbh_u32_e32 v30, v26
	v_min_u32_e32 v32, 32, v30
	v_subrev_u32_e32 v30, 28, v32
	v_lshlrev_b64 v[30:31], v30, v[22:23]
	v_and_b32_e32 v30, 7, v30
	v_cmp_gt_u32_e64 s[2:3], 8, v23
	v_lshrrev_b32_e32 v29, 3, v23
	v_sub_u32_e32 v22, 29, v32
	v_cndmask_b32_e64 v23, v26, v30, s[2:3]
	v_mov_b32_e32 v26, 24
	v_cndmask_b32_e64 v22, v29, v22, s[2:3]
	v_lshlrev_b32_sdwa v26, v26, v24 dst_sel:DWORD dst_unused:UNUSED_PAD src0_sel:DWORD src1_sel:WORD_1
	v_bfrev_b32_e32 v29, 60
	v_lshlrev_b32_e32 v23, 20, v23
	v_and_b32_e32 v26, 0x80000000, v26
	v_lshl_add_u32 v22, v22, 23, v29
	v_or3_b32 v22, v26, v22, v23
	v_lshrrev_b32_e32 v29, 16, v22
.LBB696_366:
	s_or_b64 exec, exec, s[22:23]
.LBB696_367:
	s_or_b64 exec, exec, s[20:21]
.LBB696_368:
	s_or_b64 exec, exec, s[10:11]
	s_mov_b32 s2, 0xffffff
	v_cmp_lt_u32_e64 s[2:3], s2, v24
	v_mov_b32_e32 v23, 0
	v_mov_b32_e32 v30, 0
	s_and_saveexec_b64 s[10:11], s[2:3]
	s_cbranch_execz .LBB696_374
; %bb.369:
	v_lshrrev_b32_e32 v22, 24, v24
	s_movk_i32 s2, 0x80
	v_cmp_ne_u32_e64 s[2:3], s2, v22
	v_mov_b32_e32 v30, 0xffff8000
	s_and_saveexec_b64 s[20:21], s[2:3]
	s_cbranch_execz .LBB696_373
; %bb.370:
	v_bfe_u32 v26, v24, 24, 7
	s_movk_i32 s2, 0x7f
	v_cmp_ne_u32_e64 s[2:3], s2, v26
	v_mov_b32_e32 v30, 0x7f80
	s_and_saveexec_b64 s[22:23], s[2:3]
	s_cbranch_execz .LBB696_372
; %bb.371:
	v_and_b32_e32 v32, 7, v22
	v_ffbh_u32_e32 v30, v32
	v_min_u32_e32 v34, 32, v30
	v_subrev_u32_e32 v30, 28, v34
	v_lshlrev_b64 v[30:31], v30, v[22:23]
	v_lshrrev_b32_e32 v33, 3, v26
	v_sub_u32_e32 v31, 29, v34
	v_and_b32_e32 v30, 7, v30
	v_cmp_gt_u32_e64 s[2:3], 8, v26
	v_cndmask_b32_e64 v26, v33, v31, s[2:3]
	v_cndmask_b32_e64 v30, v32, v30, s[2:3]
	v_lshlrev_b32_e32 v22, 24, v22
	v_bfrev_b32_e32 v31, 60
	v_lshlrev_b32_e32 v30, 20, v30
	v_and_b32_e32 v22, 0x80000000, v22
	v_lshl_add_u32 v26, v26, 23, v31
	v_or3_b32 v22, v22, v26, v30
	v_lshrrev_b32_e32 v30, 16, v22
.LBB696_372:
	s_or_b64 exec, exec, s[22:23]
.LBB696_373:
	s_or_b64 exec, exec, s[20:21]
.LBB696_374:
	s_or_b64 exec, exec, s[10:11]
	v_mov_b32_e32 v22, v25
	v_cmp_ne_u16_sdwa s[2:3], v25, v23 src0_sel:BYTE_0 src1_sel:DWORD
	s_and_saveexec_b64 s[10:11], s[2:3]
	s_cbranch_execz .LBB696_380
; %bb.375:
	s_movk_i32 s2, 0x80
	v_cmp_ne_u16_sdwa s[2:3], v25, s2 src0_sel:BYTE_0 src1_sel:DWORD
	v_mov_b32_e32 v26, 0xffff8000
	s_and_saveexec_b64 s[20:21], s[2:3]
	s_cbranch_execz .LBB696_379
; %bb.376:
	s_movk_i32 s2, 0x7f
	v_and_b32_e32 v31, 0x7f, v25
	v_cmp_ne_u32_e64 s[2:3], s2, v31
	v_mov_b32_e32 v26, 0x7f80
	s_and_saveexec_b64 s[22:23], s[2:3]
	s_cbranch_execz .LBB696_378
; %bb.377:
	v_and_b32_e32 v26, 7, v25
	v_ffbh_u32_e32 v26, v26
	v_min_u32_e32 v26, 32, v26
	v_subrev_u32_e32 v33, 28, v26
	v_cmp_gt_u32_e64 s[2:3], 8, v31
	v_lshrrev_b32_e32 v32, 3, v31
	v_sub_u32_e32 v26, 29, v26
	v_cndmask_b32_e64 v31, 0, v33, s[2:3]
	v_cndmask_b32_e64 v26, v32, v26, s[2:3]
	v_lshlrev_b64 v[32:33], v31, v[22:23]
	v_lshlrev_b32_e32 v23, 20, v32
	v_lshlrev_b32_e32 v31, 24, v22
	v_bfrev_b32_e32 v32, 60
	v_and_b32_e32 v23, 0x700000, v23
	v_and_b32_e32 v31, 0x80000000, v31
	v_lshl_add_u32 v26, v26, 23, v32
	v_or3_b32 v23, v31, v26, v23
	v_lshrrev_b32_e32 v26, 16, v23
.LBB696_378:
	s_or_b64 exec, exec, s[22:23]
.LBB696_379:
	s_or_b64 exec, exec, s[20:21]
	v_mov_b32_e32 v23, v26
.LBB696_380:
	s_or_b64 exec, exec, s[10:11]
	v_lshrrev_b16_e32 v26, 8, v22
	v_cmp_ne_u16_e64 s[2:3], 0, v26
	v_mov_b32_e32 v32, 0
	v_mov_b32_e32 v31, 0
	s_and_saveexec_b64 s[10:11], s[2:3]
	s_cbranch_execz .LBB696_386
; %bb.381:
	s_movk_i32 s2, 0x80
	v_cmp_ne_u16_e64 s[2:3], s2, v26
	v_mov_b32_e32 v31, 0xffff8000
	s_and_saveexec_b64 s[20:21], s[2:3]
	s_cbranch_execz .LBB696_385
; %bb.382:
	s_movk_i32 s2, 0x7f
	v_and_b32_e32 v33, 0x7f, v26
	v_cmp_ne_u32_e64 s[2:3], s2, v33
	v_mov_b32_e32 v31, 0x7f80
	s_and_saveexec_b64 s[22:23], s[2:3]
	s_cbranch_execz .LBB696_384
; %bb.383:
	v_and_b32_e32 v31, 7, v26
	v_ffbh_u32_e32 v34, v31
	v_min_u32_e32 v37, 32, v34
	v_subrev_u32_e32 v34, 28, v37
	v_lshlrev_b64 v[34:35], v34, v[26:27]
	v_lshrrev_b32_e32 v36, 3, v33
	v_sub_u32_e32 v26, 29, v37
	v_and_b32_e32 v34, 7, v34
	v_cmp_gt_u32_e64 s[2:3], 8, v33
	v_cndmask_b32_e64 v26, v36, v26, s[2:3]
	v_cndmask_b32_e64 v31, v31, v34, s[2:3]
	v_lshlrev_b32_e32 v22, 16, v22
	v_bfrev_b32_e32 v33, 60
	v_lshlrev_b32_e32 v31, 20, v31
	v_and_b32_e32 v22, 0x80000000, v22
	v_lshl_add_u32 v26, v26, 23, v33
	v_or3_b32 v22, v22, v26, v31
	v_lshrrev_b32_e32 v31, 16, v22
.LBB696_384:
	s_or_b64 exec, exec, s[22:23]
.LBB696_385:
	s_or_b64 exec, exec, s[20:21]
.LBB696_386:
	s_or_b64 exec, exec, s[10:11]
	s_movk_i32 s2, 0xff
	v_and_b32_sdwa v26, v25, s2 dst_sel:DWORD dst_unused:UNUSED_PAD src0_sel:WORD_1 src1_sel:DWORD
	v_lshrrev_b32_e32 v22, 16, v25
	v_cmp_ne_u16_e64 s[2:3], 0, v26
	s_and_saveexec_b64 s[10:11], s[2:3]
	s_cbranch_execz .LBB696_392
; %bb.387:
	s_movk_i32 s2, 0x80
	v_cmp_ne_u16_e64 s[2:3], s2, v26
	v_mov_b32_e32 v32, 0xffff8000
	s_and_saveexec_b64 s[20:21], s[2:3]
	s_cbranch_execz .LBB696_391
; %bb.388:
	v_bfe_u32 v26, v25, 16, 7
	s_movk_i32 s2, 0x7f
	v_cmp_ne_u32_e64 s[2:3], s2, v26
	v_mov_b32_e32 v32, 0x7f80
	s_and_saveexec_b64 s[22:23], s[2:3]
	s_cbranch_execz .LBB696_390
; %bb.389:
	v_and_b32_e32 v34, 7, v22
	v_ffbh_u32_e32 v32, v34
	v_min_u32_e32 v36, 32, v32
	v_subrev_u32_e32 v32, 28, v36
	v_lshlrev_b64 v[32:33], v32, v[22:23]
	v_and_b32_e32 v32, 7, v32
	v_cmp_gt_u32_e64 s[2:3], 8, v26
	v_lshrrev_b32_e32 v35, 3, v26
	v_sub_u32_e32 v22, 29, v36
	v_cndmask_b32_e64 v26, v34, v32, s[2:3]
	v_mov_b32_e32 v32, 24
	v_cndmask_b32_e64 v22, v35, v22, s[2:3]
	v_lshlrev_b32_sdwa v32, v32, v25 dst_sel:DWORD dst_unused:UNUSED_PAD src0_sel:DWORD src1_sel:WORD_1
	v_bfrev_b32_e32 v33, 60
	v_lshlrev_b32_e32 v26, 20, v26
	v_and_b32_e32 v32, 0x80000000, v32
	v_lshl_add_u32 v22, v22, 23, v33
	v_or3_b32 v22, v32, v22, v26
	v_lshrrev_b32_e32 v32, 16, v22
.LBB696_390:
	s_or_b64 exec, exec, s[22:23]
.LBB696_391:
	s_or_b64 exec, exec, s[20:21]
.LBB696_392:
	s_or_b64 exec, exec, s[10:11]
	s_mov_b32 s2, -1
	s_mov_b32 s3, 0xffffff
	v_cmp_lt_u64_e64 s[2:3], s[2:3], v[24:25]
	v_mov_b32_e32 v24, 0
	s_and_saveexec_b64 s[10:11], s[2:3]
	s_cbranch_execz .LBB696_398
; %bb.393:
	v_lshrrev_b32_e32 v22, 24, v25
	s_movk_i32 s2, 0x80
	v_cmp_ne_u32_e64 s[2:3], s2, v22
	v_mov_b32_e32 v24, 0xffff8000
	s_and_saveexec_b64 s[20:21], s[2:3]
	s_cbranch_execz .LBB696_397
; %bb.394:
	v_bfe_u32 v25, v25, 24, 7
	s_movk_i32 s2, 0x7f
	v_cmp_ne_u32_e64 s[2:3], s2, v25
	v_mov_b32_e32 v24, 0x7f80
	s_and_saveexec_b64 s[22:23], s[2:3]
	s_cbranch_execz .LBB696_396
; %bb.395:
	v_and_b32_e32 v24, 7, v22
	v_ffbh_u32_e32 v33, v24
	v_min_u32_e32 v33, 32, v33
	v_subrev_u32_e32 v34, 28, v33
	v_lshlrev_b64 v[34:35], v34, v[22:23]
	v_lshrrev_b32_e32 v26, 3, v25
	v_sub_u32_e32 v33, 29, v33
	v_and_b32_e32 v34, 7, v34
	v_cmp_gt_u32_e64 s[2:3], 8, v25
	v_cndmask_b32_e64 v25, v26, v33, s[2:3]
	v_cndmask_b32_e64 v24, v24, v34, s[2:3]
	v_lshlrev_b32_e32 v22, 24, v22
	v_bfrev_b32_e32 v26, 60
	v_lshlrev_b32_e32 v24, 20, v24
	v_and_b32_e32 v22, 0x80000000, v22
	v_lshl_add_u32 v25, v25, 23, v26
	v_or3_b32 v22, v22, v25, v24
	v_lshrrev_b32_e32 v24, 16, v22
.LBB696_396:
	s_or_b64 exec, exec, s[22:23]
.LBB696_397:
	s_or_b64 exec, exec, s[20:21]
.LBB696_398:
	s_or_b64 exec, exec, s[10:11]
	s_mov_b32 s3, 0x5040100
	s_load_dword s2, s[4:5], 0x1c
	v_perm_b32 v29, v30, v29, s3
	v_perm_b32 v28, v27, v28, s3
	v_perm_b32 v25, v24, v32, s3
	v_perm_b32 v24, v31, v23, s3
	v_mfma_f32_4x4x4bf16_1k a[0:3], v[18:19], v[28:29], a[0:3] cbsz:4 abid:7
	s_load_dword s3, s[12:13], 0x0
	v_mfma_f32_4x4x4bf16_1k a[0:3], v[20:21], v[24:25], a[0:3] cbsz:4 abid:7
	s_waitcnt lgkmcnt(0)
	v_mov_b32_e32 v18, s2
	v_mul_f32_e32 v20, s3, v18
	v_cmp_eq_u32_e64 s[2:3], 0, v43
	s_nop 0
	v_accvgpr_read_b32 v23, a1
	v_accvgpr_read_b32 v22, a0
	v_pk_mul_f32 v[22:23], v[22:23], v[20:21] op_sel_hi:[1,0]
	v_accvgpr_read_b32 v19, a3
	v_accvgpr_read_b32 v18, a2
	v_pk_mul_f32 v[18:19], v[18:19], v[20:21] op_sel_hi:[1,0]
	v_cndmask_b32_e64 v20, 0, 1.0, s[2:3]
	v_cmp_eq_u32_e64 s[2:3], 1, v43
	s_nop 0
	v_mfma_f32_4x4x1f32 a[0:3], v22, v20, 0
	v_cndmask_b32_e64 v20, 0, 1.0, s[2:3]
	v_cmp_eq_u32_e64 s[2:3], 2, v43
	v_mov_b32_e32 v22, 0xff7fffff
	v_mfma_f32_4x4x1f32 a[0:3], v23, v20, a[0:3]
	v_cndmask_b32_e64 v20, 0, 1.0, s[2:3]
	s_nop 1
	v_mfma_f32_4x4x1f32 a[0:3], v18, v20, a[0:3]
	v_cndmask_b32_e64 v18, 0, 1.0, vcc
	s_nop 1
	v_mfma_f32_4x4x1f32 a[0:3], v19, v18, a[0:3]
	v_and_b32_e32 v18, -4, v44
	v_cmp_gt_i32_e32 vcc, s7, v18
	v_lshlrev_b32_e32 v19, 2, v0
	v_and_or_b32 v19, v19, 48, v43
	v_lshlrev_b32_e32 v26, 2, v19
	v_accvgpr_read_b32 v20, a0
	v_max_f32_e32 v21, v20, v20
	v_max_f32_e32 v21, 0xff7fffff, v21
	v_accvgpr_read_b32 v23, a1
	v_cndmask_b32_e32 v21, v22, v21, vcc
	v_or_b32_e32 v22, 1, v18
	v_max_f32_e32 v24, v23, v23
	v_max_f32_e32 v24, v21, v24
	v_cmp_gt_i32_e64 s[2:3], s7, v22
	v_accvgpr_read_b32 v22, a2
	v_cndmask_b32_e64 v21, v21, v24, s[2:3]
	v_or_b32_e32 v18, 2, v18
	v_max_f32_e32 v24, v22, v22
	v_max_f32_e32 v24, v21, v24
	v_cmp_gt_i32_e64 s[4:5], s7, v18
	v_cndmask_b32_e64 v18, v21, v24, s[4:5]
	v_accvgpr_read_b32 v24, a3
	v_or_b32_e32 v21, 3, v44
	v_max_f32_e32 v25, v24, v24
	v_max_f32_e32 v25, v18, v25
	v_cmp_gt_i32_e64 s[10:11], s7, v21
	v_cndmask_b32_e64 v18, v18, v25, s[10:11]
	;;#ASMSTART
	v_nop
 v_nop
 v_max_f32_dpp v18, v18, v18 row_ror:4
	;;#ASMEND
	;;#ASMSTART
	v_nop
 v_nop
 v_max_f32_dpp v18, v18, v18 row_ror:8
	;;#ASMEND
	ds_bpermute_b32 v18, v26, v18
	s_waitcnt lgkmcnt(0)
	;;#ASMSTART
	v_nop
 v_nop
 v_max_f32_dpp v18, v18, v18 row_ror:4
	;;#ASMEND
	;;#ASMSTART
	v_nop
 v_nop
 v_max_f32_dpp v25, v18, v18 row_ror:8
	;;#ASMEND
	v_sub_f32_e32 v18, v20, v25
	v_mul_f32_e32 v18, 0x3fb8aa3b, v18
	v_sub_f32_e32 v19, v23, v25
	v_exp_f32_e32 v18, v18
	v_mul_f32_e32 v19, 0x3fb8aa3b, v19
	v_sub_f32_e32 v21, v22, v25
	v_exp_f32_e32 v19, v19
	;; [unrolled: 3-line block ×3, first 2 shown]
	v_mul_f32_e32 v22, 0x3fb8aa3b, v22
	v_exp_f32_e32 v22, v22
	v_cndmask_b32_e32 v18, 0, v18, vcc
	v_add_f32_e32 v20, 0, v18
	v_cndmask_b32_e64 v19, 0, v19, s[2:3]
	v_add_f32_e32 v23, v20, v19
	v_cndmask_b32_e64 v20, 0, v21, s[4:5]
	;; [unrolled: 2-line block ×3, first 2 shown]
	v_add_f32_e32 v22, v23, v21
	;;#ASMSTART
	v_nop
 v_nop
 v_add_f32_dpp v22, v22, v22 row_ror:4
	;;#ASMEND
	;;#ASMSTART
	v_nop
 v_nop
 v_add_f32_dpp v22, v22, v22 row_ror:8
	;;#ASMEND
	ds_bpermute_b32 v22, v26, v22
	s_waitcnt lgkmcnt(0)
	;;#ASMSTART
	v_nop
 v_nop
 v_add_f32_dpp v22, v22, v22 row_ror:4
	;;#ASMEND
	v_cmp_gt_u32_e32 vcc, 4, v42
	;;#ASMSTART
	v_nop
 v_nop
 v_add_f32_dpp v22, v22, v22 row_ror:8
	;;#ASMEND
	s_and_saveexec_b64 s[2:3], vcc
	s_cbranch_execz .LBB696_400
; %bb.399:
	v_mul_u32_u24_e32 v23, 20, v1
	v_lshl_add_u32 v23, v43, 2, v23
	v_add_u32_e32 v23, 0x800, v23
	ds_write2_b32 v23, v25, v22 offset0:128 offset1:148
.LBB696_400:
	s_or_b64 exec, exec, s[2:3]
.LBB696_401:
	s_or_b64 exec, exec, s[36:37]
	s_waitcnt lgkmcnt(0)
	s_barrier
	s_load_dword s2, s[34:35], 0x8
	v_lshlrev_b32_e32 v22, 2, v43
	v_add_u32_e32 v24, 0x800, v22
	ds_read2_b32 v[22:23], v24 offset0:128 offset1:133
	ds_read2_b32 v[28:29], v24 offset0:138 offset1:143
	s_mul_i32 s3, s6, s33
	s_waitcnt lgkmcnt(0)
	s_mul_i32 s2, s3, s2
	s_mov_b32 s3, 0xff7fffff
	v_max3_f32 v26, v22, s3, v23
	v_max3_f32 v26, v26, v28, v29
	v_sub_f32_e32 v22, v22, v26
	v_mul_f32_e32 v22, 0x3fb8aa3b, v22
	v_exp_f32_e32 v27, v22
	v_sub_f32_e32 v22, v23, v26
	ds_read2_b32 v[30:31], v24 offset0:148 offset1:153
	v_mul_f32_e32 v22, 0x3fb8aa3b, v22
	v_exp_f32_e32 v32, v22
	ds_read2_b32 v[22:23], v24 offset0:158 offset1:163
	v_sub_f32_e32 v24, v28, v26
	v_mul_f32_e32 v24, 0x3fb8aa3b, v24
	v_sub_f32_e32 v28, v29, v26
	v_exp_f32_e32 v24, v24
	v_mul_f32_e32 v28, 0x3fb8aa3b, v28
	v_exp_f32_e32 v28, v28
	s_waitcnt lgkmcnt(1)
	v_fma_f32 v27, v27, v30, 0
	v_fmac_f32_e32 v27, v32, v31
	s_waitcnt lgkmcnt(0)
	v_fmac_f32_e32 v27, v24, v22
	s_mul_i32 s10, s8, 3
	s_mul_i32 s2, s2, 3
	v_fmac_f32_e32 v27, v28, v23
	v_cmp_ne_u32_e32 vcc, 3, v43
	s_and_saveexec_b64 s[4:5], vcc
	s_cbranch_execz .LBB696_403
; %bb.402:
	s_mov_b32 s3, 0
	s_lshl_b64 s[6:7], s[2:3], 2
	s_add_u32 s11, s16, s6
	s_mov_b32 s29, s3
	s_addc_u32 s12, s17, s7
	s_lshl_b64 s[8:9], s[28:29], 2
	s_add_u32 s3, s11, s8
	s_addc_u32 s11, s12, s9
	v_add_u32_e32 v22, s10, v43
	s_add_u32 s6, s18, s6
	v_mul_lo_u32 v22, s33, v22
	v_mov_b32_e32 v23, 0
	s_addc_u32 s7, s19, s7
	v_lshlrev_b64 v[22:23], 2, v[22:23]
	s_add_u32 s6, s6, s8
	v_mov_b32_e32 v24, s11
	v_add_co_u32_e32 v28, vcc, s3, v22
	s_addc_u32 s7, s7, s9
	v_addc_co_u32_e32 v29, vcc, v24, v23, vcc
	v_mov_b32_e32 v24, s7
	v_add_co_u32_e32 v22, vcc, s6, v22
	v_addc_co_u32_e32 v23, vcc, v24, v23, vcc
	global_store_dword v[22:23], v26, off
	global_store_dword v[28:29], v27, off
.LBB696_403:
	s_or_b64 exec, exec, s[4:5]
	v_mov_b32_e32 v23, 0
	v_mov_b32_e32 v22, 0
	s_and_saveexec_b64 s[4:5], s[0:1]
	s_cbranch_execz .LBB696_789
; %bb.404:
	v_mov_b32_e32 v28, 0
	s_waitcnt vmcnt(3)
	v_cmp_ne_u16_sdwa s[6:7], v14, v28 src0_sel:BYTE_0 src1_sel:DWORD
	v_mov_b32_e32 v29, 0
	s_and_saveexec_b64 s[0:1], s[6:7]
	s_cbranch_execz .LBB696_410
; %bb.405:
	s_movk_i32 s3, 0x80
	v_cmp_ne_u16_sdwa s[8:9], v14, s3 src0_sel:BYTE_0 src1_sel:DWORD
	v_mov_b32_e32 v29, 0xffff8000
	s_and_saveexec_b64 s[6:7], s[8:9]
	s_cbranch_execz .LBB696_409
; %bb.406:
	s_movk_i32 s3, 0x7f
	v_and_b32_e32 v22, 0x7f, v14
	v_cmp_ne_u32_e32 vcc, s3, v22
	v_mov_b32_e32 v29, 0x7f80
	s_and_saveexec_b64 s[8:9], vcc
	s_cbranch_execz .LBB696_408
; %bb.407:
	v_and_b32_e32 v23, 7, v14
	v_ffbh_u32_e32 v23, v23
	v_min_u32_e32 v23, 32, v23
	v_subrev_u32_e32 v29, 28, v23
	v_cmp_gt_u32_e32 vcc, 8, v22
	v_lshrrev_b32_e32 v24, 3, v22
	v_sub_u32_e32 v23, 29, v23
	v_cndmask_b32_e32 v22, 0, v29, vcc
	v_cndmask_b32_e32 v24, v24, v23, vcc
	v_lshlrev_b64 v[22:23], v22, v[14:15]
	v_lshlrev_b32_e32 v22, 20, v22
	v_lshlrev_b32_e32 v23, 24, v14
	v_bfrev_b32_e32 v29, 60
	v_and_b32_e32 v22, 0x700000, v22
	v_and_b32_e32 v23, 0x80000000, v23
	v_lshl_add_u32 v24, v24, 23, v29
	v_or3_b32 v22, v23, v24, v22
	v_lshrrev_b32_e32 v29, 16, v22
.LBB696_408:
	s_or_b64 exec, exec, s[8:9]
.LBB696_409:
	s_or_b64 exec, exec, s[6:7]
.LBB696_410:
	s_or_b64 exec, exec, s[0:1]
	v_lshrrev_b16_e32 v22, 8, v14
	v_cmp_ne_u16_e32 vcc, 0, v22
	s_and_saveexec_b64 s[0:1], vcc
	s_cbranch_execz .LBB696_416
; %bb.411:
	s_movk_i32 s3, 0x80
	v_cmp_ne_u16_e32 vcc, s3, v22
	v_mov_b32_e32 v28, 0xffff8000
	s_and_saveexec_b64 s[6:7], vcc
	s_cbranch_execz .LBB696_415
; %bb.412:
	s_movk_i32 s3, 0x7f
	v_and_b32_e32 v23, 0x7f, v22
	v_cmp_ne_u32_e32 vcc, s3, v23
	v_mov_b32_e32 v28, 0x7f80
	s_and_saveexec_b64 s[8:9], vcc
	s_cbranch_execz .LBB696_414
; %bb.413:
	v_and_b32_e32 v24, 7, v22
	v_ffbh_u32_e32 v30, v24
	v_min_u32_e32 v32, 32, v30
	v_subrev_u32_e32 v30, 28, v32
	v_lshlrev_b64 v[30:31], v30, v[22:23]
	v_lshrrev_b32_e32 v28, 3, v23
	v_sub_u32_e32 v22, 29, v32
	v_and_b32_e32 v30, 7, v30
	v_cmp_gt_u32_e32 vcc, 8, v23
	v_cndmask_b32_e32 v22, v28, v22, vcc
	v_cndmask_b32_e32 v23, v24, v30, vcc
	v_lshlrev_b32_e32 v24, 16, v14
	v_bfrev_b32_e32 v28, 60
	v_lshlrev_b32_e32 v23, 20, v23
	v_and_b32_e32 v24, 0x80000000, v24
	v_lshl_add_u32 v22, v22, 23, v28
	v_or3_b32 v22, v24, v22, v23
	v_lshrrev_b32_e32 v28, 16, v22
.LBB696_414:
	s_or_b64 exec, exec, s[8:9]
.LBB696_415:
	s_or_b64 exec, exec, s[6:7]
.LBB696_416:
	s_or_b64 exec, exec, s[0:1]
	s_movk_i32 s0, 0xff
	v_and_b32_sdwa v24, v14, s0 dst_sel:DWORD dst_unused:UNUSED_PAD src0_sel:WORD_1 src1_sel:DWORD
	v_lshrrev_b32_e32 v22, 16, v14
	v_cmp_ne_u16_e32 vcc, 0, v24
	v_mov_b32_e32 v23, 0
	v_mov_b32_e32 v30, 0
	s_and_saveexec_b64 s[0:1], vcc
	s_cbranch_execz .LBB696_422
; %bb.417:
	s_movk_i32 s3, 0x80
	v_cmp_ne_u16_e32 vcc, s3, v24
	v_mov_b32_e32 v30, 0xffff8000
	s_and_saveexec_b64 s[6:7], vcc
	s_cbranch_execz .LBB696_421
; %bb.418:
	v_bfe_u32 v24, v14, 16, 7
	s_movk_i32 s3, 0x7f
	v_cmp_ne_u32_e32 vcc, s3, v24
	v_mov_b32_e32 v30, 0x7f80
	s_and_saveexec_b64 s[8:9], vcc
	s_cbranch_execz .LBB696_420
; %bb.419:
	v_and_b32_e32 v32, 7, v22
	v_ffbh_u32_e32 v30, v32
	v_min_u32_e32 v34, 32, v30
	v_subrev_u32_e32 v30, 28, v34
	v_lshlrev_b64 v[30:31], v30, v[22:23]
	v_and_b32_e32 v30, 7, v30
	v_cmp_gt_u32_e32 vcc, 8, v24
	v_lshrrev_b32_e32 v33, 3, v24
	v_sub_u32_e32 v22, 29, v34
	v_cndmask_b32_e32 v24, v32, v30, vcc
	v_mov_b32_e32 v30, 24
	v_cndmask_b32_e32 v22, v33, v22, vcc
	v_lshlrev_b32_sdwa v30, v30, v14 dst_sel:DWORD dst_unused:UNUSED_PAD src0_sel:DWORD src1_sel:WORD_1
	v_bfrev_b32_e32 v31, 60
	v_lshlrev_b32_e32 v24, 20, v24
	v_and_b32_e32 v30, 0x80000000, v30
	v_lshl_add_u32 v22, v22, 23, v31
	v_or3_b32 v22, v30, v22, v24
	v_lshrrev_b32_e32 v30, 16, v22
.LBB696_420:
	s_or_b64 exec, exec, s[8:9]
.LBB696_421:
	s_or_b64 exec, exec, s[6:7]
.LBB696_422:
	s_or_b64 exec, exec, s[0:1]
	s_mov_b32 s0, 0xffffff
	v_cmp_lt_u32_e32 vcc, s0, v14
	v_mov_b32_e32 v31, 0
	s_and_saveexec_b64 s[0:1], vcc
	s_cbranch_execz .LBB696_428
; %bb.423:
	v_lshrrev_b32_e32 v22, 24, v14
	s_movk_i32 s3, 0x80
	v_cmp_ne_u32_e32 vcc, s3, v22
	v_mov_b32_e32 v31, 0xffff8000
	s_and_saveexec_b64 s[6:7], vcc
	s_cbranch_execz .LBB696_427
; %bb.424:
	v_bfe_u32 v24, v14, 24, 7
	s_movk_i32 s3, 0x7f
	v_cmp_ne_u32_e32 vcc, s3, v24
	v_mov_b32_e32 v31, 0x7f80
	s_and_saveexec_b64 s[8:9], vcc
	s_cbranch_execz .LBB696_426
; %bb.425:
	v_and_b32_e32 v31, 7, v22
	v_ffbh_u32_e32 v32, v31
	v_min_u32_e32 v35, 32, v32
	v_subrev_u32_e32 v32, 28, v35
	v_lshlrev_b64 v[32:33], v32, v[22:23]
	v_lshrrev_b32_e32 v34, 3, v24
	v_sub_u32_e32 v33, 29, v35
	v_and_b32_e32 v32, 7, v32
	v_cmp_gt_u32_e32 vcc, 8, v24
	v_cndmask_b32_e32 v24, v34, v33, vcc
	v_cndmask_b32_e32 v31, v31, v32, vcc
	v_lshlrev_b32_e32 v22, 24, v22
	v_bfrev_b32_e32 v32, 60
	v_lshlrev_b32_e32 v31, 20, v31
	v_and_b32_e32 v22, 0x80000000, v22
	v_lshl_add_u32 v24, v24, 23, v32
	v_or3_b32 v22, v22, v24, v31
	v_lshrrev_b32_e32 v31, 16, v22
.LBB696_426:
	s_or_b64 exec, exec, s[8:9]
.LBB696_427:
	s_or_b64 exec, exec, s[6:7]
.LBB696_428:
	s_or_b64 exec, exec, s[0:1]
	v_mov_b32_e32 v32, 0
	v_mov_b32_e32 v22, v15
	v_cmp_ne_u16_sdwa s[6:7], v15, v32 src0_sel:BYTE_0 src1_sel:DWORD
	v_mov_b32_e32 v33, 0
	s_and_saveexec_b64 s[0:1], s[6:7]
	s_cbranch_execz .LBB696_434
; %bb.429:
	s_movk_i32 s3, 0x80
	v_cmp_ne_u16_sdwa s[8:9], v15, s3 src0_sel:BYTE_0 src1_sel:DWORD
	v_mov_b32_e32 v33, 0xffff8000
	s_and_saveexec_b64 s[6:7], s[8:9]
	s_cbranch_execz .LBB696_433
; %bb.430:
	s_movk_i32 s3, 0x7f
	v_and_b32_e32 v24, 0x7f, v15
	v_cmp_ne_u32_e32 vcc, s3, v24
	v_mov_b32_e32 v33, 0x7f80
	s_and_saveexec_b64 s[8:9], vcc
	s_cbranch_execz .LBB696_432
; %bb.431:
	v_and_b32_e32 v33, 7, v15
	v_ffbh_u32_e32 v33, v33
	v_min_u32_e32 v33, 32, v33
	v_lshrrev_b32_e32 v34, 3, v24
	v_subrev_u32_e32 v35, 28, v33
	v_sub_u32_e32 v33, 29, v33
	v_cmp_gt_u32_e32 vcc, 8, v24
	v_cndmask_b32_e32 v24, v34, v33, vcc
	v_cndmask_b32_e32 v33, 0, v35, vcc
	v_lshlrev_b64 v[34:35], v33, v[22:23]
	v_lshlrev_b32_e32 v23, 20, v34
	v_lshlrev_b32_e32 v33, 24, v22
	v_bfrev_b32_e32 v34, 60
	v_and_b32_e32 v23, 0x700000, v23
	v_and_b32_e32 v33, 0x80000000, v33
	v_lshl_add_u32 v24, v24, 23, v34
	v_or3_b32 v23, v33, v24, v23
	v_lshrrev_b32_e32 v33, 16, v23
.LBB696_432:
	s_or_b64 exec, exec, s[8:9]
.LBB696_433:
	s_or_b64 exec, exec, s[6:7]
.LBB696_434:
	s_or_b64 exec, exec, s[0:1]
	v_lshrrev_b16_e32 v24, 8, v22
	v_cmp_ne_u16_e32 vcc, 0, v24
	s_and_saveexec_b64 s[0:1], vcc
	s_cbranch_execz .LBB696_440
; %bb.435:
	s_movk_i32 s3, 0x80
	v_cmp_ne_u16_e32 vcc, s3, v24
	v_mov_b32_e32 v32, 0xffff8000
	s_and_saveexec_b64 s[6:7], vcc
	s_cbranch_execz .LBB696_439
; %bb.436:
	s_movk_i32 s3, 0x7f
	v_and_b32_e32 v23, 0x7f, v24
	v_cmp_ne_u32_e32 vcc, s3, v23
	v_mov_b32_e32 v32, 0x7f80
	s_and_saveexec_b64 s[8:9], vcc
	s_cbranch_execz .LBB696_438
; %bb.437:
	v_and_b32_e32 v32, 7, v24
	v_ffbh_u32_e32 v34, v32
	v_min_u32_e32 v37, 32, v34
	v_subrev_u32_e32 v34, 28, v37
	v_lshlrev_b64 v[34:35], v34, v[24:25]
	v_lshrrev_b32_e32 v36, 3, v23
	v_sub_u32_e32 v24, 29, v37
	v_and_b32_e32 v34, 7, v34
	v_cmp_gt_u32_e32 vcc, 8, v23
	v_cndmask_b32_e32 v23, v36, v24, vcc
	v_cndmask_b32_e32 v24, v32, v34, vcc
	v_lshlrev_b32_e32 v22, 16, v22
	v_bfrev_b32_e32 v32, 60
	v_lshlrev_b32_e32 v24, 20, v24
	v_and_b32_e32 v22, 0x80000000, v22
	v_lshl_add_u32 v23, v23, 23, v32
	v_or3_b32 v22, v22, v23, v24
	v_lshrrev_b32_e32 v32, 16, v22
.LBB696_438:
	s_or_b64 exec, exec, s[8:9]
.LBB696_439:
	s_or_b64 exec, exec, s[6:7]
.LBB696_440:
	s_or_b64 exec, exec, s[0:1]
	s_movk_i32 s0, 0xff
	v_and_b32_sdwa v34, v15, s0 dst_sel:DWORD dst_unused:UNUSED_PAD src0_sel:WORD_1 src1_sel:DWORD
	v_lshrrev_b32_e32 v22, 16, v15
	v_cmp_ne_u16_e32 vcc, 0, v34
	v_mov_b32_e32 v23, 0
	v_mov_b32_e32 v24, 0
	s_and_saveexec_b64 s[0:1], vcc
	s_cbranch_execz .LBB696_446
; %bb.441:
	s_movk_i32 s3, 0x80
	v_cmp_ne_u16_e32 vcc, s3, v34
	v_mov_b32_e32 v24, 0xffff8000
	s_and_saveexec_b64 s[6:7], vcc
	s_cbranch_execz .LBB696_445
; %bb.442:
	v_bfe_u32 v34, v15, 16, 7
	s_movk_i32 s3, 0x7f
	v_cmp_ne_u32_e32 vcc, s3, v34
	v_mov_b32_e32 v24, 0x7f80
	s_and_saveexec_b64 s[8:9], vcc
	s_cbranch_execz .LBB696_444
; %bb.443:
	v_and_b32_e32 v24, 7, v22
	v_ffbh_u32_e32 v36, v24
	v_min_u32_e32 v38, 32, v36
	v_subrev_u32_e32 v36, 28, v38
	v_lshlrev_b64 v[36:37], v36, v[22:23]
	v_lshrrev_b32_e32 v35, 3, v34
	v_sub_u32_e32 v22, 29, v38
	v_and_b32_e32 v36, 7, v36
	v_cmp_gt_u32_e32 vcc, 8, v34
	v_mov_b32_e32 v34, 24
	v_cndmask_b32_e32 v22, v35, v22, vcc
	v_cndmask_b32_e32 v24, v24, v36, vcc
	v_lshlrev_b32_sdwa v34, v34, v15 dst_sel:DWORD dst_unused:UNUSED_PAD src0_sel:DWORD src1_sel:WORD_1
	v_bfrev_b32_e32 v35, 60
	v_lshlrev_b32_e32 v24, 20, v24
	v_and_b32_e32 v34, 0x80000000, v34
	v_lshl_add_u32 v22, v22, 23, v35
	v_or3_b32 v22, v34, v22, v24
	v_lshrrev_b32_e32 v24, 16, v22
.LBB696_444:
	s_or_b64 exec, exec, s[8:9]
.LBB696_445:
	s_or_b64 exec, exec, s[6:7]
.LBB696_446:
	s_or_b64 exec, exec, s[0:1]
	s_mov_b32 s0, -1
	s_mov_b32 s1, 0xffffff
	v_cmp_lt_u64_e32 vcc, s[0:1], v[14:15]
	s_and_saveexec_b64 s[0:1], vcc
	s_cbranch_execz .LBB696_452
; %bb.447:
	v_lshrrev_b32_e32 v14, 24, v15
	s_movk_i32 s3, 0x80
	v_cmp_ne_u32_e32 vcc, s3, v14
	v_mov_b32_e32 v23, 0xffff8000
	s_and_saveexec_b64 s[6:7], vcc
	s_cbranch_execz .LBB696_451
; %bb.448:
	v_bfe_u32 v15, v15, 24, 7
	s_movk_i32 s3, 0x7f
	v_cmp_ne_u32_e32 vcc, s3, v15
	v_mov_b32_e32 v23, 0x7f80
	s_and_saveexec_b64 s[8:9], vcc
	s_cbranch_execz .LBB696_450
; %bb.449:
	v_and_b32_e32 v34, 7, v14
	v_ffbh_u32_e32 v22, v34
	v_min_u32_e32 v36, 32, v22
	v_subrev_u32_e32 v22, 28, v36
	v_lshlrev_b64 v[22:23], v22, v[14:15]
	v_lshrrev_b32_e32 v35, 3, v15
	v_sub_u32_e32 v23, 29, v36
	v_and_b32_e32 v22, 7, v22
	v_cmp_gt_u32_e32 vcc, 8, v15
	v_cndmask_b32_e32 v15, v35, v23, vcc
	v_cndmask_b32_e32 v22, v34, v22, vcc
	v_lshlrev_b32_e32 v14, 24, v14
	v_bfrev_b32_e32 v23, 60
	v_lshlrev_b32_e32 v22, 20, v22
	v_and_b32_e32 v14, 0x80000000, v14
	v_lshl_add_u32 v15, v15, 23, v23
	v_or3_b32 v14, v14, v15, v22
	v_lshrrev_b32_e32 v23, 16, v14
.LBB696_450:
	s_or_b64 exec, exec, s[8:9]
.LBB696_451:
	s_or_b64 exec, exec, s[6:7]
.LBB696_452:
	s_or_b64 exec, exec, s[0:1]
	v_add_f32_e32 v14, 0x358637bd, v27
	v_div_scale_f32 v15, s[0:1], v14, v14, 1.0
	v_rcp_f32_e32 v22, v15
	v_div_scale_f32 v27, vcc, 1.0, v14, 1.0
	v_sub_f32_e32 v25, v25, v26
	v_fma_f32 v34, -v15, v22, 1.0
	v_fmac_f32_e32 v22, v34, v22
	v_mul_f32_e32 v34, v27, v22
	v_fma_f32 v35, -v15, v34, v27
	v_mul_f32_e32 v25, 0x3fb8aa3b, v25
	v_fmac_f32_e32 v34, v35, v22
	v_exp_f32_e32 v25, v25
	v_fma_f32 v15, -v15, v34, v27
	v_div_fmas_f32 v15, v15, v22, v34
	v_div_fixup_f32 v14, v15, v14, 1.0
	v_mul_f32_e32 v14, v25, v14
	v_pk_mul_f32 v[20:21], v[20:21], v[14:15] op_sel_hi:[1,0]
	v_pk_mul_f32 v[14:15], v[18:19], v[14:15] op_sel_hi:[1,0]
	v_bfe_u32 v18, v15, 16, 1
	v_bfe_u32 v19, v14, 16, 1
	s_movk_i32 s0, 0x7fff
	v_add3_u32 v14, v14, v19, s0
	v_add3_u32 v15, v15, v18, s0
	s_mov_b32 s1, 0x7060302
	v_perm_b32 v14, v15, v14, s1
	v_bfe_u32 v15, v21, 16, 1
	v_bfe_u32 v18, v20, 16, 1
	v_add3_u32 v18, v20, v18, s0
	v_add3_u32 v15, v21, v15, s0
	v_perm_b32 v15, v15, v18, s1
	s_mov_b32 s0, 0x5040100
	v_perm_b32 v19, v31, v30, s0
	v_perm_b32 v18, v28, v29, s0
	;; [unrolled: 1-line block ×4, first 2 shown]
	v_mfma_f32_4x4x4bf16_1k a[0:3], v[14:15], v[18:19], 0 cbsz:4
	v_mov_b32_e32 v21, 0
	v_mfma_f32_4x4x4bf16_1k a[0:3], v[14:15], v[22:23], a[0:3] cbsz:4 abid:1
	v_mov_b32_e32 v22, 0
	v_cmp_ne_u16_sdwa s[6:7], v16, v22 src0_sel:BYTE_0 src1_sel:DWORD
	s_and_saveexec_b64 s[0:1], s[6:7]
	s_cbranch_execz .LBB696_458
; %bb.453:
	s_movk_i32 s3, 0x80
	v_cmp_ne_u16_sdwa s[8:9], v16, s3 src0_sel:BYTE_0 src1_sel:DWORD
	v_mov_b32_e32 v21, 0xffff8000
	s_and_saveexec_b64 s[6:7], s[8:9]
	s_cbranch_execz .LBB696_457
; %bb.454:
	s_movk_i32 s3, 0x7f
	v_and_b32_e32 v18, 0x7f, v16
	v_cmp_ne_u32_e32 vcc, s3, v18
	v_mov_b32_e32 v21, 0x7f80
	s_and_saveexec_b64 s[8:9], vcc
	s_cbranch_execz .LBB696_456
; %bb.455:
	v_and_b32_e32 v19, 7, v16
	v_ffbh_u32_e32 v19, v19
	v_min_u32_e32 v19, 32, v19
	v_subrev_u32_e32 v21, 28, v19
	v_cmp_gt_u32_e32 vcc, 8, v18
	v_lshrrev_b32_e32 v20, 3, v18
	v_sub_u32_e32 v19, 29, v19
	v_cndmask_b32_e32 v18, 0, v21, vcc
	v_cndmask_b32_e32 v20, v20, v19, vcc
	v_lshlrev_b64 v[18:19], v18, v[16:17]
	v_lshlrev_b32_e32 v18, 20, v18
	v_lshlrev_b32_e32 v19, 24, v16
	v_bfrev_b32_e32 v21, 60
	v_and_b32_e32 v18, 0x700000, v18
	v_and_b32_e32 v19, 0x80000000, v19
	v_lshl_add_u32 v20, v20, 23, v21
	v_or3_b32 v18, v19, v20, v18
	v_lshrrev_b32_e32 v21, 16, v18
.LBB696_456:
	s_or_b64 exec, exec, s[8:9]
.LBB696_457:
	s_or_b64 exec, exec, s[6:7]
.LBB696_458:
	s_or_b64 exec, exec, s[0:1]
	v_lshrrev_b16_e32 v18, 8, v16
	v_cmp_ne_u16_e32 vcc, 0, v18
	s_and_saveexec_b64 s[0:1], vcc
	s_cbranch_execz .LBB696_464
; %bb.459:
	s_movk_i32 s3, 0x80
	v_cmp_ne_u16_e32 vcc, s3, v18
	v_mov_b32_e32 v22, 0xffff8000
	s_and_saveexec_b64 s[6:7], vcc
	s_cbranch_execz .LBB696_463
; %bb.460:
	s_movk_i32 s3, 0x7f
	v_and_b32_e32 v19, 0x7f, v18
	v_cmp_ne_u32_e32 vcc, s3, v19
	v_mov_b32_e32 v22, 0x7f80
	s_and_saveexec_b64 s[8:9], vcc
	s_cbranch_execz .LBB696_462
; %bb.461:
	v_and_b32_e32 v20, 7, v18
	v_ffbh_u32_e32 v22, v20
	v_min_u32_e32 v25, 32, v22
	v_subrev_u32_e32 v22, 28, v25
	v_lshlrev_b64 v[22:23], v22, v[18:19]
	v_lshrrev_b32_e32 v24, 3, v19
	v_sub_u32_e32 v18, 29, v25
	v_and_b32_e32 v22, 7, v22
	v_cmp_gt_u32_e32 vcc, 8, v19
	v_cndmask_b32_e32 v18, v24, v18, vcc
	v_cndmask_b32_e32 v19, v20, v22, vcc
	v_lshlrev_b32_e32 v20, 16, v16
	v_bfrev_b32_e32 v22, 60
	v_lshlrev_b32_e32 v19, 20, v19
	v_and_b32_e32 v20, 0x80000000, v20
	v_lshl_add_u32 v18, v18, 23, v22
	v_or3_b32 v18, v20, v18, v19
	v_lshrrev_b32_e32 v22, 16, v18
.LBB696_462:
	s_or_b64 exec, exec, s[8:9]
.LBB696_463:
	s_or_b64 exec, exec, s[6:7]
.LBB696_464:
	s_or_b64 exec, exec, s[0:1]
	s_movk_i32 s0, 0xff
	v_and_b32_sdwa v20, v16, s0 dst_sel:DWORD dst_unused:UNUSED_PAD src0_sel:WORD_1 src1_sel:DWORD
	v_lshrrev_b32_e32 v18, 16, v16
	v_cmp_ne_u16_e32 vcc, 0, v20
	v_mov_b32_e32 v19, 0
	v_mov_b32_e32 v23, 0
	s_and_saveexec_b64 s[0:1], vcc
	s_cbranch_execz .LBB696_470
; %bb.465:
	s_movk_i32 s3, 0x80
	v_cmp_ne_u16_e32 vcc, s3, v20
	v_mov_b32_e32 v23, 0xffff8000
	s_and_saveexec_b64 s[6:7], vcc
	s_cbranch_execz .LBB696_469
; %bb.466:
	v_bfe_u32 v20, v16, 16, 7
	s_movk_i32 s3, 0x7f
	v_cmp_ne_u32_e32 vcc, s3, v20
	v_mov_b32_e32 v23, 0x7f80
	s_and_saveexec_b64 s[8:9], vcc
	s_cbranch_execz .LBB696_468
; %bb.467:
	v_and_b32_e32 v23, 7, v18
	v_ffbh_u32_e32 v24, v23
	v_min_u32_e32 v27, 32, v24
	v_subrev_u32_e32 v24, 28, v27
	v_lshlrev_b64 v[24:25], v24, v[18:19]
	v_and_b32_e32 v24, 7, v24
	v_cmp_gt_u32_e32 vcc, 8, v20
	v_lshrrev_b32_e32 v26, 3, v20
	v_sub_u32_e32 v18, 29, v27
	v_cndmask_b32_e32 v20, v23, v24, vcc
	v_mov_b32_e32 v23, 24
	v_cndmask_b32_e32 v18, v26, v18, vcc
	v_lshlrev_b32_sdwa v23, v23, v16 dst_sel:DWORD dst_unused:UNUSED_PAD src0_sel:DWORD src1_sel:WORD_1
	v_bfrev_b32_e32 v24, 60
	v_lshlrev_b32_e32 v20, 20, v20
	v_and_b32_e32 v23, 0x80000000, v23
	v_lshl_add_u32 v18, v18, 23, v24
	v_or3_b32 v18, v23, v18, v20
	v_lshrrev_b32_e32 v23, 16, v18
.LBB696_468:
	s_or_b64 exec, exec, s[8:9]
.LBB696_469:
	s_or_b64 exec, exec, s[6:7]
.LBB696_470:
	s_or_b64 exec, exec, s[0:1]
	s_mov_b32 s0, 0xffffff
	v_cmp_lt_u32_e32 vcc, s0, v16
	v_mov_b32_e32 v24, 0
	s_and_saveexec_b64 s[0:1], vcc
	s_cbranch_execz .LBB696_476
; %bb.471:
	v_lshrrev_b32_e32 v18, 24, v16
	s_movk_i32 s3, 0x80
	v_cmp_ne_u32_e32 vcc, s3, v18
	v_mov_b32_e32 v24, 0xffff8000
	s_and_saveexec_b64 s[6:7], vcc
	s_cbranch_execz .LBB696_475
; %bb.472:
	v_bfe_u32 v20, v16, 24, 7
	s_movk_i32 s3, 0x7f
	v_cmp_ne_u32_e32 vcc, s3, v20
	v_mov_b32_e32 v24, 0x7f80
	s_and_saveexec_b64 s[8:9], vcc
	s_cbranch_execz .LBB696_474
; %bb.473:
	v_and_b32_e32 v26, 7, v18
	v_ffbh_u32_e32 v24, v26
	v_min_u32_e32 v28, 32, v24
	v_subrev_u32_e32 v24, 28, v28
	v_lshlrev_b64 v[24:25], v24, v[18:19]
	v_lshrrev_b32_e32 v27, 3, v20
	v_sub_u32_e32 v25, 29, v28
	v_and_b32_e32 v24, 7, v24
	v_cmp_gt_u32_e32 vcc, 8, v20
	v_cndmask_b32_e32 v20, v27, v25, vcc
	v_cndmask_b32_e32 v24, v26, v24, vcc
	v_lshlrev_b32_e32 v18, 24, v18
	v_bfrev_b32_e32 v25, 60
	v_lshlrev_b32_e32 v24, 20, v24
	v_and_b32_e32 v18, 0x80000000, v18
	v_lshl_add_u32 v20, v20, 23, v25
	v_or3_b32 v18, v18, v20, v24
	v_lshrrev_b32_e32 v24, 16, v18
.LBB696_474:
	s_or_b64 exec, exec, s[8:9]
.LBB696_475:
	s_or_b64 exec, exec, s[6:7]
.LBB696_476:
	s_or_b64 exec, exec, s[0:1]
	v_mov_b32_e32 v25, 0
	v_mov_b32_e32 v18, v17
	v_cmp_ne_u16_sdwa s[6:7], v17, v25 src0_sel:BYTE_0 src1_sel:DWORD
	v_mov_b32_e32 v26, 0
	s_and_saveexec_b64 s[0:1], s[6:7]
	s_cbranch_execz .LBB696_482
; %bb.477:
	s_movk_i32 s3, 0x80
	v_cmp_ne_u16_sdwa s[8:9], v17, s3 src0_sel:BYTE_0 src1_sel:DWORD
	v_mov_b32_e32 v26, 0xffff8000
	s_and_saveexec_b64 s[6:7], s[8:9]
	s_cbranch_execz .LBB696_481
; %bb.478:
	s_movk_i32 s3, 0x7f
	v_and_b32_e32 v20, 0x7f, v17
	v_cmp_ne_u32_e32 vcc, s3, v20
	v_mov_b32_e32 v26, 0x7f80
	s_and_saveexec_b64 s[8:9], vcc
	s_cbranch_execz .LBB696_480
; %bb.479:
	v_and_b32_e32 v26, 7, v17
	v_ffbh_u32_e32 v26, v26
	v_min_u32_e32 v26, 32, v26
	v_lshrrev_b32_e32 v27, 3, v20
	v_subrev_u32_e32 v28, 28, v26
	v_sub_u32_e32 v26, 29, v26
	v_cmp_gt_u32_e32 vcc, 8, v20
	v_cndmask_b32_e32 v20, v27, v26, vcc
	v_cndmask_b32_e32 v26, 0, v28, vcc
	v_lshlrev_b64 v[26:27], v26, v[18:19]
	v_lshlrev_b32_e32 v19, 20, v26
	v_lshlrev_b32_e32 v26, 24, v18
	v_bfrev_b32_e32 v27, 60
	v_and_b32_e32 v19, 0x700000, v19
	v_and_b32_e32 v26, 0x80000000, v26
	v_lshl_add_u32 v20, v20, 23, v27
	v_or3_b32 v19, v26, v20, v19
	v_lshrrev_b32_e32 v26, 16, v19
.LBB696_480:
	s_or_b64 exec, exec, s[8:9]
.LBB696_481:
	s_or_b64 exec, exec, s[6:7]
.LBB696_482:
	s_or_b64 exec, exec, s[0:1]
	v_lshrrev_b16_e32 v20, 8, v18
	v_cmp_ne_u16_e32 vcc, 0, v20
	s_and_saveexec_b64 s[0:1], vcc
	s_cbranch_execz .LBB696_488
; %bb.483:
	s_movk_i32 s3, 0x80
	v_cmp_ne_u16_e32 vcc, s3, v20
	v_mov_b32_e32 v25, 0xffff8000
	s_and_saveexec_b64 s[6:7], vcc
	s_cbranch_execz .LBB696_487
; %bb.484:
	s_movk_i32 s3, 0x7f
	v_and_b32_e32 v19, 0x7f, v20
	v_cmp_ne_u32_e32 vcc, s3, v19
	v_mov_b32_e32 v25, 0x7f80
	s_and_saveexec_b64 s[8:9], vcc
	s_cbranch_execz .LBB696_486
; %bb.485:
	v_and_b32_e32 v25, 7, v20
	v_ffbh_u32_e32 v28, v25
	v_min_u32_e32 v30, 32, v28
	v_subrev_u32_e32 v28, 28, v30
	v_lshlrev_b64 v[28:29], v28, v[20:21]
	v_lshrrev_b32_e32 v27, 3, v19
	v_sub_u32_e32 v20, 29, v30
	v_and_b32_e32 v28, 7, v28
	v_cmp_gt_u32_e32 vcc, 8, v19
	v_cndmask_b32_e32 v19, v27, v20, vcc
	v_cndmask_b32_e32 v20, v25, v28, vcc
	v_lshlrev_b32_e32 v18, 16, v18
	v_bfrev_b32_e32 v25, 60
	v_lshlrev_b32_e32 v20, 20, v20
	v_and_b32_e32 v18, 0x80000000, v18
	v_lshl_add_u32 v19, v19, 23, v25
	v_or3_b32 v18, v18, v19, v20
	v_lshrrev_b32_e32 v25, 16, v18
.LBB696_486:
	s_or_b64 exec, exec, s[8:9]
.LBB696_487:
	s_or_b64 exec, exec, s[6:7]
.LBB696_488:
	s_or_b64 exec, exec, s[0:1]
	s_movk_i32 s0, 0xff
	v_and_b32_sdwa v27, v17, s0 dst_sel:DWORD dst_unused:UNUSED_PAD src0_sel:WORD_1 src1_sel:DWORD
	v_lshrrev_b32_e32 v18, 16, v17
	v_cmp_ne_u16_e32 vcc, 0, v27
	v_mov_b32_e32 v19, 0
	v_mov_b32_e32 v20, 0
	s_and_saveexec_b64 s[0:1], vcc
	s_cbranch_execz .LBB696_494
; %bb.489:
	s_movk_i32 s3, 0x80
	v_cmp_ne_u16_e32 vcc, s3, v27
	v_mov_b32_e32 v20, 0xffff8000
	s_and_saveexec_b64 s[6:7], vcc
	s_cbranch_execz .LBB696_493
; %bb.490:
	v_bfe_u32 v27, v17, 16, 7
	s_movk_i32 s3, 0x7f
	v_cmp_ne_u32_e32 vcc, s3, v27
	v_mov_b32_e32 v20, 0x7f80
	s_and_saveexec_b64 s[8:9], vcc
	s_cbranch_execz .LBB696_492
; %bb.491:
	v_and_b32_e32 v20, 7, v18
	v_ffbh_u32_e32 v28, v20
	v_min_u32_e32 v31, 32, v28
	v_subrev_u32_e32 v28, 28, v31
	v_lshlrev_b64 v[28:29], v28, v[18:19]
	v_lshrrev_b32_e32 v30, 3, v27
	v_sub_u32_e32 v18, 29, v31
	v_and_b32_e32 v28, 7, v28
	v_cmp_gt_u32_e32 vcc, 8, v27
	v_mov_b32_e32 v27, 24
	v_cndmask_b32_e32 v18, v30, v18, vcc
	v_cndmask_b32_e32 v20, v20, v28, vcc
	v_lshlrev_b32_sdwa v27, v27, v17 dst_sel:DWORD dst_unused:UNUSED_PAD src0_sel:DWORD src1_sel:WORD_1
	v_bfrev_b32_e32 v28, 60
	v_lshlrev_b32_e32 v20, 20, v20
	v_and_b32_e32 v27, 0x80000000, v27
	v_lshl_add_u32 v18, v18, 23, v28
	v_or3_b32 v18, v27, v18, v20
	v_lshrrev_b32_e32 v20, 16, v18
.LBB696_492:
	s_or_b64 exec, exec, s[8:9]
.LBB696_493:
	s_or_b64 exec, exec, s[6:7]
.LBB696_494:
	s_or_b64 exec, exec, s[0:1]
	s_mov_b32 s0, -1
	s_mov_b32 s1, 0xffffff
	v_cmp_lt_u64_e32 vcc, s[0:1], v[16:17]
	s_and_saveexec_b64 s[0:1], vcc
	s_cbranch_execz .LBB696_500
; %bb.495:
	v_lshrrev_b32_e32 v16, 24, v17
	s_movk_i32 s3, 0x80
	v_cmp_ne_u32_e32 vcc, s3, v16
	v_mov_b32_e32 v19, 0xffff8000
	s_and_saveexec_b64 s[6:7], vcc
	s_cbranch_execz .LBB696_499
; %bb.496:
	v_bfe_u32 v17, v17, 24, 7
	s_movk_i32 s3, 0x7f
	v_cmp_ne_u32_e32 vcc, s3, v17
	v_mov_b32_e32 v19, 0x7f80
	s_and_saveexec_b64 s[8:9], vcc
	s_cbranch_execz .LBB696_498
; %bb.497:
	v_and_b32_e32 v27, 7, v16
	v_ffbh_u32_e32 v18, v27
	v_min_u32_e32 v29, 32, v18
	v_subrev_u32_e32 v18, 28, v29
	v_lshlrev_b64 v[18:19], v18, v[16:17]
	v_lshrrev_b32_e32 v28, 3, v17
	v_sub_u32_e32 v19, 29, v29
	v_and_b32_e32 v18, 7, v18
	v_cmp_gt_u32_e32 vcc, 8, v17
	v_cndmask_b32_e32 v17, v28, v19, vcc
	v_cndmask_b32_e32 v18, v27, v18, vcc
	v_lshlrev_b32_e32 v16, 24, v16
	v_bfrev_b32_e32 v19, 60
	v_lshlrev_b32_e32 v18, 20, v18
	v_and_b32_e32 v16, 0x80000000, v16
	v_lshl_add_u32 v17, v17, 23, v19
	v_or3_b32 v16, v16, v17, v18
	v_lshrrev_b32_e32 v19, 16, v16
.LBB696_498:
	s_or_b64 exec, exec, s[8:9]
.LBB696_499:
	s_or_b64 exec, exec, s[6:7]
.LBB696_500:
	s_or_b64 exec, exec, s[0:1]
	s_mov_b32 s0, 0x5040100
	v_perm_b32 v17, v24, v23, s0
	v_perm_b32 v16, v22, v21, s0
	;; [unrolled: 1-line block ×4, first 2 shown]
	v_mfma_f32_4x4x4bf16_1k a[0:3], v[14:15], v[16:17], a[0:3] cbsz:4 abid:2
	v_mov_b32_e32 v20, 0
	v_mfma_f32_4x4x4bf16_1k a[0:3], v[14:15], v[18:19], a[0:3] cbsz:4 abid:3
	v_mov_b32_e32 v19, 0
	s_waitcnt vmcnt(2)
	v_cmp_ne_u16_sdwa s[6:7], v10, v19 src0_sel:BYTE_0 src1_sel:DWORD
	s_and_saveexec_b64 s[0:1], s[6:7]
	s_cbranch_execz .LBB696_506
; %bb.501:
	s_movk_i32 s3, 0x80
	v_cmp_ne_u16_sdwa s[8:9], v10, s3 src0_sel:BYTE_0 src1_sel:DWORD
	v_mov_b32_e32 v20, 0xffff8000
	s_and_saveexec_b64 s[6:7], s[8:9]
	s_cbranch_execz .LBB696_505
; %bb.502:
	s_movk_i32 s3, 0x7f
	v_and_b32_e32 v16, 0x7f, v10
	v_cmp_ne_u32_e32 vcc, s3, v16
	v_mov_b32_e32 v20, 0x7f80
	s_and_saveexec_b64 s[8:9], vcc
	s_cbranch_execz .LBB696_504
; %bb.503:
	v_and_b32_e32 v17, 7, v10
	v_ffbh_u32_e32 v17, v17
	v_min_u32_e32 v17, 32, v17
	v_subrev_u32_e32 v20, 28, v17
	v_cmp_gt_u32_e32 vcc, 8, v16
	v_lshrrev_b32_e32 v18, 3, v16
	v_sub_u32_e32 v17, 29, v17
	v_cndmask_b32_e32 v16, 0, v20, vcc
	v_cndmask_b32_e32 v18, v18, v17, vcc
	v_lshlrev_b64 v[16:17], v16, v[10:11]
	v_lshlrev_b32_e32 v16, 20, v16
	v_lshlrev_b32_e32 v17, 24, v10
	v_bfrev_b32_e32 v20, 60
	v_and_b32_e32 v16, 0x700000, v16
	v_and_b32_e32 v17, 0x80000000, v17
	v_lshl_add_u32 v18, v18, 23, v20
	v_or3_b32 v16, v17, v18, v16
	v_lshrrev_b32_e32 v20, 16, v16
.LBB696_504:
	s_or_b64 exec, exec, s[8:9]
.LBB696_505:
	s_or_b64 exec, exec, s[6:7]
.LBB696_506:
	s_or_b64 exec, exec, s[0:1]
	v_lshrrev_b16_e32 v16, 8, v10
	v_cmp_ne_u16_e32 vcc, 0, v16
	s_and_saveexec_b64 s[0:1], vcc
	s_cbranch_execz .LBB696_512
; %bb.507:
	s_movk_i32 s3, 0x80
	v_cmp_ne_u16_e32 vcc, s3, v16
	v_mov_b32_e32 v19, 0xffff8000
	s_and_saveexec_b64 s[6:7], vcc
	s_cbranch_execz .LBB696_511
; %bb.508:
	s_movk_i32 s3, 0x7f
	v_and_b32_e32 v17, 0x7f, v16
	v_cmp_ne_u32_e32 vcc, s3, v17
	v_mov_b32_e32 v19, 0x7f80
	s_and_saveexec_b64 s[8:9], vcc
	s_cbranch_execz .LBB696_510
; %bb.509:
	v_and_b32_e32 v21, 7, v16
	v_ffbh_u32_e32 v18, v21
	v_min_u32_e32 v23, 32, v18
	v_subrev_u32_e32 v18, 28, v23
	v_lshlrev_b64 v[18:19], v18, v[16:17]
	v_lshrrev_b32_e32 v22, 3, v17
	v_sub_u32_e32 v16, 29, v23
	v_and_b32_e32 v18, 7, v18
	v_cmp_gt_u32_e32 vcc, 8, v17
	v_cndmask_b32_e32 v16, v22, v16, vcc
	v_cndmask_b32_e32 v17, v21, v18, vcc
	v_lshlrev_b32_e32 v18, 16, v10
	v_bfrev_b32_e32 v19, 60
	v_lshlrev_b32_e32 v17, 20, v17
	v_and_b32_e32 v18, 0x80000000, v18
	v_lshl_add_u32 v16, v16, 23, v19
	v_or3_b32 v16, v18, v16, v17
	v_lshrrev_b32_e32 v19, 16, v16
.LBB696_510:
	s_or_b64 exec, exec, s[8:9]
.LBB696_511:
	s_or_b64 exec, exec, s[6:7]
.LBB696_512:
	s_or_b64 exec, exec, s[0:1]
	s_movk_i32 s0, 0xff
	v_and_b32_sdwa v18, v10, s0 dst_sel:DWORD dst_unused:UNUSED_PAD src0_sel:WORD_1 src1_sel:DWORD
	v_lshrrev_b32_e32 v16, 16, v10
	v_cmp_ne_u16_e32 vcc, 0, v18
	v_mov_b32_e32 v17, 0
	v_mov_b32_e32 v21, 0
	s_and_saveexec_b64 s[0:1], vcc
	s_cbranch_execz .LBB696_518
; %bb.513:
	s_movk_i32 s3, 0x80
	v_cmp_ne_u16_e32 vcc, s3, v18
	v_mov_b32_e32 v21, 0xffff8000
	s_and_saveexec_b64 s[6:7], vcc
	s_cbranch_execz .LBB696_517
; %bb.514:
	v_bfe_u32 v18, v10, 16, 7
	s_movk_i32 s3, 0x7f
	v_cmp_ne_u32_e32 vcc, s3, v18
	v_mov_b32_e32 v21, 0x7f80
	s_and_saveexec_b64 s[8:9], vcc
	s_cbranch_execz .LBB696_516
; %bb.515:
	v_and_b32_e32 v21, 7, v16
	v_ffbh_u32_e32 v22, v21
	v_min_u32_e32 v25, 32, v22
	v_subrev_u32_e32 v22, 28, v25
	v_lshlrev_b64 v[22:23], v22, v[16:17]
	v_and_b32_e32 v22, 7, v22
	v_cmp_gt_u32_e32 vcc, 8, v18
	v_lshrrev_b32_e32 v24, 3, v18
	v_sub_u32_e32 v16, 29, v25
	v_cndmask_b32_e32 v18, v21, v22, vcc
	v_mov_b32_e32 v21, 24
	v_cndmask_b32_e32 v16, v24, v16, vcc
	v_lshlrev_b32_sdwa v21, v21, v10 dst_sel:DWORD dst_unused:UNUSED_PAD src0_sel:DWORD src1_sel:WORD_1
	v_bfrev_b32_e32 v22, 60
	v_lshlrev_b32_e32 v18, 20, v18
	v_and_b32_e32 v21, 0x80000000, v21
	v_lshl_add_u32 v16, v16, 23, v22
	v_or3_b32 v16, v21, v16, v18
	v_lshrrev_b32_e32 v21, 16, v16
.LBB696_516:
	s_or_b64 exec, exec, s[8:9]
.LBB696_517:
	s_or_b64 exec, exec, s[6:7]
.LBB696_518:
	s_or_b64 exec, exec, s[0:1]
	s_mov_b32 s0, 0xffffff
	v_cmp_lt_u32_e32 vcc, s0, v10
	v_mov_b32_e32 v22, 0
	s_and_saveexec_b64 s[0:1], vcc
	s_cbranch_execz .LBB696_524
; %bb.519:
	v_lshrrev_b32_e32 v16, 24, v10
	s_movk_i32 s3, 0x80
	v_cmp_ne_u32_e32 vcc, s3, v16
	v_mov_b32_e32 v22, 0xffff8000
	s_and_saveexec_b64 s[6:7], vcc
	s_cbranch_execz .LBB696_523
; %bb.520:
	v_bfe_u32 v18, v10, 24, 7
	s_movk_i32 s3, 0x7f
	v_cmp_ne_u32_e32 vcc, s3, v18
	v_mov_b32_e32 v22, 0x7f80
	s_and_saveexec_b64 s[8:9], vcc
	s_cbranch_execz .LBB696_522
; %bb.521:
	v_and_b32_e32 v24, 7, v16
	v_ffbh_u32_e32 v22, v24
	v_min_u32_e32 v26, 32, v22
	v_subrev_u32_e32 v22, 28, v26
	v_lshlrev_b64 v[22:23], v22, v[16:17]
	v_lshrrev_b32_e32 v25, 3, v18
	v_sub_u32_e32 v23, 29, v26
	v_and_b32_e32 v22, 7, v22
	v_cmp_gt_u32_e32 vcc, 8, v18
	v_cndmask_b32_e32 v18, v25, v23, vcc
	v_cndmask_b32_e32 v22, v24, v22, vcc
	v_lshlrev_b32_e32 v16, 24, v16
	v_bfrev_b32_e32 v23, 60
	v_lshlrev_b32_e32 v22, 20, v22
	v_and_b32_e32 v16, 0x80000000, v16
	v_lshl_add_u32 v18, v18, 23, v23
	v_or3_b32 v16, v16, v18, v22
	v_lshrrev_b32_e32 v22, 16, v16
.LBB696_522:
	s_or_b64 exec, exec, s[8:9]
.LBB696_523:
	s_or_b64 exec, exec, s[6:7]
.LBB696_524:
	s_or_b64 exec, exec, s[0:1]
	v_mov_b32_e32 v23, 0
	v_mov_b32_e32 v16, v11
	v_cmp_ne_u16_sdwa s[6:7], v11, v23 src0_sel:BYTE_0 src1_sel:DWORD
	v_mov_b32_e32 v24, 0
	s_and_saveexec_b64 s[0:1], s[6:7]
	s_cbranch_execz .LBB696_530
; %bb.525:
	s_movk_i32 s3, 0x80
	v_cmp_ne_u16_sdwa s[8:9], v11, s3 src0_sel:BYTE_0 src1_sel:DWORD
	v_mov_b32_e32 v24, 0xffff8000
	s_and_saveexec_b64 s[6:7], s[8:9]
	s_cbranch_execz .LBB696_529
; %bb.526:
	s_movk_i32 s3, 0x7f
	v_and_b32_e32 v18, 0x7f, v11
	v_cmp_ne_u32_e32 vcc, s3, v18
	v_mov_b32_e32 v24, 0x7f80
	s_and_saveexec_b64 s[8:9], vcc
	s_cbranch_execz .LBB696_528
; %bb.527:
	v_and_b32_e32 v24, 7, v11
	v_ffbh_u32_e32 v24, v24
	v_min_u32_e32 v24, 32, v24
	v_lshrrev_b32_e32 v25, 3, v18
	v_subrev_u32_e32 v26, 28, v24
	v_sub_u32_e32 v24, 29, v24
	v_cmp_gt_u32_e32 vcc, 8, v18
	v_cndmask_b32_e32 v18, v25, v24, vcc
	v_cndmask_b32_e32 v24, 0, v26, vcc
	v_lshlrev_b64 v[24:25], v24, v[16:17]
	v_lshlrev_b32_e32 v17, 20, v24
	v_lshlrev_b32_e32 v24, 24, v16
	v_bfrev_b32_e32 v25, 60
	v_and_b32_e32 v17, 0x700000, v17
	v_and_b32_e32 v24, 0x80000000, v24
	v_lshl_add_u32 v18, v18, 23, v25
	v_or3_b32 v17, v24, v18, v17
	v_lshrrev_b32_e32 v24, 16, v17
.LBB696_528:
	s_or_b64 exec, exec, s[8:9]
.LBB696_529:
	s_or_b64 exec, exec, s[6:7]
.LBB696_530:
	s_or_b64 exec, exec, s[0:1]
	v_lshrrev_b16_e32 v18, 8, v16
	v_cmp_ne_u16_e32 vcc, 0, v18
	s_and_saveexec_b64 s[0:1], vcc
	s_cbranch_execz .LBB696_536
; %bb.531:
	s_movk_i32 s3, 0x80
	v_cmp_ne_u16_e32 vcc, s3, v18
	v_mov_b32_e32 v23, 0xffff8000
	s_and_saveexec_b64 s[6:7], vcc
	s_cbranch_execz .LBB696_535
; %bb.532:
	s_movk_i32 s3, 0x7f
	v_and_b32_e32 v17, 0x7f, v18
	v_cmp_ne_u32_e32 vcc, s3, v17
	v_mov_b32_e32 v23, 0x7f80
	s_and_saveexec_b64 s[8:9], vcc
	s_cbranch_execz .LBB696_534
; %bb.533:
	v_and_b32_e32 v23, 7, v18
	v_ffbh_u32_e32 v26, v23
	v_min_u32_e32 v28, 32, v26
	v_subrev_u32_e32 v26, 28, v28
	v_lshlrev_b64 v[26:27], v26, v[18:19]
	v_lshrrev_b32_e32 v25, 3, v17
	v_sub_u32_e32 v18, 29, v28
	v_and_b32_e32 v26, 7, v26
	v_cmp_gt_u32_e32 vcc, 8, v17
	v_cndmask_b32_e32 v17, v25, v18, vcc
	v_cndmask_b32_e32 v18, v23, v26, vcc
	v_lshlrev_b32_e32 v16, 16, v16
	v_bfrev_b32_e32 v23, 60
	v_lshlrev_b32_e32 v18, 20, v18
	v_and_b32_e32 v16, 0x80000000, v16
	v_lshl_add_u32 v17, v17, 23, v23
	v_or3_b32 v16, v16, v17, v18
	v_lshrrev_b32_e32 v23, 16, v16
.LBB696_534:
	s_or_b64 exec, exec, s[8:9]
.LBB696_535:
	s_or_b64 exec, exec, s[6:7]
.LBB696_536:
	s_or_b64 exec, exec, s[0:1]
	s_movk_i32 s0, 0xff
	v_and_b32_sdwa v25, v11, s0 dst_sel:DWORD dst_unused:UNUSED_PAD src0_sel:WORD_1 src1_sel:DWORD
	v_lshrrev_b32_e32 v16, 16, v11
	v_cmp_ne_u16_e32 vcc, 0, v25
	v_mov_b32_e32 v17, 0
	v_mov_b32_e32 v18, 0
	s_and_saveexec_b64 s[0:1], vcc
	s_cbranch_execz .LBB696_542
; %bb.537:
	s_movk_i32 s3, 0x80
	v_cmp_ne_u16_e32 vcc, s3, v25
	v_mov_b32_e32 v18, 0xffff8000
	s_and_saveexec_b64 s[6:7], vcc
	s_cbranch_execz .LBB696_541
; %bb.538:
	v_bfe_u32 v25, v11, 16, 7
	s_movk_i32 s3, 0x7f
	v_cmp_ne_u32_e32 vcc, s3, v25
	v_mov_b32_e32 v18, 0x7f80
	s_and_saveexec_b64 s[8:9], vcc
	s_cbranch_execz .LBB696_540
; %bb.539:
	v_and_b32_e32 v18, 7, v16
	v_ffbh_u32_e32 v26, v18
	v_min_u32_e32 v29, 32, v26
	v_subrev_u32_e32 v26, 28, v29
	v_lshlrev_b64 v[26:27], v26, v[16:17]
	v_lshrrev_b32_e32 v28, 3, v25
	v_sub_u32_e32 v16, 29, v29
	v_and_b32_e32 v26, 7, v26
	v_cmp_gt_u32_e32 vcc, 8, v25
	v_mov_b32_e32 v25, 24
	v_cndmask_b32_e32 v16, v28, v16, vcc
	v_cndmask_b32_e32 v18, v18, v26, vcc
	v_lshlrev_b32_sdwa v25, v25, v11 dst_sel:DWORD dst_unused:UNUSED_PAD src0_sel:DWORD src1_sel:WORD_1
	v_bfrev_b32_e32 v26, 60
	v_lshlrev_b32_e32 v18, 20, v18
	v_and_b32_e32 v25, 0x80000000, v25
	v_lshl_add_u32 v16, v16, 23, v26
	v_or3_b32 v16, v25, v16, v18
	v_lshrrev_b32_e32 v18, 16, v16
.LBB696_540:
	s_or_b64 exec, exec, s[8:9]
.LBB696_541:
	s_or_b64 exec, exec, s[6:7]
.LBB696_542:
	s_or_b64 exec, exec, s[0:1]
	s_mov_b32 s0, -1
	s_mov_b32 s1, 0xffffff
	v_cmp_lt_u64_e32 vcc, s[0:1], v[10:11]
	s_and_saveexec_b64 s[0:1], vcc
	s_cbranch_execz .LBB696_548
; %bb.543:
	v_lshrrev_b32_e32 v10, 24, v11
	s_movk_i32 s3, 0x80
	v_cmp_ne_u32_e32 vcc, s3, v10
	v_mov_b32_e32 v17, 0xffff8000
	s_and_saveexec_b64 s[6:7], vcc
	s_cbranch_execz .LBB696_547
; %bb.544:
	v_bfe_u32 v11, v11, 24, 7
	s_movk_i32 s3, 0x7f
	v_cmp_ne_u32_e32 vcc, s3, v11
	v_mov_b32_e32 v17, 0x7f80
	s_and_saveexec_b64 s[8:9], vcc
	s_cbranch_execz .LBB696_546
; %bb.545:
	v_and_b32_e32 v25, 7, v10
	v_ffbh_u32_e32 v16, v25
	v_min_u32_e32 v27, 32, v16
	v_subrev_u32_e32 v16, 28, v27
	v_lshlrev_b64 v[16:17], v16, v[10:11]
	v_lshrrev_b32_e32 v26, 3, v11
	v_sub_u32_e32 v17, 29, v27
	v_and_b32_e32 v16, 7, v16
	v_cmp_gt_u32_e32 vcc, 8, v11
	v_cndmask_b32_e32 v11, v26, v17, vcc
	v_cndmask_b32_e32 v16, v25, v16, vcc
	v_lshlrev_b32_e32 v10, 24, v10
	v_bfrev_b32_e32 v17, 60
	v_lshlrev_b32_e32 v16, 20, v16
	v_and_b32_e32 v10, 0x80000000, v10
	v_lshl_add_u32 v11, v11, 23, v17
	v_or3_b32 v10, v10, v11, v16
	v_lshrrev_b32_e32 v17, 16, v10
.LBB696_546:
	s_or_b64 exec, exec, s[8:9]
.LBB696_547:
	s_or_b64 exec, exec, s[6:7]
.LBB696_548:
	s_or_b64 exec, exec, s[0:1]
	s_mov_b32 s0, 0x5040100
	v_perm_b32 v11, v22, v21, s0
	v_perm_b32 v10, v19, v20, s0
	;; [unrolled: 1-line block ×4, first 2 shown]
	v_mfma_f32_4x4x4bf16_1k a[0:3], v[14:15], v[10:11], a[0:3] cbsz:4 abid:4
	v_mov_b32_e32 v18, 0
	v_mfma_f32_4x4x4bf16_1k a[0:3], v[14:15], v[16:17], a[0:3] cbsz:4 abid:5
	v_mov_b32_e32 v17, 0
	v_cmp_ne_u16_sdwa s[6:7], v12, v17 src0_sel:BYTE_0 src1_sel:DWORD
	s_and_saveexec_b64 s[0:1], s[6:7]
	s_cbranch_execz .LBB696_554
; %bb.549:
	s_movk_i32 s3, 0x80
	v_cmp_ne_u16_sdwa s[8:9], v12, s3 src0_sel:BYTE_0 src1_sel:DWORD
	v_mov_b32_e32 v18, 0xffff8000
	s_and_saveexec_b64 s[6:7], s[8:9]
	s_cbranch_execz .LBB696_553
; %bb.550:
	s_movk_i32 s3, 0x7f
	v_and_b32_e32 v10, 0x7f, v12
	v_cmp_ne_u32_e32 vcc, s3, v10
	v_mov_b32_e32 v18, 0x7f80
	s_and_saveexec_b64 s[8:9], vcc
	s_cbranch_execz .LBB696_552
; %bb.551:
	v_and_b32_e32 v11, 7, v12
	v_ffbh_u32_e32 v11, v11
	v_min_u32_e32 v11, 32, v11
	v_subrev_u32_e32 v18, 28, v11
	v_cmp_gt_u32_e32 vcc, 8, v10
	v_lshrrev_b32_e32 v16, 3, v10
	v_sub_u32_e32 v11, 29, v11
	v_cndmask_b32_e32 v10, 0, v18, vcc
	v_cndmask_b32_e32 v16, v16, v11, vcc
	v_lshlrev_b64 v[10:11], v10, v[12:13]
	v_lshlrev_b32_e32 v10, 20, v10
	v_lshlrev_b32_e32 v11, 24, v12
	v_bfrev_b32_e32 v18, 60
	v_and_b32_e32 v10, 0x700000, v10
	v_and_b32_e32 v11, 0x80000000, v11
	v_lshl_add_u32 v16, v16, 23, v18
	v_or3_b32 v10, v11, v16, v10
	v_lshrrev_b32_e32 v18, 16, v10
.LBB696_552:
	s_or_b64 exec, exec, s[8:9]
.LBB696_553:
	s_or_b64 exec, exec, s[6:7]
.LBB696_554:
	s_or_b64 exec, exec, s[0:1]
	v_lshrrev_b16_e32 v10, 8, v12
	v_cmp_ne_u16_e32 vcc, 0, v10
	s_and_saveexec_b64 s[0:1], vcc
	s_cbranch_execz .LBB696_560
; %bb.555:
	s_movk_i32 s3, 0x80
	v_cmp_ne_u16_e32 vcc, s3, v10
	v_mov_b32_e32 v17, 0xffff8000
	s_and_saveexec_b64 s[6:7], vcc
	s_cbranch_execz .LBB696_559
; %bb.556:
	s_movk_i32 s3, 0x7f
	v_and_b32_e32 v11, 0x7f, v10
	v_cmp_ne_u32_e32 vcc, s3, v11
	v_mov_b32_e32 v17, 0x7f80
	s_and_saveexec_b64 s[8:9], vcc
	s_cbranch_execz .LBB696_558
; %bb.557:
	v_and_b32_e32 v19, 7, v10
	v_ffbh_u32_e32 v16, v19
	v_min_u32_e32 v21, 32, v16
	v_subrev_u32_e32 v16, 28, v21
	v_lshlrev_b64 v[16:17], v16, v[10:11]
	v_lshrrev_b32_e32 v20, 3, v11
	v_sub_u32_e32 v10, 29, v21
	v_and_b32_e32 v16, 7, v16
	v_cmp_gt_u32_e32 vcc, 8, v11
	v_cndmask_b32_e32 v10, v20, v10, vcc
	v_cndmask_b32_e32 v11, v19, v16, vcc
	v_lshlrev_b32_e32 v16, 16, v12
	v_bfrev_b32_e32 v17, 60
	v_lshlrev_b32_e32 v11, 20, v11
	v_and_b32_e32 v16, 0x80000000, v16
	v_lshl_add_u32 v10, v10, 23, v17
	v_or3_b32 v10, v16, v10, v11
	v_lshrrev_b32_e32 v17, 16, v10
.LBB696_558:
	s_or_b64 exec, exec, s[8:9]
.LBB696_559:
	s_or_b64 exec, exec, s[6:7]
.LBB696_560:
	s_or_b64 exec, exec, s[0:1]
	s_movk_i32 s0, 0xff
	v_and_b32_sdwa v16, v12, s0 dst_sel:DWORD dst_unused:UNUSED_PAD src0_sel:WORD_1 src1_sel:DWORD
	v_lshrrev_b32_e32 v10, 16, v12
	v_cmp_ne_u16_e32 vcc, 0, v16
	v_mov_b32_e32 v11, 0
	v_mov_b32_e32 v19, 0
	s_and_saveexec_b64 s[0:1], vcc
	s_cbranch_execz .LBB696_566
; %bb.561:
	s_movk_i32 s3, 0x80
	v_cmp_ne_u16_e32 vcc, s3, v16
	v_mov_b32_e32 v19, 0xffff8000
	s_and_saveexec_b64 s[6:7], vcc
	s_cbranch_execz .LBB696_565
; %bb.562:
	v_bfe_u32 v16, v12, 16, 7
	s_movk_i32 s3, 0x7f
	v_cmp_ne_u32_e32 vcc, s3, v16
	v_mov_b32_e32 v19, 0x7f80
	s_and_saveexec_b64 s[8:9], vcc
	s_cbranch_execz .LBB696_564
; %bb.563:
	v_and_b32_e32 v19, 7, v10
	v_ffbh_u32_e32 v20, v19
	v_min_u32_e32 v23, 32, v20
	v_subrev_u32_e32 v20, 28, v23
	v_lshlrev_b64 v[20:21], v20, v[10:11]
	v_and_b32_e32 v20, 7, v20
	v_cmp_gt_u32_e32 vcc, 8, v16
	v_lshrrev_b32_e32 v22, 3, v16
	v_sub_u32_e32 v10, 29, v23
	v_cndmask_b32_e32 v16, v19, v20, vcc
	v_mov_b32_e32 v19, 24
	v_cndmask_b32_e32 v10, v22, v10, vcc
	v_lshlrev_b32_sdwa v19, v19, v12 dst_sel:DWORD dst_unused:UNUSED_PAD src0_sel:DWORD src1_sel:WORD_1
	v_bfrev_b32_e32 v20, 60
	v_lshlrev_b32_e32 v16, 20, v16
	v_and_b32_e32 v19, 0x80000000, v19
	v_lshl_add_u32 v10, v10, 23, v20
	v_or3_b32 v10, v19, v10, v16
	v_lshrrev_b32_e32 v19, 16, v10
.LBB696_564:
	s_or_b64 exec, exec, s[8:9]
.LBB696_565:
	s_or_b64 exec, exec, s[6:7]
.LBB696_566:
	s_or_b64 exec, exec, s[0:1]
	s_mov_b32 s0, 0xffffff
	v_cmp_lt_u32_e32 vcc, s0, v12
	v_mov_b32_e32 v20, 0
	s_and_saveexec_b64 s[0:1], vcc
	s_cbranch_execz .LBB696_572
; %bb.567:
	v_lshrrev_b32_e32 v10, 24, v12
	s_movk_i32 s3, 0x80
	v_cmp_ne_u32_e32 vcc, s3, v10
	v_mov_b32_e32 v20, 0xffff8000
	s_and_saveexec_b64 s[6:7], vcc
	s_cbranch_execz .LBB696_571
; %bb.568:
	v_bfe_u32 v16, v12, 24, 7
	s_movk_i32 s3, 0x7f
	v_cmp_ne_u32_e32 vcc, s3, v16
	v_mov_b32_e32 v20, 0x7f80
	s_and_saveexec_b64 s[8:9], vcc
	s_cbranch_execz .LBB696_570
; %bb.569:
	v_and_b32_e32 v22, 7, v10
	v_ffbh_u32_e32 v20, v22
	v_min_u32_e32 v24, 32, v20
	v_subrev_u32_e32 v20, 28, v24
	v_lshlrev_b64 v[20:21], v20, v[10:11]
	v_lshrrev_b32_e32 v23, 3, v16
	v_sub_u32_e32 v21, 29, v24
	v_and_b32_e32 v20, 7, v20
	v_cmp_gt_u32_e32 vcc, 8, v16
	v_cndmask_b32_e32 v16, v23, v21, vcc
	v_cndmask_b32_e32 v20, v22, v20, vcc
	v_lshlrev_b32_e32 v10, 24, v10
	v_bfrev_b32_e32 v21, 60
	v_lshlrev_b32_e32 v20, 20, v20
	v_and_b32_e32 v10, 0x80000000, v10
	v_lshl_add_u32 v16, v16, 23, v21
	v_or3_b32 v10, v10, v16, v20
	v_lshrrev_b32_e32 v20, 16, v10
.LBB696_570:
	s_or_b64 exec, exec, s[8:9]
.LBB696_571:
	s_or_b64 exec, exec, s[6:7]
.LBB696_572:
	s_or_b64 exec, exec, s[0:1]
	v_mov_b32_e32 v21, 0
	v_mov_b32_e32 v10, v13
	v_cmp_ne_u16_sdwa s[6:7], v13, v21 src0_sel:BYTE_0 src1_sel:DWORD
	v_mov_b32_e32 v22, 0
	s_and_saveexec_b64 s[0:1], s[6:7]
	s_cbranch_execz .LBB696_578
; %bb.573:
	s_movk_i32 s3, 0x80
	v_cmp_ne_u16_sdwa s[8:9], v13, s3 src0_sel:BYTE_0 src1_sel:DWORD
	v_mov_b32_e32 v22, 0xffff8000
	s_and_saveexec_b64 s[6:7], s[8:9]
	s_cbranch_execz .LBB696_577
; %bb.574:
	s_movk_i32 s3, 0x7f
	v_and_b32_e32 v16, 0x7f, v13
	v_cmp_ne_u32_e32 vcc, s3, v16
	v_mov_b32_e32 v22, 0x7f80
	s_and_saveexec_b64 s[8:9], vcc
	s_cbranch_execz .LBB696_576
; %bb.575:
	v_and_b32_e32 v22, 7, v13
	v_ffbh_u32_e32 v22, v22
	v_min_u32_e32 v22, 32, v22
	v_lshrrev_b32_e32 v23, 3, v16
	v_subrev_u32_e32 v24, 28, v22
	v_sub_u32_e32 v22, 29, v22
	v_cmp_gt_u32_e32 vcc, 8, v16
	v_cndmask_b32_e32 v16, v23, v22, vcc
	v_cndmask_b32_e32 v22, 0, v24, vcc
	v_lshlrev_b64 v[22:23], v22, v[10:11]
	v_lshlrev_b32_e32 v11, 20, v22
	v_lshlrev_b32_e32 v22, 24, v10
	v_bfrev_b32_e32 v23, 60
	v_and_b32_e32 v11, 0x700000, v11
	v_and_b32_e32 v22, 0x80000000, v22
	v_lshl_add_u32 v16, v16, 23, v23
	v_or3_b32 v11, v22, v16, v11
	v_lshrrev_b32_e32 v22, 16, v11
.LBB696_576:
	s_or_b64 exec, exec, s[8:9]
.LBB696_577:
	s_or_b64 exec, exec, s[6:7]
.LBB696_578:
	s_or_b64 exec, exec, s[0:1]
	v_lshrrev_b16_e32 v16, 8, v10
	v_cmp_ne_u16_e32 vcc, 0, v16
	s_and_saveexec_b64 s[0:1], vcc
	s_cbranch_execz .LBB696_584
; %bb.579:
	s_movk_i32 s3, 0x80
	v_cmp_ne_u16_e32 vcc, s3, v16
	v_mov_b32_e32 v21, 0xffff8000
	s_and_saveexec_b64 s[6:7], vcc
	s_cbranch_execz .LBB696_583
; %bb.580:
	s_movk_i32 s3, 0x7f
	v_and_b32_e32 v11, 0x7f, v16
	v_cmp_ne_u32_e32 vcc, s3, v11
	v_mov_b32_e32 v21, 0x7f80
	s_and_saveexec_b64 s[8:9], vcc
	s_cbranch_execz .LBB696_582
; %bb.581:
	v_and_b32_e32 v21, 7, v16
	v_ffbh_u32_e32 v24, v21
	v_min_u32_e32 v26, 32, v24
	v_subrev_u32_e32 v24, 28, v26
	v_lshlrev_b64 v[24:25], v24, v[16:17]
	v_lshrrev_b32_e32 v23, 3, v11
	v_sub_u32_e32 v16, 29, v26
	v_and_b32_e32 v24, 7, v24
	v_cmp_gt_u32_e32 vcc, 8, v11
	v_cndmask_b32_e32 v11, v23, v16, vcc
	v_cndmask_b32_e32 v16, v21, v24, vcc
	v_lshlrev_b32_e32 v10, 16, v10
	v_bfrev_b32_e32 v21, 60
	v_lshlrev_b32_e32 v16, 20, v16
	v_and_b32_e32 v10, 0x80000000, v10
	v_lshl_add_u32 v11, v11, 23, v21
	v_or3_b32 v10, v10, v11, v16
	v_lshrrev_b32_e32 v21, 16, v10
.LBB696_582:
	s_or_b64 exec, exec, s[8:9]
.LBB696_583:
	s_or_b64 exec, exec, s[6:7]
.LBB696_584:
	s_or_b64 exec, exec, s[0:1]
	s_movk_i32 s0, 0xff
	v_and_b32_sdwa v23, v13, s0 dst_sel:DWORD dst_unused:UNUSED_PAD src0_sel:WORD_1 src1_sel:DWORD
	v_lshrrev_b32_e32 v10, 16, v13
	v_cmp_ne_u16_e32 vcc, 0, v23
	v_mov_b32_e32 v11, 0
	v_mov_b32_e32 v16, 0
	s_and_saveexec_b64 s[0:1], vcc
	s_cbranch_execz .LBB696_590
; %bb.585:
	s_movk_i32 s3, 0x80
	v_cmp_ne_u16_e32 vcc, s3, v23
	v_mov_b32_e32 v16, 0xffff8000
	s_and_saveexec_b64 s[6:7], vcc
	s_cbranch_execz .LBB696_589
; %bb.586:
	v_bfe_u32 v23, v13, 16, 7
	s_movk_i32 s3, 0x7f
	v_cmp_ne_u32_e32 vcc, s3, v23
	v_mov_b32_e32 v16, 0x7f80
	s_and_saveexec_b64 s[8:9], vcc
	s_cbranch_execz .LBB696_588
; %bb.587:
	v_and_b32_e32 v16, 7, v10
	v_ffbh_u32_e32 v24, v16
	v_min_u32_e32 v27, 32, v24
	v_subrev_u32_e32 v24, 28, v27
	v_lshlrev_b64 v[24:25], v24, v[10:11]
	v_lshrrev_b32_e32 v26, 3, v23
	v_sub_u32_e32 v10, 29, v27
	v_and_b32_e32 v24, 7, v24
	v_cmp_gt_u32_e32 vcc, 8, v23
	v_mov_b32_e32 v23, 24
	v_cndmask_b32_e32 v10, v26, v10, vcc
	v_cndmask_b32_e32 v16, v16, v24, vcc
	v_lshlrev_b32_sdwa v23, v23, v13 dst_sel:DWORD dst_unused:UNUSED_PAD src0_sel:DWORD src1_sel:WORD_1
	v_bfrev_b32_e32 v24, 60
	v_lshlrev_b32_e32 v16, 20, v16
	v_and_b32_e32 v23, 0x80000000, v23
	v_lshl_add_u32 v10, v10, 23, v24
	v_or3_b32 v10, v23, v10, v16
	v_lshrrev_b32_e32 v16, 16, v10
.LBB696_588:
	s_or_b64 exec, exec, s[8:9]
.LBB696_589:
	s_or_b64 exec, exec, s[6:7]
.LBB696_590:
	s_or_b64 exec, exec, s[0:1]
	s_mov_b32 s0, -1
	s_mov_b32 s1, 0xffffff
	v_cmp_lt_u64_e32 vcc, s[0:1], v[12:13]
	s_and_saveexec_b64 s[0:1], vcc
	s_cbranch_execz .LBB696_596
; %bb.591:
	v_lshrrev_b32_e32 v10, 24, v13
	s_movk_i32 s3, 0x80
	v_cmp_ne_u32_e32 vcc, s3, v10
	v_mov_b32_e32 v11, 0xffff8000
	s_and_saveexec_b64 s[6:7], vcc
	s_cbranch_execz .LBB696_595
; %bb.592:
	v_bfe_u32 v12, v13, 24, 7
	s_movk_i32 s3, 0x7f
	v_cmp_ne_u32_e32 vcc, s3, v12
	v_mov_b32_e32 v11, 0x7f80
	s_and_saveexec_b64 s[8:9], vcc
	s_cbranch_execz .LBB696_594
; %bb.593:
	v_and_b32_e32 v11, 7, v10
	v_ffbh_u32_e32 v23, v11
	v_min_u32_e32 v23, 32, v23
	v_subrev_u32_e32 v24, 28, v23
	v_lshlrev_b64 v[24:25], v24, v[10:11]
	v_lshrrev_b32_e32 v13, 3, v12
	v_sub_u32_e32 v23, 29, v23
	v_and_b32_e32 v24, 7, v24
	v_cmp_gt_u32_e32 vcc, 8, v12
	v_cndmask_b32_e32 v12, v13, v23, vcc
	v_cndmask_b32_e32 v11, v11, v24, vcc
	v_lshlrev_b32_e32 v10, 24, v10
	v_bfrev_b32_e32 v13, 60
	v_lshlrev_b32_e32 v11, 20, v11
	v_and_b32_e32 v10, 0x80000000, v10
	v_lshl_add_u32 v12, v12, 23, v13
	v_or3_b32 v10, v10, v12, v11
	v_lshrrev_b32_e32 v11, 16, v10
.LBB696_594:
	s_or_b64 exec, exec, s[8:9]
.LBB696_595:
	s_or_b64 exec, exec, s[6:7]
.LBB696_596:
	s_or_b64 exec, exec, s[0:1]
	s_mov_b32 s0, 0x5040100
	v_perm_b32 v13, v20, v19, s0
	v_perm_b32 v12, v17, v18, s0
	;; [unrolled: 1-line block ×4, first 2 shown]
	v_mfma_f32_4x4x4bf16_1k a[0:3], v[14:15], v[12:13], a[0:3] cbsz:4 abid:6
	v_mov_b32_e32 v13, 0
	v_mfma_f32_4x4x4bf16_1k a[0:3], v[14:15], v[10:11], a[0:3] cbsz:4 abid:7
	s_waitcnt vmcnt(1)
	v_cmp_ne_u16_sdwa s[6:7], v6, v13 src0_sel:BYTE_0 src1_sel:DWORD
	v_mov_b32_e32 v16, 0
	s_and_saveexec_b64 s[0:1], s[6:7]
	s_cbranch_execz .LBB696_602
; %bb.597:
	s_movk_i32 s3, 0x80
	v_cmp_ne_u16_sdwa s[8:9], v6, s3 src0_sel:BYTE_0 src1_sel:DWORD
	v_mov_b32_e32 v16, 0xffff8000
	s_and_saveexec_b64 s[6:7], s[8:9]
	s_cbranch_execz .LBB696_601
; %bb.598:
	s_movk_i32 s3, 0x7f
	v_and_b32_e32 v10, 0x7f, v6
	v_cmp_ne_u32_e32 vcc, s3, v10
	v_mov_b32_e32 v16, 0x7f80
	s_and_saveexec_b64 s[8:9], vcc
	s_cbranch_execz .LBB696_600
; %bb.599:
	v_and_b32_e32 v11, 7, v6
	v_ffbh_u32_e32 v11, v11
	v_min_u32_e32 v11, 32, v11
	v_subrev_u32_e32 v16, 28, v11
	v_cmp_gt_u32_e32 vcc, 8, v10
	v_lshrrev_b32_e32 v12, 3, v10
	v_sub_u32_e32 v11, 29, v11
	v_cndmask_b32_e32 v10, 0, v16, vcc
	v_cndmask_b32_e32 v12, v12, v11, vcc
	v_lshlrev_b64 v[10:11], v10, v[6:7]
	v_lshlrev_b32_e32 v10, 20, v10
	v_lshlrev_b32_e32 v11, 24, v6
	v_bfrev_b32_e32 v16, 60
	v_and_b32_e32 v10, 0x700000, v10
	v_and_b32_e32 v11, 0x80000000, v11
	v_lshl_add_u32 v12, v12, 23, v16
	v_or3_b32 v10, v11, v12, v10
	v_lshrrev_b32_e32 v16, 16, v10
.LBB696_600:
	s_or_b64 exec, exec, s[8:9]
.LBB696_601:
	s_or_b64 exec, exec, s[6:7]
.LBB696_602:
	s_or_b64 exec, exec, s[0:1]
	v_lshrrev_b16_e32 v10, 8, v6
	v_cmp_ne_u16_e32 vcc, 0, v10
	s_and_saveexec_b64 s[0:1], vcc
	s_cbranch_execz .LBB696_608
; %bb.603:
	s_movk_i32 s3, 0x80
	v_cmp_ne_u16_e32 vcc, s3, v10
	v_mov_b32_e32 v13, 0xffff8000
	s_and_saveexec_b64 s[6:7], vcc
	s_cbranch_execz .LBB696_607
; %bb.604:
	s_movk_i32 s3, 0x7f
	v_and_b32_e32 v11, 0x7f, v10
	v_cmp_ne_u32_e32 vcc, s3, v11
	v_mov_b32_e32 v13, 0x7f80
	s_and_saveexec_b64 s[8:9], vcc
	s_cbranch_execz .LBB696_606
; %bb.605:
	v_and_b32_e32 v17, 7, v10
	v_ffbh_u32_e32 v12, v17
	v_min_u32_e32 v19, 32, v12
	v_subrev_u32_e32 v12, 28, v19
	v_lshlrev_b64 v[12:13], v12, v[10:11]
	v_lshrrev_b32_e32 v18, 3, v11
	v_sub_u32_e32 v10, 29, v19
	v_and_b32_e32 v12, 7, v12
	v_cmp_gt_u32_e32 vcc, 8, v11
	v_cndmask_b32_e32 v10, v18, v10, vcc
	v_cndmask_b32_e32 v11, v17, v12, vcc
	v_lshlrev_b32_e32 v12, 16, v6
	v_bfrev_b32_e32 v13, 60
	v_lshlrev_b32_e32 v11, 20, v11
	v_and_b32_e32 v12, 0x80000000, v12
	v_lshl_add_u32 v10, v10, 23, v13
	v_or3_b32 v10, v12, v10, v11
	v_lshrrev_b32_e32 v13, 16, v10
.LBB696_606:
	s_or_b64 exec, exec, s[8:9]
.LBB696_607:
	s_or_b64 exec, exec, s[6:7]
.LBB696_608:
	s_or_b64 exec, exec, s[0:1]
	s_movk_i32 s0, 0xff
	v_and_b32_sdwa v12, v6, s0 dst_sel:DWORD dst_unused:UNUSED_PAD src0_sel:WORD_1 src1_sel:DWORD
	v_lshrrev_b32_e32 v10, 16, v6
	v_cmp_ne_u16_e32 vcc, 0, v12
	v_mov_b32_e32 v11, 0
	v_mov_b32_e32 v17, 0
	s_and_saveexec_b64 s[0:1], vcc
	s_cbranch_execz .LBB696_614
; %bb.609:
	s_movk_i32 s3, 0x80
	v_cmp_ne_u16_e32 vcc, s3, v12
	v_mov_b32_e32 v17, 0xffff8000
	s_and_saveexec_b64 s[6:7], vcc
	s_cbranch_execz .LBB696_613
; %bb.610:
	v_bfe_u32 v12, v6, 16, 7
	s_movk_i32 s3, 0x7f
	v_cmp_ne_u32_e32 vcc, s3, v12
	v_mov_b32_e32 v17, 0x7f80
	s_and_saveexec_b64 s[8:9], vcc
	s_cbranch_execz .LBB696_612
; %bb.611:
	v_and_b32_e32 v17, 7, v10
	v_ffbh_u32_e32 v18, v17
	v_min_u32_e32 v21, 32, v18
	v_subrev_u32_e32 v18, 28, v21
	v_lshlrev_b64 v[18:19], v18, v[10:11]
	v_and_b32_e32 v18, 7, v18
	v_cmp_gt_u32_e32 vcc, 8, v12
	v_lshrrev_b32_e32 v20, 3, v12
	v_sub_u32_e32 v10, 29, v21
	v_cndmask_b32_e32 v12, v17, v18, vcc
	v_mov_b32_e32 v17, 24
	v_cndmask_b32_e32 v10, v20, v10, vcc
	v_lshlrev_b32_sdwa v17, v17, v6 dst_sel:DWORD dst_unused:UNUSED_PAD src0_sel:DWORD src1_sel:WORD_1
	v_bfrev_b32_e32 v18, 60
	v_lshlrev_b32_e32 v12, 20, v12
	v_and_b32_e32 v17, 0x80000000, v17
	v_lshl_add_u32 v10, v10, 23, v18
	v_or3_b32 v10, v17, v10, v12
	v_lshrrev_b32_e32 v17, 16, v10
.LBB696_612:
	s_or_b64 exec, exec, s[8:9]
.LBB696_613:
	s_or_b64 exec, exec, s[6:7]
.LBB696_614:
	s_or_b64 exec, exec, s[0:1]
	s_mov_b32 s0, 0xffffff
	v_cmp_lt_u32_e32 vcc, s0, v6
	v_mov_b32_e32 v18, 0
	s_and_saveexec_b64 s[0:1], vcc
	s_cbranch_execz .LBB696_620
; %bb.615:
	v_lshrrev_b32_e32 v10, 24, v6
	s_movk_i32 s3, 0x80
	v_cmp_ne_u32_e32 vcc, s3, v10
	v_mov_b32_e32 v18, 0xffff8000
	s_and_saveexec_b64 s[6:7], vcc
	s_cbranch_execz .LBB696_619
; %bb.616:
	v_bfe_u32 v12, v6, 24, 7
	s_movk_i32 s3, 0x7f
	v_cmp_ne_u32_e32 vcc, s3, v12
	v_mov_b32_e32 v18, 0x7f80
	s_and_saveexec_b64 s[8:9], vcc
	s_cbranch_execz .LBB696_618
; %bb.617:
	v_and_b32_e32 v20, 7, v10
	v_ffbh_u32_e32 v18, v20
	v_min_u32_e32 v22, 32, v18
	v_subrev_u32_e32 v18, 28, v22
	v_lshlrev_b64 v[18:19], v18, v[10:11]
	v_lshrrev_b32_e32 v21, 3, v12
	v_sub_u32_e32 v19, 29, v22
	v_and_b32_e32 v18, 7, v18
	v_cmp_gt_u32_e32 vcc, 8, v12
	v_cndmask_b32_e32 v12, v21, v19, vcc
	v_cndmask_b32_e32 v18, v20, v18, vcc
	v_lshlrev_b32_e32 v10, 24, v10
	v_bfrev_b32_e32 v19, 60
	v_lshlrev_b32_e32 v18, 20, v18
	v_and_b32_e32 v10, 0x80000000, v10
	v_lshl_add_u32 v12, v12, 23, v19
	v_or3_b32 v10, v10, v12, v18
	v_lshrrev_b32_e32 v18, 16, v10
.LBB696_618:
	s_or_b64 exec, exec, s[8:9]
.LBB696_619:
	s_or_b64 exec, exec, s[6:7]
.LBB696_620:
	s_or_b64 exec, exec, s[0:1]
	v_mov_b32_e32 v19, 0
	v_mov_b32_e32 v10, v7
	v_cmp_ne_u16_sdwa s[6:7], v7, v19 src0_sel:BYTE_0 src1_sel:DWORD
	v_mov_b32_e32 v20, 0
	s_and_saveexec_b64 s[0:1], s[6:7]
	s_cbranch_execz .LBB696_626
; %bb.621:
	s_movk_i32 s3, 0x80
	v_cmp_ne_u16_sdwa s[8:9], v7, s3 src0_sel:BYTE_0 src1_sel:DWORD
	v_mov_b32_e32 v20, 0xffff8000
	s_and_saveexec_b64 s[6:7], s[8:9]
	s_cbranch_execz .LBB696_625
; %bb.622:
	s_movk_i32 s3, 0x7f
	v_and_b32_e32 v12, 0x7f, v7
	v_cmp_ne_u32_e32 vcc, s3, v12
	v_mov_b32_e32 v20, 0x7f80
	s_and_saveexec_b64 s[8:9], vcc
	s_cbranch_execz .LBB696_624
; %bb.623:
	v_and_b32_e32 v20, 7, v7
	v_ffbh_u32_e32 v20, v20
	v_min_u32_e32 v20, 32, v20
	v_lshrrev_b32_e32 v21, 3, v12
	v_subrev_u32_e32 v22, 28, v20
	v_sub_u32_e32 v20, 29, v20
	v_cmp_gt_u32_e32 vcc, 8, v12
	v_cndmask_b32_e32 v12, v21, v20, vcc
	v_cndmask_b32_e32 v20, 0, v22, vcc
	v_lshlrev_b64 v[20:21], v20, v[10:11]
	v_lshlrev_b32_e32 v11, 20, v20
	v_lshlrev_b32_e32 v20, 24, v10
	v_bfrev_b32_e32 v21, 60
	v_and_b32_e32 v11, 0x700000, v11
	v_and_b32_e32 v20, 0x80000000, v20
	v_lshl_add_u32 v12, v12, 23, v21
	v_or3_b32 v11, v20, v12, v11
	v_lshrrev_b32_e32 v20, 16, v11
.LBB696_624:
	s_or_b64 exec, exec, s[8:9]
.LBB696_625:
	s_or_b64 exec, exec, s[6:7]
.LBB696_626:
	s_or_b64 exec, exec, s[0:1]
	v_lshrrev_b16_e32 v12, 8, v10
	v_cmp_ne_u16_e32 vcc, 0, v12
	s_and_saveexec_b64 s[0:1], vcc
	s_cbranch_execz .LBB696_632
; %bb.627:
	s_movk_i32 s3, 0x80
	v_cmp_ne_u16_e32 vcc, s3, v12
	v_mov_b32_e32 v19, 0xffff8000
	s_and_saveexec_b64 s[6:7], vcc
	s_cbranch_execz .LBB696_631
; %bb.628:
	s_movk_i32 s3, 0x7f
	v_and_b32_e32 v11, 0x7f, v12
	v_cmp_ne_u32_e32 vcc, s3, v11
	v_mov_b32_e32 v19, 0x7f80
	s_and_saveexec_b64 s[8:9], vcc
	s_cbranch_execz .LBB696_630
; %bb.629:
	v_and_b32_e32 v19, 7, v12
	v_ffbh_u32_e32 v22, v19
	v_min_u32_e32 v24, 32, v22
	v_subrev_u32_e32 v22, 28, v24
	v_lshlrev_b64 v[22:23], v22, v[12:13]
	v_lshrrev_b32_e32 v21, 3, v11
	v_sub_u32_e32 v12, 29, v24
	v_and_b32_e32 v22, 7, v22
	v_cmp_gt_u32_e32 vcc, 8, v11
	v_cndmask_b32_e32 v11, v21, v12, vcc
	v_cndmask_b32_e32 v12, v19, v22, vcc
	v_lshlrev_b32_e32 v10, 16, v10
	v_bfrev_b32_e32 v19, 60
	v_lshlrev_b32_e32 v12, 20, v12
	v_and_b32_e32 v10, 0x80000000, v10
	v_lshl_add_u32 v11, v11, 23, v19
	v_or3_b32 v10, v10, v11, v12
	v_lshrrev_b32_e32 v19, 16, v10
.LBB696_630:
	s_or_b64 exec, exec, s[8:9]
.LBB696_631:
	s_or_b64 exec, exec, s[6:7]
.LBB696_632:
	s_or_b64 exec, exec, s[0:1]
	s_movk_i32 s0, 0xff
	v_and_b32_sdwa v21, v7, s0 dst_sel:DWORD dst_unused:UNUSED_PAD src0_sel:WORD_1 src1_sel:DWORD
	v_lshrrev_b32_e32 v10, 16, v7
	v_cmp_ne_u16_e32 vcc, 0, v21
	v_mov_b32_e32 v11, 0
	v_mov_b32_e32 v12, 0
	s_and_saveexec_b64 s[0:1], vcc
	s_cbranch_execz .LBB696_638
; %bb.633:
	s_movk_i32 s3, 0x80
	v_cmp_ne_u16_e32 vcc, s3, v21
	v_mov_b32_e32 v12, 0xffff8000
	s_and_saveexec_b64 s[6:7], vcc
	s_cbranch_execz .LBB696_637
; %bb.634:
	v_bfe_u32 v21, v7, 16, 7
	s_movk_i32 s3, 0x7f
	v_cmp_ne_u32_e32 vcc, s3, v21
	v_mov_b32_e32 v12, 0x7f80
	s_and_saveexec_b64 s[8:9], vcc
	s_cbranch_execz .LBB696_636
; %bb.635:
	v_and_b32_e32 v12, 7, v10
	v_ffbh_u32_e32 v22, v12
	v_min_u32_e32 v25, 32, v22
	v_subrev_u32_e32 v22, 28, v25
	v_lshlrev_b64 v[22:23], v22, v[10:11]
	v_lshrrev_b32_e32 v24, 3, v21
	v_sub_u32_e32 v10, 29, v25
	v_and_b32_e32 v22, 7, v22
	v_cmp_gt_u32_e32 vcc, 8, v21
	v_mov_b32_e32 v21, 24
	v_cndmask_b32_e32 v10, v24, v10, vcc
	v_cndmask_b32_e32 v12, v12, v22, vcc
	v_lshlrev_b32_sdwa v21, v21, v7 dst_sel:DWORD dst_unused:UNUSED_PAD src0_sel:DWORD src1_sel:WORD_1
	v_bfrev_b32_e32 v22, 60
	v_lshlrev_b32_e32 v12, 20, v12
	v_and_b32_e32 v21, 0x80000000, v21
	v_lshl_add_u32 v10, v10, 23, v22
	v_or3_b32 v10, v21, v10, v12
	v_lshrrev_b32_e32 v12, 16, v10
.LBB696_636:
	s_or_b64 exec, exec, s[8:9]
.LBB696_637:
	s_or_b64 exec, exec, s[6:7]
.LBB696_638:
	s_or_b64 exec, exec, s[0:1]
	s_mov_b32 s0, -1
	s_mov_b32 s1, 0xffffff
	v_cmp_lt_u64_e32 vcc, s[0:1], v[6:7]
	s_and_saveexec_b64 s[0:1], vcc
	s_cbranch_execz .LBB696_644
; %bb.639:
	v_lshrrev_b32_e32 v6, 24, v7
	s_movk_i32 s3, 0x80
	v_cmp_ne_u32_e32 vcc, s3, v6
	v_mov_b32_e32 v11, 0xffff8000
	s_and_saveexec_b64 s[6:7], vcc
	s_cbranch_execz .LBB696_643
; %bb.640:
	v_bfe_u32 v7, v7, 24, 7
	s_movk_i32 s3, 0x7f
	v_cmp_ne_u32_e32 vcc, s3, v7
	v_mov_b32_e32 v11, 0x7f80
	s_and_saveexec_b64 s[8:9], vcc
	s_cbranch_execz .LBB696_642
; %bb.641:
	v_and_b32_e32 v21, 7, v6
	v_ffbh_u32_e32 v10, v21
	v_min_u32_e32 v23, 32, v10
	v_subrev_u32_e32 v10, 28, v23
	v_lshlrev_b64 v[10:11], v10, v[6:7]
	v_lshrrev_b32_e32 v22, 3, v7
	v_sub_u32_e32 v11, 29, v23
	v_and_b32_e32 v10, 7, v10
	v_cmp_gt_u32_e32 vcc, 8, v7
	v_cndmask_b32_e32 v7, v22, v11, vcc
	v_cndmask_b32_e32 v10, v21, v10, vcc
	v_lshlrev_b32_e32 v6, 24, v6
	v_bfrev_b32_e32 v11, 60
	v_lshlrev_b32_e32 v10, 20, v10
	v_and_b32_e32 v6, 0x80000000, v6
	v_lshl_add_u32 v7, v7, 23, v11
	v_or3_b32 v6, v6, v7, v10
	v_lshrrev_b32_e32 v11, 16, v6
.LBB696_642:
	s_or_b64 exec, exec, s[8:9]
.LBB696_643:
	s_or_b64 exec, exec, s[6:7]
.LBB696_644:
	s_or_b64 exec, exec, s[0:1]
	s_mov_b32 s0, 0x5040100
	v_perm_b32 v7, v18, v17, s0
	v_perm_b32 v6, v13, v16, s0
	;; [unrolled: 1-line block ×4, first 2 shown]
	v_mfma_f32_4x4x4bf16_1k a[0:3], v[14:15], v[6:7], a[0:3] cbsz:4 abid:8
	v_mov_b32_e32 v12, 0
	v_mfma_f32_4x4x4bf16_1k a[0:3], v[14:15], v[10:11], a[0:3] cbsz:4 abid:9
	v_mov_b32_e32 v11, 0
	v_cmp_ne_u16_sdwa s[6:7], v8, v11 src0_sel:BYTE_0 src1_sel:DWORD
	s_and_saveexec_b64 s[0:1], s[6:7]
	s_cbranch_execz .LBB696_650
; %bb.645:
	s_movk_i32 s3, 0x80
	v_cmp_ne_u16_sdwa s[8:9], v8, s3 src0_sel:BYTE_0 src1_sel:DWORD
	v_mov_b32_e32 v12, 0xffff8000
	s_and_saveexec_b64 s[6:7], s[8:9]
	s_cbranch_execz .LBB696_649
; %bb.646:
	s_movk_i32 s3, 0x7f
	v_and_b32_e32 v6, 0x7f, v8
	v_cmp_ne_u32_e32 vcc, s3, v6
	v_mov_b32_e32 v12, 0x7f80
	s_and_saveexec_b64 s[8:9], vcc
	s_cbranch_execz .LBB696_648
; %bb.647:
	v_and_b32_e32 v7, 7, v8
	v_ffbh_u32_e32 v7, v7
	v_min_u32_e32 v7, 32, v7
	v_subrev_u32_e32 v12, 28, v7
	v_cmp_gt_u32_e32 vcc, 8, v6
	v_lshrrev_b32_e32 v10, 3, v6
	v_sub_u32_e32 v7, 29, v7
	v_cndmask_b32_e32 v6, 0, v12, vcc
	v_cndmask_b32_e32 v10, v10, v7, vcc
	v_lshlrev_b64 v[6:7], v6, v[8:9]
	v_lshlrev_b32_e32 v6, 20, v6
	v_lshlrev_b32_e32 v7, 24, v8
	v_bfrev_b32_e32 v12, 60
	v_and_b32_e32 v6, 0x700000, v6
	v_and_b32_e32 v7, 0x80000000, v7
	v_lshl_add_u32 v10, v10, 23, v12
	v_or3_b32 v6, v7, v10, v6
	v_lshrrev_b32_e32 v12, 16, v6
.LBB696_648:
	s_or_b64 exec, exec, s[8:9]
.LBB696_649:
	s_or_b64 exec, exec, s[6:7]
.LBB696_650:
	s_or_b64 exec, exec, s[0:1]
	v_lshrrev_b16_e32 v6, 8, v8
	v_cmp_ne_u16_e32 vcc, 0, v6
	s_and_saveexec_b64 s[0:1], vcc
	s_cbranch_execz .LBB696_656
; %bb.651:
	s_movk_i32 s3, 0x80
	v_cmp_ne_u16_e32 vcc, s3, v6
	v_mov_b32_e32 v11, 0xffff8000
	s_and_saveexec_b64 s[6:7], vcc
	s_cbranch_execz .LBB696_655
; %bb.652:
	s_movk_i32 s3, 0x7f
	v_and_b32_e32 v7, 0x7f, v6
	v_cmp_ne_u32_e32 vcc, s3, v7
	v_mov_b32_e32 v11, 0x7f80
	s_and_saveexec_b64 s[8:9], vcc
	s_cbranch_execz .LBB696_654
; %bb.653:
	v_and_b32_e32 v13, 7, v6
	v_ffbh_u32_e32 v10, v13
	v_min_u32_e32 v17, 32, v10
	v_subrev_u32_e32 v10, 28, v17
	v_lshlrev_b64 v[10:11], v10, v[6:7]
	v_lshrrev_b32_e32 v16, 3, v7
	v_sub_u32_e32 v6, 29, v17
	v_and_b32_e32 v10, 7, v10
	v_cmp_gt_u32_e32 vcc, 8, v7
	v_cndmask_b32_e32 v6, v16, v6, vcc
	v_cndmask_b32_e32 v7, v13, v10, vcc
	v_lshlrev_b32_e32 v10, 16, v8
	v_bfrev_b32_e32 v11, 60
	v_lshlrev_b32_e32 v7, 20, v7
	v_and_b32_e32 v10, 0x80000000, v10
	v_lshl_add_u32 v6, v6, 23, v11
	v_or3_b32 v6, v10, v6, v7
	v_lshrrev_b32_e32 v11, 16, v6
.LBB696_654:
	s_or_b64 exec, exec, s[8:9]
.LBB696_655:
	s_or_b64 exec, exec, s[6:7]
.LBB696_656:
	s_or_b64 exec, exec, s[0:1]
	s_movk_i32 s0, 0xff
	v_and_b32_sdwa v10, v8, s0 dst_sel:DWORD dst_unused:UNUSED_PAD src0_sel:WORD_1 src1_sel:DWORD
	v_lshrrev_b32_e32 v6, 16, v8
	v_cmp_ne_u16_e32 vcc, 0, v10
	v_mov_b32_e32 v7, 0
	v_mov_b32_e32 v13, 0
	s_and_saveexec_b64 s[0:1], vcc
	s_cbranch_execz .LBB696_662
; %bb.657:
	s_movk_i32 s3, 0x80
	v_cmp_ne_u16_e32 vcc, s3, v10
	v_mov_b32_e32 v13, 0xffff8000
	s_and_saveexec_b64 s[6:7], vcc
	s_cbranch_execz .LBB696_661
; %bb.658:
	v_bfe_u32 v10, v8, 16, 7
	s_movk_i32 s3, 0x7f
	v_cmp_ne_u32_e32 vcc, s3, v10
	v_mov_b32_e32 v13, 0x7f80
	s_and_saveexec_b64 s[8:9], vcc
	s_cbranch_execz .LBB696_660
; %bb.659:
	v_and_b32_e32 v13, 7, v6
	v_ffbh_u32_e32 v16, v13
	v_min_u32_e32 v19, 32, v16
	v_subrev_u32_e32 v16, 28, v19
	v_lshlrev_b64 v[16:17], v16, v[6:7]
	v_and_b32_e32 v16, 7, v16
	v_cmp_gt_u32_e32 vcc, 8, v10
	v_lshrrev_b32_e32 v18, 3, v10
	v_sub_u32_e32 v6, 29, v19
	v_cndmask_b32_e32 v10, v13, v16, vcc
	v_mov_b32_e32 v13, 24
	v_cndmask_b32_e32 v6, v18, v6, vcc
	v_lshlrev_b32_sdwa v13, v13, v8 dst_sel:DWORD dst_unused:UNUSED_PAD src0_sel:DWORD src1_sel:WORD_1
	v_bfrev_b32_e32 v16, 60
	v_lshlrev_b32_e32 v10, 20, v10
	v_and_b32_e32 v13, 0x80000000, v13
	v_lshl_add_u32 v6, v6, 23, v16
	v_or3_b32 v6, v13, v6, v10
	v_lshrrev_b32_e32 v13, 16, v6
.LBB696_660:
	s_or_b64 exec, exec, s[8:9]
.LBB696_661:
	s_or_b64 exec, exec, s[6:7]
.LBB696_662:
	s_or_b64 exec, exec, s[0:1]
	s_mov_b32 s0, 0xffffff
	v_cmp_lt_u32_e32 vcc, s0, v8
	v_mov_b32_e32 v16, 0
	s_and_saveexec_b64 s[0:1], vcc
	s_cbranch_execz .LBB696_668
; %bb.663:
	v_lshrrev_b32_e32 v6, 24, v8
	s_movk_i32 s3, 0x80
	v_cmp_ne_u32_e32 vcc, s3, v6
	v_mov_b32_e32 v16, 0xffff8000
	s_and_saveexec_b64 s[6:7], vcc
	s_cbranch_execz .LBB696_667
; %bb.664:
	v_bfe_u32 v10, v8, 24, 7
	s_movk_i32 s3, 0x7f
	v_cmp_ne_u32_e32 vcc, s3, v10
	v_mov_b32_e32 v16, 0x7f80
	s_and_saveexec_b64 s[8:9], vcc
	s_cbranch_execz .LBB696_666
; %bb.665:
	v_and_b32_e32 v18, 7, v6
	v_ffbh_u32_e32 v16, v18
	v_min_u32_e32 v20, 32, v16
	v_subrev_u32_e32 v16, 28, v20
	v_lshlrev_b64 v[16:17], v16, v[6:7]
	v_lshrrev_b32_e32 v19, 3, v10
	v_sub_u32_e32 v17, 29, v20
	v_and_b32_e32 v16, 7, v16
	v_cmp_gt_u32_e32 vcc, 8, v10
	v_cndmask_b32_e32 v10, v19, v17, vcc
	v_cndmask_b32_e32 v16, v18, v16, vcc
	v_lshlrev_b32_e32 v6, 24, v6
	v_bfrev_b32_e32 v17, 60
	v_lshlrev_b32_e32 v16, 20, v16
	v_and_b32_e32 v6, 0x80000000, v6
	v_lshl_add_u32 v10, v10, 23, v17
	v_or3_b32 v6, v6, v10, v16
	v_lshrrev_b32_e32 v16, 16, v6
.LBB696_666:
	s_or_b64 exec, exec, s[8:9]
.LBB696_667:
	s_or_b64 exec, exec, s[6:7]
.LBB696_668:
	s_or_b64 exec, exec, s[0:1]
	v_mov_b32_e32 v17, 0
	v_mov_b32_e32 v6, v9
	v_cmp_ne_u16_sdwa s[6:7], v9, v17 src0_sel:BYTE_0 src1_sel:DWORD
	v_mov_b32_e32 v18, 0
	s_and_saveexec_b64 s[0:1], s[6:7]
	s_cbranch_execz .LBB696_674
; %bb.669:
	s_movk_i32 s3, 0x80
	v_cmp_ne_u16_sdwa s[8:9], v9, s3 src0_sel:BYTE_0 src1_sel:DWORD
	v_mov_b32_e32 v18, 0xffff8000
	s_and_saveexec_b64 s[6:7], s[8:9]
	s_cbranch_execz .LBB696_673
; %bb.670:
	s_movk_i32 s3, 0x7f
	v_and_b32_e32 v10, 0x7f, v9
	v_cmp_ne_u32_e32 vcc, s3, v10
	v_mov_b32_e32 v18, 0x7f80
	s_and_saveexec_b64 s[8:9], vcc
	s_cbranch_execz .LBB696_672
; %bb.671:
	v_and_b32_e32 v18, 7, v9
	v_ffbh_u32_e32 v18, v18
	v_min_u32_e32 v18, 32, v18
	v_lshrrev_b32_e32 v19, 3, v10
	v_subrev_u32_e32 v20, 28, v18
	v_sub_u32_e32 v18, 29, v18
	v_cmp_gt_u32_e32 vcc, 8, v10
	v_cndmask_b32_e32 v10, v19, v18, vcc
	v_cndmask_b32_e32 v18, 0, v20, vcc
	v_lshlrev_b64 v[18:19], v18, v[6:7]
	v_lshlrev_b32_e32 v7, 20, v18
	v_lshlrev_b32_e32 v18, 24, v6
	v_bfrev_b32_e32 v19, 60
	v_and_b32_e32 v7, 0x700000, v7
	v_and_b32_e32 v18, 0x80000000, v18
	v_lshl_add_u32 v10, v10, 23, v19
	v_or3_b32 v7, v18, v10, v7
	v_lshrrev_b32_e32 v18, 16, v7
.LBB696_672:
	s_or_b64 exec, exec, s[8:9]
.LBB696_673:
	s_or_b64 exec, exec, s[6:7]
.LBB696_674:
	s_or_b64 exec, exec, s[0:1]
	v_lshrrev_b16_e32 v10, 8, v6
	v_cmp_ne_u16_e32 vcc, 0, v10
	s_and_saveexec_b64 s[0:1], vcc
	s_cbranch_execz .LBB696_680
; %bb.675:
	s_movk_i32 s3, 0x80
	v_cmp_ne_u16_e32 vcc, s3, v10
	v_mov_b32_e32 v17, 0xffff8000
	s_and_saveexec_b64 s[6:7], vcc
	s_cbranch_execz .LBB696_679
; %bb.676:
	s_movk_i32 s3, 0x7f
	v_and_b32_e32 v7, 0x7f, v10
	v_cmp_ne_u32_e32 vcc, s3, v7
	v_mov_b32_e32 v17, 0x7f80
	s_and_saveexec_b64 s[8:9], vcc
	s_cbranch_execz .LBB696_678
; %bb.677:
	v_and_b32_e32 v17, 7, v10
	v_ffbh_u32_e32 v20, v17
	v_min_u32_e32 v22, 32, v20
	v_subrev_u32_e32 v20, 28, v22
	v_lshlrev_b64 v[20:21], v20, v[10:11]
	v_lshrrev_b32_e32 v19, 3, v7
	v_sub_u32_e32 v10, 29, v22
	v_and_b32_e32 v20, 7, v20
	v_cmp_gt_u32_e32 vcc, 8, v7
	v_cndmask_b32_e32 v7, v19, v10, vcc
	v_cndmask_b32_e32 v10, v17, v20, vcc
	v_lshlrev_b32_e32 v6, 16, v6
	v_bfrev_b32_e32 v17, 60
	v_lshlrev_b32_e32 v10, 20, v10
	v_and_b32_e32 v6, 0x80000000, v6
	v_lshl_add_u32 v7, v7, 23, v17
	v_or3_b32 v6, v6, v7, v10
	v_lshrrev_b32_e32 v17, 16, v6
.LBB696_678:
	s_or_b64 exec, exec, s[8:9]
.LBB696_679:
	s_or_b64 exec, exec, s[6:7]
.LBB696_680:
	s_or_b64 exec, exec, s[0:1]
	s_movk_i32 s0, 0xff
	v_and_b32_sdwa v19, v9, s0 dst_sel:DWORD dst_unused:UNUSED_PAD src0_sel:WORD_1 src1_sel:DWORD
	v_lshrrev_b32_e32 v6, 16, v9
	v_cmp_ne_u16_e32 vcc, 0, v19
	v_mov_b32_e32 v7, 0
	v_mov_b32_e32 v10, 0
	s_and_saveexec_b64 s[0:1], vcc
	s_cbranch_execz .LBB696_686
; %bb.681:
	s_movk_i32 s3, 0x80
	v_cmp_ne_u16_e32 vcc, s3, v19
	v_mov_b32_e32 v10, 0xffff8000
	s_and_saveexec_b64 s[6:7], vcc
	s_cbranch_execz .LBB696_685
; %bb.682:
	v_bfe_u32 v19, v9, 16, 7
	s_movk_i32 s3, 0x7f
	v_cmp_ne_u32_e32 vcc, s3, v19
	v_mov_b32_e32 v10, 0x7f80
	s_and_saveexec_b64 s[8:9], vcc
	s_cbranch_execz .LBB696_684
; %bb.683:
	v_and_b32_e32 v10, 7, v6
	v_ffbh_u32_e32 v20, v10
	v_min_u32_e32 v23, 32, v20
	v_subrev_u32_e32 v20, 28, v23
	v_lshlrev_b64 v[20:21], v20, v[6:7]
	v_lshrrev_b32_e32 v22, 3, v19
	v_sub_u32_e32 v6, 29, v23
	v_and_b32_e32 v20, 7, v20
	v_cmp_gt_u32_e32 vcc, 8, v19
	v_mov_b32_e32 v19, 24
	v_cndmask_b32_e32 v6, v22, v6, vcc
	v_cndmask_b32_e32 v10, v10, v20, vcc
	v_lshlrev_b32_sdwa v19, v19, v9 dst_sel:DWORD dst_unused:UNUSED_PAD src0_sel:DWORD src1_sel:WORD_1
	v_bfrev_b32_e32 v20, 60
	v_lshlrev_b32_e32 v10, 20, v10
	v_and_b32_e32 v19, 0x80000000, v19
	v_lshl_add_u32 v6, v6, 23, v20
	v_or3_b32 v6, v19, v6, v10
	v_lshrrev_b32_e32 v10, 16, v6
.LBB696_684:
	s_or_b64 exec, exec, s[8:9]
.LBB696_685:
	s_or_b64 exec, exec, s[6:7]
.LBB696_686:
	s_or_b64 exec, exec, s[0:1]
	s_mov_b32 s0, -1
	s_mov_b32 s1, 0xffffff
	v_cmp_lt_u64_e32 vcc, s[0:1], v[8:9]
	s_and_saveexec_b64 s[0:1], vcc
	s_cbranch_execz .LBB696_692
; %bb.687:
	v_lshrrev_b32_e32 v6, 24, v9
	s_movk_i32 s3, 0x80
	v_cmp_ne_u32_e32 vcc, s3, v6
	v_mov_b32_e32 v7, 0xffff8000
	s_and_saveexec_b64 s[6:7], vcc
	s_cbranch_execz .LBB696_691
; %bb.688:
	v_bfe_u32 v8, v9, 24, 7
	s_movk_i32 s3, 0x7f
	v_cmp_ne_u32_e32 vcc, s3, v8
	v_mov_b32_e32 v7, 0x7f80
	s_and_saveexec_b64 s[8:9], vcc
	s_cbranch_execz .LBB696_690
; %bb.689:
	v_and_b32_e32 v7, 7, v6
	v_ffbh_u32_e32 v19, v7
	v_min_u32_e32 v19, 32, v19
	v_subrev_u32_e32 v20, 28, v19
	v_lshlrev_b64 v[20:21], v20, v[6:7]
	v_lshrrev_b32_e32 v9, 3, v8
	v_sub_u32_e32 v19, 29, v19
	v_and_b32_e32 v20, 7, v20
	v_cmp_gt_u32_e32 vcc, 8, v8
	v_cndmask_b32_e32 v8, v9, v19, vcc
	v_cndmask_b32_e32 v7, v7, v20, vcc
	v_lshlrev_b32_e32 v6, 24, v6
	v_bfrev_b32_e32 v9, 60
	v_lshlrev_b32_e32 v7, 20, v7
	v_and_b32_e32 v6, 0x80000000, v6
	v_lshl_add_u32 v8, v8, 23, v9
	v_or3_b32 v6, v6, v8, v7
	v_lshrrev_b32_e32 v7, 16, v6
.LBB696_690:
	s_or_b64 exec, exec, s[8:9]
.LBB696_691:
	s_or_b64 exec, exec, s[6:7]
.LBB696_692:
	s_or_b64 exec, exec, s[0:1]
	s_mov_b32 s0, 0x5040100
	v_perm_b32 v9, v16, v13, s0
	v_perm_b32 v8, v11, v12, s0
	;; [unrolled: 1-line block ×4, first 2 shown]
	v_mfma_f32_4x4x4bf16_1k a[0:3], v[14:15], v[8:9], a[0:3] cbsz:4 abid:10
	v_mov_b32_e32 v9, 0
	v_mfma_f32_4x4x4bf16_1k a[0:3], v[14:15], v[6:7], a[0:3] cbsz:4 abid:11
	s_waitcnt vmcnt(0)
	v_cmp_ne_u16_sdwa s[6:7], v2, v9 src0_sel:BYTE_0 src1_sel:DWORD
	v_mov_b32_e32 v10, 0
	s_and_saveexec_b64 s[0:1], s[6:7]
	s_cbranch_execz .LBB696_698
; %bb.693:
	s_movk_i32 s3, 0x80
	v_cmp_ne_u16_sdwa s[8:9], v2, s3 src0_sel:BYTE_0 src1_sel:DWORD
	v_mov_b32_e32 v10, 0xffff8000
	s_and_saveexec_b64 s[6:7], s[8:9]
	s_cbranch_execz .LBB696_697
; %bb.694:
	s_movk_i32 s3, 0x7f
	v_and_b32_e32 v6, 0x7f, v2
	v_cmp_ne_u32_e32 vcc, s3, v6
	v_mov_b32_e32 v10, 0x7f80
	s_and_saveexec_b64 s[8:9], vcc
	s_cbranch_execz .LBB696_696
; %bb.695:
	v_and_b32_e32 v7, 7, v2
	v_ffbh_u32_e32 v7, v7
	v_min_u32_e32 v7, 32, v7
	v_subrev_u32_e32 v10, 28, v7
	v_cmp_gt_u32_e32 vcc, 8, v6
	v_lshrrev_b32_e32 v8, 3, v6
	v_sub_u32_e32 v7, 29, v7
	v_cndmask_b32_e32 v6, 0, v10, vcc
	v_cndmask_b32_e32 v8, v8, v7, vcc
	v_lshlrev_b64 v[6:7], v6, v[2:3]
	v_lshlrev_b32_e32 v6, 20, v6
	v_lshlrev_b32_e32 v7, 24, v2
	v_bfrev_b32_e32 v10, 60
	v_and_b32_e32 v6, 0x700000, v6
	v_and_b32_e32 v7, 0x80000000, v7
	v_lshl_add_u32 v8, v8, 23, v10
	v_or3_b32 v6, v7, v8, v6
	v_lshrrev_b32_e32 v10, 16, v6
.LBB696_696:
	s_or_b64 exec, exec, s[8:9]
.LBB696_697:
	s_or_b64 exec, exec, s[6:7]
.LBB696_698:
	s_or_b64 exec, exec, s[0:1]
	v_lshrrev_b16_e32 v6, 8, v2
	v_cmp_ne_u16_e32 vcc, 0, v6
	s_and_saveexec_b64 s[0:1], vcc
	s_cbranch_execz .LBB696_704
; %bb.699:
	s_movk_i32 s3, 0x80
	v_cmp_ne_u16_e32 vcc, s3, v6
	v_mov_b32_e32 v9, 0xffff8000
	s_and_saveexec_b64 s[6:7], vcc
	s_cbranch_execz .LBB696_703
; %bb.700:
	s_movk_i32 s3, 0x7f
	v_and_b32_e32 v7, 0x7f, v6
	v_cmp_ne_u32_e32 vcc, s3, v7
	v_mov_b32_e32 v9, 0x7f80
	s_and_saveexec_b64 s[8:9], vcc
	s_cbranch_execz .LBB696_702
; %bb.701:
	v_and_b32_e32 v11, 7, v6
	v_ffbh_u32_e32 v8, v11
	v_min_u32_e32 v13, 32, v8
	v_subrev_u32_e32 v8, 28, v13
	v_lshlrev_b64 v[8:9], v8, v[6:7]
	v_lshrrev_b32_e32 v12, 3, v7
	v_sub_u32_e32 v6, 29, v13
	v_and_b32_e32 v8, 7, v8
	v_cmp_gt_u32_e32 vcc, 8, v7
	v_cndmask_b32_e32 v6, v12, v6, vcc
	v_cndmask_b32_e32 v7, v11, v8, vcc
	v_lshlrev_b32_e32 v8, 16, v2
	v_bfrev_b32_e32 v9, 60
	v_lshlrev_b32_e32 v7, 20, v7
	v_and_b32_e32 v8, 0x80000000, v8
	v_lshl_add_u32 v6, v6, 23, v9
	v_or3_b32 v6, v8, v6, v7
	v_lshrrev_b32_e32 v9, 16, v6
.LBB696_702:
	s_or_b64 exec, exec, s[8:9]
.LBB696_703:
	s_or_b64 exec, exec, s[6:7]
.LBB696_704:
	s_or_b64 exec, exec, s[0:1]
	s_movk_i32 s0, 0xff
	v_and_b32_sdwa v8, v2, s0 dst_sel:DWORD dst_unused:UNUSED_PAD src0_sel:WORD_1 src1_sel:DWORD
	v_lshrrev_b32_e32 v6, 16, v2
	v_cmp_ne_u16_e32 vcc, 0, v8
	v_mov_b32_e32 v7, 0
	v_mov_b32_e32 v11, 0
	s_and_saveexec_b64 s[0:1], vcc
	s_cbranch_execz .LBB696_710
; %bb.705:
	s_movk_i32 s3, 0x80
	v_cmp_ne_u16_e32 vcc, s3, v8
	v_mov_b32_e32 v11, 0xffff8000
	s_and_saveexec_b64 s[6:7], vcc
	s_cbranch_execz .LBB696_709
; %bb.706:
	v_bfe_u32 v8, v2, 16, 7
	s_movk_i32 s3, 0x7f
	v_cmp_ne_u32_e32 vcc, s3, v8
	v_mov_b32_e32 v11, 0x7f80
	s_and_saveexec_b64 s[8:9], vcc
	s_cbranch_execz .LBB696_708
; %bb.707:
	v_and_b32_e32 v11, 7, v6
	v_ffbh_u32_e32 v12, v11
	v_min_u32_e32 v17, 32, v12
	v_subrev_u32_e32 v12, 28, v17
	v_lshlrev_b64 v[12:13], v12, v[6:7]
	v_and_b32_e32 v12, 7, v12
	v_cmp_gt_u32_e32 vcc, 8, v8
	v_lshrrev_b32_e32 v16, 3, v8
	v_sub_u32_e32 v6, 29, v17
	v_cndmask_b32_e32 v8, v11, v12, vcc
	v_mov_b32_e32 v11, 24
	v_cndmask_b32_e32 v6, v16, v6, vcc
	v_lshlrev_b32_sdwa v11, v11, v2 dst_sel:DWORD dst_unused:UNUSED_PAD src0_sel:DWORD src1_sel:WORD_1
	v_bfrev_b32_e32 v12, 60
	v_lshlrev_b32_e32 v8, 20, v8
	v_and_b32_e32 v11, 0x80000000, v11
	v_lshl_add_u32 v6, v6, 23, v12
	v_or3_b32 v6, v11, v6, v8
	v_lshrrev_b32_e32 v11, 16, v6
.LBB696_708:
	s_or_b64 exec, exec, s[8:9]
.LBB696_709:
	s_or_b64 exec, exec, s[6:7]
.LBB696_710:
	s_or_b64 exec, exec, s[0:1]
	s_mov_b32 s0, 0xffffff
	v_cmp_lt_u32_e32 vcc, s0, v2
	v_mov_b32_e32 v12, 0
	s_and_saveexec_b64 s[0:1], vcc
	s_cbranch_execz .LBB696_716
; %bb.711:
	v_lshrrev_b32_e32 v6, 24, v2
	s_movk_i32 s3, 0x80
	v_cmp_ne_u32_e32 vcc, s3, v6
	v_mov_b32_e32 v12, 0xffff8000
	s_and_saveexec_b64 s[6:7], vcc
	s_cbranch_execz .LBB696_715
; %bb.712:
	v_bfe_u32 v8, v2, 24, 7
	s_movk_i32 s3, 0x7f
	v_cmp_ne_u32_e32 vcc, s3, v8
	v_mov_b32_e32 v12, 0x7f80
	s_and_saveexec_b64 s[8:9], vcc
	s_cbranch_execz .LBB696_714
; %bb.713:
	v_and_b32_e32 v16, 7, v6
	v_ffbh_u32_e32 v12, v16
	v_min_u32_e32 v18, 32, v12
	v_subrev_u32_e32 v12, 28, v18
	v_lshlrev_b64 v[12:13], v12, v[6:7]
	v_lshrrev_b32_e32 v17, 3, v8
	v_sub_u32_e32 v13, 29, v18
	v_and_b32_e32 v12, 7, v12
	v_cmp_gt_u32_e32 vcc, 8, v8
	v_cndmask_b32_e32 v8, v17, v13, vcc
	v_cndmask_b32_e32 v12, v16, v12, vcc
	v_lshlrev_b32_e32 v6, 24, v6
	v_bfrev_b32_e32 v13, 60
	v_lshlrev_b32_e32 v12, 20, v12
	v_and_b32_e32 v6, 0x80000000, v6
	v_lshl_add_u32 v8, v8, 23, v13
	v_or3_b32 v6, v6, v8, v12
	v_lshrrev_b32_e32 v12, 16, v6
.LBB696_714:
	s_or_b64 exec, exec, s[8:9]
.LBB696_715:
	s_or_b64 exec, exec, s[6:7]
.LBB696_716:
	s_or_b64 exec, exec, s[0:1]
	v_mov_b32_e32 v13, 0
	v_mov_b32_e32 v6, v3
	v_cmp_ne_u16_sdwa s[6:7], v3, v13 src0_sel:BYTE_0 src1_sel:DWORD
	v_mov_b32_e32 v16, 0
	s_and_saveexec_b64 s[0:1], s[6:7]
	s_cbranch_execz .LBB696_722
; %bb.717:
	s_movk_i32 s3, 0x80
	v_cmp_ne_u16_sdwa s[8:9], v3, s3 src0_sel:BYTE_0 src1_sel:DWORD
	v_mov_b32_e32 v16, 0xffff8000
	s_and_saveexec_b64 s[6:7], s[8:9]
	s_cbranch_execz .LBB696_721
; %bb.718:
	s_movk_i32 s3, 0x7f
	v_and_b32_e32 v8, 0x7f, v3
	v_cmp_ne_u32_e32 vcc, s3, v8
	v_mov_b32_e32 v16, 0x7f80
	s_and_saveexec_b64 s[8:9], vcc
	s_cbranch_execz .LBB696_720
; %bb.719:
	v_and_b32_e32 v16, 7, v3
	v_ffbh_u32_e32 v16, v16
	v_min_u32_e32 v16, 32, v16
	v_lshrrev_b32_e32 v17, 3, v8
	v_subrev_u32_e32 v18, 28, v16
	v_sub_u32_e32 v16, 29, v16
	v_cmp_gt_u32_e32 vcc, 8, v8
	v_cndmask_b32_e32 v8, v17, v16, vcc
	v_cndmask_b32_e32 v16, 0, v18, vcc
	v_lshlrev_b64 v[16:17], v16, v[6:7]
	v_lshlrev_b32_e32 v7, 20, v16
	v_lshlrev_b32_e32 v16, 24, v6
	v_bfrev_b32_e32 v17, 60
	v_and_b32_e32 v7, 0x700000, v7
	v_and_b32_e32 v16, 0x80000000, v16
	v_lshl_add_u32 v8, v8, 23, v17
	v_or3_b32 v7, v16, v8, v7
	v_lshrrev_b32_e32 v16, 16, v7
.LBB696_720:
	s_or_b64 exec, exec, s[8:9]
.LBB696_721:
	s_or_b64 exec, exec, s[6:7]
.LBB696_722:
	s_or_b64 exec, exec, s[0:1]
	v_lshrrev_b16_e32 v8, 8, v6
	v_cmp_ne_u16_e32 vcc, 0, v8
	s_and_saveexec_b64 s[0:1], vcc
	s_cbranch_execz .LBB696_728
; %bb.723:
	s_movk_i32 s3, 0x80
	v_cmp_ne_u16_e32 vcc, s3, v8
	v_mov_b32_e32 v13, 0xffff8000
	s_and_saveexec_b64 s[6:7], vcc
	s_cbranch_execz .LBB696_727
; %bb.724:
	s_movk_i32 s3, 0x7f
	v_and_b32_e32 v7, 0x7f, v8
	v_cmp_ne_u32_e32 vcc, s3, v7
	v_mov_b32_e32 v13, 0x7f80
	s_and_saveexec_b64 s[8:9], vcc
	s_cbranch_execz .LBB696_726
; %bb.725:
	v_and_b32_e32 v13, 7, v8
	v_ffbh_u32_e32 v18, v13
	v_min_u32_e32 v20, 32, v18
	v_subrev_u32_e32 v18, 28, v20
	v_lshlrev_b64 v[18:19], v18, v[8:9]
	v_lshrrev_b32_e32 v17, 3, v7
	v_sub_u32_e32 v8, 29, v20
	v_and_b32_e32 v18, 7, v18
	v_cmp_gt_u32_e32 vcc, 8, v7
	v_cndmask_b32_e32 v7, v17, v8, vcc
	v_cndmask_b32_e32 v8, v13, v18, vcc
	v_lshlrev_b32_e32 v6, 16, v6
	v_bfrev_b32_e32 v13, 60
	v_lshlrev_b32_e32 v8, 20, v8
	v_and_b32_e32 v6, 0x80000000, v6
	v_lshl_add_u32 v7, v7, 23, v13
	v_or3_b32 v6, v6, v7, v8
	v_lshrrev_b32_e32 v13, 16, v6
.LBB696_726:
	s_or_b64 exec, exec, s[8:9]
.LBB696_727:
	s_or_b64 exec, exec, s[6:7]
.LBB696_728:
	s_or_b64 exec, exec, s[0:1]
	s_movk_i32 s0, 0xff
	v_and_b32_sdwa v17, v3, s0 dst_sel:DWORD dst_unused:UNUSED_PAD src0_sel:WORD_1 src1_sel:DWORD
	v_lshrrev_b32_e32 v6, 16, v3
	v_cmp_ne_u16_e32 vcc, 0, v17
	v_mov_b32_e32 v7, 0
	v_mov_b32_e32 v8, 0
	s_and_saveexec_b64 s[0:1], vcc
	s_cbranch_execz .LBB696_734
; %bb.729:
	s_movk_i32 s3, 0x80
	v_cmp_ne_u16_e32 vcc, s3, v17
	v_mov_b32_e32 v8, 0xffff8000
	s_and_saveexec_b64 s[6:7], vcc
	s_cbranch_execz .LBB696_733
; %bb.730:
	v_bfe_u32 v17, v3, 16, 7
	s_movk_i32 s3, 0x7f
	v_cmp_ne_u32_e32 vcc, s3, v17
	v_mov_b32_e32 v8, 0x7f80
	s_and_saveexec_b64 s[8:9], vcc
	s_cbranch_execz .LBB696_732
; %bb.731:
	v_and_b32_e32 v8, 7, v6
	v_ffbh_u32_e32 v18, v8
	v_min_u32_e32 v21, 32, v18
	v_subrev_u32_e32 v18, 28, v21
	v_lshlrev_b64 v[18:19], v18, v[6:7]
	v_lshrrev_b32_e32 v20, 3, v17
	v_sub_u32_e32 v6, 29, v21
	v_and_b32_e32 v18, 7, v18
	v_cmp_gt_u32_e32 vcc, 8, v17
	v_mov_b32_e32 v17, 24
	v_cndmask_b32_e32 v6, v20, v6, vcc
	v_cndmask_b32_e32 v8, v8, v18, vcc
	v_lshlrev_b32_sdwa v17, v17, v3 dst_sel:DWORD dst_unused:UNUSED_PAD src0_sel:DWORD src1_sel:WORD_1
	v_bfrev_b32_e32 v18, 60
	v_lshlrev_b32_e32 v8, 20, v8
	v_and_b32_e32 v17, 0x80000000, v17
	v_lshl_add_u32 v6, v6, 23, v18
	v_or3_b32 v6, v17, v6, v8
	v_lshrrev_b32_e32 v8, 16, v6
.LBB696_732:
	s_or_b64 exec, exec, s[8:9]
.LBB696_733:
	s_or_b64 exec, exec, s[6:7]
.LBB696_734:
	s_or_b64 exec, exec, s[0:1]
	s_mov_b32 s0, -1
	s_mov_b32 s1, 0xffffff
	v_cmp_lt_u64_e32 vcc, s[0:1], v[2:3]
	s_and_saveexec_b64 s[0:1], vcc
	s_cbranch_execz .LBB696_740
; %bb.735:
	v_lshrrev_b32_e32 v2, 24, v3
	s_movk_i32 s3, 0x80
	v_cmp_ne_u32_e32 vcc, s3, v2
	v_mov_b32_e32 v7, 0xffff8000
	s_and_saveexec_b64 s[6:7], vcc
	s_cbranch_execz .LBB696_739
; %bb.736:
	v_bfe_u32 v3, v3, 24, 7
	s_movk_i32 s3, 0x7f
	v_cmp_ne_u32_e32 vcc, s3, v3
	v_mov_b32_e32 v7, 0x7f80
	s_and_saveexec_b64 s[8:9], vcc
	s_cbranch_execz .LBB696_738
; %bb.737:
	v_and_b32_e32 v17, 7, v2
	v_ffbh_u32_e32 v6, v17
	v_min_u32_e32 v19, 32, v6
	v_subrev_u32_e32 v6, 28, v19
	v_lshlrev_b64 v[6:7], v6, v[2:3]
	v_lshrrev_b32_e32 v18, 3, v3
	v_sub_u32_e32 v7, 29, v19
	v_and_b32_e32 v6, 7, v6
	v_cmp_gt_u32_e32 vcc, 8, v3
	v_cndmask_b32_e32 v3, v18, v7, vcc
	v_cndmask_b32_e32 v6, v17, v6, vcc
	v_lshlrev_b32_e32 v2, 24, v2
	v_bfrev_b32_e32 v7, 60
	v_lshlrev_b32_e32 v6, 20, v6
	v_and_b32_e32 v2, 0x80000000, v2
	v_lshl_add_u32 v3, v3, 23, v7
	v_or3_b32 v2, v2, v3, v6
	v_lshrrev_b32_e32 v7, 16, v2
.LBB696_738:
	s_or_b64 exec, exec, s[8:9]
.LBB696_739:
	s_or_b64 exec, exec, s[6:7]
.LBB696_740:
	s_or_b64 exec, exec, s[0:1]
	s_mov_b32 s0, 0x5040100
	v_perm_b32 v3, v12, v11, s0
	v_perm_b32 v2, v9, v10, s0
	v_perm_b32 v7, v7, v8, s0
	v_perm_b32 v6, v13, v16, s0
	v_mfma_f32_4x4x4bf16_1k a[0:3], v[14:15], v[2:3], a[0:3] cbsz:4 abid:12
	v_mov_b32_e32 v8, 0
	v_mfma_f32_4x4x4bf16_1k a[0:3], v[14:15], v[6:7], a[0:3] cbsz:4 abid:13
	v_mov_b32_e32 v7, 0
	v_cmp_ne_u16_sdwa s[6:7], v4, v7 src0_sel:BYTE_0 src1_sel:DWORD
	s_and_saveexec_b64 s[0:1], s[6:7]
	s_cbranch_execz .LBB696_746
; %bb.741:
	s_movk_i32 s3, 0x80
	v_cmp_ne_u16_sdwa s[8:9], v4, s3 src0_sel:BYTE_0 src1_sel:DWORD
	v_mov_b32_e32 v8, 0xffff8000
	s_and_saveexec_b64 s[6:7], s[8:9]
	s_cbranch_execz .LBB696_745
; %bb.742:
	s_movk_i32 s3, 0x7f
	v_and_b32_e32 v2, 0x7f, v4
	v_cmp_ne_u32_e32 vcc, s3, v2
	v_mov_b32_e32 v8, 0x7f80
	s_and_saveexec_b64 s[8:9], vcc
	s_cbranch_execz .LBB696_744
; %bb.743:
	v_and_b32_e32 v3, 7, v4
	v_ffbh_u32_e32 v3, v3
	v_min_u32_e32 v3, 32, v3
	v_subrev_u32_e32 v8, 28, v3
	v_cmp_gt_u32_e32 vcc, 8, v2
	v_lshrrev_b32_e32 v6, 3, v2
	v_sub_u32_e32 v3, 29, v3
	v_cndmask_b32_e32 v2, 0, v8, vcc
	v_cndmask_b32_e32 v6, v6, v3, vcc
	v_lshlrev_b64 v[2:3], v2, v[4:5]
	v_lshlrev_b32_e32 v2, 20, v2
	v_lshlrev_b32_e32 v3, 24, v4
	v_bfrev_b32_e32 v8, 60
	v_and_b32_e32 v2, 0x700000, v2
	v_and_b32_e32 v3, 0x80000000, v3
	v_lshl_add_u32 v6, v6, 23, v8
	v_or3_b32 v2, v3, v6, v2
	v_lshrrev_b32_e32 v8, 16, v2
.LBB696_744:
	s_or_b64 exec, exec, s[8:9]
.LBB696_745:
	s_or_b64 exec, exec, s[6:7]
.LBB696_746:
	s_or_b64 exec, exec, s[0:1]
	v_lshrrev_b16_e32 v2, 8, v4
	v_cmp_ne_u16_e32 vcc, 0, v2
	s_and_saveexec_b64 s[0:1], vcc
	s_cbranch_execz .LBB696_752
; %bb.747:
	s_movk_i32 s3, 0x80
	v_cmp_ne_u16_e32 vcc, s3, v2
	v_mov_b32_e32 v7, 0xffff8000
	s_and_saveexec_b64 s[6:7], vcc
	s_cbranch_execz .LBB696_751
; %bb.748:
	s_movk_i32 s3, 0x7f
	v_and_b32_e32 v3, 0x7f, v2
	v_cmp_ne_u32_e32 vcc, s3, v3
	v_mov_b32_e32 v7, 0x7f80
	s_and_saveexec_b64 s[8:9], vcc
	s_cbranch_execz .LBB696_750
; %bb.749:
	v_and_b32_e32 v9, 7, v2
	v_ffbh_u32_e32 v6, v9
	v_min_u32_e32 v11, 32, v6
	v_subrev_u32_e32 v6, 28, v11
	v_lshlrev_b64 v[6:7], v6, v[2:3]
	v_lshrrev_b32_e32 v10, 3, v3
	v_sub_u32_e32 v2, 29, v11
	v_and_b32_e32 v6, 7, v6
	v_cmp_gt_u32_e32 vcc, 8, v3
	v_cndmask_b32_e32 v2, v10, v2, vcc
	v_cndmask_b32_e32 v3, v9, v6, vcc
	v_lshlrev_b32_e32 v6, 16, v4
	v_bfrev_b32_e32 v7, 60
	v_lshlrev_b32_e32 v3, 20, v3
	v_and_b32_e32 v6, 0x80000000, v6
	v_lshl_add_u32 v2, v2, 23, v7
	v_or3_b32 v2, v6, v2, v3
	v_lshrrev_b32_e32 v7, 16, v2
.LBB696_750:
	s_or_b64 exec, exec, s[8:9]
.LBB696_751:
	s_or_b64 exec, exec, s[6:7]
.LBB696_752:
	s_or_b64 exec, exec, s[0:1]
	s_movk_i32 s0, 0xff
	v_and_b32_sdwa v6, v4, s0 dst_sel:DWORD dst_unused:UNUSED_PAD src0_sel:WORD_1 src1_sel:DWORD
	v_lshrrev_b32_e32 v2, 16, v4
	v_cmp_ne_u16_e32 vcc, 0, v6
	v_mov_b32_e32 v3, 0
	v_mov_b32_e32 v9, 0
	s_and_saveexec_b64 s[0:1], vcc
	s_cbranch_execz .LBB696_758
; %bb.753:
	s_movk_i32 s3, 0x80
	v_cmp_ne_u16_e32 vcc, s3, v6
	v_mov_b32_e32 v9, 0xffff8000
	s_and_saveexec_b64 s[6:7], vcc
	s_cbranch_execz .LBB696_757
; %bb.754:
	v_bfe_u32 v6, v4, 16, 7
	s_movk_i32 s3, 0x7f
	v_cmp_ne_u32_e32 vcc, s3, v6
	v_mov_b32_e32 v9, 0x7f80
	s_and_saveexec_b64 s[8:9], vcc
	s_cbranch_execz .LBB696_756
; %bb.755:
	v_and_b32_e32 v9, 7, v2
	v_ffbh_u32_e32 v10, v9
	v_min_u32_e32 v13, 32, v10
	v_subrev_u32_e32 v10, 28, v13
	v_lshlrev_b64 v[10:11], v10, v[2:3]
	v_and_b32_e32 v10, 7, v10
	v_cmp_gt_u32_e32 vcc, 8, v6
	v_lshrrev_b32_e32 v12, 3, v6
	v_sub_u32_e32 v2, 29, v13
	v_cndmask_b32_e32 v6, v9, v10, vcc
	v_mov_b32_e32 v9, 24
	v_cndmask_b32_e32 v2, v12, v2, vcc
	v_lshlrev_b32_sdwa v9, v9, v4 dst_sel:DWORD dst_unused:UNUSED_PAD src0_sel:DWORD src1_sel:WORD_1
	v_bfrev_b32_e32 v10, 60
	v_lshlrev_b32_e32 v6, 20, v6
	v_and_b32_e32 v9, 0x80000000, v9
	v_lshl_add_u32 v2, v2, 23, v10
	v_or3_b32 v2, v9, v2, v6
	v_lshrrev_b32_e32 v9, 16, v2
.LBB696_756:
	s_or_b64 exec, exec, s[8:9]
.LBB696_757:
	s_or_b64 exec, exec, s[6:7]
.LBB696_758:
	s_or_b64 exec, exec, s[0:1]
	s_mov_b32 s0, 0xffffff
	v_cmp_lt_u32_e32 vcc, s0, v4
	v_mov_b32_e32 v10, 0
	s_and_saveexec_b64 s[0:1], vcc
	s_cbranch_execz .LBB696_764
; %bb.759:
	v_lshrrev_b32_e32 v2, 24, v4
	s_movk_i32 s3, 0x80
	v_cmp_ne_u32_e32 vcc, s3, v2
	v_mov_b32_e32 v10, 0xffff8000
	s_and_saveexec_b64 s[6:7], vcc
	s_cbranch_execz .LBB696_763
; %bb.760:
	v_bfe_u32 v6, v4, 24, 7
	s_movk_i32 s3, 0x7f
	v_cmp_ne_u32_e32 vcc, s3, v6
	v_mov_b32_e32 v10, 0x7f80
	s_and_saveexec_b64 s[8:9], vcc
	s_cbranch_execz .LBB696_762
; %bb.761:
	v_and_b32_e32 v12, 7, v2
	v_ffbh_u32_e32 v10, v12
	v_min_u32_e32 v16, 32, v10
	v_subrev_u32_e32 v10, 28, v16
	v_lshlrev_b64 v[10:11], v10, v[2:3]
	v_lshrrev_b32_e32 v13, 3, v6
	v_sub_u32_e32 v11, 29, v16
	v_and_b32_e32 v10, 7, v10
	v_cmp_gt_u32_e32 vcc, 8, v6
	v_cndmask_b32_e32 v6, v13, v11, vcc
	v_cndmask_b32_e32 v10, v12, v10, vcc
	v_lshlrev_b32_e32 v2, 24, v2
	v_bfrev_b32_e32 v11, 60
	v_lshlrev_b32_e32 v10, 20, v10
	v_and_b32_e32 v2, 0x80000000, v2
	v_lshl_add_u32 v6, v6, 23, v11
	v_or3_b32 v2, v2, v6, v10
	v_lshrrev_b32_e32 v10, 16, v2
.LBB696_762:
	s_or_b64 exec, exec, s[8:9]
.LBB696_763:
	s_or_b64 exec, exec, s[6:7]
.LBB696_764:
	s_or_b64 exec, exec, s[0:1]
	v_mov_b32_e32 v11, 0
	v_mov_b32_e32 v2, v5
	v_cmp_ne_u16_sdwa s[6:7], v5, v11 src0_sel:BYTE_0 src1_sel:DWORD
	v_mov_b32_e32 v12, 0
	s_and_saveexec_b64 s[0:1], s[6:7]
	s_cbranch_execz .LBB696_770
; %bb.765:
	s_movk_i32 s3, 0x80
	v_cmp_ne_u16_sdwa s[8:9], v5, s3 src0_sel:BYTE_0 src1_sel:DWORD
	v_mov_b32_e32 v12, 0xffff8000
	s_and_saveexec_b64 s[6:7], s[8:9]
	s_cbranch_execz .LBB696_769
; %bb.766:
	s_movk_i32 s3, 0x7f
	v_and_b32_e32 v6, 0x7f, v5
	v_cmp_ne_u32_e32 vcc, s3, v6
	v_mov_b32_e32 v12, 0x7f80
	s_and_saveexec_b64 s[8:9], vcc
	s_cbranch_execz .LBB696_768
; %bb.767:
	v_and_b32_e32 v12, 7, v5
	v_ffbh_u32_e32 v12, v12
	v_min_u32_e32 v12, 32, v12
	v_lshrrev_b32_e32 v13, 3, v6
	v_subrev_u32_e32 v16, 28, v12
	v_sub_u32_e32 v12, 29, v12
	v_cmp_gt_u32_e32 vcc, 8, v6
	v_cndmask_b32_e32 v6, v13, v12, vcc
	v_cndmask_b32_e32 v12, 0, v16, vcc
	v_lshlrev_b64 v[12:13], v12, v[2:3]
	v_lshlrev_b32_e32 v3, 20, v12
	v_lshlrev_b32_e32 v12, 24, v2
	v_bfrev_b32_e32 v13, 60
	v_and_b32_e32 v3, 0x700000, v3
	v_and_b32_e32 v12, 0x80000000, v12
	v_lshl_add_u32 v6, v6, 23, v13
	v_or3_b32 v3, v12, v6, v3
	v_lshrrev_b32_e32 v12, 16, v3
.LBB696_768:
	s_or_b64 exec, exec, s[8:9]
.LBB696_769:
	s_or_b64 exec, exec, s[6:7]
.LBB696_770:
	s_or_b64 exec, exec, s[0:1]
	v_lshrrev_b16_e32 v6, 8, v2
	v_cmp_ne_u16_e32 vcc, 0, v6
	s_and_saveexec_b64 s[0:1], vcc
	s_cbranch_execz .LBB696_776
; %bb.771:
	s_movk_i32 s3, 0x80
	v_cmp_ne_u16_e32 vcc, s3, v6
	v_mov_b32_e32 v11, 0xffff8000
	s_and_saveexec_b64 s[6:7], vcc
	s_cbranch_execz .LBB696_775
; %bb.772:
	s_movk_i32 s3, 0x7f
	v_and_b32_e32 v3, 0x7f, v6
	v_cmp_ne_u32_e32 vcc, s3, v3
	v_mov_b32_e32 v11, 0x7f80
	s_and_saveexec_b64 s[8:9], vcc
	s_cbranch_execz .LBB696_774
; %bb.773:
	v_and_b32_e32 v11, 7, v6
	v_ffbh_u32_e32 v16, v11
	v_min_u32_e32 v18, 32, v16
	v_subrev_u32_e32 v16, 28, v18
	v_lshlrev_b64 v[16:17], v16, v[6:7]
	v_lshrrev_b32_e32 v13, 3, v3
	v_sub_u32_e32 v6, 29, v18
	v_and_b32_e32 v16, 7, v16
	v_cmp_gt_u32_e32 vcc, 8, v3
	v_cndmask_b32_e32 v3, v13, v6, vcc
	v_cndmask_b32_e32 v6, v11, v16, vcc
	v_lshlrev_b32_e32 v2, 16, v2
	v_bfrev_b32_e32 v11, 60
	v_lshlrev_b32_e32 v6, 20, v6
	v_and_b32_e32 v2, 0x80000000, v2
	v_lshl_add_u32 v3, v3, 23, v11
	v_or3_b32 v2, v2, v3, v6
	v_lshrrev_b32_e32 v11, 16, v2
.LBB696_774:
	s_or_b64 exec, exec, s[8:9]
.LBB696_775:
	s_or_b64 exec, exec, s[6:7]
.LBB696_776:
	s_or_b64 exec, exec, s[0:1]
	s_movk_i32 s0, 0xff
	v_and_b32_sdwa v13, v5, s0 dst_sel:DWORD dst_unused:UNUSED_PAD src0_sel:WORD_1 src1_sel:DWORD
	v_lshrrev_b32_e32 v2, 16, v5
	v_cmp_ne_u16_e32 vcc, 0, v13
	v_mov_b32_e32 v3, 0
	v_mov_b32_e32 v6, 0
	s_and_saveexec_b64 s[0:1], vcc
	s_cbranch_execz .LBB696_782
; %bb.777:
	s_movk_i32 s3, 0x80
	v_cmp_ne_u16_e32 vcc, s3, v13
	v_mov_b32_e32 v6, 0xffff8000
	s_and_saveexec_b64 s[6:7], vcc
	s_cbranch_execz .LBB696_781
; %bb.778:
	v_bfe_u32 v13, v5, 16, 7
	s_movk_i32 s3, 0x7f
	v_cmp_ne_u32_e32 vcc, s3, v13
	v_mov_b32_e32 v6, 0x7f80
	s_and_saveexec_b64 s[8:9], vcc
	s_cbranch_execz .LBB696_780
; %bb.779:
	v_and_b32_e32 v6, 7, v2
	v_ffbh_u32_e32 v16, v6
	v_min_u32_e32 v19, 32, v16
	v_subrev_u32_e32 v16, 28, v19
	v_lshlrev_b64 v[16:17], v16, v[2:3]
	v_lshrrev_b32_e32 v18, 3, v13
	v_sub_u32_e32 v2, 29, v19
	v_and_b32_e32 v16, 7, v16
	v_cmp_gt_u32_e32 vcc, 8, v13
	v_mov_b32_e32 v13, 24
	v_cndmask_b32_e32 v2, v18, v2, vcc
	v_cndmask_b32_e32 v6, v6, v16, vcc
	v_lshlrev_b32_sdwa v13, v13, v5 dst_sel:DWORD dst_unused:UNUSED_PAD src0_sel:DWORD src1_sel:WORD_1
	v_bfrev_b32_e32 v16, 60
	v_lshlrev_b32_e32 v6, 20, v6
	v_and_b32_e32 v13, 0x80000000, v13
	v_lshl_add_u32 v2, v2, 23, v16
	v_or3_b32 v2, v13, v2, v6
	v_lshrrev_b32_e32 v6, 16, v2
.LBB696_780:
	s_or_b64 exec, exec, s[8:9]
.LBB696_781:
	s_or_b64 exec, exec, s[6:7]
.LBB696_782:
	s_or_b64 exec, exec, s[0:1]
	s_mov_b32 s0, -1
	s_mov_b32 s1, 0xffffff
	v_cmp_lt_u64_e32 vcc, s[0:1], v[4:5]
	s_and_saveexec_b64 s[0:1], vcc
	s_cbranch_execz .LBB696_788
; %bb.783:
	v_lshrrev_b32_e32 v2, 24, v5
	s_movk_i32 s3, 0x80
	v_cmp_ne_u32_e32 vcc, s3, v2
	v_mov_b32_e32 v3, 0xffff8000
	s_and_saveexec_b64 s[6:7], vcc
	s_cbranch_execz .LBB696_787
; %bb.784:
	v_bfe_u32 v4, v5, 24, 7
	s_movk_i32 s3, 0x7f
	v_cmp_ne_u32_e32 vcc, s3, v4
	v_mov_b32_e32 v3, 0x7f80
	s_and_saveexec_b64 s[8:9], vcc
	s_cbranch_execz .LBB696_786
; %bb.785:
	v_and_b32_e32 v3, 7, v2
	v_ffbh_u32_e32 v13, v3
	v_min_u32_e32 v13, 32, v13
	v_subrev_u32_e32 v16, 28, v13
	v_lshlrev_b64 v[16:17], v16, v[2:3]
	v_lshrrev_b32_e32 v5, 3, v4
	v_sub_u32_e32 v13, 29, v13
	v_and_b32_e32 v16, 7, v16
	v_cmp_gt_u32_e32 vcc, 8, v4
	v_cndmask_b32_e32 v4, v5, v13, vcc
	v_cndmask_b32_e32 v3, v3, v16, vcc
	v_lshlrev_b32_e32 v2, 24, v2
	v_bfrev_b32_e32 v5, 60
	v_lshlrev_b32_e32 v3, 20, v3
	v_and_b32_e32 v2, 0x80000000, v2
	v_lshl_add_u32 v4, v4, 23, v5
	v_or3_b32 v2, v2, v4, v3
	v_lshrrev_b32_e32 v3, 16, v2
.LBB696_786:
	s_or_b64 exec, exec, s[8:9]
.LBB696_787:
	s_or_b64 exec, exec, s[6:7]
.LBB696_788:
	s_or_b64 exec, exec, s[0:1]
	s_mov_b32 s0, 0x5040100
	v_perm_b32 v5, v10, v9, s0
	v_perm_b32 v4, v7, v8, s0
	;; [unrolled: 1-line block ×4, first 2 shown]
	v_mfma_f32_4x4x4bf16_1k a[0:3], v[14:15], v[4:5], a[0:3] cbsz:4 abid:14
	s_load_dword s0, s[14:15], 0x0
	v_mfma_f32_4x4x4bf16_1k a[0:3], v[14:15], v[2:3], a[0:3] cbsz:4 abid:15
	s_nop 4
	v_accvgpr_read_b32 v5, a1
	v_accvgpr_read_b32 v4, a0
	;; [unrolled: 1-line block ×4, first 2 shown]
	s_waitcnt lgkmcnt(0)
	v_pk_mul_f32 v[4:5], v[4:5], s[0:1] op_sel_hi:[1,0]
	v_pk_mul_f32 v[2:3], v[2:3], s[0:1] op_sel_hi:[1,0]
	v_bfe_u32 v6, v5, 16, 1
	v_bfe_u32 v7, v4, 16, 1
	s_movk_i32 s0, 0x7fff
	v_add3_u32 v4, v4, v7, s0
	v_add3_u32 v5, v5, v6, s0
	v_bfe_u32 v6, v3, 16, 1
	v_bfe_u32 v7, v2, 16, 1
	v_add3_u32 v2, v2, v7, s0
	v_add3_u32 v3, v3, v6, s0
	s_mov_b32 s0, 0x7060302
	v_perm_b32 v23, v3, v2, s0
	v_perm_b32 v22, v5, v4, s0
.LBB696_789:
	s_or_b64 exec, exec, s[4:5]
	v_lshlrev_b32_e32 v1, 3, v1
	v_mad_u32_u24 v1, v42, 40, v1
	v_cmp_gt_u32_e32 vcc, 64, v0
	ds_write_b64 v1, v[22:23]
	s_waitcnt lgkmcnt(0)
	s_barrier
	s_and_saveexec_b64 s[0:1], vcc
	s_cbranch_execz .LBB696_791
; %bb.790:
	v_mul_u32_u24_e32 v1, 40, v42
	s_waitcnt vmcnt(0)
	ds_read2_b64 v[2:5], v1 offset1:1
	ds_read2_b64 v[6:9], v1 offset0:2 offset1:3
	s_mov_b32 s1, 0
	s_lshl_b32 s0, s2, 6
	s_lshl_b64 s[2:3], s[0:1], 1
	s_waitcnt lgkmcnt(1)
	v_and_b32_e32 v1, 0xffff0000, v2
	v_lshlrev_b32_e32 v3, 16, v3
	v_add_f32_e32 v1, 0, v1
	v_add_f32_e32 v3, 0, v3
	v_and_b32_e32 v1, 0xffff0000, v1
	v_and_b32_e32 v10, 0xffff0000, v4
	;; [unrolled: 1-line block ×3, first 2 shown]
	v_add_f32_e32 v1, v1, v10
	v_lshlrev_b32_e32 v5, 16, v5
	v_and_b32_e32 v1, 0xffff0000, v1
	v_add_f32_e32 v3, v3, v5
	s_waitcnt lgkmcnt(0)
	v_and_b32_e32 v5, 0xffff0000, v6
	v_and_b32_e32 v3, 0xffff0000, v3
	v_add_f32_e32 v1, v1, v5
	v_lshlrev_b32_e32 v5, 16, v7
	v_and_b32_e32 v1, 0xffff0000, v1
	v_add_f32_e32 v3, v3, v5
	v_and_b32_e32 v5, 0xffff0000, v8
	v_lshlrev_b32_e32 v2, 16, v2
	v_and_b32_e32 v3, 0xffff0000, v3
	v_add_f32_e32 v1, v1, v5
	v_lshlrev_b32_e32 v5, 16, v9
	s_add_u32 s2, s30, s2
	v_add_f32_e32 v2, 0, v2
	v_add_f32_e32 v7, v3, v5
	s_addc_u32 s3, s31, s3
	s_lshl_b32 s0, s28, 6
	v_and_b32_e32 v2, 0xffff0000, v2
	v_lshlrev_b32_e32 v3, 16, v4
	s_lshl_b64 s[0:1], s[0:1], 1
	v_add_f32_e32 v2, v2, v3
	s_add_u32 s0, s2, s0
	v_and_b32_e32 v2, 0xffff0000, v2
	v_lshlrev_b32_e32 v3, 16, v6
	s_addc_u32 s1, s3, s1
	s_lshl_b32 s2, s33, 6
	v_add_f32_e32 v2, v2, v3
	v_and_b32_e32 v2, 0xffff0000, v2
	v_lshlrev_b32_e32 v3, 16, v8
	s_mul_i32 s3, s2, s10
	v_add_f32_e32 v6, v2, v3
	v_or_b32_e32 v2, s3, v0
	v_mov_b32_e32 v3, 0
	v_lshlrev_b64 v[4:5], 1, v[2:3]
	v_mov_b32_e32 v2, s1
	v_add_co_u32_e32 v4, vcc, s0, v4
	s_add_i32 s3, s3, s2
	v_addc_co_u32_e32 v5, vcc, v2, v5, vcc
	v_or_b32_e32 v2, s3, v0
	global_store_short_d16_hi v[4:5], v6, off
	v_lshlrev_b64 v[4:5], 1, v[2:3]
	v_mov_b32_e32 v2, s1
	v_add_co_u32_e32 v4, vcc, s0, v4
	s_add_i32 s3, s3, s2
	v_addc_co_u32_e32 v5, vcc, v2, v5, vcc
	v_or_b32_e32 v2, s3, v0
	global_store_short_d16_hi v[4:5], v1, off
	v_lshlrev_b64 v[0:1], 1, v[2:3]
	v_mov_b32_e32 v2, s1
	v_add_co_u32_e32 v0, vcc, s0, v0
	v_addc_co_u32_e32 v1, vcc, v2, v1, vcc
	global_store_short_d16_hi v[0:1], v7, off
.LBB696_791:
	s_endpgm
	.section	.rodata,"a",@progbits
	.p2align	6, 0x0
	.amdhsa_kernel _Z38paged_attention_ll4mi_QKV_mfma4_kernelI14__hip_bfloat16hLN4vllm18Fp8KVCacheDataTypeE1ES0_Li16ELi64ELi256ELb0ELi3EEvPKT_PKT0_S8_ifPKiSA_SA_iPKfiiiPfSD_PS3_PT2_iSC_SC_
		.amdhsa_group_segment_fixed_size 2720
		.amdhsa_private_segment_fixed_size 0
		.amdhsa_kernarg_size 400
		.amdhsa_user_sgpr_count 6
		.amdhsa_user_sgpr_private_segment_buffer 1
		.amdhsa_user_sgpr_dispatch_ptr 0
		.amdhsa_user_sgpr_queue_ptr 0
		.amdhsa_user_sgpr_kernarg_segment_ptr 1
		.amdhsa_user_sgpr_dispatch_id 0
		.amdhsa_user_sgpr_flat_scratch_init 0
		.amdhsa_user_sgpr_kernarg_preload_length 0
		.amdhsa_user_sgpr_kernarg_preload_offset 0
		.amdhsa_user_sgpr_private_segment_size 0
		.amdhsa_uses_dynamic_stack 0
		.amdhsa_system_sgpr_private_segment_wavefront_offset 0
		.amdhsa_system_sgpr_workgroup_id_x 1
		.amdhsa_system_sgpr_workgroup_id_y 1
		.amdhsa_system_sgpr_workgroup_id_z 1
		.amdhsa_system_sgpr_workgroup_info 0
		.amdhsa_system_vgpr_workitem_id 0
		.amdhsa_next_free_vgpr 60
		.amdhsa_next_free_sgpr 42
		.amdhsa_accum_offset 56
		.amdhsa_reserve_vcc 1
		.amdhsa_reserve_flat_scratch 0
		.amdhsa_float_round_mode_32 0
		.amdhsa_float_round_mode_16_64 0
		.amdhsa_float_denorm_mode_32 3
		.amdhsa_float_denorm_mode_16_64 3
		.amdhsa_dx10_clamp 1
		.amdhsa_ieee_mode 1
		.amdhsa_fp16_overflow 0
		.amdhsa_tg_split 0
		.amdhsa_exception_fp_ieee_invalid_op 0
		.amdhsa_exception_fp_denorm_src 0
		.amdhsa_exception_fp_ieee_div_zero 0
		.amdhsa_exception_fp_ieee_overflow 0
		.amdhsa_exception_fp_ieee_underflow 0
		.amdhsa_exception_fp_ieee_inexact 0
		.amdhsa_exception_int_div_zero 0
	.end_amdhsa_kernel
	.section	.text._Z38paged_attention_ll4mi_QKV_mfma4_kernelI14__hip_bfloat16hLN4vllm18Fp8KVCacheDataTypeE1ES0_Li16ELi64ELi256ELb0ELi3EEvPKT_PKT0_S8_ifPKiSA_SA_iPKfiiiPfSD_PS3_PT2_iSC_SC_,"axG",@progbits,_Z38paged_attention_ll4mi_QKV_mfma4_kernelI14__hip_bfloat16hLN4vllm18Fp8KVCacheDataTypeE1ES0_Li16ELi64ELi256ELb0ELi3EEvPKT_PKT0_S8_ifPKiSA_SA_iPKfiiiPfSD_PS3_PT2_iSC_SC_,comdat
.Lfunc_end696:
	.size	_Z38paged_attention_ll4mi_QKV_mfma4_kernelI14__hip_bfloat16hLN4vllm18Fp8KVCacheDataTypeE1ES0_Li16ELi64ELi256ELb0ELi3EEvPKT_PKT0_S8_ifPKiSA_SA_iPKfiiiPfSD_PS3_PT2_iSC_SC_, .Lfunc_end696-_Z38paged_attention_ll4mi_QKV_mfma4_kernelI14__hip_bfloat16hLN4vllm18Fp8KVCacheDataTypeE1ES0_Li16ELi64ELi256ELb0ELi3EEvPKT_PKT0_S8_ifPKiSA_SA_iPKfiiiPfSD_PS3_PT2_iSC_SC_
                                        ; -- End function
	.section	.AMDGPU.csdata,"",@progbits
; Kernel info:
; codeLenInByte = 29304
; NumSgprs: 46
; NumVgprs: 55
; NumAgprs: 4
; TotalNumVgprs: 60
; ScratchSize: 0
; MemoryBound: 0
; FloatMode: 240
; IeeeMode: 1
; LDSByteSize: 2720 bytes/workgroup (compile time only)
; SGPRBlocks: 5
; VGPRBlocks: 7
; NumSGPRsForWavesPerEU: 46
; NumVGPRsForWavesPerEU: 60
; AccumOffset: 56
; Occupancy: 8
; WaveLimiterHint : 1
; COMPUTE_PGM_RSRC2:SCRATCH_EN: 0
; COMPUTE_PGM_RSRC2:USER_SGPR: 6
; COMPUTE_PGM_RSRC2:TRAP_HANDLER: 0
; COMPUTE_PGM_RSRC2:TGID_X_EN: 1
; COMPUTE_PGM_RSRC2:TGID_Y_EN: 1
; COMPUTE_PGM_RSRC2:TGID_Z_EN: 1
; COMPUTE_PGM_RSRC2:TIDIG_COMP_CNT: 0
; COMPUTE_PGM_RSRC3_GFX90A:ACCUM_OFFSET: 13
; COMPUTE_PGM_RSRC3_GFX90A:TG_SPLIT: 0
	.section	.text._Z38paged_attention_ll4mi_QKV_mfma4_kernelI14__hip_bfloat16hLN4vllm18Fp8KVCacheDataTypeE1ES0_Li16ELi64ELi256ELb0ELi4EEvPKT_PKT0_S8_ifPKiSA_SA_iPKfiiiPfSD_PS3_PT2_iSC_SC_,"axG",@progbits,_Z38paged_attention_ll4mi_QKV_mfma4_kernelI14__hip_bfloat16hLN4vllm18Fp8KVCacheDataTypeE1ES0_Li16ELi64ELi256ELb0ELi4EEvPKT_PKT0_S8_ifPKiSA_SA_iPKfiiiPfSD_PS3_PT2_iSC_SC_,comdat
	.protected	_Z38paged_attention_ll4mi_QKV_mfma4_kernelI14__hip_bfloat16hLN4vllm18Fp8KVCacheDataTypeE1ES0_Li16ELi64ELi256ELb0ELi4EEvPKT_PKT0_S8_ifPKiSA_SA_iPKfiiiPfSD_PS3_PT2_iSC_SC_ ; -- Begin function _Z38paged_attention_ll4mi_QKV_mfma4_kernelI14__hip_bfloat16hLN4vllm18Fp8KVCacheDataTypeE1ES0_Li16ELi64ELi256ELb0ELi4EEvPKT_PKT0_S8_ifPKiSA_SA_iPKfiiiPfSD_PS3_PT2_iSC_SC_
	.globl	_Z38paged_attention_ll4mi_QKV_mfma4_kernelI14__hip_bfloat16hLN4vllm18Fp8KVCacheDataTypeE1ES0_Li16ELi64ELi256ELb0ELi4EEvPKT_PKT0_S8_ifPKiSA_SA_iPKfiiiPfSD_PS3_PT2_iSC_SC_
	.p2align	8
	.type	_Z38paged_attention_ll4mi_QKV_mfma4_kernelI14__hip_bfloat16hLN4vllm18Fp8KVCacheDataTypeE1ES0_Li16ELi64ELi256ELb0ELi4EEvPKT_PKT0_S8_ifPKiSA_SA_iPKfiiiPfSD_PS3_PT2_iSC_SC_,@function
_Z38paged_attention_ll4mi_QKV_mfma4_kernelI14__hip_bfloat16hLN4vllm18Fp8KVCacheDataTypeE1ES0_Li16ELi64ELi256ELb0ELi4EEvPKT_PKT0_S8_ifPKiSA_SA_iPKfiiiPfSD_PS3_PT2_iSC_SC_: ; @_Z38paged_attention_ll4mi_QKV_mfma4_kernelI14__hip_bfloat16hLN4vllm18Fp8KVCacheDataTypeE1ES0_Li16ELi64ELi256ELb0ELi4EEvPKT_PKT0_S8_ifPKiSA_SA_iPKfiiiPfSD_PS3_PT2_iSC_SC_
; %bb.0:
	s_load_dwordx2 s[2:3], s[4:5], 0x30
	s_mov_b32 s28, s7
	s_mov_b64 s[0:1], 0
	s_waitcnt lgkmcnt(0)
	s_cmp_lg_u64 s[2:3], 0
	s_cselect_b64 s[10:11], -1, 0
	s_and_b64 vcc, exec, s[10:11]
	s_cbranch_vccz .LBB697_786
; %bb.1:
	s_add_i32 s12, s6, 1
	s_mov_b32 s13, 0
	s_lshl_b64 s[14:15], s[12:13], 2
	s_add_u32 s14, s2, s14
	s_mov_b32 s7, s13
	s_addc_u32 s15, s3, s15
	s_lshl_b64 s[12:13], s[6:7], 2
	s_add_u32 s12, s2, s12
	s_addc_u32 s13, s3, s13
	s_load_dword s9, s[14:15], 0x0
	s_load_dword s16, s[12:13], 0x0
	s_mov_b64 s[38:39], s[6:7]
	s_waitcnt lgkmcnt(0)
	s_sub_i32 s9, s9, s16
	s_cmp_eq_u32 s9, 1
	s_cselect_b64 s[12:13], -1, 0
	s_andn2_b64 vcc, exec, s[0:1]
	s_cbranch_vccnz .LBB697_3
.LBB697_2:
	s_mov_b32 s7, 0
	s_mov_b64 s[12:13], -1
	s_mov_b64 s[38:39], s[6:7]
.LBB697_3:
	s_andn2_b64 vcc, exec, s[12:13]
	s_cbranch_vccnz .LBB697_785
; %bb.4:
	s_load_dword s7, s[4:5], 0x9c
	s_load_dwordx2 s[0:1], s[4:5], 0x28
	s_add_u32 s34, s4, 0x90
	s_addc_u32 s35, s5, 0
	s_lshl_b64 s[20:21], s[38:39], 2
	s_waitcnt lgkmcnt(0)
	s_and_b32 s9, s7, 0xffff
	s_add_u32 s0, s0, s20
	s_addc_u32 s1, s1, s21
	s_load_dword s7, s[0:1], 0x0
	s_mul_i32 s9, s28, s9
	s_waitcnt lgkmcnt(0)
	s_cmp_ge_i32 s9, s7
	s_cbranch_scc1 .LBB697_785
; %bb.5:
	v_and_b32_e32 v2, 0xc0, v0
	v_add_u32_e32 v4, s9, v2
	v_lshrrev_b32_e32 v1, 6, v0
	v_cmp_gt_i32_e64 s[0:1], s7, v4
	v_cmp_le_i32_e32 vcc, s7, v4
                                        ; implicit-def: $sgpr23
                                        ; implicit-def: $sgpr22
	s_and_saveexec_b64 s[12:13], vcc
	s_xor_b64 s[12:13], exec, s[12:13]
	s_cbranch_execz .LBB697_7
; %bb.6:
	v_mul_u32_u24_e32 v2, 20, v1
	v_or_b32_e32 v2, 0xa00, v2
	v_mov_b32_e32 v3, 0xa50
	v_mov_b32_e32 v4, 0xff7fffff
	v_mad_u32_u24 v3, v1, 20, v3
	ds_write2_b32 v2, v4, v4 offset1:1
	v_mov_b32_e32 v2, 0
	ds_write2_b32 v3, v2, v2 offset1:1
	v_mov_b32_e32 v3, 0xa08
	s_mov_b32 s22, 0xff7fffff
	s_mov_b32 s23, 0
	v_mad_u32_u24 v3, v1, 20, v3
	v_mov_b32_e32 v5, 0xa58
	v_mad_u32_u24 v5, v1, 20, v5
	ds_write2_b32 v3, v4, v4 offset1:1
	ds_write2_b32 v5, v2, v2 offset1:1
                                        ; implicit-def: $vgpr4
.LBB697_7:
	s_or_saveexec_b64 s[36:37], s[12:13]
	s_load_dwordx2 s[30:31], s[4:5], 0x68
	s_load_dwordx4 s[16:19], s[4:5], 0x58
	s_load_dword s33, s[34:35], 0x4
	s_load_dwordx4 s[12:15], s[4:5], 0x80
	v_and_b32_e32 v42, 63, v0
	v_and_b32_e32 v43, 3, v0
	v_mov_b32_e32 v21, s23
	v_mov_b32_e32 v25, s22
	;; [unrolled: 1-line block ×5, first 2 shown]
                                        ; implicit-def: $vgpr14_vgpr15
                                        ; implicit-def: $vgpr10_vgpr11
                                        ; implicit-def: $vgpr6_vgpr7
                                        ; implicit-def: $vgpr2_vgpr3
	s_xor_b64 exec, exec, s[36:37]
	s_cbranch_execz .LBB697_397
; %bb.8:
	s_add_i32 s25, s7, 15
	s_ashr_i32 s26, s25, 31
	s_load_dwordx2 s[22:23], s[4:5], 0x20
	s_load_dword s24, s[4:5], 0x38
	s_lshr_b32 s26, s26, 28
	v_add_u32_e32 v44, s9, v0
	s_add_i32 s25, s25, s26
	v_ashrrev_i32_e32 v2, 31, v44
	s_ashr_i32 s25, s25, 4
	v_lshrrev_b32_e32 v2, 28, v2
	s_add_i32 s26, s25, -1
	v_add_u32_e32 v2, v44, v2
	v_ashrrev_i32_e32 v2, 4, v2
	v_mov_b32_e32 v3, s26
	v_cmp_gt_i32_e32 vcc, s7, v44
	s_waitcnt lgkmcnt(0)
	s_mul_i32 s40, s6, s24
	s_mov_b32 s41, 0
	v_cndmask_b32_e32 v2, v3, v2, vcc
	s_lshl_b64 s[24:25], s[40:41], 2
	v_ashrrev_i32_e32 v3, 31, v2
	s_add_u32 s22, s22, s24
	v_lshlrev_b64 v[2:3], 2, v[2:3]
	v_add_co_u32_e32 v8, vcc, s22, v2
	v_ashrrev_i32_e32 v2, 31, v4
	v_lshrrev_b32_e32 v2, 28, v2
	v_add_u32_e32 v2, v4, v2
	s_addc_u32 s23, s23, s25
	v_ashrrev_i32_e32 v4, 4, v2
	v_mov_b32_e32 v5, s23
	v_min_i32_e32 v2, s26, v4
	v_addc_co_u32_e32 v9, vcc, v5, v3, vcc
	v_ashrrev_i32_e32 v3, 31, v2
	v_lshlrev_b64 v[2:3], 2, v[2:3]
	v_add_co_u32_e32 v10, vcc, s22, v2
	v_add_u32_e32 v2, 1, v4
	v_min_i32_e32 v2, s26, v2
	v_addc_co_u32_e32 v11, vcc, v5, v3, vcc
	v_ashrrev_i32_e32 v3, 31, v2
	v_lshlrev_b64 v[2:3], 2, v[2:3]
	v_add_co_u32_e32 v12, vcc, s22, v2
	v_add_u32_e32 v2, 2, v4
	;; [unrolled: 6-line block ×3, first 2 shown]
	v_min_i32_e32 v2, s26, v2
	v_addc_co_u32_e32 v15, vcc, v5, v3, vcc
	v_ashrrev_i32_e32 v3, 31, v2
	v_lshlrev_b64 v[2:3], 2, v[2:3]
	v_mov_b32_e32 v4, s23
	v_add_co_u32_e32 v16, vcc, s22, v2
	v_addc_co_u32_e32 v17, vcc, v4, v3, vcc
	global_load_dword v6, v[8:9], off
	global_load_dword v5, v[10:11], off
	;; [unrolled: 1-line block ×5, first 2 shown]
	s_load_dwordx4 s[24:27], s[4:5], 0x0
	s_load_dwordx2 s[42:43], s[4:5], 0x10
	s_andn2_b64 vcc, exec, s[10:11]
	s_cbranch_vccnz .LBB697_10
; %bb.9:
	s_add_u32 s2, s2, s20
	s_addc_u32 s3, s3, s21
	s_load_dword s40, s[2:3], 0x0
	s_waitcnt lgkmcnt(0)
	s_mov_b64 s[38:39], s[40:41]
.LBB697_10:
	s_load_dwordx4 s[20:23], s[4:5], 0x48
	v_lshrrev_b32_e32 v7, 2, v42
	v_lshlrev_b32_e32 v8, 3, v43
	v_add_lshl_u32 v7, v8, v7, 4
	v_mov_b32_e32 v39, 0
	s_waitcnt lgkmcnt(0)
	s_ashr_i32 s3, s20, 31
	s_mul_hi_u32 s9, s38, s20
	s_mul_i32 s3, s38, s3
	s_mul_i32 s10, s39, s20
	s_add_i32 s3, s9, s3
	s_mul_i32 s2, s38, s20
	s_add_i32 s3, s3, s10
	s_lshl_b64 s[2:3], s[2:3], 1
	s_add_u32 s9, s24, s2
	s_addc_u32 s10, s25, s3
	s_lshl_b32 s40, s8, 8
	s_lshl_b64 s[2:3], s[40:41], 1
	s_add_u32 s2, s9, s2
	s_addc_u32 s3, s10, s3
	s_mul_i32 s9, s8, s22
	global_load_dwordx4 v[18:21], v7, s[2:3]
	s_add_u32 s2, s9, s26
	s_addc_u32 s3, 0, s27
	v_pk_mov_b32 v[8:9], s[2:3], s[2:3] op_sel:[0,1]
	s_waitcnt vmcnt(5)
	v_mad_i64_i32 v[6:7], s[2:3], v6, s21, v[8:9]
	v_lshlrev_b32_e32 v8, 4, v0
	v_and_b32_e32 v8, 0xf0, v8
	v_add_co_u32_e32 v6, vcc, v6, v8
	v_addc_co_u32_e32 v7, vcc, 0, v7, vcc
	global_load_dwordx4 v[34:37], v[6:7], off
	global_load_dwordx4 v[30:33], v[6:7], off offset:256
	global_load_dwordx4 v[26:29], v[6:7], off offset:512
	;; [unrolled: 1-line block ×3, first 2 shown]
	s_add_u32 s2, s42, s9
	v_lshlrev_b32_e32 v6, 4, v42
	v_add_co_u32_e32 v8, vcc, s2, v6
	s_waitcnt vmcnt(8)
	v_mul_hi_i32 v6, v5, s21
	s_addc_u32 s3, s43, 0
	v_ashrrev_i32_e32 v6, 31, v6
	v_mov_b32_e32 v7, s3
	v_lshrrev_b32_e32 v38, 29, v6
	v_addc_co_u32_e32 v9, vcc, 0, v7, vcc
	v_mad_i64_i32 v[6:7], s[2:3], v5, s21, v[38:39]
	v_and_b32_e32 v5, -8, v6
	v_add_co_u32_e32 v6, vcc, v8, v5
	s_waitcnt vmcnt(7)
	v_mul_hi_i32 v5, v4, s21
	v_ashrrev_i32_e32 v5, 31, v5
	v_lshrrev_b32_e32 v38, 29, v5
	v_mad_i64_i32 v[4:5], s[2:3], v4, s21, v[38:39]
	v_addc_co_u32_e32 v7, vcc, v9, v7, vcc
	v_and_b32_e32 v4, -8, v4
	v_add_co_u32_e32 v4, vcc, v8, v4
	v_addc_co_u32_e32 v5, vcc, v9, v5, vcc
	global_load_dwordx4 v[14:17], v[6:7], off
	global_load_dwordx4 v[10:13], v[4:5], off
	s_waitcnt vmcnt(8)
	v_mul_hi_i32 v4, v3, s21
	v_ashrrev_i32_e32 v4, 31, v4
	v_lshrrev_b32_e32 v38, 29, v4
	v_mad_i64_i32 v[4:5], s[2:3], v3, s21, v[38:39]
	v_and_b32_e32 v3, -8, v4
	v_add_co_u32_e32 v40, vcc, v8, v3
	s_waitcnt vmcnt(7)
	v_mul_hi_i32 v3, v2, s21
	v_ashrrev_i32_e32 v3, 31, v3
	v_lshrrev_b32_e32 v38, 29, v3
	v_mad_i64_i32 v[2:3], s[2:3], v2, s21, v[38:39]
	v_addc_co_u32_e32 v41, vcc, v9, v5, vcc
	v_and_b32_e32 v2, -8, v2
	v_add_co_u32_e32 v46, vcc, v8, v2
	v_addc_co_u32_e32 v47, vcc, v9, v3, vcc
	global_load_dwordx4 v[6:9], v[40:41], off
	global_load_dwordx4 v[2:5], v[46:47], off
	v_mov_b32_e32 v45, 0
	s_waitcnt vmcnt(7)
	v_cmp_ne_u16_sdwa s[10:11], v34, v39 src0_sel:BYTE_0 src1_sel:DWORD
	s_and_saveexec_b64 s[2:3], s[10:11]
	s_cbranch_execz .LBB697_16
; %bb.11:
	s_movk_i32 s9, 0x80
	v_cmp_ne_u16_sdwa s[20:21], v34, s9 src0_sel:BYTE_0 src1_sel:DWORD
	v_mov_b32_e32 v45, 0xffff8000
	s_and_saveexec_b64 s[10:11], s[20:21]
	s_cbranch_execz .LBB697_15
; %bb.12:
	s_movk_i32 s9, 0x7f
	v_and_b32_e32 v38, 0x7f, v34
	v_cmp_ne_u32_e32 vcc, s9, v38
	v_mov_b32_e32 v45, 0x7f80
	s_and_saveexec_b64 s[20:21], vcc
	s_cbranch_execz .LBB697_14
; %bb.13:
	v_and_b32_e32 v40, 7, v34
	v_ffbh_u32_e32 v40, v40
	v_min_u32_e32 v40, 32, v40
	v_lshrrev_b32_e32 v41, 3, v38
	v_subrev_u32_e32 v45, 28, v40
	v_sub_u32_e32 v40, 29, v40
	v_cmp_gt_u32_e32 vcc, 8, v38
	v_cndmask_b32_e32 v38, v41, v40, vcc
	v_cndmask_b32_e32 v40, 0, v45, vcc
	v_lshlrev_b64 v[40:41], v40, v[34:35]
	v_lshlrev_b32_e32 v40, 20, v40
	v_lshlrev_b32_e32 v41, 24, v34
	v_bfrev_b32_e32 v45, 60
	v_and_b32_e32 v40, 0x700000, v40
	v_and_b32_e32 v41, 0x80000000, v41
	v_lshl_add_u32 v38, v38, 23, v45
	v_or3_b32 v38, v41, v38, v40
	v_lshrrev_b32_e32 v45, 16, v38
.LBB697_14:
	s_or_b64 exec, exec, s[20:21]
.LBB697_15:
	s_or_b64 exec, exec, s[10:11]
.LBB697_16:
	s_or_b64 exec, exec, s[2:3]
	v_lshrrev_b16_e32 v38, 8, v34
	v_cmp_ne_u16_e32 vcc, 0, v38
	s_and_saveexec_b64 s[2:3], vcc
	s_cbranch_execz .LBB697_22
; %bb.17:
	s_movk_i32 s9, 0x80
	v_cmp_ne_u16_sdwa s[20:21], v34, s9 src0_sel:BYTE_1 src1_sel:DWORD
	v_mov_b32_e32 v39, 0xffff8000
	s_and_saveexec_b64 s[10:11], s[20:21]
	s_cbranch_execz .LBB697_21
; %bb.18:
	s_movk_i32 s9, 0x7f
	v_and_b32_e32 v40, 0x7f, v38
	v_cmp_ne_u32_e32 vcc, s9, v40
	v_mov_b32_e32 v39, 0x7f80
	s_and_saveexec_b64 s[20:21], vcc
	s_cbranch_execz .LBB697_20
; %bb.19:
	v_and_b32_e32 v41, 7, v38
	v_ffbh_u32_e32 v39, v41
	v_min_u32_e32 v47, 32, v39
	v_subrev_u32_e32 v39, 28, v47
	v_lshlrev_b64 v[38:39], v39, v[38:39]
	v_lshrrev_b32_e32 v46, 3, v40
	v_sub_u32_e32 v39, 29, v47
	v_and_b32_e32 v38, 7, v38
	v_cmp_gt_u32_e32 vcc, 8, v40
	v_cndmask_b32_e32 v39, v46, v39, vcc
	v_cndmask_b32_e32 v38, v41, v38, vcc
	v_lshlrev_b32_e32 v40, 16, v34
	v_bfrev_b32_e32 v41, 60
	v_lshlrev_b32_e32 v38, 20, v38
	v_and_b32_e32 v40, 0x80000000, v40
	v_lshl_add_u32 v39, v39, 23, v41
	v_or3_b32 v38, v40, v39, v38
	v_lshrrev_b32_e32 v39, 16, v38
.LBB697_20:
	s_or_b64 exec, exec, s[20:21]
.LBB697_21:
	s_or_b64 exec, exec, s[10:11]
.LBB697_22:
	s_or_b64 exec, exec, s[2:3]
	s_movk_i32 s2, 0xff
	v_and_b32_sdwa v40, v34, s2 dst_sel:DWORD dst_unused:UNUSED_PAD src0_sel:WORD_1 src1_sel:DWORD
	v_lshrrev_b32_e32 v38, 16, v34
	v_cmp_ne_u16_e32 vcc, 0, v40
	v_mov_b32_e32 v41, 0
	v_mov_b32_e32 v46, 0
	s_and_saveexec_b64 s[2:3], vcc
	s_cbranch_execz .LBB697_28
; %bb.23:
	s_movk_i32 s9, 0x80
	v_cmp_ne_u16_e32 vcc, s9, v40
	v_mov_b32_e32 v46, 0xffff8000
	s_and_saveexec_b64 s[10:11], vcc
	s_cbranch_execz .LBB697_27
; %bb.24:
	v_bfe_u32 v40, v34, 16, 7
	s_movk_i32 s9, 0x7f
	v_cmp_ne_u32_e32 vcc, s9, v40
	v_mov_b32_e32 v46, 0x7f80
	s_and_saveexec_b64 s[20:21], vcc
	s_cbranch_execz .LBB697_26
; %bb.25:
	v_and_b32_e32 v48, 7, v38
	v_ffbh_u32_e32 v46, v48
	v_min_u32_e32 v50, 32, v46
	v_subrev_u32_e32 v46, 28, v50
	v_lshlrev_b64 v[46:47], v46, v[38:39]
	v_and_b32_e32 v46, 7, v46
	v_cmp_gt_u32_e32 vcc, 8, v40
	v_lshrrev_b32_e32 v49, 3, v40
	v_sub_u32_e32 v38, 29, v50
	v_cndmask_b32_e32 v40, v48, v46, vcc
	v_mov_b32_e32 v46, 24
	v_cndmask_b32_e32 v38, v49, v38, vcc
	v_lshlrev_b32_sdwa v46, v46, v34 dst_sel:DWORD dst_unused:UNUSED_PAD src0_sel:DWORD src1_sel:WORD_1
	v_bfrev_b32_e32 v47, 60
	v_lshlrev_b32_e32 v40, 20, v40
	v_and_b32_e32 v46, 0x80000000, v46
	v_lshl_add_u32 v38, v38, 23, v47
	v_or3_b32 v38, v46, v38, v40
	v_lshrrev_b32_e32 v46, 16, v38
.LBB697_26:
	s_or_b64 exec, exec, s[20:21]
.LBB697_27:
	s_or_b64 exec, exec, s[10:11]
.LBB697_28:
	s_or_b64 exec, exec, s[2:3]
	s_mov_b32 s2, 0xffffff
	v_cmp_lt_u32_e32 vcc, s2, v34
	v_mov_b32_e32 v47, 0
	s_and_saveexec_b64 s[2:3], vcc
	s_cbranch_execz .LBB697_34
; %bb.29:
	v_lshrrev_b32_e32 v38, 24, v34
	s_movk_i32 s9, 0x80
	v_cmp_ne_u32_e32 vcc, s9, v38
	v_mov_b32_e32 v47, 0xffff8000
	s_and_saveexec_b64 s[10:11], vcc
	s_cbranch_execz .LBB697_33
; %bb.30:
	v_bfe_u32 v40, v34, 24, 7
	s_movk_i32 s9, 0x7f
	v_cmp_ne_u32_e32 vcc, s9, v40
	v_mov_b32_e32 v47, 0x7f80
	s_and_saveexec_b64 s[20:21], vcc
	s_cbranch_execz .LBB697_32
; %bb.31:
	v_and_b32_e32 v47, 7, v38
	v_ffbh_u32_e32 v48, v47
	v_min_u32_e32 v51, 32, v48
	v_subrev_u32_e32 v48, 28, v51
	v_lshlrev_b64 v[48:49], v48, v[38:39]
	v_lshrrev_b32_e32 v50, 3, v40
	v_sub_u32_e32 v49, 29, v51
	v_and_b32_e32 v48, 7, v48
	v_cmp_gt_u32_e32 vcc, 8, v40
	v_cndmask_b32_e32 v40, v50, v49, vcc
	v_cndmask_b32_e32 v47, v47, v48, vcc
	v_lshlrev_b32_e32 v38, 24, v38
	v_bfrev_b32_e32 v48, 60
	v_lshlrev_b32_e32 v47, 20, v47
	v_and_b32_e32 v38, 0x80000000, v38
	v_lshl_add_u32 v40, v40, 23, v48
	v_or3_b32 v38, v38, v40, v47
	v_lshrrev_b32_e32 v47, 16, v38
.LBB697_32:
	s_or_b64 exec, exec, s[20:21]
.LBB697_33:
	s_or_b64 exec, exec, s[10:11]
.LBB697_34:
	s_or_b64 exec, exec, s[2:3]
	v_mov_b32_e32 v48, 0
	v_mov_b32_e32 v40, v35
	v_cmp_ne_u16_sdwa s[10:11], v35, v48 src0_sel:BYTE_0 src1_sel:DWORD
	v_mov_b32_e32 v49, 0
	s_and_saveexec_b64 s[2:3], s[10:11]
	s_cbranch_execz .LBB697_40
; %bb.35:
	s_movk_i32 s9, 0x80
	v_cmp_ne_u16_sdwa s[20:21], v35, s9 src0_sel:BYTE_0 src1_sel:DWORD
	v_mov_b32_e32 v49, 0xffff8000
	s_and_saveexec_b64 s[10:11], s[20:21]
	s_cbranch_execz .LBB697_39
; %bb.36:
	s_movk_i32 s9, 0x7f
	v_and_b32_e32 v38, 0x7f, v35
	v_cmp_ne_u32_e32 vcc, s9, v38
	v_mov_b32_e32 v49, 0x7f80
	s_and_saveexec_b64 s[20:21], vcc
	s_cbranch_execz .LBB697_38
; %bb.37:
	v_and_b32_e32 v49, 7, v35
	v_ffbh_u32_e32 v49, v49
	v_min_u32_e32 v49, 32, v49
	v_lshrrev_b32_e32 v50, 3, v38
	v_subrev_u32_e32 v51, 28, v49
	v_sub_u32_e32 v49, 29, v49
	v_cmp_gt_u32_e32 vcc, 8, v38
	v_cndmask_b32_e32 v38, v50, v49, vcc
	v_cndmask_b32_e32 v49, 0, v51, vcc
	v_lshlrev_b64 v[50:51], v49, v[40:41]
	v_lshlrev_b32_e32 v41, 20, v50
	v_lshlrev_b32_e32 v49, 24, v40
	v_bfrev_b32_e32 v50, 60
	v_and_b32_e32 v41, 0x700000, v41
	v_and_b32_e32 v49, 0x80000000, v49
	v_lshl_add_u32 v38, v38, 23, v50
	v_or3_b32 v38, v49, v38, v41
	v_lshrrev_b32_e32 v49, 16, v38
.LBB697_38:
	s_or_b64 exec, exec, s[20:21]
.LBB697_39:
	s_or_b64 exec, exec, s[10:11]
.LBB697_40:
	s_or_b64 exec, exec, s[2:3]
	v_lshrrev_b16_e32 v38, 8, v40
	v_cmp_ne_u16_e32 vcc, 0, v38
	s_and_saveexec_b64 s[2:3], vcc
	s_cbranch_execz .LBB697_46
; %bb.41:
	s_movk_i32 s9, 0x80
	v_cmp_ne_u16_e32 vcc, s9, v38
	v_mov_b32_e32 v48, 0xffff8000
	s_and_saveexec_b64 s[10:11], vcc
	s_cbranch_execz .LBB697_45
; %bb.42:
	s_movk_i32 s9, 0x7f
	v_and_b32_e32 v41, 0x7f, v38
	v_cmp_ne_u32_e32 vcc, s9, v41
	v_mov_b32_e32 v48, 0x7f80
	s_and_saveexec_b64 s[20:21], vcc
	s_cbranch_execz .LBB697_44
; %bb.43:
	v_and_b32_e32 v48, 7, v38
	v_ffbh_u32_e32 v50, v48
	v_min_u32_e32 v53, 32, v50
	v_subrev_u32_e32 v50, 28, v53
	v_lshlrev_b64 v[50:51], v50, v[38:39]
	v_lshrrev_b32_e32 v52, 3, v41
	v_sub_u32_e32 v38, 29, v53
	v_and_b32_e32 v50, 7, v50
	v_cmp_gt_u32_e32 vcc, 8, v41
	v_cndmask_b32_e32 v38, v52, v38, vcc
	v_cndmask_b32_e32 v41, v48, v50, vcc
	v_lshlrev_b32_e32 v40, 16, v40
	v_bfrev_b32_e32 v48, 60
	v_lshlrev_b32_e32 v41, 20, v41
	v_and_b32_e32 v40, 0x80000000, v40
	v_lshl_add_u32 v38, v38, 23, v48
	v_or3_b32 v38, v40, v38, v41
	v_lshrrev_b32_e32 v48, 16, v38
.LBB697_44:
	s_or_b64 exec, exec, s[20:21]
.LBB697_45:
	s_or_b64 exec, exec, s[10:11]
.LBB697_46:
	s_or_b64 exec, exec, s[2:3]
	s_movk_i32 s2, 0xff
	v_and_b32_sdwa v50, v35, s2 dst_sel:DWORD dst_unused:UNUSED_PAD src0_sel:WORD_1 src1_sel:DWORD
	v_lshrrev_b32_e32 v38, 16, v35
	v_cmp_ne_u16_e32 vcc, 0, v50
	v_mov_b32_e32 v40, 0
	v_mov_b32_e32 v41, 0
	s_and_saveexec_b64 s[2:3], vcc
	s_cbranch_execz .LBB697_52
; %bb.47:
	s_movk_i32 s9, 0x80
	v_cmp_ne_u16_e32 vcc, s9, v50
	v_mov_b32_e32 v41, 0xffff8000
	s_and_saveexec_b64 s[10:11], vcc
	s_cbranch_execz .LBB697_51
; %bb.48:
	v_bfe_u32 v50, v35, 16, 7
	s_movk_i32 s9, 0x7f
	v_cmp_ne_u32_e32 vcc, s9, v50
	v_mov_b32_e32 v41, 0x7f80
	s_and_saveexec_b64 s[20:21], vcc
	s_cbranch_execz .LBB697_50
; %bb.49:
	v_and_b32_e32 v41, 7, v38
	v_ffbh_u32_e32 v52, v41
	v_min_u32_e32 v54, 32, v52
	v_subrev_u32_e32 v52, 28, v54
	v_lshlrev_b64 v[52:53], v52, v[38:39]
	v_lshrrev_b32_e32 v51, 3, v50
	v_sub_u32_e32 v38, 29, v54
	v_and_b32_e32 v52, 7, v52
	v_cmp_gt_u32_e32 vcc, 8, v50
	v_mov_b32_e32 v50, 24
	v_cndmask_b32_e32 v38, v51, v38, vcc
	v_cndmask_b32_e32 v41, v41, v52, vcc
	v_lshlrev_b32_sdwa v50, v50, v35 dst_sel:DWORD dst_unused:UNUSED_PAD src0_sel:DWORD src1_sel:WORD_1
	v_bfrev_b32_e32 v51, 60
	v_lshlrev_b32_e32 v41, 20, v41
	v_and_b32_e32 v50, 0x80000000, v50
	v_lshl_add_u32 v38, v38, 23, v51
	v_or3_b32 v38, v50, v38, v41
	v_lshrrev_b32_e32 v41, 16, v38
.LBB697_50:
	s_or_b64 exec, exec, s[20:21]
.LBB697_51:
	s_or_b64 exec, exec, s[10:11]
.LBB697_52:
	s_or_b64 exec, exec, s[2:3]
	s_mov_b32 s2, -1
	s_mov_b32 s3, 0xffffff
	v_cmp_lt_u64_e32 vcc, s[2:3], v[34:35]
	s_and_saveexec_b64 s[2:3], vcc
	s_cbranch_execz .LBB697_58
; %bb.53:
	v_lshrrev_b32_e32 v34, 24, v35
	s_movk_i32 s9, 0x80
	v_cmp_ne_u32_e32 vcc, s9, v34
	v_mov_b32_e32 v40, 0xffff8000
	s_and_saveexec_b64 s[10:11], vcc
	s_cbranch_execz .LBB697_57
; %bb.54:
	v_bfe_u32 v35, v35, 24, 7
	s_movk_i32 s9, 0x7f
	v_cmp_ne_u32_e32 vcc, s9, v35
	v_mov_b32_e32 v40, 0x7f80
	s_and_saveexec_b64 s[20:21], vcc
	s_cbranch_execz .LBB697_56
; %bb.55:
	v_and_b32_e32 v38, 7, v34
	v_ffbh_u32_e32 v50, v38
	v_min_u32_e32 v52, 32, v50
	v_subrev_u32_e32 v50, 28, v52
	v_lshlrev_b64 v[50:51], v50, v[34:35]
	v_lshrrev_b32_e32 v40, 3, v35
	v_sub_u32_e32 v51, 29, v52
	v_and_b32_e32 v50, 7, v50
	v_cmp_gt_u32_e32 vcc, 8, v35
	v_cndmask_b32_e32 v35, v40, v51, vcc
	v_cndmask_b32_e32 v38, v38, v50, vcc
	v_lshlrev_b32_e32 v34, 24, v34
	v_bfrev_b32_e32 v40, 60
	v_lshlrev_b32_e32 v38, 20, v38
	v_and_b32_e32 v34, 0x80000000, v34
	v_lshl_add_u32 v35, v35, 23, v40
	v_or3_b32 v34, v34, v35, v38
	v_lshrrev_b32_e32 v40, 16, v34
.LBB697_56:
	s_or_b64 exec, exec, s[20:21]
.LBB697_57:
	s_or_b64 exec, exec, s[10:11]
.LBB697_58:
	s_or_b64 exec, exec, s[2:3]
	s_mov_b32 s2, 0x5040100
	v_perm_b32 v35, v47, v46, s2
	v_perm_b32 v34, v39, v45, s2
	;; [unrolled: 1-line block ×4, first 2 shown]
	v_mfma_f32_4x4x4bf16_1k a[0:3], v[18:19], v[34:35], 0 cbsz:4
	v_mov_b32_e32 v39, 0
	v_mfma_f32_4x4x4bf16_1k a[0:3], v[20:21], v[40:41], a[0:3] cbsz:4
	v_mov_b32_e32 v40, 0
	v_cmp_ne_u16_sdwa s[10:11], v36, v40 src0_sel:BYTE_0 src1_sel:DWORD
	s_and_saveexec_b64 s[2:3], s[10:11]
	s_cbranch_execz .LBB697_64
; %bb.59:
	s_movk_i32 s9, 0x80
	v_cmp_ne_u16_sdwa s[20:21], v36, s9 src0_sel:BYTE_0 src1_sel:DWORD
	v_mov_b32_e32 v39, 0xffff8000
	s_and_saveexec_b64 s[10:11], s[20:21]
	s_cbranch_execz .LBB697_63
; %bb.60:
	s_movk_i32 s9, 0x7f
	v_and_b32_e32 v34, 0x7f, v36
	v_cmp_ne_u32_e32 vcc, s9, v34
	v_mov_b32_e32 v39, 0x7f80
	s_and_saveexec_b64 s[20:21], vcc
	s_cbranch_execz .LBB697_62
; %bb.61:
	v_and_b32_e32 v35, 7, v36
	v_ffbh_u32_e32 v35, v35
	v_min_u32_e32 v35, 32, v35
	v_subrev_u32_e32 v39, 28, v35
	v_cmp_gt_u32_e32 vcc, 8, v34
	v_lshrrev_b32_e32 v38, 3, v34
	v_sub_u32_e32 v35, 29, v35
	v_cndmask_b32_e32 v34, 0, v39, vcc
	v_cndmask_b32_e32 v38, v38, v35, vcc
	v_lshlrev_b64 v[34:35], v34, v[36:37]
	v_lshlrev_b32_e32 v34, 20, v34
	v_lshlrev_b32_e32 v35, 24, v36
	v_bfrev_b32_e32 v39, 60
	v_and_b32_e32 v34, 0x700000, v34
	v_and_b32_e32 v35, 0x80000000, v35
	v_lshl_add_u32 v38, v38, 23, v39
	v_or3_b32 v34, v35, v38, v34
	v_lshrrev_b32_e32 v39, 16, v34
.LBB697_62:
	s_or_b64 exec, exec, s[20:21]
.LBB697_63:
	s_or_b64 exec, exec, s[10:11]
.LBB697_64:
	s_or_b64 exec, exec, s[2:3]
	v_lshrrev_b16_e32 v34, 8, v36
	v_cmp_ne_u16_e32 vcc, 0, v34
	s_and_saveexec_b64 s[2:3], vcc
	s_cbranch_execz .LBB697_70
; %bb.65:
	s_movk_i32 s9, 0x80
	v_cmp_ne_u16_e32 vcc, s9, v34
	v_mov_b32_e32 v40, 0xffff8000
	s_and_saveexec_b64 s[10:11], vcc
	s_cbranch_execz .LBB697_69
; %bb.66:
	s_movk_i32 s9, 0x7f
	v_and_b32_e32 v35, 0x7f, v34
	v_cmp_ne_u32_e32 vcc, s9, v35
	v_mov_b32_e32 v40, 0x7f80
	s_and_saveexec_b64 s[20:21], vcc
	s_cbranch_execz .LBB697_68
; %bb.67:
	v_and_b32_e32 v38, 7, v34
	v_ffbh_u32_e32 v40, v38
	v_min_u32_e32 v46, 32, v40
	v_subrev_u32_e32 v40, 28, v46
	v_lshlrev_b64 v[40:41], v40, v[34:35]
	v_lshrrev_b32_e32 v45, 3, v35
	v_sub_u32_e32 v34, 29, v46
	v_and_b32_e32 v40, 7, v40
	v_cmp_gt_u32_e32 vcc, 8, v35
	v_cndmask_b32_e32 v34, v45, v34, vcc
	v_cndmask_b32_e32 v35, v38, v40, vcc
	v_lshlrev_b32_e32 v38, 16, v36
	v_bfrev_b32_e32 v40, 60
	v_lshlrev_b32_e32 v35, 20, v35
	v_and_b32_e32 v38, 0x80000000, v38
	v_lshl_add_u32 v34, v34, 23, v40
	v_or3_b32 v34, v38, v34, v35
	v_lshrrev_b32_e32 v40, 16, v34
.LBB697_68:
	s_or_b64 exec, exec, s[20:21]
.LBB697_69:
	s_or_b64 exec, exec, s[10:11]
.LBB697_70:
	s_or_b64 exec, exec, s[2:3]
	s_movk_i32 s2, 0xff
	v_and_b32_sdwa v38, v36, s2 dst_sel:DWORD dst_unused:UNUSED_PAD src0_sel:WORD_1 src1_sel:DWORD
	v_lshrrev_b32_e32 v34, 16, v36
	v_cmp_ne_u16_e32 vcc, 0, v38
	v_mov_b32_e32 v35, 0
	v_mov_b32_e32 v41, 0
	s_and_saveexec_b64 s[2:3], vcc
	s_cbranch_execz .LBB697_76
; %bb.71:
	s_movk_i32 s9, 0x80
	v_cmp_ne_u16_e32 vcc, s9, v38
	v_mov_b32_e32 v41, 0xffff8000
	s_and_saveexec_b64 s[10:11], vcc
	s_cbranch_execz .LBB697_75
; %bb.72:
	v_bfe_u32 v38, v36, 16, 7
	s_movk_i32 s9, 0x7f
	v_cmp_ne_u32_e32 vcc, s9, v38
	v_mov_b32_e32 v41, 0x7f80
	s_and_saveexec_b64 s[20:21], vcc
	s_cbranch_execz .LBB697_74
; %bb.73:
	v_and_b32_e32 v41, 7, v34
	v_ffbh_u32_e32 v46, v41
	v_min_u32_e32 v48, 32, v46
	v_subrev_u32_e32 v46, 28, v48
	v_lshlrev_b64 v[46:47], v46, v[34:35]
	v_and_b32_e32 v46, 7, v46
	v_cmp_gt_u32_e32 vcc, 8, v38
	v_lshrrev_b32_e32 v45, 3, v38
	v_sub_u32_e32 v34, 29, v48
	v_cndmask_b32_e32 v38, v41, v46, vcc
	v_mov_b32_e32 v41, 24
	v_cndmask_b32_e32 v34, v45, v34, vcc
	v_lshlrev_b32_sdwa v41, v41, v36 dst_sel:DWORD dst_unused:UNUSED_PAD src0_sel:DWORD src1_sel:WORD_1
	v_bfrev_b32_e32 v45, 60
	v_lshlrev_b32_e32 v38, 20, v38
	v_and_b32_e32 v41, 0x80000000, v41
	v_lshl_add_u32 v34, v34, 23, v45
	v_or3_b32 v34, v41, v34, v38
	v_lshrrev_b32_e32 v41, 16, v34
.LBB697_74:
	s_or_b64 exec, exec, s[20:21]
.LBB697_75:
	s_or_b64 exec, exec, s[10:11]
.LBB697_76:
	s_or_b64 exec, exec, s[2:3]
	s_mov_b32 s2, 0xffffff
	v_cmp_lt_u32_e32 vcc, s2, v36
	v_mov_b32_e32 v45, 0
	s_and_saveexec_b64 s[2:3], vcc
	s_cbranch_execz .LBB697_82
; %bb.77:
	v_lshrrev_b32_e32 v34, 24, v36
	s_movk_i32 s9, 0x80
	v_cmp_ne_u32_e32 vcc, s9, v34
	v_mov_b32_e32 v45, 0xffff8000
	s_and_saveexec_b64 s[10:11], vcc
	s_cbranch_execz .LBB697_81
; %bb.78:
	v_bfe_u32 v38, v36, 24, 7
	s_movk_i32 s9, 0x7f
	v_cmp_ne_u32_e32 vcc, s9, v38
	v_mov_b32_e32 v45, 0x7f80
	s_and_saveexec_b64 s[20:21], vcc
	s_cbranch_execz .LBB697_80
; %bb.79:
	v_and_b32_e32 v45, 7, v34
	v_ffbh_u32_e32 v46, v45
	v_min_u32_e32 v49, 32, v46
	v_subrev_u32_e32 v46, 28, v49
	v_lshlrev_b64 v[46:47], v46, v[34:35]
	v_lshrrev_b32_e32 v48, 3, v38
	v_sub_u32_e32 v47, 29, v49
	v_and_b32_e32 v46, 7, v46
	v_cmp_gt_u32_e32 vcc, 8, v38
	v_cndmask_b32_e32 v38, v48, v47, vcc
	v_cndmask_b32_e32 v45, v45, v46, vcc
	v_lshlrev_b32_e32 v34, 24, v34
	v_bfrev_b32_e32 v46, 60
	v_lshlrev_b32_e32 v45, 20, v45
	v_and_b32_e32 v34, 0x80000000, v34
	v_lshl_add_u32 v38, v38, 23, v46
	v_or3_b32 v34, v34, v38, v45
	v_lshrrev_b32_e32 v45, 16, v34
.LBB697_80:
	s_or_b64 exec, exec, s[20:21]
.LBB697_81:
	s_or_b64 exec, exec, s[10:11]
.LBB697_82:
	s_or_b64 exec, exec, s[2:3]
	v_mov_b32_e32 v46, 0
	v_mov_b32_e32 v34, v37
	v_cmp_ne_u16_sdwa s[10:11], v37, v46 src0_sel:BYTE_0 src1_sel:DWORD
	v_mov_b32_e32 v47, 0
	s_and_saveexec_b64 s[2:3], s[10:11]
	s_cbranch_execz .LBB697_88
; %bb.83:
	s_movk_i32 s9, 0x80
	v_cmp_ne_u16_sdwa s[20:21], v37, s9 src0_sel:BYTE_0 src1_sel:DWORD
	v_mov_b32_e32 v47, 0xffff8000
	s_and_saveexec_b64 s[10:11], s[20:21]
	s_cbranch_execz .LBB697_87
; %bb.84:
	s_movk_i32 s9, 0x7f
	v_and_b32_e32 v38, 0x7f, v37
	v_cmp_ne_u32_e32 vcc, s9, v38
	v_mov_b32_e32 v47, 0x7f80
	s_and_saveexec_b64 s[20:21], vcc
	s_cbranch_execz .LBB697_86
; %bb.85:
	v_and_b32_e32 v47, 7, v37
	v_ffbh_u32_e32 v47, v47
	v_min_u32_e32 v47, 32, v47
	v_lshrrev_b32_e32 v48, 3, v38
	v_subrev_u32_e32 v49, 28, v47
	v_sub_u32_e32 v47, 29, v47
	v_cmp_gt_u32_e32 vcc, 8, v38
	v_cndmask_b32_e32 v38, v48, v47, vcc
	v_cndmask_b32_e32 v47, 0, v49, vcc
	v_lshlrev_b64 v[48:49], v47, v[34:35]
	v_lshlrev_b32_e32 v35, 20, v48
	v_lshlrev_b32_e32 v47, 24, v34
	v_bfrev_b32_e32 v48, 60
	v_and_b32_e32 v35, 0x700000, v35
	v_and_b32_e32 v47, 0x80000000, v47
	v_lshl_add_u32 v38, v38, 23, v48
	v_or3_b32 v35, v47, v38, v35
	v_lshrrev_b32_e32 v47, 16, v35
.LBB697_86:
	s_or_b64 exec, exec, s[20:21]
.LBB697_87:
	s_or_b64 exec, exec, s[10:11]
.LBB697_88:
	s_or_b64 exec, exec, s[2:3]
	v_lshrrev_b16_e32 v38, 8, v34
	v_cmp_ne_u16_e32 vcc, 0, v38
	s_and_saveexec_b64 s[2:3], vcc
	s_cbranch_execz .LBB697_94
; %bb.89:
	s_movk_i32 s9, 0x80
	v_cmp_ne_u16_e32 vcc, s9, v38
	v_mov_b32_e32 v46, 0xffff8000
	s_and_saveexec_b64 s[10:11], vcc
	s_cbranch_execz .LBB697_93
; %bb.90:
	s_movk_i32 s9, 0x7f
	v_and_b32_e32 v35, 0x7f, v38
	v_cmp_ne_u32_e32 vcc, s9, v35
	v_mov_b32_e32 v46, 0x7f80
	s_and_saveexec_b64 s[20:21], vcc
	s_cbranch_execz .LBB697_92
; %bb.91:
	v_and_b32_e32 v46, 7, v38
	v_ffbh_u32_e32 v48, v46
	v_min_u32_e32 v51, 32, v48
	v_subrev_u32_e32 v48, 28, v51
	v_lshlrev_b64 v[48:49], v48, v[38:39]
	v_lshrrev_b32_e32 v50, 3, v35
	v_sub_u32_e32 v38, 29, v51
	v_and_b32_e32 v48, 7, v48
	v_cmp_gt_u32_e32 vcc, 8, v35
	v_cndmask_b32_e32 v35, v50, v38, vcc
	v_cndmask_b32_e32 v38, v46, v48, vcc
	v_lshlrev_b32_e32 v34, 16, v34
	v_bfrev_b32_e32 v46, 60
	v_lshlrev_b32_e32 v38, 20, v38
	v_and_b32_e32 v34, 0x80000000, v34
	v_lshl_add_u32 v35, v35, 23, v46
	v_or3_b32 v34, v34, v35, v38
	v_lshrrev_b32_e32 v46, 16, v34
.LBB697_92:
	s_or_b64 exec, exec, s[20:21]
.LBB697_93:
	s_or_b64 exec, exec, s[10:11]
.LBB697_94:
	s_or_b64 exec, exec, s[2:3]
	s_movk_i32 s2, 0xff
	v_and_b32_sdwa v48, v37, s2 dst_sel:DWORD dst_unused:UNUSED_PAD src0_sel:WORD_1 src1_sel:DWORD
	v_lshrrev_b32_e32 v34, 16, v37
	v_cmp_ne_u16_e32 vcc, 0, v48
	v_mov_b32_e32 v35, 0
	v_mov_b32_e32 v38, 0
	s_and_saveexec_b64 s[2:3], vcc
	s_cbranch_execz .LBB697_100
; %bb.95:
	s_movk_i32 s9, 0x80
	v_cmp_ne_u16_e32 vcc, s9, v48
	v_mov_b32_e32 v38, 0xffff8000
	s_and_saveexec_b64 s[10:11], vcc
	s_cbranch_execz .LBB697_99
; %bb.96:
	v_bfe_u32 v48, v37, 16, 7
	s_movk_i32 s9, 0x7f
	v_cmp_ne_u32_e32 vcc, s9, v48
	v_mov_b32_e32 v38, 0x7f80
	s_and_saveexec_b64 s[20:21], vcc
	s_cbranch_execz .LBB697_98
; %bb.97:
	v_and_b32_e32 v38, 7, v34
	v_ffbh_u32_e32 v50, v38
	v_min_u32_e32 v52, 32, v50
	v_subrev_u32_e32 v50, 28, v52
	v_lshlrev_b64 v[50:51], v50, v[34:35]
	v_lshrrev_b32_e32 v49, 3, v48
	v_sub_u32_e32 v34, 29, v52
	v_and_b32_e32 v50, 7, v50
	v_cmp_gt_u32_e32 vcc, 8, v48
	v_mov_b32_e32 v48, 24
	v_cndmask_b32_e32 v34, v49, v34, vcc
	v_cndmask_b32_e32 v38, v38, v50, vcc
	v_lshlrev_b32_sdwa v48, v48, v37 dst_sel:DWORD dst_unused:UNUSED_PAD src0_sel:DWORD src1_sel:WORD_1
	v_bfrev_b32_e32 v49, 60
	v_lshlrev_b32_e32 v38, 20, v38
	v_and_b32_e32 v48, 0x80000000, v48
	v_lshl_add_u32 v34, v34, 23, v49
	v_or3_b32 v34, v48, v34, v38
	v_lshrrev_b32_e32 v38, 16, v34
.LBB697_98:
	s_or_b64 exec, exec, s[20:21]
.LBB697_99:
	s_or_b64 exec, exec, s[10:11]
.LBB697_100:
	s_or_b64 exec, exec, s[2:3]
	s_mov_b32 s2, -1
	s_mov_b32 s3, 0xffffff
	v_cmp_lt_u64_e32 vcc, s[2:3], v[36:37]
	s_and_saveexec_b64 s[2:3], vcc
	s_cbranch_execz .LBB697_106
; %bb.101:
	v_lshrrev_b32_e32 v34, 24, v37
	s_movk_i32 s9, 0x80
	v_cmp_ne_u32_e32 vcc, s9, v34
	v_mov_b32_e32 v35, 0xffff8000
	s_and_saveexec_b64 s[10:11], vcc
	s_cbranch_execz .LBB697_105
; %bb.102:
	v_bfe_u32 v36, v37, 24, 7
	s_movk_i32 s9, 0x7f
	v_cmp_ne_u32_e32 vcc, s9, v36
	v_mov_b32_e32 v35, 0x7f80
	s_and_saveexec_b64 s[20:21], vcc
	s_cbranch_execz .LBB697_104
; %bb.103:
	v_and_b32_e32 v35, 7, v34
	v_ffbh_u32_e32 v48, v35
	v_min_u32_e32 v50, 32, v48
	v_subrev_u32_e32 v48, 28, v50
	v_lshlrev_b64 v[48:49], v48, v[34:35]
	v_lshrrev_b32_e32 v37, 3, v36
	v_sub_u32_e32 v49, 29, v50
	v_and_b32_e32 v48, 7, v48
	v_cmp_gt_u32_e32 vcc, 8, v36
	v_cndmask_b32_e32 v36, v37, v49, vcc
	v_cndmask_b32_e32 v35, v35, v48, vcc
	v_lshlrev_b32_e32 v34, 24, v34
	v_bfrev_b32_e32 v37, 60
	v_lshlrev_b32_e32 v35, 20, v35
	v_and_b32_e32 v34, 0x80000000, v34
	v_lshl_add_u32 v36, v36, 23, v37
	v_or3_b32 v34, v34, v36, v35
	v_lshrrev_b32_e32 v35, 16, v34
.LBB697_104:
	s_or_b64 exec, exec, s[20:21]
.LBB697_105:
	s_or_b64 exec, exec, s[10:11]
.LBB697_106:
	s_or_b64 exec, exec, s[2:3]
	s_mov_b32 s2, 0x5040100
	v_perm_b32 v37, v45, v41, s2
	v_perm_b32 v36, v40, v39, s2
	;; [unrolled: 1-line block ×4, first 2 shown]
	v_mfma_f32_4x4x4bf16_1k a[0:3], v[18:19], v[36:37], a[0:3] cbsz:4 abid:1
	v_mov_b32_e32 v37, 0
	v_mfma_f32_4x4x4bf16_1k a[0:3], v[20:21], v[34:35], a[0:3] cbsz:4 abid:1
	s_waitcnt vmcnt(6)
	v_cmp_ne_u16_sdwa s[10:11], v30, v37 src0_sel:BYTE_0 src1_sel:DWORD
	v_mov_b32_e32 v38, 0
	s_and_saveexec_b64 s[2:3], s[10:11]
	s_cbranch_execz .LBB697_112
; %bb.107:
	s_movk_i32 s9, 0x80
	v_cmp_ne_u16_sdwa s[20:21], v30, s9 src0_sel:BYTE_0 src1_sel:DWORD
	v_mov_b32_e32 v38, 0xffff8000
	s_and_saveexec_b64 s[10:11], s[20:21]
	s_cbranch_execz .LBB697_111
; %bb.108:
	s_movk_i32 s9, 0x7f
	v_and_b32_e32 v34, 0x7f, v30
	v_cmp_ne_u32_e32 vcc, s9, v34
	v_mov_b32_e32 v38, 0x7f80
	s_and_saveexec_b64 s[20:21], vcc
	s_cbranch_execz .LBB697_110
; %bb.109:
	v_and_b32_e32 v35, 7, v30
	v_ffbh_u32_e32 v35, v35
	v_min_u32_e32 v35, 32, v35
	v_subrev_u32_e32 v38, 28, v35
	v_cmp_gt_u32_e32 vcc, 8, v34
	v_lshrrev_b32_e32 v36, 3, v34
	v_sub_u32_e32 v35, 29, v35
	v_cndmask_b32_e32 v34, 0, v38, vcc
	v_cndmask_b32_e32 v36, v36, v35, vcc
	v_lshlrev_b64 v[34:35], v34, v[30:31]
	v_lshlrev_b32_e32 v34, 20, v34
	v_lshlrev_b32_e32 v35, 24, v30
	v_bfrev_b32_e32 v38, 60
	v_and_b32_e32 v34, 0x700000, v34
	v_and_b32_e32 v35, 0x80000000, v35
	v_lshl_add_u32 v36, v36, 23, v38
	v_or3_b32 v34, v35, v36, v34
	v_lshrrev_b32_e32 v38, 16, v34
.LBB697_110:
	s_or_b64 exec, exec, s[20:21]
.LBB697_111:
	s_or_b64 exec, exec, s[10:11]
.LBB697_112:
	s_or_b64 exec, exec, s[2:3]
	v_lshrrev_b16_e32 v34, 8, v30
	v_cmp_ne_u16_e32 vcc, 0, v34
	s_and_saveexec_b64 s[2:3], vcc
	s_cbranch_execz .LBB697_118
; %bb.113:
	s_movk_i32 s9, 0x80
	v_cmp_ne_u16_e32 vcc, s9, v34
	v_mov_b32_e32 v37, 0xffff8000
	s_and_saveexec_b64 s[10:11], vcc
	s_cbranch_execz .LBB697_117
; %bb.114:
	s_movk_i32 s9, 0x7f
	v_and_b32_e32 v35, 0x7f, v34
	v_cmp_ne_u32_e32 vcc, s9, v35
	v_mov_b32_e32 v37, 0x7f80
	s_and_saveexec_b64 s[20:21], vcc
	s_cbranch_execz .LBB697_116
; %bb.115:
	v_and_b32_e32 v39, 7, v34
	v_ffbh_u32_e32 v36, v39
	v_min_u32_e32 v41, 32, v36
	v_subrev_u32_e32 v36, 28, v41
	v_lshlrev_b64 v[36:37], v36, v[34:35]
	v_lshrrev_b32_e32 v40, 3, v35
	v_sub_u32_e32 v34, 29, v41
	v_and_b32_e32 v36, 7, v36
	v_cmp_gt_u32_e32 vcc, 8, v35
	v_cndmask_b32_e32 v34, v40, v34, vcc
	v_cndmask_b32_e32 v35, v39, v36, vcc
	v_lshlrev_b32_e32 v36, 16, v30
	v_bfrev_b32_e32 v37, 60
	v_lshlrev_b32_e32 v35, 20, v35
	v_and_b32_e32 v36, 0x80000000, v36
	v_lshl_add_u32 v34, v34, 23, v37
	v_or3_b32 v34, v36, v34, v35
	v_lshrrev_b32_e32 v37, 16, v34
.LBB697_116:
	s_or_b64 exec, exec, s[20:21]
.LBB697_117:
	s_or_b64 exec, exec, s[10:11]
.LBB697_118:
	s_or_b64 exec, exec, s[2:3]
	s_movk_i32 s2, 0xff
	v_and_b32_sdwa v36, v30, s2 dst_sel:DWORD dst_unused:UNUSED_PAD src0_sel:WORD_1 src1_sel:DWORD
	v_lshrrev_b32_e32 v34, 16, v30
	v_cmp_ne_u16_e32 vcc, 0, v36
	v_mov_b32_e32 v35, 0
	v_mov_b32_e32 v39, 0
	s_and_saveexec_b64 s[2:3], vcc
	s_cbranch_execz .LBB697_124
; %bb.119:
	s_movk_i32 s9, 0x80
	v_cmp_ne_u16_e32 vcc, s9, v36
	v_mov_b32_e32 v39, 0xffff8000
	s_and_saveexec_b64 s[10:11], vcc
	s_cbranch_execz .LBB697_123
; %bb.120:
	v_bfe_u32 v36, v30, 16, 7
	s_movk_i32 s9, 0x7f
	v_cmp_ne_u32_e32 vcc, s9, v36
	v_mov_b32_e32 v39, 0x7f80
	s_and_saveexec_b64 s[20:21], vcc
	s_cbranch_execz .LBB697_122
; %bb.121:
	v_and_b32_e32 v39, 7, v34
	v_ffbh_u32_e32 v40, v39
	v_min_u32_e32 v46, 32, v40
	v_subrev_u32_e32 v40, 28, v46
	v_lshlrev_b64 v[40:41], v40, v[34:35]
	v_and_b32_e32 v40, 7, v40
	v_cmp_gt_u32_e32 vcc, 8, v36
	v_lshrrev_b32_e32 v45, 3, v36
	v_sub_u32_e32 v34, 29, v46
	v_cndmask_b32_e32 v36, v39, v40, vcc
	v_mov_b32_e32 v39, 24
	v_cndmask_b32_e32 v34, v45, v34, vcc
	v_lshlrev_b32_sdwa v39, v39, v30 dst_sel:DWORD dst_unused:UNUSED_PAD src0_sel:DWORD src1_sel:WORD_1
	v_bfrev_b32_e32 v40, 60
	v_lshlrev_b32_e32 v36, 20, v36
	v_and_b32_e32 v39, 0x80000000, v39
	v_lshl_add_u32 v34, v34, 23, v40
	v_or3_b32 v34, v39, v34, v36
	v_lshrrev_b32_e32 v39, 16, v34
.LBB697_122:
	s_or_b64 exec, exec, s[20:21]
.LBB697_123:
	s_or_b64 exec, exec, s[10:11]
.LBB697_124:
	s_or_b64 exec, exec, s[2:3]
	s_mov_b32 s2, 0xffffff
	v_cmp_lt_u32_e32 vcc, s2, v30
	v_mov_b32_e32 v40, 0
	s_and_saveexec_b64 s[2:3], vcc
	s_cbranch_execz .LBB697_130
; %bb.125:
	v_lshrrev_b32_e32 v34, 24, v30
	s_movk_i32 s9, 0x80
	v_cmp_ne_u32_e32 vcc, s9, v34
	v_mov_b32_e32 v40, 0xffff8000
	s_and_saveexec_b64 s[10:11], vcc
	s_cbranch_execz .LBB697_129
; %bb.126:
	v_bfe_u32 v36, v30, 24, 7
	s_movk_i32 s9, 0x7f
	v_cmp_ne_u32_e32 vcc, s9, v36
	v_mov_b32_e32 v40, 0x7f80
	s_and_saveexec_b64 s[20:21], vcc
	s_cbranch_execz .LBB697_128
; %bb.127:
	v_and_b32_e32 v45, 7, v34
	v_ffbh_u32_e32 v40, v45
	v_min_u32_e32 v47, 32, v40
	v_subrev_u32_e32 v40, 28, v47
	v_lshlrev_b64 v[40:41], v40, v[34:35]
	v_lshrrev_b32_e32 v46, 3, v36
	v_sub_u32_e32 v41, 29, v47
	v_and_b32_e32 v40, 7, v40
	v_cmp_gt_u32_e32 vcc, 8, v36
	v_cndmask_b32_e32 v36, v46, v41, vcc
	v_cndmask_b32_e32 v40, v45, v40, vcc
	v_lshlrev_b32_e32 v34, 24, v34
	v_bfrev_b32_e32 v41, 60
	v_lshlrev_b32_e32 v40, 20, v40
	v_and_b32_e32 v34, 0x80000000, v34
	v_lshl_add_u32 v36, v36, 23, v41
	v_or3_b32 v34, v34, v36, v40
	v_lshrrev_b32_e32 v40, 16, v34
.LBB697_128:
	s_or_b64 exec, exec, s[20:21]
.LBB697_129:
	s_or_b64 exec, exec, s[10:11]
.LBB697_130:
	s_or_b64 exec, exec, s[2:3]
	v_mov_b32_e32 v41, 0
	v_mov_b32_e32 v34, v31
	v_cmp_ne_u16_sdwa s[10:11], v31, v41 src0_sel:BYTE_0 src1_sel:DWORD
	v_mov_b32_e32 v45, 0
	s_and_saveexec_b64 s[2:3], s[10:11]
	s_cbranch_execz .LBB697_136
; %bb.131:
	s_movk_i32 s9, 0x80
	v_cmp_ne_u16_sdwa s[20:21], v31, s9 src0_sel:BYTE_0 src1_sel:DWORD
	v_mov_b32_e32 v45, 0xffff8000
	s_and_saveexec_b64 s[10:11], s[20:21]
	s_cbranch_execz .LBB697_135
; %bb.132:
	s_movk_i32 s9, 0x7f
	v_and_b32_e32 v36, 0x7f, v31
	v_cmp_ne_u32_e32 vcc, s9, v36
	v_mov_b32_e32 v45, 0x7f80
	s_and_saveexec_b64 s[20:21], vcc
	s_cbranch_execz .LBB697_134
; %bb.133:
	v_and_b32_e32 v45, 7, v31
	v_ffbh_u32_e32 v45, v45
	v_min_u32_e32 v45, 32, v45
	v_lshrrev_b32_e32 v46, 3, v36
	v_subrev_u32_e32 v47, 28, v45
	v_sub_u32_e32 v45, 29, v45
	v_cmp_gt_u32_e32 vcc, 8, v36
	v_cndmask_b32_e32 v36, v46, v45, vcc
	v_cndmask_b32_e32 v45, 0, v47, vcc
	v_lshlrev_b64 v[46:47], v45, v[34:35]
	v_lshlrev_b32_e32 v35, 20, v46
	v_lshlrev_b32_e32 v45, 24, v34
	v_bfrev_b32_e32 v46, 60
	v_and_b32_e32 v35, 0x700000, v35
	v_and_b32_e32 v45, 0x80000000, v45
	v_lshl_add_u32 v36, v36, 23, v46
	v_or3_b32 v35, v45, v36, v35
	v_lshrrev_b32_e32 v45, 16, v35
.LBB697_134:
	s_or_b64 exec, exec, s[20:21]
.LBB697_135:
	s_or_b64 exec, exec, s[10:11]
.LBB697_136:
	s_or_b64 exec, exec, s[2:3]
	v_lshrrev_b16_e32 v36, 8, v34
	v_cmp_ne_u16_e32 vcc, 0, v36
	s_and_saveexec_b64 s[2:3], vcc
	s_cbranch_execz .LBB697_142
; %bb.137:
	s_movk_i32 s9, 0x80
	v_cmp_ne_u16_e32 vcc, s9, v36
	v_mov_b32_e32 v41, 0xffff8000
	s_and_saveexec_b64 s[10:11], vcc
	s_cbranch_execz .LBB697_141
; %bb.138:
	s_movk_i32 s9, 0x7f
	v_and_b32_e32 v35, 0x7f, v36
	v_cmp_ne_u32_e32 vcc, s9, v35
	v_mov_b32_e32 v41, 0x7f80
	s_and_saveexec_b64 s[20:21], vcc
	s_cbranch_execz .LBB697_140
; %bb.139:
	v_and_b32_e32 v41, 7, v36
	v_ffbh_u32_e32 v46, v41
	v_min_u32_e32 v49, 32, v46
	v_subrev_u32_e32 v46, 28, v49
	v_lshlrev_b64 v[46:47], v46, v[36:37]
	v_lshrrev_b32_e32 v48, 3, v35
	v_sub_u32_e32 v36, 29, v49
	v_and_b32_e32 v46, 7, v46
	v_cmp_gt_u32_e32 vcc, 8, v35
	v_cndmask_b32_e32 v35, v48, v36, vcc
	v_cndmask_b32_e32 v36, v41, v46, vcc
	v_lshlrev_b32_e32 v34, 16, v34
	v_bfrev_b32_e32 v41, 60
	v_lshlrev_b32_e32 v36, 20, v36
	v_and_b32_e32 v34, 0x80000000, v34
	v_lshl_add_u32 v35, v35, 23, v41
	v_or3_b32 v34, v34, v35, v36
	v_lshrrev_b32_e32 v41, 16, v34
.LBB697_140:
	s_or_b64 exec, exec, s[20:21]
.LBB697_141:
	s_or_b64 exec, exec, s[10:11]
.LBB697_142:
	s_or_b64 exec, exec, s[2:3]
	s_movk_i32 s2, 0xff
	v_and_b32_sdwa v46, v31, s2 dst_sel:DWORD dst_unused:UNUSED_PAD src0_sel:WORD_1 src1_sel:DWORD
	v_lshrrev_b32_e32 v34, 16, v31
	v_cmp_ne_u16_e32 vcc, 0, v46
	v_mov_b32_e32 v35, 0
	v_mov_b32_e32 v36, 0
	s_and_saveexec_b64 s[2:3], vcc
	s_cbranch_execz .LBB697_148
; %bb.143:
	s_movk_i32 s9, 0x80
	v_cmp_ne_u16_e32 vcc, s9, v46
	v_mov_b32_e32 v36, 0xffff8000
	s_and_saveexec_b64 s[10:11], vcc
	s_cbranch_execz .LBB697_147
; %bb.144:
	v_bfe_u32 v46, v31, 16, 7
	s_movk_i32 s9, 0x7f
	v_cmp_ne_u32_e32 vcc, s9, v46
	v_mov_b32_e32 v36, 0x7f80
	s_and_saveexec_b64 s[20:21], vcc
	s_cbranch_execz .LBB697_146
; %bb.145:
	v_and_b32_e32 v36, 7, v34
	v_ffbh_u32_e32 v48, v36
	v_min_u32_e32 v50, 32, v48
	v_subrev_u32_e32 v48, 28, v50
	v_lshlrev_b64 v[48:49], v48, v[34:35]
	v_lshrrev_b32_e32 v47, 3, v46
	v_sub_u32_e32 v34, 29, v50
	v_and_b32_e32 v48, 7, v48
	v_cmp_gt_u32_e32 vcc, 8, v46
	v_mov_b32_e32 v46, 24
	v_cndmask_b32_e32 v34, v47, v34, vcc
	v_cndmask_b32_e32 v36, v36, v48, vcc
	v_lshlrev_b32_sdwa v46, v46, v31 dst_sel:DWORD dst_unused:UNUSED_PAD src0_sel:DWORD src1_sel:WORD_1
	v_bfrev_b32_e32 v47, 60
	v_lshlrev_b32_e32 v36, 20, v36
	v_and_b32_e32 v46, 0x80000000, v46
	v_lshl_add_u32 v34, v34, 23, v47
	v_or3_b32 v34, v46, v34, v36
	v_lshrrev_b32_e32 v36, 16, v34
.LBB697_146:
	s_or_b64 exec, exec, s[20:21]
.LBB697_147:
	s_or_b64 exec, exec, s[10:11]
.LBB697_148:
	s_or_b64 exec, exec, s[2:3]
	s_mov_b32 s2, -1
	s_mov_b32 s3, 0xffffff
	v_cmp_lt_u64_e32 vcc, s[2:3], v[30:31]
	s_and_saveexec_b64 s[2:3], vcc
	s_cbranch_execz .LBB697_154
; %bb.149:
	v_lshrrev_b32_e32 v30, 24, v31
	s_movk_i32 s9, 0x80
	v_cmp_ne_u32_e32 vcc, s9, v30
	v_mov_b32_e32 v35, 0xffff8000
	s_and_saveexec_b64 s[10:11], vcc
	s_cbranch_execz .LBB697_153
; %bb.150:
	v_bfe_u32 v31, v31, 24, 7
	s_movk_i32 s9, 0x7f
	v_cmp_ne_u32_e32 vcc, s9, v31
	v_mov_b32_e32 v35, 0x7f80
	s_and_saveexec_b64 s[20:21], vcc
	s_cbranch_execz .LBB697_152
; %bb.151:
	v_and_b32_e32 v46, 7, v30
	v_ffbh_u32_e32 v34, v46
	v_min_u32_e32 v48, 32, v34
	v_subrev_u32_e32 v34, 28, v48
	v_lshlrev_b64 v[34:35], v34, v[30:31]
	v_lshrrev_b32_e32 v47, 3, v31
	v_sub_u32_e32 v35, 29, v48
	v_and_b32_e32 v34, 7, v34
	v_cmp_gt_u32_e32 vcc, 8, v31
	v_cndmask_b32_e32 v31, v47, v35, vcc
	v_cndmask_b32_e32 v34, v46, v34, vcc
	v_lshlrev_b32_e32 v30, 24, v30
	v_bfrev_b32_e32 v35, 60
	v_lshlrev_b32_e32 v34, 20, v34
	v_and_b32_e32 v30, 0x80000000, v30
	v_lshl_add_u32 v31, v31, 23, v35
	v_or3_b32 v30, v30, v31, v34
	v_lshrrev_b32_e32 v35, 16, v30
.LBB697_152:
	s_or_b64 exec, exec, s[20:21]
.LBB697_153:
	s_or_b64 exec, exec, s[10:11]
.LBB697_154:
	s_or_b64 exec, exec, s[2:3]
	s_mov_b32 s2, 0x5040100
	v_perm_b32 v31, v40, v39, s2
	v_perm_b32 v30, v37, v38, s2
	;; [unrolled: 1-line block ×4, first 2 shown]
	v_mfma_f32_4x4x4bf16_1k a[0:3], v[18:19], v[30:31], a[0:3] cbsz:4 abid:2
	v_mov_b32_e32 v36, 0
	v_mfma_f32_4x4x4bf16_1k a[0:3], v[20:21], v[34:35], a[0:3] cbsz:4 abid:2
	v_mov_b32_e32 v35, 0
	v_cmp_ne_u16_sdwa s[10:11], v32, v35 src0_sel:BYTE_0 src1_sel:DWORD
	s_and_saveexec_b64 s[2:3], s[10:11]
	s_cbranch_execz .LBB697_160
; %bb.155:
	s_movk_i32 s9, 0x80
	v_cmp_ne_u16_sdwa s[20:21], v32, s9 src0_sel:BYTE_0 src1_sel:DWORD
	v_mov_b32_e32 v36, 0xffff8000
	s_and_saveexec_b64 s[10:11], s[20:21]
	s_cbranch_execz .LBB697_159
; %bb.156:
	s_movk_i32 s9, 0x7f
	v_and_b32_e32 v30, 0x7f, v32
	v_cmp_ne_u32_e32 vcc, s9, v30
	v_mov_b32_e32 v36, 0x7f80
	s_and_saveexec_b64 s[20:21], vcc
	s_cbranch_execz .LBB697_158
; %bb.157:
	v_and_b32_e32 v31, 7, v32
	v_ffbh_u32_e32 v31, v31
	v_min_u32_e32 v31, 32, v31
	v_subrev_u32_e32 v36, 28, v31
	v_cmp_gt_u32_e32 vcc, 8, v30
	v_lshrrev_b32_e32 v34, 3, v30
	v_sub_u32_e32 v31, 29, v31
	v_cndmask_b32_e32 v30, 0, v36, vcc
	v_cndmask_b32_e32 v34, v34, v31, vcc
	v_lshlrev_b64 v[30:31], v30, v[32:33]
	v_lshlrev_b32_e32 v30, 20, v30
	v_lshlrev_b32_e32 v31, 24, v32
	v_bfrev_b32_e32 v36, 60
	v_and_b32_e32 v30, 0x700000, v30
	v_and_b32_e32 v31, 0x80000000, v31
	v_lshl_add_u32 v34, v34, 23, v36
	v_or3_b32 v30, v31, v34, v30
	v_lshrrev_b32_e32 v36, 16, v30
.LBB697_158:
	s_or_b64 exec, exec, s[20:21]
.LBB697_159:
	s_or_b64 exec, exec, s[10:11]
.LBB697_160:
	s_or_b64 exec, exec, s[2:3]
	v_lshrrev_b16_e32 v30, 8, v32
	v_cmp_ne_u16_e32 vcc, 0, v30
	s_and_saveexec_b64 s[2:3], vcc
	s_cbranch_execz .LBB697_166
; %bb.161:
	s_movk_i32 s9, 0x80
	v_cmp_ne_u16_e32 vcc, s9, v30
	v_mov_b32_e32 v35, 0xffff8000
	s_and_saveexec_b64 s[10:11], vcc
	s_cbranch_execz .LBB697_165
; %bb.162:
	s_movk_i32 s9, 0x7f
	v_and_b32_e32 v31, 0x7f, v30
	v_cmp_ne_u32_e32 vcc, s9, v31
	v_mov_b32_e32 v35, 0x7f80
	s_and_saveexec_b64 s[20:21], vcc
	s_cbranch_execz .LBB697_164
; %bb.163:
	v_and_b32_e32 v37, 7, v30
	v_ffbh_u32_e32 v34, v37
	v_min_u32_e32 v39, 32, v34
	v_subrev_u32_e32 v34, 28, v39
	v_lshlrev_b64 v[34:35], v34, v[30:31]
	v_lshrrev_b32_e32 v38, 3, v31
	v_sub_u32_e32 v30, 29, v39
	v_and_b32_e32 v34, 7, v34
	v_cmp_gt_u32_e32 vcc, 8, v31
	v_cndmask_b32_e32 v30, v38, v30, vcc
	v_cndmask_b32_e32 v31, v37, v34, vcc
	v_lshlrev_b32_e32 v34, 16, v32
	v_bfrev_b32_e32 v35, 60
	v_lshlrev_b32_e32 v31, 20, v31
	v_and_b32_e32 v34, 0x80000000, v34
	v_lshl_add_u32 v30, v30, 23, v35
	v_or3_b32 v30, v34, v30, v31
	v_lshrrev_b32_e32 v35, 16, v30
.LBB697_164:
	s_or_b64 exec, exec, s[20:21]
.LBB697_165:
	s_or_b64 exec, exec, s[10:11]
.LBB697_166:
	s_or_b64 exec, exec, s[2:3]
	s_movk_i32 s2, 0xff
	v_and_b32_sdwa v34, v32, s2 dst_sel:DWORD dst_unused:UNUSED_PAD src0_sel:WORD_1 src1_sel:DWORD
	v_lshrrev_b32_e32 v30, 16, v32
	v_cmp_ne_u16_e32 vcc, 0, v34
	v_mov_b32_e32 v31, 0
	v_mov_b32_e32 v37, 0
	s_and_saveexec_b64 s[2:3], vcc
	s_cbranch_execz .LBB697_172
; %bb.167:
	s_movk_i32 s9, 0x80
	v_cmp_ne_u16_e32 vcc, s9, v34
	v_mov_b32_e32 v37, 0xffff8000
	s_and_saveexec_b64 s[10:11], vcc
	s_cbranch_execz .LBB697_171
; %bb.168:
	v_bfe_u32 v34, v32, 16, 7
	s_movk_i32 s9, 0x7f
	v_cmp_ne_u32_e32 vcc, s9, v34
	v_mov_b32_e32 v37, 0x7f80
	s_and_saveexec_b64 s[20:21], vcc
	s_cbranch_execz .LBB697_170
; %bb.169:
	v_and_b32_e32 v37, 7, v30
	v_ffbh_u32_e32 v38, v37
	v_min_u32_e32 v41, 32, v38
	v_subrev_u32_e32 v38, 28, v41
	v_lshlrev_b64 v[38:39], v38, v[30:31]
	v_and_b32_e32 v38, 7, v38
	v_cmp_gt_u32_e32 vcc, 8, v34
	v_lshrrev_b32_e32 v40, 3, v34
	v_sub_u32_e32 v30, 29, v41
	v_cndmask_b32_e32 v34, v37, v38, vcc
	v_mov_b32_e32 v37, 24
	v_cndmask_b32_e32 v30, v40, v30, vcc
	v_lshlrev_b32_sdwa v37, v37, v32 dst_sel:DWORD dst_unused:UNUSED_PAD src0_sel:DWORD src1_sel:WORD_1
	v_bfrev_b32_e32 v38, 60
	v_lshlrev_b32_e32 v34, 20, v34
	v_and_b32_e32 v37, 0x80000000, v37
	v_lshl_add_u32 v30, v30, 23, v38
	v_or3_b32 v30, v37, v30, v34
	v_lshrrev_b32_e32 v37, 16, v30
.LBB697_170:
	s_or_b64 exec, exec, s[20:21]
.LBB697_171:
	s_or_b64 exec, exec, s[10:11]
.LBB697_172:
	s_or_b64 exec, exec, s[2:3]
	s_mov_b32 s2, 0xffffff
	v_cmp_lt_u32_e32 vcc, s2, v32
	v_mov_b32_e32 v38, 0
	s_and_saveexec_b64 s[2:3], vcc
	s_cbranch_execz .LBB697_178
; %bb.173:
	v_lshrrev_b32_e32 v30, 24, v32
	s_movk_i32 s9, 0x80
	v_cmp_ne_u32_e32 vcc, s9, v30
	v_mov_b32_e32 v38, 0xffff8000
	s_and_saveexec_b64 s[10:11], vcc
	s_cbranch_execz .LBB697_177
; %bb.174:
	v_bfe_u32 v34, v32, 24, 7
	s_movk_i32 s9, 0x7f
	v_cmp_ne_u32_e32 vcc, s9, v34
	v_mov_b32_e32 v38, 0x7f80
	s_and_saveexec_b64 s[20:21], vcc
	s_cbranch_execz .LBB697_176
; %bb.175:
	v_and_b32_e32 v40, 7, v30
	v_ffbh_u32_e32 v38, v40
	v_min_u32_e32 v45, 32, v38
	v_subrev_u32_e32 v38, 28, v45
	v_lshlrev_b64 v[38:39], v38, v[30:31]
	v_lshrrev_b32_e32 v41, 3, v34
	v_sub_u32_e32 v39, 29, v45
	v_and_b32_e32 v38, 7, v38
	v_cmp_gt_u32_e32 vcc, 8, v34
	v_cndmask_b32_e32 v34, v41, v39, vcc
	v_cndmask_b32_e32 v38, v40, v38, vcc
	v_lshlrev_b32_e32 v30, 24, v30
	v_bfrev_b32_e32 v39, 60
	v_lshlrev_b32_e32 v38, 20, v38
	v_and_b32_e32 v30, 0x80000000, v30
	v_lshl_add_u32 v34, v34, 23, v39
	v_or3_b32 v30, v30, v34, v38
	v_lshrrev_b32_e32 v38, 16, v30
.LBB697_176:
	s_or_b64 exec, exec, s[20:21]
.LBB697_177:
	s_or_b64 exec, exec, s[10:11]
.LBB697_178:
	s_or_b64 exec, exec, s[2:3]
	v_mov_b32_e32 v39, 0
	v_mov_b32_e32 v30, v33
	v_cmp_ne_u16_sdwa s[10:11], v33, v39 src0_sel:BYTE_0 src1_sel:DWORD
	v_mov_b32_e32 v40, 0
	s_and_saveexec_b64 s[2:3], s[10:11]
	s_cbranch_execz .LBB697_184
; %bb.179:
	s_movk_i32 s9, 0x80
	v_cmp_ne_u16_sdwa s[20:21], v33, s9 src0_sel:BYTE_0 src1_sel:DWORD
	v_mov_b32_e32 v40, 0xffff8000
	s_and_saveexec_b64 s[10:11], s[20:21]
	s_cbranch_execz .LBB697_183
; %bb.180:
	s_movk_i32 s9, 0x7f
	v_and_b32_e32 v34, 0x7f, v33
	v_cmp_ne_u32_e32 vcc, s9, v34
	v_mov_b32_e32 v40, 0x7f80
	s_and_saveexec_b64 s[20:21], vcc
	s_cbranch_execz .LBB697_182
; %bb.181:
	v_and_b32_e32 v40, 7, v33
	v_ffbh_u32_e32 v40, v40
	v_min_u32_e32 v40, 32, v40
	v_lshrrev_b32_e32 v41, 3, v34
	v_subrev_u32_e32 v45, 28, v40
	v_sub_u32_e32 v40, 29, v40
	v_cmp_gt_u32_e32 vcc, 8, v34
	v_cndmask_b32_e32 v34, v41, v40, vcc
	v_cndmask_b32_e32 v40, 0, v45, vcc
	v_lshlrev_b64 v[40:41], v40, v[30:31]
	v_lshlrev_b32_e32 v31, 20, v40
	v_lshlrev_b32_e32 v40, 24, v30
	v_bfrev_b32_e32 v41, 60
	v_and_b32_e32 v31, 0x700000, v31
	v_and_b32_e32 v40, 0x80000000, v40
	v_lshl_add_u32 v34, v34, 23, v41
	v_or3_b32 v31, v40, v34, v31
	v_lshrrev_b32_e32 v40, 16, v31
.LBB697_182:
	s_or_b64 exec, exec, s[20:21]
.LBB697_183:
	s_or_b64 exec, exec, s[10:11]
.LBB697_184:
	s_or_b64 exec, exec, s[2:3]
	v_lshrrev_b16_e32 v34, 8, v30
	v_cmp_ne_u16_e32 vcc, 0, v34
	s_and_saveexec_b64 s[2:3], vcc
	s_cbranch_execz .LBB697_190
; %bb.185:
	s_movk_i32 s9, 0x80
	v_cmp_ne_u16_e32 vcc, s9, v34
	v_mov_b32_e32 v39, 0xffff8000
	s_and_saveexec_b64 s[10:11], vcc
	s_cbranch_execz .LBB697_189
; %bb.186:
	s_movk_i32 s9, 0x7f
	v_and_b32_e32 v31, 0x7f, v34
	v_cmp_ne_u32_e32 vcc, s9, v31
	v_mov_b32_e32 v39, 0x7f80
	s_and_saveexec_b64 s[20:21], vcc
	s_cbranch_execz .LBB697_188
; %bb.187:
	v_and_b32_e32 v39, 7, v34
	v_ffbh_u32_e32 v45, v39
	v_min_u32_e32 v45, 32, v45
	v_subrev_u32_e32 v46, 28, v45
	v_lshlrev_b64 v[46:47], v46, v[34:35]
	v_lshrrev_b32_e32 v41, 3, v31
	v_sub_u32_e32 v34, 29, v45
	v_and_b32_e32 v45, 7, v46
	v_cmp_gt_u32_e32 vcc, 8, v31
	v_cndmask_b32_e32 v31, v41, v34, vcc
	v_cndmask_b32_e32 v34, v39, v45, vcc
	v_lshlrev_b32_e32 v30, 16, v30
	v_bfrev_b32_e32 v39, 60
	v_lshlrev_b32_e32 v34, 20, v34
	v_and_b32_e32 v30, 0x80000000, v30
	v_lshl_add_u32 v31, v31, 23, v39
	v_or3_b32 v30, v30, v31, v34
	v_lshrrev_b32_e32 v39, 16, v30
.LBB697_188:
	s_or_b64 exec, exec, s[20:21]
.LBB697_189:
	s_or_b64 exec, exec, s[10:11]
.LBB697_190:
	s_or_b64 exec, exec, s[2:3]
	s_movk_i32 s2, 0xff
	v_and_b32_sdwa v41, v33, s2 dst_sel:DWORD dst_unused:UNUSED_PAD src0_sel:WORD_1 src1_sel:DWORD
	v_lshrrev_b32_e32 v30, 16, v33
	v_cmp_ne_u16_e32 vcc, 0, v41
	v_mov_b32_e32 v31, 0
	v_mov_b32_e32 v34, 0
	s_and_saveexec_b64 s[2:3], vcc
	s_cbranch_execz .LBB697_196
; %bb.191:
	s_movk_i32 s9, 0x80
	v_cmp_ne_u16_e32 vcc, s9, v41
	v_mov_b32_e32 v34, 0xffff8000
	s_and_saveexec_b64 s[10:11], vcc
	s_cbranch_execz .LBB697_195
; %bb.192:
	v_bfe_u32 v41, v33, 16, 7
	s_movk_i32 s9, 0x7f
	v_cmp_ne_u32_e32 vcc, s9, v41
	v_mov_b32_e32 v34, 0x7f80
	s_and_saveexec_b64 s[20:21], vcc
	s_cbranch_execz .LBB697_194
; %bb.193:
	v_and_b32_e32 v34, 7, v30
	v_ffbh_u32_e32 v46, v34
	v_min_u32_e32 v48, 32, v46
	v_subrev_u32_e32 v46, 28, v48
	v_lshlrev_b64 v[46:47], v46, v[30:31]
	v_lshrrev_b32_e32 v45, 3, v41
	v_sub_u32_e32 v30, 29, v48
	v_and_b32_e32 v46, 7, v46
	v_cmp_gt_u32_e32 vcc, 8, v41
	v_mov_b32_e32 v41, 24
	v_cndmask_b32_e32 v30, v45, v30, vcc
	v_cndmask_b32_e32 v34, v34, v46, vcc
	v_lshlrev_b32_sdwa v41, v41, v33 dst_sel:DWORD dst_unused:UNUSED_PAD src0_sel:DWORD src1_sel:WORD_1
	v_bfrev_b32_e32 v45, 60
	v_lshlrev_b32_e32 v34, 20, v34
	v_and_b32_e32 v41, 0x80000000, v41
	v_lshl_add_u32 v30, v30, 23, v45
	v_or3_b32 v30, v41, v30, v34
	v_lshrrev_b32_e32 v34, 16, v30
.LBB697_194:
	s_or_b64 exec, exec, s[20:21]
.LBB697_195:
	s_or_b64 exec, exec, s[10:11]
.LBB697_196:
	s_or_b64 exec, exec, s[2:3]
	s_mov_b32 s2, -1
	s_mov_b32 s3, 0xffffff
	v_cmp_lt_u64_e32 vcc, s[2:3], v[32:33]
	s_and_saveexec_b64 s[2:3], vcc
	s_cbranch_execz .LBB697_202
; %bb.197:
	v_lshrrev_b32_e32 v30, 24, v33
	s_movk_i32 s9, 0x80
	v_cmp_ne_u32_e32 vcc, s9, v30
	v_mov_b32_e32 v31, 0xffff8000
	s_and_saveexec_b64 s[10:11], vcc
	s_cbranch_execz .LBB697_201
; %bb.198:
	v_bfe_u32 v32, v33, 24, 7
	s_movk_i32 s9, 0x7f
	v_cmp_ne_u32_e32 vcc, s9, v32
	v_mov_b32_e32 v31, 0x7f80
	s_and_saveexec_b64 s[20:21], vcc
	s_cbranch_execz .LBB697_200
; %bb.199:
	v_and_b32_e32 v31, 7, v30
	v_ffbh_u32_e32 v41, v31
	v_min_u32_e32 v41, 32, v41
	v_subrev_u32_e32 v45, 28, v41
	v_lshlrev_b64 v[46:47], v45, v[30:31]
	v_lshrrev_b32_e32 v33, 3, v32
	v_sub_u32_e32 v41, 29, v41
	v_and_b32_e32 v45, 7, v46
	v_cmp_gt_u32_e32 vcc, 8, v32
	v_cndmask_b32_e32 v32, v33, v41, vcc
	v_cndmask_b32_e32 v31, v31, v45, vcc
	v_lshlrev_b32_e32 v30, 24, v30
	v_bfrev_b32_e32 v33, 60
	v_lshlrev_b32_e32 v31, 20, v31
	v_and_b32_e32 v30, 0x80000000, v30
	v_lshl_add_u32 v32, v32, 23, v33
	v_or3_b32 v30, v30, v32, v31
	v_lshrrev_b32_e32 v31, 16, v30
.LBB697_200:
	s_or_b64 exec, exec, s[20:21]
.LBB697_201:
	s_or_b64 exec, exec, s[10:11]
.LBB697_202:
	s_or_b64 exec, exec, s[2:3]
	s_mov_b32 s2, 0x5040100
	v_perm_b32 v33, v38, v37, s2
	v_perm_b32 v32, v35, v36, s2
	v_perm_b32 v31, v31, v34, s2
	v_perm_b32 v30, v39, v40, s2
	v_mfma_f32_4x4x4bf16_1k a[0:3], v[18:19], v[32:33], a[0:3] cbsz:4 abid:3
	v_mov_b32_e32 v33, 0
	v_mfma_f32_4x4x4bf16_1k a[0:3], v[20:21], v[30:31], a[0:3] cbsz:4 abid:3
	s_waitcnt vmcnt(5)
	v_cmp_ne_u16_sdwa s[10:11], v26, v33 src0_sel:BYTE_0 src1_sel:DWORD
	v_mov_b32_e32 v34, 0
	s_and_saveexec_b64 s[2:3], s[10:11]
	s_cbranch_execz .LBB697_208
; %bb.203:
	s_movk_i32 s9, 0x80
	v_cmp_ne_u16_sdwa s[20:21], v26, s9 src0_sel:BYTE_0 src1_sel:DWORD
	v_mov_b32_e32 v34, 0xffff8000
	s_and_saveexec_b64 s[10:11], s[20:21]
	s_cbranch_execz .LBB697_207
; %bb.204:
	s_movk_i32 s9, 0x7f
	v_and_b32_e32 v30, 0x7f, v26
	v_cmp_ne_u32_e32 vcc, s9, v30
	v_mov_b32_e32 v34, 0x7f80
	s_and_saveexec_b64 s[20:21], vcc
	s_cbranch_execz .LBB697_206
; %bb.205:
	v_and_b32_e32 v31, 7, v26
	v_ffbh_u32_e32 v31, v31
	v_min_u32_e32 v31, 32, v31
	v_subrev_u32_e32 v34, 28, v31
	v_cmp_gt_u32_e32 vcc, 8, v30
	v_lshrrev_b32_e32 v32, 3, v30
	v_sub_u32_e32 v31, 29, v31
	v_cndmask_b32_e32 v30, 0, v34, vcc
	v_cndmask_b32_e32 v32, v32, v31, vcc
	v_lshlrev_b64 v[30:31], v30, v[26:27]
	v_lshlrev_b32_e32 v30, 20, v30
	v_lshlrev_b32_e32 v31, 24, v26
	v_bfrev_b32_e32 v34, 60
	v_and_b32_e32 v30, 0x700000, v30
	v_and_b32_e32 v31, 0x80000000, v31
	v_lshl_add_u32 v32, v32, 23, v34
	v_or3_b32 v30, v31, v32, v30
	v_lshrrev_b32_e32 v34, 16, v30
.LBB697_206:
	s_or_b64 exec, exec, s[20:21]
.LBB697_207:
	s_or_b64 exec, exec, s[10:11]
.LBB697_208:
	s_or_b64 exec, exec, s[2:3]
	v_lshrrev_b16_e32 v30, 8, v26
	v_cmp_ne_u16_e32 vcc, 0, v30
	s_and_saveexec_b64 s[2:3], vcc
	s_cbranch_execz .LBB697_214
; %bb.209:
	s_movk_i32 s9, 0x80
	v_cmp_ne_u16_e32 vcc, s9, v30
	v_mov_b32_e32 v33, 0xffff8000
	s_and_saveexec_b64 s[10:11], vcc
	s_cbranch_execz .LBB697_213
; %bb.210:
	s_movk_i32 s9, 0x7f
	v_and_b32_e32 v31, 0x7f, v30
	v_cmp_ne_u32_e32 vcc, s9, v31
	v_mov_b32_e32 v33, 0x7f80
	s_and_saveexec_b64 s[20:21], vcc
	s_cbranch_execz .LBB697_212
; %bb.211:
	v_and_b32_e32 v35, 7, v30
	v_ffbh_u32_e32 v32, v35
	v_min_u32_e32 v37, 32, v32
	v_subrev_u32_e32 v32, 28, v37
	v_lshlrev_b64 v[32:33], v32, v[30:31]
	v_lshrrev_b32_e32 v36, 3, v31
	v_sub_u32_e32 v30, 29, v37
	v_and_b32_e32 v32, 7, v32
	v_cmp_gt_u32_e32 vcc, 8, v31
	v_cndmask_b32_e32 v30, v36, v30, vcc
	v_cndmask_b32_e32 v31, v35, v32, vcc
	v_lshlrev_b32_e32 v32, 16, v26
	v_bfrev_b32_e32 v33, 60
	v_lshlrev_b32_e32 v31, 20, v31
	v_and_b32_e32 v32, 0x80000000, v32
	v_lshl_add_u32 v30, v30, 23, v33
	v_or3_b32 v30, v32, v30, v31
	v_lshrrev_b32_e32 v33, 16, v30
.LBB697_212:
	s_or_b64 exec, exec, s[20:21]
.LBB697_213:
	s_or_b64 exec, exec, s[10:11]
.LBB697_214:
	s_or_b64 exec, exec, s[2:3]
	s_movk_i32 s2, 0xff
	v_and_b32_sdwa v32, v26, s2 dst_sel:DWORD dst_unused:UNUSED_PAD src0_sel:WORD_1 src1_sel:DWORD
	v_lshrrev_b32_e32 v30, 16, v26
	v_cmp_ne_u16_e32 vcc, 0, v32
	v_mov_b32_e32 v31, 0
	v_mov_b32_e32 v35, 0
	s_and_saveexec_b64 s[2:3], vcc
	s_cbranch_execz .LBB697_220
; %bb.215:
	s_movk_i32 s9, 0x80
	v_cmp_ne_u16_e32 vcc, s9, v32
	v_mov_b32_e32 v35, 0xffff8000
	s_and_saveexec_b64 s[10:11], vcc
	s_cbranch_execz .LBB697_219
; %bb.216:
	v_bfe_u32 v32, v26, 16, 7
	s_movk_i32 s9, 0x7f
	v_cmp_ne_u32_e32 vcc, s9, v32
	v_mov_b32_e32 v35, 0x7f80
	s_and_saveexec_b64 s[20:21], vcc
	s_cbranch_execz .LBB697_218
; %bb.217:
	v_and_b32_e32 v35, 7, v30
	v_ffbh_u32_e32 v36, v35
	v_min_u32_e32 v39, 32, v36
	v_subrev_u32_e32 v36, 28, v39
	v_lshlrev_b64 v[36:37], v36, v[30:31]
	v_and_b32_e32 v36, 7, v36
	v_cmp_gt_u32_e32 vcc, 8, v32
	v_lshrrev_b32_e32 v38, 3, v32
	v_sub_u32_e32 v30, 29, v39
	v_cndmask_b32_e32 v32, v35, v36, vcc
	v_mov_b32_e32 v35, 24
	v_cndmask_b32_e32 v30, v38, v30, vcc
	v_lshlrev_b32_sdwa v35, v35, v26 dst_sel:DWORD dst_unused:UNUSED_PAD src0_sel:DWORD src1_sel:WORD_1
	v_bfrev_b32_e32 v36, 60
	v_lshlrev_b32_e32 v32, 20, v32
	v_and_b32_e32 v35, 0x80000000, v35
	v_lshl_add_u32 v30, v30, 23, v36
	v_or3_b32 v30, v35, v30, v32
	v_lshrrev_b32_e32 v35, 16, v30
.LBB697_218:
	s_or_b64 exec, exec, s[20:21]
.LBB697_219:
	s_or_b64 exec, exec, s[10:11]
.LBB697_220:
	s_or_b64 exec, exec, s[2:3]
	s_mov_b32 s2, 0xffffff
	v_cmp_lt_u32_e32 vcc, s2, v26
	v_mov_b32_e32 v36, 0
	s_and_saveexec_b64 s[2:3], vcc
	s_cbranch_execz .LBB697_226
; %bb.221:
	v_lshrrev_b32_e32 v30, 24, v26
	s_movk_i32 s9, 0x80
	v_cmp_ne_u32_e32 vcc, s9, v30
	v_mov_b32_e32 v36, 0xffff8000
	s_and_saveexec_b64 s[10:11], vcc
	s_cbranch_execz .LBB697_225
; %bb.222:
	v_bfe_u32 v32, v26, 24, 7
	s_movk_i32 s9, 0x7f
	v_cmp_ne_u32_e32 vcc, s9, v32
	v_mov_b32_e32 v36, 0x7f80
	s_and_saveexec_b64 s[20:21], vcc
	s_cbranch_execz .LBB697_224
; %bb.223:
	v_and_b32_e32 v38, 7, v30
	v_ffbh_u32_e32 v36, v38
	v_min_u32_e32 v40, 32, v36
	v_subrev_u32_e32 v36, 28, v40
	v_lshlrev_b64 v[36:37], v36, v[30:31]
	v_lshrrev_b32_e32 v39, 3, v32
	v_sub_u32_e32 v37, 29, v40
	v_and_b32_e32 v36, 7, v36
	v_cmp_gt_u32_e32 vcc, 8, v32
	v_cndmask_b32_e32 v32, v39, v37, vcc
	v_cndmask_b32_e32 v36, v38, v36, vcc
	v_lshlrev_b32_e32 v30, 24, v30
	v_bfrev_b32_e32 v37, 60
	v_lshlrev_b32_e32 v36, 20, v36
	v_and_b32_e32 v30, 0x80000000, v30
	v_lshl_add_u32 v32, v32, 23, v37
	v_or3_b32 v30, v30, v32, v36
	v_lshrrev_b32_e32 v36, 16, v30
.LBB697_224:
	s_or_b64 exec, exec, s[20:21]
.LBB697_225:
	s_or_b64 exec, exec, s[10:11]
.LBB697_226:
	s_or_b64 exec, exec, s[2:3]
	v_mov_b32_e32 v37, 0
	v_mov_b32_e32 v30, v27
	v_cmp_ne_u16_sdwa s[10:11], v27, v37 src0_sel:BYTE_0 src1_sel:DWORD
	v_mov_b32_e32 v38, 0
	s_and_saveexec_b64 s[2:3], s[10:11]
	s_cbranch_execz .LBB697_232
; %bb.227:
	s_movk_i32 s9, 0x80
	v_cmp_ne_u16_sdwa s[20:21], v27, s9 src0_sel:BYTE_0 src1_sel:DWORD
	v_mov_b32_e32 v38, 0xffff8000
	s_and_saveexec_b64 s[10:11], s[20:21]
	s_cbranch_execz .LBB697_231
; %bb.228:
	s_movk_i32 s9, 0x7f
	v_and_b32_e32 v32, 0x7f, v27
	v_cmp_ne_u32_e32 vcc, s9, v32
	v_mov_b32_e32 v38, 0x7f80
	s_and_saveexec_b64 s[20:21], vcc
	s_cbranch_execz .LBB697_230
; %bb.229:
	v_and_b32_e32 v38, 7, v27
	v_ffbh_u32_e32 v38, v38
	v_min_u32_e32 v38, 32, v38
	v_lshrrev_b32_e32 v39, 3, v32
	v_subrev_u32_e32 v40, 28, v38
	v_sub_u32_e32 v38, 29, v38
	v_cmp_gt_u32_e32 vcc, 8, v32
	v_cndmask_b32_e32 v32, v39, v38, vcc
	v_cndmask_b32_e32 v38, 0, v40, vcc
	v_lshlrev_b64 v[38:39], v38, v[30:31]
	v_lshlrev_b32_e32 v31, 20, v38
	v_lshlrev_b32_e32 v38, 24, v30
	v_bfrev_b32_e32 v39, 60
	v_and_b32_e32 v31, 0x700000, v31
	v_and_b32_e32 v38, 0x80000000, v38
	v_lshl_add_u32 v32, v32, 23, v39
	v_or3_b32 v31, v38, v32, v31
	v_lshrrev_b32_e32 v38, 16, v31
.LBB697_230:
	s_or_b64 exec, exec, s[20:21]
.LBB697_231:
	s_or_b64 exec, exec, s[10:11]
.LBB697_232:
	s_or_b64 exec, exec, s[2:3]
	v_lshrrev_b16_e32 v32, 8, v30
	v_cmp_ne_u16_e32 vcc, 0, v32
	s_and_saveexec_b64 s[2:3], vcc
	s_cbranch_execz .LBB697_238
; %bb.233:
	s_movk_i32 s9, 0x80
	v_cmp_ne_u16_e32 vcc, s9, v32
	v_mov_b32_e32 v37, 0xffff8000
	s_and_saveexec_b64 s[10:11], vcc
	s_cbranch_execz .LBB697_237
; %bb.234:
	s_movk_i32 s9, 0x7f
	v_and_b32_e32 v31, 0x7f, v32
	v_cmp_ne_u32_e32 vcc, s9, v31
	v_mov_b32_e32 v37, 0x7f80
	s_and_saveexec_b64 s[20:21], vcc
	s_cbranch_execz .LBB697_236
; %bb.235:
	v_and_b32_e32 v37, 7, v32
	v_ffbh_u32_e32 v40, v37
	v_min_u32_e32 v45, 32, v40
	v_subrev_u32_e32 v40, 28, v45
	v_lshlrev_b64 v[40:41], v40, v[32:33]
	v_lshrrev_b32_e32 v39, 3, v31
	v_sub_u32_e32 v32, 29, v45
	v_and_b32_e32 v40, 7, v40
	v_cmp_gt_u32_e32 vcc, 8, v31
	v_cndmask_b32_e32 v31, v39, v32, vcc
	v_cndmask_b32_e32 v32, v37, v40, vcc
	v_lshlrev_b32_e32 v30, 16, v30
	v_bfrev_b32_e32 v37, 60
	v_lshlrev_b32_e32 v32, 20, v32
	v_and_b32_e32 v30, 0x80000000, v30
	v_lshl_add_u32 v31, v31, 23, v37
	v_or3_b32 v30, v30, v31, v32
	v_lshrrev_b32_e32 v37, 16, v30
.LBB697_236:
	s_or_b64 exec, exec, s[20:21]
.LBB697_237:
	s_or_b64 exec, exec, s[10:11]
.LBB697_238:
	s_or_b64 exec, exec, s[2:3]
	s_movk_i32 s2, 0xff
	v_and_b32_sdwa v39, v27, s2 dst_sel:DWORD dst_unused:UNUSED_PAD src0_sel:WORD_1 src1_sel:DWORD
	v_lshrrev_b32_e32 v30, 16, v27
	v_cmp_ne_u16_e32 vcc, 0, v39
	v_mov_b32_e32 v31, 0
	v_mov_b32_e32 v32, 0
	s_and_saveexec_b64 s[2:3], vcc
	s_cbranch_execz .LBB697_244
; %bb.239:
	s_movk_i32 s9, 0x80
	v_cmp_ne_u16_e32 vcc, s9, v39
	v_mov_b32_e32 v32, 0xffff8000
	s_and_saveexec_b64 s[10:11], vcc
	s_cbranch_execz .LBB697_243
; %bb.240:
	v_bfe_u32 v39, v27, 16, 7
	s_movk_i32 s9, 0x7f
	v_cmp_ne_u32_e32 vcc, s9, v39
	v_mov_b32_e32 v32, 0x7f80
	s_and_saveexec_b64 s[20:21], vcc
	s_cbranch_execz .LBB697_242
; %bb.241:
	v_and_b32_e32 v32, 7, v30
	v_ffbh_u32_e32 v40, v32
	v_min_u32_e32 v46, 32, v40
	v_subrev_u32_e32 v40, 28, v46
	v_lshlrev_b64 v[40:41], v40, v[30:31]
	v_lshrrev_b32_e32 v45, 3, v39
	v_sub_u32_e32 v30, 29, v46
	v_and_b32_e32 v40, 7, v40
	v_cmp_gt_u32_e32 vcc, 8, v39
	v_mov_b32_e32 v39, 24
	v_cndmask_b32_e32 v30, v45, v30, vcc
	v_cndmask_b32_e32 v32, v32, v40, vcc
	v_lshlrev_b32_sdwa v39, v39, v27 dst_sel:DWORD dst_unused:UNUSED_PAD src0_sel:DWORD src1_sel:WORD_1
	v_bfrev_b32_e32 v40, 60
	v_lshlrev_b32_e32 v32, 20, v32
	v_and_b32_e32 v39, 0x80000000, v39
	v_lshl_add_u32 v30, v30, 23, v40
	v_or3_b32 v30, v39, v30, v32
	v_lshrrev_b32_e32 v32, 16, v30
.LBB697_242:
	s_or_b64 exec, exec, s[20:21]
.LBB697_243:
	s_or_b64 exec, exec, s[10:11]
.LBB697_244:
	s_or_b64 exec, exec, s[2:3]
	s_mov_b32 s2, -1
	s_mov_b32 s3, 0xffffff
	v_cmp_lt_u64_e32 vcc, s[2:3], v[26:27]
	s_and_saveexec_b64 s[2:3], vcc
	s_cbranch_execz .LBB697_250
; %bb.245:
	v_lshrrev_b32_e32 v26, 24, v27
	s_movk_i32 s9, 0x80
	v_cmp_ne_u32_e32 vcc, s9, v26
	v_mov_b32_e32 v31, 0xffff8000
	s_and_saveexec_b64 s[10:11], vcc
	s_cbranch_execz .LBB697_249
; %bb.246:
	v_bfe_u32 v27, v27, 24, 7
	s_movk_i32 s9, 0x7f
	v_cmp_ne_u32_e32 vcc, s9, v27
	v_mov_b32_e32 v31, 0x7f80
	s_and_saveexec_b64 s[20:21], vcc
	s_cbranch_execz .LBB697_248
; %bb.247:
	v_and_b32_e32 v39, 7, v26
	v_ffbh_u32_e32 v30, v39
	v_min_u32_e32 v41, 32, v30
	v_subrev_u32_e32 v30, 28, v41
	v_lshlrev_b64 v[30:31], v30, v[26:27]
	v_lshrrev_b32_e32 v40, 3, v27
	v_sub_u32_e32 v31, 29, v41
	v_and_b32_e32 v30, 7, v30
	v_cmp_gt_u32_e32 vcc, 8, v27
	v_cndmask_b32_e32 v27, v40, v31, vcc
	v_cndmask_b32_e32 v30, v39, v30, vcc
	v_lshlrev_b32_e32 v26, 24, v26
	v_bfrev_b32_e32 v31, 60
	v_lshlrev_b32_e32 v30, 20, v30
	v_and_b32_e32 v26, 0x80000000, v26
	v_lshl_add_u32 v27, v27, 23, v31
	v_or3_b32 v26, v26, v27, v30
	v_lshrrev_b32_e32 v31, 16, v26
.LBB697_248:
	s_or_b64 exec, exec, s[20:21]
.LBB697_249:
	s_or_b64 exec, exec, s[10:11]
.LBB697_250:
	s_or_b64 exec, exec, s[2:3]
	s_mov_b32 s2, 0x5040100
	v_perm_b32 v27, v36, v35, s2
	v_perm_b32 v26, v33, v34, s2
	v_perm_b32 v31, v31, v32, s2
	v_perm_b32 v30, v37, v38, s2
	v_mfma_f32_4x4x4bf16_1k a[0:3], v[18:19], v[26:27], a[0:3] cbsz:4 abid:4
	v_mov_b32_e32 v32, 0
	v_mfma_f32_4x4x4bf16_1k a[0:3], v[20:21], v[30:31], a[0:3] cbsz:4 abid:4
	v_mov_b32_e32 v31, 0
	v_cmp_ne_u16_sdwa s[10:11], v28, v31 src0_sel:BYTE_0 src1_sel:DWORD
	s_and_saveexec_b64 s[2:3], s[10:11]
	s_cbranch_execz .LBB697_256
; %bb.251:
	s_movk_i32 s9, 0x80
	v_cmp_ne_u16_sdwa s[20:21], v28, s9 src0_sel:BYTE_0 src1_sel:DWORD
	v_mov_b32_e32 v32, 0xffff8000
	s_and_saveexec_b64 s[10:11], s[20:21]
	s_cbranch_execz .LBB697_255
; %bb.252:
	s_movk_i32 s9, 0x7f
	v_and_b32_e32 v26, 0x7f, v28
	v_cmp_ne_u32_e32 vcc, s9, v26
	v_mov_b32_e32 v32, 0x7f80
	s_and_saveexec_b64 s[20:21], vcc
	s_cbranch_execz .LBB697_254
; %bb.253:
	v_and_b32_e32 v27, 7, v28
	v_ffbh_u32_e32 v27, v27
	v_min_u32_e32 v27, 32, v27
	v_subrev_u32_e32 v32, 28, v27
	v_cmp_gt_u32_e32 vcc, 8, v26
	v_lshrrev_b32_e32 v30, 3, v26
	v_sub_u32_e32 v27, 29, v27
	v_cndmask_b32_e32 v26, 0, v32, vcc
	v_cndmask_b32_e32 v30, v30, v27, vcc
	v_lshlrev_b64 v[26:27], v26, v[28:29]
	v_lshlrev_b32_e32 v26, 20, v26
	v_lshlrev_b32_e32 v27, 24, v28
	v_bfrev_b32_e32 v32, 60
	v_and_b32_e32 v26, 0x700000, v26
	v_and_b32_e32 v27, 0x80000000, v27
	v_lshl_add_u32 v30, v30, 23, v32
	v_or3_b32 v26, v27, v30, v26
	v_lshrrev_b32_e32 v32, 16, v26
.LBB697_254:
	s_or_b64 exec, exec, s[20:21]
.LBB697_255:
	s_or_b64 exec, exec, s[10:11]
.LBB697_256:
	s_or_b64 exec, exec, s[2:3]
	v_lshrrev_b16_e32 v26, 8, v28
	v_cmp_ne_u16_e32 vcc, 0, v26
	s_and_saveexec_b64 s[2:3], vcc
	s_cbranch_execz .LBB697_262
; %bb.257:
	s_movk_i32 s9, 0x80
	v_cmp_ne_u16_e32 vcc, s9, v26
	v_mov_b32_e32 v31, 0xffff8000
	s_and_saveexec_b64 s[10:11], vcc
	s_cbranch_execz .LBB697_261
; %bb.258:
	s_movk_i32 s9, 0x7f
	v_and_b32_e32 v27, 0x7f, v26
	v_cmp_ne_u32_e32 vcc, s9, v27
	v_mov_b32_e32 v31, 0x7f80
	s_and_saveexec_b64 s[20:21], vcc
	s_cbranch_execz .LBB697_260
; %bb.259:
	v_and_b32_e32 v33, 7, v26
	v_ffbh_u32_e32 v30, v33
	v_min_u32_e32 v35, 32, v30
	v_subrev_u32_e32 v30, 28, v35
	v_lshlrev_b64 v[30:31], v30, v[26:27]
	v_lshrrev_b32_e32 v34, 3, v27
	v_sub_u32_e32 v26, 29, v35
	v_and_b32_e32 v30, 7, v30
	v_cmp_gt_u32_e32 vcc, 8, v27
	v_cndmask_b32_e32 v26, v34, v26, vcc
	v_cndmask_b32_e32 v27, v33, v30, vcc
	v_lshlrev_b32_e32 v30, 16, v28
	v_bfrev_b32_e32 v31, 60
	v_lshlrev_b32_e32 v27, 20, v27
	v_and_b32_e32 v30, 0x80000000, v30
	v_lshl_add_u32 v26, v26, 23, v31
	v_or3_b32 v26, v30, v26, v27
	v_lshrrev_b32_e32 v31, 16, v26
.LBB697_260:
	s_or_b64 exec, exec, s[20:21]
.LBB697_261:
	s_or_b64 exec, exec, s[10:11]
.LBB697_262:
	s_or_b64 exec, exec, s[2:3]
	s_movk_i32 s2, 0xff
	v_and_b32_sdwa v30, v28, s2 dst_sel:DWORD dst_unused:UNUSED_PAD src0_sel:WORD_1 src1_sel:DWORD
	v_lshrrev_b32_e32 v26, 16, v28
	v_cmp_ne_u16_e32 vcc, 0, v30
	v_mov_b32_e32 v27, 0
	v_mov_b32_e32 v33, 0
	s_and_saveexec_b64 s[2:3], vcc
	s_cbranch_execz .LBB697_268
; %bb.263:
	s_movk_i32 s9, 0x80
	v_cmp_ne_u16_e32 vcc, s9, v30
	v_mov_b32_e32 v33, 0xffff8000
	s_and_saveexec_b64 s[10:11], vcc
	s_cbranch_execz .LBB697_267
; %bb.264:
	v_bfe_u32 v30, v28, 16, 7
	s_movk_i32 s9, 0x7f
	v_cmp_ne_u32_e32 vcc, s9, v30
	v_mov_b32_e32 v33, 0x7f80
	s_and_saveexec_b64 s[20:21], vcc
	s_cbranch_execz .LBB697_266
; %bb.265:
	v_and_b32_e32 v33, 7, v26
	v_ffbh_u32_e32 v34, v33
	v_min_u32_e32 v37, 32, v34
	v_subrev_u32_e32 v34, 28, v37
	v_lshlrev_b64 v[34:35], v34, v[26:27]
	v_and_b32_e32 v34, 7, v34
	v_cmp_gt_u32_e32 vcc, 8, v30
	v_lshrrev_b32_e32 v36, 3, v30
	v_sub_u32_e32 v26, 29, v37
	v_cndmask_b32_e32 v30, v33, v34, vcc
	v_mov_b32_e32 v33, 24
	v_cndmask_b32_e32 v26, v36, v26, vcc
	v_lshlrev_b32_sdwa v33, v33, v28 dst_sel:DWORD dst_unused:UNUSED_PAD src0_sel:DWORD src1_sel:WORD_1
	v_bfrev_b32_e32 v34, 60
	v_lshlrev_b32_e32 v30, 20, v30
	v_and_b32_e32 v33, 0x80000000, v33
	v_lshl_add_u32 v26, v26, 23, v34
	v_or3_b32 v26, v33, v26, v30
	v_lshrrev_b32_e32 v33, 16, v26
.LBB697_266:
	s_or_b64 exec, exec, s[20:21]
.LBB697_267:
	s_or_b64 exec, exec, s[10:11]
.LBB697_268:
	s_or_b64 exec, exec, s[2:3]
	s_mov_b32 s2, 0xffffff
	v_cmp_lt_u32_e32 vcc, s2, v28
	v_mov_b32_e32 v34, 0
	s_and_saveexec_b64 s[2:3], vcc
	s_cbranch_execz .LBB697_274
; %bb.269:
	v_lshrrev_b32_e32 v26, 24, v28
	s_movk_i32 s9, 0x80
	v_cmp_ne_u32_e32 vcc, s9, v26
	v_mov_b32_e32 v34, 0xffff8000
	s_and_saveexec_b64 s[10:11], vcc
	s_cbranch_execz .LBB697_273
; %bb.270:
	v_bfe_u32 v30, v28, 24, 7
	s_movk_i32 s9, 0x7f
	v_cmp_ne_u32_e32 vcc, s9, v30
	v_mov_b32_e32 v34, 0x7f80
	s_and_saveexec_b64 s[20:21], vcc
	s_cbranch_execz .LBB697_272
; %bb.271:
	v_and_b32_e32 v36, 7, v26
	v_ffbh_u32_e32 v34, v36
	v_min_u32_e32 v38, 32, v34
	v_subrev_u32_e32 v34, 28, v38
	v_lshlrev_b64 v[34:35], v34, v[26:27]
	v_lshrrev_b32_e32 v37, 3, v30
	v_sub_u32_e32 v35, 29, v38
	v_and_b32_e32 v34, 7, v34
	v_cmp_gt_u32_e32 vcc, 8, v30
	v_cndmask_b32_e32 v30, v37, v35, vcc
	v_cndmask_b32_e32 v34, v36, v34, vcc
	v_lshlrev_b32_e32 v26, 24, v26
	v_bfrev_b32_e32 v35, 60
	v_lshlrev_b32_e32 v34, 20, v34
	v_and_b32_e32 v26, 0x80000000, v26
	v_lshl_add_u32 v30, v30, 23, v35
	v_or3_b32 v26, v26, v30, v34
	v_lshrrev_b32_e32 v34, 16, v26
.LBB697_272:
	s_or_b64 exec, exec, s[20:21]
.LBB697_273:
	s_or_b64 exec, exec, s[10:11]
.LBB697_274:
	s_or_b64 exec, exec, s[2:3]
	v_mov_b32_e32 v35, 0
	v_mov_b32_e32 v26, v29
	v_cmp_ne_u16_sdwa s[10:11], v29, v35 src0_sel:BYTE_0 src1_sel:DWORD
	v_mov_b32_e32 v36, 0
	s_and_saveexec_b64 s[2:3], s[10:11]
	s_cbranch_execz .LBB697_280
; %bb.275:
	s_movk_i32 s9, 0x80
	v_cmp_ne_u16_sdwa s[20:21], v29, s9 src0_sel:BYTE_0 src1_sel:DWORD
	v_mov_b32_e32 v36, 0xffff8000
	s_and_saveexec_b64 s[10:11], s[20:21]
	s_cbranch_execz .LBB697_279
; %bb.276:
	s_movk_i32 s9, 0x7f
	v_and_b32_e32 v30, 0x7f, v29
	v_cmp_ne_u32_e32 vcc, s9, v30
	v_mov_b32_e32 v36, 0x7f80
	s_and_saveexec_b64 s[20:21], vcc
	s_cbranch_execz .LBB697_278
; %bb.277:
	v_and_b32_e32 v36, 7, v29
	v_ffbh_u32_e32 v36, v36
	v_min_u32_e32 v36, 32, v36
	v_lshrrev_b32_e32 v37, 3, v30
	v_subrev_u32_e32 v38, 28, v36
	v_sub_u32_e32 v36, 29, v36
	v_cmp_gt_u32_e32 vcc, 8, v30
	v_cndmask_b32_e32 v30, v37, v36, vcc
	v_cndmask_b32_e32 v36, 0, v38, vcc
	v_lshlrev_b64 v[36:37], v36, v[26:27]
	v_lshlrev_b32_e32 v27, 20, v36
	v_lshlrev_b32_e32 v36, 24, v26
	v_bfrev_b32_e32 v37, 60
	v_and_b32_e32 v27, 0x700000, v27
	v_and_b32_e32 v36, 0x80000000, v36
	v_lshl_add_u32 v30, v30, 23, v37
	v_or3_b32 v27, v36, v30, v27
	v_lshrrev_b32_e32 v36, 16, v27
.LBB697_278:
	s_or_b64 exec, exec, s[20:21]
.LBB697_279:
	s_or_b64 exec, exec, s[10:11]
.LBB697_280:
	s_or_b64 exec, exec, s[2:3]
	v_lshrrev_b16_e32 v30, 8, v26
	v_cmp_ne_u16_e32 vcc, 0, v30
	s_and_saveexec_b64 s[2:3], vcc
	s_cbranch_execz .LBB697_286
; %bb.281:
	s_movk_i32 s9, 0x80
	v_cmp_ne_u16_e32 vcc, s9, v30
	v_mov_b32_e32 v35, 0xffff8000
	s_and_saveexec_b64 s[10:11], vcc
	s_cbranch_execz .LBB697_285
; %bb.282:
	s_movk_i32 s9, 0x7f
	v_and_b32_e32 v27, 0x7f, v30
	v_cmp_ne_u32_e32 vcc, s9, v27
	v_mov_b32_e32 v35, 0x7f80
	s_and_saveexec_b64 s[20:21], vcc
	s_cbranch_execz .LBB697_284
; %bb.283:
	v_and_b32_e32 v35, 7, v30
	v_ffbh_u32_e32 v38, v35
	v_min_u32_e32 v40, 32, v38
	v_subrev_u32_e32 v38, 28, v40
	v_lshlrev_b64 v[38:39], v38, v[30:31]
	v_lshrrev_b32_e32 v37, 3, v27
	v_sub_u32_e32 v30, 29, v40
	v_and_b32_e32 v38, 7, v38
	v_cmp_gt_u32_e32 vcc, 8, v27
	v_cndmask_b32_e32 v27, v37, v30, vcc
	v_cndmask_b32_e32 v30, v35, v38, vcc
	v_lshlrev_b32_e32 v26, 16, v26
	v_bfrev_b32_e32 v35, 60
	v_lshlrev_b32_e32 v30, 20, v30
	v_and_b32_e32 v26, 0x80000000, v26
	v_lshl_add_u32 v27, v27, 23, v35
	v_or3_b32 v26, v26, v27, v30
	v_lshrrev_b32_e32 v35, 16, v26
.LBB697_284:
	s_or_b64 exec, exec, s[20:21]
.LBB697_285:
	s_or_b64 exec, exec, s[10:11]
.LBB697_286:
	s_or_b64 exec, exec, s[2:3]
	s_movk_i32 s2, 0xff
	v_and_b32_sdwa v37, v29, s2 dst_sel:DWORD dst_unused:UNUSED_PAD src0_sel:WORD_1 src1_sel:DWORD
	v_lshrrev_b32_e32 v26, 16, v29
	v_cmp_ne_u16_e32 vcc, 0, v37
	v_mov_b32_e32 v27, 0
	v_mov_b32_e32 v30, 0
	s_and_saveexec_b64 s[2:3], vcc
	s_cbranch_execz .LBB697_292
; %bb.287:
	s_movk_i32 s9, 0x80
	v_cmp_ne_u16_e32 vcc, s9, v37
	v_mov_b32_e32 v30, 0xffff8000
	s_and_saveexec_b64 s[10:11], vcc
	s_cbranch_execz .LBB697_291
; %bb.288:
	v_bfe_u32 v37, v29, 16, 7
	s_movk_i32 s9, 0x7f
	v_cmp_ne_u32_e32 vcc, s9, v37
	v_mov_b32_e32 v30, 0x7f80
	s_and_saveexec_b64 s[20:21], vcc
	s_cbranch_execz .LBB697_290
; %bb.289:
	v_and_b32_e32 v30, 7, v26
	v_ffbh_u32_e32 v38, v30
	v_min_u32_e32 v41, 32, v38
	v_subrev_u32_e32 v38, 28, v41
	v_lshlrev_b64 v[38:39], v38, v[26:27]
	v_lshrrev_b32_e32 v40, 3, v37
	v_sub_u32_e32 v26, 29, v41
	v_and_b32_e32 v38, 7, v38
	v_cmp_gt_u32_e32 vcc, 8, v37
	v_mov_b32_e32 v37, 24
	v_cndmask_b32_e32 v26, v40, v26, vcc
	v_cndmask_b32_e32 v30, v30, v38, vcc
	v_lshlrev_b32_sdwa v37, v37, v29 dst_sel:DWORD dst_unused:UNUSED_PAD src0_sel:DWORD src1_sel:WORD_1
	v_bfrev_b32_e32 v38, 60
	v_lshlrev_b32_e32 v30, 20, v30
	v_and_b32_e32 v37, 0x80000000, v37
	v_lshl_add_u32 v26, v26, 23, v38
	v_or3_b32 v26, v37, v26, v30
	v_lshrrev_b32_e32 v30, 16, v26
.LBB697_290:
	s_or_b64 exec, exec, s[20:21]
.LBB697_291:
	s_or_b64 exec, exec, s[10:11]
.LBB697_292:
	s_or_b64 exec, exec, s[2:3]
	s_mov_b32 s2, -1
	s_mov_b32 s3, 0xffffff
	v_cmp_lt_u64_e32 vcc, s[2:3], v[28:29]
	s_and_saveexec_b64 s[2:3], vcc
	s_cbranch_execz .LBB697_298
; %bb.293:
	v_lshrrev_b32_e32 v26, 24, v29
	s_movk_i32 s9, 0x80
	v_cmp_ne_u32_e32 vcc, s9, v26
	v_mov_b32_e32 v27, 0xffff8000
	s_and_saveexec_b64 s[10:11], vcc
	s_cbranch_execz .LBB697_297
; %bb.294:
	v_bfe_u32 v28, v29, 24, 7
	s_movk_i32 s9, 0x7f
	v_cmp_ne_u32_e32 vcc, s9, v28
	v_mov_b32_e32 v27, 0x7f80
	s_and_saveexec_b64 s[20:21], vcc
	s_cbranch_execz .LBB697_296
; %bb.295:
	v_and_b32_e32 v27, 7, v26
	v_ffbh_u32_e32 v37, v27
	v_min_u32_e32 v37, 32, v37
	v_subrev_u32_e32 v38, 28, v37
	v_lshlrev_b64 v[38:39], v38, v[26:27]
	v_lshrrev_b32_e32 v29, 3, v28
	v_sub_u32_e32 v37, 29, v37
	v_and_b32_e32 v38, 7, v38
	v_cmp_gt_u32_e32 vcc, 8, v28
	v_cndmask_b32_e32 v28, v29, v37, vcc
	v_cndmask_b32_e32 v27, v27, v38, vcc
	v_lshlrev_b32_e32 v26, 24, v26
	v_bfrev_b32_e32 v29, 60
	v_lshlrev_b32_e32 v27, 20, v27
	v_and_b32_e32 v26, 0x80000000, v26
	v_lshl_add_u32 v28, v28, 23, v29
	v_or3_b32 v26, v26, v28, v27
	v_lshrrev_b32_e32 v27, 16, v26
.LBB697_296:
	s_or_b64 exec, exec, s[20:21]
.LBB697_297:
	s_or_b64 exec, exec, s[10:11]
.LBB697_298:
	s_or_b64 exec, exec, s[2:3]
	s_mov_b32 s2, 0x5040100
	v_perm_b32 v29, v34, v33, s2
	v_perm_b32 v28, v31, v32, s2
	;; [unrolled: 1-line block ×4, first 2 shown]
	v_mfma_f32_4x4x4bf16_1k a[0:3], v[18:19], v[28:29], a[0:3] cbsz:4 abid:5
	v_mov_b32_e32 v29, 0
	v_mfma_f32_4x4x4bf16_1k a[0:3], v[20:21], v[26:27], a[0:3] cbsz:4 abid:5
	s_waitcnt vmcnt(4)
	v_cmp_ne_u16_sdwa s[10:11], v22, v29 src0_sel:BYTE_0 src1_sel:DWORD
	v_mov_b32_e32 v30, 0
	s_and_saveexec_b64 s[2:3], s[10:11]
	s_cbranch_execz .LBB697_304
; %bb.299:
	s_movk_i32 s9, 0x80
	v_cmp_ne_u16_sdwa s[20:21], v22, s9 src0_sel:BYTE_0 src1_sel:DWORD
	v_mov_b32_e32 v30, 0xffff8000
	s_and_saveexec_b64 s[10:11], s[20:21]
	s_cbranch_execz .LBB697_303
; %bb.300:
	s_movk_i32 s9, 0x7f
	v_and_b32_e32 v26, 0x7f, v22
	v_cmp_ne_u32_e32 vcc, s9, v26
	v_mov_b32_e32 v30, 0x7f80
	s_and_saveexec_b64 s[20:21], vcc
	s_cbranch_execz .LBB697_302
; %bb.301:
	v_and_b32_e32 v27, 7, v22
	v_ffbh_u32_e32 v27, v27
	v_min_u32_e32 v27, 32, v27
	v_subrev_u32_e32 v30, 28, v27
	v_cmp_gt_u32_e32 vcc, 8, v26
	v_lshrrev_b32_e32 v28, 3, v26
	v_sub_u32_e32 v27, 29, v27
	v_cndmask_b32_e32 v26, 0, v30, vcc
	v_cndmask_b32_e32 v28, v28, v27, vcc
	v_lshlrev_b64 v[26:27], v26, v[22:23]
	v_lshlrev_b32_e32 v26, 20, v26
	v_lshlrev_b32_e32 v27, 24, v22
	v_bfrev_b32_e32 v30, 60
	v_and_b32_e32 v26, 0x700000, v26
	v_and_b32_e32 v27, 0x80000000, v27
	v_lshl_add_u32 v28, v28, 23, v30
	v_or3_b32 v26, v27, v28, v26
	v_lshrrev_b32_e32 v30, 16, v26
.LBB697_302:
	s_or_b64 exec, exec, s[20:21]
.LBB697_303:
	s_or_b64 exec, exec, s[10:11]
.LBB697_304:
	s_or_b64 exec, exec, s[2:3]
	v_lshrrev_b16_e32 v26, 8, v22
	v_cmp_ne_u16_e32 vcc, 0, v26
	s_and_saveexec_b64 s[2:3], vcc
	s_cbranch_execz .LBB697_310
; %bb.305:
	s_movk_i32 s9, 0x80
	v_cmp_ne_u16_e32 vcc, s9, v26
	v_mov_b32_e32 v29, 0xffff8000
	s_and_saveexec_b64 s[10:11], vcc
	s_cbranch_execz .LBB697_309
; %bb.306:
	s_movk_i32 s9, 0x7f
	v_and_b32_e32 v27, 0x7f, v26
	v_cmp_ne_u32_e32 vcc, s9, v27
	v_mov_b32_e32 v29, 0x7f80
	s_and_saveexec_b64 s[20:21], vcc
	s_cbranch_execz .LBB697_308
; %bb.307:
	v_and_b32_e32 v31, 7, v26
	v_ffbh_u32_e32 v28, v31
	v_min_u32_e32 v33, 32, v28
	v_subrev_u32_e32 v28, 28, v33
	v_lshlrev_b64 v[28:29], v28, v[26:27]
	v_lshrrev_b32_e32 v32, 3, v27
	v_sub_u32_e32 v26, 29, v33
	v_and_b32_e32 v28, 7, v28
	v_cmp_gt_u32_e32 vcc, 8, v27
	v_cndmask_b32_e32 v26, v32, v26, vcc
	v_cndmask_b32_e32 v27, v31, v28, vcc
	v_lshlrev_b32_e32 v28, 16, v22
	v_bfrev_b32_e32 v29, 60
	v_lshlrev_b32_e32 v27, 20, v27
	v_and_b32_e32 v28, 0x80000000, v28
	v_lshl_add_u32 v26, v26, 23, v29
	v_or3_b32 v26, v28, v26, v27
	v_lshrrev_b32_e32 v29, 16, v26
.LBB697_308:
	s_or_b64 exec, exec, s[20:21]
.LBB697_309:
	s_or_b64 exec, exec, s[10:11]
.LBB697_310:
	s_or_b64 exec, exec, s[2:3]
	s_movk_i32 s2, 0xff
	v_and_b32_sdwa v28, v22, s2 dst_sel:DWORD dst_unused:UNUSED_PAD src0_sel:WORD_1 src1_sel:DWORD
	v_lshrrev_b32_e32 v26, 16, v22
	v_cmp_ne_u16_e32 vcc, 0, v28
	v_mov_b32_e32 v27, 0
	v_mov_b32_e32 v31, 0
	s_and_saveexec_b64 s[2:3], vcc
	s_cbranch_execz .LBB697_316
; %bb.311:
	s_movk_i32 s9, 0x80
	v_cmp_ne_u16_e32 vcc, s9, v28
	v_mov_b32_e32 v31, 0xffff8000
	s_and_saveexec_b64 s[10:11], vcc
	s_cbranch_execz .LBB697_315
; %bb.312:
	v_bfe_u32 v28, v22, 16, 7
	s_movk_i32 s9, 0x7f
	v_cmp_ne_u32_e32 vcc, s9, v28
	v_mov_b32_e32 v31, 0x7f80
	s_and_saveexec_b64 s[20:21], vcc
	s_cbranch_execz .LBB697_314
; %bb.313:
	v_and_b32_e32 v31, 7, v26
	v_ffbh_u32_e32 v32, v31
	v_min_u32_e32 v35, 32, v32
	v_subrev_u32_e32 v32, 28, v35
	v_lshlrev_b64 v[32:33], v32, v[26:27]
	v_and_b32_e32 v32, 7, v32
	v_cmp_gt_u32_e32 vcc, 8, v28
	v_lshrrev_b32_e32 v34, 3, v28
	v_sub_u32_e32 v26, 29, v35
	v_cndmask_b32_e32 v28, v31, v32, vcc
	v_mov_b32_e32 v31, 24
	v_cndmask_b32_e32 v26, v34, v26, vcc
	v_lshlrev_b32_sdwa v31, v31, v22 dst_sel:DWORD dst_unused:UNUSED_PAD src0_sel:DWORD src1_sel:WORD_1
	v_bfrev_b32_e32 v32, 60
	v_lshlrev_b32_e32 v28, 20, v28
	v_and_b32_e32 v31, 0x80000000, v31
	v_lshl_add_u32 v26, v26, 23, v32
	v_or3_b32 v26, v31, v26, v28
	v_lshrrev_b32_e32 v31, 16, v26
.LBB697_314:
	s_or_b64 exec, exec, s[20:21]
.LBB697_315:
	s_or_b64 exec, exec, s[10:11]
.LBB697_316:
	s_or_b64 exec, exec, s[2:3]
	s_mov_b32 s2, 0xffffff
	v_cmp_lt_u32_e32 vcc, s2, v22
	v_mov_b32_e32 v32, 0
	s_and_saveexec_b64 s[2:3], vcc
	s_cbranch_execz .LBB697_322
; %bb.317:
	v_lshrrev_b32_e32 v26, 24, v22
	s_movk_i32 s9, 0x80
	v_cmp_ne_u32_e32 vcc, s9, v26
	v_mov_b32_e32 v32, 0xffff8000
	s_and_saveexec_b64 s[10:11], vcc
	s_cbranch_execz .LBB697_321
; %bb.318:
	v_bfe_u32 v28, v22, 24, 7
	s_movk_i32 s9, 0x7f
	v_cmp_ne_u32_e32 vcc, s9, v28
	v_mov_b32_e32 v32, 0x7f80
	s_and_saveexec_b64 s[20:21], vcc
	s_cbranch_execz .LBB697_320
; %bb.319:
	v_and_b32_e32 v34, 7, v26
	v_ffbh_u32_e32 v32, v34
	v_min_u32_e32 v36, 32, v32
	v_subrev_u32_e32 v32, 28, v36
	v_lshlrev_b64 v[32:33], v32, v[26:27]
	v_lshrrev_b32_e32 v35, 3, v28
	v_sub_u32_e32 v33, 29, v36
	v_and_b32_e32 v32, 7, v32
	v_cmp_gt_u32_e32 vcc, 8, v28
	v_cndmask_b32_e32 v28, v35, v33, vcc
	v_cndmask_b32_e32 v32, v34, v32, vcc
	v_lshlrev_b32_e32 v26, 24, v26
	v_bfrev_b32_e32 v33, 60
	v_lshlrev_b32_e32 v32, 20, v32
	v_and_b32_e32 v26, 0x80000000, v26
	v_lshl_add_u32 v28, v28, 23, v33
	v_or3_b32 v26, v26, v28, v32
	v_lshrrev_b32_e32 v32, 16, v26
.LBB697_320:
	s_or_b64 exec, exec, s[20:21]
.LBB697_321:
	s_or_b64 exec, exec, s[10:11]
.LBB697_322:
	s_or_b64 exec, exec, s[2:3]
	v_mov_b32_e32 v33, 0
	v_mov_b32_e32 v26, v23
	v_cmp_ne_u16_sdwa s[10:11], v23, v33 src0_sel:BYTE_0 src1_sel:DWORD
	v_mov_b32_e32 v34, 0
	s_and_saveexec_b64 s[2:3], s[10:11]
	s_cbranch_execz .LBB697_328
; %bb.323:
	s_movk_i32 s9, 0x80
	v_cmp_ne_u16_sdwa s[20:21], v23, s9 src0_sel:BYTE_0 src1_sel:DWORD
	v_mov_b32_e32 v34, 0xffff8000
	s_and_saveexec_b64 s[10:11], s[20:21]
	s_cbranch_execz .LBB697_327
; %bb.324:
	s_movk_i32 s9, 0x7f
	v_and_b32_e32 v28, 0x7f, v23
	v_cmp_ne_u32_e32 vcc, s9, v28
	v_mov_b32_e32 v34, 0x7f80
	s_and_saveexec_b64 s[20:21], vcc
	s_cbranch_execz .LBB697_326
; %bb.325:
	v_and_b32_e32 v34, 7, v23
	v_ffbh_u32_e32 v34, v34
	v_min_u32_e32 v34, 32, v34
	v_lshrrev_b32_e32 v35, 3, v28
	v_subrev_u32_e32 v36, 28, v34
	v_sub_u32_e32 v34, 29, v34
	v_cmp_gt_u32_e32 vcc, 8, v28
	v_cndmask_b32_e32 v28, v35, v34, vcc
	v_cndmask_b32_e32 v34, 0, v36, vcc
	v_lshlrev_b64 v[34:35], v34, v[26:27]
	v_lshlrev_b32_e32 v27, 20, v34
	v_lshlrev_b32_e32 v34, 24, v26
	v_bfrev_b32_e32 v35, 60
	v_and_b32_e32 v27, 0x700000, v27
	v_and_b32_e32 v34, 0x80000000, v34
	v_lshl_add_u32 v28, v28, 23, v35
	v_or3_b32 v27, v34, v28, v27
	v_lshrrev_b32_e32 v34, 16, v27
.LBB697_326:
	s_or_b64 exec, exec, s[20:21]
.LBB697_327:
	s_or_b64 exec, exec, s[10:11]
.LBB697_328:
	s_or_b64 exec, exec, s[2:3]
	v_lshrrev_b16_e32 v28, 8, v26
	v_cmp_ne_u16_e32 vcc, 0, v28
	s_and_saveexec_b64 s[2:3], vcc
	s_cbranch_execz .LBB697_334
; %bb.329:
	s_movk_i32 s9, 0x80
	v_cmp_ne_u16_e32 vcc, s9, v28
	v_mov_b32_e32 v33, 0xffff8000
	s_and_saveexec_b64 s[10:11], vcc
	s_cbranch_execz .LBB697_333
; %bb.330:
	s_movk_i32 s9, 0x7f
	v_and_b32_e32 v27, 0x7f, v28
	v_cmp_ne_u32_e32 vcc, s9, v27
	v_mov_b32_e32 v33, 0x7f80
	s_and_saveexec_b64 s[20:21], vcc
	s_cbranch_execz .LBB697_332
; %bb.331:
	v_and_b32_e32 v33, 7, v28
	v_ffbh_u32_e32 v36, v33
	v_min_u32_e32 v38, 32, v36
	v_subrev_u32_e32 v36, 28, v38
	v_lshlrev_b64 v[36:37], v36, v[28:29]
	v_lshrrev_b32_e32 v35, 3, v27
	v_sub_u32_e32 v28, 29, v38
	v_and_b32_e32 v36, 7, v36
	v_cmp_gt_u32_e32 vcc, 8, v27
	v_cndmask_b32_e32 v27, v35, v28, vcc
	v_cndmask_b32_e32 v28, v33, v36, vcc
	v_lshlrev_b32_e32 v26, 16, v26
	v_bfrev_b32_e32 v33, 60
	v_lshlrev_b32_e32 v28, 20, v28
	v_and_b32_e32 v26, 0x80000000, v26
	v_lshl_add_u32 v27, v27, 23, v33
	v_or3_b32 v26, v26, v27, v28
	v_lshrrev_b32_e32 v33, 16, v26
.LBB697_332:
	s_or_b64 exec, exec, s[20:21]
.LBB697_333:
	s_or_b64 exec, exec, s[10:11]
.LBB697_334:
	s_or_b64 exec, exec, s[2:3]
	s_movk_i32 s2, 0xff
	v_and_b32_sdwa v35, v23, s2 dst_sel:DWORD dst_unused:UNUSED_PAD src0_sel:WORD_1 src1_sel:DWORD
	v_lshrrev_b32_e32 v26, 16, v23
	v_cmp_ne_u16_e32 vcc, 0, v35
	v_mov_b32_e32 v27, 0
	v_mov_b32_e32 v28, 0
	s_and_saveexec_b64 s[2:3], vcc
	s_cbranch_execz .LBB697_340
; %bb.335:
	s_movk_i32 s9, 0x80
	v_cmp_ne_u16_e32 vcc, s9, v35
	v_mov_b32_e32 v28, 0xffff8000
	s_and_saveexec_b64 s[10:11], vcc
	s_cbranch_execz .LBB697_339
; %bb.336:
	v_bfe_u32 v35, v23, 16, 7
	s_movk_i32 s9, 0x7f
	v_cmp_ne_u32_e32 vcc, s9, v35
	v_mov_b32_e32 v28, 0x7f80
	s_and_saveexec_b64 s[20:21], vcc
	s_cbranch_execz .LBB697_338
; %bb.337:
	v_and_b32_e32 v28, 7, v26
	v_ffbh_u32_e32 v36, v28
	v_min_u32_e32 v39, 32, v36
	v_subrev_u32_e32 v36, 28, v39
	v_lshlrev_b64 v[36:37], v36, v[26:27]
	v_lshrrev_b32_e32 v38, 3, v35
	v_sub_u32_e32 v26, 29, v39
	v_and_b32_e32 v36, 7, v36
	v_cmp_gt_u32_e32 vcc, 8, v35
	v_mov_b32_e32 v35, 24
	v_cndmask_b32_e32 v26, v38, v26, vcc
	v_cndmask_b32_e32 v28, v28, v36, vcc
	v_lshlrev_b32_sdwa v35, v35, v23 dst_sel:DWORD dst_unused:UNUSED_PAD src0_sel:DWORD src1_sel:WORD_1
	v_bfrev_b32_e32 v36, 60
	v_lshlrev_b32_e32 v28, 20, v28
	v_and_b32_e32 v35, 0x80000000, v35
	v_lshl_add_u32 v26, v26, 23, v36
	v_or3_b32 v26, v35, v26, v28
	v_lshrrev_b32_e32 v28, 16, v26
.LBB697_338:
	s_or_b64 exec, exec, s[20:21]
.LBB697_339:
	s_or_b64 exec, exec, s[10:11]
.LBB697_340:
	s_or_b64 exec, exec, s[2:3]
	s_mov_b32 s2, -1
	s_mov_b32 s3, 0xffffff
	v_cmp_lt_u64_e32 vcc, s[2:3], v[22:23]
	s_and_saveexec_b64 s[2:3], vcc
	s_cbranch_execz .LBB697_346
; %bb.341:
	v_lshrrev_b32_e32 v22, 24, v23
	s_movk_i32 s9, 0x80
	v_cmp_ne_u32_e32 vcc, s9, v22
	v_mov_b32_e32 v27, 0xffff8000
	s_and_saveexec_b64 s[10:11], vcc
	s_cbranch_execz .LBB697_345
; %bb.342:
	v_bfe_u32 v23, v23, 24, 7
	s_movk_i32 s9, 0x7f
	v_cmp_ne_u32_e32 vcc, s9, v23
	v_mov_b32_e32 v27, 0x7f80
	s_and_saveexec_b64 s[20:21], vcc
	s_cbranch_execz .LBB697_344
; %bb.343:
	v_and_b32_e32 v35, 7, v22
	v_ffbh_u32_e32 v26, v35
	v_min_u32_e32 v37, 32, v26
	v_subrev_u32_e32 v26, 28, v37
	v_lshlrev_b64 v[26:27], v26, v[22:23]
	v_lshrrev_b32_e32 v36, 3, v23
	v_sub_u32_e32 v27, 29, v37
	v_and_b32_e32 v26, 7, v26
	v_cmp_gt_u32_e32 vcc, 8, v23
	v_cndmask_b32_e32 v23, v36, v27, vcc
	v_cndmask_b32_e32 v26, v35, v26, vcc
	v_lshlrev_b32_e32 v22, 24, v22
	v_bfrev_b32_e32 v27, 60
	v_lshlrev_b32_e32 v26, 20, v26
	v_and_b32_e32 v22, 0x80000000, v22
	v_lshl_add_u32 v23, v23, 23, v27
	v_or3_b32 v22, v22, v23, v26
	v_lshrrev_b32_e32 v27, 16, v22
.LBB697_344:
	s_or_b64 exec, exec, s[20:21]
.LBB697_345:
	s_or_b64 exec, exec, s[10:11]
.LBB697_346:
	s_or_b64 exec, exec, s[2:3]
	s_mov_b32 s2, 0x5040100
	v_perm_b32 v23, v32, v31, s2
	v_perm_b32 v22, v29, v30, s2
	;; [unrolled: 1-line block ×4, first 2 shown]
	v_mfma_f32_4x4x4bf16_1k a[0:3], v[18:19], v[22:23], a[0:3] cbsz:4 abid:6
	v_mov_b32_e32 v28, 0
	v_mfma_f32_4x4x4bf16_1k a[0:3], v[20:21], v[26:27], a[0:3] cbsz:4 abid:6
	v_mov_b32_e32 v27, 0
	v_cmp_ne_u16_sdwa s[10:11], v24, v27 src0_sel:BYTE_0 src1_sel:DWORD
	s_and_saveexec_b64 s[2:3], s[10:11]
	s_cbranch_execz .LBB697_352
; %bb.347:
	s_movk_i32 s9, 0x80
	v_cmp_ne_u16_sdwa s[20:21], v24, s9 src0_sel:BYTE_0 src1_sel:DWORD
	v_mov_b32_e32 v28, 0xffff8000
	s_and_saveexec_b64 s[10:11], s[20:21]
	s_cbranch_execz .LBB697_351
; %bb.348:
	s_movk_i32 s9, 0x7f
	v_and_b32_e32 v22, 0x7f, v24
	v_cmp_ne_u32_e32 vcc, s9, v22
	v_mov_b32_e32 v28, 0x7f80
	s_and_saveexec_b64 s[20:21], vcc
	s_cbranch_execz .LBB697_350
; %bb.349:
	v_and_b32_e32 v23, 7, v24
	v_ffbh_u32_e32 v23, v23
	v_min_u32_e32 v23, 32, v23
	v_subrev_u32_e32 v28, 28, v23
	v_cmp_gt_u32_e32 vcc, 8, v22
	v_lshrrev_b32_e32 v26, 3, v22
	v_sub_u32_e32 v23, 29, v23
	v_cndmask_b32_e32 v22, 0, v28, vcc
	v_cndmask_b32_e32 v26, v26, v23, vcc
	v_lshlrev_b64 v[22:23], v22, v[24:25]
	v_lshlrev_b32_e32 v22, 20, v22
	v_lshlrev_b32_e32 v23, 24, v24
	v_bfrev_b32_e32 v28, 60
	v_and_b32_e32 v22, 0x700000, v22
	v_and_b32_e32 v23, 0x80000000, v23
	v_lshl_add_u32 v26, v26, 23, v28
	v_or3_b32 v22, v23, v26, v22
	v_lshrrev_b32_e32 v28, 16, v22
.LBB697_350:
	s_or_b64 exec, exec, s[20:21]
.LBB697_351:
	s_or_b64 exec, exec, s[10:11]
.LBB697_352:
	s_or_b64 exec, exec, s[2:3]
	v_lshrrev_b16_e32 v22, 8, v24
	v_cmp_ne_u16_e32 vcc, 0, v22
	s_and_saveexec_b64 s[2:3], vcc
	s_cbranch_execz .LBB697_358
; %bb.353:
	s_movk_i32 s9, 0x80
	v_cmp_ne_u16_e32 vcc, s9, v22
	v_mov_b32_e32 v27, 0xffff8000
	s_and_saveexec_b64 s[10:11], vcc
	s_cbranch_execz .LBB697_357
; %bb.354:
	s_movk_i32 s9, 0x7f
	v_and_b32_e32 v23, 0x7f, v22
	v_cmp_ne_u32_e32 vcc, s9, v23
	v_mov_b32_e32 v27, 0x7f80
	s_and_saveexec_b64 s[20:21], vcc
	s_cbranch_execz .LBB697_356
; %bb.355:
	v_and_b32_e32 v29, 7, v22
	v_ffbh_u32_e32 v26, v29
	v_min_u32_e32 v31, 32, v26
	v_subrev_u32_e32 v26, 28, v31
	v_lshlrev_b64 v[26:27], v26, v[22:23]
	v_lshrrev_b32_e32 v30, 3, v23
	v_sub_u32_e32 v22, 29, v31
	v_and_b32_e32 v26, 7, v26
	v_cmp_gt_u32_e32 vcc, 8, v23
	v_cndmask_b32_e32 v22, v30, v22, vcc
	v_cndmask_b32_e32 v23, v29, v26, vcc
	v_lshlrev_b32_e32 v26, 16, v24
	v_bfrev_b32_e32 v27, 60
	v_lshlrev_b32_e32 v23, 20, v23
	v_and_b32_e32 v26, 0x80000000, v26
	v_lshl_add_u32 v22, v22, 23, v27
	v_or3_b32 v22, v26, v22, v23
	v_lshrrev_b32_e32 v27, 16, v22
.LBB697_356:
	s_or_b64 exec, exec, s[20:21]
.LBB697_357:
	s_or_b64 exec, exec, s[10:11]
.LBB697_358:
	s_or_b64 exec, exec, s[2:3]
	s_movk_i32 s2, 0xff
	v_and_b32_sdwa v26, v24, s2 dst_sel:DWORD dst_unused:UNUSED_PAD src0_sel:WORD_1 src1_sel:DWORD
	v_lshrrev_b32_e32 v22, 16, v24
	v_cmp_ne_u16_e32 vcc, 0, v26
	v_mov_b32_e32 v23, 0
	v_mov_b32_e32 v29, 0
	s_and_saveexec_b64 s[2:3], vcc
	s_cbranch_execz .LBB697_364
; %bb.359:
	s_movk_i32 s9, 0x80
	v_cmp_ne_u16_e32 vcc, s9, v26
	v_mov_b32_e32 v29, 0xffff8000
	s_and_saveexec_b64 s[10:11], vcc
	s_cbranch_execz .LBB697_363
; %bb.360:
	v_bfe_u32 v26, v24, 16, 7
	s_movk_i32 s9, 0x7f
	v_cmp_ne_u32_e32 vcc, s9, v26
	v_mov_b32_e32 v29, 0x7f80
	s_and_saveexec_b64 s[20:21], vcc
	s_cbranch_execz .LBB697_362
; %bb.361:
	v_and_b32_e32 v29, 7, v22
	v_ffbh_u32_e32 v30, v29
	v_min_u32_e32 v33, 32, v30
	v_subrev_u32_e32 v30, 28, v33
	v_lshlrev_b64 v[30:31], v30, v[22:23]
	v_and_b32_e32 v30, 7, v30
	v_cmp_gt_u32_e32 vcc, 8, v26
	v_lshrrev_b32_e32 v32, 3, v26
	v_sub_u32_e32 v22, 29, v33
	v_cndmask_b32_e32 v26, v29, v30, vcc
	v_mov_b32_e32 v29, 24
	v_cndmask_b32_e32 v22, v32, v22, vcc
	v_lshlrev_b32_sdwa v29, v29, v24 dst_sel:DWORD dst_unused:UNUSED_PAD src0_sel:DWORD src1_sel:WORD_1
	v_bfrev_b32_e32 v30, 60
	v_lshlrev_b32_e32 v26, 20, v26
	v_and_b32_e32 v29, 0x80000000, v29
	v_lshl_add_u32 v22, v22, 23, v30
	v_or3_b32 v22, v29, v22, v26
	v_lshrrev_b32_e32 v29, 16, v22
.LBB697_362:
	s_or_b64 exec, exec, s[20:21]
.LBB697_363:
	s_or_b64 exec, exec, s[10:11]
.LBB697_364:
	s_or_b64 exec, exec, s[2:3]
	s_mov_b32 s2, 0xffffff
	v_cmp_lt_u32_e32 vcc, s2, v24
	v_mov_b32_e32 v30, 0
	s_and_saveexec_b64 s[2:3], vcc
	s_cbranch_execz .LBB697_370
; %bb.365:
	v_lshrrev_b32_e32 v22, 24, v24
	s_movk_i32 s9, 0x80
	v_cmp_ne_u32_e32 vcc, s9, v22
	v_mov_b32_e32 v30, 0xffff8000
	s_and_saveexec_b64 s[10:11], vcc
	s_cbranch_execz .LBB697_369
; %bb.366:
	v_bfe_u32 v26, v24, 24, 7
	s_movk_i32 s9, 0x7f
	v_cmp_ne_u32_e32 vcc, s9, v26
	v_mov_b32_e32 v30, 0x7f80
	s_and_saveexec_b64 s[20:21], vcc
	s_cbranch_execz .LBB697_368
; %bb.367:
	v_and_b32_e32 v32, 7, v22
	v_ffbh_u32_e32 v30, v32
	v_min_u32_e32 v34, 32, v30
	v_subrev_u32_e32 v30, 28, v34
	v_lshlrev_b64 v[30:31], v30, v[22:23]
	v_lshrrev_b32_e32 v33, 3, v26
	v_sub_u32_e32 v31, 29, v34
	v_and_b32_e32 v30, 7, v30
	v_cmp_gt_u32_e32 vcc, 8, v26
	v_cndmask_b32_e32 v26, v33, v31, vcc
	v_cndmask_b32_e32 v30, v32, v30, vcc
	v_lshlrev_b32_e32 v22, 24, v22
	v_bfrev_b32_e32 v31, 60
	v_lshlrev_b32_e32 v30, 20, v30
	v_and_b32_e32 v22, 0x80000000, v22
	v_lshl_add_u32 v26, v26, 23, v31
	v_or3_b32 v22, v22, v26, v30
	v_lshrrev_b32_e32 v30, 16, v22
.LBB697_368:
	s_or_b64 exec, exec, s[20:21]
.LBB697_369:
	s_or_b64 exec, exec, s[10:11]
.LBB697_370:
	s_or_b64 exec, exec, s[2:3]
	v_mov_b32_e32 v31, 0
	v_mov_b32_e32 v22, v25
	v_cmp_ne_u16_sdwa s[10:11], v25, v31 src0_sel:BYTE_0 src1_sel:DWORD
	v_mov_b32_e32 v32, 0
	s_and_saveexec_b64 s[2:3], s[10:11]
	s_cbranch_execz .LBB697_376
; %bb.371:
	s_movk_i32 s9, 0x80
	v_cmp_ne_u16_sdwa s[20:21], v25, s9 src0_sel:BYTE_0 src1_sel:DWORD
	v_mov_b32_e32 v32, 0xffff8000
	s_and_saveexec_b64 s[10:11], s[20:21]
	s_cbranch_execz .LBB697_375
; %bb.372:
	s_movk_i32 s9, 0x7f
	v_and_b32_e32 v26, 0x7f, v25
	v_cmp_ne_u32_e32 vcc, s9, v26
	v_mov_b32_e32 v32, 0x7f80
	s_and_saveexec_b64 s[20:21], vcc
	s_cbranch_execz .LBB697_374
; %bb.373:
	v_and_b32_e32 v32, 7, v25
	v_ffbh_u32_e32 v32, v32
	v_min_u32_e32 v32, 32, v32
	v_lshrrev_b32_e32 v33, 3, v26
	v_subrev_u32_e32 v34, 28, v32
	v_sub_u32_e32 v32, 29, v32
	v_cmp_gt_u32_e32 vcc, 8, v26
	v_cndmask_b32_e32 v26, v33, v32, vcc
	v_cndmask_b32_e32 v32, 0, v34, vcc
	v_lshlrev_b64 v[32:33], v32, v[22:23]
	v_lshlrev_b32_e32 v23, 20, v32
	v_lshlrev_b32_e32 v32, 24, v22
	v_bfrev_b32_e32 v33, 60
	v_and_b32_e32 v23, 0x700000, v23
	v_and_b32_e32 v32, 0x80000000, v32
	v_lshl_add_u32 v26, v26, 23, v33
	v_or3_b32 v23, v32, v26, v23
	v_lshrrev_b32_e32 v32, 16, v23
.LBB697_374:
	s_or_b64 exec, exec, s[20:21]
.LBB697_375:
	s_or_b64 exec, exec, s[10:11]
.LBB697_376:
	s_or_b64 exec, exec, s[2:3]
	v_lshrrev_b16_e32 v26, 8, v22
	v_cmp_ne_u16_e32 vcc, 0, v26
	s_and_saveexec_b64 s[2:3], vcc
	s_cbranch_execz .LBB697_382
; %bb.377:
	s_movk_i32 s9, 0x80
	v_cmp_ne_u16_e32 vcc, s9, v26
	v_mov_b32_e32 v31, 0xffff8000
	s_and_saveexec_b64 s[10:11], vcc
	s_cbranch_execz .LBB697_381
; %bb.378:
	s_movk_i32 s9, 0x7f
	v_and_b32_e32 v23, 0x7f, v26
	v_cmp_ne_u32_e32 vcc, s9, v23
	v_mov_b32_e32 v31, 0x7f80
	s_and_saveexec_b64 s[20:21], vcc
	s_cbranch_execz .LBB697_380
; %bb.379:
	v_and_b32_e32 v31, 7, v26
	v_ffbh_u32_e32 v34, v31
	v_min_u32_e32 v36, 32, v34
	v_subrev_u32_e32 v34, 28, v36
	v_lshlrev_b64 v[34:35], v34, v[26:27]
	v_lshrrev_b32_e32 v33, 3, v23
	v_sub_u32_e32 v26, 29, v36
	v_and_b32_e32 v34, 7, v34
	v_cmp_gt_u32_e32 vcc, 8, v23
	v_cndmask_b32_e32 v23, v33, v26, vcc
	v_cndmask_b32_e32 v26, v31, v34, vcc
	v_lshlrev_b32_e32 v22, 16, v22
	v_bfrev_b32_e32 v31, 60
	v_lshlrev_b32_e32 v26, 20, v26
	v_and_b32_e32 v22, 0x80000000, v22
	v_lshl_add_u32 v23, v23, 23, v31
	v_or3_b32 v22, v22, v23, v26
	v_lshrrev_b32_e32 v31, 16, v22
.LBB697_380:
	s_or_b64 exec, exec, s[20:21]
.LBB697_381:
	s_or_b64 exec, exec, s[10:11]
.LBB697_382:
	s_or_b64 exec, exec, s[2:3]
	s_movk_i32 s2, 0xff
	v_and_b32_sdwa v33, v25, s2 dst_sel:DWORD dst_unused:UNUSED_PAD src0_sel:WORD_1 src1_sel:DWORD
	v_lshrrev_b32_e32 v22, 16, v25
	v_cmp_ne_u16_e32 vcc, 0, v33
	v_mov_b32_e32 v23, 0
	v_mov_b32_e32 v26, 0
	s_and_saveexec_b64 s[2:3], vcc
	s_cbranch_execz .LBB697_388
; %bb.383:
	s_movk_i32 s9, 0x80
	v_cmp_ne_u16_e32 vcc, s9, v33
	v_mov_b32_e32 v26, 0xffff8000
	s_and_saveexec_b64 s[10:11], vcc
	s_cbranch_execz .LBB697_387
; %bb.384:
	v_bfe_u32 v33, v25, 16, 7
	s_movk_i32 s9, 0x7f
	v_cmp_ne_u32_e32 vcc, s9, v33
	v_mov_b32_e32 v26, 0x7f80
	s_and_saveexec_b64 s[20:21], vcc
	s_cbranch_execz .LBB697_386
; %bb.385:
	v_and_b32_e32 v26, 7, v22
	v_ffbh_u32_e32 v34, v26
	v_min_u32_e32 v37, 32, v34
	v_subrev_u32_e32 v34, 28, v37
	v_lshlrev_b64 v[34:35], v34, v[22:23]
	v_lshrrev_b32_e32 v36, 3, v33
	v_sub_u32_e32 v22, 29, v37
	v_and_b32_e32 v34, 7, v34
	v_cmp_gt_u32_e32 vcc, 8, v33
	v_mov_b32_e32 v33, 24
	v_cndmask_b32_e32 v22, v36, v22, vcc
	v_cndmask_b32_e32 v26, v26, v34, vcc
	v_lshlrev_b32_sdwa v33, v33, v25 dst_sel:DWORD dst_unused:UNUSED_PAD src0_sel:DWORD src1_sel:WORD_1
	v_bfrev_b32_e32 v34, 60
	v_lshlrev_b32_e32 v26, 20, v26
	v_and_b32_e32 v33, 0x80000000, v33
	v_lshl_add_u32 v22, v22, 23, v34
	v_or3_b32 v22, v33, v22, v26
	v_lshrrev_b32_e32 v26, 16, v22
.LBB697_386:
	s_or_b64 exec, exec, s[20:21]
.LBB697_387:
	s_or_b64 exec, exec, s[10:11]
.LBB697_388:
	s_or_b64 exec, exec, s[2:3]
	s_mov_b32 s2, -1
	s_mov_b32 s3, 0xffffff
	v_cmp_lt_u64_e32 vcc, s[2:3], v[24:25]
	s_and_saveexec_b64 s[2:3], vcc
	s_cbranch_execz .LBB697_394
; %bb.389:
	v_lshrrev_b32_e32 v22, 24, v25
	s_movk_i32 s9, 0x80
	v_cmp_ne_u32_e32 vcc, s9, v22
	v_mov_b32_e32 v23, 0xffff8000
	s_and_saveexec_b64 s[10:11], vcc
	s_cbranch_execz .LBB697_393
; %bb.390:
	v_bfe_u32 v24, v25, 24, 7
	s_movk_i32 s9, 0x7f
	v_cmp_ne_u32_e32 vcc, s9, v24
	v_mov_b32_e32 v23, 0x7f80
	s_and_saveexec_b64 s[20:21], vcc
	s_cbranch_execz .LBB697_392
; %bb.391:
	v_and_b32_e32 v23, 7, v22
	v_ffbh_u32_e32 v33, v23
	v_min_u32_e32 v33, 32, v33
	v_subrev_u32_e32 v34, 28, v33
	v_lshlrev_b64 v[34:35], v34, v[22:23]
	v_lshrrev_b32_e32 v25, 3, v24
	v_sub_u32_e32 v33, 29, v33
	v_and_b32_e32 v34, 7, v34
	v_cmp_gt_u32_e32 vcc, 8, v24
	v_cndmask_b32_e32 v24, v25, v33, vcc
	v_cndmask_b32_e32 v23, v23, v34, vcc
	v_lshlrev_b32_e32 v22, 24, v22
	v_bfrev_b32_e32 v25, 60
	v_lshlrev_b32_e32 v23, 20, v23
	v_and_b32_e32 v22, 0x80000000, v22
	v_lshl_add_u32 v24, v24, 23, v25
	v_or3_b32 v22, v22, v24, v23
	v_lshrrev_b32_e32 v23, 16, v22
.LBB697_392:
	s_or_b64 exec, exec, s[20:21]
.LBB697_393:
	s_or_b64 exec, exec, s[10:11]
.LBB697_394:
	s_or_b64 exec, exec, s[2:3]
	s_mov_b32 s3, 0x5040100
	s_load_dword s2, s[4:5], 0x1c
	v_perm_b32 v25, v30, v29, s3
	v_perm_b32 v24, v27, v28, s3
	;; [unrolled: 1-line block ×4, first 2 shown]
	v_mfma_f32_4x4x4bf16_1k a[0:3], v[18:19], v[24:25], a[0:3] cbsz:4 abid:7
	s_load_dword s3, s[12:13], 0x0
	v_mfma_f32_4x4x4bf16_1k a[0:3], v[20:21], v[22:23], a[0:3] cbsz:4 abid:7
	s_waitcnt lgkmcnt(0)
	v_mov_b32_e32 v18, s2
	v_cmp_eq_u32_e32 vcc, 0, v43
	v_mul_f32_e32 v20, s3, v18
	s_nop 0
	v_accvgpr_read_b32 v23, a1
	v_accvgpr_read_b32 v22, a0
	v_pk_mul_f32 v[22:23], v[22:23], v[20:21] op_sel_hi:[1,0]
	v_accvgpr_read_b32 v19, a3
	v_accvgpr_read_b32 v18, a2
	v_pk_mul_f32 v[18:19], v[18:19], v[20:21] op_sel_hi:[1,0]
	v_cndmask_b32_e64 v20, 0, 1.0, vcc
	v_cmp_eq_u32_e32 vcc, 1, v43
	s_nop 0
	v_mfma_f32_4x4x1f32 a[0:3], v22, v20, 0
	v_cndmask_b32_e64 v20, 0, 1.0, vcc
	v_cmp_eq_u32_e32 vcc, 2, v43
	v_mov_b32_e32 v22, 0xff7fffff
	v_mfma_f32_4x4x1f32 a[0:3], v23, v20, a[0:3]
	v_cndmask_b32_e64 v20, 0, 1.0, vcc
	v_cmp_eq_u32_e32 vcc, 3, v43
	s_nop 0
	v_mfma_f32_4x4x1f32 a[0:3], v18, v20, a[0:3]
	v_cndmask_b32_e64 v18, 0, 1.0, vcc
	s_nop 1
	v_mfma_f32_4x4x1f32 a[0:3], v19, v18, a[0:3]
	v_and_b32_e32 v18, -4, v44
	v_cmp_gt_i32_e32 vcc, s7, v18
	v_lshlrev_b32_e32 v19, 2, v0
	v_and_or_b32 v19, v19, 48, v43
	v_lshlrev_b32_e32 v26, 2, v19
	v_accvgpr_read_b32 v20, a0
	v_max_f32_e32 v21, v20, v20
	v_max_f32_e32 v21, 0xff7fffff, v21
	v_accvgpr_read_b32 v23, a1
	v_cndmask_b32_e32 v21, v22, v21, vcc
	v_or_b32_e32 v22, 1, v18
	v_max_f32_e32 v24, v23, v23
	v_max_f32_e32 v24, v21, v24
	v_cmp_gt_i32_e64 s[2:3], s7, v22
	v_accvgpr_read_b32 v22, a2
	v_cndmask_b32_e64 v21, v21, v24, s[2:3]
	v_or_b32_e32 v18, 2, v18
	v_max_f32_e32 v24, v22, v22
	v_max_f32_e32 v24, v21, v24
	v_cmp_gt_i32_e64 s[4:5], s7, v18
	v_cndmask_b32_e64 v18, v21, v24, s[4:5]
	v_accvgpr_read_b32 v24, a3
	v_or_b32_e32 v21, 3, v44
	v_max_f32_e32 v25, v24, v24
	v_max_f32_e32 v25, v18, v25
	v_cmp_gt_i32_e64 s[10:11], s7, v21
	v_cndmask_b32_e64 v18, v18, v25, s[10:11]
	;;#ASMSTART
	v_nop
 v_nop
 v_max_f32_dpp v18, v18, v18 row_ror:4
	;;#ASMEND
	;;#ASMSTART
	v_nop
 v_nop
 v_max_f32_dpp v18, v18, v18 row_ror:8
	;;#ASMEND
	ds_bpermute_b32 v18, v26, v18
	s_waitcnt lgkmcnt(0)
	;;#ASMSTART
	v_nop
 v_nop
 v_max_f32_dpp v18, v18, v18 row_ror:4
	;;#ASMEND
	;;#ASMSTART
	v_nop
 v_nop
 v_max_f32_dpp v25, v18, v18 row_ror:8
	;;#ASMEND
	v_sub_f32_e32 v18, v20, v25
	v_mul_f32_e32 v18, 0x3fb8aa3b, v18
	v_sub_f32_e32 v19, v23, v25
	v_exp_f32_e32 v18, v18
	v_mul_f32_e32 v19, 0x3fb8aa3b, v19
	v_sub_f32_e32 v21, v22, v25
	v_exp_f32_e32 v19, v19
	;; [unrolled: 3-line block ×3, first 2 shown]
	v_mul_f32_e32 v22, 0x3fb8aa3b, v22
	v_exp_f32_e32 v22, v22
	v_cndmask_b32_e32 v18, 0, v18, vcc
	v_add_f32_e32 v20, 0, v18
	v_cndmask_b32_e64 v19, 0, v19, s[2:3]
	v_add_f32_e32 v23, v20, v19
	v_cndmask_b32_e64 v20, 0, v21, s[4:5]
	;; [unrolled: 2-line block ×3, first 2 shown]
	v_add_f32_e32 v22, v23, v21
	;;#ASMSTART
	v_nop
 v_nop
 v_add_f32_dpp v22, v22, v22 row_ror:4
	;;#ASMEND
	;;#ASMSTART
	v_nop
 v_nop
 v_add_f32_dpp v22, v22, v22 row_ror:8
	;;#ASMEND
	ds_bpermute_b32 v22, v26, v22
	s_waitcnt lgkmcnt(0)
	;;#ASMSTART
	v_nop
 v_nop
 v_add_f32_dpp v22, v22, v22 row_ror:4
	;;#ASMEND
	v_cmp_gt_u32_e32 vcc, 4, v42
	;;#ASMSTART
	v_nop
 v_nop
 v_add_f32_dpp v22, v22, v22 row_ror:8
	;;#ASMEND
	s_and_saveexec_b64 s[2:3], vcc
	s_cbranch_execz .LBB697_396
; %bb.395:
	v_mul_u32_u24_e32 v23, 20, v1
	v_lshl_add_u32 v23, v43, 2, v23
	v_add_u32_e32 v23, 0x800, v23
	ds_write2_b32 v23, v25, v22 offset0:128 offset1:148
.LBB697_396:
	s_or_b64 exec, exec, s[2:3]
.LBB697_397:
	s_or_b64 exec, exec, s[36:37]
	v_lshlrev_b32_e32 v22, 2, v43
	v_add_u32_e32 v24, 0x800, v22
	s_waitcnt lgkmcnt(0)
	s_barrier
	s_load_dword s2, s[34:35], 0x8
	ds_read2_b32 v[22:23], v24 offset0:128 offset1:133
	ds_read2_b32 v[28:29], v24 offset0:138 offset1:143
	s_mov_b32 s7, 0xff7fffff
	s_mul_i32 s3, s6, s33
	ds_read2_b32 v[30:31], v24 offset0:148 offset1:153
	s_waitcnt lgkmcnt(0)
	v_max3_f32 v26, v22, s7, v23
	v_max3_f32 v26, v26, v28, v29
	v_sub_f32_e32 v22, v22, v26
	v_mul_f32_e32 v22, 0x3fb8aa3b, v22
	v_exp_f32_e32 v27, v22
	v_sub_f32_e32 v22, v23, v26
	v_mul_f32_e32 v22, 0x3fb8aa3b, v22
	s_mul_i32 s3, s3, s2
	v_exp_f32_e32 v32, v22
	ds_read2_b32 v[22:23], v24 offset0:158 offset1:163
	v_sub_f32_e32 v24, v28, v26
	s_lshl_b32 s2, s3, 2
	s_mov_b32 s3, 0
	v_mul_f32_e32 v24, 0x3fb8aa3b, v24
	v_sub_f32_e32 v28, v29, v26
	s_lshl_b32 s10, s8, 2
	s_lshl_b64 s[4:5], s[2:3], 2
	v_exp_f32_e32 v24, v24
	v_mul_f32_e32 v28, 0x3fb8aa3b, v28
	s_mov_b32 s29, s3
	s_add_u32 s3, s16, s4
	v_exp_f32_e32 v28, v28
	s_addc_u32 s6, s17, s5
	v_fma_f32 v27, v27, v30, 0
	s_add_u32 s7, s18, s4
	v_fmac_f32_e32 v27, v32, v31
	s_addc_u32 s8, s19, s5
	s_lshl_b64 s[4:5], s[28:29], 2
	s_waitcnt lgkmcnt(0)
	v_fmac_f32_e32 v27, v24, v22
	v_or_b32_e32 v22, s10, v43
	s_add_u32 s7, s7, s4
	v_fmac_f32_e32 v27, v28, v23
	v_mul_lo_u32 v22, s33, v22
	v_mov_b32_e32 v23, 0
	s_addc_u32 s8, s8, s5
	v_lshlrev_b64 v[28:29], 2, v[22:23]
	s_add_u32 s3, s3, s4
	v_mov_b32_e32 v22, s8
	v_add_co_u32_e32 v30, vcc, s7, v28
	s_addc_u32 s4, s6, s5
	v_addc_co_u32_e32 v31, vcc, v22, v29, vcc
	v_mov_b32_e32 v22, s4
	v_add_co_u32_e32 v28, vcc, s3, v28
	v_addc_co_u32_e32 v29, vcc, v22, v29, vcc
	v_mov_b32_e32 v22, v23
	global_store_dword v[30:31], v26, off
	global_store_dword v[28:29], v27, off
	s_and_saveexec_b64 s[4:5], s[0:1]
	s_cbranch_execz .LBB697_783
; %bb.398:
	v_mov_b32_e32 v28, 0
	s_waitcnt vmcnt(5)
	v_cmp_ne_u16_sdwa s[6:7], v14, v28 src0_sel:BYTE_0 src1_sel:DWORD
	v_mov_b32_e32 v29, 0
	s_and_saveexec_b64 s[0:1], s[6:7]
	s_cbranch_execz .LBB697_404
; %bb.399:
	s_movk_i32 s3, 0x80
	v_cmp_ne_u16_sdwa s[8:9], v14, s3 src0_sel:BYTE_0 src1_sel:DWORD
	v_mov_b32_e32 v29, 0xffff8000
	s_and_saveexec_b64 s[6:7], s[8:9]
	s_cbranch_execz .LBB697_403
; %bb.400:
	s_movk_i32 s3, 0x7f
	v_and_b32_e32 v22, 0x7f, v14
	v_cmp_ne_u32_e32 vcc, s3, v22
	v_mov_b32_e32 v29, 0x7f80
	s_and_saveexec_b64 s[8:9], vcc
	s_cbranch_execz .LBB697_402
; %bb.401:
	v_and_b32_e32 v23, 7, v14
	v_ffbh_u32_e32 v23, v23
	v_min_u32_e32 v23, 32, v23
	v_subrev_u32_e32 v29, 28, v23
	v_cmp_gt_u32_e32 vcc, 8, v22
	v_lshrrev_b32_e32 v24, 3, v22
	v_sub_u32_e32 v23, 29, v23
	v_cndmask_b32_e32 v22, 0, v29, vcc
	v_cndmask_b32_e32 v24, v24, v23, vcc
	v_lshlrev_b64 v[22:23], v22, v[14:15]
	v_lshlrev_b32_e32 v22, 20, v22
	v_lshlrev_b32_e32 v23, 24, v14
	v_bfrev_b32_e32 v29, 60
	v_and_b32_e32 v22, 0x700000, v22
	v_and_b32_e32 v23, 0x80000000, v23
	v_lshl_add_u32 v24, v24, 23, v29
	v_or3_b32 v22, v23, v24, v22
	v_lshrrev_b32_e32 v29, 16, v22
.LBB697_402:
	s_or_b64 exec, exec, s[8:9]
.LBB697_403:
	s_or_b64 exec, exec, s[6:7]
.LBB697_404:
	s_or_b64 exec, exec, s[0:1]
	v_lshrrev_b16_e32 v22, 8, v14
	v_cmp_ne_u16_e32 vcc, 0, v22
	s_and_saveexec_b64 s[0:1], vcc
	s_cbranch_execz .LBB697_410
; %bb.405:
	s_movk_i32 s3, 0x80
	v_cmp_ne_u16_e32 vcc, s3, v22
	v_mov_b32_e32 v28, 0xffff8000
	s_and_saveexec_b64 s[6:7], vcc
	s_cbranch_execz .LBB697_409
; %bb.406:
	s_movk_i32 s3, 0x7f
	v_and_b32_e32 v23, 0x7f, v22
	v_cmp_ne_u32_e32 vcc, s3, v23
	v_mov_b32_e32 v28, 0x7f80
	s_and_saveexec_b64 s[8:9], vcc
	s_cbranch_execz .LBB697_408
; %bb.407:
	v_and_b32_e32 v24, 7, v22
	v_ffbh_u32_e32 v30, v24
	v_min_u32_e32 v32, 32, v30
	v_subrev_u32_e32 v30, 28, v32
	v_lshlrev_b64 v[30:31], v30, v[22:23]
	v_lshrrev_b32_e32 v28, 3, v23
	v_sub_u32_e32 v22, 29, v32
	v_and_b32_e32 v30, 7, v30
	v_cmp_gt_u32_e32 vcc, 8, v23
	v_cndmask_b32_e32 v22, v28, v22, vcc
	v_cndmask_b32_e32 v23, v24, v30, vcc
	v_lshlrev_b32_e32 v24, 16, v14
	v_bfrev_b32_e32 v28, 60
	v_lshlrev_b32_e32 v23, 20, v23
	v_and_b32_e32 v24, 0x80000000, v24
	v_lshl_add_u32 v22, v22, 23, v28
	v_or3_b32 v22, v24, v22, v23
	v_lshrrev_b32_e32 v28, 16, v22
.LBB697_408:
	s_or_b64 exec, exec, s[8:9]
.LBB697_409:
	s_or_b64 exec, exec, s[6:7]
.LBB697_410:
	s_or_b64 exec, exec, s[0:1]
	s_movk_i32 s0, 0xff
	v_and_b32_sdwa v24, v14, s0 dst_sel:DWORD dst_unused:UNUSED_PAD src0_sel:WORD_1 src1_sel:DWORD
	v_lshrrev_b32_e32 v22, 16, v14
	v_cmp_ne_u16_e32 vcc, 0, v24
	v_mov_b32_e32 v23, 0
	v_mov_b32_e32 v30, 0
	s_and_saveexec_b64 s[0:1], vcc
	s_cbranch_execz .LBB697_416
; %bb.411:
	s_movk_i32 s3, 0x80
	v_cmp_ne_u16_e32 vcc, s3, v24
	v_mov_b32_e32 v30, 0xffff8000
	s_and_saveexec_b64 s[6:7], vcc
	s_cbranch_execz .LBB697_415
; %bb.412:
	v_bfe_u32 v24, v14, 16, 7
	s_movk_i32 s3, 0x7f
	v_cmp_ne_u32_e32 vcc, s3, v24
	v_mov_b32_e32 v30, 0x7f80
	s_and_saveexec_b64 s[8:9], vcc
	s_cbranch_execz .LBB697_414
; %bb.413:
	v_and_b32_e32 v32, 7, v22
	v_ffbh_u32_e32 v30, v32
	v_min_u32_e32 v34, 32, v30
	v_subrev_u32_e32 v30, 28, v34
	v_lshlrev_b64 v[30:31], v30, v[22:23]
	v_and_b32_e32 v30, 7, v30
	v_cmp_gt_u32_e32 vcc, 8, v24
	v_lshrrev_b32_e32 v33, 3, v24
	v_sub_u32_e32 v22, 29, v34
	v_cndmask_b32_e32 v24, v32, v30, vcc
	v_mov_b32_e32 v30, 24
	v_cndmask_b32_e32 v22, v33, v22, vcc
	v_lshlrev_b32_sdwa v30, v30, v14 dst_sel:DWORD dst_unused:UNUSED_PAD src0_sel:DWORD src1_sel:WORD_1
	v_bfrev_b32_e32 v31, 60
	v_lshlrev_b32_e32 v24, 20, v24
	v_and_b32_e32 v30, 0x80000000, v30
	v_lshl_add_u32 v22, v22, 23, v31
	v_or3_b32 v22, v30, v22, v24
	v_lshrrev_b32_e32 v30, 16, v22
.LBB697_414:
	s_or_b64 exec, exec, s[8:9]
.LBB697_415:
	s_or_b64 exec, exec, s[6:7]
.LBB697_416:
	s_or_b64 exec, exec, s[0:1]
	s_mov_b32 s0, 0xffffff
	v_cmp_lt_u32_e32 vcc, s0, v14
	v_mov_b32_e32 v31, 0
	s_and_saveexec_b64 s[0:1], vcc
	s_cbranch_execz .LBB697_422
; %bb.417:
	v_lshrrev_b32_e32 v22, 24, v14
	s_movk_i32 s3, 0x80
	v_cmp_ne_u32_e32 vcc, s3, v22
	v_mov_b32_e32 v31, 0xffff8000
	s_and_saveexec_b64 s[6:7], vcc
	s_cbranch_execz .LBB697_421
; %bb.418:
	v_bfe_u32 v24, v14, 24, 7
	s_movk_i32 s3, 0x7f
	v_cmp_ne_u32_e32 vcc, s3, v24
	v_mov_b32_e32 v31, 0x7f80
	s_and_saveexec_b64 s[8:9], vcc
	s_cbranch_execz .LBB697_420
; %bb.419:
	v_and_b32_e32 v31, 7, v22
	v_ffbh_u32_e32 v32, v31
	v_min_u32_e32 v35, 32, v32
	v_subrev_u32_e32 v32, 28, v35
	v_lshlrev_b64 v[32:33], v32, v[22:23]
	v_lshrrev_b32_e32 v34, 3, v24
	v_sub_u32_e32 v33, 29, v35
	v_and_b32_e32 v32, 7, v32
	v_cmp_gt_u32_e32 vcc, 8, v24
	v_cndmask_b32_e32 v24, v34, v33, vcc
	v_cndmask_b32_e32 v31, v31, v32, vcc
	v_lshlrev_b32_e32 v22, 24, v22
	v_bfrev_b32_e32 v32, 60
	v_lshlrev_b32_e32 v31, 20, v31
	v_and_b32_e32 v22, 0x80000000, v22
	v_lshl_add_u32 v24, v24, 23, v32
	v_or3_b32 v22, v22, v24, v31
	v_lshrrev_b32_e32 v31, 16, v22
.LBB697_420:
	s_or_b64 exec, exec, s[8:9]
.LBB697_421:
	s_or_b64 exec, exec, s[6:7]
.LBB697_422:
	s_or_b64 exec, exec, s[0:1]
	v_mov_b32_e32 v32, 0
	v_mov_b32_e32 v22, v15
	v_cmp_ne_u16_sdwa s[6:7], v15, v32 src0_sel:BYTE_0 src1_sel:DWORD
	v_mov_b32_e32 v33, 0
	s_and_saveexec_b64 s[0:1], s[6:7]
	s_cbranch_execz .LBB697_428
; %bb.423:
	s_movk_i32 s3, 0x80
	v_cmp_ne_u16_sdwa s[8:9], v15, s3 src0_sel:BYTE_0 src1_sel:DWORD
	v_mov_b32_e32 v33, 0xffff8000
	s_and_saveexec_b64 s[6:7], s[8:9]
	s_cbranch_execz .LBB697_427
; %bb.424:
	s_movk_i32 s3, 0x7f
	v_and_b32_e32 v24, 0x7f, v15
	v_cmp_ne_u32_e32 vcc, s3, v24
	v_mov_b32_e32 v33, 0x7f80
	s_and_saveexec_b64 s[8:9], vcc
	s_cbranch_execz .LBB697_426
; %bb.425:
	v_and_b32_e32 v33, 7, v15
	v_ffbh_u32_e32 v33, v33
	v_min_u32_e32 v33, 32, v33
	v_lshrrev_b32_e32 v34, 3, v24
	v_subrev_u32_e32 v35, 28, v33
	v_sub_u32_e32 v33, 29, v33
	v_cmp_gt_u32_e32 vcc, 8, v24
	v_cndmask_b32_e32 v24, v34, v33, vcc
	v_cndmask_b32_e32 v33, 0, v35, vcc
	v_lshlrev_b64 v[34:35], v33, v[22:23]
	v_lshlrev_b32_e32 v23, 20, v34
	v_lshlrev_b32_e32 v33, 24, v22
	v_bfrev_b32_e32 v34, 60
	v_and_b32_e32 v23, 0x700000, v23
	v_and_b32_e32 v33, 0x80000000, v33
	v_lshl_add_u32 v24, v24, 23, v34
	v_or3_b32 v23, v33, v24, v23
	v_lshrrev_b32_e32 v33, 16, v23
.LBB697_426:
	s_or_b64 exec, exec, s[8:9]
.LBB697_427:
	s_or_b64 exec, exec, s[6:7]
.LBB697_428:
	s_or_b64 exec, exec, s[0:1]
	v_lshrrev_b16_e32 v24, 8, v22
	v_cmp_ne_u16_e32 vcc, 0, v24
	s_and_saveexec_b64 s[0:1], vcc
	s_cbranch_execz .LBB697_434
; %bb.429:
	s_movk_i32 s3, 0x80
	v_cmp_ne_u16_e32 vcc, s3, v24
	v_mov_b32_e32 v32, 0xffff8000
	s_and_saveexec_b64 s[6:7], vcc
	s_cbranch_execz .LBB697_433
; %bb.430:
	s_movk_i32 s3, 0x7f
	v_and_b32_e32 v23, 0x7f, v24
	v_cmp_ne_u32_e32 vcc, s3, v23
	v_mov_b32_e32 v32, 0x7f80
	s_and_saveexec_b64 s[8:9], vcc
	s_cbranch_execz .LBB697_432
; %bb.431:
	v_and_b32_e32 v32, 7, v24
	v_ffbh_u32_e32 v34, v32
	v_min_u32_e32 v37, 32, v34
	v_subrev_u32_e32 v34, 28, v37
	v_lshlrev_b64 v[34:35], v34, v[24:25]
	v_lshrrev_b32_e32 v36, 3, v23
	v_sub_u32_e32 v24, 29, v37
	v_and_b32_e32 v34, 7, v34
	v_cmp_gt_u32_e32 vcc, 8, v23
	v_cndmask_b32_e32 v23, v36, v24, vcc
	v_cndmask_b32_e32 v24, v32, v34, vcc
	v_lshlrev_b32_e32 v22, 16, v22
	v_bfrev_b32_e32 v32, 60
	v_lshlrev_b32_e32 v24, 20, v24
	v_and_b32_e32 v22, 0x80000000, v22
	v_lshl_add_u32 v23, v23, 23, v32
	v_or3_b32 v22, v22, v23, v24
	v_lshrrev_b32_e32 v32, 16, v22
.LBB697_432:
	s_or_b64 exec, exec, s[8:9]
.LBB697_433:
	s_or_b64 exec, exec, s[6:7]
.LBB697_434:
	s_or_b64 exec, exec, s[0:1]
	s_movk_i32 s0, 0xff
	v_and_b32_sdwa v34, v15, s0 dst_sel:DWORD dst_unused:UNUSED_PAD src0_sel:WORD_1 src1_sel:DWORD
	v_lshrrev_b32_e32 v22, 16, v15
	v_cmp_ne_u16_e32 vcc, 0, v34
	v_mov_b32_e32 v23, 0
	v_mov_b32_e32 v24, 0
	s_and_saveexec_b64 s[0:1], vcc
	s_cbranch_execz .LBB697_440
; %bb.435:
	s_movk_i32 s3, 0x80
	v_cmp_ne_u16_e32 vcc, s3, v34
	v_mov_b32_e32 v24, 0xffff8000
	s_and_saveexec_b64 s[6:7], vcc
	s_cbranch_execz .LBB697_439
; %bb.436:
	v_bfe_u32 v34, v15, 16, 7
	s_movk_i32 s3, 0x7f
	v_cmp_ne_u32_e32 vcc, s3, v34
	v_mov_b32_e32 v24, 0x7f80
	s_and_saveexec_b64 s[8:9], vcc
	s_cbranch_execz .LBB697_438
; %bb.437:
	v_and_b32_e32 v24, 7, v22
	v_ffbh_u32_e32 v36, v24
	v_min_u32_e32 v38, 32, v36
	v_subrev_u32_e32 v36, 28, v38
	v_lshlrev_b64 v[36:37], v36, v[22:23]
	v_lshrrev_b32_e32 v35, 3, v34
	v_sub_u32_e32 v22, 29, v38
	v_and_b32_e32 v36, 7, v36
	v_cmp_gt_u32_e32 vcc, 8, v34
	v_mov_b32_e32 v34, 24
	v_cndmask_b32_e32 v22, v35, v22, vcc
	v_cndmask_b32_e32 v24, v24, v36, vcc
	v_lshlrev_b32_sdwa v34, v34, v15 dst_sel:DWORD dst_unused:UNUSED_PAD src0_sel:DWORD src1_sel:WORD_1
	v_bfrev_b32_e32 v35, 60
	v_lshlrev_b32_e32 v24, 20, v24
	v_and_b32_e32 v34, 0x80000000, v34
	v_lshl_add_u32 v22, v22, 23, v35
	v_or3_b32 v22, v34, v22, v24
	v_lshrrev_b32_e32 v24, 16, v22
.LBB697_438:
	s_or_b64 exec, exec, s[8:9]
.LBB697_439:
	s_or_b64 exec, exec, s[6:7]
.LBB697_440:
	s_or_b64 exec, exec, s[0:1]
	s_mov_b32 s0, -1
	s_mov_b32 s1, 0xffffff
	v_cmp_lt_u64_e32 vcc, s[0:1], v[14:15]
	s_and_saveexec_b64 s[0:1], vcc
	s_cbranch_execz .LBB697_446
; %bb.441:
	v_lshrrev_b32_e32 v14, 24, v15
	s_movk_i32 s3, 0x80
	v_cmp_ne_u32_e32 vcc, s3, v14
	v_mov_b32_e32 v23, 0xffff8000
	s_and_saveexec_b64 s[6:7], vcc
	s_cbranch_execz .LBB697_445
; %bb.442:
	v_bfe_u32 v15, v15, 24, 7
	s_movk_i32 s3, 0x7f
	v_cmp_ne_u32_e32 vcc, s3, v15
	v_mov_b32_e32 v23, 0x7f80
	s_and_saveexec_b64 s[8:9], vcc
	s_cbranch_execz .LBB697_444
; %bb.443:
	v_and_b32_e32 v34, 7, v14
	v_ffbh_u32_e32 v22, v34
	v_min_u32_e32 v36, 32, v22
	v_subrev_u32_e32 v22, 28, v36
	v_lshlrev_b64 v[22:23], v22, v[14:15]
	v_lshrrev_b32_e32 v35, 3, v15
	v_sub_u32_e32 v23, 29, v36
	v_and_b32_e32 v22, 7, v22
	v_cmp_gt_u32_e32 vcc, 8, v15
	v_cndmask_b32_e32 v15, v35, v23, vcc
	v_cndmask_b32_e32 v22, v34, v22, vcc
	v_lshlrev_b32_e32 v14, 24, v14
	v_bfrev_b32_e32 v23, 60
	v_lshlrev_b32_e32 v22, 20, v22
	v_and_b32_e32 v14, 0x80000000, v14
	v_lshl_add_u32 v15, v15, 23, v23
	v_or3_b32 v14, v14, v15, v22
	v_lshrrev_b32_e32 v23, 16, v14
.LBB697_444:
	s_or_b64 exec, exec, s[8:9]
.LBB697_445:
	s_or_b64 exec, exec, s[6:7]
.LBB697_446:
	s_or_b64 exec, exec, s[0:1]
	v_add_f32_e32 v14, 0x358637bd, v27
	v_div_scale_f32 v15, s[0:1], v14, v14, 1.0
	v_rcp_f32_e32 v22, v15
	v_div_scale_f32 v27, vcc, 1.0, v14, 1.0
	v_sub_f32_e32 v25, v25, v26
	v_fma_f32 v34, -v15, v22, 1.0
	v_fmac_f32_e32 v22, v34, v22
	v_mul_f32_e32 v34, v27, v22
	v_fma_f32 v35, -v15, v34, v27
	v_mul_f32_e32 v25, 0x3fb8aa3b, v25
	v_fmac_f32_e32 v34, v35, v22
	v_exp_f32_e32 v25, v25
	v_fma_f32 v15, -v15, v34, v27
	v_div_fmas_f32 v15, v15, v22, v34
	v_div_fixup_f32 v14, v15, v14, 1.0
	v_mul_f32_e32 v14, v25, v14
	v_pk_mul_f32 v[20:21], v[20:21], v[14:15] op_sel_hi:[1,0]
	v_pk_mul_f32 v[14:15], v[18:19], v[14:15] op_sel_hi:[1,0]
	v_bfe_u32 v18, v15, 16, 1
	v_bfe_u32 v19, v14, 16, 1
	s_movk_i32 s0, 0x7fff
	v_add3_u32 v14, v14, v19, s0
	v_add3_u32 v15, v15, v18, s0
	s_mov_b32 s1, 0x7060302
	v_perm_b32 v14, v15, v14, s1
	v_bfe_u32 v15, v21, 16, 1
	v_bfe_u32 v18, v20, 16, 1
	v_add3_u32 v18, v20, v18, s0
	v_add3_u32 v15, v21, v15, s0
	v_perm_b32 v15, v15, v18, s1
	s_mov_b32 s0, 0x5040100
	v_perm_b32 v19, v31, v30, s0
	v_perm_b32 v18, v28, v29, s0
	;; [unrolled: 1-line block ×4, first 2 shown]
	v_mfma_f32_4x4x4bf16_1k a[0:3], v[14:15], v[18:19], 0 cbsz:4
	v_mov_b32_e32 v21, 0
	v_mfma_f32_4x4x4bf16_1k a[0:3], v[14:15], v[22:23], a[0:3] cbsz:4 abid:1
	v_mov_b32_e32 v22, 0
	v_cmp_ne_u16_sdwa s[6:7], v16, v22 src0_sel:BYTE_0 src1_sel:DWORD
	s_and_saveexec_b64 s[0:1], s[6:7]
	s_cbranch_execz .LBB697_452
; %bb.447:
	s_movk_i32 s3, 0x80
	v_cmp_ne_u16_sdwa s[8:9], v16, s3 src0_sel:BYTE_0 src1_sel:DWORD
	v_mov_b32_e32 v21, 0xffff8000
	s_and_saveexec_b64 s[6:7], s[8:9]
	s_cbranch_execz .LBB697_451
; %bb.448:
	s_movk_i32 s3, 0x7f
	v_and_b32_e32 v18, 0x7f, v16
	v_cmp_ne_u32_e32 vcc, s3, v18
	v_mov_b32_e32 v21, 0x7f80
	s_and_saveexec_b64 s[8:9], vcc
	s_cbranch_execz .LBB697_450
; %bb.449:
	v_and_b32_e32 v19, 7, v16
	v_ffbh_u32_e32 v19, v19
	v_min_u32_e32 v19, 32, v19
	v_subrev_u32_e32 v21, 28, v19
	v_cmp_gt_u32_e32 vcc, 8, v18
	v_lshrrev_b32_e32 v20, 3, v18
	v_sub_u32_e32 v19, 29, v19
	v_cndmask_b32_e32 v18, 0, v21, vcc
	v_cndmask_b32_e32 v20, v20, v19, vcc
	v_lshlrev_b64 v[18:19], v18, v[16:17]
	v_lshlrev_b32_e32 v18, 20, v18
	v_lshlrev_b32_e32 v19, 24, v16
	v_bfrev_b32_e32 v21, 60
	v_and_b32_e32 v18, 0x700000, v18
	v_and_b32_e32 v19, 0x80000000, v19
	v_lshl_add_u32 v20, v20, 23, v21
	v_or3_b32 v18, v19, v20, v18
	v_lshrrev_b32_e32 v21, 16, v18
.LBB697_450:
	s_or_b64 exec, exec, s[8:9]
.LBB697_451:
	s_or_b64 exec, exec, s[6:7]
.LBB697_452:
	s_or_b64 exec, exec, s[0:1]
	v_lshrrev_b16_e32 v18, 8, v16
	v_cmp_ne_u16_e32 vcc, 0, v18
	s_and_saveexec_b64 s[0:1], vcc
	s_cbranch_execz .LBB697_458
; %bb.453:
	s_movk_i32 s3, 0x80
	v_cmp_ne_u16_e32 vcc, s3, v18
	v_mov_b32_e32 v22, 0xffff8000
	s_and_saveexec_b64 s[6:7], vcc
	s_cbranch_execz .LBB697_457
; %bb.454:
	s_movk_i32 s3, 0x7f
	v_and_b32_e32 v19, 0x7f, v18
	v_cmp_ne_u32_e32 vcc, s3, v19
	v_mov_b32_e32 v22, 0x7f80
	s_and_saveexec_b64 s[8:9], vcc
	s_cbranch_execz .LBB697_456
; %bb.455:
	v_and_b32_e32 v20, 7, v18
	v_ffbh_u32_e32 v22, v20
	v_min_u32_e32 v25, 32, v22
	v_subrev_u32_e32 v22, 28, v25
	v_lshlrev_b64 v[22:23], v22, v[18:19]
	v_lshrrev_b32_e32 v24, 3, v19
	v_sub_u32_e32 v18, 29, v25
	v_and_b32_e32 v22, 7, v22
	v_cmp_gt_u32_e32 vcc, 8, v19
	v_cndmask_b32_e32 v18, v24, v18, vcc
	v_cndmask_b32_e32 v19, v20, v22, vcc
	v_lshlrev_b32_e32 v20, 16, v16
	v_bfrev_b32_e32 v22, 60
	v_lshlrev_b32_e32 v19, 20, v19
	v_and_b32_e32 v20, 0x80000000, v20
	v_lshl_add_u32 v18, v18, 23, v22
	v_or3_b32 v18, v20, v18, v19
	v_lshrrev_b32_e32 v22, 16, v18
.LBB697_456:
	s_or_b64 exec, exec, s[8:9]
.LBB697_457:
	s_or_b64 exec, exec, s[6:7]
.LBB697_458:
	s_or_b64 exec, exec, s[0:1]
	s_movk_i32 s0, 0xff
	v_and_b32_sdwa v20, v16, s0 dst_sel:DWORD dst_unused:UNUSED_PAD src0_sel:WORD_1 src1_sel:DWORD
	v_lshrrev_b32_e32 v18, 16, v16
	v_cmp_ne_u16_e32 vcc, 0, v20
	v_mov_b32_e32 v19, 0
	v_mov_b32_e32 v23, 0
	s_and_saveexec_b64 s[0:1], vcc
	s_cbranch_execz .LBB697_464
; %bb.459:
	s_movk_i32 s3, 0x80
	v_cmp_ne_u16_e32 vcc, s3, v20
	v_mov_b32_e32 v23, 0xffff8000
	s_and_saveexec_b64 s[6:7], vcc
	s_cbranch_execz .LBB697_463
; %bb.460:
	v_bfe_u32 v20, v16, 16, 7
	s_movk_i32 s3, 0x7f
	v_cmp_ne_u32_e32 vcc, s3, v20
	v_mov_b32_e32 v23, 0x7f80
	s_and_saveexec_b64 s[8:9], vcc
	s_cbranch_execz .LBB697_462
; %bb.461:
	v_and_b32_e32 v23, 7, v18
	v_ffbh_u32_e32 v24, v23
	v_min_u32_e32 v27, 32, v24
	v_subrev_u32_e32 v24, 28, v27
	v_lshlrev_b64 v[24:25], v24, v[18:19]
	v_and_b32_e32 v24, 7, v24
	v_cmp_gt_u32_e32 vcc, 8, v20
	v_lshrrev_b32_e32 v26, 3, v20
	v_sub_u32_e32 v18, 29, v27
	v_cndmask_b32_e32 v20, v23, v24, vcc
	v_mov_b32_e32 v23, 24
	v_cndmask_b32_e32 v18, v26, v18, vcc
	v_lshlrev_b32_sdwa v23, v23, v16 dst_sel:DWORD dst_unused:UNUSED_PAD src0_sel:DWORD src1_sel:WORD_1
	v_bfrev_b32_e32 v24, 60
	v_lshlrev_b32_e32 v20, 20, v20
	v_and_b32_e32 v23, 0x80000000, v23
	v_lshl_add_u32 v18, v18, 23, v24
	v_or3_b32 v18, v23, v18, v20
	v_lshrrev_b32_e32 v23, 16, v18
.LBB697_462:
	s_or_b64 exec, exec, s[8:9]
.LBB697_463:
	s_or_b64 exec, exec, s[6:7]
.LBB697_464:
	s_or_b64 exec, exec, s[0:1]
	s_mov_b32 s0, 0xffffff
	v_cmp_lt_u32_e32 vcc, s0, v16
	v_mov_b32_e32 v24, 0
	s_and_saveexec_b64 s[0:1], vcc
	s_cbranch_execz .LBB697_470
; %bb.465:
	v_lshrrev_b32_e32 v18, 24, v16
	s_movk_i32 s3, 0x80
	v_cmp_ne_u32_e32 vcc, s3, v18
	v_mov_b32_e32 v24, 0xffff8000
	s_and_saveexec_b64 s[6:7], vcc
	s_cbranch_execz .LBB697_469
; %bb.466:
	v_bfe_u32 v20, v16, 24, 7
	s_movk_i32 s3, 0x7f
	v_cmp_ne_u32_e32 vcc, s3, v20
	v_mov_b32_e32 v24, 0x7f80
	s_and_saveexec_b64 s[8:9], vcc
	s_cbranch_execz .LBB697_468
; %bb.467:
	v_and_b32_e32 v26, 7, v18
	v_ffbh_u32_e32 v24, v26
	v_min_u32_e32 v28, 32, v24
	v_subrev_u32_e32 v24, 28, v28
	v_lshlrev_b64 v[24:25], v24, v[18:19]
	v_lshrrev_b32_e32 v27, 3, v20
	v_sub_u32_e32 v25, 29, v28
	v_and_b32_e32 v24, 7, v24
	v_cmp_gt_u32_e32 vcc, 8, v20
	v_cndmask_b32_e32 v20, v27, v25, vcc
	v_cndmask_b32_e32 v24, v26, v24, vcc
	v_lshlrev_b32_e32 v18, 24, v18
	v_bfrev_b32_e32 v25, 60
	v_lshlrev_b32_e32 v24, 20, v24
	v_and_b32_e32 v18, 0x80000000, v18
	v_lshl_add_u32 v20, v20, 23, v25
	v_or3_b32 v18, v18, v20, v24
	v_lshrrev_b32_e32 v24, 16, v18
.LBB697_468:
	s_or_b64 exec, exec, s[8:9]
.LBB697_469:
	s_or_b64 exec, exec, s[6:7]
.LBB697_470:
	s_or_b64 exec, exec, s[0:1]
	v_mov_b32_e32 v25, 0
	v_mov_b32_e32 v18, v17
	v_cmp_ne_u16_sdwa s[6:7], v17, v25 src0_sel:BYTE_0 src1_sel:DWORD
	v_mov_b32_e32 v26, 0
	s_and_saveexec_b64 s[0:1], s[6:7]
	s_cbranch_execz .LBB697_476
; %bb.471:
	s_movk_i32 s3, 0x80
	v_cmp_ne_u16_sdwa s[8:9], v17, s3 src0_sel:BYTE_0 src1_sel:DWORD
	v_mov_b32_e32 v26, 0xffff8000
	s_and_saveexec_b64 s[6:7], s[8:9]
	s_cbranch_execz .LBB697_475
; %bb.472:
	s_movk_i32 s3, 0x7f
	v_and_b32_e32 v20, 0x7f, v17
	v_cmp_ne_u32_e32 vcc, s3, v20
	v_mov_b32_e32 v26, 0x7f80
	s_and_saveexec_b64 s[8:9], vcc
	s_cbranch_execz .LBB697_474
; %bb.473:
	v_and_b32_e32 v26, 7, v17
	v_ffbh_u32_e32 v26, v26
	v_min_u32_e32 v26, 32, v26
	v_lshrrev_b32_e32 v27, 3, v20
	v_subrev_u32_e32 v28, 28, v26
	v_sub_u32_e32 v26, 29, v26
	v_cmp_gt_u32_e32 vcc, 8, v20
	v_cndmask_b32_e32 v20, v27, v26, vcc
	v_cndmask_b32_e32 v26, 0, v28, vcc
	v_lshlrev_b64 v[26:27], v26, v[18:19]
	v_lshlrev_b32_e32 v19, 20, v26
	v_lshlrev_b32_e32 v26, 24, v18
	v_bfrev_b32_e32 v27, 60
	v_and_b32_e32 v19, 0x700000, v19
	v_and_b32_e32 v26, 0x80000000, v26
	v_lshl_add_u32 v20, v20, 23, v27
	v_or3_b32 v19, v26, v20, v19
	v_lshrrev_b32_e32 v26, 16, v19
.LBB697_474:
	s_or_b64 exec, exec, s[8:9]
.LBB697_475:
	s_or_b64 exec, exec, s[6:7]
.LBB697_476:
	s_or_b64 exec, exec, s[0:1]
	v_lshrrev_b16_e32 v20, 8, v18
	v_cmp_ne_u16_e32 vcc, 0, v20
	s_and_saveexec_b64 s[0:1], vcc
	s_cbranch_execz .LBB697_482
; %bb.477:
	s_movk_i32 s3, 0x80
	v_cmp_ne_u16_e32 vcc, s3, v20
	v_mov_b32_e32 v25, 0xffff8000
	s_and_saveexec_b64 s[6:7], vcc
	s_cbranch_execz .LBB697_481
; %bb.478:
	s_movk_i32 s3, 0x7f
	v_and_b32_e32 v19, 0x7f, v20
	v_cmp_ne_u32_e32 vcc, s3, v19
	v_mov_b32_e32 v25, 0x7f80
	s_and_saveexec_b64 s[8:9], vcc
	s_cbranch_execz .LBB697_480
; %bb.479:
	v_and_b32_e32 v25, 7, v20
	v_ffbh_u32_e32 v28, v25
	v_min_u32_e32 v30, 32, v28
	v_subrev_u32_e32 v28, 28, v30
	v_lshlrev_b64 v[28:29], v28, v[20:21]
	v_lshrrev_b32_e32 v27, 3, v19
	v_sub_u32_e32 v20, 29, v30
	v_and_b32_e32 v28, 7, v28
	v_cmp_gt_u32_e32 vcc, 8, v19
	v_cndmask_b32_e32 v19, v27, v20, vcc
	v_cndmask_b32_e32 v20, v25, v28, vcc
	v_lshlrev_b32_e32 v18, 16, v18
	v_bfrev_b32_e32 v25, 60
	v_lshlrev_b32_e32 v20, 20, v20
	v_and_b32_e32 v18, 0x80000000, v18
	v_lshl_add_u32 v19, v19, 23, v25
	v_or3_b32 v18, v18, v19, v20
	v_lshrrev_b32_e32 v25, 16, v18
.LBB697_480:
	s_or_b64 exec, exec, s[8:9]
.LBB697_481:
	s_or_b64 exec, exec, s[6:7]
.LBB697_482:
	s_or_b64 exec, exec, s[0:1]
	s_movk_i32 s0, 0xff
	v_and_b32_sdwa v27, v17, s0 dst_sel:DWORD dst_unused:UNUSED_PAD src0_sel:WORD_1 src1_sel:DWORD
	v_lshrrev_b32_e32 v18, 16, v17
	v_cmp_ne_u16_e32 vcc, 0, v27
	v_mov_b32_e32 v19, 0
	v_mov_b32_e32 v20, 0
	s_and_saveexec_b64 s[0:1], vcc
	s_cbranch_execz .LBB697_488
; %bb.483:
	s_movk_i32 s3, 0x80
	v_cmp_ne_u16_e32 vcc, s3, v27
	v_mov_b32_e32 v20, 0xffff8000
	s_and_saveexec_b64 s[6:7], vcc
	s_cbranch_execz .LBB697_487
; %bb.484:
	v_bfe_u32 v27, v17, 16, 7
	s_movk_i32 s3, 0x7f
	v_cmp_ne_u32_e32 vcc, s3, v27
	v_mov_b32_e32 v20, 0x7f80
	s_and_saveexec_b64 s[8:9], vcc
	s_cbranch_execz .LBB697_486
; %bb.485:
	v_and_b32_e32 v20, 7, v18
	v_ffbh_u32_e32 v28, v20
	v_min_u32_e32 v31, 32, v28
	v_subrev_u32_e32 v28, 28, v31
	v_lshlrev_b64 v[28:29], v28, v[18:19]
	v_lshrrev_b32_e32 v30, 3, v27
	v_sub_u32_e32 v18, 29, v31
	v_and_b32_e32 v28, 7, v28
	v_cmp_gt_u32_e32 vcc, 8, v27
	v_mov_b32_e32 v27, 24
	v_cndmask_b32_e32 v18, v30, v18, vcc
	v_cndmask_b32_e32 v20, v20, v28, vcc
	v_lshlrev_b32_sdwa v27, v27, v17 dst_sel:DWORD dst_unused:UNUSED_PAD src0_sel:DWORD src1_sel:WORD_1
	v_bfrev_b32_e32 v28, 60
	v_lshlrev_b32_e32 v20, 20, v20
	v_and_b32_e32 v27, 0x80000000, v27
	v_lshl_add_u32 v18, v18, 23, v28
	v_or3_b32 v18, v27, v18, v20
	v_lshrrev_b32_e32 v20, 16, v18
.LBB697_486:
	s_or_b64 exec, exec, s[8:9]
.LBB697_487:
	s_or_b64 exec, exec, s[6:7]
.LBB697_488:
	s_or_b64 exec, exec, s[0:1]
	s_mov_b32 s0, -1
	s_mov_b32 s1, 0xffffff
	v_cmp_lt_u64_e32 vcc, s[0:1], v[16:17]
	s_and_saveexec_b64 s[0:1], vcc
	s_cbranch_execz .LBB697_494
; %bb.489:
	v_lshrrev_b32_e32 v16, 24, v17
	s_movk_i32 s3, 0x80
	v_cmp_ne_u32_e32 vcc, s3, v16
	v_mov_b32_e32 v19, 0xffff8000
	s_and_saveexec_b64 s[6:7], vcc
	s_cbranch_execz .LBB697_493
; %bb.490:
	v_bfe_u32 v17, v17, 24, 7
	s_movk_i32 s3, 0x7f
	v_cmp_ne_u32_e32 vcc, s3, v17
	v_mov_b32_e32 v19, 0x7f80
	s_and_saveexec_b64 s[8:9], vcc
	s_cbranch_execz .LBB697_492
; %bb.491:
	v_and_b32_e32 v27, 7, v16
	v_ffbh_u32_e32 v18, v27
	v_min_u32_e32 v29, 32, v18
	v_subrev_u32_e32 v18, 28, v29
	v_lshlrev_b64 v[18:19], v18, v[16:17]
	v_lshrrev_b32_e32 v28, 3, v17
	v_sub_u32_e32 v19, 29, v29
	v_and_b32_e32 v18, 7, v18
	v_cmp_gt_u32_e32 vcc, 8, v17
	v_cndmask_b32_e32 v17, v28, v19, vcc
	v_cndmask_b32_e32 v18, v27, v18, vcc
	v_lshlrev_b32_e32 v16, 24, v16
	v_bfrev_b32_e32 v19, 60
	v_lshlrev_b32_e32 v18, 20, v18
	v_and_b32_e32 v16, 0x80000000, v16
	v_lshl_add_u32 v17, v17, 23, v19
	v_or3_b32 v16, v16, v17, v18
	v_lshrrev_b32_e32 v19, 16, v16
.LBB697_492:
	s_or_b64 exec, exec, s[8:9]
.LBB697_493:
	s_or_b64 exec, exec, s[6:7]
.LBB697_494:
	s_or_b64 exec, exec, s[0:1]
	s_mov_b32 s0, 0x5040100
	v_perm_b32 v17, v24, v23, s0
	v_perm_b32 v16, v22, v21, s0
	;; [unrolled: 1-line block ×4, first 2 shown]
	v_mfma_f32_4x4x4bf16_1k a[0:3], v[14:15], v[16:17], a[0:3] cbsz:4 abid:2
	v_mov_b32_e32 v20, 0
	v_mfma_f32_4x4x4bf16_1k a[0:3], v[14:15], v[18:19], a[0:3] cbsz:4 abid:3
	v_mov_b32_e32 v19, 0
	s_waitcnt vmcnt(4)
	v_cmp_ne_u16_sdwa s[6:7], v10, v19 src0_sel:BYTE_0 src1_sel:DWORD
	s_and_saveexec_b64 s[0:1], s[6:7]
	s_cbranch_execz .LBB697_500
; %bb.495:
	s_movk_i32 s3, 0x80
	v_cmp_ne_u16_sdwa s[8:9], v10, s3 src0_sel:BYTE_0 src1_sel:DWORD
	v_mov_b32_e32 v20, 0xffff8000
	s_and_saveexec_b64 s[6:7], s[8:9]
	s_cbranch_execz .LBB697_499
; %bb.496:
	s_movk_i32 s3, 0x7f
	v_and_b32_e32 v16, 0x7f, v10
	v_cmp_ne_u32_e32 vcc, s3, v16
	v_mov_b32_e32 v20, 0x7f80
	s_and_saveexec_b64 s[8:9], vcc
	s_cbranch_execz .LBB697_498
; %bb.497:
	v_and_b32_e32 v17, 7, v10
	v_ffbh_u32_e32 v17, v17
	v_min_u32_e32 v17, 32, v17
	v_subrev_u32_e32 v20, 28, v17
	v_cmp_gt_u32_e32 vcc, 8, v16
	v_lshrrev_b32_e32 v18, 3, v16
	v_sub_u32_e32 v17, 29, v17
	v_cndmask_b32_e32 v16, 0, v20, vcc
	v_cndmask_b32_e32 v18, v18, v17, vcc
	v_lshlrev_b64 v[16:17], v16, v[10:11]
	v_lshlrev_b32_e32 v16, 20, v16
	v_lshlrev_b32_e32 v17, 24, v10
	v_bfrev_b32_e32 v20, 60
	v_and_b32_e32 v16, 0x700000, v16
	v_and_b32_e32 v17, 0x80000000, v17
	v_lshl_add_u32 v18, v18, 23, v20
	v_or3_b32 v16, v17, v18, v16
	v_lshrrev_b32_e32 v20, 16, v16
.LBB697_498:
	s_or_b64 exec, exec, s[8:9]
.LBB697_499:
	s_or_b64 exec, exec, s[6:7]
.LBB697_500:
	s_or_b64 exec, exec, s[0:1]
	v_lshrrev_b16_e32 v16, 8, v10
	v_cmp_ne_u16_e32 vcc, 0, v16
	s_and_saveexec_b64 s[0:1], vcc
	s_cbranch_execz .LBB697_506
; %bb.501:
	s_movk_i32 s3, 0x80
	v_cmp_ne_u16_e32 vcc, s3, v16
	v_mov_b32_e32 v19, 0xffff8000
	s_and_saveexec_b64 s[6:7], vcc
	s_cbranch_execz .LBB697_505
; %bb.502:
	s_movk_i32 s3, 0x7f
	v_and_b32_e32 v17, 0x7f, v16
	v_cmp_ne_u32_e32 vcc, s3, v17
	v_mov_b32_e32 v19, 0x7f80
	s_and_saveexec_b64 s[8:9], vcc
	s_cbranch_execz .LBB697_504
; %bb.503:
	v_and_b32_e32 v21, 7, v16
	v_ffbh_u32_e32 v18, v21
	v_min_u32_e32 v23, 32, v18
	v_subrev_u32_e32 v18, 28, v23
	v_lshlrev_b64 v[18:19], v18, v[16:17]
	v_lshrrev_b32_e32 v22, 3, v17
	v_sub_u32_e32 v16, 29, v23
	v_and_b32_e32 v18, 7, v18
	v_cmp_gt_u32_e32 vcc, 8, v17
	v_cndmask_b32_e32 v16, v22, v16, vcc
	v_cndmask_b32_e32 v17, v21, v18, vcc
	v_lshlrev_b32_e32 v18, 16, v10
	v_bfrev_b32_e32 v19, 60
	v_lshlrev_b32_e32 v17, 20, v17
	v_and_b32_e32 v18, 0x80000000, v18
	v_lshl_add_u32 v16, v16, 23, v19
	v_or3_b32 v16, v18, v16, v17
	v_lshrrev_b32_e32 v19, 16, v16
.LBB697_504:
	s_or_b64 exec, exec, s[8:9]
.LBB697_505:
	s_or_b64 exec, exec, s[6:7]
.LBB697_506:
	s_or_b64 exec, exec, s[0:1]
	s_movk_i32 s0, 0xff
	v_and_b32_sdwa v18, v10, s0 dst_sel:DWORD dst_unused:UNUSED_PAD src0_sel:WORD_1 src1_sel:DWORD
	v_lshrrev_b32_e32 v16, 16, v10
	v_cmp_ne_u16_e32 vcc, 0, v18
	v_mov_b32_e32 v17, 0
	v_mov_b32_e32 v21, 0
	s_and_saveexec_b64 s[0:1], vcc
	s_cbranch_execz .LBB697_512
; %bb.507:
	s_movk_i32 s3, 0x80
	v_cmp_ne_u16_e32 vcc, s3, v18
	v_mov_b32_e32 v21, 0xffff8000
	s_and_saveexec_b64 s[6:7], vcc
	s_cbranch_execz .LBB697_511
; %bb.508:
	v_bfe_u32 v18, v10, 16, 7
	s_movk_i32 s3, 0x7f
	v_cmp_ne_u32_e32 vcc, s3, v18
	v_mov_b32_e32 v21, 0x7f80
	s_and_saveexec_b64 s[8:9], vcc
	s_cbranch_execz .LBB697_510
; %bb.509:
	v_and_b32_e32 v21, 7, v16
	v_ffbh_u32_e32 v22, v21
	v_min_u32_e32 v25, 32, v22
	v_subrev_u32_e32 v22, 28, v25
	v_lshlrev_b64 v[22:23], v22, v[16:17]
	v_and_b32_e32 v22, 7, v22
	v_cmp_gt_u32_e32 vcc, 8, v18
	v_lshrrev_b32_e32 v24, 3, v18
	v_sub_u32_e32 v16, 29, v25
	v_cndmask_b32_e32 v18, v21, v22, vcc
	v_mov_b32_e32 v21, 24
	v_cndmask_b32_e32 v16, v24, v16, vcc
	v_lshlrev_b32_sdwa v21, v21, v10 dst_sel:DWORD dst_unused:UNUSED_PAD src0_sel:DWORD src1_sel:WORD_1
	v_bfrev_b32_e32 v22, 60
	v_lshlrev_b32_e32 v18, 20, v18
	v_and_b32_e32 v21, 0x80000000, v21
	v_lshl_add_u32 v16, v16, 23, v22
	v_or3_b32 v16, v21, v16, v18
	v_lshrrev_b32_e32 v21, 16, v16
.LBB697_510:
	s_or_b64 exec, exec, s[8:9]
.LBB697_511:
	s_or_b64 exec, exec, s[6:7]
.LBB697_512:
	s_or_b64 exec, exec, s[0:1]
	s_mov_b32 s0, 0xffffff
	v_cmp_lt_u32_e32 vcc, s0, v10
	v_mov_b32_e32 v22, 0
	s_and_saveexec_b64 s[0:1], vcc
	s_cbranch_execz .LBB697_518
; %bb.513:
	v_lshrrev_b32_e32 v16, 24, v10
	s_movk_i32 s3, 0x80
	v_cmp_ne_u32_e32 vcc, s3, v16
	v_mov_b32_e32 v22, 0xffff8000
	s_and_saveexec_b64 s[6:7], vcc
	s_cbranch_execz .LBB697_517
; %bb.514:
	v_bfe_u32 v18, v10, 24, 7
	s_movk_i32 s3, 0x7f
	v_cmp_ne_u32_e32 vcc, s3, v18
	v_mov_b32_e32 v22, 0x7f80
	s_and_saveexec_b64 s[8:9], vcc
	s_cbranch_execz .LBB697_516
; %bb.515:
	v_and_b32_e32 v24, 7, v16
	v_ffbh_u32_e32 v22, v24
	v_min_u32_e32 v26, 32, v22
	v_subrev_u32_e32 v22, 28, v26
	v_lshlrev_b64 v[22:23], v22, v[16:17]
	v_lshrrev_b32_e32 v25, 3, v18
	v_sub_u32_e32 v23, 29, v26
	v_and_b32_e32 v22, 7, v22
	v_cmp_gt_u32_e32 vcc, 8, v18
	v_cndmask_b32_e32 v18, v25, v23, vcc
	v_cndmask_b32_e32 v22, v24, v22, vcc
	v_lshlrev_b32_e32 v16, 24, v16
	v_bfrev_b32_e32 v23, 60
	v_lshlrev_b32_e32 v22, 20, v22
	v_and_b32_e32 v16, 0x80000000, v16
	v_lshl_add_u32 v18, v18, 23, v23
	v_or3_b32 v16, v16, v18, v22
	v_lshrrev_b32_e32 v22, 16, v16
.LBB697_516:
	s_or_b64 exec, exec, s[8:9]
.LBB697_517:
	s_or_b64 exec, exec, s[6:7]
.LBB697_518:
	s_or_b64 exec, exec, s[0:1]
	v_mov_b32_e32 v23, 0
	v_mov_b32_e32 v16, v11
	v_cmp_ne_u16_sdwa s[6:7], v11, v23 src0_sel:BYTE_0 src1_sel:DWORD
	v_mov_b32_e32 v24, 0
	s_and_saveexec_b64 s[0:1], s[6:7]
	s_cbranch_execz .LBB697_524
; %bb.519:
	s_movk_i32 s3, 0x80
	v_cmp_ne_u16_sdwa s[8:9], v11, s3 src0_sel:BYTE_0 src1_sel:DWORD
	v_mov_b32_e32 v24, 0xffff8000
	s_and_saveexec_b64 s[6:7], s[8:9]
	s_cbranch_execz .LBB697_523
; %bb.520:
	s_movk_i32 s3, 0x7f
	v_and_b32_e32 v18, 0x7f, v11
	v_cmp_ne_u32_e32 vcc, s3, v18
	v_mov_b32_e32 v24, 0x7f80
	s_and_saveexec_b64 s[8:9], vcc
	s_cbranch_execz .LBB697_522
; %bb.521:
	v_and_b32_e32 v24, 7, v11
	v_ffbh_u32_e32 v24, v24
	v_min_u32_e32 v24, 32, v24
	v_lshrrev_b32_e32 v25, 3, v18
	v_subrev_u32_e32 v26, 28, v24
	v_sub_u32_e32 v24, 29, v24
	v_cmp_gt_u32_e32 vcc, 8, v18
	v_cndmask_b32_e32 v18, v25, v24, vcc
	v_cndmask_b32_e32 v24, 0, v26, vcc
	v_lshlrev_b64 v[24:25], v24, v[16:17]
	v_lshlrev_b32_e32 v17, 20, v24
	v_lshlrev_b32_e32 v24, 24, v16
	v_bfrev_b32_e32 v25, 60
	v_and_b32_e32 v17, 0x700000, v17
	v_and_b32_e32 v24, 0x80000000, v24
	v_lshl_add_u32 v18, v18, 23, v25
	v_or3_b32 v17, v24, v18, v17
	v_lshrrev_b32_e32 v24, 16, v17
.LBB697_522:
	s_or_b64 exec, exec, s[8:9]
.LBB697_523:
	s_or_b64 exec, exec, s[6:7]
.LBB697_524:
	s_or_b64 exec, exec, s[0:1]
	v_lshrrev_b16_e32 v18, 8, v16
	v_cmp_ne_u16_e32 vcc, 0, v18
	s_and_saveexec_b64 s[0:1], vcc
	s_cbranch_execz .LBB697_530
; %bb.525:
	s_movk_i32 s3, 0x80
	v_cmp_ne_u16_e32 vcc, s3, v18
	v_mov_b32_e32 v23, 0xffff8000
	s_and_saveexec_b64 s[6:7], vcc
	s_cbranch_execz .LBB697_529
; %bb.526:
	s_movk_i32 s3, 0x7f
	v_and_b32_e32 v17, 0x7f, v18
	v_cmp_ne_u32_e32 vcc, s3, v17
	v_mov_b32_e32 v23, 0x7f80
	s_and_saveexec_b64 s[8:9], vcc
	s_cbranch_execz .LBB697_528
; %bb.527:
	v_and_b32_e32 v23, 7, v18
	v_ffbh_u32_e32 v26, v23
	v_min_u32_e32 v28, 32, v26
	v_subrev_u32_e32 v26, 28, v28
	v_lshlrev_b64 v[26:27], v26, v[18:19]
	v_lshrrev_b32_e32 v25, 3, v17
	v_sub_u32_e32 v18, 29, v28
	v_and_b32_e32 v26, 7, v26
	v_cmp_gt_u32_e32 vcc, 8, v17
	v_cndmask_b32_e32 v17, v25, v18, vcc
	v_cndmask_b32_e32 v18, v23, v26, vcc
	v_lshlrev_b32_e32 v16, 16, v16
	v_bfrev_b32_e32 v23, 60
	v_lshlrev_b32_e32 v18, 20, v18
	v_and_b32_e32 v16, 0x80000000, v16
	v_lshl_add_u32 v17, v17, 23, v23
	v_or3_b32 v16, v16, v17, v18
	v_lshrrev_b32_e32 v23, 16, v16
.LBB697_528:
	s_or_b64 exec, exec, s[8:9]
.LBB697_529:
	s_or_b64 exec, exec, s[6:7]
.LBB697_530:
	s_or_b64 exec, exec, s[0:1]
	s_movk_i32 s0, 0xff
	v_and_b32_sdwa v25, v11, s0 dst_sel:DWORD dst_unused:UNUSED_PAD src0_sel:WORD_1 src1_sel:DWORD
	v_lshrrev_b32_e32 v16, 16, v11
	v_cmp_ne_u16_e32 vcc, 0, v25
	v_mov_b32_e32 v17, 0
	v_mov_b32_e32 v18, 0
	s_and_saveexec_b64 s[0:1], vcc
	s_cbranch_execz .LBB697_536
; %bb.531:
	s_movk_i32 s3, 0x80
	v_cmp_ne_u16_e32 vcc, s3, v25
	v_mov_b32_e32 v18, 0xffff8000
	s_and_saveexec_b64 s[6:7], vcc
	s_cbranch_execz .LBB697_535
; %bb.532:
	v_bfe_u32 v25, v11, 16, 7
	s_movk_i32 s3, 0x7f
	v_cmp_ne_u32_e32 vcc, s3, v25
	v_mov_b32_e32 v18, 0x7f80
	s_and_saveexec_b64 s[8:9], vcc
	s_cbranch_execz .LBB697_534
; %bb.533:
	v_and_b32_e32 v18, 7, v16
	v_ffbh_u32_e32 v26, v18
	v_min_u32_e32 v29, 32, v26
	v_subrev_u32_e32 v26, 28, v29
	v_lshlrev_b64 v[26:27], v26, v[16:17]
	v_lshrrev_b32_e32 v28, 3, v25
	v_sub_u32_e32 v16, 29, v29
	v_and_b32_e32 v26, 7, v26
	v_cmp_gt_u32_e32 vcc, 8, v25
	v_mov_b32_e32 v25, 24
	v_cndmask_b32_e32 v16, v28, v16, vcc
	v_cndmask_b32_e32 v18, v18, v26, vcc
	v_lshlrev_b32_sdwa v25, v25, v11 dst_sel:DWORD dst_unused:UNUSED_PAD src0_sel:DWORD src1_sel:WORD_1
	v_bfrev_b32_e32 v26, 60
	v_lshlrev_b32_e32 v18, 20, v18
	v_and_b32_e32 v25, 0x80000000, v25
	v_lshl_add_u32 v16, v16, 23, v26
	v_or3_b32 v16, v25, v16, v18
	v_lshrrev_b32_e32 v18, 16, v16
.LBB697_534:
	s_or_b64 exec, exec, s[8:9]
.LBB697_535:
	s_or_b64 exec, exec, s[6:7]
.LBB697_536:
	s_or_b64 exec, exec, s[0:1]
	s_mov_b32 s0, -1
	s_mov_b32 s1, 0xffffff
	v_cmp_lt_u64_e32 vcc, s[0:1], v[10:11]
	s_and_saveexec_b64 s[0:1], vcc
	s_cbranch_execz .LBB697_542
; %bb.537:
	v_lshrrev_b32_e32 v10, 24, v11
	s_movk_i32 s3, 0x80
	v_cmp_ne_u32_e32 vcc, s3, v10
	v_mov_b32_e32 v17, 0xffff8000
	s_and_saveexec_b64 s[6:7], vcc
	s_cbranch_execz .LBB697_541
; %bb.538:
	v_bfe_u32 v11, v11, 24, 7
	s_movk_i32 s3, 0x7f
	v_cmp_ne_u32_e32 vcc, s3, v11
	v_mov_b32_e32 v17, 0x7f80
	s_and_saveexec_b64 s[8:9], vcc
	s_cbranch_execz .LBB697_540
; %bb.539:
	v_and_b32_e32 v25, 7, v10
	v_ffbh_u32_e32 v16, v25
	v_min_u32_e32 v27, 32, v16
	v_subrev_u32_e32 v16, 28, v27
	v_lshlrev_b64 v[16:17], v16, v[10:11]
	v_lshrrev_b32_e32 v26, 3, v11
	v_sub_u32_e32 v17, 29, v27
	v_and_b32_e32 v16, 7, v16
	v_cmp_gt_u32_e32 vcc, 8, v11
	v_cndmask_b32_e32 v11, v26, v17, vcc
	v_cndmask_b32_e32 v16, v25, v16, vcc
	v_lshlrev_b32_e32 v10, 24, v10
	v_bfrev_b32_e32 v17, 60
	v_lshlrev_b32_e32 v16, 20, v16
	v_and_b32_e32 v10, 0x80000000, v10
	v_lshl_add_u32 v11, v11, 23, v17
	v_or3_b32 v10, v10, v11, v16
	v_lshrrev_b32_e32 v17, 16, v10
.LBB697_540:
	s_or_b64 exec, exec, s[8:9]
.LBB697_541:
	s_or_b64 exec, exec, s[6:7]
.LBB697_542:
	s_or_b64 exec, exec, s[0:1]
	s_mov_b32 s0, 0x5040100
	v_perm_b32 v11, v22, v21, s0
	v_perm_b32 v10, v19, v20, s0
	;; [unrolled: 1-line block ×4, first 2 shown]
	v_mfma_f32_4x4x4bf16_1k a[0:3], v[14:15], v[10:11], a[0:3] cbsz:4 abid:4
	v_mov_b32_e32 v18, 0
	v_mfma_f32_4x4x4bf16_1k a[0:3], v[14:15], v[16:17], a[0:3] cbsz:4 abid:5
	v_mov_b32_e32 v17, 0
	v_cmp_ne_u16_sdwa s[6:7], v12, v17 src0_sel:BYTE_0 src1_sel:DWORD
	s_and_saveexec_b64 s[0:1], s[6:7]
	s_cbranch_execz .LBB697_548
; %bb.543:
	s_movk_i32 s3, 0x80
	v_cmp_ne_u16_sdwa s[8:9], v12, s3 src0_sel:BYTE_0 src1_sel:DWORD
	v_mov_b32_e32 v18, 0xffff8000
	s_and_saveexec_b64 s[6:7], s[8:9]
	s_cbranch_execz .LBB697_547
; %bb.544:
	s_movk_i32 s3, 0x7f
	v_and_b32_e32 v10, 0x7f, v12
	v_cmp_ne_u32_e32 vcc, s3, v10
	v_mov_b32_e32 v18, 0x7f80
	s_and_saveexec_b64 s[8:9], vcc
	s_cbranch_execz .LBB697_546
; %bb.545:
	v_and_b32_e32 v11, 7, v12
	v_ffbh_u32_e32 v11, v11
	v_min_u32_e32 v11, 32, v11
	v_subrev_u32_e32 v18, 28, v11
	v_cmp_gt_u32_e32 vcc, 8, v10
	v_lshrrev_b32_e32 v16, 3, v10
	v_sub_u32_e32 v11, 29, v11
	v_cndmask_b32_e32 v10, 0, v18, vcc
	v_cndmask_b32_e32 v16, v16, v11, vcc
	v_lshlrev_b64 v[10:11], v10, v[12:13]
	v_lshlrev_b32_e32 v10, 20, v10
	v_lshlrev_b32_e32 v11, 24, v12
	v_bfrev_b32_e32 v18, 60
	v_and_b32_e32 v10, 0x700000, v10
	v_and_b32_e32 v11, 0x80000000, v11
	v_lshl_add_u32 v16, v16, 23, v18
	v_or3_b32 v10, v11, v16, v10
	v_lshrrev_b32_e32 v18, 16, v10
.LBB697_546:
	s_or_b64 exec, exec, s[8:9]
.LBB697_547:
	s_or_b64 exec, exec, s[6:7]
.LBB697_548:
	s_or_b64 exec, exec, s[0:1]
	v_lshrrev_b16_e32 v10, 8, v12
	v_cmp_ne_u16_e32 vcc, 0, v10
	s_and_saveexec_b64 s[0:1], vcc
	s_cbranch_execz .LBB697_554
; %bb.549:
	s_movk_i32 s3, 0x80
	v_cmp_ne_u16_e32 vcc, s3, v10
	v_mov_b32_e32 v17, 0xffff8000
	s_and_saveexec_b64 s[6:7], vcc
	s_cbranch_execz .LBB697_553
; %bb.550:
	s_movk_i32 s3, 0x7f
	v_and_b32_e32 v11, 0x7f, v10
	v_cmp_ne_u32_e32 vcc, s3, v11
	v_mov_b32_e32 v17, 0x7f80
	s_and_saveexec_b64 s[8:9], vcc
	s_cbranch_execz .LBB697_552
; %bb.551:
	v_and_b32_e32 v19, 7, v10
	v_ffbh_u32_e32 v16, v19
	v_min_u32_e32 v21, 32, v16
	v_subrev_u32_e32 v16, 28, v21
	v_lshlrev_b64 v[16:17], v16, v[10:11]
	v_lshrrev_b32_e32 v20, 3, v11
	v_sub_u32_e32 v10, 29, v21
	v_and_b32_e32 v16, 7, v16
	v_cmp_gt_u32_e32 vcc, 8, v11
	v_cndmask_b32_e32 v10, v20, v10, vcc
	v_cndmask_b32_e32 v11, v19, v16, vcc
	v_lshlrev_b32_e32 v16, 16, v12
	v_bfrev_b32_e32 v17, 60
	v_lshlrev_b32_e32 v11, 20, v11
	v_and_b32_e32 v16, 0x80000000, v16
	v_lshl_add_u32 v10, v10, 23, v17
	v_or3_b32 v10, v16, v10, v11
	v_lshrrev_b32_e32 v17, 16, v10
.LBB697_552:
	s_or_b64 exec, exec, s[8:9]
.LBB697_553:
	s_or_b64 exec, exec, s[6:7]
.LBB697_554:
	s_or_b64 exec, exec, s[0:1]
	s_movk_i32 s0, 0xff
	v_and_b32_sdwa v16, v12, s0 dst_sel:DWORD dst_unused:UNUSED_PAD src0_sel:WORD_1 src1_sel:DWORD
	v_lshrrev_b32_e32 v10, 16, v12
	v_cmp_ne_u16_e32 vcc, 0, v16
	v_mov_b32_e32 v11, 0
	v_mov_b32_e32 v19, 0
	s_and_saveexec_b64 s[0:1], vcc
	s_cbranch_execz .LBB697_560
; %bb.555:
	s_movk_i32 s3, 0x80
	v_cmp_ne_u16_e32 vcc, s3, v16
	v_mov_b32_e32 v19, 0xffff8000
	s_and_saveexec_b64 s[6:7], vcc
	s_cbranch_execz .LBB697_559
; %bb.556:
	v_bfe_u32 v16, v12, 16, 7
	s_movk_i32 s3, 0x7f
	v_cmp_ne_u32_e32 vcc, s3, v16
	v_mov_b32_e32 v19, 0x7f80
	s_and_saveexec_b64 s[8:9], vcc
	s_cbranch_execz .LBB697_558
; %bb.557:
	v_and_b32_e32 v19, 7, v10
	v_ffbh_u32_e32 v20, v19
	v_min_u32_e32 v23, 32, v20
	v_subrev_u32_e32 v20, 28, v23
	v_lshlrev_b64 v[20:21], v20, v[10:11]
	v_and_b32_e32 v20, 7, v20
	v_cmp_gt_u32_e32 vcc, 8, v16
	v_lshrrev_b32_e32 v22, 3, v16
	v_sub_u32_e32 v10, 29, v23
	v_cndmask_b32_e32 v16, v19, v20, vcc
	v_mov_b32_e32 v19, 24
	v_cndmask_b32_e32 v10, v22, v10, vcc
	v_lshlrev_b32_sdwa v19, v19, v12 dst_sel:DWORD dst_unused:UNUSED_PAD src0_sel:DWORD src1_sel:WORD_1
	v_bfrev_b32_e32 v20, 60
	v_lshlrev_b32_e32 v16, 20, v16
	v_and_b32_e32 v19, 0x80000000, v19
	v_lshl_add_u32 v10, v10, 23, v20
	v_or3_b32 v10, v19, v10, v16
	v_lshrrev_b32_e32 v19, 16, v10
.LBB697_558:
	s_or_b64 exec, exec, s[8:9]
.LBB697_559:
	s_or_b64 exec, exec, s[6:7]
.LBB697_560:
	s_or_b64 exec, exec, s[0:1]
	s_mov_b32 s0, 0xffffff
	v_cmp_lt_u32_e32 vcc, s0, v12
	v_mov_b32_e32 v20, 0
	s_and_saveexec_b64 s[0:1], vcc
	s_cbranch_execz .LBB697_566
; %bb.561:
	v_lshrrev_b32_e32 v10, 24, v12
	s_movk_i32 s3, 0x80
	v_cmp_ne_u32_e32 vcc, s3, v10
	v_mov_b32_e32 v20, 0xffff8000
	s_and_saveexec_b64 s[6:7], vcc
	s_cbranch_execz .LBB697_565
; %bb.562:
	v_bfe_u32 v16, v12, 24, 7
	s_movk_i32 s3, 0x7f
	v_cmp_ne_u32_e32 vcc, s3, v16
	v_mov_b32_e32 v20, 0x7f80
	s_and_saveexec_b64 s[8:9], vcc
	s_cbranch_execz .LBB697_564
; %bb.563:
	v_and_b32_e32 v22, 7, v10
	v_ffbh_u32_e32 v20, v22
	v_min_u32_e32 v24, 32, v20
	v_subrev_u32_e32 v20, 28, v24
	v_lshlrev_b64 v[20:21], v20, v[10:11]
	v_lshrrev_b32_e32 v23, 3, v16
	v_sub_u32_e32 v21, 29, v24
	v_and_b32_e32 v20, 7, v20
	v_cmp_gt_u32_e32 vcc, 8, v16
	v_cndmask_b32_e32 v16, v23, v21, vcc
	v_cndmask_b32_e32 v20, v22, v20, vcc
	v_lshlrev_b32_e32 v10, 24, v10
	v_bfrev_b32_e32 v21, 60
	v_lshlrev_b32_e32 v20, 20, v20
	v_and_b32_e32 v10, 0x80000000, v10
	v_lshl_add_u32 v16, v16, 23, v21
	v_or3_b32 v10, v10, v16, v20
	v_lshrrev_b32_e32 v20, 16, v10
.LBB697_564:
	s_or_b64 exec, exec, s[8:9]
.LBB697_565:
	s_or_b64 exec, exec, s[6:7]
.LBB697_566:
	s_or_b64 exec, exec, s[0:1]
	v_mov_b32_e32 v21, 0
	v_mov_b32_e32 v10, v13
	v_cmp_ne_u16_sdwa s[6:7], v13, v21 src0_sel:BYTE_0 src1_sel:DWORD
	v_mov_b32_e32 v22, 0
	s_and_saveexec_b64 s[0:1], s[6:7]
	s_cbranch_execz .LBB697_572
; %bb.567:
	s_movk_i32 s3, 0x80
	v_cmp_ne_u16_sdwa s[8:9], v13, s3 src0_sel:BYTE_0 src1_sel:DWORD
	v_mov_b32_e32 v22, 0xffff8000
	s_and_saveexec_b64 s[6:7], s[8:9]
	s_cbranch_execz .LBB697_571
; %bb.568:
	s_movk_i32 s3, 0x7f
	v_and_b32_e32 v16, 0x7f, v13
	v_cmp_ne_u32_e32 vcc, s3, v16
	v_mov_b32_e32 v22, 0x7f80
	s_and_saveexec_b64 s[8:9], vcc
	s_cbranch_execz .LBB697_570
; %bb.569:
	v_and_b32_e32 v22, 7, v13
	v_ffbh_u32_e32 v22, v22
	v_min_u32_e32 v22, 32, v22
	v_lshrrev_b32_e32 v23, 3, v16
	v_subrev_u32_e32 v24, 28, v22
	v_sub_u32_e32 v22, 29, v22
	v_cmp_gt_u32_e32 vcc, 8, v16
	v_cndmask_b32_e32 v16, v23, v22, vcc
	v_cndmask_b32_e32 v22, 0, v24, vcc
	v_lshlrev_b64 v[22:23], v22, v[10:11]
	v_lshlrev_b32_e32 v11, 20, v22
	v_lshlrev_b32_e32 v22, 24, v10
	v_bfrev_b32_e32 v23, 60
	v_and_b32_e32 v11, 0x700000, v11
	v_and_b32_e32 v22, 0x80000000, v22
	v_lshl_add_u32 v16, v16, 23, v23
	v_or3_b32 v11, v22, v16, v11
	v_lshrrev_b32_e32 v22, 16, v11
.LBB697_570:
	s_or_b64 exec, exec, s[8:9]
.LBB697_571:
	s_or_b64 exec, exec, s[6:7]
.LBB697_572:
	s_or_b64 exec, exec, s[0:1]
	v_lshrrev_b16_e32 v16, 8, v10
	v_cmp_ne_u16_e32 vcc, 0, v16
	s_and_saveexec_b64 s[0:1], vcc
	s_cbranch_execz .LBB697_578
; %bb.573:
	s_movk_i32 s3, 0x80
	v_cmp_ne_u16_e32 vcc, s3, v16
	v_mov_b32_e32 v21, 0xffff8000
	s_and_saveexec_b64 s[6:7], vcc
	s_cbranch_execz .LBB697_577
; %bb.574:
	s_movk_i32 s3, 0x7f
	v_and_b32_e32 v11, 0x7f, v16
	v_cmp_ne_u32_e32 vcc, s3, v11
	v_mov_b32_e32 v21, 0x7f80
	s_and_saveexec_b64 s[8:9], vcc
	s_cbranch_execz .LBB697_576
; %bb.575:
	v_and_b32_e32 v21, 7, v16
	v_ffbh_u32_e32 v24, v21
	v_min_u32_e32 v26, 32, v24
	v_subrev_u32_e32 v24, 28, v26
	v_lshlrev_b64 v[24:25], v24, v[16:17]
	v_lshrrev_b32_e32 v23, 3, v11
	v_sub_u32_e32 v16, 29, v26
	v_and_b32_e32 v24, 7, v24
	v_cmp_gt_u32_e32 vcc, 8, v11
	v_cndmask_b32_e32 v11, v23, v16, vcc
	v_cndmask_b32_e32 v16, v21, v24, vcc
	v_lshlrev_b32_e32 v10, 16, v10
	v_bfrev_b32_e32 v21, 60
	v_lshlrev_b32_e32 v16, 20, v16
	v_and_b32_e32 v10, 0x80000000, v10
	v_lshl_add_u32 v11, v11, 23, v21
	v_or3_b32 v10, v10, v11, v16
	v_lshrrev_b32_e32 v21, 16, v10
.LBB697_576:
	s_or_b64 exec, exec, s[8:9]
.LBB697_577:
	s_or_b64 exec, exec, s[6:7]
.LBB697_578:
	s_or_b64 exec, exec, s[0:1]
	s_movk_i32 s0, 0xff
	v_and_b32_sdwa v23, v13, s0 dst_sel:DWORD dst_unused:UNUSED_PAD src0_sel:WORD_1 src1_sel:DWORD
	v_lshrrev_b32_e32 v10, 16, v13
	v_cmp_ne_u16_e32 vcc, 0, v23
	v_mov_b32_e32 v11, 0
	v_mov_b32_e32 v16, 0
	s_and_saveexec_b64 s[0:1], vcc
	s_cbranch_execz .LBB697_584
; %bb.579:
	s_movk_i32 s3, 0x80
	v_cmp_ne_u16_e32 vcc, s3, v23
	v_mov_b32_e32 v16, 0xffff8000
	s_and_saveexec_b64 s[6:7], vcc
	s_cbranch_execz .LBB697_583
; %bb.580:
	v_bfe_u32 v23, v13, 16, 7
	s_movk_i32 s3, 0x7f
	v_cmp_ne_u32_e32 vcc, s3, v23
	v_mov_b32_e32 v16, 0x7f80
	s_and_saveexec_b64 s[8:9], vcc
	s_cbranch_execz .LBB697_582
; %bb.581:
	v_and_b32_e32 v16, 7, v10
	v_ffbh_u32_e32 v24, v16
	v_min_u32_e32 v27, 32, v24
	v_subrev_u32_e32 v24, 28, v27
	v_lshlrev_b64 v[24:25], v24, v[10:11]
	v_lshrrev_b32_e32 v26, 3, v23
	v_sub_u32_e32 v10, 29, v27
	v_and_b32_e32 v24, 7, v24
	v_cmp_gt_u32_e32 vcc, 8, v23
	v_mov_b32_e32 v23, 24
	v_cndmask_b32_e32 v10, v26, v10, vcc
	v_cndmask_b32_e32 v16, v16, v24, vcc
	v_lshlrev_b32_sdwa v23, v23, v13 dst_sel:DWORD dst_unused:UNUSED_PAD src0_sel:DWORD src1_sel:WORD_1
	v_bfrev_b32_e32 v24, 60
	v_lshlrev_b32_e32 v16, 20, v16
	v_and_b32_e32 v23, 0x80000000, v23
	v_lshl_add_u32 v10, v10, 23, v24
	v_or3_b32 v10, v23, v10, v16
	v_lshrrev_b32_e32 v16, 16, v10
.LBB697_582:
	s_or_b64 exec, exec, s[8:9]
.LBB697_583:
	s_or_b64 exec, exec, s[6:7]
.LBB697_584:
	s_or_b64 exec, exec, s[0:1]
	s_mov_b32 s0, -1
	s_mov_b32 s1, 0xffffff
	v_cmp_lt_u64_e32 vcc, s[0:1], v[12:13]
	s_and_saveexec_b64 s[0:1], vcc
	s_cbranch_execz .LBB697_590
; %bb.585:
	v_lshrrev_b32_e32 v10, 24, v13
	s_movk_i32 s3, 0x80
	v_cmp_ne_u32_e32 vcc, s3, v10
	v_mov_b32_e32 v11, 0xffff8000
	s_and_saveexec_b64 s[6:7], vcc
	s_cbranch_execz .LBB697_589
; %bb.586:
	v_bfe_u32 v12, v13, 24, 7
	s_movk_i32 s3, 0x7f
	v_cmp_ne_u32_e32 vcc, s3, v12
	v_mov_b32_e32 v11, 0x7f80
	s_and_saveexec_b64 s[8:9], vcc
	s_cbranch_execz .LBB697_588
; %bb.587:
	v_and_b32_e32 v11, 7, v10
	v_ffbh_u32_e32 v23, v11
	v_min_u32_e32 v23, 32, v23
	v_subrev_u32_e32 v24, 28, v23
	v_lshlrev_b64 v[24:25], v24, v[10:11]
	v_lshrrev_b32_e32 v13, 3, v12
	v_sub_u32_e32 v23, 29, v23
	v_and_b32_e32 v24, 7, v24
	v_cmp_gt_u32_e32 vcc, 8, v12
	v_cndmask_b32_e32 v12, v13, v23, vcc
	v_cndmask_b32_e32 v11, v11, v24, vcc
	v_lshlrev_b32_e32 v10, 24, v10
	v_bfrev_b32_e32 v13, 60
	v_lshlrev_b32_e32 v11, 20, v11
	v_and_b32_e32 v10, 0x80000000, v10
	v_lshl_add_u32 v12, v12, 23, v13
	v_or3_b32 v10, v10, v12, v11
	v_lshrrev_b32_e32 v11, 16, v10
.LBB697_588:
	s_or_b64 exec, exec, s[8:9]
.LBB697_589:
	s_or_b64 exec, exec, s[6:7]
.LBB697_590:
	s_or_b64 exec, exec, s[0:1]
	s_mov_b32 s0, 0x5040100
	v_perm_b32 v13, v20, v19, s0
	v_perm_b32 v12, v17, v18, s0
	;; [unrolled: 1-line block ×4, first 2 shown]
	v_mfma_f32_4x4x4bf16_1k a[0:3], v[14:15], v[12:13], a[0:3] cbsz:4 abid:6
	v_mov_b32_e32 v13, 0
	v_mfma_f32_4x4x4bf16_1k a[0:3], v[14:15], v[10:11], a[0:3] cbsz:4 abid:7
	s_waitcnt vmcnt(3)
	v_cmp_ne_u16_sdwa s[6:7], v6, v13 src0_sel:BYTE_0 src1_sel:DWORD
	v_mov_b32_e32 v16, 0
	s_and_saveexec_b64 s[0:1], s[6:7]
	s_cbranch_execz .LBB697_596
; %bb.591:
	s_movk_i32 s3, 0x80
	v_cmp_ne_u16_sdwa s[8:9], v6, s3 src0_sel:BYTE_0 src1_sel:DWORD
	v_mov_b32_e32 v16, 0xffff8000
	s_and_saveexec_b64 s[6:7], s[8:9]
	s_cbranch_execz .LBB697_595
; %bb.592:
	s_movk_i32 s3, 0x7f
	v_and_b32_e32 v10, 0x7f, v6
	v_cmp_ne_u32_e32 vcc, s3, v10
	v_mov_b32_e32 v16, 0x7f80
	s_and_saveexec_b64 s[8:9], vcc
	s_cbranch_execz .LBB697_594
; %bb.593:
	v_and_b32_e32 v11, 7, v6
	v_ffbh_u32_e32 v11, v11
	v_min_u32_e32 v11, 32, v11
	v_subrev_u32_e32 v16, 28, v11
	v_cmp_gt_u32_e32 vcc, 8, v10
	v_lshrrev_b32_e32 v12, 3, v10
	v_sub_u32_e32 v11, 29, v11
	v_cndmask_b32_e32 v10, 0, v16, vcc
	v_cndmask_b32_e32 v12, v12, v11, vcc
	v_lshlrev_b64 v[10:11], v10, v[6:7]
	v_lshlrev_b32_e32 v10, 20, v10
	v_lshlrev_b32_e32 v11, 24, v6
	v_bfrev_b32_e32 v16, 60
	v_and_b32_e32 v10, 0x700000, v10
	v_and_b32_e32 v11, 0x80000000, v11
	v_lshl_add_u32 v12, v12, 23, v16
	v_or3_b32 v10, v11, v12, v10
	v_lshrrev_b32_e32 v16, 16, v10
.LBB697_594:
	s_or_b64 exec, exec, s[8:9]
.LBB697_595:
	s_or_b64 exec, exec, s[6:7]
.LBB697_596:
	s_or_b64 exec, exec, s[0:1]
	v_lshrrev_b16_e32 v10, 8, v6
	v_cmp_ne_u16_e32 vcc, 0, v10
	s_and_saveexec_b64 s[0:1], vcc
	s_cbranch_execz .LBB697_602
; %bb.597:
	s_movk_i32 s3, 0x80
	v_cmp_ne_u16_e32 vcc, s3, v10
	v_mov_b32_e32 v13, 0xffff8000
	s_and_saveexec_b64 s[6:7], vcc
	s_cbranch_execz .LBB697_601
; %bb.598:
	s_movk_i32 s3, 0x7f
	v_and_b32_e32 v11, 0x7f, v10
	v_cmp_ne_u32_e32 vcc, s3, v11
	v_mov_b32_e32 v13, 0x7f80
	s_and_saveexec_b64 s[8:9], vcc
	s_cbranch_execz .LBB697_600
; %bb.599:
	v_and_b32_e32 v17, 7, v10
	v_ffbh_u32_e32 v12, v17
	v_min_u32_e32 v19, 32, v12
	v_subrev_u32_e32 v12, 28, v19
	v_lshlrev_b64 v[12:13], v12, v[10:11]
	v_lshrrev_b32_e32 v18, 3, v11
	v_sub_u32_e32 v10, 29, v19
	v_and_b32_e32 v12, 7, v12
	v_cmp_gt_u32_e32 vcc, 8, v11
	v_cndmask_b32_e32 v10, v18, v10, vcc
	v_cndmask_b32_e32 v11, v17, v12, vcc
	v_lshlrev_b32_e32 v12, 16, v6
	v_bfrev_b32_e32 v13, 60
	v_lshlrev_b32_e32 v11, 20, v11
	v_and_b32_e32 v12, 0x80000000, v12
	v_lshl_add_u32 v10, v10, 23, v13
	v_or3_b32 v10, v12, v10, v11
	v_lshrrev_b32_e32 v13, 16, v10
.LBB697_600:
	s_or_b64 exec, exec, s[8:9]
.LBB697_601:
	s_or_b64 exec, exec, s[6:7]
.LBB697_602:
	s_or_b64 exec, exec, s[0:1]
	s_movk_i32 s0, 0xff
	v_and_b32_sdwa v12, v6, s0 dst_sel:DWORD dst_unused:UNUSED_PAD src0_sel:WORD_1 src1_sel:DWORD
	v_lshrrev_b32_e32 v10, 16, v6
	v_cmp_ne_u16_e32 vcc, 0, v12
	v_mov_b32_e32 v11, 0
	v_mov_b32_e32 v17, 0
	s_and_saveexec_b64 s[0:1], vcc
	s_cbranch_execz .LBB697_608
; %bb.603:
	s_movk_i32 s3, 0x80
	v_cmp_ne_u16_e32 vcc, s3, v12
	v_mov_b32_e32 v17, 0xffff8000
	s_and_saveexec_b64 s[6:7], vcc
	s_cbranch_execz .LBB697_607
; %bb.604:
	v_bfe_u32 v12, v6, 16, 7
	s_movk_i32 s3, 0x7f
	v_cmp_ne_u32_e32 vcc, s3, v12
	v_mov_b32_e32 v17, 0x7f80
	s_and_saveexec_b64 s[8:9], vcc
	s_cbranch_execz .LBB697_606
; %bb.605:
	v_and_b32_e32 v17, 7, v10
	v_ffbh_u32_e32 v18, v17
	v_min_u32_e32 v21, 32, v18
	v_subrev_u32_e32 v18, 28, v21
	v_lshlrev_b64 v[18:19], v18, v[10:11]
	v_and_b32_e32 v18, 7, v18
	v_cmp_gt_u32_e32 vcc, 8, v12
	v_lshrrev_b32_e32 v20, 3, v12
	v_sub_u32_e32 v10, 29, v21
	v_cndmask_b32_e32 v12, v17, v18, vcc
	v_mov_b32_e32 v17, 24
	v_cndmask_b32_e32 v10, v20, v10, vcc
	v_lshlrev_b32_sdwa v17, v17, v6 dst_sel:DWORD dst_unused:UNUSED_PAD src0_sel:DWORD src1_sel:WORD_1
	v_bfrev_b32_e32 v18, 60
	v_lshlrev_b32_e32 v12, 20, v12
	v_and_b32_e32 v17, 0x80000000, v17
	v_lshl_add_u32 v10, v10, 23, v18
	v_or3_b32 v10, v17, v10, v12
	v_lshrrev_b32_e32 v17, 16, v10
.LBB697_606:
	s_or_b64 exec, exec, s[8:9]
.LBB697_607:
	s_or_b64 exec, exec, s[6:7]
.LBB697_608:
	s_or_b64 exec, exec, s[0:1]
	s_mov_b32 s0, 0xffffff
	v_cmp_lt_u32_e32 vcc, s0, v6
	v_mov_b32_e32 v18, 0
	s_and_saveexec_b64 s[0:1], vcc
	s_cbranch_execz .LBB697_614
; %bb.609:
	v_lshrrev_b32_e32 v10, 24, v6
	s_movk_i32 s3, 0x80
	v_cmp_ne_u32_e32 vcc, s3, v10
	v_mov_b32_e32 v18, 0xffff8000
	s_and_saveexec_b64 s[6:7], vcc
	s_cbranch_execz .LBB697_613
; %bb.610:
	v_bfe_u32 v12, v6, 24, 7
	s_movk_i32 s3, 0x7f
	v_cmp_ne_u32_e32 vcc, s3, v12
	v_mov_b32_e32 v18, 0x7f80
	s_and_saveexec_b64 s[8:9], vcc
	s_cbranch_execz .LBB697_612
; %bb.611:
	v_and_b32_e32 v20, 7, v10
	v_ffbh_u32_e32 v18, v20
	v_min_u32_e32 v22, 32, v18
	v_subrev_u32_e32 v18, 28, v22
	v_lshlrev_b64 v[18:19], v18, v[10:11]
	v_lshrrev_b32_e32 v21, 3, v12
	v_sub_u32_e32 v19, 29, v22
	v_and_b32_e32 v18, 7, v18
	v_cmp_gt_u32_e32 vcc, 8, v12
	v_cndmask_b32_e32 v12, v21, v19, vcc
	v_cndmask_b32_e32 v18, v20, v18, vcc
	v_lshlrev_b32_e32 v10, 24, v10
	v_bfrev_b32_e32 v19, 60
	v_lshlrev_b32_e32 v18, 20, v18
	v_and_b32_e32 v10, 0x80000000, v10
	v_lshl_add_u32 v12, v12, 23, v19
	v_or3_b32 v10, v10, v12, v18
	v_lshrrev_b32_e32 v18, 16, v10
.LBB697_612:
	s_or_b64 exec, exec, s[8:9]
.LBB697_613:
	s_or_b64 exec, exec, s[6:7]
.LBB697_614:
	s_or_b64 exec, exec, s[0:1]
	v_mov_b32_e32 v19, 0
	v_mov_b32_e32 v10, v7
	v_cmp_ne_u16_sdwa s[6:7], v7, v19 src0_sel:BYTE_0 src1_sel:DWORD
	v_mov_b32_e32 v20, 0
	s_and_saveexec_b64 s[0:1], s[6:7]
	s_cbranch_execz .LBB697_620
; %bb.615:
	s_movk_i32 s3, 0x80
	v_cmp_ne_u16_sdwa s[8:9], v7, s3 src0_sel:BYTE_0 src1_sel:DWORD
	v_mov_b32_e32 v20, 0xffff8000
	s_and_saveexec_b64 s[6:7], s[8:9]
	s_cbranch_execz .LBB697_619
; %bb.616:
	s_movk_i32 s3, 0x7f
	v_and_b32_e32 v12, 0x7f, v7
	v_cmp_ne_u32_e32 vcc, s3, v12
	v_mov_b32_e32 v20, 0x7f80
	s_and_saveexec_b64 s[8:9], vcc
	s_cbranch_execz .LBB697_618
; %bb.617:
	v_and_b32_e32 v20, 7, v7
	v_ffbh_u32_e32 v20, v20
	v_min_u32_e32 v20, 32, v20
	v_lshrrev_b32_e32 v21, 3, v12
	v_subrev_u32_e32 v22, 28, v20
	v_sub_u32_e32 v20, 29, v20
	v_cmp_gt_u32_e32 vcc, 8, v12
	v_cndmask_b32_e32 v12, v21, v20, vcc
	v_cndmask_b32_e32 v20, 0, v22, vcc
	v_lshlrev_b64 v[20:21], v20, v[10:11]
	v_lshlrev_b32_e32 v11, 20, v20
	v_lshlrev_b32_e32 v20, 24, v10
	v_bfrev_b32_e32 v21, 60
	v_and_b32_e32 v11, 0x700000, v11
	v_and_b32_e32 v20, 0x80000000, v20
	v_lshl_add_u32 v12, v12, 23, v21
	v_or3_b32 v11, v20, v12, v11
	v_lshrrev_b32_e32 v20, 16, v11
.LBB697_618:
	s_or_b64 exec, exec, s[8:9]
.LBB697_619:
	s_or_b64 exec, exec, s[6:7]
.LBB697_620:
	s_or_b64 exec, exec, s[0:1]
	v_lshrrev_b16_e32 v12, 8, v10
	v_cmp_ne_u16_e32 vcc, 0, v12
	s_and_saveexec_b64 s[0:1], vcc
	s_cbranch_execz .LBB697_626
; %bb.621:
	s_movk_i32 s3, 0x80
	v_cmp_ne_u16_e32 vcc, s3, v12
	v_mov_b32_e32 v19, 0xffff8000
	s_and_saveexec_b64 s[6:7], vcc
	s_cbranch_execz .LBB697_625
; %bb.622:
	s_movk_i32 s3, 0x7f
	v_and_b32_e32 v11, 0x7f, v12
	v_cmp_ne_u32_e32 vcc, s3, v11
	v_mov_b32_e32 v19, 0x7f80
	s_and_saveexec_b64 s[8:9], vcc
	s_cbranch_execz .LBB697_624
; %bb.623:
	v_and_b32_e32 v19, 7, v12
	v_ffbh_u32_e32 v22, v19
	v_min_u32_e32 v24, 32, v22
	v_subrev_u32_e32 v22, 28, v24
	v_lshlrev_b64 v[22:23], v22, v[12:13]
	v_lshrrev_b32_e32 v21, 3, v11
	v_sub_u32_e32 v12, 29, v24
	v_and_b32_e32 v22, 7, v22
	v_cmp_gt_u32_e32 vcc, 8, v11
	v_cndmask_b32_e32 v11, v21, v12, vcc
	v_cndmask_b32_e32 v12, v19, v22, vcc
	v_lshlrev_b32_e32 v10, 16, v10
	v_bfrev_b32_e32 v19, 60
	v_lshlrev_b32_e32 v12, 20, v12
	v_and_b32_e32 v10, 0x80000000, v10
	v_lshl_add_u32 v11, v11, 23, v19
	v_or3_b32 v10, v10, v11, v12
	v_lshrrev_b32_e32 v19, 16, v10
.LBB697_624:
	s_or_b64 exec, exec, s[8:9]
.LBB697_625:
	s_or_b64 exec, exec, s[6:7]
.LBB697_626:
	s_or_b64 exec, exec, s[0:1]
	s_movk_i32 s0, 0xff
	v_and_b32_sdwa v21, v7, s0 dst_sel:DWORD dst_unused:UNUSED_PAD src0_sel:WORD_1 src1_sel:DWORD
	v_lshrrev_b32_e32 v10, 16, v7
	v_cmp_ne_u16_e32 vcc, 0, v21
	v_mov_b32_e32 v11, 0
	v_mov_b32_e32 v12, 0
	s_and_saveexec_b64 s[0:1], vcc
	s_cbranch_execz .LBB697_632
; %bb.627:
	s_movk_i32 s3, 0x80
	v_cmp_ne_u16_e32 vcc, s3, v21
	v_mov_b32_e32 v12, 0xffff8000
	s_and_saveexec_b64 s[6:7], vcc
	s_cbranch_execz .LBB697_631
; %bb.628:
	v_bfe_u32 v21, v7, 16, 7
	s_movk_i32 s3, 0x7f
	v_cmp_ne_u32_e32 vcc, s3, v21
	v_mov_b32_e32 v12, 0x7f80
	s_and_saveexec_b64 s[8:9], vcc
	s_cbranch_execz .LBB697_630
; %bb.629:
	v_and_b32_e32 v12, 7, v10
	v_ffbh_u32_e32 v22, v12
	v_min_u32_e32 v25, 32, v22
	v_subrev_u32_e32 v22, 28, v25
	v_lshlrev_b64 v[22:23], v22, v[10:11]
	v_lshrrev_b32_e32 v24, 3, v21
	v_sub_u32_e32 v10, 29, v25
	v_and_b32_e32 v22, 7, v22
	v_cmp_gt_u32_e32 vcc, 8, v21
	v_mov_b32_e32 v21, 24
	v_cndmask_b32_e32 v10, v24, v10, vcc
	v_cndmask_b32_e32 v12, v12, v22, vcc
	v_lshlrev_b32_sdwa v21, v21, v7 dst_sel:DWORD dst_unused:UNUSED_PAD src0_sel:DWORD src1_sel:WORD_1
	v_bfrev_b32_e32 v22, 60
	v_lshlrev_b32_e32 v12, 20, v12
	v_and_b32_e32 v21, 0x80000000, v21
	v_lshl_add_u32 v10, v10, 23, v22
	v_or3_b32 v10, v21, v10, v12
	v_lshrrev_b32_e32 v12, 16, v10
.LBB697_630:
	s_or_b64 exec, exec, s[8:9]
.LBB697_631:
	s_or_b64 exec, exec, s[6:7]
.LBB697_632:
	s_or_b64 exec, exec, s[0:1]
	s_mov_b32 s0, -1
	s_mov_b32 s1, 0xffffff
	v_cmp_lt_u64_e32 vcc, s[0:1], v[6:7]
	s_and_saveexec_b64 s[0:1], vcc
	s_cbranch_execz .LBB697_638
; %bb.633:
	v_lshrrev_b32_e32 v6, 24, v7
	s_movk_i32 s3, 0x80
	v_cmp_ne_u32_e32 vcc, s3, v6
	v_mov_b32_e32 v11, 0xffff8000
	s_and_saveexec_b64 s[6:7], vcc
	s_cbranch_execz .LBB697_637
; %bb.634:
	v_bfe_u32 v7, v7, 24, 7
	s_movk_i32 s3, 0x7f
	v_cmp_ne_u32_e32 vcc, s3, v7
	v_mov_b32_e32 v11, 0x7f80
	s_and_saveexec_b64 s[8:9], vcc
	s_cbranch_execz .LBB697_636
; %bb.635:
	v_and_b32_e32 v21, 7, v6
	v_ffbh_u32_e32 v10, v21
	v_min_u32_e32 v23, 32, v10
	v_subrev_u32_e32 v10, 28, v23
	v_lshlrev_b64 v[10:11], v10, v[6:7]
	v_lshrrev_b32_e32 v22, 3, v7
	v_sub_u32_e32 v11, 29, v23
	v_and_b32_e32 v10, 7, v10
	v_cmp_gt_u32_e32 vcc, 8, v7
	v_cndmask_b32_e32 v7, v22, v11, vcc
	v_cndmask_b32_e32 v10, v21, v10, vcc
	v_lshlrev_b32_e32 v6, 24, v6
	v_bfrev_b32_e32 v11, 60
	v_lshlrev_b32_e32 v10, 20, v10
	v_and_b32_e32 v6, 0x80000000, v6
	v_lshl_add_u32 v7, v7, 23, v11
	v_or3_b32 v6, v6, v7, v10
	v_lshrrev_b32_e32 v11, 16, v6
.LBB697_636:
	s_or_b64 exec, exec, s[8:9]
.LBB697_637:
	s_or_b64 exec, exec, s[6:7]
.LBB697_638:
	s_or_b64 exec, exec, s[0:1]
	s_mov_b32 s0, 0x5040100
	v_perm_b32 v7, v18, v17, s0
	v_perm_b32 v6, v13, v16, s0
	;; [unrolled: 1-line block ×4, first 2 shown]
	v_mfma_f32_4x4x4bf16_1k a[0:3], v[14:15], v[6:7], a[0:3] cbsz:4 abid:8
	v_mov_b32_e32 v12, 0
	v_mfma_f32_4x4x4bf16_1k a[0:3], v[14:15], v[10:11], a[0:3] cbsz:4 abid:9
	v_mov_b32_e32 v11, 0
	v_cmp_ne_u16_sdwa s[6:7], v8, v11 src0_sel:BYTE_0 src1_sel:DWORD
	s_and_saveexec_b64 s[0:1], s[6:7]
	s_cbranch_execz .LBB697_644
; %bb.639:
	s_movk_i32 s3, 0x80
	v_cmp_ne_u16_sdwa s[8:9], v8, s3 src0_sel:BYTE_0 src1_sel:DWORD
	v_mov_b32_e32 v12, 0xffff8000
	s_and_saveexec_b64 s[6:7], s[8:9]
	s_cbranch_execz .LBB697_643
; %bb.640:
	s_movk_i32 s3, 0x7f
	v_and_b32_e32 v6, 0x7f, v8
	v_cmp_ne_u32_e32 vcc, s3, v6
	v_mov_b32_e32 v12, 0x7f80
	s_and_saveexec_b64 s[8:9], vcc
	s_cbranch_execz .LBB697_642
; %bb.641:
	v_and_b32_e32 v7, 7, v8
	v_ffbh_u32_e32 v7, v7
	v_min_u32_e32 v7, 32, v7
	v_subrev_u32_e32 v12, 28, v7
	v_cmp_gt_u32_e32 vcc, 8, v6
	v_lshrrev_b32_e32 v10, 3, v6
	v_sub_u32_e32 v7, 29, v7
	v_cndmask_b32_e32 v6, 0, v12, vcc
	v_cndmask_b32_e32 v10, v10, v7, vcc
	v_lshlrev_b64 v[6:7], v6, v[8:9]
	v_lshlrev_b32_e32 v6, 20, v6
	v_lshlrev_b32_e32 v7, 24, v8
	v_bfrev_b32_e32 v12, 60
	v_and_b32_e32 v6, 0x700000, v6
	v_and_b32_e32 v7, 0x80000000, v7
	v_lshl_add_u32 v10, v10, 23, v12
	v_or3_b32 v6, v7, v10, v6
	v_lshrrev_b32_e32 v12, 16, v6
.LBB697_642:
	s_or_b64 exec, exec, s[8:9]
.LBB697_643:
	s_or_b64 exec, exec, s[6:7]
.LBB697_644:
	s_or_b64 exec, exec, s[0:1]
	v_lshrrev_b16_e32 v6, 8, v8
	v_cmp_ne_u16_e32 vcc, 0, v6
	s_and_saveexec_b64 s[0:1], vcc
	s_cbranch_execz .LBB697_650
; %bb.645:
	s_movk_i32 s3, 0x80
	v_cmp_ne_u16_e32 vcc, s3, v6
	v_mov_b32_e32 v11, 0xffff8000
	s_and_saveexec_b64 s[6:7], vcc
	s_cbranch_execz .LBB697_649
; %bb.646:
	s_movk_i32 s3, 0x7f
	v_and_b32_e32 v7, 0x7f, v6
	v_cmp_ne_u32_e32 vcc, s3, v7
	v_mov_b32_e32 v11, 0x7f80
	s_and_saveexec_b64 s[8:9], vcc
	s_cbranch_execz .LBB697_648
; %bb.647:
	v_and_b32_e32 v13, 7, v6
	v_ffbh_u32_e32 v10, v13
	v_min_u32_e32 v17, 32, v10
	v_subrev_u32_e32 v10, 28, v17
	v_lshlrev_b64 v[10:11], v10, v[6:7]
	v_lshrrev_b32_e32 v16, 3, v7
	v_sub_u32_e32 v6, 29, v17
	v_and_b32_e32 v10, 7, v10
	v_cmp_gt_u32_e32 vcc, 8, v7
	v_cndmask_b32_e32 v6, v16, v6, vcc
	v_cndmask_b32_e32 v7, v13, v10, vcc
	v_lshlrev_b32_e32 v10, 16, v8
	v_bfrev_b32_e32 v11, 60
	v_lshlrev_b32_e32 v7, 20, v7
	v_and_b32_e32 v10, 0x80000000, v10
	v_lshl_add_u32 v6, v6, 23, v11
	v_or3_b32 v6, v10, v6, v7
	v_lshrrev_b32_e32 v11, 16, v6
.LBB697_648:
	s_or_b64 exec, exec, s[8:9]
.LBB697_649:
	s_or_b64 exec, exec, s[6:7]
.LBB697_650:
	s_or_b64 exec, exec, s[0:1]
	s_movk_i32 s0, 0xff
	v_and_b32_sdwa v10, v8, s0 dst_sel:DWORD dst_unused:UNUSED_PAD src0_sel:WORD_1 src1_sel:DWORD
	v_lshrrev_b32_e32 v6, 16, v8
	v_cmp_ne_u16_e32 vcc, 0, v10
	v_mov_b32_e32 v7, 0
	v_mov_b32_e32 v13, 0
	s_and_saveexec_b64 s[0:1], vcc
	s_cbranch_execz .LBB697_656
; %bb.651:
	s_movk_i32 s3, 0x80
	v_cmp_ne_u16_e32 vcc, s3, v10
	v_mov_b32_e32 v13, 0xffff8000
	s_and_saveexec_b64 s[6:7], vcc
	s_cbranch_execz .LBB697_655
; %bb.652:
	v_bfe_u32 v10, v8, 16, 7
	s_movk_i32 s3, 0x7f
	v_cmp_ne_u32_e32 vcc, s3, v10
	v_mov_b32_e32 v13, 0x7f80
	s_and_saveexec_b64 s[8:9], vcc
	s_cbranch_execz .LBB697_654
; %bb.653:
	v_and_b32_e32 v13, 7, v6
	v_ffbh_u32_e32 v16, v13
	v_min_u32_e32 v19, 32, v16
	v_subrev_u32_e32 v16, 28, v19
	v_lshlrev_b64 v[16:17], v16, v[6:7]
	v_and_b32_e32 v16, 7, v16
	v_cmp_gt_u32_e32 vcc, 8, v10
	v_lshrrev_b32_e32 v18, 3, v10
	v_sub_u32_e32 v6, 29, v19
	v_cndmask_b32_e32 v10, v13, v16, vcc
	v_mov_b32_e32 v13, 24
	v_cndmask_b32_e32 v6, v18, v6, vcc
	v_lshlrev_b32_sdwa v13, v13, v8 dst_sel:DWORD dst_unused:UNUSED_PAD src0_sel:DWORD src1_sel:WORD_1
	v_bfrev_b32_e32 v16, 60
	v_lshlrev_b32_e32 v10, 20, v10
	v_and_b32_e32 v13, 0x80000000, v13
	v_lshl_add_u32 v6, v6, 23, v16
	v_or3_b32 v6, v13, v6, v10
	v_lshrrev_b32_e32 v13, 16, v6
.LBB697_654:
	s_or_b64 exec, exec, s[8:9]
.LBB697_655:
	s_or_b64 exec, exec, s[6:7]
.LBB697_656:
	s_or_b64 exec, exec, s[0:1]
	s_mov_b32 s0, 0xffffff
	v_cmp_lt_u32_e32 vcc, s0, v8
	v_mov_b32_e32 v16, 0
	s_and_saveexec_b64 s[0:1], vcc
	s_cbranch_execz .LBB697_662
; %bb.657:
	v_lshrrev_b32_e32 v6, 24, v8
	s_movk_i32 s3, 0x80
	v_cmp_ne_u32_e32 vcc, s3, v6
	v_mov_b32_e32 v16, 0xffff8000
	s_and_saveexec_b64 s[6:7], vcc
	s_cbranch_execz .LBB697_661
; %bb.658:
	v_bfe_u32 v10, v8, 24, 7
	s_movk_i32 s3, 0x7f
	v_cmp_ne_u32_e32 vcc, s3, v10
	v_mov_b32_e32 v16, 0x7f80
	s_and_saveexec_b64 s[8:9], vcc
	s_cbranch_execz .LBB697_660
; %bb.659:
	v_and_b32_e32 v18, 7, v6
	v_ffbh_u32_e32 v16, v18
	v_min_u32_e32 v20, 32, v16
	v_subrev_u32_e32 v16, 28, v20
	v_lshlrev_b64 v[16:17], v16, v[6:7]
	v_lshrrev_b32_e32 v19, 3, v10
	v_sub_u32_e32 v17, 29, v20
	v_and_b32_e32 v16, 7, v16
	v_cmp_gt_u32_e32 vcc, 8, v10
	v_cndmask_b32_e32 v10, v19, v17, vcc
	v_cndmask_b32_e32 v16, v18, v16, vcc
	v_lshlrev_b32_e32 v6, 24, v6
	v_bfrev_b32_e32 v17, 60
	v_lshlrev_b32_e32 v16, 20, v16
	v_and_b32_e32 v6, 0x80000000, v6
	v_lshl_add_u32 v10, v10, 23, v17
	v_or3_b32 v6, v6, v10, v16
	v_lshrrev_b32_e32 v16, 16, v6
.LBB697_660:
	s_or_b64 exec, exec, s[8:9]
.LBB697_661:
	s_or_b64 exec, exec, s[6:7]
.LBB697_662:
	s_or_b64 exec, exec, s[0:1]
	v_mov_b32_e32 v17, 0
	v_mov_b32_e32 v6, v9
	v_cmp_ne_u16_sdwa s[6:7], v9, v17 src0_sel:BYTE_0 src1_sel:DWORD
	v_mov_b32_e32 v18, 0
	s_and_saveexec_b64 s[0:1], s[6:7]
	s_cbranch_execz .LBB697_668
; %bb.663:
	s_movk_i32 s3, 0x80
	v_cmp_ne_u16_sdwa s[8:9], v9, s3 src0_sel:BYTE_0 src1_sel:DWORD
	v_mov_b32_e32 v18, 0xffff8000
	s_and_saveexec_b64 s[6:7], s[8:9]
	s_cbranch_execz .LBB697_667
; %bb.664:
	s_movk_i32 s3, 0x7f
	v_and_b32_e32 v10, 0x7f, v9
	v_cmp_ne_u32_e32 vcc, s3, v10
	v_mov_b32_e32 v18, 0x7f80
	s_and_saveexec_b64 s[8:9], vcc
	s_cbranch_execz .LBB697_666
; %bb.665:
	v_and_b32_e32 v18, 7, v9
	v_ffbh_u32_e32 v18, v18
	v_min_u32_e32 v18, 32, v18
	v_lshrrev_b32_e32 v19, 3, v10
	v_subrev_u32_e32 v20, 28, v18
	v_sub_u32_e32 v18, 29, v18
	v_cmp_gt_u32_e32 vcc, 8, v10
	v_cndmask_b32_e32 v10, v19, v18, vcc
	v_cndmask_b32_e32 v18, 0, v20, vcc
	v_lshlrev_b64 v[18:19], v18, v[6:7]
	v_lshlrev_b32_e32 v7, 20, v18
	v_lshlrev_b32_e32 v18, 24, v6
	v_bfrev_b32_e32 v19, 60
	v_and_b32_e32 v7, 0x700000, v7
	v_and_b32_e32 v18, 0x80000000, v18
	v_lshl_add_u32 v10, v10, 23, v19
	v_or3_b32 v7, v18, v10, v7
	v_lshrrev_b32_e32 v18, 16, v7
.LBB697_666:
	s_or_b64 exec, exec, s[8:9]
.LBB697_667:
	s_or_b64 exec, exec, s[6:7]
.LBB697_668:
	s_or_b64 exec, exec, s[0:1]
	v_lshrrev_b16_e32 v10, 8, v6
	v_cmp_ne_u16_e32 vcc, 0, v10
	s_and_saveexec_b64 s[0:1], vcc
	s_cbranch_execz .LBB697_674
; %bb.669:
	s_movk_i32 s3, 0x80
	v_cmp_ne_u16_e32 vcc, s3, v10
	v_mov_b32_e32 v17, 0xffff8000
	s_and_saveexec_b64 s[6:7], vcc
	s_cbranch_execz .LBB697_673
; %bb.670:
	s_movk_i32 s3, 0x7f
	v_and_b32_e32 v7, 0x7f, v10
	v_cmp_ne_u32_e32 vcc, s3, v7
	v_mov_b32_e32 v17, 0x7f80
	s_and_saveexec_b64 s[8:9], vcc
	s_cbranch_execz .LBB697_672
; %bb.671:
	v_and_b32_e32 v17, 7, v10
	v_ffbh_u32_e32 v20, v17
	v_min_u32_e32 v22, 32, v20
	v_subrev_u32_e32 v20, 28, v22
	v_lshlrev_b64 v[20:21], v20, v[10:11]
	v_lshrrev_b32_e32 v19, 3, v7
	v_sub_u32_e32 v10, 29, v22
	v_and_b32_e32 v20, 7, v20
	v_cmp_gt_u32_e32 vcc, 8, v7
	v_cndmask_b32_e32 v7, v19, v10, vcc
	v_cndmask_b32_e32 v10, v17, v20, vcc
	v_lshlrev_b32_e32 v6, 16, v6
	v_bfrev_b32_e32 v17, 60
	v_lshlrev_b32_e32 v10, 20, v10
	v_and_b32_e32 v6, 0x80000000, v6
	v_lshl_add_u32 v7, v7, 23, v17
	v_or3_b32 v6, v6, v7, v10
	v_lshrrev_b32_e32 v17, 16, v6
.LBB697_672:
	s_or_b64 exec, exec, s[8:9]
.LBB697_673:
	s_or_b64 exec, exec, s[6:7]
.LBB697_674:
	s_or_b64 exec, exec, s[0:1]
	s_movk_i32 s0, 0xff
	v_and_b32_sdwa v19, v9, s0 dst_sel:DWORD dst_unused:UNUSED_PAD src0_sel:WORD_1 src1_sel:DWORD
	v_lshrrev_b32_e32 v6, 16, v9
	v_cmp_ne_u16_e32 vcc, 0, v19
	v_mov_b32_e32 v7, 0
	v_mov_b32_e32 v10, 0
	s_and_saveexec_b64 s[0:1], vcc
	s_cbranch_execz .LBB697_680
; %bb.675:
	s_movk_i32 s3, 0x80
	v_cmp_ne_u16_e32 vcc, s3, v19
	v_mov_b32_e32 v10, 0xffff8000
	s_and_saveexec_b64 s[6:7], vcc
	s_cbranch_execz .LBB697_679
; %bb.676:
	v_bfe_u32 v19, v9, 16, 7
	s_movk_i32 s3, 0x7f
	v_cmp_ne_u32_e32 vcc, s3, v19
	v_mov_b32_e32 v10, 0x7f80
	s_and_saveexec_b64 s[8:9], vcc
	s_cbranch_execz .LBB697_678
; %bb.677:
	v_and_b32_e32 v10, 7, v6
	v_ffbh_u32_e32 v20, v10
	v_min_u32_e32 v23, 32, v20
	v_subrev_u32_e32 v20, 28, v23
	v_lshlrev_b64 v[20:21], v20, v[6:7]
	v_lshrrev_b32_e32 v22, 3, v19
	v_sub_u32_e32 v6, 29, v23
	v_and_b32_e32 v20, 7, v20
	v_cmp_gt_u32_e32 vcc, 8, v19
	v_mov_b32_e32 v19, 24
	v_cndmask_b32_e32 v6, v22, v6, vcc
	v_cndmask_b32_e32 v10, v10, v20, vcc
	v_lshlrev_b32_sdwa v19, v19, v9 dst_sel:DWORD dst_unused:UNUSED_PAD src0_sel:DWORD src1_sel:WORD_1
	v_bfrev_b32_e32 v20, 60
	v_lshlrev_b32_e32 v10, 20, v10
	v_and_b32_e32 v19, 0x80000000, v19
	v_lshl_add_u32 v6, v6, 23, v20
	v_or3_b32 v6, v19, v6, v10
	v_lshrrev_b32_e32 v10, 16, v6
.LBB697_678:
	s_or_b64 exec, exec, s[8:9]
.LBB697_679:
	s_or_b64 exec, exec, s[6:7]
.LBB697_680:
	s_or_b64 exec, exec, s[0:1]
	s_mov_b32 s0, -1
	s_mov_b32 s1, 0xffffff
	v_cmp_lt_u64_e32 vcc, s[0:1], v[8:9]
	s_and_saveexec_b64 s[0:1], vcc
	s_cbranch_execz .LBB697_686
; %bb.681:
	v_lshrrev_b32_e32 v6, 24, v9
	s_movk_i32 s3, 0x80
	v_cmp_ne_u32_e32 vcc, s3, v6
	v_mov_b32_e32 v7, 0xffff8000
	s_and_saveexec_b64 s[6:7], vcc
	s_cbranch_execz .LBB697_685
; %bb.682:
	v_bfe_u32 v8, v9, 24, 7
	s_movk_i32 s3, 0x7f
	v_cmp_ne_u32_e32 vcc, s3, v8
	v_mov_b32_e32 v7, 0x7f80
	s_and_saveexec_b64 s[8:9], vcc
	s_cbranch_execz .LBB697_684
; %bb.683:
	v_and_b32_e32 v7, 7, v6
	v_ffbh_u32_e32 v19, v7
	v_min_u32_e32 v19, 32, v19
	v_subrev_u32_e32 v20, 28, v19
	v_lshlrev_b64 v[20:21], v20, v[6:7]
	v_lshrrev_b32_e32 v9, 3, v8
	v_sub_u32_e32 v19, 29, v19
	v_and_b32_e32 v20, 7, v20
	v_cmp_gt_u32_e32 vcc, 8, v8
	v_cndmask_b32_e32 v8, v9, v19, vcc
	v_cndmask_b32_e32 v7, v7, v20, vcc
	v_lshlrev_b32_e32 v6, 24, v6
	v_bfrev_b32_e32 v9, 60
	v_lshlrev_b32_e32 v7, 20, v7
	v_and_b32_e32 v6, 0x80000000, v6
	v_lshl_add_u32 v8, v8, 23, v9
	v_or3_b32 v6, v6, v8, v7
	v_lshrrev_b32_e32 v7, 16, v6
.LBB697_684:
	s_or_b64 exec, exec, s[8:9]
.LBB697_685:
	s_or_b64 exec, exec, s[6:7]
.LBB697_686:
	s_or_b64 exec, exec, s[0:1]
	s_mov_b32 s0, 0x5040100
	v_perm_b32 v9, v16, v13, s0
	v_perm_b32 v8, v11, v12, s0
	;; [unrolled: 1-line block ×4, first 2 shown]
	v_mfma_f32_4x4x4bf16_1k a[0:3], v[14:15], v[8:9], a[0:3] cbsz:4 abid:10
	v_mov_b32_e32 v9, 0
	v_mfma_f32_4x4x4bf16_1k a[0:3], v[14:15], v[6:7], a[0:3] cbsz:4 abid:11
	s_waitcnt vmcnt(2)
	v_cmp_ne_u16_sdwa s[6:7], v2, v9 src0_sel:BYTE_0 src1_sel:DWORD
	v_mov_b32_e32 v10, 0
	s_and_saveexec_b64 s[0:1], s[6:7]
	s_cbranch_execz .LBB697_692
; %bb.687:
	s_movk_i32 s3, 0x80
	v_cmp_ne_u16_sdwa s[8:9], v2, s3 src0_sel:BYTE_0 src1_sel:DWORD
	v_mov_b32_e32 v10, 0xffff8000
	s_and_saveexec_b64 s[6:7], s[8:9]
	s_cbranch_execz .LBB697_691
; %bb.688:
	s_movk_i32 s3, 0x7f
	v_and_b32_e32 v6, 0x7f, v2
	v_cmp_ne_u32_e32 vcc, s3, v6
	v_mov_b32_e32 v10, 0x7f80
	s_and_saveexec_b64 s[8:9], vcc
	s_cbranch_execz .LBB697_690
; %bb.689:
	v_and_b32_e32 v7, 7, v2
	v_ffbh_u32_e32 v7, v7
	v_min_u32_e32 v7, 32, v7
	v_subrev_u32_e32 v10, 28, v7
	v_cmp_gt_u32_e32 vcc, 8, v6
	v_lshrrev_b32_e32 v8, 3, v6
	v_sub_u32_e32 v7, 29, v7
	v_cndmask_b32_e32 v6, 0, v10, vcc
	v_cndmask_b32_e32 v8, v8, v7, vcc
	v_lshlrev_b64 v[6:7], v6, v[2:3]
	v_lshlrev_b32_e32 v6, 20, v6
	v_lshlrev_b32_e32 v7, 24, v2
	v_bfrev_b32_e32 v10, 60
	v_and_b32_e32 v6, 0x700000, v6
	v_and_b32_e32 v7, 0x80000000, v7
	v_lshl_add_u32 v8, v8, 23, v10
	v_or3_b32 v6, v7, v8, v6
	v_lshrrev_b32_e32 v10, 16, v6
.LBB697_690:
	s_or_b64 exec, exec, s[8:9]
.LBB697_691:
	s_or_b64 exec, exec, s[6:7]
.LBB697_692:
	s_or_b64 exec, exec, s[0:1]
	v_lshrrev_b16_e32 v6, 8, v2
	v_cmp_ne_u16_e32 vcc, 0, v6
	s_and_saveexec_b64 s[0:1], vcc
	s_cbranch_execz .LBB697_698
; %bb.693:
	s_movk_i32 s3, 0x80
	v_cmp_ne_u16_e32 vcc, s3, v6
	v_mov_b32_e32 v9, 0xffff8000
	s_and_saveexec_b64 s[6:7], vcc
	s_cbranch_execz .LBB697_697
; %bb.694:
	s_movk_i32 s3, 0x7f
	v_and_b32_e32 v7, 0x7f, v6
	v_cmp_ne_u32_e32 vcc, s3, v7
	v_mov_b32_e32 v9, 0x7f80
	s_and_saveexec_b64 s[8:9], vcc
	s_cbranch_execz .LBB697_696
; %bb.695:
	v_and_b32_e32 v11, 7, v6
	v_ffbh_u32_e32 v8, v11
	v_min_u32_e32 v13, 32, v8
	v_subrev_u32_e32 v8, 28, v13
	v_lshlrev_b64 v[8:9], v8, v[6:7]
	v_lshrrev_b32_e32 v12, 3, v7
	v_sub_u32_e32 v6, 29, v13
	v_and_b32_e32 v8, 7, v8
	v_cmp_gt_u32_e32 vcc, 8, v7
	v_cndmask_b32_e32 v6, v12, v6, vcc
	v_cndmask_b32_e32 v7, v11, v8, vcc
	v_lshlrev_b32_e32 v8, 16, v2
	v_bfrev_b32_e32 v9, 60
	v_lshlrev_b32_e32 v7, 20, v7
	v_and_b32_e32 v8, 0x80000000, v8
	v_lshl_add_u32 v6, v6, 23, v9
	v_or3_b32 v6, v8, v6, v7
	v_lshrrev_b32_e32 v9, 16, v6
.LBB697_696:
	s_or_b64 exec, exec, s[8:9]
.LBB697_697:
	s_or_b64 exec, exec, s[6:7]
.LBB697_698:
	s_or_b64 exec, exec, s[0:1]
	s_movk_i32 s0, 0xff
	v_and_b32_sdwa v8, v2, s0 dst_sel:DWORD dst_unused:UNUSED_PAD src0_sel:WORD_1 src1_sel:DWORD
	v_lshrrev_b32_e32 v6, 16, v2
	v_cmp_ne_u16_e32 vcc, 0, v8
	v_mov_b32_e32 v7, 0
	v_mov_b32_e32 v11, 0
	s_and_saveexec_b64 s[0:1], vcc
	s_cbranch_execz .LBB697_704
; %bb.699:
	s_movk_i32 s3, 0x80
	v_cmp_ne_u16_e32 vcc, s3, v8
	v_mov_b32_e32 v11, 0xffff8000
	s_and_saveexec_b64 s[6:7], vcc
	s_cbranch_execz .LBB697_703
; %bb.700:
	v_bfe_u32 v8, v2, 16, 7
	s_movk_i32 s3, 0x7f
	v_cmp_ne_u32_e32 vcc, s3, v8
	v_mov_b32_e32 v11, 0x7f80
	s_and_saveexec_b64 s[8:9], vcc
	s_cbranch_execz .LBB697_702
; %bb.701:
	v_and_b32_e32 v11, 7, v6
	v_ffbh_u32_e32 v12, v11
	v_min_u32_e32 v17, 32, v12
	v_subrev_u32_e32 v12, 28, v17
	v_lshlrev_b64 v[12:13], v12, v[6:7]
	v_and_b32_e32 v12, 7, v12
	v_cmp_gt_u32_e32 vcc, 8, v8
	v_lshrrev_b32_e32 v16, 3, v8
	v_sub_u32_e32 v6, 29, v17
	v_cndmask_b32_e32 v8, v11, v12, vcc
	v_mov_b32_e32 v11, 24
	v_cndmask_b32_e32 v6, v16, v6, vcc
	v_lshlrev_b32_sdwa v11, v11, v2 dst_sel:DWORD dst_unused:UNUSED_PAD src0_sel:DWORD src1_sel:WORD_1
	v_bfrev_b32_e32 v12, 60
	v_lshlrev_b32_e32 v8, 20, v8
	v_and_b32_e32 v11, 0x80000000, v11
	v_lshl_add_u32 v6, v6, 23, v12
	v_or3_b32 v6, v11, v6, v8
	v_lshrrev_b32_e32 v11, 16, v6
.LBB697_702:
	s_or_b64 exec, exec, s[8:9]
.LBB697_703:
	s_or_b64 exec, exec, s[6:7]
.LBB697_704:
	s_or_b64 exec, exec, s[0:1]
	s_mov_b32 s0, 0xffffff
	v_cmp_lt_u32_e32 vcc, s0, v2
	v_mov_b32_e32 v12, 0
	s_and_saveexec_b64 s[0:1], vcc
	s_cbranch_execz .LBB697_710
; %bb.705:
	v_lshrrev_b32_e32 v6, 24, v2
	s_movk_i32 s3, 0x80
	v_cmp_ne_u32_e32 vcc, s3, v6
	v_mov_b32_e32 v12, 0xffff8000
	s_and_saveexec_b64 s[6:7], vcc
	s_cbranch_execz .LBB697_709
; %bb.706:
	v_bfe_u32 v8, v2, 24, 7
	s_movk_i32 s3, 0x7f
	v_cmp_ne_u32_e32 vcc, s3, v8
	v_mov_b32_e32 v12, 0x7f80
	s_and_saveexec_b64 s[8:9], vcc
	s_cbranch_execz .LBB697_708
; %bb.707:
	v_and_b32_e32 v16, 7, v6
	v_ffbh_u32_e32 v12, v16
	v_min_u32_e32 v18, 32, v12
	v_subrev_u32_e32 v12, 28, v18
	v_lshlrev_b64 v[12:13], v12, v[6:7]
	v_lshrrev_b32_e32 v17, 3, v8
	v_sub_u32_e32 v13, 29, v18
	v_and_b32_e32 v12, 7, v12
	v_cmp_gt_u32_e32 vcc, 8, v8
	v_cndmask_b32_e32 v8, v17, v13, vcc
	v_cndmask_b32_e32 v12, v16, v12, vcc
	v_lshlrev_b32_e32 v6, 24, v6
	v_bfrev_b32_e32 v13, 60
	v_lshlrev_b32_e32 v12, 20, v12
	v_and_b32_e32 v6, 0x80000000, v6
	v_lshl_add_u32 v8, v8, 23, v13
	v_or3_b32 v6, v6, v8, v12
	v_lshrrev_b32_e32 v12, 16, v6
.LBB697_708:
	s_or_b64 exec, exec, s[8:9]
.LBB697_709:
	s_or_b64 exec, exec, s[6:7]
.LBB697_710:
	s_or_b64 exec, exec, s[0:1]
	v_mov_b32_e32 v13, 0
	v_mov_b32_e32 v6, v3
	v_cmp_ne_u16_sdwa s[6:7], v3, v13 src0_sel:BYTE_0 src1_sel:DWORD
	v_mov_b32_e32 v16, 0
	s_and_saveexec_b64 s[0:1], s[6:7]
	s_cbranch_execz .LBB697_716
; %bb.711:
	s_movk_i32 s3, 0x80
	v_cmp_ne_u16_sdwa s[8:9], v3, s3 src0_sel:BYTE_0 src1_sel:DWORD
	v_mov_b32_e32 v16, 0xffff8000
	s_and_saveexec_b64 s[6:7], s[8:9]
	s_cbranch_execz .LBB697_715
; %bb.712:
	s_movk_i32 s3, 0x7f
	v_and_b32_e32 v8, 0x7f, v3
	v_cmp_ne_u32_e32 vcc, s3, v8
	v_mov_b32_e32 v16, 0x7f80
	s_and_saveexec_b64 s[8:9], vcc
	s_cbranch_execz .LBB697_714
; %bb.713:
	v_and_b32_e32 v16, 7, v3
	v_ffbh_u32_e32 v16, v16
	v_min_u32_e32 v16, 32, v16
	v_lshrrev_b32_e32 v17, 3, v8
	v_subrev_u32_e32 v18, 28, v16
	v_sub_u32_e32 v16, 29, v16
	v_cmp_gt_u32_e32 vcc, 8, v8
	v_cndmask_b32_e32 v8, v17, v16, vcc
	v_cndmask_b32_e32 v16, 0, v18, vcc
	v_lshlrev_b64 v[16:17], v16, v[6:7]
	v_lshlrev_b32_e32 v7, 20, v16
	v_lshlrev_b32_e32 v16, 24, v6
	v_bfrev_b32_e32 v17, 60
	v_and_b32_e32 v7, 0x700000, v7
	v_and_b32_e32 v16, 0x80000000, v16
	v_lshl_add_u32 v8, v8, 23, v17
	v_or3_b32 v7, v16, v8, v7
	v_lshrrev_b32_e32 v16, 16, v7
.LBB697_714:
	s_or_b64 exec, exec, s[8:9]
.LBB697_715:
	s_or_b64 exec, exec, s[6:7]
.LBB697_716:
	s_or_b64 exec, exec, s[0:1]
	v_lshrrev_b16_e32 v8, 8, v6
	v_cmp_ne_u16_e32 vcc, 0, v8
	s_and_saveexec_b64 s[0:1], vcc
	s_cbranch_execz .LBB697_722
; %bb.717:
	s_movk_i32 s3, 0x80
	v_cmp_ne_u16_e32 vcc, s3, v8
	v_mov_b32_e32 v13, 0xffff8000
	s_and_saveexec_b64 s[6:7], vcc
	s_cbranch_execz .LBB697_721
; %bb.718:
	s_movk_i32 s3, 0x7f
	v_and_b32_e32 v7, 0x7f, v8
	v_cmp_ne_u32_e32 vcc, s3, v7
	v_mov_b32_e32 v13, 0x7f80
	s_and_saveexec_b64 s[8:9], vcc
	s_cbranch_execz .LBB697_720
; %bb.719:
	v_and_b32_e32 v13, 7, v8
	v_ffbh_u32_e32 v18, v13
	v_min_u32_e32 v20, 32, v18
	v_subrev_u32_e32 v18, 28, v20
	v_lshlrev_b64 v[18:19], v18, v[8:9]
	v_lshrrev_b32_e32 v17, 3, v7
	v_sub_u32_e32 v8, 29, v20
	v_and_b32_e32 v18, 7, v18
	v_cmp_gt_u32_e32 vcc, 8, v7
	v_cndmask_b32_e32 v7, v17, v8, vcc
	v_cndmask_b32_e32 v8, v13, v18, vcc
	v_lshlrev_b32_e32 v6, 16, v6
	v_bfrev_b32_e32 v13, 60
	v_lshlrev_b32_e32 v8, 20, v8
	v_and_b32_e32 v6, 0x80000000, v6
	v_lshl_add_u32 v7, v7, 23, v13
	v_or3_b32 v6, v6, v7, v8
	v_lshrrev_b32_e32 v13, 16, v6
.LBB697_720:
	s_or_b64 exec, exec, s[8:9]
.LBB697_721:
	s_or_b64 exec, exec, s[6:7]
.LBB697_722:
	s_or_b64 exec, exec, s[0:1]
	s_movk_i32 s0, 0xff
	v_and_b32_sdwa v17, v3, s0 dst_sel:DWORD dst_unused:UNUSED_PAD src0_sel:WORD_1 src1_sel:DWORD
	v_lshrrev_b32_e32 v6, 16, v3
	v_cmp_ne_u16_e32 vcc, 0, v17
	v_mov_b32_e32 v7, 0
	v_mov_b32_e32 v8, 0
	s_and_saveexec_b64 s[0:1], vcc
	s_cbranch_execz .LBB697_728
; %bb.723:
	s_movk_i32 s3, 0x80
	v_cmp_ne_u16_e32 vcc, s3, v17
	v_mov_b32_e32 v8, 0xffff8000
	s_and_saveexec_b64 s[6:7], vcc
	s_cbranch_execz .LBB697_727
; %bb.724:
	v_bfe_u32 v17, v3, 16, 7
	s_movk_i32 s3, 0x7f
	v_cmp_ne_u32_e32 vcc, s3, v17
	v_mov_b32_e32 v8, 0x7f80
	s_and_saveexec_b64 s[8:9], vcc
	s_cbranch_execz .LBB697_726
; %bb.725:
	v_and_b32_e32 v8, 7, v6
	v_ffbh_u32_e32 v18, v8
	v_min_u32_e32 v21, 32, v18
	v_subrev_u32_e32 v18, 28, v21
	v_lshlrev_b64 v[18:19], v18, v[6:7]
	v_lshrrev_b32_e32 v20, 3, v17
	v_sub_u32_e32 v6, 29, v21
	v_and_b32_e32 v18, 7, v18
	v_cmp_gt_u32_e32 vcc, 8, v17
	v_mov_b32_e32 v17, 24
	v_cndmask_b32_e32 v6, v20, v6, vcc
	v_cndmask_b32_e32 v8, v8, v18, vcc
	v_lshlrev_b32_sdwa v17, v17, v3 dst_sel:DWORD dst_unused:UNUSED_PAD src0_sel:DWORD src1_sel:WORD_1
	v_bfrev_b32_e32 v18, 60
	v_lshlrev_b32_e32 v8, 20, v8
	v_and_b32_e32 v17, 0x80000000, v17
	v_lshl_add_u32 v6, v6, 23, v18
	v_or3_b32 v6, v17, v6, v8
	v_lshrrev_b32_e32 v8, 16, v6
.LBB697_726:
	s_or_b64 exec, exec, s[8:9]
.LBB697_727:
	s_or_b64 exec, exec, s[6:7]
.LBB697_728:
	s_or_b64 exec, exec, s[0:1]
	s_mov_b32 s0, -1
	s_mov_b32 s1, 0xffffff
	v_cmp_lt_u64_e32 vcc, s[0:1], v[2:3]
	s_and_saveexec_b64 s[0:1], vcc
	s_cbranch_execz .LBB697_734
; %bb.729:
	v_lshrrev_b32_e32 v2, 24, v3
	s_movk_i32 s3, 0x80
	v_cmp_ne_u32_e32 vcc, s3, v2
	v_mov_b32_e32 v7, 0xffff8000
	s_and_saveexec_b64 s[6:7], vcc
	s_cbranch_execz .LBB697_733
; %bb.730:
	v_bfe_u32 v3, v3, 24, 7
	s_movk_i32 s3, 0x7f
	v_cmp_ne_u32_e32 vcc, s3, v3
	v_mov_b32_e32 v7, 0x7f80
	s_and_saveexec_b64 s[8:9], vcc
	s_cbranch_execz .LBB697_732
; %bb.731:
	v_and_b32_e32 v17, 7, v2
	v_ffbh_u32_e32 v6, v17
	v_min_u32_e32 v19, 32, v6
	v_subrev_u32_e32 v6, 28, v19
	v_lshlrev_b64 v[6:7], v6, v[2:3]
	v_lshrrev_b32_e32 v18, 3, v3
	v_sub_u32_e32 v7, 29, v19
	v_and_b32_e32 v6, 7, v6
	v_cmp_gt_u32_e32 vcc, 8, v3
	v_cndmask_b32_e32 v3, v18, v7, vcc
	v_cndmask_b32_e32 v6, v17, v6, vcc
	v_lshlrev_b32_e32 v2, 24, v2
	v_bfrev_b32_e32 v7, 60
	v_lshlrev_b32_e32 v6, 20, v6
	v_and_b32_e32 v2, 0x80000000, v2
	v_lshl_add_u32 v3, v3, 23, v7
	v_or3_b32 v2, v2, v3, v6
	v_lshrrev_b32_e32 v7, 16, v2
.LBB697_732:
	s_or_b64 exec, exec, s[8:9]
.LBB697_733:
	s_or_b64 exec, exec, s[6:7]
.LBB697_734:
	s_or_b64 exec, exec, s[0:1]
	s_mov_b32 s0, 0x5040100
	v_perm_b32 v3, v12, v11, s0
	v_perm_b32 v2, v9, v10, s0
	;; [unrolled: 1-line block ×4, first 2 shown]
	v_mfma_f32_4x4x4bf16_1k a[0:3], v[14:15], v[2:3], a[0:3] cbsz:4 abid:12
	v_mov_b32_e32 v8, 0
	v_mfma_f32_4x4x4bf16_1k a[0:3], v[14:15], v[6:7], a[0:3] cbsz:4 abid:13
	v_mov_b32_e32 v7, 0
	v_cmp_ne_u16_sdwa s[6:7], v4, v7 src0_sel:BYTE_0 src1_sel:DWORD
	s_and_saveexec_b64 s[0:1], s[6:7]
	s_cbranch_execz .LBB697_740
; %bb.735:
	s_movk_i32 s3, 0x80
	v_cmp_ne_u16_sdwa s[8:9], v4, s3 src0_sel:BYTE_0 src1_sel:DWORD
	v_mov_b32_e32 v8, 0xffff8000
	s_and_saveexec_b64 s[6:7], s[8:9]
	s_cbranch_execz .LBB697_739
; %bb.736:
	s_movk_i32 s3, 0x7f
	v_and_b32_e32 v2, 0x7f, v4
	v_cmp_ne_u32_e32 vcc, s3, v2
	v_mov_b32_e32 v8, 0x7f80
	s_and_saveexec_b64 s[8:9], vcc
	s_cbranch_execz .LBB697_738
; %bb.737:
	v_and_b32_e32 v3, 7, v4
	v_ffbh_u32_e32 v3, v3
	v_min_u32_e32 v3, 32, v3
	v_subrev_u32_e32 v8, 28, v3
	v_cmp_gt_u32_e32 vcc, 8, v2
	v_lshrrev_b32_e32 v6, 3, v2
	v_sub_u32_e32 v3, 29, v3
	v_cndmask_b32_e32 v2, 0, v8, vcc
	v_cndmask_b32_e32 v6, v6, v3, vcc
	v_lshlrev_b64 v[2:3], v2, v[4:5]
	v_lshlrev_b32_e32 v2, 20, v2
	v_lshlrev_b32_e32 v3, 24, v4
	v_bfrev_b32_e32 v8, 60
	v_and_b32_e32 v2, 0x700000, v2
	v_and_b32_e32 v3, 0x80000000, v3
	v_lshl_add_u32 v6, v6, 23, v8
	v_or3_b32 v2, v3, v6, v2
	v_lshrrev_b32_e32 v8, 16, v2
.LBB697_738:
	s_or_b64 exec, exec, s[8:9]
.LBB697_739:
	s_or_b64 exec, exec, s[6:7]
.LBB697_740:
	s_or_b64 exec, exec, s[0:1]
	v_lshrrev_b16_e32 v2, 8, v4
	v_cmp_ne_u16_e32 vcc, 0, v2
	s_and_saveexec_b64 s[0:1], vcc
	s_cbranch_execz .LBB697_746
; %bb.741:
	s_movk_i32 s3, 0x80
	v_cmp_ne_u16_e32 vcc, s3, v2
	v_mov_b32_e32 v7, 0xffff8000
	s_and_saveexec_b64 s[6:7], vcc
	s_cbranch_execz .LBB697_745
; %bb.742:
	s_movk_i32 s3, 0x7f
	v_and_b32_e32 v3, 0x7f, v2
	v_cmp_ne_u32_e32 vcc, s3, v3
	v_mov_b32_e32 v7, 0x7f80
	s_and_saveexec_b64 s[8:9], vcc
	s_cbranch_execz .LBB697_744
; %bb.743:
	v_and_b32_e32 v9, 7, v2
	v_ffbh_u32_e32 v6, v9
	v_min_u32_e32 v11, 32, v6
	v_subrev_u32_e32 v6, 28, v11
	v_lshlrev_b64 v[6:7], v6, v[2:3]
	v_lshrrev_b32_e32 v10, 3, v3
	v_sub_u32_e32 v2, 29, v11
	v_and_b32_e32 v6, 7, v6
	v_cmp_gt_u32_e32 vcc, 8, v3
	v_cndmask_b32_e32 v2, v10, v2, vcc
	v_cndmask_b32_e32 v3, v9, v6, vcc
	v_lshlrev_b32_e32 v6, 16, v4
	v_bfrev_b32_e32 v7, 60
	v_lshlrev_b32_e32 v3, 20, v3
	v_and_b32_e32 v6, 0x80000000, v6
	v_lshl_add_u32 v2, v2, 23, v7
	v_or3_b32 v2, v6, v2, v3
	v_lshrrev_b32_e32 v7, 16, v2
.LBB697_744:
	s_or_b64 exec, exec, s[8:9]
.LBB697_745:
	s_or_b64 exec, exec, s[6:7]
.LBB697_746:
	s_or_b64 exec, exec, s[0:1]
	s_movk_i32 s0, 0xff
	v_and_b32_sdwa v6, v4, s0 dst_sel:DWORD dst_unused:UNUSED_PAD src0_sel:WORD_1 src1_sel:DWORD
	v_lshrrev_b32_e32 v2, 16, v4
	v_cmp_ne_u16_e32 vcc, 0, v6
	v_mov_b32_e32 v3, 0
	v_mov_b32_e32 v9, 0
	s_and_saveexec_b64 s[0:1], vcc
	s_cbranch_execz .LBB697_752
; %bb.747:
	s_movk_i32 s3, 0x80
	v_cmp_ne_u16_e32 vcc, s3, v6
	v_mov_b32_e32 v9, 0xffff8000
	s_and_saveexec_b64 s[6:7], vcc
	s_cbranch_execz .LBB697_751
; %bb.748:
	v_bfe_u32 v6, v4, 16, 7
	s_movk_i32 s3, 0x7f
	v_cmp_ne_u32_e32 vcc, s3, v6
	v_mov_b32_e32 v9, 0x7f80
	s_and_saveexec_b64 s[8:9], vcc
	s_cbranch_execz .LBB697_750
; %bb.749:
	v_and_b32_e32 v9, 7, v2
	v_ffbh_u32_e32 v10, v9
	v_min_u32_e32 v13, 32, v10
	v_subrev_u32_e32 v10, 28, v13
	v_lshlrev_b64 v[10:11], v10, v[2:3]
	v_and_b32_e32 v10, 7, v10
	v_cmp_gt_u32_e32 vcc, 8, v6
	v_lshrrev_b32_e32 v12, 3, v6
	v_sub_u32_e32 v2, 29, v13
	v_cndmask_b32_e32 v6, v9, v10, vcc
	v_mov_b32_e32 v9, 24
	v_cndmask_b32_e32 v2, v12, v2, vcc
	v_lshlrev_b32_sdwa v9, v9, v4 dst_sel:DWORD dst_unused:UNUSED_PAD src0_sel:DWORD src1_sel:WORD_1
	v_bfrev_b32_e32 v10, 60
	v_lshlrev_b32_e32 v6, 20, v6
	v_and_b32_e32 v9, 0x80000000, v9
	v_lshl_add_u32 v2, v2, 23, v10
	v_or3_b32 v2, v9, v2, v6
	v_lshrrev_b32_e32 v9, 16, v2
.LBB697_750:
	s_or_b64 exec, exec, s[8:9]
.LBB697_751:
	s_or_b64 exec, exec, s[6:7]
.LBB697_752:
	s_or_b64 exec, exec, s[0:1]
	s_mov_b32 s0, 0xffffff
	v_cmp_lt_u32_e32 vcc, s0, v4
	v_mov_b32_e32 v10, 0
	s_and_saveexec_b64 s[0:1], vcc
	s_cbranch_execz .LBB697_758
; %bb.753:
	v_lshrrev_b32_e32 v2, 24, v4
	s_movk_i32 s3, 0x80
	v_cmp_ne_u32_e32 vcc, s3, v2
	v_mov_b32_e32 v10, 0xffff8000
	s_and_saveexec_b64 s[6:7], vcc
	s_cbranch_execz .LBB697_757
; %bb.754:
	v_bfe_u32 v6, v4, 24, 7
	s_movk_i32 s3, 0x7f
	v_cmp_ne_u32_e32 vcc, s3, v6
	v_mov_b32_e32 v10, 0x7f80
	s_and_saveexec_b64 s[8:9], vcc
	s_cbranch_execz .LBB697_756
; %bb.755:
	v_and_b32_e32 v12, 7, v2
	v_ffbh_u32_e32 v10, v12
	v_min_u32_e32 v16, 32, v10
	v_subrev_u32_e32 v10, 28, v16
	v_lshlrev_b64 v[10:11], v10, v[2:3]
	v_lshrrev_b32_e32 v13, 3, v6
	v_sub_u32_e32 v11, 29, v16
	v_and_b32_e32 v10, 7, v10
	v_cmp_gt_u32_e32 vcc, 8, v6
	v_cndmask_b32_e32 v6, v13, v11, vcc
	v_cndmask_b32_e32 v10, v12, v10, vcc
	v_lshlrev_b32_e32 v2, 24, v2
	v_bfrev_b32_e32 v11, 60
	v_lshlrev_b32_e32 v10, 20, v10
	v_and_b32_e32 v2, 0x80000000, v2
	v_lshl_add_u32 v6, v6, 23, v11
	v_or3_b32 v2, v2, v6, v10
	v_lshrrev_b32_e32 v10, 16, v2
.LBB697_756:
	s_or_b64 exec, exec, s[8:9]
.LBB697_757:
	s_or_b64 exec, exec, s[6:7]
.LBB697_758:
	s_or_b64 exec, exec, s[0:1]
	v_mov_b32_e32 v11, 0
	v_mov_b32_e32 v2, v5
	v_cmp_ne_u16_sdwa s[6:7], v5, v11 src0_sel:BYTE_0 src1_sel:DWORD
	v_mov_b32_e32 v12, 0
	s_and_saveexec_b64 s[0:1], s[6:7]
	s_cbranch_execz .LBB697_764
; %bb.759:
	s_movk_i32 s3, 0x80
	v_cmp_ne_u16_sdwa s[8:9], v5, s3 src0_sel:BYTE_0 src1_sel:DWORD
	v_mov_b32_e32 v12, 0xffff8000
	s_and_saveexec_b64 s[6:7], s[8:9]
	s_cbranch_execz .LBB697_763
; %bb.760:
	s_movk_i32 s3, 0x7f
	v_and_b32_e32 v6, 0x7f, v5
	v_cmp_ne_u32_e32 vcc, s3, v6
	v_mov_b32_e32 v12, 0x7f80
	s_and_saveexec_b64 s[8:9], vcc
	s_cbranch_execz .LBB697_762
; %bb.761:
	v_and_b32_e32 v12, 7, v5
	v_ffbh_u32_e32 v12, v12
	v_min_u32_e32 v12, 32, v12
	v_lshrrev_b32_e32 v13, 3, v6
	v_subrev_u32_e32 v16, 28, v12
	v_sub_u32_e32 v12, 29, v12
	v_cmp_gt_u32_e32 vcc, 8, v6
	v_cndmask_b32_e32 v6, v13, v12, vcc
	v_cndmask_b32_e32 v12, 0, v16, vcc
	v_lshlrev_b64 v[12:13], v12, v[2:3]
	v_lshlrev_b32_e32 v3, 20, v12
	v_lshlrev_b32_e32 v12, 24, v2
	v_bfrev_b32_e32 v13, 60
	v_and_b32_e32 v3, 0x700000, v3
	v_and_b32_e32 v12, 0x80000000, v12
	v_lshl_add_u32 v6, v6, 23, v13
	v_or3_b32 v3, v12, v6, v3
	v_lshrrev_b32_e32 v12, 16, v3
.LBB697_762:
	s_or_b64 exec, exec, s[8:9]
.LBB697_763:
	s_or_b64 exec, exec, s[6:7]
.LBB697_764:
	s_or_b64 exec, exec, s[0:1]
	v_lshrrev_b16_e32 v6, 8, v2
	v_cmp_ne_u16_e32 vcc, 0, v6
	s_and_saveexec_b64 s[0:1], vcc
	s_cbranch_execz .LBB697_770
; %bb.765:
	s_movk_i32 s3, 0x80
	v_cmp_ne_u16_e32 vcc, s3, v6
	v_mov_b32_e32 v11, 0xffff8000
	s_and_saveexec_b64 s[6:7], vcc
	s_cbranch_execz .LBB697_769
; %bb.766:
	s_movk_i32 s3, 0x7f
	v_and_b32_e32 v3, 0x7f, v6
	v_cmp_ne_u32_e32 vcc, s3, v3
	v_mov_b32_e32 v11, 0x7f80
	s_and_saveexec_b64 s[8:9], vcc
	s_cbranch_execz .LBB697_768
; %bb.767:
	v_and_b32_e32 v11, 7, v6
	v_ffbh_u32_e32 v16, v11
	v_min_u32_e32 v18, 32, v16
	v_subrev_u32_e32 v16, 28, v18
	v_lshlrev_b64 v[16:17], v16, v[6:7]
	v_lshrrev_b32_e32 v13, 3, v3
	v_sub_u32_e32 v6, 29, v18
	v_and_b32_e32 v16, 7, v16
	v_cmp_gt_u32_e32 vcc, 8, v3
	v_cndmask_b32_e32 v3, v13, v6, vcc
	v_cndmask_b32_e32 v6, v11, v16, vcc
	v_lshlrev_b32_e32 v2, 16, v2
	v_bfrev_b32_e32 v11, 60
	v_lshlrev_b32_e32 v6, 20, v6
	v_and_b32_e32 v2, 0x80000000, v2
	v_lshl_add_u32 v3, v3, 23, v11
	v_or3_b32 v2, v2, v3, v6
	v_lshrrev_b32_e32 v11, 16, v2
.LBB697_768:
	s_or_b64 exec, exec, s[8:9]
.LBB697_769:
	s_or_b64 exec, exec, s[6:7]
.LBB697_770:
	s_or_b64 exec, exec, s[0:1]
	s_movk_i32 s0, 0xff
	v_and_b32_sdwa v13, v5, s0 dst_sel:DWORD dst_unused:UNUSED_PAD src0_sel:WORD_1 src1_sel:DWORD
	v_lshrrev_b32_e32 v2, 16, v5
	v_cmp_ne_u16_e32 vcc, 0, v13
	v_mov_b32_e32 v3, 0
	v_mov_b32_e32 v6, 0
	s_and_saveexec_b64 s[0:1], vcc
	s_cbranch_execz .LBB697_776
; %bb.771:
	s_movk_i32 s3, 0x80
	v_cmp_ne_u16_e32 vcc, s3, v13
	v_mov_b32_e32 v6, 0xffff8000
	s_and_saveexec_b64 s[6:7], vcc
	s_cbranch_execz .LBB697_775
; %bb.772:
	v_bfe_u32 v13, v5, 16, 7
	s_movk_i32 s3, 0x7f
	v_cmp_ne_u32_e32 vcc, s3, v13
	v_mov_b32_e32 v6, 0x7f80
	s_and_saveexec_b64 s[8:9], vcc
	s_cbranch_execz .LBB697_774
; %bb.773:
	v_and_b32_e32 v6, 7, v2
	v_ffbh_u32_e32 v16, v6
	v_min_u32_e32 v19, 32, v16
	v_subrev_u32_e32 v16, 28, v19
	v_lshlrev_b64 v[16:17], v16, v[2:3]
	v_lshrrev_b32_e32 v18, 3, v13
	v_sub_u32_e32 v2, 29, v19
	v_and_b32_e32 v16, 7, v16
	v_cmp_gt_u32_e32 vcc, 8, v13
	v_mov_b32_e32 v13, 24
	v_cndmask_b32_e32 v2, v18, v2, vcc
	v_cndmask_b32_e32 v6, v6, v16, vcc
	v_lshlrev_b32_sdwa v13, v13, v5 dst_sel:DWORD dst_unused:UNUSED_PAD src0_sel:DWORD src1_sel:WORD_1
	v_bfrev_b32_e32 v16, 60
	v_lshlrev_b32_e32 v6, 20, v6
	v_and_b32_e32 v13, 0x80000000, v13
	v_lshl_add_u32 v2, v2, 23, v16
	v_or3_b32 v2, v13, v2, v6
	v_lshrrev_b32_e32 v6, 16, v2
.LBB697_774:
	s_or_b64 exec, exec, s[8:9]
.LBB697_775:
	s_or_b64 exec, exec, s[6:7]
.LBB697_776:
	s_or_b64 exec, exec, s[0:1]
	s_mov_b32 s0, -1
	s_mov_b32 s1, 0xffffff
	v_cmp_lt_u64_e32 vcc, s[0:1], v[4:5]
	s_and_saveexec_b64 s[0:1], vcc
	s_cbranch_execz .LBB697_782
; %bb.777:
	v_lshrrev_b32_e32 v2, 24, v5
	s_movk_i32 s3, 0x80
	v_cmp_ne_u32_e32 vcc, s3, v2
	v_mov_b32_e32 v3, 0xffff8000
	s_and_saveexec_b64 s[6:7], vcc
	s_cbranch_execz .LBB697_781
; %bb.778:
	v_bfe_u32 v4, v5, 24, 7
	s_movk_i32 s3, 0x7f
	v_cmp_ne_u32_e32 vcc, s3, v4
	v_mov_b32_e32 v3, 0x7f80
	s_and_saveexec_b64 s[8:9], vcc
	s_cbranch_execz .LBB697_780
; %bb.779:
	v_and_b32_e32 v3, 7, v2
	v_ffbh_u32_e32 v13, v3
	v_min_u32_e32 v13, 32, v13
	v_subrev_u32_e32 v16, 28, v13
	v_lshlrev_b64 v[16:17], v16, v[2:3]
	v_lshrrev_b32_e32 v5, 3, v4
	v_sub_u32_e32 v13, 29, v13
	v_and_b32_e32 v16, 7, v16
	v_cmp_gt_u32_e32 vcc, 8, v4
	v_cndmask_b32_e32 v4, v5, v13, vcc
	v_cndmask_b32_e32 v3, v3, v16, vcc
	v_lshlrev_b32_e32 v2, 24, v2
	v_bfrev_b32_e32 v5, 60
	v_lshlrev_b32_e32 v3, 20, v3
	v_and_b32_e32 v2, 0x80000000, v2
	v_lshl_add_u32 v4, v4, 23, v5
	v_or3_b32 v2, v2, v4, v3
	v_lshrrev_b32_e32 v3, 16, v2
.LBB697_780:
	s_or_b64 exec, exec, s[8:9]
.LBB697_781:
	s_or_b64 exec, exec, s[6:7]
.LBB697_782:
	s_or_b64 exec, exec, s[0:1]
	s_mov_b32 s0, 0x5040100
	v_perm_b32 v5, v10, v9, s0
	v_perm_b32 v4, v7, v8, s0
	;; [unrolled: 1-line block ×4, first 2 shown]
	v_mfma_f32_4x4x4bf16_1k a[0:3], v[14:15], v[4:5], a[0:3] cbsz:4 abid:14
	s_load_dword s0, s[14:15], 0x0
	v_mfma_f32_4x4x4bf16_1k a[0:3], v[14:15], v[2:3], a[0:3] cbsz:4 abid:15
	s_nop 4
	v_accvgpr_read_b32 v5, a1
	v_accvgpr_read_b32 v4, a0
	v_accvgpr_read_b32 v3, a3
	v_accvgpr_read_b32 v2, a2
	s_waitcnt lgkmcnt(0)
	v_pk_mul_f32 v[4:5], v[4:5], s[0:1] op_sel_hi:[1,0]
	v_pk_mul_f32 v[2:3], v[2:3], s[0:1] op_sel_hi:[1,0]
	v_bfe_u32 v6, v5, 16, 1
	v_bfe_u32 v7, v4, 16, 1
	s_movk_i32 s0, 0x7fff
	v_add3_u32 v4, v4, v7, s0
	v_add3_u32 v5, v5, v6, s0
	v_bfe_u32 v6, v3, 16, 1
	v_bfe_u32 v7, v2, 16, 1
	v_add3_u32 v2, v2, v7, s0
	v_add3_u32 v3, v3, v6, s0
	s_mov_b32 s0, 0x7060302
	v_perm_b32 v23, v3, v2, s0
	v_perm_b32 v22, v5, v4, s0
.LBB697_783:
	s_or_b64 exec, exec, s[4:5]
	v_lshlrev_b32_e32 v1, 3, v1
	v_mad_u32_u24 v1, v42, 40, v1
	v_cmp_gt_u32_e32 vcc, 64, v0
	ds_write_b64 v1, v[22:23]
	s_waitcnt lgkmcnt(0)
	s_barrier
	s_and_saveexec_b64 s[0:1], vcc
	s_cbranch_execz .LBB697_785
; %bb.784:
	v_mul_u32_u24_e32 v1, 40, v42
	s_waitcnt vmcnt(2)
	ds_read2_b64 v[2:5], v1 offset1:1
	ds_read2_b64 v[6:9], v1 offset0:2 offset1:3
	s_mov_b32 s1, 0
	s_lshl_b32 s0, s2, 6
	s_lshl_b64 s[2:3], s[0:1], 1
	s_waitcnt lgkmcnt(1)
	v_lshlrev_b32_e32 v1, 16, v2
	v_and_b32_e32 v2, 0xffff0000, v2
	v_add_f32_e32 v1, 0, v1
	v_add_f32_e32 v2, 0, v2
	v_lshlrev_b32_e32 v10, 16, v3
	v_and_b32_e32 v3, 0xffff0000, v3
	v_and_b32_e32 v1, 0xffff0000, v1
	;; [unrolled: 1-line block ×3, first 2 shown]
	v_add_f32_e32 v3, 0, v3
	v_lshlrev_b32_e32 v11, 16, v4
	v_and_b32_e32 v4, 0xffff0000, v4
	v_add_f32_e32 v10, 0, v10
	v_and_b32_e32 v3, 0xffff0000, v3
	v_add_f32_e32 v1, v1, v11
	v_add_f32_e32 v2, v2, v4
	v_lshlrev_b32_e32 v4, 16, v5
	v_and_b32_e32 v5, 0xffff0000, v5
	v_and_b32_e32 v10, 0xffff0000, v10
	;; [unrolled: 1-line block ×3, first 2 shown]
	v_add_f32_e32 v3, v3, v5
	s_waitcnt lgkmcnt(0)
	v_lshlrev_b32_e32 v5, 16, v6
	v_and_b32_e32 v2, 0xffff0000, v2
	v_add_f32_e32 v4, v10, v4
	v_add_f32_e32 v1, v1, v5
	v_and_b32_e32 v5, 0xffff0000, v6
	v_and_b32_e32 v4, 0xffff0000, v4
	v_add_f32_e32 v2, v2, v5
	v_lshlrev_b32_e32 v5, 16, v7
	s_add_u32 s2, s30, s2
	v_and_b32_e32 v3, 0xffff0000, v3
	v_add_f32_e32 v4, v4, v5
	v_and_b32_e32 v5, 0xffff0000, v7
	s_addc_u32 s3, s31, s3
	s_lshl_b32 s0, s28, 6
	v_and_b32_e32 v1, 0xffff0000, v1
	v_add_f32_e32 v3, v3, v5
	v_lshlrev_b32_e32 v5, 16, v8
	s_lshl_b64 s[0:1], s[0:1], 1
	v_and_b32_e32 v2, 0xffff0000, v2
	v_add_f32_e32 v1, v1, v5
	v_and_b32_e32 v5, 0xffff0000, v8
	s_add_u32 s0, s2, s0
	v_and_b32_e32 v4, 0xffff0000, v4
	v_add_f32_e32 v6, v2, v5
	v_lshlrev_b32_e32 v2, 16, v9
	s_addc_u32 s1, s3, s1
	s_lshl_b32 s2, s33, 6
	v_and_b32_e32 v3, 0xffff0000, v3
	v_add_f32_e32 v7, v4, v2
	v_and_b32_e32 v2, 0xffff0000, v9
	s_mul_i32 s3, s2, s10
	v_add_f32_e32 v8, v3, v2
	v_or_b32_e32 v2, s3, v0
	v_mov_b32_e32 v3, 0
	v_lshlrev_b64 v[4:5], 1, v[2:3]
	v_mov_b32_e32 v2, s1
	v_add_co_u32_e32 v4, vcc, s0, v4
	s_add_i32 s3, s3, s2
	v_addc_co_u32_e32 v5, vcc, v2, v5, vcc
	v_or_b32_e32 v2, s3, v0
	global_store_short_d16_hi v[4:5], v1, off
	v_lshlrev_b64 v[4:5], 1, v[2:3]
	v_mov_b32_e32 v1, s1
	v_add_co_u32_e32 v4, vcc, s0, v4
	s_add_i32 s3, s3, s2
	v_addc_co_u32_e32 v5, vcc, v1, v5, vcc
	v_or_b32_e32 v2, s3, v0
	global_store_short_d16_hi v[4:5], v6, off
	v_lshlrev_b64 v[4:5], 1, v[2:3]
	s_add_i32 s3, s3, s2
	v_add_co_u32_e32 v4, vcc, s0, v4
	v_or_b32_e32 v2, s3, v0
	v_addc_co_u32_e32 v5, vcc, v1, v5, vcc
	v_lshlrev_b64 v[0:1], 1, v[2:3]
	v_mov_b32_e32 v2, s1
	v_add_co_u32_e32 v0, vcc, s0, v0
	v_addc_co_u32_e32 v1, vcc, v2, v1, vcc
	global_store_short_d16_hi v[4:5], v7, off
	global_store_short_d16_hi v[0:1], v8, off
.LBB697_785:
	s_endpgm
.LBB697_786:
	s_mov_b64 s[12:13], 0
                                        ; implicit-def: $sgpr38_sgpr39
	s_branch .LBB697_2
	.section	.rodata,"a",@progbits
	.p2align	6, 0x0
	.amdhsa_kernel _Z38paged_attention_ll4mi_QKV_mfma4_kernelI14__hip_bfloat16hLN4vllm18Fp8KVCacheDataTypeE1ES0_Li16ELi64ELi256ELb0ELi4EEvPKT_PKT0_S8_ifPKiSA_SA_iPKfiiiPfSD_PS3_PT2_iSC_SC_
		.amdhsa_group_segment_fixed_size 2720
		.amdhsa_private_segment_fixed_size 0
		.amdhsa_kernarg_size 400
		.amdhsa_user_sgpr_count 6
		.amdhsa_user_sgpr_private_segment_buffer 1
		.amdhsa_user_sgpr_dispatch_ptr 0
		.amdhsa_user_sgpr_queue_ptr 0
		.amdhsa_user_sgpr_kernarg_segment_ptr 1
		.amdhsa_user_sgpr_dispatch_id 0
		.amdhsa_user_sgpr_flat_scratch_init 0
		.amdhsa_user_sgpr_kernarg_preload_length 0
		.amdhsa_user_sgpr_kernarg_preload_offset 0
		.amdhsa_user_sgpr_private_segment_size 0
		.amdhsa_uses_dynamic_stack 0
		.amdhsa_system_sgpr_private_segment_wavefront_offset 0
		.amdhsa_system_sgpr_workgroup_id_x 1
		.amdhsa_system_sgpr_workgroup_id_y 1
		.amdhsa_system_sgpr_workgroup_id_z 1
		.amdhsa_system_sgpr_workgroup_info 0
		.amdhsa_system_vgpr_workitem_id 0
		.amdhsa_next_free_vgpr 60
		.amdhsa_next_free_sgpr 44
		.amdhsa_accum_offset 56
		.amdhsa_reserve_vcc 1
		.amdhsa_reserve_flat_scratch 0
		.amdhsa_float_round_mode_32 0
		.amdhsa_float_round_mode_16_64 0
		.amdhsa_float_denorm_mode_32 3
		.amdhsa_float_denorm_mode_16_64 3
		.amdhsa_dx10_clamp 1
		.amdhsa_ieee_mode 1
		.amdhsa_fp16_overflow 0
		.amdhsa_tg_split 0
		.amdhsa_exception_fp_ieee_invalid_op 0
		.amdhsa_exception_fp_denorm_src 0
		.amdhsa_exception_fp_ieee_div_zero 0
		.amdhsa_exception_fp_ieee_overflow 0
		.amdhsa_exception_fp_ieee_underflow 0
		.amdhsa_exception_fp_ieee_inexact 0
		.amdhsa_exception_int_div_zero 0
	.end_amdhsa_kernel
	.section	.text._Z38paged_attention_ll4mi_QKV_mfma4_kernelI14__hip_bfloat16hLN4vllm18Fp8KVCacheDataTypeE1ES0_Li16ELi64ELi256ELb0ELi4EEvPKT_PKT0_S8_ifPKiSA_SA_iPKfiiiPfSD_PS3_PT2_iSC_SC_,"axG",@progbits,_Z38paged_attention_ll4mi_QKV_mfma4_kernelI14__hip_bfloat16hLN4vllm18Fp8KVCacheDataTypeE1ES0_Li16ELi64ELi256ELb0ELi4EEvPKT_PKT0_S8_ifPKiSA_SA_iPKfiiiPfSD_PS3_PT2_iSC_SC_,comdat
.Lfunc_end697:
	.size	_Z38paged_attention_ll4mi_QKV_mfma4_kernelI14__hip_bfloat16hLN4vllm18Fp8KVCacheDataTypeE1ES0_Li16ELi64ELi256ELb0ELi4EEvPKT_PKT0_S8_ifPKiSA_SA_iPKfiiiPfSD_PS3_PT2_iSC_SC_, .Lfunc_end697-_Z38paged_attention_ll4mi_QKV_mfma4_kernelI14__hip_bfloat16hLN4vllm18Fp8KVCacheDataTypeE1ES0_Li16ELi64ELi256ELb0ELi4EEvPKT_PKT0_S8_ifPKiSA_SA_iPKfiiiPfSD_PS3_PT2_iSC_SC_
                                        ; -- End function
	.section	.AMDGPU.csdata,"",@progbits
; Kernel info:
; codeLenInByte = 27888
; NumSgprs: 48
; NumVgprs: 55
; NumAgprs: 4
; TotalNumVgprs: 60
; ScratchSize: 0
; MemoryBound: 0
; FloatMode: 240
; IeeeMode: 1
; LDSByteSize: 2720 bytes/workgroup (compile time only)
; SGPRBlocks: 5
; VGPRBlocks: 7
; NumSGPRsForWavesPerEU: 48
; NumVGPRsForWavesPerEU: 60
; AccumOffset: 56
; Occupancy: 8
; WaveLimiterHint : 1
; COMPUTE_PGM_RSRC2:SCRATCH_EN: 0
; COMPUTE_PGM_RSRC2:USER_SGPR: 6
; COMPUTE_PGM_RSRC2:TRAP_HANDLER: 0
; COMPUTE_PGM_RSRC2:TGID_X_EN: 1
; COMPUTE_PGM_RSRC2:TGID_Y_EN: 1
; COMPUTE_PGM_RSRC2:TGID_Z_EN: 1
; COMPUTE_PGM_RSRC2:TIDIG_COMP_CNT: 0
; COMPUTE_PGM_RSRC3_GFX90A:ACCUM_OFFSET: 13
; COMPUTE_PGM_RSRC3_GFX90A:TG_SPLIT: 0
	.section	.text._Z39paged_attention_ll4mi_QKV_mfma16_kernelI14__hip_bfloat16hLN4vllm18Fp8KVCacheDataTypeE1ES0_Li16ELi64ELi256ELb0ELi5EL8MFMAType1EEvPKT_PKT0_S9_ifPKiSB_SB_iPKfiiiPfSE_PS4_PT2_iSD_SD_,"axG",@progbits,_Z39paged_attention_ll4mi_QKV_mfma16_kernelI14__hip_bfloat16hLN4vllm18Fp8KVCacheDataTypeE1ES0_Li16ELi64ELi256ELb0ELi5EL8MFMAType1EEvPKT_PKT0_S9_ifPKiSB_SB_iPKfiiiPfSE_PS4_PT2_iSD_SD_,comdat
	.protected	_Z39paged_attention_ll4mi_QKV_mfma16_kernelI14__hip_bfloat16hLN4vllm18Fp8KVCacheDataTypeE1ES0_Li16ELi64ELi256ELb0ELi5EL8MFMAType1EEvPKT_PKT0_S9_ifPKiSB_SB_iPKfiiiPfSE_PS4_PT2_iSD_SD_ ; -- Begin function _Z39paged_attention_ll4mi_QKV_mfma16_kernelI14__hip_bfloat16hLN4vllm18Fp8KVCacheDataTypeE1ES0_Li16ELi64ELi256ELb0ELi5EL8MFMAType1EEvPKT_PKT0_S9_ifPKiSB_SB_iPKfiiiPfSE_PS4_PT2_iSD_SD_
	.globl	_Z39paged_attention_ll4mi_QKV_mfma16_kernelI14__hip_bfloat16hLN4vllm18Fp8KVCacheDataTypeE1ES0_Li16ELi64ELi256ELb0ELi5EL8MFMAType1EEvPKT_PKT0_S9_ifPKiSB_SB_iPKfiiiPfSE_PS4_PT2_iSD_SD_
	.p2align	8
	.type	_Z39paged_attention_ll4mi_QKV_mfma16_kernelI14__hip_bfloat16hLN4vllm18Fp8KVCacheDataTypeE1ES0_Li16ELi64ELi256ELb0ELi5EL8MFMAType1EEvPKT_PKT0_S9_ifPKiSB_SB_iPKfiiiPfSE_PS4_PT2_iSD_SD_,@function
_Z39paged_attention_ll4mi_QKV_mfma16_kernelI14__hip_bfloat16hLN4vllm18Fp8KVCacheDataTypeE1ES0_Li16ELi64ELi256ELb0ELi5EL8MFMAType1EEvPKT_PKT0_S9_ifPKiSB_SB_iPKfiiiPfSE_PS4_PT2_iSD_SD_: ; @_Z39paged_attention_ll4mi_QKV_mfma16_kernelI14__hip_bfloat16hLN4vllm18Fp8KVCacheDataTypeE1ES0_Li16ELi64ELi256ELb0ELi5EL8MFMAType1EEvPKT_PKT0_S9_ifPKiSB_SB_iPKfiiiPfSE_PS4_PT2_iSD_SD_
; %bb.0:
	s_load_dwordx2 s[12:13], s[4:5], 0x30
	s_add_u32 flat_scratch_lo, s6, s11
	s_addc_u32 flat_scratch_hi, s7, 0
	s_add_u32 s0, s0, s11
	s_addc_u32 s1, s1, 0
	s_waitcnt lgkmcnt(0)
	s_cmp_lg_u64 s[12:13], 0
	s_cselect_b64 s[14:15], -1, 0
	s_mov_b32 s6, s9
	s_mov_b64 s[16:17], 0
	s_and_b64 vcc, exec, s[14:15]
	s_mov_b32 s32, 0
	s_cbranch_vccz .LBB698_11
; %bb.1:
	s_add_i32 s18, s8, 1
	s_mov_b32 s19, 0
	s_lshl_b64 s[20:21], s[18:19], 2
	s_add_u32 s20, s12, s20
	s_mov_b32 s9, s19
	s_addc_u32 s21, s13, s21
	s_lshl_b64 s[18:19], s[8:9], 2
	s_add_u32 s18, s12, s18
	s_addc_u32 s19, s13, s19
	s_load_dword s7, s[20:21], 0x0
	s_load_dword s11, s[18:19], 0x0
	s_waitcnt lgkmcnt(0)
	s_sub_i32 s7, s7, s11
	s_cmp_eq_u32 s7, 1
	s_cselect_b64 s[18:19], -1, 0
	s_andn2_b64 vcc, exec, s[16:17]
	s_cbranch_vccnz .LBB698_3
.LBB698_2:
	s_mov_b32 s9, 0
	s_mov_b64 s[18:19], -1
.LBB698_3:
	s_andn2_b64 vcc, exec, s[18:19]
	s_cbranch_vccnz .LBB698_10
; %bb.4:
	s_load_dwordx2 s[18:19], s[4:5], 0x28
	s_lshl_b64 s[16:17], s[8:9], 2
	s_waitcnt lgkmcnt(0)
	s_add_u32 s18, s18, s16
	s_addc_u32 s19, s19, s17
	s_load_dword s7, s[18:19], 0x0
	s_lshl_b32 s6, s6, 8
	s_waitcnt lgkmcnt(0)
	s_cmp_ge_i32 s6, s7
	s_cbranch_scc1 .LBB698_10
; %bb.5:
	s_andn2_b64 vcc, exec, s[14:15]
	s_cbranch_vccnz .LBB698_7
; %bb.6:
	s_add_u32 s6, s12, s16
	s_addc_u32 s7, s13, s17
	s_load_dword s8, s[6:7], 0x0
.LBB698_7:
	v_and_b32_e32 v1, 15, v0
	s_movk_i32 s6, 0x50
	v_cmp_gt_u32_e32 vcc, s6, v0
	v_cmp_gt_u32_e64 s[6:7], 8, v1
	s_and_b64 s[12:13], s[6:7], vcc
	s_and_saveexec_b64 s[6:7], s[12:13]
	s_cbranch_execz .LBB698_9
; %bb.8:
	s_load_dword s11, s[4:5], 0x48
	s_load_dwordx2 s[12:13], s[4:5], 0x0
	v_lshrrev_b32_e32 v6, 4, v0
	s_mul_i32 s10, s10, 5
	v_add_lshl_u32 v2, v6, s10, 6
	s_waitcnt lgkmcnt(0)
	s_ashr_i32 s9, s11, 31
	s_mul_hi_u32 s14, s8, s11
	s_mul_i32 s9, s8, s9
	s_add_i32 s9, s14, s9
	s_mul_i32 s8, s8, s11
	s_lshl_b64 s[8:9], s[8:9], 1
	s_add_u32 s8, s12, s8
	v_ashrrev_i32_e32 v3, 31, v2
	s_addc_u32 s9, s13, s9
	v_lshlrev_b64 v[2:3], 1, v[2:3]
	v_mov_b32_e32 v4, s9
	v_add_co_u32_e32 v2, vcc, s8, v2
	v_addc_co_u32_e32 v3, vcc, v4, v3, vcc
	v_lshlrev_b32_e32 v4, 4, v1
	v_add_co_u32_e32 v2, vcc, v2, v4
	v_addc_co_u32_e32 v3, vcc, 0, v3, vcc
	global_load_dwordx4 v[2:5], v[2:3], off
	v_lshlrev_b32_e32 v0, 4, v0
	v_lshlrev_b32_e32 v1, 8, v1
	v_and_b32_e32 v0, 16, v0
	v_lshlrev_b32_e32 v6, 5, v6
	v_and_b32_e32 v1, 0xe00, v1
	v_or3_b32 v0, v1, v6, v0
	s_waitcnt vmcnt(0)
	ds_write_b128 v0, v[2:5]
.LBB698_9:
	s_or_b64 exec, exec, s[6:7]
	s_waitcnt lgkmcnt(0)
	s_add_u32 s8, s4, 0x90
	s_addc_u32 s9, s5, 0
	s_getpc_b64 s[4:5]
	s_add_u32 s4, s4, __PRETTY_FUNCTION__._Z39paged_attention_ll4mi_QKV_mfma16_kernelI14__hip_bfloat16hLN4vllm18Fp8KVCacheDataTypeE1ES0_Li16ELi64ELi256ELb0ELi5EL8MFMAType1EEvPKT_PKT0_S9_ifPKiSB_SB_iPKfiiiPfSE_PS4_PT2_iSD_SD_@rel32@lo+4
	s_addc_u32 s5, s5, __PRETTY_FUNCTION__._Z39paged_attention_ll4mi_QKV_mfma16_kernelI14__hip_bfloat16hLN4vllm18Fp8KVCacheDataTypeE1ES0_Li16ELi64ELi256ELb0ELi5EL8MFMAType1EEvPKT_PKT0_S9_ifPKiSB_SB_iPKfiiiPfSE_PS4_PT2_iSD_SD_@rel32@hi+12
	v_mov_b32_e32 v0, 0x288
	v_mov_b32_e32 v1, s4
	;; [unrolled: 1-line block ×3, first 2 shown]
	s_barrier
	s_getpc_b64 s[6:7]
	s_add_u32 s6, s6, __assert_fail@rel32@lo+4
	s_addc_u32 s7, s7, __assert_fail@rel32@hi+12
	s_swappc_b64 s[30:31], s[6:7]
	; divergent unreachable
.LBB698_10:
	s_endpgm
.LBB698_11:
	s_mov_b64 s[18:19], 0
	s_branch .LBB698_2
	.section	.rodata,"a",@progbits
	.p2align	6, 0x0
	.amdhsa_kernel _Z39paged_attention_ll4mi_QKV_mfma16_kernelI14__hip_bfloat16hLN4vllm18Fp8KVCacheDataTypeE1ES0_Li16ELi64ELi256ELb0ELi5EL8MFMAType1EEvPKT_PKT0_S9_ifPKiSB_SB_iPKfiiiPfSE_PS4_PT2_iSD_SD_
		.amdhsa_group_segment_fixed_size 8192
		.amdhsa_private_segment_fixed_size 64
		.amdhsa_kernarg_size 400
		.amdhsa_user_sgpr_count 8
		.amdhsa_user_sgpr_private_segment_buffer 1
		.amdhsa_user_sgpr_dispatch_ptr 0
		.amdhsa_user_sgpr_queue_ptr 0
		.amdhsa_user_sgpr_kernarg_segment_ptr 1
		.amdhsa_user_sgpr_dispatch_id 0
		.amdhsa_user_sgpr_flat_scratch_init 1
		.amdhsa_user_sgpr_kernarg_preload_length 0
		.amdhsa_user_sgpr_kernarg_preload_offset 0
		.amdhsa_user_sgpr_private_segment_size 0
		.amdhsa_uses_dynamic_stack 0
		.amdhsa_system_sgpr_private_segment_wavefront_offset 1
		.amdhsa_system_sgpr_workgroup_id_x 1
		.amdhsa_system_sgpr_workgroup_id_y 1
		.amdhsa_system_sgpr_workgroup_id_z 1
		.amdhsa_system_sgpr_workgroup_info 0
		.amdhsa_system_vgpr_workitem_id 0
		.amdhsa_next_free_vgpr 45
		.amdhsa_next_free_sgpr 34
		.amdhsa_accum_offset 44
		.amdhsa_reserve_vcc 1
		.amdhsa_reserve_flat_scratch 1
		.amdhsa_float_round_mode_32 0
		.amdhsa_float_round_mode_16_64 0
		.amdhsa_float_denorm_mode_32 3
		.amdhsa_float_denorm_mode_16_64 3
		.amdhsa_dx10_clamp 1
		.amdhsa_ieee_mode 1
		.amdhsa_fp16_overflow 0
		.amdhsa_tg_split 0
		.amdhsa_exception_fp_ieee_invalid_op 0
		.amdhsa_exception_fp_denorm_src 0
		.amdhsa_exception_fp_ieee_div_zero 0
		.amdhsa_exception_fp_ieee_overflow 0
		.amdhsa_exception_fp_ieee_underflow 0
		.amdhsa_exception_fp_ieee_inexact 0
		.amdhsa_exception_int_div_zero 0
	.end_amdhsa_kernel
	.section	.text._Z39paged_attention_ll4mi_QKV_mfma16_kernelI14__hip_bfloat16hLN4vllm18Fp8KVCacheDataTypeE1ES0_Li16ELi64ELi256ELb0ELi5EL8MFMAType1EEvPKT_PKT0_S9_ifPKiSB_SB_iPKfiiiPfSE_PS4_PT2_iSD_SD_,"axG",@progbits,_Z39paged_attention_ll4mi_QKV_mfma16_kernelI14__hip_bfloat16hLN4vllm18Fp8KVCacheDataTypeE1ES0_Li16ELi64ELi256ELb0ELi5EL8MFMAType1EEvPKT_PKT0_S9_ifPKiSB_SB_iPKfiiiPfSE_PS4_PT2_iSD_SD_,comdat
.Lfunc_end698:
	.size	_Z39paged_attention_ll4mi_QKV_mfma16_kernelI14__hip_bfloat16hLN4vllm18Fp8KVCacheDataTypeE1ES0_Li16ELi64ELi256ELb0ELi5EL8MFMAType1EEvPKT_PKT0_S9_ifPKiSB_SB_iPKfiiiPfSE_PS4_PT2_iSD_SD_, .Lfunc_end698-_Z39paged_attention_ll4mi_QKV_mfma16_kernelI14__hip_bfloat16hLN4vllm18Fp8KVCacheDataTypeE1ES0_Li16ELi64ELi256ELb0ELi5EL8MFMAType1EEvPKT_PKT0_S9_ifPKiSB_SB_iPKfiiiPfSE_PS4_PT2_iSD_SD_
                                        ; -- End function
	.section	.AMDGPU.csdata,"",@progbits
; Kernel info:
; codeLenInByte = 504
; NumSgprs: 40
; NumVgprs: 42
; NumAgprs: 1
; TotalNumVgprs: 45
; ScratchSize: 64
; MemoryBound: 0
; FloatMode: 240
; IeeeMode: 1
; LDSByteSize: 8192 bytes/workgroup (compile time only)
; SGPRBlocks: 4
; VGPRBlocks: 5
; NumSGPRsForWavesPerEU: 40
; NumVGPRsForWavesPerEU: 45
; AccumOffset: 44
; Occupancy: 8
; WaveLimiterHint : 1
; COMPUTE_PGM_RSRC2:SCRATCH_EN: 1
; COMPUTE_PGM_RSRC2:USER_SGPR: 8
; COMPUTE_PGM_RSRC2:TRAP_HANDLER: 0
; COMPUTE_PGM_RSRC2:TGID_X_EN: 1
; COMPUTE_PGM_RSRC2:TGID_Y_EN: 1
; COMPUTE_PGM_RSRC2:TGID_Z_EN: 1
; COMPUTE_PGM_RSRC2:TIDIG_COMP_CNT: 0
; COMPUTE_PGM_RSRC3_GFX90A:ACCUM_OFFSET: 10
; COMPUTE_PGM_RSRC3_GFX90A:TG_SPLIT: 0
	.section	.text._Z39paged_attention_ll4mi_QKV_mfma16_kernelI14__hip_bfloat16hLN4vllm18Fp8KVCacheDataTypeE1ES0_Li16ELi64ELi256ELb0ELi6EL8MFMAType1EEvPKT_PKT0_S9_ifPKiSB_SB_iPKfiiiPfSE_PS4_PT2_iSD_SD_,"axG",@progbits,_Z39paged_attention_ll4mi_QKV_mfma16_kernelI14__hip_bfloat16hLN4vllm18Fp8KVCacheDataTypeE1ES0_Li16ELi64ELi256ELb0ELi6EL8MFMAType1EEvPKT_PKT0_S9_ifPKiSB_SB_iPKfiiiPfSE_PS4_PT2_iSD_SD_,comdat
	.protected	_Z39paged_attention_ll4mi_QKV_mfma16_kernelI14__hip_bfloat16hLN4vllm18Fp8KVCacheDataTypeE1ES0_Li16ELi64ELi256ELb0ELi6EL8MFMAType1EEvPKT_PKT0_S9_ifPKiSB_SB_iPKfiiiPfSE_PS4_PT2_iSD_SD_ ; -- Begin function _Z39paged_attention_ll4mi_QKV_mfma16_kernelI14__hip_bfloat16hLN4vllm18Fp8KVCacheDataTypeE1ES0_Li16ELi64ELi256ELb0ELi6EL8MFMAType1EEvPKT_PKT0_S9_ifPKiSB_SB_iPKfiiiPfSE_PS4_PT2_iSD_SD_
	.globl	_Z39paged_attention_ll4mi_QKV_mfma16_kernelI14__hip_bfloat16hLN4vllm18Fp8KVCacheDataTypeE1ES0_Li16ELi64ELi256ELb0ELi6EL8MFMAType1EEvPKT_PKT0_S9_ifPKiSB_SB_iPKfiiiPfSE_PS4_PT2_iSD_SD_
	.p2align	8
	.type	_Z39paged_attention_ll4mi_QKV_mfma16_kernelI14__hip_bfloat16hLN4vllm18Fp8KVCacheDataTypeE1ES0_Li16ELi64ELi256ELb0ELi6EL8MFMAType1EEvPKT_PKT0_S9_ifPKiSB_SB_iPKfiiiPfSE_PS4_PT2_iSD_SD_,@function
_Z39paged_attention_ll4mi_QKV_mfma16_kernelI14__hip_bfloat16hLN4vllm18Fp8KVCacheDataTypeE1ES0_Li16ELi64ELi256ELb0ELi6EL8MFMAType1EEvPKT_PKT0_S9_ifPKiSB_SB_iPKfiiiPfSE_PS4_PT2_iSD_SD_: ; @_Z39paged_attention_ll4mi_QKV_mfma16_kernelI14__hip_bfloat16hLN4vllm18Fp8KVCacheDataTypeE1ES0_Li16ELi64ELi256ELb0ELi6EL8MFMAType1EEvPKT_PKT0_S9_ifPKiSB_SB_iPKfiiiPfSE_PS4_PT2_iSD_SD_
; %bb.0:
	s_load_dwordx2 s[12:13], s[4:5], 0x30
	s_add_u32 flat_scratch_lo, s6, s11
	s_addc_u32 flat_scratch_hi, s7, 0
	s_add_u32 s0, s0, s11
	s_addc_u32 s1, s1, 0
	s_waitcnt lgkmcnt(0)
	s_cmp_lg_u64 s[12:13], 0
	s_cselect_b64 s[14:15], -1, 0
	s_mov_b32 s6, s9
	s_mov_b64 s[16:17], 0
	s_and_b64 vcc, exec, s[14:15]
	s_mov_b32 s32, 0
	s_cbranch_vccz .LBB699_11
; %bb.1:
	s_add_i32 s18, s8, 1
	s_mov_b32 s19, 0
	s_lshl_b64 s[20:21], s[18:19], 2
	s_add_u32 s20, s12, s20
	s_mov_b32 s9, s19
	s_addc_u32 s21, s13, s21
	s_lshl_b64 s[18:19], s[8:9], 2
	s_add_u32 s18, s12, s18
	s_addc_u32 s19, s13, s19
	s_load_dword s7, s[20:21], 0x0
	s_load_dword s11, s[18:19], 0x0
	s_waitcnt lgkmcnt(0)
	s_sub_i32 s7, s7, s11
	s_cmp_eq_u32 s7, 1
	s_cselect_b64 s[18:19], -1, 0
	s_andn2_b64 vcc, exec, s[16:17]
	s_cbranch_vccnz .LBB699_3
.LBB699_2:
	s_mov_b32 s9, 0
	s_mov_b64 s[18:19], -1
.LBB699_3:
	s_andn2_b64 vcc, exec, s[18:19]
	s_cbranch_vccnz .LBB699_10
; %bb.4:
	s_load_dwordx2 s[18:19], s[4:5], 0x28
	s_lshl_b64 s[16:17], s[8:9], 2
	s_waitcnt lgkmcnt(0)
	s_add_u32 s18, s18, s16
	s_addc_u32 s19, s19, s17
	s_load_dword s7, s[18:19], 0x0
	s_lshl_b32 s6, s6, 8
	s_waitcnt lgkmcnt(0)
	s_cmp_ge_i32 s6, s7
	s_cbranch_scc1 .LBB699_10
; %bb.5:
	s_andn2_b64 vcc, exec, s[14:15]
	s_cbranch_vccnz .LBB699_7
; %bb.6:
	s_add_u32 s6, s12, s16
	s_addc_u32 s7, s13, s17
	s_load_dword s8, s[6:7], 0x0
.LBB699_7:
	v_and_b32_e32 v1, 15, v0
	s_movk_i32 s6, 0x60
	v_cmp_gt_u32_e32 vcc, s6, v0
	v_cmp_gt_u32_e64 s[6:7], 8, v1
	s_and_b64 s[12:13], s[6:7], vcc
	s_and_saveexec_b64 s[6:7], s[12:13]
	s_cbranch_execz .LBB699_9
; %bb.8:
	s_load_dword s11, s[4:5], 0x48
	s_load_dwordx2 s[12:13], s[4:5], 0x0
	v_lshrrev_b32_e32 v6, 4, v0
	s_mul_i32 s10, s10, 6
	v_add_lshl_u32 v2, v6, s10, 6
	s_waitcnt lgkmcnt(0)
	s_ashr_i32 s9, s11, 31
	s_mul_hi_u32 s14, s8, s11
	s_mul_i32 s9, s8, s9
	s_add_i32 s9, s14, s9
	s_mul_i32 s8, s8, s11
	s_lshl_b64 s[8:9], s[8:9], 1
	s_add_u32 s8, s12, s8
	v_ashrrev_i32_e32 v3, 31, v2
	s_addc_u32 s9, s13, s9
	v_lshlrev_b64 v[2:3], 1, v[2:3]
	v_mov_b32_e32 v4, s9
	v_add_co_u32_e32 v2, vcc, s8, v2
	v_addc_co_u32_e32 v3, vcc, v4, v3, vcc
	v_lshlrev_b32_e32 v4, 4, v1
	v_add_co_u32_e32 v2, vcc, v2, v4
	v_addc_co_u32_e32 v3, vcc, 0, v3, vcc
	global_load_dwordx4 v[2:5], v[2:3], off
	v_lshlrev_b32_e32 v0, 4, v0
	v_lshlrev_b32_e32 v1, 8, v1
	v_and_b32_e32 v0, 16, v0
	v_lshlrev_b32_e32 v6, 5, v6
	v_and_b32_e32 v1, 0xe00, v1
	v_or3_b32 v0, v1, v6, v0
	s_waitcnt vmcnt(0)
	ds_write_b128 v0, v[2:5]
.LBB699_9:
	s_or_b64 exec, exec, s[6:7]
	s_waitcnt lgkmcnt(0)
	s_add_u32 s8, s4, 0x90
	s_addc_u32 s9, s5, 0
	s_getpc_b64 s[4:5]
	s_add_u32 s4, s4, __PRETTY_FUNCTION__._Z39paged_attention_ll4mi_QKV_mfma16_kernelI14__hip_bfloat16hLN4vllm18Fp8KVCacheDataTypeE1ES0_Li16ELi64ELi256ELb0ELi6EL8MFMAType1EEvPKT_PKT0_S9_ifPKiSB_SB_iPKfiiiPfSE_PS4_PT2_iSD_SD_@rel32@lo+4
	s_addc_u32 s5, s5, __PRETTY_FUNCTION__._Z39paged_attention_ll4mi_QKV_mfma16_kernelI14__hip_bfloat16hLN4vllm18Fp8KVCacheDataTypeE1ES0_Li16ELi64ELi256ELb0ELi6EL8MFMAType1EEvPKT_PKT0_S9_ifPKiSB_SB_iPKfiiiPfSE_PS4_PT2_iSD_SD_@rel32@hi+12
	v_mov_b32_e32 v0, 0x288
	v_mov_b32_e32 v1, s4
	;; [unrolled: 1-line block ×3, first 2 shown]
	s_barrier
	s_getpc_b64 s[6:7]
	s_add_u32 s6, s6, __assert_fail@rel32@lo+4
	s_addc_u32 s7, s7, __assert_fail@rel32@hi+12
	s_swappc_b64 s[30:31], s[6:7]
	; divergent unreachable
.LBB699_10:
	s_endpgm
.LBB699_11:
	s_mov_b64 s[18:19], 0
	s_branch .LBB699_2
	.section	.rodata,"a",@progbits
	.p2align	6, 0x0
	.amdhsa_kernel _Z39paged_attention_ll4mi_QKV_mfma16_kernelI14__hip_bfloat16hLN4vllm18Fp8KVCacheDataTypeE1ES0_Li16ELi64ELi256ELb0ELi6EL8MFMAType1EEvPKT_PKT0_S9_ifPKiSB_SB_iPKfiiiPfSE_PS4_PT2_iSD_SD_
		.amdhsa_group_segment_fixed_size 8192
		.amdhsa_private_segment_fixed_size 64
		.amdhsa_kernarg_size 400
		.amdhsa_user_sgpr_count 8
		.amdhsa_user_sgpr_private_segment_buffer 1
		.amdhsa_user_sgpr_dispatch_ptr 0
		.amdhsa_user_sgpr_queue_ptr 0
		.amdhsa_user_sgpr_kernarg_segment_ptr 1
		.amdhsa_user_sgpr_dispatch_id 0
		.amdhsa_user_sgpr_flat_scratch_init 1
		.amdhsa_user_sgpr_kernarg_preload_length 0
		.amdhsa_user_sgpr_kernarg_preload_offset 0
		.amdhsa_user_sgpr_private_segment_size 0
		.amdhsa_uses_dynamic_stack 0
		.amdhsa_system_sgpr_private_segment_wavefront_offset 1
		.amdhsa_system_sgpr_workgroup_id_x 1
		.amdhsa_system_sgpr_workgroup_id_y 1
		.amdhsa_system_sgpr_workgroup_id_z 1
		.amdhsa_system_sgpr_workgroup_info 0
		.amdhsa_system_vgpr_workitem_id 0
		.amdhsa_next_free_vgpr 45
		.amdhsa_next_free_sgpr 34
		.amdhsa_accum_offset 44
		.amdhsa_reserve_vcc 1
		.amdhsa_reserve_flat_scratch 1
		.amdhsa_float_round_mode_32 0
		.amdhsa_float_round_mode_16_64 0
		.amdhsa_float_denorm_mode_32 3
		.amdhsa_float_denorm_mode_16_64 3
		.amdhsa_dx10_clamp 1
		.amdhsa_ieee_mode 1
		.amdhsa_fp16_overflow 0
		.amdhsa_tg_split 0
		.amdhsa_exception_fp_ieee_invalid_op 0
		.amdhsa_exception_fp_denorm_src 0
		.amdhsa_exception_fp_ieee_div_zero 0
		.amdhsa_exception_fp_ieee_overflow 0
		.amdhsa_exception_fp_ieee_underflow 0
		.amdhsa_exception_fp_ieee_inexact 0
		.amdhsa_exception_int_div_zero 0
	.end_amdhsa_kernel
	.section	.text._Z39paged_attention_ll4mi_QKV_mfma16_kernelI14__hip_bfloat16hLN4vllm18Fp8KVCacheDataTypeE1ES0_Li16ELi64ELi256ELb0ELi6EL8MFMAType1EEvPKT_PKT0_S9_ifPKiSB_SB_iPKfiiiPfSE_PS4_PT2_iSD_SD_,"axG",@progbits,_Z39paged_attention_ll4mi_QKV_mfma16_kernelI14__hip_bfloat16hLN4vllm18Fp8KVCacheDataTypeE1ES0_Li16ELi64ELi256ELb0ELi6EL8MFMAType1EEvPKT_PKT0_S9_ifPKiSB_SB_iPKfiiiPfSE_PS4_PT2_iSD_SD_,comdat
.Lfunc_end699:
	.size	_Z39paged_attention_ll4mi_QKV_mfma16_kernelI14__hip_bfloat16hLN4vllm18Fp8KVCacheDataTypeE1ES0_Li16ELi64ELi256ELb0ELi6EL8MFMAType1EEvPKT_PKT0_S9_ifPKiSB_SB_iPKfiiiPfSE_PS4_PT2_iSD_SD_, .Lfunc_end699-_Z39paged_attention_ll4mi_QKV_mfma16_kernelI14__hip_bfloat16hLN4vllm18Fp8KVCacheDataTypeE1ES0_Li16ELi64ELi256ELb0ELi6EL8MFMAType1EEvPKT_PKT0_S9_ifPKiSB_SB_iPKfiiiPfSE_PS4_PT2_iSD_SD_
                                        ; -- End function
	.section	.AMDGPU.csdata,"",@progbits
; Kernel info:
; codeLenInByte = 504
; NumSgprs: 40
; NumVgprs: 42
; NumAgprs: 1
; TotalNumVgprs: 45
; ScratchSize: 64
; MemoryBound: 0
; FloatMode: 240
; IeeeMode: 1
; LDSByteSize: 8192 bytes/workgroup (compile time only)
; SGPRBlocks: 4
; VGPRBlocks: 5
; NumSGPRsForWavesPerEU: 40
; NumVGPRsForWavesPerEU: 45
; AccumOffset: 44
; Occupancy: 8
; WaveLimiterHint : 1
; COMPUTE_PGM_RSRC2:SCRATCH_EN: 1
; COMPUTE_PGM_RSRC2:USER_SGPR: 8
; COMPUTE_PGM_RSRC2:TRAP_HANDLER: 0
; COMPUTE_PGM_RSRC2:TGID_X_EN: 1
; COMPUTE_PGM_RSRC2:TGID_Y_EN: 1
; COMPUTE_PGM_RSRC2:TGID_Z_EN: 1
; COMPUTE_PGM_RSRC2:TIDIG_COMP_CNT: 0
; COMPUTE_PGM_RSRC3_GFX90A:ACCUM_OFFSET: 10
; COMPUTE_PGM_RSRC3_GFX90A:TG_SPLIT: 0
	.section	.text._Z39paged_attention_ll4mi_QKV_mfma16_kernelI14__hip_bfloat16hLN4vllm18Fp8KVCacheDataTypeE1ES0_Li16ELi64ELi256ELb0ELi7EL8MFMAType1EEvPKT_PKT0_S9_ifPKiSB_SB_iPKfiiiPfSE_PS4_PT2_iSD_SD_,"axG",@progbits,_Z39paged_attention_ll4mi_QKV_mfma16_kernelI14__hip_bfloat16hLN4vllm18Fp8KVCacheDataTypeE1ES0_Li16ELi64ELi256ELb0ELi7EL8MFMAType1EEvPKT_PKT0_S9_ifPKiSB_SB_iPKfiiiPfSE_PS4_PT2_iSD_SD_,comdat
	.protected	_Z39paged_attention_ll4mi_QKV_mfma16_kernelI14__hip_bfloat16hLN4vllm18Fp8KVCacheDataTypeE1ES0_Li16ELi64ELi256ELb0ELi7EL8MFMAType1EEvPKT_PKT0_S9_ifPKiSB_SB_iPKfiiiPfSE_PS4_PT2_iSD_SD_ ; -- Begin function _Z39paged_attention_ll4mi_QKV_mfma16_kernelI14__hip_bfloat16hLN4vllm18Fp8KVCacheDataTypeE1ES0_Li16ELi64ELi256ELb0ELi7EL8MFMAType1EEvPKT_PKT0_S9_ifPKiSB_SB_iPKfiiiPfSE_PS4_PT2_iSD_SD_
	.globl	_Z39paged_attention_ll4mi_QKV_mfma16_kernelI14__hip_bfloat16hLN4vllm18Fp8KVCacheDataTypeE1ES0_Li16ELi64ELi256ELb0ELi7EL8MFMAType1EEvPKT_PKT0_S9_ifPKiSB_SB_iPKfiiiPfSE_PS4_PT2_iSD_SD_
	.p2align	8
	.type	_Z39paged_attention_ll4mi_QKV_mfma16_kernelI14__hip_bfloat16hLN4vllm18Fp8KVCacheDataTypeE1ES0_Li16ELi64ELi256ELb0ELi7EL8MFMAType1EEvPKT_PKT0_S9_ifPKiSB_SB_iPKfiiiPfSE_PS4_PT2_iSD_SD_,@function
_Z39paged_attention_ll4mi_QKV_mfma16_kernelI14__hip_bfloat16hLN4vllm18Fp8KVCacheDataTypeE1ES0_Li16ELi64ELi256ELb0ELi7EL8MFMAType1EEvPKT_PKT0_S9_ifPKiSB_SB_iPKfiiiPfSE_PS4_PT2_iSD_SD_: ; @_Z39paged_attention_ll4mi_QKV_mfma16_kernelI14__hip_bfloat16hLN4vllm18Fp8KVCacheDataTypeE1ES0_Li16ELi64ELi256ELb0ELi7EL8MFMAType1EEvPKT_PKT0_S9_ifPKiSB_SB_iPKfiiiPfSE_PS4_PT2_iSD_SD_
; %bb.0:
	s_load_dwordx2 s[12:13], s[4:5], 0x30
	s_add_u32 flat_scratch_lo, s6, s11
	s_addc_u32 flat_scratch_hi, s7, 0
	s_add_u32 s0, s0, s11
	s_addc_u32 s1, s1, 0
	s_waitcnt lgkmcnt(0)
	s_cmp_lg_u64 s[12:13], 0
	s_cselect_b64 s[14:15], -1, 0
	s_mov_b32 s6, s9
	s_mov_b64 s[16:17], 0
	s_and_b64 vcc, exec, s[14:15]
	s_mov_b32 s32, 0
	s_cbranch_vccz .LBB700_11
; %bb.1:
	s_add_i32 s18, s8, 1
	s_mov_b32 s19, 0
	s_lshl_b64 s[20:21], s[18:19], 2
	s_add_u32 s20, s12, s20
	s_mov_b32 s9, s19
	s_addc_u32 s21, s13, s21
	s_lshl_b64 s[18:19], s[8:9], 2
	s_add_u32 s18, s12, s18
	s_addc_u32 s19, s13, s19
	s_load_dword s7, s[20:21], 0x0
	s_load_dword s11, s[18:19], 0x0
	s_waitcnt lgkmcnt(0)
	s_sub_i32 s7, s7, s11
	s_cmp_eq_u32 s7, 1
	s_cselect_b64 s[18:19], -1, 0
	s_andn2_b64 vcc, exec, s[16:17]
	s_cbranch_vccnz .LBB700_3
.LBB700_2:
	s_mov_b32 s9, 0
	s_mov_b64 s[18:19], -1
.LBB700_3:
	s_andn2_b64 vcc, exec, s[18:19]
	s_cbranch_vccnz .LBB700_10
; %bb.4:
	s_load_dwordx2 s[18:19], s[4:5], 0x28
	s_lshl_b64 s[16:17], s[8:9], 2
	s_waitcnt lgkmcnt(0)
	s_add_u32 s18, s18, s16
	s_addc_u32 s19, s19, s17
	s_load_dword s7, s[18:19], 0x0
	s_lshl_b32 s6, s6, 8
	s_waitcnt lgkmcnt(0)
	s_cmp_ge_i32 s6, s7
	s_cbranch_scc1 .LBB700_10
; %bb.5:
	s_andn2_b64 vcc, exec, s[14:15]
	s_cbranch_vccnz .LBB700_7
; %bb.6:
	s_add_u32 s6, s12, s16
	s_addc_u32 s7, s13, s17
	s_load_dword s8, s[6:7], 0x0
.LBB700_7:
	v_and_b32_e32 v1, 15, v0
	s_movk_i32 s6, 0x70
	v_cmp_gt_u32_e32 vcc, s6, v0
	v_cmp_gt_u32_e64 s[6:7], 8, v1
	s_and_b64 s[12:13], s[6:7], vcc
	s_and_saveexec_b64 s[6:7], s[12:13]
	s_cbranch_execz .LBB700_9
; %bb.8:
	s_load_dword s11, s[4:5], 0x48
	s_load_dwordx2 s[12:13], s[4:5], 0x0
	v_lshrrev_b32_e32 v6, 4, v0
	s_mul_i32 s10, s10, 7
	v_add_lshl_u32 v2, v6, s10, 6
	s_waitcnt lgkmcnt(0)
	s_ashr_i32 s9, s11, 31
	s_mul_hi_u32 s14, s8, s11
	s_mul_i32 s9, s8, s9
	s_add_i32 s9, s14, s9
	s_mul_i32 s8, s8, s11
	s_lshl_b64 s[8:9], s[8:9], 1
	s_add_u32 s8, s12, s8
	v_ashrrev_i32_e32 v3, 31, v2
	s_addc_u32 s9, s13, s9
	v_lshlrev_b64 v[2:3], 1, v[2:3]
	v_mov_b32_e32 v4, s9
	v_add_co_u32_e32 v2, vcc, s8, v2
	v_addc_co_u32_e32 v3, vcc, v4, v3, vcc
	v_lshlrev_b32_e32 v4, 4, v1
	v_add_co_u32_e32 v2, vcc, v2, v4
	v_addc_co_u32_e32 v3, vcc, 0, v3, vcc
	global_load_dwordx4 v[2:5], v[2:3], off
	v_lshlrev_b32_e32 v0, 4, v0
	v_lshlrev_b32_e32 v1, 8, v1
	v_and_b32_e32 v0, 16, v0
	v_lshlrev_b32_e32 v6, 5, v6
	v_and_b32_e32 v1, 0xe00, v1
	v_or3_b32 v0, v1, v6, v0
	s_waitcnt vmcnt(0)
	ds_write_b128 v0, v[2:5]
.LBB700_9:
	s_or_b64 exec, exec, s[6:7]
	s_waitcnt lgkmcnt(0)
	s_add_u32 s8, s4, 0x90
	s_addc_u32 s9, s5, 0
	s_getpc_b64 s[4:5]
	s_add_u32 s4, s4, __PRETTY_FUNCTION__._Z39paged_attention_ll4mi_QKV_mfma16_kernelI14__hip_bfloat16hLN4vllm18Fp8KVCacheDataTypeE1ES0_Li16ELi64ELi256ELb0ELi7EL8MFMAType1EEvPKT_PKT0_S9_ifPKiSB_SB_iPKfiiiPfSE_PS4_PT2_iSD_SD_@rel32@lo+4
	s_addc_u32 s5, s5, __PRETTY_FUNCTION__._Z39paged_attention_ll4mi_QKV_mfma16_kernelI14__hip_bfloat16hLN4vllm18Fp8KVCacheDataTypeE1ES0_Li16ELi64ELi256ELb0ELi7EL8MFMAType1EEvPKT_PKT0_S9_ifPKiSB_SB_iPKfiiiPfSE_PS4_PT2_iSD_SD_@rel32@hi+12
	v_mov_b32_e32 v0, 0x288
	v_mov_b32_e32 v1, s4
	;; [unrolled: 1-line block ×3, first 2 shown]
	s_barrier
	s_getpc_b64 s[6:7]
	s_add_u32 s6, s6, __assert_fail@rel32@lo+4
	s_addc_u32 s7, s7, __assert_fail@rel32@hi+12
	s_swappc_b64 s[30:31], s[6:7]
	; divergent unreachable
.LBB700_10:
	s_endpgm
.LBB700_11:
	s_mov_b64 s[18:19], 0
	s_branch .LBB700_2
	.section	.rodata,"a",@progbits
	.p2align	6, 0x0
	.amdhsa_kernel _Z39paged_attention_ll4mi_QKV_mfma16_kernelI14__hip_bfloat16hLN4vllm18Fp8KVCacheDataTypeE1ES0_Li16ELi64ELi256ELb0ELi7EL8MFMAType1EEvPKT_PKT0_S9_ifPKiSB_SB_iPKfiiiPfSE_PS4_PT2_iSD_SD_
		.amdhsa_group_segment_fixed_size 8192
		.amdhsa_private_segment_fixed_size 64
		.amdhsa_kernarg_size 400
		.amdhsa_user_sgpr_count 8
		.amdhsa_user_sgpr_private_segment_buffer 1
		.amdhsa_user_sgpr_dispatch_ptr 0
		.amdhsa_user_sgpr_queue_ptr 0
		.amdhsa_user_sgpr_kernarg_segment_ptr 1
		.amdhsa_user_sgpr_dispatch_id 0
		.amdhsa_user_sgpr_flat_scratch_init 1
		.amdhsa_user_sgpr_kernarg_preload_length 0
		.amdhsa_user_sgpr_kernarg_preload_offset 0
		.amdhsa_user_sgpr_private_segment_size 0
		.amdhsa_uses_dynamic_stack 0
		.amdhsa_system_sgpr_private_segment_wavefront_offset 1
		.amdhsa_system_sgpr_workgroup_id_x 1
		.amdhsa_system_sgpr_workgroup_id_y 1
		.amdhsa_system_sgpr_workgroup_id_z 1
		.amdhsa_system_sgpr_workgroup_info 0
		.amdhsa_system_vgpr_workitem_id 0
		.amdhsa_next_free_vgpr 45
		.amdhsa_next_free_sgpr 34
		.amdhsa_accum_offset 44
		.amdhsa_reserve_vcc 1
		.amdhsa_reserve_flat_scratch 1
		.amdhsa_float_round_mode_32 0
		.amdhsa_float_round_mode_16_64 0
		.amdhsa_float_denorm_mode_32 3
		.amdhsa_float_denorm_mode_16_64 3
		.amdhsa_dx10_clamp 1
		.amdhsa_ieee_mode 1
		.amdhsa_fp16_overflow 0
		.amdhsa_tg_split 0
		.amdhsa_exception_fp_ieee_invalid_op 0
		.amdhsa_exception_fp_denorm_src 0
		.amdhsa_exception_fp_ieee_div_zero 0
		.amdhsa_exception_fp_ieee_overflow 0
		.amdhsa_exception_fp_ieee_underflow 0
		.amdhsa_exception_fp_ieee_inexact 0
		.amdhsa_exception_int_div_zero 0
	.end_amdhsa_kernel
	.section	.text._Z39paged_attention_ll4mi_QKV_mfma16_kernelI14__hip_bfloat16hLN4vllm18Fp8KVCacheDataTypeE1ES0_Li16ELi64ELi256ELb0ELi7EL8MFMAType1EEvPKT_PKT0_S9_ifPKiSB_SB_iPKfiiiPfSE_PS4_PT2_iSD_SD_,"axG",@progbits,_Z39paged_attention_ll4mi_QKV_mfma16_kernelI14__hip_bfloat16hLN4vllm18Fp8KVCacheDataTypeE1ES0_Li16ELi64ELi256ELb0ELi7EL8MFMAType1EEvPKT_PKT0_S9_ifPKiSB_SB_iPKfiiiPfSE_PS4_PT2_iSD_SD_,comdat
.Lfunc_end700:
	.size	_Z39paged_attention_ll4mi_QKV_mfma16_kernelI14__hip_bfloat16hLN4vllm18Fp8KVCacheDataTypeE1ES0_Li16ELi64ELi256ELb0ELi7EL8MFMAType1EEvPKT_PKT0_S9_ifPKiSB_SB_iPKfiiiPfSE_PS4_PT2_iSD_SD_, .Lfunc_end700-_Z39paged_attention_ll4mi_QKV_mfma16_kernelI14__hip_bfloat16hLN4vllm18Fp8KVCacheDataTypeE1ES0_Li16ELi64ELi256ELb0ELi7EL8MFMAType1EEvPKT_PKT0_S9_ifPKiSB_SB_iPKfiiiPfSE_PS4_PT2_iSD_SD_
                                        ; -- End function
	.section	.AMDGPU.csdata,"",@progbits
; Kernel info:
; codeLenInByte = 504
; NumSgprs: 40
; NumVgprs: 42
; NumAgprs: 1
; TotalNumVgprs: 45
; ScratchSize: 64
; MemoryBound: 0
; FloatMode: 240
; IeeeMode: 1
; LDSByteSize: 8192 bytes/workgroup (compile time only)
; SGPRBlocks: 4
; VGPRBlocks: 5
; NumSGPRsForWavesPerEU: 40
; NumVGPRsForWavesPerEU: 45
; AccumOffset: 44
; Occupancy: 8
; WaveLimiterHint : 1
; COMPUTE_PGM_RSRC2:SCRATCH_EN: 1
; COMPUTE_PGM_RSRC2:USER_SGPR: 8
; COMPUTE_PGM_RSRC2:TRAP_HANDLER: 0
; COMPUTE_PGM_RSRC2:TGID_X_EN: 1
; COMPUTE_PGM_RSRC2:TGID_Y_EN: 1
; COMPUTE_PGM_RSRC2:TGID_Z_EN: 1
; COMPUTE_PGM_RSRC2:TIDIG_COMP_CNT: 0
; COMPUTE_PGM_RSRC3_GFX90A:ACCUM_OFFSET: 10
; COMPUTE_PGM_RSRC3_GFX90A:TG_SPLIT: 0
	.section	.text._Z39paged_attention_ll4mi_QKV_mfma16_kernelI14__hip_bfloat16hLN4vllm18Fp8KVCacheDataTypeE1ES0_Li16ELi64ELi256ELb0ELi8EL8MFMAType1EEvPKT_PKT0_S9_ifPKiSB_SB_iPKfiiiPfSE_PS4_PT2_iSD_SD_,"axG",@progbits,_Z39paged_attention_ll4mi_QKV_mfma16_kernelI14__hip_bfloat16hLN4vllm18Fp8KVCacheDataTypeE1ES0_Li16ELi64ELi256ELb0ELi8EL8MFMAType1EEvPKT_PKT0_S9_ifPKiSB_SB_iPKfiiiPfSE_PS4_PT2_iSD_SD_,comdat
	.protected	_Z39paged_attention_ll4mi_QKV_mfma16_kernelI14__hip_bfloat16hLN4vllm18Fp8KVCacheDataTypeE1ES0_Li16ELi64ELi256ELb0ELi8EL8MFMAType1EEvPKT_PKT0_S9_ifPKiSB_SB_iPKfiiiPfSE_PS4_PT2_iSD_SD_ ; -- Begin function _Z39paged_attention_ll4mi_QKV_mfma16_kernelI14__hip_bfloat16hLN4vllm18Fp8KVCacheDataTypeE1ES0_Li16ELi64ELi256ELb0ELi8EL8MFMAType1EEvPKT_PKT0_S9_ifPKiSB_SB_iPKfiiiPfSE_PS4_PT2_iSD_SD_
	.globl	_Z39paged_attention_ll4mi_QKV_mfma16_kernelI14__hip_bfloat16hLN4vllm18Fp8KVCacheDataTypeE1ES0_Li16ELi64ELi256ELb0ELi8EL8MFMAType1EEvPKT_PKT0_S9_ifPKiSB_SB_iPKfiiiPfSE_PS4_PT2_iSD_SD_
	.p2align	8
	.type	_Z39paged_attention_ll4mi_QKV_mfma16_kernelI14__hip_bfloat16hLN4vllm18Fp8KVCacheDataTypeE1ES0_Li16ELi64ELi256ELb0ELi8EL8MFMAType1EEvPKT_PKT0_S9_ifPKiSB_SB_iPKfiiiPfSE_PS4_PT2_iSD_SD_,@function
_Z39paged_attention_ll4mi_QKV_mfma16_kernelI14__hip_bfloat16hLN4vllm18Fp8KVCacheDataTypeE1ES0_Li16ELi64ELi256ELb0ELi8EL8MFMAType1EEvPKT_PKT0_S9_ifPKiSB_SB_iPKfiiiPfSE_PS4_PT2_iSD_SD_: ; @_Z39paged_attention_ll4mi_QKV_mfma16_kernelI14__hip_bfloat16hLN4vllm18Fp8KVCacheDataTypeE1ES0_Li16ELi64ELi256ELb0ELi8EL8MFMAType1EEvPKT_PKT0_S9_ifPKiSB_SB_iPKfiiiPfSE_PS4_PT2_iSD_SD_
; %bb.0:
	s_load_dwordx2 s[12:13], s[4:5], 0x30
	s_add_u32 flat_scratch_lo, s6, s11
	s_addc_u32 flat_scratch_hi, s7, 0
	s_add_u32 s0, s0, s11
	s_addc_u32 s1, s1, 0
	s_waitcnt lgkmcnt(0)
	s_cmp_lg_u64 s[12:13], 0
	s_cselect_b64 s[14:15], -1, 0
	s_mov_b32 s6, s9
	s_mov_b64 s[16:17], 0
	s_and_b64 vcc, exec, s[14:15]
	s_mov_b32 s32, 0
	s_cbranch_vccz .LBB701_11
; %bb.1:
	s_add_i32 s18, s8, 1
	s_mov_b32 s19, 0
	s_lshl_b64 s[20:21], s[18:19], 2
	s_add_u32 s20, s12, s20
	s_mov_b32 s9, s19
	s_addc_u32 s21, s13, s21
	s_lshl_b64 s[18:19], s[8:9], 2
	s_add_u32 s18, s12, s18
	s_addc_u32 s19, s13, s19
	s_load_dword s7, s[20:21], 0x0
	s_load_dword s11, s[18:19], 0x0
	s_waitcnt lgkmcnt(0)
	s_sub_i32 s7, s7, s11
	s_cmp_eq_u32 s7, 1
	s_cselect_b64 s[18:19], -1, 0
	s_andn2_b64 vcc, exec, s[16:17]
	s_cbranch_vccnz .LBB701_3
.LBB701_2:
	s_mov_b32 s9, 0
	s_mov_b64 s[18:19], -1
.LBB701_3:
	s_andn2_b64 vcc, exec, s[18:19]
	s_cbranch_vccnz .LBB701_10
; %bb.4:
	s_load_dwordx2 s[18:19], s[4:5], 0x28
	s_lshl_b64 s[16:17], s[8:9], 2
	s_waitcnt lgkmcnt(0)
	s_add_u32 s18, s18, s16
	s_addc_u32 s19, s19, s17
	s_load_dword s7, s[18:19], 0x0
	s_lshl_b32 s6, s6, 8
	s_waitcnt lgkmcnt(0)
	s_cmp_ge_i32 s6, s7
	s_cbranch_scc1 .LBB701_10
; %bb.5:
	s_andn2_b64 vcc, exec, s[14:15]
	s_cbranch_vccnz .LBB701_7
; %bb.6:
	s_add_u32 s6, s12, s16
	s_addc_u32 s7, s13, s17
	s_load_dword s8, s[6:7], 0x0
.LBB701_7:
	v_and_b32_e32 v1, 15, v0
	s_movk_i32 s6, 0x80
	v_cmp_gt_u32_e32 vcc, s6, v0
	v_cmp_gt_u32_e64 s[6:7], 8, v1
	s_and_b64 s[12:13], vcc, s[6:7]
	s_and_saveexec_b64 s[6:7], s[12:13]
	s_cbranch_execz .LBB701_9
; %bb.8:
	s_load_dword s9, s[4:5], 0x48
	s_load_dwordx2 s[12:13], s[4:5], 0x0
	v_lshrrev_b32_e32 v6, 4, v0
	v_lshlrev_b32_e32 v0, 4, v0
	v_and_b32_e32 v0, 16, v0
	s_waitcnt lgkmcnt(0)
	s_ashr_i32 s11, s9, 31
	s_mul_hi_u32 s15, s8, s9
	s_mul_i32 s14, s8, s9
	s_mul_i32 s8, s8, s11
	s_add_i32 s15, s15, s8
	s_lshl_b64 s[8:9], s[14:15], 1
	s_add_u32 s8, s12, s8
	s_addc_u32 s9, s13, s9
	s_lshl_b32 s10, s10, 9
	v_lshl_or_b32 v2, v6, 6, s10
	v_ashrrev_i32_e32 v3, 31, v2
	v_lshlrev_b64 v[2:3], 1, v[2:3]
	v_mov_b32_e32 v4, s9
	v_add_co_u32_e32 v2, vcc, s8, v2
	v_addc_co_u32_e32 v3, vcc, v4, v3, vcc
	v_lshlrev_b32_e32 v4, 4, v1
	v_add_co_u32_e32 v2, vcc, v2, v4
	v_addc_co_u32_e32 v3, vcc, 0, v3, vcc
	global_load_dwordx4 v[2:5], v[2:3], off
	v_lshlrev_b32_e32 v1, 8, v1
	v_lshlrev_b32_e32 v6, 5, v6
	v_and_b32_e32 v1, 0xe00, v1
	v_or3_b32 v0, v1, v6, v0
	s_waitcnt vmcnt(0)
	ds_write_b128 v0, v[2:5]
.LBB701_9:
	s_or_b64 exec, exec, s[6:7]
	s_waitcnt lgkmcnt(0)
	s_add_u32 s8, s4, 0x90
	s_addc_u32 s9, s5, 0
	s_getpc_b64 s[4:5]
	s_add_u32 s4, s4, __PRETTY_FUNCTION__._Z39paged_attention_ll4mi_QKV_mfma16_kernelI14__hip_bfloat16hLN4vllm18Fp8KVCacheDataTypeE1ES0_Li16ELi64ELi256ELb0ELi8EL8MFMAType1EEvPKT_PKT0_S9_ifPKiSB_SB_iPKfiiiPfSE_PS4_PT2_iSD_SD_@rel32@lo+4
	s_addc_u32 s5, s5, __PRETTY_FUNCTION__._Z39paged_attention_ll4mi_QKV_mfma16_kernelI14__hip_bfloat16hLN4vllm18Fp8KVCacheDataTypeE1ES0_Li16ELi64ELi256ELb0ELi8EL8MFMAType1EEvPKT_PKT0_S9_ifPKiSB_SB_iPKfiiiPfSE_PS4_PT2_iSD_SD_@rel32@hi+12
	v_mov_b32_e32 v0, 0x288
	v_mov_b32_e32 v1, s4
	;; [unrolled: 1-line block ×3, first 2 shown]
	s_barrier
	s_getpc_b64 s[6:7]
	s_add_u32 s6, s6, __assert_fail@rel32@lo+4
	s_addc_u32 s7, s7, __assert_fail@rel32@hi+12
	s_swappc_b64 s[30:31], s[6:7]
	; divergent unreachable
.LBB701_10:
	s_endpgm
.LBB701_11:
	s_mov_b64 s[18:19], 0
	s_branch .LBB701_2
	.section	.rodata,"a",@progbits
	.p2align	6, 0x0
	.amdhsa_kernel _Z39paged_attention_ll4mi_QKV_mfma16_kernelI14__hip_bfloat16hLN4vllm18Fp8KVCacheDataTypeE1ES0_Li16ELi64ELi256ELb0ELi8EL8MFMAType1EEvPKT_PKT0_S9_ifPKiSB_SB_iPKfiiiPfSE_PS4_PT2_iSD_SD_
		.amdhsa_group_segment_fixed_size 8192
		.amdhsa_private_segment_fixed_size 64
		.amdhsa_kernarg_size 400
		.amdhsa_user_sgpr_count 8
		.amdhsa_user_sgpr_private_segment_buffer 1
		.amdhsa_user_sgpr_dispatch_ptr 0
		.amdhsa_user_sgpr_queue_ptr 0
		.amdhsa_user_sgpr_kernarg_segment_ptr 1
		.amdhsa_user_sgpr_dispatch_id 0
		.amdhsa_user_sgpr_flat_scratch_init 1
		.amdhsa_user_sgpr_kernarg_preload_length 0
		.amdhsa_user_sgpr_kernarg_preload_offset 0
		.amdhsa_user_sgpr_private_segment_size 0
		.amdhsa_uses_dynamic_stack 0
		.amdhsa_system_sgpr_private_segment_wavefront_offset 1
		.amdhsa_system_sgpr_workgroup_id_x 1
		.amdhsa_system_sgpr_workgroup_id_y 1
		.amdhsa_system_sgpr_workgroup_id_z 1
		.amdhsa_system_sgpr_workgroup_info 0
		.amdhsa_system_vgpr_workitem_id 0
		.amdhsa_next_free_vgpr 45
		.amdhsa_next_free_sgpr 34
		.amdhsa_accum_offset 44
		.amdhsa_reserve_vcc 1
		.amdhsa_reserve_flat_scratch 1
		.amdhsa_float_round_mode_32 0
		.amdhsa_float_round_mode_16_64 0
		.amdhsa_float_denorm_mode_32 3
		.amdhsa_float_denorm_mode_16_64 3
		.amdhsa_dx10_clamp 1
		.amdhsa_ieee_mode 1
		.amdhsa_fp16_overflow 0
		.amdhsa_tg_split 0
		.amdhsa_exception_fp_ieee_invalid_op 0
		.amdhsa_exception_fp_denorm_src 0
		.amdhsa_exception_fp_ieee_div_zero 0
		.amdhsa_exception_fp_ieee_overflow 0
		.amdhsa_exception_fp_ieee_underflow 0
		.amdhsa_exception_fp_ieee_inexact 0
		.amdhsa_exception_int_div_zero 0
	.end_amdhsa_kernel
	.section	.text._Z39paged_attention_ll4mi_QKV_mfma16_kernelI14__hip_bfloat16hLN4vllm18Fp8KVCacheDataTypeE1ES0_Li16ELi64ELi256ELb0ELi8EL8MFMAType1EEvPKT_PKT0_S9_ifPKiSB_SB_iPKfiiiPfSE_PS4_PT2_iSD_SD_,"axG",@progbits,_Z39paged_attention_ll4mi_QKV_mfma16_kernelI14__hip_bfloat16hLN4vllm18Fp8KVCacheDataTypeE1ES0_Li16ELi64ELi256ELb0ELi8EL8MFMAType1EEvPKT_PKT0_S9_ifPKiSB_SB_iPKfiiiPfSE_PS4_PT2_iSD_SD_,comdat
.Lfunc_end701:
	.size	_Z39paged_attention_ll4mi_QKV_mfma16_kernelI14__hip_bfloat16hLN4vllm18Fp8KVCacheDataTypeE1ES0_Li16ELi64ELi256ELb0ELi8EL8MFMAType1EEvPKT_PKT0_S9_ifPKiSB_SB_iPKfiiiPfSE_PS4_PT2_iSD_SD_, .Lfunc_end701-_Z39paged_attention_ll4mi_QKV_mfma16_kernelI14__hip_bfloat16hLN4vllm18Fp8KVCacheDataTypeE1ES0_Li16ELi64ELi256ELb0ELi8EL8MFMAType1EEvPKT_PKT0_S9_ifPKiSB_SB_iPKfiiiPfSE_PS4_PT2_iSD_SD_
                                        ; -- End function
	.section	.AMDGPU.csdata,"",@progbits
; Kernel info:
; codeLenInByte = 504
; NumSgprs: 40
; NumVgprs: 42
; NumAgprs: 1
; TotalNumVgprs: 45
; ScratchSize: 64
; MemoryBound: 0
; FloatMode: 240
; IeeeMode: 1
; LDSByteSize: 8192 bytes/workgroup (compile time only)
; SGPRBlocks: 4
; VGPRBlocks: 5
; NumSGPRsForWavesPerEU: 40
; NumVGPRsForWavesPerEU: 45
; AccumOffset: 44
; Occupancy: 8
; WaveLimiterHint : 1
; COMPUTE_PGM_RSRC2:SCRATCH_EN: 1
; COMPUTE_PGM_RSRC2:USER_SGPR: 8
; COMPUTE_PGM_RSRC2:TRAP_HANDLER: 0
; COMPUTE_PGM_RSRC2:TGID_X_EN: 1
; COMPUTE_PGM_RSRC2:TGID_Y_EN: 1
; COMPUTE_PGM_RSRC2:TGID_Z_EN: 1
; COMPUTE_PGM_RSRC2:TIDIG_COMP_CNT: 0
; COMPUTE_PGM_RSRC3_GFX90A:ACCUM_OFFSET: 10
; COMPUTE_PGM_RSRC3_GFX90A:TG_SPLIT: 0
	.section	.text._Z39paged_attention_ll4mi_QKV_mfma16_kernelI14__hip_bfloat16hLN4vllm18Fp8KVCacheDataTypeE1ES0_Li16ELi64ELi256ELb0ELi9EL8MFMAType1EEvPKT_PKT0_S9_ifPKiSB_SB_iPKfiiiPfSE_PS4_PT2_iSD_SD_,"axG",@progbits,_Z39paged_attention_ll4mi_QKV_mfma16_kernelI14__hip_bfloat16hLN4vllm18Fp8KVCacheDataTypeE1ES0_Li16ELi64ELi256ELb0ELi9EL8MFMAType1EEvPKT_PKT0_S9_ifPKiSB_SB_iPKfiiiPfSE_PS4_PT2_iSD_SD_,comdat
	.protected	_Z39paged_attention_ll4mi_QKV_mfma16_kernelI14__hip_bfloat16hLN4vllm18Fp8KVCacheDataTypeE1ES0_Li16ELi64ELi256ELb0ELi9EL8MFMAType1EEvPKT_PKT0_S9_ifPKiSB_SB_iPKfiiiPfSE_PS4_PT2_iSD_SD_ ; -- Begin function _Z39paged_attention_ll4mi_QKV_mfma16_kernelI14__hip_bfloat16hLN4vllm18Fp8KVCacheDataTypeE1ES0_Li16ELi64ELi256ELb0ELi9EL8MFMAType1EEvPKT_PKT0_S9_ifPKiSB_SB_iPKfiiiPfSE_PS4_PT2_iSD_SD_
	.globl	_Z39paged_attention_ll4mi_QKV_mfma16_kernelI14__hip_bfloat16hLN4vllm18Fp8KVCacheDataTypeE1ES0_Li16ELi64ELi256ELb0ELi9EL8MFMAType1EEvPKT_PKT0_S9_ifPKiSB_SB_iPKfiiiPfSE_PS4_PT2_iSD_SD_
	.p2align	8
	.type	_Z39paged_attention_ll4mi_QKV_mfma16_kernelI14__hip_bfloat16hLN4vllm18Fp8KVCacheDataTypeE1ES0_Li16ELi64ELi256ELb0ELi9EL8MFMAType1EEvPKT_PKT0_S9_ifPKiSB_SB_iPKfiiiPfSE_PS4_PT2_iSD_SD_,@function
_Z39paged_attention_ll4mi_QKV_mfma16_kernelI14__hip_bfloat16hLN4vllm18Fp8KVCacheDataTypeE1ES0_Li16ELi64ELi256ELb0ELi9EL8MFMAType1EEvPKT_PKT0_S9_ifPKiSB_SB_iPKfiiiPfSE_PS4_PT2_iSD_SD_: ; @_Z39paged_attention_ll4mi_QKV_mfma16_kernelI14__hip_bfloat16hLN4vllm18Fp8KVCacheDataTypeE1ES0_Li16ELi64ELi256ELb0ELi9EL8MFMAType1EEvPKT_PKT0_S9_ifPKiSB_SB_iPKfiiiPfSE_PS4_PT2_iSD_SD_
; %bb.0:
	s_load_dwordx2 s[12:13], s[4:5], 0x30
	s_add_u32 flat_scratch_lo, s6, s11
	s_addc_u32 flat_scratch_hi, s7, 0
	s_add_u32 s0, s0, s11
	s_addc_u32 s1, s1, 0
	s_waitcnt lgkmcnt(0)
	s_cmp_lg_u64 s[12:13], 0
	s_cselect_b64 s[14:15], -1, 0
	s_mov_b32 s6, s9
	s_mov_b64 s[16:17], 0
	s_and_b64 vcc, exec, s[14:15]
	s_mov_b32 s32, 0
	s_cbranch_vccz .LBB702_11
; %bb.1:
	s_add_i32 s18, s8, 1
	s_mov_b32 s19, 0
	s_lshl_b64 s[20:21], s[18:19], 2
	s_add_u32 s20, s12, s20
	s_mov_b32 s9, s19
	s_addc_u32 s21, s13, s21
	s_lshl_b64 s[18:19], s[8:9], 2
	s_add_u32 s18, s12, s18
	s_addc_u32 s19, s13, s19
	s_load_dword s7, s[20:21], 0x0
	s_load_dword s11, s[18:19], 0x0
	s_waitcnt lgkmcnt(0)
	s_sub_i32 s7, s7, s11
	s_cmp_eq_u32 s7, 1
	s_cselect_b64 s[18:19], -1, 0
	s_andn2_b64 vcc, exec, s[16:17]
	s_cbranch_vccnz .LBB702_3
.LBB702_2:
	s_mov_b32 s9, 0
	s_mov_b64 s[18:19], -1
.LBB702_3:
	s_andn2_b64 vcc, exec, s[18:19]
	s_cbranch_vccnz .LBB702_10
; %bb.4:
	s_load_dwordx2 s[18:19], s[4:5], 0x28
	s_lshl_b64 s[16:17], s[8:9], 2
	s_waitcnt lgkmcnt(0)
	s_add_u32 s18, s18, s16
	s_addc_u32 s19, s19, s17
	s_load_dword s7, s[18:19], 0x0
	s_lshl_b32 s6, s6, 8
	s_waitcnt lgkmcnt(0)
	s_cmp_ge_i32 s6, s7
	s_cbranch_scc1 .LBB702_10
; %bb.5:
	s_andn2_b64 vcc, exec, s[14:15]
	s_cbranch_vccnz .LBB702_7
; %bb.6:
	s_add_u32 s6, s12, s16
	s_addc_u32 s7, s13, s17
	s_load_dword s8, s[6:7], 0x0
.LBB702_7:
	v_and_b32_e32 v1, 15, v0
	s_movk_i32 s6, 0x90
	v_cmp_gt_u32_e32 vcc, s6, v0
	v_cmp_gt_u32_e64 s[6:7], 8, v1
	s_and_b64 s[12:13], s[6:7], vcc
	s_and_saveexec_b64 s[6:7], s[12:13]
	s_cbranch_execz .LBB702_9
; %bb.8:
	s_load_dword s11, s[4:5], 0x48
	s_load_dwordx2 s[12:13], s[4:5], 0x0
	v_lshrrev_b32_e32 v6, 4, v0
	s_mul_i32 s10, s10, 9
	v_add_lshl_u32 v2, v6, s10, 6
	s_waitcnt lgkmcnt(0)
	s_ashr_i32 s9, s11, 31
	s_mul_hi_u32 s14, s8, s11
	s_mul_i32 s9, s8, s9
	s_add_i32 s9, s14, s9
	s_mul_i32 s8, s8, s11
	s_lshl_b64 s[8:9], s[8:9], 1
	s_add_u32 s8, s12, s8
	v_ashrrev_i32_e32 v3, 31, v2
	s_addc_u32 s9, s13, s9
	v_lshlrev_b64 v[2:3], 1, v[2:3]
	v_mov_b32_e32 v4, s9
	v_add_co_u32_e32 v2, vcc, s8, v2
	v_addc_co_u32_e32 v3, vcc, v4, v3, vcc
	v_lshlrev_b32_e32 v4, 4, v1
	v_add_co_u32_e32 v2, vcc, v2, v4
	v_addc_co_u32_e32 v3, vcc, 0, v3, vcc
	global_load_dwordx4 v[2:5], v[2:3], off
	v_lshlrev_b32_e32 v0, 4, v0
	v_lshlrev_b32_e32 v1, 8, v1
	v_and_b32_e32 v0, 16, v0
	v_lshlrev_b32_e32 v6, 5, v6
	v_and_b32_e32 v1, 0xe00, v1
	v_or3_b32 v0, v1, v6, v0
	s_waitcnt vmcnt(0)
	ds_write_b128 v0, v[2:5]
.LBB702_9:
	s_or_b64 exec, exec, s[6:7]
	s_waitcnt lgkmcnt(0)
	s_add_u32 s8, s4, 0x90
	s_addc_u32 s9, s5, 0
	s_getpc_b64 s[4:5]
	s_add_u32 s4, s4, __PRETTY_FUNCTION__._Z39paged_attention_ll4mi_QKV_mfma16_kernelI14__hip_bfloat16hLN4vllm18Fp8KVCacheDataTypeE1ES0_Li16ELi64ELi256ELb0ELi9EL8MFMAType1EEvPKT_PKT0_S9_ifPKiSB_SB_iPKfiiiPfSE_PS4_PT2_iSD_SD_@rel32@lo+4
	s_addc_u32 s5, s5, __PRETTY_FUNCTION__._Z39paged_attention_ll4mi_QKV_mfma16_kernelI14__hip_bfloat16hLN4vllm18Fp8KVCacheDataTypeE1ES0_Li16ELi64ELi256ELb0ELi9EL8MFMAType1EEvPKT_PKT0_S9_ifPKiSB_SB_iPKfiiiPfSE_PS4_PT2_iSD_SD_@rel32@hi+12
	v_mov_b32_e32 v0, 0x288
	v_mov_b32_e32 v1, s4
	;; [unrolled: 1-line block ×3, first 2 shown]
	s_barrier
	s_getpc_b64 s[6:7]
	s_add_u32 s6, s6, __assert_fail@rel32@lo+4
	s_addc_u32 s7, s7, __assert_fail@rel32@hi+12
	s_swappc_b64 s[30:31], s[6:7]
	; divergent unreachable
.LBB702_10:
	s_endpgm
.LBB702_11:
	s_mov_b64 s[18:19], 0
	s_branch .LBB702_2
	.section	.rodata,"a",@progbits
	.p2align	6, 0x0
	.amdhsa_kernel _Z39paged_attention_ll4mi_QKV_mfma16_kernelI14__hip_bfloat16hLN4vllm18Fp8KVCacheDataTypeE1ES0_Li16ELi64ELi256ELb0ELi9EL8MFMAType1EEvPKT_PKT0_S9_ifPKiSB_SB_iPKfiiiPfSE_PS4_PT2_iSD_SD_
		.amdhsa_group_segment_fixed_size 8192
		.amdhsa_private_segment_fixed_size 64
		.amdhsa_kernarg_size 400
		.amdhsa_user_sgpr_count 8
		.amdhsa_user_sgpr_private_segment_buffer 1
		.amdhsa_user_sgpr_dispatch_ptr 0
		.amdhsa_user_sgpr_queue_ptr 0
		.amdhsa_user_sgpr_kernarg_segment_ptr 1
		.amdhsa_user_sgpr_dispatch_id 0
		.amdhsa_user_sgpr_flat_scratch_init 1
		.amdhsa_user_sgpr_kernarg_preload_length 0
		.amdhsa_user_sgpr_kernarg_preload_offset 0
		.amdhsa_user_sgpr_private_segment_size 0
		.amdhsa_uses_dynamic_stack 0
		.amdhsa_system_sgpr_private_segment_wavefront_offset 1
		.amdhsa_system_sgpr_workgroup_id_x 1
		.amdhsa_system_sgpr_workgroup_id_y 1
		.amdhsa_system_sgpr_workgroup_id_z 1
		.amdhsa_system_sgpr_workgroup_info 0
		.amdhsa_system_vgpr_workitem_id 0
		.amdhsa_next_free_vgpr 45
		.amdhsa_next_free_sgpr 34
		.amdhsa_accum_offset 44
		.amdhsa_reserve_vcc 1
		.amdhsa_reserve_flat_scratch 1
		.amdhsa_float_round_mode_32 0
		.amdhsa_float_round_mode_16_64 0
		.amdhsa_float_denorm_mode_32 3
		.amdhsa_float_denorm_mode_16_64 3
		.amdhsa_dx10_clamp 1
		.amdhsa_ieee_mode 1
		.amdhsa_fp16_overflow 0
		.amdhsa_tg_split 0
		.amdhsa_exception_fp_ieee_invalid_op 0
		.amdhsa_exception_fp_denorm_src 0
		.amdhsa_exception_fp_ieee_div_zero 0
		.amdhsa_exception_fp_ieee_overflow 0
		.amdhsa_exception_fp_ieee_underflow 0
		.amdhsa_exception_fp_ieee_inexact 0
		.amdhsa_exception_int_div_zero 0
	.end_amdhsa_kernel
	.section	.text._Z39paged_attention_ll4mi_QKV_mfma16_kernelI14__hip_bfloat16hLN4vllm18Fp8KVCacheDataTypeE1ES0_Li16ELi64ELi256ELb0ELi9EL8MFMAType1EEvPKT_PKT0_S9_ifPKiSB_SB_iPKfiiiPfSE_PS4_PT2_iSD_SD_,"axG",@progbits,_Z39paged_attention_ll4mi_QKV_mfma16_kernelI14__hip_bfloat16hLN4vllm18Fp8KVCacheDataTypeE1ES0_Li16ELi64ELi256ELb0ELi9EL8MFMAType1EEvPKT_PKT0_S9_ifPKiSB_SB_iPKfiiiPfSE_PS4_PT2_iSD_SD_,comdat
.Lfunc_end702:
	.size	_Z39paged_attention_ll4mi_QKV_mfma16_kernelI14__hip_bfloat16hLN4vllm18Fp8KVCacheDataTypeE1ES0_Li16ELi64ELi256ELb0ELi9EL8MFMAType1EEvPKT_PKT0_S9_ifPKiSB_SB_iPKfiiiPfSE_PS4_PT2_iSD_SD_, .Lfunc_end702-_Z39paged_attention_ll4mi_QKV_mfma16_kernelI14__hip_bfloat16hLN4vllm18Fp8KVCacheDataTypeE1ES0_Li16ELi64ELi256ELb0ELi9EL8MFMAType1EEvPKT_PKT0_S9_ifPKiSB_SB_iPKfiiiPfSE_PS4_PT2_iSD_SD_
                                        ; -- End function
	.section	.AMDGPU.csdata,"",@progbits
; Kernel info:
; codeLenInByte = 504
; NumSgprs: 40
; NumVgprs: 42
; NumAgprs: 1
; TotalNumVgprs: 45
; ScratchSize: 64
; MemoryBound: 0
; FloatMode: 240
; IeeeMode: 1
; LDSByteSize: 8192 bytes/workgroup (compile time only)
; SGPRBlocks: 4
; VGPRBlocks: 5
; NumSGPRsForWavesPerEU: 40
; NumVGPRsForWavesPerEU: 45
; AccumOffset: 44
; Occupancy: 8
; WaveLimiterHint : 1
; COMPUTE_PGM_RSRC2:SCRATCH_EN: 1
; COMPUTE_PGM_RSRC2:USER_SGPR: 8
; COMPUTE_PGM_RSRC2:TRAP_HANDLER: 0
; COMPUTE_PGM_RSRC2:TGID_X_EN: 1
; COMPUTE_PGM_RSRC2:TGID_Y_EN: 1
; COMPUTE_PGM_RSRC2:TGID_Z_EN: 1
; COMPUTE_PGM_RSRC2:TIDIG_COMP_CNT: 0
; COMPUTE_PGM_RSRC3_GFX90A:ACCUM_OFFSET: 10
; COMPUTE_PGM_RSRC3_GFX90A:TG_SPLIT: 0
	.section	.text._Z39paged_attention_ll4mi_QKV_mfma16_kernelI14__hip_bfloat16hLN4vllm18Fp8KVCacheDataTypeE1ES0_Li16ELi64ELi256ELb0ELi10EL8MFMAType1EEvPKT_PKT0_S9_ifPKiSB_SB_iPKfiiiPfSE_PS4_PT2_iSD_SD_,"axG",@progbits,_Z39paged_attention_ll4mi_QKV_mfma16_kernelI14__hip_bfloat16hLN4vllm18Fp8KVCacheDataTypeE1ES0_Li16ELi64ELi256ELb0ELi10EL8MFMAType1EEvPKT_PKT0_S9_ifPKiSB_SB_iPKfiiiPfSE_PS4_PT2_iSD_SD_,comdat
	.protected	_Z39paged_attention_ll4mi_QKV_mfma16_kernelI14__hip_bfloat16hLN4vllm18Fp8KVCacheDataTypeE1ES0_Li16ELi64ELi256ELb0ELi10EL8MFMAType1EEvPKT_PKT0_S9_ifPKiSB_SB_iPKfiiiPfSE_PS4_PT2_iSD_SD_ ; -- Begin function _Z39paged_attention_ll4mi_QKV_mfma16_kernelI14__hip_bfloat16hLN4vllm18Fp8KVCacheDataTypeE1ES0_Li16ELi64ELi256ELb0ELi10EL8MFMAType1EEvPKT_PKT0_S9_ifPKiSB_SB_iPKfiiiPfSE_PS4_PT2_iSD_SD_
	.globl	_Z39paged_attention_ll4mi_QKV_mfma16_kernelI14__hip_bfloat16hLN4vllm18Fp8KVCacheDataTypeE1ES0_Li16ELi64ELi256ELb0ELi10EL8MFMAType1EEvPKT_PKT0_S9_ifPKiSB_SB_iPKfiiiPfSE_PS4_PT2_iSD_SD_
	.p2align	8
	.type	_Z39paged_attention_ll4mi_QKV_mfma16_kernelI14__hip_bfloat16hLN4vllm18Fp8KVCacheDataTypeE1ES0_Li16ELi64ELi256ELb0ELi10EL8MFMAType1EEvPKT_PKT0_S9_ifPKiSB_SB_iPKfiiiPfSE_PS4_PT2_iSD_SD_,@function
_Z39paged_attention_ll4mi_QKV_mfma16_kernelI14__hip_bfloat16hLN4vllm18Fp8KVCacheDataTypeE1ES0_Li16ELi64ELi256ELb0ELi10EL8MFMAType1EEvPKT_PKT0_S9_ifPKiSB_SB_iPKfiiiPfSE_PS4_PT2_iSD_SD_: ; @_Z39paged_attention_ll4mi_QKV_mfma16_kernelI14__hip_bfloat16hLN4vllm18Fp8KVCacheDataTypeE1ES0_Li16ELi64ELi256ELb0ELi10EL8MFMAType1EEvPKT_PKT0_S9_ifPKiSB_SB_iPKfiiiPfSE_PS4_PT2_iSD_SD_
; %bb.0:
	s_load_dwordx2 s[12:13], s[4:5], 0x30
	s_add_u32 flat_scratch_lo, s6, s11
	s_addc_u32 flat_scratch_hi, s7, 0
	s_add_u32 s0, s0, s11
	s_addc_u32 s1, s1, 0
	s_waitcnt lgkmcnt(0)
	s_cmp_lg_u64 s[12:13], 0
	s_cselect_b64 s[14:15], -1, 0
	s_mov_b32 s6, s9
	s_mov_b64 s[16:17], 0
	s_and_b64 vcc, exec, s[14:15]
	s_mov_b32 s32, 0
	s_cbranch_vccz .LBB703_11
; %bb.1:
	s_add_i32 s18, s8, 1
	s_mov_b32 s19, 0
	s_lshl_b64 s[20:21], s[18:19], 2
	s_add_u32 s20, s12, s20
	s_mov_b32 s9, s19
	s_addc_u32 s21, s13, s21
	s_lshl_b64 s[18:19], s[8:9], 2
	s_add_u32 s18, s12, s18
	s_addc_u32 s19, s13, s19
	s_load_dword s7, s[20:21], 0x0
	s_load_dword s11, s[18:19], 0x0
	s_waitcnt lgkmcnt(0)
	s_sub_i32 s7, s7, s11
	s_cmp_eq_u32 s7, 1
	s_cselect_b64 s[18:19], -1, 0
	s_andn2_b64 vcc, exec, s[16:17]
	s_cbranch_vccnz .LBB703_3
.LBB703_2:
	s_mov_b32 s9, 0
	s_mov_b64 s[18:19], -1
.LBB703_3:
	s_andn2_b64 vcc, exec, s[18:19]
	s_cbranch_vccnz .LBB703_10
; %bb.4:
	s_load_dwordx2 s[18:19], s[4:5], 0x28
	s_lshl_b64 s[16:17], s[8:9], 2
	s_waitcnt lgkmcnt(0)
	s_add_u32 s18, s18, s16
	s_addc_u32 s19, s19, s17
	s_load_dword s7, s[18:19], 0x0
	s_lshl_b32 s6, s6, 8
	s_waitcnt lgkmcnt(0)
	s_cmp_ge_i32 s6, s7
	s_cbranch_scc1 .LBB703_10
; %bb.5:
	s_andn2_b64 vcc, exec, s[14:15]
	s_cbranch_vccnz .LBB703_7
; %bb.6:
	s_add_u32 s6, s12, s16
	s_addc_u32 s7, s13, s17
	s_load_dword s8, s[6:7], 0x0
.LBB703_7:
	v_and_b32_e32 v1, 15, v0
	s_movk_i32 s6, 0xa0
	v_cmp_gt_u32_e32 vcc, s6, v0
	v_cmp_gt_u32_e64 s[6:7], 8, v1
	s_and_b64 s[12:13], s[6:7], vcc
	s_and_saveexec_b64 s[6:7], s[12:13]
	s_cbranch_execz .LBB703_9
; %bb.8:
	s_load_dword s11, s[4:5], 0x48
	s_load_dwordx2 s[12:13], s[4:5], 0x0
	v_lshrrev_b32_e32 v6, 4, v0
	s_mul_i32 s10, s10, 10
	v_add_lshl_u32 v2, v6, s10, 6
	s_waitcnt lgkmcnt(0)
	s_ashr_i32 s9, s11, 31
	s_mul_hi_u32 s14, s8, s11
	s_mul_i32 s9, s8, s9
	s_add_i32 s9, s14, s9
	s_mul_i32 s8, s8, s11
	s_lshl_b64 s[8:9], s[8:9], 1
	s_add_u32 s8, s12, s8
	v_ashrrev_i32_e32 v3, 31, v2
	s_addc_u32 s9, s13, s9
	v_lshlrev_b64 v[2:3], 1, v[2:3]
	v_mov_b32_e32 v4, s9
	v_add_co_u32_e32 v2, vcc, s8, v2
	v_addc_co_u32_e32 v3, vcc, v4, v3, vcc
	v_lshlrev_b32_e32 v4, 4, v1
	v_add_co_u32_e32 v2, vcc, v2, v4
	v_addc_co_u32_e32 v3, vcc, 0, v3, vcc
	global_load_dwordx4 v[2:5], v[2:3], off
	v_lshlrev_b32_e32 v0, 4, v0
	v_lshlrev_b32_e32 v1, 8, v1
	v_and_b32_e32 v0, 16, v0
	v_lshlrev_b32_e32 v6, 5, v6
	v_and_b32_e32 v1, 0xe00, v1
	v_or3_b32 v0, v1, v6, v0
	s_waitcnt vmcnt(0)
	ds_write_b128 v0, v[2:5]
.LBB703_9:
	s_or_b64 exec, exec, s[6:7]
	s_waitcnt lgkmcnt(0)
	s_add_u32 s8, s4, 0x90
	s_addc_u32 s9, s5, 0
	s_getpc_b64 s[4:5]
	s_add_u32 s4, s4, __PRETTY_FUNCTION__._Z39paged_attention_ll4mi_QKV_mfma16_kernelI14__hip_bfloat16hLN4vllm18Fp8KVCacheDataTypeE1ES0_Li16ELi64ELi256ELb0ELi10EL8MFMAType1EEvPKT_PKT0_S9_ifPKiSB_SB_iPKfiiiPfSE_PS4_PT2_iSD_SD_@rel32@lo+4
	s_addc_u32 s5, s5, __PRETTY_FUNCTION__._Z39paged_attention_ll4mi_QKV_mfma16_kernelI14__hip_bfloat16hLN4vllm18Fp8KVCacheDataTypeE1ES0_Li16ELi64ELi256ELb0ELi10EL8MFMAType1EEvPKT_PKT0_S9_ifPKiSB_SB_iPKfiiiPfSE_PS4_PT2_iSD_SD_@rel32@hi+12
	v_mov_b32_e32 v0, 0x288
	v_mov_b32_e32 v1, s4
	;; [unrolled: 1-line block ×3, first 2 shown]
	s_barrier
	s_getpc_b64 s[6:7]
	s_add_u32 s6, s6, __assert_fail@rel32@lo+4
	s_addc_u32 s7, s7, __assert_fail@rel32@hi+12
	s_swappc_b64 s[30:31], s[6:7]
	; divergent unreachable
.LBB703_10:
	s_endpgm
.LBB703_11:
	s_mov_b64 s[18:19], 0
	s_branch .LBB703_2
	.section	.rodata,"a",@progbits
	.p2align	6, 0x0
	.amdhsa_kernel _Z39paged_attention_ll4mi_QKV_mfma16_kernelI14__hip_bfloat16hLN4vllm18Fp8KVCacheDataTypeE1ES0_Li16ELi64ELi256ELb0ELi10EL8MFMAType1EEvPKT_PKT0_S9_ifPKiSB_SB_iPKfiiiPfSE_PS4_PT2_iSD_SD_
		.amdhsa_group_segment_fixed_size 8192
		.amdhsa_private_segment_fixed_size 64
		.amdhsa_kernarg_size 400
		.amdhsa_user_sgpr_count 8
		.amdhsa_user_sgpr_private_segment_buffer 1
		.amdhsa_user_sgpr_dispatch_ptr 0
		.amdhsa_user_sgpr_queue_ptr 0
		.amdhsa_user_sgpr_kernarg_segment_ptr 1
		.amdhsa_user_sgpr_dispatch_id 0
		.amdhsa_user_sgpr_flat_scratch_init 1
		.amdhsa_user_sgpr_kernarg_preload_length 0
		.amdhsa_user_sgpr_kernarg_preload_offset 0
		.amdhsa_user_sgpr_private_segment_size 0
		.amdhsa_uses_dynamic_stack 0
		.amdhsa_system_sgpr_private_segment_wavefront_offset 1
		.amdhsa_system_sgpr_workgroup_id_x 1
		.amdhsa_system_sgpr_workgroup_id_y 1
		.amdhsa_system_sgpr_workgroup_id_z 1
		.amdhsa_system_sgpr_workgroup_info 0
		.amdhsa_system_vgpr_workitem_id 0
		.amdhsa_next_free_vgpr 45
		.amdhsa_next_free_sgpr 34
		.amdhsa_accum_offset 44
		.amdhsa_reserve_vcc 1
		.amdhsa_reserve_flat_scratch 1
		.amdhsa_float_round_mode_32 0
		.amdhsa_float_round_mode_16_64 0
		.amdhsa_float_denorm_mode_32 3
		.amdhsa_float_denorm_mode_16_64 3
		.amdhsa_dx10_clamp 1
		.amdhsa_ieee_mode 1
		.amdhsa_fp16_overflow 0
		.amdhsa_tg_split 0
		.amdhsa_exception_fp_ieee_invalid_op 0
		.amdhsa_exception_fp_denorm_src 0
		.amdhsa_exception_fp_ieee_div_zero 0
		.amdhsa_exception_fp_ieee_overflow 0
		.amdhsa_exception_fp_ieee_underflow 0
		.amdhsa_exception_fp_ieee_inexact 0
		.amdhsa_exception_int_div_zero 0
	.end_amdhsa_kernel
	.section	.text._Z39paged_attention_ll4mi_QKV_mfma16_kernelI14__hip_bfloat16hLN4vllm18Fp8KVCacheDataTypeE1ES0_Li16ELi64ELi256ELb0ELi10EL8MFMAType1EEvPKT_PKT0_S9_ifPKiSB_SB_iPKfiiiPfSE_PS4_PT2_iSD_SD_,"axG",@progbits,_Z39paged_attention_ll4mi_QKV_mfma16_kernelI14__hip_bfloat16hLN4vllm18Fp8KVCacheDataTypeE1ES0_Li16ELi64ELi256ELb0ELi10EL8MFMAType1EEvPKT_PKT0_S9_ifPKiSB_SB_iPKfiiiPfSE_PS4_PT2_iSD_SD_,comdat
.Lfunc_end703:
	.size	_Z39paged_attention_ll4mi_QKV_mfma16_kernelI14__hip_bfloat16hLN4vllm18Fp8KVCacheDataTypeE1ES0_Li16ELi64ELi256ELb0ELi10EL8MFMAType1EEvPKT_PKT0_S9_ifPKiSB_SB_iPKfiiiPfSE_PS4_PT2_iSD_SD_, .Lfunc_end703-_Z39paged_attention_ll4mi_QKV_mfma16_kernelI14__hip_bfloat16hLN4vllm18Fp8KVCacheDataTypeE1ES0_Li16ELi64ELi256ELb0ELi10EL8MFMAType1EEvPKT_PKT0_S9_ifPKiSB_SB_iPKfiiiPfSE_PS4_PT2_iSD_SD_
                                        ; -- End function
	.section	.AMDGPU.csdata,"",@progbits
; Kernel info:
; codeLenInByte = 504
; NumSgprs: 40
; NumVgprs: 42
; NumAgprs: 1
; TotalNumVgprs: 45
; ScratchSize: 64
; MemoryBound: 0
; FloatMode: 240
; IeeeMode: 1
; LDSByteSize: 8192 bytes/workgroup (compile time only)
; SGPRBlocks: 4
; VGPRBlocks: 5
; NumSGPRsForWavesPerEU: 40
; NumVGPRsForWavesPerEU: 45
; AccumOffset: 44
; Occupancy: 8
; WaveLimiterHint : 1
; COMPUTE_PGM_RSRC2:SCRATCH_EN: 1
; COMPUTE_PGM_RSRC2:USER_SGPR: 8
; COMPUTE_PGM_RSRC2:TRAP_HANDLER: 0
; COMPUTE_PGM_RSRC2:TGID_X_EN: 1
; COMPUTE_PGM_RSRC2:TGID_Y_EN: 1
; COMPUTE_PGM_RSRC2:TGID_Z_EN: 1
; COMPUTE_PGM_RSRC2:TIDIG_COMP_CNT: 0
; COMPUTE_PGM_RSRC3_GFX90A:ACCUM_OFFSET: 10
; COMPUTE_PGM_RSRC3_GFX90A:TG_SPLIT: 0
	.section	.text._Z39paged_attention_ll4mi_QKV_mfma16_kernelI14__hip_bfloat16hLN4vllm18Fp8KVCacheDataTypeE1ES0_Li16ELi64ELi256ELb0ELi11EL8MFMAType1EEvPKT_PKT0_S9_ifPKiSB_SB_iPKfiiiPfSE_PS4_PT2_iSD_SD_,"axG",@progbits,_Z39paged_attention_ll4mi_QKV_mfma16_kernelI14__hip_bfloat16hLN4vllm18Fp8KVCacheDataTypeE1ES0_Li16ELi64ELi256ELb0ELi11EL8MFMAType1EEvPKT_PKT0_S9_ifPKiSB_SB_iPKfiiiPfSE_PS4_PT2_iSD_SD_,comdat
	.protected	_Z39paged_attention_ll4mi_QKV_mfma16_kernelI14__hip_bfloat16hLN4vllm18Fp8KVCacheDataTypeE1ES0_Li16ELi64ELi256ELb0ELi11EL8MFMAType1EEvPKT_PKT0_S9_ifPKiSB_SB_iPKfiiiPfSE_PS4_PT2_iSD_SD_ ; -- Begin function _Z39paged_attention_ll4mi_QKV_mfma16_kernelI14__hip_bfloat16hLN4vllm18Fp8KVCacheDataTypeE1ES0_Li16ELi64ELi256ELb0ELi11EL8MFMAType1EEvPKT_PKT0_S9_ifPKiSB_SB_iPKfiiiPfSE_PS4_PT2_iSD_SD_
	.globl	_Z39paged_attention_ll4mi_QKV_mfma16_kernelI14__hip_bfloat16hLN4vllm18Fp8KVCacheDataTypeE1ES0_Li16ELi64ELi256ELb0ELi11EL8MFMAType1EEvPKT_PKT0_S9_ifPKiSB_SB_iPKfiiiPfSE_PS4_PT2_iSD_SD_
	.p2align	8
	.type	_Z39paged_attention_ll4mi_QKV_mfma16_kernelI14__hip_bfloat16hLN4vllm18Fp8KVCacheDataTypeE1ES0_Li16ELi64ELi256ELb0ELi11EL8MFMAType1EEvPKT_PKT0_S9_ifPKiSB_SB_iPKfiiiPfSE_PS4_PT2_iSD_SD_,@function
_Z39paged_attention_ll4mi_QKV_mfma16_kernelI14__hip_bfloat16hLN4vllm18Fp8KVCacheDataTypeE1ES0_Li16ELi64ELi256ELb0ELi11EL8MFMAType1EEvPKT_PKT0_S9_ifPKiSB_SB_iPKfiiiPfSE_PS4_PT2_iSD_SD_: ; @_Z39paged_attention_ll4mi_QKV_mfma16_kernelI14__hip_bfloat16hLN4vllm18Fp8KVCacheDataTypeE1ES0_Li16ELi64ELi256ELb0ELi11EL8MFMAType1EEvPKT_PKT0_S9_ifPKiSB_SB_iPKfiiiPfSE_PS4_PT2_iSD_SD_
; %bb.0:
	s_load_dwordx2 s[12:13], s[4:5], 0x30
	s_add_u32 flat_scratch_lo, s6, s11
	s_addc_u32 flat_scratch_hi, s7, 0
	s_add_u32 s0, s0, s11
	s_addc_u32 s1, s1, 0
	s_waitcnt lgkmcnt(0)
	s_cmp_lg_u64 s[12:13], 0
	s_cselect_b64 s[14:15], -1, 0
	s_mov_b32 s6, s9
	s_mov_b64 s[16:17], 0
	s_and_b64 vcc, exec, s[14:15]
	s_mov_b32 s32, 0
	s_cbranch_vccz .LBB704_11
; %bb.1:
	s_add_i32 s18, s8, 1
	s_mov_b32 s19, 0
	s_lshl_b64 s[20:21], s[18:19], 2
	s_add_u32 s20, s12, s20
	s_mov_b32 s9, s19
	s_addc_u32 s21, s13, s21
	s_lshl_b64 s[18:19], s[8:9], 2
	s_add_u32 s18, s12, s18
	s_addc_u32 s19, s13, s19
	s_load_dword s7, s[20:21], 0x0
	s_load_dword s11, s[18:19], 0x0
	s_waitcnt lgkmcnt(0)
	s_sub_i32 s7, s7, s11
	s_cmp_eq_u32 s7, 1
	s_cselect_b64 s[18:19], -1, 0
	s_andn2_b64 vcc, exec, s[16:17]
	s_cbranch_vccnz .LBB704_3
.LBB704_2:
	s_mov_b32 s9, 0
	s_mov_b64 s[18:19], -1
.LBB704_3:
	s_andn2_b64 vcc, exec, s[18:19]
	s_cbranch_vccnz .LBB704_10
; %bb.4:
	s_load_dwordx2 s[18:19], s[4:5], 0x28
	s_lshl_b64 s[16:17], s[8:9], 2
	s_waitcnt lgkmcnt(0)
	s_add_u32 s18, s18, s16
	s_addc_u32 s19, s19, s17
	s_load_dword s7, s[18:19], 0x0
	s_lshl_b32 s6, s6, 8
	s_waitcnt lgkmcnt(0)
	s_cmp_ge_i32 s6, s7
	s_cbranch_scc1 .LBB704_10
; %bb.5:
	s_andn2_b64 vcc, exec, s[14:15]
	s_cbranch_vccnz .LBB704_7
; %bb.6:
	s_add_u32 s6, s12, s16
	s_addc_u32 s7, s13, s17
	s_load_dword s8, s[6:7], 0x0
.LBB704_7:
	v_and_b32_e32 v1, 15, v0
	s_movk_i32 s6, 0xb0
	v_cmp_gt_u32_e32 vcc, s6, v0
	v_cmp_gt_u32_e64 s[6:7], 8, v1
	s_and_b64 s[12:13], s[6:7], vcc
	s_and_saveexec_b64 s[6:7], s[12:13]
	s_cbranch_execz .LBB704_9
; %bb.8:
	s_load_dword s11, s[4:5], 0x48
	s_load_dwordx2 s[12:13], s[4:5], 0x0
	v_lshrrev_b32_e32 v6, 4, v0
	s_mul_i32 s10, s10, 11
	v_add_lshl_u32 v2, v6, s10, 6
	s_waitcnt lgkmcnt(0)
	s_ashr_i32 s9, s11, 31
	s_mul_hi_u32 s14, s8, s11
	s_mul_i32 s9, s8, s9
	s_add_i32 s9, s14, s9
	s_mul_i32 s8, s8, s11
	s_lshl_b64 s[8:9], s[8:9], 1
	s_add_u32 s8, s12, s8
	v_ashrrev_i32_e32 v3, 31, v2
	s_addc_u32 s9, s13, s9
	v_lshlrev_b64 v[2:3], 1, v[2:3]
	v_mov_b32_e32 v4, s9
	v_add_co_u32_e32 v2, vcc, s8, v2
	v_addc_co_u32_e32 v3, vcc, v4, v3, vcc
	v_lshlrev_b32_e32 v4, 4, v1
	v_add_co_u32_e32 v2, vcc, v2, v4
	v_addc_co_u32_e32 v3, vcc, 0, v3, vcc
	global_load_dwordx4 v[2:5], v[2:3], off
	v_lshlrev_b32_e32 v0, 4, v0
	v_lshlrev_b32_e32 v1, 8, v1
	v_and_b32_e32 v0, 16, v0
	v_lshlrev_b32_e32 v6, 5, v6
	v_and_b32_e32 v1, 0xe00, v1
	v_or3_b32 v0, v1, v6, v0
	s_waitcnt vmcnt(0)
	ds_write_b128 v0, v[2:5]
.LBB704_9:
	s_or_b64 exec, exec, s[6:7]
	s_waitcnt lgkmcnt(0)
	s_add_u32 s8, s4, 0x90
	s_addc_u32 s9, s5, 0
	s_getpc_b64 s[4:5]
	s_add_u32 s4, s4, __PRETTY_FUNCTION__._Z39paged_attention_ll4mi_QKV_mfma16_kernelI14__hip_bfloat16hLN4vllm18Fp8KVCacheDataTypeE1ES0_Li16ELi64ELi256ELb0ELi11EL8MFMAType1EEvPKT_PKT0_S9_ifPKiSB_SB_iPKfiiiPfSE_PS4_PT2_iSD_SD_@rel32@lo+4
	s_addc_u32 s5, s5, __PRETTY_FUNCTION__._Z39paged_attention_ll4mi_QKV_mfma16_kernelI14__hip_bfloat16hLN4vllm18Fp8KVCacheDataTypeE1ES0_Li16ELi64ELi256ELb0ELi11EL8MFMAType1EEvPKT_PKT0_S9_ifPKiSB_SB_iPKfiiiPfSE_PS4_PT2_iSD_SD_@rel32@hi+12
	v_mov_b32_e32 v0, 0x288
	v_mov_b32_e32 v1, s4
	;; [unrolled: 1-line block ×3, first 2 shown]
	s_barrier
	s_getpc_b64 s[6:7]
	s_add_u32 s6, s6, __assert_fail@rel32@lo+4
	s_addc_u32 s7, s7, __assert_fail@rel32@hi+12
	s_swappc_b64 s[30:31], s[6:7]
	; divergent unreachable
.LBB704_10:
	s_endpgm
.LBB704_11:
	s_mov_b64 s[18:19], 0
	s_branch .LBB704_2
	.section	.rodata,"a",@progbits
	.p2align	6, 0x0
	.amdhsa_kernel _Z39paged_attention_ll4mi_QKV_mfma16_kernelI14__hip_bfloat16hLN4vllm18Fp8KVCacheDataTypeE1ES0_Li16ELi64ELi256ELb0ELi11EL8MFMAType1EEvPKT_PKT0_S9_ifPKiSB_SB_iPKfiiiPfSE_PS4_PT2_iSD_SD_
		.amdhsa_group_segment_fixed_size 8192
		.amdhsa_private_segment_fixed_size 64
		.amdhsa_kernarg_size 400
		.amdhsa_user_sgpr_count 8
		.amdhsa_user_sgpr_private_segment_buffer 1
		.amdhsa_user_sgpr_dispatch_ptr 0
		.amdhsa_user_sgpr_queue_ptr 0
		.amdhsa_user_sgpr_kernarg_segment_ptr 1
		.amdhsa_user_sgpr_dispatch_id 0
		.amdhsa_user_sgpr_flat_scratch_init 1
		.amdhsa_user_sgpr_kernarg_preload_length 0
		.amdhsa_user_sgpr_kernarg_preload_offset 0
		.amdhsa_user_sgpr_private_segment_size 0
		.amdhsa_uses_dynamic_stack 0
		.amdhsa_system_sgpr_private_segment_wavefront_offset 1
		.amdhsa_system_sgpr_workgroup_id_x 1
		.amdhsa_system_sgpr_workgroup_id_y 1
		.amdhsa_system_sgpr_workgroup_id_z 1
		.amdhsa_system_sgpr_workgroup_info 0
		.amdhsa_system_vgpr_workitem_id 0
		.amdhsa_next_free_vgpr 45
		.amdhsa_next_free_sgpr 34
		.amdhsa_accum_offset 44
		.amdhsa_reserve_vcc 1
		.amdhsa_reserve_flat_scratch 1
		.amdhsa_float_round_mode_32 0
		.amdhsa_float_round_mode_16_64 0
		.amdhsa_float_denorm_mode_32 3
		.amdhsa_float_denorm_mode_16_64 3
		.amdhsa_dx10_clamp 1
		.amdhsa_ieee_mode 1
		.amdhsa_fp16_overflow 0
		.amdhsa_tg_split 0
		.amdhsa_exception_fp_ieee_invalid_op 0
		.amdhsa_exception_fp_denorm_src 0
		.amdhsa_exception_fp_ieee_div_zero 0
		.amdhsa_exception_fp_ieee_overflow 0
		.amdhsa_exception_fp_ieee_underflow 0
		.amdhsa_exception_fp_ieee_inexact 0
		.amdhsa_exception_int_div_zero 0
	.end_amdhsa_kernel
	.section	.text._Z39paged_attention_ll4mi_QKV_mfma16_kernelI14__hip_bfloat16hLN4vllm18Fp8KVCacheDataTypeE1ES0_Li16ELi64ELi256ELb0ELi11EL8MFMAType1EEvPKT_PKT0_S9_ifPKiSB_SB_iPKfiiiPfSE_PS4_PT2_iSD_SD_,"axG",@progbits,_Z39paged_attention_ll4mi_QKV_mfma16_kernelI14__hip_bfloat16hLN4vllm18Fp8KVCacheDataTypeE1ES0_Li16ELi64ELi256ELb0ELi11EL8MFMAType1EEvPKT_PKT0_S9_ifPKiSB_SB_iPKfiiiPfSE_PS4_PT2_iSD_SD_,comdat
.Lfunc_end704:
	.size	_Z39paged_attention_ll4mi_QKV_mfma16_kernelI14__hip_bfloat16hLN4vllm18Fp8KVCacheDataTypeE1ES0_Li16ELi64ELi256ELb0ELi11EL8MFMAType1EEvPKT_PKT0_S9_ifPKiSB_SB_iPKfiiiPfSE_PS4_PT2_iSD_SD_, .Lfunc_end704-_Z39paged_attention_ll4mi_QKV_mfma16_kernelI14__hip_bfloat16hLN4vllm18Fp8KVCacheDataTypeE1ES0_Li16ELi64ELi256ELb0ELi11EL8MFMAType1EEvPKT_PKT0_S9_ifPKiSB_SB_iPKfiiiPfSE_PS4_PT2_iSD_SD_
                                        ; -- End function
	.section	.AMDGPU.csdata,"",@progbits
; Kernel info:
; codeLenInByte = 504
; NumSgprs: 40
; NumVgprs: 42
; NumAgprs: 1
; TotalNumVgprs: 45
; ScratchSize: 64
; MemoryBound: 0
; FloatMode: 240
; IeeeMode: 1
; LDSByteSize: 8192 bytes/workgroup (compile time only)
; SGPRBlocks: 4
; VGPRBlocks: 5
; NumSGPRsForWavesPerEU: 40
; NumVGPRsForWavesPerEU: 45
; AccumOffset: 44
; Occupancy: 8
; WaveLimiterHint : 1
; COMPUTE_PGM_RSRC2:SCRATCH_EN: 1
; COMPUTE_PGM_RSRC2:USER_SGPR: 8
; COMPUTE_PGM_RSRC2:TRAP_HANDLER: 0
; COMPUTE_PGM_RSRC2:TGID_X_EN: 1
; COMPUTE_PGM_RSRC2:TGID_Y_EN: 1
; COMPUTE_PGM_RSRC2:TGID_Z_EN: 1
; COMPUTE_PGM_RSRC2:TIDIG_COMP_CNT: 0
; COMPUTE_PGM_RSRC3_GFX90A:ACCUM_OFFSET: 10
; COMPUTE_PGM_RSRC3_GFX90A:TG_SPLIT: 0
	.section	.text._Z39paged_attention_ll4mi_QKV_mfma16_kernelI14__hip_bfloat16hLN4vllm18Fp8KVCacheDataTypeE1ES0_Li16ELi64ELi256ELb0ELi12EL8MFMAType1EEvPKT_PKT0_S9_ifPKiSB_SB_iPKfiiiPfSE_PS4_PT2_iSD_SD_,"axG",@progbits,_Z39paged_attention_ll4mi_QKV_mfma16_kernelI14__hip_bfloat16hLN4vllm18Fp8KVCacheDataTypeE1ES0_Li16ELi64ELi256ELb0ELi12EL8MFMAType1EEvPKT_PKT0_S9_ifPKiSB_SB_iPKfiiiPfSE_PS4_PT2_iSD_SD_,comdat
	.protected	_Z39paged_attention_ll4mi_QKV_mfma16_kernelI14__hip_bfloat16hLN4vllm18Fp8KVCacheDataTypeE1ES0_Li16ELi64ELi256ELb0ELi12EL8MFMAType1EEvPKT_PKT0_S9_ifPKiSB_SB_iPKfiiiPfSE_PS4_PT2_iSD_SD_ ; -- Begin function _Z39paged_attention_ll4mi_QKV_mfma16_kernelI14__hip_bfloat16hLN4vllm18Fp8KVCacheDataTypeE1ES0_Li16ELi64ELi256ELb0ELi12EL8MFMAType1EEvPKT_PKT0_S9_ifPKiSB_SB_iPKfiiiPfSE_PS4_PT2_iSD_SD_
	.globl	_Z39paged_attention_ll4mi_QKV_mfma16_kernelI14__hip_bfloat16hLN4vllm18Fp8KVCacheDataTypeE1ES0_Li16ELi64ELi256ELb0ELi12EL8MFMAType1EEvPKT_PKT0_S9_ifPKiSB_SB_iPKfiiiPfSE_PS4_PT2_iSD_SD_
	.p2align	8
	.type	_Z39paged_attention_ll4mi_QKV_mfma16_kernelI14__hip_bfloat16hLN4vllm18Fp8KVCacheDataTypeE1ES0_Li16ELi64ELi256ELb0ELi12EL8MFMAType1EEvPKT_PKT0_S9_ifPKiSB_SB_iPKfiiiPfSE_PS4_PT2_iSD_SD_,@function
_Z39paged_attention_ll4mi_QKV_mfma16_kernelI14__hip_bfloat16hLN4vllm18Fp8KVCacheDataTypeE1ES0_Li16ELi64ELi256ELb0ELi12EL8MFMAType1EEvPKT_PKT0_S9_ifPKiSB_SB_iPKfiiiPfSE_PS4_PT2_iSD_SD_: ; @_Z39paged_attention_ll4mi_QKV_mfma16_kernelI14__hip_bfloat16hLN4vllm18Fp8KVCacheDataTypeE1ES0_Li16ELi64ELi256ELb0ELi12EL8MFMAType1EEvPKT_PKT0_S9_ifPKiSB_SB_iPKfiiiPfSE_PS4_PT2_iSD_SD_
; %bb.0:
	s_load_dwordx2 s[12:13], s[4:5], 0x30
	s_add_u32 flat_scratch_lo, s6, s11
	s_addc_u32 flat_scratch_hi, s7, 0
	s_add_u32 s0, s0, s11
	s_addc_u32 s1, s1, 0
	s_waitcnt lgkmcnt(0)
	s_cmp_lg_u64 s[12:13], 0
	s_cselect_b64 s[14:15], -1, 0
	s_mov_b32 s6, s9
	s_mov_b64 s[16:17], 0
	s_and_b64 vcc, exec, s[14:15]
	s_mov_b32 s32, 0
	s_cbranch_vccz .LBB705_11
; %bb.1:
	s_add_i32 s18, s8, 1
	s_mov_b32 s19, 0
	s_lshl_b64 s[20:21], s[18:19], 2
	s_add_u32 s20, s12, s20
	s_mov_b32 s9, s19
	s_addc_u32 s21, s13, s21
	s_lshl_b64 s[18:19], s[8:9], 2
	s_add_u32 s18, s12, s18
	s_addc_u32 s19, s13, s19
	s_load_dword s7, s[20:21], 0x0
	s_load_dword s11, s[18:19], 0x0
	s_waitcnt lgkmcnt(0)
	s_sub_i32 s7, s7, s11
	s_cmp_eq_u32 s7, 1
	s_cselect_b64 s[18:19], -1, 0
	s_andn2_b64 vcc, exec, s[16:17]
	s_cbranch_vccnz .LBB705_3
.LBB705_2:
	s_mov_b32 s9, 0
	s_mov_b64 s[18:19], -1
.LBB705_3:
	s_andn2_b64 vcc, exec, s[18:19]
	s_cbranch_vccnz .LBB705_10
; %bb.4:
	s_load_dwordx2 s[18:19], s[4:5], 0x28
	s_lshl_b64 s[16:17], s[8:9], 2
	s_waitcnt lgkmcnt(0)
	s_add_u32 s18, s18, s16
	s_addc_u32 s19, s19, s17
	s_load_dword s7, s[18:19], 0x0
	s_lshl_b32 s6, s6, 8
	s_waitcnt lgkmcnt(0)
	s_cmp_ge_i32 s6, s7
	s_cbranch_scc1 .LBB705_10
; %bb.5:
	s_andn2_b64 vcc, exec, s[14:15]
	s_cbranch_vccnz .LBB705_7
; %bb.6:
	s_add_u32 s6, s12, s16
	s_addc_u32 s7, s13, s17
	s_load_dword s8, s[6:7], 0x0
.LBB705_7:
	v_and_b32_e32 v1, 15, v0
	s_movk_i32 s6, 0xc0
	v_cmp_gt_u32_e32 vcc, s6, v0
	v_cmp_gt_u32_e64 s[6:7], 8, v1
	s_and_b64 s[12:13], vcc, s[6:7]
	s_and_saveexec_b64 s[6:7], s[12:13]
	s_cbranch_execz .LBB705_9
; %bb.8:
	s_load_dword s11, s[4:5], 0x48
	s_load_dwordx2 s[12:13], s[4:5], 0x0
	v_lshrrev_b32_e32 v6, 4, v0
	s_mul_i32 s10, s10, 12
	v_add_lshl_u32 v2, v6, s10, 6
	s_waitcnt lgkmcnt(0)
	s_ashr_i32 s9, s11, 31
	s_mul_hi_u32 s14, s8, s11
	s_mul_i32 s9, s8, s9
	s_add_i32 s9, s14, s9
	s_mul_i32 s8, s8, s11
	s_lshl_b64 s[8:9], s[8:9], 1
	s_add_u32 s8, s12, s8
	v_ashrrev_i32_e32 v3, 31, v2
	s_addc_u32 s9, s13, s9
	v_lshlrev_b64 v[2:3], 1, v[2:3]
	v_mov_b32_e32 v4, s9
	v_add_co_u32_e32 v2, vcc, s8, v2
	v_addc_co_u32_e32 v3, vcc, v4, v3, vcc
	v_lshlrev_b32_e32 v4, 4, v1
	v_add_co_u32_e32 v2, vcc, v2, v4
	v_addc_co_u32_e32 v3, vcc, 0, v3, vcc
	global_load_dwordx4 v[2:5], v[2:3], off
	v_lshlrev_b32_e32 v0, 4, v0
	v_lshlrev_b32_e32 v1, 8, v1
	v_and_b32_e32 v0, 16, v0
	v_lshlrev_b32_e32 v6, 5, v6
	v_and_b32_e32 v1, 0xe00, v1
	v_or3_b32 v0, v1, v6, v0
	s_waitcnt vmcnt(0)
	ds_write_b128 v0, v[2:5]
.LBB705_9:
	s_or_b64 exec, exec, s[6:7]
	s_waitcnt lgkmcnt(0)
	s_add_u32 s8, s4, 0x90
	s_addc_u32 s9, s5, 0
	s_getpc_b64 s[4:5]
	s_add_u32 s4, s4, __PRETTY_FUNCTION__._Z39paged_attention_ll4mi_QKV_mfma16_kernelI14__hip_bfloat16hLN4vllm18Fp8KVCacheDataTypeE1ES0_Li16ELi64ELi256ELb0ELi12EL8MFMAType1EEvPKT_PKT0_S9_ifPKiSB_SB_iPKfiiiPfSE_PS4_PT2_iSD_SD_@rel32@lo+4
	s_addc_u32 s5, s5, __PRETTY_FUNCTION__._Z39paged_attention_ll4mi_QKV_mfma16_kernelI14__hip_bfloat16hLN4vllm18Fp8KVCacheDataTypeE1ES0_Li16ELi64ELi256ELb0ELi12EL8MFMAType1EEvPKT_PKT0_S9_ifPKiSB_SB_iPKfiiiPfSE_PS4_PT2_iSD_SD_@rel32@hi+12
	v_mov_b32_e32 v0, 0x288
	v_mov_b32_e32 v1, s4
	;; [unrolled: 1-line block ×3, first 2 shown]
	s_barrier
	s_getpc_b64 s[6:7]
	s_add_u32 s6, s6, __assert_fail@rel32@lo+4
	s_addc_u32 s7, s7, __assert_fail@rel32@hi+12
	s_swappc_b64 s[30:31], s[6:7]
	; divergent unreachable
.LBB705_10:
	s_endpgm
.LBB705_11:
	s_mov_b64 s[18:19], 0
	s_branch .LBB705_2
	.section	.rodata,"a",@progbits
	.p2align	6, 0x0
	.amdhsa_kernel _Z39paged_attention_ll4mi_QKV_mfma16_kernelI14__hip_bfloat16hLN4vllm18Fp8KVCacheDataTypeE1ES0_Li16ELi64ELi256ELb0ELi12EL8MFMAType1EEvPKT_PKT0_S9_ifPKiSB_SB_iPKfiiiPfSE_PS4_PT2_iSD_SD_
		.amdhsa_group_segment_fixed_size 8192
		.amdhsa_private_segment_fixed_size 64
		.amdhsa_kernarg_size 400
		.amdhsa_user_sgpr_count 8
		.amdhsa_user_sgpr_private_segment_buffer 1
		.amdhsa_user_sgpr_dispatch_ptr 0
		.amdhsa_user_sgpr_queue_ptr 0
		.amdhsa_user_sgpr_kernarg_segment_ptr 1
		.amdhsa_user_sgpr_dispatch_id 0
		.amdhsa_user_sgpr_flat_scratch_init 1
		.amdhsa_user_sgpr_kernarg_preload_length 0
		.amdhsa_user_sgpr_kernarg_preload_offset 0
		.amdhsa_user_sgpr_private_segment_size 0
		.amdhsa_uses_dynamic_stack 0
		.amdhsa_system_sgpr_private_segment_wavefront_offset 1
		.amdhsa_system_sgpr_workgroup_id_x 1
		.amdhsa_system_sgpr_workgroup_id_y 1
		.amdhsa_system_sgpr_workgroup_id_z 1
		.amdhsa_system_sgpr_workgroup_info 0
		.amdhsa_system_vgpr_workitem_id 0
		.amdhsa_next_free_vgpr 45
		.amdhsa_next_free_sgpr 34
		.amdhsa_accum_offset 44
		.amdhsa_reserve_vcc 1
		.amdhsa_reserve_flat_scratch 1
		.amdhsa_float_round_mode_32 0
		.amdhsa_float_round_mode_16_64 0
		.amdhsa_float_denorm_mode_32 3
		.amdhsa_float_denorm_mode_16_64 3
		.amdhsa_dx10_clamp 1
		.amdhsa_ieee_mode 1
		.amdhsa_fp16_overflow 0
		.amdhsa_tg_split 0
		.amdhsa_exception_fp_ieee_invalid_op 0
		.amdhsa_exception_fp_denorm_src 0
		.amdhsa_exception_fp_ieee_div_zero 0
		.amdhsa_exception_fp_ieee_overflow 0
		.amdhsa_exception_fp_ieee_underflow 0
		.amdhsa_exception_fp_ieee_inexact 0
		.amdhsa_exception_int_div_zero 0
	.end_amdhsa_kernel
	.section	.text._Z39paged_attention_ll4mi_QKV_mfma16_kernelI14__hip_bfloat16hLN4vllm18Fp8KVCacheDataTypeE1ES0_Li16ELi64ELi256ELb0ELi12EL8MFMAType1EEvPKT_PKT0_S9_ifPKiSB_SB_iPKfiiiPfSE_PS4_PT2_iSD_SD_,"axG",@progbits,_Z39paged_attention_ll4mi_QKV_mfma16_kernelI14__hip_bfloat16hLN4vllm18Fp8KVCacheDataTypeE1ES0_Li16ELi64ELi256ELb0ELi12EL8MFMAType1EEvPKT_PKT0_S9_ifPKiSB_SB_iPKfiiiPfSE_PS4_PT2_iSD_SD_,comdat
.Lfunc_end705:
	.size	_Z39paged_attention_ll4mi_QKV_mfma16_kernelI14__hip_bfloat16hLN4vllm18Fp8KVCacheDataTypeE1ES0_Li16ELi64ELi256ELb0ELi12EL8MFMAType1EEvPKT_PKT0_S9_ifPKiSB_SB_iPKfiiiPfSE_PS4_PT2_iSD_SD_, .Lfunc_end705-_Z39paged_attention_ll4mi_QKV_mfma16_kernelI14__hip_bfloat16hLN4vllm18Fp8KVCacheDataTypeE1ES0_Li16ELi64ELi256ELb0ELi12EL8MFMAType1EEvPKT_PKT0_S9_ifPKiSB_SB_iPKfiiiPfSE_PS4_PT2_iSD_SD_
                                        ; -- End function
	.section	.AMDGPU.csdata,"",@progbits
; Kernel info:
; codeLenInByte = 504
; NumSgprs: 40
; NumVgprs: 42
; NumAgprs: 1
; TotalNumVgprs: 45
; ScratchSize: 64
; MemoryBound: 0
; FloatMode: 240
; IeeeMode: 1
; LDSByteSize: 8192 bytes/workgroup (compile time only)
; SGPRBlocks: 4
; VGPRBlocks: 5
; NumSGPRsForWavesPerEU: 40
; NumVGPRsForWavesPerEU: 45
; AccumOffset: 44
; Occupancy: 8
; WaveLimiterHint : 1
; COMPUTE_PGM_RSRC2:SCRATCH_EN: 1
; COMPUTE_PGM_RSRC2:USER_SGPR: 8
; COMPUTE_PGM_RSRC2:TRAP_HANDLER: 0
; COMPUTE_PGM_RSRC2:TGID_X_EN: 1
; COMPUTE_PGM_RSRC2:TGID_Y_EN: 1
; COMPUTE_PGM_RSRC2:TGID_Z_EN: 1
; COMPUTE_PGM_RSRC2:TIDIG_COMP_CNT: 0
; COMPUTE_PGM_RSRC3_GFX90A:ACCUM_OFFSET: 10
; COMPUTE_PGM_RSRC3_GFX90A:TG_SPLIT: 0
	.section	.text._Z39paged_attention_ll4mi_QKV_mfma16_kernelI14__hip_bfloat16hLN4vllm18Fp8KVCacheDataTypeE1ES0_Li16ELi64ELi256ELb0ELi13EL8MFMAType1EEvPKT_PKT0_S9_ifPKiSB_SB_iPKfiiiPfSE_PS4_PT2_iSD_SD_,"axG",@progbits,_Z39paged_attention_ll4mi_QKV_mfma16_kernelI14__hip_bfloat16hLN4vllm18Fp8KVCacheDataTypeE1ES0_Li16ELi64ELi256ELb0ELi13EL8MFMAType1EEvPKT_PKT0_S9_ifPKiSB_SB_iPKfiiiPfSE_PS4_PT2_iSD_SD_,comdat
	.protected	_Z39paged_attention_ll4mi_QKV_mfma16_kernelI14__hip_bfloat16hLN4vllm18Fp8KVCacheDataTypeE1ES0_Li16ELi64ELi256ELb0ELi13EL8MFMAType1EEvPKT_PKT0_S9_ifPKiSB_SB_iPKfiiiPfSE_PS4_PT2_iSD_SD_ ; -- Begin function _Z39paged_attention_ll4mi_QKV_mfma16_kernelI14__hip_bfloat16hLN4vllm18Fp8KVCacheDataTypeE1ES0_Li16ELi64ELi256ELb0ELi13EL8MFMAType1EEvPKT_PKT0_S9_ifPKiSB_SB_iPKfiiiPfSE_PS4_PT2_iSD_SD_
	.globl	_Z39paged_attention_ll4mi_QKV_mfma16_kernelI14__hip_bfloat16hLN4vllm18Fp8KVCacheDataTypeE1ES0_Li16ELi64ELi256ELb0ELi13EL8MFMAType1EEvPKT_PKT0_S9_ifPKiSB_SB_iPKfiiiPfSE_PS4_PT2_iSD_SD_
	.p2align	8
	.type	_Z39paged_attention_ll4mi_QKV_mfma16_kernelI14__hip_bfloat16hLN4vllm18Fp8KVCacheDataTypeE1ES0_Li16ELi64ELi256ELb0ELi13EL8MFMAType1EEvPKT_PKT0_S9_ifPKiSB_SB_iPKfiiiPfSE_PS4_PT2_iSD_SD_,@function
_Z39paged_attention_ll4mi_QKV_mfma16_kernelI14__hip_bfloat16hLN4vllm18Fp8KVCacheDataTypeE1ES0_Li16ELi64ELi256ELb0ELi13EL8MFMAType1EEvPKT_PKT0_S9_ifPKiSB_SB_iPKfiiiPfSE_PS4_PT2_iSD_SD_: ; @_Z39paged_attention_ll4mi_QKV_mfma16_kernelI14__hip_bfloat16hLN4vllm18Fp8KVCacheDataTypeE1ES0_Li16ELi64ELi256ELb0ELi13EL8MFMAType1EEvPKT_PKT0_S9_ifPKiSB_SB_iPKfiiiPfSE_PS4_PT2_iSD_SD_
; %bb.0:
	s_load_dwordx2 s[12:13], s[4:5], 0x30
	s_add_u32 flat_scratch_lo, s6, s11
	s_addc_u32 flat_scratch_hi, s7, 0
	s_add_u32 s0, s0, s11
	s_addc_u32 s1, s1, 0
	s_waitcnt lgkmcnt(0)
	s_cmp_lg_u64 s[12:13], 0
	s_cselect_b64 s[14:15], -1, 0
	s_mov_b32 s6, s9
	s_mov_b64 s[16:17], 0
	s_and_b64 vcc, exec, s[14:15]
	s_mov_b32 s32, 0
	s_cbranch_vccz .LBB706_11
; %bb.1:
	s_add_i32 s18, s8, 1
	s_mov_b32 s19, 0
	s_lshl_b64 s[20:21], s[18:19], 2
	s_add_u32 s20, s12, s20
	s_mov_b32 s9, s19
	s_addc_u32 s21, s13, s21
	s_lshl_b64 s[18:19], s[8:9], 2
	s_add_u32 s18, s12, s18
	s_addc_u32 s19, s13, s19
	s_load_dword s7, s[20:21], 0x0
	s_load_dword s11, s[18:19], 0x0
	s_waitcnt lgkmcnt(0)
	s_sub_i32 s7, s7, s11
	s_cmp_eq_u32 s7, 1
	s_cselect_b64 s[18:19], -1, 0
	s_andn2_b64 vcc, exec, s[16:17]
	s_cbranch_vccnz .LBB706_3
.LBB706_2:
	s_mov_b32 s9, 0
	s_mov_b64 s[18:19], -1
.LBB706_3:
	s_andn2_b64 vcc, exec, s[18:19]
	s_cbranch_vccnz .LBB706_10
; %bb.4:
	s_load_dwordx2 s[18:19], s[4:5], 0x28
	s_lshl_b64 s[16:17], s[8:9], 2
	s_waitcnt lgkmcnt(0)
	s_add_u32 s18, s18, s16
	s_addc_u32 s19, s19, s17
	s_load_dword s7, s[18:19], 0x0
	s_lshl_b32 s6, s6, 8
	s_waitcnt lgkmcnt(0)
	s_cmp_ge_i32 s6, s7
	s_cbranch_scc1 .LBB706_10
; %bb.5:
	s_andn2_b64 vcc, exec, s[14:15]
	s_cbranch_vccnz .LBB706_7
; %bb.6:
	s_add_u32 s6, s12, s16
	s_addc_u32 s7, s13, s17
	s_load_dword s8, s[6:7], 0x0
.LBB706_7:
	v_and_b32_e32 v1, 15, v0
	s_movk_i32 s6, 0xd0
	v_cmp_gt_u32_e32 vcc, s6, v0
	v_cmp_gt_u32_e64 s[6:7], 8, v1
	s_and_b64 s[12:13], s[6:7], vcc
	s_and_saveexec_b64 s[6:7], s[12:13]
	s_cbranch_execz .LBB706_9
; %bb.8:
	s_load_dword s11, s[4:5], 0x48
	s_load_dwordx2 s[12:13], s[4:5], 0x0
	v_lshrrev_b32_e32 v6, 4, v0
	s_mul_i32 s10, s10, 13
	v_add_lshl_u32 v2, v6, s10, 6
	s_waitcnt lgkmcnt(0)
	s_ashr_i32 s9, s11, 31
	s_mul_hi_u32 s14, s8, s11
	s_mul_i32 s9, s8, s9
	s_add_i32 s9, s14, s9
	s_mul_i32 s8, s8, s11
	s_lshl_b64 s[8:9], s[8:9], 1
	s_add_u32 s8, s12, s8
	v_ashrrev_i32_e32 v3, 31, v2
	s_addc_u32 s9, s13, s9
	v_lshlrev_b64 v[2:3], 1, v[2:3]
	v_mov_b32_e32 v4, s9
	v_add_co_u32_e32 v2, vcc, s8, v2
	v_addc_co_u32_e32 v3, vcc, v4, v3, vcc
	v_lshlrev_b32_e32 v4, 4, v1
	v_add_co_u32_e32 v2, vcc, v2, v4
	v_addc_co_u32_e32 v3, vcc, 0, v3, vcc
	global_load_dwordx4 v[2:5], v[2:3], off
	v_lshlrev_b32_e32 v0, 4, v0
	v_lshlrev_b32_e32 v1, 8, v1
	v_and_b32_e32 v0, 16, v0
	v_lshlrev_b32_e32 v6, 5, v6
	v_and_b32_e32 v1, 0xe00, v1
	v_or3_b32 v0, v1, v6, v0
	s_waitcnt vmcnt(0)
	ds_write_b128 v0, v[2:5]
.LBB706_9:
	s_or_b64 exec, exec, s[6:7]
	s_waitcnt lgkmcnt(0)
	s_add_u32 s8, s4, 0x90
	s_addc_u32 s9, s5, 0
	s_getpc_b64 s[4:5]
	s_add_u32 s4, s4, __PRETTY_FUNCTION__._Z39paged_attention_ll4mi_QKV_mfma16_kernelI14__hip_bfloat16hLN4vllm18Fp8KVCacheDataTypeE1ES0_Li16ELi64ELi256ELb0ELi13EL8MFMAType1EEvPKT_PKT0_S9_ifPKiSB_SB_iPKfiiiPfSE_PS4_PT2_iSD_SD_@rel32@lo+4
	s_addc_u32 s5, s5, __PRETTY_FUNCTION__._Z39paged_attention_ll4mi_QKV_mfma16_kernelI14__hip_bfloat16hLN4vllm18Fp8KVCacheDataTypeE1ES0_Li16ELi64ELi256ELb0ELi13EL8MFMAType1EEvPKT_PKT0_S9_ifPKiSB_SB_iPKfiiiPfSE_PS4_PT2_iSD_SD_@rel32@hi+12
	v_mov_b32_e32 v0, 0x288
	v_mov_b32_e32 v1, s4
	;; [unrolled: 1-line block ×3, first 2 shown]
	s_barrier
	s_getpc_b64 s[6:7]
	s_add_u32 s6, s6, __assert_fail@rel32@lo+4
	s_addc_u32 s7, s7, __assert_fail@rel32@hi+12
	s_swappc_b64 s[30:31], s[6:7]
	; divergent unreachable
.LBB706_10:
	s_endpgm
.LBB706_11:
	s_mov_b64 s[18:19], 0
	s_branch .LBB706_2
	.section	.rodata,"a",@progbits
	.p2align	6, 0x0
	.amdhsa_kernel _Z39paged_attention_ll4mi_QKV_mfma16_kernelI14__hip_bfloat16hLN4vllm18Fp8KVCacheDataTypeE1ES0_Li16ELi64ELi256ELb0ELi13EL8MFMAType1EEvPKT_PKT0_S9_ifPKiSB_SB_iPKfiiiPfSE_PS4_PT2_iSD_SD_
		.amdhsa_group_segment_fixed_size 8192
		.amdhsa_private_segment_fixed_size 64
		.amdhsa_kernarg_size 400
		.amdhsa_user_sgpr_count 8
		.amdhsa_user_sgpr_private_segment_buffer 1
		.amdhsa_user_sgpr_dispatch_ptr 0
		.amdhsa_user_sgpr_queue_ptr 0
		.amdhsa_user_sgpr_kernarg_segment_ptr 1
		.amdhsa_user_sgpr_dispatch_id 0
		.amdhsa_user_sgpr_flat_scratch_init 1
		.amdhsa_user_sgpr_kernarg_preload_length 0
		.amdhsa_user_sgpr_kernarg_preload_offset 0
		.amdhsa_user_sgpr_private_segment_size 0
		.amdhsa_uses_dynamic_stack 0
		.amdhsa_system_sgpr_private_segment_wavefront_offset 1
		.amdhsa_system_sgpr_workgroup_id_x 1
		.amdhsa_system_sgpr_workgroup_id_y 1
		.amdhsa_system_sgpr_workgroup_id_z 1
		.amdhsa_system_sgpr_workgroup_info 0
		.amdhsa_system_vgpr_workitem_id 0
		.amdhsa_next_free_vgpr 45
		.amdhsa_next_free_sgpr 34
		.amdhsa_accum_offset 44
		.amdhsa_reserve_vcc 1
		.amdhsa_reserve_flat_scratch 1
		.amdhsa_float_round_mode_32 0
		.amdhsa_float_round_mode_16_64 0
		.amdhsa_float_denorm_mode_32 3
		.amdhsa_float_denorm_mode_16_64 3
		.amdhsa_dx10_clamp 1
		.amdhsa_ieee_mode 1
		.amdhsa_fp16_overflow 0
		.amdhsa_tg_split 0
		.amdhsa_exception_fp_ieee_invalid_op 0
		.amdhsa_exception_fp_denorm_src 0
		.amdhsa_exception_fp_ieee_div_zero 0
		.amdhsa_exception_fp_ieee_overflow 0
		.amdhsa_exception_fp_ieee_underflow 0
		.amdhsa_exception_fp_ieee_inexact 0
		.amdhsa_exception_int_div_zero 0
	.end_amdhsa_kernel
	.section	.text._Z39paged_attention_ll4mi_QKV_mfma16_kernelI14__hip_bfloat16hLN4vllm18Fp8KVCacheDataTypeE1ES0_Li16ELi64ELi256ELb0ELi13EL8MFMAType1EEvPKT_PKT0_S9_ifPKiSB_SB_iPKfiiiPfSE_PS4_PT2_iSD_SD_,"axG",@progbits,_Z39paged_attention_ll4mi_QKV_mfma16_kernelI14__hip_bfloat16hLN4vllm18Fp8KVCacheDataTypeE1ES0_Li16ELi64ELi256ELb0ELi13EL8MFMAType1EEvPKT_PKT0_S9_ifPKiSB_SB_iPKfiiiPfSE_PS4_PT2_iSD_SD_,comdat
.Lfunc_end706:
	.size	_Z39paged_attention_ll4mi_QKV_mfma16_kernelI14__hip_bfloat16hLN4vllm18Fp8KVCacheDataTypeE1ES0_Li16ELi64ELi256ELb0ELi13EL8MFMAType1EEvPKT_PKT0_S9_ifPKiSB_SB_iPKfiiiPfSE_PS4_PT2_iSD_SD_, .Lfunc_end706-_Z39paged_attention_ll4mi_QKV_mfma16_kernelI14__hip_bfloat16hLN4vllm18Fp8KVCacheDataTypeE1ES0_Li16ELi64ELi256ELb0ELi13EL8MFMAType1EEvPKT_PKT0_S9_ifPKiSB_SB_iPKfiiiPfSE_PS4_PT2_iSD_SD_
                                        ; -- End function
	.section	.AMDGPU.csdata,"",@progbits
; Kernel info:
; codeLenInByte = 504
; NumSgprs: 40
; NumVgprs: 42
; NumAgprs: 1
; TotalNumVgprs: 45
; ScratchSize: 64
; MemoryBound: 0
; FloatMode: 240
; IeeeMode: 1
; LDSByteSize: 8192 bytes/workgroup (compile time only)
; SGPRBlocks: 4
; VGPRBlocks: 5
; NumSGPRsForWavesPerEU: 40
; NumVGPRsForWavesPerEU: 45
; AccumOffset: 44
; Occupancy: 8
; WaveLimiterHint : 1
; COMPUTE_PGM_RSRC2:SCRATCH_EN: 1
; COMPUTE_PGM_RSRC2:USER_SGPR: 8
; COMPUTE_PGM_RSRC2:TRAP_HANDLER: 0
; COMPUTE_PGM_RSRC2:TGID_X_EN: 1
; COMPUTE_PGM_RSRC2:TGID_Y_EN: 1
; COMPUTE_PGM_RSRC2:TGID_Z_EN: 1
; COMPUTE_PGM_RSRC2:TIDIG_COMP_CNT: 0
; COMPUTE_PGM_RSRC3_GFX90A:ACCUM_OFFSET: 10
; COMPUTE_PGM_RSRC3_GFX90A:TG_SPLIT: 0
	.section	.text._Z39paged_attention_ll4mi_QKV_mfma16_kernelI14__hip_bfloat16hLN4vllm18Fp8KVCacheDataTypeE1ES0_Li16ELi64ELi256ELb0ELi14EL8MFMAType1EEvPKT_PKT0_S9_ifPKiSB_SB_iPKfiiiPfSE_PS4_PT2_iSD_SD_,"axG",@progbits,_Z39paged_attention_ll4mi_QKV_mfma16_kernelI14__hip_bfloat16hLN4vllm18Fp8KVCacheDataTypeE1ES0_Li16ELi64ELi256ELb0ELi14EL8MFMAType1EEvPKT_PKT0_S9_ifPKiSB_SB_iPKfiiiPfSE_PS4_PT2_iSD_SD_,comdat
	.protected	_Z39paged_attention_ll4mi_QKV_mfma16_kernelI14__hip_bfloat16hLN4vllm18Fp8KVCacheDataTypeE1ES0_Li16ELi64ELi256ELb0ELi14EL8MFMAType1EEvPKT_PKT0_S9_ifPKiSB_SB_iPKfiiiPfSE_PS4_PT2_iSD_SD_ ; -- Begin function _Z39paged_attention_ll4mi_QKV_mfma16_kernelI14__hip_bfloat16hLN4vllm18Fp8KVCacheDataTypeE1ES0_Li16ELi64ELi256ELb0ELi14EL8MFMAType1EEvPKT_PKT0_S9_ifPKiSB_SB_iPKfiiiPfSE_PS4_PT2_iSD_SD_
	.globl	_Z39paged_attention_ll4mi_QKV_mfma16_kernelI14__hip_bfloat16hLN4vllm18Fp8KVCacheDataTypeE1ES0_Li16ELi64ELi256ELb0ELi14EL8MFMAType1EEvPKT_PKT0_S9_ifPKiSB_SB_iPKfiiiPfSE_PS4_PT2_iSD_SD_
	.p2align	8
	.type	_Z39paged_attention_ll4mi_QKV_mfma16_kernelI14__hip_bfloat16hLN4vllm18Fp8KVCacheDataTypeE1ES0_Li16ELi64ELi256ELb0ELi14EL8MFMAType1EEvPKT_PKT0_S9_ifPKiSB_SB_iPKfiiiPfSE_PS4_PT2_iSD_SD_,@function
_Z39paged_attention_ll4mi_QKV_mfma16_kernelI14__hip_bfloat16hLN4vllm18Fp8KVCacheDataTypeE1ES0_Li16ELi64ELi256ELb0ELi14EL8MFMAType1EEvPKT_PKT0_S9_ifPKiSB_SB_iPKfiiiPfSE_PS4_PT2_iSD_SD_: ; @_Z39paged_attention_ll4mi_QKV_mfma16_kernelI14__hip_bfloat16hLN4vllm18Fp8KVCacheDataTypeE1ES0_Li16ELi64ELi256ELb0ELi14EL8MFMAType1EEvPKT_PKT0_S9_ifPKiSB_SB_iPKfiiiPfSE_PS4_PT2_iSD_SD_
; %bb.0:
	s_load_dwordx2 s[12:13], s[4:5], 0x30
	s_add_u32 flat_scratch_lo, s6, s11
	s_addc_u32 flat_scratch_hi, s7, 0
	s_add_u32 s0, s0, s11
	s_addc_u32 s1, s1, 0
	s_waitcnt lgkmcnt(0)
	s_cmp_lg_u64 s[12:13], 0
	s_cselect_b64 s[14:15], -1, 0
	s_mov_b32 s6, s9
	s_mov_b64 s[16:17], 0
	s_and_b64 vcc, exec, s[14:15]
	s_mov_b32 s32, 0
	s_cbranch_vccz .LBB707_11
; %bb.1:
	s_add_i32 s18, s8, 1
	s_mov_b32 s19, 0
	s_lshl_b64 s[20:21], s[18:19], 2
	s_add_u32 s20, s12, s20
	s_mov_b32 s9, s19
	s_addc_u32 s21, s13, s21
	s_lshl_b64 s[18:19], s[8:9], 2
	s_add_u32 s18, s12, s18
	s_addc_u32 s19, s13, s19
	s_load_dword s7, s[20:21], 0x0
	s_load_dword s11, s[18:19], 0x0
	s_waitcnt lgkmcnt(0)
	s_sub_i32 s7, s7, s11
	s_cmp_eq_u32 s7, 1
	s_cselect_b64 s[18:19], -1, 0
	s_andn2_b64 vcc, exec, s[16:17]
	s_cbranch_vccnz .LBB707_3
.LBB707_2:
	s_mov_b32 s9, 0
	s_mov_b64 s[18:19], -1
.LBB707_3:
	s_andn2_b64 vcc, exec, s[18:19]
	s_cbranch_vccnz .LBB707_10
; %bb.4:
	s_load_dwordx2 s[18:19], s[4:5], 0x28
	s_lshl_b64 s[16:17], s[8:9], 2
	s_waitcnt lgkmcnt(0)
	s_add_u32 s18, s18, s16
	s_addc_u32 s19, s19, s17
	s_load_dword s7, s[18:19], 0x0
	s_lshl_b32 s6, s6, 8
	s_waitcnt lgkmcnt(0)
	s_cmp_ge_i32 s6, s7
	s_cbranch_scc1 .LBB707_10
; %bb.5:
	s_andn2_b64 vcc, exec, s[14:15]
	s_cbranch_vccnz .LBB707_7
; %bb.6:
	s_add_u32 s6, s12, s16
	s_addc_u32 s7, s13, s17
	s_load_dword s8, s[6:7], 0x0
.LBB707_7:
	v_and_b32_e32 v1, 15, v0
	s_movk_i32 s6, 0xe0
	v_cmp_gt_u32_e32 vcc, s6, v0
	v_cmp_gt_u32_e64 s[6:7], 8, v1
	s_and_b64 s[12:13], s[6:7], vcc
	s_and_saveexec_b64 s[6:7], s[12:13]
	s_cbranch_execz .LBB707_9
; %bb.8:
	s_load_dword s11, s[4:5], 0x48
	s_load_dwordx2 s[12:13], s[4:5], 0x0
	v_lshrrev_b32_e32 v6, 4, v0
	s_mul_i32 s10, s10, 14
	v_add_lshl_u32 v2, v6, s10, 6
	s_waitcnt lgkmcnt(0)
	s_ashr_i32 s9, s11, 31
	s_mul_hi_u32 s14, s8, s11
	s_mul_i32 s9, s8, s9
	s_add_i32 s9, s14, s9
	s_mul_i32 s8, s8, s11
	s_lshl_b64 s[8:9], s[8:9], 1
	s_add_u32 s8, s12, s8
	v_ashrrev_i32_e32 v3, 31, v2
	s_addc_u32 s9, s13, s9
	v_lshlrev_b64 v[2:3], 1, v[2:3]
	v_mov_b32_e32 v4, s9
	v_add_co_u32_e32 v2, vcc, s8, v2
	v_addc_co_u32_e32 v3, vcc, v4, v3, vcc
	v_lshlrev_b32_e32 v4, 4, v1
	v_add_co_u32_e32 v2, vcc, v2, v4
	v_addc_co_u32_e32 v3, vcc, 0, v3, vcc
	global_load_dwordx4 v[2:5], v[2:3], off
	v_lshlrev_b32_e32 v0, 4, v0
	v_lshlrev_b32_e32 v1, 8, v1
	v_and_b32_e32 v0, 16, v0
	v_lshlrev_b32_e32 v6, 5, v6
	v_and_b32_e32 v1, 0xe00, v1
	v_or3_b32 v0, v1, v6, v0
	s_waitcnt vmcnt(0)
	ds_write_b128 v0, v[2:5]
.LBB707_9:
	s_or_b64 exec, exec, s[6:7]
	s_waitcnt lgkmcnt(0)
	s_add_u32 s8, s4, 0x90
	s_addc_u32 s9, s5, 0
	s_getpc_b64 s[4:5]
	s_add_u32 s4, s4, __PRETTY_FUNCTION__._Z39paged_attention_ll4mi_QKV_mfma16_kernelI14__hip_bfloat16hLN4vllm18Fp8KVCacheDataTypeE1ES0_Li16ELi64ELi256ELb0ELi14EL8MFMAType1EEvPKT_PKT0_S9_ifPKiSB_SB_iPKfiiiPfSE_PS4_PT2_iSD_SD_@rel32@lo+4
	s_addc_u32 s5, s5, __PRETTY_FUNCTION__._Z39paged_attention_ll4mi_QKV_mfma16_kernelI14__hip_bfloat16hLN4vllm18Fp8KVCacheDataTypeE1ES0_Li16ELi64ELi256ELb0ELi14EL8MFMAType1EEvPKT_PKT0_S9_ifPKiSB_SB_iPKfiiiPfSE_PS4_PT2_iSD_SD_@rel32@hi+12
	v_mov_b32_e32 v0, 0x288
	v_mov_b32_e32 v1, s4
	;; [unrolled: 1-line block ×3, first 2 shown]
	s_barrier
	s_getpc_b64 s[6:7]
	s_add_u32 s6, s6, __assert_fail@rel32@lo+4
	s_addc_u32 s7, s7, __assert_fail@rel32@hi+12
	s_swappc_b64 s[30:31], s[6:7]
	; divergent unreachable
.LBB707_10:
	s_endpgm
.LBB707_11:
	s_mov_b64 s[18:19], 0
	s_branch .LBB707_2
	.section	.rodata,"a",@progbits
	.p2align	6, 0x0
	.amdhsa_kernel _Z39paged_attention_ll4mi_QKV_mfma16_kernelI14__hip_bfloat16hLN4vllm18Fp8KVCacheDataTypeE1ES0_Li16ELi64ELi256ELb0ELi14EL8MFMAType1EEvPKT_PKT0_S9_ifPKiSB_SB_iPKfiiiPfSE_PS4_PT2_iSD_SD_
		.amdhsa_group_segment_fixed_size 8192
		.amdhsa_private_segment_fixed_size 64
		.amdhsa_kernarg_size 400
		.amdhsa_user_sgpr_count 8
		.amdhsa_user_sgpr_private_segment_buffer 1
		.amdhsa_user_sgpr_dispatch_ptr 0
		.amdhsa_user_sgpr_queue_ptr 0
		.amdhsa_user_sgpr_kernarg_segment_ptr 1
		.amdhsa_user_sgpr_dispatch_id 0
		.amdhsa_user_sgpr_flat_scratch_init 1
		.amdhsa_user_sgpr_kernarg_preload_length 0
		.amdhsa_user_sgpr_kernarg_preload_offset 0
		.amdhsa_user_sgpr_private_segment_size 0
		.amdhsa_uses_dynamic_stack 0
		.amdhsa_system_sgpr_private_segment_wavefront_offset 1
		.amdhsa_system_sgpr_workgroup_id_x 1
		.amdhsa_system_sgpr_workgroup_id_y 1
		.amdhsa_system_sgpr_workgroup_id_z 1
		.amdhsa_system_sgpr_workgroup_info 0
		.amdhsa_system_vgpr_workitem_id 0
		.amdhsa_next_free_vgpr 45
		.amdhsa_next_free_sgpr 34
		.amdhsa_accum_offset 44
		.amdhsa_reserve_vcc 1
		.amdhsa_reserve_flat_scratch 1
		.amdhsa_float_round_mode_32 0
		.amdhsa_float_round_mode_16_64 0
		.amdhsa_float_denorm_mode_32 3
		.amdhsa_float_denorm_mode_16_64 3
		.amdhsa_dx10_clamp 1
		.amdhsa_ieee_mode 1
		.amdhsa_fp16_overflow 0
		.amdhsa_tg_split 0
		.amdhsa_exception_fp_ieee_invalid_op 0
		.amdhsa_exception_fp_denorm_src 0
		.amdhsa_exception_fp_ieee_div_zero 0
		.amdhsa_exception_fp_ieee_overflow 0
		.amdhsa_exception_fp_ieee_underflow 0
		.amdhsa_exception_fp_ieee_inexact 0
		.amdhsa_exception_int_div_zero 0
	.end_amdhsa_kernel
	.section	.text._Z39paged_attention_ll4mi_QKV_mfma16_kernelI14__hip_bfloat16hLN4vllm18Fp8KVCacheDataTypeE1ES0_Li16ELi64ELi256ELb0ELi14EL8MFMAType1EEvPKT_PKT0_S9_ifPKiSB_SB_iPKfiiiPfSE_PS4_PT2_iSD_SD_,"axG",@progbits,_Z39paged_attention_ll4mi_QKV_mfma16_kernelI14__hip_bfloat16hLN4vllm18Fp8KVCacheDataTypeE1ES0_Li16ELi64ELi256ELb0ELi14EL8MFMAType1EEvPKT_PKT0_S9_ifPKiSB_SB_iPKfiiiPfSE_PS4_PT2_iSD_SD_,comdat
.Lfunc_end707:
	.size	_Z39paged_attention_ll4mi_QKV_mfma16_kernelI14__hip_bfloat16hLN4vllm18Fp8KVCacheDataTypeE1ES0_Li16ELi64ELi256ELb0ELi14EL8MFMAType1EEvPKT_PKT0_S9_ifPKiSB_SB_iPKfiiiPfSE_PS4_PT2_iSD_SD_, .Lfunc_end707-_Z39paged_attention_ll4mi_QKV_mfma16_kernelI14__hip_bfloat16hLN4vllm18Fp8KVCacheDataTypeE1ES0_Li16ELi64ELi256ELb0ELi14EL8MFMAType1EEvPKT_PKT0_S9_ifPKiSB_SB_iPKfiiiPfSE_PS4_PT2_iSD_SD_
                                        ; -- End function
	.section	.AMDGPU.csdata,"",@progbits
; Kernel info:
; codeLenInByte = 504
; NumSgprs: 40
; NumVgprs: 42
; NumAgprs: 1
; TotalNumVgprs: 45
; ScratchSize: 64
; MemoryBound: 0
; FloatMode: 240
; IeeeMode: 1
; LDSByteSize: 8192 bytes/workgroup (compile time only)
; SGPRBlocks: 4
; VGPRBlocks: 5
; NumSGPRsForWavesPerEU: 40
; NumVGPRsForWavesPerEU: 45
; AccumOffset: 44
; Occupancy: 8
; WaveLimiterHint : 1
; COMPUTE_PGM_RSRC2:SCRATCH_EN: 1
; COMPUTE_PGM_RSRC2:USER_SGPR: 8
; COMPUTE_PGM_RSRC2:TRAP_HANDLER: 0
; COMPUTE_PGM_RSRC2:TGID_X_EN: 1
; COMPUTE_PGM_RSRC2:TGID_Y_EN: 1
; COMPUTE_PGM_RSRC2:TGID_Z_EN: 1
; COMPUTE_PGM_RSRC2:TIDIG_COMP_CNT: 0
; COMPUTE_PGM_RSRC3_GFX90A:ACCUM_OFFSET: 10
; COMPUTE_PGM_RSRC3_GFX90A:TG_SPLIT: 0
	.section	.text._Z39paged_attention_ll4mi_QKV_mfma16_kernelI14__hip_bfloat16hLN4vllm18Fp8KVCacheDataTypeE1ES0_Li16ELi64ELi256ELb0ELi15EL8MFMAType1EEvPKT_PKT0_S9_ifPKiSB_SB_iPKfiiiPfSE_PS4_PT2_iSD_SD_,"axG",@progbits,_Z39paged_attention_ll4mi_QKV_mfma16_kernelI14__hip_bfloat16hLN4vllm18Fp8KVCacheDataTypeE1ES0_Li16ELi64ELi256ELb0ELi15EL8MFMAType1EEvPKT_PKT0_S9_ifPKiSB_SB_iPKfiiiPfSE_PS4_PT2_iSD_SD_,comdat
	.protected	_Z39paged_attention_ll4mi_QKV_mfma16_kernelI14__hip_bfloat16hLN4vllm18Fp8KVCacheDataTypeE1ES0_Li16ELi64ELi256ELb0ELi15EL8MFMAType1EEvPKT_PKT0_S9_ifPKiSB_SB_iPKfiiiPfSE_PS4_PT2_iSD_SD_ ; -- Begin function _Z39paged_attention_ll4mi_QKV_mfma16_kernelI14__hip_bfloat16hLN4vllm18Fp8KVCacheDataTypeE1ES0_Li16ELi64ELi256ELb0ELi15EL8MFMAType1EEvPKT_PKT0_S9_ifPKiSB_SB_iPKfiiiPfSE_PS4_PT2_iSD_SD_
	.globl	_Z39paged_attention_ll4mi_QKV_mfma16_kernelI14__hip_bfloat16hLN4vllm18Fp8KVCacheDataTypeE1ES0_Li16ELi64ELi256ELb0ELi15EL8MFMAType1EEvPKT_PKT0_S9_ifPKiSB_SB_iPKfiiiPfSE_PS4_PT2_iSD_SD_
	.p2align	8
	.type	_Z39paged_attention_ll4mi_QKV_mfma16_kernelI14__hip_bfloat16hLN4vllm18Fp8KVCacheDataTypeE1ES0_Li16ELi64ELi256ELb0ELi15EL8MFMAType1EEvPKT_PKT0_S9_ifPKiSB_SB_iPKfiiiPfSE_PS4_PT2_iSD_SD_,@function
_Z39paged_attention_ll4mi_QKV_mfma16_kernelI14__hip_bfloat16hLN4vllm18Fp8KVCacheDataTypeE1ES0_Li16ELi64ELi256ELb0ELi15EL8MFMAType1EEvPKT_PKT0_S9_ifPKiSB_SB_iPKfiiiPfSE_PS4_PT2_iSD_SD_: ; @_Z39paged_attention_ll4mi_QKV_mfma16_kernelI14__hip_bfloat16hLN4vllm18Fp8KVCacheDataTypeE1ES0_Li16ELi64ELi256ELb0ELi15EL8MFMAType1EEvPKT_PKT0_S9_ifPKiSB_SB_iPKfiiiPfSE_PS4_PT2_iSD_SD_
; %bb.0:
	s_load_dwordx2 s[12:13], s[4:5], 0x30
	s_add_u32 flat_scratch_lo, s6, s11
	s_addc_u32 flat_scratch_hi, s7, 0
	s_add_u32 s0, s0, s11
	s_addc_u32 s1, s1, 0
	s_waitcnt lgkmcnt(0)
	s_cmp_lg_u64 s[12:13], 0
	s_cselect_b64 s[14:15], -1, 0
	s_mov_b32 s6, s9
	s_mov_b64 s[16:17], 0
	s_and_b64 vcc, exec, s[14:15]
	s_mov_b32 s32, 0
	s_cbranch_vccz .LBB708_11
; %bb.1:
	s_add_i32 s18, s8, 1
	s_mov_b32 s19, 0
	s_lshl_b64 s[20:21], s[18:19], 2
	s_add_u32 s20, s12, s20
	s_mov_b32 s9, s19
	s_addc_u32 s21, s13, s21
	s_lshl_b64 s[18:19], s[8:9], 2
	s_add_u32 s18, s12, s18
	s_addc_u32 s19, s13, s19
	s_load_dword s7, s[20:21], 0x0
	s_load_dword s11, s[18:19], 0x0
	s_waitcnt lgkmcnt(0)
	s_sub_i32 s7, s7, s11
	s_cmp_eq_u32 s7, 1
	s_cselect_b64 s[18:19], -1, 0
	s_andn2_b64 vcc, exec, s[16:17]
	s_cbranch_vccnz .LBB708_3
.LBB708_2:
	s_mov_b32 s9, 0
	s_mov_b64 s[18:19], -1
.LBB708_3:
	s_andn2_b64 vcc, exec, s[18:19]
	s_cbranch_vccnz .LBB708_10
; %bb.4:
	s_load_dwordx2 s[18:19], s[4:5], 0x28
	s_lshl_b64 s[16:17], s[8:9], 2
	s_waitcnt lgkmcnt(0)
	s_add_u32 s18, s18, s16
	s_addc_u32 s19, s19, s17
	s_load_dword s7, s[18:19], 0x0
	s_lshl_b32 s6, s6, 8
	s_waitcnt lgkmcnt(0)
	s_cmp_ge_i32 s6, s7
	s_cbranch_scc1 .LBB708_10
; %bb.5:
	s_andn2_b64 vcc, exec, s[14:15]
	s_cbranch_vccnz .LBB708_7
; %bb.6:
	s_add_u32 s6, s12, s16
	s_addc_u32 s7, s13, s17
	s_load_dword s8, s[6:7], 0x0
.LBB708_7:
	v_and_b32_e32 v1, 15, v0
	s_movk_i32 s6, 0xf0
	v_cmp_gt_u32_e32 vcc, s6, v0
	v_cmp_gt_u32_e64 s[6:7], 8, v1
	s_and_b64 s[12:13], s[6:7], vcc
	s_and_saveexec_b64 s[6:7], s[12:13]
	s_cbranch_execz .LBB708_9
; %bb.8:
	s_load_dword s11, s[4:5], 0x48
	s_load_dwordx2 s[12:13], s[4:5], 0x0
	v_lshrrev_b32_e32 v6, 4, v0
	s_mul_i32 s10, s10, 15
	v_add_lshl_u32 v2, v6, s10, 6
	s_waitcnt lgkmcnt(0)
	s_ashr_i32 s9, s11, 31
	s_mul_hi_u32 s14, s8, s11
	s_mul_i32 s9, s8, s9
	s_add_i32 s9, s14, s9
	s_mul_i32 s8, s8, s11
	s_lshl_b64 s[8:9], s[8:9], 1
	s_add_u32 s8, s12, s8
	v_ashrrev_i32_e32 v3, 31, v2
	s_addc_u32 s9, s13, s9
	v_lshlrev_b64 v[2:3], 1, v[2:3]
	v_mov_b32_e32 v4, s9
	v_add_co_u32_e32 v2, vcc, s8, v2
	v_addc_co_u32_e32 v3, vcc, v4, v3, vcc
	v_lshlrev_b32_e32 v4, 4, v1
	v_add_co_u32_e32 v2, vcc, v2, v4
	v_addc_co_u32_e32 v3, vcc, 0, v3, vcc
	global_load_dwordx4 v[2:5], v[2:3], off
	v_lshlrev_b32_e32 v0, 4, v0
	v_lshlrev_b32_e32 v1, 8, v1
	v_and_b32_e32 v0, 16, v0
	v_lshlrev_b32_e32 v6, 5, v6
	v_and_b32_e32 v1, 0xe00, v1
	v_or3_b32 v0, v1, v6, v0
	s_waitcnt vmcnt(0)
	ds_write_b128 v0, v[2:5]
.LBB708_9:
	s_or_b64 exec, exec, s[6:7]
	s_waitcnt lgkmcnt(0)
	s_add_u32 s8, s4, 0x90
	s_addc_u32 s9, s5, 0
	s_getpc_b64 s[4:5]
	s_add_u32 s4, s4, __PRETTY_FUNCTION__._Z39paged_attention_ll4mi_QKV_mfma16_kernelI14__hip_bfloat16hLN4vllm18Fp8KVCacheDataTypeE1ES0_Li16ELi64ELi256ELb0ELi15EL8MFMAType1EEvPKT_PKT0_S9_ifPKiSB_SB_iPKfiiiPfSE_PS4_PT2_iSD_SD_@rel32@lo+4
	s_addc_u32 s5, s5, __PRETTY_FUNCTION__._Z39paged_attention_ll4mi_QKV_mfma16_kernelI14__hip_bfloat16hLN4vllm18Fp8KVCacheDataTypeE1ES0_Li16ELi64ELi256ELb0ELi15EL8MFMAType1EEvPKT_PKT0_S9_ifPKiSB_SB_iPKfiiiPfSE_PS4_PT2_iSD_SD_@rel32@hi+12
	v_mov_b32_e32 v0, 0x288
	v_mov_b32_e32 v1, s4
	v_mov_b32_e32 v2, s5
	s_barrier
	s_getpc_b64 s[6:7]
	s_add_u32 s6, s6, __assert_fail@rel32@lo+4
	s_addc_u32 s7, s7, __assert_fail@rel32@hi+12
	s_swappc_b64 s[30:31], s[6:7]
	; divergent unreachable
.LBB708_10:
	s_endpgm
.LBB708_11:
	s_mov_b64 s[18:19], 0
	s_branch .LBB708_2
	.section	.rodata,"a",@progbits
	.p2align	6, 0x0
	.amdhsa_kernel _Z39paged_attention_ll4mi_QKV_mfma16_kernelI14__hip_bfloat16hLN4vllm18Fp8KVCacheDataTypeE1ES0_Li16ELi64ELi256ELb0ELi15EL8MFMAType1EEvPKT_PKT0_S9_ifPKiSB_SB_iPKfiiiPfSE_PS4_PT2_iSD_SD_
		.amdhsa_group_segment_fixed_size 8192
		.amdhsa_private_segment_fixed_size 64
		.amdhsa_kernarg_size 400
		.amdhsa_user_sgpr_count 8
		.amdhsa_user_sgpr_private_segment_buffer 1
		.amdhsa_user_sgpr_dispatch_ptr 0
		.amdhsa_user_sgpr_queue_ptr 0
		.amdhsa_user_sgpr_kernarg_segment_ptr 1
		.amdhsa_user_sgpr_dispatch_id 0
		.amdhsa_user_sgpr_flat_scratch_init 1
		.amdhsa_user_sgpr_kernarg_preload_length 0
		.amdhsa_user_sgpr_kernarg_preload_offset 0
		.amdhsa_user_sgpr_private_segment_size 0
		.amdhsa_uses_dynamic_stack 0
		.amdhsa_system_sgpr_private_segment_wavefront_offset 1
		.amdhsa_system_sgpr_workgroup_id_x 1
		.amdhsa_system_sgpr_workgroup_id_y 1
		.amdhsa_system_sgpr_workgroup_id_z 1
		.amdhsa_system_sgpr_workgroup_info 0
		.amdhsa_system_vgpr_workitem_id 0
		.amdhsa_next_free_vgpr 45
		.amdhsa_next_free_sgpr 34
		.amdhsa_accum_offset 44
		.amdhsa_reserve_vcc 1
		.amdhsa_reserve_flat_scratch 1
		.amdhsa_float_round_mode_32 0
		.amdhsa_float_round_mode_16_64 0
		.amdhsa_float_denorm_mode_32 3
		.amdhsa_float_denorm_mode_16_64 3
		.amdhsa_dx10_clamp 1
		.amdhsa_ieee_mode 1
		.amdhsa_fp16_overflow 0
		.amdhsa_tg_split 0
		.amdhsa_exception_fp_ieee_invalid_op 0
		.amdhsa_exception_fp_denorm_src 0
		.amdhsa_exception_fp_ieee_div_zero 0
		.amdhsa_exception_fp_ieee_overflow 0
		.amdhsa_exception_fp_ieee_underflow 0
		.amdhsa_exception_fp_ieee_inexact 0
		.amdhsa_exception_int_div_zero 0
	.end_amdhsa_kernel
	.section	.text._Z39paged_attention_ll4mi_QKV_mfma16_kernelI14__hip_bfloat16hLN4vllm18Fp8KVCacheDataTypeE1ES0_Li16ELi64ELi256ELb0ELi15EL8MFMAType1EEvPKT_PKT0_S9_ifPKiSB_SB_iPKfiiiPfSE_PS4_PT2_iSD_SD_,"axG",@progbits,_Z39paged_attention_ll4mi_QKV_mfma16_kernelI14__hip_bfloat16hLN4vllm18Fp8KVCacheDataTypeE1ES0_Li16ELi64ELi256ELb0ELi15EL8MFMAType1EEvPKT_PKT0_S9_ifPKiSB_SB_iPKfiiiPfSE_PS4_PT2_iSD_SD_,comdat
.Lfunc_end708:
	.size	_Z39paged_attention_ll4mi_QKV_mfma16_kernelI14__hip_bfloat16hLN4vllm18Fp8KVCacheDataTypeE1ES0_Li16ELi64ELi256ELb0ELi15EL8MFMAType1EEvPKT_PKT0_S9_ifPKiSB_SB_iPKfiiiPfSE_PS4_PT2_iSD_SD_, .Lfunc_end708-_Z39paged_attention_ll4mi_QKV_mfma16_kernelI14__hip_bfloat16hLN4vllm18Fp8KVCacheDataTypeE1ES0_Li16ELi64ELi256ELb0ELi15EL8MFMAType1EEvPKT_PKT0_S9_ifPKiSB_SB_iPKfiiiPfSE_PS4_PT2_iSD_SD_
                                        ; -- End function
	.section	.AMDGPU.csdata,"",@progbits
; Kernel info:
; codeLenInByte = 504
; NumSgprs: 40
; NumVgprs: 42
; NumAgprs: 1
; TotalNumVgprs: 45
; ScratchSize: 64
; MemoryBound: 0
; FloatMode: 240
; IeeeMode: 1
; LDSByteSize: 8192 bytes/workgroup (compile time only)
; SGPRBlocks: 4
; VGPRBlocks: 5
; NumSGPRsForWavesPerEU: 40
; NumVGPRsForWavesPerEU: 45
; AccumOffset: 44
; Occupancy: 8
; WaveLimiterHint : 1
; COMPUTE_PGM_RSRC2:SCRATCH_EN: 1
; COMPUTE_PGM_RSRC2:USER_SGPR: 8
; COMPUTE_PGM_RSRC2:TRAP_HANDLER: 0
; COMPUTE_PGM_RSRC2:TGID_X_EN: 1
; COMPUTE_PGM_RSRC2:TGID_Y_EN: 1
; COMPUTE_PGM_RSRC2:TGID_Z_EN: 1
; COMPUTE_PGM_RSRC2:TIDIG_COMP_CNT: 0
; COMPUTE_PGM_RSRC3_GFX90A:ACCUM_OFFSET: 10
; COMPUTE_PGM_RSRC3_GFX90A:TG_SPLIT: 0
	.section	.text._Z39paged_attention_ll4mi_QKV_mfma16_kernelI14__hip_bfloat16hLN4vllm18Fp8KVCacheDataTypeE1ES0_Li16ELi64ELi256ELb0ELi16EL8MFMAType1EEvPKT_PKT0_S9_ifPKiSB_SB_iPKfiiiPfSE_PS4_PT2_iSD_SD_,"axG",@progbits,_Z39paged_attention_ll4mi_QKV_mfma16_kernelI14__hip_bfloat16hLN4vllm18Fp8KVCacheDataTypeE1ES0_Li16ELi64ELi256ELb0ELi16EL8MFMAType1EEvPKT_PKT0_S9_ifPKiSB_SB_iPKfiiiPfSE_PS4_PT2_iSD_SD_,comdat
	.protected	_Z39paged_attention_ll4mi_QKV_mfma16_kernelI14__hip_bfloat16hLN4vllm18Fp8KVCacheDataTypeE1ES0_Li16ELi64ELi256ELb0ELi16EL8MFMAType1EEvPKT_PKT0_S9_ifPKiSB_SB_iPKfiiiPfSE_PS4_PT2_iSD_SD_ ; -- Begin function _Z39paged_attention_ll4mi_QKV_mfma16_kernelI14__hip_bfloat16hLN4vllm18Fp8KVCacheDataTypeE1ES0_Li16ELi64ELi256ELb0ELi16EL8MFMAType1EEvPKT_PKT0_S9_ifPKiSB_SB_iPKfiiiPfSE_PS4_PT2_iSD_SD_
	.globl	_Z39paged_attention_ll4mi_QKV_mfma16_kernelI14__hip_bfloat16hLN4vllm18Fp8KVCacheDataTypeE1ES0_Li16ELi64ELi256ELb0ELi16EL8MFMAType1EEvPKT_PKT0_S9_ifPKiSB_SB_iPKfiiiPfSE_PS4_PT2_iSD_SD_
	.p2align	8
	.type	_Z39paged_attention_ll4mi_QKV_mfma16_kernelI14__hip_bfloat16hLN4vllm18Fp8KVCacheDataTypeE1ES0_Li16ELi64ELi256ELb0ELi16EL8MFMAType1EEvPKT_PKT0_S9_ifPKiSB_SB_iPKfiiiPfSE_PS4_PT2_iSD_SD_,@function
_Z39paged_attention_ll4mi_QKV_mfma16_kernelI14__hip_bfloat16hLN4vllm18Fp8KVCacheDataTypeE1ES0_Li16ELi64ELi256ELb0ELi16EL8MFMAType1EEvPKT_PKT0_S9_ifPKiSB_SB_iPKfiiiPfSE_PS4_PT2_iSD_SD_: ; @_Z39paged_attention_ll4mi_QKV_mfma16_kernelI14__hip_bfloat16hLN4vllm18Fp8KVCacheDataTypeE1ES0_Li16ELi64ELi256ELb0ELi16EL8MFMAType1EEvPKT_PKT0_S9_ifPKiSB_SB_iPKfiiiPfSE_PS4_PT2_iSD_SD_
; %bb.0:
	s_load_dwordx2 s[12:13], s[4:5], 0x30
	s_add_u32 flat_scratch_lo, s6, s11
	s_addc_u32 flat_scratch_hi, s7, 0
	s_add_u32 s0, s0, s11
	s_addc_u32 s1, s1, 0
	s_waitcnt lgkmcnt(0)
	s_cmp_lg_u64 s[12:13], 0
	s_cselect_b64 s[14:15], -1, 0
	s_mov_b32 s6, s9
	s_mov_b64 s[16:17], 0
	s_and_b64 vcc, exec, s[14:15]
	s_mov_b32 s32, 0
	s_cbranch_vccz .LBB709_11
; %bb.1:
	s_add_i32 s18, s8, 1
	s_mov_b32 s19, 0
	s_lshl_b64 s[20:21], s[18:19], 2
	s_add_u32 s20, s12, s20
	s_mov_b32 s9, s19
	s_addc_u32 s21, s13, s21
	s_lshl_b64 s[18:19], s[8:9], 2
	s_add_u32 s18, s12, s18
	s_addc_u32 s19, s13, s19
	s_load_dword s7, s[20:21], 0x0
	s_load_dword s11, s[18:19], 0x0
	s_waitcnt lgkmcnt(0)
	s_sub_i32 s7, s7, s11
	s_cmp_eq_u32 s7, 1
	s_cselect_b64 s[18:19], -1, 0
	s_andn2_b64 vcc, exec, s[16:17]
	s_cbranch_vccnz .LBB709_3
.LBB709_2:
	s_mov_b32 s9, 0
	s_mov_b64 s[18:19], -1
.LBB709_3:
	s_andn2_b64 vcc, exec, s[18:19]
	s_cbranch_vccnz .LBB709_10
; %bb.4:
	s_load_dwordx2 s[18:19], s[4:5], 0x28
	s_lshl_b64 s[16:17], s[8:9], 2
	s_waitcnt lgkmcnt(0)
	s_add_u32 s18, s18, s16
	s_addc_u32 s19, s19, s17
	s_load_dword s7, s[18:19], 0x0
	s_lshl_b32 s6, s6, 8
	s_waitcnt lgkmcnt(0)
	s_cmp_ge_i32 s6, s7
	s_cbranch_scc1 .LBB709_10
; %bb.5:
	s_andn2_b64 vcc, exec, s[14:15]
	s_cbranch_vccnz .LBB709_7
; %bb.6:
	s_add_u32 s6, s12, s16
	s_addc_u32 s7, s13, s17
	s_load_dword s8, s[6:7], 0x0
.LBB709_7:
	v_and_b32_e32 v1, 15, v0
	s_movk_i32 s6, 0x100
	v_cmp_gt_u32_e32 vcc, s6, v0
	v_cmp_gt_u32_e64 s[6:7], 8, v1
	s_and_b64 s[12:13], vcc, s[6:7]
	s_and_saveexec_b64 s[6:7], s[12:13]
	s_cbranch_execz .LBB709_9
; %bb.8:
	s_load_dword s9, s[4:5], 0x48
	s_load_dwordx2 s[12:13], s[4:5], 0x0
	v_lshrrev_b32_e32 v6, 4, v0
	v_lshlrev_b32_e32 v0, 4, v0
	v_and_b32_e32 v0, 16, v0
	s_waitcnt lgkmcnt(0)
	s_ashr_i32 s11, s9, 31
	s_mul_hi_u32 s15, s8, s9
	s_mul_i32 s14, s8, s9
	s_mul_i32 s8, s8, s11
	s_add_i32 s15, s15, s8
	s_lshl_b64 s[8:9], s[14:15], 1
	s_add_u32 s8, s12, s8
	s_addc_u32 s9, s13, s9
	s_lshl_b32 s10, s10, 10
	v_lshl_or_b32 v2, v6, 6, s10
	v_ashrrev_i32_e32 v3, 31, v2
	v_lshlrev_b64 v[2:3], 1, v[2:3]
	v_mov_b32_e32 v4, s9
	v_add_co_u32_e32 v2, vcc, s8, v2
	v_addc_co_u32_e32 v3, vcc, v4, v3, vcc
	v_lshlrev_b32_e32 v4, 4, v1
	v_add_co_u32_e32 v2, vcc, v2, v4
	v_addc_co_u32_e32 v3, vcc, 0, v3, vcc
	global_load_dwordx4 v[2:5], v[2:3], off
	v_lshlrev_b32_e32 v1, 8, v1
	v_lshlrev_b32_e32 v6, 5, v6
	v_and_b32_e32 v1, 0xe00, v1
	v_or3_b32 v0, v1, v6, v0
	s_waitcnt vmcnt(0)
	ds_write_b128 v0, v[2:5]
.LBB709_9:
	s_or_b64 exec, exec, s[6:7]
	s_waitcnt lgkmcnt(0)
	s_add_u32 s8, s4, 0x90
	s_addc_u32 s9, s5, 0
	s_getpc_b64 s[4:5]
	s_add_u32 s4, s4, __PRETTY_FUNCTION__._Z39paged_attention_ll4mi_QKV_mfma16_kernelI14__hip_bfloat16hLN4vllm18Fp8KVCacheDataTypeE1ES0_Li16ELi64ELi256ELb0ELi16EL8MFMAType1EEvPKT_PKT0_S9_ifPKiSB_SB_iPKfiiiPfSE_PS4_PT2_iSD_SD_@rel32@lo+4
	s_addc_u32 s5, s5, __PRETTY_FUNCTION__._Z39paged_attention_ll4mi_QKV_mfma16_kernelI14__hip_bfloat16hLN4vllm18Fp8KVCacheDataTypeE1ES0_Li16ELi64ELi256ELb0ELi16EL8MFMAType1EEvPKT_PKT0_S9_ifPKiSB_SB_iPKfiiiPfSE_PS4_PT2_iSD_SD_@rel32@hi+12
	v_mov_b32_e32 v0, 0x288
	v_mov_b32_e32 v1, s4
	;; [unrolled: 1-line block ×3, first 2 shown]
	s_barrier
	s_getpc_b64 s[6:7]
	s_add_u32 s6, s6, __assert_fail@rel32@lo+4
	s_addc_u32 s7, s7, __assert_fail@rel32@hi+12
	s_swappc_b64 s[30:31], s[6:7]
	; divergent unreachable
.LBB709_10:
	s_endpgm
.LBB709_11:
	s_mov_b64 s[18:19], 0
	s_branch .LBB709_2
	.section	.rodata,"a",@progbits
	.p2align	6, 0x0
	.amdhsa_kernel _Z39paged_attention_ll4mi_QKV_mfma16_kernelI14__hip_bfloat16hLN4vllm18Fp8KVCacheDataTypeE1ES0_Li16ELi64ELi256ELb0ELi16EL8MFMAType1EEvPKT_PKT0_S9_ifPKiSB_SB_iPKfiiiPfSE_PS4_PT2_iSD_SD_
		.amdhsa_group_segment_fixed_size 8192
		.amdhsa_private_segment_fixed_size 64
		.amdhsa_kernarg_size 400
		.amdhsa_user_sgpr_count 8
		.amdhsa_user_sgpr_private_segment_buffer 1
		.amdhsa_user_sgpr_dispatch_ptr 0
		.amdhsa_user_sgpr_queue_ptr 0
		.amdhsa_user_sgpr_kernarg_segment_ptr 1
		.amdhsa_user_sgpr_dispatch_id 0
		.amdhsa_user_sgpr_flat_scratch_init 1
		.amdhsa_user_sgpr_kernarg_preload_length 0
		.amdhsa_user_sgpr_kernarg_preload_offset 0
		.amdhsa_user_sgpr_private_segment_size 0
		.amdhsa_uses_dynamic_stack 0
		.amdhsa_system_sgpr_private_segment_wavefront_offset 1
		.amdhsa_system_sgpr_workgroup_id_x 1
		.amdhsa_system_sgpr_workgroup_id_y 1
		.amdhsa_system_sgpr_workgroup_id_z 1
		.amdhsa_system_sgpr_workgroup_info 0
		.amdhsa_system_vgpr_workitem_id 0
		.amdhsa_next_free_vgpr 45
		.amdhsa_next_free_sgpr 34
		.amdhsa_accum_offset 44
		.amdhsa_reserve_vcc 1
		.amdhsa_reserve_flat_scratch 1
		.amdhsa_float_round_mode_32 0
		.amdhsa_float_round_mode_16_64 0
		.amdhsa_float_denorm_mode_32 3
		.amdhsa_float_denorm_mode_16_64 3
		.amdhsa_dx10_clamp 1
		.amdhsa_ieee_mode 1
		.amdhsa_fp16_overflow 0
		.amdhsa_tg_split 0
		.amdhsa_exception_fp_ieee_invalid_op 0
		.amdhsa_exception_fp_denorm_src 0
		.amdhsa_exception_fp_ieee_div_zero 0
		.amdhsa_exception_fp_ieee_overflow 0
		.amdhsa_exception_fp_ieee_underflow 0
		.amdhsa_exception_fp_ieee_inexact 0
		.amdhsa_exception_int_div_zero 0
	.end_amdhsa_kernel
	.section	.text._Z39paged_attention_ll4mi_QKV_mfma16_kernelI14__hip_bfloat16hLN4vllm18Fp8KVCacheDataTypeE1ES0_Li16ELi64ELi256ELb0ELi16EL8MFMAType1EEvPKT_PKT0_S9_ifPKiSB_SB_iPKfiiiPfSE_PS4_PT2_iSD_SD_,"axG",@progbits,_Z39paged_attention_ll4mi_QKV_mfma16_kernelI14__hip_bfloat16hLN4vllm18Fp8KVCacheDataTypeE1ES0_Li16ELi64ELi256ELb0ELi16EL8MFMAType1EEvPKT_PKT0_S9_ifPKiSB_SB_iPKfiiiPfSE_PS4_PT2_iSD_SD_,comdat
.Lfunc_end709:
	.size	_Z39paged_attention_ll4mi_QKV_mfma16_kernelI14__hip_bfloat16hLN4vllm18Fp8KVCacheDataTypeE1ES0_Li16ELi64ELi256ELb0ELi16EL8MFMAType1EEvPKT_PKT0_S9_ifPKiSB_SB_iPKfiiiPfSE_PS4_PT2_iSD_SD_, .Lfunc_end709-_Z39paged_attention_ll4mi_QKV_mfma16_kernelI14__hip_bfloat16hLN4vllm18Fp8KVCacheDataTypeE1ES0_Li16ELi64ELi256ELb0ELi16EL8MFMAType1EEvPKT_PKT0_S9_ifPKiSB_SB_iPKfiiiPfSE_PS4_PT2_iSD_SD_
                                        ; -- End function
	.section	.AMDGPU.csdata,"",@progbits
; Kernel info:
; codeLenInByte = 504
; NumSgprs: 40
; NumVgprs: 42
; NumAgprs: 1
; TotalNumVgprs: 45
; ScratchSize: 64
; MemoryBound: 0
; FloatMode: 240
; IeeeMode: 1
; LDSByteSize: 8192 bytes/workgroup (compile time only)
; SGPRBlocks: 4
; VGPRBlocks: 5
; NumSGPRsForWavesPerEU: 40
; NumVGPRsForWavesPerEU: 45
; AccumOffset: 44
; Occupancy: 8
; WaveLimiterHint : 1
; COMPUTE_PGM_RSRC2:SCRATCH_EN: 1
; COMPUTE_PGM_RSRC2:USER_SGPR: 8
; COMPUTE_PGM_RSRC2:TRAP_HANDLER: 0
; COMPUTE_PGM_RSRC2:TGID_X_EN: 1
; COMPUTE_PGM_RSRC2:TGID_Y_EN: 1
; COMPUTE_PGM_RSRC2:TGID_Z_EN: 1
; COMPUTE_PGM_RSRC2:TIDIG_COMP_CNT: 0
; COMPUTE_PGM_RSRC3_GFX90A:ACCUM_OFFSET: 10
; COMPUTE_PGM_RSRC3_GFX90A:TG_SPLIT: 0
	.section	.text._Z39paged_attention_ll4mi_QKV_mfma16_kernelI14__hip_bfloat16hLN4vllm18Fp8KVCacheDataTypeE1ES0_Li16ELi64ELi256ELb0ELi1EL8MFMAType1EEvPKT_PKT0_S9_ifPKiSB_SB_iPKfiiiPfSE_PS4_PT2_iSD_SD_,"axG",@progbits,_Z39paged_attention_ll4mi_QKV_mfma16_kernelI14__hip_bfloat16hLN4vllm18Fp8KVCacheDataTypeE1ES0_Li16ELi64ELi256ELb0ELi1EL8MFMAType1EEvPKT_PKT0_S9_ifPKiSB_SB_iPKfiiiPfSE_PS4_PT2_iSD_SD_,comdat
	.protected	_Z39paged_attention_ll4mi_QKV_mfma16_kernelI14__hip_bfloat16hLN4vllm18Fp8KVCacheDataTypeE1ES0_Li16ELi64ELi256ELb0ELi1EL8MFMAType1EEvPKT_PKT0_S9_ifPKiSB_SB_iPKfiiiPfSE_PS4_PT2_iSD_SD_ ; -- Begin function _Z39paged_attention_ll4mi_QKV_mfma16_kernelI14__hip_bfloat16hLN4vllm18Fp8KVCacheDataTypeE1ES0_Li16ELi64ELi256ELb0ELi1EL8MFMAType1EEvPKT_PKT0_S9_ifPKiSB_SB_iPKfiiiPfSE_PS4_PT2_iSD_SD_
	.globl	_Z39paged_attention_ll4mi_QKV_mfma16_kernelI14__hip_bfloat16hLN4vllm18Fp8KVCacheDataTypeE1ES0_Li16ELi64ELi256ELb0ELi1EL8MFMAType1EEvPKT_PKT0_S9_ifPKiSB_SB_iPKfiiiPfSE_PS4_PT2_iSD_SD_
	.p2align	8
	.type	_Z39paged_attention_ll4mi_QKV_mfma16_kernelI14__hip_bfloat16hLN4vllm18Fp8KVCacheDataTypeE1ES0_Li16ELi64ELi256ELb0ELi1EL8MFMAType1EEvPKT_PKT0_S9_ifPKiSB_SB_iPKfiiiPfSE_PS4_PT2_iSD_SD_,@function
_Z39paged_attention_ll4mi_QKV_mfma16_kernelI14__hip_bfloat16hLN4vllm18Fp8KVCacheDataTypeE1ES0_Li16ELi64ELi256ELb0ELi1EL8MFMAType1EEvPKT_PKT0_S9_ifPKiSB_SB_iPKfiiiPfSE_PS4_PT2_iSD_SD_: ; @_Z39paged_attention_ll4mi_QKV_mfma16_kernelI14__hip_bfloat16hLN4vllm18Fp8KVCacheDataTypeE1ES0_Li16ELi64ELi256ELb0ELi1EL8MFMAType1EEvPKT_PKT0_S9_ifPKiSB_SB_iPKfiiiPfSE_PS4_PT2_iSD_SD_
; %bb.0:
	s_load_dwordx2 s[12:13], s[4:5], 0x30
	s_add_u32 flat_scratch_lo, s6, s11
	s_addc_u32 flat_scratch_hi, s7, 0
	s_add_u32 s0, s0, s11
	s_addc_u32 s1, s1, 0
	s_waitcnt lgkmcnt(0)
	s_cmp_lg_u64 s[12:13], 0
	s_cselect_b64 s[14:15], -1, 0
	s_mov_b32 s6, s9
	s_mov_b64 s[16:17], 0
	s_and_b64 vcc, exec, s[14:15]
	s_mov_b32 s32, 0
	s_cbranch_vccz .LBB710_11
; %bb.1:
	s_add_i32 s18, s8, 1
	s_mov_b32 s19, 0
	s_lshl_b64 s[20:21], s[18:19], 2
	s_add_u32 s20, s12, s20
	s_mov_b32 s9, s19
	s_addc_u32 s21, s13, s21
	s_lshl_b64 s[18:19], s[8:9], 2
	s_add_u32 s18, s12, s18
	s_addc_u32 s19, s13, s19
	s_load_dword s7, s[20:21], 0x0
	s_load_dword s11, s[18:19], 0x0
	s_waitcnt lgkmcnt(0)
	s_sub_i32 s7, s7, s11
	s_cmp_eq_u32 s7, 1
	s_cselect_b64 s[18:19], -1, 0
	s_andn2_b64 vcc, exec, s[16:17]
	s_cbranch_vccnz .LBB710_3
.LBB710_2:
	s_mov_b32 s9, 0
	s_mov_b64 s[18:19], -1
.LBB710_3:
	s_andn2_b64 vcc, exec, s[18:19]
	s_cbranch_vccnz .LBB710_10
; %bb.4:
	s_load_dwordx2 s[18:19], s[4:5], 0x28
	s_lshl_b64 s[16:17], s[8:9], 2
	s_waitcnt lgkmcnt(0)
	s_add_u32 s18, s18, s16
	s_addc_u32 s19, s19, s17
	s_load_dword s7, s[18:19], 0x0
	s_lshl_b32 s6, s6, 8
	s_waitcnt lgkmcnt(0)
	s_cmp_ge_i32 s6, s7
	s_cbranch_scc1 .LBB710_10
; %bb.5:
	s_andn2_b64 vcc, exec, s[14:15]
	s_cbranch_vccnz .LBB710_7
; %bb.6:
	s_add_u32 s6, s12, s16
	s_addc_u32 s7, s13, s17
	s_load_dword s8, s[6:7], 0x0
.LBB710_7:
	v_cmp_gt_u32_e32 vcc, 8, v0
	s_and_saveexec_b64 s[6:7], vcc
	s_cbranch_execz .LBB710_9
; %bb.8:
	s_load_dword s9, s[4:5], 0x48
	s_load_dwordx2 s[12:13], s[4:5], 0x0
	v_lshlrev_b32_e32 v1, 4, v0
	v_lshlrev_b32_e32 v0, 8, v0
	s_waitcnt lgkmcnt(0)
	s_ashr_i32 s11, s9, 31
	s_mul_hi_u32 s15, s8, s9
	s_mul_i32 s14, s8, s9
	s_mul_i32 s8, s8, s11
	s_add_i32 s15, s15, s8
	s_lshl_b64 s[8:9], s[14:15], 1
	s_add_u32 s11, s12, s8
	s_addc_u32 s12, s13, s9
	s_lshl_b32 s8, s10, 6
	s_ashr_i32 s9, s8, 31
	s_lshl_b64 s[8:9], s[8:9], 1
	s_add_u32 s8, s11, s8
	s_addc_u32 s9, s12, s9
	global_load_dwordx4 v[2:5], v1, s[8:9]
	v_and_b32_e32 v1, 16, v1
	s_mov_b32 s8, 0xfe00
	v_and_or_b32 v0, v0, s8, v1
	s_waitcnt vmcnt(0)
	ds_write_b128 v0, v[2:5]
.LBB710_9:
	s_or_b64 exec, exec, s[6:7]
	s_waitcnt lgkmcnt(0)
	s_add_u32 s8, s4, 0x90
	s_addc_u32 s9, s5, 0
	s_getpc_b64 s[4:5]
	s_add_u32 s4, s4, __PRETTY_FUNCTION__._Z39paged_attention_ll4mi_QKV_mfma16_kernelI14__hip_bfloat16hLN4vllm18Fp8KVCacheDataTypeE1ES0_Li16ELi64ELi256ELb0ELi1EL8MFMAType1EEvPKT_PKT0_S9_ifPKiSB_SB_iPKfiiiPfSE_PS4_PT2_iSD_SD_@rel32@lo+4
	s_addc_u32 s5, s5, __PRETTY_FUNCTION__._Z39paged_attention_ll4mi_QKV_mfma16_kernelI14__hip_bfloat16hLN4vllm18Fp8KVCacheDataTypeE1ES0_Li16ELi64ELi256ELb0ELi1EL8MFMAType1EEvPKT_PKT0_S9_ifPKiSB_SB_iPKfiiiPfSE_PS4_PT2_iSD_SD_@rel32@hi+12
	v_mov_b32_e32 v0, 0x288
	v_mov_b32_e32 v1, s4
	;; [unrolled: 1-line block ×3, first 2 shown]
	s_barrier
	s_getpc_b64 s[6:7]
	s_add_u32 s6, s6, __assert_fail@rel32@lo+4
	s_addc_u32 s7, s7, __assert_fail@rel32@hi+12
	s_swappc_b64 s[30:31], s[6:7]
	; divergent unreachable
.LBB710_10:
	s_endpgm
.LBB710_11:
	s_mov_b64 s[18:19], 0
	s_branch .LBB710_2
	.section	.rodata,"a",@progbits
	.p2align	6, 0x0
	.amdhsa_kernel _Z39paged_attention_ll4mi_QKV_mfma16_kernelI14__hip_bfloat16hLN4vllm18Fp8KVCacheDataTypeE1ES0_Li16ELi64ELi256ELb0ELi1EL8MFMAType1EEvPKT_PKT0_S9_ifPKiSB_SB_iPKfiiiPfSE_PS4_PT2_iSD_SD_
		.amdhsa_group_segment_fixed_size 8192
		.amdhsa_private_segment_fixed_size 64
		.amdhsa_kernarg_size 400
		.amdhsa_user_sgpr_count 8
		.amdhsa_user_sgpr_private_segment_buffer 1
		.amdhsa_user_sgpr_dispatch_ptr 0
		.amdhsa_user_sgpr_queue_ptr 0
		.amdhsa_user_sgpr_kernarg_segment_ptr 1
		.amdhsa_user_sgpr_dispatch_id 0
		.amdhsa_user_sgpr_flat_scratch_init 1
		.amdhsa_user_sgpr_kernarg_preload_length 0
		.amdhsa_user_sgpr_kernarg_preload_offset 0
		.amdhsa_user_sgpr_private_segment_size 0
		.amdhsa_uses_dynamic_stack 0
		.amdhsa_system_sgpr_private_segment_wavefront_offset 1
		.amdhsa_system_sgpr_workgroup_id_x 1
		.amdhsa_system_sgpr_workgroup_id_y 1
		.amdhsa_system_sgpr_workgroup_id_z 1
		.amdhsa_system_sgpr_workgroup_info 0
		.amdhsa_system_vgpr_workitem_id 0
		.amdhsa_next_free_vgpr 45
		.amdhsa_next_free_sgpr 34
		.amdhsa_accum_offset 44
		.amdhsa_reserve_vcc 1
		.amdhsa_reserve_flat_scratch 1
		.amdhsa_float_round_mode_32 0
		.amdhsa_float_round_mode_16_64 0
		.amdhsa_float_denorm_mode_32 3
		.amdhsa_float_denorm_mode_16_64 3
		.amdhsa_dx10_clamp 1
		.amdhsa_ieee_mode 1
		.amdhsa_fp16_overflow 0
		.amdhsa_tg_split 0
		.amdhsa_exception_fp_ieee_invalid_op 0
		.amdhsa_exception_fp_denorm_src 0
		.amdhsa_exception_fp_ieee_div_zero 0
		.amdhsa_exception_fp_ieee_overflow 0
		.amdhsa_exception_fp_ieee_underflow 0
		.amdhsa_exception_fp_ieee_inexact 0
		.amdhsa_exception_int_div_zero 0
	.end_amdhsa_kernel
	.section	.text._Z39paged_attention_ll4mi_QKV_mfma16_kernelI14__hip_bfloat16hLN4vllm18Fp8KVCacheDataTypeE1ES0_Li16ELi64ELi256ELb0ELi1EL8MFMAType1EEvPKT_PKT0_S9_ifPKiSB_SB_iPKfiiiPfSE_PS4_PT2_iSD_SD_,"axG",@progbits,_Z39paged_attention_ll4mi_QKV_mfma16_kernelI14__hip_bfloat16hLN4vllm18Fp8KVCacheDataTypeE1ES0_Li16ELi64ELi256ELb0ELi1EL8MFMAType1EEvPKT_PKT0_S9_ifPKiSB_SB_iPKfiiiPfSE_PS4_PT2_iSD_SD_,comdat
.Lfunc_end710:
	.size	_Z39paged_attention_ll4mi_QKV_mfma16_kernelI14__hip_bfloat16hLN4vllm18Fp8KVCacheDataTypeE1ES0_Li16ELi64ELi256ELb0ELi1EL8MFMAType1EEvPKT_PKT0_S9_ifPKiSB_SB_iPKfiiiPfSE_PS4_PT2_iSD_SD_, .Lfunc_end710-_Z39paged_attention_ll4mi_QKV_mfma16_kernelI14__hip_bfloat16hLN4vllm18Fp8KVCacheDataTypeE1ES0_Li16ELi64ELi256ELb0ELi1EL8MFMAType1EEvPKT_PKT0_S9_ifPKiSB_SB_iPKfiiiPfSE_PS4_PT2_iSD_SD_
                                        ; -- End function
	.section	.AMDGPU.csdata,"",@progbits
; Kernel info:
; codeLenInByte = 448
; NumSgprs: 40
; NumVgprs: 42
; NumAgprs: 1
; TotalNumVgprs: 45
; ScratchSize: 64
; MemoryBound: 0
; FloatMode: 240
; IeeeMode: 1
; LDSByteSize: 8192 bytes/workgroup (compile time only)
; SGPRBlocks: 4
; VGPRBlocks: 5
; NumSGPRsForWavesPerEU: 40
; NumVGPRsForWavesPerEU: 45
; AccumOffset: 44
; Occupancy: 8
; WaveLimiterHint : 1
; COMPUTE_PGM_RSRC2:SCRATCH_EN: 1
; COMPUTE_PGM_RSRC2:USER_SGPR: 8
; COMPUTE_PGM_RSRC2:TRAP_HANDLER: 0
; COMPUTE_PGM_RSRC2:TGID_X_EN: 1
; COMPUTE_PGM_RSRC2:TGID_Y_EN: 1
; COMPUTE_PGM_RSRC2:TGID_Z_EN: 1
; COMPUTE_PGM_RSRC2:TIDIG_COMP_CNT: 0
; COMPUTE_PGM_RSRC3_GFX90A:ACCUM_OFFSET: 10
; COMPUTE_PGM_RSRC3_GFX90A:TG_SPLIT: 0
	.section	.text._Z39paged_attention_ll4mi_QKV_mfma16_kernelI14__hip_bfloat16hLN4vllm18Fp8KVCacheDataTypeE1ES0_Li16ELi64ELi256ELb0ELi2EL8MFMAType1EEvPKT_PKT0_S9_ifPKiSB_SB_iPKfiiiPfSE_PS4_PT2_iSD_SD_,"axG",@progbits,_Z39paged_attention_ll4mi_QKV_mfma16_kernelI14__hip_bfloat16hLN4vllm18Fp8KVCacheDataTypeE1ES0_Li16ELi64ELi256ELb0ELi2EL8MFMAType1EEvPKT_PKT0_S9_ifPKiSB_SB_iPKfiiiPfSE_PS4_PT2_iSD_SD_,comdat
	.protected	_Z39paged_attention_ll4mi_QKV_mfma16_kernelI14__hip_bfloat16hLN4vllm18Fp8KVCacheDataTypeE1ES0_Li16ELi64ELi256ELb0ELi2EL8MFMAType1EEvPKT_PKT0_S9_ifPKiSB_SB_iPKfiiiPfSE_PS4_PT2_iSD_SD_ ; -- Begin function _Z39paged_attention_ll4mi_QKV_mfma16_kernelI14__hip_bfloat16hLN4vllm18Fp8KVCacheDataTypeE1ES0_Li16ELi64ELi256ELb0ELi2EL8MFMAType1EEvPKT_PKT0_S9_ifPKiSB_SB_iPKfiiiPfSE_PS4_PT2_iSD_SD_
	.globl	_Z39paged_attention_ll4mi_QKV_mfma16_kernelI14__hip_bfloat16hLN4vllm18Fp8KVCacheDataTypeE1ES0_Li16ELi64ELi256ELb0ELi2EL8MFMAType1EEvPKT_PKT0_S9_ifPKiSB_SB_iPKfiiiPfSE_PS4_PT2_iSD_SD_
	.p2align	8
	.type	_Z39paged_attention_ll4mi_QKV_mfma16_kernelI14__hip_bfloat16hLN4vllm18Fp8KVCacheDataTypeE1ES0_Li16ELi64ELi256ELb0ELi2EL8MFMAType1EEvPKT_PKT0_S9_ifPKiSB_SB_iPKfiiiPfSE_PS4_PT2_iSD_SD_,@function
_Z39paged_attention_ll4mi_QKV_mfma16_kernelI14__hip_bfloat16hLN4vllm18Fp8KVCacheDataTypeE1ES0_Li16ELi64ELi256ELb0ELi2EL8MFMAType1EEvPKT_PKT0_S9_ifPKiSB_SB_iPKfiiiPfSE_PS4_PT2_iSD_SD_: ; @_Z39paged_attention_ll4mi_QKV_mfma16_kernelI14__hip_bfloat16hLN4vllm18Fp8KVCacheDataTypeE1ES0_Li16ELi64ELi256ELb0ELi2EL8MFMAType1EEvPKT_PKT0_S9_ifPKiSB_SB_iPKfiiiPfSE_PS4_PT2_iSD_SD_
; %bb.0:
	s_load_dwordx2 s[12:13], s[4:5], 0x30
	s_add_u32 flat_scratch_lo, s6, s11
	s_addc_u32 flat_scratch_hi, s7, 0
	s_add_u32 s0, s0, s11
	s_addc_u32 s1, s1, 0
	s_waitcnt lgkmcnt(0)
	s_cmp_lg_u64 s[12:13], 0
	s_cselect_b64 s[14:15], -1, 0
	s_mov_b32 s6, s9
	s_mov_b64 s[16:17], 0
	s_and_b64 vcc, exec, s[14:15]
	s_mov_b32 s32, 0
	s_cbranch_vccz .LBB711_11
; %bb.1:
	s_add_i32 s18, s8, 1
	s_mov_b32 s19, 0
	s_lshl_b64 s[20:21], s[18:19], 2
	s_add_u32 s20, s12, s20
	s_mov_b32 s9, s19
	s_addc_u32 s21, s13, s21
	s_lshl_b64 s[18:19], s[8:9], 2
	s_add_u32 s18, s12, s18
	s_addc_u32 s19, s13, s19
	s_load_dword s7, s[20:21], 0x0
	s_load_dword s11, s[18:19], 0x0
	s_waitcnt lgkmcnt(0)
	s_sub_i32 s7, s7, s11
	s_cmp_eq_u32 s7, 1
	s_cselect_b64 s[18:19], -1, 0
	s_andn2_b64 vcc, exec, s[16:17]
	s_cbranch_vccnz .LBB711_3
.LBB711_2:
	s_mov_b32 s9, 0
	s_mov_b64 s[18:19], -1
.LBB711_3:
	s_andn2_b64 vcc, exec, s[18:19]
	s_cbranch_vccnz .LBB711_10
; %bb.4:
	s_load_dwordx2 s[18:19], s[4:5], 0x28
	s_lshl_b64 s[16:17], s[8:9], 2
	s_waitcnt lgkmcnt(0)
	s_add_u32 s18, s18, s16
	s_addc_u32 s19, s19, s17
	s_load_dword s7, s[18:19], 0x0
	s_lshl_b32 s6, s6, 8
	s_waitcnt lgkmcnt(0)
	s_cmp_ge_i32 s6, s7
	s_cbranch_scc1 .LBB711_10
; %bb.5:
	s_andn2_b64 vcc, exec, s[14:15]
	s_cbranch_vccnz .LBB711_7
; %bb.6:
	s_add_u32 s6, s12, s16
	s_addc_u32 s7, s13, s17
	s_load_dword s8, s[6:7], 0x0
.LBB711_7:
	v_and_b32_e32 v1, 15, v0
	v_cmp_gt_u32_e32 vcc, 32, v0
	v_cmp_gt_u32_e64 s[6:7], 8, v1
	s_and_b64 s[12:13], s[6:7], vcc
	s_and_saveexec_b64 s[6:7], s[12:13]
	s_cbranch_execz .LBB711_9
; %bb.8:
	s_load_dword s9, s[4:5], 0x48
	s_load_dwordx2 s[12:13], s[4:5], 0x0
	v_lshrrev_b32_e32 v6, 4, v0
	v_lshlrev_b32_e32 v0, 4, v0
	v_and_b32_e32 v0, 16, v0
	s_waitcnt lgkmcnt(0)
	s_ashr_i32 s11, s9, 31
	s_mul_hi_u32 s15, s8, s9
	s_mul_i32 s14, s8, s9
	s_mul_i32 s8, s8, s11
	s_add_i32 s15, s15, s8
	s_lshl_b64 s[8:9], s[14:15], 1
	s_add_u32 s8, s12, s8
	s_addc_u32 s9, s13, s9
	s_lshl_b32 s10, s10, 7
	v_lshl_or_b32 v2, v6, 6, s10
	v_ashrrev_i32_e32 v3, 31, v2
	v_lshlrev_b64 v[2:3], 1, v[2:3]
	v_mov_b32_e32 v4, s9
	v_add_co_u32_e32 v2, vcc, s8, v2
	v_addc_co_u32_e32 v3, vcc, v4, v3, vcc
	v_lshlrev_b32_e32 v4, 4, v1
	v_add_co_u32_e32 v2, vcc, v2, v4
	v_addc_co_u32_e32 v3, vcc, 0, v3, vcc
	global_load_dwordx4 v[2:5], v[2:3], off
	v_lshlrev_b32_e32 v1, 8, v1
	v_lshlrev_b32_e32 v6, 5, v6
	v_and_b32_e32 v1, 0xe00, v1
	v_or3_b32 v0, v1, v6, v0
	s_waitcnt vmcnt(0)
	ds_write_b128 v0, v[2:5]
.LBB711_9:
	s_or_b64 exec, exec, s[6:7]
	s_waitcnt lgkmcnt(0)
	s_add_u32 s8, s4, 0x90
	s_addc_u32 s9, s5, 0
	s_getpc_b64 s[4:5]
	s_add_u32 s4, s4, __PRETTY_FUNCTION__._Z39paged_attention_ll4mi_QKV_mfma16_kernelI14__hip_bfloat16hLN4vllm18Fp8KVCacheDataTypeE1ES0_Li16ELi64ELi256ELb0ELi2EL8MFMAType1EEvPKT_PKT0_S9_ifPKiSB_SB_iPKfiiiPfSE_PS4_PT2_iSD_SD_@rel32@lo+4
	s_addc_u32 s5, s5, __PRETTY_FUNCTION__._Z39paged_attention_ll4mi_QKV_mfma16_kernelI14__hip_bfloat16hLN4vllm18Fp8KVCacheDataTypeE1ES0_Li16ELi64ELi256ELb0ELi2EL8MFMAType1EEvPKT_PKT0_S9_ifPKiSB_SB_iPKfiiiPfSE_PS4_PT2_iSD_SD_@rel32@hi+12
	v_mov_b32_e32 v0, 0x288
	v_mov_b32_e32 v1, s4
	;; [unrolled: 1-line block ×3, first 2 shown]
	s_barrier
	s_getpc_b64 s[6:7]
	s_add_u32 s6, s6, __assert_fail@rel32@lo+4
	s_addc_u32 s7, s7, __assert_fail@rel32@hi+12
	s_swappc_b64 s[30:31], s[6:7]
	; divergent unreachable
.LBB711_10:
	s_endpgm
.LBB711_11:
	s_mov_b64 s[18:19], 0
	s_branch .LBB711_2
	.section	.rodata,"a",@progbits
	.p2align	6, 0x0
	.amdhsa_kernel _Z39paged_attention_ll4mi_QKV_mfma16_kernelI14__hip_bfloat16hLN4vllm18Fp8KVCacheDataTypeE1ES0_Li16ELi64ELi256ELb0ELi2EL8MFMAType1EEvPKT_PKT0_S9_ifPKiSB_SB_iPKfiiiPfSE_PS4_PT2_iSD_SD_
		.amdhsa_group_segment_fixed_size 8192
		.amdhsa_private_segment_fixed_size 64
		.amdhsa_kernarg_size 400
		.amdhsa_user_sgpr_count 8
		.amdhsa_user_sgpr_private_segment_buffer 1
		.amdhsa_user_sgpr_dispatch_ptr 0
		.amdhsa_user_sgpr_queue_ptr 0
		.amdhsa_user_sgpr_kernarg_segment_ptr 1
		.amdhsa_user_sgpr_dispatch_id 0
		.amdhsa_user_sgpr_flat_scratch_init 1
		.amdhsa_user_sgpr_kernarg_preload_length 0
		.amdhsa_user_sgpr_kernarg_preload_offset 0
		.amdhsa_user_sgpr_private_segment_size 0
		.amdhsa_uses_dynamic_stack 0
		.amdhsa_system_sgpr_private_segment_wavefront_offset 1
		.amdhsa_system_sgpr_workgroup_id_x 1
		.amdhsa_system_sgpr_workgroup_id_y 1
		.amdhsa_system_sgpr_workgroup_id_z 1
		.amdhsa_system_sgpr_workgroup_info 0
		.amdhsa_system_vgpr_workitem_id 0
		.amdhsa_next_free_vgpr 45
		.amdhsa_next_free_sgpr 34
		.amdhsa_accum_offset 44
		.amdhsa_reserve_vcc 1
		.amdhsa_reserve_flat_scratch 1
		.amdhsa_float_round_mode_32 0
		.amdhsa_float_round_mode_16_64 0
		.amdhsa_float_denorm_mode_32 3
		.amdhsa_float_denorm_mode_16_64 3
		.amdhsa_dx10_clamp 1
		.amdhsa_ieee_mode 1
		.amdhsa_fp16_overflow 0
		.amdhsa_tg_split 0
		.amdhsa_exception_fp_ieee_invalid_op 0
		.amdhsa_exception_fp_denorm_src 0
		.amdhsa_exception_fp_ieee_div_zero 0
		.amdhsa_exception_fp_ieee_overflow 0
		.amdhsa_exception_fp_ieee_underflow 0
		.amdhsa_exception_fp_ieee_inexact 0
		.amdhsa_exception_int_div_zero 0
	.end_amdhsa_kernel
	.section	.text._Z39paged_attention_ll4mi_QKV_mfma16_kernelI14__hip_bfloat16hLN4vllm18Fp8KVCacheDataTypeE1ES0_Li16ELi64ELi256ELb0ELi2EL8MFMAType1EEvPKT_PKT0_S9_ifPKiSB_SB_iPKfiiiPfSE_PS4_PT2_iSD_SD_,"axG",@progbits,_Z39paged_attention_ll4mi_QKV_mfma16_kernelI14__hip_bfloat16hLN4vllm18Fp8KVCacheDataTypeE1ES0_Li16ELi64ELi256ELb0ELi2EL8MFMAType1EEvPKT_PKT0_S9_ifPKiSB_SB_iPKfiiiPfSE_PS4_PT2_iSD_SD_,comdat
.Lfunc_end711:
	.size	_Z39paged_attention_ll4mi_QKV_mfma16_kernelI14__hip_bfloat16hLN4vllm18Fp8KVCacheDataTypeE1ES0_Li16ELi64ELi256ELb0ELi2EL8MFMAType1EEvPKT_PKT0_S9_ifPKiSB_SB_iPKfiiiPfSE_PS4_PT2_iSD_SD_, .Lfunc_end711-_Z39paged_attention_ll4mi_QKV_mfma16_kernelI14__hip_bfloat16hLN4vllm18Fp8KVCacheDataTypeE1ES0_Li16ELi64ELi256ELb0ELi2EL8MFMAType1EEvPKT_PKT0_S9_ifPKiSB_SB_iPKfiiiPfSE_PS4_PT2_iSD_SD_
                                        ; -- End function
	.section	.AMDGPU.csdata,"",@progbits
; Kernel info:
; codeLenInByte = 500
; NumSgprs: 40
; NumVgprs: 42
; NumAgprs: 1
; TotalNumVgprs: 45
; ScratchSize: 64
; MemoryBound: 0
; FloatMode: 240
; IeeeMode: 1
; LDSByteSize: 8192 bytes/workgroup (compile time only)
; SGPRBlocks: 4
; VGPRBlocks: 5
; NumSGPRsForWavesPerEU: 40
; NumVGPRsForWavesPerEU: 45
; AccumOffset: 44
; Occupancy: 8
; WaveLimiterHint : 1
; COMPUTE_PGM_RSRC2:SCRATCH_EN: 1
; COMPUTE_PGM_RSRC2:USER_SGPR: 8
; COMPUTE_PGM_RSRC2:TRAP_HANDLER: 0
; COMPUTE_PGM_RSRC2:TGID_X_EN: 1
; COMPUTE_PGM_RSRC2:TGID_Y_EN: 1
; COMPUTE_PGM_RSRC2:TGID_Z_EN: 1
; COMPUTE_PGM_RSRC2:TIDIG_COMP_CNT: 0
; COMPUTE_PGM_RSRC3_GFX90A:ACCUM_OFFSET: 10
; COMPUTE_PGM_RSRC3_GFX90A:TG_SPLIT: 0
	.section	.text._Z39paged_attention_ll4mi_QKV_mfma16_kernelI14__hip_bfloat16hLN4vllm18Fp8KVCacheDataTypeE1ES0_Li16ELi64ELi256ELb0ELi3EL8MFMAType1EEvPKT_PKT0_S9_ifPKiSB_SB_iPKfiiiPfSE_PS4_PT2_iSD_SD_,"axG",@progbits,_Z39paged_attention_ll4mi_QKV_mfma16_kernelI14__hip_bfloat16hLN4vllm18Fp8KVCacheDataTypeE1ES0_Li16ELi64ELi256ELb0ELi3EL8MFMAType1EEvPKT_PKT0_S9_ifPKiSB_SB_iPKfiiiPfSE_PS4_PT2_iSD_SD_,comdat
	.protected	_Z39paged_attention_ll4mi_QKV_mfma16_kernelI14__hip_bfloat16hLN4vllm18Fp8KVCacheDataTypeE1ES0_Li16ELi64ELi256ELb0ELi3EL8MFMAType1EEvPKT_PKT0_S9_ifPKiSB_SB_iPKfiiiPfSE_PS4_PT2_iSD_SD_ ; -- Begin function _Z39paged_attention_ll4mi_QKV_mfma16_kernelI14__hip_bfloat16hLN4vllm18Fp8KVCacheDataTypeE1ES0_Li16ELi64ELi256ELb0ELi3EL8MFMAType1EEvPKT_PKT0_S9_ifPKiSB_SB_iPKfiiiPfSE_PS4_PT2_iSD_SD_
	.globl	_Z39paged_attention_ll4mi_QKV_mfma16_kernelI14__hip_bfloat16hLN4vllm18Fp8KVCacheDataTypeE1ES0_Li16ELi64ELi256ELb0ELi3EL8MFMAType1EEvPKT_PKT0_S9_ifPKiSB_SB_iPKfiiiPfSE_PS4_PT2_iSD_SD_
	.p2align	8
	.type	_Z39paged_attention_ll4mi_QKV_mfma16_kernelI14__hip_bfloat16hLN4vllm18Fp8KVCacheDataTypeE1ES0_Li16ELi64ELi256ELb0ELi3EL8MFMAType1EEvPKT_PKT0_S9_ifPKiSB_SB_iPKfiiiPfSE_PS4_PT2_iSD_SD_,@function
_Z39paged_attention_ll4mi_QKV_mfma16_kernelI14__hip_bfloat16hLN4vllm18Fp8KVCacheDataTypeE1ES0_Li16ELi64ELi256ELb0ELi3EL8MFMAType1EEvPKT_PKT0_S9_ifPKiSB_SB_iPKfiiiPfSE_PS4_PT2_iSD_SD_: ; @_Z39paged_attention_ll4mi_QKV_mfma16_kernelI14__hip_bfloat16hLN4vllm18Fp8KVCacheDataTypeE1ES0_Li16ELi64ELi256ELb0ELi3EL8MFMAType1EEvPKT_PKT0_S9_ifPKiSB_SB_iPKfiiiPfSE_PS4_PT2_iSD_SD_
; %bb.0:
	s_load_dwordx2 s[12:13], s[4:5], 0x30
	s_add_u32 flat_scratch_lo, s6, s11
	s_addc_u32 flat_scratch_hi, s7, 0
	s_add_u32 s0, s0, s11
	s_addc_u32 s1, s1, 0
	s_waitcnt lgkmcnt(0)
	s_cmp_lg_u64 s[12:13], 0
	s_cselect_b64 s[14:15], -1, 0
	s_mov_b32 s6, s9
	s_mov_b64 s[16:17], 0
	s_and_b64 vcc, exec, s[14:15]
	s_mov_b32 s32, 0
	s_cbranch_vccz .LBB712_11
; %bb.1:
	s_add_i32 s18, s8, 1
	s_mov_b32 s19, 0
	s_lshl_b64 s[20:21], s[18:19], 2
	s_add_u32 s20, s12, s20
	s_mov_b32 s9, s19
	s_addc_u32 s21, s13, s21
	s_lshl_b64 s[18:19], s[8:9], 2
	s_add_u32 s18, s12, s18
	s_addc_u32 s19, s13, s19
	s_load_dword s7, s[20:21], 0x0
	s_load_dword s11, s[18:19], 0x0
	s_waitcnt lgkmcnt(0)
	s_sub_i32 s7, s7, s11
	s_cmp_eq_u32 s7, 1
	s_cselect_b64 s[18:19], -1, 0
	s_andn2_b64 vcc, exec, s[16:17]
	s_cbranch_vccnz .LBB712_3
.LBB712_2:
	s_mov_b32 s9, 0
	s_mov_b64 s[18:19], -1
.LBB712_3:
	s_andn2_b64 vcc, exec, s[18:19]
	s_cbranch_vccnz .LBB712_10
; %bb.4:
	s_load_dwordx2 s[18:19], s[4:5], 0x28
	s_lshl_b64 s[16:17], s[8:9], 2
	s_waitcnt lgkmcnt(0)
	s_add_u32 s18, s18, s16
	s_addc_u32 s19, s19, s17
	s_load_dword s7, s[18:19], 0x0
	s_lshl_b32 s6, s6, 8
	s_waitcnt lgkmcnt(0)
	s_cmp_ge_i32 s6, s7
	s_cbranch_scc1 .LBB712_10
; %bb.5:
	s_andn2_b64 vcc, exec, s[14:15]
	s_cbranch_vccnz .LBB712_7
; %bb.6:
	s_add_u32 s6, s12, s16
	s_addc_u32 s7, s13, s17
	s_load_dword s8, s[6:7], 0x0
.LBB712_7:
	v_and_b32_e32 v1, 15, v0
	v_cmp_gt_u32_e32 vcc, 48, v0
	v_cmp_gt_u32_e64 s[6:7], 8, v1
	s_and_b64 s[12:13], s[6:7], vcc
	s_and_saveexec_b64 s[6:7], s[12:13]
	s_cbranch_execz .LBB712_9
; %bb.8:
	s_load_dword s11, s[4:5], 0x48
	s_load_dwordx2 s[12:13], s[4:5], 0x0
	v_lshrrev_b32_e32 v6, 4, v0
	s_mul_i32 s10, s10, 3
	v_add_lshl_u32 v2, v6, s10, 6
	s_waitcnt lgkmcnt(0)
	s_ashr_i32 s9, s11, 31
	s_mul_hi_u32 s14, s8, s11
	s_mul_i32 s9, s8, s9
	s_add_i32 s9, s14, s9
	s_mul_i32 s8, s8, s11
	s_lshl_b64 s[8:9], s[8:9], 1
	s_add_u32 s8, s12, s8
	v_ashrrev_i32_e32 v3, 31, v2
	s_addc_u32 s9, s13, s9
	v_lshlrev_b64 v[2:3], 1, v[2:3]
	v_mov_b32_e32 v4, s9
	v_add_co_u32_e32 v2, vcc, s8, v2
	v_addc_co_u32_e32 v3, vcc, v4, v3, vcc
	v_lshlrev_b32_e32 v4, 4, v1
	v_add_co_u32_e32 v2, vcc, v2, v4
	v_addc_co_u32_e32 v3, vcc, 0, v3, vcc
	global_load_dwordx4 v[2:5], v[2:3], off
	v_lshlrev_b32_e32 v0, 4, v0
	v_lshlrev_b32_e32 v1, 8, v1
	v_and_b32_e32 v0, 16, v0
	v_lshlrev_b32_e32 v6, 5, v6
	v_and_b32_e32 v1, 0xe00, v1
	v_or3_b32 v0, v1, v6, v0
	s_waitcnt vmcnt(0)
	ds_write_b128 v0, v[2:5]
.LBB712_9:
	s_or_b64 exec, exec, s[6:7]
	s_waitcnt lgkmcnt(0)
	s_add_u32 s8, s4, 0x90
	s_addc_u32 s9, s5, 0
	s_getpc_b64 s[4:5]
	s_add_u32 s4, s4, __PRETTY_FUNCTION__._Z39paged_attention_ll4mi_QKV_mfma16_kernelI14__hip_bfloat16hLN4vllm18Fp8KVCacheDataTypeE1ES0_Li16ELi64ELi256ELb0ELi3EL8MFMAType1EEvPKT_PKT0_S9_ifPKiSB_SB_iPKfiiiPfSE_PS4_PT2_iSD_SD_@rel32@lo+4
	s_addc_u32 s5, s5, __PRETTY_FUNCTION__._Z39paged_attention_ll4mi_QKV_mfma16_kernelI14__hip_bfloat16hLN4vllm18Fp8KVCacheDataTypeE1ES0_Li16ELi64ELi256ELb0ELi3EL8MFMAType1EEvPKT_PKT0_S9_ifPKiSB_SB_iPKfiiiPfSE_PS4_PT2_iSD_SD_@rel32@hi+12
	v_mov_b32_e32 v0, 0x288
	v_mov_b32_e32 v1, s4
	;; [unrolled: 1-line block ×3, first 2 shown]
	s_barrier
	s_getpc_b64 s[6:7]
	s_add_u32 s6, s6, __assert_fail@rel32@lo+4
	s_addc_u32 s7, s7, __assert_fail@rel32@hi+12
	s_swappc_b64 s[30:31], s[6:7]
	; divergent unreachable
.LBB712_10:
	s_endpgm
.LBB712_11:
	s_mov_b64 s[18:19], 0
	s_branch .LBB712_2
	.section	.rodata,"a",@progbits
	.p2align	6, 0x0
	.amdhsa_kernel _Z39paged_attention_ll4mi_QKV_mfma16_kernelI14__hip_bfloat16hLN4vllm18Fp8KVCacheDataTypeE1ES0_Li16ELi64ELi256ELb0ELi3EL8MFMAType1EEvPKT_PKT0_S9_ifPKiSB_SB_iPKfiiiPfSE_PS4_PT2_iSD_SD_
		.amdhsa_group_segment_fixed_size 8192
		.amdhsa_private_segment_fixed_size 64
		.amdhsa_kernarg_size 400
		.amdhsa_user_sgpr_count 8
		.amdhsa_user_sgpr_private_segment_buffer 1
		.amdhsa_user_sgpr_dispatch_ptr 0
		.amdhsa_user_sgpr_queue_ptr 0
		.amdhsa_user_sgpr_kernarg_segment_ptr 1
		.amdhsa_user_sgpr_dispatch_id 0
		.amdhsa_user_sgpr_flat_scratch_init 1
		.amdhsa_user_sgpr_kernarg_preload_length 0
		.amdhsa_user_sgpr_kernarg_preload_offset 0
		.amdhsa_user_sgpr_private_segment_size 0
		.amdhsa_uses_dynamic_stack 0
		.amdhsa_system_sgpr_private_segment_wavefront_offset 1
		.amdhsa_system_sgpr_workgroup_id_x 1
		.amdhsa_system_sgpr_workgroup_id_y 1
		.amdhsa_system_sgpr_workgroup_id_z 1
		.amdhsa_system_sgpr_workgroup_info 0
		.amdhsa_system_vgpr_workitem_id 0
		.amdhsa_next_free_vgpr 45
		.amdhsa_next_free_sgpr 34
		.amdhsa_accum_offset 44
		.amdhsa_reserve_vcc 1
		.amdhsa_reserve_flat_scratch 1
		.amdhsa_float_round_mode_32 0
		.amdhsa_float_round_mode_16_64 0
		.amdhsa_float_denorm_mode_32 3
		.amdhsa_float_denorm_mode_16_64 3
		.amdhsa_dx10_clamp 1
		.amdhsa_ieee_mode 1
		.amdhsa_fp16_overflow 0
		.amdhsa_tg_split 0
		.amdhsa_exception_fp_ieee_invalid_op 0
		.amdhsa_exception_fp_denorm_src 0
		.amdhsa_exception_fp_ieee_div_zero 0
		.amdhsa_exception_fp_ieee_overflow 0
		.amdhsa_exception_fp_ieee_underflow 0
		.amdhsa_exception_fp_ieee_inexact 0
		.amdhsa_exception_int_div_zero 0
	.end_amdhsa_kernel
	.section	.text._Z39paged_attention_ll4mi_QKV_mfma16_kernelI14__hip_bfloat16hLN4vllm18Fp8KVCacheDataTypeE1ES0_Li16ELi64ELi256ELb0ELi3EL8MFMAType1EEvPKT_PKT0_S9_ifPKiSB_SB_iPKfiiiPfSE_PS4_PT2_iSD_SD_,"axG",@progbits,_Z39paged_attention_ll4mi_QKV_mfma16_kernelI14__hip_bfloat16hLN4vllm18Fp8KVCacheDataTypeE1ES0_Li16ELi64ELi256ELb0ELi3EL8MFMAType1EEvPKT_PKT0_S9_ifPKiSB_SB_iPKfiiiPfSE_PS4_PT2_iSD_SD_,comdat
.Lfunc_end712:
	.size	_Z39paged_attention_ll4mi_QKV_mfma16_kernelI14__hip_bfloat16hLN4vllm18Fp8KVCacheDataTypeE1ES0_Li16ELi64ELi256ELb0ELi3EL8MFMAType1EEvPKT_PKT0_S9_ifPKiSB_SB_iPKfiiiPfSE_PS4_PT2_iSD_SD_, .Lfunc_end712-_Z39paged_attention_ll4mi_QKV_mfma16_kernelI14__hip_bfloat16hLN4vllm18Fp8KVCacheDataTypeE1ES0_Li16ELi64ELi256ELb0ELi3EL8MFMAType1EEvPKT_PKT0_S9_ifPKiSB_SB_iPKfiiiPfSE_PS4_PT2_iSD_SD_
                                        ; -- End function
	.section	.AMDGPU.csdata,"",@progbits
; Kernel info:
; codeLenInByte = 500
; NumSgprs: 40
; NumVgprs: 42
; NumAgprs: 1
; TotalNumVgprs: 45
; ScratchSize: 64
; MemoryBound: 0
; FloatMode: 240
; IeeeMode: 1
; LDSByteSize: 8192 bytes/workgroup (compile time only)
; SGPRBlocks: 4
; VGPRBlocks: 5
; NumSGPRsForWavesPerEU: 40
; NumVGPRsForWavesPerEU: 45
; AccumOffset: 44
; Occupancy: 8
; WaveLimiterHint : 1
; COMPUTE_PGM_RSRC2:SCRATCH_EN: 1
; COMPUTE_PGM_RSRC2:USER_SGPR: 8
; COMPUTE_PGM_RSRC2:TRAP_HANDLER: 0
; COMPUTE_PGM_RSRC2:TGID_X_EN: 1
; COMPUTE_PGM_RSRC2:TGID_Y_EN: 1
; COMPUTE_PGM_RSRC2:TGID_Z_EN: 1
; COMPUTE_PGM_RSRC2:TIDIG_COMP_CNT: 0
; COMPUTE_PGM_RSRC3_GFX90A:ACCUM_OFFSET: 10
; COMPUTE_PGM_RSRC3_GFX90A:TG_SPLIT: 0
	.section	.text._Z39paged_attention_ll4mi_QKV_mfma16_kernelI14__hip_bfloat16hLN4vllm18Fp8KVCacheDataTypeE1ES0_Li16ELi64ELi256ELb0ELi4EL8MFMAType1EEvPKT_PKT0_S9_ifPKiSB_SB_iPKfiiiPfSE_PS4_PT2_iSD_SD_,"axG",@progbits,_Z39paged_attention_ll4mi_QKV_mfma16_kernelI14__hip_bfloat16hLN4vllm18Fp8KVCacheDataTypeE1ES0_Li16ELi64ELi256ELb0ELi4EL8MFMAType1EEvPKT_PKT0_S9_ifPKiSB_SB_iPKfiiiPfSE_PS4_PT2_iSD_SD_,comdat
	.protected	_Z39paged_attention_ll4mi_QKV_mfma16_kernelI14__hip_bfloat16hLN4vllm18Fp8KVCacheDataTypeE1ES0_Li16ELi64ELi256ELb0ELi4EL8MFMAType1EEvPKT_PKT0_S9_ifPKiSB_SB_iPKfiiiPfSE_PS4_PT2_iSD_SD_ ; -- Begin function _Z39paged_attention_ll4mi_QKV_mfma16_kernelI14__hip_bfloat16hLN4vllm18Fp8KVCacheDataTypeE1ES0_Li16ELi64ELi256ELb0ELi4EL8MFMAType1EEvPKT_PKT0_S9_ifPKiSB_SB_iPKfiiiPfSE_PS4_PT2_iSD_SD_
	.globl	_Z39paged_attention_ll4mi_QKV_mfma16_kernelI14__hip_bfloat16hLN4vllm18Fp8KVCacheDataTypeE1ES0_Li16ELi64ELi256ELb0ELi4EL8MFMAType1EEvPKT_PKT0_S9_ifPKiSB_SB_iPKfiiiPfSE_PS4_PT2_iSD_SD_
	.p2align	8
	.type	_Z39paged_attention_ll4mi_QKV_mfma16_kernelI14__hip_bfloat16hLN4vllm18Fp8KVCacheDataTypeE1ES0_Li16ELi64ELi256ELb0ELi4EL8MFMAType1EEvPKT_PKT0_S9_ifPKiSB_SB_iPKfiiiPfSE_PS4_PT2_iSD_SD_,@function
_Z39paged_attention_ll4mi_QKV_mfma16_kernelI14__hip_bfloat16hLN4vllm18Fp8KVCacheDataTypeE1ES0_Li16ELi64ELi256ELb0ELi4EL8MFMAType1EEvPKT_PKT0_S9_ifPKiSB_SB_iPKfiiiPfSE_PS4_PT2_iSD_SD_: ; @_Z39paged_attention_ll4mi_QKV_mfma16_kernelI14__hip_bfloat16hLN4vllm18Fp8KVCacheDataTypeE1ES0_Li16ELi64ELi256ELb0ELi4EL8MFMAType1EEvPKT_PKT0_S9_ifPKiSB_SB_iPKfiiiPfSE_PS4_PT2_iSD_SD_
; %bb.0:
	s_load_dwordx2 s[12:13], s[4:5], 0x30
	s_add_u32 flat_scratch_lo, s6, s11
	s_addc_u32 flat_scratch_hi, s7, 0
	s_add_u32 s0, s0, s11
	s_addc_u32 s1, s1, 0
	s_waitcnt lgkmcnt(0)
	s_cmp_lg_u64 s[12:13], 0
	s_cselect_b64 s[14:15], -1, 0
	s_mov_b32 s6, s9
	s_mov_b64 s[16:17], 0
	s_and_b64 vcc, exec, s[14:15]
	s_mov_b32 s32, 0
	s_cbranch_vccz .LBB713_11
; %bb.1:
	s_add_i32 s18, s8, 1
	s_mov_b32 s19, 0
	s_lshl_b64 s[20:21], s[18:19], 2
	s_add_u32 s20, s12, s20
	s_mov_b32 s9, s19
	s_addc_u32 s21, s13, s21
	s_lshl_b64 s[18:19], s[8:9], 2
	s_add_u32 s18, s12, s18
	s_addc_u32 s19, s13, s19
	s_load_dword s7, s[20:21], 0x0
	s_load_dword s11, s[18:19], 0x0
	s_waitcnt lgkmcnt(0)
	s_sub_i32 s7, s7, s11
	s_cmp_eq_u32 s7, 1
	s_cselect_b64 s[18:19], -1, 0
	s_andn2_b64 vcc, exec, s[16:17]
	s_cbranch_vccnz .LBB713_3
.LBB713_2:
	s_mov_b32 s9, 0
	s_mov_b64 s[18:19], -1
.LBB713_3:
	s_andn2_b64 vcc, exec, s[18:19]
	s_cbranch_vccnz .LBB713_10
; %bb.4:
	s_load_dwordx2 s[18:19], s[4:5], 0x28
	s_lshl_b64 s[16:17], s[8:9], 2
	s_waitcnt lgkmcnt(0)
	s_add_u32 s18, s18, s16
	s_addc_u32 s19, s19, s17
	s_load_dword s7, s[18:19], 0x0
	s_lshl_b32 s6, s6, 8
	s_waitcnt lgkmcnt(0)
	s_cmp_ge_i32 s6, s7
	s_cbranch_scc1 .LBB713_10
; %bb.5:
	s_andn2_b64 vcc, exec, s[14:15]
	s_cbranch_vccnz .LBB713_7
; %bb.6:
	s_add_u32 s6, s12, s16
	s_addc_u32 s7, s13, s17
	s_load_dword s8, s[6:7], 0x0
.LBB713_7:
	v_and_b32_e32 v1, 15, v0
	v_cmp_gt_u32_e32 vcc, 64, v0
	v_cmp_gt_u32_e64 s[6:7], 8, v1
	s_and_b64 s[12:13], vcc, s[6:7]
	s_and_saveexec_b64 s[6:7], s[12:13]
	s_cbranch_execz .LBB713_9
; %bb.8:
	s_load_dword s9, s[4:5], 0x48
	s_load_dwordx2 s[12:13], s[4:5], 0x0
	v_lshrrev_b32_e32 v6, 4, v0
	v_lshlrev_b32_e32 v0, 4, v0
	v_and_b32_e32 v0, 16, v0
	s_waitcnt lgkmcnt(0)
	s_ashr_i32 s11, s9, 31
	s_mul_hi_u32 s15, s8, s9
	s_mul_i32 s14, s8, s9
	s_mul_i32 s8, s8, s11
	s_add_i32 s15, s15, s8
	s_lshl_b64 s[8:9], s[14:15], 1
	s_add_u32 s8, s12, s8
	s_addc_u32 s9, s13, s9
	s_lshl_b32 s10, s10, 8
	v_lshl_or_b32 v2, v6, 6, s10
	v_ashrrev_i32_e32 v3, 31, v2
	v_lshlrev_b64 v[2:3], 1, v[2:3]
	v_mov_b32_e32 v4, s9
	v_add_co_u32_e32 v2, vcc, s8, v2
	v_addc_co_u32_e32 v3, vcc, v4, v3, vcc
	v_lshlrev_b32_e32 v4, 4, v1
	v_add_co_u32_e32 v2, vcc, v2, v4
	v_addc_co_u32_e32 v3, vcc, 0, v3, vcc
	global_load_dwordx4 v[2:5], v[2:3], off
	v_lshlrev_b32_e32 v1, 8, v1
	v_lshlrev_b32_e32 v6, 5, v6
	v_and_b32_e32 v1, 0xe00, v1
	v_or3_b32 v0, v1, v6, v0
	s_waitcnt vmcnt(0)
	ds_write_b128 v0, v[2:5]
.LBB713_9:
	s_or_b64 exec, exec, s[6:7]
	s_waitcnt lgkmcnt(0)
	s_add_u32 s8, s4, 0x90
	s_addc_u32 s9, s5, 0
	s_getpc_b64 s[4:5]
	s_add_u32 s4, s4, __PRETTY_FUNCTION__._Z39paged_attention_ll4mi_QKV_mfma16_kernelI14__hip_bfloat16hLN4vllm18Fp8KVCacheDataTypeE1ES0_Li16ELi64ELi256ELb0ELi4EL8MFMAType1EEvPKT_PKT0_S9_ifPKiSB_SB_iPKfiiiPfSE_PS4_PT2_iSD_SD_@rel32@lo+4
	s_addc_u32 s5, s5, __PRETTY_FUNCTION__._Z39paged_attention_ll4mi_QKV_mfma16_kernelI14__hip_bfloat16hLN4vllm18Fp8KVCacheDataTypeE1ES0_Li16ELi64ELi256ELb0ELi4EL8MFMAType1EEvPKT_PKT0_S9_ifPKiSB_SB_iPKfiiiPfSE_PS4_PT2_iSD_SD_@rel32@hi+12
	v_mov_b32_e32 v0, 0x288
	v_mov_b32_e32 v1, s4
	;; [unrolled: 1-line block ×3, first 2 shown]
	s_barrier
	s_getpc_b64 s[6:7]
	s_add_u32 s6, s6, __assert_fail@rel32@lo+4
	s_addc_u32 s7, s7, __assert_fail@rel32@hi+12
	s_swappc_b64 s[30:31], s[6:7]
	; divergent unreachable
.LBB713_10:
	s_endpgm
.LBB713_11:
	s_mov_b64 s[18:19], 0
	s_branch .LBB713_2
	.section	.rodata,"a",@progbits
	.p2align	6, 0x0
	.amdhsa_kernel _Z39paged_attention_ll4mi_QKV_mfma16_kernelI14__hip_bfloat16hLN4vllm18Fp8KVCacheDataTypeE1ES0_Li16ELi64ELi256ELb0ELi4EL8MFMAType1EEvPKT_PKT0_S9_ifPKiSB_SB_iPKfiiiPfSE_PS4_PT2_iSD_SD_
		.amdhsa_group_segment_fixed_size 8192
		.amdhsa_private_segment_fixed_size 64
		.amdhsa_kernarg_size 400
		.amdhsa_user_sgpr_count 8
		.amdhsa_user_sgpr_private_segment_buffer 1
		.amdhsa_user_sgpr_dispatch_ptr 0
		.amdhsa_user_sgpr_queue_ptr 0
		.amdhsa_user_sgpr_kernarg_segment_ptr 1
		.amdhsa_user_sgpr_dispatch_id 0
		.amdhsa_user_sgpr_flat_scratch_init 1
		.amdhsa_user_sgpr_kernarg_preload_length 0
		.amdhsa_user_sgpr_kernarg_preload_offset 0
		.amdhsa_user_sgpr_private_segment_size 0
		.amdhsa_uses_dynamic_stack 0
		.amdhsa_system_sgpr_private_segment_wavefront_offset 1
		.amdhsa_system_sgpr_workgroup_id_x 1
		.amdhsa_system_sgpr_workgroup_id_y 1
		.amdhsa_system_sgpr_workgroup_id_z 1
		.amdhsa_system_sgpr_workgroup_info 0
		.amdhsa_system_vgpr_workitem_id 0
		.amdhsa_next_free_vgpr 45
		.amdhsa_next_free_sgpr 34
		.amdhsa_accum_offset 44
		.amdhsa_reserve_vcc 1
		.amdhsa_reserve_flat_scratch 1
		.amdhsa_float_round_mode_32 0
		.amdhsa_float_round_mode_16_64 0
		.amdhsa_float_denorm_mode_32 3
		.amdhsa_float_denorm_mode_16_64 3
		.amdhsa_dx10_clamp 1
		.amdhsa_ieee_mode 1
		.amdhsa_fp16_overflow 0
		.amdhsa_tg_split 0
		.amdhsa_exception_fp_ieee_invalid_op 0
		.amdhsa_exception_fp_denorm_src 0
		.amdhsa_exception_fp_ieee_div_zero 0
		.amdhsa_exception_fp_ieee_overflow 0
		.amdhsa_exception_fp_ieee_underflow 0
		.amdhsa_exception_fp_ieee_inexact 0
		.amdhsa_exception_int_div_zero 0
	.end_amdhsa_kernel
	.section	.text._Z39paged_attention_ll4mi_QKV_mfma16_kernelI14__hip_bfloat16hLN4vllm18Fp8KVCacheDataTypeE1ES0_Li16ELi64ELi256ELb0ELi4EL8MFMAType1EEvPKT_PKT0_S9_ifPKiSB_SB_iPKfiiiPfSE_PS4_PT2_iSD_SD_,"axG",@progbits,_Z39paged_attention_ll4mi_QKV_mfma16_kernelI14__hip_bfloat16hLN4vllm18Fp8KVCacheDataTypeE1ES0_Li16ELi64ELi256ELb0ELi4EL8MFMAType1EEvPKT_PKT0_S9_ifPKiSB_SB_iPKfiiiPfSE_PS4_PT2_iSD_SD_,comdat
.Lfunc_end713:
	.size	_Z39paged_attention_ll4mi_QKV_mfma16_kernelI14__hip_bfloat16hLN4vllm18Fp8KVCacheDataTypeE1ES0_Li16ELi64ELi256ELb0ELi4EL8MFMAType1EEvPKT_PKT0_S9_ifPKiSB_SB_iPKfiiiPfSE_PS4_PT2_iSD_SD_, .Lfunc_end713-_Z39paged_attention_ll4mi_QKV_mfma16_kernelI14__hip_bfloat16hLN4vllm18Fp8KVCacheDataTypeE1ES0_Li16ELi64ELi256ELb0ELi4EL8MFMAType1EEvPKT_PKT0_S9_ifPKiSB_SB_iPKfiiiPfSE_PS4_PT2_iSD_SD_
                                        ; -- End function
	.section	.AMDGPU.csdata,"",@progbits
; Kernel info:
; codeLenInByte = 500
; NumSgprs: 40
; NumVgprs: 42
; NumAgprs: 1
; TotalNumVgprs: 45
; ScratchSize: 64
; MemoryBound: 0
; FloatMode: 240
; IeeeMode: 1
; LDSByteSize: 8192 bytes/workgroup (compile time only)
; SGPRBlocks: 4
; VGPRBlocks: 5
; NumSGPRsForWavesPerEU: 40
; NumVGPRsForWavesPerEU: 45
; AccumOffset: 44
; Occupancy: 8
; WaveLimiterHint : 1
; COMPUTE_PGM_RSRC2:SCRATCH_EN: 1
; COMPUTE_PGM_RSRC2:USER_SGPR: 8
; COMPUTE_PGM_RSRC2:TRAP_HANDLER: 0
; COMPUTE_PGM_RSRC2:TGID_X_EN: 1
; COMPUTE_PGM_RSRC2:TGID_Y_EN: 1
; COMPUTE_PGM_RSRC2:TGID_Z_EN: 1
; COMPUTE_PGM_RSRC2:TIDIG_COMP_CNT: 0
; COMPUTE_PGM_RSRC3_GFX90A:ACCUM_OFFSET: 10
; COMPUTE_PGM_RSRC3_GFX90A:TG_SPLIT: 0
	.section	.text._Z38paged_attention_ll4mi_QKV_mfma4_kernelI14__hip_bfloat16hLN4vllm18Fp8KVCacheDataTypeE1ES0_Li32ELi64ELi256ELb1ELi1EEvPKT_PKT0_S8_ifPKiSA_SA_iPKfiiiPfSD_PS3_PT2_iSC_SC_,"axG",@progbits,_Z38paged_attention_ll4mi_QKV_mfma4_kernelI14__hip_bfloat16hLN4vllm18Fp8KVCacheDataTypeE1ES0_Li32ELi64ELi256ELb1ELi1EEvPKT_PKT0_S8_ifPKiSA_SA_iPKfiiiPfSD_PS3_PT2_iSC_SC_,comdat
	.protected	_Z38paged_attention_ll4mi_QKV_mfma4_kernelI14__hip_bfloat16hLN4vllm18Fp8KVCacheDataTypeE1ES0_Li32ELi64ELi256ELb1ELi1EEvPKT_PKT0_S8_ifPKiSA_SA_iPKfiiiPfSD_PS3_PT2_iSC_SC_ ; -- Begin function _Z38paged_attention_ll4mi_QKV_mfma4_kernelI14__hip_bfloat16hLN4vllm18Fp8KVCacheDataTypeE1ES0_Li32ELi64ELi256ELb1ELi1EEvPKT_PKT0_S8_ifPKiSA_SA_iPKfiiiPfSD_PS3_PT2_iSC_SC_
	.globl	_Z38paged_attention_ll4mi_QKV_mfma4_kernelI14__hip_bfloat16hLN4vllm18Fp8KVCacheDataTypeE1ES0_Li32ELi64ELi256ELb1ELi1EEvPKT_PKT0_S8_ifPKiSA_SA_iPKfiiiPfSD_PS3_PT2_iSC_SC_
	.p2align	8
	.type	_Z38paged_attention_ll4mi_QKV_mfma4_kernelI14__hip_bfloat16hLN4vllm18Fp8KVCacheDataTypeE1ES0_Li32ELi64ELi256ELb1ELi1EEvPKT_PKT0_S8_ifPKiSA_SA_iPKfiiiPfSD_PS3_PT2_iSC_SC_,@function
_Z38paged_attention_ll4mi_QKV_mfma4_kernelI14__hip_bfloat16hLN4vllm18Fp8KVCacheDataTypeE1ES0_Li32ELi64ELi256ELb1ELi1EEvPKT_PKT0_S8_ifPKiSA_SA_iPKfiiiPfSD_PS3_PT2_iSC_SC_: ; @_Z38paged_attention_ll4mi_QKV_mfma4_kernelI14__hip_bfloat16hLN4vllm18Fp8KVCacheDataTypeE1ES0_Li32ELi64ELi256ELb1ELi1EEvPKT_PKT0_S8_ifPKiSA_SA_iPKfiiiPfSD_PS3_PT2_iSC_SC_
; %bb.0:
	s_load_dwordx2 s[2:3], s[4:5], 0x30
	s_mov_b32 s24, s7
	s_mov_b64 s[0:1], 0
	s_waitcnt lgkmcnt(0)
	s_cmp_lg_u64 s[2:3], 0
	s_cselect_b64 s[10:11], -1, 0
	s_and_b64 vcc, exec, s[10:11]
	s_cbranch_vccz .LBB714_10
; %bb.1:
	s_add_i32 s12, s6, 1
	s_mov_b32 s13, 0
	s_lshl_b64 s[14:15], s[12:13], 2
	s_add_u32 s14, s2, s14
	s_mov_b32 s7, s13
	s_addc_u32 s15, s3, s15
	s_lshl_b64 s[12:13], s[6:7], 2
	s_add_u32 s12, s2, s12
	s_addc_u32 s13, s3, s13
	s_load_dword s9, s[14:15], 0x0
	s_load_dword s16, s[12:13], 0x0
	s_waitcnt lgkmcnt(0)
	s_sub_i32 s9, s9, s16
	s_cmp_eq_u32 s9, 1
	s_cselect_b64 s[12:13], -1, 0
	s_andn2_b64 vcc, exec, s[0:1]
	s_cbranch_vccnz .LBB714_3
.LBB714_2:
	s_mov_b32 s7, 0
	s_mov_b64 s[12:13], -1
.LBB714_3:
	s_andn2_b64 vcc, exec, s[12:13]
	s_cbranch_vccnz .LBB714_793
; %bb.4:
	s_load_dword s9, s[4:5], 0x9c
	s_load_dwordx2 s[0:1], s[4:5], 0x28
	s_add_u32 s28, s4, 0x90
	s_addc_u32 s29, s5, 0
	s_lshl_b64 s[20:21], s[6:7], 2
	s_waitcnt lgkmcnt(0)
	s_and_b32 s9, s9, 0xffff
	s_add_u32 s0, s0, s20
	s_addc_u32 s1, s1, s21
	s_load_dword s7, s[0:1], 0x0
	s_mul_i32 s9, s24, s9
	s_waitcnt lgkmcnt(0)
	s_cmp_ge_i32 s9, s7
	s_cbranch_scc1 .LBB714_793
; %bb.5:
	v_and_b32_e32 v2, 0xc0, v0
	v_add_u32_e32 v4, s9, v2
	v_lshrrev_b32_e32 v1, 6, v0
	v_cmp_gt_i32_e64 s[0:1], s7, v4
	v_cmp_le_i32_e32 vcc, s7, v4
                                        ; implicit-def: $sgpr23
                                        ; implicit-def: $sgpr22
	s_and_saveexec_b64 s[12:13], vcc
	s_xor_b64 s[12:13], exec, s[12:13]
	s_cbranch_execz .LBB714_7
; %bb.6:
	v_mul_u32_u24_e32 v2, 20, v1
	v_or_b32_e32 v2, 0xa00, v2
	v_mov_b32_e32 v3, 0xa50
	v_mov_b32_e32 v4, 0xff7fffff
	v_mad_u32_u24 v3, v1, 20, v3
	ds_write2_b32 v2, v4, v4 offset1:1
	v_mov_b32_e32 v2, 0
	ds_write2_b32 v3, v2, v2 offset1:1
	v_mov_b32_e32 v3, 0xa08
	s_mov_b32 s22, 0xff7fffff
	s_mov_b32 s23, 0
	v_mad_u32_u24 v3, v1, 20, v3
	v_mov_b32_e32 v5, 0xa58
	v_mad_u32_u24 v5, v1, 20, v5
	ds_write2_b32 v3, v4, v4 offset1:1
	ds_write2_b32 v5, v2, v2 offset1:1
                                        ; implicit-def: $vgpr4
.LBB714_7:
	s_or_saveexec_b64 s[30:31], s[12:13]
	s_load_dwordx2 s[26:27], s[4:5], 0x68
	s_load_dwordx4 s[16:19], s[4:5], 0x58
	s_load_dword s33, s[28:29], 0x4
	s_load_dwordx4 s[12:15], s[4:5], 0x80
	v_and_b32_e32 v42, 63, v0
	v_and_b32_e32 v43, 3, v0
	v_mov_b32_e32 v21, s23
	v_mov_b32_e32 v25, s22
	;; [unrolled: 1-line block ×5, first 2 shown]
                                        ; implicit-def: $vgpr14_vgpr15
                                        ; implicit-def: $vgpr10_vgpr11
                                        ; implicit-def: $vgpr6_vgpr7
                                        ; implicit-def: $vgpr2_vgpr3
	s_xor_b64 exec, exec, s[30:31]
	s_cbranch_execz .LBB714_403
; %bb.8:
	s_add_i32 s34, s7, 31
	s_ashr_i32 s35, s34, 31
	s_load_dwordx2 s[22:23], s[4:5], 0x20
	s_load_dword s25, s[4:5], 0x38
	s_lshr_b32 s35, s35, 27
	v_add_u32_e32 v44, s9, v0
	s_add_i32 s34, s34, s35
	v_ashrrev_i32_e32 v2, 31, v44
	s_ashr_i32 s34, s34, 5
	v_lshrrev_b32_e32 v2, 27, v2
	s_add_i32 s36, s34, -1
	v_add_u32_e32 v2, v44, v2
	v_ashrrev_i32_e32 v2, 5, v2
	v_mov_b32_e32 v3, s36
	v_cmp_gt_i32_e32 vcc, s7, v44
	s_waitcnt lgkmcnt(0)
	s_mul_i32 s34, s6, s25
	s_mov_b32 s35, 0
	v_cndmask_b32_e32 v2, v3, v2, vcc
	s_lshl_b64 s[34:35], s[34:35], 2
	v_ashrrev_i32_e32 v3, 31, v2
	s_add_u32 s22, s22, s34
	v_lshlrev_b64 v[2:3], 2, v[2:3]
	v_add_co_u32_e32 v6, vcc, s22, v2
	v_ashrrev_i32_e32 v2, 31, v4
	v_lshrrev_b32_e32 v2, 27, v2
	v_add_u32_e32 v2, v4, v2
	s_addc_u32 s23, s23, s35
	v_ashrrev_i32_e32 v4, 5, v2
	v_mov_b32_e32 v5, s23
	v_min_i32_e32 v2, s36, v4
	v_addc_co_u32_e32 v7, vcc, v5, v3, vcc
	v_ashrrev_i32_e32 v3, 31, v2
	v_lshlrev_b64 v[2:3], 2, v[2:3]
	v_add_co_u32_e32 v8, vcc, s22, v2
	v_add_u32_e32 v2, 1, v4
	v_min_i32_e32 v2, s36, v2
	v_addc_co_u32_e32 v9, vcc, v5, v3, vcc
	v_ashrrev_i32_e32 v3, 31, v2
	v_lshlrev_b64 v[2:3], 2, v[2:3]
	v_mov_b32_e32 v4, s23
	v_add_co_u32_e32 v10, vcc, s22, v2
	v_addc_co_u32_e32 v11, vcc, v4, v3, vcc
	global_load_dword v4, v[6:7], off
	global_load_dword v3, v[8:9], off
	;; [unrolled: 1-line block ×3, first 2 shown]
	s_load_dwordx2 s[34:35], s[4:5], 0x8
	s_andn2_b64 vcc, exec, s[10:11]
	s_cbranch_vccnz .LBB714_11
; %bb.9:
	s_add_u32 s2, s2, s20
	s_addc_u32 s3, s3, s21
	s_load_dword s9, s[2:3], 0x0
	s_branch .LBB714_12
.LBB714_10:
	s_mov_b64 s[12:13], 0
	s_branch .LBB714_2
.LBB714_11:
	s_mov_b32 s9, s6
.LBB714_12:
	s_load_dwordx2 s[10:11], s[4:5], 0x10
	s_load_dwordx4 s[20:23], s[4:5], 0x48
	v_cmp_eq_u32_e32 vcc, 0, v43
	s_mov_b32 s37, 0
	v_mov_b32_e32 v45, 0
	v_mov_b32_e32 v18, 0
	;; [unrolled: 1-line block ×5, first 2 shown]
	s_and_saveexec_b64 s[2:3], vcc
	s_cbranch_execz .LBB714_14
; %bb.13:
	s_load_dwordx2 s[38:39], s[4:5], 0x0
	s_waitcnt lgkmcnt(0)
	s_ashr_i32 s23, s20, 31
	s_mul_hi_u32 s25, s9, s20
	s_mul_i32 s23, s9, s23
	s_add_i32 s41, s25, s23
	s_mul_i32 s40, s9, s20
	s_lshl_b64 s[40:41], s[40:41], 1
	s_add_u32 s9, s38, s40
	s_addc_u32 s20, s39, s41
	s_lshl_b32 s36, s8, 6
	s_lshl_b64 s[36:37], s[36:37], 1
	s_add_u32 s36, s9, s36
	s_addc_u32 s37, s20, s37
	v_lshlrev_b32_e32 v5, 2, v42
	global_load_dwordx4 v[18:21], v5, s[36:37]
.LBB714_14:
	s_or_b64 exec, exec, s[2:3]
	s_waitcnt lgkmcnt(0)
	s_mul_i32 s20, s8, s22
	s_add_u32 s2, s20, s34
	s_addc_u32 s3, 0, s35
	v_pk_mov_b32 v[6:7], s[2:3], s[2:3] op_sel:[0,1]
	s_waitcnt vmcnt(2)
	v_mad_i64_i32 v[4:5], s[2:3], v4, s21, v[6:7]
	v_lshlrev_b32_e32 v6, 4, v0
	v_and_b32_e32 v6, 0x1f0, v6
	v_add_co_u32_e64 v4, s[2:3], v4, v6
	v_addc_co_u32_e64 v5, s[2:3], 0, v5, s[2:3]
	global_load_dwordx4 v[34:37], v[4:5], off
	global_load_dwordx4 v[30:33], v[4:5], off offset:512
	global_load_dwordx4 v[26:29], v[4:5], off offset:1024
	;; [unrolled: 1-line block ×3, first 2 shown]
	s_and_saveexec_b64 s[2:3], vcc
	s_cbranch_execz .LBB714_16
; %bb.15:
	s_load_dwordx2 s[22:23], s[4:5], 0x40
	s_mov_b32 s9, 0
	s_lshl_b64 s[34:35], s[8:9], 2
	s_waitcnt lgkmcnt(0)
	s_add_u32 s22, s22, s34
	s_addc_u32 s23, s23, s35
	s_load_dword s9, s[22:23], 0x0
	s_waitcnt lgkmcnt(0)
	v_mov_b32_e32 v45, s9
.LBB714_16:
	s_or_b64 exec, exec, s[2:3]
	s_add_u32 s2, s10, s20
	s_addc_u32 s3, s11, 0
	v_lshlrev_b32_e32 v4, 5, v42
	v_mov_b32_e32 v5, s3
	v_add_co_u32_e64 v6, s[2:3], s2, v4
	s_waitcnt vmcnt(5)
	v_mul_hi_i32 v4, v3, s21
	v_ashrrev_i32_e32 v4, 31, v4
	v_lshrrev_b32_e32 v38, 29, v4
	v_mov_b32_e32 v39, 0
	v_addc_co_u32_e64 v7, s[2:3], 0, v5, s[2:3]
	v_mad_i64_i32 v[4:5], s[2:3], v3, s21, v[38:39]
	v_and_b32_e32 v3, -8, v4
	v_add_co_u32_e64 v4, s[2:3], v6, v3
	s_waitcnt vmcnt(4)
	v_mul_hi_i32 v3, v2, s21
	v_ashrrev_i32_e32 v3, 31, v3
	v_lshrrev_b32_e32 v38, 29, v3
	v_addc_co_u32_e64 v5, s[2:3], v7, v5, s[2:3]
	v_mad_i64_i32 v[2:3], s[2:3], v2, s21, v[38:39]
	v_and_b32_e32 v2, -8, v2
	v_add_co_u32_e64 v40, s[2:3], v6, v2
	v_addc_co_u32_e64 v41, s[2:3], v7, v3, s[2:3]
	global_load_dwordx4 v[10:13], v[4:5], off offset:16
	global_load_dwordx4 v[14:17], v[4:5], off
	s_nop 0
	global_load_dwordx4 v[2:5], v[40:41], off offset:16
	global_load_dwordx4 v[6:9], v[40:41], off
	s_waitcnt vmcnt(7)
	v_cmp_ne_u16_sdwa s[2:3], v34, v39 src0_sel:BYTE_0 src1_sel:DWORD
	v_mov_b32_e32 v46, 0
	s_and_saveexec_b64 s[10:11], s[2:3]
	s_cbranch_execz .LBB714_22
; %bb.17:
	s_movk_i32 s2, 0x80
	v_cmp_ne_u16_sdwa s[2:3], v34, s2 src0_sel:BYTE_0 src1_sel:DWORD
	v_mov_b32_e32 v46, 0xffff8000
	s_and_saveexec_b64 s[20:21], s[2:3]
	s_cbranch_execz .LBB714_21
; %bb.18:
	s_movk_i32 s2, 0x7f
	v_and_b32_e32 v38, 0x7f, v34
	v_cmp_ne_u32_e64 s[2:3], s2, v38
	v_mov_b32_e32 v46, 0x7f80
	s_and_saveexec_b64 s[22:23], s[2:3]
	s_cbranch_execz .LBB714_20
; %bb.19:
	v_and_b32_e32 v40, 7, v34
	v_ffbh_u32_e32 v40, v40
	v_min_u32_e32 v40, 32, v40
	v_lshrrev_b32_e32 v41, 3, v38
	v_subrev_u32_e32 v46, 28, v40
	v_sub_u32_e32 v40, 29, v40
	v_cmp_gt_u32_e64 s[2:3], 8, v38
	v_cndmask_b32_e64 v38, v41, v40, s[2:3]
	v_cndmask_b32_e64 v40, 0, v46, s[2:3]
	v_lshlrev_b64 v[40:41], v40, v[34:35]
	v_lshlrev_b32_e32 v40, 20, v40
	v_lshlrev_b32_e32 v41, 24, v34
	v_bfrev_b32_e32 v46, 60
	v_and_b32_e32 v40, 0x700000, v40
	v_and_b32_e32 v41, 0x80000000, v41
	v_lshl_add_u32 v38, v38, 23, v46
	v_or3_b32 v38, v41, v38, v40
	v_lshrrev_b32_e32 v46, 16, v38
.LBB714_20:
	s_or_b64 exec, exec, s[22:23]
.LBB714_21:
	s_or_b64 exec, exec, s[20:21]
.LBB714_22:
	s_or_b64 exec, exec, s[10:11]
	v_lshrrev_b16_e32 v38, 8, v34
	v_cmp_ne_u16_e64 s[2:3], 0, v38
	s_and_saveexec_b64 s[10:11], s[2:3]
	s_cbranch_execz .LBB714_28
; %bb.23:
	s_movk_i32 s2, 0x80
	v_cmp_ne_u16_e64 s[2:3], s2, v38
	v_mov_b32_e32 v39, 0xffff8000
	s_and_saveexec_b64 s[20:21], s[2:3]
	s_cbranch_execz .LBB714_27
; %bb.24:
	s_movk_i32 s2, 0x7f
	v_and_b32_e32 v40, 0x7f, v38
	v_cmp_ne_u32_e64 s[2:3], s2, v40
	v_mov_b32_e32 v39, 0x7f80
	s_and_saveexec_b64 s[22:23], s[2:3]
	s_cbranch_execz .LBB714_26
; %bb.25:
	v_and_b32_e32 v41, 7, v38
	v_ffbh_u32_e32 v39, v41
	v_min_u32_e32 v48, 32, v39
	v_subrev_u32_e32 v39, 28, v48
	v_lshlrev_b64 v[38:39], v39, v[38:39]
	v_lshrrev_b32_e32 v47, 3, v40
	v_sub_u32_e32 v39, 29, v48
	v_and_b32_e32 v38, 7, v38
	v_cmp_gt_u32_e64 s[2:3], 8, v40
	v_cndmask_b32_e64 v39, v47, v39, s[2:3]
	v_cndmask_b32_e64 v38, v41, v38, s[2:3]
	v_lshlrev_b32_e32 v40, 16, v34
	v_bfrev_b32_e32 v41, 60
	v_lshlrev_b32_e32 v38, 20, v38
	v_and_b32_e32 v40, 0x80000000, v40
	v_lshl_add_u32 v39, v39, 23, v41
	v_or3_b32 v38, v40, v39, v38
	v_lshrrev_b32_e32 v39, 16, v38
.LBB714_26:
	s_or_b64 exec, exec, s[22:23]
.LBB714_27:
	s_or_b64 exec, exec, s[20:21]
.LBB714_28:
	s_or_b64 exec, exec, s[10:11]
	s_movk_i32 s2, 0xff
	v_and_b32_sdwa v40, v34, s2 dst_sel:DWORD dst_unused:UNUSED_PAD src0_sel:WORD_1 src1_sel:DWORD
	v_lshrrev_b32_e32 v38, 16, v34
	v_cmp_ne_u16_e64 s[2:3], 0, v40
	v_mov_b32_e32 v41, 0
	v_mov_b32_e32 v47, 0
	s_and_saveexec_b64 s[10:11], s[2:3]
	s_cbranch_execz .LBB714_34
; %bb.29:
	s_movk_i32 s2, 0x80
	v_cmp_ne_u16_e64 s[2:3], s2, v40
	v_mov_b32_e32 v47, 0xffff8000
	s_and_saveexec_b64 s[20:21], s[2:3]
	s_cbranch_execz .LBB714_33
; %bb.30:
	v_bfe_u32 v40, v34, 16, 7
	s_movk_i32 s2, 0x7f
	v_cmp_ne_u32_e64 s[2:3], s2, v40
	v_mov_b32_e32 v47, 0x7f80
	s_and_saveexec_b64 s[22:23], s[2:3]
	s_cbranch_execz .LBB714_32
; %bb.31:
	v_and_b32_e32 v47, 7, v38
	v_ffbh_u32_e32 v48, v47
	v_min_u32_e32 v51, 32, v48
	v_subrev_u32_e32 v48, 28, v51
	v_lshlrev_b64 v[48:49], v48, v[38:39]
	v_and_b32_e32 v48, 7, v48
	v_cmp_gt_u32_e64 s[2:3], 8, v40
	v_lshrrev_b32_e32 v50, 3, v40
	v_sub_u32_e32 v38, 29, v51
	v_cndmask_b32_e64 v40, v47, v48, s[2:3]
	v_mov_b32_e32 v47, 24
	v_cndmask_b32_e64 v38, v50, v38, s[2:3]
	v_lshlrev_b32_sdwa v47, v47, v34 dst_sel:DWORD dst_unused:UNUSED_PAD src0_sel:DWORD src1_sel:WORD_1
	v_bfrev_b32_e32 v48, 60
	v_lshlrev_b32_e32 v40, 20, v40
	v_and_b32_e32 v47, 0x80000000, v47
	v_lshl_add_u32 v38, v38, 23, v48
	v_or3_b32 v38, v47, v38, v40
	v_lshrrev_b32_e32 v47, 16, v38
.LBB714_32:
	s_or_b64 exec, exec, s[22:23]
.LBB714_33:
	s_or_b64 exec, exec, s[20:21]
.LBB714_34:
	s_or_b64 exec, exec, s[10:11]
	s_mov_b32 s2, 0xffffff
	v_cmp_lt_u32_e64 s[2:3], s2, v34
	v_mov_b32_e32 v48, 0
	s_and_saveexec_b64 s[10:11], s[2:3]
	s_cbranch_execz .LBB714_40
; %bb.35:
	v_lshrrev_b32_e32 v38, 24, v34
	s_movk_i32 s2, 0x80
	v_cmp_ne_u32_e64 s[2:3], s2, v38
	v_mov_b32_e32 v48, 0xffff8000
	s_and_saveexec_b64 s[20:21], s[2:3]
	s_cbranch_execz .LBB714_39
; %bb.36:
	v_bfe_u32 v40, v34, 24, 7
	s_movk_i32 s2, 0x7f
	v_cmp_ne_u32_e64 s[2:3], s2, v40
	v_mov_b32_e32 v48, 0x7f80
	s_and_saveexec_b64 s[22:23], s[2:3]
	s_cbranch_execz .LBB714_38
; %bb.37:
	v_and_b32_e32 v50, 7, v38
	v_ffbh_u32_e32 v48, v50
	v_min_u32_e32 v52, 32, v48
	v_subrev_u32_e32 v48, 28, v52
	v_lshlrev_b64 v[48:49], v48, v[38:39]
	v_lshrrev_b32_e32 v51, 3, v40
	v_sub_u32_e32 v49, 29, v52
	v_and_b32_e32 v48, 7, v48
	v_cmp_gt_u32_e64 s[2:3], 8, v40
	v_cndmask_b32_e64 v40, v51, v49, s[2:3]
	v_cndmask_b32_e64 v48, v50, v48, s[2:3]
	v_lshlrev_b32_e32 v38, 24, v38
	v_bfrev_b32_e32 v49, 60
	v_lshlrev_b32_e32 v48, 20, v48
	v_and_b32_e32 v38, 0x80000000, v38
	v_lshl_add_u32 v40, v40, 23, v49
	v_or3_b32 v38, v38, v40, v48
	v_lshrrev_b32_e32 v48, 16, v38
.LBB714_38:
	s_or_b64 exec, exec, s[22:23]
.LBB714_39:
	s_or_b64 exec, exec, s[20:21]
.LBB714_40:
	s_or_b64 exec, exec, s[10:11]
	v_mov_b32_e32 v49, 0
	v_mov_b32_e32 v40, v35
	v_cmp_ne_u16_sdwa s[2:3], v35, v49 src0_sel:BYTE_0 src1_sel:DWORD
	v_mov_b32_e32 v50, 0
	s_and_saveexec_b64 s[10:11], s[2:3]
	s_cbranch_execz .LBB714_46
; %bb.41:
	s_movk_i32 s2, 0x80
	v_cmp_ne_u16_sdwa s[2:3], v35, s2 src0_sel:BYTE_0 src1_sel:DWORD
	v_mov_b32_e32 v50, 0xffff8000
	s_and_saveexec_b64 s[20:21], s[2:3]
	s_cbranch_execz .LBB714_45
; %bb.42:
	s_movk_i32 s2, 0x7f
	v_and_b32_e32 v38, 0x7f, v35
	v_cmp_ne_u32_e64 s[2:3], s2, v38
	v_mov_b32_e32 v50, 0x7f80
	s_and_saveexec_b64 s[22:23], s[2:3]
	s_cbranch_execz .LBB714_44
; %bb.43:
	v_and_b32_e32 v50, 7, v35
	v_ffbh_u32_e32 v50, v50
	v_min_u32_e32 v50, 32, v50
	v_lshrrev_b32_e32 v51, 3, v38
	v_subrev_u32_e32 v52, 28, v50
	v_sub_u32_e32 v50, 29, v50
	v_cmp_gt_u32_e64 s[2:3], 8, v38
	v_cndmask_b32_e64 v38, v51, v50, s[2:3]
	v_cndmask_b32_e64 v50, 0, v52, s[2:3]
	v_lshlrev_b64 v[50:51], v50, v[40:41]
	v_lshlrev_b32_e32 v41, 20, v50
	v_lshlrev_b32_e32 v50, 24, v40
	v_bfrev_b32_e32 v51, 60
	v_and_b32_e32 v41, 0x700000, v41
	v_and_b32_e32 v50, 0x80000000, v50
	v_lshl_add_u32 v38, v38, 23, v51
	v_or3_b32 v38, v50, v38, v41
	v_lshrrev_b32_e32 v50, 16, v38
.LBB714_44:
	s_or_b64 exec, exec, s[22:23]
.LBB714_45:
	s_or_b64 exec, exec, s[20:21]
.LBB714_46:
	s_or_b64 exec, exec, s[10:11]
	v_lshrrev_b16_e32 v38, 8, v40
	v_cmp_ne_u16_e64 s[2:3], 0, v38
	s_and_saveexec_b64 s[10:11], s[2:3]
	s_cbranch_execz .LBB714_52
; %bb.47:
	s_movk_i32 s2, 0x80
	v_cmp_ne_u16_e64 s[2:3], s2, v38
	v_mov_b32_e32 v49, 0xffff8000
	s_and_saveexec_b64 s[20:21], s[2:3]
	s_cbranch_execz .LBB714_51
; %bb.48:
	s_movk_i32 s2, 0x7f
	v_and_b32_e32 v41, 0x7f, v38
	v_cmp_ne_u32_e64 s[2:3], s2, v41
	v_mov_b32_e32 v49, 0x7f80
	s_and_saveexec_b64 s[22:23], s[2:3]
	s_cbranch_execz .LBB714_50
; %bb.49:
	v_and_b32_e32 v49, 7, v38
	v_ffbh_u32_e32 v52, v49
	v_min_u32_e32 v54, 32, v52
	v_subrev_u32_e32 v52, 28, v54
	v_lshlrev_b64 v[52:53], v52, v[38:39]
	v_lshrrev_b32_e32 v51, 3, v41
	v_sub_u32_e32 v38, 29, v54
	v_and_b32_e32 v52, 7, v52
	v_cmp_gt_u32_e64 s[2:3], 8, v41
	v_cndmask_b32_e64 v38, v51, v38, s[2:3]
	v_cndmask_b32_e64 v41, v49, v52, s[2:3]
	v_lshlrev_b32_e32 v40, 16, v40
	v_bfrev_b32_e32 v49, 60
	v_lshlrev_b32_e32 v41, 20, v41
	v_and_b32_e32 v40, 0x80000000, v40
	v_lshl_add_u32 v38, v38, 23, v49
	v_or3_b32 v38, v40, v38, v41
	v_lshrrev_b32_e32 v49, 16, v38
.LBB714_50:
	s_or_b64 exec, exec, s[22:23]
.LBB714_51:
	s_or_b64 exec, exec, s[20:21]
.LBB714_52:
	s_or_b64 exec, exec, s[10:11]
	s_movk_i32 s2, 0xff
	v_and_b32_sdwa v51, v35, s2 dst_sel:DWORD dst_unused:UNUSED_PAD src0_sel:WORD_1 src1_sel:DWORD
	v_lshrrev_b32_e32 v38, 16, v35
	v_cmp_ne_u16_e64 s[2:3], 0, v51
	v_mov_b32_e32 v40, 0
	v_mov_b32_e32 v41, 0
	s_and_saveexec_b64 s[10:11], s[2:3]
	s_cbranch_execz .LBB714_58
; %bb.53:
	s_movk_i32 s2, 0x80
	v_cmp_ne_u16_e64 s[2:3], s2, v51
	v_mov_b32_e32 v41, 0xffff8000
	s_and_saveexec_b64 s[20:21], s[2:3]
	s_cbranch_execz .LBB714_57
; %bb.54:
	v_bfe_u32 v51, v35, 16, 7
	s_movk_i32 s2, 0x7f
	v_cmp_ne_u32_e64 s[2:3], s2, v51
	v_mov_b32_e32 v41, 0x7f80
	s_and_saveexec_b64 s[22:23], s[2:3]
	s_cbranch_execz .LBB714_56
; %bb.55:
	v_and_b32_e32 v41, 7, v38
	v_ffbh_u32_e32 v52, v41
	v_min_u32_e32 v55, 32, v52
	v_subrev_u32_e32 v52, 28, v55
	v_lshlrev_b64 v[52:53], v52, v[38:39]
	v_lshrrev_b32_e32 v54, 3, v51
	v_sub_u32_e32 v38, 29, v55
	v_and_b32_e32 v52, 7, v52
	v_cmp_gt_u32_e64 s[2:3], 8, v51
	v_mov_b32_e32 v51, 24
	v_cndmask_b32_e64 v38, v54, v38, s[2:3]
	v_cndmask_b32_e64 v41, v41, v52, s[2:3]
	v_lshlrev_b32_sdwa v51, v51, v35 dst_sel:DWORD dst_unused:UNUSED_PAD src0_sel:DWORD src1_sel:WORD_1
	v_bfrev_b32_e32 v52, 60
	v_lshlrev_b32_e32 v41, 20, v41
	v_and_b32_e32 v51, 0x80000000, v51
	v_lshl_add_u32 v38, v38, 23, v52
	v_or3_b32 v38, v51, v38, v41
	v_lshrrev_b32_e32 v41, 16, v38
.LBB714_56:
	s_or_b64 exec, exec, s[22:23]
.LBB714_57:
	s_or_b64 exec, exec, s[20:21]
.LBB714_58:
	s_or_b64 exec, exec, s[10:11]
	s_mov_b32 s2, -1
	s_mov_b32 s3, 0xffffff
	v_cmp_lt_u64_e64 s[2:3], s[2:3], v[34:35]
	s_and_saveexec_b64 s[10:11], s[2:3]
	s_cbranch_execz .LBB714_64
; %bb.59:
	v_lshrrev_b32_e32 v34, 24, v35
	s_movk_i32 s2, 0x80
	v_cmp_ne_u32_e64 s[2:3], s2, v34
	v_mov_b32_e32 v40, 0xffff8000
	s_and_saveexec_b64 s[20:21], s[2:3]
	s_cbranch_execz .LBB714_63
; %bb.60:
	v_bfe_u32 v35, v35, 24, 7
	s_movk_i32 s2, 0x7f
	v_cmp_ne_u32_e64 s[2:3], s2, v35
	v_mov_b32_e32 v40, 0x7f80
	s_and_saveexec_b64 s[22:23], s[2:3]
	s_cbranch_execz .LBB714_62
; %bb.61:
	v_and_b32_e32 v38, 7, v34
	v_ffbh_u32_e32 v51, v38
	v_min_u32_e32 v51, 32, v51
	v_subrev_u32_e32 v52, 28, v51
	v_lshlrev_b64 v[52:53], v52, v[34:35]
	v_lshrrev_b32_e32 v40, 3, v35
	v_sub_u32_e32 v51, 29, v51
	v_and_b32_e32 v52, 7, v52
	v_cmp_gt_u32_e64 s[2:3], 8, v35
	v_cndmask_b32_e64 v35, v40, v51, s[2:3]
	v_cndmask_b32_e64 v38, v38, v52, s[2:3]
	v_lshlrev_b32_e32 v34, 24, v34
	v_bfrev_b32_e32 v40, 60
	v_lshlrev_b32_e32 v38, 20, v38
	v_and_b32_e32 v34, 0x80000000, v34
	v_lshl_add_u32 v35, v35, 23, v40
	v_or3_b32 v34, v34, v35, v38
	v_lshrrev_b32_e32 v40, 16, v34
.LBB714_62:
	s_or_b64 exec, exec, s[22:23]
.LBB714_63:
	s_or_b64 exec, exec, s[20:21]
.LBB714_64:
	s_or_b64 exec, exec, s[10:11]
	s_mov_b32 s2, 0x5040100
	v_perm_b32 v35, v48, v47, s2
	v_perm_b32 v34, v39, v46, s2
	;; [unrolled: 1-line block ×4, first 2 shown]
	v_mfma_f32_4x4x4bf16_1k a[0:3], v[18:19], v[34:35], 0 cbsz:4
	v_mov_b32_e32 v39, 0
	v_mfma_f32_4x4x4bf16_1k a[0:3], v[20:21], v[40:41], a[0:3] cbsz:4
	v_mov_b32_e32 v40, 0
	v_cmp_ne_u16_sdwa s[2:3], v36, v40 src0_sel:BYTE_0 src1_sel:DWORD
	s_and_saveexec_b64 s[10:11], s[2:3]
	s_cbranch_execz .LBB714_70
; %bb.65:
	s_movk_i32 s2, 0x80
	v_cmp_ne_u16_sdwa s[2:3], v36, s2 src0_sel:BYTE_0 src1_sel:DWORD
	v_mov_b32_e32 v39, 0xffff8000
	s_and_saveexec_b64 s[20:21], s[2:3]
	s_cbranch_execz .LBB714_69
; %bb.66:
	s_movk_i32 s2, 0x7f
	v_and_b32_e32 v34, 0x7f, v36
	v_cmp_ne_u32_e64 s[2:3], s2, v34
	v_mov_b32_e32 v39, 0x7f80
	s_and_saveexec_b64 s[22:23], s[2:3]
	s_cbranch_execz .LBB714_68
; %bb.67:
	v_and_b32_e32 v35, 7, v36
	v_ffbh_u32_e32 v35, v35
	v_min_u32_e32 v35, 32, v35
	v_subrev_u32_e32 v39, 28, v35
	v_cmp_gt_u32_e64 s[2:3], 8, v34
	v_lshrrev_b32_e32 v38, 3, v34
	v_sub_u32_e32 v35, 29, v35
	v_cndmask_b32_e64 v34, 0, v39, s[2:3]
	v_cndmask_b32_e64 v38, v38, v35, s[2:3]
	v_lshlrev_b64 v[34:35], v34, v[36:37]
	v_lshlrev_b32_e32 v34, 20, v34
	v_lshlrev_b32_e32 v35, 24, v36
	v_bfrev_b32_e32 v39, 60
	v_and_b32_e32 v34, 0x700000, v34
	v_and_b32_e32 v35, 0x80000000, v35
	v_lshl_add_u32 v38, v38, 23, v39
	v_or3_b32 v34, v35, v38, v34
	v_lshrrev_b32_e32 v39, 16, v34
.LBB714_68:
	s_or_b64 exec, exec, s[22:23]
.LBB714_69:
	s_or_b64 exec, exec, s[20:21]
.LBB714_70:
	s_or_b64 exec, exec, s[10:11]
	v_lshrrev_b16_e32 v34, 8, v36
	v_cmp_ne_u16_e64 s[2:3], 0, v34
	s_and_saveexec_b64 s[10:11], s[2:3]
	s_cbranch_execz .LBB714_76
; %bb.71:
	s_movk_i32 s2, 0x80
	v_cmp_ne_u16_e64 s[2:3], s2, v34
	v_mov_b32_e32 v40, 0xffff8000
	s_and_saveexec_b64 s[20:21], s[2:3]
	s_cbranch_execz .LBB714_75
; %bb.72:
	s_movk_i32 s2, 0x7f
	v_and_b32_e32 v35, 0x7f, v34
	v_cmp_ne_u32_e64 s[2:3], s2, v35
	v_mov_b32_e32 v40, 0x7f80
	s_and_saveexec_b64 s[22:23], s[2:3]
	s_cbranch_execz .LBB714_74
; %bb.73:
	v_and_b32_e32 v38, 7, v34
	v_ffbh_u32_e32 v40, v38
	v_min_u32_e32 v47, 32, v40
	v_subrev_u32_e32 v40, 28, v47
	v_lshlrev_b64 v[40:41], v40, v[34:35]
	v_lshrrev_b32_e32 v46, 3, v35
	v_sub_u32_e32 v34, 29, v47
	v_and_b32_e32 v40, 7, v40
	v_cmp_gt_u32_e64 s[2:3], 8, v35
	v_cndmask_b32_e64 v34, v46, v34, s[2:3]
	v_cndmask_b32_e64 v35, v38, v40, s[2:3]
	v_lshlrev_b32_e32 v38, 16, v36
	v_bfrev_b32_e32 v40, 60
	v_lshlrev_b32_e32 v35, 20, v35
	v_and_b32_e32 v38, 0x80000000, v38
	v_lshl_add_u32 v34, v34, 23, v40
	v_or3_b32 v34, v38, v34, v35
	v_lshrrev_b32_e32 v40, 16, v34
.LBB714_74:
	s_or_b64 exec, exec, s[22:23]
.LBB714_75:
	s_or_b64 exec, exec, s[20:21]
.LBB714_76:
	s_or_b64 exec, exec, s[10:11]
	s_movk_i32 s2, 0xff
	v_and_b32_sdwa v38, v36, s2 dst_sel:DWORD dst_unused:UNUSED_PAD src0_sel:WORD_1 src1_sel:DWORD
	v_lshrrev_b32_e32 v34, 16, v36
	v_cmp_ne_u16_e64 s[2:3], 0, v38
	v_mov_b32_e32 v35, 0
	v_mov_b32_e32 v41, 0
	s_and_saveexec_b64 s[10:11], s[2:3]
	s_cbranch_execz .LBB714_82
; %bb.77:
	s_movk_i32 s2, 0x80
	v_cmp_ne_u16_e64 s[2:3], s2, v38
	v_mov_b32_e32 v41, 0xffff8000
	s_and_saveexec_b64 s[20:21], s[2:3]
	s_cbranch_execz .LBB714_81
; %bb.78:
	v_bfe_u32 v38, v36, 16, 7
	s_movk_i32 s2, 0x7f
	v_cmp_ne_u32_e64 s[2:3], s2, v38
	v_mov_b32_e32 v41, 0x7f80
	s_and_saveexec_b64 s[22:23], s[2:3]
	s_cbranch_execz .LBB714_80
; %bb.79:
	v_and_b32_e32 v41, 7, v34
	v_ffbh_u32_e32 v46, v41
	v_min_u32_e32 v49, 32, v46
	v_subrev_u32_e32 v46, 28, v49
	v_lshlrev_b64 v[46:47], v46, v[34:35]
	v_and_b32_e32 v46, 7, v46
	v_cmp_gt_u32_e64 s[2:3], 8, v38
	v_lshrrev_b32_e32 v48, 3, v38
	v_sub_u32_e32 v34, 29, v49
	v_cndmask_b32_e64 v38, v41, v46, s[2:3]
	v_mov_b32_e32 v41, 24
	v_cndmask_b32_e64 v34, v48, v34, s[2:3]
	v_lshlrev_b32_sdwa v41, v41, v36 dst_sel:DWORD dst_unused:UNUSED_PAD src0_sel:DWORD src1_sel:WORD_1
	v_bfrev_b32_e32 v46, 60
	v_lshlrev_b32_e32 v38, 20, v38
	v_and_b32_e32 v41, 0x80000000, v41
	v_lshl_add_u32 v34, v34, 23, v46
	v_or3_b32 v34, v41, v34, v38
	v_lshrrev_b32_e32 v41, 16, v34
.LBB714_80:
	s_or_b64 exec, exec, s[22:23]
.LBB714_81:
	s_or_b64 exec, exec, s[20:21]
.LBB714_82:
	s_or_b64 exec, exec, s[10:11]
	s_mov_b32 s2, 0xffffff
	v_cmp_lt_u32_e64 s[2:3], s2, v36
	v_mov_b32_e32 v46, 0
	s_and_saveexec_b64 s[10:11], s[2:3]
	s_cbranch_execz .LBB714_88
; %bb.83:
	v_lshrrev_b32_e32 v34, 24, v36
	s_movk_i32 s2, 0x80
	v_cmp_ne_u32_e64 s[2:3], s2, v34
	v_mov_b32_e32 v46, 0xffff8000
	s_and_saveexec_b64 s[20:21], s[2:3]
	s_cbranch_execz .LBB714_87
; %bb.84:
	v_bfe_u32 v38, v36, 24, 7
	s_movk_i32 s2, 0x7f
	v_cmp_ne_u32_e64 s[2:3], s2, v38
	v_mov_b32_e32 v46, 0x7f80
	s_and_saveexec_b64 s[22:23], s[2:3]
	s_cbranch_execz .LBB714_86
; %bb.85:
	v_and_b32_e32 v48, 7, v34
	v_ffbh_u32_e32 v46, v48
	v_min_u32_e32 v50, 32, v46
	v_subrev_u32_e32 v46, 28, v50
	v_lshlrev_b64 v[46:47], v46, v[34:35]
	v_lshrrev_b32_e32 v49, 3, v38
	v_sub_u32_e32 v47, 29, v50
	v_and_b32_e32 v46, 7, v46
	v_cmp_gt_u32_e64 s[2:3], 8, v38
	v_cndmask_b32_e64 v38, v49, v47, s[2:3]
	v_cndmask_b32_e64 v46, v48, v46, s[2:3]
	v_lshlrev_b32_e32 v34, 24, v34
	v_bfrev_b32_e32 v47, 60
	v_lshlrev_b32_e32 v46, 20, v46
	v_and_b32_e32 v34, 0x80000000, v34
	v_lshl_add_u32 v38, v38, 23, v47
	v_or3_b32 v34, v34, v38, v46
	v_lshrrev_b32_e32 v46, 16, v34
.LBB714_86:
	s_or_b64 exec, exec, s[22:23]
.LBB714_87:
	s_or_b64 exec, exec, s[20:21]
.LBB714_88:
	s_or_b64 exec, exec, s[10:11]
	v_mov_b32_e32 v47, 0
	v_mov_b32_e32 v34, v37
	v_cmp_ne_u16_sdwa s[2:3], v37, v47 src0_sel:BYTE_0 src1_sel:DWORD
	v_mov_b32_e32 v48, 0
	s_and_saveexec_b64 s[10:11], s[2:3]
	s_cbranch_execz .LBB714_94
; %bb.89:
	s_movk_i32 s2, 0x80
	v_cmp_ne_u16_sdwa s[2:3], v37, s2 src0_sel:BYTE_0 src1_sel:DWORD
	v_mov_b32_e32 v48, 0xffff8000
	s_and_saveexec_b64 s[20:21], s[2:3]
	s_cbranch_execz .LBB714_93
; %bb.90:
	s_movk_i32 s2, 0x7f
	v_and_b32_e32 v38, 0x7f, v37
	v_cmp_ne_u32_e64 s[2:3], s2, v38
	v_mov_b32_e32 v48, 0x7f80
	s_and_saveexec_b64 s[22:23], s[2:3]
	s_cbranch_execz .LBB714_92
; %bb.91:
	v_and_b32_e32 v48, 7, v37
	v_ffbh_u32_e32 v48, v48
	v_min_u32_e32 v48, 32, v48
	v_lshrrev_b32_e32 v49, 3, v38
	v_subrev_u32_e32 v50, 28, v48
	v_sub_u32_e32 v48, 29, v48
	v_cmp_gt_u32_e64 s[2:3], 8, v38
	v_cndmask_b32_e64 v38, v49, v48, s[2:3]
	v_cndmask_b32_e64 v48, 0, v50, s[2:3]
	v_lshlrev_b64 v[48:49], v48, v[34:35]
	v_lshlrev_b32_e32 v35, 20, v48
	v_lshlrev_b32_e32 v48, 24, v34
	v_bfrev_b32_e32 v49, 60
	v_and_b32_e32 v35, 0x700000, v35
	v_and_b32_e32 v48, 0x80000000, v48
	v_lshl_add_u32 v38, v38, 23, v49
	v_or3_b32 v35, v48, v38, v35
	v_lshrrev_b32_e32 v48, 16, v35
.LBB714_92:
	s_or_b64 exec, exec, s[22:23]
.LBB714_93:
	s_or_b64 exec, exec, s[20:21]
.LBB714_94:
	s_or_b64 exec, exec, s[10:11]
	v_lshrrev_b16_e32 v38, 8, v34
	v_cmp_ne_u16_e64 s[2:3], 0, v38
	s_and_saveexec_b64 s[10:11], s[2:3]
	s_cbranch_execz .LBB714_100
; %bb.95:
	s_movk_i32 s2, 0x80
	v_cmp_ne_u16_e64 s[2:3], s2, v38
	v_mov_b32_e32 v47, 0xffff8000
	s_and_saveexec_b64 s[20:21], s[2:3]
	s_cbranch_execz .LBB714_99
; %bb.96:
	s_movk_i32 s2, 0x7f
	v_and_b32_e32 v35, 0x7f, v38
	v_cmp_ne_u32_e64 s[2:3], s2, v35
	v_mov_b32_e32 v47, 0x7f80
	s_and_saveexec_b64 s[22:23], s[2:3]
	s_cbranch_execz .LBB714_98
; %bb.97:
	v_and_b32_e32 v47, 7, v38
	v_ffbh_u32_e32 v50, v47
	v_min_u32_e32 v52, 32, v50
	v_subrev_u32_e32 v50, 28, v52
	v_lshlrev_b64 v[50:51], v50, v[38:39]
	v_lshrrev_b32_e32 v49, 3, v35
	v_sub_u32_e32 v38, 29, v52
	v_and_b32_e32 v50, 7, v50
	v_cmp_gt_u32_e64 s[2:3], 8, v35
	v_cndmask_b32_e64 v35, v49, v38, s[2:3]
	v_cndmask_b32_e64 v38, v47, v50, s[2:3]
	v_lshlrev_b32_e32 v34, 16, v34
	v_bfrev_b32_e32 v47, 60
	v_lshlrev_b32_e32 v38, 20, v38
	v_and_b32_e32 v34, 0x80000000, v34
	v_lshl_add_u32 v35, v35, 23, v47
	v_or3_b32 v34, v34, v35, v38
	v_lshrrev_b32_e32 v47, 16, v34
.LBB714_98:
	s_or_b64 exec, exec, s[22:23]
.LBB714_99:
	s_or_b64 exec, exec, s[20:21]
.LBB714_100:
	s_or_b64 exec, exec, s[10:11]
	s_movk_i32 s2, 0xff
	v_and_b32_sdwa v49, v37, s2 dst_sel:DWORD dst_unused:UNUSED_PAD src0_sel:WORD_1 src1_sel:DWORD
	v_lshrrev_b32_e32 v34, 16, v37
	v_cmp_ne_u16_e64 s[2:3], 0, v49
	v_mov_b32_e32 v35, 0
	v_mov_b32_e32 v38, 0
	s_and_saveexec_b64 s[10:11], s[2:3]
	s_cbranch_execz .LBB714_106
; %bb.101:
	s_movk_i32 s2, 0x80
	v_cmp_ne_u16_e64 s[2:3], s2, v49
	v_mov_b32_e32 v38, 0xffff8000
	s_and_saveexec_b64 s[20:21], s[2:3]
	s_cbranch_execz .LBB714_105
; %bb.102:
	v_bfe_u32 v49, v37, 16, 7
	s_movk_i32 s2, 0x7f
	v_cmp_ne_u32_e64 s[2:3], s2, v49
	v_mov_b32_e32 v38, 0x7f80
	s_and_saveexec_b64 s[22:23], s[2:3]
	s_cbranch_execz .LBB714_104
; %bb.103:
	v_and_b32_e32 v38, 7, v34
	v_ffbh_u32_e32 v50, v38
	v_min_u32_e32 v53, 32, v50
	v_subrev_u32_e32 v50, 28, v53
	v_lshlrev_b64 v[50:51], v50, v[34:35]
	v_lshrrev_b32_e32 v52, 3, v49
	v_sub_u32_e32 v34, 29, v53
	v_and_b32_e32 v50, 7, v50
	v_cmp_gt_u32_e64 s[2:3], 8, v49
	v_mov_b32_e32 v49, 24
	v_cndmask_b32_e64 v34, v52, v34, s[2:3]
	v_cndmask_b32_e64 v38, v38, v50, s[2:3]
	v_lshlrev_b32_sdwa v49, v49, v37 dst_sel:DWORD dst_unused:UNUSED_PAD src0_sel:DWORD src1_sel:WORD_1
	v_bfrev_b32_e32 v50, 60
	v_lshlrev_b32_e32 v38, 20, v38
	v_and_b32_e32 v49, 0x80000000, v49
	v_lshl_add_u32 v34, v34, 23, v50
	v_or3_b32 v34, v49, v34, v38
	v_lshrrev_b32_e32 v38, 16, v34
.LBB714_104:
	s_or_b64 exec, exec, s[22:23]
.LBB714_105:
	s_or_b64 exec, exec, s[20:21]
.LBB714_106:
	s_or_b64 exec, exec, s[10:11]
	s_mov_b32 s2, -1
	s_mov_b32 s3, 0xffffff
	v_cmp_lt_u64_e64 s[2:3], s[2:3], v[36:37]
	s_and_saveexec_b64 s[10:11], s[2:3]
	s_cbranch_execz .LBB714_112
; %bb.107:
	v_lshrrev_b32_e32 v34, 24, v37
	s_movk_i32 s2, 0x80
	v_cmp_ne_u32_e64 s[2:3], s2, v34
	v_mov_b32_e32 v35, 0xffff8000
	s_and_saveexec_b64 s[20:21], s[2:3]
	s_cbranch_execz .LBB714_111
; %bb.108:
	v_bfe_u32 v36, v37, 24, 7
	s_movk_i32 s2, 0x7f
	v_cmp_ne_u32_e64 s[2:3], s2, v36
	v_mov_b32_e32 v35, 0x7f80
	s_and_saveexec_b64 s[22:23], s[2:3]
	s_cbranch_execz .LBB714_110
; %bb.109:
	v_and_b32_e32 v35, 7, v34
	v_ffbh_u32_e32 v49, v35
	v_min_u32_e32 v49, 32, v49
	v_subrev_u32_e32 v50, 28, v49
	v_lshlrev_b64 v[50:51], v50, v[34:35]
	v_lshrrev_b32_e32 v37, 3, v36
	v_sub_u32_e32 v49, 29, v49
	v_and_b32_e32 v50, 7, v50
	v_cmp_gt_u32_e64 s[2:3], 8, v36
	v_cndmask_b32_e64 v36, v37, v49, s[2:3]
	v_cndmask_b32_e64 v35, v35, v50, s[2:3]
	v_lshlrev_b32_e32 v34, 24, v34
	v_bfrev_b32_e32 v37, 60
	v_lshlrev_b32_e32 v35, 20, v35
	v_and_b32_e32 v34, 0x80000000, v34
	v_lshl_add_u32 v36, v36, 23, v37
	v_or3_b32 v34, v34, v36, v35
	v_lshrrev_b32_e32 v35, 16, v34
.LBB714_110:
	s_or_b64 exec, exec, s[22:23]
.LBB714_111:
	s_or_b64 exec, exec, s[20:21]
.LBB714_112:
	s_or_b64 exec, exec, s[10:11]
	s_mov_b32 s2, 0x5040100
	v_perm_b32 v37, v46, v41, s2
	v_perm_b32 v36, v40, v39, s2
	;; [unrolled: 1-line block ×4, first 2 shown]
	v_mfma_f32_4x4x4bf16_1k a[0:3], v[18:19], v[36:37], a[0:3] cbsz:4 abid:1
	v_mov_b32_e32 v37, 0
	v_mfma_f32_4x4x4bf16_1k a[0:3], v[20:21], v[34:35], a[0:3] cbsz:4 abid:1
	s_waitcnt vmcnt(6)
	v_cmp_ne_u16_sdwa s[2:3], v30, v37 src0_sel:BYTE_0 src1_sel:DWORD
	v_mov_b32_e32 v38, 0
	s_and_saveexec_b64 s[10:11], s[2:3]
	s_cbranch_execz .LBB714_118
; %bb.113:
	s_movk_i32 s2, 0x80
	v_cmp_ne_u16_sdwa s[2:3], v30, s2 src0_sel:BYTE_0 src1_sel:DWORD
	v_mov_b32_e32 v38, 0xffff8000
	s_and_saveexec_b64 s[20:21], s[2:3]
	s_cbranch_execz .LBB714_117
; %bb.114:
	s_movk_i32 s2, 0x7f
	v_and_b32_e32 v34, 0x7f, v30
	v_cmp_ne_u32_e64 s[2:3], s2, v34
	v_mov_b32_e32 v38, 0x7f80
	s_and_saveexec_b64 s[22:23], s[2:3]
	s_cbranch_execz .LBB714_116
; %bb.115:
	v_and_b32_e32 v35, 7, v30
	v_ffbh_u32_e32 v35, v35
	v_min_u32_e32 v35, 32, v35
	v_subrev_u32_e32 v38, 28, v35
	v_cmp_gt_u32_e64 s[2:3], 8, v34
	v_lshrrev_b32_e32 v36, 3, v34
	v_sub_u32_e32 v35, 29, v35
	v_cndmask_b32_e64 v34, 0, v38, s[2:3]
	v_cndmask_b32_e64 v36, v36, v35, s[2:3]
	v_lshlrev_b64 v[34:35], v34, v[30:31]
	v_lshlrev_b32_e32 v34, 20, v34
	v_lshlrev_b32_e32 v35, 24, v30
	v_bfrev_b32_e32 v38, 60
	v_and_b32_e32 v34, 0x700000, v34
	v_and_b32_e32 v35, 0x80000000, v35
	v_lshl_add_u32 v36, v36, 23, v38
	v_or3_b32 v34, v35, v36, v34
	v_lshrrev_b32_e32 v38, 16, v34
.LBB714_116:
	s_or_b64 exec, exec, s[22:23]
.LBB714_117:
	s_or_b64 exec, exec, s[20:21]
.LBB714_118:
	s_or_b64 exec, exec, s[10:11]
	v_lshrrev_b16_e32 v34, 8, v30
	v_cmp_ne_u16_e64 s[2:3], 0, v34
	s_and_saveexec_b64 s[10:11], s[2:3]
	s_cbranch_execz .LBB714_124
; %bb.119:
	s_movk_i32 s2, 0x80
	v_cmp_ne_u16_e64 s[2:3], s2, v34
	v_mov_b32_e32 v37, 0xffff8000
	s_and_saveexec_b64 s[20:21], s[2:3]
	s_cbranch_execz .LBB714_123
; %bb.120:
	s_movk_i32 s2, 0x7f
	v_and_b32_e32 v35, 0x7f, v34
	v_cmp_ne_u32_e64 s[2:3], s2, v35
	v_mov_b32_e32 v37, 0x7f80
	s_and_saveexec_b64 s[22:23], s[2:3]
	s_cbranch_execz .LBB714_122
; %bb.121:
	v_and_b32_e32 v39, 7, v34
	v_ffbh_u32_e32 v36, v39
	v_min_u32_e32 v41, 32, v36
	v_subrev_u32_e32 v36, 28, v41
	v_lshlrev_b64 v[36:37], v36, v[34:35]
	v_lshrrev_b32_e32 v40, 3, v35
	v_sub_u32_e32 v34, 29, v41
	v_and_b32_e32 v36, 7, v36
	v_cmp_gt_u32_e64 s[2:3], 8, v35
	v_cndmask_b32_e64 v34, v40, v34, s[2:3]
	v_cndmask_b32_e64 v35, v39, v36, s[2:3]
	v_lshlrev_b32_e32 v36, 16, v30
	v_bfrev_b32_e32 v37, 60
	v_lshlrev_b32_e32 v35, 20, v35
	v_and_b32_e32 v36, 0x80000000, v36
	v_lshl_add_u32 v34, v34, 23, v37
	v_or3_b32 v34, v36, v34, v35
	v_lshrrev_b32_e32 v37, 16, v34
.LBB714_122:
	s_or_b64 exec, exec, s[22:23]
.LBB714_123:
	s_or_b64 exec, exec, s[20:21]
.LBB714_124:
	s_or_b64 exec, exec, s[10:11]
	s_movk_i32 s2, 0xff
	v_and_b32_sdwa v36, v30, s2 dst_sel:DWORD dst_unused:UNUSED_PAD src0_sel:WORD_1 src1_sel:DWORD
	v_lshrrev_b32_e32 v34, 16, v30
	v_cmp_ne_u16_e64 s[2:3], 0, v36
	v_mov_b32_e32 v35, 0
	v_mov_b32_e32 v39, 0
	s_and_saveexec_b64 s[10:11], s[2:3]
	s_cbranch_execz .LBB714_130
; %bb.125:
	s_movk_i32 s2, 0x80
	v_cmp_ne_u16_e64 s[2:3], s2, v36
	v_mov_b32_e32 v39, 0xffff8000
	s_and_saveexec_b64 s[20:21], s[2:3]
	s_cbranch_execz .LBB714_129
; %bb.126:
	v_bfe_u32 v36, v30, 16, 7
	s_movk_i32 s2, 0x7f
	v_cmp_ne_u32_e64 s[2:3], s2, v36
	v_mov_b32_e32 v39, 0x7f80
	s_and_saveexec_b64 s[22:23], s[2:3]
	s_cbranch_execz .LBB714_128
; %bb.127:
	v_and_b32_e32 v39, 7, v34
	v_ffbh_u32_e32 v40, v39
	v_min_u32_e32 v47, 32, v40
	v_subrev_u32_e32 v40, 28, v47
	v_lshlrev_b64 v[40:41], v40, v[34:35]
	v_and_b32_e32 v40, 7, v40
	v_cmp_gt_u32_e64 s[2:3], 8, v36
	v_lshrrev_b32_e32 v46, 3, v36
	v_sub_u32_e32 v34, 29, v47
	v_cndmask_b32_e64 v36, v39, v40, s[2:3]
	v_mov_b32_e32 v39, 24
	v_cndmask_b32_e64 v34, v46, v34, s[2:3]
	v_lshlrev_b32_sdwa v39, v39, v30 dst_sel:DWORD dst_unused:UNUSED_PAD src0_sel:DWORD src1_sel:WORD_1
	v_bfrev_b32_e32 v40, 60
	v_lshlrev_b32_e32 v36, 20, v36
	v_and_b32_e32 v39, 0x80000000, v39
	v_lshl_add_u32 v34, v34, 23, v40
	v_or3_b32 v34, v39, v34, v36
	v_lshrrev_b32_e32 v39, 16, v34
.LBB714_128:
	s_or_b64 exec, exec, s[22:23]
.LBB714_129:
	s_or_b64 exec, exec, s[20:21]
.LBB714_130:
	s_or_b64 exec, exec, s[10:11]
	s_mov_b32 s2, 0xffffff
	v_cmp_lt_u32_e64 s[2:3], s2, v30
	v_mov_b32_e32 v40, 0
	s_and_saveexec_b64 s[10:11], s[2:3]
	s_cbranch_execz .LBB714_136
; %bb.131:
	v_lshrrev_b32_e32 v34, 24, v30
	s_movk_i32 s2, 0x80
	v_cmp_ne_u32_e64 s[2:3], s2, v34
	v_mov_b32_e32 v40, 0xffff8000
	s_and_saveexec_b64 s[20:21], s[2:3]
	s_cbranch_execz .LBB714_135
; %bb.132:
	v_bfe_u32 v36, v30, 24, 7
	s_movk_i32 s2, 0x7f
	v_cmp_ne_u32_e64 s[2:3], s2, v36
	v_mov_b32_e32 v40, 0x7f80
	s_and_saveexec_b64 s[22:23], s[2:3]
	s_cbranch_execz .LBB714_134
; %bb.133:
	v_and_b32_e32 v46, 7, v34
	v_ffbh_u32_e32 v40, v46
	v_min_u32_e32 v48, 32, v40
	v_subrev_u32_e32 v40, 28, v48
	v_lshlrev_b64 v[40:41], v40, v[34:35]
	v_lshrrev_b32_e32 v47, 3, v36
	v_sub_u32_e32 v41, 29, v48
	v_and_b32_e32 v40, 7, v40
	v_cmp_gt_u32_e64 s[2:3], 8, v36
	v_cndmask_b32_e64 v36, v47, v41, s[2:3]
	v_cndmask_b32_e64 v40, v46, v40, s[2:3]
	v_lshlrev_b32_e32 v34, 24, v34
	v_bfrev_b32_e32 v41, 60
	v_lshlrev_b32_e32 v40, 20, v40
	v_and_b32_e32 v34, 0x80000000, v34
	v_lshl_add_u32 v36, v36, 23, v41
	v_or3_b32 v34, v34, v36, v40
	v_lshrrev_b32_e32 v40, 16, v34
.LBB714_134:
	s_or_b64 exec, exec, s[22:23]
.LBB714_135:
	s_or_b64 exec, exec, s[20:21]
.LBB714_136:
	s_or_b64 exec, exec, s[10:11]
	v_mov_b32_e32 v41, 0
	v_mov_b32_e32 v34, v31
	v_cmp_ne_u16_sdwa s[2:3], v31, v41 src0_sel:BYTE_0 src1_sel:DWORD
	v_mov_b32_e32 v46, 0
	s_and_saveexec_b64 s[10:11], s[2:3]
	s_cbranch_execz .LBB714_142
; %bb.137:
	s_movk_i32 s2, 0x80
	v_cmp_ne_u16_sdwa s[2:3], v31, s2 src0_sel:BYTE_0 src1_sel:DWORD
	v_mov_b32_e32 v46, 0xffff8000
	s_and_saveexec_b64 s[20:21], s[2:3]
	s_cbranch_execz .LBB714_141
; %bb.138:
	s_movk_i32 s2, 0x7f
	v_and_b32_e32 v36, 0x7f, v31
	v_cmp_ne_u32_e64 s[2:3], s2, v36
	v_mov_b32_e32 v46, 0x7f80
	s_and_saveexec_b64 s[22:23], s[2:3]
	s_cbranch_execz .LBB714_140
; %bb.139:
	v_and_b32_e32 v46, 7, v31
	v_ffbh_u32_e32 v46, v46
	v_min_u32_e32 v46, 32, v46
	v_lshrrev_b32_e32 v47, 3, v36
	v_subrev_u32_e32 v48, 28, v46
	v_sub_u32_e32 v46, 29, v46
	v_cmp_gt_u32_e64 s[2:3], 8, v36
	v_cndmask_b32_e64 v36, v47, v46, s[2:3]
	v_cndmask_b32_e64 v46, 0, v48, s[2:3]
	v_lshlrev_b64 v[46:47], v46, v[34:35]
	v_lshlrev_b32_e32 v35, 20, v46
	v_lshlrev_b32_e32 v46, 24, v34
	v_bfrev_b32_e32 v47, 60
	v_and_b32_e32 v35, 0x700000, v35
	v_and_b32_e32 v46, 0x80000000, v46
	v_lshl_add_u32 v36, v36, 23, v47
	v_or3_b32 v35, v46, v36, v35
	v_lshrrev_b32_e32 v46, 16, v35
.LBB714_140:
	s_or_b64 exec, exec, s[22:23]
.LBB714_141:
	s_or_b64 exec, exec, s[20:21]
.LBB714_142:
	s_or_b64 exec, exec, s[10:11]
	v_lshrrev_b16_e32 v36, 8, v34
	v_cmp_ne_u16_e64 s[2:3], 0, v36
	s_and_saveexec_b64 s[10:11], s[2:3]
	s_cbranch_execz .LBB714_148
; %bb.143:
	s_movk_i32 s2, 0x80
	v_cmp_ne_u16_e64 s[2:3], s2, v36
	v_mov_b32_e32 v41, 0xffff8000
	s_and_saveexec_b64 s[20:21], s[2:3]
	s_cbranch_execz .LBB714_147
; %bb.144:
	s_movk_i32 s2, 0x7f
	v_and_b32_e32 v35, 0x7f, v36
	v_cmp_ne_u32_e64 s[2:3], s2, v35
	v_mov_b32_e32 v41, 0x7f80
	s_and_saveexec_b64 s[22:23], s[2:3]
	s_cbranch_execz .LBB714_146
; %bb.145:
	v_and_b32_e32 v41, 7, v36
	v_ffbh_u32_e32 v48, v41
	v_min_u32_e32 v50, 32, v48
	v_subrev_u32_e32 v48, 28, v50
	v_lshlrev_b64 v[48:49], v48, v[36:37]
	v_lshrrev_b32_e32 v47, 3, v35
	v_sub_u32_e32 v36, 29, v50
	v_and_b32_e32 v48, 7, v48
	v_cmp_gt_u32_e64 s[2:3], 8, v35
	v_cndmask_b32_e64 v35, v47, v36, s[2:3]
	v_cndmask_b32_e64 v36, v41, v48, s[2:3]
	v_lshlrev_b32_e32 v34, 16, v34
	v_bfrev_b32_e32 v41, 60
	v_lshlrev_b32_e32 v36, 20, v36
	v_and_b32_e32 v34, 0x80000000, v34
	v_lshl_add_u32 v35, v35, 23, v41
	v_or3_b32 v34, v34, v35, v36
	v_lshrrev_b32_e32 v41, 16, v34
.LBB714_146:
	s_or_b64 exec, exec, s[22:23]
.LBB714_147:
	s_or_b64 exec, exec, s[20:21]
.LBB714_148:
	s_or_b64 exec, exec, s[10:11]
	s_movk_i32 s2, 0xff
	v_and_b32_sdwa v47, v31, s2 dst_sel:DWORD dst_unused:UNUSED_PAD src0_sel:WORD_1 src1_sel:DWORD
	v_lshrrev_b32_e32 v34, 16, v31
	v_cmp_ne_u16_e64 s[2:3], 0, v47
	v_mov_b32_e32 v35, 0
	v_mov_b32_e32 v36, 0
	s_and_saveexec_b64 s[10:11], s[2:3]
	s_cbranch_execz .LBB714_154
; %bb.149:
	s_movk_i32 s2, 0x80
	v_cmp_ne_u16_e64 s[2:3], s2, v47
	v_mov_b32_e32 v36, 0xffff8000
	s_and_saveexec_b64 s[20:21], s[2:3]
	s_cbranch_execz .LBB714_153
; %bb.150:
	v_bfe_u32 v47, v31, 16, 7
	s_movk_i32 s2, 0x7f
	v_cmp_ne_u32_e64 s[2:3], s2, v47
	v_mov_b32_e32 v36, 0x7f80
	s_and_saveexec_b64 s[22:23], s[2:3]
	s_cbranch_execz .LBB714_152
; %bb.151:
	v_and_b32_e32 v36, 7, v34
	v_ffbh_u32_e32 v48, v36
	v_min_u32_e32 v51, 32, v48
	v_subrev_u32_e32 v48, 28, v51
	v_lshlrev_b64 v[48:49], v48, v[34:35]
	v_lshrrev_b32_e32 v50, 3, v47
	v_sub_u32_e32 v34, 29, v51
	v_and_b32_e32 v48, 7, v48
	v_cmp_gt_u32_e64 s[2:3], 8, v47
	v_mov_b32_e32 v47, 24
	v_cndmask_b32_e64 v34, v50, v34, s[2:3]
	v_cndmask_b32_e64 v36, v36, v48, s[2:3]
	v_lshlrev_b32_sdwa v47, v47, v31 dst_sel:DWORD dst_unused:UNUSED_PAD src0_sel:DWORD src1_sel:WORD_1
	v_bfrev_b32_e32 v48, 60
	v_lshlrev_b32_e32 v36, 20, v36
	v_and_b32_e32 v47, 0x80000000, v47
	v_lshl_add_u32 v34, v34, 23, v48
	v_or3_b32 v34, v47, v34, v36
	v_lshrrev_b32_e32 v36, 16, v34
.LBB714_152:
	s_or_b64 exec, exec, s[22:23]
.LBB714_153:
	s_or_b64 exec, exec, s[20:21]
.LBB714_154:
	s_or_b64 exec, exec, s[10:11]
	s_mov_b32 s2, -1
	s_mov_b32 s3, 0xffffff
	v_cmp_lt_u64_e64 s[2:3], s[2:3], v[30:31]
	s_and_saveexec_b64 s[10:11], s[2:3]
	s_cbranch_execz .LBB714_160
; %bb.155:
	v_lshrrev_b32_e32 v30, 24, v31
	s_movk_i32 s2, 0x80
	v_cmp_ne_u32_e64 s[2:3], s2, v30
	v_mov_b32_e32 v35, 0xffff8000
	s_and_saveexec_b64 s[20:21], s[2:3]
	s_cbranch_execz .LBB714_159
; %bb.156:
	v_bfe_u32 v31, v31, 24, 7
	s_movk_i32 s2, 0x7f
	v_cmp_ne_u32_e64 s[2:3], s2, v31
	v_mov_b32_e32 v35, 0x7f80
	s_and_saveexec_b64 s[22:23], s[2:3]
	s_cbranch_execz .LBB714_158
; %bb.157:
	v_and_b32_e32 v47, 7, v30
	v_ffbh_u32_e32 v34, v47
	v_min_u32_e32 v49, 32, v34
	v_subrev_u32_e32 v34, 28, v49
	v_lshlrev_b64 v[34:35], v34, v[30:31]
	v_lshrrev_b32_e32 v48, 3, v31
	v_sub_u32_e32 v35, 29, v49
	v_and_b32_e32 v34, 7, v34
	v_cmp_gt_u32_e64 s[2:3], 8, v31
	v_cndmask_b32_e64 v31, v48, v35, s[2:3]
	v_cndmask_b32_e64 v34, v47, v34, s[2:3]
	v_lshlrev_b32_e32 v30, 24, v30
	v_bfrev_b32_e32 v35, 60
	v_lshlrev_b32_e32 v34, 20, v34
	v_and_b32_e32 v30, 0x80000000, v30
	v_lshl_add_u32 v31, v31, 23, v35
	v_or3_b32 v30, v30, v31, v34
	v_lshrrev_b32_e32 v35, 16, v30
.LBB714_158:
	s_or_b64 exec, exec, s[22:23]
.LBB714_159:
	s_or_b64 exec, exec, s[20:21]
.LBB714_160:
	s_or_b64 exec, exec, s[10:11]
	s_mov_b32 s2, 0x5040100
	v_perm_b32 v31, v40, v39, s2
	v_perm_b32 v30, v37, v38, s2
	;; [unrolled: 1-line block ×4, first 2 shown]
	v_mfma_f32_4x4x4bf16_1k a[0:3], v[18:19], v[30:31], a[0:3] cbsz:4 abid:2
	v_mov_b32_e32 v36, 0
	v_mfma_f32_4x4x4bf16_1k a[0:3], v[20:21], v[34:35], a[0:3] cbsz:4 abid:2
	v_mov_b32_e32 v35, 0
	v_cmp_ne_u16_sdwa s[2:3], v32, v35 src0_sel:BYTE_0 src1_sel:DWORD
	s_and_saveexec_b64 s[10:11], s[2:3]
	s_cbranch_execz .LBB714_166
; %bb.161:
	s_movk_i32 s2, 0x80
	v_cmp_ne_u16_sdwa s[2:3], v32, s2 src0_sel:BYTE_0 src1_sel:DWORD
	v_mov_b32_e32 v36, 0xffff8000
	s_and_saveexec_b64 s[20:21], s[2:3]
	s_cbranch_execz .LBB714_165
; %bb.162:
	s_movk_i32 s2, 0x7f
	v_and_b32_e32 v30, 0x7f, v32
	v_cmp_ne_u32_e64 s[2:3], s2, v30
	v_mov_b32_e32 v36, 0x7f80
	s_and_saveexec_b64 s[22:23], s[2:3]
	s_cbranch_execz .LBB714_164
; %bb.163:
	v_and_b32_e32 v31, 7, v32
	v_ffbh_u32_e32 v31, v31
	v_min_u32_e32 v31, 32, v31
	v_subrev_u32_e32 v36, 28, v31
	v_cmp_gt_u32_e64 s[2:3], 8, v30
	v_lshrrev_b32_e32 v34, 3, v30
	v_sub_u32_e32 v31, 29, v31
	v_cndmask_b32_e64 v30, 0, v36, s[2:3]
	v_cndmask_b32_e64 v34, v34, v31, s[2:3]
	v_lshlrev_b64 v[30:31], v30, v[32:33]
	v_lshlrev_b32_e32 v30, 20, v30
	v_lshlrev_b32_e32 v31, 24, v32
	v_bfrev_b32_e32 v36, 60
	v_and_b32_e32 v30, 0x700000, v30
	v_and_b32_e32 v31, 0x80000000, v31
	v_lshl_add_u32 v34, v34, 23, v36
	v_or3_b32 v30, v31, v34, v30
	v_lshrrev_b32_e32 v36, 16, v30
.LBB714_164:
	s_or_b64 exec, exec, s[22:23]
.LBB714_165:
	s_or_b64 exec, exec, s[20:21]
.LBB714_166:
	s_or_b64 exec, exec, s[10:11]
	v_lshrrev_b16_e32 v30, 8, v32
	v_cmp_ne_u16_e64 s[2:3], 0, v30
	s_and_saveexec_b64 s[10:11], s[2:3]
	s_cbranch_execz .LBB714_172
; %bb.167:
	s_movk_i32 s2, 0x80
	v_cmp_ne_u16_e64 s[2:3], s2, v30
	v_mov_b32_e32 v35, 0xffff8000
	s_and_saveexec_b64 s[20:21], s[2:3]
	s_cbranch_execz .LBB714_171
; %bb.168:
	s_movk_i32 s2, 0x7f
	v_and_b32_e32 v31, 0x7f, v30
	v_cmp_ne_u32_e64 s[2:3], s2, v31
	v_mov_b32_e32 v35, 0x7f80
	s_and_saveexec_b64 s[22:23], s[2:3]
	s_cbranch_execz .LBB714_170
; %bb.169:
	v_and_b32_e32 v37, 7, v30
	v_ffbh_u32_e32 v34, v37
	v_min_u32_e32 v39, 32, v34
	v_subrev_u32_e32 v34, 28, v39
	v_lshlrev_b64 v[34:35], v34, v[30:31]
	v_lshrrev_b32_e32 v38, 3, v31
	v_sub_u32_e32 v30, 29, v39
	v_and_b32_e32 v34, 7, v34
	v_cmp_gt_u32_e64 s[2:3], 8, v31
	v_cndmask_b32_e64 v30, v38, v30, s[2:3]
	v_cndmask_b32_e64 v31, v37, v34, s[2:3]
	v_lshlrev_b32_e32 v34, 16, v32
	v_bfrev_b32_e32 v35, 60
	v_lshlrev_b32_e32 v31, 20, v31
	v_and_b32_e32 v34, 0x80000000, v34
	v_lshl_add_u32 v30, v30, 23, v35
	v_or3_b32 v30, v34, v30, v31
	v_lshrrev_b32_e32 v35, 16, v30
.LBB714_170:
	s_or_b64 exec, exec, s[22:23]
.LBB714_171:
	s_or_b64 exec, exec, s[20:21]
.LBB714_172:
	s_or_b64 exec, exec, s[10:11]
	s_movk_i32 s2, 0xff
	v_and_b32_sdwa v34, v32, s2 dst_sel:DWORD dst_unused:UNUSED_PAD src0_sel:WORD_1 src1_sel:DWORD
	v_lshrrev_b32_e32 v30, 16, v32
	v_cmp_ne_u16_e64 s[2:3], 0, v34
	v_mov_b32_e32 v31, 0
	v_mov_b32_e32 v37, 0
	s_and_saveexec_b64 s[10:11], s[2:3]
	s_cbranch_execz .LBB714_178
; %bb.173:
	s_movk_i32 s2, 0x80
	v_cmp_ne_u16_e64 s[2:3], s2, v34
	v_mov_b32_e32 v37, 0xffff8000
	s_and_saveexec_b64 s[20:21], s[2:3]
	s_cbranch_execz .LBB714_177
; %bb.174:
	v_bfe_u32 v34, v32, 16, 7
	s_movk_i32 s2, 0x7f
	v_cmp_ne_u32_e64 s[2:3], s2, v34
	v_mov_b32_e32 v37, 0x7f80
	s_and_saveexec_b64 s[22:23], s[2:3]
	s_cbranch_execz .LBB714_176
; %bb.175:
	v_and_b32_e32 v37, 7, v30
	v_ffbh_u32_e32 v38, v37
	v_min_u32_e32 v41, 32, v38
	v_subrev_u32_e32 v38, 28, v41
	v_lshlrev_b64 v[38:39], v38, v[30:31]
	v_and_b32_e32 v38, 7, v38
	v_cmp_gt_u32_e64 s[2:3], 8, v34
	v_lshrrev_b32_e32 v40, 3, v34
	v_sub_u32_e32 v30, 29, v41
	v_cndmask_b32_e64 v34, v37, v38, s[2:3]
	v_mov_b32_e32 v37, 24
	v_cndmask_b32_e64 v30, v40, v30, s[2:3]
	v_lshlrev_b32_sdwa v37, v37, v32 dst_sel:DWORD dst_unused:UNUSED_PAD src0_sel:DWORD src1_sel:WORD_1
	v_bfrev_b32_e32 v38, 60
	v_lshlrev_b32_e32 v34, 20, v34
	v_and_b32_e32 v37, 0x80000000, v37
	v_lshl_add_u32 v30, v30, 23, v38
	v_or3_b32 v30, v37, v30, v34
	v_lshrrev_b32_e32 v37, 16, v30
.LBB714_176:
	s_or_b64 exec, exec, s[22:23]
.LBB714_177:
	s_or_b64 exec, exec, s[20:21]
.LBB714_178:
	s_or_b64 exec, exec, s[10:11]
	s_mov_b32 s2, 0xffffff
	v_cmp_lt_u32_e64 s[2:3], s2, v32
	v_mov_b32_e32 v38, 0
	s_and_saveexec_b64 s[10:11], s[2:3]
	s_cbranch_execz .LBB714_184
; %bb.179:
	v_lshrrev_b32_e32 v30, 24, v32
	s_movk_i32 s2, 0x80
	v_cmp_ne_u32_e64 s[2:3], s2, v30
	v_mov_b32_e32 v38, 0xffff8000
	s_and_saveexec_b64 s[20:21], s[2:3]
	s_cbranch_execz .LBB714_183
; %bb.180:
	v_bfe_u32 v34, v32, 24, 7
	s_movk_i32 s2, 0x7f
	v_cmp_ne_u32_e64 s[2:3], s2, v34
	v_mov_b32_e32 v38, 0x7f80
	s_and_saveexec_b64 s[22:23], s[2:3]
	s_cbranch_execz .LBB714_182
; %bb.181:
	v_and_b32_e32 v40, 7, v30
	v_ffbh_u32_e32 v38, v40
	v_min_u32_e32 v46, 32, v38
	v_subrev_u32_e32 v38, 28, v46
	v_lshlrev_b64 v[38:39], v38, v[30:31]
	v_lshrrev_b32_e32 v41, 3, v34
	v_sub_u32_e32 v39, 29, v46
	v_and_b32_e32 v38, 7, v38
	v_cmp_gt_u32_e64 s[2:3], 8, v34
	v_cndmask_b32_e64 v34, v41, v39, s[2:3]
	v_cndmask_b32_e64 v38, v40, v38, s[2:3]
	v_lshlrev_b32_e32 v30, 24, v30
	v_bfrev_b32_e32 v39, 60
	v_lshlrev_b32_e32 v38, 20, v38
	v_and_b32_e32 v30, 0x80000000, v30
	v_lshl_add_u32 v34, v34, 23, v39
	v_or3_b32 v30, v30, v34, v38
	v_lshrrev_b32_e32 v38, 16, v30
.LBB714_182:
	s_or_b64 exec, exec, s[22:23]
.LBB714_183:
	s_or_b64 exec, exec, s[20:21]
.LBB714_184:
	s_or_b64 exec, exec, s[10:11]
	v_mov_b32_e32 v39, 0
	v_mov_b32_e32 v30, v33
	v_cmp_ne_u16_sdwa s[2:3], v33, v39 src0_sel:BYTE_0 src1_sel:DWORD
	v_mov_b32_e32 v40, 0
	s_and_saveexec_b64 s[10:11], s[2:3]
	s_cbranch_execz .LBB714_190
; %bb.185:
	s_movk_i32 s2, 0x80
	v_cmp_ne_u16_sdwa s[2:3], v33, s2 src0_sel:BYTE_0 src1_sel:DWORD
	v_mov_b32_e32 v40, 0xffff8000
	s_and_saveexec_b64 s[20:21], s[2:3]
	s_cbranch_execz .LBB714_189
; %bb.186:
	s_movk_i32 s2, 0x7f
	v_and_b32_e32 v34, 0x7f, v33
	v_cmp_ne_u32_e64 s[2:3], s2, v34
	v_mov_b32_e32 v40, 0x7f80
	s_and_saveexec_b64 s[22:23], s[2:3]
	s_cbranch_execz .LBB714_188
; %bb.187:
	v_and_b32_e32 v40, 7, v33
	v_ffbh_u32_e32 v40, v40
	v_min_u32_e32 v40, 32, v40
	v_lshrrev_b32_e32 v41, 3, v34
	v_subrev_u32_e32 v46, 28, v40
	v_sub_u32_e32 v40, 29, v40
	v_cmp_gt_u32_e64 s[2:3], 8, v34
	v_cndmask_b32_e64 v34, v41, v40, s[2:3]
	v_cndmask_b32_e64 v40, 0, v46, s[2:3]
	v_lshlrev_b64 v[40:41], v40, v[30:31]
	v_lshlrev_b32_e32 v31, 20, v40
	v_lshlrev_b32_e32 v40, 24, v30
	v_bfrev_b32_e32 v41, 60
	v_and_b32_e32 v31, 0x700000, v31
	v_and_b32_e32 v40, 0x80000000, v40
	v_lshl_add_u32 v34, v34, 23, v41
	v_or3_b32 v31, v40, v34, v31
	v_lshrrev_b32_e32 v40, 16, v31
.LBB714_188:
	s_or_b64 exec, exec, s[22:23]
.LBB714_189:
	s_or_b64 exec, exec, s[20:21]
.LBB714_190:
	s_or_b64 exec, exec, s[10:11]
	v_lshrrev_b16_e32 v34, 8, v30
	v_cmp_ne_u16_e64 s[2:3], 0, v34
	s_and_saveexec_b64 s[10:11], s[2:3]
	s_cbranch_execz .LBB714_196
; %bb.191:
	s_movk_i32 s2, 0x80
	v_cmp_ne_u16_e64 s[2:3], s2, v34
	v_mov_b32_e32 v39, 0xffff8000
	s_and_saveexec_b64 s[20:21], s[2:3]
	s_cbranch_execz .LBB714_195
; %bb.192:
	s_movk_i32 s2, 0x7f
	v_and_b32_e32 v31, 0x7f, v34
	v_cmp_ne_u32_e64 s[2:3], s2, v31
	v_mov_b32_e32 v39, 0x7f80
	s_and_saveexec_b64 s[22:23], s[2:3]
	s_cbranch_execz .LBB714_194
; %bb.193:
	v_and_b32_e32 v39, 7, v34
	v_ffbh_u32_e32 v46, v39
	v_min_u32_e32 v48, 32, v46
	v_subrev_u32_e32 v46, 28, v48
	v_lshlrev_b64 v[46:47], v46, v[34:35]
	v_lshrrev_b32_e32 v41, 3, v31
	v_sub_u32_e32 v34, 29, v48
	v_and_b32_e32 v46, 7, v46
	v_cmp_gt_u32_e64 s[2:3], 8, v31
	v_cndmask_b32_e64 v31, v41, v34, s[2:3]
	v_cndmask_b32_e64 v34, v39, v46, s[2:3]
	v_lshlrev_b32_e32 v30, 16, v30
	v_bfrev_b32_e32 v39, 60
	v_lshlrev_b32_e32 v34, 20, v34
	v_and_b32_e32 v30, 0x80000000, v30
	v_lshl_add_u32 v31, v31, 23, v39
	v_or3_b32 v30, v30, v31, v34
	v_lshrrev_b32_e32 v39, 16, v30
.LBB714_194:
	s_or_b64 exec, exec, s[22:23]
.LBB714_195:
	s_or_b64 exec, exec, s[20:21]
.LBB714_196:
	s_or_b64 exec, exec, s[10:11]
	s_movk_i32 s2, 0xff
	v_and_b32_sdwa v41, v33, s2 dst_sel:DWORD dst_unused:UNUSED_PAD src0_sel:WORD_1 src1_sel:DWORD
	v_lshrrev_b32_e32 v30, 16, v33
	v_cmp_ne_u16_e64 s[2:3], 0, v41
	v_mov_b32_e32 v31, 0
	v_mov_b32_e32 v34, 0
	s_and_saveexec_b64 s[10:11], s[2:3]
	s_cbranch_execz .LBB714_202
; %bb.197:
	s_movk_i32 s2, 0x80
	v_cmp_ne_u16_e64 s[2:3], s2, v41
	v_mov_b32_e32 v34, 0xffff8000
	s_and_saveexec_b64 s[20:21], s[2:3]
	s_cbranch_execz .LBB714_201
; %bb.198:
	v_bfe_u32 v41, v33, 16, 7
	s_movk_i32 s2, 0x7f
	v_cmp_ne_u32_e64 s[2:3], s2, v41
	v_mov_b32_e32 v34, 0x7f80
	s_and_saveexec_b64 s[22:23], s[2:3]
	s_cbranch_execz .LBB714_200
; %bb.199:
	v_and_b32_e32 v34, 7, v30
	v_ffbh_u32_e32 v46, v34
	v_min_u32_e32 v49, 32, v46
	v_subrev_u32_e32 v46, 28, v49
	v_lshlrev_b64 v[46:47], v46, v[30:31]
	v_lshrrev_b32_e32 v48, 3, v41
	v_sub_u32_e32 v30, 29, v49
	v_and_b32_e32 v46, 7, v46
	v_cmp_gt_u32_e64 s[2:3], 8, v41
	v_mov_b32_e32 v41, 24
	v_cndmask_b32_e64 v30, v48, v30, s[2:3]
	v_cndmask_b32_e64 v34, v34, v46, s[2:3]
	v_lshlrev_b32_sdwa v41, v41, v33 dst_sel:DWORD dst_unused:UNUSED_PAD src0_sel:DWORD src1_sel:WORD_1
	v_bfrev_b32_e32 v46, 60
	v_lshlrev_b32_e32 v34, 20, v34
	v_and_b32_e32 v41, 0x80000000, v41
	v_lshl_add_u32 v30, v30, 23, v46
	v_or3_b32 v30, v41, v30, v34
	v_lshrrev_b32_e32 v34, 16, v30
.LBB714_200:
	s_or_b64 exec, exec, s[22:23]
.LBB714_201:
	s_or_b64 exec, exec, s[20:21]
.LBB714_202:
	s_or_b64 exec, exec, s[10:11]
	s_mov_b32 s2, -1
	s_mov_b32 s3, 0xffffff
	v_cmp_lt_u64_e64 s[2:3], s[2:3], v[32:33]
	s_and_saveexec_b64 s[10:11], s[2:3]
	s_cbranch_execz .LBB714_208
; %bb.203:
	v_lshrrev_b32_e32 v30, 24, v33
	s_movk_i32 s2, 0x80
	v_cmp_ne_u32_e64 s[2:3], s2, v30
	v_mov_b32_e32 v31, 0xffff8000
	s_and_saveexec_b64 s[20:21], s[2:3]
	s_cbranch_execz .LBB714_207
; %bb.204:
	v_bfe_u32 v32, v33, 24, 7
	s_movk_i32 s2, 0x7f
	v_cmp_ne_u32_e64 s[2:3], s2, v32
	v_mov_b32_e32 v31, 0x7f80
	s_and_saveexec_b64 s[22:23], s[2:3]
	s_cbranch_execz .LBB714_206
; %bb.205:
	v_and_b32_e32 v31, 7, v30
	v_ffbh_u32_e32 v41, v31
	v_min_u32_e32 v41, 32, v41
	v_subrev_u32_e32 v46, 28, v41
	v_lshlrev_b64 v[46:47], v46, v[30:31]
	v_lshrrev_b32_e32 v33, 3, v32
	v_sub_u32_e32 v41, 29, v41
	v_and_b32_e32 v46, 7, v46
	v_cmp_gt_u32_e64 s[2:3], 8, v32
	v_cndmask_b32_e64 v32, v33, v41, s[2:3]
	v_cndmask_b32_e64 v31, v31, v46, s[2:3]
	v_lshlrev_b32_e32 v30, 24, v30
	v_bfrev_b32_e32 v33, 60
	v_lshlrev_b32_e32 v31, 20, v31
	v_and_b32_e32 v30, 0x80000000, v30
	v_lshl_add_u32 v32, v32, 23, v33
	v_or3_b32 v30, v30, v32, v31
	v_lshrrev_b32_e32 v31, 16, v30
.LBB714_206:
	s_or_b64 exec, exec, s[22:23]
.LBB714_207:
	s_or_b64 exec, exec, s[20:21]
.LBB714_208:
	s_or_b64 exec, exec, s[10:11]
	s_mov_b32 s2, 0x5040100
	v_perm_b32 v33, v38, v37, s2
	v_perm_b32 v32, v35, v36, s2
	;; [unrolled: 1-line block ×4, first 2 shown]
	v_mfma_f32_4x4x4bf16_1k a[0:3], v[18:19], v[32:33], a[0:3] cbsz:4 abid:3
	v_mov_b32_e32 v33, 0
	v_mfma_f32_4x4x4bf16_1k a[0:3], v[20:21], v[30:31], a[0:3] cbsz:4 abid:3
	s_waitcnt vmcnt(5)
	v_cmp_ne_u16_sdwa s[2:3], v26, v33 src0_sel:BYTE_0 src1_sel:DWORD
	v_mov_b32_e32 v34, 0
	s_and_saveexec_b64 s[10:11], s[2:3]
	s_cbranch_execz .LBB714_214
; %bb.209:
	s_movk_i32 s2, 0x80
	v_cmp_ne_u16_sdwa s[2:3], v26, s2 src0_sel:BYTE_0 src1_sel:DWORD
	v_mov_b32_e32 v34, 0xffff8000
	s_and_saveexec_b64 s[20:21], s[2:3]
	s_cbranch_execz .LBB714_213
; %bb.210:
	s_movk_i32 s2, 0x7f
	v_and_b32_e32 v30, 0x7f, v26
	v_cmp_ne_u32_e64 s[2:3], s2, v30
	v_mov_b32_e32 v34, 0x7f80
	s_and_saveexec_b64 s[22:23], s[2:3]
	s_cbranch_execz .LBB714_212
; %bb.211:
	v_and_b32_e32 v31, 7, v26
	v_ffbh_u32_e32 v31, v31
	v_min_u32_e32 v31, 32, v31
	v_subrev_u32_e32 v34, 28, v31
	v_cmp_gt_u32_e64 s[2:3], 8, v30
	v_lshrrev_b32_e32 v32, 3, v30
	v_sub_u32_e32 v31, 29, v31
	v_cndmask_b32_e64 v30, 0, v34, s[2:3]
	v_cndmask_b32_e64 v32, v32, v31, s[2:3]
	v_lshlrev_b64 v[30:31], v30, v[26:27]
	v_lshlrev_b32_e32 v30, 20, v30
	v_lshlrev_b32_e32 v31, 24, v26
	v_bfrev_b32_e32 v34, 60
	v_and_b32_e32 v30, 0x700000, v30
	v_and_b32_e32 v31, 0x80000000, v31
	v_lshl_add_u32 v32, v32, 23, v34
	v_or3_b32 v30, v31, v32, v30
	v_lshrrev_b32_e32 v34, 16, v30
.LBB714_212:
	s_or_b64 exec, exec, s[22:23]
.LBB714_213:
	s_or_b64 exec, exec, s[20:21]
.LBB714_214:
	s_or_b64 exec, exec, s[10:11]
	v_lshrrev_b16_e32 v30, 8, v26
	v_cmp_ne_u16_e64 s[2:3], 0, v30
	s_and_saveexec_b64 s[10:11], s[2:3]
	s_cbranch_execz .LBB714_220
; %bb.215:
	s_movk_i32 s2, 0x80
	v_cmp_ne_u16_e64 s[2:3], s2, v30
	v_mov_b32_e32 v33, 0xffff8000
	s_and_saveexec_b64 s[20:21], s[2:3]
	s_cbranch_execz .LBB714_219
; %bb.216:
	s_movk_i32 s2, 0x7f
	v_and_b32_e32 v31, 0x7f, v30
	v_cmp_ne_u32_e64 s[2:3], s2, v31
	v_mov_b32_e32 v33, 0x7f80
	s_and_saveexec_b64 s[22:23], s[2:3]
	s_cbranch_execz .LBB714_218
; %bb.217:
	v_and_b32_e32 v35, 7, v30
	v_ffbh_u32_e32 v32, v35
	v_min_u32_e32 v37, 32, v32
	v_subrev_u32_e32 v32, 28, v37
	v_lshlrev_b64 v[32:33], v32, v[30:31]
	v_lshrrev_b32_e32 v36, 3, v31
	v_sub_u32_e32 v30, 29, v37
	v_and_b32_e32 v32, 7, v32
	v_cmp_gt_u32_e64 s[2:3], 8, v31
	v_cndmask_b32_e64 v30, v36, v30, s[2:3]
	v_cndmask_b32_e64 v31, v35, v32, s[2:3]
	v_lshlrev_b32_e32 v32, 16, v26
	v_bfrev_b32_e32 v33, 60
	v_lshlrev_b32_e32 v31, 20, v31
	v_and_b32_e32 v32, 0x80000000, v32
	v_lshl_add_u32 v30, v30, 23, v33
	v_or3_b32 v30, v32, v30, v31
	v_lshrrev_b32_e32 v33, 16, v30
.LBB714_218:
	s_or_b64 exec, exec, s[22:23]
.LBB714_219:
	s_or_b64 exec, exec, s[20:21]
.LBB714_220:
	s_or_b64 exec, exec, s[10:11]
	s_movk_i32 s2, 0xff
	v_and_b32_sdwa v32, v26, s2 dst_sel:DWORD dst_unused:UNUSED_PAD src0_sel:WORD_1 src1_sel:DWORD
	v_lshrrev_b32_e32 v30, 16, v26
	v_cmp_ne_u16_e64 s[2:3], 0, v32
	v_mov_b32_e32 v31, 0
	v_mov_b32_e32 v35, 0
	s_and_saveexec_b64 s[10:11], s[2:3]
	s_cbranch_execz .LBB714_226
; %bb.221:
	s_movk_i32 s2, 0x80
	v_cmp_ne_u16_e64 s[2:3], s2, v32
	v_mov_b32_e32 v35, 0xffff8000
	s_and_saveexec_b64 s[20:21], s[2:3]
	s_cbranch_execz .LBB714_225
; %bb.222:
	v_bfe_u32 v32, v26, 16, 7
	s_movk_i32 s2, 0x7f
	v_cmp_ne_u32_e64 s[2:3], s2, v32
	v_mov_b32_e32 v35, 0x7f80
	s_and_saveexec_b64 s[22:23], s[2:3]
	s_cbranch_execz .LBB714_224
; %bb.223:
	v_and_b32_e32 v35, 7, v30
	v_ffbh_u32_e32 v36, v35
	v_min_u32_e32 v39, 32, v36
	v_subrev_u32_e32 v36, 28, v39
	v_lshlrev_b64 v[36:37], v36, v[30:31]
	v_and_b32_e32 v36, 7, v36
	v_cmp_gt_u32_e64 s[2:3], 8, v32
	v_lshrrev_b32_e32 v38, 3, v32
	v_sub_u32_e32 v30, 29, v39
	v_cndmask_b32_e64 v32, v35, v36, s[2:3]
	v_mov_b32_e32 v35, 24
	v_cndmask_b32_e64 v30, v38, v30, s[2:3]
	v_lshlrev_b32_sdwa v35, v35, v26 dst_sel:DWORD dst_unused:UNUSED_PAD src0_sel:DWORD src1_sel:WORD_1
	v_bfrev_b32_e32 v36, 60
	v_lshlrev_b32_e32 v32, 20, v32
	v_and_b32_e32 v35, 0x80000000, v35
	v_lshl_add_u32 v30, v30, 23, v36
	v_or3_b32 v30, v35, v30, v32
	v_lshrrev_b32_e32 v35, 16, v30
.LBB714_224:
	s_or_b64 exec, exec, s[22:23]
.LBB714_225:
	s_or_b64 exec, exec, s[20:21]
.LBB714_226:
	s_or_b64 exec, exec, s[10:11]
	s_mov_b32 s2, 0xffffff
	v_cmp_lt_u32_e64 s[2:3], s2, v26
	v_mov_b32_e32 v36, 0
	s_and_saveexec_b64 s[10:11], s[2:3]
	s_cbranch_execz .LBB714_232
; %bb.227:
	v_lshrrev_b32_e32 v30, 24, v26
	s_movk_i32 s2, 0x80
	v_cmp_ne_u32_e64 s[2:3], s2, v30
	v_mov_b32_e32 v36, 0xffff8000
	s_and_saveexec_b64 s[20:21], s[2:3]
	s_cbranch_execz .LBB714_231
; %bb.228:
	v_bfe_u32 v32, v26, 24, 7
	s_movk_i32 s2, 0x7f
	v_cmp_ne_u32_e64 s[2:3], s2, v32
	v_mov_b32_e32 v36, 0x7f80
	s_and_saveexec_b64 s[22:23], s[2:3]
	s_cbranch_execz .LBB714_230
; %bb.229:
	v_and_b32_e32 v38, 7, v30
	v_ffbh_u32_e32 v36, v38
	v_min_u32_e32 v40, 32, v36
	v_subrev_u32_e32 v36, 28, v40
	v_lshlrev_b64 v[36:37], v36, v[30:31]
	v_lshrrev_b32_e32 v39, 3, v32
	v_sub_u32_e32 v37, 29, v40
	v_and_b32_e32 v36, 7, v36
	v_cmp_gt_u32_e64 s[2:3], 8, v32
	v_cndmask_b32_e64 v32, v39, v37, s[2:3]
	v_cndmask_b32_e64 v36, v38, v36, s[2:3]
	v_lshlrev_b32_e32 v30, 24, v30
	v_bfrev_b32_e32 v37, 60
	v_lshlrev_b32_e32 v36, 20, v36
	v_and_b32_e32 v30, 0x80000000, v30
	v_lshl_add_u32 v32, v32, 23, v37
	v_or3_b32 v30, v30, v32, v36
	v_lshrrev_b32_e32 v36, 16, v30
.LBB714_230:
	s_or_b64 exec, exec, s[22:23]
.LBB714_231:
	s_or_b64 exec, exec, s[20:21]
.LBB714_232:
	s_or_b64 exec, exec, s[10:11]
	v_mov_b32_e32 v37, 0
	v_mov_b32_e32 v30, v27
	v_cmp_ne_u16_sdwa s[2:3], v27, v37 src0_sel:BYTE_0 src1_sel:DWORD
	v_mov_b32_e32 v38, 0
	s_and_saveexec_b64 s[10:11], s[2:3]
	s_cbranch_execz .LBB714_238
; %bb.233:
	s_movk_i32 s2, 0x80
	v_cmp_ne_u16_sdwa s[2:3], v27, s2 src0_sel:BYTE_0 src1_sel:DWORD
	v_mov_b32_e32 v38, 0xffff8000
	s_and_saveexec_b64 s[20:21], s[2:3]
	s_cbranch_execz .LBB714_237
; %bb.234:
	s_movk_i32 s2, 0x7f
	v_and_b32_e32 v32, 0x7f, v27
	v_cmp_ne_u32_e64 s[2:3], s2, v32
	v_mov_b32_e32 v38, 0x7f80
	s_and_saveexec_b64 s[22:23], s[2:3]
	s_cbranch_execz .LBB714_236
; %bb.235:
	v_and_b32_e32 v38, 7, v27
	v_ffbh_u32_e32 v38, v38
	v_min_u32_e32 v38, 32, v38
	v_lshrrev_b32_e32 v39, 3, v32
	v_subrev_u32_e32 v40, 28, v38
	v_sub_u32_e32 v38, 29, v38
	v_cmp_gt_u32_e64 s[2:3], 8, v32
	v_cndmask_b32_e64 v32, v39, v38, s[2:3]
	v_cndmask_b32_e64 v38, 0, v40, s[2:3]
	v_lshlrev_b64 v[38:39], v38, v[30:31]
	v_lshlrev_b32_e32 v31, 20, v38
	v_lshlrev_b32_e32 v38, 24, v30
	v_bfrev_b32_e32 v39, 60
	v_and_b32_e32 v31, 0x700000, v31
	v_and_b32_e32 v38, 0x80000000, v38
	v_lshl_add_u32 v32, v32, 23, v39
	v_or3_b32 v31, v38, v32, v31
	v_lshrrev_b32_e32 v38, 16, v31
.LBB714_236:
	s_or_b64 exec, exec, s[22:23]
.LBB714_237:
	s_or_b64 exec, exec, s[20:21]
.LBB714_238:
	s_or_b64 exec, exec, s[10:11]
	v_lshrrev_b16_e32 v32, 8, v30
	v_cmp_ne_u16_e64 s[2:3], 0, v32
	s_and_saveexec_b64 s[10:11], s[2:3]
	s_cbranch_execz .LBB714_244
; %bb.239:
	s_movk_i32 s2, 0x80
	v_cmp_ne_u16_e64 s[2:3], s2, v32
	v_mov_b32_e32 v37, 0xffff8000
	s_and_saveexec_b64 s[20:21], s[2:3]
	s_cbranch_execz .LBB714_243
; %bb.240:
	s_movk_i32 s2, 0x7f
	v_and_b32_e32 v31, 0x7f, v32
	v_cmp_ne_u32_e64 s[2:3], s2, v31
	v_mov_b32_e32 v37, 0x7f80
	s_and_saveexec_b64 s[22:23], s[2:3]
	s_cbranch_execz .LBB714_242
; %bb.241:
	v_and_b32_e32 v37, 7, v32
	v_ffbh_u32_e32 v40, v37
	v_min_u32_e32 v46, 32, v40
	v_subrev_u32_e32 v40, 28, v46
	v_lshlrev_b64 v[40:41], v40, v[32:33]
	v_lshrrev_b32_e32 v39, 3, v31
	v_sub_u32_e32 v32, 29, v46
	v_and_b32_e32 v40, 7, v40
	v_cmp_gt_u32_e64 s[2:3], 8, v31
	v_cndmask_b32_e64 v31, v39, v32, s[2:3]
	v_cndmask_b32_e64 v32, v37, v40, s[2:3]
	v_lshlrev_b32_e32 v30, 16, v30
	v_bfrev_b32_e32 v37, 60
	v_lshlrev_b32_e32 v32, 20, v32
	v_and_b32_e32 v30, 0x80000000, v30
	v_lshl_add_u32 v31, v31, 23, v37
	v_or3_b32 v30, v30, v31, v32
	v_lshrrev_b32_e32 v37, 16, v30
.LBB714_242:
	s_or_b64 exec, exec, s[22:23]
.LBB714_243:
	s_or_b64 exec, exec, s[20:21]
.LBB714_244:
	s_or_b64 exec, exec, s[10:11]
	s_movk_i32 s2, 0xff
	v_and_b32_sdwa v39, v27, s2 dst_sel:DWORD dst_unused:UNUSED_PAD src0_sel:WORD_1 src1_sel:DWORD
	v_lshrrev_b32_e32 v30, 16, v27
	v_cmp_ne_u16_e64 s[2:3], 0, v39
	v_mov_b32_e32 v31, 0
	v_mov_b32_e32 v32, 0
	s_and_saveexec_b64 s[10:11], s[2:3]
	s_cbranch_execz .LBB714_250
; %bb.245:
	s_movk_i32 s2, 0x80
	v_cmp_ne_u16_e64 s[2:3], s2, v39
	v_mov_b32_e32 v32, 0xffff8000
	s_and_saveexec_b64 s[20:21], s[2:3]
	s_cbranch_execz .LBB714_249
; %bb.246:
	v_bfe_u32 v39, v27, 16, 7
	s_movk_i32 s2, 0x7f
	v_cmp_ne_u32_e64 s[2:3], s2, v39
	v_mov_b32_e32 v32, 0x7f80
	s_and_saveexec_b64 s[22:23], s[2:3]
	s_cbranch_execz .LBB714_248
; %bb.247:
	v_and_b32_e32 v32, 7, v30
	v_ffbh_u32_e32 v40, v32
	v_min_u32_e32 v47, 32, v40
	v_subrev_u32_e32 v40, 28, v47
	v_lshlrev_b64 v[40:41], v40, v[30:31]
	v_lshrrev_b32_e32 v46, 3, v39
	v_sub_u32_e32 v30, 29, v47
	v_and_b32_e32 v40, 7, v40
	v_cmp_gt_u32_e64 s[2:3], 8, v39
	v_mov_b32_e32 v39, 24
	v_cndmask_b32_e64 v30, v46, v30, s[2:3]
	v_cndmask_b32_e64 v32, v32, v40, s[2:3]
	v_lshlrev_b32_sdwa v39, v39, v27 dst_sel:DWORD dst_unused:UNUSED_PAD src0_sel:DWORD src1_sel:WORD_1
	v_bfrev_b32_e32 v40, 60
	v_lshlrev_b32_e32 v32, 20, v32
	v_and_b32_e32 v39, 0x80000000, v39
	v_lshl_add_u32 v30, v30, 23, v40
	v_or3_b32 v30, v39, v30, v32
	v_lshrrev_b32_e32 v32, 16, v30
.LBB714_248:
	s_or_b64 exec, exec, s[22:23]
.LBB714_249:
	s_or_b64 exec, exec, s[20:21]
.LBB714_250:
	s_or_b64 exec, exec, s[10:11]
	s_mov_b32 s2, -1
	s_mov_b32 s3, 0xffffff
	v_cmp_lt_u64_e64 s[2:3], s[2:3], v[26:27]
	s_and_saveexec_b64 s[10:11], s[2:3]
	s_cbranch_execz .LBB714_256
; %bb.251:
	v_lshrrev_b32_e32 v26, 24, v27
	s_movk_i32 s2, 0x80
	v_cmp_ne_u32_e64 s[2:3], s2, v26
	v_mov_b32_e32 v31, 0xffff8000
	s_and_saveexec_b64 s[20:21], s[2:3]
	s_cbranch_execz .LBB714_255
; %bb.252:
	v_bfe_u32 v27, v27, 24, 7
	s_movk_i32 s2, 0x7f
	v_cmp_ne_u32_e64 s[2:3], s2, v27
	v_mov_b32_e32 v31, 0x7f80
	s_and_saveexec_b64 s[22:23], s[2:3]
	s_cbranch_execz .LBB714_254
; %bb.253:
	v_and_b32_e32 v39, 7, v26
	v_ffbh_u32_e32 v30, v39
	v_min_u32_e32 v41, 32, v30
	v_subrev_u32_e32 v30, 28, v41
	v_lshlrev_b64 v[30:31], v30, v[26:27]
	v_lshrrev_b32_e32 v40, 3, v27
	v_sub_u32_e32 v31, 29, v41
	v_and_b32_e32 v30, 7, v30
	v_cmp_gt_u32_e64 s[2:3], 8, v27
	v_cndmask_b32_e64 v27, v40, v31, s[2:3]
	v_cndmask_b32_e64 v30, v39, v30, s[2:3]
	v_lshlrev_b32_e32 v26, 24, v26
	v_bfrev_b32_e32 v31, 60
	v_lshlrev_b32_e32 v30, 20, v30
	v_and_b32_e32 v26, 0x80000000, v26
	v_lshl_add_u32 v27, v27, 23, v31
	v_or3_b32 v26, v26, v27, v30
	v_lshrrev_b32_e32 v31, 16, v26
.LBB714_254:
	s_or_b64 exec, exec, s[22:23]
.LBB714_255:
	s_or_b64 exec, exec, s[20:21]
.LBB714_256:
	s_or_b64 exec, exec, s[10:11]
	s_mov_b32 s2, 0x5040100
	v_perm_b32 v27, v36, v35, s2
	v_perm_b32 v26, v33, v34, s2
	;; [unrolled: 1-line block ×4, first 2 shown]
	v_mfma_f32_4x4x4bf16_1k a[0:3], v[18:19], v[26:27], a[0:3] cbsz:4 abid:4
	v_mov_b32_e32 v32, 0
	v_mfma_f32_4x4x4bf16_1k a[0:3], v[20:21], v[30:31], a[0:3] cbsz:4 abid:4
	v_mov_b32_e32 v31, 0
	v_cmp_ne_u16_sdwa s[2:3], v28, v31 src0_sel:BYTE_0 src1_sel:DWORD
	s_and_saveexec_b64 s[10:11], s[2:3]
	s_cbranch_execz .LBB714_262
; %bb.257:
	s_movk_i32 s2, 0x80
	v_cmp_ne_u16_sdwa s[2:3], v28, s2 src0_sel:BYTE_0 src1_sel:DWORD
	v_mov_b32_e32 v32, 0xffff8000
	s_and_saveexec_b64 s[20:21], s[2:3]
	s_cbranch_execz .LBB714_261
; %bb.258:
	s_movk_i32 s2, 0x7f
	v_and_b32_e32 v26, 0x7f, v28
	v_cmp_ne_u32_e64 s[2:3], s2, v26
	v_mov_b32_e32 v32, 0x7f80
	s_and_saveexec_b64 s[22:23], s[2:3]
	s_cbranch_execz .LBB714_260
; %bb.259:
	v_and_b32_e32 v27, 7, v28
	v_ffbh_u32_e32 v27, v27
	v_min_u32_e32 v27, 32, v27
	v_subrev_u32_e32 v32, 28, v27
	v_cmp_gt_u32_e64 s[2:3], 8, v26
	v_lshrrev_b32_e32 v30, 3, v26
	v_sub_u32_e32 v27, 29, v27
	v_cndmask_b32_e64 v26, 0, v32, s[2:3]
	v_cndmask_b32_e64 v30, v30, v27, s[2:3]
	v_lshlrev_b64 v[26:27], v26, v[28:29]
	v_lshlrev_b32_e32 v26, 20, v26
	v_lshlrev_b32_e32 v27, 24, v28
	v_bfrev_b32_e32 v32, 60
	v_and_b32_e32 v26, 0x700000, v26
	v_and_b32_e32 v27, 0x80000000, v27
	v_lshl_add_u32 v30, v30, 23, v32
	v_or3_b32 v26, v27, v30, v26
	v_lshrrev_b32_e32 v32, 16, v26
.LBB714_260:
	s_or_b64 exec, exec, s[22:23]
.LBB714_261:
	s_or_b64 exec, exec, s[20:21]
.LBB714_262:
	s_or_b64 exec, exec, s[10:11]
	v_lshrrev_b16_e32 v26, 8, v28
	v_cmp_ne_u16_e64 s[2:3], 0, v26
	s_and_saveexec_b64 s[10:11], s[2:3]
	s_cbranch_execz .LBB714_268
; %bb.263:
	s_movk_i32 s2, 0x80
	v_cmp_ne_u16_e64 s[2:3], s2, v26
	v_mov_b32_e32 v31, 0xffff8000
	s_and_saveexec_b64 s[20:21], s[2:3]
	s_cbranch_execz .LBB714_267
; %bb.264:
	s_movk_i32 s2, 0x7f
	v_and_b32_e32 v27, 0x7f, v26
	v_cmp_ne_u32_e64 s[2:3], s2, v27
	v_mov_b32_e32 v31, 0x7f80
	s_and_saveexec_b64 s[22:23], s[2:3]
	s_cbranch_execz .LBB714_266
; %bb.265:
	v_and_b32_e32 v33, 7, v26
	v_ffbh_u32_e32 v30, v33
	v_min_u32_e32 v35, 32, v30
	v_subrev_u32_e32 v30, 28, v35
	v_lshlrev_b64 v[30:31], v30, v[26:27]
	v_lshrrev_b32_e32 v34, 3, v27
	v_sub_u32_e32 v26, 29, v35
	v_and_b32_e32 v30, 7, v30
	v_cmp_gt_u32_e64 s[2:3], 8, v27
	v_cndmask_b32_e64 v26, v34, v26, s[2:3]
	v_cndmask_b32_e64 v27, v33, v30, s[2:3]
	v_lshlrev_b32_e32 v30, 16, v28
	v_bfrev_b32_e32 v31, 60
	v_lshlrev_b32_e32 v27, 20, v27
	v_and_b32_e32 v30, 0x80000000, v30
	v_lshl_add_u32 v26, v26, 23, v31
	v_or3_b32 v26, v30, v26, v27
	v_lshrrev_b32_e32 v31, 16, v26
.LBB714_266:
	s_or_b64 exec, exec, s[22:23]
.LBB714_267:
	s_or_b64 exec, exec, s[20:21]
.LBB714_268:
	s_or_b64 exec, exec, s[10:11]
	s_movk_i32 s2, 0xff
	v_and_b32_sdwa v30, v28, s2 dst_sel:DWORD dst_unused:UNUSED_PAD src0_sel:WORD_1 src1_sel:DWORD
	v_lshrrev_b32_e32 v26, 16, v28
	v_cmp_ne_u16_e64 s[2:3], 0, v30
	v_mov_b32_e32 v27, 0
	v_mov_b32_e32 v33, 0
	s_and_saveexec_b64 s[10:11], s[2:3]
	s_cbranch_execz .LBB714_274
; %bb.269:
	s_movk_i32 s2, 0x80
	v_cmp_ne_u16_e64 s[2:3], s2, v30
	v_mov_b32_e32 v33, 0xffff8000
	s_and_saveexec_b64 s[20:21], s[2:3]
	s_cbranch_execz .LBB714_273
; %bb.270:
	v_bfe_u32 v30, v28, 16, 7
	s_movk_i32 s2, 0x7f
	v_cmp_ne_u32_e64 s[2:3], s2, v30
	v_mov_b32_e32 v33, 0x7f80
	s_and_saveexec_b64 s[22:23], s[2:3]
	s_cbranch_execz .LBB714_272
; %bb.271:
	v_and_b32_e32 v33, 7, v26
	v_ffbh_u32_e32 v34, v33
	v_min_u32_e32 v37, 32, v34
	v_subrev_u32_e32 v34, 28, v37
	v_lshlrev_b64 v[34:35], v34, v[26:27]
	v_and_b32_e32 v34, 7, v34
	v_cmp_gt_u32_e64 s[2:3], 8, v30
	v_lshrrev_b32_e32 v36, 3, v30
	v_sub_u32_e32 v26, 29, v37
	v_cndmask_b32_e64 v30, v33, v34, s[2:3]
	v_mov_b32_e32 v33, 24
	v_cndmask_b32_e64 v26, v36, v26, s[2:3]
	v_lshlrev_b32_sdwa v33, v33, v28 dst_sel:DWORD dst_unused:UNUSED_PAD src0_sel:DWORD src1_sel:WORD_1
	v_bfrev_b32_e32 v34, 60
	v_lshlrev_b32_e32 v30, 20, v30
	v_and_b32_e32 v33, 0x80000000, v33
	v_lshl_add_u32 v26, v26, 23, v34
	v_or3_b32 v26, v33, v26, v30
	v_lshrrev_b32_e32 v33, 16, v26
.LBB714_272:
	s_or_b64 exec, exec, s[22:23]
.LBB714_273:
	s_or_b64 exec, exec, s[20:21]
.LBB714_274:
	s_or_b64 exec, exec, s[10:11]
	s_mov_b32 s2, 0xffffff
	v_cmp_lt_u32_e64 s[2:3], s2, v28
	v_mov_b32_e32 v34, 0
	s_and_saveexec_b64 s[10:11], s[2:3]
	s_cbranch_execz .LBB714_280
; %bb.275:
	v_lshrrev_b32_e32 v26, 24, v28
	s_movk_i32 s2, 0x80
	v_cmp_ne_u32_e64 s[2:3], s2, v26
	v_mov_b32_e32 v34, 0xffff8000
	s_and_saveexec_b64 s[20:21], s[2:3]
	s_cbranch_execz .LBB714_279
; %bb.276:
	v_bfe_u32 v30, v28, 24, 7
	s_movk_i32 s2, 0x7f
	v_cmp_ne_u32_e64 s[2:3], s2, v30
	v_mov_b32_e32 v34, 0x7f80
	s_and_saveexec_b64 s[22:23], s[2:3]
	s_cbranch_execz .LBB714_278
; %bb.277:
	v_and_b32_e32 v36, 7, v26
	v_ffbh_u32_e32 v34, v36
	v_min_u32_e32 v38, 32, v34
	v_subrev_u32_e32 v34, 28, v38
	v_lshlrev_b64 v[34:35], v34, v[26:27]
	v_lshrrev_b32_e32 v37, 3, v30
	v_sub_u32_e32 v35, 29, v38
	v_and_b32_e32 v34, 7, v34
	v_cmp_gt_u32_e64 s[2:3], 8, v30
	v_cndmask_b32_e64 v30, v37, v35, s[2:3]
	v_cndmask_b32_e64 v34, v36, v34, s[2:3]
	v_lshlrev_b32_e32 v26, 24, v26
	v_bfrev_b32_e32 v35, 60
	v_lshlrev_b32_e32 v34, 20, v34
	v_and_b32_e32 v26, 0x80000000, v26
	v_lshl_add_u32 v30, v30, 23, v35
	v_or3_b32 v26, v26, v30, v34
	v_lshrrev_b32_e32 v34, 16, v26
.LBB714_278:
	s_or_b64 exec, exec, s[22:23]
.LBB714_279:
	s_or_b64 exec, exec, s[20:21]
.LBB714_280:
	s_or_b64 exec, exec, s[10:11]
	v_mov_b32_e32 v35, 0
	v_mov_b32_e32 v26, v29
	v_cmp_ne_u16_sdwa s[2:3], v29, v35 src0_sel:BYTE_0 src1_sel:DWORD
	v_mov_b32_e32 v36, 0
	s_and_saveexec_b64 s[10:11], s[2:3]
	s_cbranch_execz .LBB714_286
; %bb.281:
	s_movk_i32 s2, 0x80
	v_cmp_ne_u16_sdwa s[2:3], v29, s2 src0_sel:BYTE_0 src1_sel:DWORD
	v_mov_b32_e32 v36, 0xffff8000
	s_and_saveexec_b64 s[20:21], s[2:3]
	s_cbranch_execz .LBB714_285
; %bb.282:
	s_movk_i32 s2, 0x7f
	v_and_b32_e32 v30, 0x7f, v29
	v_cmp_ne_u32_e64 s[2:3], s2, v30
	v_mov_b32_e32 v36, 0x7f80
	s_and_saveexec_b64 s[22:23], s[2:3]
	s_cbranch_execz .LBB714_284
; %bb.283:
	v_and_b32_e32 v36, 7, v29
	v_ffbh_u32_e32 v36, v36
	v_min_u32_e32 v36, 32, v36
	v_lshrrev_b32_e32 v37, 3, v30
	v_subrev_u32_e32 v38, 28, v36
	v_sub_u32_e32 v36, 29, v36
	v_cmp_gt_u32_e64 s[2:3], 8, v30
	v_cndmask_b32_e64 v30, v37, v36, s[2:3]
	v_cndmask_b32_e64 v36, 0, v38, s[2:3]
	v_lshlrev_b64 v[36:37], v36, v[26:27]
	v_lshlrev_b32_e32 v27, 20, v36
	v_lshlrev_b32_e32 v36, 24, v26
	v_bfrev_b32_e32 v37, 60
	v_and_b32_e32 v27, 0x700000, v27
	v_and_b32_e32 v36, 0x80000000, v36
	v_lshl_add_u32 v30, v30, 23, v37
	v_or3_b32 v27, v36, v30, v27
	v_lshrrev_b32_e32 v36, 16, v27
.LBB714_284:
	s_or_b64 exec, exec, s[22:23]
.LBB714_285:
	s_or_b64 exec, exec, s[20:21]
.LBB714_286:
	s_or_b64 exec, exec, s[10:11]
	v_lshrrev_b16_e32 v30, 8, v26
	v_cmp_ne_u16_e64 s[2:3], 0, v30
	s_and_saveexec_b64 s[10:11], s[2:3]
	s_cbranch_execz .LBB714_292
; %bb.287:
	s_movk_i32 s2, 0x80
	v_cmp_ne_u16_e64 s[2:3], s2, v30
	v_mov_b32_e32 v35, 0xffff8000
	s_and_saveexec_b64 s[20:21], s[2:3]
	s_cbranch_execz .LBB714_291
; %bb.288:
	s_movk_i32 s2, 0x7f
	v_and_b32_e32 v27, 0x7f, v30
	v_cmp_ne_u32_e64 s[2:3], s2, v27
	v_mov_b32_e32 v35, 0x7f80
	s_and_saveexec_b64 s[22:23], s[2:3]
	s_cbranch_execz .LBB714_290
; %bb.289:
	v_and_b32_e32 v35, 7, v30
	v_ffbh_u32_e32 v38, v35
	v_min_u32_e32 v40, 32, v38
	v_subrev_u32_e32 v38, 28, v40
	v_lshlrev_b64 v[38:39], v38, v[30:31]
	v_lshrrev_b32_e32 v37, 3, v27
	v_sub_u32_e32 v30, 29, v40
	v_and_b32_e32 v38, 7, v38
	v_cmp_gt_u32_e64 s[2:3], 8, v27
	v_cndmask_b32_e64 v27, v37, v30, s[2:3]
	v_cndmask_b32_e64 v30, v35, v38, s[2:3]
	v_lshlrev_b32_e32 v26, 16, v26
	v_bfrev_b32_e32 v35, 60
	v_lshlrev_b32_e32 v30, 20, v30
	v_and_b32_e32 v26, 0x80000000, v26
	v_lshl_add_u32 v27, v27, 23, v35
	v_or3_b32 v26, v26, v27, v30
	v_lshrrev_b32_e32 v35, 16, v26
.LBB714_290:
	s_or_b64 exec, exec, s[22:23]
.LBB714_291:
	s_or_b64 exec, exec, s[20:21]
.LBB714_292:
	s_or_b64 exec, exec, s[10:11]
	s_movk_i32 s2, 0xff
	v_and_b32_sdwa v37, v29, s2 dst_sel:DWORD dst_unused:UNUSED_PAD src0_sel:WORD_1 src1_sel:DWORD
	v_lshrrev_b32_e32 v26, 16, v29
	v_cmp_ne_u16_e64 s[2:3], 0, v37
	v_mov_b32_e32 v27, 0
	v_mov_b32_e32 v30, 0
	s_and_saveexec_b64 s[10:11], s[2:3]
	s_cbranch_execz .LBB714_298
; %bb.293:
	s_movk_i32 s2, 0x80
	v_cmp_ne_u16_e64 s[2:3], s2, v37
	v_mov_b32_e32 v30, 0xffff8000
	s_and_saveexec_b64 s[20:21], s[2:3]
	s_cbranch_execz .LBB714_297
; %bb.294:
	v_bfe_u32 v37, v29, 16, 7
	s_movk_i32 s2, 0x7f
	v_cmp_ne_u32_e64 s[2:3], s2, v37
	v_mov_b32_e32 v30, 0x7f80
	s_and_saveexec_b64 s[22:23], s[2:3]
	s_cbranch_execz .LBB714_296
; %bb.295:
	v_and_b32_e32 v30, 7, v26
	v_ffbh_u32_e32 v38, v30
	v_min_u32_e32 v41, 32, v38
	v_subrev_u32_e32 v38, 28, v41
	v_lshlrev_b64 v[38:39], v38, v[26:27]
	v_lshrrev_b32_e32 v40, 3, v37
	v_sub_u32_e32 v26, 29, v41
	v_and_b32_e32 v38, 7, v38
	v_cmp_gt_u32_e64 s[2:3], 8, v37
	v_mov_b32_e32 v37, 24
	v_cndmask_b32_e64 v26, v40, v26, s[2:3]
	v_cndmask_b32_e64 v30, v30, v38, s[2:3]
	v_lshlrev_b32_sdwa v37, v37, v29 dst_sel:DWORD dst_unused:UNUSED_PAD src0_sel:DWORD src1_sel:WORD_1
	v_bfrev_b32_e32 v38, 60
	v_lshlrev_b32_e32 v30, 20, v30
	v_and_b32_e32 v37, 0x80000000, v37
	v_lshl_add_u32 v26, v26, 23, v38
	v_or3_b32 v26, v37, v26, v30
	v_lshrrev_b32_e32 v30, 16, v26
.LBB714_296:
	s_or_b64 exec, exec, s[22:23]
.LBB714_297:
	s_or_b64 exec, exec, s[20:21]
.LBB714_298:
	s_or_b64 exec, exec, s[10:11]
	s_mov_b32 s2, -1
	s_mov_b32 s3, 0xffffff
	v_cmp_lt_u64_e64 s[2:3], s[2:3], v[28:29]
	s_and_saveexec_b64 s[10:11], s[2:3]
	s_cbranch_execz .LBB714_304
; %bb.299:
	v_lshrrev_b32_e32 v26, 24, v29
	s_movk_i32 s2, 0x80
	v_cmp_ne_u32_e64 s[2:3], s2, v26
	v_mov_b32_e32 v27, 0xffff8000
	s_and_saveexec_b64 s[20:21], s[2:3]
	s_cbranch_execz .LBB714_303
; %bb.300:
	v_bfe_u32 v28, v29, 24, 7
	s_movk_i32 s2, 0x7f
	v_cmp_ne_u32_e64 s[2:3], s2, v28
	v_mov_b32_e32 v27, 0x7f80
	s_and_saveexec_b64 s[22:23], s[2:3]
	s_cbranch_execz .LBB714_302
; %bb.301:
	v_and_b32_e32 v27, 7, v26
	v_ffbh_u32_e32 v37, v27
	v_min_u32_e32 v37, 32, v37
	v_subrev_u32_e32 v38, 28, v37
	v_lshlrev_b64 v[38:39], v38, v[26:27]
	v_lshrrev_b32_e32 v29, 3, v28
	v_sub_u32_e32 v37, 29, v37
	v_and_b32_e32 v38, 7, v38
	v_cmp_gt_u32_e64 s[2:3], 8, v28
	v_cndmask_b32_e64 v28, v29, v37, s[2:3]
	v_cndmask_b32_e64 v27, v27, v38, s[2:3]
	v_lshlrev_b32_e32 v26, 24, v26
	v_bfrev_b32_e32 v29, 60
	v_lshlrev_b32_e32 v27, 20, v27
	v_and_b32_e32 v26, 0x80000000, v26
	v_lshl_add_u32 v28, v28, 23, v29
	v_or3_b32 v26, v26, v28, v27
	v_lshrrev_b32_e32 v27, 16, v26
.LBB714_302:
	s_or_b64 exec, exec, s[22:23]
.LBB714_303:
	s_or_b64 exec, exec, s[20:21]
.LBB714_304:
	s_or_b64 exec, exec, s[10:11]
	s_mov_b32 s2, 0x5040100
	v_perm_b32 v29, v34, v33, s2
	v_perm_b32 v28, v31, v32, s2
	;; [unrolled: 1-line block ×4, first 2 shown]
	v_mfma_f32_4x4x4bf16_1k a[0:3], v[18:19], v[28:29], a[0:3] cbsz:4 abid:5
	v_mov_b32_e32 v29, 0
	v_mfma_f32_4x4x4bf16_1k a[0:3], v[20:21], v[26:27], a[0:3] cbsz:4 abid:5
	s_waitcnt vmcnt(4)
	v_cmp_ne_u16_sdwa s[2:3], v22, v29 src0_sel:BYTE_0 src1_sel:DWORD
	v_mov_b32_e32 v30, 0
	s_and_saveexec_b64 s[10:11], s[2:3]
	s_cbranch_execz .LBB714_310
; %bb.305:
	s_movk_i32 s2, 0x80
	v_cmp_ne_u16_sdwa s[2:3], v22, s2 src0_sel:BYTE_0 src1_sel:DWORD
	v_mov_b32_e32 v30, 0xffff8000
	s_and_saveexec_b64 s[20:21], s[2:3]
	s_cbranch_execz .LBB714_309
; %bb.306:
	s_movk_i32 s2, 0x7f
	v_and_b32_e32 v26, 0x7f, v22
	v_cmp_ne_u32_e64 s[2:3], s2, v26
	v_mov_b32_e32 v30, 0x7f80
	s_and_saveexec_b64 s[22:23], s[2:3]
	s_cbranch_execz .LBB714_308
; %bb.307:
	v_and_b32_e32 v27, 7, v22
	v_ffbh_u32_e32 v27, v27
	v_min_u32_e32 v27, 32, v27
	v_subrev_u32_e32 v30, 28, v27
	v_cmp_gt_u32_e64 s[2:3], 8, v26
	v_lshrrev_b32_e32 v28, 3, v26
	v_sub_u32_e32 v27, 29, v27
	v_cndmask_b32_e64 v26, 0, v30, s[2:3]
	v_cndmask_b32_e64 v28, v28, v27, s[2:3]
	v_lshlrev_b64 v[26:27], v26, v[22:23]
	v_lshlrev_b32_e32 v26, 20, v26
	v_lshlrev_b32_e32 v27, 24, v22
	v_bfrev_b32_e32 v30, 60
	v_and_b32_e32 v26, 0x700000, v26
	v_and_b32_e32 v27, 0x80000000, v27
	v_lshl_add_u32 v28, v28, 23, v30
	v_or3_b32 v26, v27, v28, v26
	v_lshrrev_b32_e32 v30, 16, v26
.LBB714_308:
	s_or_b64 exec, exec, s[22:23]
.LBB714_309:
	s_or_b64 exec, exec, s[20:21]
.LBB714_310:
	s_or_b64 exec, exec, s[10:11]
	v_lshrrev_b16_e32 v26, 8, v22
	v_cmp_ne_u16_e64 s[2:3], 0, v26
	s_and_saveexec_b64 s[10:11], s[2:3]
	s_cbranch_execz .LBB714_316
; %bb.311:
	s_movk_i32 s2, 0x80
	v_cmp_ne_u16_e64 s[2:3], s2, v26
	v_mov_b32_e32 v29, 0xffff8000
	s_and_saveexec_b64 s[20:21], s[2:3]
	s_cbranch_execz .LBB714_315
; %bb.312:
	s_movk_i32 s2, 0x7f
	v_and_b32_e32 v27, 0x7f, v26
	v_cmp_ne_u32_e64 s[2:3], s2, v27
	v_mov_b32_e32 v29, 0x7f80
	s_and_saveexec_b64 s[22:23], s[2:3]
	s_cbranch_execz .LBB714_314
; %bb.313:
	v_and_b32_e32 v31, 7, v26
	v_ffbh_u32_e32 v28, v31
	v_min_u32_e32 v33, 32, v28
	v_subrev_u32_e32 v28, 28, v33
	v_lshlrev_b64 v[28:29], v28, v[26:27]
	v_lshrrev_b32_e32 v32, 3, v27
	v_sub_u32_e32 v26, 29, v33
	v_and_b32_e32 v28, 7, v28
	v_cmp_gt_u32_e64 s[2:3], 8, v27
	v_cndmask_b32_e64 v26, v32, v26, s[2:3]
	v_cndmask_b32_e64 v27, v31, v28, s[2:3]
	v_lshlrev_b32_e32 v28, 16, v22
	v_bfrev_b32_e32 v29, 60
	v_lshlrev_b32_e32 v27, 20, v27
	v_and_b32_e32 v28, 0x80000000, v28
	v_lshl_add_u32 v26, v26, 23, v29
	v_or3_b32 v26, v28, v26, v27
	v_lshrrev_b32_e32 v29, 16, v26
.LBB714_314:
	s_or_b64 exec, exec, s[22:23]
.LBB714_315:
	s_or_b64 exec, exec, s[20:21]
.LBB714_316:
	s_or_b64 exec, exec, s[10:11]
	s_movk_i32 s2, 0xff
	v_and_b32_sdwa v28, v22, s2 dst_sel:DWORD dst_unused:UNUSED_PAD src0_sel:WORD_1 src1_sel:DWORD
	v_lshrrev_b32_e32 v26, 16, v22
	v_cmp_ne_u16_e64 s[2:3], 0, v28
	v_mov_b32_e32 v27, 0
	v_mov_b32_e32 v31, 0
	s_and_saveexec_b64 s[10:11], s[2:3]
	s_cbranch_execz .LBB714_322
; %bb.317:
	s_movk_i32 s2, 0x80
	v_cmp_ne_u16_e64 s[2:3], s2, v28
	v_mov_b32_e32 v31, 0xffff8000
	s_and_saveexec_b64 s[20:21], s[2:3]
	s_cbranch_execz .LBB714_321
; %bb.318:
	v_bfe_u32 v28, v22, 16, 7
	s_movk_i32 s2, 0x7f
	v_cmp_ne_u32_e64 s[2:3], s2, v28
	v_mov_b32_e32 v31, 0x7f80
	s_and_saveexec_b64 s[22:23], s[2:3]
	s_cbranch_execz .LBB714_320
; %bb.319:
	v_and_b32_e32 v31, 7, v26
	v_ffbh_u32_e32 v32, v31
	v_min_u32_e32 v35, 32, v32
	v_subrev_u32_e32 v32, 28, v35
	v_lshlrev_b64 v[32:33], v32, v[26:27]
	v_and_b32_e32 v32, 7, v32
	v_cmp_gt_u32_e64 s[2:3], 8, v28
	v_lshrrev_b32_e32 v34, 3, v28
	v_sub_u32_e32 v26, 29, v35
	v_cndmask_b32_e64 v28, v31, v32, s[2:3]
	v_mov_b32_e32 v31, 24
	v_cndmask_b32_e64 v26, v34, v26, s[2:3]
	v_lshlrev_b32_sdwa v31, v31, v22 dst_sel:DWORD dst_unused:UNUSED_PAD src0_sel:DWORD src1_sel:WORD_1
	v_bfrev_b32_e32 v32, 60
	v_lshlrev_b32_e32 v28, 20, v28
	v_and_b32_e32 v31, 0x80000000, v31
	v_lshl_add_u32 v26, v26, 23, v32
	v_or3_b32 v26, v31, v26, v28
	v_lshrrev_b32_e32 v31, 16, v26
.LBB714_320:
	s_or_b64 exec, exec, s[22:23]
.LBB714_321:
	s_or_b64 exec, exec, s[20:21]
.LBB714_322:
	s_or_b64 exec, exec, s[10:11]
	s_mov_b32 s2, 0xffffff
	v_cmp_lt_u32_e64 s[2:3], s2, v22
	v_mov_b32_e32 v32, 0
	s_and_saveexec_b64 s[10:11], s[2:3]
	s_cbranch_execz .LBB714_328
; %bb.323:
	v_lshrrev_b32_e32 v26, 24, v22
	s_movk_i32 s2, 0x80
	v_cmp_ne_u32_e64 s[2:3], s2, v26
	v_mov_b32_e32 v32, 0xffff8000
	s_and_saveexec_b64 s[20:21], s[2:3]
	s_cbranch_execz .LBB714_327
; %bb.324:
	v_bfe_u32 v28, v22, 24, 7
	s_movk_i32 s2, 0x7f
	v_cmp_ne_u32_e64 s[2:3], s2, v28
	v_mov_b32_e32 v32, 0x7f80
	s_and_saveexec_b64 s[22:23], s[2:3]
	s_cbranch_execz .LBB714_326
; %bb.325:
	v_and_b32_e32 v34, 7, v26
	v_ffbh_u32_e32 v32, v34
	v_min_u32_e32 v36, 32, v32
	v_subrev_u32_e32 v32, 28, v36
	v_lshlrev_b64 v[32:33], v32, v[26:27]
	v_lshrrev_b32_e32 v35, 3, v28
	v_sub_u32_e32 v33, 29, v36
	v_and_b32_e32 v32, 7, v32
	v_cmp_gt_u32_e64 s[2:3], 8, v28
	v_cndmask_b32_e64 v28, v35, v33, s[2:3]
	v_cndmask_b32_e64 v32, v34, v32, s[2:3]
	v_lshlrev_b32_e32 v26, 24, v26
	v_bfrev_b32_e32 v33, 60
	v_lshlrev_b32_e32 v32, 20, v32
	v_and_b32_e32 v26, 0x80000000, v26
	v_lshl_add_u32 v28, v28, 23, v33
	v_or3_b32 v26, v26, v28, v32
	v_lshrrev_b32_e32 v32, 16, v26
.LBB714_326:
	s_or_b64 exec, exec, s[22:23]
.LBB714_327:
	s_or_b64 exec, exec, s[20:21]
.LBB714_328:
	s_or_b64 exec, exec, s[10:11]
	v_mov_b32_e32 v33, 0
	v_mov_b32_e32 v26, v23
	v_cmp_ne_u16_sdwa s[2:3], v23, v33 src0_sel:BYTE_0 src1_sel:DWORD
	v_mov_b32_e32 v34, 0
	s_and_saveexec_b64 s[10:11], s[2:3]
	s_cbranch_execz .LBB714_334
; %bb.329:
	s_movk_i32 s2, 0x80
	v_cmp_ne_u16_sdwa s[2:3], v23, s2 src0_sel:BYTE_0 src1_sel:DWORD
	v_mov_b32_e32 v34, 0xffff8000
	s_and_saveexec_b64 s[20:21], s[2:3]
	s_cbranch_execz .LBB714_333
; %bb.330:
	s_movk_i32 s2, 0x7f
	v_and_b32_e32 v28, 0x7f, v23
	v_cmp_ne_u32_e64 s[2:3], s2, v28
	v_mov_b32_e32 v34, 0x7f80
	s_and_saveexec_b64 s[22:23], s[2:3]
	s_cbranch_execz .LBB714_332
; %bb.331:
	v_and_b32_e32 v34, 7, v23
	v_ffbh_u32_e32 v34, v34
	v_min_u32_e32 v34, 32, v34
	v_lshrrev_b32_e32 v35, 3, v28
	v_subrev_u32_e32 v36, 28, v34
	v_sub_u32_e32 v34, 29, v34
	v_cmp_gt_u32_e64 s[2:3], 8, v28
	v_cndmask_b32_e64 v28, v35, v34, s[2:3]
	v_cndmask_b32_e64 v34, 0, v36, s[2:3]
	v_lshlrev_b64 v[34:35], v34, v[26:27]
	v_lshlrev_b32_e32 v27, 20, v34
	v_lshlrev_b32_e32 v34, 24, v26
	v_bfrev_b32_e32 v35, 60
	v_and_b32_e32 v27, 0x700000, v27
	v_and_b32_e32 v34, 0x80000000, v34
	v_lshl_add_u32 v28, v28, 23, v35
	v_or3_b32 v27, v34, v28, v27
	v_lshrrev_b32_e32 v34, 16, v27
.LBB714_332:
	s_or_b64 exec, exec, s[22:23]
.LBB714_333:
	s_or_b64 exec, exec, s[20:21]
.LBB714_334:
	s_or_b64 exec, exec, s[10:11]
	v_lshrrev_b16_e32 v28, 8, v26
	v_cmp_ne_u16_e64 s[2:3], 0, v28
	s_and_saveexec_b64 s[10:11], s[2:3]
	s_cbranch_execz .LBB714_340
; %bb.335:
	s_movk_i32 s2, 0x80
	v_cmp_ne_u16_e64 s[2:3], s2, v28
	v_mov_b32_e32 v33, 0xffff8000
	s_and_saveexec_b64 s[20:21], s[2:3]
	s_cbranch_execz .LBB714_339
; %bb.336:
	s_movk_i32 s2, 0x7f
	v_and_b32_e32 v27, 0x7f, v28
	v_cmp_ne_u32_e64 s[2:3], s2, v27
	v_mov_b32_e32 v33, 0x7f80
	s_and_saveexec_b64 s[22:23], s[2:3]
	s_cbranch_execz .LBB714_338
; %bb.337:
	v_and_b32_e32 v33, 7, v28
	v_ffbh_u32_e32 v36, v33
	v_min_u32_e32 v38, 32, v36
	v_subrev_u32_e32 v36, 28, v38
	v_lshlrev_b64 v[36:37], v36, v[28:29]
	v_lshrrev_b32_e32 v35, 3, v27
	v_sub_u32_e32 v28, 29, v38
	v_and_b32_e32 v36, 7, v36
	v_cmp_gt_u32_e64 s[2:3], 8, v27
	v_cndmask_b32_e64 v27, v35, v28, s[2:3]
	v_cndmask_b32_e64 v28, v33, v36, s[2:3]
	v_lshlrev_b32_e32 v26, 16, v26
	v_bfrev_b32_e32 v33, 60
	v_lshlrev_b32_e32 v28, 20, v28
	v_and_b32_e32 v26, 0x80000000, v26
	v_lshl_add_u32 v27, v27, 23, v33
	v_or3_b32 v26, v26, v27, v28
	v_lshrrev_b32_e32 v33, 16, v26
.LBB714_338:
	s_or_b64 exec, exec, s[22:23]
.LBB714_339:
	s_or_b64 exec, exec, s[20:21]
.LBB714_340:
	s_or_b64 exec, exec, s[10:11]
	s_movk_i32 s2, 0xff
	v_and_b32_sdwa v35, v23, s2 dst_sel:DWORD dst_unused:UNUSED_PAD src0_sel:WORD_1 src1_sel:DWORD
	v_lshrrev_b32_e32 v26, 16, v23
	v_cmp_ne_u16_e64 s[2:3], 0, v35
	v_mov_b32_e32 v27, 0
	v_mov_b32_e32 v28, 0
	s_and_saveexec_b64 s[10:11], s[2:3]
	s_cbranch_execz .LBB714_346
; %bb.341:
	s_movk_i32 s2, 0x80
	v_cmp_ne_u16_e64 s[2:3], s2, v35
	v_mov_b32_e32 v28, 0xffff8000
	s_and_saveexec_b64 s[20:21], s[2:3]
	s_cbranch_execz .LBB714_345
; %bb.342:
	v_bfe_u32 v35, v23, 16, 7
	s_movk_i32 s2, 0x7f
	v_cmp_ne_u32_e64 s[2:3], s2, v35
	v_mov_b32_e32 v28, 0x7f80
	s_and_saveexec_b64 s[22:23], s[2:3]
	s_cbranch_execz .LBB714_344
; %bb.343:
	v_and_b32_e32 v28, 7, v26
	v_ffbh_u32_e32 v36, v28
	v_min_u32_e32 v39, 32, v36
	v_subrev_u32_e32 v36, 28, v39
	v_lshlrev_b64 v[36:37], v36, v[26:27]
	v_lshrrev_b32_e32 v38, 3, v35
	v_sub_u32_e32 v26, 29, v39
	v_and_b32_e32 v36, 7, v36
	v_cmp_gt_u32_e64 s[2:3], 8, v35
	v_mov_b32_e32 v35, 24
	v_cndmask_b32_e64 v26, v38, v26, s[2:3]
	v_cndmask_b32_e64 v28, v28, v36, s[2:3]
	v_lshlrev_b32_sdwa v35, v35, v23 dst_sel:DWORD dst_unused:UNUSED_PAD src0_sel:DWORD src1_sel:WORD_1
	v_bfrev_b32_e32 v36, 60
	v_lshlrev_b32_e32 v28, 20, v28
	v_and_b32_e32 v35, 0x80000000, v35
	v_lshl_add_u32 v26, v26, 23, v36
	v_or3_b32 v26, v35, v26, v28
	v_lshrrev_b32_e32 v28, 16, v26
.LBB714_344:
	s_or_b64 exec, exec, s[22:23]
.LBB714_345:
	s_or_b64 exec, exec, s[20:21]
.LBB714_346:
	s_or_b64 exec, exec, s[10:11]
	s_mov_b32 s2, -1
	s_mov_b32 s3, 0xffffff
	v_cmp_lt_u64_e64 s[2:3], s[2:3], v[22:23]
	s_and_saveexec_b64 s[10:11], s[2:3]
	s_cbranch_execz .LBB714_352
; %bb.347:
	v_lshrrev_b32_e32 v22, 24, v23
	s_movk_i32 s2, 0x80
	v_cmp_ne_u32_e64 s[2:3], s2, v22
	v_mov_b32_e32 v27, 0xffff8000
	s_and_saveexec_b64 s[20:21], s[2:3]
	s_cbranch_execz .LBB714_351
; %bb.348:
	v_bfe_u32 v23, v23, 24, 7
	s_movk_i32 s2, 0x7f
	v_cmp_ne_u32_e64 s[2:3], s2, v23
	v_mov_b32_e32 v27, 0x7f80
	s_and_saveexec_b64 s[22:23], s[2:3]
	s_cbranch_execz .LBB714_350
; %bb.349:
	v_and_b32_e32 v35, 7, v22
	v_ffbh_u32_e32 v26, v35
	v_min_u32_e32 v37, 32, v26
	v_subrev_u32_e32 v26, 28, v37
	v_lshlrev_b64 v[26:27], v26, v[22:23]
	v_lshrrev_b32_e32 v36, 3, v23
	v_sub_u32_e32 v27, 29, v37
	v_and_b32_e32 v26, 7, v26
	v_cmp_gt_u32_e64 s[2:3], 8, v23
	v_cndmask_b32_e64 v23, v36, v27, s[2:3]
	v_cndmask_b32_e64 v26, v35, v26, s[2:3]
	v_lshlrev_b32_e32 v22, 24, v22
	v_bfrev_b32_e32 v27, 60
	v_lshlrev_b32_e32 v26, 20, v26
	v_and_b32_e32 v22, 0x80000000, v22
	v_lshl_add_u32 v23, v23, 23, v27
	v_or3_b32 v22, v22, v23, v26
	v_lshrrev_b32_e32 v27, 16, v22
.LBB714_350:
	s_or_b64 exec, exec, s[22:23]
.LBB714_351:
	s_or_b64 exec, exec, s[20:21]
.LBB714_352:
	s_or_b64 exec, exec, s[10:11]
	s_mov_b32 s2, 0x5040100
	v_perm_b32 v23, v32, v31, s2
	v_perm_b32 v22, v29, v30, s2
	;; [unrolled: 1-line block ×4, first 2 shown]
	v_mfma_f32_4x4x4bf16_1k a[0:3], v[18:19], v[22:23], a[0:3] cbsz:4 abid:6
	v_mov_b32_e32 v28, 0
	v_mfma_f32_4x4x4bf16_1k a[0:3], v[20:21], v[26:27], a[0:3] cbsz:4 abid:6
	v_mov_b32_e32 v27, 0
	v_cmp_ne_u16_sdwa s[2:3], v24, v27 src0_sel:BYTE_0 src1_sel:DWORD
	s_and_saveexec_b64 s[10:11], s[2:3]
	s_cbranch_execz .LBB714_358
; %bb.353:
	s_movk_i32 s2, 0x80
	v_cmp_ne_u16_sdwa s[2:3], v24, s2 src0_sel:BYTE_0 src1_sel:DWORD
	v_mov_b32_e32 v28, 0xffff8000
	s_and_saveexec_b64 s[20:21], s[2:3]
	s_cbranch_execz .LBB714_357
; %bb.354:
	s_movk_i32 s2, 0x7f
	v_and_b32_e32 v22, 0x7f, v24
	v_cmp_ne_u32_e64 s[2:3], s2, v22
	v_mov_b32_e32 v28, 0x7f80
	s_and_saveexec_b64 s[22:23], s[2:3]
	s_cbranch_execz .LBB714_356
; %bb.355:
	v_and_b32_e32 v23, 7, v24
	v_ffbh_u32_e32 v23, v23
	v_min_u32_e32 v23, 32, v23
	v_subrev_u32_e32 v28, 28, v23
	v_cmp_gt_u32_e64 s[2:3], 8, v22
	v_lshrrev_b32_e32 v26, 3, v22
	v_sub_u32_e32 v23, 29, v23
	v_cndmask_b32_e64 v22, 0, v28, s[2:3]
	v_cndmask_b32_e64 v26, v26, v23, s[2:3]
	v_lshlrev_b64 v[22:23], v22, v[24:25]
	v_lshlrev_b32_e32 v22, 20, v22
	v_lshlrev_b32_e32 v23, 24, v24
	v_bfrev_b32_e32 v28, 60
	v_and_b32_e32 v22, 0x700000, v22
	v_and_b32_e32 v23, 0x80000000, v23
	v_lshl_add_u32 v26, v26, 23, v28
	v_or3_b32 v22, v23, v26, v22
	v_lshrrev_b32_e32 v28, 16, v22
.LBB714_356:
	s_or_b64 exec, exec, s[22:23]
.LBB714_357:
	s_or_b64 exec, exec, s[20:21]
.LBB714_358:
	s_or_b64 exec, exec, s[10:11]
	v_lshrrev_b16_e32 v22, 8, v24
	v_cmp_ne_u16_e64 s[2:3], 0, v22
	s_and_saveexec_b64 s[10:11], s[2:3]
	s_cbranch_execz .LBB714_364
; %bb.359:
	s_movk_i32 s2, 0x80
	v_cmp_ne_u16_e64 s[2:3], s2, v22
	v_mov_b32_e32 v27, 0xffff8000
	s_and_saveexec_b64 s[20:21], s[2:3]
	s_cbranch_execz .LBB714_363
; %bb.360:
	s_movk_i32 s2, 0x7f
	v_and_b32_e32 v23, 0x7f, v22
	v_cmp_ne_u32_e64 s[2:3], s2, v23
	v_mov_b32_e32 v27, 0x7f80
	s_and_saveexec_b64 s[22:23], s[2:3]
	s_cbranch_execz .LBB714_362
; %bb.361:
	v_and_b32_e32 v29, 7, v22
	v_ffbh_u32_e32 v26, v29
	v_min_u32_e32 v31, 32, v26
	v_subrev_u32_e32 v26, 28, v31
	v_lshlrev_b64 v[26:27], v26, v[22:23]
	v_lshrrev_b32_e32 v30, 3, v23
	v_sub_u32_e32 v22, 29, v31
	v_and_b32_e32 v26, 7, v26
	v_cmp_gt_u32_e64 s[2:3], 8, v23
	v_cndmask_b32_e64 v22, v30, v22, s[2:3]
	v_cndmask_b32_e64 v23, v29, v26, s[2:3]
	v_lshlrev_b32_e32 v26, 16, v24
	v_bfrev_b32_e32 v27, 60
	v_lshlrev_b32_e32 v23, 20, v23
	v_and_b32_e32 v26, 0x80000000, v26
	v_lshl_add_u32 v22, v22, 23, v27
	v_or3_b32 v22, v26, v22, v23
	v_lshrrev_b32_e32 v27, 16, v22
.LBB714_362:
	s_or_b64 exec, exec, s[22:23]
.LBB714_363:
	s_or_b64 exec, exec, s[20:21]
.LBB714_364:
	s_or_b64 exec, exec, s[10:11]
	s_movk_i32 s2, 0xff
	v_and_b32_sdwa v26, v24, s2 dst_sel:DWORD dst_unused:UNUSED_PAD src0_sel:WORD_1 src1_sel:DWORD
	v_lshrrev_b32_e32 v22, 16, v24
	v_cmp_ne_u16_e64 s[2:3], 0, v26
	v_mov_b32_e32 v23, 0
	v_mov_b32_e32 v29, 0
	s_and_saveexec_b64 s[10:11], s[2:3]
	s_cbranch_execz .LBB714_370
; %bb.365:
	s_movk_i32 s2, 0x80
	v_cmp_ne_u16_e64 s[2:3], s2, v26
	v_mov_b32_e32 v29, 0xffff8000
	s_and_saveexec_b64 s[20:21], s[2:3]
	s_cbranch_execz .LBB714_369
; %bb.366:
	v_bfe_u32 v26, v24, 16, 7
	s_movk_i32 s2, 0x7f
	v_cmp_ne_u32_e64 s[2:3], s2, v26
	v_mov_b32_e32 v29, 0x7f80
	s_and_saveexec_b64 s[22:23], s[2:3]
	s_cbranch_execz .LBB714_368
; %bb.367:
	v_and_b32_e32 v29, 7, v22
	v_ffbh_u32_e32 v30, v29
	v_min_u32_e32 v33, 32, v30
	v_subrev_u32_e32 v30, 28, v33
	v_lshlrev_b64 v[30:31], v30, v[22:23]
	v_and_b32_e32 v30, 7, v30
	v_cmp_gt_u32_e64 s[2:3], 8, v26
	v_lshrrev_b32_e32 v32, 3, v26
	v_sub_u32_e32 v22, 29, v33
	v_cndmask_b32_e64 v26, v29, v30, s[2:3]
	v_mov_b32_e32 v29, 24
	v_cndmask_b32_e64 v22, v32, v22, s[2:3]
	v_lshlrev_b32_sdwa v29, v29, v24 dst_sel:DWORD dst_unused:UNUSED_PAD src0_sel:DWORD src1_sel:WORD_1
	v_bfrev_b32_e32 v30, 60
	v_lshlrev_b32_e32 v26, 20, v26
	v_and_b32_e32 v29, 0x80000000, v29
	v_lshl_add_u32 v22, v22, 23, v30
	v_or3_b32 v22, v29, v22, v26
	v_lshrrev_b32_e32 v29, 16, v22
.LBB714_368:
	s_or_b64 exec, exec, s[22:23]
.LBB714_369:
	s_or_b64 exec, exec, s[20:21]
.LBB714_370:
	s_or_b64 exec, exec, s[10:11]
	s_mov_b32 s2, 0xffffff
	v_cmp_lt_u32_e64 s[2:3], s2, v24
	v_mov_b32_e32 v30, 0
	s_and_saveexec_b64 s[10:11], s[2:3]
	s_cbranch_execz .LBB714_376
; %bb.371:
	v_lshrrev_b32_e32 v22, 24, v24
	s_movk_i32 s2, 0x80
	v_cmp_ne_u32_e64 s[2:3], s2, v22
	v_mov_b32_e32 v30, 0xffff8000
	s_and_saveexec_b64 s[20:21], s[2:3]
	s_cbranch_execz .LBB714_375
; %bb.372:
	v_bfe_u32 v26, v24, 24, 7
	s_movk_i32 s2, 0x7f
	v_cmp_ne_u32_e64 s[2:3], s2, v26
	v_mov_b32_e32 v30, 0x7f80
	s_and_saveexec_b64 s[22:23], s[2:3]
	s_cbranch_execz .LBB714_374
; %bb.373:
	v_and_b32_e32 v32, 7, v22
	v_ffbh_u32_e32 v30, v32
	v_min_u32_e32 v34, 32, v30
	v_subrev_u32_e32 v30, 28, v34
	v_lshlrev_b64 v[30:31], v30, v[22:23]
	v_lshrrev_b32_e32 v33, 3, v26
	v_sub_u32_e32 v31, 29, v34
	v_and_b32_e32 v30, 7, v30
	v_cmp_gt_u32_e64 s[2:3], 8, v26
	v_cndmask_b32_e64 v26, v33, v31, s[2:3]
	v_cndmask_b32_e64 v30, v32, v30, s[2:3]
	v_lshlrev_b32_e32 v22, 24, v22
	v_bfrev_b32_e32 v31, 60
	v_lshlrev_b32_e32 v30, 20, v30
	v_and_b32_e32 v22, 0x80000000, v22
	v_lshl_add_u32 v26, v26, 23, v31
	v_or3_b32 v22, v22, v26, v30
	v_lshrrev_b32_e32 v30, 16, v22
.LBB714_374:
	s_or_b64 exec, exec, s[22:23]
.LBB714_375:
	s_or_b64 exec, exec, s[20:21]
.LBB714_376:
	s_or_b64 exec, exec, s[10:11]
	v_mov_b32_e32 v31, 0
	v_mov_b32_e32 v22, v25
	v_cmp_ne_u16_sdwa s[2:3], v25, v31 src0_sel:BYTE_0 src1_sel:DWORD
	v_mov_b32_e32 v32, 0
	s_and_saveexec_b64 s[10:11], s[2:3]
	s_cbranch_execz .LBB714_382
; %bb.377:
	s_movk_i32 s2, 0x80
	v_cmp_ne_u16_sdwa s[2:3], v25, s2 src0_sel:BYTE_0 src1_sel:DWORD
	v_mov_b32_e32 v32, 0xffff8000
	s_and_saveexec_b64 s[20:21], s[2:3]
	s_cbranch_execz .LBB714_381
; %bb.378:
	s_movk_i32 s2, 0x7f
	v_and_b32_e32 v26, 0x7f, v25
	v_cmp_ne_u32_e64 s[2:3], s2, v26
	v_mov_b32_e32 v32, 0x7f80
	s_and_saveexec_b64 s[22:23], s[2:3]
	s_cbranch_execz .LBB714_380
; %bb.379:
	v_and_b32_e32 v32, 7, v25
	v_ffbh_u32_e32 v32, v32
	v_min_u32_e32 v32, 32, v32
	v_lshrrev_b32_e32 v33, 3, v26
	v_subrev_u32_e32 v34, 28, v32
	v_sub_u32_e32 v32, 29, v32
	v_cmp_gt_u32_e64 s[2:3], 8, v26
	v_cndmask_b32_e64 v26, v33, v32, s[2:3]
	v_cndmask_b32_e64 v32, 0, v34, s[2:3]
	v_lshlrev_b64 v[32:33], v32, v[22:23]
	v_lshlrev_b32_e32 v23, 20, v32
	v_lshlrev_b32_e32 v32, 24, v22
	v_bfrev_b32_e32 v33, 60
	v_and_b32_e32 v23, 0x700000, v23
	v_and_b32_e32 v32, 0x80000000, v32
	v_lshl_add_u32 v26, v26, 23, v33
	v_or3_b32 v23, v32, v26, v23
	v_lshrrev_b32_e32 v32, 16, v23
.LBB714_380:
	s_or_b64 exec, exec, s[22:23]
.LBB714_381:
	s_or_b64 exec, exec, s[20:21]
.LBB714_382:
	s_or_b64 exec, exec, s[10:11]
	v_lshrrev_b16_e32 v26, 8, v22
	v_cmp_ne_u16_e64 s[2:3], 0, v26
	s_and_saveexec_b64 s[10:11], s[2:3]
	s_cbranch_execz .LBB714_388
; %bb.383:
	s_movk_i32 s2, 0x80
	v_cmp_ne_u16_e64 s[2:3], s2, v26
	v_mov_b32_e32 v31, 0xffff8000
	s_and_saveexec_b64 s[20:21], s[2:3]
	s_cbranch_execz .LBB714_387
; %bb.384:
	s_movk_i32 s2, 0x7f
	v_and_b32_e32 v23, 0x7f, v26
	v_cmp_ne_u32_e64 s[2:3], s2, v23
	v_mov_b32_e32 v31, 0x7f80
	s_and_saveexec_b64 s[22:23], s[2:3]
	s_cbranch_execz .LBB714_386
; %bb.385:
	v_and_b32_e32 v31, 7, v26
	v_ffbh_u32_e32 v34, v31
	v_min_u32_e32 v36, 32, v34
	v_subrev_u32_e32 v34, 28, v36
	v_lshlrev_b64 v[34:35], v34, v[26:27]
	v_lshrrev_b32_e32 v33, 3, v23
	v_sub_u32_e32 v26, 29, v36
	v_and_b32_e32 v34, 7, v34
	v_cmp_gt_u32_e64 s[2:3], 8, v23
	v_cndmask_b32_e64 v23, v33, v26, s[2:3]
	v_cndmask_b32_e64 v26, v31, v34, s[2:3]
	v_lshlrev_b32_e32 v22, 16, v22
	v_bfrev_b32_e32 v31, 60
	v_lshlrev_b32_e32 v26, 20, v26
	v_and_b32_e32 v22, 0x80000000, v22
	v_lshl_add_u32 v23, v23, 23, v31
	v_or3_b32 v22, v22, v23, v26
	v_lshrrev_b32_e32 v31, 16, v22
.LBB714_386:
	s_or_b64 exec, exec, s[22:23]
.LBB714_387:
	s_or_b64 exec, exec, s[20:21]
.LBB714_388:
	s_or_b64 exec, exec, s[10:11]
	s_movk_i32 s2, 0xff
	v_and_b32_sdwa v33, v25, s2 dst_sel:DWORD dst_unused:UNUSED_PAD src0_sel:WORD_1 src1_sel:DWORD
	v_lshrrev_b32_e32 v22, 16, v25
	v_cmp_ne_u16_e64 s[2:3], 0, v33
	v_mov_b32_e32 v23, 0
	v_mov_b32_e32 v26, 0
	s_and_saveexec_b64 s[10:11], s[2:3]
	s_cbranch_execz .LBB714_394
; %bb.389:
	s_movk_i32 s2, 0x80
	v_cmp_ne_u16_e64 s[2:3], s2, v33
	v_mov_b32_e32 v26, 0xffff8000
	s_and_saveexec_b64 s[20:21], s[2:3]
	s_cbranch_execz .LBB714_393
; %bb.390:
	v_bfe_u32 v33, v25, 16, 7
	s_movk_i32 s2, 0x7f
	v_cmp_ne_u32_e64 s[2:3], s2, v33
	v_mov_b32_e32 v26, 0x7f80
	s_and_saveexec_b64 s[22:23], s[2:3]
	s_cbranch_execz .LBB714_392
; %bb.391:
	v_and_b32_e32 v26, 7, v22
	v_ffbh_u32_e32 v34, v26
	v_min_u32_e32 v37, 32, v34
	v_subrev_u32_e32 v34, 28, v37
	v_lshlrev_b64 v[34:35], v34, v[22:23]
	v_lshrrev_b32_e32 v36, 3, v33
	v_sub_u32_e32 v22, 29, v37
	v_and_b32_e32 v34, 7, v34
	v_cmp_gt_u32_e64 s[2:3], 8, v33
	v_mov_b32_e32 v33, 24
	v_cndmask_b32_e64 v22, v36, v22, s[2:3]
	v_cndmask_b32_e64 v26, v26, v34, s[2:3]
	v_lshlrev_b32_sdwa v33, v33, v25 dst_sel:DWORD dst_unused:UNUSED_PAD src0_sel:DWORD src1_sel:WORD_1
	v_bfrev_b32_e32 v34, 60
	v_lshlrev_b32_e32 v26, 20, v26
	v_and_b32_e32 v33, 0x80000000, v33
	v_lshl_add_u32 v22, v22, 23, v34
	v_or3_b32 v22, v33, v22, v26
	v_lshrrev_b32_e32 v26, 16, v22
.LBB714_392:
	s_or_b64 exec, exec, s[22:23]
.LBB714_393:
	s_or_b64 exec, exec, s[20:21]
.LBB714_394:
	s_or_b64 exec, exec, s[10:11]
	s_mov_b32 s2, -1
	s_mov_b32 s3, 0xffffff
	v_cmp_lt_u64_e64 s[2:3], s[2:3], v[24:25]
	s_and_saveexec_b64 s[10:11], s[2:3]
	s_cbranch_execz .LBB714_400
; %bb.395:
	v_lshrrev_b32_e32 v22, 24, v25
	s_movk_i32 s2, 0x80
	v_cmp_ne_u32_e64 s[2:3], s2, v22
	v_mov_b32_e32 v23, 0xffff8000
	s_and_saveexec_b64 s[20:21], s[2:3]
	s_cbranch_execz .LBB714_399
; %bb.396:
	v_bfe_u32 v24, v25, 24, 7
	s_movk_i32 s2, 0x7f
	v_cmp_ne_u32_e64 s[2:3], s2, v24
	v_mov_b32_e32 v23, 0x7f80
	s_and_saveexec_b64 s[22:23], s[2:3]
	s_cbranch_execz .LBB714_398
; %bb.397:
	v_and_b32_e32 v23, 7, v22
	v_ffbh_u32_e32 v33, v23
	v_min_u32_e32 v33, 32, v33
	v_subrev_u32_e32 v34, 28, v33
	v_lshlrev_b64 v[34:35], v34, v[22:23]
	v_lshrrev_b32_e32 v25, 3, v24
	v_sub_u32_e32 v33, 29, v33
	v_and_b32_e32 v34, 7, v34
	v_cmp_gt_u32_e64 s[2:3], 8, v24
	v_cndmask_b32_e64 v24, v25, v33, s[2:3]
	v_cndmask_b32_e64 v23, v23, v34, s[2:3]
	v_lshlrev_b32_e32 v22, 24, v22
	v_bfrev_b32_e32 v25, 60
	v_lshlrev_b32_e32 v23, 20, v23
	v_and_b32_e32 v22, 0x80000000, v22
	v_lshl_add_u32 v24, v24, 23, v25
	v_or3_b32 v22, v22, v24, v23
	v_lshrrev_b32_e32 v23, 16, v22
.LBB714_398:
	s_or_b64 exec, exec, s[22:23]
.LBB714_399:
	s_or_b64 exec, exec, s[20:21]
.LBB714_400:
	s_or_b64 exec, exec, s[10:11]
	s_mov_b32 s3, 0x5040100
	s_load_dword s2, s[4:5], 0x1c
	v_perm_b32 v25, v30, v29, s3
	v_perm_b32 v24, v27, v28, s3
	s_load_dword s4, s[12:13], 0x0
	v_perm_b32 v23, v23, v26, s3
	v_mfma_f32_4x4x4bf16_1k a[0:3], v[18:19], v[24:25], a[0:3] cbsz:4 abid:7
	v_perm_b32 v22, v31, v32, s3
	s_waitcnt lgkmcnt(0)
	v_mov_b32_e32 v18, s2
	v_mul_f32_e32 v18, s4, v18
	v_mfma_f32_4x4x4bf16_1k a[0:3], v[20:21], v[22:23], a[0:3] cbsz:4 abid:7
	v_mov_b32_e32 v25, 0xff7fffff
	s_nop 3
	v_accvgpr_read_b32 v21, a1
	v_accvgpr_read_b32 v20, a0
	v_pk_mul_f32 v[20:21], v[20:21], v[18:19] op_sel_hi:[1,0]
	v_accvgpr_read_b32 v23, a3
	v_accvgpr_read_b32 v22, a2
	v_pk_mul_f32 v[18:19], v[22:23], v[18:19] op_sel_hi:[1,0]
	v_cndmask_b32_e64 v22, 0, 1.0, vcc
	v_cmp_eq_u32_e32 vcc, 1, v43
	s_nop 0
	v_mfma_f32_4x4x1f32 a[0:3], v20, v22, 0
	v_cndmask_b32_e64 v20, 0, 1.0, vcc
	v_cmp_eq_u32_e32 vcc, 2, v43
	s_nop 0
	v_mfma_f32_4x4x1f32 a[0:3], v21, v20, a[0:3]
	;; [unrolled: 4-line block ×3, first 2 shown]
	v_cndmask_b32_e64 v18, 0, 1.0, vcc
	s_nop 1
	v_mfma_f32_4x4x1f32 a[0:3], v19, v18, a[0:3]
	v_and_b32_e32 v18, -4, v44
	v_subrev_u32_e32 v19, s7, v18
	v_add_u32_e32 v20, 1, v19
	v_cvt_f32_i32_e32 v20, v20
	v_add_u32_e32 v21, 2, v19
	v_cvt_f32_i32_e32 v21, v21
	v_accvgpr_read_b32 v22, a0
	v_fma_f32 v20, v45, v20, v22
	v_accvgpr_read_b32 v22, a1
	v_fma_f32 v21, v45, v21, v22
	v_add_u32_e32 v22, 3, v19
	v_cvt_f32_i32_e32 v22, v22
	v_add_u32_e32 v19, 4, v19
	v_max_f32_e32 v24, 0xff7fffff, v20
	v_cmp_gt_i32_e32 vcc, s7, v18
	v_cvt_f32_i32_e32 v19, v19
	v_cndmask_b32_e32 v24, v25, v24, vcc
	v_or_b32_e32 v25, 1, v18
	v_accvgpr_read_b32 v23, a2
	v_max_f32_e32 v26, v24, v21
	v_cmp_gt_i32_e64 s[2:3], s7, v25
	v_fma_f32 v22, v45, v22, v23
	v_cndmask_b32_e64 v24, v24, v26, s[2:3]
	v_or_b32_e32 v18, 2, v18
	v_accvgpr_read_b32 v23, a3
	v_max_f32_e32 v25, v24, v22
	v_cmp_gt_i32_e64 s[4:5], s7, v18
	v_fmac_f32_e32 v23, v45, v19
	v_cndmask_b32_e64 v18, v24, v25, s[4:5]
	v_or_b32_e32 v24, 3, v44
	v_max_f32_e32 v25, v18, v23
	v_cmp_gt_i32_e64 s[10:11], s7, v24
	v_lshlrev_b32_e32 v19, 2, v0
	v_cndmask_b32_e64 v18, v18, v25, s[10:11]
	v_and_or_b32 v19, v19, 48, v43
	;;#ASMSTART
	v_nop
 v_nop
 v_max_f32_dpp v18, v18, v18 row_ror:4
	;;#ASMEND
	v_lshlrev_b32_e32 v24, 2, v19
	;;#ASMSTART
	v_nop
 v_nop
 v_max_f32_dpp v18, v18, v18 row_ror:8
	;;#ASMEND
	ds_bpermute_b32 v18, v24, v18
	s_waitcnt lgkmcnt(0)
	;;#ASMSTART
	v_nop
 v_nop
 v_max_f32_dpp v18, v18, v18 row_ror:4
	;;#ASMEND
	;;#ASMSTART
	v_nop
 v_nop
 v_max_f32_dpp v25, v18, v18 row_ror:8
	;;#ASMEND
	v_sub_f32_e32 v18, v20, v25
	v_mul_f32_e32 v18, 0x3fb8aa3b, v18
	v_sub_f32_e32 v19, v21, v25
	v_exp_f32_e32 v18, v18
	v_mul_f32_e32 v19, 0x3fb8aa3b, v19
	v_sub_f32_e32 v21, v22, v25
	v_exp_f32_e32 v19, v19
	;; [unrolled: 3-line block ×3, first 2 shown]
	v_mul_f32_e32 v22, 0x3fb8aa3b, v22
	v_exp_f32_e32 v22, v22
	v_cndmask_b32_e32 v18, 0, v18, vcc
	v_add_f32_e32 v20, 0, v18
	v_cndmask_b32_e64 v19, 0, v19, s[2:3]
	v_add_f32_e32 v23, v20, v19
	v_cndmask_b32_e64 v20, 0, v21, s[4:5]
	;; [unrolled: 2-line block ×3, first 2 shown]
	v_add_f32_e32 v22, v23, v21
	;;#ASMSTART
	v_nop
 v_nop
 v_add_f32_dpp v22, v22, v22 row_ror:4
	;;#ASMEND
	;;#ASMSTART
	v_nop
 v_nop
 v_add_f32_dpp v22, v22, v22 row_ror:8
	;;#ASMEND
	ds_bpermute_b32 v22, v24, v22
	s_waitcnt lgkmcnt(0)
	;;#ASMSTART
	v_nop
 v_nop
 v_add_f32_dpp v22, v22, v22 row_ror:4
	;;#ASMEND
	v_cmp_gt_u32_e32 vcc, 4, v42
	;;#ASMSTART
	v_nop
 v_nop
 v_add_f32_dpp v22, v22, v22 row_ror:8
	;;#ASMEND
	s_and_saveexec_b64 s[2:3], vcc
	s_cbranch_execz .LBB714_402
; %bb.401:
	v_mul_u32_u24_e32 v23, 20, v1
	v_lshl_add_u32 v23, v43, 2, v23
	v_add_u32_e32 v23, 0x800, v23
	ds_write2_b32 v23, v25, v22 offset0:128 offset1:148
.LBB714_402:
	s_or_b64 exec, exec, s[2:3]
.LBB714_403:
	s_or_b64 exec, exec, s[30:31]
	s_waitcnt lgkmcnt(0)
	s_barrier
	s_load_dword s2, s[28:29], 0x8
	v_lshlrev_b32_e32 v22, 2, v43
	v_add_u32_e32 v22, 0x800, v22
	ds_read2_b32 v[28:29], v22 offset0:128 offset1:133
	ds_read2_b32 v[30:31], v22 offset0:138 offset1:143
	s_mul_i32 s3, s33, s6
	s_waitcnt lgkmcnt(0)
	s_mul_i32 s2, s3, s2
	s_mov_b32 s3, 0xff7fffff
	v_max3_f32 v23, v28, s3, v29
	v_max3_f32 v26, v23, v30, v31
	v_sub_f32_e32 v23, v28, v26
	ds_read2_b32 v[32:33], v22 offset0:148 offset1:153
	v_mul_f32_e32 v23, 0x3fb8aa3b, v23
	v_sub_f32_e32 v27, v29, v26
	v_exp_f32_e32 v24, v23
	v_mul_f32_e32 v27, 0x3fb8aa3b, v27
	ds_read2_b32 v[28:29], v22 offset0:158 offset1:163
	v_sub_f32_e32 v22, v30, v26
	v_exp_f32_e32 v34, v27
	v_mul_f32_e32 v22, 0x3fb8aa3b, v22
	v_sub_f32_e32 v27, v31, v26
	v_exp_f32_e32 v22, v22
	v_mul_f32_e32 v27, 0x3fb8aa3b, v27
	v_exp_f32_e32 v30, v27
	s_waitcnt lgkmcnt(1)
	v_fma_f32 v27, v24, v32, 0
	v_fmac_f32_e32 v27, v34, v33
	s_waitcnt lgkmcnt(0)
	v_fmac_f32_e32 v27, v22, v28
	v_mov_b32_e32 v23, 0
	v_fmac_f32_e32 v27, v30, v29
	s_mov_b32 s3, 0
	v_cmp_eq_u32_e32 vcc, 0, v43
	s_and_saveexec_b64 s[4:5], vcc
	s_cbranch_execz .LBB714_405
; %bb.404:
	s_lshl_b64 s[6:7], s[2:3], 2
	s_add_u32 s9, s16, s6
	s_mov_b32 s25, s3
	s_addc_u32 s12, s17, s7
	s_lshl_b64 s[10:11], s[24:25], 2
	s_add_u32 s9, s9, s10
	s_addc_u32 s12, s12, s11
	s_add_u32 s6, s18, s6
	s_addc_u32 s7, s19, s7
	s_add_u32 s13, s6, s10
	s_addc_u32 s16, s7, s11
	s_mul_i32 s6, s33, s8
	s_mov_b32 s7, s3
	s_lshl_b64 s[6:7], s[6:7], 2
	s_add_u32 s10, s9, s6
	s_addc_u32 s11, s12, s7
	s_add_u32 s6, s13, s6
	s_addc_u32 s7, s16, s7
	global_store_dword v23, v26, s[6:7]
	global_store_dword v23, v27, s[10:11]
.LBB714_405:
	s_or_b64 exec, exec, s[4:5]
	v_mov_b32_e32 v22, 0
	s_and_saveexec_b64 s[4:5], s[0:1]
	s_cbranch_execz .LBB714_791
; %bb.406:
	v_mov_b32_e32 v28, 0
	s_waitcnt vmcnt(2)
	v_cmp_ne_u16_sdwa s[6:7], v14, v28 src0_sel:BYTE_0 src1_sel:DWORD
	v_mov_b32_e32 v29, 0
	s_and_saveexec_b64 s[0:1], s[6:7]
	s_cbranch_execz .LBB714_412
; %bb.407:
	s_movk_i32 s3, 0x80
	v_cmp_ne_u16_sdwa s[10:11], v14, s3 src0_sel:BYTE_0 src1_sel:DWORD
	v_mov_b32_e32 v29, 0xffff8000
	s_and_saveexec_b64 s[6:7], s[10:11]
	s_cbranch_execz .LBB714_411
; %bb.408:
	s_movk_i32 s3, 0x7f
	v_and_b32_e32 v22, 0x7f, v14
	v_cmp_ne_u32_e32 vcc, s3, v22
	v_mov_b32_e32 v29, 0x7f80
	s_and_saveexec_b64 s[10:11], vcc
	s_cbranch_execz .LBB714_410
; %bb.409:
	v_and_b32_e32 v23, 7, v14
	v_ffbh_u32_e32 v23, v23
	v_min_u32_e32 v23, 32, v23
	v_subrev_u32_e32 v29, 28, v23
	v_cmp_gt_u32_e32 vcc, 8, v22
	v_lshrrev_b32_e32 v24, 3, v22
	v_sub_u32_e32 v23, 29, v23
	v_cndmask_b32_e32 v22, 0, v29, vcc
	v_cndmask_b32_e32 v24, v24, v23, vcc
	v_lshlrev_b64 v[22:23], v22, v[14:15]
	v_lshlrev_b32_e32 v22, 20, v22
	v_lshlrev_b32_e32 v23, 24, v14
	v_bfrev_b32_e32 v29, 60
	v_and_b32_e32 v22, 0x700000, v22
	v_and_b32_e32 v23, 0x80000000, v23
	v_lshl_add_u32 v24, v24, 23, v29
	v_or3_b32 v22, v23, v24, v22
	v_lshrrev_b32_e32 v29, 16, v22
.LBB714_410:
	s_or_b64 exec, exec, s[10:11]
.LBB714_411:
	s_or_b64 exec, exec, s[6:7]
.LBB714_412:
	s_or_b64 exec, exec, s[0:1]
	v_lshrrev_b16_e32 v22, 8, v14
	v_cmp_ne_u16_e32 vcc, 0, v22
	s_and_saveexec_b64 s[0:1], vcc
	s_cbranch_execz .LBB714_418
; %bb.413:
	s_movk_i32 s3, 0x80
	v_cmp_ne_u16_e32 vcc, s3, v22
	v_mov_b32_e32 v28, 0xffff8000
	s_and_saveexec_b64 s[6:7], vcc
	s_cbranch_execz .LBB714_417
; %bb.414:
	s_movk_i32 s3, 0x7f
	v_and_b32_e32 v23, 0x7f, v22
	v_cmp_ne_u32_e32 vcc, s3, v23
	v_mov_b32_e32 v28, 0x7f80
	s_and_saveexec_b64 s[10:11], vcc
	s_cbranch_execz .LBB714_416
; %bb.415:
	v_and_b32_e32 v24, 7, v22
	v_ffbh_u32_e32 v30, v24
	v_min_u32_e32 v32, 32, v30
	v_subrev_u32_e32 v30, 28, v32
	v_lshlrev_b64 v[30:31], v30, v[22:23]
	v_lshrrev_b32_e32 v28, 3, v23
	v_sub_u32_e32 v22, 29, v32
	v_and_b32_e32 v30, 7, v30
	v_cmp_gt_u32_e32 vcc, 8, v23
	v_cndmask_b32_e32 v22, v28, v22, vcc
	v_cndmask_b32_e32 v23, v24, v30, vcc
	v_lshlrev_b32_e32 v24, 16, v14
	v_bfrev_b32_e32 v28, 60
	v_lshlrev_b32_e32 v23, 20, v23
	v_and_b32_e32 v24, 0x80000000, v24
	v_lshl_add_u32 v22, v22, 23, v28
	v_or3_b32 v22, v24, v22, v23
	v_lshrrev_b32_e32 v28, 16, v22
.LBB714_416:
	s_or_b64 exec, exec, s[10:11]
.LBB714_417:
	s_or_b64 exec, exec, s[6:7]
.LBB714_418:
	s_or_b64 exec, exec, s[0:1]
	s_movk_i32 s0, 0xff
	v_and_b32_sdwa v24, v14, s0 dst_sel:DWORD dst_unused:UNUSED_PAD src0_sel:WORD_1 src1_sel:DWORD
	v_lshrrev_b32_e32 v22, 16, v14
	v_cmp_ne_u16_e32 vcc, 0, v24
	v_mov_b32_e32 v23, 0
	v_mov_b32_e32 v30, 0
	s_and_saveexec_b64 s[0:1], vcc
	s_cbranch_execz .LBB714_424
; %bb.419:
	s_movk_i32 s3, 0x80
	v_cmp_ne_u16_e32 vcc, s3, v24
	v_mov_b32_e32 v30, 0xffff8000
	s_and_saveexec_b64 s[6:7], vcc
	s_cbranch_execz .LBB714_423
; %bb.420:
	v_bfe_u32 v24, v14, 16, 7
	s_movk_i32 s3, 0x7f
	v_cmp_ne_u32_e32 vcc, s3, v24
	v_mov_b32_e32 v30, 0x7f80
	s_and_saveexec_b64 s[10:11], vcc
	s_cbranch_execz .LBB714_422
; %bb.421:
	v_and_b32_e32 v32, 7, v22
	v_ffbh_u32_e32 v30, v32
	v_min_u32_e32 v34, 32, v30
	v_subrev_u32_e32 v30, 28, v34
	v_lshlrev_b64 v[30:31], v30, v[22:23]
	v_and_b32_e32 v30, 7, v30
	v_cmp_gt_u32_e32 vcc, 8, v24
	v_lshrrev_b32_e32 v33, 3, v24
	v_sub_u32_e32 v22, 29, v34
	v_cndmask_b32_e32 v24, v32, v30, vcc
	v_mov_b32_e32 v30, 24
	v_cndmask_b32_e32 v22, v33, v22, vcc
	v_lshlrev_b32_sdwa v30, v30, v14 dst_sel:DWORD dst_unused:UNUSED_PAD src0_sel:DWORD src1_sel:WORD_1
	v_bfrev_b32_e32 v31, 60
	v_lshlrev_b32_e32 v24, 20, v24
	v_and_b32_e32 v30, 0x80000000, v30
	v_lshl_add_u32 v22, v22, 23, v31
	v_or3_b32 v22, v30, v22, v24
	v_lshrrev_b32_e32 v30, 16, v22
.LBB714_422:
	s_or_b64 exec, exec, s[10:11]
.LBB714_423:
	s_or_b64 exec, exec, s[6:7]
.LBB714_424:
	s_or_b64 exec, exec, s[0:1]
	s_mov_b32 s0, 0xffffff
	v_cmp_lt_u32_e32 vcc, s0, v14
	v_mov_b32_e32 v31, 0
	s_and_saveexec_b64 s[0:1], vcc
	s_cbranch_execz .LBB714_430
; %bb.425:
	v_lshrrev_b32_e32 v22, 24, v14
	s_movk_i32 s3, 0x80
	v_cmp_ne_u32_e32 vcc, s3, v22
	v_mov_b32_e32 v31, 0xffff8000
	s_and_saveexec_b64 s[6:7], vcc
	s_cbranch_execz .LBB714_429
; %bb.426:
	v_bfe_u32 v24, v14, 24, 7
	s_movk_i32 s3, 0x7f
	v_cmp_ne_u32_e32 vcc, s3, v24
	v_mov_b32_e32 v31, 0x7f80
	s_and_saveexec_b64 s[10:11], vcc
	s_cbranch_execz .LBB714_428
; %bb.427:
	v_and_b32_e32 v31, 7, v22
	v_ffbh_u32_e32 v32, v31
	v_min_u32_e32 v35, 32, v32
	v_subrev_u32_e32 v32, 28, v35
	v_lshlrev_b64 v[32:33], v32, v[22:23]
	v_lshrrev_b32_e32 v34, 3, v24
	v_sub_u32_e32 v33, 29, v35
	v_and_b32_e32 v32, 7, v32
	v_cmp_gt_u32_e32 vcc, 8, v24
	v_cndmask_b32_e32 v24, v34, v33, vcc
	v_cndmask_b32_e32 v31, v31, v32, vcc
	v_lshlrev_b32_e32 v22, 24, v22
	v_bfrev_b32_e32 v32, 60
	v_lshlrev_b32_e32 v31, 20, v31
	v_and_b32_e32 v22, 0x80000000, v22
	v_lshl_add_u32 v24, v24, 23, v32
	v_or3_b32 v22, v22, v24, v31
	v_lshrrev_b32_e32 v31, 16, v22
.LBB714_428:
	s_or_b64 exec, exec, s[10:11]
.LBB714_429:
	s_or_b64 exec, exec, s[6:7]
.LBB714_430:
	s_or_b64 exec, exec, s[0:1]
	v_mov_b32_e32 v32, 0
	v_mov_b32_e32 v22, v15
	v_cmp_ne_u16_sdwa s[6:7], v15, v32 src0_sel:BYTE_0 src1_sel:DWORD
	v_mov_b32_e32 v33, 0
	s_and_saveexec_b64 s[0:1], s[6:7]
	s_cbranch_execz .LBB714_436
; %bb.431:
	s_movk_i32 s3, 0x80
	v_cmp_ne_u16_sdwa s[10:11], v15, s3 src0_sel:BYTE_0 src1_sel:DWORD
	v_mov_b32_e32 v33, 0xffff8000
	s_and_saveexec_b64 s[6:7], s[10:11]
	s_cbranch_execz .LBB714_435
; %bb.432:
	s_movk_i32 s3, 0x7f
	v_and_b32_e32 v24, 0x7f, v15
	v_cmp_ne_u32_e32 vcc, s3, v24
	v_mov_b32_e32 v33, 0x7f80
	s_and_saveexec_b64 s[10:11], vcc
	s_cbranch_execz .LBB714_434
; %bb.433:
	v_and_b32_e32 v33, 7, v15
	v_ffbh_u32_e32 v33, v33
	v_min_u32_e32 v33, 32, v33
	v_lshrrev_b32_e32 v34, 3, v24
	v_subrev_u32_e32 v35, 28, v33
	v_sub_u32_e32 v33, 29, v33
	v_cmp_gt_u32_e32 vcc, 8, v24
	v_cndmask_b32_e32 v24, v34, v33, vcc
	v_cndmask_b32_e32 v33, 0, v35, vcc
	v_lshlrev_b64 v[34:35], v33, v[22:23]
	v_lshlrev_b32_e32 v23, 20, v34
	v_lshlrev_b32_e32 v33, 24, v22
	v_bfrev_b32_e32 v34, 60
	v_and_b32_e32 v23, 0x700000, v23
	v_and_b32_e32 v33, 0x80000000, v33
	v_lshl_add_u32 v24, v24, 23, v34
	v_or3_b32 v23, v33, v24, v23
	v_lshrrev_b32_e32 v33, 16, v23
.LBB714_434:
	s_or_b64 exec, exec, s[10:11]
.LBB714_435:
	s_or_b64 exec, exec, s[6:7]
.LBB714_436:
	s_or_b64 exec, exec, s[0:1]
	v_lshrrev_b16_e32 v24, 8, v22
	v_cmp_ne_u16_e32 vcc, 0, v24
	s_and_saveexec_b64 s[0:1], vcc
	s_cbranch_execz .LBB714_442
; %bb.437:
	s_movk_i32 s3, 0x80
	v_cmp_ne_u16_e32 vcc, s3, v24
	v_mov_b32_e32 v32, 0xffff8000
	s_and_saveexec_b64 s[6:7], vcc
	s_cbranch_execz .LBB714_441
; %bb.438:
	s_movk_i32 s3, 0x7f
	v_and_b32_e32 v23, 0x7f, v24
	v_cmp_ne_u32_e32 vcc, s3, v23
	v_mov_b32_e32 v32, 0x7f80
	s_and_saveexec_b64 s[10:11], vcc
	s_cbranch_execz .LBB714_440
; %bb.439:
	v_and_b32_e32 v32, 7, v24
	v_ffbh_u32_e32 v34, v32
	v_min_u32_e32 v37, 32, v34
	v_subrev_u32_e32 v34, 28, v37
	v_lshlrev_b64 v[34:35], v34, v[24:25]
	v_lshrrev_b32_e32 v36, 3, v23
	v_sub_u32_e32 v24, 29, v37
	v_and_b32_e32 v34, 7, v34
	v_cmp_gt_u32_e32 vcc, 8, v23
	v_cndmask_b32_e32 v23, v36, v24, vcc
	v_cndmask_b32_e32 v24, v32, v34, vcc
	v_lshlrev_b32_e32 v22, 16, v22
	v_bfrev_b32_e32 v32, 60
	v_lshlrev_b32_e32 v24, 20, v24
	v_and_b32_e32 v22, 0x80000000, v22
	v_lshl_add_u32 v23, v23, 23, v32
	v_or3_b32 v22, v22, v23, v24
	v_lshrrev_b32_e32 v32, 16, v22
.LBB714_440:
	s_or_b64 exec, exec, s[10:11]
.LBB714_441:
	s_or_b64 exec, exec, s[6:7]
.LBB714_442:
	s_or_b64 exec, exec, s[0:1]
	s_movk_i32 s0, 0xff
	v_and_b32_sdwa v34, v15, s0 dst_sel:DWORD dst_unused:UNUSED_PAD src0_sel:WORD_1 src1_sel:DWORD
	v_lshrrev_b32_e32 v22, 16, v15
	v_cmp_ne_u16_e32 vcc, 0, v34
	v_mov_b32_e32 v23, 0
	v_mov_b32_e32 v24, 0
	s_and_saveexec_b64 s[0:1], vcc
	s_cbranch_execz .LBB714_448
; %bb.443:
	s_movk_i32 s3, 0x80
	v_cmp_ne_u16_e32 vcc, s3, v34
	v_mov_b32_e32 v24, 0xffff8000
	s_and_saveexec_b64 s[6:7], vcc
	s_cbranch_execz .LBB714_447
; %bb.444:
	v_bfe_u32 v34, v15, 16, 7
	s_movk_i32 s3, 0x7f
	v_cmp_ne_u32_e32 vcc, s3, v34
	v_mov_b32_e32 v24, 0x7f80
	s_and_saveexec_b64 s[10:11], vcc
	s_cbranch_execz .LBB714_446
; %bb.445:
	v_and_b32_e32 v24, 7, v22
	v_ffbh_u32_e32 v36, v24
	v_min_u32_e32 v38, 32, v36
	v_subrev_u32_e32 v36, 28, v38
	v_lshlrev_b64 v[36:37], v36, v[22:23]
	v_lshrrev_b32_e32 v35, 3, v34
	v_sub_u32_e32 v22, 29, v38
	v_and_b32_e32 v36, 7, v36
	v_cmp_gt_u32_e32 vcc, 8, v34
	v_mov_b32_e32 v34, 24
	v_cndmask_b32_e32 v22, v35, v22, vcc
	v_cndmask_b32_e32 v24, v24, v36, vcc
	v_lshlrev_b32_sdwa v34, v34, v15 dst_sel:DWORD dst_unused:UNUSED_PAD src0_sel:DWORD src1_sel:WORD_1
	v_bfrev_b32_e32 v35, 60
	v_lshlrev_b32_e32 v24, 20, v24
	v_and_b32_e32 v34, 0x80000000, v34
	v_lshl_add_u32 v22, v22, 23, v35
	v_or3_b32 v22, v34, v22, v24
	v_lshrrev_b32_e32 v24, 16, v22
.LBB714_446:
	s_or_b64 exec, exec, s[10:11]
.LBB714_447:
	s_or_b64 exec, exec, s[6:7]
.LBB714_448:
	s_or_b64 exec, exec, s[0:1]
	s_mov_b32 s0, -1
	s_mov_b32 s1, 0xffffff
	v_cmp_lt_u64_e32 vcc, s[0:1], v[14:15]
	s_and_saveexec_b64 s[0:1], vcc
	s_cbranch_execz .LBB714_454
; %bb.449:
	v_lshrrev_b32_e32 v14, 24, v15
	s_movk_i32 s3, 0x80
	v_cmp_ne_u32_e32 vcc, s3, v14
	v_mov_b32_e32 v23, 0xffff8000
	s_and_saveexec_b64 s[6:7], vcc
	s_cbranch_execz .LBB714_453
; %bb.450:
	v_bfe_u32 v15, v15, 24, 7
	s_movk_i32 s3, 0x7f
	v_cmp_ne_u32_e32 vcc, s3, v15
	v_mov_b32_e32 v23, 0x7f80
	s_and_saveexec_b64 s[10:11], vcc
	s_cbranch_execz .LBB714_452
; %bb.451:
	v_and_b32_e32 v34, 7, v14
	v_ffbh_u32_e32 v22, v34
	v_min_u32_e32 v36, 32, v22
	v_subrev_u32_e32 v22, 28, v36
	v_lshlrev_b64 v[22:23], v22, v[14:15]
	v_lshrrev_b32_e32 v35, 3, v15
	v_sub_u32_e32 v23, 29, v36
	v_and_b32_e32 v22, 7, v22
	v_cmp_gt_u32_e32 vcc, 8, v15
	v_cndmask_b32_e32 v15, v35, v23, vcc
	v_cndmask_b32_e32 v22, v34, v22, vcc
	v_lshlrev_b32_e32 v14, 24, v14
	v_bfrev_b32_e32 v23, 60
	v_lshlrev_b32_e32 v22, 20, v22
	v_and_b32_e32 v14, 0x80000000, v14
	v_lshl_add_u32 v15, v15, 23, v23
	v_or3_b32 v14, v14, v15, v22
	v_lshrrev_b32_e32 v23, 16, v14
.LBB714_452:
	s_or_b64 exec, exec, s[10:11]
.LBB714_453:
	s_or_b64 exec, exec, s[6:7]
.LBB714_454:
	s_or_b64 exec, exec, s[0:1]
	v_add_f32_e32 v14, 0x358637bd, v27
	v_div_scale_f32 v15, s[0:1], v14, v14, 1.0
	v_rcp_f32_e32 v22, v15
	v_div_scale_f32 v27, vcc, 1.0, v14, 1.0
	v_sub_f32_e32 v25, v25, v26
	v_fma_f32 v34, -v15, v22, 1.0
	v_fmac_f32_e32 v22, v34, v22
	v_mul_f32_e32 v34, v27, v22
	v_fma_f32 v35, -v15, v34, v27
	v_mul_f32_e32 v25, 0x3fb8aa3b, v25
	v_fmac_f32_e32 v34, v35, v22
	v_exp_f32_e32 v25, v25
	v_fma_f32 v15, -v15, v34, v27
	v_div_fmas_f32 v15, v15, v22, v34
	v_div_fixup_f32 v14, v15, v14, 1.0
	v_mul_f32_e32 v14, v25, v14
	v_pk_mul_f32 v[20:21], v[20:21], v[14:15] op_sel_hi:[1,0]
	v_pk_mul_f32 v[14:15], v[18:19], v[14:15] op_sel_hi:[1,0]
	v_bfe_u32 v18, v15, 16, 1
	v_bfe_u32 v19, v14, 16, 1
	s_movk_i32 s0, 0x7fff
	v_add3_u32 v14, v14, v19, s0
	v_add3_u32 v15, v15, v18, s0
	s_mov_b32 s1, 0x7060302
	v_perm_b32 v14, v15, v14, s1
	v_bfe_u32 v15, v21, 16, 1
	v_bfe_u32 v18, v20, 16, 1
	v_add3_u32 v18, v20, v18, s0
	v_add3_u32 v15, v21, v15, s0
	v_perm_b32 v15, v15, v18, s1
	s_mov_b32 s0, 0x5040100
	v_perm_b32 v19, v31, v30, s0
	v_perm_b32 v18, v28, v29, s0
	;; [unrolled: 1-line block ×4, first 2 shown]
	v_mfma_f32_4x4x4bf16_1k a[0:3], v[14:15], v[18:19], 0 cbsz:4
	v_mov_b32_e32 v21, 0
	v_mfma_f32_4x4x4bf16_1k a[0:3], v[14:15], v[22:23], a[0:3] cbsz:4 abid:1
	v_mov_b32_e32 v22, 0
	v_cmp_ne_u16_sdwa s[6:7], v16, v22 src0_sel:BYTE_0 src1_sel:DWORD
	s_and_saveexec_b64 s[0:1], s[6:7]
	s_cbranch_execz .LBB714_460
; %bb.455:
	s_movk_i32 s3, 0x80
	v_cmp_ne_u16_sdwa s[10:11], v16, s3 src0_sel:BYTE_0 src1_sel:DWORD
	v_mov_b32_e32 v21, 0xffff8000
	s_and_saveexec_b64 s[6:7], s[10:11]
	s_cbranch_execz .LBB714_459
; %bb.456:
	s_movk_i32 s3, 0x7f
	v_and_b32_e32 v18, 0x7f, v16
	v_cmp_ne_u32_e32 vcc, s3, v18
	v_mov_b32_e32 v21, 0x7f80
	s_and_saveexec_b64 s[10:11], vcc
	s_cbranch_execz .LBB714_458
; %bb.457:
	v_and_b32_e32 v19, 7, v16
	v_ffbh_u32_e32 v19, v19
	v_min_u32_e32 v19, 32, v19
	v_subrev_u32_e32 v21, 28, v19
	v_cmp_gt_u32_e32 vcc, 8, v18
	v_lshrrev_b32_e32 v20, 3, v18
	v_sub_u32_e32 v19, 29, v19
	v_cndmask_b32_e32 v18, 0, v21, vcc
	v_cndmask_b32_e32 v20, v20, v19, vcc
	v_lshlrev_b64 v[18:19], v18, v[16:17]
	v_lshlrev_b32_e32 v18, 20, v18
	v_lshlrev_b32_e32 v19, 24, v16
	v_bfrev_b32_e32 v21, 60
	v_and_b32_e32 v18, 0x700000, v18
	v_and_b32_e32 v19, 0x80000000, v19
	v_lshl_add_u32 v20, v20, 23, v21
	v_or3_b32 v18, v19, v20, v18
	v_lshrrev_b32_e32 v21, 16, v18
.LBB714_458:
	s_or_b64 exec, exec, s[10:11]
.LBB714_459:
	s_or_b64 exec, exec, s[6:7]
.LBB714_460:
	s_or_b64 exec, exec, s[0:1]
	v_lshrrev_b16_e32 v18, 8, v16
	v_cmp_ne_u16_e32 vcc, 0, v18
	s_and_saveexec_b64 s[0:1], vcc
	s_cbranch_execz .LBB714_466
; %bb.461:
	s_movk_i32 s3, 0x80
	v_cmp_ne_u16_e32 vcc, s3, v18
	v_mov_b32_e32 v22, 0xffff8000
	s_and_saveexec_b64 s[6:7], vcc
	s_cbranch_execz .LBB714_465
; %bb.462:
	s_movk_i32 s3, 0x7f
	v_and_b32_e32 v19, 0x7f, v18
	v_cmp_ne_u32_e32 vcc, s3, v19
	v_mov_b32_e32 v22, 0x7f80
	s_and_saveexec_b64 s[10:11], vcc
	s_cbranch_execz .LBB714_464
; %bb.463:
	v_and_b32_e32 v20, 7, v18
	v_ffbh_u32_e32 v22, v20
	v_min_u32_e32 v25, 32, v22
	v_subrev_u32_e32 v22, 28, v25
	v_lshlrev_b64 v[22:23], v22, v[18:19]
	v_lshrrev_b32_e32 v24, 3, v19
	v_sub_u32_e32 v18, 29, v25
	v_and_b32_e32 v22, 7, v22
	v_cmp_gt_u32_e32 vcc, 8, v19
	v_cndmask_b32_e32 v18, v24, v18, vcc
	v_cndmask_b32_e32 v19, v20, v22, vcc
	v_lshlrev_b32_e32 v20, 16, v16
	v_bfrev_b32_e32 v22, 60
	v_lshlrev_b32_e32 v19, 20, v19
	v_and_b32_e32 v20, 0x80000000, v20
	v_lshl_add_u32 v18, v18, 23, v22
	v_or3_b32 v18, v20, v18, v19
	v_lshrrev_b32_e32 v22, 16, v18
.LBB714_464:
	s_or_b64 exec, exec, s[10:11]
.LBB714_465:
	s_or_b64 exec, exec, s[6:7]
.LBB714_466:
	s_or_b64 exec, exec, s[0:1]
	s_movk_i32 s0, 0xff
	v_and_b32_sdwa v20, v16, s0 dst_sel:DWORD dst_unused:UNUSED_PAD src0_sel:WORD_1 src1_sel:DWORD
	v_lshrrev_b32_e32 v18, 16, v16
	v_cmp_ne_u16_e32 vcc, 0, v20
	v_mov_b32_e32 v19, 0
	v_mov_b32_e32 v23, 0
	s_and_saveexec_b64 s[0:1], vcc
	s_cbranch_execz .LBB714_472
; %bb.467:
	s_movk_i32 s3, 0x80
	v_cmp_ne_u16_e32 vcc, s3, v20
	v_mov_b32_e32 v23, 0xffff8000
	s_and_saveexec_b64 s[6:7], vcc
	s_cbranch_execz .LBB714_471
; %bb.468:
	v_bfe_u32 v20, v16, 16, 7
	s_movk_i32 s3, 0x7f
	v_cmp_ne_u32_e32 vcc, s3, v20
	v_mov_b32_e32 v23, 0x7f80
	s_and_saveexec_b64 s[10:11], vcc
	s_cbranch_execz .LBB714_470
; %bb.469:
	v_and_b32_e32 v23, 7, v18
	v_ffbh_u32_e32 v24, v23
	v_min_u32_e32 v27, 32, v24
	v_subrev_u32_e32 v24, 28, v27
	v_lshlrev_b64 v[24:25], v24, v[18:19]
	v_and_b32_e32 v24, 7, v24
	v_cmp_gt_u32_e32 vcc, 8, v20
	v_lshrrev_b32_e32 v26, 3, v20
	v_sub_u32_e32 v18, 29, v27
	v_cndmask_b32_e32 v20, v23, v24, vcc
	v_mov_b32_e32 v23, 24
	v_cndmask_b32_e32 v18, v26, v18, vcc
	v_lshlrev_b32_sdwa v23, v23, v16 dst_sel:DWORD dst_unused:UNUSED_PAD src0_sel:DWORD src1_sel:WORD_1
	v_bfrev_b32_e32 v24, 60
	v_lshlrev_b32_e32 v20, 20, v20
	v_and_b32_e32 v23, 0x80000000, v23
	v_lshl_add_u32 v18, v18, 23, v24
	v_or3_b32 v18, v23, v18, v20
	v_lshrrev_b32_e32 v23, 16, v18
.LBB714_470:
	s_or_b64 exec, exec, s[10:11]
.LBB714_471:
	s_or_b64 exec, exec, s[6:7]
.LBB714_472:
	s_or_b64 exec, exec, s[0:1]
	s_mov_b32 s0, 0xffffff
	v_cmp_lt_u32_e32 vcc, s0, v16
	v_mov_b32_e32 v24, 0
	s_and_saveexec_b64 s[0:1], vcc
	s_cbranch_execz .LBB714_478
; %bb.473:
	v_lshrrev_b32_e32 v18, 24, v16
	s_movk_i32 s3, 0x80
	v_cmp_ne_u32_e32 vcc, s3, v18
	v_mov_b32_e32 v24, 0xffff8000
	s_and_saveexec_b64 s[6:7], vcc
	s_cbranch_execz .LBB714_477
; %bb.474:
	v_bfe_u32 v20, v16, 24, 7
	s_movk_i32 s3, 0x7f
	v_cmp_ne_u32_e32 vcc, s3, v20
	v_mov_b32_e32 v24, 0x7f80
	s_and_saveexec_b64 s[10:11], vcc
	s_cbranch_execz .LBB714_476
; %bb.475:
	v_and_b32_e32 v26, 7, v18
	v_ffbh_u32_e32 v24, v26
	v_min_u32_e32 v28, 32, v24
	v_subrev_u32_e32 v24, 28, v28
	v_lshlrev_b64 v[24:25], v24, v[18:19]
	v_lshrrev_b32_e32 v27, 3, v20
	v_sub_u32_e32 v25, 29, v28
	v_and_b32_e32 v24, 7, v24
	v_cmp_gt_u32_e32 vcc, 8, v20
	v_cndmask_b32_e32 v20, v27, v25, vcc
	v_cndmask_b32_e32 v24, v26, v24, vcc
	v_lshlrev_b32_e32 v18, 24, v18
	v_bfrev_b32_e32 v25, 60
	v_lshlrev_b32_e32 v24, 20, v24
	v_and_b32_e32 v18, 0x80000000, v18
	v_lshl_add_u32 v20, v20, 23, v25
	v_or3_b32 v18, v18, v20, v24
	v_lshrrev_b32_e32 v24, 16, v18
.LBB714_476:
	s_or_b64 exec, exec, s[10:11]
.LBB714_477:
	s_or_b64 exec, exec, s[6:7]
.LBB714_478:
	s_or_b64 exec, exec, s[0:1]
	v_mov_b32_e32 v25, 0
	v_mov_b32_e32 v18, v17
	v_cmp_ne_u16_sdwa s[6:7], v17, v25 src0_sel:BYTE_0 src1_sel:DWORD
	v_mov_b32_e32 v26, 0
	s_and_saveexec_b64 s[0:1], s[6:7]
	s_cbranch_execz .LBB714_484
; %bb.479:
	s_movk_i32 s3, 0x80
	v_cmp_ne_u16_sdwa s[10:11], v17, s3 src0_sel:BYTE_0 src1_sel:DWORD
	v_mov_b32_e32 v26, 0xffff8000
	s_and_saveexec_b64 s[6:7], s[10:11]
	s_cbranch_execz .LBB714_483
; %bb.480:
	s_movk_i32 s3, 0x7f
	v_and_b32_e32 v20, 0x7f, v17
	v_cmp_ne_u32_e32 vcc, s3, v20
	v_mov_b32_e32 v26, 0x7f80
	s_and_saveexec_b64 s[10:11], vcc
	s_cbranch_execz .LBB714_482
; %bb.481:
	v_and_b32_e32 v26, 7, v17
	v_ffbh_u32_e32 v26, v26
	v_min_u32_e32 v26, 32, v26
	v_lshrrev_b32_e32 v27, 3, v20
	v_subrev_u32_e32 v28, 28, v26
	v_sub_u32_e32 v26, 29, v26
	v_cmp_gt_u32_e32 vcc, 8, v20
	v_cndmask_b32_e32 v20, v27, v26, vcc
	v_cndmask_b32_e32 v26, 0, v28, vcc
	v_lshlrev_b64 v[26:27], v26, v[18:19]
	v_lshlrev_b32_e32 v19, 20, v26
	v_lshlrev_b32_e32 v26, 24, v18
	v_bfrev_b32_e32 v27, 60
	v_and_b32_e32 v19, 0x700000, v19
	v_and_b32_e32 v26, 0x80000000, v26
	v_lshl_add_u32 v20, v20, 23, v27
	v_or3_b32 v19, v26, v20, v19
	v_lshrrev_b32_e32 v26, 16, v19
.LBB714_482:
	s_or_b64 exec, exec, s[10:11]
.LBB714_483:
	s_or_b64 exec, exec, s[6:7]
.LBB714_484:
	s_or_b64 exec, exec, s[0:1]
	v_lshrrev_b16_e32 v20, 8, v18
	v_cmp_ne_u16_e32 vcc, 0, v20
	s_and_saveexec_b64 s[0:1], vcc
	s_cbranch_execz .LBB714_490
; %bb.485:
	s_movk_i32 s3, 0x80
	v_cmp_ne_u16_e32 vcc, s3, v20
	v_mov_b32_e32 v25, 0xffff8000
	s_and_saveexec_b64 s[6:7], vcc
	s_cbranch_execz .LBB714_489
; %bb.486:
	s_movk_i32 s3, 0x7f
	v_and_b32_e32 v19, 0x7f, v20
	v_cmp_ne_u32_e32 vcc, s3, v19
	v_mov_b32_e32 v25, 0x7f80
	s_and_saveexec_b64 s[10:11], vcc
	s_cbranch_execz .LBB714_488
; %bb.487:
	v_and_b32_e32 v25, 7, v20
	v_ffbh_u32_e32 v28, v25
	v_min_u32_e32 v30, 32, v28
	v_subrev_u32_e32 v28, 28, v30
	v_lshlrev_b64 v[28:29], v28, v[20:21]
	v_lshrrev_b32_e32 v27, 3, v19
	v_sub_u32_e32 v20, 29, v30
	v_and_b32_e32 v28, 7, v28
	v_cmp_gt_u32_e32 vcc, 8, v19
	v_cndmask_b32_e32 v19, v27, v20, vcc
	v_cndmask_b32_e32 v20, v25, v28, vcc
	v_lshlrev_b32_e32 v18, 16, v18
	v_bfrev_b32_e32 v25, 60
	v_lshlrev_b32_e32 v20, 20, v20
	v_and_b32_e32 v18, 0x80000000, v18
	v_lshl_add_u32 v19, v19, 23, v25
	v_or3_b32 v18, v18, v19, v20
	v_lshrrev_b32_e32 v25, 16, v18
.LBB714_488:
	s_or_b64 exec, exec, s[10:11]
.LBB714_489:
	s_or_b64 exec, exec, s[6:7]
.LBB714_490:
	s_or_b64 exec, exec, s[0:1]
	s_movk_i32 s0, 0xff
	v_and_b32_sdwa v27, v17, s0 dst_sel:DWORD dst_unused:UNUSED_PAD src0_sel:WORD_1 src1_sel:DWORD
	v_lshrrev_b32_e32 v18, 16, v17
	v_cmp_ne_u16_e32 vcc, 0, v27
	v_mov_b32_e32 v19, 0
	v_mov_b32_e32 v20, 0
	s_and_saveexec_b64 s[0:1], vcc
	s_cbranch_execz .LBB714_496
; %bb.491:
	s_movk_i32 s3, 0x80
	v_cmp_ne_u16_e32 vcc, s3, v27
	v_mov_b32_e32 v20, 0xffff8000
	s_and_saveexec_b64 s[6:7], vcc
	s_cbranch_execz .LBB714_495
; %bb.492:
	v_bfe_u32 v27, v17, 16, 7
	s_movk_i32 s3, 0x7f
	v_cmp_ne_u32_e32 vcc, s3, v27
	v_mov_b32_e32 v20, 0x7f80
	s_and_saveexec_b64 s[10:11], vcc
	s_cbranch_execz .LBB714_494
; %bb.493:
	v_and_b32_e32 v20, 7, v18
	v_ffbh_u32_e32 v28, v20
	v_min_u32_e32 v31, 32, v28
	v_subrev_u32_e32 v28, 28, v31
	v_lshlrev_b64 v[28:29], v28, v[18:19]
	v_lshrrev_b32_e32 v30, 3, v27
	v_sub_u32_e32 v18, 29, v31
	v_and_b32_e32 v28, 7, v28
	v_cmp_gt_u32_e32 vcc, 8, v27
	v_mov_b32_e32 v27, 24
	v_cndmask_b32_e32 v18, v30, v18, vcc
	v_cndmask_b32_e32 v20, v20, v28, vcc
	v_lshlrev_b32_sdwa v27, v27, v17 dst_sel:DWORD dst_unused:UNUSED_PAD src0_sel:DWORD src1_sel:WORD_1
	v_bfrev_b32_e32 v28, 60
	v_lshlrev_b32_e32 v20, 20, v20
	v_and_b32_e32 v27, 0x80000000, v27
	v_lshl_add_u32 v18, v18, 23, v28
	v_or3_b32 v18, v27, v18, v20
	v_lshrrev_b32_e32 v20, 16, v18
.LBB714_494:
	s_or_b64 exec, exec, s[10:11]
.LBB714_495:
	s_or_b64 exec, exec, s[6:7]
.LBB714_496:
	s_or_b64 exec, exec, s[0:1]
	s_mov_b32 s0, -1
	s_mov_b32 s1, 0xffffff
	v_cmp_lt_u64_e32 vcc, s[0:1], v[16:17]
	s_and_saveexec_b64 s[0:1], vcc
	s_cbranch_execz .LBB714_502
; %bb.497:
	v_lshrrev_b32_e32 v16, 24, v17
	s_movk_i32 s3, 0x80
	v_cmp_ne_u32_e32 vcc, s3, v16
	v_mov_b32_e32 v19, 0xffff8000
	s_and_saveexec_b64 s[6:7], vcc
	s_cbranch_execz .LBB714_501
; %bb.498:
	v_bfe_u32 v17, v17, 24, 7
	s_movk_i32 s3, 0x7f
	v_cmp_ne_u32_e32 vcc, s3, v17
	v_mov_b32_e32 v19, 0x7f80
	s_and_saveexec_b64 s[10:11], vcc
	s_cbranch_execz .LBB714_500
; %bb.499:
	v_and_b32_e32 v27, 7, v16
	v_ffbh_u32_e32 v18, v27
	v_min_u32_e32 v29, 32, v18
	v_subrev_u32_e32 v18, 28, v29
	v_lshlrev_b64 v[18:19], v18, v[16:17]
	v_lshrrev_b32_e32 v28, 3, v17
	v_sub_u32_e32 v19, 29, v29
	v_and_b32_e32 v18, 7, v18
	v_cmp_gt_u32_e32 vcc, 8, v17
	v_cndmask_b32_e32 v17, v28, v19, vcc
	v_cndmask_b32_e32 v18, v27, v18, vcc
	v_lshlrev_b32_e32 v16, 24, v16
	v_bfrev_b32_e32 v19, 60
	v_lshlrev_b32_e32 v18, 20, v18
	v_and_b32_e32 v16, 0x80000000, v16
	v_lshl_add_u32 v17, v17, 23, v19
	v_or3_b32 v16, v16, v17, v18
	v_lshrrev_b32_e32 v19, 16, v16
.LBB714_500:
	s_or_b64 exec, exec, s[10:11]
.LBB714_501:
	s_or_b64 exec, exec, s[6:7]
.LBB714_502:
	s_or_b64 exec, exec, s[0:1]
	s_mov_b32 s0, 0x5040100
	v_perm_b32 v17, v24, v23, s0
	v_perm_b32 v16, v22, v21, s0
	;; [unrolled: 1-line block ×4, first 2 shown]
	v_mfma_f32_4x4x4bf16_1k a[0:3], v[14:15], v[16:17], a[0:3] cbsz:4 abid:2
	v_mov_b32_e32 v20, 0
	v_mfma_f32_4x4x4bf16_1k a[0:3], v[14:15], v[18:19], a[0:3] cbsz:4 abid:3
	v_mov_b32_e32 v19, 0
	v_cmp_ne_u16_sdwa s[6:7], v10, v19 src0_sel:BYTE_0 src1_sel:DWORD
	s_and_saveexec_b64 s[0:1], s[6:7]
	s_cbranch_execz .LBB714_508
; %bb.503:
	s_movk_i32 s3, 0x80
	v_cmp_ne_u16_sdwa s[10:11], v10, s3 src0_sel:BYTE_0 src1_sel:DWORD
	v_mov_b32_e32 v20, 0xffff8000
	s_and_saveexec_b64 s[6:7], s[10:11]
	s_cbranch_execz .LBB714_507
; %bb.504:
	s_movk_i32 s3, 0x7f
	v_and_b32_e32 v16, 0x7f, v10
	v_cmp_ne_u32_e32 vcc, s3, v16
	v_mov_b32_e32 v20, 0x7f80
	s_and_saveexec_b64 s[10:11], vcc
	s_cbranch_execz .LBB714_506
; %bb.505:
	v_and_b32_e32 v17, 7, v10
	v_ffbh_u32_e32 v17, v17
	v_min_u32_e32 v17, 32, v17
	v_subrev_u32_e32 v20, 28, v17
	v_cmp_gt_u32_e32 vcc, 8, v16
	v_lshrrev_b32_e32 v18, 3, v16
	v_sub_u32_e32 v17, 29, v17
	v_cndmask_b32_e32 v16, 0, v20, vcc
	v_cndmask_b32_e32 v18, v18, v17, vcc
	v_lshlrev_b64 v[16:17], v16, v[10:11]
	v_lshlrev_b32_e32 v16, 20, v16
	v_lshlrev_b32_e32 v17, 24, v10
	v_bfrev_b32_e32 v20, 60
	v_and_b32_e32 v16, 0x700000, v16
	v_and_b32_e32 v17, 0x80000000, v17
	v_lshl_add_u32 v18, v18, 23, v20
	v_or3_b32 v16, v17, v18, v16
	v_lshrrev_b32_e32 v20, 16, v16
.LBB714_506:
	s_or_b64 exec, exec, s[10:11]
.LBB714_507:
	s_or_b64 exec, exec, s[6:7]
.LBB714_508:
	s_or_b64 exec, exec, s[0:1]
	v_lshrrev_b16_e32 v16, 8, v10
	v_cmp_ne_u16_e32 vcc, 0, v16
	s_and_saveexec_b64 s[0:1], vcc
	s_cbranch_execz .LBB714_514
; %bb.509:
	s_movk_i32 s3, 0x80
	v_cmp_ne_u16_e32 vcc, s3, v16
	v_mov_b32_e32 v19, 0xffff8000
	s_and_saveexec_b64 s[6:7], vcc
	s_cbranch_execz .LBB714_513
; %bb.510:
	s_movk_i32 s3, 0x7f
	v_and_b32_e32 v17, 0x7f, v16
	v_cmp_ne_u32_e32 vcc, s3, v17
	v_mov_b32_e32 v19, 0x7f80
	s_and_saveexec_b64 s[10:11], vcc
	s_cbranch_execz .LBB714_512
; %bb.511:
	v_and_b32_e32 v21, 7, v16
	v_ffbh_u32_e32 v18, v21
	v_min_u32_e32 v23, 32, v18
	v_subrev_u32_e32 v18, 28, v23
	v_lshlrev_b64 v[18:19], v18, v[16:17]
	v_lshrrev_b32_e32 v22, 3, v17
	v_sub_u32_e32 v16, 29, v23
	v_and_b32_e32 v18, 7, v18
	v_cmp_gt_u32_e32 vcc, 8, v17
	v_cndmask_b32_e32 v16, v22, v16, vcc
	v_cndmask_b32_e32 v17, v21, v18, vcc
	v_lshlrev_b32_e32 v18, 16, v10
	v_bfrev_b32_e32 v19, 60
	v_lshlrev_b32_e32 v17, 20, v17
	v_and_b32_e32 v18, 0x80000000, v18
	v_lshl_add_u32 v16, v16, 23, v19
	v_or3_b32 v16, v18, v16, v17
	v_lshrrev_b32_e32 v19, 16, v16
.LBB714_512:
	s_or_b64 exec, exec, s[10:11]
.LBB714_513:
	s_or_b64 exec, exec, s[6:7]
.LBB714_514:
	s_or_b64 exec, exec, s[0:1]
	s_movk_i32 s0, 0xff
	v_and_b32_sdwa v18, v10, s0 dst_sel:DWORD dst_unused:UNUSED_PAD src0_sel:WORD_1 src1_sel:DWORD
	v_lshrrev_b32_e32 v16, 16, v10
	v_cmp_ne_u16_e32 vcc, 0, v18
	v_mov_b32_e32 v17, 0
	v_mov_b32_e32 v21, 0
	s_and_saveexec_b64 s[0:1], vcc
	s_cbranch_execz .LBB714_520
; %bb.515:
	s_movk_i32 s3, 0x80
	v_cmp_ne_u16_e32 vcc, s3, v18
	v_mov_b32_e32 v21, 0xffff8000
	s_and_saveexec_b64 s[6:7], vcc
	s_cbranch_execz .LBB714_519
; %bb.516:
	v_bfe_u32 v18, v10, 16, 7
	s_movk_i32 s3, 0x7f
	v_cmp_ne_u32_e32 vcc, s3, v18
	v_mov_b32_e32 v21, 0x7f80
	s_and_saveexec_b64 s[10:11], vcc
	s_cbranch_execz .LBB714_518
; %bb.517:
	v_and_b32_e32 v21, 7, v16
	v_ffbh_u32_e32 v22, v21
	v_min_u32_e32 v25, 32, v22
	v_subrev_u32_e32 v22, 28, v25
	v_lshlrev_b64 v[22:23], v22, v[16:17]
	v_and_b32_e32 v22, 7, v22
	v_cmp_gt_u32_e32 vcc, 8, v18
	v_lshrrev_b32_e32 v24, 3, v18
	v_sub_u32_e32 v16, 29, v25
	v_cndmask_b32_e32 v18, v21, v22, vcc
	v_mov_b32_e32 v21, 24
	v_cndmask_b32_e32 v16, v24, v16, vcc
	v_lshlrev_b32_sdwa v21, v21, v10 dst_sel:DWORD dst_unused:UNUSED_PAD src0_sel:DWORD src1_sel:WORD_1
	v_bfrev_b32_e32 v22, 60
	v_lshlrev_b32_e32 v18, 20, v18
	v_and_b32_e32 v21, 0x80000000, v21
	v_lshl_add_u32 v16, v16, 23, v22
	v_or3_b32 v16, v21, v16, v18
	v_lshrrev_b32_e32 v21, 16, v16
.LBB714_518:
	s_or_b64 exec, exec, s[10:11]
.LBB714_519:
	s_or_b64 exec, exec, s[6:7]
.LBB714_520:
	s_or_b64 exec, exec, s[0:1]
	s_mov_b32 s0, 0xffffff
	v_cmp_lt_u32_e32 vcc, s0, v10
	v_mov_b32_e32 v22, 0
	s_and_saveexec_b64 s[0:1], vcc
	s_cbranch_execz .LBB714_526
; %bb.521:
	v_lshrrev_b32_e32 v16, 24, v10
	s_movk_i32 s3, 0x80
	v_cmp_ne_u32_e32 vcc, s3, v16
	v_mov_b32_e32 v22, 0xffff8000
	s_and_saveexec_b64 s[6:7], vcc
	s_cbranch_execz .LBB714_525
; %bb.522:
	v_bfe_u32 v18, v10, 24, 7
	s_movk_i32 s3, 0x7f
	v_cmp_ne_u32_e32 vcc, s3, v18
	v_mov_b32_e32 v22, 0x7f80
	s_and_saveexec_b64 s[10:11], vcc
	s_cbranch_execz .LBB714_524
; %bb.523:
	v_and_b32_e32 v24, 7, v16
	v_ffbh_u32_e32 v22, v24
	v_min_u32_e32 v26, 32, v22
	v_subrev_u32_e32 v22, 28, v26
	v_lshlrev_b64 v[22:23], v22, v[16:17]
	v_lshrrev_b32_e32 v25, 3, v18
	v_sub_u32_e32 v23, 29, v26
	v_and_b32_e32 v22, 7, v22
	v_cmp_gt_u32_e32 vcc, 8, v18
	v_cndmask_b32_e32 v18, v25, v23, vcc
	v_cndmask_b32_e32 v22, v24, v22, vcc
	v_lshlrev_b32_e32 v16, 24, v16
	v_bfrev_b32_e32 v23, 60
	v_lshlrev_b32_e32 v22, 20, v22
	v_and_b32_e32 v16, 0x80000000, v16
	v_lshl_add_u32 v18, v18, 23, v23
	v_or3_b32 v16, v16, v18, v22
	v_lshrrev_b32_e32 v22, 16, v16
.LBB714_524:
	s_or_b64 exec, exec, s[10:11]
.LBB714_525:
	s_or_b64 exec, exec, s[6:7]
.LBB714_526:
	s_or_b64 exec, exec, s[0:1]
	v_mov_b32_e32 v23, 0
	v_mov_b32_e32 v16, v11
	v_cmp_ne_u16_sdwa s[6:7], v11, v23 src0_sel:BYTE_0 src1_sel:DWORD
	v_mov_b32_e32 v24, 0
	s_and_saveexec_b64 s[0:1], s[6:7]
	s_cbranch_execz .LBB714_532
; %bb.527:
	s_movk_i32 s3, 0x80
	v_cmp_ne_u16_sdwa s[10:11], v11, s3 src0_sel:BYTE_0 src1_sel:DWORD
	v_mov_b32_e32 v24, 0xffff8000
	s_and_saveexec_b64 s[6:7], s[10:11]
	s_cbranch_execz .LBB714_531
; %bb.528:
	s_movk_i32 s3, 0x7f
	v_and_b32_e32 v18, 0x7f, v11
	v_cmp_ne_u32_e32 vcc, s3, v18
	v_mov_b32_e32 v24, 0x7f80
	s_and_saveexec_b64 s[10:11], vcc
	s_cbranch_execz .LBB714_530
; %bb.529:
	v_and_b32_e32 v24, 7, v11
	v_ffbh_u32_e32 v24, v24
	v_min_u32_e32 v24, 32, v24
	v_lshrrev_b32_e32 v25, 3, v18
	v_subrev_u32_e32 v26, 28, v24
	v_sub_u32_e32 v24, 29, v24
	v_cmp_gt_u32_e32 vcc, 8, v18
	v_cndmask_b32_e32 v18, v25, v24, vcc
	v_cndmask_b32_e32 v24, 0, v26, vcc
	v_lshlrev_b64 v[24:25], v24, v[16:17]
	v_lshlrev_b32_e32 v17, 20, v24
	v_lshlrev_b32_e32 v24, 24, v16
	v_bfrev_b32_e32 v25, 60
	v_and_b32_e32 v17, 0x700000, v17
	v_and_b32_e32 v24, 0x80000000, v24
	v_lshl_add_u32 v18, v18, 23, v25
	v_or3_b32 v17, v24, v18, v17
	v_lshrrev_b32_e32 v24, 16, v17
.LBB714_530:
	s_or_b64 exec, exec, s[10:11]
.LBB714_531:
	s_or_b64 exec, exec, s[6:7]
.LBB714_532:
	s_or_b64 exec, exec, s[0:1]
	v_lshrrev_b16_e32 v18, 8, v16
	v_cmp_ne_u16_e32 vcc, 0, v18
	s_and_saveexec_b64 s[0:1], vcc
	s_cbranch_execz .LBB714_538
; %bb.533:
	s_movk_i32 s3, 0x80
	v_cmp_ne_u16_e32 vcc, s3, v18
	v_mov_b32_e32 v23, 0xffff8000
	s_and_saveexec_b64 s[6:7], vcc
	s_cbranch_execz .LBB714_537
; %bb.534:
	s_movk_i32 s3, 0x7f
	v_and_b32_e32 v17, 0x7f, v18
	v_cmp_ne_u32_e32 vcc, s3, v17
	v_mov_b32_e32 v23, 0x7f80
	s_and_saveexec_b64 s[10:11], vcc
	s_cbranch_execz .LBB714_536
; %bb.535:
	v_and_b32_e32 v23, 7, v18
	v_ffbh_u32_e32 v26, v23
	v_min_u32_e32 v28, 32, v26
	v_subrev_u32_e32 v26, 28, v28
	v_lshlrev_b64 v[26:27], v26, v[18:19]
	v_lshrrev_b32_e32 v25, 3, v17
	v_sub_u32_e32 v18, 29, v28
	v_and_b32_e32 v26, 7, v26
	v_cmp_gt_u32_e32 vcc, 8, v17
	v_cndmask_b32_e32 v17, v25, v18, vcc
	v_cndmask_b32_e32 v18, v23, v26, vcc
	v_lshlrev_b32_e32 v16, 16, v16
	v_bfrev_b32_e32 v23, 60
	v_lshlrev_b32_e32 v18, 20, v18
	v_and_b32_e32 v16, 0x80000000, v16
	v_lshl_add_u32 v17, v17, 23, v23
	v_or3_b32 v16, v16, v17, v18
	v_lshrrev_b32_e32 v23, 16, v16
.LBB714_536:
	s_or_b64 exec, exec, s[10:11]
.LBB714_537:
	s_or_b64 exec, exec, s[6:7]
.LBB714_538:
	s_or_b64 exec, exec, s[0:1]
	s_movk_i32 s0, 0xff
	v_and_b32_sdwa v25, v11, s0 dst_sel:DWORD dst_unused:UNUSED_PAD src0_sel:WORD_1 src1_sel:DWORD
	v_lshrrev_b32_e32 v16, 16, v11
	v_cmp_ne_u16_e32 vcc, 0, v25
	v_mov_b32_e32 v17, 0
	v_mov_b32_e32 v18, 0
	s_and_saveexec_b64 s[0:1], vcc
	s_cbranch_execz .LBB714_544
; %bb.539:
	s_movk_i32 s3, 0x80
	v_cmp_ne_u16_e32 vcc, s3, v25
	v_mov_b32_e32 v18, 0xffff8000
	s_and_saveexec_b64 s[6:7], vcc
	s_cbranch_execz .LBB714_543
; %bb.540:
	v_bfe_u32 v25, v11, 16, 7
	s_movk_i32 s3, 0x7f
	v_cmp_ne_u32_e32 vcc, s3, v25
	v_mov_b32_e32 v18, 0x7f80
	s_and_saveexec_b64 s[10:11], vcc
	s_cbranch_execz .LBB714_542
; %bb.541:
	v_and_b32_e32 v18, 7, v16
	v_ffbh_u32_e32 v26, v18
	v_min_u32_e32 v29, 32, v26
	v_subrev_u32_e32 v26, 28, v29
	v_lshlrev_b64 v[26:27], v26, v[16:17]
	v_lshrrev_b32_e32 v28, 3, v25
	v_sub_u32_e32 v16, 29, v29
	v_and_b32_e32 v26, 7, v26
	v_cmp_gt_u32_e32 vcc, 8, v25
	v_mov_b32_e32 v25, 24
	v_cndmask_b32_e32 v16, v28, v16, vcc
	v_cndmask_b32_e32 v18, v18, v26, vcc
	v_lshlrev_b32_sdwa v25, v25, v11 dst_sel:DWORD dst_unused:UNUSED_PAD src0_sel:DWORD src1_sel:WORD_1
	v_bfrev_b32_e32 v26, 60
	v_lshlrev_b32_e32 v18, 20, v18
	v_and_b32_e32 v25, 0x80000000, v25
	v_lshl_add_u32 v16, v16, 23, v26
	v_or3_b32 v16, v25, v16, v18
	v_lshrrev_b32_e32 v18, 16, v16
.LBB714_542:
	s_or_b64 exec, exec, s[10:11]
.LBB714_543:
	s_or_b64 exec, exec, s[6:7]
.LBB714_544:
	s_or_b64 exec, exec, s[0:1]
	s_mov_b32 s0, -1
	s_mov_b32 s1, 0xffffff
	v_cmp_lt_u64_e32 vcc, s[0:1], v[10:11]
	s_and_saveexec_b64 s[0:1], vcc
	s_cbranch_execz .LBB714_550
; %bb.545:
	v_lshrrev_b32_e32 v10, 24, v11
	s_movk_i32 s3, 0x80
	v_cmp_ne_u32_e32 vcc, s3, v10
	v_mov_b32_e32 v17, 0xffff8000
	s_and_saveexec_b64 s[6:7], vcc
	s_cbranch_execz .LBB714_549
; %bb.546:
	v_bfe_u32 v11, v11, 24, 7
	s_movk_i32 s3, 0x7f
	v_cmp_ne_u32_e32 vcc, s3, v11
	v_mov_b32_e32 v17, 0x7f80
	s_and_saveexec_b64 s[10:11], vcc
	s_cbranch_execz .LBB714_548
; %bb.547:
	v_and_b32_e32 v25, 7, v10
	v_ffbh_u32_e32 v16, v25
	v_min_u32_e32 v27, 32, v16
	v_subrev_u32_e32 v16, 28, v27
	v_lshlrev_b64 v[16:17], v16, v[10:11]
	v_lshrrev_b32_e32 v26, 3, v11
	v_sub_u32_e32 v17, 29, v27
	v_and_b32_e32 v16, 7, v16
	v_cmp_gt_u32_e32 vcc, 8, v11
	v_cndmask_b32_e32 v11, v26, v17, vcc
	v_cndmask_b32_e32 v16, v25, v16, vcc
	v_lshlrev_b32_e32 v10, 24, v10
	v_bfrev_b32_e32 v17, 60
	v_lshlrev_b32_e32 v16, 20, v16
	v_and_b32_e32 v10, 0x80000000, v10
	v_lshl_add_u32 v11, v11, 23, v17
	v_or3_b32 v10, v10, v11, v16
	v_lshrrev_b32_e32 v17, 16, v10
.LBB714_548:
	s_or_b64 exec, exec, s[10:11]
.LBB714_549:
	s_or_b64 exec, exec, s[6:7]
.LBB714_550:
	s_or_b64 exec, exec, s[0:1]
	s_mov_b32 s0, 0x5040100
	v_perm_b32 v11, v22, v21, s0
	v_perm_b32 v10, v19, v20, s0
	v_perm_b32 v17, v17, v18, s0
	v_perm_b32 v16, v23, v24, s0
	v_mfma_f32_4x4x4bf16_1k a[0:3], v[14:15], v[10:11], a[0:3] cbsz:4 abid:4
	v_mov_b32_e32 v18, 0
	v_mfma_f32_4x4x4bf16_1k a[0:3], v[14:15], v[16:17], a[0:3] cbsz:4 abid:5
	v_mov_b32_e32 v17, 0
	v_cmp_ne_u16_sdwa s[6:7], v12, v17 src0_sel:BYTE_0 src1_sel:DWORD
	s_and_saveexec_b64 s[0:1], s[6:7]
	s_cbranch_execz .LBB714_556
; %bb.551:
	s_movk_i32 s3, 0x80
	v_cmp_ne_u16_sdwa s[10:11], v12, s3 src0_sel:BYTE_0 src1_sel:DWORD
	v_mov_b32_e32 v18, 0xffff8000
	s_and_saveexec_b64 s[6:7], s[10:11]
	s_cbranch_execz .LBB714_555
; %bb.552:
	s_movk_i32 s3, 0x7f
	v_and_b32_e32 v10, 0x7f, v12
	v_cmp_ne_u32_e32 vcc, s3, v10
	v_mov_b32_e32 v18, 0x7f80
	s_and_saveexec_b64 s[10:11], vcc
	s_cbranch_execz .LBB714_554
; %bb.553:
	v_and_b32_e32 v11, 7, v12
	v_ffbh_u32_e32 v11, v11
	v_min_u32_e32 v11, 32, v11
	v_subrev_u32_e32 v18, 28, v11
	v_cmp_gt_u32_e32 vcc, 8, v10
	v_lshrrev_b32_e32 v16, 3, v10
	v_sub_u32_e32 v11, 29, v11
	v_cndmask_b32_e32 v10, 0, v18, vcc
	v_cndmask_b32_e32 v16, v16, v11, vcc
	v_lshlrev_b64 v[10:11], v10, v[12:13]
	v_lshlrev_b32_e32 v10, 20, v10
	v_lshlrev_b32_e32 v11, 24, v12
	v_bfrev_b32_e32 v18, 60
	v_and_b32_e32 v10, 0x700000, v10
	v_and_b32_e32 v11, 0x80000000, v11
	v_lshl_add_u32 v16, v16, 23, v18
	v_or3_b32 v10, v11, v16, v10
	v_lshrrev_b32_e32 v18, 16, v10
.LBB714_554:
	s_or_b64 exec, exec, s[10:11]
.LBB714_555:
	s_or_b64 exec, exec, s[6:7]
.LBB714_556:
	s_or_b64 exec, exec, s[0:1]
	v_lshrrev_b16_e32 v10, 8, v12
	v_cmp_ne_u16_e32 vcc, 0, v10
	s_and_saveexec_b64 s[0:1], vcc
	s_cbranch_execz .LBB714_562
; %bb.557:
	s_movk_i32 s3, 0x80
	v_cmp_ne_u16_e32 vcc, s3, v10
	v_mov_b32_e32 v17, 0xffff8000
	s_and_saveexec_b64 s[6:7], vcc
	s_cbranch_execz .LBB714_561
; %bb.558:
	s_movk_i32 s3, 0x7f
	v_and_b32_e32 v11, 0x7f, v10
	v_cmp_ne_u32_e32 vcc, s3, v11
	v_mov_b32_e32 v17, 0x7f80
	s_and_saveexec_b64 s[10:11], vcc
	s_cbranch_execz .LBB714_560
; %bb.559:
	v_and_b32_e32 v19, 7, v10
	v_ffbh_u32_e32 v16, v19
	v_min_u32_e32 v21, 32, v16
	v_subrev_u32_e32 v16, 28, v21
	v_lshlrev_b64 v[16:17], v16, v[10:11]
	v_lshrrev_b32_e32 v20, 3, v11
	v_sub_u32_e32 v10, 29, v21
	v_and_b32_e32 v16, 7, v16
	v_cmp_gt_u32_e32 vcc, 8, v11
	v_cndmask_b32_e32 v10, v20, v10, vcc
	v_cndmask_b32_e32 v11, v19, v16, vcc
	v_lshlrev_b32_e32 v16, 16, v12
	v_bfrev_b32_e32 v17, 60
	v_lshlrev_b32_e32 v11, 20, v11
	v_and_b32_e32 v16, 0x80000000, v16
	v_lshl_add_u32 v10, v10, 23, v17
	v_or3_b32 v10, v16, v10, v11
	v_lshrrev_b32_e32 v17, 16, v10
.LBB714_560:
	s_or_b64 exec, exec, s[10:11]
.LBB714_561:
	s_or_b64 exec, exec, s[6:7]
.LBB714_562:
	s_or_b64 exec, exec, s[0:1]
	s_movk_i32 s0, 0xff
	v_and_b32_sdwa v16, v12, s0 dst_sel:DWORD dst_unused:UNUSED_PAD src0_sel:WORD_1 src1_sel:DWORD
	v_lshrrev_b32_e32 v10, 16, v12
	v_cmp_ne_u16_e32 vcc, 0, v16
	v_mov_b32_e32 v11, 0
	v_mov_b32_e32 v19, 0
	s_and_saveexec_b64 s[0:1], vcc
	s_cbranch_execz .LBB714_568
; %bb.563:
	s_movk_i32 s3, 0x80
	v_cmp_ne_u16_e32 vcc, s3, v16
	v_mov_b32_e32 v19, 0xffff8000
	s_and_saveexec_b64 s[6:7], vcc
	s_cbranch_execz .LBB714_567
; %bb.564:
	v_bfe_u32 v16, v12, 16, 7
	s_movk_i32 s3, 0x7f
	v_cmp_ne_u32_e32 vcc, s3, v16
	v_mov_b32_e32 v19, 0x7f80
	s_and_saveexec_b64 s[10:11], vcc
	s_cbranch_execz .LBB714_566
; %bb.565:
	v_and_b32_e32 v19, 7, v10
	v_ffbh_u32_e32 v20, v19
	v_min_u32_e32 v23, 32, v20
	v_subrev_u32_e32 v20, 28, v23
	v_lshlrev_b64 v[20:21], v20, v[10:11]
	v_and_b32_e32 v20, 7, v20
	v_cmp_gt_u32_e32 vcc, 8, v16
	v_lshrrev_b32_e32 v22, 3, v16
	v_sub_u32_e32 v10, 29, v23
	v_cndmask_b32_e32 v16, v19, v20, vcc
	v_mov_b32_e32 v19, 24
	v_cndmask_b32_e32 v10, v22, v10, vcc
	v_lshlrev_b32_sdwa v19, v19, v12 dst_sel:DWORD dst_unused:UNUSED_PAD src0_sel:DWORD src1_sel:WORD_1
	v_bfrev_b32_e32 v20, 60
	v_lshlrev_b32_e32 v16, 20, v16
	v_and_b32_e32 v19, 0x80000000, v19
	v_lshl_add_u32 v10, v10, 23, v20
	v_or3_b32 v10, v19, v10, v16
	v_lshrrev_b32_e32 v19, 16, v10
.LBB714_566:
	s_or_b64 exec, exec, s[10:11]
.LBB714_567:
	s_or_b64 exec, exec, s[6:7]
.LBB714_568:
	s_or_b64 exec, exec, s[0:1]
	s_mov_b32 s0, 0xffffff
	v_cmp_lt_u32_e32 vcc, s0, v12
	v_mov_b32_e32 v20, 0
	s_and_saveexec_b64 s[0:1], vcc
	s_cbranch_execz .LBB714_574
; %bb.569:
	v_lshrrev_b32_e32 v10, 24, v12
	s_movk_i32 s3, 0x80
	v_cmp_ne_u32_e32 vcc, s3, v10
	v_mov_b32_e32 v20, 0xffff8000
	s_and_saveexec_b64 s[6:7], vcc
	s_cbranch_execz .LBB714_573
; %bb.570:
	v_bfe_u32 v16, v12, 24, 7
	s_movk_i32 s3, 0x7f
	v_cmp_ne_u32_e32 vcc, s3, v16
	v_mov_b32_e32 v20, 0x7f80
	s_and_saveexec_b64 s[10:11], vcc
	s_cbranch_execz .LBB714_572
; %bb.571:
	v_and_b32_e32 v22, 7, v10
	v_ffbh_u32_e32 v20, v22
	v_min_u32_e32 v24, 32, v20
	v_subrev_u32_e32 v20, 28, v24
	v_lshlrev_b64 v[20:21], v20, v[10:11]
	v_lshrrev_b32_e32 v23, 3, v16
	v_sub_u32_e32 v21, 29, v24
	v_and_b32_e32 v20, 7, v20
	v_cmp_gt_u32_e32 vcc, 8, v16
	v_cndmask_b32_e32 v16, v23, v21, vcc
	v_cndmask_b32_e32 v20, v22, v20, vcc
	v_lshlrev_b32_e32 v10, 24, v10
	v_bfrev_b32_e32 v21, 60
	v_lshlrev_b32_e32 v20, 20, v20
	v_and_b32_e32 v10, 0x80000000, v10
	v_lshl_add_u32 v16, v16, 23, v21
	v_or3_b32 v10, v10, v16, v20
	v_lshrrev_b32_e32 v20, 16, v10
.LBB714_572:
	s_or_b64 exec, exec, s[10:11]
.LBB714_573:
	s_or_b64 exec, exec, s[6:7]
.LBB714_574:
	s_or_b64 exec, exec, s[0:1]
	v_mov_b32_e32 v21, 0
	v_mov_b32_e32 v10, v13
	v_cmp_ne_u16_sdwa s[6:7], v13, v21 src0_sel:BYTE_0 src1_sel:DWORD
	v_mov_b32_e32 v22, 0
	s_and_saveexec_b64 s[0:1], s[6:7]
	s_cbranch_execz .LBB714_580
; %bb.575:
	s_movk_i32 s3, 0x80
	v_cmp_ne_u16_sdwa s[10:11], v13, s3 src0_sel:BYTE_0 src1_sel:DWORD
	v_mov_b32_e32 v22, 0xffff8000
	s_and_saveexec_b64 s[6:7], s[10:11]
	s_cbranch_execz .LBB714_579
; %bb.576:
	s_movk_i32 s3, 0x7f
	v_and_b32_e32 v16, 0x7f, v13
	v_cmp_ne_u32_e32 vcc, s3, v16
	v_mov_b32_e32 v22, 0x7f80
	s_and_saveexec_b64 s[10:11], vcc
	s_cbranch_execz .LBB714_578
; %bb.577:
	v_and_b32_e32 v22, 7, v13
	v_ffbh_u32_e32 v22, v22
	v_min_u32_e32 v22, 32, v22
	v_lshrrev_b32_e32 v23, 3, v16
	v_subrev_u32_e32 v24, 28, v22
	v_sub_u32_e32 v22, 29, v22
	v_cmp_gt_u32_e32 vcc, 8, v16
	v_cndmask_b32_e32 v16, v23, v22, vcc
	v_cndmask_b32_e32 v22, 0, v24, vcc
	v_lshlrev_b64 v[22:23], v22, v[10:11]
	v_lshlrev_b32_e32 v11, 20, v22
	v_lshlrev_b32_e32 v22, 24, v10
	v_bfrev_b32_e32 v23, 60
	v_and_b32_e32 v11, 0x700000, v11
	v_and_b32_e32 v22, 0x80000000, v22
	v_lshl_add_u32 v16, v16, 23, v23
	v_or3_b32 v11, v22, v16, v11
	v_lshrrev_b32_e32 v22, 16, v11
.LBB714_578:
	s_or_b64 exec, exec, s[10:11]
.LBB714_579:
	s_or_b64 exec, exec, s[6:7]
.LBB714_580:
	s_or_b64 exec, exec, s[0:1]
	v_lshrrev_b16_e32 v16, 8, v10
	v_cmp_ne_u16_e32 vcc, 0, v16
	s_and_saveexec_b64 s[0:1], vcc
	s_cbranch_execz .LBB714_586
; %bb.581:
	s_movk_i32 s3, 0x80
	v_cmp_ne_u16_e32 vcc, s3, v16
	v_mov_b32_e32 v21, 0xffff8000
	s_and_saveexec_b64 s[6:7], vcc
	s_cbranch_execz .LBB714_585
; %bb.582:
	s_movk_i32 s3, 0x7f
	v_and_b32_e32 v11, 0x7f, v16
	v_cmp_ne_u32_e32 vcc, s3, v11
	v_mov_b32_e32 v21, 0x7f80
	s_and_saveexec_b64 s[10:11], vcc
	s_cbranch_execz .LBB714_584
; %bb.583:
	v_and_b32_e32 v21, 7, v16
	v_ffbh_u32_e32 v24, v21
	v_min_u32_e32 v26, 32, v24
	v_subrev_u32_e32 v24, 28, v26
	v_lshlrev_b64 v[24:25], v24, v[16:17]
	v_lshrrev_b32_e32 v23, 3, v11
	v_sub_u32_e32 v16, 29, v26
	v_and_b32_e32 v24, 7, v24
	v_cmp_gt_u32_e32 vcc, 8, v11
	v_cndmask_b32_e32 v11, v23, v16, vcc
	v_cndmask_b32_e32 v16, v21, v24, vcc
	v_lshlrev_b32_e32 v10, 16, v10
	v_bfrev_b32_e32 v21, 60
	v_lshlrev_b32_e32 v16, 20, v16
	v_and_b32_e32 v10, 0x80000000, v10
	v_lshl_add_u32 v11, v11, 23, v21
	v_or3_b32 v10, v10, v11, v16
	v_lshrrev_b32_e32 v21, 16, v10
.LBB714_584:
	s_or_b64 exec, exec, s[10:11]
.LBB714_585:
	s_or_b64 exec, exec, s[6:7]
.LBB714_586:
	s_or_b64 exec, exec, s[0:1]
	s_movk_i32 s0, 0xff
	v_and_b32_sdwa v23, v13, s0 dst_sel:DWORD dst_unused:UNUSED_PAD src0_sel:WORD_1 src1_sel:DWORD
	v_lshrrev_b32_e32 v10, 16, v13
	v_cmp_ne_u16_e32 vcc, 0, v23
	v_mov_b32_e32 v11, 0
	v_mov_b32_e32 v16, 0
	s_and_saveexec_b64 s[0:1], vcc
	s_cbranch_execz .LBB714_592
; %bb.587:
	s_movk_i32 s3, 0x80
	v_cmp_ne_u16_e32 vcc, s3, v23
	v_mov_b32_e32 v16, 0xffff8000
	s_and_saveexec_b64 s[6:7], vcc
	s_cbranch_execz .LBB714_591
; %bb.588:
	v_bfe_u32 v23, v13, 16, 7
	s_movk_i32 s3, 0x7f
	v_cmp_ne_u32_e32 vcc, s3, v23
	v_mov_b32_e32 v16, 0x7f80
	s_and_saveexec_b64 s[10:11], vcc
	s_cbranch_execz .LBB714_590
; %bb.589:
	v_and_b32_e32 v16, 7, v10
	v_ffbh_u32_e32 v24, v16
	v_min_u32_e32 v27, 32, v24
	v_subrev_u32_e32 v24, 28, v27
	v_lshlrev_b64 v[24:25], v24, v[10:11]
	v_lshrrev_b32_e32 v26, 3, v23
	v_sub_u32_e32 v10, 29, v27
	v_and_b32_e32 v24, 7, v24
	v_cmp_gt_u32_e32 vcc, 8, v23
	v_mov_b32_e32 v23, 24
	v_cndmask_b32_e32 v10, v26, v10, vcc
	v_cndmask_b32_e32 v16, v16, v24, vcc
	v_lshlrev_b32_sdwa v23, v23, v13 dst_sel:DWORD dst_unused:UNUSED_PAD src0_sel:DWORD src1_sel:WORD_1
	v_bfrev_b32_e32 v24, 60
	v_lshlrev_b32_e32 v16, 20, v16
	v_and_b32_e32 v23, 0x80000000, v23
	v_lshl_add_u32 v10, v10, 23, v24
	v_or3_b32 v10, v23, v10, v16
	v_lshrrev_b32_e32 v16, 16, v10
.LBB714_590:
	s_or_b64 exec, exec, s[10:11]
.LBB714_591:
	s_or_b64 exec, exec, s[6:7]
.LBB714_592:
	s_or_b64 exec, exec, s[0:1]
	s_mov_b32 s0, -1
	s_mov_b32 s1, 0xffffff
	v_cmp_lt_u64_e32 vcc, s[0:1], v[12:13]
	s_and_saveexec_b64 s[0:1], vcc
	s_cbranch_execz .LBB714_598
; %bb.593:
	v_lshrrev_b32_e32 v10, 24, v13
	s_movk_i32 s3, 0x80
	v_cmp_ne_u32_e32 vcc, s3, v10
	v_mov_b32_e32 v11, 0xffff8000
	s_and_saveexec_b64 s[6:7], vcc
	s_cbranch_execz .LBB714_597
; %bb.594:
	v_bfe_u32 v12, v13, 24, 7
	s_movk_i32 s3, 0x7f
	v_cmp_ne_u32_e32 vcc, s3, v12
	v_mov_b32_e32 v11, 0x7f80
	s_and_saveexec_b64 s[10:11], vcc
	s_cbranch_execz .LBB714_596
; %bb.595:
	v_and_b32_e32 v11, 7, v10
	v_ffbh_u32_e32 v23, v11
	v_min_u32_e32 v23, 32, v23
	v_subrev_u32_e32 v24, 28, v23
	v_lshlrev_b64 v[24:25], v24, v[10:11]
	v_lshrrev_b32_e32 v13, 3, v12
	v_sub_u32_e32 v23, 29, v23
	v_and_b32_e32 v24, 7, v24
	v_cmp_gt_u32_e32 vcc, 8, v12
	v_cndmask_b32_e32 v12, v13, v23, vcc
	v_cndmask_b32_e32 v11, v11, v24, vcc
	v_lshlrev_b32_e32 v10, 24, v10
	v_bfrev_b32_e32 v13, 60
	v_lshlrev_b32_e32 v11, 20, v11
	v_and_b32_e32 v10, 0x80000000, v10
	v_lshl_add_u32 v12, v12, 23, v13
	v_or3_b32 v10, v10, v12, v11
	v_lshrrev_b32_e32 v11, 16, v10
.LBB714_596:
	s_or_b64 exec, exec, s[10:11]
.LBB714_597:
	s_or_b64 exec, exec, s[6:7]
.LBB714_598:
	s_or_b64 exec, exec, s[0:1]
	s_mov_b32 s0, 0x5040100
	v_perm_b32 v13, v20, v19, s0
	v_perm_b32 v12, v17, v18, s0
	;; [unrolled: 1-line block ×4, first 2 shown]
	v_mfma_f32_4x4x4bf16_1k a[0:3], v[14:15], v[12:13], a[0:3] cbsz:4 abid:6
	v_mov_b32_e32 v13, 0
	v_mfma_f32_4x4x4bf16_1k a[0:3], v[14:15], v[10:11], a[0:3] cbsz:4 abid:7
	s_waitcnt vmcnt(0)
	v_cmp_ne_u16_sdwa s[6:7], v6, v13 src0_sel:BYTE_0 src1_sel:DWORD
	v_mov_b32_e32 v16, 0
	s_and_saveexec_b64 s[0:1], s[6:7]
	s_cbranch_execz .LBB714_604
; %bb.599:
	s_movk_i32 s3, 0x80
	v_cmp_ne_u16_sdwa s[10:11], v6, s3 src0_sel:BYTE_0 src1_sel:DWORD
	v_mov_b32_e32 v16, 0xffff8000
	s_and_saveexec_b64 s[6:7], s[10:11]
	s_cbranch_execz .LBB714_603
; %bb.600:
	s_movk_i32 s3, 0x7f
	v_and_b32_e32 v10, 0x7f, v6
	v_cmp_ne_u32_e32 vcc, s3, v10
	v_mov_b32_e32 v16, 0x7f80
	s_and_saveexec_b64 s[10:11], vcc
	s_cbranch_execz .LBB714_602
; %bb.601:
	v_and_b32_e32 v11, 7, v6
	v_ffbh_u32_e32 v11, v11
	v_min_u32_e32 v11, 32, v11
	v_subrev_u32_e32 v16, 28, v11
	v_cmp_gt_u32_e32 vcc, 8, v10
	v_lshrrev_b32_e32 v12, 3, v10
	v_sub_u32_e32 v11, 29, v11
	v_cndmask_b32_e32 v10, 0, v16, vcc
	v_cndmask_b32_e32 v12, v12, v11, vcc
	v_lshlrev_b64 v[10:11], v10, v[6:7]
	v_lshlrev_b32_e32 v10, 20, v10
	v_lshlrev_b32_e32 v11, 24, v6
	v_bfrev_b32_e32 v16, 60
	v_and_b32_e32 v10, 0x700000, v10
	v_and_b32_e32 v11, 0x80000000, v11
	v_lshl_add_u32 v12, v12, 23, v16
	v_or3_b32 v10, v11, v12, v10
	v_lshrrev_b32_e32 v16, 16, v10
.LBB714_602:
	s_or_b64 exec, exec, s[10:11]
.LBB714_603:
	s_or_b64 exec, exec, s[6:7]
.LBB714_604:
	s_or_b64 exec, exec, s[0:1]
	v_lshrrev_b16_e32 v10, 8, v6
	v_cmp_ne_u16_e32 vcc, 0, v10
	s_and_saveexec_b64 s[0:1], vcc
	s_cbranch_execz .LBB714_610
; %bb.605:
	s_movk_i32 s3, 0x80
	v_cmp_ne_u16_e32 vcc, s3, v10
	v_mov_b32_e32 v13, 0xffff8000
	s_and_saveexec_b64 s[6:7], vcc
	s_cbranch_execz .LBB714_609
; %bb.606:
	s_movk_i32 s3, 0x7f
	v_and_b32_e32 v11, 0x7f, v10
	v_cmp_ne_u32_e32 vcc, s3, v11
	v_mov_b32_e32 v13, 0x7f80
	s_and_saveexec_b64 s[10:11], vcc
	s_cbranch_execz .LBB714_608
; %bb.607:
	v_and_b32_e32 v17, 7, v10
	v_ffbh_u32_e32 v12, v17
	v_min_u32_e32 v19, 32, v12
	v_subrev_u32_e32 v12, 28, v19
	v_lshlrev_b64 v[12:13], v12, v[10:11]
	v_lshrrev_b32_e32 v18, 3, v11
	v_sub_u32_e32 v10, 29, v19
	v_and_b32_e32 v12, 7, v12
	v_cmp_gt_u32_e32 vcc, 8, v11
	v_cndmask_b32_e32 v10, v18, v10, vcc
	v_cndmask_b32_e32 v11, v17, v12, vcc
	v_lshlrev_b32_e32 v12, 16, v6
	v_bfrev_b32_e32 v13, 60
	v_lshlrev_b32_e32 v11, 20, v11
	v_and_b32_e32 v12, 0x80000000, v12
	v_lshl_add_u32 v10, v10, 23, v13
	v_or3_b32 v10, v12, v10, v11
	v_lshrrev_b32_e32 v13, 16, v10
.LBB714_608:
	s_or_b64 exec, exec, s[10:11]
.LBB714_609:
	s_or_b64 exec, exec, s[6:7]
.LBB714_610:
	s_or_b64 exec, exec, s[0:1]
	s_movk_i32 s0, 0xff
	v_and_b32_sdwa v12, v6, s0 dst_sel:DWORD dst_unused:UNUSED_PAD src0_sel:WORD_1 src1_sel:DWORD
	v_lshrrev_b32_e32 v10, 16, v6
	v_cmp_ne_u16_e32 vcc, 0, v12
	v_mov_b32_e32 v11, 0
	v_mov_b32_e32 v17, 0
	s_and_saveexec_b64 s[0:1], vcc
	s_cbranch_execz .LBB714_616
; %bb.611:
	s_movk_i32 s3, 0x80
	v_cmp_ne_u16_e32 vcc, s3, v12
	v_mov_b32_e32 v17, 0xffff8000
	s_and_saveexec_b64 s[6:7], vcc
	s_cbranch_execz .LBB714_615
; %bb.612:
	v_bfe_u32 v12, v6, 16, 7
	s_movk_i32 s3, 0x7f
	v_cmp_ne_u32_e32 vcc, s3, v12
	v_mov_b32_e32 v17, 0x7f80
	s_and_saveexec_b64 s[10:11], vcc
	s_cbranch_execz .LBB714_614
; %bb.613:
	v_and_b32_e32 v17, 7, v10
	v_ffbh_u32_e32 v18, v17
	v_min_u32_e32 v21, 32, v18
	v_subrev_u32_e32 v18, 28, v21
	v_lshlrev_b64 v[18:19], v18, v[10:11]
	v_and_b32_e32 v18, 7, v18
	v_cmp_gt_u32_e32 vcc, 8, v12
	v_lshrrev_b32_e32 v20, 3, v12
	v_sub_u32_e32 v10, 29, v21
	v_cndmask_b32_e32 v12, v17, v18, vcc
	v_mov_b32_e32 v17, 24
	v_cndmask_b32_e32 v10, v20, v10, vcc
	v_lshlrev_b32_sdwa v17, v17, v6 dst_sel:DWORD dst_unused:UNUSED_PAD src0_sel:DWORD src1_sel:WORD_1
	v_bfrev_b32_e32 v18, 60
	v_lshlrev_b32_e32 v12, 20, v12
	v_and_b32_e32 v17, 0x80000000, v17
	v_lshl_add_u32 v10, v10, 23, v18
	v_or3_b32 v10, v17, v10, v12
	v_lshrrev_b32_e32 v17, 16, v10
.LBB714_614:
	s_or_b64 exec, exec, s[10:11]
.LBB714_615:
	s_or_b64 exec, exec, s[6:7]
.LBB714_616:
	s_or_b64 exec, exec, s[0:1]
	s_mov_b32 s0, 0xffffff
	v_cmp_lt_u32_e32 vcc, s0, v6
	v_mov_b32_e32 v18, 0
	s_and_saveexec_b64 s[0:1], vcc
	s_cbranch_execz .LBB714_622
; %bb.617:
	v_lshrrev_b32_e32 v10, 24, v6
	s_movk_i32 s3, 0x80
	v_cmp_ne_u32_e32 vcc, s3, v10
	v_mov_b32_e32 v18, 0xffff8000
	s_and_saveexec_b64 s[6:7], vcc
	s_cbranch_execz .LBB714_621
; %bb.618:
	v_bfe_u32 v12, v6, 24, 7
	s_movk_i32 s3, 0x7f
	v_cmp_ne_u32_e32 vcc, s3, v12
	v_mov_b32_e32 v18, 0x7f80
	s_and_saveexec_b64 s[10:11], vcc
	s_cbranch_execz .LBB714_620
; %bb.619:
	v_and_b32_e32 v20, 7, v10
	v_ffbh_u32_e32 v18, v20
	v_min_u32_e32 v22, 32, v18
	v_subrev_u32_e32 v18, 28, v22
	v_lshlrev_b64 v[18:19], v18, v[10:11]
	v_lshrrev_b32_e32 v21, 3, v12
	v_sub_u32_e32 v19, 29, v22
	v_and_b32_e32 v18, 7, v18
	v_cmp_gt_u32_e32 vcc, 8, v12
	v_cndmask_b32_e32 v12, v21, v19, vcc
	v_cndmask_b32_e32 v18, v20, v18, vcc
	v_lshlrev_b32_e32 v10, 24, v10
	v_bfrev_b32_e32 v19, 60
	v_lshlrev_b32_e32 v18, 20, v18
	v_and_b32_e32 v10, 0x80000000, v10
	v_lshl_add_u32 v12, v12, 23, v19
	v_or3_b32 v10, v10, v12, v18
	v_lshrrev_b32_e32 v18, 16, v10
.LBB714_620:
	s_or_b64 exec, exec, s[10:11]
.LBB714_621:
	s_or_b64 exec, exec, s[6:7]
.LBB714_622:
	s_or_b64 exec, exec, s[0:1]
	v_mov_b32_e32 v19, 0
	v_mov_b32_e32 v10, v7
	v_cmp_ne_u16_sdwa s[6:7], v7, v19 src0_sel:BYTE_0 src1_sel:DWORD
	v_mov_b32_e32 v20, 0
	s_and_saveexec_b64 s[0:1], s[6:7]
	s_cbranch_execz .LBB714_628
; %bb.623:
	s_movk_i32 s3, 0x80
	v_cmp_ne_u16_sdwa s[10:11], v7, s3 src0_sel:BYTE_0 src1_sel:DWORD
	v_mov_b32_e32 v20, 0xffff8000
	s_and_saveexec_b64 s[6:7], s[10:11]
	s_cbranch_execz .LBB714_627
; %bb.624:
	s_movk_i32 s3, 0x7f
	v_and_b32_e32 v12, 0x7f, v7
	v_cmp_ne_u32_e32 vcc, s3, v12
	v_mov_b32_e32 v20, 0x7f80
	s_and_saveexec_b64 s[10:11], vcc
	s_cbranch_execz .LBB714_626
; %bb.625:
	v_and_b32_e32 v20, 7, v7
	v_ffbh_u32_e32 v20, v20
	v_min_u32_e32 v20, 32, v20
	v_lshrrev_b32_e32 v21, 3, v12
	v_subrev_u32_e32 v22, 28, v20
	v_sub_u32_e32 v20, 29, v20
	v_cmp_gt_u32_e32 vcc, 8, v12
	v_cndmask_b32_e32 v12, v21, v20, vcc
	v_cndmask_b32_e32 v20, 0, v22, vcc
	v_lshlrev_b64 v[20:21], v20, v[10:11]
	v_lshlrev_b32_e32 v11, 20, v20
	v_lshlrev_b32_e32 v20, 24, v10
	v_bfrev_b32_e32 v21, 60
	v_and_b32_e32 v11, 0x700000, v11
	v_and_b32_e32 v20, 0x80000000, v20
	v_lshl_add_u32 v12, v12, 23, v21
	v_or3_b32 v11, v20, v12, v11
	v_lshrrev_b32_e32 v20, 16, v11
.LBB714_626:
	s_or_b64 exec, exec, s[10:11]
.LBB714_627:
	s_or_b64 exec, exec, s[6:7]
.LBB714_628:
	s_or_b64 exec, exec, s[0:1]
	v_lshrrev_b16_e32 v12, 8, v10
	v_cmp_ne_u16_e32 vcc, 0, v12
	s_and_saveexec_b64 s[0:1], vcc
	s_cbranch_execz .LBB714_634
; %bb.629:
	s_movk_i32 s3, 0x80
	v_cmp_ne_u16_e32 vcc, s3, v12
	v_mov_b32_e32 v19, 0xffff8000
	s_and_saveexec_b64 s[6:7], vcc
	s_cbranch_execz .LBB714_633
; %bb.630:
	s_movk_i32 s3, 0x7f
	v_and_b32_e32 v11, 0x7f, v12
	v_cmp_ne_u32_e32 vcc, s3, v11
	v_mov_b32_e32 v19, 0x7f80
	s_and_saveexec_b64 s[10:11], vcc
	s_cbranch_execz .LBB714_632
; %bb.631:
	v_and_b32_e32 v19, 7, v12
	v_ffbh_u32_e32 v22, v19
	v_min_u32_e32 v24, 32, v22
	v_subrev_u32_e32 v22, 28, v24
	v_lshlrev_b64 v[22:23], v22, v[12:13]
	v_lshrrev_b32_e32 v21, 3, v11
	v_sub_u32_e32 v12, 29, v24
	v_and_b32_e32 v22, 7, v22
	v_cmp_gt_u32_e32 vcc, 8, v11
	v_cndmask_b32_e32 v11, v21, v12, vcc
	v_cndmask_b32_e32 v12, v19, v22, vcc
	v_lshlrev_b32_e32 v10, 16, v10
	v_bfrev_b32_e32 v19, 60
	v_lshlrev_b32_e32 v12, 20, v12
	v_and_b32_e32 v10, 0x80000000, v10
	v_lshl_add_u32 v11, v11, 23, v19
	v_or3_b32 v10, v10, v11, v12
	v_lshrrev_b32_e32 v19, 16, v10
.LBB714_632:
	s_or_b64 exec, exec, s[10:11]
.LBB714_633:
	s_or_b64 exec, exec, s[6:7]
.LBB714_634:
	s_or_b64 exec, exec, s[0:1]
	s_movk_i32 s0, 0xff
	v_and_b32_sdwa v21, v7, s0 dst_sel:DWORD dst_unused:UNUSED_PAD src0_sel:WORD_1 src1_sel:DWORD
	v_lshrrev_b32_e32 v10, 16, v7
	v_cmp_ne_u16_e32 vcc, 0, v21
	v_mov_b32_e32 v11, 0
	v_mov_b32_e32 v12, 0
	s_and_saveexec_b64 s[0:1], vcc
	s_cbranch_execz .LBB714_640
; %bb.635:
	s_movk_i32 s3, 0x80
	v_cmp_ne_u16_e32 vcc, s3, v21
	v_mov_b32_e32 v12, 0xffff8000
	s_and_saveexec_b64 s[6:7], vcc
	s_cbranch_execz .LBB714_639
; %bb.636:
	v_bfe_u32 v21, v7, 16, 7
	s_movk_i32 s3, 0x7f
	v_cmp_ne_u32_e32 vcc, s3, v21
	v_mov_b32_e32 v12, 0x7f80
	s_and_saveexec_b64 s[10:11], vcc
	s_cbranch_execz .LBB714_638
; %bb.637:
	v_and_b32_e32 v12, 7, v10
	v_ffbh_u32_e32 v22, v12
	v_min_u32_e32 v25, 32, v22
	v_subrev_u32_e32 v22, 28, v25
	v_lshlrev_b64 v[22:23], v22, v[10:11]
	v_lshrrev_b32_e32 v24, 3, v21
	v_sub_u32_e32 v10, 29, v25
	v_and_b32_e32 v22, 7, v22
	v_cmp_gt_u32_e32 vcc, 8, v21
	v_mov_b32_e32 v21, 24
	v_cndmask_b32_e32 v10, v24, v10, vcc
	v_cndmask_b32_e32 v12, v12, v22, vcc
	v_lshlrev_b32_sdwa v21, v21, v7 dst_sel:DWORD dst_unused:UNUSED_PAD src0_sel:DWORD src1_sel:WORD_1
	v_bfrev_b32_e32 v22, 60
	v_lshlrev_b32_e32 v12, 20, v12
	v_and_b32_e32 v21, 0x80000000, v21
	v_lshl_add_u32 v10, v10, 23, v22
	v_or3_b32 v10, v21, v10, v12
	v_lshrrev_b32_e32 v12, 16, v10
.LBB714_638:
	s_or_b64 exec, exec, s[10:11]
.LBB714_639:
	s_or_b64 exec, exec, s[6:7]
.LBB714_640:
	s_or_b64 exec, exec, s[0:1]
	s_mov_b32 s0, -1
	s_mov_b32 s1, 0xffffff
	v_cmp_lt_u64_e32 vcc, s[0:1], v[6:7]
	s_and_saveexec_b64 s[0:1], vcc
	s_cbranch_execz .LBB714_646
; %bb.641:
	v_lshrrev_b32_e32 v6, 24, v7
	s_movk_i32 s3, 0x80
	v_cmp_ne_u32_e32 vcc, s3, v6
	v_mov_b32_e32 v11, 0xffff8000
	s_and_saveexec_b64 s[6:7], vcc
	s_cbranch_execz .LBB714_645
; %bb.642:
	v_bfe_u32 v7, v7, 24, 7
	s_movk_i32 s3, 0x7f
	v_cmp_ne_u32_e32 vcc, s3, v7
	v_mov_b32_e32 v11, 0x7f80
	s_and_saveexec_b64 s[10:11], vcc
	s_cbranch_execz .LBB714_644
; %bb.643:
	v_and_b32_e32 v21, 7, v6
	v_ffbh_u32_e32 v10, v21
	v_min_u32_e32 v23, 32, v10
	v_subrev_u32_e32 v10, 28, v23
	v_lshlrev_b64 v[10:11], v10, v[6:7]
	v_lshrrev_b32_e32 v22, 3, v7
	v_sub_u32_e32 v11, 29, v23
	v_and_b32_e32 v10, 7, v10
	v_cmp_gt_u32_e32 vcc, 8, v7
	v_cndmask_b32_e32 v7, v22, v11, vcc
	v_cndmask_b32_e32 v10, v21, v10, vcc
	v_lshlrev_b32_e32 v6, 24, v6
	v_bfrev_b32_e32 v11, 60
	v_lshlrev_b32_e32 v10, 20, v10
	v_and_b32_e32 v6, 0x80000000, v6
	v_lshl_add_u32 v7, v7, 23, v11
	v_or3_b32 v6, v6, v7, v10
	v_lshrrev_b32_e32 v11, 16, v6
.LBB714_644:
	s_or_b64 exec, exec, s[10:11]
.LBB714_645:
	s_or_b64 exec, exec, s[6:7]
.LBB714_646:
	s_or_b64 exec, exec, s[0:1]
	s_mov_b32 s0, 0x5040100
	v_perm_b32 v7, v18, v17, s0
	v_perm_b32 v6, v13, v16, s0
	v_perm_b32 v11, v11, v12, s0
	v_perm_b32 v10, v19, v20, s0
	v_mfma_f32_4x4x4bf16_1k a[0:3], v[14:15], v[6:7], a[0:3] cbsz:4 abid:8
	v_mov_b32_e32 v12, 0
	v_mfma_f32_4x4x4bf16_1k a[0:3], v[14:15], v[10:11], a[0:3] cbsz:4 abid:9
	v_mov_b32_e32 v11, 0
	v_cmp_ne_u16_sdwa s[6:7], v8, v11 src0_sel:BYTE_0 src1_sel:DWORD
	s_and_saveexec_b64 s[0:1], s[6:7]
	s_cbranch_execz .LBB714_652
; %bb.647:
	s_movk_i32 s3, 0x80
	v_cmp_ne_u16_sdwa s[10:11], v8, s3 src0_sel:BYTE_0 src1_sel:DWORD
	v_mov_b32_e32 v12, 0xffff8000
	s_and_saveexec_b64 s[6:7], s[10:11]
	s_cbranch_execz .LBB714_651
; %bb.648:
	s_movk_i32 s3, 0x7f
	v_and_b32_e32 v6, 0x7f, v8
	v_cmp_ne_u32_e32 vcc, s3, v6
	v_mov_b32_e32 v12, 0x7f80
	s_and_saveexec_b64 s[10:11], vcc
	s_cbranch_execz .LBB714_650
; %bb.649:
	v_and_b32_e32 v7, 7, v8
	v_ffbh_u32_e32 v7, v7
	v_min_u32_e32 v7, 32, v7
	v_subrev_u32_e32 v12, 28, v7
	v_cmp_gt_u32_e32 vcc, 8, v6
	v_lshrrev_b32_e32 v10, 3, v6
	v_sub_u32_e32 v7, 29, v7
	v_cndmask_b32_e32 v6, 0, v12, vcc
	v_cndmask_b32_e32 v10, v10, v7, vcc
	v_lshlrev_b64 v[6:7], v6, v[8:9]
	v_lshlrev_b32_e32 v6, 20, v6
	v_lshlrev_b32_e32 v7, 24, v8
	v_bfrev_b32_e32 v12, 60
	v_and_b32_e32 v6, 0x700000, v6
	v_and_b32_e32 v7, 0x80000000, v7
	v_lshl_add_u32 v10, v10, 23, v12
	v_or3_b32 v6, v7, v10, v6
	v_lshrrev_b32_e32 v12, 16, v6
.LBB714_650:
	s_or_b64 exec, exec, s[10:11]
.LBB714_651:
	s_or_b64 exec, exec, s[6:7]
.LBB714_652:
	s_or_b64 exec, exec, s[0:1]
	v_lshrrev_b16_e32 v6, 8, v8
	v_cmp_ne_u16_e32 vcc, 0, v6
	s_and_saveexec_b64 s[0:1], vcc
	s_cbranch_execz .LBB714_658
; %bb.653:
	s_movk_i32 s3, 0x80
	v_cmp_ne_u16_e32 vcc, s3, v6
	v_mov_b32_e32 v11, 0xffff8000
	s_and_saveexec_b64 s[6:7], vcc
	s_cbranch_execz .LBB714_657
; %bb.654:
	s_movk_i32 s3, 0x7f
	v_and_b32_e32 v7, 0x7f, v6
	v_cmp_ne_u32_e32 vcc, s3, v7
	v_mov_b32_e32 v11, 0x7f80
	s_and_saveexec_b64 s[10:11], vcc
	s_cbranch_execz .LBB714_656
; %bb.655:
	v_and_b32_e32 v13, 7, v6
	v_ffbh_u32_e32 v10, v13
	v_min_u32_e32 v17, 32, v10
	v_subrev_u32_e32 v10, 28, v17
	v_lshlrev_b64 v[10:11], v10, v[6:7]
	v_lshrrev_b32_e32 v16, 3, v7
	v_sub_u32_e32 v6, 29, v17
	v_and_b32_e32 v10, 7, v10
	v_cmp_gt_u32_e32 vcc, 8, v7
	v_cndmask_b32_e32 v6, v16, v6, vcc
	v_cndmask_b32_e32 v7, v13, v10, vcc
	v_lshlrev_b32_e32 v10, 16, v8
	v_bfrev_b32_e32 v11, 60
	v_lshlrev_b32_e32 v7, 20, v7
	v_and_b32_e32 v10, 0x80000000, v10
	v_lshl_add_u32 v6, v6, 23, v11
	v_or3_b32 v6, v10, v6, v7
	v_lshrrev_b32_e32 v11, 16, v6
.LBB714_656:
	s_or_b64 exec, exec, s[10:11]
.LBB714_657:
	s_or_b64 exec, exec, s[6:7]
.LBB714_658:
	s_or_b64 exec, exec, s[0:1]
	s_movk_i32 s0, 0xff
	v_and_b32_sdwa v10, v8, s0 dst_sel:DWORD dst_unused:UNUSED_PAD src0_sel:WORD_1 src1_sel:DWORD
	v_lshrrev_b32_e32 v6, 16, v8
	v_cmp_ne_u16_e32 vcc, 0, v10
	v_mov_b32_e32 v7, 0
	v_mov_b32_e32 v13, 0
	s_and_saveexec_b64 s[0:1], vcc
	s_cbranch_execz .LBB714_664
; %bb.659:
	s_movk_i32 s3, 0x80
	v_cmp_ne_u16_e32 vcc, s3, v10
	v_mov_b32_e32 v13, 0xffff8000
	s_and_saveexec_b64 s[6:7], vcc
	s_cbranch_execz .LBB714_663
; %bb.660:
	v_bfe_u32 v10, v8, 16, 7
	s_movk_i32 s3, 0x7f
	v_cmp_ne_u32_e32 vcc, s3, v10
	v_mov_b32_e32 v13, 0x7f80
	s_and_saveexec_b64 s[10:11], vcc
	s_cbranch_execz .LBB714_662
; %bb.661:
	v_and_b32_e32 v13, 7, v6
	v_ffbh_u32_e32 v16, v13
	v_min_u32_e32 v19, 32, v16
	v_subrev_u32_e32 v16, 28, v19
	v_lshlrev_b64 v[16:17], v16, v[6:7]
	v_and_b32_e32 v16, 7, v16
	v_cmp_gt_u32_e32 vcc, 8, v10
	v_lshrrev_b32_e32 v18, 3, v10
	v_sub_u32_e32 v6, 29, v19
	v_cndmask_b32_e32 v10, v13, v16, vcc
	v_mov_b32_e32 v13, 24
	v_cndmask_b32_e32 v6, v18, v6, vcc
	v_lshlrev_b32_sdwa v13, v13, v8 dst_sel:DWORD dst_unused:UNUSED_PAD src0_sel:DWORD src1_sel:WORD_1
	v_bfrev_b32_e32 v16, 60
	v_lshlrev_b32_e32 v10, 20, v10
	v_and_b32_e32 v13, 0x80000000, v13
	v_lshl_add_u32 v6, v6, 23, v16
	v_or3_b32 v6, v13, v6, v10
	v_lshrrev_b32_e32 v13, 16, v6
.LBB714_662:
	s_or_b64 exec, exec, s[10:11]
.LBB714_663:
	s_or_b64 exec, exec, s[6:7]
.LBB714_664:
	s_or_b64 exec, exec, s[0:1]
	s_mov_b32 s0, 0xffffff
	v_cmp_lt_u32_e32 vcc, s0, v8
	v_mov_b32_e32 v16, 0
	s_and_saveexec_b64 s[0:1], vcc
	s_cbranch_execz .LBB714_670
; %bb.665:
	v_lshrrev_b32_e32 v6, 24, v8
	s_movk_i32 s3, 0x80
	v_cmp_ne_u32_e32 vcc, s3, v6
	v_mov_b32_e32 v16, 0xffff8000
	s_and_saveexec_b64 s[6:7], vcc
	s_cbranch_execz .LBB714_669
; %bb.666:
	v_bfe_u32 v10, v8, 24, 7
	s_movk_i32 s3, 0x7f
	v_cmp_ne_u32_e32 vcc, s3, v10
	v_mov_b32_e32 v16, 0x7f80
	s_and_saveexec_b64 s[10:11], vcc
	s_cbranch_execz .LBB714_668
; %bb.667:
	v_and_b32_e32 v18, 7, v6
	v_ffbh_u32_e32 v16, v18
	v_min_u32_e32 v20, 32, v16
	v_subrev_u32_e32 v16, 28, v20
	v_lshlrev_b64 v[16:17], v16, v[6:7]
	v_lshrrev_b32_e32 v19, 3, v10
	v_sub_u32_e32 v17, 29, v20
	v_and_b32_e32 v16, 7, v16
	v_cmp_gt_u32_e32 vcc, 8, v10
	v_cndmask_b32_e32 v10, v19, v17, vcc
	v_cndmask_b32_e32 v16, v18, v16, vcc
	v_lshlrev_b32_e32 v6, 24, v6
	v_bfrev_b32_e32 v17, 60
	v_lshlrev_b32_e32 v16, 20, v16
	v_and_b32_e32 v6, 0x80000000, v6
	v_lshl_add_u32 v10, v10, 23, v17
	v_or3_b32 v6, v6, v10, v16
	v_lshrrev_b32_e32 v16, 16, v6
.LBB714_668:
	s_or_b64 exec, exec, s[10:11]
.LBB714_669:
	s_or_b64 exec, exec, s[6:7]
.LBB714_670:
	s_or_b64 exec, exec, s[0:1]
	v_mov_b32_e32 v17, 0
	v_mov_b32_e32 v6, v9
	v_cmp_ne_u16_sdwa s[6:7], v9, v17 src0_sel:BYTE_0 src1_sel:DWORD
	v_mov_b32_e32 v18, 0
	s_and_saveexec_b64 s[0:1], s[6:7]
	s_cbranch_execz .LBB714_676
; %bb.671:
	s_movk_i32 s3, 0x80
	v_cmp_ne_u16_sdwa s[10:11], v9, s3 src0_sel:BYTE_0 src1_sel:DWORD
	v_mov_b32_e32 v18, 0xffff8000
	s_and_saveexec_b64 s[6:7], s[10:11]
	s_cbranch_execz .LBB714_675
; %bb.672:
	s_movk_i32 s3, 0x7f
	v_and_b32_e32 v10, 0x7f, v9
	v_cmp_ne_u32_e32 vcc, s3, v10
	v_mov_b32_e32 v18, 0x7f80
	s_and_saveexec_b64 s[10:11], vcc
	s_cbranch_execz .LBB714_674
; %bb.673:
	v_and_b32_e32 v18, 7, v9
	v_ffbh_u32_e32 v18, v18
	v_min_u32_e32 v18, 32, v18
	v_lshrrev_b32_e32 v19, 3, v10
	v_subrev_u32_e32 v20, 28, v18
	v_sub_u32_e32 v18, 29, v18
	v_cmp_gt_u32_e32 vcc, 8, v10
	v_cndmask_b32_e32 v10, v19, v18, vcc
	v_cndmask_b32_e32 v18, 0, v20, vcc
	v_lshlrev_b64 v[18:19], v18, v[6:7]
	v_lshlrev_b32_e32 v7, 20, v18
	v_lshlrev_b32_e32 v18, 24, v6
	v_bfrev_b32_e32 v19, 60
	v_and_b32_e32 v7, 0x700000, v7
	v_and_b32_e32 v18, 0x80000000, v18
	v_lshl_add_u32 v10, v10, 23, v19
	v_or3_b32 v7, v18, v10, v7
	v_lshrrev_b32_e32 v18, 16, v7
.LBB714_674:
	s_or_b64 exec, exec, s[10:11]
.LBB714_675:
	s_or_b64 exec, exec, s[6:7]
.LBB714_676:
	s_or_b64 exec, exec, s[0:1]
	v_lshrrev_b16_e32 v10, 8, v6
	v_cmp_ne_u16_e32 vcc, 0, v10
	s_and_saveexec_b64 s[0:1], vcc
	s_cbranch_execz .LBB714_682
; %bb.677:
	s_movk_i32 s3, 0x80
	v_cmp_ne_u16_e32 vcc, s3, v10
	v_mov_b32_e32 v17, 0xffff8000
	s_and_saveexec_b64 s[6:7], vcc
	s_cbranch_execz .LBB714_681
; %bb.678:
	s_movk_i32 s3, 0x7f
	v_and_b32_e32 v7, 0x7f, v10
	v_cmp_ne_u32_e32 vcc, s3, v7
	v_mov_b32_e32 v17, 0x7f80
	s_and_saveexec_b64 s[10:11], vcc
	s_cbranch_execz .LBB714_680
; %bb.679:
	v_and_b32_e32 v17, 7, v10
	v_ffbh_u32_e32 v20, v17
	v_min_u32_e32 v22, 32, v20
	v_subrev_u32_e32 v20, 28, v22
	v_lshlrev_b64 v[20:21], v20, v[10:11]
	v_lshrrev_b32_e32 v19, 3, v7
	v_sub_u32_e32 v10, 29, v22
	v_and_b32_e32 v20, 7, v20
	v_cmp_gt_u32_e32 vcc, 8, v7
	v_cndmask_b32_e32 v7, v19, v10, vcc
	v_cndmask_b32_e32 v10, v17, v20, vcc
	v_lshlrev_b32_e32 v6, 16, v6
	v_bfrev_b32_e32 v17, 60
	v_lshlrev_b32_e32 v10, 20, v10
	v_and_b32_e32 v6, 0x80000000, v6
	v_lshl_add_u32 v7, v7, 23, v17
	v_or3_b32 v6, v6, v7, v10
	v_lshrrev_b32_e32 v17, 16, v6
.LBB714_680:
	s_or_b64 exec, exec, s[10:11]
.LBB714_681:
	s_or_b64 exec, exec, s[6:7]
.LBB714_682:
	s_or_b64 exec, exec, s[0:1]
	s_movk_i32 s0, 0xff
	v_and_b32_sdwa v19, v9, s0 dst_sel:DWORD dst_unused:UNUSED_PAD src0_sel:WORD_1 src1_sel:DWORD
	v_lshrrev_b32_e32 v6, 16, v9
	v_cmp_ne_u16_e32 vcc, 0, v19
	v_mov_b32_e32 v7, 0
	v_mov_b32_e32 v10, 0
	s_and_saveexec_b64 s[0:1], vcc
	s_cbranch_execz .LBB714_688
; %bb.683:
	s_movk_i32 s3, 0x80
	v_cmp_ne_u16_e32 vcc, s3, v19
	v_mov_b32_e32 v10, 0xffff8000
	s_and_saveexec_b64 s[6:7], vcc
	s_cbranch_execz .LBB714_687
; %bb.684:
	v_bfe_u32 v19, v9, 16, 7
	s_movk_i32 s3, 0x7f
	v_cmp_ne_u32_e32 vcc, s3, v19
	v_mov_b32_e32 v10, 0x7f80
	s_and_saveexec_b64 s[10:11], vcc
	s_cbranch_execz .LBB714_686
; %bb.685:
	v_and_b32_e32 v10, 7, v6
	v_ffbh_u32_e32 v20, v10
	v_min_u32_e32 v23, 32, v20
	v_subrev_u32_e32 v20, 28, v23
	v_lshlrev_b64 v[20:21], v20, v[6:7]
	v_lshrrev_b32_e32 v22, 3, v19
	v_sub_u32_e32 v6, 29, v23
	v_and_b32_e32 v20, 7, v20
	v_cmp_gt_u32_e32 vcc, 8, v19
	v_mov_b32_e32 v19, 24
	v_cndmask_b32_e32 v6, v22, v6, vcc
	v_cndmask_b32_e32 v10, v10, v20, vcc
	v_lshlrev_b32_sdwa v19, v19, v9 dst_sel:DWORD dst_unused:UNUSED_PAD src0_sel:DWORD src1_sel:WORD_1
	v_bfrev_b32_e32 v20, 60
	v_lshlrev_b32_e32 v10, 20, v10
	v_and_b32_e32 v19, 0x80000000, v19
	v_lshl_add_u32 v6, v6, 23, v20
	v_or3_b32 v6, v19, v6, v10
	v_lshrrev_b32_e32 v10, 16, v6
.LBB714_686:
	s_or_b64 exec, exec, s[10:11]
.LBB714_687:
	s_or_b64 exec, exec, s[6:7]
.LBB714_688:
	s_or_b64 exec, exec, s[0:1]
	s_mov_b32 s0, -1
	s_mov_b32 s1, 0xffffff
	v_cmp_lt_u64_e32 vcc, s[0:1], v[8:9]
	s_and_saveexec_b64 s[0:1], vcc
	s_cbranch_execz .LBB714_694
; %bb.689:
	v_lshrrev_b32_e32 v6, 24, v9
	s_movk_i32 s3, 0x80
	v_cmp_ne_u32_e32 vcc, s3, v6
	v_mov_b32_e32 v7, 0xffff8000
	s_and_saveexec_b64 s[6:7], vcc
	s_cbranch_execz .LBB714_693
; %bb.690:
	v_bfe_u32 v8, v9, 24, 7
	s_movk_i32 s3, 0x7f
	v_cmp_ne_u32_e32 vcc, s3, v8
	v_mov_b32_e32 v7, 0x7f80
	s_and_saveexec_b64 s[10:11], vcc
	s_cbranch_execz .LBB714_692
; %bb.691:
	v_and_b32_e32 v7, 7, v6
	v_ffbh_u32_e32 v19, v7
	v_min_u32_e32 v19, 32, v19
	v_subrev_u32_e32 v20, 28, v19
	v_lshlrev_b64 v[20:21], v20, v[6:7]
	v_lshrrev_b32_e32 v9, 3, v8
	v_sub_u32_e32 v19, 29, v19
	v_and_b32_e32 v20, 7, v20
	v_cmp_gt_u32_e32 vcc, 8, v8
	v_cndmask_b32_e32 v8, v9, v19, vcc
	v_cndmask_b32_e32 v7, v7, v20, vcc
	v_lshlrev_b32_e32 v6, 24, v6
	v_bfrev_b32_e32 v9, 60
	v_lshlrev_b32_e32 v7, 20, v7
	v_and_b32_e32 v6, 0x80000000, v6
	v_lshl_add_u32 v8, v8, 23, v9
	v_or3_b32 v6, v6, v8, v7
	v_lshrrev_b32_e32 v7, 16, v6
.LBB714_692:
	s_or_b64 exec, exec, s[10:11]
.LBB714_693:
	s_or_b64 exec, exec, s[6:7]
.LBB714_694:
	s_or_b64 exec, exec, s[0:1]
	s_mov_b32 s0, 0x5040100
	v_perm_b32 v9, v16, v13, s0
	v_perm_b32 v8, v11, v12, s0
	;; [unrolled: 1-line block ×4, first 2 shown]
	v_mfma_f32_4x4x4bf16_1k a[0:3], v[14:15], v[8:9], a[0:3] cbsz:4 abid:10
	v_mov_b32_e32 v9, 0
	v_mfma_f32_4x4x4bf16_1k a[0:3], v[14:15], v[6:7], a[0:3] cbsz:4 abid:11
	v_cmp_ne_u16_sdwa s[6:7], v2, v9 src0_sel:BYTE_0 src1_sel:DWORD
	v_mov_b32_e32 v10, 0
	s_and_saveexec_b64 s[0:1], s[6:7]
	s_cbranch_execz .LBB714_700
; %bb.695:
	s_movk_i32 s3, 0x80
	v_cmp_ne_u16_sdwa s[10:11], v2, s3 src0_sel:BYTE_0 src1_sel:DWORD
	v_mov_b32_e32 v10, 0xffff8000
	s_and_saveexec_b64 s[6:7], s[10:11]
	s_cbranch_execz .LBB714_699
; %bb.696:
	s_movk_i32 s3, 0x7f
	v_and_b32_e32 v6, 0x7f, v2
	v_cmp_ne_u32_e32 vcc, s3, v6
	v_mov_b32_e32 v10, 0x7f80
	s_and_saveexec_b64 s[10:11], vcc
	s_cbranch_execz .LBB714_698
; %bb.697:
	v_and_b32_e32 v7, 7, v2
	v_ffbh_u32_e32 v7, v7
	v_min_u32_e32 v7, 32, v7
	v_subrev_u32_e32 v10, 28, v7
	v_cmp_gt_u32_e32 vcc, 8, v6
	v_lshrrev_b32_e32 v8, 3, v6
	v_sub_u32_e32 v7, 29, v7
	v_cndmask_b32_e32 v6, 0, v10, vcc
	v_cndmask_b32_e32 v8, v8, v7, vcc
	v_lshlrev_b64 v[6:7], v6, v[2:3]
	v_lshlrev_b32_e32 v6, 20, v6
	v_lshlrev_b32_e32 v7, 24, v2
	v_bfrev_b32_e32 v10, 60
	v_and_b32_e32 v6, 0x700000, v6
	v_and_b32_e32 v7, 0x80000000, v7
	v_lshl_add_u32 v8, v8, 23, v10
	v_or3_b32 v6, v7, v8, v6
	v_lshrrev_b32_e32 v10, 16, v6
.LBB714_698:
	s_or_b64 exec, exec, s[10:11]
.LBB714_699:
	s_or_b64 exec, exec, s[6:7]
.LBB714_700:
	s_or_b64 exec, exec, s[0:1]
	v_lshrrev_b16_e32 v6, 8, v2
	v_cmp_ne_u16_e32 vcc, 0, v6
	s_and_saveexec_b64 s[0:1], vcc
	s_cbranch_execz .LBB714_706
; %bb.701:
	s_movk_i32 s3, 0x80
	v_cmp_ne_u16_e32 vcc, s3, v6
	v_mov_b32_e32 v9, 0xffff8000
	s_and_saveexec_b64 s[6:7], vcc
	s_cbranch_execz .LBB714_705
; %bb.702:
	s_movk_i32 s3, 0x7f
	v_and_b32_e32 v7, 0x7f, v6
	v_cmp_ne_u32_e32 vcc, s3, v7
	v_mov_b32_e32 v9, 0x7f80
	s_and_saveexec_b64 s[10:11], vcc
	s_cbranch_execz .LBB714_704
; %bb.703:
	v_and_b32_e32 v11, 7, v6
	v_ffbh_u32_e32 v8, v11
	v_min_u32_e32 v13, 32, v8
	v_subrev_u32_e32 v8, 28, v13
	v_lshlrev_b64 v[8:9], v8, v[6:7]
	v_lshrrev_b32_e32 v12, 3, v7
	v_sub_u32_e32 v6, 29, v13
	v_and_b32_e32 v8, 7, v8
	v_cmp_gt_u32_e32 vcc, 8, v7
	v_cndmask_b32_e32 v6, v12, v6, vcc
	v_cndmask_b32_e32 v7, v11, v8, vcc
	v_lshlrev_b32_e32 v8, 16, v2
	v_bfrev_b32_e32 v9, 60
	v_lshlrev_b32_e32 v7, 20, v7
	v_and_b32_e32 v8, 0x80000000, v8
	v_lshl_add_u32 v6, v6, 23, v9
	v_or3_b32 v6, v8, v6, v7
	v_lshrrev_b32_e32 v9, 16, v6
.LBB714_704:
	s_or_b64 exec, exec, s[10:11]
.LBB714_705:
	s_or_b64 exec, exec, s[6:7]
.LBB714_706:
	s_or_b64 exec, exec, s[0:1]
	s_movk_i32 s0, 0xff
	v_and_b32_sdwa v8, v2, s0 dst_sel:DWORD dst_unused:UNUSED_PAD src0_sel:WORD_1 src1_sel:DWORD
	v_lshrrev_b32_e32 v6, 16, v2
	v_cmp_ne_u16_e32 vcc, 0, v8
	v_mov_b32_e32 v7, 0
	v_mov_b32_e32 v11, 0
	s_and_saveexec_b64 s[0:1], vcc
	s_cbranch_execz .LBB714_712
; %bb.707:
	s_movk_i32 s3, 0x80
	v_cmp_ne_u16_e32 vcc, s3, v8
	v_mov_b32_e32 v11, 0xffff8000
	s_and_saveexec_b64 s[6:7], vcc
	s_cbranch_execz .LBB714_711
; %bb.708:
	v_bfe_u32 v8, v2, 16, 7
	s_movk_i32 s3, 0x7f
	v_cmp_ne_u32_e32 vcc, s3, v8
	v_mov_b32_e32 v11, 0x7f80
	s_and_saveexec_b64 s[10:11], vcc
	s_cbranch_execz .LBB714_710
; %bb.709:
	v_and_b32_e32 v11, 7, v6
	v_ffbh_u32_e32 v12, v11
	v_min_u32_e32 v17, 32, v12
	v_subrev_u32_e32 v12, 28, v17
	v_lshlrev_b64 v[12:13], v12, v[6:7]
	v_and_b32_e32 v12, 7, v12
	v_cmp_gt_u32_e32 vcc, 8, v8
	v_lshrrev_b32_e32 v16, 3, v8
	v_sub_u32_e32 v6, 29, v17
	v_cndmask_b32_e32 v8, v11, v12, vcc
	v_mov_b32_e32 v11, 24
	v_cndmask_b32_e32 v6, v16, v6, vcc
	v_lshlrev_b32_sdwa v11, v11, v2 dst_sel:DWORD dst_unused:UNUSED_PAD src0_sel:DWORD src1_sel:WORD_1
	v_bfrev_b32_e32 v12, 60
	v_lshlrev_b32_e32 v8, 20, v8
	v_and_b32_e32 v11, 0x80000000, v11
	v_lshl_add_u32 v6, v6, 23, v12
	v_or3_b32 v6, v11, v6, v8
	v_lshrrev_b32_e32 v11, 16, v6
.LBB714_710:
	s_or_b64 exec, exec, s[10:11]
.LBB714_711:
	s_or_b64 exec, exec, s[6:7]
.LBB714_712:
	s_or_b64 exec, exec, s[0:1]
	s_mov_b32 s0, 0xffffff
	v_cmp_lt_u32_e32 vcc, s0, v2
	v_mov_b32_e32 v12, 0
	s_and_saveexec_b64 s[0:1], vcc
	s_cbranch_execz .LBB714_718
; %bb.713:
	v_lshrrev_b32_e32 v6, 24, v2
	s_movk_i32 s3, 0x80
	v_cmp_ne_u32_e32 vcc, s3, v6
	v_mov_b32_e32 v12, 0xffff8000
	s_and_saveexec_b64 s[6:7], vcc
	s_cbranch_execz .LBB714_717
; %bb.714:
	v_bfe_u32 v8, v2, 24, 7
	s_movk_i32 s3, 0x7f
	v_cmp_ne_u32_e32 vcc, s3, v8
	v_mov_b32_e32 v12, 0x7f80
	s_and_saveexec_b64 s[10:11], vcc
	s_cbranch_execz .LBB714_716
; %bb.715:
	v_and_b32_e32 v16, 7, v6
	v_ffbh_u32_e32 v12, v16
	v_min_u32_e32 v18, 32, v12
	v_subrev_u32_e32 v12, 28, v18
	v_lshlrev_b64 v[12:13], v12, v[6:7]
	v_lshrrev_b32_e32 v17, 3, v8
	v_sub_u32_e32 v13, 29, v18
	v_and_b32_e32 v12, 7, v12
	v_cmp_gt_u32_e32 vcc, 8, v8
	v_cndmask_b32_e32 v8, v17, v13, vcc
	v_cndmask_b32_e32 v12, v16, v12, vcc
	v_lshlrev_b32_e32 v6, 24, v6
	v_bfrev_b32_e32 v13, 60
	v_lshlrev_b32_e32 v12, 20, v12
	v_and_b32_e32 v6, 0x80000000, v6
	v_lshl_add_u32 v8, v8, 23, v13
	v_or3_b32 v6, v6, v8, v12
	v_lshrrev_b32_e32 v12, 16, v6
.LBB714_716:
	s_or_b64 exec, exec, s[10:11]
.LBB714_717:
	s_or_b64 exec, exec, s[6:7]
.LBB714_718:
	s_or_b64 exec, exec, s[0:1]
	v_mov_b32_e32 v13, 0
	v_mov_b32_e32 v6, v3
	v_cmp_ne_u16_sdwa s[6:7], v3, v13 src0_sel:BYTE_0 src1_sel:DWORD
	v_mov_b32_e32 v16, 0
	s_and_saveexec_b64 s[0:1], s[6:7]
	s_cbranch_execz .LBB714_724
; %bb.719:
	s_movk_i32 s3, 0x80
	v_cmp_ne_u16_sdwa s[10:11], v3, s3 src0_sel:BYTE_0 src1_sel:DWORD
	v_mov_b32_e32 v16, 0xffff8000
	s_and_saveexec_b64 s[6:7], s[10:11]
	s_cbranch_execz .LBB714_723
; %bb.720:
	s_movk_i32 s3, 0x7f
	v_and_b32_e32 v8, 0x7f, v3
	v_cmp_ne_u32_e32 vcc, s3, v8
	v_mov_b32_e32 v16, 0x7f80
	s_and_saveexec_b64 s[10:11], vcc
	s_cbranch_execz .LBB714_722
; %bb.721:
	v_and_b32_e32 v16, 7, v3
	v_ffbh_u32_e32 v16, v16
	v_min_u32_e32 v16, 32, v16
	v_lshrrev_b32_e32 v17, 3, v8
	v_subrev_u32_e32 v18, 28, v16
	v_sub_u32_e32 v16, 29, v16
	v_cmp_gt_u32_e32 vcc, 8, v8
	v_cndmask_b32_e32 v8, v17, v16, vcc
	v_cndmask_b32_e32 v16, 0, v18, vcc
	v_lshlrev_b64 v[16:17], v16, v[6:7]
	v_lshlrev_b32_e32 v7, 20, v16
	v_lshlrev_b32_e32 v16, 24, v6
	v_bfrev_b32_e32 v17, 60
	v_and_b32_e32 v7, 0x700000, v7
	v_and_b32_e32 v16, 0x80000000, v16
	v_lshl_add_u32 v8, v8, 23, v17
	v_or3_b32 v7, v16, v8, v7
	v_lshrrev_b32_e32 v16, 16, v7
.LBB714_722:
	s_or_b64 exec, exec, s[10:11]
.LBB714_723:
	s_or_b64 exec, exec, s[6:7]
.LBB714_724:
	s_or_b64 exec, exec, s[0:1]
	v_lshrrev_b16_e32 v8, 8, v6
	v_cmp_ne_u16_e32 vcc, 0, v8
	s_and_saveexec_b64 s[0:1], vcc
	s_cbranch_execz .LBB714_730
; %bb.725:
	s_movk_i32 s3, 0x80
	v_cmp_ne_u16_e32 vcc, s3, v8
	v_mov_b32_e32 v13, 0xffff8000
	s_and_saveexec_b64 s[6:7], vcc
	s_cbranch_execz .LBB714_729
; %bb.726:
	s_movk_i32 s3, 0x7f
	v_and_b32_e32 v7, 0x7f, v8
	v_cmp_ne_u32_e32 vcc, s3, v7
	v_mov_b32_e32 v13, 0x7f80
	s_and_saveexec_b64 s[10:11], vcc
	s_cbranch_execz .LBB714_728
; %bb.727:
	v_and_b32_e32 v13, 7, v8
	v_ffbh_u32_e32 v18, v13
	v_min_u32_e32 v20, 32, v18
	v_subrev_u32_e32 v18, 28, v20
	v_lshlrev_b64 v[18:19], v18, v[8:9]
	v_lshrrev_b32_e32 v17, 3, v7
	v_sub_u32_e32 v8, 29, v20
	v_and_b32_e32 v18, 7, v18
	v_cmp_gt_u32_e32 vcc, 8, v7
	v_cndmask_b32_e32 v7, v17, v8, vcc
	v_cndmask_b32_e32 v8, v13, v18, vcc
	v_lshlrev_b32_e32 v6, 16, v6
	v_bfrev_b32_e32 v13, 60
	v_lshlrev_b32_e32 v8, 20, v8
	v_and_b32_e32 v6, 0x80000000, v6
	v_lshl_add_u32 v7, v7, 23, v13
	v_or3_b32 v6, v6, v7, v8
	v_lshrrev_b32_e32 v13, 16, v6
.LBB714_728:
	s_or_b64 exec, exec, s[10:11]
.LBB714_729:
	s_or_b64 exec, exec, s[6:7]
.LBB714_730:
	s_or_b64 exec, exec, s[0:1]
	s_movk_i32 s0, 0xff
	v_and_b32_sdwa v17, v3, s0 dst_sel:DWORD dst_unused:UNUSED_PAD src0_sel:WORD_1 src1_sel:DWORD
	v_lshrrev_b32_e32 v6, 16, v3
	v_cmp_ne_u16_e32 vcc, 0, v17
	v_mov_b32_e32 v7, 0
	v_mov_b32_e32 v8, 0
	s_and_saveexec_b64 s[0:1], vcc
	s_cbranch_execz .LBB714_736
; %bb.731:
	s_movk_i32 s3, 0x80
	v_cmp_ne_u16_e32 vcc, s3, v17
	v_mov_b32_e32 v8, 0xffff8000
	s_and_saveexec_b64 s[6:7], vcc
	s_cbranch_execz .LBB714_735
; %bb.732:
	v_bfe_u32 v17, v3, 16, 7
	s_movk_i32 s3, 0x7f
	v_cmp_ne_u32_e32 vcc, s3, v17
	v_mov_b32_e32 v8, 0x7f80
	s_and_saveexec_b64 s[10:11], vcc
	s_cbranch_execz .LBB714_734
; %bb.733:
	v_and_b32_e32 v8, 7, v6
	v_ffbh_u32_e32 v18, v8
	v_min_u32_e32 v21, 32, v18
	v_subrev_u32_e32 v18, 28, v21
	v_lshlrev_b64 v[18:19], v18, v[6:7]
	v_lshrrev_b32_e32 v20, 3, v17
	v_sub_u32_e32 v6, 29, v21
	v_and_b32_e32 v18, 7, v18
	v_cmp_gt_u32_e32 vcc, 8, v17
	v_mov_b32_e32 v17, 24
	v_cndmask_b32_e32 v6, v20, v6, vcc
	v_cndmask_b32_e32 v8, v8, v18, vcc
	v_lshlrev_b32_sdwa v17, v17, v3 dst_sel:DWORD dst_unused:UNUSED_PAD src0_sel:DWORD src1_sel:WORD_1
	v_bfrev_b32_e32 v18, 60
	v_lshlrev_b32_e32 v8, 20, v8
	v_and_b32_e32 v17, 0x80000000, v17
	v_lshl_add_u32 v6, v6, 23, v18
	v_or3_b32 v6, v17, v6, v8
	v_lshrrev_b32_e32 v8, 16, v6
.LBB714_734:
	s_or_b64 exec, exec, s[10:11]
.LBB714_735:
	s_or_b64 exec, exec, s[6:7]
.LBB714_736:
	s_or_b64 exec, exec, s[0:1]
	s_mov_b32 s0, -1
	s_mov_b32 s1, 0xffffff
	v_cmp_lt_u64_e32 vcc, s[0:1], v[2:3]
	s_and_saveexec_b64 s[0:1], vcc
	s_cbranch_execz .LBB714_742
; %bb.737:
	v_lshrrev_b32_e32 v2, 24, v3
	s_movk_i32 s3, 0x80
	v_cmp_ne_u32_e32 vcc, s3, v2
	v_mov_b32_e32 v7, 0xffff8000
	s_and_saveexec_b64 s[6:7], vcc
	s_cbranch_execz .LBB714_741
; %bb.738:
	v_bfe_u32 v3, v3, 24, 7
	s_movk_i32 s3, 0x7f
	v_cmp_ne_u32_e32 vcc, s3, v3
	v_mov_b32_e32 v7, 0x7f80
	s_and_saveexec_b64 s[10:11], vcc
	s_cbranch_execz .LBB714_740
; %bb.739:
	v_and_b32_e32 v17, 7, v2
	v_ffbh_u32_e32 v6, v17
	v_min_u32_e32 v19, 32, v6
	v_subrev_u32_e32 v6, 28, v19
	v_lshlrev_b64 v[6:7], v6, v[2:3]
	v_lshrrev_b32_e32 v18, 3, v3
	v_sub_u32_e32 v7, 29, v19
	v_and_b32_e32 v6, 7, v6
	v_cmp_gt_u32_e32 vcc, 8, v3
	v_cndmask_b32_e32 v3, v18, v7, vcc
	v_cndmask_b32_e32 v6, v17, v6, vcc
	v_lshlrev_b32_e32 v2, 24, v2
	v_bfrev_b32_e32 v7, 60
	v_lshlrev_b32_e32 v6, 20, v6
	v_and_b32_e32 v2, 0x80000000, v2
	v_lshl_add_u32 v3, v3, 23, v7
	v_or3_b32 v2, v2, v3, v6
	v_lshrrev_b32_e32 v7, 16, v2
.LBB714_740:
	s_or_b64 exec, exec, s[10:11]
.LBB714_741:
	s_or_b64 exec, exec, s[6:7]
.LBB714_742:
	s_or_b64 exec, exec, s[0:1]
	s_mov_b32 s0, 0x5040100
	v_perm_b32 v3, v12, v11, s0
	v_perm_b32 v2, v9, v10, s0
	;; [unrolled: 1-line block ×4, first 2 shown]
	v_mfma_f32_4x4x4bf16_1k a[0:3], v[14:15], v[2:3], a[0:3] cbsz:4 abid:12
	v_mov_b32_e32 v8, 0
	v_mfma_f32_4x4x4bf16_1k a[0:3], v[14:15], v[6:7], a[0:3] cbsz:4 abid:13
	v_mov_b32_e32 v7, 0
	v_cmp_ne_u16_sdwa s[6:7], v4, v7 src0_sel:BYTE_0 src1_sel:DWORD
	s_and_saveexec_b64 s[0:1], s[6:7]
	s_cbranch_execz .LBB714_748
; %bb.743:
	s_movk_i32 s3, 0x80
	v_cmp_ne_u16_sdwa s[10:11], v4, s3 src0_sel:BYTE_0 src1_sel:DWORD
	v_mov_b32_e32 v8, 0xffff8000
	s_and_saveexec_b64 s[6:7], s[10:11]
	s_cbranch_execz .LBB714_747
; %bb.744:
	s_movk_i32 s3, 0x7f
	v_and_b32_e32 v2, 0x7f, v4
	v_cmp_ne_u32_e32 vcc, s3, v2
	v_mov_b32_e32 v8, 0x7f80
	s_and_saveexec_b64 s[10:11], vcc
	s_cbranch_execz .LBB714_746
; %bb.745:
	v_and_b32_e32 v3, 7, v4
	v_ffbh_u32_e32 v3, v3
	v_min_u32_e32 v3, 32, v3
	v_subrev_u32_e32 v8, 28, v3
	v_cmp_gt_u32_e32 vcc, 8, v2
	v_lshrrev_b32_e32 v6, 3, v2
	v_sub_u32_e32 v3, 29, v3
	v_cndmask_b32_e32 v2, 0, v8, vcc
	v_cndmask_b32_e32 v6, v6, v3, vcc
	v_lshlrev_b64 v[2:3], v2, v[4:5]
	v_lshlrev_b32_e32 v2, 20, v2
	v_lshlrev_b32_e32 v3, 24, v4
	v_bfrev_b32_e32 v8, 60
	v_and_b32_e32 v2, 0x700000, v2
	v_and_b32_e32 v3, 0x80000000, v3
	v_lshl_add_u32 v6, v6, 23, v8
	v_or3_b32 v2, v3, v6, v2
	v_lshrrev_b32_e32 v8, 16, v2
.LBB714_746:
	s_or_b64 exec, exec, s[10:11]
.LBB714_747:
	s_or_b64 exec, exec, s[6:7]
.LBB714_748:
	s_or_b64 exec, exec, s[0:1]
	v_lshrrev_b16_e32 v2, 8, v4
	v_cmp_ne_u16_e32 vcc, 0, v2
	s_and_saveexec_b64 s[0:1], vcc
	s_cbranch_execz .LBB714_754
; %bb.749:
	s_movk_i32 s3, 0x80
	v_cmp_ne_u16_e32 vcc, s3, v2
	v_mov_b32_e32 v7, 0xffff8000
	s_and_saveexec_b64 s[6:7], vcc
	s_cbranch_execz .LBB714_753
; %bb.750:
	s_movk_i32 s3, 0x7f
	v_and_b32_e32 v3, 0x7f, v2
	v_cmp_ne_u32_e32 vcc, s3, v3
	v_mov_b32_e32 v7, 0x7f80
	s_and_saveexec_b64 s[10:11], vcc
	s_cbranch_execz .LBB714_752
; %bb.751:
	v_and_b32_e32 v9, 7, v2
	v_ffbh_u32_e32 v6, v9
	v_min_u32_e32 v11, 32, v6
	v_subrev_u32_e32 v6, 28, v11
	v_lshlrev_b64 v[6:7], v6, v[2:3]
	v_lshrrev_b32_e32 v10, 3, v3
	v_sub_u32_e32 v2, 29, v11
	v_and_b32_e32 v6, 7, v6
	v_cmp_gt_u32_e32 vcc, 8, v3
	v_cndmask_b32_e32 v2, v10, v2, vcc
	v_cndmask_b32_e32 v3, v9, v6, vcc
	v_lshlrev_b32_e32 v6, 16, v4
	v_bfrev_b32_e32 v7, 60
	v_lshlrev_b32_e32 v3, 20, v3
	v_and_b32_e32 v6, 0x80000000, v6
	v_lshl_add_u32 v2, v2, 23, v7
	v_or3_b32 v2, v6, v2, v3
	v_lshrrev_b32_e32 v7, 16, v2
.LBB714_752:
	s_or_b64 exec, exec, s[10:11]
.LBB714_753:
	s_or_b64 exec, exec, s[6:7]
.LBB714_754:
	s_or_b64 exec, exec, s[0:1]
	s_movk_i32 s0, 0xff
	v_and_b32_sdwa v6, v4, s0 dst_sel:DWORD dst_unused:UNUSED_PAD src0_sel:WORD_1 src1_sel:DWORD
	v_lshrrev_b32_e32 v2, 16, v4
	v_cmp_ne_u16_e32 vcc, 0, v6
	v_mov_b32_e32 v3, 0
	v_mov_b32_e32 v9, 0
	s_and_saveexec_b64 s[0:1], vcc
	s_cbranch_execz .LBB714_760
; %bb.755:
	s_movk_i32 s3, 0x80
	v_cmp_ne_u16_e32 vcc, s3, v6
	v_mov_b32_e32 v9, 0xffff8000
	s_and_saveexec_b64 s[6:7], vcc
	s_cbranch_execz .LBB714_759
; %bb.756:
	v_bfe_u32 v6, v4, 16, 7
	s_movk_i32 s3, 0x7f
	v_cmp_ne_u32_e32 vcc, s3, v6
	v_mov_b32_e32 v9, 0x7f80
	s_and_saveexec_b64 s[10:11], vcc
	s_cbranch_execz .LBB714_758
; %bb.757:
	v_and_b32_e32 v9, 7, v2
	v_ffbh_u32_e32 v10, v9
	v_min_u32_e32 v13, 32, v10
	v_subrev_u32_e32 v10, 28, v13
	v_lshlrev_b64 v[10:11], v10, v[2:3]
	v_and_b32_e32 v10, 7, v10
	v_cmp_gt_u32_e32 vcc, 8, v6
	v_lshrrev_b32_e32 v12, 3, v6
	v_sub_u32_e32 v2, 29, v13
	v_cndmask_b32_e32 v6, v9, v10, vcc
	v_mov_b32_e32 v9, 24
	v_cndmask_b32_e32 v2, v12, v2, vcc
	v_lshlrev_b32_sdwa v9, v9, v4 dst_sel:DWORD dst_unused:UNUSED_PAD src0_sel:DWORD src1_sel:WORD_1
	v_bfrev_b32_e32 v10, 60
	v_lshlrev_b32_e32 v6, 20, v6
	v_and_b32_e32 v9, 0x80000000, v9
	v_lshl_add_u32 v2, v2, 23, v10
	v_or3_b32 v2, v9, v2, v6
	v_lshrrev_b32_e32 v9, 16, v2
.LBB714_758:
	s_or_b64 exec, exec, s[10:11]
.LBB714_759:
	s_or_b64 exec, exec, s[6:7]
.LBB714_760:
	s_or_b64 exec, exec, s[0:1]
	s_mov_b32 s0, 0xffffff
	v_cmp_lt_u32_e32 vcc, s0, v4
	v_mov_b32_e32 v10, 0
	s_and_saveexec_b64 s[0:1], vcc
	s_cbranch_execz .LBB714_766
; %bb.761:
	v_lshrrev_b32_e32 v2, 24, v4
	s_movk_i32 s3, 0x80
	v_cmp_ne_u32_e32 vcc, s3, v2
	v_mov_b32_e32 v10, 0xffff8000
	s_and_saveexec_b64 s[6:7], vcc
	s_cbranch_execz .LBB714_765
; %bb.762:
	v_bfe_u32 v6, v4, 24, 7
	s_movk_i32 s3, 0x7f
	v_cmp_ne_u32_e32 vcc, s3, v6
	v_mov_b32_e32 v10, 0x7f80
	s_and_saveexec_b64 s[10:11], vcc
	s_cbranch_execz .LBB714_764
; %bb.763:
	v_and_b32_e32 v12, 7, v2
	v_ffbh_u32_e32 v10, v12
	v_min_u32_e32 v16, 32, v10
	v_subrev_u32_e32 v10, 28, v16
	v_lshlrev_b64 v[10:11], v10, v[2:3]
	v_lshrrev_b32_e32 v13, 3, v6
	v_sub_u32_e32 v11, 29, v16
	v_and_b32_e32 v10, 7, v10
	v_cmp_gt_u32_e32 vcc, 8, v6
	v_cndmask_b32_e32 v6, v13, v11, vcc
	v_cndmask_b32_e32 v10, v12, v10, vcc
	v_lshlrev_b32_e32 v2, 24, v2
	v_bfrev_b32_e32 v11, 60
	v_lshlrev_b32_e32 v10, 20, v10
	v_and_b32_e32 v2, 0x80000000, v2
	v_lshl_add_u32 v6, v6, 23, v11
	v_or3_b32 v2, v2, v6, v10
	v_lshrrev_b32_e32 v10, 16, v2
.LBB714_764:
	s_or_b64 exec, exec, s[10:11]
.LBB714_765:
	s_or_b64 exec, exec, s[6:7]
.LBB714_766:
	s_or_b64 exec, exec, s[0:1]
	v_mov_b32_e32 v11, 0
	v_mov_b32_e32 v2, v5
	v_cmp_ne_u16_sdwa s[6:7], v5, v11 src0_sel:BYTE_0 src1_sel:DWORD
	v_mov_b32_e32 v12, 0
	s_and_saveexec_b64 s[0:1], s[6:7]
	s_cbranch_execz .LBB714_772
; %bb.767:
	s_movk_i32 s3, 0x80
	v_cmp_ne_u16_sdwa s[10:11], v5, s3 src0_sel:BYTE_0 src1_sel:DWORD
	v_mov_b32_e32 v12, 0xffff8000
	s_and_saveexec_b64 s[6:7], s[10:11]
	s_cbranch_execz .LBB714_771
; %bb.768:
	s_movk_i32 s3, 0x7f
	v_and_b32_e32 v6, 0x7f, v5
	v_cmp_ne_u32_e32 vcc, s3, v6
	v_mov_b32_e32 v12, 0x7f80
	s_and_saveexec_b64 s[10:11], vcc
	s_cbranch_execz .LBB714_770
; %bb.769:
	v_and_b32_e32 v12, 7, v5
	v_ffbh_u32_e32 v12, v12
	v_min_u32_e32 v12, 32, v12
	v_lshrrev_b32_e32 v13, 3, v6
	v_subrev_u32_e32 v16, 28, v12
	v_sub_u32_e32 v12, 29, v12
	v_cmp_gt_u32_e32 vcc, 8, v6
	v_cndmask_b32_e32 v6, v13, v12, vcc
	v_cndmask_b32_e32 v12, 0, v16, vcc
	v_lshlrev_b64 v[12:13], v12, v[2:3]
	v_lshlrev_b32_e32 v3, 20, v12
	v_lshlrev_b32_e32 v12, 24, v2
	v_bfrev_b32_e32 v13, 60
	v_and_b32_e32 v3, 0x700000, v3
	v_and_b32_e32 v12, 0x80000000, v12
	v_lshl_add_u32 v6, v6, 23, v13
	v_or3_b32 v3, v12, v6, v3
	v_lshrrev_b32_e32 v12, 16, v3
.LBB714_770:
	s_or_b64 exec, exec, s[10:11]
.LBB714_771:
	s_or_b64 exec, exec, s[6:7]
.LBB714_772:
	s_or_b64 exec, exec, s[0:1]
	v_lshrrev_b16_e32 v6, 8, v2
	v_cmp_ne_u16_e32 vcc, 0, v6
	s_and_saveexec_b64 s[0:1], vcc
	s_cbranch_execz .LBB714_778
; %bb.773:
	s_movk_i32 s3, 0x80
	v_cmp_ne_u16_e32 vcc, s3, v6
	v_mov_b32_e32 v11, 0xffff8000
	s_and_saveexec_b64 s[6:7], vcc
	s_cbranch_execz .LBB714_777
; %bb.774:
	s_movk_i32 s3, 0x7f
	v_and_b32_e32 v3, 0x7f, v6
	v_cmp_ne_u32_e32 vcc, s3, v3
	v_mov_b32_e32 v11, 0x7f80
	s_and_saveexec_b64 s[10:11], vcc
	s_cbranch_execz .LBB714_776
; %bb.775:
	v_and_b32_e32 v11, 7, v6
	v_ffbh_u32_e32 v16, v11
	v_min_u32_e32 v18, 32, v16
	v_subrev_u32_e32 v16, 28, v18
	v_lshlrev_b64 v[16:17], v16, v[6:7]
	v_lshrrev_b32_e32 v13, 3, v3
	v_sub_u32_e32 v6, 29, v18
	v_and_b32_e32 v16, 7, v16
	v_cmp_gt_u32_e32 vcc, 8, v3
	v_cndmask_b32_e32 v3, v13, v6, vcc
	v_cndmask_b32_e32 v6, v11, v16, vcc
	v_lshlrev_b32_e32 v2, 16, v2
	v_bfrev_b32_e32 v11, 60
	v_lshlrev_b32_e32 v6, 20, v6
	v_and_b32_e32 v2, 0x80000000, v2
	v_lshl_add_u32 v3, v3, 23, v11
	v_or3_b32 v2, v2, v3, v6
	v_lshrrev_b32_e32 v11, 16, v2
.LBB714_776:
	s_or_b64 exec, exec, s[10:11]
.LBB714_777:
	s_or_b64 exec, exec, s[6:7]
.LBB714_778:
	s_or_b64 exec, exec, s[0:1]
	s_movk_i32 s0, 0xff
	v_and_b32_sdwa v13, v5, s0 dst_sel:DWORD dst_unused:UNUSED_PAD src0_sel:WORD_1 src1_sel:DWORD
	v_lshrrev_b32_e32 v2, 16, v5
	v_cmp_ne_u16_e32 vcc, 0, v13
	v_mov_b32_e32 v3, 0
	v_mov_b32_e32 v6, 0
	s_and_saveexec_b64 s[0:1], vcc
	s_cbranch_execz .LBB714_784
; %bb.779:
	s_movk_i32 s3, 0x80
	v_cmp_ne_u16_e32 vcc, s3, v13
	v_mov_b32_e32 v6, 0xffff8000
	s_and_saveexec_b64 s[6:7], vcc
	s_cbranch_execz .LBB714_783
; %bb.780:
	v_bfe_u32 v13, v5, 16, 7
	s_movk_i32 s3, 0x7f
	v_cmp_ne_u32_e32 vcc, s3, v13
	v_mov_b32_e32 v6, 0x7f80
	s_and_saveexec_b64 s[10:11], vcc
	s_cbranch_execz .LBB714_782
; %bb.781:
	v_and_b32_e32 v6, 7, v2
	v_ffbh_u32_e32 v16, v6
	v_min_u32_e32 v19, 32, v16
	v_subrev_u32_e32 v16, 28, v19
	v_lshlrev_b64 v[16:17], v16, v[2:3]
	v_lshrrev_b32_e32 v18, 3, v13
	v_sub_u32_e32 v2, 29, v19
	v_and_b32_e32 v16, 7, v16
	v_cmp_gt_u32_e32 vcc, 8, v13
	v_mov_b32_e32 v13, 24
	v_cndmask_b32_e32 v2, v18, v2, vcc
	v_cndmask_b32_e32 v6, v6, v16, vcc
	v_lshlrev_b32_sdwa v13, v13, v5 dst_sel:DWORD dst_unused:UNUSED_PAD src0_sel:DWORD src1_sel:WORD_1
	v_bfrev_b32_e32 v16, 60
	v_lshlrev_b32_e32 v6, 20, v6
	v_and_b32_e32 v13, 0x80000000, v13
	v_lshl_add_u32 v2, v2, 23, v16
	v_or3_b32 v2, v13, v2, v6
	v_lshrrev_b32_e32 v6, 16, v2
.LBB714_782:
	s_or_b64 exec, exec, s[10:11]
.LBB714_783:
	s_or_b64 exec, exec, s[6:7]
.LBB714_784:
	s_or_b64 exec, exec, s[0:1]
	s_mov_b32 s0, -1
	s_mov_b32 s1, 0xffffff
	v_cmp_lt_u64_e32 vcc, s[0:1], v[4:5]
	s_and_saveexec_b64 s[0:1], vcc
	s_cbranch_execz .LBB714_790
; %bb.785:
	v_lshrrev_b32_e32 v2, 24, v5
	s_movk_i32 s3, 0x80
	v_cmp_ne_u32_e32 vcc, s3, v2
	v_mov_b32_e32 v3, 0xffff8000
	s_and_saveexec_b64 s[6:7], vcc
	s_cbranch_execz .LBB714_789
; %bb.786:
	v_bfe_u32 v4, v5, 24, 7
	s_movk_i32 s3, 0x7f
	v_cmp_ne_u32_e32 vcc, s3, v4
	v_mov_b32_e32 v3, 0x7f80
	s_and_saveexec_b64 s[10:11], vcc
	s_cbranch_execz .LBB714_788
; %bb.787:
	v_and_b32_e32 v3, 7, v2
	v_ffbh_u32_e32 v13, v3
	v_min_u32_e32 v13, 32, v13
	v_subrev_u32_e32 v16, 28, v13
	v_lshlrev_b64 v[16:17], v16, v[2:3]
	v_lshrrev_b32_e32 v5, 3, v4
	v_sub_u32_e32 v13, 29, v13
	v_and_b32_e32 v16, 7, v16
	v_cmp_gt_u32_e32 vcc, 8, v4
	v_cndmask_b32_e32 v4, v5, v13, vcc
	v_cndmask_b32_e32 v3, v3, v16, vcc
	v_lshlrev_b32_e32 v2, 24, v2
	v_bfrev_b32_e32 v5, 60
	v_lshlrev_b32_e32 v3, 20, v3
	v_and_b32_e32 v2, 0x80000000, v2
	v_lshl_add_u32 v4, v4, 23, v5
	v_or3_b32 v2, v2, v4, v3
	v_lshrrev_b32_e32 v3, 16, v2
.LBB714_788:
	s_or_b64 exec, exec, s[10:11]
.LBB714_789:
	s_or_b64 exec, exec, s[6:7]
.LBB714_790:
	s_or_b64 exec, exec, s[0:1]
	s_mov_b32 s0, 0x5040100
	v_perm_b32 v5, v10, v9, s0
	v_perm_b32 v4, v7, v8, s0
	;; [unrolled: 1-line block ×4, first 2 shown]
	v_mfma_f32_4x4x4bf16_1k a[0:3], v[14:15], v[4:5], a[0:3] cbsz:4 abid:14
	s_load_dword s0, s[14:15], 0x0
	v_mfma_f32_4x4x4bf16_1k a[0:3], v[14:15], v[2:3], a[0:3] cbsz:4 abid:15
	s_nop 4
	v_accvgpr_read_b32 v5, a1
	v_accvgpr_read_b32 v4, a0
	;; [unrolled: 1-line block ×4, first 2 shown]
	s_waitcnt lgkmcnt(0)
	v_pk_mul_f32 v[4:5], v[4:5], s[0:1] op_sel_hi:[1,0]
	v_pk_mul_f32 v[2:3], v[2:3], s[0:1] op_sel_hi:[1,0]
	v_bfe_u32 v6, v5, 16, 1
	v_bfe_u32 v7, v4, 16, 1
	s_movk_i32 s0, 0x7fff
	v_add3_u32 v4, v4, v7, s0
	v_add3_u32 v5, v5, v6, s0
	v_bfe_u32 v6, v3, 16, 1
	v_bfe_u32 v7, v2, 16, 1
	v_add3_u32 v2, v2, v7, s0
	v_add3_u32 v3, v3, v6, s0
	s_mov_b32 s0, 0x7060302
	v_perm_b32 v23, v3, v2, s0
	v_perm_b32 v22, v5, v4, s0
.LBB714_791:
	s_or_b64 exec, exec, s[4:5]
	v_lshlrev_b32_e32 v1, 3, v1
	v_mad_u32_u24 v1, v42, 40, v1
	v_cmp_gt_u32_e32 vcc, 64, v0
	ds_write_b64 v1, v[22:23]
	s_waitcnt lgkmcnt(0)
	s_barrier
	s_and_saveexec_b64 s[0:1], vcc
	s_cbranch_execz .LBB714_793
; %bb.792:
	s_lshl_b32 s0, s2, 6
	s_mov_b32 s1, 0
	s_lshl_b64 s[2:3], s[0:1], 1
	s_add_u32 s2, s26, s2
	s_addc_u32 s3, s27, s3
	s_lshl_b32 s0, s24, 6
	s_lshl_b64 s[0:1], s[0:1], 1
	s_add_u32 s0, s2, s0
	s_mul_i32 s2, s8, s33
	v_lshl_or_b32 v0, s2, 6, v0
	v_mov_b32_e32 v1, 0
	s_waitcnt vmcnt(0)
	v_mul_u32_u24_e32 v7, 40, v42
	v_lshlrev_b64 v[4:5], 1, v[0:1]
	ds_read2_b64 v[0:3], v7 offset1:1
	s_addc_u32 s1, s3, s1
	v_mov_b32_e32 v6, s1
	v_add_co_u32_e32 v8, vcc, s0, v4
	v_addc_co_u32_e32 v9, vcc, v6, v5, vcc
	ds_read2_b64 v[4:7], v7 offset0:2 offset1:3
	s_waitcnt lgkmcnt(1)
	v_lshlrev_b32_e32 v0, 16, v0
	v_add_f32_e32 v0, 0, v0
	v_and_b32_e32 v0, 0xffff0000, v0
	v_lshlrev_b32_e32 v1, 16, v2
	v_add_f32_e32 v0, v0, v1
	v_and_b32_e32 v0, 0xffff0000, v0
	s_waitcnt lgkmcnt(0)
	v_lshlrev_b32_e32 v1, 16, v4
	v_add_f32_e32 v0, v0, v1
	v_and_b32_e32 v0, 0xffff0000, v0
	v_lshlrev_b32_e32 v1, 16, v6
	v_add_f32_e32 v0, v0, v1
	global_store_short_d16_hi v[8:9], v0, off
.LBB714_793:
	s_endpgm
	.section	.rodata,"a",@progbits
	.p2align	6, 0x0
	.amdhsa_kernel _Z38paged_attention_ll4mi_QKV_mfma4_kernelI14__hip_bfloat16hLN4vllm18Fp8KVCacheDataTypeE1ES0_Li32ELi64ELi256ELb1ELi1EEvPKT_PKT0_S8_ifPKiSA_SA_iPKfiiiPfSD_PS3_PT2_iSC_SC_
		.amdhsa_group_segment_fixed_size 2720
		.amdhsa_private_segment_fixed_size 0
		.amdhsa_kernarg_size 400
		.amdhsa_user_sgpr_count 6
		.amdhsa_user_sgpr_private_segment_buffer 1
		.amdhsa_user_sgpr_dispatch_ptr 0
		.amdhsa_user_sgpr_queue_ptr 0
		.amdhsa_user_sgpr_kernarg_segment_ptr 1
		.amdhsa_user_sgpr_dispatch_id 0
		.amdhsa_user_sgpr_flat_scratch_init 0
		.amdhsa_user_sgpr_kernarg_preload_length 0
		.amdhsa_user_sgpr_kernarg_preload_offset 0
		.amdhsa_user_sgpr_private_segment_size 0
		.amdhsa_uses_dynamic_stack 0
		.amdhsa_system_sgpr_private_segment_wavefront_offset 0
		.amdhsa_system_sgpr_workgroup_id_x 1
		.amdhsa_system_sgpr_workgroup_id_y 1
		.amdhsa_system_sgpr_workgroup_id_z 1
		.amdhsa_system_sgpr_workgroup_info 0
		.amdhsa_system_vgpr_workitem_id 0
		.amdhsa_next_free_vgpr 60
		.amdhsa_next_free_sgpr 42
		.amdhsa_accum_offset 56
		.amdhsa_reserve_vcc 1
		.amdhsa_reserve_flat_scratch 0
		.amdhsa_float_round_mode_32 0
		.amdhsa_float_round_mode_16_64 0
		.amdhsa_float_denorm_mode_32 3
		.amdhsa_float_denorm_mode_16_64 3
		.amdhsa_dx10_clamp 1
		.amdhsa_ieee_mode 1
		.amdhsa_fp16_overflow 0
		.amdhsa_tg_split 0
		.amdhsa_exception_fp_ieee_invalid_op 0
		.amdhsa_exception_fp_denorm_src 0
		.amdhsa_exception_fp_ieee_div_zero 0
		.amdhsa_exception_fp_ieee_overflow 0
		.amdhsa_exception_fp_ieee_underflow 0
		.amdhsa_exception_fp_ieee_inexact 0
		.amdhsa_exception_int_div_zero 0
	.end_amdhsa_kernel
	.section	.text._Z38paged_attention_ll4mi_QKV_mfma4_kernelI14__hip_bfloat16hLN4vllm18Fp8KVCacheDataTypeE1ES0_Li32ELi64ELi256ELb1ELi1EEvPKT_PKT0_S8_ifPKiSA_SA_iPKfiiiPfSD_PS3_PT2_iSC_SC_,"axG",@progbits,_Z38paged_attention_ll4mi_QKV_mfma4_kernelI14__hip_bfloat16hLN4vllm18Fp8KVCacheDataTypeE1ES0_Li32ELi64ELi256ELb1ELi1EEvPKT_PKT0_S8_ifPKiSA_SA_iPKfiiiPfSD_PS3_PT2_iSC_SC_,comdat
.Lfunc_end714:
	.size	_Z38paged_attention_ll4mi_QKV_mfma4_kernelI14__hip_bfloat16hLN4vllm18Fp8KVCacheDataTypeE1ES0_Li32ELi64ELi256ELb1ELi1EEvPKT_PKT0_S8_ifPKiSA_SA_iPKfiiiPfSD_PS3_PT2_iSC_SC_, .Lfunc_end714-_Z38paged_attention_ll4mi_QKV_mfma4_kernelI14__hip_bfloat16hLN4vllm18Fp8KVCacheDataTypeE1ES0_Li32ELi64ELi256ELb1ELi1EEvPKT_PKT0_S8_ifPKiSA_SA_iPKfiiiPfSD_PS3_PT2_iSC_SC_
                                        ; -- End function
	.section	.AMDGPU.csdata,"",@progbits
; Kernel info:
; codeLenInByte = 28988
; NumSgprs: 46
; NumVgprs: 56
; NumAgprs: 4
; TotalNumVgprs: 60
; ScratchSize: 0
; MemoryBound: 0
; FloatMode: 240
; IeeeMode: 1
; LDSByteSize: 2720 bytes/workgroup (compile time only)
; SGPRBlocks: 5
; VGPRBlocks: 7
; NumSGPRsForWavesPerEU: 46
; NumVGPRsForWavesPerEU: 60
; AccumOffset: 56
; Occupancy: 8
; WaveLimiterHint : 1
; COMPUTE_PGM_RSRC2:SCRATCH_EN: 0
; COMPUTE_PGM_RSRC2:USER_SGPR: 6
; COMPUTE_PGM_RSRC2:TRAP_HANDLER: 0
; COMPUTE_PGM_RSRC2:TGID_X_EN: 1
; COMPUTE_PGM_RSRC2:TGID_Y_EN: 1
; COMPUTE_PGM_RSRC2:TGID_Z_EN: 1
; COMPUTE_PGM_RSRC2:TIDIG_COMP_CNT: 0
; COMPUTE_PGM_RSRC3_GFX90A:ACCUM_OFFSET: 13
; COMPUTE_PGM_RSRC3_GFX90A:TG_SPLIT: 0
	.section	.text._Z38paged_attention_ll4mi_QKV_mfma4_kernelI14__hip_bfloat16hLN4vllm18Fp8KVCacheDataTypeE1ES0_Li32ELi64ELi256ELb1ELi2EEvPKT_PKT0_S8_ifPKiSA_SA_iPKfiiiPfSD_PS3_PT2_iSC_SC_,"axG",@progbits,_Z38paged_attention_ll4mi_QKV_mfma4_kernelI14__hip_bfloat16hLN4vllm18Fp8KVCacheDataTypeE1ES0_Li32ELi64ELi256ELb1ELi2EEvPKT_PKT0_S8_ifPKiSA_SA_iPKfiiiPfSD_PS3_PT2_iSC_SC_,comdat
	.protected	_Z38paged_attention_ll4mi_QKV_mfma4_kernelI14__hip_bfloat16hLN4vllm18Fp8KVCacheDataTypeE1ES0_Li32ELi64ELi256ELb1ELi2EEvPKT_PKT0_S8_ifPKiSA_SA_iPKfiiiPfSD_PS3_PT2_iSC_SC_ ; -- Begin function _Z38paged_attention_ll4mi_QKV_mfma4_kernelI14__hip_bfloat16hLN4vllm18Fp8KVCacheDataTypeE1ES0_Li32ELi64ELi256ELb1ELi2EEvPKT_PKT0_S8_ifPKiSA_SA_iPKfiiiPfSD_PS3_PT2_iSC_SC_
	.globl	_Z38paged_attention_ll4mi_QKV_mfma4_kernelI14__hip_bfloat16hLN4vllm18Fp8KVCacheDataTypeE1ES0_Li32ELi64ELi256ELb1ELi2EEvPKT_PKT0_S8_ifPKiSA_SA_iPKfiiiPfSD_PS3_PT2_iSC_SC_
	.p2align	8
	.type	_Z38paged_attention_ll4mi_QKV_mfma4_kernelI14__hip_bfloat16hLN4vllm18Fp8KVCacheDataTypeE1ES0_Li32ELi64ELi256ELb1ELi2EEvPKT_PKT0_S8_ifPKiSA_SA_iPKfiiiPfSD_PS3_PT2_iSC_SC_,@function
_Z38paged_attention_ll4mi_QKV_mfma4_kernelI14__hip_bfloat16hLN4vllm18Fp8KVCacheDataTypeE1ES0_Li32ELi64ELi256ELb1ELi2EEvPKT_PKT0_S8_ifPKiSA_SA_iPKfiiiPfSD_PS3_PT2_iSC_SC_: ; @_Z38paged_attention_ll4mi_QKV_mfma4_kernelI14__hip_bfloat16hLN4vllm18Fp8KVCacheDataTypeE1ES0_Li32ELi64ELi256ELb1ELi2EEvPKT_PKT0_S8_ifPKiSA_SA_iPKfiiiPfSD_PS3_PT2_iSC_SC_
; %bb.0:
	s_load_dwordx2 s[2:3], s[4:5], 0x30
	s_mov_b32 s10, s7
	s_mov_b64 s[0:1], 0
	s_waitcnt lgkmcnt(0)
	s_cmp_lg_u64 s[2:3], 0
	s_cselect_b64 s[20:21], -1, 0
	s_and_b64 vcc, exec, s[20:21]
	s_cbranch_vccz .LBB715_10
; %bb.1:
	s_add_i32 s12, s6, 1
	s_mov_b32 s13, 0
	s_lshl_b64 s[14:15], s[12:13], 2
	s_add_u32 s14, s2, s14
	s_mov_b32 s7, s13
	s_addc_u32 s15, s3, s15
	s_lshl_b64 s[12:13], s[6:7], 2
	s_add_u32 s12, s2, s12
	s_addc_u32 s13, s3, s13
	s_load_dword s9, s[14:15], 0x0
	s_load_dword s11, s[12:13], 0x0
	s_waitcnt lgkmcnt(0)
	s_sub_i32 s9, s9, s11
	s_cmp_eq_u32 s9, 1
	s_cselect_b64 s[12:13], -1, 0
	s_andn2_b64 vcc, exec, s[0:1]
	s_cbranch_vccnz .LBB715_3
.LBB715_2:
	s_mov_b32 s7, 0
	s_mov_b64 s[12:13], -1
.LBB715_3:
	s_andn2_b64 vcc, exec, s[12:13]
	s_cbranch_vccnz .LBB715_793
; %bb.4:
	s_load_dword s9, s[4:5], 0x9c
	s_load_dwordx2 s[0:1], s[4:5], 0x28
	s_add_u32 s26, s4, 0x90
	s_addc_u32 s27, s5, 0
	s_lshl_b64 s[22:23], s[6:7], 2
	s_waitcnt lgkmcnt(0)
	s_and_b32 s9, s9, 0xffff
	s_add_u32 s0, s0, s22
	s_addc_u32 s1, s1, s23
	s_load_dword s7, s[0:1], 0x0
	s_mul_i32 s9, s10, s9
	s_waitcnt lgkmcnt(0)
	s_cmp_ge_i32 s9, s7
	s_cbranch_scc1 .LBB715_793
; %bb.5:
	v_and_b32_e32 v2, 0xc0, v0
	v_add_u32_e32 v4, s9, v2
	v_lshrrev_b32_e32 v1, 6, v0
	v_cmp_gt_i32_e64 s[0:1], s7, v4
	v_cmp_le_i32_e32 vcc, s7, v4
                                        ; implicit-def: $sgpr30
                                        ; implicit-def: $sgpr11
	s_and_saveexec_b64 s[12:13], vcc
	s_xor_b64 s[12:13], exec, s[12:13]
	s_cbranch_execz .LBB715_7
; %bb.6:
	v_mul_u32_u24_e32 v2, 20, v1
	v_or_b32_e32 v2, 0xa00, v2
	v_mov_b32_e32 v3, 0xa50
	v_mov_b32_e32 v4, 0xff7fffff
	v_mad_u32_u24 v3, v1, 20, v3
	ds_write2_b32 v2, v4, v4 offset1:1
	v_mov_b32_e32 v2, 0
	ds_write2_b32 v3, v2, v2 offset1:1
	v_mov_b32_e32 v3, 0xa08
	s_mov_b32 s11, 0xff7fffff
	s_mov_b32 s30, 0
	v_mad_u32_u24 v3, v1, 20, v3
	v_mov_b32_e32 v5, 0xa58
	v_mad_u32_u24 v5, v1, 20, v5
	ds_write2_b32 v3, v4, v4 offset1:1
	ds_write2_b32 v5, v2, v2 offset1:1
                                        ; implicit-def: $vgpr4
.LBB715_7:
	s_or_saveexec_b64 s[28:29], s[12:13]
	s_load_dwordx2 s[24:25], s[4:5], 0x68
	s_load_dwordx4 s[16:19], s[4:5], 0x58
	s_load_dword s38, s[26:27], 0x4
	s_load_dwordx4 s[12:15], s[4:5], 0x80
	v_and_b32_e32 v42, 63, v0
	v_and_b32_e32 v43, 3, v0
	s_lshl_b32 s33, s8, 1
	v_mov_b32_e32 v21, s30
	v_mov_b32_e32 v25, s11
	;; [unrolled: 1-line block ×5, first 2 shown]
                                        ; implicit-def: $vgpr14_vgpr15
                                        ; implicit-def: $vgpr10_vgpr11
                                        ; implicit-def: $vgpr6_vgpr7
                                        ; implicit-def: $vgpr2_vgpr3
	s_xor_b64 exec, exec, s[28:29]
	s_cbranch_execz .LBB715_403
; %bb.8:
	s_add_i32 s34, s7, 31
	s_ashr_i32 s35, s34, 31
	s_load_dwordx2 s[30:31], s[4:5], 0x20
	s_load_dword s11, s[4:5], 0x38
	s_lshr_b32 s35, s35, 27
	v_add_u32_e32 v44, s9, v0
	s_add_i32 s34, s34, s35
	v_ashrrev_i32_e32 v2, 31, v44
	s_ashr_i32 s34, s34, 5
	v_lshrrev_b32_e32 v2, 27, v2
	s_add_i32 s36, s34, -1
	v_add_u32_e32 v2, v44, v2
	v_ashrrev_i32_e32 v2, 5, v2
	v_mov_b32_e32 v3, s36
	v_cmp_gt_i32_e32 vcc, s7, v44
	s_waitcnt lgkmcnt(0)
	s_mul_i32 s34, s6, s11
	s_mov_b32 s35, 0
	v_cndmask_b32_e32 v2, v3, v2, vcc
	s_lshl_b64 s[34:35], s[34:35], 2
	v_ashrrev_i32_e32 v3, 31, v2
	s_add_u32 s11, s30, s34
	v_lshlrev_b64 v[2:3], 2, v[2:3]
	v_add_co_u32_e32 v6, vcc, s11, v2
	v_ashrrev_i32_e32 v2, 31, v4
	v_lshrrev_b32_e32 v2, 27, v2
	v_add_u32_e32 v2, v4, v2
	s_addc_u32 s30, s31, s35
	v_ashrrev_i32_e32 v4, 5, v2
	v_mov_b32_e32 v5, s30
	v_min_i32_e32 v2, s36, v4
	v_addc_co_u32_e32 v7, vcc, v5, v3, vcc
	v_ashrrev_i32_e32 v3, 31, v2
	v_lshlrev_b64 v[2:3], 2, v[2:3]
	v_add_co_u32_e32 v8, vcc, s11, v2
	v_add_u32_e32 v2, 1, v4
	v_min_i32_e32 v2, s36, v2
	v_addc_co_u32_e32 v9, vcc, v5, v3, vcc
	v_ashrrev_i32_e32 v3, 31, v2
	v_lshlrev_b64 v[2:3], 2, v[2:3]
	v_mov_b32_e32 v4, s30
	v_add_co_u32_e32 v10, vcc, s11, v2
	v_addc_co_u32_e32 v11, vcc, v4, v3, vcc
	global_load_dword v4, v[6:7], off
	global_load_dword v3, v[8:9], off
	;; [unrolled: 1-line block ×3, first 2 shown]
	s_load_dwordx2 s[34:35], s[4:5], 0x8
	s_andn2_b64 vcc, exec, s[20:21]
	s_cbranch_vccnz .LBB715_11
; %bb.9:
	s_add_u32 s2, s2, s22
	s_addc_u32 s3, s3, s23
	s_load_dword s9, s[2:3], 0x0
	s_branch .LBB715_12
.LBB715_10:
	s_mov_b64 s[12:13], 0
	s_branch .LBB715_2
.LBB715_11:
	s_mov_b32 s9, s6
.LBB715_12:
	s_load_dwordx2 s[30:31], s[4:5], 0x10
	s_load_dwordx4 s[20:23], s[4:5], 0x48
	v_cmp_gt_u32_e32 vcc, 2, v43
	s_mov_b32 s37, 0
	v_mov_b32_e32 v45, 0
	v_mov_b32_e32 v18, 0
	;; [unrolled: 1-line block ×5, first 2 shown]
	s_and_saveexec_b64 s[2:3], vcc
	s_cbranch_execz .LBB715_14
; %bb.13:
	s_load_dwordx2 s[40:41], s[4:5], 0x0
	s_waitcnt lgkmcnt(0)
	s_ashr_i32 s11, s20, 31
	s_mul_hi_u32 s23, s9, s20
	s_mul_i32 s11, s9, s11
	s_add_i32 s43, s23, s11
	s_mul_i32 s42, s9, s20
	s_lshl_b64 s[42:43], s[42:43], 1
	s_add_u32 s9, s40, s42
	s_addc_u32 s11, s41, s43
	s_lshl_b32 s36, s8, 7
	s_lshl_b64 s[36:37], s[36:37], 1
	s_add_u32 s36, s9, s36
	v_lshlrev_b32_e32 v5, 3, v43
	v_lshrrev_b32_e32 v6, 2, v42
	s_addc_u32 s37, s11, s37
	v_add_lshl_u32 v5, v5, v6, 4
	global_load_dwordx4 v[18:21], v5, s[36:37]
.LBB715_14:
	s_or_b64 exec, exec, s[2:3]
	s_waitcnt lgkmcnt(0)
	s_mul_i32 s8, s8, s22
	s_add_u32 s2, s8, s34
	s_addc_u32 s3, 0, s35
	v_pk_mov_b32 v[6:7], s[2:3], s[2:3] op_sel:[0,1]
	s_waitcnt vmcnt(2)
	v_mad_i64_i32 v[4:5], s[2:3], v4, s21, v[6:7]
	v_lshlrev_b32_e32 v6, 4, v0
	v_and_b32_e32 v6, 0x1f0, v6
	v_add_co_u32_e64 v4, s[2:3], v4, v6
	v_addc_co_u32_e64 v5, s[2:3], 0, v5, s[2:3]
	global_load_dwordx4 v[34:37], v[4:5], off
	global_load_dwordx4 v[30:33], v[4:5], off offset:512
	global_load_dwordx4 v[26:29], v[4:5], off offset:1024
	;; [unrolled: 1-line block ×3, first 2 shown]
	s_and_saveexec_b64 s[2:3], vcc
	s_cbranch_execz .LBB715_16
; %bb.15:
	s_load_dwordx2 s[22:23], s[4:5], 0x40
	v_or_b32_e32 v4, s33, v43
	v_mov_b32_e32 v5, 0
	v_lshlrev_b64 v[4:5], 2, v[4:5]
	s_waitcnt lgkmcnt(0)
	v_mov_b32_e32 v6, s23
	v_add_co_u32_e32 v4, vcc, s22, v4
	v_addc_co_u32_e32 v5, vcc, v6, v5, vcc
	global_load_dword v45, v[4:5], off
.LBB715_16:
	s_or_b64 exec, exec, s[2:3]
	s_add_u32 s2, s30, s8
	v_lshlrev_b32_e32 v4, 5, v42
	v_add_co_u32_e32 v6, vcc, s2, v4
	s_waitcnt vmcnt(5)
	v_mul_hi_i32 v4, v3, s21
	s_addc_u32 s3, s31, 0
	v_ashrrev_i32_e32 v4, 31, v4
	v_mov_b32_e32 v5, s3
	v_lshrrev_b32_e32 v38, 29, v4
	v_mov_b32_e32 v39, 0
	v_addc_co_u32_e32 v7, vcc, 0, v5, vcc
	v_mad_i64_i32 v[4:5], s[2:3], v3, s21, v[38:39]
	v_and_b32_e32 v3, -8, v4
	v_add_co_u32_e32 v4, vcc, v6, v3
	s_waitcnt vmcnt(4)
	v_mul_hi_i32 v3, v2, s21
	v_ashrrev_i32_e32 v3, 31, v3
	v_lshrrev_b32_e32 v38, 29, v3
	v_mad_i64_i32 v[2:3], s[2:3], v2, s21, v[38:39]
	v_addc_co_u32_e32 v5, vcc, v7, v5, vcc
	v_and_b32_e32 v2, -8, v2
	v_add_co_u32_e32 v40, vcc, v6, v2
	v_addc_co_u32_e32 v41, vcc, v7, v3, vcc
	global_load_dwordx4 v[10:13], v[4:5], off offset:16
	global_load_dwordx4 v[14:17], v[4:5], off
	s_nop 0
	global_load_dwordx4 v[2:5], v[40:41], off offset:16
	global_load_dwordx4 v[6:9], v[40:41], off
	s_waitcnt vmcnt(7)
	v_cmp_ne_u16_sdwa s[8:9], v34, v39 src0_sel:BYTE_0 src1_sel:DWORD
	v_mov_b32_e32 v46, 0
	s_and_saveexec_b64 s[2:3], s[8:9]
	s_cbranch_execz .LBB715_22
; %bb.17:
	s_movk_i32 s8, 0x80
	v_cmp_ne_u16_sdwa s[20:21], v34, s8 src0_sel:BYTE_0 src1_sel:DWORD
	v_mov_b32_e32 v46, 0xffff8000
	s_and_saveexec_b64 s[8:9], s[20:21]
	s_cbranch_execz .LBB715_21
; %bb.18:
	s_movk_i32 s11, 0x7f
	v_and_b32_e32 v38, 0x7f, v34
	v_cmp_ne_u32_e32 vcc, s11, v38
	v_mov_b32_e32 v46, 0x7f80
	s_and_saveexec_b64 s[20:21], vcc
	s_cbranch_execz .LBB715_20
; %bb.19:
	v_and_b32_e32 v40, 7, v34
	v_ffbh_u32_e32 v40, v40
	v_min_u32_e32 v40, 32, v40
	v_lshrrev_b32_e32 v41, 3, v38
	v_subrev_u32_e32 v46, 28, v40
	v_sub_u32_e32 v40, 29, v40
	v_cmp_gt_u32_e32 vcc, 8, v38
	v_cndmask_b32_e32 v38, v41, v40, vcc
	v_cndmask_b32_e32 v40, 0, v46, vcc
	v_lshlrev_b64 v[40:41], v40, v[34:35]
	v_lshlrev_b32_e32 v40, 20, v40
	v_lshlrev_b32_e32 v41, 24, v34
	v_bfrev_b32_e32 v46, 60
	v_and_b32_e32 v40, 0x700000, v40
	v_and_b32_e32 v41, 0x80000000, v41
	v_lshl_add_u32 v38, v38, 23, v46
	v_or3_b32 v38, v41, v38, v40
	v_lshrrev_b32_e32 v46, 16, v38
.LBB715_20:
	s_or_b64 exec, exec, s[20:21]
.LBB715_21:
	s_or_b64 exec, exec, s[8:9]
.LBB715_22:
	s_or_b64 exec, exec, s[2:3]
	v_lshrrev_b16_e32 v38, 8, v34
	v_cmp_ne_u16_e32 vcc, 0, v38
	s_and_saveexec_b64 s[2:3], vcc
	s_cbranch_execz .LBB715_28
; %bb.23:
	s_movk_i32 s8, 0x80
	v_cmp_ne_u16_e32 vcc, s8, v38
	v_mov_b32_e32 v39, 0xffff8000
	s_and_saveexec_b64 s[8:9], vcc
	s_cbranch_execz .LBB715_27
; %bb.24:
	s_movk_i32 s11, 0x7f
	v_and_b32_e32 v40, 0x7f, v38
	v_cmp_ne_u32_e32 vcc, s11, v40
	v_mov_b32_e32 v39, 0x7f80
	s_and_saveexec_b64 s[20:21], vcc
	s_cbranch_execz .LBB715_26
; %bb.25:
	v_and_b32_e32 v41, 7, v38
	v_ffbh_u32_e32 v39, v41
	v_min_u32_e32 v48, 32, v39
	v_subrev_u32_e32 v39, 28, v48
	v_lshlrev_b64 v[38:39], v39, v[38:39]
	v_lshrrev_b32_e32 v47, 3, v40
	v_sub_u32_e32 v39, 29, v48
	v_and_b32_e32 v38, 7, v38
	v_cmp_gt_u32_e32 vcc, 8, v40
	v_cndmask_b32_e32 v39, v47, v39, vcc
	v_cndmask_b32_e32 v38, v41, v38, vcc
	v_lshlrev_b32_e32 v40, 16, v34
	v_bfrev_b32_e32 v41, 60
	v_lshlrev_b32_e32 v38, 20, v38
	v_and_b32_e32 v40, 0x80000000, v40
	v_lshl_add_u32 v39, v39, 23, v41
	v_or3_b32 v38, v40, v39, v38
	v_lshrrev_b32_e32 v39, 16, v38
.LBB715_26:
	s_or_b64 exec, exec, s[20:21]
.LBB715_27:
	s_or_b64 exec, exec, s[8:9]
.LBB715_28:
	s_or_b64 exec, exec, s[2:3]
	s_movk_i32 s2, 0xff
	v_and_b32_sdwa v40, v34, s2 dst_sel:DWORD dst_unused:UNUSED_PAD src0_sel:WORD_1 src1_sel:DWORD
	v_lshrrev_b32_e32 v38, 16, v34
	v_cmp_ne_u16_e32 vcc, 0, v40
	v_mov_b32_e32 v41, 0
	v_mov_b32_e32 v47, 0
	s_and_saveexec_b64 s[2:3], vcc
	s_cbranch_execz .LBB715_34
; %bb.29:
	s_movk_i32 s8, 0x80
	v_cmp_ne_u16_e32 vcc, s8, v40
	v_mov_b32_e32 v47, 0xffff8000
	s_and_saveexec_b64 s[8:9], vcc
	s_cbranch_execz .LBB715_33
; %bb.30:
	v_bfe_u32 v40, v34, 16, 7
	s_movk_i32 s11, 0x7f
	v_cmp_ne_u32_e32 vcc, s11, v40
	v_mov_b32_e32 v47, 0x7f80
	s_and_saveexec_b64 s[20:21], vcc
	s_cbranch_execz .LBB715_32
; %bb.31:
	v_and_b32_e32 v47, 7, v38
	v_ffbh_u32_e32 v48, v47
	v_min_u32_e32 v51, 32, v48
	v_subrev_u32_e32 v48, 28, v51
	v_lshlrev_b64 v[48:49], v48, v[38:39]
	v_and_b32_e32 v48, 7, v48
	v_cmp_gt_u32_e32 vcc, 8, v40
	v_lshrrev_b32_e32 v50, 3, v40
	v_sub_u32_e32 v38, 29, v51
	v_cndmask_b32_e32 v40, v47, v48, vcc
	v_mov_b32_e32 v47, 24
	v_cndmask_b32_e32 v38, v50, v38, vcc
	v_lshlrev_b32_sdwa v47, v47, v34 dst_sel:DWORD dst_unused:UNUSED_PAD src0_sel:DWORD src1_sel:WORD_1
	v_bfrev_b32_e32 v48, 60
	v_lshlrev_b32_e32 v40, 20, v40
	v_and_b32_e32 v47, 0x80000000, v47
	v_lshl_add_u32 v38, v38, 23, v48
	v_or3_b32 v38, v47, v38, v40
	v_lshrrev_b32_e32 v47, 16, v38
.LBB715_32:
	s_or_b64 exec, exec, s[20:21]
.LBB715_33:
	s_or_b64 exec, exec, s[8:9]
.LBB715_34:
	s_or_b64 exec, exec, s[2:3]
	s_mov_b32 s2, 0xffffff
	v_cmp_lt_u32_e32 vcc, s2, v34
	v_mov_b32_e32 v48, 0
	s_and_saveexec_b64 s[2:3], vcc
	s_cbranch_execz .LBB715_40
; %bb.35:
	v_lshrrev_b32_e32 v38, 24, v34
	s_movk_i32 s8, 0x80
	v_cmp_ne_u32_e32 vcc, s8, v38
	v_mov_b32_e32 v48, 0xffff8000
	s_and_saveexec_b64 s[8:9], vcc
	s_cbranch_execz .LBB715_39
; %bb.36:
	v_bfe_u32 v40, v34, 24, 7
	s_movk_i32 s11, 0x7f
	v_cmp_ne_u32_e32 vcc, s11, v40
	v_mov_b32_e32 v48, 0x7f80
	s_and_saveexec_b64 s[20:21], vcc
	s_cbranch_execz .LBB715_38
; %bb.37:
	v_and_b32_e32 v50, 7, v38
	v_ffbh_u32_e32 v48, v50
	v_min_u32_e32 v52, 32, v48
	v_subrev_u32_e32 v48, 28, v52
	v_lshlrev_b64 v[48:49], v48, v[38:39]
	v_lshrrev_b32_e32 v51, 3, v40
	v_sub_u32_e32 v49, 29, v52
	v_and_b32_e32 v48, 7, v48
	v_cmp_gt_u32_e32 vcc, 8, v40
	v_cndmask_b32_e32 v40, v51, v49, vcc
	v_cndmask_b32_e32 v48, v50, v48, vcc
	v_lshlrev_b32_e32 v38, 24, v38
	v_bfrev_b32_e32 v49, 60
	v_lshlrev_b32_e32 v48, 20, v48
	v_and_b32_e32 v38, 0x80000000, v38
	v_lshl_add_u32 v40, v40, 23, v49
	v_or3_b32 v38, v38, v40, v48
	v_lshrrev_b32_e32 v48, 16, v38
.LBB715_38:
	s_or_b64 exec, exec, s[20:21]
.LBB715_39:
	s_or_b64 exec, exec, s[8:9]
.LBB715_40:
	s_or_b64 exec, exec, s[2:3]
	v_mov_b32_e32 v49, 0
	v_mov_b32_e32 v40, v35
	v_cmp_ne_u16_sdwa s[8:9], v35, v49 src0_sel:BYTE_0 src1_sel:DWORD
	v_mov_b32_e32 v50, 0
	s_and_saveexec_b64 s[2:3], s[8:9]
	s_cbranch_execz .LBB715_46
; %bb.41:
	s_movk_i32 s8, 0x80
	v_cmp_ne_u16_sdwa s[20:21], v35, s8 src0_sel:BYTE_0 src1_sel:DWORD
	v_mov_b32_e32 v50, 0xffff8000
	s_and_saveexec_b64 s[8:9], s[20:21]
	s_cbranch_execz .LBB715_45
; %bb.42:
	s_movk_i32 s11, 0x7f
	v_and_b32_e32 v38, 0x7f, v35
	v_cmp_ne_u32_e32 vcc, s11, v38
	v_mov_b32_e32 v50, 0x7f80
	s_and_saveexec_b64 s[20:21], vcc
	s_cbranch_execz .LBB715_44
; %bb.43:
	v_and_b32_e32 v50, 7, v35
	v_ffbh_u32_e32 v50, v50
	v_min_u32_e32 v50, 32, v50
	v_lshrrev_b32_e32 v51, 3, v38
	v_subrev_u32_e32 v52, 28, v50
	v_sub_u32_e32 v50, 29, v50
	v_cmp_gt_u32_e32 vcc, 8, v38
	v_cndmask_b32_e32 v38, v51, v50, vcc
	v_cndmask_b32_e32 v50, 0, v52, vcc
	v_lshlrev_b64 v[50:51], v50, v[40:41]
	v_lshlrev_b32_e32 v41, 20, v50
	v_lshlrev_b32_e32 v50, 24, v40
	v_bfrev_b32_e32 v51, 60
	v_and_b32_e32 v41, 0x700000, v41
	v_and_b32_e32 v50, 0x80000000, v50
	v_lshl_add_u32 v38, v38, 23, v51
	v_or3_b32 v38, v50, v38, v41
	v_lshrrev_b32_e32 v50, 16, v38
.LBB715_44:
	s_or_b64 exec, exec, s[20:21]
.LBB715_45:
	s_or_b64 exec, exec, s[8:9]
.LBB715_46:
	s_or_b64 exec, exec, s[2:3]
	v_lshrrev_b16_e32 v38, 8, v40
	v_cmp_ne_u16_e32 vcc, 0, v38
	s_and_saveexec_b64 s[2:3], vcc
	s_cbranch_execz .LBB715_52
; %bb.47:
	s_movk_i32 s8, 0x80
	v_cmp_ne_u16_e32 vcc, s8, v38
	v_mov_b32_e32 v49, 0xffff8000
	s_and_saveexec_b64 s[8:9], vcc
	s_cbranch_execz .LBB715_51
; %bb.48:
	s_movk_i32 s11, 0x7f
	v_and_b32_e32 v41, 0x7f, v38
	v_cmp_ne_u32_e32 vcc, s11, v41
	v_mov_b32_e32 v49, 0x7f80
	s_and_saveexec_b64 s[20:21], vcc
	s_cbranch_execz .LBB715_50
; %bb.49:
	v_and_b32_e32 v49, 7, v38
	v_ffbh_u32_e32 v52, v49
	v_min_u32_e32 v54, 32, v52
	v_subrev_u32_e32 v52, 28, v54
	v_lshlrev_b64 v[52:53], v52, v[38:39]
	v_lshrrev_b32_e32 v51, 3, v41
	v_sub_u32_e32 v38, 29, v54
	v_and_b32_e32 v52, 7, v52
	v_cmp_gt_u32_e32 vcc, 8, v41
	v_cndmask_b32_e32 v38, v51, v38, vcc
	v_cndmask_b32_e32 v41, v49, v52, vcc
	v_lshlrev_b32_e32 v40, 16, v40
	v_bfrev_b32_e32 v49, 60
	v_lshlrev_b32_e32 v41, 20, v41
	v_and_b32_e32 v40, 0x80000000, v40
	v_lshl_add_u32 v38, v38, 23, v49
	v_or3_b32 v38, v40, v38, v41
	v_lshrrev_b32_e32 v49, 16, v38
.LBB715_50:
	s_or_b64 exec, exec, s[20:21]
.LBB715_51:
	s_or_b64 exec, exec, s[8:9]
.LBB715_52:
	s_or_b64 exec, exec, s[2:3]
	s_movk_i32 s2, 0xff
	v_and_b32_sdwa v51, v35, s2 dst_sel:DWORD dst_unused:UNUSED_PAD src0_sel:WORD_1 src1_sel:DWORD
	v_lshrrev_b32_e32 v38, 16, v35
	v_cmp_ne_u16_e32 vcc, 0, v51
	v_mov_b32_e32 v40, 0
	v_mov_b32_e32 v41, 0
	s_and_saveexec_b64 s[2:3], vcc
	s_cbranch_execz .LBB715_58
; %bb.53:
	s_movk_i32 s8, 0x80
	v_cmp_ne_u16_e32 vcc, s8, v51
	v_mov_b32_e32 v41, 0xffff8000
	s_and_saveexec_b64 s[8:9], vcc
	s_cbranch_execz .LBB715_57
; %bb.54:
	v_bfe_u32 v51, v35, 16, 7
	s_movk_i32 s11, 0x7f
	v_cmp_ne_u32_e32 vcc, s11, v51
	v_mov_b32_e32 v41, 0x7f80
	s_and_saveexec_b64 s[20:21], vcc
	s_cbranch_execz .LBB715_56
; %bb.55:
	v_and_b32_e32 v41, 7, v38
	v_ffbh_u32_e32 v52, v41
	v_min_u32_e32 v55, 32, v52
	v_subrev_u32_e32 v52, 28, v55
	v_lshlrev_b64 v[52:53], v52, v[38:39]
	v_lshrrev_b32_e32 v54, 3, v51
	v_sub_u32_e32 v38, 29, v55
	v_and_b32_e32 v52, 7, v52
	v_cmp_gt_u32_e32 vcc, 8, v51
	v_mov_b32_e32 v51, 24
	v_cndmask_b32_e32 v38, v54, v38, vcc
	v_cndmask_b32_e32 v41, v41, v52, vcc
	v_lshlrev_b32_sdwa v51, v51, v35 dst_sel:DWORD dst_unused:UNUSED_PAD src0_sel:DWORD src1_sel:WORD_1
	v_bfrev_b32_e32 v52, 60
	v_lshlrev_b32_e32 v41, 20, v41
	v_and_b32_e32 v51, 0x80000000, v51
	v_lshl_add_u32 v38, v38, 23, v52
	v_or3_b32 v38, v51, v38, v41
	v_lshrrev_b32_e32 v41, 16, v38
.LBB715_56:
	s_or_b64 exec, exec, s[20:21]
.LBB715_57:
	s_or_b64 exec, exec, s[8:9]
.LBB715_58:
	s_or_b64 exec, exec, s[2:3]
	s_mov_b32 s2, -1
	s_mov_b32 s3, 0xffffff
	v_cmp_lt_u64_e32 vcc, s[2:3], v[34:35]
	s_and_saveexec_b64 s[2:3], vcc
	s_cbranch_execz .LBB715_64
; %bb.59:
	v_lshrrev_b32_e32 v34, 24, v35
	s_movk_i32 s8, 0x80
	v_cmp_ne_u32_e32 vcc, s8, v34
	v_mov_b32_e32 v40, 0xffff8000
	s_and_saveexec_b64 s[8:9], vcc
	s_cbranch_execz .LBB715_63
; %bb.60:
	v_bfe_u32 v35, v35, 24, 7
	s_movk_i32 s11, 0x7f
	v_cmp_ne_u32_e32 vcc, s11, v35
	v_mov_b32_e32 v40, 0x7f80
	s_and_saveexec_b64 s[20:21], vcc
	s_cbranch_execz .LBB715_62
; %bb.61:
	v_and_b32_e32 v38, 7, v34
	v_ffbh_u32_e32 v51, v38
	v_min_u32_e32 v51, 32, v51
	v_subrev_u32_e32 v52, 28, v51
	v_lshlrev_b64 v[52:53], v52, v[34:35]
	v_lshrrev_b32_e32 v40, 3, v35
	v_sub_u32_e32 v51, 29, v51
	v_and_b32_e32 v52, 7, v52
	v_cmp_gt_u32_e32 vcc, 8, v35
	v_cndmask_b32_e32 v35, v40, v51, vcc
	v_cndmask_b32_e32 v38, v38, v52, vcc
	v_lshlrev_b32_e32 v34, 24, v34
	v_bfrev_b32_e32 v40, 60
	v_lshlrev_b32_e32 v38, 20, v38
	v_and_b32_e32 v34, 0x80000000, v34
	v_lshl_add_u32 v35, v35, 23, v40
	v_or3_b32 v34, v34, v35, v38
	v_lshrrev_b32_e32 v40, 16, v34
.LBB715_62:
	s_or_b64 exec, exec, s[20:21]
.LBB715_63:
	s_or_b64 exec, exec, s[8:9]
.LBB715_64:
	s_or_b64 exec, exec, s[2:3]
	s_mov_b32 s2, 0x5040100
	v_perm_b32 v35, v48, v47, s2
	v_perm_b32 v34, v39, v46, s2
	;; [unrolled: 1-line block ×4, first 2 shown]
	v_mfma_f32_4x4x4bf16_1k a[0:3], v[18:19], v[34:35], 0 cbsz:4
	v_mov_b32_e32 v39, 0
	v_mfma_f32_4x4x4bf16_1k a[0:3], v[20:21], v[40:41], a[0:3] cbsz:4
	v_mov_b32_e32 v40, 0
	v_cmp_ne_u16_sdwa s[8:9], v36, v40 src0_sel:BYTE_0 src1_sel:DWORD
	s_and_saveexec_b64 s[2:3], s[8:9]
	s_cbranch_execz .LBB715_70
; %bb.65:
	s_movk_i32 s8, 0x80
	v_cmp_ne_u16_sdwa s[20:21], v36, s8 src0_sel:BYTE_0 src1_sel:DWORD
	v_mov_b32_e32 v39, 0xffff8000
	s_and_saveexec_b64 s[8:9], s[20:21]
	s_cbranch_execz .LBB715_69
; %bb.66:
	s_movk_i32 s11, 0x7f
	v_and_b32_e32 v34, 0x7f, v36
	v_cmp_ne_u32_e32 vcc, s11, v34
	v_mov_b32_e32 v39, 0x7f80
	s_and_saveexec_b64 s[20:21], vcc
	s_cbranch_execz .LBB715_68
; %bb.67:
	v_and_b32_e32 v35, 7, v36
	v_ffbh_u32_e32 v35, v35
	v_min_u32_e32 v35, 32, v35
	v_subrev_u32_e32 v39, 28, v35
	v_cmp_gt_u32_e32 vcc, 8, v34
	v_lshrrev_b32_e32 v38, 3, v34
	v_sub_u32_e32 v35, 29, v35
	v_cndmask_b32_e32 v34, 0, v39, vcc
	v_cndmask_b32_e32 v38, v38, v35, vcc
	v_lshlrev_b64 v[34:35], v34, v[36:37]
	v_lshlrev_b32_e32 v34, 20, v34
	v_lshlrev_b32_e32 v35, 24, v36
	v_bfrev_b32_e32 v39, 60
	v_and_b32_e32 v34, 0x700000, v34
	v_and_b32_e32 v35, 0x80000000, v35
	v_lshl_add_u32 v38, v38, 23, v39
	v_or3_b32 v34, v35, v38, v34
	v_lshrrev_b32_e32 v39, 16, v34
.LBB715_68:
	s_or_b64 exec, exec, s[20:21]
.LBB715_69:
	s_or_b64 exec, exec, s[8:9]
.LBB715_70:
	s_or_b64 exec, exec, s[2:3]
	v_lshrrev_b16_e32 v34, 8, v36
	v_cmp_ne_u16_e32 vcc, 0, v34
	s_and_saveexec_b64 s[2:3], vcc
	s_cbranch_execz .LBB715_76
; %bb.71:
	s_movk_i32 s8, 0x80
	v_cmp_ne_u16_e32 vcc, s8, v34
	v_mov_b32_e32 v40, 0xffff8000
	s_and_saveexec_b64 s[8:9], vcc
	s_cbranch_execz .LBB715_75
; %bb.72:
	s_movk_i32 s11, 0x7f
	v_and_b32_e32 v35, 0x7f, v34
	v_cmp_ne_u32_e32 vcc, s11, v35
	v_mov_b32_e32 v40, 0x7f80
	s_and_saveexec_b64 s[20:21], vcc
	s_cbranch_execz .LBB715_74
; %bb.73:
	v_and_b32_e32 v38, 7, v34
	v_ffbh_u32_e32 v40, v38
	v_min_u32_e32 v47, 32, v40
	v_subrev_u32_e32 v40, 28, v47
	v_lshlrev_b64 v[40:41], v40, v[34:35]
	v_lshrrev_b32_e32 v46, 3, v35
	v_sub_u32_e32 v34, 29, v47
	v_and_b32_e32 v40, 7, v40
	v_cmp_gt_u32_e32 vcc, 8, v35
	v_cndmask_b32_e32 v34, v46, v34, vcc
	v_cndmask_b32_e32 v35, v38, v40, vcc
	v_lshlrev_b32_e32 v38, 16, v36
	v_bfrev_b32_e32 v40, 60
	v_lshlrev_b32_e32 v35, 20, v35
	v_and_b32_e32 v38, 0x80000000, v38
	v_lshl_add_u32 v34, v34, 23, v40
	v_or3_b32 v34, v38, v34, v35
	v_lshrrev_b32_e32 v40, 16, v34
.LBB715_74:
	s_or_b64 exec, exec, s[20:21]
.LBB715_75:
	s_or_b64 exec, exec, s[8:9]
.LBB715_76:
	s_or_b64 exec, exec, s[2:3]
	s_movk_i32 s2, 0xff
	v_and_b32_sdwa v38, v36, s2 dst_sel:DWORD dst_unused:UNUSED_PAD src0_sel:WORD_1 src1_sel:DWORD
	v_lshrrev_b32_e32 v34, 16, v36
	v_cmp_ne_u16_e32 vcc, 0, v38
	v_mov_b32_e32 v35, 0
	v_mov_b32_e32 v41, 0
	s_and_saveexec_b64 s[2:3], vcc
	s_cbranch_execz .LBB715_82
; %bb.77:
	s_movk_i32 s8, 0x80
	v_cmp_ne_u16_e32 vcc, s8, v38
	v_mov_b32_e32 v41, 0xffff8000
	s_and_saveexec_b64 s[8:9], vcc
	s_cbranch_execz .LBB715_81
; %bb.78:
	v_bfe_u32 v38, v36, 16, 7
	s_movk_i32 s11, 0x7f
	v_cmp_ne_u32_e32 vcc, s11, v38
	v_mov_b32_e32 v41, 0x7f80
	s_and_saveexec_b64 s[20:21], vcc
	s_cbranch_execz .LBB715_80
; %bb.79:
	v_and_b32_e32 v41, 7, v34
	v_ffbh_u32_e32 v46, v41
	v_min_u32_e32 v49, 32, v46
	v_subrev_u32_e32 v46, 28, v49
	v_lshlrev_b64 v[46:47], v46, v[34:35]
	v_and_b32_e32 v46, 7, v46
	v_cmp_gt_u32_e32 vcc, 8, v38
	v_lshrrev_b32_e32 v48, 3, v38
	v_sub_u32_e32 v34, 29, v49
	v_cndmask_b32_e32 v38, v41, v46, vcc
	v_mov_b32_e32 v41, 24
	v_cndmask_b32_e32 v34, v48, v34, vcc
	v_lshlrev_b32_sdwa v41, v41, v36 dst_sel:DWORD dst_unused:UNUSED_PAD src0_sel:DWORD src1_sel:WORD_1
	v_bfrev_b32_e32 v46, 60
	v_lshlrev_b32_e32 v38, 20, v38
	v_and_b32_e32 v41, 0x80000000, v41
	v_lshl_add_u32 v34, v34, 23, v46
	v_or3_b32 v34, v41, v34, v38
	v_lshrrev_b32_e32 v41, 16, v34
.LBB715_80:
	s_or_b64 exec, exec, s[20:21]
.LBB715_81:
	s_or_b64 exec, exec, s[8:9]
.LBB715_82:
	s_or_b64 exec, exec, s[2:3]
	s_mov_b32 s2, 0xffffff
	v_cmp_lt_u32_e32 vcc, s2, v36
	v_mov_b32_e32 v46, 0
	s_and_saveexec_b64 s[2:3], vcc
	s_cbranch_execz .LBB715_88
; %bb.83:
	v_lshrrev_b32_e32 v34, 24, v36
	s_movk_i32 s8, 0x80
	v_cmp_ne_u32_e32 vcc, s8, v34
	v_mov_b32_e32 v46, 0xffff8000
	s_and_saveexec_b64 s[8:9], vcc
	s_cbranch_execz .LBB715_87
; %bb.84:
	v_bfe_u32 v38, v36, 24, 7
	s_movk_i32 s11, 0x7f
	v_cmp_ne_u32_e32 vcc, s11, v38
	v_mov_b32_e32 v46, 0x7f80
	s_and_saveexec_b64 s[20:21], vcc
	s_cbranch_execz .LBB715_86
; %bb.85:
	v_and_b32_e32 v48, 7, v34
	v_ffbh_u32_e32 v46, v48
	v_min_u32_e32 v50, 32, v46
	v_subrev_u32_e32 v46, 28, v50
	v_lshlrev_b64 v[46:47], v46, v[34:35]
	v_lshrrev_b32_e32 v49, 3, v38
	v_sub_u32_e32 v47, 29, v50
	v_and_b32_e32 v46, 7, v46
	v_cmp_gt_u32_e32 vcc, 8, v38
	v_cndmask_b32_e32 v38, v49, v47, vcc
	v_cndmask_b32_e32 v46, v48, v46, vcc
	v_lshlrev_b32_e32 v34, 24, v34
	v_bfrev_b32_e32 v47, 60
	v_lshlrev_b32_e32 v46, 20, v46
	v_and_b32_e32 v34, 0x80000000, v34
	v_lshl_add_u32 v38, v38, 23, v47
	v_or3_b32 v34, v34, v38, v46
	v_lshrrev_b32_e32 v46, 16, v34
.LBB715_86:
	s_or_b64 exec, exec, s[20:21]
.LBB715_87:
	s_or_b64 exec, exec, s[8:9]
.LBB715_88:
	s_or_b64 exec, exec, s[2:3]
	v_mov_b32_e32 v47, 0
	v_mov_b32_e32 v34, v37
	v_cmp_ne_u16_sdwa s[8:9], v37, v47 src0_sel:BYTE_0 src1_sel:DWORD
	v_mov_b32_e32 v48, 0
	s_and_saveexec_b64 s[2:3], s[8:9]
	s_cbranch_execz .LBB715_94
; %bb.89:
	s_movk_i32 s8, 0x80
	v_cmp_ne_u16_sdwa s[20:21], v37, s8 src0_sel:BYTE_0 src1_sel:DWORD
	v_mov_b32_e32 v48, 0xffff8000
	s_and_saveexec_b64 s[8:9], s[20:21]
	s_cbranch_execz .LBB715_93
; %bb.90:
	s_movk_i32 s11, 0x7f
	v_and_b32_e32 v38, 0x7f, v37
	v_cmp_ne_u32_e32 vcc, s11, v38
	v_mov_b32_e32 v48, 0x7f80
	s_and_saveexec_b64 s[20:21], vcc
	s_cbranch_execz .LBB715_92
; %bb.91:
	v_and_b32_e32 v48, 7, v37
	v_ffbh_u32_e32 v48, v48
	v_min_u32_e32 v48, 32, v48
	v_lshrrev_b32_e32 v49, 3, v38
	v_subrev_u32_e32 v50, 28, v48
	v_sub_u32_e32 v48, 29, v48
	v_cmp_gt_u32_e32 vcc, 8, v38
	v_cndmask_b32_e32 v38, v49, v48, vcc
	v_cndmask_b32_e32 v48, 0, v50, vcc
	v_lshlrev_b64 v[48:49], v48, v[34:35]
	v_lshlrev_b32_e32 v35, 20, v48
	v_lshlrev_b32_e32 v48, 24, v34
	v_bfrev_b32_e32 v49, 60
	v_and_b32_e32 v35, 0x700000, v35
	v_and_b32_e32 v48, 0x80000000, v48
	v_lshl_add_u32 v38, v38, 23, v49
	v_or3_b32 v35, v48, v38, v35
	v_lshrrev_b32_e32 v48, 16, v35
.LBB715_92:
	s_or_b64 exec, exec, s[20:21]
.LBB715_93:
	s_or_b64 exec, exec, s[8:9]
.LBB715_94:
	s_or_b64 exec, exec, s[2:3]
	v_lshrrev_b16_e32 v38, 8, v34
	v_cmp_ne_u16_e32 vcc, 0, v38
	s_and_saveexec_b64 s[2:3], vcc
	s_cbranch_execz .LBB715_100
; %bb.95:
	s_movk_i32 s8, 0x80
	v_cmp_ne_u16_e32 vcc, s8, v38
	v_mov_b32_e32 v47, 0xffff8000
	s_and_saveexec_b64 s[8:9], vcc
	s_cbranch_execz .LBB715_99
; %bb.96:
	s_movk_i32 s11, 0x7f
	v_and_b32_e32 v35, 0x7f, v38
	v_cmp_ne_u32_e32 vcc, s11, v35
	v_mov_b32_e32 v47, 0x7f80
	s_and_saveexec_b64 s[20:21], vcc
	s_cbranch_execz .LBB715_98
; %bb.97:
	v_and_b32_e32 v47, 7, v38
	v_ffbh_u32_e32 v50, v47
	v_min_u32_e32 v52, 32, v50
	v_subrev_u32_e32 v50, 28, v52
	v_lshlrev_b64 v[50:51], v50, v[38:39]
	v_lshrrev_b32_e32 v49, 3, v35
	v_sub_u32_e32 v38, 29, v52
	v_and_b32_e32 v50, 7, v50
	v_cmp_gt_u32_e32 vcc, 8, v35
	v_cndmask_b32_e32 v35, v49, v38, vcc
	v_cndmask_b32_e32 v38, v47, v50, vcc
	v_lshlrev_b32_e32 v34, 16, v34
	v_bfrev_b32_e32 v47, 60
	v_lshlrev_b32_e32 v38, 20, v38
	v_and_b32_e32 v34, 0x80000000, v34
	v_lshl_add_u32 v35, v35, 23, v47
	v_or3_b32 v34, v34, v35, v38
	v_lshrrev_b32_e32 v47, 16, v34
.LBB715_98:
	s_or_b64 exec, exec, s[20:21]
.LBB715_99:
	s_or_b64 exec, exec, s[8:9]
.LBB715_100:
	s_or_b64 exec, exec, s[2:3]
	s_movk_i32 s2, 0xff
	v_and_b32_sdwa v49, v37, s2 dst_sel:DWORD dst_unused:UNUSED_PAD src0_sel:WORD_1 src1_sel:DWORD
	v_lshrrev_b32_e32 v34, 16, v37
	v_cmp_ne_u16_e32 vcc, 0, v49
	v_mov_b32_e32 v35, 0
	v_mov_b32_e32 v38, 0
	s_and_saveexec_b64 s[2:3], vcc
	s_cbranch_execz .LBB715_106
; %bb.101:
	s_movk_i32 s8, 0x80
	v_cmp_ne_u16_e32 vcc, s8, v49
	v_mov_b32_e32 v38, 0xffff8000
	s_and_saveexec_b64 s[8:9], vcc
	s_cbranch_execz .LBB715_105
; %bb.102:
	v_bfe_u32 v49, v37, 16, 7
	s_movk_i32 s11, 0x7f
	v_cmp_ne_u32_e32 vcc, s11, v49
	v_mov_b32_e32 v38, 0x7f80
	s_and_saveexec_b64 s[20:21], vcc
	s_cbranch_execz .LBB715_104
; %bb.103:
	v_and_b32_e32 v38, 7, v34
	v_ffbh_u32_e32 v50, v38
	v_min_u32_e32 v53, 32, v50
	v_subrev_u32_e32 v50, 28, v53
	v_lshlrev_b64 v[50:51], v50, v[34:35]
	v_lshrrev_b32_e32 v52, 3, v49
	v_sub_u32_e32 v34, 29, v53
	v_and_b32_e32 v50, 7, v50
	v_cmp_gt_u32_e32 vcc, 8, v49
	v_mov_b32_e32 v49, 24
	v_cndmask_b32_e32 v34, v52, v34, vcc
	v_cndmask_b32_e32 v38, v38, v50, vcc
	v_lshlrev_b32_sdwa v49, v49, v37 dst_sel:DWORD dst_unused:UNUSED_PAD src0_sel:DWORD src1_sel:WORD_1
	v_bfrev_b32_e32 v50, 60
	v_lshlrev_b32_e32 v38, 20, v38
	v_and_b32_e32 v49, 0x80000000, v49
	v_lshl_add_u32 v34, v34, 23, v50
	v_or3_b32 v34, v49, v34, v38
	v_lshrrev_b32_e32 v38, 16, v34
.LBB715_104:
	s_or_b64 exec, exec, s[20:21]
.LBB715_105:
	s_or_b64 exec, exec, s[8:9]
.LBB715_106:
	s_or_b64 exec, exec, s[2:3]
	s_mov_b32 s2, -1
	s_mov_b32 s3, 0xffffff
	v_cmp_lt_u64_e32 vcc, s[2:3], v[36:37]
	s_and_saveexec_b64 s[2:3], vcc
	s_cbranch_execz .LBB715_112
; %bb.107:
	v_lshrrev_b32_e32 v34, 24, v37
	s_movk_i32 s8, 0x80
	v_cmp_ne_u32_e32 vcc, s8, v34
	v_mov_b32_e32 v35, 0xffff8000
	s_and_saveexec_b64 s[8:9], vcc
	s_cbranch_execz .LBB715_111
; %bb.108:
	v_bfe_u32 v36, v37, 24, 7
	s_movk_i32 s11, 0x7f
	v_cmp_ne_u32_e32 vcc, s11, v36
	v_mov_b32_e32 v35, 0x7f80
	s_and_saveexec_b64 s[20:21], vcc
	s_cbranch_execz .LBB715_110
; %bb.109:
	v_and_b32_e32 v35, 7, v34
	v_ffbh_u32_e32 v49, v35
	v_min_u32_e32 v49, 32, v49
	v_subrev_u32_e32 v50, 28, v49
	v_lshlrev_b64 v[50:51], v50, v[34:35]
	v_lshrrev_b32_e32 v37, 3, v36
	v_sub_u32_e32 v49, 29, v49
	v_and_b32_e32 v50, 7, v50
	v_cmp_gt_u32_e32 vcc, 8, v36
	v_cndmask_b32_e32 v36, v37, v49, vcc
	v_cndmask_b32_e32 v35, v35, v50, vcc
	v_lshlrev_b32_e32 v34, 24, v34
	v_bfrev_b32_e32 v37, 60
	v_lshlrev_b32_e32 v35, 20, v35
	v_and_b32_e32 v34, 0x80000000, v34
	v_lshl_add_u32 v36, v36, 23, v37
	v_or3_b32 v34, v34, v36, v35
	v_lshrrev_b32_e32 v35, 16, v34
.LBB715_110:
	s_or_b64 exec, exec, s[20:21]
.LBB715_111:
	s_or_b64 exec, exec, s[8:9]
.LBB715_112:
	s_or_b64 exec, exec, s[2:3]
	s_mov_b32 s2, 0x5040100
	v_perm_b32 v37, v46, v41, s2
	v_perm_b32 v36, v40, v39, s2
	v_perm_b32 v35, v35, v38, s2
	v_perm_b32 v34, v47, v48, s2
	v_mfma_f32_4x4x4bf16_1k a[0:3], v[18:19], v[36:37], a[0:3] cbsz:4 abid:1
	v_mov_b32_e32 v37, 0
	v_mfma_f32_4x4x4bf16_1k a[0:3], v[20:21], v[34:35], a[0:3] cbsz:4 abid:1
	s_waitcnt vmcnt(6)
	v_cmp_ne_u16_sdwa s[8:9], v30, v37 src0_sel:BYTE_0 src1_sel:DWORD
	v_mov_b32_e32 v38, 0
	s_and_saveexec_b64 s[2:3], s[8:9]
	s_cbranch_execz .LBB715_118
; %bb.113:
	s_movk_i32 s8, 0x80
	v_cmp_ne_u16_sdwa s[20:21], v30, s8 src0_sel:BYTE_0 src1_sel:DWORD
	v_mov_b32_e32 v38, 0xffff8000
	s_and_saveexec_b64 s[8:9], s[20:21]
	s_cbranch_execz .LBB715_117
; %bb.114:
	s_movk_i32 s11, 0x7f
	v_and_b32_e32 v34, 0x7f, v30
	v_cmp_ne_u32_e32 vcc, s11, v34
	v_mov_b32_e32 v38, 0x7f80
	s_and_saveexec_b64 s[20:21], vcc
	s_cbranch_execz .LBB715_116
; %bb.115:
	v_and_b32_e32 v35, 7, v30
	v_ffbh_u32_e32 v35, v35
	v_min_u32_e32 v35, 32, v35
	v_subrev_u32_e32 v38, 28, v35
	v_cmp_gt_u32_e32 vcc, 8, v34
	v_lshrrev_b32_e32 v36, 3, v34
	v_sub_u32_e32 v35, 29, v35
	v_cndmask_b32_e32 v34, 0, v38, vcc
	v_cndmask_b32_e32 v36, v36, v35, vcc
	v_lshlrev_b64 v[34:35], v34, v[30:31]
	v_lshlrev_b32_e32 v34, 20, v34
	v_lshlrev_b32_e32 v35, 24, v30
	v_bfrev_b32_e32 v38, 60
	v_and_b32_e32 v34, 0x700000, v34
	v_and_b32_e32 v35, 0x80000000, v35
	v_lshl_add_u32 v36, v36, 23, v38
	v_or3_b32 v34, v35, v36, v34
	v_lshrrev_b32_e32 v38, 16, v34
.LBB715_116:
	s_or_b64 exec, exec, s[20:21]
.LBB715_117:
	s_or_b64 exec, exec, s[8:9]
.LBB715_118:
	s_or_b64 exec, exec, s[2:3]
	v_lshrrev_b16_e32 v34, 8, v30
	v_cmp_ne_u16_e32 vcc, 0, v34
	s_and_saveexec_b64 s[2:3], vcc
	s_cbranch_execz .LBB715_124
; %bb.119:
	s_movk_i32 s8, 0x80
	v_cmp_ne_u16_e32 vcc, s8, v34
	v_mov_b32_e32 v37, 0xffff8000
	s_and_saveexec_b64 s[8:9], vcc
	s_cbranch_execz .LBB715_123
; %bb.120:
	s_movk_i32 s11, 0x7f
	v_and_b32_e32 v35, 0x7f, v34
	v_cmp_ne_u32_e32 vcc, s11, v35
	v_mov_b32_e32 v37, 0x7f80
	s_and_saveexec_b64 s[20:21], vcc
	s_cbranch_execz .LBB715_122
; %bb.121:
	v_and_b32_e32 v39, 7, v34
	v_ffbh_u32_e32 v36, v39
	v_min_u32_e32 v41, 32, v36
	v_subrev_u32_e32 v36, 28, v41
	v_lshlrev_b64 v[36:37], v36, v[34:35]
	v_lshrrev_b32_e32 v40, 3, v35
	v_sub_u32_e32 v34, 29, v41
	v_and_b32_e32 v36, 7, v36
	v_cmp_gt_u32_e32 vcc, 8, v35
	v_cndmask_b32_e32 v34, v40, v34, vcc
	v_cndmask_b32_e32 v35, v39, v36, vcc
	v_lshlrev_b32_e32 v36, 16, v30
	v_bfrev_b32_e32 v37, 60
	v_lshlrev_b32_e32 v35, 20, v35
	v_and_b32_e32 v36, 0x80000000, v36
	v_lshl_add_u32 v34, v34, 23, v37
	v_or3_b32 v34, v36, v34, v35
	v_lshrrev_b32_e32 v37, 16, v34
.LBB715_122:
	s_or_b64 exec, exec, s[20:21]
.LBB715_123:
	s_or_b64 exec, exec, s[8:9]
.LBB715_124:
	s_or_b64 exec, exec, s[2:3]
	s_movk_i32 s2, 0xff
	v_and_b32_sdwa v36, v30, s2 dst_sel:DWORD dst_unused:UNUSED_PAD src0_sel:WORD_1 src1_sel:DWORD
	v_lshrrev_b32_e32 v34, 16, v30
	v_cmp_ne_u16_e32 vcc, 0, v36
	v_mov_b32_e32 v35, 0
	v_mov_b32_e32 v39, 0
	s_and_saveexec_b64 s[2:3], vcc
	s_cbranch_execz .LBB715_130
; %bb.125:
	s_movk_i32 s8, 0x80
	v_cmp_ne_u16_e32 vcc, s8, v36
	v_mov_b32_e32 v39, 0xffff8000
	s_and_saveexec_b64 s[8:9], vcc
	s_cbranch_execz .LBB715_129
; %bb.126:
	v_bfe_u32 v36, v30, 16, 7
	s_movk_i32 s11, 0x7f
	v_cmp_ne_u32_e32 vcc, s11, v36
	v_mov_b32_e32 v39, 0x7f80
	s_and_saveexec_b64 s[20:21], vcc
	s_cbranch_execz .LBB715_128
; %bb.127:
	v_and_b32_e32 v39, 7, v34
	v_ffbh_u32_e32 v40, v39
	v_min_u32_e32 v47, 32, v40
	v_subrev_u32_e32 v40, 28, v47
	v_lshlrev_b64 v[40:41], v40, v[34:35]
	v_and_b32_e32 v40, 7, v40
	v_cmp_gt_u32_e32 vcc, 8, v36
	v_lshrrev_b32_e32 v46, 3, v36
	v_sub_u32_e32 v34, 29, v47
	v_cndmask_b32_e32 v36, v39, v40, vcc
	v_mov_b32_e32 v39, 24
	v_cndmask_b32_e32 v34, v46, v34, vcc
	v_lshlrev_b32_sdwa v39, v39, v30 dst_sel:DWORD dst_unused:UNUSED_PAD src0_sel:DWORD src1_sel:WORD_1
	v_bfrev_b32_e32 v40, 60
	v_lshlrev_b32_e32 v36, 20, v36
	v_and_b32_e32 v39, 0x80000000, v39
	v_lshl_add_u32 v34, v34, 23, v40
	v_or3_b32 v34, v39, v34, v36
	v_lshrrev_b32_e32 v39, 16, v34
.LBB715_128:
	s_or_b64 exec, exec, s[20:21]
.LBB715_129:
	s_or_b64 exec, exec, s[8:9]
.LBB715_130:
	s_or_b64 exec, exec, s[2:3]
	s_mov_b32 s2, 0xffffff
	v_cmp_lt_u32_e32 vcc, s2, v30
	v_mov_b32_e32 v40, 0
	s_and_saveexec_b64 s[2:3], vcc
	s_cbranch_execz .LBB715_136
; %bb.131:
	v_lshrrev_b32_e32 v34, 24, v30
	s_movk_i32 s8, 0x80
	v_cmp_ne_u32_e32 vcc, s8, v34
	v_mov_b32_e32 v40, 0xffff8000
	s_and_saveexec_b64 s[8:9], vcc
	s_cbranch_execz .LBB715_135
; %bb.132:
	v_bfe_u32 v36, v30, 24, 7
	s_movk_i32 s11, 0x7f
	v_cmp_ne_u32_e32 vcc, s11, v36
	v_mov_b32_e32 v40, 0x7f80
	s_and_saveexec_b64 s[20:21], vcc
	s_cbranch_execz .LBB715_134
; %bb.133:
	v_and_b32_e32 v46, 7, v34
	v_ffbh_u32_e32 v40, v46
	v_min_u32_e32 v48, 32, v40
	v_subrev_u32_e32 v40, 28, v48
	v_lshlrev_b64 v[40:41], v40, v[34:35]
	v_lshrrev_b32_e32 v47, 3, v36
	v_sub_u32_e32 v41, 29, v48
	v_and_b32_e32 v40, 7, v40
	v_cmp_gt_u32_e32 vcc, 8, v36
	v_cndmask_b32_e32 v36, v47, v41, vcc
	v_cndmask_b32_e32 v40, v46, v40, vcc
	v_lshlrev_b32_e32 v34, 24, v34
	v_bfrev_b32_e32 v41, 60
	v_lshlrev_b32_e32 v40, 20, v40
	v_and_b32_e32 v34, 0x80000000, v34
	v_lshl_add_u32 v36, v36, 23, v41
	v_or3_b32 v34, v34, v36, v40
	v_lshrrev_b32_e32 v40, 16, v34
.LBB715_134:
	s_or_b64 exec, exec, s[20:21]
.LBB715_135:
	s_or_b64 exec, exec, s[8:9]
.LBB715_136:
	s_or_b64 exec, exec, s[2:3]
	v_mov_b32_e32 v41, 0
	v_mov_b32_e32 v34, v31
	v_cmp_ne_u16_sdwa s[8:9], v31, v41 src0_sel:BYTE_0 src1_sel:DWORD
	v_mov_b32_e32 v46, 0
	s_and_saveexec_b64 s[2:3], s[8:9]
	s_cbranch_execz .LBB715_142
; %bb.137:
	s_movk_i32 s8, 0x80
	v_cmp_ne_u16_sdwa s[20:21], v31, s8 src0_sel:BYTE_0 src1_sel:DWORD
	v_mov_b32_e32 v46, 0xffff8000
	s_and_saveexec_b64 s[8:9], s[20:21]
	s_cbranch_execz .LBB715_141
; %bb.138:
	s_movk_i32 s11, 0x7f
	v_and_b32_e32 v36, 0x7f, v31
	v_cmp_ne_u32_e32 vcc, s11, v36
	v_mov_b32_e32 v46, 0x7f80
	s_and_saveexec_b64 s[20:21], vcc
	s_cbranch_execz .LBB715_140
; %bb.139:
	v_and_b32_e32 v46, 7, v31
	v_ffbh_u32_e32 v46, v46
	v_min_u32_e32 v46, 32, v46
	v_lshrrev_b32_e32 v47, 3, v36
	v_subrev_u32_e32 v48, 28, v46
	v_sub_u32_e32 v46, 29, v46
	v_cmp_gt_u32_e32 vcc, 8, v36
	v_cndmask_b32_e32 v36, v47, v46, vcc
	v_cndmask_b32_e32 v46, 0, v48, vcc
	v_lshlrev_b64 v[46:47], v46, v[34:35]
	v_lshlrev_b32_e32 v35, 20, v46
	v_lshlrev_b32_e32 v46, 24, v34
	v_bfrev_b32_e32 v47, 60
	v_and_b32_e32 v35, 0x700000, v35
	v_and_b32_e32 v46, 0x80000000, v46
	v_lshl_add_u32 v36, v36, 23, v47
	v_or3_b32 v35, v46, v36, v35
	v_lshrrev_b32_e32 v46, 16, v35
.LBB715_140:
	s_or_b64 exec, exec, s[20:21]
.LBB715_141:
	s_or_b64 exec, exec, s[8:9]
.LBB715_142:
	s_or_b64 exec, exec, s[2:3]
	v_lshrrev_b16_e32 v36, 8, v34
	v_cmp_ne_u16_e32 vcc, 0, v36
	s_and_saveexec_b64 s[2:3], vcc
	s_cbranch_execz .LBB715_148
; %bb.143:
	s_movk_i32 s8, 0x80
	v_cmp_ne_u16_e32 vcc, s8, v36
	v_mov_b32_e32 v41, 0xffff8000
	s_and_saveexec_b64 s[8:9], vcc
	s_cbranch_execz .LBB715_147
; %bb.144:
	s_movk_i32 s11, 0x7f
	v_and_b32_e32 v35, 0x7f, v36
	v_cmp_ne_u32_e32 vcc, s11, v35
	v_mov_b32_e32 v41, 0x7f80
	s_and_saveexec_b64 s[20:21], vcc
	s_cbranch_execz .LBB715_146
; %bb.145:
	v_and_b32_e32 v41, 7, v36
	v_ffbh_u32_e32 v48, v41
	v_min_u32_e32 v50, 32, v48
	v_subrev_u32_e32 v48, 28, v50
	v_lshlrev_b64 v[48:49], v48, v[36:37]
	v_lshrrev_b32_e32 v47, 3, v35
	v_sub_u32_e32 v36, 29, v50
	v_and_b32_e32 v48, 7, v48
	v_cmp_gt_u32_e32 vcc, 8, v35
	v_cndmask_b32_e32 v35, v47, v36, vcc
	v_cndmask_b32_e32 v36, v41, v48, vcc
	v_lshlrev_b32_e32 v34, 16, v34
	v_bfrev_b32_e32 v41, 60
	v_lshlrev_b32_e32 v36, 20, v36
	v_and_b32_e32 v34, 0x80000000, v34
	v_lshl_add_u32 v35, v35, 23, v41
	v_or3_b32 v34, v34, v35, v36
	v_lshrrev_b32_e32 v41, 16, v34
.LBB715_146:
	s_or_b64 exec, exec, s[20:21]
.LBB715_147:
	s_or_b64 exec, exec, s[8:9]
.LBB715_148:
	s_or_b64 exec, exec, s[2:3]
	s_movk_i32 s2, 0xff
	v_and_b32_sdwa v47, v31, s2 dst_sel:DWORD dst_unused:UNUSED_PAD src0_sel:WORD_1 src1_sel:DWORD
	v_lshrrev_b32_e32 v34, 16, v31
	v_cmp_ne_u16_e32 vcc, 0, v47
	v_mov_b32_e32 v35, 0
	v_mov_b32_e32 v36, 0
	s_and_saveexec_b64 s[2:3], vcc
	s_cbranch_execz .LBB715_154
; %bb.149:
	s_movk_i32 s8, 0x80
	v_cmp_ne_u16_e32 vcc, s8, v47
	v_mov_b32_e32 v36, 0xffff8000
	s_and_saveexec_b64 s[8:9], vcc
	s_cbranch_execz .LBB715_153
; %bb.150:
	v_bfe_u32 v47, v31, 16, 7
	s_movk_i32 s11, 0x7f
	v_cmp_ne_u32_e32 vcc, s11, v47
	v_mov_b32_e32 v36, 0x7f80
	s_and_saveexec_b64 s[20:21], vcc
	s_cbranch_execz .LBB715_152
; %bb.151:
	v_and_b32_e32 v36, 7, v34
	v_ffbh_u32_e32 v48, v36
	v_min_u32_e32 v51, 32, v48
	v_subrev_u32_e32 v48, 28, v51
	v_lshlrev_b64 v[48:49], v48, v[34:35]
	v_lshrrev_b32_e32 v50, 3, v47
	v_sub_u32_e32 v34, 29, v51
	v_and_b32_e32 v48, 7, v48
	v_cmp_gt_u32_e32 vcc, 8, v47
	v_mov_b32_e32 v47, 24
	v_cndmask_b32_e32 v34, v50, v34, vcc
	v_cndmask_b32_e32 v36, v36, v48, vcc
	v_lshlrev_b32_sdwa v47, v47, v31 dst_sel:DWORD dst_unused:UNUSED_PAD src0_sel:DWORD src1_sel:WORD_1
	v_bfrev_b32_e32 v48, 60
	v_lshlrev_b32_e32 v36, 20, v36
	v_and_b32_e32 v47, 0x80000000, v47
	v_lshl_add_u32 v34, v34, 23, v48
	v_or3_b32 v34, v47, v34, v36
	v_lshrrev_b32_e32 v36, 16, v34
.LBB715_152:
	s_or_b64 exec, exec, s[20:21]
.LBB715_153:
	s_or_b64 exec, exec, s[8:9]
.LBB715_154:
	s_or_b64 exec, exec, s[2:3]
	s_mov_b32 s2, -1
	s_mov_b32 s3, 0xffffff
	v_cmp_lt_u64_e32 vcc, s[2:3], v[30:31]
	s_and_saveexec_b64 s[2:3], vcc
	s_cbranch_execz .LBB715_160
; %bb.155:
	v_lshrrev_b32_e32 v30, 24, v31
	s_movk_i32 s8, 0x80
	v_cmp_ne_u32_e32 vcc, s8, v30
	v_mov_b32_e32 v35, 0xffff8000
	s_and_saveexec_b64 s[8:9], vcc
	s_cbranch_execz .LBB715_159
; %bb.156:
	v_bfe_u32 v31, v31, 24, 7
	s_movk_i32 s11, 0x7f
	v_cmp_ne_u32_e32 vcc, s11, v31
	v_mov_b32_e32 v35, 0x7f80
	s_and_saveexec_b64 s[20:21], vcc
	s_cbranch_execz .LBB715_158
; %bb.157:
	v_and_b32_e32 v47, 7, v30
	v_ffbh_u32_e32 v34, v47
	v_min_u32_e32 v49, 32, v34
	v_subrev_u32_e32 v34, 28, v49
	v_lshlrev_b64 v[34:35], v34, v[30:31]
	v_lshrrev_b32_e32 v48, 3, v31
	v_sub_u32_e32 v35, 29, v49
	v_and_b32_e32 v34, 7, v34
	v_cmp_gt_u32_e32 vcc, 8, v31
	v_cndmask_b32_e32 v31, v48, v35, vcc
	v_cndmask_b32_e32 v34, v47, v34, vcc
	v_lshlrev_b32_e32 v30, 24, v30
	v_bfrev_b32_e32 v35, 60
	v_lshlrev_b32_e32 v34, 20, v34
	v_and_b32_e32 v30, 0x80000000, v30
	v_lshl_add_u32 v31, v31, 23, v35
	v_or3_b32 v30, v30, v31, v34
	v_lshrrev_b32_e32 v35, 16, v30
.LBB715_158:
	s_or_b64 exec, exec, s[20:21]
.LBB715_159:
	s_or_b64 exec, exec, s[8:9]
.LBB715_160:
	s_or_b64 exec, exec, s[2:3]
	s_mov_b32 s2, 0x5040100
	v_perm_b32 v31, v40, v39, s2
	v_perm_b32 v30, v37, v38, s2
	;; [unrolled: 1-line block ×4, first 2 shown]
	v_mfma_f32_4x4x4bf16_1k a[0:3], v[18:19], v[30:31], a[0:3] cbsz:4 abid:2
	v_mov_b32_e32 v36, 0
	v_mfma_f32_4x4x4bf16_1k a[0:3], v[20:21], v[34:35], a[0:3] cbsz:4 abid:2
	v_mov_b32_e32 v35, 0
	v_cmp_ne_u16_sdwa s[8:9], v32, v35 src0_sel:BYTE_0 src1_sel:DWORD
	s_and_saveexec_b64 s[2:3], s[8:9]
	s_cbranch_execz .LBB715_166
; %bb.161:
	s_movk_i32 s8, 0x80
	v_cmp_ne_u16_sdwa s[20:21], v32, s8 src0_sel:BYTE_0 src1_sel:DWORD
	v_mov_b32_e32 v36, 0xffff8000
	s_and_saveexec_b64 s[8:9], s[20:21]
	s_cbranch_execz .LBB715_165
; %bb.162:
	s_movk_i32 s11, 0x7f
	v_and_b32_e32 v30, 0x7f, v32
	v_cmp_ne_u32_e32 vcc, s11, v30
	v_mov_b32_e32 v36, 0x7f80
	s_and_saveexec_b64 s[20:21], vcc
	s_cbranch_execz .LBB715_164
; %bb.163:
	v_and_b32_e32 v31, 7, v32
	v_ffbh_u32_e32 v31, v31
	v_min_u32_e32 v31, 32, v31
	v_subrev_u32_e32 v36, 28, v31
	v_cmp_gt_u32_e32 vcc, 8, v30
	v_lshrrev_b32_e32 v34, 3, v30
	v_sub_u32_e32 v31, 29, v31
	v_cndmask_b32_e32 v30, 0, v36, vcc
	v_cndmask_b32_e32 v34, v34, v31, vcc
	v_lshlrev_b64 v[30:31], v30, v[32:33]
	v_lshlrev_b32_e32 v30, 20, v30
	v_lshlrev_b32_e32 v31, 24, v32
	v_bfrev_b32_e32 v36, 60
	v_and_b32_e32 v30, 0x700000, v30
	v_and_b32_e32 v31, 0x80000000, v31
	v_lshl_add_u32 v34, v34, 23, v36
	v_or3_b32 v30, v31, v34, v30
	v_lshrrev_b32_e32 v36, 16, v30
.LBB715_164:
	s_or_b64 exec, exec, s[20:21]
.LBB715_165:
	s_or_b64 exec, exec, s[8:9]
.LBB715_166:
	s_or_b64 exec, exec, s[2:3]
	v_lshrrev_b16_e32 v30, 8, v32
	v_cmp_ne_u16_e32 vcc, 0, v30
	s_and_saveexec_b64 s[2:3], vcc
	s_cbranch_execz .LBB715_172
; %bb.167:
	s_movk_i32 s8, 0x80
	v_cmp_ne_u16_e32 vcc, s8, v30
	v_mov_b32_e32 v35, 0xffff8000
	s_and_saveexec_b64 s[8:9], vcc
	s_cbranch_execz .LBB715_171
; %bb.168:
	s_movk_i32 s11, 0x7f
	v_and_b32_e32 v31, 0x7f, v30
	v_cmp_ne_u32_e32 vcc, s11, v31
	v_mov_b32_e32 v35, 0x7f80
	s_and_saveexec_b64 s[20:21], vcc
	s_cbranch_execz .LBB715_170
; %bb.169:
	v_and_b32_e32 v37, 7, v30
	v_ffbh_u32_e32 v34, v37
	v_min_u32_e32 v39, 32, v34
	v_subrev_u32_e32 v34, 28, v39
	v_lshlrev_b64 v[34:35], v34, v[30:31]
	v_lshrrev_b32_e32 v38, 3, v31
	v_sub_u32_e32 v30, 29, v39
	v_and_b32_e32 v34, 7, v34
	v_cmp_gt_u32_e32 vcc, 8, v31
	v_cndmask_b32_e32 v30, v38, v30, vcc
	v_cndmask_b32_e32 v31, v37, v34, vcc
	v_lshlrev_b32_e32 v34, 16, v32
	v_bfrev_b32_e32 v35, 60
	v_lshlrev_b32_e32 v31, 20, v31
	v_and_b32_e32 v34, 0x80000000, v34
	v_lshl_add_u32 v30, v30, 23, v35
	v_or3_b32 v30, v34, v30, v31
	v_lshrrev_b32_e32 v35, 16, v30
.LBB715_170:
	s_or_b64 exec, exec, s[20:21]
.LBB715_171:
	s_or_b64 exec, exec, s[8:9]
.LBB715_172:
	s_or_b64 exec, exec, s[2:3]
	s_movk_i32 s2, 0xff
	v_and_b32_sdwa v34, v32, s2 dst_sel:DWORD dst_unused:UNUSED_PAD src0_sel:WORD_1 src1_sel:DWORD
	v_lshrrev_b32_e32 v30, 16, v32
	v_cmp_ne_u16_e32 vcc, 0, v34
	v_mov_b32_e32 v31, 0
	v_mov_b32_e32 v37, 0
	s_and_saveexec_b64 s[2:3], vcc
	s_cbranch_execz .LBB715_178
; %bb.173:
	s_movk_i32 s8, 0x80
	v_cmp_ne_u16_e32 vcc, s8, v34
	v_mov_b32_e32 v37, 0xffff8000
	s_and_saveexec_b64 s[8:9], vcc
	s_cbranch_execz .LBB715_177
; %bb.174:
	v_bfe_u32 v34, v32, 16, 7
	s_movk_i32 s11, 0x7f
	v_cmp_ne_u32_e32 vcc, s11, v34
	v_mov_b32_e32 v37, 0x7f80
	s_and_saveexec_b64 s[20:21], vcc
	s_cbranch_execz .LBB715_176
; %bb.175:
	v_and_b32_e32 v37, 7, v30
	v_ffbh_u32_e32 v38, v37
	v_min_u32_e32 v41, 32, v38
	v_subrev_u32_e32 v38, 28, v41
	v_lshlrev_b64 v[38:39], v38, v[30:31]
	v_and_b32_e32 v38, 7, v38
	v_cmp_gt_u32_e32 vcc, 8, v34
	v_lshrrev_b32_e32 v40, 3, v34
	v_sub_u32_e32 v30, 29, v41
	v_cndmask_b32_e32 v34, v37, v38, vcc
	v_mov_b32_e32 v37, 24
	v_cndmask_b32_e32 v30, v40, v30, vcc
	v_lshlrev_b32_sdwa v37, v37, v32 dst_sel:DWORD dst_unused:UNUSED_PAD src0_sel:DWORD src1_sel:WORD_1
	v_bfrev_b32_e32 v38, 60
	v_lshlrev_b32_e32 v34, 20, v34
	v_and_b32_e32 v37, 0x80000000, v37
	v_lshl_add_u32 v30, v30, 23, v38
	v_or3_b32 v30, v37, v30, v34
	v_lshrrev_b32_e32 v37, 16, v30
.LBB715_176:
	s_or_b64 exec, exec, s[20:21]
.LBB715_177:
	s_or_b64 exec, exec, s[8:9]
.LBB715_178:
	s_or_b64 exec, exec, s[2:3]
	s_mov_b32 s2, 0xffffff
	v_cmp_lt_u32_e32 vcc, s2, v32
	v_mov_b32_e32 v38, 0
	s_and_saveexec_b64 s[2:3], vcc
	s_cbranch_execz .LBB715_184
; %bb.179:
	v_lshrrev_b32_e32 v30, 24, v32
	s_movk_i32 s8, 0x80
	v_cmp_ne_u32_e32 vcc, s8, v30
	v_mov_b32_e32 v38, 0xffff8000
	s_and_saveexec_b64 s[8:9], vcc
	s_cbranch_execz .LBB715_183
; %bb.180:
	v_bfe_u32 v34, v32, 24, 7
	s_movk_i32 s11, 0x7f
	v_cmp_ne_u32_e32 vcc, s11, v34
	v_mov_b32_e32 v38, 0x7f80
	s_and_saveexec_b64 s[20:21], vcc
	s_cbranch_execz .LBB715_182
; %bb.181:
	v_and_b32_e32 v40, 7, v30
	v_ffbh_u32_e32 v38, v40
	v_min_u32_e32 v46, 32, v38
	v_subrev_u32_e32 v38, 28, v46
	v_lshlrev_b64 v[38:39], v38, v[30:31]
	v_lshrrev_b32_e32 v41, 3, v34
	v_sub_u32_e32 v39, 29, v46
	v_and_b32_e32 v38, 7, v38
	v_cmp_gt_u32_e32 vcc, 8, v34
	v_cndmask_b32_e32 v34, v41, v39, vcc
	v_cndmask_b32_e32 v38, v40, v38, vcc
	v_lshlrev_b32_e32 v30, 24, v30
	v_bfrev_b32_e32 v39, 60
	v_lshlrev_b32_e32 v38, 20, v38
	v_and_b32_e32 v30, 0x80000000, v30
	v_lshl_add_u32 v34, v34, 23, v39
	v_or3_b32 v30, v30, v34, v38
	v_lshrrev_b32_e32 v38, 16, v30
.LBB715_182:
	s_or_b64 exec, exec, s[20:21]
.LBB715_183:
	s_or_b64 exec, exec, s[8:9]
.LBB715_184:
	s_or_b64 exec, exec, s[2:3]
	v_mov_b32_e32 v39, 0
	v_mov_b32_e32 v30, v33
	v_cmp_ne_u16_sdwa s[8:9], v33, v39 src0_sel:BYTE_0 src1_sel:DWORD
	v_mov_b32_e32 v40, 0
	s_and_saveexec_b64 s[2:3], s[8:9]
	s_cbranch_execz .LBB715_190
; %bb.185:
	s_movk_i32 s8, 0x80
	v_cmp_ne_u16_sdwa s[20:21], v33, s8 src0_sel:BYTE_0 src1_sel:DWORD
	v_mov_b32_e32 v40, 0xffff8000
	s_and_saveexec_b64 s[8:9], s[20:21]
	s_cbranch_execz .LBB715_189
; %bb.186:
	s_movk_i32 s11, 0x7f
	v_and_b32_e32 v34, 0x7f, v33
	v_cmp_ne_u32_e32 vcc, s11, v34
	v_mov_b32_e32 v40, 0x7f80
	s_and_saveexec_b64 s[20:21], vcc
	s_cbranch_execz .LBB715_188
; %bb.187:
	v_and_b32_e32 v40, 7, v33
	v_ffbh_u32_e32 v40, v40
	v_min_u32_e32 v40, 32, v40
	v_lshrrev_b32_e32 v41, 3, v34
	v_subrev_u32_e32 v46, 28, v40
	v_sub_u32_e32 v40, 29, v40
	v_cmp_gt_u32_e32 vcc, 8, v34
	v_cndmask_b32_e32 v34, v41, v40, vcc
	v_cndmask_b32_e32 v40, 0, v46, vcc
	v_lshlrev_b64 v[40:41], v40, v[30:31]
	v_lshlrev_b32_e32 v31, 20, v40
	v_lshlrev_b32_e32 v40, 24, v30
	v_bfrev_b32_e32 v41, 60
	v_and_b32_e32 v31, 0x700000, v31
	v_and_b32_e32 v40, 0x80000000, v40
	v_lshl_add_u32 v34, v34, 23, v41
	v_or3_b32 v31, v40, v34, v31
	v_lshrrev_b32_e32 v40, 16, v31
.LBB715_188:
	s_or_b64 exec, exec, s[20:21]
.LBB715_189:
	s_or_b64 exec, exec, s[8:9]
.LBB715_190:
	s_or_b64 exec, exec, s[2:3]
	v_lshrrev_b16_e32 v34, 8, v30
	v_cmp_ne_u16_e32 vcc, 0, v34
	s_and_saveexec_b64 s[2:3], vcc
	s_cbranch_execz .LBB715_196
; %bb.191:
	s_movk_i32 s8, 0x80
	v_cmp_ne_u16_e32 vcc, s8, v34
	v_mov_b32_e32 v39, 0xffff8000
	s_and_saveexec_b64 s[8:9], vcc
	s_cbranch_execz .LBB715_195
; %bb.192:
	s_movk_i32 s11, 0x7f
	v_and_b32_e32 v31, 0x7f, v34
	v_cmp_ne_u32_e32 vcc, s11, v31
	v_mov_b32_e32 v39, 0x7f80
	s_and_saveexec_b64 s[20:21], vcc
	s_cbranch_execz .LBB715_194
; %bb.193:
	v_and_b32_e32 v39, 7, v34
	v_ffbh_u32_e32 v46, v39
	v_min_u32_e32 v48, 32, v46
	v_subrev_u32_e32 v46, 28, v48
	v_lshlrev_b64 v[46:47], v46, v[34:35]
	v_lshrrev_b32_e32 v41, 3, v31
	v_sub_u32_e32 v34, 29, v48
	v_and_b32_e32 v46, 7, v46
	v_cmp_gt_u32_e32 vcc, 8, v31
	v_cndmask_b32_e32 v31, v41, v34, vcc
	v_cndmask_b32_e32 v34, v39, v46, vcc
	v_lshlrev_b32_e32 v30, 16, v30
	v_bfrev_b32_e32 v39, 60
	v_lshlrev_b32_e32 v34, 20, v34
	v_and_b32_e32 v30, 0x80000000, v30
	v_lshl_add_u32 v31, v31, 23, v39
	v_or3_b32 v30, v30, v31, v34
	v_lshrrev_b32_e32 v39, 16, v30
.LBB715_194:
	s_or_b64 exec, exec, s[20:21]
.LBB715_195:
	s_or_b64 exec, exec, s[8:9]
.LBB715_196:
	s_or_b64 exec, exec, s[2:3]
	s_movk_i32 s2, 0xff
	v_and_b32_sdwa v41, v33, s2 dst_sel:DWORD dst_unused:UNUSED_PAD src0_sel:WORD_1 src1_sel:DWORD
	v_lshrrev_b32_e32 v30, 16, v33
	v_cmp_ne_u16_e32 vcc, 0, v41
	v_mov_b32_e32 v31, 0
	v_mov_b32_e32 v34, 0
	s_and_saveexec_b64 s[2:3], vcc
	s_cbranch_execz .LBB715_202
; %bb.197:
	s_movk_i32 s8, 0x80
	v_cmp_ne_u16_e32 vcc, s8, v41
	v_mov_b32_e32 v34, 0xffff8000
	s_and_saveexec_b64 s[8:9], vcc
	s_cbranch_execz .LBB715_201
; %bb.198:
	v_bfe_u32 v41, v33, 16, 7
	s_movk_i32 s11, 0x7f
	v_cmp_ne_u32_e32 vcc, s11, v41
	v_mov_b32_e32 v34, 0x7f80
	s_and_saveexec_b64 s[20:21], vcc
	s_cbranch_execz .LBB715_200
; %bb.199:
	v_and_b32_e32 v34, 7, v30
	v_ffbh_u32_e32 v46, v34
	v_min_u32_e32 v49, 32, v46
	v_subrev_u32_e32 v46, 28, v49
	v_lshlrev_b64 v[46:47], v46, v[30:31]
	v_lshrrev_b32_e32 v48, 3, v41
	v_sub_u32_e32 v30, 29, v49
	v_and_b32_e32 v46, 7, v46
	v_cmp_gt_u32_e32 vcc, 8, v41
	v_mov_b32_e32 v41, 24
	v_cndmask_b32_e32 v30, v48, v30, vcc
	v_cndmask_b32_e32 v34, v34, v46, vcc
	v_lshlrev_b32_sdwa v41, v41, v33 dst_sel:DWORD dst_unused:UNUSED_PAD src0_sel:DWORD src1_sel:WORD_1
	v_bfrev_b32_e32 v46, 60
	v_lshlrev_b32_e32 v34, 20, v34
	v_and_b32_e32 v41, 0x80000000, v41
	v_lshl_add_u32 v30, v30, 23, v46
	v_or3_b32 v30, v41, v30, v34
	v_lshrrev_b32_e32 v34, 16, v30
.LBB715_200:
	s_or_b64 exec, exec, s[20:21]
.LBB715_201:
	s_or_b64 exec, exec, s[8:9]
.LBB715_202:
	s_or_b64 exec, exec, s[2:3]
	s_mov_b32 s2, -1
	s_mov_b32 s3, 0xffffff
	v_cmp_lt_u64_e32 vcc, s[2:3], v[32:33]
	s_and_saveexec_b64 s[2:3], vcc
	s_cbranch_execz .LBB715_208
; %bb.203:
	v_lshrrev_b32_e32 v30, 24, v33
	s_movk_i32 s8, 0x80
	v_cmp_ne_u32_e32 vcc, s8, v30
	v_mov_b32_e32 v31, 0xffff8000
	s_and_saveexec_b64 s[8:9], vcc
	s_cbranch_execz .LBB715_207
; %bb.204:
	v_bfe_u32 v32, v33, 24, 7
	s_movk_i32 s11, 0x7f
	v_cmp_ne_u32_e32 vcc, s11, v32
	v_mov_b32_e32 v31, 0x7f80
	s_and_saveexec_b64 s[20:21], vcc
	s_cbranch_execz .LBB715_206
; %bb.205:
	v_and_b32_e32 v31, 7, v30
	v_ffbh_u32_e32 v41, v31
	v_min_u32_e32 v41, 32, v41
	v_subrev_u32_e32 v46, 28, v41
	v_lshlrev_b64 v[46:47], v46, v[30:31]
	v_lshrrev_b32_e32 v33, 3, v32
	v_sub_u32_e32 v41, 29, v41
	v_and_b32_e32 v46, 7, v46
	v_cmp_gt_u32_e32 vcc, 8, v32
	v_cndmask_b32_e32 v32, v33, v41, vcc
	v_cndmask_b32_e32 v31, v31, v46, vcc
	v_lshlrev_b32_e32 v30, 24, v30
	v_bfrev_b32_e32 v33, 60
	v_lshlrev_b32_e32 v31, 20, v31
	v_and_b32_e32 v30, 0x80000000, v30
	v_lshl_add_u32 v32, v32, 23, v33
	v_or3_b32 v30, v30, v32, v31
	v_lshrrev_b32_e32 v31, 16, v30
.LBB715_206:
	s_or_b64 exec, exec, s[20:21]
.LBB715_207:
	s_or_b64 exec, exec, s[8:9]
.LBB715_208:
	s_or_b64 exec, exec, s[2:3]
	s_mov_b32 s2, 0x5040100
	v_perm_b32 v33, v38, v37, s2
	v_perm_b32 v32, v35, v36, s2
	v_perm_b32 v31, v31, v34, s2
	v_perm_b32 v30, v39, v40, s2
	v_mfma_f32_4x4x4bf16_1k a[0:3], v[18:19], v[32:33], a[0:3] cbsz:4 abid:3
	v_mov_b32_e32 v33, 0
	v_mfma_f32_4x4x4bf16_1k a[0:3], v[20:21], v[30:31], a[0:3] cbsz:4 abid:3
	s_waitcnt vmcnt(5)
	v_cmp_ne_u16_sdwa s[8:9], v26, v33 src0_sel:BYTE_0 src1_sel:DWORD
	v_mov_b32_e32 v34, 0
	s_and_saveexec_b64 s[2:3], s[8:9]
	s_cbranch_execz .LBB715_214
; %bb.209:
	s_movk_i32 s8, 0x80
	v_cmp_ne_u16_sdwa s[20:21], v26, s8 src0_sel:BYTE_0 src1_sel:DWORD
	v_mov_b32_e32 v34, 0xffff8000
	s_and_saveexec_b64 s[8:9], s[20:21]
	s_cbranch_execz .LBB715_213
; %bb.210:
	s_movk_i32 s11, 0x7f
	v_and_b32_e32 v30, 0x7f, v26
	v_cmp_ne_u32_e32 vcc, s11, v30
	v_mov_b32_e32 v34, 0x7f80
	s_and_saveexec_b64 s[20:21], vcc
	s_cbranch_execz .LBB715_212
; %bb.211:
	v_and_b32_e32 v31, 7, v26
	v_ffbh_u32_e32 v31, v31
	v_min_u32_e32 v31, 32, v31
	v_subrev_u32_e32 v34, 28, v31
	v_cmp_gt_u32_e32 vcc, 8, v30
	v_lshrrev_b32_e32 v32, 3, v30
	v_sub_u32_e32 v31, 29, v31
	v_cndmask_b32_e32 v30, 0, v34, vcc
	v_cndmask_b32_e32 v32, v32, v31, vcc
	v_lshlrev_b64 v[30:31], v30, v[26:27]
	v_lshlrev_b32_e32 v30, 20, v30
	v_lshlrev_b32_e32 v31, 24, v26
	v_bfrev_b32_e32 v34, 60
	v_and_b32_e32 v30, 0x700000, v30
	v_and_b32_e32 v31, 0x80000000, v31
	v_lshl_add_u32 v32, v32, 23, v34
	v_or3_b32 v30, v31, v32, v30
	v_lshrrev_b32_e32 v34, 16, v30
.LBB715_212:
	s_or_b64 exec, exec, s[20:21]
.LBB715_213:
	s_or_b64 exec, exec, s[8:9]
.LBB715_214:
	s_or_b64 exec, exec, s[2:3]
	v_lshrrev_b16_e32 v30, 8, v26
	v_cmp_ne_u16_e32 vcc, 0, v30
	s_and_saveexec_b64 s[2:3], vcc
	s_cbranch_execz .LBB715_220
; %bb.215:
	s_movk_i32 s8, 0x80
	v_cmp_ne_u16_e32 vcc, s8, v30
	v_mov_b32_e32 v33, 0xffff8000
	s_and_saveexec_b64 s[8:9], vcc
	s_cbranch_execz .LBB715_219
; %bb.216:
	s_movk_i32 s11, 0x7f
	v_and_b32_e32 v31, 0x7f, v30
	v_cmp_ne_u32_e32 vcc, s11, v31
	v_mov_b32_e32 v33, 0x7f80
	s_and_saveexec_b64 s[20:21], vcc
	s_cbranch_execz .LBB715_218
; %bb.217:
	v_and_b32_e32 v35, 7, v30
	v_ffbh_u32_e32 v32, v35
	v_min_u32_e32 v37, 32, v32
	v_subrev_u32_e32 v32, 28, v37
	v_lshlrev_b64 v[32:33], v32, v[30:31]
	v_lshrrev_b32_e32 v36, 3, v31
	v_sub_u32_e32 v30, 29, v37
	v_and_b32_e32 v32, 7, v32
	v_cmp_gt_u32_e32 vcc, 8, v31
	v_cndmask_b32_e32 v30, v36, v30, vcc
	v_cndmask_b32_e32 v31, v35, v32, vcc
	v_lshlrev_b32_e32 v32, 16, v26
	v_bfrev_b32_e32 v33, 60
	v_lshlrev_b32_e32 v31, 20, v31
	v_and_b32_e32 v32, 0x80000000, v32
	v_lshl_add_u32 v30, v30, 23, v33
	v_or3_b32 v30, v32, v30, v31
	v_lshrrev_b32_e32 v33, 16, v30
.LBB715_218:
	s_or_b64 exec, exec, s[20:21]
.LBB715_219:
	s_or_b64 exec, exec, s[8:9]
.LBB715_220:
	s_or_b64 exec, exec, s[2:3]
	s_movk_i32 s2, 0xff
	v_and_b32_sdwa v32, v26, s2 dst_sel:DWORD dst_unused:UNUSED_PAD src0_sel:WORD_1 src1_sel:DWORD
	v_lshrrev_b32_e32 v30, 16, v26
	v_cmp_ne_u16_e32 vcc, 0, v32
	v_mov_b32_e32 v31, 0
	v_mov_b32_e32 v35, 0
	s_and_saveexec_b64 s[2:3], vcc
	s_cbranch_execz .LBB715_226
; %bb.221:
	s_movk_i32 s8, 0x80
	v_cmp_ne_u16_e32 vcc, s8, v32
	v_mov_b32_e32 v35, 0xffff8000
	s_and_saveexec_b64 s[8:9], vcc
	s_cbranch_execz .LBB715_225
; %bb.222:
	v_bfe_u32 v32, v26, 16, 7
	s_movk_i32 s11, 0x7f
	v_cmp_ne_u32_e32 vcc, s11, v32
	v_mov_b32_e32 v35, 0x7f80
	s_and_saveexec_b64 s[20:21], vcc
	s_cbranch_execz .LBB715_224
; %bb.223:
	v_and_b32_e32 v35, 7, v30
	v_ffbh_u32_e32 v36, v35
	v_min_u32_e32 v39, 32, v36
	v_subrev_u32_e32 v36, 28, v39
	v_lshlrev_b64 v[36:37], v36, v[30:31]
	v_and_b32_e32 v36, 7, v36
	v_cmp_gt_u32_e32 vcc, 8, v32
	v_lshrrev_b32_e32 v38, 3, v32
	v_sub_u32_e32 v30, 29, v39
	v_cndmask_b32_e32 v32, v35, v36, vcc
	v_mov_b32_e32 v35, 24
	v_cndmask_b32_e32 v30, v38, v30, vcc
	v_lshlrev_b32_sdwa v35, v35, v26 dst_sel:DWORD dst_unused:UNUSED_PAD src0_sel:DWORD src1_sel:WORD_1
	v_bfrev_b32_e32 v36, 60
	v_lshlrev_b32_e32 v32, 20, v32
	v_and_b32_e32 v35, 0x80000000, v35
	v_lshl_add_u32 v30, v30, 23, v36
	v_or3_b32 v30, v35, v30, v32
	v_lshrrev_b32_e32 v35, 16, v30
.LBB715_224:
	s_or_b64 exec, exec, s[20:21]
.LBB715_225:
	s_or_b64 exec, exec, s[8:9]
.LBB715_226:
	s_or_b64 exec, exec, s[2:3]
	s_mov_b32 s2, 0xffffff
	v_cmp_lt_u32_e32 vcc, s2, v26
	v_mov_b32_e32 v36, 0
	s_and_saveexec_b64 s[2:3], vcc
	s_cbranch_execz .LBB715_232
; %bb.227:
	v_lshrrev_b32_e32 v30, 24, v26
	s_movk_i32 s8, 0x80
	v_cmp_ne_u32_e32 vcc, s8, v30
	v_mov_b32_e32 v36, 0xffff8000
	s_and_saveexec_b64 s[8:9], vcc
	s_cbranch_execz .LBB715_231
; %bb.228:
	v_bfe_u32 v32, v26, 24, 7
	s_movk_i32 s11, 0x7f
	v_cmp_ne_u32_e32 vcc, s11, v32
	v_mov_b32_e32 v36, 0x7f80
	s_and_saveexec_b64 s[20:21], vcc
	s_cbranch_execz .LBB715_230
; %bb.229:
	v_and_b32_e32 v38, 7, v30
	v_ffbh_u32_e32 v36, v38
	v_min_u32_e32 v40, 32, v36
	v_subrev_u32_e32 v36, 28, v40
	v_lshlrev_b64 v[36:37], v36, v[30:31]
	v_lshrrev_b32_e32 v39, 3, v32
	v_sub_u32_e32 v37, 29, v40
	v_and_b32_e32 v36, 7, v36
	v_cmp_gt_u32_e32 vcc, 8, v32
	v_cndmask_b32_e32 v32, v39, v37, vcc
	v_cndmask_b32_e32 v36, v38, v36, vcc
	v_lshlrev_b32_e32 v30, 24, v30
	v_bfrev_b32_e32 v37, 60
	v_lshlrev_b32_e32 v36, 20, v36
	v_and_b32_e32 v30, 0x80000000, v30
	v_lshl_add_u32 v32, v32, 23, v37
	v_or3_b32 v30, v30, v32, v36
	v_lshrrev_b32_e32 v36, 16, v30
.LBB715_230:
	s_or_b64 exec, exec, s[20:21]
.LBB715_231:
	s_or_b64 exec, exec, s[8:9]
.LBB715_232:
	s_or_b64 exec, exec, s[2:3]
	v_mov_b32_e32 v37, 0
	v_mov_b32_e32 v30, v27
	v_cmp_ne_u16_sdwa s[8:9], v27, v37 src0_sel:BYTE_0 src1_sel:DWORD
	v_mov_b32_e32 v38, 0
	s_and_saveexec_b64 s[2:3], s[8:9]
	s_cbranch_execz .LBB715_238
; %bb.233:
	s_movk_i32 s8, 0x80
	v_cmp_ne_u16_sdwa s[20:21], v27, s8 src0_sel:BYTE_0 src1_sel:DWORD
	v_mov_b32_e32 v38, 0xffff8000
	s_and_saveexec_b64 s[8:9], s[20:21]
	s_cbranch_execz .LBB715_237
; %bb.234:
	s_movk_i32 s11, 0x7f
	v_and_b32_e32 v32, 0x7f, v27
	v_cmp_ne_u32_e32 vcc, s11, v32
	v_mov_b32_e32 v38, 0x7f80
	s_and_saveexec_b64 s[20:21], vcc
	s_cbranch_execz .LBB715_236
; %bb.235:
	v_and_b32_e32 v38, 7, v27
	v_ffbh_u32_e32 v38, v38
	v_min_u32_e32 v38, 32, v38
	v_lshrrev_b32_e32 v39, 3, v32
	v_subrev_u32_e32 v40, 28, v38
	v_sub_u32_e32 v38, 29, v38
	v_cmp_gt_u32_e32 vcc, 8, v32
	v_cndmask_b32_e32 v32, v39, v38, vcc
	v_cndmask_b32_e32 v38, 0, v40, vcc
	v_lshlrev_b64 v[38:39], v38, v[30:31]
	v_lshlrev_b32_e32 v31, 20, v38
	v_lshlrev_b32_e32 v38, 24, v30
	v_bfrev_b32_e32 v39, 60
	v_and_b32_e32 v31, 0x700000, v31
	v_and_b32_e32 v38, 0x80000000, v38
	v_lshl_add_u32 v32, v32, 23, v39
	v_or3_b32 v31, v38, v32, v31
	v_lshrrev_b32_e32 v38, 16, v31
.LBB715_236:
	s_or_b64 exec, exec, s[20:21]
.LBB715_237:
	s_or_b64 exec, exec, s[8:9]
.LBB715_238:
	s_or_b64 exec, exec, s[2:3]
	v_lshrrev_b16_e32 v32, 8, v30
	v_cmp_ne_u16_e32 vcc, 0, v32
	s_and_saveexec_b64 s[2:3], vcc
	s_cbranch_execz .LBB715_244
; %bb.239:
	s_movk_i32 s8, 0x80
	v_cmp_ne_u16_e32 vcc, s8, v32
	v_mov_b32_e32 v37, 0xffff8000
	s_and_saveexec_b64 s[8:9], vcc
	s_cbranch_execz .LBB715_243
; %bb.240:
	s_movk_i32 s11, 0x7f
	v_and_b32_e32 v31, 0x7f, v32
	v_cmp_ne_u32_e32 vcc, s11, v31
	v_mov_b32_e32 v37, 0x7f80
	s_and_saveexec_b64 s[20:21], vcc
	s_cbranch_execz .LBB715_242
; %bb.241:
	v_and_b32_e32 v37, 7, v32
	v_ffbh_u32_e32 v40, v37
	v_min_u32_e32 v46, 32, v40
	v_subrev_u32_e32 v40, 28, v46
	v_lshlrev_b64 v[40:41], v40, v[32:33]
	v_lshrrev_b32_e32 v39, 3, v31
	v_sub_u32_e32 v32, 29, v46
	v_and_b32_e32 v40, 7, v40
	v_cmp_gt_u32_e32 vcc, 8, v31
	v_cndmask_b32_e32 v31, v39, v32, vcc
	v_cndmask_b32_e32 v32, v37, v40, vcc
	v_lshlrev_b32_e32 v30, 16, v30
	v_bfrev_b32_e32 v37, 60
	v_lshlrev_b32_e32 v32, 20, v32
	v_and_b32_e32 v30, 0x80000000, v30
	v_lshl_add_u32 v31, v31, 23, v37
	v_or3_b32 v30, v30, v31, v32
	v_lshrrev_b32_e32 v37, 16, v30
.LBB715_242:
	s_or_b64 exec, exec, s[20:21]
.LBB715_243:
	s_or_b64 exec, exec, s[8:9]
.LBB715_244:
	s_or_b64 exec, exec, s[2:3]
	s_movk_i32 s2, 0xff
	v_and_b32_sdwa v39, v27, s2 dst_sel:DWORD dst_unused:UNUSED_PAD src0_sel:WORD_1 src1_sel:DWORD
	v_lshrrev_b32_e32 v30, 16, v27
	v_cmp_ne_u16_e32 vcc, 0, v39
	v_mov_b32_e32 v31, 0
	v_mov_b32_e32 v32, 0
	s_and_saveexec_b64 s[2:3], vcc
	s_cbranch_execz .LBB715_250
; %bb.245:
	s_movk_i32 s8, 0x80
	v_cmp_ne_u16_e32 vcc, s8, v39
	v_mov_b32_e32 v32, 0xffff8000
	s_and_saveexec_b64 s[8:9], vcc
	s_cbranch_execz .LBB715_249
; %bb.246:
	v_bfe_u32 v39, v27, 16, 7
	s_movk_i32 s11, 0x7f
	v_cmp_ne_u32_e32 vcc, s11, v39
	v_mov_b32_e32 v32, 0x7f80
	s_and_saveexec_b64 s[20:21], vcc
	s_cbranch_execz .LBB715_248
; %bb.247:
	v_and_b32_e32 v32, 7, v30
	v_ffbh_u32_e32 v40, v32
	v_min_u32_e32 v47, 32, v40
	v_subrev_u32_e32 v40, 28, v47
	v_lshlrev_b64 v[40:41], v40, v[30:31]
	v_lshrrev_b32_e32 v46, 3, v39
	v_sub_u32_e32 v30, 29, v47
	v_and_b32_e32 v40, 7, v40
	v_cmp_gt_u32_e32 vcc, 8, v39
	v_mov_b32_e32 v39, 24
	v_cndmask_b32_e32 v30, v46, v30, vcc
	v_cndmask_b32_e32 v32, v32, v40, vcc
	v_lshlrev_b32_sdwa v39, v39, v27 dst_sel:DWORD dst_unused:UNUSED_PAD src0_sel:DWORD src1_sel:WORD_1
	v_bfrev_b32_e32 v40, 60
	v_lshlrev_b32_e32 v32, 20, v32
	v_and_b32_e32 v39, 0x80000000, v39
	v_lshl_add_u32 v30, v30, 23, v40
	v_or3_b32 v30, v39, v30, v32
	v_lshrrev_b32_e32 v32, 16, v30
.LBB715_248:
	s_or_b64 exec, exec, s[20:21]
.LBB715_249:
	s_or_b64 exec, exec, s[8:9]
.LBB715_250:
	s_or_b64 exec, exec, s[2:3]
	s_mov_b32 s2, -1
	s_mov_b32 s3, 0xffffff
	v_cmp_lt_u64_e32 vcc, s[2:3], v[26:27]
	s_and_saveexec_b64 s[2:3], vcc
	s_cbranch_execz .LBB715_256
; %bb.251:
	v_lshrrev_b32_e32 v26, 24, v27
	s_movk_i32 s8, 0x80
	v_cmp_ne_u32_e32 vcc, s8, v26
	v_mov_b32_e32 v31, 0xffff8000
	s_and_saveexec_b64 s[8:9], vcc
	s_cbranch_execz .LBB715_255
; %bb.252:
	v_bfe_u32 v27, v27, 24, 7
	s_movk_i32 s11, 0x7f
	v_cmp_ne_u32_e32 vcc, s11, v27
	v_mov_b32_e32 v31, 0x7f80
	s_and_saveexec_b64 s[20:21], vcc
	s_cbranch_execz .LBB715_254
; %bb.253:
	v_and_b32_e32 v39, 7, v26
	v_ffbh_u32_e32 v30, v39
	v_min_u32_e32 v41, 32, v30
	v_subrev_u32_e32 v30, 28, v41
	v_lshlrev_b64 v[30:31], v30, v[26:27]
	v_lshrrev_b32_e32 v40, 3, v27
	v_sub_u32_e32 v31, 29, v41
	v_and_b32_e32 v30, 7, v30
	v_cmp_gt_u32_e32 vcc, 8, v27
	v_cndmask_b32_e32 v27, v40, v31, vcc
	v_cndmask_b32_e32 v30, v39, v30, vcc
	v_lshlrev_b32_e32 v26, 24, v26
	v_bfrev_b32_e32 v31, 60
	v_lshlrev_b32_e32 v30, 20, v30
	v_and_b32_e32 v26, 0x80000000, v26
	v_lshl_add_u32 v27, v27, 23, v31
	v_or3_b32 v26, v26, v27, v30
	v_lshrrev_b32_e32 v31, 16, v26
.LBB715_254:
	s_or_b64 exec, exec, s[20:21]
.LBB715_255:
	s_or_b64 exec, exec, s[8:9]
.LBB715_256:
	s_or_b64 exec, exec, s[2:3]
	s_mov_b32 s2, 0x5040100
	v_perm_b32 v27, v36, v35, s2
	v_perm_b32 v26, v33, v34, s2
	;; [unrolled: 1-line block ×4, first 2 shown]
	v_mfma_f32_4x4x4bf16_1k a[0:3], v[18:19], v[26:27], a[0:3] cbsz:4 abid:4
	v_mov_b32_e32 v32, 0
	v_mfma_f32_4x4x4bf16_1k a[0:3], v[20:21], v[30:31], a[0:3] cbsz:4 abid:4
	v_mov_b32_e32 v31, 0
	v_cmp_ne_u16_sdwa s[8:9], v28, v31 src0_sel:BYTE_0 src1_sel:DWORD
	s_and_saveexec_b64 s[2:3], s[8:9]
	s_cbranch_execz .LBB715_262
; %bb.257:
	s_movk_i32 s8, 0x80
	v_cmp_ne_u16_sdwa s[20:21], v28, s8 src0_sel:BYTE_0 src1_sel:DWORD
	v_mov_b32_e32 v32, 0xffff8000
	s_and_saveexec_b64 s[8:9], s[20:21]
	s_cbranch_execz .LBB715_261
; %bb.258:
	s_movk_i32 s11, 0x7f
	v_and_b32_e32 v26, 0x7f, v28
	v_cmp_ne_u32_e32 vcc, s11, v26
	v_mov_b32_e32 v32, 0x7f80
	s_and_saveexec_b64 s[20:21], vcc
	s_cbranch_execz .LBB715_260
; %bb.259:
	v_and_b32_e32 v27, 7, v28
	v_ffbh_u32_e32 v27, v27
	v_min_u32_e32 v27, 32, v27
	v_subrev_u32_e32 v32, 28, v27
	v_cmp_gt_u32_e32 vcc, 8, v26
	v_lshrrev_b32_e32 v30, 3, v26
	v_sub_u32_e32 v27, 29, v27
	v_cndmask_b32_e32 v26, 0, v32, vcc
	v_cndmask_b32_e32 v30, v30, v27, vcc
	v_lshlrev_b64 v[26:27], v26, v[28:29]
	v_lshlrev_b32_e32 v26, 20, v26
	v_lshlrev_b32_e32 v27, 24, v28
	v_bfrev_b32_e32 v32, 60
	v_and_b32_e32 v26, 0x700000, v26
	v_and_b32_e32 v27, 0x80000000, v27
	v_lshl_add_u32 v30, v30, 23, v32
	v_or3_b32 v26, v27, v30, v26
	v_lshrrev_b32_e32 v32, 16, v26
.LBB715_260:
	s_or_b64 exec, exec, s[20:21]
.LBB715_261:
	s_or_b64 exec, exec, s[8:9]
.LBB715_262:
	s_or_b64 exec, exec, s[2:3]
	v_lshrrev_b16_e32 v26, 8, v28
	v_cmp_ne_u16_e32 vcc, 0, v26
	s_and_saveexec_b64 s[2:3], vcc
	s_cbranch_execz .LBB715_268
; %bb.263:
	s_movk_i32 s8, 0x80
	v_cmp_ne_u16_e32 vcc, s8, v26
	v_mov_b32_e32 v31, 0xffff8000
	s_and_saveexec_b64 s[8:9], vcc
	s_cbranch_execz .LBB715_267
; %bb.264:
	s_movk_i32 s11, 0x7f
	v_and_b32_e32 v27, 0x7f, v26
	v_cmp_ne_u32_e32 vcc, s11, v27
	v_mov_b32_e32 v31, 0x7f80
	s_and_saveexec_b64 s[20:21], vcc
	s_cbranch_execz .LBB715_266
; %bb.265:
	v_and_b32_e32 v33, 7, v26
	v_ffbh_u32_e32 v30, v33
	v_min_u32_e32 v35, 32, v30
	v_subrev_u32_e32 v30, 28, v35
	v_lshlrev_b64 v[30:31], v30, v[26:27]
	v_lshrrev_b32_e32 v34, 3, v27
	v_sub_u32_e32 v26, 29, v35
	v_and_b32_e32 v30, 7, v30
	v_cmp_gt_u32_e32 vcc, 8, v27
	v_cndmask_b32_e32 v26, v34, v26, vcc
	v_cndmask_b32_e32 v27, v33, v30, vcc
	v_lshlrev_b32_e32 v30, 16, v28
	v_bfrev_b32_e32 v31, 60
	v_lshlrev_b32_e32 v27, 20, v27
	v_and_b32_e32 v30, 0x80000000, v30
	v_lshl_add_u32 v26, v26, 23, v31
	v_or3_b32 v26, v30, v26, v27
	v_lshrrev_b32_e32 v31, 16, v26
.LBB715_266:
	s_or_b64 exec, exec, s[20:21]
.LBB715_267:
	s_or_b64 exec, exec, s[8:9]
.LBB715_268:
	s_or_b64 exec, exec, s[2:3]
	s_movk_i32 s2, 0xff
	v_and_b32_sdwa v30, v28, s2 dst_sel:DWORD dst_unused:UNUSED_PAD src0_sel:WORD_1 src1_sel:DWORD
	v_lshrrev_b32_e32 v26, 16, v28
	v_cmp_ne_u16_e32 vcc, 0, v30
	v_mov_b32_e32 v27, 0
	v_mov_b32_e32 v33, 0
	s_and_saveexec_b64 s[2:3], vcc
	s_cbranch_execz .LBB715_274
; %bb.269:
	s_movk_i32 s8, 0x80
	v_cmp_ne_u16_e32 vcc, s8, v30
	v_mov_b32_e32 v33, 0xffff8000
	s_and_saveexec_b64 s[8:9], vcc
	s_cbranch_execz .LBB715_273
; %bb.270:
	v_bfe_u32 v30, v28, 16, 7
	s_movk_i32 s11, 0x7f
	v_cmp_ne_u32_e32 vcc, s11, v30
	v_mov_b32_e32 v33, 0x7f80
	s_and_saveexec_b64 s[20:21], vcc
	s_cbranch_execz .LBB715_272
; %bb.271:
	v_and_b32_e32 v33, 7, v26
	v_ffbh_u32_e32 v34, v33
	v_min_u32_e32 v37, 32, v34
	v_subrev_u32_e32 v34, 28, v37
	v_lshlrev_b64 v[34:35], v34, v[26:27]
	v_and_b32_e32 v34, 7, v34
	v_cmp_gt_u32_e32 vcc, 8, v30
	v_lshrrev_b32_e32 v36, 3, v30
	v_sub_u32_e32 v26, 29, v37
	v_cndmask_b32_e32 v30, v33, v34, vcc
	v_mov_b32_e32 v33, 24
	v_cndmask_b32_e32 v26, v36, v26, vcc
	v_lshlrev_b32_sdwa v33, v33, v28 dst_sel:DWORD dst_unused:UNUSED_PAD src0_sel:DWORD src1_sel:WORD_1
	v_bfrev_b32_e32 v34, 60
	v_lshlrev_b32_e32 v30, 20, v30
	v_and_b32_e32 v33, 0x80000000, v33
	v_lshl_add_u32 v26, v26, 23, v34
	v_or3_b32 v26, v33, v26, v30
	v_lshrrev_b32_e32 v33, 16, v26
.LBB715_272:
	s_or_b64 exec, exec, s[20:21]
.LBB715_273:
	s_or_b64 exec, exec, s[8:9]
.LBB715_274:
	s_or_b64 exec, exec, s[2:3]
	s_mov_b32 s2, 0xffffff
	v_cmp_lt_u32_e32 vcc, s2, v28
	v_mov_b32_e32 v34, 0
	s_and_saveexec_b64 s[2:3], vcc
	s_cbranch_execz .LBB715_280
; %bb.275:
	v_lshrrev_b32_e32 v26, 24, v28
	s_movk_i32 s8, 0x80
	v_cmp_ne_u32_e32 vcc, s8, v26
	v_mov_b32_e32 v34, 0xffff8000
	s_and_saveexec_b64 s[8:9], vcc
	s_cbranch_execz .LBB715_279
; %bb.276:
	v_bfe_u32 v30, v28, 24, 7
	s_movk_i32 s11, 0x7f
	v_cmp_ne_u32_e32 vcc, s11, v30
	v_mov_b32_e32 v34, 0x7f80
	s_and_saveexec_b64 s[20:21], vcc
	s_cbranch_execz .LBB715_278
; %bb.277:
	v_and_b32_e32 v36, 7, v26
	v_ffbh_u32_e32 v34, v36
	v_min_u32_e32 v38, 32, v34
	v_subrev_u32_e32 v34, 28, v38
	v_lshlrev_b64 v[34:35], v34, v[26:27]
	v_lshrrev_b32_e32 v37, 3, v30
	v_sub_u32_e32 v35, 29, v38
	v_and_b32_e32 v34, 7, v34
	v_cmp_gt_u32_e32 vcc, 8, v30
	v_cndmask_b32_e32 v30, v37, v35, vcc
	v_cndmask_b32_e32 v34, v36, v34, vcc
	v_lshlrev_b32_e32 v26, 24, v26
	v_bfrev_b32_e32 v35, 60
	v_lshlrev_b32_e32 v34, 20, v34
	v_and_b32_e32 v26, 0x80000000, v26
	v_lshl_add_u32 v30, v30, 23, v35
	v_or3_b32 v26, v26, v30, v34
	v_lshrrev_b32_e32 v34, 16, v26
.LBB715_278:
	s_or_b64 exec, exec, s[20:21]
.LBB715_279:
	s_or_b64 exec, exec, s[8:9]
.LBB715_280:
	s_or_b64 exec, exec, s[2:3]
	v_mov_b32_e32 v35, 0
	v_mov_b32_e32 v26, v29
	v_cmp_ne_u16_sdwa s[8:9], v29, v35 src0_sel:BYTE_0 src1_sel:DWORD
	v_mov_b32_e32 v36, 0
	s_and_saveexec_b64 s[2:3], s[8:9]
	s_cbranch_execz .LBB715_286
; %bb.281:
	s_movk_i32 s8, 0x80
	v_cmp_ne_u16_sdwa s[20:21], v29, s8 src0_sel:BYTE_0 src1_sel:DWORD
	v_mov_b32_e32 v36, 0xffff8000
	s_and_saveexec_b64 s[8:9], s[20:21]
	s_cbranch_execz .LBB715_285
; %bb.282:
	s_movk_i32 s11, 0x7f
	v_and_b32_e32 v30, 0x7f, v29
	v_cmp_ne_u32_e32 vcc, s11, v30
	v_mov_b32_e32 v36, 0x7f80
	s_and_saveexec_b64 s[20:21], vcc
	s_cbranch_execz .LBB715_284
; %bb.283:
	v_and_b32_e32 v36, 7, v29
	v_ffbh_u32_e32 v36, v36
	v_min_u32_e32 v36, 32, v36
	v_lshrrev_b32_e32 v37, 3, v30
	v_subrev_u32_e32 v38, 28, v36
	v_sub_u32_e32 v36, 29, v36
	v_cmp_gt_u32_e32 vcc, 8, v30
	v_cndmask_b32_e32 v30, v37, v36, vcc
	v_cndmask_b32_e32 v36, 0, v38, vcc
	v_lshlrev_b64 v[36:37], v36, v[26:27]
	v_lshlrev_b32_e32 v27, 20, v36
	v_lshlrev_b32_e32 v36, 24, v26
	v_bfrev_b32_e32 v37, 60
	v_and_b32_e32 v27, 0x700000, v27
	v_and_b32_e32 v36, 0x80000000, v36
	v_lshl_add_u32 v30, v30, 23, v37
	v_or3_b32 v27, v36, v30, v27
	v_lshrrev_b32_e32 v36, 16, v27
.LBB715_284:
	s_or_b64 exec, exec, s[20:21]
.LBB715_285:
	s_or_b64 exec, exec, s[8:9]
.LBB715_286:
	s_or_b64 exec, exec, s[2:3]
	v_lshrrev_b16_e32 v30, 8, v26
	v_cmp_ne_u16_e32 vcc, 0, v30
	s_and_saveexec_b64 s[2:3], vcc
	s_cbranch_execz .LBB715_292
; %bb.287:
	s_movk_i32 s8, 0x80
	v_cmp_ne_u16_e32 vcc, s8, v30
	v_mov_b32_e32 v35, 0xffff8000
	s_and_saveexec_b64 s[8:9], vcc
	s_cbranch_execz .LBB715_291
; %bb.288:
	s_movk_i32 s11, 0x7f
	v_and_b32_e32 v27, 0x7f, v30
	v_cmp_ne_u32_e32 vcc, s11, v27
	v_mov_b32_e32 v35, 0x7f80
	s_and_saveexec_b64 s[20:21], vcc
	s_cbranch_execz .LBB715_290
; %bb.289:
	v_and_b32_e32 v35, 7, v30
	v_ffbh_u32_e32 v38, v35
	v_min_u32_e32 v40, 32, v38
	v_subrev_u32_e32 v38, 28, v40
	v_lshlrev_b64 v[38:39], v38, v[30:31]
	v_lshrrev_b32_e32 v37, 3, v27
	v_sub_u32_e32 v30, 29, v40
	v_and_b32_e32 v38, 7, v38
	v_cmp_gt_u32_e32 vcc, 8, v27
	v_cndmask_b32_e32 v27, v37, v30, vcc
	v_cndmask_b32_e32 v30, v35, v38, vcc
	v_lshlrev_b32_e32 v26, 16, v26
	v_bfrev_b32_e32 v35, 60
	v_lshlrev_b32_e32 v30, 20, v30
	v_and_b32_e32 v26, 0x80000000, v26
	v_lshl_add_u32 v27, v27, 23, v35
	v_or3_b32 v26, v26, v27, v30
	v_lshrrev_b32_e32 v35, 16, v26
.LBB715_290:
	s_or_b64 exec, exec, s[20:21]
.LBB715_291:
	s_or_b64 exec, exec, s[8:9]
.LBB715_292:
	s_or_b64 exec, exec, s[2:3]
	s_movk_i32 s2, 0xff
	v_and_b32_sdwa v37, v29, s2 dst_sel:DWORD dst_unused:UNUSED_PAD src0_sel:WORD_1 src1_sel:DWORD
	v_lshrrev_b32_e32 v26, 16, v29
	v_cmp_ne_u16_e32 vcc, 0, v37
	v_mov_b32_e32 v27, 0
	v_mov_b32_e32 v30, 0
	s_and_saveexec_b64 s[2:3], vcc
	s_cbranch_execz .LBB715_298
; %bb.293:
	s_movk_i32 s8, 0x80
	v_cmp_ne_u16_e32 vcc, s8, v37
	v_mov_b32_e32 v30, 0xffff8000
	s_and_saveexec_b64 s[8:9], vcc
	s_cbranch_execz .LBB715_297
; %bb.294:
	v_bfe_u32 v37, v29, 16, 7
	s_movk_i32 s11, 0x7f
	v_cmp_ne_u32_e32 vcc, s11, v37
	v_mov_b32_e32 v30, 0x7f80
	s_and_saveexec_b64 s[20:21], vcc
	s_cbranch_execz .LBB715_296
; %bb.295:
	v_and_b32_e32 v30, 7, v26
	v_ffbh_u32_e32 v38, v30
	v_min_u32_e32 v41, 32, v38
	v_subrev_u32_e32 v38, 28, v41
	v_lshlrev_b64 v[38:39], v38, v[26:27]
	v_lshrrev_b32_e32 v40, 3, v37
	v_sub_u32_e32 v26, 29, v41
	v_and_b32_e32 v38, 7, v38
	v_cmp_gt_u32_e32 vcc, 8, v37
	v_mov_b32_e32 v37, 24
	v_cndmask_b32_e32 v26, v40, v26, vcc
	v_cndmask_b32_e32 v30, v30, v38, vcc
	v_lshlrev_b32_sdwa v37, v37, v29 dst_sel:DWORD dst_unused:UNUSED_PAD src0_sel:DWORD src1_sel:WORD_1
	v_bfrev_b32_e32 v38, 60
	v_lshlrev_b32_e32 v30, 20, v30
	v_and_b32_e32 v37, 0x80000000, v37
	v_lshl_add_u32 v26, v26, 23, v38
	v_or3_b32 v26, v37, v26, v30
	v_lshrrev_b32_e32 v30, 16, v26
.LBB715_296:
	s_or_b64 exec, exec, s[20:21]
.LBB715_297:
	s_or_b64 exec, exec, s[8:9]
.LBB715_298:
	s_or_b64 exec, exec, s[2:3]
	s_mov_b32 s2, -1
	s_mov_b32 s3, 0xffffff
	v_cmp_lt_u64_e32 vcc, s[2:3], v[28:29]
	s_and_saveexec_b64 s[2:3], vcc
	s_cbranch_execz .LBB715_304
; %bb.299:
	v_lshrrev_b32_e32 v26, 24, v29
	s_movk_i32 s8, 0x80
	v_cmp_ne_u32_e32 vcc, s8, v26
	v_mov_b32_e32 v27, 0xffff8000
	s_and_saveexec_b64 s[8:9], vcc
	s_cbranch_execz .LBB715_303
; %bb.300:
	v_bfe_u32 v28, v29, 24, 7
	s_movk_i32 s11, 0x7f
	v_cmp_ne_u32_e32 vcc, s11, v28
	v_mov_b32_e32 v27, 0x7f80
	s_and_saveexec_b64 s[20:21], vcc
	s_cbranch_execz .LBB715_302
; %bb.301:
	v_and_b32_e32 v27, 7, v26
	v_ffbh_u32_e32 v37, v27
	v_min_u32_e32 v37, 32, v37
	v_subrev_u32_e32 v38, 28, v37
	v_lshlrev_b64 v[38:39], v38, v[26:27]
	v_lshrrev_b32_e32 v29, 3, v28
	v_sub_u32_e32 v37, 29, v37
	v_and_b32_e32 v38, 7, v38
	v_cmp_gt_u32_e32 vcc, 8, v28
	v_cndmask_b32_e32 v28, v29, v37, vcc
	v_cndmask_b32_e32 v27, v27, v38, vcc
	v_lshlrev_b32_e32 v26, 24, v26
	v_bfrev_b32_e32 v29, 60
	v_lshlrev_b32_e32 v27, 20, v27
	v_and_b32_e32 v26, 0x80000000, v26
	v_lshl_add_u32 v28, v28, 23, v29
	v_or3_b32 v26, v26, v28, v27
	v_lshrrev_b32_e32 v27, 16, v26
.LBB715_302:
	s_or_b64 exec, exec, s[20:21]
.LBB715_303:
	s_or_b64 exec, exec, s[8:9]
.LBB715_304:
	s_or_b64 exec, exec, s[2:3]
	s_mov_b32 s2, 0x5040100
	v_perm_b32 v29, v34, v33, s2
	v_perm_b32 v28, v31, v32, s2
	;; [unrolled: 1-line block ×4, first 2 shown]
	v_mfma_f32_4x4x4bf16_1k a[0:3], v[18:19], v[28:29], a[0:3] cbsz:4 abid:5
	v_mov_b32_e32 v29, 0
	v_mfma_f32_4x4x4bf16_1k a[0:3], v[20:21], v[26:27], a[0:3] cbsz:4 abid:5
	s_waitcnt vmcnt(4)
	v_cmp_ne_u16_sdwa s[8:9], v22, v29 src0_sel:BYTE_0 src1_sel:DWORD
	v_mov_b32_e32 v30, 0
	s_and_saveexec_b64 s[2:3], s[8:9]
	s_cbranch_execz .LBB715_310
; %bb.305:
	s_movk_i32 s8, 0x80
	v_cmp_ne_u16_sdwa s[20:21], v22, s8 src0_sel:BYTE_0 src1_sel:DWORD
	v_mov_b32_e32 v30, 0xffff8000
	s_and_saveexec_b64 s[8:9], s[20:21]
	s_cbranch_execz .LBB715_309
; %bb.306:
	s_movk_i32 s11, 0x7f
	v_and_b32_e32 v26, 0x7f, v22
	v_cmp_ne_u32_e32 vcc, s11, v26
	v_mov_b32_e32 v30, 0x7f80
	s_and_saveexec_b64 s[20:21], vcc
	s_cbranch_execz .LBB715_308
; %bb.307:
	v_and_b32_e32 v27, 7, v22
	v_ffbh_u32_e32 v27, v27
	v_min_u32_e32 v27, 32, v27
	v_subrev_u32_e32 v30, 28, v27
	v_cmp_gt_u32_e32 vcc, 8, v26
	v_lshrrev_b32_e32 v28, 3, v26
	v_sub_u32_e32 v27, 29, v27
	v_cndmask_b32_e32 v26, 0, v30, vcc
	v_cndmask_b32_e32 v28, v28, v27, vcc
	v_lshlrev_b64 v[26:27], v26, v[22:23]
	v_lshlrev_b32_e32 v26, 20, v26
	v_lshlrev_b32_e32 v27, 24, v22
	v_bfrev_b32_e32 v30, 60
	v_and_b32_e32 v26, 0x700000, v26
	v_and_b32_e32 v27, 0x80000000, v27
	v_lshl_add_u32 v28, v28, 23, v30
	v_or3_b32 v26, v27, v28, v26
	v_lshrrev_b32_e32 v30, 16, v26
.LBB715_308:
	s_or_b64 exec, exec, s[20:21]
.LBB715_309:
	s_or_b64 exec, exec, s[8:9]
.LBB715_310:
	s_or_b64 exec, exec, s[2:3]
	v_lshrrev_b16_e32 v26, 8, v22
	v_cmp_ne_u16_e32 vcc, 0, v26
	s_and_saveexec_b64 s[2:3], vcc
	s_cbranch_execz .LBB715_316
; %bb.311:
	s_movk_i32 s8, 0x80
	v_cmp_ne_u16_e32 vcc, s8, v26
	v_mov_b32_e32 v29, 0xffff8000
	s_and_saveexec_b64 s[8:9], vcc
	s_cbranch_execz .LBB715_315
; %bb.312:
	s_movk_i32 s11, 0x7f
	v_and_b32_e32 v27, 0x7f, v26
	v_cmp_ne_u32_e32 vcc, s11, v27
	v_mov_b32_e32 v29, 0x7f80
	s_and_saveexec_b64 s[20:21], vcc
	s_cbranch_execz .LBB715_314
; %bb.313:
	v_and_b32_e32 v31, 7, v26
	v_ffbh_u32_e32 v28, v31
	v_min_u32_e32 v33, 32, v28
	v_subrev_u32_e32 v28, 28, v33
	v_lshlrev_b64 v[28:29], v28, v[26:27]
	v_lshrrev_b32_e32 v32, 3, v27
	v_sub_u32_e32 v26, 29, v33
	v_and_b32_e32 v28, 7, v28
	v_cmp_gt_u32_e32 vcc, 8, v27
	v_cndmask_b32_e32 v26, v32, v26, vcc
	v_cndmask_b32_e32 v27, v31, v28, vcc
	v_lshlrev_b32_e32 v28, 16, v22
	v_bfrev_b32_e32 v29, 60
	v_lshlrev_b32_e32 v27, 20, v27
	v_and_b32_e32 v28, 0x80000000, v28
	v_lshl_add_u32 v26, v26, 23, v29
	v_or3_b32 v26, v28, v26, v27
	v_lshrrev_b32_e32 v29, 16, v26
.LBB715_314:
	s_or_b64 exec, exec, s[20:21]
.LBB715_315:
	s_or_b64 exec, exec, s[8:9]
.LBB715_316:
	s_or_b64 exec, exec, s[2:3]
	s_movk_i32 s2, 0xff
	v_and_b32_sdwa v28, v22, s2 dst_sel:DWORD dst_unused:UNUSED_PAD src0_sel:WORD_1 src1_sel:DWORD
	v_lshrrev_b32_e32 v26, 16, v22
	v_cmp_ne_u16_e32 vcc, 0, v28
	v_mov_b32_e32 v27, 0
	v_mov_b32_e32 v31, 0
	s_and_saveexec_b64 s[2:3], vcc
	s_cbranch_execz .LBB715_322
; %bb.317:
	s_movk_i32 s8, 0x80
	v_cmp_ne_u16_e32 vcc, s8, v28
	v_mov_b32_e32 v31, 0xffff8000
	s_and_saveexec_b64 s[8:9], vcc
	s_cbranch_execz .LBB715_321
; %bb.318:
	v_bfe_u32 v28, v22, 16, 7
	s_movk_i32 s11, 0x7f
	v_cmp_ne_u32_e32 vcc, s11, v28
	v_mov_b32_e32 v31, 0x7f80
	s_and_saveexec_b64 s[20:21], vcc
	s_cbranch_execz .LBB715_320
; %bb.319:
	v_and_b32_e32 v31, 7, v26
	v_ffbh_u32_e32 v32, v31
	v_min_u32_e32 v35, 32, v32
	v_subrev_u32_e32 v32, 28, v35
	v_lshlrev_b64 v[32:33], v32, v[26:27]
	v_and_b32_e32 v32, 7, v32
	v_cmp_gt_u32_e32 vcc, 8, v28
	v_lshrrev_b32_e32 v34, 3, v28
	v_sub_u32_e32 v26, 29, v35
	v_cndmask_b32_e32 v28, v31, v32, vcc
	v_mov_b32_e32 v31, 24
	v_cndmask_b32_e32 v26, v34, v26, vcc
	v_lshlrev_b32_sdwa v31, v31, v22 dst_sel:DWORD dst_unused:UNUSED_PAD src0_sel:DWORD src1_sel:WORD_1
	v_bfrev_b32_e32 v32, 60
	v_lshlrev_b32_e32 v28, 20, v28
	v_and_b32_e32 v31, 0x80000000, v31
	v_lshl_add_u32 v26, v26, 23, v32
	v_or3_b32 v26, v31, v26, v28
	v_lshrrev_b32_e32 v31, 16, v26
.LBB715_320:
	s_or_b64 exec, exec, s[20:21]
.LBB715_321:
	s_or_b64 exec, exec, s[8:9]
.LBB715_322:
	s_or_b64 exec, exec, s[2:3]
	s_mov_b32 s2, 0xffffff
	v_cmp_lt_u32_e32 vcc, s2, v22
	v_mov_b32_e32 v32, 0
	s_and_saveexec_b64 s[2:3], vcc
	s_cbranch_execz .LBB715_328
; %bb.323:
	v_lshrrev_b32_e32 v26, 24, v22
	s_movk_i32 s8, 0x80
	v_cmp_ne_u32_e32 vcc, s8, v26
	v_mov_b32_e32 v32, 0xffff8000
	s_and_saveexec_b64 s[8:9], vcc
	s_cbranch_execz .LBB715_327
; %bb.324:
	v_bfe_u32 v28, v22, 24, 7
	s_movk_i32 s11, 0x7f
	v_cmp_ne_u32_e32 vcc, s11, v28
	v_mov_b32_e32 v32, 0x7f80
	s_and_saveexec_b64 s[20:21], vcc
	s_cbranch_execz .LBB715_326
; %bb.325:
	v_and_b32_e32 v34, 7, v26
	v_ffbh_u32_e32 v32, v34
	v_min_u32_e32 v36, 32, v32
	v_subrev_u32_e32 v32, 28, v36
	v_lshlrev_b64 v[32:33], v32, v[26:27]
	v_lshrrev_b32_e32 v35, 3, v28
	v_sub_u32_e32 v33, 29, v36
	v_and_b32_e32 v32, 7, v32
	v_cmp_gt_u32_e32 vcc, 8, v28
	v_cndmask_b32_e32 v28, v35, v33, vcc
	v_cndmask_b32_e32 v32, v34, v32, vcc
	v_lshlrev_b32_e32 v26, 24, v26
	v_bfrev_b32_e32 v33, 60
	v_lshlrev_b32_e32 v32, 20, v32
	v_and_b32_e32 v26, 0x80000000, v26
	v_lshl_add_u32 v28, v28, 23, v33
	v_or3_b32 v26, v26, v28, v32
	v_lshrrev_b32_e32 v32, 16, v26
.LBB715_326:
	s_or_b64 exec, exec, s[20:21]
.LBB715_327:
	s_or_b64 exec, exec, s[8:9]
.LBB715_328:
	s_or_b64 exec, exec, s[2:3]
	v_mov_b32_e32 v33, 0
	v_mov_b32_e32 v26, v23
	v_cmp_ne_u16_sdwa s[8:9], v23, v33 src0_sel:BYTE_0 src1_sel:DWORD
	v_mov_b32_e32 v34, 0
	s_and_saveexec_b64 s[2:3], s[8:9]
	s_cbranch_execz .LBB715_334
; %bb.329:
	s_movk_i32 s8, 0x80
	v_cmp_ne_u16_sdwa s[20:21], v23, s8 src0_sel:BYTE_0 src1_sel:DWORD
	v_mov_b32_e32 v34, 0xffff8000
	s_and_saveexec_b64 s[8:9], s[20:21]
	s_cbranch_execz .LBB715_333
; %bb.330:
	s_movk_i32 s11, 0x7f
	v_and_b32_e32 v28, 0x7f, v23
	v_cmp_ne_u32_e32 vcc, s11, v28
	v_mov_b32_e32 v34, 0x7f80
	s_and_saveexec_b64 s[20:21], vcc
	s_cbranch_execz .LBB715_332
; %bb.331:
	v_and_b32_e32 v34, 7, v23
	v_ffbh_u32_e32 v34, v34
	v_min_u32_e32 v34, 32, v34
	v_lshrrev_b32_e32 v35, 3, v28
	v_subrev_u32_e32 v36, 28, v34
	v_sub_u32_e32 v34, 29, v34
	v_cmp_gt_u32_e32 vcc, 8, v28
	v_cndmask_b32_e32 v28, v35, v34, vcc
	v_cndmask_b32_e32 v34, 0, v36, vcc
	v_lshlrev_b64 v[34:35], v34, v[26:27]
	v_lshlrev_b32_e32 v27, 20, v34
	v_lshlrev_b32_e32 v34, 24, v26
	v_bfrev_b32_e32 v35, 60
	v_and_b32_e32 v27, 0x700000, v27
	v_and_b32_e32 v34, 0x80000000, v34
	v_lshl_add_u32 v28, v28, 23, v35
	v_or3_b32 v27, v34, v28, v27
	v_lshrrev_b32_e32 v34, 16, v27
.LBB715_332:
	s_or_b64 exec, exec, s[20:21]
.LBB715_333:
	s_or_b64 exec, exec, s[8:9]
.LBB715_334:
	s_or_b64 exec, exec, s[2:3]
	v_lshrrev_b16_e32 v28, 8, v26
	v_cmp_ne_u16_e32 vcc, 0, v28
	s_and_saveexec_b64 s[2:3], vcc
	s_cbranch_execz .LBB715_340
; %bb.335:
	s_movk_i32 s8, 0x80
	v_cmp_ne_u16_e32 vcc, s8, v28
	v_mov_b32_e32 v33, 0xffff8000
	s_and_saveexec_b64 s[8:9], vcc
	s_cbranch_execz .LBB715_339
; %bb.336:
	s_movk_i32 s11, 0x7f
	v_and_b32_e32 v27, 0x7f, v28
	v_cmp_ne_u32_e32 vcc, s11, v27
	v_mov_b32_e32 v33, 0x7f80
	s_and_saveexec_b64 s[20:21], vcc
	s_cbranch_execz .LBB715_338
; %bb.337:
	v_and_b32_e32 v33, 7, v28
	v_ffbh_u32_e32 v36, v33
	v_min_u32_e32 v38, 32, v36
	v_subrev_u32_e32 v36, 28, v38
	v_lshlrev_b64 v[36:37], v36, v[28:29]
	v_lshrrev_b32_e32 v35, 3, v27
	v_sub_u32_e32 v28, 29, v38
	v_and_b32_e32 v36, 7, v36
	v_cmp_gt_u32_e32 vcc, 8, v27
	v_cndmask_b32_e32 v27, v35, v28, vcc
	v_cndmask_b32_e32 v28, v33, v36, vcc
	v_lshlrev_b32_e32 v26, 16, v26
	v_bfrev_b32_e32 v33, 60
	v_lshlrev_b32_e32 v28, 20, v28
	v_and_b32_e32 v26, 0x80000000, v26
	v_lshl_add_u32 v27, v27, 23, v33
	v_or3_b32 v26, v26, v27, v28
	v_lshrrev_b32_e32 v33, 16, v26
.LBB715_338:
	s_or_b64 exec, exec, s[20:21]
.LBB715_339:
	s_or_b64 exec, exec, s[8:9]
.LBB715_340:
	s_or_b64 exec, exec, s[2:3]
	s_movk_i32 s2, 0xff
	v_and_b32_sdwa v35, v23, s2 dst_sel:DWORD dst_unused:UNUSED_PAD src0_sel:WORD_1 src1_sel:DWORD
	v_lshrrev_b32_e32 v26, 16, v23
	v_cmp_ne_u16_e32 vcc, 0, v35
	v_mov_b32_e32 v27, 0
	v_mov_b32_e32 v28, 0
	s_and_saveexec_b64 s[2:3], vcc
	s_cbranch_execz .LBB715_346
; %bb.341:
	s_movk_i32 s8, 0x80
	v_cmp_ne_u16_e32 vcc, s8, v35
	v_mov_b32_e32 v28, 0xffff8000
	s_and_saveexec_b64 s[8:9], vcc
	s_cbranch_execz .LBB715_345
; %bb.342:
	v_bfe_u32 v35, v23, 16, 7
	s_movk_i32 s11, 0x7f
	v_cmp_ne_u32_e32 vcc, s11, v35
	v_mov_b32_e32 v28, 0x7f80
	s_and_saveexec_b64 s[20:21], vcc
	s_cbranch_execz .LBB715_344
; %bb.343:
	v_and_b32_e32 v28, 7, v26
	v_ffbh_u32_e32 v36, v28
	v_min_u32_e32 v39, 32, v36
	v_subrev_u32_e32 v36, 28, v39
	v_lshlrev_b64 v[36:37], v36, v[26:27]
	v_lshrrev_b32_e32 v38, 3, v35
	v_sub_u32_e32 v26, 29, v39
	v_and_b32_e32 v36, 7, v36
	v_cmp_gt_u32_e32 vcc, 8, v35
	v_mov_b32_e32 v35, 24
	v_cndmask_b32_e32 v26, v38, v26, vcc
	v_cndmask_b32_e32 v28, v28, v36, vcc
	v_lshlrev_b32_sdwa v35, v35, v23 dst_sel:DWORD dst_unused:UNUSED_PAD src0_sel:DWORD src1_sel:WORD_1
	v_bfrev_b32_e32 v36, 60
	v_lshlrev_b32_e32 v28, 20, v28
	v_and_b32_e32 v35, 0x80000000, v35
	v_lshl_add_u32 v26, v26, 23, v36
	v_or3_b32 v26, v35, v26, v28
	v_lshrrev_b32_e32 v28, 16, v26
.LBB715_344:
	s_or_b64 exec, exec, s[20:21]
.LBB715_345:
	s_or_b64 exec, exec, s[8:9]
.LBB715_346:
	s_or_b64 exec, exec, s[2:3]
	s_mov_b32 s2, -1
	s_mov_b32 s3, 0xffffff
	v_cmp_lt_u64_e32 vcc, s[2:3], v[22:23]
	s_and_saveexec_b64 s[2:3], vcc
	s_cbranch_execz .LBB715_352
; %bb.347:
	v_lshrrev_b32_e32 v22, 24, v23
	s_movk_i32 s8, 0x80
	v_cmp_ne_u32_e32 vcc, s8, v22
	v_mov_b32_e32 v27, 0xffff8000
	s_and_saveexec_b64 s[8:9], vcc
	s_cbranch_execz .LBB715_351
; %bb.348:
	v_bfe_u32 v23, v23, 24, 7
	s_movk_i32 s11, 0x7f
	v_cmp_ne_u32_e32 vcc, s11, v23
	v_mov_b32_e32 v27, 0x7f80
	s_and_saveexec_b64 s[20:21], vcc
	s_cbranch_execz .LBB715_350
; %bb.349:
	v_and_b32_e32 v35, 7, v22
	v_ffbh_u32_e32 v26, v35
	v_min_u32_e32 v37, 32, v26
	v_subrev_u32_e32 v26, 28, v37
	v_lshlrev_b64 v[26:27], v26, v[22:23]
	v_lshrrev_b32_e32 v36, 3, v23
	v_sub_u32_e32 v27, 29, v37
	v_and_b32_e32 v26, 7, v26
	v_cmp_gt_u32_e32 vcc, 8, v23
	v_cndmask_b32_e32 v23, v36, v27, vcc
	v_cndmask_b32_e32 v26, v35, v26, vcc
	v_lshlrev_b32_e32 v22, 24, v22
	v_bfrev_b32_e32 v27, 60
	v_lshlrev_b32_e32 v26, 20, v26
	v_and_b32_e32 v22, 0x80000000, v22
	v_lshl_add_u32 v23, v23, 23, v27
	v_or3_b32 v22, v22, v23, v26
	v_lshrrev_b32_e32 v27, 16, v22
.LBB715_350:
	s_or_b64 exec, exec, s[20:21]
.LBB715_351:
	s_or_b64 exec, exec, s[8:9]
.LBB715_352:
	s_or_b64 exec, exec, s[2:3]
	s_mov_b32 s2, 0x5040100
	v_perm_b32 v23, v32, v31, s2
	v_perm_b32 v22, v29, v30, s2
	;; [unrolled: 1-line block ×4, first 2 shown]
	v_mfma_f32_4x4x4bf16_1k a[0:3], v[18:19], v[22:23], a[0:3] cbsz:4 abid:6
	v_mov_b32_e32 v28, 0
	v_mfma_f32_4x4x4bf16_1k a[0:3], v[20:21], v[26:27], a[0:3] cbsz:4 abid:6
	v_mov_b32_e32 v27, 0
	v_cmp_ne_u16_sdwa s[8:9], v24, v27 src0_sel:BYTE_0 src1_sel:DWORD
	s_and_saveexec_b64 s[2:3], s[8:9]
	s_cbranch_execz .LBB715_358
; %bb.353:
	s_movk_i32 s8, 0x80
	v_cmp_ne_u16_sdwa s[20:21], v24, s8 src0_sel:BYTE_0 src1_sel:DWORD
	v_mov_b32_e32 v28, 0xffff8000
	s_and_saveexec_b64 s[8:9], s[20:21]
	s_cbranch_execz .LBB715_357
; %bb.354:
	s_movk_i32 s11, 0x7f
	v_and_b32_e32 v22, 0x7f, v24
	v_cmp_ne_u32_e32 vcc, s11, v22
	v_mov_b32_e32 v28, 0x7f80
	s_and_saveexec_b64 s[20:21], vcc
	s_cbranch_execz .LBB715_356
; %bb.355:
	v_and_b32_e32 v23, 7, v24
	v_ffbh_u32_e32 v23, v23
	v_min_u32_e32 v23, 32, v23
	v_subrev_u32_e32 v28, 28, v23
	v_cmp_gt_u32_e32 vcc, 8, v22
	v_lshrrev_b32_e32 v26, 3, v22
	v_sub_u32_e32 v23, 29, v23
	v_cndmask_b32_e32 v22, 0, v28, vcc
	v_cndmask_b32_e32 v26, v26, v23, vcc
	v_lshlrev_b64 v[22:23], v22, v[24:25]
	v_lshlrev_b32_e32 v22, 20, v22
	v_lshlrev_b32_e32 v23, 24, v24
	v_bfrev_b32_e32 v28, 60
	v_and_b32_e32 v22, 0x700000, v22
	v_and_b32_e32 v23, 0x80000000, v23
	v_lshl_add_u32 v26, v26, 23, v28
	v_or3_b32 v22, v23, v26, v22
	v_lshrrev_b32_e32 v28, 16, v22
.LBB715_356:
	s_or_b64 exec, exec, s[20:21]
.LBB715_357:
	s_or_b64 exec, exec, s[8:9]
.LBB715_358:
	s_or_b64 exec, exec, s[2:3]
	v_lshrrev_b16_e32 v22, 8, v24
	v_cmp_ne_u16_e32 vcc, 0, v22
	s_and_saveexec_b64 s[2:3], vcc
	s_cbranch_execz .LBB715_364
; %bb.359:
	s_movk_i32 s8, 0x80
	v_cmp_ne_u16_e32 vcc, s8, v22
	v_mov_b32_e32 v27, 0xffff8000
	s_and_saveexec_b64 s[8:9], vcc
	s_cbranch_execz .LBB715_363
; %bb.360:
	s_movk_i32 s11, 0x7f
	v_and_b32_e32 v23, 0x7f, v22
	v_cmp_ne_u32_e32 vcc, s11, v23
	v_mov_b32_e32 v27, 0x7f80
	s_and_saveexec_b64 s[20:21], vcc
	s_cbranch_execz .LBB715_362
; %bb.361:
	v_and_b32_e32 v29, 7, v22
	v_ffbh_u32_e32 v26, v29
	v_min_u32_e32 v31, 32, v26
	v_subrev_u32_e32 v26, 28, v31
	v_lshlrev_b64 v[26:27], v26, v[22:23]
	v_lshrrev_b32_e32 v30, 3, v23
	v_sub_u32_e32 v22, 29, v31
	v_and_b32_e32 v26, 7, v26
	v_cmp_gt_u32_e32 vcc, 8, v23
	v_cndmask_b32_e32 v22, v30, v22, vcc
	v_cndmask_b32_e32 v23, v29, v26, vcc
	v_lshlrev_b32_e32 v26, 16, v24
	v_bfrev_b32_e32 v27, 60
	v_lshlrev_b32_e32 v23, 20, v23
	v_and_b32_e32 v26, 0x80000000, v26
	v_lshl_add_u32 v22, v22, 23, v27
	v_or3_b32 v22, v26, v22, v23
	v_lshrrev_b32_e32 v27, 16, v22
.LBB715_362:
	s_or_b64 exec, exec, s[20:21]
.LBB715_363:
	s_or_b64 exec, exec, s[8:9]
.LBB715_364:
	s_or_b64 exec, exec, s[2:3]
	s_movk_i32 s2, 0xff
	v_and_b32_sdwa v26, v24, s2 dst_sel:DWORD dst_unused:UNUSED_PAD src0_sel:WORD_1 src1_sel:DWORD
	v_lshrrev_b32_e32 v22, 16, v24
	v_cmp_ne_u16_e32 vcc, 0, v26
	v_mov_b32_e32 v23, 0
	v_mov_b32_e32 v29, 0
	s_and_saveexec_b64 s[2:3], vcc
	s_cbranch_execz .LBB715_370
; %bb.365:
	s_movk_i32 s8, 0x80
	v_cmp_ne_u16_e32 vcc, s8, v26
	v_mov_b32_e32 v29, 0xffff8000
	s_and_saveexec_b64 s[8:9], vcc
	s_cbranch_execz .LBB715_369
; %bb.366:
	v_bfe_u32 v26, v24, 16, 7
	s_movk_i32 s11, 0x7f
	v_cmp_ne_u32_e32 vcc, s11, v26
	v_mov_b32_e32 v29, 0x7f80
	s_and_saveexec_b64 s[20:21], vcc
	s_cbranch_execz .LBB715_368
; %bb.367:
	v_and_b32_e32 v29, 7, v22
	v_ffbh_u32_e32 v30, v29
	v_min_u32_e32 v33, 32, v30
	v_subrev_u32_e32 v30, 28, v33
	v_lshlrev_b64 v[30:31], v30, v[22:23]
	v_and_b32_e32 v30, 7, v30
	v_cmp_gt_u32_e32 vcc, 8, v26
	v_lshrrev_b32_e32 v32, 3, v26
	v_sub_u32_e32 v22, 29, v33
	v_cndmask_b32_e32 v26, v29, v30, vcc
	v_mov_b32_e32 v29, 24
	v_cndmask_b32_e32 v22, v32, v22, vcc
	v_lshlrev_b32_sdwa v29, v29, v24 dst_sel:DWORD dst_unused:UNUSED_PAD src0_sel:DWORD src1_sel:WORD_1
	v_bfrev_b32_e32 v30, 60
	v_lshlrev_b32_e32 v26, 20, v26
	v_and_b32_e32 v29, 0x80000000, v29
	v_lshl_add_u32 v22, v22, 23, v30
	v_or3_b32 v22, v29, v22, v26
	v_lshrrev_b32_e32 v29, 16, v22
.LBB715_368:
	s_or_b64 exec, exec, s[20:21]
.LBB715_369:
	s_or_b64 exec, exec, s[8:9]
.LBB715_370:
	s_or_b64 exec, exec, s[2:3]
	s_mov_b32 s2, 0xffffff
	v_cmp_lt_u32_e32 vcc, s2, v24
	v_mov_b32_e32 v30, 0
	s_and_saveexec_b64 s[2:3], vcc
	s_cbranch_execz .LBB715_376
; %bb.371:
	v_lshrrev_b32_e32 v22, 24, v24
	s_movk_i32 s8, 0x80
	v_cmp_ne_u32_e32 vcc, s8, v22
	v_mov_b32_e32 v30, 0xffff8000
	s_and_saveexec_b64 s[8:9], vcc
	s_cbranch_execz .LBB715_375
; %bb.372:
	v_bfe_u32 v26, v24, 24, 7
	s_movk_i32 s11, 0x7f
	v_cmp_ne_u32_e32 vcc, s11, v26
	v_mov_b32_e32 v30, 0x7f80
	s_and_saveexec_b64 s[20:21], vcc
	s_cbranch_execz .LBB715_374
; %bb.373:
	v_and_b32_e32 v32, 7, v22
	v_ffbh_u32_e32 v30, v32
	v_min_u32_e32 v34, 32, v30
	v_subrev_u32_e32 v30, 28, v34
	v_lshlrev_b64 v[30:31], v30, v[22:23]
	v_lshrrev_b32_e32 v33, 3, v26
	v_sub_u32_e32 v31, 29, v34
	v_and_b32_e32 v30, 7, v30
	v_cmp_gt_u32_e32 vcc, 8, v26
	v_cndmask_b32_e32 v26, v33, v31, vcc
	v_cndmask_b32_e32 v30, v32, v30, vcc
	v_lshlrev_b32_e32 v22, 24, v22
	v_bfrev_b32_e32 v31, 60
	v_lshlrev_b32_e32 v30, 20, v30
	v_and_b32_e32 v22, 0x80000000, v22
	v_lshl_add_u32 v26, v26, 23, v31
	v_or3_b32 v22, v22, v26, v30
	v_lshrrev_b32_e32 v30, 16, v22
.LBB715_374:
	s_or_b64 exec, exec, s[20:21]
.LBB715_375:
	s_or_b64 exec, exec, s[8:9]
.LBB715_376:
	s_or_b64 exec, exec, s[2:3]
	v_mov_b32_e32 v31, 0
	v_mov_b32_e32 v22, v25
	v_cmp_ne_u16_sdwa s[8:9], v25, v31 src0_sel:BYTE_0 src1_sel:DWORD
	v_mov_b32_e32 v32, 0
	s_and_saveexec_b64 s[2:3], s[8:9]
	s_cbranch_execz .LBB715_382
; %bb.377:
	s_movk_i32 s8, 0x80
	v_cmp_ne_u16_sdwa s[20:21], v25, s8 src0_sel:BYTE_0 src1_sel:DWORD
	v_mov_b32_e32 v32, 0xffff8000
	s_and_saveexec_b64 s[8:9], s[20:21]
	s_cbranch_execz .LBB715_381
; %bb.378:
	s_movk_i32 s11, 0x7f
	v_and_b32_e32 v26, 0x7f, v25
	v_cmp_ne_u32_e32 vcc, s11, v26
	v_mov_b32_e32 v32, 0x7f80
	s_and_saveexec_b64 s[20:21], vcc
	s_cbranch_execz .LBB715_380
; %bb.379:
	v_and_b32_e32 v32, 7, v25
	v_ffbh_u32_e32 v32, v32
	v_min_u32_e32 v32, 32, v32
	v_lshrrev_b32_e32 v33, 3, v26
	v_subrev_u32_e32 v34, 28, v32
	v_sub_u32_e32 v32, 29, v32
	v_cmp_gt_u32_e32 vcc, 8, v26
	v_cndmask_b32_e32 v26, v33, v32, vcc
	v_cndmask_b32_e32 v32, 0, v34, vcc
	v_lshlrev_b64 v[32:33], v32, v[22:23]
	v_lshlrev_b32_e32 v23, 20, v32
	v_lshlrev_b32_e32 v32, 24, v22
	v_bfrev_b32_e32 v33, 60
	v_and_b32_e32 v23, 0x700000, v23
	v_and_b32_e32 v32, 0x80000000, v32
	v_lshl_add_u32 v26, v26, 23, v33
	v_or3_b32 v23, v32, v26, v23
	v_lshrrev_b32_e32 v32, 16, v23
.LBB715_380:
	s_or_b64 exec, exec, s[20:21]
.LBB715_381:
	s_or_b64 exec, exec, s[8:9]
.LBB715_382:
	s_or_b64 exec, exec, s[2:3]
	v_lshrrev_b16_e32 v26, 8, v22
	v_cmp_ne_u16_e32 vcc, 0, v26
	s_and_saveexec_b64 s[2:3], vcc
	s_cbranch_execz .LBB715_388
; %bb.383:
	s_movk_i32 s8, 0x80
	v_cmp_ne_u16_e32 vcc, s8, v26
	v_mov_b32_e32 v31, 0xffff8000
	s_and_saveexec_b64 s[8:9], vcc
	s_cbranch_execz .LBB715_387
; %bb.384:
	s_movk_i32 s11, 0x7f
	v_and_b32_e32 v23, 0x7f, v26
	v_cmp_ne_u32_e32 vcc, s11, v23
	v_mov_b32_e32 v31, 0x7f80
	s_and_saveexec_b64 s[20:21], vcc
	s_cbranch_execz .LBB715_386
; %bb.385:
	v_and_b32_e32 v31, 7, v26
	v_ffbh_u32_e32 v34, v31
	v_min_u32_e32 v36, 32, v34
	v_subrev_u32_e32 v34, 28, v36
	v_lshlrev_b64 v[34:35], v34, v[26:27]
	v_lshrrev_b32_e32 v33, 3, v23
	v_sub_u32_e32 v26, 29, v36
	v_and_b32_e32 v34, 7, v34
	v_cmp_gt_u32_e32 vcc, 8, v23
	v_cndmask_b32_e32 v23, v33, v26, vcc
	v_cndmask_b32_e32 v26, v31, v34, vcc
	v_lshlrev_b32_e32 v22, 16, v22
	v_bfrev_b32_e32 v31, 60
	v_lshlrev_b32_e32 v26, 20, v26
	v_and_b32_e32 v22, 0x80000000, v22
	v_lshl_add_u32 v23, v23, 23, v31
	v_or3_b32 v22, v22, v23, v26
	v_lshrrev_b32_e32 v31, 16, v22
.LBB715_386:
	s_or_b64 exec, exec, s[20:21]
.LBB715_387:
	s_or_b64 exec, exec, s[8:9]
.LBB715_388:
	s_or_b64 exec, exec, s[2:3]
	s_movk_i32 s2, 0xff
	v_and_b32_sdwa v33, v25, s2 dst_sel:DWORD dst_unused:UNUSED_PAD src0_sel:WORD_1 src1_sel:DWORD
	v_lshrrev_b32_e32 v22, 16, v25
	v_cmp_ne_u16_e32 vcc, 0, v33
	v_mov_b32_e32 v23, 0
	v_mov_b32_e32 v26, 0
	s_and_saveexec_b64 s[2:3], vcc
	s_cbranch_execz .LBB715_394
; %bb.389:
	s_movk_i32 s8, 0x80
	v_cmp_ne_u16_e32 vcc, s8, v33
	v_mov_b32_e32 v26, 0xffff8000
	s_and_saveexec_b64 s[8:9], vcc
	s_cbranch_execz .LBB715_393
; %bb.390:
	v_bfe_u32 v33, v25, 16, 7
	s_movk_i32 s11, 0x7f
	v_cmp_ne_u32_e32 vcc, s11, v33
	v_mov_b32_e32 v26, 0x7f80
	s_and_saveexec_b64 s[20:21], vcc
	s_cbranch_execz .LBB715_392
; %bb.391:
	v_and_b32_e32 v26, 7, v22
	v_ffbh_u32_e32 v34, v26
	v_min_u32_e32 v37, 32, v34
	v_subrev_u32_e32 v34, 28, v37
	v_lshlrev_b64 v[34:35], v34, v[22:23]
	v_lshrrev_b32_e32 v36, 3, v33
	v_sub_u32_e32 v22, 29, v37
	v_and_b32_e32 v34, 7, v34
	v_cmp_gt_u32_e32 vcc, 8, v33
	v_mov_b32_e32 v33, 24
	v_cndmask_b32_e32 v22, v36, v22, vcc
	v_cndmask_b32_e32 v26, v26, v34, vcc
	v_lshlrev_b32_sdwa v33, v33, v25 dst_sel:DWORD dst_unused:UNUSED_PAD src0_sel:DWORD src1_sel:WORD_1
	v_bfrev_b32_e32 v34, 60
	v_lshlrev_b32_e32 v26, 20, v26
	v_and_b32_e32 v33, 0x80000000, v33
	v_lshl_add_u32 v22, v22, 23, v34
	v_or3_b32 v22, v33, v22, v26
	v_lshrrev_b32_e32 v26, 16, v22
.LBB715_392:
	s_or_b64 exec, exec, s[20:21]
.LBB715_393:
	s_or_b64 exec, exec, s[8:9]
.LBB715_394:
	s_or_b64 exec, exec, s[2:3]
	s_mov_b32 s2, -1
	s_mov_b32 s3, 0xffffff
	v_cmp_lt_u64_e32 vcc, s[2:3], v[24:25]
	s_and_saveexec_b64 s[2:3], vcc
	s_cbranch_execz .LBB715_400
; %bb.395:
	v_lshrrev_b32_e32 v22, 24, v25
	s_movk_i32 s8, 0x80
	v_cmp_ne_u32_e32 vcc, s8, v22
	v_mov_b32_e32 v23, 0xffff8000
	s_and_saveexec_b64 s[8:9], vcc
	s_cbranch_execz .LBB715_399
; %bb.396:
	v_bfe_u32 v24, v25, 24, 7
	s_movk_i32 s11, 0x7f
	v_cmp_ne_u32_e32 vcc, s11, v24
	v_mov_b32_e32 v23, 0x7f80
	s_and_saveexec_b64 s[20:21], vcc
	s_cbranch_execz .LBB715_398
; %bb.397:
	v_and_b32_e32 v23, 7, v22
	v_ffbh_u32_e32 v33, v23
	v_min_u32_e32 v33, 32, v33
	v_subrev_u32_e32 v34, 28, v33
	v_lshlrev_b64 v[34:35], v34, v[22:23]
	v_lshrrev_b32_e32 v25, 3, v24
	v_sub_u32_e32 v33, 29, v33
	v_and_b32_e32 v34, 7, v34
	v_cmp_gt_u32_e32 vcc, 8, v24
	v_cndmask_b32_e32 v24, v25, v33, vcc
	v_cndmask_b32_e32 v23, v23, v34, vcc
	v_lshlrev_b32_e32 v22, 24, v22
	v_bfrev_b32_e32 v25, 60
	v_lshlrev_b32_e32 v23, 20, v23
	v_and_b32_e32 v22, 0x80000000, v22
	v_lshl_add_u32 v24, v24, 23, v25
	v_or3_b32 v22, v22, v24, v23
	v_lshrrev_b32_e32 v23, 16, v22
.LBB715_398:
	s_or_b64 exec, exec, s[20:21]
.LBB715_399:
	s_or_b64 exec, exec, s[8:9]
.LBB715_400:
	s_or_b64 exec, exec, s[2:3]
	s_mov_b32 s3, 0x5040100
	s_load_dword s2, s[4:5], 0x1c
	v_perm_b32 v25, v30, v29, s3
	v_perm_b32 v24, v27, v28, s3
	;; [unrolled: 1-line block ×4, first 2 shown]
	v_mfma_f32_4x4x4bf16_1k a[0:3], v[18:19], v[24:25], a[0:3] cbsz:4 abid:7
	s_load_dword s3, s[12:13], 0x0
	v_mfma_f32_4x4x4bf16_1k a[0:3], v[20:21], v[22:23], a[0:3] cbsz:4 abid:7
	s_waitcnt lgkmcnt(0)
	v_mov_b32_e32 v18, s2
	v_cmp_eq_u32_e32 vcc, 0, v43
	v_mov_b32_e32 v25, 0xff7fffff
	v_mul_f32_e32 v20, s3, v18
	v_accvgpr_read_b32 v23, a1
	v_accvgpr_read_b32 v22, a0
	v_pk_mul_f32 v[22:23], v[22:23], v[20:21] op_sel_hi:[1,0]
	v_accvgpr_read_b32 v19, a3
	v_accvgpr_read_b32 v18, a2
	v_pk_mul_f32 v[18:19], v[18:19], v[20:21] op_sel_hi:[1,0]
	v_cndmask_b32_e64 v20, 0, 1.0, vcc
	v_cmp_eq_u32_e32 vcc, 1, v43
	s_nop 0
	v_mfma_f32_4x4x1f32 a[0:3], v22, v20, 0
	v_cndmask_b32_e64 v20, 0, 1.0, vcc
	v_cmp_eq_u32_e32 vcc, 2, v43
	s_nop 0
	v_mfma_f32_4x4x1f32 a[0:3], v23, v20, a[0:3]
	;; [unrolled: 4-line block ×3, first 2 shown]
	v_cndmask_b32_e64 v18, 0, 1.0, vcc
	s_nop 1
	v_mfma_f32_4x4x1f32 a[0:3], v19, v18, a[0:3]
	v_and_b32_e32 v18, -4, v44
	v_subrev_u32_e32 v19, s7, v18
	v_add_u32_e32 v20, 1, v19
	v_cvt_f32_i32_e32 v20, v20
	v_add_u32_e32 v21, 2, v19
	v_cvt_f32_i32_e32 v21, v21
	v_accvgpr_read_b32 v22, a0
	v_fma_f32 v20, v45, v20, v22
	v_accvgpr_read_b32 v22, a1
	v_fma_f32 v21, v45, v21, v22
	v_add_u32_e32 v22, 3, v19
	v_cvt_f32_i32_e32 v22, v22
	v_add_u32_e32 v19, 4, v19
	v_max_f32_e32 v24, 0xff7fffff, v20
	v_cmp_gt_i32_e32 vcc, s7, v18
	v_cvt_f32_i32_e32 v19, v19
	v_cndmask_b32_e32 v24, v25, v24, vcc
	v_or_b32_e32 v25, 1, v18
	v_accvgpr_read_b32 v23, a2
	v_max_f32_e32 v26, v24, v21
	v_cmp_gt_i32_e64 s[2:3], s7, v25
	v_fma_f32 v22, v45, v22, v23
	v_cndmask_b32_e64 v24, v24, v26, s[2:3]
	v_or_b32_e32 v18, 2, v18
	v_accvgpr_read_b32 v23, a3
	v_max_f32_e32 v25, v24, v22
	v_cmp_gt_i32_e64 s[4:5], s7, v18
	v_fmac_f32_e32 v23, v45, v19
	v_cndmask_b32_e64 v18, v24, v25, s[4:5]
	v_or_b32_e32 v24, 3, v44
	v_max_f32_e32 v25, v18, v23
	v_cmp_gt_i32_e64 s[8:9], s7, v24
	v_lshlrev_b32_e32 v19, 2, v0
	v_cndmask_b32_e64 v18, v18, v25, s[8:9]
	v_and_or_b32 v19, v19, 48, v43
	;;#ASMSTART
	v_nop
 v_nop
 v_max_f32_dpp v18, v18, v18 row_ror:4
	;;#ASMEND
	v_lshlrev_b32_e32 v24, 2, v19
	;;#ASMSTART
	v_nop
 v_nop
 v_max_f32_dpp v18, v18, v18 row_ror:8
	;;#ASMEND
	ds_bpermute_b32 v18, v24, v18
	s_waitcnt lgkmcnt(0)
	;;#ASMSTART
	v_nop
 v_nop
 v_max_f32_dpp v18, v18, v18 row_ror:4
	;;#ASMEND
	;;#ASMSTART
	v_nop
 v_nop
 v_max_f32_dpp v25, v18, v18 row_ror:8
	;;#ASMEND
	v_sub_f32_e32 v18, v20, v25
	v_mul_f32_e32 v18, 0x3fb8aa3b, v18
	v_sub_f32_e32 v19, v21, v25
	v_exp_f32_e32 v18, v18
	v_mul_f32_e32 v19, 0x3fb8aa3b, v19
	v_sub_f32_e32 v21, v22, v25
	v_exp_f32_e32 v19, v19
	;; [unrolled: 3-line block ×3, first 2 shown]
	v_mul_f32_e32 v22, 0x3fb8aa3b, v22
	v_exp_f32_e32 v22, v22
	v_cndmask_b32_e32 v18, 0, v18, vcc
	v_add_f32_e32 v20, 0, v18
	v_cndmask_b32_e64 v19, 0, v19, s[2:3]
	v_add_f32_e32 v23, v20, v19
	v_cndmask_b32_e64 v20, 0, v21, s[4:5]
	;; [unrolled: 2-line block ×3, first 2 shown]
	v_add_f32_e32 v22, v23, v21
	;;#ASMSTART
	v_nop
 v_nop
 v_add_f32_dpp v22, v22, v22 row_ror:4
	;;#ASMEND
	;;#ASMSTART
	v_nop
 v_nop
 v_add_f32_dpp v22, v22, v22 row_ror:8
	;;#ASMEND
	ds_bpermute_b32 v22, v24, v22
	s_waitcnt lgkmcnt(0)
	;;#ASMSTART
	v_nop
 v_nop
 v_add_f32_dpp v22, v22, v22 row_ror:4
	;;#ASMEND
	v_cmp_gt_u32_e32 vcc, 4, v42
	;;#ASMSTART
	v_nop
 v_nop
 v_add_f32_dpp v22, v22, v22 row_ror:8
	;;#ASMEND
	s_and_saveexec_b64 s[2:3], vcc
	s_cbranch_execz .LBB715_402
; %bb.401:
	v_mul_u32_u24_e32 v23, 20, v1
	v_lshl_add_u32 v23, v43, 2, v23
	v_add_u32_e32 v23, 0x800, v23
	ds_write2_b32 v23, v25, v22 offset0:128 offset1:148
.LBB715_402:
	s_or_b64 exec, exec, s[2:3]
.LBB715_403:
	s_or_b64 exec, exec, s[28:29]
	s_waitcnt lgkmcnt(0)
	s_barrier
	s_load_dword s2, s[26:27], 0x8
	v_lshlrev_b32_e32 v22, 2, v43
	v_add_u32_e32 v24, 0x800, v22
	ds_read2_b32 v[22:23], v24 offset0:128 offset1:133
	ds_read2_b32 v[28:29], v24 offset0:138 offset1:143
	s_mul_i32 s3, s6, s38
	s_waitcnt lgkmcnt(0)
	s_mul_i32 s3, s3, s2
	s_lshl_b32 s2, s3, 1
	s_mov_b32 s3, 0xff7fffff
	v_max3_f32 v26, v22, s3, v23
	v_max3_f32 v26, v26, v28, v29
	v_sub_f32_e32 v22, v22, v26
	v_mul_f32_e32 v22, 0x3fb8aa3b, v22
	v_exp_f32_e32 v27, v22
	v_sub_f32_e32 v22, v23, v26
	ds_read2_b32 v[30:31], v24 offset0:148 offset1:153
	v_mul_f32_e32 v22, 0x3fb8aa3b, v22
	v_exp_f32_e32 v32, v22
	ds_read2_b32 v[22:23], v24 offset0:158 offset1:163
	v_sub_f32_e32 v24, v28, v26
	v_mul_f32_e32 v24, 0x3fb8aa3b, v24
	v_sub_f32_e32 v28, v29, v26
	v_exp_f32_e32 v24, v24
	v_mul_f32_e32 v28, 0x3fb8aa3b, v28
	v_exp_f32_e32 v28, v28
	s_waitcnt lgkmcnt(1)
	v_fma_f32 v27, v27, v30, 0
	v_fmac_f32_e32 v27, v32, v31
	s_waitcnt lgkmcnt(0)
	v_fmac_f32_e32 v27, v24, v22
	v_fmac_f32_e32 v27, v28, v23
	v_cmp_gt_u32_e32 vcc, 2, v43
	s_and_saveexec_b64 s[4:5], vcc
	s_cbranch_execz .LBB715_405
; %bb.404:
	s_mov_b32 s3, 0
	s_lshl_b64 s[6:7], s[2:3], 2
	s_add_u32 s12, s16, s6
	s_mov_b32 s11, s3
	s_addc_u32 s13, s17, s7
	s_lshl_b64 s[8:9], s[10:11], 2
	s_add_u32 s3, s12, s8
	s_addc_u32 s11, s13, s9
	v_or_b32_e32 v22, s33, v43
	s_add_u32 s6, s18, s6
	v_mul_lo_u32 v22, s38, v22
	v_mov_b32_e32 v23, 0
	s_addc_u32 s7, s19, s7
	v_lshlrev_b64 v[22:23], 2, v[22:23]
	s_add_u32 s6, s6, s8
	v_mov_b32_e32 v24, s11
	v_add_co_u32_e32 v28, vcc, s3, v22
	s_addc_u32 s7, s7, s9
	v_addc_co_u32_e32 v29, vcc, v24, v23, vcc
	v_mov_b32_e32 v24, s7
	v_add_co_u32_e32 v22, vcc, s6, v22
	v_addc_co_u32_e32 v23, vcc, v24, v23, vcc
	global_store_dword v[22:23], v26, off
	global_store_dword v[28:29], v27, off
.LBB715_405:
	s_or_b64 exec, exec, s[4:5]
	v_mov_b32_e32 v23, 0
	v_mov_b32_e32 v22, 0
	s_and_saveexec_b64 s[4:5], s[0:1]
	s_cbranch_execz .LBB715_791
; %bb.406:
	v_mov_b32_e32 v28, 0
	s_waitcnt vmcnt(2)
	v_cmp_ne_u16_sdwa s[6:7], v14, v28 src0_sel:BYTE_0 src1_sel:DWORD
	v_mov_b32_e32 v29, 0
	s_and_saveexec_b64 s[0:1], s[6:7]
	s_cbranch_execz .LBB715_412
; %bb.407:
	s_movk_i32 s3, 0x80
	v_cmp_ne_u16_sdwa s[8:9], v14, s3 src0_sel:BYTE_0 src1_sel:DWORD
	v_mov_b32_e32 v29, 0xffff8000
	s_and_saveexec_b64 s[6:7], s[8:9]
	s_cbranch_execz .LBB715_411
; %bb.408:
	s_movk_i32 s3, 0x7f
	v_and_b32_e32 v22, 0x7f, v14
	v_cmp_ne_u32_e32 vcc, s3, v22
	v_mov_b32_e32 v29, 0x7f80
	s_and_saveexec_b64 s[8:9], vcc
	s_cbranch_execz .LBB715_410
; %bb.409:
	v_and_b32_e32 v23, 7, v14
	v_ffbh_u32_e32 v23, v23
	v_min_u32_e32 v23, 32, v23
	v_subrev_u32_e32 v29, 28, v23
	v_cmp_gt_u32_e32 vcc, 8, v22
	v_lshrrev_b32_e32 v24, 3, v22
	v_sub_u32_e32 v23, 29, v23
	v_cndmask_b32_e32 v22, 0, v29, vcc
	v_cndmask_b32_e32 v24, v24, v23, vcc
	v_lshlrev_b64 v[22:23], v22, v[14:15]
	v_lshlrev_b32_e32 v22, 20, v22
	v_lshlrev_b32_e32 v23, 24, v14
	v_bfrev_b32_e32 v29, 60
	v_and_b32_e32 v22, 0x700000, v22
	v_and_b32_e32 v23, 0x80000000, v23
	v_lshl_add_u32 v24, v24, 23, v29
	v_or3_b32 v22, v23, v24, v22
	v_lshrrev_b32_e32 v29, 16, v22
.LBB715_410:
	s_or_b64 exec, exec, s[8:9]
.LBB715_411:
	s_or_b64 exec, exec, s[6:7]
.LBB715_412:
	s_or_b64 exec, exec, s[0:1]
	v_lshrrev_b16_e32 v22, 8, v14
	v_cmp_ne_u16_e32 vcc, 0, v22
	s_and_saveexec_b64 s[0:1], vcc
	s_cbranch_execz .LBB715_418
; %bb.413:
	s_movk_i32 s3, 0x80
	v_cmp_ne_u16_e32 vcc, s3, v22
	v_mov_b32_e32 v28, 0xffff8000
	s_and_saveexec_b64 s[6:7], vcc
	s_cbranch_execz .LBB715_417
; %bb.414:
	s_movk_i32 s3, 0x7f
	v_and_b32_e32 v23, 0x7f, v22
	v_cmp_ne_u32_e32 vcc, s3, v23
	v_mov_b32_e32 v28, 0x7f80
	s_and_saveexec_b64 s[8:9], vcc
	s_cbranch_execz .LBB715_416
; %bb.415:
	v_and_b32_e32 v24, 7, v22
	v_ffbh_u32_e32 v30, v24
	v_min_u32_e32 v32, 32, v30
	v_subrev_u32_e32 v30, 28, v32
	v_lshlrev_b64 v[30:31], v30, v[22:23]
	v_lshrrev_b32_e32 v28, 3, v23
	v_sub_u32_e32 v22, 29, v32
	v_and_b32_e32 v30, 7, v30
	v_cmp_gt_u32_e32 vcc, 8, v23
	v_cndmask_b32_e32 v22, v28, v22, vcc
	v_cndmask_b32_e32 v23, v24, v30, vcc
	v_lshlrev_b32_e32 v24, 16, v14
	v_bfrev_b32_e32 v28, 60
	v_lshlrev_b32_e32 v23, 20, v23
	v_and_b32_e32 v24, 0x80000000, v24
	v_lshl_add_u32 v22, v22, 23, v28
	v_or3_b32 v22, v24, v22, v23
	v_lshrrev_b32_e32 v28, 16, v22
.LBB715_416:
	s_or_b64 exec, exec, s[8:9]
.LBB715_417:
	s_or_b64 exec, exec, s[6:7]
.LBB715_418:
	s_or_b64 exec, exec, s[0:1]
	s_movk_i32 s0, 0xff
	v_and_b32_sdwa v24, v14, s0 dst_sel:DWORD dst_unused:UNUSED_PAD src0_sel:WORD_1 src1_sel:DWORD
	v_lshrrev_b32_e32 v22, 16, v14
	v_cmp_ne_u16_e32 vcc, 0, v24
	v_mov_b32_e32 v23, 0
	v_mov_b32_e32 v30, 0
	s_and_saveexec_b64 s[0:1], vcc
	s_cbranch_execz .LBB715_424
; %bb.419:
	s_movk_i32 s3, 0x80
	v_cmp_ne_u16_e32 vcc, s3, v24
	v_mov_b32_e32 v30, 0xffff8000
	s_and_saveexec_b64 s[6:7], vcc
	s_cbranch_execz .LBB715_423
; %bb.420:
	v_bfe_u32 v24, v14, 16, 7
	s_movk_i32 s3, 0x7f
	v_cmp_ne_u32_e32 vcc, s3, v24
	v_mov_b32_e32 v30, 0x7f80
	s_and_saveexec_b64 s[8:9], vcc
	s_cbranch_execz .LBB715_422
; %bb.421:
	v_and_b32_e32 v32, 7, v22
	v_ffbh_u32_e32 v30, v32
	v_min_u32_e32 v34, 32, v30
	v_subrev_u32_e32 v30, 28, v34
	v_lshlrev_b64 v[30:31], v30, v[22:23]
	v_and_b32_e32 v30, 7, v30
	v_cmp_gt_u32_e32 vcc, 8, v24
	v_lshrrev_b32_e32 v33, 3, v24
	v_sub_u32_e32 v22, 29, v34
	v_cndmask_b32_e32 v24, v32, v30, vcc
	v_mov_b32_e32 v30, 24
	v_cndmask_b32_e32 v22, v33, v22, vcc
	v_lshlrev_b32_sdwa v30, v30, v14 dst_sel:DWORD dst_unused:UNUSED_PAD src0_sel:DWORD src1_sel:WORD_1
	v_bfrev_b32_e32 v31, 60
	v_lshlrev_b32_e32 v24, 20, v24
	v_and_b32_e32 v30, 0x80000000, v30
	v_lshl_add_u32 v22, v22, 23, v31
	v_or3_b32 v22, v30, v22, v24
	v_lshrrev_b32_e32 v30, 16, v22
.LBB715_422:
	s_or_b64 exec, exec, s[8:9]
.LBB715_423:
	s_or_b64 exec, exec, s[6:7]
.LBB715_424:
	s_or_b64 exec, exec, s[0:1]
	s_mov_b32 s0, 0xffffff
	v_cmp_lt_u32_e32 vcc, s0, v14
	v_mov_b32_e32 v31, 0
	s_and_saveexec_b64 s[0:1], vcc
	s_cbranch_execz .LBB715_430
; %bb.425:
	v_lshrrev_b32_e32 v22, 24, v14
	s_movk_i32 s3, 0x80
	v_cmp_ne_u32_e32 vcc, s3, v22
	v_mov_b32_e32 v31, 0xffff8000
	s_and_saveexec_b64 s[6:7], vcc
	s_cbranch_execz .LBB715_429
; %bb.426:
	v_bfe_u32 v24, v14, 24, 7
	s_movk_i32 s3, 0x7f
	v_cmp_ne_u32_e32 vcc, s3, v24
	v_mov_b32_e32 v31, 0x7f80
	s_and_saveexec_b64 s[8:9], vcc
	s_cbranch_execz .LBB715_428
; %bb.427:
	v_and_b32_e32 v31, 7, v22
	v_ffbh_u32_e32 v32, v31
	v_min_u32_e32 v35, 32, v32
	v_subrev_u32_e32 v32, 28, v35
	v_lshlrev_b64 v[32:33], v32, v[22:23]
	v_lshrrev_b32_e32 v34, 3, v24
	v_sub_u32_e32 v33, 29, v35
	v_and_b32_e32 v32, 7, v32
	v_cmp_gt_u32_e32 vcc, 8, v24
	v_cndmask_b32_e32 v24, v34, v33, vcc
	v_cndmask_b32_e32 v31, v31, v32, vcc
	v_lshlrev_b32_e32 v22, 24, v22
	v_bfrev_b32_e32 v32, 60
	v_lshlrev_b32_e32 v31, 20, v31
	v_and_b32_e32 v22, 0x80000000, v22
	v_lshl_add_u32 v24, v24, 23, v32
	v_or3_b32 v22, v22, v24, v31
	v_lshrrev_b32_e32 v31, 16, v22
.LBB715_428:
	s_or_b64 exec, exec, s[8:9]
.LBB715_429:
	s_or_b64 exec, exec, s[6:7]
.LBB715_430:
	s_or_b64 exec, exec, s[0:1]
	v_mov_b32_e32 v32, 0
	v_mov_b32_e32 v22, v15
	v_cmp_ne_u16_sdwa s[6:7], v15, v32 src0_sel:BYTE_0 src1_sel:DWORD
	v_mov_b32_e32 v33, 0
	s_and_saveexec_b64 s[0:1], s[6:7]
	s_cbranch_execz .LBB715_436
; %bb.431:
	s_movk_i32 s3, 0x80
	v_cmp_ne_u16_sdwa s[8:9], v15, s3 src0_sel:BYTE_0 src1_sel:DWORD
	v_mov_b32_e32 v33, 0xffff8000
	s_and_saveexec_b64 s[6:7], s[8:9]
	s_cbranch_execz .LBB715_435
; %bb.432:
	s_movk_i32 s3, 0x7f
	v_and_b32_e32 v24, 0x7f, v15
	v_cmp_ne_u32_e32 vcc, s3, v24
	v_mov_b32_e32 v33, 0x7f80
	s_and_saveexec_b64 s[8:9], vcc
	s_cbranch_execz .LBB715_434
; %bb.433:
	v_and_b32_e32 v33, 7, v15
	v_ffbh_u32_e32 v33, v33
	v_min_u32_e32 v33, 32, v33
	v_lshrrev_b32_e32 v34, 3, v24
	v_subrev_u32_e32 v35, 28, v33
	v_sub_u32_e32 v33, 29, v33
	v_cmp_gt_u32_e32 vcc, 8, v24
	v_cndmask_b32_e32 v24, v34, v33, vcc
	v_cndmask_b32_e32 v33, 0, v35, vcc
	v_lshlrev_b64 v[34:35], v33, v[22:23]
	v_lshlrev_b32_e32 v23, 20, v34
	v_lshlrev_b32_e32 v33, 24, v22
	v_bfrev_b32_e32 v34, 60
	v_and_b32_e32 v23, 0x700000, v23
	v_and_b32_e32 v33, 0x80000000, v33
	v_lshl_add_u32 v24, v24, 23, v34
	v_or3_b32 v23, v33, v24, v23
	v_lshrrev_b32_e32 v33, 16, v23
.LBB715_434:
	s_or_b64 exec, exec, s[8:9]
.LBB715_435:
	s_or_b64 exec, exec, s[6:7]
.LBB715_436:
	s_or_b64 exec, exec, s[0:1]
	v_lshrrev_b16_e32 v24, 8, v22
	v_cmp_ne_u16_e32 vcc, 0, v24
	s_and_saveexec_b64 s[0:1], vcc
	s_cbranch_execz .LBB715_442
; %bb.437:
	s_movk_i32 s3, 0x80
	v_cmp_ne_u16_e32 vcc, s3, v24
	v_mov_b32_e32 v32, 0xffff8000
	s_and_saveexec_b64 s[6:7], vcc
	s_cbranch_execz .LBB715_441
; %bb.438:
	s_movk_i32 s3, 0x7f
	v_and_b32_e32 v23, 0x7f, v24
	v_cmp_ne_u32_e32 vcc, s3, v23
	v_mov_b32_e32 v32, 0x7f80
	s_and_saveexec_b64 s[8:9], vcc
	s_cbranch_execz .LBB715_440
; %bb.439:
	v_and_b32_e32 v32, 7, v24
	v_ffbh_u32_e32 v34, v32
	v_min_u32_e32 v37, 32, v34
	v_subrev_u32_e32 v34, 28, v37
	v_lshlrev_b64 v[34:35], v34, v[24:25]
	v_lshrrev_b32_e32 v36, 3, v23
	v_sub_u32_e32 v24, 29, v37
	v_and_b32_e32 v34, 7, v34
	v_cmp_gt_u32_e32 vcc, 8, v23
	v_cndmask_b32_e32 v23, v36, v24, vcc
	v_cndmask_b32_e32 v24, v32, v34, vcc
	v_lshlrev_b32_e32 v22, 16, v22
	v_bfrev_b32_e32 v32, 60
	v_lshlrev_b32_e32 v24, 20, v24
	v_and_b32_e32 v22, 0x80000000, v22
	v_lshl_add_u32 v23, v23, 23, v32
	v_or3_b32 v22, v22, v23, v24
	v_lshrrev_b32_e32 v32, 16, v22
.LBB715_440:
	s_or_b64 exec, exec, s[8:9]
.LBB715_441:
	s_or_b64 exec, exec, s[6:7]
.LBB715_442:
	s_or_b64 exec, exec, s[0:1]
	s_movk_i32 s0, 0xff
	v_and_b32_sdwa v34, v15, s0 dst_sel:DWORD dst_unused:UNUSED_PAD src0_sel:WORD_1 src1_sel:DWORD
	v_lshrrev_b32_e32 v22, 16, v15
	v_cmp_ne_u16_e32 vcc, 0, v34
	v_mov_b32_e32 v23, 0
	v_mov_b32_e32 v24, 0
	s_and_saveexec_b64 s[0:1], vcc
	s_cbranch_execz .LBB715_448
; %bb.443:
	s_movk_i32 s3, 0x80
	v_cmp_ne_u16_e32 vcc, s3, v34
	v_mov_b32_e32 v24, 0xffff8000
	s_and_saveexec_b64 s[6:7], vcc
	s_cbranch_execz .LBB715_447
; %bb.444:
	v_bfe_u32 v34, v15, 16, 7
	s_movk_i32 s3, 0x7f
	v_cmp_ne_u32_e32 vcc, s3, v34
	v_mov_b32_e32 v24, 0x7f80
	s_and_saveexec_b64 s[8:9], vcc
	s_cbranch_execz .LBB715_446
; %bb.445:
	v_and_b32_e32 v24, 7, v22
	v_ffbh_u32_e32 v36, v24
	v_min_u32_e32 v38, 32, v36
	v_subrev_u32_e32 v36, 28, v38
	v_lshlrev_b64 v[36:37], v36, v[22:23]
	v_lshrrev_b32_e32 v35, 3, v34
	v_sub_u32_e32 v22, 29, v38
	v_and_b32_e32 v36, 7, v36
	v_cmp_gt_u32_e32 vcc, 8, v34
	v_mov_b32_e32 v34, 24
	v_cndmask_b32_e32 v22, v35, v22, vcc
	v_cndmask_b32_e32 v24, v24, v36, vcc
	v_lshlrev_b32_sdwa v34, v34, v15 dst_sel:DWORD dst_unused:UNUSED_PAD src0_sel:DWORD src1_sel:WORD_1
	v_bfrev_b32_e32 v35, 60
	v_lshlrev_b32_e32 v24, 20, v24
	v_and_b32_e32 v34, 0x80000000, v34
	v_lshl_add_u32 v22, v22, 23, v35
	v_or3_b32 v22, v34, v22, v24
	v_lshrrev_b32_e32 v24, 16, v22
.LBB715_446:
	s_or_b64 exec, exec, s[8:9]
.LBB715_447:
	s_or_b64 exec, exec, s[6:7]
.LBB715_448:
	s_or_b64 exec, exec, s[0:1]
	s_mov_b32 s0, -1
	s_mov_b32 s1, 0xffffff
	v_cmp_lt_u64_e32 vcc, s[0:1], v[14:15]
	s_and_saveexec_b64 s[0:1], vcc
	s_cbranch_execz .LBB715_454
; %bb.449:
	v_lshrrev_b32_e32 v14, 24, v15
	s_movk_i32 s3, 0x80
	v_cmp_ne_u32_e32 vcc, s3, v14
	v_mov_b32_e32 v23, 0xffff8000
	s_and_saveexec_b64 s[6:7], vcc
	s_cbranch_execz .LBB715_453
; %bb.450:
	v_bfe_u32 v15, v15, 24, 7
	s_movk_i32 s3, 0x7f
	v_cmp_ne_u32_e32 vcc, s3, v15
	v_mov_b32_e32 v23, 0x7f80
	s_and_saveexec_b64 s[8:9], vcc
	s_cbranch_execz .LBB715_452
; %bb.451:
	v_and_b32_e32 v34, 7, v14
	v_ffbh_u32_e32 v22, v34
	v_min_u32_e32 v36, 32, v22
	v_subrev_u32_e32 v22, 28, v36
	v_lshlrev_b64 v[22:23], v22, v[14:15]
	v_lshrrev_b32_e32 v35, 3, v15
	v_sub_u32_e32 v23, 29, v36
	v_and_b32_e32 v22, 7, v22
	v_cmp_gt_u32_e32 vcc, 8, v15
	v_cndmask_b32_e32 v15, v35, v23, vcc
	v_cndmask_b32_e32 v22, v34, v22, vcc
	v_lshlrev_b32_e32 v14, 24, v14
	v_bfrev_b32_e32 v23, 60
	v_lshlrev_b32_e32 v22, 20, v22
	v_and_b32_e32 v14, 0x80000000, v14
	v_lshl_add_u32 v15, v15, 23, v23
	v_or3_b32 v14, v14, v15, v22
	v_lshrrev_b32_e32 v23, 16, v14
.LBB715_452:
	s_or_b64 exec, exec, s[8:9]
.LBB715_453:
	s_or_b64 exec, exec, s[6:7]
.LBB715_454:
	s_or_b64 exec, exec, s[0:1]
	v_add_f32_e32 v14, 0x358637bd, v27
	v_div_scale_f32 v15, s[0:1], v14, v14, 1.0
	v_rcp_f32_e32 v22, v15
	v_div_scale_f32 v27, vcc, 1.0, v14, 1.0
	v_sub_f32_e32 v25, v25, v26
	v_fma_f32 v34, -v15, v22, 1.0
	v_fmac_f32_e32 v22, v34, v22
	v_mul_f32_e32 v34, v27, v22
	v_fma_f32 v35, -v15, v34, v27
	v_mul_f32_e32 v25, 0x3fb8aa3b, v25
	v_fmac_f32_e32 v34, v35, v22
	v_exp_f32_e32 v25, v25
	v_fma_f32 v15, -v15, v34, v27
	v_div_fmas_f32 v15, v15, v22, v34
	v_div_fixup_f32 v14, v15, v14, 1.0
	v_mul_f32_e32 v14, v25, v14
	v_pk_mul_f32 v[20:21], v[20:21], v[14:15] op_sel_hi:[1,0]
	v_pk_mul_f32 v[14:15], v[18:19], v[14:15] op_sel_hi:[1,0]
	v_bfe_u32 v18, v15, 16, 1
	v_bfe_u32 v19, v14, 16, 1
	s_movk_i32 s0, 0x7fff
	v_add3_u32 v14, v14, v19, s0
	v_add3_u32 v15, v15, v18, s0
	s_mov_b32 s1, 0x7060302
	v_perm_b32 v14, v15, v14, s1
	v_bfe_u32 v15, v21, 16, 1
	v_bfe_u32 v18, v20, 16, 1
	v_add3_u32 v18, v20, v18, s0
	v_add3_u32 v15, v21, v15, s0
	v_perm_b32 v15, v15, v18, s1
	s_mov_b32 s0, 0x5040100
	v_perm_b32 v19, v31, v30, s0
	v_perm_b32 v18, v28, v29, s0
	;; [unrolled: 1-line block ×4, first 2 shown]
	v_mfma_f32_4x4x4bf16_1k a[0:3], v[14:15], v[18:19], 0 cbsz:4
	v_mov_b32_e32 v21, 0
	v_mfma_f32_4x4x4bf16_1k a[0:3], v[14:15], v[22:23], a[0:3] cbsz:4 abid:1
	v_mov_b32_e32 v22, 0
	v_cmp_ne_u16_sdwa s[6:7], v16, v22 src0_sel:BYTE_0 src1_sel:DWORD
	s_and_saveexec_b64 s[0:1], s[6:7]
	s_cbranch_execz .LBB715_460
; %bb.455:
	s_movk_i32 s3, 0x80
	v_cmp_ne_u16_sdwa s[8:9], v16, s3 src0_sel:BYTE_0 src1_sel:DWORD
	v_mov_b32_e32 v21, 0xffff8000
	s_and_saveexec_b64 s[6:7], s[8:9]
	s_cbranch_execz .LBB715_459
; %bb.456:
	s_movk_i32 s3, 0x7f
	v_and_b32_e32 v18, 0x7f, v16
	v_cmp_ne_u32_e32 vcc, s3, v18
	v_mov_b32_e32 v21, 0x7f80
	s_and_saveexec_b64 s[8:9], vcc
	s_cbranch_execz .LBB715_458
; %bb.457:
	v_and_b32_e32 v19, 7, v16
	v_ffbh_u32_e32 v19, v19
	v_min_u32_e32 v19, 32, v19
	v_subrev_u32_e32 v21, 28, v19
	v_cmp_gt_u32_e32 vcc, 8, v18
	v_lshrrev_b32_e32 v20, 3, v18
	v_sub_u32_e32 v19, 29, v19
	v_cndmask_b32_e32 v18, 0, v21, vcc
	v_cndmask_b32_e32 v20, v20, v19, vcc
	v_lshlrev_b64 v[18:19], v18, v[16:17]
	v_lshlrev_b32_e32 v18, 20, v18
	v_lshlrev_b32_e32 v19, 24, v16
	v_bfrev_b32_e32 v21, 60
	v_and_b32_e32 v18, 0x700000, v18
	v_and_b32_e32 v19, 0x80000000, v19
	v_lshl_add_u32 v20, v20, 23, v21
	v_or3_b32 v18, v19, v20, v18
	v_lshrrev_b32_e32 v21, 16, v18
.LBB715_458:
	s_or_b64 exec, exec, s[8:9]
.LBB715_459:
	s_or_b64 exec, exec, s[6:7]
.LBB715_460:
	s_or_b64 exec, exec, s[0:1]
	v_lshrrev_b16_e32 v18, 8, v16
	v_cmp_ne_u16_e32 vcc, 0, v18
	s_and_saveexec_b64 s[0:1], vcc
	s_cbranch_execz .LBB715_466
; %bb.461:
	s_movk_i32 s3, 0x80
	v_cmp_ne_u16_e32 vcc, s3, v18
	v_mov_b32_e32 v22, 0xffff8000
	s_and_saveexec_b64 s[6:7], vcc
	s_cbranch_execz .LBB715_465
; %bb.462:
	s_movk_i32 s3, 0x7f
	v_and_b32_e32 v19, 0x7f, v18
	v_cmp_ne_u32_e32 vcc, s3, v19
	v_mov_b32_e32 v22, 0x7f80
	s_and_saveexec_b64 s[8:9], vcc
	s_cbranch_execz .LBB715_464
; %bb.463:
	v_and_b32_e32 v20, 7, v18
	v_ffbh_u32_e32 v22, v20
	v_min_u32_e32 v25, 32, v22
	v_subrev_u32_e32 v22, 28, v25
	v_lshlrev_b64 v[22:23], v22, v[18:19]
	v_lshrrev_b32_e32 v24, 3, v19
	v_sub_u32_e32 v18, 29, v25
	v_and_b32_e32 v22, 7, v22
	v_cmp_gt_u32_e32 vcc, 8, v19
	v_cndmask_b32_e32 v18, v24, v18, vcc
	v_cndmask_b32_e32 v19, v20, v22, vcc
	v_lshlrev_b32_e32 v20, 16, v16
	v_bfrev_b32_e32 v22, 60
	v_lshlrev_b32_e32 v19, 20, v19
	v_and_b32_e32 v20, 0x80000000, v20
	v_lshl_add_u32 v18, v18, 23, v22
	v_or3_b32 v18, v20, v18, v19
	v_lshrrev_b32_e32 v22, 16, v18
.LBB715_464:
	s_or_b64 exec, exec, s[8:9]
.LBB715_465:
	s_or_b64 exec, exec, s[6:7]
.LBB715_466:
	s_or_b64 exec, exec, s[0:1]
	s_movk_i32 s0, 0xff
	v_and_b32_sdwa v20, v16, s0 dst_sel:DWORD dst_unused:UNUSED_PAD src0_sel:WORD_1 src1_sel:DWORD
	v_lshrrev_b32_e32 v18, 16, v16
	v_cmp_ne_u16_e32 vcc, 0, v20
	v_mov_b32_e32 v19, 0
	v_mov_b32_e32 v23, 0
	s_and_saveexec_b64 s[0:1], vcc
	s_cbranch_execz .LBB715_472
; %bb.467:
	s_movk_i32 s3, 0x80
	v_cmp_ne_u16_e32 vcc, s3, v20
	v_mov_b32_e32 v23, 0xffff8000
	s_and_saveexec_b64 s[6:7], vcc
	s_cbranch_execz .LBB715_471
; %bb.468:
	v_bfe_u32 v20, v16, 16, 7
	s_movk_i32 s3, 0x7f
	v_cmp_ne_u32_e32 vcc, s3, v20
	v_mov_b32_e32 v23, 0x7f80
	s_and_saveexec_b64 s[8:9], vcc
	s_cbranch_execz .LBB715_470
; %bb.469:
	v_and_b32_e32 v23, 7, v18
	v_ffbh_u32_e32 v24, v23
	v_min_u32_e32 v27, 32, v24
	v_subrev_u32_e32 v24, 28, v27
	v_lshlrev_b64 v[24:25], v24, v[18:19]
	v_and_b32_e32 v24, 7, v24
	v_cmp_gt_u32_e32 vcc, 8, v20
	v_lshrrev_b32_e32 v26, 3, v20
	v_sub_u32_e32 v18, 29, v27
	v_cndmask_b32_e32 v20, v23, v24, vcc
	v_mov_b32_e32 v23, 24
	v_cndmask_b32_e32 v18, v26, v18, vcc
	v_lshlrev_b32_sdwa v23, v23, v16 dst_sel:DWORD dst_unused:UNUSED_PAD src0_sel:DWORD src1_sel:WORD_1
	v_bfrev_b32_e32 v24, 60
	v_lshlrev_b32_e32 v20, 20, v20
	v_and_b32_e32 v23, 0x80000000, v23
	v_lshl_add_u32 v18, v18, 23, v24
	v_or3_b32 v18, v23, v18, v20
	v_lshrrev_b32_e32 v23, 16, v18
.LBB715_470:
	s_or_b64 exec, exec, s[8:9]
.LBB715_471:
	s_or_b64 exec, exec, s[6:7]
.LBB715_472:
	s_or_b64 exec, exec, s[0:1]
	s_mov_b32 s0, 0xffffff
	v_cmp_lt_u32_e32 vcc, s0, v16
	v_mov_b32_e32 v24, 0
	s_and_saveexec_b64 s[0:1], vcc
	s_cbranch_execz .LBB715_478
; %bb.473:
	v_lshrrev_b32_e32 v18, 24, v16
	s_movk_i32 s3, 0x80
	v_cmp_ne_u32_e32 vcc, s3, v18
	v_mov_b32_e32 v24, 0xffff8000
	s_and_saveexec_b64 s[6:7], vcc
	s_cbranch_execz .LBB715_477
; %bb.474:
	v_bfe_u32 v20, v16, 24, 7
	s_movk_i32 s3, 0x7f
	v_cmp_ne_u32_e32 vcc, s3, v20
	v_mov_b32_e32 v24, 0x7f80
	s_and_saveexec_b64 s[8:9], vcc
	s_cbranch_execz .LBB715_476
; %bb.475:
	v_and_b32_e32 v26, 7, v18
	v_ffbh_u32_e32 v24, v26
	v_min_u32_e32 v28, 32, v24
	v_subrev_u32_e32 v24, 28, v28
	v_lshlrev_b64 v[24:25], v24, v[18:19]
	v_lshrrev_b32_e32 v27, 3, v20
	v_sub_u32_e32 v25, 29, v28
	v_and_b32_e32 v24, 7, v24
	v_cmp_gt_u32_e32 vcc, 8, v20
	v_cndmask_b32_e32 v20, v27, v25, vcc
	v_cndmask_b32_e32 v24, v26, v24, vcc
	v_lshlrev_b32_e32 v18, 24, v18
	v_bfrev_b32_e32 v25, 60
	v_lshlrev_b32_e32 v24, 20, v24
	v_and_b32_e32 v18, 0x80000000, v18
	v_lshl_add_u32 v20, v20, 23, v25
	v_or3_b32 v18, v18, v20, v24
	v_lshrrev_b32_e32 v24, 16, v18
.LBB715_476:
	s_or_b64 exec, exec, s[8:9]
.LBB715_477:
	s_or_b64 exec, exec, s[6:7]
.LBB715_478:
	s_or_b64 exec, exec, s[0:1]
	v_mov_b32_e32 v25, 0
	v_mov_b32_e32 v18, v17
	v_cmp_ne_u16_sdwa s[6:7], v17, v25 src0_sel:BYTE_0 src1_sel:DWORD
	v_mov_b32_e32 v26, 0
	s_and_saveexec_b64 s[0:1], s[6:7]
	s_cbranch_execz .LBB715_484
; %bb.479:
	s_movk_i32 s3, 0x80
	v_cmp_ne_u16_sdwa s[8:9], v17, s3 src0_sel:BYTE_0 src1_sel:DWORD
	v_mov_b32_e32 v26, 0xffff8000
	s_and_saveexec_b64 s[6:7], s[8:9]
	s_cbranch_execz .LBB715_483
; %bb.480:
	s_movk_i32 s3, 0x7f
	v_and_b32_e32 v20, 0x7f, v17
	v_cmp_ne_u32_e32 vcc, s3, v20
	v_mov_b32_e32 v26, 0x7f80
	s_and_saveexec_b64 s[8:9], vcc
	s_cbranch_execz .LBB715_482
; %bb.481:
	v_and_b32_e32 v26, 7, v17
	v_ffbh_u32_e32 v26, v26
	v_min_u32_e32 v26, 32, v26
	v_lshrrev_b32_e32 v27, 3, v20
	v_subrev_u32_e32 v28, 28, v26
	v_sub_u32_e32 v26, 29, v26
	v_cmp_gt_u32_e32 vcc, 8, v20
	v_cndmask_b32_e32 v20, v27, v26, vcc
	v_cndmask_b32_e32 v26, 0, v28, vcc
	v_lshlrev_b64 v[26:27], v26, v[18:19]
	v_lshlrev_b32_e32 v19, 20, v26
	v_lshlrev_b32_e32 v26, 24, v18
	v_bfrev_b32_e32 v27, 60
	v_and_b32_e32 v19, 0x700000, v19
	v_and_b32_e32 v26, 0x80000000, v26
	v_lshl_add_u32 v20, v20, 23, v27
	v_or3_b32 v19, v26, v20, v19
	v_lshrrev_b32_e32 v26, 16, v19
.LBB715_482:
	s_or_b64 exec, exec, s[8:9]
.LBB715_483:
	s_or_b64 exec, exec, s[6:7]
.LBB715_484:
	s_or_b64 exec, exec, s[0:1]
	v_lshrrev_b16_e32 v20, 8, v18
	v_cmp_ne_u16_e32 vcc, 0, v20
	s_and_saveexec_b64 s[0:1], vcc
	s_cbranch_execz .LBB715_490
; %bb.485:
	s_movk_i32 s3, 0x80
	v_cmp_ne_u16_e32 vcc, s3, v20
	v_mov_b32_e32 v25, 0xffff8000
	s_and_saveexec_b64 s[6:7], vcc
	s_cbranch_execz .LBB715_489
; %bb.486:
	s_movk_i32 s3, 0x7f
	v_and_b32_e32 v19, 0x7f, v20
	v_cmp_ne_u32_e32 vcc, s3, v19
	v_mov_b32_e32 v25, 0x7f80
	s_and_saveexec_b64 s[8:9], vcc
	s_cbranch_execz .LBB715_488
; %bb.487:
	v_and_b32_e32 v25, 7, v20
	v_ffbh_u32_e32 v28, v25
	v_min_u32_e32 v30, 32, v28
	v_subrev_u32_e32 v28, 28, v30
	v_lshlrev_b64 v[28:29], v28, v[20:21]
	v_lshrrev_b32_e32 v27, 3, v19
	v_sub_u32_e32 v20, 29, v30
	v_and_b32_e32 v28, 7, v28
	v_cmp_gt_u32_e32 vcc, 8, v19
	v_cndmask_b32_e32 v19, v27, v20, vcc
	v_cndmask_b32_e32 v20, v25, v28, vcc
	v_lshlrev_b32_e32 v18, 16, v18
	v_bfrev_b32_e32 v25, 60
	v_lshlrev_b32_e32 v20, 20, v20
	v_and_b32_e32 v18, 0x80000000, v18
	v_lshl_add_u32 v19, v19, 23, v25
	v_or3_b32 v18, v18, v19, v20
	v_lshrrev_b32_e32 v25, 16, v18
.LBB715_488:
	s_or_b64 exec, exec, s[8:9]
.LBB715_489:
	s_or_b64 exec, exec, s[6:7]
.LBB715_490:
	s_or_b64 exec, exec, s[0:1]
	s_movk_i32 s0, 0xff
	v_and_b32_sdwa v27, v17, s0 dst_sel:DWORD dst_unused:UNUSED_PAD src0_sel:WORD_1 src1_sel:DWORD
	v_lshrrev_b32_e32 v18, 16, v17
	v_cmp_ne_u16_e32 vcc, 0, v27
	v_mov_b32_e32 v19, 0
	v_mov_b32_e32 v20, 0
	s_and_saveexec_b64 s[0:1], vcc
	s_cbranch_execz .LBB715_496
; %bb.491:
	s_movk_i32 s3, 0x80
	v_cmp_ne_u16_e32 vcc, s3, v27
	v_mov_b32_e32 v20, 0xffff8000
	s_and_saveexec_b64 s[6:7], vcc
	s_cbranch_execz .LBB715_495
; %bb.492:
	v_bfe_u32 v27, v17, 16, 7
	s_movk_i32 s3, 0x7f
	v_cmp_ne_u32_e32 vcc, s3, v27
	v_mov_b32_e32 v20, 0x7f80
	s_and_saveexec_b64 s[8:9], vcc
	s_cbranch_execz .LBB715_494
; %bb.493:
	v_and_b32_e32 v20, 7, v18
	v_ffbh_u32_e32 v28, v20
	v_min_u32_e32 v31, 32, v28
	v_subrev_u32_e32 v28, 28, v31
	v_lshlrev_b64 v[28:29], v28, v[18:19]
	v_lshrrev_b32_e32 v30, 3, v27
	v_sub_u32_e32 v18, 29, v31
	v_and_b32_e32 v28, 7, v28
	v_cmp_gt_u32_e32 vcc, 8, v27
	v_mov_b32_e32 v27, 24
	v_cndmask_b32_e32 v18, v30, v18, vcc
	v_cndmask_b32_e32 v20, v20, v28, vcc
	v_lshlrev_b32_sdwa v27, v27, v17 dst_sel:DWORD dst_unused:UNUSED_PAD src0_sel:DWORD src1_sel:WORD_1
	v_bfrev_b32_e32 v28, 60
	v_lshlrev_b32_e32 v20, 20, v20
	v_and_b32_e32 v27, 0x80000000, v27
	v_lshl_add_u32 v18, v18, 23, v28
	v_or3_b32 v18, v27, v18, v20
	v_lshrrev_b32_e32 v20, 16, v18
.LBB715_494:
	s_or_b64 exec, exec, s[8:9]
.LBB715_495:
	s_or_b64 exec, exec, s[6:7]
.LBB715_496:
	s_or_b64 exec, exec, s[0:1]
	s_mov_b32 s0, -1
	s_mov_b32 s1, 0xffffff
	v_cmp_lt_u64_e32 vcc, s[0:1], v[16:17]
	s_and_saveexec_b64 s[0:1], vcc
	s_cbranch_execz .LBB715_502
; %bb.497:
	v_lshrrev_b32_e32 v16, 24, v17
	s_movk_i32 s3, 0x80
	v_cmp_ne_u32_e32 vcc, s3, v16
	v_mov_b32_e32 v19, 0xffff8000
	s_and_saveexec_b64 s[6:7], vcc
	s_cbranch_execz .LBB715_501
; %bb.498:
	v_bfe_u32 v17, v17, 24, 7
	s_movk_i32 s3, 0x7f
	v_cmp_ne_u32_e32 vcc, s3, v17
	v_mov_b32_e32 v19, 0x7f80
	s_and_saveexec_b64 s[8:9], vcc
	s_cbranch_execz .LBB715_500
; %bb.499:
	v_and_b32_e32 v27, 7, v16
	v_ffbh_u32_e32 v18, v27
	v_min_u32_e32 v29, 32, v18
	v_subrev_u32_e32 v18, 28, v29
	v_lshlrev_b64 v[18:19], v18, v[16:17]
	v_lshrrev_b32_e32 v28, 3, v17
	v_sub_u32_e32 v19, 29, v29
	v_and_b32_e32 v18, 7, v18
	v_cmp_gt_u32_e32 vcc, 8, v17
	v_cndmask_b32_e32 v17, v28, v19, vcc
	v_cndmask_b32_e32 v18, v27, v18, vcc
	v_lshlrev_b32_e32 v16, 24, v16
	v_bfrev_b32_e32 v19, 60
	v_lshlrev_b32_e32 v18, 20, v18
	v_and_b32_e32 v16, 0x80000000, v16
	v_lshl_add_u32 v17, v17, 23, v19
	v_or3_b32 v16, v16, v17, v18
	v_lshrrev_b32_e32 v19, 16, v16
.LBB715_500:
	s_or_b64 exec, exec, s[8:9]
.LBB715_501:
	s_or_b64 exec, exec, s[6:7]
.LBB715_502:
	s_or_b64 exec, exec, s[0:1]
	s_mov_b32 s0, 0x5040100
	v_perm_b32 v17, v24, v23, s0
	v_perm_b32 v16, v22, v21, s0
	;; [unrolled: 1-line block ×4, first 2 shown]
	v_mfma_f32_4x4x4bf16_1k a[0:3], v[14:15], v[16:17], a[0:3] cbsz:4 abid:2
	v_mov_b32_e32 v20, 0
	v_mfma_f32_4x4x4bf16_1k a[0:3], v[14:15], v[18:19], a[0:3] cbsz:4 abid:3
	v_mov_b32_e32 v19, 0
	v_cmp_ne_u16_sdwa s[6:7], v10, v19 src0_sel:BYTE_0 src1_sel:DWORD
	s_and_saveexec_b64 s[0:1], s[6:7]
	s_cbranch_execz .LBB715_508
; %bb.503:
	s_movk_i32 s3, 0x80
	v_cmp_ne_u16_sdwa s[8:9], v10, s3 src0_sel:BYTE_0 src1_sel:DWORD
	v_mov_b32_e32 v20, 0xffff8000
	s_and_saveexec_b64 s[6:7], s[8:9]
	s_cbranch_execz .LBB715_507
; %bb.504:
	s_movk_i32 s3, 0x7f
	v_and_b32_e32 v16, 0x7f, v10
	v_cmp_ne_u32_e32 vcc, s3, v16
	v_mov_b32_e32 v20, 0x7f80
	s_and_saveexec_b64 s[8:9], vcc
	s_cbranch_execz .LBB715_506
; %bb.505:
	v_and_b32_e32 v17, 7, v10
	v_ffbh_u32_e32 v17, v17
	v_min_u32_e32 v17, 32, v17
	v_subrev_u32_e32 v20, 28, v17
	v_cmp_gt_u32_e32 vcc, 8, v16
	v_lshrrev_b32_e32 v18, 3, v16
	v_sub_u32_e32 v17, 29, v17
	v_cndmask_b32_e32 v16, 0, v20, vcc
	v_cndmask_b32_e32 v18, v18, v17, vcc
	v_lshlrev_b64 v[16:17], v16, v[10:11]
	v_lshlrev_b32_e32 v16, 20, v16
	v_lshlrev_b32_e32 v17, 24, v10
	v_bfrev_b32_e32 v20, 60
	v_and_b32_e32 v16, 0x700000, v16
	v_and_b32_e32 v17, 0x80000000, v17
	v_lshl_add_u32 v18, v18, 23, v20
	v_or3_b32 v16, v17, v18, v16
	v_lshrrev_b32_e32 v20, 16, v16
.LBB715_506:
	s_or_b64 exec, exec, s[8:9]
.LBB715_507:
	s_or_b64 exec, exec, s[6:7]
.LBB715_508:
	s_or_b64 exec, exec, s[0:1]
	v_lshrrev_b16_e32 v16, 8, v10
	v_cmp_ne_u16_e32 vcc, 0, v16
	s_and_saveexec_b64 s[0:1], vcc
	s_cbranch_execz .LBB715_514
; %bb.509:
	s_movk_i32 s3, 0x80
	v_cmp_ne_u16_e32 vcc, s3, v16
	v_mov_b32_e32 v19, 0xffff8000
	s_and_saveexec_b64 s[6:7], vcc
	s_cbranch_execz .LBB715_513
; %bb.510:
	s_movk_i32 s3, 0x7f
	v_and_b32_e32 v17, 0x7f, v16
	v_cmp_ne_u32_e32 vcc, s3, v17
	v_mov_b32_e32 v19, 0x7f80
	s_and_saveexec_b64 s[8:9], vcc
	s_cbranch_execz .LBB715_512
; %bb.511:
	v_and_b32_e32 v21, 7, v16
	v_ffbh_u32_e32 v18, v21
	v_min_u32_e32 v23, 32, v18
	v_subrev_u32_e32 v18, 28, v23
	v_lshlrev_b64 v[18:19], v18, v[16:17]
	v_lshrrev_b32_e32 v22, 3, v17
	v_sub_u32_e32 v16, 29, v23
	v_and_b32_e32 v18, 7, v18
	v_cmp_gt_u32_e32 vcc, 8, v17
	v_cndmask_b32_e32 v16, v22, v16, vcc
	v_cndmask_b32_e32 v17, v21, v18, vcc
	v_lshlrev_b32_e32 v18, 16, v10
	v_bfrev_b32_e32 v19, 60
	v_lshlrev_b32_e32 v17, 20, v17
	v_and_b32_e32 v18, 0x80000000, v18
	v_lshl_add_u32 v16, v16, 23, v19
	v_or3_b32 v16, v18, v16, v17
	v_lshrrev_b32_e32 v19, 16, v16
.LBB715_512:
	s_or_b64 exec, exec, s[8:9]
.LBB715_513:
	s_or_b64 exec, exec, s[6:7]
.LBB715_514:
	s_or_b64 exec, exec, s[0:1]
	s_movk_i32 s0, 0xff
	v_and_b32_sdwa v18, v10, s0 dst_sel:DWORD dst_unused:UNUSED_PAD src0_sel:WORD_1 src1_sel:DWORD
	v_lshrrev_b32_e32 v16, 16, v10
	v_cmp_ne_u16_e32 vcc, 0, v18
	v_mov_b32_e32 v17, 0
	v_mov_b32_e32 v21, 0
	s_and_saveexec_b64 s[0:1], vcc
	s_cbranch_execz .LBB715_520
; %bb.515:
	s_movk_i32 s3, 0x80
	v_cmp_ne_u16_e32 vcc, s3, v18
	v_mov_b32_e32 v21, 0xffff8000
	s_and_saveexec_b64 s[6:7], vcc
	s_cbranch_execz .LBB715_519
; %bb.516:
	v_bfe_u32 v18, v10, 16, 7
	s_movk_i32 s3, 0x7f
	v_cmp_ne_u32_e32 vcc, s3, v18
	v_mov_b32_e32 v21, 0x7f80
	s_and_saveexec_b64 s[8:9], vcc
	s_cbranch_execz .LBB715_518
; %bb.517:
	v_and_b32_e32 v21, 7, v16
	v_ffbh_u32_e32 v22, v21
	v_min_u32_e32 v25, 32, v22
	v_subrev_u32_e32 v22, 28, v25
	v_lshlrev_b64 v[22:23], v22, v[16:17]
	v_and_b32_e32 v22, 7, v22
	v_cmp_gt_u32_e32 vcc, 8, v18
	v_lshrrev_b32_e32 v24, 3, v18
	v_sub_u32_e32 v16, 29, v25
	v_cndmask_b32_e32 v18, v21, v22, vcc
	v_mov_b32_e32 v21, 24
	v_cndmask_b32_e32 v16, v24, v16, vcc
	v_lshlrev_b32_sdwa v21, v21, v10 dst_sel:DWORD dst_unused:UNUSED_PAD src0_sel:DWORD src1_sel:WORD_1
	v_bfrev_b32_e32 v22, 60
	v_lshlrev_b32_e32 v18, 20, v18
	v_and_b32_e32 v21, 0x80000000, v21
	v_lshl_add_u32 v16, v16, 23, v22
	v_or3_b32 v16, v21, v16, v18
	v_lshrrev_b32_e32 v21, 16, v16
.LBB715_518:
	s_or_b64 exec, exec, s[8:9]
.LBB715_519:
	s_or_b64 exec, exec, s[6:7]
.LBB715_520:
	s_or_b64 exec, exec, s[0:1]
	s_mov_b32 s0, 0xffffff
	v_cmp_lt_u32_e32 vcc, s0, v10
	v_mov_b32_e32 v22, 0
	s_and_saveexec_b64 s[0:1], vcc
	s_cbranch_execz .LBB715_526
; %bb.521:
	v_lshrrev_b32_e32 v16, 24, v10
	s_movk_i32 s3, 0x80
	v_cmp_ne_u32_e32 vcc, s3, v16
	v_mov_b32_e32 v22, 0xffff8000
	s_and_saveexec_b64 s[6:7], vcc
	s_cbranch_execz .LBB715_525
; %bb.522:
	v_bfe_u32 v18, v10, 24, 7
	s_movk_i32 s3, 0x7f
	v_cmp_ne_u32_e32 vcc, s3, v18
	v_mov_b32_e32 v22, 0x7f80
	s_and_saveexec_b64 s[8:9], vcc
	s_cbranch_execz .LBB715_524
; %bb.523:
	v_and_b32_e32 v24, 7, v16
	v_ffbh_u32_e32 v22, v24
	v_min_u32_e32 v26, 32, v22
	v_subrev_u32_e32 v22, 28, v26
	v_lshlrev_b64 v[22:23], v22, v[16:17]
	v_lshrrev_b32_e32 v25, 3, v18
	v_sub_u32_e32 v23, 29, v26
	v_and_b32_e32 v22, 7, v22
	v_cmp_gt_u32_e32 vcc, 8, v18
	v_cndmask_b32_e32 v18, v25, v23, vcc
	v_cndmask_b32_e32 v22, v24, v22, vcc
	v_lshlrev_b32_e32 v16, 24, v16
	v_bfrev_b32_e32 v23, 60
	v_lshlrev_b32_e32 v22, 20, v22
	v_and_b32_e32 v16, 0x80000000, v16
	v_lshl_add_u32 v18, v18, 23, v23
	v_or3_b32 v16, v16, v18, v22
	v_lshrrev_b32_e32 v22, 16, v16
.LBB715_524:
	s_or_b64 exec, exec, s[8:9]
.LBB715_525:
	s_or_b64 exec, exec, s[6:7]
.LBB715_526:
	s_or_b64 exec, exec, s[0:1]
	v_mov_b32_e32 v23, 0
	v_mov_b32_e32 v16, v11
	v_cmp_ne_u16_sdwa s[6:7], v11, v23 src0_sel:BYTE_0 src1_sel:DWORD
	v_mov_b32_e32 v24, 0
	s_and_saveexec_b64 s[0:1], s[6:7]
	s_cbranch_execz .LBB715_532
; %bb.527:
	s_movk_i32 s3, 0x80
	v_cmp_ne_u16_sdwa s[8:9], v11, s3 src0_sel:BYTE_0 src1_sel:DWORD
	v_mov_b32_e32 v24, 0xffff8000
	s_and_saveexec_b64 s[6:7], s[8:9]
	s_cbranch_execz .LBB715_531
; %bb.528:
	s_movk_i32 s3, 0x7f
	v_and_b32_e32 v18, 0x7f, v11
	v_cmp_ne_u32_e32 vcc, s3, v18
	v_mov_b32_e32 v24, 0x7f80
	s_and_saveexec_b64 s[8:9], vcc
	s_cbranch_execz .LBB715_530
; %bb.529:
	v_and_b32_e32 v24, 7, v11
	v_ffbh_u32_e32 v24, v24
	v_min_u32_e32 v24, 32, v24
	v_lshrrev_b32_e32 v25, 3, v18
	v_subrev_u32_e32 v26, 28, v24
	v_sub_u32_e32 v24, 29, v24
	v_cmp_gt_u32_e32 vcc, 8, v18
	v_cndmask_b32_e32 v18, v25, v24, vcc
	v_cndmask_b32_e32 v24, 0, v26, vcc
	v_lshlrev_b64 v[24:25], v24, v[16:17]
	v_lshlrev_b32_e32 v17, 20, v24
	v_lshlrev_b32_e32 v24, 24, v16
	v_bfrev_b32_e32 v25, 60
	v_and_b32_e32 v17, 0x700000, v17
	v_and_b32_e32 v24, 0x80000000, v24
	v_lshl_add_u32 v18, v18, 23, v25
	v_or3_b32 v17, v24, v18, v17
	v_lshrrev_b32_e32 v24, 16, v17
.LBB715_530:
	s_or_b64 exec, exec, s[8:9]
.LBB715_531:
	s_or_b64 exec, exec, s[6:7]
.LBB715_532:
	s_or_b64 exec, exec, s[0:1]
	v_lshrrev_b16_e32 v18, 8, v16
	v_cmp_ne_u16_e32 vcc, 0, v18
	s_and_saveexec_b64 s[0:1], vcc
	s_cbranch_execz .LBB715_538
; %bb.533:
	s_movk_i32 s3, 0x80
	v_cmp_ne_u16_e32 vcc, s3, v18
	v_mov_b32_e32 v23, 0xffff8000
	s_and_saveexec_b64 s[6:7], vcc
	s_cbranch_execz .LBB715_537
; %bb.534:
	s_movk_i32 s3, 0x7f
	v_and_b32_e32 v17, 0x7f, v18
	v_cmp_ne_u32_e32 vcc, s3, v17
	v_mov_b32_e32 v23, 0x7f80
	s_and_saveexec_b64 s[8:9], vcc
	s_cbranch_execz .LBB715_536
; %bb.535:
	v_and_b32_e32 v23, 7, v18
	v_ffbh_u32_e32 v26, v23
	v_min_u32_e32 v28, 32, v26
	v_subrev_u32_e32 v26, 28, v28
	v_lshlrev_b64 v[26:27], v26, v[18:19]
	v_lshrrev_b32_e32 v25, 3, v17
	v_sub_u32_e32 v18, 29, v28
	v_and_b32_e32 v26, 7, v26
	v_cmp_gt_u32_e32 vcc, 8, v17
	v_cndmask_b32_e32 v17, v25, v18, vcc
	v_cndmask_b32_e32 v18, v23, v26, vcc
	v_lshlrev_b32_e32 v16, 16, v16
	v_bfrev_b32_e32 v23, 60
	v_lshlrev_b32_e32 v18, 20, v18
	v_and_b32_e32 v16, 0x80000000, v16
	v_lshl_add_u32 v17, v17, 23, v23
	v_or3_b32 v16, v16, v17, v18
	v_lshrrev_b32_e32 v23, 16, v16
.LBB715_536:
	s_or_b64 exec, exec, s[8:9]
.LBB715_537:
	s_or_b64 exec, exec, s[6:7]
.LBB715_538:
	s_or_b64 exec, exec, s[0:1]
	s_movk_i32 s0, 0xff
	v_and_b32_sdwa v25, v11, s0 dst_sel:DWORD dst_unused:UNUSED_PAD src0_sel:WORD_1 src1_sel:DWORD
	v_lshrrev_b32_e32 v16, 16, v11
	v_cmp_ne_u16_e32 vcc, 0, v25
	v_mov_b32_e32 v17, 0
	v_mov_b32_e32 v18, 0
	s_and_saveexec_b64 s[0:1], vcc
	s_cbranch_execz .LBB715_544
; %bb.539:
	s_movk_i32 s3, 0x80
	v_cmp_ne_u16_e32 vcc, s3, v25
	v_mov_b32_e32 v18, 0xffff8000
	s_and_saveexec_b64 s[6:7], vcc
	s_cbranch_execz .LBB715_543
; %bb.540:
	v_bfe_u32 v25, v11, 16, 7
	s_movk_i32 s3, 0x7f
	v_cmp_ne_u32_e32 vcc, s3, v25
	v_mov_b32_e32 v18, 0x7f80
	s_and_saveexec_b64 s[8:9], vcc
	s_cbranch_execz .LBB715_542
; %bb.541:
	v_and_b32_e32 v18, 7, v16
	v_ffbh_u32_e32 v26, v18
	v_min_u32_e32 v29, 32, v26
	v_subrev_u32_e32 v26, 28, v29
	v_lshlrev_b64 v[26:27], v26, v[16:17]
	v_lshrrev_b32_e32 v28, 3, v25
	v_sub_u32_e32 v16, 29, v29
	v_and_b32_e32 v26, 7, v26
	v_cmp_gt_u32_e32 vcc, 8, v25
	v_mov_b32_e32 v25, 24
	v_cndmask_b32_e32 v16, v28, v16, vcc
	v_cndmask_b32_e32 v18, v18, v26, vcc
	v_lshlrev_b32_sdwa v25, v25, v11 dst_sel:DWORD dst_unused:UNUSED_PAD src0_sel:DWORD src1_sel:WORD_1
	v_bfrev_b32_e32 v26, 60
	v_lshlrev_b32_e32 v18, 20, v18
	v_and_b32_e32 v25, 0x80000000, v25
	v_lshl_add_u32 v16, v16, 23, v26
	v_or3_b32 v16, v25, v16, v18
	v_lshrrev_b32_e32 v18, 16, v16
.LBB715_542:
	s_or_b64 exec, exec, s[8:9]
.LBB715_543:
	s_or_b64 exec, exec, s[6:7]
.LBB715_544:
	s_or_b64 exec, exec, s[0:1]
	s_mov_b32 s0, -1
	s_mov_b32 s1, 0xffffff
	v_cmp_lt_u64_e32 vcc, s[0:1], v[10:11]
	s_and_saveexec_b64 s[0:1], vcc
	s_cbranch_execz .LBB715_550
; %bb.545:
	v_lshrrev_b32_e32 v10, 24, v11
	s_movk_i32 s3, 0x80
	v_cmp_ne_u32_e32 vcc, s3, v10
	v_mov_b32_e32 v17, 0xffff8000
	s_and_saveexec_b64 s[6:7], vcc
	s_cbranch_execz .LBB715_549
; %bb.546:
	v_bfe_u32 v11, v11, 24, 7
	s_movk_i32 s3, 0x7f
	v_cmp_ne_u32_e32 vcc, s3, v11
	v_mov_b32_e32 v17, 0x7f80
	s_and_saveexec_b64 s[8:9], vcc
	s_cbranch_execz .LBB715_548
; %bb.547:
	v_and_b32_e32 v25, 7, v10
	v_ffbh_u32_e32 v16, v25
	v_min_u32_e32 v27, 32, v16
	v_subrev_u32_e32 v16, 28, v27
	v_lshlrev_b64 v[16:17], v16, v[10:11]
	v_lshrrev_b32_e32 v26, 3, v11
	v_sub_u32_e32 v17, 29, v27
	v_and_b32_e32 v16, 7, v16
	v_cmp_gt_u32_e32 vcc, 8, v11
	v_cndmask_b32_e32 v11, v26, v17, vcc
	v_cndmask_b32_e32 v16, v25, v16, vcc
	v_lshlrev_b32_e32 v10, 24, v10
	v_bfrev_b32_e32 v17, 60
	v_lshlrev_b32_e32 v16, 20, v16
	v_and_b32_e32 v10, 0x80000000, v10
	v_lshl_add_u32 v11, v11, 23, v17
	v_or3_b32 v10, v10, v11, v16
	v_lshrrev_b32_e32 v17, 16, v10
.LBB715_548:
	s_or_b64 exec, exec, s[8:9]
.LBB715_549:
	s_or_b64 exec, exec, s[6:7]
.LBB715_550:
	s_or_b64 exec, exec, s[0:1]
	s_mov_b32 s0, 0x5040100
	v_perm_b32 v11, v22, v21, s0
	v_perm_b32 v10, v19, v20, s0
	;; [unrolled: 1-line block ×4, first 2 shown]
	v_mfma_f32_4x4x4bf16_1k a[0:3], v[14:15], v[10:11], a[0:3] cbsz:4 abid:4
	v_mov_b32_e32 v18, 0
	v_mfma_f32_4x4x4bf16_1k a[0:3], v[14:15], v[16:17], a[0:3] cbsz:4 abid:5
	v_mov_b32_e32 v17, 0
	v_cmp_ne_u16_sdwa s[6:7], v12, v17 src0_sel:BYTE_0 src1_sel:DWORD
	s_and_saveexec_b64 s[0:1], s[6:7]
	s_cbranch_execz .LBB715_556
; %bb.551:
	s_movk_i32 s3, 0x80
	v_cmp_ne_u16_sdwa s[8:9], v12, s3 src0_sel:BYTE_0 src1_sel:DWORD
	v_mov_b32_e32 v18, 0xffff8000
	s_and_saveexec_b64 s[6:7], s[8:9]
	s_cbranch_execz .LBB715_555
; %bb.552:
	s_movk_i32 s3, 0x7f
	v_and_b32_e32 v10, 0x7f, v12
	v_cmp_ne_u32_e32 vcc, s3, v10
	v_mov_b32_e32 v18, 0x7f80
	s_and_saveexec_b64 s[8:9], vcc
	s_cbranch_execz .LBB715_554
; %bb.553:
	v_and_b32_e32 v11, 7, v12
	v_ffbh_u32_e32 v11, v11
	v_min_u32_e32 v11, 32, v11
	v_subrev_u32_e32 v18, 28, v11
	v_cmp_gt_u32_e32 vcc, 8, v10
	v_lshrrev_b32_e32 v16, 3, v10
	v_sub_u32_e32 v11, 29, v11
	v_cndmask_b32_e32 v10, 0, v18, vcc
	v_cndmask_b32_e32 v16, v16, v11, vcc
	v_lshlrev_b64 v[10:11], v10, v[12:13]
	v_lshlrev_b32_e32 v10, 20, v10
	v_lshlrev_b32_e32 v11, 24, v12
	v_bfrev_b32_e32 v18, 60
	v_and_b32_e32 v10, 0x700000, v10
	v_and_b32_e32 v11, 0x80000000, v11
	v_lshl_add_u32 v16, v16, 23, v18
	v_or3_b32 v10, v11, v16, v10
	v_lshrrev_b32_e32 v18, 16, v10
.LBB715_554:
	s_or_b64 exec, exec, s[8:9]
.LBB715_555:
	s_or_b64 exec, exec, s[6:7]
.LBB715_556:
	s_or_b64 exec, exec, s[0:1]
	v_lshrrev_b16_e32 v10, 8, v12
	v_cmp_ne_u16_e32 vcc, 0, v10
	s_and_saveexec_b64 s[0:1], vcc
	s_cbranch_execz .LBB715_562
; %bb.557:
	s_movk_i32 s3, 0x80
	v_cmp_ne_u16_e32 vcc, s3, v10
	v_mov_b32_e32 v17, 0xffff8000
	s_and_saveexec_b64 s[6:7], vcc
	s_cbranch_execz .LBB715_561
; %bb.558:
	s_movk_i32 s3, 0x7f
	v_and_b32_e32 v11, 0x7f, v10
	v_cmp_ne_u32_e32 vcc, s3, v11
	v_mov_b32_e32 v17, 0x7f80
	s_and_saveexec_b64 s[8:9], vcc
	s_cbranch_execz .LBB715_560
; %bb.559:
	v_and_b32_e32 v19, 7, v10
	v_ffbh_u32_e32 v16, v19
	v_min_u32_e32 v21, 32, v16
	v_subrev_u32_e32 v16, 28, v21
	v_lshlrev_b64 v[16:17], v16, v[10:11]
	v_lshrrev_b32_e32 v20, 3, v11
	v_sub_u32_e32 v10, 29, v21
	v_and_b32_e32 v16, 7, v16
	v_cmp_gt_u32_e32 vcc, 8, v11
	v_cndmask_b32_e32 v10, v20, v10, vcc
	v_cndmask_b32_e32 v11, v19, v16, vcc
	v_lshlrev_b32_e32 v16, 16, v12
	v_bfrev_b32_e32 v17, 60
	v_lshlrev_b32_e32 v11, 20, v11
	v_and_b32_e32 v16, 0x80000000, v16
	v_lshl_add_u32 v10, v10, 23, v17
	v_or3_b32 v10, v16, v10, v11
	v_lshrrev_b32_e32 v17, 16, v10
.LBB715_560:
	s_or_b64 exec, exec, s[8:9]
.LBB715_561:
	s_or_b64 exec, exec, s[6:7]
.LBB715_562:
	s_or_b64 exec, exec, s[0:1]
	s_movk_i32 s0, 0xff
	v_and_b32_sdwa v16, v12, s0 dst_sel:DWORD dst_unused:UNUSED_PAD src0_sel:WORD_1 src1_sel:DWORD
	v_lshrrev_b32_e32 v10, 16, v12
	v_cmp_ne_u16_e32 vcc, 0, v16
	v_mov_b32_e32 v11, 0
	v_mov_b32_e32 v19, 0
	s_and_saveexec_b64 s[0:1], vcc
	s_cbranch_execz .LBB715_568
; %bb.563:
	s_movk_i32 s3, 0x80
	v_cmp_ne_u16_e32 vcc, s3, v16
	v_mov_b32_e32 v19, 0xffff8000
	s_and_saveexec_b64 s[6:7], vcc
	s_cbranch_execz .LBB715_567
; %bb.564:
	v_bfe_u32 v16, v12, 16, 7
	s_movk_i32 s3, 0x7f
	v_cmp_ne_u32_e32 vcc, s3, v16
	v_mov_b32_e32 v19, 0x7f80
	s_and_saveexec_b64 s[8:9], vcc
	s_cbranch_execz .LBB715_566
; %bb.565:
	v_and_b32_e32 v19, 7, v10
	v_ffbh_u32_e32 v20, v19
	v_min_u32_e32 v23, 32, v20
	v_subrev_u32_e32 v20, 28, v23
	v_lshlrev_b64 v[20:21], v20, v[10:11]
	v_and_b32_e32 v20, 7, v20
	v_cmp_gt_u32_e32 vcc, 8, v16
	v_lshrrev_b32_e32 v22, 3, v16
	v_sub_u32_e32 v10, 29, v23
	v_cndmask_b32_e32 v16, v19, v20, vcc
	v_mov_b32_e32 v19, 24
	v_cndmask_b32_e32 v10, v22, v10, vcc
	v_lshlrev_b32_sdwa v19, v19, v12 dst_sel:DWORD dst_unused:UNUSED_PAD src0_sel:DWORD src1_sel:WORD_1
	v_bfrev_b32_e32 v20, 60
	v_lshlrev_b32_e32 v16, 20, v16
	v_and_b32_e32 v19, 0x80000000, v19
	v_lshl_add_u32 v10, v10, 23, v20
	v_or3_b32 v10, v19, v10, v16
	v_lshrrev_b32_e32 v19, 16, v10
.LBB715_566:
	s_or_b64 exec, exec, s[8:9]
.LBB715_567:
	s_or_b64 exec, exec, s[6:7]
.LBB715_568:
	s_or_b64 exec, exec, s[0:1]
	s_mov_b32 s0, 0xffffff
	v_cmp_lt_u32_e32 vcc, s0, v12
	v_mov_b32_e32 v20, 0
	s_and_saveexec_b64 s[0:1], vcc
	s_cbranch_execz .LBB715_574
; %bb.569:
	v_lshrrev_b32_e32 v10, 24, v12
	s_movk_i32 s3, 0x80
	v_cmp_ne_u32_e32 vcc, s3, v10
	v_mov_b32_e32 v20, 0xffff8000
	s_and_saveexec_b64 s[6:7], vcc
	s_cbranch_execz .LBB715_573
; %bb.570:
	v_bfe_u32 v16, v12, 24, 7
	s_movk_i32 s3, 0x7f
	v_cmp_ne_u32_e32 vcc, s3, v16
	v_mov_b32_e32 v20, 0x7f80
	s_and_saveexec_b64 s[8:9], vcc
	s_cbranch_execz .LBB715_572
; %bb.571:
	v_and_b32_e32 v22, 7, v10
	v_ffbh_u32_e32 v20, v22
	v_min_u32_e32 v24, 32, v20
	v_subrev_u32_e32 v20, 28, v24
	v_lshlrev_b64 v[20:21], v20, v[10:11]
	v_lshrrev_b32_e32 v23, 3, v16
	v_sub_u32_e32 v21, 29, v24
	v_and_b32_e32 v20, 7, v20
	v_cmp_gt_u32_e32 vcc, 8, v16
	v_cndmask_b32_e32 v16, v23, v21, vcc
	v_cndmask_b32_e32 v20, v22, v20, vcc
	v_lshlrev_b32_e32 v10, 24, v10
	v_bfrev_b32_e32 v21, 60
	v_lshlrev_b32_e32 v20, 20, v20
	v_and_b32_e32 v10, 0x80000000, v10
	v_lshl_add_u32 v16, v16, 23, v21
	v_or3_b32 v10, v10, v16, v20
	v_lshrrev_b32_e32 v20, 16, v10
.LBB715_572:
	s_or_b64 exec, exec, s[8:9]
.LBB715_573:
	s_or_b64 exec, exec, s[6:7]
.LBB715_574:
	s_or_b64 exec, exec, s[0:1]
	v_mov_b32_e32 v21, 0
	v_mov_b32_e32 v10, v13
	v_cmp_ne_u16_sdwa s[6:7], v13, v21 src0_sel:BYTE_0 src1_sel:DWORD
	v_mov_b32_e32 v22, 0
	s_and_saveexec_b64 s[0:1], s[6:7]
	s_cbranch_execz .LBB715_580
; %bb.575:
	s_movk_i32 s3, 0x80
	v_cmp_ne_u16_sdwa s[8:9], v13, s3 src0_sel:BYTE_0 src1_sel:DWORD
	v_mov_b32_e32 v22, 0xffff8000
	s_and_saveexec_b64 s[6:7], s[8:9]
	s_cbranch_execz .LBB715_579
; %bb.576:
	s_movk_i32 s3, 0x7f
	v_and_b32_e32 v16, 0x7f, v13
	v_cmp_ne_u32_e32 vcc, s3, v16
	v_mov_b32_e32 v22, 0x7f80
	s_and_saveexec_b64 s[8:9], vcc
	s_cbranch_execz .LBB715_578
; %bb.577:
	v_and_b32_e32 v22, 7, v13
	v_ffbh_u32_e32 v22, v22
	v_min_u32_e32 v22, 32, v22
	v_lshrrev_b32_e32 v23, 3, v16
	v_subrev_u32_e32 v24, 28, v22
	v_sub_u32_e32 v22, 29, v22
	v_cmp_gt_u32_e32 vcc, 8, v16
	v_cndmask_b32_e32 v16, v23, v22, vcc
	v_cndmask_b32_e32 v22, 0, v24, vcc
	v_lshlrev_b64 v[22:23], v22, v[10:11]
	v_lshlrev_b32_e32 v11, 20, v22
	v_lshlrev_b32_e32 v22, 24, v10
	v_bfrev_b32_e32 v23, 60
	v_and_b32_e32 v11, 0x700000, v11
	v_and_b32_e32 v22, 0x80000000, v22
	v_lshl_add_u32 v16, v16, 23, v23
	v_or3_b32 v11, v22, v16, v11
	v_lshrrev_b32_e32 v22, 16, v11
.LBB715_578:
	s_or_b64 exec, exec, s[8:9]
.LBB715_579:
	s_or_b64 exec, exec, s[6:7]
.LBB715_580:
	s_or_b64 exec, exec, s[0:1]
	v_lshrrev_b16_e32 v16, 8, v10
	v_cmp_ne_u16_e32 vcc, 0, v16
	s_and_saveexec_b64 s[0:1], vcc
	s_cbranch_execz .LBB715_586
; %bb.581:
	s_movk_i32 s3, 0x80
	v_cmp_ne_u16_e32 vcc, s3, v16
	v_mov_b32_e32 v21, 0xffff8000
	s_and_saveexec_b64 s[6:7], vcc
	s_cbranch_execz .LBB715_585
; %bb.582:
	s_movk_i32 s3, 0x7f
	v_and_b32_e32 v11, 0x7f, v16
	v_cmp_ne_u32_e32 vcc, s3, v11
	v_mov_b32_e32 v21, 0x7f80
	s_and_saveexec_b64 s[8:9], vcc
	s_cbranch_execz .LBB715_584
; %bb.583:
	v_and_b32_e32 v21, 7, v16
	v_ffbh_u32_e32 v24, v21
	v_min_u32_e32 v26, 32, v24
	v_subrev_u32_e32 v24, 28, v26
	v_lshlrev_b64 v[24:25], v24, v[16:17]
	v_lshrrev_b32_e32 v23, 3, v11
	v_sub_u32_e32 v16, 29, v26
	v_and_b32_e32 v24, 7, v24
	v_cmp_gt_u32_e32 vcc, 8, v11
	v_cndmask_b32_e32 v11, v23, v16, vcc
	v_cndmask_b32_e32 v16, v21, v24, vcc
	v_lshlrev_b32_e32 v10, 16, v10
	v_bfrev_b32_e32 v21, 60
	v_lshlrev_b32_e32 v16, 20, v16
	v_and_b32_e32 v10, 0x80000000, v10
	v_lshl_add_u32 v11, v11, 23, v21
	v_or3_b32 v10, v10, v11, v16
	v_lshrrev_b32_e32 v21, 16, v10
.LBB715_584:
	s_or_b64 exec, exec, s[8:9]
.LBB715_585:
	s_or_b64 exec, exec, s[6:7]
.LBB715_586:
	s_or_b64 exec, exec, s[0:1]
	s_movk_i32 s0, 0xff
	v_and_b32_sdwa v23, v13, s0 dst_sel:DWORD dst_unused:UNUSED_PAD src0_sel:WORD_1 src1_sel:DWORD
	v_lshrrev_b32_e32 v10, 16, v13
	v_cmp_ne_u16_e32 vcc, 0, v23
	v_mov_b32_e32 v11, 0
	v_mov_b32_e32 v16, 0
	s_and_saveexec_b64 s[0:1], vcc
	s_cbranch_execz .LBB715_592
; %bb.587:
	s_movk_i32 s3, 0x80
	v_cmp_ne_u16_e32 vcc, s3, v23
	v_mov_b32_e32 v16, 0xffff8000
	s_and_saveexec_b64 s[6:7], vcc
	s_cbranch_execz .LBB715_591
; %bb.588:
	v_bfe_u32 v23, v13, 16, 7
	s_movk_i32 s3, 0x7f
	v_cmp_ne_u32_e32 vcc, s3, v23
	v_mov_b32_e32 v16, 0x7f80
	s_and_saveexec_b64 s[8:9], vcc
	s_cbranch_execz .LBB715_590
; %bb.589:
	v_and_b32_e32 v16, 7, v10
	v_ffbh_u32_e32 v24, v16
	v_min_u32_e32 v27, 32, v24
	v_subrev_u32_e32 v24, 28, v27
	v_lshlrev_b64 v[24:25], v24, v[10:11]
	v_lshrrev_b32_e32 v26, 3, v23
	v_sub_u32_e32 v10, 29, v27
	v_and_b32_e32 v24, 7, v24
	v_cmp_gt_u32_e32 vcc, 8, v23
	v_mov_b32_e32 v23, 24
	v_cndmask_b32_e32 v10, v26, v10, vcc
	v_cndmask_b32_e32 v16, v16, v24, vcc
	v_lshlrev_b32_sdwa v23, v23, v13 dst_sel:DWORD dst_unused:UNUSED_PAD src0_sel:DWORD src1_sel:WORD_1
	v_bfrev_b32_e32 v24, 60
	v_lshlrev_b32_e32 v16, 20, v16
	v_and_b32_e32 v23, 0x80000000, v23
	v_lshl_add_u32 v10, v10, 23, v24
	v_or3_b32 v10, v23, v10, v16
	v_lshrrev_b32_e32 v16, 16, v10
.LBB715_590:
	s_or_b64 exec, exec, s[8:9]
.LBB715_591:
	s_or_b64 exec, exec, s[6:7]
.LBB715_592:
	s_or_b64 exec, exec, s[0:1]
	s_mov_b32 s0, -1
	s_mov_b32 s1, 0xffffff
	v_cmp_lt_u64_e32 vcc, s[0:1], v[12:13]
	s_and_saveexec_b64 s[0:1], vcc
	s_cbranch_execz .LBB715_598
; %bb.593:
	v_lshrrev_b32_e32 v10, 24, v13
	s_movk_i32 s3, 0x80
	v_cmp_ne_u32_e32 vcc, s3, v10
	v_mov_b32_e32 v11, 0xffff8000
	s_and_saveexec_b64 s[6:7], vcc
	s_cbranch_execz .LBB715_597
; %bb.594:
	v_bfe_u32 v12, v13, 24, 7
	s_movk_i32 s3, 0x7f
	v_cmp_ne_u32_e32 vcc, s3, v12
	v_mov_b32_e32 v11, 0x7f80
	s_and_saveexec_b64 s[8:9], vcc
	s_cbranch_execz .LBB715_596
; %bb.595:
	v_and_b32_e32 v11, 7, v10
	v_ffbh_u32_e32 v23, v11
	v_min_u32_e32 v23, 32, v23
	v_subrev_u32_e32 v24, 28, v23
	v_lshlrev_b64 v[24:25], v24, v[10:11]
	v_lshrrev_b32_e32 v13, 3, v12
	v_sub_u32_e32 v23, 29, v23
	v_and_b32_e32 v24, 7, v24
	v_cmp_gt_u32_e32 vcc, 8, v12
	v_cndmask_b32_e32 v12, v13, v23, vcc
	v_cndmask_b32_e32 v11, v11, v24, vcc
	v_lshlrev_b32_e32 v10, 24, v10
	v_bfrev_b32_e32 v13, 60
	v_lshlrev_b32_e32 v11, 20, v11
	v_and_b32_e32 v10, 0x80000000, v10
	v_lshl_add_u32 v12, v12, 23, v13
	v_or3_b32 v10, v10, v12, v11
	v_lshrrev_b32_e32 v11, 16, v10
.LBB715_596:
	s_or_b64 exec, exec, s[8:9]
.LBB715_597:
	s_or_b64 exec, exec, s[6:7]
.LBB715_598:
	s_or_b64 exec, exec, s[0:1]
	s_mov_b32 s0, 0x5040100
	v_perm_b32 v13, v20, v19, s0
	v_perm_b32 v12, v17, v18, s0
	;; [unrolled: 1-line block ×4, first 2 shown]
	v_mfma_f32_4x4x4bf16_1k a[0:3], v[14:15], v[12:13], a[0:3] cbsz:4 abid:6
	v_mov_b32_e32 v13, 0
	v_mfma_f32_4x4x4bf16_1k a[0:3], v[14:15], v[10:11], a[0:3] cbsz:4 abid:7
	s_waitcnt vmcnt(0)
	v_cmp_ne_u16_sdwa s[6:7], v6, v13 src0_sel:BYTE_0 src1_sel:DWORD
	v_mov_b32_e32 v16, 0
	s_and_saveexec_b64 s[0:1], s[6:7]
	s_cbranch_execz .LBB715_604
; %bb.599:
	s_movk_i32 s3, 0x80
	v_cmp_ne_u16_sdwa s[8:9], v6, s3 src0_sel:BYTE_0 src1_sel:DWORD
	v_mov_b32_e32 v16, 0xffff8000
	s_and_saveexec_b64 s[6:7], s[8:9]
	s_cbranch_execz .LBB715_603
; %bb.600:
	s_movk_i32 s3, 0x7f
	v_and_b32_e32 v10, 0x7f, v6
	v_cmp_ne_u32_e32 vcc, s3, v10
	v_mov_b32_e32 v16, 0x7f80
	s_and_saveexec_b64 s[8:9], vcc
	s_cbranch_execz .LBB715_602
; %bb.601:
	v_and_b32_e32 v11, 7, v6
	v_ffbh_u32_e32 v11, v11
	v_min_u32_e32 v11, 32, v11
	v_subrev_u32_e32 v16, 28, v11
	v_cmp_gt_u32_e32 vcc, 8, v10
	v_lshrrev_b32_e32 v12, 3, v10
	v_sub_u32_e32 v11, 29, v11
	v_cndmask_b32_e32 v10, 0, v16, vcc
	v_cndmask_b32_e32 v12, v12, v11, vcc
	v_lshlrev_b64 v[10:11], v10, v[6:7]
	v_lshlrev_b32_e32 v10, 20, v10
	v_lshlrev_b32_e32 v11, 24, v6
	v_bfrev_b32_e32 v16, 60
	v_and_b32_e32 v10, 0x700000, v10
	v_and_b32_e32 v11, 0x80000000, v11
	v_lshl_add_u32 v12, v12, 23, v16
	v_or3_b32 v10, v11, v12, v10
	v_lshrrev_b32_e32 v16, 16, v10
.LBB715_602:
	s_or_b64 exec, exec, s[8:9]
.LBB715_603:
	s_or_b64 exec, exec, s[6:7]
.LBB715_604:
	s_or_b64 exec, exec, s[0:1]
	v_lshrrev_b16_e32 v10, 8, v6
	v_cmp_ne_u16_e32 vcc, 0, v10
	s_and_saveexec_b64 s[0:1], vcc
	s_cbranch_execz .LBB715_610
; %bb.605:
	s_movk_i32 s3, 0x80
	v_cmp_ne_u16_e32 vcc, s3, v10
	v_mov_b32_e32 v13, 0xffff8000
	s_and_saveexec_b64 s[6:7], vcc
	s_cbranch_execz .LBB715_609
; %bb.606:
	s_movk_i32 s3, 0x7f
	v_and_b32_e32 v11, 0x7f, v10
	v_cmp_ne_u32_e32 vcc, s3, v11
	v_mov_b32_e32 v13, 0x7f80
	s_and_saveexec_b64 s[8:9], vcc
	s_cbranch_execz .LBB715_608
; %bb.607:
	v_and_b32_e32 v17, 7, v10
	v_ffbh_u32_e32 v12, v17
	v_min_u32_e32 v19, 32, v12
	v_subrev_u32_e32 v12, 28, v19
	v_lshlrev_b64 v[12:13], v12, v[10:11]
	v_lshrrev_b32_e32 v18, 3, v11
	v_sub_u32_e32 v10, 29, v19
	v_and_b32_e32 v12, 7, v12
	v_cmp_gt_u32_e32 vcc, 8, v11
	v_cndmask_b32_e32 v10, v18, v10, vcc
	v_cndmask_b32_e32 v11, v17, v12, vcc
	v_lshlrev_b32_e32 v12, 16, v6
	v_bfrev_b32_e32 v13, 60
	v_lshlrev_b32_e32 v11, 20, v11
	v_and_b32_e32 v12, 0x80000000, v12
	v_lshl_add_u32 v10, v10, 23, v13
	v_or3_b32 v10, v12, v10, v11
	v_lshrrev_b32_e32 v13, 16, v10
.LBB715_608:
	s_or_b64 exec, exec, s[8:9]
.LBB715_609:
	s_or_b64 exec, exec, s[6:7]
.LBB715_610:
	s_or_b64 exec, exec, s[0:1]
	s_movk_i32 s0, 0xff
	v_and_b32_sdwa v12, v6, s0 dst_sel:DWORD dst_unused:UNUSED_PAD src0_sel:WORD_1 src1_sel:DWORD
	v_lshrrev_b32_e32 v10, 16, v6
	v_cmp_ne_u16_e32 vcc, 0, v12
	v_mov_b32_e32 v11, 0
	v_mov_b32_e32 v17, 0
	s_and_saveexec_b64 s[0:1], vcc
	s_cbranch_execz .LBB715_616
; %bb.611:
	s_movk_i32 s3, 0x80
	v_cmp_ne_u16_e32 vcc, s3, v12
	v_mov_b32_e32 v17, 0xffff8000
	s_and_saveexec_b64 s[6:7], vcc
	s_cbranch_execz .LBB715_615
; %bb.612:
	v_bfe_u32 v12, v6, 16, 7
	s_movk_i32 s3, 0x7f
	v_cmp_ne_u32_e32 vcc, s3, v12
	v_mov_b32_e32 v17, 0x7f80
	s_and_saveexec_b64 s[8:9], vcc
	s_cbranch_execz .LBB715_614
; %bb.613:
	v_and_b32_e32 v17, 7, v10
	v_ffbh_u32_e32 v18, v17
	v_min_u32_e32 v21, 32, v18
	v_subrev_u32_e32 v18, 28, v21
	v_lshlrev_b64 v[18:19], v18, v[10:11]
	v_and_b32_e32 v18, 7, v18
	v_cmp_gt_u32_e32 vcc, 8, v12
	v_lshrrev_b32_e32 v20, 3, v12
	v_sub_u32_e32 v10, 29, v21
	v_cndmask_b32_e32 v12, v17, v18, vcc
	v_mov_b32_e32 v17, 24
	v_cndmask_b32_e32 v10, v20, v10, vcc
	v_lshlrev_b32_sdwa v17, v17, v6 dst_sel:DWORD dst_unused:UNUSED_PAD src0_sel:DWORD src1_sel:WORD_1
	v_bfrev_b32_e32 v18, 60
	v_lshlrev_b32_e32 v12, 20, v12
	v_and_b32_e32 v17, 0x80000000, v17
	v_lshl_add_u32 v10, v10, 23, v18
	v_or3_b32 v10, v17, v10, v12
	v_lshrrev_b32_e32 v17, 16, v10
.LBB715_614:
	s_or_b64 exec, exec, s[8:9]
.LBB715_615:
	s_or_b64 exec, exec, s[6:7]
.LBB715_616:
	s_or_b64 exec, exec, s[0:1]
	s_mov_b32 s0, 0xffffff
	v_cmp_lt_u32_e32 vcc, s0, v6
	v_mov_b32_e32 v18, 0
	s_and_saveexec_b64 s[0:1], vcc
	s_cbranch_execz .LBB715_622
; %bb.617:
	v_lshrrev_b32_e32 v10, 24, v6
	s_movk_i32 s3, 0x80
	v_cmp_ne_u32_e32 vcc, s3, v10
	v_mov_b32_e32 v18, 0xffff8000
	s_and_saveexec_b64 s[6:7], vcc
	s_cbranch_execz .LBB715_621
; %bb.618:
	v_bfe_u32 v12, v6, 24, 7
	s_movk_i32 s3, 0x7f
	v_cmp_ne_u32_e32 vcc, s3, v12
	v_mov_b32_e32 v18, 0x7f80
	s_and_saveexec_b64 s[8:9], vcc
	s_cbranch_execz .LBB715_620
; %bb.619:
	v_and_b32_e32 v20, 7, v10
	v_ffbh_u32_e32 v18, v20
	v_min_u32_e32 v22, 32, v18
	v_subrev_u32_e32 v18, 28, v22
	v_lshlrev_b64 v[18:19], v18, v[10:11]
	v_lshrrev_b32_e32 v21, 3, v12
	v_sub_u32_e32 v19, 29, v22
	v_and_b32_e32 v18, 7, v18
	v_cmp_gt_u32_e32 vcc, 8, v12
	v_cndmask_b32_e32 v12, v21, v19, vcc
	v_cndmask_b32_e32 v18, v20, v18, vcc
	v_lshlrev_b32_e32 v10, 24, v10
	v_bfrev_b32_e32 v19, 60
	v_lshlrev_b32_e32 v18, 20, v18
	v_and_b32_e32 v10, 0x80000000, v10
	v_lshl_add_u32 v12, v12, 23, v19
	v_or3_b32 v10, v10, v12, v18
	v_lshrrev_b32_e32 v18, 16, v10
.LBB715_620:
	s_or_b64 exec, exec, s[8:9]
.LBB715_621:
	s_or_b64 exec, exec, s[6:7]
.LBB715_622:
	s_or_b64 exec, exec, s[0:1]
	v_mov_b32_e32 v19, 0
	v_mov_b32_e32 v10, v7
	v_cmp_ne_u16_sdwa s[6:7], v7, v19 src0_sel:BYTE_0 src1_sel:DWORD
	v_mov_b32_e32 v20, 0
	s_and_saveexec_b64 s[0:1], s[6:7]
	s_cbranch_execz .LBB715_628
; %bb.623:
	s_movk_i32 s3, 0x80
	v_cmp_ne_u16_sdwa s[8:9], v7, s3 src0_sel:BYTE_0 src1_sel:DWORD
	v_mov_b32_e32 v20, 0xffff8000
	s_and_saveexec_b64 s[6:7], s[8:9]
	s_cbranch_execz .LBB715_627
; %bb.624:
	s_movk_i32 s3, 0x7f
	v_and_b32_e32 v12, 0x7f, v7
	v_cmp_ne_u32_e32 vcc, s3, v12
	v_mov_b32_e32 v20, 0x7f80
	s_and_saveexec_b64 s[8:9], vcc
	s_cbranch_execz .LBB715_626
; %bb.625:
	v_and_b32_e32 v20, 7, v7
	v_ffbh_u32_e32 v20, v20
	v_min_u32_e32 v20, 32, v20
	v_lshrrev_b32_e32 v21, 3, v12
	v_subrev_u32_e32 v22, 28, v20
	v_sub_u32_e32 v20, 29, v20
	v_cmp_gt_u32_e32 vcc, 8, v12
	v_cndmask_b32_e32 v12, v21, v20, vcc
	v_cndmask_b32_e32 v20, 0, v22, vcc
	v_lshlrev_b64 v[20:21], v20, v[10:11]
	v_lshlrev_b32_e32 v11, 20, v20
	v_lshlrev_b32_e32 v20, 24, v10
	v_bfrev_b32_e32 v21, 60
	v_and_b32_e32 v11, 0x700000, v11
	v_and_b32_e32 v20, 0x80000000, v20
	v_lshl_add_u32 v12, v12, 23, v21
	v_or3_b32 v11, v20, v12, v11
	v_lshrrev_b32_e32 v20, 16, v11
.LBB715_626:
	s_or_b64 exec, exec, s[8:9]
.LBB715_627:
	s_or_b64 exec, exec, s[6:7]
.LBB715_628:
	s_or_b64 exec, exec, s[0:1]
	v_lshrrev_b16_e32 v12, 8, v10
	v_cmp_ne_u16_e32 vcc, 0, v12
	s_and_saveexec_b64 s[0:1], vcc
	s_cbranch_execz .LBB715_634
; %bb.629:
	s_movk_i32 s3, 0x80
	v_cmp_ne_u16_e32 vcc, s3, v12
	v_mov_b32_e32 v19, 0xffff8000
	s_and_saveexec_b64 s[6:7], vcc
	s_cbranch_execz .LBB715_633
; %bb.630:
	s_movk_i32 s3, 0x7f
	v_and_b32_e32 v11, 0x7f, v12
	v_cmp_ne_u32_e32 vcc, s3, v11
	v_mov_b32_e32 v19, 0x7f80
	s_and_saveexec_b64 s[8:9], vcc
	s_cbranch_execz .LBB715_632
; %bb.631:
	v_and_b32_e32 v19, 7, v12
	v_ffbh_u32_e32 v22, v19
	v_min_u32_e32 v24, 32, v22
	v_subrev_u32_e32 v22, 28, v24
	v_lshlrev_b64 v[22:23], v22, v[12:13]
	v_lshrrev_b32_e32 v21, 3, v11
	v_sub_u32_e32 v12, 29, v24
	v_and_b32_e32 v22, 7, v22
	v_cmp_gt_u32_e32 vcc, 8, v11
	v_cndmask_b32_e32 v11, v21, v12, vcc
	v_cndmask_b32_e32 v12, v19, v22, vcc
	v_lshlrev_b32_e32 v10, 16, v10
	v_bfrev_b32_e32 v19, 60
	v_lshlrev_b32_e32 v12, 20, v12
	v_and_b32_e32 v10, 0x80000000, v10
	v_lshl_add_u32 v11, v11, 23, v19
	v_or3_b32 v10, v10, v11, v12
	v_lshrrev_b32_e32 v19, 16, v10
.LBB715_632:
	s_or_b64 exec, exec, s[8:9]
.LBB715_633:
	s_or_b64 exec, exec, s[6:7]
.LBB715_634:
	s_or_b64 exec, exec, s[0:1]
	s_movk_i32 s0, 0xff
	v_and_b32_sdwa v21, v7, s0 dst_sel:DWORD dst_unused:UNUSED_PAD src0_sel:WORD_1 src1_sel:DWORD
	v_lshrrev_b32_e32 v10, 16, v7
	v_cmp_ne_u16_e32 vcc, 0, v21
	v_mov_b32_e32 v11, 0
	v_mov_b32_e32 v12, 0
	s_and_saveexec_b64 s[0:1], vcc
	s_cbranch_execz .LBB715_640
; %bb.635:
	s_movk_i32 s3, 0x80
	v_cmp_ne_u16_e32 vcc, s3, v21
	v_mov_b32_e32 v12, 0xffff8000
	s_and_saveexec_b64 s[6:7], vcc
	s_cbranch_execz .LBB715_639
; %bb.636:
	v_bfe_u32 v21, v7, 16, 7
	s_movk_i32 s3, 0x7f
	v_cmp_ne_u32_e32 vcc, s3, v21
	v_mov_b32_e32 v12, 0x7f80
	s_and_saveexec_b64 s[8:9], vcc
	s_cbranch_execz .LBB715_638
; %bb.637:
	v_and_b32_e32 v12, 7, v10
	v_ffbh_u32_e32 v22, v12
	v_min_u32_e32 v25, 32, v22
	v_subrev_u32_e32 v22, 28, v25
	v_lshlrev_b64 v[22:23], v22, v[10:11]
	v_lshrrev_b32_e32 v24, 3, v21
	v_sub_u32_e32 v10, 29, v25
	v_and_b32_e32 v22, 7, v22
	v_cmp_gt_u32_e32 vcc, 8, v21
	v_mov_b32_e32 v21, 24
	v_cndmask_b32_e32 v10, v24, v10, vcc
	v_cndmask_b32_e32 v12, v12, v22, vcc
	v_lshlrev_b32_sdwa v21, v21, v7 dst_sel:DWORD dst_unused:UNUSED_PAD src0_sel:DWORD src1_sel:WORD_1
	v_bfrev_b32_e32 v22, 60
	v_lshlrev_b32_e32 v12, 20, v12
	v_and_b32_e32 v21, 0x80000000, v21
	v_lshl_add_u32 v10, v10, 23, v22
	v_or3_b32 v10, v21, v10, v12
	v_lshrrev_b32_e32 v12, 16, v10
.LBB715_638:
	s_or_b64 exec, exec, s[8:9]
.LBB715_639:
	s_or_b64 exec, exec, s[6:7]
.LBB715_640:
	s_or_b64 exec, exec, s[0:1]
	s_mov_b32 s0, -1
	s_mov_b32 s1, 0xffffff
	v_cmp_lt_u64_e32 vcc, s[0:1], v[6:7]
	s_and_saveexec_b64 s[0:1], vcc
	s_cbranch_execz .LBB715_646
; %bb.641:
	v_lshrrev_b32_e32 v6, 24, v7
	s_movk_i32 s3, 0x80
	v_cmp_ne_u32_e32 vcc, s3, v6
	v_mov_b32_e32 v11, 0xffff8000
	s_and_saveexec_b64 s[6:7], vcc
	s_cbranch_execz .LBB715_645
; %bb.642:
	v_bfe_u32 v7, v7, 24, 7
	s_movk_i32 s3, 0x7f
	v_cmp_ne_u32_e32 vcc, s3, v7
	v_mov_b32_e32 v11, 0x7f80
	s_and_saveexec_b64 s[8:9], vcc
	s_cbranch_execz .LBB715_644
; %bb.643:
	v_and_b32_e32 v21, 7, v6
	v_ffbh_u32_e32 v10, v21
	v_min_u32_e32 v23, 32, v10
	v_subrev_u32_e32 v10, 28, v23
	v_lshlrev_b64 v[10:11], v10, v[6:7]
	v_lshrrev_b32_e32 v22, 3, v7
	v_sub_u32_e32 v11, 29, v23
	v_and_b32_e32 v10, 7, v10
	v_cmp_gt_u32_e32 vcc, 8, v7
	v_cndmask_b32_e32 v7, v22, v11, vcc
	v_cndmask_b32_e32 v10, v21, v10, vcc
	v_lshlrev_b32_e32 v6, 24, v6
	v_bfrev_b32_e32 v11, 60
	v_lshlrev_b32_e32 v10, 20, v10
	v_and_b32_e32 v6, 0x80000000, v6
	v_lshl_add_u32 v7, v7, 23, v11
	v_or3_b32 v6, v6, v7, v10
	v_lshrrev_b32_e32 v11, 16, v6
.LBB715_644:
	s_or_b64 exec, exec, s[8:9]
.LBB715_645:
	s_or_b64 exec, exec, s[6:7]
.LBB715_646:
	s_or_b64 exec, exec, s[0:1]
	s_mov_b32 s0, 0x5040100
	v_perm_b32 v7, v18, v17, s0
	v_perm_b32 v6, v13, v16, s0
	;; [unrolled: 1-line block ×4, first 2 shown]
	v_mfma_f32_4x4x4bf16_1k a[0:3], v[14:15], v[6:7], a[0:3] cbsz:4 abid:8
	v_mov_b32_e32 v12, 0
	v_mfma_f32_4x4x4bf16_1k a[0:3], v[14:15], v[10:11], a[0:3] cbsz:4 abid:9
	v_mov_b32_e32 v11, 0
	v_cmp_ne_u16_sdwa s[6:7], v8, v11 src0_sel:BYTE_0 src1_sel:DWORD
	s_and_saveexec_b64 s[0:1], s[6:7]
	s_cbranch_execz .LBB715_652
; %bb.647:
	s_movk_i32 s3, 0x80
	v_cmp_ne_u16_sdwa s[8:9], v8, s3 src0_sel:BYTE_0 src1_sel:DWORD
	v_mov_b32_e32 v12, 0xffff8000
	s_and_saveexec_b64 s[6:7], s[8:9]
	s_cbranch_execz .LBB715_651
; %bb.648:
	s_movk_i32 s3, 0x7f
	v_and_b32_e32 v6, 0x7f, v8
	v_cmp_ne_u32_e32 vcc, s3, v6
	v_mov_b32_e32 v12, 0x7f80
	s_and_saveexec_b64 s[8:9], vcc
	s_cbranch_execz .LBB715_650
; %bb.649:
	v_and_b32_e32 v7, 7, v8
	v_ffbh_u32_e32 v7, v7
	v_min_u32_e32 v7, 32, v7
	v_subrev_u32_e32 v12, 28, v7
	v_cmp_gt_u32_e32 vcc, 8, v6
	v_lshrrev_b32_e32 v10, 3, v6
	v_sub_u32_e32 v7, 29, v7
	v_cndmask_b32_e32 v6, 0, v12, vcc
	v_cndmask_b32_e32 v10, v10, v7, vcc
	v_lshlrev_b64 v[6:7], v6, v[8:9]
	v_lshlrev_b32_e32 v6, 20, v6
	v_lshlrev_b32_e32 v7, 24, v8
	v_bfrev_b32_e32 v12, 60
	v_and_b32_e32 v6, 0x700000, v6
	v_and_b32_e32 v7, 0x80000000, v7
	v_lshl_add_u32 v10, v10, 23, v12
	v_or3_b32 v6, v7, v10, v6
	v_lshrrev_b32_e32 v12, 16, v6
.LBB715_650:
	s_or_b64 exec, exec, s[8:9]
.LBB715_651:
	s_or_b64 exec, exec, s[6:7]
.LBB715_652:
	s_or_b64 exec, exec, s[0:1]
	v_lshrrev_b16_e32 v6, 8, v8
	v_cmp_ne_u16_e32 vcc, 0, v6
	s_and_saveexec_b64 s[0:1], vcc
	s_cbranch_execz .LBB715_658
; %bb.653:
	s_movk_i32 s3, 0x80
	v_cmp_ne_u16_e32 vcc, s3, v6
	v_mov_b32_e32 v11, 0xffff8000
	s_and_saveexec_b64 s[6:7], vcc
	s_cbranch_execz .LBB715_657
; %bb.654:
	s_movk_i32 s3, 0x7f
	v_and_b32_e32 v7, 0x7f, v6
	v_cmp_ne_u32_e32 vcc, s3, v7
	v_mov_b32_e32 v11, 0x7f80
	s_and_saveexec_b64 s[8:9], vcc
	s_cbranch_execz .LBB715_656
; %bb.655:
	v_and_b32_e32 v13, 7, v6
	v_ffbh_u32_e32 v10, v13
	v_min_u32_e32 v17, 32, v10
	v_subrev_u32_e32 v10, 28, v17
	v_lshlrev_b64 v[10:11], v10, v[6:7]
	v_lshrrev_b32_e32 v16, 3, v7
	v_sub_u32_e32 v6, 29, v17
	v_and_b32_e32 v10, 7, v10
	v_cmp_gt_u32_e32 vcc, 8, v7
	v_cndmask_b32_e32 v6, v16, v6, vcc
	v_cndmask_b32_e32 v7, v13, v10, vcc
	v_lshlrev_b32_e32 v10, 16, v8
	v_bfrev_b32_e32 v11, 60
	v_lshlrev_b32_e32 v7, 20, v7
	v_and_b32_e32 v10, 0x80000000, v10
	v_lshl_add_u32 v6, v6, 23, v11
	v_or3_b32 v6, v10, v6, v7
	v_lshrrev_b32_e32 v11, 16, v6
.LBB715_656:
	s_or_b64 exec, exec, s[8:9]
.LBB715_657:
	s_or_b64 exec, exec, s[6:7]
.LBB715_658:
	s_or_b64 exec, exec, s[0:1]
	s_movk_i32 s0, 0xff
	v_and_b32_sdwa v10, v8, s0 dst_sel:DWORD dst_unused:UNUSED_PAD src0_sel:WORD_1 src1_sel:DWORD
	v_lshrrev_b32_e32 v6, 16, v8
	v_cmp_ne_u16_e32 vcc, 0, v10
	v_mov_b32_e32 v7, 0
	v_mov_b32_e32 v13, 0
	s_and_saveexec_b64 s[0:1], vcc
	s_cbranch_execz .LBB715_664
; %bb.659:
	s_movk_i32 s3, 0x80
	v_cmp_ne_u16_e32 vcc, s3, v10
	v_mov_b32_e32 v13, 0xffff8000
	s_and_saveexec_b64 s[6:7], vcc
	s_cbranch_execz .LBB715_663
; %bb.660:
	v_bfe_u32 v10, v8, 16, 7
	s_movk_i32 s3, 0x7f
	v_cmp_ne_u32_e32 vcc, s3, v10
	v_mov_b32_e32 v13, 0x7f80
	s_and_saveexec_b64 s[8:9], vcc
	s_cbranch_execz .LBB715_662
; %bb.661:
	v_and_b32_e32 v13, 7, v6
	v_ffbh_u32_e32 v16, v13
	v_min_u32_e32 v19, 32, v16
	v_subrev_u32_e32 v16, 28, v19
	v_lshlrev_b64 v[16:17], v16, v[6:7]
	v_and_b32_e32 v16, 7, v16
	v_cmp_gt_u32_e32 vcc, 8, v10
	v_lshrrev_b32_e32 v18, 3, v10
	v_sub_u32_e32 v6, 29, v19
	v_cndmask_b32_e32 v10, v13, v16, vcc
	v_mov_b32_e32 v13, 24
	v_cndmask_b32_e32 v6, v18, v6, vcc
	v_lshlrev_b32_sdwa v13, v13, v8 dst_sel:DWORD dst_unused:UNUSED_PAD src0_sel:DWORD src1_sel:WORD_1
	v_bfrev_b32_e32 v16, 60
	v_lshlrev_b32_e32 v10, 20, v10
	v_and_b32_e32 v13, 0x80000000, v13
	v_lshl_add_u32 v6, v6, 23, v16
	v_or3_b32 v6, v13, v6, v10
	v_lshrrev_b32_e32 v13, 16, v6
.LBB715_662:
	s_or_b64 exec, exec, s[8:9]
.LBB715_663:
	s_or_b64 exec, exec, s[6:7]
.LBB715_664:
	s_or_b64 exec, exec, s[0:1]
	s_mov_b32 s0, 0xffffff
	v_cmp_lt_u32_e32 vcc, s0, v8
	v_mov_b32_e32 v16, 0
	s_and_saveexec_b64 s[0:1], vcc
	s_cbranch_execz .LBB715_670
; %bb.665:
	v_lshrrev_b32_e32 v6, 24, v8
	s_movk_i32 s3, 0x80
	v_cmp_ne_u32_e32 vcc, s3, v6
	v_mov_b32_e32 v16, 0xffff8000
	s_and_saveexec_b64 s[6:7], vcc
	s_cbranch_execz .LBB715_669
; %bb.666:
	v_bfe_u32 v10, v8, 24, 7
	s_movk_i32 s3, 0x7f
	v_cmp_ne_u32_e32 vcc, s3, v10
	v_mov_b32_e32 v16, 0x7f80
	s_and_saveexec_b64 s[8:9], vcc
	s_cbranch_execz .LBB715_668
; %bb.667:
	v_and_b32_e32 v18, 7, v6
	v_ffbh_u32_e32 v16, v18
	v_min_u32_e32 v20, 32, v16
	v_subrev_u32_e32 v16, 28, v20
	v_lshlrev_b64 v[16:17], v16, v[6:7]
	v_lshrrev_b32_e32 v19, 3, v10
	v_sub_u32_e32 v17, 29, v20
	v_and_b32_e32 v16, 7, v16
	v_cmp_gt_u32_e32 vcc, 8, v10
	v_cndmask_b32_e32 v10, v19, v17, vcc
	v_cndmask_b32_e32 v16, v18, v16, vcc
	v_lshlrev_b32_e32 v6, 24, v6
	v_bfrev_b32_e32 v17, 60
	v_lshlrev_b32_e32 v16, 20, v16
	v_and_b32_e32 v6, 0x80000000, v6
	v_lshl_add_u32 v10, v10, 23, v17
	v_or3_b32 v6, v6, v10, v16
	v_lshrrev_b32_e32 v16, 16, v6
.LBB715_668:
	s_or_b64 exec, exec, s[8:9]
.LBB715_669:
	s_or_b64 exec, exec, s[6:7]
.LBB715_670:
	s_or_b64 exec, exec, s[0:1]
	v_mov_b32_e32 v17, 0
	v_mov_b32_e32 v6, v9
	v_cmp_ne_u16_sdwa s[6:7], v9, v17 src0_sel:BYTE_0 src1_sel:DWORD
	v_mov_b32_e32 v18, 0
	s_and_saveexec_b64 s[0:1], s[6:7]
	s_cbranch_execz .LBB715_676
; %bb.671:
	s_movk_i32 s3, 0x80
	v_cmp_ne_u16_sdwa s[8:9], v9, s3 src0_sel:BYTE_0 src1_sel:DWORD
	v_mov_b32_e32 v18, 0xffff8000
	s_and_saveexec_b64 s[6:7], s[8:9]
	s_cbranch_execz .LBB715_675
; %bb.672:
	s_movk_i32 s3, 0x7f
	v_and_b32_e32 v10, 0x7f, v9
	v_cmp_ne_u32_e32 vcc, s3, v10
	v_mov_b32_e32 v18, 0x7f80
	s_and_saveexec_b64 s[8:9], vcc
	s_cbranch_execz .LBB715_674
; %bb.673:
	v_and_b32_e32 v18, 7, v9
	v_ffbh_u32_e32 v18, v18
	v_min_u32_e32 v18, 32, v18
	v_lshrrev_b32_e32 v19, 3, v10
	v_subrev_u32_e32 v20, 28, v18
	v_sub_u32_e32 v18, 29, v18
	v_cmp_gt_u32_e32 vcc, 8, v10
	v_cndmask_b32_e32 v10, v19, v18, vcc
	v_cndmask_b32_e32 v18, 0, v20, vcc
	v_lshlrev_b64 v[18:19], v18, v[6:7]
	v_lshlrev_b32_e32 v7, 20, v18
	v_lshlrev_b32_e32 v18, 24, v6
	v_bfrev_b32_e32 v19, 60
	v_and_b32_e32 v7, 0x700000, v7
	v_and_b32_e32 v18, 0x80000000, v18
	v_lshl_add_u32 v10, v10, 23, v19
	v_or3_b32 v7, v18, v10, v7
	v_lshrrev_b32_e32 v18, 16, v7
.LBB715_674:
	s_or_b64 exec, exec, s[8:9]
.LBB715_675:
	s_or_b64 exec, exec, s[6:7]
.LBB715_676:
	s_or_b64 exec, exec, s[0:1]
	v_lshrrev_b16_e32 v10, 8, v6
	v_cmp_ne_u16_e32 vcc, 0, v10
	s_and_saveexec_b64 s[0:1], vcc
	s_cbranch_execz .LBB715_682
; %bb.677:
	s_movk_i32 s3, 0x80
	v_cmp_ne_u16_e32 vcc, s3, v10
	v_mov_b32_e32 v17, 0xffff8000
	s_and_saveexec_b64 s[6:7], vcc
	s_cbranch_execz .LBB715_681
; %bb.678:
	s_movk_i32 s3, 0x7f
	v_and_b32_e32 v7, 0x7f, v10
	v_cmp_ne_u32_e32 vcc, s3, v7
	v_mov_b32_e32 v17, 0x7f80
	s_and_saveexec_b64 s[8:9], vcc
	s_cbranch_execz .LBB715_680
; %bb.679:
	v_and_b32_e32 v17, 7, v10
	v_ffbh_u32_e32 v20, v17
	v_min_u32_e32 v22, 32, v20
	v_subrev_u32_e32 v20, 28, v22
	v_lshlrev_b64 v[20:21], v20, v[10:11]
	v_lshrrev_b32_e32 v19, 3, v7
	v_sub_u32_e32 v10, 29, v22
	v_and_b32_e32 v20, 7, v20
	v_cmp_gt_u32_e32 vcc, 8, v7
	v_cndmask_b32_e32 v7, v19, v10, vcc
	v_cndmask_b32_e32 v10, v17, v20, vcc
	v_lshlrev_b32_e32 v6, 16, v6
	v_bfrev_b32_e32 v17, 60
	v_lshlrev_b32_e32 v10, 20, v10
	v_and_b32_e32 v6, 0x80000000, v6
	v_lshl_add_u32 v7, v7, 23, v17
	v_or3_b32 v6, v6, v7, v10
	v_lshrrev_b32_e32 v17, 16, v6
.LBB715_680:
	s_or_b64 exec, exec, s[8:9]
.LBB715_681:
	s_or_b64 exec, exec, s[6:7]
.LBB715_682:
	s_or_b64 exec, exec, s[0:1]
	s_movk_i32 s0, 0xff
	v_and_b32_sdwa v19, v9, s0 dst_sel:DWORD dst_unused:UNUSED_PAD src0_sel:WORD_1 src1_sel:DWORD
	v_lshrrev_b32_e32 v6, 16, v9
	v_cmp_ne_u16_e32 vcc, 0, v19
	v_mov_b32_e32 v7, 0
	v_mov_b32_e32 v10, 0
	s_and_saveexec_b64 s[0:1], vcc
	s_cbranch_execz .LBB715_688
; %bb.683:
	s_movk_i32 s3, 0x80
	v_cmp_ne_u16_e32 vcc, s3, v19
	v_mov_b32_e32 v10, 0xffff8000
	s_and_saveexec_b64 s[6:7], vcc
	s_cbranch_execz .LBB715_687
; %bb.684:
	v_bfe_u32 v19, v9, 16, 7
	s_movk_i32 s3, 0x7f
	v_cmp_ne_u32_e32 vcc, s3, v19
	v_mov_b32_e32 v10, 0x7f80
	s_and_saveexec_b64 s[8:9], vcc
	s_cbranch_execz .LBB715_686
; %bb.685:
	v_and_b32_e32 v10, 7, v6
	v_ffbh_u32_e32 v20, v10
	v_min_u32_e32 v23, 32, v20
	v_subrev_u32_e32 v20, 28, v23
	v_lshlrev_b64 v[20:21], v20, v[6:7]
	v_lshrrev_b32_e32 v22, 3, v19
	v_sub_u32_e32 v6, 29, v23
	v_and_b32_e32 v20, 7, v20
	v_cmp_gt_u32_e32 vcc, 8, v19
	v_mov_b32_e32 v19, 24
	v_cndmask_b32_e32 v6, v22, v6, vcc
	v_cndmask_b32_e32 v10, v10, v20, vcc
	v_lshlrev_b32_sdwa v19, v19, v9 dst_sel:DWORD dst_unused:UNUSED_PAD src0_sel:DWORD src1_sel:WORD_1
	v_bfrev_b32_e32 v20, 60
	v_lshlrev_b32_e32 v10, 20, v10
	v_and_b32_e32 v19, 0x80000000, v19
	v_lshl_add_u32 v6, v6, 23, v20
	v_or3_b32 v6, v19, v6, v10
	v_lshrrev_b32_e32 v10, 16, v6
.LBB715_686:
	s_or_b64 exec, exec, s[8:9]
.LBB715_687:
	s_or_b64 exec, exec, s[6:7]
.LBB715_688:
	s_or_b64 exec, exec, s[0:1]
	s_mov_b32 s0, -1
	s_mov_b32 s1, 0xffffff
	v_cmp_lt_u64_e32 vcc, s[0:1], v[8:9]
	s_and_saveexec_b64 s[0:1], vcc
	s_cbranch_execz .LBB715_694
; %bb.689:
	v_lshrrev_b32_e32 v6, 24, v9
	s_movk_i32 s3, 0x80
	v_cmp_ne_u32_e32 vcc, s3, v6
	v_mov_b32_e32 v7, 0xffff8000
	s_and_saveexec_b64 s[6:7], vcc
	s_cbranch_execz .LBB715_693
; %bb.690:
	v_bfe_u32 v8, v9, 24, 7
	s_movk_i32 s3, 0x7f
	v_cmp_ne_u32_e32 vcc, s3, v8
	v_mov_b32_e32 v7, 0x7f80
	s_and_saveexec_b64 s[8:9], vcc
	s_cbranch_execz .LBB715_692
; %bb.691:
	v_and_b32_e32 v7, 7, v6
	v_ffbh_u32_e32 v19, v7
	v_min_u32_e32 v19, 32, v19
	v_subrev_u32_e32 v20, 28, v19
	v_lshlrev_b64 v[20:21], v20, v[6:7]
	v_lshrrev_b32_e32 v9, 3, v8
	v_sub_u32_e32 v19, 29, v19
	v_and_b32_e32 v20, 7, v20
	v_cmp_gt_u32_e32 vcc, 8, v8
	v_cndmask_b32_e32 v8, v9, v19, vcc
	v_cndmask_b32_e32 v7, v7, v20, vcc
	v_lshlrev_b32_e32 v6, 24, v6
	v_bfrev_b32_e32 v9, 60
	v_lshlrev_b32_e32 v7, 20, v7
	v_and_b32_e32 v6, 0x80000000, v6
	v_lshl_add_u32 v8, v8, 23, v9
	v_or3_b32 v6, v6, v8, v7
	v_lshrrev_b32_e32 v7, 16, v6
.LBB715_692:
	s_or_b64 exec, exec, s[8:9]
.LBB715_693:
	s_or_b64 exec, exec, s[6:7]
.LBB715_694:
	s_or_b64 exec, exec, s[0:1]
	s_mov_b32 s0, 0x5040100
	v_perm_b32 v9, v16, v13, s0
	v_perm_b32 v8, v11, v12, s0
	;; [unrolled: 1-line block ×4, first 2 shown]
	v_mfma_f32_4x4x4bf16_1k a[0:3], v[14:15], v[8:9], a[0:3] cbsz:4 abid:10
	v_mov_b32_e32 v9, 0
	v_mfma_f32_4x4x4bf16_1k a[0:3], v[14:15], v[6:7], a[0:3] cbsz:4 abid:11
	v_cmp_ne_u16_sdwa s[6:7], v2, v9 src0_sel:BYTE_0 src1_sel:DWORD
	v_mov_b32_e32 v10, 0
	s_and_saveexec_b64 s[0:1], s[6:7]
	s_cbranch_execz .LBB715_700
; %bb.695:
	s_movk_i32 s3, 0x80
	v_cmp_ne_u16_sdwa s[8:9], v2, s3 src0_sel:BYTE_0 src1_sel:DWORD
	v_mov_b32_e32 v10, 0xffff8000
	s_and_saveexec_b64 s[6:7], s[8:9]
	s_cbranch_execz .LBB715_699
; %bb.696:
	s_movk_i32 s3, 0x7f
	v_and_b32_e32 v6, 0x7f, v2
	v_cmp_ne_u32_e32 vcc, s3, v6
	v_mov_b32_e32 v10, 0x7f80
	s_and_saveexec_b64 s[8:9], vcc
	s_cbranch_execz .LBB715_698
; %bb.697:
	v_and_b32_e32 v7, 7, v2
	v_ffbh_u32_e32 v7, v7
	v_min_u32_e32 v7, 32, v7
	v_subrev_u32_e32 v10, 28, v7
	v_cmp_gt_u32_e32 vcc, 8, v6
	v_lshrrev_b32_e32 v8, 3, v6
	v_sub_u32_e32 v7, 29, v7
	v_cndmask_b32_e32 v6, 0, v10, vcc
	v_cndmask_b32_e32 v8, v8, v7, vcc
	v_lshlrev_b64 v[6:7], v6, v[2:3]
	v_lshlrev_b32_e32 v6, 20, v6
	v_lshlrev_b32_e32 v7, 24, v2
	v_bfrev_b32_e32 v10, 60
	v_and_b32_e32 v6, 0x700000, v6
	v_and_b32_e32 v7, 0x80000000, v7
	v_lshl_add_u32 v8, v8, 23, v10
	v_or3_b32 v6, v7, v8, v6
	v_lshrrev_b32_e32 v10, 16, v6
.LBB715_698:
	s_or_b64 exec, exec, s[8:9]
.LBB715_699:
	s_or_b64 exec, exec, s[6:7]
.LBB715_700:
	s_or_b64 exec, exec, s[0:1]
	v_lshrrev_b16_e32 v6, 8, v2
	v_cmp_ne_u16_e32 vcc, 0, v6
	s_and_saveexec_b64 s[0:1], vcc
	s_cbranch_execz .LBB715_706
; %bb.701:
	s_movk_i32 s3, 0x80
	v_cmp_ne_u16_e32 vcc, s3, v6
	v_mov_b32_e32 v9, 0xffff8000
	s_and_saveexec_b64 s[6:7], vcc
	s_cbranch_execz .LBB715_705
; %bb.702:
	s_movk_i32 s3, 0x7f
	v_and_b32_e32 v7, 0x7f, v6
	v_cmp_ne_u32_e32 vcc, s3, v7
	v_mov_b32_e32 v9, 0x7f80
	s_and_saveexec_b64 s[8:9], vcc
	s_cbranch_execz .LBB715_704
; %bb.703:
	v_and_b32_e32 v11, 7, v6
	v_ffbh_u32_e32 v8, v11
	v_min_u32_e32 v13, 32, v8
	v_subrev_u32_e32 v8, 28, v13
	v_lshlrev_b64 v[8:9], v8, v[6:7]
	v_lshrrev_b32_e32 v12, 3, v7
	v_sub_u32_e32 v6, 29, v13
	v_and_b32_e32 v8, 7, v8
	v_cmp_gt_u32_e32 vcc, 8, v7
	v_cndmask_b32_e32 v6, v12, v6, vcc
	v_cndmask_b32_e32 v7, v11, v8, vcc
	v_lshlrev_b32_e32 v8, 16, v2
	v_bfrev_b32_e32 v9, 60
	v_lshlrev_b32_e32 v7, 20, v7
	v_and_b32_e32 v8, 0x80000000, v8
	v_lshl_add_u32 v6, v6, 23, v9
	v_or3_b32 v6, v8, v6, v7
	v_lshrrev_b32_e32 v9, 16, v6
.LBB715_704:
	s_or_b64 exec, exec, s[8:9]
.LBB715_705:
	s_or_b64 exec, exec, s[6:7]
.LBB715_706:
	s_or_b64 exec, exec, s[0:1]
	s_movk_i32 s0, 0xff
	v_and_b32_sdwa v8, v2, s0 dst_sel:DWORD dst_unused:UNUSED_PAD src0_sel:WORD_1 src1_sel:DWORD
	v_lshrrev_b32_e32 v6, 16, v2
	v_cmp_ne_u16_e32 vcc, 0, v8
	v_mov_b32_e32 v7, 0
	v_mov_b32_e32 v11, 0
	s_and_saveexec_b64 s[0:1], vcc
	s_cbranch_execz .LBB715_712
; %bb.707:
	s_movk_i32 s3, 0x80
	v_cmp_ne_u16_e32 vcc, s3, v8
	v_mov_b32_e32 v11, 0xffff8000
	s_and_saveexec_b64 s[6:7], vcc
	s_cbranch_execz .LBB715_711
; %bb.708:
	v_bfe_u32 v8, v2, 16, 7
	s_movk_i32 s3, 0x7f
	v_cmp_ne_u32_e32 vcc, s3, v8
	v_mov_b32_e32 v11, 0x7f80
	s_and_saveexec_b64 s[8:9], vcc
	s_cbranch_execz .LBB715_710
; %bb.709:
	v_and_b32_e32 v11, 7, v6
	v_ffbh_u32_e32 v12, v11
	v_min_u32_e32 v17, 32, v12
	v_subrev_u32_e32 v12, 28, v17
	v_lshlrev_b64 v[12:13], v12, v[6:7]
	v_and_b32_e32 v12, 7, v12
	v_cmp_gt_u32_e32 vcc, 8, v8
	v_lshrrev_b32_e32 v16, 3, v8
	v_sub_u32_e32 v6, 29, v17
	v_cndmask_b32_e32 v8, v11, v12, vcc
	v_mov_b32_e32 v11, 24
	v_cndmask_b32_e32 v6, v16, v6, vcc
	v_lshlrev_b32_sdwa v11, v11, v2 dst_sel:DWORD dst_unused:UNUSED_PAD src0_sel:DWORD src1_sel:WORD_1
	v_bfrev_b32_e32 v12, 60
	v_lshlrev_b32_e32 v8, 20, v8
	v_and_b32_e32 v11, 0x80000000, v11
	v_lshl_add_u32 v6, v6, 23, v12
	v_or3_b32 v6, v11, v6, v8
	v_lshrrev_b32_e32 v11, 16, v6
.LBB715_710:
	s_or_b64 exec, exec, s[8:9]
.LBB715_711:
	s_or_b64 exec, exec, s[6:7]
.LBB715_712:
	s_or_b64 exec, exec, s[0:1]
	s_mov_b32 s0, 0xffffff
	v_cmp_lt_u32_e32 vcc, s0, v2
	v_mov_b32_e32 v12, 0
	s_and_saveexec_b64 s[0:1], vcc
	s_cbranch_execz .LBB715_718
; %bb.713:
	v_lshrrev_b32_e32 v6, 24, v2
	s_movk_i32 s3, 0x80
	v_cmp_ne_u32_e32 vcc, s3, v6
	v_mov_b32_e32 v12, 0xffff8000
	s_and_saveexec_b64 s[6:7], vcc
	s_cbranch_execz .LBB715_717
; %bb.714:
	v_bfe_u32 v8, v2, 24, 7
	s_movk_i32 s3, 0x7f
	v_cmp_ne_u32_e32 vcc, s3, v8
	v_mov_b32_e32 v12, 0x7f80
	s_and_saveexec_b64 s[8:9], vcc
	s_cbranch_execz .LBB715_716
; %bb.715:
	v_and_b32_e32 v16, 7, v6
	v_ffbh_u32_e32 v12, v16
	v_min_u32_e32 v18, 32, v12
	v_subrev_u32_e32 v12, 28, v18
	v_lshlrev_b64 v[12:13], v12, v[6:7]
	v_lshrrev_b32_e32 v17, 3, v8
	v_sub_u32_e32 v13, 29, v18
	v_and_b32_e32 v12, 7, v12
	v_cmp_gt_u32_e32 vcc, 8, v8
	v_cndmask_b32_e32 v8, v17, v13, vcc
	v_cndmask_b32_e32 v12, v16, v12, vcc
	v_lshlrev_b32_e32 v6, 24, v6
	v_bfrev_b32_e32 v13, 60
	v_lshlrev_b32_e32 v12, 20, v12
	v_and_b32_e32 v6, 0x80000000, v6
	v_lshl_add_u32 v8, v8, 23, v13
	v_or3_b32 v6, v6, v8, v12
	v_lshrrev_b32_e32 v12, 16, v6
.LBB715_716:
	s_or_b64 exec, exec, s[8:9]
.LBB715_717:
	s_or_b64 exec, exec, s[6:7]
.LBB715_718:
	s_or_b64 exec, exec, s[0:1]
	v_mov_b32_e32 v13, 0
	v_mov_b32_e32 v6, v3
	v_cmp_ne_u16_sdwa s[6:7], v3, v13 src0_sel:BYTE_0 src1_sel:DWORD
	v_mov_b32_e32 v16, 0
	s_and_saveexec_b64 s[0:1], s[6:7]
	s_cbranch_execz .LBB715_724
; %bb.719:
	s_movk_i32 s3, 0x80
	v_cmp_ne_u16_sdwa s[8:9], v3, s3 src0_sel:BYTE_0 src1_sel:DWORD
	v_mov_b32_e32 v16, 0xffff8000
	s_and_saveexec_b64 s[6:7], s[8:9]
	s_cbranch_execz .LBB715_723
; %bb.720:
	s_movk_i32 s3, 0x7f
	v_and_b32_e32 v8, 0x7f, v3
	v_cmp_ne_u32_e32 vcc, s3, v8
	v_mov_b32_e32 v16, 0x7f80
	s_and_saveexec_b64 s[8:9], vcc
	s_cbranch_execz .LBB715_722
; %bb.721:
	v_and_b32_e32 v16, 7, v3
	v_ffbh_u32_e32 v16, v16
	v_min_u32_e32 v16, 32, v16
	v_lshrrev_b32_e32 v17, 3, v8
	v_subrev_u32_e32 v18, 28, v16
	v_sub_u32_e32 v16, 29, v16
	v_cmp_gt_u32_e32 vcc, 8, v8
	v_cndmask_b32_e32 v8, v17, v16, vcc
	v_cndmask_b32_e32 v16, 0, v18, vcc
	v_lshlrev_b64 v[16:17], v16, v[6:7]
	v_lshlrev_b32_e32 v7, 20, v16
	v_lshlrev_b32_e32 v16, 24, v6
	v_bfrev_b32_e32 v17, 60
	v_and_b32_e32 v7, 0x700000, v7
	v_and_b32_e32 v16, 0x80000000, v16
	v_lshl_add_u32 v8, v8, 23, v17
	v_or3_b32 v7, v16, v8, v7
	v_lshrrev_b32_e32 v16, 16, v7
.LBB715_722:
	s_or_b64 exec, exec, s[8:9]
.LBB715_723:
	s_or_b64 exec, exec, s[6:7]
.LBB715_724:
	s_or_b64 exec, exec, s[0:1]
	v_lshrrev_b16_e32 v8, 8, v6
	v_cmp_ne_u16_e32 vcc, 0, v8
	s_and_saveexec_b64 s[0:1], vcc
	s_cbranch_execz .LBB715_730
; %bb.725:
	s_movk_i32 s3, 0x80
	v_cmp_ne_u16_e32 vcc, s3, v8
	v_mov_b32_e32 v13, 0xffff8000
	s_and_saveexec_b64 s[6:7], vcc
	s_cbranch_execz .LBB715_729
; %bb.726:
	s_movk_i32 s3, 0x7f
	v_and_b32_e32 v7, 0x7f, v8
	v_cmp_ne_u32_e32 vcc, s3, v7
	v_mov_b32_e32 v13, 0x7f80
	s_and_saveexec_b64 s[8:9], vcc
	s_cbranch_execz .LBB715_728
; %bb.727:
	v_and_b32_e32 v13, 7, v8
	v_ffbh_u32_e32 v18, v13
	v_min_u32_e32 v20, 32, v18
	v_subrev_u32_e32 v18, 28, v20
	v_lshlrev_b64 v[18:19], v18, v[8:9]
	v_lshrrev_b32_e32 v17, 3, v7
	v_sub_u32_e32 v8, 29, v20
	v_and_b32_e32 v18, 7, v18
	v_cmp_gt_u32_e32 vcc, 8, v7
	v_cndmask_b32_e32 v7, v17, v8, vcc
	v_cndmask_b32_e32 v8, v13, v18, vcc
	v_lshlrev_b32_e32 v6, 16, v6
	v_bfrev_b32_e32 v13, 60
	v_lshlrev_b32_e32 v8, 20, v8
	v_and_b32_e32 v6, 0x80000000, v6
	v_lshl_add_u32 v7, v7, 23, v13
	v_or3_b32 v6, v6, v7, v8
	v_lshrrev_b32_e32 v13, 16, v6
.LBB715_728:
	s_or_b64 exec, exec, s[8:9]
.LBB715_729:
	s_or_b64 exec, exec, s[6:7]
.LBB715_730:
	s_or_b64 exec, exec, s[0:1]
	s_movk_i32 s0, 0xff
	v_and_b32_sdwa v17, v3, s0 dst_sel:DWORD dst_unused:UNUSED_PAD src0_sel:WORD_1 src1_sel:DWORD
	v_lshrrev_b32_e32 v6, 16, v3
	v_cmp_ne_u16_e32 vcc, 0, v17
	v_mov_b32_e32 v7, 0
	v_mov_b32_e32 v8, 0
	s_and_saveexec_b64 s[0:1], vcc
	s_cbranch_execz .LBB715_736
; %bb.731:
	s_movk_i32 s3, 0x80
	v_cmp_ne_u16_e32 vcc, s3, v17
	v_mov_b32_e32 v8, 0xffff8000
	s_and_saveexec_b64 s[6:7], vcc
	s_cbranch_execz .LBB715_735
; %bb.732:
	v_bfe_u32 v17, v3, 16, 7
	s_movk_i32 s3, 0x7f
	v_cmp_ne_u32_e32 vcc, s3, v17
	v_mov_b32_e32 v8, 0x7f80
	s_and_saveexec_b64 s[8:9], vcc
	s_cbranch_execz .LBB715_734
; %bb.733:
	v_and_b32_e32 v8, 7, v6
	v_ffbh_u32_e32 v18, v8
	v_min_u32_e32 v21, 32, v18
	v_subrev_u32_e32 v18, 28, v21
	v_lshlrev_b64 v[18:19], v18, v[6:7]
	v_lshrrev_b32_e32 v20, 3, v17
	v_sub_u32_e32 v6, 29, v21
	v_and_b32_e32 v18, 7, v18
	v_cmp_gt_u32_e32 vcc, 8, v17
	v_mov_b32_e32 v17, 24
	v_cndmask_b32_e32 v6, v20, v6, vcc
	v_cndmask_b32_e32 v8, v8, v18, vcc
	v_lshlrev_b32_sdwa v17, v17, v3 dst_sel:DWORD dst_unused:UNUSED_PAD src0_sel:DWORD src1_sel:WORD_1
	v_bfrev_b32_e32 v18, 60
	v_lshlrev_b32_e32 v8, 20, v8
	v_and_b32_e32 v17, 0x80000000, v17
	v_lshl_add_u32 v6, v6, 23, v18
	v_or3_b32 v6, v17, v6, v8
	v_lshrrev_b32_e32 v8, 16, v6
.LBB715_734:
	s_or_b64 exec, exec, s[8:9]
.LBB715_735:
	s_or_b64 exec, exec, s[6:7]
.LBB715_736:
	s_or_b64 exec, exec, s[0:1]
	s_mov_b32 s0, -1
	s_mov_b32 s1, 0xffffff
	v_cmp_lt_u64_e32 vcc, s[0:1], v[2:3]
	s_and_saveexec_b64 s[0:1], vcc
	s_cbranch_execz .LBB715_742
; %bb.737:
	v_lshrrev_b32_e32 v2, 24, v3
	s_movk_i32 s3, 0x80
	v_cmp_ne_u32_e32 vcc, s3, v2
	v_mov_b32_e32 v7, 0xffff8000
	s_and_saveexec_b64 s[6:7], vcc
	s_cbranch_execz .LBB715_741
; %bb.738:
	v_bfe_u32 v3, v3, 24, 7
	s_movk_i32 s3, 0x7f
	v_cmp_ne_u32_e32 vcc, s3, v3
	v_mov_b32_e32 v7, 0x7f80
	s_and_saveexec_b64 s[8:9], vcc
	s_cbranch_execz .LBB715_740
; %bb.739:
	v_and_b32_e32 v17, 7, v2
	v_ffbh_u32_e32 v6, v17
	v_min_u32_e32 v19, 32, v6
	v_subrev_u32_e32 v6, 28, v19
	v_lshlrev_b64 v[6:7], v6, v[2:3]
	v_lshrrev_b32_e32 v18, 3, v3
	v_sub_u32_e32 v7, 29, v19
	v_and_b32_e32 v6, 7, v6
	v_cmp_gt_u32_e32 vcc, 8, v3
	v_cndmask_b32_e32 v3, v18, v7, vcc
	v_cndmask_b32_e32 v6, v17, v6, vcc
	v_lshlrev_b32_e32 v2, 24, v2
	v_bfrev_b32_e32 v7, 60
	v_lshlrev_b32_e32 v6, 20, v6
	v_and_b32_e32 v2, 0x80000000, v2
	v_lshl_add_u32 v3, v3, 23, v7
	v_or3_b32 v2, v2, v3, v6
	v_lshrrev_b32_e32 v7, 16, v2
.LBB715_740:
	s_or_b64 exec, exec, s[8:9]
.LBB715_741:
	s_or_b64 exec, exec, s[6:7]
.LBB715_742:
	s_or_b64 exec, exec, s[0:1]
	s_mov_b32 s0, 0x5040100
	v_perm_b32 v3, v12, v11, s0
	v_perm_b32 v2, v9, v10, s0
	;; [unrolled: 1-line block ×4, first 2 shown]
	v_mfma_f32_4x4x4bf16_1k a[0:3], v[14:15], v[2:3], a[0:3] cbsz:4 abid:12
	v_mov_b32_e32 v8, 0
	v_mfma_f32_4x4x4bf16_1k a[0:3], v[14:15], v[6:7], a[0:3] cbsz:4 abid:13
	v_mov_b32_e32 v7, 0
	v_cmp_ne_u16_sdwa s[6:7], v4, v7 src0_sel:BYTE_0 src1_sel:DWORD
	s_and_saveexec_b64 s[0:1], s[6:7]
	s_cbranch_execz .LBB715_748
; %bb.743:
	s_movk_i32 s3, 0x80
	v_cmp_ne_u16_sdwa s[8:9], v4, s3 src0_sel:BYTE_0 src1_sel:DWORD
	v_mov_b32_e32 v8, 0xffff8000
	s_and_saveexec_b64 s[6:7], s[8:9]
	s_cbranch_execz .LBB715_747
; %bb.744:
	s_movk_i32 s3, 0x7f
	v_and_b32_e32 v2, 0x7f, v4
	v_cmp_ne_u32_e32 vcc, s3, v2
	v_mov_b32_e32 v8, 0x7f80
	s_and_saveexec_b64 s[8:9], vcc
	s_cbranch_execz .LBB715_746
; %bb.745:
	v_and_b32_e32 v3, 7, v4
	v_ffbh_u32_e32 v3, v3
	v_min_u32_e32 v3, 32, v3
	v_subrev_u32_e32 v8, 28, v3
	v_cmp_gt_u32_e32 vcc, 8, v2
	v_lshrrev_b32_e32 v6, 3, v2
	v_sub_u32_e32 v3, 29, v3
	v_cndmask_b32_e32 v2, 0, v8, vcc
	v_cndmask_b32_e32 v6, v6, v3, vcc
	v_lshlrev_b64 v[2:3], v2, v[4:5]
	v_lshlrev_b32_e32 v2, 20, v2
	v_lshlrev_b32_e32 v3, 24, v4
	v_bfrev_b32_e32 v8, 60
	v_and_b32_e32 v2, 0x700000, v2
	v_and_b32_e32 v3, 0x80000000, v3
	v_lshl_add_u32 v6, v6, 23, v8
	v_or3_b32 v2, v3, v6, v2
	v_lshrrev_b32_e32 v8, 16, v2
.LBB715_746:
	s_or_b64 exec, exec, s[8:9]
.LBB715_747:
	s_or_b64 exec, exec, s[6:7]
.LBB715_748:
	s_or_b64 exec, exec, s[0:1]
	v_lshrrev_b16_e32 v2, 8, v4
	v_cmp_ne_u16_e32 vcc, 0, v2
	s_and_saveexec_b64 s[0:1], vcc
	s_cbranch_execz .LBB715_754
; %bb.749:
	s_movk_i32 s3, 0x80
	v_cmp_ne_u16_e32 vcc, s3, v2
	v_mov_b32_e32 v7, 0xffff8000
	s_and_saveexec_b64 s[6:7], vcc
	s_cbranch_execz .LBB715_753
; %bb.750:
	s_movk_i32 s3, 0x7f
	v_and_b32_e32 v3, 0x7f, v2
	v_cmp_ne_u32_e32 vcc, s3, v3
	v_mov_b32_e32 v7, 0x7f80
	s_and_saveexec_b64 s[8:9], vcc
	s_cbranch_execz .LBB715_752
; %bb.751:
	v_and_b32_e32 v9, 7, v2
	v_ffbh_u32_e32 v6, v9
	v_min_u32_e32 v11, 32, v6
	v_subrev_u32_e32 v6, 28, v11
	v_lshlrev_b64 v[6:7], v6, v[2:3]
	v_lshrrev_b32_e32 v10, 3, v3
	v_sub_u32_e32 v2, 29, v11
	v_and_b32_e32 v6, 7, v6
	v_cmp_gt_u32_e32 vcc, 8, v3
	v_cndmask_b32_e32 v2, v10, v2, vcc
	v_cndmask_b32_e32 v3, v9, v6, vcc
	v_lshlrev_b32_e32 v6, 16, v4
	v_bfrev_b32_e32 v7, 60
	v_lshlrev_b32_e32 v3, 20, v3
	v_and_b32_e32 v6, 0x80000000, v6
	v_lshl_add_u32 v2, v2, 23, v7
	v_or3_b32 v2, v6, v2, v3
	v_lshrrev_b32_e32 v7, 16, v2
.LBB715_752:
	s_or_b64 exec, exec, s[8:9]
.LBB715_753:
	s_or_b64 exec, exec, s[6:7]
.LBB715_754:
	s_or_b64 exec, exec, s[0:1]
	s_movk_i32 s0, 0xff
	v_and_b32_sdwa v6, v4, s0 dst_sel:DWORD dst_unused:UNUSED_PAD src0_sel:WORD_1 src1_sel:DWORD
	v_lshrrev_b32_e32 v2, 16, v4
	v_cmp_ne_u16_e32 vcc, 0, v6
	v_mov_b32_e32 v3, 0
	v_mov_b32_e32 v9, 0
	s_and_saveexec_b64 s[0:1], vcc
	s_cbranch_execz .LBB715_760
; %bb.755:
	s_movk_i32 s3, 0x80
	v_cmp_ne_u16_e32 vcc, s3, v6
	v_mov_b32_e32 v9, 0xffff8000
	s_and_saveexec_b64 s[6:7], vcc
	s_cbranch_execz .LBB715_759
; %bb.756:
	v_bfe_u32 v6, v4, 16, 7
	s_movk_i32 s3, 0x7f
	v_cmp_ne_u32_e32 vcc, s3, v6
	v_mov_b32_e32 v9, 0x7f80
	s_and_saveexec_b64 s[8:9], vcc
	s_cbranch_execz .LBB715_758
; %bb.757:
	v_and_b32_e32 v9, 7, v2
	v_ffbh_u32_e32 v10, v9
	v_min_u32_e32 v13, 32, v10
	v_subrev_u32_e32 v10, 28, v13
	v_lshlrev_b64 v[10:11], v10, v[2:3]
	v_and_b32_e32 v10, 7, v10
	v_cmp_gt_u32_e32 vcc, 8, v6
	v_lshrrev_b32_e32 v12, 3, v6
	v_sub_u32_e32 v2, 29, v13
	v_cndmask_b32_e32 v6, v9, v10, vcc
	v_mov_b32_e32 v9, 24
	v_cndmask_b32_e32 v2, v12, v2, vcc
	v_lshlrev_b32_sdwa v9, v9, v4 dst_sel:DWORD dst_unused:UNUSED_PAD src0_sel:DWORD src1_sel:WORD_1
	v_bfrev_b32_e32 v10, 60
	v_lshlrev_b32_e32 v6, 20, v6
	v_and_b32_e32 v9, 0x80000000, v9
	v_lshl_add_u32 v2, v2, 23, v10
	v_or3_b32 v2, v9, v2, v6
	v_lshrrev_b32_e32 v9, 16, v2
.LBB715_758:
	s_or_b64 exec, exec, s[8:9]
.LBB715_759:
	s_or_b64 exec, exec, s[6:7]
.LBB715_760:
	s_or_b64 exec, exec, s[0:1]
	s_mov_b32 s0, 0xffffff
	v_cmp_lt_u32_e32 vcc, s0, v4
	v_mov_b32_e32 v10, 0
	s_and_saveexec_b64 s[0:1], vcc
	s_cbranch_execz .LBB715_766
; %bb.761:
	v_lshrrev_b32_e32 v2, 24, v4
	s_movk_i32 s3, 0x80
	v_cmp_ne_u32_e32 vcc, s3, v2
	v_mov_b32_e32 v10, 0xffff8000
	s_and_saveexec_b64 s[6:7], vcc
	s_cbranch_execz .LBB715_765
; %bb.762:
	v_bfe_u32 v6, v4, 24, 7
	s_movk_i32 s3, 0x7f
	v_cmp_ne_u32_e32 vcc, s3, v6
	v_mov_b32_e32 v10, 0x7f80
	s_and_saveexec_b64 s[8:9], vcc
	s_cbranch_execz .LBB715_764
; %bb.763:
	v_and_b32_e32 v12, 7, v2
	v_ffbh_u32_e32 v10, v12
	v_min_u32_e32 v16, 32, v10
	v_subrev_u32_e32 v10, 28, v16
	v_lshlrev_b64 v[10:11], v10, v[2:3]
	v_lshrrev_b32_e32 v13, 3, v6
	v_sub_u32_e32 v11, 29, v16
	v_and_b32_e32 v10, 7, v10
	v_cmp_gt_u32_e32 vcc, 8, v6
	v_cndmask_b32_e32 v6, v13, v11, vcc
	v_cndmask_b32_e32 v10, v12, v10, vcc
	v_lshlrev_b32_e32 v2, 24, v2
	v_bfrev_b32_e32 v11, 60
	v_lshlrev_b32_e32 v10, 20, v10
	v_and_b32_e32 v2, 0x80000000, v2
	v_lshl_add_u32 v6, v6, 23, v11
	v_or3_b32 v2, v2, v6, v10
	v_lshrrev_b32_e32 v10, 16, v2
.LBB715_764:
	s_or_b64 exec, exec, s[8:9]
.LBB715_765:
	s_or_b64 exec, exec, s[6:7]
.LBB715_766:
	s_or_b64 exec, exec, s[0:1]
	v_mov_b32_e32 v11, 0
	v_mov_b32_e32 v2, v5
	v_cmp_ne_u16_sdwa s[6:7], v5, v11 src0_sel:BYTE_0 src1_sel:DWORD
	v_mov_b32_e32 v12, 0
	s_and_saveexec_b64 s[0:1], s[6:7]
	s_cbranch_execz .LBB715_772
; %bb.767:
	s_movk_i32 s3, 0x80
	v_cmp_ne_u16_sdwa s[8:9], v5, s3 src0_sel:BYTE_0 src1_sel:DWORD
	v_mov_b32_e32 v12, 0xffff8000
	s_and_saveexec_b64 s[6:7], s[8:9]
	s_cbranch_execz .LBB715_771
; %bb.768:
	s_movk_i32 s3, 0x7f
	v_and_b32_e32 v6, 0x7f, v5
	v_cmp_ne_u32_e32 vcc, s3, v6
	v_mov_b32_e32 v12, 0x7f80
	s_and_saveexec_b64 s[8:9], vcc
	s_cbranch_execz .LBB715_770
; %bb.769:
	v_and_b32_e32 v12, 7, v5
	v_ffbh_u32_e32 v12, v12
	v_min_u32_e32 v12, 32, v12
	v_lshrrev_b32_e32 v13, 3, v6
	v_subrev_u32_e32 v16, 28, v12
	v_sub_u32_e32 v12, 29, v12
	v_cmp_gt_u32_e32 vcc, 8, v6
	v_cndmask_b32_e32 v6, v13, v12, vcc
	v_cndmask_b32_e32 v12, 0, v16, vcc
	v_lshlrev_b64 v[12:13], v12, v[2:3]
	v_lshlrev_b32_e32 v3, 20, v12
	v_lshlrev_b32_e32 v12, 24, v2
	v_bfrev_b32_e32 v13, 60
	v_and_b32_e32 v3, 0x700000, v3
	v_and_b32_e32 v12, 0x80000000, v12
	v_lshl_add_u32 v6, v6, 23, v13
	v_or3_b32 v3, v12, v6, v3
	v_lshrrev_b32_e32 v12, 16, v3
.LBB715_770:
	s_or_b64 exec, exec, s[8:9]
.LBB715_771:
	s_or_b64 exec, exec, s[6:7]
.LBB715_772:
	s_or_b64 exec, exec, s[0:1]
	v_lshrrev_b16_e32 v6, 8, v2
	v_cmp_ne_u16_e32 vcc, 0, v6
	s_and_saveexec_b64 s[0:1], vcc
	s_cbranch_execz .LBB715_778
; %bb.773:
	s_movk_i32 s3, 0x80
	v_cmp_ne_u16_e32 vcc, s3, v6
	v_mov_b32_e32 v11, 0xffff8000
	s_and_saveexec_b64 s[6:7], vcc
	s_cbranch_execz .LBB715_777
; %bb.774:
	s_movk_i32 s3, 0x7f
	v_and_b32_e32 v3, 0x7f, v6
	v_cmp_ne_u32_e32 vcc, s3, v3
	v_mov_b32_e32 v11, 0x7f80
	s_and_saveexec_b64 s[8:9], vcc
	s_cbranch_execz .LBB715_776
; %bb.775:
	v_and_b32_e32 v11, 7, v6
	v_ffbh_u32_e32 v16, v11
	v_min_u32_e32 v18, 32, v16
	v_subrev_u32_e32 v16, 28, v18
	v_lshlrev_b64 v[16:17], v16, v[6:7]
	v_lshrrev_b32_e32 v13, 3, v3
	v_sub_u32_e32 v6, 29, v18
	v_and_b32_e32 v16, 7, v16
	v_cmp_gt_u32_e32 vcc, 8, v3
	v_cndmask_b32_e32 v3, v13, v6, vcc
	v_cndmask_b32_e32 v6, v11, v16, vcc
	v_lshlrev_b32_e32 v2, 16, v2
	v_bfrev_b32_e32 v11, 60
	v_lshlrev_b32_e32 v6, 20, v6
	v_and_b32_e32 v2, 0x80000000, v2
	v_lshl_add_u32 v3, v3, 23, v11
	v_or3_b32 v2, v2, v3, v6
	v_lshrrev_b32_e32 v11, 16, v2
.LBB715_776:
	s_or_b64 exec, exec, s[8:9]
.LBB715_777:
	s_or_b64 exec, exec, s[6:7]
.LBB715_778:
	s_or_b64 exec, exec, s[0:1]
	s_movk_i32 s0, 0xff
	v_and_b32_sdwa v13, v5, s0 dst_sel:DWORD dst_unused:UNUSED_PAD src0_sel:WORD_1 src1_sel:DWORD
	v_lshrrev_b32_e32 v2, 16, v5
	v_cmp_ne_u16_e32 vcc, 0, v13
	v_mov_b32_e32 v3, 0
	v_mov_b32_e32 v6, 0
	s_and_saveexec_b64 s[0:1], vcc
	s_cbranch_execz .LBB715_784
; %bb.779:
	s_movk_i32 s3, 0x80
	v_cmp_ne_u16_e32 vcc, s3, v13
	v_mov_b32_e32 v6, 0xffff8000
	s_and_saveexec_b64 s[6:7], vcc
	s_cbranch_execz .LBB715_783
; %bb.780:
	v_bfe_u32 v13, v5, 16, 7
	s_movk_i32 s3, 0x7f
	v_cmp_ne_u32_e32 vcc, s3, v13
	v_mov_b32_e32 v6, 0x7f80
	s_and_saveexec_b64 s[8:9], vcc
	s_cbranch_execz .LBB715_782
; %bb.781:
	v_and_b32_e32 v6, 7, v2
	v_ffbh_u32_e32 v16, v6
	v_min_u32_e32 v19, 32, v16
	v_subrev_u32_e32 v16, 28, v19
	v_lshlrev_b64 v[16:17], v16, v[2:3]
	v_lshrrev_b32_e32 v18, 3, v13
	v_sub_u32_e32 v2, 29, v19
	v_and_b32_e32 v16, 7, v16
	v_cmp_gt_u32_e32 vcc, 8, v13
	v_mov_b32_e32 v13, 24
	v_cndmask_b32_e32 v2, v18, v2, vcc
	v_cndmask_b32_e32 v6, v6, v16, vcc
	v_lshlrev_b32_sdwa v13, v13, v5 dst_sel:DWORD dst_unused:UNUSED_PAD src0_sel:DWORD src1_sel:WORD_1
	v_bfrev_b32_e32 v16, 60
	v_lshlrev_b32_e32 v6, 20, v6
	v_and_b32_e32 v13, 0x80000000, v13
	v_lshl_add_u32 v2, v2, 23, v16
	v_or3_b32 v2, v13, v2, v6
	v_lshrrev_b32_e32 v6, 16, v2
.LBB715_782:
	s_or_b64 exec, exec, s[8:9]
.LBB715_783:
	s_or_b64 exec, exec, s[6:7]
.LBB715_784:
	s_or_b64 exec, exec, s[0:1]
	s_mov_b32 s0, -1
	s_mov_b32 s1, 0xffffff
	v_cmp_lt_u64_e32 vcc, s[0:1], v[4:5]
	s_and_saveexec_b64 s[0:1], vcc
	s_cbranch_execz .LBB715_790
; %bb.785:
	v_lshrrev_b32_e32 v2, 24, v5
	s_movk_i32 s3, 0x80
	v_cmp_ne_u32_e32 vcc, s3, v2
	v_mov_b32_e32 v3, 0xffff8000
	s_and_saveexec_b64 s[6:7], vcc
	s_cbranch_execz .LBB715_789
; %bb.786:
	v_bfe_u32 v4, v5, 24, 7
	s_movk_i32 s3, 0x7f
	v_cmp_ne_u32_e32 vcc, s3, v4
	v_mov_b32_e32 v3, 0x7f80
	s_and_saveexec_b64 s[8:9], vcc
	s_cbranch_execz .LBB715_788
; %bb.787:
	v_and_b32_e32 v3, 7, v2
	v_ffbh_u32_e32 v13, v3
	v_min_u32_e32 v13, 32, v13
	v_subrev_u32_e32 v16, 28, v13
	v_lshlrev_b64 v[16:17], v16, v[2:3]
	v_lshrrev_b32_e32 v5, 3, v4
	v_sub_u32_e32 v13, 29, v13
	v_and_b32_e32 v16, 7, v16
	v_cmp_gt_u32_e32 vcc, 8, v4
	v_cndmask_b32_e32 v4, v5, v13, vcc
	v_cndmask_b32_e32 v3, v3, v16, vcc
	v_lshlrev_b32_e32 v2, 24, v2
	v_bfrev_b32_e32 v5, 60
	v_lshlrev_b32_e32 v3, 20, v3
	v_and_b32_e32 v2, 0x80000000, v2
	v_lshl_add_u32 v4, v4, 23, v5
	v_or3_b32 v2, v2, v4, v3
	v_lshrrev_b32_e32 v3, 16, v2
.LBB715_788:
	s_or_b64 exec, exec, s[8:9]
.LBB715_789:
	s_or_b64 exec, exec, s[6:7]
.LBB715_790:
	s_or_b64 exec, exec, s[0:1]
	s_mov_b32 s0, 0x5040100
	v_perm_b32 v5, v10, v9, s0
	v_perm_b32 v4, v7, v8, s0
	;; [unrolled: 1-line block ×4, first 2 shown]
	v_mfma_f32_4x4x4bf16_1k a[0:3], v[14:15], v[4:5], a[0:3] cbsz:4 abid:14
	s_load_dword s0, s[14:15], 0x0
	v_mfma_f32_4x4x4bf16_1k a[0:3], v[14:15], v[2:3], a[0:3] cbsz:4 abid:15
	s_nop 4
	v_accvgpr_read_b32 v5, a1
	v_accvgpr_read_b32 v4, a0
	;; [unrolled: 1-line block ×4, first 2 shown]
	s_waitcnt lgkmcnt(0)
	v_pk_mul_f32 v[4:5], v[4:5], s[0:1] op_sel_hi:[1,0]
	v_pk_mul_f32 v[2:3], v[2:3], s[0:1] op_sel_hi:[1,0]
	v_bfe_u32 v6, v5, 16, 1
	v_bfe_u32 v7, v4, 16, 1
	s_movk_i32 s0, 0x7fff
	v_add3_u32 v4, v4, v7, s0
	v_add3_u32 v5, v5, v6, s0
	v_bfe_u32 v6, v3, 16, 1
	v_bfe_u32 v7, v2, 16, 1
	v_add3_u32 v2, v2, v7, s0
	v_add3_u32 v3, v3, v6, s0
	s_mov_b32 s0, 0x7060302
	v_perm_b32 v23, v3, v2, s0
	v_perm_b32 v22, v5, v4, s0
.LBB715_791:
	s_or_b64 exec, exec, s[4:5]
	v_lshlrev_b32_e32 v1, 3, v1
	v_mad_u32_u24 v1, v42, 40, v1
	v_cmp_gt_u32_e32 vcc, 64, v0
	ds_write_b64 v1, v[22:23]
	s_waitcnt lgkmcnt(0)
	s_barrier
	s_and_saveexec_b64 s[0:1], vcc
	s_cbranch_execz .LBB715_793
; %bb.792:
	v_mul_u32_u24_e32 v1, 40, v42
	s_waitcnt vmcnt(1)
	ds_read2_b64 v[2:5], v1 offset1:1
	s_waitcnt vmcnt(0)
	ds_read2_b64 v[6:9], v1 offset0:2 offset1:3
	s_mov_b32 s1, 0
	s_lshl_b32 s0, s2, 6
	s_lshl_b64 s[2:3], s[0:1], 1
	s_waitcnt lgkmcnt(1)
	v_and_b32_e32 v1, 0xffff0000, v2
	v_add_f32_e32 v1, 0, v1
	v_and_b32_e32 v3, 0xffff0000, v4
	v_and_b32_e32 v1, 0xffff0000, v1
	v_add_f32_e32 v1, v1, v3
	s_waitcnt lgkmcnt(0)
	v_and_b32_e32 v5, 0xffff0000, v6
	v_and_b32_e32 v1, 0xffff0000, v1
	v_add_f32_e32 v1, v1, v5
	v_and_b32_e32 v1, 0xffff0000, v1
	v_and_b32_e32 v3, 0xffff0000, v8
	v_add_f32_e32 v7, v1, v3
	v_lshlrev_b32_e32 v1, 16, v2
	s_add_u32 s2, s24, s2
	v_add_f32_e32 v1, 0, v1
	s_addc_u32 s3, s25, s3
	s_lshl_b32 s0, s10, 6
	v_and_b32_e32 v1, 0xffff0000, v1
	v_lshlrev_b32_e32 v2, 16, v4
	s_lshl_b64 s[0:1], s[0:1], 1
	v_add_f32_e32 v1, v1, v2
	s_add_u32 s0, s2, s0
	v_and_b32_e32 v1, 0xffff0000, v1
	v_lshlrev_b32_e32 v2, 16, v6
	s_addc_u32 s1, s3, s1
	s_lshl_b32 s2, s38, 6
	v_add_f32_e32 v1, v1, v2
	v_and_b32_e32 v1, 0xffff0000, v1
	v_lshlrev_b32_e32 v2, 16, v8
	s_mul_i32 s3, s2, s33
	v_add_f32_e32 v1, v1, v2
	v_or_b32_e32 v2, s3, v0
	v_mov_b32_e32 v3, 0
	v_lshlrev_b64 v[4:5], 1, v[2:3]
	v_mov_b32_e32 v2, s1
	v_add_co_u32_e32 v4, vcc, s0, v4
	s_add_i32 s3, s3, s2
	v_addc_co_u32_e32 v5, vcc, v2, v5, vcc
	v_or_b32_e32 v2, s3, v0
	global_store_short_d16_hi v[4:5], v1, off
	v_lshlrev_b64 v[0:1], 1, v[2:3]
	v_mov_b32_e32 v2, s1
	v_add_co_u32_e32 v0, vcc, s0, v0
	v_addc_co_u32_e32 v1, vcc, v2, v1, vcc
	global_store_short_d16_hi v[0:1], v7, off
.LBB715_793:
	s_endpgm
	.section	.rodata,"a",@progbits
	.p2align	6, 0x0
	.amdhsa_kernel _Z38paged_attention_ll4mi_QKV_mfma4_kernelI14__hip_bfloat16hLN4vllm18Fp8KVCacheDataTypeE1ES0_Li32ELi64ELi256ELb1ELi2EEvPKT_PKT0_S8_ifPKiSA_SA_iPKfiiiPfSD_PS3_PT2_iSC_SC_
		.amdhsa_group_segment_fixed_size 2720
		.amdhsa_private_segment_fixed_size 0
		.amdhsa_kernarg_size 400
		.amdhsa_user_sgpr_count 6
		.amdhsa_user_sgpr_private_segment_buffer 1
		.amdhsa_user_sgpr_dispatch_ptr 0
		.amdhsa_user_sgpr_queue_ptr 0
		.amdhsa_user_sgpr_kernarg_segment_ptr 1
		.amdhsa_user_sgpr_dispatch_id 0
		.amdhsa_user_sgpr_flat_scratch_init 0
		.amdhsa_user_sgpr_kernarg_preload_length 0
		.amdhsa_user_sgpr_kernarg_preload_offset 0
		.amdhsa_user_sgpr_private_segment_size 0
		.amdhsa_uses_dynamic_stack 0
		.amdhsa_system_sgpr_private_segment_wavefront_offset 0
		.amdhsa_system_sgpr_workgroup_id_x 1
		.amdhsa_system_sgpr_workgroup_id_y 1
		.amdhsa_system_sgpr_workgroup_id_z 1
		.amdhsa_system_sgpr_workgroup_info 0
		.amdhsa_system_vgpr_workitem_id 0
		.amdhsa_next_free_vgpr 60
		.amdhsa_next_free_sgpr 44
		.amdhsa_accum_offset 56
		.amdhsa_reserve_vcc 1
		.amdhsa_reserve_flat_scratch 0
		.amdhsa_float_round_mode_32 0
		.amdhsa_float_round_mode_16_64 0
		.amdhsa_float_denorm_mode_32 3
		.amdhsa_float_denorm_mode_16_64 3
		.amdhsa_dx10_clamp 1
		.amdhsa_ieee_mode 1
		.amdhsa_fp16_overflow 0
		.amdhsa_tg_split 0
		.amdhsa_exception_fp_ieee_invalid_op 0
		.amdhsa_exception_fp_denorm_src 0
		.amdhsa_exception_fp_ieee_div_zero 0
		.amdhsa_exception_fp_ieee_overflow 0
		.amdhsa_exception_fp_ieee_underflow 0
		.amdhsa_exception_fp_ieee_inexact 0
		.amdhsa_exception_int_div_zero 0
	.end_amdhsa_kernel
	.section	.text._Z38paged_attention_ll4mi_QKV_mfma4_kernelI14__hip_bfloat16hLN4vllm18Fp8KVCacheDataTypeE1ES0_Li32ELi64ELi256ELb1ELi2EEvPKT_PKT0_S8_ifPKiSA_SA_iPKfiiiPfSD_PS3_PT2_iSC_SC_,"axG",@progbits,_Z38paged_attention_ll4mi_QKV_mfma4_kernelI14__hip_bfloat16hLN4vllm18Fp8KVCacheDataTypeE1ES0_Li32ELi64ELi256ELb1ELi2EEvPKT_PKT0_S8_ifPKiSA_SA_iPKfiiiPfSD_PS3_PT2_iSC_SC_,comdat
.Lfunc_end715:
	.size	_Z38paged_attention_ll4mi_QKV_mfma4_kernelI14__hip_bfloat16hLN4vllm18Fp8KVCacheDataTypeE1ES0_Li32ELi64ELi256ELb1ELi2EEvPKT_PKT0_S8_ifPKiSA_SA_iPKfiiiPfSD_PS3_PT2_iSC_SC_, .Lfunc_end715-_Z38paged_attention_ll4mi_QKV_mfma4_kernelI14__hip_bfloat16hLN4vllm18Fp8KVCacheDataTypeE1ES0_Li32ELi64ELi256ELb1ELi2EEvPKT_PKT0_S8_ifPKiSA_SA_iPKfiiiPfSD_PS3_PT2_iSC_SC_
                                        ; -- End function
	.section	.AMDGPU.csdata,"",@progbits
; Kernel info:
; codeLenInByte = 27712
; NumSgprs: 48
; NumVgprs: 56
; NumAgprs: 4
; TotalNumVgprs: 60
; ScratchSize: 0
; MemoryBound: 0
; FloatMode: 240
; IeeeMode: 1
; LDSByteSize: 2720 bytes/workgroup (compile time only)
; SGPRBlocks: 5
; VGPRBlocks: 7
; NumSGPRsForWavesPerEU: 48
; NumVGPRsForWavesPerEU: 60
; AccumOffset: 56
; Occupancy: 8
; WaveLimiterHint : 1
; COMPUTE_PGM_RSRC2:SCRATCH_EN: 0
; COMPUTE_PGM_RSRC2:USER_SGPR: 6
; COMPUTE_PGM_RSRC2:TRAP_HANDLER: 0
; COMPUTE_PGM_RSRC2:TGID_X_EN: 1
; COMPUTE_PGM_RSRC2:TGID_Y_EN: 1
; COMPUTE_PGM_RSRC2:TGID_Z_EN: 1
; COMPUTE_PGM_RSRC2:TIDIG_COMP_CNT: 0
; COMPUTE_PGM_RSRC3_GFX90A:ACCUM_OFFSET: 13
; COMPUTE_PGM_RSRC3_GFX90A:TG_SPLIT: 0
	.section	.text._Z38paged_attention_ll4mi_QKV_mfma4_kernelI14__hip_bfloat16hLN4vllm18Fp8KVCacheDataTypeE1ES0_Li32ELi64ELi256ELb1ELi3EEvPKT_PKT0_S8_ifPKiSA_SA_iPKfiiiPfSD_PS3_PT2_iSC_SC_,"axG",@progbits,_Z38paged_attention_ll4mi_QKV_mfma4_kernelI14__hip_bfloat16hLN4vllm18Fp8KVCacheDataTypeE1ES0_Li32ELi64ELi256ELb1ELi3EEvPKT_PKT0_S8_ifPKiSA_SA_iPKfiiiPfSD_PS3_PT2_iSC_SC_,comdat
	.protected	_Z38paged_attention_ll4mi_QKV_mfma4_kernelI14__hip_bfloat16hLN4vllm18Fp8KVCacheDataTypeE1ES0_Li32ELi64ELi256ELb1ELi3EEvPKT_PKT0_S8_ifPKiSA_SA_iPKfiiiPfSD_PS3_PT2_iSC_SC_ ; -- Begin function _Z38paged_attention_ll4mi_QKV_mfma4_kernelI14__hip_bfloat16hLN4vllm18Fp8KVCacheDataTypeE1ES0_Li32ELi64ELi256ELb1ELi3EEvPKT_PKT0_S8_ifPKiSA_SA_iPKfiiiPfSD_PS3_PT2_iSC_SC_
	.globl	_Z38paged_attention_ll4mi_QKV_mfma4_kernelI14__hip_bfloat16hLN4vllm18Fp8KVCacheDataTypeE1ES0_Li32ELi64ELi256ELb1ELi3EEvPKT_PKT0_S8_ifPKiSA_SA_iPKfiiiPfSD_PS3_PT2_iSC_SC_
	.p2align	8
	.type	_Z38paged_attention_ll4mi_QKV_mfma4_kernelI14__hip_bfloat16hLN4vllm18Fp8KVCacheDataTypeE1ES0_Li32ELi64ELi256ELb1ELi3EEvPKT_PKT0_S8_ifPKiSA_SA_iPKfiiiPfSD_PS3_PT2_iSC_SC_,@function
_Z38paged_attention_ll4mi_QKV_mfma4_kernelI14__hip_bfloat16hLN4vllm18Fp8KVCacheDataTypeE1ES0_Li32ELi64ELi256ELb1ELi3EEvPKT_PKT0_S8_ifPKiSA_SA_iPKfiiiPfSD_PS3_PT2_iSC_SC_: ; @_Z38paged_attention_ll4mi_QKV_mfma4_kernelI14__hip_bfloat16hLN4vllm18Fp8KVCacheDataTypeE1ES0_Li32ELi64ELi256ELb1ELi3EEvPKT_PKT0_S8_ifPKiSA_SA_iPKfiiiPfSD_PS3_PT2_iSC_SC_
; %bb.0:
	s_load_dwordx2 s[2:3], s[4:5], 0x30
	s_mov_b32 s10, s7
	s_mov_b64 s[0:1], 0
	s_waitcnt lgkmcnt(0)
	s_cmp_lg_u64 s[2:3], 0
	s_cselect_b64 s[20:21], -1, 0
	s_and_b64 vcc, exec, s[20:21]
	s_cbranch_vccz .LBB716_10
; %bb.1:
	s_add_i32 s12, s6, 1
	s_mov_b32 s13, 0
	s_lshl_b64 s[14:15], s[12:13], 2
	s_add_u32 s14, s2, s14
	s_mov_b32 s7, s13
	s_addc_u32 s15, s3, s15
	s_lshl_b64 s[12:13], s[6:7], 2
	s_add_u32 s12, s2, s12
	s_addc_u32 s13, s3, s13
	s_load_dword s9, s[14:15], 0x0
	s_load_dword s11, s[12:13], 0x0
	s_waitcnt lgkmcnt(0)
	s_sub_i32 s9, s9, s11
	s_cmp_eq_u32 s9, 1
	s_cselect_b64 s[12:13], -1, 0
	s_andn2_b64 vcc, exec, s[0:1]
	s_cbranch_vccnz .LBB716_3
.LBB716_2:
	s_mov_b32 s7, 0
	s_mov_b64 s[12:13], -1
.LBB716_3:
	s_andn2_b64 vcc, exec, s[12:13]
	s_cbranch_vccnz .LBB716_793
; %bb.4:
	s_load_dword s9, s[4:5], 0x9c
	s_load_dwordx2 s[0:1], s[4:5], 0x28
	s_add_u32 s26, s4, 0x90
	s_addc_u32 s27, s5, 0
	s_lshl_b64 s[22:23], s[6:7], 2
	s_waitcnt lgkmcnt(0)
	s_and_b32 s9, s9, 0xffff
	s_add_u32 s0, s0, s22
	s_addc_u32 s1, s1, s23
	s_load_dword s7, s[0:1], 0x0
	s_mul_i32 s9, s10, s9
	s_waitcnt lgkmcnt(0)
	s_cmp_ge_i32 s9, s7
	s_cbranch_scc1 .LBB716_793
; %bb.5:
	v_and_b32_e32 v2, 0xc0, v0
	v_add_u32_e32 v4, s9, v2
	v_lshrrev_b32_e32 v1, 6, v0
	v_cmp_gt_i32_e64 s[0:1], s7, v4
	v_cmp_le_i32_e32 vcc, s7, v4
                                        ; implicit-def: $sgpr30
                                        ; implicit-def: $sgpr11
	s_and_saveexec_b64 s[12:13], vcc
	s_xor_b64 s[12:13], exec, s[12:13]
	s_cbranch_execz .LBB716_7
; %bb.6:
	v_mul_u32_u24_e32 v2, 20, v1
	v_or_b32_e32 v2, 0xa00, v2
	v_mov_b32_e32 v3, 0xa50
	v_mov_b32_e32 v4, 0xff7fffff
	v_mad_u32_u24 v3, v1, 20, v3
	ds_write2_b32 v2, v4, v4 offset1:1
	v_mov_b32_e32 v2, 0
	ds_write2_b32 v3, v2, v2 offset1:1
	v_mov_b32_e32 v3, 0xa08
	s_mov_b32 s11, 0xff7fffff
	s_mov_b32 s30, 0
	v_mad_u32_u24 v3, v1, 20, v3
	v_mov_b32_e32 v5, 0xa58
	v_mad_u32_u24 v5, v1, 20, v5
	ds_write2_b32 v3, v4, v4 offset1:1
	ds_write2_b32 v5, v2, v2 offset1:1
                                        ; implicit-def: $vgpr4
.LBB716_7:
	s_or_saveexec_b64 s[28:29], s[12:13]
	s_load_dwordx2 s[24:25], s[4:5], 0x68
	s_load_dwordx4 s[16:19], s[4:5], 0x58
	s_load_dword s40, s[26:27], 0x4
	s_load_dwordx4 s[12:15], s[4:5], 0x80
	v_and_b32_e32 v42, 63, v0
	v_and_b32_e32 v43, 3, v0
	s_mul_i32 s33, s8, 3
	v_mov_b32_e32 v21, s30
	v_mov_b32_e32 v25, s11
	;; [unrolled: 1-line block ×5, first 2 shown]
                                        ; implicit-def: $vgpr14_vgpr15
                                        ; implicit-def: $vgpr10_vgpr11
                                        ; implicit-def: $vgpr6_vgpr7
                                        ; implicit-def: $vgpr2_vgpr3
	s_xor_b64 exec, exec, s[28:29]
	s_cbranch_execz .LBB716_403
; %bb.8:
	s_add_i32 s34, s7, 31
	s_ashr_i32 s35, s34, 31
	s_load_dwordx2 s[30:31], s[4:5], 0x20
	s_load_dword s11, s[4:5], 0x38
	s_lshr_b32 s35, s35, 27
	v_add_u32_e32 v44, s9, v0
	s_add_i32 s34, s34, s35
	v_ashrrev_i32_e32 v2, 31, v44
	s_ashr_i32 s34, s34, 5
	v_lshrrev_b32_e32 v2, 27, v2
	s_add_i32 s36, s34, -1
	v_add_u32_e32 v2, v44, v2
	v_ashrrev_i32_e32 v2, 5, v2
	v_mov_b32_e32 v3, s36
	v_cmp_gt_i32_e32 vcc, s7, v44
	s_waitcnt lgkmcnt(0)
	s_mul_i32 s34, s6, s11
	s_mov_b32 s35, 0
	v_cndmask_b32_e32 v2, v3, v2, vcc
	s_lshl_b64 s[34:35], s[34:35], 2
	v_ashrrev_i32_e32 v3, 31, v2
	s_add_u32 s11, s30, s34
	v_lshlrev_b64 v[2:3], 2, v[2:3]
	v_add_co_u32_e32 v6, vcc, s11, v2
	v_ashrrev_i32_e32 v2, 31, v4
	v_lshrrev_b32_e32 v2, 27, v2
	v_add_u32_e32 v2, v4, v2
	s_addc_u32 s30, s31, s35
	v_ashrrev_i32_e32 v4, 5, v2
	v_mov_b32_e32 v5, s30
	v_min_i32_e32 v2, s36, v4
	v_addc_co_u32_e32 v7, vcc, v5, v3, vcc
	v_ashrrev_i32_e32 v3, 31, v2
	v_lshlrev_b64 v[2:3], 2, v[2:3]
	v_add_co_u32_e32 v8, vcc, s11, v2
	v_add_u32_e32 v2, 1, v4
	v_min_i32_e32 v2, s36, v2
	v_addc_co_u32_e32 v9, vcc, v5, v3, vcc
	v_ashrrev_i32_e32 v3, 31, v2
	v_lshlrev_b64 v[2:3], 2, v[2:3]
	v_mov_b32_e32 v4, s30
	v_add_co_u32_e32 v10, vcc, s11, v2
	v_addc_co_u32_e32 v11, vcc, v4, v3, vcc
	global_load_dword v4, v[6:7], off
	global_load_dword v3, v[8:9], off
	;; [unrolled: 1-line block ×3, first 2 shown]
	s_load_dwordx2 s[34:35], s[4:5], 0x8
	s_andn2_b64 vcc, exec, s[20:21]
	s_cbranch_vccnz .LBB716_11
; %bb.9:
	s_add_u32 s2, s2, s22
	s_addc_u32 s3, s3, s23
	s_load_dword s9, s[2:3], 0x0
	s_branch .LBB716_12
.LBB716_10:
	s_mov_b64 s[12:13], 0
	s_branch .LBB716_2
.LBB716_11:
	s_mov_b32 s9, s6
.LBB716_12:
	s_load_dwordx2 s[30:31], s[4:5], 0x10
	s_load_dwordx4 s[20:23], s[4:5], 0x48
	v_cmp_eq_u32_e32 vcc, 3, v43
	v_cmp_ne_u32_e64 s[2:3], 3, v43
	s_mov_b32 s39, 0
	v_mov_b32_e32 v45, 0
	v_mov_b32_e32 v18, 0
	;; [unrolled: 1-line block ×5, first 2 shown]
	s_and_saveexec_b64 s[36:37], s[2:3]
	s_cbranch_execz .LBB716_14
; %bb.13:
	s_load_dwordx2 s[42:43], s[4:5], 0x0
	s_waitcnt lgkmcnt(0)
	s_ashr_i32 s11, s20, 31
	s_mul_hi_u32 s23, s9, s20
	s_mul_i32 s11, s9, s11
	s_add_i32 s45, s23, s11
	s_mul_i32 s44, s9, s20
	s_lshl_b64 s[44:45], s[44:45], 1
	s_add_u32 s9, s42, s44
	s_mul_i32 s38, s8, 0xc0
	s_addc_u32 s11, s43, s45
	s_lshl_b64 s[38:39], s[38:39], 1
	s_add_u32 s38, s9, s38
	v_lshlrev_b32_e32 v5, 3, v43
	v_lshrrev_b32_e32 v6, 2, v42
	s_addc_u32 s39, s11, s39
	v_add_lshl_u32 v5, v5, v6, 4
	global_load_dwordx4 v[18:21], v5, s[38:39]
.LBB716_14:
	s_or_b64 exec, exec, s[36:37]
	s_waitcnt lgkmcnt(0)
	s_mul_i32 s11, s8, s22
	s_add_u32 s8, s11, s34
	s_addc_u32 s9, 0, s35
	v_pk_mov_b32 v[6:7], s[8:9], s[8:9] op_sel:[0,1]
	s_waitcnt vmcnt(2)
	v_mad_i64_i32 v[4:5], s[8:9], v4, s21, v[6:7]
	v_lshlrev_b32_e32 v6, 4, v0
	v_and_b32_e32 v6, 0x1f0, v6
	v_add_co_u32_e64 v4, s[8:9], v4, v6
	v_addc_co_u32_e64 v5, s[8:9], 0, v5, s[8:9]
	global_load_dwordx4 v[34:37], v[4:5], off
	global_load_dwordx4 v[30:33], v[4:5], off offset:512
	global_load_dwordx4 v[26:29], v[4:5], off offset:1024
	;; [unrolled: 1-line block ×3, first 2 shown]
	s_and_saveexec_b64 s[8:9], s[2:3]
	s_cbranch_execz .LBB716_16
; %bb.15:
	s_load_dwordx2 s[2:3], s[4:5], 0x40
	v_add_u32_e32 v4, s33, v43
	v_mov_b32_e32 v5, 0
	v_lshlrev_b64 v[4:5], 2, v[4:5]
	s_waitcnt lgkmcnt(0)
	v_mov_b32_e32 v6, s3
	v_add_co_u32_e64 v4, s[2:3], s2, v4
	v_addc_co_u32_e64 v5, s[2:3], v6, v5, s[2:3]
	global_load_dword v45, v[4:5], off
.LBB716_16:
	s_or_b64 exec, exec, s[8:9]
	s_add_u32 s2, s30, s11
	s_addc_u32 s3, s31, 0
	v_lshlrev_b32_e32 v4, 5, v42
	v_mov_b32_e32 v5, s3
	v_add_co_u32_e64 v6, s[2:3], s2, v4
	s_waitcnt vmcnt(5)
	v_mul_hi_i32 v4, v3, s21
	v_ashrrev_i32_e32 v4, 31, v4
	v_lshrrev_b32_e32 v38, 29, v4
	v_mov_b32_e32 v39, 0
	v_addc_co_u32_e64 v7, s[2:3], 0, v5, s[2:3]
	v_mad_i64_i32 v[4:5], s[2:3], v3, s21, v[38:39]
	v_and_b32_e32 v3, -8, v4
	v_add_co_u32_e64 v4, s[2:3], v6, v3
	s_waitcnt vmcnt(4)
	v_mul_hi_i32 v3, v2, s21
	v_ashrrev_i32_e32 v3, 31, v3
	v_lshrrev_b32_e32 v38, 29, v3
	v_addc_co_u32_e64 v5, s[2:3], v7, v5, s[2:3]
	v_mad_i64_i32 v[2:3], s[2:3], v2, s21, v[38:39]
	v_and_b32_e32 v2, -8, v2
	v_add_co_u32_e64 v40, s[2:3], v6, v2
	v_addc_co_u32_e64 v41, s[2:3], v7, v3, s[2:3]
	global_load_dwordx4 v[10:13], v[4:5], off offset:16
	global_load_dwordx4 v[14:17], v[4:5], off
	s_nop 0
	global_load_dwordx4 v[2:5], v[40:41], off offset:16
	global_load_dwordx4 v[6:9], v[40:41], off
	s_waitcnt vmcnt(7)
	v_cmp_ne_u16_sdwa s[2:3], v34, v39 src0_sel:BYTE_0 src1_sel:DWORD
	v_mov_b32_e32 v46, 0
	s_and_saveexec_b64 s[8:9], s[2:3]
	s_cbranch_execz .LBB716_22
; %bb.17:
	s_movk_i32 s2, 0x80
	v_cmp_ne_u16_sdwa s[2:3], v34, s2 src0_sel:BYTE_0 src1_sel:DWORD
	v_mov_b32_e32 v46, 0xffff8000
	s_and_saveexec_b64 s[20:21], s[2:3]
	s_cbranch_execz .LBB716_21
; %bb.18:
	s_movk_i32 s2, 0x7f
	v_and_b32_e32 v38, 0x7f, v34
	v_cmp_ne_u32_e64 s[2:3], s2, v38
	v_mov_b32_e32 v46, 0x7f80
	s_and_saveexec_b64 s[22:23], s[2:3]
	s_cbranch_execz .LBB716_20
; %bb.19:
	v_and_b32_e32 v40, 7, v34
	v_ffbh_u32_e32 v40, v40
	v_min_u32_e32 v40, 32, v40
	v_lshrrev_b32_e32 v41, 3, v38
	v_subrev_u32_e32 v46, 28, v40
	v_sub_u32_e32 v40, 29, v40
	v_cmp_gt_u32_e64 s[2:3], 8, v38
	v_cndmask_b32_e64 v38, v41, v40, s[2:3]
	v_cndmask_b32_e64 v40, 0, v46, s[2:3]
	v_lshlrev_b64 v[40:41], v40, v[34:35]
	v_lshlrev_b32_e32 v40, 20, v40
	v_lshlrev_b32_e32 v41, 24, v34
	v_bfrev_b32_e32 v46, 60
	v_and_b32_e32 v40, 0x700000, v40
	v_and_b32_e32 v41, 0x80000000, v41
	v_lshl_add_u32 v38, v38, 23, v46
	v_or3_b32 v38, v41, v38, v40
	v_lshrrev_b32_e32 v46, 16, v38
.LBB716_20:
	s_or_b64 exec, exec, s[22:23]
.LBB716_21:
	s_or_b64 exec, exec, s[20:21]
.LBB716_22:
	s_or_b64 exec, exec, s[8:9]
	v_lshrrev_b16_e32 v38, 8, v34
	v_cmp_ne_u16_e64 s[2:3], 0, v38
	s_and_saveexec_b64 s[8:9], s[2:3]
	s_cbranch_execz .LBB716_28
; %bb.23:
	s_movk_i32 s2, 0x80
	v_cmp_ne_u16_e64 s[2:3], s2, v38
	v_mov_b32_e32 v39, 0xffff8000
	s_and_saveexec_b64 s[20:21], s[2:3]
	s_cbranch_execz .LBB716_27
; %bb.24:
	s_movk_i32 s2, 0x7f
	v_and_b32_e32 v40, 0x7f, v38
	v_cmp_ne_u32_e64 s[2:3], s2, v40
	v_mov_b32_e32 v39, 0x7f80
	s_and_saveexec_b64 s[22:23], s[2:3]
	s_cbranch_execz .LBB716_26
; %bb.25:
	v_and_b32_e32 v41, 7, v38
	v_ffbh_u32_e32 v39, v41
	v_min_u32_e32 v48, 32, v39
	v_subrev_u32_e32 v39, 28, v48
	v_lshlrev_b64 v[38:39], v39, v[38:39]
	v_lshrrev_b32_e32 v47, 3, v40
	v_sub_u32_e32 v39, 29, v48
	v_and_b32_e32 v38, 7, v38
	v_cmp_gt_u32_e64 s[2:3], 8, v40
	v_cndmask_b32_e64 v39, v47, v39, s[2:3]
	v_cndmask_b32_e64 v38, v41, v38, s[2:3]
	v_lshlrev_b32_e32 v40, 16, v34
	v_bfrev_b32_e32 v41, 60
	v_lshlrev_b32_e32 v38, 20, v38
	v_and_b32_e32 v40, 0x80000000, v40
	v_lshl_add_u32 v39, v39, 23, v41
	v_or3_b32 v38, v40, v39, v38
	v_lshrrev_b32_e32 v39, 16, v38
.LBB716_26:
	s_or_b64 exec, exec, s[22:23]
.LBB716_27:
	s_or_b64 exec, exec, s[20:21]
.LBB716_28:
	s_or_b64 exec, exec, s[8:9]
	s_movk_i32 s2, 0xff
	v_and_b32_sdwa v40, v34, s2 dst_sel:DWORD dst_unused:UNUSED_PAD src0_sel:WORD_1 src1_sel:DWORD
	v_lshrrev_b32_e32 v38, 16, v34
	v_cmp_ne_u16_e64 s[2:3], 0, v40
	v_mov_b32_e32 v41, 0
	v_mov_b32_e32 v47, 0
	s_and_saveexec_b64 s[8:9], s[2:3]
	s_cbranch_execz .LBB716_34
; %bb.29:
	s_movk_i32 s2, 0x80
	v_cmp_ne_u16_e64 s[2:3], s2, v40
	v_mov_b32_e32 v47, 0xffff8000
	s_and_saveexec_b64 s[20:21], s[2:3]
	s_cbranch_execz .LBB716_33
; %bb.30:
	v_bfe_u32 v40, v34, 16, 7
	s_movk_i32 s2, 0x7f
	v_cmp_ne_u32_e64 s[2:3], s2, v40
	v_mov_b32_e32 v47, 0x7f80
	s_and_saveexec_b64 s[22:23], s[2:3]
	s_cbranch_execz .LBB716_32
; %bb.31:
	v_and_b32_e32 v47, 7, v38
	v_ffbh_u32_e32 v48, v47
	v_min_u32_e32 v51, 32, v48
	v_subrev_u32_e32 v48, 28, v51
	v_lshlrev_b64 v[48:49], v48, v[38:39]
	v_and_b32_e32 v48, 7, v48
	v_cmp_gt_u32_e64 s[2:3], 8, v40
	v_lshrrev_b32_e32 v50, 3, v40
	v_sub_u32_e32 v38, 29, v51
	v_cndmask_b32_e64 v40, v47, v48, s[2:3]
	v_mov_b32_e32 v47, 24
	v_cndmask_b32_e64 v38, v50, v38, s[2:3]
	v_lshlrev_b32_sdwa v47, v47, v34 dst_sel:DWORD dst_unused:UNUSED_PAD src0_sel:DWORD src1_sel:WORD_1
	v_bfrev_b32_e32 v48, 60
	v_lshlrev_b32_e32 v40, 20, v40
	v_and_b32_e32 v47, 0x80000000, v47
	v_lshl_add_u32 v38, v38, 23, v48
	v_or3_b32 v38, v47, v38, v40
	v_lshrrev_b32_e32 v47, 16, v38
.LBB716_32:
	s_or_b64 exec, exec, s[22:23]
.LBB716_33:
	s_or_b64 exec, exec, s[20:21]
.LBB716_34:
	s_or_b64 exec, exec, s[8:9]
	s_mov_b32 s2, 0xffffff
	v_cmp_lt_u32_e64 s[2:3], s2, v34
	v_mov_b32_e32 v48, 0
	s_and_saveexec_b64 s[8:9], s[2:3]
	s_cbranch_execz .LBB716_40
; %bb.35:
	v_lshrrev_b32_e32 v38, 24, v34
	s_movk_i32 s2, 0x80
	v_cmp_ne_u32_e64 s[2:3], s2, v38
	v_mov_b32_e32 v48, 0xffff8000
	s_and_saveexec_b64 s[20:21], s[2:3]
	s_cbranch_execz .LBB716_39
; %bb.36:
	v_bfe_u32 v40, v34, 24, 7
	s_movk_i32 s2, 0x7f
	v_cmp_ne_u32_e64 s[2:3], s2, v40
	v_mov_b32_e32 v48, 0x7f80
	s_and_saveexec_b64 s[22:23], s[2:3]
	s_cbranch_execz .LBB716_38
; %bb.37:
	v_and_b32_e32 v50, 7, v38
	v_ffbh_u32_e32 v48, v50
	v_min_u32_e32 v52, 32, v48
	v_subrev_u32_e32 v48, 28, v52
	v_lshlrev_b64 v[48:49], v48, v[38:39]
	v_lshrrev_b32_e32 v51, 3, v40
	v_sub_u32_e32 v49, 29, v52
	v_and_b32_e32 v48, 7, v48
	v_cmp_gt_u32_e64 s[2:3], 8, v40
	v_cndmask_b32_e64 v40, v51, v49, s[2:3]
	v_cndmask_b32_e64 v48, v50, v48, s[2:3]
	v_lshlrev_b32_e32 v38, 24, v38
	v_bfrev_b32_e32 v49, 60
	v_lshlrev_b32_e32 v48, 20, v48
	v_and_b32_e32 v38, 0x80000000, v38
	v_lshl_add_u32 v40, v40, 23, v49
	v_or3_b32 v38, v38, v40, v48
	v_lshrrev_b32_e32 v48, 16, v38
.LBB716_38:
	s_or_b64 exec, exec, s[22:23]
.LBB716_39:
	s_or_b64 exec, exec, s[20:21]
.LBB716_40:
	s_or_b64 exec, exec, s[8:9]
	v_mov_b32_e32 v49, 0
	v_mov_b32_e32 v40, v35
	v_cmp_ne_u16_sdwa s[2:3], v35, v49 src0_sel:BYTE_0 src1_sel:DWORD
	v_mov_b32_e32 v50, 0
	s_and_saveexec_b64 s[8:9], s[2:3]
	s_cbranch_execz .LBB716_46
; %bb.41:
	s_movk_i32 s2, 0x80
	v_cmp_ne_u16_sdwa s[2:3], v35, s2 src0_sel:BYTE_0 src1_sel:DWORD
	v_mov_b32_e32 v50, 0xffff8000
	s_and_saveexec_b64 s[20:21], s[2:3]
	s_cbranch_execz .LBB716_45
; %bb.42:
	s_movk_i32 s2, 0x7f
	v_and_b32_e32 v38, 0x7f, v35
	v_cmp_ne_u32_e64 s[2:3], s2, v38
	v_mov_b32_e32 v50, 0x7f80
	s_and_saveexec_b64 s[22:23], s[2:3]
	s_cbranch_execz .LBB716_44
; %bb.43:
	v_and_b32_e32 v50, 7, v35
	v_ffbh_u32_e32 v50, v50
	v_min_u32_e32 v50, 32, v50
	v_lshrrev_b32_e32 v51, 3, v38
	v_subrev_u32_e32 v52, 28, v50
	v_sub_u32_e32 v50, 29, v50
	v_cmp_gt_u32_e64 s[2:3], 8, v38
	v_cndmask_b32_e64 v38, v51, v50, s[2:3]
	v_cndmask_b32_e64 v50, 0, v52, s[2:3]
	v_lshlrev_b64 v[50:51], v50, v[40:41]
	v_lshlrev_b32_e32 v41, 20, v50
	v_lshlrev_b32_e32 v50, 24, v40
	v_bfrev_b32_e32 v51, 60
	v_and_b32_e32 v41, 0x700000, v41
	v_and_b32_e32 v50, 0x80000000, v50
	v_lshl_add_u32 v38, v38, 23, v51
	v_or3_b32 v38, v50, v38, v41
	v_lshrrev_b32_e32 v50, 16, v38
.LBB716_44:
	s_or_b64 exec, exec, s[22:23]
.LBB716_45:
	s_or_b64 exec, exec, s[20:21]
.LBB716_46:
	s_or_b64 exec, exec, s[8:9]
	v_lshrrev_b16_e32 v38, 8, v40
	v_cmp_ne_u16_e64 s[2:3], 0, v38
	s_and_saveexec_b64 s[8:9], s[2:3]
	s_cbranch_execz .LBB716_52
; %bb.47:
	s_movk_i32 s2, 0x80
	v_cmp_ne_u16_e64 s[2:3], s2, v38
	v_mov_b32_e32 v49, 0xffff8000
	s_and_saveexec_b64 s[20:21], s[2:3]
	s_cbranch_execz .LBB716_51
; %bb.48:
	s_movk_i32 s2, 0x7f
	v_and_b32_e32 v41, 0x7f, v38
	v_cmp_ne_u32_e64 s[2:3], s2, v41
	v_mov_b32_e32 v49, 0x7f80
	s_and_saveexec_b64 s[22:23], s[2:3]
	s_cbranch_execz .LBB716_50
; %bb.49:
	v_and_b32_e32 v49, 7, v38
	v_ffbh_u32_e32 v52, v49
	v_min_u32_e32 v54, 32, v52
	v_subrev_u32_e32 v52, 28, v54
	v_lshlrev_b64 v[52:53], v52, v[38:39]
	v_lshrrev_b32_e32 v51, 3, v41
	v_sub_u32_e32 v38, 29, v54
	v_and_b32_e32 v52, 7, v52
	v_cmp_gt_u32_e64 s[2:3], 8, v41
	v_cndmask_b32_e64 v38, v51, v38, s[2:3]
	v_cndmask_b32_e64 v41, v49, v52, s[2:3]
	v_lshlrev_b32_e32 v40, 16, v40
	v_bfrev_b32_e32 v49, 60
	v_lshlrev_b32_e32 v41, 20, v41
	v_and_b32_e32 v40, 0x80000000, v40
	v_lshl_add_u32 v38, v38, 23, v49
	v_or3_b32 v38, v40, v38, v41
	v_lshrrev_b32_e32 v49, 16, v38
.LBB716_50:
	s_or_b64 exec, exec, s[22:23]
.LBB716_51:
	s_or_b64 exec, exec, s[20:21]
.LBB716_52:
	s_or_b64 exec, exec, s[8:9]
	s_movk_i32 s2, 0xff
	v_and_b32_sdwa v51, v35, s2 dst_sel:DWORD dst_unused:UNUSED_PAD src0_sel:WORD_1 src1_sel:DWORD
	v_lshrrev_b32_e32 v38, 16, v35
	v_cmp_ne_u16_e64 s[2:3], 0, v51
	v_mov_b32_e32 v40, 0
	v_mov_b32_e32 v41, 0
	s_and_saveexec_b64 s[8:9], s[2:3]
	s_cbranch_execz .LBB716_58
; %bb.53:
	s_movk_i32 s2, 0x80
	v_cmp_ne_u16_e64 s[2:3], s2, v51
	v_mov_b32_e32 v41, 0xffff8000
	s_and_saveexec_b64 s[20:21], s[2:3]
	s_cbranch_execz .LBB716_57
; %bb.54:
	v_bfe_u32 v51, v35, 16, 7
	s_movk_i32 s2, 0x7f
	v_cmp_ne_u32_e64 s[2:3], s2, v51
	v_mov_b32_e32 v41, 0x7f80
	s_and_saveexec_b64 s[22:23], s[2:3]
	s_cbranch_execz .LBB716_56
; %bb.55:
	v_and_b32_e32 v41, 7, v38
	v_ffbh_u32_e32 v52, v41
	v_min_u32_e32 v55, 32, v52
	v_subrev_u32_e32 v52, 28, v55
	v_lshlrev_b64 v[52:53], v52, v[38:39]
	v_lshrrev_b32_e32 v54, 3, v51
	v_sub_u32_e32 v38, 29, v55
	v_and_b32_e32 v52, 7, v52
	v_cmp_gt_u32_e64 s[2:3], 8, v51
	v_mov_b32_e32 v51, 24
	v_cndmask_b32_e64 v38, v54, v38, s[2:3]
	v_cndmask_b32_e64 v41, v41, v52, s[2:3]
	v_lshlrev_b32_sdwa v51, v51, v35 dst_sel:DWORD dst_unused:UNUSED_PAD src0_sel:DWORD src1_sel:WORD_1
	v_bfrev_b32_e32 v52, 60
	v_lshlrev_b32_e32 v41, 20, v41
	v_and_b32_e32 v51, 0x80000000, v51
	v_lshl_add_u32 v38, v38, 23, v52
	v_or3_b32 v38, v51, v38, v41
	v_lshrrev_b32_e32 v41, 16, v38
.LBB716_56:
	s_or_b64 exec, exec, s[22:23]
.LBB716_57:
	s_or_b64 exec, exec, s[20:21]
.LBB716_58:
	s_or_b64 exec, exec, s[8:9]
	s_mov_b32 s2, -1
	s_mov_b32 s3, 0xffffff
	v_cmp_lt_u64_e64 s[2:3], s[2:3], v[34:35]
	s_and_saveexec_b64 s[8:9], s[2:3]
	s_cbranch_execz .LBB716_64
; %bb.59:
	v_lshrrev_b32_e32 v34, 24, v35
	s_movk_i32 s2, 0x80
	v_cmp_ne_u32_e64 s[2:3], s2, v34
	v_mov_b32_e32 v40, 0xffff8000
	s_and_saveexec_b64 s[20:21], s[2:3]
	s_cbranch_execz .LBB716_63
; %bb.60:
	v_bfe_u32 v35, v35, 24, 7
	s_movk_i32 s2, 0x7f
	v_cmp_ne_u32_e64 s[2:3], s2, v35
	v_mov_b32_e32 v40, 0x7f80
	s_and_saveexec_b64 s[22:23], s[2:3]
	s_cbranch_execz .LBB716_62
; %bb.61:
	v_and_b32_e32 v38, 7, v34
	v_ffbh_u32_e32 v51, v38
	v_min_u32_e32 v51, 32, v51
	v_subrev_u32_e32 v52, 28, v51
	v_lshlrev_b64 v[52:53], v52, v[34:35]
	v_lshrrev_b32_e32 v40, 3, v35
	v_sub_u32_e32 v51, 29, v51
	v_and_b32_e32 v52, 7, v52
	v_cmp_gt_u32_e64 s[2:3], 8, v35
	v_cndmask_b32_e64 v35, v40, v51, s[2:3]
	v_cndmask_b32_e64 v38, v38, v52, s[2:3]
	v_lshlrev_b32_e32 v34, 24, v34
	v_bfrev_b32_e32 v40, 60
	v_lshlrev_b32_e32 v38, 20, v38
	v_and_b32_e32 v34, 0x80000000, v34
	v_lshl_add_u32 v35, v35, 23, v40
	v_or3_b32 v34, v34, v35, v38
	v_lshrrev_b32_e32 v40, 16, v34
.LBB716_62:
	s_or_b64 exec, exec, s[22:23]
.LBB716_63:
	s_or_b64 exec, exec, s[20:21]
.LBB716_64:
	s_or_b64 exec, exec, s[8:9]
	s_mov_b32 s2, 0x5040100
	v_perm_b32 v35, v48, v47, s2
	v_perm_b32 v34, v39, v46, s2
	;; [unrolled: 1-line block ×4, first 2 shown]
	v_mfma_f32_4x4x4bf16_1k a[0:3], v[18:19], v[34:35], 0 cbsz:4
	v_mov_b32_e32 v39, 0
	v_mfma_f32_4x4x4bf16_1k a[0:3], v[20:21], v[40:41], a[0:3] cbsz:4
	v_mov_b32_e32 v40, 0
	v_cmp_ne_u16_sdwa s[2:3], v36, v40 src0_sel:BYTE_0 src1_sel:DWORD
	s_and_saveexec_b64 s[8:9], s[2:3]
	s_cbranch_execz .LBB716_70
; %bb.65:
	s_movk_i32 s2, 0x80
	v_cmp_ne_u16_sdwa s[2:3], v36, s2 src0_sel:BYTE_0 src1_sel:DWORD
	v_mov_b32_e32 v39, 0xffff8000
	s_and_saveexec_b64 s[20:21], s[2:3]
	s_cbranch_execz .LBB716_69
; %bb.66:
	s_movk_i32 s2, 0x7f
	v_and_b32_e32 v34, 0x7f, v36
	v_cmp_ne_u32_e64 s[2:3], s2, v34
	v_mov_b32_e32 v39, 0x7f80
	s_and_saveexec_b64 s[22:23], s[2:3]
	s_cbranch_execz .LBB716_68
; %bb.67:
	v_and_b32_e32 v35, 7, v36
	v_ffbh_u32_e32 v35, v35
	v_min_u32_e32 v35, 32, v35
	v_subrev_u32_e32 v39, 28, v35
	v_cmp_gt_u32_e64 s[2:3], 8, v34
	v_lshrrev_b32_e32 v38, 3, v34
	v_sub_u32_e32 v35, 29, v35
	v_cndmask_b32_e64 v34, 0, v39, s[2:3]
	v_cndmask_b32_e64 v38, v38, v35, s[2:3]
	v_lshlrev_b64 v[34:35], v34, v[36:37]
	v_lshlrev_b32_e32 v34, 20, v34
	v_lshlrev_b32_e32 v35, 24, v36
	v_bfrev_b32_e32 v39, 60
	v_and_b32_e32 v34, 0x700000, v34
	v_and_b32_e32 v35, 0x80000000, v35
	v_lshl_add_u32 v38, v38, 23, v39
	v_or3_b32 v34, v35, v38, v34
	v_lshrrev_b32_e32 v39, 16, v34
.LBB716_68:
	s_or_b64 exec, exec, s[22:23]
.LBB716_69:
	s_or_b64 exec, exec, s[20:21]
.LBB716_70:
	s_or_b64 exec, exec, s[8:9]
	v_lshrrev_b16_e32 v34, 8, v36
	v_cmp_ne_u16_e64 s[2:3], 0, v34
	s_and_saveexec_b64 s[8:9], s[2:3]
	s_cbranch_execz .LBB716_76
; %bb.71:
	s_movk_i32 s2, 0x80
	v_cmp_ne_u16_e64 s[2:3], s2, v34
	v_mov_b32_e32 v40, 0xffff8000
	s_and_saveexec_b64 s[20:21], s[2:3]
	s_cbranch_execz .LBB716_75
; %bb.72:
	s_movk_i32 s2, 0x7f
	v_and_b32_e32 v35, 0x7f, v34
	v_cmp_ne_u32_e64 s[2:3], s2, v35
	v_mov_b32_e32 v40, 0x7f80
	s_and_saveexec_b64 s[22:23], s[2:3]
	s_cbranch_execz .LBB716_74
; %bb.73:
	v_and_b32_e32 v38, 7, v34
	v_ffbh_u32_e32 v40, v38
	v_min_u32_e32 v47, 32, v40
	v_subrev_u32_e32 v40, 28, v47
	v_lshlrev_b64 v[40:41], v40, v[34:35]
	v_lshrrev_b32_e32 v46, 3, v35
	v_sub_u32_e32 v34, 29, v47
	v_and_b32_e32 v40, 7, v40
	v_cmp_gt_u32_e64 s[2:3], 8, v35
	v_cndmask_b32_e64 v34, v46, v34, s[2:3]
	v_cndmask_b32_e64 v35, v38, v40, s[2:3]
	v_lshlrev_b32_e32 v38, 16, v36
	v_bfrev_b32_e32 v40, 60
	v_lshlrev_b32_e32 v35, 20, v35
	v_and_b32_e32 v38, 0x80000000, v38
	v_lshl_add_u32 v34, v34, 23, v40
	v_or3_b32 v34, v38, v34, v35
	v_lshrrev_b32_e32 v40, 16, v34
.LBB716_74:
	s_or_b64 exec, exec, s[22:23]
.LBB716_75:
	s_or_b64 exec, exec, s[20:21]
.LBB716_76:
	s_or_b64 exec, exec, s[8:9]
	s_movk_i32 s2, 0xff
	v_and_b32_sdwa v38, v36, s2 dst_sel:DWORD dst_unused:UNUSED_PAD src0_sel:WORD_1 src1_sel:DWORD
	v_lshrrev_b32_e32 v34, 16, v36
	v_cmp_ne_u16_e64 s[2:3], 0, v38
	v_mov_b32_e32 v35, 0
	v_mov_b32_e32 v41, 0
	s_and_saveexec_b64 s[8:9], s[2:3]
	s_cbranch_execz .LBB716_82
; %bb.77:
	s_movk_i32 s2, 0x80
	v_cmp_ne_u16_e64 s[2:3], s2, v38
	v_mov_b32_e32 v41, 0xffff8000
	s_and_saveexec_b64 s[20:21], s[2:3]
	s_cbranch_execz .LBB716_81
; %bb.78:
	v_bfe_u32 v38, v36, 16, 7
	s_movk_i32 s2, 0x7f
	v_cmp_ne_u32_e64 s[2:3], s2, v38
	v_mov_b32_e32 v41, 0x7f80
	s_and_saveexec_b64 s[22:23], s[2:3]
	s_cbranch_execz .LBB716_80
; %bb.79:
	v_and_b32_e32 v41, 7, v34
	v_ffbh_u32_e32 v46, v41
	v_min_u32_e32 v49, 32, v46
	v_subrev_u32_e32 v46, 28, v49
	v_lshlrev_b64 v[46:47], v46, v[34:35]
	v_and_b32_e32 v46, 7, v46
	v_cmp_gt_u32_e64 s[2:3], 8, v38
	v_lshrrev_b32_e32 v48, 3, v38
	v_sub_u32_e32 v34, 29, v49
	v_cndmask_b32_e64 v38, v41, v46, s[2:3]
	v_mov_b32_e32 v41, 24
	v_cndmask_b32_e64 v34, v48, v34, s[2:3]
	v_lshlrev_b32_sdwa v41, v41, v36 dst_sel:DWORD dst_unused:UNUSED_PAD src0_sel:DWORD src1_sel:WORD_1
	v_bfrev_b32_e32 v46, 60
	v_lshlrev_b32_e32 v38, 20, v38
	v_and_b32_e32 v41, 0x80000000, v41
	v_lshl_add_u32 v34, v34, 23, v46
	v_or3_b32 v34, v41, v34, v38
	v_lshrrev_b32_e32 v41, 16, v34
.LBB716_80:
	s_or_b64 exec, exec, s[22:23]
.LBB716_81:
	s_or_b64 exec, exec, s[20:21]
.LBB716_82:
	s_or_b64 exec, exec, s[8:9]
	s_mov_b32 s2, 0xffffff
	v_cmp_lt_u32_e64 s[2:3], s2, v36
	v_mov_b32_e32 v46, 0
	s_and_saveexec_b64 s[8:9], s[2:3]
	s_cbranch_execz .LBB716_88
; %bb.83:
	v_lshrrev_b32_e32 v34, 24, v36
	s_movk_i32 s2, 0x80
	v_cmp_ne_u32_e64 s[2:3], s2, v34
	v_mov_b32_e32 v46, 0xffff8000
	s_and_saveexec_b64 s[20:21], s[2:3]
	s_cbranch_execz .LBB716_87
; %bb.84:
	v_bfe_u32 v38, v36, 24, 7
	s_movk_i32 s2, 0x7f
	v_cmp_ne_u32_e64 s[2:3], s2, v38
	v_mov_b32_e32 v46, 0x7f80
	s_and_saveexec_b64 s[22:23], s[2:3]
	s_cbranch_execz .LBB716_86
; %bb.85:
	v_and_b32_e32 v48, 7, v34
	v_ffbh_u32_e32 v46, v48
	v_min_u32_e32 v50, 32, v46
	v_subrev_u32_e32 v46, 28, v50
	v_lshlrev_b64 v[46:47], v46, v[34:35]
	v_lshrrev_b32_e32 v49, 3, v38
	v_sub_u32_e32 v47, 29, v50
	v_and_b32_e32 v46, 7, v46
	v_cmp_gt_u32_e64 s[2:3], 8, v38
	v_cndmask_b32_e64 v38, v49, v47, s[2:3]
	v_cndmask_b32_e64 v46, v48, v46, s[2:3]
	v_lshlrev_b32_e32 v34, 24, v34
	v_bfrev_b32_e32 v47, 60
	v_lshlrev_b32_e32 v46, 20, v46
	v_and_b32_e32 v34, 0x80000000, v34
	v_lshl_add_u32 v38, v38, 23, v47
	v_or3_b32 v34, v34, v38, v46
	v_lshrrev_b32_e32 v46, 16, v34
.LBB716_86:
	s_or_b64 exec, exec, s[22:23]
.LBB716_87:
	s_or_b64 exec, exec, s[20:21]
.LBB716_88:
	s_or_b64 exec, exec, s[8:9]
	v_mov_b32_e32 v47, 0
	v_mov_b32_e32 v34, v37
	v_cmp_ne_u16_sdwa s[2:3], v37, v47 src0_sel:BYTE_0 src1_sel:DWORD
	v_mov_b32_e32 v48, 0
	s_and_saveexec_b64 s[8:9], s[2:3]
	s_cbranch_execz .LBB716_94
; %bb.89:
	s_movk_i32 s2, 0x80
	v_cmp_ne_u16_sdwa s[2:3], v37, s2 src0_sel:BYTE_0 src1_sel:DWORD
	v_mov_b32_e32 v48, 0xffff8000
	s_and_saveexec_b64 s[20:21], s[2:3]
	s_cbranch_execz .LBB716_93
; %bb.90:
	s_movk_i32 s2, 0x7f
	v_and_b32_e32 v38, 0x7f, v37
	v_cmp_ne_u32_e64 s[2:3], s2, v38
	v_mov_b32_e32 v48, 0x7f80
	s_and_saveexec_b64 s[22:23], s[2:3]
	s_cbranch_execz .LBB716_92
; %bb.91:
	v_and_b32_e32 v48, 7, v37
	v_ffbh_u32_e32 v48, v48
	v_min_u32_e32 v48, 32, v48
	v_lshrrev_b32_e32 v49, 3, v38
	v_subrev_u32_e32 v50, 28, v48
	v_sub_u32_e32 v48, 29, v48
	v_cmp_gt_u32_e64 s[2:3], 8, v38
	v_cndmask_b32_e64 v38, v49, v48, s[2:3]
	v_cndmask_b32_e64 v48, 0, v50, s[2:3]
	v_lshlrev_b64 v[48:49], v48, v[34:35]
	v_lshlrev_b32_e32 v35, 20, v48
	v_lshlrev_b32_e32 v48, 24, v34
	v_bfrev_b32_e32 v49, 60
	v_and_b32_e32 v35, 0x700000, v35
	v_and_b32_e32 v48, 0x80000000, v48
	v_lshl_add_u32 v38, v38, 23, v49
	v_or3_b32 v35, v48, v38, v35
	v_lshrrev_b32_e32 v48, 16, v35
.LBB716_92:
	s_or_b64 exec, exec, s[22:23]
.LBB716_93:
	s_or_b64 exec, exec, s[20:21]
.LBB716_94:
	s_or_b64 exec, exec, s[8:9]
	v_lshrrev_b16_e32 v38, 8, v34
	v_cmp_ne_u16_e64 s[2:3], 0, v38
	s_and_saveexec_b64 s[8:9], s[2:3]
	s_cbranch_execz .LBB716_100
; %bb.95:
	s_movk_i32 s2, 0x80
	v_cmp_ne_u16_e64 s[2:3], s2, v38
	v_mov_b32_e32 v47, 0xffff8000
	s_and_saveexec_b64 s[20:21], s[2:3]
	s_cbranch_execz .LBB716_99
; %bb.96:
	s_movk_i32 s2, 0x7f
	v_and_b32_e32 v35, 0x7f, v38
	v_cmp_ne_u32_e64 s[2:3], s2, v35
	v_mov_b32_e32 v47, 0x7f80
	s_and_saveexec_b64 s[22:23], s[2:3]
	s_cbranch_execz .LBB716_98
; %bb.97:
	v_and_b32_e32 v47, 7, v38
	v_ffbh_u32_e32 v50, v47
	v_min_u32_e32 v52, 32, v50
	v_subrev_u32_e32 v50, 28, v52
	v_lshlrev_b64 v[50:51], v50, v[38:39]
	v_lshrrev_b32_e32 v49, 3, v35
	v_sub_u32_e32 v38, 29, v52
	v_and_b32_e32 v50, 7, v50
	v_cmp_gt_u32_e64 s[2:3], 8, v35
	v_cndmask_b32_e64 v35, v49, v38, s[2:3]
	v_cndmask_b32_e64 v38, v47, v50, s[2:3]
	v_lshlrev_b32_e32 v34, 16, v34
	v_bfrev_b32_e32 v47, 60
	v_lshlrev_b32_e32 v38, 20, v38
	v_and_b32_e32 v34, 0x80000000, v34
	v_lshl_add_u32 v35, v35, 23, v47
	v_or3_b32 v34, v34, v35, v38
	v_lshrrev_b32_e32 v47, 16, v34
.LBB716_98:
	s_or_b64 exec, exec, s[22:23]
.LBB716_99:
	s_or_b64 exec, exec, s[20:21]
.LBB716_100:
	s_or_b64 exec, exec, s[8:9]
	s_movk_i32 s2, 0xff
	v_and_b32_sdwa v49, v37, s2 dst_sel:DWORD dst_unused:UNUSED_PAD src0_sel:WORD_1 src1_sel:DWORD
	v_lshrrev_b32_e32 v34, 16, v37
	v_cmp_ne_u16_e64 s[2:3], 0, v49
	v_mov_b32_e32 v35, 0
	v_mov_b32_e32 v38, 0
	s_and_saveexec_b64 s[8:9], s[2:3]
	s_cbranch_execz .LBB716_106
; %bb.101:
	s_movk_i32 s2, 0x80
	v_cmp_ne_u16_e64 s[2:3], s2, v49
	v_mov_b32_e32 v38, 0xffff8000
	s_and_saveexec_b64 s[20:21], s[2:3]
	s_cbranch_execz .LBB716_105
; %bb.102:
	v_bfe_u32 v49, v37, 16, 7
	s_movk_i32 s2, 0x7f
	v_cmp_ne_u32_e64 s[2:3], s2, v49
	v_mov_b32_e32 v38, 0x7f80
	s_and_saveexec_b64 s[22:23], s[2:3]
	s_cbranch_execz .LBB716_104
; %bb.103:
	v_and_b32_e32 v38, 7, v34
	v_ffbh_u32_e32 v50, v38
	v_min_u32_e32 v53, 32, v50
	v_subrev_u32_e32 v50, 28, v53
	v_lshlrev_b64 v[50:51], v50, v[34:35]
	v_lshrrev_b32_e32 v52, 3, v49
	v_sub_u32_e32 v34, 29, v53
	v_and_b32_e32 v50, 7, v50
	v_cmp_gt_u32_e64 s[2:3], 8, v49
	v_mov_b32_e32 v49, 24
	v_cndmask_b32_e64 v34, v52, v34, s[2:3]
	v_cndmask_b32_e64 v38, v38, v50, s[2:3]
	v_lshlrev_b32_sdwa v49, v49, v37 dst_sel:DWORD dst_unused:UNUSED_PAD src0_sel:DWORD src1_sel:WORD_1
	v_bfrev_b32_e32 v50, 60
	v_lshlrev_b32_e32 v38, 20, v38
	v_and_b32_e32 v49, 0x80000000, v49
	v_lshl_add_u32 v34, v34, 23, v50
	v_or3_b32 v34, v49, v34, v38
	v_lshrrev_b32_e32 v38, 16, v34
.LBB716_104:
	s_or_b64 exec, exec, s[22:23]
.LBB716_105:
	s_or_b64 exec, exec, s[20:21]
.LBB716_106:
	s_or_b64 exec, exec, s[8:9]
	s_mov_b32 s2, -1
	s_mov_b32 s3, 0xffffff
	v_cmp_lt_u64_e64 s[2:3], s[2:3], v[36:37]
	s_and_saveexec_b64 s[8:9], s[2:3]
	s_cbranch_execz .LBB716_112
; %bb.107:
	v_lshrrev_b32_e32 v34, 24, v37
	s_movk_i32 s2, 0x80
	v_cmp_ne_u32_e64 s[2:3], s2, v34
	v_mov_b32_e32 v35, 0xffff8000
	s_and_saveexec_b64 s[20:21], s[2:3]
	s_cbranch_execz .LBB716_111
; %bb.108:
	v_bfe_u32 v36, v37, 24, 7
	s_movk_i32 s2, 0x7f
	v_cmp_ne_u32_e64 s[2:3], s2, v36
	v_mov_b32_e32 v35, 0x7f80
	s_and_saveexec_b64 s[22:23], s[2:3]
	s_cbranch_execz .LBB716_110
; %bb.109:
	v_and_b32_e32 v35, 7, v34
	v_ffbh_u32_e32 v49, v35
	v_min_u32_e32 v49, 32, v49
	v_subrev_u32_e32 v50, 28, v49
	v_lshlrev_b64 v[50:51], v50, v[34:35]
	v_lshrrev_b32_e32 v37, 3, v36
	v_sub_u32_e32 v49, 29, v49
	v_and_b32_e32 v50, 7, v50
	v_cmp_gt_u32_e64 s[2:3], 8, v36
	v_cndmask_b32_e64 v36, v37, v49, s[2:3]
	v_cndmask_b32_e64 v35, v35, v50, s[2:3]
	v_lshlrev_b32_e32 v34, 24, v34
	v_bfrev_b32_e32 v37, 60
	v_lshlrev_b32_e32 v35, 20, v35
	v_and_b32_e32 v34, 0x80000000, v34
	v_lshl_add_u32 v36, v36, 23, v37
	v_or3_b32 v34, v34, v36, v35
	v_lshrrev_b32_e32 v35, 16, v34
.LBB716_110:
	s_or_b64 exec, exec, s[22:23]
.LBB716_111:
	s_or_b64 exec, exec, s[20:21]
.LBB716_112:
	s_or_b64 exec, exec, s[8:9]
	s_mov_b32 s2, 0x5040100
	v_perm_b32 v37, v46, v41, s2
	v_perm_b32 v36, v40, v39, s2
	;; [unrolled: 1-line block ×4, first 2 shown]
	v_mfma_f32_4x4x4bf16_1k a[0:3], v[18:19], v[36:37], a[0:3] cbsz:4 abid:1
	v_mov_b32_e32 v37, 0
	v_mfma_f32_4x4x4bf16_1k a[0:3], v[20:21], v[34:35], a[0:3] cbsz:4 abid:1
	s_waitcnt vmcnt(6)
	v_cmp_ne_u16_sdwa s[2:3], v30, v37 src0_sel:BYTE_0 src1_sel:DWORD
	v_mov_b32_e32 v38, 0
	s_and_saveexec_b64 s[8:9], s[2:3]
	s_cbranch_execz .LBB716_118
; %bb.113:
	s_movk_i32 s2, 0x80
	v_cmp_ne_u16_sdwa s[2:3], v30, s2 src0_sel:BYTE_0 src1_sel:DWORD
	v_mov_b32_e32 v38, 0xffff8000
	s_and_saveexec_b64 s[20:21], s[2:3]
	s_cbranch_execz .LBB716_117
; %bb.114:
	s_movk_i32 s2, 0x7f
	v_and_b32_e32 v34, 0x7f, v30
	v_cmp_ne_u32_e64 s[2:3], s2, v34
	v_mov_b32_e32 v38, 0x7f80
	s_and_saveexec_b64 s[22:23], s[2:3]
	s_cbranch_execz .LBB716_116
; %bb.115:
	v_and_b32_e32 v35, 7, v30
	v_ffbh_u32_e32 v35, v35
	v_min_u32_e32 v35, 32, v35
	v_subrev_u32_e32 v38, 28, v35
	v_cmp_gt_u32_e64 s[2:3], 8, v34
	v_lshrrev_b32_e32 v36, 3, v34
	v_sub_u32_e32 v35, 29, v35
	v_cndmask_b32_e64 v34, 0, v38, s[2:3]
	v_cndmask_b32_e64 v36, v36, v35, s[2:3]
	v_lshlrev_b64 v[34:35], v34, v[30:31]
	v_lshlrev_b32_e32 v34, 20, v34
	v_lshlrev_b32_e32 v35, 24, v30
	v_bfrev_b32_e32 v38, 60
	v_and_b32_e32 v34, 0x700000, v34
	v_and_b32_e32 v35, 0x80000000, v35
	v_lshl_add_u32 v36, v36, 23, v38
	v_or3_b32 v34, v35, v36, v34
	v_lshrrev_b32_e32 v38, 16, v34
.LBB716_116:
	s_or_b64 exec, exec, s[22:23]
.LBB716_117:
	s_or_b64 exec, exec, s[20:21]
.LBB716_118:
	s_or_b64 exec, exec, s[8:9]
	v_lshrrev_b16_e32 v34, 8, v30
	v_cmp_ne_u16_e64 s[2:3], 0, v34
	s_and_saveexec_b64 s[8:9], s[2:3]
	s_cbranch_execz .LBB716_124
; %bb.119:
	s_movk_i32 s2, 0x80
	v_cmp_ne_u16_e64 s[2:3], s2, v34
	v_mov_b32_e32 v37, 0xffff8000
	s_and_saveexec_b64 s[20:21], s[2:3]
	s_cbranch_execz .LBB716_123
; %bb.120:
	s_movk_i32 s2, 0x7f
	v_and_b32_e32 v35, 0x7f, v34
	v_cmp_ne_u32_e64 s[2:3], s2, v35
	v_mov_b32_e32 v37, 0x7f80
	s_and_saveexec_b64 s[22:23], s[2:3]
	s_cbranch_execz .LBB716_122
; %bb.121:
	v_and_b32_e32 v39, 7, v34
	v_ffbh_u32_e32 v36, v39
	v_min_u32_e32 v41, 32, v36
	v_subrev_u32_e32 v36, 28, v41
	v_lshlrev_b64 v[36:37], v36, v[34:35]
	v_lshrrev_b32_e32 v40, 3, v35
	v_sub_u32_e32 v34, 29, v41
	v_and_b32_e32 v36, 7, v36
	v_cmp_gt_u32_e64 s[2:3], 8, v35
	v_cndmask_b32_e64 v34, v40, v34, s[2:3]
	v_cndmask_b32_e64 v35, v39, v36, s[2:3]
	v_lshlrev_b32_e32 v36, 16, v30
	v_bfrev_b32_e32 v37, 60
	v_lshlrev_b32_e32 v35, 20, v35
	v_and_b32_e32 v36, 0x80000000, v36
	v_lshl_add_u32 v34, v34, 23, v37
	v_or3_b32 v34, v36, v34, v35
	v_lshrrev_b32_e32 v37, 16, v34
.LBB716_122:
	s_or_b64 exec, exec, s[22:23]
.LBB716_123:
	s_or_b64 exec, exec, s[20:21]
.LBB716_124:
	s_or_b64 exec, exec, s[8:9]
	s_movk_i32 s2, 0xff
	v_and_b32_sdwa v36, v30, s2 dst_sel:DWORD dst_unused:UNUSED_PAD src0_sel:WORD_1 src1_sel:DWORD
	v_lshrrev_b32_e32 v34, 16, v30
	v_cmp_ne_u16_e64 s[2:3], 0, v36
	v_mov_b32_e32 v35, 0
	v_mov_b32_e32 v39, 0
	s_and_saveexec_b64 s[8:9], s[2:3]
	s_cbranch_execz .LBB716_130
; %bb.125:
	s_movk_i32 s2, 0x80
	v_cmp_ne_u16_e64 s[2:3], s2, v36
	v_mov_b32_e32 v39, 0xffff8000
	s_and_saveexec_b64 s[20:21], s[2:3]
	s_cbranch_execz .LBB716_129
; %bb.126:
	v_bfe_u32 v36, v30, 16, 7
	s_movk_i32 s2, 0x7f
	v_cmp_ne_u32_e64 s[2:3], s2, v36
	v_mov_b32_e32 v39, 0x7f80
	s_and_saveexec_b64 s[22:23], s[2:3]
	s_cbranch_execz .LBB716_128
; %bb.127:
	v_and_b32_e32 v39, 7, v34
	v_ffbh_u32_e32 v40, v39
	v_min_u32_e32 v47, 32, v40
	v_subrev_u32_e32 v40, 28, v47
	v_lshlrev_b64 v[40:41], v40, v[34:35]
	v_and_b32_e32 v40, 7, v40
	v_cmp_gt_u32_e64 s[2:3], 8, v36
	v_lshrrev_b32_e32 v46, 3, v36
	v_sub_u32_e32 v34, 29, v47
	v_cndmask_b32_e64 v36, v39, v40, s[2:3]
	v_mov_b32_e32 v39, 24
	v_cndmask_b32_e64 v34, v46, v34, s[2:3]
	v_lshlrev_b32_sdwa v39, v39, v30 dst_sel:DWORD dst_unused:UNUSED_PAD src0_sel:DWORD src1_sel:WORD_1
	v_bfrev_b32_e32 v40, 60
	v_lshlrev_b32_e32 v36, 20, v36
	v_and_b32_e32 v39, 0x80000000, v39
	v_lshl_add_u32 v34, v34, 23, v40
	v_or3_b32 v34, v39, v34, v36
	v_lshrrev_b32_e32 v39, 16, v34
.LBB716_128:
	s_or_b64 exec, exec, s[22:23]
.LBB716_129:
	s_or_b64 exec, exec, s[20:21]
.LBB716_130:
	s_or_b64 exec, exec, s[8:9]
	s_mov_b32 s2, 0xffffff
	v_cmp_lt_u32_e64 s[2:3], s2, v30
	v_mov_b32_e32 v40, 0
	s_and_saveexec_b64 s[8:9], s[2:3]
	s_cbranch_execz .LBB716_136
; %bb.131:
	v_lshrrev_b32_e32 v34, 24, v30
	s_movk_i32 s2, 0x80
	v_cmp_ne_u32_e64 s[2:3], s2, v34
	v_mov_b32_e32 v40, 0xffff8000
	s_and_saveexec_b64 s[20:21], s[2:3]
	s_cbranch_execz .LBB716_135
; %bb.132:
	v_bfe_u32 v36, v30, 24, 7
	s_movk_i32 s2, 0x7f
	v_cmp_ne_u32_e64 s[2:3], s2, v36
	v_mov_b32_e32 v40, 0x7f80
	s_and_saveexec_b64 s[22:23], s[2:3]
	s_cbranch_execz .LBB716_134
; %bb.133:
	v_and_b32_e32 v46, 7, v34
	v_ffbh_u32_e32 v40, v46
	v_min_u32_e32 v48, 32, v40
	v_subrev_u32_e32 v40, 28, v48
	v_lshlrev_b64 v[40:41], v40, v[34:35]
	v_lshrrev_b32_e32 v47, 3, v36
	v_sub_u32_e32 v41, 29, v48
	v_and_b32_e32 v40, 7, v40
	v_cmp_gt_u32_e64 s[2:3], 8, v36
	v_cndmask_b32_e64 v36, v47, v41, s[2:3]
	v_cndmask_b32_e64 v40, v46, v40, s[2:3]
	v_lshlrev_b32_e32 v34, 24, v34
	v_bfrev_b32_e32 v41, 60
	v_lshlrev_b32_e32 v40, 20, v40
	v_and_b32_e32 v34, 0x80000000, v34
	v_lshl_add_u32 v36, v36, 23, v41
	v_or3_b32 v34, v34, v36, v40
	v_lshrrev_b32_e32 v40, 16, v34
.LBB716_134:
	s_or_b64 exec, exec, s[22:23]
.LBB716_135:
	s_or_b64 exec, exec, s[20:21]
.LBB716_136:
	s_or_b64 exec, exec, s[8:9]
	v_mov_b32_e32 v41, 0
	v_mov_b32_e32 v34, v31
	v_cmp_ne_u16_sdwa s[2:3], v31, v41 src0_sel:BYTE_0 src1_sel:DWORD
	v_mov_b32_e32 v46, 0
	s_and_saveexec_b64 s[8:9], s[2:3]
	s_cbranch_execz .LBB716_142
; %bb.137:
	s_movk_i32 s2, 0x80
	v_cmp_ne_u16_sdwa s[2:3], v31, s2 src0_sel:BYTE_0 src1_sel:DWORD
	v_mov_b32_e32 v46, 0xffff8000
	s_and_saveexec_b64 s[20:21], s[2:3]
	s_cbranch_execz .LBB716_141
; %bb.138:
	s_movk_i32 s2, 0x7f
	v_and_b32_e32 v36, 0x7f, v31
	v_cmp_ne_u32_e64 s[2:3], s2, v36
	v_mov_b32_e32 v46, 0x7f80
	s_and_saveexec_b64 s[22:23], s[2:3]
	s_cbranch_execz .LBB716_140
; %bb.139:
	v_and_b32_e32 v46, 7, v31
	v_ffbh_u32_e32 v46, v46
	v_min_u32_e32 v46, 32, v46
	v_lshrrev_b32_e32 v47, 3, v36
	v_subrev_u32_e32 v48, 28, v46
	v_sub_u32_e32 v46, 29, v46
	v_cmp_gt_u32_e64 s[2:3], 8, v36
	v_cndmask_b32_e64 v36, v47, v46, s[2:3]
	v_cndmask_b32_e64 v46, 0, v48, s[2:3]
	v_lshlrev_b64 v[46:47], v46, v[34:35]
	v_lshlrev_b32_e32 v35, 20, v46
	v_lshlrev_b32_e32 v46, 24, v34
	v_bfrev_b32_e32 v47, 60
	v_and_b32_e32 v35, 0x700000, v35
	v_and_b32_e32 v46, 0x80000000, v46
	v_lshl_add_u32 v36, v36, 23, v47
	v_or3_b32 v35, v46, v36, v35
	v_lshrrev_b32_e32 v46, 16, v35
.LBB716_140:
	s_or_b64 exec, exec, s[22:23]
.LBB716_141:
	s_or_b64 exec, exec, s[20:21]
.LBB716_142:
	s_or_b64 exec, exec, s[8:9]
	v_lshrrev_b16_e32 v36, 8, v34
	v_cmp_ne_u16_e64 s[2:3], 0, v36
	s_and_saveexec_b64 s[8:9], s[2:3]
	s_cbranch_execz .LBB716_148
; %bb.143:
	s_movk_i32 s2, 0x80
	v_cmp_ne_u16_e64 s[2:3], s2, v36
	v_mov_b32_e32 v41, 0xffff8000
	s_and_saveexec_b64 s[20:21], s[2:3]
	s_cbranch_execz .LBB716_147
; %bb.144:
	s_movk_i32 s2, 0x7f
	v_and_b32_e32 v35, 0x7f, v36
	v_cmp_ne_u32_e64 s[2:3], s2, v35
	v_mov_b32_e32 v41, 0x7f80
	s_and_saveexec_b64 s[22:23], s[2:3]
	s_cbranch_execz .LBB716_146
; %bb.145:
	v_and_b32_e32 v41, 7, v36
	v_ffbh_u32_e32 v48, v41
	v_min_u32_e32 v50, 32, v48
	v_subrev_u32_e32 v48, 28, v50
	v_lshlrev_b64 v[48:49], v48, v[36:37]
	v_lshrrev_b32_e32 v47, 3, v35
	v_sub_u32_e32 v36, 29, v50
	v_and_b32_e32 v48, 7, v48
	v_cmp_gt_u32_e64 s[2:3], 8, v35
	v_cndmask_b32_e64 v35, v47, v36, s[2:3]
	v_cndmask_b32_e64 v36, v41, v48, s[2:3]
	v_lshlrev_b32_e32 v34, 16, v34
	v_bfrev_b32_e32 v41, 60
	v_lshlrev_b32_e32 v36, 20, v36
	v_and_b32_e32 v34, 0x80000000, v34
	v_lshl_add_u32 v35, v35, 23, v41
	v_or3_b32 v34, v34, v35, v36
	v_lshrrev_b32_e32 v41, 16, v34
.LBB716_146:
	s_or_b64 exec, exec, s[22:23]
.LBB716_147:
	s_or_b64 exec, exec, s[20:21]
.LBB716_148:
	s_or_b64 exec, exec, s[8:9]
	s_movk_i32 s2, 0xff
	v_and_b32_sdwa v47, v31, s2 dst_sel:DWORD dst_unused:UNUSED_PAD src0_sel:WORD_1 src1_sel:DWORD
	v_lshrrev_b32_e32 v34, 16, v31
	v_cmp_ne_u16_e64 s[2:3], 0, v47
	v_mov_b32_e32 v35, 0
	v_mov_b32_e32 v36, 0
	s_and_saveexec_b64 s[8:9], s[2:3]
	s_cbranch_execz .LBB716_154
; %bb.149:
	s_movk_i32 s2, 0x80
	v_cmp_ne_u16_e64 s[2:3], s2, v47
	v_mov_b32_e32 v36, 0xffff8000
	s_and_saveexec_b64 s[20:21], s[2:3]
	s_cbranch_execz .LBB716_153
; %bb.150:
	v_bfe_u32 v47, v31, 16, 7
	s_movk_i32 s2, 0x7f
	v_cmp_ne_u32_e64 s[2:3], s2, v47
	v_mov_b32_e32 v36, 0x7f80
	s_and_saveexec_b64 s[22:23], s[2:3]
	s_cbranch_execz .LBB716_152
; %bb.151:
	v_and_b32_e32 v36, 7, v34
	v_ffbh_u32_e32 v48, v36
	v_min_u32_e32 v51, 32, v48
	v_subrev_u32_e32 v48, 28, v51
	v_lshlrev_b64 v[48:49], v48, v[34:35]
	v_lshrrev_b32_e32 v50, 3, v47
	v_sub_u32_e32 v34, 29, v51
	v_and_b32_e32 v48, 7, v48
	v_cmp_gt_u32_e64 s[2:3], 8, v47
	v_mov_b32_e32 v47, 24
	v_cndmask_b32_e64 v34, v50, v34, s[2:3]
	v_cndmask_b32_e64 v36, v36, v48, s[2:3]
	v_lshlrev_b32_sdwa v47, v47, v31 dst_sel:DWORD dst_unused:UNUSED_PAD src0_sel:DWORD src1_sel:WORD_1
	v_bfrev_b32_e32 v48, 60
	v_lshlrev_b32_e32 v36, 20, v36
	v_and_b32_e32 v47, 0x80000000, v47
	v_lshl_add_u32 v34, v34, 23, v48
	v_or3_b32 v34, v47, v34, v36
	v_lshrrev_b32_e32 v36, 16, v34
.LBB716_152:
	s_or_b64 exec, exec, s[22:23]
.LBB716_153:
	s_or_b64 exec, exec, s[20:21]
.LBB716_154:
	s_or_b64 exec, exec, s[8:9]
	s_mov_b32 s2, -1
	s_mov_b32 s3, 0xffffff
	v_cmp_lt_u64_e64 s[2:3], s[2:3], v[30:31]
	s_and_saveexec_b64 s[8:9], s[2:3]
	s_cbranch_execz .LBB716_160
; %bb.155:
	v_lshrrev_b32_e32 v30, 24, v31
	s_movk_i32 s2, 0x80
	v_cmp_ne_u32_e64 s[2:3], s2, v30
	v_mov_b32_e32 v35, 0xffff8000
	s_and_saveexec_b64 s[20:21], s[2:3]
	s_cbranch_execz .LBB716_159
; %bb.156:
	v_bfe_u32 v31, v31, 24, 7
	s_movk_i32 s2, 0x7f
	v_cmp_ne_u32_e64 s[2:3], s2, v31
	v_mov_b32_e32 v35, 0x7f80
	s_and_saveexec_b64 s[22:23], s[2:3]
	s_cbranch_execz .LBB716_158
; %bb.157:
	v_and_b32_e32 v47, 7, v30
	v_ffbh_u32_e32 v34, v47
	v_min_u32_e32 v49, 32, v34
	v_subrev_u32_e32 v34, 28, v49
	v_lshlrev_b64 v[34:35], v34, v[30:31]
	v_lshrrev_b32_e32 v48, 3, v31
	v_sub_u32_e32 v35, 29, v49
	v_and_b32_e32 v34, 7, v34
	v_cmp_gt_u32_e64 s[2:3], 8, v31
	v_cndmask_b32_e64 v31, v48, v35, s[2:3]
	v_cndmask_b32_e64 v34, v47, v34, s[2:3]
	v_lshlrev_b32_e32 v30, 24, v30
	v_bfrev_b32_e32 v35, 60
	v_lshlrev_b32_e32 v34, 20, v34
	v_and_b32_e32 v30, 0x80000000, v30
	v_lshl_add_u32 v31, v31, 23, v35
	v_or3_b32 v30, v30, v31, v34
	v_lshrrev_b32_e32 v35, 16, v30
.LBB716_158:
	s_or_b64 exec, exec, s[22:23]
.LBB716_159:
	s_or_b64 exec, exec, s[20:21]
.LBB716_160:
	s_or_b64 exec, exec, s[8:9]
	s_mov_b32 s2, 0x5040100
	v_perm_b32 v31, v40, v39, s2
	v_perm_b32 v30, v37, v38, s2
	;; [unrolled: 1-line block ×4, first 2 shown]
	v_mfma_f32_4x4x4bf16_1k a[0:3], v[18:19], v[30:31], a[0:3] cbsz:4 abid:2
	v_mov_b32_e32 v36, 0
	v_mfma_f32_4x4x4bf16_1k a[0:3], v[20:21], v[34:35], a[0:3] cbsz:4 abid:2
	v_mov_b32_e32 v35, 0
	v_cmp_ne_u16_sdwa s[2:3], v32, v35 src0_sel:BYTE_0 src1_sel:DWORD
	s_and_saveexec_b64 s[8:9], s[2:3]
	s_cbranch_execz .LBB716_166
; %bb.161:
	s_movk_i32 s2, 0x80
	v_cmp_ne_u16_sdwa s[2:3], v32, s2 src0_sel:BYTE_0 src1_sel:DWORD
	v_mov_b32_e32 v36, 0xffff8000
	s_and_saveexec_b64 s[20:21], s[2:3]
	s_cbranch_execz .LBB716_165
; %bb.162:
	s_movk_i32 s2, 0x7f
	v_and_b32_e32 v30, 0x7f, v32
	v_cmp_ne_u32_e64 s[2:3], s2, v30
	v_mov_b32_e32 v36, 0x7f80
	s_and_saveexec_b64 s[22:23], s[2:3]
	s_cbranch_execz .LBB716_164
; %bb.163:
	v_and_b32_e32 v31, 7, v32
	v_ffbh_u32_e32 v31, v31
	v_min_u32_e32 v31, 32, v31
	v_subrev_u32_e32 v36, 28, v31
	v_cmp_gt_u32_e64 s[2:3], 8, v30
	v_lshrrev_b32_e32 v34, 3, v30
	v_sub_u32_e32 v31, 29, v31
	v_cndmask_b32_e64 v30, 0, v36, s[2:3]
	v_cndmask_b32_e64 v34, v34, v31, s[2:3]
	v_lshlrev_b64 v[30:31], v30, v[32:33]
	v_lshlrev_b32_e32 v30, 20, v30
	v_lshlrev_b32_e32 v31, 24, v32
	v_bfrev_b32_e32 v36, 60
	v_and_b32_e32 v30, 0x700000, v30
	v_and_b32_e32 v31, 0x80000000, v31
	v_lshl_add_u32 v34, v34, 23, v36
	v_or3_b32 v30, v31, v34, v30
	v_lshrrev_b32_e32 v36, 16, v30
.LBB716_164:
	s_or_b64 exec, exec, s[22:23]
.LBB716_165:
	s_or_b64 exec, exec, s[20:21]
.LBB716_166:
	s_or_b64 exec, exec, s[8:9]
	v_lshrrev_b16_e32 v30, 8, v32
	v_cmp_ne_u16_e64 s[2:3], 0, v30
	s_and_saveexec_b64 s[8:9], s[2:3]
	s_cbranch_execz .LBB716_172
; %bb.167:
	s_movk_i32 s2, 0x80
	v_cmp_ne_u16_e64 s[2:3], s2, v30
	v_mov_b32_e32 v35, 0xffff8000
	s_and_saveexec_b64 s[20:21], s[2:3]
	s_cbranch_execz .LBB716_171
; %bb.168:
	s_movk_i32 s2, 0x7f
	v_and_b32_e32 v31, 0x7f, v30
	v_cmp_ne_u32_e64 s[2:3], s2, v31
	v_mov_b32_e32 v35, 0x7f80
	s_and_saveexec_b64 s[22:23], s[2:3]
	s_cbranch_execz .LBB716_170
; %bb.169:
	v_and_b32_e32 v37, 7, v30
	v_ffbh_u32_e32 v34, v37
	v_min_u32_e32 v39, 32, v34
	v_subrev_u32_e32 v34, 28, v39
	v_lshlrev_b64 v[34:35], v34, v[30:31]
	v_lshrrev_b32_e32 v38, 3, v31
	v_sub_u32_e32 v30, 29, v39
	v_and_b32_e32 v34, 7, v34
	v_cmp_gt_u32_e64 s[2:3], 8, v31
	v_cndmask_b32_e64 v30, v38, v30, s[2:3]
	v_cndmask_b32_e64 v31, v37, v34, s[2:3]
	v_lshlrev_b32_e32 v34, 16, v32
	v_bfrev_b32_e32 v35, 60
	v_lshlrev_b32_e32 v31, 20, v31
	v_and_b32_e32 v34, 0x80000000, v34
	v_lshl_add_u32 v30, v30, 23, v35
	v_or3_b32 v30, v34, v30, v31
	v_lshrrev_b32_e32 v35, 16, v30
.LBB716_170:
	s_or_b64 exec, exec, s[22:23]
.LBB716_171:
	s_or_b64 exec, exec, s[20:21]
.LBB716_172:
	s_or_b64 exec, exec, s[8:9]
	s_movk_i32 s2, 0xff
	v_and_b32_sdwa v34, v32, s2 dst_sel:DWORD dst_unused:UNUSED_PAD src0_sel:WORD_1 src1_sel:DWORD
	v_lshrrev_b32_e32 v30, 16, v32
	v_cmp_ne_u16_e64 s[2:3], 0, v34
	v_mov_b32_e32 v31, 0
	v_mov_b32_e32 v37, 0
	s_and_saveexec_b64 s[8:9], s[2:3]
	s_cbranch_execz .LBB716_178
; %bb.173:
	s_movk_i32 s2, 0x80
	v_cmp_ne_u16_e64 s[2:3], s2, v34
	v_mov_b32_e32 v37, 0xffff8000
	s_and_saveexec_b64 s[20:21], s[2:3]
	s_cbranch_execz .LBB716_177
; %bb.174:
	v_bfe_u32 v34, v32, 16, 7
	s_movk_i32 s2, 0x7f
	v_cmp_ne_u32_e64 s[2:3], s2, v34
	v_mov_b32_e32 v37, 0x7f80
	s_and_saveexec_b64 s[22:23], s[2:3]
	s_cbranch_execz .LBB716_176
; %bb.175:
	v_and_b32_e32 v37, 7, v30
	v_ffbh_u32_e32 v38, v37
	v_min_u32_e32 v41, 32, v38
	v_subrev_u32_e32 v38, 28, v41
	v_lshlrev_b64 v[38:39], v38, v[30:31]
	v_and_b32_e32 v38, 7, v38
	v_cmp_gt_u32_e64 s[2:3], 8, v34
	v_lshrrev_b32_e32 v40, 3, v34
	v_sub_u32_e32 v30, 29, v41
	v_cndmask_b32_e64 v34, v37, v38, s[2:3]
	v_mov_b32_e32 v37, 24
	v_cndmask_b32_e64 v30, v40, v30, s[2:3]
	v_lshlrev_b32_sdwa v37, v37, v32 dst_sel:DWORD dst_unused:UNUSED_PAD src0_sel:DWORD src1_sel:WORD_1
	v_bfrev_b32_e32 v38, 60
	v_lshlrev_b32_e32 v34, 20, v34
	v_and_b32_e32 v37, 0x80000000, v37
	v_lshl_add_u32 v30, v30, 23, v38
	v_or3_b32 v30, v37, v30, v34
	v_lshrrev_b32_e32 v37, 16, v30
.LBB716_176:
	s_or_b64 exec, exec, s[22:23]
.LBB716_177:
	s_or_b64 exec, exec, s[20:21]
.LBB716_178:
	s_or_b64 exec, exec, s[8:9]
	s_mov_b32 s2, 0xffffff
	v_cmp_lt_u32_e64 s[2:3], s2, v32
	v_mov_b32_e32 v38, 0
	s_and_saveexec_b64 s[8:9], s[2:3]
	s_cbranch_execz .LBB716_184
; %bb.179:
	v_lshrrev_b32_e32 v30, 24, v32
	s_movk_i32 s2, 0x80
	v_cmp_ne_u32_e64 s[2:3], s2, v30
	v_mov_b32_e32 v38, 0xffff8000
	s_and_saveexec_b64 s[20:21], s[2:3]
	s_cbranch_execz .LBB716_183
; %bb.180:
	v_bfe_u32 v34, v32, 24, 7
	s_movk_i32 s2, 0x7f
	v_cmp_ne_u32_e64 s[2:3], s2, v34
	v_mov_b32_e32 v38, 0x7f80
	s_and_saveexec_b64 s[22:23], s[2:3]
	s_cbranch_execz .LBB716_182
; %bb.181:
	v_and_b32_e32 v40, 7, v30
	v_ffbh_u32_e32 v38, v40
	v_min_u32_e32 v46, 32, v38
	v_subrev_u32_e32 v38, 28, v46
	v_lshlrev_b64 v[38:39], v38, v[30:31]
	v_lshrrev_b32_e32 v41, 3, v34
	v_sub_u32_e32 v39, 29, v46
	v_and_b32_e32 v38, 7, v38
	v_cmp_gt_u32_e64 s[2:3], 8, v34
	v_cndmask_b32_e64 v34, v41, v39, s[2:3]
	v_cndmask_b32_e64 v38, v40, v38, s[2:3]
	v_lshlrev_b32_e32 v30, 24, v30
	v_bfrev_b32_e32 v39, 60
	v_lshlrev_b32_e32 v38, 20, v38
	v_and_b32_e32 v30, 0x80000000, v30
	v_lshl_add_u32 v34, v34, 23, v39
	v_or3_b32 v30, v30, v34, v38
	v_lshrrev_b32_e32 v38, 16, v30
.LBB716_182:
	s_or_b64 exec, exec, s[22:23]
.LBB716_183:
	s_or_b64 exec, exec, s[20:21]
.LBB716_184:
	s_or_b64 exec, exec, s[8:9]
	v_mov_b32_e32 v39, 0
	v_mov_b32_e32 v30, v33
	v_cmp_ne_u16_sdwa s[2:3], v33, v39 src0_sel:BYTE_0 src1_sel:DWORD
	v_mov_b32_e32 v40, 0
	s_and_saveexec_b64 s[8:9], s[2:3]
	s_cbranch_execz .LBB716_190
; %bb.185:
	s_movk_i32 s2, 0x80
	v_cmp_ne_u16_sdwa s[2:3], v33, s2 src0_sel:BYTE_0 src1_sel:DWORD
	v_mov_b32_e32 v40, 0xffff8000
	s_and_saveexec_b64 s[20:21], s[2:3]
	s_cbranch_execz .LBB716_189
; %bb.186:
	s_movk_i32 s2, 0x7f
	v_and_b32_e32 v34, 0x7f, v33
	v_cmp_ne_u32_e64 s[2:3], s2, v34
	v_mov_b32_e32 v40, 0x7f80
	s_and_saveexec_b64 s[22:23], s[2:3]
	s_cbranch_execz .LBB716_188
; %bb.187:
	v_and_b32_e32 v40, 7, v33
	v_ffbh_u32_e32 v40, v40
	v_min_u32_e32 v40, 32, v40
	v_lshrrev_b32_e32 v41, 3, v34
	v_subrev_u32_e32 v46, 28, v40
	v_sub_u32_e32 v40, 29, v40
	v_cmp_gt_u32_e64 s[2:3], 8, v34
	v_cndmask_b32_e64 v34, v41, v40, s[2:3]
	v_cndmask_b32_e64 v40, 0, v46, s[2:3]
	v_lshlrev_b64 v[40:41], v40, v[30:31]
	v_lshlrev_b32_e32 v31, 20, v40
	v_lshlrev_b32_e32 v40, 24, v30
	v_bfrev_b32_e32 v41, 60
	v_and_b32_e32 v31, 0x700000, v31
	v_and_b32_e32 v40, 0x80000000, v40
	v_lshl_add_u32 v34, v34, 23, v41
	v_or3_b32 v31, v40, v34, v31
	v_lshrrev_b32_e32 v40, 16, v31
.LBB716_188:
	s_or_b64 exec, exec, s[22:23]
.LBB716_189:
	s_or_b64 exec, exec, s[20:21]
.LBB716_190:
	s_or_b64 exec, exec, s[8:9]
	v_lshrrev_b16_e32 v34, 8, v30
	v_cmp_ne_u16_e64 s[2:3], 0, v34
	s_and_saveexec_b64 s[8:9], s[2:3]
	s_cbranch_execz .LBB716_196
; %bb.191:
	s_movk_i32 s2, 0x80
	v_cmp_ne_u16_e64 s[2:3], s2, v34
	v_mov_b32_e32 v39, 0xffff8000
	s_and_saveexec_b64 s[20:21], s[2:3]
	s_cbranch_execz .LBB716_195
; %bb.192:
	s_movk_i32 s2, 0x7f
	v_and_b32_e32 v31, 0x7f, v34
	v_cmp_ne_u32_e64 s[2:3], s2, v31
	v_mov_b32_e32 v39, 0x7f80
	s_and_saveexec_b64 s[22:23], s[2:3]
	s_cbranch_execz .LBB716_194
; %bb.193:
	v_and_b32_e32 v39, 7, v34
	v_ffbh_u32_e32 v46, v39
	v_min_u32_e32 v48, 32, v46
	v_subrev_u32_e32 v46, 28, v48
	v_lshlrev_b64 v[46:47], v46, v[34:35]
	v_lshrrev_b32_e32 v41, 3, v31
	v_sub_u32_e32 v34, 29, v48
	v_and_b32_e32 v46, 7, v46
	v_cmp_gt_u32_e64 s[2:3], 8, v31
	v_cndmask_b32_e64 v31, v41, v34, s[2:3]
	v_cndmask_b32_e64 v34, v39, v46, s[2:3]
	v_lshlrev_b32_e32 v30, 16, v30
	v_bfrev_b32_e32 v39, 60
	v_lshlrev_b32_e32 v34, 20, v34
	v_and_b32_e32 v30, 0x80000000, v30
	v_lshl_add_u32 v31, v31, 23, v39
	v_or3_b32 v30, v30, v31, v34
	v_lshrrev_b32_e32 v39, 16, v30
.LBB716_194:
	s_or_b64 exec, exec, s[22:23]
.LBB716_195:
	s_or_b64 exec, exec, s[20:21]
.LBB716_196:
	s_or_b64 exec, exec, s[8:9]
	s_movk_i32 s2, 0xff
	v_and_b32_sdwa v41, v33, s2 dst_sel:DWORD dst_unused:UNUSED_PAD src0_sel:WORD_1 src1_sel:DWORD
	v_lshrrev_b32_e32 v30, 16, v33
	v_cmp_ne_u16_e64 s[2:3], 0, v41
	v_mov_b32_e32 v31, 0
	v_mov_b32_e32 v34, 0
	s_and_saveexec_b64 s[8:9], s[2:3]
	s_cbranch_execz .LBB716_202
; %bb.197:
	s_movk_i32 s2, 0x80
	v_cmp_ne_u16_e64 s[2:3], s2, v41
	v_mov_b32_e32 v34, 0xffff8000
	s_and_saveexec_b64 s[20:21], s[2:3]
	s_cbranch_execz .LBB716_201
; %bb.198:
	v_bfe_u32 v41, v33, 16, 7
	s_movk_i32 s2, 0x7f
	v_cmp_ne_u32_e64 s[2:3], s2, v41
	v_mov_b32_e32 v34, 0x7f80
	s_and_saveexec_b64 s[22:23], s[2:3]
	s_cbranch_execz .LBB716_200
; %bb.199:
	v_and_b32_e32 v34, 7, v30
	v_ffbh_u32_e32 v46, v34
	v_min_u32_e32 v49, 32, v46
	v_subrev_u32_e32 v46, 28, v49
	v_lshlrev_b64 v[46:47], v46, v[30:31]
	v_lshrrev_b32_e32 v48, 3, v41
	v_sub_u32_e32 v30, 29, v49
	v_and_b32_e32 v46, 7, v46
	v_cmp_gt_u32_e64 s[2:3], 8, v41
	v_mov_b32_e32 v41, 24
	v_cndmask_b32_e64 v30, v48, v30, s[2:3]
	v_cndmask_b32_e64 v34, v34, v46, s[2:3]
	v_lshlrev_b32_sdwa v41, v41, v33 dst_sel:DWORD dst_unused:UNUSED_PAD src0_sel:DWORD src1_sel:WORD_1
	v_bfrev_b32_e32 v46, 60
	v_lshlrev_b32_e32 v34, 20, v34
	v_and_b32_e32 v41, 0x80000000, v41
	v_lshl_add_u32 v30, v30, 23, v46
	v_or3_b32 v30, v41, v30, v34
	v_lshrrev_b32_e32 v34, 16, v30
.LBB716_200:
	s_or_b64 exec, exec, s[22:23]
.LBB716_201:
	s_or_b64 exec, exec, s[20:21]
.LBB716_202:
	s_or_b64 exec, exec, s[8:9]
	s_mov_b32 s2, -1
	s_mov_b32 s3, 0xffffff
	v_cmp_lt_u64_e64 s[2:3], s[2:3], v[32:33]
	s_and_saveexec_b64 s[8:9], s[2:3]
	s_cbranch_execz .LBB716_208
; %bb.203:
	v_lshrrev_b32_e32 v30, 24, v33
	s_movk_i32 s2, 0x80
	v_cmp_ne_u32_e64 s[2:3], s2, v30
	v_mov_b32_e32 v31, 0xffff8000
	s_and_saveexec_b64 s[20:21], s[2:3]
	s_cbranch_execz .LBB716_207
; %bb.204:
	v_bfe_u32 v32, v33, 24, 7
	s_movk_i32 s2, 0x7f
	v_cmp_ne_u32_e64 s[2:3], s2, v32
	v_mov_b32_e32 v31, 0x7f80
	s_and_saveexec_b64 s[22:23], s[2:3]
	s_cbranch_execz .LBB716_206
; %bb.205:
	v_and_b32_e32 v31, 7, v30
	v_ffbh_u32_e32 v41, v31
	v_min_u32_e32 v41, 32, v41
	v_subrev_u32_e32 v46, 28, v41
	v_lshlrev_b64 v[46:47], v46, v[30:31]
	v_lshrrev_b32_e32 v33, 3, v32
	v_sub_u32_e32 v41, 29, v41
	v_and_b32_e32 v46, 7, v46
	v_cmp_gt_u32_e64 s[2:3], 8, v32
	v_cndmask_b32_e64 v32, v33, v41, s[2:3]
	v_cndmask_b32_e64 v31, v31, v46, s[2:3]
	v_lshlrev_b32_e32 v30, 24, v30
	v_bfrev_b32_e32 v33, 60
	v_lshlrev_b32_e32 v31, 20, v31
	v_and_b32_e32 v30, 0x80000000, v30
	v_lshl_add_u32 v32, v32, 23, v33
	v_or3_b32 v30, v30, v32, v31
	v_lshrrev_b32_e32 v31, 16, v30
.LBB716_206:
	s_or_b64 exec, exec, s[22:23]
.LBB716_207:
	s_or_b64 exec, exec, s[20:21]
.LBB716_208:
	s_or_b64 exec, exec, s[8:9]
	s_mov_b32 s2, 0x5040100
	v_perm_b32 v33, v38, v37, s2
	v_perm_b32 v32, v35, v36, s2
	;; [unrolled: 1-line block ×4, first 2 shown]
	v_mfma_f32_4x4x4bf16_1k a[0:3], v[18:19], v[32:33], a[0:3] cbsz:4 abid:3
	v_mov_b32_e32 v33, 0
	v_mfma_f32_4x4x4bf16_1k a[0:3], v[20:21], v[30:31], a[0:3] cbsz:4 abid:3
	s_waitcnt vmcnt(5)
	v_cmp_ne_u16_sdwa s[2:3], v26, v33 src0_sel:BYTE_0 src1_sel:DWORD
	v_mov_b32_e32 v34, 0
	s_and_saveexec_b64 s[8:9], s[2:3]
	s_cbranch_execz .LBB716_214
; %bb.209:
	s_movk_i32 s2, 0x80
	v_cmp_ne_u16_sdwa s[2:3], v26, s2 src0_sel:BYTE_0 src1_sel:DWORD
	v_mov_b32_e32 v34, 0xffff8000
	s_and_saveexec_b64 s[20:21], s[2:3]
	s_cbranch_execz .LBB716_213
; %bb.210:
	s_movk_i32 s2, 0x7f
	v_and_b32_e32 v30, 0x7f, v26
	v_cmp_ne_u32_e64 s[2:3], s2, v30
	v_mov_b32_e32 v34, 0x7f80
	s_and_saveexec_b64 s[22:23], s[2:3]
	s_cbranch_execz .LBB716_212
; %bb.211:
	v_and_b32_e32 v31, 7, v26
	v_ffbh_u32_e32 v31, v31
	v_min_u32_e32 v31, 32, v31
	v_subrev_u32_e32 v34, 28, v31
	v_cmp_gt_u32_e64 s[2:3], 8, v30
	v_lshrrev_b32_e32 v32, 3, v30
	v_sub_u32_e32 v31, 29, v31
	v_cndmask_b32_e64 v30, 0, v34, s[2:3]
	v_cndmask_b32_e64 v32, v32, v31, s[2:3]
	v_lshlrev_b64 v[30:31], v30, v[26:27]
	v_lshlrev_b32_e32 v30, 20, v30
	v_lshlrev_b32_e32 v31, 24, v26
	v_bfrev_b32_e32 v34, 60
	v_and_b32_e32 v30, 0x700000, v30
	v_and_b32_e32 v31, 0x80000000, v31
	v_lshl_add_u32 v32, v32, 23, v34
	v_or3_b32 v30, v31, v32, v30
	v_lshrrev_b32_e32 v34, 16, v30
.LBB716_212:
	s_or_b64 exec, exec, s[22:23]
.LBB716_213:
	s_or_b64 exec, exec, s[20:21]
.LBB716_214:
	s_or_b64 exec, exec, s[8:9]
	v_lshrrev_b16_e32 v30, 8, v26
	v_cmp_ne_u16_e64 s[2:3], 0, v30
	s_and_saveexec_b64 s[8:9], s[2:3]
	s_cbranch_execz .LBB716_220
; %bb.215:
	s_movk_i32 s2, 0x80
	v_cmp_ne_u16_e64 s[2:3], s2, v30
	v_mov_b32_e32 v33, 0xffff8000
	s_and_saveexec_b64 s[20:21], s[2:3]
	s_cbranch_execz .LBB716_219
; %bb.216:
	s_movk_i32 s2, 0x7f
	v_and_b32_e32 v31, 0x7f, v30
	v_cmp_ne_u32_e64 s[2:3], s2, v31
	v_mov_b32_e32 v33, 0x7f80
	s_and_saveexec_b64 s[22:23], s[2:3]
	s_cbranch_execz .LBB716_218
; %bb.217:
	v_and_b32_e32 v35, 7, v30
	v_ffbh_u32_e32 v32, v35
	v_min_u32_e32 v37, 32, v32
	v_subrev_u32_e32 v32, 28, v37
	v_lshlrev_b64 v[32:33], v32, v[30:31]
	v_lshrrev_b32_e32 v36, 3, v31
	v_sub_u32_e32 v30, 29, v37
	v_and_b32_e32 v32, 7, v32
	v_cmp_gt_u32_e64 s[2:3], 8, v31
	v_cndmask_b32_e64 v30, v36, v30, s[2:3]
	v_cndmask_b32_e64 v31, v35, v32, s[2:3]
	v_lshlrev_b32_e32 v32, 16, v26
	v_bfrev_b32_e32 v33, 60
	v_lshlrev_b32_e32 v31, 20, v31
	v_and_b32_e32 v32, 0x80000000, v32
	v_lshl_add_u32 v30, v30, 23, v33
	v_or3_b32 v30, v32, v30, v31
	v_lshrrev_b32_e32 v33, 16, v30
.LBB716_218:
	s_or_b64 exec, exec, s[22:23]
.LBB716_219:
	s_or_b64 exec, exec, s[20:21]
.LBB716_220:
	s_or_b64 exec, exec, s[8:9]
	s_movk_i32 s2, 0xff
	v_and_b32_sdwa v32, v26, s2 dst_sel:DWORD dst_unused:UNUSED_PAD src0_sel:WORD_1 src1_sel:DWORD
	v_lshrrev_b32_e32 v30, 16, v26
	v_cmp_ne_u16_e64 s[2:3], 0, v32
	v_mov_b32_e32 v31, 0
	v_mov_b32_e32 v35, 0
	s_and_saveexec_b64 s[8:9], s[2:3]
	s_cbranch_execz .LBB716_226
; %bb.221:
	s_movk_i32 s2, 0x80
	v_cmp_ne_u16_e64 s[2:3], s2, v32
	v_mov_b32_e32 v35, 0xffff8000
	s_and_saveexec_b64 s[20:21], s[2:3]
	s_cbranch_execz .LBB716_225
; %bb.222:
	v_bfe_u32 v32, v26, 16, 7
	s_movk_i32 s2, 0x7f
	v_cmp_ne_u32_e64 s[2:3], s2, v32
	v_mov_b32_e32 v35, 0x7f80
	s_and_saveexec_b64 s[22:23], s[2:3]
	s_cbranch_execz .LBB716_224
; %bb.223:
	v_and_b32_e32 v35, 7, v30
	v_ffbh_u32_e32 v36, v35
	v_min_u32_e32 v39, 32, v36
	v_subrev_u32_e32 v36, 28, v39
	v_lshlrev_b64 v[36:37], v36, v[30:31]
	v_and_b32_e32 v36, 7, v36
	v_cmp_gt_u32_e64 s[2:3], 8, v32
	v_lshrrev_b32_e32 v38, 3, v32
	v_sub_u32_e32 v30, 29, v39
	v_cndmask_b32_e64 v32, v35, v36, s[2:3]
	v_mov_b32_e32 v35, 24
	v_cndmask_b32_e64 v30, v38, v30, s[2:3]
	v_lshlrev_b32_sdwa v35, v35, v26 dst_sel:DWORD dst_unused:UNUSED_PAD src0_sel:DWORD src1_sel:WORD_1
	v_bfrev_b32_e32 v36, 60
	v_lshlrev_b32_e32 v32, 20, v32
	v_and_b32_e32 v35, 0x80000000, v35
	v_lshl_add_u32 v30, v30, 23, v36
	v_or3_b32 v30, v35, v30, v32
	v_lshrrev_b32_e32 v35, 16, v30
.LBB716_224:
	s_or_b64 exec, exec, s[22:23]
.LBB716_225:
	s_or_b64 exec, exec, s[20:21]
.LBB716_226:
	s_or_b64 exec, exec, s[8:9]
	s_mov_b32 s2, 0xffffff
	v_cmp_lt_u32_e64 s[2:3], s2, v26
	v_mov_b32_e32 v36, 0
	s_and_saveexec_b64 s[8:9], s[2:3]
	s_cbranch_execz .LBB716_232
; %bb.227:
	v_lshrrev_b32_e32 v30, 24, v26
	s_movk_i32 s2, 0x80
	v_cmp_ne_u32_e64 s[2:3], s2, v30
	v_mov_b32_e32 v36, 0xffff8000
	s_and_saveexec_b64 s[20:21], s[2:3]
	s_cbranch_execz .LBB716_231
; %bb.228:
	v_bfe_u32 v32, v26, 24, 7
	s_movk_i32 s2, 0x7f
	v_cmp_ne_u32_e64 s[2:3], s2, v32
	v_mov_b32_e32 v36, 0x7f80
	s_and_saveexec_b64 s[22:23], s[2:3]
	s_cbranch_execz .LBB716_230
; %bb.229:
	v_and_b32_e32 v38, 7, v30
	v_ffbh_u32_e32 v36, v38
	v_min_u32_e32 v40, 32, v36
	v_subrev_u32_e32 v36, 28, v40
	v_lshlrev_b64 v[36:37], v36, v[30:31]
	v_lshrrev_b32_e32 v39, 3, v32
	v_sub_u32_e32 v37, 29, v40
	v_and_b32_e32 v36, 7, v36
	v_cmp_gt_u32_e64 s[2:3], 8, v32
	v_cndmask_b32_e64 v32, v39, v37, s[2:3]
	v_cndmask_b32_e64 v36, v38, v36, s[2:3]
	v_lshlrev_b32_e32 v30, 24, v30
	v_bfrev_b32_e32 v37, 60
	v_lshlrev_b32_e32 v36, 20, v36
	v_and_b32_e32 v30, 0x80000000, v30
	v_lshl_add_u32 v32, v32, 23, v37
	v_or3_b32 v30, v30, v32, v36
	v_lshrrev_b32_e32 v36, 16, v30
.LBB716_230:
	s_or_b64 exec, exec, s[22:23]
.LBB716_231:
	s_or_b64 exec, exec, s[20:21]
.LBB716_232:
	s_or_b64 exec, exec, s[8:9]
	v_mov_b32_e32 v37, 0
	v_mov_b32_e32 v30, v27
	v_cmp_ne_u16_sdwa s[2:3], v27, v37 src0_sel:BYTE_0 src1_sel:DWORD
	v_mov_b32_e32 v38, 0
	s_and_saveexec_b64 s[8:9], s[2:3]
	s_cbranch_execz .LBB716_238
; %bb.233:
	s_movk_i32 s2, 0x80
	v_cmp_ne_u16_sdwa s[2:3], v27, s2 src0_sel:BYTE_0 src1_sel:DWORD
	v_mov_b32_e32 v38, 0xffff8000
	s_and_saveexec_b64 s[20:21], s[2:3]
	s_cbranch_execz .LBB716_237
; %bb.234:
	s_movk_i32 s2, 0x7f
	v_and_b32_e32 v32, 0x7f, v27
	v_cmp_ne_u32_e64 s[2:3], s2, v32
	v_mov_b32_e32 v38, 0x7f80
	s_and_saveexec_b64 s[22:23], s[2:3]
	s_cbranch_execz .LBB716_236
; %bb.235:
	v_and_b32_e32 v38, 7, v27
	v_ffbh_u32_e32 v38, v38
	v_min_u32_e32 v38, 32, v38
	v_lshrrev_b32_e32 v39, 3, v32
	v_subrev_u32_e32 v40, 28, v38
	v_sub_u32_e32 v38, 29, v38
	v_cmp_gt_u32_e64 s[2:3], 8, v32
	v_cndmask_b32_e64 v32, v39, v38, s[2:3]
	v_cndmask_b32_e64 v38, 0, v40, s[2:3]
	v_lshlrev_b64 v[38:39], v38, v[30:31]
	v_lshlrev_b32_e32 v31, 20, v38
	v_lshlrev_b32_e32 v38, 24, v30
	v_bfrev_b32_e32 v39, 60
	v_and_b32_e32 v31, 0x700000, v31
	v_and_b32_e32 v38, 0x80000000, v38
	v_lshl_add_u32 v32, v32, 23, v39
	v_or3_b32 v31, v38, v32, v31
	v_lshrrev_b32_e32 v38, 16, v31
.LBB716_236:
	s_or_b64 exec, exec, s[22:23]
.LBB716_237:
	s_or_b64 exec, exec, s[20:21]
.LBB716_238:
	s_or_b64 exec, exec, s[8:9]
	v_lshrrev_b16_e32 v32, 8, v30
	v_cmp_ne_u16_e64 s[2:3], 0, v32
	s_and_saveexec_b64 s[8:9], s[2:3]
	s_cbranch_execz .LBB716_244
; %bb.239:
	s_movk_i32 s2, 0x80
	v_cmp_ne_u16_e64 s[2:3], s2, v32
	v_mov_b32_e32 v37, 0xffff8000
	s_and_saveexec_b64 s[20:21], s[2:3]
	s_cbranch_execz .LBB716_243
; %bb.240:
	s_movk_i32 s2, 0x7f
	v_and_b32_e32 v31, 0x7f, v32
	v_cmp_ne_u32_e64 s[2:3], s2, v31
	v_mov_b32_e32 v37, 0x7f80
	s_and_saveexec_b64 s[22:23], s[2:3]
	s_cbranch_execz .LBB716_242
; %bb.241:
	v_and_b32_e32 v37, 7, v32
	v_ffbh_u32_e32 v40, v37
	v_min_u32_e32 v46, 32, v40
	v_subrev_u32_e32 v40, 28, v46
	v_lshlrev_b64 v[40:41], v40, v[32:33]
	v_lshrrev_b32_e32 v39, 3, v31
	v_sub_u32_e32 v32, 29, v46
	v_and_b32_e32 v40, 7, v40
	v_cmp_gt_u32_e64 s[2:3], 8, v31
	v_cndmask_b32_e64 v31, v39, v32, s[2:3]
	v_cndmask_b32_e64 v32, v37, v40, s[2:3]
	v_lshlrev_b32_e32 v30, 16, v30
	v_bfrev_b32_e32 v37, 60
	v_lshlrev_b32_e32 v32, 20, v32
	v_and_b32_e32 v30, 0x80000000, v30
	v_lshl_add_u32 v31, v31, 23, v37
	v_or3_b32 v30, v30, v31, v32
	v_lshrrev_b32_e32 v37, 16, v30
.LBB716_242:
	s_or_b64 exec, exec, s[22:23]
.LBB716_243:
	s_or_b64 exec, exec, s[20:21]
.LBB716_244:
	s_or_b64 exec, exec, s[8:9]
	s_movk_i32 s2, 0xff
	v_and_b32_sdwa v39, v27, s2 dst_sel:DWORD dst_unused:UNUSED_PAD src0_sel:WORD_1 src1_sel:DWORD
	v_lshrrev_b32_e32 v30, 16, v27
	v_cmp_ne_u16_e64 s[2:3], 0, v39
	v_mov_b32_e32 v31, 0
	v_mov_b32_e32 v32, 0
	s_and_saveexec_b64 s[8:9], s[2:3]
	s_cbranch_execz .LBB716_250
; %bb.245:
	s_movk_i32 s2, 0x80
	v_cmp_ne_u16_e64 s[2:3], s2, v39
	v_mov_b32_e32 v32, 0xffff8000
	s_and_saveexec_b64 s[20:21], s[2:3]
	s_cbranch_execz .LBB716_249
; %bb.246:
	v_bfe_u32 v39, v27, 16, 7
	s_movk_i32 s2, 0x7f
	v_cmp_ne_u32_e64 s[2:3], s2, v39
	v_mov_b32_e32 v32, 0x7f80
	s_and_saveexec_b64 s[22:23], s[2:3]
	s_cbranch_execz .LBB716_248
; %bb.247:
	v_and_b32_e32 v32, 7, v30
	v_ffbh_u32_e32 v40, v32
	v_min_u32_e32 v47, 32, v40
	v_subrev_u32_e32 v40, 28, v47
	v_lshlrev_b64 v[40:41], v40, v[30:31]
	v_lshrrev_b32_e32 v46, 3, v39
	v_sub_u32_e32 v30, 29, v47
	v_and_b32_e32 v40, 7, v40
	v_cmp_gt_u32_e64 s[2:3], 8, v39
	v_mov_b32_e32 v39, 24
	v_cndmask_b32_e64 v30, v46, v30, s[2:3]
	v_cndmask_b32_e64 v32, v32, v40, s[2:3]
	v_lshlrev_b32_sdwa v39, v39, v27 dst_sel:DWORD dst_unused:UNUSED_PAD src0_sel:DWORD src1_sel:WORD_1
	v_bfrev_b32_e32 v40, 60
	v_lshlrev_b32_e32 v32, 20, v32
	v_and_b32_e32 v39, 0x80000000, v39
	v_lshl_add_u32 v30, v30, 23, v40
	v_or3_b32 v30, v39, v30, v32
	v_lshrrev_b32_e32 v32, 16, v30
.LBB716_248:
	s_or_b64 exec, exec, s[22:23]
.LBB716_249:
	s_or_b64 exec, exec, s[20:21]
.LBB716_250:
	s_or_b64 exec, exec, s[8:9]
	s_mov_b32 s2, -1
	s_mov_b32 s3, 0xffffff
	v_cmp_lt_u64_e64 s[2:3], s[2:3], v[26:27]
	s_and_saveexec_b64 s[8:9], s[2:3]
	s_cbranch_execz .LBB716_256
; %bb.251:
	v_lshrrev_b32_e32 v26, 24, v27
	s_movk_i32 s2, 0x80
	v_cmp_ne_u32_e64 s[2:3], s2, v26
	v_mov_b32_e32 v31, 0xffff8000
	s_and_saveexec_b64 s[20:21], s[2:3]
	s_cbranch_execz .LBB716_255
; %bb.252:
	v_bfe_u32 v27, v27, 24, 7
	s_movk_i32 s2, 0x7f
	v_cmp_ne_u32_e64 s[2:3], s2, v27
	v_mov_b32_e32 v31, 0x7f80
	s_and_saveexec_b64 s[22:23], s[2:3]
	s_cbranch_execz .LBB716_254
; %bb.253:
	v_and_b32_e32 v39, 7, v26
	v_ffbh_u32_e32 v30, v39
	v_min_u32_e32 v41, 32, v30
	v_subrev_u32_e32 v30, 28, v41
	v_lshlrev_b64 v[30:31], v30, v[26:27]
	v_lshrrev_b32_e32 v40, 3, v27
	v_sub_u32_e32 v31, 29, v41
	v_and_b32_e32 v30, 7, v30
	v_cmp_gt_u32_e64 s[2:3], 8, v27
	v_cndmask_b32_e64 v27, v40, v31, s[2:3]
	v_cndmask_b32_e64 v30, v39, v30, s[2:3]
	v_lshlrev_b32_e32 v26, 24, v26
	v_bfrev_b32_e32 v31, 60
	v_lshlrev_b32_e32 v30, 20, v30
	v_and_b32_e32 v26, 0x80000000, v26
	v_lshl_add_u32 v27, v27, 23, v31
	v_or3_b32 v26, v26, v27, v30
	v_lshrrev_b32_e32 v31, 16, v26
.LBB716_254:
	s_or_b64 exec, exec, s[22:23]
.LBB716_255:
	s_or_b64 exec, exec, s[20:21]
.LBB716_256:
	s_or_b64 exec, exec, s[8:9]
	s_mov_b32 s2, 0x5040100
	v_perm_b32 v27, v36, v35, s2
	v_perm_b32 v26, v33, v34, s2
	;; [unrolled: 1-line block ×4, first 2 shown]
	v_mfma_f32_4x4x4bf16_1k a[0:3], v[18:19], v[26:27], a[0:3] cbsz:4 abid:4
	v_mov_b32_e32 v32, 0
	v_mfma_f32_4x4x4bf16_1k a[0:3], v[20:21], v[30:31], a[0:3] cbsz:4 abid:4
	v_mov_b32_e32 v31, 0
	v_cmp_ne_u16_sdwa s[2:3], v28, v31 src0_sel:BYTE_0 src1_sel:DWORD
	s_and_saveexec_b64 s[8:9], s[2:3]
	s_cbranch_execz .LBB716_262
; %bb.257:
	s_movk_i32 s2, 0x80
	v_cmp_ne_u16_sdwa s[2:3], v28, s2 src0_sel:BYTE_0 src1_sel:DWORD
	v_mov_b32_e32 v32, 0xffff8000
	s_and_saveexec_b64 s[20:21], s[2:3]
	s_cbranch_execz .LBB716_261
; %bb.258:
	s_movk_i32 s2, 0x7f
	v_and_b32_e32 v26, 0x7f, v28
	v_cmp_ne_u32_e64 s[2:3], s2, v26
	v_mov_b32_e32 v32, 0x7f80
	s_and_saveexec_b64 s[22:23], s[2:3]
	s_cbranch_execz .LBB716_260
; %bb.259:
	v_and_b32_e32 v27, 7, v28
	v_ffbh_u32_e32 v27, v27
	v_min_u32_e32 v27, 32, v27
	v_subrev_u32_e32 v32, 28, v27
	v_cmp_gt_u32_e64 s[2:3], 8, v26
	v_lshrrev_b32_e32 v30, 3, v26
	v_sub_u32_e32 v27, 29, v27
	v_cndmask_b32_e64 v26, 0, v32, s[2:3]
	v_cndmask_b32_e64 v30, v30, v27, s[2:3]
	v_lshlrev_b64 v[26:27], v26, v[28:29]
	v_lshlrev_b32_e32 v26, 20, v26
	v_lshlrev_b32_e32 v27, 24, v28
	v_bfrev_b32_e32 v32, 60
	v_and_b32_e32 v26, 0x700000, v26
	v_and_b32_e32 v27, 0x80000000, v27
	v_lshl_add_u32 v30, v30, 23, v32
	v_or3_b32 v26, v27, v30, v26
	v_lshrrev_b32_e32 v32, 16, v26
.LBB716_260:
	s_or_b64 exec, exec, s[22:23]
.LBB716_261:
	s_or_b64 exec, exec, s[20:21]
.LBB716_262:
	s_or_b64 exec, exec, s[8:9]
	v_lshrrev_b16_e32 v26, 8, v28
	v_cmp_ne_u16_e64 s[2:3], 0, v26
	s_and_saveexec_b64 s[8:9], s[2:3]
	s_cbranch_execz .LBB716_268
; %bb.263:
	s_movk_i32 s2, 0x80
	v_cmp_ne_u16_e64 s[2:3], s2, v26
	v_mov_b32_e32 v31, 0xffff8000
	s_and_saveexec_b64 s[20:21], s[2:3]
	s_cbranch_execz .LBB716_267
; %bb.264:
	s_movk_i32 s2, 0x7f
	v_and_b32_e32 v27, 0x7f, v26
	v_cmp_ne_u32_e64 s[2:3], s2, v27
	v_mov_b32_e32 v31, 0x7f80
	s_and_saveexec_b64 s[22:23], s[2:3]
	s_cbranch_execz .LBB716_266
; %bb.265:
	v_and_b32_e32 v33, 7, v26
	v_ffbh_u32_e32 v30, v33
	v_min_u32_e32 v35, 32, v30
	v_subrev_u32_e32 v30, 28, v35
	v_lshlrev_b64 v[30:31], v30, v[26:27]
	v_lshrrev_b32_e32 v34, 3, v27
	v_sub_u32_e32 v26, 29, v35
	v_and_b32_e32 v30, 7, v30
	v_cmp_gt_u32_e64 s[2:3], 8, v27
	v_cndmask_b32_e64 v26, v34, v26, s[2:3]
	v_cndmask_b32_e64 v27, v33, v30, s[2:3]
	v_lshlrev_b32_e32 v30, 16, v28
	v_bfrev_b32_e32 v31, 60
	v_lshlrev_b32_e32 v27, 20, v27
	v_and_b32_e32 v30, 0x80000000, v30
	v_lshl_add_u32 v26, v26, 23, v31
	v_or3_b32 v26, v30, v26, v27
	v_lshrrev_b32_e32 v31, 16, v26
.LBB716_266:
	s_or_b64 exec, exec, s[22:23]
.LBB716_267:
	s_or_b64 exec, exec, s[20:21]
.LBB716_268:
	s_or_b64 exec, exec, s[8:9]
	s_movk_i32 s2, 0xff
	v_and_b32_sdwa v30, v28, s2 dst_sel:DWORD dst_unused:UNUSED_PAD src0_sel:WORD_1 src1_sel:DWORD
	v_lshrrev_b32_e32 v26, 16, v28
	v_cmp_ne_u16_e64 s[2:3], 0, v30
	v_mov_b32_e32 v27, 0
	v_mov_b32_e32 v33, 0
	s_and_saveexec_b64 s[8:9], s[2:3]
	s_cbranch_execz .LBB716_274
; %bb.269:
	s_movk_i32 s2, 0x80
	v_cmp_ne_u16_e64 s[2:3], s2, v30
	v_mov_b32_e32 v33, 0xffff8000
	s_and_saveexec_b64 s[20:21], s[2:3]
	s_cbranch_execz .LBB716_273
; %bb.270:
	v_bfe_u32 v30, v28, 16, 7
	s_movk_i32 s2, 0x7f
	v_cmp_ne_u32_e64 s[2:3], s2, v30
	v_mov_b32_e32 v33, 0x7f80
	s_and_saveexec_b64 s[22:23], s[2:3]
	s_cbranch_execz .LBB716_272
; %bb.271:
	v_and_b32_e32 v33, 7, v26
	v_ffbh_u32_e32 v34, v33
	v_min_u32_e32 v37, 32, v34
	v_subrev_u32_e32 v34, 28, v37
	v_lshlrev_b64 v[34:35], v34, v[26:27]
	v_and_b32_e32 v34, 7, v34
	v_cmp_gt_u32_e64 s[2:3], 8, v30
	v_lshrrev_b32_e32 v36, 3, v30
	v_sub_u32_e32 v26, 29, v37
	v_cndmask_b32_e64 v30, v33, v34, s[2:3]
	v_mov_b32_e32 v33, 24
	v_cndmask_b32_e64 v26, v36, v26, s[2:3]
	v_lshlrev_b32_sdwa v33, v33, v28 dst_sel:DWORD dst_unused:UNUSED_PAD src0_sel:DWORD src1_sel:WORD_1
	v_bfrev_b32_e32 v34, 60
	v_lshlrev_b32_e32 v30, 20, v30
	v_and_b32_e32 v33, 0x80000000, v33
	v_lshl_add_u32 v26, v26, 23, v34
	v_or3_b32 v26, v33, v26, v30
	v_lshrrev_b32_e32 v33, 16, v26
.LBB716_272:
	s_or_b64 exec, exec, s[22:23]
.LBB716_273:
	s_or_b64 exec, exec, s[20:21]
.LBB716_274:
	s_or_b64 exec, exec, s[8:9]
	s_mov_b32 s2, 0xffffff
	v_cmp_lt_u32_e64 s[2:3], s2, v28
	v_mov_b32_e32 v34, 0
	s_and_saveexec_b64 s[8:9], s[2:3]
	s_cbranch_execz .LBB716_280
; %bb.275:
	v_lshrrev_b32_e32 v26, 24, v28
	s_movk_i32 s2, 0x80
	v_cmp_ne_u32_e64 s[2:3], s2, v26
	v_mov_b32_e32 v34, 0xffff8000
	s_and_saveexec_b64 s[20:21], s[2:3]
	s_cbranch_execz .LBB716_279
; %bb.276:
	v_bfe_u32 v30, v28, 24, 7
	s_movk_i32 s2, 0x7f
	v_cmp_ne_u32_e64 s[2:3], s2, v30
	v_mov_b32_e32 v34, 0x7f80
	s_and_saveexec_b64 s[22:23], s[2:3]
	s_cbranch_execz .LBB716_278
; %bb.277:
	v_and_b32_e32 v36, 7, v26
	v_ffbh_u32_e32 v34, v36
	v_min_u32_e32 v38, 32, v34
	v_subrev_u32_e32 v34, 28, v38
	v_lshlrev_b64 v[34:35], v34, v[26:27]
	v_lshrrev_b32_e32 v37, 3, v30
	v_sub_u32_e32 v35, 29, v38
	v_and_b32_e32 v34, 7, v34
	v_cmp_gt_u32_e64 s[2:3], 8, v30
	v_cndmask_b32_e64 v30, v37, v35, s[2:3]
	v_cndmask_b32_e64 v34, v36, v34, s[2:3]
	v_lshlrev_b32_e32 v26, 24, v26
	v_bfrev_b32_e32 v35, 60
	v_lshlrev_b32_e32 v34, 20, v34
	v_and_b32_e32 v26, 0x80000000, v26
	v_lshl_add_u32 v30, v30, 23, v35
	v_or3_b32 v26, v26, v30, v34
	v_lshrrev_b32_e32 v34, 16, v26
.LBB716_278:
	s_or_b64 exec, exec, s[22:23]
.LBB716_279:
	s_or_b64 exec, exec, s[20:21]
.LBB716_280:
	s_or_b64 exec, exec, s[8:9]
	v_mov_b32_e32 v35, 0
	v_mov_b32_e32 v26, v29
	v_cmp_ne_u16_sdwa s[2:3], v29, v35 src0_sel:BYTE_0 src1_sel:DWORD
	v_mov_b32_e32 v36, 0
	s_and_saveexec_b64 s[8:9], s[2:3]
	s_cbranch_execz .LBB716_286
; %bb.281:
	s_movk_i32 s2, 0x80
	v_cmp_ne_u16_sdwa s[2:3], v29, s2 src0_sel:BYTE_0 src1_sel:DWORD
	v_mov_b32_e32 v36, 0xffff8000
	s_and_saveexec_b64 s[20:21], s[2:3]
	s_cbranch_execz .LBB716_285
; %bb.282:
	s_movk_i32 s2, 0x7f
	v_and_b32_e32 v30, 0x7f, v29
	v_cmp_ne_u32_e64 s[2:3], s2, v30
	v_mov_b32_e32 v36, 0x7f80
	s_and_saveexec_b64 s[22:23], s[2:3]
	s_cbranch_execz .LBB716_284
; %bb.283:
	v_and_b32_e32 v36, 7, v29
	v_ffbh_u32_e32 v36, v36
	v_min_u32_e32 v36, 32, v36
	v_lshrrev_b32_e32 v37, 3, v30
	v_subrev_u32_e32 v38, 28, v36
	v_sub_u32_e32 v36, 29, v36
	v_cmp_gt_u32_e64 s[2:3], 8, v30
	v_cndmask_b32_e64 v30, v37, v36, s[2:3]
	v_cndmask_b32_e64 v36, 0, v38, s[2:3]
	v_lshlrev_b64 v[36:37], v36, v[26:27]
	v_lshlrev_b32_e32 v27, 20, v36
	v_lshlrev_b32_e32 v36, 24, v26
	v_bfrev_b32_e32 v37, 60
	v_and_b32_e32 v27, 0x700000, v27
	v_and_b32_e32 v36, 0x80000000, v36
	v_lshl_add_u32 v30, v30, 23, v37
	v_or3_b32 v27, v36, v30, v27
	v_lshrrev_b32_e32 v36, 16, v27
.LBB716_284:
	s_or_b64 exec, exec, s[22:23]
.LBB716_285:
	s_or_b64 exec, exec, s[20:21]
.LBB716_286:
	s_or_b64 exec, exec, s[8:9]
	v_lshrrev_b16_e32 v30, 8, v26
	v_cmp_ne_u16_e64 s[2:3], 0, v30
	s_and_saveexec_b64 s[8:9], s[2:3]
	s_cbranch_execz .LBB716_292
; %bb.287:
	s_movk_i32 s2, 0x80
	v_cmp_ne_u16_e64 s[2:3], s2, v30
	v_mov_b32_e32 v35, 0xffff8000
	s_and_saveexec_b64 s[20:21], s[2:3]
	s_cbranch_execz .LBB716_291
; %bb.288:
	s_movk_i32 s2, 0x7f
	v_and_b32_e32 v27, 0x7f, v30
	v_cmp_ne_u32_e64 s[2:3], s2, v27
	v_mov_b32_e32 v35, 0x7f80
	s_and_saveexec_b64 s[22:23], s[2:3]
	s_cbranch_execz .LBB716_290
; %bb.289:
	v_and_b32_e32 v35, 7, v30
	v_ffbh_u32_e32 v38, v35
	v_min_u32_e32 v40, 32, v38
	v_subrev_u32_e32 v38, 28, v40
	v_lshlrev_b64 v[38:39], v38, v[30:31]
	v_lshrrev_b32_e32 v37, 3, v27
	v_sub_u32_e32 v30, 29, v40
	v_and_b32_e32 v38, 7, v38
	v_cmp_gt_u32_e64 s[2:3], 8, v27
	v_cndmask_b32_e64 v27, v37, v30, s[2:3]
	v_cndmask_b32_e64 v30, v35, v38, s[2:3]
	v_lshlrev_b32_e32 v26, 16, v26
	v_bfrev_b32_e32 v35, 60
	v_lshlrev_b32_e32 v30, 20, v30
	v_and_b32_e32 v26, 0x80000000, v26
	v_lshl_add_u32 v27, v27, 23, v35
	v_or3_b32 v26, v26, v27, v30
	v_lshrrev_b32_e32 v35, 16, v26
.LBB716_290:
	s_or_b64 exec, exec, s[22:23]
.LBB716_291:
	s_or_b64 exec, exec, s[20:21]
.LBB716_292:
	s_or_b64 exec, exec, s[8:9]
	s_movk_i32 s2, 0xff
	v_and_b32_sdwa v37, v29, s2 dst_sel:DWORD dst_unused:UNUSED_PAD src0_sel:WORD_1 src1_sel:DWORD
	v_lshrrev_b32_e32 v26, 16, v29
	v_cmp_ne_u16_e64 s[2:3], 0, v37
	v_mov_b32_e32 v27, 0
	v_mov_b32_e32 v30, 0
	s_and_saveexec_b64 s[8:9], s[2:3]
	s_cbranch_execz .LBB716_298
; %bb.293:
	s_movk_i32 s2, 0x80
	v_cmp_ne_u16_e64 s[2:3], s2, v37
	v_mov_b32_e32 v30, 0xffff8000
	s_and_saveexec_b64 s[20:21], s[2:3]
	s_cbranch_execz .LBB716_297
; %bb.294:
	v_bfe_u32 v37, v29, 16, 7
	s_movk_i32 s2, 0x7f
	v_cmp_ne_u32_e64 s[2:3], s2, v37
	v_mov_b32_e32 v30, 0x7f80
	s_and_saveexec_b64 s[22:23], s[2:3]
	s_cbranch_execz .LBB716_296
; %bb.295:
	v_and_b32_e32 v30, 7, v26
	v_ffbh_u32_e32 v38, v30
	v_min_u32_e32 v41, 32, v38
	v_subrev_u32_e32 v38, 28, v41
	v_lshlrev_b64 v[38:39], v38, v[26:27]
	v_lshrrev_b32_e32 v40, 3, v37
	v_sub_u32_e32 v26, 29, v41
	v_and_b32_e32 v38, 7, v38
	v_cmp_gt_u32_e64 s[2:3], 8, v37
	v_mov_b32_e32 v37, 24
	v_cndmask_b32_e64 v26, v40, v26, s[2:3]
	v_cndmask_b32_e64 v30, v30, v38, s[2:3]
	v_lshlrev_b32_sdwa v37, v37, v29 dst_sel:DWORD dst_unused:UNUSED_PAD src0_sel:DWORD src1_sel:WORD_1
	v_bfrev_b32_e32 v38, 60
	v_lshlrev_b32_e32 v30, 20, v30
	v_and_b32_e32 v37, 0x80000000, v37
	v_lshl_add_u32 v26, v26, 23, v38
	v_or3_b32 v26, v37, v26, v30
	v_lshrrev_b32_e32 v30, 16, v26
.LBB716_296:
	s_or_b64 exec, exec, s[22:23]
.LBB716_297:
	s_or_b64 exec, exec, s[20:21]
.LBB716_298:
	s_or_b64 exec, exec, s[8:9]
	s_mov_b32 s2, -1
	s_mov_b32 s3, 0xffffff
	v_cmp_lt_u64_e64 s[2:3], s[2:3], v[28:29]
	s_and_saveexec_b64 s[8:9], s[2:3]
	s_cbranch_execz .LBB716_304
; %bb.299:
	v_lshrrev_b32_e32 v26, 24, v29
	s_movk_i32 s2, 0x80
	v_cmp_ne_u32_e64 s[2:3], s2, v26
	v_mov_b32_e32 v27, 0xffff8000
	s_and_saveexec_b64 s[20:21], s[2:3]
	s_cbranch_execz .LBB716_303
; %bb.300:
	v_bfe_u32 v28, v29, 24, 7
	s_movk_i32 s2, 0x7f
	v_cmp_ne_u32_e64 s[2:3], s2, v28
	v_mov_b32_e32 v27, 0x7f80
	s_and_saveexec_b64 s[22:23], s[2:3]
	s_cbranch_execz .LBB716_302
; %bb.301:
	v_and_b32_e32 v27, 7, v26
	v_ffbh_u32_e32 v37, v27
	v_min_u32_e32 v37, 32, v37
	v_subrev_u32_e32 v38, 28, v37
	v_lshlrev_b64 v[38:39], v38, v[26:27]
	v_lshrrev_b32_e32 v29, 3, v28
	v_sub_u32_e32 v37, 29, v37
	v_and_b32_e32 v38, 7, v38
	v_cmp_gt_u32_e64 s[2:3], 8, v28
	v_cndmask_b32_e64 v28, v29, v37, s[2:3]
	v_cndmask_b32_e64 v27, v27, v38, s[2:3]
	v_lshlrev_b32_e32 v26, 24, v26
	v_bfrev_b32_e32 v29, 60
	v_lshlrev_b32_e32 v27, 20, v27
	v_and_b32_e32 v26, 0x80000000, v26
	v_lshl_add_u32 v28, v28, 23, v29
	v_or3_b32 v26, v26, v28, v27
	v_lshrrev_b32_e32 v27, 16, v26
.LBB716_302:
	s_or_b64 exec, exec, s[22:23]
.LBB716_303:
	s_or_b64 exec, exec, s[20:21]
.LBB716_304:
	s_or_b64 exec, exec, s[8:9]
	s_mov_b32 s2, 0x5040100
	v_perm_b32 v29, v34, v33, s2
	v_perm_b32 v28, v31, v32, s2
	;; [unrolled: 1-line block ×4, first 2 shown]
	v_mfma_f32_4x4x4bf16_1k a[0:3], v[18:19], v[28:29], a[0:3] cbsz:4 abid:5
	v_mov_b32_e32 v29, 0
	v_mfma_f32_4x4x4bf16_1k a[0:3], v[20:21], v[26:27], a[0:3] cbsz:4 abid:5
	s_waitcnt vmcnt(4)
	v_cmp_ne_u16_sdwa s[2:3], v22, v29 src0_sel:BYTE_0 src1_sel:DWORD
	v_mov_b32_e32 v30, 0
	s_and_saveexec_b64 s[8:9], s[2:3]
	s_cbranch_execz .LBB716_310
; %bb.305:
	s_movk_i32 s2, 0x80
	v_cmp_ne_u16_sdwa s[2:3], v22, s2 src0_sel:BYTE_0 src1_sel:DWORD
	v_mov_b32_e32 v30, 0xffff8000
	s_and_saveexec_b64 s[20:21], s[2:3]
	s_cbranch_execz .LBB716_309
; %bb.306:
	s_movk_i32 s2, 0x7f
	v_and_b32_e32 v26, 0x7f, v22
	v_cmp_ne_u32_e64 s[2:3], s2, v26
	v_mov_b32_e32 v30, 0x7f80
	s_and_saveexec_b64 s[22:23], s[2:3]
	s_cbranch_execz .LBB716_308
; %bb.307:
	v_and_b32_e32 v27, 7, v22
	v_ffbh_u32_e32 v27, v27
	v_min_u32_e32 v27, 32, v27
	v_subrev_u32_e32 v30, 28, v27
	v_cmp_gt_u32_e64 s[2:3], 8, v26
	v_lshrrev_b32_e32 v28, 3, v26
	v_sub_u32_e32 v27, 29, v27
	v_cndmask_b32_e64 v26, 0, v30, s[2:3]
	v_cndmask_b32_e64 v28, v28, v27, s[2:3]
	v_lshlrev_b64 v[26:27], v26, v[22:23]
	v_lshlrev_b32_e32 v26, 20, v26
	v_lshlrev_b32_e32 v27, 24, v22
	v_bfrev_b32_e32 v30, 60
	v_and_b32_e32 v26, 0x700000, v26
	v_and_b32_e32 v27, 0x80000000, v27
	v_lshl_add_u32 v28, v28, 23, v30
	v_or3_b32 v26, v27, v28, v26
	v_lshrrev_b32_e32 v30, 16, v26
.LBB716_308:
	s_or_b64 exec, exec, s[22:23]
.LBB716_309:
	s_or_b64 exec, exec, s[20:21]
.LBB716_310:
	s_or_b64 exec, exec, s[8:9]
	v_lshrrev_b16_e32 v26, 8, v22
	v_cmp_ne_u16_e64 s[2:3], 0, v26
	s_and_saveexec_b64 s[8:9], s[2:3]
	s_cbranch_execz .LBB716_316
; %bb.311:
	s_movk_i32 s2, 0x80
	v_cmp_ne_u16_e64 s[2:3], s2, v26
	v_mov_b32_e32 v29, 0xffff8000
	s_and_saveexec_b64 s[20:21], s[2:3]
	s_cbranch_execz .LBB716_315
; %bb.312:
	s_movk_i32 s2, 0x7f
	v_and_b32_e32 v27, 0x7f, v26
	v_cmp_ne_u32_e64 s[2:3], s2, v27
	v_mov_b32_e32 v29, 0x7f80
	s_and_saveexec_b64 s[22:23], s[2:3]
	s_cbranch_execz .LBB716_314
; %bb.313:
	v_and_b32_e32 v31, 7, v26
	v_ffbh_u32_e32 v28, v31
	v_min_u32_e32 v33, 32, v28
	v_subrev_u32_e32 v28, 28, v33
	v_lshlrev_b64 v[28:29], v28, v[26:27]
	v_lshrrev_b32_e32 v32, 3, v27
	v_sub_u32_e32 v26, 29, v33
	v_and_b32_e32 v28, 7, v28
	v_cmp_gt_u32_e64 s[2:3], 8, v27
	v_cndmask_b32_e64 v26, v32, v26, s[2:3]
	v_cndmask_b32_e64 v27, v31, v28, s[2:3]
	v_lshlrev_b32_e32 v28, 16, v22
	v_bfrev_b32_e32 v29, 60
	v_lshlrev_b32_e32 v27, 20, v27
	v_and_b32_e32 v28, 0x80000000, v28
	v_lshl_add_u32 v26, v26, 23, v29
	v_or3_b32 v26, v28, v26, v27
	v_lshrrev_b32_e32 v29, 16, v26
.LBB716_314:
	s_or_b64 exec, exec, s[22:23]
.LBB716_315:
	s_or_b64 exec, exec, s[20:21]
.LBB716_316:
	s_or_b64 exec, exec, s[8:9]
	s_movk_i32 s2, 0xff
	v_and_b32_sdwa v28, v22, s2 dst_sel:DWORD dst_unused:UNUSED_PAD src0_sel:WORD_1 src1_sel:DWORD
	v_lshrrev_b32_e32 v26, 16, v22
	v_cmp_ne_u16_e64 s[2:3], 0, v28
	v_mov_b32_e32 v27, 0
	v_mov_b32_e32 v31, 0
	s_and_saveexec_b64 s[8:9], s[2:3]
	s_cbranch_execz .LBB716_322
; %bb.317:
	s_movk_i32 s2, 0x80
	v_cmp_ne_u16_e64 s[2:3], s2, v28
	v_mov_b32_e32 v31, 0xffff8000
	s_and_saveexec_b64 s[20:21], s[2:3]
	s_cbranch_execz .LBB716_321
; %bb.318:
	v_bfe_u32 v28, v22, 16, 7
	s_movk_i32 s2, 0x7f
	v_cmp_ne_u32_e64 s[2:3], s2, v28
	v_mov_b32_e32 v31, 0x7f80
	s_and_saveexec_b64 s[22:23], s[2:3]
	s_cbranch_execz .LBB716_320
; %bb.319:
	v_and_b32_e32 v31, 7, v26
	v_ffbh_u32_e32 v32, v31
	v_min_u32_e32 v35, 32, v32
	v_subrev_u32_e32 v32, 28, v35
	v_lshlrev_b64 v[32:33], v32, v[26:27]
	v_and_b32_e32 v32, 7, v32
	v_cmp_gt_u32_e64 s[2:3], 8, v28
	v_lshrrev_b32_e32 v34, 3, v28
	v_sub_u32_e32 v26, 29, v35
	v_cndmask_b32_e64 v28, v31, v32, s[2:3]
	v_mov_b32_e32 v31, 24
	v_cndmask_b32_e64 v26, v34, v26, s[2:3]
	v_lshlrev_b32_sdwa v31, v31, v22 dst_sel:DWORD dst_unused:UNUSED_PAD src0_sel:DWORD src1_sel:WORD_1
	v_bfrev_b32_e32 v32, 60
	v_lshlrev_b32_e32 v28, 20, v28
	v_and_b32_e32 v31, 0x80000000, v31
	v_lshl_add_u32 v26, v26, 23, v32
	v_or3_b32 v26, v31, v26, v28
	v_lshrrev_b32_e32 v31, 16, v26
.LBB716_320:
	s_or_b64 exec, exec, s[22:23]
.LBB716_321:
	s_or_b64 exec, exec, s[20:21]
.LBB716_322:
	s_or_b64 exec, exec, s[8:9]
	s_mov_b32 s2, 0xffffff
	v_cmp_lt_u32_e64 s[2:3], s2, v22
	v_mov_b32_e32 v32, 0
	s_and_saveexec_b64 s[8:9], s[2:3]
	s_cbranch_execz .LBB716_328
; %bb.323:
	v_lshrrev_b32_e32 v26, 24, v22
	s_movk_i32 s2, 0x80
	v_cmp_ne_u32_e64 s[2:3], s2, v26
	v_mov_b32_e32 v32, 0xffff8000
	s_and_saveexec_b64 s[20:21], s[2:3]
	s_cbranch_execz .LBB716_327
; %bb.324:
	v_bfe_u32 v28, v22, 24, 7
	s_movk_i32 s2, 0x7f
	v_cmp_ne_u32_e64 s[2:3], s2, v28
	v_mov_b32_e32 v32, 0x7f80
	s_and_saveexec_b64 s[22:23], s[2:3]
	s_cbranch_execz .LBB716_326
; %bb.325:
	v_and_b32_e32 v34, 7, v26
	v_ffbh_u32_e32 v32, v34
	v_min_u32_e32 v36, 32, v32
	v_subrev_u32_e32 v32, 28, v36
	v_lshlrev_b64 v[32:33], v32, v[26:27]
	v_lshrrev_b32_e32 v35, 3, v28
	v_sub_u32_e32 v33, 29, v36
	v_and_b32_e32 v32, 7, v32
	v_cmp_gt_u32_e64 s[2:3], 8, v28
	v_cndmask_b32_e64 v28, v35, v33, s[2:3]
	v_cndmask_b32_e64 v32, v34, v32, s[2:3]
	v_lshlrev_b32_e32 v26, 24, v26
	v_bfrev_b32_e32 v33, 60
	v_lshlrev_b32_e32 v32, 20, v32
	v_and_b32_e32 v26, 0x80000000, v26
	v_lshl_add_u32 v28, v28, 23, v33
	v_or3_b32 v26, v26, v28, v32
	v_lshrrev_b32_e32 v32, 16, v26
.LBB716_326:
	s_or_b64 exec, exec, s[22:23]
.LBB716_327:
	s_or_b64 exec, exec, s[20:21]
.LBB716_328:
	s_or_b64 exec, exec, s[8:9]
	v_mov_b32_e32 v33, 0
	v_mov_b32_e32 v26, v23
	v_cmp_ne_u16_sdwa s[2:3], v23, v33 src0_sel:BYTE_0 src1_sel:DWORD
	v_mov_b32_e32 v34, 0
	s_and_saveexec_b64 s[8:9], s[2:3]
	s_cbranch_execz .LBB716_334
; %bb.329:
	s_movk_i32 s2, 0x80
	v_cmp_ne_u16_sdwa s[2:3], v23, s2 src0_sel:BYTE_0 src1_sel:DWORD
	v_mov_b32_e32 v34, 0xffff8000
	s_and_saveexec_b64 s[20:21], s[2:3]
	s_cbranch_execz .LBB716_333
; %bb.330:
	s_movk_i32 s2, 0x7f
	v_and_b32_e32 v28, 0x7f, v23
	v_cmp_ne_u32_e64 s[2:3], s2, v28
	v_mov_b32_e32 v34, 0x7f80
	s_and_saveexec_b64 s[22:23], s[2:3]
	s_cbranch_execz .LBB716_332
; %bb.331:
	v_and_b32_e32 v34, 7, v23
	v_ffbh_u32_e32 v34, v34
	v_min_u32_e32 v34, 32, v34
	v_lshrrev_b32_e32 v35, 3, v28
	v_subrev_u32_e32 v36, 28, v34
	v_sub_u32_e32 v34, 29, v34
	v_cmp_gt_u32_e64 s[2:3], 8, v28
	v_cndmask_b32_e64 v28, v35, v34, s[2:3]
	v_cndmask_b32_e64 v34, 0, v36, s[2:3]
	v_lshlrev_b64 v[34:35], v34, v[26:27]
	v_lshlrev_b32_e32 v27, 20, v34
	v_lshlrev_b32_e32 v34, 24, v26
	v_bfrev_b32_e32 v35, 60
	v_and_b32_e32 v27, 0x700000, v27
	v_and_b32_e32 v34, 0x80000000, v34
	v_lshl_add_u32 v28, v28, 23, v35
	v_or3_b32 v27, v34, v28, v27
	v_lshrrev_b32_e32 v34, 16, v27
.LBB716_332:
	s_or_b64 exec, exec, s[22:23]
.LBB716_333:
	s_or_b64 exec, exec, s[20:21]
.LBB716_334:
	s_or_b64 exec, exec, s[8:9]
	v_lshrrev_b16_e32 v28, 8, v26
	v_cmp_ne_u16_e64 s[2:3], 0, v28
	s_and_saveexec_b64 s[8:9], s[2:3]
	s_cbranch_execz .LBB716_340
; %bb.335:
	s_movk_i32 s2, 0x80
	v_cmp_ne_u16_e64 s[2:3], s2, v28
	v_mov_b32_e32 v33, 0xffff8000
	s_and_saveexec_b64 s[20:21], s[2:3]
	s_cbranch_execz .LBB716_339
; %bb.336:
	s_movk_i32 s2, 0x7f
	v_and_b32_e32 v27, 0x7f, v28
	v_cmp_ne_u32_e64 s[2:3], s2, v27
	v_mov_b32_e32 v33, 0x7f80
	s_and_saveexec_b64 s[22:23], s[2:3]
	s_cbranch_execz .LBB716_338
; %bb.337:
	v_and_b32_e32 v33, 7, v28
	v_ffbh_u32_e32 v36, v33
	v_min_u32_e32 v38, 32, v36
	v_subrev_u32_e32 v36, 28, v38
	v_lshlrev_b64 v[36:37], v36, v[28:29]
	v_lshrrev_b32_e32 v35, 3, v27
	v_sub_u32_e32 v28, 29, v38
	v_and_b32_e32 v36, 7, v36
	v_cmp_gt_u32_e64 s[2:3], 8, v27
	v_cndmask_b32_e64 v27, v35, v28, s[2:3]
	v_cndmask_b32_e64 v28, v33, v36, s[2:3]
	v_lshlrev_b32_e32 v26, 16, v26
	v_bfrev_b32_e32 v33, 60
	v_lshlrev_b32_e32 v28, 20, v28
	v_and_b32_e32 v26, 0x80000000, v26
	v_lshl_add_u32 v27, v27, 23, v33
	v_or3_b32 v26, v26, v27, v28
	v_lshrrev_b32_e32 v33, 16, v26
.LBB716_338:
	s_or_b64 exec, exec, s[22:23]
.LBB716_339:
	s_or_b64 exec, exec, s[20:21]
.LBB716_340:
	s_or_b64 exec, exec, s[8:9]
	s_movk_i32 s2, 0xff
	v_and_b32_sdwa v35, v23, s2 dst_sel:DWORD dst_unused:UNUSED_PAD src0_sel:WORD_1 src1_sel:DWORD
	v_lshrrev_b32_e32 v26, 16, v23
	v_cmp_ne_u16_e64 s[2:3], 0, v35
	v_mov_b32_e32 v27, 0
	v_mov_b32_e32 v28, 0
	s_and_saveexec_b64 s[8:9], s[2:3]
	s_cbranch_execz .LBB716_346
; %bb.341:
	s_movk_i32 s2, 0x80
	v_cmp_ne_u16_e64 s[2:3], s2, v35
	v_mov_b32_e32 v28, 0xffff8000
	s_and_saveexec_b64 s[20:21], s[2:3]
	s_cbranch_execz .LBB716_345
; %bb.342:
	v_bfe_u32 v35, v23, 16, 7
	s_movk_i32 s2, 0x7f
	v_cmp_ne_u32_e64 s[2:3], s2, v35
	v_mov_b32_e32 v28, 0x7f80
	s_and_saveexec_b64 s[22:23], s[2:3]
	s_cbranch_execz .LBB716_344
; %bb.343:
	v_and_b32_e32 v28, 7, v26
	v_ffbh_u32_e32 v36, v28
	v_min_u32_e32 v39, 32, v36
	v_subrev_u32_e32 v36, 28, v39
	v_lshlrev_b64 v[36:37], v36, v[26:27]
	v_lshrrev_b32_e32 v38, 3, v35
	v_sub_u32_e32 v26, 29, v39
	v_and_b32_e32 v36, 7, v36
	v_cmp_gt_u32_e64 s[2:3], 8, v35
	v_mov_b32_e32 v35, 24
	v_cndmask_b32_e64 v26, v38, v26, s[2:3]
	v_cndmask_b32_e64 v28, v28, v36, s[2:3]
	v_lshlrev_b32_sdwa v35, v35, v23 dst_sel:DWORD dst_unused:UNUSED_PAD src0_sel:DWORD src1_sel:WORD_1
	v_bfrev_b32_e32 v36, 60
	v_lshlrev_b32_e32 v28, 20, v28
	v_and_b32_e32 v35, 0x80000000, v35
	v_lshl_add_u32 v26, v26, 23, v36
	v_or3_b32 v26, v35, v26, v28
	v_lshrrev_b32_e32 v28, 16, v26
.LBB716_344:
	s_or_b64 exec, exec, s[22:23]
.LBB716_345:
	s_or_b64 exec, exec, s[20:21]
.LBB716_346:
	s_or_b64 exec, exec, s[8:9]
	s_mov_b32 s2, -1
	s_mov_b32 s3, 0xffffff
	v_cmp_lt_u64_e64 s[2:3], s[2:3], v[22:23]
	s_and_saveexec_b64 s[8:9], s[2:3]
	s_cbranch_execz .LBB716_352
; %bb.347:
	v_lshrrev_b32_e32 v22, 24, v23
	s_movk_i32 s2, 0x80
	v_cmp_ne_u32_e64 s[2:3], s2, v22
	v_mov_b32_e32 v27, 0xffff8000
	s_and_saveexec_b64 s[20:21], s[2:3]
	s_cbranch_execz .LBB716_351
; %bb.348:
	v_bfe_u32 v23, v23, 24, 7
	s_movk_i32 s2, 0x7f
	v_cmp_ne_u32_e64 s[2:3], s2, v23
	v_mov_b32_e32 v27, 0x7f80
	s_and_saveexec_b64 s[22:23], s[2:3]
	s_cbranch_execz .LBB716_350
; %bb.349:
	v_and_b32_e32 v35, 7, v22
	v_ffbh_u32_e32 v26, v35
	v_min_u32_e32 v37, 32, v26
	v_subrev_u32_e32 v26, 28, v37
	v_lshlrev_b64 v[26:27], v26, v[22:23]
	v_lshrrev_b32_e32 v36, 3, v23
	v_sub_u32_e32 v27, 29, v37
	v_and_b32_e32 v26, 7, v26
	v_cmp_gt_u32_e64 s[2:3], 8, v23
	v_cndmask_b32_e64 v23, v36, v27, s[2:3]
	v_cndmask_b32_e64 v26, v35, v26, s[2:3]
	v_lshlrev_b32_e32 v22, 24, v22
	v_bfrev_b32_e32 v27, 60
	v_lshlrev_b32_e32 v26, 20, v26
	v_and_b32_e32 v22, 0x80000000, v22
	v_lshl_add_u32 v23, v23, 23, v27
	v_or3_b32 v22, v22, v23, v26
	v_lshrrev_b32_e32 v27, 16, v22
.LBB716_350:
	s_or_b64 exec, exec, s[22:23]
.LBB716_351:
	s_or_b64 exec, exec, s[20:21]
.LBB716_352:
	s_or_b64 exec, exec, s[8:9]
	s_mov_b32 s2, 0x5040100
	v_perm_b32 v23, v32, v31, s2
	v_perm_b32 v22, v29, v30, s2
	v_perm_b32 v27, v27, v28, s2
	v_perm_b32 v26, v33, v34, s2
	v_mfma_f32_4x4x4bf16_1k a[0:3], v[18:19], v[22:23], a[0:3] cbsz:4 abid:6
	v_mov_b32_e32 v28, 0
	v_mfma_f32_4x4x4bf16_1k a[0:3], v[20:21], v[26:27], a[0:3] cbsz:4 abid:6
	v_mov_b32_e32 v27, 0
	v_cmp_ne_u16_sdwa s[2:3], v24, v27 src0_sel:BYTE_0 src1_sel:DWORD
	s_and_saveexec_b64 s[8:9], s[2:3]
	s_cbranch_execz .LBB716_358
; %bb.353:
	s_movk_i32 s2, 0x80
	v_cmp_ne_u16_sdwa s[2:3], v24, s2 src0_sel:BYTE_0 src1_sel:DWORD
	v_mov_b32_e32 v28, 0xffff8000
	s_and_saveexec_b64 s[20:21], s[2:3]
	s_cbranch_execz .LBB716_357
; %bb.354:
	s_movk_i32 s2, 0x7f
	v_and_b32_e32 v22, 0x7f, v24
	v_cmp_ne_u32_e64 s[2:3], s2, v22
	v_mov_b32_e32 v28, 0x7f80
	s_and_saveexec_b64 s[22:23], s[2:3]
	s_cbranch_execz .LBB716_356
; %bb.355:
	v_and_b32_e32 v23, 7, v24
	v_ffbh_u32_e32 v23, v23
	v_min_u32_e32 v23, 32, v23
	v_subrev_u32_e32 v28, 28, v23
	v_cmp_gt_u32_e64 s[2:3], 8, v22
	v_lshrrev_b32_e32 v26, 3, v22
	v_sub_u32_e32 v23, 29, v23
	v_cndmask_b32_e64 v22, 0, v28, s[2:3]
	v_cndmask_b32_e64 v26, v26, v23, s[2:3]
	v_lshlrev_b64 v[22:23], v22, v[24:25]
	v_lshlrev_b32_e32 v22, 20, v22
	v_lshlrev_b32_e32 v23, 24, v24
	v_bfrev_b32_e32 v28, 60
	v_and_b32_e32 v22, 0x700000, v22
	v_and_b32_e32 v23, 0x80000000, v23
	v_lshl_add_u32 v26, v26, 23, v28
	v_or3_b32 v22, v23, v26, v22
	v_lshrrev_b32_e32 v28, 16, v22
.LBB716_356:
	s_or_b64 exec, exec, s[22:23]
.LBB716_357:
	s_or_b64 exec, exec, s[20:21]
.LBB716_358:
	s_or_b64 exec, exec, s[8:9]
	v_lshrrev_b16_e32 v22, 8, v24
	v_cmp_ne_u16_e64 s[2:3], 0, v22
	s_and_saveexec_b64 s[8:9], s[2:3]
	s_cbranch_execz .LBB716_364
; %bb.359:
	s_movk_i32 s2, 0x80
	v_cmp_ne_u16_e64 s[2:3], s2, v22
	v_mov_b32_e32 v27, 0xffff8000
	s_and_saveexec_b64 s[20:21], s[2:3]
	s_cbranch_execz .LBB716_363
; %bb.360:
	s_movk_i32 s2, 0x7f
	v_and_b32_e32 v23, 0x7f, v22
	v_cmp_ne_u32_e64 s[2:3], s2, v23
	v_mov_b32_e32 v27, 0x7f80
	s_and_saveexec_b64 s[22:23], s[2:3]
	s_cbranch_execz .LBB716_362
; %bb.361:
	v_and_b32_e32 v29, 7, v22
	v_ffbh_u32_e32 v26, v29
	v_min_u32_e32 v31, 32, v26
	v_subrev_u32_e32 v26, 28, v31
	v_lshlrev_b64 v[26:27], v26, v[22:23]
	v_lshrrev_b32_e32 v30, 3, v23
	v_sub_u32_e32 v22, 29, v31
	v_and_b32_e32 v26, 7, v26
	v_cmp_gt_u32_e64 s[2:3], 8, v23
	v_cndmask_b32_e64 v22, v30, v22, s[2:3]
	v_cndmask_b32_e64 v23, v29, v26, s[2:3]
	v_lshlrev_b32_e32 v26, 16, v24
	v_bfrev_b32_e32 v27, 60
	v_lshlrev_b32_e32 v23, 20, v23
	v_and_b32_e32 v26, 0x80000000, v26
	v_lshl_add_u32 v22, v22, 23, v27
	v_or3_b32 v22, v26, v22, v23
	v_lshrrev_b32_e32 v27, 16, v22
.LBB716_362:
	s_or_b64 exec, exec, s[22:23]
.LBB716_363:
	s_or_b64 exec, exec, s[20:21]
.LBB716_364:
	s_or_b64 exec, exec, s[8:9]
	s_movk_i32 s2, 0xff
	v_and_b32_sdwa v26, v24, s2 dst_sel:DWORD dst_unused:UNUSED_PAD src0_sel:WORD_1 src1_sel:DWORD
	v_lshrrev_b32_e32 v22, 16, v24
	v_cmp_ne_u16_e64 s[2:3], 0, v26
	v_mov_b32_e32 v23, 0
	v_mov_b32_e32 v29, 0
	s_and_saveexec_b64 s[8:9], s[2:3]
	s_cbranch_execz .LBB716_370
; %bb.365:
	s_movk_i32 s2, 0x80
	v_cmp_ne_u16_e64 s[2:3], s2, v26
	v_mov_b32_e32 v29, 0xffff8000
	s_and_saveexec_b64 s[20:21], s[2:3]
	s_cbranch_execz .LBB716_369
; %bb.366:
	v_bfe_u32 v26, v24, 16, 7
	s_movk_i32 s2, 0x7f
	v_cmp_ne_u32_e64 s[2:3], s2, v26
	v_mov_b32_e32 v29, 0x7f80
	s_and_saveexec_b64 s[22:23], s[2:3]
	s_cbranch_execz .LBB716_368
; %bb.367:
	v_and_b32_e32 v29, 7, v22
	v_ffbh_u32_e32 v30, v29
	v_min_u32_e32 v33, 32, v30
	v_subrev_u32_e32 v30, 28, v33
	v_lshlrev_b64 v[30:31], v30, v[22:23]
	v_and_b32_e32 v30, 7, v30
	v_cmp_gt_u32_e64 s[2:3], 8, v26
	v_lshrrev_b32_e32 v32, 3, v26
	v_sub_u32_e32 v22, 29, v33
	v_cndmask_b32_e64 v26, v29, v30, s[2:3]
	v_mov_b32_e32 v29, 24
	v_cndmask_b32_e64 v22, v32, v22, s[2:3]
	v_lshlrev_b32_sdwa v29, v29, v24 dst_sel:DWORD dst_unused:UNUSED_PAD src0_sel:DWORD src1_sel:WORD_1
	v_bfrev_b32_e32 v30, 60
	v_lshlrev_b32_e32 v26, 20, v26
	v_and_b32_e32 v29, 0x80000000, v29
	v_lshl_add_u32 v22, v22, 23, v30
	v_or3_b32 v22, v29, v22, v26
	v_lshrrev_b32_e32 v29, 16, v22
.LBB716_368:
	s_or_b64 exec, exec, s[22:23]
.LBB716_369:
	s_or_b64 exec, exec, s[20:21]
.LBB716_370:
	s_or_b64 exec, exec, s[8:9]
	s_mov_b32 s2, 0xffffff
	v_cmp_lt_u32_e64 s[2:3], s2, v24
	v_mov_b32_e32 v30, 0
	s_and_saveexec_b64 s[8:9], s[2:3]
	s_cbranch_execz .LBB716_376
; %bb.371:
	v_lshrrev_b32_e32 v22, 24, v24
	s_movk_i32 s2, 0x80
	v_cmp_ne_u32_e64 s[2:3], s2, v22
	v_mov_b32_e32 v30, 0xffff8000
	s_and_saveexec_b64 s[20:21], s[2:3]
	s_cbranch_execz .LBB716_375
; %bb.372:
	v_bfe_u32 v26, v24, 24, 7
	s_movk_i32 s2, 0x7f
	v_cmp_ne_u32_e64 s[2:3], s2, v26
	v_mov_b32_e32 v30, 0x7f80
	s_and_saveexec_b64 s[22:23], s[2:3]
	s_cbranch_execz .LBB716_374
; %bb.373:
	v_and_b32_e32 v32, 7, v22
	v_ffbh_u32_e32 v30, v32
	v_min_u32_e32 v34, 32, v30
	v_subrev_u32_e32 v30, 28, v34
	v_lshlrev_b64 v[30:31], v30, v[22:23]
	v_lshrrev_b32_e32 v33, 3, v26
	v_sub_u32_e32 v31, 29, v34
	v_and_b32_e32 v30, 7, v30
	v_cmp_gt_u32_e64 s[2:3], 8, v26
	v_cndmask_b32_e64 v26, v33, v31, s[2:3]
	v_cndmask_b32_e64 v30, v32, v30, s[2:3]
	v_lshlrev_b32_e32 v22, 24, v22
	v_bfrev_b32_e32 v31, 60
	v_lshlrev_b32_e32 v30, 20, v30
	v_and_b32_e32 v22, 0x80000000, v22
	v_lshl_add_u32 v26, v26, 23, v31
	v_or3_b32 v22, v22, v26, v30
	v_lshrrev_b32_e32 v30, 16, v22
.LBB716_374:
	s_or_b64 exec, exec, s[22:23]
.LBB716_375:
	s_or_b64 exec, exec, s[20:21]
.LBB716_376:
	s_or_b64 exec, exec, s[8:9]
	v_mov_b32_e32 v31, 0
	v_mov_b32_e32 v22, v25
	v_cmp_ne_u16_sdwa s[2:3], v25, v31 src0_sel:BYTE_0 src1_sel:DWORD
	v_mov_b32_e32 v32, 0
	s_and_saveexec_b64 s[8:9], s[2:3]
	s_cbranch_execz .LBB716_382
; %bb.377:
	s_movk_i32 s2, 0x80
	v_cmp_ne_u16_sdwa s[2:3], v25, s2 src0_sel:BYTE_0 src1_sel:DWORD
	v_mov_b32_e32 v32, 0xffff8000
	s_and_saveexec_b64 s[20:21], s[2:3]
	s_cbranch_execz .LBB716_381
; %bb.378:
	s_movk_i32 s2, 0x7f
	v_and_b32_e32 v26, 0x7f, v25
	v_cmp_ne_u32_e64 s[2:3], s2, v26
	v_mov_b32_e32 v32, 0x7f80
	s_and_saveexec_b64 s[22:23], s[2:3]
	s_cbranch_execz .LBB716_380
; %bb.379:
	v_and_b32_e32 v32, 7, v25
	v_ffbh_u32_e32 v32, v32
	v_min_u32_e32 v32, 32, v32
	v_lshrrev_b32_e32 v33, 3, v26
	v_subrev_u32_e32 v34, 28, v32
	v_sub_u32_e32 v32, 29, v32
	v_cmp_gt_u32_e64 s[2:3], 8, v26
	v_cndmask_b32_e64 v26, v33, v32, s[2:3]
	v_cndmask_b32_e64 v32, 0, v34, s[2:3]
	v_lshlrev_b64 v[32:33], v32, v[22:23]
	v_lshlrev_b32_e32 v23, 20, v32
	v_lshlrev_b32_e32 v32, 24, v22
	v_bfrev_b32_e32 v33, 60
	v_and_b32_e32 v23, 0x700000, v23
	v_and_b32_e32 v32, 0x80000000, v32
	v_lshl_add_u32 v26, v26, 23, v33
	v_or3_b32 v23, v32, v26, v23
	v_lshrrev_b32_e32 v32, 16, v23
.LBB716_380:
	s_or_b64 exec, exec, s[22:23]
.LBB716_381:
	s_or_b64 exec, exec, s[20:21]
.LBB716_382:
	s_or_b64 exec, exec, s[8:9]
	v_lshrrev_b16_e32 v26, 8, v22
	v_cmp_ne_u16_e64 s[2:3], 0, v26
	s_and_saveexec_b64 s[8:9], s[2:3]
	s_cbranch_execz .LBB716_388
; %bb.383:
	s_movk_i32 s2, 0x80
	v_cmp_ne_u16_e64 s[2:3], s2, v26
	v_mov_b32_e32 v31, 0xffff8000
	s_and_saveexec_b64 s[20:21], s[2:3]
	s_cbranch_execz .LBB716_387
; %bb.384:
	s_movk_i32 s2, 0x7f
	v_and_b32_e32 v23, 0x7f, v26
	v_cmp_ne_u32_e64 s[2:3], s2, v23
	v_mov_b32_e32 v31, 0x7f80
	s_and_saveexec_b64 s[22:23], s[2:3]
	s_cbranch_execz .LBB716_386
; %bb.385:
	v_and_b32_e32 v31, 7, v26
	v_ffbh_u32_e32 v34, v31
	v_min_u32_e32 v36, 32, v34
	v_subrev_u32_e32 v34, 28, v36
	v_lshlrev_b64 v[34:35], v34, v[26:27]
	v_lshrrev_b32_e32 v33, 3, v23
	v_sub_u32_e32 v26, 29, v36
	v_and_b32_e32 v34, 7, v34
	v_cmp_gt_u32_e64 s[2:3], 8, v23
	v_cndmask_b32_e64 v23, v33, v26, s[2:3]
	v_cndmask_b32_e64 v26, v31, v34, s[2:3]
	v_lshlrev_b32_e32 v22, 16, v22
	v_bfrev_b32_e32 v31, 60
	v_lshlrev_b32_e32 v26, 20, v26
	v_and_b32_e32 v22, 0x80000000, v22
	v_lshl_add_u32 v23, v23, 23, v31
	v_or3_b32 v22, v22, v23, v26
	v_lshrrev_b32_e32 v31, 16, v22
.LBB716_386:
	s_or_b64 exec, exec, s[22:23]
.LBB716_387:
	s_or_b64 exec, exec, s[20:21]
.LBB716_388:
	s_or_b64 exec, exec, s[8:9]
	s_movk_i32 s2, 0xff
	v_and_b32_sdwa v33, v25, s2 dst_sel:DWORD dst_unused:UNUSED_PAD src0_sel:WORD_1 src1_sel:DWORD
	v_lshrrev_b32_e32 v22, 16, v25
	v_cmp_ne_u16_e64 s[2:3], 0, v33
	v_mov_b32_e32 v23, 0
	v_mov_b32_e32 v26, 0
	s_and_saveexec_b64 s[8:9], s[2:3]
	s_cbranch_execz .LBB716_394
; %bb.389:
	s_movk_i32 s2, 0x80
	v_cmp_ne_u16_e64 s[2:3], s2, v33
	v_mov_b32_e32 v26, 0xffff8000
	s_and_saveexec_b64 s[20:21], s[2:3]
	s_cbranch_execz .LBB716_393
; %bb.390:
	v_bfe_u32 v33, v25, 16, 7
	s_movk_i32 s2, 0x7f
	v_cmp_ne_u32_e64 s[2:3], s2, v33
	v_mov_b32_e32 v26, 0x7f80
	s_and_saveexec_b64 s[22:23], s[2:3]
	s_cbranch_execz .LBB716_392
; %bb.391:
	v_and_b32_e32 v26, 7, v22
	v_ffbh_u32_e32 v34, v26
	v_min_u32_e32 v37, 32, v34
	v_subrev_u32_e32 v34, 28, v37
	v_lshlrev_b64 v[34:35], v34, v[22:23]
	v_lshrrev_b32_e32 v36, 3, v33
	v_sub_u32_e32 v22, 29, v37
	v_and_b32_e32 v34, 7, v34
	v_cmp_gt_u32_e64 s[2:3], 8, v33
	v_mov_b32_e32 v33, 24
	v_cndmask_b32_e64 v22, v36, v22, s[2:3]
	v_cndmask_b32_e64 v26, v26, v34, s[2:3]
	v_lshlrev_b32_sdwa v33, v33, v25 dst_sel:DWORD dst_unused:UNUSED_PAD src0_sel:DWORD src1_sel:WORD_1
	v_bfrev_b32_e32 v34, 60
	v_lshlrev_b32_e32 v26, 20, v26
	v_and_b32_e32 v33, 0x80000000, v33
	v_lshl_add_u32 v22, v22, 23, v34
	v_or3_b32 v22, v33, v22, v26
	v_lshrrev_b32_e32 v26, 16, v22
.LBB716_392:
	s_or_b64 exec, exec, s[22:23]
.LBB716_393:
	s_or_b64 exec, exec, s[20:21]
.LBB716_394:
	s_or_b64 exec, exec, s[8:9]
	s_mov_b32 s2, -1
	s_mov_b32 s3, 0xffffff
	v_cmp_lt_u64_e64 s[2:3], s[2:3], v[24:25]
	s_and_saveexec_b64 s[8:9], s[2:3]
	s_cbranch_execz .LBB716_400
; %bb.395:
	v_lshrrev_b32_e32 v22, 24, v25
	s_movk_i32 s2, 0x80
	v_cmp_ne_u32_e64 s[2:3], s2, v22
	v_mov_b32_e32 v23, 0xffff8000
	s_and_saveexec_b64 s[20:21], s[2:3]
	s_cbranch_execz .LBB716_399
; %bb.396:
	v_bfe_u32 v24, v25, 24, 7
	s_movk_i32 s2, 0x7f
	v_cmp_ne_u32_e64 s[2:3], s2, v24
	v_mov_b32_e32 v23, 0x7f80
	s_and_saveexec_b64 s[22:23], s[2:3]
	s_cbranch_execz .LBB716_398
; %bb.397:
	v_and_b32_e32 v23, 7, v22
	v_ffbh_u32_e32 v33, v23
	v_min_u32_e32 v33, 32, v33
	v_subrev_u32_e32 v34, 28, v33
	v_lshlrev_b64 v[34:35], v34, v[22:23]
	v_lshrrev_b32_e32 v25, 3, v24
	v_sub_u32_e32 v33, 29, v33
	v_and_b32_e32 v34, 7, v34
	v_cmp_gt_u32_e64 s[2:3], 8, v24
	v_cndmask_b32_e64 v24, v25, v33, s[2:3]
	v_cndmask_b32_e64 v23, v23, v34, s[2:3]
	v_lshlrev_b32_e32 v22, 24, v22
	v_bfrev_b32_e32 v25, 60
	v_lshlrev_b32_e32 v23, 20, v23
	v_and_b32_e32 v22, 0x80000000, v22
	v_lshl_add_u32 v24, v24, 23, v25
	v_or3_b32 v22, v22, v24, v23
	v_lshrrev_b32_e32 v23, 16, v22
.LBB716_398:
	s_or_b64 exec, exec, s[22:23]
.LBB716_399:
	s_or_b64 exec, exec, s[20:21]
.LBB716_400:
	s_or_b64 exec, exec, s[8:9]
	s_mov_b32 s3, 0x5040100
	s_load_dword s2, s[4:5], 0x1c
	v_perm_b32 v25, v30, v29, s3
	v_perm_b32 v24, v27, v28, s3
	;; [unrolled: 1-line block ×4, first 2 shown]
	v_mfma_f32_4x4x4bf16_1k a[0:3], v[18:19], v[24:25], a[0:3] cbsz:4 abid:7
	s_load_dword s3, s[12:13], 0x0
	v_mfma_f32_4x4x4bf16_1k a[0:3], v[20:21], v[22:23], a[0:3] cbsz:4 abid:7
	s_waitcnt lgkmcnt(0)
	v_mov_b32_e32 v18, s2
	v_mov_b32_e32 v25, 0xff7fffff
	v_mul_f32_e32 v20, s3, v18
	v_cmp_eq_u32_e64 s[2:3], 0, v43
	v_accvgpr_read_b32 v23, a1
	v_accvgpr_read_b32 v22, a0
	v_pk_mul_f32 v[22:23], v[22:23], v[20:21] op_sel_hi:[1,0]
	v_accvgpr_read_b32 v19, a3
	v_accvgpr_read_b32 v18, a2
	v_pk_mul_f32 v[18:19], v[18:19], v[20:21] op_sel_hi:[1,0]
	v_cndmask_b32_e64 v20, 0, 1.0, s[2:3]
	v_cmp_eq_u32_e64 s[2:3], 1, v43
	s_nop 0
	v_mfma_f32_4x4x1f32 a[0:3], v22, v20, 0
	v_cndmask_b32_e64 v20, 0, 1.0, s[2:3]
	v_cmp_eq_u32_e64 s[2:3], 2, v43
	s_nop 0
	v_mfma_f32_4x4x1f32 a[0:3], v23, v20, a[0:3]
	v_cndmask_b32_e64 v20, 0, 1.0, s[2:3]
	s_nop 1
	v_mfma_f32_4x4x1f32 a[0:3], v18, v20, a[0:3]
	v_cndmask_b32_e64 v18, 0, 1.0, vcc
	s_nop 1
	v_mfma_f32_4x4x1f32 a[0:3], v19, v18, a[0:3]
	v_and_b32_e32 v18, -4, v44
	v_subrev_u32_e32 v19, s7, v18
	v_add_u32_e32 v20, 1, v19
	v_cvt_f32_i32_e32 v20, v20
	v_add_u32_e32 v21, 2, v19
	v_cvt_f32_i32_e32 v21, v21
	v_accvgpr_read_b32 v22, a0
	v_fma_f32 v20, v45, v20, v22
	v_accvgpr_read_b32 v22, a1
	v_fma_f32 v21, v45, v21, v22
	v_add_u32_e32 v22, 3, v19
	v_cvt_f32_i32_e32 v22, v22
	v_add_u32_e32 v19, 4, v19
	v_max_f32_e32 v24, 0xff7fffff, v20
	v_cmp_gt_i32_e32 vcc, s7, v18
	v_cvt_f32_i32_e32 v19, v19
	v_cndmask_b32_e32 v24, v25, v24, vcc
	v_or_b32_e32 v25, 1, v18
	v_accvgpr_read_b32 v23, a2
	v_max_f32_e32 v26, v24, v21
	v_cmp_gt_i32_e64 s[2:3], s7, v25
	v_fma_f32 v22, v45, v22, v23
	v_cndmask_b32_e64 v24, v24, v26, s[2:3]
	v_or_b32_e32 v18, 2, v18
	v_accvgpr_read_b32 v23, a3
	v_max_f32_e32 v25, v24, v22
	v_cmp_gt_i32_e64 s[4:5], s7, v18
	v_fmac_f32_e32 v23, v45, v19
	v_cndmask_b32_e64 v18, v24, v25, s[4:5]
	v_or_b32_e32 v24, 3, v44
	v_max_f32_e32 v25, v18, v23
	v_cmp_gt_i32_e64 s[8:9], s7, v24
	v_lshlrev_b32_e32 v19, 2, v0
	v_cndmask_b32_e64 v18, v18, v25, s[8:9]
	v_and_or_b32 v19, v19, 48, v43
	;;#ASMSTART
	v_nop
 v_nop
 v_max_f32_dpp v18, v18, v18 row_ror:4
	;;#ASMEND
	v_lshlrev_b32_e32 v24, 2, v19
	;;#ASMSTART
	v_nop
 v_nop
 v_max_f32_dpp v18, v18, v18 row_ror:8
	;;#ASMEND
	ds_bpermute_b32 v18, v24, v18
	s_waitcnt lgkmcnt(0)
	;;#ASMSTART
	v_nop
 v_nop
 v_max_f32_dpp v18, v18, v18 row_ror:4
	;;#ASMEND
	;;#ASMSTART
	v_nop
 v_nop
 v_max_f32_dpp v25, v18, v18 row_ror:8
	;;#ASMEND
	v_sub_f32_e32 v18, v20, v25
	v_mul_f32_e32 v18, 0x3fb8aa3b, v18
	v_sub_f32_e32 v19, v21, v25
	v_exp_f32_e32 v18, v18
	v_mul_f32_e32 v19, 0x3fb8aa3b, v19
	v_sub_f32_e32 v21, v22, v25
	v_exp_f32_e32 v19, v19
	;; [unrolled: 3-line block ×3, first 2 shown]
	v_mul_f32_e32 v22, 0x3fb8aa3b, v22
	v_exp_f32_e32 v22, v22
	v_cndmask_b32_e32 v18, 0, v18, vcc
	v_add_f32_e32 v20, 0, v18
	v_cndmask_b32_e64 v19, 0, v19, s[2:3]
	v_add_f32_e32 v23, v20, v19
	v_cndmask_b32_e64 v20, 0, v21, s[4:5]
	;; [unrolled: 2-line block ×3, first 2 shown]
	v_add_f32_e32 v22, v23, v21
	;;#ASMSTART
	v_nop
 v_nop
 v_add_f32_dpp v22, v22, v22 row_ror:4
	;;#ASMEND
	;;#ASMSTART
	v_nop
 v_nop
 v_add_f32_dpp v22, v22, v22 row_ror:8
	;;#ASMEND
	ds_bpermute_b32 v22, v24, v22
	s_waitcnt lgkmcnt(0)
	;;#ASMSTART
	v_nop
 v_nop
 v_add_f32_dpp v22, v22, v22 row_ror:4
	;;#ASMEND
	v_cmp_gt_u32_e32 vcc, 4, v42
	;;#ASMSTART
	v_nop
 v_nop
 v_add_f32_dpp v22, v22, v22 row_ror:8
	;;#ASMEND
	s_and_saveexec_b64 s[2:3], vcc
	s_cbranch_execz .LBB716_402
; %bb.401:
	v_mul_u32_u24_e32 v23, 20, v1
	v_lshl_add_u32 v23, v43, 2, v23
	v_add_u32_e32 v23, 0x800, v23
	ds_write2_b32 v23, v25, v22 offset0:128 offset1:148
.LBB716_402:
	s_or_b64 exec, exec, s[2:3]
.LBB716_403:
	s_or_b64 exec, exec, s[28:29]
	s_waitcnt lgkmcnt(0)
	s_barrier
	s_load_dword s2, s[26:27], 0x8
	v_lshlrev_b32_e32 v22, 2, v43
	v_add_u32_e32 v24, 0x800, v22
	ds_read2_b32 v[22:23], v24 offset0:128 offset1:133
	ds_read2_b32 v[28:29], v24 offset0:138 offset1:143
	s_mul_i32 s3, s6, s40
	s_waitcnt lgkmcnt(0)
	s_mul_i32 s2, s3, s2
	s_mov_b32 s3, 0xff7fffff
	v_max3_f32 v26, v22, s3, v23
	v_max3_f32 v26, v26, v28, v29
	v_sub_f32_e32 v22, v22, v26
	v_mul_f32_e32 v22, 0x3fb8aa3b, v22
	v_exp_f32_e32 v27, v22
	v_sub_f32_e32 v22, v23, v26
	ds_read2_b32 v[30:31], v24 offset0:148 offset1:153
	v_mul_f32_e32 v22, 0x3fb8aa3b, v22
	v_exp_f32_e32 v32, v22
	ds_read2_b32 v[22:23], v24 offset0:158 offset1:163
	v_sub_f32_e32 v24, v28, v26
	v_mul_f32_e32 v24, 0x3fb8aa3b, v24
	v_sub_f32_e32 v28, v29, v26
	v_exp_f32_e32 v24, v24
	v_mul_f32_e32 v28, 0x3fb8aa3b, v28
	v_exp_f32_e32 v28, v28
	s_waitcnt lgkmcnt(1)
	v_fma_f32 v27, v27, v30, 0
	v_fmac_f32_e32 v27, v32, v31
	s_waitcnt lgkmcnt(0)
	v_fmac_f32_e32 v27, v24, v22
	s_mul_i32 s2, s2, 3
	v_fmac_f32_e32 v27, v28, v23
	v_cmp_ne_u32_e32 vcc, 3, v43
	s_and_saveexec_b64 s[4:5], vcc
	s_cbranch_execz .LBB716_405
; %bb.404:
	s_mov_b32 s3, 0
	s_lshl_b64 s[6:7], s[2:3], 2
	s_add_u32 s12, s16, s6
	s_mov_b32 s11, s3
	s_addc_u32 s13, s17, s7
	s_lshl_b64 s[8:9], s[10:11], 2
	s_add_u32 s3, s12, s8
	s_addc_u32 s11, s13, s9
	v_add_u32_e32 v22, s33, v43
	s_add_u32 s6, s18, s6
	v_mul_lo_u32 v22, s40, v22
	v_mov_b32_e32 v23, 0
	s_addc_u32 s7, s19, s7
	v_lshlrev_b64 v[22:23], 2, v[22:23]
	s_add_u32 s6, s6, s8
	v_mov_b32_e32 v24, s11
	v_add_co_u32_e32 v28, vcc, s3, v22
	s_addc_u32 s7, s7, s9
	v_addc_co_u32_e32 v29, vcc, v24, v23, vcc
	v_mov_b32_e32 v24, s7
	v_add_co_u32_e32 v22, vcc, s6, v22
	v_addc_co_u32_e32 v23, vcc, v24, v23, vcc
	global_store_dword v[22:23], v26, off
	global_store_dword v[28:29], v27, off
.LBB716_405:
	s_or_b64 exec, exec, s[4:5]
	v_mov_b32_e32 v23, 0
	v_mov_b32_e32 v22, 0
	s_and_saveexec_b64 s[4:5], s[0:1]
	s_cbranch_execz .LBB716_791
; %bb.406:
	v_mov_b32_e32 v28, 0
	s_waitcnt vmcnt(2)
	v_cmp_ne_u16_sdwa s[6:7], v14, v28 src0_sel:BYTE_0 src1_sel:DWORD
	v_mov_b32_e32 v29, 0
	s_and_saveexec_b64 s[0:1], s[6:7]
	s_cbranch_execz .LBB716_412
; %bb.407:
	s_movk_i32 s3, 0x80
	v_cmp_ne_u16_sdwa s[8:9], v14, s3 src0_sel:BYTE_0 src1_sel:DWORD
	v_mov_b32_e32 v29, 0xffff8000
	s_and_saveexec_b64 s[6:7], s[8:9]
	s_cbranch_execz .LBB716_411
; %bb.408:
	s_movk_i32 s3, 0x7f
	v_and_b32_e32 v22, 0x7f, v14
	v_cmp_ne_u32_e32 vcc, s3, v22
	v_mov_b32_e32 v29, 0x7f80
	s_and_saveexec_b64 s[8:9], vcc
	s_cbranch_execz .LBB716_410
; %bb.409:
	v_and_b32_e32 v23, 7, v14
	v_ffbh_u32_e32 v23, v23
	v_min_u32_e32 v23, 32, v23
	v_subrev_u32_e32 v29, 28, v23
	v_cmp_gt_u32_e32 vcc, 8, v22
	v_lshrrev_b32_e32 v24, 3, v22
	v_sub_u32_e32 v23, 29, v23
	v_cndmask_b32_e32 v22, 0, v29, vcc
	v_cndmask_b32_e32 v24, v24, v23, vcc
	v_lshlrev_b64 v[22:23], v22, v[14:15]
	v_lshlrev_b32_e32 v22, 20, v22
	v_lshlrev_b32_e32 v23, 24, v14
	v_bfrev_b32_e32 v29, 60
	v_and_b32_e32 v22, 0x700000, v22
	v_and_b32_e32 v23, 0x80000000, v23
	v_lshl_add_u32 v24, v24, 23, v29
	v_or3_b32 v22, v23, v24, v22
	v_lshrrev_b32_e32 v29, 16, v22
.LBB716_410:
	s_or_b64 exec, exec, s[8:9]
.LBB716_411:
	s_or_b64 exec, exec, s[6:7]
.LBB716_412:
	s_or_b64 exec, exec, s[0:1]
	v_lshrrev_b16_e32 v22, 8, v14
	v_cmp_ne_u16_e32 vcc, 0, v22
	s_and_saveexec_b64 s[0:1], vcc
	s_cbranch_execz .LBB716_418
; %bb.413:
	s_movk_i32 s3, 0x80
	v_cmp_ne_u16_e32 vcc, s3, v22
	v_mov_b32_e32 v28, 0xffff8000
	s_and_saveexec_b64 s[6:7], vcc
	s_cbranch_execz .LBB716_417
; %bb.414:
	s_movk_i32 s3, 0x7f
	v_and_b32_e32 v23, 0x7f, v22
	v_cmp_ne_u32_e32 vcc, s3, v23
	v_mov_b32_e32 v28, 0x7f80
	s_and_saveexec_b64 s[8:9], vcc
	s_cbranch_execz .LBB716_416
; %bb.415:
	v_and_b32_e32 v24, 7, v22
	v_ffbh_u32_e32 v30, v24
	v_min_u32_e32 v32, 32, v30
	v_subrev_u32_e32 v30, 28, v32
	v_lshlrev_b64 v[30:31], v30, v[22:23]
	v_lshrrev_b32_e32 v28, 3, v23
	v_sub_u32_e32 v22, 29, v32
	v_and_b32_e32 v30, 7, v30
	v_cmp_gt_u32_e32 vcc, 8, v23
	v_cndmask_b32_e32 v22, v28, v22, vcc
	v_cndmask_b32_e32 v23, v24, v30, vcc
	v_lshlrev_b32_e32 v24, 16, v14
	v_bfrev_b32_e32 v28, 60
	v_lshlrev_b32_e32 v23, 20, v23
	v_and_b32_e32 v24, 0x80000000, v24
	v_lshl_add_u32 v22, v22, 23, v28
	v_or3_b32 v22, v24, v22, v23
	v_lshrrev_b32_e32 v28, 16, v22
.LBB716_416:
	s_or_b64 exec, exec, s[8:9]
.LBB716_417:
	s_or_b64 exec, exec, s[6:7]
.LBB716_418:
	s_or_b64 exec, exec, s[0:1]
	s_movk_i32 s0, 0xff
	v_and_b32_sdwa v24, v14, s0 dst_sel:DWORD dst_unused:UNUSED_PAD src0_sel:WORD_1 src1_sel:DWORD
	v_lshrrev_b32_e32 v22, 16, v14
	v_cmp_ne_u16_e32 vcc, 0, v24
	v_mov_b32_e32 v23, 0
	v_mov_b32_e32 v30, 0
	s_and_saveexec_b64 s[0:1], vcc
	s_cbranch_execz .LBB716_424
; %bb.419:
	s_movk_i32 s3, 0x80
	v_cmp_ne_u16_e32 vcc, s3, v24
	v_mov_b32_e32 v30, 0xffff8000
	s_and_saveexec_b64 s[6:7], vcc
	s_cbranch_execz .LBB716_423
; %bb.420:
	v_bfe_u32 v24, v14, 16, 7
	s_movk_i32 s3, 0x7f
	v_cmp_ne_u32_e32 vcc, s3, v24
	v_mov_b32_e32 v30, 0x7f80
	s_and_saveexec_b64 s[8:9], vcc
	s_cbranch_execz .LBB716_422
; %bb.421:
	v_and_b32_e32 v32, 7, v22
	v_ffbh_u32_e32 v30, v32
	v_min_u32_e32 v34, 32, v30
	v_subrev_u32_e32 v30, 28, v34
	v_lshlrev_b64 v[30:31], v30, v[22:23]
	v_and_b32_e32 v30, 7, v30
	v_cmp_gt_u32_e32 vcc, 8, v24
	v_lshrrev_b32_e32 v33, 3, v24
	v_sub_u32_e32 v22, 29, v34
	v_cndmask_b32_e32 v24, v32, v30, vcc
	v_mov_b32_e32 v30, 24
	v_cndmask_b32_e32 v22, v33, v22, vcc
	v_lshlrev_b32_sdwa v30, v30, v14 dst_sel:DWORD dst_unused:UNUSED_PAD src0_sel:DWORD src1_sel:WORD_1
	v_bfrev_b32_e32 v31, 60
	v_lshlrev_b32_e32 v24, 20, v24
	v_and_b32_e32 v30, 0x80000000, v30
	v_lshl_add_u32 v22, v22, 23, v31
	v_or3_b32 v22, v30, v22, v24
	v_lshrrev_b32_e32 v30, 16, v22
.LBB716_422:
	s_or_b64 exec, exec, s[8:9]
.LBB716_423:
	s_or_b64 exec, exec, s[6:7]
.LBB716_424:
	s_or_b64 exec, exec, s[0:1]
	s_mov_b32 s0, 0xffffff
	v_cmp_lt_u32_e32 vcc, s0, v14
	v_mov_b32_e32 v31, 0
	s_and_saveexec_b64 s[0:1], vcc
	s_cbranch_execz .LBB716_430
; %bb.425:
	v_lshrrev_b32_e32 v22, 24, v14
	s_movk_i32 s3, 0x80
	v_cmp_ne_u32_e32 vcc, s3, v22
	v_mov_b32_e32 v31, 0xffff8000
	s_and_saveexec_b64 s[6:7], vcc
	s_cbranch_execz .LBB716_429
; %bb.426:
	v_bfe_u32 v24, v14, 24, 7
	s_movk_i32 s3, 0x7f
	v_cmp_ne_u32_e32 vcc, s3, v24
	v_mov_b32_e32 v31, 0x7f80
	s_and_saveexec_b64 s[8:9], vcc
	s_cbranch_execz .LBB716_428
; %bb.427:
	v_and_b32_e32 v31, 7, v22
	v_ffbh_u32_e32 v32, v31
	v_min_u32_e32 v35, 32, v32
	v_subrev_u32_e32 v32, 28, v35
	v_lshlrev_b64 v[32:33], v32, v[22:23]
	v_lshrrev_b32_e32 v34, 3, v24
	v_sub_u32_e32 v33, 29, v35
	v_and_b32_e32 v32, 7, v32
	v_cmp_gt_u32_e32 vcc, 8, v24
	v_cndmask_b32_e32 v24, v34, v33, vcc
	v_cndmask_b32_e32 v31, v31, v32, vcc
	v_lshlrev_b32_e32 v22, 24, v22
	v_bfrev_b32_e32 v32, 60
	v_lshlrev_b32_e32 v31, 20, v31
	v_and_b32_e32 v22, 0x80000000, v22
	v_lshl_add_u32 v24, v24, 23, v32
	v_or3_b32 v22, v22, v24, v31
	v_lshrrev_b32_e32 v31, 16, v22
.LBB716_428:
	s_or_b64 exec, exec, s[8:9]
.LBB716_429:
	s_or_b64 exec, exec, s[6:7]
.LBB716_430:
	s_or_b64 exec, exec, s[0:1]
	v_mov_b32_e32 v32, 0
	v_mov_b32_e32 v22, v15
	v_cmp_ne_u16_sdwa s[6:7], v15, v32 src0_sel:BYTE_0 src1_sel:DWORD
	v_mov_b32_e32 v33, 0
	s_and_saveexec_b64 s[0:1], s[6:7]
	s_cbranch_execz .LBB716_436
; %bb.431:
	s_movk_i32 s3, 0x80
	v_cmp_ne_u16_sdwa s[8:9], v15, s3 src0_sel:BYTE_0 src1_sel:DWORD
	v_mov_b32_e32 v33, 0xffff8000
	s_and_saveexec_b64 s[6:7], s[8:9]
	s_cbranch_execz .LBB716_435
; %bb.432:
	s_movk_i32 s3, 0x7f
	v_and_b32_e32 v24, 0x7f, v15
	v_cmp_ne_u32_e32 vcc, s3, v24
	v_mov_b32_e32 v33, 0x7f80
	s_and_saveexec_b64 s[8:9], vcc
	s_cbranch_execz .LBB716_434
; %bb.433:
	v_and_b32_e32 v33, 7, v15
	v_ffbh_u32_e32 v33, v33
	v_min_u32_e32 v33, 32, v33
	v_lshrrev_b32_e32 v34, 3, v24
	v_subrev_u32_e32 v35, 28, v33
	v_sub_u32_e32 v33, 29, v33
	v_cmp_gt_u32_e32 vcc, 8, v24
	v_cndmask_b32_e32 v24, v34, v33, vcc
	v_cndmask_b32_e32 v33, 0, v35, vcc
	v_lshlrev_b64 v[34:35], v33, v[22:23]
	v_lshlrev_b32_e32 v23, 20, v34
	v_lshlrev_b32_e32 v33, 24, v22
	v_bfrev_b32_e32 v34, 60
	v_and_b32_e32 v23, 0x700000, v23
	v_and_b32_e32 v33, 0x80000000, v33
	v_lshl_add_u32 v24, v24, 23, v34
	v_or3_b32 v23, v33, v24, v23
	v_lshrrev_b32_e32 v33, 16, v23
.LBB716_434:
	s_or_b64 exec, exec, s[8:9]
.LBB716_435:
	s_or_b64 exec, exec, s[6:7]
.LBB716_436:
	s_or_b64 exec, exec, s[0:1]
	v_lshrrev_b16_e32 v24, 8, v22
	v_cmp_ne_u16_e32 vcc, 0, v24
	s_and_saveexec_b64 s[0:1], vcc
	s_cbranch_execz .LBB716_442
; %bb.437:
	s_movk_i32 s3, 0x80
	v_cmp_ne_u16_e32 vcc, s3, v24
	v_mov_b32_e32 v32, 0xffff8000
	s_and_saveexec_b64 s[6:7], vcc
	s_cbranch_execz .LBB716_441
; %bb.438:
	s_movk_i32 s3, 0x7f
	v_and_b32_e32 v23, 0x7f, v24
	v_cmp_ne_u32_e32 vcc, s3, v23
	v_mov_b32_e32 v32, 0x7f80
	s_and_saveexec_b64 s[8:9], vcc
	s_cbranch_execz .LBB716_440
; %bb.439:
	v_and_b32_e32 v32, 7, v24
	v_ffbh_u32_e32 v34, v32
	v_min_u32_e32 v37, 32, v34
	v_subrev_u32_e32 v34, 28, v37
	v_lshlrev_b64 v[34:35], v34, v[24:25]
	v_lshrrev_b32_e32 v36, 3, v23
	v_sub_u32_e32 v24, 29, v37
	v_and_b32_e32 v34, 7, v34
	v_cmp_gt_u32_e32 vcc, 8, v23
	v_cndmask_b32_e32 v23, v36, v24, vcc
	v_cndmask_b32_e32 v24, v32, v34, vcc
	v_lshlrev_b32_e32 v22, 16, v22
	v_bfrev_b32_e32 v32, 60
	v_lshlrev_b32_e32 v24, 20, v24
	v_and_b32_e32 v22, 0x80000000, v22
	v_lshl_add_u32 v23, v23, 23, v32
	v_or3_b32 v22, v22, v23, v24
	v_lshrrev_b32_e32 v32, 16, v22
.LBB716_440:
	s_or_b64 exec, exec, s[8:9]
.LBB716_441:
	s_or_b64 exec, exec, s[6:7]
.LBB716_442:
	s_or_b64 exec, exec, s[0:1]
	s_movk_i32 s0, 0xff
	v_and_b32_sdwa v34, v15, s0 dst_sel:DWORD dst_unused:UNUSED_PAD src0_sel:WORD_1 src1_sel:DWORD
	v_lshrrev_b32_e32 v22, 16, v15
	v_cmp_ne_u16_e32 vcc, 0, v34
	v_mov_b32_e32 v23, 0
	v_mov_b32_e32 v24, 0
	s_and_saveexec_b64 s[0:1], vcc
	s_cbranch_execz .LBB716_448
; %bb.443:
	s_movk_i32 s3, 0x80
	v_cmp_ne_u16_e32 vcc, s3, v34
	v_mov_b32_e32 v24, 0xffff8000
	s_and_saveexec_b64 s[6:7], vcc
	s_cbranch_execz .LBB716_447
; %bb.444:
	v_bfe_u32 v34, v15, 16, 7
	s_movk_i32 s3, 0x7f
	v_cmp_ne_u32_e32 vcc, s3, v34
	v_mov_b32_e32 v24, 0x7f80
	s_and_saveexec_b64 s[8:9], vcc
	s_cbranch_execz .LBB716_446
; %bb.445:
	v_and_b32_e32 v24, 7, v22
	v_ffbh_u32_e32 v36, v24
	v_min_u32_e32 v38, 32, v36
	v_subrev_u32_e32 v36, 28, v38
	v_lshlrev_b64 v[36:37], v36, v[22:23]
	v_lshrrev_b32_e32 v35, 3, v34
	v_sub_u32_e32 v22, 29, v38
	v_and_b32_e32 v36, 7, v36
	v_cmp_gt_u32_e32 vcc, 8, v34
	v_mov_b32_e32 v34, 24
	v_cndmask_b32_e32 v22, v35, v22, vcc
	v_cndmask_b32_e32 v24, v24, v36, vcc
	v_lshlrev_b32_sdwa v34, v34, v15 dst_sel:DWORD dst_unused:UNUSED_PAD src0_sel:DWORD src1_sel:WORD_1
	v_bfrev_b32_e32 v35, 60
	v_lshlrev_b32_e32 v24, 20, v24
	v_and_b32_e32 v34, 0x80000000, v34
	v_lshl_add_u32 v22, v22, 23, v35
	v_or3_b32 v22, v34, v22, v24
	v_lshrrev_b32_e32 v24, 16, v22
.LBB716_446:
	s_or_b64 exec, exec, s[8:9]
.LBB716_447:
	s_or_b64 exec, exec, s[6:7]
.LBB716_448:
	s_or_b64 exec, exec, s[0:1]
	s_mov_b32 s0, -1
	s_mov_b32 s1, 0xffffff
	v_cmp_lt_u64_e32 vcc, s[0:1], v[14:15]
	s_and_saveexec_b64 s[0:1], vcc
	s_cbranch_execz .LBB716_454
; %bb.449:
	v_lshrrev_b32_e32 v14, 24, v15
	s_movk_i32 s3, 0x80
	v_cmp_ne_u32_e32 vcc, s3, v14
	v_mov_b32_e32 v23, 0xffff8000
	s_and_saveexec_b64 s[6:7], vcc
	s_cbranch_execz .LBB716_453
; %bb.450:
	v_bfe_u32 v15, v15, 24, 7
	s_movk_i32 s3, 0x7f
	v_cmp_ne_u32_e32 vcc, s3, v15
	v_mov_b32_e32 v23, 0x7f80
	s_and_saveexec_b64 s[8:9], vcc
	s_cbranch_execz .LBB716_452
; %bb.451:
	v_and_b32_e32 v34, 7, v14
	v_ffbh_u32_e32 v22, v34
	v_min_u32_e32 v36, 32, v22
	v_subrev_u32_e32 v22, 28, v36
	v_lshlrev_b64 v[22:23], v22, v[14:15]
	v_lshrrev_b32_e32 v35, 3, v15
	v_sub_u32_e32 v23, 29, v36
	v_and_b32_e32 v22, 7, v22
	v_cmp_gt_u32_e32 vcc, 8, v15
	v_cndmask_b32_e32 v15, v35, v23, vcc
	v_cndmask_b32_e32 v22, v34, v22, vcc
	v_lshlrev_b32_e32 v14, 24, v14
	v_bfrev_b32_e32 v23, 60
	v_lshlrev_b32_e32 v22, 20, v22
	v_and_b32_e32 v14, 0x80000000, v14
	v_lshl_add_u32 v15, v15, 23, v23
	v_or3_b32 v14, v14, v15, v22
	v_lshrrev_b32_e32 v23, 16, v14
.LBB716_452:
	s_or_b64 exec, exec, s[8:9]
.LBB716_453:
	s_or_b64 exec, exec, s[6:7]
.LBB716_454:
	s_or_b64 exec, exec, s[0:1]
	v_add_f32_e32 v14, 0x358637bd, v27
	v_div_scale_f32 v15, s[0:1], v14, v14, 1.0
	v_rcp_f32_e32 v22, v15
	v_div_scale_f32 v27, vcc, 1.0, v14, 1.0
	v_sub_f32_e32 v25, v25, v26
	v_fma_f32 v34, -v15, v22, 1.0
	v_fmac_f32_e32 v22, v34, v22
	v_mul_f32_e32 v34, v27, v22
	v_fma_f32 v35, -v15, v34, v27
	v_mul_f32_e32 v25, 0x3fb8aa3b, v25
	v_fmac_f32_e32 v34, v35, v22
	v_exp_f32_e32 v25, v25
	v_fma_f32 v15, -v15, v34, v27
	v_div_fmas_f32 v15, v15, v22, v34
	v_div_fixup_f32 v14, v15, v14, 1.0
	v_mul_f32_e32 v14, v25, v14
	v_pk_mul_f32 v[20:21], v[20:21], v[14:15] op_sel_hi:[1,0]
	v_pk_mul_f32 v[14:15], v[18:19], v[14:15] op_sel_hi:[1,0]
	v_bfe_u32 v18, v15, 16, 1
	v_bfe_u32 v19, v14, 16, 1
	s_movk_i32 s0, 0x7fff
	v_add3_u32 v14, v14, v19, s0
	v_add3_u32 v15, v15, v18, s0
	s_mov_b32 s1, 0x7060302
	v_perm_b32 v14, v15, v14, s1
	v_bfe_u32 v15, v21, 16, 1
	v_bfe_u32 v18, v20, 16, 1
	v_add3_u32 v18, v20, v18, s0
	v_add3_u32 v15, v21, v15, s0
	v_perm_b32 v15, v15, v18, s1
	s_mov_b32 s0, 0x5040100
	v_perm_b32 v19, v31, v30, s0
	v_perm_b32 v18, v28, v29, s0
	;; [unrolled: 1-line block ×4, first 2 shown]
	v_mfma_f32_4x4x4bf16_1k a[0:3], v[14:15], v[18:19], 0 cbsz:4
	v_mov_b32_e32 v21, 0
	v_mfma_f32_4x4x4bf16_1k a[0:3], v[14:15], v[22:23], a[0:3] cbsz:4 abid:1
	v_mov_b32_e32 v22, 0
	v_cmp_ne_u16_sdwa s[6:7], v16, v22 src0_sel:BYTE_0 src1_sel:DWORD
	s_and_saveexec_b64 s[0:1], s[6:7]
	s_cbranch_execz .LBB716_460
; %bb.455:
	s_movk_i32 s3, 0x80
	v_cmp_ne_u16_sdwa s[8:9], v16, s3 src0_sel:BYTE_0 src1_sel:DWORD
	v_mov_b32_e32 v21, 0xffff8000
	s_and_saveexec_b64 s[6:7], s[8:9]
	s_cbranch_execz .LBB716_459
; %bb.456:
	s_movk_i32 s3, 0x7f
	v_and_b32_e32 v18, 0x7f, v16
	v_cmp_ne_u32_e32 vcc, s3, v18
	v_mov_b32_e32 v21, 0x7f80
	s_and_saveexec_b64 s[8:9], vcc
	s_cbranch_execz .LBB716_458
; %bb.457:
	v_and_b32_e32 v19, 7, v16
	v_ffbh_u32_e32 v19, v19
	v_min_u32_e32 v19, 32, v19
	v_subrev_u32_e32 v21, 28, v19
	v_cmp_gt_u32_e32 vcc, 8, v18
	v_lshrrev_b32_e32 v20, 3, v18
	v_sub_u32_e32 v19, 29, v19
	v_cndmask_b32_e32 v18, 0, v21, vcc
	v_cndmask_b32_e32 v20, v20, v19, vcc
	v_lshlrev_b64 v[18:19], v18, v[16:17]
	v_lshlrev_b32_e32 v18, 20, v18
	v_lshlrev_b32_e32 v19, 24, v16
	v_bfrev_b32_e32 v21, 60
	v_and_b32_e32 v18, 0x700000, v18
	v_and_b32_e32 v19, 0x80000000, v19
	v_lshl_add_u32 v20, v20, 23, v21
	v_or3_b32 v18, v19, v20, v18
	v_lshrrev_b32_e32 v21, 16, v18
.LBB716_458:
	s_or_b64 exec, exec, s[8:9]
.LBB716_459:
	s_or_b64 exec, exec, s[6:7]
.LBB716_460:
	s_or_b64 exec, exec, s[0:1]
	v_lshrrev_b16_e32 v18, 8, v16
	v_cmp_ne_u16_e32 vcc, 0, v18
	s_and_saveexec_b64 s[0:1], vcc
	s_cbranch_execz .LBB716_466
; %bb.461:
	s_movk_i32 s3, 0x80
	v_cmp_ne_u16_e32 vcc, s3, v18
	v_mov_b32_e32 v22, 0xffff8000
	s_and_saveexec_b64 s[6:7], vcc
	s_cbranch_execz .LBB716_465
; %bb.462:
	s_movk_i32 s3, 0x7f
	v_and_b32_e32 v19, 0x7f, v18
	v_cmp_ne_u32_e32 vcc, s3, v19
	v_mov_b32_e32 v22, 0x7f80
	s_and_saveexec_b64 s[8:9], vcc
	s_cbranch_execz .LBB716_464
; %bb.463:
	v_and_b32_e32 v20, 7, v18
	v_ffbh_u32_e32 v22, v20
	v_min_u32_e32 v25, 32, v22
	v_subrev_u32_e32 v22, 28, v25
	v_lshlrev_b64 v[22:23], v22, v[18:19]
	v_lshrrev_b32_e32 v24, 3, v19
	v_sub_u32_e32 v18, 29, v25
	v_and_b32_e32 v22, 7, v22
	v_cmp_gt_u32_e32 vcc, 8, v19
	v_cndmask_b32_e32 v18, v24, v18, vcc
	v_cndmask_b32_e32 v19, v20, v22, vcc
	v_lshlrev_b32_e32 v20, 16, v16
	v_bfrev_b32_e32 v22, 60
	v_lshlrev_b32_e32 v19, 20, v19
	v_and_b32_e32 v20, 0x80000000, v20
	v_lshl_add_u32 v18, v18, 23, v22
	v_or3_b32 v18, v20, v18, v19
	v_lshrrev_b32_e32 v22, 16, v18
.LBB716_464:
	s_or_b64 exec, exec, s[8:9]
.LBB716_465:
	s_or_b64 exec, exec, s[6:7]
.LBB716_466:
	s_or_b64 exec, exec, s[0:1]
	s_movk_i32 s0, 0xff
	v_and_b32_sdwa v20, v16, s0 dst_sel:DWORD dst_unused:UNUSED_PAD src0_sel:WORD_1 src1_sel:DWORD
	v_lshrrev_b32_e32 v18, 16, v16
	v_cmp_ne_u16_e32 vcc, 0, v20
	v_mov_b32_e32 v19, 0
	v_mov_b32_e32 v23, 0
	s_and_saveexec_b64 s[0:1], vcc
	s_cbranch_execz .LBB716_472
; %bb.467:
	s_movk_i32 s3, 0x80
	v_cmp_ne_u16_e32 vcc, s3, v20
	v_mov_b32_e32 v23, 0xffff8000
	s_and_saveexec_b64 s[6:7], vcc
	s_cbranch_execz .LBB716_471
; %bb.468:
	v_bfe_u32 v20, v16, 16, 7
	s_movk_i32 s3, 0x7f
	v_cmp_ne_u32_e32 vcc, s3, v20
	v_mov_b32_e32 v23, 0x7f80
	s_and_saveexec_b64 s[8:9], vcc
	s_cbranch_execz .LBB716_470
; %bb.469:
	v_and_b32_e32 v23, 7, v18
	v_ffbh_u32_e32 v24, v23
	v_min_u32_e32 v27, 32, v24
	v_subrev_u32_e32 v24, 28, v27
	v_lshlrev_b64 v[24:25], v24, v[18:19]
	v_and_b32_e32 v24, 7, v24
	v_cmp_gt_u32_e32 vcc, 8, v20
	v_lshrrev_b32_e32 v26, 3, v20
	v_sub_u32_e32 v18, 29, v27
	v_cndmask_b32_e32 v20, v23, v24, vcc
	v_mov_b32_e32 v23, 24
	v_cndmask_b32_e32 v18, v26, v18, vcc
	v_lshlrev_b32_sdwa v23, v23, v16 dst_sel:DWORD dst_unused:UNUSED_PAD src0_sel:DWORD src1_sel:WORD_1
	v_bfrev_b32_e32 v24, 60
	v_lshlrev_b32_e32 v20, 20, v20
	v_and_b32_e32 v23, 0x80000000, v23
	v_lshl_add_u32 v18, v18, 23, v24
	v_or3_b32 v18, v23, v18, v20
	v_lshrrev_b32_e32 v23, 16, v18
.LBB716_470:
	s_or_b64 exec, exec, s[8:9]
.LBB716_471:
	s_or_b64 exec, exec, s[6:7]
.LBB716_472:
	s_or_b64 exec, exec, s[0:1]
	s_mov_b32 s0, 0xffffff
	v_cmp_lt_u32_e32 vcc, s0, v16
	v_mov_b32_e32 v24, 0
	s_and_saveexec_b64 s[0:1], vcc
	s_cbranch_execz .LBB716_478
; %bb.473:
	v_lshrrev_b32_e32 v18, 24, v16
	s_movk_i32 s3, 0x80
	v_cmp_ne_u32_e32 vcc, s3, v18
	v_mov_b32_e32 v24, 0xffff8000
	s_and_saveexec_b64 s[6:7], vcc
	s_cbranch_execz .LBB716_477
; %bb.474:
	v_bfe_u32 v20, v16, 24, 7
	s_movk_i32 s3, 0x7f
	v_cmp_ne_u32_e32 vcc, s3, v20
	v_mov_b32_e32 v24, 0x7f80
	s_and_saveexec_b64 s[8:9], vcc
	s_cbranch_execz .LBB716_476
; %bb.475:
	v_and_b32_e32 v26, 7, v18
	v_ffbh_u32_e32 v24, v26
	v_min_u32_e32 v28, 32, v24
	v_subrev_u32_e32 v24, 28, v28
	v_lshlrev_b64 v[24:25], v24, v[18:19]
	v_lshrrev_b32_e32 v27, 3, v20
	v_sub_u32_e32 v25, 29, v28
	v_and_b32_e32 v24, 7, v24
	v_cmp_gt_u32_e32 vcc, 8, v20
	v_cndmask_b32_e32 v20, v27, v25, vcc
	v_cndmask_b32_e32 v24, v26, v24, vcc
	v_lshlrev_b32_e32 v18, 24, v18
	v_bfrev_b32_e32 v25, 60
	v_lshlrev_b32_e32 v24, 20, v24
	v_and_b32_e32 v18, 0x80000000, v18
	v_lshl_add_u32 v20, v20, 23, v25
	v_or3_b32 v18, v18, v20, v24
	v_lshrrev_b32_e32 v24, 16, v18
.LBB716_476:
	s_or_b64 exec, exec, s[8:9]
.LBB716_477:
	s_or_b64 exec, exec, s[6:7]
.LBB716_478:
	s_or_b64 exec, exec, s[0:1]
	v_mov_b32_e32 v25, 0
	v_mov_b32_e32 v18, v17
	v_cmp_ne_u16_sdwa s[6:7], v17, v25 src0_sel:BYTE_0 src1_sel:DWORD
	v_mov_b32_e32 v26, 0
	s_and_saveexec_b64 s[0:1], s[6:7]
	s_cbranch_execz .LBB716_484
; %bb.479:
	s_movk_i32 s3, 0x80
	v_cmp_ne_u16_sdwa s[8:9], v17, s3 src0_sel:BYTE_0 src1_sel:DWORD
	v_mov_b32_e32 v26, 0xffff8000
	s_and_saveexec_b64 s[6:7], s[8:9]
	s_cbranch_execz .LBB716_483
; %bb.480:
	s_movk_i32 s3, 0x7f
	v_and_b32_e32 v20, 0x7f, v17
	v_cmp_ne_u32_e32 vcc, s3, v20
	v_mov_b32_e32 v26, 0x7f80
	s_and_saveexec_b64 s[8:9], vcc
	s_cbranch_execz .LBB716_482
; %bb.481:
	v_and_b32_e32 v26, 7, v17
	v_ffbh_u32_e32 v26, v26
	v_min_u32_e32 v26, 32, v26
	v_lshrrev_b32_e32 v27, 3, v20
	v_subrev_u32_e32 v28, 28, v26
	v_sub_u32_e32 v26, 29, v26
	v_cmp_gt_u32_e32 vcc, 8, v20
	v_cndmask_b32_e32 v20, v27, v26, vcc
	v_cndmask_b32_e32 v26, 0, v28, vcc
	v_lshlrev_b64 v[26:27], v26, v[18:19]
	v_lshlrev_b32_e32 v19, 20, v26
	v_lshlrev_b32_e32 v26, 24, v18
	v_bfrev_b32_e32 v27, 60
	v_and_b32_e32 v19, 0x700000, v19
	v_and_b32_e32 v26, 0x80000000, v26
	v_lshl_add_u32 v20, v20, 23, v27
	v_or3_b32 v19, v26, v20, v19
	v_lshrrev_b32_e32 v26, 16, v19
.LBB716_482:
	s_or_b64 exec, exec, s[8:9]
.LBB716_483:
	s_or_b64 exec, exec, s[6:7]
.LBB716_484:
	s_or_b64 exec, exec, s[0:1]
	v_lshrrev_b16_e32 v20, 8, v18
	v_cmp_ne_u16_e32 vcc, 0, v20
	s_and_saveexec_b64 s[0:1], vcc
	s_cbranch_execz .LBB716_490
; %bb.485:
	s_movk_i32 s3, 0x80
	v_cmp_ne_u16_e32 vcc, s3, v20
	v_mov_b32_e32 v25, 0xffff8000
	s_and_saveexec_b64 s[6:7], vcc
	s_cbranch_execz .LBB716_489
; %bb.486:
	s_movk_i32 s3, 0x7f
	v_and_b32_e32 v19, 0x7f, v20
	v_cmp_ne_u32_e32 vcc, s3, v19
	v_mov_b32_e32 v25, 0x7f80
	s_and_saveexec_b64 s[8:9], vcc
	s_cbranch_execz .LBB716_488
; %bb.487:
	v_and_b32_e32 v25, 7, v20
	v_ffbh_u32_e32 v28, v25
	v_min_u32_e32 v30, 32, v28
	v_subrev_u32_e32 v28, 28, v30
	v_lshlrev_b64 v[28:29], v28, v[20:21]
	v_lshrrev_b32_e32 v27, 3, v19
	v_sub_u32_e32 v20, 29, v30
	v_and_b32_e32 v28, 7, v28
	v_cmp_gt_u32_e32 vcc, 8, v19
	v_cndmask_b32_e32 v19, v27, v20, vcc
	v_cndmask_b32_e32 v20, v25, v28, vcc
	v_lshlrev_b32_e32 v18, 16, v18
	v_bfrev_b32_e32 v25, 60
	v_lshlrev_b32_e32 v20, 20, v20
	v_and_b32_e32 v18, 0x80000000, v18
	v_lshl_add_u32 v19, v19, 23, v25
	v_or3_b32 v18, v18, v19, v20
	v_lshrrev_b32_e32 v25, 16, v18
.LBB716_488:
	s_or_b64 exec, exec, s[8:9]
.LBB716_489:
	s_or_b64 exec, exec, s[6:7]
.LBB716_490:
	s_or_b64 exec, exec, s[0:1]
	s_movk_i32 s0, 0xff
	v_and_b32_sdwa v27, v17, s0 dst_sel:DWORD dst_unused:UNUSED_PAD src0_sel:WORD_1 src1_sel:DWORD
	v_lshrrev_b32_e32 v18, 16, v17
	v_cmp_ne_u16_e32 vcc, 0, v27
	v_mov_b32_e32 v19, 0
	v_mov_b32_e32 v20, 0
	s_and_saveexec_b64 s[0:1], vcc
	s_cbranch_execz .LBB716_496
; %bb.491:
	s_movk_i32 s3, 0x80
	v_cmp_ne_u16_e32 vcc, s3, v27
	v_mov_b32_e32 v20, 0xffff8000
	s_and_saveexec_b64 s[6:7], vcc
	s_cbranch_execz .LBB716_495
; %bb.492:
	v_bfe_u32 v27, v17, 16, 7
	s_movk_i32 s3, 0x7f
	v_cmp_ne_u32_e32 vcc, s3, v27
	v_mov_b32_e32 v20, 0x7f80
	s_and_saveexec_b64 s[8:9], vcc
	s_cbranch_execz .LBB716_494
; %bb.493:
	v_and_b32_e32 v20, 7, v18
	v_ffbh_u32_e32 v28, v20
	v_min_u32_e32 v31, 32, v28
	v_subrev_u32_e32 v28, 28, v31
	v_lshlrev_b64 v[28:29], v28, v[18:19]
	v_lshrrev_b32_e32 v30, 3, v27
	v_sub_u32_e32 v18, 29, v31
	v_and_b32_e32 v28, 7, v28
	v_cmp_gt_u32_e32 vcc, 8, v27
	v_mov_b32_e32 v27, 24
	v_cndmask_b32_e32 v18, v30, v18, vcc
	v_cndmask_b32_e32 v20, v20, v28, vcc
	v_lshlrev_b32_sdwa v27, v27, v17 dst_sel:DWORD dst_unused:UNUSED_PAD src0_sel:DWORD src1_sel:WORD_1
	v_bfrev_b32_e32 v28, 60
	v_lshlrev_b32_e32 v20, 20, v20
	v_and_b32_e32 v27, 0x80000000, v27
	v_lshl_add_u32 v18, v18, 23, v28
	v_or3_b32 v18, v27, v18, v20
	v_lshrrev_b32_e32 v20, 16, v18
.LBB716_494:
	s_or_b64 exec, exec, s[8:9]
.LBB716_495:
	s_or_b64 exec, exec, s[6:7]
.LBB716_496:
	s_or_b64 exec, exec, s[0:1]
	s_mov_b32 s0, -1
	s_mov_b32 s1, 0xffffff
	v_cmp_lt_u64_e32 vcc, s[0:1], v[16:17]
	s_and_saveexec_b64 s[0:1], vcc
	s_cbranch_execz .LBB716_502
; %bb.497:
	v_lshrrev_b32_e32 v16, 24, v17
	s_movk_i32 s3, 0x80
	v_cmp_ne_u32_e32 vcc, s3, v16
	v_mov_b32_e32 v19, 0xffff8000
	s_and_saveexec_b64 s[6:7], vcc
	s_cbranch_execz .LBB716_501
; %bb.498:
	v_bfe_u32 v17, v17, 24, 7
	s_movk_i32 s3, 0x7f
	v_cmp_ne_u32_e32 vcc, s3, v17
	v_mov_b32_e32 v19, 0x7f80
	s_and_saveexec_b64 s[8:9], vcc
	s_cbranch_execz .LBB716_500
; %bb.499:
	v_and_b32_e32 v27, 7, v16
	v_ffbh_u32_e32 v18, v27
	v_min_u32_e32 v29, 32, v18
	v_subrev_u32_e32 v18, 28, v29
	v_lshlrev_b64 v[18:19], v18, v[16:17]
	v_lshrrev_b32_e32 v28, 3, v17
	v_sub_u32_e32 v19, 29, v29
	v_and_b32_e32 v18, 7, v18
	v_cmp_gt_u32_e32 vcc, 8, v17
	v_cndmask_b32_e32 v17, v28, v19, vcc
	v_cndmask_b32_e32 v18, v27, v18, vcc
	v_lshlrev_b32_e32 v16, 24, v16
	v_bfrev_b32_e32 v19, 60
	v_lshlrev_b32_e32 v18, 20, v18
	v_and_b32_e32 v16, 0x80000000, v16
	v_lshl_add_u32 v17, v17, 23, v19
	v_or3_b32 v16, v16, v17, v18
	v_lshrrev_b32_e32 v19, 16, v16
.LBB716_500:
	s_or_b64 exec, exec, s[8:9]
.LBB716_501:
	s_or_b64 exec, exec, s[6:7]
.LBB716_502:
	s_or_b64 exec, exec, s[0:1]
	s_mov_b32 s0, 0x5040100
	v_perm_b32 v17, v24, v23, s0
	v_perm_b32 v16, v22, v21, s0
	;; [unrolled: 1-line block ×4, first 2 shown]
	v_mfma_f32_4x4x4bf16_1k a[0:3], v[14:15], v[16:17], a[0:3] cbsz:4 abid:2
	v_mov_b32_e32 v20, 0
	v_mfma_f32_4x4x4bf16_1k a[0:3], v[14:15], v[18:19], a[0:3] cbsz:4 abid:3
	v_mov_b32_e32 v19, 0
	v_cmp_ne_u16_sdwa s[6:7], v10, v19 src0_sel:BYTE_0 src1_sel:DWORD
	s_and_saveexec_b64 s[0:1], s[6:7]
	s_cbranch_execz .LBB716_508
; %bb.503:
	s_movk_i32 s3, 0x80
	v_cmp_ne_u16_sdwa s[8:9], v10, s3 src0_sel:BYTE_0 src1_sel:DWORD
	v_mov_b32_e32 v20, 0xffff8000
	s_and_saveexec_b64 s[6:7], s[8:9]
	s_cbranch_execz .LBB716_507
; %bb.504:
	s_movk_i32 s3, 0x7f
	v_and_b32_e32 v16, 0x7f, v10
	v_cmp_ne_u32_e32 vcc, s3, v16
	v_mov_b32_e32 v20, 0x7f80
	s_and_saveexec_b64 s[8:9], vcc
	s_cbranch_execz .LBB716_506
; %bb.505:
	v_and_b32_e32 v17, 7, v10
	v_ffbh_u32_e32 v17, v17
	v_min_u32_e32 v17, 32, v17
	v_subrev_u32_e32 v20, 28, v17
	v_cmp_gt_u32_e32 vcc, 8, v16
	v_lshrrev_b32_e32 v18, 3, v16
	v_sub_u32_e32 v17, 29, v17
	v_cndmask_b32_e32 v16, 0, v20, vcc
	v_cndmask_b32_e32 v18, v18, v17, vcc
	v_lshlrev_b64 v[16:17], v16, v[10:11]
	v_lshlrev_b32_e32 v16, 20, v16
	v_lshlrev_b32_e32 v17, 24, v10
	v_bfrev_b32_e32 v20, 60
	v_and_b32_e32 v16, 0x700000, v16
	v_and_b32_e32 v17, 0x80000000, v17
	v_lshl_add_u32 v18, v18, 23, v20
	v_or3_b32 v16, v17, v18, v16
	v_lshrrev_b32_e32 v20, 16, v16
.LBB716_506:
	s_or_b64 exec, exec, s[8:9]
.LBB716_507:
	s_or_b64 exec, exec, s[6:7]
.LBB716_508:
	s_or_b64 exec, exec, s[0:1]
	v_lshrrev_b16_e32 v16, 8, v10
	v_cmp_ne_u16_e32 vcc, 0, v16
	s_and_saveexec_b64 s[0:1], vcc
	s_cbranch_execz .LBB716_514
; %bb.509:
	s_movk_i32 s3, 0x80
	v_cmp_ne_u16_e32 vcc, s3, v16
	v_mov_b32_e32 v19, 0xffff8000
	s_and_saveexec_b64 s[6:7], vcc
	s_cbranch_execz .LBB716_513
; %bb.510:
	s_movk_i32 s3, 0x7f
	v_and_b32_e32 v17, 0x7f, v16
	v_cmp_ne_u32_e32 vcc, s3, v17
	v_mov_b32_e32 v19, 0x7f80
	s_and_saveexec_b64 s[8:9], vcc
	s_cbranch_execz .LBB716_512
; %bb.511:
	v_and_b32_e32 v21, 7, v16
	v_ffbh_u32_e32 v18, v21
	v_min_u32_e32 v23, 32, v18
	v_subrev_u32_e32 v18, 28, v23
	v_lshlrev_b64 v[18:19], v18, v[16:17]
	v_lshrrev_b32_e32 v22, 3, v17
	v_sub_u32_e32 v16, 29, v23
	v_and_b32_e32 v18, 7, v18
	v_cmp_gt_u32_e32 vcc, 8, v17
	v_cndmask_b32_e32 v16, v22, v16, vcc
	v_cndmask_b32_e32 v17, v21, v18, vcc
	v_lshlrev_b32_e32 v18, 16, v10
	v_bfrev_b32_e32 v19, 60
	v_lshlrev_b32_e32 v17, 20, v17
	v_and_b32_e32 v18, 0x80000000, v18
	v_lshl_add_u32 v16, v16, 23, v19
	v_or3_b32 v16, v18, v16, v17
	v_lshrrev_b32_e32 v19, 16, v16
.LBB716_512:
	s_or_b64 exec, exec, s[8:9]
.LBB716_513:
	s_or_b64 exec, exec, s[6:7]
.LBB716_514:
	s_or_b64 exec, exec, s[0:1]
	s_movk_i32 s0, 0xff
	v_and_b32_sdwa v18, v10, s0 dst_sel:DWORD dst_unused:UNUSED_PAD src0_sel:WORD_1 src1_sel:DWORD
	v_lshrrev_b32_e32 v16, 16, v10
	v_cmp_ne_u16_e32 vcc, 0, v18
	v_mov_b32_e32 v17, 0
	v_mov_b32_e32 v21, 0
	s_and_saveexec_b64 s[0:1], vcc
	s_cbranch_execz .LBB716_520
; %bb.515:
	s_movk_i32 s3, 0x80
	v_cmp_ne_u16_e32 vcc, s3, v18
	v_mov_b32_e32 v21, 0xffff8000
	s_and_saveexec_b64 s[6:7], vcc
	s_cbranch_execz .LBB716_519
; %bb.516:
	v_bfe_u32 v18, v10, 16, 7
	s_movk_i32 s3, 0x7f
	v_cmp_ne_u32_e32 vcc, s3, v18
	v_mov_b32_e32 v21, 0x7f80
	s_and_saveexec_b64 s[8:9], vcc
	s_cbranch_execz .LBB716_518
; %bb.517:
	v_and_b32_e32 v21, 7, v16
	v_ffbh_u32_e32 v22, v21
	v_min_u32_e32 v25, 32, v22
	v_subrev_u32_e32 v22, 28, v25
	v_lshlrev_b64 v[22:23], v22, v[16:17]
	v_and_b32_e32 v22, 7, v22
	v_cmp_gt_u32_e32 vcc, 8, v18
	v_lshrrev_b32_e32 v24, 3, v18
	v_sub_u32_e32 v16, 29, v25
	v_cndmask_b32_e32 v18, v21, v22, vcc
	v_mov_b32_e32 v21, 24
	v_cndmask_b32_e32 v16, v24, v16, vcc
	v_lshlrev_b32_sdwa v21, v21, v10 dst_sel:DWORD dst_unused:UNUSED_PAD src0_sel:DWORD src1_sel:WORD_1
	v_bfrev_b32_e32 v22, 60
	v_lshlrev_b32_e32 v18, 20, v18
	v_and_b32_e32 v21, 0x80000000, v21
	v_lshl_add_u32 v16, v16, 23, v22
	v_or3_b32 v16, v21, v16, v18
	v_lshrrev_b32_e32 v21, 16, v16
.LBB716_518:
	s_or_b64 exec, exec, s[8:9]
.LBB716_519:
	s_or_b64 exec, exec, s[6:7]
.LBB716_520:
	s_or_b64 exec, exec, s[0:1]
	s_mov_b32 s0, 0xffffff
	v_cmp_lt_u32_e32 vcc, s0, v10
	v_mov_b32_e32 v22, 0
	s_and_saveexec_b64 s[0:1], vcc
	s_cbranch_execz .LBB716_526
; %bb.521:
	v_lshrrev_b32_e32 v16, 24, v10
	s_movk_i32 s3, 0x80
	v_cmp_ne_u32_e32 vcc, s3, v16
	v_mov_b32_e32 v22, 0xffff8000
	s_and_saveexec_b64 s[6:7], vcc
	s_cbranch_execz .LBB716_525
; %bb.522:
	v_bfe_u32 v18, v10, 24, 7
	s_movk_i32 s3, 0x7f
	v_cmp_ne_u32_e32 vcc, s3, v18
	v_mov_b32_e32 v22, 0x7f80
	s_and_saveexec_b64 s[8:9], vcc
	s_cbranch_execz .LBB716_524
; %bb.523:
	v_and_b32_e32 v24, 7, v16
	v_ffbh_u32_e32 v22, v24
	v_min_u32_e32 v26, 32, v22
	v_subrev_u32_e32 v22, 28, v26
	v_lshlrev_b64 v[22:23], v22, v[16:17]
	v_lshrrev_b32_e32 v25, 3, v18
	v_sub_u32_e32 v23, 29, v26
	v_and_b32_e32 v22, 7, v22
	v_cmp_gt_u32_e32 vcc, 8, v18
	v_cndmask_b32_e32 v18, v25, v23, vcc
	v_cndmask_b32_e32 v22, v24, v22, vcc
	v_lshlrev_b32_e32 v16, 24, v16
	v_bfrev_b32_e32 v23, 60
	v_lshlrev_b32_e32 v22, 20, v22
	v_and_b32_e32 v16, 0x80000000, v16
	v_lshl_add_u32 v18, v18, 23, v23
	v_or3_b32 v16, v16, v18, v22
	v_lshrrev_b32_e32 v22, 16, v16
.LBB716_524:
	s_or_b64 exec, exec, s[8:9]
.LBB716_525:
	s_or_b64 exec, exec, s[6:7]
.LBB716_526:
	s_or_b64 exec, exec, s[0:1]
	v_mov_b32_e32 v23, 0
	v_mov_b32_e32 v16, v11
	v_cmp_ne_u16_sdwa s[6:7], v11, v23 src0_sel:BYTE_0 src1_sel:DWORD
	v_mov_b32_e32 v24, 0
	s_and_saveexec_b64 s[0:1], s[6:7]
	s_cbranch_execz .LBB716_532
; %bb.527:
	s_movk_i32 s3, 0x80
	v_cmp_ne_u16_sdwa s[8:9], v11, s3 src0_sel:BYTE_0 src1_sel:DWORD
	v_mov_b32_e32 v24, 0xffff8000
	s_and_saveexec_b64 s[6:7], s[8:9]
	s_cbranch_execz .LBB716_531
; %bb.528:
	s_movk_i32 s3, 0x7f
	v_and_b32_e32 v18, 0x7f, v11
	v_cmp_ne_u32_e32 vcc, s3, v18
	v_mov_b32_e32 v24, 0x7f80
	s_and_saveexec_b64 s[8:9], vcc
	s_cbranch_execz .LBB716_530
; %bb.529:
	v_and_b32_e32 v24, 7, v11
	v_ffbh_u32_e32 v24, v24
	v_min_u32_e32 v24, 32, v24
	v_lshrrev_b32_e32 v25, 3, v18
	v_subrev_u32_e32 v26, 28, v24
	v_sub_u32_e32 v24, 29, v24
	v_cmp_gt_u32_e32 vcc, 8, v18
	v_cndmask_b32_e32 v18, v25, v24, vcc
	v_cndmask_b32_e32 v24, 0, v26, vcc
	v_lshlrev_b64 v[24:25], v24, v[16:17]
	v_lshlrev_b32_e32 v17, 20, v24
	v_lshlrev_b32_e32 v24, 24, v16
	v_bfrev_b32_e32 v25, 60
	v_and_b32_e32 v17, 0x700000, v17
	v_and_b32_e32 v24, 0x80000000, v24
	v_lshl_add_u32 v18, v18, 23, v25
	v_or3_b32 v17, v24, v18, v17
	v_lshrrev_b32_e32 v24, 16, v17
.LBB716_530:
	s_or_b64 exec, exec, s[8:9]
.LBB716_531:
	s_or_b64 exec, exec, s[6:7]
.LBB716_532:
	s_or_b64 exec, exec, s[0:1]
	v_lshrrev_b16_e32 v18, 8, v16
	v_cmp_ne_u16_e32 vcc, 0, v18
	s_and_saveexec_b64 s[0:1], vcc
	s_cbranch_execz .LBB716_538
; %bb.533:
	s_movk_i32 s3, 0x80
	v_cmp_ne_u16_e32 vcc, s3, v18
	v_mov_b32_e32 v23, 0xffff8000
	s_and_saveexec_b64 s[6:7], vcc
	s_cbranch_execz .LBB716_537
; %bb.534:
	s_movk_i32 s3, 0x7f
	v_and_b32_e32 v17, 0x7f, v18
	v_cmp_ne_u32_e32 vcc, s3, v17
	v_mov_b32_e32 v23, 0x7f80
	s_and_saveexec_b64 s[8:9], vcc
	s_cbranch_execz .LBB716_536
; %bb.535:
	v_and_b32_e32 v23, 7, v18
	v_ffbh_u32_e32 v26, v23
	v_min_u32_e32 v28, 32, v26
	v_subrev_u32_e32 v26, 28, v28
	v_lshlrev_b64 v[26:27], v26, v[18:19]
	v_lshrrev_b32_e32 v25, 3, v17
	v_sub_u32_e32 v18, 29, v28
	v_and_b32_e32 v26, 7, v26
	v_cmp_gt_u32_e32 vcc, 8, v17
	v_cndmask_b32_e32 v17, v25, v18, vcc
	v_cndmask_b32_e32 v18, v23, v26, vcc
	v_lshlrev_b32_e32 v16, 16, v16
	v_bfrev_b32_e32 v23, 60
	v_lshlrev_b32_e32 v18, 20, v18
	v_and_b32_e32 v16, 0x80000000, v16
	v_lshl_add_u32 v17, v17, 23, v23
	v_or3_b32 v16, v16, v17, v18
	v_lshrrev_b32_e32 v23, 16, v16
.LBB716_536:
	s_or_b64 exec, exec, s[8:9]
.LBB716_537:
	s_or_b64 exec, exec, s[6:7]
.LBB716_538:
	s_or_b64 exec, exec, s[0:1]
	s_movk_i32 s0, 0xff
	v_and_b32_sdwa v25, v11, s0 dst_sel:DWORD dst_unused:UNUSED_PAD src0_sel:WORD_1 src1_sel:DWORD
	v_lshrrev_b32_e32 v16, 16, v11
	v_cmp_ne_u16_e32 vcc, 0, v25
	v_mov_b32_e32 v17, 0
	v_mov_b32_e32 v18, 0
	s_and_saveexec_b64 s[0:1], vcc
	s_cbranch_execz .LBB716_544
; %bb.539:
	s_movk_i32 s3, 0x80
	v_cmp_ne_u16_e32 vcc, s3, v25
	v_mov_b32_e32 v18, 0xffff8000
	s_and_saveexec_b64 s[6:7], vcc
	s_cbranch_execz .LBB716_543
; %bb.540:
	v_bfe_u32 v25, v11, 16, 7
	s_movk_i32 s3, 0x7f
	v_cmp_ne_u32_e32 vcc, s3, v25
	v_mov_b32_e32 v18, 0x7f80
	s_and_saveexec_b64 s[8:9], vcc
	s_cbranch_execz .LBB716_542
; %bb.541:
	v_and_b32_e32 v18, 7, v16
	v_ffbh_u32_e32 v26, v18
	v_min_u32_e32 v29, 32, v26
	v_subrev_u32_e32 v26, 28, v29
	v_lshlrev_b64 v[26:27], v26, v[16:17]
	v_lshrrev_b32_e32 v28, 3, v25
	v_sub_u32_e32 v16, 29, v29
	v_and_b32_e32 v26, 7, v26
	v_cmp_gt_u32_e32 vcc, 8, v25
	v_mov_b32_e32 v25, 24
	v_cndmask_b32_e32 v16, v28, v16, vcc
	v_cndmask_b32_e32 v18, v18, v26, vcc
	v_lshlrev_b32_sdwa v25, v25, v11 dst_sel:DWORD dst_unused:UNUSED_PAD src0_sel:DWORD src1_sel:WORD_1
	v_bfrev_b32_e32 v26, 60
	v_lshlrev_b32_e32 v18, 20, v18
	v_and_b32_e32 v25, 0x80000000, v25
	v_lshl_add_u32 v16, v16, 23, v26
	v_or3_b32 v16, v25, v16, v18
	v_lshrrev_b32_e32 v18, 16, v16
.LBB716_542:
	s_or_b64 exec, exec, s[8:9]
.LBB716_543:
	s_or_b64 exec, exec, s[6:7]
.LBB716_544:
	s_or_b64 exec, exec, s[0:1]
	s_mov_b32 s0, -1
	s_mov_b32 s1, 0xffffff
	v_cmp_lt_u64_e32 vcc, s[0:1], v[10:11]
	s_and_saveexec_b64 s[0:1], vcc
	s_cbranch_execz .LBB716_550
; %bb.545:
	v_lshrrev_b32_e32 v10, 24, v11
	s_movk_i32 s3, 0x80
	v_cmp_ne_u32_e32 vcc, s3, v10
	v_mov_b32_e32 v17, 0xffff8000
	s_and_saveexec_b64 s[6:7], vcc
	s_cbranch_execz .LBB716_549
; %bb.546:
	v_bfe_u32 v11, v11, 24, 7
	s_movk_i32 s3, 0x7f
	v_cmp_ne_u32_e32 vcc, s3, v11
	v_mov_b32_e32 v17, 0x7f80
	s_and_saveexec_b64 s[8:9], vcc
	s_cbranch_execz .LBB716_548
; %bb.547:
	v_and_b32_e32 v25, 7, v10
	v_ffbh_u32_e32 v16, v25
	v_min_u32_e32 v27, 32, v16
	v_subrev_u32_e32 v16, 28, v27
	v_lshlrev_b64 v[16:17], v16, v[10:11]
	v_lshrrev_b32_e32 v26, 3, v11
	v_sub_u32_e32 v17, 29, v27
	v_and_b32_e32 v16, 7, v16
	v_cmp_gt_u32_e32 vcc, 8, v11
	v_cndmask_b32_e32 v11, v26, v17, vcc
	v_cndmask_b32_e32 v16, v25, v16, vcc
	v_lshlrev_b32_e32 v10, 24, v10
	v_bfrev_b32_e32 v17, 60
	v_lshlrev_b32_e32 v16, 20, v16
	v_and_b32_e32 v10, 0x80000000, v10
	v_lshl_add_u32 v11, v11, 23, v17
	v_or3_b32 v10, v10, v11, v16
	v_lshrrev_b32_e32 v17, 16, v10
.LBB716_548:
	s_or_b64 exec, exec, s[8:9]
.LBB716_549:
	s_or_b64 exec, exec, s[6:7]
.LBB716_550:
	s_or_b64 exec, exec, s[0:1]
	s_mov_b32 s0, 0x5040100
	v_perm_b32 v11, v22, v21, s0
	v_perm_b32 v10, v19, v20, s0
	;; [unrolled: 1-line block ×4, first 2 shown]
	v_mfma_f32_4x4x4bf16_1k a[0:3], v[14:15], v[10:11], a[0:3] cbsz:4 abid:4
	v_mov_b32_e32 v18, 0
	v_mfma_f32_4x4x4bf16_1k a[0:3], v[14:15], v[16:17], a[0:3] cbsz:4 abid:5
	v_mov_b32_e32 v17, 0
	v_cmp_ne_u16_sdwa s[6:7], v12, v17 src0_sel:BYTE_0 src1_sel:DWORD
	s_and_saveexec_b64 s[0:1], s[6:7]
	s_cbranch_execz .LBB716_556
; %bb.551:
	s_movk_i32 s3, 0x80
	v_cmp_ne_u16_sdwa s[8:9], v12, s3 src0_sel:BYTE_0 src1_sel:DWORD
	v_mov_b32_e32 v18, 0xffff8000
	s_and_saveexec_b64 s[6:7], s[8:9]
	s_cbranch_execz .LBB716_555
; %bb.552:
	s_movk_i32 s3, 0x7f
	v_and_b32_e32 v10, 0x7f, v12
	v_cmp_ne_u32_e32 vcc, s3, v10
	v_mov_b32_e32 v18, 0x7f80
	s_and_saveexec_b64 s[8:9], vcc
	s_cbranch_execz .LBB716_554
; %bb.553:
	v_and_b32_e32 v11, 7, v12
	v_ffbh_u32_e32 v11, v11
	v_min_u32_e32 v11, 32, v11
	v_subrev_u32_e32 v18, 28, v11
	v_cmp_gt_u32_e32 vcc, 8, v10
	v_lshrrev_b32_e32 v16, 3, v10
	v_sub_u32_e32 v11, 29, v11
	v_cndmask_b32_e32 v10, 0, v18, vcc
	v_cndmask_b32_e32 v16, v16, v11, vcc
	v_lshlrev_b64 v[10:11], v10, v[12:13]
	v_lshlrev_b32_e32 v10, 20, v10
	v_lshlrev_b32_e32 v11, 24, v12
	v_bfrev_b32_e32 v18, 60
	v_and_b32_e32 v10, 0x700000, v10
	v_and_b32_e32 v11, 0x80000000, v11
	v_lshl_add_u32 v16, v16, 23, v18
	v_or3_b32 v10, v11, v16, v10
	v_lshrrev_b32_e32 v18, 16, v10
.LBB716_554:
	s_or_b64 exec, exec, s[8:9]
.LBB716_555:
	s_or_b64 exec, exec, s[6:7]
.LBB716_556:
	s_or_b64 exec, exec, s[0:1]
	v_lshrrev_b16_e32 v10, 8, v12
	v_cmp_ne_u16_e32 vcc, 0, v10
	s_and_saveexec_b64 s[0:1], vcc
	s_cbranch_execz .LBB716_562
; %bb.557:
	s_movk_i32 s3, 0x80
	v_cmp_ne_u16_e32 vcc, s3, v10
	v_mov_b32_e32 v17, 0xffff8000
	s_and_saveexec_b64 s[6:7], vcc
	s_cbranch_execz .LBB716_561
; %bb.558:
	s_movk_i32 s3, 0x7f
	v_and_b32_e32 v11, 0x7f, v10
	v_cmp_ne_u32_e32 vcc, s3, v11
	v_mov_b32_e32 v17, 0x7f80
	s_and_saveexec_b64 s[8:9], vcc
	s_cbranch_execz .LBB716_560
; %bb.559:
	v_and_b32_e32 v19, 7, v10
	v_ffbh_u32_e32 v16, v19
	v_min_u32_e32 v21, 32, v16
	v_subrev_u32_e32 v16, 28, v21
	v_lshlrev_b64 v[16:17], v16, v[10:11]
	v_lshrrev_b32_e32 v20, 3, v11
	v_sub_u32_e32 v10, 29, v21
	v_and_b32_e32 v16, 7, v16
	v_cmp_gt_u32_e32 vcc, 8, v11
	v_cndmask_b32_e32 v10, v20, v10, vcc
	v_cndmask_b32_e32 v11, v19, v16, vcc
	v_lshlrev_b32_e32 v16, 16, v12
	v_bfrev_b32_e32 v17, 60
	v_lshlrev_b32_e32 v11, 20, v11
	v_and_b32_e32 v16, 0x80000000, v16
	v_lshl_add_u32 v10, v10, 23, v17
	v_or3_b32 v10, v16, v10, v11
	v_lshrrev_b32_e32 v17, 16, v10
.LBB716_560:
	s_or_b64 exec, exec, s[8:9]
.LBB716_561:
	s_or_b64 exec, exec, s[6:7]
.LBB716_562:
	s_or_b64 exec, exec, s[0:1]
	s_movk_i32 s0, 0xff
	v_and_b32_sdwa v16, v12, s0 dst_sel:DWORD dst_unused:UNUSED_PAD src0_sel:WORD_1 src1_sel:DWORD
	v_lshrrev_b32_e32 v10, 16, v12
	v_cmp_ne_u16_e32 vcc, 0, v16
	v_mov_b32_e32 v11, 0
	v_mov_b32_e32 v19, 0
	s_and_saveexec_b64 s[0:1], vcc
	s_cbranch_execz .LBB716_568
; %bb.563:
	s_movk_i32 s3, 0x80
	v_cmp_ne_u16_e32 vcc, s3, v16
	v_mov_b32_e32 v19, 0xffff8000
	s_and_saveexec_b64 s[6:7], vcc
	s_cbranch_execz .LBB716_567
; %bb.564:
	v_bfe_u32 v16, v12, 16, 7
	s_movk_i32 s3, 0x7f
	v_cmp_ne_u32_e32 vcc, s3, v16
	v_mov_b32_e32 v19, 0x7f80
	s_and_saveexec_b64 s[8:9], vcc
	s_cbranch_execz .LBB716_566
; %bb.565:
	v_and_b32_e32 v19, 7, v10
	v_ffbh_u32_e32 v20, v19
	v_min_u32_e32 v23, 32, v20
	v_subrev_u32_e32 v20, 28, v23
	v_lshlrev_b64 v[20:21], v20, v[10:11]
	v_and_b32_e32 v20, 7, v20
	v_cmp_gt_u32_e32 vcc, 8, v16
	v_lshrrev_b32_e32 v22, 3, v16
	v_sub_u32_e32 v10, 29, v23
	v_cndmask_b32_e32 v16, v19, v20, vcc
	v_mov_b32_e32 v19, 24
	v_cndmask_b32_e32 v10, v22, v10, vcc
	v_lshlrev_b32_sdwa v19, v19, v12 dst_sel:DWORD dst_unused:UNUSED_PAD src0_sel:DWORD src1_sel:WORD_1
	v_bfrev_b32_e32 v20, 60
	v_lshlrev_b32_e32 v16, 20, v16
	v_and_b32_e32 v19, 0x80000000, v19
	v_lshl_add_u32 v10, v10, 23, v20
	v_or3_b32 v10, v19, v10, v16
	v_lshrrev_b32_e32 v19, 16, v10
.LBB716_566:
	s_or_b64 exec, exec, s[8:9]
.LBB716_567:
	s_or_b64 exec, exec, s[6:7]
.LBB716_568:
	s_or_b64 exec, exec, s[0:1]
	s_mov_b32 s0, 0xffffff
	v_cmp_lt_u32_e32 vcc, s0, v12
	v_mov_b32_e32 v20, 0
	s_and_saveexec_b64 s[0:1], vcc
	s_cbranch_execz .LBB716_574
; %bb.569:
	v_lshrrev_b32_e32 v10, 24, v12
	s_movk_i32 s3, 0x80
	v_cmp_ne_u32_e32 vcc, s3, v10
	v_mov_b32_e32 v20, 0xffff8000
	s_and_saveexec_b64 s[6:7], vcc
	s_cbranch_execz .LBB716_573
; %bb.570:
	v_bfe_u32 v16, v12, 24, 7
	s_movk_i32 s3, 0x7f
	v_cmp_ne_u32_e32 vcc, s3, v16
	v_mov_b32_e32 v20, 0x7f80
	s_and_saveexec_b64 s[8:9], vcc
	s_cbranch_execz .LBB716_572
; %bb.571:
	v_and_b32_e32 v22, 7, v10
	v_ffbh_u32_e32 v20, v22
	v_min_u32_e32 v24, 32, v20
	v_subrev_u32_e32 v20, 28, v24
	v_lshlrev_b64 v[20:21], v20, v[10:11]
	v_lshrrev_b32_e32 v23, 3, v16
	v_sub_u32_e32 v21, 29, v24
	v_and_b32_e32 v20, 7, v20
	v_cmp_gt_u32_e32 vcc, 8, v16
	v_cndmask_b32_e32 v16, v23, v21, vcc
	v_cndmask_b32_e32 v20, v22, v20, vcc
	v_lshlrev_b32_e32 v10, 24, v10
	v_bfrev_b32_e32 v21, 60
	v_lshlrev_b32_e32 v20, 20, v20
	v_and_b32_e32 v10, 0x80000000, v10
	v_lshl_add_u32 v16, v16, 23, v21
	v_or3_b32 v10, v10, v16, v20
	v_lshrrev_b32_e32 v20, 16, v10
.LBB716_572:
	s_or_b64 exec, exec, s[8:9]
.LBB716_573:
	s_or_b64 exec, exec, s[6:7]
.LBB716_574:
	s_or_b64 exec, exec, s[0:1]
	v_mov_b32_e32 v21, 0
	v_mov_b32_e32 v10, v13
	v_cmp_ne_u16_sdwa s[6:7], v13, v21 src0_sel:BYTE_0 src1_sel:DWORD
	v_mov_b32_e32 v22, 0
	s_and_saveexec_b64 s[0:1], s[6:7]
	s_cbranch_execz .LBB716_580
; %bb.575:
	s_movk_i32 s3, 0x80
	v_cmp_ne_u16_sdwa s[8:9], v13, s3 src0_sel:BYTE_0 src1_sel:DWORD
	v_mov_b32_e32 v22, 0xffff8000
	s_and_saveexec_b64 s[6:7], s[8:9]
	s_cbranch_execz .LBB716_579
; %bb.576:
	s_movk_i32 s3, 0x7f
	v_and_b32_e32 v16, 0x7f, v13
	v_cmp_ne_u32_e32 vcc, s3, v16
	v_mov_b32_e32 v22, 0x7f80
	s_and_saveexec_b64 s[8:9], vcc
	s_cbranch_execz .LBB716_578
; %bb.577:
	v_and_b32_e32 v22, 7, v13
	v_ffbh_u32_e32 v22, v22
	v_min_u32_e32 v22, 32, v22
	v_lshrrev_b32_e32 v23, 3, v16
	v_subrev_u32_e32 v24, 28, v22
	v_sub_u32_e32 v22, 29, v22
	v_cmp_gt_u32_e32 vcc, 8, v16
	v_cndmask_b32_e32 v16, v23, v22, vcc
	v_cndmask_b32_e32 v22, 0, v24, vcc
	v_lshlrev_b64 v[22:23], v22, v[10:11]
	v_lshlrev_b32_e32 v11, 20, v22
	v_lshlrev_b32_e32 v22, 24, v10
	v_bfrev_b32_e32 v23, 60
	v_and_b32_e32 v11, 0x700000, v11
	v_and_b32_e32 v22, 0x80000000, v22
	v_lshl_add_u32 v16, v16, 23, v23
	v_or3_b32 v11, v22, v16, v11
	v_lshrrev_b32_e32 v22, 16, v11
.LBB716_578:
	s_or_b64 exec, exec, s[8:9]
.LBB716_579:
	s_or_b64 exec, exec, s[6:7]
.LBB716_580:
	s_or_b64 exec, exec, s[0:1]
	v_lshrrev_b16_e32 v16, 8, v10
	v_cmp_ne_u16_e32 vcc, 0, v16
	s_and_saveexec_b64 s[0:1], vcc
	s_cbranch_execz .LBB716_586
; %bb.581:
	s_movk_i32 s3, 0x80
	v_cmp_ne_u16_e32 vcc, s3, v16
	v_mov_b32_e32 v21, 0xffff8000
	s_and_saveexec_b64 s[6:7], vcc
	s_cbranch_execz .LBB716_585
; %bb.582:
	s_movk_i32 s3, 0x7f
	v_and_b32_e32 v11, 0x7f, v16
	v_cmp_ne_u32_e32 vcc, s3, v11
	v_mov_b32_e32 v21, 0x7f80
	s_and_saveexec_b64 s[8:9], vcc
	s_cbranch_execz .LBB716_584
; %bb.583:
	v_and_b32_e32 v21, 7, v16
	v_ffbh_u32_e32 v24, v21
	v_min_u32_e32 v26, 32, v24
	v_subrev_u32_e32 v24, 28, v26
	v_lshlrev_b64 v[24:25], v24, v[16:17]
	v_lshrrev_b32_e32 v23, 3, v11
	v_sub_u32_e32 v16, 29, v26
	v_and_b32_e32 v24, 7, v24
	v_cmp_gt_u32_e32 vcc, 8, v11
	v_cndmask_b32_e32 v11, v23, v16, vcc
	v_cndmask_b32_e32 v16, v21, v24, vcc
	v_lshlrev_b32_e32 v10, 16, v10
	v_bfrev_b32_e32 v21, 60
	v_lshlrev_b32_e32 v16, 20, v16
	v_and_b32_e32 v10, 0x80000000, v10
	v_lshl_add_u32 v11, v11, 23, v21
	v_or3_b32 v10, v10, v11, v16
	v_lshrrev_b32_e32 v21, 16, v10
.LBB716_584:
	s_or_b64 exec, exec, s[8:9]
.LBB716_585:
	s_or_b64 exec, exec, s[6:7]
.LBB716_586:
	s_or_b64 exec, exec, s[0:1]
	s_movk_i32 s0, 0xff
	v_and_b32_sdwa v23, v13, s0 dst_sel:DWORD dst_unused:UNUSED_PAD src0_sel:WORD_1 src1_sel:DWORD
	v_lshrrev_b32_e32 v10, 16, v13
	v_cmp_ne_u16_e32 vcc, 0, v23
	v_mov_b32_e32 v11, 0
	v_mov_b32_e32 v16, 0
	s_and_saveexec_b64 s[0:1], vcc
	s_cbranch_execz .LBB716_592
; %bb.587:
	s_movk_i32 s3, 0x80
	v_cmp_ne_u16_e32 vcc, s3, v23
	v_mov_b32_e32 v16, 0xffff8000
	s_and_saveexec_b64 s[6:7], vcc
	s_cbranch_execz .LBB716_591
; %bb.588:
	v_bfe_u32 v23, v13, 16, 7
	s_movk_i32 s3, 0x7f
	v_cmp_ne_u32_e32 vcc, s3, v23
	v_mov_b32_e32 v16, 0x7f80
	s_and_saveexec_b64 s[8:9], vcc
	s_cbranch_execz .LBB716_590
; %bb.589:
	v_and_b32_e32 v16, 7, v10
	v_ffbh_u32_e32 v24, v16
	v_min_u32_e32 v27, 32, v24
	v_subrev_u32_e32 v24, 28, v27
	v_lshlrev_b64 v[24:25], v24, v[10:11]
	v_lshrrev_b32_e32 v26, 3, v23
	v_sub_u32_e32 v10, 29, v27
	v_and_b32_e32 v24, 7, v24
	v_cmp_gt_u32_e32 vcc, 8, v23
	v_mov_b32_e32 v23, 24
	v_cndmask_b32_e32 v10, v26, v10, vcc
	v_cndmask_b32_e32 v16, v16, v24, vcc
	v_lshlrev_b32_sdwa v23, v23, v13 dst_sel:DWORD dst_unused:UNUSED_PAD src0_sel:DWORD src1_sel:WORD_1
	v_bfrev_b32_e32 v24, 60
	v_lshlrev_b32_e32 v16, 20, v16
	v_and_b32_e32 v23, 0x80000000, v23
	v_lshl_add_u32 v10, v10, 23, v24
	v_or3_b32 v10, v23, v10, v16
	v_lshrrev_b32_e32 v16, 16, v10
.LBB716_590:
	s_or_b64 exec, exec, s[8:9]
.LBB716_591:
	s_or_b64 exec, exec, s[6:7]
.LBB716_592:
	s_or_b64 exec, exec, s[0:1]
	s_mov_b32 s0, -1
	s_mov_b32 s1, 0xffffff
	v_cmp_lt_u64_e32 vcc, s[0:1], v[12:13]
	s_and_saveexec_b64 s[0:1], vcc
	s_cbranch_execz .LBB716_598
; %bb.593:
	v_lshrrev_b32_e32 v10, 24, v13
	s_movk_i32 s3, 0x80
	v_cmp_ne_u32_e32 vcc, s3, v10
	v_mov_b32_e32 v11, 0xffff8000
	s_and_saveexec_b64 s[6:7], vcc
	s_cbranch_execz .LBB716_597
; %bb.594:
	v_bfe_u32 v12, v13, 24, 7
	s_movk_i32 s3, 0x7f
	v_cmp_ne_u32_e32 vcc, s3, v12
	v_mov_b32_e32 v11, 0x7f80
	s_and_saveexec_b64 s[8:9], vcc
	s_cbranch_execz .LBB716_596
; %bb.595:
	v_and_b32_e32 v11, 7, v10
	v_ffbh_u32_e32 v23, v11
	v_min_u32_e32 v23, 32, v23
	v_subrev_u32_e32 v24, 28, v23
	v_lshlrev_b64 v[24:25], v24, v[10:11]
	v_lshrrev_b32_e32 v13, 3, v12
	v_sub_u32_e32 v23, 29, v23
	v_and_b32_e32 v24, 7, v24
	v_cmp_gt_u32_e32 vcc, 8, v12
	v_cndmask_b32_e32 v12, v13, v23, vcc
	v_cndmask_b32_e32 v11, v11, v24, vcc
	v_lshlrev_b32_e32 v10, 24, v10
	v_bfrev_b32_e32 v13, 60
	v_lshlrev_b32_e32 v11, 20, v11
	v_and_b32_e32 v10, 0x80000000, v10
	v_lshl_add_u32 v12, v12, 23, v13
	v_or3_b32 v10, v10, v12, v11
	v_lshrrev_b32_e32 v11, 16, v10
.LBB716_596:
	s_or_b64 exec, exec, s[8:9]
.LBB716_597:
	s_or_b64 exec, exec, s[6:7]
.LBB716_598:
	s_or_b64 exec, exec, s[0:1]
	s_mov_b32 s0, 0x5040100
	v_perm_b32 v13, v20, v19, s0
	v_perm_b32 v12, v17, v18, s0
	;; [unrolled: 1-line block ×4, first 2 shown]
	v_mfma_f32_4x4x4bf16_1k a[0:3], v[14:15], v[12:13], a[0:3] cbsz:4 abid:6
	v_mov_b32_e32 v13, 0
	v_mfma_f32_4x4x4bf16_1k a[0:3], v[14:15], v[10:11], a[0:3] cbsz:4 abid:7
	s_waitcnt vmcnt(0)
	v_cmp_ne_u16_sdwa s[6:7], v6, v13 src0_sel:BYTE_0 src1_sel:DWORD
	v_mov_b32_e32 v16, 0
	s_and_saveexec_b64 s[0:1], s[6:7]
	s_cbranch_execz .LBB716_604
; %bb.599:
	s_movk_i32 s3, 0x80
	v_cmp_ne_u16_sdwa s[8:9], v6, s3 src0_sel:BYTE_0 src1_sel:DWORD
	v_mov_b32_e32 v16, 0xffff8000
	s_and_saveexec_b64 s[6:7], s[8:9]
	s_cbranch_execz .LBB716_603
; %bb.600:
	s_movk_i32 s3, 0x7f
	v_and_b32_e32 v10, 0x7f, v6
	v_cmp_ne_u32_e32 vcc, s3, v10
	v_mov_b32_e32 v16, 0x7f80
	s_and_saveexec_b64 s[8:9], vcc
	s_cbranch_execz .LBB716_602
; %bb.601:
	v_and_b32_e32 v11, 7, v6
	v_ffbh_u32_e32 v11, v11
	v_min_u32_e32 v11, 32, v11
	v_subrev_u32_e32 v16, 28, v11
	v_cmp_gt_u32_e32 vcc, 8, v10
	v_lshrrev_b32_e32 v12, 3, v10
	v_sub_u32_e32 v11, 29, v11
	v_cndmask_b32_e32 v10, 0, v16, vcc
	v_cndmask_b32_e32 v12, v12, v11, vcc
	v_lshlrev_b64 v[10:11], v10, v[6:7]
	v_lshlrev_b32_e32 v10, 20, v10
	v_lshlrev_b32_e32 v11, 24, v6
	v_bfrev_b32_e32 v16, 60
	v_and_b32_e32 v10, 0x700000, v10
	v_and_b32_e32 v11, 0x80000000, v11
	v_lshl_add_u32 v12, v12, 23, v16
	v_or3_b32 v10, v11, v12, v10
	v_lshrrev_b32_e32 v16, 16, v10
.LBB716_602:
	s_or_b64 exec, exec, s[8:9]
.LBB716_603:
	s_or_b64 exec, exec, s[6:7]
.LBB716_604:
	s_or_b64 exec, exec, s[0:1]
	v_lshrrev_b16_e32 v10, 8, v6
	v_cmp_ne_u16_e32 vcc, 0, v10
	s_and_saveexec_b64 s[0:1], vcc
	s_cbranch_execz .LBB716_610
; %bb.605:
	s_movk_i32 s3, 0x80
	v_cmp_ne_u16_e32 vcc, s3, v10
	v_mov_b32_e32 v13, 0xffff8000
	s_and_saveexec_b64 s[6:7], vcc
	s_cbranch_execz .LBB716_609
; %bb.606:
	s_movk_i32 s3, 0x7f
	v_and_b32_e32 v11, 0x7f, v10
	v_cmp_ne_u32_e32 vcc, s3, v11
	v_mov_b32_e32 v13, 0x7f80
	s_and_saveexec_b64 s[8:9], vcc
	s_cbranch_execz .LBB716_608
; %bb.607:
	v_and_b32_e32 v17, 7, v10
	v_ffbh_u32_e32 v12, v17
	v_min_u32_e32 v19, 32, v12
	v_subrev_u32_e32 v12, 28, v19
	v_lshlrev_b64 v[12:13], v12, v[10:11]
	v_lshrrev_b32_e32 v18, 3, v11
	v_sub_u32_e32 v10, 29, v19
	v_and_b32_e32 v12, 7, v12
	v_cmp_gt_u32_e32 vcc, 8, v11
	v_cndmask_b32_e32 v10, v18, v10, vcc
	v_cndmask_b32_e32 v11, v17, v12, vcc
	v_lshlrev_b32_e32 v12, 16, v6
	v_bfrev_b32_e32 v13, 60
	v_lshlrev_b32_e32 v11, 20, v11
	v_and_b32_e32 v12, 0x80000000, v12
	v_lshl_add_u32 v10, v10, 23, v13
	v_or3_b32 v10, v12, v10, v11
	v_lshrrev_b32_e32 v13, 16, v10
.LBB716_608:
	s_or_b64 exec, exec, s[8:9]
.LBB716_609:
	s_or_b64 exec, exec, s[6:7]
.LBB716_610:
	s_or_b64 exec, exec, s[0:1]
	s_movk_i32 s0, 0xff
	v_and_b32_sdwa v12, v6, s0 dst_sel:DWORD dst_unused:UNUSED_PAD src0_sel:WORD_1 src1_sel:DWORD
	v_lshrrev_b32_e32 v10, 16, v6
	v_cmp_ne_u16_e32 vcc, 0, v12
	v_mov_b32_e32 v11, 0
	v_mov_b32_e32 v17, 0
	s_and_saveexec_b64 s[0:1], vcc
	s_cbranch_execz .LBB716_616
; %bb.611:
	s_movk_i32 s3, 0x80
	v_cmp_ne_u16_e32 vcc, s3, v12
	v_mov_b32_e32 v17, 0xffff8000
	s_and_saveexec_b64 s[6:7], vcc
	s_cbranch_execz .LBB716_615
; %bb.612:
	v_bfe_u32 v12, v6, 16, 7
	s_movk_i32 s3, 0x7f
	v_cmp_ne_u32_e32 vcc, s3, v12
	v_mov_b32_e32 v17, 0x7f80
	s_and_saveexec_b64 s[8:9], vcc
	s_cbranch_execz .LBB716_614
; %bb.613:
	v_and_b32_e32 v17, 7, v10
	v_ffbh_u32_e32 v18, v17
	v_min_u32_e32 v21, 32, v18
	v_subrev_u32_e32 v18, 28, v21
	v_lshlrev_b64 v[18:19], v18, v[10:11]
	v_and_b32_e32 v18, 7, v18
	v_cmp_gt_u32_e32 vcc, 8, v12
	v_lshrrev_b32_e32 v20, 3, v12
	v_sub_u32_e32 v10, 29, v21
	v_cndmask_b32_e32 v12, v17, v18, vcc
	v_mov_b32_e32 v17, 24
	v_cndmask_b32_e32 v10, v20, v10, vcc
	v_lshlrev_b32_sdwa v17, v17, v6 dst_sel:DWORD dst_unused:UNUSED_PAD src0_sel:DWORD src1_sel:WORD_1
	v_bfrev_b32_e32 v18, 60
	v_lshlrev_b32_e32 v12, 20, v12
	v_and_b32_e32 v17, 0x80000000, v17
	v_lshl_add_u32 v10, v10, 23, v18
	v_or3_b32 v10, v17, v10, v12
	v_lshrrev_b32_e32 v17, 16, v10
.LBB716_614:
	s_or_b64 exec, exec, s[8:9]
.LBB716_615:
	s_or_b64 exec, exec, s[6:7]
.LBB716_616:
	s_or_b64 exec, exec, s[0:1]
	s_mov_b32 s0, 0xffffff
	v_cmp_lt_u32_e32 vcc, s0, v6
	v_mov_b32_e32 v18, 0
	s_and_saveexec_b64 s[0:1], vcc
	s_cbranch_execz .LBB716_622
; %bb.617:
	v_lshrrev_b32_e32 v10, 24, v6
	s_movk_i32 s3, 0x80
	v_cmp_ne_u32_e32 vcc, s3, v10
	v_mov_b32_e32 v18, 0xffff8000
	s_and_saveexec_b64 s[6:7], vcc
	s_cbranch_execz .LBB716_621
; %bb.618:
	v_bfe_u32 v12, v6, 24, 7
	s_movk_i32 s3, 0x7f
	v_cmp_ne_u32_e32 vcc, s3, v12
	v_mov_b32_e32 v18, 0x7f80
	s_and_saveexec_b64 s[8:9], vcc
	s_cbranch_execz .LBB716_620
; %bb.619:
	v_and_b32_e32 v20, 7, v10
	v_ffbh_u32_e32 v18, v20
	v_min_u32_e32 v22, 32, v18
	v_subrev_u32_e32 v18, 28, v22
	v_lshlrev_b64 v[18:19], v18, v[10:11]
	v_lshrrev_b32_e32 v21, 3, v12
	v_sub_u32_e32 v19, 29, v22
	v_and_b32_e32 v18, 7, v18
	v_cmp_gt_u32_e32 vcc, 8, v12
	v_cndmask_b32_e32 v12, v21, v19, vcc
	v_cndmask_b32_e32 v18, v20, v18, vcc
	v_lshlrev_b32_e32 v10, 24, v10
	v_bfrev_b32_e32 v19, 60
	v_lshlrev_b32_e32 v18, 20, v18
	v_and_b32_e32 v10, 0x80000000, v10
	v_lshl_add_u32 v12, v12, 23, v19
	v_or3_b32 v10, v10, v12, v18
	v_lshrrev_b32_e32 v18, 16, v10
.LBB716_620:
	s_or_b64 exec, exec, s[8:9]
.LBB716_621:
	s_or_b64 exec, exec, s[6:7]
.LBB716_622:
	s_or_b64 exec, exec, s[0:1]
	v_mov_b32_e32 v19, 0
	v_mov_b32_e32 v10, v7
	v_cmp_ne_u16_sdwa s[6:7], v7, v19 src0_sel:BYTE_0 src1_sel:DWORD
	v_mov_b32_e32 v20, 0
	s_and_saveexec_b64 s[0:1], s[6:7]
	s_cbranch_execz .LBB716_628
; %bb.623:
	s_movk_i32 s3, 0x80
	v_cmp_ne_u16_sdwa s[8:9], v7, s3 src0_sel:BYTE_0 src1_sel:DWORD
	v_mov_b32_e32 v20, 0xffff8000
	s_and_saveexec_b64 s[6:7], s[8:9]
	s_cbranch_execz .LBB716_627
; %bb.624:
	s_movk_i32 s3, 0x7f
	v_and_b32_e32 v12, 0x7f, v7
	v_cmp_ne_u32_e32 vcc, s3, v12
	v_mov_b32_e32 v20, 0x7f80
	s_and_saveexec_b64 s[8:9], vcc
	s_cbranch_execz .LBB716_626
; %bb.625:
	v_and_b32_e32 v20, 7, v7
	v_ffbh_u32_e32 v20, v20
	v_min_u32_e32 v20, 32, v20
	v_lshrrev_b32_e32 v21, 3, v12
	v_subrev_u32_e32 v22, 28, v20
	v_sub_u32_e32 v20, 29, v20
	v_cmp_gt_u32_e32 vcc, 8, v12
	v_cndmask_b32_e32 v12, v21, v20, vcc
	v_cndmask_b32_e32 v20, 0, v22, vcc
	v_lshlrev_b64 v[20:21], v20, v[10:11]
	v_lshlrev_b32_e32 v11, 20, v20
	v_lshlrev_b32_e32 v20, 24, v10
	v_bfrev_b32_e32 v21, 60
	v_and_b32_e32 v11, 0x700000, v11
	v_and_b32_e32 v20, 0x80000000, v20
	v_lshl_add_u32 v12, v12, 23, v21
	v_or3_b32 v11, v20, v12, v11
	v_lshrrev_b32_e32 v20, 16, v11
.LBB716_626:
	s_or_b64 exec, exec, s[8:9]
.LBB716_627:
	s_or_b64 exec, exec, s[6:7]
.LBB716_628:
	s_or_b64 exec, exec, s[0:1]
	v_lshrrev_b16_e32 v12, 8, v10
	v_cmp_ne_u16_e32 vcc, 0, v12
	s_and_saveexec_b64 s[0:1], vcc
	s_cbranch_execz .LBB716_634
; %bb.629:
	s_movk_i32 s3, 0x80
	v_cmp_ne_u16_e32 vcc, s3, v12
	v_mov_b32_e32 v19, 0xffff8000
	s_and_saveexec_b64 s[6:7], vcc
	s_cbranch_execz .LBB716_633
; %bb.630:
	s_movk_i32 s3, 0x7f
	v_and_b32_e32 v11, 0x7f, v12
	v_cmp_ne_u32_e32 vcc, s3, v11
	v_mov_b32_e32 v19, 0x7f80
	s_and_saveexec_b64 s[8:9], vcc
	s_cbranch_execz .LBB716_632
; %bb.631:
	v_and_b32_e32 v19, 7, v12
	v_ffbh_u32_e32 v22, v19
	v_min_u32_e32 v24, 32, v22
	v_subrev_u32_e32 v22, 28, v24
	v_lshlrev_b64 v[22:23], v22, v[12:13]
	v_lshrrev_b32_e32 v21, 3, v11
	v_sub_u32_e32 v12, 29, v24
	v_and_b32_e32 v22, 7, v22
	v_cmp_gt_u32_e32 vcc, 8, v11
	v_cndmask_b32_e32 v11, v21, v12, vcc
	v_cndmask_b32_e32 v12, v19, v22, vcc
	v_lshlrev_b32_e32 v10, 16, v10
	v_bfrev_b32_e32 v19, 60
	v_lshlrev_b32_e32 v12, 20, v12
	v_and_b32_e32 v10, 0x80000000, v10
	v_lshl_add_u32 v11, v11, 23, v19
	v_or3_b32 v10, v10, v11, v12
	v_lshrrev_b32_e32 v19, 16, v10
.LBB716_632:
	s_or_b64 exec, exec, s[8:9]
.LBB716_633:
	s_or_b64 exec, exec, s[6:7]
.LBB716_634:
	s_or_b64 exec, exec, s[0:1]
	s_movk_i32 s0, 0xff
	v_and_b32_sdwa v21, v7, s0 dst_sel:DWORD dst_unused:UNUSED_PAD src0_sel:WORD_1 src1_sel:DWORD
	v_lshrrev_b32_e32 v10, 16, v7
	v_cmp_ne_u16_e32 vcc, 0, v21
	v_mov_b32_e32 v11, 0
	v_mov_b32_e32 v12, 0
	s_and_saveexec_b64 s[0:1], vcc
	s_cbranch_execz .LBB716_640
; %bb.635:
	s_movk_i32 s3, 0x80
	v_cmp_ne_u16_e32 vcc, s3, v21
	v_mov_b32_e32 v12, 0xffff8000
	s_and_saveexec_b64 s[6:7], vcc
	s_cbranch_execz .LBB716_639
; %bb.636:
	v_bfe_u32 v21, v7, 16, 7
	s_movk_i32 s3, 0x7f
	v_cmp_ne_u32_e32 vcc, s3, v21
	v_mov_b32_e32 v12, 0x7f80
	s_and_saveexec_b64 s[8:9], vcc
	s_cbranch_execz .LBB716_638
; %bb.637:
	v_and_b32_e32 v12, 7, v10
	v_ffbh_u32_e32 v22, v12
	v_min_u32_e32 v25, 32, v22
	v_subrev_u32_e32 v22, 28, v25
	v_lshlrev_b64 v[22:23], v22, v[10:11]
	v_lshrrev_b32_e32 v24, 3, v21
	v_sub_u32_e32 v10, 29, v25
	v_and_b32_e32 v22, 7, v22
	v_cmp_gt_u32_e32 vcc, 8, v21
	v_mov_b32_e32 v21, 24
	v_cndmask_b32_e32 v10, v24, v10, vcc
	v_cndmask_b32_e32 v12, v12, v22, vcc
	v_lshlrev_b32_sdwa v21, v21, v7 dst_sel:DWORD dst_unused:UNUSED_PAD src0_sel:DWORD src1_sel:WORD_1
	v_bfrev_b32_e32 v22, 60
	v_lshlrev_b32_e32 v12, 20, v12
	v_and_b32_e32 v21, 0x80000000, v21
	v_lshl_add_u32 v10, v10, 23, v22
	v_or3_b32 v10, v21, v10, v12
	v_lshrrev_b32_e32 v12, 16, v10
.LBB716_638:
	s_or_b64 exec, exec, s[8:9]
.LBB716_639:
	s_or_b64 exec, exec, s[6:7]
.LBB716_640:
	s_or_b64 exec, exec, s[0:1]
	s_mov_b32 s0, -1
	s_mov_b32 s1, 0xffffff
	v_cmp_lt_u64_e32 vcc, s[0:1], v[6:7]
	s_and_saveexec_b64 s[0:1], vcc
	s_cbranch_execz .LBB716_646
; %bb.641:
	v_lshrrev_b32_e32 v6, 24, v7
	s_movk_i32 s3, 0x80
	v_cmp_ne_u32_e32 vcc, s3, v6
	v_mov_b32_e32 v11, 0xffff8000
	s_and_saveexec_b64 s[6:7], vcc
	s_cbranch_execz .LBB716_645
; %bb.642:
	v_bfe_u32 v7, v7, 24, 7
	s_movk_i32 s3, 0x7f
	v_cmp_ne_u32_e32 vcc, s3, v7
	v_mov_b32_e32 v11, 0x7f80
	s_and_saveexec_b64 s[8:9], vcc
	s_cbranch_execz .LBB716_644
; %bb.643:
	v_and_b32_e32 v21, 7, v6
	v_ffbh_u32_e32 v10, v21
	v_min_u32_e32 v23, 32, v10
	v_subrev_u32_e32 v10, 28, v23
	v_lshlrev_b64 v[10:11], v10, v[6:7]
	v_lshrrev_b32_e32 v22, 3, v7
	v_sub_u32_e32 v11, 29, v23
	v_and_b32_e32 v10, 7, v10
	v_cmp_gt_u32_e32 vcc, 8, v7
	v_cndmask_b32_e32 v7, v22, v11, vcc
	v_cndmask_b32_e32 v10, v21, v10, vcc
	v_lshlrev_b32_e32 v6, 24, v6
	v_bfrev_b32_e32 v11, 60
	v_lshlrev_b32_e32 v10, 20, v10
	v_and_b32_e32 v6, 0x80000000, v6
	v_lshl_add_u32 v7, v7, 23, v11
	v_or3_b32 v6, v6, v7, v10
	v_lshrrev_b32_e32 v11, 16, v6
.LBB716_644:
	s_or_b64 exec, exec, s[8:9]
.LBB716_645:
	s_or_b64 exec, exec, s[6:7]
.LBB716_646:
	s_or_b64 exec, exec, s[0:1]
	s_mov_b32 s0, 0x5040100
	v_perm_b32 v7, v18, v17, s0
	v_perm_b32 v6, v13, v16, s0
	;; [unrolled: 1-line block ×4, first 2 shown]
	v_mfma_f32_4x4x4bf16_1k a[0:3], v[14:15], v[6:7], a[0:3] cbsz:4 abid:8
	v_mov_b32_e32 v12, 0
	v_mfma_f32_4x4x4bf16_1k a[0:3], v[14:15], v[10:11], a[0:3] cbsz:4 abid:9
	v_mov_b32_e32 v11, 0
	v_cmp_ne_u16_sdwa s[6:7], v8, v11 src0_sel:BYTE_0 src1_sel:DWORD
	s_and_saveexec_b64 s[0:1], s[6:7]
	s_cbranch_execz .LBB716_652
; %bb.647:
	s_movk_i32 s3, 0x80
	v_cmp_ne_u16_sdwa s[8:9], v8, s3 src0_sel:BYTE_0 src1_sel:DWORD
	v_mov_b32_e32 v12, 0xffff8000
	s_and_saveexec_b64 s[6:7], s[8:9]
	s_cbranch_execz .LBB716_651
; %bb.648:
	s_movk_i32 s3, 0x7f
	v_and_b32_e32 v6, 0x7f, v8
	v_cmp_ne_u32_e32 vcc, s3, v6
	v_mov_b32_e32 v12, 0x7f80
	s_and_saveexec_b64 s[8:9], vcc
	s_cbranch_execz .LBB716_650
; %bb.649:
	v_and_b32_e32 v7, 7, v8
	v_ffbh_u32_e32 v7, v7
	v_min_u32_e32 v7, 32, v7
	v_subrev_u32_e32 v12, 28, v7
	v_cmp_gt_u32_e32 vcc, 8, v6
	v_lshrrev_b32_e32 v10, 3, v6
	v_sub_u32_e32 v7, 29, v7
	v_cndmask_b32_e32 v6, 0, v12, vcc
	v_cndmask_b32_e32 v10, v10, v7, vcc
	v_lshlrev_b64 v[6:7], v6, v[8:9]
	v_lshlrev_b32_e32 v6, 20, v6
	v_lshlrev_b32_e32 v7, 24, v8
	v_bfrev_b32_e32 v12, 60
	v_and_b32_e32 v6, 0x700000, v6
	v_and_b32_e32 v7, 0x80000000, v7
	v_lshl_add_u32 v10, v10, 23, v12
	v_or3_b32 v6, v7, v10, v6
	v_lshrrev_b32_e32 v12, 16, v6
.LBB716_650:
	s_or_b64 exec, exec, s[8:9]
.LBB716_651:
	s_or_b64 exec, exec, s[6:7]
.LBB716_652:
	s_or_b64 exec, exec, s[0:1]
	v_lshrrev_b16_e32 v6, 8, v8
	v_cmp_ne_u16_e32 vcc, 0, v6
	s_and_saveexec_b64 s[0:1], vcc
	s_cbranch_execz .LBB716_658
; %bb.653:
	s_movk_i32 s3, 0x80
	v_cmp_ne_u16_e32 vcc, s3, v6
	v_mov_b32_e32 v11, 0xffff8000
	s_and_saveexec_b64 s[6:7], vcc
	s_cbranch_execz .LBB716_657
; %bb.654:
	s_movk_i32 s3, 0x7f
	v_and_b32_e32 v7, 0x7f, v6
	v_cmp_ne_u32_e32 vcc, s3, v7
	v_mov_b32_e32 v11, 0x7f80
	s_and_saveexec_b64 s[8:9], vcc
	s_cbranch_execz .LBB716_656
; %bb.655:
	v_and_b32_e32 v13, 7, v6
	v_ffbh_u32_e32 v10, v13
	v_min_u32_e32 v17, 32, v10
	v_subrev_u32_e32 v10, 28, v17
	v_lshlrev_b64 v[10:11], v10, v[6:7]
	v_lshrrev_b32_e32 v16, 3, v7
	v_sub_u32_e32 v6, 29, v17
	v_and_b32_e32 v10, 7, v10
	v_cmp_gt_u32_e32 vcc, 8, v7
	v_cndmask_b32_e32 v6, v16, v6, vcc
	v_cndmask_b32_e32 v7, v13, v10, vcc
	v_lshlrev_b32_e32 v10, 16, v8
	v_bfrev_b32_e32 v11, 60
	v_lshlrev_b32_e32 v7, 20, v7
	v_and_b32_e32 v10, 0x80000000, v10
	v_lshl_add_u32 v6, v6, 23, v11
	v_or3_b32 v6, v10, v6, v7
	v_lshrrev_b32_e32 v11, 16, v6
.LBB716_656:
	s_or_b64 exec, exec, s[8:9]
.LBB716_657:
	s_or_b64 exec, exec, s[6:7]
.LBB716_658:
	s_or_b64 exec, exec, s[0:1]
	s_movk_i32 s0, 0xff
	v_and_b32_sdwa v10, v8, s0 dst_sel:DWORD dst_unused:UNUSED_PAD src0_sel:WORD_1 src1_sel:DWORD
	v_lshrrev_b32_e32 v6, 16, v8
	v_cmp_ne_u16_e32 vcc, 0, v10
	v_mov_b32_e32 v7, 0
	v_mov_b32_e32 v13, 0
	s_and_saveexec_b64 s[0:1], vcc
	s_cbranch_execz .LBB716_664
; %bb.659:
	s_movk_i32 s3, 0x80
	v_cmp_ne_u16_e32 vcc, s3, v10
	v_mov_b32_e32 v13, 0xffff8000
	s_and_saveexec_b64 s[6:7], vcc
	s_cbranch_execz .LBB716_663
; %bb.660:
	v_bfe_u32 v10, v8, 16, 7
	s_movk_i32 s3, 0x7f
	v_cmp_ne_u32_e32 vcc, s3, v10
	v_mov_b32_e32 v13, 0x7f80
	s_and_saveexec_b64 s[8:9], vcc
	s_cbranch_execz .LBB716_662
; %bb.661:
	v_and_b32_e32 v13, 7, v6
	v_ffbh_u32_e32 v16, v13
	v_min_u32_e32 v19, 32, v16
	v_subrev_u32_e32 v16, 28, v19
	v_lshlrev_b64 v[16:17], v16, v[6:7]
	v_and_b32_e32 v16, 7, v16
	v_cmp_gt_u32_e32 vcc, 8, v10
	v_lshrrev_b32_e32 v18, 3, v10
	v_sub_u32_e32 v6, 29, v19
	v_cndmask_b32_e32 v10, v13, v16, vcc
	v_mov_b32_e32 v13, 24
	v_cndmask_b32_e32 v6, v18, v6, vcc
	v_lshlrev_b32_sdwa v13, v13, v8 dst_sel:DWORD dst_unused:UNUSED_PAD src0_sel:DWORD src1_sel:WORD_1
	v_bfrev_b32_e32 v16, 60
	v_lshlrev_b32_e32 v10, 20, v10
	v_and_b32_e32 v13, 0x80000000, v13
	v_lshl_add_u32 v6, v6, 23, v16
	v_or3_b32 v6, v13, v6, v10
	v_lshrrev_b32_e32 v13, 16, v6
.LBB716_662:
	s_or_b64 exec, exec, s[8:9]
.LBB716_663:
	s_or_b64 exec, exec, s[6:7]
.LBB716_664:
	s_or_b64 exec, exec, s[0:1]
	s_mov_b32 s0, 0xffffff
	v_cmp_lt_u32_e32 vcc, s0, v8
	v_mov_b32_e32 v16, 0
	s_and_saveexec_b64 s[0:1], vcc
	s_cbranch_execz .LBB716_670
; %bb.665:
	v_lshrrev_b32_e32 v6, 24, v8
	s_movk_i32 s3, 0x80
	v_cmp_ne_u32_e32 vcc, s3, v6
	v_mov_b32_e32 v16, 0xffff8000
	s_and_saveexec_b64 s[6:7], vcc
	s_cbranch_execz .LBB716_669
; %bb.666:
	v_bfe_u32 v10, v8, 24, 7
	s_movk_i32 s3, 0x7f
	v_cmp_ne_u32_e32 vcc, s3, v10
	v_mov_b32_e32 v16, 0x7f80
	s_and_saveexec_b64 s[8:9], vcc
	s_cbranch_execz .LBB716_668
; %bb.667:
	v_and_b32_e32 v18, 7, v6
	v_ffbh_u32_e32 v16, v18
	v_min_u32_e32 v20, 32, v16
	v_subrev_u32_e32 v16, 28, v20
	v_lshlrev_b64 v[16:17], v16, v[6:7]
	v_lshrrev_b32_e32 v19, 3, v10
	v_sub_u32_e32 v17, 29, v20
	v_and_b32_e32 v16, 7, v16
	v_cmp_gt_u32_e32 vcc, 8, v10
	v_cndmask_b32_e32 v10, v19, v17, vcc
	v_cndmask_b32_e32 v16, v18, v16, vcc
	v_lshlrev_b32_e32 v6, 24, v6
	v_bfrev_b32_e32 v17, 60
	v_lshlrev_b32_e32 v16, 20, v16
	v_and_b32_e32 v6, 0x80000000, v6
	v_lshl_add_u32 v10, v10, 23, v17
	v_or3_b32 v6, v6, v10, v16
	v_lshrrev_b32_e32 v16, 16, v6
.LBB716_668:
	s_or_b64 exec, exec, s[8:9]
.LBB716_669:
	s_or_b64 exec, exec, s[6:7]
.LBB716_670:
	s_or_b64 exec, exec, s[0:1]
	v_mov_b32_e32 v17, 0
	v_mov_b32_e32 v6, v9
	v_cmp_ne_u16_sdwa s[6:7], v9, v17 src0_sel:BYTE_0 src1_sel:DWORD
	v_mov_b32_e32 v18, 0
	s_and_saveexec_b64 s[0:1], s[6:7]
	s_cbranch_execz .LBB716_676
; %bb.671:
	s_movk_i32 s3, 0x80
	v_cmp_ne_u16_sdwa s[8:9], v9, s3 src0_sel:BYTE_0 src1_sel:DWORD
	v_mov_b32_e32 v18, 0xffff8000
	s_and_saveexec_b64 s[6:7], s[8:9]
	s_cbranch_execz .LBB716_675
; %bb.672:
	s_movk_i32 s3, 0x7f
	v_and_b32_e32 v10, 0x7f, v9
	v_cmp_ne_u32_e32 vcc, s3, v10
	v_mov_b32_e32 v18, 0x7f80
	s_and_saveexec_b64 s[8:9], vcc
	s_cbranch_execz .LBB716_674
; %bb.673:
	v_and_b32_e32 v18, 7, v9
	v_ffbh_u32_e32 v18, v18
	v_min_u32_e32 v18, 32, v18
	v_lshrrev_b32_e32 v19, 3, v10
	v_subrev_u32_e32 v20, 28, v18
	v_sub_u32_e32 v18, 29, v18
	v_cmp_gt_u32_e32 vcc, 8, v10
	v_cndmask_b32_e32 v10, v19, v18, vcc
	v_cndmask_b32_e32 v18, 0, v20, vcc
	v_lshlrev_b64 v[18:19], v18, v[6:7]
	v_lshlrev_b32_e32 v7, 20, v18
	v_lshlrev_b32_e32 v18, 24, v6
	v_bfrev_b32_e32 v19, 60
	v_and_b32_e32 v7, 0x700000, v7
	v_and_b32_e32 v18, 0x80000000, v18
	v_lshl_add_u32 v10, v10, 23, v19
	v_or3_b32 v7, v18, v10, v7
	v_lshrrev_b32_e32 v18, 16, v7
.LBB716_674:
	s_or_b64 exec, exec, s[8:9]
.LBB716_675:
	s_or_b64 exec, exec, s[6:7]
.LBB716_676:
	s_or_b64 exec, exec, s[0:1]
	v_lshrrev_b16_e32 v10, 8, v6
	v_cmp_ne_u16_e32 vcc, 0, v10
	s_and_saveexec_b64 s[0:1], vcc
	s_cbranch_execz .LBB716_682
; %bb.677:
	s_movk_i32 s3, 0x80
	v_cmp_ne_u16_e32 vcc, s3, v10
	v_mov_b32_e32 v17, 0xffff8000
	s_and_saveexec_b64 s[6:7], vcc
	s_cbranch_execz .LBB716_681
; %bb.678:
	s_movk_i32 s3, 0x7f
	v_and_b32_e32 v7, 0x7f, v10
	v_cmp_ne_u32_e32 vcc, s3, v7
	v_mov_b32_e32 v17, 0x7f80
	s_and_saveexec_b64 s[8:9], vcc
	s_cbranch_execz .LBB716_680
; %bb.679:
	v_and_b32_e32 v17, 7, v10
	v_ffbh_u32_e32 v20, v17
	v_min_u32_e32 v22, 32, v20
	v_subrev_u32_e32 v20, 28, v22
	v_lshlrev_b64 v[20:21], v20, v[10:11]
	v_lshrrev_b32_e32 v19, 3, v7
	v_sub_u32_e32 v10, 29, v22
	v_and_b32_e32 v20, 7, v20
	v_cmp_gt_u32_e32 vcc, 8, v7
	v_cndmask_b32_e32 v7, v19, v10, vcc
	v_cndmask_b32_e32 v10, v17, v20, vcc
	v_lshlrev_b32_e32 v6, 16, v6
	v_bfrev_b32_e32 v17, 60
	v_lshlrev_b32_e32 v10, 20, v10
	v_and_b32_e32 v6, 0x80000000, v6
	v_lshl_add_u32 v7, v7, 23, v17
	v_or3_b32 v6, v6, v7, v10
	v_lshrrev_b32_e32 v17, 16, v6
.LBB716_680:
	s_or_b64 exec, exec, s[8:9]
.LBB716_681:
	s_or_b64 exec, exec, s[6:7]
.LBB716_682:
	s_or_b64 exec, exec, s[0:1]
	s_movk_i32 s0, 0xff
	v_and_b32_sdwa v19, v9, s0 dst_sel:DWORD dst_unused:UNUSED_PAD src0_sel:WORD_1 src1_sel:DWORD
	v_lshrrev_b32_e32 v6, 16, v9
	v_cmp_ne_u16_e32 vcc, 0, v19
	v_mov_b32_e32 v7, 0
	v_mov_b32_e32 v10, 0
	s_and_saveexec_b64 s[0:1], vcc
	s_cbranch_execz .LBB716_688
; %bb.683:
	s_movk_i32 s3, 0x80
	v_cmp_ne_u16_e32 vcc, s3, v19
	v_mov_b32_e32 v10, 0xffff8000
	s_and_saveexec_b64 s[6:7], vcc
	s_cbranch_execz .LBB716_687
; %bb.684:
	v_bfe_u32 v19, v9, 16, 7
	s_movk_i32 s3, 0x7f
	v_cmp_ne_u32_e32 vcc, s3, v19
	v_mov_b32_e32 v10, 0x7f80
	s_and_saveexec_b64 s[8:9], vcc
	s_cbranch_execz .LBB716_686
; %bb.685:
	v_and_b32_e32 v10, 7, v6
	v_ffbh_u32_e32 v20, v10
	v_min_u32_e32 v23, 32, v20
	v_subrev_u32_e32 v20, 28, v23
	v_lshlrev_b64 v[20:21], v20, v[6:7]
	v_lshrrev_b32_e32 v22, 3, v19
	v_sub_u32_e32 v6, 29, v23
	v_and_b32_e32 v20, 7, v20
	v_cmp_gt_u32_e32 vcc, 8, v19
	v_mov_b32_e32 v19, 24
	v_cndmask_b32_e32 v6, v22, v6, vcc
	v_cndmask_b32_e32 v10, v10, v20, vcc
	v_lshlrev_b32_sdwa v19, v19, v9 dst_sel:DWORD dst_unused:UNUSED_PAD src0_sel:DWORD src1_sel:WORD_1
	v_bfrev_b32_e32 v20, 60
	v_lshlrev_b32_e32 v10, 20, v10
	v_and_b32_e32 v19, 0x80000000, v19
	v_lshl_add_u32 v6, v6, 23, v20
	v_or3_b32 v6, v19, v6, v10
	v_lshrrev_b32_e32 v10, 16, v6
.LBB716_686:
	s_or_b64 exec, exec, s[8:9]
.LBB716_687:
	s_or_b64 exec, exec, s[6:7]
.LBB716_688:
	s_or_b64 exec, exec, s[0:1]
	s_mov_b32 s0, -1
	s_mov_b32 s1, 0xffffff
	v_cmp_lt_u64_e32 vcc, s[0:1], v[8:9]
	s_and_saveexec_b64 s[0:1], vcc
	s_cbranch_execz .LBB716_694
; %bb.689:
	v_lshrrev_b32_e32 v6, 24, v9
	s_movk_i32 s3, 0x80
	v_cmp_ne_u32_e32 vcc, s3, v6
	v_mov_b32_e32 v7, 0xffff8000
	s_and_saveexec_b64 s[6:7], vcc
	s_cbranch_execz .LBB716_693
; %bb.690:
	v_bfe_u32 v8, v9, 24, 7
	s_movk_i32 s3, 0x7f
	v_cmp_ne_u32_e32 vcc, s3, v8
	v_mov_b32_e32 v7, 0x7f80
	s_and_saveexec_b64 s[8:9], vcc
	s_cbranch_execz .LBB716_692
; %bb.691:
	v_and_b32_e32 v7, 7, v6
	v_ffbh_u32_e32 v19, v7
	v_min_u32_e32 v19, 32, v19
	v_subrev_u32_e32 v20, 28, v19
	v_lshlrev_b64 v[20:21], v20, v[6:7]
	v_lshrrev_b32_e32 v9, 3, v8
	v_sub_u32_e32 v19, 29, v19
	v_and_b32_e32 v20, 7, v20
	v_cmp_gt_u32_e32 vcc, 8, v8
	v_cndmask_b32_e32 v8, v9, v19, vcc
	v_cndmask_b32_e32 v7, v7, v20, vcc
	v_lshlrev_b32_e32 v6, 24, v6
	v_bfrev_b32_e32 v9, 60
	v_lshlrev_b32_e32 v7, 20, v7
	v_and_b32_e32 v6, 0x80000000, v6
	v_lshl_add_u32 v8, v8, 23, v9
	v_or3_b32 v6, v6, v8, v7
	v_lshrrev_b32_e32 v7, 16, v6
.LBB716_692:
	s_or_b64 exec, exec, s[8:9]
.LBB716_693:
	s_or_b64 exec, exec, s[6:7]
.LBB716_694:
	s_or_b64 exec, exec, s[0:1]
	s_mov_b32 s0, 0x5040100
	v_perm_b32 v9, v16, v13, s0
	v_perm_b32 v8, v11, v12, s0
	;; [unrolled: 1-line block ×4, first 2 shown]
	v_mfma_f32_4x4x4bf16_1k a[0:3], v[14:15], v[8:9], a[0:3] cbsz:4 abid:10
	v_mov_b32_e32 v9, 0
	v_mfma_f32_4x4x4bf16_1k a[0:3], v[14:15], v[6:7], a[0:3] cbsz:4 abid:11
	v_cmp_ne_u16_sdwa s[6:7], v2, v9 src0_sel:BYTE_0 src1_sel:DWORD
	v_mov_b32_e32 v10, 0
	s_and_saveexec_b64 s[0:1], s[6:7]
	s_cbranch_execz .LBB716_700
; %bb.695:
	s_movk_i32 s3, 0x80
	v_cmp_ne_u16_sdwa s[8:9], v2, s3 src0_sel:BYTE_0 src1_sel:DWORD
	v_mov_b32_e32 v10, 0xffff8000
	s_and_saveexec_b64 s[6:7], s[8:9]
	s_cbranch_execz .LBB716_699
; %bb.696:
	s_movk_i32 s3, 0x7f
	v_and_b32_e32 v6, 0x7f, v2
	v_cmp_ne_u32_e32 vcc, s3, v6
	v_mov_b32_e32 v10, 0x7f80
	s_and_saveexec_b64 s[8:9], vcc
	s_cbranch_execz .LBB716_698
; %bb.697:
	v_and_b32_e32 v7, 7, v2
	v_ffbh_u32_e32 v7, v7
	v_min_u32_e32 v7, 32, v7
	v_subrev_u32_e32 v10, 28, v7
	v_cmp_gt_u32_e32 vcc, 8, v6
	v_lshrrev_b32_e32 v8, 3, v6
	v_sub_u32_e32 v7, 29, v7
	v_cndmask_b32_e32 v6, 0, v10, vcc
	v_cndmask_b32_e32 v8, v8, v7, vcc
	v_lshlrev_b64 v[6:7], v6, v[2:3]
	v_lshlrev_b32_e32 v6, 20, v6
	v_lshlrev_b32_e32 v7, 24, v2
	v_bfrev_b32_e32 v10, 60
	v_and_b32_e32 v6, 0x700000, v6
	v_and_b32_e32 v7, 0x80000000, v7
	v_lshl_add_u32 v8, v8, 23, v10
	v_or3_b32 v6, v7, v8, v6
	v_lshrrev_b32_e32 v10, 16, v6
.LBB716_698:
	s_or_b64 exec, exec, s[8:9]
.LBB716_699:
	s_or_b64 exec, exec, s[6:7]
.LBB716_700:
	s_or_b64 exec, exec, s[0:1]
	v_lshrrev_b16_e32 v6, 8, v2
	v_cmp_ne_u16_e32 vcc, 0, v6
	s_and_saveexec_b64 s[0:1], vcc
	s_cbranch_execz .LBB716_706
; %bb.701:
	s_movk_i32 s3, 0x80
	v_cmp_ne_u16_e32 vcc, s3, v6
	v_mov_b32_e32 v9, 0xffff8000
	s_and_saveexec_b64 s[6:7], vcc
	s_cbranch_execz .LBB716_705
; %bb.702:
	s_movk_i32 s3, 0x7f
	v_and_b32_e32 v7, 0x7f, v6
	v_cmp_ne_u32_e32 vcc, s3, v7
	v_mov_b32_e32 v9, 0x7f80
	s_and_saveexec_b64 s[8:9], vcc
	s_cbranch_execz .LBB716_704
; %bb.703:
	v_and_b32_e32 v11, 7, v6
	v_ffbh_u32_e32 v8, v11
	v_min_u32_e32 v13, 32, v8
	v_subrev_u32_e32 v8, 28, v13
	v_lshlrev_b64 v[8:9], v8, v[6:7]
	v_lshrrev_b32_e32 v12, 3, v7
	v_sub_u32_e32 v6, 29, v13
	v_and_b32_e32 v8, 7, v8
	v_cmp_gt_u32_e32 vcc, 8, v7
	v_cndmask_b32_e32 v6, v12, v6, vcc
	v_cndmask_b32_e32 v7, v11, v8, vcc
	v_lshlrev_b32_e32 v8, 16, v2
	v_bfrev_b32_e32 v9, 60
	v_lshlrev_b32_e32 v7, 20, v7
	v_and_b32_e32 v8, 0x80000000, v8
	v_lshl_add_u32 v6, v6, 23, v9
	v_or3_b32 v6, v8, v6, v7
	v_lshrrev_b32_e32 v9, 16, v6
.LBB716_704:
	s_or_b64 exec, exec, s[8:9]
.LBB716_705:
	s_or_b64 exec, exec, s[6:7]
.LBB716_706:
	s_or_b64 exec, exec, s[0:1]
	s_movk_i32 s0, 0xff
	v_and_b32_sdwa v8, v2, s0 dst_sel:DWORD dst_unused:UNUSED_PAD src0_sel:WORD_1 src1_sel:DWORD
	v_lshrrev_b32_e32 v6, 16, v2
	v_cmp_ne_u16_e32 vcc, 0, v8
	v_mov_b32_e32 v7, 0
	v_mov_b32_e32 v11, 0
	s_and_saveexec_b64 s[0:1], vcc
	s_cbranch_execz .LBB716_712
; %bb.707:
	s_movk_i32 s3, 0x80
	v_cmp_ne_u16_e32 vcc, s3, v8
	v_mov_b32_e32 v11, 0xffff8000
	s_and_saveexec_b64 s[6:7], vcc
	s_cbranch_execz .LBB716_711
; %bb.708:
	v_bfe_u32 v8, v2, 16, 7
	s_movk_i32 s3, 0x7f
	v_cmp_ne_u32_e32 vcc, s3, v8
	v_mov_b32_e32 v11, 0x7f80
	s_and_saveexec_b64 s[8:9], vcc
	s_cbranch_execz .LBB716_710
; %bb.709:
	v_and_b32_e32 v11, 7, v6
	v_ffbh_u32_e32 v12, v11
	v_min_u32_e32 v17, 32, v12
	v_subrev_u32_e32 v12, 28, v17
	v_lshlrev_b64 v[12:13], v12, v[6:7]
	v_and_b32_e32 v12, 7, v12
	v_cmp_gt_u32_e32 vcc, 8, v8
	v_lshrrev_b32_e32 v16, 3, v8
	v_sub_u32_e32 v6, 29, v17
	v_cndmask_b32_e32 v8, v11, v12, vcc
	v_mov_b32_e32 v11, 24
	v_cndmask_b32_e32 v6, v16, v6, vcc
	v_lshlrev_b32_sdwa v11, v11, v2 dst_sel:DWORD dst_unused:UNUSED_PAD src0_sel:DWORD src1_sel:WORD_1
	v_bfrev_b32_e32 v12, 60
	v_lshlrev_b32_e32 v8, 20, v8
	v_and_b32_e32 v11, 0x80000000, v11
	v_lshl_add_u32 v6, v6, 23, v12
	v_or3_b32 v6, v11, v6, v8
	v_lshrrev_b32_e32 v11, 16, v6
.LBB716_710:
	s_or_b64 exec, exec, s[8:9]
.LBB716_711:
	s_or_b64 exec, exec, s[6:7]
.LBB716_712:
	s_or_b64 exec, exec, s[0:1]
	s_mov_b32 s0, 0xffffff
	v_cmp_lt_u32_e32 vcc, s0, v2
	v_mov_b32_e32 v12, 0
	s_and_saveexec_b64 s[0:1], vcc
	s_cbranch_execz .LBB716_718
; %bb.713:
	v_lshrrev_b32_e32 v6, 24, v2
	s_movk_i32 s3, 0x80
	v_cmp_ne_u32_e32 vcc, s3, v6
	v_mov_b32_e32 v12, 0xffff8000
	s_and_saveexec_b64 s[6:7], vcc
	s_cbranch_execz .LBB716_717
; %bb.714:
	v_bfe_u32 v8, v2, 24, 7
	s_movk_i32 s3, 0x7f
	v_cmp_ne_u32_e32 vcc, s3, v8
	v_mov_b32_e32 v12, 0x7f80
	s_and_saveexec_b64 s[8:9], vcc
	s_cbranch_execz .LBB716_716
; %bb.715:
	v_and_b32_e32 v16, 7, v6
	v_ffbh_u32_e32 v12, v16
	v_min_u32_e32 v18, 32, v12
	v_subrev_u32_e32 v12, 28, v18
	v_lshlrev_b64 v[12:13], v12, v[6:7]
	v_lshrrev_b32_e32 v17, 3, v8
	v_sub_u32_e32 v13, 29, v18
	v_and_b32_e32 v12, 7, v12
	v_cmp_gt_u32_e32 vcc, 8, v8
	v_cndmask_b32_e32 v8, v17, v13, vcc
	v_cndmask_b32_e32 v12, v16, v12, vcc
	v_lshlrev_b32_e32 v6, 24, v6
	v_bfrev_b32_e32 v13, 60
	v_lshlrev_b32_e32 v12, 20, v12
	v_and_b32_e32 v6, 0x80000000, v6
	v_lshl_add_u32 v8, v8, 23, v13
	v_or3_b32 v6, v6, v8, v12
	v_lshrrev_b32_e32 v12, 16, v6
.LBB716_716:
	s_or_b64 exec, exec, s[8:9]
.LBB716_717:
	s_or_b64 exec, exec, s[6:7]
.LBB716_718:
	s_or_b64 exec, exec, s[0:1]
	v_mov_b32_e32 v13, 0
	v_mov_b32_e32 v6, v3
	v_cmp_ne_u16_sdwa s[6:7], v3, v13 src0_sel:BYTE_0 src1_sel:DWORD
	v_mov_b32_e32 v16, 0
	s_and_saveexec_b64 s[0:1], s[6:7]
	s_cbranch_execz .LBB716_724
; %bb.719:
	s_movk_i32 s3, 0x80
	v_cmp_ne_u16_sdwa s[8:9], v3, s3 src0_sel:BYTE_0 src1_sel:DWORD
	v_mov_b32_e32 v16, 0xffff8000
	s_and_saveexec_b64 s[6:7], s[8:9]
	s_cbranch_execz .LBB716_723
; %bb.720:
	s_movk_i32 s3, 0x7f
	v_and_b32_e32 v8, 0x7f, v3
	v_cmp_ne_u32_e32 vcc, s3, v8
	v_mov_b32_e32 v16, 0x7f80
	s_and_saveexec_b64 s[8:9], vcc
	s_cbranch_execz .LBB716_722
; %bb.721:
	v_and_b32_e32 v16, 7, v3
	v_ffbh_u32_e32 v16, v16
	v_min_u32_e32 v16, 32, v16
	v_lshrrev_b32_e32 v17, 3, v8
	v_subrev_u32_e32 v18, 28, v16
	v_sub_u32_e32 v16, 29, v16
	v_cmp_gt_u32_e32 vcc, 8, v8
	v_cndmask_b32_e32 v8, v17, v16, vcc
	v_cndmask_b32_e32 v16, 0, v18, vcc
	v_lshlrev_b64 v[16:17], v16, v[6:7]
	v_lshlrev_b32_e32 v7, 20, v16
	v_lshlrev_b32_e32 v16, 24, v6
	v_bfrev_b32_e32 v17, 60
	v_and_b32_e32 v7, 0x700000, v7
	v_and_b32_e32 v16, 0x80000000, v16
	v_lshl_add_u32 v8, v8, 23, v17
	v_or3_b32 v7, v16, v8, v7
	v_lshrrev_b32_e32 v16, 16, v7
.LBB716_722:
	s_or_b64 exec, exec, s[8:9]
.LBB716_723:
	s_or_b64 exec, exec, s[6:7]
.LBB716_724:
	s_or_b64 exec, exec, s[0:1]
	v_lshrrev_b16_e32 v8, 8, v6
	v_cmp_ne_u16_e32 vcc, 0, v8
	s_and_saveexec_b64 s[0:1], vcc
	s_cbranch_execz .LBB716_730
; %bb.725:
	s_movk_i32 s3, 0x80
	v_cmp_ne_u16_e32 vcc, s3, v8
	v_mov_b32_e32 v13, 0xffff8000
	s_and_saveexec_b64 s[6:7], vcc
	s_cbranch_execz .LBB716_729
; %bb.726:
	s_movk_i32 s3, 0x7f
	v_and_b32_e32 v7, 0x7f, v8
	v_cmp_ne_u32_e32 vcc, s3, v7
	v_mov_b32_e32 v13, 0x7f80
	s_and_saveexec_b64 s[8:9], vcc
	s_cbranch_execz .LBB716_728
; %bb.727:
	v_and_b32_e32 v13, 7, v8
	v_ffbh_u32_e32 v18, v13
	v_min_u32_e32 v20, 32, v18
	v_subrev_u32_e32 v18, 28, v20
	v_lshlrev_b64 v[18:19], v18, v[8:9]
	v_lshrrev_b32_e32 v17, 3, v7
	v_sub_u32_e32 v8, 29, v20
	v_and_b32_e32 v18, 7, v18
	v_cmp_gt_u32_e32 vcc, 8, v7
	v_cndmask_b32_e32 v7, v17, v8, vcc
	v_cndmask_b32_e32 v8, v13, v18, vcc
	v_lshlrev_b32_e32 v6, 16, v6
	v_bfrev_b32_e32 v13, 60
	v_lshlrev_b32_e32 v8, 20, v8
	v_and_b32_e32 v6, 0x80000000, v6
	v_lshl_add_u32 v7, v7, 23, v13
	v_or3_b32 v6, v6, v7, v8
	v_lshrrev_b32_e32 v13, 16, v6
.LBB716_728:
	s_or_b64 exec, exec, s[8:9]
.LBB716_729:
	s_or_b64 exec, exec, s[6:7]
.LBB716_730:
	s_or_b64 exec, exec, s[0:1]
	s_movk_i32 s0, 0xff
	v_and_b32_sdwa v17, v3, s0 dst_sel:DWORD dst_unused:UNUSED_PAD src0_sel:WORD_1 src1_sel:DWORD
	v_lshrrev_b32_e32 v6, 16, v3
	v_cmp_ne_u16_e32 vcc, 0, v17
	v_mov_b32_e32 v7, 0
	v_mov_b32_e32 v8, 0
	s_and_saveexec_b64 s[0:1], vcc
	s_cbranch_execz .LBB716_736
; %bb.731:
	s_movk_i32 s3, 0x80
	v_cmp_ne_u16_e32 vcc, s3, v17
	v_mov_b32_e32 v8, 0xffff8000
	s_and_saveexec_b64 s[6:7], vcc
	s_cbranch_execz .LBB716_735
; %bb.732:
	v_bfe_u32 v17, v3, 16, 7
	s_movk_i32 s3, 0x7f
	v_cmp_ne_u32_e32 vcc, s3, v17
	v_mov_b32_e32 v8, 0x7f80
	s_and_saveexec_b64 s[8:9], vcc
	s_cbranch_execz .LBB716_734
; %bb.733:
	v_and_b32_e32 v8, 7, v6
	v_ffbh_u32_e32 v18, v8
	v_min_u32_e32 v21, 32, v18
	v_subrev_u32_e32 v18, 28, v21
	v_lshlrev_b64 v[18:19], v18, v[6:7]
	v_lshrrev_b32_e32 v20, 3, v17
	v_sub_u32_e32 v6, 29, v21
	v_and_b32_e32 v18, 7, v18
	v_cmp_gt_u32_e32 vcc, 8, v17
	v_mov_b32_e32 v17, 24
	v_cndmask_b32_e32 v6, v20, v6, vcc
	v_cndmask_b32_e32 v8, v8, v18, vcc
	v_lshlrev_b32_sdwa v17, v17, v3 dst_sel:DWORD dst_unused:UNUSED_PAD src0_sel:DWORD src1_sel:WORD_1
	v_bfrev_b32_e32 v18, 60
	v_lshlrev_b32_e32 v8, 20, v8
	v_and_b32_e32 v17, 0x80000000, v17
	v_lshl_add_u32 v6, v6, 23, v18
	v_or3_b32 v6, v17, v6, v8
	v_lshrrev_b32_e32 v8, 16, v6
.LBB716_734:
	s_or_b64 exec, exec, s[8:9]
.LBB716_735:
	s_or_b64 exec, exec, s[6:7]
.LBB716_736:
	s_or_b64 exec, exec, s[0:1]
	s_mov_b32 s0, -1
	s_mov_b32 s1, 0xffffff
	v_cmp_lt_u64_e32 vcc, s[0:1], v[2:3]
	s_and_saveexec_b64 s[0:1], vcc
	s_cbranch_execz .LBB716_742
; %bb.737:
	v_lshrrev_b32_e32 v2, 24, v3
	s_movk_i32 s3, 0x80
	v_cmp_ne_u32_e32 vcc, s3, v2
	v_mov_b32_e32 v7, 0xffff8000
	s_and_saveexec_b64 s[6:7], vcc
	s_cbranch_execz .LBB716_741
; %bb.738:
	v_bfe_u32 v3, v3, 24, 7
	s_movk_i32 s3, 0x7f
	v_cmp_ne_u32_e32 vcc, s3, v3
	v_mov_b32_e32 v7, 0x7f80
	s_and_saveexec_b64 s[8:9], vcc
	s_cbranch_execz .LBB716_740
; %bb.739:
	v_and_b32_e32 v17, 7, v2
	v_ffbh_u32_e32 v6, v17
	v_min_u32_e32 v19, 32, v6
	v_subrev_u32_e32 v6, 28, v19
	v_lshlrev_b64 v[6:7], v6, v[2:3]
	v_lshrrev_b32_e32 v18, 3, v3
	v_sub_u32_e32 v7, 29, v19
	v_and_b32_e32 v6, 7, v6
	v_cmp_gt_u32_e32 vcc, 8, v3
	v_cndmask_b32_e32 v3, v18, v7, vcc
	v_cndmask_b32_e32 v6, v17, v6, vcc
	v_lshlrev_b32_e32 v2, 24, v2
	v_bfrev_b32_e32 v7, 60
	v_lshlrev_b32_e32 v6, 20, v6
	v_and_b32_e32 v2, 0x80000000, v2
	v_lshl_add_u32 v3, v3, 23, v7
	v_or3_b32 v2, v2, v3, v6
	v_lshrrev_b32_e32 v7, 16, v2
.LBB716_740:
	s_or_b64 exec, exec, s[8:9]
.LBB716_741:
	s_or_b64 exec, exec, s[6:7]
.LBB716_742:
	s_or_b64 exec, exec, s[0:1]
	s_mov_b32 s0, 0x5040100
	v_perm_b32 v3, v12, v11, s0
	v_perm_b32 v2, v9, v10, s0
	;; [unrolled: 1-line block ×4, first 2 shown]
	v_mfma_f32_4x4x4bf16_1k a[0:3], v[14:15], v[2:3], a[0:3] cbsz:4 abid:12
	v_mov_b32_e32 v8, 0
	v_mfma_f32_4x4x4bf16_1k a[0:3], v[14:15], v[6:7], a[0:3] cbsz:4 abid:13
	v_mov_b32_e32 v7, 0
	v_cmp_ne_u16_sdwa s[6:7], v4, v7 src0_sel:BYTE_0 src1_sel:DWORD
	s_and_saveexec_b64 s[0:1], s[6:7]
	s_cbranch_execz .LBB716_748
; %bb.743:
	s_movk_i32 s3, 0x80
	v_cmp_ne_u16_sdwa s[8:9], v4, s3 src0_sel:BYTE_0 src1_sel:DWORD
	v_mov_b32_e32 v8, 0xffff8000
	s_and_saveexec_b64 s[6:7], s[8:9]
	s_cbranch_execz .LBB716_747
; %bb.744:
	s_movk_i32 s3, 0x7f
	v_and_b32_e32 v2, 0x7f, v4
	v_cmp_ne_u32_e32 vcc, s3, v2
	v_mov_b32_e32 v8, 0x7f80
	s_and_saveexec_b64 s[8:9], vcc
	s_cbranch_execz .LBB716_746
; %bb.745:
	v_and_b32_e32 v3, 7, v4
	v_ffbh_u32_e32 v3, v3
	v_min_u32_e32 v3, 32, v3
	v_subrev_u32_e32 v8, 28, v3
	v_cmp_gt_u32_e32 vcc, 8, v2
	v_lshrrev_b32_e32 v6, 3, v2
	v_sub_u32_e32 v3, 29, v3
	v_cndmask_b32_e32 v2, 0, v8, vcc
	v_cndmask_b32_e32 v6, v6, v3, vcc
	v_lshlrev_b64 v[2:3], v2, v[4:5]
	v_lshlrev_b32_e32 v2, 20, v2
	v_lshlrev_b32_e32 v3, 24, v4
	v_bfrev_b32_e32 v8, 60
	v_and_b32_e32 v2, 0x700000, v2
	v_and_b32_e32 v3, 0x80000000, v3
	v_lshl_add_u32 v6, v6, 23, v8
	v_or3_b32 v2, v3, v6, v2
	v_lshrrev_b32_e32 v8, 16, v2
.LBB716_746:
	s_or_b64 exec, exec, s[8:9]
.LBB716_747:
	s_or_b64 exec, exec, s[6:7]
.LBB716_748:
	s_or_b64 exec, exec, s[0:1]
	v_lshrrev_b16_e32 v2, 8, v4
	v_cmp_ne_u16_e32 vcc, 0, v2
	s_and_saveexec_b64 s[0:1], vcc
	s_cbranch_execz .LBB716_754
; %bb.749:
	s_movk_i32 s3, 0x80
	v_cmp_ne_u16_e32 vcc, s3, v2
	v_mov_b32_e32 v7, 0xffff8000
	s_and_saveexec_b64 s[6:7], vcc
	s_cbranch_execz .LBB716_753
; %bb.750:
	s_movk_i32 s3, 0x7f
	v_and_b32_e32 v3, 0x7f, v2
	v_cmp_ne_u32_e32 vcc, s3, v3
	v_mov_b32_e32 v7, 0x7f80
	s_and_saveexec_b64 s[8:9], vcc
	s_cbranch_execz .LBB716_752
; %bb.751:
	v_and_b32_e32 v9, 7, v2
	v_ffbh_u32_e32 v6, v9
	v_min_u32_e32 v11, 32, v6
	v_subrev_u32_e32 v6, 28, v11
	v_lshlrev_b64 v[6:7], v6, v[2:3]
	v_lshrrev_b32_e32 v10, 3, v3
	v_sub_u32_e32 v2, 29, v11
	v_and_b32_e32 v6, 7, v6
	v_cmp_gt_u32_e32 vcc, 8, v3
	v_cndmask_b32_e32 v2, v10, v2, vcc
	v_cndmask_b32_e32 v3, v9, v6, vcc
	v_lshlrev_b32_e32 v6, 16, v4
	v_bfrev_b32_e32 v7, 60
	v_lshlrev_b32_e32 v3, 20, v3
	v_and_b32_e32 v6, 0x80000000, v6
	v_lshl_add_u32 v2, v2, 23, v7
	v_or3_b32 v2, v6, v2, v3
	v_lshrrev_b32_e32 v7, 16, v2
.LBB716_752:
	s_or_b64 exec, exec, s[8:9]
.LBB716_753:
	s_or_b64 exec, exec, s[6:7]
.LBB716_754:
	s_or_b64 exec, exec, s[0:1]
	s_movk_i32 s0, 0xff
	v_and_b32_sdwa v6, v4, s0 dst_sel:DWORD dst_unused:UNUSED_PAD src0_sel:WORD_1 src1_sel:DWORD
	v_lshrrev_b32_e32 v2, 16, v4
	v_cmp_ne_u16_e32 vcc, 0, v6
	v_mov_b32_e32 v3, 0
	v_mov_b32_e32 v9, 0
	s_and_saveexec_b64 s[0:1], vcc
	s_cbranch_execz .LBB716_760
; %bb.755:
	s_movk_i32 s3, 0x80
	v_cmp_ne_u16_e32 vcc, s3, v6
	v_mov_b32_e32 v9, 0xffff8000
	s_and_saveexec_b64 s[6:7], vcc
	s_cbranch_execz .LBB716_759
; %bb.756:
	v_bfe_u32 v6, v4, 16, 7
	s_movk_i32 s3, 0x7f
	v_cmp_ne_u32_e32 vcc, s3, v6
	v_mov_b32_e32 v9, 0x7f80
	s_and_saveexec_b64 s[8:9], vcc
	s_cbranch_execz .LBB716_758
; %bb.757:
	v_and_b32_e32 v9, 7, v2
	v_ffbh_u32_e32 v10, v9
	v_min_u32_e32 v13, 32, v10
	v_subrev_u32_e32 v10, 28, v13
	v_lshlrev_b64 v[10:11], v10, v[2:3]
	v_and_b32_e32 v10, 7, v10
	v_cmp_gt_u32_e32 vcc, 8, v6
	v_lshrrev_b32_e32 v12, 3, v6
	v_sub_u32_e32 v2, 29, v13
	v_cndmask_b32_e32 v6, v9, v10, vcc
	v_mov_b32_e32 v9, 24
	v_cndmask_b32_e32 v2, v12, v2, vcc
	v_lshlrev_b32_sdwa v9, v9, v4 dst_sel:DWORD dst_unused:UNUSED_PAD src0_sel:DWORD src1_sel:WORD_1
	v_bfrev_b32_e32 v10, 60
	v_lshlrev_b32_e32 v6, 20, v6
	v_and_b32_e32 v9, 0x80000000, v9
	v_lshl_add_u32 v2, v2, 23, v10
	v_or3_b32 v2, v9, v2, v6
	v_lshrrev_b32_e32 v9, 16, v2
.LBB716_758:
	s_or_b64 exec, exec, s[8:9]
.LBB716_759:
	s_or_b64 exec, exec, s[6:7]
.LBB716_760:
	s_or_b64 exec, exec, s[0:1]
	s_mov_b32 s0, 0xffffff
	v_cmp_lt_u32_e32 vcc, s0, v4
	v_mov_b32_e32 v10, 0
	s_and_saveexec_b64 s[0:1], vcc
	s_cbranch_execz .LBB716_766
; %bb.761:
	v_lshrrev_b32_e32 v2, 24, v4
	s_movk_i32 s3, 0x80
	v_cmp_ne_u32_e32 vcc, s3, v2
	v_mov_b32_e32 v10, 0xffff8000
	s_and_saveexec_b64 s[6:7], vcc
	s_cbranch_execz .LBB716_765
; %bb.762:
	v_bfe_u32 v6, v4, 24, 7
	s_movk_i32 s3, 0x7f
	v_cmp_ne_u32_e32 vcc, s3, v6
	v_mov_b32_e32 v10, 0x7f80
	s_and_saveexec_b64 s[8:9], vcc
	s_cbranch_execz .LBB716_764
; %bb.763:
	v_and_b32_e32 v12, 7, v2
	v_ffbh_u32_e32 v10, v12
	v_min_u32_e32 v16, 32, v10
	v_subrev_u32_e32 v10, 28, v16
	v_lshlrev_b64 v[10:11], v10, v[2:3]
	v_lshrrev_b32_e32 v13, 3, v6
	v_sub_u32_e32 v11, 29, v16
	v_and_b32_e32 v10, 7, v10
	v_cmp_gt_u32_e32 vcc, 8, v6
	v_cndmask_b32_e32 v6, v13, v11, vcc
	v_cndmask_b32_e32 v10, v12, v10, vcc
	v_lshlrev_b32_e32 v2, 24, v2
	v_bfrev_b32_e32 v11, 60
	v_lshlrev_b32_e32 v10, 20, v10
	v_and_b32_e32 v2, 0x80000000, v2
	v_lshl_add_u32 v6, v6, 23, v11
	v_or3_b32 v2, v2, v6, v10
	v_lshrrev_b32_e32 v10, 16, v2
.LBB716_764:
	s_or_b64 exec, exec, s[8:9]
.LBB716_765:
	s_or_b64 exec, exec, s[6:7]
.LBB716_766:
	s_or_b64 exec, exec, s[0:1]
	v_mov_b32_e32 v11, 0
	v_mov_b32_e32 v2, v5
	v_cmp_ne_u16_sdwa s[6:7], v5, v11 src0_sel:BYTE_0 src1_sel:DWORD
	v_mov_b32_e32 v12, 0
	s_and_saveexec_b64 s[0:1], s[6:7]
	s_cbranch_execz .LBB716_772
; %bb.767:
	s_movk_i32 s3, 0x80
	v_cmp_ne_u16_sdwa s[8:9], v5, s3 src0_sel:BYTE_0 src1_sel:DWORD
	v_mov_b32_e32 v12, 0xffff8000
	s_and_saveexec_b64 s[6:7], s[8:9]
	s_cbranch_execz .LBB716_771
; %bb.768:
	s_movk_i32 s3, 0x7f
	v_and_b32_e32 v6, 0x7f, v5
	v_cmp_ne_u32_e32 vcc, s3, v6
	v_mov_b32_e32 v12, 0x7f80
	s_and_saveexec_b64 s[8:9], vcc
	s_cbranch_execz .LBB716_770
; %bb.769:
	v_and_b32_e32 v12, 7, v5
	v_ffbh_u32_e32 v12, v12
	v_min_u32_e32 v12, 32, v12
	v_lshrrev_b32_e32 v13, 3, v6
	v_subrev_u32_e32 v16, 28, v12
	v_sub_u32_e32 v12, 29, v12
	v_cmp_gt_u32_e32 vcc, 8, v6
	v_cndmask_b32_e32 v6, v13, v12, vcc
	v_cndmask_b32_e32 v12, 0, v16, vcc
	v_lshlrev_b64 v[12:13], v12, v[2:3]
	v_lshlrev_b32_e32 v3, 20, v12
	v_lshlrev_b32_e32 v12, 24, v2
	v_bfrev_b32_e32 v13, 60
	v_and_b32_e32 v3, 0x700000, v3
	v_and_b32_e32 v12, 0x80000000, v12
	v_lshl_add_u32 v6, v6, 23, v13
	v_or3_b32 v3, v12, v6, v3
	v_lshrrev_b32_e32 v12, 16, v3
.LBB716_770:
	s_or_b64 exec, exec, s[8:9]
.LBB716_771:
	s_or_b64 exec, exec, s[6:7]
.LBB716_772:
	s_or_b64 exec, exec, s[0:1]
	v_lshrrev_b16_e32 v6, 8, v2
	v_cmp_ne_u16_e32 vcc, 0, v6
	s_and_saveexec_b64 s[0:1], vcc
	s_cbranch_execz .LBB716_778
; %bb.773:
	s_movk_i32 s3, 0x80
	v_cmp_ne_u16_e32 vcc, s3, v6
	v_mov_b32_e32 v11, 0xffff8000
	s_and_saveexec_b64 s[6:7], vcc
	s_cbranch_execz .LBB716_777
; %bb.774:
	s_movk_i32 s3, 0x7f
	v_and_b32_e32 v3, 0x7f, v6
	v_cmp_ne_u32_e32 vcc, s3, v3
	v_mov_b32_e32 v11, 0x7f80
	s_and_saveexec_b64 s[8:9], vcc
	s_cbranch_execz .LBB716_776
; %bb.775:
	v_and_b32_e32 v11, 7, v6
	v_ffbh_u32_e32 v16, v11
	v_min_u32_e32 v18, 32, v16
	v_subrev_u32_e32 v16, 28, v18
	v_lshlrev_b64 v[16:17], v16, v[6:7]
	v_lshrrev_b32_e32 v13, 3, v3
	v_sub_u32_e32 v6, 29, v18
	v_and_b32_e32 v16, 7, v16
	v_cmp_gt_u32_e32 vcc, 8, v3
	v_cndmask_b32_e32 v3, v13, v6, vcc
	v_cndmask_b32_e32 v6, v11, v16, vcc
	v_lshlrev_b32_e32 v2, 16, v2
	v_bfrev_b32_e32 v11, 60
	v_lshlrev_b32_e32 v6, 20, v6
	v_and_b32_e32 v2, 0x80000000, v2
	v_lshl_add_u32 v3, v3, 23, v11
	v_or3_b32 v2, v2, v3, v6
	v_lshrrev_b32_e32 v11, 16, v2
.LBB716_776:
	s_or_b64 exec, exec, s[8:9]
.LBB716_777:
	s_or_b64 exec, exec, s[6:7]
.LBB716_778:
	s_or_b64 exec, exec, s[0:1]
	s_movk_i32 s0, 0xff
	v_and_b32_sdwa v13, v5, s0 dst_sel:DWORD dst_unused:UNUSED_PAD src0_sel:WORD_1 src1_sel:DWORD
	v_lshrrev_b32_e32 v2, 16, v5
	v_cmp_ne_u16_e32 vcc, 0, v13
	v_mov_b32_e32 v3, 0
	v_mov_b32_e32 v6, 0
	s_and_saveexec_b64 s[0:1], vcc
	s_cbranch_execz .LBB716_784
; %bb.779:
	s_movk_i32 s3, 0x80
	v_cmp_ne_u16_e32 vcc, s3, v13
	v_mov_b32_e32 v6, 0xffff8000
	s_and_saveexec_b64 s[6:7], vcc
	s_cbranch_execz .LBB716_783
; %bb.780:
	v_bfe_u32 v13, v5, 16, 7
	s_movk_i32 s3, 0x7f
	v_cmp_ne_u32_e32 vcc, s3, v13
	v_mov_b32_e32 v6, 0x7f80
	s_and_saveexec_b64 s[8:9], vcc
	s_cbranch_execz .LBB716_782
; %bb.781:
	v_and_b32_e32 v6, 7, v2
	v_ffbh_u32_e32 v16, v6
	v_min_u32_e32 v19, 32, v16
	v_subrev_u32_e32 v16, 28, v19
	v_lshlrev_b64 v[16:17], v16, v[2:3]
	v_lshrrev_b32_e32 v18, 3, v13
	v_sub_u32_e32 v2, 29, v19
	v_and_b32_e32 v16, 7, v16
	v_cmp_gt_u32_e32 vcc, 8, v13
	v_mov_b32_e32 v13, 24
	v_cndmask_b32_e32 v2, v18, v2, vcc
	v_cndmask_b32_e32 v6, v6, v16, vcc
	v_lshlrev_b32_sdwa v13, v13, v5 dst_sel:DWORD dst_unused:UNUSED_PAD src0_sel:DWORD src1_sel:WORD_1
	v_bfrev_b32_e32 v16, 60
	v_lshlrev_b32_e32 v6, 20, v6
	v_and_b32_e32 v13, 0x80000000, v13
	v_lshl_add_u32 v2, v2, 23, v16
	v_or3_b32 v2, v13, v2, v6
	v_lshrrev_b32_e32 v6, 16, v2
.LBB716_782:
	s_or_b64 exec, exec, s[8:9]
.LBB716_783:
	s_or_b64 exec, exec, s[6:7]
.LBB716_784:
	s_or_b64 exec, exec, s[0:1]
	s_mov_b32 s0, -1
	s_mov_b32 s1, 0xffffff
	v_cmp_lt_u64_e32 vcc, s[0:1], v[4:5]
	s_and_saveexec_b64 s[0:1], vcc
	s_cbranch_execz .LBB716_790
; %bb.785:
	v_lshrrev_b32_e32 v2, 24, v5
	s_movk_i32 s3, 0x80
	v_cmp_ne_u32_e32 vcc, s3, v2
	v_mov_b32_e32 v3, 0xffff8000
	s_and_saveexec_b64 s[6:7], vcc
	s_cbranch_execz .LBB716_789
; %bb.786:
	v_bfe_u32 v4, v5, 24, 7
	s_movk_i32 s3, 0x7f
	v_cmp_ne_u32_e32 vcc, s3, v4
	v_mov_b32_e32 v3, 0x7f80
	s_and_saveexec_b64 s[8:9], vcc
	s_cbranch_execz .LBB716_788
; %bb.787:
	v_and_b32_e32 v3, 7, v2
	v_ffbh_u32_e32 v13, v3
	v_min_u32_e32 v13, 32, v13
	v_subrev_u32_e32 v16, 28, v13
	v_lshlrev_b64 v[16:17], v16, v[2:3]
	v_lshrrev_b32_e32 v5, 3, v4
	v_sub_u32_e32 v13, 29, v13
	v_and_b32_e32 v16, 7, v16
	v_cmp_gt_u32_e32 vcc, 8, v4
	v_cndmask_b32_e32 v4, v5, v13, vcc
	v_cndmask_b32_e32 v3, v3, v16, vcc
	v_lshlrev_b32_e32 v2, 24, v2
	v_bfrev_b32_e32 v5, 60
	v_lshlrev_b32_e32 v3, 20, v3
	v_and_b32_e32 v2, 0x80000000, v2
	v_lshl_add_u32 v4, v4, 23, v5
	v_or3_b32 v2, v2, v4, v3
	v_lshrrev_b32_e32 v3, 16, v2
.LBB716_788:
	s_or_b64 exec, exec, s[8:9]
.LBB716_789:
	s_or_b64 exec, exec, s[6:7]
.LBB716_790:
	s_or_b64 exec, exec, s[0:1]
	s_mov_b32 s0, 0x5040100
	v_perm_b32 v5, v10, v9, s0
	v_perm_b32 v4, v7, v8, s0
	;; [unrolled: 1-line block ×4, first 2 shown]
	v_mfma_f32_4x4x4bf16_1k a[0:3], v[14:15], v[4:5], a[0:3] cbsz:4 abid:14
	s_load_dword s0, s[14:15], 0x0
	v_mfma_f32_4x4x4bf16_1k a[0:3], v[14:15], v[2:3], a[0:3] cbsz:4 abid:15
	s_nop 4
	v_accvgpr_read_b32 v5, a1
	v_accvgpr_read_b32 v4, a0
	;; [unrolled: 1-line block ×4, first 2 shown]
	s_waitcnt lgkmcnt(0)
	v_pk_mul_f32 v[4:5], v[4:5], s[0:1] op_sel_hi:[1,0]
	v_pk_mul_f32 v[2:3], v[2:3], s[0:1] op_sel_hi:[1,0]
	v_bfe_u32 v6, v5, 16, 1
	v_bfe_u32 v7, v4, 16, 1
	s_movk_i32 s0, 0x7fff
	v_add3_u32 v4, v4, v7, s0
	v_add3_u32 v5, v5, v6, s0
	v_bfe_u32 v6, v3, 16, 1
	v_bfe_u32 v7, v2, 16, 1
	v_add3_u32 v2, v2, v7, s0
	v_add3_u32 v3, v3, v6, s0
	s_mov_b32 s0, 0x7060302
	v_perm_b32 v23, v3, v2, s0
	v_perm_b32 v22, v5, v4, s0
.LBB716_791:
	s_or_b64 exec, exec, s[4:5]
	v_lshlrev_b32_e32 v1, 3, v1
	v_mad_u32_u24 v1, v42, 40, v1
	v_cmp_gt_u32_e32 vcc, 64, v0
	ds_write_b64 v1, v[22:23]
	s_waitcnt lgkmcnt(0)
	s_barrier
	s_and_saveexec_b64 s[0:1], vcc
	s_cbranch_execz .LBB716_793
; %bb.792:
	v_mul_u32_u24_e32 v1, 40, v42
	s_waitcnt vmcnt(1)
	ds_read2_b64 v[2:5], v1 offset1:1
	s_waitcnt vmcnt(0)
	ds_read2_b64 v[6:9], v1 offset0:2 offset1:3
	s_mov_b32 s1, 0
	s_lshl_b32 s0, s2, 6
	s_lshl_b64 s[2:3], s[0:1], 1
	s_waitcnt lgkmcnt(1)
	v_and_b32_e32 v1, 0xffff0000, v2
	v_lshlrev_b32_e32 v3, 16, v3
	v_add_f32_e32 v1, 0, v1
	v_add_f32_e32 v3, 0, v3
	v_and_b32_e32 v1, 0xffff0000, v1
	v_and_b32_e32 v10, 0xffff0000, v4
	;; [unrolled: 1-line block ×3, first 2 shown]
	v_add_f32_e32 v1, v1, v10
	v_lshlrev_b32_e32 v5, 16, v5
	v_and_b32_e32 v1, 0xffff0000, v1
	v_add_f32_e32 v3, v3, v5
	s_waitcnt lgkmcnt(0)
	v_and_b32_e32 v5, 0xffff0000, v6
	v_and_b32_e32 v3, 0xffff0000, v3
	v_add_f32_e32 v1, v1, v5
	v_lshlrev_b32_e32 v5, 16, v7
	v_and_b32_e32 v1, 0xffff0000, v1
	v_add_f32_e32 v3, v3, v5
	v_and_b32_e32 v5, 0xffff0000, v8
	v_lshlrev_b32_e32 v2, 16, v2
	v_and_b32_e32 v3, 0xffff0000, v3
	v_add_f32_e32 v1, v1, v5
	v_lshlrev_b32_e32 v5, 16, v9
	s_add_u32 s2, s24, s2
	v_add_f32_e32 v2, 0, v2
	v_add_f32_e32 v7, v3, v5
	s_addc_u32 s3, s25, s3
	s_lshl_b32 s0, s10, 6
	v_and_b32_e32 v2, 0xffff0000, v2
	v_lshlrev_b32_e32 v3, 16, v4
	s_lshl_b64 s[0:1], s[0:1], 1
	v_add_f32_e32 v2, v2, v3
	s_add_u32 s0, s2, s0
	v_and_b32_e32 v2, 0xffff0000, v2
	v_lshlrev_b32_e32 v3, 16, v6
	s_addc_u32 s1, s3, s1
	s_lshl_b32 s2, s40, 6
	v_add_f32_e32 v2, v2, v3
	v_and_b32_e32 v2, 0xffff0000, v2
	v_lshlrev_b32_e32 v3, 16, v8
	s_mul_i32 s3, s2, s33
	v_add_f32_e32 v6, v2, v3
	v_or_b32_e32 v2, s3, v0
	v_mov_b32_e32 v3, 0
	v_lshlrev_b64 v[4:5], 1, v[2:3]
	v_mov_b32_e32 v2, s1
	v_add_co_u32_e32 v4, vcc, s0, v4
	s_add_i32 s3, s3, s2
	v_addc_co_u32_e32 v5, vcc, v2, v5, vcc
	v_or_b32_e32 v2, s3, v0
	global_store_short_d16_hi v[4:5], v6, off
	v_lshlrev_b64 v[4:5], 1, v[2:3]
	v_mov_b32_e32 v2, s1
	v_add_co_u32_e32 v4, vcc, s0, v4
	s_add_i32 s3, s3, s2
	v_addc_co_u32_e32 v5, vcc, v2, v5, vcc
	v_or_b32_e32 v2, s3, v0
	global_store_short_d16_hi v[4:5], v1, off
	v_lshlrev_b64 v[0:1], 1, v[2:3]
	v_mov_b32_e32 v2, s1
	v_add_co_u32_e32 v0, vcc, s0, v0
	v_addc_co_u32_e32 v1, vcc, v2, v1, vcc
	global_store_short_d16_hi v[0:1], v7, off
.LBB716_793:
	s_endpgm
	.section	.rodata,"a",@progbits
	.p2align	6, 0x0
	.amdhsa_kernel _Z38paged_attention_ll4mi_QKV_mfma4_kernelI14__hip_bfloat16hLN4vllm18Fp8KVCacheDataTypeE1ES0_Li32ELi64ELi256ELb1ELi3EEvPKT_PKT0_S8_ifPKiSA_SA_iPKfiiiPfSD_PS3_PT2_iSC_SC_
		.amdhsa_group_segment_fixed_size 2720
		.amdhsa_private_segment_fixed_size 0
		.amdhsa_kernarg_size 400
		.amdhsa_user_sgpr_count 6
		.amdhsa_user_sgpr_private_segment_buffer 1
		.amdhsa_user_sgpr_dispatch_ptr 0
		.amdhsa_user_sgpr_queue_ptr 0
		.amdhsa_user_sgpr_kernarg_segment_ptr 1
		.amdhsa_user_sgpr_dispatch_id 0
		.amdhsa_user_sgpr_flat_scratch_init 0
		.amdhsa_user_sgpr_kernarg_preload_length 0
		.amdhsa_user_sgpr_kernarg_preload_offset 0
		.amdhsa_user_sgpr_private_segment_size 0
		.amdhsa_uses_dynamic_stack 0
		.amdhsa_system_sgpr_private_segment_wavefront_offset 0
		.amdhsa_system_sgpr_workgroup_id_x 1
		.amdhsa_system_sgpr_workgroup_id_y 1
		.amdhsa_system_sgpr_workgroup_id_z 1
		.amdhsa_system_sgpr_workgroup_info 0
		.amdhsa_system_vgpr_workitem_id 0
		.amdhsa_next_free_vgpr 60
		.amdhsa_next_free_sgpr 46
		.amdhsa_accum_offset 56
		.amdhsa_reserve_vcc 1
		.amdhsa_reserve_flat_scratch 0
		.amdhsa_float_round_mode_32 0
		.amdhsa_float_round_mode_16_64 0
		.amdhsa_float_denorm_mode_32 3
		.amdhsa_float_denorm_mode_16_64 3
		.amdhsa_dx10_clamp 1
		.amdhsa_ieee_mode 1
		.amdhsa_fp16_overflow 0
		.amdhsa_tg_split 0
		.amdhsa_exception_fp_ieee_invalid_op 0
		.amdhsa_exception_fp_denorm_src 0
		.amdhsa_exception_fp_ieee_div_zero 0
		.amdhsa_exception_fp_ieee_overflow 0
		.amdhsa_exception_fp_ieee_underflow 0
		.amdhsa_exception_fp_ieee_inexact 0
		.amdhsa_exception_int_div_zero 0
	.end_amdhsa_kernel
	.section	.text._Z38paged_attention_ll4mi_QKV_mfma4_kernelI14__hip_bfloat16hLN4vllm18Fp8KVCacheDataTypeE1ES0_Li32ELi64ELi256ELb1ELi3EEvPKT_PKT0_S8_ifPKiSA_SA_iPKfiiiPfSD_PS3_PT2_iSC_SC_,"axG",@progbits,_Z38paged_attention_ll4mi_QKV_mfma4_kernelI14__hip_bfloat16hLN4vllm18Fp8KVCacheDataTypeE1ES0_Li32ELi64ELi256ELb1ELi3EEvPKT_PKT0_S8_ifPKiSA_SA_iPKfiiiPfSD_PS3_PT2_iSC_SC_,comdat
.Lfunc_end716:
	.size	_Z38paged_attention_ll4mi_QKV_mfma4_kernelI14__hip_bfloat16hLN4vllm18Fp8KVCacheDataTypeE1ES0_Li32ELi64ELi256ELb1ELi3EEvPKT_PKT0_S8_ifPKiSA_SA_iPKfiiiPfSD_PS3_PT2_iSC_SC_, .Lfunc_end716-_Z38paged_attention_ll4mi_QKV_mfma4_kernelI14__hip_bfloat16hLN4vllm18Fp8KVCacheDataTypeE1ES0_Li32ELi64ELi256ELb1ELi3EEvPKT_PKT0_S8_ifPKiSA_SA_iPKfiiiPfSD_PS3_PT2_iSC_SC_
                                        ; -- End function
	.section	.AMDGPU.csdata,"",@progbits
; Kernel info:
; codeLenInByte = 29264
; NumSgprs: 50
; NumVgprs: 56
; NumAgprs: 4
; TotalNumVgprs: 60
; ScratchSize: 0
; MemoryBound: 0
; FloatMode: 240
; IeeeMode: 1
; LDSByteSize: 2720 bytes/workgroup (compile time only)
; SGPRBlocks: 6
; VGPRBlocks: 7
; NumSGPRsForWavesPerEU: 50
; NumVGPRsForWavesPerEU: 60
; AccumOffset: 56
; Occupancy: 8
; WaveLimiterHint : 1
; COMPUTE_PGM_RSRC2:SCRATCH_EN: 0
; COMPUTE_PGM_RSRC2:USER_SGPR: 6
; COMPUTE_PGM_RSRC2:TRAP_HANDLER: 0
; COMPUTE_PGM_RSRC2:TGID_X_EN: 1
; COMPUTE_PGM_RSRC2:TGID_Y_EN: 1
; COMPUTE_PGM_RSRC2:TGID_Z_EN: 1
; COMPUTE_PGM_RSRC2:TIDIG_COMP_CNT: 0
; COMPUTE_PGM_RSRC3_GFX90A:ACCUM_OFFSET: 13
; COMPUTE_PGM_RSRC3_GFX90A:TG_SPLIT: 0
	.section	.text._Z38paged_attention_ll4mi_QKV_mfma4_kernelI14__hip_bfloat16hLN4vllm18Fp8KVCacheDataTypeE1ES0_Li32ELi64ELi256ELb1ELi4EEvPKT_PKT0_S8_ifPKiSA_SA_iPKfiiiPfSD_PS3_PT2_iSC_SC_,"axG",@progbits,_Z38paged_attention_ll4mi_QKV_mfma4_kernelI14__hip_bfloat16hLN4vllm18Fp8KVCacheDataTypeE1ES0_Li32ELi64ELi256ELb1ELi4EEvPKT_PKT0_S8_ifPKiSA_SA_iPKfiiiPfSD_PS3_PT2_iSC_SC_,comdat
	.protected	_Z38paged_attention_ll4mi_QKV_mfma4_kernelI14__hip_bfloat16hLN4vllm18Fp8KVCacheDataTypeE1ES0_Li32ELi64ELi256ELb1ELi4EEvPKT_PKT0_S8_ifPKiSA_SA_iPKfiiiPfSD_PS3_PT2_iSC_SC_ ; -- Begin function _Z38paged_attention_ll4mi_QKV_mfma4_kernelI14__hip_bfloat16hLN4vllm18Fp8KVCacheDataTypeE1ES0_Li32ELi64ELi256ELb1ELi4EEvPKT_PKT0_S8_ifPKiSA_SA_iPKfiiiPfSD_PS3_PT2_iSC_SC_
	.globl	_Z38paged_attention_ll4mi_QKV_mfma4_kernelI14__hip_bfloat16hLN4vllm18Fp8KVCacheDataTypeE1ES0_Li32ELi64ELi256ELb1ELi4EEvPKT_PKT0_S8_ifPKiSA_SA_iPKfiiiPfSD_PS3_PT2_iSC_SC_
	.p2align	8
	.type	_Z38paged_attention_ll4mi_QKV_mfma4_kernelI14__hip_bfloat16hLN4vllm18Fp8KVCacheDataTypeE1ES0_Li32ELi64ELi256ELb1ELi4EEvPKT_PKT0_S8_ifPKiSA_SA_iPKfiiiPfSD_PS3_PT2_iSC_SC_,@function
_Z38paged_attention_ll4mi_QKV_mfma4_kernelI14__hip_bfloat16hLN4vllm18Fp8KVCacheDataTypeE1ES0_Li32ELi64ELi256ELb1ELi4EEvPKT_PKT0_S8_ifPKiSA_SA_iPKfiiiPfSD_PS3_PT2_iSC_SC_: ; @_Z38paged_attention_ll4mi_QKV_mfma4_kernelI14__hip_bfloat16hLN4vllm18Fp8KVCacheDataTypeE1ES0_Li32ELi64ELi256ELb1ELi4EEvPKT_PKT0_S8_ifPKiSA_SA_iPKfiiiPfSD_PS3_PT2_iSC_SC_
; %bb.0:
	s_load_dwordx2 s[2:3], s[4:5], 0x30
	s_mov_b32 s10, s7
	s_mov_b64 s[0:1], 0
	s_waitcnt lgkmcnt(0)
	s_cmp_lg_u64 s[2:3], 0
	s_cselect_b64 s[20:21], -1, 0
	s_and_b64 vcc, exec, s[20:21]
	s_cbranch_vccz .LBB717_786
; %bb.1:
	s_add_i32 s12, s6, 1
	s_mov_b32 s13, 0
	s_lshl_b64 s[14:15], s[12:13], 2
	s_add_u32 s14, s2, s14
	s_mov_b32 s7, s13
	s_addc_u32 s15, s3, s15
	s_lshl_b64 s[12:13], s[6:7], 2
	s_add_u32 s12, s2, s12
	s_addc_u32 s13, s3, s13
	s_load_dword s9, s[14:15], 0x0
	s_load_dword s11, s[12:13], 0x0
	s_mov_b64 s[36:37], s[6:7]
	s_waitcnt lgkmcnt(0)
	s_sub_i32 s9, s9, s11
	s_cmp_eq_u32 s9, 1
	s_cselect_b64 s[12:13], -1, 0
	s_andn2_b64 vcc, exec, s[0:1]
	s_cbranch_vccnz .LBB717_3
.LBB717_2:
	s_mov_b32 s7, 0
	s_mov_b64 s[12:13], -1
	s_mov_b64 s[36:37], s[6:7]
.LBB717_3:
	s_andn2_b64 vcc, exec, s[12:13]
	s_cbranch_vccnz .LBB717_785
; %bb.4:
	s_load_dword s7, s[4:5], 0x9c
	s_load_dwordx2 s[0:1], s[4:5], 0x28
	s_add_u32 s30, s4, 0x90
	s_addc_u32 s31, s5, 0
	s_lshl_b64 s[22:23], s[36:37], 2
	s_waitcnt lgkmcnt(0)
	s_and_b32 s9, s7, 0xffff
	s_add_u32 s0, s0, s22
	s_addc_u32 s1, s1, s23
	s_load_dword s7, s[0:1], 0x0
	s_mul_i32 s9, s10, s9
	s_waitcnt lgkmcnt(0)
	s_cmp_ge_i32 s9, s7
	s_cbranch_scc1 .LBB717_785
; %bb.5:
	v_and_b32_e32 v2, 0xc0, v0
	v_and_b32_e32 v44, 3, v0
	s_lshl_b32 s33, s8, 2
	v_add_u32_e32 v4, s9, v2
	v_lshrrev_b32_e32 v1, 6, v0
	v_cmp_gt_i32_e64 s[0:1], s7, v4
	v_cmp_le_i32_e32 vcc, s7, v4
	v_or_b32_e32 v38, s33, v44
                                        ; implicit-def: $sgpr24
                                        ; implicit-def: $sgpr11
	s_and_saveexec_b64 s[12:13], vcc
	s_xor_b64 s[12:13], exec, s[12:13]
	s_cbranch_execz .LBB717_7
; %bb.6:
	v_mul_u32_u24_e32 v2, 20, v1
	v_or_b32_e32 v2, 0xa00, v2
	v_mov_b32_e32 v3, 0xa50
	v_mov_b32_e32 v4, 0xff7fffff
	v_mad_u32_u24 v3, v1, 20, v3
	ds_write2_b32 v2, v4, v4 offset1:1
	v_mov_b32_e32 v2, 0
	ds_write2_b32 v3, v2, v2 offset1:1
	v_mov_b32_e32 v3, 0xa08
	s_mov_b32 s11, 0xff7fffff
	s_mov_b32 s24, 0
	v_mad_u32_u24 v3, v1, 20, v3
	v_mov_b32_e32 v5, 0xa58
	v_or_b32_e32 v38, s33, v44
	v_mad_u32_u24 v5, v1, 20, v5
	ds_write2_b32 v3, v4, v4 offset1:1
	ds_write2_b32 v5, v2, v2 offset1:1
                                        ; implicit-def: $vgpr4
.LBB717_7:
	s_or_saveexec_b64 s[34:35], s[12:13]
	s_load_dwordx2 s[28:29], s[4:5], 0x68
	s_load_dwordx4 s[16:19], s[4:5], 0x58
	s_load_dword s44, s[30:31], 0x4
	s_load_dwordx4 s[12:15], s[4:5], 0x80
	v_and_b32_e32 v43, 63, v0
	v_mov_b32_e32 v21, s24
	v_mov_b32_e32 v25, s11
	;; [unrolled: 1-line block ×5, first 2 shown]
                                        ; implicit-def: $vgpr14_vgpr15
                                        ; implicit-def: $vgpr10_vgpr11
                                        ; implicit-def: $vgpr6_vgpr7
                                        ; implicit-def: $vgpr2_vgpr3
	s_xor_b64 exec, exec, s[34:35]
	s_cbranch_execz .LBB717_397
; %bb.8:
	s_add_i32 s26, s7, 31
	s_ashr_i32 s27, s26, 31
	s_load_dwordx2 s[24:25], s[4:5], 0x20
	s_load_dword s11, s[4:5], 0x38
	s_lshr_b32 s27, s27, 27
	v_add_u32_e32 v45, s9, v0
	s_add_i32 s26, s26, s27
	v_ashrrev_i32_e32 v2, 31, v45
	s_ashr_i32 s26, s26, 5
	v_lshrrev_b32_e32 v2, 27, v2
	s_add_i32 s40, s26, -1
	v_add_u32_e32 v2, v45, v2
	v_ashrrev_i32_e32 v2, 5, v2
	v_mov_b32_e32 v3, s40
	v_cmp_gt_i32_e32 vcc, s7, v45
	s_waitcnt lgkmcnt(0)
	s_mul_i32 s38, s6, s11
	s_mov_b32 s39, 0
	v_cndmask_b32_e32 v2, v3, v2, vcc
	s_lshl_b64 s[26:27], s[38:39], 2
	v_ashrrev_i32_e32 v3, 31, v2
	s_add_u32 s11, s24, s26
	v_lshlrev_b64 v[2:3], 2, v[2:3]
	v_add_co_u32_e32 v6, vcc, s11, v2
	v_ashrrev_i32_e32 v2, 31, v4
	v_lshrrev_b32_e32 v2, 27, v2
	v_add_u32_e32 v2, v4, v2
	s_addc_u32 s24, s25, s27
	v_ashrrev_i32_e32 v4, 5, v2
	v_mov_b32_e32 v5, s24
	v_min_i32_e32 v2, s40, v4
	v_addc_co_u32_e32 v7, vcc, v5, v3, vcc
	v_ashrrev_i32_e32 v3, 31, v2
	v_lshlrev_b64 v[2:3], 2, v[2:3]
	v_add_co_u32_e32 v8, vcc, s11, v2
	v_add_u32_e32 v2, 1, v4
	v_min_i32_e32 v2, s40, v2
	v_addc_co_u32_e32 v9, vcc, v5, v3, vcc
	v_ashrrev_i32_e32 v3, 31, v2
	v_lshlrev_b64 v[2:3], 2, v[2:3]
	v_mov_b32_e32 v4, s24
	v_add_co_u32_e32 v10, vcc, s11, v2
	v_addc_co_u32_e32 v11, vcc, v4, v3, vcc
	global_load_dword v4, v[6:7], off
	global_load_dword v3, v[8:9], off
	;; [unrolled: 1-line block ×3, first 2 shown]
	s_load_dwordx2 s[42:43], s[4:5], 0x40
	s_load_dwordx4 s[24:27], s[4:5], 0x0
	s_load_dwordx2 s[40:41], s[4:5], 0x10
	s_andn2_b64 vcc, exec, s[20:21]
	s_cbranch_vccnz .LBB717_10
; %bb.9:
	s_add_u32 s2, s2, s22
	s_addc_u32 s3, s3, s23
	s_load_dword s38, s[2:3], 0x0
	s_waitcnt lgkmcnt(0)
	s_mov_b64 s[36:37], s[38:39]
.LBB717_10:
	s_load_dwordx4 s[20:23], s[4:5], 0x48
	v_lshrrev_b32_e32 v5, 2, v43
	v_lshlrev_b32_e32 v6, 3, v44
	v_add_lshl_u32 v5, v6, v5, 4
	v_mov_b32_e32 v39, 0
	s_waitcnt lgkmcnt(0)
	s_ashr_i32 s3, s20, 31
	s_mul_hi_u32 s9, s36, s20
	s_mul_i32 s3, s36, s3
	s_mul_i32 s11, s37, s20
	s_add_i32 s3, s9, s3
	s_mul_i32 s2, s36, s20
	s_add_i32 s3, s3, s11
	s_lshl_b64 s[2:3], s[2:3], 1
	s_add_u32 s9, s24, s2
	s_addc_u32 s11, s25, s3
	s_lshl_b32 s38, s8, 8
	s_lshl_b64 s[2:3], s[38:39], 1
	s_add_u32 s2, s9, s2
	s_addc_u32 s3, s11, s3
	s_mul_i32 s8, s8, s22
	global_load_dwordx4 v[18:21], v5, s[2:3]
	s_add_u32 s2, s8, s26
	s_addc_u32 s3, 0, s27
	v_pk_mov_b32 v[6:7], s[2:3], s[2:3] op_sel:[0,1]
	s_waitcnt vmcnt(3)
	v_mad_i64_i32 v[4:5], s[2:3], v4, s21, v[6:7]
	v_lshlrev_b32_e32 v6, 4, v0
	v_and_b32_e32 v6, 0x1f0, v6
	v_add_co_u32_e32 v4, vcc, v4, v6
	v_addc_co_u32_e32 v5, vcc, 0, v5, vcc
	global_load_dwordx4 v[34:37], v[4:5], off
	global_load_dwordx4 v[30:33], v[4:5], off offset:512
	global_load_dwordx4 v[26:29], v[4:5], off offset:1024
	;; [unrolled: 1-line block ×3, first 2 shown]
	v_lshlrev_b64 v[4:5], 2, v[38:39]
	v_mov_b32_e32 v6, s43
	v_add_co_u32_e32 v4, vcc, s42, v4
	v_addc_co_u32_e32 v5, vcc, v6, v5, vcc
	global_load_dword v46, v[4:5], off
	s_add_u32 s2, s40, s8
	v_lshlrev_b32_e32 v4, 5, v43
	s_addc_u32 s3, s41, 0
	v_add_co_u32_e32 v6, vcc, s2, v4
	s_waitcnt vmcnt(7)
	v_mul_hi_i32 v4, v3, s21
	v_mov_b32_e32 v5, s3
	v_ashrrev_i32_e32 v4, 31, v4
	v_addc_co_u32_e32 v7, vcc, 0, v5, vcc
	v_lshrrev_b32_e32 v4, 29, v4
	v_mov_b32_e32 v5, v39
	v_mad_i64_i32 v[4:5], s[2:3], v3, s21, v[4:5]
	v_and_b32_e32 v3, -8, v4
	v_add_co_u32_e32 v4, vcc, v6, v3
	s_waitcnt vmcnt(6)
	v_mul_hi_i32 v3, v2, s21
	v_addc_co_u32_e32 v5, vcc, v7, v5, vcc
	v_ashrrev_i32_e32 v3, 31, v3
	global_load_dwordx4 v[10:13], v[4:5], off offset:16
	global_load_dwordx4 v[14:17], v[4:5], off
	v_lshrrev_b32_e32 v4, 29, v3
	v_mov_b32_e32 v5, v39
	v_mad_i64_i32 v[2:3], s[2:3], v2, s21, v[4:5]
	v_and_b32_e32 v2, -8, v2
	v_add_co_u32_e32 v40, vcc, v6, v2
	v_addc_co_u32_e32 v41, vcc, v7, v3, vcc
	global_load_dwordx4 v[2:5], v[40:41], off offset:16
	global_load_dwordx4 v[6:9], v[40:41], off
	v_mov_b32_e32 v47, 0
	s_waitcnt vmcnt(8)
	v_cmp_ne_u16_sdwa s[8:9], v34, v39 src0_sel:BYTE_0 src1_sel:DWORD
	s_and_saveexec_b64 s[2:3], s[8:9]
	s_cbranch_execz .LBB717_16
; %bb.11:
	s_movk_i32 s8, 0x80
	v_cmp_ne_u16_sdwa s[20:21], v34, s8 src0_sel:BYTE_0 src1_sel:DWORD
	v_mov_b32_e32 v47, 0xffff8000
	s_and_saveexec_b64 s[8:9], s[20:21]
	s_cbranch_execz .LBB717_15
; %bb.12:
	s_movk_i32 s11, 0x7f
	v_and_b32_e32 v40, 0x7f, v34
	v_cmp_ne_u32_e32 vcc, s11, v40
	v_mov_b32_e32 v47, 0x7f80
	s_and_saveexec_b64 s[20:21], vcc
	s_cbranch_execz .LBB717_14
; %bb.13:
	v_and_b32_e32 v41, 7, v34
	v_ffbh_u32_e32 v41, v41
	v_min_u32_e32 v41, 32, v41
	v_subrev_u32_e32 v47, 28, v41
	v_cmp_gt_u32_e32 vcc, 8, v40
	v_lshrrev_b32_e32 v42, 3, v40
	v_sub_u32_e32 v41, 29, v41
	v_cndmask_b32_e32 v40, 0, v47, vcc
	v_cndmask_b32_e32 v42, v42, v41, vcc
	v_lshlrev_b64 v[40:41], v40, v[34:35]
	v_lshlrev_b32_e32 v40, 20, v40
	v_lshlrev_b32_e32 v41, 24, v34
	v_bfrev_b32_e32 v47, 60
	v_and_b32_e32 v40, 0x700000, v40
	v_and_b32_e32 v41, 0x80000000, v41
	v_lshl_add_u32 v42, v42, 23, v47
	v_or3_b32 v40, v41, v42, v40
	v_lshrrev_b32_e32 v47, 16, v40
.LBB717_14:
	s_or_b64 exec, exec, s[20:21]
.LBB717_15:
	s_or_b64 exec, exec, s[8:9]
.LBB717_16:
	s_or_b64 exec, exec, s[2:3]
	v_lshrrev_b16_e32 v40, 8, v34
	v_cmp_ne_u16_e32 vcc, 0, v40
	s_and_saveexec_b64 s[2:3], vcc
	s_cbranch_execz .LBB717_22
; %bb.17:
	s_movk_i32 s8, 0x80
	v_cmp_ne_u16_sdwa s[20:21], v34, s8 src0_sel:BYTE_1 src1_sel:DWORD
	v_mov_b32_e32 v39, 0xffff8000
	s_and_saveexec_b64 s[8:9], s[20:21]
	s_cbranch_execz .LBB717_21
; %bb.18:
	s_movk_i32 s11, 0x7f
	v_and_b32_e32 v41, 0x7f, v40
	v_cmp_ne_u32_e32 vcc, s11, v41
	v_mov_b32_e32 v39, 0x7f80
	s_and_saveexec_b64 s[20:21], vcc
	s_cbranch_execz .LBB717_20
; %bb.19:
	v_and_b32_e32 v39, 7, v40
	v_ffbh_u32_e32 v48, v39
	v_min_u32_e32 v50, 32, v48
	v_subrev_u32_e32 v48, 28, v50
	v_lshlrev_b64 v[48:49], v48, v[40:41]
	v_lshrrev_b32_e32 v42, 3, v41
	v_sub_u32_e32 v40, 29, v50
	v_and_b32_e32 v48, 7, v48
	v_cmp_gt_u32_e32 vcc, 8, v41
	v_cndmask_b32_e32 v40, v42, v40, vcc
	v_cndmask_b32_e32 v39, v39, v48, vcc
	v_lshlrev_b32_e32 v41, 16, v34
	v_bfrev_b32_e32 v42, 60
	v_lshlrev_b32_e32 v39, 20, v39
	v_and_b32_e32 v41, 0x80000000, v41
	v_lshl_add_u32 v40, v40, 23, v42
	v_or3_b32 v39, v41, v40, v39
	v_lshrrev_b32_e32 v39, 16, v39
.LBB717_20:
	s_or_b64 exec, exec, s[20:21]
.LBB717_21:
	s_or_b64 exec, exec, s[8:9]
.LBB717_22:
	s_or_b64 exec, exec, s[2:3]
	s_movk_i32 s2, 0xff
	v_and_b32_sdwa v42, v34, s2 dst_sel:DWORD dst_unused:UNUSED_PAD src0_sel:WORD_1 src1_sel:DWORD
	v_lshrrev_b32_e32 v40, 16, v34
	v_cmp_ne_u16_e32 vcc, 0, v42
	v_mov_b32_e32 v41, 0
	v_mov_b32_e32 v48, 0
	s_and_saveexec_b64 s[2:3], vcc
	s_cbranch_execz .LBB717_28
; %bb.23:
	s_movk_i32 s8, 0x80
	v_cmp_ne_u16_e32 vcc, s8, v42
	v_mov_b32_e32 v48, 0xffff8000
	s_and_saveexec_b64 s[8:9], vcc
	s_cbranch_execz .LBB717_27
; %bb.24:
	v_bfe_u32 v42, v34, 16, 7
	s_movk_i32 s11, 0x7f
	v_cmp_ne_u32_e32 vcc, s11, v42
	v_mov_b32_e32 v48, 0x7f80
	s_and_saveexec_b64 s[20:21], vcc
	s_cbranch_execz .LBB717_26
; %bb.25:
	v_and_b32_e32 v50, 7, v40
	v_ffbh_u32_e32 v48, v50
	v_min_u32_e32 v52, 32, v48
	v_subrev_u32_e32 v48, 28, v52
	v_lshlrev_b64 v[48:49], v48, v[40:41]
	v_and_b32_e32 v48, 7, v48
	v_cmp_gt_u32_e32 vcc, 8, v42
	v_lshrrev_b32_e32 v51, 3, v42
	v_sub_u32_e32 v40, 29, v52
	v_cndmask_b32_e32 v42, v50, v48, vcc
	v_mov_b32_e32 v48, 24
	v_cndmask_b32_e32 v40, v51, v40, vcc
	v_lshlrev_b32_sdwa v48, v48, v34 dst_sel:DWORD dst_unused:UNUSED_PAD src0_sel:DWORD src1_sel:WORD_1
	v_bfrev_b32_e32 v49, 60
	v_lshlrev_b32_e32 v42, 20, v42
	v_and_b32_e32 v48, 0x80000000, v48
	v_lshl_add_u32 v40, v40, 23, v49
	v_or3_b32 v40, v48, v40, v42
	v_lshrrev_b32_e32 v48, 16, v40
.LBB717_26:
	s_or_b64 exec, exec, s[20:21]
.LBB717_27:
	s_or_b64 exec, exec, s[8:9]
.LBB717_28:
	s_or_b64 exec, exec, s[2:3]
	s_mov_b32 s2, 0xffffff
	v_cmp_lt_u32_e32 vcc, s2, v34
	v_mov_b32_e32 v49, 0
	s_and_saveexec_b64 s[2:3], vcc
	s_cbranch_execz .LBB717_34
; %bb.29:
	v_lshrrev_b32_e32 v40, 24, v34
	s_movk_i32 s8, 0x80
	v_cmp_ne_u32_e32 vcc, s8, v40
	v_mov_b32_e32 v49, 0xffff8000
	s_and_saveexec_b64 s[8:9], vcc
	s_cbranch_execz .LBB717_33
; %bb.30:
	v_bfe_u32 v42, v34, 24, 7
	s_movk_i32 s11, 0x7f
	v_cmp_ne_u32_e32 vcc, s11, v42
	v_mov_b32_e32 v49, 0x7f80
	s_and_saveexec_b64 s[20:21], vcc
	s_cbranch_execz .LBB717_32
; %bb.31:
	v_and_b32_e32 v49, 7, v40
	v_ffbh_u32_e32 v50, v49
	v_min_u32_e32 v53, 32, v50
	v_subrev_u32_e32 v50, 28, v53
	v_lshlrev_b64 v[50:51], v50, v[40:41]
	v_lshrrev_b32_e32 v52, 3, v42
	v_sub_u32_e32 v51, 29, v53
	v_and_b32_e32 v50, 7, v50
	v_cmp_gt_u32_e32 vcc, 8, v42
	v_cndmask_b32_e32 v42, v52, v51, vcc
	v_cndmask_b32_e32 v49, v49, v50, vcc
	v_lshlrev_b32_e32 v40, 24, v40
	v_bfrev_b32_e32 v50, 60
	v_lshlrev_b32_e32 v49, 20, v49
	v_and_b32_e32 v40, 0x80000000, v40
	v_lshl_add_u32 v42, v42, 23, v50
	v_or3_b32 v40, v40, v42, v49
	v_lshrrev_b32_e32 v49, 16, v40
.LBB717_32:
	s_or_b64 exec, exec, s[20:21]
.LBB717_33:
	s_or_b64 exec, exec, s[8:9]
.LBB717_34:
	s_or_b64 exec, exec, s[2:3]
	v_mov_b32_e32 v50, 0
	v_mov_b32_e32 v40, v35
	v_cmp_ne_u16_sdwa s[8:9], v35, v50 src0_sel:BYTE_0 src1_sel:DWORD
	v_mov_b32_e32 v51, 0
	s_and_saveexec_b64 s[2:3], s[8:9]
	s_cbranch_execz .LBB717_40
; %bb.35:
	s_movk_i32 s8, 0x80
	v_cmp_ne_u16_sdwa s[20:21], v35, s8 src0_sel:BYTE_0 src1_sel:DWORD
	v_mov_b32_e32 v51, 0xffff8000
	s_and_saveexec_b64 s[8:9], s[20:21]
	s_cbranch_execz .LBB717_39
; %bb.36:
	s_movk_i32 s11, 0x7f
	v_and_b32_e32 v42, 0x7f, v35
	v_cmp_ne_u32_e32 vcc, s11, v42
	v_mov_b32_e32 v51, 0x7f80
	s_and_saveexec_b64 s[20:21], vcc
	s_cbranch_execz .LBB717_38
; %bb.37:
	v_and_b32_e32 v51, 7, v35
	v_ffbh_u32_e32 v51, v51
	v_min_u32_e32 v51, 32, v51
	v_lshrrev_b32_e32 v52, 3, v42
	v_subrev_u32_e32 v53, 28, v51
	v_sub_u32_e32 v51, 29, v51
	v_cmp_gt_u32_e32 vcc, 8, v42
	v_cndmask_b32_e32 v42, v52, v51, vcc
	v_cndmask_b32_e32 v51, 0, v53, vcc
	v_lshlrev_b64 v[52:53], v51, v[40:41]
	v_lshlrev_b32_e32 v41, 20, v52
	v_lshlrev_b32_e32 v51, 24, v40
	v_bfrev_b32_e32 v52, 60
	v_and_b32_e32 v41, 0x700000, v41
	v_and_b32_e32 v51, 0x80000000, v51
	v_lshl_add_u32 v42, v42, 23, v52
	v_or3_b32 v41, v51, v42, v41
	v_lshrrev_b32_e32 v51, 16, v41
.LBB717_38:
	s_or_b64 exec, exec, s[20:21]
.LBB717_39:
	s_or_b64 exec, exec, s[8:9]
.LBB717_40:
	s_or_b64 exec, exec, s[2:3]
	v_lshrrev_b16_e32 v42, 8, v40
	v_cmp_ne_u16_e32 vcc, 0, v42
	s_and_saveexec_b64 s[2:3], vcc
	s_cbranch_execz .LBB717_46
; %bb.41:
	s_movk_i32 s8, 0x80
	v_cmp_ne_u16_e32 vcc, s8, v42
	v_mov_b32_e32 v50, 0xffff8000
	s_and_saveexec_b64 s[8:9], vcc
	s_cbranch_execz .LBB717_45
; %bb.42:
	s_movk_i32 s11, 0x7f
	v_and_b32_e32 v41, 0x7f, v42
	v_cmp_ne_u32_e32 vcc, s11, v41
	v_mov_b32_e32 v50, 0x7f80
	s_and_saveexec_b64 s[20:21], vcc
	s_cbranch_execz .LBB717_44
; %bb.43:
	v_and_b32_e32 v50, 7, v42
	v_ffbh_u32_e32 v52, v50
	v_min_u32_e32 v55, 32, v52
	v_subrev_u32_e32 v52, 28, v55
	v_lshlrev_b64 v[52:53], v52, v[42:43]
	v_lshrrev_b32_e32 v54, 3, v41
	v_sub_u32_e32 v42, 29, v55
	v_and_b32_e32 v52, 7, v52
	v_cmp_gt_u32_e32 vcc, 8, v41
	v_cndmask_b32_e32 v41, v54, v42, vcc
	v_cndmask_b32_e32 v42, v50, v52, vcc
	v_lshlrev_b32_e32 v40, 16, v40
	v_bfrev_b32_e32 v50, 60
	v_lshlrev_b32_e32 v42, 20, v42
	v_and_b32_e32 v40, 0x80000000, v40
	v_lshl_add_u32 v41, v41, 23, v50
	v_or3_b32 v40, v40, v41, v42
	v_lshrrev_b32_e32 v50, 16, v40
.LBB717_44:
	s_or_b64 exec, exec, s[20:21]
.LBB717_45:
	s_or_b64 exec, exec, s[8:9]
.LBB717_46:
	s_or_b64 exec, exec, s[2:3]
	s_movk_i32 s2, 0xff
	v_and_b32_sdwa v52, v35, s2 dst_sel:DWORD dst_unused:UNUSED_PAD src0_sel:WORD_1 src1_sel:DWORD
	v_lshrrev_b32_e32 v40, 16, v35
	v_cmp_ne_u16_e32 vcc, 0, v52
	v_mov_b32_e32 v41, 0
	v_mov_b32_e32 v42, 0
	s_and_saveexec_b64 s[2:3], vcc
	s_cbranch_execz .LBB717_52
; %bb.47:
	s_movk_i32 s8, 0x80
	v_cmp_ne_u16_e32 vcc, s8, v52
	v_mov_b32_e32 v42, 0xffff8000
	s_and_saveexec_b64 s[8:9], vcc
	s_cbranch_execz .LBB717_51
; %bb.48:
	v_bfe_u32 v52, v35, 16, 7
	s_movk_i32 s11, 0x7f
	v_cmp_ne_u32_e32 vcc, s11, v52
	v_mov_b32_e32 v42, 0x7f80
	s_and_saveexec_b64 s[20:21], vcc
	s_cbranch_execz .LBB717_50
; %bb.49:
	v_and_b32_e32 v42, 7, v40
	v_ffbh_u32_e32 v54, v42
	v_min_u32_e32 v56, 32, v54
	v_subrev_u32_e32 v54, 28, v56
	v_lshlrev_b64 v[54:55], v54, v[40:41]
	v_lshrrev_b32_e32 v53, 3, v52
	v_sub_u32_e32 v40, 29, v56
	v_and_b32_e32 v54, 7, v54
	v_cmp_gt_u32_e32 vcc, 8, v52
	v_mov_b32_e32 v52, 24
	v_cndmask_b32_e32 v40, v53, v40, vcc
	v_cndmask_b32_e32 v42, v42, v54, vcc
	v_lshlrev_b32_sdwa v52, v52, v35 dst_sel:DWORD dst_unused:UNUSED_PAD src0_sel:DWORD src1_sel:WORD_1
	v_bfrev_b32_e32 v53, 60
	v_lshlrev_b32_e32 v42, 20, v42
	v_and_b32_e32 v52, 0x80000000, v52
	v_lshl_add_u32 v40, v40, 23, v53
	v_or3_b32 v40, v52, v40, v42
	v_lshrrev_b32_e32 v42, 16, v40
.LBB717_50:
	s_or_b64 exec, exec, s[20:21]
.LBB717_51:
	s_or_b64 exec, exec, s[8:9]
.LBB717_52:
	s_or_b64 exec, exec, s[2:3]
	s_mov_b32 s2, -1
	s_mov_b32 s3, 0xffffff
	v_cmp_lt_u64_e32 vcc, s[2:3], v[34:35]
	s_and_saveexec_b64 s[2:3], vcc
	s_cbranch_execz .LBB717_58
; %bb.53:
	v_lshrrev_b32_e32 v34, 24, v35
	s_movk_i32 s8, 0x80
	v_cmp_ne_u32_e32 vcc, s8, v34
	v_mov_b32_e32 v41, 0xffff8000
	s_and_saveexec_b64 s[8:9], vcc
	s_cbranch_execz .LBB717_57
; %bb.54:
	v_bfe_u32 v35, v35, 24, 7
	s_movk_i32 s11, 0x7f
	v_cmp_ne_u32_e32 vcc, s11, v35
	v_mov_b32_e32 v41, 0x7f80
	s_and_saveexec_b64 s[20:21], vcc
	s_cbranch_execz .LBB717_56
; %bb.55:
	v_and_b32_e32 v52, 7, v34
	v_ffbh_u32_e32 v40, v52
	v_min_u32_e32 v54, 32, v40
	v_subrev_u32_e32 v40, 28, v54
	v_lshlrev_b64 v[40:41], v40, v[34:35]
	v_lshrrev_b32_e32 v53, 3, v35
	v_sub_u32_e32 v41, 29, v54
	v_and_b32_e32 v40, 7, v40
	v_cmp_gt_u32_e32 vcc, 8, v35
	v_cndmask_b32_e32 v35, v53, v41, vcc
	v_cndmask_b32_e32 v40, v52, v40, vcc
	v_lshlrev_b32_e32 v34, 24, v34
	v_bfrev_b32_e32 v41, 60
	v_lshlrev_b32_e32 v40, 20, v40
	v_and_b32_e32 v34, 0x80000000, v34
	v_lshl_add_u32 v35, v35, 23, v41
	v_or3_b32 v34, v34, v35, v40
	v_lshrrev_b32_e32 v41, 16, v34
.LBB717_56:
	s_or_b64 exec, exec, s[20:21]
.LBB717_57:
	s_or_b64 exec, exec, s[8:9]
.LBB717_58:
	s_or_b64 exec, exec, s[2:3]
	s_mov_b32 s2, 0x5040100
	v_perm_b32 v35, v49, v48, s2
	v_perm_b32 v34, v39, v47, s2
	;; [unrolled: 1-line block ×4, first 2 shown]
	v_mfma_f32_4x4x4bf16_1k a[0:3], v[18:19], v[34:35], 0 cbsz:4
	v_mov_b32_e32 v39, 0
	v_mfma_f32_4x4x4bf16_1k a[0:3], v[20:21], v[40:41], a[0:3] cbsz:4
	v_mov_b32_e32 v41, 0
	v_cmp_ne_u16_sdwa s[8:9], v36, v41 src0_sel:BYTE_0 src1_sel:DWORD
	s_and_saveexec_b64 s[2:3], s[8:9]
	s_cbranch_execz .LBB717_64
; %bb.59:
	s_movk_i32 s8, 0x80
	v_cmp_ne_u16_sdwa s[20:21], v36, s8 src0_sel:BYTE_0 src1_sel:DWORD
	v_mov_b32_e32 v39, 0xffff8000
	s_and_saveexec_b64 s[8:9], s[20:21]
	s_cbranch_execz .LBB717_63
; %bb.60:
	s_movk_i32 s11, 0x7f
	v_and_b32_e32 v34, 0x7f, v36
	v_cmp_ne_u32_e32 vcc, s11, v34
	v_mov_b32_e32 v39, 0x7f80
	s_and_saveexec_b64 s[20:21], vcc
	s_cbranch_execz .LBB717_62
; %bb.61:
	v_and_b32_e32 v35, 7, v36
	v_ffbh_u32_e32 v35, v35
	v_min_u32_e32 v35, 32, v35
	v_subrev_u32_e32 v40, 28, v35
	v_cmp_gt_u32_e32 vcc, 8, v34
	v_lshrrev_b32_e32 v39, 3, v34
	v_sub_u32_e32 v35, 29, v35
	v_cndmask_b32_e32 v34, 0, v40, vcc
	v_cndmask_b32_e32 v39, v39, v35, vcc
	v_lshlrev_b64 v[34:35], v34, v[36:37]
	v_lshlrev_b32_e32 v34, 20, v34
	v_lshlrev_b32_e32 v35, 24, v36
	v_bfrev_b32_e32 v40, 60
	v_and_b32_e32 v34, 0x700000, v34
	v_and_b32_e32 v35, 0x80000000, v35
	v_lshl_add_u32 v39, v39, 23, v40
	v_or3_b32 v34, v35, v39, v34
	v_lshrrev_b32_e32 v39, 16, v34
.LBB717_62:
	s_or_b64 exec, exec, s[20:21]
.LBB717_63:
	s_or_b64 exec, exec, s[8:9]
.LBB717_64:
	s_or_b64 exec, exec, s[2:3]
	v_lshrrev_b16_e32 v34, 8, v36
	v_cmp_ne_u16_e32 vcc, 0, v34
	s_and_saveexec_b64 s[2:3], vcc
	s_cbranch_execz .LBB717_70
; %bb.65:
	s_movk_i32 s8, 0x80
	v_cmp_ne_u16_e32 vcc, s8, v34
	v_mov_b32_e32 v41, 0xffff8000
	s_and_saveexec_b64 s[8:9], vcc
	s_cbranch_execz .LBB717_69
; %bb.66:
	s_movk_i32 s11, 0x7f
	v_and_b32_e32 v35, 0x7f, v34
	v_cmp_ne_u32_e32 vcc, s11, v35
	v_mov_b32_e32 v41, 0x7f80
	s_and_saveexec_b64 s[20:21], vcc
	s_cbranch_execz .LBB717_68
; %bb.67:
	v_and_b32_e32 v42, 7, v34
	v_ffbh_u32_e32 v40, v42
	v_min_u32_e32 v48, 32, v40
	v_subrev_u32_e32 v40, 28, v48
	v_lshlrev_b64 v[40:41], v40, v[34:35]
	v_lshrrev_b32_e32 v47, 3, v35
	v_sub_u32_e32 v34, 29, v48
	v_and_b32_e32 v40, 7, v40
	v_cmp_gt_u32_e32 vcc, 8, v35
	v_cndmask_b32_e32 v34, v47, v34, vcc
	v_cndmask_b32_e32 v35, v42, v40, vcc
	v_lshlrev_b32_e32 v40, 16, v36
	v_bfrev_b32_e32 v41, 60
	v_lshlrev_b32_e32 v35, 20, v35
	v_and_b32_e32 v40, 0x80000000, v40
	v_lshl_add_u32 v34, v34, 23, v41
	v_or3_b32 v34, v40, v34, v35
	v_lshrrev_b32_e32 v41, 16, v34
.LBB717_68:
	s_or_b64 exec, exec, s[20:21]
.LBB717_69:
	s_or_b64 exec, exec, s[8:9]
.LBB717_70:
	s_or_b64 exec, exec, s[2:3]
	s_movk_i32 s2, 0xff
	v_and_b32_sdwa v40, v36, s2 dst_sel:DWORD dst_unused:UNUSED_PAD src0_sel:WORD_1 src1_sel:DWORD
	v_lshrrev_b32_e32 v34, 16, v36
	v_cmp_ne_u16_e32 vcc, 0, v40
	v_mov_b32_e32 v35, 0
	v_mov_b32_e32 v42, 0
	s_and_saveexec_b64 s[2:3], vcc
	s_cbranch_execz .LBB717_76
; %bb.71:
	s_movk_i32 s8, 0x80
	v_cmp_ne_u16_e32 vcc, s8, v40
	v_mov_b32_e32 v42, 0xffff8000
	s_and_saveexec_b64 s[8:9], vcc
	s_cbranch_execz .LBB717_75
; %bb.72:
	v_bfe_u32 v40, v36, 16, 7
	s_movk_i32 s11, 0x7f
	v_cmp_ne_u32_e32 vcc, s11, v40
	v_mov_b32_e32 v42, 0x7f80
	s_and_saveexec_b64 s[20:21], vcc
	s_cbranch_execz .LBB717_74
; %bb.73:
	v_and_b32_e32 v42, 7, v34
	v_ffbh_u32_e32 v48, v42
	v_min_u32_e32 v50, 32, v48
	v_subrev_u32_e32 v48, 28, v50
	v_lshlrev_b64 v[48:49], v48, v[34:35]
	v_and_b32_e32 v48, 7, v48
	v_cmp_gt_u32_e32 vcc, 8, v40
	v_lshrrev_b32_e32 v47, 3, v40
	v_sub_u32_e32 v34, 29, v50
	v_cndmask_b32_e32 v40, v42, v48, vcc
	v_mov_b32_e32 v42, 24
	v_cndmask_b32_e32 v34, v47, v34, vcc
	v_lshlrev_b32_sdwa v42, v42, v36 dst_sel:DWORD dst_unused:UNUSED_PAD src0_sel:DWORD src1_sel:WORD_1
	v_bfrev_b32_e32 v47, 60
	v_lshlrev_b32_e32 v40, 20, v40
	v_and_b32_e32 v42, 0x80000000, v42
	v_lshl_add_u32 v34, v34, 23, v47
	v_or3_b32 v34, v42, v34, v40
	v_lshrrev_b32_e32 v42, 16, v34
.LBB717_74:
	s_or_b64 exec, exec, s[20:21]
.LBB717_75:
	s_or_b64 exec, exec, s[8:9]
.LBB717_76:
	s_or_b64 exec, exec, s[2:3]
	s_mov_b32 s2, 0xffffff
	v_cmp_lt_u32_e32 vcc, s2, v36
	v_mov_b32_e32 v47, 0
	s_and_saveexec_b64 s[2:3], vcc
	s_cbranch_execz .LBB717_82
; %bb.77:
	v_lshrrev_b32_e32 v34, 24, v36
	s_movk_i32 s8, 0x80
	v_cmp_ne_u32_e32 vcc, s8, v34
	v_mov_b32_e32 v47, 0xffff8000
	s_and_saveexec_b64 s[8:9], vcc
	s_cbranch_execz .LBB717_81
; %bb.78:
	v_bfe_u32 v40, v36, 24, 7
	s_movk_i32 s11, 0x7f
	v_cmp_ne_u32_e32 vcc, s11, v40
	v_mov_b32_e32 v47, 0x7f80
	s_and_saveexec_b64 s[20:21], vcc
	s_cbranch_execz .LBB717_80
; %bb.79:
	v_and_b32_e32 v47, 7, v34
	v_ffbh_u32_e32 v48, v47
	v_min_u32_e32 v51, 32, v48
	v_subrev_u32_e32 v48, 28, v51
	v_lshlrev_b64 v[48:49], v48, v[34:35]
	v_lshrrev_b32_e32 v50, 3, v40
	v_sub_u32_e32 v49, 29, v51
	v_and_b32_e32 v48, 7, v48
	v_cmp_gt_u32_e32 vcc, 8, v40
	v_cndmask_b32_e32 v40, v50, v49, vcc
	v_cndmask_b32_e32 v47, v47, v48, vcc
	v_lshlrev_b32_e32 v34, 24, v34
	v_bfrev_b32_e32 v48, 60
	v_lshlrev_b32_e32 v47, 20, v47
	v_and_b32_e32 v34, 0x80000000, v34
	v_lshl_add_u32 v40, v40, 23, v48
	v_or3_b32 v34, v34, v40, v47
	v_lshrrev_b32_e32 v47, 16, v34
.LBB717_80:
	s_or_b64 exec, exec, s[20:21]
.LBB717_81:
	s_or_b64 exec, exec, s[8:9]
.LBB717_82:
	s_or_b64 exec, exec, s[2:3]
	v_mov_b32_e32 v48, 0
	v_mov_b32_e32 v34, v37
	v_cmp_ne_u16_sdwa s[8:9], v37, v48 src0_sel:BYTE_0 src1_sel:DWORD
	v_mov_b32_e32 v49, 0
	s_and_saveexec_b64 s[2:3], s[8:9]
	s_cbranch_execz .LBB717_88
; %bb.83:
	s_movk_i32 s8, 0x80
	v_cmp_ne_u16_sdwa s[20:21], v37, s8 src0_sel:BYTE_0 src1_sel:DWORD
	v_mov_b32_e32 v49, 0xffff8000
	s_and_saveexec_b64 s[8:9], s[20:21]
	s_cbranch_execz .LBB717_87
; %bb.84:
	s_movk_i32 s11, 0x7f
	v_and_b32_e32 v40, 0x7f, v37
	v_cmp_ne_u32_e32 vcc, s11, v40
	v_mov_b32_e32 v49, 0x7f80
	s_and_saveexec_b64 s[20:21], vcc
	s_cbranch_execz .LBB717_86
; %bb.85:
	v_and_b32_e32 v49, 7, v37
	v_ffbh_u32_e32 v49, v49
	v_min_u32_e32 v49, 32, v49
	v_lshrrev_b32_e32 v50, 3, v40
	v_subrev_u32_e32 v51, 28, v49
	v_sub_u32_e32 v49, 29, v49
	v_cmp_gt_u32_e32 vcc, 8, v40
	v_cndmask_b32_e32 v40, v50, v49, vcc
	v_cndmask_b32_e32 v49, 0, v51, vcc
	v_lshlrev_b64 v[50:51], v49, v[34:35]
	v_lshlrev_b32_e32 v35, 20, v50
	v_lshlrev_b32_e32 v49, 24, v34
	v_bfrev_b32_e32 v50, 60
	v_and_b32_e32 v35, 0x700000, v35
	v_and_b32_e32 v49, 0x80000000, v49
	v_lshl_add_u32 v40, v40, 23, v50
	v_or3_b32 v35, v49, v40, v35
	v_lshrrev_b32_e32 v49, 16, v35
.LBB717_86:
	s_or_b64 exec, exec, s[20:21]
.LBB717_87:
	s_or_b64 exec, exec, s[8:9]
.LBB717_88:
	s_or_b64 exec, exec, s[2:3]
	v_lshrrev_b16_e32 v40, 8, v34
	v_cmp_ne_u16_e32 vcc, 0, v40
	s_and_saveexec_b64 s[2:3], vcc
	s_cbranch_execz .LBB717_94
; %bb.89:
	s_movk_i32 s8, 0x80
	v_cmp_ne_u16_e32 vcc, s8, v40
	v_mov_b32_e32 v48, 0xffff8000
	s_and_saveexec_b64 s[8:9], vcc
	s_cbranch_execz .LBB717_93
; %bb.90:
	s_movk_i32 s11, 0x7f
	v_and_b32_e32 v35, 0x7f, v40
	v_cmp_ne_u32_e32 vcc, s11, v35
	v_mov_b32_e32 v48, 0x7f80
	s_and_saveexec_b64 s[20:21], vcc
	s_cbranch_execz .LBB717_92
; %bb.91:
	v_and_b32_e32 v48, 7, v40
	v_ffbh_u32_e32 v50, v48
	v_min_u32_e32 v53, 32, v50
	v_subrev_u32_e32 v50, 28, v53
	v_lshlrev_b64 v[50:51], v50, v[40:41]
	v_lshrrev_b32_e32 v52, 3, v35
	v_sub_u32_e32 v40, 29, v53
	v_and_b32_e32 v50, 7, v50
	v_cmp_gt_u32_e32 vcc, 8, v35
	v_cndmask_b32_e32 v35, v52, v40, vcc
	v_cndmask_b32_e32 v40, v48, v50, vcc
	v_lshlrev_b32_e32 v34, 16, v34
	v_bfrev_b32_e32 v48, 60
	v_lshlrev_b32_e32 v40, 20, v40
	v_and_b32_e32 v34, 0x80000000, v34
	v_lshl_add_u32 v35, v35, 23, v48
	v_or3_b32 v34, v34, v35, v40
	v_lshrrev_b32_e32 v48, 16, v34
.LBB717_92:
	s_or_b64 exec, exec, s[20:21]
.LBB717_93:
	s_or_b64 exec, exec, s[8:9]
.LBB717_94:
	s_or_b64 exec, exec, s[2:3]
	s_movk_i32 s2, 0xff
	v_and_b32_sdwa v50, v37, s2 dst_sel:DWORD dst_unused:UNUSED_PAD src0_sel:WORD_1 src1_sel:DWORD
	v_lshrrev_b32_e32 v34, 16, v37
	v_cmp_ne_u16_e32 vcc, 0, v50
	v_mov_b32_e32 v35, 0
	v_mov_b32_e32 v40, 0
	s_and_saveexec_b64 s[2:3], vcc
	s_cbranch_execz .LBB717_100
; %bb.95:
	s_movk_i32 s8, 0x80
	v_cmp_ne_u16_e32 vcc, s8, v50
	v_mov_b32_e32 v40, 0xffff8000
	s_and_saveexec_b64 s[8:9], vcc
	s_cbranch_execz .LBB717_99
; %bb.96:
	v_bfe_u32 v50, v37, 16, 7
	s_movk_i32 s11, 0x7f
	v_cmp_ne_u32_e32 vcc, s11, v50
	v_mov_b32_e32 v40, 0x7f80
	s_and_saveexec_b64 s[20:21], vcc
	s_cbranch_execz .LBB717_98
; %bb.97:
	v_and_b32_e32 v40, 7, v34
	v_ffbh_u32_e32 v52, v40
	v_min_u32_e32 v54, 32, v52
	v_subrev_u32_e32 v52, 28, v54
	v_lshlrev_b64 v[52:53], v52, v[34:35]
	v_lshrrev_b32_e32 v51, 3, v50
	v_sub_u32_e32 v34, 29, v54
	v_and_b32_e32 v52, 7, v52
	v_cmp_gt_u32_e32 vcc, 8, v50
	v_mov_b32_e32 v50, 24
	v_cndmask_b32_e32 v34, v51, v34, vcc
	v_cndmask_b32_e32 v40, v40, v52, vcc
	v_lshlrev_b32_sdwa v50, v50, v37 dst_sel:DWORD dst_unused:UNUSED_PAD src0_sel:DWORD src1_sel:WORD_1
	v_bfrev_b32_e32 v51, 60
	v_lshlrev_b32_e32 v40, 20, v40
	v_and_b32_e32 v50, 0x80000000, v50
	v_lshl_add_u32 v34, v34, 23, v51
	v_or3_b32 v34, v50, v34, v40
	v_lshrrev_b32_e32 v40, 16, v34
.LBB717_98:
	s_or_b64 exec, exec, s[20:21]
.LBB717_99:
	s_or_b64 exec, exec, s[8:9]
.LBB717_100:
	s_or_b64 exec, exec, s[2:3]
	s_mov_b32 s2, -1
	s_mov_b32 s3, 0xffffff
	v_cmp_lt_u64_e32 vcc, s[2:3], v[36:37]
	s_and_saveexec_b64 s[2:3], vcc
	s_cbranch_execz .LBB717_106
; %bb.101:
	v_lshrrev_b32_e32 v34, 24, v37
	s_movk_i32 s8, 0x80
	v_cmp_ne_u32_e32 vcc, s8, v34
	v_mov_b32_e32 v35, 0xffff8000
	s_and_saveexec_b64 s[8:9], vcc
	s_cbranch_execz .LBB717_105
; %bb.102:
	v_bfe_u32 v36, v37, 24, 7
	s_movk_i32 s11, 0x7f
	v_cmp_ne_u32_e32 vcc, s11, v36
	v_mov_b32_e32 v35, 0x7f80
	s_and_saveexec_b64 s[20:21], vcc
	s_cbranch_execz .LBB717_104
; %bb.103:
	v_and_b32_e32 v35, 7, v34
	v_ffbh_u32_e32 v50, v35
	v_min_u32_e32 v52, 32, v50
	v_subrev_u32_e32 v50, 28, v52
	v_lshlrev_b64 v[50:51], v50, v[34:35]
	v_lshrrev_b32_e32 v37, 3, v36
	v_sub_u32_e32 v51, 29, v52
	v_and_b32_e32 v50, 7, v50
	v_cmp_gt_u32_e32 vcc, 8, v36
	v_cndmask_b32_e32 v36, v37, v51, vcc
	v_cndmask_b32_e32 v35, v35, v50, vcc
	v_lshlrev_b32_e32 v34, 24, v34
	v_bfrev_b32_e32 v37, 60
	v_lshlrev_b32_e32 v35, 20, v35
	v_and_b32_e32 v34, 0x80000000, v34
	v_lshl_add_u32 v36, v36, 23, v37
	v_or3_b32 v34, v34, v36, v35
	v_lshrrev_b32_e32 v35, 16, v34
.LBB717_104:
	s_or_b64 exec, exec, s[20:21]
.LBB717_105:
	s_or_b64 exec, exec, s[8:9]
.LBB717_106:
	s_or_b64 exec, exec, s[2:3]
	s_mov_b32 s2, 0x5040100
	v_perm_b32 v37, v47, v42, s2
	v_perm_b32 v36, v41, v39, s2
	v_perm_b32 v35, v35, v40, s2
	v_perm_b32 v34, v48, v49, s2
	v_mfma_f32_4x4x4bf16_1k a[0:3], v[18:19], v[36:37], a[0:3] cbsz:4 abid:1
	v_mov_b32_e32 v37, 0
	v_mfma_f32_4x4x4bf16_1k a[0:3], v[20:21], v[34:35], a[0:3] cbsz:4 abid:1
	s_waitcnt vmcnt(7)
	v_cmp_ne_u16_sdwa s[8:9], v30, v37 src0_sel:BYTE_0 src1_sel:DWORD
	v_mov_b32_e32 v39, 0
	s_and_saveexec_b64 s[2:3], s[8:9]
	s_cbranch_execz .LBB717_112
; %bb.107:
	s_movk_i32 s8, 0x80
	v_cmp_ne_u16_sdwa s[20:21], v30, s8 src0_sel:BYTE_0 src1_sel:DWORD
	v_mov_b32_e32 v39, 0xffff8000
	s_and_saveexec_b64 s[8:9], s[20:21]
	s_cbranch_execz .LBB717_111
; %bb.108:
	s_movk_i32 s11, 0x7f
	v_and_b32_e32 v34, 0x7f, v30
	v_cmp_ne_u32_e32 vcc, s11, v34
	v_mov_b32_e32 v39, 0x7f80
	s_and_saveexec_b64 s[20:21], vcc
	s_cbranch_execz .LBB717_110
; %bb.109:
	v_and_b32_e32 v35, 7, v30
	v_ffbh_u32_e32 v35, v35
	v_min_u32_e32 v35, 32, v35
	v_subrev_u32_e32 v39, 28, v35
	v_cmp_gt_u32_e32 vcc, 8, v34
	v_lshrrev_b32_e32 v36, 3, v34
	v_sub_u32_e32 v35, 29, v35
	v_cndmask_b32_e32 v34, 0, v39, vcc
	v_cndmask_b32_e32 v36, v36, v35, vcc
	v_lshlrev_b64 v[34:35], v34, v[30:31]
	v_lshlrev_b32_e32 v34, 20, v34
	v_lshlrev_b32_e32 v35, 24, v30
	v_bfrev_b32_e32 v39, 60
	v_and_b32_e32 v34, 0x700000, v34
	v_and_b32_e32 v35, 0x80000000, v35
	v_lshl_add_u32 v36, v36, 23, v39
	v_or3_b32 v34, v35, v36, v34
	v_lshrrev_b32_e32 v39, 16, v34
.LBB717_110:
	s_or_b64 exec, exec, s[20:21]
.LBB717_111:
	s_or_b64 exec, exec, s[8:9]
.LBB717_112:
	s_or_b64 exec, exec, s[2:3]
	v_lshrrev_b16_e32 v34, 8, v30
	v_cmp_ne_u16_e32 vcc, 0, v34
	s_and_saveexec_b64 s[2:3], vcc
	s_cbranch_execz .LBB717_118
; %bb.113:
	s_movk_i32 s8, 0x80
	v_cmp_ne_u16_e32 vcc, s8, v34
	v_mov_b32_e32 v37, 0xffff8000
	s_and_saveexec_b64 s[8:9], vcc
	s_cbranch_execz .LBB717_117
; %bb.114:
	s_movk_i32 s11, 0x7f
	v_and_b32_e32 v35, 0x7f, v34
	v_cmp_ne_u32_e32 vcc, s11, v35
	v_mov_b32_e32 v37, 0x7f80
	s_and_saveexec_b64 s[20:21], vcc
	s_cbranch_execz .LBB717_116
; %bb.115:
	v_and_b32_e32 v40, 7, v34
	v_ffbh_u32_e32 v36, v40
	v_min_u32_e32 v42, 32, v36
	v_subrev_u32_e32 v36, 28, v42
	v_lshlrev_b64 v[36:37], v36, v[34:35]
	v_lshrrev_b32_e32 v41, 3, v35
	v_sub_u32_e32 v34, 29, v42
	v_and_b32_e32 v36, 7, v36
	v_cmp_gt_u32_e32 vcc, 8, v35
	v_cndmask_b32_e32 v34, v41, v34, vcc
	v_cndmask_b32_e32 v35, v40, v36, vcc
	v_lshlrev_b32_e32 v36, 16, v30
	v_bfrev_b32_e32 v37, 60
	v_lshlrev_b32_e32 v35, 20, v35
	v_and_b32_e32 v36, 0x80000000, v36
	v_lshl_add_u32 v34, v34, 23, v37
	v_or3_b32 v34, v36, v34, v35
	v_lshrrev_b32_e32 v37, 16, v34
.LBB717_116:
	s_or_b64 exec, exec, s[20:21]
.LBB717_117:
	s_or_b64 exec, exec, s[8:9]
.LBB717_118:
	s_or_b64 exec, exec, s[2:3]
	s_movk_i32 s2, 0xff
	v_and_b32_sdwa v36, v30, s2 dst_sel:DWORD dst_unused:UNUSED_PAD src0_sel:WORD_1 src1_sel:DWORD
	v_lshrrev_b32_e32 v34, 16, v30
	v_cmp_ne_u16_e32 vcc, 0, v36
	v_mov_b32_e32 v35, 0
	v_mov_b32_e32 v40, 0
	s_and_saveexec_b64 s[2:3], vcc
	s_cbranch_execz .LBB717_124
; %bb.119:
	s_movk_i32 s8, 0x80
	v_cmp_ne_u16_e32 vcc, s8, v36
	v_mov_b32_e32 v40, 0xffff8000
	s_and_saveexec_b64 s[8:9], vcc
	s_cbranch_execz .LBB717_123
; %bb.120:
	v_bfe_u32 v36, v30, 16, 7
	s_movk_i32 s11, 0x7f
	v_cmp_ne_u32_e32 vcc, s11, v36
	v_mov_b32_e32 v40, 0x7f80
	s_and_saveexec_b64 s[20:21], vcc
	s_cbranch_execz .LBB717_122
; %bb.121:
	v_and_b32_e32 v42, 7, v34
	v_ffbh_u32_e32 v40, v42
	v_min_u32_e32 v48, 32, v40
	v_subrev_u32_e32 v40, 28, v48
	v_lshlrev_b64 v[40:41], v40, v[34:35]
	v_and_b32_e32 v40, 7, v40
	v_cmp_gt_u32_e32 vcc, 8, v36
	v_lshrrev_b32_e32 v47, 3, v36
	v_sub_u32_e32 v34, 29, v48
	v_cndmask_b32_e32 v36, v42, v40, vcc
	v_mov_b32_e32 v40, 24
	v_cndmask_b32_e32 v34, v47, v34, vcc
	v_lshlrev_b32_sdwa v40, v40, v30 dst_sel:DWORD dst_unused:UNUSED_PAD src0_sel:DWORD src1_sel:WORD_1
	v_bfrev_b32_e32 v41, 60
	v_lshlrev_b32_e32 v36, 20, v36
	v_and_b32_e32 v40, 0x80000000, v40
	v_lshl_add_u32 v34, v34, 23, v41
	v_or3_b32 v34, v40, v34, v36
	v_lshrrev_b32_e32 v40, 16, v34
.LBB717_122:
	s_or_b64 exec, exec, s[20:21]
.LBB717_123:
	s_or_b64 exec, exec, s[8:9]
.LBB717_124:
	s_or_b64 exec, exec, s[2:3]
	s_mov_b32 s2, 0xffffff
	v_cmp_lt_u32_e32 vcc, s2, v30
	v_mov_b32_e32 v41, 0
	s_and_saveexec_b64 s[2:3], vcc
	s_cbranch_execz .LBB717_130
; %bb.125:
	v_lshrrev_b32_e32 v34, 24, v30
	s_movk_i32 s8, 0x80
	v_cmp_ne_u32_e32 vcc, s8, v34
	v_mov_b32_e32 v41, 0xffff8000
	s_and_saveexec_b64 s[8:9], vcc
	s_cbranch_execz .LBB717_129
; %bb.126:
	v_bfe_u32 v36, v30, 24, 7
	s_movk_i32 s11, 0x7f
	v_cmp_ne_u32_e32 vcc, s11, v36
	v_mov_b32_e32 v41, 0x7f80
	s_and_saveexec_b64 s[20:21], vcc
	s_cbranch_execz .LBB717_128
; %bb.127:
	v_and_b32_e32 v41, 7, v34
	v_ffbh_u32_e32 v47, v41
	v_min_u32_e32 v47, 32, v47
	v_subrev_u32_e32 v48, 28, v47
	v_lshlrev_b64 v[48:49], v48, v[34:35]
	v_lshrrev_b32_e32 v42, 3, v36
	v_sub_u32_e32 v47, 29, v47
	v_and_b32_e32 v48, 7, v48
	v_cmp_gt_u32_e32 vcc, 8, v36
	v_cndmask_b32_e32 v36, v42, v47, vcc
	v_cndmask_b32_e32 v41, v41, v48, vcc
	v_lshlrev_b32_e32 v34, 24, v34
	v_bfrev_b32_e32 v42, 60
	v_lshlrev_b32_e32 v41, 20, v41
	v_and_b32_e32 v34, 0x80000000, v34
	v_lshl_add_u32 v36, v36, 23, v42
	v_or3_b32 v34, v34, v36, v41
	v_lshrrev_b32_e32 v41, 16, v34
.LBB717_128:
	s_or_b64 exec, exec, s[20:21]
.LBB717_129:
	s_or_b64 exec, exec, s[8:9]
.LBB717_130:
	s_or_b64 exec, exec, s[2:3]
	v_mov_b32_e32 v42, 0
	v_mov_b32_e32 v34, v31
	v_cmp_ne_u16_sdwa s[8:9], v31, v42 src0_sel:BYTE_0 src1_sel:DWORD
	v_mov_b32_e32 v47, 0
	s_and_saveexec_b64 s[2:3], s[8:9]
	s_cbranch_execz .LBB717_136
; %bb.131:
	s_movk_i32 s8, 0x80
	v_cmp_ne_u16_sdwa s[20:21], v31, s8 src0_sel:BYTE_0 src1_sel:DWORD
	v_mov_b32_e32 v47, 0xffff8000
	s_and_saveexec_b64 s[8:9], s[20:21]
	s_cbranch_execz .LBB717_135
; %bb.132:
	s_movk_i32 s11, 0x7f
	v_and_b32_e32 v36, 0x7f, v31
	v_cmp_ne_u32_e32 vcc, s11, v36
	v_mov_b32_e32 v47, 0x7f80
	s_and_saveexec_b64 s[20:21], vcc
	s_cbranch_execz .LBB717_134
; %bb.133:
	v_and_b32_e32 v47, 7, v31
	v_ffbh_u32_e32 v47, v47
	v_min_u32_e32 v47, 32, v47
	v_lshrrev_b32_e32 v48, 3, v36
	v_subrev_u32_e32 v49, 28, v47
	v_sub_u32_e32 v47, 29, v47
	v_cmp_gt_u32_e32 vcc, 8, v36
	v_cndmask_b32_e32 v36, v48, v47, vcc
	v_cndmask_b32_e32 v47, 0, v49, vcc
	v_lshlrev_b64 v[48:49], v47, v[34:35]
	v_lshlrev_b32_e32 v35, 20, v48
	v_lshlrev_b32_e32 v47, 24, v34
	v_bfrev_b32_e32 v48, 60
	v_and_b32_e32 v35, 0x700000, v35
	v_and_b32_e32 v47, 0x80000000, v47
	v_lshl_add_u32 v36, v36, 23, v48
	v_or3_b32 v35, v47, v36, v35
	v_lshrrev_b32_e32 v47, 16, v35
.LBB717_134:
	s_or_b64 exec, exec, s[20:21]
.LBB717_135:
	s_or_b64 exec, exec, s[8:9]
.LBB717_136:
	s_or_b64 exec, exec, s[2:3]
	v_lshrrev_b16_e32 v36, 8, v34
	v_cmp_ne_u16_e32 vcc, 0, v36
	s_and_saveexec_b64 s[2:3], vcc
	s_cbranch_execz .LBB717_142
; %bb.137:
	s_movk_i32 s8, 0x80
	v_cmp_ne_u16_e32 vcc, s8, v36
	v_mov_b32_e32 v42, 0xffff8000
	s_and_saveexec_b64 s[8:9], vcc
	s_cbranch_execz .LBB717_141
; %bb.138:
	s_movk_i32 s11, 0x7f
	v_and_b32_e32 v35, 0x7f, v36
	v_cmp_ne_u32_e32 vcc, s11, v35
	v_mov_b32_e32 v42, 0x7f80
	s_and_saveexec_b64 s[20:21], vcc
	s_cbranch_execz .LBB717_140
; %bb.139:
	v_and_b32_e32 v42, 7, v36
	v_ffbh_u32_e32 v48, v42
	v_min_u32_e32 v51, 32, v48
	v_subrev_u32_e32 v48, 28, v51
	v_lshlrev_b64 v[48:49], v48, v[36:37]
	v_lshrrev_b32_e32 v50, 3, v35
	v_sub_u32_e32 v36, 29, v51
	v_and_b32_e32 v48, 7, v48
	v_cmp_gt_u32_e32 vcc, 8, v35
	v_cndmask_b32_e32 v35, v50, v36, vcc
	v_cndmask_b32_e32 v36, v42, v48, vcc
	v_lshlrev_b32_e32 v34, 16, v34
	v_bfrev_b32_e32 v42, 60
	v_lshlrev_b32_e32 v36, 20, v36
	v_and_b32_e32 v34, 0x80000000, v34
	v_lshl_add_u32 v35, v35, 23, v42
	v_or3_b32 v34, v34, v35, v36
	v_lshrrev_b32_e32 v42, 16, v34
.LBB717_140:
	s_or_b64 exec, exec, s[20:21]
.LBB717_141:
	s_or_b64 exec, exec, s[8:9]
.LBB717_142:
	s_or_b64 exec, exec, s[2:3]
	s_movk_i32 s2, 0xff
	v_and_b32_sdwa v48, v31, s2 dst_sel:DWORD dst_unused:UNUSED_PAD src0_sel:WORD_1 src1_sel:DWORD
	v_lshrrev_b32_e32 v34, 16, v31
	v_cmp_ne_u16_e32 vcc, 0, v48
	v_mov_b32_e32 v35, 0
	v_mov_b32_e32 v36, 0
	s_and_saveexec_b64 s[2:3], vcc
	s_cbranch_execz .LBB717_148
; %bb.143:
	s_movk_i32 s8, 0x80
	v_cmp_ne_u16_e32 vcc, s8, v48
	v_mov_b32_e32 v36, 0xffff8000
	s_and_saveexec_b64 s[8:9], vcc
	s_cbranch_execz .LBB717_147
; %bb.144:
	v_bfe_u32 v48, v31, 16, 7
	s_movk_i32 s11, 0x7f
	v_cmp_ne_u32_e32 vcc, s11, v48
	v_mov_b32_e32 v36, 0x7f80
	s_and_saveexec_b64 s[20:21], vcc
	s_cbranch_execz .LBB717_146
; %bb.145:
	v_and_b32_e32 v36, 7, v34
	v_ffbh_u32_e32 v50, v36
	v_min_u32_e32 v52, 32, v50
	v_subrev_u32_e32 v50, 28, v52
	v_lshlrev_b64 v[50:51], v50, v[34:35]
	v_lshrrev_b32_e32 v49, 3, v48
	v_sub_u32_e32 v34, 29, v52
	v_and_b32_e32 v50, 7, v50
	v_cmp_gt_u32_e32 vcc, 8, v48
	v_mov_b32_e32 v48, 24
	v_cndmask_b32_e32 v34, v49, v34, vcc
	v_cndmask_b32_e32 v36, v36, v50, vcc
	v_lshlrev_b32_sdwa v48, v48, v31 dst_sel:DWORD dst_unused:UNUSED_PAD src0_sel:DWORD src1_sel:WORD_1
	v_bfrev_b32_e32 v49, 60
	v_lshlrev_b32_e32 v36, 20, v36
	v_and_b32_e32 v48, 0x80000000, v48
	v_lshl_add_u32 v34, v34, 23, v49
	v_or3_b32 v34, v48, v34, v36
	v_lshrrev_b32_e32 v36, 16, v34
.LBB717_146:
	s_or_b64 exec, exec, s[20:21]
.LBB717_147:
	s_or_b64 exec, exec, s[8:9]
.LBB717_148:
	s_or_b64 exec, exec, s[2:3]
	s_mov_b32 s2, -1
	s_mov_b32 s3, 0xffffff
	v_cmp_lt_u64_e32 vcc, s[2:3], v[30:31]
	s_and_saveexec_b64 s[2:3], vcc
	s_cbranch_execz .LBB717_154
; %bb.149:
	v_lshrrev_b32_e32 v30, 24, v31
	s_movk_i32 s8, 0x80
	v_cmp_ne_u32_e32 vcc, s8, v30
	v_mov_b32_e32 v35, 0xffff8000
	s_and_saveexec_b64 s[8:9], vcc
	s_cbranch_execz .LBB717_153
; %bb.150:
	v_bfe_u32 v31, v31, 24, 7
	s_movk_i32 s11, 0x7f
	v_cmp_ne_u32_e32 vcc, s11, v31
	v_mov_b32_e32 v35, 0x7f80
	s_and_saveexec_b64 s[20:21], vcc
	s_cbranch_execz .LBB717_152
; %bb.151:
	v_and_b32_e32 v48, 7, v30
	v_ffbh_u32_e32 v34, v48
	v_min_u32_e32 v50, 32, v34
	v_subrev_u32_e32 v34, 28, v50
	v_lshlrev_b64 v[34:35], v34, v[30:31]
	v_lshrrev_b32_e32 v49, 3, v31
	v_sub_u32_e32 v35, 29, v50
	v_and_b32_e32 v34, 7, v34
	v_cmp_gt_u32_e32 vcc, 8, v31
	v_cndmask_b32_e32 v31, v49, v35, vcc
	v_cndmask_b32_e32 v34, v48, v34, vcc
	v_lshlrev_b32_e32 v30, 24, v30
	v_bfrev_b32_e32 v35, 60
	v_lshlrev_b32_e32 v34, 20, v34
	v_and_b32_e32 v30, 0x80000000, v30
	v_lshl_add_u32 v31, v31, 23, v35
	v_or3_b32 v30, v30, v31, v34
	v_lshrrev_b32_e32 v35, 16, v30
.LBB717_152:
	s_or_b64 exec, exec, s[20:21]
.LBB717_153:
	s_or_b64 exec, exec, s[8:9]
.LBB717_154:
	s_or_b64 exec, exec, s[2:3]
	s_mov_b32 s2, 0x5040100
	v_perm_b32 v31, v41, v40, s2
	v_perm_b32 v30, v37, v39, s2
	;; [unrolled: 1-line block ×4, first 2 shown]
	v_mfma_f32_4x4x4bf16_1k a[0:3], v[18:19], v[30:31], a[0:3] cbsz:4 abid:2
	v_mov_b32_e32 v36, 0
	v_mfma_f32_4x4x4bf16_1k a[0:3], v[20:21], v[34:35], a[0:3] cbsz:4 abid:2
	v_mov_b32_e32 v35, 0
	v_cmp_ne_u16_sdwa s[8:9], v32, v35 src0_sel:BYTE_0 src1_sel:DWORD
	s_and_saveexec_b64 s[2:3], s[8:9]
	s_cbranch_execz .LBB717_160
; %bb.155:
	s_movk_i32 s8, 0x80
	v_cmp_ne_u16_sdwa s[20:21], v32, s8 src0_sel:BYTE_0 src1_sel:DWORD
	v_mov_b32_e32 v36, 0xffff8000
	s_and_saveexec_b64 s[8:9], s[20:21]
	s_cbranch_execz .LBB717_159
; %bb.156:
	s_movk_i32 s11, 0x7f
	v_and_b32_e32 v30, 0x7f, v32
	v_cmp_ne_u32_e32 vcc, s11, v30
	v_mov_b32_e32 v36, 0x7f80
	s_and_saveexec_b64 s[20:21], vcc
	s_cbranch_execz .LBB717_158
; %bb.157:
	v_and_b32_e32 v31, 7, v32
	v_ffbh_u32_e32 v31, v31
	v_min_u32_e32 v31, 32, v31
	v_subrev_u32_e32 v36, 28, v31
	v_cmp_gt_u32_e32 vcc, 8, v30
	v_lshrrev_b32_e32 v34, 3, v30
	v_sub_u32_e32 v31, 29, v31
	v_cndmask_b32_e32 v30, 0, v36, vcc
	v_cndmask_b32_e32 v34, v34, v31, vcc
	v_lshlrev_b64 v[30:31], v30, v[32:33]
	v_lshlrev_b32_e32 v30, 20, v30
	v_lshlrev_b32_e32 v31, 24, v32
	v_bfrev_b32_e32 v36, 60
	v_and_b32_e32 v30, 0x700000, v30
	v_and_b32_e32 v31, 0x80000000, v31
	v_lshl_add_u32 v34, v34, 23, v36
	v_or3_b32 v30, v31, v34, v30
	v_lshrrev_b32_e32 v36, 16, v30
.LBB717_158:
	s_or_b64 exec, exec, s[20:21]
.LBB717_159:
	s_or_b64 exec, exec, s[8:9]
.LBB717_160:
	s_or_b64 exec, exec, s[2:3]
	v_lshrrev_b16_e32 v30, 8, v32
	v_cmp_ne_u16_e32 vcc, 0, v30
	s_and_saveexec_b64 s[2:3], vcc
	s_cbranch_execz .LBB717_166
; %bb.161:
	s_movk_i32 s8, 0x80
	v_cmp_ne_u16_e32 vcc, s8, v30
	v_mov_b32_e32 v35, 0xffff8000
	s_and_saveexec_b64 s[8:9], vcc
	s_cbranch_execz .LBB717_165
; %bb.162:
	s_movk_i32 s11, 0x7f
	v_and_b32_e32 v31, 0x7f, v30
	v_cmp_ne_u32_e32 vcc, s11, v31
	v_mov_b32_e32 v35, 0x7f80
	s_and_saveexec_b64 s[20:21], vcc
	s_cbranch_execz .LBB717_164
; %bb.163:
	v_and_b32_e32 v37, 7, v30
	v_ffbh_u32_e32 v34, v37
	v_min_u32_e32 v40, 32, v34
	v_subrev_u32_e32 v34, 28, v40
	v_lshlrev_b64 v[34:35], v34, v[30:31]
	v_lshrrev_b32_e32 v39, 3, v31
	v_sub_u32_e32 v30, 29, v40
	v_and_b32_e32 v34, 7, v34
	v_cmp_gt_u32_e32 vcc, 8, v31
	v_cndmask_b32_e32 v30, v39, v30, vcc
	v_cndmask_b32_e32 v31, v37, v34, vcc
	v_lshlrev_b32_e32 v34, 16, v32
	v_bfrev_b32_e32 v35, 60
	v_lshlrev_b32_e32 v31, 20, v31
	v_and_b32_e32 v34, 0x80000000, v34
	v_lshl_add_u32 v30, v30, 23, v35
	v_or3_b32 v30, v34, v30, v31
	v_lshrrev_b32_e32 v35, 16, v30
.LBB717_164:
	s_or_b64 exec, exec, s[20:21]
.LBB717_165:
	s_or_b64 exec, exec, s[8:9]
.LBB717_166:
	s_or_b64 exec, exec, s[2:3]
	s_movk_i32 s2, 0xff
	v_and_b32_sdwa v34, v32, s2 dst_sel:DWORD dst_unused:UNUSED_PAD src0_sel:WORD_1 src1_sel:DWORD
	v_lshrrev_b32_e32 v30, 16, v32
	v_cmp_ne_u16_e32 vcc, 0, v34
	v_mov_b32_e32 v31, 0
	v_mov_b32_e32 v37, 0
	s_and_saveexec_b64 s[2:3], vcc
	s_cbranch_execz .LBB717_172
; %bb.167:
	s_movk_i32 s8, 0x80
	v_cmp_ne_u16_e32 vcc, s8, v34
	v_mov_b32_e32 v37, 0xffff8000
	s_and_saveexec_b64 s[8:9], vcc
	s_cbranch_execz .LBB717_171
; %bb.168:
	v_bfe_u32 v34, v32, 16, 7
	s_movk_i32 s11, 0x7f
	v_cmp_ne_u32_e32 vcc, s11, v34
	v_mov_b32_e32 v37, 0x7f80
	s_and_saveexec_b64 s[20:21], vcc
	s_cbranch_execz .LBB717_170
; %bb.169:
	v_and_b32_e32 v37, 7, v30
	v_ffbh_u32_e32 v40, v37
	v_min_u32_e32 v42, 32, v40
	v_subrev_u32_e32 v40, 28, v42
	v_lshlrev_b64 v[40:41], v40, v[30:31]
	v_and_b32_e32 v40, 7, v40
	v_cmp_gt_u32_e32 vcc, 8, v34
	v_lshrrev_b32_e32 v39, 3, v34
	v_sub_u32_e32 v30, 29, v42
	v_cndmask_b32_e32 v34, v37, v40, vcc
	v_mov_b32_e32 v37, 24
	v_cndmask_b32_e32 v30, v39, v30, vcc
	v_lshlrev_b32_sdwa v37, v37, v32 dst_sel:DWORD dst_unused:UNUSED_PAD src0_sel:DWORD src1_sel:WORD_1
	v_bfrev_b32_e32 v39, 60
	v_lshlrev_b32_e32 v34, 20, v34
	v_and_b32_e32 v37, 0x80000000, v37
	v_lshl_add_u32 v30, v30, 23, v39
	v_or3_b32 v30, v37, v30, v34
	v_lshrrev_b32_e32 v37, 16, v30
.LBB717_170:
	s_or_b64 exec, exec, s[20:21]
.LBB717_171:
	s_or_b64 exec, exec, s[8:9]
.LBB717_172:
	s_or_b64 exec, exec, s[2:3]
	s_mov_b32 s2, 0xffffff
	v_cmp_lt_u32_e32 vcc, s2, v32
	v_mov_b32_e32 v39, 0
	s_and_saveexec_b64 s[2:3], vcc
	s_cbranch_execz .LBB717_178
; %bb.173:
	v_lshrrev_b32_e32 v30, 24, v32
	s_movk_i32 s8, 0x80
	v_cmp_ne_u32_e32 vcc, s8, v30
	v_mov_b32_e32 v39, 0xffff8000
	s_and_saveexec_b64 s[8:9], vcc
	s_cbranch_execz .LBB717_177
; %bb.174:
	v_bfe_u32 v34, v32, 24, 7
	s_movk_i32 s11, 0x7f
	v_cmp_ne_u32_e32 vcc, s11, v34
	v_mov_b32_e32 v39, 0x7f80
	s_and_saveexec_b64 s[20:21], vcc
	s_cbranch_execz .LBB717_176
; %bb.175:
	v_and_b32_e32 v39, 7, v30
	v_ffbh_u32_e32 v40, v39
	v_min_u32_e32 v47, 32, v40
	v_subrev_u32_e32 v40, 28, v47
	v_lshlrev_b64 v[40:41], v40, v[30:31]
	v_lshrrev_b32_e32 v42, 3, v34
	v_sub_u32_e32 v41, 29, v47
	v_and_b32_e32 v40, 7, v40
	v_cmp_gt_u32_e32 vcc, 8, v34
	v_cndmask_b32_e32 v34, v42, v41, vcc
	v_cndmask_b32_e32 v39, v39, v40, vcc
	v_lshlrev_b32_e32 v30, 24, v30
	v_bfrev_b32_e32 v40, 60
	v_lshlrev_b32_e32 v39, 20, v39
	v_and_b32_e32 v30, 0x80000000, v30
	v_lshl_add_u32 v34, v34, 23, v40
	v_or3_b32 v30, v30, v34, v39
	v_lshrrev_b32_e32 v39, 16, v30
.LBB717_176:
	s_or_b64 exec, exec, s[20:21]
.LBB717_177:
	s_or_b64 exec, exec, s[8:9]
.LBB717_178:
	s_or_b64 exec, exec, s[2:3]
	v_mov_b32_e32 v40, 0
	v_mov_b32_e32 v30, v33
	v_cmp_ne_u16_sdwa s[8:9], v33, v40 src0_sel:BYTE_0 src1_sel:DWORD
	v_mov_b32_e32 v41, 0
	s_and_saveexec_b64 s[2:3], s[8:9]
	s_cbranch_execz .LBB717_184
; %bb.179:
	s_movk_i32 s8, 0x80
	v_cmp_ne_u16_sdwa s[20:21], v33, s8 src0_sel:BYTE_0 src1_sel:DWORD
	v_mov_b32_e32 v41, 0xffff8000
	s_and_saveexec_b64 s[8:9], s[20:21]
	s_cbranch_execz .LBB717_183
; %bb.180:
	s_movk_i32 s11, 0x7f
	v_and_b32_e32 v34, 0x7f, v33
	v_cmp_ne_u32_e32 vcc, s11, v34
	v_mov_b32_e32 v41, 0x7f80
	s_and_saveexec_b64 s[20:21], vcc
	s_cbranch_execz .LBB717_182
; %bb.181:
	v_and_b32_e32 v41, 7, v33
	v_ffbh_u32_e32 v41, v41
	v_min_u32_e32 v41, 32, v41
	v_lshrrev_b32_e32 v42, 3, v34
	v_subrev_u32_e32 v47, 28, v41
	v_sub_u32_e32 v41, 29, v41
	v_cmp_gt_u32_e32 vcc, 8, v34
	v_cndmask_b32_e32 v34, v42, v41, vcc
	v_cndmask_b32_e32 v41, 0, v47, vcc
	v_lshlrev_b64 v[48:49], v41, v[30:31]
	v_lshlrev_b32_e32 v31, 20, v48
	v_lshlrev_b32_e32 v41, 24, v30
	v_bfrev_b32_e32 v42, 60
	v_and_b32_e32 v31, 0x700000, v31
	v_and_b32_e32 v41, 0x80000000, v41
	v_lshl_add_u32 v34, v34, 23, v42
	v_or3_b32 v31, v41, v34, v31
	v_lshrrev_b32_e32 v41, 16, v31
.LBB717_182:
	s_or_b64 exec, exec, s[20:21]
.LBB717_183:
	s_or_b64 exec, exec, s[8:9]
.LBB717_184:
	s_or_b64 exec, exec, s[2:3]
	v_lshrrev_b16_e32 v34, 8, v30
	v_cmp_ne_u16_e32 vcc, 0, v34
	s_and_saveexec_b64 s[2:3], vcc
	s_cbranch_execz .LBB717_190
; %bb.185:
	s_movk_i32 s8, 0x80
	v_cmp_ne_u16_e32 vcc, s8, v34
	v_mov_b32_e32 v40, 0xffff8000
	s_and_saveexec_b64 s[8:9], vcc
	s_cbranch_execz .LBB717_189
; %bb.186:
	s_movk_i32 s11, 0x7f
	v_and_b32_e32 v31, 0x7f, v34
	v_cmp_ne_u32_e32 vcc, s11, v31
	v_mov_b32_e32 v40, 0x7f80
	s_and_saveexec_b64 s[20:21], vcc
	s_cbranch_execz .LBB717_188
; %bb.187:
	v_and_b32_e32 v40, 7, v34
	v_ffbh_u32_e32 v47, v40
	v_min_u32_e32 v47, 32, v47
	v_subrev_u32_e32 v48, 28, v47
	v_lshlrev_b64 v[48:49], v48, v[34:35]
	v_lshrrev_b32_e32 v42, 3, v31
	v_sub_u32_e32 v34, 29, v47
	v_and_b32_e32 v47, 7, v48
	v_cmp_gt_u32_e32 vcc, 8, v31
	v_cndmask_b32_e32 v31, v42, v34, vcc
	v_cndmask_b32_e32 v34, v40, v47, vcc
	v_lshlrev_b32_e32 v30, 16, v30
	v_bfrev_b32_e32 v40, 60
	v_lshlrev_b32_e32 v34, 20, v34
	v_and_b32_e32 v30, 0x80000000, v30
	v_lshl_add_u32 v31, v31, 23, v40
	v_or3_b32 v30, v30, v31, v34
	v_lshrrev_b32_e32 v40, 16, v30
.LBB717_188:
	s_or_b64 exec, exec, s[20:21]
.LBB717_189:
	s_or_b64 exec, exec, s[8:9]
.LBB717_190:
	s_or_b64 exec, exec, s[2:3]
	s_movk_i32 s2, 0xff
	v_and_b32_sdwa v42, v33, s2 dst_sel:DWORD dst_unused:UNUSED_PAD src0_sel:WORD_1 src1_sel:DWORD
	v_lshrrev_b32_e32 v30, 16, v33
	v_cmp_ne_u16_e32 vcc, 0, v42
	v_mov_b32_e32 v31, 0
	v_mov_b32_e32 v34, 0
	s_and_saveexec_b64 s[2:3], vcc
	s_cbranch_execz .LBB717_196
; %bb.191:
	s_movk_i32 s8, 0x80
	v_cmp_ne_u16_e32 vcc, s8, v42
	v_mov_b32_e32 v34, 0xffff8000
	s_and_saveexec_b64 s[8:9], vcc
	s_cbranch_execz .LBB717_195
; %bb.192:
	v_bfe_u32 v42, v33, 16, 7
	s_movk_i32 s11, 0x7f
	v_cmp_ne_u32_e32 vcc, s11, v42
	v_mov_b32_e32 v34, 0x7f80
	s_and_saveexec_b64 s[20:21], vcc
	s_cbranch_execz .LBB717_194
; %bb.193:
	v_and_b32_e32 v34, 7, v30
	v_ffbh_u32_e32 v48, v34
	v_min_u32_e32 v50, 32, v48
	v_subrev_u32_e32 v48, 28, v50
	v_lshlrev_b64 v[48:49], v48, v[30:31]
	v_lshrrev_b32_e32 v47, 3, v42
	v_sub_u32_e32 v30, 29, v50
	v_and_b32_e32 v48, 7, v48
	v_cmp_gt_u32_e32 vcc, 8, v42
	v_mov_b32_e32 v42, 24
	v_cndmask_b32_e32 v30, v47, v30, vcc
	v_cndmask_b32_e32 v34, v34, v48, vcc
	v_lshlrev_b32_sdwa v42, v42, v33 dst_sel:DWORD dst_unused:UNUSED_PAD src0_sel:DWORD src1_sel:WORD_1
	v_bfrev_b32_e32 v47, 60
	v_lshlrev_b32_e32 v34, 20, v34
	v_and_b32_e32 v42, 0x80000000, v42
	v_lshl_add_u32 v30, v30, 23, v47
	v_or3_b32 v30, v42, v30, v34
	v_lshrrev_b32_e32 v34, 16, v30
.LBB717_194:
	s_or_b64 exec, exec, s[20:21]
.LBB717_195:
	s_or_b64 exec, exec, s[8:9]
.LBB717_196:
	s_or_b64 exec, exec, s[2:3]
	s_mov_b32 s2, -1
	s_mov_b32 s3, 0xffffff
	v_cmp_lt_u64_e32 vcc, s[2:3], v[32:33]
	s_and_saveexec_b64 s[2:3], vcc
	s_cbranch_execz .LBB717_202
; %bb.197:
	v_lshrrev_b32_e32 v30, 24, v33
	s_movk_i32 s8, 0x80
	v_cmp_ne_u32_e32 vcc, s8, v30
	v_mov_b32_e32 v31, 0xffff8000
	s_and_saveexec_b64 s[8:9], vcc
	s_cbranch_execz .LBB717_201
; %bb.198:
	v_bfe_u32 v32, v33, 24, 7
	s_movk_i32 s11, 0x7f
	v_cmp_ne_u32_e32 vcc, s11, v32
	v_mov_b32_e32 v31, 0x7f80
	s_and_saveexec_b64 s[20:21], vcc
	s_cbranch_execz .LBB717_200
; %bb.199:
	v_and_b32_e32 v31, 7, v30
	v_ffbh_u32_e32 v42, v31
	v_min_u32_e32 v42, 32, v42
	v_subrev_u32_e32 v47, 28, v42
	v_lshlrev_b64 v[48:49], v47, v[30:31]
	v_lshrrev_b32_e32 v33, 3, v32
	v_sub_u32_e32 v42, 29, v42
	v_and_b32_e32 v47, 7, v48
	v_cmp_gt_u32_e32 vcc, 8, v32
	v_cndmask_b32_e32 v32, v33, v42, vcc
	v_cndmask_b32_e32 v31, v31, v47, vcc
	v_lshlrev_b32_e32 v30, 24, v30
	v_bfrev_b32_e32 v33, 60
	v_lshlrev_b32_e32 v31, 20, v31
	v_and_b32_e32 v30, 0x80000000, v30
	v_lshl_add_u32 v32, v32, 23, v33
	v_or3_b32 v30, v30, v32, v31
	v_lshrrev_b32_e32 v31, 16, v30
.LBB717_200:
	s_or_b64 exec, exec, s[20:21]
.LBB717_201:
	s_or_b64 exec, exec, s[8:9]
.LBB717_202:
	s_or_b64 exec, exec, s[2:3]
	s_mov_b32 s2, 0x5040100
	v_perm_b32 v33, v39, v37, s2
	v_perm_b32 v32, v35, v36, s2
	;; [unrolled: 1-line block ×4, first 2 shown]
	v_mfma_f32_4x4x4bf16_1k a[0:3], v[18:19], v[32:33], a[0:3] cbsz:4 abid:3
	v_mov_b32_e32 v33, 0
	v_mfma_f32_4x4x4bf16_1k a[0:3], v[20:21], v[30:31], a[0:3] cbsz:4 abid:3
	s_waitcnt vmcnt(6)
	v_cmp_ne_u16_sdwa s[8:9], v26, v33 src0_sel:BYTE_0 src1_sel:DWORD
	v_mov_b32_e32 v34, 0
	s_and_saveexec_b64 s[2:3], s[8:9]
	s_cbranch_execz .LBB717_208
; %bb.203:
	s_movk_i32 s8, 0x80
	v_cmp_ne_u16_sdwa s[20:21], v26, s8 src0_sel:BYTE_0 src1_sel:DWORD
	v_mov_b32_e32 v34, 0xffff8000
	s_and_saveexec_b64 s[8:9], s[20:21]
	s_cbranch_execz .LBB717_207
; %bb.204:
	s_movk_i32 s11, 0x7f
	v_and_b32_e32 v30, 0x7f, v26
	v_cmp_ne_u32_e32 vcc, s11, v30
	v_mov_b32_e32 v34, 0x7f80
	s_and_saveexec_b64 s[20:21], vcc
	s_cbranch_execz .LBB717_206
; %bb.205:
	v_and_b32_e32 v31, 7, v26
	v_ffbh_u32_e32 v31, v31
	v_min_u32_e32 v31, 32, v31
	v_subrev_u32_e32 v34, 28, v31
	v_cmp_gt_u32_e32 vcc, 8, v30
	v_lshrrev_b32_e32 v32, 3, v30
	v_sub_u32_e32 v31, 29, v31
	v_cndmask_b32_e32 v30, 0, v34, vcc
	v_cndmask_b32_e32 v32, v32, v31, vcc
	v_lshlrev_b64 v[30:31], v30, v[26:27]
	v_lshlrev_b32_e32 v30, 20, v30
	v_lshlrev_b32_e32 v31, 24, v26
	v_bfrev_b32_e32 v34, 60
	v_and_b32_e32 v30, 0x700000, v30
	v_and_b32_e32 v31, 0x80000000, v31
	v_lshl_add_u32 v32, v32, 23, v34
	v_or3_b32 v30, v31, v32, v30
	v_lshrrev_b32_e32 v34, 16, v30
.LBB717_206:
	s_or_b64 exec, exec, s[20:21]
.LBB717_207:
	s_or_b64 exec, exec, s[8:9]
.LBB717_208:
	s_or_b64 exec, exec, s[2:3]
	v_lshrrev_b16_e32 v30, 8, v26
	v_cmp_ne_u16_e32 vcc, 0, v30
	s_and_saveexec_b64 s[2:3], vcc
	s_cbranch_execz .LBB717_214
; %bb.209:
	s_movk_i32 s8, 0x80
	v_cmp_ne_u16_e32 vcc, s8, v30
	v_mov_b32_e32 v33, 0xffff8000
	s_and_saveexec_b64 s[8:9], vcc
	s_cbranch_execz .LBB717_213
; %bb.210:
	s_movk_i32 s11, 0x7f
	v_and_b32_e32 v31, 0x7f, v30
	v_cmp_ne_u32_e32 vcc, s11, v31
	v_mov_b32_e32 v33, 0x7f80
	s_and_saveexec_b64 s[20:21], vcc
	s_cbranch_execz .LBB717_212
; %bb.211:
	v_and_b32_e32 v35, 7, v30
	v_ffbh_u32_e32 v32, v35
	v_min_u32_e32 v37, 32, v32
	v_subrev_u32_e32 v32, 28, v37
	v_lshlrev_b64 v[32:33], v32, v[30:31]
	v_lshrrev_b32_e32 v36, 3, v31
	v_sub_u32_e32 v30, 29, v37
	v_and_b32_e32 v32, 7, v32
	v_cmp_gt_u32_e32 vcc, 8, v31
	v_cndmask_b32_e32 v30, v36, v30, vcc
	v_cndmask_b32_e32 v31, v35, v32, vcc
	v_lshlrev_b32_e32 v32, 16, v26
	v_bfrev_b32_e32 v33, 60
	v_lshlrev_b32_e32 v31, 20, v31
	v_and_b32_e32 v32, 0x80000000, v32
	v_lshl_add_u32 v30, v30, 23, v33
	v_or3_b32 v30, v32, v30, v31
	v_lshrrev_b32_e32 v33, 16, v30
.LBB717_212:
	s_or_b64 exec, exec, s[20:21]
.LBB717_213:
	s_or_b64 exec, exec, s[8:9]
.LBB717_214:
	s_or_b64 exec, exec, s[2:3]
	s_movk_i32 s2, 0xff
	v_and_b32_sdwa v32, v26, s2 dst_sel:DWORD dst_unused:UNUSED_PAD src0_sel:WORD_1 src1_sel:DWORD
	v_lshrrev_b32_e32 v30, 16, v26
	v_cmp_ne_u16_e32 vcc, 0, v32
	v_mov_b32_e32 v31, 0
	v_mov_b32_e32 v35, 0
	s_and_saveexec_b64 s[2:3], vcc
	s_cbranch_execz .LBB717_220
; %bb.215:
	s_movk_i32 s8, 0x80
	v_cmp_ne_u16_e32 vcc, s8, v32
	v_mov_b32_e32 v35, 0xffff8000
	s_and_saveexec_b64 s[8:9], vcc
	s_cbranch_execz .LBB717_219
; %bb.216:
	v_bfe_u32 v32, v26, 16, 7
	s_movk_i32 s11, 0x7f
	v_cmp_ne_u32_e32 vcc, s11, v32
	v_mov_b32_e32 v35, 0x7f80
	s_and_saveexec_b64 s[20:21], vcc
	s_cbranch_execz .LBB717_218
; %bb.217:
	v_and_b32_e32 v35, 7, v30
	v_ffbh_u32_e32 v36, v35
	v_min_u32_e32 v40, 32, v36
	v_subrev_u32_e32 v36, 28, v40
	v_lshlrev_b64 v[36:37], v36, v[30:31]
	v_and_b32_e32 v36, 7, v36
	v_cmp_gt_u32_e32 vcc, 8, v32
	v_lshrrev_b32_e32 v39, 3, v32
	v_sub_u32_e32 v30, 29, v40
	v_cndmask_b32_e32 v32, v35, v36, vcc
	v_mov_b32_e32 v35, 24
	v_cndmask_b32_e32 v30, v39, v30, vcc
	v_lshlrev_b32_sdwa v35, v35, v26 dst_sel:DWORD dst_unused:UNUSED_PAD src0_sel:DWORD src1_sel:WORD_1
	v_bfrev_b32_e32 v36, 60
	v_lshlrev_b32_e32 v32, 20, v32
	v_and_b32_e32 v35, 0x80000000, v35
	v_lshl_add_u32 v30, v30, 23, v36
	v_or3_b32 v30, v35, v30, v32
	v_lshrrev_b32_e32 v35, 16, v30
.LBB717_218:
	s_or_b64 exec, exec, s[20:21]
.LBB717_219:
	s_or_b64 exec, exec, s[8:9]
.LBB717_220:
	s_or_b64 exec, exec, s[2:3]
	s_mov_b32 s2, 0xffffff
	v_cmp_lt_u32_e32 vcc, s2, v26
	v_mov_b32_e32 v36, 0
	s_and_saveexec_b64 s[2:3], vcc
	s_cbranch_execz .LBB717_226
; %bb.221:
	v_lshrrev_b32_e32 v30, 24, v26
	s_movk_i32 s8, 0x80
	v_cmp_ne_u32_e32 vcc, s8, v30
	v_mov_b32_e32 v36, 0xffff8000
	s_and_saveexec_b64 s[8:9], vcc
	s_cbranch_execz .LBB717_225
; %bb.222:
	v_bfe_u32 v32, v26, 24, 7
	s_movk_i32 s11, 0x7f
	v_cmp_ne_u32_e32 vcc, s11, v32
	v_mov_b32_e32 v36, 0x7f80
	s_and_saveexec_b64 s[20:21], vcc
	s_cbranch_execz .LBB717_224
; %bb.223:
	v_and_b32_e32 v39, 7, v30
	v_ffbh_u32_e32 v36, v39
	v_min_u32_e32 v41, 32, v36
	v_subrev_u32_e32 v36, 28, v41
	v_lshlrev_b64 v[36:37], v36, v[30:31]
	v_lshrrev_b32_e32 v40, 3, v32
	v_sub_u32_e32 v37, 29, v41
	v_and_b32_e32 v36, 7, v36
	v_cmp_gt_u32_e32 vcc, 8, v32
	v_cndmask_b32_e32 v32, v40, v37, vcc
	v_cndmask_b32_e32 v36, v39, v36, vcc
	v_lshlrev_b32_e32 v30, 24, v30
	v_bfrev_b32_e32 v37, 60
	v_lshlrev_b32_e32 v36, 20, v36
	v_and_b32_e32 v30, 0x80000000, v30
	v_lshl_add_u32 v32, v32, 23, v37
	v_or3_b32 v30, v30, v32, v36
	v_lshrrev_b32_e32 v36, 16, v30
.LBB717_224:
	s_or_b64 exec, exec, s[20:21]
.LBB717_225:
	s_or_b64 exec, exec, s[8:9]
.LBB717_226:
	s_or_b64 exec, exec, s[2:3]
	v_mov_b32_e32 v37, 0
	v_mov_b32_e32 v30, v27
	v_cmp_ne_u16_sdwa s[8:9], v27, v37 src0_sel:BYTE_0 src1_sel:DWORD
	v_mov_b32_e32 v39, 0
	s_and_saveexec_b64 s[2:3], s[8:9]
	s_cbranch_execz .LBB717_232
; %bb.227:
	s_movk_i32 s8, 0x80
	v_cmp_ne_u16_sdwa s[20:21], v27, s8 src0_sel:BYTE_0 src1_sel:DWORD
	v_mov_b32_e32 v39, 0xffff8000
	s_and_saveexec_b64 s[8:9], s[20:21]
	s_cbranch_execz .LBB717_231
; %bb.228:
	s_movk_i32 s11, 0x7f
	v_and_b32_e32 v32, 0x7f, v27
	v_cmp_ne_u32_e32 vcc, s11, v32
	v_mov_b32_e32 v39, 0x7f80
	s_and_saveexec_b64 s[20:21], vcc
	s_cbranch_execz .LBB717_230
; %bb.229:
	v_and_b32_e32 v39, 7, v27
	v_ffbh_u32_e32 v39, v39
	v_min_u32_e32 v39, 32, v39
	v_lshrrev_b32_e32 v40, 3, v32
	v_subrev_u32_e32 v41, 28, v39
	v_sub_u32_e32 v39, 29, v39
	v_cmp_gt_u32_e32 vcc, 8, v32
	v_cndmask_b32_e32 v32, v40, v39, vcc
	v_cndmask_b32_e32 v39, 0, v41, vcc
	v_lshlrev_b64 v[40:41], v39, v[30:31]
	v_lshlrev_b32_e32 v31, 20, v40
	v_lshlrev_b32_e32 v39, 24, v30
	v_bfrev_b32_e32 v40, 60
	v_and_b32_e32 v31, 0x700000, v31
	v_and_b32_e32 v39, 0x80000000, v39
	v_lshl_add_u32 v32, v32, 23, v40
	v_or3_b32 v31, v39, v32, v31
	v_lshrrev_b32_e32 v39, 16, v31
.LBB717_230:
	s_or_b64 exec, exec, s[20:21]
.LBB717_231:
	s_or_b64 exec, exec, s[8:9]
.LBB717_232:
	s_or_b64 exec, exec, s[2:3]
	v_lshrrev_b16_e32 v32, 8, v30
	v_cmp_ne_u16_e32 vcc, 0, v32
	s_and_saveexec_b64 s[2:3], vcc
	s_cbranch_execz .LBB717_238
; %bb.233:
	s_movk_i32 s8, 0x80
	v_cmp_ne_u16_e32 vcc, s8, v32
	v_mov_b32_e32 v37, 0xffff8000
	s_and_saveexec_b64 s[8:9], vcc
	s_cbranch_execz .LBB717_237
; %bb.234:
	s_movk_i32 s11, 0x7f
	v_and_b32_e32 v31, 0x7f, v32
	v_cmp_ne_u32_e32 vcc, s11, v31
	v_mov_b32_e32 v37, 0x7f80
	s_and_saveexec_b64 s[20:21], vcc
	s_cbranch_execz .LBB717_236
; %bb.235:
	v_and_b32_e32 v37, 7, v32
	v_ffbh_u32_e32 v40, v37
	v_min_u32_e32 v47, 32, v40
	v_subrev_u32_e32 v40, 28, v47
	v_lshlrev_b64 v[40:41], v40, v[32:33]
	v_lshrrev_b32_e32 v42, 3, v31
	v_sub_u32_e32 v32, 29, v47
	v_and_b32_e32 v40, 7, v40
	v_cmp_gt_u32_e32 vcc, 8, v31
	v_cndmask_b32_e32 v31, v42, v32, vcc
	v_cndmask_b32_e32 v32, v37, v40, vcc
	v_lshlrev_b32_e32 v30, 16, v30
	v_bfrev_b32_e32 v37, 60
	v_lshlrev_b32_e32 v32, 20, v32
	v_and_b32_e32 v30, 0x80000000, v30
	v_lshl_add_u32 v31, v31, 23, v37
	v_or3_b32 v30, v30, v31, v32
	v_lshrrev_b32_e32 v37, 16, v30
.LBB717_236:
	s_or_b64 exec, exec, s[20:21]
.LBB717_237:
	s_or_b64 exec, exec, s[8:9]
.LBB717_238:
	s_or_b64 exec, exec, s[2:3]
	s_movk_i32 s2, 0xff
	v_and_b32_sdwa v40, v27, s2 dst_sel:DWORD dst_unused:UNUSED_PAD src0_sel:WORD_1 src1_sel:DWORD
	v_lshrrev_b32_e32 v30, 16, v27
	v_cmp_ne_u16_e32 vcc, 0, v40
	v_mov_b32_e32 v31, 0
	v_mov_b32_e32 v32, 0
	s_and_saveexec_b64 s[2:3], vcc
	s_cbranch_execz .LBB717_244
; %bb.239:
	s_movk_i32 s8, 0x80
	v_cmp_ne_u16_e32 vcc, s8, v40
	v_mov_b32_e32 v32, 0xffff8000
	s_and_saveexec_b64 s[8:9], vcc
	s_cbranch_execz .LBB717_243
; %bb.240:
	v_bfe_u32 v40, v27, 16, 7
	s_movk_i32 s11, 0x7f
	v_cmp_ne_u32_e32 vcc, s11, v40
	v_mov_b32_e32 v32, 0x7f80
	s_and_saveexec_b64 s[20:21], vcc
	s_cbranch_execz .LBB717_242
; %bb.241:
	v_and_b32_e32 v32, 7, v30
	v_ffbh_u32_e32 v42, v32
	v_min_u32_e32 v42, 32, v42
	v_subrev_u32_e32 v47, 28, v42
	v_lshlrev_b64 v[48:49], v47, v[30:31]
	v_lshrrev_b32_e32 v41, 3, v40
	v_sub_u32_e32 v30, 29, v42
	v_and_b32_e32 v42, 7, v48
	v_cmp_gt_u32_e32 vcc, 8, v40
	v_mov_b32_e32 v40, 24
	v_cndmask_b32_e32 v30, v41, v30, vcc
	v_cndmask_b32_e32 v32, v32, v42, vcc
	v_lshlrev_b32_sdwa v40, v40, v27 dst_sel:DWORD dst_unused:UNUSED_PAD src0_sel:DWORD src1_sel:WORD_1
	v_bfrev_b32_e32 v41, 60
	v_lshlrev_b32_e32 v32, 20, v32
	v_and_b32_e32 v40, 0x80000000, v40
	v_lshl_add_u32 v30, v30, 23, v41
	v_or3_b32 v30, v40, v30, v32
	v_lshrrev_b32_e32 v32, 16, v30
.LBB717_242:
	s_or_b64 exec, exec, s[20:21]
.LBB717_243:
	s_or_b64 exec, exec, s[8:9]
.LBB717_244:
	s_or_b64 exec, exec, s[2:3]
	s_mov_b32 s2, -1
	s_mov_b32 s3, 0xffffff
	v_cmp_lt_u64_e32 vcc, s[2:3], v[26:27]
	s_and_saveexec_b64 s[2:3], vcc
	s_cbranch_execz .LBB717_250
; %bb.245:
	v_lshrrev_b32_e32 v26, 24, v27
	s_movk_i32 s8, 0x80
	v_cmp_ne_u32_e32 vcc, s8, v26
	v_mov_b32_e32 v31, 0xffff8000
	s_and_saveexec_b64 s[8:9], vcc
	s_cbranch_execz .LBB717_249
; %bb.246:
	v_bfe_u32 v27, v27, 24, 7
	s_movk_i32 s11, 0x7f
	v_cmp_ne_u32_e32 vcc, s11, v27
	v_mov_b32_e32 v31, 0x7f80
	s_and_saveexec_b64 s[20:21], vcc
	s_cbranch_execz .LBB717_248
; %bb.247:
	v_and_b32_e32 v40, 7, v26
	v_ffbh_u32_e32 v30, v40
	v_min_u32_e32 v42, 32, v30
	v_subrev_u32_e32 v30, 28, v42
	v_lshlrev_b64 v[30:31], v30, v[26:27]
	v_lshrrev_b32_e32 v41, 3, v27
	v_sub_u32_e32 v31, 29, v42
	v_and_b32_e32 v30, 7, v30
	v_cmp_gt_u32_e32 vcc, 8, v27
	v_cndmask_b32_e32 v27, v41, v31, vcc
	v_cndmask_b32_e32 v30, v40, v30, vcc
	v_lshlrev_b32_e32 v26, 24, v26
	v_bfrev_b32_e32 v31, 60
	v_lshlrev_b32_e32 v30, 20, v30
	v_and_b32_e32 v26, 0x80000000, v26
	v_lshl_add_u32 v27, v27, 23, v31
	v_or3_b32 v26, v26, v27, v30
	v_lshrrev_b32_e32 v31, 16, v26
.LBB717_248:
	s_or_b64 exec, exec, s[20:21]
.LBB717_249:
	s_or_b64 exec, exec, s[8:9]
.LBB717_250:
	s_or_b64 exec, exec, s[2:3]
	s_mov_b32 s2, 0x5040100
	v_perm_b32 v27, v36, v35, s2
	v_perm_b32 v26, v33, v34, s2
	;; [unrolled: 1-line block ×4, first 2 shown]
	v_mfma_f32_4x4x4bf16_1k a[0:3], v[18:19], v[26:27], a[0:3] cbsz:4 abid:4
	v_mov_b32_e32 v32, 0
	v_mfma_f32_4x4x4bf16_1k a[0:3], v[20:21], v[30:31], a[0:3] cbsz:4 abid:4
	v_mov_b32_e32 v31, 0
	v_cmp_ne_u16_sdwa s[8:9], v28, v31 src0_sel:BYTE_0 src1_sel:DWORD
	s_and_saveexec_b64 s[2:3], s[8:9]
	s_cbranch_execz .LBB717_256
; %bb.251:
	s_movk_i32 s8, 0x80
	v_cmp_ne_u16_sdwa s[20:21], v28, s8 src0_sel:BYTE_0 src1_sel:DWORD
	v_mov_b32_e32 v32, 0xffff8000
	s_and_saveexec_b64 s[8:9], s[20:21]
	s_cbranch_execz .LBB717_255
; %bb.252:
	s_movk_i32 s11, 0x7f
	v_and_b32_e32 v26, 0x7f, v28
	v_cmp_ne_u32_e32 vcc, s11, v26
	v_mov_b32_e32 v32, 0x7f80
	s_and_saveexec_b64 s[20:21], vcc
	s_cbranch_execz .LBB717_254
; %bb.253:
	v_and_b32_e32 v27, 7, v28
	v_ffbh_u32_e32 v27, v27
	v_min_u32_e32 v27, 32, v27
	v_subrev_u32_e32 v32, 28, v27
	v_cmp_gt_u32_e32 vcc, 8, v26
	v_lshrrev_b32_e32 v30, 3, v26
	v_sub_u32_e32 v27, 29, v27
	v_cndmask_b32_e32 v26, 0, v32, vcc
	v_cndmask_b32_e32 v30, v30, v27, vcc
	v_lshlrev_b64 v[26:27], v26, v[28:29]
	v_lshlrev_b32_e32 v26, 20, v26
	v_lshlrev_b32_e32 v27, 24, v28
	v_bfrev_b32_e32 v32, 60
	v_and_b32_e32 v26, 0x700000, v26
	v_and_b32_e32 v27, 0x80000000, v27
	v_lshl_add_u32 v30, v30, 23, v32
	v_or3_b32 v26, v27, v30, v26
	v_lshrrev_b32_e32 v32, 16, v26
.LBB717_254:
	s_or_b64 exec, exec, s[20:21]
.LBB717_255:
	s_or_b64 exec, exec, s[8:9]
.LBB717_256:
	s_or_b64 exec, exec, s[2:3]
	v_lshrrev_b16_e32 v26, 8, v28
	v_cmp_ne_u16_e32 vcc, 0, v26
	s_and_saveexec_b64 s[2:3], vcc
	s_cbranch_execz .LBB717_262
; %bb.257:
	s_movk_i32 s8, 0x80
	v_cmp_ne_u16_e32 vcc, s8, v26
	v_mov_b32_e32 v31, 0xffff8000
	s_and_saveexec_b64 s[8:9], vcc
	s_cbranch_execz .LBB717_261
; %bb.258:
	s_movk_i32 s11, 0x7f
	v_and_b32_e32 v27, 0x7f, v26
	v_cmp_ne_u32_e32 vcc, s11, v27
	v_mov_b32_e32 v31, 0x7f80
	s_and_saveexec_b64 s[20:21], vcc
	s_cbranch_execz .LBB717_260
; %bb.259:
	v_and_b32_e32 v33, 7, v26
	v_ffbh_u32_e32 v30, v33
	v_min_u32_e32 v35, 32, v30
	v_subrev_u32_e32 v30, 28, v35
	v_lshlrev_b64 v[30:31], v30, v[26:27]
	v_lshrrev_b32_e32 v34, 3, v27
	v_sub_u32_e32 v26, 29, v35
	v_and_b32_e32 v30, 7, v30
	v_cmp_gt_u32_e32 vcc, 8, v27
	v_cndmask_b32_e32 v26, v34, v26, vcc
	v_cndmask_b32_e32 v27, v33, v30, vcc
	v_lshlrev_b32_e32 v30, 16, v28
	v_bfrev_b32_e32 v31, 60
	v_lshlrev_b32_e32 v27, 20, v27
	v_and_b32_e32 v30, 0x80000000, v30
	v_lshl_add_u32 v26, v26, 23, v31
	v_or3_b32 v26, v30, v26, v27
	v_lshrrev_b32_e32 v31, 16, v26
.LBB717_260:
	s_or_b64 exec, exec, s[20:21]
.LBB717_261:
	s_or_b64 exec, exec, s[8:9]
.LBB717_262:
	s_or_b64 exec, exec, s[2:3]
	s_movk_i32 s2, 0xff
	v_and_b32_sdwa v30, v28, s2 dst_sel:DWORD dst_unused:UNUSED_PAD src0_sel:WORD_1 src1_sel:DWORD
	v_lshrrev_b32_e32 v26, 16, v28
	v_cmp_ne_u16_e32 vcc, 0, v30
	v_mov_b32_e32 v27, 0
	v_mov_b32_e32 v33, 0
	s_and_saveexec_b64 s[2:3], vcc
	s_cbranch_execz .LBB717_268
; %bb.263:
	s_movk_i32 s8, 0x80
	v_cmp_ne_u16_e32 vcc, s8, v30
	v_mov_b32_e32 v33, 0xffff8000
	s_and_saveexec_b64 s[8:9], vcc
	s_cbranch_execz .LBB717_267
; %bb.264:
	v_bfe_u32 v30, v28, 16, 7
	s_movk_i32 s11, 0x7f
	v_cmp_ne_u32_e32 vcc, s11, v30
	v_mov_b32_e32 v33, 0x7f80
	s_and_saveexec_b64 s[20:21], vcc
	s_cbranch_execz .LBB717_266
; %bb.265:
	v_and_b32_e32 v33, 7, v26
	v_ffbh_u32_e32 v34, v33
	v_min_u32_e32 v37, 32, v34
	v_subrev_u32_e32 v34, 28, v37
	v_lshlrev_b64 v[34:35], v34, v[26:27]
	v_and_b32_e32 v34, 7, v34
	v_cmp_gt_u32_e32 vcc, 8, v30
	v_lshrrev_b32_e32 v36, 3, v30
	v_sub_u32_e32 v26, 29, v37
	v_cndmask_b32_e32 v30, v33, v34, vcc
	v_mov_b32_e32 v33, 24
	v_cndmask_b32_e32 v26, v36, v26, vcc
	v_lshlrev_b32_sdwa v33, v33, v28 dst_sel:DWORD dst_unused:UNUSED_PAD src0_sel:DWORD src1_sel:WORD_1
	v_bfrev_b32_e32 v34, 60
	v_lshlrev_b32_e32 v30, 20, v30
	v_and_b32_e32 v33, 0x80000000, v33
	v_lshl_add_u32 v26, v26, 23, v34
	v_or3_b32 v26, v33, v26, v30
	v_lshrrev_b32_e32 v33, 16, v26
.LBB717_266:
	s_or_b64 exec, exec, s[20:21]
.LBB717_267:
	s_or_b64 exec, exec, s[8:9]
.LBB717_268:
	s_or_b64 exec, exec, s[2:3]
	s_mov_b32 s2, 0xffffff
	v_cmp_lt_u32_e32 vcc, s2, v28
	v_mov_b32_e32 v34, 0
	s_and_saveexec_b64 s[2:3], vcc
	s_cbranch_execz .LBB717_274
; %bb.269:
	v_lshrrev_b32_e32 v26, 24, v28
	s_movk_i32 s8, 0x80
	v_cmp_ne_u32_e32 vcc, s8, v26
	v_mov_b32_e32 v34, 0xffff8000
	s_and_saveexec_b64 s[8:9], vcc
	s_cbranch_execz .LBB717_273
; %bb.270:
	v_bfe_u32 v30, v28, 24, 7
	s_movk_i32 s11, 0x7f
	v_cmp_ne_u32_e32 vcc, s11, v30
	v_mov_b32_e32 v34, 0x7f80
	s_and_saveexec_b64 s[20:21], vcc
	s_cbranch_execz .LBB717_272
; %bb.271:
	v_and_b32_e32 v36, 7, v26
	v_ffbh_u32_e32 v34, v36
	v_min_u32_e32 v39, 32, v34
	v_subrev_u32_e32 v34, 28, v39
	v_lshlrev_b64 v[34:35], v34, v[26:27]
	v_lshrrev_b32_e32 v37, 3, v30
	v_sub_u32_e32 v35, 29, v39
	v_and_b32_e32 v34, 7, v34
	v_cmp_gt_u32_e32 vcc, 8, v30
	v_cndmask_b32_e32 v30, v37, v35, vcc
	v_cndmask_b32_e32 v34, v36, v34, vcc
	v_lshlrev_b32_e32 v26, 24, v26
	v_bfrev_b32_e32 v35, 60
	v_lshlrev_b32_e32 v34, 20, v34
	v_and_b32_e32 v26, 0x80000000, v26
	v_lshl_add_u32 v30, v30, 23, v35
	v_or3_b32 v26, v26, v30, v34
	v_lshrrev_b32_e32 v34, 16, v26
.LBB717_272:
	s_or_b64 exec, exec, s[20:21]
.LBB717_273:
	s_or_b64 exec, exec, s[8:9]
.LBB717_274:
	s_or_b64 exec, exec, s[2:3]
	v_mov_b32_e32 v35, 0
	v_mov_b32_e32 v26, v29
	v_cmp_ne_u16_sdwa s[8:9], v29, v35 src0_sel:BYTE_0 src1_sel:DWORD
	v_mov_b32_e32 v36, 0
	s_and_saveexec_b64 s[2:3], s[8:9]
	s_cbranch_execz .LBB717_280
; %bb.275:
	s_movk_i32 s8, 0x80
	v_cmp_ne_u16_sdwa s[20:21], v29, s8 src0_sel:BYTE_0 src1_sel:DWORD
	v_mov_b32_e32 v36, 0xffff8000
	s_and_saveexec_b64 s[8:9], s[20:21]
	s_cbranch_execz .LBB717_279
; %bb.276:
	s_movk_i32 s11, 0x7f
	v_and_b32_e32 v30, 0x7f, v29
	v_cmp_ne_u32_e32 vcc, s11, v30
	v_mov_b32_e32 v36, 0x7f80
	s_and_saveexec_b64 s[20:21], vcc
	s_cbranch_execz .LBB717_278
; %bb.277:
	v_and_b32_e32 v36, 7, v29
	v_ffbh_u32_e32 v36, v36
	v_min_u32_e32 v36, 32, v36
	v_lshrrev_b32_e32 v37, 3, v30
	v_subrev_u32_e32 v39, 28, v36
	v_sub_u32_e32 v36, 29, v36
	v_cmp_gt_u32_e32 vcc, 8, v30
	v_cndmask_b32_e32 v30, v37, v36, vcc
	v_cndmask_b32_e32 v36, 0, v39, vcc
	v_lshlrev_b64 v[36:37], v36, v[26:27]
	v_lshlrev_b32_e32 v27, 20, v36
	v_lshlrev_b32_e32 v36, 24, v26
	v_bfrev_b32_e32 v37, 60
	v_and_b32_e32 v27, 0x700000, v27
	v_and_b32_e32 v36, 0x80000000, v36
	v_lshl_add_u32 v30, v30, 23, v37
	v_or3_b32 v27, v36, v30, v27
	v_lshrrev_b32_e32 v36, 16, v27
.LBB717_278:
	s_or_b64 exec, exec, s[20:21]
.LBB717_279:
	s_or_b64 exec, exec, s[8:9]
.LBB717_280:
	s_or_b64 exec, exec, s[2:3]
	v_lshrrev_b16_e32 v30, 8, v26
	v_cmp_ne_u16_e32 vcc, 0, v30
	s_and_saveexec_b64 s[2:3], vcc
	s_cbranch_execz .LBB717_286
; %bb.281:
	s_movk_i32 s8, 0x80
	v_cmp_ne_u16_e32 vcc, s8, v30
	v_mov_b32_e32 v35, 0xffff8000
	s_and_saveexec_b64 s[8:9], vcc
	s_cbranch_execz .LBB717_285
; %bb.282:
	s_movk_i32 s11, 0x7f
	v_and_b32_e32 v27, 0x7f, v30
	v_cmp_ne_u32_e32 vcc, s11, v27
	v_mov_b32_e32 v35, 0x7f80
	s_and_saveexec_b64 s[20:21], vcc
	s_cbranch_execz .LBB717_284
; %bb.283:
	v_and_b32_e32 v35, 7, v30
	v_ffbh_u32_e32 v39, v35
	v_min_u32_e32 v39, 32, v39
	v_subrev_u32_e32 v40, 28, v39
	v_lshlrev_b64 v[40:41], v40, v[30:31]
	v_lshrrev_b32_e32 v37, 3, v27
	v_sub_u32_e32 v30, 29, v39
	v_and_b32_e32 v39, 7, v40
	v_cmp_gt_u32_e32 vcc, 8, v27
	v_cndmask_b32_e32 v27, v37, v30, vcc
	v_cndmask_b32_e32 v30, v35, v39, vcc
	v_lshlrev_b32_e32 v26, 16, v26
	v_bfrev_b32_e32 v35, 60
	v_lshlrev_b32_e32 v30, 20, v30
	v_and_b32_e32 v26, 0x80000000, v26
	v_lshl_add_u32 v27, v27, 23, v35
	v_or3_b32 v26, v26, v27, v30
	v_lshrrev_b32_e32 v35, 16, v26
.LBB717_284:
	s_or_b64 exec, exec, s[20:21]
.LBB717_285:
	s_or_b64 exec, exec, s[8:9]
.LBB717_286:
	s_or_b64 exec, exec, s[2:3]
	s_movk_i32 s2, 0xff
	v_and_b32_sdwa v37, v29, s2 dst_sel:DWORD dst_unused:UNUSED_PAD src0_sel:WORD_1 src1_sel:DWORD
	v_lshrrev_b32_e32 v26, 16, v29
	v_cmp_ne_u16_e32 vcc, 0, v37
	v_mov_b32_e32 v27, 0
	v_mov_b32_e32 v30, 0
	s_and_saveexec_b64 s[2:3], vcc
	s_cbranch_execz .LBB717_292
; %bb.287:
	s_movk_i32 s8, 0x80
	v_cmp_ne_u16_e32 vcc, s8, v37
	v_mov_b32_e32 v30, 0xffff8000
	s_and_saveexec_b64 s[8:9], vcc
	s_cbranch_execz .LBB717_291
; %bb.288:
	v_bfe_u32 v37, v29, 16, 7
	s_movk_i32 s11, 0x7f
	v_cmp_ne_u32_e32 vcc, s11, v37
	v_mov_b32_e32 v30, 0x7f80
	s_and_saveexec_b64 s[20:21], vcc
	s_cbranch_execz .LBB717_290
; %bb.289:
	v_and_b32_e32 v30, 7, v26
	v_ffbh_u32_e32 v40, v30
	v_min_u32_e32 v42, 32, v40
	v_subrev_u32_e32 v40, 28, v42
	v_lshlrev_b64 v[40:41], v40, v[26:27]
	v_lshrrev_b32_e32 v39, 3, v37
	v_sub_u32_e32 v26, 29, v42
	v_and_b32_e32 v40, 7, v40
	v_cmp_gt_u32_e32 vcc, 8, v37
	v_mov_b32_e32 v37, 24
	v_cndmask_b32_e32 v26, v39, v26, vcc
	v_cndmask_b32_e32 v30, v30, v40, vcc
	v_lshlrev_b32_sdwa v37, v37, v29 dst_sel:DWORD dst_unused:UNUSED_PAD src0_sel:DWORD src1_sel:WORD_1
	v_bfrev_b32_e32 v39, 60
	v_lshlrev_b32_e32 v30, 20, v30
	v_and_b32_e32 v37, 0x80000000, v37
	v_lshl_add_u32 v26, v26, 23, v39
	v_or3_b32 v26, v37, v26, v30
	v_lshrrev_b32_e32 v30, 16, v26
.LBB717_290:
	s_or_b64 exec, exec, s[20:21]
.LBB717_291:
	s_or_b64 exec, exec, s[8:9]
.LBB717_292:
	s_or_b64 exec, exec, s[2:3]
	s_mov_b32 s2, -1
	s_mov_b32 s3, 0xffffff
	v_cmp_lt_u64_e32 vcc, s[2:3], v[28:29]
	s_and_saveexec_b64 s[2:3], vcc
	s_cbranch_execz .LBB717_298
; %bb.293:
	v_lshrrev_b32_e32 v26, 24, v29
	s_movk_i32 s8, 0x80
	v_cmp_ne_u32_e32 vcc, s8, v26
	v_mov_b32_e32 v27, 0xffff8000
	s_and_saveexec_b64 s[8:9], vcc
	s_cbranch_execz .LBB717_297
; %bb.294:
	v_bfe_u32 v28, v29, 24, 7
	s_movk_i32 s11, 0x7f
	v_cmp_ne_u32_e32 vcc, s11, v28
	v_mov_b32_e32 v27, 0x7f80
	s_and_saveexec_b64 s[20:21], vcc
	s_cbranch_execz .LBB717_296
; %bb.295:
	v_and_b32_e32 v27, 7, v26
	v_ffbh_u32_e32 v37, v27
	v_min_u32_e32 v37, 32, v37
	v_subrev_u32_e32 v39, 28, v37
	v_lshlrev_b64 v[40:41], v39, v[26:27]
	v_lshrrev_b32_e32 v29, 3, v28
	v_sub_u32_e32 v37, 29, v37
	v_and_b32_e32 v39, 7, v40
	v_cmp_gt_u32_e32 vcc, 8, v28
	v_cndmask_b32_e32 v28, v29, v37, vcc
	v_cndmask_b32_e32 v27, v27, v39, vcc
	v_lshlrev_b32_e32 v26, 24, v26
	v_bfrev_b32_e32 v29, 60
	v_lshlrev_b32_e32 v27, 20, v27
	v_and_b32_e32 v26, 0x80000000, v26
	v_lshl_add_u32 v28, v28, 23, v29
	v_or3_b32 v26, v26, v28, v27
	v_lshrrev_b32_e32 v27, 16, v26
.LBB717_296:
	s_or_b64 exec, exec, s[20:21]
.LBB717_297:
	s_or_b64 exec, exec, s[8:9]
.LBB717_298:
	s_or_b64 exec, exec, s[2:3]
	s_mov_b32 s2, 0x5040100
	v_perm_b32 v29, v34, v33, s2
	v_perm_b32 v28, v31, v32, s2
	;; [unrolled: 1-line block ×4, first 2 shown]
	v_mfma_f32_4x4x4bf16_1k a[0:3], v[18:19], v[28:29], a[0:3] cbsz:4 abid:5
	v_mov_b32_e32 v29, 0
	v_mfma_f32_4x4x4bf16_1k a[0:3], v[20:21], v[26:27], a[0:3] cbsz:4 abid:5
	s_waitcnt vmcnt(5)
	v_cmp_ne_u16_sdwa s[8:9], v22, v29 src0_sel:BYTE_0 src1_sel:DWORD
	v_mov_b32_e32 v30, 0
	s_and_saveexec_b64 s[2:3], s[8:9]
	s_cbranch_execz .LBB717_304
; %bb.299:
	s_movk_i32 s8, 0x80
	v_cmp_ne_u16_sdwa s[20:21], v22, s8 src0_sel:BYTE_0 src1_sel:DWORD
	v_mov_b32_e32 v30, 0xffff8000
	s_and_saveexec_b64 s[8:9], s[20:21]
	s_cbranch_execz .LBB717_303
; %bb.300:
	s_movk_i32 s11, 0x7f
	v_and_b32_e32 v26, 0x7f, v22
	v_cmp_ne_u32_e32 vcc, s11, v26
	v_mov_b32_e32 v30, 0x7f80
	s_and_saveexec_b64 s[20:21], vcc
	s_cbranch_execz .LBB717_302
; %bb.301:
	v_and_b32_e32 v27, 7, v22
	v_ffbh_u32_e32 v27, v27
	v_min_u32_e32 v27, 32, v27
	v_subrev_u32_e32 v30, 28, v27
	v_cmp_gt_u32_e32 vcc, 8, v26
	v_lshrrev_b32_e32 v28, 3, v26
	v_sub_u32_e32 v27, 29, v27
	v_cndmask_b32_e32 v26, 0, v30, vcc
	v_cndmask_b32_e32 v28, v28, v27, vcc
	v_lshlrev_b64 v[26:27], v26, v[22:23]
	v_lshlrev_b32_e32 v26, 20, v26
	v_lshlrev_b32_e32 v27, 24, v22
	v_bfrev_b32_e32 v30, 60
	v_and_b32_e32 v26, 0x700000, v26
	v_and_b32_e32 v27, 0x80000000, v27
	v_lshl_add_u32 v28, v28, 23, v30
	v_or3_b32 v26, v27, v28, v26
	v_lshrrev_b32_e32 v30, 16, v26
.LBB717_302:
	s_or_b64 exec, exec, s[20:21]
.LBB717_303:
	s_or_b64 exec, exec, s[8:9]
.LBB717_304:
	s_or_b64 exec, exec, s[2:3]
	v_lshrrev_b16_e32 v26, 8, v22
	v_cmp_ne_u16_e32 vcc, 0, v26
	s_and_saveexec_b64 s[2:3], vcc
	s_cbranch_execz .LBB717_310
; %bb.305:
	s_movk_i32 s8, 0x80
	v_cmp_ne_u16_e32 vcc, s8, v26
	v_mov_b32_e32 v29, 0xffff8000
	s_and_saveexec_b64 s[8:9], vcc
	s_cbranch_execz .LBB717_309
; %bb.306:
	s_movk_i32 s11, 0x7f
	v_and_b32_e32 v27, 0x7f, v26
	v_cmp_ne_u32_e32 vcc, s11, v27
	v_mov_b32_e32 v29, 0x7f80
	s_and_saveexec_b64 s[20:21], vcc
	s_cbranch_execz .LBB717_308
; %bb.307:
	v_and_b32_e32 v31, 7, v26
	v_ffbh_u32_e32 v28, v31
	v_min_u32_e32 v33, 32, v28
	v_subrev_u32_e32 v28, 28, v33
	v_lshlrev_b64 v[28:29], v28, v[26:27]
	v_lshrrev_b32_e32 v32, 3, v27
	v_sub_u32_e32 v26, 29, v33
	v_and_b32_e32 v28, 7, v28
	v_cmp_gt_u32_e32 vcc, 8, v27
	v_cndmask_b32_e32 v26, v32, v26, vcc
	v_cndmask_b32_e32 v27, v31, v28, vcc
	v_lshlrev_b32_e32 v28, 16, v22
	v_bfrev_b32_e32 v29, 60
	v_lshlrev_b32_e32 v27, 20, v27
	v_and_b32_e32 v28, 0x80000000, v28
	v_lshl_add_u32 v26, v26, 23, v29
	v_or3_b32 v26, v28, v26, v27
	v_lshrrev_b32_e32 v29, 16, v26
.LBB717_308:
	s_or_b64 exec, exec, s[20:21]
.LBB717_309:
	s_or_b64 exec, exec, s[8:9]
.LBB717_310:
	s_or_b64 exec, exec, s[2:3]
	s_movk_i32 s2, 0xff
	v_and_b32_sdwa v28, v22, s2 dst_sel:DWORD dst_unused:UNUSED_PAD src0_sel:WORD_1 src1_sel:DWORD
	v_lshrrev_b32_e32 v26, 16, v22
	v_cmp_ne_u16_e32 vcc, 0, v28
	v_mov_b32_e32 v27, 0
	v_mov_b32_e32 v31, 0
	s_and_saveexec_b64 s[2:3], vcc
	s_cbranch_execz .LBB717_316
; %bb.311:
	s_movk_i32 s8, 0x80
	v_cmp_ne_u16_e32 vcc, s8, v28
	v_mov_b32_e32 v31, 0xffff8000
	s_and_saveexec_b64 s[8:9], vcc
	s_cbranch_execz .LBB717_315
; %bb.312:
	v_bfe_u32 v28, v22, 16, 7
	s_movk_i32 s11, 0x7f
	v_cmp_ne_u32_e32 vcc, s11, v28
	v_mov_b32_e32 v31, 0x7f80
	s_and_saveexec_b64 s[20:21], vcc
	s_cbranch_execz .LBB717_314
; %bb.313:
	v_and_b32_e32 v31, 7, v26
	v_ffbh_u32_e32 v32, v31
	v_min_u32_e32 v35, 32, v32
	v_subrev_u32_e32 v32, 28, v35
	v_lshlrev_b64 v[32:33], v32, v[26:27]
	v_and_b32_e32 v32, 7, v32
	v_cmp_gt_u32_e32 vcc, 8, v28
	v_lshrrev_b32_e32 v34, 3, v28
	v_sub_u32_e32 v26, 29, v35
	v_cndmask_b32_e32 v28, v31, v32, vcc
	v_mov_b32_e32 v31, 24
	v_cndmask_b32_e32 v26, v34, v26, vcc
	v_lshlrev_b32_sdwa v31, v31, v22 dst_sel:DWORD dst_unused:UNUSED_PAD src0_sel:DWORD src1_sel:WORD_1
	v_bfrev_b32_e32 v32, 60
	v_lshlrev_b32_e32 v28, 20, v28
	v_and_b32_e32 v31, 0x80000000, v31
	v_lshl_add_u32 v26, v26, 23, v32
	v_or3_b32 v26, v31, v26, v28
	v_lshrrev_b32_e32 v31, 16, v26
.LBB717_314:
	s_or_b64 exec, exec, s[20:21]
.LBB717_315:
	s_or_b64 exec, exec, s[8:9]
.LBB717_316:
	s_or_b64 exec, exec, s[2:3]
	s_mov_b32 s2, 0xffffff
	v_cmp_lt_u32_e32 vcc, s2, v22
	v_mov_b32_e32 v32, 0
	s_and_saveexec_b64 s[2:3], vcc
	s_cbranch_execz .LBB717_322
; %bb.317:
	v_lshrrev_b32_e32 v26, 24, v22
	s_movk_i32 s8, 0x80
	v_cmp_ne_u32_e32 vcc, s8, v26
	v_mov_b32_e32 v32, 0xffff8000
	s_and_saveexec_b64 s[8:9], vcc
	s_cbranch_execz .LBB717_321
; %bb.318:
	v_bfe_u32 v28, v22, 24, 7
	s_movk_i32 s11, 0x7f
	v_cmp_ne_u32_e32 vcc, s11, v28
	v_mov_b32_e32 v32, 0x7f80
	s_and_saveexec_b64 s[20:21], vcc
	s_cbranch_execz .LBB717_320
; %bb.319:
	v_and_b32_e32 v34, 7, v26
	v_ffbh_u32_e32 v32, v34
	v_min_u32_e32 v36, 32, v32
	v_subrev_u32_e32 v32, 28, v36
	v_lshlrev_b64 v[32:33], v32, v[26:27]
	v_lshrrev_b32_e32 v35, 3, v28
	v_sub_u32_e32 v33, 29, v36
	v_and_b32_e32 v32, 7, v32
	v_cmp_gt_u32_e32 vcc, 8, v28
	v_cndmask_b32_e32 v28, v35, v33, vcc
	v_cndmask_b32_e32 v32, v34, v32, vcc
	v_lshlrev_b32_e32 v26, 24, v26
	v_bfrev_b32_e32 v33, 60
	v_lshlrev_b32_e32 v32, 20, v32
	v_and_b32_e32 v26, 0x80000000, v26
	v_lshl_add_u32 v28, v28, 23, v33
	v_or3_b32 v26, v26, v28, v32
	v_lshrrev_b32_e32 v32, 16, v26
.LBB717_320:
	s_or_b64 exec, exec, s[20:21]
.LBB717_321:
	s_or_b64 exec, exec, s[8:9]
.LBB717_322:
	s_or_b64 exec, exec, s[2:3]
	v_mov_b32_e32 v33, 0
	v_mov_b32_e32 v26, v23
	v_cmp_ne_u16_sdwa s[8:9], v23, v33 src0_sel:BYTE_0 src1_sel:DWORD
	v_mov_b32_e32 v34, 0
	s_and_saveexec_b64 s[2:3], s[8:9]
	s_cbranch_execz .LBB717_328
; %bb.323:
	s_movk_i32 s8, 0x80
	v_cmp_ne_u16_sdwa s[20:21], v23, s8 src0_sel:BYTE_0 src1_sel:DWORD
	v_mov_b32_e32 v34, 0xffff8000
	s_and_saveexec_b64 s[8:9], s[20:21]
	s_cbranch_execz .LBB717_327
; %bb.324:
	s_movk_i32 s11, 0x7f
	v_and_b32_e32 v28, 0x7f, v23
	v_cmp_ne_u32_e32 vcc, s11, v28
	v_mov_b32_e32 v34, 0x7f80
	s_and_saveexec_b64 s[20:21], vcc
	s_cbranch_execz .LBB717_326
; %bb.325:
	v_and_b32_e32 v34, 7, v23
	v_ffbh_u32_e32 v34, v34
	v_min_u32_e32 v34, 32, v34
	v_lshrrev_b32_e32 v35, 3, v28
	v_subrev_u32_e32 v36, 28, v34
	v_sub_u32_e32 v34, 29, v34
	v_cmp_gt_u32_e32 vcc, 8, v28
	v_cndmask_b32_e32 v28, v35, v34, vcc
	v_cndmask_b32_e32 v34, 0, v36, vcc
	v_lshlrev_b64 v[34:35], v34, v[26:27]
	v_lshlrev_b32_e32 v27, 20, v34
	v_lshlrev_b32_e32 v34, 24, v26
	v_bfrev_b32_e32 v35, 60
	v_and_b32_e32 v27, 0x700000, v27
	v_and_b32_e32 v34, 0x80000000, v34
	v_lshl_add_u32 v28, v28, 23, v35
	v_or3_b32 v27, v34, v28, v27
	v_lshrrev_b32_e32 v34, 16, v27
.LBB717_326:
	s_or_b64 exec, exec, s[20:21]
.LBB717_327:
	s_or_b64 exec, exec, s[8:9]
.LBB717_328:
	s_or_b64 exec, exec, s[2:3]
	v_lshrrev_b16_e32 v28, 8, v26
	v_cmp_ne_u16_e32 vcc, 0, v28
	s_and_saveexec_b64 s[2:3], vcc
	s_cbranch_execz .LBB717_334
; %bb.329:
	s_movk_i32 s8, 0x80
	v_cmp_ne_u16_e32 vcc, s8, v28
	v_mov_b32_e32 v33, 0xffff8000
	s_and_saveexec_b64 s[8:9], vcc
	s_cbranch_execz .LBB717_333
; %bb.330:
	s_movk_i32 s11, 0x7f
	v_and_b32_e32 v27, 0x7f, v28
	v_cmp_ne_u32_e32 vcc, s11, v27
	v_mov_b32_e32 v33, 0x7f80
	s_and_saveexec_b64 s[20:21], vcc
	s_cbranch_execz .LBB717_332
; %bb.331:
	v_and_b32_e32 v33, 7, v28
	v_ffbh_u32_e32 v36, v33
	v_min_u32_e32 v39, 32, v36
	v_subrev_u32_e32 v36, 28, v39
	v_lshlrev_b64 v[36:37], v36, v[28:29]
	v_lshrrev_b32_e32 v35, 3, v27
	v_sub_u32_e32 v28, 29, v39
	v_and_b32_e32 v36, 7, v36
	v_cmp_gt_u32_e32 vcc, 8, v27
	v_cndmask_b32_e32 v27, v35, v28, vcc
	v_cndmask_b32_e32 v28, v33, v36, vcc
	v_lshlrev_b32_e32 v26, 16, v26
	v_bfrev_b32_e32 v33, 60
	v_lshlrev_b32_e32 v28, 20, v28
	v_and_b32_e32 v26, 0x80000000, v26
	v_lshl_add_u32 v27, v27, 23, v33
	v_or3_b32 v26, v26, v27, v28
	v_lshrrev_b32_e32 v33, 16, v26
.LBB717_332:
	s_or_b64 exec, exec, s[20:21]
.LBB717_333:
	s_or_b64 exec, exec, s[8:9]
.LBB717_334:
	s_or_b64 exec, exec, s[2:3]
	s_movk_i32 s2, 0xff
	v_and_b32_sdwa v35, v23, s2 dst_sel:DWORD dst_unused:UNUSED_PAD src0_sel:WORD_1 src1_sel:DWORD
	v_lshrrev_b32_e32 v26, 16, v23
	v_cmp_ne_u16_e32 vcc, 0, v35
	v_mov_b32_e32 v27, 0
	v_mov_b32_e32 v28, 0
	s_and_saveexec_b64 s[2:3], vcc
	s_cbranch_execz .LBB717_340
; %bb.335:
	s_movk_i32 s8, 0x80
	v_cmp_ne_u16_e32 vcc, s8, v35
	v_mov_b32_e32 v28, 0xffff8000
	s_and_saveexec_b64 s[8:9], vcc
	s_cbranch_execz .LBB717_339
; %bb.336:
	v_bfe_u32 v35, v23, 16, 7
	s_movk_i32 s11, 0x7f
	v_cmp_ne_u32_e32 vcc, s11, v35
	v_mov_b32_e32 v28, 0x7f80
	s_and_saveexec_b64 s[20:21], vcc
	s_cbranch_execz .LBB717_338
; %bb.337:
	v_and_b32_e32 v28, 7, v26
	v_ffbh_u32_e32 v36, v28
	v_min_u32_e32 v40, 32, v36
	v_subrev_u32_e32 v36, 28, v40
	v_lshlrev_b64 v[36:37], v36, v[26:27]
	v_lshrrev_b32_e32 v39, 3, v35
	v_sub_u32_e32 v26, 29, v40
	v_and_b32_e32 v36, 7, v36
	v_cmp_gt_u32_e32 vcc, 8, v35
	v_mov_b32_e32 v35, 24
	v_cndmask_b32_e32 v26, v39, v26, vcc
	v_cndmask_b32_e32 v28, v28, v36, vcc
	v_lshlrev_b32_sdwa v35, v35, v23 dst_sel:DWORD dst_unused:UNUSED_PAD src0_sel:DWORD src1_sel:WORD_1
	v_bfrev_b32_e32 v36, 60
	v_lshlrev_b32_e32 v28, 20, v28
	v_and_b32_e32 v35, 0x80000000, v35
	v_lshl_add_u32 v26, v26, 23, v36
	v_or3_b32 v26, v35, v26, v28
	v_lshrrev_b32_e32 v28, 16, v26
.LBB717_338:
	s_or_b64 exec, exec, s[20:21]
.LBB717_339:
	s_or_b64 exec, exec, s[8:9]
.LBB717_340:
	s_or_b64 exec, exec, s[2:3]
	s_mov_b32 s2, -1
	s_mov_b32 s3, 0xffffff
	v_cmp_lt_u64_e32 vcc, s[2:3], v[22:23]
	s_and_saveexec_b64 s[2:3], vcc
	s_cbranch_execz .LBB717_346
; %bb.341:
	v_lshrrev_b32_e32 v22, 24, v23
	s_movk_i32 s8, 0x80
	v_cmp_ne_u32_e32 vcc, s8, v22
	v_mov_b32_e32 v27, 0xffff8000
	s_and_saveexec_b64 s[8:9], vcc
	s_cbranch_execz .LBB717_345
; %bb.342:
	v_bfe_u32 v23, v23, 24, 7
	s_movk_i32 s11, 0x7f
	v_cmp_ne_u32_e32 vcc, s11, v23
	v_mov_b32_e32 v27, 0x7f80
	s_and_saveexec_b64 s[20:21], vcc
	s_cbranch_execz .LBB717_344
; %bb.343:
	v_and_b32_e32 v35, 7, v22
	v_ffbh_u32_e32 v26, v35
	v_min_u32_e32 v37, 32, v26
	v_subrev_u32_e32 v26, 28, v37
	v_lshlrev_b64 v[26:27], v26, v[22:23]
	v_lshrrev_b32_e32 v36, 3, v23
	v_sub_u32_e32 v27, 29, v37
	v_and_b32_e32 v26, 7, v26
	v_cmp_gt_u32_e32 vcc, 8, v23
	v_cndmask_b32_e32 v23, v36, v27, vcc
	v_cndmask_b32_e32 v26, v35, v26, vcc
	v_lshlrev_b32_e32 v22, 24, v22
	v_bfrev_b32_e32 v27, 60
	v_lshlrev_b32_e32 v26, 20, v26
	v_and_b32_e32 v22, 0x80000000, v22
	v_lshl_add_u32 v23, v23, 23, v27
	v_or3_b32 v22, v22, v23, v26
	v_lshrrev_b32_e32 v27, 16, v22
.LBB717_344:
	s_or_b64 exec, exec, s[20:21]
.LBB717_345:
	s_or_b64 exec, exec, s[8:9]
.LBB717_346:
	s_or_b64 exec, exec, s[2:3]
	s_mov_b32 s2, 0x5040100
	v_perm_b32 v23, v32, v31, s2
	v_perm_b32 v22, v29, v30, s2
	;; [unrolled: 1-line block ×4, first 2 shown]
	v_mfma_f32_4x4x4bf16_1k a[0:3], v[18:19], v[22:23], a[0:3] cbsz:4 abid:6
	v_mov_b32_e32 v28, 0
	v_mfma_f32_4x4x4bf16_1k a[0:3], v[20:21], v[26:27], a[0:3] cbsz:4 abid:6
	v_mov_b32_e32 v27, 0
	v_cmp_ne_u16_sdwa s[8:9], v24, v27 src0_sel:BYTE_0 src1_sel:DWORD
	s_and_saveexec_b64 s[2:3], s[8:9]
	s_cbranch_execz .LBB717_352
; %bb.347:
	s_movk_i32 s8, 0x80
	v_cmp_ne_u16_sdwa s[20:21], v24, s8 src0_sel:BYTE_0 src1_sel:DWORD
	v_mov_b32_e32 v28, 0xffff8000
	s_and_saveexec_b64 s[8:9], s[20:21]
	s_cbranch_execz .LBB717_351
; %bb.348:
	s_movk_i32 s11, 0x7f
	v_and_b32_e32 v22, 0x7f, v24
	v_cmp_ne_u32_e32 vcc, s11, v22
	v_mov_b32_e32 v28, 0x7f80
	s_and_saveexec_b64 s[20:21], vcc
	s_cbranch_execz .LBB717_350
; %bb.349:
	v_and_b32_e32 v23, 7, v24
	v_ffbh_u32_e32 v23, v23
	v_min_u32_e32 v23, 32, v23
	v_subrev_u32_e32 v28, 28, v23
	v_cmp_gt_u32_e32 vcc, 8, v22
	v_lshrrev_b32_e32 v26, 3, v22
	v_sub_u32_e32 v23, 29, v23
	v_cndmask_b32_e32 v22, 0, v28, vcc
	v_cndmask_b32_e32 v26, v26, v23, vcc
	v_lshlrev_b64 v[22:23], v22, v[24:25]
	v_lshlrev_b32_e32 v22, 20, v22
	v_lshlrev_b32_e32 v23, 24, v24
	v_bfrev_b32_e32 v28, 60
	v_and_b32_e32 v22, 0x700000, v22
	v_and_b32_e32 v23, 0x80000000, v23
	v_lshl_add_u32 v26, v26, 23, v28
	v_or3_b32 v22, v23, v26, v22
	v_lshrrev_b32_e32 v28, 16, v22
.LBB717_350:
	s_or_b64 exec, exec, s[20:21]
.LBB717_351:
	s_or_b64 exec, exec, s[8:9]
.LBB717_352:
	s_or_b64 exec, exec, s[2:3]
	v_lshrrev_b16_e32 v22, 8, v24
	v_cmp_ne_u16_e32 vcc, 0, v22
	s_and_saveexec_b64 s[2:3], vcc
	s_cbranch_execz .LBB717_358
; %bb.353:
	s_movk_i32 s8, 0x80
	v_cmp_ne_u16_e32 vcc, s8, v22
	v_mov_b32_e32 v27, 0xffff8000
	s_and_saveexec_b64 s[8:9], vcc
	s_cbranch_execz .LBB717_357
; %bb.354:
	s_movk_i32 s11, 0x7f
	v_and_b32_e32 v23, 0x7f, v22
	v_cmp_ne_u32_e32 vcc, s11, v23
	v_mov_b32_e32 v27, 0x7f80
	s_and_saveexec_b64 s[20:21], vcc
	s_cbranch_execz .LBB717_356
; %bb.355:
	v_and_b32_e32 v29, 7, v22
	v_ffbh_u32_e32 v26, v29
	v_min_u32_e32 v31, 32, v26
	v_subrev_u32_e32 v26, 28, v31
	v_lshlrev_b64 v[26:27], v26, v[22:23]
	v_lshrrev_b32_e32 v30, 3, v23
	v_sub_u32_e32 v22, 29, v31
	v_and_b32_e32 v26, 7, v26
	v_cmp_gt_u32_e32 vcc, 8, v23
	v_cndmask_b32_e32 v22, v30, v22, vcc
	v_cndmask_b32_e32 v23, v29, v26, vcc
	v_lshlrev_b32_e32 v26, 16, v24
	v_bfrev_b32_e32 v27, 60
	v_lshlrev_b32_e32 v23, 20, v23
	v_and_b32_e32 v26, 0x80000000, v26
	v_lshl_add_u32 v22, v22, 23, v27
	v_or3_b32 v22, v26, v22, v23
	v_lshrrev_b32_e32 v27, 16, v22
.LBB717_356:
	s_or_b64 exec, exec, s[20:21]
.LBB717_357:
	s_or_b64 exec, exec, s[8:9]
.LBB717_358:
	s_or_b64 exec, exec, s[2:3]
	s_movk_i32 s2, 0xff
	v_and_b32_sdwa v26, v24, s2 dst_sel:DWORD dst_unused:UNUSED_PAD src0_sel:WORD_1 src1_sel:DWORD
	v_lshrrev_b32_e32 v22, 16, v24
	v_cmp_ne_u16_e32 vcc, 0, v26
	v_mov_b32_e32 v23, 0
	v_mov_b32_e32 v29, 0
	s_and_saveexec_b64 s[2:3], vcc
	s_cbranch_execz .LBB717_364
; %bb.359:
	s_movk_i32 s8, 0x80
	v_cmp_ne_u16_e32 vcc, s8, v26
	v_mov_b32_e32 v29, 0xffff8000
	s_and_saveexec_b64 s[8:9], vcc
	s_cbranch_execz .LBB717_363
; %bb.360:
	v_bfe_u32 v26, v24, 16, 7
	s_movk_i32 s11, 0x7f
	v_cmp_ne_u32_e32 vcc, s11, v26
	v_mov_b32_e32 v29, 0x7f80
	s_and_saveexec_b64 s[20:21], vcc
	s_cbranch_execz .LBB717_362
; %bb.361:
	v_and_b32_e32 v29, 7, v22
	v_ffbh_u32_e32 v30, v29
	v_min_u32_e32 v33, 32, v30
	v_subrev_u32_e32 v30, 28, v33
	v_lshlrev_b64 v[30:31], v30, v[22:23]
	v_and_b32_e32 v30, 7, v30
	v_cmp_gt_u32_e32 vcc, 8, v26
	v_lshrrev_b32_e32 v32, 3, v26
	v_sub_u32_e32 v22, 29, v33
	v_cndmask_b32_e32 v26, v29, v30, vcc
	v_mov_b32_e32 v29, 24
	v_cndmask_b32_e32 v22, v32, v22, vcc
	v_lshlrev_b32_sdwa v29, v29, v24 dst_sel:DWORD dst_unused:UNUSED_PAD src0_sel:DWORD src1_sel:WORD_1
	v_bfrev_b32_e32 v30, 60
	v_lshlrev_b32_e32 v26, 20, v26
	v_and_b32_e32 v29, 0x80000000, v29
	v_lshl_add_u32 v22, v22, 23, v30
	v_or3_b32 v22, v29, v22, v26
	v_lshrrev_b32_e32 v29, 16, v22
.LBB717_362:
	s_or_b64 exec, exec, s[20:21]
.LBB717_363:
	s_or_b64 exec, exec, s[8:9]
.LBB717_364:
	s_or_b64 exec, exec, s[2:3]
	s_mov_b32 s2, 0xffffff
	v_cmp_lt_u32_e32 vcc, s2, v24
	v_mov_b32_e32 v30, 0
	s_and_saveexec_b64 s[2:3], vcc
	s_cbranch_execz .LBB717_370
; %bb.365:
	v_lshrrev_b32_e32 v22, 24, v24
	s_movk_i32 s8, 0x80
	v_cmp_ne_u32_e32 vcc, s8, v22
	v_mov_b32_e32 v30, 0xffff8000
	s_and_saveexec_b64 s[8:9], vcc
	s_cbranch_execz .LBB717_369
; %bb.366:
	v_bfe_u32 v26, v24, 24, 7
	s_movk_i32 s11, 0x7f
	v_cmp_ne_u32_e32 vcc, s11, v26
	v_mov_b32_e32 v30, 0x7f80
	s_and_saveexec_b64 s[20:21], vcc
	s_cbranch_execz .LBB717_368
; %bb.367:
	v_and_b32_e32 v32, 7, v22
	v_ffbh_u32_e32 v30, v32
	v_min_u32_e32 v34, 32, v30
	v_subrev_u32_e32 v30, 28, v34
	v_lshlrev_b64 v[30:31], v30, v[22:23]
	v_lshrrev_b32_e32 v33, 3, v26
	v_sub_u32_e32 v31, 29, v34
	v_and_b32_e32 v30, 7, v30
	v_cmp_gt_u32_e32 vcc, 8, v26
	v_cndmask_b32_e32 v26, v33, v31, vcc
	v_cndmask_b32_e32 v30, v32, v30, vcc
	v_lshlrev_b32_e32 v22, 24, v22
	v_bfrev_b32_e32 v31, 60
	v_lshlrev_b32_e32 v30, 20, v30
	v_and_b32_e32 v22, 0x80000000, v22
	v_lshl_add_u32 v26, v26, 23, v31
	v_or3_b32 v22, v22, v26, v30
	v_lshrrev_b32_e32 v30, 16, v22
.LBB717_368:
	s_or_b64 exec, exec, s[20:21]
.LBB717_369:
	s_or_b64 exec, exec, s[8:9]
.LBB717_370:
	s_or_b64 exec, exec, s[2:3]
	v_mov_b32_e32 v31, 0
	v_mov_b32_e32 v22, v25
	v_cmp_ne_u16_sdwa s[8:9], v25, v31 src0_sel:BYTE_0 src1_sel:DWORD
	v_mov_b32_e32 v32, 0
	s_and_saveexec_b64 s[2:3], s[8:9]
	s_cbranch_execz .LBB717_376
; %bb.371:
	s_movk_i32 s8, 0x80
	v_cmp_ne_u16_sdwa s[20:21], v25, s8 src0_sel:BYTE_0 src1_sel:DWORD
	v_mov_b32_e32 v32, 0xffff8000
	s_and_saveexec_b64 s[8:9], s[20:21]
	s_cbranch_execz .LBB717_375
; %bb.372:
	s_movk_i32 s11, 0x7f
	v_and_b32_e32 v26, 0x7f, v25
	v_cmp_ne_u32_e32 vcc, s11, v26
	v_mov_b32_e32 v32, 0x7f80
	s_and_saveexec_b64 s[20:21], vcc
	s_cbranch_execz .LBB717_374
; %bb.373:
	v_and_b32_e32 v32, 7, v25
	v_ffbh_u32_e32 v32, v32
	v_min_u32_e32 v32, 32, v32
	v_lshrrev_b32_e32 v33, 3, v26
	v_subrev_u32_e32 v34, 28, v32
	v_sub_u32_e32 v32, 29, v32
	v_cmp_gt_u32_e32 vcc, 8, v26
	v_cndmask_b32_e32 v26, v33, v32, vcc
	v_cndmask_b32_e32 v32, 0, v34, vcc
	v_lshlrev_b64 v[32:33], v32, v[22:23]
	v_lshlrev_b32_e32 v23, 20, v32
	v_lshlrev_b32_e32 v32, 24, v22
	v_bfrev_b32_e32 v33, 60
	v_and_b32_e32 v23, 0x700000, v23
	v_and_b32_e32 v32, 0x80000000, v32
	v_lshl_add_u32 v26, v26, 23, v33
	v_or3_b32 v23, v32, v26, v23
	v_lshrrev_b32_e32 v32, 16, v23
.LBB717_374:
	s_or_b64 exec, exec, s[20:21]
.LBB717_375:
	s_or_b64 exec, exec, s[8:9]
.LBB717_376:
	s_or_b64 exec, exec, s[2:3]
	v_lshrrev_b16_e32 v26, 8, v22
	v_cmp_ne_u16_e32 vcc, 0, v26
	s_and_saveexec_b64 s[2:3], vcc
	s_cbranch_execz .LBB717_382
; %bb.377:
	s_movk_i32 s8, 0x80
	v_cmp_ne_u16_e32 vcc, s8, v26
	v_mov_b32_e32 v31, 0xffff8000
	s_and_saveexec_b64 s[8:9], vcc
	s_cbranch_execz .LBB717_381
; %bb.378:
	s_movk_i32 s11, 0x7f
	v_and_b32_e32 v23, 0x7f, v26
	v_cmp_ne_u32_e32 vcc, s11, v23
	v_mov_b32_e32 v31, 0x7f80
	s_and_saveexec_b64 s[20:21], vcc
	s_cbranch_execz .LBB717_380
; %bb.379:
	v_and_b32_e32 v31, 7, v26
	v_ffbh_u32_e32 v34, v31
	v_min_u32_e32 v36, 32, v34
	v_subrev_u32_e32 v34, 28, v36
	v_lshlrev_b64 v[34:35], v34, v[26:27]
	v_lshrrev_b32_e32 v33, 3, v23
	v_sub_u32_e32 v26, 29, v36
	v_and_b32_e32 v34, 7, v34
	v_cmp_gt_u32_e32 vcc, 8, v23
	v_cndmask_b32_e32 v23, v33, v26, vcc
	v_cndmask_b32_e32 v26, v31, v34, vcc
	v_lshlrev_b32_e32 v22, 16, v22
	v_bfrev_b32_e32 v31, 60
	v_lshlrev_b32_e32 v26, 20, v26
	v_and_b32_e32 v22, 0x80000000, v22
	v_lshl_add_u32 v23, v23, 23, v31
	v_or3_b32 v22, v22, v23, v26
	v_lshrrev_b32_e32 v31, 16, v22
.LBB717_380:
	s_or_b64 exec, exec, s[20:21]
.LBB717_381:
	s_or_b64 exec, exec, s[8:9]
.LBB717_382:
	s_or_b64 exec, exec, s[2:3]
	s_movk_i32 s2, 0xff
	v_and_b32_sdwa v33, v25, s2 dst_sel:DWORD dst_unused:UNUSED_PAD src0_sel:WORD_1 src1_sel:DWORD
	v_lshrrev_b32_e32 v22, 16, v25
	v_cmp_ne_u16_e32 vcc, 0, v33
	v_mov_b32_e32 v23, 0
	v_mov_b32_e32 v26, 0
	s_and_saveexec_b64 s[2:3], vcc
	s_cbranch_execz .LBB717_388
; %bb.383:
	s_movk_i32 s8, 0x80
	v_cmp_ne_u16_e32 vcc, s8, v33
	v_mov_b32_e32 v26, 0xffff8000
	s_and_saveexec_b64 s[8:9], vcc
	s_cbranch_execz .LBB717_387
; %bb.384:
	v_bfe_u32 v33, v25, 16, 7
	s_movk_i32 s11, 0x7f
	v_cmp_ne_u32_e32 vcc, s11, v33
	v_mov_b32_e32 v26, 0x7f80
	s_and_saveexec_b64 s[20:21], vcc
	s_cbranch_execz .LBB717_386
; %bb.385:
	v_and_b32_e32 v26, 7, v22
	v_ffbh_u32_e32 v34, v26
	v_min_u32_e32 v37, 32, v34
	v_subrev_u32_e32 v34, 28, v37
	v_lshlrev_b64 v[34:35], v34, v[22:23]
	v_lshrrev_b32_e32 v36, 3, v33
	v_sub_u32_e32 v22, 29, v37
	v_and_b32_e32 v34, 7, v34
	v_cmp_gt_u32_e32 vcc, 8, v33
	v_mov_b32_e32 v33, 24
	v_cndmask_b32_e32 v22, v36, v22, vcc
	v_cndmask_b32_e32 v26, v26, v34, vcc
	v_lshlrev_b32_sdwa v33, v33, v25 dst_sel:DWORD dst_unused:UNUSED_PAD src0_sel:DWORD src1_sel:WORD_1
	v_bfrev_b32_e32 v34, 60
	v_lshlrev_b32_e32 v26, 20, v26
	v_and_b32_e32 v33, 0x80000000, v33
	v_lshl_add_u32 v22, v22, 23, v34
	v_or3_b32 v22, v33, v22, v26
	v_lshrrev_b32_e32 v26, 16, v22
.LBB717_386:
	s_or_b64 exec, exec, s[20:21]
.LBB717_387:
	s_or_b64 exec, exec, s[8:9]
.LBB717_388:
	s_or_b64 exec, exec, s[2:3]
	s_mov_b32 s2, -1
	s_mov_b32 s3, 0xffffff
	v_cmp_lt_u64_e32 vcc, s[2:3], v[24:25]
	s_and_saveexec_b64 s[2:3], vcc
	s_cbranch_execz .LBB717_394
; %bb.389:
	v_lshrrev_b32_e32 v22, 24, v25
	s_movk_i32 s8, 0x80
	v_cmp_ne_u32_e32 vcc, s8, v22
	v_mov_b32_e32 v23, 0xffff8000
	s_and_saveexec_b64 s[8:9], vcc
	s_cbranch_execz .LBB717_393
; %bb.390:
	v_bfe_u32 v24, v25, 24, 7
	s_movk_i32 s11, 0x7f
	v_cmp_ne_u32_e32 vcc, s11, v24
	v_mov_b32_e32 v23, 0x7f80
	s_and_saveexec_b64 s[20:21], vcc
	s_cbranch_execz .LBB717_392
; %bb.391:
	v_and_b32_e32 v23, 7, v22
	v_ffbh_u32_e32 v33, v23
	v_min_u32_e32 v33, 32, v33
	v_subrev_u32_e32 v34, 28, v33
	v_lshlrev_b64 v[34:35], v34, v[22:23]
	v_lshrrev_b32_e32 v25, 3, v24
	v_sub_u32_e32 v33, 29, v33
	v_and_b32_e32 v34, 7, v34
	v_cmp_gt_u32_e32 vcc, 8, v24
	v_cndmask_b32_e32 v24, v25, v33, vcc
	v_cndmask_b32_e32 v23, v23, v34, vcc
	v_lshlrev_b32_e32 v22, 24, v22
	v_bfrev_b32_e32 v25, 60
	v_lshlrev_b32_e32 v23, 20, v23
	v_and_b32_e32 v22, 0x80000000, v22
	v_lshl_add_u32 v24, v24, 23, v25
	v_or3_b32 v22, v22, v24, v23
	v_lshrrev_b32_e32 v23, 16, v22
.LBB717_392:
	s_or_b64 exec, exec, s[20:21]
.LBB717_393:
	s_or_b64 exec, exec, s[8:9]
.LBB717_394:
	s_or_b64 exec, exec, s[2:3]
	s_mov_b32 s3, 0x5040100
	s_load_dword s2, s[4:5], 0x1c
	v_perm_b32 v25, v30, v29, s3
	v_perm_b32 v24, v27, v28, s3
	;; [unrolled: 1-line block ×4, first 2 shown]
	v_mfma_f32_4x4x4bf16_1k a[0:3], v[18:19], v[24:25], a[0:3] cbsz:4 abid:7
	s_load_dword s3, s[12:13], 0x0
	v_mfma_f32_4x4x4bf16_1k a[0:3], v[20:21], v[22:23], a[0:3] cbsz:4 abid:7
	s_waitcnt lgkmcnt(0)
	v_mov_b32_e32 v18, s2
	v_cmp_eq_u32_e32 vcc, 0, v44
	v_mov_b32_e32 v25, 0xff7fffff
	v_mul_f32_e32 v20, s3, v18
	v_accvgpr_read_b32 v23, a1
	v_accvgpr_read_b32 v22, a0
	v_pk_mul_f32 v[22:23], v[22:23], v[20:21] op_sel_hi:[1,0]
	v_accvgpr_read_b32 v19, a3
	v_accvgpr_read_b32 v18, a2
	v_pk_mul_f32 v[18:19], v[18:19], v[20:21] op_sel_hi:[1,0]
	v_cndmask_b32_e64 v20, 0, 1.0, vcc
	v_cmp_eq_u32_e32 vcc, 1, v44
	s_nop 0
	v_mfma_f32_4x4x1f32 a[0:3], v22, v20, 0
	v_cndmask_b32_e64 v20, 0, 1.0, vcc
	v_cmp_eq_u32_e32 vcc, 2, v44
	s_nop 0
	v_mfma_f32_4x4x1f32 a[0:3], v23, v20, a[0:3]
	;; [unrolled: 4-line block ×3, first 2 shown]
	v_cndmask_b32_e64 v18, 0, 1.0, vcc
	s_nop 1
	v_mfma_f32_4x4x1f32 a[0:3], v19, v18, a[0:3]
	v_and_b32_e32 v18, -4, v45
	v_subrev_u32_e32 v19, s7, v18
	v_add_u32_e32 v20, 1, v19
	v_cvt_f32_i32_e32 v20, v20
	v_add_u32_e32 v21, 2, v19
	v_cvt_f32_i32_e32 v21, v21
	v_accvgpr_read_b32 v22, a0
	s_waitcnt vmcnt(4)
	v_fma_f32 v20, v46, v20, v22
	v_accvgpr_read_b32 v22, a1
	v_fma_f32 v21, v46, v21, v22
	v_add_u32_e32 v22, 3, v19
	v_cvt_f32_i32_e32 v22, v22
	v_add_u32_e32 v19, 4, v19
	v_max_f32_e32 v24, 0xff7fffff, v20
	v_cmp_gt_i32_e32 vcc, s7, v18
	v_cvt_f32_i32_e32 v19, v19
	v_cndmask_b32_e32 v24, v25, v24, vcc
	v_or_b32_e32 v25, 1, v18
	v_accvgpr_read_b32 v23, a2
	v_max_f32_e32 v26, v24, v21
	v_cmp_gt_i32_e64 s[2:3], s7, v25
	v_fma_f32 v22, v46, v22, v23
	v_cndmask_b32_e64 v24, v24, v26, s[2:3]
	v_or_b32_e32 v18, 2, v18
	v_accvgpr_read_b32 v23, a3
	v_max_f32_e32 v25, v24, v22
	v_cmp_gt_i32_e64 s[4:5], s7, v18
	v_fmac_f32_e32 v23, v46, v19
	v_cndmask_b32_e64 v18, v24, v25, s[4:5]
	v_or_b32_e32 v24, 3, v45
	v_max_f32_e32 v25, v18, v23
	v_cmp_gt_i32_e64 s[8:9], s7, v24
	v_lshlrev_b32_e32 v19, 2, v0
	v_cndmask_b32_e64 v18, v18, v25, s[8:9]
	v_and_or_b32 v19, v19, 48, v44
	;;#ASMSTART
	v_nop
 v_nop
 v_max_f32_dpp v18, v18, v18 row_ror:4
	;;#ASMEND
	v_lshlrev_b32_e32 v24, 2, v19
	;;#ASMSTART
	v_nop
 v_nop
 v_max_f32_dpp v18, v18, v18 row_ror:8
	;;#ASMEND
	ds_bpermute_b32 v18, v24, v18
	s_waitcnt lgkmcnt(0)
	;;#ASMSTART
	v_nop
 v_nop
 v_max_f32_dpp v18, v18, v18 row_ror:4
	;;#ASMEND
	;;#ASMSTART
	v_nop
 v_nop
 v_max_f32_dpp v25, v18, v18 row_ror:8
	;;#ASMEND
	v_sub_f32_e32 v18, v20, v25
	v_mul_f32_e32 v18, 0x3fb8aa3b, v18
	v_sub_f32_e32 v19, v21, v25
	v_exp_f32_e32 v18, v18
	v_mul_f32_e32 v19, 0x3fb8aa3b, v19
	v_sub_f32_e32 v21, v22, v25
	v_exp_f32_e32 v19, v19
	;; [unrolled: 3-line block ×3, first 2 shown]
	v_mul_f32_e32 v22, 0x3fb8aa3b, v22
	v_exp_f32_e32 v22, v22
	v_cndmask_b32_e32 v18, 0, v18, vcc
	v_add_f32_e32 v20, 0, v18
	v_cndmask_b32_e64 v19, 0, v19, s[2:3]
	v_add_f32_e32 v23, v20, v19
	v_cndmask_b32_e64 v20, 0, v21, s[4:5]
	;; [unrolled: 2-line block ×3, first 2 shown]
	v_add_f32_e32 v22, v23, v21
	;;#ASMSTART
	v_nop
 v_nop
 v_add_f32_dpp v22, v22, v22 row_ror:4
	;;#ASMEND
	;;#ASMSTART
	v_nop
 v_nop
 v_add_f32_dpp v22, v22, v22 row_ror:8
	;;#ASMEND
	ds_bpermute_b32 v22, v24, v22
	s_waitcnt lgkmcnt(0)
	;;#ASMSTART
	v_nop
 v_nop
 v_add_f32_dpp v22, v22, v22 row_ror:4
	;;#ASMEND
	v_cmp_gt_u32_e32 vcc, 4, v43
	;;#ASMSTART
	v_nop
 v_nop
 v_add_f32_dpp v22, v22, v22 row_ror:8
	;;#ASMEND
	s_and_saveexec_b64 s[2:3], vcc
	s_cbranch_execz .LBB717_396
; %bb.395:
	v_mul_u32_u24_e32 v23, 20, v1
	v_lshl_add_u32 v23, v44, 2, v23
	v_add_u32_e32 v23, 0x800, v23
	ds_write2_b32 v23, v25, v22 offset0:128 offset1:148
.LBB717_396:
	s_or_b64 exec, exec, s[2:3]
.LBB717_397:
	s_or_b64 exec, exec, s[34:35]
	v_lshlrev_b32_e32 v22, 2, v44
	v_add_u32_e32 v24, 0x800, v22
	s_waitcnt lgkmcnt(0)
	s_barrier
	s_load_dword s2, s[30:31], 0x8
	ds_read2_b32 v[22:23], v24 offset0:128 offset1:133
	ds_read2_b32 v[28:29], v24 offset0:138 offset1:143
	s_mov_b32 s7, 0xff7fffff
	s_mul_i32 s3, s6, s44
	ds_read2_b32 v[30:31], v24 offset0:148 offset1:153
	s_waitcnt lgkmcnt(0)
	v_max3_f32 v26, v22, s7, v23
	v_max3_f32 v26, v26, v28, v29
	v_sub_f32_e32 v22, v22, v26
	v_mul_f32_e32 v22, 0x3fb8aa3b, v22
	v_exp_f32_e32 v27, v22
	v_sub_f32_e32 v22, v23, v26
	v_mul_f32_e32 v22, 0x3fb8aa3b, v22
	s_mul_i32 s3, s3, s2
	v_exp_f32_e32 v32, v22
	ds_read2_b32 v[22:23], v24 offset0:158 offset1:163
	v_sub_f32_e32 v24, v28, v26
	s_lshl_b32 s2, s3, 2
	s_mov_b32 s3, 0
	v_mul_f32_e32 v24, 0x3fb8aa3b, v24
	v_sub_f32_e32 v28, v29, v26
	s_lshl_b64 s[4:5], s[2:3], 2
	v_exp_f32_e32 v24, v24
	v_mul_f32_e32 v28, 0x3fb8aa3b, v28
	s_mov_b32 s11, s3
	s_add_u32 s3, s16, s4
	v_exp_f32_e32 v28, v28
	s_addc_u32 s6, s17, s5
	v_fma_f32 v27, v27, v30, 0
	s_add_u32 s7, s18, s4
	v_fmac_f32_e32 v27, v32, v31
	s_addc_u32 s8, s19, s5
	s_lshl_b64 s[4:5], s[10:11], 2
	s_waitcnt lgkmcnt(0)
	v_fmac_f32_e32 v27, v24, v22
	s_add_u32 s7, s7, s4
	v_fmac_f32_e32 v27, v28, v23
	v_mul_lo_u32 v22, s44, v38
	v_mov_b32_e32 v23, 0
	s_addc_u32 s8, s8, s5
	v_lshlrev_b64 v[28:29], 2, v[22:23]
	s_add_u32 s3, s3, s4
	v_mov_b32_e32 v22, s8
	v_add_co_u32_e32 v30, vcc, s7, v28
	s_addc_u32 s4, s6, s5
	v_addc_co_u32_e32 v31, vcc, v22, v29, vcc
	v_mov_b32_e32 v22, s4
	v_add_co_u32_e32 v28, vcc, s3, v28
	v_addc_co_u32_e32 v29, vcc, v22, v29, vcc
	v_mov_b32_e32 v22, v23
	global_store_dword v[30:31], v26, off
	global_store_dword v[28:29], v27, off
	s_and_saveexec_b64 s[4:5], s[0:1]
	s_cbranch_execz .LBB717_783
; %bb.398:
	v_mov_b32_e32 v28, 0
	s_waitcnt vmcnt(4)
	v_cmp_ne_u16_sdwa s[6:7], v14, v28 src0_sel:BYTE_0 src1_sel:DWORD
	v_mov_b32_e32 v29, 0
	s_and_saveexec_b64 s[0:1], s[6:7]
	s_cbranch_execz .LBB717_404
; %bb.399:
	s_movk_i32 s3, 0x80
	v_cmp_ne_u16_sdwa s[8:9], v14, s3 src0_sel:BYTE_0 src1_sel:DWORD
	v_mov_b32_e32 v29, 0xffff8000
	s_and_saveexec_b64 s[6:7], s[8:9]
	s_cbranch_execz .LBB717_403
; %bb.400:
	s_movk_i32 s3, 0x7f
	v_and_b32_e32 v22, 0x7f, v14
	v_cmp_ne_u32_e32 vcc, s3, v22
	v_mov_b32_e32 v29, 0x7f80
	s_and_saveexec_b64 s[8:9], vcc
	s_cbranch_execz .LBB717_402
; %bb.401:
	v_and_b32_e32 v23, 7, v14
	v_ffbh_u32_e32 v23, v23
	v_min_u32_e32 v23, 32, v23
	v_subrev_u32_e32 v29, 28, v23
	v_cmp_gt_u32_e32 vcc, 8, v22
	v_lshrrev_b32_e32 v24, 3, v22
	v_sub_u32_e32 v23, 29, v23
	v_cndmask_b32_e32 v22, 0, v29, vcc
	v_cndmask_b32_e32 v24, v24, v23, vcc
	v_lshlrev_b64 v[22:23], v22, v[14:15]
	v_lshlrev_b32_e32 v22, 20, v22
	v_lshlrev_b32_e32 v23, 24, v14
	v_bfrev_b32_e32 v29, 60
	v_and_b32_e32 v22, 0x700000, v22
	v_and_b32_e32 v23, 0x80000000, v23
	v_lshl_add_u32 v24, v24, 23, v29
	v_or3_b32 v22, v23, v24, v22
	v_lshrrev_b32_e32 v29, 16, v22
.LBB717_402:
	s_or_b64 exec, exec, s[8:9]
.LBB717_403:
	s_or_b64 exec, exec, s[6:7]
.LBB717_404:
	s_or_b64 exec, exec, s[0:1]
	v_lshrrev_b16_e32 v22, 8, v14
	v_cmp_ne_u16_e32 vcc, 0, v22
	s_and_saveexec_b64 s[0:1], vcc
	s_cbranch_execz .LBB717_410
; %bb.405:
	s_movk_i32 s3, 0x80
	v_cmp_ne_u16_e32 vcc, s3, v22
	v_mov_b32_e32 v28, 0xffff8000
	s_and_saveexec_b64 s[6:7], vcc
	s_cbranch_execz .LBB717_409
; %bb.406:
	s_movk_i32 s3, 0x7f
	v_and_b32_e32 v23, 0x7f, v22
	v_cmp_ne_u32_e32 vcc, s3, v23
	v_mov_b32_e32 v28, 0x7f80
	s_and_saveexec_b64 s[8:9], vcc
	s_cbranch_execz .LBB717_408
; %bb.407:
	v_and_b32_e32 v24, 7, v22
	v_ffbh_u32_e32 v30, v24
	v_min_u32_e32 v32, 32, v30
	v_subrev_u32_e32 v30, 28, v32
	v_lshlrev_b64 v[30:31], v30, v[22:23]
	v_lshrrev_b32_e32 v28, 3, v23
	v_sub_u32_e32 v22, 29, v32
	v_and_b32_e32 v30, 7, v30
	v_cmp_gt_u32_e32 vcc, 8, v23
	v_cndmask_b32_e32 v22, v28, v22, vcc
	v_cndmask_b32_e32 v23, v24, v30, vcc
	v_lshlrev_b32_e32 v24, 16, v14
	v_bfrev_b32_e32 v28, 60
	v_lshlrev_b32_e32 v23, 20, v23
	v_and_b32_e32 v24, 0x80000000, v24
	v_lshl_add_u32 v22, v22, 23, v28
	v_or3_b32 v22, v24, v22, v23
	v_lshrrev_b32_e32 v28, 16, v22
.LBB717_408:
	s_or_b64 exec, exec, s[8:9]
.LBB717_409:
	s_or_b64 exec, exec, s[6:7]
.LBB717_410:
	s_or_b64 exec, exec, s[0:1]
	s_movk_i32 s0, 0xff
	v_and_b32_sdwa v24, v14, s0 dst_sel:DWORD dst_unused:UNUSED_PAD src0_sel:WORD_1 src1_sel:DWORD
	v_lshrrev_b32_e32 v22, 16, v14
	v_cmp_ne_u16_e32 vcc, 0, v24
	v_mov_b32_e32 v23, 0
	v_mov_b32_e32 v30, 0
	s_and_saveexec_b64 s[0:1], vcc
	s_cbranch_execz .LBB717_416
; %bb.411:
	s_movk_i32 s3, 0x80
	v_cmp_ne_u16_e32 vcc, s3, v24
	v_mov_b32_e32 v30, 0xffff8000
	s_and_saveexec_b64 s[6:7], vcc
	s_cbranch_execz .LBB717_415
; %bb.412:
	v_bfe_u32 v24, v14, 16, 7
	s_movk_i32 s3, 0x7f
	v_cmp_ne_u32_e32 vcc, s3, v24
	v_mov_b32_e32 v30, 0x7f80
	s_and_saveexec_b64 s[8:9], vcc
	s_cbranch_execz .LBB717_414
; %bb.413:
	v_and_b32_e32 v32, 7, v22
	v_ffbh_u32_e32 v30, v32
	v_min_u32_e32 v34, 32, v30
	v_subrev_u32_e32 v30, 28, v34
	v_lshlrev_b64 v[30:31], v30, v[22:23]
	v_and_b32_e32 v30, 7, v30
	v_cmp_gt_u32_e32 vcc, 8, v24
	v_lshrrev_b32_e32 v33, 3, v24
	v_sub_u32_e32 v22, 29, v34
	v_cndmask_b32_e32 v24, v32, v30, vcc
	v_mov_b32_e32 v30, 24
	v_cndmask_b32_e32 v22, v33, v22, vcc
	v_lshlrev_b32_sdwa v30, v30, v14 dst_sel:DWORD dst_unused:UNUSED_PAD src0_sel:DWORD src1_sel:WORD_1
	v_bfrev_b32_e32 v31, 60
	v_lshlrev_b32_e32 v24, 20, v24
	v_and_b32_e32 v30, 0x80000000, v30
	v_lshl_add_u32 v22, v22, 23, v31
	v_or3_b32 v22, v30, v22, v24
	v_lshrrev_b32_e32 v30, 16, v22
.LBB717_414:
	s_or_b64 exec, exec, s[8:9]
.LBB717_415:
	s_or_b64 exec, exec, s[6:7]
.LBB717_416:
	s_or_b64 exec, exec, s[0:1]
	s_mov_b32 s0, 0xffffff
	v_cmp_lt_u32_e32 vcc, s0, v14
	v_mov_b32_e32 v31, 0
	s_and_saveexec_b64 s[0:1], vcc
	s_cbranch_execz .LBB717_422
; %bb.417:
	v_lshrrev_b32_e32 v22, 24, v14
	s_movk_i32 s3, 0x80
	v_cmp_ne_u32_e32 vcc, s3, v22
	v_mov_b32_e32 v31, 0xffff8000
	s_and_saveexec_b64 s[6:7], vcc
	s_cbranch_execz .LBB717_421
; %bb.418:
	v_bfe_u32 v24, v14, 24, 7
	s_movk_i32 s3, 0x7f
	v_cmp_ne_u32_e32 vcc, s3, v24
	v_mov_b32_e32 v31, 0x7f80
	s_and_saveexec_b64 s[8:9], vcc
	s_cbranch_execz .LBB717_420
; %bb.419:
	v_and_b32_e32 v31, 7, v22
	v_ffbh_u32_e32 v32, v31
	v_min_u32_e32 v35, 32, v32
	v_subrev_u32_e32 v32, 28, v35
	v_lshlrev_b64 v[32:33], v32, v[22:23]
	v_lshrrev_b32_e32 v34, 3, v24
	v_sub_u32_e32 v33, 29, v35
	v_and_b32_e32 v32, 7, v32
	v_cmp_gt_u32_e32 vcc, 8, v24
	v_cndmask_b32_e32 v24, v34, v33, vcc
	v_cndmask_b32_e32 v31, v31, v32, vcc
	v_lshlrev_b32_e32 v22, 24, v22
	v_bfrev_b32_e32 v32, 60
	v_lshlrev_b32_e32 v31, 20, v31
	v_and_b32_e32 v22, 0x80000000, v22
	v_lshl_add_u32 v24, v24, 23, v32
	v_or3_b32 v22, v22, v24, v31
	v_lshrrev_b32_e32 v31, 16, v22
.LBB717_420:
	s_or_b64 exec, exec, s[8:9]
.LBB717_421:
	s_or_b64 exec, exec, s[6:7]
.LBB717_422:
	s_or_b64 exec, exec, s[0:1]
	v_mov_b32_e32 v32, 0
	v_mov_b32_e32 v22, v15
	v_cmp_ne_u16_sdwa s[6:7], v15, v32 src0_sel:BYTE_0 src1_sel:DWORD
	v_mov_b32_e32 v33, 0
	s_and_saveexec_b64 s[0:1], s[6:7]
	s_cbranch_execz .LBB717_428
; %bb.423:
	s_movk_i32 s3, 0x80
	v_cmp_ne_u16_sdwa s[8:9], v15, s3 src0_sel:BYTE_0 src1_sel:DWORD
	v_mov_b32_e32 v33, 0xffff8000
	s_and_saveexec_b64 s[6:7], s[8:9]
	s_cbranch_execz .LBB717_427
; %bb.424:
	s_movk_i32 s3, 0x7f
	v_and_b32_e32 v24, 0x7f, v15
	v_cmp_ne_u32_e32 vcc, s3, v24
	v_mov_b32_e32 v33, 0x7f80
	s_and_saveexec_b64 s[8:9], vcc
	s_cbranch_execz .LBB717_426
; %bb.425:
	v_and_b32_e32 v33, 7, v15
	v_ffbh_u32_e32 v33, v33
	v_min_u32_e32 v33, 32, v33
	v_lshrrev_b32_e32 v34, 3, v24
	v_subrev_u32_e32 v35, 28, v33
	v_sub_u32_e32 v33, 29, v33
	v_cmp_gt_u32_e32 vcc, 8, v24
	v_cndmask_b32_e32 v24, v34, v33, vcc
	v_cndmask_b32_e32 v33, 0, v35, vcc
	v_lshlrev_b64 v[34:35], v33, v[22:23]
	v_lshlrev_b32_e32 v23, 20, v34
	v_lshlrev_b32_e32 v33, 24, v22
	v_bfrev_b32_e32 v34, 60
	v_and_b32_e32 v23, 0x700000, v23
	v_and_b32_e32 v33, 0x80000000, v33
	v_lshl_add_u32 v24, v24, 23, v34
	v_or3_b32 v23, v33, v24, v23
	v_lshrrev_b32_e32 v33, 16, v23
.LBB717_426:
	s_or_b64 exec, exec, s[8:9]
.LBB717_427:
	s_or_b64 exec, exec, s[6:7]
.LBB717_428:
	s_or_b64 exec, exec, s[0:1]
	v_lshrrev_b16_e32 v24, 8, v22
	v_cmp_ne_u16_e32 vcc, 0, v24
	s_and_saveexec_b64 s[0:1], vcc
	s_cbranch_execz .LBB717_434
; %bb.429:
	s_movk_i32 s3, 0x80
	v_cmp_ne_u16_e32 vcc, s3, v24
	v_mov_b32_e32 v32, 0xffff8000
	s_and_saveexec_b64 s[6:7], vcc
	s_cbranch_execz .LBB717_433
; %bb.430:
	s_movk_i32 s3, 0x7f
	v_and_b32_e32 v23, 0x7f, v24
	v_cmp_ne_u32_e32 vcc, s3, v23
	v_mov_b32_e32 v32, 0x7f80
	s_and_saveexec_b64 s[8:9], vcc
	s_cbranch_execz .LBB717_432
; %bb.431:
	v_and_b32_e32 v32, 7, v24
	v_ffbh_u32_e32 v34, v32
	v_min_u32_e32 v37, 32, v34
	v_subrev_u32_e32 v34, 28, v37
	v_lshlrev_b64 v[34:35], v34, v[24:25]
	v_lshrrev_b32_e32 v36, 3, v23
	v_sub_u32_e32 v24, 29, v37
	v_and_b32_e32 v34, 7, v34
	v_cmp_gt_u32_e32 vcc, 8, v23
	v_cndmask_b32_e32 v23, v36, v24, vcc
	v_cndmask_b32_e32 v24, v32, v34, vcc
	v_lshlrev_b32_e32 v22, 16, v22
	v_bfrev_b32_e32 v32, 60
	v_lshlrev_b32_e32 v24, 20, v24
	v_and_b32_e32 v22, 0x80000000, v22
	v_lshl_add_u32 v23, v23, 23, v32
	v_or3_b32 v22, v22, v23, v24
	v_lshrrev_b32_e32 v32, 16, v22
.LBB717_432:
	s_or_b64 exec, exec, s[8:9]
.LBB717_433:
	s_or_b64 exec, exec, s[6:7]
.LBB717_434:
	s_or_b64 exec, exec, s[0:1]
	s_movk_i32 s0, 0xff
	v_and_b32_sdwa v34, v15, s0 dst_sel:DWORD dst_unused:UNUSED_PAD src0_sel:WORD_1 src1_sel:DWORD
	v_lshrrev_b32_e32 v22, 16, v15
	v_cmp_ne_u16_e32 vcc, 0, v34
	v_mov_b32_e32 v23, 0
	v_mov_b32_e32 v24, 0
	s_and_saveexec_b64 s[0:1], vcc
	s_cbranch_execz .LBB717_440
; %bb.435:
	s_movk_i32 s3, 0x80
	v_cmp_ne_u16_e32 vcc, s3, v34
	v_mov_b32_e32 v24, 0xffff8000
	s_and_saveexec_b64 s[6:7], vcc
	s_cbranch_execz .LBB717_439
; %bb.436:
	v_bfe_u32 v34, v15, 16, 7
	s_movk_i32 s3, 0x7f
	v_cmp_ne_u32_e32 vcc, s3, v34
	v_mov_b32_e32 v24, 0x7f80
	s_and_saveexec_b64 s[8:9], vcc
	s_cbranch_execz .LBB717_438
; %bb.437:
	v_and_b32_e32 v24, 7, v22
	v_ffbh_u32_e32 v36, v24
	v_min_u32_e32 v38, 32, v36
	v_subrev_u32_e32 v36, 28, v38
	v_lshlrev_b64 v[36:37], v36, v[22:23]
	v_lshrrev_b32_e32 v35, 3, v34
	v_sub_u32_e32 v22, 29, v38
	v_and_b32_e32 v36, 7, v36
	v_cmp_gt_u32_e32 vcc, 8, v34
	v_mov_b32_e32 v34, 24
	v_cndmask_b32_e32 v22, v35, v22, vcc
	v_cndmask_b32_e32 v24, v24, v36, vcc
	v_lshlrev_b32_sdwa v34, v34, v15 dst_sel:DWORD dst_unused:UNUSED_PAD src0_sel:DWORD src1_sel:WORD_1
	v_bfrev_b32_e32 v35, 60
	v_lshlrev_b32_e32 v24, 20, v24
	v_and_b32_e32 v34, 0x80000000, v34
	v_lshl_add_u32 v22, v22, 23, v35
	v_or3_b32 v22, v34, v22, v24
	v_lshrrev_b32_e32 v24, 16, v22
.LBB717_438:
	s_or_b64 exec, exec, s[8:9]
.LBB717_439:
	s_or_b64 exec, exec, s[6:7]
.LBB717_440:
	s_or_b64 exec, exec, s[0:1]
	s_mov_b32 s0, -1
	s_mov_b32 s1, 0xffffff
	v_cmp_lt_u64_e32 vcc, s[0:1], v[14:15]
	s_and_saveexec_b64 s[0:1], vcc
	s_cbranch_execz .LBB717_446
; %bb.441:
	v_lshrrev_b32_e32 v14, 24, v15
	s_movk_i32 s3, 0x80
	v_cmp_ne_u32_e32 vcc, s3, v14
	v_mov_b32_e32 v23, 0xffff8000
	s_and_saveexec_b64 s[6:7], vcc
	s_cbranch_execz .LBB717_445
; %bb.442:
	v_bfe_u32 v15, v15, 24, 7
	s_movk_i32 s3, 0x7f
	v_cmp_ne_u32_e32 vcc, s3, v15
	v_mov_b32_e32 v23, 0x7f80
	s_and_saveexec_b64 s[8:9], vcc
	s_cbranch_execz .LBB717_444
; %bb.443:
	v_and_b32_e32 v34, 7, v14
	v_ffbh_u32_e32 v22, v34
	v_min_u32_e32 v36, 32, v22
	v_subrev_u32_e32 v22, 28, v36
	v_lshlrev_b64 v[22:23], v22, v[14:15]
	v_lshrrev_b32_e32 v35, 3, v15
	v_sub_u32_e32 v23, 29, v36
	v_and_b32_e32 v22, 7, v22
	v_cmp_gt_u32_e32 vcc, 8, v15
	v_cndmask_b32_e32 v15, v35, v23, vcc
	v_cndmask_b32_e32 v22, v34, v22, vcc
	v_lshlrev_b32_e32 v14, 24, v14
	v_bfrev_b32_e32 v23, 60
	v_lshlrev_b32_e32 v22, 20, v22
	v_and_b32_e32 v14, 0x80000000, v14
	v_lshl_add_u32 v15, v15, 23, v23
	v_or3_b32 v14, v14, v15, v22
	v_lshrrev_b32_e32 v23, 16, v14
.LBB717_444:
	s_or_b64 exec, exec, s[8:9]
.LBB717_445:
	s_or_b64 exec, exec, s[6:7]
.LBB717_446:
	s_or_b64 exec, exec, s[0:1]
	v_add_f32_e32 v14, 0x358637bd, v27
	v_div_scale_f32 v15, s[0:1], v14, v14, 1.0
	v_rcp_f32_e32 v22, v15
	v_div_scale_f32 v27, vcc, 1.0, v14, 1.0
	v_sub_f32_e32 v25, v25, v26
	v_fma_f32 v34, -v15, v22, 1.0
	v_fmac_f32_e32 v22, v34, v22
	v_mul_f32_e32 v34, v27, v22
	v_fma_f32 v35, -v15, v34, v27
	v_mul_f32_e32 v25, 0x3fb8aa3b, v25
	v_fmac_f32_e32 v34, v35, v22
	v_exp_f32_e32 v25, v25
	v_fma_f32 v15, -v15, v34, v27
	v_div_fmas_f32 v15, v15, v22, v34
	v_div_fixup_f32 v14, v15, v14, 1.0
	v_mul_f32_e32 v14, v25, v14
	v_pk_mul_f32 v[20:21], v[20:21], v[14:15] op_sel_hi:[1,0]
	v_pk_mul_f32 v[14:15], v[18:19], v[14:15] op_sel_hi:[1,0]
	v_bfe_u32 v18, v15, 16, 1
	v_bfe_u32 v19, v14, 16, 1
	s_movk_i32 s0, 0x7fff
	v_add3_u32 v14, v14, v19, s0
	v_add3_u32 v15, v15, v18, s0
	s_mov_b32 s1, 0x7060302
	v_perm_b32 v14, v15, v14, s1
	v_bfe_u32 v15, v21, 16, 1
	v_bfe_u32 v18, v20, 16, 1
	v_add3_u32 v18, v20, v18, s0
	v_add3_u32 v15, v21, v15, s0
	v_perm_b32 v15, v15, v18, s1
	s_mov_b32 s0, 0x5040100
	v_perm_b32 v19, v31, v30, s0
	v_perm_b32 v18, v28, v29, s0
	;; [unrolled: 1-line block ×4, first 2 shown]
	v_mfma_f32_4x4x4bf16_1k a[0:3], v[14:15], v[18:19], 0 cbsz:4
	v_mov_b32_e32 v21, 0
	v_mfma_f32_4x4x4bf16_1k a[0:3], v[14:15], v[22:23], a[0:3] cbsz:4 abid:1
	v_mov_b32_e32 v22, 0
	v_cmp_ne_u16_sdwa s[6:7], v16, v22 src0_sel:BYTE_0 src1_sel:DWORD
	s_and_saveexec_b64 s[0:1], s[6:7]
	s_cbranch_execz .LBB717_452
; %bb.447:
	s_movk_i32 s3, 0x80
	v_cmp_ne_u16_sdwa s[8:9], v16, s3 src0_sel:BYTE_0 src1_sel:DWORD
	v_mov_b32_e32 v21, 0xffff8000
	s_and_saveexec_b64 s[6:7], s[8:9]
	s_cbranch_execz .LBB717_451
; %bb.448:
	s_movk_i32 s3, 0x7f
	v_and_b32_e32 v18, 0x7f, v16
	v_cmp_ne_u32_e32 vcc, s3, v18
	v_mov_b32_e32 v21, 0x7f80
	s_and_saveexec_b64 s[8:9], vcc
	s_cbranch_execz .LBB717_450
; %bb.449:
	v_and_b32_e32 v19, 7, v16
	v_ffbh_u32_e32 v19, v19
	v_min_u32_e32 v19, 32, v19
	v_subrev_u32_e32 v21, 28, v19
	v_cmp_gt_u32_e32 vcc, 8, v18
	v_lshrrev_b32_e32 v20, 3, v18
	v_sub_u32_e32 v19, 29, v19
	v_cndmask_b32_e32 v18, 0, v21, vcc
	v_cndmask_b32_e32 v20, v20, v19, vcc
	v_lshlrev_b64 v[18:19], v18, v[16:17]
	v_lshlrev_b32_e32 v18, 20, v18
	v_lshlrev_b32_e32 v19, 24, v16
	v_bfrev_b32_e32 v21, 60
	v_and_b32_e32 v18, 0x700000, v18
	v_and_b32_e32 v19, 0x80000000, v19
	v_lshl_add_u32 v20, v20, 23, v21
	v_or3_b32 v18, v19, v20, v18
	v_lshrrev_b32_e32 v21, 16, v18
.LBB717_450:
	s_or_b64 exec, exec, s[8:9]
.LBB717_451:
	s_or_b64 exec, exec, s[6:7]
.LBB717_452:
	s_or_b64 exec, exec, s[0:1]
	v_lshrrev_b16_e32 v18, 8, v16
	v_cmp_ne_u16_e32 vcc, 0, v18
	s_and_saveexec_b64 s[0:1], vcc
	s_cbranch_execz .LBB717_458
; %bb.453:
	s_movk_i32 s3, 0x80
	v_cmp_ne_u16_e32 vcc, s3, v18
	v_mov_b32_e32 v22, 0xffff8000
	s_and_saveexec_b64 s[6:7], vcc
	s_cbranch_execz .LBB717_457
; %bb.454:
	s_movk_i32 s3, 0x7f
	v_and_b32_e32 v19, 0x7f, v18
	v_cmp_ne_u32_e32 vcc, s3, v19
	v_mov_b32_e32 v22, 0x7f80
	s_and_saveexec_b64 s[8:9], vcc
	s_cbranch_execz .LBB717_456
; %bb.455:
	v_and_b32_e32 v20, 7, v18
	v_ffbh_u32_e32 v22, v20
	v_min_u32_e32 v25, 32, v22
	v_subrev_u32_e32 v22, 28, v25
	v_lshlrev_b64 v[22:23], v22, v[18:19]
	v_lshrrev_b32_e32 v24, 3, v19
	v_sub_u32_e32 v18, 29, v25
	v_and_b32_e32 v22, 7, v22
	v_cmp_gt_u32_e32 vcc, 8, v19
	v_cndmask_b32_e32 v18, v24, v18, vcc
	v_cndmask_b32_e32 v19, v20, v22, vcc
	v_lshlrev_b32_e32 v20, 16, v16
	v_bfrev_b32_e32 v22, 60
	v_lshlrev_b32_e32 v19, 20, v19
	v_and_b32_e32 v20, 0x80000000, v20
	v_lshl_add_u32 v18, v18, 23, v22
	v_or3_b32 v18, v20, v18, v19
	v_lshrrev_b32_e32 v22, 16, v18
.LBB717_456:
	s_or_b64 exec, exec, s[8:9]
.LBB717_457:
	s_or_b64 exec, exec, s[6:7]
.LBB717_458:
	s_or_b64 exec, exec, s[0:1]
	s_movk_i32 s0, 0xff
	v_and_b32_sdwa v20, v16, s0 dst_sel:DWORD dst_unused:UNUSED_PAD src0_sel:WORD_1 src1_sel:DWORD
	v_lshrrev_b32_e32 v18, 16, v16
	v_cmp_ne_u16_e32 vcc, 0, v20
	v_mov_b32_e32 v19, 0
	v_mov_b32_e32 v23, 0
	s_and_saveexec_b64 s[0:1], vcc
	s_cbranch_execz .LBB717_464
; %bb.459:
	s_movk_i32 s3, 0x80
	v_cmp_ne_u16_e32 vcc, s3, v20
	v_mov_b32_e32 v23, 0xffff8000
	s_and_saveexec_b64 s[6:7], vcc
	s_cbranch_execz .LBB717_463
; %bb.460:
	v_bfe_u32 v20, v16, 16, 7
	s_movk_i32 s3, 0x7f
	v_cmp_ne_u32_e32 vcc, s3, v20
	v_mov_b32_e32 v23, 0x7f80
	s_and_saveexec_b64 s[8:9], vcc
	s_cbranch_execz .LBB717_462
; %bb.461:
	v_and_b32_e32 v23, 7, v18
	v_ffbh_u32_e32 v24, v23
	v_min_u32_e32 v27, 32, v24
	v_subrev_u32_e32 v24, 28, v27
	v_lshlrev_b64 v[24:25], v24, v[18:19]
	v_and_b32_e32 v24, 7, v24
	v_cmp_gt_u32_e32 vcc, 8, v20
	v_lshrrev_b32_e32 v26, 3, v20
	v_sub_u32_e32 v18, 29, v27
	v_cndmask_b32_e32 v20, v23, v24, vcc
	v_mov_b32_e32 v23, 24
	v_cndmask_b32_e32 v18, v26, v18, vcc
	v_lshlrev_b32_sdwa v23, v23, v16 dst_sel:DWORD dst_unused:UNUSED_PAD src0_sel:DWORD src1_sel:WORD_1
	v_bfrev_b32_e32 v24, 60
	v_lshlrev_b32_e32 v20, 20, v20
	v_and_b32_e32 v23, 0x80000000, v23
	v_lshl_add_u32 v18, v18, 23, v24
	v_or3_b32 v18, v23, v18, v20
	v_lshrrev_b32_e32 v23, 16, v18
.LBB717_462:
	s_or_b64 exec, exec, s[8:9]
.LBB717_463:
	s_or_b64 exec, exec, s[6:7]
.LBB717_464:
	s_or_b64 exec, exec, s[0:1]
	s_mov_b32 s0, 0xffffff
	v_cmp_lt_u32_e32 vcc, s0, v16
	v_mov_b32_e32 v24, 0
	s_and_saveexec_b64 s[0:1], vcc
	s_cbranch_execz .LBB717_470
; %bb.465:
	v_lshrrev_b32_e32 v18, 24, v16
	s_movk_i32 s3, 0x80
	v_cmp_ne_u32_e32 vcc, s3, v18
	v_mov_b32_e32 v24, 0xffff8000
	s_and_saveexec_b64 s[6:7], vcc
	s_cbranch_execz .LBB717_469
; %bb.466:
	v_bfe_u32 v20, v16, 24, 7
	s_movk_i32 s3, 0x7f
	v_cmp_ne_u32_e32 vcc, s3, v20
	v_mov_b32_e32 v24, 0x7f80
	s_and_saveexec_b64 s[8:9], vcc
	s_cbranch_execz .LBB717_468
; %bb.467:
	v_and_b32_e32 v26, 7, v18
	v_ffbh_u32_e32 v24, v26
	v_min_u32_e32 v28, 32, v24
	v_subrev_u32_e32 v24, 28, v28
	v_lshlrev_b64 v[24:25], v24, v[18:19]
	v_lshrrev_b32_e32 v27, 3, v20
	v_sub_u32_e32 v25, 29, v28
	v_and_b32_e32 v24, 7, v24
	v_cmp_gt_u32_e32 vcc, 8, v20
	v_cndmask_b32_e32 v20, v27, v25, vcc
	v_cndmask_b32_e32 v24, v26, v24, vcc
	v_lshlrev_b32_e32 v18, 24, v18
	v_bfrev_b32_e32 v25, 60
	v_lshlrev_b32_e32 v24, 20, v24
	v_and_b32_e32 v18, 0x80000000, v18
	v_lshl_add_u32 v20, v20, 23, v25
	v_or3_b32 v18, v18, v20, v24
	v_lshrrev_b32_e32 v24, 16, v18
.LBB717_468:
	s_or_b64 exec, exec, s[8:9]
.LBB717_469:
	s_or_b64 exec, exec, s[6:7]
.LBB717_470:
	s_or_b64 exec, exec, s[0:1]
	v_mov_b32_e32 v25, 0
	v_mov_b32_e32 v18, v17
	v_cmp_ne_u16_sdwa s[6:7], v17, v25 src0_sel:BYTE_0 src1_sel:DWORD
	v_mov_b32_e32 v26, 0
	s_and_saveexec_b64 s[0:1], s[6:7]
	s_cbranch_execz .LBB717_476
; %bb.471:
	s_movk_i32 s3, 0x80
	v_cmp_ne_u16_sdwa s[8:9], v17, s3 src0_sel:BYTE_0 src1_sel:DWORD
	v_mov_b32_e32 v26, 0xffff8000
	s_and_saveexec_b64 s[6:7], s[8:9]
	s_cbranch_execz .LBB717_475
; %bb.472:
	s_movk_i32 s3, 0x7f
	v_and_b32_e32 v20, 0x7f, v17
	v_cmp_ne_u32_e32 vcc, s3, v20
	v_mov_b32_e32 v26, 0x7f80
	s_and_saveexec_b64 s[8:9], vcc
	s_cbranch_execz .LBB717_474
; %bb.473:
	v_and_b32_e32 v26, 7, v17
	v_ffbh_u32_e32 v26, v26
	v_min_u32_e32 v26, 32, v26
	v_lshrrev_b32_e32 v27, 3, v20
	v_subrev_u32_e32 v28, 28, v26
	v_sub_u32_e32 v26, 29, v26
	v_cmp_gt_u32_e32 vcc, 8, v20
	v_cndmask_b32_e32 v20, v27, v26, vcc
	v_cndmask_b32_e32 v26, 0, v28, vcc
	v_lshlrev_b64 v[26:27], v26, v[18:19]
	v_lshlrev_b32_e32 v19, 20, v26
	v_lshlrev_b32_e32 v26, 24, v18
	v_bfrev_b32_e32 v27, 60
	v_and_b32_e32 v19, 0x700000, v19
	v_and_b32_e32 v26, 0x80000000, v26
	v_lshl_add_u32 v20, v20, 23, v27
	v_or3_b32 v19, v26, v20, v19
	v_lshrrev_b32_e32 v26, 16, v19
.LBB717_474:
	s_or_b64 exec, exec, s[8:9]
.LBB717_475:
	s_or_b64 exec, exec, s[6:7]
.LBB717_476:
	s_or_b64 exec, exec, s[0:1]
	v_lshrrev_b16_e32 v20, 8, v18
	v_cmp_ne_u16_e32 vcc, 0, v20
	s_and_saveexec_b64 s[0:1], vcc
	s_cbranch_execz .LBB717_482
; %bb.477:
	s_movk_i32 s3, 0x80
	v_cmp_ne_u16_e32 vcc, s3, v20
	v_mov_b32_e32 v25, 0xffff8000
	s_and_saveexec_b64 s[6:7], vcc
	s_cbranch_execz .LBB717_481
; %bb.478:
	s_movk_i32 s3, 0x7f
	v_and_b32_e32 v19, 0x7f, v20
	v_cmp_ne_u32_e32 vcc, s3, v19
	v_mov_b32_e32 v25, 0x7f80
	s_and_saveexec_b64 s[8:9], vcc
	s_cbranch_execz .LBB717_480
; %bb.479:
	v_and_b32_e32 v25, 7, v20
	v_ffbh_u32_e32 v28, v25
	v_min_u32_e32 v30, 32, v28
	v_subrev_u32_e32 v28, 28, v30
	v_lshlrev_b64 v[28:29], v28, v[20:21]
	v_lshrrev_b32_e32 v27, 3, v19
	v_sub_u32_e32 v20, 29, v30
	v_and_b32_e32 v28, 7, v28
	v_cmp_gt_u32_e32 vcc, 8, v19
	v_cndmask_b32_e32 v19, v27, v20, vcc
	v_cndmask_b32_e32 v20, v25, v28, vcc
	v_lshlrev_b32_e32 v18, 16, v18
	v_bfrev_b32_e32 v25, 60
	v_lshlrev_b32_e32 v20, 20, v20
	v_and_b32_e32 v18, 0x80000000, v18
	v_lshl_add_u32 v19, v19, 23, v25
	v_or3_b32 v18, v18, v19, v20
	v_lshrrev_b32_e32 v25, 16, v18
.LBB717_480:
	s_or_b64 exec, exec, s[8:9]
.LBB717_481:
	s_or_b64 exec, exec, s[6:7]
.LBB717_482:
	s_or_b64 exec, exec, s[0:1]
	s_movk_i32 s0, 0xff
	v_and_b32_sdwa v27, v17, s0 dst_sel:DWORD dst_unused:UNUSED_PAD src0_sel:WORD_1 src1_sel:DWORD
	v_lshrrev_b32_e32 v18, 16, v17
	v_cmp_ne_u16_e32 vcc, 0, v27
	v_mov_b32_e32 v19, 0
	v_mov_b32_e32 v20, 0
	s_and_saveexec_b64 s[0:1], vcc
	s_cbranch_execz .LBB717_488
; %bb.483:
	s_movk_i32 s3, 0x80
	v_cmp_ne_u16_e32 vcc, s3, v27
	v_mov_b32_e32 v20, 0xffff8000
	s_and_saveexec_b64 s[6:7], vcc
	s_cbranch_execz .LBB717_487
; %bb.484:
	v_bfe_u32 v27, v17, 16, 7
	s_movk_i32 s3, 0x7f
	v_cmp_ne_u32_e32 vcc, s3, v27
	v_mov_b32_e32 v20, 0x7f80
	s_and_saveexec_b64 s[8:9], vcc
	s_cbranch_execz .LBB717_486
; %bb.485:
	v_and_b32_e32 v20, 7, v18
	v_ffbh_u32_e32 v28, v20
	v_min_u32_e32 v31, 32, v28
	v_subrev_u32_e32 v28, 28, v31
	v_lshlrev_b64 v[28:29], v28, v[18:19]
	v_lshrrev_b32_e32 v30, 3, v27
	v_sub_u32_e32 v18, 29, v31
	v_and_b32_e32 v28, 7, v28
	v_cmp_gt_u32_e32 vcc, 8, v27
	v_mov_b32_e32 v27, 24
	v_cndmask_b32_e32 v18, v30, v18, vcc
	v_cndmask_b32_e32 v20, v20, v28, vcc
	v_lshlrev_b32_sdwa v27, v27, v17 dst_sel:DWORD dst_unused:UNUSED_PAD src0_sel:DWORD src1_sel:WORD_1
	v_bfrev_b32_e32 v28, 60
	v_lshlrev_b32_e32 v20, 20, v20
	v_and_b32_e32 v27, 0x80000000, v27
	v_lshl_add_u32 v18, v18, 23, v28
	v_or3_b32 v18, v27, v18, v20
	v_lshrrev_b32_e32 v20, 16, v18
.LBB717_486:
	s_or_b64 exec, exec, s[8:9]
.LBB717_487:
	s_or_b64 exec, exec, s[6:7]
.LBB717_488:
	s_or_b64 exec, exec, s[0:1]
	s_mov_b32 s0, -1
	s_mov_b32 s1, 0xffffff
	v_cmp_lt_u64_e32 vcc, s[0:1], v[16:17]
	s_and_saveexec_b64 s[0:1], vcc
	s_cbranch_execz .LBB717_494
; %bb.489:
	v_lshrrev_b32_e32 v16, 24, v17
	s_movk_i32 s3, 0x80
	v_cmp_ne_u32_e32 vcc, s3, v16
	v_mov_b32_e32 v19, 0xffff8000
	s_and_saveexec_b64 s[6:7], vcc
	s_cbranch_execz .LBB717_493
; %bb.490:
	v_bfe_u32 v17, v17, 24, 7
	s_movk_i32 s3, 0x7f
	v_cmp_ne_u32_e32 vcc, s3, v17
	v_mov_b32_e32 v19, 0x7f80
	s_and_saveexec_b64 s[8:9], vcc
	s_cbranch_execz .LBB717_492
; %bb.491:
	v_and_b32_e32 v27, 7, v16
	v_ffbh_u32_e32 v18, v27
	v_min_u32_e32 v29, 32, v18
	v_subrev_u32_e32 v18, 28, v29
	v_lshlrev_b64 v[18:19], v18, v[16:17]
	v_lshrrev_b32_e32 v28, 3, v17
	v_sub_u32_e32 v19, 29, v29
	v_and_b32_e32 v18, 7, v18
	v_cmp_gt_u32_e32 vcc, 8, v17
	v_cndmask_b32_e32 v17, v28, v19, vcc
	v_cndmask_b32_e32 v18, v27, v18, vcc
	v_lshlrev_b32_e32 v16, 24, v16
	v_bfrev_b32_e32 v19, 60
	v_lshlrev_b32_e32 v18, 20, v18
	v_and_b32_e32 v16, 0x80000000, v16
	v_lshl_add_u32 v17, v17, 23, v19
	v_or3_b32 v16, v16, v17, v18
	v_lshrrev_b32_e32 v19, 16, v16
.LBB717_492:
	s_or_b64 exec, exec, s[8:9]
.LBB717_493:
	s_or_b64 exec, exec, s[6:7]
.LBB717_494:
	s_or_b64 exec, exec, s[0:1]
	s_mov_b32 s0, 0x5040100
	v_perm_b32 v17, v24, v23, s0
	v_perm_b32 v16, v22, v21, s0
	;; [unrolled: 1-line block ×4, first 2 shown]
	v_mfma_f32_4x4x4bf16_1k a[0:3], v[14:15], v[16:17], a[0:3] cbsz:4 abid:2
	v_mov_b32_e32 v20, 0
	v_mfma_f32_4x4x4bf16_1k a[0:3], v[14:15], v[18:19], a[0:3] cbsz:4 abid:3
	v_mov_b32_e32 v19, 0
	v_cmp_ne_u16_sdwa s[6:7], v10, v19 src0_sel:BYTE_0 src1_sel:DWORD
	s_and_saveexec_b64 s[0:1], s[6:7]
	s_cbranch_execz .LBB717_500
; %bb.495:
	s_movk_i32 s3, 0x80
	v_cmp_ne_u16_sdwa s[8:9], v10, s3 src0_sel:BYTE_0 src1_sel:DWORD
	v_mov_b32_e32 v20, 0xffff8000
	s_and_saveexec_b64 s[6:7], s[8:9]
	s_cbranch_execz .LBB717_499
; %bb.496:
	s_movk_i32 s3, 0x7f
	v_and_b32_e32 v16, 0x7f, v10
	v_cmp_ne_u32_e32 vcc, s3, v16
	v_mov_b32_e32 v20, 0x7f80
	s_and_saveexec_b64 s[8:9], vcc
	s_cbranch_execz .LBB717_498
; %bb.497:
	v_and_b32_e32 v17, 7, v10
	v_ffbh_u32_e32 v17, v17
	v_min_u32_e32 v17, 32, v17
	v_subrev_u32_e32 v20, 28, v17
	v_cmp_gt_u32_e32 vcc, 8, v16
	v_lshrrev_b32_e32 v18, 3, v16
	v_sub_u32_e32 v17, 29, v17
	v_cndmask_b32_e32 v16, 0, v20, vcc
	v_cndmask_b32_e32 v18, v18, v17, vcc
	v_lshlrev_b64 v[16:17], v16, v[10:11]
	v_lshlrev_b32_e32 v16, 20, v16
	v_lshlrev_b32_e32 v17, 24, v10
	v_bfrev_b32_e32 v20, 60
	v_and_b32_e32 v16, 0x700000, v16
	v_and_b32_e32 v17, 0x80000000, v17
	v_lshl_add_u32 v18, v18, 23, v20
	v_or3_b32 v16, v17, v18, v16
	v_lshrrev_b32_e32 v20, 16, v16
.LBB717_498:
	s_or_b64 exec, exec, s[8:9]
.LBB717_499:
	s_or_b64 exec, exec, s[6:7]
.LBB717_500:
	s_or_b64 exec, exec, s[0:1]
	v_lshrrev_b16_e32 v16, 8, v10
	v_cmp_ne_u16_e32 vcc, 0, v16
	s_and_saveexec_b64 s[0:1], vcc
	s_cbranch_execz .LBB717_506
; %bb.501:
	s_movk_i32 s3, 0x80
	v_cmp_ne_u16_e32 vcc, s3, v16
	v_mov_b32_e32 v19, 0xffff8000
	s_and_saveexec_b64 s[6:7], vcc
	s_cbranch_execz .LBB717_505
; %bb.502:
	s_movk_i32 s3, 0x7f
	v_and_b32_e32 v17, 0x7f, v16
	v_cmp_ne_u32_e32 vcc, s3, v17
	v_mov_b32_e32 v19, 0x7f80
	s_and_saveexec_b64 s[8:9], vcc
	s_cbranch_execz .LBB717_504
; %bb.503:
	v_and_b32_e32 v21, 7, v16
	v_ffbh_u32_e32 v18, v21
	v_min_u32_e32 v23, 32, v18
	v_subrev_u32_e32 v18, 28, v23
	v_lshlrev_b64 v[18:19], v18, v[16:17]
	v_lshrrev_b32_e32 v22, 3, v17
	v_sub_u32_e32 v16, 29, v23
	v_and_b32_e32 v18, 7, v18
	v_cmp_gt_u32_e32 vcc, 8, v17
	v_cndmask_b32_e32 v16, v22, v16, vcc
	v_cndmask_b32_e32 v17, v21, v18, vcc
	v_lshlrev_b32_e32 v18, 16, v10
	v_bfrev_b32_e32 v19, 60
	v_lshlrev_b32_e32 v17, 20, v17
	v_and_b32_e32 v18, 0x80000000, v18
	v_lshl_add_u32 v16, v16, 23, v19
	v_or3_b32 v16, v18, v16, v17
	v_lshrrev_b32_e32 v19, 16, v16
.LBB717_504:
	s_or_b64 exec, exec, s[8:9]
.LBB717_505:
	s_or_b64 exec, exec, s[6:7]
.LBB717_506:
	s_or_b64 exec, exec, s[0:1]
	s_movk_i32 s0, 0xff
	v_and_b32_sdwa v18, v10, s0 dst_sel:DWORD dst_unused:UNUSED_PAD src0_sel:WORD_1 src1_sel:DWORD
	v_lshrrev_b32_e32 v16, 16, v10
	v_cmp_ne_u16_e32 vcc, 0, v18
	v_mov_b32_e32 v17, 0
	v_mov_b32_e32 v21, 0
	s_and_saveexec_b64 s[0:1], vcc
	s_cbranch_execz .LBB717_512
; %bb.507:
	s_movk_i32 s3, 0x80
	v_cmp_ne_u16_e32 vcc, s3, v18
	v_mov_b32_e32 v21, 0xffff8000
	s_and_saveexec_b64 s[6:7], vcc
	s_cbranch_execz .LBB717_511
; %bb.508:
	v_bfe_u32 v18, v10, 16, 7
	s_movk_i32 s3, 0x7f
	v_cmp_ne_u32_e32 vcc, s3, v18
	v_mov_b32_e32 v21, 0x7f80
	s_and_saveexec_b64 s[8:9], vcc
	s_cbranch_execz .LBB717_510
; %bb.509:
	v_and_b32_e32 v21, 7, v16
	v_ffbh_u32_e32 v22, v21
	v_min_u32_e32 v25, 32, v22
	v_subrev_u32_e32 v22, 28, v25
	v_lshlrev_b64 v[22:23], v22, v[16:17]
	v_and_b32_e32 v22, 7, v22
	v_cmp_gt_u32_e32 vcc, 8, v18
	v_lshrrev_b32_e32 v24, 3, v18
	v_sub_u32_e32 v16, 29, v25
	v_cndmask_b32_e32 v18, v21, v22, vcc
	v_mov_b32_e32 v21, 24
	v_cndmask_b32_e32 v16, v24, v16, vcc
	v_lshlrev_b32_sdwa v21, v21, v10 dst_sel:DWORD dst_unused:UNUSED_PAD src0_sel:DWORD src1_sel:WORD_1
	v_bfrev_b32_e32 v22, 60
	v_lshlrev_b32_e32 v18, 20, v18
	v_and_b32_e32 v21, 0x80000000, v21
	v_lshl_add_u32 v16, v16, 23, v22
	v_or3_b32 v16, v21, v16, v18
	v_lshrrev_b32_e32 v21, 16, v16
.LBB717_510:
	s_or_b64 exec, exec, s[8:9]
.LBB717_511:
	s_or_b64 exec, exec, s[6:7]
.LBB717_512:
	s_or_b64 exec, exec, s[0:1]
	s_mov_b32 s0, 0xffffff
	v_cmp_lt_u32_e32 vcc, s0, v10
	v_mov_b32_e32 v22, 0
	s_and_saveexec_b64 s[0:1], vcc
	s_cbranch_execz .LBB717_518
; %bb.513:
	v_lshrrev_b32_e32 v16, 24, v10
	s_movk_i32 s3, 0x80
	v_cmp_ne_u32_e32 vcc, s3, v16
	v_mov_b32_e32 v22, 0xffff8000
	s_and_saveexec_b64 s[6:7], vcc
	s_cbranch_execz .LBB717_517
; %bb.514:
	v_bfe_u32 v18, v10, 24, 7
	s_movk_i32 s3, 0x7f
	v_cmp_ne_u32_e32 vcc, s3, v18
	v_mov_b32_e32 v22, 0x7f80
	s_and_saveexec_b64 s[8:9], vcc
	s_cbranch_execz .LBB717_516
; %bb.515:
	v_and_b32_e32 v24, 7, v16
	v_ffbh_u32_e32 v22, v24
	v_min_u32_e32 v26, 32, v22
	v_subrev_u32_e32 v22, 28, v26
	v_lshlrev_b64 v[22:23], v22, v[16:17]
	v_lshrrev_b32_e32 v25, 3, v18
	v_sub_u32_e32 v23, 29, v26
	v_and_b32_e32 v22, 7, v22
	v_cmp_gt_u32_e32 vcc, 8, v18
	v_cndmask_b32_e32 v18, v25, v23, vcc
	v_cndmask_b32_e32 v22, v24, v22, vcc
	v_lshlrev_b32_e32 v16, 24, v16
	v_bfrev_b32_e32 v23, 60
	v_lshlrev_b32_e32 v22, 20, v22
	v_and_b32_e32 v16, 0x80000000, v16
	v_lshl_add_u32 v18, v18, 23, v23
	v_or3_b32 v16, v16, v18, v22
	v_lshrrev_b32_e32 v22, 16, v16
.LBB717_516:
	s_or_b64 exec, exec, s[8:9]
.LBB717_517:
	s_or_b64 exec, exec, s[6:7]
.LBB717_518:
	s_or_b64 exec, exec, s[0:1]
	v_mov_b32_e32 v23, 0
	v_mov_b32_e32 v16, v11
	v_cmp_ne_u16_sdwa s[6:7], v11, v23 src0_sel:BYTE_0 src1_sel:DWORD
	v_mov_b32_e32 v24, 0
	s_and_saveexec_b64 s[0:1], s[6:7]
	s_cbranch_execz .LBB717_524
; %bb.519:
	s_movk_i32 s3, 0x80
	v_cmp_ne_u16_sdwa s[8:9], v11, s3 src0_sel:BYTE_0 src1_sel:DWORD
	v_mov_b32_e32 v24, 0xffff8000
	s_and_saveexec_b64 s[6:7], s[8:9]
	s_cbranch_execz .LBB717_523
; %bb.520:
	s_movk_i32 s3, 0x7f
	v_and_b32_e32 v18, 0x7f, v11
	v_cmp_ne_u32_e32 vcc, s3, v18
	v_mov_b32_e32 v24, 0x7f80
	s_and_saveexec_b64 s[8:9], vcc
	s_cbranch_execz .LBB717_522
; %bb.521:
	v_and_b32_e32 v24, 7, v11
	v_ffbh_u32_e32 v24, v24
	v_min_u32_e32 v24, 32, v24
	v_lshrrev_b32_e32 v25, 3, v18
	v_subrev_u32_e32 v26, 28, v24
	v_sub_u32_e32 v24, 29, v24
	v_cmp_gt_u32_e32 vcc, 8, v18
	v_cndmask_b32_e32 v18, v25, v24, vcc
	v_cndmask_b32_e32 v24, 0, v26, vcc
	v_lshlrev_b64 v[24:25], v24, v[16:17]
	v_lshlrev_b32_e32 v17, 20, v24
	v_lshlrev_b32_e32 v24, 24, v16
	v_bfrev_b32_e32 v25, 60
	v_and_b32_e32 v17, 0x700000, v17
	v_and_b32_e32 v24, 0x80000000, v24
	v_lshl_add_u32 v18, v18, 23, v25
	v_or3_b32 v17, v24, v18, v17
	v_lshrrev_b32_e32 v24, 16, v17
.LBB717_522:
	s_or_b64 exec, exec, s[8:9]
.LBB717_523:
	s_or_b64 exec, exec, s[6:7]
.LBB717_524:
	s_or_b64 exec, exec, s[0:1]
	v_lshrrev_b16_e32 v18, 8, v16
	v_cmp_ne_u16_e32 vcc, 0, v18
	s_and_saveexec_b64 s[0:1], vcc
	s_cbranch_execz .LBB717_530
; %bb.525:
	s_movk_i32 s3, 0x80
	v_cmp_ne_u16_e32 vcc, s3, v18
	v_mov_b32_e32 v23, 0xffff8000
	s_and_saveexec_b64 s[6:7], vcc
	s_cbranch_execz .LBB717_529
; %bb.526:
	s_movk_i32 s3, 0x7f
	v_and_b32_e32 v17, 0x7f, v18
	v_cmp_ne_u32_e32 vcc, s3, v17
	v_mov_b32_e32 v23, 0x7f80
	s_and_saveexec_b64 s[8:9], vcc
	s_cbranch_execz .LBB717_528
; %bb.527:
	v_and_b32_e32 v23, 7, v18
	v_ffbh_u32_e32 v26, v23
	v_min_u32_e32 v28, 32, v26
	v_subrev_u32_e32 v26, 28, v28
	v_lshlrev_b64 v[26:27], v26, v[18:19]
	v_lshrrev_b32_e32 v25, 3, v17
	v_sub_u32_e32 v18, 29, v28
	v_and_b32_e32 v26, 7, v26
	v_cmp_gt_u32_e32 vcc, 8, v17
	v_cndmask_b32_e32 v17, v25, v18, vcc
	v_cndmask_b32_e32 v18, v23, v26, vcc
	v_lshlrev_b32_e32 v16, 16, v16
	v_bfrev_b32_e32 v23, 60
	v_lshlrev_b32_e32 v18, 20, v18
	v_and_b32_e32 v16, 0x80000000, v16
	v_lshl_add_u32 v17, v17, 23, v23
	v_or3_b32 v16, v16, v17, v18
	v_lshrrev_b32_e32 v23, 16, v16
.LBB717_528:
	s_or_b64 exec, exec, s[8:9]
.LBB717_529:
	s_or_b64 exec, exec, s[6:7]
.LBB717_530:
	s_or_b64 exec, exec, s[0:1]
	s_movk_i32 s0, 0xff
	v_and_b32_sdwa v25, v11, s0 dst_sel:DWORD dst_unused:UNUSED_PAD src0_sel:WORD_1 src1_sel:DWORD
	v_lshrrev_b32_e32 v16, 16, v11
	v_cmp_ne_u16_e32 vcc, 0, v25
	v_mov_b32_e32 v17, 0
	v_mov_b32_e32 v18, 0
	s_and_saveexec_b64 s[0:1], vcc
	s_cbranch_execz .LBB717_536
; %bb.531:
	s_movk_i32 s3, 0x80
	v_cmp_ne_u16_e32 vcc, s3, v25
	v_mov_b32_e32 v18, 0xffff8000
	s_and_saveexec_b64 s[6:7], vcc
	s_cbranch_execz .LBB717_535
; %bb.532:
	v_bfe_u32 v25, v11, 16, 7
	s_movk_i32 s3, 0x7f
	v_cmp_ne_u32_e32 vcc, s3, v25
	v_mov_b32_e32 v18, 0x7f80
	s_and_saveexec_b64 s[8:9], vcc
	s_cbranch_execz .LBB717_534
; %bb.533:
	v_and_b32_e32 v18, 7, v16
	v_ffbh_u32_e32 v26, v18
	v_min_u32_e32 v29, 32, v26
	v_subrev_u32_e32 v26, 28, v29
	v_lshlrev_b64 v[26:27], v26, v[16:17]
	v_lshrrev_b32_e32 v28, 3, v25
	v_sub_u32_e32 v16, 29, v29
	v_and_b32_e32 v26, 7, v26
	v_cmp_gt_u32_e32 vcc, 8, v25
	v_mov_b32_e32 v25, 24
	v_cndmask_b32_e32 v16, v28, v16, vcc
	v_cndmask_b32_e32 v18, v18, v26, vcc
	v_lshlrev_b32_sdwa v25, v25, v11 dst_sel:DWORD dst_unused:UNUSED_PAD src0_sel:DWORD src1_sel:WORD_1
	v_bfrev_b32_e32 v26, 60
	v_lshlrev_b32_e32 v18, 20, v18
	v_and_b32_e32 v25, 0x80000000, v25
	v_lshl_add_u32 v16, v16, 23, v26
	v_or3_b32 v16, v25, v16, v18
	v_lshrrev_b32_e32 v18, 16, v16
.LBB717_534:
	s_or_b64 exec, exec, s[8:9]
.LBB717_535:
	s_or_b64 exec, exec, s[6:7]
.LBB717_536:
	s_or_b64 exec, exec, s[0:1]
	s_mov_b32 s0, -1
	s_mov_b32 s1, 0xffffff
	v_cmp_lt_u64_e32 vcc, s[0:1], v[10:11]
	s_and_saveexec_b64 s[0:1], vcc
	s_cbranch_execz .LBB717_542
; %bb.537:
	v_lshrrev_b32_e32 v10, 24, v11
	s_movk_i32 s3, 0x80
	v_cmp_ne_u32_e32 vcc, s3, v10
	v_mov_b32_e32 v17, 0xffff8000
	s_and_saveexec_b64 s[6:7], vcc
	s_cbranch_execz .LBB717_541
; %bb.538:
	v_bfe_u32 v11, v11, 24, 7
	s_movk_i32 s3, 0x7f
	v_cmp_ne_u32_e32 vcc, s3, v11
	v_mov_b32_e32 v17, 0x7f80
	s_and_saveexec_b64 s[8:9], vcc
	s_cbranch_execz .LBB717_540
; %bb.539:
	v_and_b32_e32 v25, 7, v10
	v_ffbh_u32_e32 v16, v25
	v_min_u32_e32 v27, 32, v16
	v_subrev_u32_e32 v16, 28, v27
	v_lshlrev_b64 v[16:17], v16, v[10:11]
	v_lshrrev_b32_e32 v26, 3, v11
	v_sub_u32_e32 v17, 29, v27
	v_and_b32_e32 v16, 7, v16
	v_cmp_gt_u32_e32 vcc, 8, v11
	v_cndmask_b32_e32 v11, v26, v17, vcc
	v_cndmask_b32_e32 v16, v25, v16, vcc
	v_lshlrev_b32_e32 v10, 24, v10
	v_bfrev_b32_e32 v17, 60
	v_lshlrev_b32_e32 v16, 20, v16
	v_and_b32_e32 v10, 0x80000000, v10
	v_lshl_add_u32 v11, v11, 23, v17
	v_or3_b32 v10, v10, v11, v16
	v_lshrrev_b32_e32 v17, 16, v10
.LBB717_540:
	s_or_b64 exec, exec, s[8:9]
.LBB717_541:
	s_or_b64 exec, exec, s[6:7]
.LBB717_542:
	s_or_b64 exec, exec, s[0:1]
	s_mov_b32 s0, 0x5040100
	v_perm_b32 v11, v22, v21, s0
	v_perm_b32 v10, v19, v20, s0
	;; [unrolled: 1-line block ×4, first 2 shown]
	v_mfma_f32_4x4x4bf16_1k a[0:3], v[14:15], v[10:11], a[0:3] cbsz:4 abid:4
	v_mov_b32_e32 v18, 0
	v_mfma_f32_4x4x4bf16_1k a[0:3], v[14:15], v[16:17], a[0:3] cbsz:4 abid:5
	v_mov_b32_e32 v17, 0
	v_cmp_ne_u16_sdwa s[6:7], v12, v17 src0_sel:BYTE_0 src1_sel:DWORD
	s_and_saveexec_b64 s[0:1], s[6:7]
	s_cbranch_execz .LBB717_548
; %bb.543:
	s_movk_i32 s3, 0x80
	v_cmp_ne_u16_sdwa s[8:9], v12, s3 src0_sel:BYTE_0 src1_sel:DWORD
	v_mov_b32_e32 v18, 0xffff8000
	s_and_saveexec_b64 s[6:7], s[8:9]
	s_cbranch_execz .LBB717_547
; %bb.544:
	s_movk_i32 s3, 0x7f
	v_and_b32_e32 v10, 0x7f, v12
	v_cmp_ne_u32_e32 vcc, s3, v10
	v_mov_b32_e32 v18, 0x7f80
	s_and_saveexec_b64 s[8:9], vcc
	s_cbranch_execz .LBB717_546
; %bb.545:
	v_and_b32_e32 v11, 7, v12
	v_ffbh_u32_e32 v11, v11
	v_min_u32_e32 v11, 32, v11
	v_subrev_u32_e32 v18, 28, v11
	v_cmp_gt_u32_e32 vcc, 8, v10
	v_lshrrev_b32_e32 v16, 3, v10
	v_sub_u32_e32 v11, 29, v11
	v_cndmask_b32_e32 v10, 0, v18, vcc
	v_cndmask_b32_e32 v16, v16, v11, vcc
	v_lshlrev_b64 v[10:11], v10, v[12:13]
	v_lshlrev_b32_e32 v10, 20, v10
	v_lshlrev_b32_e32 v11, 24, v12
	v_bfrev_b32_e32 v18, 60
	v_and_b32_e32 v10, 0x700000, v10
	v_and_b32_e32 v11, 0x80000000, v11
	v_lshl_add_u32 v16, v16, 23, v18
	v_or3_b32 v10, v11, v16, v10
	v_lshrrev_b32_e32 v18, 16, v10
.LBB717_546:
	s_or_b64 exec, exec, s[8:9]
.LBB717_547:
	s_or_b64 exec, exec, s[6:7]
.LBB717_548:
	s_or_b64 exec, exec, s[0:1]
	v_lshrrev_b16_e32 v10, 8, v12
	v_cmp_ne_u16_e32 vcc, 0, v10
	s_and_saveexec_b64 s[0:1], vcc
	s_cbranch_execz .LBB717_554
; %bb.549:
	s_movk_i32 s3, 0x80
	v_cmp_ne_u16_e32 vcc, s3, v10
	v_mov_b32_e32 v17, 0xffff8000
	s_and_saveexec_b64 s[6:7], vcc
	s_cbranch_execz .LBB717_553
; %bb.550:
	s_movk_i32 s3, 0x7f
	v_and_b32_e32 v11, 0x7f, v10
	v_cmp_ne_u32_e32 vcc, s3, v11
	v_mov_b32_e32 v17, 0x7f80
	s_and_saveexec_b64 s[8:9], vcc
	s_cbranch_execz .LBB717_552
; %bb.551:
	v_and_b32_e32 v19, 7, v10
	v_ffbh_u32_e32 v16, v19
	v_min_u32_e32 v21, 32, v16
	v_subrev_u32_e32 v16, 28, v21
	v_lshlrev_b64 v[16:17], v16, v[10:11]
	v_lshrrev_b32_e32 v20, 3, v11
	v_sub_u32_e32 v10, 29, v21
	v_and_b32_e32 v16, 7, v16
	v_cmp_gt_u32_e32 vcc, 8, v11
	v_cndmask_b32_e32 v10, v20, v10, vcc
	v_cndmask_b32_e32 v11, v19, v16, vcc
	v_lshlrev_b32_e32 v16, 16, v12
	v_bfrev_b32_e32 v17, 60
	v_lshlrev_b32_e32 v11, 20, v11
	v_and_b32_e32 v16, 0x80000000, v16
	v_lshl_add_u32 v10, v10, 23, v17
	v_or3_b32 v10, v16, v10, v11
	v_lshrrev_b32_e32 v17, 16, v10
.LBB717_552:
	s_or_b64 exec, exec, s[8:9]
.LBB717_553:
	s_or_b64 exec, exec, s[6:7]
.LBB717_554:
	s_or_b64 exec, exec, s[0:1]
	s_movk_i32 s0, 0xff
	v_and_b32_sdwa v16, v12, s0 dst_sel:DWORD dst_unused:UNUSED_PAD src0_sel:WORD_1 src1_sel:DWORD
	v_lshrrev_b32_e32 v10, 16, v12
	v_cmp_ne_u16_e32 vcc, 0, v16
	v_mov_b32_e32 v11, 0
	v_mov_b32_e32 v19, 0
	s_and_saveexec_b64 s[0:1], vcc
	s_cbranch_execz .LBB717_560
; %bb.555:
	s_movk_i32 s3, 0x80
	v_cmp_ne_u16_e32 vcc, s3, v16
	v_mov_b32_e32 v19, 0xffff8000
	s_and_saveexec_b64 s[6:7], vcc
	s_cbranch_execz .LBB717_559
; %bb.556:
	v_bfe_u32 v16, v12, 16, 7
	s_movk_i32 s3, 0x7f
	v_cmp_ne_u32_e32 vcc, s3, v16
	v_mov_b32_e32 v19, 0x7f80
	s_and_saveexec_b64 s[8:9], vcc
	s_cbranch_execz .LBB717_558
; %bb.557:
	v_and_b32_e32 v19, 7, v10
	v_ffbh_u32_e32 v20, v19
	v_min_u32_e32 v23, 32, v20
	v_subrev_u32_e32 v20, 28, v23
	v_lshlrev_b64 v[20:21], v20, v[10:11]
	v_and_b32_e32 v20, 7, v20
	v_cmp_gt_u32_e32 vcc, 8, v16
	v_lshrrev_b32_e32 v22, 3, v16
	v_sub_u32_e32 v10, 29, v23
	v_cndmask_b32_e32 v16, v19, v20, vcc
	v_mov_b32_e32 v19, 24
	v_cndmask_b32_e32 v10, v22, v10, vcc
	v_lshlrev_b32_sdwa v19, v19, v12 dst_sel:DWORD dst_unused:UNUSED_PAD src0_sel:DWORD src1_sel:WORD_1
	v_bfrev_b32_e32 v20, 60
	v_lshlrev_b32_e32 v16, 20, v16
	v_and_b32_e32 v19, 0x80000000, v19
	v_lshl_add_u32 v10, v10, 23, v20
	v_or3_b32 v10, v19, v10, v16
	v_lshrrev_b32_e32 v19, 16, v10
.LBB717_558:
	s_or_b64 exec, exec, s[8:9]
.LBB717_559:
	s_or_b64 exec, exec, s[6:7]
.LBB717_560:
	s_or_b64 exec, exec, s[0:1]
	s_mov_b32 s0, 0xffffff
	v_cmp_lt_u32_e32 vcc, s0, v12
	v_mov_b32_e32 v20, 0
	s_and_saveexec_b64 s[0:1], vcc
	s_cbranch_execz .LBB717_566
; %bb.561:
	v_lshrrev_b32_e32 v10, 24, v12
	s_movk_i32 s3, 0x80
	v_cmp_ne_u32_e32 vcc, s3, v10
	v_mov_b32_e32 v20, 0xffff8000
	s_and_saveexec_b64 s[6:7], vcc
	s_cbranch_execz .LBB717_565
; %bb.562:
	v_bfe_u32 v16, v12, 24, 7
	s_movk_i32 s3, 0x7f
	v_cmp_ne_u32_e32 vcc, s3, v16
	v_mov_b32_e32 v20, 0x7f80
	s_and_saveexec_b64 s[8:9], vcc
	s_cbranch_execz .LBB717_564
; %bb.563:
	v_and_b32_e32 v22, 7, v10
	v_ffbh_u32_e32 v20, v22
	v_min_u32_e32 v24, 32, v20
	v_subrev_u32_e32 v20, 28, v24
	v_lshlrev_b64 v[20:21], v20, v[10:11]
	v_lshrrev_b32_e32 v23, 3, v16
	v_sub_u32_e32 v21, 29, v24
	v_and_b32_e32 v20, 7, v20
	v_cmp_gt_u32_e32 vcc, 8, v16
	v_cndmask_b32_e32 v16, v23, v21, vcc
	v_cndmask_b32_e32 v20, v22, v20, vcc
	v_lshlrev_b32_e32 v10, 24, v10
	v_bfrev_b32_e32 v21, 60
	v_lshlrev_b32_e32 v20, 20, v20
	v_and_b32_e32 v10, 0x80000000, v10
	v_lshl_add_u32 v16, v16, 23, v21
	v_or3_b32 v10, v10, v16, v20
	v_lshrrev_b32_e32 v20, 16, v10
.LBB717_564:
	s_or_b64 exec, exec, s[8:9]
.LBB717_565:
	s_or_b64 exec, exec, s[6:7]
.LBB717_566:
	s_or_b64 exec, exec, s[0:1]
	v_mov_b32_e32 v21, 0
	v_mov_b32_e32 v10, v13
	v_cmp_ne_u16_sdwa s[6:7], v13, v21 src0_sel:BYTE_0 src1_sel:DWORD
	v_mov_b32_e32 v22, 0
	s_and_saveexec_b64 s[0:1], s[6:7]
	s_cbranch_execz .LBB717_572
; %bb.567:
	s_movk_i32 s3, 0x80
	v_cmp_ne_u16_sdwa s[8:9], v13, s3 src0_sel:BYTE_0 src1_sel:DWORD
	v_mov_b32_e32 v22, 0xffff8000
	s_and_saveexec_b64 s[6:7], s[8:9]
	s_cbranch_execz .LBB717_571
; %bb.568:
	s_movk_i32 s3, 0x7f
	v_and_b32_e32 v16, 0x7f, v13
	v_cmp_ne_u32_e32 vcc, s3, v16
	v_mov_b32_e32 v22, 0x7f80
	s_and_saveexec_b64 s[8:9], vcc
	s_cbranch_execz .LBB717_570
; %bb.569:
	v_and_b32_e32 v22, 7, v13
	v_ffbh_u32_e32 v22, v22
	v_min_u32_e32 v22, 32, v22
	v_lshrrev_b32_e32 v23, 3, v16
	v_subrev_u32_e32 v24, 28, v22
	v_sub_u32_e32 v22, 29, v22
	v_cmp_gt_u32_e32 vcc, 8, v16
	v_cndmask_b32_e32 v16, v23, v22, vcc
	v_cndmask_b32_e32 v22, 0, v24, vcc
	v_lshlrev_b64 v[22:23], v22, v[10:11]
	v_lshlrev_b32_e32 v11, 20, v22
	v_lshlrev_b32_e32 v22, 24, v10
	v_bfrev_b32_e32 v23, 60
	v_and_b32_e32 v11, 0x700000, v11
	v_and_b32_e32 v22, 0x80000000, v22
	v_lshl_add_u32 v16, v16, 23, v23
	v_or3_b32 v11, v22, v16, v11
	v_lshrrev_b32_e32 v22, 16, v11
.LBB717_570:
	s_or_b64 exec, exec, s[8:9]
.LBB717_571:
	s_or_b64 exec, exec, s[6:7]
.LBB717_572:
	s_or_b64 exec, exec, s[0:1]
	v_lshrrev_b16_e32 v16, 8, v10
	v_cmp_ne_u16_e32 vcc, 0, v16
	s_and_saveexec_b64 s[0:1], vcc
	s_cbranch_execz .LBB717_578
; %bb.573:
	s_movk_i32 s3, 0x80
	v_cmp_ne_u16_e32 vcc, s3, v16
	v_mov_b32_e32 v21, 0xffff8000
	s_and_saveexec_b64 s[6:7], vcc
	s_cbranch_execz .LBB717_577
; %bb.574:
	s_movk_i32 s3, 0x7f
	v_and_b32_e32 v11, 0x7f, v16
	v_cmp_ne_u32_e32 vcc, s3, v11
	v_mov_b32_e32 v21, 0x7f80
	s_and_saveexec_b64 s[8:9], vcc
	s_cbranch_execz .LBB717_576
; %bb.575:
	v_and_b32_e32 v21, 7, v16
	v_ffbh_u32_e32 v24, v21
	v_min_u32_e32 v26, 32, v24
	v_subrev_u32_e32 v24, 28, v26
	v_lshlrev_b64 v[24:25], v24, v[16:17]
	v_lshrrev_b32_e32 v23, 3, v11
	v_sub_u32_e32 v16, 29, v26
	v_and_b32_e32 v24, 7, v24
	v_cmp_gt_u32_e32 vcc, 8, v11
	v_cndmask_b32_e32 v11, v23, v16, vcc
	v_cndmask_b32_e32 v16, v21, v24, vcc
	v_lshlrev_b32_e32 v10, 16, v10
	v_bfrev_b32_e32 v21, 60
	v_lshlrev_b32_e32 v16, 20, v16
	v_and_b32_e32 v10, 0x80000000, v10
	v_lshl_add_u32 v11, v11, 23, v21
	v_or3_b32 v10, v10, v11, v16
	v_lshrrev_b32_e32 v21, 16, v10
.LBB717_576:
	s_or_b64 exec, exec, s[8:9]
.LBB717_577:
	s_or_b64 exec, exec, s[6:7]
.LBB717_578:
	s_or_b64 exec, exec, s[0:1]
	s_movk_i32 s0, 0xff
	v_and_b32_sdwa v23, v13, s0 dst_sel:DWORD dst_unused:UNUSED_PAD src0_sel:WORD_1 src1_sel:DWORD
	v_lshrrev_b32_e32 v10, 16, v13
	v_cmp_ne_u16_e32 vcc, 0, v23
	v_mov_b32_e32 v11, 0
	v_mov_b32_e32 v16, 0
	s_and_saveexec_b64 s[0:1], vcc
	s_cbranch_execz .LBB717_584
; %bb.579:
	s_movk_i32 s3, 0x80
	v_cmp_ne_u16_e32 vcc, s3, v23
	v_mov_b32_e32 v16, 0xffff8000
	s_and_saveexec_b64 s[6:7], vcc
	s_cbranch_execz .LBB717_583
; %bb.580:
	v_bfe_u32 v23, v13, 16, 7
	s_movk_i32 s3, 0x7f
	v_cmp_ne_u32_e32 vcc, s3, v23
	v_mov_b32_e32 v16, 0x7f80
	s_and_saveexec_b64 s[8:9], vcc
	s_cbranch_execz .LBB717_582
; %bb.581:
	v_and_b32_e32 v16, 7, v10
	v_ffbh_u32_e32 v24, v16
	v_min_u32_e32 v27, 32, v24
	v_subrev_u32_e32 v24, 28, v27
	v_lshlrev_b64 v[24:25], v24, v[10:11]
	v_lshrrev_b32_e32 v26, 3, v23
	v_sub_u32_e32 v10, 29, v27
	v_and_b32_e32 v24, 7, v24
	v_cmp_gt_u32_e32 vcc, 8, v23
	v_mov_b32_e32 v23, 24
	v_cndmask_b32_e32 v10, v26, v10, vcc
	v_cndmask_b32_e32 v16, v16, v24, vcc
	v_lshlrev_b32_sdwa v23, v23, v13 dst_sel:DWORD dst_unused:UNUSED_PAD src0_sel:DWORD src1_sel:WORD_1
	v_bfrev_b32_e32 v24, 60
	v_lshlrev_b32_e32 v16, 20, v16
	v_and_b32_e32 v23, 0x80000000, v23
	v_lshl_add_u32 v10, v10, 23, v24
	v_or3_b32 v10, v23, v10, v16
	v_lshrrev_b32_e32 v16, 16, v10
.LBB717_582:
	s_or_b64 exec, exec, s[8:9]
.LBB717_583:
	s_or_b64 exec, exec, s[6:7]
.LBB717_584:
	s_or_b64 exec, exec, s[0:1]
	s_mov_b32 s0, -1
	s_mov_b32 s1, 0xffffff
	v_cmp_lt_u64_e32 vcc, s[0:1], v[12:13]
	s_and_saveexec_b64 s[0:1], vcc
	s_cbranch_execz .LBB717_590
; %bb.585:
	v_lshrrev_b32_e32 v10, 24, v13
	s_movk_i32 s3, 0x80
	v_cmp_ne_u32_e32 vcc, s3, v10
	v_mov_b32_e32 v11, 0xffff8000
	s_and_saveexec_b64 s[6:7], vcc
	s_cbranch_execz .LBB717_589
; %bb.586:
	v_bfe_u32 v12, v13, 24, 7
	s_movk_i32 s3, 0x7f
	v_cmp_ne_u32_e32 vcc, s3, v12
	v_mov_b32_e32 v11, 0x7f80
	s_and_saveexec_b64 s[8:9], vcc
	s_cbranch_execz .LBB717_588
; %bb.587:
	v_and_b32_e32 v11, 7, v10
	v_ffbh_u32_e32 v23, v11
	v_min_u32_e32 v23, 32, v23
	v_subrev_u32_e32 v24, 28, v23
	v_lshlrev_b64 v[24:25], v24, v[10:11]
	v_lshrrev_b32_e32 v13, 3, v12
	v_sub_u32_e32 v23, 29, v23
	v_and_b32_e32 v24, 7, v24
	v_cmp_gt_u32_e32 vcc, 8, v12
	v_cndmask_b32_e32 v12, v13, v23, vcc
	v_cndmask_b32_e32 v11, v11, v24, vcc
	v_lshlrev_b32_e32 v10, 24, v10
	v_bfrev_b32_e32 v13, 60
	v_lshlrev_b32_e32 v11, 20, v11
	v_and_b32_e32 v10, 0x80000000, v10
	v_lshl_add_u32 v12, v12, 23, v13
	v_or3_b32 v10, v10, v12, v11
	v_lshrrev_b32_e32 v11, 16, v10
.LBB717_588:
	s_or_b64 exec, exec, s[8:9]
.LBB717_589:
	s_or_b64 exec, exec, s[6:7]
.LBB717_590:
	s_or_b64 exec, exec, s[0:1]
	s_mov_b32 s0, 0x5040100
	v_perm_b32 v13, v20, v19, s0
	v_perm_b32 v12, v17, v18, s0
	;; [unrolled: 1-line block ×4, first 2 shown]
	v_mfma_f32_4x4x4bf16_1k a[0:3], v[14:15], v[12:13], a[0:3] cbsz:4 abid:6
	v_mov_b32_e32 v13, 0
	v_mfma_f32_4x4x4bf16_1k a[0:3], v[14:15], v[10:11], a[0:3] cbsz:4 abid:7
	s_waitcnt vmcnt(2)
	v_cmp_ne_u16_sdwa s[6:7], v6, v13 src0_sel:BYTE_0 src1_sel:DWORD
	v_mov_b32_e32 v16, 0
	s_and_saveexec_b64 s[0:1], s[6:7]
	s_cbranch_execz .LBB717_596
; %bb.591:
	s_movk_i32 s3, 0x80
	v_cmp_ne_u16_sdwa s[8:9], v6, s3 src0_sel:BYTE_0 src1_sel:DWORD
	v_mov_b32_e32 v16, 0xffff8000
	s_and_saveexec_b64 s[6:7], s[8:9]
	s_cbranch_execz .LBB717_595
; %bb.592:
	s_movk_i32 s3, 0x7f
	v_and_b32_e32 v10, 0x7f, v6
	v_cmp_ne_u32_e32 vcc, s3, v10
	v_mov_b32_e32 v16, 0x7f80
	s_and_saveexec_b64 s[8:9], vcc
	s_cbranch_execz .LBB717_594
; %bb.593:
	v_and_b32_e32 v11, 7, v6
	v_ffbh_u32_e32 v11, v11
	v_min_u32_e32 v11, 32, v11
	v_subrev_u32_e32 v16, 28, v11
	v_cmp_gt_u32_e32 vcc, 8, v10
	v_lshrrev_b32_e32 v12, 3, v10
	v_sub_u32_e32 v11, 29, v11
	v_cndmask_b32_e32 v10, 0, v16, vcc
	v_cndmask_b32_e32 v12, v12, v11, vcc
	v_lshlrev_b64 v[10:11], v10, v[6:7]
	v_lshlrev_b32_e32 v10, 20, v10
	v_lshlrev_b32_e32 v11, 24, v6
	v_bfrev_b32_e32 v16, 60
	v_and_b32_e32 v10, 0x700000, v10
	v_and_b32_e32 v11, 0x80000000, v11
	v_lshl_add_u32 v12, v12, 23, v16
	v_or3_b32 v10, v11, v12, v10
	v_lshrrev_b32_e32 v16, 16, v10
.LBB717_594:
	s_or_b64 exec, exec, s[8:9]
.LBB717_595:
	s_or_b64 exec, exec, s[6:7]
.LBB717_596:
	s_or_b64 exec, exec, s[0:1]
	v_lshrrev_b16_e32 v10, 8, v6
	v_cmp_ne_u16_e32 vcc, 0, v10
	s_and_saveexec_b64 s[0:1], vcc
	s_cbranch_execz .LBB717_602
; %bb.597:
	s_movk_i32 s3, 0x80
	v_cmp_ne_u16_e32 vcc, s3, v10
	v_mov_b32_e32 v13, 0xffff8000
	s_and_saveexec_b64 s[6:7], vcc
	s_cbranch_execz .LBB717_601
; %bb.598:
	s_movk_i32 s3, 0x7f
	v_and_b32_e32 v11, 0x7f, v10
	v_cmp_ne_u32_e32 vcc, s3, v11
	v_mov_b32_e32 v13, 0x7f80
	s_and_saveexec_b64 s[8:9], vcc
	s_cbranch_execz .LBB717_600
; %bb.599:
	v_and_b32_e32 v17, 7, v10
	v_ffbh_u32_e32 v12, v17
	v_min_u32_e32 v19, 32, v12
	v_subrev_u32_e32 v12, 28, v19
	v_lshlrev_b64 v[12:13], v12, v[10:11]
	v_lshrrev_b32_e32 v18, 3, v11
	v_sub_u32_e32 v10, 29, v19
	v_and_b32_e32 v12, 7, v12
	v_cmp_gt_u32_e32 vcc, 8, v11
	v_cndmask_b32_e32 v10, v18, v10, vcc
	v_cndmask_b32_e32 v11, v17, v12, vcc
	v_lshlrev_b32_e32 v12, 16, v6
	v_bfrev_b32_e32 v13, 60
	v_lshlrev_b32_e32 v11, 20, v11
	v_and_b32_e32 v12, 0x80000000, v12
	v_lshl_add_u32 v10, v10, 23, v13
	v_or3_b32 v10, v12, v10, v11
	v_lshrrev_b32_e32 v13, 16, v10
.LBB717_600:
	s_or_b64 exec, exec, s[8:9]
.LBB717_601:
	s_or_b64 exec, exec, s[6:7]
.LBB717_602:
	s_or_b64 exec, exec, s[0:1]
	s_movk_i32 s0, 0xff
	v_and_b32_sdwa v12, v6, s0 dst_sel:DWORD dst_unused:UNUSED_PAD src0_sel:WORD_1 src1_sel:DWORD
	v_lshrrev_b32_e32 v10, 16, v6
	v_cmp_ne_u16_e32 vcc, 0, v12
	v_mov_b32_e32 v11, 0
	v_mov_b32_e32 v17, 0
	s_and_saveexec_b64 s[0:1], vcc
	s_cbranch_execz .LBB717_608
; %bb.603:
	s_movk_i32 s3, 0x80
	v_cmp_ne_u16_e32 vcc, s3, v12
	v_mov_b32_e32 v17, 0xffff8000
	s_and_saveexec_b64 s[6:7], vcc
	s_cbranch_execz .LBB717_607
; %bb.604:
	v_bfe_u32 v12, v6, 16, 7
	s_movk_i32 s3, 0x7f
	v_cmp_ne_u32_e32 vcc, s3, v12
	v_mov_b32_e32 v17, 0x7f80
	s_and_saveexec_b64 s[8:9], vcc
	s_cbranch_execz .LBB717_606
; %bb.605:
	v_and_b32_e32 v17, 7, v10
	v_ffbh_u32_e32 v18, v17
	v_min_u32_e32 v21, 32, v18
	v_subrev_u32_e32 v18, 28, v21
	v_lshlrev_b64 v[18:19], v18, v[10:11]
	v_and_b32_e32 v18, 7, v18
	v_cmp_gt_u32_e32 vcc, 8, v12
	v_lshrrev_b32_e32 v20, 3, v12
	v_sub_u32_e32 v10, 29, v21
	v_cndmask_b32_e32 v12, v17, v18, vcc
	v_mov_b32_e32 v17, 24
	v_cndmask_b32_e32 v10, v20, v10, vcc
	v_lshlrev_b32_sdwa v17, v17, v6 dst_sel:DWORD dst_unused:UNUSED_PAD src0_sel:DWORD src1_sel:WORD_1
	v_bfrev_b32_e32 v18, 60
	v_lshlrev_b32_e32 v12, 20, v12
	v_and_b32_e32 v17, 0x80000000, v17
	v_lshl_add_u32 v10, v10, 23, v18
	v_or3_b32 v10, v17, v10, v12
	v_lshrrev_b32_e32 v17, 16, v10
.LBB717_606:
	s_or_b64 exec, exec, s[8:9]
.LBB717_607:
	s_or_b64 exec, exec, s[6:7]
.LBB717_608:
	s_or_b64 exec, exec, s[0:1]
	s_mov_b32 s0, 0xffffff
	v_cmp_lt_u32_e32 vcc, s0, v6
	v_mov_b32_e32 v18, 0
	s_and_saveexec_b64 s[0:1], vcc
	s_cbranch_execz .LBB717_614
; %bb.609:
	v_lshrrev_b32_e32 v10, 24, v6
	s_movk_i32 s3, 0x80
	v_cmp_ne_u32_e32 vcc, s3, v10
	v_mov_b32_e32 v18, 0xffff8000
	s_and_saveexec_b64 s[6:7], vcc
	s_cbranch_execz .LBB717_613
; %bb.610:
	v_bfe_u32 v12, v6, 24, 7
	s_movk_i32 s3, 0x7f
	v_cmp_ne_u32_e32 vcc, s3, v12
	v_mov_b32_e32 v18, 0x7f80
	s_and_saveexec_b64 s[8:9], vcc
	s_cbranch_execz .LBB717_612
; %bb.611:
	v_and_b32_e32 v20, 7, v10
	v_ffbh_u32_e32 v18, v20
	v_min_u32_e32 v22, 32, v18
	v_subrev_u32_e32 v18, 28, v22
	v_lshlrev_b64 v[18:19], v18, v[10:11]
	v_lshrrev_b32_e32 v21, 3, v12
	v_sub_u32_e32 v19, 29, v22
	v_and_b32_e32 v18, 7, v18
	v_cmp_gt_u32_e32 vcc, 8, v12
	v_cndmask_b32_e32 v12, v21, v19, vcc
	v_cndmask_b32_e32 v18, v20, v18, vcc
	v_lshlrev_b32_e32 v10, 24, v10
	v_bfrev_b32_e32 v19, 60
	v_lshlrev_b32_e32 v18, 20, v18
	v_and_b32_e32 v10, 0x80000000, v10
	v_lshl_add_u32 v12, v12, 23, v19
	v_or3_b32 v10, v10, v12, v18
	v_lshrrev_b32_e32 v18, 16, v10
.LBB717_612:
	s_or_b64 exec, exec, s[8:9]
.LBB717_613:
	s_or_b64 exec, exec, s[6:7]
.LBB717_614:
	s_or_b64 exec, exec, s[0:1]
	v_mov_b32_e32 v19, 0
	v_mov_b32_e32 v10, v7
	v_cmp_ne_u16_sdwa s[6:7], v7, v19 src0_sel:BYTE_0 src1_sel:DWORD
	v_mov_b32_e32 v20, 0
	s_and_saveexec_b64 s[0:1], s[6:7]
	s_cbranch_execz .LBB717_620
; %bb.615:
	s_movk_i32 s3, 0x80
	v_cmp_ne_u16_sdwa s[8:9], v7, s3 src0_sel:BYTE_0 src1_sel:DWORD
	v_mov_b32_e32 v20, 0xffff8000
	s_and_saveexec_b64 s[6:7], s[8:9]
	s_cbranch_execz .LBB717_619
; %bb.616:
	s_movk_i32 s3, 0x7f
	v_and_b32_e32 v12, 0x7f, v7
	v_cmp_ne_u32_e32 vcc, s3, v12
	v_mov_b32_e32 v20, 0x7f80
	s_and_saveexec_b64 s[8:9], vcc
	s_cbranch_execz .LBB717_618
; %bb.617:
	v_and_b32_e32 v20, 7, v7
	v_ffbh_u32_e32 v20, v20
	v_min_u32_e32 v20, 32, v20
	v_lshrrev_b32_e32 v21, 3, v12
	v_subrev_u32_e32 v22, 28, v20
	v_sub_u32_e32 v20, 29, v20
	v_cmp_gt_u32_e32 vcc, 8, v12
	v_cndmask_b32_e32 v12, v21, v20, vcc
	v_cndmask_b32_e32 v20, 0, v22, vcc
	v_lshlrev_b64 v[20:21], v20, v[10:11]
	v_lshlrev_b32_e32 v11, 20, v20
	v_lshlrev_b32_e32 v20, 24, v10
	v_bfrev_b32_e32 v21, 60
	v_and_b32_e32 v11, 0x700000, v11
	v_and_b32_e32 v20, 0x80000000, v20
	v_lshl_add_u32 v12, v12, 23, v21
	v_or3_b32 v11, v20, v12, v11
	v_lshrrev_b32_e32 v20, 16, v11
.LBB717_618:
	s_or_b64 exec, exec, s[8:9]
.LBB717_619:
	s_or_b64 exec, exec, s[6:7]
.LBB717_620:
	s_or_b64 exec, exec, s[0:1]
	v_lshrrev_b16_e32 v12, 8, v10
	v_cmp_ne_u16_e32 vcc, 0, v12
	s_and_saveexec_b64 s[0:1], vcc
	s_cbranch_execz .LBB717_626
; %bb.621:
	s_movk_i32 s3, 0x80
	v_cmp_ne_u16_e32 vcc, s3, v12
	v_mov_b32_e32 v19, 0xffff8000
	s_and_saveexec_b64 s[6:7], vcc
	s_cbranch_execz .LBB717_625
; %bb.622:
	s_movk_i32 s3, 0x7f
	v_and_b32_e32 v11, 0x7f, v12
	v_cmp_ne_u32_e32 vcc, s3, v11
	v_mov_b32_e32 v19, 0x7f80
	s_and_saveexec_b64 s[8:9], vcc
	s_cbranch_execz .LBB717_624
; %bb.623:
	v_and_b32_e32 v19, 7, v12
	v_ffbh_u32_e32 v22, v19
	v_min_u32_e32 v24, 32, v22
	v_subrev_u32_e32 v22, 28, v24
	v_lshlrev_b64 v[22:23], v22, v[12:13]
	v_lshrrev_b32_e32 v21, 3, v11
	v_sub_u32_e32 v12, 29, v24
	v_and_b32_e32 v22, 7, v22
	v_cmp_gt_u32_e32 vcc, 8, v11
	v_cndmask_b32_e32 v11, v21, v12, vcc
	v_cndmask_b32_e32 v12, v19, v22, vcc
	v_lshlrev_b32_e32 v10, 16, v10
	v_bfrev_b32_e32 v19, 60
	v_lshlrev_b32_e32 v12, 20, v12
	v_and_b32_e32 v10, 0x80000000, v10
	v_lshl_add_u32 v11, v11, 23, v19
	v_or3_b32 v10, v10, v11, v12
	v_lshrrev_b32_e32 v19, 16, v10
.LBB717_624:
	s_or_b64 exec, exec, s[8:9]
.LBB717_625:
	s_or_b64 exec, exec, s[6:7]
.LBB717_626:
	s_or_b64 exec, exec, s[0:1]
	s_movk_i32 s0, 0xff
	v_and_b32_sdwa v21, v7, s0 dst_sel:DWORD dst_unused:UNUSED_PAD src0_sel:WORD_1 src1_sel:DWORD
	v_lshrrev_b32_e32 v10, 16, v7
	v_cmp_ne_u16_e32 vcc, 0, v21
	v_mov_b32_e32 v11, 0
	v_mov_b32_e32 v12, 0
	s_and_saveexec_b64 s[0:1], vcc
	s_cbranch_execz .LBB717_632
; %bb.627:
	s_movk_i32 s3, 0x80
	v_cmp_ne_u16_e32 vcc, s3, v21
	v_mov_b32_e32 v12, 0xffff8000
	s_and_saveexec_b64 s[6:7], vcc
	s_cbranch_execz .LBB717_631
; %bb.628:
	v_bfe_u32 v21, v7, 16, 7
	s_movk_i32 s3, 0x7f
	v_cmp_ne_u32_e32 vcc, s3, v21
	v_mov_b32_e32 v12, 0x7f80
	s_and_saveexec_b64 s[8:9], vcc
	s_cbranch_execz .LBB717_630
; %bb.629:
	v_and_b32_e32 v12, 7, v10
	v_ffbh_u32_e32 v22, v12
	v_min_u32_e32 v25, 32, v22
	v_subrev_u32_e32 v22, 28, v25
	v_lshlrev_b64 v[22:23], v22, v[10:11]
	v_lshrrev_b32_e32 v24, 3, v21
	v_sub_u32_e32 v10, 29, v25
	v_and_b32_e32 v22, 7, v22
	v_cmp_gt_u32_e32 vcc, 8, v21
	v_mov_b32_e32 v21, 24
	v_cndmask_b32_e32 v10, v24, v10, vcc
	v_cndmask_b32_e32 v12, v12, v22, vcc
	v_lshlrev_b32_sdwa v21, v21, v7 dst_sel:DWORD dst_unused:UNUSED_PAD src0_sel:DWORD src1_sel:WORD_1
	v_bfrev_b32_e32 v22, 60
	v_lshlrev_b32_e32 v12, 20, v12
	v_and_b32_e32 v21, 0x80000000, v21
	v_lshl_add_u32 v10, v10, 23, v22
	v_or3_b32 v10, v21, v10, v12
	v_lshrrev_b32_e32 v12, 16, v10
.LBB717_630:
	s_or_b64 exec, exec, s[8:9]
.LBB717_631:
	s_or_b64 exec, exec, s[6:7]
.LBB717_632:
	s_or_b64 exec, exec, s[0:1]
	s_mov_b32 s0, -1
	s_mov_b32 s1, 0xffffff
	v_cmp_lt_u64_e32 vcc, s[0:1], v[6:7]
	s_and_saveexec_b64 s[0:1], vcc
	s_cbranch_execz .LBB717_638
; %bb.633:
	v_lshrrev_b32_e32 v6, 24, v7
	s_movk_i32 s3, 0x80
	v_cmp_ne_u32_e32 vcc, s3, v6
	v_mov_b32_e32 v11, 0xffff8000
	s_and_saveexec_b64 s[6:7], vcc
	s_cbranch_execz .LBB717_637
; %bb.634:
	v_bfe_u32 v7, v7, 24, 7
	s_movk_i32 s3, 0x7f
	v_cmp_ne_u32_e32 vcc, s3, v7
	v_mov_b32_e32 v11, 0x7f80
	s_and_saveexec_b64 s[8:9], vcc
	s_cbranch_execz .LBB717_636
; %bb.635:
	v_and_b32_e32 v21, 7, v6
	v_ffbh_u32_e32 v10, v21
	v_min_u32_e32 v23, 32, v10
	v_subrev_u32_e32 v10, 28, v23
	v_lshlrev_b64 v[10:11], v10, v[6:7]
	v_lshrrev_b32_e32 v22, 3, v7
	v_sub_u32_e32 v11, 29, v23
	v_and_b32_e32 v10, 7, v10
	v_cmp_gt_u32_e32 vcc, 8, v7
	v_cndmask_b32_e32 v7, v22, v11, vcc
	v_cndmask_b32_e32 v10, v21, v10, vcc
	v_lshlrev_b32_e32 v6, 24, v6
	v_bfrev_b32_e32 v11, 60
	v_lshlrev_b32_e32 v10, 20, v10
	v_and_b32_e32 v6, 0x80000000, v6
	v_lshl_add_u32 v7, v7, 23, v11
	v_or3_b32 v6, v6, v7, v10
	v_lshrrev_b32_e32 v11, 16, v6
.LBB717_636:
	s_or_b64 exec, exec, s[8:9]
.LBB717_637:
	s_or_b64 exec, exec, s[6:7]
.LBB717_638:
	s_or_b64 exec, exec, s[0:1]
	s_mov_b32 s0, 0x5040100
	v_perm_b32 v7, v18, v17, s0
	v_perm_b32 v6, v13, v16, s0
	;; [unrolled: 1-line block ×4, first 2 shown]
	v_mfma_f32_4x4x4bf16_1k a[0:3], v[14:15], v[6:7], a[0:3] cbsz:4 abid:8
	v_mov_b32_e32 v12, 0
	v_mfma_f32_4x4x4bf16_1k a[0:3], v[14:15], v[10:11], a[0:3] cbsz:4 abid:9
	v_mov_b32_e32 v11, 0
	v_cmp_ne_u16_sdwa s[6:7], v8, v11 src0_sel:BYTE_0 src1_sel:DWORD
	s_and_saveexec_b64 s[0:1], s[6:7]
	s_cbranch_execz .LBB717_644
; %bb.639:
	s_movk_i32 s3, 0x80
	v_cmp_ne_u16_sdwa s[8:9], v8, s3 src0_sel:BYTE_0 src1_sel:DWORD
	v_mov_b32_e32 v12, 0xffff8000
	s_and_saveexec_b64 s[6:7], s[8:9]
	s_cbranch_execz .LBB717_643
; %bb.640:
	s_movk_i32 s3, 0x7f
	v_and_b32_e32 v6, 0x7f, v8
	v_cmp_ne_u32_e32 vcc, s3, v6
	v_mov_b32_e32 v12, 0x7f80
	s_and_saveexec_b64 s[8:9], vcc
	s_cbranch_execz .LBB717_642
; %bb.641:
	v_and_b32_e32 v7, 7, v8
	v_ffbh_u32_e32 v7, v7
	v_min_u32_e32 v7, 32, v7
	v_subrev_u32_e32 v12, 28, v7
	v_cmp_gt_u32_e32 vcc, 8, v6
	v_lshrrev_b32_e32 v10, 3, v6
	v_sub_u32_e32 v7, 29, v7
	v_cndmask_b32_e32 v6, 0, v12, vcc
	v_cndmask_b32_e32 v10, v10, v7, vcc
	v_lshlrev_b64 v[6:7], v6, v[8:9]
	v_lshlrev_b32_e32 v6, 20, v6
	v_lshlrev_b32_e32 v7, 24, v8
	v_bfrev_b32_e32 v12, 60
	v_and_b32_e32 v6, 0x700000, v6
	v_and_b32_e32 v7, 0x80000000, v7
	v_lshl_add_u32 v10, v10, 23, v12
	v_or3_b32 v6, v7, v10, v6
	v_lshrrev_b32_e32 v12, 16, v6
.LBB717_642:
	s_or_b64 exec, exec, s[8:9]
.LBB717_643:
	s_or_b64 exec, exec, s[6:7]
.LBB717_644:
	s_or_b64 exec, exec, s[0:1]
	v_lshrrev_b16_e32 v6, 8, v8
	v_cmp_ne_u16_e32 vcc, 0, v6
	s_and_saveexec_b64 s[0:1], vcc
	s_cbranch_execz .LBB717_650
; %bb.645:
	s_movk_i32 s3, 0x80
	v_cmp_ne_u16_e32 vcc, s3, v6
	v_mov_b32_e32 v11, 0xffff8000
	s_and_saveexec_b64 s[6:7], vcc
	s_cbranch_execz .LBB717_649
; %bb.646:
	s_movk_i32 s3, 0x7f
	v_and_b32_e32 v7, 0x7f, v6
	v_cmp_ne_u32_e32 vcc, s3, v7
	v_mov_b32_e32 v11, 0x7f80
	s_and_saveexec_b64 s[8:9], vcc
	s_cbranch_execz .LBB717_648
; %bb.647:
	v_and_b32_e32 v13, 7, v6
	v_ffbh_u32_e32 v10, v13
	v_min_u32_e32 v17, 32, v10
	v_subrev_u32_e32 v10, 28, v17
	v_lshlrev_b64 v[10:11], v10, v[6:7]
	v_lshrrev_b32_e32 v16, 3, v7
	v_sub_u32_e32 v6, 29, v17
	v_and_b32_e32 v10, 7, v10
	v_cmp_gt_u32_e32 vcc, 8, v7
	v_cndmask_b32_e32 v6, v16, v6, vcc
	v_cndmask_b32_e32 v7, v13, v10, vcc
	v_lshlrev_b32_e32 v10, 16, v8
	v_bfrev_b32_e32 v11, 60
	v_lshlrev_b32_e32 v7, 20, v7
	v_and_b32_e32 v10, 0x80000000, v10
	v_lshl_add_u32 v6, v6, 23, v11
	v_or3_b32 v6, v10, v6, v7
	v_lshrrev_b32_e32 v11, 16, v6
.LBB717_648:
	s_or_b64 exec, exec, s[8:9]
.LBB717_649:
	s_or_b64 exec, exec, s[6:7]
.LBB717_650:
	s_or_b64 exec, exec, s[0:1]
	s_movk_i32 s0, 0xff
	v_and_b32_sdwa v10, v8, s0 dst_sel:DWORD dst_unused:UNUSED_PAD src0_sel:WORD_1 src1_sel:DWORD
	v_lshrrev_b32_e32 v6, 16, v8
	v_cmp_ne_u16_e32 vcc, 0, v10
	v_mov_b32_e32 v7, 0
	v_mov_b32_e32 v13, 0
	s_and_saveexec_b64 s[0:1], vcc
	s_cbranch_execz .LBB717_656
; %bb.651:
	s_movk_i32 s3, 0x80
	v_cmp_ne_u16_e32 vcc, s3, v10
	v_mov_b32_e32 v13, 0xffff8000
	s_and_saveexec_b64 s[6:7], vcc
	s_cbranch_execz .LBB717_655
; %bb.652:
	v_bfe_u32 v10, v8, 16, 7
	s_movk_i32 s3, 0x7f
	v_cmp_ne_u32_e32 vcc, s3, v10
	v_mov_b32_e32 v13, 0x7f80
	s_and_saveexec_b64 s[8:9], vcc
	s_cbranch_execz .LBB717_654
; %bb.653:
	v_and_b32_e32 v13, 7, v6
	v_ffbh_u32_e32 v16, v13
	v_min_u32_e32 v19, 32, v16
	v_subrev_u32_e32 v16, 28, v19
	v_lshlrev_b64 v[16:17], v16, v[6:7]
	v_and_b32_e32 v16, 7, v16
	v_cmp_gt_u32_e32 vcc, 8, v10
	v_lshrrev_b32_e32 v18, 3, v10
	v_sub_u32_e32 v6, 29, v19
	v_cndmask_b32_e32 v10, v13, v16, vcc
	v_mov_b32_e32 v13, 24
	v_cndmask_b32_e32 v6, v18, v6, vcc
	v_lshlrev_b32_sdwa v13, v13, v8 dst_sel:DWORD dst_unused:UNUSED_PAD src0_sel:DWORD src1_sel:WORD_1
	v_bfrev_b32_e32 v16, 60
	v_lshlrev_b32_e32 v10, 20, v10
	v_and_b32_e32 v13, 0x80000000, v13
	v_lshl_add_u32 v6, v6, 23, v16
	v_or3_b32 v6, v13, v6, v10
	v_lshrrev_b32_e32 v13, 16, v6
.LBB717_654:
	s_or_b64 exec, exec, s[8:9]
.LBB717_655:
	s_or_b64 exec, exec, s[6:7]
.LBB717_656:
	s_or_b64 exec, exec, s[0:1]
	s_mov_b32 s0, 0xffffff
	v_cmp_lt_u32_e32 vcc, s0, v8
	v_mov_b32_e32 v16, 0
	s_and_saveexec_b64 s[0:1], vcc
	s_cbranch_execz .LBB717_662
; %bb.657:
	v_lshrrev_b32_e32 v6, 24, v8
	s_movk_i32 s3, 0x80
	v_cmp_ne_u32_e32 vcc, s3, v6
	v_mov_b32_e32 v16, 0xffff8000
	s_and_saveexec_b64 s[6:7], vcc
	s_cbranch_execz .LBB717_661
; %bb.658:
	v_bfe_u32 v10, v8, 24, 7
	s_movk_i32 s3, 0x7f
	v_cmp_ne_u32_e32 vcc, s3, v10
	v_mov_b32_e32 v16, 0x7f80
	s_and_saveexec_b64 s[8:9], vcc
	s_cbranch_execz .LBB717_660
; %bb.659:
	v_and_b32_e32 v18, 7, v6
	v_ffbh_u32_e32 v16, v18
	v_min_u32_e32 v20, 32, v16
	v_subrev_u32_e32 v16, 28, v20
	v_lshlrev_b64 v[16:17], v16, v[6:7]
	v_lshrrev_b32_e32 v19, 3, v10
	v_sub_u32_e32 v17, 29, v20
	v_and_b32_e32 v16, 7, v16
	v_cmp_gt_u32_e32 vcc, 8, v10
	v_cndmask_b32_e32 v10, v19, v17, vcc
	v_cndmask_b32_e32 v16, v18, v16, vcc
	v_lshlrev_b32_e32 v6, 24, v6
	v_bfrev_b32_e32 v17, 60
	v_lshlrev_b32_e32 v16, 20, v16
	v_and_b32_e32 v6, 0x80000000, v6
	v_lshl_add_u32 v10, v10, 23, v17
	v_or3_b32 v6, v6, v10, v16
	v_lshrrev_b32_e32 v16, 16, v6
.LBB717_660:
	s_or_b64 exec, exec, s[8:9]
.LBB717_661:
	s_or_b64 exec, exec, s[6:7]
.LBB717_662:
	s_or_b64 exec, exec, s[0:1]
	v_mov_b32_e32 v17, 0
	v_mov_b32_e32 v6, v9
	v_cmp_ne_u16_sdwa s[6:7], v9, v17 src0_sel:BYTE_0 src1_sel:DWORD
	v_mov_b32_e32 v18, 0
	s_and_saveexec_b64 s[0:1], s[6:7]
	s_cbranch_execz .LBB717_668
; %bb.663:
	s_movk_i32 s3, 0x80
	v_cmp_ne_u16_sdwa s[8:9], v9, s3 src0_sel:BYTE_0 src1_sel:DWORD
	v_mov_b32_e32 v18, 0xffff8000
	s_and_saveexec_b64 s[6:7], s[8:9]
	s_cbranch_execz .LBB717_667
; %bb.664:
	s_movk_i32 s3, 0x7f
	v_and_b32_e32 v10, 0x7f, v9
	v_cmp_ne_u32_e32 vcc, s3, v10
	v_mov_b32_e32 v18, 0x7f80
	s_and_saveexec_b64 s[8:9], vcc
	s_cbranch_execz .LBB717_666
; %bb.665:
	v_and_b32_e32 v18, 7, v9
	v_ffbh_u32_e32 v18, v18
	v_min_u32_e32 v18, 32, v18
	v_lshrrev_b32_e32 v19, 3, v10
	v_subrev_u32_e32 v20, 28, v18
	v_sub_u32_e32 v18, 29, v18
	v_cmp_gt_u32_e32 vcc, 8, v10
	v_cndmask_b32_e32 v10, v19, v18, vcc
	v_cndmask_b32_e32 v18, 0, v20, vcc
	v_lshlrev_b64 v[18:19], v18, v[6:7]
	v_lshlrev_b32_e32 v7, 20, v18
	v_lshlrev_b32_e32 v18, 24, v6
	v_bfrev_b32_e32 v19, 60
	v_and_b32_e32 v7, 0x700000, v7
	v_and_b32_e32 v18, 0x80000000, v18
	v_lshl_add_u32 v10, v10, 23, v19
	v_or3_b32 v7, v18, v10, v7
	v_lshrrev_b32_e32 v18, 16, v7
.LBB717_666:
	s_or_b64 exec, exec, s[8:9]
.LBB717_667:
	s_or_b64 exec, exec, s[6:7]
.LBB717_668:
	s_or_b64 exec, exec, s[0:1]
	v_lshrrev_b16_e32 v10, 8, v6
	v_cmp_ne_u16_e32 vcc, 0, v10
	s_and_saveexec_b64 s[0:1], vcc
	s_cbranch_execz .LBB717_674
; %bb.669:
	s_movk_i32 s3, 0x80
	v_cmp_ne_u16_e32 vcc, s3, v10
	v_mov_b32_e32 v17, 0xffff8000
	s_and_saveexec_b64 s[6:7], vcc
	s_cbranch_execz .LBB717_673
; %bb.670:
	s_movk_i32 s3, 0x7f
	v_and_b32_e32 v7, 0x7f, v10
	v_cmp_ne_u32_e32 vcc, s3, v7
	v_mov_b32_e32 v17, 0x7f80
	s_and_saveexec_b64 s[8:9], vcc
	s_cbranch_execz .LBB717_672
; %bb.671:
	v_and_b32_e32 v17, 7, v10
	v_ffbh_u32_e32 v20, v17
	v_min_u32_e32 v22, 32, v20
	v_subrev_u32_e32 v20, 28, v22
	v_lshlrev_b64 v[20:21], v20, v[10:11]
	v_lshrrev_b32_e32 v19, 3, v7
	v_sub_u32_e32 v10, 29, v22
	v_and_b32_e32 v20, 7, v20
	v_cmp_gt_u32_e32 vcc, 8, v7
	v_cndmask_b32_e32 v7, v19, v10, vcc
	v_cndmask_b32_e32 v10, v17, v20, vcc
	v_lshlrev_b32_e32 v6, 16, v6
	v_bfrev_b32_e32 v17, 60
	v_lshlrev_b32_e32 v10, 20, v10
	v_and_b32_e32 v6, 0x80000000, v6
	v_lshl_add_u32 v7, v7, 23, v17
	v_or3_b32 v6, v6, v7, v10
	v_lshrrev_b32_e32 v17, 16, v6
.LBB717_672:
	s_or_b64 exec, exec, s[8:9]
.LBB717_673:
	s_or_b64 exec, exec, s[6:7]
.LBB717_674:
	s_or_b64 exec, exec, s[0:1]
	s_movk_i32 s0, 0xff
	v_and_b32_sdwa v19, v9, s0 dst_sel:DWORD dst_unused:UNUSED_PAD src0_sel:WORD_1 src1_sel:DWORD
	v_lshrrev_b32_e32 v6, 16, v9
	v_cmp_ne_u16_e32 vcc, 0, v19
	v_mov_b32_e32 v7, 0
	v_mov_b32_e32 v10, 0
	s_and_saveexec_b64 s[0:1], vcc
	s_cbranch_execz .LBB717_680
; %bb.675:
	s_movk_i32 s3, 0x80
	v_cmp_ne_u16_e32 vcc, s3, v19
	v_mov_b32_e32 v10, 0xffff8000
	s_and_saveexec_b64 s[6:7], vcc
	s_cbranch_execz .LBB717_679
; %bb.676:
	v_bfe_u32 v19, v9, 16, 7
	s_movk_i32 s3, 0x7f
	v_cmp_ne_u32_e32 vcc, s3, v19
	v_mov_b32_e32 v10, 0x7f80
	s_and_saveexec_b64 s[8:9], vcc
	s_cbranch_execz .LBB717_678
; %bb.677:
	v_and_b32_e32 v10, 7, v6
	v_ffbh_u32_e32 v20, v10
	v_min_u32_e32 v23, 32, v20
	v_subrev_u32_e32 v20, 28, v23
	v_lshlrev_b64 v[20:21], v20, v[6:7]
	v_lshrrev_b32_e32 v22, 3, v19
	v_sub_u32_e32 v6, 29, v23
	v_and_b32_e32 v20, 7, v20
	v_cmp_gt_u32_e32 vcc, 8, v19
	v_mov_b32_e32 v19, 24
	v_cndmask_b32_e32 v6, v22, v6, vcc
	v_cndmask_b32_e32 v10, v10, v20, vcc
	v_lshlrev_b32_sdwa v19, v19, v9 dst_sel:DWORD dst_unused:UNUSED_PAD src0_sel:DWORD src1_sel:WORD_1
	v_bfrev_b32_e32 v20, 60
	v_lshlrev_b32_e32 v10, 20, v10
	v_and_b32_e32 v19, 0x80000000, v19
	v_lshl_add_u32 v6, v6, 23, v20
	v_or3_b32 v6, v19, v6, v10
	v_lshrrev_b32_e32 v10, 16, v6
.LBB717_678:
	s_or_b64 exec, exec, s[8:9]
.LBB717_679:
	s_or_b64 exec, exec, s[6:7]
.LBB717_680:
	s_or_b64 exec, exec, s[0:1]
	s_mov_b32 s0, -1
	s_mov_b32 s1, 0xffffff
	v_cmp_lt_u64_e32 vcc, s[0:1], v[8:9]
	s_and_saveexec_b64 s[0:1], vcc
	s_cbranch_execz .LBB717_686
; %bb.681:
	v_lshrrev_b32_e32 v6, 24, v9
	s_movk_i32 s3, 0x80
	v_cmp_ne_u32_e32 vcc, s3, v6
	v_mov_b32_e32 v7, 0xffff8000
	s_and_saveexec_b64 s[6:7], vcc
	s_cbranch_execz .LBB717_685
; %bb.682:
	v_bfe_u32 v8, v9, 24, 7
	s_movk_i32 s3, 0x7f
	v_cmp_ne_u32_e32 vcc, s3, v8
	v_mov_b32_e32 v7, 0x7f80
	s_and_saveexec_b64 s[8:9], vcc
	s_cbranch_execz .LBB717_684
; %bb.683:
	v_and_b32_e32 v7, 7, v6
	v_ffbh_u32_e32 v19, v7
	v_min_u32_e32 v19, 32, v19
	v_subrev_u32_e32 v20, 28, v19
	v_lshlrev_b64 v[20:21], v20, v[6:7]
	v_lshrrev_b32_e32 v9, 3, v8
	v_sub_u32_e32 v19, 29, v19
	v_and_b32_e32 v20, 7, v20
	v_cmp_gt_u32_e32 vcc, 8, v8
	v_cndmask_b32_e32 v8, v9, v19, vcc
	v_cndmask_b32_e32 v7, v7, v20, vcc
	v_lshlrev_b32_e32 v6, 24, v6
	v_bfrev_b32_e32 v9, 60
	v_lshlrev_b32_e32 v7, 20, v7
	v_and_b32_e32 v6, 0x80000000, v6
	v_lshl_add_u32 v8, v8, 23, v9
	v_or3_b32 v6, v6, v8, v7
	v_lshrrev_b32_e32 v7, 16, v6
.LBB717_684:
	s_or_b64 exec, exec, s[8:9]
.LBB717_685:
	s_or_b64 exec, exec, s[6:7]
.LBB717_686:
	s_or_b64 exec, exec, s[0:1]
	s_mov_b32 s0, 0x5040100
	v_perm_b32 v9, v16, v13, s0
	v_perm_b32 v8, v11, v12, s0
	v_perm_b32 v7, v7, v10, s0
	v_perm_b32 v6, v17, v18, s0
	v_mfma_f32_4x4x4bf16_1k a[0:3], v[14:15], v[8:9], a[0:3] cbsz:4 abid:10
	v_mov_b32_e32 v9, 0
	v_mfma_f32_4x4x4bf16_1k a[0:3], v[14:15], v[6:7], a[0:3] cbsz:4 abid:11
	v_cmp_ne_u16_sdwa s[6:7], v2, v9 src0_sel:BYTE_0 src1_sel:DWORD
	v_mov_b32_e32 v10, 0
	s_and_saveexec_b64 s[0:1], s[6:7]
	s_cbranch_execz .LBB717_692
; %bb.687:
	s_movk_i32 s3, 0x80
	v_cmp_ne_u16_sdwa s[8:9], v2, s3 src0_sel:BYTE_0 src1_sel:DWORD
	v_mov_b32_e32 v10, 0xffff8000
	s_and_saveexec_b64 s[6:7], s[8:9]
	s_cbranch_execz .LBB717_691
; %bb.688:
	s_movk_i32 s3, 0x7f
	v_and_b32_e32 v6, 0x7f, v2
	v_cmp_ne_u32_e32 vcc, s3, v6
	v_mov_b32_e32 v10, 0x7f80
	s_and_saveexec_b64 s[8:9], vcc
	s_cbranch_execz .LBB717_690
; %bb.689:
	v_and_b32_e32 v7, 7, v2
	v_ffbh_u32_e32 v7, v7
	v_min_u32_e32 v7, 32, v7
	v_subrev_u32_e32 v10, 28, v7
	v_cmp_gt_u32_e32 vcc, 8, v6
	v_lshrrev_b32_e32 v8, 3, v6
	v_sub_u32_e32 v7, 29, v7
	v_cndmask_b32_e32 v6, 0, v10, vcc
	v_cndmask_b32_e32 v8, v8, v7, vcc
	v_lshlrev_b64 v[6:7], v6, v[2:3]
	v_lshlrev_b32_e32 v6, 20, v6
	v_lshlrev_b32_e32 v7, 24, v2
	v_bfrev_b32_e32 v10, 60
	v_and_b32_e32 v6, 0x700000, v6
	v_and_b32_e32 v7, 0x80000000, v7
	v_lshl_add_u32 v8, v8, 23, v10
	v_or3_b32 v6, v7, v8, v6
	v_lshrrev_b32_e32 v10, 16, v6
.LBB717_690:
	s_or_b64 exec, exec, s[8:9]
.LBB717_691:
	s_or_b64 exec, exec, s[6:7]
.LBB717_692:
	s_or_b64 exec, exec, s[0:1]
	v_lshrrev_b16_e32 v6, 8, v2
	v_cmp_ne_u16_e32 vcc, 0, v6
	s_and_saveexec_b64 s[0:1], vcc
	s_cbranch_execz .LBB717_698
; %bb.693:
	s_movk_i32 s3, 0x80
	v_cmp_ne_u16_e32 vcc, s3, v6
	v_mov_b32_e32 v9, 0xffff8000
	s_and_saveexec_b64 s[6:7], vcc
	s_cbranch_execz .LBB717_697
; %bb.694:
	s_movk_i32 s3, 0x7f
	v_and_b32_e32 v7, 0x7f, v6
	v_cmp_ne_u32_e32 vcc, s3, v7
	v_mov_b32_e32 v9, 0x7f80
	s_and_saveexec_b64 s[8:9], vcc
	s_cbranch_execz .LBB717_696
; %bb.695:
	v_and_b32_e32 v11, 7, v6
	v_ffbh_u32_e32 v8, v11
	v_min_u32_e32 v13, 32, v8
	v_subrev_u32_e32 v8, 28, v13
	v_lshlrev_b64 v[8:9], v8, v[6:7]
	v_lshrrev_b32_e32 v12, 3, v7
	v_sub_u32_e32 v6, 29, v13
	v_and_b32_e32 v8, 7, v8
	v_cmp_gt_u32_e32 vcc, 8, v7
	v_cndmask_b32_e32 v6, v12, v6, vcc
	v_cndmask_b32_e32 v7, v11, v8, vcc
	v_lshlrev_b32_e32 v8, 16, v2
	v_bfrev_b32_e32 v9, 60
	v_lshlrev_b32_e32 v7, 20, v7
	v_and_b32_e32 v8, 0x80000000, v8
	v_lshl_add_u32 v6, v6, 23, v9
	v_or3_b32 v6, v8, v6, v7
	v_lshrrev_b32_e32 v9, 16, v6
.LBB717_696:
	s_or_b64 exec, exec, s[8:9]
.LBB717_697:
	s_or_b64 exec, exec, s[6:7]
.LBB717_698:
	s_or_b64 exec, exec, s[0:1]
	s_movk_i32 s0, 0xff
	v_and_b32_sdwa v8, v2, s0 dst_sel:DWORD dst_unused:UNUSED_PAD src0_sel:WORD_1 src1_sel:DWORD
	v_lshrrev_b32_e32 v6, 16, v2
	v_cmp_ne_u16_e32 vcc, 0, v8
	v_mov_b32_e32 v7, 0
	v_mov_b32_e32 v11, 0
	s_and_saveexec_b64 s[0:1], vcc
	s_cbranch_execz .LBB717_704
; %bb.699:
	s_movk_i32 s3, 0x80
	v_cmp_ne_u16_e32 vcc, s3, v8
	v_mov_b32_e32 v11, 0xffff8000
	s_and_saveexec_b64 s[6:7], vcc
	s_cbranch_execz .LBB717_703
; %bb.700:
	v_bfe_u32 v8, v2, 16, 7
	s_movk_i32 s3, 0x7f
	v_cmp_ne_u32_e32 vcc, s3, v8
	v_mov_b32_e32 v11, 0x7f80
	s_and_saveexec_b64 s[8:9], vcc
	s_cbranch_execz .LBB717_702
; %bb.701:
	v_and_b32_e32 v11, 7, v6
	v_ffbh_u32_e32 v12, v11
	v_min_u32_e32 v17, 32, v12
	v_subrev_u32_e32 v12, 28, v17
	v_lshlrev_b64 v[12:13], v12, v[6:7]
	v_and_b32_e32 v12, 7, v12
	v_cmp_gt_u32_e32 vcc, 8, v8
	v_lshrrev_b32_e32 v16, 3, v8
	v_sub_u32_e32 v6, 29, v17
	v_cndmask_b32_e32 v8, v11, v12, vcc
	v_mov_b32_e32 v11, 24
	v_cndmask_b32_e32 v6, v16, v6, vcc
	v_lshlrev_b32_sdwa v11, v11, v2 dst_sel:DWORD dst_unused:UNUSED_PAD src0_sel:DWORD src1_sel:WORD_1
	v_bfrev_b32_e32 v12, 60
	v_lshlrev_b32_e32 v8, 20, v8
	v_and_b32_e32 v11, 0x80000000, v11
	v_lshl_add_u32 v6, v6, 23, v12
	v_or3_b32 v6, v11, v6, v8
	v_lshrrev_b32_e32 v11, 16, v6
.LBB717_702:
	s_or_b64 exec, exec, s[8:9]
.LBB717_703:
	s_or_b64 exec, exec, s[6:7]
.LBB717_704:
	s_or_b64 exec, exec, s[0:1]
	s_mov_b32 s0, 0xffffff
	v_cmp_lt_u32_e32 vcc, s0, v2
	v_mov_b32_e32 v12, 0
	s_and_saveexec_b64 s[0:1], vcc
	s_cbranch_execz .LBB717_710
; %bb.705:
	v_lshrrev_b32_e32 v6, 24, v2
	s_movk_i32 s3, 0x80
	v_cmp_ne_u32_e32 vcc, s3, v6
	v_mov_b32_e32 v12, 0xffff8000
	s_and_saveexec_b64 s[6:7], vcc
	s_cbranch_execz .LBB717_709
; %bb.706:
	v_bfe_u32 v8, v2, 24, 7
	s_movk_i32 s3, 0x7f
	v_cmp_ne_u32_e32 vcc, s3, v8
	v_mov_b32_e32 v12, 0x7f80
	s_and_saveexec_b64 s[8:9], vcc
	s_cbranch_execz .LBB717_708
; %bb.707:
	v_and_b32_e32 v16, 7, v6
	v_ffbh_u32_e32 v12, v16
	v_min_u32_e32 v18, 32, v12
	v_subrev_u32_e32 v12, 28, v18
	v_lshlrev_b64 v[12:13], v12, v[6:7]
	v_lshrrev_b32_e32 v17, 3, v8
	v_sub_u32_e32 v13, 29, v18
	v_and_b32_e32 v12, 7, v12
	v_cmp_gt_u32_e32 vcc, 8, v8
	v_cndmask_b32_e32 v8, v17, v13, vcc
	v_cndmask_b32_e32 v12, v16, v12, vcc
	v_lshlrev_b32_e32 v6, 24, v6
	v_bfrev_b32_e32 v13, 60
	v_lshlrev_b32_e32 v12, 20, v12
	v_and_b32_e32 v6, 0x80000000, v6
	v_lshl_add_u32 v8, v8, 23, v13
	v_or3_b32 v6, v6, v8, v12
	v_lshrrev_b32_e32 v12, 16, v6
.LBB717_708:
	s_or_b64 exec, exec, s[8:9]
.LBB717_709:
	s_or_b64 exec, exec, s[6:7]
.LBB717_710:
	s_or_b64 exec, exec, s[0:1]
	v_mov_b32_e32 v13, 0
	v_mov_b32_e32 v6, v3
	v_cmp_ne_u16_sdwa s[6:7], v3, v13 src0_sel:BYTE_0 src1_sel:DWORD
	v_mov_b32_e32 v16, 0
	s_and_saveexec_b64 s[0:1], s[6:7]
	s_cbranch_execz .LBB717_716
; %bb.711:
	s_movk_i32 s3, 0x80
	v_cmp_ne_u16_sdwa s[8:9], v3, s3 src0_sel:BYTE_0 src1_sel:DWORD
	v_mov_b32_e32 v16, 0xffff8000
	s_and_saveexec_b64 s[6:7], s[8:9]
	s_cbranch_execz .LBB717_715
; %bb.712:
	s_movk_i32 s3, 0x7f
	v_and_b32_e32 v8, 0x7f, v3
	v_cmp_ne_u32_e32 vcc, s3, v8
	v_mov_b32_e32 v16, 0x7f80
	s_and_saveexec_b64 s[8:9], vcc
	s_cbranch_execz .LBB717_714
; %bb.713:
	v_and_b32_e32 v16, 7, v3
	v_ffbh_u32_e32 v16, v16
	v_min_u32_e32 v16, 32, v16
	v_lshrrev_b32_e32 v17, 3, v8
	v_subrev_u32_e32 v18, 28, v16
	v_sub_u32_e32 v16, 29, v16
	v_cmp_gt_u32_e32 vcc, 8, v8
	v_cndmask_b32_e32 v8, v17, v16, vcc
	v_cndmask_b32_e32 v16, 0, v18, vcc
	v_lshlrev_b64 v[16:17], v16, v[6:7]
	v_lshlrev_b32_e32 v7, 20, v16
	v_lshlrev_b32_e32 v16, 24, v6
	v_bfrev_b32_e32 v17, 60
	v_and_b32_e32 v7, 0x700000, v7
	v_and_b32_e32 v16, 0x80000000, v16
	v_lshl_add_u32 v8, v8, 23, v17
	v_or3_b32 v7, v16, v8, v7
	v_lshrrev_b32_e32 v16, 16, v7
.LBB717_714:
	s_or_b64 exec, exec, s[8:9]
.LBB717_715:
	s_or_b64 exec, exec, s[6:7]
.LBB717_716:
	s_or_b64 exec, exec, s[0:1]
	v_lshrrev_b16_e32 v8, 8, v6
	v_cmp_ne_u16_e32 vcc, 0, v8
	s_and_saveexec_b64 s[0:1], vcc
	s_cbranch_execz .LBB717_722
; %bb.717:
	s_movk_i32 s3, 0x80
	v_cmp_ne_u16_e32 vcc, s3, v8
	v_mov_b32_e32 v13, 0xffff8000
	s_and_saveexec_b64 s[6:7], vcc
	s_cbranch_execz .LBB717_721
; %bb.718:
	s_movk_i32 s3, 0x7f
	v_and_b32_e32 v7, 0x7f, v8
	v_cmp_ne_u32_e32 vcc, s3, v7
	v_mov_b32_e32 v13, 0x7f80
	s_and_saveexec_b64 s[8:9], vcc
	s_cbranch_execz .LBB717_720
; %bb.719:
	v_and_b32_e32 v13, 7, v8
	v_ffbh_u32_e32 v18, v13
	v_min_u32_e32 v20, 32, v18
	v_subrev_u32_e32 v18, 28, v20
	v_lshlrev_b64 v[18:19], v18, v[8:9]
	v_lshrrev_b32_e32 v17, 3, v7
	v_sub_u32_e32 v8, 29, v20
	v_and_b32_e32 v18, 7, v18
	v_cmp_gt_u32_e32 vcc, 8, v7
	v_cndmask_b32_e32 v7, v17, v8, vcc
	v_cndmask_b32_e32 v8, v13, v18, vcc
	v_lshlrev_b32_e32 v6, 16, v6
	v_bfrev_b32_e32 v13, 60
	v_lshlrev_b32_e32 v8, 20, v8
	v_and_b32_e32 v6, 0x80000000, v6
	v_lshl_add_u32 v7, v7, 23, v13
	v_or3_b32 v6, v6, v7, v8
	v_lshrrev_b32_e32 v13, 16, v6
.LBB717_720:
	s_or_b64 exec, exec, s[8:9]
.LBB717_721:
	s_or_b64 exec, exec, s[6:7]
.LBB717_722:
	s_or_b64 exec, exec, s[0:1]
	s_movk_i32 s0, 0xff
	v_and_b32_sdwa v17, v3, s0 dst_sel:DWORD dst_unused:UNUSED_PAD src0_sel:WORD_1 src1_sel:DWORD
	v_lshrrev_b32_e32 v6, 16, v3
	v_cmp_ne_u16_e32 vcc, 0, v17
	v_mov_b32_e32 v7, 0
	v_mov_b32_e32 v8, 0
	s_and_saveexec_b64 s[0:1], vcc
	s_cbranch_execz .LBB717_728
; %bb.723:
	s_movk_i32 s3, 0x80
	v_cmp_ne_u16_e32 vcc, s3, v17
	v_mov_b32_e32 v8, 0xffff8000
	s_and_saveexec_b64 s[6:7], vcc
	s_cbranch_execz .LBB717_727
; %bb.724:
	v_bfe_u32 v17, v3, 16, 7
	s_movk_i32 s3, 0x7f
	v_cmp_ne_u32_e32 vcc, s3, v17
	v_mov_b32_e32 v8, 0x7f80
	s_and_saveexec_b64 s[8:9], vcc
	s_cbranch_execz .LBB717_726
; %bb.725:
	v_and_b32_e32 v8, 7, v6
	v_ffbh_u32_e32 v18, v8
	v_min_u32_e32 v21, 32, v18
	v_subrev_u32_e32 v18, 28, v21
	v_lshlrev_b64 v[18:19], v18, v[6:7]
	v_lshrrev_b32_e32 v20, 3, v17
	v_sub_u32_e32 v6, 29, v21
	v_and_b32_e32 v18, 7, v18
	v_cmp_gt_u32_e32 vcc, 8, v17
	v_mov_b32_e32 v17, 24
	v_cndmask_b32_e32 v6, v20, v6, vcc
	v_cndmask_b32_e32 v8, v8, v18, vcc
	v_lshlrev_b32_sdwa v17, v17, v3 dst_sel:DWORD dst_unused:UNUSED_PAD src0_sel:DWORD src1_sel:WORD_1
	v_bfrev_b32_e32 v18, 60
	v_lshlrev_b32_e32 v8, 20, v8
	v_and_b32_e32 v17, 0x80000000, v17
	v_lshl_add_u32 v6, v6, 23, v18
	v_or3_b32 v6, v17, v6, v8
	v_lshrrev_b32_e32 v8, 16, v6
.LBB717_726:
	s_or_b64 exec, exec, s[8:9]
.LBB717_727:
	s_or_b64 exec, exec, s[6:7]
.LBB717_728:
	s_or_b64 exec, exec, s[0:1]
	s_mov_b32 s0, -1
	s_mov_b32 s1, 0xffffff
	v_cmp_lt_u64_e32 vcc, s[0:1], v[2:3]
	s_and_saveexec_b64 s[0:1], vcc
	s_cbranch_execz .LBB717_734
; %bb.729:
	v_lshrrev_b32_e32 v2, 24, v3
	s_movk_i32 s3, 0x80
	v_cmp_ne_u32_e32 vcc, s3, v2
	v_mov_b32_e32 v7, 0xffff8000
	s_and_saveexec_b64 s[6:7], vcc
	s_cbranch_execz .LBB717_733
; %bb.730:
	v_bfe_u32 v3, v3, 24, 7
	s_movk_i32 s3, 0x7f
	v_cmp_ne_u32_e32 vcc, s3, v3
	v_mov_b32_e32 v7, 0x7f80
	s_and_saveexec_b64 s[8:9], vcc
	s_cbranch_execz .LBB717_732
; %bb.731:
	v_and_b32_e32 v17, 7, v2
	v_ffbh_u32_e32 v6, v17
	v_min_u32_e32 v19, 32, v6
	v_subrev_u32_e32 v6, 28, v19
	v_lshlrev_b64 v[6:7], v6, v[2:3]
	v_lshrrev_b32_e32 v18, 3, v3
	v_sub_u32_e32 v7, 29, v19
	v_and_b32_e32 v6, 7, v6
	v_cmp_gt_u32_e32 vcc, 8, v3
	v_cndmask_b32_e32 v3, v18, v7, vcc
	v_cndmask_b32_e32 v6, v17, v6, vcc
	v_lshlrev_b32_e32 v2, 24, v2
	v_bfrev_b32_e32 v7, 60
	v_lshlrev_b32_e32 v6, 20, v6
	v_and_b32_e32 v2, 0x80000000, v2
	v_lshl_add_u32 v3, v3, 23, v7
	v_or3_b32 v2, v2, v3, v6
	v_lshrrev_b32_e32 v7, 16, v2
.LBB717_732:
	s_or_b64 exec, exec, s[8:9]
.LBB717_733:
	s_or_b64 exec, exec, s[6:7]
.LBB717_734:
	s_or_b64 exec, exec, s[0:1]
	s_mov_b32 s0, 0x5040100
	v_perm_b32 v3, v12, v11, s0
	v_perm_b32 v2, v9, v10, s0
	v_perm_b32 v7, v7, v8, s0
	v_perm_b32 v6, v13, v16, s0
	v_mfma_f32_4x4x4bf16_1k a[0:3], v[14:15], v[2:3], a[0:3] cbsz:4 abid:12
	v_mov_b32_e32 v8, 0
	v_mfma_f32_4x4x4bf16_1k a[0:3], v[14:15], v[6:7], a[0:3] cbsz:4 abid:13
	v_mov_b32_e32 v7, 0
	v_cmp_ne_u16_sdwa s[6:7], v4, v7 src0_sel:BYTE_0 src1_sel:DWORD
	s_and_saveexec_b64 s[0:1], s[6:7]
	s_cbranch_execz .LBB717_740
; %bb.735:
	s_movk_i32 s3, 0x80
	v_cmp_ne_u16_sdwa s[8:9], v4, s3 src0_sel:BYTE_0 src1_sel:DWORD
	v_mov_b32_e32 v8, 0xffff8000
	s_and_saveexec_b64 s[6:7], s[8:9]
	s_cbranch_execz .LBB717_739
; %bb.736:
	s_movk_i32 s3, 0x7f
	v_and_b32_e32 v2, 0x7f, v4
	v_cmp_ne_u32_e32 vcc, s3, v2
	v_mov_b32_e32 v8, 0x7f80
	s_and_saveexec_b64 s[8:9], vcc
	s_cbranch_execz .LBB717_738
; %bb.737:
	v_and_b32_e32 v3, 7, v4
	v_ffbh_u32_e32 v3, v3
	v_min_u32_e32 v3, 32, v3
	v_subrev_u32_e32 v8, 28, v3
	v_cmp_gt_u32_e32 vcc, 8, v2
	v_lshrrev_b32_e32 v6, 3, v2
	v_sub_u32_e32 v3, 29, v3
	v_cndmask_b32_e32 v2, 0, v8, vcc
	v_cndmask_b32_e32 v6, v6, v3, vcc
	v_lshlrev_b64 v[2:3], v2, v[4:5]
	v_lshlrev_b32_e32 v2, 20, v2
	v_lshlrev_b32_e32 v3, 24, v4
	v_bfrev_b32_e32 v8, 60
	v_and_b32_e32 v2, 0x700000, v2
	v_and_b32_e32 v3, 0x80000000, v3
	v_lshl_add_u32 v6, v6, 23, v8
	v_or3_b32 v2, v3, v6, v2
	v_lshrrev_b32_e32 v8, 16, v2
.LBB717_738:
	s_or_b64 exec, exec, s[8:9]
.LBB717_739:
	s_or_b64 exec, exec, s[6:7]
.LBB717_740:
	s_or_b64 exec, exec, s[0:1]
	v_lshrrev_b16_e32 v2, 8, v4
	v_cmp_ne_u16_e32 vcc, 0, v2
	s_and_saveexec_b64 s[0:1], vcc
	s_cbranch_execz .LBB717_746
; %bb.741:
	s_movk_i32 s3, 0x80
	v_cmp_ne_u16_e32 vcc, s3, v2
	v_mov_b32_e32 v7, 0xffff8000
	s_and_saveexec_b64 s[6:7], vcc
	s_cbranch_execz .LBB717_745
; %bb.742:
	s_movk_i32 s3, 0x7f
	v_and_b32_e32 v3, 0x7f, v2
	v_cmp_ne_u32_e32 vcc, s3, v3
	v_mov_b32_e32 v7, 0x7f80
	s_and_saveexec_b64 s[8:9], vcc
	s_cbranch_execz .LBB717_744
; %bb.743:
	v_and_b32_e32 v9, 7, v2
	v_ffbh_u32_e32 v6, v9
	v_min_u32_e32 v11, 32, v6
	v_subrev_u32_e32 v6, 28, v11
	v_lshlrev_b64 v[6:7], v6, v[2:3]
	v_lshrrev_b32_e32 v10, 3, v3
	v_sub_u32_e32 v2, 29, v11
	v_and_b32_e32 v6, 7, v6
	v_cmp_gt_u32_e32 vcc, 8, v3
	v_cndmask_b32_e32 v2, v10, v2, vcc
	v_cndmask_b32_e32 v3, v9, v6, vcc
	v_lshlrev_b32_e32 v6, 16, v4
	v_bfrev_b32_e32 v7, 60
	v_lshlrev_b32_e32 v3, 20, v3
	v_and_b32_e32 v6, 0x80000000, v6
	v_lshl_add_u32 v2, v2, 23, v7
	v_or3_b32 v2, v6, v2, v3
	v_lshrrev_b32_e32 v7, 16, v2
.LBB717_744:
	s_or_b64 exec, exec, s[8:9]
.LBB717_745:
	s_or_b64 exec, exec, s[6:7]
.LBB717_746:
	s_or_b64 exec, exec, s[0:1]
	s_movk_i32 s0, 0xff
	v_and_b32_sdwa v6, v4, s0 dst_sel:DWORD dst_unused:UNUSED_PAD src0_sel:WORD_1 src1_sel:DWORD
	v_lshrrev_b32_e32 v2, 16, v4
	v_cmp_ne_u16_e32 vcc, 0, v6
	v_mov_b32_e32 v3, 0
	v_mov_b32_e32 v9, 0
	s_and_saveexec_b64 s[0:1], vcc
	s_cbranch_execz .LBB717_752
; %bb.747:
	s_movk_i32 s3, 0x80
	v_cmp_ne_u16_e32 vcc, s3, v6
	v_mov_b32_e32 v9, 0xffff8000
	s_and_saveexec_b64 s[6:7], vcc
	s_cbranch_execz .LBB717_751
; %bb.748:
	v_bfe_u32 v6, v4, 16, 7
	s_movk_i32 s3, 0x7f
	v_cmp_ne_u32_e32 vcc, s3, v6
	v_mov_b32_e32 v9, 0x7f80
	s_and_saveexec_b64 s[8:9], vcc
	s_cbranch_execz .LBB717_750
; %bb.749:
	v_and_b32_e32 v9, 7, v2
	v_ffbh_u32_e32 v10, v9
	v_min_u32_e32 v13, 32, v10
	v_subrev_u32_e32 v10, 28, v13
	v_lshlrev_b64 v[10:11], v10, v[2:3]
	v_and_b32_e32 v10, 7, v10
	v_cmp_gt_u32_e32 vcc, 8, v6
	v_lshrrev_b32_e32 v12, 3, v6
	v_sub_u32_e32 v2, 29, v13
	v_cndmask_b32_e32 v6, v9, v10, vcc
	v_mov_b32_e32 v9, 24
	v_cndmask_b32_e32 v2, v12, v2, vcc
	v_lshlrev_b32_sdwa v9, v9, v4 dst_sel:DWORD dst_unused:UNUSED_PAD src0_sel:DWORD src1_sel:WORD_1
	v_bfrev_b32_e32 v10, 60
	v_lshlrev_b32_e32 v6, 20, v6
	v_and_b32_e32 v9, 0x80000000, v9
	v_lshl_add_u32 v2, v2, 23, v10
	v_or3_b32 v2, v9, v2, v6
	v_lshrrev_b32_e32 v9, 16, v2
.LBB717_750:
	s_or_b64 exec, exec, s[8:9]
.LBB717_751:
	s_or_b64 exec, exec, s[6:7]
.LBB717_752:
	s_or_b64 exec, exec, s[0:1]
	s_mov_b32 s0, 0xffffff
	v_cmp_lt_u32_e32 vcc, s0, v4
	v_mov_b32_e32 v10, 0
	s_and_saveexec_b64 s[0:1], vcc
	s_cbranch_execz .LBB717_758
; %bb.753:
	v_lshrrev_b32_e32 v2, 24, v4
	s_movk_i32 s3, 0x80
	v_cmp_ne_u32_e32 vcc, s3, v2
	v_mov_b32_e32 v10, 0xffff8000
	s_and_saveexec_b64 s[6:7], vcc
	s_cbranch_execz .LBB717_757
; %bb.754:
	v_bfe_u32 v6, v4, 24, 7
	s_movk_i32 s3, 0x7f
	v_cmp_ne_u32_e32 vcc, s3, v6
	v_mov_b32_e32 v10, 0x7f80
	s_and_saveexec_b64 s[8:9], vcc
	s_cbranch_execz .LBB717_756
; %bb.755:
	v_and_b32_e32 v12, 7, v2
	v_ffbh_u32_e32 v10, v12
	v_min_u32_e32 v16, 32, v10
	v_subrev_u32_e32 v10, 28, v16
	v_lshlrev_b64 v[10:11], v10, v[2:3]
	v_lshrrev_b32_e32 v13, 3, v6
	v_sub_u32_e32 v11, 29, v16
	v_and_b32_e32 v10, 7, v10
	v_cmp_gt_u32_e32 vcc, 8, v6
	v_cndmask_b32_e32 v6, v13, v11, vcc
	v_cndmask_b32_e32 v10, v12, v10, vcc
	v_lshlrev_b32_e32 v2, 24, v2
	v_bfrev_b32_e32 v11, 60
	v_lshlrev_b32_e32 v10, 20, v10
	v_and_b32_e32 v2, 0x80000000, v2
	v_lshl_add_u32 v6, v6, 23, v11
	v_or3_b32 v2, v2, v6, v10
	v_lshrrev_b32_e32 v10, 16, v2
.LBB717_756:
	s_or_b64 exec, exec, s[8:9]
.LBB717_757:
	s_or_b64 exec, exec, s[6:7]
.LBB717_758:
	s_or_b64 exec, exec, s[0:1]
	v_mov_b32_e32 v11, 0
	v_mov_b32_e32 v2, v5
	v_cmp_ne_u16_sdwa s[6:7], v5, v11 src0_sel:BYTE_0 src1_sel:DWORD
	v_mov_b32_e32 v12, 0
	s_and_saveexec_b64 s[0:1], s[6:7]
	s_cbranch_execz .LBB717_764
; %bb.759:
	s_movk_i32 s3, 0x80
	v_cmp_ne_u16_sdwa s[8:9], v5, s3 src0_sel:BYTE_0 src1_sel:DWORD
	v_mov_b32_e32 v12, 0xffff8000
	s_and_saveexec_b64 s[6:7], s[8:9]
	s_cbranch_execz .LBB717_763
; %bb.760:
	s_movk_i32 s3, 0x7f
	v_and_b32_e32 v6, 0x7f, v5
	v_cmp_ne_u32_e32 vcc, s3, v6
	v_mov_b32_e32 v12, 0x7f80
	s_and_saveexec_b64 s[8:9], vcc
	s_cbranch_execz .LBB717_762
; %bb.761:
	v_and_b32_e32 v12, 7, v5
	v_ffbh_u32_e32 v12, v12
	v_min_u32_e32 v12, 32, v12
	v_lshrrev_b32_e32 v13, 3, v6
	v_subrev_u32_e32 v16, 28, v12
	v_sub_u32_e32 v12, 29, v12
	v_cmp_gt_u32_e32 vcc, 8, v6
	v_cndmask_b32_e32 v6, v13, v12, vcc
	v_cndmask_b32_e32 v12, 0, v16, vcc
	v_lshlrev_b64 v[12:13], v12, v[2:3]
	v_lshlrev_b32_e32 v3, 20, v12
	v_lshlrev_b32_e32 v12, 24, v2
	v_bfrev_b32_e32 v13, 60
	v_and_b32_e32 v3, 0x700000, v3
	v_and_b32_e32 v12, 0x80000000, v12
	v_lshl_add_u32 v6, v6, 23, v13
	v_or3_b32 v3, v12, v6, v3
	v_lshrrev_b32_e32 v12, 16, v3
.LBB717_762:
	s_or_b64 exec, exec, s[8:9]
.LBB717_763:
	s_or_b64 exec, exec, s[6:7]
.LBB717_764:
	s_or_b64 exec, exec, s[0:1]
	v_lshrrev_b16_e32 v6, 8, v2
	v_cmp_ne_u16_e32 vcc, 0, v6
	s_and_saveexec_b64 s[0:1], vcc
	s_cbranch_execz .LBB717_770
; %bb.765:
	s_movk_i32 s3, 0x80
	v_cmp_ne_u16_e32 vcc, s3, v6
	v_mov_b32_e32 v11, 0xffff8000
	s_and_saveexec_b64 s[6:7], vcc
	s_cbranch_execz .LBB717_769
; %bb.766:
	s_movk_i32 s3, 0x7f
	v_and_b32_e32 v3, 0x7f, v6
	v_cmp_ne_u32_e32 vcc, s3, v3
	v_mov_b32_e32 v11, 0x7f80
	s_and_saveexec_b64 s[8:9], vcc
	s_cbranch_execz .LBB717_768
; %bb.767:
	v_and_b32_e32 v11, 7, v6
	v_ffbh_u32_e32 v16, v11
	v_min_u32_e32 v18, 32, v16
	v_subrev_u32_e32 v16, 28, v18
	v_lshlrev_b64 v[16:17], v16, v[6:7]
	v_lshrrev_b32_e32 v13, 3, v3
	v_sub_u32_e32 v6, 29, v18
	v_and_b32_e32 v16, 7, v16
	v_cmp_gt_u32_e32 vcc, 8, v3
	v_cndmask_b32_e32 v3, v13, v6, vcc
	v_cndmask_b32_e32 v6, v11, v16, vcc
	v_lshlrev_b32_e32 v2, 16, v2
	v_bfrev_b32_e32 v11, 60
	v_lshlrev_b32_e32 v6, 20, v6
	v_and_b32_e32 v2, 0x80000000, v2
	v_lshl_add_u32 v3, v3, 23, v11
	v_or3_b32 v2, v2, v3, v6
	v_lshrrev_b32_e32 v11, 16, v2
.LBB717_768:
	s_or_b64 exec, exec, s[8:9]
.LBB717_769:
	s_or_b64 exec, exec, s[6:7]
.LBB717_770:
	s_or_b64 exec, exec, s[0:1]
	s_movk_i32 s0, 0xff
	v_and_b32_sdwa v13, v5, s0 dst_sel:DWORD dst_unused:UNUSED_PAD src0_sel:WORD_1 src1_sel:DWORD
	v_lshrrev_b32_e32 v2, 16, v5
	v_cmp_ne_u16_e32 vcc, 0, v13
	v_mov_b32_e32 v3, 0
	v_mov_b32_e32 v6, 0
	s_and_saveexec_b64 s[0:1], vcc
	s_cbranch_execz .LBB717_776
; %bb.771:
	s_movk_i32 s3, 0x80
	v_cmp_ne_u16_e32 vcc, s3, v13
	v_mov_b32_e32 v6, 0xffff8000
	s_and_saveexec_b64 s[6:7], vcc
	s_cbranch_execz .LBB717_775
; %bb.772:
	v_bfe_u32 v13, v5, 16, 7
	s_movk_i32 s3, 0x7f
	v_cmp_ne_u32_e32 vcc, s3, v13
	v_mov_b32_e32 v6, 0x7f80
	s_and_saveexec_b64 s[8:9], vcc
	s_cbranch_execz .LBB717_774
; %bb.773:
	v_and_b32_e32 v6, 7, v2
	v_ffbh_u32_e32 v16, v6
	v_min_u32_e32 v19, 32, v16
	v_subrev_u32_e32 v16, 28, v19
	v_lshlrev_b64 v[16:17], v16, v[2:3]
	v_lshrrev_b32_e32 v18, 3, v13
	v_sub_u32_e32 v2, 29, v19
	v_and_b32_e32 v16, 7, v16
	v_cmp_gt_u32_e32 vcc, 8, v13
	v_mov_b32_e32 v13, 24
	v_cndmask_b32_e32 v2, v18, v2, vcc
	v_cndmask_b32_e32 v6, v6, v16, vcc
	v_lshlrev_b32_sdwa v13, v13, v5 dst_sel:DWORD dst_unused:UNUSED_PAD src0_sel:DWORD src1_sel:WORD_1
	v_bfrev_b32_e32 v16, 60
	v_lshlrev_b32_e32 v6, 20, v6
	v_and_b32_e32 v13, 0x80000000, v13
	v_lshl_add_u32 v2, v2, 23, v16
	v_or3_b32 v2, v13, v2, v6
	v_lshrrev_b32_e32 v6, 16, v2
.LBB717_774:
	s_or_b64 exec, exec, s[8:9]
.LBB717_775:
	s_or_b64 exec, exec, s[6:7]
.LBB717_776:
	s_or_b64 exec, exec, s[0:1]
	s_mov_b32 s0, -1
	s_mov_b32 s1, 0xffffff
	v_cmp_lt_u64_e32 vcc, s[0:1], v[4:5]
	s_and_saveexec_b64 s[0:1], vcc
	s_cbranch_execz .LBB717_782
; %bb.777:
	v_lshrrev_b32_e32 v2, 24, v5
	s_movk_i32 s3, 0x80
	v_cmp_ne_u32_e32 vcc, s3, v2
	v_mov_b32_e32 v3, 0xffff8000
	s_and_saveexec_b64 s[6:7], vcc
	s_cbranch_execz .LBB717_781
; %bb.778:
	v_bfe_u32 v4, v5, 24, 7
	s_movk_i32 s3, 0x7f
	v_cmp_ne_u32_e32 vcc, s3, v4
	v_mov_b32_e32 v3, 0x7f80
	s_and_saveexec_b64 s[8:9], vcc
	s_cbranch_execz .LBB717_780
; %bb.779:
	v_and_b32_e32 v3, 7, v2
	v_ffbh_u32_e32 v13, v3
	v_min_u32_e32 v13, 32, v13
	v_subrev_u32_e32 v16, 28, v13
	v_lshlrev_b64 v[16:17], v16, v[2:3]
	v_lshrrev_b32_e32 v5, 3, v4
	v_sub_u32_e32 v13, 29, v13
	v_and_b32_e32 v16, 7, v16
	v_cmp_gt_u32_e32 vcc, 8, v4
	v_cndmask_b32_e32 v4, v5, v13, vcc
	v_cndmask_b32_e32 v3, v3, v16, vcc
	v_lshlrev_b32_e32 v2, 24, v2
	v_bfrev_b32_e32 v5, 60
	v_lshlrev_b32_e32 v3, 20, v3
	v_and_b32_e32 v2, 0x80000000, v2
	v_lshl_add_u32 v4, v4, 23, v5
	v_or3_b32 v2, v2, v4, v3
	v_lshrrev_b32_e32 v3, 16, v2
.LBB717_780:
	s_or_b64 exec, exec, s[8:9]
.LBB717_781:
	s_or_b64 exec, exec, s[6:7]
.LBB717_782:
	s_or_b64 exec, exec, s[0:1]
	s_mov_b32 s0, 0x5040100
	v_perm_b32 v5, v10, v9, s0
	v_perm_b32 v4, v7, v8, s0
	v_perm_b32 v3, v3, v6, s0
	v_perm_b32 v2, v11, v12, s0
	v_mfma_f32_4x4x4bf16_1k a[0:3], v[14:15], v[4:5], a[0:3] cbsz:4 abid:14
	s_load_dword s0, s[14:15], 0x0
	v_mfma_f32_4x4x4bf16_1k a[0:3], v[14:15], v[2:3], a[0:3] cbsz:4 abid:15
	s_nop 4
	v_accvgpr_read_b32 v5, a1
	v_accvgpr_read_b32 v4, a0
	;; [unrolled: 1-line block ×4, first 2 shown]
	s_waitcnt lgkmcnt(0)
	v_pk_mul_f32 v[4:5], v[4:5], s[0:1] op_sel_hi:[1,0]
	v_pk_mul_f32 v[2:3], v[2:3], s[0:1] op_sel_hi:[1,0]
	v_bfe_u32 v6, v5, 16, 1
	v_bfe_u32 v7, v4, 16, 1
	s_movk_i32 s0, 0x7fff
	v_add3_u32 v4, v4, v7, s0
	v_add3_u32 v5, v5, v6, s0
	v_bfe_u32 v6, v3, 16, 1
	v_bfe_u32 v7, v2, 16, 1
	v_add3_u32 v2, v2, v7, s0
	v_add3_u32 v3, v3, v6, s0
	s_mov_b32 s0, 0x7060302
	v_perm_b32 v23, v3, v2, s0
	v_perm_b32 v22, v5, v4, s0
.LBB717_783:
	s_or_b64 exec, exec, s[4:5]
	v_lshlrev_b32_e32 v1, 3, v1
	v_mad_u32_u24 v1, v43, 40, v1
	v_cmp_gt_u32_e32 vcc, 64, v0
	ds_write_b64 v1, v[22:23]
	s_waitcnt lgkmcnt(0)
	s_barrier
	s_and_saveexec_b64 s[0:1], vcc
	s_cbranch_execz .LBB717_785
; %bb.784:
	v_mul_u32_u24_e32 v1, 40, v43
	s_waitcnt vmcnt(3)
	ds_read2_b64 v[2:5], v1 offset1:1
	s_waitcnt vmcnt(2)
	ds_read2_b64 v[6:9], v1 offset0:2 offset1:3
	s_mov_b32 s1, 0
	s_lshl_b32 s0, s2, 6
	s_lshl_b64 s[2:3], s[0:1], 1
	s_waitcnt lgkmcnt(1)
	v_lshlrev_b32_e32 v1, 16, v2
	v_and_b32_e32 v2, 0xffff0000, v2
	v_add_f32_e32 v1, 0, v1
	v_add_f32_e32 v2, 0, v2
	v_lshlrev_b32_e32 v10, 16, v3
	v_and_b32_e32 v3, 0xffff0000, v3
	v_and_b32_e32 v1, 0xffff0000, v1
	v_and_b32_e32 v2, 0xffff0000, v2
	v_add_f32_e32 v3, 0, v3
	v_lshlrev_b32_e32 v11, 16, v4
	v_and_b32_e32 v4, 0xffff0000, v4
	v_add_f32_e32 v10, 0, v10
	v_and_b32_e32 v3, 0xffff0000, v3
	v_add_f32_e32 v1, v1, v11
	v_add_f32_e32 v2, v2, v4
	v_lshlrev_b32_e32 v4, 16, v5
	v_and_b32_e32 v5, 0xffff0000, v5
	v_and_b32_e32 v10, 0xffff0000, v10
	;; [unrolled: 1-line block ×3, first 2 shown]
	v_add_f32_e32 v3, v3, v5
	s_waitcnt lgkmcnt(0)
	v_lshlrev_b32_e32 v5, 16, v6
	v_and_b32_e32 v2, 0xffff0000, v2
	v_add_f32_e32 v4, v10, v4
	v_add_f32_e32 v1, v1, v5
	v_and_b32_e32 v5, 0xffff0000, v6
	v_and_b32_e32 v4, 0xffff0000, v4
	v_add_f32_e32 v2, v2, v5
	v_lshlrev_b32_e32 v5, 16, v7
	s_add_u32 s2, s28, s2
	v_and_b32_e32 v3, 0xffff0000, v3
	v_add_f32_e32 v4, v4, v5
	v_and_b32_e32 v5, 0xffff0000, v7
	s_addc_u32 s3, s29, s3
	s_lshl_b32 s0, s10, 6
	v_and_b32_e32 v1, 0xffff0000, v1
	v_add_f32_e32 v3, v3, v5
	v_lshlrev_b32_e32 v5, 16, v8
	s_lshl_b64 s[0:1], s[0:1], 1
	v_and_b32_e32 v2, 0xffff0000, v2
	v_add_f32_e32 v1, v1, v5
	v_and_b32_e32 v5, 0xffff0000, v8
	s_add_u32 s0, s2, s0
	v_and_b32_e32 v4, 0xffff0000, v4
	v_add_f32_e32 v6, v2, v5
	v_lshlrev_b32_e32 v2, 16, v9
	s_addc_u32 s1, s3, s1
	s_lshl_b32 s2, s44, 6
	v_and_b32_e32 v3, 0xffff0000, v3
	v_add_f32_e32 v7, v4, v2
	v_and_b32_e32 v2, 0xffff0000, v9
	s_mul_i32 s3, s2, s33
	v_add_f32_e32 v8, v3, v2
	v_or_b32_e32 v2, s3, v0
	v_mov_b32_e32 v3, 0
	v_lshlrev_b64 v[4:5], 1, v[2:3]
	v_mov_b32_e32 v2, s1
	v_add_co_u32_e32 v4, vcc, s0, v4
	s_add_i32 s3, s3, s2
	v_addc_co_u32_e32 v5, vcc, v2, v5, vcc
	v_or_b32_e32 v2, s3, v0
	global_store_short_d16_hi v[4:5], v1, off
	v_lshlrev_b64 v[4:5], 1, v[2:3]
	v_mov_b32_e32 v1, s1
	v_add_co_u32_e32 v4, vcc, s0, v4
	s_add_i32 s3, s3, s2
	v_addc_co_u32_e32 v5, vcc, v1, v5, vcc
	v_or_b32_e32 v2, s3, v0
	global_store_short_d16_hi v[4:5], v6, off
	v_lshlrev_b64 v[4:5], 1, v[2:3]
	s_add_i32 s3, s3, s2
	v_add_co_u32_e32 v4, vcc, s0, v4
	v_or_b32_e32 v2, s3, v0
	v_addc_co_u32_e32 v5, vcc, v1, v5, vcc
	v_lshlrev_b64 v[0:1], 1, v[2:3]
	v_mov_b32_e32 v2, s1
	v_add_co_u32_e32 v0, vcc, s0, v0
	v_addc_co_u32_e32 v1, vcc, v2, v1, vcc
	global_store_short_d16_hi v[4:5], v7, off
	global_store_short_d16_hi v[0:1], v8, off
.LBB717_785:
	s_endpgm
.LBB717_786:
	s_mov_b64 s[12:13], 0
                                        ; implicit-def: $sgpr36_sgpr37
	s_branch .LBB717_2
	.section	.rodata,"a",@progbits
	.p2align	6, 0x0
	.amdhsa_kernel _Z38paged_attention_ll4mi_QKV_mfma4_kernelI14__hip_bfloat16hLN4vllm18Fp8KVCacheDataTypeE1ES0_Li32ELi64ELi256ELb1ELi4EEvPKT_PKT0_S8_ifPKiSA_SA_iPKfiiiPfSD_PS3_PT2_iSC_SC_
		.amdhsa_group_segment_fixed_size 2720
		.amdhsa_private_segment_fixed_size 0
		.amdhsa_kernarg_size 400
		.amdhsa_user_sgpr_count 6
		.amdhsa_user_sgpr_private_segment_buffer 1
		.amdhsa_user_sgpr_dispatch_ptr 0
		.amdhsa_user_sgpr_queue_ptr 0
		.amdhsa_user_sgpr_kernarg_segment_ptr 1
		.amdhsa_user_sgpr_dispatch_id 0
		.amdhsa_user_sgpr_flat_scratch_init 0
		.amdhsa_user_sgpr_kernarg_preload_length 0
		.amdhsa_user_sgpr_kernarg_preload_offset 0
		.amdhsa_user_sgpr_private_segment_size 0
		.amdhsa_uses_dynamic_stack 0
		.amdhsa_system_sgpr_private_segment_wavefront_offset 0
		.amdhsa_system_sgpr_workgroup_id_x 1
		.amdhsa_system_sgpr_workgroup_id_y 1
		.amdhsa_system_sgpr_workgroup_id_z 1
		.amdhsa_system_sgpr_workgroup_info 0
		.amdhsa_system_vgpr_workitem_id 0
		.amdhsa_next_free_vgpr 64
		.amdhsa_next_free_sgpr 45
		.amdhsa_accum_offset 60
		.amdhsa_reserve_vcc 1
		.amdhsa_reserve_flat_scratch 0
		.amdhsa_float_round_mode_32 0
		.amdhsa_float_round_mode_16_64 0
		.amdhsa_float_denorm_mode_32 3
		.amdhsa_float_denorm_mode_16_64 3
		.amdhsa_dx10_clamp 1
		.amdhsa_ieee_mode 1
		.amdhsa_fp16_overflow 0
		.amdhsa_tg_split 0
		.amdhsa_exception_fp_ieee_invalid_op 0
		.amdhsa_exception_fp_denorm_src 0
		.amdhsa_exception_fp_ieee_div_zero 0
		.amdhsa_exception_fp_ieee_overflow 0
		.amdhsa_exception_fp_ieee_underflow 0
		.amdhsa_exception_fp_ieee_inexact 0
		.amdhsa_exception_int_div_zero 0
	.end_amdhsa_kernel
	.section	.text._Z38paged_attention_ll4mi_QKV_mfma4_kernelI14__hip_bfloat16hLN4vllm18Fp8KVCacheDataTypeE1ES0_Li32ELi64ELi256ELb1ELi4EEvPKT_PKT0_S8_ifPKiSA_SA_iPKfiiiPfSD_PS3_PT2_iSC_SC_,"axG",@progbits,_Z38paged_attention_ll4mi_QKV_mfma4_kernelI14__hip_bfloat16hLN4vllm18Fp8KVCacheDataTypeE1ES0_Li32ELi64ELi256ELb1ELi4EEvPKT_PKT0_S8_ifPKiSA_SA_iPKfiiiPfSD_PS3_PT2_iSC_SC_,comdat
.Lfunc_end717:
	.size	_Z38paged_attention_ll4mi_QKV_mfma4_kernelI14__hip_bfloat16hLN4vllm18Fp8KVCacheDataTypeE1ES0_Li32ELi64ELi256ELb1ELi4EEvPKT_PKT0_S8_ifPKiSA_SA_iPKfiiiPfSD_PS3_PT2_iSC_SC_, .Lfunc_end717-_Z38paged_attention_ll4mi_QKV_mfma4_kernelI14__hip_bfloat16hLN4vllm18Fp8KVCacheDataTypeE1ES0_Li32ELi64ELi256ELb1ELi4EEvPKT_PKT0_S8_ifPKiSA_SA_iPKfiiiPfSD_PS3_PT2_iSC_SC_
                                        ; -- End function
	.section	.AMDGPU.csdata,"",@progbits
; Kernel info:
; codeLenInByte = 27832
; NumSgprs: 49
; NumVgprs: 57
; NumAgprs: 4
; TotalNumVgprs: 64
; ScratchSize: 0
; MemoryBound: 0
; FloatMode: 240
; IeeeMode: 1
; LDSByteSize: 2720 bytes/workgroup (compile time only)
; SGPRBlocks: 6
; VGPRBlocks: 7
; NumSGPRsForWavesPerEU: 49
; NumVGPRsForWavesPerEU: 64
; AccumOffset: 60
; Occupancy: 8
; WaveLimiterHint : 1
; COMPUTE_PGM_RSRC2:SCRATCH_EN: 0
; COMPUTE_PGM_RSRC2:USER_SGPR: 6
; COMPUTE_PGM_RSRC2:TRAP_HANDLER: 0
; COMPUTE_PGM_RSRC2:TGID_X_EN: 1
; COMPUTE_PGM_RSRC2:TGID_Y_EN: 1
; COMPUTE_PGM_RSRC2:TGID_Z_EN: 1
; COMPUTE_PGM_RSRC2:TIDIG_COMP_CNT: 0
; COMPUTE_PGM_RSRC3_GFX90A:ACCUM_OFFSET: 14
; COMPUTE_PGM_RSRC3_GFX90A:TG_SPLIT: 0
	.section	.text._Z39paged_attention_ll4mi_QKV_mfma16_kernelI14__hip_bfloat16hLN4vllm18Fp8KVCacheDataTypeE1ES0_Li32ELi64ELi256ELb1ELi5EL8MFMAType1EEvPKT_PKT0_S9_ifPKiSB_SB_iPKfiiiPfSE_PS4_PT2_iSD_SD_,"axG",@progbits,_Z39paged_attention_ll4mi_QKV_mfma16_kernelI14__hip_bfloat16hLN4vllm18Fp8KVCacheDataTypeE1ES0_Li32ELi64ELi256ELb1ELi5EL8MFMAType1EEvPKT_PKT0_S9_ifPKiSB_SB_iPKfiiiPfSE_PS4_PT2_iSD_SD_,comdat
	.protected	_Z39paged_attention_ll4mi_QKV_mfma16_kernelI14__hip_bfloat16hLN4vllm18Fp8KVCacheDataTypeE1ES0_Li32ELi64ELi256ELb1ELi5EL8MFMAType1EEvPKT_PKT0_S9_ifPKiSB_SB_iPKfiiiPfSE_PS4_PT2_iSD_SD_ ; -- Begin function _Z39paged_attention_ll4mi_QKV_mfma16_kernelI14__hip_bfloat16hLN4vllm18Fp8KVCacheDataTypeE1ES0_Li32ELi64ELi256ELb1ELi5EL8MFMAType1EEvPKT_PKT0_S9_ifPKiSB_SB_iPKfiiiPfSE_PS4_PT2_iSD_SD_
	.globl	_Z39paged_attention_ll4mi_QKV_mfma16_kernelI14__hip_bfloat16hLN4vllm18Fp8KVCacheDataTypeE1ES0_Li32ELi64ELi256ELb1ELi5EL8MFMAType1EEvPKT_PKT0_S9_ifPKiSB_SB_iPKfiiiPfSE_PS4_PT2_iSD_SD_
	.p2align	8
	.type	_Z39paged_attention_ll4mi_QKV_mfma16_kernelI14__hip_bfloat16hLN4vllm18Fp8KVCacheDataTypeE1ES0_Li32ELi64ELi256ELb1ELi5EL8MFMAType1EEvPKT_PKT0_S9_ifPKiSB_SB_iPKfiiiPfSE_PS4_PT2_iSD_SD_,@function
_Z39paged_attention_ll4mi_QKV_mfma16_kernelI14__hip_bfloat16hLN4vllm18Fp8KVCacheDataTypeE1ES0_Li32ELi64ELi256ELb1ELi5EL8MFMAType1EEvPKT_PKT0_S9_ifPKiSB_SB_iPKfiiiPfSE_PS4_PT2_iSD_SD_: ; @_Z39paged_attention_ll4mi_QKV_mfma16_kernelI14__hip_bfloat16hLN4vllm18Fp8KVCacheDataTypeE1ES0_Li32ELi64ELi256ELb1ELi5EL8MFMAType1EEvPKT_PKT0_S9_ifPKiSB_SB_iPKfiiiPfSE_PS4_PT2_iSD_SD_
; %bb.0:
	s_load_dwordx2 s[12:13], s[4:5], 0x30
	s_add_u32 flat_scratch_lo, s6, s11
	s_addc_u32 flat_scratch_hi, s7, 0
	s_add_u32 s0, s0, s11
	s_addc_u32 s1, s1, 0
	s_waitcnt lgkmcnt(0)
	s_cmp_lg_u64 s[12:13], 0
	s_cselect_b64 s[14:15], -1, 0
	s_mov_b32 s6, s9
	s_mov_b64 s[16:17], 0
	s_and_b64 vcc, exec, s[14:15]
	s_mov_b32 s32, 0
	s_cbranch_vccz .LBB718_11
; %bb.1:
	s_add_i32 s18, s8, 1
	s_mov_b32 s19, 0
	s_lshl_b64 s[20:21], s[18:19], 2
	s_add_u32 s20, s12, s20
	s_mov_b32 s9, s19
	s_addc_u32 s21, s13, s21
	s_lshl_b64 s[18:19], s[8:9], 2
	s_add_u32 s18, s12, s18
	s_addc_u32 s19, s13, s19
	s_load_dword s7, s[20:21], 0x0
	s_load_dword s11, s[18:19], 0x0
	s_waitcnt lgkmcnt(0)
	s_sub_i32 s7, s7, s11
	s_cmp_eq_u32 s7, 1
	s_cselect_b64 s[18:19], -1, 0
	s_andn2_b64 vcc, exec, s[16:17]
	s_cbranch_vccnz .LBB718_3
.LBB718_2:
	s_mov_b32 s9, 0
	s_mov_b64 s[18:19], -1
.LBB718_3:
	s_andn2_b64 vcc, exec, s[18:19]
	s_cbranch_vccnz .LBB718_10
; %bb.4:
	s_load_dwordx2 s[18:19], s[4:5], 0x28
	s_lshl_b64 s[16:17], s[8:9], 2
	s_waitcnt lgkmcnt(0)
	s_add_u32 s18, s18, s16
	s_addc_u32 s19, s19, s17
	s_load_dword s7, s[18:19], 0x0
	s_lshl_b32 s6, s6, 8
	s_waitcnt lgkmcnt(0)
	s_cmp_ge_i32 s6, s7
	s_cbranch_scc1 .LBB718_10
; %bb.5:
	s_andn2_b64 vcc, exec, s[14:15]
	s_cbranch_vccnz .LBB718_7
; %bb.6:
	s_add_u32 s6, s12, s16
	s_addc_u32 s7, s13, s17
	s_load_dword s8, s[6:7], 0x0
.LBB718_7:
	v_and_b32_e32 v1, 15, v0
	s_movk_i32 s6, 0x50
	v_cmp_gt_u32_e32 vcc, s6, v0
	v_cmp_gt_u32_e64 s[6:7], 8, v1
	s_and_b64 s[12:13], s[6:7], vcc
	s_and_saveexec_b64 s[6:7], s[12:13]
	s_cbranch_execz .LBB718_9
; %bb.8:
	s_load_dword s11, s[4:5], 0x48
	s_load_dwordx2 s[12:13], s[4:5], 0x0
	v_lshrrev_b32_e32 v6, 4, v0
	s_mul_i32 s10, s10, 5
	v_add_lshl_u32 v2, v6, s10, 6
	s_waitcnt lgkmcnt(0)
	s_ashr_i32 s9, s11, 31
	s_mul_hi_u32 s14, s8, s11
	s_mul_i32 s9, s8, s9
	s_add_i32 s9, s14, s9
	s_mul_i32 s8, s8, s11
	s_lshl_b64 s[8:9], s[8:9], 1
	s_add_u32 s8, s12, s8
	v_ashrrev_i32_e32 v3, 31, v2
	s_addc_u32 s9, s13, s9
	v_lshlrev_b64 v[2:3], 1, v[2:3]
	v_mov_b32_e32 v4, s9
	v_add_co_u32_e32 v2, vcc, s8, v2
	v_addc_co_u32_e32 v3, vcc, v4, v3, vcc
	v_lshlrev_b32_e32 v4, 4, v1
	v_add_co_u32_e32 v2, vcc, v2, v4
	v_addc_co_u32_e32 v3, vcc, 0, v3, vcc
	global_load_dwordx4 v[2:5], v[2:3], off
	v_lshlrev_b32_e32 v0, 4, v0
	v_lshlrev_b32_e32 v1, 8, v1
	v_and_b32_e32 v0, 16, v0
	v_lshlrev_b32_e32 v6, 5, v6
	v_and_b32_e32 v1, 0xe00, v1
	v_or3_b32 v0, v1, v6, v0
	s_waitcnt vmcnt(0)
	ds_write_b128 v0, v[2:5]
.LBB718_9:
	s_or_b64 exec, exec, s[6:7]
	s_waitcnt lgkmcnt(0)
	s_add_u32 s8, s4, 0x90
	s_addc_u32 s9, s5, 0
	s_getpc_b64 s[4:5]
	s_add_u32 s4, s4, __PRETTY_FUNCTION__._Z39paged_attention_ll4mi_QKV_mfma16_kernelI14__hip_bfloat16hLN4vllm18Fp8KVCacheDataTypeE1ES0_Li32ELi64ELi256ELb1ELi5EL8MFMAType1EEvPKT_PKT0_S9_ifPKiSB_SB_iPKfiiiPfSE_PS4_PT2_iSD_SD_@rel32@lo+4
	s_addc_u32 s5, s5, __PRETTY_FUNCTION__._Z39paged_attention_ll4mi_QKV_mfma16_kernelI14__hip_bfloat16hLN4vllm18Fp8KVCacheDataTypeE1ES0_Li32ELi64ELi256ELb1ELi5EL8MFMAType1EEvPKT_PKT0_S9_ifPKiSB_SB_iPKfiiiPfSE_PS4_PT2_iSD_SD_@rel32@hi+12
	v_mov_b32_e32 v0, 0x288
	v_mov_b32_e32 v1, s4
	;; [unrolled: 1-line block ×3, first 2 shown]
	s_barrier
	s_getpc_b64 s[6:7]
	s_add_u32 s6, s6, __assert_fail@rel32@lo+4
	s_addc_u32 s7, s7, __assert_fail@rel32@hi+12
	s_swappc_b64 s[30:31], s[6:7]
	; divergent unreachable
.LBB718_10:
	s_endpgm
.LBB718_11:
	s_mov_b64 s[18:19], 0
	s_branch .LBB718_2
	.section	.rodata,"a",@progbits
	.p2align	6, 0x0
	.amdhsa_kernel _Z39paged_attention_ll4mi_QKV_mfma16_kernelI14__hip_bfloat16hLN4vllm18Fp8KVCacheDataTypeE1ES0_Li32ELi64ELi256ELb1ELi5EL8MFMAType1EEvPKT_PKT0_S9_ifPKiSB_SB_iPKfiiiPfSE_PS4_PT2_iSD_SD_
		.amdhsa_group_segment_fixed_size 8192
		.amdhsa_private_segment_fixed_size 64
		.amdhsa_kernarg_size 400
		.amdhsa_user_sgpr_count 8
		.amdhsa_user_sgpr_private_segment_buffer 1
		.amdhsa_user_sgpr_dispatch_ptr 0
		.amdhsa_user_sgpr_queue_ptr 0
		.amdhsa_user_sgpr_kernarg_segment_ptr 1
		.amdhsa_user_sgpr_dispatch_id 0
		.amdhsa_user_sgpr_flat_scratch_init 1
		.amdhsa_user_sgpr_kernarg_preload_length 0
		.amdhsa_user_sgpr_kernarg_preload_offset 0
		.amdhsa_user_sgpr_private_segment_size 0
		.amdhsa_uses_dynamic_stack 0
		.amdhsa_system_sgpr_private_segment_wavefront_offset 1
		.amdhsa_system_sgpr_workgroup_id_x 1
		.amdhsa_system_sgpr_workgroup_id_y 1
		.amdhsa_system_sgpr_workgroup_id_z 1
		.amdhsa_system_sgpr_workgroup_info 0
		.amdhsa_system_vgpr_workitem_id 0
		.amdhsa_next_free_vgpr 45
		.amdhsa_next_free_sgpr 34
		.amdhsa_accum_offset 44
		.amdhsa_reserve_vcc 1
		.amdhsa_reserve_flat_scratch 1
		.amdhsa_float_round_mode_32 0
		.amdhsa_float_round_mode_16_64 0
		.amdhsa_float_denorm_mode_32 3
		.amdhsa_float_denorm_mode_16_64 3
		.amdhsa_dx10_clamp 1
		.amdhsa_ieee_mode 1
		.amdhsa_fp16_overflow 0
		.amdhsa_tg_split 0
		.amdhsa_exception_fp_ieee_invalid_op 0
		.amdhsa_exception_fp_denorm_src 0
		.amdhsa_exception_fp_ieee_div_zero 0
		.amdhsa_exception_fp_ieee_overflow 0
		.amdhsa_exception_fp_ieee_underflow 0
		.amdhsa_exception_fp_ieee_inexact 0
		.amdhsa_exception_int_div_zero 0
	.end_amdhsa_kernel
	.section	.text._Z39paged_attention_ll4mi_QKV_mfma16_kernelI14__hip_bfloat16hLN4vllm18Fp8KVCacheDataTypeE1ES0_Li32ELi64ELi256ELb1ELi5EL8MFMAType1EEvPKT_PKT0_S9_ifPKiSB_SB_iPKfiiiPfSE_PS4_PT2_iSD_SD_,"axG",@progbits,_Z39paged_attention_ll4mi_QKV_mfma16_kernelI14__hip_bfloat16hLN4vllm18Fp8KVCacheDataTypeE1ES0_Li32ELi64ELi256ELb1ELi5EL8MFMAType1EEvPKT_PKT0_S9_ifPKiSB_SB_iPKfiiiPfSE_PS4_PT2_iSD_SD_,comdat
.Lfunc_end718:
	.size	_Z39paged_attention_ll4mi_QKV_mfma16_kernelI14__hip_bfloat16hLN4vllm18Fp8KVCacheDataTypeE1ES0_Li32ELi64ELi256ELb1ELi5EL8MFMAType1EEvPKT_PKT0_S9_ifPKiSB_SB_iPKfiiiPfSE_PS4_PT2_iSD_SD_, .Lfunc_end718-_Z39paged_attention_ll4mi_QKV_mfma16_kernelI14__hip_bfloat16hLN4vllm18Fp8KVCacheDataTypeE1ES0_Li32ELi64ELi256ELb1ELi5EL8MFMAType1EEvPKT_PKT0_S9_ifPKiSB_SB_iPKfiiiPfSE_PS4_PT2_iSD_SD_
                                        ; -- End function
	.section	.AMDGPU.csdata,"",@progbits
; Kernel info:
; codeLenInByte = 504
; NumSgprs: 40
; NumVgprs: 42
; NumAgprs: 1
; TotalNumVgprs: 45
; ScratchSize: 64
; MemoryBound: 0
; FloatMode: 240
; IeeeMode: 1
; LDSByteSize: 8192 bytes/workgroup (compile time only)
; SGPRBlocks: 4
; VGPRBlocks: 5
; NumSGPRsForWavesPerEU: 40
; NumVGPRsForWavesPerEU: 45
; AccumOffset: 44
; Occupancy: 8
; WaveLimiterHint : 1
; COMPUTE_PGM_RSRC2:SCRATCH_EN: 1
; COMPUTE_PGM_RSRC2:USER_SGPR: 8
; COMPUTE_PGM_RSRC2:TRAP_HANDLER: 0
; COMPUTE_PGM_RSRC2:TGID_X_EN: 1
; COMPUTE_PGM_RSRC2:TGID_Y_EN: 1
; COMPUTE_PGM_RSRC2:TGID_Z_EN: 1
; COMPUTE_PGM_RSRC2:TIDIG_COMP_CNT: 0
; COMPUTE_PGM_RSRC3_GFX90A:ACCUM_OFFSET: 10
; COMPUTE_PGM_RSRC3_GFX90A:TG_SPLIT: 0
	.section	.text._Z39paged_attention_ll4mi_QKV_mfma16_kernelI14__hip_bfloat16hLN4vllm18Fp8KVCacheDataTypeE1ES0_Li32ELi64ELi256ELb1ELi6EL8MFMAType1EEvPKT_PKT0_S9_ifPKiSB_SB_iPKfiiiPfSE_PS4_PT2_iSD_SD_,"axG",@progbits,_Z39paged_attention_ll4mi_QKV_mfma16_kernelI14__hip_bfloat16hLN4vllm18Fp8KVCacheDataTypeE1ES0_Li32ELi64ELi256ELb1ELi6EL8MFMAType1EEvPKT_PKT0_S9_ifPKiSB_SB_iPKfiiiPfSE_PS4_PT2_iSD_SD_,comdat
	.protected	_Z39paged_attention_ll4mi_QKV_mfma16_kernelI14__hip_bfloat16hLN4vllm18Fp8KVCacheDataTypeE1ES0_Li32ELi64ELi256ELb1ELi6EL8MFMAType1EEvPKT_PKT0_S9_ifPKiSB_SB_iPKfiiiPfSE_PS4_PT2_iSD_SD_ ; -- Begin function _Z39paged_attention_ll4mi_QKV_mfma16_kernelI14__hip_bfloat16hLN4vllm18Fp8KVCacheDataTypeE1ES0_Li32ELi64ELi256ELb1ELi6EL8MFMAType1EEvPKT_PKT0_S9_ifPKiSB_SB_iPKfiiiPfSE_PS4_PT2_iSD_SD_
	.globl	_Z39paged_attention_ll4mi_QKV_mfma16_kernelI14__hip_bfloat16hLN4vllm18Fp8KVCacheDataTypeE1ES0_Li32ELi64ELi256ELb1ELi6EL8MFMAType1EEvPKT_PKT0_S9_ifPKiSB_SB_iPKfiiiPfSE_PS4_PT2_iSD_SD_
	.p2align	8
	.type	_Z39paged_attention_ll4mi_QKV_mfma16_kernelI14__hip_bfloat16hLN4vllm18Fp8KVCacheDataTypeE1ES0_Li32ELi64ELi256ELb1ELi6EL8MFMAType1EEvPKT_PKT0_S9_ifPKiSB_SB_iPKfiiiPfSE_PS4_PT2_iSD_SD_,@function
_Z39paged_attention_ll4mi_QKV_mfma16_kernelI14__hip_bfloat16hLN4vllm18Fp8KVCacheDataTypeE1ES0_Li32ELi64ELi256ELb1ELi6EL8MFMAType1EEvPKT_PKT0_S9_ifPKiSB_SB_iPKfiiiPfSE_PS4_PT2_iSD_SD_: ; @_Z39paged_attention_ll4mi_QKV_mfma16_kernelI14__hip_bfloat16hLN4vllm18Fp8KVCacheDataTypeE1ES0_Li32ELi64ELi256ELb1ELi6EL8MFMAType1EEvPKT_PKT0_S9_ifPKiSB_SB_iPKfiiiPfSE_PS4_PT2_iSD_SD_
; %bb.0:
	s_load_dwordx2 s[12:13], s[4:5], 0x30
	s_add_u32 flat_scratch_lo, s6, s11
	s_addc_u32 flat_scratch_hi, s7, 0
	s_add_u32 s0, s0, s11
	s_addc_u32 s1, s1, 0
	s_waitcnt lgkmcnt(0)
	s_cmp_lg_u64 s[12:13], 0
	s_cselect_b64 s[14:15], -1, 0
	s_mov_b32 s6, s9
	s_mov_b64 s[16:17], 0
	s_and_b64 vcc, exec, s[14:15]
	s_mov_b32 s32, 0
	s_cbranch_vccz .LBB719_11
; %bb.1:
	s_add_i32 s18, s8, 1
	s_mov_b32 s19, 0
	s_lshl_b64 s[20:21], s[18:19], 2
	s_add_u32 s20, s12, s20
	s_mov_b32 s9, s19
	s_addc_u32 s21, s13, s21
	s_lshl_b64 s[18:19], s[8:9], 2
	s_add_u32 s18, s12, s18
	s_addc_u32 s19, s13, s19
	s_load_dword s7, s[20:21], 0x0
	s_load_dword s11, s[18:19], 0x0
	s_waitcnt lgkmcnt(0)
	s_sub_i32 s7, s7, s11
	s_cmp_eq_u32 s7, 1
	s_cselect_b64 s[18:19], -1, 0
	s_andn2_b64 vcc, exec, s[16:17]
	s_cbranch_vccnz .LBB719_3
.LBB719_2:
	s_mov_b32 s9, 0
	s_mov_b64 s[18:19], -1
.LBB719_3:
	s_andn2_b64 vcc, exec, s[18:19]
	s_cbranch_vccnz .LBB719_10
; %bb.4:
	s_load_dwordx2 s[18:19], s[4:5], 0x28
	s_lshl_b64 s[16:17], s[8:9], 2
	s_waitcnt lgkmcnt(0)
	s_add_u32 s18, s18, s16
	s_addc_u32 s19, s19, s17
	s_load_dword s7, s[18:19], 0x0
	s_lshl_b32 s6, s6, 8
	s_waitcnt lgkmcnt(0)
	s_cmp_ge_i32 s6, s7
	s_cbranch_scc1 .LBB719_10
; %bb.5:
	s_andn2_b64 vcc, exec, s[14:15]
	s_cbranch_vccnz .LBB719_7
; %bb.6:
	s_add_u32 s6, s12, s16
	s_addc_u32 s7, s13, s17
	s_load_dword s8, s[6:7], 0x0
.LBB719_7:
	v_and_b32_e32 v1, 15, v0
	s_movk_i32 s6, 0x60
	v_cmp_gt_u32_e32 vcc, s6, v0
	v_cmp_gt_u32_e64 s[6:7], 8, v1
	s_and_b64 s[12:13], s[6:7], vcc
	s_and_saveexec_b64 s[6:7], s[12:13]
	s_cbranch_execz .LBB719_9
; %bb.8:
	s_load_dword s11, s[4:5], 0x48
	s_load_dwordx2 s[12:13], s[4:5], 0x0
	v_lshrrev_b32_e32 v6, 4, v0
	s_mul_i32 s10, s10, 6
	v_add_lshl_u32 v2, v6, s10, 6
	s_waitcnt lgkmcnt(0)
	s_ashr_i32 s9, s11, 31
	s_mul_hi_u32 s14, s8, s11
	s_mul_i32 s9, s8, s9
	s_add_i32 s9, s14, s9
	s_mul_i32 s8, s8, s11
	s_lshl_b64 s[8:9], s[8:9], 1
	s_add_u32 s8, s12, s8
	v_ashrrev_i32_e32 v3, 31, v2
	s_addc_u32 s9, s13, s9
	v_lshlrev_b64 v[2:3], 1, v[2:3]
	v_mov_b32_e32 v4, s9
	v_add_co_u32_e32 v2, vcc, s8, v2
	v_addc_co_u32_e32 v3, vcc, v4, v3, vcc
	v_lshlrev_b32_e32 v4, 4, v1
	v_add_co_u32_e32 v2, vcc, v2, v4
	v_addc_co_u32_e32 v3, vcc, 0, v3, vcc
	global_load_dwordx4 v[2:5], v[2:3], off
	v_lshlrev_b32_e32 v0, 4, v0
	v_lshlrev_b32_e32 v1, 8, v1
	v_and_b32_e32 v0, 16, v0
	v_lshlrev_b32_e32 v6, 5, v6
	v_and_b32_e32 v1, 0xe00, v1
	v_or3_b32 v0, v1, v6, v0
	s_waitcnt vmcnt(0)
	ds_write_b128 v0, v[2:5]
.LBB719_9:
	s_or_b64 exec, exec, s[6:7]
	s_waitcnt lgkmcnt(0)
	s_add_u32 s8, s4, 0x90
	s_addc_u32 s9, s5, 0
	s_getpc_b64 s[4:5]
	s_add_u32 s4, s4, __PRETTY_FUNCTION__._Z39paged_attention_ll4mi_QKV_mfma16_kernelI14__hip_bfloat16hLN4vllm18Fp8KVCacheDataTypeE1ES0_Li32ELi64ELi256ELb1ELi6EL8MFMAType1EEvPKT_PKT0_S9_ifPKiSB_SB_iPKfiiiPfSE_PS4_PT2_iSD_SD_@rel32@lo+4
	s_addc_u32 s5, s5, __PRETTY_FUNCTION__._Z39paged_attention_ll4mi_QKV_mfma16_kernelI14__hip_bfloat16hLN4vllm18Fp8KVCacheDataTypeE1ES0_Li32ELi64ELi256ELb1ELi6EL8MFMAType1EEvPKT_PKT0_S9_ifPKiSB_SB_iPKfiiiPfSE_PS4_PT2_iSD_SD_@rel32@hi+12
	v_mov_b32_e32 v0, 0x288
	v_mov_b32_e32 v1, s4
	;; [unrolled: 1-line block ×3, first 2 shown]
	s_barrier
	s_getpc_b64 s[6:7]
	s_add_u32 s6, s6, __assert_fail@rel32@lo+4
	s_addc_u32 s7, s7, __assert_fail@rel32@hi+12
	s_swappc_b64 s[30:31], s[6:7]
	; divergent unreachable
.LBB719_10:
	s_endpgm
.LBB719_11:
	s_mov_b64 s[18:19], 0
	s_branch .LBB719_2
	.section	.rodata,"a",@progbits
	.p2align	6, 0x0
	.amdhsa_kernel _Z39paged_attention_ll4mi_QKV_mfma16_kernelI14__hip_bfloat16hLN4vllm18Fp8KVCacheDataTypeE1ES0_Li32ELi64ELi256ELb1ELi6EL8MFMAType1EEvPKT_PKT0_S9_ifPKiSB_SB_iPKfiiiPfSE_PS4_PT2_iSD_SD_
		.amdhsa_group_segment_fixed_size 8192
		.amdhsa_private_segment_fixed_size 64
		.amdhsa_kernarg_size 400
		.amdhsa_user_sgpr_count 8
		.amdhsa_user_sgpr_private_segment_buffer 1
		.amdhsa_user_sgpr_dispatch_ptr 0
		.amdhsa_user_sgpr_queue_ptr 0
		.amdhsa_user_sgpr_kernarg_segment_ptr 1
		.amdhsa_user_sgpr_dispatch_id 0
		.amdhsa_user_sgpr_flat_scratch_init 1
		.amdhsa_user_sgpr_kernarg_preload_length 0
		.amdhsa_user_sgpr_kernarg_preload_offset 0
		.amdhsa_user_sgpr_private_segment_size 0
		.amdhsa_uses_dynamic_stack 0
		.amdhsa_system_sgpr_private_segment_wavefront_offset 1
		.amdhsa_system_sgpr_workgroup_id_x 1
		.amdhsa_system_sgpr_workgroup_id_y 1
		.amdhsa_system_sgpr_workgroup_id_z 1
		.amdhsa_system_sgpr_workgroup_info 0
		.amdhsa_system_vgpr_workitem_id 0
		.amdhsa_next_free_vgpr 45
		.amdhsa_next_free_sgpr 34
		.amdhsa_accum_offset 44
		.amdhsa_reserve_vcc 1
		.amdhsa_reserve_flat_scratch 1
		.amdhsa_float_round_mode_32 0
		.amdhsa_float_round_mode_16_64 0
		.amdhsa_float_denorm_mode_32 3
		.amdhsa_float_denorm_mode_16_64 3
		.amdhsa_dx10_clamp 1
		.amdhsa_ieee_mode 1
		.amdhsa_fp16_overflow 0
		.amdhsa_tg_split 0
		.amdhsa_exception_fp_ieee_invalid_op 0
		.amdhsa_exception_fp_denorm_src 0
		.amdhsa_exception_fp_ieee_div_zero 0
		.amdhsa_exception_fp_ieee_overflow 0
		.amdhsa_exception_fp_ieee_underflow 0
		.amdhsa_exception_fp_ieee_inexact 0
		.amdhsa_exception_int_div_zero 0
	.end_amdhsa_kernel
	.section	.text._Z39paged_attention_ll4mi_QKV_mfma16_kernelI14__hip_bfloat16hLN4vllm18Fp8KVCacheDataTypeE1ES0_Li32ELi64ELi256ELb1ELi6EL8MFMAType1EEvPKT_PKT0_S9_ifPKiSB_SB_iPKfiiiPfSE_PS4_PT2_iSD_SD_,"axG",@progbits,_Z39paged_attention_ll4mi_QKV_mfma16_kernelI14__hip_bfloat16hLN4vllm18Fp8KVCacheDataTypeE1ES0_Li32ELi64ELi256ELb1ELi6EL8MFMAType1EEvPKT_PKT0_S9_ifPKiSB_SB_iPKfiiiPfSE_PS4_PT2_iSD_SD_,comdat
.Lfunc_end719:
	.size	_Z39paged_attention_ll4mi_QKV_mfma16_kernelI14__hip_bfloat16hLN4vllm18Fp8KVCacheDataTypeE1ES0_Li32ELi64ELi256ELb1ELi6EL8MFMAType1EEvPKT_PKT0_S9_ifPKiSB_SB_iPKfiiiPfSE_PS4_PT2_iSD_SD_, .Lfunc_end719-_Z39paged_attention_ll4mi_QKV_mfma16_kernelI14__hip_bfloat16hLN4vllm18Fp8KVCacheDataTypeE1ES0_Li32ELi64ELi256ELb1ELi6EL8MFMAType1EEvPKT_PKT0_S9_ifPKiSB_SB_iPKfiiiPfSE_PS4_PT2_iSD_SD_
                                        ; -- End function
	.section	.AMDGPU.csdata,"",@progbits
; Kernel info:
; codeLenInByte = 504
; NumSgprs: 40
; NumVgprs: 42
; NumAgprs: 1
; TotalNumVgprs: 45
; ScratchSize: 64
; MemoryBound: 0
; FloatMode: 240
; IeeeMode: 1
; LDSByteSize: 8192 bytes/workgroup (compile time only)
; SGPRBlocks: 4
; VGPRBlocks: 5
; NumSGPRsForWavesPerEU: 40
; NumVGPRsForWavesPerEU: 45
; AccumOffset: 44
; Occupancy: 8
; WaveLimiterHint : 1
; COMPUTE_PGM_RSRC2:SCRATCH_EN: 1
; COMPUTE_PGM_RSRC2:USER_SGPR: 8
; COMPUTE_PGM_RSRC2:TRAP_HANDLER: 0
; COMPUTE_PGM_RSRC2:TGID_X_EN: 1
; COMPUTE_PGM_RSRC2:TGID_Y_EN: 1
; COMPUTE_PGM_RSRC2:TGID_Z_EN: 1
; COMPUTE_PGM_RSRC2:TIDIG_COMP_CNT: 0
; COMPUTE_PGM_RSRC3_GFX90A:ACCUM_OFFSET: 10
; COMPUTE_PGM_RSRC3_GFX90A:TG_SPLIT: 0
	.section	.text._Z39paged_attention_ll4mi_QKV_mfma16_kernelI14__hip_bfloat16hLN4vllm18Fp8KVCacheDataTypeE1ES0_Li32ELi64ELi256ELb1ELi7EL8MFMAType1EEvPKT_PKT0_S9_ifPKiSB_SB_iPKfiiiPfSE_PS4_PT2_iSD_SD_,"axG",@progbits,_Z39paged_attention_ll4mi_QKV_mfma16_kernelI14__hip_bfloat16hLN4vllm18Fp8KVCacheDataTypeE1ES0_Li32ELi64ELi256ELb1ELi7EL8MFMAType1EEvPKT_PKT0_S9_ifPKiSB_SB_iPKfiiiPfSE_PS4_PT2_iSD_SD_,comdat
	.protected	_Z39paged_attention_ll4mi_QKV_mfma16_kernelI14__hip_bfloat16hLN4vllm18Fp8KVCacheDataTypeE1ES0_Li32ELi64ELi256ELb1ELi7EL8MFMAType1EEvPKT_PKT0_S9_ifPKiSB_SB_iPKfiiiPfSE_PS4_PT2_iSD_SD_ ; -- Begin function _Z39paged_attention_ll4mi_QKV_mfma16_kernelI14__hip_bfloat16hLN4vllm18Fp8KVCacheDataTypeE1ES0_Li32ELi64ELi256ELb1ELi7EL8MFMAType1EEvPKT_PKT0_S9_ifPKiSB_SB_iPKfiiiPfSE_PS4_PT2_iSD_SD_
	.globl	_Z39paged_attention_ll4mi_QKV_mfma16_kernelI14__hip_bfloat16hLN4vllm18Fp8KVCacheDataTypeE1ES0_Li32ELi64ELi256ELb1ELi7EL8MFMAType1EEvPKT_PKT0_S9_ifPKiSB_SB_iPKfiiiPfSE_PS4_PT2_iSD_SD_
	.p2align	8
	.type	_Z39paged_attention_ll4mi_QKV_mfma16_kernelI14__hip_bfloat16hLN4vllm18Fp8KVCacheDataTypeE1ES0_Li32ELi64ELi256ELb1ELi7EL8MFMAType1EEvPKT_PKT0_S9_ifPKiSB_SB_iPKfiiiPfSE_PS4_PT2_iSD_SD_,@function
_Z39paged_attention_ll4mi_QKV_mfma16_kernelI14__hip_bfloat16hLN4vllm18Fp8KVCacheDataTypeE1ES0_Li32ELi64ELi256ELb1ELi7EL8MFMAType1EEvPKT_PKT0_S9_ifPKiSB_SB_iPKfiiiPfSE_PS4_PT2_iSD_SD_: ; @_Z39paged_attention_ll4mi_QKV_mfma16_kernelI14__hip_bfloat16hLN4vllm18Fp8KVCacheDataTypeE1ES0_Li32ELi64ELi256ELb1ELi7EL8MFMAType1EEvPKT_PKT0_S9_ifPKiSB_SB_iPKfiiiPfSE_PS4_PT2_iSD_SD_
; %bb.0:
	s_load_dwordx2 s[12:13], s[4:5], 0x30
	s_add_u32 flat_scratch_lo, s6, s11
	s_addc_u32 flat_scratch_hi, s7, 0
	s_add_u32 s0, s0, s11
	s_addc_u32 s1, s1, 0
	s_waitcnt lgkmcnt(0)
	s_cmp_lg_u64 s[12:13], 0
	s_cselect_b64 s[14:15], -1, 0
	s_mov_b32 s6, s9
	s_mov_b64 s[16:17], 0
	s_and_b64 vcc, exec, s[14:15]
	s_mov_b32 s32, 0
	s_cbranch_vccz .LBB720_11
; %bb.1:
	s_add_i32 s18, s8, 1
	s_mov_b32 s19, 0
	s_lshl_b64 s[20:21], s[18:19], 2
	s_add_u32 s20, s12, s20
	s_mov_b32 s9, s19
	s_addc_u32 s21, s13, s21
	s_lshl_b64 s[18:19], s[8:9], 2
	s_add_u32 s18, s12, s18
	s_addc_u32 s19, s13, s19
	s_load_dword s7, s[20:21], 0x0
	s_load_dword s11, s[18:19], 0x0
	s_waitcnt lgkmcnt(0)
	s_sub_i32 s7, s7, s11
	s_cmp_eq_u32 s7, 1
	s_cselect_b64 s[18:19], -1, 0
	s_andn2_b64 vcc, exec, s[16:17]
	s_cbranch_vccnz .LBB720_3
.LBB720_2:
	s_mov_b32 s9, 0
	s_mov_b64 s[18:19], -1
.LBB720_3:
	s_andn2_b64 vcc, exec, s[18:19]
	s_cbranch_vccnz .LBB720_10
; %bb.4:
	s_load_dwordx2 s[18:19], s[4:5], 0x28
	s_lshl_b64 s[16:17], s[8:9], 2
	s_waitcnt lgkmcnt(0)
	s_add_u32 s18, s18, s16
	s_addc_u32 s19, s19, s17
	s_load_dword s7, s[18:19], 0x0
	s_lshl_b32 s6, s6, 8
	s_waitcnt lgkmcnt(0)
	s_cmp_ge_i32 s6, s7
	s_cbranch_scc1 .LBB720_10
; %bb.5:
	s_andn2_b64 vcc, exec, s[14:15]
	s_cbranch_vccnz .LBB720_7
; %bb.6:
	s_add_u32 s6, s12, s16
	s_addc_u32 s7, s13, s17
	s_load_dword s8, s[6:7], 0x0
.LBB720_7:
	v_and_b32_e32 v1, 15, v0
	s_movk_i32 s6, 0x70
	v_cmp_gt_u32_e32 vcc, s6, v0
	v_cmp_gt_u32_e64 s[6:7], 8, v1
	s_and_b64 s[12:13], s[6:7], vcc
	s_and_saveexec_b64 s[6:7], s[12:13]
	s_cbranch_execz .LBB720_9
; %bb.8:
	s_load_dword s11, s[4:5], 0x48
	s_load_dwordx2 s[12:13], s[4:5], 0x0
	v_lshrrev_b32_e32 v6, 4, v0
	s_mul_i32 s10, s10, 7
	v_add_lshl_u32 v2, v6, s10, 6
	s_waitcnt lgkmcnt(0)
	s_ashr_i32 s9, s11, 31
	s_mul_hi_u32 s14, s8, s11
	s_mul_i32 s9, s8, s9
	s_add_i32 s9, s14, s9
	s_mul_i32 s8, s8, s11
	s_lshl_b64 s[8:9], s[8:9], 1
	s_add_u32 s8, s12, s8
	v_ashrrev_i32_e32 v3, 31, v2
	s_addc_u32 s9, s13, s9
	v_lshlrev_b64 v[2:3], 1, v[2:3]
	v_mov_b32_e32 v4, s9
	v_add_co_u32_e32 v2, vcc, s8, v2
	v_addc_co_u32_e32 v3, vcc, v4, v3, vcc
	v_lshlrev_b32_e32 v4, 4, v1
	v_add_co_u32_e32 v2, vcc, v2, v4
	v_addc_co_u32_e32 v3, vcc, 0, v3, vcc
	global_load_dwordx4 v[2:5], v[2:3], off
	v_lshlrev_b32_e32 v0, 4, v0
	v_lshlrev_b32_e32 v1, 8, v1
	v_and_b32_e32 v0, 16, v0
	v_lshlrev_b32_e32 v6, 5, v6
	v_and_b32_e32 v1, 0xe00, v1
	v_or3_b32 v0, v1, v6, v0
	s_waitcnt vmcnt(0)
	ds_write_b128 v0, v[2:5]
.LBB720_9:
	s_or_b64 exec, exec, s[6:7]
	s_waitcnt lgkmcnt(0)
	s_add_u32 s8, s4, 0x90
	s_addc_u32 s9, s5, 0
	s_getpc_b64 s[4:5]
	s_add_u32 s4, s4, __PRETTY_FUNCTION__._Z39paged_attention_ll4mi_QKV_mfma16_kernelI14__hip_bfloat16hLN4vllm18Fp8KVCacheDataTypeE1ES0_Li32ELi64ELi256ELb1ELi7EL8MFMAType1EEvPKT_PKT0_S9_ifPKiSB_SB_iPKfiiiPfSE_PS4_PT2_iSD_SD_@rel32@lo+4
	s_addc_u32 s5, s5, __PRETTY_FUNCTION__._Z39paged_attention_ll4mi_QKV_mfma16_kernelI14__hip_bfloat16hLN4vllm18Fp8KVCacheDataTypeE1ES0_Li32ELi64ELi256ELb1ELi7EL8MFMAType1EEvPKT_PKT0_S9_ifPKiSB_SB_iPKfiiiPfSE_PS4_PT2_iSD_SD_@rel32@hi+12
	v_mov_b32_e32 v0, 0x288
	v_mov_b32_e32 v1, s4
	;; [unrolled: 1-line block ×3, first 2 shown]
	s_barrier
	s_getpc_b64 s[6:7]
	s_add_u32 s6, s6, __assert_fail@rel32@lo+4
	s_addc_u32 s7, s7, __assert_fail@rel32@hi+12
	s_swappc_b64 s[30:31], s[6:7]
	; divergent unreachable
.LBB720_10:
	s_endpgm
.LBB720_11:
	s_mov_b64 s[18:19], 0
	s_branch .LBB720_2
	.section	.rodata,"a",@progbits
	.p2align	6, 0x0
	.amdhsa_kernel _Z39paged_attention_ll4mi_QKV_mfma16_kernelI14__hip_bfloat16hLN4vllm18Fp8KVCacheDataTypeE1ES0_Li32ELi64ELi256ELb1ELi7EL8MFMAType1EEvPKT_PKT0_S9_ifPKiSB_SB_iPKfiiiPfSE_PS4_PT2_iSD_SD_
		.amdhsa_group_segment_fixed_size 8192
		.amdhsa_private_segment_fixed_size 64
		.amdhsa_kernarg_size 400
		.amdhsa_user_sgpr_count 8
		.amdhsa_user_sgpr_private_segment_buffer 1
		.amdhsa_user_sgpr_dispatch_ptr 0
		.amdhsa_user_sgpr_queue_ptr 0
		.amdhsa_user_sgpr_kernarg_segment_ptr 1
		.amdhsa_user_sgpr_dispatch_id 0
		.amdhsa_user_sgpr_flat_scratch_init 1
		.amdhsa_user_sgpr_kernarg_preload_length 0
		.amdhsa_user_sgpr_kernarg_preload_offset 0
		.amdhsa_user_sgpr_private_segment_size 0
		.amdhsa_uses_dynamic_stack 0
		.amdhsa_system_sgpr_private_segment_wavefront_offset 1
		.amdhsa_system_sgpr_workgroup_id_x 1
		.amdhsa_system_sgpr_workgroup_id_y 1
		.amdhsa_system_sgpr_workgroup_id_z 1
		.amdhsa_system_sgpr_workgroup_info 0
		.amdhsa_system_vgpr_workitem_id 0
		.amdhsa_next_free_vgpr 45
		.amdhsa_next_free_sgpr 34
		.amdhsa_accum_offset 44
		.amdhsa_reserve_vcc 1
		.amdhsa_reserve_flat_scratch 1
		.amdhsa_float_round_mode_32 0
		.amdhsa_float_round_mode_16_64 0
		.amdhsa_float_denorm_mode_32 3
		.amdhsa_float_denorm_mode_16_64 3
		.amdhsa_dx10_clamp 1
		.amdhsa_ieee_mode 1
		.amdhsa_fp16_overflow 0
		.amdhsa_tg_split 0
		.amdhsa_exception_fp_ieee_invalid_op 0
		.amdhsa_exception_fp_denorm_src 0
		.amdhsa_exception_fp_ieee_div_zero 0
		.amdhsa_exception_fp_ieee_overflow 0
		.amdhsa_exception_fp_ieee_underflow 0
		.amdhsa_exception_fp_ieee_inexact 0
		.amdhsa_exception_int_div_zero 0
	.end_amdhsa_kernel
	.section	.text._Z39paged_attention_ll4mi_QKV_mfma16_kernelI14__hip_bfloat16hLN4vllm18Fp8KVCacheDataTypeE1ES0_Li32ELi64ELi256ELb1ELi7EL8MFMAType1EEvPKT_PKT0_S9_ifPKiSB_SB_iPKfiiiPfSE_PS4_PT2_iSD_SD_,"axG",@progbits,_Z39paged_attention_ll4mi_QKV_mfma16_kernelI14__hip_bfloat16hLN4vllm18Fp8KVCacheDataTypeE1ES0_Li32ELi64ELi256ELb1ELi7EL8MFMAType1EEvPKT_PKT0_S9_ifPKiSB_SB_iPKfiiiPfSE_PS4_PT2_iSD_SD_,comdat
.Lfunc_end720:
	.size	_Z39paged_attention_ll4mi_QKV_mfma16_kernelI14__hip_bfloat16hLN4vllm18Fp8KVCacheDataTypeE1ES0_Li32ELi64ELi256ELb1ELi7EL8MFMAType1EEvPKT_PKT0_S9_ifPKiSB_SB_iPKfiiiPfSE_PS4_PT2_iSD_SD_, .Lfunc_end720-_Z39paged_attention_ll4mi_QKV_mfma16_kernelI14__hip_bfloat16hLN4vllm18Fp8KVCacheDataTypeE1ES0_Li32ELi64ELi256ELb1ELi7EL8MFMAType1EEvPKT_PKT0_S9_ifPKiSB_SB_iPKfiiiPfSE_PS4_PT2_iSD_SD_
                                        ; -- End function
	.section	.AMDGPU.csdata,"",@progbits
; Kernel info:
; codeLenInByte = 504
; NumSgprs: 40
; NumVgprs: 42
; NumAgprs: 1
; TotalNumVgprs: 45
; ScratchSize: 64
; MemoryBound: 0
; FloatMode: 240
; IeeeMode: 1
; LDSByteSize: 8192 bytes/workgroup (compile time only)
; SGPRBlocks: 4
; VGPRBlocks: 5
; NumSGPRsForWavesPerEU: 40
; NumVGPRsForWavesPerEU: 45
; AccumOffset: 44
; Occupancy: 8
; WaveLimiterHint : 1
; COMPUTE_PGM_RSRC2:SCRATCH_EN: 1
; COMPUTE_PGM_RSRC2:USER_SGPR: 8
; COMPUTE_PGM_RSRC2:TRAP_HANDLER: 0
; COMPUTE_PGM_RSRC2:TGID_X_EN: 1
; COMPUTE_PGM_RSRC2:TGID_Y_EN: 1
; COMPUTE_PGM_RSRC2:TGID_Z_EN: 1
; COMPUTE_PGM_RSRC2:TIDIG_COMP_CNT: 0
; COMPUTE_PGM_RSRC3_GFX90A:ACCUM_OFFSET: 10
; COMPUTE_PGM_RSRC3_GFX90A:TG_SPLIT: 0
	.section	.text._Z39paged_attention_ll4mi_QKV_mfma16_kernelI14__hip_bfloat16hLN4vllm18Fp8KVCacheDataTypeE1ES0_Li32ELi64ELi256ELb1ELi8EL8MFMAType1EEvPKT_PKT0_S9_ifPKiSB_SB_iPKfiiiPfSE_PS4_PT2_iSD_SD_,"axG",@progbits,_Z39paged_attention_ll4mi_QKV_mfma16_kernelI14__hip_bfloat16hLN4vllm18Fp8KVCacheDataTypeE1ES0_Li32ELi64ELi256ELb1ELi8EL8MFMAType1EEvPKT_PKT0_S9_ifPKiSB_SB_iPKfiiiPfSE_PS4_PT2_iSD_SD_,comdat
	.protected	_Z39paged_attention_ll4mi_QKV_mfma16_kernelI14__hip_bfloat16hLN4vllm18Fp8KVCacheDataTypeE1ES0_Li32ELi64ELi256ELb1ELi8EL8MFMAType1EEvPKT_PKT0_S9_ifPKiSB_SB_iPKfiiiPfSE_PS4_PT2_iSD_SD_ ; -- Begin function _Z39paged_attention_ll4mi_QKV_mfma16_kernelI14__hip_bfloat16hLN4vllm18Fp8KVCacheDataTypeE1ES0_Li32ELi64ELi256ELb1ELi8EL8MFMAType1EEvPKT_PKT0_S9_ifPKiSB_SB_iPKfiiiPfSE_PS4_PT2_iSD_SD_
	.globl	_Z39paged_attention_ll4mi_QKV_mfma16_kernelI14__hip_bfloat16hLN4vllm18Fp8KVCacheDataTypeE1ES0_Li32ELi64ELi256ELb1ELi8EL8MFMAType1EEvPKT_PKT0_S9_ifPKiSB_SB_iPKfiiiPfSE_PS4_PT2_iSD_SD_
	.p2align	8
	.type	_Z39paged_attention_ll4mi_QKV_mfma16_kernelI14__hip_bfloat16hLN4vllm18Fp8KVCacheDataTypeE1ES0_Li32ELi64ELi256ELb1ELi8EL8MFMAType1EEvPKT_PKT0_S9_ifPKiSB_SB_iPKfiiiPfSE_PS4_PT2_iSD_SD_,@function
_Z39paged_attention_ll4mi_QKV_mfma16_kernelI14__hip_bfloat16hLN4vllm18Fp8KVCacheDataTypeE1ES0_Li32ELi64ELi256ELb1ELi8EL8MFMAType1EEvPKT_PKT0_S9_ifPKiSB_SB_iPKfiiiPfSE_PS4_PT2_iSD_SD_: ; @_Z39paged_attention_ll4mi_QKV_mfma16_kernelI14__hip_bfloat16hLN4vllm18Fp8KVCacheDataTypeE1ES0_Li32ELi64ELi256ELb1ELi8EL8MFMAType1EEvPKT_PKT0_S9_ifPKiSB_SB_iPKfiiiPfSE_PS4_PT2_iSD_SD_
; %bb.0:
	s_load_dwordx2 s[12:13], s[4:5], 0x30
	s_add_u32 flat_scratch_lo, s6, s11
	s_addc_u32 flat_scratch_hi, s7, 0
	s_add_u32 s0, s0, s11
	s_addc_u32 s1, s1, 0
	s_waitcnt lgkmcnt(0)
	s_cmp_lg_u64 s[12:13], 0
	s_cselect_b64 s[14:15], -1, 0
	s_mov_b32 s6, s9
	s_mov_b64 s[16:17], 0
	s_and_b64 vcc, exec, s[14:15]
	s_mov_b32 s32, 0
	s_cbranch_vccz .LBB721_11
; %bb.1:
	s_add_i32 s18, s8, 1
	s_mov_b32 s19, 0
	s_lshl_b64 s[20:21], s[18:19], 2
	s_add_u32 s20, s12, s20
	s_mov_b32 s9, s19
	s_addc_u32 s21, s13, s21
	s_lshl_b64 s[18:19], s[8:9], 2
	s_add_u32 s18, s12, s18
	s_addc_u32 s19, s13, s19
	s_load_dword s7, s[20:21], 0x0
	s_load_dword s11, s[18:19], 0x0
	s_waitcnt lgkmcnt(0)
	s_sub_i32 s7, s7, s11
	s_cmp_eq_u32 s7, 1
	s_cselect_b64 s[18:19], -1, 0
	s_andn2_b64 vcc, exec, s[16:17]
	s_cbranch_vccnz .LBB721_3
.LBB721_2:
	s_mov_b32 s9, 0
	s_mov_b64 s[18:19], -1
.LBB721_3:
	s_andn2_b64 vcc, exec, s[18:19]
	s_cbranch_vccnz .LBB721_10
; %bb.4:
	s_load_dwordx2 s[18:19], s[4:5], 0x28
	s_lshl_b64 s[16:17], s[8:9], 2
	s_waitcnt lgkmcnt(0)
	s_add_u32 s18, s18, s16
	s_addc_u32 s19, s19, s17
	s_load_dword s7, s[18:19], 0x0
	s_lshl_b32 s6, s6, 8
	s_waitcnt lgkmcnt(0)
	s_cmp_ge_i32 s6, s7
	s_cbranch_scc1 .LBB721_10
; %bb.5:
	s_andn2_b64 vcc, exec, s[14:15]
	s_cbranch_vccnz .LBB721_7
; %bb.6:
	s_add_u32 s6, s12, s16
	s_addc_u32 s7, s13, s17
	s_load_dword s8, s[6:7], 0x0
.LBB721_7:
	v_and_b32_e32 v1, 15, v0
	s_movk_i32 s6, 0x80
	v_cmp_gt_u32_e32 vcc, s6, v0
	v_cmp_gt_u32_e64 s[6:7], 8, v1
	s_and_b64 s[12:13], vcc, s[6:7]
	s_and_saveexec_b64 s[6:7], s[12:13]
	s_cbranch_execz .LBB721_9
; %bb.8:
	s_load_dword s9, s[4:5], 0x48
	s_load_dwordx2 s[12:13], s[4:5], 0x0
	v_lshrrev_b32_e32 v6, 4, v0
	v_lshlrev_b32_e32 v2, 6, v6
	v_lshl_or_b32 v2, s10, 9, v2
	s_waitcnt lgkmcnt(0)
	s_ashr_i32 s11, s9, 31
	s_mul_hi_u32 s15, s8, s9
	s_mul_i32 s14, s8, s9
	s_mul_i32 s8, s8, s11
	s_add_i32 s15, s15, s8
	s_lshl_b64 s[8:9], s[14:15], 1
	s_add_u32 s8, s12, s8
	v_ashrrev_i32_e32 v3, 31, v2
	s_addc_u32 s9, s13, s9
	v_lshlrev_b64 v[2:3], 1, v[2:3]
	v_mov_b32_e32 v4, s9
	v_add_co_u32_e32 v2, vcc, s8, v2
	v_addc_co_u32_e32 v3, vcc, v4, v3, vcc
	v_lshlrev_b32_e32 v4, 4, v1
	v_add_co_u32_e32 v2, vcc, v2, v4
	v_addc_co_u32_e32 v3, vcc, 0, v3, vcc
	global_load_dwordx4 v[2:5], v[2:3], off
	v_lshlrev_b32_e32 v0, 4, v0
	v_lshlrev_b32_e32 v1, 8, v1
	v_and_b32_e32 v0, 16, v0
	v_lshlrev_b32_e32 v6, 5, v6
	v_and_b32_e32 v1, 0xe00, v1
	v_or3_b32 v0, v1, v6, v0
	s_waitcnt vmcnt(0)
	ds_write_b128 v0, v[2:5]
.LBB721_9:
	s_or_b64 exec, exec, s[6:7]
	s_waitcnt lgkmcnt(0)
	s_add_u32 s8, s4, 0x90
	s_addc_u32 s9, s5, 0
	s_getpc_b64 s[4:5]
	s_add_u32 s4, s4, __PRETTY_FUNCTION__._Z39paged_attention_ll4mi_QKV_mfma16_kernelI14__hip_bfloat16hLN4vllm18Fp8KVCacheDataTypeE1ES0_Li32ELi64ELi256ELb1ELi8EL8MFMAType1EEvPKT_PKT0_S9_ifPKiSB_SB_iPKfiiiPfSE_PS4_PT2_iSD_SD_@rel32@lo+4
	s_addc_u32 s5, s5, __PRETTY_FUNCTION__._Z39paged_attention_ll4mi_QKV_mfma16_kernelI14__hip_bfloat16hLN4vllm18Fp8KVCacheDataTypeE1ES0_Li32ELi64ELi256ELb1ELi8EL8MFMAType1EEvPKT_PKT0_S9_ifPKiSB_SB_iPKfiiiPfSE_PS4_PT2_iSD_SD_@rel32@hi+12
	v_mov_b32_e32 v0, 0x288
	v_mov_b32_e32 v1, s4
	;; [unrolled: 1-line block ×3, first 2 shown]
	s_barrier
	s_getpc_b64 s[6:7]
	s_add_u32 s6, s6, __assert_fail@rel32@lo+4
	s_addc_u32 s7, s7, __assert_fail@rel32@hi+12
	s_swappc_b64 s[30:31], s[6:7]
	; divergent unreachable
.LBB721_10:
	s_endpgm
.LBB721_11:
	s_mov_b64 s[18:19], 0
	s_branch .LBB721_2
	.section	.rodata,"a",@progbits
	.p2align	6, 0x0
	.amdhsa_kernel _Z39paged_attention_ll4mi_QKV_mfma16_kernelI14__hip_bfloat16hLN4vllm18Fp8KVCacheDataTypeE1ES0_Li32ELi64ELi256ELb1ELi8EL8MFMAType1EEvPKT_PKT0_S9_ifPKiSB_SB_iPKfiiiPfSE_PS4_PT2_iSD_SD_
		.amdhsa_group_segment_fixed_size 8192
		.amdhsa_private_segment_fixed_size 64
		.amdhsa_kernarg_size 400
		.amdhsa_user_sgpr_count 8
		.amdhsa_user_sgpr_private_segment_buffer 1
		.amdhsa_user_sgpr_dispatch_ptr 0
		.amdhsa_user_sgpr_queue_ptr 0
		.amdhsa_user_sgpr_kernarg_segment_ptr 1
		.amdhsa_user_sgpr_dispatch_id 0
		.amdhsa_user_sgpr_flat_scratch_init 1
		.amdhsa_user_sgpr_kernarg_preload_length 0
		.amdhsa_user_sgpr_kernarg_preload_offset 0
		.amdhsa_user_sgpr_private_segment_size 0
		.amdhsa_uses_dynamic_stack 0
		.amdhsa_system_sgpr_private_segment_wavefront_offset 1
		.amdhsa_system_sgpr_workgroup_id_x 1
		.amdhsa_system_sgpr_workgroup_id_y 1
		.amdhsa_system_sgpr_workgroup_id_z 1
		.amdhsa_system_sgpr_workgroup_info 0
		.amdhsa_system_vgpr_workitem_id 0
		.amdhsa_next_free_vgpr 45
		.amdhsa_next_free_sgpr 34
		.amdhsa_accum_offset 44
		.amdhsa_reserve_vcc 1
		.amdhsa_reserve_flat_scratch 1
		.amdhsa_float_round_mode_32 0
		.amdhsa_float_round_mode_16_64 0
		.amdhsa_float_denorm_mode_32 3
		.amdhsa_float_denorm_mode_16_64 3
		.amdhsa_dx10_clamp 1
		.amdhsa_ieee_mode 1
		.amdhsa_fp16_overflow 0
		.amdhsa_tg_split 0
		.amdhsa_exception_fp_ieee_invalid_op 0
		.amdhsa_exception_fp_denorm_src 0
		.amdhsa_exception_fp_ieee_div_zero 0
		.amdhsa_exception_fp_ieee_overflow 0
		.amdhsa_exception_fp_ieee_underflow 0
		.amdhsa_exception_fp_ieee_inexact 0
		.amdhsa_exception_int_div_zero 0
	.end_amdhsa_kernel
	.section	.text._Z39paged_attention_ll4mi_QKV_mfma16_kernelI14__hip_bfloat16hLN4vllm18Fp8KVCacheDataTypeE1ES0_Li32ELi64ELi256ELb1ELi8EL8MFMAType1EEvPKT_PKT0_S9_ifPKiSB_SB_iPKfiiiPfSE_PS4_PT2_iSD_SD_,"axG",@progbits,_Z39paged_attention_ll4mi_QKV_mfma16_kernelI14__hip_bfloat16hLN4vllm18Fp8KVCacheDataTypeE1ES0_Li32ELi64ELi256ELb1ELi8EL8MFMAType1EEvPKT_PKT0_S9_ifPKiSB_SB_iPKfiiiPfSE_PS4_PT2_iSD_SD_,comdat
.Lfunc_end721:
	.size	_Z39paged_attention_ll4mi_QKV_mfma16_kernelI14__hip_bfloat16hLN4vllm18Fp8KVCacheDataTypeE1ES0_Li32ELi64ELi256ELb1ELi8EL8MFMAType1EEvPKT_PKT0_S9_ifPKiSB_SB_iPKfiiiPfSE_PS4_PT2_iSD_SD_, .Lfunc_end721-_Z39paged_attention_ll4mi_QKV_mfma16_kernelI14__hip_bfloat16hLN4vllm18Fp8KVCacheDataTypeE1ES0_Li32ELi64ELi256ELb1ELi8EL8MFMAType1EEvPKT_PKT0_S9_ifPKiSB_SB_iPKfiiiPfSE_PS4_PT2_iSD_SD_
                                        ; -- End function
	.section	.AMDGPU.csdata,"",@progbits
; Kernel info:
; codeLenInByte = 504
; NumSgprs: 40
; NumVgprs: 42
; NumAgprs: 1
; TotalNumVgprs: 45
; ScratchSize: 64
; MemoryBound: 0
; FloatMode: 240
; IeeeMode: 1
; LDSByteSize: 8192 bytes/workgroup (compile time only)
; SGPRBlocks: 4
; VGPRBlocks: 5
; NumSGPRsForWavesPerEU: 40
; NumVGPRsForWavesPerEU: 45
; AccumOffset: 44
; Occupancy: 8
; WaveLimiterHint : 1
; COMPUTE_PGM_RSRC2:SCRATCH_EN: 1
; COMPUTE_PGM_RSRC2:USER_SGPR: 8
; COMPUTE_PGM_RSRC2:TRAP_HANDLER: 0
; COMPUTE_PGM_RSRC2:TGID_X_EN: 1
; COMPUTE_PGM_RSRC2:TGID_Y_EN: 1
; COMPUTE_PGM_RSRC2:TGID_Z_EN: 1
; COMPUTE_PGM_RSRC2:TIDIG_COMP_CNT: 0
; COMPUTE_PGM_RSRC3_GFX90A:ACCUM_OFFSET: 10
; COMPUTE_PGM_RSRC3_GFX90A:TG_SPLIT: 0
	.section	.text._Z39paged_attention_ll4mi_QKV_mfma16_kernelI14__hip_bfloat16hLN4vllm18Fp8KVCacheDataTypeE1ES0_Li32ELi64ELi256ELb1ELi9EL8MFMAType1EEvPKT_PKT0_S9_ifPKiSB_SB_iPKfiiiPfSE_PS4_PT2_iSD_SD_,"axG",@progbits,_Z39paged_attention_ll4mi_QKV_mfma16_kernelI14__hip_bfloat16hLN4vllm18Fp8KVCacheDataTypeE1ES0_Li32ELi64ELi256ELb1ELi9EL8MFMAType1EEvPKT_PKT0_S9_ifPKiSB_SB_iPKfiiiPfSE_PS4_PT2_iSD_SD_,comdat
	.protected	_Z39paged_attention_ll4mi_QKV_mfma16_kernelI14__hip_bfloat16hLN4vllm18Fp8KVCacheDataTypeE1ES0_Li32ELi64ELi256ELb1ELi9EL8MFMAType1EEvPKT_PKT0_S9_ifPKiSB_SB_iPKfiiiPfSE_PS4_PT2_iSD_SD_ ; -- Begin function _Z39paged_attention_ll4mi_QKV_mfma16_kernelI14__hip_bfloat16hLN4vllm18Fp8KVCacheDataTypeE1ES0_Li32ELi64ELi256ELb1ELi9EL8MFMAType1EEvPKT_PKT0_S9_ifPKiSB_SB_iPKfiiiPfSE_PS4_PT2_iSD_SD_
	.globl	_Z39paged_attention_ll4mi_QKV_mfma16_kernelI14__hip_bfloat16hLN4vllm18Fp8KVCacheDataTypeE1ES0_Li32ELi64ELi256ELb1ELi9EL8MFMAType1EEvPKT_PKT0_S9_ifPKiSB_SB_iPKfiiiPfSE_PS4_PT2_iSD_SD_
	.p2align	8
	.type	_Z39paged_attention_ll4mi_QKV_mfma16_kernelI14__hip_bfloat16hLN4vllm18Fp8KVCacheDataTypeE1ES0_Li32ELi64ELi256ELb1ELi9EL8MFMAType1EEvPKT_PKT0_S9_ifPKiSB_SB_iPKfiiiPfSE_PS4_PT2_iSD_SD_,@function
_Z39paged_attention_ll4mi_QKV_mfma16_kernelI14__hip_bfloat16hLN4vllm18Fp8KVCacheDataTypeE1ES0_Li32ELi64ELi256ELb1ELi9EL8MFMAType1EEvPKT_PKT0_S9_ifPKiSB_SB_iPKfiiiPfSE_PS4_PT2_iSD_SD_: ; @_Z39paged_attention_ll4mi_QKV_mfma16_kernelI14__hip_bfloat16hLN4vllm18Fp8KVCacheDataTypeE1ES0_Li32ELi64ELi256ELb1ELi9EL8MFMAType1EEvPKT_PKT0_S9_ifPKiSB_SB_iPKfiiiPfSE_PS4_PT2_iSD_SD_
; %bb.0:
	s_load_dwordx2 s[12:13], s[4:5], 0x30
	s_add_u32 flat_scratch_lo, s6, s11
	s_addc_u32 flat_scratch_hi, s7, 0
	s_add_u32 s0, s0, s11
	s_addc_u32 s1, s1, 0
	s_waitcnt lgkmcnt(0)
	s_cmp_lg_u64 s[12:13], 0
	s_cselect_b64 s[14:15], -1, 0
	s_mov_b32 s6, s9
	s_mov_b64 s[16:17], 0
	s_and_b64 vcc, exec, s[14:15]
	s_mov_b32 s32, 0
	s_cbranch_vccz .LBB722_11
; %bb.1:
	s_add_i32 s18, s8, 1
	s_mov_b32 s19, 0
	s_lshl_b64 s[20:21], s[18:19], 2
	s_add_u32 s20, s12, s20
	s_mov_b32 s9, s19
	s_addc_u32 s21, s13, s21
	s_lshl_b64 s[18:19], s[8:9], 2
	s_add_u32 s18, s12, s18
	s_addc_u32 s19, s13, s19
	s_load_dword s7, s[20:21], 0x0
	s_load_dword s11, s[18:19], 0x0
	s_waitcnt lgkmcnt(0)
	s_sub_i32 s7, s7, s11
	s_cmp_eq_u32 s7, 1
	s_cselect_b64 s[18:19], -1, 0
	s_andn2_b64 vcc, exec, s[16:17]
	s_cbranch_vccnz .LBB722_3
.LBB722_2:
	s_mov_b32 s9, 0
	s_mov_b64 s[18:19], -1
.LBB722_3:
	s_andn2_b64 vcc, exec, s[18:19]
	s_cbranch_vccnz .LBB722_10
; %bb.4:
	s_load_dwordx2 s[18:19], s[4:5], 0x28
	s_lshl_b64 s[16:17], s[8:9], 2
	s_waitcnt lgkmcnt(0)
	s_add_u32 s18, s18, s16
	s_addc_u32 s19, s19, s17
	s_load_dword s7, s[18:19], 0x0
	s_lshl_b32 s6, s6, 8
	s_waitcnt lgkmcnt(0)
	s_cmp_ge_i32 s6, s7
	s_cbranch_scc1 .LBB722_10
; %bb.5:
	s_andn2_b64 vcc, exec, s[14:15]
	s_cbranch_vccnz .LBB722_7
; %bb.6:
	s_add_u32 s6, s12, s16
	s_addc_u32 s7, s13, s17
	s_load_dword s8, s[6:7], 0x0
.LBB722_7:
	v_and_b32_e32 v1, 15, v0
	s_movk_i32 s6, 0x90
	v_cmp_gt_u32_e32 vcc, s6, v0
	v_cmp_gt_u32_e64 s[6:7], 8, v1
	s_and_b64 s[12:13], s[6:7], vcc
	s_and_saveexec_b64 s[6:7], s[12:13]
	s_cbranch_execz .LBB722_9
; %bb.8:
	s_load_dword s11, s[4:5], 0x48
	s_load_dwordx2 s[12:13], s[4:5], 0x0
	v_lshrrev_b32_e32 v6, 4, v0
	s_mul_i32 s10, s10, 9
	v_add_lshl_u32 v2, v6, s10, 6
	s_waitcnt lgkmcnt(0)
	s_ashr_i32 s9, s11, 31
	s_mul_hi_u32 s14, s8, s11
	s_mul_i32 s9, s8, s9
	s_add_i32 s9, s14, s9
	s_mul_i32 s8, s8, s11
	s_lshl_b64 s[8:9], s[8:9], 1
	s_add_u32 s8, s12, s8
	v_ashrrev_i32_e32 v3, 31, v2
	s_addc_u32 s9, s13, s9
	v_lshlrev_b64 v[2:3], 1, v[2:3]
	v_mov_b32_e32 v4, s9
	v_add_co_u32_e32 v2, vcc, s8, v2
	v_addc_co_u32_e32 v3, vcc, v4, v3, vcc
	v_lshlrev_b32_e32 v4, 4, v1
	v_add_co_u32_e32 v2, vcc, v2, v4
	v_addc_co_u32_e32 v3, vcc, 0, v3, vcc
	global_load_dwordx4 v[2:5], v[2:3], off
	v_lshlrev_b32_e32 v0, 4, v0
	v_lshlrev_b32_e32 v1, 8, v1
	v_and_b32_e32 v0, 16, v0
	v_lshlrev_b32_e32 v6, 5, v6
	v_and_b32_e32 v1, 0xe00, v1
	v_or3_b32 v0, v1, v6, v0
	s_waitcnt vmcnt(0)
	ds_write_b128 v0, v[2:5]
.LBB722_9:
	s_or_b64 exec, exec, s[6:7]
	s_waitcnt lgkmcnt(0)
	s_add_u32 s8, s4, 0x90
	s_addc_u32 s9, s5, 0
	s_getpc_b64 s[4:5]
	s_add_u32 s4, s4, __PRETTY_FUNCTION__._Z39paged_attention_ll4mi_QKV_mfma16_kernelI14__hip_bfloat16hLN4vllm18Fp8KVCacheDataTypeE1ES0_Li32ELi64ELi256ELb1ELi9EL8MFMAType1EEvPKT_PKT0_S9_ifPKiSB_SB_iPKfiiiPfSE_PS4_PT2_iSD_SD_@rel32@lo+4
	s_addc_u32 s5, s5, __PRETTY_FUNCTION__._Z39paged_attention_ll4mi_QKV_mfma16_kernelI14__hip_bfloat16hLN4vllm18Fp8KVCacheDataTypeE1ES0_Li32ELi64ELi256ELb1ELi9EL8MFMAType1EEvPKT_PKT0_S9_ifPKiSB_SB_iPKfiiiPfSE_PS4_PT2_iSD_SD_@rel32@hi+12
	v_mov_b32_e32 v0, 0x288
	v_mov_b32_e32 v1, s4
	;; [unrolled: 1-line block ×3, first 2 shown]
	s_barrier
	s_getpc_b64 s[6:7]
	s_add_u32 s6, s6, __assert_fail@rel32@lo+4
	s_addc_u32 s7, s7, __assert_fail@rel32@hi+12
	s_swappc_b64 s[30:31], s[6:7]
	; divergent unreachable
.LBB722_10:
	s_endpgm
.LBB722_11:
	s_mov_b64 s[18:19], 0
	s_branch .LBB722_2
	.section	.rodata,"a",@progbits
	.p2align	6, 0x0
	.amdhsa_kernel _Z39paged_attention_ll4mi_QKV_mfma16_kernelI14__hip_bfloat16hLN4vllm18Fp8KVCacheDataTypeE1ES0_Li32ELi64ELi256ELb1ELi9EL8MFMAType1EEvPKT_PKT0_S9_ifPKiSB_SB_iPKfiiiPfSE_PS4_PT2_iSD_SD_
		.amdhsa_group_segment_fixed_size 8192
		.amdhsa_private_segment_fixed_size 64
		.amdhsa_kernarg_size 400
		.amdhsa_user_sgpr_count 8
		.amdhsa_user_sgpr_private_segment_buffer 1
		.amdhsa_user_sgpr_dispatch_ptr 0
		.amdhsa_user_sgpr_queue_ptr 0
		.amdhsa_user_sgpr_kernarg_segment_ptr 1
		.amdhsa_user_sgpr_dispatch_id 0
		.amdhsa_user_sgpr_flat_scratch_init 1
		.amdhsa_user_sgpr_kernarg_preload_length 0
		.amdhsa_user_sgpr_kernarg_preload_offset 0
		.amdhsa_user_sgpr_private_segment_size 0
		.amdhsa_uses_dynamic_stack 0
		.amdhsa_system_sgpr_private_segment_wavefront_offset 1
		.amdhsa_system_sgpr_workgroup_id_x 1
		.amdhsa_system_sgpr_workgroup_id_y 1
		.amdhsa_system_sgpr_workgroup_id_z 1
		.amdhsa_system_sgpr_workgroup_info 0
		.amdhsa_system_vgpr_workitem_id 0
		.amdhsa_next_free_vgpr 45
		.amdhsa_next_free_sgpr 34
		.amdhsa_accum_offset 44
		.amdhsa_reserve_vcc 1
		.amdhsa_reserve_flat_scratch 1
		.amdhsa_float_round_mode_32 0
		.amdhsa_float_round_mode_16_64 0
		.amdhsa_float_denorm_mode_32 3
		.amdhsa_float_denorm_mode_16_64 3
		.amdhsa_dx10_clamp 1
		.amdhsa_ieee_mode 1
		.amdhsa_fp16_overflow 0
		.amdhsa_tg_split 0
		.amdhsa_exception_fp_ieee_invalid_op 0
		.amdhsa_exception_fp_denorm_src 0
		.amdhsa_exception_fp_ieee_div_zero 0
		.amdhsa_exception_fp_ieee_overflow 0
		.amdhsa_exception_fp_ieee_underflow 0
		.amdhsa_exception_fp_ieee_inexact 0
		.amdhsa_exception_int_div_zero 0
	.end_amdhsa_kernel
	.section	.text._Z39paged_attention_ll4mi_QKV_mfma16_kernelI14__hip_bfloat16hLN4vllm18Fp8KVCacheDataTypeE1ES0_Li32ELi64ELi256ELb1ELi9EL8MFMAType1EEvPKT_PKT0_S9_ifPKiSB_SB_iPKfiiiPfSE_PS4_PT2_iSD_SD_,"axG",@progbits,_Z39paged_attention_ll4mi_QKV_mfma16_kernelI14__hip_bfloat16hLN4vllm18Fp8KVCacheDataTypeE1ES0_Li32ELi64ELi256ELb1ELi9EL8MFMAType1EEvPKT_PKT0_S9_ifPKiSB_SB_iPKfiiiPfSE_PS4_PT2_iSD_SD_,comdat
.Lfunc_end722:
	.size	_Z39paged_attention_ll4mi_QKV_mfma16_kernelI14__hip_bfloat16hLN4vllm18Fp8KVCacheDataTypeE1ES0_Li32ELi64ELi256ELb1ELi9EL8MFMAType1EEvPKT_PKT0_S9_ifPKiSB_SB_iPKfiiiPfSE_PS4_PT2_iSD_SD_, .Lfunc_end722-_Z39paged_attention_ll4mi_QKV_mfma16_kernelI14__hip_bfloat16hLN4vllm18Fp8KVCacheDataTypeE1ES0_Li32ELi64ELi256ELb1ELi9EL8MFMAType1EEvPKT_PKT0_S9_ifPKiSB_SB_iPKfiiiPfSE_PS4_PT2_iSD_SD_
                                        ; -- End function
	.section	.AMDGPU.csdata,"",@progbits
; Kernel info:
; codeLenInByte = 504
; NumSgprs: 40
; NumVgprs: 42
; NumAgprs: 1
; TotalNumVgprs: 45
; ScratchSize: 64
; MemoryBound: 0
; FloatMode: 240
; IeeeMode: 1
; LDSByteSize: 8192 bytes/workgroup (compile time only)
; SGPRBlocks: 4
; VGPRBlocks: 5
; NumSGPRsForWavesPerEU: 40
; NumVGPRsForWavesPerEU: 45
; AccumOffset: 44
; Occupancy: 8
; WaveLimiterHint : 1
; COMPUTE_PGM_RSRC2:SCRATCH_EN: 1
; COMPUTE_PGM_RSRC2:USER_SGPR: 8
; COMPUTE_PGM_RSRC2:TRAP_HANDLER: 0
; COMPUTE_PGM_RSRC2:TGID_X_EN: 1
; COMPUTE_PGM_RSRC2:TGID_Y_EN: 1
; COMPUTE_PGM_RSRC2:TGID_Z_EN: 1
; COMPUTE_PGM_RSRC2:TIDIG_COMP_CNT: 0
; COMPUTE_PGM_RSRC3_GFX90A:ACCUM_OFFSET: 10
; COMPUTE_PGM_RSRC3_GFX90A:TG_SPLIT: 0
	.section	.text._Z39paged_attention_ll4mi_QKV_mfma16_kernelI14__hip_bfloat16hLN4vllm18Fp8KVCacheDataTypeE1ES0_Li32ELi64ELi256ELb1ELi10EL8MFMAType1EEvPKT_PKT0_S9_ifPKiSB_SB_iPKfiiiPfSE_PS4_PT2_iSD_SD_,"axG",@progbits,_Z39paged_attention_ll4mi_QKV_mfma16_kernelI14__hip_bfloat16hLN4vllm18Fp8KVCacheDataTypeE1ES0_Li32ELi64ELi256ELb1ELi10EL8MFMAType1EEvPKT_PKT0_S9_ifPKiSB_SB_iPKfiiiPfSE_PS4_PT2_iSD_SD_,comdat
	.protected	_Z39paged_attention_ll4mi_QKV_mfma16_kernelI14__hip_bfloat16hLN4vllm18Fp8KVCacheDataTypeE1ES0_Li32ELi64ELi256ELb1ELi10EL8MFMAType1EEvPKT_PKT0_S9_ifPKiSB_SB_iPKfiiiPfSE_PS4_PT2_iSD_SD_ ; -- Begin function _Z39paged_attention_ll4mi_QKV_mfma16_kernelI14__hip_bfloat16hLN4vllm18Fp8KVCacheDataTypeE1ES0_Li32ELi64ELi256ELb1ELi10EL8MFMAType1EEvPKT_PKT0_S9_ifPKiSB_SB_iPKfiiiPfSE_PS4_PT2_iSD_SD_
	.globl	_Z39paged_attention_ll4mi_QKV_mfma16_kernelI14__hip_bfloat16hLN4vllm18Fp8KVCacheDataTypeE1ES0_Li32ELi64ELi256ELb1ELi10EL8MFMAType1EEvPKT_PKT0_S9_ifPKiSB_SB_iPKfiiiPfSE_PS4_PT2_iSD_SD_
	.p2align	8
	.type	_Z39paged_attention_ll4mi_QKV_mfma16_kernelI14__hip_bfloat16hLN4vllm18Fp8KVCacheDataTypeE1ES0_Li32ELi64ELi256ELb1ELi10EL8MFMAType1EEvPKT_PKT0_S9_ifPKiSB_SB_iPKfiiiPfSE_PS4_PT2_iSD_SD_,@function
_Z39paged_attention_ll4mi_QKV_mfma16_kernelI14__hip_bfloat16hLN4vllm18Fp8KVCacheDataTypeE1ES0_Li32ELi64ELi256ELb1ELi10EL8MFMAType1EEvPKT_PKT0_S9_ifPKiSB_SB_iPKfiiiPfSE_PS4_PT2_iSD_SD_: ; @_Z39paged_attention_ll4mi_QKV_mfma16_kernelI14__hip_bfloat16hLN4vllm18Fp8KVCacheDataTypeE1ES0_Li32ELi64ELi256ELb1ELi10EL8MFMAType1EEvPKT_PKT0_S9_ifPKiSB_SB_iPKfiiiPfSE_PS4_PT2_iSD_SD_
; %bb.0:
	s_load_dwordx2 s[12:13], s[4:5], 0x30
	s_add_u32 flat_scratch_lo, s6, s11
	s_addc_u32 flat_scratch_hi, s7, 0
	s_add_u32 s0, s0, s11
	s_addc_u32 s1, s1, 0
	s_waitcnt lgkmcnt(0)
	s_cmp_lg_u64 s[12:13], 0
	s_cselect_b64 s[14:15], -1, 0
	s_mov_b32 s6, s9
	s_mov_b64 s[16:17], 0
	s_and_b64 vcc, exec, s[14:15]
	s_mov_b32 s32, 0
	s_cbranch_vccz .LBB723_11
; %bb.1:
	s_add_i32 s18, s8, 1
	s_mov_b32 s19, 0
	s_lshl_b64 s[20:21], s[18:19], 2
	s_add_u32 s20, s12, s20
	s_mov_b32 s9, s19
	s_addc_u32 s21, s13, s21
	s_lshl_b64 s[18:19], s[8:9], 2
	s_add_u32 s18, s12, s18
	s_addc_u32 s19, s13, s19
	s_load_dword s7, s[20:21], 0x0
	s_load_dword s11, s[18:19], 0x0
	s_waitcnt lgkmcnt(0)
	s_sub_i32 s7, s7, s11
	s_cmp_eq_u32 s7, 1
	s_cselect_b64 s[18:19], -1, 0
	s_andn2_b64 vcc, exec, s[16:17]
	s_cbranch_vccnz .LBB723_3
.LBB723_2:
	s_mov_b32 s9, 0
	s_mov_b64 s[18:19], -1
.LBB723_3:
	s_andn2_b64 vcc, exec, s[18:19]
	s_cbranch_vccnz .LBB723_10
; %bb.4:
	s_load_dwordx2 s[18:19], s[4:5], 0x28
	s_lshl_b64 s[16:17], s[8:9], 2
	s_waitcnt lgkmcnt(0)
	s_add_u32 s18, s18, s16
	s_addc_u32 s19, s19, s17
	s_load_dword s7, s[18:19], 0x0
	s_lshl_b32 s6, s6, 8
	s_waitcnt lgkmcnt(0)
	s_cmp_ge_i32 s6, s7
	s_cbranch_scc1 .LBB723_10
; %bb.5:
	s_andn2_b64 vcc, exec, s[14:15]
	s_cbranch_vccnz .LBB723_7
; %bb.6:
	s_add_u32 s6, s12, s16
	s_addc_u32 s7, s13, s17
	s_load_dword s8, s[6:7], 0x0
.LBB723_7:
	v_and_b32_e32 v1, 15, v0
	s_movk_i32 s6, 0xa0
	v_cmp_gt_u32_e32 vcc, s6, v0
	v_cmp_gt_u32_e64 s[6:7], 8, v1
	s_and_b64 s[12:13], s[6:7], vcc
	s_and_saveexec_b64 s[6:7], s[12:13]
	s_cbranch_execz .LBB723_9
; %bb.8:
	s_load_dword s11, s[4:5], 0x48
	s_load_dwordx2 s[12:13], s[4:5], 0x0
	v_lshrrev_b32_e32 v6, 4, v0
	s_mul_i32 s10, s10, 10
	v_add_lshl_u32 v2, v6, s10, 6
	s_waitcnt lgkmcnt(0)
	s_ashr_i32 s9, s11, 31
	s_mul_hi_u32 s14, s8, s11
	s_mul_i32 s9, s8, s9
	s_add_i32 s9, s14, s9
	s_mul_i32 s8, s8, s11
	s_lshl_b64 s[8:9], s[8:9], 1
	s_add_u32 s8, s12, s8
	v_ashrrev_i32_e32 v3, 31, v2
	s_addc_u32 s9, s13, s9
	v_lshlrev_b64 v[2:3], 1, v[2:3]
	v_mov_b32_e32 v4, s9
	v_add_co_u32_e32 v2, vcc, s8, v2
	v_addc_co_u32_e32 v3, vcc, v4, v3, vcc
	v_lshlrev_b32_e32 v4, 4, v1
	v_add_co_u32_e32 v2, vcc, v2, v4
	v_addc_co_u32_e32 v3, vcc, 0, v3, vcc
	global_load_dwordx4 v[2:5], v[2:3], off
	v_lshlrev_b32_e32 v0, 4, v0
	v_lshlrev_b32_e32 v1, 8, v1
	v_and_b32_e32 v0, 16, v0
	v_lshlrev_b32_e32 v6, 5, v6
	v_and_b32_e32 v1, 0xe00, v1
	v_or3_b32 v0, v1, v6, v0
	s_waitcnt vmcnt(0)
	ds_write_b128 v0, v[2:5]
.LBB723_9:
	s_or_b64 exec, exec, s[6:7]
	s_waitcnt lgkmcnt(0)
	s_add_u32 s8, s4, 0x90
	s_addc_u32 s9, s5, 0
	s_getpc_b64 s[4:5]
	s_add_u32 s4, s4, __PRETTY_FUNCTION__._Z39paged_attention_ll4mi_QKV_mfma16_kernelI14__hip_bfloat16hLN4vllm18Fp8KVCacheDataTypeE1ES0_Li32ELi64ELi256ELb1ELi10EL8MFMAType1EEvPKT_PKT0_S9_ifPKiSB_SB_iPKfiiiPfSE_PS4_PT2_iSD_SD_@rel32@lo+4
	s_addc_u32 s5, s5, __PRETTY_FUNCTION__._Z39paged_attention_ll4mi_QKV_mfma16_kernelI14__hip_bfloat16hLN4vllm18Fp8KVCacheDataTypeE1ES0_Li32ELi64ELi256ELb1ELi10EL8MFMAType1EEvPKT_PKT0_S9_ifPKiSB_SB_iPKfiiiPfSE_PS4_PT2_iSD_SD_@rel32@hi+12
	v_mov_b32_e32 v0, 0x288
	v_mov_b32_e32 v1, s4
	;; [unrolled: 1-line block ×3, first 2 shown]
	s_barrier
	s_getpc_b64 s[6:7]
	s_add_u32 s6, s6, __assert_fail@rel32@lo+4
	s_addc_u32 s7, s7, __assert_fail@rel32@hi+12
	s_swappc_b64 s[30:31], s[6:7]
	; divergent unreachable
.LBB723_10:
	s_endpgm
.LBB723_11:
	s_mov_b64 s[18:19], 0
	s_branch .LBB723_2
	.section	.rodata,"a",@progbits
	.p2align	6, 0x0
	.amdhsa_kernel _Z39paged_attention_ll4mi_QKV_mfma16_kernelI14__hip_bfloat16hLN4vllm18Fp8KVCacheDataTypeE1ES0_Li32ELi64ELi256ELb1ELi10EL8MFMAType1EEvPKT_PKT0_S9_ifPKiSB_SB_iPKfiiiPfSE_PS4_PT2_iSD_SD_
		.amdhsa_group_segment_fixed_size 8192
		.amdhsa_private_segment_fixed_size 64
		.amdhsa_kernarg_size 400
		.amdhsa_user_sgpr_count 8
		.amdhsa_user_sgpr_private_segment_buffer 1
		.amdhsa_user_sgpr_dispatch_ptr 0
		.amdhsa_user_sgpr_queue_ptr 0
		.amdhsa_user_sgpr_kernarg_segment_ptr 1
		.amdhsa_user_sgpr_dispatch_id 0
		.amdhsa_user_sgpr_flat_scratch_init 1
		.amdhsa_user_sgpr_kernarg_preload_length 0
		.amdhsa_user_sgpr_kernarg_preload_offset 0
		.amdhsa_user_sgpr_private_segment_size 0
		.amdhsa_uses_dynamic_stack 0
		.amdhsa_system_sgpr_private_segment_wavefront_offset 1
		.amdhsa_system_sgpr_workgroup_id_x 1
		.amdhsa_system_sgpr_workgroup_id_y 1
		.amdhsa_system_sgpr_workgroup_id_z 1
		.amdhsa_system_sgpr_workgroup_info 0
		.amdhsa_system_vgpr_workitem_id 0
		.amdhsa_next_free_vgpr 45
		.amdhsa_next_free_sgpr 34
		.amdhsa_accum_offset 44
		.amdhsa_reserve_vcc 1
		.amdhsa_reserve_flat_scratch 1
		.amdhsa_float_round_mode_32 0
		.amdhsa_float_round_mode_16_64 0
		.amdhsa_float_denorm_mode_32 3
		.amdhsa_float_denorm_mode_16_64 3
		.amdhsa_dx10_clamp 1
		.amdhsa_ieee_mode 1
		.amdhsa_fp16_overflow 0
		.amdhsa_tg_split 0
		.amdhsa_exception_fp_ieee_invalid_op 0
		.amdhsa_exception_fp_denorm_src 0
		.amdhsa_exception_fp_ieee_div_zero 0
		.amdhsa_exception_fp_ieee_overflow 0
		.amdhsa_exception_fp_ieee_underflow 0
		.amdhsa_exception_fp_ieee_inexact 0
		.amdhsa_exception_int_div_zero 0
	.end_amdhsa_kernel
	.section	.text._Z39paged_attention_ll4mi_QKV_mfma16_kernelI14__hip_bfloat16hLN4vllm18Fp8KVCacheDataTypeE1ES0_Li32ELi64ELi256ELb1ELi10EL8MFMAType1EEvPKT_PKT0_S9_ifPKiSB_SB_iPKfiiiPfSE_PS4_PT2_iSD_SD_,"axG",@progbits,_Z39paged_attention_ll4mi_QKV_mfma16_kernelI14__hip_bfloat16hLN4vllm18Fp8KVCacheDataTypeE1ES0_Li32ELi64ELi256ELb1ELi10EL8MFMAType1EEvPKT_PKT0_S9_ifPKiSB_SB_iPKfiiiPfSE_PS4_PT2_iSD_SD_,comdat
.Lfunc_end723:
	.size	_Z39paged_attention_ll4mi_QKV_mfma16_kernelI14__hip_bfloat16hLN4vllm18Fp8KVCacheDataTypeE1ES0_Li32ELi64ELi256ELb1ELi10EL8MFMAType1EEvPKT_PKT0_S9_ifPKiSB_SB_iPKfiiiPfSE_PS4_PT2_iSD_SD_, .Lfunc_end723-_Z39paged_attention_ll4mi_QKV_mfma16_kernelI14__hip_bfloat16hLN4vllm18Fp8KVCacheDataTypeE1ES0_Li32ELi64ELi256ELb1ELi10EL8MFMAType1EEvPKT_PKT0_S9_ifPKiSB_SB_iPKfiiiPfSE_PS4_PT2_iSD_SD_
                                        ; -- End function
	.section	.AMDGPU.csdata,"",@progbits
; Kernel info:
; codeLenInByte = 504
; NumSgprs: 40
; NumVgprs: 42
; NumAgprs: 1
; TotalNumVgprs: 45
; ScratchSize: 64
; MemoryBound: 0
; FloatMode: 240
; IeeeMode: 1
; LDSByteSize: 8192 bytes/workgroup (compile time only)
; SGPRBlocks: 4
; VGPRBlocks: 5
; NumSGPRsForWavesPerEU: 40
; NumVGPRsForWavesPerEU: 45
; AccumOffset: 44
; Occupancy: 8
; WaveLimiterHint : 1
; COMPUTE_PGM_RSRC2:SCRATCH_EN: 1
; COMPUTE_PGM_RSRC2:USER_SGPR: 8
; COMPUTE_PGM_RSRC2:TRAP_HANDLER: 0
; COMPUTE_PGM_RSRC2:TGID_X_EN: 1
; COMPUTE_PGM_RSRC2:TGID_Y_EN: 1
; COMPUTE_PGM_RSRC2:TGID_Z_EN: 1
; COMPUTE_PGM_RSRC2:TIDIG_COMP_CNT: 0
; COMPUTE_PGM_RSRC3_GFX90A:ACCUM_OFFSET: 10
; COMPUTE_PGM_RSRC3_GFX90A:TG_SPLIT: 0
	.section	.text._Z39paged_attention_ll4mi_QKV_mfma16_kernelI14__hip_bfloat16hLN4vllm18Fp8KVCacheDataTypeE1ES0_Li32ELi64ELi256ELb1ELi11EL8MFMAType1EEvPKT_PKT0_S9_ifPKiSB_SB_iPKfiiiPfSE_PS4_PT2_iSD_SD_,"axG",@progbits,_Z39paged_attention_ll4mi_QKV_mfma16_kernelI14__hip_bfloat16hLN4vllm18Fp8KVCacheDataTypeE1ES0_Li32ELi64ELi256ELb1ELi11EL8MFMAType1EEvPKT_PKT0_S9_ifPKiSB_SB_iPKfiiiPfSE_PS4_PT2_iSD_SD_,comdat
	.protected	_Z39paged_attention_ll4mi_QKV_mfma16_kernelI14__hip_bfloat16hLN4vllm18Fp8KVCacheDataTypeE1ES0_Li32ELi64ELi256ELb1ELi11EL8MFMAType1EEvPKT_PKT0_S9_ifPKiSB_SB_iPKfiiiPfSE_PS4_PT2_iSD_SD_ ; -- Begin function _Z39paged_attention_ll4mi_QKV_mfma16_kernelI14__hip_bfloat16hLN4vllm18Fp8KVCacheDataTypeE1ES0_Li32ELi64ELi256ELb1ELi11EL8MFMAType1EEvPKT_PKT0_S9_ifPKiSB_SB_iPKfiiiPfSE_PS4_PT2_iSD_SD_
	.globl	_Z39paged_attention_ll4mi_QKV_mfma16_kernelI14__hip_bfloat16hLN4vllm18Fp8KVCacheDataTypeE1ES0_Li32ELi64ELi256ELb1ELi11EL8MFMAType1EEvPKT_PKT0_S9_ifPKiSB_SB_iPKfiiiPfSE_PS4_PT2_iSD_SD_
	.p2align	8
	.type	_Z39paged_attention_ll4mi_QKV_mfma16_kernelI14__hip_bfloat16hLN4vllm18Fp8KVCacheDataTypeE1ES0_Li32ELi64ELi256ELb1ELi11EL8MFMAType1EEvPKT_PKT0_S9_ifPKiSB_SB_iPKfiiiPfSE_PS4_PT2_iSD_SD_,@function
_Z39paged_attention_ll4mi_QKV_mfma16_kernelI14__hip_bfloat16hLN4vllm18Fp8KVCacheDataTypeE1ES0_Li32ELi64ELi256ELb1ELi11EL8MFMAType1EEvPKT_PKT0_S9_ifPKiSB_SB_iPKfiiiPfSE_PS4_PT2_iSD_SD_: ; @_Z39paged_attention_ll4mi_QKV_mfma16_kernelI14__hip_bfloat16hLN4vllm18Fp8KVCacheDataTypeE1ES0_Li32ELi64ELi256ELb1ELi11EL8MFMAType1EEvPKT_PKT0_S9_ifPKiSB_SB_iPKfiiiPfSE_PS4_PT2_iSD_SD_
; %bb.0:
	s_load_dwordx2 s[12:13], s[4:5], 0x30
	s_add_u32 flat_scratch_lo, s6, s11
	s_addc_u32 flat_scratch_hi, s7, 0
	s_add_u32 s0, s0, s11
	s_addc_u32 s1, s1, 0
	s_waitcnt lgkmcnt(0)
	s_cmp_lg_u64 s[12:13], 0
	s_cselect_b64 s[14:15], -1, 0
	s_mov_b32 s6, s9
	s_mov_b64 s[16:17], 0
	s_and_b64 vcc, exec, s[14:15]
	s_mov_b32 s32, 0
	s_cbranch_vccz .LBB724_11
; %bb.1:
	s_add_i32 s18, s8, 1
	s_mov_b32 s19, 0
	s_lshl_b64 s[20:21], s[18:19], 2
	s_add_u32 s20, s12, s20
	s_mov_b32 s9, s19
	s_addc_u32 s21, s13, s21
	s_lshl_b64 s[18:19], s[8:9], 2
	s_add_u32 s18, s12, s18
	s_addc_u32 s19, s13, s19
	s_load_dword s7, s[20:21], 0x0
	s_load_dword s11, s[18:19], 0x0
	s_waitcnt lgkmcnt(0)
	s_sub_i32 s7, s7, s11
	s_cmp_eq_u32 s7, 1
	s_cselect_b64 s[18:19], -1, 0
	s_andn2_b64 vcc, exec, s[16:17]
	s_cbranch_vccnz .LBB724_3
.LBB724_2:
	s_mov_b32 s9, 0
	s_mov_b64 s[18:19], -1
.LBB724_3:
	s_andn2_b64 vcc, exec, s[18:19]
	s_cbranch_vccnz .LBB724_10
; %bb.4:
	s_load_dwordx2 s[18:19], s[4:5], 0x28
	s_lshl_b64 s[16:17], s[8:9], 2
	s_waitcnt lgkmcnt(0)
	s_add_u32 s18, s18, s16
	s_addc_u32 s19, s19, s17
	s_load_dword s7, s[18:19], 0x0
	s_lshl_b32 s6, s6, 8
	s_waitcnt lgkmcnt(0)
	s_cmp_ge_i32 s6, s7
	s_cbranch_scc1 .LBB724_10
; %bb.5:
	s_andn2_b64 vcc, exec, s[14:15]
	s_cbranch_vccnz .LBB724_7
; %bb.6:
	s_add_u32 s6, s12, s16
	s_addc_u32 s7, s13, s17
	s_load_dword s8, s[6:7], 0x0
.LBB724_7:
	v_and_b32_e32 v1, 15, v0
	s_movk_i32 s6, 0xb0
	v_cmp_gt_u32_e32 vcc, s6, v0
	v_cmp_gt_u32_e64 s[6:7], 8, v1
	s_and_b64 s[12:13], s[6:7], vcc
	s_and_saveexec_b64 s[6:7], s[12:13]
	s_cbranch_execz .LBB724_9
; %bb.8:
	s_load_dword s11, s[4:5], 0x48
	s_load_dwordx2 s[12:13], s[4:5], 0x0
	v_lshrrev_b32_e32 v6, 4, v0
	s_mul_i32 s10, s10, 11
	v_add_lshl_u32 v2, v6, s10, 6
	s_waitcnt lgkmcnt(0)
	s_ashr_i32 s9, s11, 31
	s_mul_hi_u32 s14, s8, s11
	s_mul_i32 s9, s8, s9
	s_add_i32 s9, s14, s9
	s_mul_i32 s8, s8, s11
	s_lshl_b64 s[8:9], s[8:9], 1
	s_add_u32 s8, s12, s8
	v_ashrrev_i32_e32 v3, 31, v2
	s_addc_u32 s9, s13, s9
	v_lshlrev_b64 v[2:3], 1, v[2:3]
	v_mov_b32_e32 v4, s9
	v_add_co_u32_e32 v2, vcc, s8, v2
	v_addc_co_u32_e32 v3, vcc, v4, v3, vcc
	v_lshlrev_b32_e32 v4, 4, v1
	v_add_co_u32_e32 v2, vcc, v2, v4
	v_addc_co_u32_e32 v3, vcc, 0, v3, vcc
	global_load_dwordx4 v[2:5], v[2:3], off
	v_lshlrev_b32_e32 v0, 4, v0
	v_lshlrev_b32_e32 v1, 8, v1
	v_and_b32_e32 v0, 16, v0
	v_lshlrev_b32_e32 v6, 5, v6
	v_and_b32_e32 v1, 0xe00, v1
	v_or3_b32 v0, v1, v6, v0
	s_waitcnt vmcnt(0)
	ds_write_b128 v0, v[2:5]
.LBB724_9:
	s_or_b64 exec, exec, s[6:7]
	s_waitcnt lgkmcnt(0)
	s_add_u32 s8, s4, 0x90
	s_addc_u32 s9, s5, 0
	s_getpc_b64 s[4:5]
	s_add_u32 s4, s4, __PRETTY_FUNCTION__._Z39paged_attention_ll4mi_QKV_mfma16_kernelI14__hip_bfloat16hLN4vllm18Fp8KVCacheDataTypeE1ES0_Li32ELi64ELi256ELb1ELi11EL8MFMAType1EEvPKT_PKT0_S9_ifPKiSB_SB_iPKfiiiPfSE_PS4_PT2_iSD_SD_@rel32@lo+4
	s_addc_u32 s5, s5, __PRETTY_FUNCTION__._Z39paged_attention_ll4mi_QKV_mfma16_kernelI14__hip_bfloat16hLN4vllm18Fp8KVCacheDataTypeE1ES0_Li32ELi64ELi256ELb1ELi11EL8MFMAType1EEvPKT_PKT0_S9_ifPKiSB_SB_iPKfiiiPfSE_PS4_PT2_iSD_SD_@rel32@hi+12
	v_mov_b32_e32 v0, 0x288
	v_mov_b32_e32 v1, s4
	;; [unrolled: 1-line block ×3, first 2 shown]
	s_barrier
	s_getpc_b64 s[6:7]
	s_add_u32 s6, s6, __assert_fail@rel32@lo+4
	s_addc_u32 s7, s7, __assert_fail@rel32@hi+12
	s_swappc_b64 s[30:31], s[6:7]
	; divergent unreachable
.LBB724_10:
	s_endpgm
.LBB724_11:
	s_mov_b64 s[18:19], 0
	s_branch .LBB724_2
	.section	.rodata,"a",@progbits
	.p2align	6, 0x0
	.amdhsa_kernel _Z39paged_attention_ll4mi_QKV_mfma16_kernelI14__hip_bfloat16hLN4vllm18Fp8KVCacheDataTypeE1ES0_Li32ELi64ELi256ELb1ELi11EL8MFMAType1EEvPKT_PKT0_S9_ifPKiSB_SB_iPKfiiiPfSE_PS4_PT2_iSD_SD_
		.amdhsa_group_segment_fixed_size 8192
		.amdhsa_private_segment_fixed_size 64
		.amdhsa_kernarg_size 400
		.amdhsa_user_sgpr_count 8
		.amdhsa_user_sgpr_private_segment_buffer 1
		.amdhsa_user_sgpr_dispatch_ptr 0
		.amdhsa_user_sgpr_queue_ptr 0
		.amdhsa_user_sgpr_kernarg_segment_ptr 1
		.amdhsa_user_sgpr_dispatch_id 0
		.amdhsa_user_sgpr_flat_scratch_init 1
		.amdhsa_user_sgpr_kernarg_preload_length 0
		.amdhsa_user_sgpr_kernarg_preload_offset 0
		.amdhsa_user_sgpr_private_segment_size 0
		.amdhsa_uses_dynamic_stack 0
		.amdhsa_system_sgpr_private_segment_wavefront_offset 1
		.amdhsa_system_sgpr_workgroup_id_x 1
		.amdhsa_system_sgpr_workgroup_id_y 1
		.amdhsa_system_sgpr_workgroup_id_z 1
		.amdhsa_system_sgpr_workgroup_info 0
		.amdhsa_system_vgpr_workitem_id 0
		.amdhsa_next_free_vgpr 45
		.amdhsa_next_free_sgpr 34
		.amdhsa_accum_offset 44
		.amdhsa_reserve_vcc 1
		.amdhsa_reserve_flat_scratch 1
		.amdhsa_float_round_mode_32 0
		.amdhsa_float_round_mode_16_64 0
		.amdhsa_float_denorm_mode_32 3
		.amdhsa_float_denorm_mode_16_64 3
		.amdhsa_dx10_clamp 1
		.amdhsa_ieee_mode 1
		.amdhsa_fp16_overflow 0
		.amdhsa_tg_split 0
		.amdhsa_exception_fp_ieee_invalid_op 0
		.amdhsa_exception_fp_denorm_src 0
		.amdhsa_exception_fp_ieee_div_zero 0
		.amdhsa_exception_fp_ieee_overflow 0
		.amdhsa_exception_fp_ieee_underflow 0
		.amdhsa_exception_fp_ieee_inexact 0
		.amdhsa_exception_int_div_zero 0
	.end_amdhsa_kernel
	.section	.text._Z39paged_attention_ll4mi_QKV_mfma16_kernelI14__hip_bfloat16hLN4vllm18Fp8KVCacheDataTypeE1ES0_Li32ELi64ELi256ELb1ELi11EL8MFMAType1EEvPKT_PKT0_S9_ifPKiSB_SB_iPKfiiiPfSE_PS4_PT2_iSD_SD_,"axG",@progbits,_Z39paged_attention_ll4mi_QKV_mfma16_kernelI14__hip_bfloat16hLN4vllm18Fp8KVCacheDataTypeE1ES0_Li32ELi64ELi256ELb1ELi11EL8MFMAType1EEvPKT_PKT0_S9_ifPKiSB_SB_iPKfiiiPfSE_PS4_PT2_iSD_SD_,comdat
.Lfunc_end724:
	.size	_Z39paged_attention_ll4mi_QKV_mfma16_kernelI14__hip_bfloat16hLN4vllm18Fp8KVCacheDataTypeE1ES0_Li32ELi64ELi256ELb1ELi11EL8MFMAType1EEvPKT_PKT0_S9_ifPKiSB_SB_iPKfiiiPfSE_PS4_PT2_iSD_SD_, .Lfunc_end724-_Z39paged_attention_ll4mi_QKV_mfma16_kernelI14__hip_bfloat16hLN4vllm18Fp8KVCacheDataTypeE1ES0_Li32ELi64ELi256ELb1ELi11EL8MFMAType1EEvPKT_PKT0_S9_ifPKiSB_SB_iPKfiiiPfSE_PS4_PT2_iSD_SD_
                                        ; -- End function
	.section	.AMDGPU.csdata,"",@progbits
; Kernel info:
; codeLenInByte = 504
; NumSgprs: 40
; NumVgprs: 42
; NumAgprs: 1
; TotalNumVgprs: 45
; ScratchSize: 64
; MemoryBound: 0
; FloatMode: 240
; IeeeMode: 1
; LDSByteSize: 8192 bytes/workgroup (compile time only)
; SGPRBlocks: 4
; VGPRBlocks: 5
; NumSGPRsForWavesPerEU: 40
; NumVGPRsForWavesPerEU: 45
; AccumOffset: 44
; Occupancy: 8
; WaveLimiterHint : 1
; COMPUTE_PGM_RSRC2:SCRATCH_EN: 1
; COMPUTE_PGM_RSRC2:USER_SGPR: 8
; COMPUTE_PGM_RSRC2:TRAP_HANDLER: 0
; COMPUTE_PGM_RSRC2:TGID_X_EN: 1
; COMPUTE_PGM_RSRC2:TGID_Y_EN: 1
; COMPUTE_PGM_RSRC2:TGID_Z_EN: 1
; COMPUTE_PGM_RSRC2:TIDIG_COMP_CNT: 0
; COMPUTE_PGM_RSRC3_GFX90A:ACCUM_OFFSET: 10
; COMPUTE_PGM_RSRC3_GFX90A:TG_SPLIT: 0
	.section	.text._Z39paged_attention_ll4mi_QKV_mfma16_kernelI14__hip_bfloat16hLN4vllm18Fp8KVCacheDataTypeE1ES0_Li32ELi64ELi256ELb1ELi12EL8MFMAType1EEvPKT_PKT0_S9_ifPKiSB_SB_iPKfiiiPfSE_PS4_PT2_iSD_SD_,"axG",@progbits,_Z39paged_attention_ll4mi_QKV_mfma16_kernelI14__hip_bfloat16hLN4vllm18Fp8KVCacheDataTypeE1ES0_Li32ELi64ELi256ELb1ELi12EL8MFMAType1EEvPKT_PKT0_S9_ifPKiSB_SB_iPKfiiiPfSE_PS4_PT2_iSD_SD_,comdat
	.protected	_Z39paged_attention_ll4mi_QKV_mfma16_kernelI14__hip_bfloat16hLN4vllm18Fp8KVCacheDataTypeE1ES0_Li32ELi64ELi256ELb1ELi12EL8MFMAType1EEvPKT_PKT0_S9_ifPKiSB_SB_iPKfiiiPfSE_PS4_PT2_iSD_SD_ ; -- Begin function _Z39paged_attention_ll4mi_QKV_mfma16_kernelI14__hip_bfloat16hLN4vllm18Fp8KVCacheDataTypeE1ES0_Li32ELi64ELi256ELb1ELi12EL8MFMAType1EEvPKT_PKT0_S9_ifPKiSB_SB_iPKfiiiPfSE_PS4_PT2_iSD_SD_
	.globl	_Z39paged_attention_ll4mi_QKV_mfma16_kernelI14__hip_bfloat16hLN4vllm18Fp8KVCacheDataTypeE1ES0_Li32ELi64ELi256ELb1ELi12EL8MFMAType1EEvPKT_PKT0_S9_ifPKiSB_SB_iPKfiiiPfSE_PS4_PT2_iSD_SD_
	.p2align	8
	.type	_Z39paged_attention_ll4mi_QKV_mfma16_kernelI14__hip_bfloat16hLN4vllm18Fp8KVCacheDataTypeE1ES0_Li32ELi64ELi256ELb1ELi12EL8MFMAType1EEvPKT_PKT0_S9_ifPKiSB_SB_iPKfiiiPfSE_PS4_PT2_iSD_SD_,@function
_Z39paged_attention_ll4mi_QKV_mfma16_kernelI14__hip_bfloat16hLN4vllm18Fp8KVCacheDataTypeE1ES0_Li32ELi64ELi256ELb1ELi12EL8MFMAType1EEvPKT_PKT0_S9_ifPKiSB_SB_iPKfiiiPfSE_PS4_PT2_iSD_SD_: ; @_Z39paged_attention_ll4mi_QKV_mfma16_kernelI14__hip_bfloat16hLN4vllm18Fp8KVCacheDataTypeE1ES0_Li32ELi64ELi256ELb1ELi12EL8MFMAType1EEvPKT_PKT0_S9_ifPKiSB_SB_iPKfiiiPfSE_PS4_PT2_iSD_SD_
; %bb.0:
	s_load_dwordx2 s[12:13], s[4:5], 0x30
	s_add_u32 flat_scratch_lo, s6, s11
	s_addc_u32 flat_scratch_hi, s7, 0
	s_add_u32 s0, s0, s11
	s_addc_u32 s1, s1, 0
	s_waitcnt lgkmcnt(0)
	s_cmp_lg_u64 s[12:13], 0
	s_cselect_b64 s[14:15], -1, 0
	s_mov_b32 s6, s9
	s_mov_b64 s[16:17], 0
	s_and_b64 vcc, exec, s[14:15]
	s_mov_b32 s32, 0
	s_cbranch_vccz .LBB725_11
; %bb.1:
	s_add_i32 s18, s8, 1
	s_mov_b32 s19, 0
	s_lshl_b64 s[20:21], s[18:19], 2
	s_add_u32 s20, s12, s20
	s_mov_b32 s9, s19
	s_addc_u32 s21, s13, s21
	s_lshl_b64 s[18:19], s[8:9], 2
	s_add_u32 s18, s12, s18
	s_addc_u32 s19, s13, s19
	s_load_dword s7, s[20:21], 0x0
	s_load_dword s11, s[18:19], 0x0
	s_waitcnt lgkmcnt(0)
	s_sub_i32 s7, s7, s11
	s_cmp_eq_u32 s7, 1
	s_cselect_b64 s[18:19], -1, 0
	s_andn2_b64 vcc, exec, s[16:17]
	s_cbranch_vccnz .LBB725_3
.LBB725_2:
	s_mov_b32 s9, 0
	s_mov_b64 s[18:19], -1
.LBB725_3:
	s_andn2_b64 vcc, exec, s[18:19]
	s_cbranch_vccnz .LBB725_10
; %bb.4:
	s_load_dwordx2 s[18:19], s[4:5], 0x28
	s_lshl_b64 s[16:17], s[8:9], 2
	s_waitcnt lgkmcnt(0)
	s_add_u32 s18, s18, s16
	s_addc_u32 s19, s19, s17
	s_load_dword s7, s[18:19], 0x0
	s_lshl_b32 s6, s6, 8
	s_waitcnt lgkmcnt(0)
	s_cmp_ge_i32 s6, s7
	s_cbranch_scc1 .LBB725_10
; %bb.5:
	s_andn2_b64 vcc, exec, s[14:15]
	s_cbranch_vccnz .LBB725_7
; %bb.6:
	s_add_u32 s6, s12, s16
	s_addc_u32 s7, s13, s17
	s_load_dword s8, s[6:7], 0x0
.LBB725_7:
	v_and_b32_e32 v1, 15, v0
	s_movk_i32 s6, 0xc0
	v_cmp_gt_u32_e32 vcc, s6, v0
	v_cmp_gt_u32_e64 s[6:7], 8, v1
	s_and_b64 s[12:13], vcc, s[6:7]
	s_and_saveexec_b64 s[6:7], s[12:13]
	s_cbranch_execz .LBB725_9
; %bb.8:
	s_load_dword s11, s[4:5], 0x48
	s_load_dwordx2 s[12:13], s[4:5], 0x0
	v_lshrrev_b32_e32 v6, 4, v0
	s_mul_i32 s10, s10, 12
	v_add_lshl_u32 v2, v6, s10, 6
	s_waitcnt lgkmcnt(0)
	s_ashr_i32 s9, s11, 31
	s_mul_hi_u32 s14, s8, s11
	s_mul_i32 s9, s8, s9
	s_add_i32 s9, s14, s9
	s_mul_i32 s8, s8, s11
	s_lshl_b64 s[8:9], s[8:9], 1
	s_add_u32 s8, s12, s8
	v_ashrrev_i32_e32 v3, 31, v2
	s_addc_u32 s9, s13, s9
	v_lshlrev_b64 v[2:3], 1, v[2:3]
	v_mov_b32_e32 v4, s9
	v_add_co_u32_e32 v2, vcc, s8, v2
	v_addc_co_u32_e32 v3, vcc, v4, v3, vcc
	v_lshlrev_b32_e32 v4, 4, v1
	v_add_co_u32_e32 v2, vcc, v2, v4
	v_addc_co_u32_e32 v3, vcc, 0, v3, vcc
	global_load_dwordx4 v[2:5], v[2:3], off
	v_lshlrev_b32_e32 v0, 4, v0
	v_lshlrev_b32_e32 v1, 8, v1
	v_and_b32_e32 v0, 16, v0
	v_lshlrev_b32_e32 v6, 5, v6
	v_and_b32_e32 v1, 0xe00, v1
	v_or3_b32 v0, v1, v6, v0
	s_waitcnt vmcnt(0)
	ds_write_b128 v0, v[2:5]
.LBB725_9:
	s_or_b64 exec, exec, s[6:7]
	s_waitcnt lgkmcnt(0)
	s_add_u32 s8, s4, 0x90
	s_addc_u32 s9, s5, 0
	s_getpc_b64 s[4:5]
	s_add_u32 s4, s4, __PRETTY_FUNCTION__._Z39paged_attention_ll4mi_QKV_mfma16_kernelI14__hip_bfloat16hLN4vllm18Fp8KVCacheDataTypeE1ES0_Li32ELi64ELi256ELb1ELi12EL8MFMAType1EEvPKT_PKT0_S9_ifPKiSB_SB_iPKfiiiPfSE_PS4_PT2_iSD_SD_@rel32@lo+4
	s_addc_u32 s5, s5, __PRETTY_FUNCTION__._Z39paged_attention_ll4mi_QKV_mfma16_kernelI14__hip_bfloat16hLN4vllm18Fp8KVCacheDataTypeE1ES0_Li32ELi64ELi256ELb1ELi12EL8MFMAType1EEvPKT_PKT0_S9_ifPKiSB_SB_iPKfiiiPfSE_PS4_PT2_iSD_SD_@rel32@hi+12
	v_mov_b32_e32 v0, 0x288
	v_mov_b32_e32 v1, s4
	;; [unrolled: 1-line block ×3, first 2 shown]
	s_barrier
	s_getpc_b64 s[6:7]
	s_add_u32 s6, s6, __assert_fail@rel32@lo+4
	s_addc_u32 s7, s7, __assert_fail@rel32@hi+12
	s_swappc_b64 s[30:31], s[6:7]
	; divergent unreachable
.LBB725_10:
	s_endpgm
.LBB725_11:
	s_mov_b64 s[18:19], 0
	s_branch .LBB725_2
	.section	.rodata,"a",@progbits
	.p2align	6, 0x0
	.amdhsa_kernel _Z39paged_attention_ll4mi_QKV_mfma16_kernelI14__hip_bfloat16hLN4vllm18Fp8KVCacheDataTypeE1ES0_Li32ELi64ELi256ELb1ELi12EL8MFMAType1EEvPKT_PKT0_S9_ifPKiSB_SB_iPKfiiiPfSE_PS4_PT2_iSD_SD_
		.amdhsa_group_segment_fixed_size 8192
		.amdhsa_private_segment_fixed_size 64
		.amdhsa_kernarg_size 400
		.amdhsa_user_sgpr_count 8
		.amdhsa_user_sgpr_private_segment_buffer 1
		.amdhsa_user_sgpr_dispatch_ptr 0
		.amdhsa_user_sgpr_queue_ptr 0
		.amdhsa_user_sgpr_kernarg_segment_ptr 1
		.amdhsa_user_sgpr_dispatch_id 0
		.amdhsa_user_sgpr_flat_scratch_init 1
		.amdhsa_user_sgpr_kernarg_preload_length 0
		.amdhsa_user_sgpr_kernarg_preload_offset 0
		.amdhsa_user_sgpr_private_segment_size 0
		.amdhsa_uses_dynamic_stack 0
		.amdhsa_system_sgpr_private_segment_wavefront_offset 1
		.amdhsa_system_sgpr_workgroup_id_x 1
		.amdhsa_system_sgpr_workgroup_id_y 1
		.amdhsa_system_sgpr_workgroup_id_z 1
		.amdhsa_system_sgpr_workgroup_info 0
		.amdhsa_system_vgpr_workitem_id 0
		.amdhsa_next_free_vgpr 45
		.amdhsa_next_free_sgpr 34
		.amdhsa_accum_offset 44
		.amdhsa_reserve_vcc 1
		.amdhsa_reserve_flat_scratch 1
		.amdhsa_float_round_mode_32 0
		.amdhsa_float_round_mode_16_64 0
		.amdhsa_float_denorm_mode_32 3
		.amdhsa_float_denorm_mode_16_64 3
		.amdhsa_dx10_clamp 1
		.amdhsa_ieee_mode 1
		.amdhsa_fp16_overflow 0
		.amdhsa_tg_split 0
		.amdhsa_exception_fp_ieee_invalid_op 0
		.amdhsa_exception_fp_denorm_src 0
		.amdhsa_exception_fp_ieee_div_zero 0
		.amdhsa_exception_fp_ieee_overflow 0
		.amdhsa_exception_fp_ieee_underflow 0
		.amdhsa_exception_fp_ieee_inexact 0
		.amdhsa_exception_int_div_zero 0
	.end_amdhsa_kernel
	.section	.text._Z39paged_attention_ll4mi_QKV_mfma16_kernelI14__hip_bfloat16hLN4vllm18Fp8KVCacheDataTypeE1ES0_Li32ELi64ELi256ELb1ELi12EL8MFMAType1EEvPKT_PKT0_S9_ifPKiSB_SB_iPKfiiiPfSE_PS4_PT2_iSD_SD_,"axG",@progbits,_Z39paged_attention_ll4mi_QKV_mfma16_kernelI14__hip_bfloat16hLN4vllm18Fp8KVCacheDataTypeE1ES0_Li32ELi64ELi256ELb1ELi12EL8MFMAType1EEvPKT_PKT0_S9_ifPKiSB_SB_iPKfiiiPfSE_PS4_PT2_iSD_SD_,comdat
.Lfunc_end725:
	.size	_Z39paged_attention_ll4mi_QKV_mfma16_kernelI14__hip_bfloat16hLN4vllm18Fp8KVCacheDataTypeE1ES0_Li32ELi64ELi256ELb1ELi12EL8MFMAType1EEvPKT_PKT0_S9_ifPKiSB_SB_iPKfiiiPfSE_PS4_PT2_iSD_SD_, .Lfunc_end725-_Z39paged_attention_ll4mi_QKV_mfma16_kernelI14__hip_bfloat16hLN4vllm18Fp8KVCacheDataTypeE1ES0_Li32ELi64ELi256ELb1ELi12EL8MFMAType1EEvPKT_PKT0_S9_ifPKiSB_SB_iPKfiiiPfSE_PS4_PT2_iSD_SD_
                                        ; -- End function
	.section	.AMDGPU.csdata,"",@progbits
; Kernel info:
; codeLenInByte = 504
; NumSgprs: 40
; NumVgprs: 42
; NumAgprs: 1
; TotalNumVgprs: 45
; ScratchSize: 64
; MemoryBound: 0
; FloatMode: 240
; IeeeMode: 1
; LDSByteSize: 8192 bytes/workgroup (compile time only)
; SGPRBlocks: 4
; VGPRBlocks: 5
; NumSGPRsForWavesPerEU: 40
; NumVGPRsForWavesPerEU: 45
; AccumOffset: 44
; Occupancy: 8
; WaveLimiterHint : 1
; COMPUTE_PGM_RSRC2:SCRATCH_EN: 1
; COMPUTE_PGM_RSRC2:USER_SGPR: 8
; COMPUTE_PGM_RSRC2:TRAP_HANDLER: 0
; COMPUTE_PGM_RSRC2:TGID_X_EN: 1
; COMPUTE_PGM_RSRC2:TGID_Y_EN: 1
; COMPUTE_PGM_RSRC2:TGID_Z_EN: 1
; COMPUTE_PGM_RSRC2:TIDIG_COMP_CNT: 0
; COMPUTE_PGM_RSRC3_GFX90A:ACCUM_OFFSET: 10
; COMPUTE_PGM_RSRC3_GFX90A:TG_SPLIT: 0
	.section	.text._Z39paged_attention_ll4mi_QKV_mfma16_kernelI14__hip_bfloat16hLN4vllm18Fp8KVCacheDataTypeE1ES0_Li32ELi64ELi256ELb1ELi13EL8MFMAType1EEvPKT_PKT0_S9_ifPKiSB_SB_iPKfiiiPfSE_PS4_PT2_iSD_SD_,"axG",@progbits,_Z39paged_attention_ll4mi_QKV_mfma16_kernelI14__hip_bfloat16hLN4vllm18Fp8KVCacheDataTypeE1ES0_Li32ELi64ELi256ELb1ELi13EL8MFMAType1EEvPKT_PKT0_S9_ifPKiSB_SB_iPKfiiiPfSE_PS4_PT2_iSD_SD_,comdat
	.protected	_Z39paged_attention_ll4mi_QKV_mfma16_kernelI14__hip_bfloat16hLN4vllm18Fp8KVCacheDataTypeE1ES0_Li32ELi64ELi256ELb1ELi13EL8MFMAType1EEvPKT_PKT0_S9_ifPKiSB_SB_iPKfiiiPfSE_PS4_PT2_iSD_SD_ ; -- Begin function _Z39paged_attention_ll4mi_QKV_mfma16_kernelI14__hip_bfloat16hLN4vllm18Fp8KVCacheDataTypeE1ES0_Li32ELi64ELi256ELb1ELi13EL8MFMAType1EEvPKT_PKT0_S9_ifPKiSB_SB_iPKfiiiPfSE_PS4_PT2_iSD_SD_
	.globl	_Z39paged_attention_ll4mi_QKV_mfma16_kernelI14__hip_bfloat16hLN4vllm18Fp8KVCacheDataTypeE1ES0_Li32ELi64ELi256ELb1ELi13EL8MFMAType1EEvPKT_PKT0_S9_ifPKiSB_SB_iPKfiiiPfSE_PS4_PT2_iSD_SD_
	.p2align	8
	.type	_Z39paged_attention_ll4mi_QKV_mfma16_kernelI14__hip_bfloat16hLN4vllm18Fp8KVCacheDataTypeE1ES0_Li32ELi64ELi256ELb1ELi13EL8MFMAType1EEvPKT_PKT0_S9_ifPKiSB_SB_iPKfiiiPfSE_PS4_PT2_iSD_SD_,@function
_Z39paged_attention_ll4mi_QKV_mfma16_kernelI14__hip_bfloat16hLN4vllm18Fp8KVCacheDataTypeE1ES0_Li32ELi64ELi256ELb1ELi13EL8MFMAType1EEvPKT_PKT0_S9_ifPKiSB_SB_iPKfiiiPfSE_PS4_PT2_iSD_SD_: ; @_Z39paged_attention_ll4mi_QKV_mfma16_kernelI14__hip_bfloat16hLN4vllm18Fp8KVCacheDataTypeE1ES0_Li32ELi64ELi256ELb1ELi13EL8MFMAType1EEvPKT_PKT0_S9_ifPKiSB_SB_iPKfiiiPfSE_PS4_PT2_iSD_SD_
; %bb.0:
	s_load_dwordx2 s[12:13], s[4:5], 0x30
	s_add_u32 flat_scratch_lo, s6, s11
	s_addc_u32 flat_scratch_hi, s7, 0
	s_add_u32 s0, s0, s11
	s_addc_u32 s1, s1, 0
	s_waitcnt lgkmcnt(0)
	s_cmp_lg_u64 s[12:13], 0
	s_cselect_b64 s[14:15], -1, 0
	s_mov_b32 s6, s9
	s_mov_b64 s[16:17], 0
	s_and_b64 vcc, exec, s[14:15]
	s_mov_b32 s32, 0
	s_cbranch_vccz .LBB726_11
; %bb.1:
	s_add_i32 s18, s8, 1
	s_mov_b32 s19, 0
	s_lshl_b64 s[20:21], s[18:19], 2
	s_add_u32 s20, s12, s20
	s_mov_b32 s9, s19
	s_addc_u32 s21, s13, s21
	s_lshl_b64 s[18:19], s[8:9], 2
	s_add_u32 s18, s12, s18
	s_addc_u32 s19, s13, s19
	s_load_dword s7, s[20:21], 0x0
	s_load_dword s11, s[18:19], 0x0
	s_waitcnt lgkmcnt(0)
	s_sub_i32 s7, s7, s11
	s_cmp_eq_u32 s7, 1
	s_cselect_b64 s[18:19], -1, 0
	s_andn2_b64 vcc, exec, s[16:17]
	s_cbranch_vccnz .LBB726_3
.LBB726_2:
	s_mov_b32 s9, 0
	s_mov_b64 s[18:19], -1
.LBB726_3:
	s_andn2_b64 vcc, exec, s[18:19]
	s_cbranch_vccnz .LBB726_10
; %bb.4:
	s_load_dwordx2 s[18:19], s[4:5], 0x28
	s_lshl_b64 s[16:17], s[8:9], 2
	s_waitcnt lgkmcnt(0)
	s_add_u32 s18, s18, s16
	s_addc_u32 s19, s19, s17
	s_load_dword s7, s[18:19], 0x0
	s_lshl_b32 s6, s6, 8
	s_waitcnt lgkmcnt(0)
	s_cmp_ge_i32 s6, s7
	s_cbranch_scc1 .LBB726_10
; %bb.5:
	s_andn2_b64 vcc, exec, s[14:15]
	s_cbranch_vccnz .LBB726_7
; %bb.6:
	s_add_u32 s6, s12, s16
	s_addc_u32 s7, s13, s17
	s_load_dword s8, s[6:7], 0x0
.LBB726_7:
	v_and_b32_e32 v1, 15, v0
	s_movk_i32 s6, 0xd0
	v_cmp_gt_u32_e32 vcc, s6, v0
	v_cmp_gt_u32_e64 s[6:7], 8, v1
	s_and_b64 s[12:13], s[6:7], vcc
	s_and_saveexec_b64 s[6:7], s[12:13]
	s_cbranch_execz .LBB726_9
; %bb.8:
	s_load_dword s11, s[4:5], 0x48
	s_load_dwordx2 s[12:13], s[4:5], 0x0
	v_lshrrev_b32_e32 v6, 4, v0
	s_mul_i32 s10, s10, 13
	v_add_lshl_u32 v2, v6, s10, 6
	s_waitcnt lgkmcnt(0)
	s_ashr_i32 s9, s11, 31
	s_mul_hi_u32 s14, s8, s11
	s_mul_i32 s9, s8, s9
	s_add_i32 s9, s14, s9
	s_mul_i32 s8, s8, s11
	s_lshl_b64 s[8:9], s[8:9], 1
	s_add_u32 s8, s12, s8
	v_ashrrev_i32_e32 v3, 31, v2
	s_addc_u32 s9, s13, s9
	v_lshlrev_b64 v[2:3], 1, v[2:3]
	v_mov_b32_e32 v4, s9
	v_add_co_u32_e32 v2, vcc, s8, v2
	v_addc_co_u32_e32 v3, vcc, v4, v3, vcc
	v_lshlrev_b32_e32 v4, 4, v1
	v_add_co_u32_e32 v2, vcc, v2, v4
	v_addc_co_u32_e32 v3, vcc, 0, v3, vcc
	global_load_dwordx4 v[2:5], v[2:3], off
	v_lshlrev_b32_e32 v0, 4, v0
	v_lshlrev_b32_e32 v1, 8, v1
	v_and_b32_e32 v0, 16, v0
	v_lshlrev_b32_e32 v6, 5, v6
	v_and_b32_e32 v1, 0xe00, v1
	v_or3_b32 v0, v1, v6, v0
	s_waitcnt vmcnt(0)
	ds_write_b128 v0, v[2:5]
.LBB726_9:
	s_or_b64 exec, exec, s[6:7]
	s_waitcnt lgkmcnt(0)
	s_add_u32 s8, s4, 0x90
	s_addc_u32 s9, s5, 0
	s_getpc_b64 s[4:5]
	s_add_u32 s4, s4, __PRETTY_FUNCTION__._Z39paged_attention_ll4mi_QKV_mfma16_kernelI14__hip_bfloat16hLN4vllm18Fp8KVCacheDataTypeE1ES0_Li32ELi64ELi256ELb1ELi13EL8MFMAType1EEvPKT_PKT0_S9_ifPKiSB_SB_iPKfiiiPfSE_PS4_PT2_iSD_SD_@rel32@lo+4
	s_addc_u32 s5, s5, __PRETTY_FUNCTION__._Z39paged_attention_ll4mi_QKV_mfma16_kernelI14__hip_bfloat16hLN4vllm18Fp8KVCacheDataTypeE1ES0_Li32ELi64ELi256ELb1ELi13EL8MFMAType1EEvPKT_PKT0_S9_ifPKiSB_SB_iPKfiiiPfSE_PS4_PT2_iSD_SD_@rel32@hi+12
	v_mov_b32_e32 v0, 0x288
	v_mov_b32_e32 v1, s4
	;; [unrolled: 1-line block ×3, first 2 shown]
	s_barrier
	s_getpc_b64 s[6:7]
	s_add_u32 s6, s6, __assert_fail@rel32@lo+4
	s_addc_u32 s7, s7, __assert_fail@rel32@hi+12
	s_swappc_b64 s[30:31], s[6:7]
	; divergent unreachable
.LBB726_10:
	s_endpgm
.LBB726_11:
	s_mov_b64 s[18:19], 0
	s_branch .LBB726_2
	.section	.rodata,"a",@progbits
	.p2align	6, 0x0
	.amdhsa_kernel _Z39paged_attention_ll4mi_QKV_mfma16_kernelI14__hip_bfloat16hLN4vllm18Fp8KVCacheDataTypeE1ES0_Li32ELi64ELi256ELb1ELi13EL8MFMAType1EEvPKT_PKT0_S9_ifPKiSB_SB_iPKfiiiPfSE_PS4_PT2_iSD_SD_
		.amdhsa_group_segment_fixed_size 8192
		.amdhsa_private_segment_fixed_size 64
		.amdhsa_kernarg_size 400
		.amdhsa_user_sgpr_count 8
		.amdhsa_user_sgpr_private_segment_buffer 1
		.amdhsa_user_sgpr_dispatch_ptr 0
		.amdhsa_user_sgpr_queue_ptr 0
		.amdhsa_user_sgpr_kernarg_segment_ptr 1
		.amdhsa_user_sgpr_dispatch_id 0
		.amdhsa_user_sgpr_flat_scratch_init 1
		.amdhsa_user_sgpr_kernarg_preload_length 0
		.amdhsa_user_sgpr_kernarg_preload_offset 0
		.amdhsa_user_sgpr_private_segment_size 0
		.amdhsa_uses_dynamic_stack 0
		.amdhsa_system_sgpr_private_segment_wavefront_offset 1
		.amdhsa_system_sgpr_workgroup_id_x 1
		.amdhsa_system_sgpr_workgroup_id_y 1
		.amdhsa_system_sgpr_workgroup_id_z 1
		.amdhsa_system_sgpr_workgroup_info 0
		.amdhsa_system_vgpr_workitem_id 0
		.amdhsa_next_free_vgpr 45
		.amdhsa_next_free_sgpr 34
		.amdhsa_accum_offset 44
		.amdhsa_reserve_vcc 1
		.amdhsa_reserve_flat_scratch 1
		.amdhsa_float_round_mode_32 0
		.amdhsa_float_round_mode_16_64 0
		.amdhsa_float_denorm_mode_32 3
		.amdhsa_float_denorm_mode_16_64 3
		.amdhsa_dx10_clamp 1
		.amdhsa_ieee_mode 1
		.amdhsa_fp16_overflow 0
		.amdhsa_tg_split 0
		.amdhsa_exception_fp_ieee_invalid_op 0
		.amdhsa_exception_fp_denorm_src 0
		.amdhsa_exception_fp_ieee_div_zero 0
		.amdhsa_exception_fp_ieee_overflow 0
		.amdhsa_exception_fp_ieee_underflow 0
		.amdhsa_exception_fp_ieee_inexact 0
		.amdhsa_exception_int_div_zero 0
	.end_amdhsa_kernel
	.section	.text._Z39paged_attention_ll4mi_QKV_mfma16_kernelI14__hip_bfloat16hLN4vllm18Fp8KVCacheDataTypeE1ES0_Li32ELi64ELi256ELb1ELi13EL8MFMAType1EEvPKT_PKT0_S9_ifPKiSB_SB_iPKfiiiPfSE_PS4_PT2_iSD_SD_,"axG",@progbits,_Z39paged_attention_ll4mi_QKV_mfma16_kernelI14__hip_bfloat16hLN4vllm18Fp8KVCacheDataTypeE1ES0_Li32ELi64ELi256ELb1ELi13EL8MFMAType1EEvPKT_PKT0_S9_ifPKiSB_SB_iPKfiiiPfSE_PS4_PT2_iSD_SD_,comdat
.Lfunc_end726:
	.size	_Z39paged_attention_ll4mi_QKV_mfma16_kernelI14__hip_bfloat16hLN4vllm18Fp8KVCacheDataTypeE1ES0_Li32ELi64ELi256ELb1ELi13EL8MFMAType1EEvPKT_PKT0_S9_ifPKiSB_SB_iPKfiiiPfSE_PS4_PT2_iSD_SD_, .Lfunc_end726-_Z39paged_attention_ll4mi_QKV_mfma16_kernelI14__hip_bfloat16hLN4vllm18Fp8KVCacheDataTypeE1ES0_Li32ELi64ELi256ELb1ELi13EL8MFMAType1EEvPKT_PKT0_S9_ifPKiSB_SB_iPKfiiiPfSE_PS4_PT2_iSD_SD_
                                        ; -- End function
	.section	.AMDGPU.csdata,"",@progbits
; Kernel info:
; codeLenInByte = 504
; NumSgprs: 40
; NumVgprs: 42
; NumAgprs: 1
; TotalNumVgprs: 45
; ScratchSize: 64
; MemoryBound: 0
; FloatMode: 240
; IeeeMode: 1
; LDSByteSize: 8192 bytes/workgroup (compile time only)
; SGPRBlocks: 4
; VGPRBlocks: 5
; NumSGPRsForWavesPerEU: 40
; NumVGPRsForWavesPerEU: 45
; AccumOffset: 44
; Occupancy: 8
; WaveLimiterHint : 1
; COMPUTE_PGM_RSRC2:SCRATCH_EN: 1
; COMPUTE_PGM_RSRC2:USER_SGPR: 8
; COMPUTE_PGM_RSRC2:TRAP_HANDLER: 0
; COMPUTE_PGM_RSRC2:TGID_X_EN: 1
; COMPUTE_PGM_RSRC2:TGID_Y_EN: 1
; COMPUTE_PGM_RSRC2:TGID_Z_EN: 1
; COMPUTE_PGM_RSRC2:TIDIG_COMP_CNT: 0
; COMPUTE_PGM_RSRC3_GFX90A:ACCUM_OFFSET: 10
; COMPUTE_PGM_RSRC3_GFX90A:TG_SPLIT: 0
	.section	.text._Z39paged_attention_ll4mi_QKV_mfma16_kernelI14__hip_bfloat16hLN4vllm18Fp8KVCacheDataTypeE1ES0_Li32ELi64ELi256ELb1ELi14EL8MFMAType1EEvPKT_PKT0_S9_ifPKiSB_SB_iPKfiiiPfSE_PS4_PT2_iSD_SD_,"axG",@progbits,_Z39paged_attention_ll4mi_QKV_mfma16_kernelI14__hip_bfloat16hLN4vllm18Fp8KVCacheDataTypeE1ES0_Li32ELi64ELi256ELb1ELi14EL8MFMAType1EEvPKT_PKT0_S9_ifPKiSB_SB_iPKfiiiPfSE_PS4_PT2_iSD_SD_,comdat
	.protected	_Z39paged_attention_ll4mi_QKV_mfma16_kernelI14__hip_bfloat16hLN4vllm18Fp8KVCacheDataTypeE1ES0_Li32ELi64ELi256ELb1ELi14EL8MFMAType1EEvPKT_PKT0_S9_ifPKiSB_SB_iPKfiiiPfSE_PS4_PT2_iSD_SD_ ; -- Begin function _Z39paged_attention_ll4mi_QKV_mfma16_kernelI14__hip_bfloat16hLN4vllm18Fp8KVCacheDataTypeE1ES0_Li32ELi64ELi256ELb1ELi14EL8MFMAType1EEvPKT_PKT0_S9_ifPKiSB_SB_iPKfiiiPfSE_PS4_PT2_iSD_SD_
	.globl	_Z39paged_attention_ll4mi_QKV_mfma16_kernelI14__hip_bfloat16hLN4vllm18Fp8KVCacheDataTypeE1ES0_Li32ELi64ELi256ELb1ELi14EL8MFMAType1EEvPKT_PKT0_S9_ifPKiSB_SB_iPKfiiiPfSE_PS4_PT2_iSD_SD_
	.p2align	8
	.type	_Z39paged_attention_ll4mi_QKV_mfma16_kernelI14__hip_bfloat16hLN4vllm18Fp8KVCacheDataTypeE1ES0_Li32ELi64ELi256ELb1ELi14EL8MFMAType1EEvPKT_PKT0_S9_ifPKiSB_SB_iPKfiiiPfSE_PS4_PT2_iSD_SD_,@function
_Z39paged_attention_ll4mi_QKV_mfma16_kernelI14__hip_bfloat16hLN4vllm18Fp8KVCacheDataTypeE1ES0_Li32ELi64ELi256ELb1ELi14EL8MFMAType1EEvPKT_PKT0_S9_ifPKiSB_SB_iPKfiiiPfSE_PS4_PT2_iSD_SD_: ; @_Z39paged_attention_ll4mi_QKV_mfma16_kernelI14__hip_bfloat16hLN4vllm18Fp8KVCacheDataTypeE1ES0_Li32ELi64ELi256ELb1ELi14EL8MFMAType1EEvPKT_PKT0_S9_ifPKiSB_SB_iPKfiiiPfSE_PS4_PT2_iSD_SD_
; %bb.0:
	s_load_dwordx2 s[12:13], s[4:5], 0x30
	s_add_u32 flat_scratch_lo, s6, s11
	s_addc_u32 flat_scratch_hi, s7, 0
	s_add_u32 s0, s0, s11
	s_addc_u32 s1, s1, 0
	s_waitcnt lgkmcnt(0)
	s_cmp_lg_u64 s[12:13], 0
	s_cselect_b64 s[14:15], -1, 0
	s_mov_b32 s6, s9
	s_mov_b64 s[16:17], 0
	s_and_b64 vcc, exec, s[14:15]
	s_mov_b32 s32, 0
	s_cbranch_vccz .LBB727_11
; %bb.1:
	s_add_i32 s18, s8, 1
	s_mov_b32 s19, 0
	s_lshl_b64 s[20:21], s[18:19], 2
	s_add_u32 s20, s12, s20
	s_mov_b32 s9, s19
	s_addc_u32 s21, s13, s21
	s_lshl_b64 s[18:19], s[8:9], 2
	s_add_u32 s18, s12, s18
	s_addc_u32 s19, s13, s19
	s_load_dword s7, s[20:21], 0x0
	s_load_dword s11, s[18:19], 0x0
	s_waitcnt lgkmcnt(0)
	s_sub_i32 s7, s7, s11
	s_cmp_eq_u32 s7, 1
	s_cselect_b64 s[18:19], -1, 0
	s_andn2_b64 vcc, exec, s[16:17]
	s_cbranch_vccnz .LBB727_3
.LBB727_2:
	s_mov_b32 s9, 0
	s_mov_b64 s[18:19], -1
.LBB727_3:
	s_andn2_b64 vcc, exec, s[18:19]
	s_cbranch_vccnz .LBB727_10
; %bb.4:
	s_load_dwordx2 s[18:19], s[4:5], 0x28
	s_lshl_b64 s[16:17], s[8:9], 2
	s_waitcnt lgkmcnt(0)
	s_add_u32 s18, s18, s16
	s_addc_u32 s19, s19, s17
	s_load_dword s7, s[18:19], 0x0
	s_lshl_b32 s6, s6, 8
	s_waitcnt lgkmcnt(0)
	s_cmp_ge_i32 s6, s7
	s_cbranch_scc1 .LBB727_10
; %bb.5:
	s_andn2_b64 vcc, exec, s[14:15]
	s_cbranch_vccnz .LBB727_7
; %bb.6:
	s_add_u32 s6, s12, s16
	s_addc_u32 s7, s13, s17
	s_load_dword s8, s[6:7], 0x0
.LBB727_7:
	v_and_b32_e32 v1, 15, v0
	s_movk_i32 s6, 0xe0
	v_cmp_gt_u32_e32 vcc, s6, v0
	v_cmp_gt_u32_e64 s[6:7], 8, v1
	s_and_b64 s[12:13], s[6:7], vcc
	s_and_saveexec_b64 s[6:7], s[12:13]
	s_cbranch_execz .LBB727_9
; %bb.8:
	s_load_dword s11, s[4:5], 0x48
	s_load_dwordx2 s[12:13], s[4:5], 0x0
	v_lshrrev_b32_e32 v6, 4, v0
	s_mul_i32 s10, s10, 14
	v_add_lshl_u32 v2, v6, s10, 6
	s_waitcnt lgkmcnt(0)
	s_ashr_i32 s9, s11, 31
	s_mul_hi_u32 s14, s8, s11
	s_mul_i32 s9, s8, s9
	s_add_i32 s9, s14, s9
	s_mul_i32 s8, s8, s11
	s_lshl_b64 s[8:9], s[8:9], 1
	s_add_u32 s8, s12, s8
	v_ashrrev_i32_e32 v3, 31, v2
	s_addc_u32 s9, s13, s9
	v_lshlrev_b64 v[2:3], 1, v[2:3]
	v_mov_b32_e32 v4, s9
	v_add_co_u32_e32 v2, vcc, s8, v2
	v_addc_co_u32_e32 v3, vcc, v4, v3, vcc
	v_lshlrev_b32_e32 v4, 4, v1
	v_add_co_u32_e32 v2, vcc, v2, v4
	v_addc_co_u32_e32 v3, vcc, 0, v3, vcc
	global_load_dwordx4 v[2:5], v[2:3], off
	v_lshlrev_b32_e32 v0, 4, v0
	v_lshlrev_b32_e32 v1, 8, v1
	v_and_b32_e32 v0, 16, v0
	v_lshlrev_b32_e32 v6, 5, v6
	v_and_b32_e32 v1, 0xe00, v1
	v_or3_b32 v0, v1, v6, v0
	s_waitcnt vmcnt(0)
	ds_write_b128 v0, v[2:5]
.LBB727_9:
	s_or_b64 exec, exec, s[6:7]
	s_waitcnt lgkmcnt(0)
	s_add_u32 s8, s4, 0x90
	s_addc_u32 s9, s5, 0
	s_getpc_b64 s[4:5]
	s_add_u32 s4, s4, __PRETTY_FUNCTION__._Z39paged_attention_ll4mi_QKV_mfma16_kernelI14__hip_bfloat16hLN4vllm18Fp8KVCacheDataTypeE1ES0_Li32ELi64ELi256ELb1ELi14EL8MFMAType1EEvPKT_PKT0_S9_ifPKiSB_SB_iPKfiiiPfSE_PS4_PT2_iSD_SD_@rel32@lo+4
	s_addc_u32 s5, s5, __PRETTY_FUNCTION__._Z39paged_attention_ll4mi_QKV_mfma16_kernelI14__hip_bfloat16hLN4vllm18Fp8KVCacheDataTypeE1ES0_Li32ELi64ELi256ELb1ELi14EL8MFMAType1EEvPKT_PKT0_S9_ifPKiSB_SB_iPKfiiiPfSE_PS4_PT2_iSD_SD_@rel32@hi+12
	v_mov_b32_e32 v0, 0x288
	v_mov_b32_e32 v1, s4
	;; [unrolled: 1-line block ×3, first 2 shown]
	s_barrier
	s_getpc_b64 s[6:7]
	s_add_u32 s6, s6, __assert_fail@rel32@lo+4
	s_addc_u32 s7, s7, __assert_fail@rel32@hi+12
	s_swappc_b64 s[30:31], s[6:7]
	; divergent unreachable
.LBB727_10:
	s_endpgm
.LBB727_11:
	s_mov_b64 s[18:19], 0
	s_branch .LBB727_2
	.section	.rodata,"a",@progbits
	.p2align	6, 0x0
	.amdhsa_kernel _Z39paged_attention_ll4mi_QKV_mfma16_kernelI14__hip_bfloat16hLN4vllm18Fp8KVCacheDataTypeE1ES0_Li32ELi64ELi256ELb1ELi14EL8MFMAType1EEvPKT_PKT0_S9_ifPKiSB_SB_iPKfiiiPfSE_PS4_PT2_iSD_SD_
		.amdhsa_group_segment_fixed_size 8192
		.amdhsa_private_segment_fixed_size 64
		.amdhsa_kernarg_size 400
		.amdhsa_user_sgpr_count 8
		.amdhsa_user_sgpr_private_segment_buffer 1
		.amdhsa_user_sgpr_dispatch_ptr 0
		.amdhsa_user_sgpr_queue_ptr 0
		.amdhsa_user_sgpr_kernarg_segment_ptr 1
		.amdhsa_user_sgpr_dispatch_id 0
		.amdhsa_user_sgpr_flat_scratch_init 1
		.amdhsa_user_sgpr_kernarg_preload_length 0
		.amdhsa_user_sgpr_kernarg_preload_offset 0
		.amdhsa_user_sgpr_private_segment_size 0
		.amdhsa_uses_dynamic_stack 0
		.amdhsa_system_sgpr_private_segment_wavefront_offset 1
		.amdhsa_system_sgpr_workgroup_id_x 1
		.amdhsa_system_sgpr_workgroup_id_y 1
		.amdhsa_system_sgpr_workgroup_id_z 1
		.amdhsa_system_sgpr_workgroup_info 0
		.amdhsa_system_vgpr_workitem_id 0
		.amdhsa_next_free_vgpr 45
		.amdhsa_next_free_sgpr 34
		.amdhsa_accum_offset 44
		.amdhsa_reserve_vcc 1
		.amdhsa_reserve_flat_scratch 1
		.amdhsa_float_round_mode_32 0
		.amdhsa_float_round_mode_16_64 0
		.amdhsa_float_denorm_mode_32 3
		.amdhsa_float_denorm_mode_16_64 3
		.amdhsa_dx10_clamp 1
		.amdhsa_ieee_mode 1
		.amdhsa_fp16_overflow 0
		.amdhsa_tg_split 0
		.amdhsa_exception_fp_ieee_invalid_op 0
		.amdhsa_exception_fp_denorm_src 0
		.amdhsa_exception_fp_ieee_div_zero 0
		.amdhsa_exception_fp_ieee_overflow 0
		.amdhsa_exception_fp_ieee_underflow 0
		.amdhsa_exception_fp_ieee_inexact 0
		.amdhsa_exception_int_div_zero 0
	.end_amdhsa_kernel
	.section	.text._Z39paged_attention_ll4mi_QKV_mfma16_kernelI14__hip_bfloat16hLN4vllm18Fp8KVCacheDataTypeE1ES0_Li32ELi64ELi256ELb1ELi14EL8MFMAType1EEvPKT_PKT0_S9_ifPKiSB_SB_iPKfiiiPfSE_PS4_PT2_iSD_SD_,"axG",@progbits,_Z39paged_attention_ll4mi_QKV_mfma16_kernelI14__hip_bfloat16hLN4vllm18Fp8KVCacheDataTypeE1ES0_Li32ELi64ELi256ELb1ELi14EL8MFMAType1EEvPKT_PKT0_S9_ifPKiSB_SB_iPKfiiiPfSE_PS4_PT2_iSD_SD_,comdat
.Lfunc_end727:
	.size	_Z39paged_attention_ll4mi_QKV_mfma16_kernelI14__hip_bfloat16hLN4vllm18Fp8KVCacheDataTypeE1ES0_Li32ELi64ELi256ELb1ELi14EL8MFMAType1EEvPKT_PKT0_S9_ifPKiSB_SB_iPKfiiiPfSE_PS4_PT2_iSD_SD_, .Lfunc_end727-_Z39paged_attention_ll4mi_QKV_mfma16_kernelI14__hip_bfloat16hLN4vllm18Fp8KVCacheDataTypeE1ES0_Li32ELi64ELi256ELb1ELi14EL8MFMAType1EEvPKT_PKT0_S9_ifPKiSB_SB_iPKfiiiPfSE_PS4_PT2_iSD_SD_
                                        ; -- End function
	.section	.AMDGPU.csdata,"",@progbits
; Kernel info:
; codeLenInByte = 504
; NumSgprs: 40
; NumVgprs: 42
; NumAgprs: 1
; TotalNumVgprs: 45
; ScratchSize: 64
; MemoryBound: 0
; FloatMode: 240
; IeeeMode: 1
; LDSByteSize: 8192 bytes/workgroup (compile time only)
; SGPRBlocks: 4
; VGPRBlocks: 5
; NumSGPRsForWavesPerEU: 40
; NumVGPRsForWavesPerEU: 45
; AccumOffset: 44
; Occupancy: 8
; WaveLimiterHint : 1
; COMPUTE_PGM_RSRC2:SCRATCH_EN: 1
; COMPUTE_PGM_RSRC2:USER_SGPR: 8
; COMPUTE_PGM_RSRC2:TRAP_HANDLER: 0
; COMPUTE_PGM_RSRC2:TGID_X_EN: 1
; COMPUTE_PGM_RSRC2:TGID_Y_EN: 1
; COMPUTE_PGM_RSRC2:TGID_Z_EN: 1
; COMPUTE_PGM_RSRC2:TIDIG_COMP_CNT: 0
; COMPUTE_PGM_RSRC3_GFX90A:ACCUM_OFFSET: 10
; COMPUTE_PGM_RSRC3_GFX90A:TG_SPLIT: 0
	.section	.text._Z39paged_attention_ll4mi_QKV_mfma16_kernelI14__hip_bfloat16hLN4vllm18Fp8KVCacheDataTypeE1ES0_Li32ELi64ELi256ELb1ELi15EL8MFMAType1EEvPKT_PKT0_S9_ifPKiSB_SB_iPKfiiiPfSE_PS4_PT2_iSD_SD_,"axG",@progbits,_Z39paged_attention_ll4mi_QKV_mfma16_kernelI14__hip_bfloat16hLN4vllm18Fp8KVCacheDataTypeE1ES0_Li32ELi64ELi256ELb1ELi15EL8MFMAType1EEvPKT_PKT0_S9_ifPKiSB_SB_iPKfiiiPfSE_PS4_PT2_iSD_SD_,comdat
	.protected	_Z39paged_attention_ll4mi_QKV_mfma16_kernelI14__hip_bfloat16hLN4vllm18Fp8KVCacheDataTypeE1ES0_Li32ELi64ELi256ELb1ELi15EL8MFMAType1EEvPKT_PKT0_S9_ifPKiSB_SB_iPKfiiiPfSE_PS4_PT2_iSD_SD_ ; -- Begin function _Z39paged_attention_ll4mi_QKV_mfma16_kernelI14__hip_bfloat16hLN4vllm18Fp8KVCacheDataTypeE1ES0_Li32ELi64ELi256ELb1ELi15EL8MFMAType1EEvPKT_PKT0_S9_ifPKiSB_SB_iPKfiiiPfSE_PS4_PT2_iSD_SD_
	.globl	_Z39paged_attention_ll4mi_QKV_mfma16_kernelI14__hip_bfloat16hLN4vllm18Fp8KVCacheDataTypeE1ES0_Li32ELi64ELi256ELb1ELi15EL8MFMAType1EEvPKT_PKT0_S9_ifPKiSB_SB_iPKfiiiPfSE_PS4_PT2_iSD_SD_
	.p2align	8
	.type	_Z39paged_attention_ll4mi_QKV_mfma16_kernelI14__hip_bfloat16hLN4vllm18Fp8KVCacheDataTypeE1ES0_Li32ELi64ELi256ELb1ELi15EL8MFMAType1EEvPKT_PKT0_S9_ifPKiSB_SB_iPKfiiiPfSE_PS4_PT2_iSD_SD_,@function
_Z39paged_attention_ll4mi_QKV_mfma16_kernelI14__hip_bfloat16hLN4vllm18Fp8KVCacheDataTypeE1ES0_Li32ELi64ELi256ELb1ELi15EL8MFMAType1EEvPKT_PKT0_S9_ifPKiSB_SB_iPKfiiiPfSE_PS4_PT2_iSD_SD_: ; @_Z39paged_attention_ll4mi_QKV_mfma16_kernelI14__hip_bfloat16hLN4vllm18Fp8KVCacheDataTypeE1ES0_Li32ELi64ELi256ELb1ELi15EL8MFMAType1EEvPKT_PKT0_S9_ifPKiSB_SB_iPKfiiiPfSE_PS4_PT2_iSD_SD_
; %bb.0:
	s_load_dwordx2 s[12:13], s[4:5], 0x30
	s_add_u32 flat_scratch_lo, s6, s11
	s_addc_u32 flat_scratch_hi, s7, 0
	s_add_u32 s0, s0, s11
	s_addc_u32 s1, s1, 0
	s_waitcnt lgkmcnt(0)
	s_cmp_lg_u64 s[12:13], 0
	s_cselect_b64 s[14:15], -1, 0
	s_mov_b32 s6, s9
	s_mov_b64 s[16:17], 0
	s_and_b64 vcc, exec, s[14:15]
	s_mov_b32 s32, 0
	s_cbranch_vccz .LBB728_11
; %bb.1:
	s_add_i32 s18, s8, 1
	s_mov_b32 s19, 0
	s_lshl_b64 s[20:21], s[18:19], 2
	s_add_u32 s20, s12, s20
	s_mov_b32 s9, s19
	s_addc_u32 s21, s13, s21
	s_lshl_b64 s[18:19], s[8:9], 2
	s_add_u32 s18, s12, s18
	s_addc_u32 s19, s13, s19
	s_load_dword s7, s[20:21], 0x0
	s_load_dword s11, s[18:19], 0x0
	s_waitcnt lgkmcnt(0)
	s_sub_i32 s7, s7, s11
	s_cmp_eq_u32 s7, 1
	s_cselect_b64 s[18:19], -1, 0
	s_andn2_b64 vcc, exec, s[16:17]
	s_cbranch_vccnz .LBB728_3
.LBB728_2:
	s_mov_b32 s9, 0
	s_mov_b64 s[18:19], -1
.LBB728_3:
	s_andn2_b64 vcc, exec, s[18:19]
	s_cbranch_vccnz .LBB728_10
; %bb.4:
	s_load_dwordx2 s[18:19], s[4:5], 0x28
	s_lshl_b64 s[16:17], s[8:9], 2
	s_waitcnt lgkmcnt(0)
	s_add_u32 s18, s18, s16
	s_addc_u32 s19, s19, s17
	s_load_dword s7, s[18:19], 0x0
	s_lshl_b32 s6, s6, 8
	s_waitcnt lgkmcnt(0)
	s_cmp_ge_i32 s6, s7
	s_cbranch_scc1 .LBB728_10
; %bb.5:
	s_andn2_b64 vcc, exec, s[14:15]
	s_cbranch_vccnz .LBB728_7
; %bb.6:
	s_add_u32 s6, s12, s16
	s_addc_u32 s7, s13, s17
	s_load_dword s8, s[6:7], 0x0
.LBB728_7:
	v_and_b32_e32 v1, 15, v0
	s_movk_i32 s6, 0xf0
	v_cmp_gt_u32_e32 vcc, s6, v0
	v_cmp_gt_u32_e64 s[6:7], 8, v1
	s_and_b64 s[12:13], s[6:7], vcc
	s_and_saveexec_b64 s[6:7], s[12:13]
	s_cbranch_execz .LBB728_9
; %bb.8:
	s_load_dword s11, s[4:5], 0x48
	s_load_dwordx2 s[12:13], s[4:5], 0x0
	v_lshrrev_b32_e32 v6, 4, v0
	s_mul_i32 s10, s10, 15
	v_add_lshl_u32 v2, v6, s10, 6
	s_waitcnt lgkmcnt(0)
	s_ashr_i32 s9, s11, 31
	s_mul_hi_u32 s14, s8, s11
	s_mul_i32 s9, s8, s9
	s_add_i32 s9, s14, s9
	s_mul_i32 s8, s8, s11
	s_lshl_b64 s[8:9], s[8:9], 1
	s_add_u32 s8, s12, s8
	v_ashrrev_i32_e32 v3, 31, v2
	s_addc_u32 s9, s13, s9
	v_lshlrev_b64 v[2:3], 1, v[2:3]
	v_mov_b32_e32 v4, s9
	v_add_co_u32_e32 v2, vcc, s8, v2
	v_addc_co_u32_e32 v3, vcc, v4, v3, vcc
	v_lshlrev_b32_e32 v4, 4, v1
	v_add_co_u32_e32 v2, vcc, v2, v4
	v_addc_co_u32_e32 v3, vcc, 0, v3, vcc
	global_load_dwordx4 v[2:5], v[2:3], off
	v_lshlrev_b32_e32 v0, 4, v0
	v_lshlrev_b32_e32 v1, 8, v1
	v_and_b32_e32 v0, 16, v0
	v_lshlrev_b32_e32 v6, 5, v6
	v_and_b32_e32 v1, 0xe00, v1
	v_or3_b32 v0, v1, v6, v0
	s_waitcnt vmcnt(0)
	ds_write_b128 v0, v[2:5]
.LBB728_9:
	s_or_b64 exec, exec, s[6:7]
	s_waitcnt lgkmcnt(0)
	s_add_u32 s8, s4, 0x90
	s_addc_u32 s9, s5, 0
	s_getpc_b64 s[4:5]
	s_add_u32 s4, s4, __PRETTY_FUNCTION__._Z39paged_attention_ll4mi_QKV_mfma16_kernelI14__hip_bfloat16hLN4vllm18Fp8KVCacheDataTypeE1ES0_Li32ELi64ELi256ELb1ELi15EL8MFMAType1EEvPKT_PKT0_S9_ifPKiSB_SB_iPKfiiiPfSE_PS4_PT2_iSD_SD_@rel32@lo+4
	s_addc_u32 s5, s5, __PRETTY_FUNCTION__._Z39paged_attention_ll4mi_QKV_mfma16_kernelI14__hip_bfloat16hLN4vllm18Fp8KVCacheDataTypeE1ES0_Li32ELi64ELi256ELb1ELi15EL8MFMAType1EEvPKT_PKT0_S9_ifPKiSB_SB_iPKfiiiPfSE_PS4_PT2_iSD_SD_@rel32@hi+12
	v_mov_b32_e32 v0, 0x288
	v_mov_b32_e32 v1, s4
	;; [unrolled: 1-line block ×3, first 2 shown]
	s_barrier
	s_getpc_b64 s[6:7]
	s_add_u32 s6, s6, __assert_fail@rel32@lo+4
	s_addc_u32 s7, s7, __assert_fail@rel32@hi+12
	s_swappc_b64 s[30:31], s[6:7]
	; divergent unreachable
.LBB728_10:
	s_endpgm
.LBB728_11:
	s_mov_b64 s[18:19], 0
	s_branch .LBB728_2
	.section	.rodata,"a",@progbits
	.p2align	6, 0x0
	.amdhsa_kernel _Z39paged_attention_ll4mi_QKV_mfma16_kernelI14__hip_bfloat16hLN4vllm18Fp8KVCacheDataTypeE1ES0_Li32ELi64ELi256ELb1ELi15EL8MFMAType1EEvPKT_PKT0_S9_ifPKiSB_SB_iPKfiiiPfSE_PS4_PT2_iSD_SD_
		.amdhsa_group_segment_fixed_size 8192
		.amdhsa_private_segment_fixed_size 64
		.amdhsa_kernarg_size 400
		.amdhsa_user_sgpr_count 8
		.amdhsa_user_sgpr_private_segment_buffer 1
		.amdhsa_user_sgpr_dispatch_ptr 0
		.amdhsa_user_sgpr_queue_ptr 0
		.amdhsa_user_sgpr_kernarg_segment_ptr 1
		.amdhsa_user_sgpr_dispatch_id 0
		.amdhsa_user_sgpr_flat_scratch_init 1
		.amdhsa_user_sgpr_kernarg_preload_length 0
		.amdhsa_user_sgpr_kernarg_preload_offset 0
		.amdhsa_user_sgpr_private_segment_size 0
		.amdhsa_uses_dynamic_stack 0
		.amdhsa_system_sgpr_private_segment_wavefront_offset 1
		.amdhsa_system_sgpr_workgroup_id_x 1
		.amdhsa_system_sgpr_workgroup_id_y 1
		.amdhsa_system_sgpr_workgroup_id_z 1
		.amdhsa_system_sgpr_workgroup_info 0
		.amdhsa_system_vgpr_workitem_id 0
		.amdhsa_next_free_vgpr 45
		.amdhsa_next_free_sgpr 34
		.amdhsa_accum_offset 44
		.amdhsa_reserve_vcc 1
		.amdhsa_reserve_flat_scratch 1
		.amdhsa_float_round_mode_32 0
		.amdhsa_float_round_mode_16_64 0
		.amdhsa_float_denorm_mode_32 3
		.amdhsa_float_denorm_mode_16_64 3
		.amdhsa_dx10_clamp 1
		.amdhsa_ieee_mode 1
		.amdhsa_fp16_overflow 0
		.amdhsa_tg_split 0
		.amdhsa_exception_fp_ieee_invalid_op 0
		.amdhsa_exception_fp_denorm_src 0
		.amdhsa_exception_fp_ieee_div_zero 0
		.amdhsa_exception_fp_ieee_overflow 0
		.amdhsa_exception_fp_ieee_underflow 0
		.amdhsa_exception_fp_ieee_inexact 0
		.amdhsa_exception_int_div_zero 0
	.end_amdhsa_kernel
	.section	.text._Z39paged_attention_ll4mi_QKV_mfma16_kernelI14__hip_bfloat16hLN4vllm18Fp8KVCacheDataTypeE1ES0_Li32ELi64ELi256ELb1ELi15EL8MFMAType1EEvPKT_PKT0_S9_ifPKiSB_SB_iPKfiiiPfSE_PS4_PT2_iSD_SD_,"axG",@progbits,_Z39paged_attention_ll4mi_QKV_mfma16_kernelI14__hip_bfloat16hLN4vllm18Fp8KVCacheDataTypeE1ES0_Li32ELi64ELi256ELb1ELi15EL8MFMAType1EEvPKT_PKT0_S9_ifPKiSB_SB_iPKfiiiPfSE_PS4_PT2_iSD_SD_,comdat
.Lfunc_end728:
	.size	_Z39paged_attention_ll4mi_QKV_mfma16_kernelI14__hip_bfloat16hLN4vllm18Fp8KVCacheDataTypeE1ES0_Li32ELi64ELi256ELb1ELi15EL8MFMAType1EEvPKT_PKT0_S9_ifPKiSB_SB_iPKfiiiPfSE_PS4_PT2_iSD_SD_, .Lfunc_end728-_Z39paged_attention_ll4mi_QKV_mfma16_kernelI14__hip_bfloat16hLN4vllm18Fp8KVCacheDataTypeE1ES0_Li32ELi64ELi256ELb1ELi15EL8MFMAType1EEvPKT_PKT0_S9_ifPKiSB_SB_iPKfiiiPfSE_PS4_PT2_iSD_SD_
                                        ; -- End function
	.section	.AMDGPU.csdata,"",@progbits
; Kernel info:
; codeLenInByte = 504
; NumSgprs: 40
; NumVgprs: 42
; NumAgprs: 1
; TotalNumVgprs: 45
; ScratchSize: 64
; MemoryBound: 0
; FloatMode: 240
; IeeeMode: 1
; LDSByteSize: 8192 bytes/workgroup (compile time only)
; SGPRBlocks: 4
; VGPRBlocks: 5
; NumSGPRsForWavesPerEU: 40
; NumVGPRsForWavesPerEU: 45
; AccumOffset: 44
; Occupancy: 8
; WaveLimiterHint : 1
; COMPUTE_PGM_RSRC2:SCRATCH_EN: 1
; COMPUTE_PGM_RSRC2:USER_SGPR: 8
; COMPUTE_PGM_RSRC2:TRAP_HANDLER: 0
; COMPUTE_PGM_RSRC2:TGID_X_EN: 1
; COMPUTE_PGM_RSRC2:TGID_Y_EN: 1
; COMPUTE_PGM_RSRC2:TGID_Z_EN: 1
; COMPUTE_PGM_RSRC2:TIDIG_COMP_CNT: 0
; COMPUTE_PGM_RSRC3_GFX90A:ACCUM_OFFSET: 10
; COMPUTE_PGM_RSRC3_GFX90A:TG_SPLIT: 0
	.section	.text._Z39paged_attention_ll4mi_QKV_mfma16_kernelI14__hip_bfloat16hLN4vllm18Fp8KVCacheDataTypeE1ES0_Li32ELi64ELi256ELb1ELi16EL8MFMAType1EEvPKT_PKT0_S9_ifPKiSB_SB_iPKfiiiPfSE_PS4_PT2_iSD_SD_,"axG",@progbits,_Z39paged_attention_ll4mi_QKV_mfma16_kernelI14__hip_bfloat16hLN4vllm18Fp8KVCacheDataTypeE1ES0_Li32ELi64ELi256ELb1ELi16EL8MFMAType1EEvPKT_PKT0_S9_ifPKiSB_SB_iPKfiiiPfSE_PS4_PT2_iSD_SD_,comdat
	.protected	_Z39paged_attention_ll4mi_QKV_mfma16_kernelI14__hip_bfloat16hLN4vllm18Fp8KVCacheDataTypeE1ES0_Li32ELi64ELi256ELb1ELi16EL8MFMAType1EEvPKT_PKT0_S9_ifPKiSB_SB_iPKfiiiPfSE_PS4_PT2_iSD_SD_ ; -- Begin function _Z39paged_attention_ll4mi_QKV_mfma16_kernelI14__hip_bfloat16hLN4vllm18Fp8KVCacheDataTypeE1ES0_Li32ELi64ELi256ELb1ELi16EL8MFMAType1EEvPKT_PKT0_S9_ifPKiSB_SB_iPKfiiiPfSE_PS4_PT2_iSD_SD_
	.globl	_Z39paged_attention_ll4mi_QKV_mfma16_kernelI14__hip_bfloat16hLN4vllm18Fp8KVCacheDataTypeE1ES0_Li32ELi64ELi256ELb1ELi16EL8MFMAType1EEvPKT_PKT0_S9_ifPKiSB_SB_iPKfiiiPfSE_PS4_PT2_iSD_SD_
	.p2align	8
	.type	_Z39paged_attention_ll4mi_QKV_mfma16_kernelI14__hip_bfloat16hLN4vllm18Fp8KVCacheDataTypeE1ES0_Li32ELi64ELi256ELb1ELi16EL8MFMAType1EEvPKT_PKT0_S9_ifPKiSB_SB_iPKfiiiPfSE_PS4_PT2_iSD_SD_,@function
_Z39paged_attention_ll4mi_QKV_mfma16_kernelI14__hip_bfloat16hLN4vllm18Fp8KVCacheDataTypeE1ES0_Li32ELi64ELi256ELb1ELi16EL8MFMAType1EEvPKT_PKT0_S9_ifPKiSB_SB_iPKfiiiPfSE_PS4_PT2_iSD_SD_: ; @_Z39paged_attention_ll4mi_QKV_mfma16_kernelI14__hip_bfloat16hLN4vllm18Fp8KVCacheDataTypeE1ES0_Li32ELi64ELi256ELb1ELi16EL8MFMAType1EEvPKT_PKT0_S9_ifPKiSB_SB_iPKfiiiPfSE_PS4_PT2_iSD_SD_
; %bb.0:
	s_load_dwordx2 s[12:13], s[4:5], 0x30
	s_add_u32 flat_scratch_lo, s6, s11
	s_addc_u32 flat_scratch_hi, s7, 0
	s_add_u32 s0, s0, s11
	s_addc_u32 s1, s1, 0
	s_waitcnt lgkmcnt(0)
	s_cmp_lg_u64 s[12:13], 0
	s_cselect_b64 s[14:15], -1, 0
	s_mov_b32 s6, s9
	s_mov_b64 s[16:17], 0
	s_and_b64 vcc, exec, s[14:15]
	s_mov_b32 s32, 0
	s_cbranch_vccz .LBB729_11
; %bb.1:
	s_add_i32 s18, s8, 1
	s_mov_b32 s19, 0
	s_lshl_b64 s[20:21], s[18:19], 2
	s_add_u32 s20, s12, s20
	s_mov_b32 s9, s19
	s_addc_u32 s21, s13, s21
	s_lshl_b64 s[18:19], s[8:9], 2
	s_add_u32 s18, s12, s18
	s_addc_u32 s19, s13, s19
	s_load_dword s7, s[20:21], 0x0
	s_load_dword s11, s[18:19], 0x0
	s_waitcnt lgkmcnt(0)
	s_sub_i32 s7, s7, s11
	s_cmp_eq_u32 s7, 1
	s_cselect_b64 s[18:19], -1, 0
	s_andn2_b64 vcc, exec, s[16:17]
	s_cbranch_vccnz .LBB729_3
.LBB729_2:
	s_mov_b32 s9, 0
	s_mov_b64 s[18:19], -1
.LBB729_3:
	s_andn2_b64 vcc, exec, s[18:19]
	s_cbranch_vccnz .LBB729_10
; %bb.4:
	s_load_dwordx2 s[18:19], s[4:5], 0x28
	s_lshl_b64 s[16:17], s[8:9], 2
	s_waitcnt lgkmcnt(0)
	s_add_u32 s18, s18, s16
	s_addc_u32 s19, s19, s17
	s_load_dword s7, s[18:19], 0x0
	s_lshl_b32 s6, s6, 8
	s_waitcnt lgkmcnt(0)
	s_cmp_ge_i32 s6, s7
	s_cbranch_scc1 .LBB729_10
; %bb.5:
	s_andn2_b64 vcc, exec, s[14:15]
	s_cbranch_vccnz .LBB729_7
; %bb.6:
	s_add_u32 s6, s12, s16
	s_addc_u32 s7, s13, s17
	s_load_dword s8, s[6:7], 0x0
.LBB729_7:
	v_and_b32_e32 v1, 15, v0
	s_movk_i32 s6, 0x100
	v_cmp_gt_u32_e32 vcc, s6, v0
	v_cmp_gt_u32_e64 s[6:7], 8, v1
	s_and_b64 s[12:13], vcc, s[6:7]
	s_and_saveexec_b64 s[6:7], s[12:13]
	s_cbranch_execz .LBB729_9
; %bb.8:
	s_load_dword s9, s[4:5], 0x48
	s_load_dwordx2 s[12:13], s[4:5], 0x0
	v_lshrrev_b32_e32 v6, 4, v0
	v_lshlrev_b32_e32 v2, 6, v6
	v_lshl_or_b32 v2, s10, 10, v2
	s_waitcnt lgkmcnt(0)
	s_ashr_i32 s11, s9, 31
	s_mul_hi_u32 s15, s8, s9
	s_mul_i32 s14, s8, s9
	s_mul_i32 s8, s8, s11
	s_add_i32 s15, s15, s8
	s_lshl_b64 s[8:9], s[14:15], 1
	s_add_u32 s8, s12, s8
	v_ashrrev_i32_e32 v3, 31, v2
	s_addc_u32 s9, s13, s9
	v_lshlrev_b64 v[2:3], 1, v[2:3]
	v_mov_b32_e32 v4, s9
	v_add_co_u32_e32 v2, vcc, s8, v2
	v_addc_co_u32_e32 v3, vcc, v4, v3, vcc
	v_lshlrev_b32_e32 v4, 4, v1
	v_add_co_u32_e32 v2, vcc, v2, v4
	v_addc_co_u32_e32 v3, vcc, 0, v3, vcc
	global_load_dwordx4 v[2:5], v[2:3], off
	v_lshlrev_b32_e32 v0, 4, v0
	v_lshlrev_b32_e32 v1, 8, v1
	v_and_b32_e32 v0, 16, v0
	v_lshlrev_b32_e32 v6, 5, v6
	v_and_b32_e32 v1, 0xe00, v1
	v_or3_b32 v0, v1, v6, v0
	s_waitcnt vmcnt(0)
	ds_write_b128 v0, v[2:5]
.LBB729_9:
	s_or_b64 exec, exec, s[6:7]
	s_waitcnt lgkmcnt(0)
	s_add_u32 s8, s4, 0x90
	s_addc_u32 s9, s5, 0
	s_getpc_b64 s[4:5]
	s_add_u32 s4, s4, __PRETTY_FUNCTION__._Z39paged_attention_ll4mi_QKV_mfma16_kernelI14__hip_bfloat16hLN4vllm18Fp8KVCacheDataTypeE1ES0_Li32ELi64ELi256ELb1ELi16EL8MFMAType1EEvPKT_PKT0_S9_ifPKiSB_SB_iPKfiiiPfSE_PS4_PT2_iSD_SD_@rel32@lo+4
	s_addc_u32 s5, s5, __PRETTY_FUNCTION__._Z39paged_attention_ll4mi_QKV_mfma16_kernelI14__hip_bfloat16hLN4vllm18Fp8KVCacheDataTypeE1ES0_Li32ELi64ELi256ELb1ELi16EL8MFMAType1EEvPKT_PKT0_S9_ifPKiSB_SB_iPKfiiiPfSE_PS4_PT2_iSD_SD_@rel32@hi+12
	v_mov_b32_e32 v0, 0x288
	v_mov_b32_e32 v1, s4
	;; [unrolled: 1-line block ×3, first 2 shown]
	s_barrier
	s_getpc_b64 s[6:7]
	s_add_u32 s6, s6, __assert_fail@rel32@lo+4
	s_addc_u32 s7, s7, __assert_fail@rel32@hi+12
	s_swappc_b64 s[30:31], s[6:7]
	; divergent unreachable
.LBB729_10:
	s_endpgm
.LBB729_11:
	s_mov_b64 s[18:19], 0
	s_branch .LBB729_2
	.section	.rodata,"a",@progbits
	.p2align	6, 0x0
	.amdhsa_kernel _Z39paged_attention_ll4mi_QKV_mfma16_kernelI14__hip_bfloat16hLN4vllm18Fp8KVCacheDataTypeE1ES0_Li32ELi64ELi256ELb1ELi16EL8MFMAType1EEvPKT_PKT0_S9_ifPKiSB_SB_iPKfiiiPfSE_PS4_PT2_iSD_SD_
		.amdhsa_group_segment_fixed_size 8192
		.amdhsa_private_segment_fixed_size 64
		.amdhsa_kernarg_size 400
		.amdhsa_user_sgpr_count 8
		.amdhsa_user_sgpr_private_segment_buffer 1
		.amdhsa_user_sgpr_dispatch_ptr 0
		.amdhsa_user_sgpr_queue_ptr 0
		.amdhsa_user_sgpr_kernarg_segment_ptr 1
		.amdhsa_user_sgpr_dispatch_id 0
		.amdhsa_user_sgpr_flat_scratch_init 1
		.amdhsa_user_sgpr_kernarg_preload_length 0
		.amdhsa_user_sgpr_kernarg_preload_offset 0
		.amdhsa_user_sgpr_private_segment_size 0
		.amdhsa_uses_dynamic_stack 0
		.amdhsa_system_sgpr_private_segment_wavefront_offset 1
		.amdhsa_system_sgpr_workgroup_id_x 1
		.amdhsa_system_sgpr_workgroup_id_y 1
		.amdhsa_system_sgpr_workgroup_id_z 1
		.amdhsa_system_sgpr_workgroup_info 0
		.amdhsa_system_vgpr_workitem_id 0
		.amdhsa_next_free_vgpr 45
		.amdhsa_next_free_sgpr 34
		.amdhsa_accum_offset 44
		.amdhsa_reserve_vcc 1
		.amdhsa_reserve_flat_scratch 1
		.amdhsa_float_round_mode_32 0
		.amdhsa_float_round_mode_16_64 0
		.amdhsa_float_denorm_mode_32 3
		.amdhsa_float_denorm_mode_16_64 3
		.amdhsa_dx10_clamp 1
		.amdhsa_ieee_mode 1
		.amdhsa_fp16_overflow 0
		.amdhsa_tg_split 0
		.amdhsa_exception_fp_ieee_invalid_op 0
		.amdhsa_exception_fp_denorm_src 0
		.amdhsa_exception_fp_ieee_div_zero 0
		.amdhsa_exception_fp_ieee_overflow 0
		.amdhsa_exception_fp_ieee_underflow 0
		.amdhsa_exception_fp_ieee_inexact 0
		.amdhsa_exception_int_div_zero 0
	.end_amdhsa_kernel
	.section	.text._Z39paged_attention_ll4mi_QKV_mfma16_kernelI14__hip_bfloat16hLN4vllm18Fp8KVCacheDataTypeE1ES0_Li32ELi64ELi256ELb1ELi16EL8MFMAType1EEvPKT_PKT0_S9_ifPKiSB_SB_iPKfiiiPfSE_PS4_PT2_iSD_SD_,"axG",@progbits,_Z39paged_attention_ll4mi_QKV_mfma16_kernelI14__hip_bfloat16hLN4vllm18Fp8KVCacheDataTypeE1ES0_Li32ELi64ELi256ELb1ELi16EL8MFMAType1EEvPKT_PKT0_S9_ifPKiSB_SB_iPKfiiiPfSE_PS4_PT2_iSD_SD_,comdat
.Lfunc_end729:
	.size	_Z39paged_attention_ll4mi_QKV_mfma16_kernelI14__hip_bfloat16hLN4vllm18Fp8KVCacheDataTypeE1ES0_Li32ELi64ELi256ELb1ELi16EL8MFMAType1EEvPKT_PKT0_S9_ifPKiSB_SB_iPKfiiiPfSE_PS4_PT2_iSD_SD_, .Lfunc_end729-_Z39paged_attention_ll4mi_QKV_mfma16_kernelI14__hip_bfloat16hLN4vllm18Fp8KVCacheDataTypeE1ES0_Li32ELi64ELi256ELb1ELi16EL8MFMAType1EEvPKT_PKT0_S9_ifPKiSB_SB_iPKfiiiPfSE_PS4_PT2_iSD_SD_
                                        ; -- End function
	.section	.AMDGPU.csdata,"",@progbits
; Kernel info:
; codeLenInByte = 504
; NumSgprs: 40
; NumVgprs: 42
; NumAgprs: 1
; TotalNumVgprs: 45
; ScratchSize: 64
; MemoryBound: 0
; FloatMode: 240
; IeeeMode: 1
; LDSByteSize: 8192 bytes/workgroup (compile time only)
; SGPRBlocks: 4
; VGPRBlocks: 5
; NumSGPRsForWavesPerEU: 40
; NumVGPRsForWavesPerEU: 45
; AccumOffset: 44
; Occupancy: 8
; WaveLimiterHint : 1
; COMPUTE_PGM_RSRC2:SCRATCH_EN: 1
; COMPUTE_PGM_RSRC2:USER_SGPR: 8
; COMPUTE_PGM_RSRC2:TRAP_HANDLER: 0
; COMPUTE_PGM_RSRC2:TGID_X_EN: 1
; COMPUTE_PGM_RSRC2:TGID_Y_EN: 1
; COMPUTE_PGM_RSRC2:TGID_Z_EN: 1
; COMPUTE_PGM_RSRC2:TIDIG_COMP_CNT: 0
; COMPUTE_PGM_RSRC3_GFX90A:ACCUM_OFFSET: 10
; COMPUTE_PGM_RSRC3_GFX90A:TG_SPLIT: 0
	.section	.text._Z39paged_attention_ll4mi_QKV_mfma16_kernelI14__hip_bfloat16hLN4vllm18Fp8KVCacheDataTypeE1ES0_Li32ELi64ELi256ELb1ELi1EL8MFMAType1EEvPKT_PKT0_S9_ifPKiSB_SB_iPKfiiiPfSE_PS4_PT2_iSD_SD_,"axG",@progbits,_Z39paged_attention_ll4mi_QKV_mfma16_kernelI14__hip_bfloat16hLN4vllm18Fp8KVCacheDataTypeE1ES0_Li32ELi64ELi256ELb1ELi1EL8MFMAType1EEvPKT_PKT0_S9_ifPKiSB_SB_iPKfiiiPfSE_PS4_PT2_iSD_SD_,comdat
	.protected	_Z39paged_attention_ll4mi_QKV_mfma16_kernelI14__hip_bfloat16hLN4vllm18Fp8KVCacheDataTypeE1ES0_Li32ELi64ELi256ELb1ELi1EL8MFMAType1EEvPKT_PKT0_S9_ifPKiSB_SB_iPKfiiiPfSE_PS4_PT2_iSD_SD_ ; -- Begin function _Z39paged_attention_ll4mi_QKV_mfma16_kernelI14__hip_bfloat16hLN4vllm18Fp8KVCacheDataTypeE1ES0_Li32ELi64ELi256ELb1ELi1EL8MFMAType1EEvPKT_PKT0_S9_ifPKiSB_SB_iPKfiiiPfSE_PS4_PT2_iSD_SD_
	.globl	_Z39paged_attention_ll4mi_QKV_mfma16_kernelI14__hip_bfloat16hLN4vllm18Fp8KVCacheDataTypeE1ES0_Li32ELi64ELi256ELb1ELi1EL8MFMAType1EEvPKT_PKT0_S9_ifPKiSB_SB_iPKfiiiPfSE_PS4_PT2_iSD_SD_
	.p2align	8
	.type	_Z39paged_attention_ll4mi_QKV_mfma16_kernelI14__hip_bfloat16hLN4vllm18Fp8KVCacheDataTypeE1ES0_Li32ELi64ELi256ELb1ELi1EL8MFMAType1EEvPKT_PKT0_S9_ifPKiSB_SB_iPKfiiiPfSE_PS4_PT2_iSD_SD_,@function
_Z39paged_attention_ll4mi_QKV_mfma16_kernelI14__hip_bfloat16hLN4vllm18Fp8KVCacheDataTypeE1ES0_Li32ELi64ELi256ELb1ELi1EL8MFMAType1EEvPKT_PKT0_S9_ifPKiSB_SB_iPKfiiiPfSE_PS4_PT2_iSD_SD_: ; @_Z39paged_attention_ll4mi_QKV_mfma16_kernelI14__hip_bfloat16hLN4vllm18Fp8KVCacheDataTypeE1ES0_Li32ELi64ELi256ELb1ELi1EL8MFMAType1EEvPKT_PKT0_S9_ifPKiSB_SB_iPKfiiiPfSE_PS4_PT2_iSD_SD_
; %bb.0:
	s_load_dwordx2 s[12:13], s[4:5], 0x30
	s_add_u32 flat_scratch_lo, s6, s11
	s_addc_u32 flat_scratch_hi, s7, 0
	s_add_u32 s0, s0, s11
	s_addc_u32 s1, s1, 0
	s_waitcnt lgkmcnt(0)
	s_cmp_lg_u64 s[12:13], 0
	s_cselect_b64 s[14:15], -1, 0
	s_mov_b32 s6, s9
	s_mov_b64 s[16:17], 0
	s_and_b64 vcc, exec, s[14:15]
	s_mov_b32 s32, 0
	s_cbranch_vccz .LBB730_11
; %bb.1:
	s_add_i32 s18, s8, 1
	s_mov_b32 s19, 0
	s_lshl_b64 s[20:21], s[18:19], 2
	s_add_u32 s20, s12, s20
	s_mov_b32 s9, s19
	s_addc_u32 s21, s13, s21
	s_lshl_b64 s[18:19], s[8:9], 2
	s_add_u32 s18, s12, s18
	s_addc_u32 s19, s13, s19
	s_load_dword s7, s[20:21], 0x0
	s_load_dword s11, s[18:19], 0x0
	s_waitcnt lgkmcnt(0)
	s_sub_i32 s7, s7, s11
	s_cmp_eq_u32 s7, 1
	s_cselect_b64 s[18:19], -1, 0
	s_andn2_b64 vcc, exec, s[16:17]
	s_cbranch_vccnz .LBB730_3
.LBB730_2:
	s_mov_b32 s9, 0
	s_mov_b64 s[18:19], -1
.LBB730_3:
	s_andn2_b64 vcc, exec, s[18:19]
	s_cbranch_vccnz .LBB730_10
; %bb.4:
	s_load_dwordx2 s[18:19], s[4:5], 0x28
	s_lshl_b64 s[16:17], s[8:9], 2
	s_waitcnt lgkmcnt(0)
	s_add_u32 s18, s18, s16
	s_addc_u32 s19, s19, s17
	s_load_dword s7, s[18:19], 0x0
	s_lshl_b32 s6, s6, 8
	s_waitcnt lgkmcnt(0)
	s_cmp_ge_i32 s6, s7
	s_cbranch_scc1 .LBB730_10
; %bb.5:
	s_andn2_b64 vcc, exec, s[14:15]
	s_cbranch_vccnz .LBB730_7
; %bb.6:
	s_add_u32 s6, s12, s16
	s_addc_u32 s7, s13, s17
	s_load_dword s8, s[6:7], 0x0
.LBB730_7:
	v_cmp_gt_u32_e32 vcc, 8, v0
	s_and_saveexec_b64 s[6:7], vcc
	s_cbranch_execz .LBB730_9
; %bb.8:
	s_load_dword s9, s[4:5], 0x48
	s_load_dwordx2 s[12:13], s[4:5], 0x0
	v_lshlrev_b32_e32 v1, 4, v0
	v_lshlrev_b32_e32 v0, 8, v0
	s_waitcnt lgkmcnt(0)
	s_ashr_i32 s11, s9, 31
	s_mul_hi_u32 s15, s8, s9
	s_mul_i32 s14, s8, s9
	s_mul_i32 s8, s8, s11
	s_add_i32 s15, s15, s8
	s_lshl_b64 s[8:9], s[14:15], 1
	s_add_u32 s11, s12, s8
	s_addc_u32 s12, s13, s9
	s_lshl_b32 s8, s10, 6
	s_ashr_i32 s9, s8, 31
	s_lshl_b64 s[8:9], s[8:9], 1
	s_add_u32 s8, s11, s8
	s_addc_u32 s9, s12, s9
	global_load_dwordx4 v[2:5], v1, s[8:9]
	v_and_b32_e32 v1, 16, v1
	s_mov_b32 s8, 0xfe00
	v_and_or_b32 v0, v0, s8, v1
	s_waitcnt vmcnt(0)
	ds_write_b128 v0, v[2:5]
.LBB730_9:
	s_or_b64 exec, exec, s[6:7]
	s_waitcnt lgkmcnt(0)
	s_add_u32 s8, s4, 0x90
	s_addc_u32 s9, s5, 0
	s_getpc_b64 s[4:5]
	s_add_u32 s4, s4, __PRETTY_FUNCTION__._Z39paged_attention_ll4mi_QKV_mfma16_kernelI14__hip_bfloat16hLN4vllm18Fp8KVCacheDataTypeE1ES0_Li32ELi64ELi256ELb1ELi1EL8MFMAType1EEvPKT_PKT0_S9_ifPKiSB_SB_iPKfiiiPfSE_PS4_PT2_iSD_SD_@rel32@lo+4
	s_addc_u32 s5, s5, __PRETTY_FUNCTION__._Z39paged_attention_ll4mi_QKV_mfma16_kernelI14__hip_bfloat16hLN4vllm18Fp8KVCacheDataTypeE1ES0_Li32ELi64ELi256ELb1ELi1EL8MFMAType1EEvPKT_PKT0_S9_ifPKiSB_SB_iPKfiiiPfSE_PS4_PT2_iSD_SD_@rel32@hi+12
	v_mov_b32_e32 v0, 0x288
	v_mov_b32_e32 v1, s4
	;; [unrolled: 1-line block ×3, first 2 shown]
	s_barrier
	s_getpc_b64 s[6:7]
	s_add_u32 s6, s6, __assert_fail@rel32@lo+4
	s_addc_u32 s7, s7, __assert_fail@rel32@hi+12
	s_swappc_b64 s[30:31], s[6:7]
	; divergent unreachable
.LBB730_10:
	s_endpgm
.LBB730_11:
	s_mov_b64 s[18:19], 0
	s_branch .LBB730_2
	.section	.rodata,"a",@progbits
	.p2align	6, 0x0
	.amdhsa_kernel _Z39paged_attention_ll4mi_QKV_mfma16_kernelI14__hip_bfloat16hLN4vllm18Fp8KVCacheDataTypeE1ES0_Li32ELi64ELi256ELb1ELi1EL8MFMAType1EEvPKT_PKT0_S9_ifPKiSB_SB_iPKfiiiPfSE_PS4_PT2_iSD_SD_
		.amdhsa_group_segment_fixed_size 8192
		.amdhsa_private_segment_fixed_size 64
		.amdhsa_kernarg_size 400
		.amdhsa_user_sgpr_count 8
		.amdhsa_user_sgpr_private_segment_buffer 1
		.amdhsa_user_sgpr_dispatch_ptr 0
		.amdhsa_user_sgpr_queue_ptr 0
		.amdhsa_user_sgpr_kernarg_segment_ptr 1
		.amdhsa_user_sgpr_dispatch_id 0
		.amdhsa_user_sgpr_flat_scratch_init 1
		.amdhsa_user_sgpr_kernarg_preload_length 0
		.amdhsa_user_sgpr_kernarg_preload_offset 0
		.amdhsa_user_sgpr_private_segment_size 0
		.amdhsa_uses_dynamic_stack 0
		.amdhsa_system_sgpr_private_segment_wavefront_offset 1
		.amdhsa_system_sgpr_workgroup_id_x 1
		.amdhsa_system_sgpr_workgroup_id_y 1
		.amdhsa_system_sgpr_workgroup_id_z 1
		.amdhsa_system_sgpr_workgroup_info 0
		.amdhsa_system_vgpr_workitem_id 0
		.amdhsa_next_free_vgpr 45
		.amdhsa_next_free_sgpr 34
		.amdhsa_accum_offset 44
		.amdhsa_reserve_vcc 1
		.amdhsa_reserve_flat_scratch 1
		.amdhsa_float_round_mode_32 0
		.amdhsa_float_round_mode_16_64 0
		.amdhsa_float_denorm_mode_32 3
		.amdhsa_float_denorm_mode_16_64 3
		.amdhsa_dx10_clamp 1
		.amdhsa_ieee_mode 1
		.amdhsa_fp16_overflow 0
		.amdhsa_tg_split 0
		.amdhsa_exception_fp_ieee_invalid_op 0
		.amdhsa_exception_fp_denorm_src 0
		.amdhsa_exception_fp_ieee_div_zero 0
		.amdhsa_exception_fp_ieee_overflow 0
		.amdhsa_exception_fp_ieee_underflow 0
		.amdhsa_exception_fp_ieee_inexact 0
		.amdhsa_exception_int_div_zero 0
	.end_amdhsa_kernel
	.section	.text._Z39paged_attention_ll4mi_QKV_mfma16_kernelI14__hip_bfloat16hLN4vllm18Fp8KVCacheDataTypeE1ES0_Li32ELi64ELi256ELb1ELi1EL8MFMAType1EEvPKT_PKT0_S9_ifPKiSB_SB_iPKfiiiPfSE_PS4_PT2_iSD_SD_,"axG",@progbits,_Z39paged_attention_ll4mi_QKV_mfma16_kernelI14__hip_bfloat16hLN4vllm18Fp8KVCacheDataTypeE1ES0_Li32ELi64ELi256ELb1ELi1EL8MFMAType1EEvPKT_PKT0_S9_ifPKiSB_SB_iPKfiiiPfSE_PS4_PT2_iSD_SD_,comdat
.Lfunc_end730:
	.size	_Z39paged_attention_ll4mi_QKV_mfma16_kernelI14__hip_bfloat16hLN4vllm18Fp8KVCacheDataTypeE1ES0_Li32ELi64ELi256ELb1ELi1EL8MFMAType1EEvPKT_PKT0_S9_ifPKiSB_SB_iPKfiiiPfSE_PS4_PT2_iSD_SD_, .Lfunc_end730-_Z39paged_attention_ll4mi_QKV_mfma16_kernelI14__hip_bfloat16hLN4vllm18Fp8KVCacheDataTypeE1ES0_Li32ELi64ELi256ELb1ELi1EL8MFMAType1EEvPKT_PKT0_S9_ifPKiSB_SB_iPKfiiiPfSE_PS4_PT2_iSD_SD_
                                        ; -- End function
	.section	.AMDGPU.csdata,"",@progbits
; Kernel info:
; codeLenInByte = 448
; NumSgprs: 40
; NumVgprs: 42
; NumAgprs: 1
; TotalNumVgprs: 45
; ScratchSize: 64
; MemoryBound: 0
; FloatMode: 240
; IeeeMode: 1
; LDSByteSize: 8192 bytes/workgroup (compile time only)
; SGPRBlocks: 4
; VGPRBlocks: 5
; NumSGPRsForWavesPerEU: 40
; NumVGPRsForWavesPerEU: 45
; AccumOffset: 44
; Occupancy: 8
; WaveLimiterHint : 1
; COMPUTE_PGM_RSRC2:SCRATCH_EN: 1
; COMPUTE_PGM_RSRC2:USER_SGPR: 8
; COMPUTE_PGM_RSRC2:TRAP_HANDLER: 0
; COMPUTE_PGM_RSRC2:TGID_X_EN: 1
; COMPUTE_PGM_RSRC2:TGID_Y_EN: 1
; COMPUTE_PGM_RSRC2:TGID_Z_EN: 1
; COMPUTE_PGM_RSRC2:TIDIG_COMP_CNT: 0
; COMPUTE_PGM_RSRC3_GFX90A:ACCUM_OFFSET: 10
; COMPUTE_PGM_RSRC3_GFX90A:TG_SPLIT: 0
	.section	.text._Z39paged_attention_ll4mi_QKV_mfma16_kernelI14__hip_bfloat16hLN4vllm18Fp8KVCacheDataTypeE1ES0_Li32ELi64ELi256ELb1ELi2EL8MFMAType1EEvPKT_PKT0_S9_ifPKiSB_SB_iPKfiiiPfSE_PS4_PT2_iSD_SD_,"axG",@progbits,_Z39paged_attention_ll4mi_QKV_mfma16_kernelI14__hip_bfloat16hLN4vllm18Fp8KVCacheDataTypeE1ES0_Li32ELi64ELi256ELb1ELi2EL8MFMAType1EEvPKT_PKT0_S9_ifPKiSB_SB_iPKfiiiPfSE_PS4_PT2_iSD_SD_,comdat
	.protected	_Z39paged_attention_ll4mi_QKV_mfma16_kernelI14__hip_bfloat16hLN4vllm18Fp8KVCacheDataTypeE1ES0_Li32ELi64ELi256ELb1ELi2EL8MFMAType1EEvPKT_PKT0_S9_ifPKiSB_SB_iPKfiiiPfSE_PS4_PT2_iSD_SD_ ; -- Begin function _Z39paged_attention_ll4mi_QKV_mfma16_kernelI14__hip_bfloat16hLN4vllm18Fp8KVCacheDataTypeE1ES0_Li32ELi64ELi256ELb1ELi2EL8MFMAType1EEvPKT_PKT0_S9_ifPKiSB_SB_iPKfiiiPfSE_PS4_PT2_iSD_SD_
	.globl	_Z39paged_attention_ll4mi_QKV_mfma16_kernelI14__hip_bfloat16hLN4vllm18Fp8KVCacheDataTypeE1ES0_Li32ELi64ELi256ELb1ELi2EL8MFMAType1EEvPKT_PKT0_S9_ifPKiSB_SB_iPKfiiiPfSE_PS4_PT2_iSD_SD_
	.p2align	8
	.type	_Z39paged_attention_ll4mi_QKV_mfma16_kernelI14__hip_bfloat16hLN4vllm18Fp8KVCacheDataTypeE1ES0_Li32ELi64ELi256ELb1ELi2EL8MFMAType1EEvPKT_PKT0_S9_ifPKiSB_SB_iPKfiiiPfSE_PS4_PT2_iSD_SD_,@function
_Z39paged_attention_ll4mi_QKV_mfma16_kernelI14__hip_bfloat16hLN4vllm18Fp8KVCacheDataTypeE1ES0_Li32ELi64ELi256ELb1ELi2EL8MFMAType1EEvPKT_PKT0_S9_ifPKiSB_SB_iPKfiiiPfSE_PS4_PT2_iSD_SD_: ; @_Z39paged_attention_ll4mi_QKV_mfma16_kernelI14__hip_bfloat16hLN4vllm18Fp8KVCacheDataTypeE1ES0_Li32ELi64ELi256ELb1ELi2EL8MFMAType1EEvPKT_PKT0_S9_ifPKiSB_SB_iPKfiiiPfSE_PS4_PT2_iSD_SD_
; %bb.0:
	s_load_dwordx2 s[12:13], s[4:5], 0x30
	s_add_u32 flat_scratch_lo, s6, s11
	s_addc_u32 flat_scratch_hi, s7, 0
	s_add_u32 s0, s0, s11
	s_addc_u32 s1, s1, 0
	s_waitcnt lgkmcnt(0)
	s_cmp_lg_u64 s[12:13], 0
	s_cselect_b64 s[14:15], -1, 0
	s_mov_b32 s6, s9
	s_mov_b64 s[16:17], 0
	s_and_b64 vcc, exec, s[14:15]
	s_mov_b32 s32, 0
	s_cbranch_vccz .LBB731_11
; %bb.1:
	s_add_i32 s18, s8, 1
	s_mov_b32 s19, 0
	s_lshl_b64 s[20:21], s[18:19], 2
	s_add_u32 s20, s12, s20
	s_mov_b32 s9, s19
	s_addc_u32 s21, s13, s21
	s_lshl_b64 s[18:19], s[8:9], 2
	s_add_u32 s18, s12, s18
	s_addc_u32 s19, s13, s19
	s_load_dword s7, s[20:21], 0x0
	s_load_dword s11, s[18:19], 0x0
	s_waitcnt lgkmcnt(0)
	s_sub_i32 s7, s7, s11
	s_cmp_eq_u32 s7, 1
	s_cselect_b64 s[18:19], -1, 0
	s_andn2_b64 vcc, exec, s[16:17]
	s_cbranch_vccnz .LBB731_3
.LBB731_2:
	s_mov_b32 s9, 0
	s_mov_b64 s[18:19], -1
.LBB731_3:
	s_andn2_b64 vcc, exec, s[18:19]
	s_cbranch_vccnz .LBB731_10
; %bb.4:
	s_load_dwordx2 s[18:19], s[4:5], 0x28
	s_lshl_b64 s[16:17], s[8:9], 2
	s_waitcnt lgkmcnt(0)
	s_add_u32 s18, s18, s16
	s_addc_u32 s19, s19, s17
	s_load_dword s7, s[18:19], 0x0
	s_lshl_b32 s6, s6, 8
	s_waitcnt lgkmcnt(0)
	s_cmp_ge_i32 s6, s7
	s_cbranch_scc1 .LBB731_10
; %bb.5:
	s_andn2_b64 vcc, exec, s[14:15]
	s_cbranch_vccnz .LBB731_7
; %bb.6:
	s_add_u32 s6, s12, s16
	s_addc_u32 s7, s13, s17
	s_load_dword s8, s[6:7], 0x0
.LBB731_7:
	v_and_b32_e32 v1, 15, v0
	v_cmp_gt_u32_e32 vcc, 32, v0
	v_cmp_gt_u32_e64 s[6:7], 8, v1
	s_and_b64 s[12:13], s[6:7], vcc
	s_and_saveexec_b64 s[6:7], s[12:13]
	s_cbranch_execz .LBB731_9
; %bb.8:
	s_load_dword s9, s[4:5], 0x48
	s_load_dwordx2 s[12:13], s[4:5], 0x0
	v_lshrrev_b32_e32 v6, 4, v0
	v_lshlrev_b32_e32 v2, 6, v6
	v_lshl_or_b32 v2, s10, 7, v2
	s_waitcnt lgkmcnt(0)
	s_ashr_i32 s11, s9, 31
	s_mul_hi_u32 s15, s8, s9
	s_mul_i32 s14, s8, s9
	s_mul_i32 s8, s8, s11
	s_add_i32 s15, s15, s8
	s_lshl_b64 s[8:9], s[14:15], 1
	s_add_u32 s8, s12, s8
	v_ashrrev_i32_e32 v3, 31, v2
	s_addc_u32 s9, s13, s9
	v_lshlrev_b64 v[2:3], 1, v[2:3]
	v_mov_b32_e32 v4, s9
	v_add_co_u32_e32 v2, vcc, s8, v2
	v_addc_co_u32_e32 v3, vcc, v4, v3, vcc
	v_lshlrev_b32_e32 v4, 4, v1
	v_add_co_u32_e32 v2, vcc, v2, v4
	v_addc_co_u32_e32 v3, vcc, 0, v3, vcc
	global_load_dwordx4 v[2:5], v[2:3], off
	v_lshlrev_b32_e32 v0, 4, v0
	v_lshlrev_b32_e32 v1, 8, v1
	v_and_b32_e32 v0, 16, v0
	v_lshlrev_b32_e32 v6, 5, v6
	v_and_b32_e32 v1, 0xe00, v1
	v_or3_b32 v0, v1, v6, v0
	s_waitcnt vmcnt(0)
	ds_write_b128 v0, v[2:5]
.LBB731_9:
	s_or_b64 exec, exec, s[6:7]
	s_waitcnt lgkmcnt(0)
	s_add_u32 s8, s4, 0x90
	s_addc_u32 s9, s5, 0
	s_getpc_b64 s[4:5]
	s_add_u32 s4, s4, __PRETTY_FUNCTION__._Z39paged_attention_ll4mi_QKV_mfma16_kernelI14__hip_bfloat16hLN4vllm18Fp8KVCacheDataTypeE1ES0_Li32ELi64ELi256ELb1ELi2EL8MFMAType1EEvPKT_PKT0_S9_ifPKiSB_SB_iPKfiiiPfSE_PS4_PT2_iSD_SD_@rel32@lo+4
	s_addc_u32 s5, s5, __PRETTY_FUNCTION__._Z39paged_attention_ll4mi_QKV_mfma16_kernelI14__hip_bfloat16hLN4vllm18Fp8KVCacheDataTypeE1ES0_Li32ELi64ELi256ELb1ELi2EL8MFMAType1EEvPKT_PKT0_S9_ifPKiSB_SB_iPKfiiiPfSE_PS4_PT2_iSD_SD_@rel32@hi+12
	v_mov_b32_e32 v0, 0x288
	v_mov_b32_e32 v1, s4
	;; [unrolled: 1-line block ×3, first 2 shown]
	s_barrier
	s_getpc_b64 s[6:7]
	s_add_u32 s6, s6, __assert_fail@rel32@lo+4
	s_addc_u32 s7, s7, __assert_fail@rel32@hi+12
	s_swappc_b64 s[30:31], s[6:7]
	; divergent unreachable
.LBB731_10:
	s_endpgm
.LBB731_11:
	s_mov_b64 s[18:19], 0
	s_branch .LBB731_2
	.section	.rodata,"a",@progbits
	.p2align	6, 0x0
	.amdhsa_kernel _Z39paged_attention_ll4mi_QKV_mfma16_kernelI14__hip_bfloat16hLN4vllm18Fp8KVCacheDataTypeE1ES0_Li32ELi64ELi256ELb1ELi2EL8MFMAType1EEvPKT_PKT0_S9_ifPKiSB_SB_iPKfiiiPfSE_PS4_PT2_iSD_SD_
		.amdhsa_group_segment_fixed_size 8192
		.amdhsa_private_segment_fixed_size 64
		.amdhsa_kernarg_size 400
		.amdhsa_user_sgpr_count 8
		.amdhsa_user_sgpr_private_segment_buffer 1
		.amdhsa_user_sgpr_dispatch_ptr 0
		.amdhsa_user_sgpr_queue_ptr 0
		.amdhsa_user_sgpr_kernarg_segment_ptr 1
		.amdhsa_user_sgpr_dispatch_id 0
		.amdhsa_user_sgpr_flat_scratch_init 1
		.amdhsa_user_sgpr_kernarg_preload_length 0
		.amdhsa_user_sgpr_kernarg_preload_offset 0
		.amdhsa_user_sgpr_private_segment_size 0
		.amdhsa_uses_dynamic_stack 0
		.amdhsa_system_sgpr_private_segment_wavefront_offset 1
		.amdhsa_system_sgpr_workgroup_id_x 1
		.amdhsa_system_sgpr_workgroup_id_y 1
		.amdhsa_system_sgpr_workgroup_id_z 1
		.amdhsa_system_sgpr_workgroup_info 0
		.amdhsa_system_vgpr_workitem_id 0
		.amdhsa_next_free_vgpr 45
		.amdhsa_next_free_sgpr 34
		.amdhsa_accum_offset 44
		.amdhsa_reserve_vcc 1
		.amdhsa_reserve_flat_scratch 1
		.amdhsa_float_round_mode_32 0
		.amdhsa_float_round_mode_16_64 0
		.amdhsa_float_denorm_mode_32 3
		.amdhsa_float_denorm_mode_16_64 3
		.amdhsa_dx10_clamp 1
		.amdhsa_ieee_mode 1
		.amdhsa_fp16_overflow 0
		.amdhsa_tg_split 0
		.amdhsa_exception_fp_ieee_invalid_op 0
		.amdhsa_exception_fp_denorm_src 0
		.amdhsa_exception_fp_ieee_div_zero 0
		.amdhsa_exception_fp_ieee_overflow 0
		.amdhsa_exception_fp_ieee_underflow 0
		.amdhsa_exception_fp_ieee_inexact 0
		.amdhsa_exception_int_div_zero 0
	.end_amdhsa_kernel
	.section	.text._Z39paged_attention_ll4mi_QKV_mfma16_kernelI14__hip_bfloat16hLN4vllm18Fp8KVCacheDataTypeE1ES0_Li32ELi64ELi256ELb1ELi2EL8MFMAType1EEvPKT_PKT0_S9_ifPKiSB_SB_iPKfiiiPfSE_PS4_PT2_iSD_SD_,"axG",@progbits,_Z39paged_attention_ll4mi_QKV_mfma16_kernelI14__hip_bfloat16hLN4vllm18Fp8KVCacheDataTypeE1ES0_Li32ELi64ELi256ELb1ELi2EL8MFMAType1EEvPKT_PKT0_S9_ifPKiSB_SB_iPKfiiiPfSE_PS4_PT2_iSD_SD_,comdat
.Lfunc_end731:
	.size	_Z39paged_attention_ll4mi_QKV_mfma16_kernelI14__hip_bfloat16hLN4vllm18Fp8KVCacheDataTypeE1ES0_Li32ELi64ELi256ELb1ELi2EL8MFMAType1EEvPKT_PKT0_S9_ifPKiSB_SB_iPKfiiiPfSE_PS4_PT2_iSD_SD_, .Lfunc_end731-_Z39paged_attention_ll4mi_QKV_mfma16_kernelI14__hip_bfloat16hLN4vllm18Fp8KVCacheDataTypeE1ES0_Li32ELi64ELi256ELb1ELi2EL8MFMAType1EEvPKT_PKT0_S9_ifPKiSB_SB_iPKfiiiPfSE_PS4_PT2_iSD_SD_
                                        ; -- End function
	.section	.AMDGPU.csdata,"",@progbits
; Kernel info:
; codeLenInByte = 500
; NumSgprs: 40
; NumVgprs: 42
; NumAgprs: 1
; TotalNumVgprs: 45
; ScratchSize: 64
; MemoryBound: 0
; FloatMode: 240
; IeeeMode: 1
; LDSByteSize: 8192 bytes/workgroup (compile time only)
; SGPRBlocks: 4
; VGPRBlocks: 5
; NumSGPRsForWavesPerEU: 40
; NumVGPRsForWavesPerEU: 45
; AccumOffset: 44
; Occupancy: 8
; WaveLimiterHint : 1
; COMPUTE_PGM_RSRC2:SCRATCH_EN: 1
; COMPUTE_PGM_RSRC2:USER_SGPR: 8
; COMPUTE_PGM_RSRC2:TRAP_HANDLER: 0
; COMPUTE_PGM_RSRC2:TGID_X_EN: 1
; COMPUTE_PGM_RSRC2:TGID_Y_EN: 1
; COMPUTE_PGM_RSRC2:TGID_Z_EN: 1
; COMPUTE_PGM_RSRC2:TIDIG_COMP_CNT: 0
; COMPUTE_PGM_RSRC3_GFX90A:ACCUM_OFFSET: 10
; COMPUTE_PGM_RSRC3_GFX90A:TG_SPLIT: 0
	.section	.text._Z39paged_attention_ll4mi_QKV_mfma16_kernelI14__hip_bfloat16hLN4vllm18Fp8KVCacheDataTypeE1ES0_Li32ELi64ELi256ELb1ELi3EL8MFMAType1EEvPKT_PKT0_S9_ifPKiSB_SB_iPKfiiiPfSE_PS4_PT2_iSD_SD_,"axG",@progbits,_Z39paged_attention_ll4mi_QKV_mfma16_kernelI14__hip_bfloat16hLN4vllm18Fp8KVCacheDataTypeE1ES0_Li32ELi64ELi256ELb1ELi3EL8MFMAType1EEvPKT_PKT0_S9_ifPKiSB_SB_iPKfiiiPfSE_PS4_PT2_iSD_SD_,comdat
	.protected	_Z39paged_attention_ll4mi_QKV_mfma16_kernelI14__hip_bfloat16hLN4vllm18Fp8KVCacheDataTypeE1ES0_Li32ELi64ELi256ELb1ELi3EL8MFMAType1EEvPKT_PKT0_S9_ifPKiSB_SB_iPKfiiiPfSE_PS4_PT2_iSD_SD_ ; -- Begin function _Z39paged_attention_ll4mi_QKV_mfma16_kernelI14__hip_bfloat16hLN4vllm18Fp8KVCacheDataTypeE1ES0_Li32ELi64ELi256ELb1ELi3EL8MFMAType1EEvPKT_PKT0_S9_ifPKiSB_SB_iPKfiiiPfSE_PS4_PT2_iSD_SD_
	.globl	_Z39paged_attention_ll4mi_QKV_mfma16_kernelI14__hip_bfloat16hLN4vllm18Fp8KVCacheDataTypeE1ES0_Li32ELi64ELi256ELb1ELi3EL8MFMAType1EEvPKT_PKT0_S9_ifPKiSB_SB_iPKfiiiPfSE_PS4_PT2_iSD_SD_
	.p2align	8
	.type	_Z39paged_attention_ll4mi_QKV_mfma16_kernelI14__hip_bfloat16hLN4vllm18Fp8KVCacheDataTypeE1ES0_Li32ELi64ELi256ELb1ELi3EL8MFMAType1EEvPKT_PKT0_S9_ifPKiSB_SB_iPKfiiiPfSE_PS4_PT2_iSD_SD_,@function
_Z39paged_attention_ll4mi_QKV_mfma16_kernelI14__hip_bfloat16hLN4vllm18Fp8KVCacheDataTypeE1ES0_Li32ELi64ELi256ELb1ELi3EL8MFMAType1EEvPKT_PKT0_S9_ifPKiSB_SB_iPKfiiiPfSE_PS4_PT2_iSD_SD_: ; @_Z39paged_attention_ll4mi_QKV_mfma16_kernelI14__hip_bfloat16hLN4vllm18Fp8KVCacheDataTypeE1ES0_Li32ELi64ELi256ELb1ELi3EL8MFMAType1EEvPKT_PKT0_S9_ifPKiSB_SB_iPKfiiiPfSE_PS4_PT2_iSD_SD_
; %bb.0:
	s_load_dwordx2 s[12:13], s[4:5], 0x30
	s_add_u32 flat_scratch_lo, s6, s11
	s_addc_u32 flat_scratch_hi, s7, 0
	s_add_u32 s0, s0, s11
	s_addc_u32 s1, s1, 0
	s_waitcnt lgkmcnt(0)
	s_cmp_lg_u64 s[12:13], 0
	s_cselect_b64 s[14:15], -1, 0
	s_mov_b32 s6, s9
	s_mov_b64 s[16:17], 0
	s_and_b64 vcc, exec, s[14:15]
	s_mov_b32 s32, 0
	s_cbranch_vccz .LBB732_11
; %bb.1:
	s_add_i32 s18, s8, 1
	s_mov_b32 s19, 0
	s_lshl_b64 s[20:21], s[18:19], 2
	s_add_u32 s20, s12, s20
	s_mov_b32 s9, s19
	s_addc_u32 s21, s13, s21
	s_lshl_b64 s[18:19], s[8:9], 2
	s_add_u32 s18, s12, s18
	s_addc_u32 s19, s13, s19
	s_load_dword s7, s[20:21], 0x0
	s_load_dword s11, s[18:19], 0x0
	s_waitcnt lgkmcnt(0)
	s_sub_i32 s7, s7, s11
	s_cmp_eq_u32 s7, 1
	s_cselect_b64 s[18:19], -1, 0
	s_andn2_b64 vcc, exec, s[16:17]
	s_cbranch_vccnz .LBB732_3
.LBB732_2:
	s_mov_b32 s9, 0
	s_mov_b64 s[18:19], -1
.LBB732_3:
	s_andn2_b64 vcc, exec, s[18:19]
	s_cbranch_vccnz .LBB732_10
; %bb.4:
	s_load_dwordx2 s[18:19], s[4:5], 0x28
	s_lshl_b64 s[16:17], s[8:9], 2
	s_waitcnt lgkmcnt(0)
	s_add_u32 s18, s18, s16
	s_addc_u32 s19, s19, s17
	s_load_dword s7, s[18:19], 0x0
	s_lshl_b32 s6, s6, 8
	s_waitcnt lgkmcnt(0)
	s_cmp_ge_i32 s6, s7
	s_cbranch_scc1 .LBB732_10
; %bb.5:
	s_andn2_b64 vcc, exec, s[14:15]
	s_cbranch_vccnz .LBB732_7
; %bb.6:
	s_add_u32 s6, s12, s16
	s_addc_u32 s7, s13, s17
	s_load_dword s8, s[6:7], 0x0
.LBB732_7:
	v_and_b32_e32 v1, 15, v0
	v_cmp_gt_u32_e32 vcc, 48, v0
	v_cmp_gt_u32_e64 s[6:7], 8, v1
	s_and_b64 s[12:13], s[6:7], vcc
	s_and_saveexec_b64 s[6:7], s[12:13]
	s_cbranch_execz .LBB732_9
; %bb.8:
	s_load_dword s11, s[4:5], 0x48
	s_load_dwordx2 s[12:13], s[4:5], 0x0
	v_lshrrev_b32_e32 v6, 4, v0
	s_mul_i32 s10, s10, 3
	v_add_lshl_u32 v2, v6, s10, 6
	s_waitcnt lgkmcnt(0)
	s_ashr_i32 s9, s11, 31
	s_mul_hi_u32 s14, s8, s11
	s_mul_i32 s9, s8, s9
	s_add_i32 s9, s14, s9
	s_mul_i32 s8, s8, s11
	s_lshl_b64 s[8:9], s[8:9], 1
	s_add_u32 s8, s12, s8
	v_ashrrev_i32_e32 v3, 31, v2
	s_addc_u32 s9, s13, s9
	v_lshlrev_b64 v[2:3], 1, v[2:3]
	v_mov_b32_e32 v4, s9
	v_add_co_u32_e32 v2, vcc, s8, v2
	v_addc_co_u32_e32 v3, vcc, v4, v3, vcc
	v_lshlrev_b32_e32 v4, 4, v1
	v_add_co_u32_e32 v2, vcc, v2, v4
	v_addc_co_u32_e32 v3, vcc, 0, v3, vcc
	global_load_dwordx4 v[2:5], v[2:3], off
	v_lshlrev_b32_e32 v0, 4, v0
	v_lshlrev_b32_e32 v1, 8, v1
	v_and_b32_e32 v0, 16, v0
	v_lshlrev_b32_e32 v6, 5, v6
	v_and_b32_e32 v1, 0xe00, v1
	v_or3_b32 v0, v1, v6, v0
	s_waitcnt vmcnt(0)
	ds_write_b128 v0, v[2:5]
.LBB732_9:
	s_or_b64 exec, exec, s[6:7]
	s_waitcnt lgkmcnt(0)
	s_add_u32 s8, s4, 0x90
	s_addc_u32 s9, s5, 0
	s_getpc_b64 s[4:5]
	s_add_u32 s4, s4, __PRETTY_FUNCTION__._Z39paged_attention_ll4mi_QKV_mfma16_kernelI14__hip_bfloat16hLN4vllm18Fp8KVCacheDataTypeE1ES0_Li32ELi64ELi256ELb1ELi3EL8MFMAType1EEvPKT_PKT0_S9_ifPKiSB_SB_iPKfiiiPfSE_PS4_PT2_iSD_SD_@rel32@lo+4
	s_addc_u32 s5, s5, __PRETTY_FUNCTION__._Z39paged_attention_ll4mi_QKV_mfma16_kernelI14__hip_bfloat16hLN4vllm18Fp8KVCacheDataTypeE1ES0_Li32ELi64ELi256ELb1ELi3EL8MFMAType1EEvPKT_PKT0_S9_ifPKiSB_SB_iPKfiiiPfSE_PS4_PT2_iSD_SD_@rel32@hi+12
	v_mov_b32_e32 v0, 0x288
	v_mov_b32_e32 v1, s4
	;; [unrolled: 1-line block ×3, first 2 shown]
	s_barrier
	s_getpc_b64 s[6:7]
	s_add_u32 s6, s6, __assert_fail@rel32@lo+4
	s_addc_u32 s7, s7, __assert_fail@rel32@hi+12
	s_swappc_b64 s[30:31], s[6:7]
	; divergent unreachable
.LBB732_10:
	s_endpgm
.LBB732_11:
	s_mov_b64 s[18:19], 0
	s_branch .LBB732_2
	.section	.rodata,"a",@progbits
	.p2align	6, 0x0
	.amdhsa_kernel _Z39paged_attention_ll4mi_QKV_mfma16_kernelI14__hip_bfloat16hLN4vllm18Fp8KVCacheDataTypeE1ES0_Li32ELi64ELi256ELb1ELi3EL8MFMAType1EEvPKT_PKT0_S9_ifPKiSB_SB_iPKfiiiPfSE_PS4_PT2_iSD_SD_
		.amdhsa_group_segment_fixed_size 8192
		.amdhsa_private_segment_fixed_size 64
		.amdhsa_kernarg_size 400
		.amdhsa_user_sgpr_count 8
		.amdhsa_user_sgpr_private_segment_buffer 1
		.amdhsa_user_sgpr_dispatch_ptr 0
		.amdhsa_user_sgpr_queue_ptr 0
		.amdhsa_user_sgpr_kernarg_segment_ptr 1
		.amdhsa_user_sgpr_dispatch_id 0
		.amdhsa_user_sgpr_flat_scratch_init 1
		.amdhsa_user_sgpr_kernarg_preload_length 0
		.amdhsa_user_sgpr_kernarg_preload_offset 0
		.amdhsa_user_sgpr_private_segment_size 0
		.amdhsa_uses_dynamic_stack 0
		.amdhsa_system_sgpr_private_segment_wavefront_offset 1
		.amdhsa_system_sgpr_workgroup_id_x 1
		.amdhsa_system_sgpr_workgroup_id_y 1
		.amdhsa_system_sgpr_workgroup_id_z 1
		.amdhsa_system_sgpr_workgroup_info 0
		.amdhsa_system_vgpr_workitem_id 0
		.amdhsa_next_free_vgpr 45
		.amdhsa_next_free_sgpr 34
		.amdhsa_accum_offset 44
		.amdhsa_reserve_vcc 1
		.amdhsa_reserve_flat_scratch 1
		.amdhsa_float_round_mode_32 0
		.amdhsa_float_round_mode_16_64 0
		.amdhsa_float_denorm_mode_32 3
		.amdhsa_float_denorm_mode_16_64 3
		.amdhsa_dx10_clamp 1
		.amdhsa_ieee_mode 1
		.amdhsa_fp16_overflow 0
		.amdhsa_tg_split 0
		.amdhsa_exception_fp_ieee_invalid_op 0
		.amdhsa_exception_fp_denorm_src 0
		.amdhsa_exception_fp_ieee_div_zero 0
		.amdhsa_exception_fp_ieee_overflow 0
		.amdhsa_exception_fp_ieee_underflow 0
		.amdhsa_exception_fp_ieee_inexact 0
		.amdhsa_exception_int_div_zero 0
	.end_amdhsa_kernel
	.section	.text._Z39paged_attention_ll4mi_QKV_mfma16_kernelI14__hip_bfloat16hLN4vllm18Fp8KVCacheDataTypeE1ES0_Li32ELi64ELi256ELb1ELi3EL8MFMAType1EEvPKT_PKT0_S9_ifPKiSB_SB_iPKfiiiPfSE_PS4_PT2_iSD_SD_,"axG",@progbits,_Z39paged_attention_ll4mi_QKV_mfma16_kernelI14__hip_bfloat16hLN4vllm18Fp8KVCacheDataTypeE1ES0_Li32ELi64ELi256ELb1ELi3EL8MFMAType1EEvPKT_PKT0_S9_ifPKiSB_SB_iPKfiiiPfSE_PS4_PT2_iSD_SD_,comdat
.Lfunc_end732:
	.size	_Z39paged_attention_ll4mi_QKV_mfma16_kernelI14__hip_bfloat16hLN4vllm18Fp8KVCacheDataTypeE1ES0_Li32ELi64ELi256ELb1ELi3EL8MFMAType1EEvPKT_PKT0_S9_ifPKiSB_SB_iPKfiiiPfSE_PS4_PT2_iSD_SD_, .Lfunc_end732-_Z39paged_attention_ll4mi_QKV_mfma16_kernelI14__hip_bfloat16hLN4vllm18Fp8KVCacheDataTypeE1ES0_Li32ELi64ELi256ELb1ELi3EL8MFMAType1EEvPKT_PKT0_S9_ifPKiSB_SB_iPKfiiiPfSE_PS4_PT2_iSD_SD_
                                        ; -- End function
	.section	.AMDGPU.csdata,"",@progbits
; Kernel info:
; codeLenInByte = 500
; NumSgprs: 40
; NumVgprs: 42
; NumAgprs: 1
; TotalNumVgprs: 45
; ScratchSize: 64
; MemoryBound: 0
; FloatMode: 240
; IeeeMode: 1
; LDSByteSize: 8192 bytes/workgroup (compile time only)
; SGPRBlocks: 4
; VGPRBlocks: 5
; NumSGPRsForWavesPerEU: 40
; NumVGPRsForWavesPerEU: 45
; AccumOffset: 44
; Occupancy: 8
; WaveLimiterHint : 1
; COMPUTE_PGM_RSRC2:SCRATCH_EN: 1
; COMPUTE_PGM_RSRC2:USER_SGPR: 8
; COMPUTE_PGM_RSRC2:TRAP_HANDLER: 0
; COMPUTE_PGM_RSRC2:TGID_X_EN: 1
; COMPUTE_PGM_RSRC2:TGID_Y_EN: 1
; COMPUTE_PGM_RSRC2:TGID_Z_EN: 1
; COMPUTE_PGM_RSRC2:TIDIG_COMP_CNT: 0
; COMPUTE_PGM_RSRC3_GFX90A:ACCUM_OFFSET: 10
; COMPUTE_PGM_RSRC3_GFX90A:TG_SPLIT: 0
	.section	.text._Z39paged_attention_ll4mi_QKV_mfma16_kernelI14__hip_bfloat16hLN4vllm18Fp8KVCacheDataTypeE1ES0_Li32ELi64ELi256ELb1ELi4EL8MFMAType1EEvPKT_PKT0_S9_ifPKiSB_SB_iPKfiiiPfSE_PS4_PT2_iSD_SD_,"axG",@progbits,_Z39paged_attention_ll4mi_QKV_mfma16_kernelI14__hip_bfloat16hLN4vllm18Fp8KVCacheDataTypeE1ES0_Li32ELi64ELi256ELb1ELi4EL8MFMAType1EEvPKT_PKT0_S9_ifPKiSB_SB_iPKfiiiPfSE_PS4_PT2_iSD_SD_,comdat
	.protected	_Z39paged_attention_ll4mi_QKV_mfma16_kernelI14__hip_bfloat16hLN4vllm18Fp8KVCacheDataTypeE1ES0_Li32ELi64ELi256ELb1ELi4EL8MFMAType1EEvPKT_PKT0_S9_ifPKiSB_SB_iPKfiiiPfSE_PS4_PT2_iSD_SD_ ; -- Begin function _Z39paged_attention_ll4mi_QKV_mfma16_kernelI14__hip_bfloat16hLN4vllm18Fp8KVCacheDataTypeE1ES0_Li32ELi64ELi256ELb1ELi4EL8MFMAType1EEvPKT_PKT0_S9_ifPKiSB_SB_iPKfiiiPfSE_PS4_PT2_iSD_SD_
	.globl	_Z39paged_attention_ll4mi_QKV_mfma16_kernelI14__hip_bfloat16hLN4vllm18Fp8KVCacheDataTypeE1ES0_Li32ELi64ELi256ELb1ELi4EL8MFMAType1EEvPKT_PKT0_S9_ifPKiSB_SB_iPKfiiiPfSE_PS4_PT2_iSD_SD_
	.p2align	8
	.type	_Z39paged_attention_ll4mi_QKV_mfma16_kernelI14__hip_bfloat16hLN4vllm18Fp8KVCacheDataTypeE1ES0_Li32ELi64ELi256ELb1ELi4EL8MFMAType1EEvPKT_PKT0_S9_ifPKiSB_SB_iPKfiiiPfSE_PS4_PT2_iSD_SD_,@function
_Z39paged_attention_ll4mi_QKV_mfma16_kernelI14__hip_bfloat16hLN4vllm18Fp8KVCacheDataTypeE1ES0_Li32ELi64ELi256ELb1ELi4EL8MFMAType1EEvPKT_PKT0_S9_ifPKiSB_SB_iPKfiiiPfSE_PS4_PT2_iSD_SD_: ; @_Z39paged_attention_ll4mi_QKV_mfma16_kernelI14__hip_bfloat16hLN4vllm18Fp8KVCacheDataTypeE1ES0_Li32ELi64ELi256ELb1ELi4EL8MFMAType1EEvPKT_PKT0_S9_ifPKiSB_SB_iPKfiiiPfSE_PS4_PT2_iSD_SD_
; %bb.0:
	s_load_dwordx2 s[12:13], s[4:5], 0x30
	s_add_u32 flat_scratch_lo, s6, s11
	s_addc_u32 flat_scratch_hi, s7, 0
	s_add_u32 s0, s0, s11
	s_addc_u32 s1, s1, 0
	s_waitcnt lgkmcnt(0)
	s_cmp_lg_u64 s[12:13], 0
	s_cselect_b64 s[14:15], -1, 0
	s_mov_b32 s6, s9
	s_mov_b64 s[16:17], 0
	s_and_b64 vcc, exec, s[14:15]
	s_mov_b32 s32, 0
	s_cbranch_vccz .LBB733_11
; %bb.1:
	s_add_i32 s18, s8, 1
	s_mov_b32 s19, 0
	s_lshl_b64 s[20:21], s[18:19], 2
	s_add_u32 s20, s12, s20
	s_mov_b32 s9, s19
	s_addc_u32 s21, s13, s21
	s_lshl_b64 s[18:19], s[8:9], 2
	s_add_u32 s18, s12, s18
	s_addc_u32 s19, s13, s19
	s_load_dword s7, s[20:21], 0x0
	s_load_dword s11, s[18:19], 0x0
	s_waitcnt lgkmcnt(0)
	s_sub_i32 s7, s7, s11
	s_cmp_eq_u32 s7, 1
	s_cselect_b64 s[18:19], -1, 0
	s_andn2_b64 vcc, exec, s[16:17]
	s_cbranch_vccnz .LBB733_3
.LBB733_2:
	s_mov_b32 s9, 0
	s_mov_b64 s[18:19], -1
.LBB733_3:
	s_andn2_b64 vcc, exec, s[18:19]
	s_cbranch_vccnz .LBB733_10
; %bb.4:
	s_load_dwordx2 s[18:19], s[4:5], 0x28
	s_lshl_b64 s[16:17], s[8:9], 2
	s_waitcnt lgkmcnt(0)
	s_add_u32 s18, s18, s16
	s_addc_u32 s19, s19, s17
	s_load_dword s7, s[18:19], 0x0
	s_lshl_b32 s6, s6, 8
	s_waitcnt lgkmcnt(0)
	s_cmp_ge_i32 s6, s7
	s_cbranch_scc1 .LBB733_10
; %bb.5:
	s_andn2_b64 vcc, exec, s[14:15]
	s_cbranch_vccnz .LBB733_7
; %bb.6:
	s_add_u32 s6, s12, s16
	s_addc_u32 s7, s13, s17
	s_load_dword s8, s[6:7], 0x0
.LBB733_7:
	v_and_b32_e32 v1, 15, v0
	v_cmp_gt_u32_e32 vcc, 64, v0
	v_cmp_gt_u32_e64 s[6:7], 8, v1
	s_and_b64 s[12:13], vcc, s[6:7]
	s_and_saveexec_b64 s[6:7], s[12:13]
	s_cbranch_execz .LBB733_9
; %bb.8:
	s_load_dword s9, s[4:5], 0x48
	s_load_dwordx2 s[12:13], s[4:5], 0x0
	v_lshrrev_b32_e32 v6, 4, v0
	v_lshlrev_b32_e32 v2, 6, v6
	v_lshl_or_b32 v2, s10, 8, v2
	s_waitcnt lgkmcnt(0)
	s_ashr_i32 s11, s9, 31
	s_mul_hi_u32 s15, s8, s9
	s_mul_i32 s14, s8, s9
	s_mul_i32 s8, s8, s11
	s_add_i32 s15, s15, s8
	s_lshl_b64 s[8:9], s[14:15], 1
	s_add_u32 s8, s12, s8
	v_ashrrev_i32_e32 v3, 31, v2
	s_addc_u32 s9, s13, s9
	v_lshlrev_b64 v[2:3], 1, v[2:3]
	v_mov_b32_e32 v4, s9
	v_add_co_u32_e32 v2, vcc, s8, v2
	v_addc_co_u32_e32 v3, vcc, v4, v3, vcc
	v_lshlrev_b32_e32 v4, 4, v1
	v_add_co_u32_e32 v2, vcc, v2, v4
	v_addc_co_u32_e32 v3, vcc, 0, v3, vcc
	global_load_dwordx4 v[2:5], v[2:3], off
	v_lshlrev_b32_e32 v0, 4, v0
	v_lshlrev_b32_e32 v1, 8, v1
	v_and_b32_e32 v0, 16, v0
	v_lshlrev_b32_e32 v6, 5, v6
	v_and_b32_e32 v1, 0xe00, v1
	v_or3_b32 v0, v1, v6, v0
	s_waitcnt vmcnt(0)
	ds_write_b128 v0, v[2:5]
.LBB733_9:
	s_or_b64 exec, exec, s[6:7]
	s_waitcnt lgkmcnt(0)
	s_add_u32 s8, s4, 0x90
	s_addc_u32 s9, s5, 0
	s_getpc_b64 s[4:5]
	s_add_u32 s4, s4, __PRETTY_FUNCTION__._Z39paged_attention_ll4mi_QKV_mfma16_kernelI14__hip_bfloat16hLN4vllm18Fp8KVCacheDataTypeE1ES0_Li32ELi64ELi256ELb1ELi4EL8MFMAType1EEvPKT_PKT0_S9_ifPKiSB_SB_iPKfiiiPfSE_PS4_PT2_iSD_SD_@rel32@lo+4
	s_addc_u32 s5, s5, __PRETTY_FUNCTION__._Z39paged_attention_ll4mi_QKV_mfma16_kernelI14__hip_bfloat16hLN4vllm18Fp8KVCacheDataTypeE1ES0_Li32ELi64ELi256ELb1ELi4EL8MFMAType1EEvPKT_PKT0_S9_ifPKiSB_SB_iPKfiiiPfSE_PS4_PT2_iSD_SD_@rel32@hi+12
	v_mov_b32_e32 v0, 0x288
	v_mov_b32_e32 v1, s4
	;; [unrolled: 1-line block ×3, first 2 shown]
	s_barrier
	s_getpc_b64 s[6:7]
	s_add_u32 s6, s6, __assert_fail@rel32@lo+4
	s_addc_u32 s7, s7, __assert_fail@rel32@hi+12
	s_swappc_b64 s[30:31], s[6:7]
	; divergent unreachable
.LBB733_10:
	s_endpgm
.LBB733_11:
	s_mov_b64 s[18:19], 0
	s_branch .LBB733_2
	.section	.rodata,"a",@progbits
	.p2align	6, 0x0
	.amdhsa_kernel _Z39paged_attention_ll4mi_QKV_mfma16_kernelI14__hip_bfloat16hLN4vllm18Fp8KVCacheDataTypeE1ES0_Li32ELi64ELi256ELb1ELi4EL8MFMAType1EEvPKT_PKT0_S9_ifPKiSB_SB_iPKfiiiPfSE_PS4_PT2_iSD_SD_
		.amdhsa_group_segment_fixed_size 8192
		.amdhsa_private_segment_fixed_size 64
		.amdhsa_kernarg_size 400
		.amdhsa_user_sgpr_count 8
		.amdhsa_user_sgpr_private_segment_buffer 1
		.amdhsa_user_sgpr_dispatch_ptr 0
		.amdhsa_user_sgpr_queue_ptr 0
		.amdhsa_user_sgpr_kernarg_segment_ptr 1
		.amdhsa_user_sgpr_dispatch_id 0
		.amdhsa_user_sgpr_flat_scratch_init 1
		.amdhsa_user_sgpr_kernarg_preload_length 0
		.amdhsa_user_sgpr_kernarg_preload_offset 0
		.amdhsa_user_sgpr_private_segment_size 0
		.amdhsa_uses_dynamic_stack 0
		.amdhsa_system_sgpr_private_segment_wavefront_offset 1
		.amdhsa_system_sgpr_workgroup_id_x 1
		.amdhsa_system_sgpr_workgroup_id_y 1
		.amdhsa_system_sgpr_workgroup_id_z 1
		.amdhsa_system_sgpr_workgroup_info 0
		.amdhsa_system_vgpr_workitem_id 0
		.amdhsa_next_free_vgpr 45
		.amdhsa_next_free_sgpr 34
		.amdhsa_accum_offset 44
		.amdhsa_reserve_vcc 1
		.amdhsa_reserve_flat_scratch 1
		.amdhsa_float_round_mode_32 0
		.amdhsa_float_round_mode_16_64 0
		.amdhsa_float_denorm_mode_32 3
		.amdhsa_float_denorm_mode_16_64 3
		.amdhsa_dx10_clamp 1
		.amdhsa_ieee_mode 1
		.amdhsa_fp16_overflow 0
		.amdhsa_tg_split 0
		.amdhsa_exception_fp_ieee_invalid_op 0
		.amdhsa_exception_fp_denorm_src 0
		.amdhsa_exception_fp_ieee_div_zero 0
		.amdhsa_exception_fp_ieee_overflow 0
		.amdhsa_exception_fp_ieee_underflow 0
		.amdhsa_exception_fp_ieee_inexact 0
		.amdhsa_exception_int_div_zero 0
	.end_amdhsa_kernel
	.section	.text._Z39paged_attention_ll4mi_QKV_mfma16_kernelI14__hip_bfloat16hLN4vllm18Fp8KVCacheDataTypeE1ES0_Li32ELi64ELi256ELb1ELi4EL8MFMAType1EEvPKT_PKT0_S9_ifPKiSB_SB_iPKfiiiPfSE_PS4_PT2_iSD_SD_,"axG",@progbits,_Z39paged_attention_ll4mi_QKV_mfma16_kernelI14__hip_bfloat16hLN4vllm18Fp8KVCacheDataTypeE1ES0_Li32ELi64ELi256ELb1ELi4EL8MFMAType1EEvPKT_PKT0_S9_ifPKiSB_SB_iPKfiiiPfSE_PS4_PT2_iSD_SD_,comdat
.Lfunc_end733:
	.size	_Z39paged_attention_ll4mi_QKV_mfma16_kernelI14__hip_bfloat16hLN4vllm18Fp8KVCacheDataTypeE1ES0_Li32ELi64ELi256ELb1ELi4EL8MFMAType1EEvPKT_PKT0_S9_ifPKiSB_SB_iPKfiiiPfSE_PS4_PT2_iSD_SD_, .Lfunc_end733-_Z39paged_attention_ll4mi_QKV_mfma16_kernelI14__hip_bfloat16hLN4vllm18Fp8KVCacheDataTypeE1ES0_Li32ELi64ELi256ELb1ELi4EL8MFMAType1EEvPKT_PKT0_S9_ifPKiSB_SB_iPKfiiiPfSE_PS4_PT2_iSD_SD_
                                        ; -- End function
	.section	.AMDGPU.csdata,"",@progbits
; Kernel info:
; codeLenInByte = 500
; NumSgprs: 40
; NumVgprs: 42
; NumAgprs: 1
; TotalNumVgprs: 45
; ScratchSize: 64
; MemoryBound: 0
; FloatMode: 240
; IeeeMode: 1
; LDSByteSize: 8192 bytes/workgroup (compile time only)
; SGPRBlocks: 4
; VGPRBlocks: 5
; NumSGPRsForWavesPerEU: 40
; NumVGPRsForWavesPerEU: 45
; AccumOffset: 44
; Occupancy: 8
; WaveLimiterHint : 1
; COMPUTE_PGM_RSRC2:SCRATCH_EN: 1
; COMPUTE_PGM_RSRC2:USER_SGPR: 8
; COMPUTE_PGM_RSRC2:TRAP_HANDLER: 0
; COMPUTE_PGM_RSRC2:TGID_X_EN: 1
; COMPUTE_PGM_RSRC2:TGID_Y_EN: 1
; COMPUTE_PGM_RSRC2:TGID_Z_EN: 1
; COMPUTE_PGM_RSRC2:TIDIG_COMP_CNT: 0
; COMPUTE_PGM_RSRC3_GFX90A:ACCUM_OFFSET: 10
; COMPUTE_PGM_RSRC3_GFX90A:TG_SPLIT: 0
	.section	.text._Z38paged_attention_ll4mi_QKV_mfma4_kernelI14__hip_bfloat16hLN4vllm18Fp8KVCacheDataTypeE1ES0_Li32ELi64ELi256ELb0ELi1EEvPKT_PKT0_S8_ifPKiSA_SA_iPKfiiiPfSD_PS3_PT2_iSC_SC_,"axG",@progbits,_Z38paged_attention_ll4mi_QKV_mfma4_kernelI14__hip_bfloat16hLN4vllm18Fp8KVCacheDataTypeE1ES0_Li32ELi64ELi256ELb0ELi1EEvPKT_PKT0_S8_ifPKiSA_SA_iPKfiiiPfSD_PS3_PT2_iSC_SC_,comdat
	.protected	_Z38paged_attention_ll4mi_QKV_mfma4_kernelI14__hip_bfloat16hLN4vllm18Fp8KVCacheDataTypeE1ES0_Li32ELi64ELi256ELb0ELi1EEvPKT_PKT0_S8_ifPKiSA_SA_iPKfiiiPfSD_PS3_PT2_iSC_SC_ ; -- Begin function _Z38paged_attention_ll4mi_QKV_mfma4_kernelI14__hip_bfloat16hLN4vllm18Fp8KVCacheDataTypeE1ES0_Li32ELi64ELi256ELb0ELi1EEvPKT_PKT0_S8_ifPKiSA_SA_iPKfiiiPfSD_PS3_PT2_iSC_SC_
	.globl	_Z38paged_attention_ll4mi_QKV_mfma4_kernelI14__hip_bfloat16hLN4vllm18Fp8KVCacheDataTypeE1ES0_Li32ELi64ELi256ELb0ELi1EEvPKT_PKT0_S8_ifPKiSA_SA_iPKfiiiPfSD_PS3_PT2_iSC_SC_
	.p2align	8
	.type	_Z38paged_attention_ll4mi_QKV_mfma4_kernelI14__hip_bfloat16hLN4vllm18Fp8KVCacheDataTypeE1ES0_Li32ELi64ELi256ELb0ELi1EEvPKT_PKT0_S8_ifPKiSA_SA_iPKfiiiPfSD_PS3_PT2_iSC_SC_,@function
_Z38paged_attention_ll4mi_QKV_mfma4_kernelI14__hip_bfloat16hLN4vllm18Fp8KVCacheDataTypeE1ES0_Li32ELi64ELi256ELb0ELi1EEvPKT_PKT0_S8_ifPKiSA_SA_iPKfiiiPfSD_PS3_PT2_iSC_SC_: ; @_Z38paged_attention_ll4mi_QKV_mfma4_kernelI14__hip_bfloat16hLN4vllm18Fp8KVCacheDataTypeE1ES0_Li32ELi64ELi256ELb0ELi1EEvPKT_PKT0_S8_ifPKiSA_SA_iPKfiiiPfSD_PS3_PT2_iSC_SC_
; %bb.0:
	s_load_dwordx2 s[2:3], s[4:5], 0x30
	s_mov_b32 s28, s7
	s_mov_b64 s[0:1], 0
	s_waitcnt lgkmcnt(0)
	s_cmp_lg_u64 s[2:3], 0
	s_cselect_b64 s[10:11], -1, 0
	s_and_b64 vcc, exec, s[10:11]
	s_cbranch_vccz .LBB734_10
; %bb.1:
	s_add_i32 s12, s6, 1
	s_mov_b32 s13, 0
	s_lshl_b64 s[14:15], s[12:13], 2
	s_add_u32 s14, s2, s14
	s_mov_b32 s7, s13
	s_addc_u32 s15, s3, s15
	s_lshl_b64 s[12:13], s[6:7], 2
	s_add_u32 s12, s2, s12
	s_addc_u32 s13, s3, s13
	s_load_dword s9, s[14:15], 0x0
	s_load_dword s16, s[12:13], 0x0
	s_waitcnt lgkmcnt(0)
	s_sub_i32 s9, s9, s16
	s_cmp_eq_u32 s9, 1
	s_cselect_b64 s[12:13], -1, 0
	s_andn2_b64 vcc, exec, s[0:1]
	s_cbranch_vccnz .LBB734_3
.LBB734_2:
	s_mov_b32 s7, 0
	s_mov_b64 s[12:13], -1
.LBB734_3:
	s_andn2_b64 vcc, exec, s[12:13]
	s_cbranch_vccnz .LBB734_791
; %bb.4:
	s_load_dword s9, s[4:5], 0x9c
	s_load_dwordx2 s[0:1], s[4:5], 0x28
	s_add_u32 s34, s4, 0x90
	s_addc_u32 s35, s5, 0
	s_lshl_b64 s[20:21], s[6:7], 2
	s_waitcnt lgkmcnt(0)
	s_and_b32 s9, s9, 0xffff
	s_add_u32 s0, s0, s20
	s_addc_u32 s1, s1, s21
	s_load_dword s7, s[0:1], 0x0
	s_mul_i32 s22, s28, s9
	s_waitcnt lgkmcnt(0)
	s_cmp_ge_i32 s22, s7
	s_cbranch_scc1 .LBB734_791
; %bb.5:
	v_and_b32_e32 v2, 0xc0, v0
	v_add_u32_e32 v4, s22, v2
	v_lshrrev_b32_e32 v1, 6, v0
	v_cmp_gt_i32_e64 s[0:1], s7, v4
	v_cmp_le_i32_e32 vcc, s7, v4
                                        ; implicit-def: $sgpr24
                                        ; implicit-def: $sgpr23
	s_and_saveexec_b64 s[12:13], vcc
	s_xor_b64 s[12:13], exec, s[12:13]
	s_cbranch_execz .LBB734_7
; %bb.6:
	v_mul_u32_u24_e32 v2, 20, v1
	v_or_b32_e32 v2, 0xa00, v2
	v_mov_b32_e32 v3, 0xa50
	v_mov_b32_e32 v4, 0xff7fffff
	v_mad_u32_u24 v3, v1, 20, v3
	ds_write2_b32 v2, v4, v4 offset1:1
	v_mov_b32_e32 v2, 0
	ds_write2_b32 v3, v2, v2 offset1:1
	v_mov_b32_e32 v3, 0xa08
	s_mov_b32 s23, 0xff7fffff
	s_mov_b32 s24, 0
	v_mad_u32_u24 v3, v1, 20, v3
	v_mov_b32_e32 v5, 0xa58
	v_mad_u32_u24 v5, v1, 20, v5
	ds_write2_b32 v3, v4, v4 offset1:1
	ds_write2_b32 v5, v2, v2 offset1:1
                                        ; implicit-def: $vgpr4
.LBB734_7:
	s_or_saveexec_b64 s[36:37], s[12:13]
	s_load_dwordx2 s[30:31], s[4:5], 0x68
	s_load_dwordx4 s[16:19], s[4:5], 0x58
	s_load_dword s9, s[34:35], 0x4
	s_load_dwordx4 s[12:15], s[4:5], 0x80
	v_and_b32_e32 v42, 63, v0
	v_and_b32_e32 v43, 3, v0
	v_mov_b32_e32 v21, s24
	v_mov_b32_e32 v25, s23
	;; [unrolled: 1-line block ×5, first 2 shown]
                                        ; implicit-def: $vgpr14_vgpr15
                                        ; implicit-def: $vgpr10_vgpr11
                                        ; implicit-def: $vgpr6_vgpr7
                                        ; implicit-def: $vgpr2_vgpr3
	s_xor_b64 exec, exec, s[36:37]
	s_cbranch_execz .LBB734_401
; %bb.8:
	s_add_i32 s26, s7, 31
	s_ashr_i32 s27, s26, 31
	s_load_dwordx2 s[24:25], s[4:5], 0x20
	s_load_dword s23, s[4:5], 0x38
	s_lshr_b32 s27, s27, 27
	v_add_u32_e32 v44, s22, v0
	s_add_i32 s26, s26, s27
	v_ashrrev_i32_e32 v2, 31, v44
	s_ashr_i32 s26, s26, 5
	v_lshrrev_b32_e32 v2, 27, v2
	s_add_i32 s29, s26, -1
	v_add_u32_e32 v2, v44, v2
	v_ashrrev_i32_e32 v2, 5, v2
	v_mov_b32_e32 v3, s29
	v_cmp_gt_i32_e32 vcc, s7, v44
	s_waitcnt lgkmcnt(0)
	s_mul_i32 s26, s6, s23
	s_mov_b32 s27, 0
	v_cndmask_b32_e32 v2, v3, v2, vcc
	s_lshl_b64 s[26:27], s[26:27], 2
	v_ashrrev_i32_e32 v3, 31, v2
	s_add_u32 s23, s24, s26
	v_lshlrev_b64 v[2:3], 2, v[2:3]
	v_add_co_u32_e32 v6, vcc, s23, v2
	v_ashrrev_i32_e32 v2, 31, v4
	v_lshrrev_b32_e32 v2, 27, v2
	v_add_u32_e32 v2, v4, v2
	s_addc_u32 s24, s25, s27
	v_ashrrev_i32_e32 v4, 5, v2
	v_mov_b32_e32 v5, s24
	v_min_i32_e32 v2, s29, v4
	v_addc_co_u32_e32 v7, vcc, v5, v3, vcc
	v_ashrrev_i32_e32 v3, 31, v2
	v_lshlrev_b64 v[2:3], 2, v[2:3]
	v_add_co_u32_e32 v8, vcc, s23, v2
	v_add_u32_e32 v2, 1, v4
	v_min_i32_e32 v2, s29, v2
	v_addc_co_u32_e32 v9, vcc, v5, v3, vcc
	v_ashrrev_i32_e32 v3, 31, v2
	v_lshlrev_b64 v[2:3], 2, v[2:3]
	v_mov_b32_e32 v4, s24
	v_add_co_u32_e32 v10, vcc, s23, v2
	v_addc_co_u32_e32 v11, vcc, v4, v3, vcc
	global_load_dword v4, v[6:7], off
	global_load_dword v3, v[8:9], off
	;; [unrolled: 1-line block ×3, first 2 shown]
	s_load_dwordx4 s[24:27], s[4:5], 0x8
	s_andn2_b64 vcc, exec, s[10:11]
	s_cbranch_vccnz .LBB734_11
; %bb.9:
	s_add_u32 s2, s2, s20
	s_addc_u32 s3, s3, s21
	s_load_dword s10, s[2:3], 0x0
	s_branch .LBB734_12
.LBB734_10:
	s_mov_b64 s[12:13], 0
	s_branch .LBB734_2
.LBB734_11:
	s_mov_b32 s10, s6
.LBB734_12:
	s_load_dwordx4 s[20:23], s[4:5], 0x48
	v_cmp_eq_u32_e32 vcc, 0, v43
	s_mov_b32 s11, 0
	v_mov_b32_e32 v39, 0
	v_mov_b32_e32 v18, 0
	;; [unrolled: 1-line block ×5, first 2 shown]
	s_and_saveexec_b64 s[2:3], vcc
	s_cbranch_execz .LBB734_14
; %bb.13:
	s_load_dwordx2 s[38:39], s[4:5], 0x0
	s_waitcnt lgkmcnt(0)
	s_ashr_i32 s23, s20, 31
	s_mul_hi_u32 s29, s10, s20
	s_mul_i32 s23, s10, s23
	s_add_i32 s41, s29, s23
	s_mul_i32 s40, s10, s20
	s_lshl_b64 s[40:41], s[40:41], 1
	s_add_u32 s20, s38, s40
	s_addc_u32 s23, s39, s41
	s_lshl_b32 s10, s8, 6
	s_lshl_b64 s[10:11], s[10:11], 1
	s_add_u32 s10, s20, s10
	s_addc_u32 s11, s23, s11
	v_lshlrev_b32_e32 v5, 2, v42
	global_load_dwordx4 v[18:21], v5, s[10:11]
.LBB734_14:
	s_or_b64 exec, exec, s[2:3]
	s_waitcnt lgkmcnt(0)
	s_mul_i32 s10, s8, s22
	s_add_u32 s2, s10, s24
	s_addc_u32 s3, 0, s25
	v_pk_mov_b32 v[6:7], s[2:3], s[2:3] op_sel:[0,1]
	s_waitcnt vmcnt(2)
	v_mad_i64_i32 v[4:5], s[2:3], v4, s21, v[6:7]
	v_lshlrev_b32_e32 v6, 4, v0
	v_and_b32_e32 v6, 0x1f0, v6
	v_add_co_u32_e64 v4, s[2:3], v4, v6
	v_addc_co_u32_e64 v5, s[2:3], 0, v5, s[2:3]
	s_add_u32 s2, s26, s10
	global_load_dwordx4 v[34:37], v[4:5], off
	global_load_dwordx4 v[30:33], v[4:5], off offset:512
	global_load_dwordx4 v[26:29], v[4:5], off offset:1024
	global_load_dwordx4 v[22:25], v[4:5], off offset:1536
	s_addc_u32 s3, s27, 0
	v_lshlrev_b32_e32 v4, 5, v42
	v_mov_b32_e32 v5, s3
	v_add_co_u32_e64 v6, s[2:3], s2, v4
	s_waitcnt vmcnt(5)
	v_mul_hi_i32 v4, v3, s21
	v_ashrrev_i32_e32 v4, 31, v4
	v_lshrrev_b32_e32 v38, 29, v4
	v_addc_co_u32_e64 v7, s[2:3], 0, v5, s[2:3]
	v_mad_i64_i32 v[4:5], s[2:3], v3, s21, v[38:39]
	v_and_b32_e32 v3, -8, v4
	v_add_co_u32_e64 v4, s[2:3], v6, v3
	s_waitcnt vmcnt(4)
	v_mul_hi_i32 v3, v2, s21
	v_ashrrev_i32_e32 v3, 31, v3
	v_lshrrev_b32_e32 v38, 29, v3
	v_addc_co_u32_e64 v5, s[2:3], v7, v5, s[2:3]
	v_mad_i64_i32 v[2:3], s[2:3], v2, s21, v[38:39]
	v_and_b32_e32 v2, -8, v2
	v_add_co_u32_e64 v40, s[2:3], v6, v2
	v_addc_co_u32_e64 v41, s[2:3], v7, v3, s[2:3]
	global_load_dwordx4 v[10:13], v[4:5], off offset:16
	global_load_dwordx4 v[14:17], v[4:5], off
	s_nop 0
	global_load_dwordx4 v[2:5], v[40:41], off offset:16
	global_load_dwordx4 v[6:9], v[40:41], off
	s_waitcnt vmcnt(7)
	v_cmp_ne_u16_sdwa s[2:3], v34, v39 src0_sel:BYTE_0 src1_sel:DWORD
	s_and_saveexec_b64 s[10:11], s[2:3]
	s_cbranch_execz .LBB734_20
; %bb.15:
	s_movk_i32 s2, 0x80
	v_cmp_ne_u16_sdwa s[2:3], v34, s2 src0_sel:BYTE_0 src1_sel:DWORD
	v_mov_b32_e32 v39, 0xffff8000
	s_and_saveexec_b64 s[20:21], s[2:3]
	s_cbranch_execz .LBB734_19
; %bb.16:
	s_movk_i32 s2, 0x7f
	v_and_b32_e32 v38, 0x7f, v34
	v_cmp_ne_u32_e64 s[2:3], s2, v38
	v_mov_b32_e32 v39, 0x7f80
	s_and_saveexec_b64 s[22:23], s[2:3]
	s_cbranch_execz .LBB734_18
; %bb.17:
	v_and_b32_e32 v39, 7, v34
	v_ffbh_u32_e32 v39, v39
	v_min_u32_e32 v39, 32, v39
	v_subrev_u32_e32 v41, 28, v39
	v_cmp_gt_u32_e64 s[2:3], 8, v38
	v_lshrrev_b32_e32 v40, 3, v38
	v_sub_u32_e32 v39, 29, v39
	v_cndmask_b32_e64 v38, 0, v41, s[2:3]
	v_cndmask_b32_e64 v40, v40, v39, s[2:3]
	v_lshlrev_b64 v[38:39], v38, v[34:35]
	v_lshlrev_b32_e32 v38, 20, v38
	v_lshlrev_b32_e32 v39, 24, v34
	v_bfrev_b32_e32 v41, 60
	v_and_b32_e32 v38, 0x700000, v38
	v_and_b32_e32 v39, 0x80000000, v39
	v_lshl_add_u32 v40, v40, 23, v41
	v_or3_b32 v38, v39, v40, v38
	v_lshrrev_b32_e32 v39, 16, v38
.LBB734_18:
	s_or_b64 exec, exec, s[22:23]
.LBB734_19:
	s_or_b64 exec, exec, s[20:21]
.LBB734_20:
	s_or_b64 exec, exec, s[10:11]
	v_lshrrev_b16_e32 v38, 8, v34
	v_cmp_ne_u16_e64 s[2:3], 0, v38
	v_mov_b32_e32 v46, 0
	v_mov_b32_e32 v45, 0
	s_and_saveexec_b64 s[10:11], s[2:3]
	s_cbranch_execz .LBB734_26
; %bb.21:
	s_movk_i32 s2, 0x80
	v_cmp_ne_u16_e64 s[2:3], s2, v38
	v_mov_b32_e32 v45, 0xffff8000
	s_and_saveexec_b64 s[20:21], s[2:3]
	s_cbranch_execz .LBB734_25
; %bb.22:
	s_movk_i32 s2, 0x7f
	v_and_b32_e32 v40, 0x7f, v38
	v_cmp_ne_u32_e64 s[2:3], s2, v40
	v_mov_b32_e32 v45, 0x7f80
	s_and_saveexec_b64 s[22:23], s[2:3]
	s_cbranch_execz .LBB734_24
; %bb.23:
	v_and_b32_e32 v41, 7, v38
	v_ffbh_u32_e32 v47, v41
	v_min_u32_e32 v47, 32, v47
	v_subrev_u32_e32 v48, 28, v47
	v_lshlrev_b64 v[48:49], v48, v[38:39]
	v_lshrrev_b32_e32 v45, 3, v40
	v_sub_u32_e32 v38, 29, v47
	v_and_b32_e32 v47, 7, v48
	v_cmp_gt_u32_e64 s[2:3], 8, v40
	v_cndmask_b32_e64 v38, v45, v38, s[2:3]
	v_cndmask_b32_e64 v40, v41, v47, s[2:3]
	v_lshlrev_b32_e32 v41, 16, v34
	v_bfrev_b32_e32 v45, 60
	v_lshlrev_b32_e32 v40, 20, v40
	v_and_b32_e32 v41, 0x80000000, v41
	v_lshl_add_u32 v38, v38, 23, v45
	v_or3_b32 v38, v41, v38, v40
	v_lshrrev_b32_e32 v45, 16, v38
.LBB734_24:
	s_or_b64 exec, exec, s[22:23]
.LBB734_25:
	s_or_b64 exec, exec, s[20:21]
.LBB734_26:
	s_or_b64 exec, exec, s[10:11]
	s_movk_i32 s2, 0xff
	v_and_b32_sdwa v40, v34, s2 dst_sel:DWORD dst_unused:UNUSED_PAD src0_sel:WORD_1 src1_sel:DWORD
	v_lshrrev_b32_e32 v38, 16, v34
	v_cmp_ne_u16_e64 s[2:3], 0, v40
	s_and_saveexec_b64 s[10:11], s[2:3]
	s_cbranch_execz .LBB734_32
; %bb.27:
	s_movk_i32 s2, 0x80
	v_cmp_ne_u16_e64 s[2:3], s2, v40
	v_mov_b32_e32 v46, 0xffff8000
	s_and_saveexec_b64 s[20:21], s[2:3]
	s_cbranch_execz .LBB734_31
; %bb.28:
	v_bfe_u32 v40, v34, 16, 7
	s_movk_i32 s2, 0x7f
	v_cmp_ne_u32_e64 s[2:3], s2, v40
	v_mov_b32_e32 v46, 0x7f80
	s_and_saveexec_b64 s[22:23], s[2:3]
	s_cbranch_execz .LBB734_30
; %bb.29:
	v_and_b32_e32 v41, 7, v38
	v_ffbh_u32_e32 v46, v41
	v_min_u32_e32 v49, 32, v46
	v_subrev_u32_e32 v46, 28, v49
	v_lshlrev_b64 v[46:47], v46, v[38:39]
	v_and_b32_e32 v46, 7, v46
	v_cmp_gt_u32_e64 s[2:3], 8, v40
	v_lshrrev_b32_e32 v48, 3, v40
	v_sub_u32_e32 v38, 29, v49
	v_cndmask_b32_e64 v40, v41, v46, s[2:3]
	v_mov_b32_e32 v41, 24
	v_cndmask_b32_e64 v38, v48, v38, s[2:3]
	v_lshlrev_b32_sdwa v41, v41, v34 dst_sel:DWORD dst_unused:UNUSED_PAD src0_sel:DWORD src1_sel:WORD_1
	v_bfrev_b32_e32 v46, 60
	v_lshlrev_b32_e32 v40, 20, v40
	v_and_b32_e32 v41, 0x80000000, v41
	v_lshl_add_u32 v38, v38, 23, v46
	v_or3_b32 v38, v41, v38, v40
	v_lshrrev_b32_e32 v46, 16, v38
.LBB734_30:
	s_or_b64 exec, exec, s[22:23]
.LBB734_31:
	s_or_b64 exec, exec, s[20:21]
.LBB734_32:
	s_or_b64 exec, exec, s[10:11]
	s_mov_b32 s2, 0xffffff
	v_cmp_lt_u32_e64 s[2:3], s2, v34
	v_mov_b32_e32 v41, 0
	v_mov_b32_e32 v47, 0
	s_and_saveexec_b64 s[10:11], s[2:3]
	s_cbranch_execz .LBB734_38
; %bb.33:
	v_lshrrev_b32_e32 v38, 24, v34
	s_movk_i32 s2, 0x80
	v_cmp_ne_u32_e64 s[2:3], s2, v38
	v_mov_b32_e32 v47, 0xffff8000
	s_and_saveexec_b64 s[20:21], s[2:3]
	s_cbranch_execz .LBB734_37
; %bb.34:
	v_bfe_u32 v40, v34, 24, 7
	s_movk_i32 s2, 0x7f
	v_cmp_ne_u32_e64 s[2:3], s2, v40
	v_mov_b32_e32 v47, 0x7f80
	s_and_saveexec_b64 s[22:23], s[2:3]
	s_cbranch_execz .LBB734_36
; %bb.35:
	v_and_b32_e32 v47, 7, v38
	v_ffbh_u32_e32 v48, v47
	v_min_u32_e32 v51, 32, v48
	v_subrev_u32_e32 v48, 28, v51
	v_lshlrev_b64 v[48:49], v48, v[38:39]
	v_lshrrev_b32_e32 v50, 3, v40
	v_sub_u32_e32 v49, 29, v51
	v_and_b32_e32 v48, 7, v48
	v_cmp_gt_u32_e64 s[2:3], 8, v40
	v_cndmask_b32_e64 v40, v50, v49, s[2:3]
	v_cndmask_b32_e64 v47, v47, v48, s[2:3]
	v_lshlrev_b32_e32 v38, 24, v38
	v_bfrev_b32_e32 v48, 60
	v_lshlrev_b32_e32 v47, 20, v47
	v_and_b32_e32 v38, 0x80000000, v38
	v_lshl_add_u32 v40, v40, 23, v48
	v_or3_b32 v38, v38, v40, v47
	v_lshrrev_b32_e32 v47, 16, v38
.LBB734_36:
	s_or_b64 exec, exec, s[22:23]
.LBB734_37:
	s_or_b64 exec, exec, s[20:21]
.LBB734_38:
	s_or_b64 exec, exec, s[10:11]
	v_mov_b32_e32 v40, v35
	v_cmp_ne_u16_sdwa s[2:3], v35, v41 src0_sel:BYTE_0 src1_sel:DWORD
	s_and_saveexec_b64 s[10:11], s[2:3]
	s_cbranch_execz .LBB734_44
; %bb.39:
	s_movk_i32 s2, 0x80
	v_cmp_ne_u16_sdwa s[2:3], v35, s2 src0_sel:BYTE_0 src1_sel:DWORD
	v_mov_b32_e32 v38, 0xffff8000
	s_and_saveexec_b64 s[20:21], s[2:3]
	s_cbranch_execz .LBB734_43
; %bb.40:
	s_movk_i32 s2, 0x7f
	v_and_b32_e32 v48, 0x7f, v35
	v_cmp_ne_u32_e64 s[2:3], s2, v48
	v_mov_b32_e32 v38, 0x7f80
	s_and_saveexec_b64 s[22:23], s[2:3]
	s_cbranch_execz .LBB734_42
; %bb.41:
	v_and_b32_e32 v38, 7, v35
	v_ffbh_u32_e32 v38, v38
	v_min_u32_e32 v38, 32, v38
	v_subrev_u32_e32 v50, 28, v38
	v_cmp_gt_u32_e64 s[2:3], 8, v48
	v_lshrrev_b32_e32 v49, 3, v48
	v_sub_u32_e32 v38, 29, v38
	v_cndmask_b32_e64 v48, 0, v50, s[2:3]
	v_cndmask_b32_e64 v38, v49, v38, s[2:3]
	v_lshlrev_b64 v[48:49], v48, v[40:41]
	v_lshlrev_b32_e32 v41, 20, v48
	v_lshlrev_b32_e32 v48, 24, v40
	v_bfrev_b32_e32 v49, 60
	v_and_b32_e32 v41, 0x700000, v41
	v_and_b32_e32 v48, 0x80000000, v48
	v_lshl_add_u32 v38, v38, 23, v49
	v_or3_b32 v38, v48, v38, v41
	v_lshrrev_b32_e32 v38, 16, v38
.LBB734_42:
	s_or_b64 exec, exec, s[22:23]
.LBB734_43:
	s_or_b64 exec, exec, s[20:21]
	v_mov_b32_e32 v41, v38
.LBB734_44:
	s_or_b64 exec, exec, s[10:11]
	v_lshrrev_b16_e32 v38, 8, v40
	v_cmp_ne_u16_e64 s[2:3], 0, v38
	v_mov_b32_e32 v49, 0
	v_mov_b32_e32 v48, 0
	s_and_saveexec_b64 s[10:11], s[2:3]
	s_cbranch_execz .LBB734_50
; %bb.45:
	s_movk_i32 s2, 0x80
	v_cmp_ne_u16_e64 s[2:3], s2, v38
	v_mov_b32_e32 v48, 0xffff8000
	s_and_saveexec_b64 s[20:21], s[2:3]
	s_cbranch_execz .LBB734_49
; %bb.46:
	s_movk_i32 s2, 0x7f
	v_and_b32_e32 v50, 0x7f, v38
	v_cmp_ne_u32_e64 s[2:3], s2, v50
	v_mov_b32_e32 v48, 0x7f80
	s_and_saveexec_b64 s[22:23], s[2:3]
	s_cbranch_execz .LBB734_48
; %bb.47:
	v_and_b32_e32 v48, 7, v38
	v_ffbh_u32_e32 v52, v48
	v_min_u32_e32 v54, 32, v52
	v_subrev_u32_e32 v52, 28, v54
	v_lshlrev_b64 v[52:53], v52, v[38:39]
	v_lshrrev_b32_e32 v51, 3, v50
	v_sub_u32_e32 v38, 29, v54
	v_and_b32_e32 v52, 7, v52
	v_cmp_gt_u32_e64 s[2:3], 8, v50
	v_cndmask_b32_e64 v38, v51, v38, s[2:3]
	v_cndmask_b32_e64 v48, v48, v52, s[2:3]
	v_lshlrev_b32_e32 v40, 16, v40
	v_bfrev_b32_e32 v50, 60
	v_lshlrev_b32_e32 v48, 20, v48
	v_and_b32_e32 v40, 0x80000000, v40
	v_lshl_add_u32 v38, v38, 23, v50
	v_or3_b32 v38, v40, v38, v48
	v_lshrrev_b32_e32 v48, 16, v38
.LBB734_48:
	s_or_b64 exec, exec, s[22:23]
.LBB734_49:
	s_or_b64 exec, exec, s[20:21]
.LBB734_50:
	s_or_b64 exec, exec, s[10:11]
	s_movk_i32 s2, 0xff
	v_and_b32_sdwa v40, v35, s2 dst_sel:DWORD dst_unused:UNUSED_PAD src0_sel:WORD_1 src1_sel:DWORD
	v_lshrrev_b32_e32 v38, 16, v35
	v_cmp_ne_u16_e64 s[2:3], 0, v40
	s_and_saveexec_b64 s[10:11], s[2:3]
	s_cbranch_execz .LBB734_56
; %bb.51:
	s_movk_i32 s2, 0x80
	v_cmp_ne_u16_e64 s[2:3], s2, v40
	v_mov_b32_e32 v49, 0xffff8000
	s_and_saveexec_b64 s[20:21], s[2:3]
	s_cbranch_execz .LBB734_55
; %bb.52:
	v_bfe_u32 v40, v35, 16, 7
	s_movk_i32 s2, 0x7f
	v_cmp_ne_u32_e64 s[2:3], s2, v40
	v_mov_b32_e32 v49, 0x7f80
	s_and_saveexec_b64 s[22:23], s[2:3]
	s_cbranch_execz .LBB734_54
; %bb.53:
	v_and_b32_e32 v49, 7, v38
	v_ffbh_u32_e32 v50, v49
	v_min_u32_e32 v53, 32, v50
	v_subrev_u32_e32 v50, 28, v53
	v_lshlrev_b64 v[50:51], v50, v[38:39]
	v_and_b32_e32 v50, 7, v50
	v_cmp_gt_u32_e64 s[2:3], 8, v40
	v_lshrrev_b32_e32 v52, 3, v40
	v_sub_u32_e32 v38, 29, v53
	v_cndmask_b32_e64 v40, v49, v50, s[2:3]
	v_mov_b32_e32 v49, 24
	v_cndmask_b32_e64 v38, v52, v38, s[2:3]
	v_lshlrev_b32_sdwa v49, v49, v35 dst_sel:DWORD dst_unused:UNUSED_PAD src0_sel:DWORD src1_sel:WORD_1
	v_bfrev_b32_e32 v50, 60
	v_lshlrev_b32_e32 v40, 20, v40
	v_and_b32_e32 v49, 0x80000000, v49
	v_lshl_add_u32 v38, v38, 23, v50
	v_or3_b32 v38, v49, v38, v40
	v_lshrrev_b32_e32 v49, 16, v38
.LBB734_54:
	s_or_b64 exec, exec, s[22:23]
.LBB734_55:
	s_or_b64 exec, exec, s[20:21]
.LBB734_56:
	s_or_b64 exec, exec, s[10:11]
	s_mov_b32 s2, -1
	s_mov_b32 s3, 0xffffff
	v_cmp_lt_u64_e64 s[2:3], s[2:3], v[34:35]
	v_mov_b32_e32 v40, 0
	v_mov_b32_e32 v38, 0
	s_and_saveexec_b64 s[10:11], s[2:3]
	s_cbranch_execz .LBB734_62
; %bb.57:
	v_lshrrev_b32_e32 v34, 24, v35
	s_movk_i32 s2, 0x80
	v_cmp_ne_u32_e64 s[2:3], s2, v34
	v_mov_b32_e32 v38, 0xffff8000
	s_and_saveexec_b64 s[20:21], s[2:3]
	s_cbranch_execz .LBB734_61
; %bb.58:
	v_bfe_u32 v35, v35, 24, 7
	s_movk_i32 s2, 0x7f
	v_cmp_ne_u32_e64 s[2:3], s2, v35
	v_mov_b32_e32 v38, 0x7f80
	s_and_saveexec_b64 s[22:23], s[2:3]
	s_cbranch_execz .LBB734_60
; %bb.59:
	v_and_b32_e32 v38, 7, v34
	v_ffbh_u32_e32 v50, v38
	v_min_u32_e32 v53, 32, v50
	v_subrev_u32_e32 v50, 28, v53
	v_lshlrev_b64 v[50:51], v50, v[34:35]
	v_lshrrev_b32_e32 v52, 3, v35
	v_sub_u32_e32 v51, 29, v53
	v_and_b32_e32 v50, 7, v50
	v_cmp_gt_u32_e64 s[2:3], 8, v35
	v_cndmask_b32_e64 v35, v52, v51, s[2:3]
	v_cndmask_b32_e64 v38, v38, v50, s[2:3]
	v_lshlrev_b32_e32 v34, 24, v34
	v_bfrev_b32_e32 v50, 60
	v_lshlrev_b32_e32 v38, 20, v38
	v_and_b32_e32 v34, 0x80000000, v34
	v_lshl_add_u32 v35, v35, 23, v50
	v_or3_b32 v34, v34, v35, v38
	v_lshrrev_b32_e32 v38, 16, v34
.LBB734_60:
	s_or_b64 exec, exec, s[22:23]
.LBB734_61:
	s_or_b64 exec, exec, s[20:21]
.LBB734_62:
	s_or_b64 exec, exec, s[10:11]
	s_mov_b32 s2, 0x5040100
	v_perm_b32 v35, v47, v46, s2
	v_perm_b32 v34, v45, v39, s2
	;; [unrolled: 1-line block ×4, first 2 shown]
	v_mfma_f32_4x4x4bf16_1k a[0:3], v[18:19], v[34:35], 0 cbsz:4
	v_cmp_ne_u16_sdwa s[2:3], v36, v40 src0_sel:BYTE_0 src1_sel:DWORD
	v_mfma_f32_4x4x4bf16_1k a[0:3], v[20:21], v[38:39], a[0:3] cbsz:4
	s_and_saveexec_b64 s[10:11], s[2:3]
	s_cbranch_execz .LBB734_68
; %bb.63:
	s_movk_i32 s2, 0x80
	v_cmp_ne_u16_sdwa s[2:3], v36, s2 src0_sel:BYTE_0 src1_sel:DWORD
	v_mov_b32_e32 v40, 0xffff8000
	s_and_saveexec_b64 s[20:21], s[2:3]
	s_cbranch_execz .LBB734_67
; %bb.64:
	s_movk_i32 s2, 0x7f
	v_and_b32_e32 v34, 0x7f, v36
	v_cmp_ne_u32_e64 s[2:3], s2, v34
	v_mov_b32_e32 v40, 0x7f80
	s_and_saveexec_b64 s[22:23], s[2:3]
	s_cbranch_execz .LBB734_66
; %bb.65:
	v_and_b32_e32 v35, 7, v36
	v_ffbh_u32_e32 v35, v35
	v_min_u32_e32 v35, 32, v35
	v_subrev_u32_e32 v39, 28, v35
	v_cmp_gt_u32_e64 s[2:3], 8, v34
	v_lshrrev_b32_e32 v38, 3, v34
	v_sub_u32_e32 v35, 29, v35
	v_cndmask_b32_e64 v34, 0, v39, s[2:3]
	v_cndmask_b32_e64 v38, v38, v35, s[2:3]
	v_lshlrev_b64 v[34:35], v34, v[36:37]
	v_lshlrev_b32_e32 v34, 20, v34
	v_lshlrev_b32_e32 v35, 24, v36
	v_bfrev_b32_e32 v39, 60
	v_and_b32_e32 v34, 0x700000, v34
	v_and_b32_e32 v35, 0x80000000, v35
	v_lshl_add_u32 v38, v38, 23, v39
	v_or3_b32 v34, v35, v38, v34
	v_lshrrev_b32_e32 v40, 16, v34
.LBB734_66:
	s_or_b64 exec, exec, s[22:23]
.LBB734_67:
	s_or_b64 exec, exec, s[20:21]
.LBB734_68:
	s_or_b64 exec, exec, s[10:11]
	v_lshrrev_b16_e32 v34, 8, v36
	v_cmp_ne_u16_e64 s[2:3], 0, v34
	v_mov_b32_e32 v41, 0
	v_mov_b32_e32 v39, 0
	s_and_saveexec_b64 s[10:11], s[2:3]
	s_cbranch_execz .LBB734_74
; %bb.69:
	s_movk_i32 s2, 0x80
	v_cmp_ne_u16_e64 s[2:3], s2, v34
	v_mov_b32_e32 v39, 0xffff8000
	s_and_saveexec_b64 s[20:21], s[2:3]
	s_cbranch_execz .LBB734_73
; %bb.70:
	s_movk_i32 s2, 0x7f
	v_and_b32_e32 v35, 0x7f, v34
	v_cmp_ne_u32_e64 s[2:3], s2, v35
	v_mov_b32_e32 v39, 0x7f80
	s_and_saveexec_b64 s[22:23], s[2:3]
	s_cbranch_execz .LBB734_72
; %bb.71:
	v_and_b32_e32 v45, 7, v34
	v_ffbh_u32_e32 v38, v45
	v_min_u32_e32 v47, 32, v38
	v_subrev_u32_e32 v38, 28, v47
	v_lshlrev_b64 v[38:39], v38, v[34:35]
	v_lshrrev_b32_e32 v46, 3, v35
	v_sub_u32_e32 v34, 29, v47
	v_and_b32_e32 v38, 7, v38
	v_cmp_gt_u32_e64 s[2:3], 8, v35
	v_cndmask_b32_e64 v34, v46, v34, s[2:3]
	v_cndmask_b32_e64 v35, v45, v38, s[2:3]
	v_lshlrev_b32_e32 v38, 16, v36
	v_bfrev_b32_e32 v39, 60
	v_lshlrev_b32_e32 v35, 20, v35
	v_and_b32_e32 v38, 0x80000000, v38
	v_lshl_add_u32 v34, v34, 23, v39
	v_or3_b32 v34, v38, v34, v35
	v_lshrrev_b32_e32 v39, 16, v34
.LBB734_72:
	s_or_b64 exec, exec, s[22:23]
.LBB734_73:
	s_or_b64 exec, exec, s[20:21]
.LBB734_74:
	s_or_b64 exec, exec, s[10:11]
	s_movk_i32 s2, 0xff
	v_and_b32_sdwa v35, v36, s2 dst_sel:DWORD dst_unused:UNUSED_PAD src0_sel:WORD_1 src1_sel:DWORD
	v_lshrrev_b32_e32 v34, 16, v36
	v_cmp_ne_u16_e64 s[2:3], 0, v35
	s_and_saveexec_b64 s[10:11], s[2:3]
	s_cbranch_execz .LBB734_80
; %bb.75:
	s_movk_i32 s2, 0x80
	v_cmp_ne_u16_e64 s[2:3], s2, v35
	v_mov_b32_e32 v41, 0xffff8000
	s_and_saveexec_b64 s[20:21], s[2:3]
	s_cbranch_execz .LBB734_79
; %bb.76:
	v_bfe_u32 v35, v36, 16, 7
	s_movk_i32 s2, 0x7f
	v_cmp_ne_u32_e64 s[2:3], s2, v35
	v_mov_b32_e32 v41, 0x7f80
	s_and_saveexec_b64 s[22:23], s[2:3]
	s_cbranch_execz .LBB734_78
; %bb.77:
	v_and_b32_e32 v38, 7, v34
	v_ffbh_u32_e32 v45, v38
	v_min_u32_e32 v45, 32, v45
	v_subrev_u32_e32 v46, 28, v45
	v_lshlrev_b64 v[46:47], v46, v[34:35]
	v_sub_u32_e32 v34, 29, v45
	v_and_b32_e32 v45, 7, v46
	v_cmp_gt_u32_e64 s[2:3], 8, v35
	v_lshrrev_b32_e32 v41, 3, v35
	v_cndmask_b32_e64 v35, v38, v45, s[2:3]
	v_mov_b32_e32 v38, 24
	v_cndmask_b32_e64 v34, v41, v34, s[2:3]
	v_lshlrev_b32_sdwa v38, v38, v36 dst_sel:DWORD dst_unused:UNUSED_PAD src0_sel:DWORD src1_sel:WORD_1
	v_bfrev_b32_e32 v41, 60
	v_lshlrev_b32_e32 v35, 20, v35
	v_and_b32_e32 v38, 0x80000000, v38
	v_lshl_add_u32 v34, v34, 23, v41
	v_or3_b32 v34, v38, v34, v35
	v_lshrrev_b32_e32 v41, 16, v34
.LBB734_78:
	s_or_b64 exec, exec, s[22:23]
.LBB734_79:
	s_or_b64 exec, exec, s[20:21]
.LBB734_80:
	s_or_b64 exec, exec, s[10:11]
	s_mov_b32 s2, 0xffffff
	v_cmp_lt_u32_e64 s[2:3], s2, v36
	v_mov_b32_e32 v35, 0
	v_mov_b32_e32 v45, 0
	s_and_saveexec_b64 s[10:11], s[2:3]
	s_cbranch_execz .LBB734_86
; %bb.81:
	v_lshrrev_b32_e32 v34, 24, v36
	s_movk_i32 s2, 0x80
	v_cmp_ne_u32_e64 s[2:3], s2, v34
	v_mov_b32_e32 v45, 0xffff8000
	s_and_saveexec_b64 s[20:21], s[2:3]
	s_cbranch_execz .LBB734_85
; %bb.82:
	v_bfe_u32 v38, v36, 24, 7
	s_movk_i32 s2, 0x7f
	v_cmp_ne_u32_e64 s[2:3], s2, v38
	v_mov_b32_e32 v45, 0x7f80
	s_and_saveexec_b64 s[22:23], s[2:3]
	s_cbranch_execz .LBB734_84
; %bb.83:
	v_and_b32_e32 v45, 7, v34
	v_ffbh_u32_e32 v46, v45
	v_min_u32_e32 v49, 32, v46
	v_subrev_u32_e32 v46, 28, v49
	v_lshlrev_b64 v[46:47], v46, v[34:35]
	v_lshrrev_b32_e32 v48, 3, v38
	v_sub_u32_e32 v47, 29, v49
	v_and_b32_e32 v46, 7, v46
	v_cmp_gt_u32_e64 s[2:3], 8, v38
	v_cndmask_b32_e64 v38, v48, v47, s[2:3]
	v_cndmask_b32_e64 v45, v45, v46, s[2:3]
	v_lshlrev_b32_e32 v34, 24, v34
	v_bfrev_b32_e32 v46, 60
	v_lshlrev_b32_e32 v45, 20, v45
	v_and_b32_e32 v34, 0x80000000, v34
	v_lshl_add_u32 v38, v38, 23, v46
	v_or3_b32 v34, v34, v38, v45
	v_lshrrev_b32_e32 v45, 16, v34
.LBB734_84:
	s_or_b64 exec, exec, s[22:23]
.LBB734_85:
	s_or_b64 exec, exec, s[20:21]
.LBB734_86:
	s_or_b64 exec, exec, s[10:11]
	v_mov_b32_e32 v34, v37
	v_cmp_ne_u16_sdwa s[2:3], v37, v35 src0_sel:BYTE_0 src1_sel:DWORD
	s_and_saveexec_b64 s[10:11], s[2:3]
	s_cbranch_execz .LBB734_92
; %bb.87:
	s_movk_i32 s2, 0x80
	v_cmp_ne_u16_sdwa s[2:3], v37, s2 src0_sel:BYTE_0 src1_sel:DWORD
	v_mov_b32_e32 v38, 0xffff8000
	s_and_saveexec_b64 s[20:21], s[2:3]
	s_cbranch_execz .LBB734_91
; %bb.88:
	s_movk_i32 s2, 0x7f
	v_and_b32_e32 v46, 0x7f, v37
	v_cmp_ne_u32_e64 s[2:3], s2, v46
	v_mov_b32_e32 v38, 0x7f80
	s_and_saveexec_b64 s[22:23], s[2:3]
	s_cbranch_execz .LBB734_90
; %bb.89:
	v_and_b32_e32 v38, 7, v37
	v_ffbh_u32_e32 v38, v38
	v_min_u32_e32 v38, 32, v38
	v_subrev_u32_e32 v48, 28, v38
	v_cmp_gt_u32_e64 s[2:3], 8, v46
	v_lshrrev_b32_e32 v47, 3, v46
	v_sub_u32_e32 v38, 29, v38
	v_cndmask_b32_e64 v46, 0, v48, s[2:3]
	v_cndmask_b32_e64 v38, v47, v38, s[2:3]
	v_lshlrev_b64 v[46:47], v46, v[34:35]
	v_lshlrev_b32_e32 v35, 20, v46
	v_lshlrev_b32_e32 v46, 24, v34
	v_bfrev_b32_e32 v47, 60
	v_and_b32_e32 v35, 0x700000, v35
	v_and_b32_e32 v46, 0x80000000, v46
	v_lshl_add_u32 v38, v38, 23, v47
	v_or3_b32 v35, v46, v38, v35
	v_lshrrev_b32_e32 v38, 16, v35
.LBB734_90:
	s_or_b64 exec, exec, s[22:23]
.LBB734_91:
	s_or_b64 exec, exec, s[20:21]
	v_mov_b32_e32 v35, v38
.LBB734_92:
	s_or_b64 exec, exec, s[10:11]
	v_lshrrev_b16_e32 v38, 8, v34
	v_cmp_ne_u16_e64 s[2:3], 0, v38
	v_mov_b32_e32 v47, 0
	v_mov_b32_e32 v46, 0
	s_and_saveexec_b64 s[10:11], s[2:3]
	s_cbranch_execz .LBB734_98
; %bb.93:
	s_movk_i32 s2, 0x80
	v_cmp_ne_u16_e64 s[2:3], s2, v38
	v_mov_b32_e32 v46, 0xffff8000
	s_and_saveexec_b64 s[20:21], s[2:3]
	s_cbranch_execz .LBB734_97
; %bb.94:
	s_movk_i32 s2, 0x7f
	v_and_b32_e32 v48, 0x7f, v38
	v_cmp_ne_u32_e64 s[2:3], s2, v48
	v_mov_b32_e32 v46, 0x7f80
	s_and_saveexec_b64 s[22:23], s[2:3]
	s_cbranch_execz .LBB734_96
; %bb.95:
	v_and_b32_e32 v46, 7, v38
	v_ffbh_u32_e32 v50, v46
	v_min_u32_e32 v52, 32, v50
	v_subrev_u32_e32 v50, 28, v52
	v_lshlrev_b64 v[50:51], v50, v[38:39]
	v_lshrrev_b32_e32 v49, 3, v48
	v_sub_u32_e32 v38, 29, v52
	v_and_b32_e32 v50, 7, v50
	v_cmp_gt_u32_e64 s[2:3], 8, v48
	v_cndmask_b32_e64 v38, v49, v38, s[2:3]
	v_cndmask_b32_e64 v46, v46, v50, s[2:3]
	v_lshlrev_b32_e32 v34, 16, v34
	v_bfrev_b32_e32 v48, 60
	v_lshlrev_b32_e32 v46, 20, v46
	v_and_b32_e32 v34, 0x80000000, v34
	v_lshl_add_u32 v38, v38, 23, v48
	v_or3_b32 v34, v34, v38, v46
	v_lshrrev_b32_e32 v46, 16, v34
.LBB734_96:
	s_or_b64 exec, exec, s[22:23]
.LBB734_97:
	s_or_b64 exec, exec, s[20:21]
.LBB734_98:
	s_or_b64 exec, exec, s[10:11]
	s_movk_i32 s2, 0xff
	v_and_b32_sdwa v38, v37, s2 dst_sel:DWORD dst_unused:UNUSED_PAD src0_sel:WORD_1 src1_sel:DWORD
	v_lshrrev_b32_e32 v34, 16, v37
	v_cmp_ne_u16_e64 s[2:3], 0, v38
	s_and_saveexec_b64 s[10:11], s[2:3]
	s_cbranch_execz .LBB734_104
; %bb.99:
	s_movk_i32 s2, 0x80
	v_cmp_ne_u16_e64 s[2:3], s2, v38
	v_mov_b32_e32 v47, 0xffff8000
	s_and_saveexec_b64 s[20:21], s[2:3]
	s_cbranch_execz .LBB734_103
; %bb.100:
	v_bfe_u32 v38, v37, 16, 7
	s_movk_i32 s2, 0x7f
	v_cmp_ne_u32_e64 s[2:3], s2, v38
	v_mov_b32_e32 v47, 0x7f80
	s_and_saveexec_b64 s[22:23], s[2:3]
	s_cbranch_execz .LBB734_102
; %bb.101:
	v_and_b32_e32 v47, 7, v34
	v_ffbh_u32_e32 v48, v47
	v_min_u32_e32 v51, 32, v48
	v_subrev_u32_e32 v48, 28, v51
	v_lshlrev_b64 v[48:49], v48, v[34:35]
	v_and_b32_e32 v48, 7, v48
	v_cmp_gt_u32_e64 s[2:3], 8, v38
	v_lshrrev_b32_e32 v50, 3, v38
	v_sub_u32_e32 v34, 29, v51
	v_cndmask_b32_e64 v38, v47, v48, s[2:3]
	v_mov_b32_e32 v47, 24
	v_cndmask_b32_e64 v34, v50, v34, s[2:3]
	v_lshlrev_b32_sdwa v47, v47, v37 dst_sel:DWORD dst_unused:UNUSED_PAD src0_sel:DWORD src1_sel:WORD_1
	v_bfrev_b32_e32 v48, 60
	v_lshlrev_b32_e32 v38, 20, v38
	v_and_b32_e32 v47, 0x80000000, v47
	v_lshl_add_u32 v34, v34, 23, v48
	v_or3_b32 v34, v47, v34, v38
	v_lshrrev_b32_e32 v47, 16, v34
.LBB734_102:
	s_or_b64 exec, exec, s[22:23]
.LBB734_103:
	s_or_b64 exec, exec, s[20:21]
.LBB734_104:
	s_or_b64 exec, exec, s[10:11]
	s_mov_b32 s2, -1
	s_mov_b32 s3, 0xffffff
	v_cmp_lt_u64_e64 s[2:3], s[2:3], v[36:37]
	v_mov_b32_e32 v38, 0
	v_mov_b32_e32 v36, 0
	s_and_saveexec_b64 s[10:11], s[2:3]
	s_cbranch_execz .LBB734_110
; %bb.105:
	v_lshrrev_b32_e32 v34, 24, v37
	s_movk_i32 s2, 0x80
	v_cmp_ne_u32_e64 s[2:3], s2, v34
	v_mov_b32_e32 v36, 0xffff8000
	s_and_saveexec_b64 s[20:21], s[2:3]
	s_cbranch_execz .LBB734_109
; %bb.106:
	v_bfe_u32 v37, v37, 24, 7
	s_movk_i32 s2, 0x7f
	v_cmp_ne_u32_e64 s[2:3], s2, v37
	v_mov_b32_e32 v36, 0x7f80
	s_and_saveexec_b64 s[22:23], s[2:3]
	s_cbranch_execz .LBB734_108
; %bb.107:
	v_and_b32_e32 v36, 7, v34
	v_ffbh_u32_e32 v48, v36
	v_min_u32_e32 v51, 32, v48
	v_subrev_u32_e32 v48, 28, v51
	v_lshlrev_b64 v[48:49], v48, v[34:35]
	v_lshrrev_b32_e32 v50, 3, v37
	v_sub_u32_e32 v49, 29, v51
	v_and_b32_e32 v48, 7, v48
	v_cmp_gt_u32_e64 s[2:3], 8, v37
	v_cndmask_b32_e64 v37, v50, v49, s[2:3]
	v_cndmask_b32_e64 v36, v36, v48, s[2:3]
	v_lshlrev_b32_e32 v34, 24, v34
	v_bfrev_b32_e32 v48, 60
	v_lshlrev_b32_e32 v36, 20, v36
	v_and_b32_e32 v34, 0x80000000, v34
	v_lshl_add_u32 v37, v37, 23, v48
	v_or3_b32 v34, v34, v37, v36
	v_lshrrev_b32_e32 v36, 16, v34
.LBB734_108:
	s_or_b64 exec, exec, s[22:23]
.LBB734_109:
	s_or_b64 exec, exec, s[20:21]
.LBB734_110:
	s_or_b64 exec, exec, s[10:11]
	s_mov_b32 s2, 0x5040100
	v_perm_b32 v41, v45, v41, s2
	v_perm_b32 v40, v39, v40, s2
	;; [unrolled: 1-line block ×4, first 2 shown]
	v_mfma_f32_4x4x4bf16_1k a[0:3], v[18:19], v[40:41], a[0:3] cbsz:4 abid:1
	s_waitcnt vmcnt(6)
	v_cmp_ne_u16_sdwa s[2:3], v30, v38 src0_sel:BYTE_0 src1_sel:DWORD
	v_mfma_f32_4x4x4bf16_1k a[0:3], v[20:21], v[36:37], a[0:3] cbsz:4 abid:1
	s_and_saveexec_b64 s[10:11], s[2:3]
	s_cbranch_execz .LBB734_116
; %bb.111:
	s_movk_i32 s2, 0x80
	v_cmp_ne_u16_sdwa s[2:3], v30, s2 src0_sel:BYTE_0 src1_sel:DWORD
	v_mov_b32_e32 v38, 0xffff8000
	s_and_saveexec_b64 s[20:21], s[2:3]
	s_cbranch_execz .LBB734_115
; %bb.112:
	s_movk_i32 s2, 0x7f
	v_and_b32_e32 v34, 0x7f, v30
	v_cmp_ne_u32_e64 s[2:3], s2, v34
	v_mov_b32_e32 v38, 0x7f80
	s_and_saveexec_b64 s[22:23], s[2:3]
	s_cbranch_execz .LBB734_114
; %bb.113:
	v_and_b32_e32 v35, 7, v30
	v_ffbh_u32_e32 v35, v35
	v_min_u32_e32 v35, 32, v35
	v_subrev_u32_e32 v37, 28, v35
	v_cmp_gt_u32_e64 s[2:3], 8, v34
	v_lshrrev_b32_e32 v36, 3, v34
	v_sub_u32_e32 v35, 29, v35
	v_cndmask_b32_e64 v34, 0, v37, s[2:3]
	v_cndmask_b32_e64 v36, v36, v35, s[2:3]
	v_lshlrev_b64 v[34:35], v34, v[30:31]
	v_lshlrev_b32_e32 v34, 20, v34
	v_lshlrev_b32_e32 v35, 24, v30
	v_bfrev_b32_e32 v37, 60
	v_and_b32_e32 v34, 0x700000, v34
	v_and_b32_e32 v35, 0x80000000, v35
	v_lshl_add_u32 v36, v36, 23, v37
	v_or3_b32 v34, v35, v36, v34
	v_lshrrev_b32_e32 v38, 16, v34
.LBB734_114:
	s_or_b64 exec, exec, s[22:23]
.LBB734_115:
	s_or_b64 exec, exec, s[20:21]
.LBB734_116:
	s_or_b64 exec, exec, s[10:11]
	v_lshrrev_b16_e32 v34, 8, v30
	v_cmp_ne_u16_e64 s[2:3], 0, v34
	v_mov_b32_e32 v39, 0
	v_mov_b32_e32 v37, 0
	s_and_saveexec_b64 s[10:11], s[2:3]
	s_cbranch_execz .LBB734_122
; %bb.117:
	s_movk_i32 s2, 0x80
	v_cmp_ne_u16_e64 s[2:3], s2, v34
	v_mov_b32_e32 v37, 0xffff8000
	s_and_saveexec_b64 s[20:21], s[2:3]
	s_cbranch_execz .LBB734_121
; %bb.118:
	s_movk_i32 s2, 0x7f
	v_and_b32_e32 v35, 0x7f, v34
	v_cmp_ne_u32_e64 s[2:3], s2, v35
	v_mov_b32_e32 v37, 0x7f80
	s_and_saveexec_b64 s[22:23], s[2:3]
	s_cbranch_execz .LBB734_120
; %bb.119:
	v_and_b32_e32 v40, 7, v34
	v_ffbh_u32_e32 v36, v40
	v_min_u32_e32 v45, 32, v36
	v_subrev_u32_e32 v36, 28, v45
	v_lshlrev_b64 v[36:37], v36, v[34:35]
	v_lshrrev_b32_e32 v41, 3, v35
	v_sub_u32_e32 v34, 29, v45
	v_and_b32_e32 v36, 7, v36
	v_cmp_gt_u32_e64 s[2:3], 8, v35
	v_cndmask_b32_e64 v34, v41, v34, s[2:3]
	v_cndmask_b32_e64 v35, v40, v36, s[2:3]
	v_lshlrev_b32_e32 v36, 16, v30
	v_bfrev_b32_e32 v37, 60
	v_lshlrev_b32_e32 v35, 20, v35
	v_and_b32_e32 v36, 0x80000000, v36
	v_lshl_add_u32 v34, v34, 23, v37
	v_or3_b32 v34, v36, v34, v35
	v_lshrrev_b32_e32 v37, 16, v34
.LBB734_120:
	s_or_b64 exec, exec, s[22:23]
.LBB734_121:
	s_or_b64 exec, exec, s[20:21]
.LBB734_122:
	s_or_b64 exec, exec, s[10:11]
	s_movk_i32 s2, 0xff
	v_and_b32_sdwa v35, v30, s2 dst_sel:DWORD dst_unused:UNUSED_PAD src0_sel:WORD_1 src1_sel:DWORD
	v_lshrrev_b32_e32 v34, 16, v30
	v_cmp_ne_u16_e64 s[2:3], 0, v35
	s_and_saveexec_b64 s[10:11], s[2:3]
	s_cbranch_execz .LBB734_128
; %bb.123:
	s_movk_i32 s2, 0x80
	v_cmp_ne_u16_e64 s[2:3], s2, v35
	v_mov_b32_e32 v39, 0xffff8000
	s_and_saveexec_b64 s[20:21], s[2:3]
	s_cbranch_execz .LBB734_127
; %bb.124:
	v_bfe_u32 v35, v30, 16, 7
	s_movk_i32 s2, 0x7f
	v_cmp_ne_u32_e64 s[2:3], s2, v35
	v_mov_b32_e32 v39, 0x7f80
	s_and_saveexec_b64 s[22:23], s[2:3]
	s_cbranch_execz .LBB734_126
; %bb.125:
	v_and_b32_e32 v36, 7, v34
	v_ffbh_u32_e32 v40, v36
	v_min_u32_e32 v45, 32, v40
	v_subrev_u32_e32 v40, 28, v45
	v_lshlrev_b64 v[40:41], v40, v[34:35]
	v_and_b32_e32 v40, 7, v40
	v_cmp_gt_u32_e64 s[2:3], 8, v35
	v_lshrrev_b32_e32 v39, 3, v35
	v_sub_u32_e32 v34, 29, v45
	v_cndmask_b32_e64 v35, v36, v40, s[2:3]
	v_mov_b32_e32 v36, 24
	v_cndmask_b32_e64 v34, v39, v34, s[2:3]
	v_lshlrev_b32_sdwa v36, v36, v30 dst_sel:DWORD dst_unused:UNUSED_PAD src0_sel:DWORD src1_sel:WORD_1
	v_bfrev_b32_e32 v39, 60
	v_lshlrev_b32_e32 v35, 20, v35
	v_and_b32_e32 v36, 0x80000000, v36
	v_lshl_add_u32 v34, v34, 23, v39
	v_or3_b32 v34, v36, v34, v35
	v_lshrrev_b32_e32 v39, 16, v34
.LBB734_126:
	s_or_b64 exec, exec, s[22:23]
.LBB734_127:
	s_or_b64 exec, exec, s[20:21]
.LBB734_128:
	s_or_b64 exec, exec, s[10:11]
	s_mov_b32 s2, 0xffffff
	v_cmp_lt_u32_e64 s[2:3], s2, v30
	v_mov_b32_e32 v35, 0
	v_mov_b32_e32 v40, 0
	s_and_saveexec_b64 s[10:11], s[2:3]
	s_cbranch_execz .LBB734_134
; %bb.129:
	v_lshrrev_b32_e32 v34, 24, v30
	s_movk_i32 s2, 0x80
	v_cmp_ne_u32_e64 s[2:3], s2, v34
	v_mov_b32_e32 v40, 0xffff8000
	s_and_saveexec_b64 s[20:21], s[2:3]
	s_cbranch_execz .LBB734_133
; %bb.130:
	v_bfe_u32 v36, v30, 24, 7
	s_movk_i32 s2, 0x7f
	v_cmp_ne_u32_e64 s[2:3], s2, v36
	v_mov_b32_e32 v40, 0x7f80
	s_and_saveexec_b64 s[22:23], s[2:3]
	s_cbranch_execz .LBB734_132
; %bb.131:
	v_and_b32_e32 v45, 7, v34
	v_ffbh_u32_e32 v40, v45
	v_min_u32_e32 v47, 32, v40
	v_subrev_u32_e32 v40, 28, v47
	v_lshlrev_b64 v[40:41], v40, v[34:35]
	v_lshrrev_b32_e32 v46, 3, v36
	v_sub_u32_e32 v41, 29, v47
	v_and_b32_e32 v40, 7, v40
	v_cmp_gt_u32_e64 s[2:3], 8, v36
	v_cndmask_b32_e64 v36, v46, v41, s[2:3]
	v_cndmask_b32_e64 v40, v45, v40, s[2:3]
	v_lshlrev_b32_e32 v34, 24, v34
	v_bfrev_b32_e32 v41, 60
	v_lshlrev_b32_e32 v40, 20, v40
	v_and_b32_e32 v34, 0x80000000, v34
	v_lshl_add_u32 v36, v36, 23, v41
	v_or3_b32 v34, v34, v36, v40
	v_lshrrev_b32_e32 v40, 16, v34
.LBB734_132:
	s_or_b64 exec, exec, s[22:23]
.LBB734_133:
	s_or_b64 exec, exec, s[20:21]
.LBB734_134:
	s_or_b64 exec, exec, s[10:11]
	v_mov_b32_e32 v34, v31
	v_cmp_ne_u16_sdwa s[2:3], v31, v35 src0_sel:BYTE_0 src1_sel:DWORD
	s_and_saveexec_b64 s[10:11], s[2:3]
	s_cbranch_execz .LBB734_140
; %bb.135:
	s_movk_i32 s2, 0x80
	v_cmp_ne_u16_sdwa s[2:3], v31, s2 src0_sel:BYTE_0 src1_sel:DWORD
	v_mov_b32_e32 v36, 0xffff8000
	s_and_saveexec_b64 s[20:21], s[2:3]
	s_cbranch_execz .LBB734_139
; %bb.136:
	s_movk_i32 s2, 0x7f
	v_and_b32_e32 v41, 0x7f, v31
	v_cmp_ne_u32_e64 s[2:3], s2, v41
	v_mov_b32_e32 v36, 0x7f80
	s_and_saveexec_b64 s[22:23], s[2:3]
	s_cbranch_execz .LBB734_138
; %bb.137:
	v_and_b32_e32 v36, 7, v31
	v_ffbh_u32_e32 v36, v36
	v_min_u32_e32 v36, 32, v36
	v_subrev_u32_e32 v46, 28, v36
	v_cmp_gt_u32_e64 s[2:3], 8, v41
	v_lshrrev_b32_e32 v45, 3, v41
	v_cndmask_b32_e64 v41, 0, v46, s[2:3]
	v_sub_u32_e32 v36, 29, v36
	v_lshlrev_b64 v[46:47], v41, v[34:35]
	v_cndmask_b32_e64 v36, v45, v36, s[2:3]
	v_lshlrev_b32_e32 v35, 20, v46
	v_lshlrev_b32_e32 v41, 24, v34
	v_bfrev_b32_e32 v45, 60
	v_and_b32_e32 v35, 0x700000, v35
	v_and_b32_e32 v41, 0x80000000, v41
	v_lshl_add_u32 v36, v36, 23, v45
	v_or3_b32 v35, v41, v36, v35
	v_lshrrev_b32_e32 v36, 16, v35
.LBB734_138:
	s_or_b64 exec, exec, s[22:23]
.LBB734_139:
	s_or_b64 exec, exec, s[20:21]
	v_mov_b32_e32 v35, v36
.LBB734_140:
	s_or_b64 exec, exec, s[10:11]
	v_lshrrev_b16_e32 v36, 8, v34
	v_cmp_ne_u16_e64 s[2:3], 0, v36
	v_mov_b32_e32 v45, 0
	v_mov_b32_e32 v41, 0
	s_and_saveexec_b64 s[10:11], s[2:3]
	s_cbranch_execz .LBB734_146
; %bb.141:
	s_movk_i32 s2, 0x80
	v_cmp_ne_u16_e64 s[2:3], s2, v36
	v_mov_b32_e32 v41, 0xffff8000
	s_and_saveexec_b64 s[20:21], s[2:3]
	s_cbranch_execz .LBB734_145
; %bb.142:
	s_movk_i32 s2, 0x7f
	v_and_b32_e32 v46, 0x7f, v36
	v_cmp_ne_u32_e64 s[2:3], s2, v46
	v_mov_b32_e32 v41, 0x7f80
	s_and_saveexec_b64 s[22:23], s[2:3]
	s_cbranch_execz .LBB734_144
; %bb.143:
	v_and_b32_e32 v41, 7, v36
	v_ffbh_u32_e32 v48, v41
	v_min_u32_e32 v50, 32, v48
	v_subrev_u32_e32 v48, 28, v50
	v_lshlrev_b64 v[48:49], v48, v[36:37]
	v_lshrrev_b32_e32 v47, 3, v46
	v_sub_u32_e32 v36, 29, v50
	v_and_b32_e32 v48, 7, v48
	v_cmp_gt_u32_e64 s[2:3], 8, v46
	v_cndmask_b32_e64 v36, v47, v36, s[2:3]
	v_cndmask_b32_e64 v41, v41, v48, s[2:3]
	v_lshlrev_b32_e32 v34, 16, v34
	v_bfrev_b32_e32 v46, 60
	v_lshlrev_b32_e32 v41, 20, v41
	v_and_b32_e32 v34, 0x80000000, v34
	v_lshl_add_u32 v36, v36, 23, v46
	v_or3_b32 v34, v34, v36, v41
	v_lshrrev_b32_e32 v41, 16, v34
.LBB734_144:
	s_or_b64 exec, exec, s[22:23]
.LBB734_145:
	s_or_b64 exec, exec, s[20:21]
.LBB734_146:
	s_or_b64 exec, exec, s[10:11]
	s_movk_i32 s2, 0xff
	v_and_b32_sdwa v36, v31, s2 dst_sel:DWORD dst_unused:UNUSED_PAD src0_sel:WORD_1 src1_sel:DWORD
	v_lshrrev_b32_e32 v34, 16, v31
	v_cmp_ne_u16_e64 s[2:3], 0, v36
	s_and_saveexec_b64 s[10:11], s[2:3]
	s_cbranch_execz .LBB734_152
; %bb.147:
	s_movk_i32 s2, 0x80
	v_cmp_ne_u16_e64 s[2:3], s2, v36
	v_mov_b32_e32 v45, 0xffff8000
	s_and_saveexec_b64 s[20:21], s[2:3]
	s_cbranch_execz .LBB734_151
; %bb.148:
	v_bfe_u32 v36, v31, 16, 7
	s_movk_i32 s2, 0x7f
	v_cmp_ne_u32_e64 s[2:3], s2, v36
	v_mov_b32_e32 v45, 0x7f80
	s_and_saveexec_b64 s[22:23], s[2:3]
	s_cbranch_execz .LBB734_150
; %bb.149:
	v_and_b32_e32 v45, 7, v34
	v_ffbh_u32_e32 v46, v45
	v_min_u32_e32 v49, 32, v46
	v_subrev_u32_e32 v46, 28, v49
	v_lshlrev_b64 v[46:47], v46, v[34:35]
	v_and_b32_e32 v46, 7, v46
	v_cmp_gt_u32_e64 s[2:3], 8, v36
	v_lshrrev_b32_e32 v48, 3, v36
	v_sub_u32_e32 v34, 29, v49
	v_cndmask_b32_e64 v36, v45, v46, s[2:3]
	v_mov_b32_e32 v45, 24
	v_cndmask_b32_e64 v34, v48, v34, s[2:3]
	v_lshlrev_b32_sdwa v45, v45, v31 dst_sel:DWORD dst_unused:UNUSED_PAD src0_sel:DWORD src1_sel:WORD_1
	v_bfrev_b32_e32 v46, 60
	v_lshlrev_b32_e32 v36, 20, v36
	v_and_b32_e32 v45, 0x80000000, v45
	v_lshl_add_u32 v34, v34, 23, v46
	v_or3_b32 v34, v45, v34, v36
	v_lshrrev_b32_e32 v45, 16, v34
.LBB734_150:
	s_or_b64 exec, exec, s[22:23]
.LBB734_151:
	s_or_b64 exec, exec, s[20:21]
.LBB734_152:
	s_or_b64 exec, exec, s[10:11]
	s_mov_b32 s2, -1
	s_mov_b32 s3, 0xffffff
	v_cmp_lt_u64_e64 s[2:3], s[2:3], v[30:31]
	v_mov_b32_e32 v36, 0
	v_mov_b32_e32 v34, 0
	s_and_saveexec_b64 s[10:11], s[2:3]
	s_cbranch_execz .LBB734_158
; %bb.153:
	v_lshrrev_b32_e32 v30, 24, v31
	s_movk_i32 s2, 0x80
	v_cmp_ne_u32_e64 s[2:3], s2, v30
	v_mov_b32_e32 v34, 0xffff8000
	s_and_saveexec_b64 s[20:21], s[2:3]
	s_cbranch_execz .LBB734_157
; %bb.154:
	v_bfe_u32 v31, v31, 24, 7
	s_movk_i32 s2, 0x7f
	v_cmp_ne_u32_e64 s[2:3], s2, v31
	v_mov_b32_e32 v34, 0x7f80
	s_and_saveexec_b64 s[22:23], s[2:3]
	s_cbranch_execz .LBB734_156
; %bb.155:
	v_and_b32_e32 v34, 7, v30
	v_ffbh_u32_e32 v46, v34
	v_min_u32_e32 v49, 32, v46
	v_subrev_u32_e32 v46, 28, v49
	v_lshlrev_b64 v[46:47], v46, v[30:31]
	v_lshrrev_b32_e32 v48, 3, v31
	v_sub_u32_e32 v47, 29, v49
	v_and_b32_e32 v46, 7, v46
	v_cmp_gt_u32_e64 s[2:3], 8, v31
	v_cndmask_b32_e64 v31, v48, v47, s[2:3]
	v_cndmask_b32_e64 v34, v34, v46, s[2:3]
	v_lshlrev_b32_e32 v30, 24, v30
	v_bfrev_b32_e32 v46, 60
	v_lshlrev_b32_e32 v34, 20, v34
	v_and_b32_e32 v30, 0x80000000, v30
	v_lshl_add_u32 v31, v31, 23, v46
	v_or3_b32 v30, v30, v31, v34
	v_lshrrev_b32_e32 v34, 16, v30
.LBB734_156:
	s_or_b64 exec, exec, s[22:23]
.LBB734_157:
	s_or_b64 exec, exec, s[20:21]
.LBB734_158:
	s_or_b64 exec, exec, s[10:11]
	s_mov_b32 s2, 0x5040100
	v_perm_b32 v31, v40, v39, s2
	v_perm_b32 v30, v37, v38, s2
	;; [unrolled: 1-line block ×4, first 2 shown]
	v_mfma_f32_4x4x4bf16_1k a[0:3], v[18:19], v[30:31], a[0:3] cbsz:4 abid:2
	v_cmp_ne_u16_sdwa s[2:3], v32, v36 src0_sel:BYTE_0 src1_sel:DWORD
	v_mfma_f32_4x4x4bf16_1k a[0:3], v[20:21], v[38:39], a[0:3] cbsz:4 abid:2
	s_and_saveexec_b64 s[10:11], s[2:3]
	s_cbranch_execz .LBB734_164
; %bb.159:
	s_movk_i32 s2, 0x80
	v_cmp_ne_u16_sdwa s[2:3], v32, s2 src0_sel:BYTE_0 src1_sel:DWORD
	v_mov_b32_e32 v36, 0xffff8000
	s_and_saveexec_b64 s[20:21], s[2:3]
	s_cbranch_execz .LBB734_163
; %bb.160:
	s_movk_i32 s2, 0x7f
	v_and_b32_e32 v30, 0x7f, v32
	v_cmp_ne_u32_e64 s[2:3], s2, v30
	v_mov_b32_e32 v36, 0x7f80
	s_and_saveexec_b64 s[22:23], s[2:3]
	s_cbranch_execz .LBB734_162
; %bb.161:
	v_and_b32_e32 v31, 7, v32
	v_ffbh_u32_e32 v31, v31
	v_min_u32_e32 v31, 32, v31
	v_subrev_u32_e32 v35, 28, v31
	v_cmp_gt_u32_e64 s[2:3], 8, v30
	v_lshrrev_b32_e32 v34, 3, v30
	v_sub_u32_e32 v31, 29, v31
	v_cndmask_b32_e64 v30, 0, v35, s[2:3]
	v_cndmask_b32_e64 v34, v34, v31, s[2:3]
	v_lshlrev_b64 v[30:31], v30, v[32:33]
	v_lshlrev_b32_e32 v30, 20, v30
	v_lshlrev_b32_e32 v31, 24, v32
	v_bfrev_b32_e32 v35, 60
	v_and_b32_e32 v30, 0x700000, v30
	v_and_b32_e32 v31, 0x80000000, v31
	v_lshl_add_u32 v34, v34, 23, v35
	v_or3_b32 v30, v31, v34, v30
	v_lshrrev_b32_e32 v36, 16, v30
.LBB734_162:
	s_or_b64 exec, exec, s[22:23]
.LBB734_163:
	s_or_b64 exec, exec, s[20:21]
.LBB734_164:
	s_or_b64 exec, exec, s[10:11]
	v_lshrrev_b16_e32 v30, 8, v32
	v_cmp_ne_u16_e64 s[2:3], 0, v30
	v_mov_b32_e32 v37, 0
	v_mov_b32_e32 v35, 0
	s_and_saveexec_b64 s[10:11], s[2:3]
	s_cbranch_execz .LBB734_170
; %bb.165:
	s_movk_i32 s2, 0x80
	v_cmp_ne_u16_e64 s[2:3], s2, v30
	v_mov_b32_e32 v35, 0xffff8000
	s_and_saveexec_b64 s[20:21], s[2:3]
	s_cbranch_execz .LBB734_169
; %bb.166:
	s_movk_i32 s2, 0x7f
	v_and_b32_e32 v31, 0x7f, v30
	v_cmp_ne_u32_e64 s[2:3], s2, v31
	v_mov_b32_e32 v35, 0x7f80
	s_and_saveexec_b64 s[22:23], s[2:3]
	s_cbranch_execz .LBB734_168
; %bb.167:
	v_and_b32_e32 v38, 7, v30
	v_ffbh_u32_e32 v34, v38
	v_min_u32_e32 v40, 32, v34
	v_subrev_u32_e32 v34, 28, v40
	v_lshlrev_b64 v[34:35], v34, v[30:31]
	v_lshrrev_b32_e32 v39, 3, v31
	v_sub_u32_e32 v30, 29, v40
	v_and_b32_e32 v34, 7, v34
	v_cmp_gt_u32_e64 s[2:3], 8, v31
	v_cndmask_b32_e64 v30, v39, v30, s[2:3]
	v_cndmask_b32_e64 v31, v38, v34, s[2:3]
	v_lshlrev_b32_e32 v34, 16, v32
	v_bfrev_b32_e32 v35, 60
	v_lshlrev_b32_e32 v31, 20, v31
	v_and_b32_e32 v34, 0x80000000, v34
	v_lshl_add_u32 v30, v30, 23, v35
	v_or3_b32 v30, v34, v30, v31
	v_lshrrev_b32_e32 v35, 16, v30
.LBB734_168:
	s_or_b64 exec, exec, s[22:23]
.LBB734_169:
	s_or_b64 exec, exec, s[20:21]
.LBB734_170:
	s_or_b64 exec, exec, s[10:11]
	s_movk_i32 s2, 0xff
	v_and_b32_sdwa v31, v32, s2 dst_sel:DWORD dst_unused:UNUSED_PAD src0_sel:WORD_1 src1_sel:DWORD
	v_lshrrev_b32_e32 v30, 16, v32
	v_cmp_ne_u16_e64 s[2:3], 0, v31
	s_and_saveexec_b64 s[10:11], s[2:3]
	s_cbranch_execz .LBB734_176
; %bb.171:
	s_movk_i32 s2, 0x80
	v_cmp_ne_u16_e64 s[2:3], s2, v31
	v_mov_b32_e32 v37, 0xffff8000
	s_and_saveexec_b64 s[20:21], s[2:3]
	s_cbranch_execz .LBB734_175
; %bb.172:
	v_bfe_u32 v31, v32, 16, 7
	s_movk_i32 s2, 0x7f
	v_cmp_ne_u32_e64 s[2:3], s2, v31
	v_mov_b32_e32 v37, 0x7f80
	s_and_saveexec_b64 s[22:23], s[2:3]
	s_cbranch_execz .LBB734_174
; %bb.173:
	v_and_b32_e32 v34, 7, v30
	v_ffbh_u32_e32 v38, v34
	v_min_u32_e32 v40, 32, v38
	v_subrev_u32_e32 v38, 28, v40
	v_lshlrev_b64 v[38:39], v38, v[30:31]
	v_and_b32_e32 v38, 7, v38
	v_cmp_gt_u32_e64 s[2:3], 8, v31
	v_lshrrev_b32_e32 v37, 3, v31
	v_sub_u32_e32 v30, 29, v40
	v_cndmask_b32_e64 v31, v34, v38, s[2:3]
	v_mov_b32_e32 v34, 24
	v_cndmask_b32_e64 v30, v37, v30, s[2:3]
	v_lshlrev_b32_sdwa v34, v34, v32 dst_sel:DWORD dst_unused:UNUSED_PAD src0_sel:DWORD src1_sel:WORD_1
	v_bfrev_b32_e32 v37, 60
	v_lshlrev_b32_e32 v31, 20, v31
	v_and_b32_e32 v34, 0x80000000, v34
	v_lshl_add_u32 v30, v30, 23, v37
	v_or3_b32 v30, v34, v30, v31
	v_lshrrev_b32_e32 v37, 16, v30
.LBB734_174:
	s_or_b64 exec, exec, s[22:23]
.LBB734_175:
	s_or_b64 exec, exec, s[20:21]
.LBB734_176:
	s_or_b64 exec, exec, s[10:11]
	s_mov_b32 s2, 0xffffff
	v_cmp_lt_u32_e64 s[2:3], s2, v32
	v_mov_b32_e32 v31, 0
	v_mov_b32_e32 v38, 0
	s_and_saveexec_b64 s[10:11], s[2:3]
	s_cbranch_execz .LBB734_182
; %bb.177:
	v_lshrrev_b32_e32 v30, 24, v32
	s_movk_i32 s2, 0x80
	v_cmp_ne_u32_e64 s[2:3], s2, v30
	v_mov_b32_e32 v38, 0xffff8000
	s_and_saveexec_b64 s[20:21], s[2:3]
	s_cbranch_execz .LBB734_181
; %bb.178:
	v_bfe_u32 v34, v32, 24, 7
	s_movk_i32 s2, 0x7f
	v_cmp_ne_u32_e64 s[2:3], s2, v34
	v_mov_b32_e32 v38, 0x7f80
	s_and_saveexec_b64 s[22:23], s[2:3]
	s_cbranch_execz .LBB734_180
; %bb.179:
	v_and_b32_e32 v40, 7, v30
	v_ffbh_u32_e32 v38, v40
	v_min_u32_e32 v45, 32, v38
	v_subrev_u32_e32 v38, 28, v45
	v_lshlrev_b64 v[38:39], v38, v[30:31]
	v_lshrrev_b32_e32 v41, 3, v34
	v_sub_u32_e32 v39, 29, v45
	v_and_b32_e32 v38, 7, v38
	v_cmp_gt_u32_e64 s[2:3], 8, v34
	v_cndmask_b32_e64 v34, v41, v39, s[2:3]
	v_cndmask_b32_e64 v38, v40, v38, s[2:3]
	v_lshlrev_b32_e32 v30, 24, v30
	v_bfrev_b32_e32 v39, 60
	v_lshlrev_b32_e32 v38, 20, v38
	v_and_b32_e32 v30, 0x80000000, v30
	v_lshl_add_u32 v34, v34, 23, v39
	v_or3_b32 v30, v30, v34, v38
	v_lshrrev_b32_e32 v38, 16, v30
.LBB734_180:
	s_or_b64 exec, exec, s[22:23]
.LBB734_181:
	s_or_b64 exec, exec, s[20:21]
.LBB734_182:
	s_or_b64 exec, exec, s[10:11]
	v_mov_b32_e32 v30, v33
	v_cmp_ne_u16_sdwa s[2:3], v33, v31 src0_sel:BYTE_0 src1_sel:DWORD
	s_and_saveexec_b64 s[10:11], s[2:3]
	s_cbranch_execz .LBB734_188
; %bb.183:
	s_movk_i32 s2, 0x80
	v_cmp_ne_u16_sdwa s[2:3], v33, s2 src0_sel:BYTE_0 src1_sel:DWORD
	v_mov_b32_e32 v34, 0xffff8000
	s_and_saveexec_b64 s[20:21], s[2:3]
	s_cbranch_execz .LBB734_187
; %bb.184:
	s_movk_i32 s2, 0x7f
	v_and_b32_e32 v39, 0x7f, v33
	v_cmp_ne_u32_e64 s[2:3], s2, v39
	v_mov_b32_e32 v34, 0x7f80
	s_and_saveexec_b64 s[22:23], s[2:3]
	s_cbranch_execz .LBB734_186
; %bb.185:
	v_and_b32_e32 v34, 7, v33
	v_ffbh_u32_e32 v34, v34
	v_min_u32_e32 v34, 32, v34
	v_subrev_u32_e32 v41, 28, v34
	v_cmp_gt_u32_e64 s[2:3], 8, v39
	v_lshrrev_b32_e32 v40, 3, v39
	v_sub_u32_e32 v34, 29, v34
	v_cndmask_b32_e64 v39, 0, v41, s[2:3]
	v_cndmask_b32_e64 v34, v40, v34, s[2:3]
	v_lshlrev_b64 v[40:41], v39, v[30:31]
	v_lshlrev_b32_e32 v31, 20, v40
	v_lshlrev_b32_e32 v39, 24, v30
	v_bfrev_b32_e32 v40, 60
	v_and_b32_e32 v31, 0x700000, v31
	v_and_b32_e32 v39, 0x80000000, v39
	v_lshl_add_u32 v34, v34, 23, v40
	v_or3_b32 v31, v39, v34, v31
	v_lshrrev_b32_e32 v34, 16, v31
.LBB734_186:
	s_or_b64 exec, exec, s[22:23]
.LBB734_187:
	s_or_b64 exec, exec, s[20:21]
	v_mov_b32_e32 v31, v34
.LBB734_188:
	s_or_b64 exec, exec, s[10:11]
	v_lshrrev_b16_e32 v34, 8, v30
	v_cmp_ne_u16_e64 s[2:3], 0, v34
	v_mov_b32_e32 v40, 0
	v_mov_b32_e32 v39, 0
	s_and_saveexec_b64 s[10:11], s[2:3]
	s_cbranch_execz .LBB734_194
; %bb.189:
	s_movk_i32 s2, 0x80
	v_cmp_ne_u16_e64 s[2:3], s2, v34
	v_mov_b32_e32 v39, 0xffff8000
	s_and_saveexec_b64 s[20:21], s[2:3]
	s_cbranch_execz .LBB734_193
; %bb.190:
	s_movk_i32 s2, 0x7f
	v_and_b32_e32 v41, 0x7f, v34
	v_cmp_ne_u32_e64 s[2:3], s2, v41
	v_mov_b32_e32 v39, 0x7f80
	s_and_saveexec_b64 s[22:23], s[2:3]
	s_cbranch_execz .LBB734_192
; %bb.191:
	v_and_b32_e32 v39, 7, v34
	v_ffbh_u32_e32 v46, v39
	v_min_u32_e32 v48, 32, v46
	v_subrev_u32_e32 v46, 28, v48
	v_lshlrev_b64 v[46:47], v46, v[34:35]
	v_lshrrev_b32_e32 v45, 3, v41
	v_sub_u32_e32 v34, 29, v48
	v_and_b32_e32 v46, 7, v46
	v_cmp_gt_u32_e64 s[2:3], 8, v41
	v_cndmask_b32_e64 v34, v45, v34, s[2:3]
	v_cndmask_b32_e64 v39, v39, v46, s[2:3]
	v_lshlrev_b32_e32 v30, 16, v30
	v_bfrev_b32_e32 v41, 60
	v_lshlrev_b32_e32 v39, 20, v39
	v_and_b32_e32 v30, 0x80000000, v30
	v_lshl_add_u32 v34, v34, 23, v41
	v_or3_b32 v30, v30, v34, v39
	v_lshrrev_b32_e32 v39, 16, v30
.LBB734_192:
	s_or_b64 exec, exec, s[22:23]
.LBB734_193:
	s_or_b64 exec, exec, s[20:21]
.LBB734_194:
	s_or_b64 exec, exec, s[10:11]
	s_movk_i32 s2, 0xff
	v_and_b32_sdwa v34, v33, s2 dst_sel:DWORD dst_unused:UNUSED_PAD src0_sel:WORD_1 src1_sel:DWORD
	v_lshrrev_b32_e32 v30, 16, v33
	v_cmp_ne_u16_e64 s[2:3], 0, v34
	s_and_saveexec_b64 s[10:11], s[2:3]
	s_cbranch_execz .LBB734_200
; %bb.195:
	s_movk_i32 s2, 0x80
	v_cmp_ne_u16_e64 s[2:3], s2, v34
	v_mov_b32_e32 v40, 0xffff8000
	s_and_saveexec_b64 s[20:21], s[2:3]
	s_cbranch_execz .LBB734_199
; %bb.196:
	v_bfe_u32 v34, v33, 16, 7
	s_movk_i32 s2, 0x7f
	v_cmp_ne_u32_e64 s[2:3], s2, v34
	v_mov_b32_e32 v40, 0x7f80
	s_and_saveexec_b64 s[22:23], s[2:3]
	s_cbranch_execz .LBB734_198
; %bb.197:
	v_and_b32_e32 v45, 7, v30
	v_ffbh_u32_e32 v40, v45
	v_min_u32_e32 v47, 32, v40
	v_subrev_u32_e32 v40, 28, v47
	v_lshlrev_b64 v[40:41], v40, v[30:31]
	v_and_b32_e32 v40, 7, v40
	v_cmp_gt_u32_e64 s[2:3], 8, v34
	v_lshrrev_b32_e32 v46, 3, v34
	v_sub_u32_e32 v30, 29, v47
	v_cndmask_b32_e64 v34, v45, v40, s[2:3]
	v_mov_b32_e32 v40, 24
	v_cndmask_b32_e64 v30, v46, v30, s[2:3]
	v_lshlrev_b32_sdwa v40, v40, v33 dst_sel:DWORD dst_unused:UNUSED_PAD src0_sel:DWORD src1_sel:WORD_1
	v_bfrev_b32_e32 v41, 60
	v_lshlrev_b32_e32 v34, 20, v34
	v_and_b32_e32 v40, 0x80000000, v40
	v_lshl_add_u32 v30, v30, 23, v41
	v_or3_b32 v30, v40, v30, v34
	v_lshrrev_b32_e32 v40, 16, v30
.LBB734_198:
	s_or_b64 exec, exec, s[22:23]
.LBB734_199:
	s_or_b64 exec, exec, s[20:21]
.LBB734_200:
	s_or_b64 exec, exec, s[10:11]
	s_mov_b32 s2, -1
	s_mov_b32 s3, 0xffffff
	v_cmp_lt_u64_e64 s[2:3], s[2:3], v[32:33]
	v_mov_b32_e32 v34, 0
	v_mov_b32_e32 v32, 0
	s_and_saveexec_b64 s[10:11], s[2:3]
	s_cbranch_execz .LBB734_206
; %bb.201:
	v_lshrrev_b32_e32 v30, 24, v33
	s_movk_i32 s2, 0x80
	v_cmp_ne_u32_e64 s[2:3], s2, v30
	v_mov_b32_e32 v32, 0xffff8000
	s_and_saveexec_b64 s[20:21], s[2:3]
	s_cbranch_execz .LBB734_205
; %bb.202:
	v_bfe_u32 v33, v33, 24, 7
	s_movk_i32 s2, 0x7f
	v_cmp_ne_u32_e64 s[2:3], s2, v33
	v_mov_b32_e32 v32, 0x7f80
	s_and_saveexec_b64 s[22:23], s[2:3]
	s_cbranch_execz .LBB734_204
; %bb.203:
	v_and_b32_e32 v32, 7, v30
	v_ffbh_u32_e32 v45, v32
	v_min_u32_e32 v45, 32, v45
	v_subrev_u32_e32 v46, 28, v45
	v_lshlrev_b64 v[46:47], v46, v[30:31]
	v_lshrrev_b32_e32 v41, 3, v33
	v_sub_u32_e32 v45, 29, v45
	v_and_b32_e32 v46, 7, v46
	v_cmp_gt_u32_e64 s[2:3], 8, v33
	v_cndmask_b32_e64 v33, v41, v45, s[2:3]
	v_cndmask_b32_e64 v32, v32, v46, s[2:3]
	v_lshlrev_b32_e32 v30, 24, v30
	v_bfrev_b32_e32 v41, 60
	v_lshlrev_b32_e32 v32, 20, v32
	v_and_b32_e32 v30, 0x80000000, v30
	v_lshl_add_u32 v33, v33, 23, v41
	v_or3_b32 v30, v30, v33, v32
	v_lshrrev_b32_e32 v32, 16, v30
.LBB734_204:
	s_or_b64 exec, exec, s[22:23]
.LBB734_205:
	s_or_b64 exec, exec, s[20:21]
.LBB734_206:
	s_or_b64 exec, exec, s[10:11]
	s_mov_b32 s2, 0x5040100
	v_perm_b32 v37, v38, v37, s2
	v_perm_b32 v36, v35, v36, s2
	;; [unrolled: 1-line block ×4, first 2 shown]
	v_mfma_f32_4x4x4bf16_1k a[0:3], v[18:19], v[36:37], a[0:3] cbsz:4 abid:3
	s_waitcnt vmcnt(5)
	v_cmp_ne_u16_sdwa s[2:3], v26, v34 src0_sel:BYTE_0 src1_sel:DWORD
	v_mfma_f32_4x4x4bf16_1k a[0:3], v[20:21], v[32:33], a[0:3] cbsz:4 abid:3
	s_and_saveexec_b64 s[10:11], s[2:3]
	s_cbranch_execz .LBB734_212
; %bb.207:
	s_movk_i32 s2, 0x80
	v_cmp_ne_u16_sdwa s[2:3], v26, s2 src0_sel:BYTE_0 src1_sel:DWORD
	v_mov_b32_e32 v34, 0xffff8000
	s_and_saveexec_b64 s[20:21], s[2:3]
	s_cbranch_execz .LBB734_211
; %bb.208:
	s_movk_i32 s2, 0x7f
	v_and_b32_e32 v30, 0x7f, v26
	v_cmp_ne_u32_e64 s[2:3], s2, v30
	v_mov_b32_e32 v34, 0x7f80
	s_and_saveexec_b64 s[22:23], s[2:3]
	s_cbranch_execz .LBB734_210
; %bb.209:
	v_and_b32_e32 v31, 7, v26
	v_ffbh_u32_e32 v31, v31
	v_min_u32_e32 v31, 32, v31
	v_subrev_u32_e32 v33, 28, v31
	v_cmp_gt_u32_e64 s[2:3], 8, v30
	v_lshrrev_b32_e32 v32, 3, v30
	v_sub_u32_e32 v31, 29, v31
	v_cndmask_b32_e64 v30, 0, v33, s[2:3]
	v_cndmask_b32_e64 v32, v32, v31, s[2:3]
	v_lshlrev_b64 v[30:31], v30, v[26:27]
	v_lshlrev_b32_e32 v30, 20, v30
	v_lshlrev_b32_e32 v31, 24, v26
	v_bfrev_b32_e32 v33, 60
	v_and_b32_e32 v30, 0x700000, v30
	v_and_b32_e32 v31, 0x80000000, v31
	v_lshl_add_u32 v32, v32, 23, v33
	v_or3_b32 v30, v31, v32, v30
	v_lshrrev_b32_e32 v34, 16, v30
.LBB734_210:
	s_or_b64 exec, exec, s[22:23]
.LBB734_211:
	s_or_b64 exec, exec, s[20:21]
.LBB734_212:
	s_or_b64 exec, exec, s[10:11]
	v_lshrrev_b16_e32 v30, 8, v26
	v_cmp_ne_u16_e64 s[2:3], 0, v30
	v_mov_b32_e32 v35, 0
	v_mov_b32_e32 v33, 0
	s_and_saveexec_b64 s[10:11], s[2:3]
	s_cbranch_execz .LBB734_218
; %bb.213:
	s_movk_i32 s2, 0x80
	v_cmp_ne_u16_e64 s[2:3], s2, v30
	v_mov_b32_e32 v33, 0xffff8000
	s_and_saveexec_b64 s[20:21], s[2:3]
	s_cbranch_execz .LBB734_217
; %bb.214:
	s_movk_i32 s2, 0x7f
	v_and_b32_e32 v31, 0x7f, v30
	v_cmp_ne_u32_e64 s[2:3], s2, v31
	v_mov_b32_e32 v33, 0x7f80
	s_and_saveexec_b64 s[22:23], s[2:3]
	s_cbranch_execz .LBB734_216
; %bb.215:
	v_and_b32_e32 v36, 7, v30
	v_ffbh_u32_e32 v32, v36
	v_min_u32_e32 v38, 32, v32
	v_subrev_u32_e32 v32, 28, v38
	v_lshlrev_b64 v[32:33], v32, v[30:31]
	v_lshrrev_b32_e32 v37, 3, v31
	v_sub_u32_e32 v30, 29, v38
	v_and_b32_e32 v32, 7, v32
	v_cmp_gt_u32_e64 s[2:3], 8, v31
	v_cndmask_b32_e64 v30, v37, v30, s[2:3]
	v_cndmask_b32_e64 v31, v36, v32, s[2:3]
	v_lshlrev_b32_e32 v32, 16, v26
	v_bfrev_b32_e32 v33, 60
	v_lshlrev_b32_e32 v31, 20, v31
	v_and_b32_e32 v32, 0x80000000, v32
	v_lshl_add_u32 v30, v30, 23, v33
	v_or3_b32 v30, v32, v30, v31
	v_lshrrev_b32_e32 v33, 16, v30
.LBB734_216:
	s_or_b64 exec, exec, s[22:23]
.LBB734_217:
	s_or_b64 exec, exec, s[20:21]
.LBB734_218:
	s_or_b64 exec, exec, s[10:11]
	s_movk_i32 s2, 0xff
	v_and_b32_sdwa v31, v26, s2 dst_sel:DWORD dst_unused:UNUSED_PAD src0_sel:WORD_1 src1_sel:DWORD
	v_lshrrev_b32_e32 v30, 16, v26
	v_cmp_ne_u16_e64 s[2:3], 0, v31
	s_and_saveexec_b64 s[10:11], s[2:3]
	s_cbranch_execz .LBB734_224
; %bb.219:
	s_movk_i32 s2, 0x80
	v_cmp_ne_u16_e64 s[2:3], s2, v31
	v_mov_b32_e32 v35, 0xffff8000
	s_and_saveexec_b64 s[20:21], s[2:3]
	s_cbranch_execz .LBB734_223
; %bb.220:
	v_bfe_u32 v31, v26, 16, 7
	s_movk_i32 s2, 0x7f
	v_cmp_ne_u32_e64 s[2:3], s2, v31
	v_mov_b32_e32 v35, 0x7f80
	s_and_saveexec_b64 s[22:23], s[2:3]
	s_cbranch_execz .LBB734_222
; %bb.221:
	v_and_b32_e32 v32, 7, v30
	v_ffbh_u32_e32 v36, v32
	v_min_u32_e32 v38, 32, v36
	v_subrev_u32_e32 v36, 28, v38
	v_lshlrev_b64 v[36:37], v36, v[30:31]
	v_and_b32_e32 v36, 7, v36
	v_cmp_gt_u32_e64 s[2:3], 8, v31
	v_lshrrev_b32_e32 v35, 3, v31
	v_sub_u32_e32 v30, 29, v38
	v_cndmask_b32_e64 v31, v32, v36, s[2:3]
	v_mov_b32_e32 v32, 24
	v_cndmask_b32_e64 v30, v35, v30, s[2:3]
	v_lshlrev_b32_sdwa v32, v32, v26 dst_sel:DWORD dst_unused:UNUSED_PAD src0_sel:DWORD src1_sel:WORD_1
	v_bfrev_b32_e32 v35, 60
	v_lshlrev_b32_e32 v31, 20, v31
	v_and_b32_e32 v32, 0x80000000, v32
	v_lshl_add_u32 v30, v30, 23, v35
	v_or3_b32 v30, v32, v30, v31
	v_lshrrev_b32_e32 v35, 16, v30
.LBB734_222:
	s_or_b64 exec, exec, s[22:23]
.LBB734_223:
	s_or_b64 exec, exec, s[20:21]
.LBB734_224:
	s_or_b64 exec, exec, s[10:11]
	s_mov_b32 s2, 0xffffff
	v_cmp_lt_u32_e64 s[2:3], s2, v26
	v_mov_b32_e32 v31, 0
	v_mov_b32_e32 v36, 0
	s_and_saveexec_b64 s[10:11], s[2:3]
	s_cbranch_execz .LBB734_230
; %bb.225:
	v_lshrrev_b32_e32 v30, 24, v26
	s_movk_i32 s2, 0x80
	v_cmp_ne_u32_e64 s[2:3], s2, v30
	v_mov_b32_e32 v36, 0xffff8000
	s_and_saveexec_b64 s[20:21], s[2:3]
	s_cbranch_execz .LBB734_229
; %bb.226:
	v_bfe_u32 v32, v26, 24, 7
	s_movk_i32 s2, 0x7f
	v_cmp_ne_u32_e64 s[2:3], s2, v32
	v_mov_b32_e32 v36, 0x7f80
	s_and_saveexec_b64 s[22:23], s[2:3]
	s_cbranch_execz .LBB734_228
; %bb.227:
	v_and_b32_e32 v38, 7, v30
	v_ffbh_u32_e32 v36, v38
	v_min_u32_e32 v40, 32, v36
	v_subrev_u32_e32 v36, 28, v40
	v_lshlrev_b64 v[36:37], v36, v[30:31]
	v_lshrrev_b32_e32 v39, 3, v32
	v_sub_u32_e32 v37, 29, v40
	v_and_b32_e32 v36, 7, v36
	v_cmp_gt_u32_e64 s[2:3], 8, v32
	v_cndmask_b32_e64 v32, v39, v37, s[2:3]
	v_cndmask_b32_e64 v36, v38, v36, s[2:3]
	v_lshlrev_b32_e32 v30, 24, v30
	v_bfrev_b32_e32 v37, 60
	v_lshlrev_b32_e32 v36, 20, v36
	v_and_b32_e32 v30, 0x80000000, v30
	v_lshl_add_u32 v32, v32, 23, v37
	v_or3_b32 v30, v30, v32, v36
	v_lshrrev_b32_e32 v36, 16, v30
.LBB734_228:
	s_or_b64 exec, exec, s[22:23]
.LBB734_229:
	s_or_b64 exec, exec, s[20:21]
.LBB734_230:
	s_or_b64 exec, exec, s[10:11]
	v_mov_b32_e32 v30, v27
	v_cmp_ne_u16_sdwa s[2:3], v27, v31 src0_sel:BYTE_0 src1_sel:DWORD
	s_and_saveexec_b64 s[10:11], s[2:3]
	s_cbranch_execz .LBB734_236
; %bb.231:
	s_movk_i32 s2, 0x80
	v_cmp_ne_u16_sdwa s[2:3], v27, s2 src0_sel:BYTE_0 src1_sel:DWORD
	v_mov_b32_e32 v32, 0xffff8000
	s_and_saveexec_b64 s[20:21], s[2:3]
	s_cbranch_execz .LBB734_235
; %bb.232:
	s_movk_i32 s2, 0x7f
	v_and_b32_e32 v37, 0x7f, v27
	v_cmp_ne_u32_e64 s[2:3], s2, v37
	v_mov_b32_e32 v32, 0x7f80
	s_and_saveexec_b64 s[22:23], s[2:3]
	s_cbranch_execz .LBB734_234
; %bb.233:
	v_and_b32_e32 v32, 7, v27
	v_ffbh_u32_e32 v32, v32
	v_min_u32_e32 v32, 32, v32
	v_subrev_u32_e32 v39, 28, v32
	v_cmp_gt_u32_e64 s[2:3], 8, v37
	v_lshrrev_b32_e32 v38, 3, v37
	v_sub_u32_e32 v32, 29, v32
	v_cndmask_b32_e64 v37, 0, v39, s[2:3]
	v_cndmask_b32_e64 v32, v38, v32, s[2:3]
	v_lshlrev_b64 v[38:39], v37, v[30:31]
	v_lshlrev_b32_e32 v31, 20, v38
	v_lshlrev_b32_e32 v37, 24, v30
	v_bfrev_b32_e32 v38, 60
	v_and_b32_e32 v31, 0x700000, v31
	v_and_b32_e32 v37, 0x80000000, v37
	v_lshl_add_u32 v32, v32, 23, v38
	v_or3_b32 v31, v37, v32, v31
	v_lshrrev_b32_e32 v32, 16, v31
.LBB734_234:
	s_or_b64 exec, exec, s[22:23]
.LBB734_235:
	s_or_b64 exec, exec, s[20:21]
	v_mov_b32_e32 v31, v32
.LBB734_236:
	s_or_b64 exec, exec, s[10:11]
	v_lshrrev_b16_e32 v32, 8, v30
	v_cmp_ne_u16_e64 s[2:3], 0, v32
	v_mov_b32_e32 v38, 0
	v_mov_b32_e32 v37, 0
	s_and_saveexec_b64 s[10:11], s[2:3]
	s_cbranch_execz .LBB734_242
; %bb.237:
	s_movk_i32 s2, 0x80
	v_cmp_ne_u16_e64 s[2:3], s2, v32
	v_mov_b32_e32 v37, 0xffff8000
	s_and_saveexec_b64 s[20:21], s[2:3]
	s_cbranch_execz .LBB734_241
; %bb.238:
	s_movk_i32 s2, 0x7f
	v_and_b32_e32 v39, 0x7f, v32
	v_cmp_ne_u32_e64 s[2:3], s2, v39
	v_mov_b32_e32 v37, 0x7f80
	s_and_saveexec_b64 s[22:23], s[2:3]
	s_cbranch_execz .LBB734_240
; %bb.239:
	v_and_b32_e32 v37, 7, v32
	v_ffbh_u32_e32 v40, v37
	v_min_u32_e32 v46, 32, v40
	v_subrev_u32_e32 v40, 28, v46
	v_lshlrev_b64 v[40:41], v40, v[32:33]
	v_lshrrev_b32_e32 v45, 3, v39
	v_sub_u32_e32 v32, 29, v46
	v_and_b32_e32 v40, 7, v40
	v_cmp_gt_u32_e64 s[2:3], 8, v39
	v_cndmask_b32_e64 v32, v45, v32, s[2:3]
	v_cndmask_b32_e64 v37, v37, v40, s[2:3]
	v_lshlrev_b32_e32 v30, 16, v30
	v_bfrev_b32_e32 v39, 60
	v_lshlrev_b32_e32 v37, 20, v37
	v_and_b32_e32 v30, 0x80000000, v30
	v_lshl_add_u32 v32, v32, 23, v39
	v_or3_b32 v30, v30, v32, v37
	v_lshrrev_b32_e32 v37, 16, v30
.LBB734_240:
	s_or_b64 exec, exec, s[22:23]
.LBB734_241:
	s_or_b64 exec, exec, s[20:21]
.LBB734_242:
	s_or_b64 exec, exec, s[10:11]
	s_movk_i32 s2, 0xff
	v_and_b32_sdwa v32, v27, s2 dst_sel:DWORD dst_unused:UNUSED_PAD src0_sel:WORD_1 src1_sel:DWORD
	v_lshrrev_b32_e32 v30, 16, v27
	v_cmp_ne_u16_e64 s[2:3], 0, v32
	s_and_saveexec_b64 s[10:11], s[2:3]
	s_cbranch_execz .LBB734_248
; %bb.243:
	s_movk_i32 s2, 0x80
	v_cmp_ne_u16_e64 s[2:3], s2, v32
	v_mov_b32_e32 v38, 0xffff8000
	s_and_saveexec_b64 s[20:21], s[2:3]
	s_cbranch_execz .LBB734_247
; %bb.244:
	v_bfe_u32 v32, v27, 16, 7
	s_movk_i32 s2, 0x7f
	v_cmp_ne_u32_e64 s[2:3], s2, v32
	v_mov_b32_e32 v38, 0x7f80
	s_and_saveexec_b64 s[22:23], s[2:3]
	s_cbranch_execz .LBB734_246
; %bb.245:
	v_and_b32_e32 v40, 7, v30
	v_ffbh_u32_e32 v38, v40
	v_min_u32_e32 v45, 32, v38
	v_subrev_u32_e32 v38, 28, v45
	v_lshlrev_b64 v[38:39], v38, v[30:31]
	v_and_b32_e32 v38, 7, v38
	v_cmp_gt_u32_e64 s[2:3], 8, v32
	v_lshrrev_b32_e32 v41, 3, v32
	v_sub_u32_e32 v30, 29, v45
	v_cndmask_b32_e64 v32, v40, v38, s[2:3]
	v_mov_b32_e32 v38, 24
	v_cndmask_b32_e64 v30, v41, v30, s[2:3]
	v_lshlrev_b32_sdwa v38, v38, v27 dst_sel:DWORD dst_unused:UNUSED_PAD src0_sel:DWORD src1_sel:WORD_1
	v_bfrev_b32_e32 v39, 60
	v_lshlrev_b32_e32 v32, 20, v32
	v_and_b32_e32 v38, 0x80000000, v38
	v_lshl_add_u32 v30, v30, 23, v39
	v_or3_b32 v30, v38, v30, v32
	v_lshrrev_b32_e32 v38, 16, v30
.LBB734_246:
	s_or_b64 exec, exec, s[22:23]
.LBB734_247:
	s_or_b64 exec, exec, s[20:21]
.LBB734_248:
	s_or_b64 exec, exec, s[10:11]
	s_mov_b32 s2, -1
	s_mov_b32 s3, 0xffffff
	v_cmp_lt_u64_e64 s[2:3], s[2:3], v[26:27]
	v_mov_b32_e32 v32, 0
	v_mov_b32_e32 v30, 0
	s_and_saveexec_b64 s[10:11], s[2:3]
	s_cbranch_execz .LBB734_254
; %bb.249:
	v_lshrrev_b32_e32 v26, 24, v27
	s_movk_i32 s2, 0x80
	v_cmp_ne_u32_e64 s[2:3], s2, v26
	v_mov_b32_e32 v30, 0xffff8000
	s_and_saveexec_b64 s[20:21], s[2:3]
	s_cbranch_execz .LBB734_253
; %bb.250:
	v_bfe_u32 v27, v27, 24, 7
	s_movk_i32 s2, 0x7f
	v_cmp_ne_u32_e64 s[2:3], s2, v27
	v_mov_b32_e32 v30, 0x7f80
	s_and_saveexec_b64 s[22:23], s[2:3]
	s_cbranch_execz .LBB734_252
; %bb.251:
	v_and_b32_e32 v30, 7, v26
	v_ffbh_u32_e32 v40, v30
	v_min_u32_e32 v45, 32, v40
	v_subrev_u32_e32 v40, 28, v45
	v_lshlrev_b64 v[40:41], v40, v[26:27]
	v_lshrrev_b32_e32 v39, 3, v27
	v_sub_u32_e32 v41, 29, v45
	v_and_b32_e32 v40, 7, v40
	v_cmp_gt_u32_e64 s[2:3], 8, v27
	v_cndmask_b32_e64 v27, v39, v41, s[2:3]
	v_cndmask_b32_e64 v30, v30, v40, s[2:3]
	v_lshlrev_b32_e32 v26, 24, v26
	v_bfrev_b32_e32 v39, 60
	v_lshlrev_b32_e32 v30, 20, v30
	v_and_b32_e32 v26, 0x80000000, v26
	v_lshl_add_u32 v27, v27, 23, v39
	v_or3_b32 v26, v26, v27, v30
	v_lshrrev_b32_e32 v30, 16, v26
.LBB734_252:
	s_or_b64 exec, exec, s[22:23]
.LBB734_253:
	s_or_b64 exec, exec, s[20:21]
.LBB734_254:
	s_or_b64 exec, exec, s[10:11]
	s_mov_b32 s2, 0x5040100
	v_perm_b32 v27, v36, v35, s2
	v_perm_b32 v26, v33, v34, s2
	;; [unrolled: 1-line block ×4, first 2 shown]
	v_mfma_f32_4x4x4bf16_1k a[0:3], v[18:19], v[26:27], a[0:3] cbsz:4 abid:4
	v_cmp_ne_u16_sdwa s[2:3], v28, v32 src0_sel:BYTE_0 src1_sel:DWORD
	v_mfma_f32_4x4x4bf16_1k a[0:3], v[20:21], v[34:35], a[0:3] cbsz:4 abid:4
	s_and_saveexec_b64 s[10:11], s[2:3]
	s_cbranch_execz .LBB734_260
; %bb.255:
	s_movk_i32 s2, 0x80
	v_cmp_ne_u16_sdwa s[2:3], v28, s2 src0_sel:BYTE_0 src1_sel:DWORD
	v_mov_b32_e32 v32, 0xffff8000
	s_and_saveexec_b64 s[20:21], s[2:3]
	s_cbranch_execz .LBB734_259
; %bb.256:
	s_movk_i32 s2, 0x7f
	v_and_b32_e32 v26, 0x7f, v28
	v_cmp_ne_u32_e64 s[2:3], s2, v26
	v_mov_b32_e32 v32, 0x7f80
	s_and_saveexec_b64 s[22:23], s[2:3]
	s_cbranch_execz .LBB734_258
; %bb.257:
	v_and_b32_e32 v27, 7, v28
	v_ffbh_u32_e32 v27, v27
	v_min_u32_e32 v27, 32, v27
	v_subrev_u32_e32 v31, 28, v27
	v_cmp_gt_u32_e64 s[2:3], 8, v26
	v_lshrrev_b32_e32 v30, 3, v26
	v_sub_u32_e32 v27, 29, v27
	v_cndmask_b32_e64 v26, 0, v31, s[2:3]
	v_cndmask_b32_e64 v30, v30, v27, s[2:3]
	v_lshlrev_b64 v[26:27], v26, v[28:29]
	v_lshlrev_b32_e32 v26, 20, v26
	v_lshlrev_b32_e32 v27, 24, v28
	v_bfrev_b32_e32 v31, 60
	v_and_b32_e32 v26, 0x700000, v26
	v_and_b32_e32 v27, 0x80000000, v27
	v_lshl_add_u32 v30, v30, 23, v31
	v_or3_b32 v26, v27, v30, v26
	v_lshrrev_b32_e32 v32, 16, v26
.LBB734_258:
	s_or_b64 exec, exec, s[22:23]
.LBB734_259:
	s_or_b64 exec, exec, s[20:21]
.LBB734_260:
	s_or_b64 exec, exec, s[10:11]
	v_lshrrev_b16_e32 v26, 8, v28
	v_cmp_ne_u16_e64 s[2:3], 0, v26
	v_mov_b32_e32 v33, 0
	v_mov_b32_e32 v31, 0
	s_and_saveexec_b64 s[10:11], s[2:3]
	s_cbranch_execz .LBB734_266
; %bb.261:
	s_movk_i32 s2, 0x80
	v_cmp_ne_u16_e64 s[2:3], s2, v26
	v_mov_b32_e32 v31, 0xffff8000
	s_and_saveexec_b64 s[20:21], s[2:3]
	s_cbranch_execz .LBB734_265
; %bb.262:
	s_movk_i32 s2, 0x7f
	v_and_b32_e32 v27, 0x7f, v26
	v_cmp_ne_u32_e64 s[2:3], s2, v27
	v_mov_b32_e32 v31, 0x7f80
	s_and_saveexec_b64 s[22:23], s[2:3]
	s_cbranch_execz .LBB734_264
; %bb.263:
	v_and_b32_e32 v34, 7, v26
	v_ffbh_u32_e32 v30, v34
	v_min_u32_e32 v36, 32, v30
	v_subrev_u32_e32 v30, 28, v36
	v_lshlrev_b64 v[30:31], v30, v[26:27]
	v_lshrrev_b32_e32 v35, 3, v27
	v_sub_u32_e32 v26, 29, v36
	v_and_b32_e32 v30, 7, v30
	v_cmp_gt_u32_e64 s[2:3], 8, v27
	v_cndmask_b32_e64 v26, v35, v26, s[2:3]
	v_cndmask_b32_e64 v27, v34, v30, s[2:3]
	v_lshlrev_b32_e32 v30, 16, v28
	v_bfrev_b32_e32 v31, 60
	v_lshlrev_b32_e32 v27, 20, v27
	v_and_b32_e32 v30, 0x80000000, v30
	v_lshl_add_u32 v26, v26, 23, v31
	v_or3_b32 v26, v30, v26, v27
	v_lshrrev_b32_e32 v31, 16, v26
.LBB734_264:
	s_or_b64 exec, exec, s[22:23]
.LBB734_265:
	s_or_b64 exec, exec, s[20:21]
.LBB734_266:
	s_or_b64 exec, exec, s[10:11]
	s_movk_i32 s2, 0xff
	v_and_b32_sdwa v27, v28, s2 dst_sel:DWORD dst_unused:UNUSED_PAD src0_sel:WORD_1 src1_sel:DWORD
	v_lshrrev_b32_e32 v26, 16, v28
	v_cmp_ne_u16_e64 s[2:3], 0, v27
	s_and_saveexec_b64 s[10:11], s[2:3]
	s_cbranch_execz .LBB734_272
; %bb.267:
	s_movk_i32 s2, 0x80
	v_cmp_ne_u16_e64 s[2:3], s2, v27
	v_mov_b32_e32 v33, 0xffff8000
	s_and_saveexec_b64 s[20:21], s[2:3]
	s_cbranch_execz .LBB734_271
; %bb.268:
	v_bfe_u32 v27, v28, 16, 7
	s_movk_i32 s2, 0x7f
	v_cmp_ne_u32_e64 s[2:3], s2, v27
	v_mov_b32_e32 v33, 0x7f80
	s_and_saveexec_b64 s[22:23], s[2:3]
	s_cbranch_execz .LBB734_270
; %bb.269:
	v_and_b32_e32 v30, 7, v26
	v_ffbh_u32_e32 v34, v30
	v_min_u32_e32 v36, 32, v34
	v_subrev_u32_e32 v34, 28, v36
	v_lshlrev_b64 v[34:35], v34, v[26:27]
	v_and_b32_e32 v34, 7, v34
	v_cmp_gt_u32_e64 s[2:3], 8, v27
	v_lshrrev_b32_e32 v33, 3, v27
	v_sub_u32_e32 v26, 29, v36
	v_cndmask_b32_e64 v27, v30, v34, s[2:3]
	v_mov_b32_e32 v30, 24
	v_cndmask_b32_e64 v26, v33, v26, s[2:3]
	v_lshlrev_b32_sdwa v30, v30, v28 dst_sel:DWORD dst_unused:UNUSED_PAD src0_sel:DWORD src1_sel:WORD_1
	v_bfrev_b32_e32 v33, 60
	v_lshlrev_b32_e32 v27, 20, v27
	v_and_b32_e32 v30, 0x80000000, v30
	v_lshl_add_u32 v26, v26, 23, v33
	v_or3_b32 v26, v30, v26, v27
	v_lshrrev_b32_e32 v33, 16, v26
.LBB734_270:
	s_or_b64 exec, exec, s[22:23]
.LBB734_271:
	s_or_b64 exec, exec, s[20:21]
.LBB734_272:
	s_or_b64 exec, exec, s[10:11]
	s_mov_b32 s2, 0xffffff
	v_cmp_lt_u32_e64 s[2:3], s2, v28
	v_mov_b32_e32 v27, 0
	v_mov_b32_e32 v34, 0
	s_and_saveexec_b64 s[10:11], s[2:3]
	s_cbranch_execz .LBB734_278
; %bb.273:
	v_lshrrev_b32_e32 v26, 24, v28
	s_movk_i32 s2, 0x80
	v_cmp_ne_u32_e64 s[2:3], s2, v26
	v_mov_b32_e32 v34, 0xffff8000
	s_and_saveexec_b64 s[20:21], s[2:3]
	s_cbranch_execz .LBB734_277
; %bb.274:
	v_bfe_u32 v30, v28, 24, 7
	s_movk_i32 s2, 0x7f
	v_cmp_ne_u32_e64 s[2:3], s2, v30
	v_mov_b32_e32 v34, 0x7f80
	s_and_saveexec_b64 s[22:23], s[2:3]
	s_cbranch_execz .LBB734_276
; %bb.275:
	v_and_b32_e32 v36, 7, v26
	v_ffbh_u32_e32 v34, v36
	v_min_u32_e32 v38, 32, v34
	v_subrev_u32_e32 v34, 28, v38
	v_lshlrev_b64 v[34:35], v34, v[26:27]
	v_lshrrev_b32_e32 v37, 3, v30
	v_sub_u32_e32 v35, 29, v38
	v_and_b32_e32 v34, 7, v34
	v_cmp_gt_u32_e64 s[2:3], 8, v30
	v_cndmask_b32_e64 v30, v37, v35, s[2:3]
	v_cndmask_b32_e64 v34, v36, v34, s[2:3]
	v_lshlrev_b32_e32 v26, 24, v26
	v_bfrev_b32_e32 v35, 60
	v_lshlrev_b32_e32 v34, 20, v34
	v_and_b32_e32 v26, 0x80000000, v26
	v_lshl_add_u32 v30, v30, 23, v35
	v_or3_b32 v26, v26, v30, v34
	v_lshrrev_b32_e32 v34, 16, v26
.LBB734_276:
	s_or_b64 exec, exec, s[22:23]
.LBB734_277:
	s_or_b64 exec, exec, s[20:21]
.LBB734_278:
	s_or_b64 exec, exec, s[10:11]
	v_mov_b32_e32 v26, v29
	v_cmp_ne_u16_sdwa s[2:3], v29, v27 src0_sel:BYTE_0 src1_sel:DWORD
	s_and_saveexec_b64 s[10:11], s[2:3]
	s_cbranch_execz .LBB734_284
; %bb.279:
	s_movk_i32 s2, 0x80
	v_cmp_ne_u16_sdwa s[2:3], v29, s2 src0_sel:BYTE_0 src1_sel:DWORD
	v_mov_b32_e32 v30, 0xffff8000
	s_and_saveexec_b64 s[20:21], s[2:3]
	s_cbranch_execz .LBB734_283
; %bb.280:
	s_movk_i32 s2, 0x7f
	v_and_b32_e32 v35, 0x7f, v29
	v_cmp_ne_u32_e64 s[2:3], s2, v35
	v_mov_b32_e32 v30, 0x7f80
	s_and_saveexec_b64 s[22:23], s[2:3]
	s_cbranch_execz .LBB734_282
; %bb.281:
	v_and_b32_e32 v30, 7, v29
	v_ffbh_u32_e32 v30, v30
	v_min_u32_e32 v30, 32, v30
	v_subrev_u32_e32 v37, 28, v30
	v_cmp_gt_u32_e64 s[2:3], 8, v35
	v_lshrrev_b32_e32 v36, 3, v35
	v_sub_u32_e32 v30, 29, v30
	v_cndmask_b32_e64 v35, 0, v37, s[2:3]
	v_cndmask_b32_e64 v30, v36, v30, s[2:3]
	v_lshlrev_b64 v[36:37], v35, v[26:27]
	v_lshlrev_b32_e32 v27, 20, v36
	v_lshlrev_b32_e32 v35, 24, v26
	v_bfrev_b32_e32 v36, 60
	v_and_b32_e32 v27, 0x700000, v27
	v_and_b32_e32 v35, 0x80000000, v35
	v_lshl_add_u32 v30, v30, 23, v36
	v_or3_b32 v27, v35, v30, v27
	v_lshrrev_b32_e32 v30, 16, v27
.LBB734_282:
	s_or_b64 exec, exec, s[22:23]
.LBB734_283:
	s_or_b64 exec, exec, s[20:21]
	v_mov_b32_e32 v27, v30
.LBB734_284:
	s_or_b64 exec, exec, s[10:11]
	v_lshrrev_b16_e32 v30, 8, v26
	v_cmp_ne_u16_e64 s[2:3], 0, v30
	v_mov_b32_e32 v36, 0
	v_mov_b32_e32 v35, 0
	s_and_saveexec_b64 s[10:11], s[2:3]
	s_cbranch_execz .LBB734_290
; %bb.285:
	s_movk_i32 s2, 0x80
	v_cmp_ne_u16_e64 s[2:3], s2, v30
	v_mov_b32_e32 v35, 0xffff8000
	s_and_saveexec_b64 s[20:21], s[2:3]
	s_cbranch_execz .LBB734_289
; %bb.286:
	s_movk_i32 s2, 0x7f
	v_and_b32_e32 v37, 0x7f, v30
	v_cmp_ne_u32_e64 s[2:3], s2, v37
	v_mov_b32_e32 v35, 0x7f80
	s_and_saveexec_b64 s[22:23], s[2:3]
	s_cbranch_execz .LBB734_288
; %bb.287:
	v_and_b32_e32 v35, 7, v30
	v_ffbh_u32_e32 v38, v35
	v_min_u32_e32 v41, 32, v38
	v_subrev_u32_e32 v38, 28, v41
	v_lshlrev_b64 v[38:39], v38, v[30:31]
	v_lshrrev_b32_e32 v40, 3, v37
	v_sub_u32_e32 v30, 29, v41
	v_and_b32_e32 v38, 7, v38
	v_cmp_gt_u32_e64 s[2:3], 8, v37
	v_cndmask_b32_e64 v30, v40, v30, s[2:3]
	v_cndmask_b32_e64 v35, v35, v38, s[2:3]
	v_lshlrev_b32_e32 v26, 16, v26
	v_bfrev_b32_e32 v37, 60
	v_lshlrev_b32_e32 v35, 20, v35
	v_and_b32_e32 v26, 0x80000000, v26
	v_lshl_add_u32 v30, v30, 23, v37
	v_or3_b32 v26, v26, v30, v35
	v_lshrrev_b32_e32 v35, 16, v26
.LBB734_288:
	s_or_b64 exec, exec, s[22:23]
.LBB734_289:
	s_or_b64 exec, exec, s[20:21]
.LBB734_290:
	s_or_b64 exec, exec, s[10:11]
	s_movk_i32 s2, 0xff
	v_and_b32_sdwa v30, v29, s2 dst_sel:DWORD dst_unused:UNUSED_PAD src0_sel:WORD_1 src1_sel:DWORD
	v_lshrrev_b32_e32 v26, 16, v29
	v_cmp_ne_u16_e64 s[2:3], 0, v30
	s_and_saveexec_b64 s[10:11], s[2:3]
	s_cbranch_execz .LBB734_296
; %bb.291:
	s_movk_i32 s2, 0x80
	v_cmp_ne_u16_e64 s[2:3], s2, v30
	v_mov_b32_e32 v36, 0xffff8000
	s_and_saveexec_b64 s[20:21], s[2:3]
	s_cbranch_execz .LBB734_295
; %bb.292:
	v_bfe_u32 v30, v29, 16, 7
	s_movk_i32 s2, 0x7f
	v_cmp_ne_u32_e64 s[2:3], s2, v30
	v_mov_b32_e32 v36, 0x7f80
	s_and_saveexec_b64 s[22:23], s[2:3]
	s_cbranch_execz .LBB734_294
; %bb.293:
	v_and_b32_e32 v38, 7, v26
	v_ffbh_u32_e32 v36, v38
	v_min_u32_e32 v40, 32, v36
	v_subrev_u32_e32 v36, 28, v40
	v_lshlrev_b64 v[36:37], v36, v[26:27]
	v_and_b32_e32 v36, 7, v36
	v_cmp_gt_u32_e64 s[2:3], 8, v30
	v_lshrrev_b32_e32 v39, 3, v30
	v_sub_u32_e32 v26, 29, v40
	v_cndmask_b32_e64 v30, v38, v36, s[2:3]
	v_mov_b32_e32 v36, 24
	v_cndmask_b32_e64 v26, v39, v26, s[2:3]
	v_lshlrev_b32_sdwa v36, v36, v29 dst_sel:DWORD dst_unused:UNUSED_PAD src0_sel:DWORD src1_sel:WORD_1
	v_bfrev_b32_e32 v37, 60
	v_lshlrev_b32_e32 v30, 20, v30
	v_and_b32_e32 v36, 0x80000000, v36
	v_lshl_add_u32 v26, v26, 23, v37
	v_or3_b32 v26, v36, v26, v30
	v_lshrrev_b32_e32 v36, 16, v26
.LBB734_294:
	s_or_b64 exec, exec, s[22:23]
.LBB734_295:
	s_or_b64 exec, exec, s[20:21]
.LBB734_296:
	s_or_b64 exec, exec, s[10:11]
	s_mov_b32 s2, -1
	s_mov_b32 s3, 0xffffff
	v_cmp_lt_u64_e64 s[2:3], s[2:3], v[28:29]
	v_mov_b32_e32 v30, 0
	v_mov_b32_e32 v28, 0
	s_and_saveexec_b64 s[10:11], s[2:3]
	s_cbranch_execz .LBB734_302
; %bb.297:
	v_lshrrev_b32_e32 v26, 24, v29
	s_movk_i32 s2, 0x80
	v_cmp_ne_u32_e64 s[2:3], s2, v26
	v_mov_b32_e32 v28, 0xffff8000
	s_and_saveexec_b64 s[20:21], s[2:3]
	s_cbranch_execz .LBB734_301
; %bb.298:
	v_bfe_u32 v29, v29, 24, 7
	s_movk_i32 s2, 0x7f
	v_cmp_ne_u32_e64 s[2:3], s2, v29
	v_mov_b32_e32 v28, 0x7f80
	s_and_saveexec_b64 s[22:23], s[2:3]
	s_cbranch_execz .LBB734_300
; %bb.299:
	v_and_b32_e32 v28, 7, v26
	v_ffbh_u32_e32 v38, v28
	v_min_u32_e32 v40, 32, v38
	v_subrev_u32_e32 v38, 28, v40
	v_lshlrev_b64 v[38:39], v38, v[26:27]
	v_lshrrev_b32_e32 v37, 3, v29
	v_sub_u32_e32 v39, 29, v40
	v_and_b32_e32 v38, 7, v38
	v_cmp_gt_u32_e64 s[2:3], 8, v29
	v_cndmask_b32_e64 v29, v37, v39, s[2:3]
	v_cndmask_b32_e64 v28, v28, v38, s[2:3]
	v_lshlrev_b32_e32 v26, 24, v26
	v_bfrev_b32_e32 v37, 60
	v_lshlrev_b32_e32 v28, 20, v28
	v_and_b32_e32 v26, 0x80000000, v26
	v_lshl_add_u32 v29, v29, 23, v37
	v_or3_b32 v26, v26, v29, v28
	v_lshrrev_b32_e32 v28, 16, v26
.LBB734_300:
	s_or_b64 exec, exec, s[22:23]
.LBB734_301:
	s_or_b64 exec, exec, s[20:21]
.LBB734_302:
	s_or_b64 exec, exec, s[10:11]
	s_mov_b32 s2, 0x5040100
	v_perm_b32 v33, v34, v33, s2
	v_perm_b32 v32, v31, v32, s2
	;; [unrolled: 1-line block ×4, first 2 shown]
	v_mfma_f32_4x4x4bf16_1k a[0:3], v[18:19], v[32:33], a[0:3] cbsz:4 abid:5
	s_waitcnt vmcnt(4)
	v_cmp_ne_u16_sdwa s[2:3], v22, v30 src0_sel:BYTE_0 src1_sel:DWORD
	v_mfma_f32_4x4x4bf16_1k a[0:3], v[20:21], v[28:29], a[0:3] cbsz:4 abid:5
	s_and_saveexec_b64 s[10:11], s[2:3]
	s_cbranch_execz .LBB734_308
; %bb.303:
	s_movk_i32 s2, 0x80
	v_cmp_ne_u16_sdwa s[2:3], v22, s2 src0_sel:BYTE_0 src1_sel:DWORD
	v_mov_b32_e32 v30, 0xffff8000
	s_and_saveexec_b64 s[20:21], s[2:3]
	s_cbranch_execz .LBB734_307
; %bb.304:
	s_movk_i32 s2, 0x7f
	v_and_b32_e32 v26, 0x7f, v22
	v_cmp_ne_u32_e64 s[2:3], s2, v26
	v_mov_b32_e32 v30, 0x7f80
	s_and_saveexec_b64 s[22:23], s[2:3]
	s_cbranch_execz .LBB734_306
; %bb.305:
	v_and_b32_e32 v27, 7, v22
	v_ffbh_u32_e32 v27, v27
	v_min_u32_e32 v27, 32, v27
	v_subrev_u32_e32 v29, 28, v27
	v_cmp_gt_u32_e64 s[2:3], 8, v26
	v_lshrrev_b32_e32 v28, 3, v26
	v_sub_u32_e32 v27, 29, v27
	v_cndmask_b32_e64 v26, 0, v29, s[2:3]
	v_cndmask_b32_e64 v28, v28, v27, s[2:3]
	v_lshlrev_b64 v[26:27], v26, v[22:23]
	v_lshlrev_b32_e32 v26, 20, v26
	v_lshlrev_b32_e32 v27, 24, v22
	v_bfrev_b32_e32 v29, 60
	v_and_b32_e32 v26, 0x700000, v26
	v_and_b32_e32 v27, 0x80000000, v27
	v_lshl_add_u32 v28, v28, 23, v29
	v_or3_b32 v26, v27, v28, v26
	v_lshrrev_b32_e32 v30, 16, v26
.LBB734_306:
	s_or_b64 exec, exec, s[22:23]
.LBB734_307:
	s_or_b64 exec, exec, s[20:21]
.LBB734_308:
	s_or_b64 exec, exec, s[10:11]
	v_lshrrev_b16_e32 v26, 8, v22
	v_cmp_ne_u16_e64 s[2:3], 0, v26
	v_mov_b32_e32 v31, 0
	v_mov_b32_e32 v29, 0
	s_and_saveexec_b64 s[10:11], s[2:3]
	s_cbranch_execz .LBB734_314
; %bb.309:
	s_movk_i32 s2, 0x80
	v_cmp_ne_u16_e64 s[2:3], s2, v26
	v_mov_b32_e32 v29, 0xffff8000
	s_and_saveexec_b64 s[20:21], s[2:3]
	s_cbranch_execz .LBB734_313
; %bb.310:
	s_movk_i32 s2, 0x7f
	v_and_b32_e32 v27, 0x7f, v26
	v_cmp_ne_u32_e64 s[2:3], s2, v27
	v_mov_b32_e32 v29, 0x7f80
	s_and_saveexec_b64 s[22:23], s[2:3]
	s_cbranch_execz .LBB734_312
; %bb.311:
	v_and_b32_e32 v32, 7, v26
	v_ffbh_u32_e32 v28, v32
	v_min_u32_e32 v34, 32, v28
	v_subrev_u32_e32 v28, 28, v34
	v_lshlrev_b64 v[28:29], v28, v[26:27]
	v_lshrrev_b32_e32 v33, 3, v27
	v_sub_u32_e32 v26, 29, v34
	v_and_b32_e32 v28, 7, v28
	v_cmp_gt_u32_e64 s[2:3], 8, v27
	v_cndmask_b32_e64 v26, v33, v26, s[2:3]
	v_cndmask_b32_e64 v27, v32, v28, s[2:3]
	v_lshlrev_b32_e32 v28, 16, v22
	v_bfrev_b32_e32 v29, 60
	v_lshlrev_b32_e32 v27, 20, v27
	v_and_b32_e32 v28, 0x80000000, v28
	v_lshl_add_u32 v26, v26, 23, v29
	v_or3_b32 v26, v28, v26, v27
	v_lshrrev_b32_e32 v29, 16, v26
.LBB734_312:
	s_or_b64 exec, exec, s[22:23]
.LBB734_313:
	s_or_b64 exec, exec, s[20:21]
.LBB734_314:
	s_or_b64 exec, exec, s[10:11]
	s_movk_i32 s2, 0xff
	v_and_b32_sdwa v27, v22, s2 dst_sel:DWORD dst_unused:UNUSED_PAD src0_sel:WORD_1 src1_sel:DWORD
	v_lshrrev_b32_e32 v26, 16, v22
	v_cmp_ne_u16_e64 s[2:3], 0, v27
	s_and_saveexec_b64 s[10:11], s[2:3]
	s_cbranch_execz .LBB734_320
; %bb.315:
	s_movk_i32 s2, 0x80
	v_cmp_ne_u16_e64 s[2:3], s2, v27
	v_mov_b32_e32 v31, 0xffff8000
	s_and_saveexec_b64 s[20:21], s[2:3]
	s_cbranch_execz .LBB734_319
; %bb.316:
	v_bfe_u32 v27, v22, 16, 7
	s_movk_i32 s2, 0x7f
	v_cmp_ne_u32_e64 s[2:3], s2, v27
	v_mov_b32_e32 v31, 0x7f80
	s_and_saveexec_b64 s[22:23], s[2:3]
	s_cbranch_execz .LBB734_318
; %bb.317:
	v_and_b32_e32 v28, 7, v26
	v_ffbh_u32_e32 v32, v28
	v_min_u32_e32 v34, 32, v32
	v_subrev_u32_e32 v32, 28, v34
	v_lshlrev_b64 v[32:33], v32, v[26:27]
	v_and_b32_e32 v32, 7, v32
	v_cmp_gt_u32_e64 s[2:3], 8, v27
	v_lshrrev_b32_e32 v31, 3, v27
	v_sub_u32_e32 v26, 29, v34
	v_cndmask_b32_e64 v27, v28, v32, s[2:3]
	v_mov_b32_e32 v28, 24
	v_cndmask_b32_e64 v26, v31, v26, s[2:3]
	v_lshlrev_b32_sdwa v28, v28, v22 dst_sel:DWORD dst_unused:UNUSED_PAD src0_sel:DWORD src1_sel:WORD_1
	v_bfrev_b32_e32 v31, 60
	v_lshlrev_b32_e32 v27, 20, v27
	v_and_b32_e32 v28, 0x80000000, v28
	v_lshl_add_u32 v26, v26, 23, v31
	v_or3_b32 v26, v28, v26, v27
	v_lshrrev_b32_e32 v31, 16, v26
.LBB734_318:
	s_or_b64 exec, exec, s[22:23]
.LBB734_319:
	s_or_b64 exec, exec, s[20:21]
.LBB734_320:
	s_or_b64 exec, exec, s[10:11]
	s_mov_b32 s2, 0xffffff
	v_cmp_lt_u32_e64 s[2:3], s2, v22
	v_mov_b32_e32 v27, 0
	v_mov_b32_e32 v32, 0
	s_and_saveexec_b64 s[10:11], s[2:3]
	s_cbranch_execz .LBB734_326
; %bb.321:
	v_lshrrev_b32_e32 v26, 24, v22
	s_movk_i32 s2, 0x80
	v_cmp_ne_u32_e64 s[2:3], s2, v26
	v_mov_b32_e32 v32, 0xffff8000
	s_and_saveexec_b64 s[20:21], s[2:3]
	s_cbranch_execz .LBB734_325
; %bb.322:
	v_bfe_u32 v28, v22, 24, 7
	s_movk_i32 s2, 0x7f
	v_cmp_ne_u32_e64 s[2:3], s2, v28
	v_mov_b32_e32 v32, 0x7f80
	s_and_saveexec_b64 s[22:23], s[2:3]
	s_cbranch_execz .LBB734_324
; %bb.323:
	v_and_b32_e32 v34, 7, v26
	v_ffbh_u32_e32 v32, v34
	v_min_u32_e32 v36, 32, v32
	v_subrev_u32_e32 v32, 28, v36
	v_lshlrev_b64 v[32:33], v32, v[26:27]
	v_lshrrev_b32_e32 v35, 3, v28
	v_sub_u32_e32 v33, 29, v36
	v_and_b32_e32 v32, 7, v32
	v_cmp_gt_u32_e64 s[2:3], 8, v28
	v_cndmask_b32_e64 v28, v35, v33, s[2:3]
	v_cndmask_b32_e64 v32, v34, v32, s[2:3]
	v_lshlrev_b32_e32 v26, 24, v26
	v_bfrev_b32_e32 v33, 60
	v_lshlrev_b32_e32 v32, 20, v32
	v_and_b32_e32 v26, 0x80000000, v26
	v_lshl_add_u32 v28, v28, 23, v33
	v_or3_b32 v26, v26, v28, v32
	v_lshrrev_b32_e32 v32, 16, v26
.LBB734_324:
	s_or_b64 exec, exec, s[22:23]
.LBB734_325:
	s_or_b64 exec, exec, s[20:21]
.LBB734_326:
	s_or_b64 exec, exec, s[10:11]
	v_mov_b32_e32 v26, v23
	v_cmp_ne_u16_sdwa s[2:3], v23, v27 src0_sel:BYTE_0 src1_sel:DWORD
	s_and_saveexec_b64 s[10:11], s[2:3]
	s_cbranch_execz .LBB734_332
; %bb.327:
	s_movk_i32 s2, 0x80
	v_cmp_ne_u16_sdwa s[2:3], v23, s2 src0_sel:BYTE_0 src1_sel:DWORD
	v_mov_b32_e32 v28, 0xffff8000
	s_and_saveexec_b64 s[20:21], s[2:3]
	s_cbranch_execz .LBB734_331
; %bb.328:
	s_movk_i32 s2, 0x7f
	v_and_b32_e32 v33, 0x7f, v23
	v_cmp_ne_u32_e64 s[2:3], s2, v33
	v_mov_b32_e32 v28, 0x7f80
	s_and_saveexec_b64 s[22:23], s[2:3]
	s_cbranch_execz .LBB734_330
; %bb.329:
	v_and_b32_e32 v28, 7, v23
	v_ffbh_u32_e32 v28, v28
	v_min_u32_e32 v28, 32, v28
	v_subrev_u32_e32 v35, 28, v28
	v_cmp_gt_u32_e64 s[2:3], 8, v33
	v_lshrrev_b32_e32 v34, 3, v33
	v_sub_u32_e32 v28, 29, v28
	v_cndmask_b32_e64 v33, 0, v35, s[2:3]
	v_cndmask_b32_e64 v28, v34, v28, s[2:3]
	v_lshlrev_b64 v[34:35], v33, v[26:27]
	v_lshlrev_b32_e32 v27, 20, v34
	v_lshlrev_b32_e32 v33, 24, v26
	v_bfrev_b32_e32 v34, 60
	v_and_b32_e32 v27, 0x700000, v27
	v_and_b32_e32 v33, 0x80000000, v33
	v_lshl_add_u32 v28, v28, 23, v34
	v_or3_b32 v27, v33, v28, v27
	v_lshrrev_b32_e32 v28, 16, v27
.LBB734_330:
	s_or_b64 exec, exec, s[22:23]
.LBB734_331:
	s_or_b64 exec, exec, s[20:21]
	v_mov_b32_e32 v27, v28
.LBB734_332:
	s_or_b64 exec, exec, s[10:11]
	v_lshrrev_b16_e32 v28, 8, v26
	v_cmp_ne_u16_e64 s[2:3], 0, v28
	v_mov_b32_e32 v34, 0
	v_mov_b32_e32 v33, 0
	s_and_saveexec_b64 s[10:11], s[2:3]
	s_cbranch_execz .LBB734_338
; %bb.333:
	s_movk_i32 s2, 0x80
	v_cmp_ne_u16_e64 s[2:3], s2, v28
	v_mov_b32_e32 v33, 0xffff8000
	s_and_saveexec_b64 s[20:21], s[2:3]
	s_cbranch_execz .LBB734_337
; %bb.334:
	s_movk_i32 s2, 0x7f
	v_and_b32_e32 v35, 0x7f, v28
	v_cmp_ne_u32_e64 s[2:3], s2, v35
	v_mov_b32_e32 v33, 0x7f80
	s_and_saveexec_b64 s[22:23], s[2:3]
	s_cbranch_execz .LBB734_336
; %bb.335:
	v_and_b32_e32 v33, 7, v28
	v_ffbh_u32_e32 v36, v33
	v_min_u32_e32 v39, 32, v36
	v_subrev_u32_e32 v36, 28, v39
	v_lshlrev_b64 v[36:37], v36, v[28:29]
	v_lshrrev_b32_e32 v38, 3, v35
	v_sub_u32_e32 v28, 29, v39
	v_and_b32_e32 v36, 7, v36
	v_cmp_gt_u32_e64 s[2:3], 8, v35
	v_cndmask_b32_e64 v28, v38, v28, s[2:3]
	v_cndmask_b32_e64 v33, v33, v36, s[2:3]
	v_lshlrev_b32_e32 v26, 16, v26
	v_bfrev_b32_e32 v35, 60
	v_lshlrev_b32_e32 v33, 20, v33
	v_and_b32_e32 v26, 0x80000000, v26
	v_lshl_add_u32 v28, v28, 23, v35
	v_or3_b32 v26, v26, v28, v33
	v_lshrrev_b32_e32 v33, 16, v26
.LBB734_336:
	s_or_b64 exec, exec, s[22:23]
.LBB734_337:
	s_or_b64 exec, exec, s[20:21]
.LBB734_338:
	s_or_b64 exec, exec, s[10:11]
	s_movk_i32 s2, 0xff
	v_and_b32_sdwa v28, v23, s2 dst_sel:DWORD dst_unused:UNUSED_PAD src0_sel:WORD_1 src1_sel:DWORD
	v_lshrrev_b32_e32 v26, 16, v23
	v_cmp_ne_u16_e64 s[2:3], 0, v28
	s_and_saveexec_b64 s[10:11], s[2:3]
	s_cbranch_execz .LBB734_344
; %bb.339:
	s_movk_i32 s2, 0x80
	v_cmp_ne_u16_e64 s[2:3], s2, v28
	v_mov_b32_e32 v34, 0xffff8000
	s_and_saveexec_b64 s[20:21], s[2:3]
	s_cbranch_execz .LBB734_343
; %bb.340:
	v_bfe_u32 v28, v23, 16, 7
	s_movk_i32 s2, 0x7f
	v_cmp_ne_u32_e64 s[2:3], s2, v28
	v_mov_b32_e32 v34, 0x7f80
	s_and_saveexec_b64 s[22:23], s[2:3]
	s_cbranch_execz .LBB734_342
; %bb.341:
	v_and_b32_e32 v36, 7, v26
	v_ffbh_u32_e32 v34, v36
	v_min_u32_e32 v38, 32, v34
	v_subrev_u32_e32 v34, 28, v38
	v_lshlrev_b64 v[34:35], v34, v[26:27]
	v_and_b32_e32 v34, 7, v34
	v_cmp_gt_u32_e64 s[2:3], 8, v28
	v_lshrrev_b32_e32 v37, 3, v28
	v_sub_u32_e32 v26, 29, v38
	v_cndmask_b32_e64 v28, v36, v34, s[2:3]
	v_mov_b32_e32 v34, 24
	v_cndmask_b32_e64 v26, v37, v26, s[2:3]
	v_lshlrev_b32_sdwa v34, v34, v23 dst_sel:DWORD dst_unused:UNUSED_PAD src0_sel:DWORD src1_sel:WORD_1
	v_bfrev_b32_e32 v35, 60
	v_lshlrev_b32_e32 v28, 20, v28
	v_and_b32_e32 v34, 0x80000000, v34
	v_lshl_add_u32 v26, v26, 23, v35
	v_or3_b32 v26, v34, v26, v28
	v_lshrrev_b32_e32 v34, 16, v26
.LBB734_342:
	s_or_b64 exec, exec, s[22:23]
.LBB734_343:
	s_or_b64 exec, exec, s[20:21]
.LBB734_344:
	s_or_b64 exec, exec, s[10:11]
	s_mov_b32 s2, -1
	s_mov_b32 s3, 0xffffff
	v_cmp_lt_u64_e64 s[2:3], s[2:3], v[22:23]
	v_mov_b32_e32 v28, 0
	v_mov_b32_e32 v26, 0
	s_and_saveexec_b64 s[10:11], s[2:3]
	s_cbranch_execz .LBB734_350
; %bb.345:
	v_lshrrev_b32_e32 v22, 24, v23
	s_movk_i32 s2, 0x80
	v_cmp_ne_u32_e64 s[2:3], s2, v22
	v_mov_b32_e32 v26, 0xffff8000
	s_and_saveexec_b64 s[20:21], s[2:3]
	s_cbranch_execz .LBB734_349
; %bb.346:
	v_bfe_u32 v23, v23, 24, 7
	s_movk_i32 s2, 0x7f
	v_cmp_ne_u32_e64 s[2:3], s2, v23
	v_mov_b32_e32 v26, 0x7f80
	s_and_saveexec_b64 s[22:23], s[2:3]
	s_cbranch_execz .LBB734_348
; %bb.347:
	v_and_b32_e32 v26, 7, v22
	v_ffbh_u32_e32 v36, v26
	v_min_u32_e32 v38, 32, v36
	v_subrev_u32_e32 v36, 28, v38
	v_lshlrev_b64 v[36:37], v36, v[22:23]
	v_lshrrev_b32_e32 v35, 3, v23
	v_sub_u32_e32 v37, 29, v38
	v_and_b32_e32 v36, 7, v36
	v_cmp_gt_u32_e64 s[2:3], 8, v23
	v_cndmask_b32_e64 v23, v35, v37, s[2:3]
	v_cndmask_b32_e64 v26, v26, v36, s[2:3]
	v_lshlrev_b32_e32 v22, 24, v22
	v_bfrev_b32_e32 v35, 60
	v_lshlrev_b32_e32 v26, 20, v26
	v_and_b32_e32 v22, 0x80000000, v22
	v_lshl_add_u32 v23, v23, 23, v35
	v_or3_b32 v22, v22, v23, v26
	v_lshrrev_b32_e32 v26, 16, v22
.LBB734_348:
	s_or_b64 exec, exec, s[22:23]
.LBB734_349:
	s_or_b64 exec, exec, s[20:21]
.LBB734_350:
	s_or_b64 exec, exec, s[10:11]
	s_mov_b32 s2, 0x5040100
	v_perm_b32 v23, v32, v31, s2
	v_perm_b32 v22, v29, v30, s2
	;; [unrolled: 1-line block ×4, first 2 shown]
	v_mfma_f32_4x4x4bf16_1k a[0:3], v[18:19], v[22:23], a[0:3] cbsz:4 abid:6
	v_cmp_ne_u16_sdwa s[2:3], v24, v28 src0_sel:BYTE_0 src1_sel:DWORD
	v_mfma_f32_4x4x4bf16_1k a[0:3], v[20:21], v[30:31], a[0:3] cbsz:4 abid:6
	s_and_saveexec_b64 s[10:11], s[2:3]
	s_cbranch_execz .LBB734_356
; %bb.351:
	s_movk_i32 s2, 0x80
	v_cmp_ne_u16_sdwa s[2:3], v24, s2 src0_sel:BYTE_0 src1_sel:DWORD
	v_mov_b32_e32 v28, 0xffff8000
	s_and_saveexec_b64 s[20:21], s[2:3]
	s_cbranch_execz .LBB734_355
; %bb.352:
	s_movk_i32 s2, 0x7f
	v_and_b32_e32 v22, 0x7f, v24
	v_cmp_ne_u32_e64 s[2:3], s2, v22
	v_mov_b32_e32 v28, 0x7f80
	s_and_saveexec_b64 s[22:23], s[2:3]
	s_cbranch_execz .LBB734_354
; %bb.353:
	v_and_b32_e32 v23, 7, v24
	v_ffbh_u32_e32 v23, v23
	v_min_u32_e32 v23, 32, v23
	v_subrev_u32_e32 v27, 28, v23
	v_cmp_gt_u32_e64 s[2:3], 8, v22
	v_lshrrev_b32_e32 v26, 3, v22
	v_sub_u32_e32 v23, 29, v23
	v_cndmask_b32_e64 v22, 0, v27, s[2:3]
	v_cndmask_b32_e64 v26, v26, v23, s[2:3]
	v_lshlrev_b64 v[22:23], v22, v[24:25]
	v_lshlrev_b32_e32 v22, 20, v22
	v_lshlrev_b32_e32 v23, 24, v24
	v_bfrev_b32_e32 v27, 60
	v_and_b32_e32 v22, 0x700000, v22
	v_and_b32_e32 v23, 0x80000000, v23
	v_lshl_add_u32 v26, v26, 23, v27
	v_or3_b32 v22, v23, v26, v22
	v_lshrrev_b32_e32 v28, 16, v22
.LBB734_354:
	s_or_b64 exec, exec, s[22:23]
.LBB734_355:
	s_or_b64 exec, exec, s[20:21]
.LBB734_356:
	s_or_b64 exec, exec, s[10:11]
	v_lshrrev_b16_e32 v22, 8, v24
	v_cmp_ne_u16_e64 s[2:3], 0, v22
	v_mov_b32_e32 v29, 0
	v_mov_b32_e32 v27, 0
	s_and_saveexec_b64 s[10:11], s[2:3]
	s_cbranch_execz .LBB734_362
; %bb.357:
	s_movk_i32 s2, 0x80
	v_cmp_ne_u16_e64 s[2:3], s2, v22
	v_mov_b32_e32 v27, 0xffff8000
	s_and_saveexec_b64 s[20:21], s[2:3]
	s_cbranch_execz .LBB734_361
; %bb.358:
	s_movk_i32 s2, 0x7f
	v_and_b32_e32 v23, 0x7f, v22
	v_cmp_ne_u32_e64 s[2:3], s2, v23
	v_mov_b32_e32 v27, 0x7f80
	s_and_saveexec_b64 s[22:23], s[2:3]
	s_cbranch_execz .LBB734_360
; %bb.359:
	v_and_b32_e32 v30, 7, v22
	v_ffbh_u32_e32 v26, v30
	v_min_u32_e32 v32, 32, v26
	v_subrev_u32_e32 v26, 28, v32
	v_lshlrev_b64 v[26:27], v26, v[22:23]
	v_lshrrev_b32_e32 v31, 3, v23
	v_sub_u32_e32 v22, 29, v32
	v_and_b32_e32 v26, 7, v26
	v_cmp_gt_u32_e64 s[2:3], 8, v23
	v_cndmask_b32_e64 v22, v31, v22, s[2:3]
	v_cndmask_b32_e64 v23, v30, v26, s[2:3]
	v_lshlrev_b32_e32 v26, 16, v24
	v_bfrev_b32_e32 v27, 60
	v_lshlrev_b32_e32 v23, 20, v23
	v_and_b32_e32 v26, 0x80000000, v26
	v_lshl_add_u32 v22, v22, 23, v27
	v_or3_b32 v22, v26, v22, v23
	v_lshrrev_b32_e32 v27, 16, v22
.LBB734_360:
	s_or_b64 exec, exec, s[22:23]
.LBB734_361:
	s_or_b64 exec, exec, s[20:21]
.LBB734_362:
	s_or_b64 exec, exec, s[10:11]
	s_movk_i32 s2, 0xff
	v_and_b32_sdwa v23, v24, s2 dst_sel:DWORD dst_unused:UNUSED_PAD src0_sel:WORD_1 src1_sel:DWORD
	v_lshrrev_b32_e32 v22, 16, v24
	v_cmp_ne_u16_e64 s[2:3], 0, v23
	s_and_saveexec_b64 s[10:11], s[2:3]
	s_cbranch_execz .LBB734_368
; %bb.363:
	s_movk_i32 s2, 0x80
	v_cmp_ne_u16_e64 s[2:3], s2, v23
	v_mov_b32_e32 v29, 0xffff8000
	s_and_saveexec_b64 s[20:21], s[2:3]
	s_cbranch_execz .LBB734_367
; %bb.364:
	v_bfe_u32 v23, v24, 16, 7
	s_movk_i32 s2, 0x7f
	v_cmp_ne_u32_e64 s[2:3], s2, v23
	v_mov_b32_e32 v29, 0x7f80
	s_and_saveexec_b64 s[22:23], s[2:3]
	s_cbranch_execz .LBB734_366
; %bb.365:
	v_and_b32_e32 v26, 7, v22
	v_ffbh_u32_e32 v30, v26
	v_min_u32_e32 v32, 32, v30
	v_subrev_u32_e32 v30, 28, v32
	v_lshlrev_b64 v[30:31], v30, v[22:23]
	v_and_b32_e32 v30, 7, v30
	v_cmp_gt_u32_e64 s[2:3], 8, v23
	v_lshrrev_b32_e32 v29, 3, v23
	v_sub_u32_e32 v22, 29, v32
	v_cndmask_b32_e64 v23, v26, v30, s[2:3]
	v_mov_b32_e32 v26, 24
	v_cndmask_b32_e64 v22, v29, v22, s[2:3]
	v_lshlrev_b32_sdwa v26, v26, v24 dst_sel:DWORD dst_unused:UNUSED_PAD src0_sel:DWORD src1_sel:WORD_1
	v_bfrev_b32_e32 v29, 60
	v_lshlrev_b32_e32 v23, 20, v23
	v_and_b32_e32 v26, 0x80000000, v26
	v_lshl_add_u32 v22, v22, 23, v29
	v_or3_b32 v22, v26, v22, v23
	v_lshrrev_b32_e32 v29, 16, v22
.LBB734_366:
	s_or_b64 exec, exec, s[22:23]
.LBB734_367:
	s_or_b64 exec, exec, s[20:21]
.LBB734_368:
	s_or_b64 exec, exec, s[10:11]
	s_mov_b32 s2, 0xffffff
	v_cmp_lt_u32_e64 s[2:3], s2, v24
	v_mov_b32_e32 v23, 0
	v_mov_b32_e32 v30, 0
	s_and_saveexec_b64 s[10:11], s[2:3]
	s_cbranch_execz .LBB734_374
; %bb.369:
	v_lshrrev_b32_e32 v22, 24, v24
	s_movk_i32 s2, 0x80
	v_cmp_ne_u32_e64 s[2:3], s2, v22
	v_mov_b32_e32 v30, 0xffff8000
	s_and_saveexec_b64 s[20:21], s[2:3]
	s_cbranch_execz .LBB734_373
; %bb.370:
	v_bfe_u32 v26, v24, 24, 7
	s_movk_i32 s2, 0x7f
	v_cmp_ne_u32_e64 s[2:3], s2, v26
	v_mov_b32_e32 v30, 0x7f80
	s_and_saveexec_b64 s[22:23], s[2:3]
	s_cbranch_execz .LBB734_372
; %bb.371:
	v_and_b32_e32 v32, 7, v22
	v_ffbh_u32_e32 v30, v32
	v_min_u32_e32 v34, 32, v30
	v_subrev_u32_e32 v30, 28, v34
	v_lshlrev_b64 v[30:31], v30, v[22:23]
	v_lshrrev_b32_e32 v33, 3, v26
	v_sub_u32_e32 v31, 29, v34
	v_and_b32_e32 v30, 7, v30
	v_cmp_gt_u32_e64 s[2:3], 8, v26
	v_cndmask_b32_e64 v26, v33, v31, s[2:3]
	v_cndmask_b32_e64 v30, v32, v30, s[2:3]
	v_lshlrev_b32_e32 v22, 24, v22
	v_bfrev_b32_e32 v31, 60
	v_lshlrev_b32_e32 v30, 20, v30
	v_and_b32_e32 v22, 0x80000000, v22
	v_lshl_add_u32 v26, v26, 23, v31
	v_or3_b32 v22, v22, v26, v30
	v_lshrrev_b32_e32 v30, 16, v22
.LBB734_372:
	s_or_b64 exec, exec, s[22:23]
.LBB734_373:
	s_or_b64 exec, exec, s[20:21]
.LBB734_374:
	s_or_b64 exec, exec, s[10:11]
	v_mov_b32_e32 v22, v25
	v_cmp_ne_u16_sdwa s[2:3], v25, v23 src0_sel:BYTE_0 src1_sel:DWORD
	s_and_saveexec_b64 s[10:11], s[2:3]
	s_cbranch_execz .LBB734_380
; %bb.375:
	s_movk_i32 s2, 0x80
	v_cmp_ne_u16_sdwa s[2:3], v25, s2 src0_sel:BYTE_0 src1_sel:DWORD
	v_mov_b32_e32 v26, 0xffff8000
	s_and_saveexec_b64 s[20:21], s[2:3]
	s_cbranch_execz .LBB734_379
; %bb.376:
	s_movk_i32 s2, 0x7f
	v_and_b32_e32 v31, 0x7f, v25
	v_cmp_ne_u32_e64 s[2:3], s2, v31
	v_mov_b32_e32 v26, 0x7f80
	s_and_saveexec_b64 s[22:23], s[2:3]
	s_cbranch_execz .LBB734_378
; %bb.377:
	v_and_b32_e32 v26, 7, v25
	v_ffbh_u32_e32 v26, v26
	v_min_u32_e32 v26, 32, v26
	v_subrev_u32_e32 v33, 28, v26
	v_cmp_gt_u32_e64 s[2:3], 8, v31
	v_lshrrev_b32_e32 v32, 3, v31
	v_sub_u32_e32 v26, 29, v26
	v_cndmask_b32_e64 v31, 0, v33, s[2:3]
	v_cndmask_b32_e64 v26, v32, v26, s[2:3]
	v_lshlrev_b64 v[32:33], v31, v[22:23]
	v_lshlrev_b32_e32 v23, 20, v32
	v_lshlrev_b32_e32 v31, 24, v22
	v_bfrev_b32_e32 v32, 60
	v_and_b32_e32 v23, 0x700000, v23
	v_and_b32_e32 v31, 0x80000000, v31
	v_lshl_add_u32 v26, v26, 23, v32
	v_or3_b32 v23, v31, v26, v23
	v_lshrrev_b32_e32 v26, 16, v23
.LBB734_378:
	s_or_b64 exec, exec, s[22:23]
.LBB734_379:
	s_or_b64 exec, exec, s[20:21]
	v_mov_b32_e32 v23, v26
.LBB734_380:
	s_or_b64 exec, exec, s[10:11]
	v_lshrrev_b16_e32 v26, 8, v22
	v_cmp_ne_u16_e64 s[2:3], 0, v26
	v_mov_b32_e32 v32, 0
	v_mov_b32_e32 v31, 0
	s_and_saveexec_b64 s[10:11], s[2:3]
	s_cbranch_execz .LBB734_386
; %bb.381:
	s_movk_i32 s2, 0x80
	v_cmp_ne_u16_e64 s[2:3], s2, v26
	v_mov_b32_e32 v31, 0xffff8000
	s_and_saveexec_b64 s[20:21], s[2:3]
	s_cbranch_execz .LBB734_385
; %bb.382:
	s_movk_i32 s2, 0x7f
	v_and_b32_e32 v33, 0x7f, v26
	v_cmp_ne_u32_e64 s[2:3], s2, v33
	v_mov_b32_e32 v31, 0x7f80
	s_and_saveexec_b64 s[22:23], s[2:3]
	s_cbranch_execz .LBB734_384
; %bb.383:
	v_and_b32_e32 v31, 7, v26
	v_ffbh_u32_e32 v34, v31
	v_min_u32_e32 v37, 32, v34
	v_subrev_u32_e32 v34, 28, v37
	v_lshlrev_b64 v[34:35], v34, v[26:27]
	v_lshrrev_b32_e32 v36, 3, v33
	v_sub_u32_e32 v26, 29, v37
	v_and_b32_e32 v34, 7, v34
	v_cmp_gt_u32_e64 s[2:3], 8, v33
	v_cndmask_b32_e64 v26, v36, v26, s[2:3]
	v_cndmask_b32_e64 v31, v31, v34, s[2:3]
	v_lshlrev_b32_e32 v22, 16, v22
	v_bfrev_b32_e32 v33, 60
	v_lshlrev_b32_e32 v31, 20, v31
	v_and_b32_e32 v22, 0x80000000, v22
	v_lshl_add_u32 v26, v26, 23, v33
	v_or3_b32 v22, v22, v26, v31
	v_lshrrev_b32_e32 v31, 16, v22
.LBB734_384:
	s_or_b64 exec, exec, s[22:23]
.LBB734_385:
	s_or_b64 exec, exec, s[20:21]
.LBB734_386:
	s_or_b64 exec, exec, s[10:11]
	s_movk_i32 s2, 0xff
	v_and_b32_sdwa v26, v25, s2 dst_sel:DWORD dst_unused:UNUSED_PAD src0_sel:WORD_1 src1_sel:DWORD
	v_lshrrev_b32_e32 v22, 16, v25
	v_cmp_ne_u16_e64 s[2:3], 0, v26
	s_and_saveexec_b64 s[10:11], s[2:3]
	s_cbranch_execz .LBB734_392
; %bb.387:
	s_movk_i32 s2, 0x80
	v_cmp_ne_u16_e64 s[2:3], s2, v26
	v_mov_b32_e32 v32, 0xffff8000
	s_and_saveexec_b64 s[20:21], s[2:3]
	s_cbranch_execz .LBB734_391
; %bb.388:
	v_bfe_u32 v26, v25, 16, 7
	s_movk_i32 s2, 0x7f
	v_cmp_ne_u32_e64 s[2:3], s2, v26
	v_mov_b32_e32 v32, 0x7f80
	s_and_saveexec_b64 s[22:23], s[2:3]
	s_cbranch_execz .LBB734_390
; %bb.389:
	v_and_b32_e32 v34, 7, v22
	v_ffbh_u32_e32 v32, v34
	v_min_u32_e32 v36, 32, v32
	v_subrev_u32_e32 v32, 28, v36
	v_lshlrev_b64 v[32:33], v32, v[22:23]
	v_and_b32_e32 v32, 7, v32
	v_cmp_gt_u32_e64 s[2:3], 8, v26
	v_lshrrev_b32_e32 v35, 3, v26
	v_sub_u32_e32 v22, 29, v36
	v_cndmask_b32_e64 v26, v34, v32, s[2:3]
	v_mov_b32_e32 v32, 24
	v_cndmask_b32_e64 v22, v35, v22, s[2:3]
	v_lshlrev_b32_sdwa v32, v32, v25 dst_sel:DWORD dst_unused:UNUSED_PAD src0_sel:DWORD src1_sel:WORD_1
	v_bfrev_b32_e32 v33, 60
	v_lshlrev_b32_e32 v26, 20, v26
	v_and_b32_e32 v32, 0x80000000, v32
	v_lshl_add_u32 v22, v22, 23, v33
	v_or3_b32 v22, v32, v22, v26
	v_lshrrev_b32_e32 v32, 16, v22
.LBB734_390:
	s_or_b64 exec, exec, s[22:23]
.LBB734_391:
	s_or_b64 exec, exec, s[20:21]
.LBB734_392:
	s_or_b64 exec, exec, s[10:11]
	s_mov_b32 s2, -1
	s_mov_b32 s3, 0xffffff
	v_cmp_lt_u64_e64 s[2:3], s[2:3], v[24:25]
	v_mov_b32_e32 v24, 0
	s_and_saveexec_b64 s[10:11], s[2:3]
	s_cbranch_execz .LBB734_398
; %bb.393:
	v_lshrrev_b32_e32 v22, 24, v25
	s_movk_i32 s2, 0x80
	v_cmp_ne_u32_e64 s[2:3], s2, v22
	v_mov_b32_e32 v24, 0xffff8000
	s_and_saveexec_b64 s[20:21], s[2:3]
	s_cbranch_execz .LBB734_397
; %bb.394:
	v_bfe_u32 v25, v25, 24, 7
	s_movk_i32 s2, 0x7f
	v_cmp_ne_u32_e64 s[2:3], s2, v25
	v_mov_b32_e32 v24, 0x7f80
	s_and_saveexec_b64 s[22:23], s[2:3]
	s_cbranch_execz .LBB734_396
; %bb.395:
	v_and_b32_e32 v24, 7, v22
	v_ffbh_u32_e32 v33, v24
	v_min_u32_e32 v33, 32, v33
	v_subrev_u32_e32 v34, 28, v33
	v_lshlrev_b64 v[34:35], v34, v[22:23]
	v_lshrrev_b32_e32 v26, 3, v25
	v_sub_u32_e32 v33, 29, v33
	v_and_b32_e32 v34, 7, v34
	v_cmp_gt_u32_e64 s[2:3], 8, v25
	v_cndmask_b32_e64 v25, v26, v33, s[2:3]
	v_cndmask_b32_e64 v24, v24, v34, s[2:3]
	v_lshlrev_b32_e32 v22, 24, v22
	v_bfrev_b32_e32 v26, 60
	v_lshlrev_b32_e32 v24, 20, v24
	v_and_b32_e32 v22, 0x80000000, v22
	v_lshl_add_u32 v25, v25, 23, v26
	v_or3_b32 v22, v22, v25, v24
	v_lshrrev_b32_e32 v24, 16, v22
.LBB734_396:
	s_or_b64 exec, exec, s[22:23]
.LBB734_397:
	s_or_b64 exec, exec, s[20:21]
.LBB734_398:
	s_or_b64 exec, exec, s[10:11]
	s_mov_b32 s3, 0x5040100
	s_load_dword s2, s[4:5], 0x1c
	v_perm_b32 v29, v30, v29, s3
	v_perm_b32 v28, v27, v28, s3
	s_load_dword s4, s[12:13], 0x0
	v_perm_b32 v25, v24, v32, s3
	v_mfma_f32_4x4x4bf16_1k a[0:3], v[18:19], v[28:29], a[0:3] cbsz:4 abid:7
	v_perm_b32 v24, v31, v23, s3
	s_waitcnt lgkmcnt(0)
	v_mov_b32_e32 v18, s2
	v_mul_f32_e32 v18, s4, v18
	v_mfma_f32_4x4x4bf16_1k a[0:3], v[20:21], v[24:25], a[0:3] cbsz:4 abid:7
	s_nop 4
	v_accvgpr_read_b32 v21, a1
	v_accvgpr_read_b32 v20, a0
	v_pk_mul_f32 v[20:21], v[20:21], v[18:19] op_sel_hi:[1,0]
	v_accvgpr_read_b32 v23, a3
	v_accvgpr_read_b32 v22, a2
	v_pk_mul_f32 v[18:19], v[22:23], v[18:19] op_sel_hi:[1,0]
	v_cndmask_b32_e64 v22, 0, 1.0, vcc
	v_cmp_eq_u32_e32 vcc, 1, v43
	s_nop 0
	v_mfma_f32_4x4x1f32 a[0:3], v20, v22, 0
	v_cndmask_b32_e64 v20, 0, 1.0, vcc
	v_cmp_eq_u32_e32 vcc, 2, v43
	v_mov_b32_e32 v22, 0xff7fffff
	v_mfma_f32_4x4x1f32 a[0:3], v21, v20, a[0:3]
	v_cndmask_b32_e64 v20, 0, 1.0, vcc
	v_cmp_eq_u32_e32 vcc, 3, v43
	s_nop 0
	v_mfma_f32_4x4x1f32 a[0:3], v18, v20, a[0:3]
	v_cndmask_b32_e64 v18, 0, 1.0, vcc
	s_nop 1
	v_mfma_f32_4x4x1f32 a[0:3], v19, v18, a[0:3]
	v_and_b32_e32 v18, -4, v44
	v_cmp_gt_i32_e32 vcc, s7, v18
	v_lshlrev_b32_e32 v19, 2, v0
	v_and_or_b32 v19, v19, 48, v43
	v_lshlrev_b32_e32 v26, 2, v19
	v_accvgpr_read_b32 v20, a0
	v_max_f32_e32 v21, v20, v20
	v_max_f32_e32 v21, 0xff7fffff, v21
	v_accvgpr_read_b32 v23, a1
	v_cndmask_b32_e32 v21, v22, v21, vcc
	v_or_b32_e32 v22, 1, v18
	v_max_f32_e32 v24, v23, v23
	v_max_f32_e32 v24, v21, v24
	v_cmp_gt_i32_e64 s[2:3], s7, v22
	v_accvgpr_read_b32 v22, a2
	v_cndmask_b32_e64 v21, v21, v24, s[2:3]
	v_or_b32_e32 v18, 2, v18
	v_max_f32_e32 v24, v22, v22
	v_max_f32_e32 v24, v21, v24
	v_cmp_gt_i32_e64 s[4:5], s7, v18
	v_cndmask_b32_e64 v18, v21, v24, s[4:5]
	v_accvgpr_read_b32 v24, a3
	v_or_b32_e32 v21, 3, v44
	v_max_f32_e32 v25, v24, v24
	v_max_f32_e32 v25, v18, v25
	v_cmp_gt_i32_e64 s[10:11], s7, v21
	v_cndmask_b32_e64 v18, v18, v25, s[10:11]
	;;#ASMSTART
	v_nop
 v_nop
 v_max_f32_dpp v18, v18, v18 row_ror:4
	;;#ASMEND
	;;#ASMSTART
	v_nop
 v_nop
 v_max_f32_dpp v18, v18, v18 row_ror:8
	;;#ASMEND
	ds_bpermute_b32 v18, v26, v18
	s_waitcnt lgkmcnt(0)
	;;#ASMSTART
	v_nop
 v_nop
 v_max_f32_dpp v18, v18, v18 row_ror:4
	;;#ASMEND
	;;#ASMSTART
	v_nop
 v_nop
 v_max_f32_dpp v25, v18, v18 row_ror:8
	;;#ASMEND
	v_sub_f32_e32 v18, v20, v25
	v_mul_f32_e32 v18, 0x3fb8aa3b, v18
	v_sub_f32_e32 v19, v23, v25
	v_exp_f32_e32 v18, v18
	v_mul_f32_e32 v19, 0x3fb8aa3b, v19
	v_sub_f32_e32 v21, v22, v25
	v_exp_f32_e32 v19, v19
	;; [unrolled: 3-line block ×3, first 2 shown]
	v_mul_f32_e32 v22, 0x3fb8aa3b, v22
	v_exp_f32_e32 v22, v22
	v_cndmask_b32_e32 v18, 0, v18, vcc
	v_add_f32_e32 v20, 0, v18
	v_cndmask_b32_e64 v19, 0, v19, s[2:3]
	v_add_f32_e32 v23, v20, v19
	v_cndmask_b32_e64 v20, 0, v21, s[4:5]
	;; [unrolled: 2-line block ×3, first 2 shown]
	v_add_f32_e32 v22, v23, v21
	;;#ASMSTART
	v_nop
 v_nop
 v_add_f32_dpp v22, v22, v22 row_ror:4
	;;#ASMEND
	;;#ASMSTART
	v_nop
 v_nop
 v_add_f32_dpp v22, v22, v22 row_ror:8
	;;#ASMEND
	ds_bpermute_b32 v22, v26, v22
	s_waitcnt lgkmcnt(0)
	;;#ASMSTART
	v_nop
 v_nop
 v_add_f32_dpp v22, v22, v22 row_ror:4
	;;#ASMEND
	v_cmp_gt_u32_e32 vcc, 4, v42
	;;#ASMSTART
	v_nop
 v_nop
 v_add_f32_dpp v22, v22, v22 row_ror:8
	;;#ASMEND
	s_and_saveexec_b64 s[2:3], vcc
	s_cbranch_execz .LBB734_400
; %bb.399:
	v_mul_u32_u24_e32 v23, 20, v1
	v_lshl_add_u32 v23, v43, 2, v23
	v_add_u32_e32 v23, 0x800, v23
	ds_write2_b32 v23, v25, v22 offset0:128 offset1:148
.LBB734_400:
	s_or_b64 exec, exec, s[2:3]
.LBB734_401:
	s_or_b64 exec, exec, s[36:37]
	s_waitcnt lgkmcnt(0)
	s_barrier
	s_load_dword s2, s[34:35], 0x8
	v_lshlrev_b32_e32 v22, 2, v43
	v_add_u32_e32 v22, 0x800, v22
	ds_read2_b32 v[28:29], v22 offset0:128 offset1:133
	ds_read2_b32 v[30:31], v22 offset0:138 offset1:143
	s_mul_i32 s3, s9, s6
	s_waitcnt lgkmcnt(0)
	s_mul_i32 s2, s3, s2
	s_mov_b32 s3, 0xff7fffff
	v_max3_f32 v23, v28, s3, v29
	v_max3_f32 v26, v23, v30, v31
	v_sub_f32_e32 v23, v28, v26
	ds_read2_b32 v[32:33], v22 offset0:148 offset1:153
	v_mul_f32_e32 v23, 0x3fb8aa3b, v23
	v_sub_f32_e32 v27, v29, v26
	v_exp_f32_e32 v24, v23
	v_mul_f32_e32 v27, 0x3fb8aa3b, v27
	ds_read2_b32 v[28:29], v22 offset0:158 offset1:163
	v_sub_f32_e32 v22, v30, v26
	v_exp_f32_e32 v34, v27
	v_mul_f32_e32 v22, 0x3fb8aa3b, v22
	v_sub_f32_e32 v27, v31, v26
	v_exp_f32_e32 v22, v22
	v_mul_f32_e32 v27, 0x3fb8aa3b, v27
	v_exp_f32_e32 v30, v27
	s_waitcnt lgkmcnt(1)
	v_fma_f32 v27, v24, v32, 0
	v_fmac_f32_e32 v27, v34, v33
	s_waitcnt lgkmcnt(0)
	v_fmac_f32_e32 v27, v22, v28
	v_mov_b32_e32 v23, 0
	v_fmac_f32_e32 v27, v30, v29
	s_mov_b32 s3, 0
	v_cmp_eq_u32_e32 vcc, 0, v43
	s_and_saveexec_b64 s[4:5], vcc
	s_cbranch_execz .LBB734_403
; %bb.402:
	s_lshl_b64 s[6:7], s[2:3], 2
	s_add_u32 s12, s16, s6
	s_mov_b32 s29, s3
	s_addc_u32 s13, s17, s7
	s_lshl_b64 s[10:11], s[28:29], 2
	s_add_u32 s12, s12, s10
	s_addc_u32 s13, s13, s11
	s_add_u32 s6, s18, s6
	s_addc_u32 s7, s19, s7
	;; [unrolled: 2-line block ×3, first 2 shown]
	s_mul_i32 s6, s9, s8
	s_mov_b32 s7, s3
	s_lshl_b64 s[6:7], s[6:7], 2
	s_add_u32 s10, s12, s6
	s_addc_u32 s11, s13, s7
	s_add_u32 s6, s16, s6
	s_addc_u32 s7, s17, s7
	global_store_dword v23, v26, s[6:7]
	global_store_dword v23, v27, s[10:11]
.LBB734_403:
	s_or_b64 exec, exec, s[4:5]
	v_mov_b32_e32 v22, 0
	s_and_saveexec_b64 s[4:5], s[0:1]
	s_cbranch_execz .LBB734_789
; %bb.404:
	v_mov_b32_e32 v28, 0
	s_waitcnt vmcnt(2)
	v_cmp_ne_u16_sdwa s[6:7], v14, v28 src0_sel:BYTE_0 src1_sel:DWORD
	v_mov_b32_e32 v29, 0
	s_and_saveexec_b64 s[0:1], s[6:7]
	s_cbranch_execz .LBB734_410
; %bb.405:
	s_movk_i32 s3, 0x80
	v_cmp_ne_u16_sdwa s[10:11], v14, s3 src0_sel:BYTE_0 src1_sel:DWORD
	v_mov_b32_e32 v29, 0xffff8000
	s_and_saveexec_b64 s[6:7], s[10:11]
	s_cbranch_execz .LBB734_409
; %bb.406:
	s_movk_i32 s3, 0x7f
	v_and_b32_e32 v22, 0x7f, v14
	v_cmp_ne_u32_e32 vcc, s3, v22
	v_mov_b32_e32 v29, 0x7f80
	s_and_saveexec_b64 s[10:11], vcc
	s_cbranch_execz .LBB734_408
; %bb.407:
	v_and_b32_e32 v23, 7, v14
	v_ffbh_u32_e32 v23, v23
	v_min_u32_e32 v23, 32, v23
	v_subrev_u32_e32 v29, 28, v23
	v_cmp_gt_u32_e32 vcc, 8, v22
	v_lshrrev_b32_e32 v24, 3, v22
	v_sub_u32_e32 v23, 29, v23
	v_cndmask_b32_e32 v22, 0, v29, vcc
	v_cndmask_b32_e32 v24, v24, v23, vcc
	v_lshlrev_b64 v[22:23], v22, v[14:15]
	v_lshlrev_b32_e32 v22, 20, v22
	v_lshlrev_b32_e32 v23, 24, v14
	v_bfrev_b32_e32 v29, 60
	v_and_b32_e32 v22, 0x700000, v22
	v_and_b32_e32 v23, 0x80000000, v23
	v_lshl_add_u32 v24, v24, 23, v29
	v_or3_b32 v22, v23, v24, v22
	v_lshrrev_b32_e32 v29, 16, v22
.LBB734_408:
	s_or_b64 exec, exec, s[10:11]
.LBB734_409:
	s_or_b64 exec, exec, s[6:7]
.LBB734_410:
	s_or_b64 exec, exec, s[0:1]
	v_lshrrev_b16_e32 v22, 8, v14
	v_cmp_ne_u16_e32 vcc, 0, v22
	s_and_saveexec_b64 s[0:1], vcc
	s_cbranch_execz .LBB734_416
; %bb.411:
	s_movk_i32 s3, 0x80
	v_cmp_ne_u16_e32 vcc, s3, v22
	v_mov_b32_e32 v28, 0xffff8000
	s_and_saveexec_b64 s[6:7], vcc
	s_cbranch_execz .LBB734_415
; %bb.412:
	s_movk_i32 s3, 0x7f
	v_and_b32_e32 v23, 0x7f, v22
	v_cmp_ne_u32_e32 vcc, s3, v23
	v_mov_b32_e32 v28, 0x7f80
	s_and_saveexec_b64 s[10:11], vcc
	s_cbranch_execz .LBB734_414
; %bb.413:
	v_and_b32_e32 v24, 7, v22
	v_ffbh_u32_e32 v30, v24
	v_min_u32_e32 v32, 32, v30
	v_subrev_u32_e32 v30, 28, v32
	v_lshlrev_b64 v[30:31], v30, v[22:23]
	v_lshrrev_b32_e32 v28, 3, v23
	v_sub_u32_e32 v22, 29, v32
	v_and_b32_e32 v30, 7, v30
	v_cmp_gt_u32_e32 vcc, 8, v23
	v_cndmask_b32_e32 v22, v28, v22, vcc
	v_cndmask_b32_e32 v23, v24, v30, vcc
	v_lshlrev_b32_e32 v24, 16, v14
	v_bfrev_b32_e32 v28, 60
	v_lshlrev_b32_e32 v23, 20, v23
	v_and_b32_e32 v24, 0x80000000, v24
	v_lshl_add_u32 v22, v22, 23, v28
	v_or3_b32 v22, v24, v22, v23
	v_lshrrev_b32_e32 v28, 16, v22
.LBB734_414:
	s_or_b64 exec, exec, s[10:11]
.LBB734_415:
	s_or_b64 exec, exec, s[6:7]
.LBB734_416:
	s_or_b64 exec, exec, s[0:1]
	s_movk_i32 s0, 0xff
	v_and_b32_sdwa v24, v14, s0 dst_sel:DWORD dst_unused:UNUSED_PAD src0_sel:WORD_1 src1_sel:DWORD
	v_lshrrev_b32_e32 v22, 16, v14
	v_cmp_ne_u16_e32 vcc, 0, v24
	v_mov_b32_e32 v23, 0
	v_mov_b32_e32 v30, 0
	s_and_saveexec_b64 s[0:1], vcc
	s_cbranch_execz .LBB734_422
; %bb.417:
	s_movk_i32 s3, 0x80
	v_cmp_ne_u16_e32 vcc, s3, v24
	v_mov_b32_e32 v30, 0xffff8000
	s_and_saveexec_b64 s[6:7], vcc
	s_cbranch_execz .LBB734_421
; %bb.418:
	v_bfe_u32 v24, v14, 16, 7
	s_movk_i32 s3, 0x7f
	v_cmp_ne_u32_e32 vcc, s3, v24
	v_mov_b32_e32 v30, 0x7f80
	s_and_saveexec_b64 s[10:11], vcc
	s_cbranch_execz .LBB734_420
; %bb.419:
	v_and_b32_e32 v32, 7, v22
	v_ffbh_u32_e32 v30, v32
	v_min_u32_e32 v34, 32, v30
	v_subrev_u32_e32 v30, 28, v34
	v_lshlrev_b64 v[30:31], v30, v[22:23]
	v_and_b32_e32 v30, 7, v30
	v_cmp_gt_u32_e32 vcc, 8, v24
	v_lshrrev_b32_e32 v33, 3, v24
	v_sub_u32_e32 v22, 29, v34
	v_cndmask_b32_e32 v24, v32, v30, vcc
	v_mov_b32_e32 v30, 24
	v_cndmask_b32_e32 v22, v33, v22, vcc
	v_lshlrev_b32_sdwa v30, v30, v14 dst_sel:DWORD dst_unused:UNUSED_PAD src0_sel:DWORD src1_sel:WORD_1
	v_bfrev_b32_e32 v31, 60
	v_lshlrev_b32_e32 v24, 20, v24
	v_and_b32_e32 v30, 0x80000000, v30
	v_lshl_add_u32 v22, v22, 23, v31
	v_or3_b32 v22, v30, v22, v24
	v_lshrrev_b32_e32 v30, 16, v22
.LBB734_420:
	s_or_b64 exec, exec, s[10:11]
.LBB734_421:
	s_or_b64 exec, exec, s[6:7]
.LBB734_422:
	s_or_b64 exec, exec, s[0:1]
	s_mov_b32 s0, 0xffffff
	v_cmp_lt_u32_e32 vcc, s0, v14
	v_mov_b32_e32 v31, 0
	s_and_saveexec_b64 s[0:1], vcc
	s_cbranch_execz .LBB734_428
; %bb.423:
	v_lshrrev_b32_e32 v22, 24, v14
	s_movk_i32 s3, 0x80
	v_cmp_ne_u32_e32 vcc, s3, v22
	v_mov_b32_e32 v31, 0xffff8000
	s_and_saveexec_b64 s[6:7], vcc
	s_cbranch_execz .LBB734_427
; %bb.424:
	v_bfe_u32 v24, v14, 24, 7
	s_movk_i32 s3, 0x7f
	v_cmp_ne_u32_e32 vcc, s3, v24
	v_mov_b32_e32 v31, 0x7f80
	s_and_saveexec_b64 s[10:11], vcc
	s_cbranch_execz .LBB734_426
; %bb.425:
	v_and_b32_e32 v31, 7, v22
	v_ffbh_u32_e32 v32, v31
	v_min_u32_e32 v35, 32, v32
	v_subrev_u32_e32 v32, 28, v35
	v_lshlrev_b64 v[32:33], v32, v[22:23]
	v_lshrrev_b32_e32 v34, 3, v24
	v_sub_u32_e32 v33, 29, v35
	v_and_b32_e32 v32, 7, v32
	v_cmp_gt_u32_e32 vcc, 8, v24
	v_cndmask_b32_e32 v24, v34, v33, vcc
	v_cndmask_b32_e32 v31, v31, v32, vcc
	v_lshlrev_b32_e32 v22, 24, v22
	v_bfrev_b32_e32 v32, 60
	v_lshlrev_b32_e32 v31, 20, v31
	v_and_b32_e32 v22, 0x80000000, v22
	v_lshl_add_u32 v24, v24, 23, v32
	v_or3_b32 v22, v22, v24, v31
	v_lshrrev_b32_e32 v31, 16, v22
.LBB734_426:
	s_or_b64 exec, exec, s[10:11]
.LBB734_427:
	s_or_b64 exec, exec, s[6:7]
.LBB734_428:
	s_or_b64 exec, exec, s[0:1]
	v_mov_b32_e32 v32, 0
	v_mov_b32_e32 v22, v15
	v_cmp_ne_u16_sdwa s[6:7], v15, v32 src0_sel:BYTE_0 src1_sel:DWORD
	v_mov_b32_e32 v33, 0
	s_and_saveexec_b64 s[0:1], s[6:7]
	s_cbranch_execz .LBB734_434
; %bb.429:
	s_movk_i32 s3, 0x80
	v_cmp_ne_u16_sdwa s[10:11], v15, s3 src0_sel:BYTE_0 src1_sel:DWORD
	v_mov_b32_e32 v33, 0xffff8000
	s_and_saveexec_b64 s[6:7], s[10:11]
	s_cbranch_execz .LBB734_433
; %bb.430:
	s_movk_i32 s3, 0x7f
	v_and_b32_e32 v24, 0x7f, v15
	v_cmp_ne_u32_e32 vcc, s3, v24
	v_mov_b32_e32 v33, 0x7f80
	s_and_saveexec_b64 s[10:11], vcc
	s_cbranch_execz .LBB734_432
; %bb.431:
	v_and_b32_e32 v33, 7, v15
	v_ffbh_u32_e32 v33, v33
	v_min_u32_e32 v33, 32, v33
	v_lshrrev_b32_e32 v34, 3, v24
	v_subrev_u32_e32 v35, 28, v33
	v_sub_u32_e32 v33, 29, v33
	v_cmp_gt_u32_e32 vcc, 8, v24
	v_cndmask_b32_e32 v24, v34, v33, vcc
	v_cndmask_b32_e32 v33, 0, v35, vcc
	v_lshlrev_b64 v[34:35], v33, v[22:23]
	v_lshlrev_b32_e32 v23, 20, v34
	v_lshlrev_b32_e32 v33, 24, v22
	v_bfrev_b32_e32 v34, 60
	v_and_b32_e32 v23, 0x700000, v23
	v_and_b32_e32 v33, 0x80000000, v33
	v_lshl_add_u32 v24, v24, 23, v34
	v_or3_b32 v23, v33, v24, v23
	v_lshrrev_b32_e32 v33, 16, v23
.LBB734_432:
	s_or_b64 exec, exec, s[10:11]
.LBB734_433:
	s_or_b64 exec, exec, s[6:7]
.LBB734_434:
	s_or_b64 exec, exec, s[0:1]
	v_lshrrev_b16_e32 v24, 8, v22
	v_cmp_ne_u16_e32 vcc, 0, v24
	s_and_saveexec_b64 s[0:1], vcc
	s_cbranch_execz .LBB734_440
; %bb.435:
	s_movk_i32 s3, 0x80
	v_cmp_ne_u16_e32 vcc, s3, v24
	v_mov_b32_e32 v32, 0xffff8000
	s_and_saveexec_b64 s[6:7], vcc
	s_cbranch_execz .LBB734_439
; %bb.436:
	s_movk_i32 s3, 0x7f
	v_and_b32_e32 v23, 0x7f, v24
	v_cmp_ne_u32_e32 vcc, s3, v23
	v_mov_b32_e32 v32, 0x7f80
	s_and_saveexec_b64 s[10:11], vcc
	s_cbranch_execz .LBB734_438
; %bb.437:
	v_and_b32_e32 v32, 7, v24
	v_ffbh_u32_e32 v34, v32
	v_min_u32_e32 v37, 32, v34
	v_subrev_u32_e32 v34, 28, v37
	v_lshlrev_b64 v[34:35], v34, v[24:25]
	v_lshrrev_b32_e32 v36, 3, v23
	v_sub_u32_e32 v24, 29, v37
	v_and_b32_e32 v34, 7, v34
	v_cmp_gt_u32_e32 vcc, 8, v23
	v_cndmask_b32_e32 v23, v36, v24, vcc
	v_cndmask_b32_e32 v24, v32, v34, vcc
	v_lshlrev_b32_e32 v22, 16, v22
	v_bfrev_b32_e32 v32, 60
	v_lshlrev_b32_e32 v24, 20, v24
	v_and_b32_e32 v22, 0x80000000, v22
	v_lshl_add_u32 v23, v23, 23, v32
	v_or3_b32 v22, v22, v23, v24
	v_lshrrev_b32_e32 v32, 16, v22
.LBB734_438:
	s_or_b64 exec, exec, s[10:11]
.LBB734_439:
	s_or_b64 exec, exec, s[6:7]
.LBB734_440:
	s_or_b64 exec, exec, s[0:1]
	s_movk_i32 s0, 0xff
	v_and_b32_sdwa v34, v15, s0 dst_sel:DWORD dst_unused:UNUSED_PAD src0_sel:WORD_1 src1_sel:DWORD
	v_lshrrev_b32_e32 v22, 16, v15
	v_cmp_ne_u16_e32 vcc, 0, v34
	v_mov_b32_e32 v23, 0
	v_mov_b32_e32 v24, 0
	s_and_saveexec_b64 s[0:1], vcc
	s_cbranch_execz .LBB734_446
; %bb.441:
	s_movk_i32 s3, 0x80
	v_cmp_ne_u16_e32 vcc, s3, v34
	v_mov_b32_e32 v24, 0xffff8000
	s_and_saveexec_b64 s[6:7], vcc
	s_cbranch_execz .LBB734_445
; %bb.442:
	v_bfe_u32 v34, v15, 16, 7
	s_movk_i32 s3, 0x7f
	v_cmp_ne_u32_e32 vcc, s3, v34
	v_mov_b32_e32 v24, 0x7f80
	s_and_saveexec_b64 s[10:11], vcc
	s_cbranch_execz .LBB734_444
; %bb.443:
	v_and_b32_e32 v24, 7, v22
	v_ffbh_u32_e32 v36, v24
	v_min_u32_e32 v38, 32, v36
	v_subrev_u32_e32 v36, 28, v38
	v_lshlrev_b64 v[36:37], v36, v[22:23]
	v_lshrrev_b32_e32 v35, 3, v34
	v_sub_u32_e32 v22, 29, v38
	v_and_b32_e32 v36, 7, v36
	v_cmp_gt_u32_e32 vcc, 8, v34
	v_mov_b32_e32 v34, 24
	v_cndmask_b32_e32 v22, v35, v22, vcc
	v_cndmask_b32_e32 v24, v24, v36, vcc
	v_lshlrev_b32_sdwa v34, v34, v15 dst_sel:DWORD dst_unused:UNUSED_PAD src0_sel:DWORD src1_sel:WORD_1
	v_bfrev_b32_e32 v35, 60
	v_lshlrev_b32_e32 v24, 20, v24
	v_and_b32_e32 v34, 0x80000000, v34
	v_lshl_add_u32 v22, v22, 23, v35
	v_or3_b32 v22, v34, v22, v24
	v_lshrrev_b32_e32 v24, 16, v22
.LBB734_444:
	s_or_b64 exec, exec, s[10:11]
.LBB734_445:
	s_or_b64 exec, exec, s[6:7]
.LBB734_446:
	s_or_b64 exec, exec, s[0:1]
	s_mov_b32 s0, -1
	s_mov_b32 s1, 0xffffff
	v_cmp_lt_u64_e32 vcc, s[0:1], v[14:15]
	s_and_saveexec_b64 s[0:1], vcc
	s_cbranch_execz .LBB734_452
; %bb.447:
	v_lshrrev_b32_e32 v14, 24, v15
	s_movk_i32 s3, 0x80
	v_cmp_ne_u32_e32 vcc, s3, v14
	v_mov_b32_e32 v23, 0xffff8000
	s_and_saveexec_b64 s[6:7], vcc
	s_cbranch_execz .LBB734_451
; %bb.448:
	v_bfe_u32 v15, v15, 24, 7
	s_movk_i32 s3, 0x7f
	v_cmp_ne_u32_e32 vcc, s3, v15
	v_mov_b32_e32 v23, 0x7f80
	s_and_saveexec_b64 s[10:11], vcc
	s_cbranch_execz .LBB734_450
; %bb.449:
	v_and_b32_e32 v34, 7, v14
	v_ffbh_u32_e32 v22, v34
	v_min_u32_e32 v36, 32, v22
	v_subrev_u32_e32 v22, 28, v36
	v_lshlrev_b64 v[22:23], v22, v[14:15]
	v_lshrrev_b32_e32 v35, 3, v15
	v_sub_u32_e32 v23, 29, v36
	v_and_b32_e32 v22, 7, v22
	v_cmp_gt_u32_e32 vcc, 8, v15
	v_cndmask_b32_e32 v15, v35, v23, vcc
	v_cndmask_b32_e32 v22, v34, v22, vcc
	v_lshlrev_b32_e32 v14, 24, v14
	v_bfrev_b32_e32 v23, 60
	v_lshlrev_b32_e32 v22, 20, v22
	v_and_b32_e32 v14, 0x80000000, v14
	v_lshl_add_u32 v15, v15, 23, v23
	v_or3_b32 v14, v14, v15, v22
	v_lshrrev_b32_e32 v23, 16, v14
.LBB734_450:
	s_or_b64 exec, exec, s[10:11]
.LBB734_451:
	s_or_b64 exec, exec, s[6:7]
.LBB734_452:
	s_or_b64 exec, exec, s[0:1]
	v_add_f32_e32 v14, 0x358637bd, v27
	v_div_scale_f32 v15, s[0:1], v14, v14, 1.0
	v_rcp_f32_e32 v22, v15
	v_div_scale_f32 v27, vcc, 1.0, v14, 1.0
	v_sub_f32_e32 v25, v25, v26
	v_fma_f32 v34, -v15, v22, 1.0
	v_fmac_f32_e32 v22, v34, v22
	v_mul_f32_e32 v34, v27, v22
	v_fma_f32 v35, -v15, v34, v27
	v_mul_f32_e32 v25, 0x3fb8aa3b, v25
	v_fmac_f32_e32 v34, v35, v22
	v_exp_f32_e32 v25, v25
	v_fma_f32 v15, -v15, v34, v27
	v_div_fmas_f32 v15, v15, v22, v34
	v_div_fixup_f32 v14, v15, v14, 1.0
	v_mul_f32_e32 v14, v25, v14
	v_pk_mul_f32 v[20:21], v[20:21], v[14:15] op_sel_hi:[1,0]
	v_pk_mul_f32 v[14:15], v[18:19], v[14:15] op_sel_hi:[1,0]
	v_bfe_u32 v18, v15, 16, 1
	v_bfe_u32 v19, v14, 16, 1
	s_movk_i32 s0, 0x7fff
	v_add3_u32 v14, v14, v19, s0
	v_add3_u32 v15, v15, v18, s0
	s_mov_b32 s1, 0x7060302
	v_perm_b32 v14, v15, v14, s1
	v_bfe_u32 v15, v21, 16, 1
	v_bfe_u32 v18, v20, 16, 1
	v_add3_u32 v18, v20, v18, s0
	v_add3_u32 v15, v21, v15, s0
	v_perm_b32 v15, v15, v18, s1
	s_mov_b32 s0, 0x5040100
	v_perm_b32 v19, v31, v30, s0
	v_perm_b32 v18, v28, v29, s0
	;; [unrolled: 1-line block ×4, first 2 shown]
	v_mfma_f32_4x4x4bf16_1k a[0:3], v[14:15], v[18:19], 0 cbsz:4
	v_mov_b32_e32 v21, 0
	v_mfma_f32_4x4x4bf16_1k a[0:3], v[14:15], v[22:23], a[0:3] cbsz:4 abid:1
	v_mov_b32_e32 v22, 0
	v_cmp_ne_u16_sdwa s[6:7], v16, v22 src0_sel:BYTE_0 src1_sel:DWORD
	s_and_saveexec_b64 s[0:1], s[6:7]
	s_cbranch_execz .LBB734_458
; %bb.453:
	s_movk_i32 s3, 0x80
	v_cmp_ne_u16_sdwa s[10:11], v16, s3 src0_sel:BYTE_0 src1_sel:DWORD
	v_mov_b32_e32 v21, 0xffff8000
	s_and_saveexec_b64 s[6:7], s[10:11]
	s_cbranch_execz .LBB734_457
; %bb.454:
	s_movk_i32 s3, 0x7f
	v_and_b32_e32 v18, 0x7f, v16
	v_cmp_ne_u32_e32 vcc, s3, v18
	v_mov_b32_e32 v21, 0x7f80
	s_and_saveexec_b64 s[10:11], vcc
	s_cbranch_execz .LBB734_456
; %bb.455:
	v_and_b32_e32 v19, 7, v16
	v_ffbh_u32_e32 v19, v19
	v_min_u32_e32 v19, 32, v19
	v_subrev_u32_e32 v21, 28, v19
	v_cmp_gt_u32_e32 vcc, 8, v18
	v_lshrrev_b32_e32 v20, 3, v18
	v_sub_u32_e32 v19, 29, v19
	v_cndmask_b32_e32 v18, 0, v21, vcc
	v_cndmask_b32_e32 v20, v20, v19, vcc
	v_lshlrev_b64 v[18:19], v18, v[16:17]
	v_lshlrev_b32_e32 v18, 20, v18
	v_lshlrev_b32_e32 v19, 24, v16
	v_bfrev_b32_e32 v21, 60
	v_and_b32_e32 v18, 0x700000, v18
	v_and_b32_e32 v19, 0x80000000, v19
	v_lshl_add_u32 v20, v20, 23, v21
	v_or3_b32 v18, v19, v20, v18
	v_lshrrev_b32_e32 v21, 16, v18
.LBB734_456:
	s_or_b64 exec, exec, s[10:11]
.LBB734_457:
	s_or_b64 exec, exec, s[6:7]
.LBB734_458:
	s_or_b64 exec, exec, s[0:1]
	v_lshrrev_b16_e32 v18, 8, v16
	v_cmp_ne_u16_e32 vcc, 0, v18
	s_and_saveexec_b64 s[0:1], vcc
	s_cbranch_execz .LBB734_464
; %bb.459:
	s_movk_i32 s3, 0x80
	v_cmp_ne_u16_e32 vcc, s3, v18
	v_mov_b32_e32 v22, 0xffff8000
	s_and_saveexec_b64 s[6:7], vcc
	s_cbranch_execz .LBB734_463
; %bb.460:
	s_movk_i32 s3, 0x7f
	v_and_b32_e32 v19, 0x7f, v18
	v_cmp_ne_u32_e32 vcc, s3, v19
	v_mov_b32_e32 v22, 0x7f80
	s_and_saveexec_b64 s[10:11], vcc
	s_cbranch_execz .LBB734_462
; %bb.461:
	v_and_b32_e32 v20, 7, v18
	v_ffbh_u32_e32 v22, v20
	v_min_u32_e32 v25, 32, v22
	v_subrev_u32_e32 v22, 28, v25
	v_lshlrev_b64 v[22:23], v22, v[18:19]
	v_lshrrev_b32_e32 v24, 3, v19
	v_sub_u32_e32 v18, 29, v25
	v_and_b32_e32 v22, 7, v22
	v_cmp_gt_u32_e32 vcc, 8, v19
	v_cndmask_b32_e32 v18, v24, v18, vcc
	v_cndmask_b32_e32 v19, v20, v22, vcc
	v_lshlrev_b32_e32 v20, 16, v16
	v_bfrev_b32_e32 v22, 60
	v_lshlrev_b32_e32 v19, 20, v19
	v_and_b32_e32 v20, 0x80000000, v20
	v_lshl_add_u32 v18, v18, 23, v22
	v_or3_b32 v18, v20, v18, v19
	v_lshrrev_b32_e32 v22, 16, v18
.LBB734_462:
	s_or_b64 exec, exec, s[10:11]
.LBB734_463:
	s_or_b64 exec, exec, s[6:7]
.LBB734_464:
	s_or_b64 exec, exec, s[0:1]
	s_movk_i32 s0, 0xff
	v_and_b32_sdwa v20, v16, s0 dst_sel:DWORD dst_unused:UNUSED_PAD src0_sel:WORD_1 src1_sel:DWORD
	v_lshrrev_b32_e32 v18, 16, v16
	v_cmp_ne_u16_e32 vcc, 0, v20
	v_mov_b32_e32 v19, 0
	v_mov_b32_e32 v23, 0
	s_and_saveexec_b64 s[0:1], vcc
	s_cbranch_execz .LBB734_470
; %bb.465:
	s_movk_i32 s3, 0x80
	v_cmp_ne_u16_e32 vcc, s3, v20
	v_mov_b32_e32 v23, 0xffff8000
	s_and_saveexec_b64 s[6:7], vcc
	s_cbranch_execz .LBB734_469
; %bb.466:
	v_bfe_u32 v20, v16, 16, 7
	s_movk_i32 s3, 0x7f
	v_cmp_ne_u32_e32 vcc, s3, v20
	v_mov_b32_e32 v23, 0x7f80
	s_and_saveexec_b64 s[10:11], vcc
	s_cbranch_execz .LBB734_468
; %bb.467:
	v_and_b32_e32 v23, 7, v18
	v_ffbh_u32_e32 v24, v23
	v_min_u32_e32 v27, 32, v24
	v_subrev_u32_e32 v24, 28, v27
	v_lshlrev_b64 v[24:25], v24, v[18:19]
	v_and_b32_e32 v24, 7, v24
	v_cmp_gt_u32_e32 vcc, 8, v20
	v_lshrrev_b32_e32 v26, 3, v20
	v_sub_u32_e32 v18, 29, v27
	v_cndmask_b32_e32 v20, v23, v24, vcc
	v_mov_b32_e32 v23, 24
	v_cndmask_b32_e32 v18, v26, v18, vcc
	v_lshlrev_b32_sdwa v23, v23, v16 dst_sel:DWORD dst_unused:UNUSED_PAD src0_sel:DWORD src1_sel:WORD_1
	v_bfrev_b32_e32 v24, 60
	v_lshlrev_b32_e32 v20, 20, v20
	v_and_b32_e32 v23, 0x80000000, v23
	v_lshl_add_u32 v18, v18, 23, v24
	v_or3_b32 v18, v23, v18, v20
	v_lshrrev_b32_e32 v23, 16, v18
.LBB734_468:
	s_or_b64 exec, exec, s[10:11]
.LBB734_469:
	s_or_b64 exec, exec, s[6:7]
.LBB734_470:
	s_or_b64 exec, exec, s[0:1]
	s_mov_b32 s0, 0xffffff
	v_cmp_lt_u32_e32 vcc, s0, v16
	v_mov_b32_e32 v24, 0
	s_and_saveexec_b64 s[0:1], vcc
	s_cbranch_execz .LBB734_476
; %bb.471:
	v_lshrrev_b32_e32 v18, 24, v16
	s_movk_i32 s3, 0x80
	v_cmp_ne_u32_e32 vcc, s3, v18
	v_mov_b32_e32 v24, 0xffff8000
	s_and_saveexec_b64 s[6:7], vcc
	s_cbranch_execz .LBB734_475
; %bb.472:
	v_bfe_u32 v20, v16, 24, 7
	s_movk_i32 s3, 0x7f
	v_cmp_ne_u32_e32 vcc, s3, v20
	v_mov_b32_e32 v24, 0x7f80
	s_and_saveexec_b64 s[10:11], vcc
	s_cbranch_execz .LBB734_474
; %bb.473:
	v_and_b32_e32 v26, 7, v18
	v_ffbh_u32_e32 v24, v26
	v_min_u32_e32 v28, 32, v24
	v_subrev_u32_e32 v24, 28, v28
	v_lshlrev_b64 v[24:25], v24, v[18:19]
	v_lshrrev_b32_e32 v27, 3, v20
	v_sub_u32_e32 v25, 29, v28
	v_and_b32_e32 v24, 7, v24
	v_cmp_gt_u32_e32 vcc, 8, v20
	v_cndmask_b32_e32 v20, v27, v25, vcc
	v_cndmask_b32_e32 v24, v26, v24, vcc
	v_lshlrev_b32_e32 v18, 24, v18
	v_bfrev_b32_e32 v25, 60
	v_lshlrev_b32_e32 v24, 20, v24
	v_and_b32_e32 v18, 0x80000000, v18
	v_lshl_add_u32 v20, v20, 23, v25
	v_or3_b32 v18, v18, v20, v24
	v_lshrrev_b32_e32 v24, 16, v18
.LBB734_474:
	s_or_b64 exec, exec, s[10:11]
.LBB734_475:
	s_or_b64 exec, exec, s[6:7]
.LBB734_476:
	s_or_b64 exec, exec, s[0:1]
	v_mov_b32_e32 v25, 0
	v_mov_b32_e32 v18, v17
	v_cmp_ne_u16_sdwa s[6:7], v17, v25 src0_sel:BYTE_0 src1_sel:DWORD
	v_mov_b32_e32 v26, 0
	s_and_saveexec_b64 s[0:1], s[6:7]
	s_cbranch_execz .LBB734_482
; %bb.477:
	s_movk_i32 s3, 0x80
	v_cmp_ne_u16_sdwa s[10:11], v17, s3 src0_sel:BYTE_0 src1_sel:DWORD
	v_mov_b32_e32 v26, 0xffff8000
	s_and_saveexec_b64 s[6:7], s[10:11]
	s_cbranch_execz .LBB734_481
; %bb.478:
	s_movk_i32 s3, 0x7f
	v_and_b32_e32 v20, 0x7f, v17
	v_cmp_ne_u32_e32 vcc, s3, v20
	v_mov_b32_e32 v26, 0x7f80
	s_and_saveexec_b64 s[10:11], vcc
	s_cbranch_execz .LBB734_480
; %bb.479:
	v_and_b32_e32 v26, 7, v17
	v_ffbh_u32_e32 v26, v26
	v_min_u32_e32 v26, 32, v26
	v_lshrrev_b32_e32 v27, 3, v20
	v_subrev_u32_e32 v28, 28, v26
	v_sub_u32_e32 v26, 29, v26
	v_cmp_gt_u32_e32 vcc, 8, v20
	v_cndmask_b32_e32 v20, v27, v26, vcc
	v_cndmask_b32_e32 v26, 0, v28, vcc
	v_lshlrev_b64 v[26:27], v26, v[18:19]
	v_lshlrev_b32_e32 v19, 20, v26
	v_lshlrev_b32_e32 v26, 24, v18
	v_bfrev_b32_e32 v27, 60
	v_and_b32_e32 v19, 0x700000, v19
	v_and_b32_e32 v26, 0x80000000, v26
	v_lshl_add_u32 v20, v20, 23, v27
	v_or3_b32 v19, v26, v20, v19
	v_lshrrev_b32_e32 v26, 16, v19
.LBB734_480:
	s_or_b64 exec, exec, s[10:11]
.LBB734_481:
	s_or_b64 exec, exec, s[6:7]
.LBB734_482:
	s_or_b64 exec, exec, s[0:1]
	v_lshrrev_b16_e32 v20, 8, v18
	v_cmp_ne_u16_e32 vcc, 0, v20
	s_and_saveexec_b64 s[0:1], vcc
	s_cbranch_execz .LBB734_488
; %bb.483:
	s_movk_i32 s3, 0x80
	v_cmp_ne_u16_e32 vcc, s3, v20
	v_mov_b32_e32 v25, 0xffff8000
	s_and_saveexec_b64 s[6:7], vcc
	s_cbranch_execz .LBB734_487
; %bb.484:
	s_movk_i32 s3, 0x7f
	v_and_b32_e32 v19, 0x7f, v20
	v_cmp_ne_u32_e32 vcc, s3, v19
	v_mov_b32_e32 v25, 0x7f80
	s_and_saveexec_b64 s[10:11], vcc
	s_cbranch_execz .LBB734_486
; %bb.485:
	v_and_b32_e32 v25, 7, v20
	v_ffbh_u32_e32 v28, v25
	v_min_u32_e32 v30, 32, v28
	v_subrev_u32_e32 v28, 28, v30
	v_lshlrev_b64 v[28:29], v28, v[20:21]
	v_lshrrev_b32_e32 v27, 3, v19
	v_sub_u32_e32 v20, 29, v30
	v_and_b32_e32 v28, 7, v28
	v_cmp_gt_u32_e32 vcc, 8, v19
	v_cndmask_b32_e32 v19, v27, v20, vcc
	v_cndmask_b32_e32 v20, v25, v28, vcc
	v_lshlrev_b32_e32 v18, 16, v18
	v_bfrev_b32_e32 v25, 60
	v_lshlrev_b32_e32 v20, 20, v20
	v_and_b32_e32 v18, 0x80000000, v18
	v_lshl_add_u32 v19, v19, 23, v25
	v_or3_b32 v18, v18, v19, v20
	v_lshrrev_b32_e32 v25, 16, v18
.LBB734_486:
	s_or_b64 exec, exec, s[10:11]
.LBB734_487:
	s_or_b64 exec, exec, s[6:7]
.LBB734_488:
	s_or_b64 exec, exec, s[0:1]
	s_movk_i32 s0, 0xff
	v_and_b32_sdwa v27, v17, s0 dst_sel:DWORD dst_unused:UNUSED_PAD src0_sel:WORD_1 src1_sel:DWORD
	v_lshrrev_b32_e32 v18, 16, v17
	v_cmp_ne_u16_e32 vcc, 0, v27
	v_mov_b32_e32 v19, 0
	v_mov_b32_e32 v20, 0
	s_and_saveexec_b64 s[0:1], vcc
	s_cbranch_execz .LBB734_494
; %bb.489:
	s_movk_i32 s3, 0x80
	v_cmp_ne_u16_e32 vcc, s3, v27
	v_mov_b32_e32 v20, 0xffff8000
	s_and_saveexec_b64 s[6:7], vcc
	s_cbranch_execz .LBB734_493
; %bb.490:
	v_bfe_u32 v27, v17, 16, 7
	s_movk_i32 s3, 0x7f
	v_cmp_ne_u32_e32 vcc, s3, v27
	v_mov_b32_e32 v20, 0x7f80
	s_and_saveexec_b64 s[10:11], vcc
	s_cbranch_execz .LBB734_492
; %bb.491:
	v_and_b32_e32 v20, 7, v18
	v_ffbh_u32_e32 v28, v20
	v_min_u32_e32 v31, 32, v28
	v_subrev_u32_e32 v28, 28, v31
	v_lshlrev_b64 v[28:29], v28, v[18:19]
	v_lshrrev_b32_e32 v30, 3, v27
	v_sub_u32_e32 v18, 29, v31
	v_and_b32_e32 v28, 7, v28
	v_cmp_gt_u32_e32 vcc, 8, v27
	v_mov_b32_e32 v27, 24
	v_cndmask_b32_e32 v18, v30, v18, vcc
	v_cndmask_b32_e32 v20, v20, v28, vcc
	v_lshlrev_b32_sdwa v27, v27, v17 dst_sel:DWORD dst_unused:UNUSED_PAD src0_sel:DWORD src1_sel:WORD_1
	v_bfrev_b32_e32 v28, 60
	v_lshlrev_b32_e32 v20, 20, v20
	v_and_b32_e32 v27, 0x80000000, v27
	v_lshl_add_u32 v18, v18, 23, v28
	v_or3_b32 v18, v27, v18, v20
	v_lshrrev_b32_e32 v20, 16, v18
.LBB734_492:
	s_or_b64 exec, exec, s[10:11]
.LBB734_493:
	s_or_b64 exec, exec, s[6:7]
.LBB734_494:
	s_or_b64 exec, exec, s[0:1]
	s_mov_b32 s0, -1
	s_mov_b32 s1, 0xffffff
	v_cmp_lt_u64_e32 vcc, s[0:1], v[16:17]
	s_and_saveexec_b64 s[0:1], vcc
	s_cbranch_execz .LBB734_500
; %bb.495:
	v_lshrrev_b32_e32 v16, 24, v17
	s_movk_i32 s3, 0x80
	v_cmp_ne_u32_e32 vcc, s3, v16
	v_mov_b32_e32 v19, 0xffff8000
	s_and_saveexec_b64 s[6:7], vcc
	s_cbranch_execz .LBB734_499
; %bb.496:
	v_bfe_u32 v17, v17, 24, 7
	s_movk_i32 s3, 0x7f
	v_cmp_ne_u32_e32 vcc, s3, v17
	v_mov_b32_e32 v19, 0x7f80
	s_and_saveexec_b64 s[10:11], vcc
	s_cbranch_execz .LBB734_498
; %bb.497:
	v_and_b32_e32 v27, 7, v16
	v_ffbh_u32_e32 v18, v27
	v_min_u32_e32 v29, 32, v18
	v_subrev_u32_e32 v18, 28, v29
	v_lshlrev_b64 v[18:19], v18, v[16:17]
	v_lshrrev_b32_e32 v28, 3, v17
	v_sub_u32_e32 v19, 29, v29
	v_and_b32_e32 v18, 7, v18
	v_cmp_gt_u32_e32 vcc, 8, v17
	v_cndmask_b32_e32 v17, v28, v19, vcc
	v_cndmask_b32_e32 v18, v27, v18, vcc
	v_lshlrev_b32_e32 v16, 24, v16
	v_bfrev_b32_e32 v19, 60
	v_lshlrev_b32_e32 v18, 20, v18
	v_and_b32_e32 v16, 0x80000000, v16
	v_lshl_add_u32 v17, v17, 23, v19
	v_or3_b32 v16, v16, v17, v18
	v_lshrrev_b32_e32 v19, 16, v16
.LBB734_498:
	s_or_b64 exec, exec, s[10:11]
.LBB734_499:
	s_or_b64 exec, exec, s[6:7]
.LBB734_500:
	s_or_b64 exec, exec, s[0:1]
	s_mov_b32 s0, 0x5040100
	v_perm_b32 v17, v24, v23, s0
	v_perm_b32 v16, v22, v21, s0
	v_perm_b32 v19, v19, v20, s0
	v_perm_b32 v18, v25, v26, s0
	v_mfma_f32_4x4x4bf16_1k a[0:3], v[14:15], v[16:17], a[0:3] cbsz:4 abid:2
	v_mov_b32_e32 v20, 0
	v_mfma_f32_4x4x4bf16_1k a[0:3], v[14:15], v[18:19], a[0:3] cbsz:4 abid:3
	v_mov_b32_e32 v19, 0
	v_cmp_ne_u16_sdwa s[6:7], v10, v19 src0_sel:BYTE_0 src1_sel:DWORD
	s_and_saveexec_b64 s[0:1], s[6:7]
	s_cbranch_execz .LBB734_506
; %bb.501:
	s_movk_i32 s3, 0x80
	v_cmp_ne_u16_sdwa s[10:11], v10, s3 src0_sel:BYTE_0 src1_sel:DWORD
	v_mov_b32_e32 v20, 0xffff8000
	s_and_saveexec_b64 s[6:7], s[10:11]
	s_cbranch_execz .LBB734_505
; %bb.502:
	s_movk_i32 s3, 0x7f
	v_and_b32_e32 v16, 0x7f, v10
	v_cmp_ne_u32_e32 vcc, s3, v16
	v_mov_b32_e32 v20, 0x7f80
	s_and_saveexec_b64 s[10:11], vcc
	s_cbranch_execz .LBB734_504
; %bb.503:
	v_and_b32_e32 v17, 7, v10
	v_ffbh_u32_e32 v17, v17
	v_min_u32_e32 v17, 32, v17
	v_subrev_u32_e32 v20, 28, v17
	v_cmp_gt_u32_e32 vcc, 8, v16
	v_lshrrev_b32_e32 v18, 3, v16
	v_sub_u32_e32 v17, 29, v17
	v_cndmask_b32_e32 v16, 0, v20, vcc
	v_cndmask_b32_e32 v18, v18, v17, vcc
	v_lshlrev_b64 v[16:17], v16, v[10:11]
	v_lshlrev_b32_e32 v16, 20, v16
	v_lshlrev_b32_e32 v17, 24, v10
	v_bfrev_b32_e32 v20, 60
	v_and_b32_e32 v16, 0x700000, v16
	v_and_b32_e32 v17, 0x80000000, v17
	v_lshl_add_u32 v18, v18, 23, v20
	v_or3_b32 v16, v17, v18, v16
	v_lshrrev_b32_e32 v20, 16, v16
.LBB734_504:
	s_or_b64 exec, exec, s[10:11]
.LBB734_505:
	s_or_b64 exec, exec, s[6:7]
.LBB734_506:
	s_or_b64 exec, exec, s[0:1]
	v_lshrrev_b16_e32 v16, 8, v10
	v_cmp_ne_u16_e32 vcc, 0, v16
	s_and_saveexec_b64 s[0:1], vcc
	s_cbranch_execz .LBB734_512
; %bb.507:
	s_movk_i32 s3, 0x80
	v_cmp_ne_u16_e32 vcc, s3, v16
	v_mov_b32_e32 v19, 0xffff8000
	s_and_saveexec_b64 s[6:7], vcc
	s_cbranch_execz .LBB734_511
; %bb.508:
	s_movk_i32 s3, 0x7f
	v_and_b32_e32 v17, 0x7f, v16
	v_cmp_ne_u32_e32 vcc, s3, v17
	v_mov_b32_e32 v19, 0x7f80
	s_and_saveexec_b64 s[10:11], vcc
	s_cbranch_execz .LBB734_510
; %bb.509:
	v_and_b32_e32 v21, 7, v16
	v_ffbh_u32_e32 v18, v21
	v_min_u32_e32 v23, 32, v18
	v_subrev_u32_e32 v18, 28, v23
	v_lshlrev_b64 v[18:19], v18, v[16:17]
	v_lshrrev_b32_e32 v22, 3, v17
	v_sub_u32_e32 v16, 29, v23
	v_and_b32_e32 v18, 7, v18
	v_cmp_gt_u32_e32 vcc, 8, v17
	v_cndmask_b32_e32 v16, v22, v16, vcc
	v_cndmask_b32_e32 v17, v21, v18, vcc
	v_lshlrev_b32_e32 v18, 16, v10
	v_bfrev_b32_e32 v19, 60
	v_lshlrev_b32_e32 v17, 20, v17
	v_and_b32_e32 v18, 0x80000000, v18
	v_lshl_add_u32 v16, v16, 23, v19
	v_or3_b32 v16, v18, v16, v17
	v_lshrrev_b32_e32 v19, 16, v16
.LBB734_510:
	s_or_b64 exec, exec, s[10:11]
.LBB734_511:
	s_or_b64 exec, exec, s[6:7]
.LBB734_512:
	s_or_b64 exec, exec, s[0:1]
	s_movk_i32 s0, 0xff
	v_and_b32_sdwa v18, v10, s0 dst_sel:DWORD dst_unused:UNUSED_PAD src0_sel:WORD_1 src1_sel:DWORD
	v_lshrrev_b32_e32 v16, 16, v10
	v_cmp_ne_u16_e32 vcc, 0, v18
	v_mov_b32_e32 v17, 0
	v_mov_b32_e32 v21, 0
	s_and_saveexec_b64 s[0:1], vcc
	s_cbranch_execz .LBB734_518
; %bb.513:
	s_movk_i32 s3, 0x80
	v_cmp_ne_u16_e32 vcc, s3, v18
	v_mov_b32_e32 v21, 0xffff8000
	s_and_saveexec_b64 s[6:7], vcc
	s_cbranch_execz .LBB734_517
; %bb.514:
	v_bfe_u32 v18, v10, 16, 7
	s_movk_i32 s3, 0x7f
	v_cmp_ne_u32_e32 vcc, s3, v18
	v_mov_b32_e32 v21, 0x7f80
	s_and_saveexec_b64 s[10:11], vcc
	s_cbranch_execz .LBB734_516
; %bb.515:
	v_and_b32_e32 v21, 7, v16
	v_ffbh_u32_e32 v22, v21
	v_min_u32_e32 v25, 32, v22
	v_subrev_u32_e32 v22, 28, v25
	v_lshlrev_b64 v[22:23], v22, v[16:17]
	v_and_b32_e32 v22, 7, v22
	v_cmp_gt_u32_e32 vcc, 8, v18
	v_lshrrev_b32_e32 v24, 3, v18
	v_sub_u32_e32 v16, 29, v25
	v_cndmask_b32_e32 v18, v21, v22, vcc
	v_mov_b32_e32 v21, 24
	v_cndmask_b32_e32 v16, v24, v16, vcc
	v_lshlrev_b32_sdwa v21, v21, v10 dst_sel:DWORD dst_unused:UNUSED_PAD src0_sel:DWORD src1_sel:WORD_1
	v_bfrev_b32_e32 v22, 60
	v_lshlrev_b32_e32 v18, 20, v18
	v_and_b32_e32 v21, 0x80000000, v21
	v_lshl_add_u32 v16, v16, 23, v22
	v_or3_b32 v16, v21, v16, v18
	v_lshrrev_b32_e32 v21, 16, v16
.LBB734_516:
	s_or_b64 exec, exec, s[10:11]
.LBB734_517:
	s_or_b64 exec, exec, s[6:7]
.LBB734_518:
	s_or_b64 exec, exec, s[0:1]
	s_mov_b32 s0, 0xffffff
	v_cmp_lt_u32_e32 vcc, s0, v10
	v_mov_b32_e32 v22, 0
	s_and_saveexec_b64 s[0:1], vcc
	s_cbranch_execz .LBB734_524
; %bb.519:
	v_lshrrev_b32_e32 v16, 24, v10
	s_movk_i32 s3, 0x80
	v_cmp_ne_u32_e32 vcc, s3, v16
	v_mov_b32_e32 v22, 0xffff8000
	s_and_saveexec_b64 s[6:7], vcc
	s_cbranch_execz .LBB734_523
; %bb.520:
	v_bfe_u32 v18, v10, 24, 7
	s_movk_i32 s3, 0x7f
	v_cmp_ne_u32_e32 vcc, s3, v18
	v_mov_b32_e32 v22, 0x7f80
	s_and_saveexec_b64 s[10:11], vcc
	s_cbranch_execz .LBB734_522
; %bb.521:
	v_and_b32_e32 v24, 7, v16
	v_ffbh_u32_e32 v22, v24
	v_min_u32_e32 v26, 32, v22
	v_subrev_u32_e32 v22, 28, v26
	v_lshlrev_b64 v[22:23], v22, v[16:17]
	v_lshrrev_b32_e32 v25, 3, v18
	v_sub_u32_e32 v23, 29, v26
	v_and_b32_e32 v22, 7, v22
	v_cmp_gt_u32_e32 vcc, 8, v18
	v_cndmask_b32_e32 v18, v25, v23, vcc
	v_cndmask_b32_e32 v22, v24, v22, vcc
	v_lshlrev_b32_e32 v16, 24, v16
	v_bfrev_b32_e32 v23, 60
	v_lshlrev_b32_e32 v22, 20, v22
	v_and_b32_e32 v16, 0x80000000, v16
	v_lshl_add_u32 v18, v18, 23, v23
	v_or3_b32 v16, v16, v18, v22
	v_lshrrev_b32_e32 v22, 16, v16
.LBB734_522:
	s_or_b64 exec, exec, s[10:11]
.LBB734_523:
	s_or_b64 exec, exec, s[6:7]
.LBB734_524:
	s_or_b64 exec, exec, s[0:1]
	v_mov_b32_e32 v23, 0
	v_mov_b32_e32 v16, v11
	v_cmp_ne_u16_sdwa s[6:7], v11, v23 src0_sel:BYTE_0 src1_sel:DWORD
	v_mov_b32_e32 v24, 0
	s_and_saveexec_b64 s[0:1], s[6:7]
	s_cbranch_execz .LBB734_530
; %bb.525:
	s_movk_i32 s3, 0x80
	v_cmp_ne_u16_sdwa s[10:11], v11, s3 src0_sel:BYTE_0 src1_sel:DWORD
	v_mov_b32_e32 v24, 0xffff8000
	s_and_saveexec_b64 s[6:7], s[10:11]
	s_cbranch_execz .LBB734_529
; %bb.526:
	s_movk_i32 s3, 0x7f
	v_and_b32_e32 v18, 0x7f, v11
	v_cmp_ne_u32_e32 vcc, s3, v18
	v_mov_b32_e32 v24, 0x7f80
	s_and_saveexec_b64 s[10:11], vcc
	s_cbranch_execz .LBB734_528
; %bb.527:
	v_and_b32_e32 v24, 7, v11
	v_ffbh_u32_e32 v24, v24
	v_min_u32_e32 v24, 32, v24
	v_lshrrev_b32_e32 v25, 3, v18
	v_subrev_u32_e32 v26, 28, v24
	v_sub_u32_e32 v24, 29, v24
	v_cmp_gt_u32_e32 vcc, 8, v18
	v_cndmask_b32_e32 v18, v25, v24, vcc
	v_cndmask_b32_e32 v24, 0, v26, vcc
	v_lshlrev_b64 v[24:25], v24, v[16:17]
	v_lshlrev_b32_e32 v17, 20, v24
	v_lshlrev_b32_e32 v24, 24, v16
	v_bfrev_b32_e32 v25, 60
	v_and_b32_e32 v17, 0x700000, v17
	v_and_b32_e32 v24, 0x80000000, v24
	v_lshl_add_u32 v18, v18, 23, v25
	v_or3_b32 v17, v24, v18, v17
	v_lshrrev_b32_e32 v24, 16, v17
.LBB734_528:
	s_or_b64 exec, exec, s[10:11]
.LBB734_529:
	s_or_b64 exec, exec, s[6:7]
.LBB734_530:
	s_or_b64 exec, exec, s[0:1]
	v_lshrrev_b16_e32 v18, 8, v16
	v_cmp_ne_u16_e32 vcc, 0, v18
	s_and_saveexec_b64 s[0:1], vcc
	s_cbranch_execz .LBB734_536
; %bb.531:
	s_movk_i32 s3, 0x80
	v_cmp_ne_u16_e32 vcc, s3, v18
	v_mov_b32_e32 v23, 0xffff8000
	s_and_saveexec_b64 s[6:7], vcc
	s_cbranch_execz .LBB734_535
; %bb.532:
	s_movk_i32 s3, 0x7f
	v_and_b32_e32 v17, 0x7f, v18
	v_cmp_ne_u32_e32 vcc, s3, v17
	v_mov_b32_e32 v23, 0x7f80
	s_and_saveexec_b64 s[10:11], vcc
	s_cbranch_execz .LBB734_534
; %bb.533:
	v_and_b32_e32 v23, 7, v18
	v_ffbh_u32_e32 v26, v23
	v_min_u32_e32 v28, 32, v26
	v_subrev_u32_e32 v26, 28, v28
	v_lshlrev_b64 v[26:27], v26, v[18:19]
	v_lshrrev_b32_e32 v25, 3, v17
	v_sub_u32_e32 v18, 29, v28
	v_and_b32_e32 v26, 7, v26
	v_cmp_gt_u32_e32 vcc, 8, v17
	v_cndmask_b32_e32 v17, v25, v18, vcc
	v_cndmask_b32_e32 v18, v23, v26, vcc
	v_lshlrev_b32_e32 v16, 16, v16
	v_bfrev_b32_e32 v23, 60
	v_lshlrev_b32_e32 v18, 20, v18
	v_and_b32_e32 v16, 0x80000000, v16
	v_lshl_add_u32 v17, v17, 23, v23
	v_or3_b32 v16, v16, v17, v18
	v_lshrrev_b32_e32 v23, 16, v16
.LBB734_534:
	s_or_b64 exec, exec, s[10:11]
.LBB734_535:
	s_or_b64 exec, exec, s[6:7]
.LBB734_536:
	s_or_b64 exec, exec, s[0:1]
	s_movk_i32 s0, 0xff
	v_and_b32_sdwa v25, v11, s0 dst_sel:DWORD dst_unused:UNUSED_PAD src0_sel:WORD_1 src1_sel:DWORD
	v_lshrrev_b32_e32 v16, 16, v11
	v_cmp_ne_u16_e32 vcc, 0, v25
	v_mov_b32_e32 v17, 0
	v_mov_b32_e32 v18, 0
	s_and_saveexec_b64 s[0:1], vcc
	s_cbranch_execz .LBB734_542
; %bb.537:
	s_movk_i32 s3, 0x80
	v_cmp_ne_u16_e32 vcc, s3, v25
	v_mov_b32_e32 v18, 0xffff8000
	s_and_saveexec_b64 s[6:7], vcc
	s_cbranch_execz .LBB734_541
; %bb.538:
	v_bfe_u32 v25, v11, 16, 7
	s_movk_i32 s3, 0x7f
	v_cmp_ne_u32_e32 vcc, s3, v25
	v_mov_b32_e32 v18, 0x7f80
	s_and_saveexec_b64 s[10:11], vcc
	s_cbranch_execz .LBB734_540
; %bb.539:
	v_and_b32_e32 v18, 7, v16
	v_ffbh_u32_e32 v26, v18
	v_min_u32_e32 v29, 32, v26
	v_subrev_u32_e32 v26, 28, v29
	v_lshlrev_b64 v[26:27], v26, v[16:17]
	v_lshrrev_b32_e32 v28, 3, v25
	v_sub_u32_e32 v16, 29, v29
	v_and_b32_e32 v26, 7, v26
	v_cmp_gt_u32_e32 vcc, 8, v25
	v_mov_b32_e32 v25, 24
	v_cndmask_b32_e32 v16, v28, v16, vcc
	v_cndmask_b32_e32 v18, v18, v26, vcc
	v_lshlrev_b32_sdwa v25, v25, v11 dst_sel:DWORD dst_unused:UNUSED_PAD src0_sel:DWORD src1_sel:WORD_1
	v_bfrev_b32_e32 v26, 60
	v_lshlrev_b32_e32 v18, 20, v18
	v_and_b32_e32 v25, 0x80000000, v25
	v_lshl_add_u32 v16, v16, 23, v26
	v_or3_b32 v16, v25, v16, v18
	v_lshrrev_b32_e32 v18, 16, v16
.LBB734_540:
	s_or_b64 exec, exec, s[10:11]
.LBB734_541:
	s_or_b64 exec, exec, s[6:7]
.LBB734_542:
	s_or_b64 exec, exec, s[0:1]
	s_mov_b32 s0, -1
	s_mov_b32 s1, 0xffffff
	v_cmp_lt_u64_e32 vcc, s[0:1], v[10:11]
	s_and_saveexec_b64 s[0:1], vcc
	s_cbranch_execz .LBB734_548
; %bb.543:
	v_lshrrev_b32_e32 v10, 24, v11
	s_movk_i32 s3, 0x80
	v_cmp_ne_u32_e32 vcc, s3, v10
	v_mov_b32_e32 v17, 0xffff8000
	s_and_saveexec_b64 s[6:7], vcc
	s_cbranch_execz .LBB734_547
; %bb.544:
	v_bfe_u32 v11, v11, 24, 7
	s_movk_i32 s3, 0x7f
	v_cmp_ne_u32_e32 vcc, s3, v11
	v_mov_b32_e32 v17, 0x7f80
	s_and_saveexec_b64 s[10:11], vcc
	s_cbranch_execz .LBB734_546
; %bb.545:
	v_and_b32_e32 v25, 7, v10
	v_ffbh_u32_e32 v16, v25
	v_min_u32_e32 v27, 32, v16
	v_subrev_u32_e32 v16, 28, v27
	v_lshlrev_b64 v[16:17], v16, v[10:11]
	v_lshrrev_b32_e32 v26, 3, v11
	v_sub_u32_e32 v17, 29, v27
	v_and_b32_e32 v16, 7, v16
	v_cmp_gt_u32_e32 vcc, 8, v11
	v_cndmask_b32_e32 v11, v26, v17, vcc
	v_cndmask_b32_e32 v16, v25, v16, vcc
	v_lshlrev_b32_e32 v10, 24, v10
	v_bfrev_b32_e32 v17, 60
	v_lshlrev_b32_e32 v16, 20, v16
	v_and_b32_e32 v10, 0x80000000, v10
	v_lshl_add_u32 v11, v11, 23, v17
	v_or3_b32 v10, v10, v11, v16
	v_lshrrev_b32_e32 v17, 16, v10
.LBB734_546:
	s_or_b64 exec, exec, s[10:11]
.LBB734_547:
	s_or_b64 exec, exec, s[6:7]
.LBB734_548:
	s_or_b64 exec, exec, s[0:1]
	s_mov_b32 s0, 0x5040100
	v_perm_b32 v11, v22, v21, s0
	v_perm_b32 v10, v19, v20, s0
	;; [unrolled: 1-line block ×4, first 2 shown]
	v_mfma_f32_4x4x4bf16_1k a[0:3], v[14:15], v[10:11], a[0:3] cbsz:4 abid:4
	v_mov_b32_e32 v18, 0
	v_mfma_f32_4x4x4bf16_1k a[0:3], v[14:15], v[16:17], a[0:3] cbsz:4 abid:5
	v_mov_b32_e32 v17, 0
	v_cmp_ne_u16_sdwa s[6:7], v12, v17 src0_sel:BYTE_0 src1_sel:DWORD
	s_and_saveexec_b64 s[0:1], s[6:7]
	s_cbranch_execz .LBB734_554
; %bb.549:
	s_movk_i32 s3, 0x80
	v_cmp_ne_u16_sdwa s[10:11], v12, s3 src0_sel:BYTE_0 src1_sel:DWORD
	v_mov_b32_e32 v18, 0xffff8000
	s_and_saveexec_b64 s[6:7], s[10:11]
	s_cbranch_execz .LBB734_553
; %bb.550:
	s_movk_i32 s3, 0x7f
	v_and_b32_e32 v10, 0x7f, v12
	v_cmp_ne_u32_e32 vcc, s3, v10
	v_mov_b32_e32 v18, 0x7f80
	s_and_saveexec_b64 s[10:11], vcc
	s_cbranch_execz .LBB734_552
; %bb.551:
	v_and_b32_e32 v11, 7, v12
	v_ffbh_u32_e32 v11, v11
	v_min_u32_e32 v11, 32, v11
	v_subrev_u32_e32 v18, 28, v11
	v_cmp_gt_u32_e32 vcc, 8, v10
	v_lshrrev_b32_e32 v16, 3, v10
	v_sub_u32_e32 v11, 29, v11
	v_cndmask_b32_e32 v10, 0, v18, vcc
	v_cndmask_b32_e32 v16, v16, v11, vcc
	v_lshlrev_b64 v[10:11], v10, v[12:13]
	v_lshlrev_b32_e32 v10, 20, v10
	v_lshlrev_b32_e32 v11, 24, v12
	v_bfrev_b32_e32 v18, 60
	v_and_b32_e32 v10, 0x700000, v10
	v_and_b32_e32 v11, 0x80000000, v11
	v_lshl_add_u32 v16, v16, 23, v18
	v_or3_b32 v10, v11, v16, v10
	v_lshrrev_b32_e32 v18, 16, v10
.LBB734_552:
	s_or_b64 exec, exec, s[10:11]
.LBB734_553:
	s_or_b64 exec, exec, s[6:7]
.LBB734_554:
	s_or_b64 exec, exec, s[0:1]
	v_lshrrev_b16_e32 v10, 8, v12
	v_cmp_ne_u16_e32 vcc, 0, v10
	s_and_saveexec_b64 s[0:1], vcc
	s_cbranch_execz .LBB734_560
; %bb.555:
	s_movk_i32 s3, 0x80
	v_cmp_ne_u16_e32 vcc, s3, v10
	v_mov_b32_e32 v17, 0xffff8000
	s_and_saveexec_b64 s[6:7], vcc
	s_cbranch_execz .LBB734_559
; %bb.556:
	s_movk_i32 s3, 0x7f
	v_and_b32_e32 v11, 0x7f, v10
	v_cmp_ne_u32_e32 vcc, s3, v11
	v_mov_b32_e32 v17, 0x7f80
	s_and_saveexec_b64 s[10:11], vcc
	s_cbranch_execz .LBB734_558
; %bb.557:
	v_and_b32_e32 v19, 7, v10
	v_ffbh_u32_e32 v16, v19
	v_min_u32_e32 v21, 32, v16
	v_subrev_u32_e32 v16, 28, v21
	v_lshlrev_b64 v[16:17], v16, v[10:11]
	v_lshrrev_b32_e32 v20, 3, v11
	v_sub_u32_e32 v10, 29, v21
	v_and_b32_e32 v16, 7, v16
	v_cmp_gt_u32_e32 vcc, 8, v11
	v_cndmask_b32_e32 v10, v20, v10, vcc
	v_cndmask_b32_e32 v11, v19, v16, vcc
	v_lshlrev_b32_e32 v16, 16, v12
	v_bfrev_b32_e32 v17, 60
	v_lshlrev_b32_e32 v11, 20, v11
	v_and_b32_e32 v16, 0x80000000, v16
	v_lshl_add_u32 v10, v10, 23, v17
	v_or3_b32 v10, v16, v10, v11
	v_lshrrev_b32_e32 v17, 16, v10
.LBB734_558:
	s_or_b64 exec, exec, s[10:11]
.LBB734_559:
	s_or_b64 exec, exec, s[6:7]
.LBB734_560:
	s_or_b64 exec, exec, s[0:1]
	s_movk_i32 s0, 0xff
	v_and_b32_sdwa v16, v12, s0 dst_sel:DWORD dst_unused:UNUSED_PAD src0_sel:WORD_1 src1_sel:DWORD
	v_lshrrev_b32_e32 v10, 16, v12
	v_cmp_ne_u16_e32 vcc, 0, v16
	v_mov_b32_e32 v11, 0
	v_mov_b32_e32 v19, 0
	s_and_saveexec_b64 s[0:1], vcc
	s_cbranch_execz .LBB734_566
; %bb.561:
	s_movk_i32 s3, 0x80
	v_cmp_ne_u16_e32 vcc, s3, v16
	v_mov_b32_e32 v19, 0xffff8000
	s_and_saveexec_b64 s[6:7], vcc
	s_cbranch_execz .LBB734_565
; %bb.562:
	v_bfe_u32 v16, v12, 16, 7
	s_movk_i32 s3, 0x7f
	v_cmp_ne_u32_e32 vcc, s3, v16
	v_mov_b32_e32 v19, 0x7f80
	s_and_saveexec_b64 s[10:11], vcc
	s_cbranch_execz .LBB734_564
; %bb.563:
	v_and_b32_e32 v19, 7, v10
	v_ffbh_u32_e32 v20, v19
	v_min_u32_e32 v23, 32, v20
	v_subrev_u32_e32 v20, 28, v23
	v_lshlrev_b64 v[20:21], v20, v[10:11]
	v_and_b32_e32 v20, 7, v20
	v_cmp_gt_u32_e32 vcc, 8, v16
	v_lshrrev_b32_e32 v22, 3, v16
	v_sub_u32_e32 v10, 29, v23
	v_cndmask_b32_e32 v16, v19, v20, vcc
	v_mov_b32_e32 v19, 24
	v_cndmask_b32_e32 v10, v22, v10, vcc
	v_lshlrev_b32_sdwa v19, v19, v12 dst_sel:DWORD dst_unused:UNUSED_PAD src0_sel:DWORD src1_sel:WORD_1
	v_bfrev_b32_e32 v20, 60
	v_lshlrev_b32_e32 v16, 20, v16
	v_and_b32_e32 v19, 0x80000000, v19
	v_lshl_add_u32 v10, v10, 23, v20
	v_or3_b32 v10, v19, v10, v16
	v_lshrrev_b32_e32 v19, 16, v10
.LBB734_564:
	s_or_b64 exec, exec, s[10:11]
.LBB734_565:
	s_or_b64 exec, exec, s[6:7]
.LBB734_566:
	s_or_b64 exec, exec, s[0:1]
	s_mov_b32 s0, 0xffffff
	v_cmp_lt_u32_e32 vcc, s0, v12
	v_mov_b32_e32 v20, 0
	s_and_saveexec_b64 s[0:1], vcc
	s_cbranch_execz .LBB734_572
; %bb.567:
	v_lshrrev_b32_e32 v10, 24, v12
	s_movk_i32 s3, 0x80
	v_cmp_ne_u32_e32 vcc, s3, v10
	v_mov_b32_e32 v20, 0xffff8000
	s_and_saveexec_b64 s[6:7], vcc
	s_cbranch_execz .LBB734_571
; %bb.568:
	v_bfe_u32 v16, v12, 24, 7
	s_movk_i32 s3, 0x7f
	v_cmp_ne_u32_e32 vcc, s3, v16
	v_mov_b32_e32 v20, 0x7f80
	s_and_saveexec_b64 s[10:11], vcc
	s_cbranch_execz .LBB734_570
; %bb.569:
	v_and_b32_e32 v22, 7, v10
	v_ffbh_u32_e32 v20, v22
	v_min_u32_e32 v24, 32, v20
	v_subrev_u32_e32 v20, 28, v24
	v_lshlrev_b64 v[20:21], v20, v[10:11]
	v_lshrrev_b32_e32 v23, 3, v16
	v_sub_u32_e32 v21, 29, v24
	v_and_b32_e32 v20, 7, v20
	v_cmp_gt_u32_e32 vcc, 8, v16
	v_cndmask_b32_e32 v16, v23, v21, vcc
	v_cndmask_b32_e32 v20, v22, v20, vcc
	v_lshlrev_b32_e32 v10, 24, v10
	v_bfrev_b32_e32 v21, 60
	v_lshlrev_b32_e32 v20, 20, v20
	v_and_b32_e32 v10, 0x80000000, v10
	v_lshl_add_u32 v16, v16, 23, v21
	v_or3_b32 v10, v10, v16, v20
	v_lshrrev_b32_e32 v20, 16, v10
.LBB734_570:
	s_or_b64 exec, exec, s[10:11]
.LBB734_571:
	s_or_b64 exec, exec, s[6:7]
.LBB734_572:
	s_or_b64 exec, exec, s[0:1]
	v_mov_b32_e32 v21, 0
	v_mov_b32_e32 v10, v13
	v_cmp_ne_u16_sdwa s[6:7], v13, v21 src0_sel:BYTE_0 src1_sel:DWORD
	v_mov_b32_e32 v22, 0
	s_and_saveexec_b64 s[0:1], s[6:7]
	s_cbranch_execz .LBB734_578
; %bb.573:
	s_movk_i32 s3, 0x80
	v_cmp_ne_u16_sdwa s[10:11], v13, s3 src0_sel:BYTE_0 src1_sel:DWORD
	v_mov_b32_e32 v22, 0xffff8000
	s_and_saveexec_b64 s[6:7], s[10:11]
	s_cbranch_execz .LBB734_577
; %bb.574:
	s_movk_i32 s3, 0x7f
	v_and_b32_e32 v16, 0x7f, v13
	v_cmp_ne_u32_e32 vcc, s3, v16
	v_mov_b32_e32 v22, 0x7f80
	s_and_saveexec_b64 s[10:11], vcc
	s_cbranch_execz .LBB734_576
; %bb.575:
	v_and_b32_e32 v22, 7, v13
	v_ffbh_u32_e32 v22, v22
	v_min_u32_e32 v22, 32, v22
	v_lshrrev_b32_e32 v23, 3, v16
	v_subrev_u32_e32 v24, 28, v22
	v_sub_u32_e32 v22, 29, v22
	v_cmp_gt_u32_e32 vcc, 8, v16
	v_cndmask_b32_e32 v16, v23, v22, vcc
	v_cndmask_b32_e32 v22, 0, v24, vcc
	v_lshlrev_b64 v[22:23], v22, v[10:11]
	v_lshlrev_b32_e32 v11, 20, v22
	v_lshlrev_b32_e32 v22, 24, v10
	v_bfrev_b32_e32 v23, 60
	v_and_b32_e32 v11, 0x700000, v11
	v_and_b32_e32 v22, 0x80000000, v22
	v_lshl_add_u32 v16, v16, 23, v23
	v_or3_b32 v11, v22, v16, v11
	v_lshrrev_b32_e32 v22, 16, v11
.LBB734_576:
	s_or_b64 exec, exec, s[10:11]
.LBB734_577:
	s_or_b64 exec, exec, s[6:7]
.LBB734_578:
	s_or_b64 exec, exec, s[0:1]
	v_lshrrev_b16_e32 v16, 8, v10
	v_cmp_ne_u16_e32 vcc, 0, v16
	s_and_saveexec_b64 s[0:1], vcc
	s_cbranch_execz .LBB734_584
; %bb.579:
	s_movk_i32 s3, 0x80
	v_cmp_ne_u16_e32 vcc, s3, v16
	v_mov_b32_e32 v21, 0xffff8000
	s_and_saveexec_b64 s[6:7], vcc
	s_cbranch_execz .LBB734_583
; %bb.580:
	s_movk_i32 s3, 0x7f
	v_and_b32_e32 v11, 0x7f, v16
	v_cmp_ne_u32_e32 vcc, s3, v11
	v_mov_b32_e32 v21, 0x7f80
	s_and_saveexec_b64 s[10:11], vcc
	s_cbranch_execz .LBB734_582
; %bb.581:
	v_and_b32_e32 v21, 7, v16
	v_ffbh_u32_e32 v24, v21
	v_min_u32_e32 v26, 32, v24
	v_subrev_u32_e32 v24, 28, v26
	v_lshlrev_b64 v[24:25], v24, v[16:17]
	v_lshrrev_b32_e32 v23, 3, v11
	v_sub_u32_e32 v16, 29, v26
	v_and_b32_e32 v24, 7, v24
	v_cmp_gt_u32_e32 vcc, 8, v11
	v_cndmask_b32_e32 v11, v23, v16, vcc
	v_cndmask_b32_e32 v16, v21, v24, vcc
	v_lshlrev_b32_e32 v10, 16, v10
	v_bfrev_b32_e32 v21, 60
	v_lshlrev_b32_e32 v16, 20, v16
	v_and_b32_e32 v10, 0x80000000, v10
	v_lshl_add_u32 v11, v11, 23, v21
	v_or3_b32 v10, v10, v11, v16
	v_lshrrev_b32_e32 v21, 16, v10
.LBB734_582:
	s_or_b64 exec, exec, s[10:11]
.LBB734_583:
	s_or_b64 exec, exec, s[6:7]
.LBB734_584:
	s_or_b64 exec, exec, s[0:1]
	s_movk_i32 s0, 0xff
	v_and_b32_sdwa v23, v13, s0 dst_sel:DWORD dst_unused:UNUSED_PAD src0_sel:WORD_1 src1_sel:DWORD
	v_lshrrev_b32_e32 v10, 16, v13
	v_cmp_ne_u16_e32 vcc, 0, v23
	v_mov_b32_e32 v11, 0
	v_mov_b32_e32 v16, 0
	s_and_saveexec_b64 s[0:1], vcc
	s_cbranch_execz .LBB734_590
; %bb.585:
	s_movk_i32 s3, 0x80
	v_cmp_ne_u16_e32 vcc, s3, v23
	v_mov_b32_e32 v16, 0xffff8000
	s_and_saveexec_b64 s[6:7], vcc
	s_cbranch_execz .LBB734_589
; %bb.586:
	v_bfe_u32 v23, v13, 16, 7
	s_movk_i32 s3, 0x7f
	v_cmp_ne_u32_e32 vcc, s3, v23
	v_mov_b32_e32 v16, 0x7f80
	s_and_saveexec_b64 s[10:11], vcc
	s_cbranch_execz .LBB734_588
; %bb.587:
	v_and_b32_e32 v16, 7, v10
	v_ffbh_u32_e32 v24, v16
	v_min_u32_e32 v27, 32, v24
	v_subrev_u32_e32 v24, 28, v27
	v_lshlrev_b64 v[24:25], v24, v[10:11]
	v_lshrrev_b32_e32 v26, 3, v23
	v_sub_u32_e32 v10, 29, v27
	v_and_b32_e32 v24, 7, v24
	v_cmp_gt_u32_e32 vcc, 8, v23
	v_mov_b32_e32 v23, 24
	v_cndmask_b32_e32 v10, v26, v10, vcc
	v_cndmask_b32_e32 v16, v16, v24, vcc
	v_lshlrev_b32_sdwa v23, v23, v13 dst_sel:DWORD dst_unused:UNUSED_PAD src0_sel:DWORD src1_sel:WORD_1
	v_bfrev_b32_e32 v24, 60
	v_lshlrev_b32_e32 v16, 20, v16
	v_and_b32_e32 v23, 0x80000000, v23
	v_lshl_add_u32 v10, v10, 23, v24
	v_or3_b32 v10, v23, v10, v16
	v_lshrrev_b32_e32 v16, 16, v10
.LBB734_588:
	s_or_b64 exec, exec, s[10:11]
.LBB734_589:
	s_or_b64 exec, exec, s[6:7]
.LBB734_590:
	s_or_b64 exec, exec, s[0:1]
	s_mov_b32 s0, -1
	s_mov_b32 s1, 0xffffff
	v_cmp_lt_u64_e32 vcc, s[0:1], v[12:13]
	s_and_saveexec_b64 s[0:1], vcc
	s_cbranch_execz .LBB734_596
; %bb.591:
	v_lshrrev_b32_e32 v10, 24, v13
	s_movk_i32 s3, 0x80
	v_cmp_ne_u32_e32 vcc, s3, v10
	v_mov_b32_e32 v11, 0xffff8000
	s_and_saveexec_b64 s[6:7], vcc
	s_cbranch_execz .LBB734_595
; %bb.592:
	v_bfe_u32 v12, v13, 24, 7
	s_movk_i32 s3, 0x7f
	v_cmp_ne_u32_e32 vcc, s3, v12
	v_mov_b32_e32 v11, 0x7f80
	s_and_saveexec_b64 s[10:11], vcc
	s_cbranch_execz .LBB734_594
; %bb.593:
	v_and_b32_e32 v11, 7, v10
	v_ffbh_u32_e32 v23, v11
	v_min_u32_e32 v23, 32, v23
	v_subrev_u32_e32 v24, 28, v23
	v_lshlrev_b64 v[24:25], v24, v[10:11]
	v_lshrrev_b32_e32 v13, 3, v12
	v_sub_u32_e32 v23, 29, v23
	v_and_b32_e32 v24, 7, v24
	v_cmp_gt_u32_e32 vcc, 8, v12
	v_cndmask_b32_e32 v12, v13, v23, vcc
	v_cndmask_b32_e32 v11, v11, v24, vcc
	v_lshlrev_b32_e32 v10, 24, v10
	v_bfrev_b32_e32 v13, 60
	v_lshlrev_b32_e32 v11, 20, v11
	v_and_b32_e32 v10, 0x80000000, v10
	v_lshl_add_u32 v12, v12, 23, v13
	v_or3_b32 v10, v10, v12, v11
	v_lshrrev_b32_e32 v11, 16, v10
.LBB734_594:
	s_or_b64 exec, exec, s[10:11]
.LBB734_595:
	s_or_b64 exec, exec, s[6:7]
.LBB734_596:
	s_or_b64 exec, exec, s[0:1]
	s_mov_b32 s0, 0x5040100
	v_perm_b32 v13, v20, v19, s0
	v_perm_b32 v12, v17, v18, s0
	;; [unrolled: 1-line block ×4, first 2 shown]
	v_mfma_f32_4x4x4bf16_1k a[0:3], v[14:15], v[12:13], a[0:3] cbsz:4 abid:6
	v_mov_b32_e32 v13, 0
	v_mfma_f32_4x4x4bf16_1k a[0:3], v[14:15], v[10:11], a[0:3] cbsz:4 abid:7
	s_waitcnt vmcnt(0)
	v_cmp_ne_u16_sdwa s[6:7], v6, v13 src0_sel:BYTE_0 src1_sel:DWORD
	v_mov_b32_e32 v16, 0
	s_and_saveexec_b64 s[0:1], s[6:7]
	s_cbranch_execz .LBB734_602
; %bb.597:
	s_movk_i32 s3, 0x80
	v_cmp_ne_u16_sdwa s[10:11], v6, s3 src0_sel:BYTE_0 src1_sel:DWORD
	v_mov_b32_e32 v16, 0xffff8000
	s_and_saveexec_b64 s[6:7], s[10:11]
	s_cbranch_execz .LBB734_601
; %bb.598:
	s_movk_i32 s3, 0x7f
	v_and_b32_e32 v10, 0x7f, v6
	v_cmp_ne_u32_e32 vcc, s3, v10
	v_mov_b32_e32 v16, 0x7f80
	s_and_saveexec_b64 s[10:11], vcc
	s_cbranch_execz .LBB734_600
; %bb.599:
	v_and_b32_e32 v11, 7, v6
	v_ffbh_u32_e32 v11, v11
	v_min_u32_e32 v11, 32, v11
	v_subrev_u32_e32 v16, 28, v11
	v_cmp_gt_u32_e32 vcc, 8, v10
	v_lshrrev_b32_e32 v12, 3, v10
	v_sub_u32_e32 v11, 29, v11
	v_cndmask_b32_e32 v10, 0, v16, vcc
	v_cndmask_b32_e32 v12, v12, v11, vcc
	v_lshlrev_b64 v[10:11], v10, v[6:7]
	v_lshlrev_b32_e32 v10, 20, v10
	v_lshlrev_b32_e32 v11, 24, v6
	v_bfrev_b32_e32 v16, 60
	v_and_b32_e32 v10, 0x700000, v10
	v_and_b32_e32 v11, 0x80000000, v11
	v_lshl_add_u32 v12, v12, 23, v16
	v_or3_b32 v10, v11, v12, v10
	v_lshrrev_b32_e32 v16, 16, v10
.LBB734_600:
	s_or_b64 exec, exec, s[10:11]
.LBB734_601:
	s_or_b64 exec, exec, s[6:7]
.LBB734_602:
	s_or_b64 exec, exec, s[0:1]
	v_lshrrev_b16_e32 v10, 8, v6
	v_cmp_ne_u16_e32 vcc, 0, v10
	s_and_saveexec_b64 s[0:1], vcc
	s_cbranch_execz .LBB734_608
; %bb.603:
	s_movk_i32 s3, 0x80
	v_cmp_ne_u16_e32 vcc, s3, v10
	v_mov_b32_e32 v13, 0xffff8000
	s_and_saveexec_b64 s[6:7], vcc
	s_cbranch_execz .LBB734_607
; %bb.604:
	s_movk_i32 s3, 0x7f
	v_and_b32_e32 v11, 0x7f, v10
	v_cmp_ne_u32_e32 vcc, s3, v11
	v_mov_b32_e32 v13, 0x7f80
	s_and_saveexec_b64 s[10:11], vcc
	s_cbranch_execz .LBB734_606
; %bb.605:
	v_and_b32_e32 v17, 7, v10
	v_ffbh_u32_e32 v12, v17
	v_min_u32_e32 v19, 32, v12
	v_subrev_u32_e32 v12, 28, v19
	v_lshlrev_b64 v[12:13], v12, v[10:11]
	v_lshrrev_b32_e32 v18, 3, v11
	v_sub_u32_e32 v10, 29, v19
	v_and_b32_e32 v12, 7, v12
	v_cmp_gt_u32_e32 vcc, 8, v11
	v_cndmask_b32_e32 v10, v18, v10, vcc
	v_cndmask_b32_e32 v11, v17, v12, vcc
	v_lshlrev_b32_e32 v12, 16, v6
	v_bfrev_b32_e32 v13, 60
	v_lshlrev_b32_e32 v11, 20, v11
	v_and_b32_e32 v12, 0x80000000, v12
	v_lshl_add_u32 v10, v10, 23, v13
	v_or3_b32 v10, v12, v10, v11
	v_lshrrev_b32_e32 v13, 16, v10
.LBB734_606:
	s_or_b64 exec, exec, s[10:11]
.LBB734_607:
	s_or_b64 exec, exec, s[6:7]
.LBB734_608:
	s_or_b64 exec, exec, s[0:1]
	s_movk_i32 s0, 0xff
	v_and_b32_sdwa v12, v6, s0 dst_sel:DWORD dst_unused:UNUSED_PAD src0_sel:WORD_1 src1_sel:DWORD
	v_lshrrev_b32_e32 v10, 16, v6
	v_cmp_ne_u16_e32 vcc, 0, v12
	v_mov_b32_e32 v11, 0
	v_mov_b32_e32 v17, 0
	s_and_saveexec_b64 s[0:1], vcc
	s_cbranch_execz .LBB734_614
; %bb.609:
	s_movk_i32 s3, 0x80
	v_cmp_ne_u16_e32 vcc, s3, v12
	v_mov_b32_e32 v17, 0xffff8000
	s_and_saveexec_b64 s[6:7], vcc
	s_cbranch_execz .LBB734_613
; %bb.610:
	v_bfe_u32 v12, v6, 16, 7
	s_movk_i32 s3, 0x7f
	v_cmp_ne_u32_e32 vcc, s3, v12
	v_mov_b32_e32 v17, 0x7f80
	s_and_saveexec_b64 s[10:11], vcc
	s_cbranch_execz .LBB734_612
; %bb.611:
	v_and_b32_e32 v17, 7, v10
	v_ffbh_u32_e32 v18, v17
	v_min_u32_e32 v21, 32, v18
	v_subrev_u32_e32 v18, 28, v21
	v_lshlrev_b64 v[18:19], v18, v[10:11]
	v_and_b32_e32 v18, 7, v18
	v_cmp_gt_u32_e32 vcc, 8, v12
	v_lshrrev_b32_e32 v20, 3, v12
	v_sub_u32_e32 v10, 29, v21
	v_cndmask_b32_e32 v12, v17, v18, vcc
	v_mov_b32_e32 v17, 24
	v_cndmask_b32_e32 v10, v20, v10, vcc
	v_lshlrev_b32_sdwa v17, v17, v6 dst_sel:DWORD dst_unused:UNUSED_PAD src0_sel:DWORD src1_sel:WORD_1
	v_bfrev_b32_e32 v18, 60
	v_lshlrev_b32_e32 v12, 20, v12
	v_and_b32_e32 v17, 0x80000000, v17
	v_lshl_add_u32 v10, v10, 23, v18
	v_or3_b32 v10, v17, v10, v12
	v_lshrrev_b32_e32 v17, 16, v10
.LBB734_612:
	s_or_b64 exec, exec, s[10:11]
.LBB734_613:
	s_or_b64 exec, exec, s[6:7]
.LBB734_614:
	s_or_b64 exec, exec, s[0:1]
	s_mov_b32 s0, 0xffffff
	v_cmp_lt_u32_e32 vcc, s0, v6
	v_mov_b32_e32 v18, 0
	s_and_saveexec_b64 s[0:1], vcc
	s_cbranch_execz .LBB734_620
; %bb.615:
	v_lshrrev_b32_e32 v10, 24, v6
	s_movk_i32 s3, 0x80
	v_cmp_ne_u32_e32 vcc, s3, v10
	v_mov_b32_e32 v18, 0xffff8000
	s_and_saveexec_b64 s[6:7], vcc
	s_cbranch_execz .LBB734_619
; %bb.616:
	v_bfe_u32 v12, v6, 24, 7
	s_movk_i32 s3, 0x7f
	v_cmp_ne_u32_e32 vcc, s3, v12
	v_mov_b32_e32 v18, 0x7f80
	s_and_saveexec_b64 s[10:11], vcc
	s_cbranch_execz .LBB734_618
; %bb.617:
	v_and_b32_e32 v20, 7, v10
	v_ffbh_u32_e32 v18, v20
	v_min_u32_e32 v22, 32, v18
	v_subrev_u32_e32 v18, 28, v22
	v_lshlrev_b64 v[18:19], v18, v[10:11]
	v_lshrrev_b32_e32 v21, 3, v12
	v_sub_u32_e32 v19, 29, v22
	v_and_b32_e32 v18, 7, v18
	v_cmp_gt_u32_e32 vcc, 8, v12
	v_cndmask_b32_e32 v12, v21, v19, vcc
	v_cndmask_b32_e32 v18, v20, v18, vcc
	v_lshlrev_b32_e32 v10, 24, v10
	v_bfrev_b32_e32 v19, 60
	v_lshlrev_b32_e32 v18, 20, v18
	v_and_b32_e32 v10, 0x80000000, v10
	v_lshl_add_u32 v12, v12, 23, v19
	v_or3_b32 v10, v10, v12, v18
	v_lshrrev_b32_e32 v18, 16, v10
.LBB734_618:
	s_or_b64 exec, exec, s[10:11]
.LBB734_619:
	s_or_b64 exec, exec, s[6:7]
.LBB734_620:
	s_or_b64 exec, exec, s[0:1]
	v_mov_b32_e32 v19, 0
	v_mov_b32_e32 v10, v7
	v_cmp_ne_u16_sdwa s[6:7], v7, v19 src0_sel:BYTE_0 src1_sel:DWORD
	v_mov_b32_e32 v20, 0
	s_and_saveexec_b64 s[0:1], s[6:7]
	s_cbranch_execz .LBB734_626
; %bb.621:
	s_movk_i32 s3, 0x80
	v_cmp_ne_u16_sdwa s[10:11], v7, s3 src0_sel:BYTE_0 src1_sel:DWORD
	v_mov_b32_e32 v20, 0xffff8000
	s_and_saveexec_b64 s[6:7], s[10:11]
	s_cbranch_execz .LBB734_625
; %bb.622:
	s_movk_i32 s3, 0x7f
	v_and_b32_e32 v12, 0x7f, v7
	v_cmp_ne_u32_e32 vcc, s3, v12
	v_mov_b32_e32 v20, 0x7f80
	s_and_saveexec_b64 s[10:11], vcc
	s_cbranch_execz .LBB734_624
; %bb.623:
	v_and_b32_e32 v20, 7, v7
	v_ffbh_u32_e32 v20, v20
	v_min_u32_e32 v20, 32, v20
	v_lshrrev_b32_e32 v21, 3, v12
	v_subrev_u32_e32 v22, 28, v20
	v_sub_u32_e32 v20, 29, v20
	v_cmp_gt_u32_e32 vcc, 8, v12
	v_cndmask_b32_e32 v12, v21, v20, vcc
	v_cndmask_b32_e32 v20, 0, v22, vcc
	v_lshlrev_b64 v[20:21], v20, v[10:11]
	v_lshlrev_b32_e32 v11, 20, v20
	v_lshlrev_b32_e32 v20, 24, v10
	v_bfrev_b32_e32 v21, 60
	v_and_b32_e32 v11, 0x700000, v11
	v_and_b32_e32 v20, 0x80000000, v20
	v_lshl_add_u32 v12, v12, 23, v21
	v_or3_b32 v11, v20, v12, v11
	v_lshrrev_b32_e32 v20, 16, v11
.LBB734_624:
	s_or_b64 exec, exec, s[10:11]
.LBB734_625:
	s_or_b64 exec, exec, s[6:7]
.LBB734_626:
	s_or_b64 exec, exec, s[0:1]
	v_lshrrev_b16_e32 v12, 8, v10
	v_cmp_ne_u16_e32 vcc, 0, v12
	s_and_saveexec_b64 s[0:1], vcc
	s_cbranch_execz .LBB734_632
; %bb.627:
	s_movk_i32 s3, 0x80
	v_cmp_ne_u16_e32 vcc, s3, v12
	v_mov_b32_e32 v19, 0xffff8000
	s_and_saveexec_b64 s[6:7], vcc
	s_cbranch_execz .LBB734_631
; %bb.628:
	s_movk_i32 s3, 0x7f
	v_and_b32_e32 v11, 0x7f, v12
	v_cmp_ne_u32_e32 vcc, s3, v11
	v_mov_b32_e32 v19, 0x7f80
	s_and_saveexec_b64 s[10:11], vcc
	s_cbranch_execz .LBB734_630
; %bb.629:
	v_and_b32_e32 v19, 7, v12
	v_ffbh_u32_e32 v22, v19
	v_min_u32_e32 v24, 32, v22
	v_subrev_u32_e32 v22, 28, v24
	v_lshlrev_b64 v[22:23], v22, v[12:13]
	v_lshrrev_b32_e32 v21, 3, v11
	v_sub_u32_e32 v12, 29, v24
	v_and_b32_e32 v22, 7, v22
	v_cmp_gt_u32_e32 vcc, 8, v11
	v_cndmask_b32_e32 v11, v21, v12, vcc
	v_cndmask_b32_e32 v12, v19, v22, vcc
	v_lshlrev_b32_e32 v10, 16, v10
	v_bfrev_b32_e32 v19, 60
	v_lshlrev_b32_e32 v12, 20, v12
	v_and_b32_e32 v10, 0x80000000, v10
	v_lshl_add_u32 v11, v11, 23, v19
	v_or3_b32 v10, v10, v11, v12
	v_lshrrev_b32_e32 v19, 16, v10
.LBB734_630:
	s_or_b64 exec, exec, s[10:11]
.LBB734_631:
	s_or_b64 exec, exec, s[6:7]
.LBB734_632:
	s_or_b64 exec, exec, s[0:1]
	s_movk_i32 s0, 0xff
	v_and_b32_sdwa v21, v7, s0 dst_sel:DWORD dst_unused:UNUSED_PAD src0_sel:WORD_1 src1_sel:DWORD
	v_lshrrev_b32_e32 v10, 16, v7
	v_cmp_ne_u16_e32 vcc, 0, v21
	v_mov_b32_e32 v11, 0
	v_mov_b32_e32 v12, 0
	s_and_saveexec_b64 s[0:1], vcc
	s_cbranch_execz .LBB734_638
; %bb.633:
	s_movk_i32 s3, 0x80
	v_cmp_ne_u16_e32 vcc, s3, v21
	v_mov_b32_e32 v12, 0xffff8000
	s_and_saveexec_b64 s[6:7], vcc
	s_cbranch_execz .LBB734_637
; %bb.634:
	v_bfe_u32 v21, v7, 16, 7
	s_movk_i32 s3, 0x7f
	v_cmp_ne_u32_e32 vcc, s3, v21
	v_mov_b32_e32 v12, 0x7f80
	s_and_saveexec_b64 s[10:11], vcc
	s_cbranch_execz .LBB734_636
; %bb.635:
	v_and_b32_e32 v12, 7, v10
	v_ffbh_u32_e32 v22, v12
	v_min_u32_e32 v25, 32, v22
	v_subrev_u32_e32 v22, 28, v25
	v_lshlrev_b64 v[22:23], v22, v[10:11]
	v_lshrrev_b32_e32 v24, 3, v21
	v_sub_u32_e32 v10, 29, v25
	v_and_b32_e32 v22, 7, v22
	v_cmp_gt_u32_e32 vcc, 8, v21
	v_mov_b32_e32 v21, 24
	v_cndmask_b32_e32 v10, v24, v10, vcc
	v_cndmask_b32_e32 v12, v12, v22, vcc
	v_lshlrev_b32_sdwa v21, v21, v7 dst_sel:DWORD dst_unused:UNUSED_PAD src0_sel:DWORD src1_sel:WORD_1
	v_bfrev_b32_e32 v22, 60
	v_lshlrev_b32_e32 v12, 20, v12
	v_and_b32_e32 v21, 0x80000000, v21
	v_lshl_add_u32 v10, v10, 23, v22
	v_or3_b32 v10, v21, v10, v12
	v_lshrrev_b32_e32 v12, 16, v10
.LBB734_636:
	s_or_b64 exec, exec, s[10:11]
.LBB734_637:
	s_or_b64 exec, exec, s[6:7]
.LBB734_638:
	s_or_b64 exec, exec, s[0:1]
	s_mov_b32 s0, -1
	s_mov_b32 s1, 0xffffff
	v_cmp_lt_u64_e32 vcc, s[0:1], v[6:7]
	s_and_saveexec_b64 s[0:1], vcc
	s_cbranch_execz .LBB734_644
; %bb.639:
	v_lshrrev_b32_e32 v6, 24, v7
	s_movk_i32 s3, 0x80
	v_cmp_ne_u32_e32 vcc, s3, v6
	v_mov_b32_e32 v11, 0xffff8000
	s_and_saveexec_b64 s[6:7], vcc
	s_cbranch_execz .LBB734_643
; %bb.640:
	v_bfe_u32 v7, v7, 24, 7
	s_movk_i32 s3, 0x7f
	v_cmp_ne_u32_e32 vcc, s3, v7
	v_mov_b32_e32 v11, 0x7f80
	s_and_saveexec_b64 s[10:11], vcc
	s_cbranch_execz .LBB734_642
; %bb.641:
	v_and_b32_e32 v21, 7, v6
	v_ffbh_u32_e32 v10, v21
	v_min_u32_e32 v23, 32, v10
	v_subrev_u32_e32 v10, 28, v23
	v_lshlrev_b64 v[10:11], v10, v[6:7]
	v_lshrrev_b32_e32 v22, 3, v7
	v_sub_u32_e32 v11, 29, v23
	v_and_b32_e32 v10, 7, v10
	v_cmp_gt_u32_e32 vcc, 8, v7
	v_cndmask_b32_e32 v7, v22, v11, vcc
	v_cndmask_b32_e32 v10, v21, v10, vcc
	v_lshlrev_b32_e32 v6, 24, v6
	v_bfrev_b32_e32 v11, 60
	v_lshlrev_b32_e32 v10, 20, v10
	v_and_b32_e32 v6, 0x80000000, v6
	v_lshl_add_u32 v7, v7, 23, v11
	v_or3_b32 v6, v6, v7, v10
	v_lshrrev_b32_e32 v11, 16, v6
.LBB734_642:
	s_or_b64 exec, exec, s[10:11]
.LBB734_643:
	s_or_b64 exec, exec, s[6:7]
.LBB734_644:
	s_or_b64 exec, exec, s[0:1]
	s_mov_b32 s0, 0x5040100
	v_perm_b32 v7, v18, v17, s0
	v_perm_b32 v6, v13, v16, s0
	;; [unrolled: 1-line block ×4, first 2 shown]
	v_mfma_f32_4x4x4bf16_1k a[0:3], v[14:15], v[6:7], a[0:3] cbsz:4 abid:8
	v_mov_b32_e32 v12, 0
	v_mfma_f32_4x4x4bf16_1k a[0:3], v[14:15], v[10:11], a[0:3] cbsz:4 abid:9
	v_mov_b32_e32 v11, 0
	v_cmp_ne_u16_sdwa s[6:7], v8, v11 src0_sel:BYTE_0 src1_sel:DWORD
	s_and_saveexec_b64 s[0:1], s[6:7]
	s_cbranch_execz .LBB734_650
; %bb.645:
	s_movk_i32 s3, 0x80
	v_cmp_ne_u16_sdwa s[10:11], v8, s3 src0_sel:BYTE_0 src1_sel:DWORD
	v_mov_b32_e32 v12, 0xffff8000
	s_and_saveexec_b64 s[6:7], s[10:11]
	s_cbranch_execz .LBB734_649
; %bb.646:
	s_movk_i32 s3, 0x7f
	v_and_b32_e32 v6, 0x7f, v8
	v_cmp_ne_u32_e32 vcc, s3, v6
	v_mov_b32_e32 v12, 0x7f80
	s_and_saveexec_b64 s[10:11], vcc
	s_cbranch_execz .LBB734_648
; %bb.647:
	v_and_b32_e32 v7, 7, v8
	v_ffbh_u32_e32 v7, v7
	v_min_u32_e32 v7, 32, v7
	v_subrev_u32_e32 v12, 28, v7
	v_cmp_gt_u32_e32 vcc, 8, v6
	v_lshrrev_b32_e32 v10, 3, v6
	v_sub_u32_e32 v7, 29, v7
	v_cndmask_b32_e32 v6, 0, v12, vcc
	v_cndmask_b32_e32 v10, v10, v7, vcc
	v_lshlrev_b64 v[6:7], v6, v[8:9]
	v_lshlrev_b32_e32 v6, 20, v6
	v_lshlrev_b32_e32 v7, 24, v8
	v_bfrev_b32_e32 v12, 60
	v_and_b32_e32 v6, 0x700000, v6
	v_and_b32_e32 v7, 0x80000000, v7
	v_lshl_add_u32 v10, v10, 23, v12
	v_or3_b32 v6, v7, v10, v6
	v_lshrrev_b32_e32 v12, 16, v6
.LBB734_648:
	s_or_b64 exec, exec, s[10:11]
.LBB734_649:
	s_or_b64 exec, exec, s[6:7]
.LBB734_650:
	s_or_b64 exec, exec, s[0:1]
	v_lshrrev_b16_e32 v6, 8, v8
	v_cmp_ne_u16_e32 vcc, 0, v6
	s_and_saveexec_b64 s[0:1], vcc
	s_cbranch_execz .LBB734_656
; %bb.651:
	s_movk_i32 s3, 0x80
	v_cmp_ne_u16_e32 vcc, s3, v6
	v_mov_b32_e32 v11, 0xffff8000
	s_and_saveexec_b64 s[6:7], vcc
	s_cbranch_execz .LBB734_655
; %bb.652:
	s_movk_i32 s3, 0x7f
	v_and_b32_e32 v7, 0x7f, v6
	v_cmp_ne_u32_e32 vcc, s3, v7
	v_mov_b32_e32 v11, 0x7f80
	s_and_saveexec_b64 s[10:11], vcc
	s_cbranch_execz .LBB734_654
; %bb.653:
	v_and_b32_e32 v13, 7, v6
	v_ffbh_u32_e32 v10, v13
	v_min_u32_e32 v17, 32, v10
	v_subrev_u32_e32 v10, 28, v17
	v_lshlrev_b64 v[10:11], v10, v[6:7]
	v_lshrrev_b32_e32 v16, 3, v7
	v_sub_u32_e32 v6, 29, v17
	v_and_b32_e32 v10, 7, v10
	v_cmp_gt_u32_e32 vcc, 8, v7
	v_cndmask_b32_e32 v6, v16, v6, vcc
	v_cndmask_b32_e32 v7, v13, v10, vcc
	v_lshlrev_b32_e32 v10, 16, v8
	v_bfrev_b32_e32 v11, 60
	v_lshlrev_b32_e32 v7, 20, v7
	v_and_b32_e32 v10, 0x80000000, v10
	v_lshl_add_u32 v6, v6, 23, v11
	v_or3_b32 v6, v10, v6, v7
	v_lshrrev_b32_e32 v11, 16, v6
.LBB734_654:
	s_or_b64 exec, exec, s[10:11]
.LBB734_655:
	s_or_b64 exec, exec, s[6:7]
.LBB734_656:
	s_or_b64 exec, exec, s[0:1]
	s_movk_i32 s0, 0xff
	v_and_b32_sdwa v10, v8, s0 dst_sel:DWORD dst_unused:UNUSED_PAD src0_sel:WORD_1 src1_sel:DWORD
	v_lshrrev_b32_e32 v6, 16, v8
	v_cmp_ne_u16_e32 vcc, 0, v10
	v_mov_b32_e32 v7, 0
	v_mov_b32_e32 v13, 0
	s_and_saveexec_b64 s[0:1], vcc
	s_cbranch_execz .LBB734_662
; %bb.657:
	s_movk_i32 s3, 0x80
	v_cmp_ne_u16_e32 vcc, s3, v10
	v_mov_b32_e32 v13, 0xffff8000
	s_and_saveexec_b64 s[6:7], vcc
	s_cbranch_execz .LBB734_661
; %bb.658:
	v_bfe_u32 v10, v8, 16, 7
	s_movk_i32 s3, 0x7f
	v_cmp_ne_u32_e32 vcc, s3, v10
	v_mov_b32_e32 v13, 0x7f80
	s_and_saveexec_b64 s[10:11], vcc
	s_cbranch_execz .LBB734_660
; %bb.659:
	v_and_b32_e32 v13, 7, v6
	v_ffbh_u32_e32 v16, v13
	v_min_u32_e32 v19, 32, v16
	v_subrev_u32_e32 v16, 28, v19
	v_lshlrev_b64 v[16:17], v16, v[6:7]
	v_and_b32_e32 v16, 7, v16
	v_cmp_gt_u32_e32 vcc, 8, v10
	v_lshrrev_b32_e32 v18, 3, v10
	v_sub_u32_e32 v6, 29, v19
	v_cndmask_b32_e32 v10, v13, v16, vcc
	v_mov_b32_e32 v13, 24
	v_cndmask_b32_e32 v6, v18, v6, vcc
	v_lshlrev_b32_sdwa v13, v13, v8 dst_sel:DWORD dst_unused:UNUSED_PAD src0_sel:DWORD src1_sel:WORD_1
	v_bfrev_b32_e32 v16, 60
	v_lshlrev_b32_e32 v10, 20, v10
	v_and_b32_e32 v13, 0x80000000, v13
	v_lshl_add_u32 v6, v6, 23, v16
	v_or3_b32 v6, v13, v6, v10
	v_lshrrev_b32_e32 v13, 16, v6
.LBB734_660:
	s_or_b64 exec, exec, s[10:11]
.LBB734_661:
	s_or_b64 exec, exec, s[6:7]
.LBB734_662:
	s_or_b64 exec, exec, s[0:1]
	s_mov_b32 s0, 0xffffff
	v_cmp_lt_u32_e32 vcc, s0, v8
	v_mov_b32_e32 v16, 0
	s_and_saveexec_b64 s[0:1], vcc
	s_cbranch_execz .LBB734_668
; %bb.663:
	v_lshrrev_b32_e32 v6, 24, v8
	s_movk_i32 s3, 0x80
	v_cmp_ne_u32_e32 vcc, s3, v6
	v_mov_b32_e32 v16, 0xffff8000
	s_and_saveexec_b64 s[6:7], vcc
	s_cbranch_execz .LBB734_667
; %bb.664:
	v_bfe_u32 v10, v8, 24, 7
	s_movk_i32 s3, 0x7f
	v_cmp_ne_u32_e32 vcc, s3, v10
	v_mov_b32_e32 v16, 0x7f80
	s_and_saveexec_b64 s[10:11], vcc
	s_cbranch_execz .LBB734_666
; %bb.665:
	v_and_b32_e32 v18, 7, v6
	v_ffbh_u32_e32 v16, v18
	v_min_u32_e32 v20, 32, v16
	v_subrev_u32_e32 v16, 28, v20
	v_lshlrev_b64 v[16:17], v16, v[6:7]
	v_lshrrev_b32_e32 v19, 3, v10
	v_sub_u32_e32 v17, 29, v20
	v_and_b32_e32 v16, 7, v16
	v_cmp_gt_u32_e32 vcc, 8, v10
	v_cndmask_b32_e32 v10, v19, v17, vcc
	v_cndmask_b32_e32 v16, v18, v16, vcc
	v_lshlrev_b32_e32 v6, 24, v6
	v_bfrev_b32_e32 v17, 60
	v_lshlrev_b32_e32 v16, 20, v16
	v_and_b32_e32 v6, 0x80000000, v6
	v_lshl_add_u32 v10, v10, 23, v17
	v_or3_b32 v6, v6, v10, v16
	v_lshrrev_b32_e32 v16, 16, v6
.LBB734_666:
	s_or_b64 exec, exec, s[10:11]
.LBB734_667:
	s_or_b64 exec, exec, s[6:7]
.LBB734_668:
	s_or_b64 exec, exec, s[0:1]
	v_mov_b32_e32 v17, 0
	v_mov_b32_e32 v6, v9
	v_cmp_ne_u16_sdwa s[6:7], v9, v17 src0_sel:BYTE_0 src1_sel:DWORD
	v_mov_b32_e32 v18, 0
	s_and_saveexec_b64 s[0:1], s[6:7]
	s_cbranch_execz .LBB734_674
; %bb.669:
	s_movk_i32 s3, 0x80
	v_cmp_ne_u16_sdwa s[10:11], v9, s3 src0_sel:BYTE_0 src1_sel:DWORD
	v_mov_b32_e32 v18, 0xffff8000
	s_and_saveexec_b64 s[6:7], s[10:11]
	s_cbranch_execz .LBB734_673
; %bb.670:
	s_movk_i32 s3, 0x7f
	v_and_b32_e32 v10, 0x7f, v9
	v_cmp_ne_u32_e32 vcc, s3, v10
	v_mov_b32_e32 v18, 0x7f80
	s_and_saveexec_b64 s[10:11], vcc
	s_cbranch_execz .LBB734_672
; %bb.671:
	v_and_b32_e32 v18, 7, v9
	v_ffbh_u32_e32 v18, v18
	v_min_u32_e32 v18, 32, v18
	v_lshrrev_b32_e32 v19, 3, v10
	v_subrev_u32_e32 v20, 28, v18
	v_sub_u32_e32 v18, 29, v18
	v_cmp_gt_u32_e32 vcc, 8, v10
	v_cndmask_b32_e32 v10, v19, v18, vcc
	v_cndmask_b32_e32 v18, 0, v20, vcc
	v_lshlrev_b64 v[18:19], v18, v[6:7]
	v_lshlrev_b32_e32 v7, 20, v18
	v_lshlrev_b32_e32 v18, 24, v6
	v_bfrev_b32_e32 v19, 60
	v_and_b32_e32 v7, 0x700000, v7
	v_and_b32_e32 v18, 0x80000000, v18
	v_lshl_add_u32 v10, v10, 23, v19
	v_or3_b32 v7, v18, v10, v7
	v_lshrrev_b32_e32 v18, 16, v7
.LBB734_672:
	s_or_b64 exec, exec, s[10:11]
.LBB734_673:
	s_or_b64 exec, exec, s[6:7]
.LBB734_674:
	s_or_b64 exec, exec, s[0:1]
	v_lshrrev_b16_e32 v10, 8, v6
	v_cmp_ne_u16_e32 vcc, 0, v10
	s_and_saveexec_b64 s[0:1], vcc
	s_cbranch_execz .LBB734_680
; %bb.675:
	s_movk_i32 s3, 0x80
	v_cmp_ne_u16_e32 vcc, s3, v10
	v_mov_b32_e32 v17, 0xffff8000
	s_and_saveexec_b64 s[6:7], vcc
	s_cbranch_execz .LBB734_679
; %bb.676:
	s_movk_i32 s3, 0x7f
	v_and_b32_e32 v7, 0x7f, v10
	v_cmp_ne_u32_e32 vcc, s3, v7
	v_mov_b32_e32 v17, 0x7f80
	s_and_saveexec_b64 s[10:11], vcc
	s_cbranch_execz .LBB734_678
; %bb.677:
	v_and_b32_e32 v17, 7, v10
	v_ffbh_u32_e32 v20, v17
	v_min_u32_e32 v22, 32, v20
	v_subrev_u32_e32 v20, 28, v22
	v_lshlrev_b64 v[20:21], v20, v[10:11]
	v_lshrrev_b32_e32 v19, 3, v7
	v_sub_u32_e32 v10, 29, v22
	v_and_b32_e32 v20, 7, v20
	v_cmp_gt_u32_e32 vcc, 8, v7
	v_cndmask_b32_e32 v7, v19, v10, vcc
	v_cndmask_b32_e32 v10, v17, v20, vcc
	v_lshlrev_b32_e32 v6, 16, v6
	v_bfrev_b32_e32 v17, 60
	v_lshlrev_b32_e32 v10, 20, v10
	v_and_b32_e32 v6, 0x80000000, v6
	v_lshl_add_u32 v7, v7, 23, v17
	v_or3_b32 v6, v6, v7, v10
	v_lshrrev_b32_e32 v17, 16, v6
.LBB734_678:
	s_or_b64 exec, exec, s[10:11]
.LBB734_679:
	s_or_b64 exec, exec, s[6:7]
.LBB734_680:
	s_or_b64 exec, exec, s[0:1]
	s_movk_i32 s0, 0xff
	v_and_b32_sdwa v19, v9, s0 dst_sel:DWORD dst_unused:UNUSED_PAD src0_sel:WORD_1 src1_sel:DWORD
	v_lshrrev_b32_e32 v6, 16, v9
	v_cmp_ne_u16_e32 vcc, 0, v19
	v_mov_b32_e32 v7, 0
	v_mov_b32_e32 v10, 0
	s_and_saveexec_b64 s[0:1], vcc
	s_cbranch_execz .LBB734_686
; %bb.681:
	s_movk_i32 s3, 0x80
	v_cmp_ne_u16_e32 vcc, s3, v19
	v_mov_b32_e32 v10, 0xffff8000
	s_and_saveexec_b64 s[6:7], vcc
	s_cbranch_execz .LBB734_685
; %bb.682:
	v_bfe_u32 v19, v9, 16, 7
	s_movk_i32 s3, 0x7f
	v_cmp_ne_u32_e32 vcc, s3, v19
	v_mov_b32_e32 v10, 0x7f80
	s_and_saveexec_b64 s[10:11], vcc
	s_cbranch_execz .LBB734_684
; %bb.683:
	v_and_b32_e32 v10, 7, v6
	v_ffbh_u32_e32 v20, v10
	v_min_u32_e32 v23, 32, v20
	v_subrev_u32_e32 v20, 28, v23
	v_lshlrev_b64 v[20:21], v20, v[6:7]
	v_lshrrev_b32_e32 v22, 3, v19
	v_sub_u32_e32 v6, 29, v23
	v_and_b32_e32 v20, 7, v20
	v_cmp_gt_u32_e32 vcc, 8, v19
	v_mov_b32_e32 v19, 24
	v_cndmask_b32_e32 v6, v22, v6, vcc
	v_cndmask_b32_e32 v10, v10, v20, vcc
	v_lshlrev_b32_sdwa v19, v19, v9 dst_sel:DWORD dst_unused:UNUSED_PAD src0_sel:DWORD src1_sel:WORD_1
	v_bfrev_b32_e32 v20, 60
	v_lshlrev_b32_e32 v10, 20, v10
	v_and_b32_e32 v19, 0x80000000, v19
	v_lshl_add_u32 v6, v6, 23, v20
	v_or3_b32 v6, v19, v6, v10
	v_lshrrev_b32_e32 v10, 16, v6
.LBB734_684:
	s_or_b64 exec, exec, s[10:11]
.LBB734_685:
	s_or_b64 exec, exec, s[6:7]
.LBB734_686:
	s_or_b64 exec, exec, s[0:1]
	s_mov_b32 s0, -1
	s_mov_b32 s1, 0xffffff
	v_cmp_lt_u64_e32 vcc, s[0:1], v[8:9]
	s_and_saveexec_b64 s[0:1], vcc
	s_cbranch_execz .LBB734_692
; %bb.687:
	v_lshrrev_b32_e32 v6, 24, v9
	s_movk_i32 s3, 0x80
	v_cmp_ne_u32_e32 vcc, s3, v6
	v_mov_b32_e32 v7, 0xffff8000
	s_and_saveexec_b64 s[6:7], vcc
	s_cbranch_execz .LBB734_691
; %bb.688:
	v_bfe_u32 v8, v9, 24, 7
	s_movk_i32 s3, 0x7f
	v_cmp_ne_u32_e32 vcc, s3, v8
	v_mov_b32_e32 v7, 0x7f80
	s_and_saveexec_b64 s[10:11], vcc
	s_cbranch_execz .LBB734_690
; %bb.689:
	v_and_b32_e32 v7, 7, v6
	v_ffbh_u32_e32 v19, v7
	v_min_u32_e32 v19, 32, v19
	v_subrev_u32_e32 v20, 28, v19
	v_lshlrev_b64 v[20:21], v20, v[6:7]
	v_lshrrev_b32_e32 v9, 3, v8
	v_sub_u32_e32 v19, 29, v19
	v_and_b32_e32 v20, 7, v20
	v_cmp_gt_u32_e32 vcc, 8, v8
	v_cndmask_b32_e32 v8, v9, v19, vcc
	v_cndmask_b32_e32 v7, v7, v20, vcc
	v_lshlrev_b32_e32 v6, 24, v6
	v_bfrev_b32_e32 v9, 60
	v_lshlrev_b32_e32 v7, 20, v7
	v_and_b32_e32 v6, 0x80000000, v6
	v_lshl_add_u32 v8, v8, 23, v9
	v_or3_b32 v6, v6, v8, v7
	v_lshrrev_b32_e32 v7, 16, v6
.LBB734_690:
	s_or_b64 exec, exec, s[10:11]
.LBB734_691:
	s_or_b64 exec, exec, s[6:7]
.LBB734_692:
	s_or_b64 exec, exec, s[0:1]
	s_mov_b32 s0, 0x5040100
	v_perm_b32 v9, v16, v13, s0
	v_perm_b32 v8, v11, v12, s0
	;; [unrolled: 1-line block ×4, first 2 shown]
	v_mfma_f32_4x4x4bf16_1k a[0:3], v[14:15], v[8:9], a[0:3] cbsz:4 abid:10
	v_mov_b32_e32 v9, 0
	v_mfma_f32_4x4x4bf16_1k a[0:3], v[14:15], v[6:7], a[0:3] cbsz:4 abid:11
	v_cmp_ne_u16_sdwa s[6:7], v2, v9 src0_sel:BYTE_0 src1_sel:DWORD
	v_mov_b32_e32 v10, 0
	s_and_saveexec_b64 s[0:1], s[6:7]
	s_cbranch_execz .LBB734_698
; %bb.693:
	s_movk_i32 s3, 0x80
	v_cmp_ne_u16_sdwa s[10:11], v2, s3 src0_sel:BYTE_0 src1_sel:DWORD
	v_mov_b32_e32 v10, 0xffff8000
	s_and_saveexec_b64 s[6:7], s[10:11]
	s_cbranch_execz .LBB734_697
; %bb.694:
	s_movk_i32 s3, 0x7f
	v_and_b32_e32 v6, 0x7f, v2
	v_cmp_ne_u32_e32 vcc, s3, v6
	v_mov_b32_e32 v10, 0x7f80
	s_and_saveexec_b64 s[10:11], vcc
	s_cbranch_execz .LBB734_696
; %bb.695:
	v_and_b32_e32 v7, 7, v2
	v_ffbh_u32_e32 v7, v7
	v_min_u32_e32 v7, 32, v7
	v_subrev_u32_e32 v10, 28, v7
	v_cmp_gt_u32_e32 vcc, 8, v6
	v_lshrrev_b32_e32 v8, 3, v6
	v_sub_u32_e32 v7, 29, v7
	v_cndmask_b32_e32 v6, 0, v10, vcc
	v_cndmask_b32_e32 v8, v8, v7, vcc
	v_lshlrev_b64 v[6:7], v6, v[2:3]
	v_lshlrev_b32_e32 v6, 20, v6
	v_lshlrev_b32_e32 v7, 24, v2
	v_bfrev_b32_e32 v10, 60
	v_and_b32_e32 v6, 0x700000, v6
	v_and_b32_e32 v7, 0x80000000, v7
	v_lshl_add_u32 v8, v8, 23, v10
	v_or3_b32 v6, v7, v8, v6
	v_lshrrev_b32_e32 v10, 16, v6
.LBB734_696:
	s_or_b64 exec, exec, s[10:11]
.LBB734_697:
	s_or_b64 exec, exec, s[6:7]
.LBB734_698:
	s_or_b64 exec, exec, s[0:1]
	v_lshrrev_b16_e32 v6, 8, v2
	v_cmp_ne_u16_e32 vcc, 0, v6
	s_and_saveexec_b64 s[0:1], vcc
	s_cbranch_execz .LBB734_704
; %bb.699:
	s_movk_i32 s3, 0x80
	v_cmp_ne_u16_e32 vcc, s3, v6
	v_mov_b32_e32 v9, 0xffff8000
	s_and_saveexec_b64 s[6:7], vcc
	s_cbranch_execz .LBB734_703
; %bb.700:
	s_movk_i32 s3, 0x7f
	v_and_b32_e32 v7, 0x7f, v6
	v_cmp_ne_u32_e32 vcc, s3, v7
	v_mov_b32_e32 v9, 0x7f80
	s_and_saveexec_b64 s[10:11], vcc
	s_cbranch_execz .LBB734_702
; %bb.701:
	v_and_b32_e32 v11, 7, v6
	v_ffbh_u32_e32 v8, v11
	v_min_u32_e32 v13, 32, v8
	v_subrev_u32_e32 v8, 28, v13
	v_lshlrev_b64 v[8:9], v8, v[6:7]
	v_lshrrev_b32_e32 v12, 3, v7
	v_sub_u32_e32 v6, 29, v13
	v_and_b32_e32 v8, 7, v8
	v_cmp_gt_u32_e32 vcc, 8, v7
	v_cndmask_b32_e32 v6, v12, v6, vcc
	v_cndmask_b32_e32 v7, v11, v8, vcc
	v_lshlrev_b32_e32 v8, 16, v2
	v_bfrev_b32_e32 v9, 60
	v_lshlrev_b32_e32 v7, 20, v7
	v_and_b32_e32 v8, 0x80000000, v8
	v_lshl_add_u32 v6, v6, 23, v9
	v_or3_b32 v6, v8, v6, v7
	v_lshrrev_b32_e32 v9, 16, v6
.LBB734_702:
	s_or_b64 exec, exec, s[10:11]
.LBB734_703:
	s_or_b64 exec, exec, s[6:7]
.LBB734_704:
	s_or_b64 exec, exec, s[0:1]
	s_movk_i32 s0, 0xff
	v_and_b32_sdwa v8, v2, s0 dst_sel:DWORD dst_unused:UNUSED_PAD src0_sel:WORD_1 src1_sel:DWORD
	v_lshrrev_b32_e32 v6, 16, v2
	v_cmp_ne_u16_e32 vcc, 0, v8
	v_mov_b32_e32 v7, 0
	v_mov_b32_e32 v11, 0
	s_and_saveexec_b64 s[0:1], vcc
	s_cbranch_execz .LBB734_710
; %bb.705:
	s_movk_i32 s3, 0x80
	v_cmp_ne_u16_e32 vcc, s3, v8
	v_mov_b32_e32 v11, 0xffff8000
	s_and_saveexec_b64 s[6:7], vcc
	s_cbranch_execz .LBB734_709
; %bb.706:
	v_bfe_u32 v8, v2, 16, 7
	s_movk_i32 s3, 0x7f
	v_cmp_ne_u32_e32 vcc, s3, v8
	v_mov_b32_e32 v11, 0x7f80
	s_and_saveexec_b64 s[10:11], vcc
	s_cbranch_execz .LBB734_708
; %bb.707:
	v_and_b32_e32 v11, 7, v6
	v_ffbh_u32_e32 v12, v11
	v_min_u32_e32 v17, 32, v12
	v_subrev_u32_e32 v12, 28, v17
	v_lshlrev_b64 v[12:13], v12, v[6:7]
	v_and_b32_e32 v12, 7, v12
	v_cmp_gt_u32_e32 vcc, 8, v8
	v_lshrrev_b32_e32 v16, 3, v8
	v_sub_u32_e32 v6, 29, v17
	v_cndmask_b32_e32 v8, v11, v12, vcc
	v_mov_b32_e32 v11, 24
	v_cndmask_b32_e32 v6, v16, v6, vcc
	v_lshlrev_b32_sdwa v11, v11, v2 dst_sel:DWORD dst_unused:UNUSED_PAD src0_sel:DWORD src1_sel:WORD_1
	v_bfrev_b32_e32 v12, 60
	v_lshlrev_b32_e32 v8, 20, v8
	v_and_b32_e32 v11, 0x80000000, v11
	v_lshl_add_u32 v6, v6, 23, v12
	v_or3_b32 v6, v11, v6, v8
	v_lshrrev_b32_e32 v11, 16, v6
.LBB734_708:
	s_or_b64 exec, exec, s[10:11]
.LBB734_709:
	s_or_b64 exec, exec, s[6:7]
.LBB734_710:
	s_or_b64 exec, exec, s[0:1]
	s_mov_b32 s0, 0xffffff
	v_cmp_lt_u32_e32 vcc, s0, v2
	v_mov_b32_e32 v12, 0
	s_and_saveexec_b64 s[0:1], vcc
	s_cbranch_execz .LBB734_716
; %bb.711:
	v_lshrrev_b32_e32 v6, 24, v2
	s_movk_i32 s3, 0x80
	v_cmp_ne_u32_e32 vcc, s3, v6
	v_mov_b32_e32 v12, 0xffff8000
	s_and_saveexec_b64 s[6:7], vcc
	s_cbranch_execz .LBB734_715
; %bb.712:
	v_bfe_u32 v8, v2, 24, 7
	s_movk_i32 s3, 0x7f
	v_cmp_ne_u32_e32 vcc, s3, v8
	v_mov_b32_e32 v12, 0x7f80
	s_and_saveexec_b64 s[10:11], vcc
	s_cbranch_execz .LBB734_714
; %bb.713:
	v_and_b32_e32 v16, 7, v6
	v_ffbh_u32_e32 v12, v16
	v_min_u32_e32 v18, 32, v12
	v_subrev_u32_e32 v12, 28, v18
	v_lshlrev_b64 v[12:13], v12, v[6:7]
	v_lshrrev_b32_e32 v17, 3, v8
	v_sub_u32_e32 v13, 29, v18
	v_and_b32_e32 v12, 7, v12
	v_cmp_gt_u32_e32 vcc, 8, v8
	v_cndmask_b32_e32 v8, v17, v13, vcc
	v_cndmask_b32_e32 v12, v16, v12, vcc
	v_lshlrev_b32_e32 v6, 24, v6
	v_bfrev_b32_e32 v13, 60
	v_lshlrev_b32_e32 v12, 20, v12
	v_and_b32_e32 v6, 0x80000000, v6
	v_lshl_add_u32 v8, v8, 23, v13
	v_or3_b32 v6, v6, v8, v12
	v_lshrrev_b32_e32 v12, 16, v6
.LBB734_714:
	s_or_b64 exec, exec, s[10:11]
.LBB734_715:
	s_or_b64 exec, exec, s[6:7]
.LBB734_716:
	s_or_b64 exec, exec, s[0:1]
	v_mov_b32_e32 v13, 0
	v_mov_b32_e32 v6, v3
	v_cmp_ne_u16_sdwa s[6:7], v3, v13 src0_sel:BYTE_0 src1_sel:DWORD
	v_mov_b32_e32 v16, 0
	s_and_saveexec_b64 s[0:1], s[6:7]
	s_cbranch_execz .LBB734_722
; %bb.717:
	s_movk_i32 s3, 0x80
	v_cmp_ne_u16_sdwa s[10:11], v3, s3 src0_sel:BYTE_0 src1_sel:DWORD
	v_mov_b32_e32 v16, 0xffff8000
	s_and_saveexec_b64 s[6:7], s[10:11]
	s_cbranch_execz .LBB734_721
; %bb.718:
	s_movk_i32 s3, 0x7f
	v_and_b32_e32 v8, 0x7f, v3
	v_cmp_ne_u32_e32 vcc, s3, v8
	v_mov_b32_e32 v16, 0x7f80
	s_and_saveexec_b64 s[10:11], vcc
	s_cbranch_execz .LBB734_720
; %bb.719:
	v_and_b32_e32 v16, 7, v3
	v_ffbh_u32_e32 v16, v16
	v_min_u32_e32 v16, 32, v16
	v_lshrrev_b32_e32 v17, 3, v8
	v_subrev_u32_e32 v18, 28, v16
	v_sub_u32_e32 v16, 29, v16
	v_cmp_gt_u32_e32 vcc, 8, v8
	v_cndmask_b32_e32 v8, v17, v16, vcc
	v_cndmask_b32_e32 v16, 0, v18, vcc
	v_lshlrev_b64 v[16:17], v16, v[6:7]
	v_lshlrev_b32_e32 v7, 20, v16
	v_lshlrev_b32_e32 v16, 24, v6
	v_bfrev_b32_e32 v17, 60
	v_and_b32_e32 v7, 0x700000, v7
	v_and_b32_e32 v16, 0x80000000, v16
	v_lshl_add_u32 v8, v8, 23, v17
	v_or3_b32 v7, v16, v8, v7
	v_lshrrev_b32_e32 v16, 16, v7
.LBB734_720:
	s_or_b64 exec, exec, s[10:11]
.LBB734_721:
	s_or_b64 exec, exec, s[6:7]
.LBB734_722:
	s_or_b64 exec, exec, s[0:1]
	v_lshrrev_b16_e32 v8, 8, v6
	v_cmp_ne_u16_e32 vcc, 0, v8
	s_and_saveexec_b64 s[0:1], vcc
	s_cbranch_execz .LBB734_728
; %bb.723:
	s_movk_i32 s3, 0x80
	v_cmp_ne_u16_e32 vcc, s3, v8
	v_mov_b32_e32 v13, 0xffff8000
	s_and_saveexec_b64 s[6:7], vcc
	s_cbranch_execz .LBB734_727
; %bb.724:
	s_movk_i32 s3, 0x7f
	v_and_b32_e32 v7, 0x7f, v8
	v_cmp_ne_u32_e32 vcc, s3, v7
	v_mov_b32_e32 v13, 0x7f80
	s_and_saveexec_b64 s[10:11], vcc
	s_cbranch_execz .LBB734_726
; %bb.725:
	v_and_b32_e32 v13, 7, v8
	v_ffbh_u32_e32 v18, v13
	v_min_u32_e32 v20, 32, v18
	v_subrev_u32_e32 v18, 28, v20
	v_lshlrev_b64 v[18:19], v18, v[8:9]
	v_lshrrev_b32_e32 v17, 3, v7
	v_sub_u32_e32 v8, 29, v20
	v_and_b32_e32 v18, 7, v18
	v_cmp_gt_u32_e32 vcc, 8, v7
	v_cndmask_b32_e32 v7, v17, v8, vcc
	v_cndmask_b32_e32 v8, v13, v18, vcc
	v_lshlrev_b32_e32 v6, 16, v6
	v_bfrev_b32_e32 v13, 60
	v_lshlrev_b32_e32 v8, 20, v8
	v_and_b32_e32 v6, 0x80000000, v6
	v_lshl_add_u32 v7, v7, 23, v13
	v_or3_b32 v6, v6, v7, v8
	v_lshrrev_b32_e32 v13, 16, v6
.LBB734_726:
	s_or_b64 exec, exec, s[10:11]
.LBB734_727:
	s_or_b64 exec, exec, s[6:7]
.LBB734_728:
	s_or_b64 exec, exec, s[0:1]
	s_movk_i32 s0, 0xff
	v_and_b32_sdwa v17, v3, s0 dst_sel:DWORD dst_unused:UNUSED_PAD src0_sel:WORD_1 src1_sel:DWORD
	v_lshrrev_b32_e32 v6, 16, v3
	v_cmp_ne_u16_e32 vcc, 0, v17
	v_mov_b32_e32 v7, 0
	v_mov_b32_e32 v8, 0
	s_and_saveexec_b64 s[0:1], vcc
	s_cbranch_execz .LBB734_734
; %bb.729:
	s_movk_i32 s3, 0x80
	v_cmp_ne_u16_e32 vcc, s3, v17
	v_mov_b32_e32 v8, 0xffff8000
	s_and_saveexec_b64 s[6:7], vcc
	s_cbranch_execz .LBB734_733
; %bb.730:
	v_bfe_u32 v17, v3, 16, 7
	s_movk_i32 s3, 0x7f
	v_cmp_ne_u32_e32 vcc, s3, v17
	v_mov_b32_e32 v8, 0x7f80
	s_and_saveexec_b64 s[10:11], vcc
	s_cbranch_execz .LBB734_732
; %bb.731:
	v_and_b32_e32 v8, 7, v6
	v_ffbh_u32_e32 v18, v8
	v_min_u32_e32 v21, 32, v18
	v_subrev_u32_e32 v18, 28, v21
	v_lshlrev_b64 v[18:19], v18, v[6:7]
	v_lshrrev_b32_e32 v20, 3, v17
	v_sub_u32_e32 v6, 29, v21
	v_and_b32_e32 v18, 7, v18
	v_cmp_gt_u32_e32 vcc, 8, v17
	v_mov_b32_e32 v17, 24
	v_cndmask_b32_e32 v6, v20, v6, vcc
	v_cndmask_b32_e32 v8, v8, v18, vcc
	v_lshlrev_b32_sdwa v17, v17, v3 dst_sel:DWORD dst_unused:UNUSED_PAD src0_sel:DWORD src1_sel:WORD_1
	v_bfrev_b32_e32 v18, 60
	v_lshlrev_b32_e32 v8, 20, v8
	v_and_b32_e32 v17, 0x80000000, v17
	v_lshl_add_u32 v6, v6, 23, v18
	v_or3_b32 v6, v17, v6, v8
	v_lshrrev_b32_e32 v8, 16, v6
.LBB734_732:
	s_or_b64 exec, exec, s[10:11]
.LBB734_733:
	s_or_b64 exec, exec, s[6:7]
.LBB734_734:
	s_or_b64 exec, exec, s[0:1]
	s_mov_b32 s0, -1
	s_mov_b32 s1, 0xffffff
	v_cmp_lt_u64_e32 vcc, s[0:1], v[2:3]
	s_and_saveexec_b64 s[0:1], vcc
	s_cbranch_execz .LBB734_740
; %bb.735:
	v_lshrrev_b32_e32 v2, 24, v3
	s_movk_i32 s3, 0x80
	v_cmp_ne_u32_e32 vcc, s3, v2
	v_mov_b32_e32 v7, 0xffff8000
	s_and_saveexec_b64 s[6:7], vcc
	s_cbranch_execz .LBB734_739
; %bb.736:
	v_bfe_u32 v3, v3, 24, 7
	s_movk_i32 s3, 0x7f
	v_cmp_ne_u32_e32 vcc, s3, v3
	v_mov_b32_e32 v7, 0x7f80
	s_and_saveexec_b64 s[10:11], vcc
	s_cbranch_execz .LBB734_738
; %bb.737:
	v_and_b32_e32 v17, 7, v2
	v_ffbh_u32_e32 v6, v17
	v_min_u32_e32 v19, 32, v6
	v_subrev_u32_e32 v6, 28, v19
	v_lshlrev_b64 v[6:7], v6, v[2:3]
	v_lshrrev_b32_e32 v18, 3, v3
	v_sub_u32_e32 v7, 29, v19
	v_and_b32_e32 v6, 7, v6
	v_cmp_gt_u32_e32 vcc, 8, v3
	v_cndmask_b32_e32 v3, v18, v7, vcc
	v_cndmask_b32_e32 v6, v17, v6, vcc
	v_lshlrev_b32_e32 v2, 24, v2
	v_bfrev_b32_e32 v7, 60
	v_lshlrev_b32_e32 v6, 20, v6
	v_and_b32_e32 v2, 0x80000000, v2
	v_lshl_add_u32 v3, v3, 23, v7
	v_or3_b32 v2, v2, v3, v6
	v_lshrrev_b32_e32 v7, 16, v2
.LBB734_738:
	s_or_b64 exec, exec, s[10:11]
.LBB734_739:
	s_or_b64 exec, exec, s[6:7]
.LBB734_740:
	s_or_b64 exec, exec, s[0:1]
	s_mov_b32 s0, 0x5040100
	v_perm_b32 v3, v12, v11, s0
	v_perm_b32 v2, v9, v10, s0
	;; [unrolled: 1-line block ×4, first 2 shown]
	v_mfma_f32_4x4x4bf16_1k a[0:3], v[14:15], v[2:3], a[0:3] cbsz:4 abid:12
	v_mov_b32_e32 v8, 0
	v_mfma_f32_4x4x4bf16_1k a[0:3], v[14:15], v[6:7], a[0:3] cbsz:4 abid:13
	v_mov_b32_e32 v7, 0
	v_cmp_ne_u16_sdwa s[6:7], v4, v7 src0_sel:BYTE_0 src1_sel:DWORD
	s_and_saveexec_b64 s[0:1], s[6:7]
	s_cbranch_execz .LBB734_746
; %bb.741:
	s_movk_i32 s3, 0x80
	v_cmp_ne_u16_sdwa s[10:11], v4, s3 src0_sel:BYTE_0 src1_sel:DWORD
	v_mov_b32_e32 v8, 0xffff8000
	s_and_saveexec_b64 s[6:7], s[10:11]
	s_cbranch_execz .LBB734_745
; %bb.742:
	s_movk_i32 s3, 0x7f
	v_and_b32_e32 v2, 0x7f, v4
	v_cmp_ne_u32_e32 vcc, s3, v2
	v_mov_b32_e32 v8, 0x7f80
	s_and_saveexec_b64 s[10:11], vcc
	s_cbranch_execz .LBB734_744
; %bb.743:
	v_and_b32_e32 v3, 7, v4
	v_ffbh_u32_e32 v3, v3
	v_min_u32_e32 v3, 32, v3
	v_subrev_u32_e32 v8, 28, v3
	v_cmp_gt_u32_e32 vcc, 8, v2
	v_lshrrev_b32_e32 v6, 3, v2
	v_sub_u32_e32 v3, 29, v3
	v_cndmask_b32_e32 v2, 0, v8, vcc
	v_cndmask_b32_e32 v6, v6, v3, vcc
	v_lshlrev_b64 v[2:3], v2, v[4:5]
	v_lshlrev_b32_e32 v2, 20, v2
	v_lshlrev_b32_e32 v3, 24, v4
	v_bfrev_b32_e32 v8, 60
	v_and_b32_e32 v2, 0x700000, v2
	v_and_b32_e32 v3, 0x80000000, v3
	v_lshl_add_u32 v6, v6, 23, v8
	v_or3_b32 v2, v3, v6, v2
	v_lshrrev_b32_e32 v8, 16, v2
.LBB734_744:
	s_or_b64 exec, exec, s[10:11]
.LBB734_745:
	s_or_b64 exec, exec, s[6:7]
.LBB734_746:
	s_or_b64 exec, exec, s[0:1]
	v_lshrrev_b16_e32 v2, 8, v4
	v_cmp_ne_u16_e32 vcc, 0, v2
	s_and_saveexec_b64 s[0:1], vcc
	s_cbranch_execz .LBB734_752
; %bb.747:
	s_movk_i32 s3, 0x80
	v_cmp_ne_u16_e32 vcc, s3, v2
	v_mov_b32_e32 v7, 0xffff8000
	s_and_saveexec_b64 s[6:7], vcc
	s_cbranch_execz .LBB734_751
; %bb.748:
	s_movk_i32 s3, 0x7f
	v_and_b32_e32 v3, 0x7f, v2
	v_cmp_ne_u32_e32 vcc, s3, v3
	v_mov_b32_e32 v7, 0x7f80
	s_and_saveexec_b64 s[10:11], vcc
	s_cbranch_execz .LBB734_750
; %bb.749:
	v_and_b32_e32 v9, 7, v2
	v_ffbh_u32_e32 v6, v9
	v_min_u32_e32 v11, 32, v6
	v_subrev_u32_e32 v6, 28, v11
	v_lshlrev_b64 v[6:7], v6, v[2:3]
	v_lshrrev_b32_e32 v10, 3, v3
	v_sub_u32_e32 v2, 29, v11
	v_and_b32_e32 v6, 7, v6
	v_cmp_gt_u32_e32 vcc, 8, v3
	v_cndmask_b32_e32 v2, v10, v2, vcc
	v_cndmask_b32_e32 v3, v9, v6, vcc
	v_lshlrev_b32_e32 v6, 16, v4
	v_bfrev_b32_e32 v7, 60
	v_lshlrev_b32_e32 v3, 20, v3
	v_and_b32_e32 v6, 0x80000000, v6
	v_lshl_add_u32 v2, v2, 23, v7
	v_or3_b32 v2, v6, v2, v3
	v_lshrrev_b32_e32 v7, 16, v2
.LBB734_750:
	s_or_b64 exec, exec, s[10:11]
.LBB734_751:
	s_or_b64 exec, exec, s[6:7]
.LBB734_752:
	s_or_b64 exec, exec, s[0:1]
	s_movk_i32 s0, 0xff
	v_and_b32_sdwa v6, v4, s0 dst_sel:DWORD dst_unused:UNUSED_PAD src0_sel:WORD_1 src1_sel:DWORD
	v_lshrrev_b32_e32 v2, 16, v4
	v_cmp_ne_u16_e32 vcc, 0, v6
	v_mov_b32_e32 v3, 0
	v_mov_b32_e32 v9, 0
	s_and_saveexec_b64 s[0:1], vcc
	s_cbranch_execz .LBB734_758
; %bb.753:
	s_movk_i32 s3, 0x80
	v_cmp_ne_u16_e32 vcc, s3, v6
	v_mov_b32_e32 v9, 0xffff8000
	s_and_saveexec_b64 s[6:7], vcc
	s_cbranch_execz .LBB734_757
; %bb.754:
	v_bfe_u32 v6, v4, 16, 7
	s_movk_i32 s3, 0x7f
	v_cmp_ne_u32_e32 vcc, s3, v6
	v_mov_b32_e32 v9, 0x7f80
	s_and_saveexec_b64 s[10:11], vcc
	s_cbranch_execz .LBB734_756
; %bb.755:
	v_and_b32_e32 v9, 7, v2
	v_ffbh_u32_e32 v10, v9
	v_min_u32_e32 v13, 32, v10
	v_subrev_u32_e32 v10, 28, v13
	v_lshlrev_b64 v[10:11], v10, v[2:3]
	v_and_b32_e32 v10, 7, v10
	v_cmp_gt_u32_e32 vcc, 8, v6
	v_lshrrev_b32_e32 v12, 3, v6
	v_sub_u32_e32 v2, 29, v13
	v_cndmask_b32_e32 v6, v9, v10, vcc
	v_mov_b32_e32 v9, 24
	v_cndmask_b32_e32 v2, v12, v2, vcc
	v_lshlrev_b32_sdwa v9, v9, v4 dst_sel:DWORD dst_unused:UNUSED_PAD src0_sel:DWORD src1_sel:WORD_1
	v_bfrev_b32_e32 v10, 60
	v_lshlrev_b32_e32 v6, 20, v6
	v_and_b32_e32 v9, 0x80000000, v9
	v_lshl_add_u32 v2, v2, 23, v10
	v_or3_b32 v2, v9, v2, v6
	v_lshrrev_b32_e32 v9, 16, v2
.LBB734_756:
	s_or_b64 exec, exec, s[10:11]
.LBB734_757:
	s_or_b64 exec, exec, s[6:7]
.LBB734_758:
	s_or_b64 exec, exec, s[0:1]
	s_mov_b32 s0, 0xffffff
	v_cmp_lt_u32_e32 vcc, s0, v4
	v_mov_b32_e32 v10, 0
	s_and_saveexec_b64 s[0:1], vcc
	s_cbranch_execz .LBB734_764
; %bb.759:
	v_lshrrev_b32_e32 v2, 24, v4
	s_movk_i32 s3, 0x80
	v_cmp_ne_u32_e32 vcc, s3, v2
	v_mov_b32_e32 v10, 0xffff8000
	s_and_saveexec_b64 s[6:7], vcc
	s_cbranch_execz .LBB734_763
; %bb.760:
	v_bfe_u32 v6, v4, 24, 7
	s_movk_i32 s3, 0x7f
	v_cmp_ne_u32_e32 vcc, s3, v6
	v_mov_b32_e32 v10, 0x7f80
	s_and_saveexec_b64 s[10:11], vcc
	s_cbranch_execz .LBB734_762
; %bb.761:
	v_and_b32_e32 v12, 7, v2
	v_ffbh_u32_e32 v10, v12
	v_min_u32_e32 v16, 32, v10
	v_subrev_u32_e32 v10, 28, v16
	v_lshlrev_b64 v[10:11], v10, v[2:3]
	v_lshrrev_b32_e32 v13, 3, v6
	v_sub_u32_e32 v11, 29, v16
	v_and_b32_e32 v10, 7, v10
	v_cmp_gt_u32_e32 vcc, 8, v6
	v_cndmask_b32_e32 v6, v13, v11, vcc
	v_cndmask_b32_e32 v10, v12, v10, vcc
	v_lshlrev_b32_e32 v2, 24, v2
	v_bfrev_b32_e32 v11, 60
	v_lshlrev_b32_e32 v10, 20, v10
	v_and_b32_e32 v2, 0x80000000, v2
	v_lshl_add_u32 v6, v6, 23, v11
	v_or3_b32 v2, v2, v6, v10
	v_lshrrev_b32_e32 v10, 16, v2
.LBB734_762:
	s_or_b64 exec, exec, s[10:11]
.LBB734_763:
	s_or_b64 exec, exec, s[6:7]
.LBB734_764:
	s_or_b64 exec, exec, s[0:1]
	v_mov_b32_e32 v11, 0
	v_mov_b32_e32 v2, v5
	v_cmp_ne_u16_sdwa s[6:7], v5, v11 src0_sel:BYTE_0 src1_sel:DWORD
	v_mov_b32_e32 v12, 0
	s_and_saveexec_b64 s[0:1], s[6:7]
	s_cbranch_execz .LBB734_770
; %bb.765:
	s_movk_i32 s3, 0x80
	v_cmp_ne_u16_sdwa s[10:11], v5, s3 src0_sel:BYTE_0 src1_sel:DWORD
	v_mov_b32_e32 v12, 0xffff8000
	s_and_saveexec_b64 s[6:7], s[10:11]
	s_cbranch_execz .LBB734_769
; %bb.766:
	s_movk_i32 s3, 0x7f
	v_and_b32_e32 v6, 0x7f, v5
	v_cmp_ne_u32_e32 vcc, s3, v6
	v_mov_b32_e32 v12, 0x7f80
	s_and_saveexec_b64 s[10:11], vcc
	s_cbranch_execz .LBB734_768
; %bb.767:
	v_and_b32_e32 v12, 7, v5
	v_ffbh_u32_e32 v12, v12
	v_min_u32_e32 v12, 32, v12
	v_lshrrev_b32_e32 v13, 3, v6
	v_subrev_u32_e32 v16, 28, v12
	v_sub_u32_e32 v12, 29, v12
	v_cmp_gt_u32_e32 vcc, 8, v6
	v_cndmask_b32_e32 v6, v13, v12, vcc
	v_cndmask_b32_e32 v12, 0, v16, vcc
	v_lshlrev_b64 v[12:13], v12, v[2:3]
	v_lshlrev_b32_e32 v3, 20, v12
	v_lshlrev_b32_e32 v12, 24, v2
	v_bfrev_b32_e32 v13, 60
	v_and_b32_e32 v3, 0x700000, v3
	v_and_b32_e32 v12, 0x80000000, v12
	v_lshl_add_u32 v6, v6, 23, v13
	v_or3_b32 v3, v12, v6, v3
	v_lshrrev_b32_e32 v12, 16, v3
.LBB734_768:
	s_or_b64 exec, exec, s[10:11]
.LBB734_769:
	s_or_b64 exec, exec, s[6:7]
.LBB734_770:
	s_or_b64 exec, exec, s[0:1]
	v_lshrrev_b16_e32 v6, 8, v2
	v_cmp_ne_u16_e32 vcc, 0, v6
	s_and_saveexec_b64 s[0:1], vcc
	s_cbranch_execz .LBB734_776
; %bb.771:
	s_movk_i32 s3, 0x80
	v_cmp_ne_u16_e32 vcc, s3, v6
	v_mov_b32_e32 v11, 0xffff8000
	s_and_saveexec_b64 s[6:7], vcc
	s_cbranch_execz .LBB734_775
; %bb.772:
	s_movk_i32 s3, 0x7f
	v_and_b32_e32 v3, 0x7f, v6
	v_cmp_ne_u32_e32 vcc, s3, v3
	v_mov_b32_e32 v11, 0x7f80
	s_and_saveexec_b64 s[10:11], vcc
	s_cbranch_execz .LBB734_774
; %bb.773:
	v_and_b32_e32 v11, 7, v6
	v_ffbh_u32_e32 v16, v11
	v_min_u32_e32 v18, 32, v16
	v_subrev_u32_e32 v16, 28, v18
	v_lshlrev_b64 v[16:17], v16, v[6:7]
	v_lshrrev_b32_e32 v13, 3, v3
	v_sub_u32_e32 v6, 29, v18
	v_and_b32_e32 v16, 7, v16
	v_cmp_gt_u32_e32 vcc, 8, v3
	v_cndmask_b32_e32 v3, v13, v6, vcc
	v_cndmask_b32_e32 v6, v11, v16, vcc
	v_lshlrev_b32_e32 v2, 16, v2
	v_bfrev_b32_e32 v11, 60
	v_lshlrev_b32_e32 v6, 20, v6
	v_and_b32_e32 v2, 0x80000000, v2
	v_lshl_add_u32 v3, v3, 23, v11
	v_or3_b32 v2, v2, v3, v6
	v_lshrrev_b32_e32 v11, 16, v2
.LBB734_774:
	s_or_b64 exec, exec, s[10:11]
.LBB734_775:
	s_or_b64 exec, exec, s[6:7]
.LBB734_776:
	s_or_b64 exec, exec, s[0:1]
	s_movk_i32 s0, 0xff
	v_and_b32_sdwa v13, v5, s0 dst_sel:DWORD dst_unused:UNUSED_PAD src0_sel:WORD_1 src1_sel:DWORD
	v_lshrrev_b32_e32 v2, 16, v5
	v_cmp_ne_u16_e32 vcc, 0, v13
	v_mov_b32_e32 v3, 0
	v_mov_b32_e32 v6, 0
	s_and_saveexec_b64 s[0:1], vcc
	s_cbranch_execz .LBB734_782
; %bb.777:
	s_movk_i32 s3, 0x80
	v_cmp_ne_u16_e32 vcc, s3, v13
	v_mov_b32_e32 v6, 0xffff8000
	s_and_saveexec_b64 s[6:7], vcc
	s_cbranch_execz .LBB734_781
; %bb.778:
	v_bfe_u32 v13, v5, 16, 7
	s_movk_i32 s3, 0x7f
	v_cmp_ne_u32_e32 vcc, s3, v13
	v_mov_b32_e32 v6, 0x7f80
	s_and_saveexec_b64 s[10:11], vcc
	s_cbranch_execz .LBB734_780
; %bb.779:
	v_and_b32_e32 v6, 7, v2
	v_ffbh_u32_e32 v16, v6
	v_min_u32_e32 v19, 32, v16
	v_subrev_u32_e32 v16, 28, v19
	v_lshlrev_b64 v[16:17], v16, v[2:3]
	v_lshrrev_b32_e32 v18, 3, v13
	v_sub_u32_e32 v2, 29, v19
	v_and_b32_e32 v16, 7, v16
	v_cmp_gt_u32_e32 vcc, 8, v13
	v_mov_b32_e32 v13, 24
	v_cndmask_b32_e32 v2, v18, v2, vcc
	v_cndmask_b32_e32 v6, v6, v16, vcc
	v_lshlrev_b32_sdwa v13, v13, v5 dst_sel:DWORD dst_unused:UNUSED_PAD src0_sel:DWORD src1_sel:WORD_1
	v_bfrev_b32_e32 v16, 60
	v_lshlrev_b32_e32 v6, 20, v6
	v_and_b32_e32 v13, 0x80000000, v13
	v_lshl_add_u32 v2, v2, 23, v16
	v_or3_b32 v2, v13, v2, v6
	v_lshrrev_b32_e32 v6, 16, v2
.LBB734_780:
	s_or_b64 exec, exec, s[10:11]
.LBB734_781:
	s_or_b64 exec, exec, s[6:7]
.LBB734_782:
	s_or_b64 exec, exec, s[0:1]
	s_mov_b32 s0, -1
	s_mov_b32 s1, 0xffffff
	v_cmp_lt_u64_e32 vcc, s[0:1], v[4:5]
	s_and_saveexec_b64 s[0:1], vcc
	s_cbranch_execz .LBB734_788
; %bb.783:
	v_lshrrev_b32_e32 v2, 24, v5
	s_movk_i32 s3, 0x80
	v_cmp_ne_u32_e32 vcc, s3, v2
	v_mov_b32_e32 v3, 0xffff8000
	s_and_saveexec_b64 s[6:7], vcc
	s_cbranch_execz .LBB734_787
; %bb.784:
	v_bfe_u32 v4, v5, 24, 7
	s_movk_i32 s3, 0x7f
	v_cmp_ne_u32_e32 vcc, s3, v4
	v_mov_b32_e32 v3, 0x7f80
	s_and_saveexec_b64 s[10:11], vcc
	s_cbranch_execz .LBB734_786
; %bb.785:
	v_and_b32_e32 v3, 7, v2
	v_ffbh_u32_e32 v13, v3
	v_min_u32_e32 v13, 32, v13
	v_subrev_u32_e32 v16, 28, v13
	v_lshlrev_b64 v[16:17], v16, v[2:3]
	v_lshrrev_b32_e32 v5, 3, v4
	v_sub_u32_e32 v13, 29, v13
	v_and_b32_e32 v16, 7, v16
	v_cmp_gt_u32_e32 vcc, 8, v4
	v_cndmask_b32_e32 v4, v5, v13, vcc
	v_cndmask_b32_e32 v3, v3, v16, vcc
	v_lshlrev_b32_e32 v2, 24, v2
	v_bfrev_b32_e32 v5, 60
	v_lshlrev_b32_e32 v3, 20, v3
	v_and_b32_e32 v2, 0x80000000, v2
	v_lshl_add_u32 v4, v4, 23, v5
	v_or3_b32 v2, v2, v4, v3
	v_lshrrev_b32_e32 v3, 16, v2
.LBB734_786:
	s_or_b64 exec, exec, s[10:11]
.LBB734_787:
	s_or_b64 exec, exec, s[6:7]
.LBB734_788:
	s_or_b64 exec, exec, s[0:1]
	s_mov_b32 s0, 0x5040100
	v_perm_b32 v5, v10, v9, s0
	v_perm_b32 v4, v7, v8, s0
	;; [unrolled: 1-line block ×4, first 2 shown]
	v_mfma_f32_4x4x4bf16_1k a[0:3], v[14:15], v[4:5], a[0:3] cbsz:4 abid:14
	s_load_dword s0, s[14:15], 0x0
	v_mfma_f32_4x4x4bf16_1k a[0:3], v[14:15], v[2:3], a[0:3] cbsz:4 abid:15
	s_nop 4
	v_accvgpr_read_b32 v5, a1
	v_accvgpr_read_b32 v4, a0
	;; [unrolled: 1-line block ×4, first 2 shown]
	s_waitcnt lgkmcnt(0)
	v_pk_mul_f32 v[4:5], v[4:5], s[0:1] op_sel_hi:[1,0]
	v_pk_mul_f32 v[2:3], v[2:3], s[0:1] op_sel_hi:[1,0]
	v_bfe_u32 v6, v5, 16, 1
	v_bfe_u32 v7, v4, 16, 1
	s_movk_i32 s0, 0x7fff
	v_add3_u32 v4, v4, v7, s0
	v_add3_u32 v5, v5, v6, s0
	v_bfe_u32 v6, v3, 16, 1
	v_bfe_u32 v7, v2, 16, 1
	v_add3_u32 v2, v2, v7, s0
	v_add3_u32 v3, v3, v6, s0
	s_mov_b32 s0, 0x7060302
	v_perm_b32 v23, v3, v2, s0
	v_perm_b32 v22, v5, v4, s0
.LBB734_789:
	s_or_b64 exec, exec, s[4:5]
	v_lshlrev_b32_e32 v1, 3, v1
	v_mad_u32_u24 v1, v42, 40, v1
	v_cmp_gt_u32_e32 vcc, 64, v0
	ds_write_b64 v1, v[22:23]
	s_waitcnt lgkmcnt(0)
	s_barrier
	s_and_saveexec_b64 s[0:1], vcc
	s_cbranch_execz .LBB734_791
; %bb.790:
	s_lshl_b32 s0, s2, 6
	s_mov_b32 s1, 0
	s_lshl_b64 s[2:3], s[0:1], 1
	s_add_u32 s2, s30, s2
	s_mul_i32 s8, s8, s9
	s_addc_u32 s3, s31, s3
	s_lshl_b32 s0, s28, 6
	v_lshl_or_b32 v0, s8, 6, v0
	v_mov_b32_e32 v1, 0
	s_waitcnt vmcnt(0)
	v_mul_u32_u24_e32 v7, 40, v42
	s_lshl_b64 s[0:1], s[0:1], 1
	v_lshlrev_b64 v[4:5], 1, v[0:1]
	ds_read2_b64 v[0:3], v7 offset1:1
	s_add_u32 s0, s2, s0
	s_addc_u32 s1, s3, s1
	v_mov_b32_e32 v6, s1
	v_add_co_u32_e32 v8, vcc, s0, v4
	v_addc_co_u32_e32 v9, vcc, v6, v5, vcc
	ds_read2_b64 v[4:7], v7 offset0:2 offset1:3
	s_waitcnt lgkmcnt(1)
	v_lshlrev_b32_e32 v0, 16, v0
	v_add_f32_e32 v0, 0, v0
	v_and_b32_e32 v0, 0xffff0000, v0
	v_lshlrev_b32_e32 v1, 16, v2
	v_add_f32_e32 v0, v0, v1
	v_and_b32_e32 v0, 0xffff0000, v0
	s_waitcnt lgkmcnt(0)
	v_lshlrev_b32_e32 v1, 16, v4
	v_add_f32_e32 v0, v0, v1
	v_and_b32_e32 v0, 0xffff0000, v0
	v_lshlrev_b32_e32 v1, 16, v6
	v_add_f32_e32 v0, v0, v1
	global_store_short_d16_hi v[8:9], v0, off
.LBB734_791:
	s_endpgm
	.section	.rodata,"a",@progbits
	.p2align	6, 0x0
	.amdhsa_kernel _Z38paged_attention_ll4mi_QKV_mfma4_kernelI14__hip_bfloat16hLN4vllm18Fp8KVCacheDataTypeE1ES0_Li32ELi64ELi256ELb0ELi1EEvPKT_PKT0_S8_ifPKiSA_SA_iPKfiiiPfSD_PS3_PT2_iSC_SC_
		.amdhsa_group_segment_fixed_size 2720
		.amdhsa_private_segment_fixed_size 0
		.amdhsa_kernarg_size 400
		.amdhsa_user_sgpr_count 6
		.amdhsa_user_sgpr_private_segment_buffer 1
		.amdhsa_user_sgpr_dispatch_ptr 0
		.amdhsa_user_sgpr_queue_ptr 0
		.amdhsa_user_sgpr_kernarg_segment_ptr 1
		.amdhsa_user_sgpr_dispatch_id 0
		.amdhsa_user_sgpr_flat_scratch_init 0
		.amdhsa_user_sgpr_kernarg_preload_length 0
		.amdhsa_user_sgpr_kernarg_preload_offset 0
		.amdhsa_user_sgpr_private_segment_size 0
		.amdhsa_uses_dynamic_stack 0
		.amdhsa_system_sgpr_private_segment_wavefront_offset 0
		.amdhsa_system_sgpr_workgroup_id_x 1
		.amdhsa_system_sgpr_workgroup_id_y 1
		.amdhsa_system_sgpr_workgroup_id_z 1
		.amdhsa_system_sgpr_workgroup_info 0
		.amdhsa_system_vgpr_workitem_id 0
		.amdhsa_next_free_vgpr 60
		.amdhsa_next_free_sgpr 42
		.amdhsa_accum_offset 56
		.amdhsa_reserve_vcc 1
		.amdhsa_reserve_flat_scratch 0
		.amdhsa_float_round_mode_32 0
		.amdhsa_float_round_mode_16_64 0
		.amdhsa_float_denorm_mode_32 3
		.amdhsa_float_denorm_mode_16_64 3
		.amdhsa_dx10_clamp 1
		.amdhsa_ieee_mode 1
		.amdhsa_fp16_overflow 0
		.amdhsa_tg_split 0
		.amdhsa_exception_fp_ieee_invalid_op 0
		.amdhsa_exception_fp_denorm_src 0
		.amdhsa_exception_fp_ieee_div_zero 0
		.amdhsa_exception_fp_ieee_overflow 0
		.amdhsa_exception_fp_ieee_underflow 0
		.amdhsa_exception_fp_ieee_inexact 0
		.amdhsa_exception_int_div_zero 0
	.end_amdhsa_kernel
	.section	.text._Z38paged_attention_ll4mi_QKV_mfma4_kernelI14__hip_bfloat16hLN4vllm18Fp8KVCacheDataTypeE1ES0_Li32ELi64ELi256ELb0ELi1EEvPKT_PKT0_S8_ifPKiSA_SA_iPKfiiiPfSD_PS3_PT2_iSC_SC_,"axG",@progbits,_Z38paged_attention_ll4mi_QKV_mfma4_kernelI14__hip_bfloat16hLN4vllm18Fp8KVCacheDataTypeE1ES0_Li32ELi64ELi256ELb0ELi1EEvPKT_PKT0_S8_ifPKiSA_SA_iPKfiiiPfSD_PS3_PT2_iSC_SC_,comdat
.Lfunc_end734:
	.size	_Z38paged_attention_ll4mi_QKV_mfma4_kernelI14__hip_bfloat16hLN4vllm18Fp8KVCacheDataTypeE1ES0_Li32ELi64ELi256ELb0ELi1EEvPKT_PKT0_S8_ifPKiSA_SA_iPKfiiiPfSD_PS3_PT2_iSC_SC_, .Lfunc_end734-_Z38paged_attention_ll4mi_QKV_mfma4_kernelI14__hip_bfloat16hLN4vllm18Fp8KVCacheDataTypeE1ES0_Li32ELi64ELi256ELb0ELi1EEvPKT_PKT0_S8_ifPKiSA_SA_iPKfiiiPfSD_PS3_PT2_iSC_SC_
                                        ; -- End function
	.section	.AMDGPU.csdata,"",@progbits
; Kernel info:
; codeLenInByte = 28868
; NumSgprs: 46
; NumVgprs: 55
; NumAgprs: 4
; TotalNumVgprs: 60
; ScratchSize: 0
; MemoryBound: 0
; FloatMode: 240
; IeeeMode: 1
; LDSByteSize: 2720 bytes/workgroup (compile time only)
; SGPRBlocks: 5
; VGPRBlocks: 7
; NumSGPRsForWavesPerEU: 46
; NumVGPRsForWavesPerEU: 60
; AccumOffset: 56
; Occupancy: 8
; WaveLimiterHint : 1
; COMPUTE_PGM_RSRC2:SCRATCH_EN: 0
; COMPUTE_PGM_RSRC2:USER_SGPR: 6
; COMPUTE_PGM_RSRC2:TRAP_HANDLER: 0
; COMPUTE_PGM_RSRC2:TGID_X_EN: 1
; COMPUTE_PGM_RSRC2:TGID_Y_EN: 1
; COMPUTE_PGM_RSRC2:TGID_Z_EN: 1
; COMPUTE_PGM_RSRC2:TIDIG_COMP_CNT: 0
; COMPUTE_PGM_RSRC3_GFX90A:ACCUM_OFFSET: 13
; COMPUTE_PGM_RSRC3_GFX90A:TG_SPLIT: 0
	.section	.text._Z38paged_attention_ll4mi_QKV_mfma4_kernelI14__hip_bfloat16hLN4vllm18Fp8KVCacheDataTypeE1ES0_Li32ELi64ELi256ELb0ELi2EEvPKT_PKT0_S8_ifPKiSA_SA_iPKfiiiPfSD_PS3_PT2_iSC_SC_,"axG",@progbits,_Z38paged_attention_ll4mi_QKV_mfma4_kernelI14__hip_bfloat16hLN4vllm18Fp8KVCacheDataTypeE1ES0_Li32ELi64ELi256ELb0ELi2EEvPKT_PKT0_S8_ifPKiSA_SA_iPKfiiiPfSD_PS3_PT2_iSC_SC_,comdat
	.protected	_Z38paged_attention_ll4mi_QKV_mfma4_kernelI14__hip_bfloat16hLN4vllm18Fp8KVCacheDataTypeE1ES0_Li32ELi64ELi256ELb0ELi2EEvPKT_PKT0_S8_ifPKiSA_SA_iPKfiiiPfSD_PS3_PT2_iSC_SC_ ; -- Begin function _Z38paged_attention_ll4mi_QKV_mfma4_kernelI14__hip_bfloat16hLN4vllm18Fp8KVCacheDataTypeE1ES0_Li32ELi64ELi256ELb0ELi2EEvPKT_PKT0_S8_ifPKiSA_SA_iPKfiiiPfSD_PS3_PT2_iSC_SC_
	.globl	_Z38paged_attention_ll4mi_QKV_mfma4_kernelI14__hip_bfloat16hLN4vllm18Fp8KVCacheDataTypeE1ES0_Li32ELi64ELi256ELb0ELi2EEvPKT_PKT0_S8_ifPKiSA_SA_iPKfiiiPfSD_PS3_PT2_iSC_SC_
	.p2align	8
	.type	_Z38paged_attention_ll4mi_QKV_mfma4_kernelI14__hip_bfloat16hLN4vllm18Fp8KVCacheDataTypeE1ES0_Li32ELi64ELi256ELb0ELi2EEvPKT_PKT0_S8_ifPKiSA_SA_iPKfiiiPfSD_PS3_PT2_iSC_SC_,@function
_Z38paged_attention_ll4mi_QKV_mfma4_kernelI14__hip_bfloat16hLN4vllm18Fp8KVCacheDataTypeE1ES0_Li32ELi64ELi256ELb0ELi2EEvPKT_PKT0_S8_ifPKiSA_SA_iPKfiiiPfSD_PS3_PT2_iSC_SC_: ; @_Z38paged_attention_ll4mi_QKV_mfma4_kernelI14__hip_bfloat16hLN4vllm18Fp8KVCacheDataTypeE1ES0_Li32ELi64ELi256ELb0ELi2EEvPKT_PKT0_S8_ifPKiSA_SA_iPKfiiiPfSD_PS3_PT2_iSC_SC_
; %bb.0:
	s_load_dwordx2 s[2:3], s[4:5], 0x30
	s_mov_b32 s28, s7
	s_mov_b64 s[0:1], 0
	s_waitcnt lgkmcnt(0)
	s_cmp_lg_u64 s[2:3], 0
	s_cselect_b64 s[10:11], -1, 0
	s_and_b64 vcc, exec, s[10:11]
	s_cbranch_vccz .LBB735_10
; %bb.1:
	s_add_i32 s12, s6, 1
	s_mov_b32 s13, 0
	s_lshl_b64 s[14:15], s[12:13], 2
	s_add_u32 s14, s2, s14
	s_mov_b32 s7, s13
	s_addc_u32 s15, s3, s15
	s_lshl_b64 s[12:13], s[6:7], 2
	s_add_u32 s12, s2, s12
	s_addc_u32 s13, s3, s13
	s_load_dword s9, s[14:15], 0x0
	s_load_dword s16, s[12:13], 0x0
	s_waitcnt lgkmcnt(0)
	s_sub_i32 s9, s9, s16
	s_cmp_eq_u32 s9, 1
	s_cselect_b64 s[12:13], -1, 0
	s_andn2_b64 vcc, exec, s[0:1]
	s_cbranch_vccnz .LBB735_3
.LBB735_2:
	s_mov_b32 s7, 0
	s_mov_b64 s[12:13], -1
.LBB735_3:
	s_andn2_b64 vcc, exec, s[12:13]
	s_cbranch_vccnz .LBB735_791
; %bb.4:
	s_load_dword s9, s[4:5], 0x9c
	s_load_dwordx2 s[0:1], s[4:5], 0x28
	s_add_u32 s34, s4, 0x90
	s_addc_u32 s35, s5, 0
	s_lshl_b64 s[20:21], s[6:7], 2
	s_waitcnt lgkmcnt(0)
	s_and_b32 s9, s9, 0xffff
	s_add_u32 s0, s0, s20
	s_addc_u32 s1, s1, s21
	s_load_dword s7, s[0:1], 0x0
	s_mul_i32 s9, s28, s9
	s_waitcnt lgkmcnt(0)
	s_cmp_ge_i32 s9, s7
	s_cbranch_scc1 .LBB735_791
; %bb.5:
	v_and_b32_e32 v2, 0xc0, v0
	v_add_u32_e32 v4, s9, v2
	v_lshrrev_b32_e32 v1, 6, v0
	v_cmp_gt_i32_e64 s[0:1], s7, v4
	v_cmp_le_i32_e32 vcc, s7, v4
                                        ; implicit-def: $sgpr23
                                        ; implicit-def: $sgpr22
	s_and_saveexec_b64 s[12:13], vcc
	s_xor_b64 s[12:13], exec, s[12:13]
	s_cbranch_execz .LBB735_7
; %bb.6:
	v_mul_u32_u24_e32 v2, 20, v1
	v_or_b32_e32 v2, 0xa00, v2
	v_mov_b32_e32 v3, 0xa50
	v_mov_b32_e32 v4, 0xff7fffff
	v_mad_u32_u24 v3, v1, 20, v3
	ds_write2_b32 v2, v4, v4 offset1:1
	v_mov_b32_e32 v2, 0
	ds_write2_b32 v3, v2, v2 offset1:1
	v_mov_b32_e32 v3, 0xa08
	s_mov_b32 s22, 0xff7fffff
	s_mov_b32 s23, 0
	v_mad_u32_u24 v3, v1, 20, v3
	v_mov_b32_e32 v5, 0xa58
	v_mad_u32_u24 v5, v1, 20, v5
	ds_write2_b32 v3, v4, v4 offset1:1
	ds_write2_b32 v5, v2, v2 offset1:1
                                        ; implicit-def: $vgpr4
.LBB735_7:
	s_or_saveexec_b64 s[36:37], s[12:13]
	s_load_dwordx2 s[30:31], s[4:5], 0x68
	s_load_dwordx4 s[16:19], s[4:5], 0x58
	s_load_dword s33, s[34:35], 0x4
	s_load_dwordx4 s[12:15], s[4:5], 0x80
	v_and_b32_e32 v42, 63, v0
	v_and_b32_e32 v43, 3, v0
	v_mov_b32_e32 v21, s23
	v_mov_b32_e32 v25, s22
	;; [unrolled: 1-line block ×5, first 2 shown]
                                        ; implicit-def: $vgpr14_vgpr15
                                        ; implicit-def: $vgpr10_vgpr11
                                        ; implicit-def: $vgpr6_vgpr7
                                        ; implicit-def: $vgpr2_vgpr3
	s_xor_b64 exec, exec, s[36:37]
	s_cbranch_execz .LBB735_401
; %bb.8:
	s_add_i32 s25, s7, 31
	s_ashr_i32 s26, s25, 31
	s_load_dwordx2 s[22:23], s[4:5], 0x20
	s_load_dword s24, s[4:5], 0x38
	s_lshr_b32 s26, s26, 27
	v_add_u32_e32 v44, s9, v0
	s_add_i32 s25, s25, s26
	v_ashrrev_i32_e32 v2, 31, v44
	s_ashr_i32 s25, s25, 5
	v_lshrrev_b32_e32 v2, 27, v2
	s_add_i32 s26, s25, -1
	v_add_u32_e32 v2, v44, v2
	v_ashrrev_i32_e32 v2, 5, v2
	v_mov_b32_e32 v3, s26
	v_cmp_gt_i32_e32 vcc, s7, v44
	s_waitcnt lgkmcnt(0)
	s_mul_i32 s24, s6, s24
	s_mov_b32 s25, 0
	v_cndmask_b32_e32 v2, v3, v2, vcc
	s_lshl_b64 s[24:25], s[24:25], 2
	v_ashrrev_i32_e32 v3, 31, v2
	s_add_u32 s22, s22, s24
	v_lshlrev_b64 v[2:3], 2, v[2:3]
	v_add_co_u32_e32 v6, vcc, s22, v2
	v_ashrrev_i32_e32 v2, 31, v4
	v_lshrrev_b32_e32 v2, 27, v2
	v_add_u32_e32 v2, v4, v2
	s_addc_u32 s23, s23, s25
	v_ashrrev_i32_e32 v4, 5, v2
	v_mov_b32_e32 v5, s23
	v_min_i32_e32 v2, s26, v4
	v_addc_co_u32_e32 v7, vcc, v5, v3, vcc
	v_ashrrev_i32_e32 v3, 31, v2
	v_lshlrev_b64 v[2:3], 2, v[2:3]
	v_add_co_u32_e32 v8, vcc, s22, v2
	v_add_u32_e32 v2, 1, v4
	v_min_i32_e32 v2, s26, v2
	v_addc_co_u32_e32 v9, vcc, v5, v3, vcc
	v_ashrrev_i32_e32 v3, 31, v2
	v_lshlrev_b64 v[2:3], 2, v[2:3]
	v_mov_b32_e32 v4, s23
	v_add_co_u32_e32 v10, vcc, s22, v2
	v_addc_co_u32_e32 v11, vcc, v4, v3, vcc
	global_load_dword v4, v[6:7], off
	global_load_dword v3, v[8:9], off
	;; [unrolled: 1-line block ×3, first 2 shown]
	s_load_dwordx4 s[24:27], s[4:5], 0x8
	s_andn2_b64 vcc, exec, s[10:11]
	s_cbranch_vccnz .LBB735_11
; %bb.9:
	s_add_u32 s2, s2, s20
	s_addc_u32 s3, s3, s21
	s_load_dword s9, s[2:3], 0x0
	s_branch .LBB735_12
.LBB735_10:
	s_mov_b64 s[12:13], 0
	s_branch .LBB735_2
.LBB735_11:
	s_mov_b32 s9, s6
.LBB735_12:
	s_load_dwordx4 s[20:23], s[4:5], 0x48
	v_cmp_gt_u32_e32 vcc, 2, v43
	s_mov_b32 s11, 0
	v_mov_b32_e32 v39, 0
	v_mov_b32_e32 v18, 0
	;; [unrolled: 1-line block ×5, first 2 shown]
	s_and_saveexec_b64 s[2:3], vcc
	s_cbranch_execz .LBB735_14
; %bb.13:
	s_load_dwordx2 s[38:39], s[4:5], 0x0
	s_waitcnt lgkmcnt(0)
	s_ashr_i32 s10, s20, 31
	s_mul_hi_u32 s23, s9, s20
	s_mul_i32 s10, s9, s10
	s_add_i32 s41, s23, s10
	s_mul_i32 s40, s9, s20
	s_lshl_b64 s[40:41], s[40:41], 1
	s_add_u32 s9, s38, s40
	s_addc_u32 s20, s39, s41
	s_lshl_b32 s10, s8, 7
	s_lshl_b64 s[10:11], s[10:11], 1
	s_add_u32 s10, s9, s10
	v_lshlrev_b32_e32 v5, 3, v43
	v_lshrrev_b32_e32 v6, 2, v42
	s_addc_u32 s11, s20, s11
	v_add_lshl_u32 v5, v5, v6, 4
	global_load_dwordx4 v[18:21], v5, s[10:11]
.LBB735_14:
	s_or_b64 exec, exec, s[2:3]
	s_waitcnt lgkmcnt(0)
	s_mul_i32 s9, s8, s22
	s_add_u32 s2, s9, s24
	s_addc_u32 s3, 0, s25
	v_pk_mov_b32 v[6:7], s[2:3], s[2:3] op_sel:[0,1]
	s_waitcnt vmcnt(2)
	v_mad_i64_i32 v[4:5], s[2:3], v4, s21, v[6:7]
	v_lshlrev_b32_e32 v6, 4, v0
	v_and_b32_e32 v6, 0x1f0, v6
	v_add_co_u32_e32 v4, vcc, v4, v6
	v_addc_co_u32_e32 v5, vcc, 0, v5, vcc
	global_load_dwordx4 v[34:37], v[4:5], off
	global_load_dwordx4 v[30:33], v[4:5], off offset:512
	global_load_dwordx4 v[26:29], v[4:5], off offset:1024
	;; [unrolled: 1-line block ×3, first 2 shown]
	s_add_u32 s2, s26, s9
	v_lshlrev_b32_e32 v4, 5, v42
	v_add_co_u32_e32 v6, vcc, s2, v4
	s_waitcnt vmcnt(5)
	v_mul_hi_i32 v4, v3, s21
	s_addc_u32 s3, s27, 0
	v_ashrrev_i32_e32 v4, 31, v4
	v_mov_b32_e32 v5, s3
	v_lshrrev_b32_e32 v38, 29, v4
	v_addc_co_u32_e32 v7, vcc, 0, v5, vcc
	v_mad_i64_i32 v[4:5], s[2:3], v3, s21, v[38:39]
	v_and_b32_e32 v3, -8, v4
	v_add_co_u32_e32 v4, vcc, v6, v3
	s_waitcnt vmcnt(4)
	v_mul_hi_i32 v3, v2, s21
	v_ashrrev_i32_e32 v3, 31, v3
	v_lshrrev_b32_e32 v38, 29, v3
	v_mad_i64_i32 v[2:3], s[2:3], v2, s21, v[38:39]
	v_addc_co_u32_e32 v5, vcc, v7, v5, vcc
	v_and_b32_e32 v2, -8, v2
	v_add_co_u32_e32 v40, vcc, v6, v2
	v_addc_co_u32_e32 v41, vcc, v7, v3, vcc
	global_load_dwordx4 v[10:13], v[4:5], off offset:16
	global_load_dwordx4 v[14:17], v[4:5], off
	s_nop 0
	global_load_dwordx4 v[2:5], v[40:41], off offset:16
	global_load_dwordx4 v[6:9], v[40:41], off
	s_waitcnt vmcnt(7)
	v_cmp_ne_u16_sdwa s[10:11], v34, v39 src0_sel:BYTE_0 src1_sel:DWORD
	s_and_saveexec_b64 s[2:3], s[10:11]
	s_cbranch_execz .LBB735_20
; %bb.15:
	s_movk_i32 s9, 0x80
	v_cmp_ne_u16_sdwa s[20:21], v34, s9 src0_sel:BYTE_0 src1_sel:DWORD
	v_mov_b32_e32 v39, 0xffff8000
	s_and_saveexec_b64 s[10:11], s[20:21]
	s_cbranch_execz .LBB735_19
; %bb.16:
	s_movk_i32 s9, 0x7f
	v_and_b32_e32 v38, 0x7f, v34
	v_cmp_ne_u32_e32 vcc, s9, v38
	v_mov_b32_e32 v39, 0x7f80
	s_and_saveexec_b64 s[20:21], vcc
	s_cbranch_execz .LBB735_18
; %bb.17:
	v_and_b32_e32 v39, 7, v34
	v_ffbh_u32_e32 v39, v39
	v_min_u32_e32 v39, 32, v39
	v_subrev_u32_e32 v41, 28, v39
	v_cmp_gt_u32_e32 vcc, 8, v38
	v_lshrrev_b32_e32 v40, 3, v38
	v_sub_u32_e32 v39, 29, v39
	v_cndmask_b32_e32 v38, 0, v41, vcc
	v_cndmask_b32_e32 v40, v40, v39, vcc
	v_lshlrev_b64 v[38:39], v38, v[34:35]
	v_lshlrev_b32_e32 v38, 20, v38
	v_lshlrev_b32_e32 v39, 24, v34
	v_bfrev_b32_e32 v41, 60
	v_and_b32_e32 v38, 0x700000, v38
	v_and_b32_e32 v39, 0x80000000, v39
	v_lshl_add_u32 v40, v40, 23, v41
	v_or3_b32 v38, v39, v40, v38
	v_lshrrev_b32_e32 v39, 16, v38
.LBB735_18:
	s_or_b64 exec, exec, s[20:21]
.LBB735_19:
	s_or_b64 exec, exec, s[10:11]
.LBB735_20:
	s_or_b64 exec, exec, s[2:3]
	v_lshrrev_b16_e32 v38, 8, v34
	v_cmp_ne_u16_e32 vcc, 0, v38
	v_mov_b32_e32 v46, 0
	v_mov_b32_e32 v45, 0
	s_and_saveexec_b64 s[2:3], vcc
	s_cbranch_execz .LBB735_26
; %bb.21:
	s_movk_i32 s9, 0x80
	v_cmp_ne_u16_e32 vcc, s9, v38
	v_mov_b32_e32 v45, 0xffff8000
	s_and_saveexec_b64 s[10:11], vcc
	s_cbranch_execz .LBB735_25
; %bb.22:
	s_movk_i32 s9, 0x7f
	v_and_b32_e32 v40, 0x7f, v38
	v_cmp_ne_u32_e32 vcc, s9, v40
	v_mov_b32_e32 v45, 0x7f80
	s_and_saveexec_b64 s[20:21], vcc
	s_cbranch_execz .LBB735_24
; %bb.23:
	v_and_b32_e32 v41, 7, v38
	v_ffbh_u32_e32 v47, v41
	v_min_u32_e32 v47, 32, v47
	v_subrev_u32_e32 v48, 28, v47
	v_lshlrev_b64 v[48:49], v48, v[38:39]
	v_lshrrev_b32_e32 v45, 3, v40
	v_sub_u32_e32 v38, 29, v47
	v_and_b32_e32 v47, 7, v48
	v_cmp_gt_u32_e32 vcc, 8, v40
	v_cndmask_b32_e32 v38, v45, v38, vcc
	v_cndmask_b32_e32 v40, v41, v47, vcc
	v_lshlrev_b32_e32 v41, 16, v34
	v_bfrev_b32_e32 v45, 60
	v_lshlrev_b32_e32 v40, 20, v40
	v_and_b32_e32 v41, 0x80000000, v41
	v_lshl_add_u32 v38, v38, 23, v45
	v_or3_b32 v38, v41, v38, v40
	v_lshrrev_b32_e32 v45, 16, v38
.LBB735_24:
	s_or_b64 exec, exec, s[20:21]
.LBB735_25:
	s_or_b64 exec, exec, s[10:11]
.LBB735_26:
	s_or_b64 exec, exec, s[2:3]
	s_movk_i32 s2, 0xff
	v_and_b32_sdwa v40, v34, s2 dst_sel:DWORD dst_unused:UNUSED_PAD src0_sel:WORD_1 src1_sel:DWORD
	v_lshrrev_b32_e32 v38, 16, v34
	v_cmp_ne_u16_e32 vcc, 0, v40
	s_and_saveexec_b64 s[2:3], vcc
	s_cbranch_execz .LBB735_32
; %bb.27:
	s_movk_i32 s9, 0x80
	v_cmp_ne_u16_e32 vcc, s9, v40
	v_mov_b32_e32 v46, 0xffff8000
	s_and_saveexec_b64 s[10:11], vcc
	s_cbranch_execz .LBB735_31
; %bb.28:
	v_bfe_u32 v40, v34, 16, 7
	s_movk_i32 s9, 0x7f
	v_cmp_ne_u32_e32 vcc, s9, v40
	v_mov_b32_e32 v46, 0x7f80
	s_and_saveexec_b64 s[20:21], vcc
	s_cbranch_execz .LBB735_30
; %bb.29:
	v_and_b32_e32 v41, 7, v38
	v_ffbh_u32_e32 v46, v41
	v_min_u32_e32 v49, 32, v46
	v_subrev_u32_e32 v46, 28, v49
	v_lshlrev_b64 v[46:47], v46, v[38:39]
	v_and_b32_e32 v46, 7, v46
	v_cmp_gt_u32_e32 vcc, 8, v40
	v_lshrrev_b32_e32 v48, 3, v40
	v_sub_u32_e32 v38, 29, v49
	v_cndmask_b32_e32 v40, v41, v46, vcc
	v_mov_b32_e32 v41, 24
	v_cndmask_b32_e32 v38, v48, v38, vcc
	v_lshlrev_b32_sdwa v41, v41, v34 dst_sel:DWORD dst_unused:UNUSED_PAD src0_sel:DWORD src1_sel:WORD_1
	v_bfrev_b32_e32 v46, 60
	v_lshlrev_b32_e32 v40, 20, v40
	v_and_b32_e32 v41, 0x80000000, v41
	v_lshl_add_u32 v38, v38, 23, v46
	v_or3_b32 v38, v41, v38, v40
	v_lshrrev_b32_e32 v46, 16, v38
.LBB735_30:
	s_or_b64 exec, exec, s[20:21]
.LBB735_31:
	s_or_b64 exec, exec, s[10:11]
.LBB735_32:
	s_or_b64 exec, exec, s[2:3]
	s_mov_b32 s2, 0xffffff
	v_cmp_lt_u32_e32 vcc, s2, v34
	v_mov_b32_e32 v41, 0
	v_mov_b32_e32 v47, 0
	s_and_saveexec_b64 s[2:3], vcc
	s_cbranch_execz .LBB735_38
; %bb.33:
	v_lshrrev_b32_e32 v38, 24, v34
	s_movk_i32 s9, 0x80
	v_cmp_ne_u32_e32 vcc, s9, v38
	v_mov_b32_e32 v47, 0xffff8000
	s_and_saveexec_b64 s[10:11], vcc
	s_cbranch_execz .LBB735_37
; %bb.34:
	v_bfe_u32 v40, v34, 24, 7
	s_movk_i32 s9, 0x7f
	v_cmp_ne_u32_e32 vcc, s9, v40
	v_mov_b32_e32 v47, 0x7f80
	s_and_saveexec_b64 s[20:21], vcc
	s_cbranch_execz .LBB735_36
; %bb.35:
	v_and_b32_e32 v47, 7, v38
	v_ffbh_u32_e32 v48, v47
	v_min_u32_e32 v51, 32, v48
	v_subrev_u32_e32 v48, 28, v51
	v_lshlrev_b64 v[48:49], v48, v[38:39]
	v_lshrrev_b32_e32 v50, 3, v40
	v_sub_u32_e32 v49, 29, v51
	v_and_b32_e32 v48, 7, v48
	v_cmp_gt_u32_e32 vcc, 8, v40
	v_cndmask_b32_e32 v40, v50, v49, vcc
	v_cndmask_b32_e32 v47, v47, v48, vcc
	v_lshlrev_b32_e32 v38, 24, v38
	v_bfrev_b32_e32 v48, 60
	v_lshlrev_b32_e32 v47, 20, v47
	v_and_b32_e32 v38, 0x80000000, v38
	v_lshl_add_u32 v40, v40, 23, v48
	v_or3_b32 v38, v38, v40, v47
	v_lshrrev_b32_e32 v47, 16, v38
.LBB735_36:
	s_or_b64 exec, exec, s[20:21]
.LBB735_37:
	s_or_b64 exec, exec, s[10:11]
.LBB735_38:
	s_or_b64 exec, exec, s[2:3]
	v_mov_b32_e32 v40, v35
	v_cmp_ne_u16_sdwa s[10:11], v35, v41 src0_sel:BYTE_0 src1_sel:DWORD
	s_and_saveexec_b64 s[2:3], s[10:11]
	s_cbranch_execz .LBB735_44
; %bb.39:
	s_movk_i32 s9, 0x80
	v_cmp_ne_u16_sdwa s[20:21], v35, s9 src0_sel:BYTE_0 src1_sel:DWORD
	v_mov_b32_e32 v38, 0xffff8000
	s_and_saveexec_b64 s[10:11], s[20:21]
	s_cbranch_execz .LBB735_43
; %bb.40:
	s_movk_i32 s9, 0x7f
	v_and_b32_e32 v48, 0x7f, v35
	v_cmp_ne_u32_e32 vcc, s9, v48
	v_mov_b32_e32 v38, 0x7f80
	s_and_saveexec_b64 s[20:21], vcc
	s_cbranch_execz .LBB735_42
; %bb.41:
	v_and_b32_e32 v38, 7, v35
	v_ffbh_u32_e32 v38, v38
	v_min_u32_e32 v38, 32, v38
	v_subrev_u32_e32 v50, 28, v38
	v_cmp_gt_u32_e32 vcc, 8, v48
	v_lshrrev_b32_e32 v49, 3, v48
	v_sub_u32_e32 v38, 29, v38
	v_cndmask_b32_e32 v48, 0, v50, vcc
	v_cndmask_b32_e32 v38, v49, v38, vcc
	v_lshlrev_b64 v[48:49], v48, v[40:41]
	v_lshlrev_b32_e32 v41, 20, v48
	v_lshlrev_b32_e32 v48, 24, v40
	v_bfrev_b32_e32 v49, 60
	v_and_b32_e32 v41, 0x700000, v41
	v_and_b32_e32 v48, 0x80000000, v48
	v_lshl_add_u32 v38, v38, 23, v49
	v_or3_b32 v38, v48, v38, v41
	v_lshrrev_b32_e32 v38, 16, v38
.LBB735_42:
	s_or_b64 exec, exec, s[20:21]
.LBB735_43:
	s_or_b64 exec, exec, s[10:11]
	v_mov_b32_e32 v41, v38
.LBB735_44:
	s_or_b64 exec, exec, s[2:3]
	v_lshrrev_b16_e32 v38, 8, v40
	v_cmp_ne_u16_e32 vcc, 0, v38
	v_mov_b32_e32 v49, 0
	v_mov_b32_e32 v48, 0
	s_and_saveexec_b64 s[2:3], vcc
	s_cbranch_execz .LBB735_50
; %bb.45:
	s_movk_i32 s9, 0x80
	v_cmp_ne_u16_e32 vcc, s9, v38
	v_mov_b32_e32 v48, 0xffff8000
	s_and_saveexec_b64 s[10:11], vcc
	s_cbranch_execz .LBB735_49
; %bb.46:
	s_movk_i32 s9, 0x7f
	v_and_b32_e32 v50, 0x7f, v38
	v_cmp_ne_u32_e32 vcc, s9, v50
	v_mov_b32_e32 v48, 0x7f80
	s_and_saveexec_b64 s[20:21], vcc
	s_cbranch_execz .LBB735_48
; %bb.47:
	v_and_b32_e32 v48, 7, v38
	v_ffbh_u32_e32 v52, v48
	v_min_u32_e32 v54, 32, v52
	v_subrev_u32_e32 v52, 28, v54
	v_lshlrev_b64 v[52:53], v52, v[38:39]
	v_lshrrev_b32_e32 v51, 3, v50
	v_sub_u32_e32 v38, 29, v54
	v_and_b32_e32 v52, 7, v52
	v_cmp_gt_u32_e32 vcc, 8, v50
	v_cndmask_b32_e32 v38, v51, v38, vcc
	v_cndmask_b32_e32 v48, v48, v52, vcc
	v_lshlrev_b32_e32 v40, 16, v40
	v_bfrev_b32_e32 v50, 60
	v_lshlrev_b32_e32 v48, 20, v48
	v_and_b32_e32 v40, 0x80000000, v40
	v_lshl_add_u32 v38, v38, 23, v50
	v_or3_b32 v38, v40, v38, v48
	v_lshrrev_b32_e32 v48, 16, v38
.LBB735_48:
	s_or_b64 exec, exec, s[20:21]
.LBB735_49:
	s_or_b64 exec, exec, s[10:11]
.LBB735_50:
	s_or_b64 exec, exec, s[2:3]
	s_movk_i32 s2, 0xff
	v_and_b32_sdwa v40, v35, s2 dst_sel:DWORD dst_unused:UNUSED_PAD src0_sel:WORD_1 src1_sel:DWORD
	v_lshrrev_b32_e32 v38, 16, v35
	v_cmp_ne_u16_e32 vcc, 0, v40
	s_and_saveexec_b64 s[2:3], vcc
	s_cbranch_execz .LBB735_56
; %bb.51:
	s_movk_i32 s9, 0x80
	v_cmp_ne_u16_e32 vcc, s9, v40
	v_mov_b32_e32 v49, 0xffff8000
	s_and_saveexec_b64 s[10:11], vcc
	s_cbranch_execz .LBB735_55
; %bb.52:
	v_bfe_u32 v40, v35, 16, 7
	s_movk_i32 s9, 0x7f
	v_cmp_ne_u32_e32 vcc, s9, v40
	v_mov_b32_e32 v49, 0x7f80
	s_and_saveexec_b64 s[20:21], vcc
	s_cbranch_execz .LBB735_54
; %bb.53:
	v_and_b32_e32 v49, 7, v38
	v_ffbh_u32_e32 v50, v49
	v_min_u32_e32 v53, 32, v50
	v_subrev_u32_e32 v50, 28, v53
	v_lshlrev_b64 v[50:51], v50, v[38:39]
	v_and_b32_e32 v50, 7, v50
	v_cmp_gt_u32_e32 vcc, 8, v40
	v_lshrrev_b32_e32 v52, 3, v40
	v_sub_u32_e32 v38, 29, v53
	v_cndmask_b32_e32 v40, v49, v50, vcc
	v_mov_b32_e32 v49, 24
	v_cndmask_b32_e32 v38, v52, v38, vcc
	v_lshlrev_b32_sdwa v49, v49, v35 dst_sel:DWORD dst_unused:UNUSED_PAD src0_sel:DWORD src1_sel:WORD_1
	v_bfrev_b32_e32 v50, 60
	v_lshlrev_b32_e32 v40, 20, v40
	v_and_b32_e32 v49, 0x80000000, v49
	v_lshl_add_u32 v38, v38, 23, v50
	v_or3_b32 v38, v49, v38, v40
	v_lshrrev_b32_e32 v49, 16, v38
.LBB735_54:
	s_or_b64 exec, exec, s[20:21]
.LBB735_55:
	s_or_b64 exec, exec, s[10:11]
.LBB735_56:
	s_or_b64 exec, exec, s[2:3]
	s_mov_b32 s2, -1
	s_mov_b32 s3, 0xffffff
	v_cmp_lt_u64_e32 vcc, s[2:3], v[34:35]
	v_mov_b32_e32 v40, 0
	v_mov_b32_e32 v38, 0
	s_and_saveexec_b64 s[2:3], vcc
	s_cbranch_execz .LBB735_62
; %bb.57:
	v_lshrrev_b32_e32 v34, 24, v35
	s_movk_i32 s9, 0x80
	v_cmp_ne_u32_e32 vcc, s9, v34
	v_mov_b32_e32 v38, 0xffff8000
	s_and_saveexec_b64 s[10:11], vcc
	s_cbranch_execz .LBB735_61
; %bb.58:
	v_bfe_u32 v35, v35, 24, 7
	s_movk_i32 s9, 0x7f
	v_cmp_ne_u32_e32 vcc, s9, v35
	v_mov_b32_e32 v38, 0x7f80
	s_and_saveexec_b64 s[20:21], vcc
	s_cbranch_execz .LBB735_60
; %bb.59:
	v_and_b32_e32 v38, 7, v34
	v_ffbh_u32_e32 v50, v38
	v_min_u32_e32 v53, 32, v50
	v_subrev_u32_e32 v50, 28, v53
	v_lshlrev_b64 v[50:51], v50, v[34:35]
	v_lshrrev_b32_e32 v52, 3, v35
	v_sub_u32_e32 v51, 29, v53
	v_and_b32_e32 v50, 7, v50
	v_cmp_gt_u32_e32 vcc, 8, v35
	v_cndmask_b32_e32 v35, v52, v51, vcc
	v_cndmask_b32_e32 v38, v38, v50, vcc
	v_lshlrev_b32_e32 v34, 24, v34
	v_bfrev_b32_e32 v50, 60
	v_lshlrev_b32_e32 v38, 20, v38
	v_and_b32_e32 v34, 0x80000000, v34
	v_lshl_add_u32 v35, v35, 23, v50
	v_or3_b32 v34, v34, v35, v38
	v_lshrrev_b32_e32 v38, 16, v34
.LBB735_60:
	s_or_b64 exec, exec, s[20:21]
.LBB735_61:
	s_or_b64 exec, exec, s[10:11]
.LBB735_62:
	s_or_b64 exec, exec, s[2:3]
	s_mov_b32 s2, 0x5040100
	v_perm_b32 v35, v47, v46, s2
	v_perm_b32 v34, v45, v39, s2
	;; [unrolled: 1-line block ×4, first 2 shown]
	v_mfma_f32_4x4x4bf16_1k a[0:3], v[18:19], v[34:35], 0 cbsz:4
	v_cmp_ne_u16_sdwa s[10:11], v36, v40 src0_sel:BYTE_0 src1_sel:DWORD
	v_mfma_f32_4x4x4bf16_1k a[0:3], v[20:21], v[38:39], a[0:3] cbsz:4
	s_and_saveexec_b64 s[2:3], s[10:11]
	s_cbranch_execz .LBB735_68
; %bb.63:
	s_movk_i32 s9, 0x80
	v_cmp_ne_u16_sdwa s[20:21], v36, s9 src0_sel:BYTE_0 src1_sel:DWORD
	v_mov_b32_e32 v40, 0xffff8000
	s_and_saveexec_b64 s[10:11], s[20:21]
	s_cbranch_execz .LBB735_67
; %bb.64:
	s_movk_i32 s9, 0x7f
	v_and_b32_e32 v34, 0x7f, v36
	v_cmp_ne_u32_e32 vcc, s9, v34
	v_mov_b32_e32 v40, 0x7f80
	s_and_saveexec_b64 s[20:21], vcc
	s_cbranch_execz .LBB735_66
; %bb.65:
	v_and_b32_e32 v35, 7, v36
	v_ffbh_u32_e32 v35, v35
	v_min_u32_e32 v35, 32, v35
	v_subrev_u32_e32 v39, 28, v35
	v_cmp_gt_u32_e32 vcc, 8, v34
	v_lshrrev_b32_e32 v38, 3, v34
	v_sub_u32_e32 v35, 29, v35
	v_cndmask_b32_e32 v34, 0, v39, vcc
	v_cndmask_b32_e32 v38, v38, v35, vcc
	v_lshlrev_b64 v[34:35], v34, v[36:37]
	v_lshlrev_b32_e32 v34, 20, v34
	v_lshlrev_b32_e32 v35, 24, v36
	v_bfrev_b32_e32 v39, 60
	v_and_b32_e32 v34, 0x700000, v34
	v_and_b32_e32 v35, 0x80000000, v35
	v_lshl_add_u32 v38, v38, 23, v39
	v_or3_b32 v34, v35, v38, v34
	v_lshrrev_b32_e32 v40, 16, v34
.LBB735_66:
	s_or_b64 exec, exec, s[20:21]
.LBB735_67:
	s_or_b64 exec, exec, s[10:11]
.LBB735_68:
	s_or_b64 exec, exec, s[2:3]
	v_lshrrev_b16_e32 v34, 8, v36
	v_cmp_ne_u16_e32 vcc, 0, v34
	v_mov_b32_e32 v41, 0
	v_mov_b32_e32 v39, 0
	s_and_saveexec_b64 s[2:3], vcc
	s_cbranch_execz .LBB735_74
; %bb.69:
	s_movk_i32 s9, 0x80
	v_cmp_ne_u16_e32 vcc, s9, v34
	v_mov_b32_e32 v39, 0xffff8000
	s_and_saveexec_b64 s[10:11], vcc
	s_cbranch_execz .LBB735_73
; %bb.70:
	s_movk_i32 s9, 0x7f
	v_and_b32_e32 v35, 0x7f, v34
	v_cmp_ne_u32_e32 vcc, s9, v35
	v_mov_b32_e32 v39, 0x7f80
	s_and_saveexec_b64 s[20:21], vcc
	s_cbranch_execz .LBB735_72
; %bb.71:
	v_and_b32_e32 v45, 7, v34
	v_ffbh_u32_e32 v38, v45
	v_min_u32_e32 v47, 32, v38
	v_subrev_u32_e32 v38, 28, v47
	v_lshlrev_b64 v[38:39], v38, v[34:35]
	v_lshrrev_b32_e32 v46, 3, v35
	v_sub_u32_e32 v34, 29, v47
	v_and_b32_e32 v38, 7, v38
	v_cmp_gt_u32_e32 vcc, 8, v35
	v_cndmask_b32_e32 v34, v46, v34, vcc
	v_cndmask_b32_e32 v35, v45, v38, vcc
	v_lshlrev_b32_e32 v38, 16, v36
	v_bfrev_b32_e32 v39, 60
	v_lshlrev_b32_e32 v35, 20, v35
	v_and_b32_e32 v38, 0x80000000, v38
	v_lshl_add_u32 v34, v34, 23, v39
	v_or3_b32 v34, v38, v34, v35
	v_lshrrev_b32_e32 v39, 16, v34
.LBB735_72:
	s_or_b64 exec, exec, s[20:21]
.LBB735_73:
	s_or_b64 exec, exec, s[10:11]
.LBB735_74:
	s_or_b64 exec, exec, s[2:3]
	s_movk_i32 s2, 0xff
	v_and_b32_sdwa v35, v36, s2 dst_sel:DWORD dst_unused:UNUSED_PAD src0_sel:WORD_1 src1_sel:DWORD
	v_lshrrev_b32_e32 v34, 16, v36
	v_cmp_ne_u16_e32 vcc, 0, v35
	s_and_saveexec_b64 s[2:3], vcc
	s_cbranch_execz .LBB735_80
; %bb.75:
	s_movk_i32 s9, 0x80
	v_cmp_ne_u16_e32 vcc, s9, v35
	v_mov_b32_e32 v41, 0xffff8000
	s_and_saveexec_b64 s[10:11], vcc
	s_cbranch_execz .LBB735_79
; %bb.76:
	v_bfe_u32 v35, v36, 16, 7
	s_movk_i32 s9, 0x7f
	v_cmp_ne_u32_e32 vcc, s9, v35
	v_mov_b32_e32 v41, 0x7f80
	s_and_saveexec_b64 s[20:21], vcc
	s_cbranch_execz .LBB735_78
; %bb.77:
	v_and_b32_e32 v38, 7, v34
	v_ffbh_u32_e32 v45, v38
	v_min_u32_e32 v45, 32, v45
	v_subrev_u32_e32 v46, 28, v45
	v_lshlrev_b64 v[46:47], v46, v[34:35]
	v_sub_u32_e32 v34, 29, v45
	v_and_b32_e32 v45, 7, v46
	v_cmp_gt_u32_e32 vcc, 8, v35
	v_lshrrev_b32_e32 v41, 3, v35
	v_cndmask_b32_e32 v35, v38, v45, vcc
	v_mov_b32_e32 v38, 24
	v_cndmask_b32_e32 v34, v41, v34, vcc
	v_lshlrev_b32_sdwa v38, v38, v36 dst_sel:DWORD dst_unused:UNUSED_PAD src0_sel:DWORD src1_sel:WORD_1
	v_bfrev_b32_e32 v41, 60
	v_lshlrev_b32_e32 v35, 20, v35
	v_and_b32_e32 v38, 0x80000000, v38
	v_lshl_add_u32 v34, v34, 23, v41
	v_or3_b32 v34, v38, v34, v35
	v_lshrrev_b32_e32 v41, 16, v34
.LBB735_78:
	s_or_b64 exec, exec, s[20:21]
.LBB735_79:
	s_or_b64 exec, exec, s[10:11]
.LBB735_80:
	s_or_b64 exec, exec, s[2:3]
	s_mov_b32 s2, 0xffffff
	v_cmp_lt_u32_e32 vcc, s2, v36
	v_mov_b32_e32 v35, 0
	v_mov_b32_e32 v45, 0
	s_and_saveexec_b64 s[2:3], vcc
	s_cbranch_execz .LBB735_86
; %bb.81:
	v_lshrrev_b32_e32 v34, 24, v36
	s_movk_i32 s9, 0x80
	v_cmp_ne_u32_e32 vcc, s9, v34
	v_mov_b32_e32 v45, 0xffff8000
	s_and_saveexec_b64 s[10:11], vcc
	s_cbranch_execz .LBB735_85
; %bb.82:
	v_bfe_u32 v38, v36, 24, 7
	s_movk_i32 s9, 0x7f
	v_cmp_ne_u32_e32 vcc, s9, v38
	v_mov_b32_e32 v45, 0x7f80
	s_and_saveexec_b64 s[20:21], vcc
	s_cbranch_execz .LBB735_84
; %bb.83:
	v_and_b32_e32 v45, 7, v34
	v_ffbh_u32_e32 v46, v45
	v_min_u32_e32 v49, 32, v46
	v_subrev_u32_e32 v46, 28, v49
	v_lshlrev_b64 v[46:47], v46, v[34:35]
	v_lshrrev_b32_e32 v48, 3, v38
	v_sub_u32_e32 v47, 29, v49
	v_and_b32_e32 v46, 7, v46
	v_cmp_gt_u32_e32 vcc, 8, v38
	v_cndmask_b32_e32 v38, v48, v47, vcc
	v_cndmask_b32_e32 v45, v45, v46, vcc
	v_lshlrev_b32_e32 v34, 24, v34
	v_bfrev_b32_e32 v46, 60
	v_lshlrev_b32_e32 v45, 20, v45
	v_and_b32_e32 v34, 0x80000000, v34
	v_lshl_add_u32 v38, v38, 23, v46
	v_or3_b32 v34, v34, v38, v45
	v_lshrrev_b32_e32 v45, 16, v34
.LBB735_84:
	s_or_b64 exec, exec, s[20:21]
.LBB735_85:
	s_or_b64 exec, exec, s[10:11]
.LBB735_86:
	s_or_b64 exec, exec, s[2:3]
	v_mov_b32_e32 v34, v37
	v_cmp_ne_u16_sdwa s[10:11], v37, v35 src0_sel:BYTE_0 src1_sel:DWORD
	s_and_saveexec_b64 s[2:3], s[10:11]
	s_cbranch_execz .LBB735_92
; %bb.87:
	s_movk_i32 s9, 0x80
	v_cmp_ne_u16_sdwa s[20:21], v37, s9 src0_sel:BYTE_0 src1_sel:DWORD
	v_mov_b32_e32 v38, 0xffff8000
	s_and_saveexec_b64 s[10:11], s[20:21]
	s_cbranch_execz .LBB735_91
; %bb.88:
	s_movk_i32 s9, 0x7f
	v_and_b32_e32 v46, 0x7f, v37
	v_cmp_ne_u32_e32 vcc, s9, v46
	v_mov_b32_e32 v38, 0x7f80
	s_and_saveexec_b64 s[20:21], vcc
	s_cbranch_execz .LBB735_90
; %bb.89:
	v_and_b32_e32 v38, 7, v37
	v_ffbh_u32_e32 v38, v38
	v_min_u32_e32 v38, 32, v38
	v_subrev_u32_e32 v48, 28, v38
	v_cmp_gt_u32_e32 vcc, 8, v46
	v_lshrrev_b32_e32 v47, 3, v46
	v_sub_u32_e32 v38, 29, v38
	v_cndmask_b32_e32 v46, 0, v48, vcc
	v_cndmask_b32_e32 v38, v47, v38, vcc
	v_lshlrev_b64 v[46:47], v46, v[34:35]
	v_lshlrev_b32_e32 v35, 20, v46
	v_lshlrev_b32_e32 v46, 24, v34
	v_bfrev_b32_e32 v47, 60
	v_and_b32_e32 v35, 0x700000, v35
	v_and_b32_e32 v46, 0x80000000, v46
	v_lshl_add_u32 v38, v38, 23, v47
	v_or3_b32 v35, v46, v38, v35
	v_lshrrev_b32_e32 v38, 16, v35
.LBB735_90:
	s_or_b64 exec, exec, s[20:21]
.LBB735_91:
	s_or_b64 exec, exec, s[10:11]
	v_mov_b32_e32 v35, v38
.LBB735_92:
	s_or_b64 exec, exec, s[2:3]
	v_lshrrev_b16_e32 v38, 8, v34
	v_cmp_ne_u16_e32 vcc, 0, v38
	v_mov_b32_e32 v47, 0
	v_mov_b32_e32 v46, 0
	s_and_saveexec_b64 s[2:3], vcc
	s_cbranch_execz .LBB735_98
; %bb.93:
	s_movk_i32 s9, 0x80
	v_cmp_ne_u16_e32 vcc, s9, v38
	v_mov_b32_e32 v46, 0xffff8000
	s_and_saveexec_b64 s[10:11], vcc
	s_cbranch_execz .LBB735_97
; %bb.94:
	s_movk_i32 s9, 0x7f
	v_and_b32_e32 v48, 0x7f, v38
	v_cmp_ne_u32_e32 vcc, s9, v48
	v_mov_b32_e32 v46, 0x7f80
	s_and_saveexec_b64 s[20:21], vcc
	s_cbranch_execz .LBB735_96
; %bb.95:
	v_and_b32_e32 v46, 7, v38
	v_ffbh_u32_e32 v50, v46
	v_min_u32_e32 v52, 32, v50
	v_subrev_u32_e32 v50, 28, v52
	v_lshlrev_b64 v[50:51], v50, v[38:39]
	v_lshrrev_b32_e32 v49, 3, v48
	v_sub_u32_e32 v38, 29, v52
	v_and_b32_e32 v50, 7, v50
	v_cmp_gt_u32_e32 vcc, 8, v48
	v_cndmask_b32_e32 v38, v49, v38, vcc
	v_cndmask_b32_e32 v46, v46, v50, vcc
	v_lshlrev_b32_e32 v34, 16, v34
	v_bfrev_b32_e32 v48, 60
	v_lshlrev_b32_e32 v46, 20, v46
	v_and_b32_e32 v34, 0x80000000, v34
	v_lshl_add_u32 v38, v38, 23, v48
	v_or3_b32 v34, v34, v38, v46
	v_lshrrev_b32_e32 v46, 16, v34
.LBB735_96:
	s_or_b64 exec, exec, s[20:21]
.LBB735_97:
	s_or_b64 exec, exec, s[10:11]
.LBB735_98:
	s_or_b64 exec, exec, s[2:3]
	s_movk_i32 s2, 0xff
	v_and_b32_sdwa v38, v37, s2 dst_sel:DWORD dst_unused:UNUSED_PAD src0_sel:WORD_1 src1_sel:DWORD
	v_lshrrev_b32_e32 v34, 16, v37
	v_cmp_ne_u16_e32 vcc, 0, v38
	s_and_saveexec_b64 s[2:3], vcc
	s_cbranch_execz .LBB735_104
; %bb.99:
	s_movk_i32 s9, 0x80
	v_cmp_ne_u16_e32 vcc, s9, v38
	v_mov_b32_e32 v47, 0xffff8000
	s_and_saveexec_b64 s[10:11], vcc
	s_cbranch_execz .LBB735_103
; %bb.100:
	v_bfe_u32 v38, v37, 16, 7
	s_movk_i32 s9, 0x7f
	v_cmp_ne_u32_e32 vcc, s9, v38
	v_mov_b32_e32 v47, 0x7f80
	s_and_saveexec_b64 s[20:21], vcc
	s_cbranch_execz .LBB735_102
; %bb.101:
	v_and_b32_e32 v47, 7, v34
	v_ffbh_u32_e32 v48, v47
	v_min_u32_e32 v51, 32, v48
	v_subrev_u32_e32 v48, 28, v51
	v_lshlrev_b64 v[48:49], v48, v[34:35]
	v_and_b32_e32 v48, 7, v48
	v_cmp_gt_u32_e32 vcc, 8, v38
	v_lshrrev_b32_e32 v50, 3, v38
	v_sub_u32_e32 v34, 29, v51
	v_cndmask_b32_e32 v38, v47, v48, vcc
	v_mov_b32_e32 v47, 24
	v_cndmask_b32_e32 v34, v50, v34, vcc
	v_lshlrev_b32_sdwa v47, v47, v37 dst_sel:DWORD dst_unused:UNUSED_PAD src0_sel:DWORD src1_sel:WORD_1
	v_bfrev_b32_e32 v48, 60
	v_lshlrev_b32_e32 v38, 20, v38
	v_and_b32_e32 v47, 0x80000000, v47
	v_lshl_add_u32 v34, v34, 23, v48
	v_or3_b32 v34, v47, v34, v38
	v_lshrrev_b32_e32 v47, 16, v34
.LBB735_102:
	s_or_b64 exec, exec, s[20:21]
.LBB735_103:
	s_or_b64 exec, exec, s[10:11]
.LBB735_104:
	s_or_b64 exec, exec, s[2:3]
	s_mov_b32 s2, -1
	s_mov_b32 s3, 0xffffff
	v_cmp_lt_u64_e32 vcc, s[2:3], v[36:37]
	v_mov_b32_e32 v38, 0
	v_mov_b32_e32 v36, 0
	s_and_saveexec_b64 s[2:3], vcc
	s_cbranch_execz .LBB735_110
; %bb.105:
	v_lshrrev_b32_e32 v34, 24, v37
	s_movk_i32 s9, 0x80
	v_cmp_ne_u32_e32 vcc, s9, v34
	v_mov_b32_e32 v36, 0xffff8000
	s_and_saveexec_b64 s[10:11], vcc
	s_cbranch_execz .LBB735_109
; %bb.106:
	v_bfe_u32 v37, v37, 24, 7
	s_movk_i32 s9, 0x7f
	v_cmp_ne_u32_e32 vcc, s9, v37
	v_mov_b32_e32 v36, 0x7f80
	s_and_saveexec_b64 s[20:21], vcc
	s_cbranch_execz .LBB735_108
; %bb.107:
	v_and_b32_e32 v36, 7, v34
	v_ffbh_u32_e32 v48, v36
	v_min_u32_e32 v51, 32, v48
	v_subrev_u32_e32 v48, 28, v51
	v_lshlrev_b64 v[48:49], v48, v[34:35]
	v_lshrrev_b32_e32 v50, 3, v37
	v_sub_u32_e32 v49, 29, v51
	v_and_b32_e32 v48, 7, v48
	v_cmp_gt_u32_e32 vcc, 8, v37
	v_cndmask_b32_e32 v37, v50, v49, vcc
	v_cndmask_b32_e32 v36, v36, v48, vcc
	v_lshlrev_b32_e32 v34, 24, v34
	v_bfrev_b32_e32 v48, 60
	v_lshlrev_b32_e32 v36, 20, v36
	v_and_b32_e32 v34, 0x80000000, v34
	v_lshl_add_u32 v37, v37, 23, v48
	v_or3_b32 v34, v34, v37, v36
	v_lshrrev_b32_e32 v36, 16, v34
.LBB735_108:
	s_or_b64 exec, exec, s[20:21]
.LBB735_109:
	s_or_b64 exec, exec, s[10:11]
.LBB735_110:
	s_or_b64 exec, exec, s[2:3]
	s_mov_b32 s2, 0x5040100
	v_perm_b32 v41, v45, v41, s2
	v_perm_b32 v40, v39, v40, s2
	;; [unrolled: 1-line block ×4, first 2 shown]
	v_mfma_f32_4x4x4bf16_1k a[0:3], v[18:19], v[40:41], a[0:3] cbsz:4 abid:1
	s_waitcnt vmcnt(6)
	v_cmp_ne_u16_sdwa s[10:11], v30, v38 src0_sel:BYTE_0 src1_sel:DWORD
	v_mfma_f32_4x4x4bf16_1k a[0:3], v[20:21], v[36:37], a[0:3] cbsz:4 abid:1
	s_and_saveexec_b64 s[2:3], s[10:11]
	s_cbranch_execz .LBB735_116
; %bb.111:
	s_movk_i32 s9, 0x80
	v_cmp_ne_u16_sdwa s[20:21], v30, s9 src0_sel:BYTE_0 src1_sel:DWORD
	v_mov_b32_e32 v38, 0xffff8000
	s_and_saveexec_b64 s[10:11], s[20:21]
	s_cbranch_execz .LBB735_115
; %bb.112:
	s_movk_i32 s9, 0x7f
	v_and_b32_e32 v34, 0x7f, v30
	v_cmp_ne_u32_e32 vcc, s9, v34
	v_mov_b32_e32 v38, 0x7f80
	s_and_saveexec_b64 s[20:21], vcc
	s_cbranch_execz .LBB735_114
; %bb.113:
	v_and_b32_e32 v35, 7, v30
	v_ffbh_u32_e32 v35, v35
	v_min_u32_e32 v35, 32, v35
	v_subrev_u32_e32 v37, 28, v35
	v_cmp_gt_u32_e32 vcc, 8, v34
	v_lshrrev_b32_e32 v36, 3, v34
	v_sub_u32_e32 v35, 29, v35
	v_cndmask_b32_e32 v34, 0, v37, vcc
	v_cndmask_b32_e32 v36, v36, v35, vcc
	v_lshlrev_b64 v[34:35], v34, v[30:31]
	v_lshlrev_b32_e32 v34, 20, v34
	v_lshlrev_b32_e32 v35, 24, v30
	v_bfrev_b32_e32 v37, 60
	v_and_b32_e32 v34, 0x700000, v34
	v_and_b32_e32 v35, 0x80000000, v35
	v_lshl_add_u32 v36, v36, 23, v37
	v_or3_b32 v34, v35, v36, v34
	v_lshrrev_b32_e32 v38, 16, v34
.LBB735_114:
	s_or_b64 exec, exec, s[20:21]
.LBB735_115:
	s_or_b64 exec, exec, s[10:11]
.LBB735_116:
	s_or_b64 exec, exec, s[2:3]
	v_lshrrev_b16_e32 v34, 8, v30
	v_cmp_ne_u16_e32 vcc, 0, v34
	v_mov_b32_e32 v39, 0
	v_mov_b32_e32 v37, 0
	s_and_saveexec_b64 s[2:3], vcc
	s_cbranch_execz .LBB735_122
; %bb.117:
	s_movk_i32 s9, 0x80
	v_cmp_ne_u16_e32 vcc, s9, v34
	v_mov_b32_e32 v37, 0xffff8000
	s_and_saveexec_b64 s[10:11], vcc
	s_cbranch_execz .LBB735_121
; %bb.118:
	s_movk_i32 s9, 0x7f
	v_and_b32_e32 v35, 0x7f, v34
	v_cmp_ne_u32_e32 vcc, s9, v35
	v_mov_b32_e32 v37, 0x7f80
	s_and_saveexec_b64 s[20:21], vcc
	s_cbranch_execz .LBB735_120
; %bb.119:
	v_and_b32_e32 v40, 7, v34
	v_ffbh_u32_e32 v36, v40
	v_min_u32_e32 v45, 32, v36
	v_subrev_u32_e32 v36, 28, v45
	v_lshlrev_b64 v[36:37], v36, v[34:35]
	v_lshrrev_b32_e32 v41, 3, v35
	v_sub_u32_e32 v34, 29, v45
	v_and_b32_e32 v36, 7, v36
	v_cmp_gt_u32_e32 vcc, 8, v35
	v_cndmask_b32_e32 v34, v41, v34, vcc
	v_cndmask_b32_e32 v35, v40, v36, vcc
	v_lshlrev_b32_e32 v36, 16, v30
	v_bfrev_b32_e32 v37, 60
	v_lshlrev_b32_e32 v35, 20, v35
	v_and_b32_e32 v36, 0x80000000, v36
	v_lshl_add_u32 v34, v34, 23, v37
	v_or3_b32 v34, v36, v34, v35
	v_lshrrev_b32_e32 v37, 16, v34
.LBB735_120:
	s_or_b64 exec, exec, s[20:21]
.LBB735_121:
	s_or_b64 exec, exec, s[10:11]
.LBB735_122:
	s_or_b64 exec, exec, s[2:3]
	s_movk_i32 s2, 0xff
	v_and_b32_sdwa v35, v30, s2 dst_sel:DWORD dst_unused:UNUSED_PAD src0_sel:WORD_1 src1_sel:DWORD
	v_lshrrev_b32_e32 v34, 16, v30
	v_cmp_ne_u16_e32 vcc, 0, v35
	s_and_saveexec_b64 s[2:3], vcc
	s_cbranch_execz .LBB735_128
; %bb.123:
	s_movk_i32 s9, 0x80
	v_cmp_ne_u16_e32 vcc, s9, v35
	v_mov_b32_e32 v39, 0xffff8000
	s_and_saveexec_b64 s[10:11], vcc
	s_cbranch_execz .LBB735_127
; %bb.124:
	v_bfe_u32 v35, v30, 16, 7
	s_movk_i32 s9, 0x7f
	v_cmp_ne_u32_e32 vcc, s9, v35
	v_mov_b32_e32 v39, 0x7f80
	s_and_saveexec_b64 s[20:21], vcc
	s_cbranch_execz .LBB735_126
; %bb.125:
	v_and_b32_e32 v36, 7, v34
	v_ffbh_u32_e32 v40, v36
	v_min_u32_e32 v45, 32, v40
	v_subrev_u32_e32 v40, 28, v45
	v_lshlrev_b64 v[40:41], v40, v[34:35]
	v_and_b32_e32 v40, 7, v40
	v_cmp_gt_u32_e32 vcc, 8, v35
	v_lshrrev_b32_e32 v39, 3, v35
	v_sub_u32_e32 v34, 29, v45
	v_cndmask_b32_e32 v35, v36, v40, vcc
	v_mov_b32_e32 v36, 24
	v_cndmask_b32_e32 v34, v39, v34, vcc
	v_lshlrev_b32_sdwa v36, v36, v30 dst_sel:DWORD dst_unused:UNUSED_PAD src0_sel:DWORD src1_sel:WORD_1
	v_bfrev_b32_e32 v39, 60
	v_lshlrev_b32_e32 v35, 20, v35
	v_and_b32_e32 v36, 0x80000000, v36
	v_lshl_add_u32 v34, v34, 23, v39
	v_or3_b32 v34, v36, v34, v35
	v_lshrrev_b32_e32 v39, 16, v34
.LBB735_126:
	s_or_b64 exec, exec, s[20:21]
.LBB735_127:
	s_or_b64 exec, exec, s[10:11]
.LBB735_128:
	s_or_b64 exec, exec, s[2:3]
	s_mov_b32 s2, 0xffffff
	v_cmp_lt_u32_e32 vcc, s2, v30
	v_mov_b32_e32 v35, 0
	v_mov_b32_e32 v40, 0
	s_and_saveexec_b64 s[2:3], vcc
	s_cbranch_execz .LBB735_134
; %bb.129:
	v_lshrrev_b32_e32 v34, 24, v30
	s_movk_i32 s9, 0x80
	v_cmp_ne_u32_e32 vcc, s9, v34
	v_mov_b32_e32 v40, 0xffff8000
	s_and_saveexec_b64 s[10:11], vcc
	s_cbranch_execz .LBB735_133
; %bb.130:
	v_bfe_u32 v36, v30, 24, 7
	s_movk_i32 s9, 0x7f
	v_cmp_ne_u32_e32 vcc, s9, v36
	v_mov_b32_e32 v40, 0x7f80
	s_and_saveexec_b64 s[20:21], vcc
	s_cbranch_execz .LBB735_132
; %bb.131:
	v_and_b32_e32 v45, 7, v34
	v_ffbh_u32_e32 v40, v45
	v_min_u32_e32 v47, 32, v40
	v_subrev_u32_e32 v40, 28, v47
	v_lshlrev_b64 v[40:41], v40, v[34:35]
	v_lshrrev_b32_e32 v46, 3, v36
	v_sub_u32_e32 v41, 29, v47
	v_and_b32_e32 v40, 7, v40
	v_cmp_gt_u32_e32 vcc, 8, v36
	v_cndmask_b32_e32 v36, v46, v41, vcc
	v_cndmask_b32_e32 v40, v45, v40, vcc
	v_lshlrev_b32_e32 v34, 24, v34
	v_bfrev_b32_e32 v41, 60
	v_lshlrev_b32_e32 v40, 20, v40
	v_and_b32_e32 v34, 0x80000000, v34
	v_lshl_add_u32 v36, v36, 23, v41
	v_or3_b32 v34, v34, v36, v40
	v_lshrrev_b32_e32 v40, 16, v34
.LBB735_132:
	s_or_b64 exec, exec, s[20:21]
.LBB735_133:
	s_or_b64 exec, exec, s[10:11]
.LBB735_134:
	s_or_b64 exec, exec, s[2:3]
	v_mov_b32_e32 v34, v31
	v_cmp_ne_u16_sdwa s[10:11], v31, v35 src0_sel:BYTE_0 src1_sel:DWORD
	s_and_saveexec_b64 s[2:3], s[10:11]
	s_cbranch_execz .LBB735_140
; %bb.135:
	s_movk_i32 s9, 0x80
	v_cmp_ne_u16_sdwa s[20:21], v31, s9 src0_sel:BYTE_0 src1_sel:DWORD
	v_mov_b32_e32 v36, 0xffff8000
	s_and_saveexec_b64 s[10:11], s[20:21]
	s_cbranch_execz .LBB735_139
; %bb.136:
	s_movk_i32 s9, 0x7f
	v_and_b32_e32 v41, 0x7f, v31
	v_cmp_ne_u32_e32 vcc, s9, v41
	v_mov_b32_e32 v36, 0x7f80
	s_and_saveexec_b64 s[20:21], vcc
	s_cbranch_execz .LBB735_138
; %bb.137:
	v_and_b32_e32 v36, 7, v31
	v_ffbh_u32_e32 v36, v36
	v_min_u32_e32 v36, 32, v36
	v_subrev_u32_e32 v46, 28, v36
	v_cmp_gt_u32_e32 vcc, 8, v41
	v_lshrrev_b32_e32 v45, 3, v41
	v_cndmask_b32_e32 v41, 0, v46, vcc
	v_sub_u32_e32 v36, 29, v36
	v_lshlrev_b64 v[46:47], v41, v[34:35]
	v_cndmask_b32_e32 v36, v45, v36, vcc
	v_lshlrev_b32_e32 v35, 20, v46
	v_lshlrev_b32_e32 v41, 24, v34
	v_bfrev_b32_e32 v45, 60
	v_and_b32_e32 v35, 0x700000, v35
	v_and_b32_e32 v41, 0x80000000, v41
	v_lshl_add_u32 v36, v36, 23, v45
	v_or3_b32 v35, v41, v36, v35
	v_lshrrev_b32_e32 v36, 16, v35
.LBB735_138:
	s_or_b64 exec, exec, s[20:21]
.LBB735_139:
	s_or_b64 exec, exec, s[10:11]
	v_mov_b32_e32 v35, v36
.LBB735_140:
	s_or_b64 exec, exec, s[2:3]
	v_lshrrev_b16_e32 v36, 8, v34
	v_cmp_ne_u16_e32 vcc, 0, v36
	v_mov_b32_e32 v45, 0
	v_mov_b32_e32 v41, 0
	s_and_saveexec_b64 s[2:3], vcc
	s_cbranch_execz .LBB735_146
; %bb.141:
	s_movk_i32 s9, 0x80
	v_cmp_ne_u16_e32 vcc, s9, v36
	v_mov_b32_e32 v41, 0xffff8000
	s_and_saveexec_b64 s[10:11], vcc
	s_cbranch_execz .LBB735_145
; %bb.142:
	s_movk_i32 s9, 0x7f
	v_and_b32_e32 v46, 0x7f, v36
	v_cmp_ne_u32_e32 vcc, s9, v46
	v_mov_b32_e32 v41, 0x7f80
	s_and_saveexec_b64 s[20:21], vcc
	s_cbranch_execz .LBB735_144
; %bb.143:
	v_and_b32_e32 v41, 7, v36
	v_ffbh_u32_e32 v48, v41
	v_min_u32_e32 v50, 32, v48
	v_subrev_u32_e32 v48, 28, v50
	v_lshlrev_b64 v[48:49], v48, v[36:37]
	v_lshrrev_b32_e32 v47, 3, v46
	v_sub_u32_e32 v36, 29, v50
	v_and_b32_e32 v48, 7, v48
	v_cmp_gt_u32_e32 vcc, 8, v46
	v_cndmask_b32_e32 v36, v47, v36, vcc
	v_cndmask_b32_e32 v41, v41, v48, vcc
	v_lshlrev_b32_e32 v34, 16, v34
	v_bfrev_b32_e32 v46, 60
	v_lshlrev_b32_e32 v41, 20, v41
	v_and_b32_e32 v34, 0x80000000, v34
	v_lshl_add_u32 v36, v36, 23, v46
	v_or3_b32 v34, v34, v36, v41
	v_lshrrev_b32_e32 v41, 16, v34
.LBB735_144:
	s_or_b64 exec, exec, s[20:21]
.LBB735_145:
	s_or_b64 exec, exec, s[10:11]
.LBB735_146:
	s_or_b64 exec, exec, s[2:3]
	s_movk_i32 s2, 0xff
	v_and_b32_sdwa v36, v31, s2 dst_sel:DWORD dst_unused:UNUSED_PAD src0_sel:WORD_1 src1_sel:DWORD
	v_lshrrev_b32_e32 v34, 16, v31
	v_cmp_ne_u16_e32 vcc, 0, v36
	s_and_saveexec_b64 s[2:3], vcc
	s_cbranch_execz .LBB735_152
; %bb.147:
	s_movk_i32 s9, 0x80
	v_cmp_ne_u16_e32 vcc, s9, v36
	v_mov_b32_e32 v45, 0xffff8000
	s_and_saveexec_b64 s[10:11], vcc
	s_cbranch_execz .LBB735_151
; %bb.148:
	v_bfe_u32 v36, v31, 16, 7
	s_movk_i32 s9, 0x7f
	v_cmp_ne_u32_e32 vcc, s9, v36
	v_mov_b32_e32 v45, 0x7f80
	s_and_saveexec_b64 s[20:21], vcc
	s_cbranch_execz .LBB735_150
; %bb.149:
	v_and_b32_e32 v45, 7, v34
	v_ffbh_u32_e32 v46, v45
	v_min_u32_e32 v49, 32, v46
	v_subrev_u32_e32 v46, 28, v49
	v_lshlrev_b64 v[46:47], v46, v[34:35]
	v_and_b32_e32 v46, 7, v46
	v_cmp_gt_u32_e32 vcc, 8, v36
	v_lshrrev_b32_e32 v48, 3, v36
	v_sub_u32_e32 v34, 29, v49
	v_cndmask_b32_e32 v36, v45, v46, vcc
	v_mov_b32_e32 v45, 24
	v_cndmask_b32_e32 v34, v48, v34, vcc
	v_lshlrev_b32_sdwa v45, v45, v31 dst_sel:DWORD dst_unused:UNUSED_PAD src0_sel:DWORD src1_sel:WORD_1
	v_bfrev_b32_e32 v46, 60
	v_lshlrev_b32_e32 v36, 20, v36
	v_and_b32_e32 v45, 0x80000000, v45
	v_lshl_add_u32 v34, v34, 23, v46
	v_or3_b32 v34, v45, v34, v36
	v_lshrrev_b32_e32 v45, 16, v34
.LBB735_150:
	s_or_b64 exec, exec, s[20:21]
.LBB735_151:
	s_or_b64 exec, exec, s[10:11]
.LBB735_152:
	s_or_b64 exec, exec, s[2:3]
	s_mov_b32 s2, -1
	s_mov_b32 s3, 0xffffff
	v_cmp_lt_u64_e32 vcc, s[2:3], v[30:31]
	v_mov_b32_e32 v36, 0
	v_mov_b32_e32 v34, 0
	s_and_saveexec_b64 s[2:3], vcc
	s_cbranch_execz .LBB735_158
; %bb.153:
	v_lshrrev_b32_e32 v30, 24, v31
	s_movk_i32 s9, 0x80
	v_cmp_ne_u32_e32 vcc, s9, v30
	v_mov_b32_e32 v34, 0xffff8000
	s_and_saveexec_b64 s[10:11], vcc
	s_cbranch_execz .LBB735_157
; %bb.154:
	v_bfe_u32 v31, v31, 24, 7
	s_movk_i32 s9, 0x7f
	v_cmp_ne_u32_e32 vcc, s9, v31
	v_mov_b32_e32 v34, 0x7f80
	s_and_saveexec_b64 s[20:21], vcc
	s_cbranch_execz .LBB735_156
; %bb.155:
	v_and_b32_e32 v34, 7, v30
	v_ffbh_u32_e32 v46, v34
	v_min_u32_e32 v49, 32, v46
	v_subrev_u32_e32 v46, 28, v49
	v_lshlrev_b64 v[46:47], v46, v[30:31]
	v_lshrrev_b32_e32 v48, 3, v31
	v_sub_u32_e32 v47, 29, v49
	v_and_b32_e32 v46, 7, v46
	v_cmp_gt_u32_e32 vcc, 8, v31
	v_cndmask_b32_e32 v31, v48, v47, vcc
	v_cndmask_b32_e32 v34, v34, v46, vcc
	v_lshlrev_b32_e32 v30, 24, v30
	v_bfrev_b32_e32 v46, 60
	v_lshlrev_b32_e32 v34, 20, v34
	v_and_b32_e32 v30, 0x80000000, v30
	v_lshl_add_u32 v31, v31, 23, v46
	v_or3_b32 v30, v30, v31, v34
	v_lshrrev_b32_e32 v34, 16, v30
.LBB735_156:
	s_or_b64 exec, exec, s[20:21]
.LBB735_157:
	s_or_b64 exec, exec, s[10:11]
.LBB735_158:
	s_or_b64 exec, exec, s[2:3]
	s_mov_b32 s2, 0x5040100
	v_perm_b32 v31, v40, v39, s2
	v_perm_b32 v30, v37, v38, s2
	v_perm_b32 v39, v34, v45, s2
	v_perm_b32 v38, v41, v35, s2
	v_mfma_f32_4x4x4bf16_1k a[0:3], v[18:19], v[30:31], a[0:3] cbsz:4 abid:2
	v_cmp_ne_u16_sdwa s[10:11], v32, v36 src0_sel:BYTE_0 src1_sel:DWORD
	v_mfma_f32_4x4x4bf16_1k a[0:3], v[20:21], v[38:39], a[0:3] cbsz:4 abid:2
	s_and_saveexec_b64 s[2:3], s[10:11]
	s_cbranch_execz .LBB735_164
; %bb.159:
	s_movk_i32 s9, 0x80
	v_cmp_ne_u16_sdwa s[20:21], v32, s9 src0_sel:BYTE_0 src1_sel:DWORD
	v_mov_b32_e32 v36, 0xffff8000
	s_and_saveexec_b64 s[10:11], s[20:21]
	s_cbranch_execz .LBB735_163
; %bb.160:
	s_movk_i32 s9, 0x7f
	v_and_b32_e32 v30, 0x7f, v32
	v_cmp_ne_u32_e32 vcc, s9, v30
	v_mov_b32_e32 v36, 0x7f80
	s_and_saveexec_b64 s[20:21], vcc
	s_cbranch_execz .LBB735_162
; %bb.161:
	v_and_b32_e32 v31, 7, v32
	v_ffbh_u32_e32 v31, v31
	v_min_u32_e32 v31, 32, v31
	v_subrev_u32_e32 v35, 28, v31
	v_cmp_gt_u32_e32 vcc, 8, v30
	v_lshrrev_b32_e32 v34, 3, v30
	v_sub_u32_e32 v31, 29, v31
	v_cndmask_b32_e32 v30, 0, v35, vcc
	v_cndmask_b32_e32 v34, v34, v31, vcc
	v_lshlrev_b64 v[30:31], v30, v[32:33]
	v_lshlrev_b32_e32 v30, 20, v30
	v_lshlrev_b32_e32 v31, 24, v32
	v_bfrev_b32_e32 v35, 60
	v_and_b32_e32 v30, 0x700000, v30
	v_and_b32_e32 v31, 0x80000000, v31
	v_lshl_add_u32 v34, v34, 23, v35
	v_or3_b32 v30, v31, v34, v30
	v_lshrrev_b32_e32 v36, 16, v30
.LBB735_162:
	s_or_b64 exec, exec, s[20:21]
.LBB735_163:
	s_or_b64 exec, exec, s[10:11]
.LBB735_164:
	s_or_b64 exec, exec, s[2:3]
	v_lshrrev_b16_e32 v30, 8, v32
	v_cmp_ne_u16_e32 vcc, 0, v30
	v_mov_b32_e32 v37, 0
	v_mov_b32_e32 v35, 0
	s_and_saveexec_b64 s[2:3], vcc
	s_cbranch_execz .LBB735_170
; %bb.165:
	s_movk_i32 s9, 0x80
	v_cmp_ne_u16_e32 vcc, s9, v30
	v_mov_b32_e32 v35, 0xffff8000
	s_and_saveexec_b64 s[10:11], vcc
	s_cbranch_execz .LBB735_169
; %bb.166:
	s_movk_i32 s9, 0x7f
	v_and_b32_e32 v31, 0x7f, v30
	v_cmp_ne_u32_e32 vcc, s9, v31
	v_mov_b32_e32 v35, 0x7f80
	s_and_saveexec_b64 s[20:21], vcc
	s_cbranch_execz .LBB735_168
; %bb.167:
	v_and_b32_e32 v38, 7, v30
	v_ffbh_u32_e32 v34, v38
	v_min_u32_e32 v40, 32, v34
	v_subrev_u32_e32 v34, 28, v40
	v_lshlrev_b64 v[34:35], v34, v[30:31]
	v_lshrrev_b32_e32 v39, 3, v31
	v_sub_u32_e32 v30, 29, v40
	v_and_b32_e32 v34, 7, v34
	v_cmp_gt_u32_e32 vcc, 8, v31
	v_cndmask_b32_e32 v30, v39, v30, vcc
	v_cndmask_b32_e32 v31, v38, v34, vcc
	v_lshlrev_b32_e32 v34, 16, v32
	v_bfrev_b32_e32 v35, 60
	v_lshlrev_b32_e32 v31, 20, v31
	v_and_b32_e32 v34, 0x80000000, v34
	v_lshl_add_u32 v30, v30, 23, v35
	v_or3_b32 v30, v34, v30, v31
	v_lshrrev_b32_e32 v35, 16, v30
.LBB735_168:
	s_or_b64 exec, exec, s[20:21]
.LBB735_169:
	s_or_b64 exec, exec, s[10:11]
.LBB735_170:
	s_or_b64 exec, exec, s[2:3]
	s_movk_i32 s2, 0xff
	v_and_b32_sdwa v31, v32, s2 dst_sel:DWORD dst_unused:UNUSED_PAD src0_sel:WORD_1 src1_sel:DWORD
	v_lshrrev_b32_e32 v30, 16, v32
	v_cmp_ne_u16_e32 vcc, 0, v31
	s_and_saveexec_b64 s[2:3], vcc
	s_cbranch_execz .LBB735_176
; %bb.171:
	s_movk_i32 s9, 0x80
	v_cmp_ne_u16_e32 vcc, s9, v31
	v_mov_b32_e32 v37, 0xffff8000
	s_and_saveexec_b64 s[10:11], vcc
	s_cbranch_execz .LBB735_175
; %bb.172:
	v_bfe_u32 v31, v32, 16, 7
	s_movk_i32 s9, 0x7f
	v_cmp_ne_u32_e32 vcc, s9, v31
	v_mov_b32_e32 v37, 0x7f80
	s_and_saveexec_b64 s[20:21], vcc
	s_cbranch_execz .LBB735_174
; %bb.173:
	v_and_b32_e32 v34, 7, v30
	v_ffbh_u32_e32 v38, v34
	v_min_u32_e32 v40, 32, v38
	v_subrev_u32_e32 v38, 28, v40
	v_lshlrev_b64 v[38:39], v38, v[30:31]
	v_and_b32_e32 v38, 7, v38
	v_cmp_gt_u32_e32 vcc, 8, v31
	v_lshrrev_b32_e32 v37, 3, v31
	v_sub_u32_e32 v30, 29, v40
	v_cndmask_b32_e32 v31, v34, v38, vcc
	v_mov_b32_e32 v34, 24
	v_cndmask_b32_e32 v30, v37, v30, vcc
	v_lshlrev_b32_sdwa v34, v34, v32 dst_sel:DWORD dst_unused:UNUSED_PAD src0_sel:DWORD src1_sel:WORD_1
	v_bfrev_b32_e32 v37, 60
	v_lshlrev_b32_e32 v31, 20, v31
	v_and_b32_e32 v34, 0x80000000, v34
	v_lshl_add_u32 v30, v30, 23, v37
	v_or3_b32 v30, v34, v30, v31
	v_lshrrev_b32_e32 v37, 16, v30
.LBB735_174:
	s_or_b64 exec, exec, s[20:21]
.LBB735_175:
	s_or_b64 exec, exec, s[10:11]
.LBB735_176:
	s_or_b64 exec, exec, s[2:3]
	s_mov_b32 s2, 0xffffff
	v_cmp_lt_u32_e32 vcc, s2, v32
	v_mov_b32_e32 v31, 0
	v_mov_b32_e32 v38, 0
	s_and_saveexec_b64 s[2:3], vcc
	s_cbranch_execz .LBB735_182
; %bb.177:
	v_lshrrev_b32_e32 v30, 24, v32
	s_movk_i32 s9, 0x80
	v_cmp_ne_u32_e32 vcc, s9, v30
	v_mov_b32_e32 v38, 0xffff8000
	s_and_saveexec_b64 s[10:11], vcc
	s_cbranch_execz .LBB735_181
; %bb.178:
	v_bfe_u32 v34, v32, 24, 7
	s_movk_i32 s9, 0x7f
	v_cmp_ne_u32_e32 vcc, s9, v34
	v_mov_b32_e32 v38, 0x7f80
	s_and_saveexec_b64 s[20:21], vcc
	s_cbranch_execz .LBB735_180
; %bb.179:
	v_and_b32_e32 v40, 7, v30
	v_ffbh_u32_e32 v38, v40
	v_min_u32_e32 v45, 32, v38
	v_subrev_u32_e32 v38, 28, v45
	v_lshlrev_b64 v[38:39], v38, v[30:31]
	v_lshrrev_b32_e32 v41, 3, v34
	v_sub_u32_e32 v39, 29, v45
	v_and_b32_e32 v38, 7, v38
	v_cmp_gt_u32_e32 vcc, 8, v34
	v_cndmask_b32_e32 v34, v41, v39, vcc
	v_cndmask_b32_e32 v38, v40, v38, vcc
	v_lshlrev_b32_e32 v30, 24, v30
	v_bfrev_b32_e32 v39, 60
	v_lshlrev_b32_e32 v38, 20, v38
	v_and_b32_e32 v30, 0x80000000, v30
	v_lshl_add_u32 v34, v34, 23, v39
	v_or3_b32 v30, v30, v34, v38
	v_lshrrev_b32_e32 v38, 16, v30
.LBB735_180:
	s_or_b64 exec, exec, s[20:21]
.LBB735_181:
	s_or_b64 exec, exec, s[10:11]
.LBB735_182:
	s_or_b64 exec, exec, s[2:3]
	v_mov_b32_e32 v30, v33
	v_cmp_ne_u16_sdwa s[10:11], v33, v31 src0_sel:BYTE_0 src1_sel:DWORD
	s_and_saveexec_b64 s[2:3], s[10:11]
	s_cbranch_execz .LBB735_188
; %bb.183:
	s_movk_i32 s9, 0x80
	v_cmp_ne_u16_sdwa s[20:21], v33, s9 src0_sel:BYTE_0 src1_sel:DWORD
	v_mov_b32_e32 v34, 0xffff8000
	s_and_saveexec_b64 s[10:11], s[20:21]
	s_cbranch_execz .LBB735_187
; %bb.184:
	s_movk_i32 s9, 0x7f
	v_and_b32_e32 v39, 0x7f, v33
	v_cmp_ne_u32_e32 vcc, s9, v39
	v_mov_b32_e32 v34, 0x7f80
	s_and_saveexec_b64 s[20:21], vcc
	s_cbranch_execz .LBB735_186
; %bb.185:
	v_and_b32_e32 v34, 7, v33
	v_ffbh_u32_e32 v34, v34
	v_min_u32_e32 v34, 32, v34
	v_subrev_u32_e32 v41, 28, v34
	v_cmp_gt_u32_e32 vcc, 8, v39
	v_lshrrev_b32_e32 v40, 3, v39
	v_sub_u32_e32 v34, 29, v34
	v_cndmask_b32_e32 v39, 0, v41, vcc
	v_cndmask_b32_e32 v34, v40, v34, vcc
	v_lshlrev_b64 v[40:41], v39, v[30:31]
	v_lshlrev_b32_e32 v31, 20, v40
	v_lshlrev_b32_e32 v39, 24, v30
	v_bfrev_b32_e32 v40, 60
	v_and_b32_e32 v31, 0x700000, v31
	v_and_b32_e32 v39, 0x80000000, v39
	v_lshl_add_u32 v34, v34, 23, v40
	v_or3_b32 v31, v39, v34, v31
	v_lshrrev_b32_e32 v34, 16, v31
.LBB735_186:
	s_or_b64 exec, exec, s[20:21]
.LBB735_187:
	s_or_b64 exec, exec, s[10:11]
	v_mov_b32_e32 v31, v34
.LBB735_188:
	s_or_b64 exec, exec, s[2:3]
	v_lshrrev_b16_e32 v34, 8, v30
	v_cmp_ne_u16_e32 vcc, 0, v34
	v_mov_b32_e32 v40, 0
	v_mov_b32_e32 v39, 0
	s_and_saveexec_b64 s[2:3], vcc
	s_cbranch_execz .LBB735_194
; %bb.189:
	s_movk_i32 s9, 0x80
	v_cmp_ne_u16_e32 vcc, s9, v34
	v_mov_b32_e32 v39, 0xffff8000
	s_and_saveexec_b64 s[10:11], vcc
	s_cbranch_execz .LBB735_193
; %bb.190:
	s_movk_i32 s9, 0x7f
	v_and_b32_e32 v41, 0x7f, v34
	v_cmp_ne_u32_e32 vcc, s9, v41
	v_mov_b32_e32 v39, 0x7f80
	s_and_saveexec_b64 s[20:21], vcc
	s_cbranch_execz .LBB735_192
; %bb.191:
	v_and_b32_e32 v39, 7, v34
	v_ffbh_u32_e32 v46, v39
	v_min_u32_e32 v48, 32, v46
	v_subrev_u32_e32 v46, 28, v48
	v_lshlrev_b64 v[46:47], v46, v[34:35]
	v_lshrrev_b32_e32 v45, 3, v41
	v_sub_u32_e32 v34, 29, v48
	v_and_b32_e32 v46, 7, v46
	v_cmp_gt_u32_e32 vcc, 8, v41
	v_cndmask_b32_e32 v34, v45, v34, vcc
	v_cndmask_b32_e32 v39, v39, v46, vcc
	v_lshlrev_b32_e32 v30, 16, v30
	v_bfrev_b32_e32 v41, 60
	v_lshlrev_b32_e32 v39, 20, v39
	v_and_b32_e32 v30, 0x80000000, v30
	v_lshl_add_u32 v34, v34, 23, v41
	v_or3_b32 v30, v30, v34, v39
	v_lshrrev_b32_e32 v39, 16, v30
.LBB735_192:
	s_or_b64 exec, exec, s[20:21]
.LBB735_193:
	s_or_b64 exec, exec, s[10:11]
.LBB735_194:
	s_or_b64 exec, exec, s[2:3]
	s_movk_i32 s2, 0xff
	v_and_b32_sdwa v34, v33, s2 dst_sel:DWORD dst_unused:UNUSED_PAD src0_sel:WORD_1 src1_sel:DWORD
	v_lshrrev_b32_e32 v30, 16, v33
	v_cmp_ne_u16_e32 vcc, 0, v34
	s_and_saveexec_b64 s[2:3], vcc
	s_cbranch_execz .LBB735_200
; %bb.195:
	s_movk_i32 s9, 0x80
	v_cmp_ne_u16_e32 vcc, s9, v34
	v_mov_b32_e32 v40, 0xffff8000
	s_and_saveexec_b64 s[10:11], vcc
	s_cbranch_execz .LBB735_199
; %bb.196:
	v_bfe_u32 v34, v33, 16, 7
	s_movk_i32 s9, 0x7f
	v_cmp_ne_u32_e32 vcc, s9, v34
	v_mov_b32_e32 v40, 0x7f80
	s_and_saveexec_b64 s[20:21], vcc
	s_cbranch_execz .LBB735_198
; %bb.197:
	v_and_b32_e32 v45, 7, v30
	v_ffbh_u32_e32 v40, v45
	v_min_u32_e32 v47, 32, v40
	v_subrev_u32_e32 v40, 28, v47
	v_lshlrev_b64 v[40:41], v40, v[30:31]
	v_and_b32_e32 v40, 7, v40
	v_cmp_gt_u32_e32 vcc, 8, v34
	v_lshrrev_b32_e32 v46, 3, v34
	v_sub_u32_e32 v30, 29, v47
	v_cndmask_b32_e32 v34, v45, v40, vcc
	v_mov_b32_e32 v40, 24
	v_cndmask_b32_e32 v30, v46, v30, vcc
	v_lshlrev_b32_sdwa v40, v40, v33 dst_sel:DWORD dst_unused:UNUSED_PAD src0_sel:DWORD src1_sel:WORD_1
	v_bfrev_b32_e32 v41, 60
	v_lshlrev_b32_e32 v34, 20, v34
	v_and_b32_e32 v40, 0x80000000, v40
	v_lshl_add_u32 v30, v30, 23, v41
	v_or3_b32 v30, v40, v30, v34
	v_lshrrev_b32_e32 v40, 16, v30
.LBB735_198:
	s_or_b64 exec, exec, s[20:21]
.LBB735_199:
	s_or_b64 exec, exec, s[10:11]
.LBB735_200:
	s_or_b64 exec, exec, s[2:3]
	s_mov_b32 s2, -1
	s_mov_b32 s3, 0xffffff
	v_cmp_lt_u64_e32 vcc, s[2:3], v[32:33]
	v_mov_b32_e32 v34, 0
	v_mov_b32_e32 v32, 0
	s_and_saveexec_b64 s[2:3], vcc
	s_cbranch_execz .LBB735_206
; %bb.201:
	v_lshrrev_b32_e32 v30, 24, v33
	s_movk_i32 s9, 0x80
	v_cmp_ne_u32_e32 vcc, s9, v30
	v_mov_b32_e32 v32, 0xffff8000
	s_and_saveexec_b64 s[10:11], vcc
	s_cbranch_execz .LBB735_205
; %bb.202:
	v_bfe_u32 v33, v33, 24, 7
	s_movk_i32 s9, 0x7f
	v_cmp_ne_u32_e32 vcc, s9, v33
	v_mov_b32_e32 v32, 0x7f80
	s_and_saveexec_b64 s[20:21], vcc
	s_cbranch_execz .LBB735_204
; %bb.203:
	v_and_b32_e32 v32, 7, v30
	v_ffbh_u32_e32 v45, v32
	v_min_u32_e32 v45, 32, v45
	v_subrev_u32_e32 v46, 28, v45
	v_lshlrev_b64 v[46:47], v46, v[30:31]
	v_lshrrev_b32_e32 v41, 3, v33
	v_sub_u32_e32 v45, 29, v45
	v_and_b32_e32 v46, 7, v46
	v_cmp_gt_u32_e32 vcc, 8, v33
	v_cndmask_b32_e32 v33, v41, v45, vcc
	v_cndmask_b32_e32 v32, v32, v46, vcc
	v_lshlrev_b32_e32 v30, 24, v30
	v_bfrev_b32_e32 v41, 60
	v_lshlrev_b32_e32 v32, 20, v32
	v_and_b32_e32 v30, 0x80000000, v30
	v_lshl_add_u32 v33, v33, 23, v41
	v_or3_b32 v30, v30, v33, v32
	v_lshrrev_b32_e32 v32, 16, v30
.LBB735_204:
	s_or_b64 exec, exec, s[20:21]
.LBB735_205:
	s_or_b64 exec, exec, s[10:11]
.LBB735_206:
	s_or_b64 exec, exec, s[2:3]
	s_mov_b32 s2, 0x5040100
	v_perm_b32 v37, v38, v37, s2
	v_perm_b32 v36, v35, v36, s2
	;; [unrolled: 1-line block ×4, first 2 shown]
	v_mfma_f32_4x4x4bf16_1k a[0:3], v[18:19], v[36:37], a[0:3] cbsz:4 abid:3
	s_waitcnt vmcnt(5)
	v_cmp_ne_u16_sdwa s[10:11], v26, v34 src0_sel:BYTE_0 src1_sel:DWORD
	v_mfma_f32_4x4x4bf16_1k a[0:3], v[20:21], v[32:33], a[0:3] cbsz:4 abid:3
	s_and_saveexec_b64 s[2:3], s[10:11]
	s_cbranch_execz .LBB735_212
; %bb.207:
	s_movk_i32 s9, 0x80
	v_cmp_ne_u16_sdwa s[20:21], v26, s9 src0_sel:BYTE_0 src1_sel:DWORD
	v_mov_b32_e32 v34, 0xffff8000
	s_and_saveexec_b64 s[10:11], s[20:21]
	s_cbranch_execz .LBB735_211
; %bb.208:
	s_movk_i32 s9, 0x7f
	v_and_b32_e32 v30, 0x7f, v26
	v_cmp_ne_u32_e32 vcc, s9, v30
	v_mov_b32_e32 v34, 0x7f80
	s_and_saveexec_b64 s[20:21], vcc
	s_cbranch_execz .LBB735_210
; %bb.209:
	v_and_b32_e32 v31, 7, v26
	v_ffbh_u32_e32 v31, v31
	v_min_u32_e32 v31, 32, v31
	v_subrev_u32_e32 v33, 28, v31
	v_cmp_gt_u32_e32 vcc, 8, v30
	v_lshrrev_b32_e32 v32, 3, v30
	v_sub_u32_e32 v31, 29, v31
	v_cndmask_b32_e32 v30, 0, v33, vcc
	v_cndmask_b32_e32 v32, v32, v31, vcc
	v_lshlrev_b64 v[30:31], v30, v[26:27]
	v_lshlrev_b32_e32 v30, 20, v30
	v_lshlrev_b32_e32 v31, 24, v26
	v_bfrev_b32_e32 v33, 60
	v_and_b32_e32 v30, 0x700000, v30
	v_and_b32_e32 v31, 0x80000000, v31
	v_lshl_add_u32 v32, v32, 23, v33
	v_or3_b32 v30, v31, v32, v30
	v_lshrrev_b32_e32 v34, 16, v30
.LBB735_210:
	s_or_b64 exec, exec, s[20:21]
.LBB735_211:
	s_or_b64 exec, exec, s[10:11]
.LBB735_212:
	s_or_b64 exec, exec, s[2:3]
	v_lshrrev_b16_e32 v30, 8, v26
	v_cmp_ne_u16_e32 vcc, 0, v30
	v_mov_b32_e32 v35, 0
	v_mov_b32_e32 v33, 0
	s_and_saveexec_b64 s[2:3], vcc
	s_cbranch_execz .LBB735_218
; %bb.213:
	s_movk_i32 s9, 0x80
	v_cmp_ne_u16_e32 vcc, s9, v30
	v_mov_b32_e32 v33, 0xffff8000
	s_and_saveexec_b64 s[10:11], vcc
	s_cbranch_execz .LBB735_217
; %bb.214:
	s_movk_i32 s9, 0x7f
	v_and_b32_e32 v31, 0x7f, v30
	v_cmp_ne_u32_e32 vcc, s9, v31
	v_mov_b32_e32 v33, 0x7f80
	s_and_saveexec_b64 s[20:21], vcc
	s_cbranch_execz .LBB735_216
; %bb.215:
	v_and_b32_e32 v36, 7, v30
	v_ffbh_u32_e32 v32, v36
	v_min_u32_e32 v38, 32, v32
	v_subrev_u32_e32 v32, 28, v38
	v_lshlrev_b64 v[32:33], v32, v[30:31]
	v_lshrrev_b32_e32 v37, 3, v31
	v_sub_u32_e32 v30, 29, v38
	v_and_b32_e32 v32, 7, v32
	v_cmp_gt_u32_e32 vcc, 8, v31
	v_cndmask_b32_e32 v30, v37, v30, vcc
	v_cndmask_b32_e32 v31, v36, v32, vcc
	v_lshlrev_b32_e32 v32, 16, v26
	v_bfrev_b32_e32 v33, 60
	v_lshlrev_b32_e32 v31, 20, v31
	v_and_b32_e32 v32, 0x80000000, v32
	v_lshl_add_u32 v30, v30, 23, v33
	v_or3_b32 v30, v32, v30, v31
	v_lshrrev_b32_e32 v33, 16, v30
.LBB735_216:
	s_or_b64 exec, exec, s[20:21]
.LBB735_217:
	s_or_b64 exec, exec, s[10:11]
.LBB735_218:
	s_or_b64 exec, exec, s[2:3]
	s_movk_i32 s2, 0xff
	v_and_b32_sdwa v31, v26, s2 dst_sel:DWORD dst_unused:UNUSED_PAD src0_sel:WORD_1 src1_sel:DWORD
	v_lshrrev_b32_e32 v30, 16, v26
	v_cmp_ne_u16_e32 vcc, 0, v31
	s_and_saveexec_b64 s[2:3], vcc
	s_cbranch_execz .LBB735_224
; %bb.219:
	s_movk_i32 s9, 0x80
	v_cmp_ne_u16_e32 vcc, s9, v31
	v_mov_b32_e32 v35, 0xffff8000
	s_and_saveexec_b64 s[10:11], vcc
	s_cbranch_execz .LBB735_223
; %bb.220:
	v_bfe_u32 v31, v26, 16, 7
	s_movk_i32 s9, 0x7f
	v_cmp_ne_u32_e32 vcc, s9, v31
	v_mov_b32_e32 v35, 0x7f80
	s_and_saveexec_b64 s[20:21], vcc
	s_cbranch_execz .LBB735_222
; %bb.221:
	v_and_b32_e32 v32, 7, v30
	v_ffbh_u32_e32 v36, v32
	v_min_u32_e32 v38, 32, v36
	v_subrev_u32_e32 v36, 28, v38
	v_lshlrev_b64 v[36:37], v36, v[30:31]
	v_and_b32_e32 v36, 7, v36
	v_cmp_gt_u32_e32 vcc, 8, v31
	v_lshrrev_b32_e32 v35, 3, v31
	v_sub_u32_e32 v30, 29, v38
	v_cndmask_b32_e32 v31, v32, v36, vcc
	v_mov_b32_e32 v32, 24
	v_cndmask_b32_e32 v30, v35, v30, vcc
	v_lshlrev_b32_sdwa v32, v32, v26 dst_sel:DWORD dst_unused:UNUSED_PAD src0_sel:DWORD src1_sel:WORD_1
	v_bfrev_b32_e32 v35, 60
	v_lshlrev_b32_e32 v31, 20, v31
	v_and_b32_e32 v32, 0x80000000, v32
	v_lshl_add_u32 v30, v30, 23, v35
	v_or3_b32 v30, v32, v30, v31
	v_lshrrev_b32_e32 v35, 16, v30
.LBB735_222:
	s_or_b64 exec, exec, s[20:21]
.LBB735_223:
	s_or_b64 exec, exec, s[10:11]
.LBB735_224:
	s_or_b64 exec, exec, s[2:3]
	s_mov_b32 s2, 0xffffff
	v_cmp_lt_u32_e32 vcc, s2, v26
	v_mov_b32_e32 v31, 0
	v_mov_b32_e32 v36, 0
	s_and_saveexec_b64 s[2:3], vcc
	s_cbranch_execz .LBB735_230
; %bb.225:
	v_lshrrev_b32_e32 v30, 24, v26
	s_movk_i32 s9, 0x80
	v_cmp_ne_u32_e32 vcc, s9, v30
	v_mov_b32_e32 v36, 0xffff8000
	s_and_saveexec_b64 s[10:11], vcc
	s_cbranch_execz .LBB735_229
; %bb.226:
	v_bfe_u32 v32, v26, 24, 7
	s_movk_i32 s9, 0x7f
	v_cmp_ne_u32_e32 vcc, s9, v32
	v_mov_b32_e32 v36, 0x7f80
	s_and_saveexec_b64 s[20:21], vcc
	s_cbranch_execz .LBB735_228
; %bb.227:
	v_and_b32_e32 v38, 7, v30
	v_ffbh_u32_e32 v36, v38
	v_min_u32_e32 v40, 32, v36
	v_subrev_u32_e32 v36, 28, v40
	v_lshlrev_b64 v[36:37], v36, v[30:31]
	v_lshrrev_b32_e32 v39, 3, v32
	v_sub_u32_e32 v37, 29, v40
	v_and_b32_e32 v36, 7, v36
	v_cmp_gt_u32_e32 vcc, 8, v32
	v_cndmask_b32_e32 v32, v39, v37, vcc
	v_cndmask_b32_e32 v36, v38, v36, vcc
	v_lshlrev_b32_e32 v30, 24, v30
	v_bfrev_b32_e32 v37, 60
	v_lshlrev_b32_e32 v36, 20, v36
	v_and_b32_e32 v30, 0x80000000, v30
	v_lshl_add_u32 v32, v32, 23, v37
	v_or3_b32 v30, v30, v32, v36
	v_lshrrev_b32_e32 v36, 16, v30
.LBB735_228:
	s_or_b64 exec, exec, s[20:21]
.LBB735_229:
	s_or_b64 exec, exec, s[10:11]
.LBB735_230:
	s_or_b64 exec, exec, s[2:3]
	v_mov_b32_e32 v30, v27
	v_cmp_ne_u16_sdwa s[10:11], v27, v31 src0_sel:BYTE_0 src1_sel:DWORD
	s_and_saveexec_b64 s[2:3], s[10:11]
	s_cbranch_execz .LBB735_236
; %bb.231:
	s_movk_i32 s9, 0x80
	v_cmp_ne_u16_sdwa s[20:21], v27, s9 src0_sel:BYTE_0 src1_sel:DWORD
	v_mov_b32_e32 v32, 0xffff8000
	s_and_saveexec_b64 s[10:11], s[20:21]
	s_cbranch_execz .LBB735_235
; %bb.232:
	s_movk_i32 s9, 0x7f
	v_and_b32_e32 v37, 0x7f, v27
	v_cmp_ne_u32_e32 vcc, s9, v37
	v_mov_b32_e32 v32, 0x7f80
	s_and_saveexec_b64 s[20:21], vcc
	s_cbranch_execz .LBB735_234
; %bb.233:
	v_and_b32_e32 v32, 7, v27
	v_ffbh_u32_e32 v32, v32
	v_min_u32_e32 v32, 32, v32
	v_subrev_u32_e32 v39, 28, v32
	v_cmp_gt_u32_e32 vcc, 8, v37
	v_lshrrev_b32_e32 v38, 3, v37
	v_sub_u32_e32 v32, 29, v32
	v_cndmask_b32_e32 v37, 0, v39, vcc
	v_cndmask_b32_e32 v32, v38, v32, vcc
	v_lshlrev_b64 v[38:39], v37, v[30:31]
	v_lshlrev_b32_e32 v31, 20, v38
	v_lshlrev_b32_e32 v37, 24, v30
	v_bfrev_b32_e32 v38, 60
	v_and_b32_e32 v31, 0x700000, v31
	v_and_b32_e32 v37, 0x80000000, v37
	v_lshl_add_u32 v32, v32, 23, v38
	v_or3_b32 v31, v37, v32, v31
	v_lshrrev_b32_e32 v32, 16, v31
.LBB735_234:
	s_or_b64 exec, exec, s[20:21]
.LBB735_235:
	s_or_b64 exec, exec, s[10:11]
	v_mov_b32_e32 v31, v32
.LBB735_236:
	s_or_b64 exec, exec, s[2:3]
	v_lshrrev_b16_e32 v32, 8, v30
	v_cmp_ne_u16_e32 vcc, 0, v32
	v_mov_b32_e32 v38, 0
	v_mov_b32_e32 v37, 0
	s_and_saveexec_b64 s[2:3], vcc
	s_cbranch_execz .LBB735_242
; %bb.237:
	s_movk_i32 s9, 0x80
	v_cmp_ne_u16_e32 vcc, s9, v32
	v_mov_b32_e32 v37, 0xffff8000
	s_and_saveexec_b64 s[10:11], vcc
	s_cbranch_execz .LBB735_241
; %bb.238:
	s_movk_i32 s9, 0x7f
	v_and_b32_e32 v39, 0x7f, v32
	v_cmp_ne_u32_e32 vcc, s9, v39
	v_mov_b32_e32 v37, 0x7f80
	s_and_saveexec_b64 s[20:21], vcc
	s_cbranch_execz .LBB735_240
; %bb.239:
	v_and_b32_e32 v37, 7, v32
	v_ffbh_u32_e32 v40, v37
	v_min_u32_e32 v46, 32, v40
	v_subrev_u32_e32 v40, 28, v46
	v_lshlrev_b64 v[40:41], v40, v[32:33]
	v_lshrrev_b32_e32 v45, 3, v39
	v_sub_u32_e32 v32, 29, v46
	v_and_b32_e32 v40, 7, v40
	v_cmp_gt_u32_e32 vcc, 8, v39
	v_cndmask_b32_e32 v32, v45, v32, vcc
	v_cndmask_b32_e32 v37, v37, v40, vcc
	v_lshlrev_b32_e32 v30, 16, v30
	v_bfrev_b32_e32 v39, 60
	v_lshlrev_b32_e32 v37, 20, v37
	v_and_b32_e32 v30, 0x80000000, v30
	v_lshl_add_u32 v32, v32, 23, v39
	v_or3_b32 v30, v30, v32, v37
	v_lshrrev_b32_e32 v37, 16, v30
.LBB735_240:
	s_or_b64 exec, exec, s[20:21]
.LBB735_241:
	s_or_b64 exec, exec, s[10:11]
.LBB735_242:
	s_or_b64 exec, exec, s[2:3]
	s_movk_i32 s2, 0xff
	v_and_b32_sdwa v32, v27, s2 dst_sel:DWORD dst_unused:UNUSED_PAD src0_sel:WORD_1 src1_sel:DWORD
	v_lshrrev_b32_e32 v30, 16, v27
	v_cmp_ne_u16_e32 vcc, 0, v32
	s_and_saveexec_b64 s[2:3], vcc
	s_cbranch_execz .LBB735_248
; %bb.243:
	s_movk_i32 s9, 0x80
	v_cmp_ne_u16_e32 vcc, s9, v32
	v_mov_b32_e32 v38, 0xffff8000
	s_and_saveexec_b64 s[10:11], vcc
	s_cbranch_execz .LBB735_247
; %bb.244:
	v_bfe_u32 v32, v27, 16, 7
	s_movk_i32 s9, 0x7f
	v_cmp_ne_u32_e32 vcc, s9, v32
	v_mov_b32_e32 v38, 0x7f80
	s_and_saveexec_b64 s[20:21], vcc
	s_cbranch_execz .LBB735_246
; %bb.245:
	v_and_b32_e32 v40, 7, v30
	v_ffbh_u32_e32 v38, v40
	v_min_u32_e32 v45, 32, v38
	v_subrev_u32_e32 v38, 28, v45
	v_lshlrev_b64 v[38:39], v38, v[30:31]
	v_and_b32_e32 v38, 7, v38
	v_cmp_gt_u32_e32 vcc, 8, v32
	v_lshrrev_b32_e32 v41, 3, v32
	v_sub_u32_e32 v30, 29, v45
	v_cndmask_b32_e32 v32, v40, v38, vcc
	v_mov_b32_e32 v38, 24
	v_cndmask_b32_e32 v30, v41, v30, vcc
	v_lshlrev_b32_sdwa v38, v38, v27 dst_sel:DWORD dst_unused:UNUSED_PAD src0_sel:DWORD src1_sel:WORD_1
	v_bfrev_b32_e32 v39, 60
	v_lshlrev_b32_e32 v32, 20, v32
	v_and_b32_e32 v38, 0x80000000, v38
	v_lshl_add_u32 v30, v30, 23, v39
	v_or3_b32 v30, v38, v30, v32
	v_lshrrev_b32_e32 v38, 16, v30
.LBB735_246:
	s_or_b64 exec, exec, s[20:21]
.LBB735_247:
	s_or_b64 exec, exec, s[10:11]
.LBB735_248:
	s_or_b64 exec, exec, s[2:3]
	s_mov_b32 s2, -1
	s_mov_b32 s3, 0xffffff
	v_cmp_lt_u64_e32 vcc, s[2:3], v[26:27]
	v_mov_b32_e32 v32, 0
	v_mov_b32_e32 v30, 0
	s_and_saveexec_b64 s[2:3], vcc
	s_cbranch_execz .LBB735_254
; %bb.249:
	v_lshrrev_b32_e32 v26, 24, v27
	s_movk_i32 s9, 0x80
	v_cmp_ne_u32_e32 vcc, s9, v26
	v_mov_b32_e32 v30, 0xffff8000
	s_and_saveexec_b64 s[10:11], vcc
	s_cbranch_execz .LBB735_253
; %bb.250:
	v_bfe_u32 v27, v27, 24, 7
	s_movk_i32 s9, 0x7f
	v_cmp_ne_u32_e32 vcc, s9, v27
	v_mov_b32_e32 v30, 0x7f80
	s_and_saveexec_b64 s[20:21], vcc
	s_cbranch_execz .LBB735_252
; %bb.251:
	v_and_b32_e32 v30, 7, v26
	v_ffbh_u32_e32 v40, v30
	v_min_u32_e32 v45, 32, v40
	v_subrev_u32_e32 v40, 28, v45
	v_lshlrev_b64 v[40:41], v40, v[26:27]
	v_lshrrev_b32_e32 v39, 3, v27
	v_sub_u32_e32 v41, 29, v45
	v_and_b32_e32 v40, 7, v40
	v_cmp_gt_u32_e32 vcc, 8, v27
	v_cndmask_b32_e32 v27, v39, v41, vcc
	v_cndmask_b32_e32 v30, v30, v40, vcc
	v_lshlrev_b32_e32 v26, 24, v26
	v_bfrev_b32_e32 v39, 60
	v_lshlrev_b32_e32 v30, 20, v30
	v_and_b32_e32 v26, 0x80000000, v26
	v_lshl_add_u32 v27, v27, 23, v39
	v_or3_b32 v26, v26, v27, v30
	v_lshrrev_b32_e32 v30, 16, v26
.LBB735_252:
	s_or_b64 exec, exec, s[20:21]
.LBB735_253:
	s_or_b64 exec, exec, s[10:11]
.LBB735_254:
	s_or_b64 exec, exec, s[2:3]
	s_mov_b32 s2, 0x5040100
	v_perm_b32 v27, v36, v35, s2
	v_perm_b32 v26, v33, v34, s2
	;; [unrolled: 1-line block ×4, first 2 shown]
	v_mfma_f32_4x4x4bf16_1k a[0:3], v[18:19], v[26:27], a[0:3] cbsz:4 abid:4
	v_cmp_ne_u16_sdwa s[10:11], v28, v32 src0_sel:BYTE_0 src1_sel:DWORD
	v_mfma_f32_4x4x4bf16_1k a[0:3], v[20:21], v[34:35], a[0:3] cbsz:4 abid:4
	s_and_saveexec_b64 s[2:3], s[10:11]
	s_cbranch_execz .LBB735_260
; %bb.255:
	s_movk_i32 s9, 0x80
	v_cmp_ne_u16_sdwa s[20:21], v28, s9 src0_sel:BYTE_0 src1_sel:DWORD
	v_mov_b32_e32 v32, 0xffff8000
	s_and_saveexec_b64 s[10:11], s[20:21]
	s_cbranch_execz .LBB735_259
; %bb.256:
	s_movk_i32 s9, 0x7f
	v_and_b32_e32 v26, 0x7f, v28
	v_cmp_ne_u32_e32 vcc, s9, v26
	v_mov_b32_e32 v32, 0x7f80
	s_and_saveexec_b64 s[20:21], vcc
	s_cbranch_execz .LBB735_258
; %bb.257:
	v_and_b32_e32 v27, 7, v28
	v_ffbh_u32_e32 v27, v27
	v_min_u32_e32 v27, 32, v27
	v_subrev_u32_e32 v31, 28, v27
	v_cmp_gt_u32_e32 vcc, 8, v26
	v_lshrrev_b32_e32 v30, 3, v26
	v_sub_u32_e32 v27, 29, v27
	v_cndmask_b32_e32 v26, 0, v31, vcc
	v_cndmask_b32_e32 v30, v30, v27, vcc
	v_lshlrev_b64 v[26:27], v26, v[28:29]
	v_lshlrev_b32_e32 v26, 20, v26
	v_lshlrev_b32_e32 v27, 24, v28
	v_bfrev_b32_e32 v31, 60
	v_and_b32_e32 v26, 0x700000, v26
	v_and_b32_e32 v27, 0x80000000, v27
	v_lshl_add_u32 v30, v30, 23, v31
	v_or3_b32 v26, v27, v30, v26
	v_lshrrev_b32_e32 v32, 16, v26
.LBB735_258:
	s_or_b64 exec, exec, s[20:21]
.LBB735_259:
	s_or_b64 exec, exec, s[10:11]
.LBB735_260:
	s_or_b64 exec, exec, s[2:3]
	v_lshrrev_b16_e32 v26, 8, v28
	v_cmp_ne_u16_e32 vcc, 0, v26
	v_mov_b32_e32 v33, 0
	v_mov_b32_e32 v31, 0
	s_and_saveexec_b64 s[2:3], vcc
	s_cbranch_execz .LBB735_266
; %bb.261:
	s_movk_i32 s9, 0x80
	v_cmp_ne_u16_e32 vcc, s9, v26
	v_mov_b32_e32 v31, 0xffff8000
	s_and_saveexec_b64 s[10:11], vcc
	s_cbranch_execz .LBB735_265
; %bb.262:
	s_movk_i32 s9, 0x7f
	v_and_b32_e32 v27, 0x7f, v26
	v_cmp_ne_u32_e32 vcc, s9, v27
	v_mov_b32_e32 v31, 0x7f80
	s_and_saveexec_b64 s[20:21], vcc
	s_cbranch_execz .LBB735_264
; %bb.263:
	v_and_b32_e32 v34, 7, v26
	v_ffbh_u32_e32 v30, v34
	v_min_u32_e32 v36, 32, v30
	v_subrev_u32_e32 v30, 28, v36
	v_lshlrev_b64 v[30:31], v30, v[26:27]
	v_lshrrev_b32_e32 v35, 3, v27
	v_sub_u32_e32 v26, 29, v36
	v_and_b32_e32 v30, 7, v30
	v_cmp_gt_u32_e32 vcc, 8, v27
	v_cndmask_b32_e32 v26, v35, v26, vcc
	v_cndmask_b32_e32 v27, v34, v30, vcc
	v_lshlrev_b32_e32 v30, 16, v28
	v_bfrev_b32_e32 v31, 60
	v_lshlrev_b32_e32 v27, 20, v27
	v_and_b32_e32 v30, 0x80000000, v30
	v_lshl_add_u32 v26, v26, 23, v31
	v_or3_b32 v26, v30, v26, v27
	v_lshrrev_b32_e32 v31, 16, v26
.LBB735_264:
	s_or_b64 exec, exec, s[20:21]
.LBB735_265:
	s_or_b64 exec, exec, s[10:11]
.LBB735_266:
	s_or_b64 exec, exec, s[2:3]
	s_movk_i32 s2, 0xff
	v_and_b32_sdwa v27, v28, s2 dst_sel:DWORD dst_unused:UNUSED_PAD src0_sel:WORD_1 src1_sel:DWORD
	v_lshrrev_b32_e32 v26, 16, v28
	v_cmp_ne_u16_e32 vcc, 0, v27
	s_and_saveexec_b64 s[2:3], vcc
	s_cbranch_execz .LBB735_272
; %bb.267:
	s_movk_i32 s9, 0x80
	v_cmp_ne_u16_e32 vcc, s9, v27
	v_mov_b32_e32 v33, 0xffff8000
	s_and_saveexec_b64 s[10:11], vcc
	s_cbranch_execz .LBB735_271
; %bb.268:
	v_bfe_u32 v27, v28, 16, 7
	s_movk_i32 s9, 0x7f
	v_cmp_ne_u32_e32 vcc, s9, v27
	v_mov_b32_e32 v33, 0x7f80
	s_and_saveexec_b64 s[20:21], vcc
	s_cbranch_execz .LBB735_270
; %bb.269:
	v_and_b32_e32 v30, 7, v26
	v_ffbh_u32_e32 v34, v30
	v_min_u32_e32 v36, 32, v34
	v_subrev_u32_e32 v34, 28, v36
	v_lshlrev_b64 v[34:35], v34, v[26:27]
	v_and_b32_e32 v34, 7, v34
	v_cmp_gt_u32_e32 vcc, 8, v27
	v_lshrrev_b32_e32 v33, 3, v27
	v_sub_u32_e32 v26, 29, v36
	v_cndmask_b32_e32 v27, v30, v34, vcc
	v_mov_b32_e32 v30, 24
	v_cndmask_b32_e32 v26, v33, v26, vcc
	v_lshlrev_b32_sdwa v30, v30, v28 dst_sel:DWORD dst_unused:UNUSED_PAD src0_sel:DWORD src1_sel:WORD_1
	v_bfrev_b32_e32 v33, 60
	v_lshlrev_b32_e32 v27, 20, v27
	v_and_b32_e32 v30, 0x80000000, v30
	v_lshl_add_u32 v26, v26, 23, v33
	v_or3_b32 v26, v30, v26, v27
	v_lshrrev_b32_e32 v33, 16, v26
.LBB735_270:
	s_or_b64 exec, exec, s[20:21]
.LBB735_271:
	s_or_b64 exec, exec, s[10:11]
.LBB735_272:
	s_or_b64 exec, exec, s[2:3]
	s_mov_b32 s2, 0xffffff
	v_cmp_lt_u32_e32 vcc, s2, v28
	v_mov_b32_e32 v27, 0
	v_mov_b32_e32 v34, 0
	s_and_saveexec_b64 s[2:3], vcc
	s_cbranch_execz .LBB735_278
; %bb.273:
	v_lshrrev_b32_e32 v26, 24, v28
	s_movk_i32 s9, 0x80
	v_cmp_ne_u32_e32 vcc, s9, v26
	v_mov_b32_e32 v34, 0xffff8000
	s_and_saveexec_b64 s[10:11], vcc
	s_cbranch_execz .LBB735_277
; %bb.274:
	v_bfe_u32 v30, v28, 24, 7
	s_movk_i32 s9, 0x7f
	v_cmp_ne_u32_e32 vcc, s9, v30
	v_mov_b32_e32 v34, 0x7f80
	s_and_saveexec_b64 s[20:21], vcc
	s_cbranch_execz .LBB735_276
; %bb.275:
	v_and_b32_e32 v36, 7, v26
	v_ffbh_u32_e32 v34, v36
	v_min_u32_e32 v38, 32, v34
	v_subrev_u32_e32 v34, 28, v38
	v_lshlrev_b64 v[34:35], v34, v[26:27]
	v_lshrrev_b32_e32 v37, 3, v30
	v_sub_u32_e32 v35, 29, v38
	v_and_b32_e32 v34, 7, v34
	v_cmp_gt_u32_e32 vcc, 8, v30
	v_cndmask_b32_e32 v30, v37, v35, vcc
	v_cndmask_b32_e32 v34, v36, v34, vcc
	v_lshlrev_b32_e32 v26, 24, v26
	v_bfrev_b32_e32 v35, 60
	v_lshlrev_b32_e32 v34, 20, v34
	v_and_b32_e32 v26, 0x80000000, v26
	v_lshl_add_u32 v30, v30, 23, v35
	v_or3_b32 v26, v26, v30, v34
	v_lshrrev_b32_e32 v34, 16, v26
.LBB735_276:
	s_or_b64 exec, exec, s[20:21]
.LBB735_277:
	s_or_b64 exec, exec, s[10:11]
.LBB735_278:
	s_or_b64 exec, exec, s[2:3]
	v_mov_b32_e32 v26, v29
	v_cmp_ne_u16_sdwa s[10:11], v29, v27 src0_sel:BYTE_0 src1_sel:DWORD
	s_and_saveexec_b64 s[2:3], s[10:11]
	s_cbranch_execz .LBB735_284
; %bb.279:
	s_movk_i32 s9, 0x80
	v_cmp_ne_u16_sdwa s[20:21], v29, s9 src0_sel:BYTE_0 src1_sel:DWORD
	v_mov_b32_e32 v30, 0xffff8000
	s_and_saveexec_b64 s[10:11], s[20:21]
	s_cbranch_execz .LBB735_283
; %bb.280:
	s_movk_i32 s9, 0x7f
	v_and_b32_e32 v35, 0x7f, v29
	v_cmp_ne_u32_e32 vcc, s9, v35
	v_mov_b32_e32 v30, 0x7f80
	s_and_saveexec_b64 s[20:21], vcc
	s_cbranch_execz .LBB735_282
; %bb.281:
	v_and_b32_e32 v30, 7, v29
	v_ffbh_u32_e32 v30, v30
	v_min_u32_e32 v30, 32, v30
	v_subrev_u32_e32 v37, 28, v30
	v_cmp_gt_u32_e32 vcc, 8, v35
	v_lshrrev_b32_e32 v36, 3, v35
	v_sub_u32_e32 v30, 29, v30
	v_cndmask_b32_e32 v35, 0, v37, vcc
	v_cndmask_b32_e32 v30, v36, v30, vcc
	v_lshlrev_b64 v[36:37], v35, v[26:27]
	v_lshlrev_b32_e32 v27, 20, v36
	v_lshlrev_b32_e32 v35, 24, v26
	v_bfrev_b32_e32 v36, 60
	v_and_b32_e32 v27, 0x700000, v27
	v_and_b32_e32 v35, 0x80000000, v35
	v_lshl_add_u32 v30, v30, 23, v36
	v_or3_b32 v27, v35, v30, v27
	v_lshrrev_b32_e32 v30, 16, v27
.LBB735_282:
	s_or_b64 exec, exec, s[20:21]
.LBB735_283:
	s_or_b64 exec, exec, s[10:11]
	v_mov_b32_e32 v27, v30
.LBB735_284:
	s_or_b64 exec, exec, s[2:3]
	v_lshrrev_b16_e32 v30, 8, v26
	v_cmp_ne_u16_e32 vcc, 0, v30
	v_mov_b32_e32 v36, 0
	v_mov_b32_e32 v35, 0
	s_and_saveexec_b64 s[2:3], vcc
	s_cbranch_execz .LBB735_290
; %bb.285:
	s_movk_i32 s9, 0x80
	v_cmp_ne_u16_e32 vcc, s9, v30
	v_mov_b32_e32 v35, 0xffff8000
	s_and_saveexec_b64 s[10:11], vcc
	s_cbranch_execz .LBB735_289
; %bb.286:
	s_movk_i32 s9, 0x7f
	v_and_b32_e32 v37, 0x7f, v30
	v_cmp_ne_u32_e32 vcc, s9, v37
	v_mov_b32_e32 v35, 0x7f80
	s_and_saveexec_b64 s[20:21], vcc
	s_cbranch_execz .LBB735_288
; %bb.287:
	v_and_b32_e32 v35, 7, v30
	v_ffbh_u32_e32 v38, v35
	v_min_u32_e32 v41, 32, v38
	v_subrev_u32_e32 v38, 28, v41
	v_lshlrev_b64 v[38:39], v38, v[30:31]
	v_lshrrev_b32_e32 v40, 3, v37
	v_sub_u32_e32 v30, 29, v41
	v_and_b32_e32 v38, 7, v38
	v_cmp_gt_u32_e32 vcc, 8, v37
	v_cndmask_b32_e32 v30, v40, v30, vcc
	v_cndmask_b32_e32 v35, v35, v38, vcc
	v_lshlrev_b32_e32 v26, 16, v26
	v_bfrev_b32_e32 v37, 60
	v_lshlrev_b32_e32 v35, 20, v35
	v_and_b32_e32 v26, 0x80000000, v26
	v_lshl_add_u32 v30, v30, 23, v37
	v_or3_b32 v26, v26, v30, v35
	v_lshrrev_b32_e32 v35, 16, v26
.LBB735_288:
	s_or_b64 exec, exec, s[20:21]
.LBB735_289:
	s_or_b64 exec, exec, s[10:11]
.LBB735_290:
	s_or_b64 exec, exec, s[2:3]
	s_movk_i32 s2, 0xff
	v_and_b32_sdwa v30, v29, s2 dst_sel:DWORD dst_unused:UNUSED_PAD src0_sel:WORD_1 src1_sel:DWORD
	v_lshrrev_b32_e32 v26, 16, v29
	v_cmp_ne_u16_e32 vcc, 0, v30
	s_and_saveexec_b64 s[2:3], vcc
	s_cbranch_execz .LBB735_296
; %bb.291:
	s_movk_i32 s9, 0x80
	v_cmp_ne_u16_e32 vcc, s9, v30
	v_mov_b32_e32 v36, 0xffff8000
	s_and_saveexec_b64 s[10:11], vcc
	s_cbranch_execz .LBB735_295
; %bb.292:
	v_bfe_u32 v30, v29, 16, 7
	s_movk_i32 s9, 0x7f
	v_cmp_ne_u32_e32 vcc, s9, v30
	v_mov_b32_e32 v36, 0x7f80
	s_and_saveexec_b64 s[20:21], vcc
	s_cbranch_execz .LBB735_294
; %bb.293:
	v_and_b32_e32 v38, 7, v26
	v_ffbh_u32_e32 v36, v38
	v_min_u32_e32 v40, 32, v36
	v_subrev_u32_e32 v36, 28, v40
	v_lshlrev_b64 v[36:37], v36, v[26:27]
	v_and_b32_e32 v36, 7, v36
	v_cmp_gt_u32_e32 vcc, 8, v30
	v_lshrrev_b32_e32 v39, 3, v30
	v_sub_u32_e32 v26, 29, v40
	v_cndmask_b32_e32 v30, v38, v36, vcc
	v_mov_b32_e32 v36, 24
	v_cndmask_b32_e32 v26, v39, v26, vcc
	v_lshlrev_b32_sdwa v36, v36, v29 dst_sel:DWORD dst_unused:UNUSED_PAD src0_sel:DWORD src1_sel:WORD_1
	v_bfrev_b32_e32 v37, 60
	v_lshlrev_b32_e32 v30, 20, v30
	v_and_b32_e32 v36, 0x80000000, v36
	v_lshl_add_u32 v26, v26, 23, v37
	v_or3_b32 v26, v36, v26, v30
	v_lshrrev_b32_e32 v36, 16, v26
.LBB735_294:
	s_or_b64 exec, exec, s[20:21]
.LBB735_295:
	s_or_b64 exec, exec, s[10:11]
.LBB735_296:
	s_or_b64 exec, exec, s[2:3]
	s_mov_b32 s2, -1
	s_mov_b32 s3, 0xffffff
	v_cmp_lt_u64_e32 vcc, s[2:3], v[28:29]
	v_mov_b32_e32 v30, 0
	v_mov_b32_e32 v28, 0
	s_and_saveexec_b64 s[2:3], vcc
	s_cbranch_execz .LBB735_302
; %bb.297:
	v_lshrrev_b32_e32 v26, 24, v29
	s_movk_i32 s9, 0x80
	v_cmp_ne_u32_e32 vcc, s9, v26
	v_mov_b32_e32 v28, 0xffff8000
	s_and_saveexec_b64 s[10:11], vcc
	s_cbranch_execz .LBB735_301
; %bb.298:
	v_bfe_u32 v29, v29, 24, 7
	s_movk_i32 s9, 0x7f
	v_cmp_ne_u32_e32 vcc, s9, v29
	v_mov_b32_e32 v28, 0x7f80
	s_and_saveexec_b64 s[20:21], vcc
	s_cbranch_execz .LBB735_300
; %bb.299:
	v_and_b32_e32 v28, 7, v26
	v_ffbh_u32_e32 v38, v28
	v_min_u32_e32 v40, 32, v38
	v_subrev_u32_e32 v38, 28, v40
	v_lshlrev_b64 v[38:39], v38, v[26:27]
	v_lshrrev_b32_e32 v37, 3, v29
	v_sub_u32_e32 v39, 29, v40
	v_and_b32_e32 v38, 7, v38
	v_cmp_gt_u32_e32 vcc, 8, v29
	v_cndmask_b32_e32 v29, v37, v39, vcc
	v_cndmask_b32_e32 v28, v28, v38, vcc
	v_lshlrev_b32_e32 v26, 24, v26
	v_bfrev_b32_e32 v37, 60
	v_lshlrev_b32_e32 v28, 20, v28
	v_and_b32_e32 v26, 0x80000000, v26
	v_lshl_add_u32 v29, v29, 23, v37
	v_or3_b32 v26, v26, v29, v28
	v_lshrrev_b32_e32 v28, 16, v26
.LBB735_300:
	s_or_b64 exec, exec, s[20:21]
.LBB735_301:
	s_or_b64 exec, exec, s[10:11]
.LBB735_302:
	s_or_b64 exec, exec, s[2:3]
	s_mov_b32 s2, 0x5040100
	v_perm_b32 v33, v34, v33, s2
	v_perm_b32 v32, v31, v32, s2
	;; [unrolled: 1-line block ×4, first 2 shown]
	v_mfma_f32_4x4x4bf16_1k a[0:3], v[18:19], v[32:33], a[0:3] cbsz:4 abid:5
	s_waitcnt vmcnt(4)
	v_cmp_ne_u16_sdwa s[10:11], v22, v30 src0_sel:BYTE_0 src1_sel:DWORD
	v_mfma_f32_4x4x4bf16_1k a[0:3], v[20:21], v[28:29], a[0:3] cbsz:4 abid:5
	s_and_saveexec_b64 s[2:3], s[10:11]
	s_cbranch_execz .LBB735_308
; %bb.303:
	s_movk_i32 s9, 0x80
	v_cmp_ne_u16_sdwa s[20:21], v22, s9 src0_sel:BYTE_0 src1_sel:DWORD
	v_mov_b32_e32 v30, 0xffff8000
	s_and_saveexec_b64 s[10:11], s[20:21]
	s_cbranch_execz .LBB735_307
; %bb.304:
	s_movk_i32 s9, 0x7f
	v_and_b32_e32 v26, 0x7f, v22
	v_cmp_ne_u32_e32 vcc, s9, v26
	v_mov_b32_e32 v30, 0x7f80
	s_and_saveexec_b64 s[20:21], vcc
	s_cbranch_execz .LBB735_306
; %bb.305:
	v_and_b32_e32 v27, 7, v22
	v_ffbh_u32_e32 v27, v27
	v_min_u32_e32 v27, 32, v27
	v_subrev_u32_e32 v29, 28, v27
	v_cmp_gt_u32_e32 vcc, 8, v26
	v_lshrrev_b32_e32 v28, 3, v26
	v_sub_u32_e32 v27, 29, v27
	v_cndmask_b32_e32 v26, 0, v29, vcc
	v_cndmask_b32_e32 v28, v28, v27, vcc
	v_lshlrev_b64 v[26:27], v26, v[22:23]
	v_lshlrev_b32_e32 v26, 20, v26
	v_lshlrev_b32_e32 v27, 24, v22
	v_bfrev_b32_e32 v29, 60
	v_and_b32_e32 v26, 0x700000, v26
	v_and_b32_e32 v27, 0x80000000, v27
	v_lshl_add_u32 v28, v28, 23, v29
	v_or3_b32 v26, v27, v28, v26
	v_lshrrev_b32_e32 v30, 16, v26
.LBB735_306:
	s_or_b64 exec, exec, s[20:21]
.LBB735_307:
	s_or_b64 exec, exec, s[10:11]
.LBB735_308:
	s_or_b64 exec, exec, s[2:3]
	v_lshrrev_b16_e32 v26, 8, v22
	v_cmp_ne_u16_e32 vcc, 0, v26
	v_mov_b32_e32 v31, 0
	v_mov_b32_e32 v29, 0
	s_and_saveexec_b64 s[2:3], vcc
	s_cbranch_execz .LBB735_314
; %bb.309:
	s_movk_i32 s9, 0x80
	v_cmp_ne_u16_e32 vcc, s9, v26
	v_mov_b32_e32 v29, 0xffff8000
	s_and_saveexec_b64 s[10:11], vcc
	s_cbranch_execz .LBB735_313
; %bb.310:
	s_movk_i32 s9, 0x7f
	v_and_b32_e32 v27, 0x7f, v26
	v_cmp_ne_u32_e32 vcc, s9, v27
	v_mov_b32_e32 v29, 0x7f80
	s_and_saveexec_b64 s[20:21], vcc
	s_cbranch_execz .LBB735_312
; %bb.311:
	v_and_b32_e32 v32, 7, v26
	v_ffbh_u32_e32 v28, v32
	v_min_u32_e32 v34, 32, v28
	v_subrev_u32_e32 v28, 28, v34
	v_lshlrev_b64 v[28:29], v28, v[26:27]
	v_lshrrev_b32_e32 v33, 3, v27
	v_sub_u32_e32 v26, 29, v34
	v_and_b32_e32 v28, 7, v28
	v_cmp_gt_u32_e32 vcc, 8, v27
	v_cndmask_b32_e32 v26, v33, v26, vcc
	v_cndmask_b32_e32 v27, v32, v28, vcc
	v_lshlrev_b32_e32 v28, 16, v22
	v_bfrev_b32_e32 v29, 60
	v_lshlrev_b32_e32 v27, 20, v27
	v_and_b32_e32 v28, 0x80000000, v28
	v_lshl_add_u32 v26, v26, 23, v29
	v_or3_b32 v26, v28, v26, v27
	v_lshrrev_b32_e32 v29, 16, v26
.LBB735_312:
	s_or_b64 exec, exec, s[20:21]
.LBB735_313:
	s_or_b64 exec, exec, s[10:11]
.LBB735_314:
	s_or_b64 exec, exec, s[2:3]
	s_movk_i32 s2, 0xff
	v_and_b32_sdwa v27, v22, s2 dst_sel:DWORD dst_unused:UNUSED_PAD src0_sel:WORD_1 src1_sel:DWORD
	v_lshrrev_b32_e32 v26, 16, v22
	v_cmp_ne_u16_e32 vcc, 0, v27
	s_and_saveexec_b64 s[2:3], vcc
	s_cbranch_execz .LBB735_320
; %bb.315:
	s_movk_i32 s9, 0x80
	v_cmp_ne_u16_e32 vcc, s9, v27
	v_mov_b32_e32 v31, 0xffff8000
	s_and_saveexec_b64 s[10:11], vcc
	s_cbranch_execz .LBB735_319
; %bb.316:
	v_bfe_u32 v27, v22, 16, 7
	s_movk_i32 s9, 0x7f
	v_cmp_ne_u32_e32 vcc, s9, v27
	v_mov_b32_e32 v31, 0x7f80
	s_and_saveexec_b64 s[20:21], vcc
	s_cbranch_execz .LBB735_318
; %bb.317:
	v_and_b32_e32 v28, 7, v26
	v_ffbh_u32_e32 v32, v28
	v_min_u32_e32 v34, 32, v32
	v_subrev_u32_e32 v32, 28, v34
	v_lshlrev_b64 v[32:33], v32, v[26:27]
	v_and_b32_e32 v32, 7, v32
	v_cmp_gt_u32_e32 vcc, 8, v27
	v_lshrrev_b32_e32 v31, 3, v27
	v_sub_u32_e32 v26, 29, v34
	v_cndmask_b32_e32 v27, v28, v32, vcc
	v_mov_b32_e32 v28, 24
	v_cndmask_b32_e32 v26, v31, v26, vcc
	v_lshlrev_b32_sdwa v28, v28, v22 dst_sel:DWORD dst_unused:UNUSED_PAD src0_sel:DWORD src1_sel:WORD_1
	v_bfrev_b32_e32 v31, 60
	v_lshlrev_b32_e32 v27, 20, v27
	v_and_b32_e32 v28, 0x80000000, v28
	v_lshl_add_u32 v26, v26, 23, v31
	v_or3_b32 v26, v28, v26, v27
	v_lshrrev_b32_e32 v31, 16, v26
.LBB735_318:
	s_or_b64 exec, exec, s[20:21]
.LBB735_319:
	s_or_b64 exec, exec, s[10:11]
.LBB735_320:
	s_or_b64 exec, exec, s[2:3]
	s_mov_b32 s2, 0xffffff
	v_cmp_lt_u32_e32 vcc, s2, v22
	v_mov_b32_e32 v27, 0
	v_mov_b32_e32 v32, 0
	s_and_saveexec_b64 s[2:3], vcc
	s_cbranch_execz .LBB735_326
; %bb.321:
	v_lshrrev_b32_e32 v26, 24, v22
	s_movk_i32 s9, 0x80
	v_cmp_ne_u32_e32 vcc, s9, v26
	v_mov_b32_e32 v32, 0xffff8000
	s_and_saveexec_b64 s[10:11], vcc
	s_cbranch_execz .LBB735_325
; %bb.322:
	v_bfe_u32 v28, v22, 24, 7
	s_movk_i32 s9, 0x7f
	v_cmp_ne_u32_e32 vcc, s9, v28
	v_mov_b32_e32 v32, 0x7f80
	s_and_saveexec_b64 s[20:21], vcc
	s_cbranch_execz .LBB735_324
; %bb.323:
	v_and_b32_e32 v34, 7, v26
	v_ffbh_u32_e32 v32, v34
	v_min_u32_e32 v36, 32, v32
	v_subrev_u32_e32 v32, 28, v36
	v_lshlrev_b64 v[32:33], v32, v[26:27]
	v_lshrrev_b32_e32 v35, 3, v28
	v_sub_u32_e32 v33, 29, v36
	v_and_b32_e32 v32, 7, v32
	v_cmp_gt_u32_e32 vcc, 8, v28
	v_cndmask_b32_e32 v28, v35, v33, vcc
	v_cndmask_b32_e32 v32, v34, v32, vcc
	v_lshlrev_b32_e32 v26, 24, v26
	v_bfrev_b32_e32 v33, 60
	v_lshlrev_b32_e32 v32, 20, v32
	v_and_b32_e32 v26, 0x80000000, v26
	v_lshl_add_u32 v28, v28, 23, v33
	v_or3_b32 v26, v26, v28, v32
	v_lshrrev_b32_e32 v32, 16, v26
.LBB735_324:
	s_or_b64 exec, exec, s[20:21]
.LBB735_325:
	s_or_b64 exec, exec, s[10:11]
.LBB735_326:
	s_or_b64 exec, exec, s[2:3]
	v_mov_b32_e32 v26, v23
	v_cmp_ne_u16_sdwa s[10:11], v23, v27 src0_sel:BYTE_0 src1_sel:DWORD
	s_and_saveexec_b64 s[2:3], s[10:11]
	s_cbranch_execz .LBB735_332
; %bb.327:
	s_movk_i32 s9, 0x80
	v_cmp_ne_u16_sdwa s[20:21], v23, s9 src0_sel:BYTE_0 src1_sel:DWORD
	v_mov_b32_e32 v28, 0xffff8000
	s_and_saveexec_b64 s[10:11], s[20:21]
	s_cbranch_execz .LBB735_331
; %bb.328:
	s_movk_i32 s9, 0x7f
	v_and_b32_e32 v33, 0x7f, v23
	v_cmp_ne_u32_e32 vcc, s9, v33
	v_mov_b32_e32 v28, 0x7f80
	s_and_saveexec_b64 s[20:21], vcc
	s_cbranch_execz .LBB735_330
; %bb.329:
	v_and_b32_e32 v28, 7, v23
	v_ffbh_u32_e32 v28, v28
	v_min_u32_e32 v28, 32, v28
	v_subrev_u32_e32 v35, 28, v28
	v_cmp_gt_u32_e32 vcc, 8, v33
	v_lshrrev_b32_e32 v34, 3, v33
	v_sub_u32_e32 v28, 29, v28
	v_cndmask_b32_e32 v33, 0, v35, vcc
	v_cndmask_b32_e32 v28, v34, v28, vcc
	v_lshlrev_b64 v[34:35], v33, v[26:27]
	v_lshlrev_b32_e32 v27, 20, v34
	v_lshlrev_b32_e32 v33, 24, v26
	v_bfrev_b32_e32 v34, 60
	v_and_b32_e32 v27, 0x700000, v27
	v_and_b32_e32 v33, 0x80000000, v33
	v_lshl_add_u32 v28, v28, 23, v34
	v_or3_b32 v27, v33, v28, v27
	v_lshrrev_b32_e32 v28, 16, v27
.LBB735_330:
	s_or_b64 exec, exec, s[20:21]
.LBB735_331:
	s_or_b64 exec, exec, s[10:11]
	v_mov_b32_e32 v27, v28
.LBB735_332:
	s_or_b64 exec, exec, s[2:3]
	v_lshrrev_b16_e32 v28, 8, v26
	v_cmp_ne_u16_e32 vcc, 0, v28
	v_mov_b32_e32 v34, 0
	v_mov_b32_e32 v33, 0
	s_and_saveexec_b64 s[2:3], vcc
	s_cbranch_execz .LBB735_338
; %bb.333:
	s_movk_i32 s9, 0x80
	v_cmp_ne_u16_e32 vcc, s9, v28
	v_mov_b32_e32 v33, 0xffff8000
	s_and_saveexec_b64 s[10:11], vcc
	s_cbranch_execz .LBB735_337
; %bb.334:
	s_movk_i32 s9, 0x7f
	v_and_b32_e32 v35, 0x7f, v28
	v_cmp_ne_u32_e32 vcc, s9, v35
	v_mov_b32_e32 v33, 0x7f80
	s_and_saveexec_b64 s[20:21], vcc
	s_cbranch_execz .LBB735_336
; %bb.335:
	v_and_b32_e32 v33, 7, v28
	v_ffbh_u32_e32 v36, v33
	v_min_u32_e32 v39, 32, v36
	v_subrev_u32_e32 v36, 28, v39
	v_lshlrev_b64 v[36:37], v36, v[28:29]
	v_lshrrev_b32_e32 v38, 3, v35
	v_sub_u32_e32 v28, 29, v39
	v_and_b32_e32 v36, 7, v36
	v_cmp_gt_u32_e32 vcc, 8, v35
	v_cndmask_b32_e32 v28, v38, v28, vcc
	v_cndmask_b32_e32 v33, v33, v36, vcc
	v_lshlrev_b32_e32 v26, 16, v26
	v_bfrev_b32_e32 v35, 60
	v_lshlrev_b32_e32 v33, 20, v33
	v_and_b32_e32 v26, 0x80000000, v26
	v_lshl_add_u32 v28, v28, 23, v35
	v_or3_b32 v26, v26, v28, v33
	v_lshrrev_b32_e32 v33, 16, v26
.LBB735_336:
	s_or_b64 exec, exec, s[20:21]
.LBB735_337:
	s_or_b64 exec, exec, s[10:11]
.LBB735_338:
	s_or_b64 exec, exec, s[2:3]
	s_movk_i32 s2, 0xff
	v_and_b32_sdwa v28, v23, s2 dst_sel:DWORD dst_unused:UNUSED_PAD src0_sel:WORD_1 src1_sel:DWORD
	v_lshrrev_b32_e32 v26, 16, v23
	v_cmp_ne_u16_e32 vcc, 0, v28
	s_and_saveexec_b64 s[2:3], vcc
	s_cbranch_execz .LBB735_344
; %bb.339:
	s_movk_i32 s9, 0x80
	v_cmp_ne_u16_e32 vcc, s9, v28
	v_mov_b32_e32 v34, 0xffff8000
	s_and_saveexec_b64 s[10:11], vcc
	s_cbranch_execz .LBB735_343
; %bb.340:
	v_bfe_u32 v28, v23, 16, 7
	s_movk_i32 s9, 0x7f
	v_cmp_ne_u32_e32 vcc, s9, v28
	v_mov_b32_e32 v34, 0x7f80
	s_and_saveexec_b64 s[20:21], vcc
	s_cbranch_execz .LBB735_342
; %bb.341:
	v_and_b32_e32 v36, 7, v26
	v_ffbh_u32_e32 v34, v36
	v_min_u32_e32 v38, 32, v34
	v_subrev_u32_e32 v34, 28, v38
	v_lshlrev_b64 v[34:35], v34, v[26:27]
	v_and_b32_e32 v34, 7, v34
	v_cmp_gt_u32_e32 vcc, 8, v28
	v_lshrrev_b32_e32 v37, 3, v28
	v_sub_u32_e32 v26, 29, v38
	v_cndmask_b32_e32 v28, v36, v34, vcc
	v_mov_b32_e32 v34, 24
	v_cndmask_b32_e32 v26, v37, v26, vcc
	v_lshlrev_b32_sdwa v34, v34, v23 dst_sel:DWORD dst_unused:UNUSED_PAD src0_sel:DWORD src1_sel:WORD_1
	v_bfrev_b32_e32 v35, 60
	v_lshlrev_b32_e32 v28, 20, v28
	v_and_b32_e32 v34, 0x80000000, v34
	v_lshl_add_u32 v26, v26, 23, v35
	v_or3_b32 v26, v34, v26, v28
	v_lshrrev_b32_e32 v34, 16, v26
.LBB735_342:
	s_or_b64 exec, exec, s[20:21]
.LBB735_343:
	s_or_b64 exec, exec, s[10:11]
.LBB735_344:
	s_or_b64 exec, exec, s[2:3]
	s_mov_b32 s2, -1
	s_mov_b32 s3, 0xffffff
	v_cmp_lt_u64_e32 vcc, s[2:3], v[22:23]
	v_mov_b32_e32 v28, 0
	v_mov_b32_e32 v26, 0
	s_and_saveexec_b64 s[2:3], vcc
	s_cbranch_execz .LBB735_350
; %bb.345:
	v_lshrrev_b32_e32 v22, 24, v23
	s_movk_i32 s9, 0x80
	v_cmp_ne_u32_e32 vcc, s9, v22
	v_mov_b32_e32 v26, 0xffff8000
	s_and_saveexec_b64 s[10:11], vcc
	s_cbranch_execz .LBB735_349
; %bb.346:
	v_bfe_u32 v23, v23, 24, 7
	s_movk_i32 s9, 0x7f
	v_cmp_ne_u32_e32 vcc, s9, v23
	v_mov_b32_e32 v26, 0x7f80
	s_and_saveexec_b64 s[20:21], vcc
	s_cbranch_execz .LBB735_348
; %bb.347:
	v_and_b32_e32 v26, 7, v22
	v_ffbh_u32_e32 v36, v26
	v_min_u32_e32 v38, 32, v36
	v_subrev_u32_e32 v36, 28, v38
	v_lshlrev_b64 v[36:37], v36, v[22:23]
	v_lshrrev_b32_e32 v35, 3, v23
	v_sub_u32_e32 v37, 29, v38
	v_and_b32_e32 v36, 7, v36
	v_cmp_gt_u32_e32 vcc, 8, v23
	v_cndmask_b32_e32 v23, v35, v37, vcc
	v_cndmask_b32_e32 v26, v26, v36, vcc
	v_lshlrev_b32_e32 v22, 24, v22
	v_bfrev_b32_e32 v35, 60
	v_lshlrev_b32_e32 v26, 20, v26
	v_and_b32_e32 v22, 0x80000000, v22
	v_lshl_add_u32 v23, v23, 23, v35
	v_or3_b32 v22, v22, v23, v26
	v_lshrrev_b32_e32 v26, 16, v22
.LBB735_348:
	s_or_b64 exec, exec, s[20:21]
.LBB735_349:
	s_or_b64 exec, exec, s[10:11]
.LBB735_350:
	s_or_b64 exec, exec, s[2:3]
	s_mov_b32 s2, 0x5040100
	v_perm_b32 v23, v32, v31, s2
	v_perm_b32 v22, v29, v30, s2
	;; [unrolled: 1-line block ×4, first 2 shown]
	v_mfma_f32_4x4x4bf16_1k a[0:3], v[18:19], v[22:23], a[0:3] cbsz:4 abid:6
	v_cmp_ne_u16_sdwa s[10:11], v24, v28 src0_sel:BYTE_0 src1_sel:DWORD
	v_mfma_f32_4x4x4bf16_1k a[0:3], v[20:21], v[30:31], a[0:3] cbsz:4 abid:6
	s_and_saveexec_b64 s[2:3], s[10:11]
	s_cbranch_execz .LBB735_356
; %bb.351:
	s_movk_i32 s9, 0x80
	v_cmp_ne_u16_sdwa s[20:21], v24, s9 src0_sel:BYTE_0 src1_sel:DWORD
	v_mov_b32_e32 v28, 0xffff8000
	s_and_saveexec_b64 s[10:11], s[20:21]
	s_cbranch_execz .LBB735_355
; %bb.352:
	s_movk_i32 s9, 0x7f
	v_and_b32_e32 v22, 0x7f, v24
	v_cmp_ne_u32_e32 vcc, s9, v22
	v_mov_b32_e32 v28, 0x7f80
	s_and_saveexec_b64 s[20:21], vcc
	s_cbranch_execz .LBB735_354
; %bb.353:
	v_and_b32_e32 v23, 7, v24
	v_ffbh_u32_e32 v23, v23
	v_min_u32_e32 v23, 32, v23
	v_subrev_u32_e32 v27, 28, v23
	v_cmp_gt_u32_e32 vcc, 8, v22
	v_lshrrev_b32_e32 v26, 3, v22
	v_sub_u32_e32 v23, 29, v23
	v_cndmask_b32_e32 v22, 0, v27, vcc
	v_cndmask_b32_e32 v26, v26, v23, vcc
	v_lshlrev_b64 v[22:23], v22, v[24:25]
	v_lshlrev_b32_e32 v22, 20, v22
	v_lshlrev_b32_e32 v23, 24, v24
	v_bfrev_b32_e32 v27, 60
	v_and_b32_e32 v22, 0x700000, v22
	v_and_b32_e32 v23, 0x80000000, v23
	v_lshl_add_u32 v26, v26, 23, v27
	v_or3_b32 v22, v23, v26, v22
	v_lshrrev_b32_e32 v28, 16, v22
.LBB735_354:
	s_or_b64 exec, exec, s[20:21]
.LBB735_355:
	s_or_b64 exec, exec, s[10:11]
.LBB735_356:
	s_or_b64 exec, exec, s[2:3]
	v_lshrrev_b16_e32 v22, 8, v24
	v_cmp_ne_u16_e32 vcc, 0, v22
	v_mov_b32_e32 v29, 0
	v_mov_b32_e32 v27, 0
	s_and_saveexec_b64 s[2:3], vcc
	s_cbranch_execz .LBB735_362
; %bb.357:
	s_movk_i32 s9, 0x80
	v_cmp_ne_u16_e32 vcc, s9, v22
	v_mov_b32_e32 v27, 0xffff8000
	s_and_saveexec_b64 s[10:11], vcc
	s_cbranch_execz .LBB735_361
; %bb.358:
	s_movk_i32 s9, 0x7f
	v_and_b32_e32 v23, 0x7f, v22
	v_cmp_ne_u32_e32 vcc, s9, v23
	v_mov_b32_e32 v27, 0x7f80
	s_and_saveexec_b64 s[20:21], vcc
	s_cbranch_execz .LBB735_360
; %bb.359:
	v_and_b32_e32 v30, 7, v22
	v_ffbh_u32_e32 v26, v30
	v_min_u32_e32 v32, 32, v26
	v_subrev_u32_e32 v26, 28, v32
	v_lshlrev_b64 v[26:27], v26, v[22:23]
	v_lshrrev_b32_e32 v31, 3, v23
	v_sub_u32_e32 v22, 29, v32
	v_and_b32_e32 v26, 7, v26
	v_cmp_gt_u32_e32 vcc, 8, v23
	v_cndmask_b32_e32 v22, v31, v22, vcc
	v_cndmask_b32_e32 v23, v30, v26, vcc
	v_lshlrev_b32_e32 v26, 16, v24
	v_bfrev_b32_e32 v27, 60
	v_lshlrev_b32_e32 v23, 20, v23
	v_and_b32_e32 v26, 0x80000000, v26
	v_lshl_add_u32 v22, v22, 23, v27
	v_or3_b32 v22, v26, v22, v23
	v_lshrrev_b32_e32 v27, 16, v22
.LBB735_360:
	s_or_b64 exec, exec, s[20:21]
.LBB735_361:
	s_or_b64 exec, exec, s[10:11]
.LBB735_362:
	s_or_b64 exec, exec, s[2:3]
	s_movk_i32 s2, 0xff
	v_and_b32_sdwa v23, v24, s2 dst_sel:DWORD dst_unused:UNUSED_PAD src0_sel:WORD_1 src1_sel:DWORD
	v_lshrrev_b32_e32 v22, 16, v24
	v_cmp_ne_u16_e32 vcc, 0, v23
	s_and_saveexec_b64 s[2:3], vcc
	s_cbranch_execz .LBB735_368
; %bb.363:
	s_movk_i32 s9, 0x80
	v_cmp_ne_u16_e32 vcc, s9, v23
	v_mov_b32_e32 v29, 0xffff8000
	s_and_saveexec_b64 s[10:11], vcc
	s_cbranch_execz .LBB735_367
; %bb.364:
	v_bfe_u32 v23, v24, 16, 7
	s_movk_i32 s9, 0x7f
	v_cmp_ne_u32_e32 vcc, s9, v23
	v_mov_b32_e32 v29, 0x7f80
	s_and_saveexec_b64 s[20:21], vcc
	s_cbranch_execz .LBB735_366
; %bb.365:
	v_and_b32_e32 v26, 7, v22
	v_ffbh_u32_e32 v30, v26
	v_min_u32_e32 v32, 32, v30
	v_subrev_u32_e32 v30, 28, v32
	v_lshlrev_b64 v[30:31], v30, v[22:23]
	v_and_b32_e32 v30, 7, v30
	v_cmp_gt_u32_e32 vcc, 8, v23
	v_lshrrev_b32_e32 v29, 3, v23
	v_sub_u32_e32 v22, 29, v32
	v_cndmask_b32_e32 v23, v26, v30, vcc
	v_mov_b32_e32 v26, 24
	v_cndmask_b32_e32 v22, v29, v22, vcc
	v_lshlrev_b32_sdwa v26, v26, v24 dst_sel:DWORD dst_unused:UNUSED_PAD src0_sel:DWORD src1_sel:WORD_1
	v_bfrev_b32_e32 v29, 60
	v_lshlrev_b32_e32 v23, 20, v23
	v_and_b32_e32 v26, 0x80000000, v26
	v_lshl_add_u32 v22, v22, 23, v29
	v_or3_b32 v22, v26, v22, v23
	v_lshrrev_b32_e32 v29, 16, v22
.LBB735_366:
	s_or_b64 exec, exec, s[20:21]
.LBB735_367:
	s_or_b64 exec, exec, s[10:11]
.LBB735_368:
	s_or_b64 exec, exec, s[2:3]
	s_mov_b32 s2, 0xffffff
	v_cmp_lt_u32_e32 vcc, s2, v24
	v_mov_b32_e32 v23, 0
	v_mov_b32_e32 v30, 0
	s_and_saveexec_b64 s[2:3], vcc
	s_cbranch_execz .LBB735_374
; %bb.369:
	v_lshrrev_b32_e32 v22, 24, v24
	s_movk_i32 s9, 0x80
	v_cmp_ne_u32_e32 vcc, s9, v22
	v_mov_b32_e32 v30, 0xffff8000
	s_and_saveexec_b64 s[10:11], vcc
	s_cbranch_execz .LBB735_373
; %bb.370:
	v_bfe_u32 v26, v24, 24, 7
	s_movk_i32 s9, 0x7f
	v_cmp_ne_u32_e32 vcc, s9, v26
	v_mov_b32_e32 v30, 0x7f80
	s_and_saveexec_b64 s[20:21], vcc
	s_cbranch_execz .LBB735_372
; %bb.371:
	v_and_b32_e32 v32, 7, v22
	v_ffbh_u32_e32 v30, v32
	v_min_u32_e32 v34, 32, v30
	v_subrev_u32_e32 v30, 28, v34
	v_lshlrev_b64 v[30:31], v30, v[22:23]
	v_lshrrev_b32_e32 v33, 3, v26
	v_sub_u32_e32 v31, 29, v34
	v_and_b32_e32 v30, 7, v30
	v_cmp_gt_u32_e32 vcc, 8, v26
	v_cndmask_b32_e32 v26, v33, v31, vcc
	v_cndmask_b32_e32 v30, v32, v30, vcc
	v_lshlrev_b32_e32 v22, 24, v22
	v_bfrev_b32_e32 v31, 60
	v_lshlrev_b32_e32 v30, 20, v30
	v_and_b32_e32 v22, 0x80000000, v22
	v_lshl_add_u32 v26, v26, 23, v31
	v_or3_b32 v22, v22, v26, v30
	v_lshrrev_b32_e32 v30, 16, v22
.LBB735_372:
	s_or_b64 exec, exec, s[20:21]
.LBB735_373:
	s_or_b64 exec, exec, s[10:11]
.LBB735_374:
	s_or_b64 exec, exec, s[2:3]
	v_mov_b32_e32 v22, v25
	v_cmp_ne_u16_sdwa s[10:11], v25, v23 src0_sel:BYTE_0 src1_sel:DWORD
	s_and_saveexec_b64 s[2:3], s[10:11]
	s_cbranch_execz .LBB735_380
; %bb.375:
	s_movk_i32 s9, 0x80
	v_cmp_ne_u16_sdwa s[20:21], v25, s9 src0_sel:BYTE_0 src1_sel:DWORD
	v_mov_b32_e32 v26, 0xffff8000
	s_and_saveexec_b64 s[10:11], s[20:21]
	s_cbranch_execz .LBB735_379
; %bb.376:
	s_movk_i32 s9, 0x7f
	v_and_b32_e32 v31, 0x7f, v25
	v_cmp_ne_u32_e32 vcc, s9, v31
	v_mov_b32_e32 v26, 0x7f80
	s_and_saveexec_b64 s[20:21], vcc
	s_cbranch_execz .LBB735_378
; %bb.377:
	v_and_b32_e32 v26, 7, v25
	v_ffbh_u32_e32 v26, v26
	v_min_u32_e32 v26, 32, v26
	v_subrev_u32_e32 v33, 28, v26
	v_cmp_gt_u32_e32 vcc, 8, v31
	v_lshrrev_b32_e32 v32, 3, v31
	v_sub_u32_e32 v26, 29, v26
	v_cndmask_b32_e32 v31, 0, v33, vcc
	v_cndmask_b32_e32 v26, v32, v26, vcc
	v_lshlrev_b64 v[32:33], v31, v[22:23]
	v_lshlrev_b32_e32 v23, 20, v32
	v_lshlrev_b32_e32 v31, 24, v22
	v_bfrev_b32_e32 v32, 60
	v_and_b32_e32 v23, 0x700000, v23
	v_and_b32_e32 v31, 0x80000000, v31
	v_lshl_add_u32 v26, v26, 23, v32
	v_or3_b32 v23, v31, v26, v23
	v_lshrrev_b32_e32 v26, 16, v23
.LBB735_378:
	s_or_b64 exec, exec, s[20:21]
.LBB735_379:
	s_or_b64 exec, exec, s[10:11]
	v_mov_b32_e32 v23, v26
.LBB735_380:
	s_or_b64 exec, exec, s[2:3]
	v_lshrrev_b16_e32 v26, 8, v22
	v_cmp_ne_u16_e32 vcc, 0, v26
	v_mov_b32_e32 v32, 0
	v_mov_b32_e32 v31, 0
	s_and_saveexec_b64 s[2:3], vcc
	s_cbranch_execz .LBB735_386
; %bb.381:
	s_movk_i32 s9, 0x80
	v_cmp_ne_u16_e32 vcc, s9, v26
	v_mov_b32_e32 v31, 0xffff8000
	s_and_saveexec_b64 s[10:11], vcc
	s_cbranch_execz .LBB735_385
; %bb.382:
	s_movk_i32 s9, 0x7f
	v_and_b32_e32 v33, 0x7f, v26
	v_cmp_ne_u32_e32 vcc, s9, v33
	v_mov_b32_e32 v31, 0x7f80
	s_and_saveexec_b64 s[20:21], vcc
	s_cbranch_execz .LBB735_384
; %bb.383:
	v_and_b32_e32 v31, 7, v26
	v_ffbh_u32_e32 v34, v31
	v_min_u32_e32 v37, 32, v34
	v_subrev_u32_e32 v34, 28, v37
	v_lshlrev_b64 v[34:35], v34, v[26:27]
	v_lshrrev_b32_e32 v36, 3, v33
	v_sub_u32_e32 v26, 29, v37
	v_and_b32_e32 v34, 7, v34
	v_cmp_gt_u32_e32 vcc, 8, v33
	v_cndmask_b32_e32 v26, v36, v26, vcc
	v_cndmask_b32_e32 v31, v31, v34, vcc
	v_lshlrev_b32_e32 v22, 16, v22
	v_bfrev_b32_e32 v33, 60
	v_lshlrev_b32_e32 v31, 20, v31
	v_and_b32_e32 v22, 0x80000000, v22
	v_lshl_add_u32 v26, v26, 23, v33
	v_or3_b32 v22, v22, v26, v31
	v_lshrrev_b32_e32 v31, 16, v22
.LBB735_384:
	s_or_b64 exec, exec, s[20:21]
.LBB735_385:
	s_or_b64 exec, exec, s[10:11]
.LBB735_386:
	s_or_b64 exec, exec, s[2:3]
	s_movk_i32 s2, 0xff
	v_and_b32_sdwa v26, v25, s2 dst_sel:DWORD dst_unused:UNUSED_PAD src0_sel:WORD_1 src1_sel:DWORD
	v_lshrrev_b32_e32 v22, 16, v25
	v_cmp_ne_u16_e32 vcc, 0, v26
	s_and_saveexec_b64 s[2:3], vcc
	s_cbranch_execz .LBB735_392
; %bb.387:
	s_movk_i32 s9, 0x80
	v_cmp_ne_u16_e32 vcc, s9, v26
	v_mov_b32_e32 v32, 0xffff8000
	s_and_saveexec_b64 s[10:11], vcc
	s_cbranch_execz .LBB735_391
; %bb.388:
	v_bfe_u32 v26, v25, 16, 7
	s_movk_i32 s9, 0x7f
	v_cmp_ne_u32_e32 vcc, s9, v26
	v_mov_b32_e32 v32, 0x7f80
	s_and_saveexec_b64 s[20:21], vcc
	s_cbranch_execz .LBB735_390
; %bb.389:
	v_and_b32_e32 v34, 7, v22
	v_ffbh_u32_e32 v32, v34
	v_min_u32_e32 v36, 32, v32
	v_subrev_u32_e32 v32, 28, v36
	v_lshlrev_b64 v[32:33], v32, v[22:23]
	v_and_b32_e32 v32, 7, v32
	v_cmp_gt_u32_e32 vcc, 8, v26
	v_lshrrev_b32_e32 v35, 3, v26
	v_sub_u32_e32 v22, 29, v36
	v_cndmask_b32_e32 v26, v34, v32, vcc
	v_mov_b32_e32 v32, 24
	v_cndmask_b32_e32 v22, v35, v22, vcc
	v_lshlrev_b32_sdwa v32, v32, v25 dst_sel:DWORD dst_unused:UNUSED_PAD src0_sel:DWORD src1_sel:WORD_1
	v_bfrev_b32_e32 v33, 60
	v_lshlrev_b32_e32 v26, 20, v26
	v_and_b32_e32 v32, 0x80000000, v32
	v_lshl_add_u32 v22, v22, 23, v33
	v_or3_b32 v22, v32, v22, v26
	v_lshrrev_b32_e32 v32, 16, v22
.LBB735_390:
	s_or_b64 exec, exec, s[20:21]
.LBB735_391:
	s_or_b64 exec, exec, s[10:11]
.LBB735_392:
	s_or_b64 exec, exec, s[2:3]
	s_mov_b32 s2, -1
	s_mov_b32 s3, 0xffffff
	v_cmp_lt_u64_e32 vcc, s[2:3], v[24:25]
	v_mov_b32_e32 v24, 0
	s_and_saveexec_b64 s[2:3], vcc
	s_cbranch_execz .LBB735_398
; %bb.393:
	v_lshrrev_b32_e32 v22, 24, v25
	s_movk_i32 s9, 0x80
	v_cmp_ne_u32_e32 vcc, s9, v22
	v_mov_b32_e32 v24, 0xffff8000
	s_and_saveexec_b64 s[10:11], vcc
	s_cbranch_execz .LBB735_397
; %bb.394:
	v_bfe_u32 v25, v25, 24, 7
	s_movk_i32 s9, 0x7f
	v_cmp_ne_u32_e32 vcc, s9, v25
	v_mov_b32_e32 v24, 0x7f80
	s_and_saveexec_b64 s[20:21], vcc
	s_cbranch_execz .LBB735_396
; %bb.395:
	v_and_b32_e32 v24, 7, v22
	v_ffbh_u32_e32 v33, v24
	v_min_u32_e32 v33, 32, v33
	v_subrev_u32_e32 v34, 28, v33
	v_lshlrev_b64 v[34:35], v34, v[22:23]
	v_lshrrev_b32_e32 v26, 3, v25
	v_sub_u32_e32 v33, 29, v33
	v_and_b32_e32 v34, 7, v34
	v_cmp_gt_u32_e32 vcc, 8, v25
	v_cndmask_b32_e32 v25, v26, v33, vcc
	v_cndmask_b32_e32 v24, v24, v34, vcc
	v_lshlrev_b32_e32 v22, 24, v22
	v_bfrev_b32_e32 v26, 60
	v_lshlrev_b32_e32 v24, 20, v24
	v_and_b32_e32 v22, 0x80000000, v22
	v_lshl_add_u32 v25, v25, 23, v26
	v_or3_b32 v22, v22, v25, v24
	v_lshrrev_b32_e32 v24, 16, v22
.LBB735_396:
	s_or_b64 exec, exec, s[20:21]
.LBB735_397:
	s_or_b64 exec, exec, s[10:11]
.LBB735_398:
	s_or_b64 exec, exec, s[2:3]
	s_mov_b32 s3, 0x5040100
	s_load_dword s2, s[4:5], 0x1c
	v_perm_b32 v29, v30, v29, s3
	v_perm_b32 v28, v27, v28, s3
	;; [unrolled: 1-line block ×4, first 2 shown]
	v_mfma_f32_4x4x4bf16_1k a[0:3], v[18:19], v[28:29], a[0:3] cbsz:4 abid:7
	s_load_dword s3, s[12:13], 0x0
	v_mfma_f32_4x4x4bf16_1k a[0:3], v[20:21], v[24:25], a[0:3] cbsz:4 abid:7
	s_waitcnt lgkmcnt(0)
	v_mov_b32_e32 v18, s2
	v_cmp_eq_u32_e32 vcc, 0, v43
	v_mul_f32_e32 v20, s3, v18
	s_nop 0
	v_accvgpr_read_b32 v23, a1
	v_accvgpr_read_b32 v22, a0
	v_pk_mul_f32 v[22:23], v[22:23], v[20:21] op_sel_hi:[1,0]
	v_accvgpr_read_b32 v19, a3
	v_accvgpr_read_b32 v18, a2
	v_pk_mul_f32 v[18:19], v[18:19], v[20:21] op_sel_hi:[1,0]
	v_cndmask_b32_e64 v20, 0, 1.0, vcc
	v_cmp_eq_u32_e32 vcc, 1, v43
	s_nop 0
	v_mfma_f32_4x4x1f32 a[0:3], v22, v20, 0
	v_cndmask_b32_e64 v20, 0, 1.0, vcc
	v_cmp_eq_u32_e32 vcc, 2, v43
	v_mov_b32_e32 v22, 0xff7fffff
	v_mfma_f32_4x4x1f32 a[0:3], v23, v20, a[0:3]
	v_cndmask_b32_e64 v20, 0, 1.0, vcc
	v_cmp_eq_u32_e32 vcc, 3, v43
	s_nop 0
	v_mfma_f32_4x4x1f32 a[0:3], v18, v20, a[0:3]
	v_cndmask_b32_e64 v18, 0, 1.0, vcc
	s_nop 1
	v_mfma_f32_4x4x1f32 a[0:3], v19, v18, a[0:3]
	v_and_b32_e32 v18, -4, v44
	v_cmp_gt_i32_e32 vcc, s7, v18
	v_lshlrev_b32_e32 v19, 2, v0
	v_and_or_b32 v19, v19, 48, v43
	v_lshlrev_b32_e32 v26, 2, v19
	v_accvgpr_read_b32 v20, a0
	v_max_f32_e32 v21, v20, v20
	v_max_f32_e32 v21, 0xff7fffff, v21
	v_accvgpr_read_b32 v23, a1
	v_cndmask_b32_e32 v21, v22, v21, vcc
	v_or_b32_e32 v22, 1, v18
	v_max_f32_e32 v24, v23, v23
	v_max_f32_e32 v24, v21, v24
	v_cmp_gt_i32_e64 s[2:3], s7, v22
	v_accvgpr_read_b32 v22, a2
	v_cndmask_b32_e64 v21, v21, v24, s[2:3]
	v_or_b32_e32 v18, 2, v18
	v_max_f32_e32 v24, v22, v22
	v_max_f32_e32 v24, v21, v24
	v_cmp_gt_i32_e64 s[4:5], s7, v18
	v_cndmask_b32_e64 v18, v21, v24, s[4:5]
	v_accvgpr_read_b32 v24, a3
	v_or_b32_e32 v21, 3, v44
	v_max_f32_e32 v25, v24, v24
	v_max_f32_e32 v25, v18, v25
	v_cmp_gt_i32_e64 s[10:11], s7, v21
	v_cndmask_b32_e64 v18, v18, v25, s[10:11]
	;;#ASMSTART
	v_nop
 v_nop
 v_max_f32_dpp v18, v18, v18 row_ror:4
	;;#ASMEND
	;;#ASMSTART
	v_nop
 v_nop
 v_max_f32_dpp v18, v18, v18 row_ror:8
	;;#ASMEND
	ds_bpermute_b32 v18, v26, v18
	s_waitcnt lgkmcnt(0)
	;;#ASMSTART
	v_nop
 v_nop
 v_max_f32_dpp v18, v18, v18 row_ror:4
	;;#ASMEND
	;;#ASMSTART
	v_nop
 v_nop
 v_max_f32_dpp v25, v18, v18 row_ror:8
	;;#ASMEND
	v_sub_f32_e32 v18, v20, v25
	v_mul_f32_e32 v18, 0x3fb8aa3b, v18
	v_sub_f32_e32 v19, v23, v25
	v_exp_f32_e32 v18, v18
	v_mul_f32_e32 v19, 0x3fb8aa3b, v19
	v_sub_f32_e32 v21, v22, v25
	v_exp_f32_e32 v19, v19
	v_mul_f32_e32 v21, 0x3fb8aa3b, v21
	v_sub_f32_e32 v22, v24, v25
	v_exp_f32_e32 v21, v21
	v_mul_f32_e32 v22, 0x3fb8aa3b, v22
	v_exp_f32_e32 v22, v22
	v_cndmask_b32_e32 v18, 0, v18, vcc
	v_add_f32_e32 v20, 0, v18
	v_cndmask_b32_e64 v19, 0, v19, s[2:3]
	v_add_f32_e32 v23, v20, v19
	v_cndmask_b32_e64 v20, 0, v21, s[4:5]
	v_add_f32_e32 v23, v23, v20
	v_cndmask_b32_e64 v21, 0, v22, s[10:11]
	v_add_f32_e32 v22, v23, v21
	;;#ASMSTART
	v_nop
 v_nop
 v_add_f32_dpp v22, v22, v22 row_ror:4
	;;#ASMEND
	;;#ASMSTART
	v_nop
 v_nop
 v_add_f32_dpp v22, v22, v22 row_ror:8
	;;#ASMEND
	ds_bpermute_b32 v22, v26, v22
	s_waitcnt lgkmcnt(0)
	;;#ASMSTART
	v_nop
 v_nop
 v_add_f32_dpp v22, v22, v22 row_ror:4
	;;#ASMEND
	v_cmp_gt_u32_e32 vcc, 4, v42
	;;#ASMSTART
	v_nop
 v_nop
 v_add_f32_dpp v22, v22, v22 row_ror:8
	;;#ASMEND
	s_and_saveexec_b64 s[2:3], vcc
	s_cbranch_execz .LBB735_400
; %bb.399:
	v_mul_u32_u24_e32 v23, 20, v1
	v_lshl_add_u32 v23, v43, 2, v23
	v_add_u32_e32 v23, 0x800, v23
	ds_write2_b32 v23, v25, v22 offset0:128 offset1:148
.LBB735_400:
	s_or_b64 exec, exec, s[2:3]
.LBB735_401:
	s_or_b64 exec, exec, s[36:37]
	s_waitcnt lgkmcnt(0)
	s_barrier
	s_load_dword s2, s[34:35], 0x8
	v_lshlrev_b32_e32 v22, 2, v43
	v_add_u32_e32 v24, 0x800, v22
	ds_read2_b32 v[22:23], v24 offset0:128 offset1:133
	ds_read2_b32 v[28:29], v24 offset0:138 offset1:143
	s_mul_i32 s3, s6, s33
	s_waitcnt lgkmcnt(0)
	s_mul_i32 s3, s3, s2
	s_lshl_b32 s2, s3, 1
	s_mov_b32 s3, 0xff7fffff
	v_max3_f32 v26, v22, s3, v23
	v_max3_f32 v26, v26, v28, v29
	v_sub_f32_e32 v22, v22, v26
	v_mul_f32_e32 v22, 0x3fb8aa3b, v22
	v_exp_f32_e32 v27, v22
	v_sub_f32_e32 v22, v23, v26
	ds_read2_b32 v[30:31], v24 offset0:148 offset1:153
	v_mul_f32_e32 v22, 0x3fb8aa3b, v22
	v_exp_f32_e32 v32, v22
	ds_read2_b32 v[22:23], v24 offset0:158 offset1:163
	v_sub_f32_e32 v24, v28, v26
	v_mul_f32_e32 v24, 0x3fb8aa3b, v24
	v_sub_f32_e32 v28, v29, v26
	v_exp_f32_e32 v24, v24
	v_mul_f32_e32 v28, 0x3fb8aa3b, v28
	v_exp_f32_e32 v28, v28
	s_waitcnt lgkmcnt(1)
	v_fma_f32 v27, v27, v30, 0
	v_fmac_f32_e32 v27, v32, v31
	s_waitcnt lgkmcnt(0)
	v_fmac_f32_e32 v27, v24, v22
	s_lshl_b32 s10, s8, 1
	v_fmac_f32_e32 v27, v28, v23
	v_cmp_gt_u32_e32 vcc, 2, v43
	s_and_saveexec_b64 s[4:5], vcc
	s_cbranch_execz .LBB735_403
; %bb.402:
	s_mov_b32 s3, 0
	s_lshl_b64 s[6:7], s[2:3], 2
	s_add_u32 s11, s16, s6
	s_mov_b32 s29, s3
	s_addc_u32 s12, s17, s7
	s_lshl_b64 s[8:9], s[28:29], 2
	s_add_u32 s3, s11, s8
	s_addc_u32 s11, s12, s9
	v_or_b32_e32 v22, s10, v43
	s_add_u32 s6, s18, s6
	v_mul_lo_u32 v22, s33, v22
	v_mov_b32_e32 v23, 0
	s_addc_u32 s7, s19, s7
	v_lshlrev_b64 v[22:23], 2, v[22:23]
	s_add_u32 s6, s6, s8
	v_mov_b32_e32 v24, s11
	v_add_co_u32_e32 v28, vcc, s3, v22
	s_addc_u32 s7, s7, s9
	v_addc_co_u32_e32 v29, vcc, v24, v23, vcc
	v_mov_b32_e32 v24, s7
	v_add_co_u32_e32 v22, vcc, s6, v22
	v_addc_co_u32_e32 v23, vcc, v24, v23, vcc
	global_store_dword v[22:23], v26, off
	global_store_dword v[28:29], v27, off
.LBB735_403:
	s_or_b64 exec, exec, s[4:5]
	v_mov_b32_e32 v23, 0
	v_mov_b32_e32 v22, 0
	s_and_saveexec_b64 s[4:5], s[0:1]
	s_cbranch_execz .LBB735_789
; %bb.404:
	v_mov_b32_e32 v28, 0
	s_waitcnt vmcnt(2)
	v_cmp_ne_u16_sdwa s[6:7], v14, v28 src0_sel:BYTE_0 src1_sel:DWORD
	v_mov_b32_e32 v29, 0
	s_and_saveexec_b64 s[0:1], s[6:7]
	s_cbranch_execz .LBB735_410
; %bb.405:
	s_movk_i32 s3, 0x80
	v_cmp_ne_u16_sdwa s[8:9], v14, s3 src0_sel:BYTE_0 src1_sel:DWORD
	v_mov_b32_e32 v29, 0xffff8000
	s_and_saveexec_b64 s[6:7], s[8:9]
	s_cbranch_execz .LBB735_409
; %bb.406:
	s_movk_i32 s3, 0x7f
	v_and_b32_e32 v22, 0x7f, v14
	v_cmp_ne_u32_e32 vcc, s3, v22
	v_mov_b32_e32 v29, 0x7f80
	s_and_saveexec_b64 s[8:9], vcc
	s_cbranch_execz .LBB735_408
; %bb.407:
	v_and_b32_e32 v23, 7, v14
	v_ffbh_u32_e32 v23, v23
	v_min_u32_e32 v23, 32, v23
	v_subrev_u32_e32 v29, 28, v23
	v_cmp_gt_u32_e32 vcc, 8, v22
	v_lshrrev_b32_e32 v24, 3, v22
	v_sub_u32_e32 v23, 29, v23
	v_cndmask_b32_e32 v22, 0, v29, vcc
	v_cndmask_b32_e32 v24, v24, v23, vcc
	v_lshlrev_b64 v[22:23], v22, v[14:15]
	v_lshlrev_b32_e32 v22, 20, v22
	v_lshlrev_b32_e32 v23, 24, v14
	v_bfrev_b32_e32 v29, 60
	v_and_b32_e32 v22, 0x700000, v22
	v_and_b32_e32 v23, 0x80000000, v23
	v_lshl_add_u32 v24, v24, 23, v29
	v_or3_b32 v22, v23, v24, v22
	v_lshrrev_b32_e32 v29, 16, v22
.LBB735_408:
	s_or_b64 exec, exec, s[8:9]
.LBB735_409:
	s_or_b64 exec, exec, s[6:7]
.LBB735_410:
	s_or_b64 exec, exec, s[0:1]
	v_lshrrev_b16_e32 v22, 8, v14
	v_cmp_ne_u16_e32 vcc, 0, v22
	s_and_saveexec_b64 s[0:1], vcc
	s_cbranch_execz .LBB735_416
; %bb.411:
	s_movk_i32 s3, 0x80
	v_cmp_ne_u16_e32 vcc, s3, v22
	v_mov_b32_e32 v28, 0xffff8000
	s_and_saveexec_b64 s[6:7], vcc
	s_cbranch_execz .LBB735_415
; %bb.412:
	s_movk_i32 s3, 0x7f
	v_and_b32_e32 v23, 0x7f, v22
	v_cmp_ne_u32_e32 vcc, s3, v23
	v_mov_b32_e32 v28, 0x7f80
	s_and_saveexec_b64 s[8:9], vcc
	s_cbranch_execz .LBB735_414
; %bb.413:
	v_and_b32_e32 v24, 7, v22
	v_ffbh_u32_e32 v30, v24
	v_min_u32_e32 v32, 32, v30
	v_subrev_u32_e32 v30, 28, v32
	v_lshlrev_b64 v[30:31], v30, v[22:23]
	v_lshrrev_b32_e32 v28, 3, v23
	v_sub_u32_e32 v22, 29, v32
	v_and_b32_e32 v30, 7, v30
	v_cmp_gt_u32_e32 vcc, 8, v23
	v_cndmask_b32_e32 v22, v28, v22, vcc
	v_cndmask_b32_e32 v23, v24, v30, vcc
	v_lshlrev_b32_e32 v24, 16, v14
	v_bfrev_b32_e32 v28, 60
	v_lshlrev_b32_e32 v23, 20, v23
	v_and_b32_e32 v24, 0x80000000, v24
	v_lshl_add_u32 v22, v22, 23, v28
	v_or3_b32 v22, v24, v22, v23
	v_lshrrev_b32_e32 v28, 16, v22
.LBB735_414:
	s_or_b64 exec, exec, s[8:9]
.LBB735_415:
	s_or_b64 exec, exec, s[6:7]
.LBB735_416:
	s_or_b64 exec, exec, s[0:1]
	s_movk_i32 s0, 0xff
	v_and_b32_sdwa v24, v14, s0 dst_sel:DWORD dst_unused:UNUSED_PAD src0_sel:WORD_1 src1_sel:DWORD
	v_lshrrev_b32_e32 v22, 16, v14
	v_cmp_ne_u16_e32 vcc, 0, v24
	v_mov_b32_e32 v23, 0
	v_mov_b32_e32 v30, 0
	s_and_saveexec_b64 s[0:1], vcc
	s_cbranch_execz .LBB735_422
; %bb.417:
	s_movk_i32 s3, 0x80
	v_cmp_ne_u16_e32 vcc, s3, v24
	v_mov_b32_e32 v30, 0xffff8000
	s_and_saveexec_b64 s[6:7], vcc
	s_cbranch_execz .LBB735_421
; %bb.418:
	v_bfe_u32 v24, v14, 16, 7
	s_movk_i32 s3, 0x7f
	v_cmp_ne_u32_e32 vcc, s3, v24
	v_mov_b32_e32 v30, 0x7f80
	s_and_saveexec_b64 s[8:9], vcc
	s_cbranch_execz .LBB735_420
; %bb.419:
	v_and_b32_e32 v32, 7, v22
	v_ffbh_u32_e32 v30, v32
	v_min_u32_e32 v34, 32, v30
	v_subrev_u32_e32 v30, 28, v34
	v_lshlrev_b64 v[30:31], v30, v[22:23]
	v_and_b32_e32 v30, 7, v30
	v_cmp_gt_u32_e32 vcc, 8, v24
	v_lshrrev_b32_e32 v33, 3, v24
	v_sub_u32_e32 v22, 29, v34
	v_cndmask_b32_e32 v24, v32, v30, vcc
	v_mov_b32_e32 v30, 24
	v_cndmask_b32_e32 v22, v33, v22, vcc
	v_lshlrev_b32_sdwa v30, v30, v14 dst_sel:DWORD dst_unused:UNUSED_PAD src0_sel:DWORD src1_sel:WORD_1
	v_bfrev_b32_e32 v31, 60
	v_lshlrev_b32_e32 v24, 20, v24
	v_and_b32_e32 v30, 0x80000000, v30
	v_lshl_add_u32 v22, v22, 23, v31
	v_or3_b32 v22, v30, v22, v24
	v_lshrrev_b32_e32 v30, 16, v22
.LBB735_420:
	s_or_b64 exec, exec, s[8:9]
.LBB735_421:
	s_or_b64 exec, exec, s[6:7]
.LBB735_422:
	s_or_b64 exec, exec, s[0:1]
	s_mov_b32 s0, 0xffffff
	v_cmp_lt_u32_e32 vcc, s0, v14
	v_mov_b32_e32 v31, 0
	s_and_saveexec_b64 s[0:1], vcc
	s_cbranch_execz .LBB735_428
; %bb.423:
	v_lshrrev_b32_e32 v22, 24, v14
	s_movk_i32 s3, 0x80
	v_cmp_ne_u32_e32 vcc, s3, v22
	v_mov_b32_e32 v31, 0xffff8000
	s_and_saveexec_b64 s[6:7], vcc
	s_cbranch_execz .LBB735_427
; %bb.424:
	v_bfe_u32 v24, v14, 24, 7
	s_movk_i32 s3, 0x7f
	v_cmp_ne_u32_e32 vcc, s3, v24
	v_mov_b32_e32 v31, 0x7f80
	s_and_saveexec_b64 s[8:9], vcc
	s_cbranch_execz .LBB735_426
; %bb.425:
	v_and_b32_e32 v31, 7, v22
	v_ffbh_u32_e32 v32, v31
	v_min_u32_e32 v35, 32, v32
	v_subrev_u32_e32 v32, 28, v35
	v_lshlrev_b64 v[32:33], v32, v[22:23]
	v_lshrrev_b32_e32 v34, 3, v24
	v_sub_u32_e32 v33, 29, v35
	v_and_b32_e32 v32, 7, v32
	v_cmp_gt_u32_e32 vcc, 8, v24
	v_cndmask_b32_e32 v24, v34, v33, vcc
	v_cndmask_b32_e32 v31, v31, v32, vcc
	v_lshlrev_b32_e32 v22, 24, v22
	v_bfrev_b32_e32 v32, 60
	v_lshlrev_b32_e32 v31, 20, v31
	v_and_b32_e32 v22, 0x80000000, v22
	v_lshl_add_u32 v24, v24, 23, v32
	v_or3_b32 v22, v22, v24, v31
	v_lshrrev_b32_e32 v31, 16, v22
.LBB735_426:
	s_or_b64 exec, exec, s[8:9]
.LBB735_427:
	s_or_b64 exec, exec, s[6:7]
.LBB735_428:
	s_or_b64 exec, exec, s[0:1]
	v_mov_b32_e32 v32, 0
	v_mov_b32_e32 v22, v15
	v_cmp_ne_u16_sdwa s[6:7], v15, v32 src0_sel:BYTE_0 src1_sel:DWORD
	v_mov_b32_e32 v33, 0
	s_and_saveexec_b64 s[0:1], s[6:7]
	s_cbranch_execz .LBB735_434
; %bb.429:
	s_movk_i32 s3, 0x80
	v_cmp_ne_u16_sdwa s[8:9], v15, s3 src0_sel:BYTE_0 src1_sel:DWORD
	v_mov_b32_e32 v33, 0xffff8000
	s_and_saveexec_b64 s[6:7], s[8:9]
	s_cbranch_execz .LBB735_433
; %bb.430:
	s_movk_i32 s3, 0x7f
	v_and_b32_e32 v24, 0x7f, v15
	v_cmp_ne_u32_e32 vcc, s3, v24
	v_mov_b32_e32 v33, 0x7f80
	s_and_saveexec_b64 s[8:9], vcc
	s_cbranch_execz .LBB735_432
; %bb.431:
	v_and_b32_e32 v33, 7, v15
	v_ffbh_u32_e32 v33, v33
	v_min_u32_e32 v33, 32, v33
	v_lshrrev_b32_e32 v34, 3, v24
	v_subrev_u32_e32 v35, 28, v33
	v_sub_u32_e32 v33, 29, v33
	v_cmp_gt_u32_e32 vcc, 8, v24
	v_cndmask_b32_e32 v24, v34, v33, vcc
	v_cndmask_b32_e32 v33, 0, v35, vcc
	v_lshlrev_b64 v[34:35], v33, v[22:23]
	v_lshlrev_b32_e32 v23, 20, v34
	v_lshlrev_b32_e32 v33, 24, v22
	v_bfrev_b32_e32 v34, 60
	v_and_b32_e32 v23, 0x700000, v23
	v_and_b32_e32 v33, 0x80000000, v33
	v_lshl_add_u32 v24, v24, 23, v34
	v_or3_b32 v23, v33, v24, v23
	v_lshrrev_b32_e32 v33, 16, v23
.LBB735_432:
	s_or_b64 exec, exec, s[8:9]
.LBB735_433:
	s_or_b64 exec, exec, s[6:7]
.LBB735_434:
	s_or_b64 exec, exec, s[0:1]
	v_lshrrev_b16_e32 v24, 8, v22
	v_cmp_ne_u16_e32 vcc, 0, v24
	s_and_saveexec_b64 s[0:1], vcc
	s_cbranch_execz .LBB735_440
; %bb.435:
	s_movk_i32 s3, 0x80
	v_cmp_ne_u16_e32 vcc, s3, v24
	v_mov_b32_e32 v32, 0xffff8000
	s_and_saveexec_b64 s[6:7], vcc
	s_cbranch_execz .LBB735_439
; %bb.436:
	s_movk_i32 s3, 0x7f
	v_and_b32_e32 v23, 0x7f, v24
	v_cmp_ne_u32_e32 vcc, s3, v23
	v_mov_b32_e32 v32, 0x7f80
	s_and_saveexec_b64 s[8:9], vcc
	s_cbranch_execz .LBB735_438
; %bb.437:
	v_and_b32_e32 v32, 7, v24
	v_ffbh_u32_e32 v34, v32
	v_min_u32_e32 v37, 32, v34
	v_subrev_u32_e32 v34, 28, v37
	v_lshlrev_b64 v[34:35], v34, v[24:25]
	v_lshrrev_b32_e32 v36, 3, v23
	v_sub_u32_e32 v24, 29, v37
	v_and_b32_e32 v34, 7, v34
	v_cmp_gt_u32_e32 vcc, 8, v23
	v_cndmask_b32_e32 v23, v36, v24, vcc
	v_cndmask_b32_e32 v24, v32, v34, vcc
	v_lshlrev_b32_e32 v22, 16, v22
	v_bfrev_b32_e32 v32, 60
	v_lshlrev_b32_e32 v24, 20, v24
	v_and_b32_e32 v22, 0x80000000, v22
	v_lshl_add_u32 v23, v23, 23, v32
	v_or3_b32 v22, v22, v23, v24
	v_lshrrev_b32_e32 v32, 16, v22
.LBB735_438:
	s_or_b64 exec, exec, s[8:9]
.LBB735_439:
	s_or_b64 exec, exec, s[6:7]
.LBB735_440:
	s_or_b64 exec, exec, s[0:1]
	s_movk_i32 s0, 0xff
	v_and_b32_sdwa v34, v15, s0 dst_sel:DWORD dst_unused:UNUSED_PAD src0_sel:WORD_1 src1_sel:DWORD
	v_lshrrev_b32_e32 v22, 16, v15
	v_cmp_ne_u16_e32 vcc, 0, v34
	v_mov_b32_e32 v23, 0
	v_mov_b32_e32 v24, 0
	s_and_saveexec_b64 s[0:1], vcc
	s_cbranch_execz .LBB735_446
; %bb.441:
	s_movk_i32 s3, 0x80
	v_cmp_ne_u16_e32 vcc, s3, v34
	v_mov_b32_e32 v24, 0xffff8000
	s_and_saveexec_b64 s[6:7], vcc
	s_cbranch_execz .LBB735_445
; %bb.442:
	v_bfe_u32 v34, v15, 16, 7
	s_movk_i32 s3, 0x7f
	v_cmp_ne_u32_e32 vcc, s3, v34
	v_mov_b32_e32 v24, 0x7f80
	s_and_saveexec_b64 s[8:9], vcc
	s_cbranch_execz .LBB735_444
; %bb.443:
	v_and_b32_e32 v24, 7, v22
	v_ffbh_u32_e32 v36, v24
	v_min_u32_e32 v38, 32, v36
	v_subrev_u32_e32 v36, 28, v38
	v_lshlrev_b64 v[36:37], v36, v[22:23]
	v_lshrrev_b32_e32 v35, 3, v34
	v_sub_u32_e32 v22, 29, v38
	v_and_b32_e32 v36, 7, v36
	v_cmp_gt_u32_e32 vcc, 8, v34
	v_mov_b32_e32 v34, 24
	v_cndmask_b32_e32 v22, v35, v22, vcc
	v_cndmask_b32_e32 v24, v24, v36, vcc
	v_lshlrev_b32_sdwa v34, v34, v15 dst_sel:DWORD dst_unused:UNUSED_PAD src0_sel:DWORD src1_sel:WORD_1
	v_bfrev_b32_e32 v35, 60
	v_lshlrev_b32_e32 v24, 20, v24
	v_and_b32_e32 v34, 0x80000000, v34
	v_lshl_add_u32 v22, v22, 23, v35
	v_or3_b32 v22, v34, v22, v24
	v_lshrrev_b32_e32 v24, 16, v22
.LBB735_444:
	s_or_b64 exec, exec, s[8:9]
.LBB735_445:
	s_or_b64 exec, exec, s[6:7]
.LBB735_446:
	s_or_b64 exec, exec, s[0:1]
	s_mov_b32 s0, -1
	s_mov_b32 s1, 0xffffff
	v_cmp_lt_u64_e32 vcc, s[0:1], v[14:15]
	s_and_saveexec_b64 s[0:1], vcc
	s_cbranch_execz .LBB735_452
; %bb.447:
	v_lshrrev_b32_e32 v14, 24, v15
	s_movk_i32 s3, 0x80
	v_cmp_ne_u32_e32 vcc, s3, v14
	v_mov_b32_e32 v23, 0xffff8000
	s_and_saveexec_b64 s[6:7], vcc
	s_cbranch_execz .LBB735_451
; %bb.448:
	v_bfe_u32 v15, v15, 24, 7
	s_movk_i32 s3, 0x7f
	v_cmp_ne_u32_e32 vcc, s3, v15
	v_mov_b32_e32 v23, 0x7f80
	s_and_saveexec_b64 s[8:9], vcc
	s_cbranch_execz .LBB735_450
; %bb.449:
	v_and_b32_e32 v34, 7, v14
	v_ffbh_u32_e32 v22, v34
	v_min_u32_e32 v36, 32, v22
	v_subrev_u32_e32 v22, 28, v36
	v_lshlrev_b64 v[22:23], v22, v[14:15]
	v_lshrrev_b32_e32 v35, 3, v15
	v_sub_u32_e32 v23, 29, v36
	v_and_b32_e32 v22, 7, v22
	v_cmp_gt_u32_e32 vcc, 8, v15
	v_cndmask_b32_e32 v15, v35, v23, vcc
	v_cndmask_b32_e32 v22, v34, v22, vcc
	v_lshlrev_b32_e32 v14, 24, v14
	v_bfrev_b32_e32 v23, 60
	v_lshlrev_b32_e32 v22, 20, v22
	v_and_b32_e32 v14, 0x80000000, v14
	v_lshl_add_u32 v15, v15, 23, v23
	v_or3_b32 v14, v14, v15, v22
	v_lshrrev_b32_e32 v23, 16, v14
.LBB735_450:
	s_or_b64 exec, exec, s[8:9]
.LBB735_451:
	s_or_b64 exec, exec, s[6:7]
.LBB735_452:
	s_or_b64 exec, exec, s[0:1]
	v_add_f32_e32 v14, 0x358637bd, v27
	v_div_scale_f32 v15, s[0:1], v14, v14, 1.0
	v_rcp_f32_e32 v22, v15
	v_div_scale_f32 v27, vcc, 1.0, v14, 1.0
	v_sub_f32_e32 v25, v25, v26
	v_fma_f32 v34, -v15, v22, 1.0
	v_fmac_f32_e32 v22, v34, v22
	v_mul_f32_e32 v34, v27, v22
	v_fma_f32 v35, -v15, v34, v27
	v_mul_f32_e32 v25, 0x3fb8aa3b, v25
	v_fmac_f32_e32 v34, v35, v22
	v_exp_f32_e32 v25, v25
	v_fma_f32 v15, -v15, v34, v27
	v_div_fmas_f32 v15, v15, v22, v34
	v_div_fixup_f32 v14, v15, v14, 1.0
	v_mul_f32_e32 v14, v25, v14
	v_pk_mul_f32 v[20:21], v[20:21], v[14:15] op_sel_hi:[1,0]
	v_pk_mul_f32 v[14:15], v[18:19], v[14:15] op_sel_hi:[1,0]
	v_bfe_u32 v18, v15, 16, 1
	v_bfe_u32 v19, v14, 16, 1
	s_movk_i32 s0, 0x7fff
	v_add3_u32 v14, v14, v19, s0
	v_add3_u32 v15, v15, v18, s0
	s_mov_b32 s1, 0x7060302
	v_perm_b32 v14, v15, v14, s1
	v_bfe_u32 v15, v21, 16, 1
	v_bfe_u32 v18, v20, 16, 1
	v_add3_u32 v18, v20, v18, s0
	v_add3_u32 v15, v21, v15, s0
	v_perm_b32 v15, v15, v18, s1
	s_mov_b32 s0, 0x5040100
	v_perm_b32 v19, v31, v30, s0
	v_perm_b32 v18, v28, v29, s0
	;; [unrolled: 1-line block ×4, first 2 shown]
	v_mfma_f32_4x4x4bf16_1k a[0:3], v[14:15], v[18:19], 0 cbsz:4
	v_mov_b32_e32 v21, 0
	v_mfma_f32_4x4x4bf16_1k a[0:3], v[14:15], v[22:23], a[0:3] cbsz:4 abid:1
	v_mov_b32_e32 v22, 0
	v_cmp_ne_u16_sdwa s[6:7], v16, v22 src0_sel:BYTE_0 src1_sel:DWORD
	s_and_saveexec_b64 s[0:1], s[6:7]
	s_cbranch_execz .LBB735_458
; %bb.453:
	s_movk_i32 s3, 0x80
	v_cmp_ne_u16_sdwa s[8:9], v16, s3 src0_sel:BYTE_0 src1_sel:DWORD
	v_mov_b32_e32 v21, 0xffff8000
	s_and_saveexec_b64 s[6:7], s[8:9]
	s_cbranch_execz .LBB735_457
; %bb.454:
	s_movk_i32 s3, 0x7f
	v_and_b32_e32 v18, 0x7f, v16
	v_cmp_ne_u32_e32 vcc, s3, v18
	v_mov_b32_e32 v21, 0x7f80
	s_and_saveexec_b64 s[8:9], vcc
	s_cbranch_execz .LBB735_456
; %bb.455:
	v_and_b32_e32 v19, 7, v16
	v_ffbh_u32_e32 v19, v19
	v_min_u32_e32 v19, 32, v19
	v_subrev_u32_e32 v21, 28, v19
	v_cmp_gt_u32_e32 vcc, 8, v18
	v_lshrrev_b32_e32 v20, 3, v18
	v_sub_u32_e32 v19, 29, v19
	v_cndmask_b32_e32 v18, 0, v21, vcc
	v_cndmask_b32_e32 v20, v20, v19, vcc
	v_lshlrev_b64 v[18:19], v18, v[16:17]
	v_lshlrev_b32_e32 v18, 20, v18
	v_lshlrev_b32_e32 v19, 24, v16
	v_bfrev_b32_e32 v21, 60
	v_and_b32_e32 v18, 0x700000, v18
	v_and_b32_e32 v19, 0x80000000, v19
	v_lshl_add_u32 v20, v20, 23, v21
	v_or3_b32 v18, v19, v20, v18
	v_lshrrev_b32_e32 v21, 16, v18
.LBB735_456:
	s_or_b64 exec, exec, s[8:9]
.LBB735_457:
	s_or_b64 exec, exec, s[6:7]
.LBB735_458:
	s_or_b64 exec, exec, s[0:1]
	v_lshrrev_b16_e32 v18, 8, v16
	v_cmp_ne_u16_e32 vcc, 0, v18
	s_and_saveexec_b64 s[0:1], vcc
	s_cbranch_execz .LBB735_464
; %bb.459:
	s_movk_i32 s3, 0x80
	v_cmp_ne_u16_e32 vcc, s3, v18
	v_mov_b32_e32 v22, 0xffff8000
	s_and_saveexec_b64 s[6:7], vcc
	s_cbranch_execz .LBB735_463
; %bb.460:
	s_movk_i32 s3, 0x7f
	v_and_b32_e32 v19, 0x7f, v18
	v_cmp_ne_u32_e32 vcc, s3, v19
	v_mov_b32_e32 v22, 0x7f80
	s_and_saveexec_b64 s[8:9], vcc
	s_cbranch_execz .LBB735_462
; %bb.461:
	v_and_b32_e32 v20, 7, v18
	v_ffbh_u32_e32 v22, v20
	v_min_u32_e32 v25, 32, v22
	v_subrev_u32_e32 v22, 28, v25
	v_lshlrev_b64 v[22:23], v22, v[18:19]
	v_lshrrev_b32_e32 v24, 3, v19
	v_sub_u32_e32 v18, 29, v25
	v_and_b32_e32 v22, 7, v22
	v_cmp_gt_u32_e32 vcc, 8, v19
	v_cndmask_b32_e32 v18, v24, v18, vcc
	v_cndmask_b32_e32 v19, v20, v22, vcc
	v_lshlrev_b32_e32 v20, 16, v16
	v_bfrev_b32_e32 v22, 60
	v_lshlrev_b32_e32 v19, 20, v19
	v_and_b32_e32 v20, 0x80000000, v20
	v_lshl_add_u32 v18, v18, 23, v22
	v_or3_b32 v18, v20, v18, v19
	v_lshrrev_b32_e32 v22, 16, v18
.LBB735_462:
	s_or_b64 exec, exec, s[8:9]
.LBB735_463:
	s_or_b64 exec, exec, s[6:7]
.LBB735_464:
	s_or_b64 exec, exec, s[0:1]
	s_movk_i32 s0, 0xff
	v_and_b32_sdwa v20, v16, s0 dst_sel:DWORD dst_unused:UNUSED_PAD src0_sel:WORD_1 src1_sel:DWORD
	v_lshrrev_b32_e32 v18, 16, v16
	v_cmp_ne_u16_e32 vcc, 0, v20
	v_mov_b32_e32 v19, 0
	v_mov_b32_e32 v23, 0
	s_and_saveexec_b64 s[0:1], vcc
	s_cbranch_execz .LBB735_470
; %bb.465:
	s_movk_i32 s3, 0x80
	v_cmp_ne_u16_e32 vcc, s3, v20
	v_mov_b32_e32 v23, 0xffff8000
	s_and_saveexec_b64 s[6:7], vcc
	s_cbranch_execz .LBB735_469
; %bb.466:
	v_bfe_u32 v20, v16, 16, 7
	s_movk_i32 s3, 0x7f
	v_cmp_ne_u32_e32 vcc, s3, v20
	v_mov_b32_e32 v23, 0x7f80
	s_and_saveexec_b64 s[8:9], vcc
	s_cbranch_execz .LBB735_468
; %bb.467:
	v_and_b32_e32 v23, 7, v18
	v_ffbh_u32_e32 v24, v23
	v_min_u32_e32 v27, 32, v24
	v_subrev_u32_e32 v24, 28, v27
	v_lshlrev_b64 v[24:25], v24, v[18:19]
	v_and_b32_e32 v24, 7, v24
	v_cmp_gt_u32_e32 vcc, 8, v20
	v_lshrrev_b32_e32 v26, 3, v20
	v_sub_u32_e32 v18, 29, v27
	v_cndmask_b32_e32 v20, v23, v24, vcc
	v_mov_b32_e32 v23, 24
	v_cndmask_b32_e32 v18, v26, v18, vcc
	v_lshlrev_b32_sdwa v23, v23, v16 dst_sel:DWORD dst_unused:UNUSED_PAD src0_sel:DWORD src1_sel:WORD_1
	v_bfrev_b32_e32 v24, 60
	v_lshlrev_b32_e32 v20, 20, v20
	v_and_b32_e32 v23, 0x80000000, v23
	v_lshl_add_u32 v18, v18, 23, v24
	v_or3_b32 v18, v23, v18, v20
	v_lshrrev_b32_e32 v23, 16, v18
.LBB735_468:
	s_or_b64 exec, exec, s[8:9]
.LBB735_469:
	s_or_b64 exec, exec, s[6:7]
.LBB735_470:
	s_or_b64 exec, exec, s[0:1]
	s_mov_b32 s0, 0xffffff
	v_cmp_lt_u32_e32 vcc, s0, v16
	v_mov_b32_e32 v24, 0
	s_and_saveexec_b64 s[0:1], vcc
	s_cbranch_execz .LBB735_476
; %bb.471:
	v_lshrrev_b32_e32 v18, 24, v16
	s_movk_i32 s3, 0x80
	v_cmp_ne_u32_e32 vcc, s3, v18
	v_mov_b32_e32 v24, 0xffff8000
	s_and_saveexec_b64 s[6:7], vcc
	s_cbranch_execz .LBB735_475
; %bb.472:
	v_bfe_u32 v20, v16, 24, 7
	s_movk_i32 s3, 0x7f
	v_cmp_ne_u32_e32 vcc, s3, v20
	v_mov_b32_e32 v24, 0x7f80
	s_and_saveexec_b64 s[8:9], vcc
	s_cbranch_execz .LBB735_474
; %bb.473:
	v_and_b32_e32 v26, 7, v18
	v_ffbh_u32_e32 v24, v26
	v_min_u32_e32 v28, 32, v24
	v_subrev_u32_e32 v24, 28, v28
	v_lshlrev_b64 v[24:25], v24, v[18:19]
	v_lshrrev_b32_e32 v27, 3, v20
	v_sub_u32_e32 v25, 29, v28
	v_and_b32_e32 v24, 7, v24
	v_cmp_gt_u32_e32 vcc, 8, v20
	v_cndmask_b32_e32 v20, v27, v25, vcc
	v_cndmask_b32_e32 v24, v26, v24, vcc
	v_lshlrev_b32_e32 v18, 24, v18
	v_bfrev_b32_e32 v25, 60
	v_lshlrev_b32_e32 v24, 20, v24
	v_and_b32_e32 v18, 0x80000000, v18
	v_lshl_add_u32 v20, v20, 23, v25
	v_or3_b32 v18, v18, v20, v24
	v_lshrrev_b32_e32 v24, 16, v18
.LBB735_474:
	s_or_b64 exec, exec, s[8:9]
.LBB735_475:
	s_or_b64 exec, exec, s[6:7]
.LBB735_476:
	s_or_b64 exec, exec, s[0:1]
	v_mov_b32_e32 v25, 0
	v_mov_b32_e32 v18, v17
	v_cmp_ne_u16_sdwa s[6:7], v17, v25 src0_sel:BYTE_0 src1_sel:DWORD
	v_mov_b32_e32 v26, 0
	s_and_saveexec_b64 s[0:1], s[6:7]
	s_cbranch_execz .LBB735_482
; %bb.477:
	s_movk_i32 s3, 0x80
	v_cmp_ne_u16_sdwa s[8:9], v17, s3 src0_sel:BYTE_0 src1_sel:DWORD
	v_mov_b32_e32 v26, 0xffff8000
	s_and_saveexec_b64 s[6:7], s[8:9]
	s_cbranch_execz .LBB735_481
; %bb.478:
	s_movk_i32 s3, 0x7f
	v_and_b32_e32 v20, 0x7f, v17
	v_cmp_ne_u32_e32 vcc, s3, v20
	v_mov_b32_e32 v26, 0x7f80
	s_and_saveexec_b64 s[8:9], vcc
	s_cbranch_execz .LBB735_480
; %bb.479:
	v_and_b32_e32 v26, 7, v17
	v_ffbh_u32_e32 v26, v26
	v_min_u32_e32 v26, 32, v26
	v_lshrrev_b32_e32 v27, 3, v20
	v_subrev_u32_e32 v28, 28, v26
	v_sub_u32_e32 v26, 29, v26
	v_cmp_gt_u32_e32 vcc, 8, v20
	v_cndmask_b32_e32 v20, v27, v26, vcc
	v_cndmask_b32_e32 v26, 0, v28, vcc
	v_lshlrev_b64 v[26:27], v26, v[18:19]
	v_lshlrev_b32_e32 v19, 20, v26
	v_lshlrev_b32_e32 v26, 24, v18
	v_bfrev_b32_e32 v27, 60
	v_and_b32_e32 v19, 0x700000, v19
	v_and_b32_e32 v26, 0x80000000, v26
	v_lshl_add_u32 v20, v20, 23, v27
	v_or3_b32 v19, v26, v20, v19
	v_lshrrev_b32_e32 v26, 16, v19
.LBB735_480:
	s_or_b64 exec, exec, s[8:9]
.LBB735_481:
	s_or_b64 exec, exec, s[6:7]
.LBB735_482:
	s_or_b64 exec, exec, s[0:1]
	v_lshrrev_b16_e32 v20, 8, v18
	v_cmp_ne_u16_e32 vcc, 0, v20
	s_and_saveexec_b64 s[0:1], vcc
	s_cbranch_execz .LBB735_488
; %bb.483:
	s_movk_i32 s3, 0x80
	v_cmp_ne_u16_e32 vcc, s3, v20
	v_mov_b32_e32 v25, 0xffff8000
	s_and_saveexec_b64 s[6:7], vcc
	s_cbranch_execz .LBB735_487
; %bb.484:
	s_movk_i32 s3, 0x7f
	v_and_b32_e32 v19, 0x7f, v20
	v_cmp_ne_u32_e32 vcc, s3, v19
	v_mov_b32_e32 v25, 0x7f80
	s_and_saveexec_b64 s[8:9], vcc
	s_cbranch_execz .LBB735_486
; %bb.485:
	v_and_b32_e32 v25, 7, v20
	v_ffbh_u32_e32 v28, v25
	v_min_u32_e32 v30, 32, v28
	v_subrev_u32_e32 v28, 28, v30
	v_lshlrev_b64 v[28:29], v28, v[20:21]
	v_lshrrev_b32_e32 v27, 3, v19
	v_sub_u32_e32 v20, 29, v30
	v_and_b32_e32 v28, 7, v28
	v_cmp_gt_u32_e32 vcc, 8, v19
	v_cndmask_b32_e32 v19, v27, v20, vcc
	v_cndmask_b32_e32 v20, v25, v28, vcc
	v_lshlrev_b32_e32 v18, 16, v18
	v_bfrev_b32_e32 v25, 60
	v_lshlrev_b32_e32 v20, 20, v20
	v_and_b32_e32 v18, 0x80000000, v18
	v_lshl_add_u32 v19, v19, 23, v25
	v_or3_b32 v18, v18, v19, v20
	v_lshrrev_b32_e32 v25, 16, v18
.LBB735_486:
	s_or_b64 exec, exec, s[8:9]
.LBB735_487:
	s_or_b64 exec, exec, s[6:7]
.LBB735_488:
	s_or_b64 exec, exec, s[0:1]
	s_movk_i32 s0, 0xff
	v_and_b32_sdwa v27, v17, s0 dst_sel:DWORD dst_unused:UNUSED_PAD src0_sel:WORD_1 src1_sel:DWORD
	v_lshrrev_b32_e32 v18, 16, v17
	v_cmp_ne_u16_e32 vcc, 0, v27
	v_mov_b32_e32 v19, 0
	v_mov_b32_e32 v20, 0
	s_and_saveexec_b64 s[0:1], vcc
	s_cbranch_execz .LBB735_494
; %bb.489:
	s_movk_i32 s3, 0x80
	v_cmp_ne_u16_e32 vcc, s3, v27
	v_mov_b32_e32 v20, 0xffff8000
	s_and_saveexec_b64 s[6:7], vcc
	s_cbranch_execz .LBB735_493
; %bb.490:
	v_bfe_u32 v27, v17, 16, 7
	s_movk_i32 s3, 0x7f
	v_cmp_ne_u32_e32 vcc, s3, v27
	v_mov_b32_e32 v20, 0x7f80
	s_and_saveexec_b64 s[8:9], vcc
	s_cbranch_execz .LBB735_492
; %bb.491:
	v_and_b32_e32 v20, 7, v18
	v_ffbh_u32_e32 v28, v20
	v_min_u32_e32 v31, 32, v28
	v_subrev_u32_e32 v28, 28, v31
	v_lshlrev_b64 v[28:29], v28, v[18:19]
	v_lshrrev_b32_e32 v30, 3, v27
	v_sub_u32_e32 v18, 29, v31
	v_and_b32_e32 v28, 7, v28
	v_cmp_gt_u32_e32 vcc, 8, v27
	v_mov_b32_e32 v27, 24
	v_cndmask_b32_e32 v18, v30, v18, vcc
	v_cndmask_b32_e32 v20, v20, v28, vcc
	v_lshlrev_b32_sdwa v27, v27, v17 dst_sel:DWORD dst_unused:UNUSED_PAD src0_sel:DWORD src1_sel:WORD_1
	v_bfrev_b32_e32 v28, 60
	v_lshlrev_b32_e32 v20, 20, v20
	v_and_b32_e32 v27, 0x80000000, v27
	v_lshl_add_u32 v18, v18, 23, v28
	v_or3_b32 v18, v27, v18, v20
	v_lshrrev_b32_e32 v20, 16, v18
.LBB735_492:
	s_or_b64 exec, exec, s[8:9]
.LBB735_493:
	s_or_b64 exec, exec, s[6:7]
.LBB735_494:
	s_or_b64 exec, exec, s[0:1]
	s_mov_b32 s0, -1
	s_mov_b32 s1, 0xffffff
	v_cmp_lt_u64_e32 vcc, s[0:1], v[16:17]
	s_and_saveexec_b64 s[0:1], vcc
	s_cbranch_execz .LBB735_500
; %bb.495:
	v_lshrrev_b32_e32 v16, 24, v17
	s_movk_i32 s3, 0x80
	v_cmp_ne_u32_e32 vcc, s3, v16
	v_mov_b32_e32 v19, 0xffff8000
	s_and_saveexec_b64 s[6:7], vcc
	s_cbranch_execz .LBB735_499
; %bb.496:
	v_bfe_u32 v17, v17, 24, 7
	s_movk_i32 s3, 0x7f
	v_cmp_ne_u32_e32 vcc, s3, v17
	v_mov_b32_e32 v19, 0x7f80
	s_and_saveexec_b64 s[8:9], vcc
	s_cbranch_execz .LBB735_498
; %bb.497:
	v_and_b32_e32 v27, 7, v16
	v_ffbh_u32_e32 v18, v27
	v_min_u32_e32 v29, 32, v18
	v_subrev_u32_e32 v18, 28, v29
	v_lshlrev_b64 v[18:19], v18, v[16:17]
	v_lshrrev_b32_e32 v28, 3, v17
	v_sub_u32_e32 v19, 29, v29
	v_and_b32_e32 v18, 7, v18
	v_cmp_gt_u32_e32 vcc, 8, v17
	v_cndmask_b32_e32 v17, v28, v19, vcc
	v_cndmask_b32_e32 v18, v27, v18, vcc
	v_lshlrev_b32_e32 v16, 24, v16
	v_bfrev_b32_e32 v19, 60
	v_lshlrev_b32_e32 v18, 20, v18
	v_and_b32_e32 v16, 0x80000000, v16
	v_lshl_add_u32 v17, v17, 23, v19
	v_or3_b32 v16, v16, v17, v18
	v_lshrrev_b32_e32 v19, 16, v16
.LBB735_498:
	s_or_b64 exec, exec, s[8:9]
.LBB735_499:
	s_or_b64 exec, exec, s[6:7]
.LBB735_500:
	s_or_b64 exec, exec, s[0:1]
	s_mov_b32 s0, 0x5040100
	v_perm_b32 v17, v24, v23, s0
	v_perm_b32 v16, v22, v21, s0
	;; [unrolled: 1-line block ×4, first 2 shown]
	v_mfma_f32_4x4x4bf16_1k a[0:3], v[14:15], v[16:17], a[0:3] cbsz:4 abid:2
	v_mov_b32_e32 v20, 0
	v_mfma_f32_4x4x4bf16_1k a[0:3], v[14:15], v[18:19], a[0:3] cbsz:4 abid:3
	v_mov_b32_e32 v19, 0
	v_cmp_ne_u16_sdwa s[6:7], v10, v19 src0_sel:BYTE_0 src1_sel:DWORD
	s_and_saveexec_b64 s[0:1], s[6:7]
	s_cbranch_execz .LBB735_506
; %bb.501:
	s_movk_i32 s3, 0x80
	v_cmp_ne_u16_sdwa s[8:9], v10, s3 src0_sel:BYTE_0 src1_sel:DWORD
	v_mov_b32_e32 v20, 0xffff8000
	s_and_saveexec_b64 s[6:7], s[8:9]
	s_cbranch_execz .LBB735_505
; %bb.502:
	s_movk_i32 s3, 0x7f
	v_and_b32_e32 v16, 0x7f, v10
	v_cmp_ne_u32_e32 vcc, s3, v16
	v_mov_b32_e32 v20, 0x7f80
	s_and_saveexec_b64 s[8:9], vcc
	s_cbranch_execz .LBB735_504
; %bb.503:
	v_and_b32_e32 v17, 7, v10
	v_ffbh_u32_e32 v17, v17
	v_min_u32_e32 v17, 32, v17
	v_subrev_u32_e32 v20, 28, v17
	v_cmp_gt_u32_e32 vcc, 8, v16
	v_lshrrev_b32_e32 v18, 3, v16
	v_sub_u32_e32 v17, 29, v17
	v_cndmask_b32_e32 v16, 0, v20, vcc
	v_cndmask_b32_e32 v18, v18, v17, vcc
	v_lshlrev_b64 v[16:17], v16, v[10:11]
	v_lshlrev_b32_e32 v16, 20, v16
	v_lshlrev_b32_e32 v17, 24, v10
	v_bfrev_b32_e32 v20, 60
	v_and_b32_e32 v16, 0x700000, v16
	v_and_b32_e32 v17, 0x80000000, v17
	v_lshl_add_u32 v18, v18, 23, v20
	v_or3_b32 v16, v17, v18, v16
	v_lshrrev_b32_e32 v20, 16, v16
.LBB735_504:
	s_or_b64 exec, exec, s[8:9]
.LBB735_505:
	s_or_b64 exec, exec, s[6:7]
.LBB735_506:
	s_or_b64 exec, exec, s[0:1]
	v_lshrrev_b16_e32 v16, 8, v10
	v_cmp_ne_u16_e32 vcc, 0, v16
	s_and_saveexec_b64 s[0:1], vcc
	s_cbranch_execz .LBB735_512
; %bb.507:
	s_movk_i32 s3, 0x80
	v_cmp_ne_u16_e32 vcc, s3, v16
	v_mov_b32_e32 v19, 0xffff8000
	s_and_saveexec_b64 s[6:7], vcc
	s_cbranch_execz .LBB735_511
; %bb.508:
	s_movk_i32 s3, 0x7f
	v_and_b32_e32 v17, 0x7f, v16
	v_cmp_ne_u32_e32 vcc, s3, v17
	v_mov_b32_e32 v19, 0x7f80
	s_and_saveexec_b64 s[8:9], vcc
	s_cbranch_execz .LBB735_510
; %bb.509:
	v_and_b32_e32 v21, 7, v16
	v_ffbh_u32_e32 v18, v21
	v_min_u32_e32 v23, 32, v18
	v_subrev_u32_e32 v18, 28, v23
	v_lshlrev_b64 v[18:19], v18, v[16:17]
	v_lshrrev_b32_e32 v22, 3, v17
	v_sub_u32_e32 v16, 29, v23
	v_and_b32_e32 v18, 7, v18
	v_cmp_gt_u32_e32 vcc, 8, v17
	v_cndmask_b32_e32 v16, v22, v16, vcc
	v_cndmask_b32_e32 v17, v21, v18, vcc
	v_lshlrev_b32_e32 v18, 16, v10
	v_bfrev_b32_e32 v19, 60
	v_lshlrev_b32_e32 v17, 20, v17
	v_and_b32_e32 v18, 0x80000000, v18
	v_lshl_add_u32 v16, v16, 23, v19
	v_or3_b32 v16, v18, v16, v17
	v_lshrrev_b32_e32 v19, 16, v16
.LBB735_510:
	s_or_b64 exec, exec, s[8:9]
.LBB735_511:
	s_or_b64 exec, exec, s[6:7]
.LBB735_512:
	s_or_b64 exec, exec, s[0:1]
	s_movk_i32 s0, 0xff
	v_and_b32_sdwa v18, v10, s0 dst_sel:DWORD dst_unused:UNUSED_PAD src0_sel:WORD_1 src1_sel:DWORD
	v_lshrrev_b32_e32 v16, 16, v10
	v_cmp_ne_u16_e32 vcc, 0, v18
	v_mov_b32_e32 v17, 0
	v_mov_b32_e32 v21, 0
	s_and_saveexec_b64 s[0:1], vcc
	s_cbranch_execz .LBB735_518
; %bb.513:
	s_movk_i32 s3, 0x80
	v_cmp_ne_u16_e32 vcc, s3, v18
	v_mov_b32_e32 v21, 0xffff8000
	s_and_saveexec_b64 s[6:7], vcc
	s_cbranch_execz .LBB735_517
; %bb.514:
	v_bfe_u32 v18, v10, 16, 7
	s_movk_i32 s3, 0x7f
	v_cmp_ne_u32_e32 vcc, s3, v18
	v_mov_b32_e32 v21, 0x7f80
	s_and_saveexec_b64 s[8:9], vcc
	s_cbranch_execz .LBB735_516
; %bb.515:
	v_and_b32_e32 v21, 7, v16
	v_ffbh_u32_e32 v22, v21
	v_min_u32_e32 v25, 32, v22
	v_subrev_u32_e32 v22, 28, v25
	v_lshlrev_b64 v[22:23], v22, v[16:17]
	v_and_b32_e32 v22, 7, v22
	v_cmp_gt_u32_e32 vcc, 8, v18
	v_lshrrev_b32_e32 v24, 3, v18
	v_sub_u32_e32 v16, 29, v25
	v_cndmask_b32_e32 v18, v21, v22, vcc
	v_mov_b32_e32 v21, 24
	v_cndmask_b32_e32 v16, v24, v16, vcc
	v_lshlrev_b32_sdwa v21, v21, v10 dst_sel:DWORD dst_unused:UNUSED_PAD src0_sel:DWORD src1_sel:WORD_1
	v_bfrev_b32_e32 v22, 60
	v_lshlrev_b32_e32 v18, 20, v18
	v_and_b32_e32 v21, 0x80000000, v21
	v_lshl_add_u32 v16, v16, 23, v22
	v_or3_b32 v16, v21, v16, v18
	v_lshrrev_b32_e32 v21, 16, v16
.LBB735_516:
	s_or_b64 exec, exec, s[8:9]
.LBB735_517:
	s_or_b64 exec, exec, s[6:7]
.LBB735_518:
	s_or_b64 exec, exec, s[0:1]
	s_mov_b32 s0, 0xffffff
	v_cmp_lt_u32_e32 vcc, s0, v10
	v_mov_b32_e32 v22, 0
	s_and_saveexec_b64 s[0:1], vcc
	s_cbranch_execz .LBB735_524
; %bb.519:
	v_lshrrev_b32_e32 v16, 24, v10
	s_movk_i32 s3, 0x80
	v_cmp_ne_u32_e32 vcc, s3, v16
	v_mov_b32_e32 v22, 0xffff8000
	s_and_saveexec_b64 s[6:7], vcc
	s_cbranch_execz .LBB735_523
; %bb.520:
	v_bfe_u32 v18, v10, 24, 7
	s_movk_i32 s3, 0x7f
	v_cmp_ne_u32_e32 vcc, s3, v18
	v_mov_b32_e32 v22, 0x7f80
	s_and_saveexec_b64 s[8:9], vcc
	s_cbranch_execz .LBB735_522
; %bb.521:
	v_and_b32_e32 v24, 7, v16
	v_ffbh_u32_e32 v22, v24
	v_min_u32_e32 v26, 32, v22
	v_subrev_u32_e32 v22, 28, v26
	v_lshlrev_b64 v[22:23], v22, v[16:17]
	v_lshrrev_b32_e32 v25, 3, v18
	v_sub_u32_e32 v23, 29, v26
	v_and_b32_e32 v22, 7, v22
	v_cmp_gt_u32_e32 vcc, 8, v18
	v_cndmask_b32_e32 v18, v25, v23, vcc
	v_cndmask_b32_e32 v22, v24, v22, vcc
	v_lshlrev_b32_e32 v16, 24, v16
	v_bfrev_b32_e32 v23, 60
	v_lshlrev_b32_e32 v22, 20, v22
	v_and_b32_e32 v16, 0x80000000, v16
	v_lshl_add_u32 v18, v18, 23, v23
	v_or3_b32 v16, v16, v18, v22
	v_lshrrev_b32_e32 v22, 16, v16
.LBB735_522:
	s_or_b64 exec, exec, s[8:9]
.LBB735_523:
	s_or_b64 exec, exec, s[6:7]
.LBB735_524:
	s_or_b64 exec, exec, s[0:1]
	v_mov_b32_e32 v23, 0
	v_mov_b32_e32 v16, v11
	v_cmp_ne_u16_sdwa s[6:7], v11, v23 src0_sel:BYTE_0 src1_sel:DWORD
	v_mov_b32_e32 v24, 0
	s_and_saveexec_b64 s[0:1], s[6:7]
	s_cbranch_execz .LBB735_530
; %bb.525:
	s_movk_i32 s3, 0x80
	v_cmp_ne_u16_sdwa s[8:9], v11, s3 src0_sel:BYTE_0 src1_sel:DWORD
	v_mov_b32_e32 v24, 0xffff8000
	s_and_saveexec_b64 s[6:7], s[8:9]
	s_cbranch_execz .LBB735_529
; %bb.526:
	s_movk_i32 s3, 0x7f
	v_and_b32_e32 v18, 0x7f, v11
	v_cmp_ne_u32_e32 vcc, s3, v18
	v_mov_b32_e32 v24, 0x7f80
	s_and_saveexec_b64 s[8:9], vcc
	s_cbranch_execz .LBB735_528
; %bb.527:
	v_and_b32_e32 v24, 7, v11
	v_ffbh_u32_e32 v24, v24
	v_min_u32_e32 v24, 32, v24
	v_lshrrev_b32_e32 v25, 3, v18
	v_subrev_u32_e32 v26, 28, v24
	v_sub_u32_e32 v24, 29, v24
	v_cmp_gt_u32_e32 vcc, 8, v18
	v_cndmask_b32_e32 v18, v25, v24, vcc
	v_cndmask_b32_e32 v24, 0, v26, vcc
	v_lshlrev_b64 v[24:25], v24, v[16:17]
	v_lshlrev_b32_e32 v17, 20, v24
	v_lshlrev_b32_e32 v24, 24, v16
	v_bfrev_b32_e32 v25, 60
	v_and_b32_e32 v17, 0x700000, v17
	v_and_b32_e32 v24, 0x80000000, v24
	v_lshl_add_u32 v18, v18, 23, v25
	v_or3_b32 v17, v24, v18, v17
	v_lshrrev_b32_e32 v24, 16, v17
.LBB735_528:
	s_or_b64 exec, exec, s[8:9]
.LBB735_529:
	s_or_b64 exec, exec, s[6:7]
.LBB735_530:
	s_or_b64 exec, exec, s[0:1]
	v_lshrrev_b16_e32 v18, 8, v16
	v_cmp_ne_u16_e32 vcc, 0, v18
	s_and_saveexec_b64 s[0:1], vcc
	s_cbranch_execz .LBB735_536
; %bb.531:
	s_movk_i32 s3, 0x80
	v_cmp_ne_u16_e32 vcc, s3, v18
	v_mov_b32_e32 v23, 0xffff8000
	s_and_saveexec_b64 s[6:7], vcc
	s_cbranch_execz .LBB735_535
; %bb.532:
	s_movk_i32 s3, 0x7f
	v_and_b32_e32 v17, 0x7f, v18
	v_cmp_ne_u32_e32 vcc, s3, v17
	v_mov_b32_e32 v23, 0x7f80
	s_and_saveexec_b64 s[8:9], vcc
	s_cbranch_execz .LBB735_534
; %bb.533:
	v_and_b32_e32 v23, 7, v18
	v_ffbh_u32_e32 v26, v23
	v_min_u32_e32 v28, 32, v26
	v_subrev_u32_e32 v26, 28, v28
	v_lshlrev_b64 v[26:27], v26, v[18:19]
	v_lshrrev_b32_e32 v25, 3, v17
	v_sub_u32_e32 v18, 29, v28
	v_and_b32_e32 v26, 7, v26
	v_cmp_gt_u32_e32 vcc, 8, v17
	v_cndmask_b32_e32 v17, v25, v18, vcc
	v_cndmask_b32_e32 v18, v23, v26, vcc
	v_lshlrev_b32_e32 v16, 16, v16
	v_bfrev_b32_e32 v23, 60
	v_lshlrev_b32_e32 v18, 20, v18
	v_and_b32_e32 v16, 0x80000000, v16
	v_lshl_add_u32 v17, v17, 23, v23
	v_or3_b32 v16, v16, v17, v18
	v_lshrrev_b32_e32 v23, 16, v16
.LBB735_534:
	s_or_b64 exec, exec, s[8:9]
.LBB735_535:
	s_or_b64 exec, exec, s[6:7]
.LBB735_536:
	s_or_b64 exec, exec, s[0:1]
	s_movk_i32 s0, 0xff
	v_and_b32_sdwa v25, v11, s0 dst_sel:DWORD dst_unused:UNUSED_PAD src0_sel:WORD_1 src1_sel:DWORD
	v_lshrrev_b32_e32 v16, 16, v11
	v_cmp_ne_u16_e32 vcc, 0, v25
	v_mov_b32_e32 v17, 0
	v_mov_b32_e32 v18, 0
	s_and_saveexec_b64 s[0:1], vcc
	s_cbranch_execz .LBB735_542
; %bb.537:
	s_movk_i32 s3, 0x80
	v_cmp_ne_u16_e32 vcc, s3, v25
	v_mov_b32_e32 v18, 0xffff8000
	s_and_saveexec_b64 s[6:7], vcc
	s_cbranch_execz .LBB735_541
; %bb.538:
	v_bfe_u32 v25, v11, 16, 7
	s_movk_i32 s3, 0x7f
	v_cmp_ne_u32_e32 vcc, s3, v25
	v_mov_b32_e32 v18, 0x7f80
	s_and_saveexec_b64 s[8:9], vcc
	s_cbranch_execz .LBB735_540
; %bb.539:
	v_and_b32_e32 v18, 7, v16
	v_ffbh_u32_e32 v26, v18
	v_min_u32_e32 v29, 32, v26
	v_subrev_u32_e32 v26, 28, v29
	v_lshlrev_b64 v[26:27], v26, v[16:17]
	v_lshrrev_b32_e32 v28, 3, v25
	v_sub_u32_e32 v16, 29, v29
	v_and_b32_e32 v26, 7, v26
	v_cmp_gt_u32_e32 vcc, 8, v25
	v_mov_b32_e32 v25, 24
	v_cndmask_b32_e32 v16, v28, v16, vcc
	v_cndmask_b32_e32 v18, v18, v26, vcc
	v_lshlrev_b32_sdwa v25, v25, v11 dst_sel:DWORD dst_unused:UNUSED_PAD src0_sel:DWORD src1_sel:WORD_1
	v_bfrev_b32_e32 v26, 60
	v_lshlrev_b32_e32 v18, 20, v18
	v_and_b32_e32 v25, 0x80000000, v25
	v_lshl_add_u32 v16, v16, 23, v26
	v_or3_b32 v16, v25, v16, v18
	v_lshrrev_b32_e32 v18, 16, v16
.LBB735_540:
	s_or_b64 exec, exec, s[8:9]
.LBB735_541:
	s_or_b64 exec, exec, s[6:7]
.LBB735_542:
	s_or_b64 exec, exec, s[0:1]
	s_mov_b32 s0, -1
	s_mov_b32 s1, 0xffffff
	v_cmp_lt_u64_e32 vcc, s[0:1], v[10:11]
	s_and_saveexec_b64 s[0:1], vcc
	s_cbranch_execz .LBB735_548
; %bb.543:
	v_lshrrev_b32_e32 v10, 24, v11
	s_movk_i32 s3, 0x80
	v_cmp_ne_u32_e32 vcc, s3, v10
	v_mov_b32_e32 v17, 0xffff8000
	s_and_saveexec_b64 s[6:7], vcc
	s_cbranch_execz .LBB735_547
; %bb.544:
	v_bfe_u32 v11, v11, 24, 7
	s_movk_i32 s3, 0x7f
	v_cmp_ne_u32_e32 vcc, s3, v11
	v_mov_b32_e32 v17, 0x7f80
	s_and_saveexec_b64 s[8:9], vcc
	s_cbranch_execz .LBB735_546
; %bb.545:
	v_and_b32_e32 v25, 7, v10
	v_ffbh_u32_e32 v16, v25
	v_min_u32_e32 v27, 32, v16
	v_subrev_u32_e32 v16, 28, v27
	v_lshlrev_b64 v[16:17], v16, v[10:11]
	v_lshrrev_b32_e32 v26, 3, v11
	v_sub_u32_e32 v17, 29, v27
	v_and_b32_e32 v16, 7, v16
	v_cmp_gt_u32_e32 vcc, 8, v11
	v_cndmask_b32_e32 v11, v26, v17, vcc
	v_cndmask_b32_e32 v16, v25, v16, vcc
	v_lshlrev_b32_e32 v10, 24, v10
	v_bfrev_b32_e32 v17, 60
	v_lshlrev_b32_e32 v16, 20, v16
	v_and_b32_e32 v10, 0x80000000, v10
	v_lshl_add_u32 v11, v11, 23, v17
	v_or3_b32 v10, v10, v11, v16
	v_lshrrev_b32_e32 v17, 16, v10
.LBB735_546:
	s_or_b64 exec, exec, s[8:9]
.LBB735_547:
	s_or_b64 exec, exec, s[6:7]
.LBB735_548:
	s_or_b64 exec, exec, s[0:1]
	s_mov_b32 s0, 0x5040100
	v_perm_b32 v11, v22, v21, s0
	v_perm_b32 v10, v19, v20, s0
	;; [unrolled: 1-line block ×4, first 2 shown]
	v_mfma_f32_4x4x4bf16_1k a[0:3], v[14:15], v[10:11], a[0:3] cbsz:4 abid:4
	v_mov_b32_e32 v18, 0
	v_mfma_f32_4x4x4bf16_1k a[0:3], v[14:15], v[16:17], a[0:3] cbsz:4 abid:5
	v_mov_b32_e32 v17, 0
	v_cmp_ne_u16_sdwa s[6:7], v12, v17 src0_sel:BYTE_0 src1_sel:DWORD
	s_and_saveexec_b64 s[0:1], s[6:7]
	s_cbranch_execz .LBB735_554
; %bb.549:
	s_movk_i32 s3, 0x80
	v_cmp_ne_u16_sdwa s[8:9], v12, s3 src0_sel:BYTE_0 src1_sel:DWORD
	v_mov_b32_e32 v18, 0xffff8000
	s_and_saveexec_b64 s[6:7], s[8:9]
	s_cbranch_execz .LBB735_553
; %bb.550:
	s_movk_i32 s3, 0x7f
	v_and_b32_e32 v10, 0x7f, v12
	v_cmp_ne_u32_e32 vcc, s3, v10
	v_mov_b32_e32 v18, 0x7f80
	s_and_saveexec_b64 s[8:9], vcc
	s_cbranch_execz .LBB735_552
; %bb.551:
	v_and_b32_e32 v11, 7, v12
	v_ffbh_u32_e32 v11, v11
	v_min_u32_e32 v11, 32, v11
	v_subrev_u32_e32 v18, 28, v11
	v_cmp_gt_u32_e32 vcc, 8, v10
	v_lshrrev_b32_e32 v16, 3, v10
	v_sub_u32_e32 v11, 29, v11
	v_cndmask_b32_e32 v10, 0, v18, vcc
	v_cndmask_b32_e32 v16, v16, v11, vcc
	v_lshlrev_b64 v[10:11], v10, v[12:13]
	v_lshlrev_b32_e32 v10, 20, v10
	v_lshlrev_b32_e32 v11, 24, v12
	v_bfrev_b32_e32 v18, 60
	v_and_b32_e32 v10, 0x700000, v10
	v_and_b32_e32 v11, 0x80000000, v11
	v_lshl_add_u32 v16, v16, 23, v18
	v_or3_b32 v10, v11, v16, v10
	v_lshrrev_b32_e32 v18, 16, v10
.LBB735_552:
	s_or_b64 exec, exec, s[8:9]
.LBB735_553:
	s_or_b64 exec, exec, s[6:7]
.LBB735_554:
	s_or_b64 exec, exec, s[0:1]
	v_lshrrev_b16_e32 v10, 8, v12
	v_cmp_ne_u16_e32 vcc, 0, v10
	s_and_saveexec_b64 s[0:1], vcc
	s_cbranch_execz .LBB735_560
; %bb.555:
	s_movk_i32 s3, 0x80
	v_cmp_ne_u16_e32 vcc, s3, v10
	v_mov_b32_e32 v17, 0xffff8000
	s_and_saveexec_b64 s[6:7], vcc
	s_cbranch_execz .LBB735_559
; %bb.556:
	s_movk_i32 s3, 0x7f
	v_and_b32_e32 v11, 0x7f, v10
	v_cmp_ne_u32_e32 vcc, s3, v11
	v_mov_b32_e32 v17, 0x7f80
	s_and_saveexec_b64 s[8:9], vcc
	s_cbranch_execz .LBB735_558
; %bb.557:
	v_and_b32_e32 v19, 7, v10
	v_ffbh_u32_e32 v16, v19
	v_min_u32_e32 v21, 32, v16
	v_subrev_u32_e32 v16, 28, v21
	v_lshlrev_b64 v[16:17], v16, v[10:11]
	v_lshrrev_b32_e32 v20, 3, v11
	v_sub_u32_e32 v10, 29, v21
	v_and_b32_e32 v16, 7, v16
	v_cmp_gt_u32_e32 vcc, 8, v11
	v_cndmask_b32_e32 v10, v20, v10, vcc
	v_cndmask_b32_e32 v11, v19, v16, vcc
	v_lshlrev_b32_e32 v16, 16, v12
	v_bfrev_b32_e32 v17, 60
	v_lshlrev_b32_e32 v11, 20, v11
	v_and_b32_e32 v16, 0x80000000, v16
	v_lshl_add_u32 v10, v10, 23, v17
	v_or3_b32 v10, v16, v10, v11
	v_lshrrev_b32_e32 v17, 16, v10
.LBB735_558:
	s_or_b64 exec, exec, s[8:9]
.LBB735_559:
	s_or_b64 exec, exec, s[6:7]
.LBB735_560:
	s_or_b64 exec, exec, s[0:1]
	s_movk_i32 s0, 0xff
	v_and_b32_sdwa v16, v12, s0 dst_sel:DWORD dst_unused:UNUSED_PAD src0_sel:WORD_1 src1_sel:DWORD
	v_lshrrev_b32_e32 v10, 16, v12
	v_cmp_ne_u16_e32 vcc, 0, v16
	v_mov_b32_e32 v11, 0
	v_mov_b32_e32 v19, 0
	s_and_saveexec_b64 s[0:1], vcc
	s_cbranch_execz .LBB735_566
; %bb.561:
	s_movk_i32 s3, 0x80
	v_cmp_ne_u16_e32 vcc, s3, v16
	v_mov_b32_e32 v19, 0xffff8000
	s_and_saveexec_b64 s[6:7], vcc
	s_cbranch_execz .LBB735_565
; %bb.562:
	v_bfe_u32 v16, v12, 16, 7
	s_movk_i32 s3, 0x7f
	v_cmp_ne_u32_e32 vcc, s3, v16
	v_mov_b32_e32 v19, 0x7f80
	s_and_saveexec_b64 s[8:9], vcc
	s_cbranch_execz .LBB735_564
; %bb.563:
	v_and_b32_e32 v19, 7, v10
	v_ffbh_u32_e32 v20, v19
	v_min_u32_e32 v23, 32, v20
	v_subrev_u32_e32 v20, 28, v23
	v_lshlrev_b64 v[20:21], v20, v[10:11]
	v_and_b32_e32 v20, 7, v20
	v_cmp_gt_u32_e32 vcc, 8, v16
	v_lshrrev_b32_e32 v22, 3, v16
	v_sub_u32_e32 v10, 29, v23
	v_cndmask_b32_e32 v16, v19, v20, vcc
	v_mov_b32_e32 v19, 24
	v_cndmask_b32_e32 v10, v22, v10, vcc
	v_lshlrev_b32_sdwa v19, v19, v12 dst_sel:DWORD dst_unused:UNUSED_PAD src0_sel:DWORD src1_sel:WORD_1
	v_bfrev_b32_e32 v20, 60
	v_lshlrev_b32_e32 v16, 20, v16
	v_and_b32_e32 v19, 0x80000000, v19
	v_lshl_add_u32 v10, v10, 23, v20
	v_or3_b32 v10, v19, v10, v16
	v_lshrrev_b32_e32 v19, 16, v10
.LBB735_564:
	s_or_b64 exec, exec, s[8:9]
.LBB735_565:
	s_or_b64 exec, exec, s[6:7]
.LBB735_566:
	s_or_b64 exec, exec, s[0:1]
	s_mov_b32 s0, 0xffffff
	v_cmp_lt_u32_e32 vcc, s0, v12
	v_mov_b32_e32 v20, 0
	s_and_saveexec_b64 s[0:1], vcc
	s_cbranch_execz .LBB735_572
; %bb.567:
	v_lshrrev_b32_e32 v10, 24, v12
	s_movk_i32 s3, 0x80
	v_cmp_ne_u32_e32 vcc, s3, v10
	v_mov_b32_e32 v20, 0xffff8000
	s_and_saveexec_b64 s[6:7], vcc
	s_cbranch_execz .LBB735_571
; %bb.568:
	v_bfe_u32 v16, v12, 24, 7
	s_movk_i32 s3, 0x7f
	v_cmp_ne_u32_e32 vcc, s3, v16
	v_mov_b32_e32 v20, 0x7f80
	s_and_saveexec_b64 s[8:9], vcc
	s_cbranch_execz .LBB735_570
; %bb.569:
	v_and_b32_e32 v22, 7, v10
	v_ffbh_u32_e32 v20, v22
	v_min_u32_e32 v24, 32, v20
	v_subrev_u32_e32 v20, 28, v24
	v_lshlrev_b64 v[20:21], v20, v[10:11]
	v_lshrrev_b32_e32 v23, 3, v16
	v_sub_u32_e32 v21, 29, v24
	v_and_b32_e32 v20, 7, v20
	v_cmp_gt_u32_e32 vcc, 8, v16
	v_cndmask_b32_e32 v16, v23, v21, vcc
	v_cndmask_b32_e32 v20, v22, v20, vcc
	v_lshlrev_b32_e32 v10, 24, v10
	v_bfrev_b32_e32 v21, 60
	v_lshlrev_b32_e32 v20, 20, v20
	v_and_b32_e32 v10, 0x80000000, v10
	v_lshl_add_u32 v16, v16, 23, v21
	v_or3_b32 v10, v10, v16, v20
	v_lshrrev_b32_e32 v20, 16, v10
.LBB735_570:
	s_or_b64 exec, exec, s[8:9]
.LBB735_571:
	s_or_b64 exec, exec, s[6:7]
.LBB735_572:
	s_or_b64 exec, exec, s[0:1]
	v_mov_b32_e32 v21, 0
	v_mov_b32_e32 v10, v13
	v_cmp_ne_u16_sdwa s[6:7], v13, v21 src0_sel:BYTE_0 src1_sel:DWORD
	v_mov_b32_e32 v22, 0
	s_and_saveexec_b64 s[0:1], s[6:7]
	s_cbranch_execz .LBB735_578
; %bb.573:
	s_movk_i32 s3, 0x80
	v_cmp_ne_u16_sdwa s[8:9], v13, s3 src0_sel:BYTE_0 src1_sel:DWORD
	v_mov_b32_e32 v22, 0xffff8000
	s_and_saveexec_b64 s[6:7], s[8:9]
	s_cbranch_execz .LBB735_577
; %bb.574:
	s_movk_i32 s3, 0x7f
	v_and_b32_e32 v16, 0x7f, v13
	v_cmp_ne_u32_e32 vcc, s3, v16
	v_mov_b32_e32 v22, 0x7f80
	s_and_saveexec_b64 s[8:9], vcc
	s_cbranch_execz .LBB735_576
; %bb.575:
	v_and_b32_e32 v22, 7, v13
	v_ffbh_u32_e32 v22, v22
	v_min_u32_e32 v22, 32, v22
	v_lshrrev_b32_e32 v23, 3, v16
	v_subrev_u32_e32 v24, 28, v22
	v_sub_u32_e32 v22, 29, v22
	v_cmp_gt_u32_e32 vcc, 8, v16
	v_cndmask_b32_e32 v16, v23, v22, vcc
	v_cndmask_b32_e32 v22, 0, v24, vcc
	v_lshlrev_b64 v[22:23], v22, v[10:11]
	v_lshlrev_b32_e32 v11, 20, v22
	v_lshlrev_b32_e32 v22, 24, v10
	v_bfrev_b32_e32 v23, 60
	v_and_b32_e32 v11, 0x700000, v11
	v_and_b32_e32 v22, 0x80000000, v22
	v_lshl_add_u32 v16, v16, 23, v23
	v_or3_b32 v11, v22, v16, v11
	v_lshrrev_b32_e32 v22, 16, v11
.LBB735_576:
	s_or_b64 exec, exec, s[8:9]
.LBB735_577:
	s_or_b64 exec, exec, s[6:7]
.LBB735_578:
	s_or_b64 exec, exec, s[0:1]
	v_lshrrev_b16_e32 v16, 8, v10
	v_cmp_ne_u16_e32 vcc, 0, v16
	s_and_saveexec_b64 s[0:1], vcc
	s_cbranch_execz .LBB735_584
; %bb.579:
	s_movk_i32 s3, 0x80
	v_cmp_ne_u16_e32 vcc, s3, v16
	v_mov_b32_e32 v21, 0xffff8000
	s_and_saveexec_b64 s[6:7], vcc
	s_cbranch_execz .LBB735_583
; %bb.580:
	s_movk_i32 s3, 0x7f
	v_and_b32_e32 v11, 0x7f, v16
	v_cmp_ne_u32_e32 vcc, s3, v11
	v_mov_b32_e32 v21, 0x7f80
	s_and_saveexec_b64 s[8:9], vcc
	s_cbranch_execz .LBB735_582
; %bb.581:
	v_and_b32_e32 v21, 7, v16
	v_ffbh_u32_e32 v24, v21
	v_min_u32_e32 v26, 32, v24
	v_subrev_u32_e32 v24, 28, v26
	v_lshlrev_b64 v[24:25], v24, v[16:17]
	v_lshrrev_b32_e32 v23, 3, v11
	v_sub_u32_e32 v16, 29, v26
	v_and_b32_e32 v24, 7, v24
	v_cmp_gt_u32_e32 vcc, 8, v11
	v_cndmask_b32_e32 v11, v23, v16, vcc
	v_cndmask_b32_e32 v16, v21, v24, vcc
	v_lshlrev_b32_e32 v10, 16, v10
	v_bfrev_b32_e32 v21, 60
	v_lshlrev_b32_e32 v16, 20, v16
	v_and_b32_e32 v10, 0x80000000, v10
	v_lshl_add_u32 v11, v11, 23, v21
	v_or3_b32 v10, v10, v11, v16
	v_lshrrev_b32_e32 v21, 16, v10
.LBB735_582:
	s_or_b64 exec, exec, s[8:9]
.LBB735_583:
	s_or_b64 exec, exec, s[6:7]
.LBB735_584:
	s_or_b64 exec, exec, s[0:1]
	s_movk_i32 s0, 0xff
	v_and_b32_sdwa v23, v13, s0 dst_sel:DWORD dst_unused:UNUSED_PAD src0_sel:WORD_1 src1_sel:DWORD
	v_lshrrev_b32_e32 v10, 16, v13
	v_cmp_ne_u16_e32 vcc, 0, v23
	v_mov_b32_e32 v11, 0
	v_mov_b32_e32 v16, 0
	s_and_saveexec_b64 s[0:1], vcc
	s_cbranch_execz .LBB735_590
; %bb.585:
	s_movk_i32 s3, 0x80
	v_cmp_ne_u16_e32 vcc, s3, v23
	v_mov_b32_e32 v16, 0xffff8000
	s_and_saveexec_b64 s[6:7], vcc
	s_cbranch_execz .LBB735_589
; %bb.586:
	v_bfe_u32 v23, v13, 16, 7
	s_movk_i32 s3, 0x7f
	v_cmp_ne_u32_e32 vcc, s3, v23
	v_mov_b32_e32 v16, 0x7f80
	s_and_saveexec_b64 s[8:9], vcc
	s_cbranch_execz .LBB735_588
; %bb.587:
	v_and_b32_e32 v16, 7, v10
	v_ffbh_u32_e32 v24, v16
	v_min_u32_e32 v27, 32, v24
	v_subrev_u32_e32 v24, 28, v27
	v_lshlrev_b64 v[24:25], v24, v[10:11]
	v_lshrrev_b32_e32 v26, 3, v23
	v_sub_u32_e32 v10, 29, v27
	v_and_b32_e32 v24, 7, v24
	v_cmp_gt_u32_e32 vcc, 8, v23
	v_mov_b32_e32 v23, 24
	v_cndmask_b32_e32 v10, v26, v10, vcc
	v_cndmask_b32_e32 v16, v16, v24, vcc
	v_lshlrev_b32_sdwa v23, v23, v13 dst_sel:DWORD dst_unused:UNUSED_PAD src0_sel:DWORD src1_sel:WORD_1
	v_bfrev_b32_e32 v24, 60
	v_lshlrev_b32_e32 v16, 20, v16
	v_and_b32_e32 v23, 0x80000000, v23
	v_lshl_add_u32 v10, v10, 23, v24
	v_or3_b32 v10, v23, v10, v16
	v_lshrrev_b32_e32 v16, 16, v10
.LBB735_588:
	s_or_b64 exec, exec, s[8:9]
.LBB735_589:
	s_or_b64 exec, exec, s[6:7]
.LBB735_590:
	s_or_b64 exec, exec, s[0:1]
	s_mov_b32 s0, -1
	s_mov_b32 s1, 0xffffff
	v_cmp_lt_u64_e32 vcc, s[0:1], v[12:13]
	s_and_saveexec_b64 s[0:1], vcc
	s_cbranch_execz .LBB735_596
; %bb.591:
	v_lshrrev_b32_e32 v10, 24, v13
	s_movk_i32 s3, 0x80
	v_cmp_ne_u32_e32 vcc, s3, v10
	v_mov_b32_e32 v11, 0xffff8000
	s_and_saveexec_b64 s[6:7], vcc
	s_cbranch_execz .LBB735_595
; %bb.592:
	v_bfe_u32 v12, v13, 24, 7
	s_movk_i32 s3, 0x7f
	v_cmp_ne_u32_e32 vcc, s3, v12
	v_mov_b32_e32 v11, 0x7f80
	s_and_saveexec_b64 s[8:9], vcc
	s_cbranch_execz .LBB735_594
; %bb.593:
	v_and_b32_e32 v11, 7, v10
	v_ffbh_u32_e32 v23, v11
	v_min_u32_e32 v23, 32, v23
	v_subrev_u32_e32 v24, 28, v23
	v_lshlrev_b64 v[24:25], v24, v[10:11]
	v_lshrrev_b32_e32 v13, 3, v12
	v_sub_u32_e32 v23, 29, v23
	v_and_b32_e32 v24, 7, v24
	v_cmp_gt_u32_e32 vcc, 8, v12
	v_cndmask_b32_e32 v12, v13, v23, vcc
	v_cndmask_b32_e32 v11, v11, v24, vcc
	v_lshlrev_b32_e32 v10, 24, v10
	v_bfrev_b32_e32 v13, 60
	v_lshlrev_b32_e32 v11, 20, v11
	v_and_b32_e32 v10, 0x80000000, v10
	v_lshl_add_u32 v12, v12, 23, v13
	v_or3_b32 v10, v10, v12, v11
	v_lshrrev_b32_e32 v11, 16, v10
.LBB735_594:
	s_or_b64 exec, exec, s[8:9]
.LBB735_595:
	s_or_b64 exec, exec, s[6:7]
.LBB735_596:
	s_or_b64 exec, exec, s[0:1]
	s_mov_b32 s0, 0x5040100
	v_perm_b32 v13, v20, v19, s0
	v_perm_b32 v12, v17, v18, s0
	;; [unrolled: 1-line block ×4, first 2 shown]
	v_mfma_f32_4x4x4bf16_1k a[0:3], v[14:15], v[12:13], a[0:3] cbsz:4 abid:6
	v_mov_b32_e32 v13, 0
	v_mfma_f32_4x4x4bf16_1k a[0:3], v[14:15], v[10:11], a[0:3] cbsz:4 abid:7
	s_waitcnt vmcnt(0)
	v_cmp_ne_u16_sdwa s[6:7], v6, v13 src0_sel:BYTE_0 src1_sel:DWORD
	v_mov_b32_e32 v16, 0
	s_and_saveexec_b64 s[0:1], s[6:7]
	s_cbranch_execz .LBB735_602
; %bb.597:
	s_movk_i32 s3, 0x80
	v_cmp_ne_u16_sdwa s[8:9], v6, s3 src0_sel:BYTE_0 src1_sel:DWORD
	v_mov_b32_e32 v16, 0xffff8000
	s_and_saveexec_b64 s[6:7], s[8:9]
	s_cbranch_execz .LBB735_601
; %bb.598:
	s_movk_i32 s3, 0x7f
	v_and_b32_e32 v10, 0x7f, v6
	v_cmp_ne_u32_e32 vcc, s3, v10
	v_mov_b32_e32 v16, 0x7f80
	s_and_saveexec_b64 s[8:9], vcc
	s_cbranch_execz .LBB735_600
; %bb.599:
	v_and_b32_e32 v11, 7, v6
	v_ffbh_u32_e32 v11, v11
	v_min_u32_e32 v11, 32, v11
	v_subrev_u32_e32 v16, 28, v11
	v_cmp_gt_u32_e32 vcc, 8, v10
	v_lshrrev_b32_e32 v12, 3, v10
	v_sub_u32_e32 v11, 29, v11
	v_cndmask_b32_e32 v10, 0, v16, vcc
	v_cndmask_b32_e32 v12, v12, v11, vcc
	v_lshlrev_b64 v[10:11], v10, v[6:7]
	v_lshlrev_b32_e32 v10, 20, v10
	v_lshlrev_b32_e32 v11, 24, v6
	v_bfrev_b32_e32 v16, 60
	v_and_b32_e32 v10, 0x700000, v10
	v_and_b32_e32 v11, 0x80000000, v11
	v_lshl_add_u32 v12, v12, 23, v16
	v_or3_b32 v10, v11, v12, v10
	v_lshrrev_b32_e32 v16, 16, v10
.LBB735_600:
	s_or_b64 exec, exec, s[8:9]
.LBB735_601:
	s_or_b64 exec, exec, s[6:7]
.LBB735_602:
	s_or_b64 exec, exec, s[0:1]
	v_lshrrev_b16_e32 v10, 8, v6
	v_cmp_ne_u16_e32 vcc, 0, v10
	s_and_saveexec_b64 s[0:1], vcc
	s_cbranch_execz .LBB735_608
; %bb.603:
	s_movk_i32 s3, 0x80
	v_cmp_ne_u16_e32 vcc, s3, v10
	v_mov_b32_e32 v13, 0xffff8000
	s_and_saveexec_b64 s[6:7], vcc
	s_cbranch_execz .LBB735_607
; %bb.604:
	s_movk_i32 s3, 0x7f
	v_and_b32_e32 v11, 0x7f, v10
	v_cmp_ne_u32_e32 vcc, s3, v11
	v_mov_b32_e32 v13, 0x7f80
	s_and_saveexec_b64 s[8:9], vcc
	s_cbranch_execz .LBB735_606
; %bb.605:
	v_and_b32_e32 v17, 7, v10
	v_ffbh_u32_e32 v12, v17
	v_min_u32_e32 v19, 32, v12
	v_subrev_u32_e32 v12, 28, v19
	v_lshlrev_b64 v[12:13], v12, v[10:11]
	v_lshrrev_b32_e32 v18, 3, v11
	v_sub_u32_e32 v10, 29, v19
	v_and_b32_e32 v12, 7, v12
	v_cmp_gt_u32_e32 vcc, 8, v11
	v_cndmask_b32_e32 v10, v18, v10, vcc
	v_cndmask_b32_e32 v11, v17, v12, vcc
	v_lshlrev_b32_e32 v12, 16, v6
	v_bfrev_b32_e32 v13, 60
	v_lshlrev_b32_e32 v11, 20, v11
	v_and_b32_e32 v12, 0x80000000, v12
	v_lshl_add_u32 v10, v10, 23, v13
	v_or3_b32 v10, v12, v10, v11
	v_lshrrev_b32_e32 v13, 16, v10
.LBB735_606:
	s_or_b64 exec, exec, s[8:9]
.LBB735_607:
	s_or_b64 exec, exec, s[6:7]
.LBB735_608:
	s_or_b64 exec, exec, s[0:1]
	s_movk_i32 s0, 0xff
	v_and_b32_sdwa v12, v6, s0 dst_sel:DWORD dst_unused:UNUSED_PAD src0_sel:WORD_1 src1_sel:DWORD
	v_lshrrev_b32_e32 v10, 16, v6
	v_cmp_ne_u16_e32 vcc, 0, v12
	v_mov_b32_e32 v11, 0
	v_mov_b32_e32 v17, 0
	s_and_saveexec_b64 s[0:1], vcc
	s_cbranch_execz .LBB735_614
; %bb.609:
	s_movk_i32 s3, 0x80
	v_cmp_ne_u16_e32 vcc, s3, v12
	v_mov_b32_e32 v17, 0xffff8000
	s_and_saveexec_b64 s[6:7], vcc
	s_cbranch_execz .LBB735_613
; %bb.610:
	v_bfe_u32 v12, v6, 16, 7
	s_movk_i32 s3, 0x7f
	v_cmp_ne_u32_e32 vcc, s3, v12
	v_mov_b32_e32 v17, 0x7f80
	s_and_saveexec_b64 s[8:9], vcc
	s_cbranch_execz .LBB735_612
; %bb.611:
	v_and_b32_e32 v17, 7, v10
	v_ffbh_u32_e32 v18, v17
	v_min_u32_e32 v21, 32, v18
	v_subrev_u32_e32 v18, 28, v21
	v_lshlrev_b64 v[18:19], v18, v[10:11]
	v_and_b32_e32 v18, 7, v18
	v_cmp_gt_u32_e32 vcc, 8, v12
	v_lshrrev_b32_e32 v20, 3, v12
	v_sub_u32_e32 v10, 29, v21
	v_cndmask_b32_e32 v12, v17, v18, vcc
	v_mov_b32_e32 v17, 24
	v_cndmask_b32_e32 v10, v20, v10, vcc
	v_lshlrev_b32_sdwa v17, v17, v6 dst_sel:DWORD dst_unused:UNUSED_PAD src0_sel:DWORD src1_sel:WORD_1
	v_bfrev_b32_e32 v18, 60
	v_lshlrev_b32_e32 v12, 20, v12
	v_and_b32_e32 v17, 0x80000000, v17
	v_lshl_add_u32 v10, v10, 23, v18
	v_or3_b32 v10, v17, v10, v12
	v_lshrrev_b32_e32 v17, 16, v10
.LBB735_612:
	s_or_b64 exec, exec, s[8:9]
.LBB735_613:
	s_or_b64 exec, exec, s[6:7]
.LBB735_614:
	s_or_b64 exec, exec, s[0:1]
	s_mov_b32 s0, 0xffffff
	v_cmp_lt_u32_e32 vcc, s0, v6
	v_mov_b32_e32 v18, 0
	s_and_saveexec_b64 s[0:1], vcc
	s_cbranch_execz .LBB735_620
; %bb.615:
	v_lshrrev_b32_e32 v10, 24, v6
	s_movk_i32 s3, 0x80
	v_cmp_ne_u32_e32 vcc, s3, v10
	v_mov_b32_e32 v18, 0xffff8000
	s_and_saveexec_b64 s[6:7], vcc
	s_cbranch_execz .LBB735_619
; %bb.616:
	v_bfe_u32 v12, v6, 24, 7
	s_movk_i32 s3, 0x7f
	v_cmp_ne_u32_e32 vcc, s3, v12
	v_mov_b32_e32 v18, 0x7f80
	s_and_saveexec_b64 s[8:9], vcc
	s_cbranch_execz .LBB735_618
; %bb.617:
	v_and_b32_e32 v20, 7, v10
	v_ffbh_u32_e32 v18, v20
	v_min_u32_e32 v22, 32, v18
	v_subrev_u32_e32 v18, 28, v22
	v_lshlrev_b64 v[18:19], v18, v[10:11]
	v_lshrrev_b32_e32 v21, 3, v12
	v_sub_u32_e32 v19, 29, v22
	v_and_b32_e32 v18, 7, v18
	v_cmp_gt_u32_e32 vcc, 8, v12
	v_cndmask_b32_e32 v12, v21, v19, vcc
	v_cndmask_b32_e32 v18, v20, v18, vcc
	v_lshlrev_b32_e32 v10, 24, v10
	v_bfrev_b32_e32 v19, 60
	v_lshlrev_b32_e32 v18, 20, v18
	v_and_b32_e32 v10, 0x80000000, v10
	v_lshl_add_u32 v12, v12, 23, v19
	v_or3_b32 v10, v10, v12, v18
	v_lshrrev_b32_e32 v18, 16, v10
.LBB735_618:
	s_or_b64 exec, exec, s[8:9]
.LBB735_619:
	s_or_b64 exec, exec, s[6:7]
.LBB735_620:
	s_or_b64 exec, exec, s[0:1]
	v_mov_b32_e32 v19, 0
	v_mov_b32_e32 v10, v7
	v_cmp_ne_u16_sdwa s[6:7], v7, v19 src0_sel:BYTE_0 src1_sel:DWORD
	v_mov_b32_e32 v20, 0
	s_and_saveexec_b64 s[0:1], s[6:7]
	s_cbranch_execz .LBB735_626
; %bb.621:
	s_movk_i32 s3, 0x80
	v_cmp_ne_u16_sdwa s[8:9], v7, s3 src0_sel:BYTE_0 src1_sel:DWORD
	v_mov_b32_e32 v20, 0xffff8000
	s_and_saveexec_b64 s[6:7], s[8:9]
	s_cbranch_execz .LBB735_625
; %bb.622:
	s_movk_i32 s3, 0x7f
	v_and_b32_e32 v12, 0x7f, v7
	v_cmp_ne_u32_e32 vcc, s3, v12
	v_mov_b32_e32 v20, 0x7f80
	s_and_saveexec_b64 s[8:9], vcc
	s_cbranch_execz .LBB735_624
; %bb.623:
	v_and_b32_e32 v20, 7, v7
	v_ffbh_u32_e32 v20, v20
	v_min_u32_e32 v20, 32, v20
	v_lshrrev_b32_e32 v21, 3, v12
	v_subrev_u32_e32 v22, 28, v20
	v_sub_u32_e32 v20, 29, v20
	v_cmp_gt_u32_e32 vcc, 8, v12
	v_cndmask_b32_e32 v12, v21, v20, vcc
	v_cndmask_b32_e32 v20, 0, v22, vcc
	v_lshlrev_b64 v[20:21], v20, v[10:11]
	v_lshlrev_b32_e32 v11, 20, v20
	v_lshlrev_b32_e32 v20, 24, v10
	v_bfrev_b32_e32 v21, 60
	v_and_b32_e32 v11, 0x700000, v11
	v_and_b32_e32 v20, 0x80000000, v20
	v_lshl_add_u32 v12, v12, 23, v21
	v_or3_b32 v11, v20, v12, v11
	v_lshrrev_b32_e32 v20, 16, v11
.LBB735_624:
	s_or_b64 exec, exec, s[8:9]
.LBB735_625:
	s_or_b64 exec, exec, s[6:7]
.LBB735_626:
	s_or_b64 exec, exec, s[0:1]
	v_lshrrev_b16_e32 v12, 8, v10
	v_cmp_ne_u16_e32 vcc, 0, v12
	s_and_saveexec_b64 s[0:1], vcc
	s_cbranch_execz .LBB735_632
; %bb.627:
	s_movk_i32 s3, 0x80
	v_cmp_ne_u16_e32 vcc, s3, v12
	v_mov_b32_e32 v19, 0xffff8000
	s_and_saveexec_b64 s[6:7], vcc
	s_cbranch_execz .LBB735_631
; %bb.628:
	s_movk_i32 s3, 0x7f
	v_and_b32_e32 v11, 0x7f, v12
	v_cmp_ne_u32_e32 vcc, s3, v11
	v_mov_b32_e32 v19, 0x7f80
	s_and_saveexec_b64 s[8:9], vcc
	s_cbranch_execz .LBB735_630
; %bb.629:
	v_and_b32_e32 v19, 7, v12
	v_ffbh_u32_e32 v22, v19
	v_min_u32_e32 v24, 32, v22
	v_subrev_u32_e32 v22, 28, v24
	v_lshlrev_b64 v[22:23], v22, v[12:13]
	v_lshrrev_b32_e32 v21, 3, v11
	v_sub_u32_e32 v12, 29, v24
	v_and_b32_e32 v22, 7, v22
	v_cmp_gt_u32_e32 vcc, 8, v11
	v_cndmask_b32_e32 v11, v21, v12, vcc
	v_cndmask_b32_e32 v12, v19, v22, vcc
	v_lshlrev_b32_e32 v10, 16, v10
	v_bfrev_b32_e32 v19, 60
	v_lshlrev_b32_e32 v12, 20, v12
	v_and_b32_e32 v10, 0x80000000, v10
	v_lshl_add_u32 v11, v11, 23, v19
	v_or3_b32 v10, v10, v11, v12
	v_lshrrev_b32_e32 v19, 16, v10
.LBB735_630:
	s_or_b64 exec, exec, s[8:9]
.LBB735_631:
	s_or_b64 exec, exec, s[6:7]
.LBB735_632:
	s_or_b64 exec, exec, s[0:1]
	s_movk_i32 s0, 0xff
	v_and_b32_sdwa v21, v7, s0 dst_sel:DWORD dst_unused:UNUSED_PAD src0_sel:WORD_1 src1_sel:DWORD
	v_lshrrev_b32_e32 v10, 16, v7
	v_cmp_ne_u16_e32 vcc, 0, v21
	v_mov_b32_e32 v11, 0
	v_mov_b32_e32 v12, 0
	s_and_saveexec_b64 s[0:1], vcc
	s_cbranch_execz .LBB735_638
; %bb.633:
	s_movk_i32 s3, 0x80
	v_cmp_ne_u16_e32 vcc, s3, v21
	v_mov_b32_e32 v12, 0xffff8000
	s_and_saveexec_b64 s[6:7], vcc
	s_cbranch_execz .LBB735_637
; %bb.634:
	v_bfe_u32 v21, v7, 16, 7
	s_movk_i32 s3, 0x7f
	v_cmp_ne_u32_e32 vcc, s3, v21
	v_mov_b32_e32 v12, 0x7f80
	s_and_saveexec_b64 s[8:9], vcc
	s_cbranch_execz .LBB735_636
; %bb.635:
	v_and_b32_e32 v12, 7, v10
	v_ffbh_u32_e32 v22, v12
	v_min_u32_e32 v25, 32, v22
	v_subrev_u32_e32 v22, 28, v25
	v_lshlrev_b64 v[22:23], v22, v[10:11]
	v_lshrrev_b32_e32 v24, 3, v21
	v_sub_u32_e32 v10, 29, v25
	v_and_b32_e32 v22, 7, v22
	v_cmp_gt_u32_e32 vcc, 8, v21
	v_mov_b32_e32 v21, 24
	v_cndmask_b32_e32 v10, v24, v10, vcc
	v_cndmask_b32_e32 v12, v12, v22, vcc
	v_lshlrev_b32_sdwa v21, v21, v7 dst_sel:DWORD dst_unused:UNUSED_PAD src0_sel:DWORD src1_sel:WORD_1
	v_bfrev_b32_e32 v22, 60
	v_lshlrev_b32_e32 v12, 20, v12
	v_and_b32_e32 v21, 0x80000000, v21
	v_lshl_add_u32 v10, v10, 23, v22
	v_or3_b32 v10, v21, v10, v12
	v_lshrrev_b32_e32 v12, 16, v10
.LBB735_636:
	s_or_b64 exec, exec, s[8:9]
.LBB735_637:
	s_or_b64 exec, exec, s[6:7]
.LBB735_638:
	s_or_b64 exec, exec, s[0:1]
	s_mov_b32 s0, -1
	s_mov_b32 s1, 0xffffff
	v_cmp_lt_u64_e32 vcc, s[0:1], v[6:7]
	s_and_saveexec_b64 s[0:1], vcc
	s_cbranch_execz .LBB735_644
; %bb.639:
	v_lshrrev_b32_e32 v6, 24, v7
	s_movk_i32 s3, 0x80
	v_cmp_ne_u32_e32 vcc, s3, v6
	v_mov_b32_e32 v11, 0xffff8000
	s_and_saveexec_b64 s[6:7], vcc
	s_cbranch_execz .LBB735_643
; %bb.640:
	v_bfe_u32 v7, v7, 24, 7
	s_movk_i32 s3, 0x7f
	v_cmp_ne_u32_e32 vcc, s3, v7
	v_mov_b32_e32 v11, 0x7f80
	s_and_saveexec_b64 s[8:9], vcc
	s_cbranch_execz .LBB735_642
; %bb.641:
	v_and_b32_e32 v21, 7, v6
	v_ffbh_u32_e32 v10, v21
	v_min_u32_e32 v23, 32, v10
	v_subrev_u32_e32 v10, 28, v23
	v_lshlrev_b64 v[10:11], v10, v[6:7]
	v_lshrrev_b32_e32 v22, 3, v7
	v_sub_u32_e32 v11, 29, v23
	v_and_b32_e32 v10, 7, v10
	v_cmp_gt_u32_e32 vcc, 8, v7
	v_cndmask_b32_e32 v7, v22, v11, vcc
	v_cndmask_b32_e32 v10, v21, v10, vcc
	v_lshlrev_b32_e32 v6, 24, v6
	v_bfrev_b32_e32 v11, 60
	v_lshlrev_b32_e32 v10, 20, v10
	v_and_b32_e32 v6, 0x80000000, v6
	v_lshl_add_u32 v7, v7, 23, v11
	v_or3_b32 v6, v6, v7, v10
	v_lshrrev_b32_e32 v11, 16, v6
.LBB735_642:
	s_or_b64 exec, exec, s[8:9]
.LBB735_643:
	s_or_b64 exec, exec, s[6:7]
.LBB735_644:
	s_or_b64 exec, exec, s[0:1]
	s_mov_b32 s0, 0x5040100
	v_perm_b32 v7, v18, v17, s0
	v_perm_b32 v6, v13, v16, s0
	;; [unrolled: 1-line block ×4, first 2 shown]
	v_mfma_f32_4x4x4bf16_1k a[0:3], v[14:15], v[6:7], a[0:3] cbsz:4 abid:8
	v_mov_b32_e32 v12, 0
	v_mfma_f32_4x4x4bf16_1k a[0:3], v[14:15], v[10:11], a[0:3] cbsz:4 abid:9
	v_mov_b32_e32 v11, 0
	v_cmp_ne_u16_sdwa s[6:7], v8, v11 src0_sel:BYTE_0 src1_sel:DWORD
	s_and_saveexec_b64 s[0:1], s[6:7]
	s_cbranch_execz .LBB735_650
; %bb.645:
	s_movk_i32 s3, 0x80
	v_cmp_ne_u16_sdwa s[8:9], v8, s3 src0_sel:BYTE_0 src1_sel:DWORD
	v_mov_b32_e32 v12, 0xffff8000
	s_and_saveexec_b64 s[6:7], s[8:9]
	s_cbranch_execz .LBB735_649
; %bb.646:
	s_movk_i32 s3, 0x7f
	v_and_b32_e32 v6, 0x7f, v8
	v_cmp_ne_u32_e32 vcc, s3, v6
	v_mov_b32_e32 v12, 0x7f80
	s_and_saveexec_b64 s[8:9], vcc
	s_cbranch_execz .LBB735_648
; %bb.647:
	v_and_b32_e32 v7, 7, v8
	v_ffbh_u32_e32 v7, v7
	v_min_u32_e32 v7, 32, v7
	v_subrev_u32_e32 v12, 28, v7
	v_cmp_gt_u32_e32 vcc, 8, v6
	v_lshrrev_b32_e32 v10, 3, v6
	v_sub_u32_e32 v7, 29, v7
	v_cndmask_b32_e32 v6, 0, v12, vcc
	v_cndmask_b32_e32 v10, v10, v7, vcc
	v_lshlrev_b64 v[6:7], v6, v[8:9]
	v_lshlrev_b32_e32 v6, 20, v6
	v_lshlrev_b32_e32 v7, 24, v8
	v_bfrev_b32_e32 v12, 60
	v_and_b32_e32 v6, 0x700000, v6
	v_and_b32_e32 v7, 0x80000000, v7
	v_lshl_add_u32 v10, v10, 23, v12
	v_or3_b32 v6, v7, v10, v6
	v_lshrrev_b32_e32 v12, 16, v6
.LBB735_648:
	s_or_b64 exec, exec, s[8:9]
.LBB735_649:
	s_or_b64 exec, exec, s[6:7]
.LBB735_650:
	s_or_b64 exec, exec, s[0:1]
	v_lshrrev_b16_e32 v6, 8, v8
	v_cmp_ne_u16_e32 vcc, 0, v6
	s_and_saveexec_b64 s[0:1], vcc
	s_cbranch_execz .LBB735_656
; %bb.651:
	s_movk_i32 s3, 0x80
	v_cmp_ne_u16_e32 vcc, s3, v6
	v_mov_b32_e32 v11, 0xffff8000
	s_and_saveexec_b64 s[6:7], vcc
	s_cbranch_execz .LBB735_655
; %bb.652:
	s_movk_i32 s3, 0x7f
	v_and_b32_e32 v7, 0x7f, v6
	v_cmp_ne_u32_e32 vcc, s3, v7
	v_mov_b32_e32 v11, 0x7f80
	s_and_saveexec_b64 s[8:9], vcc
	s_cbranch_execz .LBB735_654
; %bb.653:
	v_and_b32_e32 v13, 7, v6
	v_ffbh_u32_e32 v10, v13
	v_min_u32_e32 v17, 32, v10
	v_subrev_u32_e32 v10, 28, v17
	v_lshlrev_b64 v[10:11], v10, v[6:7]
	v_lshrrev_b32_e32 v16, 3, v7
	v_sub_u32_e32 v6, 29, v17
	v_and_b32_e32 v10, 7, v10
	v_cmp_gt_u32_e32 vcc, 8, v7
	v_cndmask_b32_e32 v6, v16, v6, vcc
	v_cndmask_b32_e32 v7, v13, v10, vcc
	v_lshlrev_b32_e32 v10, 16, v8
	v_bfrev_b32_e32 v11, 60
	v_lshlrev_b32_e32 v7, 20, v7
	v_and_b32_e32 v10, 0x80000000, v10
	v_lshl_add_u32 v6, v6, 23, v11
	v_or3_b32 v6, v10, v6, v7
	v_lshrrev_b32_e32 v11, 16, v6
.LBB735_654:
	s_or_b64 exec, exec, s[8:9]
.LBB735_655:
	s_or_b64 exec, exec, s[6:7]
.LBB735_656:
	s_or_b64 exec, exec, s[0:1]
	s_movk_i32 s0, 0xff
	v_and_b32_sdwa v10, v8, s0 dst_sel:DWORD dst_unused:UNUSED_PAD src0_sel:WORD_1 src1_sel:DWORD
	v_lshrrev_b32_e32 v6, 16, v8
	v_cmp_ne_u16_e32 vcc, 0, v10
	v_mov_b32_e32 v7, 0
	v_mov_b32_e32 v13, 0
	s_and_saveexec_b64 s[0:1], vcc
	s_cbranch_execz .LBB735_662
; %bb.657:
	s_movk_i32 s3, 0x80
	v_cmp_ne_u16_e32 vcc, s3, v10
	v_mov_b32_e32 v13, 0xffff8000
	s_and_saveexec_b64 s[6:7], vcc
	s_cbranch_execz .LBB735_661
; %bb.658:
	v_bfe_u32 v10, v8, 16, 7
	s_movk_i32 s3, 0x7f
	v_cmp_ne_u32_e32 vcc, s3, v10
	v_mov_b32_e32 v13, 0x7f80
	s_and_saveexec_b64 s[8:9], vcc
	s_cbranch_execz .LBB735_660
; %bb.659:
	v_and_b32_e32 v13, 7, v6
	v_ffbh_u32_e32 v16, v13
	v_min_u32_e32 v19, 32, v16
	v_subrev_u32_e32 v16, 28, v19
	v_lshlrev_b64 v[16:17], v16, v[6:7]
	v_and_b32_e32 v16, 7, v16
	v_cmp_gt_u32_e32 vcc, 8, v10
	v_lshrrev_b32_e32 v18, 3, v10
	v_sub_u32_e32 v6, 29, v19
	v_cndmask_b32_e32 v10, v13, v16, vcc
	v_mov_b32_e32 v13, 24
	v_cndmask_b32_e32 v6, v18, v6, vcc
	v_lshlrev_b32_sdwa v13, v13, v8 dst_sel:DWORD dst_unused:UNUSED_PAD src0_sel:DWORD src1_sel:WORD_1
	v_bfrev_b32_e32 v16, 60
	v_lshlrev_b32_e32 v10, 20, v10
	v_and_b32_e32 v13, 0x80000000, v13
	v_lshl_add_u32 v6, v6, 23, v16
	v_or3_b32 v6, v13, v6, v10
	v_lshrrev_b32_e32 v13, 16, v6
.LBB735_660:
	s_or_b64 exec, exec, s[8:9]
.LBB735_661:
	s_or_b64 exec, exec, s[6:7]
.LBB735_662:
	s_or_b64 exec, exec, s[0:1]
	s_mov_b32 s0, 0xffffff
	v_cmp_lt_u32_e32 vcc, s0, v8
	v_mov_b32_e32 v16, 0
	s_and_saveexec_b64 s[0:1], vcc
	s_cbranch_execz .LBB735_668
; %bb.663:
	v_lshrrev_b32_e32 v6, 24, v8
	s_movk_i32 s3, 0x80
	v_cmp_ne_u32_e32 vcc, s3, v6
	v_mov_b32_e32 v16, 0xffff8000
	s_and_saveexec_b64 s[6:7], vcc
	s_cbranch_execz .LBB735_667
; %bb.664:
	v_bfe_u32 v10, v8, 24, 7
	s_movk_i32 s3, 0x7f
	v_cmp_ne_u32_e32 vcc, s3, v10
	v_mov_b32_e32 v16, 0x7f80
	s_and_saveexec_b64 s[8:9], vcc
	s_cbranch_execz .LBB735_666
; %bb.665:
	v_and_b32_e32 v18, 7, v6
	v_ffbh_u32_e32 v16, v18
	v_min_u32_e32 v20, 32, v16
	v_subrev_u32_e32 v16, 28, v20
	v_lshlrev_b64 v[16:17], v16, v[6:7]
	v_lshrrev_b32_e32 v19, 3, v10
	v_sub_u32_e32 v17, 29, v20
	v_and_b32_e32 v16, 7, v16
	v_cmp_gt_u32_e32 vcc, 8, v10
	v_cndmask_b32_e32 v10, v19, v17, vcc
	v_cndmask_b32_e32 v16, v18, v16, vcc
	v_lshlrev_b32_e32 v6, 24, v6
	v_bfrev_b32_e32 v17, 60
	v_lshlrev_b32_e32 v16, 20, v16
	v_and_b32_e32 v6, 0x80000000, v6
	v_lshl_add_u32 v10, v10, 23, v17
	v_or3_b32 v6, v6, v10, v16
	v_lshrrev_b32_e32 v16, 16, v6
.LBB735_666:
	s_or_b64 exec, exec, s[8:9]
.LBB735_667:
	s_or_b64 exec, exec, s[6:7]
.LBB735_668:
	s_or_b64 exec, exec, s[0:1]
	v_mov_b32_e32 v17, 0
	v_mov_b32_e32 v6, v9
	v_cmp_ne_u16_sdwa s[6:7], v9, v17 src0_sel:BYTE_0 src1_sel:DWORD
	v_mov_b32_e32 v18, 0
	s_and_saveexec_b64 s[0:1], s[6:7]
	s_cbranch_execz .LBB735_674
; %bb.669:
	s_movk_i32 s3, 0x80
	v_cmp_ne_u16_sdwa s[8:9], v9, s3 src0_sel:BYTE_0 src1_sel:DWORD
	v_mov_b32_e32 v18, 0xffff8000
	s_and_saveexec_b64 s[6:7], s[8:9]
	s_cbranch_execz .LBB735_673
; %bb.670:
	s_movk_i32 s3, 0x7f
	v_and_b32_e32 v10, 0x7f, v9
	v_cmp_ne_u32_e32 vcc, s3, v10
	v_mov_b32_e32 v18, 0x7f80
	s_and_saveexec_b64 s[8:9], vcc
	s_cbranch_execz .LBB735_672
; %bb.671:
	v_and_b32_e32 v18, 7, v9
	v_ffbh_u32_e32 v18, v18
	v_min_u32_e32 v18, 32, v18
	v_lshrrev_b32_e32 v19, 3, v10
	v_subrev_u32_e32 v20, 28, v18
	v_sub_u32_e32 v18, 29, v18
	v_cmp_gt_u32_e32 vcc, 8, v10
	v_cndmask_b32_e32 v10, v19, v18, vcc
	v_cndmask_b32_e32 v18, 0, v20, vcc
	v_lshlrev_b64 v[18:19], v18, v[6:7]
	v_lshlrev_b32_e32 v7, 20, v18
	v_lshlrev_b32_e32 v18, 24, v6
	v_bfrev_b32_e32 v19, 60
	v_and_b32_e32 v7, 0x700000, v7
	v_and_b32_e32 v18, 0x80000000, v18
	v_lshl_add_u32 v10, v10, 23, v19
	v_or3_b32 v7, v18, v10, v7
	v_lshrrev_b32_e32 v18, 16, v7
.LBB735_672:
	s_or_b64 exec, exec, s[8:9]
.LBB735_673:
	s_or_b64 exec, exec, s[6:7]
.LBB735_674:
	s_or_b64 exec, exec, s[0:1]
	v_lshrrev_b16_e32 v10, 8, v6
	v_cmp_ne_u16_e32 vcc, 0, v10
	s_and_saveexec_b64 s[0:1], vcc
	s_cbranch_execz .LBB735_680
; %bb.675:
	s_movk_i32 s3, 0x80
	v_cmp_ne_u16_e32 vcc, s3, v10
	v_mov_b32_e32 v17, 0xffff8000
	s_and_saveexec_b64 s[6:7], vcc
	s_cbranch_execz .LBB735_679
; %bb.676:
	s_movk_i32 s3, 0x7f
	v_and_b32_e32 v7, 0x7f, v10
	v_cmp_ne_u32_e32 vcc, s3, v7
	v_mov_b32_e32 v17, 0x7f80
	s_and_saveexec_b64 s[8:9], vcc
	s_cbranch_execz .LBB735_678
; %bb.677:
	v_and_b32_e32 v17, 7, v10
	v_ffbh_u32_e32 v20, v17
	v_min_u32_e32 v22, 32, v20
	v_subrev_u32_e32 v20, 28, v22
	v_lshlrev_b64 v[20:21], v20, v[10:11]
	v_lshrrev_b32_e32 v19, 3, v7
	v_sub_u32_e32 v10, 29, v22
	v_and_b32_e32 v20, 7, v20
	v_cmp_gt_u32_e32 vcc, 8, v7
	v_cndmask_b32_e32 v7, v19, v10, vcc
	v_cndmask_b32_e32 v10, v17, v20, vcc
	v_lshlrev_b32_e32 v6, 16, v6
	v_bfrev_b32_e32 v17, 60
	v_lshlrev_b32_e32 v10, 20, v10
	v_and_b32_e32 v6, 0x80000000, v6
	v_lshl_add_u32 v7, v7, 23, v17
	v_or3_b32 v6, v6, v7, v10
	v_lshrrev_b32_e32 v17, 16, v6
.LBB735_678:
	s_or_b64 exec, exec, s[8:9]
.LBB735_679:
	s_or_b64 exec, exec, s[6:7]
.LBB735_680:
	s_or_b64 exec, exec, s[0:1]
	s_movk_i32 s0, 0xff
	v_and_b32_sdwa v19, v9, s0 dst_sel:DWORD dst_unused:UNUSED_PAD src0_sel:WORD_1 src1_sel:DWORD
	v_lshrrev_b32_e32 v6, 16, v9
	v_cmp_ne_u16_e32 vcc, 0, v19
	v_mov_b32_e32 v7, 0
	v_mov_b32_e32 v10, 0
	s_and_saveexec_b64 s[0:1], vcc
	s_cbranch_execz .LBB735_686
; %bb.681:
	s_movk_i32 s3, 0x80
	v_cmp_ne_u16_e32 vcc, s3, v19
	v_mov_b32_e32 v10, 0xffff8000
	s_and_saveexec_b64 s[6:7], vcc
	s_cbranch_execz .LBB735_685
; %bb.682:
	v_bfe_u32 v19, v9, 16, 7
	s_movk_i32 s3, 0x7f
	v_cmp_ne_u32_e32 vcc, s3, v19
	v_mov_b32_e32 v10, 0x7f80
	s_and_saveexec_b64 s[8:9], vcc
	s_cbranch_execz .LBB735_684
; %bb.683:
	v_and_b32_e32 v10, 7, v6
	v_ffbh_u32_e32 v20, v10
	v_min_u32_e32 v23, 32, v20
	v_subrev_u32_e32 v20, 28, v23
	v_lshlrev_b64 v[20:21], v20, v[6:7]
	v_lshrrev_b32_e32 v22, 3, v19
	v_sub_u32_e32 v6, 29, v23
	v_and_b32_e32 v20, 7, v20
	v_cmp_gt_u32_e32 vcc, 8, v19
	v_mov_b32_e32 v19, 24
	v_cndmask_b32_e32 v6, v22, v6, vcc
	v_cndmask_b32_e32 v10, v10, v20, vcc
	v_lshlrev_b32_sdwa v19, v19, v9 dst_sel:DWORD dst_unused:UNUSED_PAD src0_sel:DWORD src1_sel:WORD_1
	v_bfrev_b32_e32 v20, 60
	v_lshlrev_b32_e32 v10, 20, v10
	v_and_b32_e32 v19, 0x80000000, v19
	v_lshl_add_u32 v6, v6, 23, v20
	v_or3_b32 v6, v19, v6, v10
	v_lshrrev_b32_e32 v10, 16, v6
.LBB735_684:
	s_or_b64 exec, exec, s[8:9]
.LBB735_685:
	s_or_b64 exec, exec, s[6:7]
.LBB735_686:
	s_or_b64 exec, exec, s[0:1]
	s_mov_b32 s0, -1
	s_mov_b32 s1, 0xffffff
	v_cmp_lt_u64_e32 vcc, s[0:1], v[8:9]
	s_and_saveexec_b64 s[0:1], vcc
	s_cbranch_execz .LBB735_692
; %bb.687:
	v_lshrrev_b32_e32 v6, 24, v9
	s_movk_i32 s3, 0x80
	v_cmp_ne_u32_e32 vcc, s3, v6
	v_mov_b32_e32 v7, 0xffff8000
	s_and_saveexec_b64 s[6:7], vcc
	s_cbranch_execz .LBB735_691
; %bb.688:
	v_bfe_u32 v8, v9, 24, 7
	s_movk_i32 s3, 0x7f
	v_cmp_ne_u32_e32 vcc, s3, v8
	v_mov_b32_e32 v7, 0x7f80
	s_and_saveexec_b64 s[8:9], vcc
	s_cbranch_execz .LBB735_690
; %bb.689:
	v_and_b32_e32 v7, 7, v6
	v_ffbh_u32_e32 v19, v7
	v_min_u32_e32 v19, 32, v19
	v_subrev_u32_e32 v20, 28, v19
	v_lshlrev_b64 v[20:21], v20, v[6:7]
	v_lshrrev_b32_e32 v9, 3, v8
	v_sub_u32_e32 v19, 29, v19
	v_and_b32_e32 v20, 7, v20
	v_cmp_gt_u32_e32 vcc, 8, v8
	v_cndmask_b32_e32 v8, v9, v19, vcc
	v_cndmask_b32_e32 v7, v7, v20, vcc
	v_lshlrev_b32_e32 v6, 24, v6
	v_bfrev_b32_e32 v9, 60
	v_lshlrev_b32_e32 v7, 20, v7
	v_and_b32_e32 v6, 0x80000000, v6
	v_lshl_add_u32 v8, v8, 23, v9
	v_or3_b32 v6, v6, v8, v7
	v_lshrrev_b32_e32 v7, 16, v6
.LBB735_690:
	s_or_b64 exec, exec, s[8:9]
.LBB735_691:
	s_or_b64 exec, exec, s[6:7]
.LBB735_692:
	s_or_b64 exec, exec, s[0:1]
	s_mov_b32 s0, 0x5040100
	v_perm_b32 v9, v16, v13, s0
	v_perm_b32 v8, v11, v12, s0
	;; [unrolled: 1-line block ×4, first 2 shown]
	v_mfma_f32_4x4x4bf16_1k a[0:3], v[14:15], v[8:9], a[0:3] cbsz:4 abid:10
	v_mov_b32_e32 v9, 0
	v_mfma_f32_4x4x4bf16_1k a[0:3], v[14:15], v[6:7], a[0:3] cbsz:4 abid:11
	v_cmp_ne_u16_sdwa s[6:7], v2, v9 src0_sel:BYTE_0 src1_sel:DWORD
	v_mov_b32_e32 v10, 0
	s_and_saveexec_b64 s[0:1], s[6:7]
	s_cbranch_execz .LBB735_698
; %bb.693:
	s_movk_i32 s3, 0x80
	v_cmp_ne_u16_sdwa s[8:9], v2, s3 src0_sel:BYTE_0 src1_sel:DWORD
	v_mov_b32_e32 v10, 0xffff8000
	s_and_saveexec_b64 s[6:7], s[8:9]
	s_cbranch_execz .LBB735_697
; %bb.694:
	s_movk_i32 s3, 0x7f
	v_and_b32_e32 v6, 0x7f, v2
	v_cmp_ne_u32_e32 vcc, s3, v6
	v_mov_b32_e32 v10, 0x7f80
	s_and_saveexec_b64 s[8:9], vcc
	s_cbranch_execz .LBB735_696
; %bb.695:
	v_and_b32_e32 v7, 7, v2
	v_ffbh_u32_e32 v7, v7
	v_min_u32_e32 v7, 32, v7
	v_subrev_u32_e32 v10, 28, v7
	v_cmp_gt_u32_e32 vcc, 8, v6
	v_lshrrev_b32_e32 v8, 3, v6
	v_sub_u32_e32 v7, 29, v7
	v_cndmask_b32_e32 v6, 0, v10, vcc
	v_cndmask_b32_e32 v8, v8, v7, vcc
	v_lshlrev_b64 v[6:7], v6, v[2:3]
	v_lshlrev_b32_e32 v6, 20, v6
	v_lshlrev_b32_e32 v7, 24, v2
	v_bfrev_b32_e32 v10, 60
	v_and_b32_e32 v6, 0x700000, v6
	v_and_b32_e32 v7, 0x80000000, v7
	v_lshl_add_u32 v8, v8, 23, v10
	v_or3_b32 v6, v7, v8, v6
	v_lshrrev_b32_e32 v10, 16, v6
.LBB735_696:
	s_or_b64 exec, exec, s[8:9]
.LBB735_697:
	s_or_b64 exec, exec, s[6:7]
.LBB735_698:
	s_or_b64 exec, exec, s[0:1]
	v_lshrrev_b16_e32 v6, 8, v2
	v_cmp_ne_u16_e32 vcc, 0, v6
	s_and_saveexec_b64 s[0:1], vcc
	s_cbranch_execz .LBB735_704
; %bb.699:
	s_movk_i32 s3, 0x80
	v_cmp_ne_u16_e32 vcc, s3, v6
	v_mov_b32_e32 v9, 0xffff8000
	s_and_saveexec_b64 s[6:7], vcc
	s_cbranch_execz .LBB735_703
; %bb.700:
	s_movk_i32 s3, 0x7f
	v_and_b32_e32 v7, 0x7f, v6
	v_cmp_ne_u32_e32 vcc, s3, v7
	v_mov_b32_e32 v9, 0x7f80
	s_and_saveexec_b64 s[8:9], vcc
	s_cbranch_execz .LBB735_702
; %bb.701:
	v_and_b32_e32 v11, 7, v6
	v_ffbh_u32_e32 v8, v11
	v_min_u32_e32 v13, 32, v8
	v_subrev_u32_e32 v8, 28, v13
	v_lshlrev_b64 v[8:9], v8, v[6:7]
	v_lshrrev_b32_e32 v12, 3, v7
	v_sub_u32_e32 v6, 29, v13
	v_and_b32_e32 v8, 7, v8
	v_cmp_gt_u32_e32 vcc, 8, v7
	v_cndmask_b32_e32 v6, v12, v6, vcc
	v_cndmask_b32_e32 v7, v11, v8, vcc
	v_lshlrev_b32_e32 v8, 16, v2
	v_bfrev_b32_e32 v9, 60
	v_lshlrev_b32_e32 v7, 20, v7
	v_and_b32_e32 v8, 0x80000000, v8
	v_lshl_add_u32 v6, v6, 23, v9
	v_or3_b32 v6, v8, v6, v7
	v_lshrrev_b32_e32 v9, 16, v6
.LBB735_702:
	s_or_b64 exec, exec, s[8:9]
.LBB735_703:
	s_or_b64 exec, exec, s[6:7]
.LBB735_704:
	s_or_b64 exec, exec, s[0:1]
	s_movk_i32 s0, 0xff
	v_and_b32_sdwa v8, v2, s0 dst_sel:DWORD dst_unused:UNUSED_PAD src0_sel:WORD_1 src1_sel:DWORD
	v_lshrrev_b32_e32 v6, 16, v2
	v_cmp_ne_u16_e32 vcc, 0, v8
	v_mov_b32_e32 v7, 0
	v_mov_b32_e32 v11, 0
	s_and_saveexec_b64 s[0:1], vcc
	s_cbranch_execz .LBB735_710
; %bb.705:
	s_movk_i32 s3, 0x80
	v_cmp_ne_u16_e32 vcc, s3, v8
	v_mov_b32_e32 v11, 0xffff8000
	s_and_saveexec_b64 s[6:7], vcc
	s_cbranch_execz .LBB735_709
; %bb.706:
	v_bfe_u32 v8, v2, 16, 7
	s_movk_i32 s3, 0x7f
	v_cmp_ne_u32_e32 vcc, s3, v8
	v_mov_b32_e32 v11, 0x7f80
	s_and_saveexec_b64 s[8:9], vcc
	s_cbranch_execz .LBB735_708
; %bb.707:
	v_and_b32_e32 v11, 7, v6
	v_ffbh_u32_e32 v12, v11
	v_min_u32_e32 v17, 32, v12
	v_subrev_u32_e32 v12, 28, v17
	v_lshlrev_b64 v[12:13], v12, v[6:7]
	v_and_b32_e32 v12, 7, v12
	v_cmp_gt_u32_e32 vcc, 8, v8
	v_lshrrev_b32_e32 v16, 3, v8
	v_sub_u32_e32 v6, 29, v17
	v_cndmask_b32_e32 v8, v11, v12, vcc
	v_mov_b32_e32 v11, 24
	v_cndmask_b32_e32 v6, v16, v6, vcc
	v_lshlrev_b32_sdwa v11, v11, v2 dst_sel:DWORD dst_unused:UNUSED_PAD src0_sel:DWORD src1_sel:WORD_1
	v_bfrev_b32_e32 v12, 60
	v_lshlrev_b32_e32 v8, 20, v8
	v_and_b32_e32 v11, 0x80000000, v11
	v_lshl_add_u32 v6, v6, 23, v12
	v_or3_b32 v6, v11, v6, v8
	v_lshrrev_b32_e32 v11, 16, v6
.LBB735_708:
	s_or_b64 exec, exec, s[8:9]
.LBB735_709:
	s_or_b64 exec, exec, s[6:7]
.LBB735_710:
	s_or_b64 exec, exec, s[0:1]
	s_mov_b32 s0, 0xffffff
	v_cmp_lt_u32_e32 vcc, s0, v2
	v_mov_b32_e32 v12, 0
	s_and_saveexec_b64 s[0:1], vcc
	s_cbranch_execz .LBB735_716
; %bb.711:
	v_lshrrev_b32_e32 v6, 24, v2
	s_movk_i32 s3, 0x80
	v_cmp_ne_u32_e32 vcc, s3, v6
	v_mov_b32_e32 v12, 0xffff8000
	s_and_saveexec_b64 s[6:7], vcc
	s_cbranch_execz .LBB735_715
; %bb.712:
	v_bfe_u32 v8, v2, 24, 7
	s_movk_i32 s3, 0x7f
	v_cmp_ne_u32_e32 vcc, s3, v8
	v_mov_b32_e32 v12, 0x7f80
	s_and_saveexec_b64 s[8:9], vcc
	s_cbranch_execz .LBB735_714
; %bb.713:
	v_and_b32_e32 v16, 7, v6
	v_ffbh_u32_e32 v12, v16
	v_min_u32_e32 v18, 32, v12
	v_subrev_u32_e32 v12, 28, v18
	v_lshlrev_b64 v[12:13], v12, v[6:7]
	v_lshrrev_b32_e32 v17, 3, v8
	v_sub_u32_e32 v13, 29, v18
	v_and_b32_e32 v12, 7, v12
	v_cmp_gt_u32_e32 vcc, 8, v8
	v_cndmask_b32_e32 v8, v17, v13, vcc
	v_cndmask_b32_e32 v12, v16, v12, vcc
	v_lshlrev_b32_e32 v6, 24, v6
	v_bfrev_b32_e32 v13, 60
	v_lshlrev_b32_e32 v12, 20, v12
	v_and_b32_e32 v6, 0x80000000, v6
	v_lshl_add_u32 v8, v8, 23, v13
	v_or3_b32 v6, v6, v8, v12
	v_lshrrev_b32_e32 v12, 16, v6
.LBB735_714:
	s_or_b64 exec, exec, s[8:9]
.LBB735_715:
	s_or_b64 exec, exec, s[6:7]
.LBB735_716:
	s_or_b64 exec, exec, s[0:1]
	v_mov_b32_e32 v13, 0
	v_mov_b32_e32 v6, v3
	v_cmp_ne_u16_sdwa s[6:7], v3, v13 src0_sel:BYTE_0 src1_sel:DWORD
	v_mov_b32_e32 v16, 0
	s_and_saveexec_b64 s[0:1], s[6:7]
	s_cbranch_execz .LBB735_722
; %bb.717:
	s_movk_i32 s3, 0x80
	v_cmp_ne_u16_sdwa s[8:9], v3, s3 src0_sel:BYTE_0 src1_sel:DWORD
	v_mov_b32_e32 v16, 0xffff8000
	s_and_saveexec_b64 s[6:7], s[8:9]
	s_cbranch_execz .LBB735_721
; %bb.718:
	s_movk_i32 s3, 0x7f
	v_and_b32_e32 v8, 0x7f, v3
	v_cmp_ne_u32_e32 vcc, s3, v8
	v_mov_b32_e32 v16, 0x7f80
	s_and_saveexec_b64 s[8:9], vcc
	s_cbranch_execz .LBB735_720
; %bb.719:
	v_and_b32_e32 v16, 7, v3
	v_ffbh_u32_e32 v16, v16
	v_min_u32_e32 v16, 32, v16
	v_lshrrev_b32_e32 v17, 3, v8
	v_subrev_u32_e32 v18, 28, v16
	v_sub_u32_e32 v16, 29, v16
	v_cmp_gt_u32_e32 vcc, 8, v8
	v_cndmask_b32_e32 v8, v17, v16, vcc
	v_cndmask_b32_e32 v16, 0, v18, vcc
	v_lshlrev_b64 v[16:17], v16, v[6:7]
	v_lshlrev_b32_e32 v7, 20, v16
	v_lshlrev_b32_e32 v16, 24, v6
	v_bfrev_b32_e32 v17, 60
	v_and_b32_e32 v7, 0x700000, v7
	v_and_b32_e32 v16, 0x80000000, v16
	v_lshl_add_u32 v8, v8, 23, v17
	v_or3_b32 v7, v16, v8, v7
	v_lshrrev_b32_e32 v16, 16, v7
.LBB735_720:
	s_or_b64 exec, exec, s[8:9]
.LBB735_721:
	s_or_b64 exec, exec, s[6:7]
.LBB735_722:
	s_or_b64 exec, exec, s[0:1]
	v_lshrrev_b16_e32 v8, 8, v6
	v_cmp_ne_u16_e32 vcc, 0, v8
	s_and_saveexec_b64 s[0:1], vcc
	s_cbranch_execz .LBB735_728
; %bb.723:
	s_movk_i32 s3, 0x80
	v_cmp_ne_u16_e32 vcc, s3, v8
	v_mov_b32_e32 v13, 0xffff8000
	s_and_saveexec_b64 s[6:7], vcc
	s_cbranch_execz .LBB735_727
; %bb.724:
	s_movk_i32 s3, 0x7f
	v_and_b32_e32 v7, 0x7f, v8
	v_cmp_ne_u32_e32 vcc, s3, v7
	v_mov_b32_e32 v13, 0x7f80
	s_and_saveexec_b64 s[8:9], vcc
	s_cbranch_execz .LBB735_726
; %bb.725:
	v_and_b32_e32 v13, 7, v8
	v_ffbh_u32_e32 v18, v13
	v_min_u32_e32 v20, 32, v18
	v_subrev_u32_e32 v18, 28, v20
	v_lshlrev_b64 v[18:19], v18, v[8:9]
	v_lshrrev_b32_e32 v17, 3, v7
	v_sub_u32_e32 v8, 29, v20
	v_and_b32_e32 v18, 7, v18
	v_cmp_gt_u32_e32 vcc, 8, v7
	v_cndmask_b32_e32 v7, v17, v8, vcc
	v_cndmask_b32_e32 v8, v13, v18, vcc
	v_lshlrev_b32_e32 v6, 16, v6
	v_bfrev_b32_e32 v13, 60
	v_lshlrev_b32_e32 v8, 20, v8
	v_and_b32_e32 v6, 0x80000000, v6
	v_lshl_add_u32 v7, v7, 23, v13
	v_or3_b32 v6, v6, v7, v8
	v_lshrrev_b32_e32 v13, 16, v6
.LBB735_726:
	s_or_b64 exec, exec, s[8:9]
.LBB735_727:
	s_or_b64 exec, exec, s[6:7]
.LBB735_728:
	s_or_b64 exec, exec, s[0:1]
	s_movk_i32 s0, 0xff
	v_and_b32_sdwa v17, v3, s0 dst_sel:DWORD dst_unused:UNUSED_PAD src0_sel:WORD_1 src1_sel:DWORD
	v_lshrrev_b32_e32 v6, 16, v3
	v_cmp_ne_u16_e32 vcc, 0, v17
	v_mov_b32_e32 v7, 0
	v_mov_b32_e32 v8, 0
	s_and_saveexec_b64 s[0:1], vcc
	s_cbranch_execz .LBB735_734
; %bb.729:
	s_movk_i32 s3, 0x80
	v_cmp_ne_u16_e32 vcc, s3, v17
	v_mov_b32_e32 v8, 0xffff8000
	s_and_saveexec_b64 s[6:7], vcc
	s_cbranch_execz .LBB735_733
; %bb.730:
	v_bfe_u32 v17, v3, 16, 7
	s_movk_i32 s3, 0x7f
	v_cmp_ne_u32_e32 vcc, s3, v17
	v_mov_b32_e32 v8, 0x7f80
	s_and_saveexec_b64 s[8:9], vcc
	s_cbranch_execz .LBB735_732
; %bb.731:
	v_and_b32_e32 v8, 7, v6
	v_ffbh_u32_e32 v18, v8
	v_min_u32_e32 v21, 32, v18
	v_subrev_u32_e32 v18, 28, v21
	v_lshlrev_b64 v[18:19], v18, v[6:7]
	v_lshrrev_b32_e32 v20, 3, v17
	v_sub_u32_e32 v6, 29, v21
	v_and_b32_e32 v18, 7, v18
	v_cmp_gt_u32_e32 vcc, 8, v17
	v_mov_b32_e32 v17, 24
	v_cndmask_b32_e32 v6, v20, v6, vcc
	v_cndmask_b32_e32 v8, v8, v18, vcc
	v_lshlrev_b32_sdwa v17, v17, v3 dst_sel:DWORD dst_unused:UNUSED_PAD src0_sel:DWORD src1_sel:WORD_1
	v_bfrev_b32_e32 v18, 60
	v_lshlrev_b32_e32 v8, 20, v8
	v_and_b32_e32 v17, 0x80000000, v17
	v_lshl_add_u32 v6, v6, 23, v18
	v_or3_b32 v6, v17, v6, v8
	v_lshrrev_b32_e32 v8, 16, v6
.LBB735_732:
	s_or_b64 exec, exec, s[8:9]
.LBB735_733:
	s_or_b64 exec, exec, s[6:7]
.LBB735_734:
	s_or_b64 exec, exec, s[0:1]
	s_mov_b32 s0, -1
	s_mov_b32 s1, 0xffffff
	v_cmp_lt_u64_e32 vcc, s[0:1], v[2:3]
	s_and_saveexec_b64 s[0:1], vcc
	s_cbranch_execz .LBB735_740
; %bb.735:
	v_lshrrev_b32_e32 v2, 24, v3
	s_movk_i32 s3, 0x80
	v_cmp_ne_u32_e32 vcc, s3, v2
	v_mov_b32_e32 v7, 0xffff8000
	s_and_saveexec_b64 s[6:7], vcc
	s_cbranch_execz .LBB735_739
; %bb.736:
	v_bfe_u32 v3, v3, 24, 7
	s_movk_i32 s3, 0x7f
	v_cmp_ne_u32_e32 vcc, s3, v3
	v_mov_b32_e32 v7, 0x7f80
	s_and_saveexec_b64 s[8:9], vcc
	s_cbranch_execz .LBB735_738
; %bb.737:
	v_and_b32_e32 v17, 7, v2
	v_ffbh_u32_e32 v6, v17
	v_min_u32_e32 v19, 32, v6
	v_subrev_u32_e32 v6, 28, v19
	v_lshlrev_b64 v[6:7], v6, v[2:3]
	v_lshrrev_b32_e32 v18, 3, v3
	v_sub_u32_e32 v7, 29, v19
	v_and_b32_e32 v6, 7, v6
	v_cmp_gt_u32_e32 vcc, 8, v3
	v_cndmask_b32_e32 v3, v18, v7, vcc
	v_cndmask_b32_e32 v6, v17, v6, vcc
	v_lshlrev_b32_e32 v2, 24, v2
	v_bfrev_b32_e32 v7, 60
	v_lshlrev_b32_e32 v6, 20, v6
	v_and_b32_e32 v2, 0x80000000, v2
	v_lshl_add_u32 v3, v3, 23, v7
	v_or3_b32 v2, v2, v3, v6
	v_lshrrev_b32_e32 v7, 16, v2
.LBB735_738:
	s_or_b64 exec, exec, s[8:9]
.LBB735_739:
	s_or_b64 exec, exec, s[6:7]
.LBB735_740:
	s_or_b64 exec, exec, s[0:1]
	s_mov_b32 s0, 0x5040100
	v_perm_b32 v3, v12, v11, s0
	v_perm_b32 v2, v9, v10, s0
	;; [unrolled: 1-line block ×4, first 2 shown]
	v_mfma_f32_4x4x4bf16_1k a[0:3], v[14:15], v[2:3], a[0:3] cbsz:4 abid:12
	v_mov_b32_e32 v8, 0
	v_mfma_f32_4x4x4bf16_1k a[0:3], v[14:15], v[6:7], a[0:3] cbsz:4 abid:13
	v_mov_b32_e32 v7, 0
	v_cmp_ne_u16_sdwa s[6:7], v4, v7 src0_sel:BYTE_0 src1_sel:DWORD
	s_and_saveexec_b64 s[0:1], s[6:7]
	s_cbranch_execz .LBB735_746
; %bb.741:
	s_movk_i32 s3, 0x80
	v_cmp_ne_u16_sdwa s[8:9], v4, s3 src0_sel:BYTE_0 src1_sel:DWORD
	v_mov_b32_e32 v8, 0xffff8000
	s_and_saveexec_b64 s[6:7], s[8:9]
	s_cbranch_execz .LBB735_745
; %bb.742:
	s_movk_i32 s3, 0x7f
	v_and_b32_e32 v2, 0x7f, v4
	v_cmp_ne_u32_e32 vcc, s3, v2
	v_mov_b32_e32 v8, 0x7f80
	s_and_saveexec_b64 s[8:9], vcc
	s_cbranch_execz .LBB735_744
; %bb.743:
	v_and_b32_e32 v3, 7, v4
	v_ffbh_u32_e32 v3, v3
	v_min_u32_e32 v3, 32, v3
	v_subrev_u32_e32 v8, 28, v3
	v_cmp_gt_u32_e32 vcc, 8, v2
	v_lshrrev_b32_e32 v6, 3, v2
	v_sub_u32_e32 v3, 29, v3
	v_cndmask_b32_e32 v2, 0, v8, vcc
	v_cndmask_b32_e32 v6, v6, v3, vcc
	v_lshlrev_b64 v[2:3], v2, v[4:5]
	v_lshlrev_b32_e32 v2, 20, v2
	v_lshlrev_b32_e32 v3, 24, v4
	v_bfrev_b32_e32 v8, 60
	v_and_b32_e32 v2, 0x700000, v2
	v_and_b32_e32 v3, 0x80000000, v3
	v_lshl_add_u32 v6, v6, 23, v8
	v_or3_b32 v2, v3, v6, v2
	v_lshrrev_b32_e32 v8, 16, v2
.LBB735_744:
	s_or_b64 exec, exec, s[8:9]
.LBB735_745:
	s_or_b64 exec, exec, s[6:7]
.LBB735_746:
	s_or_b64 exec, exec, s[0:1]
	v_lshrrev_b16_e32 v2, 8, v4
	v_cmp_ne_u16_e32 vcc, 0, v2
	s_and_saveexec_b64 s[0:1], vcc
	s_cbranch_execz .LBB735_752
; %bb.747:
	s_movk_i32 s3, 0x80
	v_cmp_ne_u16_e32 vcc, s3, v2
	v_mov_b32_e32 v7, 0xffff8000
	s_and_saveexec_b64 s[6:7], vcc
	s_cbranch_execz .LBB735_751
; %bb.748:
	s_movk_i32 s3, 0x7f
	v_and_b32_e32 v3, 0x7f, v2
	v_cmp_ne_u32_e32 vcc, s3, v3
	v_mov_b32_e32 v7, 0x7f80
	s_and_saveexec_b64 s[8:9], vcc
	s_cbranch_execz .LBB735_750
; %bb.749:
	v_and_b32_e32 v9, 7, v2
	v_ffbh_u32_e32 v6, v9
	v_min_u32_e32 v11, 32, v6
	v_subrev_u32_e32 v6, 28, v11
	v_lshlrev_b64 v[6:7], v6, v[2:3]
	v_lshrrev_b32_e32 v10, 3, v3
	v_sub_u32_e32 v2, 29, v11
	v_and_b32_e32 v6, 7, v6
	v_cmp_gt_u32_e32 vcc, 8, v3
	v_cndmask_b32_e32 v2, v10, v2, vcc
	v_cndmask_b32_e32 v3, v9, v6, vcc
	v_lshlrev_b32_e32 v6, 16, v4
	v_bfrev_b32_e32 v7, 60
	v_lshlrev_b32_e32 v3, 20, v3
	v_and_b32_e32 v6, 0x80000000, v6
	v_lshl_add_u32 v2, v2, 23, v7
	v_or3_b32 v2, v6, v2, v3
	v_lshrrev_b32_e32 v7, 16, v2
.LBB735_750:
	s_or_b64 exec, exec, s[8:9]
.LBB735_751:
	s_or_b64 exec, exec, s[6:7]
.LBB735_752:
	s_or_b64 exec, exec, s[0:1]
	s_movk_i32 s0, 0xff
	v_and_b32_sdwa v6, v4, s0 dst_sel:DWORD dst_unused:UNUSED_PAD src0_sel:WORD_1 src1_sel:DWORD
	v_lshrrev_b32_e32 v2, 16, v4
	v_cmp_ne_u16_e32 vcc, 0, v6
	v_mov_b32_e32 v3, 0
	v_mov_b32_e32 v9, 0
	s_and_saveexec_b64 s[0:1], vcc
	s_cbranch_execz .LBB735_758
; %bb.753:
	s_movk_i32 s3, 0x80
	v_cmp_ne_u16_e32 vcc, s3, v6
	v_mov_b32_e32 v9, 0xffff8000
	s_and_saveexec_b64 s[6:7], vcc
	s_cbranch_execz .LBB735_757
; %bb.754:
	v_bfe_u32 v6, v4, 16, 7
	s_movk_i32 s3, 0x7f
	v_cmp_ne_u32_e32 vcc, s3, v6
	v_mov_b32_e32 v9, 0x7f80
	s_and_saveexec_b64 s[8:9], vcc
	s_cbranch_execz .LBB735_756
; %bb.755:
	v_and_b32_e32 v9, 7, v2
	v_ffbh_u32_e32 v10, v9
	v_min_u32_e32 v13, 32, v10
	v_subrev_u32_e32 v10, 28, v13
	v_lshlrev_b64 v[10:11], v10, v[2:3]
	v_and_b32_e32 v10, 7, v10
	v_cmp_gt_u32_e32 vcc, 8, v6
	v_lshrrev_b32_e32 v12, 3, v6
	v_sub_u32_e32 v2, 29, v13
	v_cndmask_b32_e32 v6, v9, v10, vcc
	v_mov_b32_e32 v9, 24
	v_cndmask_b32_e32 v2, v12, v2, vcc
	v_lshlrev_b32_sdwa v9, v9, v4 dst_sel:DWORD dst_unused:UNUSED_PAD src0_sel:DWORD src1_sel:WORD_1
	v_bfrev_b32_e32 v10, 60
	v_lshlrev_b32_e32 v6, 20, v6
	v_and_b32_e32 v9, 0x80000000, v9
	v_lshl_add_u32 v2, v2, 23, v10
	v_or3_b32 v2, v9, v2, v6
	v_lshrrev_b32_e32 v9, 16, v2
.LBB735_756:
	s_or_b64 exec, exec, s[8:9]
.LBB735_757:
	s_or_b64 exec, exec, s[6:7]
.LBB735_758:
	s_or_b64 exec, exec, s[0:1]
	s_mov_b32 s0, 0xffffff
	v_cmp_lt_u32_e32 vcc, s0, v4
	v_mov_b32_e32 v10, 0
	s_and_saveexec_b64 s[0:1], vcc
	s_cbranch_execz .LBB735_764
; %bb.759:
	v_lshrrev_b32_e32 v2, 24, v4
	s_movk_i32 s3, 0x80
	v_cmp_ne_u32_e32 vcc, s3, v2
	v_mov_b32_e32 v10, 0xffff8000
	s_and_saveexec_b64 s[6:7], vcc
	s_cbranch_execz .LBB735_763
; %bb.760:
	v_bfe_u32 v6, v4, 24, 7
	s_movk_i32 s3, 0x7f
	v_cmp_ne_u32_e32 vcc, s3, v6
	v_mov_b32_e32 v10, 0x7f80
	s_and_saveexec_b64 s[8:9], vcc
	s_cbranch_execz .LBB735_762
; %bb.761:
	v_and_b32_e32 v12, 7, v2
	v_ffbh_u32_e32 v10, v12
	v_min_u32_e32 v16, 32, v10
	v_subrev_u32_e32 v10, 28, v16
	v_lshlrev_b64 v[10:11], v10, v[2:3]
	v_lshrrev_b32_e32 v13, 3, v6
	v_sub_u32_e32 v11, 29, v16
	v_and_b32_e32 v10, 7, v10
	v_cmp_gt_u32_e32 vcc, 8, v6
	v_cndmask_b32_e32 v6, v13, v11, vcc
	v_cndmask_b32_e32 v10, v12, v10, vcc
	v_lshlrev_b32_e32 v2, 24, v2
	v_bfrev_b32_e32 v11, 60
	v_lshlrev_b32_e32 v10, 20, v10
	v_and_b32_e32 v2, 0x80000000, v2
	v_lshl_add_u32 v6, v6, 23, v11
	v_or3_b32 v2, v2, v6, v10
	v_lshrrev_b32_e32 v10, 16, v2
.LBB735_762:
	s_or_b64 exec, exec, s[8:9]
.LBB735_763:
	s_or_b64 exec, exec, s[6:7]
.LBB735_764:
	s_or_b64 exec, exec, s[0:1]
	v_mov_b32_e32 v11, 0
	v_mov_b32_e32 v2, v5
	v_cmp_ne_u16_sdwa s[6:7], v5, v11 src0_sel:BYTE_0 src1_sel:DWORD
	v_mov_b32_e32 v12, 0
	s_and_saveexec_b64 s[0:1], s[6:7]
	s_cbranch_execz .LBB735_770
; %bb.765:
	s_movk_i32 s3, 0x80
	v_cmp_ne_u16_sdwa s[8:9], v5, s3 src0_sel:BYTE_0 src1_sel:DWORD
	v_mov_b32_e32 v12, 0xffff8000
	s_and_saveexec_b64 s[6:7], s[8:9]
	s_cbranch_execz .LBB735_769
; %bb.766:
	s_movk_i32 s3, 0x7f
	v_and_b32_e32 v6, 0x7f, v5
	v_cmp_ne_u32_e32 vcc, s3, v6
	v_mov_b32_e32 v12, 0x7f80
	s_and_saveexec_b64 s[8:9], vcc
	s_cbranch_execz .LBB735_768
; %bb.767:
	v_and_b32_e32 v12, 7, v5
	v_ffbh_u32_e32 v12, v12
	v_min_u32_e32 v12, 32, v12
	v_lshrrev_b32_e32 v13, 3, v6
	v_subrev_u32_e32 v16, 28, v12
	v_sub_u32_e32 v12, 29, v12
	v_cmp_gt_u32_e32 vcc, 8, v6
	v_cndmask_b32_e32 v6, v13, v12, vcc
	v_cndmask_b32_e32 v12, 0, v16, vcc
	v_lshlrev_b64 v[12:13], v12, v[2:3]
	v_lshlrev_b32_e32 v3, 20, v12
	v_lshlrev_b32_e32 v12, 24, v2
	v_bfrev_b32_e32 v13, 60
	v_and_b32_e32 v3, 0x700000, v3
	v_and_b32_e32 v12, 0x80000000, v12
	v_lshl_add_u32 v6, v6, 23, v13
	v_or3_b32 v3, v12, v6, v3
	v_lshrrev_b32_e32 v12, 16, v3
.LBB735_768:
	s_or_b64 exec, exec, s[8:9]
.LBB735_769:
	s_or_b64 exec, exec, s[6:7]
.LBB735_770:
	s_or_b64 exec, exec, s[0:1]
	v_lshrrev_b16_e32 v6, 8, v2
	v_cmp_ne_u16_e32 vcc, 0, v6
	s_and_saveexec_b64 s[0:1], vcc
	s_cbranch_execz .LBB735_776
; %bb.771:
	s_movk_i32 s3, 0x80
	v_cmp_ne_u16_e32 vcc, s3, v6
	v_mov_b32_e32 v11, 0xffff8000
	s_and_saveexec_b64 s[6:7], vcc
	s_cbranch_execz .LBB735_775
; %bb.772:
	s_movk_i32 s3, 0x7f
	v_and_b32_e32 v3, 0x7f, v6
	v_cmp_ne_u32_e32 vcc, s3, v3
	v_mov_b32_e32 v11, 0x7f80
	s_and_saveexec_b64 s[8:9], vcc
	s_cbranch_execz .LBB735_774
; %bb.773:
	v_and_b32_e32 v11, 7, v6
	v_ffbh_u32_e32 v16, v11
	v_min_u32_e32 v18, 32, v16
	v_subrev_u32_e32 v16, 28, v18
	v_lshlrev_b64 v[16:17], v16, v[6:7]
	v_lshrrev_b32_e32 v13, 3, v3
	v_sub_u32_e32 v6, 29, v18
	v_and_b32_e32 v16, 7, v16
	v_cmp_gt_u32_e32 vcc, 8, v3
	v_cndmask_b32_e32 v3, v13, v6, vcc
	v_cndmask_b32_e32 v6, v11, v16, vcc
	v_lshlrev_b32_e32 v2, 16, v2
	v_bfrev_b32_e32 v11, 60
	v_lshlrev_b32_e32 v6, 20, v6
	v_and_b32_e32 v2, 0x80000000, v2
	v_lshl_add_u32 v3, v3, 23, v11
	v_or3_b32 v2, v2, v3, v6
	v_lshrrev_b32_e32 v11, 16, v2
.LBB735_774:
	s_or_b64 exec, exec, s[8:9]
.LBB735_775:
	s_or_b64 exec, exec, s[6:7]
.LBB735_776:
	s_or_b64 exec, exec, s[0:1]
	s_movk_i32 s0, 0xff
	v_and_b32_sdwa v13, v5, s0 dst_sel:DWORD dst_unused:UNUSED_PAD src0_sel:WORD_1 src1_sel:DWORD
	v_lshrrev_b32_e32 v2, 16, v5
	v_cmp_ne_u16_e32 vcc, 0, v13
	v_mov_b32_e32 v3, 0
	v_mov_b32_e32 v6, 0
	s_and_saveexec_b64 s[0:1], vcc
	s_cbranch_execz .LBB735_782
; %bb.777:
	s_movk_i32 s3, 0x80
	v_cmp_ne_u16_e32 vcc, s3, v13
	v_mov_b32_e32 v6, 0xffff8000
	s_and_saveexec_b64 s[6:7], vcc
	s_cbranch_execz .LBB735_781
; %bb.778:
	v_bfe_u32 v13, v5, 16, 7
	s_movk_i32 s3, 0x7f
	v_cmp_ne_u32_e32 vcc, s3, v13
	v_mov_b32_e32 v6, 0x7f80
	s_and_saveexec_b64 s[8:9], vcc
	s_cbranch_execz .LBB735_780
; %bb.779:
	v_and_b32_e32 v6, 7, v2
	v_ffbh_u32_e32 v16, v6
	v_min_u32_e32 v19, 32, v16
	v_subrev_u32_e32 v16, 28, v19
	v_lshlrev_b64 v[16:17], v16, v[2:3]
	v_lshrrev_b32_e32 v18, 3, v13
	v_sub_u32_e32 v2, 29, v19
	v_and_b32_e32 v16, 7, v16
	v_cmp_gt_u32_e32 vcc, 8, v13
	v_mov_b32_e32 v13, 24
	v_cndmask_b32_e32 v2, v18, v2, vcc
	v_cndmask_b32_e32 v6, v6, v16, vcc
	v_lshlrev_b32_sdwa v13, v13, v5 dst_sel:DWORD dst_unused:UNUSED_PAD src0_sel:DWORD src1_sel:WORD_1
	v_bfrev_b32_e32 v16, 60
	v_lshlrev_b32_e32 v6, 20, v6
	v_and_b32_e32 v13, 0x80000000, v13
	v_lshl_add_u32 v2, v2, 23, v16
	v_or3_b32 v2, v13, v2, v6
	v_lshrrev_b32_e32 v6, 16, v2
.LBB735_780:
	s_or_b64 exec, exec, s[8:9]
.LBB735_781:
	s_or_b64 exec, exec, s[6:7]
.LBB735_782:
	s_or_b64 exec, exec, s[0:1]
	s_mov_b32 s0, -1
	s_mov_b32 s1, 0xffffff
	v_cmp_lt_u64_e32 vcc, s[0:1], v[4:5]
	s_and_saveexec_b64 s[0:1], vcc
	s_cbranch_execz .LBB735_788
; %bb.783:
	v_lshrrev_b32_e32 v2, 24, v5
	s_movk_i32 s3, 0x80
	v_cmp_ne_u32_e32 vcc, s3, v2
	v_mov_b32_e32 v3, 0xffff8000
	s_and_saveexec_b64 s[6:7], vcc
	s_cbranch_execz .LBB735_787
; %bb.784:
	v_bfe_u32 v4, v5, 24, 7
	s_movk_i32 s3, 0x7f
	v_cmp_ne_u32_e32 vcc, s3, v4
	v_mov_b32_e32 v3, 0x7f80
	s_and_saveexec_b64 s[8:9], vcc
	s_cbranch_execz .LBB735_786
; %bb.785:
	v_and_b32_e32 v3, 7, v2
	v_ffbh_u32_e32 v13, v3
	v_min_u32_e32 v13, 32, v13
	v_subrev_u32_e32 v16, 28, v13
	v_lshlrev_b64 v[16:17], v16, v[2:3]
	v_lshrrev_b32_e32 v5, 3, v4
	v_sub_u32_e32 v13, 29, v13
	v_and_b32_e32 v16, 7, v16
	v_cmp_gt_u32_e32 vcc, 8, v4
	v_cndmask_b32_e32 v4, v5, v13, vcc
	v_cndmask_b32_e32 v3, v3, v16, vcc
	v_lshlrev_b32_e32 v2, 24, v2
	v_bfrev_b32_e32 v5, 60
	v_lshlrev_b32_e32 v3, 20, v3
	v_and_b32_e32 v2, 0x80000000, v2
	v_lshl_add_u32 v4, v4, 23, v5
	v_or3_b32 v2, v2, v4, v3
	v_lshrrev_b32_e32 v3, 16, v2
.LBB735_786:
	s_or_b64 exec, exec, s[8:9]
.LBB735_787:
	s_or_b64 exec, exec, s[6:7]
.LBB735_788:
	s_or_b64 exec, exec, s[0:1]
	s_mov_b32 s0, 0x5040100
	v_perm_b32 v5, v10, v9, s0
	v_perm_b32 v4, v7, v8, s0
	;; [unrolled: 1-line block ×4, first 2 shown]
	v_mfma_f32_4x4x4bf16_1k a[0:3], v[14:15], v[4:5], a[0:3] cbsz:4 abid:14
	s_load_dword s0, s[14:15], 0x0
	v_mfma_f32_4x4x4bf16_1k a[0:3], v[14:15], v[2:3], a[0:3] cbsz:4 abid:15
	s_nop 4
	v_accvgpr_read_b32 v5, a1
	v_accvgpr_read_b32 v4, a0
	;; [unrolled: 1-line block ×4, first 2 shown]
	s_waitcnt lgkmcnt(0)
	v_pk_mul_f32 v[4:5], v[4:5], s[0:1] op_sel_hi:[1,0]
	v_pk_mul_f32 v[2:3], v[2:3], s[0:1] op_sel_hi:[1,0]
	v_bfe_u32 v6, v5, 16, 1
	v_bfe_u32 v7, v4, 16, 1
	s_movk_i32 s0, 0x7fff
	v_add3_u32 v4, v4, v7, s0
	v_add3_u32 v5, v5, v6, s0
	v_bfe_u32 v6, v3, 16, 1
	v_bfe_u32 v7, v2, 16, 1
	v_add3_u32 v2, v2, v7, s0
	v_add3_u32 v3, v3, v6, s0
	s_mov_b32 s0, 0x7060302
	v_perm_b32 v23, v3, v2, s0
	v_perm_b32 v22, v5, v4, s0
.LBB735_789:
	s_or_b64 exec, exec, s[4:5]
	v_lshlrev_b32_e32 v1, 3, v1
	v_mad_u32_u24 v1, v42, 40, v1
	v_cmp_gt_u32_e32 vcc, 64, v0
	ds_write_b64 v1, v[22:23]
	s_waitcnt lgkmcnt(0)
	s_barrier
	s_and_saveexec_b64 s[0:1], vcc
	s_cbranch_execz .LBB735_791
; %bb.790:
	v_mul_u32_u24_e32 v1, 40, v42
	s_waitcnt vmcnt(1)
	ds_read2_b64 v[2:5], v1 offset1:1
	s_waitcnt vmcnt(0)
	ds_read2_b64 v[6:9], v1 offset0:2 offset1:3
	s_mov_b32 s1, 0
	s_lshl_b32 s0, s2, 6
	s_lshl_b64 s[2:3], s[0:1], 1
	s_waitcnt lgkmcnt(1)
	v_and_b32_e32 v1, 0xffff0000, v2
	v_add_f32_e32 v1, 0, v1
	v_and_b32_e32 v3, 0xffff0000, v4
	v_and_b32_e32 v1, 0xffff0000, v1
	v_add_f32_e32 v1, v1, v3
	s_waitcnt lgkmcnt(0)
	v_and_b32_e32 v5, 0xffff0000, v6
	v_and_b32_e32 v1, 0xffff0000, v1
	v_add_f32_e32 v1, v1, v5
	v_and_b32_e32 v1, 0xffff0000, v1
	v_and_b32_e32 v3, 0xffff0000, v8
	v_add_f32_e32 v7, v1, v3
	v_lshlrev_b32_e32 v1, 16, v2
	s_add_u32 s2, s30, s2
	v_add_f32_e32 v1, 0, v1
	s_addc_u32 s3, s31, s3
	s_lshl_b32 s0, s28, 6
	v_and_b32_e32 v1, 0xffff0000, v1
	v_lshlrev_b32_e32 v2, 16, v4
	s_lshl_b64 s[0:1], s[0:1], 1
	v_add_f32_e32 v1, v1, v2
	s_add_u32 s0, s2, s0
	v_and_b32_e32 v1, 0xffff0000, v1
	v_lshlrev_b32_e32 v2, 16, v6
	s_addc_u32 s1, s3, s1
	s_lshl_b32 s2, s33, 6
	v_add_f32_e32 v1, v1, v2
	v_and_b32_e32 v1, 0xffff0000, v1
	v_lshlrev_b32_e32 v2, 16, v8
	s_mul_i32 s3, s2, s10
	v_add_f32_e32 v1, v1, v2
	v_or_b32_e32 v2, s3, v0
	v_mov_b32_e32 v3, 0
	v_lshlrev_b64 v[4:5], 1, v[2:3]
	v_mov_b32_e32 v2, s1
	v_add_co_u32_e32 v4, vcc, s0, v4
	s_add_i32 s3, s3, s2
	v_addc_co_u32_e32 v5, vcc, v2, v5, vcc
	v_or_b32_e32 v2, s3, v0
	global_store_short_d16_hi v[4:5], v1, off
	v_lshlrev_b64 v[0:1], 1, v[2:3]
	v_mov_b32_e32 v2, s1
	v_add_co_u32_e32 v0, vcc, s0, v0
	v_addc_co_u32_e32 v1, vcc, v2, v1, vcc
	global_store_short_d16_hi v[0:1], v7, off
.LBB735_791:
	s_endpgm
	.section	.rodata,"a",@progbits
	.p2align	6, 0x0
	.amdhsa_kernel _Z38paged_attention_ll4mi_QKV_mfma4_kernelI14__hip_bfloat16hLN4vllm18Fp8KVCacheDataTypeE1ES0_Li32ELi64ELi256ELb0ELi2EEvPKT_PKT0_S8_ifPKiSA_SA_iPKfiiiPfSD_PS3_PT2_iSC_SC_
		.amdhsa_group_segment_fixed_size 2720
		.amdhsa_private_segment_fixed_size 0
		.amdhsa_kernarg_size 400
		.amdhsa_user_sgpr_count 6
		.amdhsa_user_sgpr_private_segment_buffer 1
		.amdhsa_user_sgpr_dispatch_ptr 0
		.amdhsa_user_sgpr_queue_ptr 0
		.amdhsa_user_sgpr_kernarg_segment_ptr 1
		.amdhsa_user_sgpr_dispatch_id 0
		.amdhsa_user_sgpr_flat_scratch_init 0
		.amdhsa_user_sgpr_kernarg_preload_length 0
		.amdhsa_user_sgpr_kernarg_preload_offset 0
		.amdhsa_user_sgpr_private_segment_size 0
		.amdhsa_uses_dynamic_stack 0
		.amdhsa_system_sgpr_private_segment_wavefront_offset 0
		.amdhsa_system_sgpr_workgroup_id_x 1
		.amdhsa_system_sgpr_workgroup_id_y 1
		.amdhsa_system_sgpr_workgroup_id_z 1
		.amdhsa_system_sgpr_workgroup_info 0
		.amdhsa_system_vgpr_workitem_id 0
		.amdhsa_next_free_vgpr 60
		.amdhsa_next_free_sgpr 42
		.amdhsa_accum_offset 56
		.amdhsa_reserve_vcc 1
		.amdhsa_reserve_flat_scratch 0
		.amdhsa_float_round_mode_32 0
		.amdhsa_float_round_mode_16_64 0
		.amdhsa_float_denorm_mode_32 3
		.amdhsa_float_denorm_mode_16_64 3
		.amdhsa_dx10_clamp 1
		.amdhsa_ieee_mode 1
		.amdhsa_fp16_overflow 0
		.amdhsa_tg_split 0
		.amdhsa_exception_fp_ieee_invalid_op 0
		.amdhsa_exception_fp_denorm_src 0
		.amdhsa_exception_fp_ieee_div_zero 0
		.amdhsa_exception_fp_ieee_overflow 0
		.amdhsa_exception_fp_ieee_underflow 0
		.amdhsa_exception_fp_ieee_inexact 0
		.amdhsa_exception_int_div_zero 0
	.end_amdhsa_kernel
	.section	.text._Z38paged_attention_ll4mi_QKV_mfma4_kernelI14__hip_bfloat16hLN4vllm18Fp8KVCacheDataTypeE1ES0_Li32ELi64ELi256ELb0ELi2EEvPKT_PKT0_S8_ifPKiSA_SA_iPKfiiiPfSD_PS3_PT2_iSC_SC_,"axG",@progbits,_Z38paged_attention_ll4mi_QKV_mfma4_kernelI14__hip_bfloat16hLN4vllm18Fp8KVCacheDataTypeE1ES0_Li32ELi64ELi256ELb0ELi2EEvPKT_PKT0_S8_ifPKiSA_SA_iPKfiiiPfSD_PS3_PT2_iSC_SC_,comdat
.Lfunc_end735:
	.size	_Z38paged_attention_ll4mi_QKV_mfma4_kernelI14__hip_bfloat16hLN4vllm18Fp8KVCacheDataTypeE1ES0_Li32ELi64ELi256ELb0ELi2EEvPKT_PKT0_S8_ifPKiSA_SA_iPKfiiiPfSD_PS3_PT2_iSC_SC_, .Lfunc_end735-_Z38paged_attention_ll4mi_QKV_mfma4_kernelI14__hip_bfloat16hLN4vllm18Fp8KVCacheDataTypeE1ES0_Li32ELi64ELi256ELb0ELi2EEvPKT_PKT0_S8_ifPKiSA_SA_iPKfiiiPfSD_PS3_PT2_iSC_SC_
                                        ; -- End function
	.section	.AMDGPU.csdata,"",@progbits
; Kernel info:
; codeLenInByte = 27584
; NumSgprs: 46
; NumVgprs: 55
; NumAgprs: 4
; TotalNumVgprs: 60
; ScratchSize: 0
; MemoryBound: 0
; FloatMode: 240
; IeeeMode: 1
; LDSByteSize: 2720 bytes/workgroup (compile time only)
; SGPRBlocks: 5
; VGPRBlocks: 7
; NumSGPRsForWavesPerEU: 46
; NumVGPRsForWavesPerEU: 60
; AccumOffset: 56
; Occupancy: 8
; WaveLimiterHint : 1
; COMPUTE_PGM_RSRC2:SCRATCH_EN: 0
; COMPUTE_PGM_RSRC2:USER_SGPR: 6
; COMPUTE_PGM_RSRC2:TRAP_HANDLER: 0
; COMPUTE_PGM_RSRC2:TGID_X_EN: 1
; COMPUTE_PGM_RSRC2:TGID_Y_EN: 1
; COMPUTE_PGM_RSRC2:TGID_Z_EN: 1
; COMPUTE_PGM_RSRC2:TIDIG_COMP_CNT: 0
; COMPUTE_PGM_RSRC3_GFX90A:ACCUM_OFFSET: 13
; COMPUTE_PGM_RSRC3_GFX90A:TG_SPLIT: 0
	.section	.text._Z38paged_attention_ll4mi_QKV_mfma4_kernelI14__hip_bfloat16hLN4vllm18Fp8KVCacheDataTypeE1ES0_Li32ELi64ELi256ELb0ELi3EEvPKT_PKT0_S8_ifPKiSA_SA_iPKfiiiPfSD_PS3_PT2_iSC_SC_,"axG",@progbits,_Z38paged_attention_ll4mi_QKV_mfma4_kernelI14__hip_bfloat16hLN4vllm18Fp8KVCacheDataTypeE1ES0_Li32ELi64ELi256ELb0ELi3EEvPKT_PKT0_S8_ifPKiSA_SA_iPKfiiiPfSD_PS3_PT2_iSC_SC_,comdat
	.protected	_Z38paged_attention_ll4mi_QKV_mfma4_kernelI14__hip_bfloat16hLN4vllm18Fp8KVCacheDataTypeE1ES0_Li32ELi64ELi256ELb0ELi3EEvPKT_PKT0_S8_ifPKiSA_SA_iPKfiiiPfSD_PS3_PT2_iSC_SC_ ; -- Begin function _Z38paged_attention_ll4mi_QKV_mfma4_kernelI14__hip_bfloat16hLN4vllm18Fp8KVCacheDataTypeE1ES0_Li32ELi64ELi256ELb0ELi3EEvPKT_PKT0_S8_ifPKiSA_SA_iPKfiiiPfSD_PS3_PT2_iSC_SC_
	.globl	_Z38paged_attention_ll4mi_QKV_mfma4_kernelI14__hip_bfloat16hLN4vllm18Fp8KVCacheDataTypeE1ES0_Li32ELi64ELi256ELb0ELi3EEvPKT_PKT0_S8_ifPKiSA_SA_iPKfiiiPfSD_PS3_PT2_iSC_SC_
	.p2align	8
	.type	_Z38paged_attention_ll4mi_QKV_mfma4_kernelI14__hip_bfloat16hLN4vllm18Fp8KVCacheDataTypeE1ES0_Li32ELi64ELi256ELb0ELi3EEvPKT_PKT0_S8_ifPKiSA_SA_iPKfiiiPfSD_PS3_PT2_iSC_SC_,@function
_Z38paged_attention_ll4mi_QKV_mfma4_kernelI14__hip_bfloat16hLN4vllm18Fp8KVCacheDataTypeE1ES0_Li32ELi64ELi256ELb0ELi3EEvPKT_PKT0_S8_ifPKiSA_SA_iPKfiiiPfSD_PS3_PT2_iSC_SC_: ; @_Z38paged_attention_ll4mi_QKV_mfma4_kernelI14__hip_bfloat16hLN4vllm18Fp8KVCacheDataTypeE1ES0_Li32ELi64ELi256ELb0ELi3EEvPKT_PKT0_S8_ifPKiSA_SA_iPKfiiiPfSD_PS3_PT2_iSC_SC_
; %bb.0:
	s_load_dwordx2 s[2:3], s[4:5], 0x30
	s_mov_b32 s28, s7
	s_mov_b64 s[0:1], 0
	s_waitcnt lgkmcnt(0)
	s_cmp_lg_u64 s[2:3], 0
	s_cselect_b64 s[10:11], -1, 0
	s_and_b64 vcc, exec, s[10:11]
	s_cbranch_vccz .LBB736_10
; %bb.1:
	s_add_i32 s12, s6, 1
	s_mov_b32 s13, 0
	s_lshl_b64 s[14:15], s[12:13], 2
	s_add_u32 s14, s2, s14
	s_mov_b32 s7, s13
	s_addc_u32 s15, s3, s15
	s_lshl_b64 s[12:13], s[6:7], 2
	s_add_u32 s12, s2, s12
	s_addc_u32 s13, s3, s13
	s_load_dword s9, s[14:15], 0x0
	s_load_dword s16, s[12:13], 0x0
	s_waitcnt lgkmcnt(0)
	s_sub_i32 s9, s9, s16
	s_cmp_eq_u32 s9, 1
	s_cselect_b64 s[12:13], -1, 0
	s_andn2_b64 vcc, exec, s[0:1]
	s_cbranch_vccnz .LBB736_3
.LBB736_2:
	s_mov_b32 s7, 0
	s_mov_b64 s[12:13], -1
.LBB736_3:
	s_andn2_b64 vcc, exec, s[12:13]
	s_cbranch_vccnz .LBB736_791
; %bb.4:
	s_load_dword s9, s[4:5], 0x9c
	s_load_dwordx2 s[0:1], s[4:5], 0x28
	s_add_u32 s34, s4, 0x90
	s_addc_u32 s35, s5, 0
	s_lshl_b64 s[20:21], s[6:7], 2
	s_waitcnt lgkmcnt(0)
	s_and_b32 s9, s9, 0xffff
	s_add_u32 s0, s0, s20
	s_addc_u32 s1, s1, s21
	s_load_dword s7, s[0:1], 0x0
	s_mul_i32 s9, s28, s9
	s_waitcnt lgkmcnt(0)
	s_cmp_ge_i32 s9, s7
	s_cbranch_scc1 .LBB736_791
; %bb.5:
	v_and_b32_e32 v2, 0xc0, v0
	v_add_u32_e32 v4, s9, v2
	v_lshrrev_b32_e32 v1, 6, v0
	v_cmp_gt_i32_e64 s[0:1], s7, v4
	v_cmp_le_i32_e32 vcc, s7, v4
                                        ; implicit-def: $sgpr23
                                        ; implicit-def: $sgpr22
	s_and_saveexec_b64 s[12:13], vcc
	s_xor_b64 s[12:13], exec, s[12:13]
	s_cbranch_execz .LBB736_7
; %bb.6:
	v_mul_u32_u24_e32 v2, 20, v1
	v_or_b32_e32 v2, 0xa00, v2
	v_mov_b32_e32 v3, 0xa50
	v_mov_b32_e32 v4, 0xff7fffff
	v_mad_u32_u24 v3, v1, 20, v3
	ds_write2_b32 v2, v4, v4 offset1:1
	v_mov_b32_e32 v2, 0
	ds_write2_b32 v3, v2, v2 offset1:1
	v_mov_b32_e32 v3, 0xa08
	s_mov_b32 s22, 0xff7fffff
	s_mov_b32 s23, 0
	v_mad_u32_u24 v3, v1, 20, v3
	v_mov_b32_e32 v5, 0xa58
	v_mad_u32_u24 v5, v1, 20, v5
	ds_write2_b32 v3, v4, v4 offset1:1
	ds_write2_b32 v5, v2, v2 offset1:1
                                        ; implicit-def: $vgpr4
.LBB736_7:
	s_or_saveexec_b64 s[36:37], s[12:13]
	s_load_dwordx2 s[30:31], s[4:5], 0x68
	s_load_dwordx4 s[16:19], s[4:5], 0x58
	s_load_dword s33, s[34:35], 0x4
	s_load_dwordx4 s[12:15], s[4:5], 0x80
	v_and_b32_e32 v42, 63, v0
	v_and_b32_e32 v43, 3, v0
	v_mov_b32_e32 v21, s23
	v_mov_b32_e32 v25, s22
	;; [unrolled: 1-line block ×5, first 2 shown]
                                        ; implicit-def: $vgpr14_vgpr15
                                        ; implicit-def: $vgpr10_vgpr11
                                        ; implicit-def: $vgpr6_vgpr7
                                        ; implicit-def: $vgpr2_vgpr3
	s_xor_b64 exec, exec, s[36:37]
	s_cbranch_execz .LBB736_401
; %bb.8:
	s_add_i32 s25, s7, 31
	s_ashr_i32 s26, s25, 31
	s_load_dwordx2 s[22:23], s[4:5], 0x20
	s_load_dword s24, s[4:5], 0x38
	s_lshr_b32 s26, s26, 27
	v_add_u32_e32 v44, s9, v0
	s_add_i32 s25, s25, s26
	v_ashrrev_i32_e32 v2, 31, v44
	s_ashr_i32 s25, s25, 5
	v_lshrrev_b32_e32 v2, 27, v2
	s_add_i32 s26, s25, -1
	v_add_u32_e32 v2, v44, v2
	v_ashrrev_i32_e32 v2, 5, v2
	v_mov_b32_e32 v3, s26
	v_cmp_gt_i32_e32 vcc, s7, v44
	s_waitcnt lgkmcnt(0)
	s_mul_i32 s24, s6, s24
	s_mov_b32 s25, 0
	v_cndmask_b32_e32 v2, v3, v2, vcc
	s_lshl_b64 s[24:25], s[24:25], 2
	v_ashrrev_i32_e32 v3, 31, v2
	s_add_u32 s22, s22, s24
	v_lshlrev_b64 v[2:3], 2, v[2:3]
	v_add_co_u32_e32 v6, vcc, s22, v2
	v_ashrrev_i32_e32 v2, 31, v4
	v_lshrrev_b32_e32 v2, 27, v2
	v_add_u32_e32 v2, v4, v2
	s_addc_u32 s23, s23, s25
	v_ashrrev_i32_e32 v4, 5, v2
	v_mov_b32_e32 v5, s23
	v_min_i32_e32 v2, s26, v4
	v_addc_co_u32_e32 v7, vcc, v5, v3, vcc
	v_ashrrev_i32_e32 v3, 31, v2
	v_lshlrev_b64 v[2:3], 2, v[2:3]
	v_add_co_u32_e32 v8, vcc, s22, v2
	v_add_u32_e32 v2, 1, v4
	v_min_i32_e32 v2, s26, v2
	v_addc_co_u32_e32 v9, vcc, v5, v3, vcc
	v_ashrrev_i32_e32 v3, 31, v2
	v_lshlrev_b64 v[2:3], 2, v[2:3]
	v_mov_b32_e32 v4, s23
	v_add_co_u32_e32 v10, vcc, s22, v2
	v_addc_co_u32_e32 v11, vcc, v4, v3, vcc
	global_load_dword v4, v[6:7], off
	global_load_dword v3, v[8:9], off
	;; [unrolled: 1-line block ×3, first 2 shown]
	s_load_dwordx4 s[24:27], s[4:5], 0x8
	s_andn2_b64 vcc, exec, s[10:11]
	s_cbranch_vccnz .LBB736_11
; %bb.9:
	s_add_u32 s2, s2, s20
	s_addc_u32 s3, s3, s21
	s_load_dword s9, s[2:3], 0x0
	s_branch .LBB736_12
.LBB736_10:
	s_mov_b64 s[12:13], 0
	s_branch .LBB736_2
.LBB736_11:
	s_mov_b32 s9, s6
.LBB736_12:
	s_load_dwordx4 s[20:23], s[4:5], 0x48
	v_cmp_eq_u32_e32 vcc, 3, v43
	v_cmp_ne_u32_e64 s[2:3], 3, v43
	s_mov_b32 s39, 0
	v_mov_b32_e32 v39, 0
	v_mov_b32_e32 v18, 0
	;; [unrolled: 1-line block ×5, first 2 shown]
	s_and_saveexec_b64 s[10:11], s[2:3]
	s_cbranch_execz .LBB736_14
; %bb.13:
	s_load_dwordx2 s[2:3], s[4:5], 0x0
	s_waitcnt lgkmcnt(0)
	s_ashr_i32 s23, s20, 31
	s_mul_hi_u32 s29, s9, s20
	s_mul_i32 s23, s9, s23
	s_add_i32 s41, s29, s23
	s_mul_i32 s40, s9, s20
	s_lshl_b64 s[40:41], s[40:41], 1
	s_add_u32 s9, s2, s40
	s_mul_i32 s38, s8, 0xc0
	s_addc_u32 s20, s3, s41
	s_lshl_b64 s[2:3], s[38:39], 1
	s_add_u32 s2, s9, s2
	v_lshlrev_b32_e32 v5, 3, v43
	v_lshrrev_b32_e32 v6, 2, v42
	s_addc_u32 s3, s20, s3
	v_add_lshl_u32 v5, v5, v6, 4
	global_load_dwordx4 v[18:21], v5, s[2:3]
.LBB736_14:
	s_or_b64 exec, exec, s[10:11]
	s_waitcnt lgkmcnt(0)
	s_mul_i32 s9, s8, s22
	s_add_u32 s2, s9, s24
	s_addc_u32 s3, 0, s25
	v_pk_mov_b32 v[6:7], s[2:3], s[2:3] op_sel:[0,1]
	s_waitcnt vmcnt(2)
	v_mad_i64_i32 v[4:5], s[2:3], v4, s21, v[6:7]
	v_lshlrev_b32_e32 v6, 4, v0
	v_and_b32_e32 v6, 0x1f0, v6
	v_add_co_u32_e64 v4, s[2:3], v4, v6
	v_addc_co_u32_e64 v5, s[2:3], 0, v5, s[2:3]
	s_add_u32 s2, s26, s9
	global_load_dwordx4 v[34:37], v[4:5], off
	global_load_dwordx4 v[30:33], v[4:5], off offset:512
	global_load_dwordx4 v[26:29], v[4:5], off offset:1024
	;; [unrolled: 1-line block ×3, first 2 shown]
	s_addc_u32 s3, s27, 0
	v_lshlrev_b32_e32 v4, 5, v42
	v_mov_b32_e32 v5, s3
	v_add_co_u32_e64 v6, s[2:3], s2, v4
	s_waitcnt vmcnt(5)
	v_mul_hi_i32 v4, v3, s21
	v_ashrrev_i32_e32 v4, 31, v4
	v_lshrrev_b32_e32 v38, 29, v4
	v_addc_co_u32_e64 v7, s[2:3], 0, v5, s[2:3]
	v_mad_i64_i32 v[4:5], s[2:3], v3, s21, v[38:39]
	v_and_b32_e32 v3, -8, v4
	v_add_co_u32_e64 v4, s[2:3], v6, v3
	s_waitcnt vmcnt(4)
	v_mul_hi_i32 v3, v2, s21
	v_ashrrev_i32_e32 v3, 31, v3
	v_lshrrev_b32_e32 v38, 29, v3
	v_addc_co_u32_e64 v5, s[2:3], v7, v5, s[2:3]
	v_mad_i64_i32 v[2:3], s[2:3], v2, s21, v[38:39]
	v_and_b32_e32 v2, -8, v2
	v_add_co_u32_e64 v40, s[2:3], v6, v2
	v_addc_co_u32_e64 v41, s[2:3], v7, v3, s[2:3]
	global_load_dwordx4 v[10:13], v[4:5], off offset:16
	global_load_dwordx4 v[14:17], v[4:5], off
	s_nop 0
	global_load_dwordx4 v[2:5], v[40:41], off offset:16
	global_load_dwordx4 v[6:9], v[40:41], off
	s_waitcnt vmcnt(7)
	v_cmp_ne_u16_sdwa s[2:3], v34, v39 src0_sel:BYTE_0 src1_sel:DWORD
	s_and_saveexec_b64 s[10:11], s[2:3]
	s_cbranch_execz .LBB736_20
; %bb.15:
	s_movk_i32 s2, 0x80
	v_cmp_ne_u16_sdwa s[2:3], v34, s2 src0_sel:BYTE_0 src1_sel:DWORD
	v_mov_b32_e32 v39, 0xffff8000
	s_and_saveexec_b64 s[20:21], s[2:3]
	s_cbranch_execz .LBB736_19
; %bb.16:
	s_movk_i32 s2, 0x7f
	v_and_b32_e32 v38, 0x7f, v34
	v_cmp_ne_u32_e64 s[2:3], s2, v38
	v_mov_b32_e32 v39, 0x7f80
	s_and_saveexec_b64 s[22:23], s[2:3]
	s_cbranch_execz .LBB736_18
; %bb.17:
	v_and_b32_e32 v39, 7, v34
	v_ffbh_u32_e32 v39, v39
	v_min_u32_e32 v39, 32, v39
	v_subrev_u32_e32 v41, 28, v39
	v_cmp_gt_u32_e64 s[2:3], 8, v38
	v_lshrrev_b32_e32 v40, 3, v38
	v_sub_u32_e32 v39, 29, v39
	v_cndmask_b32_e64 v38, 0, v41, s[2:3]
	v_cndmask_b32_e64 v40, v40, v39, s[2:3]
	v_lshlrev_b64 v[38:39], v38, v[34:35]
	v_lshlrev_b32_e32 v38, 20, v38
	v_lshlrev_b32_e32 v39, 24, v34
	v_bfrev_b32_e32 v41, 60
	v_and_b32_e32 v38, 0x700000, v38
	v_and_b32_e32 v39, 0x80000000, v39
	v_lshl_add_u32 v40, v40, 23, v41
	v_or3_b32 v38, v39, v40, v38
	v_lshrrev_b32_e32 v39, 16, v38
.LBB736_18:
	s_or_b64 exec, exec, s[22:23]
.LBB736_19:
	s_or_b64 exec, exec, s[20:21]
.LBB736_20:
	s_or_b64 exec, exec, s[10:11]
	v_lshrrev_b16_e32 v38, 8, v34
	v_cmp_ne_u16_e64 s[2:3], 0, v38
	v_mov_b32_e32 v46, 0
	v_mov_b32_e32 v45, 0
	s_and_saveexec_b64 s[10:11], s[2:3]
	s_cbranch_execz .LBB736_26
; %bb.21:
	s_movk_i32 s2, 0x80
	v_cmp_ne_u16_e64 s[2:3], s2, v38
	v_mov_b32_e32 v45, 0xffff8000
	s_and_saveexec_b64 s[20:21], s[2:3]
	s_cbranch_execz .LBB736_25
; %bb.22:
	s_movk_i32 s2, 0x7f
	v_and_b32_e32 v40, 0x7f, v38
	v_cmp_ne_u32_e64 s[2:3], s2, v40
	v_mov_b32_e32 v45, 0x7f80
	s_and_saveexec_b64 s[22:23], s[2:3]
	s_cbranch_execz .LBB736_24
; %bb.23:
	v_and_b32_e32 v41, 7, v38
	v_ffbh_u32_e32 v47, v41
	v_min_u32_e32 v47, 32, v47
	v_subrev_u32_e32 v48, 28, v47
	v_lshlrev_b64 v[48:49], v48, v[38:39]
	v_lshrrev_b32_e32 v45, 3, v40
	v_sub_u32_e32 v38, 29, v47
	v_and_b32_e32 v47, 7, v48
	v_cmp_gt_u32_e64 s[2:3], 8, v40
	v_cndmask_b32_e64 v38, v45, v38, s[2:3]
	v_cndmask_b32_e64 v40, v41, v47, s[2:3]
	v_lshlrev_b32_e32 v41, 16, v34
	v_bfrev_b32_e32 v45, 60
	v_lshlrev_b32_e32 v40, 20, v40
	v_and_b32_e32 v41, 0x80000000, v41
	v_lshl_add_u32 v38, v38, 23, v45
	v_or3_b32 v38, v41, v38, v40
	v_lshrrev_b32_e32 v45, 16, v38
.LBB736_24:
	s_or_b64 exec, exec, s[22:23]
.LBB736_25:
	s_or_b64 exec, exec, s[20:21]
.LBB736_26:
	s_or_b64 exec, exec, s[10:11]
	s_movk_i32 s2, 0xff
	v_and_b32_sdwa v40, v34, s2 dst_sel:DWORD dst_unused:UNUSED_PAD src0_sel:WORD_1 src1_sel:DWORD
	v_lshrrev_b32_e32 v38, 16, v34
	v_cmp_ne_u16_e64 s[2:3], 0, v40
	s_and_saveexec_b64 s[10:11], s[2:3]
	s_cbranch_execz .LBB736_32
; %bb.27:
	s_movk_i32 s2, 0x80
	v_cmp_ne_u16_e64 s[2:3], s2, v40
	v_mov_b32_e32 v46, 0xffff8000
	s_and_saveexec_b64 s[20:21], s[2:3]
	s_cbranch_execz .LBB736_31
; %bb.28:
	v_bfe_u32 v40, v34, 16, 7
	s_movk_i32 s2, 0x7f
	v_cmp_ne_u32_e64 s[2:3], s2, v40
	v_mov_b32_e32 v46, 0x7f80
	s_and_saveexec_b64 s[22:23], s[2:3]
	s_cbranch_execz .LBB736_30
; %bb.29:
	v_and_b32_e32 v41, 7, v38
	v_ffbh_u32_e32 v46, v41
	v_min_u32_e32 v49, 32, v46
	v_subrev_u32_e32 v46, 28, v49
	v_lshlrev_b64 v[46:47], v46, v[38:39]
	v_and_b32_e32 v46, 7, v46
	v_cmp_gt_u32_e64 s[2:3], 8, v40
	v_lshrrev_b32_e32 v48, 3, v40
	v_sub_u32_e32 v38, 29, v49
	v_cndmask_b32_e64 v40, v41, v46, s[2:3]
	v_mov_b32_e32 v41, 24
	v_cndmask_b32_e64 v38, v48, v38, s[2:3]
	v_lshlrev_b32_sdwa v41, v41, v34 dst_sel:DWORD dst_unused:UNUSED_PAD src0_sel:DWORD src1_sel:WORD_1
	v_bfrev_b32_e32 v46, 60
	v_lshlrev_b32_e32 v40, 20, v40
	v_and_b32_e32 v41, 0x80000000, v41
	v_lshl_add_u32 v38, v38, 23, v46
	v_or3_b32 v38, v41, v38, v40
	v_lshrrev_b32_e32 v46, 16, v38
.LBB736_30:
	s_or_b64 exec, exec, s[22:23]
.LBB736_31:
	s_or_b64 exec, exec, s[20:21]
.LBB736_32:
	s_or_b64 exec, exec, s[10:11]
	s_mov_b32 s2, 0xffffff
	v_cmp_lt_u32_e64 s[2:3], s2, v34
	v_mov_b32_e32 v41, 0
	v_mov_b32_e32 v47, 0
	s_and_saveexec_b64 s[10:11], s[2:3]
	s_cbranch_execz .LBB736_38
; %bb.33:
	v_lshrrev_b32_e32 v38, 24, v34
	s_movk_i32 s2, 0x80
	v_cmp_ne_u32_e64 s[2:3], s2, v38
	v_mov_b32_e32 v47, 0xffff8000
	s_and_saveexec_b64 s[20:21], s[2:3]
	s_cbranch_execz .LBB736_37
; %bb.34:
	v_bfe_u32 v40, v34, 24, 7
	s_movk_i32 s2, 0x7f
	v_cmp_ne_u32_e64 s[2:3], s2, v40
	v_mov_b32_e32 v47, 0x7f80
	s_and_saveexec_b64 s[22:23], s[2:3]
	s_cbranch_execz .LBB736_36
; %bb.35:
	v_and_b32_e32 v47, 7, v38
	v_ffbh_u32_e32 v48, v47
	v_min_u32_e32 v51, 32, v48
	v_subrev_u32_e32 v48, 28, v51
	v_lshlrev_b64 v[48:49], v48, v[38:39]
	v_lshrrev_b32_e32 v50, 3, v40
	v_sub_u32_e32 v49, 29, v51
	v_and_b32_e32 v48, 7, v48
	v_cmp_gt_u32_e64 s[2:3], 8, v40
	v_cndmask_b32_e64 v40, v50, v49, s[2:3]
	v_cndmask_b32_e64 v47, v47, v48, s[2:3]
	v_lshlrev_b32_e32 v38, 24, v38
	v_bfrev_b32_e32 v48, 60
	v_lshlrev_b32_e32 v47, 20, v47
	v_and_b32_e32 v38, 0x80000000, v38
	v_lshl_add_u32 v40, v40, 23, v48
	v_or3_b32 v38, v38, v40, v47
	v_lshrrev_b32_e32 v47, 16, v38
.LBB736_36:
	s_or_b64 exec, exec, s[22:23]
.LBB736_37:
	s_or_b64 exec, exec, s[20:21]
.LBB736_38:
	s_or_b64 exec, exec, s[10:11]
	v_mov_b32_e32 v40, v35
	v_cmp_ne_u16_sdwa s[2:3], v35, v41 src0_sel:BYTE_0 src1_sel:DWORD
	s_and_saveexec_b64 s[10:11], s[2:3]
	s_cbranch_execz .LBB736_44
; %bb.39:
	s_movk_i32 s2, 0x80
	v_cmp_ne_u16_sdwa s[2:3], v35, s2 src0_sel:BYTE_0 src1_sel:DWORD
	v_mov_b32_e32 v38, 0xffff8000
	s_and_saveexec_b64 s[20:21], s[2:3]
	s_cbranch_execz .LBB736_43
; %bb.40:
	s_movk_i32 s2, 0x7f
	v_and_b32_e32 v48, 0x7f, v35
	v_cmp_ne_u32_e64 s[2:3], s2, v48
	v_mov_b32_e32 v38, 0x7f80
	s_and_saveexec_b64 s[22:23], s[2:3]
	s_cbranch_execz .LBB736_42
; %bb.41:
	v_and_b32_e32 v38, 7, v35
	v_ffbh_u32_e32 v38, v38
	v_min_u32_e32 v38, 32, v38
	v_subrev_u32_e32 v50, 28, v38
	v_cmp_gt_u32_e64 s[2:3], 8, v48
	v_lshrrev_b32_e32 v49, 3, v48
	v_sub_u32_e32 v38, 29, v38
	v_cndmask_b32_e64 v48, 0, v50, s[2:3]
	v_cndmask_b32_e64 v38, v49, v38, s[2:3]
	v_lshlrev_b64 v[48:49], v48, v[40:41]
	v_lshlrev_b32_e32 v41, 20, v48
	v_lshlrev_b32_e32 v48, 24, v40
	v_bfrev_b32_e32 v49, 60
	v_and_b32_e32 v41, 0x700000, v41
	v_and_b32_e32 v48, 0x80000000, v48
	v_lshl_add_u32 v38, v38, 23, v49
	v_or3_b32 v38, v48, v38, v41
	v_lshrrev_b32_e32 v38, 16, v38
.LBB736_42:
	s_or_b64 exec, exec, s[22:23]
.LBB736_43:
	s_or_b64 exec, exec, s[20:21]
	v_mov_b32_e32 v41, v38
.LBB736_44:
	s_or_b64 exec, exec, s[10:11]
	v_lshrrev_b16_e32 v38, 8, v40
	v_cmp_ne_u16_e64 s[2:3], 0, v38
	v_mov_b32_e32 v49, 0
	v_mov_b32_e32 v48, 0
	s_and_saveexec_b64 s[10:11], s[2:3]
	s_cbranch_execz .LBB736_50
; %bb.45:
	s_movk_i32 s2, 0x80
	v_cmp_ne_u16_e64 s[2:3], s2, v38
	v_mov_b32_e32 v48, 0xffff8000
	s_and_saveexec_b64 s[20:21], s[2:3]
	s_cbranch_execz .LBB736_49
; %bb.46:
	s_movk_i32 s2, 0x7f
	v_and_b32_e32 v50, 0x7f, v38
	v_cmp_ne_u32_e64 s[2:3], s2, v50
	v_mov_b32_e32 v48, 0x7f80
	s_and_saveexec_b64 s[22:23], s[2:3]
	s_cbranch_execz .LBB736_48
; %bb.47:
	v_and_b32_e32 v48, 7, v38
	v_ffbh_u32_e32 v52, v48
	v_min_u32_e32 v54, 32, v52
	v_subrev_u32_e32 v52, 28, v54
	v_lshlrev_b64 v[52:53], v52, v[38:39]
	v_lshrrev_b32_e32 v51, 3, v50
	v_sub_u32_e32 v38, 29, v54
	v_and_b32_e32 v52, 7, v52
	v_cmp_gt_u32_e64 s[2:3], 8, v50
	v_cndmask_b32_e64 v38, v51, v38, s[2:3]
	v_cndmask_b32_e64 v48, v48, v52, s[2:3]
	v_lshlrev_b32_e32 v40, 16, v40
	v_bfrev_b32_e32 v50, 60
	v_lshlrev_b32_e32 v48, 20, v48
	v_and_b32_e32 v40, 0x80000000, v40
	v_lshl_add_u32 v38, v38, 23, v50
	v_or3_b32 v38, v40, v38, v48
	v_lshrrev_b32_e32 v48, 16, v38
.LBB736_48:
	s_or_b64 exec, exec, s[22:23]
.LBB736_49:
	s_or_b64 exec, exec, s[20:21]
.LBB736_50:
	s_or_b64 exec, exec, s[10:11]
	s_movk_i32 s2, 0xff
	v_and_b32_sdwa v40, v35, s2 dst_sel:DWORD dst_unused:UNUSED_PAD src0_sel:WORD_1 src1_sel:DWORD
	v_lshrrev_b32_e32 v38, 16, v35
	v_cmp_ne_u16_e64 s[2:3], 0, v40
	s_and_saveexec_b64 s[10:11], s[2:3]
	s_cbranch_execz .LBB736_56
; %bb.51:
	s_movk_i32 s2, 0x80
	v_cmp_ne_u16_e64 s[2:3], s2, v40
	v_mov_b32_e32 v49, 0xffff8000
	s_and_saveexec_b64 s[20:21], s[2:3]
	s_cbranch_execz .LBB736_55
; %bb.52:
	v_bfe_u32 v40, v35, 16, 7
	s_movk_i32 s2, 0x7f
	v_cmp_ne_u32_e64 s[2:3], s2, v40
	v_mov_b32_e32 v49, 0x7f80
	s_and_saveexec_b64 s[22:23], s[2:3]
	s_cbranch_execz .LBB736_54
; %bb.53:
	v_and_b32_e32 v49, 7, v38
	v_ffbh_u32_e32 v50, v49
	v_min_u32_e32 v53, 32, v50
	v_subrev_u32_e32 v50, 28, v53
	v_lshlrev_b64 v[50:51], v50, v[38:39]
	v_and_b32_e32 v50, 7, v50
	v_cmp_gt_u32_e64 s[2:3], 8, v40
	v_lshrrev_b32_e32 v52, 3, v40
	v_sub_u32_e32 v38, 29, v53
	v_cndmask_b32_e64 v40, v49, v50, s[2:3]
	v_mov_b32_e32 v49, 24
	v_cndmask_b32_e64 v38, v52, v38, s[2:3]
	v_lshlrev_b32_sdwa v49, v49, v35 dst_sel:DWORD dst_unused:UNUSED_PAD src0_sel:DWORD src1_sel:WORD_1
	v_bfrev_b32_e32 v50, 60
	v_lshlrev_b32_e32 v40, 20, v40
	v_and_b32_e32 v49, 0x80000000, v49
	v_lshl_add_u32 v38, v38, 23, v50
	v_or3_b32 v38, v49, v38, v40
	v_lshrrev_b32_e32 v49, 16, v38
.LBB736_54:
	s_or_b64 exec, exec, s[22:23]
.LBB736_55:
	s_or_b64 exec, exec, s[20:21]
.LBB736_56:
	s_or_b64 exec, exec, s[10:11]
	s_mov_b32 s2, -1
	s_mov_b32 s3, 0xffffff
	v_cmp_lt_u64_e64 s[2:3], s[2:3], v[34:35]
	v_mov_b32_e32 v40, 0
	v_mov_b32_e32 v38, 0
	s_and_saveexec_b64 s[10:11], s[2:3]
	s_cbranch_execz .LBB736_62
; %bb.57:
	v_lshrrev_b32_e32 v34, 24, v35
	s_movk_i32 s2, 0x80
	v_cmp_ne_u32_e64 s[2:3], s2, v34
	v_mov_b32_e32 v38, 0xffff8000
	s_and_saveexec_b64 s[20:21], s[2:3]
	s_cbranch_execz .LBB736_61
; %bb.58:
	v_bfe_u32 v35, v35, 24, 7
	s_movk_i32 s2, 0x7f
	v_cmp_ne_u32_e64 s[2:3], s2, v35
	v_mov_b32_e32 v38, 0x7f80
	s_and_saveexec_b64 s[22:23], s[2:3]
	s_cbranch_execz .LBB736_60
; %bb.59:
	v_and_b32_e32 v38, 7, v34
	v_ffbh_u32_e32 v50, v38
	v_min_u32_e32 v53, 32, v50
	v_subrev_u32_e32 v50, 28, v53
	v_lshlrev_b64 v[50:51], v50, v[34:35]
	v_lshrrev_b32_e32 v52, 3, v35
	v_sub_u32_e32 v51, 29, v53
	v_and_b32_e32 v50, 7, v50
	v_cmp_gt_u32_e64 s[2:3], 8, v35
	v_cndmask_b32_e64 v35, v52, v51, s[2:3]
	v_cndmask_b32_e64 v38, v38, v50, s[2:3]
	v_lshlrev_b32_e32 v34, 24, v34
	v_bfrev_b32_e32 v50, 60
	v_lshlrev_b32_e32 v38, 20, v38
	v_and_b32_e32 v34, 0x80000000, v34
	v_lshl_add_u32 v35, v35, 23, v50
	v_or3_b32 v34, v34, v35, v38
	v_lshrrev_b32_e32 v38, 16, v34
.LBB736_60:
	s_or_b64 exec, exec, s[22:23]
.LBB736_61:
	s_or_b64 exec, exec, s[20:21]
.LBB736_62:
	s_or_b64 exec, exec, s[10:11]
	s_mov_b32 s2, 0x5040100
	v_perm_b32 v35, v47, v46, s2
	v_perm_b32 v34, v45, v39, s2
	;; [unrolled: 1-line block ×4, first 2 shown]
	v_mfma_f32_4x4x4bf16_1k a[0:3], v[18:19], v[34:35], 0 cbsz:4
	v_cmp_ne_u16_sdwa s[2:3], v36, v40 src0_sel:BYTE_0 src1_sel:DWORD
	v_mfma_f32_4x4x4bf16_1k a[0:3], v[20:21], v[38:39], a[0:3] cbsz:4
	s_and_saveexec_b64 s[10:11], s[2:3]
	s_cbranch_execz .LBB736_68
; %bb.63:
	s_movk_i32 s2, 0x80
	v_cmp_ne_u16_sdwa s[2:3], v36, s2 src0_sel:BYTE_0 src1_sel:DWORD
	v_mov_b32_e32 v40, 0xffff8000
	s_and_saveexec_b64 s[20:21], s[2:3]
	s_cbranch_execz .LBB736_67
; %bb.64:
	s_movk_i32 s2, 0x7f
	v_and_b32_e32 v34, 0x7f, v36
	v_cmp_ne_u32_e64 s[2:3], s2, v34
	v_mov_b32_e32 v40, 0x7f80
	s_and_saveexec_b64 s[22:23], s[2:3]
	s_cbranch_execz .LBB736_66
; %bb.65:
	v_and_b32_e32 v35, 7, v36
	v_ffbh_u32_e32 v35, v35
	v_min_u32_e32 v35, 32, v35
	v_subrev_u32_e32 v39, 28, v35
	v_cmp_gt_u32_e64 s[2:3], 8, v34
	v_lshrrev_b32_e32 v38, 3, v34
	v_sub_u32_e32 v35, 29, v35
	v_cndmask_b32_e64 v34, 0, v39, s[2:3]
	v_cndmask_b32_e64 v38, v38, v35, s[2:3]
	v_lshlrev_b64 v[34:35], v34, v[36:37]
	v_lshlrev_b32_e32 v34, 20, v34
	v_lshlrev_b32_e32 v35, 24, v36
	v_bfrev_b32_e32 v39, 60
	v_and_b32_e32 v34, 0x700000, v34
	v_and_b32_e32 v35, 0x80000000, v35
	v_lshl_add_u32 v38, v38, 23, v39
	v_or3_b32 v34, v35, v38, v34
	v_lshrrev_b32_e32 v40, 16, v34
.LBB736_66:
	s_or_b64 exec, exec, s[22:23]
.LBB736_67:
	s_or_b64 exec, exec, s[20:21]
.LBB736_68:
	s_or_b64 exec, exec, s[10:11]
	v_lshrrev_b16_e32 v34, 8, v36
	v_cmp_ne_u16_e64 s[2:3], 0, v34
	v_mov_b32_e32 v41, 0
	v_mov_b32_e32 v39, 0
	s_and_saveexec_b64 s[10:11], s[2:3]
	s_cbranch_execz .LBB736_74
; %bb.69:
	s_movk_i32 s2, 0x80
	v_cmp_ne_u16_e64 s[2:3], s2, v34
	v_mov_b32_e32 v39, 0xffff8000
	s_and_saveexec_b64 s[20:21], s[2:3]
	s_cbranch_execz .LBB736_73
; %bb.70:
	s_movk_i32 s2, 0x7f
	v_and_b32_e32 v35, 0x7f, v34
	v_cmp_ne_u32_e64 s[2:3], s2, v35
	v_mov_b32_e32 v39, 0x7f80
	s_and_saveexec_b64 s[22:23], s[2:3]
	s_cbranch_execz .LBB736_72
; %bb.71:
	v_and_b32_e32 v45, 7, v34
	v_ffbh_u32_e32 v38, v45
	v_min_u32_e32 v47, 32, v38
	v_subrev_u32_e32 v38, 28, v47
	v_lshlrev_b64 v[38:39], v38, v[34:35]
	v_lshrrev_b32_e32 v46, 3, v35
	v_sub_u32_e32 v34, 29, v47
	v_and_b32_e32 v38, 7, v38
	v_cmp_gt_u32_e64 s[2:3], 8, v35
	v_cndmask_b32_e64 v34, v46, v34, s[2:3]
	v_cndmask_b32_e64 v35, v45, v38, s[2:3]
	v_lshlrev_b32_e32 v38, 16, v36
	v_bfrev_b32_e32 v39, 60
	v_lshlrev_b32_e32 v35, 20, v35
	v_and_b32_e32 v38, 0x80000000, v38
	v_lshl_add_u32 v34, v34, 23, v39
	v_or3_b32 v34, v38, v34, v35
	v_lshrrev_b32_e32 v39, 16, v34
.LBB736_72:
	s_or_b64 exec, exec, s[22:23]
.LBB736_73:
	s_or_b64 exec, exec, s[20:21]
.LBB736_74:
	s_or_b64 exec, exec, s[10:11]
	s_movk_i32 s2, 0xff
	v_and_b32_sdwa v35, v36, s2 dst_sel:DWORD dst_unused:UNUSED_PAD src0_sel:WORD_1 src1_sel:DWORD
	v_lshrrev_b32_e32 v34, 16, v36
	v_cmp_ne_u16_e64 s[2:3], 0, v35
	s_and_saveexec_b64 s[10:11], s[2:3]
	s_cbranch_execz .LBB736_80
; %bb.75:
	s_movk_i32 s2, 0x80
	v_cmp_ne_u16_e64 s[2:3], s2, v35
	v_mov_b32_e32 v41, 0xffff8000
	s_and_saveexec_b64 s[20:21], s[2:3]
	s_cbranch_execz .LBB736_79
; %bb.76:
	v_bfe_u32 v35, v36, 16, 7
	s_movk_i32 s2, 0x7f
	v_cmp_ne_u32_e64 s[2:3], s2, v35
	v_mov_b32_e32 v41, 0x7f80
	s_and_saveexec_b64 s[22:23], s[2:3]
	s_cbranch_execz .LBB736_78
; %bb.77:
	v_and_b32_e32 v38, 7, v34
	v_ffbh_u32_e32 v45, v38
	v_min_u32_e32 v45, 32, v45
	v_subrev_u32_e32 v46, 28, v45
	v_lshlrev_b64 v[46:47], v46, v[34:35]
	v_sub_u32_e32 v34, 29, v45
	v_and_b32_e32 v45, 7, v46
	v_cmp_gt_u32_e64 s[2:3], 8, v35
	v_lshrrev_b32_e32 v41, 3, v35
	v_cndmask_b32_e64 v35, v38, v45, s[2:3]
	v_mov_b32_e32 v38, 24
	v_cndmask_b32_e64 v34, v41, v34, s[2:3]
	v_lshlrev_b32_sdwa v38, v38, v36 dst_sel:DWORD dst_unused:UNUSED_PAD src0_sel:DWORD src1_sel:WORD_1
	v_bfrev_b32_e32 v41, 60
	v_lshlrev_b32_e32 v35, 20, v35
	v_and_b32_e32 v38, 0x80000000, v38
	v_lshl_add_u32 v34, v34, 23, v41
	v_or3_b32 v34, v38, v34, v35
	v_lshrrev_b32_e32 v41, 16, v34
.LBB736_78:
	s_or_b64 exec, exec, s[22:23]
.LBB736_79:
	s_or_b64 exec, exec, s[20:21]
.LBB736_80:
	s_or_b64 exec, exec, s[10:11]
	s_mov_b32 s2, 0xffffff
	v_cmp_lt_u32_e64 s[2:3], s2, v36
	v_mov_b32_e32 v35, 0
	v_mov_b32_e32 v45, 0
	s_and_saveexec_b64 s[10:11], s[2:3]
	s_cbranch_execz .LBB736_86
; %bb.81:
	v_lshrrev_b32_e32 v34, 24, v36
	s_movk_i32 s2, 0x80
	v_cmp_ne_u32_e64 s[2:3], s2, v34
	v_mov_b32_e32 v45, 0xffff8000
	s_and_saveexec_b64 s[20:21], s[2:3]
	s_cbranch_execz .LBB736_85
; %bb.82:
	v_bfe_u32 v38, v36, 24, 7
	s_movk_i32 s2, 0x7f
	v_cmp_ne_u32_e64 s[2:3], s2, v38
	v_mov_b32_e32 v45, 0x7f80
	s_and_saveexec_b64 s[22:23], s[2:3]
	s_cbranch_execz .LBB736_84
; %bb.83:
	v_and_b32_e32 v45, 7, v34
	v_ffbh_u32_e32 v46, v45
	v_min_u32_e32 v49, 32, v46
	v_subrev_u32_e32 v46, 28, v49
	v_lshlrev_b64 v[46:47], v46, v[34:35]
	v_lshrrev_b32_e32 v48, 3, v38
	v_sub_u32_e32 v47, 29, v49
	v_and_b32_e32 v46, 7, v46
	v_cmp_gt_u32_e64 s[2:3], 8, v38
	v_cndmask_b32_e64 v38, v48, v47, s[2:3]
	v_cndmask_b32_e64 v45, v45, v46, s[2:3]
	v_lshlrev_b32_e32 v34, 24, v34
	v_bfrev_b32_e32 v46, 60
	v_lshlrev_b32_e32 v45, 20, v45
	v_and_b32_e32 v34, 0x80000000, v34
	v_lshl_add_u32 v38, v38, 23, v46
	v_or3_b32 v34, v34, v38, v45
	v_lshrrev_b32_e32 v45, 16, v34
.LBB736_84:
	s_or_b64 exec, exec, s[22:23]
.LBB736_85:
	s_or_b64 exec, exec, s[20:21]
.LBB736_86:
	s_or_b64 exec, exec, s[10:11]
	v_mov_b32_e32 v34, v37
	v_cmp_ne_u16_sdwa s[2:3], v37, v35 src0_sel:BYTE_0 src1_sel:DWORD
	s_and_saveexec_b64 s[10:11], s[2:3]
	s_cbranch_execz .LBB736_92
; %bb.87:
	s_movk_i32 s2, 0x80
	v_cmp_ne_u16_sdwa s[2:3], v37, s2 src0_sel:BYTE_0 src1_sel:DWORD
	v_mov_b32_e32 v38, 0xffff8000
	s_and_saveexec_b64 s[20:21], s[2:3]
	s_cbranch_execz .LBB736_91
; %bb.88:
	s_movk_i32 s2, 0x7f
	v_and_b32_e32 v46, 0x7f, v37
	v_cmp_ne_u32_e64 s[2:3], s2, v46
	v_mov_b32_e32 v38, 0x7f80
	s_and_saveexec_b64 s[22:23], s[2:3]
	s_cbranch_execz .LBB736_90
; %bb.89:
	v_and_b32_e32 v38, 7, v37
	v_ffbh_u32_e32 v38, v38
	v_min_u32_e32 v38, 32, v38
	v_subrev_u32_e32 v48, 28, v38
	v_cmp_gt_u32_e64 s[2:3], 8, v46
	v_lshrrev_b32_e32 v47, 3, v46
	v_sub_u32_e32 v38, 29, v38
	v_cndmask_b32_e64 v46, 0, v48, s[2:3]
	v_cndmask_b32_e64 v38, v47, v38, s[2:3]
	v_lshlrev_b64 v[46:47], v46, v[34:35]
	v_lshlrev_b32_e32 v35, 20, v46
	v_lshlrev_b32_e32 v46, 24, v34
	v_bfrev_b32_e32 v47, 60
	v_and_b32_e32 v35, 0x700000, v35
	v_and_b32_e32 v46, 0x80000000, v46
	v_lshl_add_u32 v38, v38, 23, v47
	v_or3_b32 v35, v46, v38, v35
	v_lshrrev_b32_e32 v38, 16, v35
.LBB736_90:
	s_or_b64 exec, exec, s[22:23]
.LBB736_91:
	s_or_b64 exec, exec, s[20:21]
	v_mov_b32_e32 v35, v38
.LBB736_92:
	s_or_b64 exec, exec, s[10:11]
	v_lshrrev_b16_e32 v38, 8, v34
	v_cmp_ne_u16_e64 s[2:3], 0, v38
	v_mov_b32_e32 v47, 0
	v_mov_b32_e32 v46, 0
	s_and_saveexec_b64 s[10:11], s[2:3]
	s_cbranch_execz .LBB736_98
; %bb.93:
	s_movk_i32 s2, 0x80
	v_cmp_ne_u16_e64 s[2:3], s2, v38
	v_mov_b32_e32 v46, 0xffff8000
	s_and_saveexec_b64 s[20:21], s[2:3]
	s_cbranch_execz .LBB736_97
; %bb.94:
	s_movk_i32 s2, 0x7f
	v_and_b32_e32 v48, 0x7f, v38
	v_cmp_ne_u32_e64 s[2:3], s2, v48
	v_mov_b32_e32 v46, 0x7f80
	s_and_saveexec_b64 s[22:23], s[2:3]
	s_cbranch_execz .LBB736_96
; %bb.95:
	v_and_b32_e32 v46, 7, v38
	v_ffbh_u32_e32 v50, v46
	v_min_u32_e32 v52, 32, v50
	v_subrev_u32_e32 v50, 28, v52
	v_lshlrev_b64 v[50:51], v50, v[38:39]
	v_lshrrev_b32_e32 v49, 3, v48
	v_sub_u32_e32 v38, 29, v52
	v_and_b32_e32 v50, 7, v50
	v_cmp_gt_u32_e64 s[2:3], 8, v48
	v_cndmask_b32_e64 v38, v49, v38, s[2:3]
	v_cndmask_b32_e64 v46, v46, v50, s[2:3]
	v_lshlrev_b32_e32 v34, 16, v34
	v_bfrev_b32_e32 v48, 60
	v_lshlrev_b32_e32 v46, 20, v46
	v_and_b32_e32 v34, 0x80000000, v34
	v_lshl_add_u32 v38, v38, 23, v48
	v_or3_b32 v34, v34, v38, v46
	v_lshrrev_b32_e32 v46, 16, v34
.LBB736_96:
	s_or_b64 exec, exec, s[22:23]
.LBB736_97:
	s_or_b64 exec, exec, s[20:21]
.LBB736_98:
	s_or_b64 exec, exec, s[10:11]
	s_movk_i32 s2, 0xff
	v_and_b32_sdwa v38, v37, s2 dst_sel:DWORD dst_unused:UNUSED_PAD src0_sel:WORD_1 src1_sel:DWORD
	v_lshrrev_b32_e32 v34, 16, v37
	v_cmp_ne_u16_e64 s[2:3], 0, v38
	s_and_saveexec_b64 s[10:11], s[2:3]
	s_cbranch_execz .LBB736_104
; %bb.99:
	s_movk_i32 s2, 0x80
	v_cmp_ne_u16_e64 s[2:3], s2, v38
	v_mov_b32_e32 v47, 0xffff8000
	s_and_saveexec_b64 s[20:21], s[2:3]
	s_cbranch_execz .LBB736_103
; %bb.100:
	v_bfe_u32 v38, v37, 16, 7
	s_movk_i32 s2, 0x7f
	v_cmp_ne_u32_e64 s[2:3], s2, v38
	v_mov_b32_e32 v47, 0x7f80
	s_and_saveexec_b64 s[22:23], s[2:3]
	s_cbranch_execz .LBB736_102
; %bb.101:
	v_and_b32_e32 v47, 7, v34
	v_ffbh_u32_e32 v48, v47
	v_min_u32_e32 v51, 32, v48
	v_subrev_u32_e32 v48, 28, v51
	v_lshlrev_b64 v[48:49], v48, v[34:35]
	v_and_b32_e32 v48, 7, v48
	v_cmp_gt_u32_e64 s[2:3], 8, v38
	v_lshrrev_b32_e32 v50, 3, v38
	v_sub_u32_e32 v34, 29, v51
	v_cndmask_b32_e64 v38, v47, v48, s[2:3]
	v_mov_b32_e32 v47, 24
	v_cndmask_b32_e64 v34, v50, v34, s[2:3]
	v_lshlrev_b32_sdwa v47, v47, v37 dst_sel:DWORD dst_unused:UNUSED_PAD src0_sel:DWORD src1_sel:WORD_1
	v_bfrev_b32_e32 v48, 60
	v_lshlrev_b32_e32 v38, 20, v38
	v_and_b32_e32 v47, 0x80000000, v47
	v_lshl_add_u32 v34, v34, 23, v48
	v_or3_b32 v34, v47, v34, v38
	v_lshrrev_b32_e32 v47, 16, v34
.LBB736_102:
	s_or_b64 exec, exec, s[22:23]
.LBB736_103:
	s_or_b64 exec, exec, s[20:21]
.LBB736_104:
	s_or_b64 exec, exec, s[10:11]
	s_mov_b32 s2, -1
	s_mov_b32 s3, 0xffffff
	v_cmp_lt_u64_e64 s[2:3], s[2:3], v[36:37]
	v_mov_b32_e32 v38, 0
	v_mov_b32_e32 v36, 0
	s_and_saveexec_b64 s[10:11], s[2:3]
	s_cbranch_execz .LBB736_110
; %bb.105:
	v_lshrrev_b32_e32 v34, 24, v37
	s_movk_i32 s2, 0x80
	v_cmp_ne_u32_e64 s[2:3], s2, v34
	v_mov_b32_e32 v36, 0xffff8000
	s_and_saveexec_b64 s[20:21], s[2:3]
	s_cbranch_execz .LBB736_109
; %bb.106:
	v_bfe_u32 v37, v37, 24, 7
	s_movk_i32 s2, 0x7f
	v_cmp_ne_u32_e64 s[2:3], s2, v37
	v_mov_b32_e32 v36, 0x7f80
	s_and_saveexec_b64 s[22:23], s[2:3]
	s_cbranch_execz .LBB736_108
; %bb.107:
	v_and_b32_e32 v36, 7, v34
	v_ffbh_u32_e32 v48, v36
	v_min_u32_e32 v51, 32, v48
	v_subrev_u32_e32 v48, 28, v51
	v_lshlrev_b64 v[48:49], v48, v[34:35]
	v_lshrrev_b32_e32 v50, 3, v37
	v_sub_u32_e32 v49, 29, v51
	v_and_b32_e32 v48, 7, v48
	v_cmp_gt_u32_e64 s[2:3], 8, v37
	v_cndmask_b32_e64 v37, v50, v49, s[2:3]
	v_cndmask_b32_e64 v36, v36, v48, s[2:3]
	v_lshlrev_b32_e32 v34, 24, v34
	v_bfrev_b32_e32 v48, 60
	v_lshlrev_b32_e32 v36, 20, v36
	v_and_b32_e32 v34, 0x80000000, v34
	v_lshl_add_u32 v37, v37, 23, v48
	v_or3_b32 v34, v34, v37, v36
	v_lshrrev_b32_e32 v36, 16, v34
.LBB736_108:
	s_or_b64 exec, exec, s[22:23]
.LBB736_109:
	s_or_b64 exec, exec, s[20:21]
.LBB736_110:
	s_or_b64 exec, exec, s[10:11]
	s_mov_b32 s2, 0x5040100
	v_perm_b32 v41, v45, v41, s2
	v_perm_b32 v40, v39, v40, s2
	;; [unrolled: 1-line block ×4, first 2 shown]
	v_mfma_f32_4x4x4bf16_1k a[0:3], v[18:19], v[40:41], a[0:3] cbsz:4 abid:1
	s_waitcnt vmcnt(6)
	v_cmp_ne_u16_sdwa s[2:3], v30, v38 src0_sel:BYTE_0 src1_sel:DWORD
	v_mfma_f32_4x4x4bf16_1k a[0:3], v[20:21], v[36:37], a[0:3] cbsz:4 abid:1
	s_and_saveexec_b64 s[10:11], s[2:3]
	s_cbranch_execz .LBB736_116
; %bb.111:
	s_movk_i32 s2, 0x80
	v_cmp_ne_u16_sdwa s[2:3], v30, s2 src0_sel:BYTE_0 src1_sel:DWORD
	v_mov_b32_e32 v38, 0xffff8000
	s_and_saveexec_b64 s[20:21], s[2:3]
	s_cbranch_execz .LBB736_115
; %bb.112:
	s_movk_i32 s2, 0x7f
	v_and_b32_e32 v34, 0x7f, v30
	v_cmp_ne_u32_e64 s[2:3], s2, v34
	v_mov_b32_e32 v38, 0x7f80
	s_and_saveexec_b64 s[22:23], s[2:3]
	s_cbranch_execz .LBB736_114
; %bb.113:
	v_and_b32_e32 v35, 7, v30
	v_ffbh_u32_e32 v35, v35
	v_min_u32_e32 v35, 32, v35
	v_subrev_u32_e32 v37, 28, v35
	v_cmp_gt_u32_e64 s[2:3], 8, v34
	v_lshrrev_b32_e32 v36, 3, v34
	v_sub_u32_e32 v35, 29, v35
	v_cndmask_b32_e64 v34, 0, v37, s[2:3]
	v_cndmask_b32_e64 v36, v36, v35, s[2:3]
	v_lshlrev_b64 v[34:35], v34, v[30:31]
	v_lshlrev_b32_e32 v34, 20, v34
	v_lshlrev_b32_e32 v35, 24, v30
	v_bfrev_b32_e32 v37, 60
	v_and_b32_e32 v34, 0x700000, v34
	v_and_b32_e32 v35, 0x80000000, v35
	v_lshl_add_u32 v36, v36, 23, v37
	v_or3_b32 v34, v35, v36, v34
	v_lshrrev_b32_e32 v38, 16, v34
.LBB736_114:
	s_or_b64 exec, exec, s[22:23]
.LBB736_115:
	s_or_b64 exec, exec, s[20:21]
.LBB736_116:
	s_or_b64 exec, exec, s[10:11]
	v_lshrrev_b16_e32 v34, 8, v30
	v_cmp_ne_u16_e64 s[2:3], 0, v34
	v_mov_b32_e32 v39, 0
	v_mov_b32_e32 v37, 0
	s_and_saveexec_b64 s[10:11], s[2:3]
	s_cbranch_execz .LBB736_122
; %bb.117:
	s_movk_i32 s2, 0x80
	v_cmp_ne_u16_e64 s[2:3], s2, v34
	v_mov_b32_e32 v37, 0xffff8000
	s_and_saveexec_b64 s[20:21], s[2:3]
	s_cbranch_execz .LBB736_121
; %bb.118:
	s_movk_i32 s2, 0x7f
	v_and_b32_e32 v35, 0x7f, v34
	v_cmp_ne_u32_e64 s[2:3], s2, v35
	v_mov_b32_e32 v37, 0x7f80
	s_and_saveexec_b64 s[22:23], s[2:3]
	s_cbranch_execz .LBB736_120
; %bb.119:
	v_and_b32_e32 v40, 7, v34
	v_ffbh_u32_e32 v36, v40
	v_min_u32_e32 v45, 32, v36
	v_subrev_u32_e32 v36, 28, v45
	v_lshlrev_b64 v[36:37], v36, v[34:35]
	v_lshrrev_b32_e32 v41, 3, v35
	v_sub_u32_e32 v34, 29, v45
	v_and_b32_e32 v36, 7, v36
	v_cmp_gt_u32_e64 s[2:3], 8, v35
	v_cndmask_b32_e64 v34, v41, v34, s[2:3]
	v_cndmask_b32_e64 v35, v40, v36, s[2:3]
	v_lshlrev_b32_e32 v36, 16, v30
	v_bfrev_b32_e32 v37, 60
	v_lshlrev_b32_e32 v35, 20, v35
	v_and_b32_e32 v36, 0x80000000, v36
	v_lshl_add_u32 v34, v34, 23, v37
	v_or3_b32 v34, v36, v34, v35
	v_lshrrev_b32_e32 v37, 16, v34
.LBB736_120:
	s_or_b64 exec, exec, s[22:23]
.LBB736_121:
	s_or_b64 exec, exec, s[20:21]
.LBB736_122:
	s_or_b64 exec, exec, s[10:11]
	s_movk_i32 s2, 0xff
	v_and_b32_sdwa v35, v30, s2 dst_sel:DWORD dst_unused:UNUSED_PAD src0_sel:WORD_1 src1_sel:DWORD
	v_lshrrev_b32_e32 v34, 16, v30
	v_cmp_ne_u16_e64 s[2:3], 0, v35
	s_and_saveexec_b64 s[10:11], s[2:3]
	s_cbranch_execz .LBB736_128
; %bb.123:
	s_movk_i32 s2, 0x80
	v_cmp_ne_u16_e64 s[2:3], s2, v35
	v_mov_b32_e32 v39, 0xffff8000
	s_and_saveexec_b64 s[20:21], s[2:3]
	s_cbranch_execz .LBB736_127
; %bb.124:
	v_bfe_u32 v35, v30, 16, 7
	s_movk_i32 s2, 0x7f
	v_cmp_ne_u32_e64 s[2:3], s2, v35
	v_mov_b32_e32 v39, 0x7f80
	s_and_saveexec_b64 s[22:23], s[2:3]
	s_cbranch_execz .LBB736_126
; %bb.125:
	v_and_b32_e32 v36, 7, v34
	v_ffbh_u32_e32 v40, v36
	v_min_u32_e32 v45, 32, v40
	v_subrev_u32_e32 v40, 28, v45
	v_lshlrev_b64 v[40:41], v40, v[34:35]
	v_and_b32_e32 v40, 7, v40
	v_cmp_gt_u32_e64 s[2:3], 8, v35
	v_lshrrev_b32_e32 v39, 3, v35
	v_sub_u32_e32 v34, 29, v45
	v_cndmask_b32_e64 v35, v36, v40, s[2:3]
	v_mov_b32_e32 v36, 24
	v_cndmask_b32_e64 v34, v39, v34, s[2:3]
	v_lshlrev_b32_sdwa v36, v36, v30 dst_sel:DWORD dst_unused:UNUSED_PAD src0_sel:DWORD src1_sel:WORD_1
	v_bfrev_b32_e32 v39, 60
	v_lshlrev_b32_e32 v35, 20, v35
	v_and_b32_e32 v36, 0x80000000, v36
	v_lshl_add_u32 v34, v34, 23, v39
	v_or3_b32 v34, v36, v34, v35
	v_lshrrev_b32_e32 v39, 16, v34
.LBB736_126:
	s_or_b64 exec, exec, s[22:23]
.LBB736_127:
	s_or_b64 exec, exec, s[20:21]
.LBB736_128:
	s_or_b64 exec, exec, s[10:11]
	s_mov_b32 s2, 0xffffff
	v_cmp_lt_u32_e64 s[2:3], s2, v30
	v_mov_b32_e32 v35, 0
	v_mov_b32_e32 v40, 0
	s_and_saveexec_b64 s[10:11], s[2:3]
	s_cbranch_execz .LBB736_134
; %bb.129:
	v_lshrrev_b32_e32 v34, 24, v30
	s_movk_i32 s2, 0x80
	v_cmp_ne_u32_e64 s[2:3], s2, v34
	v_mov_b32_e32 v40, 0xffff8000
	s_and_saveexec_b64 s[20:21], s[2:3]
	s_cbranch_execz .LBB736_133
; %bb.130:
	v_bfe_u32 v36, v30, 24, 7
	s_movk_i32 s2, 0x7f
	v_cmp_ne_u32_e64 s[2:3], s2, v36
	v_mov_b32_e32 v40, 0x7f80
	s_and_saveexec_b64 s[22:23], s[2:3]
	s_cbranch_execz .LBB736_132
; %bb.131:
	v_and_b32_e32 v45, 7, v34
	v_ffbh_u32_e32 v40, v45
	v_min_u32_e32 v47, 32, v40
	v_subrev_u32_e32 v40, 28, v47
	v_lshlrev_b64 v[40:41], v40, v[34:35]
	v_lshrrev_b32_e32 v46, 3, v36
	v_sub_u32_e32 v41, 29, v47
	v_and_b32_e32 v40, 7, v40
	v_cmp_gt_u32_e64 s[2:3], 8, v36
	v_cndmask_b32_e64 v36, v46, v41, s[2:3]
	v_cndmask_b32_e64 v40, v45, v40, s[2:3]
	v_lshlrev_b32_e32 v34, 24, v34
	v_bfrev_b32_e32 v41, 60
	v_lshlrev_b32_e32 v40, 20, v40
	v_and_b32_e32 v34, 0x80000000, v34
	v_lshl_add_u32 v36, v36, 23, v41
	v_or3_b32 v34, v34, v36, v40
	v_lshrrev_b32_e32 v40, 16, v34
.LBB736_132:
	s_or_b64 exec, exec, s[22:23]
.LBB736_133:
	s_or_b64 exec, exec, s[20:21]
.LBB736_134:
	s_or_b64 exec, exec, s[10:11]
	v_mov_b32_e32 v34, v31
	v_cmp_ne_u16_sdwa s[2:3], v31, v35 src0_sel:BYTE_0 src1_sel:DWORD
	s_and_saveexec_b64 s[10:11], s[2:3]
	s_cbranch_execz .LBB736_140
; %bb.135:
	s_movk_i32 s2, 0x80
	v_cmp_ne_u16_sdwa s[2:3], v31, s2 src0_sel:BYTE_0 src1_sel:DWORD
	v_mov_b32_e32 v36, 0xffff8000
	s_and_saveexec_b64 s[20:21], s[2:3]
	s_cbranch_execz .LBB736_139
; %bb.136:
	s_movk_i32 s2, 0x7f
	v_and_b32_e32 v41, 0x7f, v31
	v_cmp_ne_u32_e64 s[2:3], s2, v41
	v_mov_b32_e32 v36, 0x7f80
	s_and_saveexec_b64 s[22:23], s[2:3]
	s_cbranch_execz .LBB736_138
; %bb.137:
	v_and_b32_e32 v36, 7, v31
	v_ffbh_u32_e32 v36, v36
	v_min_u32_e32 v36, 32, v36
	v_subrev_u32_e32 v46, 28, v36
	v_cmp_gt_u32_e64 s[2:3], 8, v41
	v_lshrrev_b32_e32 v45, 3, v41
	v_cndmask_b32_e64 v41, 0, v46, s[2:3]
	v_sub_u32_e32 v36, 29, v36
	v_lshlrev_b64 v[46:47], v41, v[34:35]
	v_cndmask_b32_e64 v36, v45, v36, s[2:3]
	v_lshlrev_b32_e32 v35, 20, v46
	v_lshlrev_b32_e32 v41, 24, v34
	v_bfrev_b32_e32 v45, 60
	v_and_b32_e32 v35, 0x700000, v35
	v_and_b32_e32 v41, 0x80000000, v41
	v_lshl_add_u32 v36, v36, 23, v45
	v_or3_b32 v35, v41, v36, v35
	v_lshrrev_b32_e32 v36, 16, v35
.LBB736_138:
	s_or_b64 exec, exec, s[22:23]
.LBB736_139:
	s_or_b64 exec, exec, s[20:21]
	v_mov_b32_e32 v35, v36
.LBB736_140:
	s_or_b64 exec, exec, s[10:11]
	v_lshrrev_b16_e32 v36, 8, v34
	v_cmp_ne_u16_e64 s[2:3], 0, v36
	v_mov_b32_e32 v45, 0
	v_mov_b32_e32 v41, 0
	s_and_saveexec_b64 s[10:11], s[2:3]
	s_cbranch_execz .LBB736_146
; %bb.141:
	s_movk_i32 s2, 0x80
	v_cmp_ne_u16_e64 s[2:3], s2, v36
	v_mov_b32_e32 v41, 0xffff8000
	s_and_saveexec_b64 s[20:21], s[2:3]
	s_cbranch_execz .LBB736_145
; %bb.142:
	s_movk_i32 s2, 0x7f
	v_and_b32_e32 v46, 0x7f, v36
	v_cmp_ne_u32_e64 s[2:3], s2, v46
	v_mov_b32_e32 v41, 0x7f80
	s_and_saveexec_b64 s[22:23], s[2:3]
	s_cbranch_execz .LBB736_144
; %bb.143:
	v_and_b32_e32 v41, 7, v36
	v_ffbh_u32_e32 v48, v41
	v_min_u32_e32 v50, 32, v48
	v_subrev_u32_e32 v48, 28, v50
	v_lshlrev_b64 v[48:49], v48, v[36:37]
	v_lshrrev_b32_e32 v47, 3, v46
	v_sub_u32_e32 v36, 29, v50
	v_and_b32_e32 v48, 7, v48
	v_cmp_gt_u32_e64 s[2:3], 8, v46
	v_cndmask_b32_e64 v36, v47, v36, s[2:3]
	v_cndmask_b32_e64 v41, v41, v48, s[2:3]
	v_lshlrev_b32_e32 v34, 16, v34
	v_bfrev_b32_e32 v46, 60
	v_lshlrev_b32_e32 v41, 20, v41
	v_and_b32_e32 v34, 0x80000000, v34
	v_lshl_add_u32 v36, v36, 23, v46
	v_or3_b32 v34, v34, v36, v41
	v_lshrrev_b32_e32 v41, 16, v34
.LBB736_144:
	s_or_b64 exec, exec, s[22:23]
.LBB736_145:
	s_or_b64 exec, exec, s[20:21]
.LBB736_146:
	s_or_b64 exec, exec, s[10:11]
	s_movk_i32 s2, 0xff
	v_and_b32_sdwa v36, v31, s2 dst_sel:DWORD dst_unused:UNUSED_PAD src0_sel:WORD_1 src1_sel:DWORD
	v_lshrrev_b32_e32 v34, 16, v31
	v_cmp_ne_u16_e64 s[2:3], 0, v36
	s_and_saveexec_b64 s[10:11], s[2:3]
	s_cbranch_execz .LBB736_152
; %bb.147:
	s_movk_i32 s2, 0x80
	v_cmp_ne_u16_e64 s[2:3], s2, v36
	v_mov_b32_e32 v45, 0xffff8000
	s_and_saveexec_b64 s[20:21], s[2:3]
	s_cbranch_execz .LBB736_151
; %bb.148:
	v_bfe_u32 v36, v31, 16, 7
	s_movk_i32 s2, 0x7f
	v_cmp_ne_u32_e64 s[2:3], s2, v36
	v_mov_b32_e32 v45, 0x7f80
	s_and_saveexec_b64 s[22:23], s[2:3]
	s_cbranch_execz .LBB736_150
; %bb.149:
	v_and_b32_e32 v45, 7, v34
	v_ffbh_u32_e32 v46, v45
	v_min_u32_e32 v49, 32, v46
	v_subrev_u32_e32 v46, 28, v49
	v_lshlrev_b64 v[46:47], v46, v[34:35]
	v_and_b32_e32 v46, 7, v46
	v_cmp_gt_u32_e64 s[2:3], 8, v36
	v_lshrrev_b32_e32 v48, 3, v36
	v_sub_u32_e32 v34, 29, v49
	v_cndmask_b32_e64 v36, v45, v46, s[2:3]
	v_mov_b32_e32 v45, 24
	v_cndmask_b32_e64 v34, v48, v34, s[2:3]
	v_lshlrev_b32_sdwa v45, v45, v31 dst_sel:DWORD dst_unused:UNUSED_PAD src0_sel:DWORD src1_sel:WORD_1
	v_bfrev_b32_e32 v46, 60
	v_lshlrev_b32_e32 v36, 20, v36
	v_and_b32_e32 v45, 0x80000000, v45
	v_lshl_add_u32 v34, v34, 23, v46
	v_or3_b32 v34, v45, v34, v36
	v_lshrrev_b32_e32 v45, 16, v34
.LBB736_150:
	s_or_b64 exec, exec, s[22:23]
.LBB736_151:
	s_or_b64 exec, exec, s[20:21]
.LBB736_152:
	s_or_b64 exec, exec, s[10:11]
	s_mov_b32 s2, -1
	s_mov_b32 s3, 0xffffff
	v_cmp_lt_u64_e64 s[2:3], s[2:3], v[30:31]
	v_mov_b32_e32 v36, 0
	v_mov_b32_e32 v34, 0
	s_and_saveexec_b64 s[10:11], s[2:3]
	s_cbranch_execz .LBB736_158
; %bb.153:
	v_lshrrev_b32_e32 v30, 24, v31
	s_movk_i32 s2, 0x80
	v_cmp_ne_u32_e64 s[2:3], s2, v30
	v_mov_b32_e32 v34, 0xffff8000
	s_and_saveexec_b64 s[20:21], s[2:3]
	s_cbranch_execz .LBB736_157
; %bb.154:
	v_bfe_u32 v31, v31, 24, 7
	s_movk_i32 s2, 0x7f
	v_cmp_ne_u32_e64 s[2:3], s2, v31
	v_mov_b32_e32 v34, 0x7f80
	s_and_saveexec_b64 s[22:23], s[2:3]
	s_cbranch_execz .LBB736_156
; %bb.155:
	v_and_b32_e32 v34, 7, v30
	v_ffbh_u32_e32 v46, v34
	v_min_u32_e32 v49, 32, v46
	v_subrev_u32_e32 v46, 28, v49
	v_lshlrev_b64 v[46:47], v46, v[30:31]
	v_lshrrev_b32_e32 v48, 3, v31
	v_sub_u32_e32 v47, 29, v49
	v_and_b32_e32 v46, 7, v46
	v_cmp_gt_u32_e64 s[2:3], 8, v31
	v_cndmask_b32_e64 v31, v48, v47, s[2:3]
	v_cndmask_b32_e64 v34, v34, v46, s[2:3]
	v_lshlrev_b32_e32 v30, 24, v30
	v_bfrev_b32_e32 v46, 60
	v_lshlrev_b32_e32 v34, 20, v34
	v_and_b32_e32 v30, 0x80000000, v30
	v_lshl_add_u32 v31, v31, 23, v46
	v_or3_b32 v30, v30, v31, v34
	v_lshrrev_b32_e32 v34, 16, v30
.LBB736_156:
	s_or_b64 exec, exec, s[22:23]
.LBB736_157:
	s_or_b64 exec, exec, s[20:21]
.LBB736_158:
	s_or_b64 exec, exec, s[10:11]
	s_mov_b32 s2, 0x5040100
	v_perm_b32 v31, v40, v39, s2
	v_perm_b32 v30, v37, v38, s2
	;; [unrolled: 1-line block ×4, first 2 shown]
	v_mfma_f32_4x4x4bf16_1k a[0:3], v[18:19], v[30:31], a[0:3] cbsz:4 abid:2
	v_cmp_ne_u16_sdwa s[2:3], v32, v36 src0_sel:BYTE_0 src1_sel:DWORD
	v_mfma_f32_4x4x4bf16_1k a[0:3], v[20:21], v[38:39], a[0:3] cbsz:4 abid:2
	s_and_saveexec_b64 s[10:11], s[2:3]
	s_cbranch_execz .LBB736_164
; %bb.159:
	s_movk_i32 s2, 0x80
	v_cmp_ne_u16_sdwa s[2:3], v32, s2 src0_sel:BYTE_0 src1_sel:DWORD
	v_mov_b32_e32 v36, 0xffff8000
	s_and_saveexec_b64 s[20:21], s[2:3]
	s_cbranch_execz .LBB736_163
; %bb.160:
	s_movk_i32 s2, 0x7f
	v_and_b32_e32 v30, 0x7f, v32
	v_cmp_ne_u32_e64 s[2:3], s2, v30
	v_mov_b32_e32 v36, 0x7f80
	s_and_saveexec_b64 s[22:23], s[2:3]
	s_cbranch_execz .LBB736_162
; %bb.161:
	v_and_b32_e32 v31, 7, v32
	v_ffbh_u32_e32 v31, v31
	v_min_u32_e32 v31, 32, v31
	v_subrev_u32_e32 v35, 28, v31
	v_cmp_gt_u32_e64 s[2:3], 8, v30
	v_lshrrev_b32_e32 v34, 3, v30
	v_sub_u32_e32 v31, 29, v31
	v_cndmask_b32_e64 v30, 0, v35, s[2:3]
	v_cndmask_b32_e64 v34, v34, v31, s[2:3]
	v_lshlrev_b64 v[30:31], v30, v[32:33]
	v_lshlrev_b32_e32 v30, 20, v30
	v_lshlrev_b32_e32 v31, 24, v32
	v_bfrev_b32_e32 v35, 60
	v_and_b32_e32 v30, 0x700000, v30
	v_and_b32_e32 v31, 0x80000000, v31
	v_lshl_add_u32 v34, v34, 23, v35
	v_or3_b32 v30, v31, v34, v30
	v_lshrrev_b32_e32 v36, 16, v30
.LBB736_162:
	s_or_b64 exec, exec, s[22:23]
.LBB736_163:
	s_or_b64 exec, exec, s[20:21]
.LBB736_164:
	s_or_b64 exec, exec, s[10:11]
	v_lshrrev_b16_e32 v30, 8, v32
	v_cmp_ne_u16_e64 s[2:3], 0, v30
	v_mov_b32_e32 v37, 0
	v_mov_b32_e32 v35, 0
	s_and_saveexec_b64 s[10:11], s[2:3]
	s_cbranch_execz .LBB736_170
; %bb.165:
	s_movk_i32 s2, 0x80
	v_cmp_ne_u16_e64 s[2:3], s2, v30
	v_mov_b32_e32 v35, 0xffff8000
	s_and_saveexec_b64 s[20:21], s[2:3]
	s_cbranch_execz .LBB736_169
; %bb.166:
	s_movk_i32 s2, 0x7f
	v_and_b32_e32 v31, 0x7f, v30
	v_cmp_ne_u32_e64 s[2:3], s2, v31
	v_mov_b32_e32 v35, 0x7f80
	s_and_saveexec_b64 s[22:23], s[2:3]
	s_cbranch_execz .LBB736_168
; %bb.167:
	v_and_b32_e32 v38, 7, v30
	v_ffbh_u32_e32 v34, v38
	v_min_u32_e32 v40, 32, v34
	v_subrev_u32_e32 v34, 28, v40
	v_lshlrev_b64 v[34:35], v34, v[30:31]
	v_lshrrev_b32_e32 v39, 3, v31
	v_sub_u32_e32 v30, 29, v40
	v_and_b32_e32 v34, 7, v34
	v_cmp_gt_u32_e64 s[2:3], 8, v31
	v_cndmask_b32_e64 v30, v39, v30, s[2:3]
	v_cndmask_b32_e64 v31, v38, v34, s[2:3]
	v_lshlrev_b32_e32 v34, 16, v32
	v_bfrev_b32_e32 v35, 60
	v_lshlrev_b32_e32 v31, 20, v31
	v_and_b32_e32 v34, 0x80000000, v34
	v_lshl_add_u32 v30, v30, 23, v35
	v_or3_b32 v30, v34, v30, v31
	v_lshrrev_b32_e32 v35, 16, v30
.LBB736_168:
	s_or_b64 exec, exec, s[22:23]
.LBB736_169:
	s_or_b64 exec, exec, s[20:21]
.LBB736_170:
	s_or_b64 exec, exec, s[10:11]
	s_movk_i32 s2, 0xff
	v_and_b32_sdwa v31, v32, s2 dst_sel:DWORD dst_unused:UNUSED_PAD src0_sel:WORD_1 src1_sel:DWORD
	v_lshrrev_b32_e32 v30, 16, v32
	v_cmp_ne_u16_e64 s[2:3], 0, v31
	s_and_saveexec_b64 s[10:11], s[2:3]
	s_cbranch_execz .LBB736_176
; %bb.171:
	s_movk_i32 s2, 0x80
	v_cmp_ne_u16_e64 s[2:3], s2, v31
	v_mov_b32_e32 v37, 0xffff8000
	s_and_saveexec_b64 s[20:21], s[2:3]
	s_cbranch_execz .LBB736_175
; %bb.172:
	v_bfe_u32 v31, v32, 16, 7
	s_movk_i32 s2, 0x7f
	v_cmp_ne_u32_e64 s[2:3], s2, v31
	v_mov_b32_e32 v37, 0x7f80
	s_and_saveexec_b64 s[22:23], s[2:3]
	s_cbranch_execz .LBB736_174
; %bb.173:
	v_and_b32_e32 v34, 7, v30
	v_ffbh_u32_e32 v38, v34
	v_min_u32_e32 v40, 32, v38
	v_subrev_u32_e32 v38, 28, v40
	v_lshlrev_b64 v[38:39], v38, v[30:31]
	v_and_b32_e32 v38, 7, v38
	v_cmp_gt_u32_e64 s[2:3], 8, v31
	v_lshrrev_b32_e32 v37, 3, v31
	v_sub_u32_e32 v30, 29, v40
	v_cndmask_b32_e64 v31, v34, v38, s[2:3]
	v_mov_b32_e32 v34, 24
	v_cndmask_b32_e64 v30, v37, v30, s[2:3]
	v_lshlrev_b32_sdwa v34, v34, v32 dst_sel:DWORD dst_unused:UNUSED_PAD src0_sel:DWORD src1_sel:WORD_1
	v_bfrev_b32_e32 v37, 60
	v_lshlrev_b32_e32 v31, 20, v31
	v_and_b32_e32 v34, 0x80000000, v34
	v_lshl_add_u32 v30, v30, 23, v37
	v_or3_b32 v30, v34, v30, v31
	v_lshrrev_b32_e32 v37, 16, v30
.LBB736_174:
	s_or_b64 exec, exec, s[22:23]
.LBB736_175:
	s_or_b64 exec, exec, s[20:21]
.LBB736_176:
	s_or_b64 exec, exec, s[10:11]
	s_mov_b32 s2, 0xffffff
	v_cmp_lt_u32_e64 s[2:3], s2, v32
	v_mov_b32_e32 v31, 0
	v_mov_b32_e32 v38, 0
	s_and_saveexec_b64 s[10:11], s[2:3]
	s_cbranch_execz .LBB736_182
; %bb.177:
	v_lshrrev_b32_e32 v30, 24, v32
	s_movk_i32 s2, 0x80
	v_cmp_ne_u32_e64 s[2:3], s2, v30
	v_mov_b32_e32 v38, 0xffff8000
	s_and_saveexec_b64 s[20:21], s[2:3]
	s_cbranch_execz .LBB736_181
; %bb.178:
	v_bfe_u32 v34, v32, 24, 7
	s_movk_i32 s2, 0x7f
	v_cmp_ne_u32_e64 s[2:3], s2, v34
	v_mov_b32_e32 v38, 0x7f80
	s_and_saveexec_b64 s[22:23], s[2:3]
	s_cbranch_execz .LBB736_180
; %bb.179:
	v_and_b32_e32 v40, 7, v30
	v_ffbh_u32_e32 v38, v40
	v_min_u32_e32 v45, 32, v38
	v_subrev_u32_e32 v38, 28, v45
	v_lshlrev_b64 v[38:39], v38, v[30:31]
	v_lshrrev_b32_e32 v41, 3, v34
	v_sub_u32_e32 v39, 29, v45
	v_and_b32_e32 v38, 7, v38
	v_cmp_gt_u32_e64 s[2:3], 8, v34
	v_cndmask_b32_e64 v34, v41, v39, s[2:3]
	v_cndmask_b32_e64 v38, v40, v38, s[2:3]
	v_lshlrev_b32_e32 v30, 24, v30
	v_bfrev_b32_e32 v39, 60
	v_lshlrev_b32_e32 v38, 20, v38
	v_and_b32_e32 v30, 0x80000000, v30
	v_lshl_add_u32 v34, v34, 23, v39
	v_or3_b32 v30, v30, v34, v38
	v_lshrrev_b32_e32 v38, 16, v30
.LBB736_180:
	s_or_b64 exec, exec, s[22:23]
.LBB736_181:
	s_or_b64 exec, exec, s[20:21]
.LBB736_182:
	s_or_b64 exec, exec, s[10:11]
	v_mov_b32_e32 v30, v33
	v_cmp_ne_u16_sdwa s[2:3], v33, v31 src0_sel:BYTE_0 src1_sel:DWORD
	s_and_saveexec_b64 s[10:11], s[2:3]
	s_cbranch_execz .LBB736_188
; %bb.183:
	s_movk_i32 s2, 0x80
	v_cmp_ne_u16_sdwa s[2:3], v33, s2 src0_sel:BYTE_0 src1_sel:DWORD
	v_mov_b32_e32 v34, 0xffff8000
	s_and_saveexec_b64 s[20:21], s[2:3]
	s_cbranch_execz .LBB736_187
; %bb.184:
	s_movk_i32 s2, 0x7f
	v_and_b32_e32 v39, 0x7f, v33
	v_cmp_ne_u32_e64 s[2:3], s2, v39
	v_mov_b32_e32 v34, 0x7f80
	s_and_saveexec_b64 s[22:23], s[2:3]
	s_cbranch_execz .LBB736_186
; %bb.185:
	v_and_b32_e32 v34, 7, v33
	v_ffbh_u32_e32 v34, v34
	v_min_u32_e32 v34, 32, v34
	v_subrev_u32_e32 v41, 28, v34
	v_cmp_gt_u32_e64 s[2:3], 8, v39
	v_lshrrev_b32_e32 v40, 3, v39
	v_sub_u32_e32 v34, 29, v34
	v_cndmask_b32_e64 v39, 0, v41, s[2:3]
	v_cndmask_b32_e64 v34, v40, v34, s[2:3]
	v_lshlrev_b64 v[40:41], v39, v[30:31]
	v_lshlrev_b32_e32 v31, 20, v40
	v_lshlrev_b32_e32 v39, 24, v30
	v_bfrev_b32_e32 v40, 60
	v_and_b32_e32 v31, 0x700000, v31
	v_and_b32_e32 v39, 0x80000000, v39
	v_lshl_add_u32 v34, v34, 23, v40
	v_or3_b32 v31, v39, v34, v31
	v_lshrrev_b32_e32 v34, 16, v31
.LBB736_186:
	s_or_b64 exec, exec, s[22:23]
.LBB736_187:
	s_or_b64 exec, exec, s[20:21]
	v_mov_b32_e32 v31, v34
.LBB736_188:
	s_or_b64 exec, exec, s[10:11]
	v_lshrrev_b16_e32 v34, 8, v30
	v_cmp_ne_u16_e64 s[2:3], 0, v34
	v_mov_b32_e32 v40, 0
	v_mov_b32_e32 v39, 0
	s_and_saveexec_b64 s[10:11], s[2:3]
	s_cbranch_execz .LBB736_194
; %bb.189:
	s_movk_i32 s2, 0x80
	v_cmp_ne_u16_e64 s[2:3], s2, v34
	v_mov_b32_e32 v39, 0xffff8000
	s_and_saveexec_b64 s[20:21], s[2:3]
	s_cbranch_execz .LBB736_193
; %bb.190:
	s_movk_i32 s2, 0x7f
	v_and_b32_e32 v41, 0x7f, v34
	v_cmp_ne_u32_e64 s[2:3], s2, v41
	v_mov_b32_e32 v39, 0x7f80
	s_and_saveexec_b64 s[22:23], s[2:3]
	s_cbranch_execz .LBB736_192
; %bb.191:
	v_and_b32_e32 v39, 7, v34
	v_ffbh_u32_e32 v46, v39
	v_min_u32_e32 v48, 32, v46
	v_subrev_u32_e32 v46, 28, v48
	v_lshlrev_b64 v[46:47], v46, v[34:35]
	v_lshrrev_b32_e32 v45, 3, v41
	v_sub_u32_e32 v34, 29, v48
	v_and_b32_e32 v46, 7, v46
	v_cmp_gt_u32_e64 s[2:3], 8, v41
	v_cndmask_b32_e64 v34, v45, v34, s[2:3]
	v_cndmask_b32_e64 v39, v39, v46, s[2:3]
	v_lshlrev_b32_e32 v30, 16, v30
	v_bfrev_b32_e32 v41, 60
	v_lshlrev_b32_e32 v39, 20, v39
	v_and_b32_e32 v30, 0x80000000, v30
	v_lshl_add_u32 v34, v34, 23, v41
	v_or3_b32 v30, v30, v34, v39
	v_lshrrev_b32_e32 v39, 16, v30
.LBB736_192:
	s_or_b64 exec, exec, s[22:23]
.LBB736_193:
	s_or_b64 exec, exec, s[20:21]
.LBB736_194:
	s_or_b64 exec, exec, s[10:11]
	s_movk_i32 s2, 0xff
	v_and_b32_sdwa v34, v33, s2 dst_sel:DWORD dst_unused:UNUSED_PAD src0_sel:WORD_1 src1_sel:DWORD
	v_lshrrev_b32_e32 v30, 16, v33
	v_cmp_ne_u16_e64 s[2:3], 0, v34
	s_and_saveexec_b64 s[10:11], s[2:3]
	s_cbranch_execz .LBB736_200
; %bb.195:
	s_movk_i32 s2, 0x80
	v_cmp_ne_u16_e64 s[2:3], s2, v34
	v_mov_b32_e32 v40, 0xffff8000
	s_and_saveexec_b64 s[20:21], s[2:3]
	s_cbranch_execz .LBB736_199
; %bb.196:
	v_bfe_u32 v34, v33, 16, 7
	s_movk_i32 s2, 0x7f
	v_cmp_ne_u32_e64 s[2:3], s2, v34
	v_mov_b32_e32 v40, 0x7f80
	s_and_saveexec_b64 s[22:23], s[2:3]
	s_cbranch_execz .LBB736_198
; %bb.197:
	v_and_b32_e32 v45, 7, v30
	v_ffbh_u32_e32 v40, v45
	v_min_u32_e32 v47, 32, v40
	v_subrev_u32_e32 v40, 28, v47
	v_lshlrev_b64 v[40:41], v40, v[30:31]
	v_and_b32_e32 v40, 7, v40
	v_cmp_gt_u32_e64 s[2:3], 8, v34
	v_lshrrev_b32_e32 v46, 3, v34
	v_sub_u32_e32 v30, 29, v47
	v_cndmask_b32_e64 v34, v45, v40, s[2:3]
	v_mov_b32_e32 v40, 24
	v_cndmask_b32_e64 v30, v46, v30, s[2:3]
	v_lshlrev_b32_sdwa v40, v40, v33 dst_sel:DWORD dst_unused:UNUSED_PAD src0_sel:DWORD src1_sel:WORD_1
	v_bfrev_b32_e32 v41, 60
	v_lshlrev_b32_e32 v34, 20, v34
	v_and_b32_e32 v40, 0x80000000, v40
	v_lshl_add_u32 v30, v30, 23, v41
	v_or3_b32 v30, v40, v30, v34
	v_lshrrev_b32_e32 v40, 16, v30
.LBB736_198:
	s_or_b64 exec, exec, s[22:23]
.LBB736_199:
	s_or_b64 exec, exec, s[20:21]
.LBB736_200:
	s_or_b64 exec, exec, s[10:11]
	s_mov_b32 s2, -1
	s_mov_b32 s3, 0xffffff
	v_cmp_lt_u64_e64 s[2:3], s[2:3], v[32:33]
	v_mov_b32_e32 v34, 0
	v_mov_b32_e32 v32, 0
	s_and_saveexec_b64 s[10:11], s[2:3]
	s_cbranch_execz .LBB736_206
; %bb.201:
	v_lshrrev_b32_e32 v30, 24, v33
	s_movk_i32 s2, 0x80
	v_cmp_ne_u32_e64 s[2:3], s2, v30
	v_mov_b32_e32 v32, 0xffff8000
	s_and_saveexec_b64 s[20:21], s[2:3]
	s_cbranch_execz .LBB736_205
; %bb.202:
	v_bfe_u32 v33, v33, 24, 7
	s_movk_i32 s2, 0x7f
	v_cmp_ne_u32_e64 s[2:3], s2, v33
	v_mov_b32_e32 v32, 0x7f80
	s_and_saveexec_b64 s[22:23], s[2:3]
	s_cbranch_execz .LBB736_204
; %bb.203:
	v_and_b32_e32 v32, 7, v30
	v_ffbh_u32_e32 v45, v32
	v_min_u32_e32 v45, 32, v45
	v_subrev_u32_e32 v46, 28, v45
	v_lshlrev_b64 v[46:47], v46, v[30:31]
	v_lshrrev_b32_e32 v41, 3, v33
	v_sub_u32_e32 v45, 29, v45
	v_and_b32_e32 v46, 7, v46
	v_cmp_gt_u32_e64 s[2:3], 8, v33
	v_cndmask_b32_e64 v33, v41, v45, s[2:3]
	v_cndmask_b32_e64 v32, v32, v46, s[2:3]
	v_lshlrev_b32_e32 v30, 24, v30
	v_bfrev_b32_e32 v41, 60
	v_lshlrev_b32_e32 v32, 20, v32
	v_and_b32_e32 v30, 0x80000000, v30
	v_lshl_add_u32 v33, v33, 23, v41
	v_or3_b32 v30, v30, v33, v32
	v_lshrrev_b32_e32 v32, 16, v30
.LBB736_204:
	s_or_b64 exec, exec, s[22:23]
.LBB736_205:
	s_or_b64 exec, exec, s[20:21]
.LBB736_206:
	s_or_b64 exec, exec, s[10:11]
	s_mov_b32 s2, 0x5040100
	v_perm_b32 v37, v38, v37, s2
	v_perm_b32 v36, v35, v36, s2
	;; [unrolled: 1-line block ×4, first 2 shown]
	v_mfma_f32_4x4x4bf16_1k a[0:3], v[18:19], v[36:37], a[0:3] cbsz:4 abid:3
	s_waitcnt vmcnt(5)
	v_cmp_ne_u16_sdwa s[2:3], v26, v34 src0_sel:BYTE_0 src1_sel:DWORD
	v_mfma_f32_4x4x4bf16_1k a[0:3], v[20:21], v[32:33], a[0:3] cbsz:4 abid:3
	s_and_saveexec_b64 s[10:11], s[2:3]
	s_cbranch_execz .LBB736_212
; %bb.207:
	s_movk_i32 s2, 0x80
	v_cmp_ne_u16_sdwa s[2:3], v26, s2 src0_sel:BYTE_0 src1_sel:DWORD
	v_mov_b32_e32 v34, 0xffff8000
	s_and_saveexec_b64 s[20:21], s[2:3]
	s_cbranch_execz .LBB736_211
; %bb.208:
	s_movk_i32 s2, 0x7f
	v_and_b32_e32 v30, 0x7f, v26
	v_cmp_ne_u32_e64 s[2:3], s2, v30
	v_mov_b32_e32 v34, 0x7f80
	s_and_saveexec_b64 s[22:23], s[2:3]
	s_cbranch_execz .LBB736_210
; %bb.209:
	v_and_b32_e32 v31, 7, v26
	v_ffbh_u32_e32 v31, v31
	v_min_u32_e32 v31, 32, v31
	v_subrev_u32_e32 v33, 28, v31
	v_cmp_gt_u32_e64 s[2:3], 8, v30
	v_lshrrev_b32_e32 v32, 3, v30
	v_sub_u32_e32 v31, 29, v31
	v_cndmask_b32_e64 v30, 0, v33, s[2:3]
	v_cndmask_b32_e64 v32, v32, v31, s[2:3]
	v_lshlrev_b64 v[30:31], v30, v[26:27]
	v_lshlrev_b32_e32 v30, 20, v30
	v_lshlrev_b32_e32 v31, 24, v26
	v_bfrev_b32_e32 v33, 60
	v_and_b32_e32 v30, 0x700000, v30
	v_and_b32_e32 v31, 0x80000000, v31
	v_lshl_add_u32 v32, v32, 23, v33
	v_or3_b32 v30, v31, v32, v30
	v_lshrrev_b32_e32 v34, 16, v30
.LBB736_210:
	s_or_b64 exec, exec, s[22:23]
.LBB736_211:
	s_or_b64 exec, exec, s[20:21]
.LBB736_212:
	s_or_b64 exec, exec, s[10:11]
	v_lshrrev_b16_e32 v30, 8, v26
	v_cmp_ne_u16_e64 s[2:3], 0, v30
	v_mov_b32_e32 v35, 0
	v_mov_b32_e32 v33, 0
	s_and_saveexec_b64 s[10:11], s[2:3]
	s_cbranch_execz .LBB736_218
; %bb.213:
	s_movk_i32 s2, 0x80
	v_cmp_ne_u16_e64 s[2:3], s2, v30
	v_mov_b32_e32 v33, 0xffff8000
	s_and_saveexec_b64 s[20:21], s[2:3]
	s_cbranch_execz .LBB736_217
; %bb.214:
	s_movk_i32 s2, 0x7f
	v_and_b32_e32 v31, 0x7f, v30
	v_cmp_ne_u32_e64 s[2:3], s2, v31
	v_mov_b32_e32 v33, 0x7f80
	s_and_saveexec_b64 s[22:23], s[2:3]
	s_cbranch_execz .LBB736_216
; %bb.215:
	v_and_b32_e32 v36, 7, v30
	v_ffbh_u32_e32 v32, v36
	v_min_u32_e32 v38, 32, v32
	v_subrev_u32_e32 v32, 28, v38
	v_lshlrev_b64 v[32:33], v32, v[30:31]
	v_lshrrev_b32_e32 v37, 3, v31
	v_sub_u32_e32 v30, 29, v38
	v_and_b32_e32 v32, 7, v32
	v_cmp_gt_u32_e64 s[2:3], 8, v31
	v_cndmask_b32_e64 v30, v37, v30, s[2:3]
	v_cndmask_b32_e64 v31, v36, v32, s[2:3]
	v_lshlrev_b32_e32 v32, 16, v26
	v_bfrev_b32_e32 v33, 60
	v_lshlrev_b32_e32 v31, 20, v31
	v_and_b32_e32 v32, 0x80000000, v32
	v_lshl_add_u32 v30, v30, 23, v33
	v_or3_b32 v30, v32, v30, v31
	v_lshrrev_b32_e32 v33, 16, v30
.LBB736_216:
	s_or_b64 exec, exec, s[22:23]
.LBB736_217:
	s_or_b64 exec, exec, s[20:21]
.LBB736_218:
	s_or_b64 exec, exec, s[10:11]
	s_movk_i32 s2, 0xff
	v_and_b32_sdwa v31, v26, s2 dst_sel:DWORD dst_unused:UNUSED_PAD src0_sel:WORD_1 src1_sel:DWORD
	v_lshrrev_b32_e32 v30, 16, v26
	v_cmp_ne_u16_e64 s[2:3], 0, v31
	s_and_saveexec_b64 s[10:11], s[2:3]
	s_cbranch_execz .LBB736_224
; %bb.219:
	s_movk_i32 s2, 0x80
	v_cmp_ne_u16_e64 s[2:3], s2, v31
	v_mov_b32_e32 v35, 0xffff8000
	s_and_saveexec_b64 s[20:21], s[2:3]
	s_cbranch_execz .LBB736_223
; %bb.220:
	v_bfe_u32 v31, v26, 16, 7
	s_movk_i32 s2, 0x7f
	v_cmp_ne_u32_e64 s[2:3], s2, v31
	v_mov_b32_e32 v35, 0x7f80
	s_and_saveexec_b64 s[22:23], s[2:3]
	s_cbranch_execz .LBB736_222
; %bb.221:
	v_and_b32_e32 v32, 7, v30
	v_ffbh_u32_e32 v36, v32
	v_min_u32_e32 v38, 32, v36
	v_subrev_u32_e32 v36, 28, v38
	v_lshlrev_b64 v[36:37], v36, v[30:31]
	v_and_b32_e32 v36, 7, v36
	v_cmp_gt_u32_e64 s[2:3], 8, v31
	v_lshrrev_b32_e32 v35, 3, v31
	v_sub_u32_e32 v30, 29, v38
	v_cndmask_b32_e64 v31, v32, v36, s[2:3]
	v_mov_b32_e32 v32, 24
	v_cndmask_b32_e64 v30, v35, v30, s[2:3]
	v_lshlrev_b32_sdwa v32, v32, v26 dst_sel:DWORD dst_unused:UNUSED_PAD src0_sel:DWORD src1_sel:WORD_1
	v_bfrev_b32_e32 v35, 60
	v_lshlrev_b32_e32 v31, 20, v31
	v_and_b32_e32 v32, 0x80000000, v32
	v_lshl_add_u32 v30, v30, 23, v35
	v_or3_b32 v30, v32, v30, v31
	v_lshrrev_b32_e32 v35, 16, v30
.LBB736_222:
	s_or_b64 exec, exec, s[22:23]
.LBB736_223:
	s_or_b64 exec, exec, s[20:21]
.LBB736_224:
	s_or_b64 exec, exec, s[10:11]
	s_mov_b32 s2, 0xffffff
	v_cmp_lt_u32_e64 s[2:3], s2, v26
	v_mov_b32_e32 v31, 0
	v_mov_b32_e32 v36, 0
	s_and_saveexec_b64 s[10:11], s[2:3]
	s_cbranch_execz .LBB736_230
; %bb.225:
	v_lshrrev_b32_e32 v30, 24, v26
	s_movk_i32 s2, 0x80
	v_cmp_ne_u32_e64 s[2:3], s2, v30
	v_mov_b32_e32 v36, 0xffff8000
	s_and_saveexec_b64 s[20:21], s[2:3]
	s_cbranch_execz .LBB736_229
; %bb.226:
	v_bfe_u32 v32, v26, 24, 7
	s_movk_i32 s2, 0x7f
	v_cmp_ne_u32_e64 s[2:3], s2, v32
	v_mov_b32_e32 v36, 0x7f80
	s_and_saveexec_b64 s[22:23], s[2:3]
	s_cbranch_execz .LBB736_228
; %bb.227:
	v_and_b32_e32 v38, 7, v30
	v_ffbh_u32_e32 v36, v38
	v_min_u32_e32 v40, 32, v36
	v_subrev_u32_e32 v36, 28, v40
	v_lshlrev_b64 v[36:37], v36, v[30:31]
	v_lshrrev_b32_e32 v39, 3, v32
	v_sub_u32_e32 v37, 29, v40
	v_and_b32_e32 v36, 7, v36
	v_cmp_gt_u32_e64 s[2:3], 8, v32
	v_cndmask_b32_e64 v32, v39, v37, s[2:3]
	v_cndmask_b32_e64 v36, v38, v36, s[2:3]
	v_lshlrev_b32_e32 v30, 24, v30
	v_bfrev_b32_e32 v37, 60
	v_lshlrev_b32_e32 v36, 20, v36
	v_and_b32_e32 v30, 0x80000000, v30
	v_lshl_add_u32 v32, v32, 23, v37
	v_or3_b32 v30, v30, v32, v36
	v_lshrrev_b32_e32 v36, 16, v30
.LBB736_228:
	s_or_b64 exec, exec, s[22:23]
.LBB736_229:
	s_or_b64 exec, exec, s[20:21]
.LBB736_230:
	s_or_b64 exec, exec, s[10:11]
	v_mov_b32_e32 v30, v27
	v_cmp_ne_u16_sdwa s[2:3], v27, v31 src0_sel:BYTE_0 src1_sel:DWORD
	s_and_saveexec_b64 s[10:11], s[2:3]
	s_cbranch_execz .LBB736_236
; %bb.231:
	s_movk_i32 s2, 0x80
	v_cmp_ne_u16_sdwa s[2:3], v27, s2 src0_sel:BYTE_0 src1_sel:DWORD
	v_mov_b32_e32 v32, 0xffff8000
	s_and_saveexec_b64 s[20:21], s[2:3]
	s_cbranch_execz .LBB736_235
; %bb.232:
	s_movk_i32 s2, 0x7f
	v_and_b32_e32 v37, 0x7f, v27
	v_cmp_ne_u32_e64 s[2:3], s2, v37
	v_mov_b32_e32 v32, 0x7f80
	s_and_saveexec_b64 s[22:23], s[2:3]
	s_cbranch_execz .LBB736_234
; %bb.233:
	v_and_b32_e32 v32, 7, v27
	v_ffbh_u32_e32 v32, v32
	v_min_u32_e32 v32, 32, v32
	v_subrev_u32_e32 v39, 28, v32
	v_cmp_gt_u32_e64 s[2:3], 8, v37
	v_lshrrev_b32_e32 v38, 3, v37
	v_sub_u32_e32 v32, 29, v32
	v_cndmask_b32_e64 v37, 0, v39, s[2:3]
	v_cndmask_b32_e64 v32, v38, v32, s[2:3]
	v_lshlrev_b64 v[38:39], v37, v[30:31]
	v_lshlrev_b32_e32 v31, 20, v38
	v_lshlrev_b32_e32 v37, 24, v30
	v_bfrev_b32_e32 v38, 60
	v_and_b32_e32 v31, 0x700000, v31
	v_and_b32_e32 v37, 0x80000000, v37
	v_lshl_add_u32 v32, v32, 23, v38
	v_or3_b32 v31, v37, v32, v31
	v_lshrrev_b32_e32 v32, 16, v31
.LBB736_234:
	s_or_b64 exec, exec, s[22:23]
.LBB736_235:
	s_or_b64 exec, exec, s[20:21]
	v_mov_b32_e32 v31, v32
.LBB736_236:
	s_or_b64 exec, exec, s[10:11]
	v_lshrrev_b16_e32 v32, 8, v30
	v_cmp_ne_u16_e64 s[2:3], 0, v32
	v_mov_b32_e32 v38, 0
	v_mov_b32_e32 v37, 0
	s_and_saveexec_b64 s[10:11], s[2:3]
	s_cbranch_execz .LBB736_242
; %bb.237:
	s_movk_i32 s2, 0x80
	v_cmp_ne_u16_e64 s[2:3], s2, v32
	v_mov_b32_e32 v37, 0xffff8000
	s_and_saveexec_b64 s[20:21], s[2:3]
	s_cbranch_execz .LBB736_241
; %bb.238:
	s_movk_i32 s2, 0x7f
	v_and_b32_e32 v39, 0x7f, v32
	v_cmp_ne_u32_e64 s[2:3], s2, v39
	v_mov_b32_e32 v37, 0x7f80
	s_and_saveexec_b64 s[22:23], s[2:3]
	s_cbranch_execz .LBB736_240
; %bb.239:
	v_and_b32_e32 v37, 7, v32
	v_ffbh_u32_e32 v40, v37
	v_min_u32_e32 v46, 32, v40
	v_subrev_u32_e32 v40, 28, v46
	v_lshlrev_b64 v[40:41], v40, v[32:33]
	v_lshrrev_b32_e32 v45, 3, v39
	v_sub_u32_e32 v32, 29, v46
	v_and_b32_e32 v40, 7, v40
	v_cmp_gt_u32_e64 s[2:3], 8, v39
	v_cndmask_b32_e64 v32, v45, v32, s[2:3]
	v_cndmask_b32_e64 v37, v37, v40, s[2:3]
	v_lshlrev_b32_e32 v30, 16, v30
	v_bfrev_b32_e32 v39, 60
	v_lshlrev_b32_e32 v37, 20, v37
	v_and_b32_e32 v30, 0x80000000, v30
	v_lshl_add_u32 v32, v32, 23, v39
	v_or3_b32 v30, v30, v32, v37
	v_lshrrev_b32_e32 v37, 16, v30
.LBB736_240:
	s_or_b64 exec, exec, s[22:23]
.LBB736_241:
	s_or_b64 exec, exec, s[20:21]
.LBB736_242:
	s_or_b64 exec, exec, s[10:11]
	s_movk_i32 s2, 0xff
	v_and_b32_sdwa v32, v27, s2 dst_sel:DWORD dst_unused:UNUSED_PAD src0_sel:WORD_1 src1_sel:DWORD
	v_lshrrev_b32_e32 v30, 16, v27
	v_cmp_ne_u16_e64 s[2:3], 0, v32
	s_and_saveexec_b64 s[10:11], s[2:3]
	s_cbranch_execz .LBB736_248
; %bb.243:
	s_movk_i32 s2, 0x80
	v_cmp_ne_u16_e64 s[2:3], s2, v32
	v_mov_b32_e32 v38, 0xffff8000
	s_and_saveexec_b64 s[20:21], s[2:3]
	s_cbranch_execz .LBB736_247
; %bb.244:
	v_bfe_u32 v32, v27, 16, 7
	s_movk_i32 s2, 0x7f
	v_cmp_ne_u32_e64 s[2:3], s2, v32
	v_mov_b32_e32 v38, 0x7f80
	s_and_saveexec_b64 s[22:23], s[2:3]
	s_cbranch_execz .LBB736_246
; %bb.245:
	v_and_b32_e32 v40, 7, v30
	v_ffbh_u32_e32 v38, v40
	v_min_u32_e32 v45, 32, v38
	v_subrev_u32_e32 v38, 28, v45
	v_lshlrev_b64 v[38:39], v38, v[30:31]
	v_and_b32_e32 v38, 7, v38
	v_cmp_gt_u32_e64 s[2:3], 8, v32
	v_lshrrev_b32_e32 v41, 3, v32
	v_sub_u32_e32 v30, 29, v45
	v_cndmask_b32_e64 v32, v40, v38, s[2:3]
	v_mov_b32_e32 v38, 24
	v_cndmask_b32_e64 v30, v41, v30, s[2:3]
	v_lshlrev_b32_sdwa v38, v38, v27 dst_sel:DWORD dst_unused:UNUSED_PAD src0_sel:DWORD src1_sel:WORD_1
	v_bfrev_b32_e32 v39, 60
	v_lshlrev_b32_e32 v32, 20, v32
	v_and_b32_e32 v38, 0x80000000, v38
	v_lshl_add_u32 v30, v30, 23, v39
	v_or3_b32 v30, v38, v30, v32
	v_lshrrev_b32_e32 v38, 16, v30
.LBB736_246:
	s_or_b64 exec, exec, s[22:23]
.LBB736_247:
	s_or_b64 exec, exec, s[20:21]
.LBB736_248:
	s_or_b64 exec, exec, s[10:11]
	s_mov_b32 s2, -1
	s_mov_b32 s3, 0xffffff
	v_cmp_lt_u64_e64 s[2:3], s[2:3], v[26:27]
	v_mov_b32_e32 v32, 0
	v_mov_b32_e32 v30, 0
	s_and_saveexec_b64 s[10:11], s[2:3]
	s_cbranch_execz .LBB736_254
; %bb.249:
	v_lshrrev_b32_e32 v26, 24, v27
	s_movk_i32 s2, 0x80
	v_cmp_ne_u32_e64 s[2:3], s2, v26
	v_mov_b32_e32 v30, 0xffff8000
	s_and_saveexec_b64 s[20:21], s[2:3]
	s_cbranch_execz .LBB736_253
; %bb.250:
	v_bfe_u32 v27, v27, 24, 7
	s_movk_i32 s2, 0x7f
	v_cmp_ne_u32_e64 s[2:3], s2, v27
	v_mov_b32_e32 v30, 0x7f80
	s_and_saveexec_b64 s[22:23], s[2:3]
	s_cbranch_execz .LBB736_252
; %bb.251:
	v_and_b32_e32 v30, 7, v26
	v_ffbh_u32_e32 v40, v30
	v_min_u32_e32 v45, 32, v40
	v_subrev_u32_e32 v40, 28, v45
	v_lshlrev_b64 v[40:41], v40, v[26:27]
	v_lshrrev_b32_e32 v39, 3, v27
	v_sub_u32_e32 v41, 29, v45
	v_and_b32_e32 v40, 7, v40
	v_cmp_gt_u32_e64 s[2:3], 8, v27
	v_cndmask_b32_e64 v27, v39, v41, s[2:3]
	v_cndmask_b32_e64 v30, v30, v40, s[2:3]
	v_lshlrev_b32_e32 v26, 24, v26
	v_bfrev_b32_e32 v39, 60
	v_lshlrev_b32_e32 v30, 20, v30
	v_and_b32_e32 v26, 0x80000000, v26
	v_lshl_add_u32 v27, v27, 23, v39
	v_or3_b32 v26, v26, v27, v30
	v_lshrrev_b32_e32 v30, 16, v26
.LBB736_252:
	s_or_b64 exec, exec, s[22:23]
.LBB736_253:
	s_or_b64 exec, exec, s[20:21]
.LBB736_254:
	s_or_b64 exec, exec, s[10:11]
	s_mov_b32 s2, 0x5040100
	v_perm_b32 v27, v36, v35, s2
	v_perm_b32 v26, v33, v34, s2
	;; [unrolled: 1-line block ×4, first 2 shown]
	v_mfma_f32_4x4x4bf16_1k a[0:3], v[18:19], v[26:27], a[0:3] cbsz:4 abid:4
	v_cmp_ne_u16_sdwa s[2:3], v28, v32 src0_sel:BYTE_0 src1_sel:DWORD
	v_mfma_f32_4x4x4bf16_1k a[0:3], v[20:21], v[34:35], a[0:3] cbsz:4 abid:4
	s_and_saveexec_b64 s[10:11], s[2:3]
	s_cbranch_execz .LBB736_260
; %bb.255:
	s_movk_i32 s2, 0x80
	v_cmp_ne_u16_sdwa s[2:3], v28, s2 src0_sel:BYTE_0 src1_sel:DWORD
	v_mov_b32_e32 v32, 0xffff8000
	s_and_saveexec_b64 s[20:21], s[2:3]
	s_cbranch_execz .LBB736_259
; %bb.256:
	s_movk_i32 s2, 0x7f
	v_and_b32_e32 v26, 0x7f, v28
	v_cmp_ne_u32_e64 s[2:3], s2, v26
	v_mov_b32_e32 v32, 0x7f80
	s_and_saveexec_b64 s[22:23], s[2:3]
	s_cbranch_execz .LBB736_258
; %bb.257:
	v_and_b32_e32 v27, 7, v28
	v_ffbh_u32_e32 v27, v27
	v_min_u32_e32 v27, 32, v27
	v_subrev_u32_e32 v31, 28, v27
	v_cmp_gt_u32_e64 s[2:3], 8, v26
	v_lshrrev_b32_e32 v30, 3, v26
	v_sub_u32_e32 v27, 29, v27
	v_cndmask_b32_e64 v26, 0, v31, s[2:3]
	v_cndmask_b32_e64 v30, v30, v27, s[2:3]
	v_lshlrev_b64 v[26:27], v26, v[28:29]
	v_lshlrev_b32_e32 v26, 20, v26
	v_lshlrev_b32_e32 v27, 24, v28
	v_bfrev_b32_e32 v31, 60
	v_and_b32_e32 v26, 0x700000, v26
	v_and_b32_e32 v27, 0x80000000, v27
	v_lshl_add_u32 v30, v30, 23, v31
	v_or3_b32 v26, v27, v30, v26
	v_lshrrev_b32_e32 v32, 16, v26
.LBB736_258:
	s_or_b64 exec, exec, s[22:23]
.LBB736_259:
	s_or_b64 exec, exec, s[20:21]
.LBB736_260:
	s_or_b64 exec, exec, s[10:11]
	v_lshrrev_b16_e32 v26, 8, v28
	v_cmp_ne_u16_e64 s[2:3], 0, v26
	v_mov_b32_e32 v33, 0
	v_mov_b32_e32 v31, 0
	s_and_saveexec_b64 s[10:11], s[2:3]
	s_cbranch_execz .LBB736_266
; %bb.261:
	s_movk_i32 s2, 0x80
	v_cmp_ne_u16_e64 s[2:3], s2, v26
	v_mov_b32_e32 v31, 0xffff8000
	s_and_saveexec_b64 s[20:21], s[2:3]
	s_cbranch_execz .LBB736_265
; %bb.262:
	s_movk_i32 s2, 0x7f
	v_and_b32_e32 v27, 0x7f, v26
	v_cmp_ne_u32_e64 s[2:3], s2, v27
	v_mov_b32_e32 v31, 0x7f80
	s_and_saveexec_b64 s[22:23], s[2:3]
	s_cbranch_execz .LBB736_264
; %bb.263:
	v_and_b32_e32 v34, 7, v26
	v_ffbh_u32_e32 v30, v34
	v_min_u32_e32 v36, 32, v30
	v_subrev_u32_e32 v30, 28, v36
	v_lshlrev_b64 v[30:31], v30, v[26:27]
	v_lshrrev_b32_e32 v35, 3, v27
	v_sub_u32_e32 v26, 29, v36
	v_and_b32_e32 v30, 7, v30
	v_cmp_gt_u32_e64 s[2:3], 8, v27
	v_cndmask_b32_e64 v26, v35, v26, s[2:3]
	v_cndmask_b32_e64 v27, v34, v30, s[2:3]
	v_lshlrev_b32_e32 v30, 16, v28
	v_bfrev_b32_e32 v31, 60
	v_lshlrev_b32_e32 v27, 20, v27
	v_and_b32_e32 v30, 0x80000000, v30
	v_lshl_add_u32 v26, v26, 23, v31
	v_or3_b32 v26, v30, v26, v27
	v_lshrrev_b32_e32 v31, 16, v26
.LBB736_264:
	s_or_b64 exec, exec, s[22:23]
.LBB736_265:
	s_or_b64 exec, exec, s[20:21]
.LBB736_266:
	s_or_b64 exec, exec, s[10:11]
	s_movk_i32 s2, 0xff
	v_and_b32_sdwa v27, v28, s2 dst_sel:DWORD dst_unused:UNUSED_PAD src0_sel:WORD_1 src1_sel:DWORD
	v_lshrrev_b32_e32 v26, 16, v28
	v_cmp_ne_u16_e64 s[2:3], 0, v27
	s_and_saveexec_b64 s[10:11], s[2:3]
	s_cbranch_execz .LBB736_272
; %bb.267:
	s_movk_i32 s2, 0x80
	v_cmp_ne_u16_e64 s[2:3], s2, v27
	v_mov_b32_e32 v33, 0xffff8000
	s_and_saveexec_b64 s[20:21], s[2:3]
	s_cbranch_execz .LBB736_271
; %bb.268:
	v_bfe_u32 v27, v28, 16, 7
	s_movk_i32 s2, 0x7f
	v_cmp_ne_u32_e64 s[2:3], s2, v27
	v_mov_b32_e32 v33, 0x7f80
	s_and_saveexec_b64 s[22:23], s[2:3]
	s_cbranch_execz .LBB736_270
; %bb.269:
	v_and_b32_e32 v30, 7, v26
	v_ffbh_u32_e32 v34, v30
	v_min_u32_e32 v36, 32, v34
	v_subrev_u32_e32 v34, 28, v36
	v_lshlrev_b64 v[34:35], v34, v[26:27]
	v_and_b32_e32 v34, 7, v34
	v_cmp_gt_u32_e64 s[2:3], 8, v27
	v_lshrrev_b32_e32 v33, 3, v27
	v_sub_u32_e32 v26, 29, v36
	v_cndmask_b32_e64 v27, v30, v34, s[2:3]
	v_mov_b32_e32 v30, 24
	v_cndmask_b32_e64 v26, v33, v26, s[2:3]
	v_lshlrev_b32_sdwa v30, v30, v28 dst_sel:DWORD dst_unused:UNUSED_PAD src0_sel:DWORD src1_sel:WORD_1
	v_bfrev_b32_e32 v33, 60
	v_lshlrev_b32_e32 v27, 20, v27
	v_and_b32_e32 v30, 0x80000000, v30
	v_lshl_add_u32 v26, v26, 23, v33
	v_or3_b32 v26, v30, v26, v27
	v_lshrrev_b32_e32 v33, 16, v26
.LBB736_270:
	s_or_b64 exec, exec, s[22:23]
.LBB736_271:
	s_or_b64 exec, exec, s[20:21]
.LBB736_272:
	s_or_b64 exec, exec, s[10:11]
	s_mov_b32 s2, 0xffffff
	v_cmp_lt_u32_e64 s[2:3], s2, v28
	v_mov_b32_e32 v27, 0
	v_mov_b32_e32 v34, 0
	s_and_saveexec_b64 s[10:11], s[2:3]
	s_cbranch_execz .LBB736_278
; %bb.273:
	v_lshrrev_b32_e32 v26, 24, v28
	s_movk_i32 s2, 0x80
	v_cmp_ne_u32_e64 s[2:3], s2, v26
	v_mov_b32_e32 v34, 0xffff8000
	s_and_saveexec_b64 s[20:21], s[2:3]
	s_cbranch_execz .LBB736_277
; %bb.274:
	v_bfe_u32 v30, v28, 24, 7
	s_movk_i32 s2, 0x7f
	v_cmp_ne_u32_e64 s[2:3], s2, v30
	v_mov_b32_e32 v34, 0x7f80
	s_and_saveexec_b64 s[22:23], s[2:3]
	s_cbranch_execz .LBB736_276
; %bb.275:
	v_and_b32_e32 v36, 7, v26
	v_ffbh_u32_e32 v34, v36
	v_min_u32_e32 v38, 32, v34
	v_subrev_u32_e32 v34, 28, v38
	v_lshlrev_b64 v[34:35], v34, v[26:27]
	v_lshrrev_b32_e32 v37, 3, v30
	v_sub_u32_e32 v35, 29, v38
	v_and_b32_e32 v34, 7, v34
	v_cmp_gt_u32_e64 s[2:3], 8, v30
	v_cndmask_b32_e64 v30, v37, v35, s[2:3]
	v_cndmask_b32_e64 v34, v36, v34, s[2:3]
	v_lshlrev_b32_e32 v26, 24, v26
	v_bfrev_b32_e32 v35, 60
	v_lshlrev_b32_e32 v34, 20, v34
	v_and_b32_e32 v26, 0x80000000, v26
	v_lshl_add_u32 v30, v30, 23, v35
	v_or3_b32 v26, v26, v30, v34
	v_lshrrev_b32_e32 v34, 16, v26
.LBB736_276:
	s_or_b64 exec, exec, s[22:23]
.LBB736_277:
	s_or_b64 exec, exec, s[20:21]
.LBB736_278:
	s_or_b64 exec, exec, s[10:11]
	v_mov_b32_e32 v26, v29
	v_cmp_ne_u16_sdwa s[2:3], v29, v27 src0_sel:BYTE_0 src1_sel:DWORD
	s_and_saveexec_b64 s[10:11], s[2:3]
	s_cbranch_execz .LBB736_284
; %bb.279:
	s_movk_i32 s2, 0x80
	v_cmp_ne_u16_sdwa s[2:3], v29, s2 src0_sel:BYTE_0 src1_sel:DWORD
	v_mov_b32_e32 v30, 0xffff8000
	s_and_saveexec_b64 s[20:21], s[2:3]
	s_cbranch_execz .LBB736_283
; %bb.280:
	s_movk_i32 s2, 0x7f
	v_and_b32_e32 v35, 0x7f, v29
	v_cmp_ne_u32_e64 s[2:3], s2, v35
	v_mov_b32_e32 v30, 0x7f80
	s_and_saveexec_b64 s[22:23], s[2:3]
	s_cbranch_execz .LBB736_282
; %bb.281:
	v_and_b32_e32 v30, 7, v29
	v_ffbh_u32_e32 v30, v30
	v_min_u32_e32 v30, 32, v30
	v_subrev_u32_e32 v37, 28, v30
	v_cmp_gt_u32_e64 s[2:3], 8, v35
	v_lshrrev_b32_e32 v36, 3, v35
	v_sub_u32_e32 v30, 29, v30
	v_cndmask_b32_e64 v35, 0, v37, s[2:3]
	v_cndmask_b32_e64 v30, v36, v30, s[2:3]
	v_lshlrev_b64 v[36:37], v35, v[26:27]
	v_lshlrev_b32_e32 v27, 20, v36
	v_lshlrev_b32_e32 v35, 24, v26
	v_bfrev_b32_e32 v36, 60
	v_and_b32_e32 v27, 0x700000, v27
	v_and_b32_e32 v35, 0x80000000, v35
	v_lshl_add_u32 v30, v30, 23, v36
	v_or3_b32 v27, v35, v30, v27
	v_lshrrev_b32_e32 v30, 16, v27
.LBB736_282:
	s_or_b64 exec, exec, s[22:23]
.LBB736_283:
	s_or_b64 exec, exec, s[20:21]
	v_mov_b32_e32 v27, v30
.LBB736_284:
	s_or_b64 exec, exec, s[10:11]
	v_lshrrev_b16_e32 v30, 8, v26
	v_cmp_ne_u16_e64 s[2:3], 0, v30
	v_mov_b32_e32 v36, 0
	v_mov_b32_e32 v35, 0
	s_and_saveexec_b64 s[10:11], s[2:3]
	s_cbranch_execz .LBB736_290
; %bb.285:
	s_movk_i32 s2, 0x80
	v_cmp_ne_u16_e64 s[2:3], s2, v30
	v_mov_b32_e32 v35, 0xffff8000
	s_and_saveexec_b64 s[20:21], s[2:3]
	s_cbranch_execz .LBB736_289
; %bb.286:
	s_movk_i32 s2, 0x7f
	v_and_b32_e32 v37, 0x7f, v30
	v_cmp_ne_u32_e64 s[2:3], s2, v37
	v_mov_b32_e32 v35, 0x7f80
	s_and_saveexec_b64 s[22:23], s[2:3]
	s_cbranch_execz .LBB736_288
; %bb.287:
	v_and_b32_e32 v35, 7, v30
	v_ffbh_u32_e32 v38, v35
	v_min_u32_e32 v41, 32, v38
	v_subrev_u32_e32 v38, 28, v41
	v_lshlrev_b64 v[38:39], v38, v[30:31]
	v_lshrrev_b32_e32 v40, 3, v37
	v_sub_u32_e32 v30, 29, v41
	v_and_b32_e32 v38, 7, v38
	v_cmp_gt_u32_e64 s[2:3], 8, v37
	v_cndmask_b32_e64 v30, v40, v30, s[2:3]
	v_cndmask_b32_e64 v35, v35, v38, s[2:3]
	v_lshlrev_b32_e32 v26, 16, v26
	v_bfrev_b32_e32 v37, 60
	v_lshlrev_b32_e32 v35, 20, v35
	v_and_b32_e32 v26, 0x80000000, v26
	v_lshl_add_u32 v30, v30, 23, v37
	v_or3_b32 v26, v26, v30, v35
	v_lshrrev_b32_e32 v35, 16, v26
.LBB736_288:
	s_or_b64 exec, exec, s[22:23]
.LBB736_289:
	s_or_b64 exec, exec, s[20:21]
.LBB736_290:
	s_or_b64 exec, exec, s[10:11]
	s_movk_i32 s2, 0xff
	v_and_b32_sdwa v30, v29, s2 dst_sel:DWORD dst_unused:UNUSED_PAD src0_sel:WORD_1 src1_sel:DWORD
	v_lshrrev_b32_e32 v26, 16, v29
	v_cmp_ne_u16_e64 s[2:3], 0, v30
	s_and_saveexec_b64 s[10:11], s[2:3]
	s_cbranch_execz .LBB736_296
; %bb.291:
	s_movk_i32 s2, 0x80
	v_cmp_ne_u16_e64 s[2:3], s2, v30
	v_mov_b32_e32 v36, 0xffff8000
	s_and_saveexec_b64 s[20:21], s[2:3]
	s_cbranch_execz .LBB736_295
; %bb.292:
	v_bfe_u32 v30, v29, 16, 7
	s_movk_i32 s2, 0x7f
	v_cmp_ne_u32_e64 s[2:3], s2, v30
	v_mov_b32_e32 v36, 0x7f80
	s_and_saveexec_b64 s[22:23], s[2:3]
	s_cbranch_execz .LBB736_294
; %bb.293:
	v_and_b32_e32 v38, 7, v26
	v_ffbh_u32_e32 v36, v38
	v_min_u32_e32 v40, 32, v36
	v_subrev_u32_e32 v36, 28, v40
	v_lshlrev_b64 v[36:37], v36, v[26:27]
	v_and_b32_e32 v36, 7, v36
	v_cmp_gt_u32_e64 s[2:3], 8, v30
	v_lshrrev_b32_e32 v39, 3, v30
	v_sub_u32_e32 v26, 29, v40
	v_cndmask_b32_e64 v30, v38, v36, s[2:3]
	v_mov_b32_e32 v36, 24
	v_cndmask_b32_e64 v26, v39, v26, s[2:3]
	v_lshlrev_b32_sdwa v36, v36, v29 dst_sel:DWORD dst_unused:UNUSED_PAD src0_sel:DWORD src1_sel:WORD_1
	v_bfrev_b32_e32 v37, 60
	v_lshlrev_b32_e32 v30, 20, v30
	v_and_b32_e32 v36, 0x80000000, v36
	v_lshl_add_u32 v26, v26, 23, v37
	v_or3_b32 v26, v36, v26, v30
	v_lshrrev_b32_e32 v36, 16, v26
.LBB736_294:
	s_or_b64 exec, exec, s[22:23]
.LBB736_295:
	s_or_b64 exec, exec, s[20:21]
.LBB736_296:
	s_or_b64 exec, exec, s[10:11]
	s_mov_b32 s2, -1
	s_mov_b32 s3, 0xffffff
	v_cmp_lt_u64_e64 s[2:3], s[2:3], v[28:29]
	v_mov_b32_e32 v30, 0
	v_mov_b32_e32 v28, 0
	s_and_saveexec_b64 s[10:11], s[2:3]
	s_cbranch_execz .LBB736_302
; %bb.297:
	v_lshrrev_b32_e32 v26, 24, v29
	s_movk_i32 s2, 0x80
	v_cmp_ne_u32_e64 s[2:3], s2, v26
	v_mov_b32_e32 v28, 0xffff8000
	s_and_saveexec_b64 s[20:21], s[2:3]
	s_cbranch_execz .LBB736_301
; %bb.298:
	v_bfe_u32 v29, v29, 24, 7
	s_movk_i32 s2, 0x7f
	v_cmp_ne_u32_e64 s[2:3], s2, v29
	v_mov_b32_e32 v28, 0x7f80
	s_and_saveexec_b64 s[22:23], s[2:3]
	s_cbranch_execz .LBB736_300
; %bb.299:
	v_and_b32_e32 v28, 7, v26
	v_ffbh_u32_e32 v38, v28
	v_min_u32_e32 v40, 32, v38
	v_subrev_u32_e32 v38, 28, v40
	v_lshlrev_b64 v[38:39], v38, v[26:27]
	v_lshrrev_b32_e32 v37, 3, v29
	v_sub_u32_e32 v39, 29, v40
	v_and_b32_e32 v38, 7, v38
	v_cmp_gt_u32_e64 s[2:3], 8, v29
	v_cndmask_b32_e64 v29, v37, v39, s[2:3]
	v_cndmask_b32_e64 v28, v28, v38, s[2:3]
	v_lshlrev_b32_e32 v26, 24, v26
	v_bfrev_b32_e32 v37, 60
	v_lshlrev_b32_e32 v28, 20, v28
	v_and_b32_e32 v26, 0x80000000, v26
	v_lshl_add_u32 v29, v29, 23, v37
	v_or3_b32 v26, v26, v29, v28
	v_lshrrev_b32_e32 v28, 16, v26
.LBB736_300:
	s_or_b64 exec, exec, s[22:23]
.LBB736_301:
	s_or_b64 exec, exec, s[20:21]
.LBB736_302:
	s_or_b64 exec, exec, s[10:11]
	s_mov_b32 s2, 0x5040100
	v_perm_b32 v33, v34, v33, s2
	v_perm_b32 v32, v31, v32, s2
	;; [unrolled: 1-line block ×4, first 2 shown]
	v_mfma_f32_4x4x4bf16_1k a[0:3], v[18:19], v[32:33], a[0:3] cbsz:4 abid:5
	s_waitcnt vmcnt(4)
	v_cmp_ne_u16_sdwa s[2:3], v22, v30 src0_sel:BYTE_0 src1_sel:DWORD
	v_mfma_f32_4x4x4bf16_1k a[0:3], v[20:21], v[28:29], a[0:3] cbsz:4 abid:5
	s_and_saveexec_b64 s[10:11], s[2:3]
	s_cbranch_execz .LBB736_308
; %bb.303:
	s_movk_i32 s2, 0x80
	v_cmp_ne_u16_sdwa s[2:3], v22, s2 src0_sel:BYTE_0 src1_sel:DWORD
	v_mov_b32_e32 v30, 0xffff8000
	s_and_saveexec_b64 s[20:21], s[2:3]
	s_cbranch_execz .LBB736_307
; %bb.304:
	s_movk_i32 s2, 0x7f
	v_and_b32_e32 v26, 0x7f, v22
	v_cmp_ne_u32_e64 s[2:3], s2, v26
	v_mov_b32_e32 v30, 0x7f80
	s_and_saveexec_b64 s[22:23], s[2:3]
	s_cbranch_execz .LBB736_306
; %bb.305:
	v_and_b32_e32 v27, 7, v22
	v_ffbh_u32_e32 v27, v27
	v_min_u32_e32 v27, 32, v27
	v_subrev_u32_e32 v29, 28, v27
	v_cmp_gt_u32_e64 s[2:3], 8, v26
	v_lshrrev_b32_e32 v28, 3, v26
	v_sub_u32_e32 v27, 29, v27
	v_cndmask_b32_e64 v26, 0, v29, s[2:3]
	v_cndmask_b32_e64 v28, v28, v27, s[2:3]
	v_lshlrev_b64 v[26:27], v26, v[22:23]
	v_lshlrev_b32_e32 v26, 20, v26
	v_lshlrev_b32_e32 v27, 24, v22
	v_bfrev_b32_e32 v29, 60
	v_and_b32_e32 v26, 0x700000, v26
	v_and_b32_e32 v27, 0x80000000, v27
	v_lshl_add_u32 v28, v28, 23, v29
	v_or3_b32 v26, v27, v28, v26
	v_lshrrev_b32_e32 v30, 16, v26
.LBB736_306:
	s_or_b64 exec, exec, s[22:23]
.LBB736_307:
	s_or_b64 exec, exec, s[20:21]
.LBB736_308:
	s_or_b64 exec, exec, s[10:11]
	v_lshrrev_b16_e32 v26, 8, v22
	v_cmp_ne_u16_e64 s[2:3], 0, v26
	v_mov_b32_e32 v31, 0
	v_mov_b32_e32 v29, 0
	s_and_saveexec_b64 s[10:11], s[2:3]
	s_cbranch_execz .LBB736_314
; %bb.309:
	s_movk_i32 s2, 0x80
	v_cmp_ne_u16_e64 s[2:3], s2, v26
	v_mov_b32_e32 v29, 0xffff8000
	s_and_saveexec_b64 s[20:21], s[2:3]
	s_cbranch_execz .LBB736_313
; %bb.310:
	s_movk_i32 s2, 0x7f
	v_and_b32_e32 v27, 0x7f, v26
	v_cmp_ne_u32_e64 s[2:3], s2, v27
	v_mov_b32_e32 v29, 0x7f80
	s_and_saveexec_b64 s[22:23], s[2:3]
	s_cbranch_execz .LBB736_312
; %bb.311:
	v_and_b32_e32 v32, 7, v26
	v_ffbh_u32_e32 v28, v32
	v_min_u32_e32 v34, 32, v28
	v_subrev_u32_e32 v28, 28, v34
	v_lshlrev_b64 v[28:29], v28, v[26:27]
	v_lshrrev_b32_e32 v33, 3, v27
	v_sub_u32_e32 v26, 29, v34
	v_and_b32_e32 v28, 7, v28
	v_cmp_gt_u32_e64 s[2:3], 8, v27
	v_cndmask_b32_e64 v26, v33, v26, s[2:3]
	v_cndmask_b32_e64 v27, v32, v28, s[2:3]
	v_lshlrev_b32_e32 v28, 16, v22
	v_bfrev_b32_e32 v29, 60
	v_lshlrev_b32_e32 v27, 20, v27
	v_and_b32_e32 v28, 0x80000000, v28
	v_lshl_add_u32 v26, v26, 23, v29
	v_or3_b32 v26, v28, v26, v27
	v_lshrrev_b32_e32 v29, 16, v26
.LBB736_312:
	s_or_b64 exec, exec, s[22:23]
.LBB736_313:
	s_or_b64 exec, exec, s[20:21]
.LBB736_314:
	s_or_b64 exec, exec, s[10:11]
	s_movk_i32 s2, 0xff
	v_and_b32_sdwa v27, v22, s2 dst_sel:DWORD dst_unused:UNUSED_PAD src0_sel:WORD_1 src1_sel:DWORD
	v_lshrrev_b32_e32 v26, 16, v22
	v_cmp_ne_u16_e64 s[2:3], 0, v27
	s_and_saveexec_b64 s[10:11], s[2:3]
	s_cbranch_execz .LBB736_320
; %bb.315:
	s_movk_i32 s2, 0x80
	v_cmp_ne_u16_e64 s[2:3], s2, v27
	v_mov_b32_e32 v31, 0xffff8000
	s_and_saveexec_b64 s[20:21], s[2:3]
	s_cbranch_execz .LBB736_319
; %bb.316:
	v_bfe_u32 v27, v22, 16, 7
	s_movk_i32 s2, 0x7f
	v_cmp_ne_u32_e64 s[2:3], s2, v27
	v_mov_b32_e32 v31, 0x7f80
	s_and_saveexec_b64 s[22:23], s[2:3]
	s_cbranch_execz .LBB736_318
; %bb.317:
	v_and_b32_e32 v28, 7, v26
	v_ffbh_u32_e32 v32, v28
	v_min_u32_e32 v34, 32, v32
	v_subrev_u32_e32 v32, 28, v34
	v_lshlrev_b64 v[32:33], v32, v[26:27]
	v_and_b32_e32 v32, 7, v32
	v_cmp_gt_u32_e64 s[2:3], 8, v27
	v_lshrrev_b32_e32 v31, 3, v27
	v_sub_u32_e32 v26, 29, v34
	v_cndmask_b32_e64 v27, v28, v32, s[2:3]
	v_mov_b32_e32 v28, 24
	v_cndmask_b32_e64 v26, v31, v26, s[2:3]
	v_lshlrev_b32_sdwa v28, v28, v22 dst_sel:DWORD dst_unused:UNUSED_PAD src0_sel:DWORD src1_sel:WORD_1
	v_bfrev_b32_e32 v31, 60
	v_lshlrev_b32_e32 v27, 20, v27
	v_and_b32_e32 v28, 0x80000000, v28
	v_lshl_add_u32 v26, v26, 23, v31
	v_or3_b32 v26, v28, v26, v27
	v_lshrrev_b32_e32 v31, 16, v26
.LBB736_318:
	s_or_b64 exec, exec, s[22:23]
.LBB736_319:
	s_or_b64 exec, exec, s[20:21]
.LBB736_320:
	s_or_b64 exec, exec, s[10:11]
	s_mov_b32 s2, 0xffffff
	v_cmp_lt_u32_e64 s[2:3], s2, v22
	v_mov_b32_e32 v27, 0
	v_mov_b32_e32 v32, 0
	s_and_saveexec_b64 s[10:11], s[2:3]
	s_cbranch_execz .LBB736_326
; %bb.321:
	v_lshrrev_b32_e32 v26, 24, v22
	s_movk_i32 s2, 0x80
	v_cmp_ne_u32_e64 s[2:3], s2, v26
	v_mov_b32_e32 v32, 0xffff8000
	s_and_saveexec_b64 s[20:21], s[2:3]
	s_cbranch_execz .LBB736_325
; %bb.322:
	v_bfe_u32 v28, v22, 24, 7
	s_movk_i32 s2, 0x7f
	v_cmp_ne_u32_e64 s[2:3], s2, v28
	v_mov_b32_e32 v32, 0x7f80
	s_and_saveexec_b64 s[22:23], s[2:3]
	s_cbranch_execz .LBB736_324
; %bb.323:
	v_and_b32_e32 v34, 7, v26
	v_ffbh_u32_e32 v32, v34
	v_min_u32_e32 v36, 32, v32
	v_subrev_u32_e32 v32, 28, v36
	v_lshlrev_b64 v[32:33], v32, v[26:27]
	v_lshrrev_b32_e32 v35, 3, v28
	v_sub_u32_e32 v33, 29, v36
	v_and_b32_e32 v32, 7, v32
	v_cmp_gt_u32_e64 s[2:3], 8, v28
	v_cndmask_b32_e64 v28, v35, v33, s[2:3]
	v_cndmask_b32_e64 v32, v34, v32, s[2:3]
	v_lshlrev_b32_e32 v26, 24, v26
	v_bfrev_b32_e32 v33, 60
	v_lshlrev_b32_e32 v32, 20, v32
	v_and_b32_e32 v26, 0x80000000, v26
	v_lshl_add_u32 v28, v28, 23, v33
	v_or3_b32 v26, v26, v28, v32
	v_lshrrev_b32_e32 v32, 16, v26
.LBB736_324:
	s_or_b64 exec, exec, s[22:23]
.LBB736_325:
	s_or_b64 exec, exec, s[20:21]
.LBB736_326:
	s_or_b64 exec, exec, s[10:11]
	v_mov_b32_e32 v26, v23
	v_cmp_ne_u16_sdwa s[2:3], v23, v27 src0_sel:BYTE_0 src1_sel:DWORD
	s_and_saveexec_b64 s[10:11], s[2:3]
	s_cbranch_execz .LBB736_332
; %bb.327:
	s_movk_i32 s2, 0x80
	v_cmp_ne_u16_sdwa s[2:3], v23, s2 src0_sel:BYTE_0 src1_sel:DWORD
	v_mov_b32_e32 v28, 0xffff8000
	s_and_saveexec_b64 s[20:21], s[2:3]
	s_cbranch_execz .LBB736_331
; %bb.328:
	s_movk_i32 s2, 0x7f
	v_and_b32_e32 v33, 0x7f, v23
	v_cmp_ne_u32_e64 s[2:3], s2, v33
	v_mov_b32_e32 v28, 0x7f80
	s_and_saveexec_b64 s[22:23], s[2:3]
	s_cbranch_execz .LBB736_330
; %bb.329:
	v_and_b32_e32 v28, 7, v23
	v_ffbh_u32_e32 v28, v28
	v_min_u32_e32 v28, 32, v28
	v_subrev_u32_e32 v35, 28, v28
	v_cmp_gt_u32_e64 s[2:3], 8, v33
	v_lshrrev_b32_e32 v34, 3, v33
	v_sub_u32_e32 v28, 29, v28
	v_cndmask_b32_e64 v33, 0, v35, s[2:3]
	v_cndmask_b32_e64 v28, v34, v28, s[2:3]
	v_lshlrev_b64 v[34:35], v33, v[26:27]
	v_lshlrev_b32_e32 v27, 20, v34
	v_lshlrev_b32_e32 v33, 24, v26
	v_bfrev_b32_e32 v34, 60
	v_and_b32_e32 v27, 0x700000, v27
	v_and_b32_e32 v33, 0x80000000, v33
	v_lshl_add_u32 v28, v28, 23, v34
	v_or3_b32 v27, v33, v28, v27
	v_lshrrev_b32_e32 v28, 16, v27
.LBB736_330:
	s_or_b64 exec, exec, s[22:23]
.LBB736_331:
	s_or_b64 exec, exec, s[20:21]
	v_mov_b32_e32 v27, v28
.LBB736_332:
	s_or_b64 exec, exec, s[10:11]
	v_lshrrev_b16_e32 v28, 8, v26
	v_cmp_ne_u16_e64 s[2:3], 0, v28
	v_mov_b32_e32 v34, 0
	v_mov_b32_e32 v33, 0
	s_and_saveexec_b64 s[10:11], s[2:3]
	s_cbranch_execz .LBB736_338
; %bb.333:
	s_movk_i32 s2, 0x80
	v_cmp_ne_u16_e64 s[2:3], s2, v28
	v_mov_b32_e32 v33, 0xffff8000
	s_and_saveexec_b64 s[20:21], s[2:3]
	s_cbranch_execz .LBB736_337
; %bb.334:
	s_movk_i32 s2, 0x7f
	v_and_b32_e32 v35, 0x7f, v28
	v_cmp_ne_u32_e64 s[2:3], s2, v35
	v_mov_b32_e32 v33, 0x7f80
	s_and_saveexec_b64 s[22:23], s[2:3]
	s_cbranch_execz .LBB736_336
; %bb.335:
	v_and_b32_e32 v33, 7, v28
	v_ffbh_u32_e32 v36, v33
	v_min_u32_e32 v39, 32, v36
	v_subrev_u32_e32 v36, 28, v39
	v_lshlrev_b64 v[36:37], v36, v[28:29]
	v_lshrrev_b32_e32 v38, 3, v35
	v_sub_u32_e32 v28, 29, v39
	v_and_b32_e32 v36, 7, v36
	v_cmp_gt_u32_e64 s[2:3], 8, v35
	v_cndmask_b32_e64 v28, v38, v28, s[2:3]
	v_cndmask_b32_e64 v33, v33, v36, s[2:3]
	v_lshlrev_b32_e32 v26, 16, v26
	v_bfrev_b32_e32 v35, 60
	v_lshlrev_b32_e32 v33, 20, v33
	v_and_b32_e32 v26, 0x80000000, v26
	v_lshl_add_u32 v28, v28, 23, v35
	v_or3_b32 v26, v26, v28, v33
	v_lshrrev_b32_e32 v33, 16, v26
.LBB736_336:
	s_or_b64 exec, exec, s[22:23]
.LBB736_337:
	s_or_b64 exec, exec, s[20:21]
.LBB736_338:
	s_or_b64 exec, exec, s[10:11]
	s_movk_i32 s2, 0xff
	v_and_b32_sdwa v28, v23, s2 dst_sel:DWORD dst_unused:UNUSED_PAD src0_sel:WORD_1 src1_sel:DWORD
	v_lshrrev_b32_e32 v26, 16, v23
	v_cmp_ne_u16_e64 s[2:3], 0, v28
	s_and_saveexec_b64 s[10:11], s[2:3]
	s_cbranch_execz .LBB736_344
; %bb.339:
	s_movk_i32 s2, 0x80
	v_cmp_ne_u16_e64 s[2:3], s2, v28
	v_mov_b32_e32 v34, 0xffff8000
	s_and_saveexec_b64 s[20:21], s[2:3]
	s_cbranch_execz .LBB736_343
; %bb.340:
	v_bfe_u32 v28, v23, 16, 7
	s_movk_i32 s2, 0x7f
	v_cmp_ne_u32_e64 s[2:3], s2, v28
	v_mov_b32_e32 v34, 0x7f80
	s_and_saveexec_b64 s[22:23], s[2:3]
	s_cbranch_execz .LBB736_342
; %bb.341:
	v_and_b32_e32 v36, 7, v26
	v_ffbh_u32_e32 v34, v36
	v_min_u32_e32 v38, 32, v34
	v_subrev_u32_e32 v34, 28, v38
	v_lshlrev_b64 v[34:35], v34, v[26:27]
	v_and_b32_e32 v34, 7, v34
	v_cmp_gt_u32_e64 s[2:3], 8, v28
	v_lshrrev_b32_e32 v37, 3, v28
	v_sub_u32_e32 v26, 29, v38
	v_cndmask_b32_e64 v28, v36, v34, s[2:3]
	v_mov_b32_e32 v34, 24
	v_cndmask_b32_e64 v26, v37, v26, s[2:3]
	v_lshlrev_b32_sdwa v34, v34, v23 dst_sel:DWORD dst_unused:UNUSED_PAD src0_sel:DWORD src1_sel:WORD_1
	v_bfrev_b32_e32 v35, 60
	v_lshlrev_b32_e32 v28, 20, v28
	v_and_b32_e32 v34, 0x80000000, v34
	v_lshl_add_u32 v26, v26, 23, v35
	v_or3_b32 v26, v34, v26, v28
	v_lshrrev_b32_e32 v34, 16, v26
.LBB736_342:
	s_or_b64 exec, exec, s[22:23]
.LBB736_343:
	s_or_b64 exec, exec, s[20:21]
.LBB736_344:
	s_or_b64 exec, exec, s[10:11]
	s_mov_b32 s2, -1
	s_mov_b32 s3, 0xffffff
	v_cmp_lt_u64_e64 s[2:3], s[2:3], v[22:23]
	v_mov_b32_e32 v28, 0
	v_mov_b32_e32 v26, 0
	s_and_saveexec_b64 s[10:11], s[2:3]
	s_cbranch_execz .LBB736_350
; %bb.345:
	v_lshrrev_b32_e32 v22, 24, v23
	s_movk_i32 s2, 0x80
	v_cmp_ne_u32_e64 s[2:3], s2, v22
	v_mov_b32_e32 v26, 0xffff8000
	s_and_saveexec_b64 s[20:21], s[2:3]
	s_cbranch_execz .LBB736_349
; %bb.346:
	v_bfe_u32 v23, v23, 24, 7
	s_movk_i32 s2, 0x7f
	v_cmp_ne_u32_e64 s[2:3], s2, v23
	v_mov_b32_e32 v26, 0x7f80
	s_and_saveexec_b64 s[22:23], s[2:3]
	s_cbranch_execz .LBB736_348
; %bb.347:
	v_and_b32_e32 v26, 7, v22
	v_ffbh_u32_e32 v36, v26
	v_min_u32_e32 v38, 32, v36
	v_subrev_u32_e32 v36, 28, v38
	v_lshlrev_b64 v[36:37], v36, v[22:23]
	v_lshrrev_b32_e32 v35, 3, v23
	v_sub_u32_e32 v37, 29, v38
	v_and_b32_e32 v36, 7, v36
	v_cmp_gt_u32_e64 s[2:3], 8, v23
	v_cndmask_b32_e64 v23, v35, v37, s[2:3]
	v_cndmask_b32_e64 v26, v26, v36, s[2:3]
	v_lshlrev_b32_e32 v22, 24, v22
	v_bfrev_b32_e32 v35, 60
	v_lshlrev_b32_e32 v26, 20, v26
	v_and_b32_e32 v22, 0x80000000, v22
	v_lshl_add_u32 v23, v23, 23, v35
	v_or3_b32 v22, v22, v23, v26
	v_lshrrev_b32_e32 v26, 16, v22
.LBB736_348:
	s_or_b64 exec, exec, s[22:23]
.LBB736_349:
	s_or_b64 exec, exec, s[20:21]
.LBB736_350:
	s_or_b64 exec, exec, s[10:11]
	s_mov_b32 s2, 0x5040100
	v_perm_b32 v23, v32, v31, s2
	v_perm_b32 v22, v29, v30, s2
	;; [unrolled: 1-line block ×4, first 2 shown]
	v_mfma_f32_4x4x4bf16_1k a[0:3], v[18:19], v[22:23], a[0:3] cbsz:4 abid:6
	v_cmp_ne_u16_sdwa s[2:3], v24, v28 src0_sel:BYTE_0 src1_sel:DWORD
	v_mfma_f32_4x4x4bf16_1k a[0:3], v[20:21], v[30:31], a[0:3] cbsz:4 abid:6
	s_and_saveexec_b64 s[10:11], s[2:3]
	s_cbranch_execz .LBB736_356
; %bb.351:
	s_movk_i32 s2, 0x80
	v_cmp_ne_u16_sdwa s[2:3], v24, s2 src0_sel:BYTE_0 src1_sel:DWORD
	v_mov_b32_e32 v28, 0xffff8000
	s_and_saveexec_b64 s[20:21], s[2:3]
	s_cbranch_execz .LBB736_355
; %bb.352:
	s_movk_i32 s2, 0x7f
	v_and_b32_e32 v22, 0x7f, v24
	v_cmp_ne_u32_e64 s[2:3], s2, v22
	v_mov_b32_e32 v28, 0x7f80
	s_and_saveexec_b64 s[22:23], s[2:3]
	s_cbranch_execz .LBB736_354
; %bb.353:
	v_and_b32_e32 v23, 7, v24
	v_ffbh_u32_e32 v23, v23
	v_min_u32_e32 v23, 32, v23
	v_subrev_u32_e32 v27, 28, v23
	v_cmp_gt_u32_e64 s[2:3], 8, v22
	v_lshrrev_b32_e32 v26, 3, v22
	v_sub_u32_e32 v23, 29, v23
	v_cndmask_b32_e64 v22, 0, v27, s[2:3]
	v_cndmask_b32_e64 v26, v26, v23, s[2:3]
	v_lshlrev_b64 v[22:23], v22, v[24:25]
	v_lshlrev_b32_e32 v22, 20, v22
	v_lshlrev_b32_e32 v23, 24, v24
	v_bfrev_b32_e32 v27, 60
	v_and_b32_e32 v22, 0x700000, v22
	v_and_b32_e32 v23, 0x80000000, v23
	v_lshl_add_u32 v26, v26, 23, v27
	v_or3_b32 v22, v23, v26, v22
	v_lshrrev_b32_e32 v28, 16, v22
.LBB736_354:
	s_or_b64 exec, exec, s[22:23]
.LBB736_355:
	s_or_b64 exec, exec, s[20:21]
.LBB736_356:
	s_or_b64 exec, exec, s[10:11]
	v_lshrrev_b16_e32 v22, 8, v24
	v_cmp_ne_u16_e64 s[2:3], 0, v22
	v_mov_b32_e32 v29, 0
	v_mov_b32_e32 v27, 0
	s_and_saveexec_b64 s[10:11], s[2:3]
	s_cbranch_execz .LBB736_362
; %bb.357:
	s_movk_i32 s2, 0x80
	v_cmp_ne_u16_e64 s[2:3], s2, v22
	v_mov_b32_e32 v27, 0xffff8000
	s_and_saveexec_b64 s[20:21], s[2:3]
	s_cbranch_execz .LBB736_361
; %bb.358:
	s_movk_i32 s2, 0x7f
	v_and_b32_e32 v23, 0x7f, v22
	v_cmp_ne_u32_e64 s[2:3], s2, v23
	v_mov_b32_e32 v27, 0x7f80
	s_and_saveexec_b64 s[22:23], s[2:3]
	s_cbranch_execz .LBB736_360
; %bb.359:
	v_and_b32_e32 v30, 7, v22
	v_ffbh_u32_e32 v26, v30
	v_min_u32_e32 v32, 32, v26
	v_subrev_u32_e32 v26, 28, v32
	v_lshlrev_b64 v[26:27], v26, v[22:23]
	v_lshrrev_b32_e32 v31, 3, v23
	v_sub_u32_e32 v22, 29, v32
	v_and_b32_e32 v26, 7, v26
	v_cmp_gt_u32_e64 s[2:3], 8, v23
	v_cndmask_b32_e64 v22, v31, v22, s[2:3]
	v_cndmask_b32_e64 v23, v30, v26, s[2:3]
	v_lshlrev_b32_e32 v26, 16, v24
	v_bfrev_b32_e32 v27, 60
	v_lshlrev_b32_e32 v23, 20, v23
	v_and_b32_e32 v26, 0x80000000, v26
	v_lshl_add_u32 v22, v22, 23, v27
	v_or3_b32 v22, v26, v22, v23
	v_lshrrev_b32_e32 v27, 16, v22
.LBB736_360:
	s_or_b64 exec, exec, s[22:23]
.LBB736_361:
	s_or_b64 exec, exec, s[20:21]
.LBB736_362:
	s_or_b64 exec, exec, s[10:11]
	s_movk_i32 s2, 0xff
	v_and_b32_sdwa v23, v24, s2 dst_sel:DWORD dst_unused:UNUSED_PAD src0_sel:WORD_1 src1_sel:DWORD
	v_lshrrev_b32_e32 v22, 16, v24
	v_cmp_ne_u16_e64 s[2:3], 0, v23
	s_and_saveexec_b64 s[10:11], s[2:3]
	s_cbranch_execz .LBB736_368
; %bb.363:
	s_movk_i32 s2, 0x80
	v_cmp_ne_u16_e64 s[2:3], s2, v23
	v_mov_b32_e32 v29, 0xffff8000
	s_and_saveexec_b64 s[20:21], s[2:3]
	s_cbranch_execz .LBB736_367
; %bb.364:
	v_bfe_u32 v23, v24, 16, 7
	s_movk_i32 s2, 0x7f
	v_cmp_ne_u32_e64 s[2:3], s2, v23
	v_mov_b32_e32 v29, 0x7f80
	s_and_saveexec_b64 s[22:23], s[2:3]
	s_cbranch_execz .LBB736_366
; %bb.365:
	v_and_b32_e32 v26, 7, v22
	v_ffbh_u32_e32 v30, v26
	v_min_u32_e32 v32, 32, v30
	v_subrev_u32_e32 v30, 28, v32
	v_lshlrev_b64 v[30:31], v30, v[22:23]
	v_and_b32_e32 v30, 7, v30
	v_cmp_gt_u32_e64 s[2:3], 8, v23
	v_lshrrev_b32_e32 v29, 3, v23
	v_sub_u32_e32 v22, 29, v32
	v_cndmask_b32_e64 v23, v26, v30, s[2:3]
	v_mov_b32_e32 v26, 24
	v_cndmask_b32_e64 v22, v29, v22, s[2:3]
	v_lshlrev_b32_sdwa v26, v26, v24 dst_sel:DWORD dst_unused:UNUSED_PAD src0_sel:DWORD src1_sel:WORD_1
	v_bfrev_b32_e32 v29, 60
	v_lshlrev_b32_e32 v23, 20, v23
	v_and_b32_e32 v26, 0x80000000, v26
	v_lshl_add_u32 v22, v22, 23, v29
	v_or3_b32 v22, v26, v22, v23
	v_lshrrev_b32_e32 v29, 16, v22
.LBB736_366:
	s_or_b64 exec, exec, s[22:23]
.LBB736_367:
	s_or_b64 exec, exec, s[20:21]
.LBB736_368:
	s_or_b64 exec, exec, s[10:11]
	s_mov_b32 s2, 0xffffff
	v_cmp_lt_u32_e64 s[2:3], s2, v24
	v_mov_b32_e32 v23, 0
	v_mov_b32_e32 v30, 0
	s_and_saveexec_b64 s[10:11], s[2:3]
	s_cbranch_execz .LBB736_374
; %bb.369:
	v_lshrrev_b32_e32 v22, 24, v24
	s_movk_i32 s2, 0x80
	v_cmp_ne_u32_e64 s[2:3], s2, v22
	v_mov_b32_e32 v30, 0xffff8000
	s_and_saveexec_b64 s[20:21], s[2:3]
	s_cbranch_execz .LBB736_373
; %bb.370:
	v_bfe_u32 v26, v24, 24, 7
	s_movk_i32 s2, 0x7f
	v_cmp_ne_u32_e64 s[2:3], s2, v26
	v_mov_b32_e32 v30, 0x7f80
	s_and_saveexec_b64 s[22:23], s[2:3]
	s_cbranch_execz .LBB736_372
; %bb.371:
	v_and_b32_e32 v32, 7, v22
	v_ffbh_u32_e32 v30, v32
	v_min_u32_e32 v34, 32, v30
	v_subrev_u32_e32 v30, 28, v34
	v_lshlrev_b64 v[30:31], v30, v[22:23]
	v_lshrrev_b32_e32 v33, 3, v26
	v_sub_u32_e32 v31, 29, v34
	v_and_b32_e32 v30, 7, v30
	v_cmp_gt_u32_e64 s[2:3], 8, v26
	v_cndmask_b32_e64 v26, v33, v31, s[2:3]
	v_cndmask_b32_e64 v30, v32, v30, s[2:3]
	v_lshlrev_b32_e32 v22, 24, v22
	v_bfrev_b32_e32 v31, 60
	v_lshlrev_b32_e32 v30, 20, v30
	v_and_b32_e32 v22, 0x80000000, v22
	v_lshl_add_u32 v26, v26, 23, v31
	v_or3_b32 v22, v22, v26, v30
	v_lshrrev_b32_e32 v30, 16, v22
.LBB736_372:
	s_or_b64 exec, exec, s[22:23]
.LBB736_373:
	s_or_b64 exec, exec, s[20:21]
.LBB736_374:
	s_or_b64 exec, exec, s[10:11]
	v_mov_b32_e32 v22, v25
	v_cmp_ne_u16_sdwa s[2:3], v25, v23 src0_sel:BYTE_0 src1_sel:DWORD
	s_and_saveexec_b64 s[10:11], s[2:3]
	s_cbranch_execz .LBB736_380
; %bb.375:
	s_movk_i32 s2, 0x80
	v_cmp_ne_u16_sdwa s[2:3], v25, s2 src0_sel:BYTE_0 src1_sel:DWORD
	v_mov_b32_e32 v26, 0xffff8000
	s_and_saveexec_b64 s[20:21], s[2:3]
	s_cbranch_execz .LBB736_379
; %bb.376:
	s_movk_i32 s2, 0x7f
	v_and_b32_e32 v31, 0x7f, v25
	v_cmp_ne_u32_e64 s[2:3], s2, v31
	v_mov_b32_e32 v26, 0x7f80
	s_and_saveexec_b64 s[22:23], s[2:3]
	s_cbranch_execz .LBB736_378
; %bb.377:
	v_and_b32_e32 v26, 7, v25
	v_ffbh_u32_e32 v26, v26
	v_min_u32_e32 v26, 32, v26
	v_subrev_u32_e32 v33, 28, v26
	v_cmp_gt_u32_e64 s[2:3], 8, v31
	v_lshrrev_b32_e32 v32, 3, v31
	v_sub_u32_e32 v26, 29, v26
	v_cndmask_b32_e64 v31, 0, v33, s[2:3]
	v_cndmask_b32_e64 v26, v32, v26, s[2:3]
	v_lshlrev_b64 v[32:33], v31, v[22:23]
	v_lshlrev_b32_e32 v23, 20, v32
	v_lshlrev_b32_e32 v31, 24, v22
	v_bfrev_b32_e32 v32, 60
	v_and_b32_e32 v23, 0x700000, v23
	v_and_b32_e32 v31, 0x80000000, v31
	v_lshl_add_u32 v26, v26, 23, v32
	v_or3_b32 v23, v31, v26, v23
	v_lshrrev_b32_e32 v26, 16, v23
.LBB736_378:
	s_or_b64 exec, exec, s[22:23]
.LBB736_379:
	s_or_b64 exec, exec, s[20:21]
	v_mov_b32_e32 v23, v26
.LBB736_380:
	s_or_b64 exec, exec, s[10:11]
	v_lshrrev_b16_e32 v26, 8, v22
	v_cmp_ne_u16_e64 s[2:3], 0, v26
	v_mov_b32_e32 v32, 0
	v_mov_b32_e32 v31, 0
	s_and_saveexec_b64 s[10:11], s[2:3]
	s_cbranch_execz .LBB736_386
; %bb.381:
	s_movk_i32 s2, 0x80
	v_cmp_ne_u16_e64 s[2:3], s2, v26
	v_mov_b32_e32 v31, 0xffff8000
	s_and_saveexec_b64 s[20:21], s[2:3]
	s_cbranch_execz .LBB736_385
; %bb.382:
	s_movk_i32 s2, 0x7f
	v_and_b32_e32 v33, 0x7f, v26
	v_cmp_ne_u32_e64 s[2:3], s2, v33
	v_mov_b32_e32 v31, 0x7f80
	s_and_saveexec_b64 s[22:23], s[2:3]
	s_cbranch_execz .LBB736_384
; %bb.383:
	v_and_b32_e32 v31, 7, v26
	v_ffbh_u32_e32 v34, v31
	v_min_u32_e32 v37, 32, v34
	v_subrev_u32_e32 v34, 28, v37
	v_lshlrev_b64 v[34:35], v34, v[26:27]
	v_lshrrev_b32_e32 v36, 3, v33
	v_sub_u32_e32 v26, 29, v37
	v_and_b32_e32 v34, 7, v34
	v_cmp_gt_u32_e64 s[2:3], 8, v33
	v_cndmask_b32_e64 v26, v36, v26, s[2:3]
	v_cndmask_b32_e64 v31, v31, v34, s[2:3]
	v_lshlrev_b32_e32 v22, 16, v22
	v_bfrev_b32_e32 v33, 60
	v_lshlrev_b32_e32 v31, 20, v31
	v_and_b32_e32 v22, 0x80000000, v22
	v_lshl_add_u32 v26, v26, 23, v33
	v_or3_b32 v22, v22, v26, v31
	v_lshrrev_b32_e32 v31, 16, v22
.LBB736_384:
	s_or_b64 exec, exec, s[22:23]
.LBB736_385:
	s_or_b64 exec, exec, s[20:21]
.LBB736_386:
	s_or_b64 exec, exec, s[10:11]
	s_movk_i32 s2, 0xff
	v_and_b32_sdwa v26, v25, s2 dst_sel:DWORD dst_unused:UNUSED_PAD src0_sel:WORD_1 src1_sel:DWORD
	v_lshrrev_b32_e32 v22, 16, v25
	v_cmp_ne_u16_e64 s[2:3], 0, v26
	s_and_saveexec_b64 s[10:11], s[2:3]
	s_cbranch_execz .LBB736_392
; %bb.387:
	s_movk_i32 s2, 0x80
	v_cmp_ne_u16_e64 s[2:3], s2, v26
	v_mov_b32_e32 v32, 0xffff8000
	s_and_saveexec_b64 s[20:21], s[2:3]
	s_cbranch_execz .LBB736_391
; %bb.388:
	v_bfe_u32 v26, v25, 16, 7
	s_movk_i32 s2, 0x7f
	v_cmp_ne_u32_e64 s[2:3], s2, v26
	v_mov_b32_e32 v32, 0x7f80
	s_and_saveexec_b64 s[22:23], s[2:3]
	s_cbranch_execz .LBB736_390
; %bb.389:
	v_and_b32_e32 v34, 7, v22
	v_ffbh_u32_e32 v32, v34
	v_min_u32_e32 v36, 32, v32
	v_subrev_u32_e32 v32, 28, v36
	v_lshlrev_b64 v[32:33], v32, v[22:23]
	v_and_b32_e32 v32, 7, v32
	v_cmp_gt_u32_e64 s[2:3], 8, v26
	v_lshrrev_b32_e32 v35, 3, v26
	v_sub_u32_e32 v22, 29, v36
	v_cndmask_b32_e64 v26, v34, v32, s[2:3]
	v_mov_b32_e32 v32, 24
	v_cndmask_b32_e64 v22, v35, v22, s[2:3]
	v_lshlrev_b32_sdwa v32, v32, v25 dst_sel:DWORD dst_unused:UNUSED_PAD src0_sel:DWORD src1_sel:WORD_1
	v_bfrev_b32_e32 v33, 60
	v_lshlrev_b32_e32 v26, 20, v26
	v_and_b32_e32 v32, 0x80000000, v32
	v_lshl_add_u32 v22, v22, 23, v33
	v_or3_b32 v22, v32, v22, v26
	v_lshrrev_b32_e32 v32, 16, v22
.LBB736_390:
	s_or_b64 exec, exec, s[22:23]
.LBB736_391:
	s_or_b64 exec, exec, s[20:21]
.LBB736_392:
	s_or_b64 exec, exec, s[10:11]
	s_mov_b32 s2, -1
	s_mov_b32 s3, 0xffffff
	v_cmp_lt_u64_e64 s[2:3], s[2:3], v[24:25]
	v_mov_b32_e32 v24, 0
	s_and_saveexec_b64 s[10:11], s[2:3]
	s_cbranch_execz .LBB736_398
; %bb.393:
	v_lshrrev_b32_e32 v22, 24, v25
	s_movk_i32 s2, 0x80
	v_cmp_ne_u32_e64 s[2:3], s2, v22
	v_mov_b32_e32 v24, 0xffff8000
	s_and_saveexec_b64 s[20:21], s[2:3]
	s_cbranch_execz .LBB736_397
; %bb.394:
	v_bfe_u32 v25, v25, 24, 7
	s_movk_i32 s2, 0x7f
	v_cmp_ne_u32_e64 s[2:3], s2, v25
	v_mov_b32_e32 v24, 0x7f80
	s_and_saveexec_b64 s[22:23], s[2:3]
	s_cbranch_execz .LBB736_396
; %bb.395:
	v_and_b32_e32 v24, 7, v22
	v_ffbh_u32_e32 v33, v24
	v_min_u32_e32 v33, 32, v33
	v_subrev_u32_e32 v34, 28, v33
	v_lshlrev_b64 v[34:35], v34, v[22:23]
	v_lshrrev_b32_e32 v26, 3, v25
	v_sub_u32_e32 v33, 29, v33
	v_and_b32_e32 v34, 7, v34
	v_cmp_gt_u32_e64 s[2:3], 8, v25
	v_cndmask_b32_e64 v25, v26, v33, s[2:3]
	v_cndmask_b32_e64 v24, v24, v34, s[2:3]
	v_lshlrev_b32_e32 v22, 24, v22
	v_bfrev_b32_e32 v26, 60
	v_lshlrev_b32_e32 v24, 20, v24
	v_and_b32_e32 v22, 0x80000000, v22
	v_lshl_add_u32 v25, v25, 23, v26
	v_or3_b32 v22, v22, v25, v24
	v_lshrrev_b32_e32 v24, 16, v22
.LBB736_396:
	s_or_b64 exec, exec, s[22:23]
.LBB736_397:
	s_or_b64 exec, exec, s[20:21]
.LBB736_398:
	s_or_b64 exec, exec, s[10:11]
	s_mov_b32 s3, 0x5040100
	s_load_dword s2, s[4:5], 0x1c
	v_perm_b32 v29, v30, v29, s3
	v_perm_b32 v28, v27, v28, s3
	;; [unrolled: 1-line block ×4, first 2 shown]
	v_mfma_f32_4x4x4bf16_1k a[0:3], v[18:19], v[28:29], a[0:3] cbsz:4 abid:7
	s_load_dword s3, s[12:13], 0x0
	v_mfma_f32_4x4x4bf16_1k a[0:3], v[20:21], v[24:25], a[0:3] cbsz:4 abid:7
	s_waitcnt lgkmcnt(0)
	v_mov_b32_e32 v18, s2
	v_mul_f32_e32 v20, s3, v18
	v_cmp_eq_u32_e64 s[2:3], 0, v43
	s_nop 0
	v_accvgpr_read_b32 v23, a1
	v_accvgpr_read_b32 v22, a0
	v_pk_mul_f32 v[22:23], v[22:23], v[20:21] op_sel_hi:[1,0]
	v_accvgpr_read_b32 v19, a3
	v_accvgpr_read_b32 v18, a2
	v_pk_mul_f32 v[18:19], v[18:19], v[20:21] op_sel_hi:[1,0]
	v_cndmask_b32_e64 v20, 0, 1.0, s[2:3]
	v_cmp_eq_u32_e64 s[2:3], 1, v43
	s_nop 0
	v_mfma_f32_4x4x1f32 a[0:3], v22, v20, 0
	v_cndmask_b32_e64 v20, 0, 1.0, s[2:3]
	v_cmp_eq_u32_e64 s[2:3], 2, v43
	v_mov_b32_e32 v22, 0xff7fffff
	v_mfma_f32_4x4x1f32 a[0:3], v23, v20, a[0:3]
	v_cndmask_b32_e64 v20, 0, 1.0, s[2:3]
	s_nop 1
	v_mfma_f32_4x4x1f32 a[0:3], v18, v20, a[0:3]
	v_cndmask_b32_e64 v18, 0, 1.0, vcc
	s_nop 1
	v_mfma_f32_4x4x1f32 a[0:3], v19, v18, a[0:3]
	v_and_b32_e32 v18, -4, v44
	v_cmp_gt_i32_e32 vcc, s7, v18
	v_lshlrev_b32_e32 v19, 2, v0
	v_and_or_b32 v19, v19, 48, v43
	v_lshlrev_b32_e32 v26, 2, v19
	v_accvgpr_read_b32 v20, a0
	v_max_f32_e32 v21, v20, v20
	v_max_f32_e32 v21, 0xff7fffff, v21
	v_accvgpr_read_b32 v23, a1
	v_cndmask_b32_e32 v21, v22, v21, vcc
	v_or_b32_e32 v22, 1, v18
	v_max_f32_e32 v24, v23, v23
	v_max_f32_e32 v24, v21, v24
	v_cmp_gt_i32_e64 s[2:3], s7, v22
	v_accvgpr_read_b32 v22, a2
	v_cndmask_b32_e64 v21, v21, v24, s[2:3]
	v_or_b32_e32 v18, 2, v18
	v_max_f32_e32 v24, v22, v22
	v_max_f32_e32 v24, v21, v24
	v_cmp_gt_i32_e64 s[4:5], s7, v18
	v_cndmask_b32_e64 v18, v21, v24, s[4:5]
	v_accvgpr_read_b32 v24, a3
	v_or_b32_e32 v21, 3, v44
	v_max_f32_e32 v25, v24, v24
	v_max_f32_e32 v25, v18, v25
	v_cmp_gt_i32_e64 s[10:11], s7, v21
	v_cndmask_b32_e64 v18, v18, v25, s[10:11]
	;;#ASMSTART
	v_nop
 v_nop
 v_max_f32_dpp v18, v18, v18 row_ror:4
	;;#ASMEND
	;;#ASMSTART
	v_nop
 v_nop
 v_max_f32_dpp v18, v18, v18 row_ror:8
	;;#ASMEND
	ds_bpermute_b32 v18, v26, v18
	s_waitcnt lgkmcnt(0)
	;;#ASMSTART
	v_nop
 v_nop
 v_max_f32_dpp v18, v18, v18 row_ror:4
	;;#ASMEND
	;;#ASMSTART
	v_nop
 v_nop
 v_max_f32_dpp v25, v18, v18 row_ror:8
	;;#ASMEND
	v_sub_f32_e32 v18, v20, v25
	v_mul_f32_e32 v18, 0x3fb8aa3b, v18
	v_sub_f32_e32 v19, v23, v25
	v_exp_f32_e32 v18, v18
	v_mul_f32_e32 v19, 0x3fb8aa3b, v19
	v_sub_f32_e32 v21, v22, v25
	v_exp_f32_e32 v19, v19
	v_mul_f32_e32 v21, 0x3fb8aa3b, v21
	v_sub_f32_e32 v22, v24, v25
	v_exp_f32_e32 v21, v21
	v_mul_f32_e32 v22, 0x3fb8aa3b, v22
	v_exp_f32_e32 v22, v22
	v_cndmask_b32_e32 v18, 0, v18, vcc
	v_add_f32_e32 v20, 0, v18
	v_cndmask_b32_e64 v19, 0, v19, s[2:3]
	v_add_f32_e32 v23, v20, v19
	v_cndmask_b32_e64 v20, 0, v21, s[4:5]
	;; [unrolled: 2-line block ×3, first 2 shown]
	v_add_f32_e32 v22, v23, v21
	;;#ASMSTART
	v_nop
 v_nop
 v_add_f32_dpp v22, v22, v22 row_ror:4
	;;#ASMEND
	;;#ASMSTART
	v_nop
 v_nop
 v_add_f32_dpp v22, v22, v22 row_ror:8
	;;#ASMEND
	ds_bpermute_b32 v22, v26, v22
	s_waitcnt lgkmcnt(0)
	;;#ASMSTART
	v_nop
 v_nop
 v_add_f32_dpp v22, v22, v22 row_ror:4
	;;#ASMEND
	v_cmp_gt_u32_e32 vcc, 4, v42
	;;#ASMSTART
	v_nop
 v_nop
 v_add_f32_dpp v22, v22, v22 row_ror:8
	;;#ASMEND
	s_and_saveexec_b64 s[2:3], vcc
	s_cbranch_execz .LBB736_400
; %bb.399:
	v_mul_u32_u24_e32 v23, 20, v1
	v_lshl_add_u32 v23, v43, 2, v23
	v_add_u32_e32 v23, 0x800, v23
	ds_write2_b32 v23, v25, v22 offset0:128 offset1:148
.LBB736_400:
	s_or_b64 exec, exec, s[2:3]
.LBB736_401:
	s_or_b64 exec, exec, s[36:37]
	s_waitcnt lgkmcnt(0)
	s_barrier
	s_load_dword s2, s[34:35], 0x8
	v_lshlrev_b32_e32 v22, 2, v43
	v_add_u32_e32 v24, 0x800, v22
	ds_read2_b32 v[22:23], v24 offset0:128 offset1:133
	ds_read2_b32 v[28:29], v24 offset0:138 offset1:143
	s_mul_i32 s3, s6, s33
	s_waitcnt lgkmcnt(0)
	s_mul_i32 s2, s3, s2
	s_mov_b32 s3, 0xff7fffff
	v_max3_f32 v26, v22, s3, v23
	v_max3_f32 v26, v26, v28, v29
	v_sub_f32_e32 v22, v22, v26
	v_mul_f32_e32 v22, 0x3fb8aa3b, v22
	v_exp_f32_e32 v27, v22
	v_sub_f32_e32 v22, v23, v26
	ds_read2_b32 v[30:31], v24 offset0:148 offset1:153
	v_mul_f32_e32 v22, 0x3fb8aa3b, v22
	v_exp_f32_e32 v32, v22
	ds_read2_b32 v[22:23], v24 offset0:158 offset1:163
	v_sub_f32_e32 v24, v28, v26
	v_mul_f32_e32 v24, 0x3fb8aa3b, v24
	v_sub_f32_e32 v28, v29, v26
	v_exp_f32_e32 v24, v24
	v_mul_f32_e32 v28, 0x3fb8aa3b, v28
	v_exp_f32_e32 v28, v28
	s_waitcnt lgkmcnt(1)
	v_fma_f32 v27, v27, v30, 0
	v_fmac_f32_e32 v27, v32, v31
	s_waitcnt lgkmcnt(0)
	v_fmac_f32_e32 v27, v24, v22
	s_mul_i32 s10, s8, 3
	s_mul_i32 s2, s2, 3
	v_fmac_f32_e32 v27, v28, v23
	v_cmp_ne_u32_e32 vcc, 3, v43
	s_and_saveexec_b64 s[4:5], vcc
	s_cbranch_execz .LBB736_403
; %bb.402:
	s_mov_b32 s3, 0
	s_lshl_b64 s[6:7], s[2:3], 2
	s_add_u32 s11, s16, s6
	s_mov_b32 s29, s3
	s_addc_u32 s12, s17, s7
	s_lshl_b64 s[8:9], s[28:29], 2
	s_add_u32 s3, s11, s8
	s_addc_u32 s11, s12, s9
	v_add_u32_e32 v22, s10, v43
	s_add_u32 s6, s18, s6
	v_mul_lo_u32 v22, s33, v22
	v_mov_b32_e32 v23, 0
	s_addc_u32 s7, s19, s7
	v_lshlrev_b64 v[22:23], 2, v[22:23]
	s_add_u32 s6, s6, s8
	v_mov_b32_e32 v24, s11
	v_add_co_u32_e32 v28, vcc, s3, v22
	s_addc_u32 s7, s7, s9
	v_addc_co_u32_e32 v29, vcc, v24, v23, vcc
	v_mov_b32_e32 v24, s7
	v_add_co_u32_e32 v22, vcc, s6, v22
	v_addc_co_u32_e32 v23, vcc, v24, v23, vcc
	global_store_dword v[22:23], v26, off
	global_store_dword v[28:29], v27, off
.LBB736_403:
	s_or_b64 exec, exec, s[4:5]
	v_mov_b32_e32 v23, 0
	v_mov_b32_e32 v22, 0
	s_and_saveexec_b64 s[4:5], s[0:1]
	s_cbranch_execz .LBB736_789
; %bb.404:
	v_mov_b32_e32 v28, 0
	s_waitcnt vmcnt(2)
	v_cmp_ne_u16_sdwa s[6:7], v14, v28 src0_sel:BYTE_0 src1_sel:DWORD
	v_mov_b32_e32 v29, 0
	s_and_saveexec_b64 s[0:1], s[6:7]
	s_cbranch_execz .LBB736_410
; %bb.405:
	s_movk_i32 s3, 0x80
	v_cmp_ne_u16_sdwa s[8:9], v14, s3 src0_sel:BYTE_0 src1_sel:DWORD
	v_mov_b32_e32 v29, 0xffff8000
	s_and_saveexec_b64 s[6:7], s[8:9]
	s_cbranch_execz .LBB736_409
; %bb.406:
	s_movk_i32 s3, 0x7f
	v_and_b32_e32 v22, 0x7f, v14
	v_cmp_ne_u32_e32 vcc, s3, v22
	v_mov_b32_e32 v29, 0x7f80
	s_and_saveexec_b64 s[8:9], vcc
	s_cbranch_execz .LBB736_408
; %bb.407:
	v_and_b32_e32 v23, 7, v14
	v_ffbh_u32_e32 v23, v23
	v_min_u32_e32 v23, 32, v23
	v_subrev_u32_e32 v29, 28, v23
	v_cmp_gt_u32_e32 vcc, 8, v22
	v_lshrrev_b32_e32 v24, 3, v22
	v_sub_u32_e32 v23, 29, v23
	v_cndmask_b32_e32 v22, 0, v29, vcc
	v_cndmask_b32_e32 v24, v24, v23, vcc
	v_lshlrev_b64 v[22:23], v22, v[14:15]
	v_lshlrev_b32_e32 v22, 20, v22
	v_lshlrev_b32_e32 v23, 24, v14
	v_bfrev_b32_e32 v29, 60
	v_and_b32_e32 v22, 0x700000, v22
	v_and_b32_e32 v23, 0x80000000, v23
	v_lshl_add_u32 v24, v24, 23, v29
	v_or3_b32 v22, v23, v24, v22
	v_lshrrev_b32_e32 v29, 16, v22
.LBB736_408:
	s_or_b64 exec, exec, s[8:9]
.LBB736_409:
	s_or_b64 exec, exec, s[6:7]
.LBB736_410:
	s_or_b64 exec, exec, s[0:1]
	v_lshrrev_b16_e32 v22, 8, v14
	v_cmp_ne_u16_e32 vcc, 0, v22
	s_and_saveexec_b64 s[0:1], vcc
	s_cbranch_execz .LBB736_416
; %bb.411:
	s_movk_i32 s3, 0x80
	v_cmp_ne_u16_e32 vcc, s3, v22
	v_mov_b32_e32 v28, 0xffff8000
	s_and_saveexec_b64 s[6:7], vcc
	s_cbranch_execz .LBB736_415
; %bb.412:
	s_movk_i32 s3, 0x7f
	v_and_b32_e32 v23, 0x7f, v22
	v_cmp_ne_u32_e32 vcc, s3, v23
	v_mov_b32_e32 v28, 0x7f80
	s_and_saveexec_b64 s[8:9], vcc
	s_cbranch_execz .LBB736_414
; %bb.413:
	v_and_b32_e32 v24, 7, v22
	v_ffbh_u32_e32 v30, v24
	v_min_u32_e32 v32, 32, v30
	v_subrev_u32_e32 v30, 28, v32
	v_lshlrev_b64 v[30:31], v30, v[22:23]
	v_lshrrev_b32_e32 v28, 3, v23
	v_sub_u32_e32 v22, 29, v32
	v_and_b32_e32 v30, 7, v30
	v_cmp_gt_u32_e32 vcc, 8, v23
	v_cndmask_b32_e32 v22, v28, v22, vcc
	v_cndmask_b32_e32 v23, v24, v30, vcc
	v_lshlrev_b32_e32 v24, 16, v14
	v_bfrev_b32_e32 v28, 60
	v_lshlrev_b32_e32 v23, 20, v23
	v_and_b32_e32 v24, 0x80000000, v24
	v_lshl_add_u32 v22, v22, 23, v28
	v_or3_b32 v22, v24, v22, v23
	v_lshrrev_b32_e32 v28, 16, v22
.LBB736_414:
	s_or_b64 exec, exec, s[8:9]
.LBB736_415:
	s_or_b64 exec, exec, s[6:7]
.LBB736_416:
	s_or_b64 exec, exec, s[0:1]
	s_movk_i32 s0, 0xff
	v_and_b32_sdwa v24, v14, s0 dst_sel:DWORD dst_unused:UNUSED_PAD src0_sel:WORD_1 src1_sel:DWORD
	v_lshrrev_b32_e32 v22, 16, v14
	v_cmp_ne_u16_e32 vcc, 0, v24
	v_mov_b32_e32 v23, 0
	v_mov_b32_e32 v30, 0
	s_and_saveexec_b64 s[0:1], vcc
	s_cbranch_execz .LBB736_422
; %bb.417:
	s_movk_i32 s3, 0x80
	v_cmp_ne_u16_e32 vcc, s3, v24
	v_mov_b32_e32 v30, 0xffff8000
	s_and_saveexec_b64 s[6:7], vcc
	s_cbranch_execz .LBB736_421
; %bb.418:
	v_bfe_u32 v24, v14, 16, 7
	s_movk_i32 s3, 0x7f
	v_cmp_ne_u32_e32 vcc, s3, v24
	v_mov_b32_e32 v30, 0x7f80
	s_and_saveexec_b64 s[8:9], vcc
	s_cbranch_execz .LBB736_420
; %bb.419:
	v_and_b32_e32 v32, 7, v22
	v_ffbh_u32_e32 v30, v32
	v_min_u32_e32 v34, 32, v30
	v_subrev_u32_e32 v30, 28, v34
	v_lshlrev_b64 v[30:31], v30, v[22:23]
	v_and_b32_e32 v30, 7, v30
	v_cmp_gt_u32_e32 vcc, 8, v24
	v_lshrrev_b32_e32 v33, 3, v24
	v_sub_u32_e32 v22, 29, v34
	v_cndmask_b32_e32 v24, v32, v30, vcc
	v_mov_b32_e32 v30, 24
	v_cndmask_b32_e32 v22, v33, v22, vcc
	v_lshlrev_b32_sdwa v30, v30, v14 dst_sel:DWORD dst_unused:UNUSED_PAD src0_sel:DWORD src1_sel:WORD_1
	v_bfrev_b32_e32 v31, 60
	v_lshlrev_b32_e32 v24, 20, v24
	v_and_b32_e32 v30, 0x80000000, v30
	v_lshl_add_u32 v22, v22, 23, v31
	v_or3_b32 v22, v30, v22, v24
	v_lshrrev_b32_e32 v30, 16, v22
.LBB736_420:
	s_or_b64 exec, exec, s[8:9]
.LBB736_421:
	s_or_b64 exec, exec, s[6:7]
.LBB736_422:
	s_or_b64 exec, exec, s[0:1]
	s_mov_b32 s0, 0xffffff
	v_cmp_lt_u32_e32 vcc, s0, v14
	v_mov_b32_e32 v31, 0
	s_and_saveexec_b64 s[0:1], vcc
	s_cbranch_execz .LBB736_428
; %bb.423:
	v_lshrrev_b32_e32 v22, 24, v14
	s_movk_i32 s3, 0x80
	v_cmp_ne_u32_e32 vcc, s3, v22
	v_mov_b32_e32 v31, 0xffff8000
	s_and_saveexec_b64 s[6:7], vcc
	s_cbranch_execz .LBB736_427
; %bb.424:
	v_bfe_u32 v24, v14, 24, 7
	s_movk_i32 s3, 0x7f
	v_cmp_ne_u32_e32 vcc, s3, v24
	v_mov_b32_e32 v31, 0x7f80
	s_and_saveexec_b64 s[8:9], vcc
	s_cbranch_execz .LBB736_426
; %bb.425:
	v_and_b32_e32 v31, 7, v22
	v_ffbh_u32_e32 v32, v31
	v_min_u32_e32 v35, 32, v32
	v_subrev_u32_e32 v32, 28, v35
	v_lshlrev_b64 v[32:33], v32, v[22:23]
	v_lshrrev_b32_e32 v34, 3, v24
	v_sub_u32_e32 v33, 29, v35
	v_and_b32_e32 v32, 7, v32
	v_cmp_gt_u32_e32 vcc, 8, v24
	v_cndmask_b32_e32 v24, v34, v33, vcc
	v_cndmask_b32_e32 v31, v31, v32, vcc
	v_lshlrev_b32_e32 v22, 24, v22
	v_bfrev_b32_e32 v32, 60
	v_lshlrev_b32_e32 v31, 20, v31
	v_and_b32_e32 v22, 0x80000000, v22
	v_lshl_add_u32 v24, v24, 23, v32
	v_or3_b32 v22, v22, v24, v31
	v_lshrrev_b32_e32 v31, 16, v22
.LBB736_426:
	s_or_b64 exec, exec, s[8:9]
.LBB736_427:
	s_or_b64 exec, exec, s[6:7]
.LBB736_428:
	s_or_b64 exec, exec, s[0:1]
	v_mov_b32_e32 v32, 0
	v_mov_b32_e32 v22, v15
	v_cmp_ne_u16_sdwa s[6:7], v15, v32 src0_sel:BYTE_0 src1_sel:DWORD
	v_mov_b32_e32 v33, 0
	s_and_saveexec_b64 s[0:1], s[6:7]
	s_cbranch_execz .LBB736_434
; %bb.429:
	s_movk_i32 s3, 0x80
	v_cmp_ne_u16_sdwa s[8:9], v15, s3 src0_sel:BYTE_0 src1_sel:DWORD
	v_mov_b32_e32 v33, 0xffff8000
	s_and_saveexec_b64 s[6:7], s[8:9]
	s_cbranch_execz .LBB736_433
; %bb.430:
	s_movk_i32 s3, 0x7f
	v_and_b32_e32 v24, 0x7f, v15
	v_cmp_ne_u32_e32 vcc, s3, v24
	v_mov_b32_e32 v33, 0x7f80
	s_and_saveexec_b64 s[8:9], vcc
	s_cbranch_execz .LBB736_432
; %bb.431:
	v_and_b32_e32 v33, 7, v15
	v_ffbh_u32_e32 v33, v33
	v_min_u32_e32 v33, 32, v33
	v_lshrrev_b32_e32 v34, 3, v24
	v_subrev_u32_e32 v35, 28, v33
	v_sub_u32_e32 v33, 29, v33
	v_cmp_gt_u32_e32 vcc, 8, v24
	v_cndmask_b32_e32 v24, v34, v33, vcc
	v_cndmask_b32_e32 v33, 0, v35, vcc
	v_lshlrev_b64 v[34:35], v33, v[22:23]
	v_lshlrev_b32_e32 v23, 20, v34
	v_lshlrev_b32_e32 v33, 24, v22
	v_bfrev_b32_e32 v34, 60
	v_and_b32_e32 v23, 0x700000, v23
	v_and_b32_e32 v33, 0x80000000, v33
	v_lshl_add_u32 v24, v24, 23, v34
	v_or3_b32 v23, v33, v24, v23
	v_lshrrev_b32_e32 v33, 16, v23
.LBB736_432:
	s_or_b64 exec, exec, s[8:9]
.LBB736_433:
	s_or_b64 exec, exec, s[6:7]
.LBB736_434:
	s_or_b64 exec, exec, s[0:1]
	v_lshrrev_b16_e32 v24, 8, v22
	v_cmp_ne_u16_e32 vcc, 0, v24
	s_and_saveexec_b64 s[0:1], vcc
	s_cbranch_execz .LBB736_440
; %bb.435:
	s_movk_i32 s3, 0x80
	v_cmp_ne_u16_e32 vcc, s3, v24
	v_mov_b32_e32 v32, 0xffff8000
	s_and_saveexec_b64 s[6:7], vcc
	s_cbranch_execz .LBB736_439
; %bb.436:
	s_movk_i32 s3, 0x7f
	v_and_b32_e32 v23, 0x7f, v24
	v_cmp_ne_u32_e32 vcc, s3, v23
	v_mov_b32_e32 v32, 0x7f80
	s_and_saveexec_b64 s[8:9], vcc
	s_cbranch_execz .LBB736_438
; %bb.437:
	v_and_b32_e32 v32, 7, v24
	v_ffbh_u32_e32 v34, v32
	v_min_u32_e32 v37, 32, v34
	v_subrev_u32_e32 v34, 28, v37
	v_lshlrev_b64 v[34:35], v34, v[24:25]
	v_lshrrev_b32_e32 v36, 3, v23
	v_sub_u32_e32 v24, 29, v37
	v_and_b32_e32 v34, 7, v34
	v_cmp_gt_u32_e32 vcc, 8, v23
	v_cndmask_b32_e32 v23, v36, v24, vcc
	v_cndmask_b32_e32 v24, v32, v34, vcc
	v_lshlrev_b32_e32 v22, 16, v22
	v_bfrev_b32_e32 v32, 60
	v_lshlrev_b32_e32 v24, 20, v24
	v_and_b32_e32 v22, 0x80000000, v22
	v_lshl_add_u32 v23, v23, 23, v32
	v_or3_b32 v22, v22, v23, v24
	v_lshrrev_b32_e32 v32, 16, v22
.LBB736_438:
	s_or_b64 exec, exec, s[8:9]
.LBB736_439:
	s_or_b64 exec, exec, s[6:7]
.LBB736_440:
	s_or_b64 exec, exec, s[0:1]
	s_movk_i32 s0, 0xff
	v_and_b32_sdwa v34, v15, s0 dst_sel:DWORD dst_unused:UNUSED_PAD src0_sel:WORD_1 src1_sel:DWORD
	v_lshrrev_b32_e32 v22, 16, v15
	v_cmp_ne_u16_e32 vcc, 0, v34
	v_mov_b32_e32 v23, 0
	v_mov_b32_e32 v24, 0
	s_and_saveexec_b64 s[0:1], vcc
	s_cbranch_execz .LBB736_446
; %bb.441:
	s_movk_i32 s3, 0x80
	v_cmp_ne_u16_e32 vcc, s3, v34
	v_mov_b32_e32 v24, 0xffff8000
	s_and_saveexec_b64 s[6:7], vcc
	s_cbranch_execz .LBB736_445
; %bb.442:
	v_bfe_u32 v34, v15, 16, 7
	s_movk_i32 s3, 0x7f
	v_cmp_ne_u32_e32 vcc, s3, v34
	v_mov_b32_e32 v24, 0x7f80
	s_and_saveexec_b64 s[8:9], vcc
	s_cbranch_execz .LBB736_444
; %bb.443:
	v_and_b32_e32 v24, 7, v22
	v_ffbh_u32_e32 v36, v24
	v_min_u32_e32 v38, 32, v36
	v_subrev_u32_e32 v36, 28, v38
	v_lshlrev_b64 v[36:37], v36, v[22:23]
	v_lshrrev_b32_e32 v35, 3, v34
	v_sub_u32_e32 v22, 29, v38
	v_and_b32_e32 v36, 7, v36
	v_cmp_gt_u32_e32 vcc, 8, v34
	v_mov_b32_e32 v34, 24
	v_cndmask_b32_e32 v22, v35, v22, vcc
	v_cndmask_b32_e32 v24, v24, v36, vcc
	v_lshlrev_b32_sdwa v34, v34, v15 dst_sel:DWORD dst_unused:UNUSED_PAD src0_sel:DWORD src1_sel:WORD_1
	v_bfrev_b32_e32 v35, 60
	v_lshlrev_b32_e32 v24, 20, v24
	v_and_b32_e32 v34, 0x80000000, v34
	v_lshl_add_u32 v22, v22, 23, v35
	v_or3_b32 v22, v34, v22, v24
	v_lshrrev_b32_e32 v24, 16, v22
.LBB736_444:
	s_or_b64 exec, exec, s[8:9]
.LBB736_445:
	s_or_b64 exec, exec, s[6:7]
.LBB736_446:
	s_or_b64 exec, exec, s[0:1]
	s_mov_b32 s0, -1
	s_mov_b32 s1, 0xffffff
	v_cmp_lt_u64_e32 vcc, s[0:1], v[14:15]
	s_and_saveexec_b64 s[0:1], vcc
	s_cbranch_execz .LBB736_452
; %bb.447:
	v_lshrrev_b32_e32 v14, 24, v15
	s_movk_i32 s3, 0x80
	v_cmp_ne_u32_e32 vcc, s3, v14
	v_mov_b32_e32 v23, 0xffff8000
	s_and_saveexec_b64 s[6:7], vcc
	s_cbranch_execz .LBB736_451
; %bb.448:
	v_bfe_u32 v15, v15, 24, 7
	s_movk_i32 s3, 0x7f
	v_cmp_ne_u32_e32 vcc, s3, v15
	v_mov_b32_e32 v23, 0x7f80
	s_and_saveexec_b64 s[8:9], vcc
	s_cbranch_execz .LBB736_450
; %bb.449:
	v_and_b32_e32 v34, 7, v14
	v_ffbh_u32_e32 v22, v34
	v_min_u32_e32 v36, 32, v22
	v_subrev_u32_e32 v22, 28, v36
	v_lshlrev_b64 v[22:23], v22, v[14:15]
	v_lshrrev_b32_e32 v35, 3, v15
	v_sub_u32_e32 v23, 29, v36
	v_and_b32_e32 v22, 7, v22
	v_cmp_gt_u32_e32 vcc, 8, v15
	v_cndmask_b32_e32 v15, v35, v23, vcc
	v_cndmask_b32_e32 v22, v34, v22, vcc
	v_lshlrev_b32_e32 v14, 24, v14
	v_bfrev_b32_e32 v23, 60
	v_lshlrev_b32_e32 v22, 20, v22
	v_and_b32_e32 v14, 0x80000000, v14
	v_lshl_add_u32 v15, v15, 23, v23
	v_or3_b32 v14, v14, v15, v22
	v_lshrrev_b32_e32 v23, 16, v14
.LBB736_450:
	s_or_b64 exec, exec, s[8:9]
.LBB736_451:
	s_or_b64 exec, exec, s[6:7]
.LBB736_452:
	s_or_b64 exec, exec, s[0:1]
	v_add_f32_e32 v14, 0x358637bd, v27
	v_div_scale_f32 v15, s[0:1], v14, v14, 1.0
	v_rcp_f32_e32 v22, v15
	v_div_scale_f32 v27, vcc, 1.0, v14, 1.0
	v_sub_f32_e32 v25, v25, v26
	v_fma_f32 v34, -v15, v22, 1.0
	v_fmac_f32_e32 v22, v34, v22
	v_mul_f32_e32 v34, v27, v22
	v_fma_f32 v35, -v15, v34, v27
	v_mul_f32_e32 v25, 0x3fb8aa3b, v25
	v_fmac_f32_e32 v34, v35, v22
	v_exp_f32_e32 v25, v25
	v_fma_f32 v15, -v15, v34, v27
	v_div_fmas_f32 v15, v15, v22, v34
	v_div_fixup_f32 v14, v15, v14, 1.0
	v_mul_f32_e32 v14, v25, v14
	v_pk_mul_f32 v[20:21], v[20:21], v[14:15] op_sel_hi:[1,0]
	v_pk_mul_f32 v[14:15], v[18:19], v[14:15] op_sel_hi:[1,0]
	v_bfe_u32 v18, v15, 16, 1
	v_bfe_u32 v19, v14, 16, 1
	s_movk_i32 s0, 0x7fff
	v_add3_u32 v14, v14, v19, s0
	v_add3_u32 v15, v15, v18, s0
	s_mov_b32 s1, 0x7060302
	v_perm_b32 v14, v15, v14, s1
	v_bfe_u32 v15, v21, 16, 1
	v_bfe_u32 v18, v20, 16, 1
	v_add3_u32 v18, v20, v18, s0
	v_add3_u32 v15, v21, v15, s0
	v_perm_b32 v15, v15, v18, s1
	s_mov_b32 s0, 0x5040100
	v_perm_b32 v19, v31, v30, s0
	v_perm_b32 v18, v28, v29, s0
	;; [unrolled: 1-line block ×4, first 2 shown]
	v_mfma_f32_4x4x4bf16_1k a[0:3], v[14:15], v[18:19], 0 cbsz:4
	v_mov_b32_e32 v21, 0
	v_mfma_f32_4x4x4bf16_1k a[0:3], v[14:15], v[22:23], a[0:3] cbsz:4 abid:1
	v_mov_b32_e32 v22, 0
	v_cmp_ne_u16_sdwa s[6:7], v16, v22 src0_sel:BYTE_0 src1_sel:DWORD
	s_and_saveexec_b64 s[0:1], s[6:7]
	s_cbranch_execz .LBB736_458
; %bb.453:
	s_movk_i32 s3, 0x80
	v_cmp_ne_u16_sdwa s[8:9], v16, s3 src0_sel:BYTE_0 src1_sel:DWORD
	v_mov_b32_e32 v21, 0xffff8000
	s_and_saveexec_b64 s[6:7], s[8:9]
	s_cbranch_execz .LBB736_457
; %bb.454:
	s_movk_i32 s3, 0x7f
	v_and_b32_e32 v18, 0x7f, v16
	v_cmp_ne_u32_e32 vcc, s3, v18
	v_mov_b32_e32 v21, 0x7f80
	s_and_saveexec_b64 s[8:9], vcc
	s_cbranch_execz .LBB736_456
; %bb.455:
	v_and_b32_e32 v19, 7, v16
	v_ffbh_u32_e32 v19, v19
	v_min_u32_e32 v19, 32, v19
	v_subrev_u32_e32 v21, 28, v19
	v_cmp_gt_u32_e32 vcc, 8, v18
	v_lshrrev_b32_e32 v20, 3, v18
	v_sub_u32_e32 v19, 29, v19
	v_cndmask_b32_e32 v18, 0, v21, vcc
	v_cndmask_b32_e32 v20, v20, v19, vcc
	v_lshlrev_b64 v[18:19], v18, v[16:17]
	v_lshlrev_b32_e32 v18, 20, v18
	v_lshlrev_b32_e32 v19, 24, v16
	v_bfrev_b32_e32 v21, 60
	v_and_b32_e32 v18, 0x700000, v18
	v_and_b32_e32 v19, 0x80000000, v19
	v_lshl_add_u32 v20, v20, 23, v21
	v_or3_b32 v18, v19, v20, v18
	v_lshrrev_b32_e32 v21, 16, v18
.LBB736_456:
	s_or_b64 exec, exec, s[8:9]
.LBB736_457:
	s_or_b64 exec, exec, s[6:7]
.LBB736_458:
	s_or_b64 exec, exec, s[0:1]
	v_lshrrev_b16_e32 v18, 8, v16
	v_cmp_ne_u16_e32 vcc, 0, v18
	s_and_saveexec_b64 s[0:1], vcc
	s_cbranch_execz .LBB736_464
; %bb.459:
	s_movk_i32 s3, 0x80
	v_cmp_ne_u16_e32 vcc, s3, v18
	v_mov_b32_e32 v22, 0xffff8000
	s_and_saveexec_b64 s[6:7], vcc
	s_cbranch_execz .LBB736_463
; %bb.460:
	s_movk_i32 s3, 0x7f
	v_and_b32_e32 v19, 0x7f, v18
	v_cmp_ne_u32_e32 vcc, s3, v19
	v_mov_b32_e32 v22, 0x7f80
	s_and_saveexec_b64 s[8:9], vcc
	s_cbranch_execz .LBB736_462
; %bb.461:
	v_and_b32_e32 v20, 7, v18
	v_ffbh_u32_e32 v22, v20
	v_min_u32_e32 v25, 32, v22
	v_subrev_u32_e32 v22, 28, v25
	v_lshlrev_b64 v[22:23], v22, v[18:19]
	v_lshrrev_b32_e32 v24, 3, v19
	v_sub_u32_e32 v18, 29, v25
	v_and_b32_e32 v22, 7, v22
	v_cmp_gt_u32_e32 vcc, 8, v19
	v_cndmask_b32_e32 v18, v24, v18, vcc
	v_cndmask_b32_e32 v19, v20, v22, vcc
	v_lshlrev_b32_e32 v20, 16, v16
	v_bfrev_b32_e32 v22, 60
	v_lshlrev_b32_e32 v19, 20, v19
	v_and_b32_e32 v20, 0x80000000, v20
	v_lshl_add_u32 v18, v18, 23, v22
	v_or3_b32 v18, v20, v18, v19
	v_lshrrev_b32_e32 v22, 16, v18
.LBB736_462:
	s_or_b64 exec, exec, s[8:9]
.LBB736_463:
	s_or_b64 exec, exec, s[6:7]
.LBB736_464:
	s_or_b64 exec, exec, s[0:1]
	s_movk_i32 s0, 0xff
	v_and_b32_sdwa v20, v16, s0 dst_sel:DWORD dst_unused:UNUSED_PAD src0_sel:WORD_1 src1_sel:DWORD
	v_lshrrev_b32_e32 v18, 16, v16
	v_cmp_ne_u16_e32 vcc, 0, v20
	v_mov_b32_e32 v19, 0
	v_mov_b32_e32 v23, 0
	s_and_saveexec_b64 s[0:1], vcc
	s_cbranch_execz .LBB736_470
; %bb.465:
	s_movk_i32 s3, 0x80
	v_cmp_ne_u16_e32 vcc, s3, v20
	v_mov_b32_e32 v23, 0xffff8000
	s_and_saveexec_b64 s[6:7], vcc
	s_cbranch_execz .LBB736_469
; %bb.466:
	v_bfe_u32 v20, v16, 16, 7
	s_movk_i32 s3, 0x7f
	v_cmp_ne_u32_e32 vcc, s3, v20
	v_mov_b32_e32 v23, 0x7f80
	s_and_saveexec_b64 s[8:9], vcc
	s_cbranch_execz .LBB736_468
; %bb.467:
	v_and_b32_e32 v23, 7, v18
	v_ffbh_u32_e32 v24, v23
	v_min_u32_e32 v27, 32, v24
	v_subrev_u32_e32 v24, 28, v27
	v_lshlrev_b64 v[24:25], v24, v[18:19]
	v_and_b32_e32 v24, 7, v24
	v_cmp_gt_u32_e32 vcc, 8, v20
	v_lshrrev_b32_e32 v26, 3, v20
	v_sub_u32_e32 v18, 29, v27
	v_cndmask_b32_e32 v20, v23, v24, vcc
	v_mov_b32_e32 v23, 24
	v_cndmask_b32_e32 v18, v26, v18, vcc
	v_lshlrev_b32_sdwa v23, v23, v16 dst_sel:DWORD dst_unused:UNUSED_PAD src0_sel:DWORD src1_sel:WORD_1
	v_bfrev_b32_e32 v24, 60
	v_lshlrev_b32_e32 v20, 20, v20
	v_and_b32_e32 v23, 0x80000000, v23
	v_lshl_add_u32 v18, v18, 23, v24
	v_or3_b32 v18, v23, v18, v20
	v_lshrrev_b32_e32 v23, 16, v18
.LBB736_468:
	s_or_b64 exec, exec, s[8:9]
.LBB736_469:
	s_or_b64 exec, exec, s[6:7]
.LBB736_470:
	s_or_b64 exec, exec, s[0:1]
	s_mov_b32 s0, 0xffffff
	v_cmp_lt_u32_e32 vcc, s0, v16
	v_mov_b32_e32 v24, 0
	s_and_saveexec_b64 s[0:1], vcc
	s_cbranch_execz .LBB736_476
; %bb.471:
	v_lshrrev_b32_e32 v18, 24, v16
	s_movk_i32 s3, 0x80
	v_cmp_ne_u32_e32 vcc, s3, v18
	v_mov_b32_e32 v24, 0xffff8000
	s_and_saveexec_b64 s[6:7], vcc
	s_cbranch_execz .LBB736_475
; %bb.472:
	v_bfe_u32 v20, v16, 24, 7
	s_movk_i32 s3, 0x7f
	v_cmp_ne_u32_e32 vcc, s3, v20
	v_mov_b32_e32 v24, 0x7f80
	s_and_saveexec_b64 s[8:9], vcc
	s_cbranch_execz .LBB736_474
; %bb.473:
	v_and_b32_e32 v26, 7, v18
	v_ffbh_u32_e32 v24, v26
	v_min_u32_e32 v28, 32, v24
	v_subrev_u32_e32 v24, 28, v28
	v_lshlrev_b64 v[24:25], v24, v[18:19]
	v_lshrrev_b32_e32 v27, 3, v20
	v_sub_u32_e32 v25, 29, v28
	v_and_b32_e32 v24, 7, v24
	v_cmp_gt_u32_e32 vcc, 8, v20
	v_cndmask_b32_e32 v20, v27, v25, vcc
	v_cndmask_b32_e32 v24, v26, v24, vcc
	v_lshlrev_b32_e32 v18, 24, v18
	v_bfrev_b32_e32 v25, 60
	v_lshlrev_b32_e32 v24, 20, v24
	v_and_b32_e32 v18, 0x80000000, v18
	v_lshl_add_u32 v20, v20, 23, v25
	v_or3_b32 v18, v18, v20, v24
	v_lshrrev_b32_e32 v24, 16, v18
.LBB736_474:
	s_or_b64 exec, exec, s[8:9]
.LBB736_475:
	s_or_b64 exec, exec, s[6:7]
.LBB736_476:
	s_or_b64 exec, exec, s[0:1]
	v_mov_b32_e32 v25, 0
	v_mov_b32_e32 v18, v17
	v_cmp_ne_u16_sdwa s[6:7], v17, v25 src0_sel:BYTE_0 src1_sel:DWORD
	v_mov_b32_e32 v26, 0
	s_and_saveexec_b64 s[0:1], s[6:7]
	s_cbranch_execz .LBB736_482
; %bb.477:
	s_movk_i32 s3, 0x80
	v_cmp_ne_u16_sdwa s[8:9], v17, s3 src0_sel:BYTE_0 src1_sel:DWORD
	v_mov_b32_e32 v26, 0xffff8000
	s_and_saveexec_b64 s[6:7], s[8:9]
	s_cbranch_execz .LBB736_481
; %bb.478:
	s_movk_i32 s3, 0x7f
	v_and_b32_e32 v20, 0x7f, v17
	v_cmp_ne_u32_e32 vcc, s3, v20
	v_mov_b32_e32 v26, 0x7f80
	s_and_saveexec_b64 s[8:9], vcc
	s_cbranch_execz .LBB736_480
; %bb.479:
	v_and_b32_e32 v26, 7, v17
	v_ffbh_u32_e32 v26, v26
	v_min_u32_e32 v26, 32, v26
	v_lshrrev_b32_e32 v27, 3, v20
	v_subrev_u32_e32 v28, 28, v26
	v_sub_u32_e32 v26, 29, v26
	v_cmp_gt_u32_e32 vcc, 8, v20
	v_cndmask_b32_e32 v20, v27, v26, vcc
	v_cndmask_b32_e32 v26, 0, v28, vcc
	v_lshlrev_b64 v[26:27], v26, v[18:19]
	v_lshlrev_b32_e32 v19, 20, v26
	v_lshlrev_b32_e32 v26, 24, v18
	v_bfrev_b32_e32 v27, 60
	v_and_b32_e32 v19, 0x700000, v19
	v_and_b32_e32 v26, 0x80000000, v26
	v_lshl_add_u32 v20, v20, 23, v27
	v_or3_b32 v19, v26, v20, v19
	v_lshrrev_b32_e32 v26, 16, v19
.LBB736_480:
	s_or_b64 exec, exec, s[8:9]
.LBB736_481:
	s_or_b64 exec, exec, s[6:7]
.LBB736_482:
	s_or_b64 exec, exec, s[0:1]
	v_lshrrev_b16_e32 v20, 8, v18
	v_cmp_ne_u16_e32 vcc, 0, v20
	s_and_saveexec_b64 s[0:1], vcc
	s_cbranch_execz .LBB736_488
; %bb.483:
	s_movk_i32 s3, 0x80
	v_cmp_ne_u16_e32 vcc, s3, v20
	v_mov_b32_e32 v25, 0xffff8000
	s_and_saveexec_b64 s[6:7], vcc
	s_cbranch_execz .LBB736_487
; %bb.484:
	s_movk_i32 s3, 0x7f
	v_and_b32_e32 v19, 0x7f, v20
	v_cmp_ne_u32_e32 vcc, s3, v19
	v_mov_b32_e32 v25, 0x7f80
	s_and_saveexec_b64 s[8:9], vcc
	s_cbranch_execz .LBB736_486
; %bb.485:
	v_and_b32_e32 v25, 7, v20
	v_ffbh_u32_e32 v28, v25
	v_min_u32_e32 v30, 32, v28
	v_subrev_u32_e32 v28, 28, v30
	v_lshlrev_b64 v[28:29], v28, v[20:21]
	v_lshrrev_b32_e32 v27, 3, v19
	v_sub_u32_e32 v20, 29, v30
	v_and_b32_e32 v28, 7, v28
	v_cmp_gt_u32_e32 vcc, 8, v19
	v_cndmask_b32_e32 v19, v27, v20, vcc
	v_cndmask_b32_e32 v20, v25, v28, vcc
	v_lshlrev_b32_e32 v18, 16, v18
	v_bfrev_b32_e32 v25, 60
	v_lshlrev_b32_e32 v20, 20, v20
	v_and_b32_e32 v18, 0x80000000, v18
	v_lshl_add_u32 v19, v19, 23, v25
	v_or3_b32 v18, v18, v19, v20
	v_lshrrev_b32_e32 v25, 16, v18
.LBB736_486:
	s_or_b64 exec, exec, s[8:9]
.LBB736_487:
	s_or_b64 exec, exec, s[6:7]
.LBB736_488:
	s_or_b64 exec, exec, s[0:1]
	s_movk_i32 s0, 0xff
	v_and_b32_sdwa v27, v17, s0 dst_sel:DWORD dst_unused:UNUSED_PAD src0_sel:WORD_1 src1_sel:DWORD
	v_lshrrev_b32_e32 v18, 16, v17
	v_cmp_ne_u16_e32 vcc, 0, v27
	v_mov_b32_e32 v19, 0
	v_mov_b32_e32 v20, 0
	s_and_saveexec_b64 s[0:1], vcc
	s_cbranch_execz .LBB736_494
; %bb.489:
	s_movk_i32 s3, 0x80
	v_cmp_ne_u16_e32 vcc, s3, v27
	v_mov_b32_e32 v20, 0xffff8000
	s_and_saveexec_b64 s[6:7], vcc
	s_cbranch_execz .LBB736_493
; %bb.490:
	v_bfe_u32 v27, v17, 16, 7
	s_movk_i32 s3, 0x7f
	v_cmp_ne_u32_e32 vcc, s3, v27
	v_mov_b32_e32 v20, 0x7f80
	s_and_saveexec_b64 s[8:9], vcc
	s_cbranch_execz .LBB736_492
; %bb.491:
	v_and_b32_e32 v20, 7, v18
	v_ffbh_u32_e32 v28, v20
	v_min_u32_e32 v31, 32, v28
	v_subrev_u32_e32 v28, 28, v31
	v_lshlrev_b64 v[28:29], v28, v[18:19]
	v_lshrrev_b32_e32 v30, 3, v27
	v_sub_u32_e32 v18, 29, v31
	v_and_b32_e32 v28, 7, v28
	v_cmp_gt_u32_e32 vcc, 8, v27
	v_mov_b32_e32 v27, 24
	v_cndmask_b32_e32 v18, v30, v18, vcc
	v_cndmask_b32_e32 v20, v20, v28, vcc
	v_lshlrev_b32_sdwa v27, v27, v17 dst_sel:DWORD dst_unused:UNUSED_PAD src0_sel:DWORD src1_sel:WORD_1
	v_bfrev_b32_e32 v28, 60
	v_lshlrev_b32_e32 v20, 20, v20
	v_and_b32_e32 v27, 0x80000000, v27
	v_lshl_add_u32 v18, v18, 23, v28
	v_or3_b32 v18, v27, v18, v20
	v_lshrrev_b32_e32 v20, 16, v18
.LBB736_492:
	s_or_b64 exec, exec, s[8:9]
.LBB736_493:
	s_or_b64 exec, exec, s[6:7]
.LBB736_494:
	s_or_b64 exec, exec, s[0:1]
	s_mov_b32 s0, -1
	s_mov_b32 s1, 0xffffff
	v_cmp_lt_u64_e32 vcc, s[0:1], v[16:17]
	s_and_saveexec_b64 s[0:1], vcc
	s_cbranch_execz .LBB736_500
; %bb.495:
	v_lshrrev_b32_e32 v16, 24, v17
	s_movk_i32 s3, 0x80
	v_cmp_ne_u32_e32 vcc, s3, v16
	v_mov_b32_e32 v19, 0xffff8000
	s_and_saveexec_b64 s[6:7], vcc
	s_cbranch_execz .LBB736_499
; %bb.496:
	v_bfe_u32 v17, v17, 24, 7
	s_movk_i32 s3, 0x7f
	v_cmp_ne_u32_e32 vcc, s3, v17
	v_mov_b32_e32 v19, 0x7f80
	s_and_saveexec_b64 s[8:9], vcc
	s_cbranch_execz .LBB736_498
; %bb.497:
	v_and_b32_e32 v27, 7, v16
	v_ffbh_u32_e32 v18, v27
	v_min_u32_e32 v29, 32, v18
	v_subrev_u32_e32 v18, 28, v29
	v_lshlrev_b64 v[18:19], v18, v[16:17]
	v_lshrrev_b32_e32 v28, 3, v17
	v_sub_u32_e32 v19, 29, v29
	v_and_b32_e32 v18, 7, v18
	v_cmp_gt_u32_e32 vcc, 8, v17
	v_cndmask_b32_e32 v17, v28, v19, vcc
	v_cndmask_b32_e32 v18, v27, v18, vcc
	v_lshlrev_b32_e32 v16, 24, v16
	v_bfrev_b32_e32 v19, 60
	v_lshlrev_b32_e32 v18, 20, v18
	v_and_b32_e32 v16, 0x80000000, v16
	v_lshl_add_u32 v17, v17, 23, v19
	v_or3_b32 v16, v16, v17, v18
	v_lshrrev_b32_e32 v19, 16, v16
.LBB736_498:
	s_or_b64 exec, exec, s[8:9]
.LBB736_499:
	s_or_b64 exec, exec, s[6:7]
.LBB736_500:
	s_or_b64 exec, exec, s[0:1]
	s_mov_b32 s0, 0x5040100
	v_perm_b32 v17, v24, v23, s0
	v_perm_b32 v16, v22, v21, s0
	;; [unrolled: 1-line block ×4, first 2 shown]
	v_mfma_f32_4x4x4bf16_1k a[0:3], v[14:15], v[16:17], a[0:3] cbsz:4 abid:2
	v_mov_b32_e32 v20, 0
	v_mfma_f32_4x4x4bf16_1k a[0:3], v[14:15], v[18:19], a[0:3] cbsz:4 abid:3
	v_mov_b32_e32 v19, 0
	v_cmp_ne_u16_sdwa s[6:7], v10, v19 src0_sel:BYTE_0 src1_sel:DWORD
	s_and_saveexec_b64 s[0:1], s[6:7]
	s_cbranch_execz .LBB736_506
; %bb.501:
	s_movk_i32 s3, 0x80
	v_cmp_ne_u16_sdwa s[8:9], v10, s3 src0_sel:BYTE_0 src1_sel:DWORD
	v_mov_b32_e32 v20, 0xffff8000
	s_and_saveexec_b64 s[6:7], s[8:9]
	s_cbranch_execz .LBB736_505
; %bb.502:
	s_movk_i32 s3, 0x7f
	v_and_b32_e32 v16, 0x7f, v10
	v_cmp_ne_u32_e32 vcc, s3, v16
	v_mov_b32_e32 v20, 0x7f80
	s_and_saveexec_b64 s[8:9], vcc
	s_cbranch_execz .LBB736_504
; %bb.503:
	v_and_b32_e32 v17, 7, v10
	v_ffbh_u32_e32 v17, v17
	v_min_u32_e32 v17, 32, v17
	v_subrev_u32_e32 v20, 28, v17
	v_cmp_gt_u32_e32 vcc, 8, v16
	v_lshrrev_b32_e32 v18, 3, v16
	v_sub_u32_e32 v17, 29, v17
	v_cndmask_b32_e32 v16, 0, v20, vcc
	v_cndmask_b32_e32 v18, v18, v17, vcc
	v_lshlrev_b64 v[16:17], v16, v[10:11]
	v_lshlrev_b32_e32 v16, 20, v16
	v_lshlrev_b32_e32 v17, 24, v10
	v_bfrev_b32_e32 v20, 60
	v_and_b32_e32 v16, 0x700000, v16
	v_and_b32_e32 v17, 0x80000000, v17
	v_lshl_add_u32 v18, v18, 23, v20
	v_or3_b32 v16, v17, v18, v16
	v_lshrrev_b32_e32 v20, 16, v16
.LBB736_504:
	s_or_b64 exec, exec, s[8:9]
.LBB736_505:
	s_or_b64 exec, exec, s[6:7]
.LBB736_506:
	s_or_b64 exec, exec, s[0:1]
	v_lshrrev_b16_e32 v16, 8, v10
	v_cmp_ne_u16_e32 vcc, 0, v16
	s_and_saveexec_b64 s[0:1], vcc
	s_cbranch_execz .LBB736_512
; %bb.507:
	s_movk_i32 s3, 0x80
	v_cmp_ne_u16_e32 vcc, s3, v16
	v_mov_b32_e32 v19, 0xffff8000
	s_and_saveexec_b64 s[6:7], vcc
	s_cbranch_execz .LBB736_511
; %bb.508:
	s_movk_i32 s3, 0x7f
	v_and_b32_e32 v17, 0x7f, v16
	v_cmp_ne_u32_e32 vcc, s3, v17
	v_mov_b32_e32 v19, 0x7f80
	s_and_saveexec_b64 s[8:9], vcc
	s_cbranch_execz .LBB736_510
; %bb.509:
	v_and_b32_e32 v21, 7, v16
	v_ffbh_u32_e32 v18, v21
	v_min_u32_e32 v23, 32, v18
	v_subrev_u32_e32 v18, 28, v23
	v_lshlrev_b64 v[18:19], v18, v[16:17]
	v_lshrrev_b32_e32 v22, 3, v17
	v_sub_u32_e32 v16, 29, v23
	v_and_b32_e32 v18, 7, v18
	v_cmp_gt_u32_e32 vcc, 8, v17
	v_cndmask_b32_e32 v16, v22, v16, vcc
	v_cndmask_b32_e32 v17, v21, v18, vcc
	v_lshlrev_b32_e32 v18, 16, v10
	v_bfrev_b32_e32 v19, 60
	v_lshlrev_b32_e32 v17, 20, v17
	v_and_b32_e32 v18, 0x80000000, v18
	v_lshl_add_u32 v16, v16, 23, v19
	v_or3_b32 v16, v18, v16, v17
	v_lshrrev_b32_e32 v19, 16, v16
.LBB736_510:
	s_or_b64 exec, exec, s[8:9]
.LBB736_511:
	s_or_b64 exec, exec, s[6:7]
.LBB736_512:
	s_or_b64 exec, exec, s[0:1]
	s_movk_i32 s0, 0xff
	v_and_b32_sdwa v18, v10, s0 dst_sel:DWORD dst_unused:UNUSED_PAD src0_sel:WORD_1 src1_sel:DWORD
	v_lshrrev_b32_e32 v16, 16, v10
	v_cmp_ne_u16_e32 vcc, 0, v18
	v_mov_b32_e32 v17, 0
	v_mov_b32_e32 v21, 0
	s_and_saveexec_b64 s[0:1], vcc
	s_cbranch_execz .LBB736_518
; %bb.513:
	s_movk_i32 s3, 0x80
	v_cmp_ne_u16_e32 vcc, s3, v18
	v_mov_b32_e32 v21, 0xffff8000
	s_and_saveexec_b64 s[6:7], vcc
	s_cbranch_execz .LBB736_517
; %bb.514:
	v_bfe_u32 v18, v10, 16, 7
	s_movk_i32 s3, 0x7f
	v_cmp_ne_u32_e32 vcc, s3, v18
	v_mov_b32_e32 v21, 0x7f80
	s_and_saveexec_b64 s[8:9], vcc
	s_cbranch_execz .LBB736_516
; %bb.515:
	v_and_b32_e32 v21, 7, v16
	v_ffbh_u32_e32 v22, v21
	v_min_u32_e32 v25, 32, v22
	v_subrev_u32_e32 v22, 28, v25
	v_lshlrev_b64 v[22:23], v22, v[16:17]
	v_and_b32_e32 v22, 7, v22
	v_cmp_gt_u32_e32 vcc, 8, v18
	v_lshrrev_b32_e32 v24, 3, v18
	v_sub_u32_e32 v16, 29, v25
	v_cndmask_b32_e32 v18, v21, v22, vcc
	v_mov_b32_e32 v21, 24
	v_cndmask_b32_e32 v16, v24, v16, vcc
	v_lshlrev_b32_sdwa v21, v21, v10 dst_sel:DWORD dst_unused:UNUSED_PAD src0_sel:DWORD src1_sel:WORD_1
	v_bfrev_b32_e32 v22, 60
	v_lshlrev_b32_e32 v18, 20, v18
	v_and_b32_e32 v21, 0x80000000, v21
	v_lshl_add_u32 v16, v16, 23, v22
	v_or3_b32 v16, v21, v16, v18
	v_lshrrev_b32_e32 v21, 16, v16
.LBB736_516:
	s_or_b64 exec, exec, s[8:9]
.LBB736_517:
	s_or_b64 exec, exec, s[6:7]
.LBB736_518:
	s_or_b64 exec, exec, s[0:1]
	s_mov_b32 s0, 0xffffff
	v_cmp_lt_u32_e32 vcc, s0, v10
	v_mov_b32_e32 v22, 0
	s_and_saveexec_b64 s[0:1], vcc
	s_cbranch_execz .LBB736_524
; %bb.519:
	v_lshrrev_b32_e32 v16, 24, v10
	s_movk_i32 s3, 0x80
	v_cmp_ne_u32_e32 vcc, s3, v16
	v_mov_b32_e32 v22, 0xffff8000
	s_and_saveexec_b64 s[6:7], vcc
	s_cbranch_execz .LBB736_523
; %bb.520:
	v_bfe_u32 v18, v10, 24, 7
	s_movk_i32 s3, 0x7f
	v_cmp_ne_u32_e32 vcc, s3, v18
	v_mov_b32_e32 v22, 0x7f80
	s_and_saveexec_b64 s[8:9], vcc
	s_cbranch_execz .LBB736_522
; %bb.521:
	v_and_b32_e32 v24, 7, v16
	v_ffbh_u32_e32 v22, v24
	v_min_u32_e32 v26, 32, v22
	v_subrev_u32_e32 v22, 28, v26
	v_lshlrev_b64 v[22:23], v22, v[16:17]
	v_lshrrev_b32_e32 v25, 3, v18
	v_sub_u32_e32 v23, 29, v26
	v_and_b32_e32 v22, 7, v22
	v_cmp_gt_u32_e32 vcc, 8, v18
	v_cndmask_b32_e32 v18, v25, v23, vcc
	v_cndmask_b32_e32 v22, v24, v22, vcc
	v_lshlrev_b32_e32 v16, 24, v16
	v_bfrev_b32_e32 v23, 60
	v_lshlrev_b32_e32 v22, 20, v22
	v_and_b32_e32 v16, 0x80000000, v16
	v_lshl_add_u32 v18, v18, 23, v23
	v_or3_b32 v16, v16, v18, v22
	v_lshrrev_b32_e32 v22, 16, v16
.LBB736_522:
	s_or_b64 exec, exec, s[8:9]
.LBB736_523:
	s_or_b64 exec, exec, s[6:7]
.LBB736_524:
	s_or_b64 exec, exec, s[0:1]
	v_mov_b32_e32 v23, 0
	v_mov_b32_e32 v16, v11
	v_cmp_ne_u16_sdwa s[6:7], v11, v23 src0_sel:BYTE_0 src1_sel:DWORD
	v_mov_b32_e32 v24, 0
	s_and_saveexec_b64 s[0:1], s[6:7]
	s_cbranch_execz .LBB736_530
; %bb.525:
	s_movk_i32 s3, 0x80
	v_cmp_ne_u16_sdwa s[8:9], v11, s3 src0_sel:BYTE_0 src1_sel:DWORD
	v_mov_b32_e32 v24, 0xffff8000
	s_and_saveexec_b64 s[6:7], s[8:9]
	s_cbranch_execz .LBB736_529
; %bb.526:
	s_movk_i32 s3, 0x7f
	v_and_b32_e32 v18, 0x7f, v11
	v_cmp_ne_u32_e32 vcc, s3, v18
	v_mov_b32_e32 v24, 0x7f80
	s_and_saveexec_b64 s[8:9], vcc
	s_cbranch_execz .LBB736_528
; %bb.527:
	v_and_b32_e32 v24, 7, v11
	v_ffbh_u32_e32 v24, v24
	v_min_u32_e32 v24, 32, v24
	v_lshrrev_b32_e32 v25, 3, v18
	v_subrev_u32_e32 v26, 28, v24
	v_sub_u32_e32 v24, 29, v24
	v_cmp_gt_u32_e32 vcc, 8, v18
	v_cndmask_b32_e32 v18, v25, v24, vcc
	v_cndmask_b32_e32 v24, 0, v26, vcc
	v_lshlrev_b64 v[24:25], v24, v[16:17]
	v_lshlrev_b32_e32 v17, 20, v24
	v_lshlrev_b32_e32 v24, 24, v16
	v_bfrev_b32_e32 v25, 60
	v_and_b32_e32 v17, 0x700000, v17
	v_and_b32_e32 v24, 0x80000000, v24
	v_lshl_add_u32 v18, v18, 23, v25
	v_or3_b32 v17, v24, v18, v17
	v_lshrrev_b32_e32 v24, 16, v17
.LBB736_528:
	s_or_b64 exec, exec, s[8:9]
.LBB736_529:
	s_or_b64 exec, exec, s[6:7]
.LBB736_530:
	s_or_b64 exec, exec, s[0:1]
	v_lshrrev_b16_e32 v18, 8, v16
	v_cmp_ne_u16_e32 vcc, 0, v18
	s_and_saveexec_b64 s[0:1], vcc
	s_cbranch_execz .LBB736_536
; %bb.531:
	s_movk_i32 s3, 0x80
	v_cmp_ne_u16_e32 vcc, s3, v18
	v_mov_b32_e32 v23, 0xffff8000
	s_and_saveexec_b64 s[6:7], vcc
	s_cbranch_execz .LBB736_535
; %bb.532:
	s_movk_i32 s3, 0x7f
	v_and_b32_e32 v17, 0x7f, v18
	v_cmp_ne_u32_e32 vcc, s3, v17
	v_mov_b32_e32 v23, 0x7f80
	s_and_saveexec_b64 s[8:9], vcc
	s_cbranch_execz .LBB736_534
; %bb.533:
	v_and_b32_e32 v23, 7, v18
	v_ffbh_u32_e32 v26, v23
	v_min_u32_e32 v28, 32, v26
	v_subrev_u32_e32 v26, 28, v28
	v_lshlrev_b64 v[26:27], v26, v[18:19]
	v_lshrrev_b32_e32 v25, 3, v17
	v_sub_u32_e32 v18, 29, v28
	v_and_b32_e32 v26, 7, v26
	v_cmp_gt_u32_e32 vcc, 8, v17
	v_cndmask_b32_e32 v17, v25, v18, vcc
	v_cndmask_b32_e32 v18, v23, v26, vcc
	v_lshlrev_b32_e32 v16, 16, v16
	v_bfrev_b32_e32 v23, 60
	v_lshlrev_b32_e32 v18, 20, v18
	v_and_b32_e32 v16, 0x80000000, v16
	v_lshl_add_u32 v17, v17, 23, v23
	v_or3_b32 v16, v16, v17, v18
	v_lshrrev_b32_e32 v23, 16, v16
.LBB736_534:
	s_or_b64 exec, exec, s[8:9]
.LBB736_535:
	s_or_b64 exec, exec, s[6:7]
.LBB736_536:
	s_or_b64 exec, exec, s[0:1]
	s_movk_i32 s0, 0xff
	v_and_b32_sdwa v25, v11, s0 dst_sel:DWORD dst_unused:UNUSED_PAD src0_sel:WORD_1 src1_sel:DWORD
	v_lshrrev_b32_e32 v16, 16, v11
	v_cmp_ne_u16_e32 vcc, 0, v25
	v_mov_b32_e32 v17, 0
	v_mov_b32_e32 v18, 0
	s_and_saveexec_b64 s[0:1], vcc
	s_cbranch_execz .LBB736_542
; %bb.537:
	s_movk_i32 s3, 0x80
	v_cmp_ne_u16_e32 vcc, s3, v25
	v_mov_b32_e32 v18, 0xffff8000
	s_and_saveexec_b64 s[6:7], vcc
	s_cbranch_execz .LBB736_541
; %bb.538:
	v_bfe_u32 v25, v11, 16, 7
	s_movk_i32 s3, 0x7f
	v_cmp_ne_u32_e32 vcc, s3, v25
	v_mov_b32_e32 v18, 0x7f80
	s_and_saveexec_b64 s[8:9], vcc
	s_cbranch_execz .LBB736_540
; %bb.539:
	v_and_b32_e32 v18, 7, v16
	v_ffbh_u32_e32 v26, v18
	v_min_u32_e32 v29, 32, v26
	v_subrev_u32_e32 v26, 28, v29
	v_lshlrev_b64 v[26:27], v26, v[16:17]
	v_lshrrev_b32_e32 v28, 3, v25
	v_sub_u32_e32 v16, 29, v29
	v_and_b32_e32 v26, 7, v26
	v_cmp_gt_u32_e32 vcc, 8, v25
	v_mov_b32_e32 v25, 24
	v_cndmask_b32_e32 v16, v28, v16, vcc
	v_cndmask_b32_e32 v18, v18, v26, vcc
	v_lshlrev_b32_sdwa v25, v25, v11 dst_sel:DWORD dst_unused:UNUSED_PAD src0_sel:DWORD src1_sel:WORD_1
	v_bfrev_b32_e32 v26, 60
	v_lshlrev_b32_e32 v18, 20, v18
	v_and_b32_e32 v25, 0x80000000, v25
	v_lshl_add_u32 v16, v16, 23, v26
	v_or3_b32 v16, v25, v16, v18
	v_lshrrev_b32_e32 v18, 16, v16
.LBB736_540:
	s_or_b64 exec, exec, s[8:9]
.LBB736_541:
	s_or_b64 exec, exec, s[6:7]
.LBB736_542:
	s_or_b64 exec, exec, s[0:1]
	s_mov_b32 s0, -1
	s_mov_b32 s1, 0xffffff
	v_cmp_lt_u64_e32 vcc, s[0:1], v[10:11]
	s_and_saveexec_b64 s[0:1], vcc
	s_cbranch_execz .LBB736_548
; %bb.543:
	v_lshrrev_b32_e32 v10, 24, v11
	s_movk_i32 s3, 0x80
	v_cmp_ne_u32_e32 vcc, s3, v10
	v_mov_b32_e32 v17, 0xffff8000
	s_and_saveexec_b64 s[6:7], vcc
	s_cbranch_execz .LBB736_547
; %bb.544:
	v_bfe_u32 v11, v11, 24, 7
	s_movk_i32 s3, 0x7f
	v_cmp_ne_u32_e32 vcc, s3, v11
	v_mov_b32_e32 v17, 0x7f80
	s_and_saveexec_b64 s[8:9], vcc
	s_cbranch_execz .LBB736_546
; %bb.545:
	v_and_b32_e32 v25, 7, v10
	v_ffbh_u32_e32 v16, v25
	v_min_u32_e32 v27, 32, v16
	v_subrev_u32_e32 v16, 28, v27
	v_lshlrev_b64 v[16:17], v16, v[10:11]
	v_lshrrev_b32_e32 v26, 3, v11
	v_sub_u32_e32 v17, 29, v27
	v_and_b32_e32 v16, 7, v16
	v_cmp_gt_u32_e32 vcc, 8, v11
	v_cndmask_b32_e32 v11, v26, v17, vcc
	v_cndmask_b32_e32 v16, v25, v16, vcc
	v_lshlrev_b32_e32 v10, 24, v10
	v_bfrev_b32_e32 v17, 60
	v_lshlrev_b32_e32 v16, 20, v16
	v_and_b32_e32 v10, 0x80000000, v10
	v_lshl_add_u32 v11, v11, 23, v17
	v_or3_b32 v10, v10, v11, v16
	v_lshrrev_b32_e32 v17, 16, v10
.LBB736_546:
	s_or_b64 exec, exec, s[8:9]
.LBB736_547:
	s_or_b64 exec, exec, s[6:7]
.LBB736_548:
	s_or_b64 exec, exec, s[0:1]
	s_mov_b32 s0, 0x5040100
	v_perm_b32 v11, v22, v21, s0
	v_perm_b32 v10, v19, v20, s0
	;; [unrolled: 1-line block ×4, first 2 shown]
	v_mfma_f32_4x4x4bf16_1k a[0:3], v[14:15], v[10:11], a[0:3] cbsz:4 abid:4
	v_mov_b32_e32 v18, 0
	v_mfma_f32_4x4x4bf16_1k a[0:3], v[14:15], v[16:17], a[0:3] cbsz:4 abid:5
	v_mov_b32_e32 v17, 0
	v_cmp_ne_u16_sdwa s[6:7], v12, v17 src0_sel:BYTE_0 src1_sel:DWORD
	s_and_saveexec_b64 s[0:1], s[6:7]
	s_cbranch_execz .LBB736_554
; %bb.549:
	s_movk_i32 s3, 0x80
	v_cmp_ne_u16_sdwa s[8:9], v12, s3 src0_sel:BYTE_0 src1_sel:DWORD
	v_mov_b32_e32 v18, 0xffff8000
	s_and_saveexec_b64 s[6:7], s[8:9]
	s_cbranch_execz .LBB736_553
; %bb.550:
	s_movk_i32 s3, 0x7f
	v_and_b32_e32 v10, 0x7f, v12
	v_cmp_ne_u32_e32 vcc, s3, v10
	v_mov_b32_e32 v18, 0x7f80
	s_and_saveexec_b64 s[8:9], vcc
	s_cbranch_execz .LBB736_552
; %bb.551:
	v_and_b32_e32 v11, 7, v12
	v_ffbh_u32_e32 v11, v11
	v_min_u32_e32 v11, 32, v11
	v_subrev_u32_e32 v18, 28, v11
	v_cmp_gt_u32_e32 vcc, 8, v10
	v_lshrrev_b32_e32 v16, 3, v10
	v_sub_u32_e32 v11, 29, v11
	v_cndmask_b32_e32 v10, 0, v18, vcc
	v_cndmask_b32_e32 v16, v16, v11, vcc
	v_lshlrev_b64 v[10:11], v10, v[12:13]
	v_lshlrev_b32_e32 v10, 20, v10
	v_lshlrev_b32_e32 v11, 24, v12
	v_bfrev_b32_e32 v18, 60
	v_and_b32_e32 v10, 0x700000, v10
	v_and_b32_e32 v11, 0x80000000, v11
	v_lshl_add_u32 v16, v16, 23, v18
	v_or3_b32 v10, v11, v16, v10
	v_lshrrev_b32_e32 v18, 16, v10
.LBB736_552:
	s_or_b64 exec, exec, s[8:9]
.LBB736_553:
	s_or_b64 exec, exec, s[6:7]
.LBB736_554:
	s_or_b64 exec, exec, s[0:1]
	v_lshrrev_b16_e32 v10, 8, v12
	v_cmp_ne_u16_e32 vcc, 0, v10
	s_and_saveexec_b64 s[0:1], vcc
	s_cbranch_execz .LBB736_560
; %bb.555:
	s_movk_i32 s3, 0x80
	v_cmp_ne_u16_e32 vcc, s3, v10
	v_mov_b32_e32 v17, 0xffff8000
	s_and_saveexec_b64 s[6:7], vcc
	s_cbranch_execz .LBB736_559
; %bb.556:
	s_movk_i32 s3, 0x7f
	v_and_b32_e32 v11, 0x7f, v10
	v_cmp_ne_u32_e32 vcc, s3, v11
	v_mov_b32_e32 v17, 0x7f80
	s_and_saveexec_b64 s[8:9], vcc
	s_cbranch_execz .LBB736_558
; %bb.557:
	v_and_b32_e32 v19, 7, v10
	v_ffbh_u32_e32 v16, v19
	v_min_u32_e32 v21, 32, v16
	v_subrev_u32_e32 v16, 28, v21
	v_lshlrev_b64 v[16:17], v16, v[10:11]
	v_lshrrev_b32_e32 v20, 3, v11
	v_sub_u32_e32 v10, 29, v21
	v_and_b32_e32 v16, 7, v16
	v_cmp_gt_u32_e32 vcc, 8, v11
	v_cndmask_b32_e32 v10, v20, v10, vcc
	v_cndmask_b32_e32 v11, v19, v16, vcc
	v_lshlrev_b32_e32 v16, 16, v12
	v_bfrev_b32_e32 v17, 60
	v_lshlrev_b32_e32 v11, 20, v11
	v_and_b32_e32 v16, 0x80000000, v16
	v_lshl_add_u32 v10, v10, 23, v17
	v_or3_b32 v10, v16, v10, v11
	v_lshrrev_b32_e32 v17, 16, v10
.LBB736_558:
	s_or_b64 exec, exec, s[8:9]
.LBB736_559:
	s_or_b64 exec, exec, s[6:7]
.LBB736_560:
	s_or_b64 exec, exec, s[0:1]
	s_movk_i32 s0, 0xff
	v_and_b32_sdwa v16, v12, s0 dst_sel:DWORD dst_unused:UNUSED_PAD src0_sel:WORD_1 src1_sel:DWORD
	v_lshrrev_b32_e32 v10, 16, v12
	v_cmp_ne_u16_e32 vcc, 0, v16
	v_mov_b32_e32 v11, 0
	v_mov_b32_e32 v19, 0
	s_and_saveexec_b64 s[0:1], vcc
	s_cbranch_execz .LBB736_566
; %bb.561:
	s_movk_i32 s3, 0x80
	v_cmp_ne_u16_e32 vcc, s3, v16
	v_mov_b32_e32 v19, 0xffff8000
	s_and_saveexec_b64 s[6:7], vcc
	s_cbranch_execz .LBB736_565
; %bb.562:
	v_bfe_u32 v16, v12, 16, 7
	s_movk_i32 s3, 0x7f
	v_cmp_ne_u32_e32 vcc, s3, v16
	v_mov_b32_e32 v19, 0x7f80
	s_and_saveexec_b64 s[8:9], vcc
	s_cbranch_execz .LBB736_564
; %bb.563:
	v_and_b32_e32 v19, 7, v10
	v_ffbh_u32_e32 v20, v19
	v_min_u32_e32 v23, 32, v20
	v_subrev_u32_e32 v20, 28, v23
	v_lshlrev_b64 v[20:21], v20, v[10:11]
	v_and_b32_e32 v20, 7, v20
	v_cmp_gt_u32_e32 vcc, 8, v16
	v_lshrrev_b32_e32 v22, 3, v16
	v_sub_u32_e32 v10, 29, v23
	v_cndmask_b32_e32 v16, v19, v20, vcc
	v_mov_b32_e32 v19, 24
	v_cndmask_b32_e32 v10, v22, v10, vcc
	v_lshlrev_b32_sdwa v19, v19, v12 dst_sel:DWORD dst_unused:UNUSED_PAD src0_sel:DWORD src1_sel:WORD_1
	v_bfrev_b32_e32 v20, 60
	v_lshlrev_b32_e32 v16, 20, v16
	v_and_b32_e32 v19, 0x80000000, v19
	v_lshl_add_u32 v10, v10, 23, v20
	v_or3_b32 v10, v19, v10, v16
	v_lshrrev_b32_e32 v19, 16, v10
.LBB736_564:
	s_or_b64 exec, exec, s[8:9]
.LBB736_565:
	s_or_b64 exec, exec, s[6:7]
.LBB736_566:
	s_or_b64 exec, exec, s[0:1]
	s_mov_b32 s0, 0xffffff
	v_cmp_lt_u32_e32 vcc, s0, v12
	v_mov_b32_e32 v20, 0
	s_and_saveexec_b64 s[0:1], vcc
	s_cbranch_execz .LBB736_572
; %bb.567:
	v_lshrrev_b32_e32 v10, 24, v12
	s_movk_i32 s3, 0x80
	v_cmp_ne_u32_e32 vcc, s3, v10
	v_mov_b32_e32 v20, 0xffff8000
	s_and_saveexec_b64 s[6:7], vcc
	s_cbranch_execz .LBB736_571
; %bb.568:
	v_bfe_u32 v16, v12, 24, 7
	s_movk_i32 s3, 0x7f
	v_cmp_ne_u32_e32 vcc, s3, v16
	v_mov_b32_e32 v20, 0x7f80
	s_and_saveexec_b64 s[8:9], vcc
	s_cbranch_execz .LBB736_570
; %bb.569:
	v_and_b32_e32 v22, 7, v10
	v_ffbh_u32_e32 v20, v22
	v_min_u32_e32 v24, 32, v20
	v_subrev_u32_e32 v20, 28, v24
	v_lshlrev_b64 v[20:21], v20, v[10:11]
	v_lshrrev_b32_e32 v23, 3, v16
	v_sub_u32_e32 v21, 29, v24
	v_and_b32_e32 v20, 7, v20
	v_cmp_gt_u32_e32 vcc, 8, v16
	v_cndmask_b32_e32 v16, v23, v21, vcc
	v_cndmask_b32_e32 v20, v22, v20, vcc
	v_lshlrev_b32_e32 v10, 24, v10
	v_bfrev_b32_e32 v21, 60
	v_lshlrev_b32_e32 v20, 20, v20
	v_and_b32_e32 v10, 0x80000000, v10
	v_lshl_add_u32 v16, v16, 23, v21
	v_or3_b32 v10, v10, v16, v20
	v_lshrrev_b32_e32 v20, 16, v10
.LBB736_570:
	s_or_b64 exec, exec, s[8:9]
.LBB736_571:
	s_or_b64 exec, exec, s[6:7]
.LBB736_572:
	s_or_b64 exec, exec, s[0:1]
	v_mov_b32_e32 v21, 0
	v_mov_b32_e32 v10, v13
	v_cmp_ne_u16_sdwa s[6:7], v13, v21 src0_sel:BYTE_0 src1_sel:DWORD
	v_mov_b32_e32 v22, 0
	s_and_saveexec_b64 s[0:1], s[6:7]
	s_cbranch_execz .LBB736_578
; %bb.573:
	s_movk_i32 s3, 0x80
	v_cmp_ne_u16_sdwa s[8:9], v13, s3 src0_sel:BYTE_0 src1_sel:DWORD
	v_mov_b32_e32 v22, 0xffff8000
	s_and_saveexec_b64 s[6:7], s[8:9]
	s_cbranch_execz .LBB736_577
; %bb.574:
	s_movk_i32 s3, 0x7f
	v_and_b32_e32 v16, 0x7f, v13
	v_cmp_ne_u32_e32 vcc, s3, v16
	v_mov_b32_e32 v22, 0x7f80
	s_and_saveexec_b64 s[8:9], vcc
	s_cbranch_execz .LBB736_576
; %bb.575:
	v_and_b32_e32 v22, 7, v13
	v_ffbh_u32_e32 v22, v22
	v_min_u32_e32 v22, 32, v22
	v_lshrrev_b32_e32 v23, 3, v16
	v_subrev_u32_e32 v24, 28, v22
	v_sub_u32_e32 v22, 29, v22
	v_cmp_gt_u32_e32 vcc, 8, v16
	v_cndmask_b32_e32 v16, v23, v22, vcc
	v_cndmask_b32_e32 v22, 0, v24, vcc
	v_lshlrev_b64 v[22:23], v22, v[10:11]
	v_lshlrev_b32_e32 v11, 20, v22
	v_lshlrev_b32_e32 v22, 24, v10
	v_bfrev_b32_e32 v23, 60
	v_and_b32_e32 v11, 0x700000, v11
	v_and_b32_e32 v22, 0x80000000, v22
	v_lshl_add_u32 v16, v16, 23, v23
	v_or3_b32 v11, v22, v16, v11
	v_lshrrev_b32_e32 v22, 16, v11
.LBB736_576:
	s_or_b64 exec, exec, s[8:9]
.LBB736_577:
	s_or_b64 exec, exec, s[6:7]
.LBB736_578:
	s_or_b64 exec, exec, s[0:1]
	v_lshrrev_b16_e32 v16, 8, v10
	v_cmp_ne_u16_e32 vcc, 0, v16
	s_and_saveexec_b64 s[0:1], vcc
	s_cbranch_execz .LBB736_584
; %bb.579:
	s_movk_i32 s3, 0x80
	v_cmp_ne_u16_e32 vcc, s3, v16
	v_mov_b32_e32 v21, 0xffff8000
	s_and_saveexec_b64 s[6:7], vcc
	s_cbranch_execz .LBB736_583
; %bb.580:
	s_movk_i32 s3, 0x7f
	v_and_b32_e32 v11, 0x7f, v16
	v_cmp_ne_u32_e32 vcc, s3, v11
	v_mov_b32_e32 v21, 0x7f80
	s_and_saveexec_b64 s[8:9], vcc
	s_cbranch_execz .LBB736_582
; %bb.581:
	v_and_b32_e32 v21, 7, v16
	v_ffbh_u32_e32 v24, v21
	v_min_u32_e32 v26, 32, v24
	v_subrev_u32_e32 v24, 28, v26
	v_lshlrev_b64 v[24:25], v24, v[16:17]
	v_lshrrev_b32_e32 v23, 3, v11
	v_sub_u32_e32 v16, 29, v26
	v_and_b32_e32 v24, 7, v24
	v_cmp_gt_u32_e32 vcc, 8, v11
	v_cndmask_b32_e32 v11, v23, v16, vcc
	v_cndmask_b32_e32 v16, v21, v24, vcc
	v_lshlrev_b32_e32 v10, 16, v10
	v_bfrev_b32_e32 v21, 60
	v_lshlrev_b32_e32 v16, 20, v16
	v_and_b32_e32 v10, 0x80000000, v10
	v_lshl_add_u32 v11, v11, 23, v21
	v_or3_b32 v10, v10, v11, v16
	v_lshrrev_b32_e32 v21, 16, v10
.LBB736_582:
	s_or_b64 exec, exec, s[8:9]
.LBB736_583:
	s_or_b64 exec, exec, s[6:7]
.LBB736_584:
	s_or_b64 exec, exec, s[0:1]
	s_movk_i32 s0, 0xff
	v_and_b32_sdwa v23, v13, s0 dst_sel:DWORD dst_unused:UNUSED_PAD src0_sel:WORD_1 src1_sel:DWORD
	v_lshrrev_b32_e32 v10, 16, v13
	v_cmp_ne_u16_e32 vcc, 0, v23
	v_mov_b32_e32 v11, 0
	v_mov_b32_e32 v16, 0
	s_and_saveexec_b64 s[0:1], vcc
	s_cbranch_execz .LBB736_590
; %bb.585:
	s_movk_i32 s3, 0x80
	v_cmp_ne_u16_e32 vcc, s3, v23
	v_mov_b32_e32 v16, 0xffff8000
	s_and_saveexec_b64 s[6:7], vcc
	s_cbranch_execz .LBB736_589
; %bb.586:
	v_bfe_u32 v23, v13, 16, 7
	s_movk_i32 s3, 0x7f
	v_cmp_ne_u32_e32 vcc, s3, v23
	v_mov_b32_e32 v16, 0x7f80
	s_and_saveexec_b64 s[8:9], vcc
	s_cbranch_execz .LBB736_588
; %bb.587:
	v_and_b32_e32 v16, 7, v10
	v_ffbh_u32_e32 v24, v16
	v_min_u32_e32 v27, 32, v24
	v_subrev_u32_e32 v24, 28, v27
	v_lshlrev_b64 v[24:25], v24, v[10:11]
	v_lshrrev_b32_e32 v26, 3, v23
	v_sub_u32_e32 v10, 29, v27
	v_and_b32_e32 v24, 7, v24
	v_cmp_gt_u32_e32 vcc, 8, v23
	v_mov_b32_e32 v23, 24
	v_cndmask_b32_e32 v10, v26, v10, vcc
	v_cndmask_b32_e32 v16, v16, v24, vcc
	v_lshlrev_b32_sdwa v23, v23, v13 dst_sel:DWORD dst_unused:UNUSED_PAD src0_sel:DWORD src1_sel:WORD_1
	v_bfrev_b32_e32 v24, 60
	v_lshlrev_b32_e32 v16, 20, v16
	v_and_b32_e32 v23, 0x80000000, v23
	v_lshl_add_u32 v10, v10, 23, v24
	v_or3_b32 v10, v23, v10, v16
	v_lshrrev_b32_e32 v16, 16, v10
.LBB736_588:
	s_or_b64 exec, exec, s[8:9]
.LBB736_589:
	s_or_b64 exec, exec, s[6:7]
.LBB736_590:
	s_or_b64 exec, exec, s[0:1]
	s_mov_b32 s0, -1
	s_mov_b32 s1, 0xffffff
	v_cmp_lt_u64_e32 vcc, s[0:1], v[12:13]
	s_and_saveexec_b64 s[0:1], vcc
	s_cbranch_execz .LBB736_596
; %bb.591:
	v_lshrrev_b32_e32 v10, 24, v13
	s_movk_i32 s3, 0x80
	v_cmp_ne_u32_e32 vcc, s3, v10
	v_mov_b32_e32 v11, 0xffff8000
	s_and_saveexec_b64 s[6:7], vcc
	s_cbranch_execz .LBB736_595
; %bb.592:
	v_bfe_u32 v12, v13, 24, 7
	s_movk_i32 s3, 0x7f
	v_cmp_ne_u32_e32 vcc, s3, v12
	v_mov_b32_e32 v11, 0x7f80
	s_and_saveexec_b64 s[8:9], vcc
	s_cbranch_execz .LBB736_594
; %bb.593:
	v_and_b32_e32 v11, 7, v10
	v_ffbh_u32_e32 v23, v11
	v_min_u32_e32 v23, 32, v23
	v_subrev_u32_e32 v24, 28, v23
	v_lshlrev_b64 v[24:25], v24, v[10:11]
	v_lshrrev_b32_e32 v13, 3, v12
	v_sub_u32_e32 v23, 29, v23
	v_and_b32_e32 v24, 7, v24
	v_cmp_gt_u32_e32 vcc, 8, v12
	v_cndmask_b32_e32 v12, v13, v23, vcc
	v_cndmask_b32_e32 v11, v11, v24, vcc
	v_lshlrev_b32_e32 v10, 24, v10
	v_bfrev_b32_e32 v13, 60
	v_lshlrev_b32_e32 v11, 20, v11
	v_and_b32_e32 v10, 0x80000000, v10
	v_lshl_add_u32 v12, v12, 23, v13
	v_or3_b32 v10, v10, v12, v11
	v_lshrrev_b32_e32 v11, 16, v10
.LBB736_594:
	s_or_b64 exec, exec, s[8:9]
.LBB736_595:
	s_or_b64 exec, exec, s[6:7]
.LBB736_596:
	s_or_b64 exec, exec, s[0:1]
	s_mov_b32 s0, 0x5040100
	v_perm_b32 v13, v20, v19, s0
	v_perm_b32 v12, v17, v18, s0
	;; [unrolled: 1-line block ×4, first 2 shown]
	v_mfma_f32_4x4x4bf16_1k a[0:3], v[14:15], v[12:13], a[0:3] cbsz:4 abid:6
	v_mov_b32_e32 v13, 0
	v_mfma_f32_4x4x4bf16_1k a[0:3], v[14:15], v[10:11], a[0:3] cbsz:4 abid:7
	s_waitcnt vmcnt(0)
	v_cmp_ne_u16_sdwa s[6:7], v6, v13 src0_sel:BYTE_0 src1_sel:DWORD
	v_mov_b32_e32 v16, 0
	s_and_saveexec_b64 s[0:1], s[6:7]
	s_cbranch_execz .LBB736_602
; %bb.597:
	s_movk_i32 s3, 0x80
	v_cmp_ne_u16_sdwa s[8:9], v6, s3 src0_sel:BYTE_0 src1_sel:DWORD
	v_mov_b32_e32 v16, 0xffff8000
	s_and_saveexec_b64 s[6:7], s[8:9]
	s_cbranch_execz .LBB736_601
; %bb.598:
	s_movk_i32 s3, 0x7f
	v_and_b32_e32 v10, 0x7f, v6
	v_cmp_ne_u32_e32 vcc, s3, v10
	v_mov_b32_e32 v16, 0x7f80
	s_and_saveexec_b64 s[8:9], vcc
	s_cbranch_execz .LBB736_600
; %bb.599:
	v_and_b32_e32 v11, 7, v6
	v_ffbh_u32_e32 v11, v11
	v_min_u32_e32 v11, 32, v11
	v_subrev_u32_e32 v16, 28, v11
	v_cmp_gt_u32_e32 vcc, 8, v10
	v_lshrrev_b32_e32 v12, 3, v10
	v_sub_u32_e32 v11, 29, v11
	v_cndmask_b32_e32 v10, 0, v16, vcc
	v_cndmask_b32_e32 v12, v12, v11, vcc
	v_lshlrev_b64 v[10:11], v10, v[6:7]
	v_lshlrev_b32_e32 v10, 20, v10
	v_lshlrev_b32_e32 v11, 24, v6
	v_bfrev_b32_e32 v16, 60
	v_and_b32_e32 v10, 0x700000, v10
	v_and_b32_e32 v11, 0x80000000, v11
	v_lshl_add_u32 v12, v12, 23, v16
	v_or3_b32 v10, v11, v12, v10
	v_lshrrev_b32_e32 v16, 16, v10
.LBB736_600:
	s_or_b64 exec, exec, s[8:9]
.LBB736_601:
	s_or_b64 exec, exec, s[6:7]
.LBB736_602:
	s_or_b64 exec, exec, s[0:1]
	v_lshrrev_b16_e32 v10, 8, v6
	v_cmp_ne_u16_e32 vcc, 0, v10
	s_and_saveexec_b64 s[0:1], vcc
	s_cbranch_execz .LBB736_608
; %bb.603:
	s_movk_i32 s3, 0x80
	v_cmp_ne_u16_e32 vcc, s3, v10
	v_mov_b32_e32 v13, 0xffff8000
	s_and_saveexec_b64 s[6:7], vcc
	s_cbranch_execz .LBB736_607
; %bb.604:
	s_movk_i32 s3, 0x7f
	v_and_b32_e32 v11, 0x7f, v10
	v_cmp_ne_u32_e32 vcc, s3, v11
	v_mov_b32_e32 v13, 0x7f80
	s_and_saveexec_b64 s[8:9], vcc
	s_cbranch_execz .LBB736_606
; %bb.605:
	v_and_b32_e32 v17, 7, v10
	v_ffbh_u32_e32 v12, v17
	v_min_u32_e32 v19, 32, v12
	v_subrev_u32_e32 v12, 28, v19
	v_lshlrev_b64 v[12:13], v12, v[10:11]
	v_lshrrev_b32_e32 v18, 3, v11
	v_sub_u32_e32 v10, 29, v19
	v_and_b32_e32 v12, 7, v12
	v_cmp_gt_u32_e32 vcc, 8, v11
	v_cndmask_b32_e32 v10, v18, v10, vcc
	v_cndmask_b32_e32 v11, v17, v12, vcc
	v_lshlrev_b32_e32 v12, 16, v6
	v_bfrev_b32_e32 v13, 60
	v_lshlrev_b32_e32 v11, 20, v11
	v_and_b32_e32 v12, 0x80000000, v12
	v_lshl_add_u32 v10, v10, 23, v13
	v_or3_b32 v10, v12, v10, v11
	v_lshrrev_b32_e32 v13, 16, v10
.LBB736_606:
	s_or_b64 exec, exec, s[8:9]
.LBB736_607:
	s_or_b64 exec, exec, s[6:7]
.LBB736_608:
	s_or_b64 exec, exec, s[0:1]
	s_movk_i32 s0, 0xff
	v_and_b32_sdwa v12, v6, s0 dst_sel:DWORD dst_unused:UNUSED_PAD src0_sel:WORD_1 src1_sel:DWORD
	v_lshrrev_b32_e32 v10, 16, v6
	v_cmp_ne_u16_e32 vcc, 0, v12
	v_mov_b32_e32 v11, 0
	v_mov_b32_e32 v17, 0
	s_and_saveexec_b64 s[0:1], vcc
	s_cbranch_execz .LBB736_614
; %bb.609:
	s_movk_i32 s3, 0x80
	v_cmp_ne_u16_e32 vcc, s3, v12
	v_mov_b32_e32 v17, 0xffff8000
	s_and_saveexec_b64 s[6:7], vcc
	s_cbranch_execz .LBB736_613
; %bb.610:
	v_bfe_u32 v12, v6, 16, 7
	s_movk_i32 s3, 0x7f
	v_cmp_ne_u32_e32 vcc, s3, v12
	v_mov_b32_e32 v17, 0x7f80
	s_and_saveexec_b64 s[8:9], vcc
	s_cbranch_execz .LBB736_612
; %bb.611:
	v_and_b32_e32 v17, 7, v10
	v_ffbh_u32_e32 v18, v17
	v_min_u32_e32 v21, 32, v18
	v_subrev_u32_e32 v18, 28, v21
	v_lshlrev_b64 v[18:19], v18, v[10:11]
	v_and_b32_e32 v18, 7, v18
	v_cmp_gt_u32_e32 vcc, 8, v12
	v_lshrrev_b32_e32 v20, 3, v12
	v_sub_u32_e32 v10, 29, v21
	v_cndmask_b32_e32 v12, v17, v18, vcc
	v_mov_b32_e32 v17, 24
	v_cndmask_b32_e32 v10, v20, v10, vcc
	v_lshlrev_b32_sdwa v17, v17, v6 dst_sel:DWORD dst_unused:UNUSED_PAD src0_sel:DWORD src1_sel:WORD_1
	v_bfrev_b32_e32 v18, 60
	v_lshlrev_b32_e32 v12, 20, v12
	v_and_b32_e32 v17, 0x80000000, v17
	v_lshl_add_u32 v10, v10, 23, v18
	v_or3_b32 v10, v17, v10, v12
	v_lshrrev_b32_e32 v17, 16, v10
.LBB736_612:
	s_or_b64 exec, exec, s[8:9]
.LBB736_613:
	s_or_b64 exec, exec, s[6:7]
.LBB736_614:
	s_or_b64 exec, exec, s[0:1]
	s_mov_b32 s0, 0xffffff
	v_cmp_lt_u32_e32 vcc, s0, v6
	v_mov_b32_e32 v18, 0
	s_and_saveexec_b64 s[0:1], vcc
	s_cbranch_execz .LBB736_620
; %bb.615:
	v_lshrrev_b32_e32 v10, 24, v6
	s_movk_i32 s3, 0x80
	v_cmp_ne_u32_e32 vcc, s3, v10
	v_mov_b32_e32 v18, 0xffff8000
	s_and_saveexec_b64 s[6:7], vcc
	s_cbranch_execz .LBB736_619
; %bb.616:
	v_bfe_u32 v12, v6, 24, 7
	s_movk_i32 s3, 0x7f
	v_cmp_ne_u32_e32 vcc, s3, v12
	v_mov_b32_e32 v18, 0x7f80
	s_and_saveexec_b64 s[8:9], vcc
	s_cbranch_execz .LBB736_618
; %bb.617:
	v_and_b32_e32 v20, 7, v10
	v_ffbh_u32_e32 v18, v20
	v_min_u32_e32 v22, 32, v18
	v_subrev_u32_e32 v18, 28, v22
	v_lshlrev_b64 v[18:19], v18, v[10:11]
	v_lshrrev_b32_e32 v21, 3, v12
	v_sub_u32_e32 v19, 29, v22
	v_and_b32_e32 v18, 7, v18
	v_cmp_gt_u32_e32 vcc, 8, v12
	v_cndmask_b32_e32 v12, v21, v19, vcc
	v_cndmask_b32_e32 v18, v20, v18, vcc
	v_lshlrev_b32_e32 v10, 24, v10
	v_bfrev_b32_e32 v19, 60
	v_lshlrev_b32_e32 v18, 20, v18
	v_and_b32_e32 v10, 0x80000000, v10
	v_lshl_add_u32 v12, v12, 23, v19
	v_or3_b32 v10, v10, v12, v18
	v_lshrrev_b32_e32 v18, 16, v10
.LBB736_618:
	s_or_b64 exec, exec, s[8:9]
.LBB736_619:
	s_or_b64 exec, exec, s[6:7]
.LBB736_620:
	s_or_b64 exec, exec, s[0:1]
	v_mov_b32_e32 v19, 0
	v_mov_b32_e32 v10, v7
	v_cmp_ne_u16_sdwa s[6:7], v7, v19 src0_sel:BYTE_0 src1_sel:DWORD
	v_mov_b32_e32 v20, 0
	s_and_saveexec_b64 s[0:1], s[6:7]
	s_cbranch_execz .LBB736_626
; %bb.621:
	s_movk_i32 s3, 0x80
	v_cmp_ne_u16_sdwa s[8:9], v7, s3 src0_sel:BYTE_0 src1_sel:DWORD
	v_mov_b32_e32 v20, 0xffff8000
	s_and_saveexec_b64 s[6:7], s[8:9]
	s_cbranch_execz .LBB736_625
; %bb.622:
	s_movk_i32 s3, 0x7f
	v_and_b32_e32 v12, 0x7f, v7
	v_cmp_ne_u32_e32 vcc, s3, v12
	v_mov_b32_e32 v20, 0x7f80
	s_and_saveexec_b64 s[8:9], vcc
	s_cbranch_execz .LBB736_624
; %bb.623:
	v_and_b32_e32 v20, 7, v7
	v_ffbh_u32_e32 v20, v20
	v_min_u32_e32 v20, 32, v20
	v_lshrrev_b32_e32 v21, 3, v12
	v_subrev_u32_e32 v22, 28, v20
	v_sub_u32_e32 v20, 29, v20
	v_cmp_gt_u32_e32 vcc, 8, v12
	v_cndmask_b32_e32 v12, v21, v20, vcc
	v_cndmask_b32_e32 v20, 0, v22, vcc
	v_lshlrev_b64 v[20:21], v20, v[10:11]
	v_lshlrev_b32_e32 v11, 20, v20
	v_lshlrev_b32_e32 v20, 24, v10
	v_bfrev_b32_e32 v21, 60
	v_and_b32_e32 v11, 0x700000, v11
	v_and_b32_e32 v20, 0x80000000, v20
	v_lshl_add_u32 v12, v12, 23, v21
	v_or3_b32 v11, v20, v12, v11
	v_lshrrev_b32_e32 v20, 16, v11
.LBB736_624:
	s_or_b64 exec, exec, s[8:9]
.LBB736_625:
	s_or_b64 exec, exec, s[6:7]
.LBB736_626:
	s_or_b64 exec, exec, s[0:1]
	v_lshrrev_b16_e32 v12, 8, v10
	v_cmp_ne_u16_e32 vcc, 0, v12
	s_and_saveexec_b64 s[0:1], vcc
	s_cbranch_execz .LBB736_632
; %bb.627:
	s_movk_i32 s3, 0x80
	v_cmp_ne_u16_e32 vcc, s3, v12
	v_mov_b32_e32 v19, 0xffff8000
	s_and_saveexec_b64 s[6:7], vcc
	s_cbranch_execz .LBB736_631
; %bb.628:
	s_movk_i32 s3, 0x7f
	v_and_b32_e32 v11, 0x7f, v12
	v_cmp_ne_u32_e32 vcc, s3, v11
	v_mov_b32_e32 v19, 0x7f80
	s_and_saveexec_b64 s[8:9], vcc
	s_cbranch_execz .LBB736_630
; %bb.629:
	v_and_b32_e32 v19, 7, v12
	v_ffbh_u32_e32 v22, v19
	v_min_u32_e32 v24, 32, v22
	v_subrev_u32_e32 v22, 28, v24
	v_lshlrev_b64 v[22:23], v22, v[12:13]
	v_lshrrev_b32_e32 v21, 3, v11
	v_sub_u32_e32 v12, 29, v24
	v_and_b32_e32 v22, 7, v22
	v_cmp_gt_u32_e32 vcc, 8, v11
	v_cndmask_b32_e32 v11, v21, v12, vcc
	v_cndmask_b32_e32 v12, v19, v22, vcc
	v_lshlrev_b32_e32 v10, 16, v10
	v_bfrev_b32_e32 v19, 60
	v_lshlrev_b32_e32 v12, 20, v12
	v_and_b32_e32 v10, 0x80000000, v10
	v_lshl_add_u32 v11, v11, 23, v19
	v_or3_b32 v10, v10, v11, v12
	v_lshrrev_b32_e32 v19, 16, v10
.LBB736_630:
	s_or_b64 exec, exec, s[8:9]
.LBB736_631:
	s_or_b64 exec, exec, s[6:7]
.LBB736_632:
	s_or_b64 exec, exec, s[0:1]
	s_movk_i32 s0, 0xff
	v_and_b32_sdwa v21, v7, s0 dst_sel:DWORD dst_unused:UNUSED_PAD src0_sel:WORD_1 src1_sel:DWORD
	v_lshrrev_b32_e32 v10, 16, v7
	v_cmp_ne_u16_e32 vcc, 0, v21
	v_mov_b32_e32 v11, 0
	v_mov_b32_e32 v12, 0
	s_and_saveexec_b64 s[0:1], vcc
	s_cbranch_execz .LBB736_638
; %bb.633:
	s_movk_i32 s3, 0x80
	v_cmp_ne_u16_e32 vcc, s3, v21
	v_mov_b32_e32 v12, 0xffff8000
	s_and_saveexec_b64 s[6:7], vcc
	s_cbranch_execz .LBB736_637
; %bb.634:
	v_bfe_u32 v21, v7, 16, 7
	s_movk_i32 s3, 0x7f
	v_cmp_ne_u32_e32 vcc, s3, v21
	v_mov_b32_e32 v12, 0x7f80
	s_and_saveexec_b64 s[8:9], vcc
	s_cbranch_execz .LBB736_636
; %bb.635:
	v_and_b32_e32 v12, 7, v10
	v_ffbh_u32_e32 v22, v12
	v_min_u32_e32 v25, 32, v22
	v_subrev_u32_e32 v22, 28, v25
	v_lshlrev_b64 v[22:23], v22, v[10:11]
	v_lshrrev_b32_e32 v24, 3, v21
	v_sub_u32_e32 v10, 29, v25
	v_and_b32_e32 v22, 7, v22
	v_cmp_gt_u32_e32 vcc, 8, v21
	v_mov_b32_e32 v21, 24
	v_cndmask_b32_e32 v10, v24, v10, vcc
	v_cndmask_b32_e32 v12, v12, v22, vcc
	v_lshlrev_b32_sdwa v21, v21, v7 dst_sel:DWORD dst_unused:UNUSED_PAD src0_sel:DWORD src1_sel:WORD_1
	v_bfrev_b32_e32 v22, 60
	v_lshlrev_b32_e32 v12, 20, v12
	v_and_b32_e32 v21, 0x80000000, v21
	v_lshl_add_u32 v10, v10, 23, v22
	v_or3_b32 v10, v21, v10, v12
	v_lshrrev_b32_e32 v12, 16, v10
.LBB736_636:
	s_or_b64 exec, exec, s[8:9]
.LBB736_637:
	s_or_b64 exec, exec, s[6:7]
.LBB736_638:
	s_or_b64 exec, exec, s[0:1]
	s_mov_b32 s0, -1
	s_mov_b32 s1, 0xffffff
	v_cmp_lt_u64_e32 vcc, s[0:1], v[6:7]
	s_and_saveexec_b64 s[0:1], vcc
	s_cbranch_execz .LBB736_644
; %bb.639:
	v_lshrrev_b32_e32 v6, 24, v7
	s_movk_i32 s3, 0x80
	v_cmp_ne_u32_e32 vcc, s3, v6
	v_mov_b32_e32 v11, 0xffff8000
	s_and_saveexec_b64 s[6:7], vcc
	s_cbranch_execz .LBB736_643
; %bb.640:
	v_bfe_u32 v7, v7, 24, 7
	s_movk_i32 s3, 0x7f
	v_cmp_ne_u32_e32 vcc, s3, v7
	v_mov_b32_e32 v11, 0x7f80
	s_and_saveexec_b64 s[8:9], vcc
	s_cbranch_execz .LBB736_642
; %bb.641:
	v_and_b32_e32 v21, 7, v6
	v_ffbh_u32_e32 v10, v21
	v_min_u32_e32 v23, 32, v10
	v_subrev_u32_e32 v10, 28, v23
	v_lshlrev_b64 v[10:11], v10, v[6:7]
	v_lshrrev_b32_e32 v22, 3, v7
	v_sub_u32_e32 v11, 29, v23
	v_and_b32_e32 v10, 7, v10
	v_cmp_gt_u32_e32 vcc, 8, v7
	v_cndmask_b32_e32 v7, v22, v11, vcc
	v_cndmask_b32_e32 v10, v21, v10, vcc
	v_lshlrev_b32_e32 v6, 24, v6
	v_bfrev_b32_e32 v11, 60
	v_lshlrev_b32_e32 v10, 20, v10
	v_and_b32_e32 v6, 0x80000000, v6
	v_lshl_add_u32 v7, v7, 23, v11
	v_or3_b32 v6, v6, v7, v10
	v_lshrrev_b32_e32 v11, 16, v6
.LBB736_642:
	s_or_b64 exec, exec, s[8:9]
.LBB736_643:
	s_or_b64 exec, exec, s[6:7]
.LBB736_644:
	s_or_b64 exec, exec, s[0:1]
	s_mov_b32 s0, 0x5040100
	v_perm_b32 v7, v18, v17, s0
	v_perm_b32 v6, v13, v16, s0
	;; [unrolled: 1-line block ×4, first 2 shown]
	v_mfma_f32_4x4x4bf16_1k a[0:3], v[14:15], v[6:7], a[0:3] cbsz:4 abid:8
	v_mov_b32_e32 v12, 0
	v_mfma_f32_4x4x4bf16_1k a[0:3], v[14:15], v[10:11], a[0:3] cbsz:4 abid:9
	v_mov_b32_e32 v11, 0
	v_cmp_ne_u16_sdwa s[6:7], v8, v11 src0_sel:BYTE_0 src1_sel:DWORD
	s_and_saveexec_b64 s[0:1], s[6:7]
	s_cbranch_execz .LBB736_650
; %bb.645:
	s_movk_i32 s3, 0x80
	v_cmp_ne_u16_sdwa s[8:9], v8, s3 src0_sel:BYTE_0 src1_sel:DWORD
	v_mov_b32_e32 v12, 0xffff8000
	s_and_saveexec_b64 s[6:7], s[8:9]
	s_cbranch_execz .LBB736_649
; %bb.646:
	s_movk_i32 s3, 0x7f
	v_and_b32_e32 v6, 0x7f, v8
	v_cmp_ne_u32_e32 vcc, s3, v6
	v_mov_b32_e32 v12, 0x7f80
	s_and_saveexec_b64 s[8:9], vcc
	s_cbranch_execz .LBB736_648
; %bb.647:
	v_and_b32_e32 v7, 7, v8
	v_ffbh_u32_e32 v7, v7
	v_min_u32_e32 v7, 32, v7
	v_subrev_u32_e32 v12, 28, v7
	v_cmp_gt_u32_e32 vcc, 8, v6
	v_lshrrev_b32_e32 v10, 3, v6
	v_sub_u32_e32 v7, 29, v7
	v_cndmask_b32_e32 v6, 0, v12, vcc
	v_cndmask_b32_e32 v10, v10, v7, vcc
	v_lshlrev_b64 v[6:7], v6, v[8:9]
	v_lshlrev_b32_e32 v6, 20, v6
	v_lshlrev_b32_e32 v7, 24, v8
	v_bfrev_b32_e32 v12, 60
	v_and_b32_e32 v6, 0x700000, v6
	v_and_b32_e32 v7, 0x80000000, v7
	v_lshl_add_u32 v10, v10, 23, v12
	v_or3_b32 v6, v7, v10, v6
	v_lshrrev_b32_e32 v12, 16, v6
.LBB736_648:
	s_or_b64 exec, exec, s[8:9]
.LBB736_649:
	s_or_b64 exec, exec, s[6:7]
.LBB736_650:
	s_or_b64 exec, exec, s[0:1]
	v_lshrrev_b16_e32 v6, 8, v8
	v_cmp_ne_u16_e32 vcc, 0, v6
	s_and_saveexec_b64 s[0:1], vcc
	s_cbranch_execz .LBB736_656
; %bb.651:
	s_movk_i32 s3, 0x80
	v_cmp_ne_u16_e32 vcc, s3, v6
	v_mov_b32_e32 v11, 0xffff8000
	s_and_saveexec_b64 s[6:7], vcc
	s_cbranch_execz .LBB736_655
; %bb.652:
	s_movk_i32 s3, 0x7f
	v_and_b32_e32 v7, 0x7f, v6
	v_cmp_ne_u32_e32 vcc, s3, v7
	v_mov_b32_e32 v11, 0x7f80
	s_and_saveexec_b64 s[8:9], vcc
	s_cbranch_execz .LBB736_654
; %bb.653:
	v_and_b32_e32 v13, 7, v6
	v_ffbh_u32_e32 v10, v13
	v_min_u32_e32 v17, 32, v10
	v_subrev_u32_e32 v10, 28, v17
	v_lshlrev_b64 v[10:11], v10, v[6:7]
	v_lshrrev_b32_e32 v16, 3, v7
	v_sub_u32_e32 v6, 29, v17
	v_and_b32_e32 v10, 7, v10
	v_cmp_gt_u32_e32 vcc, 8, v7
	v_cndmask_b32_e32 v6, v16, v6, vcc
	v_cndmask_b32_e32 v7, v13, v10, vcc
	v_lshlrev_b32_e32 v10, 16, v8
	v_bfrev_b32_e32 v11, 60
	v_lshlrev_b32_e32 v7, 20, v7
	v_and_b32_e32 v10, 0x80000000, v10
	v_lshl_add_u32 v6, v6, 23, v11
	v_or3_b32 v6, v10, v6, v7
	v_lshrrev_b32_e32 v11, 16, v6
.LBB736_654:
	s_or_b64 exec, exec, s[8:9]
.LBB736_655:
	s_or_b64 exec, exec, s[6:7]
.LBB736_656:
	s_or_b64 exec, exec, s[0:1]
	s_movk_i32 s0, 0xff
	v_and_b32_sdwa v10, v8, s0 dst_sel:DWORD dst_unused:UNUSED_PAD src0_sel:WORD_1 src1_sel:DWORD
	v_lshrrev_b32_e32 v6, 16, v8
	v_cmp_ne_u16_e32 vcc, 0, v10
	v_mov_b32_e32 v7, 0
	v_mov_b32_e32 v13, 0
	s_and_saveexec_b64 s[0:1], vcc
	s_cbranch_execz .LBB736_662
; %bb.657:
	s_movk_i32 s3, 0x80
	v_cmp_ne_u16_e32 vcc, s3, v10
	v_mov_b32_e32 v13, 0xffff8000
	s_and_saveexec_b64 s[6:7], vcc
	s_cbranch_execz .LBB736_661
; %bb.658:
	v_bfe_u32 v10, v8, 16, 7
	s_movk_i32 s3, 0x7f
	v_cmp_ne_u32_e32 vcc, s3, v10
	v_mov_b32_e32 v13, 0x7f80
	s_and_saveexec_b64 s[8:9], vcc
	s_cbranch_execz .LBB736_660
; %bb.659:
	v_and_b32_e32 v13, 7, v6
	v_ffbh_u32_e32 v16, v13
	v_min_u32_e32 v19, 32, v16
	v_subrev_u32_e32 v16, 28, v19
	v_lshlrev_b64 v[16:17], v16, v[6:7]
	v_and_b32_e32 v16, 7, v16
	v_cmp_gt_u32_e32 vcc, 8, v10
	v_lshrrev_b32_e32 v18, 3, v10
	v_sub_u32_e32 v6, 29, v19
	v_cndmask_b32_e32 v10, v13, v16, vcc
	v_mov_b32_e32 v13, 24
	v_cndmask_b32_e32 v6, v18, v6, vcc
	v_lshlrev_b32_sdwa v13, v13, v8 dst_sel:DWORD dst_unused:UNUSED_PAD src0_sel:DWORD src1_sel:WORD_1
	v_bfrev_b32_e32 v16, 60
	v_lshlrev_b32_e32 v10, 20, v10
	v_and_b32_e32 v13, 0x80000000, v13
	v_lshl_add_u32 v6, v6, 23, v16
	v_or3_b32 v6, v13, v6, v10
	v_lshrrev_b32_e32 v13, 16, v6
.LBB736_660:
	s_or_b64 exec, exec, s[8:9]
.LBB736_661:
	s_or_b64 exec, exec, s[6:7]
.LBB736_662:
	s_or_b64 exec, exec, s[0:1]
	s_mov_b32 s0, 0xffffff
	v_cmp_lt_u32_e32 vcc, s0, v8
	v_mov_b32_e32 v16, 0
	s_and_saveexec_b64 s[0:1], vcc
	s_cbranch_execz .LBB736_668
; %bb.663:
	v_lshrrev_b32_e32 v6, 24, v8
	s_movk_i32 s3, 0x80
	v_cmp_ne_u32_e32 vcc, s3, v6
	v_mov_b32_e32 v16, 0xffff8000
	s_and_saveexec_b64 s[6:7], vcc
	s_cbranch_execz .LBB736_667
; %bb.664:
	v_bfe_u32 v10, v8, 24, 7
	s_movk_i32 s3, 0x7f
	v_cmp_ne_u32_e32 vcc, s3, v10
	v_mov_b32_e32 v16, 0x7f80
	s_and_saveexec_b64 s[8:9], vcc
	s_cbranch_execz .LBB736_666
; %bb.665:
	v_and_b32_e32 v18, 7, v6
	v_ffbh_u32_e32 v16, v18
	v_min_u32_e32 v20, 32, v16
	v_subrev_u32_e32 v16, 28, v20
	v_lshlrev_b64 v[16:17], v16, v[6:7]
	v_lshrrev_b32_e32 v19, 3, v10
	v_sub_u32_e32 v17, 29, v20
	v_and_b32_e32 v16, 7, v16
	v_cmp_gt_u32_e32 vcc, 8, v10
	v_cndmask_b32_e32 v10, v19, v17, vcc
	v_cndmask_b32_e32 v16, v18, v16, vcc
	v_lshlrev_b32_e32 v6, 24, v6
	v_bfrev_b32_e32 v17, 60
	v_lshlrev_b32_e32 v16, 20, v16
	v_and_b32_e32 v6, 0x80000000, v6
	v_lshl_add_u32 v10, v10, 23, v17
	v_or3_b32 v6, v6, v10, v16
	v_lshrrev_b32_e32 v16, 16, v6
.LBB736_666:
	s_or_b64 exec, exec, s[8:9]
.LBB736_667:
	s_or_b64 exec, exec, s[6:7]
.LBB736_668:
	s_or_b64 exec, exec, s[0:1]
	v_mov_b32_e32 v17, 0
	v_mov_b32_e32 v6, v9
	v_cmp_ne_u16_sdwa s[6:7], v9, v17 src0_sel:BYTE_0 src1_sel:DWORD
	v_mov_b32_e32 v18, 0
	s_and_saveexec_b64 s[0:1], s[6:7]
	s_cbranch_execz .LBB736_674
; %bb.669:
	s_movk_i32 s3, 0x80
	v_cmp_ne_u16_sdwa s[8:9], v9, s3 src0_sel:BYTE_0 src1_sel:DWORD
	v_mov_b32_e32 v18, 0xffff8000
	s_and_saveexec_b64 s[6:7], s[8:9]
	s_cbranch_execz .LBB736_673
; %bb.670:
	s_movk_i32 s3, 0x7f
	v_and_b32_e32 v10, 0x7f, v9
	v_cmp_ne_u32_e32 vcc, s3, v10
	v_mov_b32_e32 v18, 0x7f80
	s_and_saveexec_b64 s[8:9], vcc
	s_cbranch_execz .LBB736_672
; %bb.671:
	v_and_b32_e32 v18, 7, v9
	v_ffbh_u32_e32 v18, v18
	v_min_u32_e32 v18, 32, v18
	v_lshrrev_b32_e32 v19, 3, v10
	v_subrev_u32_e32 v20, 28, v18
	v_sub_u32_e32 v18, 29, v18
	v_cmp_gt_u32_e32 vcc, 8, v10
	v_cndmask_b32_e32 v10, v19, v18, vcc
	v_cndmask_b32_e32 v18, 0, v20, vcc
	v_lshlrev_b64 v[18:19], v18, v[6:7]
	v_lshlrev_b32_e32 v7, 20, v18
	v_lshlrev_b32_e32 v18, 24, v6
	v_bfrev_b32_e32 v19, 60
	v_and_b32_e32 v7, 0x700000, v7
	v_and_b32_e32 v18, 0x80000000, v18
	v_lshl_add_u32 v10, v10, 23, v19
	v_or3_b32 v7, v18, v10, v7
	v_lshrrev_b32_e32 v18, 16, v7
.LBB736_672:
	s_or_b64 exec, exec, s[8:9]
.LBB736_673:
	s_or_b64 exec, exec, s[6:7]
.LBB736_674:
	s_or_b64 exec, exec, s[0:1]
	v_lshrrev_b16_e32 v10, 8, v6
	v_cmp_ne_u16_e32 vcc, 0, v10
	s_and_saveexec_b64 s[0:1], vcc
	s_cbranch_execz .LBB736_680
; %bb.675:
	s_movk_i32 s3, 0x80
	v_cmp_ne_u16_e32 vcc, s3, v10
	v_mov_b32_e32 v17, 0xffff8000
	s_and_saveexec_b64 s[6:7], vcc
	s_cbranch_execz .LBB736_679
; %bb.676:
	s_movk_i32 s3, 0x7f
	v_and_b32_e32 v7, 0x7f, v10
	v_cmp_ne_u32_e32 vcc, s3, v7
	v_mov_b32_e32 v17, 0x7f80
	s_and_saveexec_b64 s[8:9], vcc
	s_cbranch_execz .LBB736_678
; %bb.677:
	v_and_b32_e32 v17, 7, v10
	v_ffbh_u32_e32 v20, v17
	v_min_u32_e32 v22, 32, v20
	v_subrev_u32_e32 v20, 28, v22
	v_lshlrev_b64 v[20:21], v20, v[10:11]
	v_lshrrev_b32_e32 v19, 3, v7
	v_sub_u32_e32 v10, 29, v22
	v_and_b32_e32 v20, 7, v20
	v_cmp_gt_u32_e32 vcc, 8, v7
	v_cndmask_b32_e32 v7, v19, v10, vcc
	v_cndmask_b32_e32 v10, v17, v20, vcc
	v_lshlrev_b32_e32 v6, 16, v6
	v_bfrev_b32_e32 v17, 60
	v_lshlrev_b32_e32 v10, 20, v10
	v_and_b32_e32 v6, 0x80000000, v6
	v_lshl_add_u32 v7, v7, 23, v17
	v_or3_b32 v6, v6, v7, v10
	v_lshrrev_b32_e32 v17, 16, v6
.LBB736_678:
	s_or_b64 exec, exec, s[8:9]
.LBB736_679:
	s_or_b64 exec, exec, s[6:7]
.LBB736_680:
	s_or_b64 exec, exec, s[0:1]
	s_movk_i32 s0, 0xff
	v_and_b32_sdwa v19, v9, s0 dst_sel:DWORD dst_unused:UNUSED_PAD src0_sel:WORD_1 src1_sel:DWORD
	v_lshrrev_b32_e32 v6, 16, v9
	v_cmp_ne_u16_e32 vcc, 0, v19
	v_mov_b32_e32 v7, 0
	v_mov_b32_e32 v10, 0
	s_and_saveexec_b64 s[0:1], vcc
	s_cbranch_execz .LBB736_686
; %bb.681:
	s_movk_i32 s3, 0x80
	v_cmp_ne_u16_e32 vcc, s3, v19
	v_mov_b32_e32 v10, 0xffff8000
	s_and_saveexec_b64 s[6:7], vcc
	s_cbranch_execz .LBB736_685
; %bb.682:
	v_bfe_u32 v19, v9, 16, 7
	s_movk_i32 s3, 0x7f
	v_cmp_ne_u32_e32 vcc, s3, v19
	v_mov_b32_e32 v10, 0x7f80
	s_and_saveexec_b64 s[8:9], vcc
	s_cbranch_execz .LBB736_684
; %bb.683:
	v_and_b32_e32 v10, 7, v6
	v_ffbh_u32_e32 v20, v10
	v_min_u32_e32 v23, 32, v20
	v_subrev_u32_e32 v20, 28, v23
	v_lshlrev_b64 v[20:21], v20, v[6:7]
	v_lshrrev_b32_e32 v22, 3, v19
	v_sub_u32_e32 v6, 29, v23
	v_and_b32_e32 v20, 7, v20
	v_cmp_gt_u32_e32 vcc, 8, v19
	v_mov_b32_e32 v19, 24
	v_cndmask_b32_e32 v6, v22, v6, vcc
	v_cndmask_b32_e32 v10, v10, v20, vcc
	v_lshlrev_b32_sdwa v19, v19, v9 dst_sel:DWORD dst_unused:UNUSED_PAD src0_sel:DWORD src1_sel:WORD_1
	v_bfrev_b32_e32 v20, 60
	v_lshlrev_b32_e32 v10, 20, v10
	v_and_b32_e32 v19, 0x80000000, v19
	v_lshl_add_u32 v6, v6, 23, v20
	v_or3_b32 v6, v19, v6, v10
	v_lshrrev_b32_e32 v10, 16, v6
.LBB736_684:
	s_or_b64 exec, exec, s[8:9]
.LBB736_685:
	s_or_b64 exec, exec, s[6:7]
.LBB736_686:
	s_or_b64 exec, exec, s[0:1]
	s_mov_b32 s0, -1
	s_mov_b32 s1, 0xffffff
	v_cmp_lt_u64_e32 vcc, s[0:1], v[8:9]
	s_and_saveexec_b64 s[0:1], vcc
	s_cbranch_execz .LBB736_692
; %bb.687:
	v_lshrrev_b32_e32 v6, 24, v9
	s_movk_i32 s3, 0x80
	v_cmp_ne_u32_e32 vcc, s3, v6
	v_mov_b32_e32 v7, 0xffff8000
	s_and_saveexec_b64 s[6:7], vcc
	s_cbranch_execz .LBB736_691
; %bb.688:
	v_bfe_u32 v8, v9, 24, 7
	s_movk_i32 s3, 0x7f
	v_cmp_ne_u32_e32 vcc, s3, v8
	v_mov_b32_e32 v7, 0x7f80
	s_and_saveexec_b64 s[8:9], vcc
	s_cbranch_execz .LBB736_690
; %bb.689:
	v_and_b32_e32 v7, 7, v6
	v_ffbh_u32_e32 v19, v7
	v_min_u32_e32 v19, 32, v19
	v_subrev_u32_e32 v20, 28, v19
	v_lshlrev_b64 v[20:21], v20, v[6:7]
	v_lshrrev_b32_e32 v9, 3, v8
	v_sub_u32_e32 v19, 29, v19
	v_and_b32_e32 v20, 7, v20
	v_cmp_gt_u32_e32 vcc, 8, v8
	v_cndmask_b32_e32 v8, v9, v19, vcc
	v_cndmask_b32_e32 v7, v7, v20, vcc
	v_lshlrev_b32_e32 v6, 24, v6
	v_bfrev_b32_e32 v9, 60
	v_lshlrev_b32_e32 v7, 20, v7
	v_and_b32_e32 v6, 0x80000000, v6
	v_lshl_add_u32 v8, v8, 23, v9
	v_or3_b32 v6, v6, v8, v7
	v_lshrrev_b32_e32 v7, 16, v6
.LBB736_690:
	s_or_b64 exec, exec, s[8:9]
.LBB736_691:
	s_or_b64 exec, exec, s[6:7]
.LBB736_692:
	s_or_b64 exec, exec, s[0:1]
	s_mov_b32 s0, 0x5040100
	v_perm_b32 v9, v16, v13, s0
	v_perm_b32 v8, v11, v12, s0
	;; [unrolled: 1-line block ×4, first 2 shown]
	v_mfma_f32_4x4x4bf16_1k a[0:3], v[14:15], v[8:9], a[0:3] cbsz:4 abid:10
	v_mov_b32_e32 v9, 0
	v_mfma_f32_4x4x4bf16_1k a[0:3], v[14:15], v[6:7], a[0:3] cbsz:4 abid:11
	v_cmp_ne_u16_sdwa s[6:7], v2, v9 src0_sel:BYTE_0 src1_sel:DWORD
	v_mov_b32_e32 v10, 0
	s_and_saveexec_b64 s[0:1], s[6:7]
	s_cbranch_execz .LBB736_698
; %bb.693:
	s_movk_i32 s3, 0x80
	v_cmp_ne_u16_sdwa s[8:9], v2, s3 src0_sel:BYTE_0 src1_sel:DWORD
	v_mov_b32_e32 v10, 0xffff8000
	s_and_saveexec_b64 s[6:7], s[8:9]
	s_cbranch_execz .LBB736_697
; %bb.694:
	s_movk_i32 s3, 0x7f
	v_and_b32_e32 v6, 0x7f, v2
	v_cmp_ne_u32_e32 vcc, s3, v6
	v_mov_b32_e32 v10, 0x7f80
	s_and_saveexec_b64 s[8:9], vcc
	s_cbranch_execz .LBB736_696
; %bb.695:
	v_and_b32_e32 v7, 7, v2
	v_ffbh_u32_e32 v7, v7
	v_min_u32_e32 v7, 32, v7
	v_subrev_u32_e32 v10, 28, v7
	v_cmp_gt_u32_e32 vcc, 8, v6
	v_lshrrev_b32_e32 v8, 3, v6
	v_sub_u32_e32 v7, 29, v7
	v_cndmask_b32_e32 v6, 0, v10, vcc
	v_cndmask_b32_e32 v8, v8, v7, vcc
	v_lshlrev_b64 v[6:7], v6, v[2:3]
	v_lshlrev_b32_e32 v6, 20, v6
	v_lshlrev_b32_e32 v7, 24, v2
	v_bfrev_b32_e32 v10, 60
	v_and_b32_e32 v6, 0x700000, v6
	v_and_b32_e32 v7, 0x80000000, v7
	v_lshl_add_u32 v8, v8, 23, v10
	v_or3_b32 v6, v7, v8, v6
	v_lshrrev_b32_e32 v10, 16, v6
.LBB736_696:
	s_or_b64 exec, exec, s[8:9]
.LBB736_697:
	s_or_b64 exec, exec, s[6:7]
.LBB736_698:
	s_or_b64 exec, exec, s[0:1]
	v_lshrrev_b16_e32 v6, 8, v2
	v_cmp_ne_u16_e32 vcc, 0, v6
	s_and_saveexec_b64 s[0:1], vcc
	s_cbranch_execz .LBB736_704
; %bb.699:
	s_movk_i32 s3, 0x80
	v_cmp_ne_u16_e32 vcc, s3, v6
	v_mov_b32_e32 v9, 0xffff8000
	s_and_saveexec_b64 s[6:7], vcc
	s_cbranch_execz .LBB736_703
; %bb.700:
	s_movk_i32 s3, 0x7f
	v_and_b32_e32 v7, 0x7f, v6
	v_cmp_ne_u32_e32 vcc, s3, v7
	v_mov_b32_e32 v9, 0x7f80
	s_and_saveexec_b64 s[8:9], vcc
	s_cbranch_execz .LBB736_702
; %bb.701:
	v_and_b32_e32 v11, 7, v6
	v_ffbh_u32_e32 v8, v11
	v_min_u32_e32 v13, 32, v8
	v_subrev_u32_e32 v8, 28, v13
	v_lshlrev_b64 v[8:9], v8, v[6:7]
	v_lshrrev_b32_e32 v12, 3, v7
	v_sub_u32_e32 v6, 29, v13
	v_and_b32_e32 v8, 7, v8
	v_cmp_gt_u32_e32 vcc, 8, v7
	v_cndmask_b32_e32 v6, v12, v6, vcc
	v_cndmask_b32_e32 v7, v11, v8, vcc
	v_lshlrev_b32_e32 v8, 16, v2
	v_bfrev_b32_e32 v9, 60
	v_lshlrev_b32_e32 v7, 20, v7
	v_and_b32_e32 v8, 0x80000000, v8
	v_lshl_add_u32 v6, v6, 23, v9
	v_or3_b32 v6, v8, v6, v7
	v_lshrrev_b32_e32 v9, 16, v6
.LBB736_702:
	s_or_b64 exec, exec, s[8:9]
.LBB736_703:
	s_or_b64 exec, exec, s[6:7]
.LBB736_704:
	s_or_b64 exec, exec, s[0:1]
	s_movk_i32 s0, 0xff
	v_and_b32_sdwa v8, v2, s0 dst_sel:DWORD dst_unused:UNUSED_PAD src0_sel:WORD_1 src1_sel:DWORD
	v_lshrrev_b32_e32 v6, 16, v2
	v_cmp_ne_u16_e32 vcc, 0, v8
	v_mov_b32_e32 v7, 0
	v_mov_b32_e32 v11, 0
	s_and_saveexec_b64 s[0:1], vcc
	s_cbranch_execz .LBB736_710
; %bb.705:
	s_movk_i32 s3, 0x80
	v_cmp_ne_u16_e32 vcc, s3, v8
	v_mov_b32_e32 v11, 0xffff8000
	s_and_saveexec_b64 s[6:7], vcc
	s_cbranch_execz .LBB736_709
; %bb.706:
	v_bfe_u32 v8, v2, 16, 7
	s_movk_i32 s3, 0x7f
	v_cmp_ne_u32_e32 vcc, s3, v8
	v_mov_b32_e32 v11, 0x7f80
	s_and_saveexec_b64 s[8:9], vcc
	s_cbranch_execz .LBB736_708
; %bb.707:
	v_and_b32_e32 v11, 7, v6
	v_ffbh_u32_e32 v12, v11
	v_min_u32_e32 v17, 32, v12
	v_subrev_u32_e32 v12, 28, v17
	v_lshlrev_b64 v[12:13], v12, v[6:7]
	v_and_b32_e32 v12, 7, v12
	v_cmp_gt_u32_e32 vcc, 8, v8
	v_lshrrev_b32_e32 v16, 3, v8
	v_sub_u32_e32 v6, 29, v17
	v_cndmask_b32_e32 v8, v11, v12, vcc
	v_mov_b32_e32 v11, 24
	v_cndmask_b32_e32 v6, v16, v6, vcc
	v_lshlrev_b32_sdwa v11, v11, v2 dst_sel:DWORD dst_unused:UNUSED_PAD src0_sel:DWORD src1_sel:WORD_1
	v_bfrev_b32_e32 v12, 60
	v_lshlrev_b32_e32 v8, 20, v8
	v_and_b32_e32 v11, 0x80000000, v11
	v_lshl_add_u32 v6, v6, 23, v12
	v_or3_b32 v6, v11, v6, v8
	v_lshrrev_b32_e32 v11, 16, v6
.LBB736_708:
	s_or_b64 exec, exec, s[8:9]
.LBB736_709:
	s_or_b64 exec, exec, s[6:7]
.LBB736_710:
	s_or_b64 exec, exec, s[0:1]
	s_mov_b32 s0, 0xffffff
	v_cmp_lt_u32_e32 vcc, s0, v2
	v_mov_b32_e32 v12, 0
	s_and_saveexec_b64 s[0:1], vcc
	s_cbranch_execz .LBB736_716
; %bb.711:
	v_lshrrev_b32_e32 v6, 24, v2
	s_movk_i32 s3, 0x80
	v_cmp_ne_u32_e32 vcc, s3, v6
	v_mov_b32_e32 v12, 0xffff8000
	s_and_saveexec_b64 s[6:7], vcc
	s_cbranch_execz .LBB736_715
; %bb.712:
	v_bfe_u32 v8, v2, 24, 7
	s_movk_i32 s3, 0x7f
	v_cmp_ne_u32_e32 vcc, s3, v8
	v_mov_b32_e32 v12, 0x7f80
	s_and_saveexec_b64 s[8:9], vcc
	s_cbranch_execz .LBB736_714
; %bb.713:
	v_and_b32_e32 v16, 7, v6
	v_ffbh_u32_e32 v12, v16
	v_min_u32_e32 v18, 32, v12
	v_subrev_u32_e32 v12, 28, v18
	v_lshlrev_b64 v[12:13], v12, v[6:7]
	v_lshrrev_b32_e32 v17, 3, v8
	v_sub_u32_e32 v13, 29, v18
	v_and_b32_e32 v12, 7, v12
	v_cmp_gt_u32_e32 vcc, 8, v8
	v_cndmask_b32_e32 v8, v17, v13, vcc
	v_cndmask_b32_e32 v12, v16, v12, vcc
	v_lshlrev_b32_e32 v6, 24, v6
	v_bfrev_b32_e32 v13, 60
	v_lshlrev_b32_e32 v12, 20, v12
	v_and_b32_e32 v6, 0x80000000, v6
	v_lshl_add_u32 v8, v8, 23, v13
	v_or3_b32 v6, v6, v8, v12
	v_lshrrev_b32_e32 v12, 16, v6
.LBB736_714:
	s_or_b64 exec, exec, s[8:9]
.LBB736_715:
	s_or_b64 exec, exec, s[6:7]
.LBB736_716:
	s_or_b64 exec, exec, s[0:1]
	v_mov_b32_e32 v13, 0
	v_mov_b32_e32 v6, v3
	v_cmp_ne_u16_sdwa s[6:7], v3, v13 src0_sel:BYTE_0 src1_sel:DWORD
	v_mov_b32_e32 v16, 0
	s_and_saveexec_b64 s[0:1], s[6:7]
	s_cbranch_execz .LBB736_722
; %bb.717:
	s_movk_i32 s3, 0x80
	v_cmp_ne_u16_sdwa s[8:9], v3, s3 src0_sel:BYTE_0 src1_sel:DWORD
	v_mov_b32_e32 v16, 0xffff8000
	s_and_saveexec_b64 s[6:7], s[8:9]
	s_cbranch_execz .LBB736_721
; %bb.718:
	s_movk_i32 s3, 0x7f
	v_and_b32_e32 v8, 0x7f, v3
	v_cmp_ne_u32_e32 vcc, s3, v8
	v_mov_b32_e32 v16, 0x7f80
	s_and_saveexec_b64 s[8:9], vcc
	s_cbranch_execz .LBB736_720
; %bb.719:
	v_and_b32_e32 v16, 7, v3
	v_ffbh_u32_e32 v16, v16
	v_min_u32_e32 v16, 32, v16
	v_lshrrev_b32_e32 v17, 3, v8
	v_subrev_u32_e32 v18, 28, v16
	v_sub_u32_e32 v16, 29, v16
	v_cmp_gt_u32_e32 vcc, 8, v8
	v_cndmask_b32_e32 v8, v17, v16, vcc
	v_cndmask_b32_e32 v16, 0, v18, vcc
	v_lshlrev_b64 v[16:17], v16, v[6:7]
	v_lshlrev_b32_e32 v7, 20, v16
	v_lshlrev_b32_e32 v16, 24, v6
	v_bfrev_b32_e32 v17, 60
	v_and_b32_e32 v7, 0x700000, v7
	v_and_b32_e32 v16, 0x80000000, v16
	v_lshl_add_u32 v8, v8, 23, v17
	v_or3_b32 v7, v16, v8, v7
	v_lshrrev_b32_e32 v16, 16, v7
.LBB736_720:
	s_or_b64 exec, exec, s[8:9]
.LBB736_721:
	s_or_b64 exec, exec, s[6:7]
.LBB736_722:
	s_or_b64 exec, exec, s[0:1]
	v_lshrrev_b16_e32 v8, 8, v6
	v_cmp_ne_u16_e32 vcc, 0, v8
	s_and_saveexec_b64 s[0:1], vcc
	s_cbranch_execz .LBB736_728
; %bb.723:
	s_movk_i32 s3, 0x80
	v_cmp_ne_u16_e32 vcc, s3, v8
	v_mov_b32_e32 v13, 0xffff8000
	s_and_saveexec_b64 s[6:7], vcc
	s_cbranch_execz .LBB736_727
; %bb.724:
	s_movk_i32 s3, 0x7f
	v_and_b32_e32 v7, 0x7f, v8
	v_cmp_ne_u32_e32 vcc, s3, v7
	v_mov_b32_e32 v13, 0x7f80
	s_and_saveexec_b64 s[8:9], vcc
	s_cbranch_execz .LBB736_726
; %bb.725:
	v_and_b32_e32 v13, 7, v8
	v_ffbh_u32_e32 v18, v13
	v_min_u32_e32 v20, 32, v18
	v_subrev_u32_e32 v18, 28, v20
	v_lshlrev_b64 v[18:19], v18, v[8:9]
	v_lshrrev_b32_e32 v17, 3, v7
	v_sub_u32_e32 v8, 29, v20
	v_and_b32_e32 v18, 7, v18
	v_cmp_gt_u32_e32 vcc, 8, v7
	v_cndmask_b32_e32 v7, v17, v8, vcc
	v_cndmask_b32_e32 v8, v13, v18, vcc
	v_lshlrev_b32_e32 v6, 16, v6
	v_bfrev_b32_e32 v13, 60
	v_lshlrev_b32_e32 v8, 20, v8
	v_and_b32_e32 v6, 0x80000000, v6
	v_lshl_add_u32 v7, v7, 23, v13
	v_or3_b32 v6, v6, v7, v8
	v_lshrrev_b32_e32 v13, 16, v6
.LBB736_726:
	s_or_b64 exec, exec, s[8:9]
.LBB736_727:
	s_or_b64 exec, exec, s[6:7]
.LBB736_728:
	s_or_b64 exec, exec, s[0:1]
	s_movk_i32 s0, 0xff
	v_and_b32_sdwa v17, v3, s0 dst_sel:DWORD dst_unused:UNUSED_PAD src0_sel:WORD_1 src1_sel:DWORD
	v_lshrrev_b32_e32 v6, 16, v3
	v_cmp_ne_u16_e32 vcc, 0, v17
	v_mov_b32_e32 v7, 0
	v_mov_b32_e32 v8, 0
	s_and_saveexec_b64 s[0:1], vcc
	s_cbranch_execz .LBB736_734
; %bb.729:
	s_movk_i32 s3, 0x80
	v_cmp_ne_u16_e32 vcc, s3, v17
	v_mov_b32_e32 v8, 0xffff8000
	s_and_saveexec_b64 s[6:7], vcc
	s_cbranch_execz .LBB736_733
; %bb.730:
	v_bfe_u32 v17, v3, 16, 7
	s_movk_i32 s3, 0x7f
	v_cmp_ne_u32_e32 vcc, s3, v17
	v_mov_b32_e32 v8, 0x7f80
	s_and_saveexec_b64 s[8:9], vcc
	s_cbranch_execz .LBB736_732
; %bb.731:
	v_and_b32_e32 v8, 7, v6
	v_ffbh_u32_e32 v18, v8
	v_min_u32_e32 v21, 32, v18
	v_subrev_u32_e32 v18, 28, v21
	v_lshlrev_b64 v[18:19], v18, v[6:7]
	v_lshrrev_b32_e32 v20, 3, v17
	v_sub_u32_e32 v6, 29, v21
	v_and_b32_e32 v18, 7, v18
	v_cmp_gt_u32_e32 vcc, 8, v17
	v_mov_b32_e32 v17, 24
	v_cndmask_b32_e32 v6, v20, v6, vcc
	v_cndmask_b32_e32 v8, v8, v18, vcc
	v_lshlrev_b32_sdwa v17, v17, v3 dst_sel:DWORD dst_unused:UNUSED_PAD src0_sel:DWORD src1_sel:WORD_1
	v_bfrev_b32_e32 v18, 60
	v_lshlrev_b32_e32 v8, 20, v8
	v_and_b32_e32 v17, 0x80000000, v17
	v_lshl_add_u32 v6, v6, 23, v18
	v_or3_b32 v6, v17, v6, v8
	v_lshrrev_b32_e32 v8, 16, v6
.LBB736_732:
	s_or_b64 exec, exec, s[8:9]
.LBB736_733:
	s_or_b64 exec, exec, s[6:7]
.LBB736_734:
	s_or_b64 exec, exec, s[0:1]
	s_mov_b32 s0, -1
	s_mov_b32 s1, 0xffffff
	v_cmp_lt_u64_e32 vcc, s[0:1], v[2:3]
	s_and_saveexec_b64 s[0:1], vcc
	s_cbranch_execz .LBB736_740
; %bb.735:
	v_lshrrev_b32_e32 v2, 24, v3
	s_movk_i32 s3, 0x80
	v_cmp_ne_u32_e32 vcc, s3, v2
	v_mov_b32_e32 v7, 0xffff8000
	s_and_saveexec_b64 s[6:7], vcc
	s_cbranch_execz .LBB736_739
; %bb.736:
	v_bfe_u32 v3, v3, 24, 7
	s_movk_i32 s3, 0x7f
	v_cmp_ne_u32_e32 vcc, s3, v3
	v_mov_b32_e32 v7, 0x7f80
	s_and_saveexec_b64 s[8:9], vcc
	s_cbranch_execz .LBB736_738
; %bb.737:
	v_and_b32_e32 v17, 7, v2
	v_ffbh_u32_e32 v6, v17
	v_min_u32_e32 v19, 32, v6
	v_subrev_u32_e32 v6, 28, v19
	v_lshlrev_b64 v[6:7], v6, v[2:3]
	v_lshrrev_b32_e32 v18, 3, v3
	v_sub_u32_e32 v7, 29, v19
	v_and_b32_e32 v6, 7, v6
	v_cmp_gt_u32_e32 vcc, 8, v3
	v_cndmask_b32_e32 v3, v18, v7, vcc
	v_cndmask_b32_e32 v6, v17, v6, vcc
	v_lshlrev_b32_e32 v2, 24, v2
	v_bfrev_b32_e32 v7, 60
	v_lshlrev_b32_e32 v6, 20, v6
	v_and_b32_e32 v2, 0x80000000, v2
	v_lshl_add_u32 v3, v3, 23, v7
	v_or3_b32 v2, v2, v3, v6
	v_lshrrev_b32_e32 v7, 16, v2
.LBB736_738:
	s_or_b64 exec, exec, s[8:9]
.LBB736_739:
	s_or_b64 exec, exec, s[6:7]
.LBB736_740:
	s_or_b64 exec, exec, s[0:1]
	s_mov_b32 s0, 0x5040100
	v_perm_b32 v3, v12, v11, s0
	v_perm_b32 v2, v9, v10, s0
	;; [unrolled: 1-line block ×4, first 2 shown]
	v_mfma_f32_4x4x4bf16_1k a[0:3], v[14:15], v[2:3], a[0:3] cbsz:4 abid:12
	v_mov_b32_e32 v8, 0
	v_mfma_f32_4x4x4bf16_1k a[0:3], v[14:15], v[6:7], a[0:3] cbsz:4 abid:13
	v_mov_b32_e32 v7, 0
	v_cmp_ne_u16_sdwa s[6:7], v4, v7 src0_sel:BYTE_0 src1_sel:DWORD
	s_and_saveexec_b64 s[0:1], s[6:7]
	s_cbranch_execz .LBB736_746
; %bb.741:
	s_movk_i32 s3, 0x80
	v_cmp_ne_u16_sdwa s[8:9], v4, s3 src0_sel:BYTE_0 src1_sel:DWORD
	v_mov_b32_e32 v8, 0xffff8000
	s_and_saveexec_b64 s[6:7], s[8:9]
	s_cbranch_execz .LBB736_745
; %bb.742:
	s_movk_i32 s3, 0x7f
	v_and_b32_e32 v2, 0x7f, v4
	v_cmp_ne_u32_e32 vcc, s3, v2
	v_mov_b32_e32 v8, 0x7f80
	s_and_saveexec_b64 s[8:9], vcc
	s_cbranch_execz .LBB736_744
; %bb.743:
	v_and_b32_e32 v3, 7, v4
	v_ffbh_u32_e32 v3, v3
	v_min_u32_e32 v3, 32, v3
	v_subrev_u32_e32 v8, 28, v3
	v_cmp_gt_u32_e32 vcc, 8, v2
	v_lshrrev_b32_e32 v6, 3, v2
	v_sub_u32_e32 v3, 29, v3
	v_cndmask_b32_e32 v2, 0, v8, vcc
	v_cndmask_b32_e32 v6, v6, v3, vcc
	v_lshlrev_b64 v[2:3], v2, v[4:5]
	v_lshlrev_b32_e32 v2, 20, v2
	v_lshlrev_b32_e32 v3, 24, v4
	v_bfrev_b32_e32 v8, 60
	v_and_b32_e32 v2, 0x700000, v2
	v_and_b32_e32 v3, 0x80000000, v3
	v_lshl_add_u32 v6, v6, 23, v8
	v_or3_b32 v2, v3, v6, v2
	v_lshrrev_b32_e32 v8, 16, v2
.LBB736_744:
	s_or_b64 exec, exec, s[8:9]
.LBB736_745:
	s_or_b64 exec, exec, s[6:7]
.LBB736_746:
	s_or_b64 exec, exec, s[0:1]
	v_lshrrev_b16_e32 v2, 8, v4
	v_cmp_ne_u16_e32 vcc, 0, v2
	s_and_saveexec_b64 s[0:1], vcc
	s_cbranch_execz .LBB736_752
; %bb.747:
	s_movk_i32 s3, 0x80
	v_cmp_ne_u16_e32 vcc, s3, v2
	v_mov_b32_e32 v7, 0xffff8000
	s_and_saveexec_b64 s[6:7], vcc
	s_cbranch_execz .LBB736_751
; %bb.748:
	s_movk_i32 s3, 0x7f
	v_and_b32_e32 v3, 0x7f, v2
	v_cmp_ne_u32_e32 vcc, s3, v3
	v_mov_b32_e32 v7, 0x7f80
	s_and_saveexec_b64 s[8:9], vcc
	s_cbranch_execz .LBB736_750
; %bb.749:
	v_and_b32_e32 v9, 7, v2
	v_ffbh_u32_e32 v6, v9
	v_min_u32_e32 v11, 32, v6
	v_subrev_u32_e32 v6, 28, v11
	v_lshlrev_b64 v[6:7], v6, v[2:3]
	v_lshrrev_b32_e32 v10, 3, v3
	v_sub_u32_e32 v2, 29, v11
	v_and_b32_e32 v6, 7, v6
	v_cmp_gt_u32_e32 vcc, 8, v3
	v_cndmask_b32_e32 v2, v10, v2, vcc
	v_cndmask_b32_e32 v3, v9, v6, vcc
	v_lshlrev_b32_e32 v6, 16, v4
	v_bfrev_b32_e32 v7, 60
	v_lshlrev_b32_e32 v3, 20, v3
	v_and_b32_e32 v6, 0x80000000, v6
	v_lshl_add_u32 v2, v2, 23, v7
	v_or3_b32 v2, v6, v2, v3
	v_lshrrev_b32_e32 v7, 16, v2
.LBB736_750:
	s_or_b64 exec, exec, s[8:9]
.LBB736_751:
	s_or_b64 exec, exec, s[6:7]
.LBB736_752:
	s_or_b64 exec, exec, s[0:1]
	s_movk_i32 s0, 0xff
	v_and_b32_sdwa v6, v4, s0 dst_sel:DWORD dst_unused:UNUSED_PAD src0_sel:WORD_1 src1_sel:DWORD
	v_lshrrev_b32_e32 v2, 16, v4
	v_cmp_ne_u16_e32 vcc, 0, v6
	v_mov_b32_e32 v3, 0
	v_mov_b32_e32 v9, 0
	s_and_saveexec_b64 s[0:1], vcc
	s_cbranch_execz .LBB736_758
; %bb.753:
	s_movk_i32 s3, 0x80
	v_cmp_ne_u16_e32 vcc, s3, v6
	v_mov_b32_e32 v9, 0xffff8000
	s_and_saveexec_b64 s[6:7], vcc
	s_cbranch_execz .LBB736_757
; %bb.754:
	v_bfe_u32 v6, v4, 16, 7
	s_movk_i32 s3, 0x7f
	v_cmp_ne_u32_e32 vcc, s3, v6
	v_mov_b32_e32 v9, 0x7f80
	s_and_saveexec_b64 s[8:9], vcc
	s_cbranch_execz .LBB736_756
; %bb.755:
	v_and_b32_e32 v9, 7, v2
	v_ffbh_u32_e32 v10, v9
	v_min_u32_e32 v13, 32, v10
	v_subrev_u32_e32 v10, 28, v13
	v_lshlrev_b64 v[10:11], v10, v[2:3]
	v_and_b32_e32 v10, 7, v10
	v_cmp_gt_u32_e32 vcc, 8, v6
	v_lshrrev_b32_e32 v12, 3, v6
	v_sub_u32_e32 v2, 29, v13
	v_cndmask_b32_e32 v6, v9, v10, vcc
	v_mov_b32_e32 v9, 24
	v_cndmask_b32_e32 v2, v12, v2, vcc
	v_lshlrev_b32_sdwa v9, v9, v4 dst_sel:DWORD dst_unused:UNUSED_PAD src0_sel:DWORD src1_sel:WORD_1
	v_bfrev_b32_e32 v10, 60
	v_lshlrev_b32_e32 v6, 20, v6
	v_and_b32_e32 v9, 0x80000000, v9
	v_lshl_add_u32 v2, v2, 23, v10
	v_or3_b32 v2, v9, v2, v6
	v_lshrrev_b32_e32 v9, 16, v2
.LBB736_756:
	s_or_b64 exec, exec, s[8:9]
.LBB736_757:
	s_or_b64 exec, exec, s[6:7]
.LBB736_758:
	s_or_b64 exec, exec, s[0:1]
	s_mov_b32 s0, 0xffffff
	v_cmp_lt_u32_e32 vcc, s0, v4
	v_mov_b32_e32 v10, 0
	s_and_saveexec_b64 s[0:1], vcc
	s_cbranch_execz .LBB736_764
; %bb.759:
	v_lshrrev_b32_e32 v2, 24, v4
	s_movk_i32 s3, 0x80
	v_cmp_ne_u32_e32 vcc, s3, v2
	v_mov_b32_e32 v10, 0xffff8000
	s_and_saveexec_b64 s[6:7], vcc
	s_cbranch_execz .LBB736_763
; %bb.760:
	v_bfe_u32 v6, v4, 24, 7
	s_movk_i32 s3, 0x7f
	v_cmp_ne_u32_e32 vcc, s3, v6
	v_mov_b32_e32 v10, 0x7f80
	s_and_saveexec_b64 s[8:9], vcc
	s_cbranch_execz .LBB736_762
; %bb.761:
	v_and_b32_e32 v12, 7, v2
	v_ffbh_u32_e32 v10, v12
	v_min_u32_e32 v16, 32, v10
	v_subrev_u32_e32 v10, 28, v16
	v_lshlrev_b64 v[10:11], v10, v[2:3]
	v_lshrrev_b32_e32 v13, 3, v6
	v_sub_u32_e32 v11, 29, v16
	v_and_b32_e32 v10, 7, v10
	v_cmp_gt_u32_e32 vcc, 8, v6
	v_cndmask_b32_e32 v6, v13, v11, vcc
	v_cndmask_b32_e32 v10, v12, v10, vcc
	v_lshlrev_b32_e32 v2, 24, v2
	v_bfrev_b32_e32 v11, 60
	v_lshlrev_b32_e32 v10, 20, v10
	v_and_b32_e32 v2, 0x80000000, v2
	v_lshl_add_u32 v6, v6, 23, v11
	v_or3_b32 v2, v2, v6, v10
	v_lshrrev_b32_e32 v10, 16, v2
.LBB736_762:
	s_or_b64 exec, exec, s[8:9]
.LBB736_763:
	s_or_b64 exec, exec, s[6:7]
.LBB736_764:
	s_or_b64 exec, exec, s[0:1]
	v_mov_b32_e32 v11, 0
	v_mov_b32_e32 v2, v5
	v_cmp_ne_u16_sdwa s[6:7], v5, v11 src0_sel:BYTE_0 src1_sel:DWORD
	v_mov_b32_e32 v12, 0
	s_and_saveexec_b64 s[0:1], s[6:7]
	s_cbranch_execz .LBB736_770
; %bb.765:
	s_movk_i32 s3, 0x80
	v_cmp_ne_u16_sdwa s[8:9], v5, s3 src0_sel:BYTE_0 src1_sel:DWORD
	v_mov_b32_e32 v12, 0xffff8000
	s_and_saveexec_b64 s[6:7], s[8:9]
	s_cbranch_execz .LBB736_769
; %bb.766:
	s_movk_i32 s3, 0x7f
	v_and_b32_e32 v6, 0x7f, v5
	v_cmp_ne_u32_e32 vcc, s3, v6
	v_mov_b32_e32 v12, 0x7f80
	s_and_saveexec_b64 s[8:9], vcc
	s_cbranch_execz .LBB736_768
; %bb.767:
	v_and_b32_e32 v12, 7, v5
	v_ffbh_u32_e32 v12, v12
	v_min_u32_e32 v12, 32, v12
	v_lshrrev_b32_e32 v13, 3, v6
	v_subrev_u32_e32 v16, 28, v12
	v_sub_u32_e32 v12, 29, v12
	v_cmp_gt_u32_e32 vcc, 8, v6
	v_cndmask_b32_e32 v6, v13, v12, vcc
	v_cndmask_b32_e32 v12, 0, v16, vcc
	v_lshlrev_b64 v[12:13], v12, v[2:3]
	v_lshlrev_b32_e32 v3, 20, v12
	v_lshlrev_b32_e32 v12, 24, v2
	v_bfrev_b32_e32 v13, 60
	v_and_b32_e32 v3, 0x700000, v3
	v_and_b32_e32 v12, 0x80000000, v12
	v_lshl_add_u32 v6, v6, 23, v13
	v_or3_b32 v3, v12, v6, v3
	v_lshrrev_b32_e32 v12, 16, v3
.LBB736_768:
	s_or_b64 exec, exec, s[8:9]
.LBB736_769:
	s_or_b64 exec, exec, s[6:7]
.LBB736_770:
	s_or_b64 exec, exec, s[0:1]
	v_lshrrev_b16_e32 v6, 8, v2
	v_cmp_ne_u16_e32 vcc, 0, v6
	s_and_saveexec_b64 s[0:1], vcc
	s_cbranch_execz .LBB736_776
; %bb.771:
	s_movk_i32 s3, 0x80
	v_cmp_ne_u16_e32 vcc, s3, v6
	v_mov_b32_e32 v11, 0xffff8000
	s_and_saveexec_b64 s[6:7], vcc
	s_cbranch_execz .LBB736_775
; %bb.772:
	s_movk_i32 s3, 0x7f
	v_and_b32_e32 v3, 0x7f, v6
	v_cmp_ne_u32_e32 vcc, s3, v3
	v_mov_b32_e32 v11, 0x7f80
	s_and_saveexec_b64 s[8:9], vcc
	s_cbranch_execz .LBB736_774
; %bb.773:
	v_and_b32_e32 v11, 7, v6
	v_ffbh_u32_e32 v16, v11
	v_min_u32_e32 v18, 32, v16
	v_subrev_u32_e32 v16, 28, v18
	v_lshlrev_b64 v[16:17], v16, v[6:7]
	v_lshrrev_b32_e32 v13, 3, v3
	v_sub_u32_e32 v6, 29, v18
	v_and_b32_e32 v16, 7, v16
	v_cmp_gt_u32_e32 vcc, 8, v3
	v_cndmask_b32_e32 v3, v13, v6, vcc
	v_cndmask_b32_e32 v6, v11, v16, vcc
	v_lshlrev_b32_e32 v2, 16, v2
	v_bfrev_b32_e32 v11, 60
	v_lshlrev_b32_e32 v6, 20, v6
	v_and_b32_e32 v2, 0x80000000, v2
	v_lshl_add_u32 v3, v3, 23, v11
	v_or3_b32 v2, v2, v3, v6
	v_lshrrev_b32_e32 v11, 16, v2
.LBB736_774:
	s_or_b64 exec, exec, s[8:9]
.LBB736_775:
	s_or_b64 exec, exec, s[6:7]
.LBB736_776:
	s_or_b64 exec, exec, s[0:1]
	s_movk_i32 s0, 0xff
	v_and_b32_sdwa v13, v5, s0 dst_sel:DWORD dst_unused:UNUSED_PAD src0_sel:WORD_1 src1_sel:DWORD
	v_lshrrev_b32_e32 v2, 16, v5
	v_cmp_ne_u16_e32 vcc, 0, v13
	v_mov_b32_e32 v3, 0
	v_mov_b32_e32 v6, 0
	s_and_saveexec_b64 s[0:1], vcc
	s_cbranch_execz .LBB736_782
; %bb.777:
	s_movk_i32 s3, 0x80
	v_cmp_ne_u16_e32 vcc, s3, v13
	v_mov_b32_e32 v6, 0xffff8000
	s_and_saveexec_b64 s[6:7], vcc
	s_cbranch_execz .LBB736_781
; %bb.778:
	v_bfe_u32 v13, v5, 16, 7
	s_movk_i32 s3, 0x7f
	v_cmp_ne_u32_e32 vcc, s3, v13
	v_mov_b32_e32 v6, 0x7f80
	s_and_saveexec_b64 s[8:9], vcc
	s_cbranch_execz .LBB736_780
; %bb.779:
	v_and_b32_e32 v6, 7, v2
	v_ffbh_u32_e32 v16, v6
	v_min_u32_e32 v19, 32, v16
	v_subrev_u32_e32 v16, 28, v19
	v_lshlrev_b64 v[16:17], v16, v[2:3]
	v_lshrrev_b32_e32 v18, 3, v13
	v_sub_u32_e32 v2, 29, v19
	v_and_b32_e32 v16, 7, v16
	v_cmp_gt_u32_e32 vcc, 8, v13
	v_mov_b32_e32 v13, 24
	v_cndmask_b32_e32 v2, v18, v2, vcc
	v_cndmask_b32_e32 v6, v6, v16, vcc
	v_lshlrev_b32_sdwa v13, v13, v5 dst_sel:DWORD dst_unused:UNUSED_PAD src0_sel:DWORD src1_sel:WORD_1
	v_bfrev_b32_e32 v16, 60
	v_lshlrev_b32_e32 v6, 20, v6
	v_and_b32_e32 v13, 0x80000000, v13
	v_lshl_add_u32 v2, v2, 23, v16
	v_or3_b32 v2, v13, v2, v6
	v_lshrrev_b32_e32 v6, 16, v2
.LBB736_780:
	s_or_b64 exec, exec, s[8:9]
.LBB736_781:
	s_or_b64 exec, exec, s[6:7]
.LBB736_782:
	s_or_b64 exec, exec, s[0:1]
	s_mov_b32 s0, -1
	s_mov_b32 s1, 0xffffff
	v_cmp_lt_u64_e32 vcc, s[0:1], v[4:5]
	s_and_saveexec_b64 s[0:1], vcc
	s_cbranch_execz .LBB736_788
; %bb.783:
	v_lshrrev_b32_e32 v2, 24, v5
	s_movk_i32 s3, 0x80
	v_cmp_ne_u32_e32 vcc, s3, v2
	v_mov_b32_e32 v3, 0xffff8000
	s_and_saveexec_b64 s[6:7], vcc
	s_cbranch_execz .LBB736_787
; %bb.784:
	v_bfe_u32 v4, v5, 24, 7
	s_movk_i32 s3, 0x7f
	v_cmp_ne_u32_e32 vcc, s3, v4
	v_mov_b32_e32 v3, 0x7f80
	s_and_saveexec_b64 s[8:9], vcc
	s_cbranch_execz .LBB736_786
; %bb.785:
	v_and_b32_e32 v3, 7, v2
	v_ffbh_u32_e32 v13, v3
	v_min_u32_e32 v13, 32, v13
	v_subrev_u32_e32 v16, 28, v13
	v_lshlrev_b64 v[16:17], v16, v[2:3]
	v_lshrrev_b32_e32 v5, 3, v4
	v_sub_u32_e32 v13, 29, v13
	v_and_b32_e32 v16, 7, v16
	v_cmp_gt_u32_e32 vcc, 8, v4
	v_cndmask_b32_e32 v4, v5, v13, vcc
	v_cndmask_b32_e32 v3, v3, v16, vcc
	v_lshlrev_b32_e32 v2, 24, v2
	v_bfrev_b32_e32 v5, 60
	v_lshlrev_b32_e32 v3, 20, v3
	v_and_b32_e32 v2, 0x80000000, v2
	v_lshl_add_u32 v4, v4, 23, v5
	v_or3_b32 v2, v2, v4, v3
	v_lshrrev_b32_e32 v3, 16, v2
.LBB736_786:
	s_or_b64 exec, exec, s[8:9]
.LBB736_787:
	s_or_b64 exec, exec, s[6:7]
.LBB736_788:
	s_or_b64 exec, exec, s[0:1]
	s_mov_b32 s0, 0x5040100
	v_perm_b32 v5, v10, v9, s0
	v_perm_b32 v4, v7, v8, s0
	;; [unrolled: 1-line block ×4, first 2 shown]
	v_mfma_f32_4x4x4bf16_1k a[0:3], v[14:15], v[4:5], a[0:3] cbsz:4 abid:14
	s_load_dword s0, s[14:15], 0x0
	v_mfma_f32_4x4x4bf16_1k a[0:3], v[14:15], v[2:3], a[0:3] cbsz:4 abid:15
	s_nop 4
	v_accvgpr_read_b32 v5, a1
	v_accvgpr_read_b32 v4, a0
	;; [unrolled: 1-line block ×4, first 2 shown]
	s_waitcnt lgkmcnt(0)
	v_pk_mul_f32 v[4:5], v[4:5], s[0:1] op_sel_hi:[1,0]
	v_pk_mul_f32 v[2:3], v[2:3], s[0:1] op_sel_hi:[1,0]
	v_bfe_u32 v6, v5, 16, 1
	v_bfe_u32 v7, v4, 16, 1
	s_movk_i32 s0, 0x7fff
	v_add3_u32 v4, v4, v7, s0
	v_add3_u32 v5, v5, v6, s0
	v_bfe_u32 v6, v3, 16, 1
	v_bfe_u32 v7, v2, 16, 1
	v_add3_u32 v2, v2, v7, s0
	v_add3_u32 v3, v3, v6, s0
	s_mov_b32 s0, 0x7060302
	v_perm_b32 v23, v3, v2, s0
	v_perm_b32 v22, v5, v4, s0
.LBB736_789:
	s_or_b64 exec, exec, s[4:5]
	v_lshlrev_b32_e32 v1, 3, v1
	v_mad_u32_u24 v1, v42, 40, v1
	v_cmp_gt_u32_e32 vcc, 64, v0
	ds_write_b64 v1, v[22:23]
	s_waitcnt lgkmcnt(0)
	s_barrier
	s_and_saveexec_b64 s[0:1], vcc
	s_cbranch_execz .LBB736_791
; %bb.790:
	v_mul_u32_u24_e32 v1, 40, v42
	s_waitcnt vmcnt(1)
	ds_read2_b64 v[2:5], v1 offset1:1
	s_waitcnt vmcnt(0)
	ds_read2_b64 v[6:9], v1 offset0:2 offset1:3
	s_mov_b32 s1, 0
	s_lshl_b32 s0, s2, 6
	s_lshl_b64 s[2:3], s[0:1], 1
	s_waitcnt lgkmcnt(1)
	v_and_b32_e32 v1, 0xffff0000, v2
	v_lshlrev_b32_e32 v3, 16, v3
	v_add_f32_e32 v1, 0, v1
	v_add_f32_e32 v3, 0, v3
	v_and_b32_e32 v1, 0xffff0000, v1
	v_and_b32_e32 v10, 0xffff0000, v4
	v_and_b32_e32 v3, 0xffff0000, v3
	v_add_f32_e32 v1, v1, v10
	v_lshlrev_b32_e32 v5, 16, v5
	v_and_b32_e32 v1, 0xffff0000, v1
	v_add_f32_e32 v3, v3, v5
	s_waitcnt lgkmcnt(0)
	v_and_b32_e32 v5, 0xffff0000, v6
	v_and_b32_e32 v3, 0xffff0000, v3
	v_add_f32_e32 v1, v1, v5
	v_lshlrev_b32_e32 v5, 16, v7
	v_and_b32_e32 v1, 0xffff0000, v1
	v_add_f32_e32 v3, v3, v5
	v_and_b32_e32 v5, 0xffff0000, v8
	v_lshlrev_b32_e32 v2, 16, v2
	v_and_b32_e32 v3, 0xffff0000, v3
	v_add_f32_e32 v1, v1, v5
	v_lshlrev_b32_e32 v5, 16, v9
	s_add_u32 s2, s30, s2
	v_add_f32_e32 v2, 0, v2
	v_add_f32_e32 v7, v3, v5
	s_addc_u32 s3, s31, s3
	s_lshl_b32 s0, s28, 6
	v_and_b32_e32 v2, 0xffff0000, v2
	v_lshlrev_b32_e32 v3, 16, v4
	s_lshl_b64 s[0:1], s[0:1], 1
	v_add_f32_e32 v2, v2, v3
	s_add_u32 s0, s2, s0
	v_and_b32_e32 v2, 0xffff0000, v2
	v_lshlrev_b32_e32 v3, 16, v6
	s_addc_u32 s1, s3, s1
	s_lshl_b32 s2, s33, 6
	v_add_f32_e32 v2, v2, v3
	v_and_b32_e32 v2, 0xffff0000, v2
	v_lshlrev_b32_e32 v3, 16, v8
	s_mul_i32 s3, s2, s10
	v_add_f32_e32 v6, v2, v3
	v_or_b32_e32 v2, s3, v0
	v_mov_b32_e32 v3, 0
	v_lshlrev_b64 v[4:5], 1, v[2:3]
	v_mov_b32_e32 v2, s1
	v_add_co_u32_e32 v4, vcc, s0, v4
	s_add_i32 s3, s3, s2
	v_addc_co_u32_e32 v5, vcc, v2, v5, vcc
	v_or_b32_e32 v2, s3, v0
	global_store_short_d16_hi v[4:5], v6, off
	v_lshlrev_b64 v[4:5], 1, v[2:3]
	v_mov_b32_e32 v2, s1
	v_add_co_u32_e32 v4, vcc, s0, v4
	s_add_i32 s3, s3, s2
	v_addc_co_u32_e32 v5, vcc, v2, v5, vcc
	v_or_b32_e32 v2, s3, v0
	global_store_short_d16_hi v[4:5], v1, off
	v_lshlrev_b64 v[0:1], 1, v[2:3]
	v_mov_b32_e32 v2, s1
	v_add_co_u32_e32 v0, vcc, s0, v0
	v_addc_co_u32_e32 v1, vcc, v2, v1, vcc
	global_store_short_d16_hi v[0:1], v7, off
.LBB736_791:
	s_endpgm
	.section	.rodata,"a",@progbits
	.p2align	6, 0x0
	.amdhsa_kernel _Z38paged_attention_ll4mi_QKV_mfma4_kernelI14__hip_bfloat16hLN4vllm18Fp8KVCacheDataTypeE1ES0_Li32ELi64ELi256ELb0ELi3EEvPKT_PKT0_S8_ifPKiSA_SA_iPKfiiiPfSD_PS3_PT2_iSC_SC_
		.amdhsa_group_segment_fixed_size 2720
		.amdhsa_private_segment_fixed_size 0
		.amdhsa_kernarg_size 400
		.amdhsa_user_sgpr_count 6
		.amdhsa_user_sgpr_private_segment_buffer 1
		.amdhsa_user_sgpr_dispatch_ptr 0
		.amdhsa_user_sgpr_queue_ptr 0
		.amdhsa_user_sgpr_kernarg_segment_ptr 1
		.amdhsa_user_sgpr_dispatch_id 0
		.amdhsa_user_sgpr_flat_scratch_init 0
		.amdhsa_user_sgpr_kernarg_preload_length 0
		.amdhsa_user_sgpr_kernarg_preload_offset 0
		.amdhsa_user_sgpr_private_segment_size 0
		.amdhsa_uses_dynamic_stack 0
		.amdhsa_system_sgpr_private_segment_wavefront_offset 0
		.amdhsa_system_sgpr_workgroup_id_x 1
		.amdhsa_system_sgpr_workgroup_id_y 1
		.amdhsa_system_sgpr_workgroup_id_z 1
		.amdhsa_system_sgpr_workgroup_info 0
		.amdhsa_system_vgpr_workitem_id 0
		.amdhsa_next_free_vgpr 60
		.amdhsa_next_free_sgpr 42
		.amdhsa_accum_offset 56
		.amdhsa_reserve_vcc 1
		.amdhsa_reserve_flat_scratch 0
		.amdhsa_float_round_mode_32 0
		.amdhsa_float_round_mode_16_64 0
		.amdhsa_float_denorm_mode_32 3
		.amdhsa_float_denorm_mode_16_64 3
		.amdhsa_dx10_clamp 1
		.amdhsa_ieee_mode 1
		.amdhsa_fp16_overflow 0
		.amdhsa_tg_split 0
		.amdhsa_exception_fp_ieee_invalid_op 0
		.amdhsa_exception_fp_denorm_src 0
		.amdhsa_exception_fp_ieee_div_zero 0
		.amdhsa_exception_fp_ieee_overflow 0
		.amdhsa_exception_fp_ieee_underflow 0
		.amdhsa_exception_fp_ieee_inexact 0
		.amdhsa_exception_int_div_zero 0
	.end_amdhsa_kernel
	.section	.text._Z38paged_attention_ll4mi_QKV_mfma4_kernelI14__hip_bfloat16hLN4vllm18Fp8KVCacheDataTypeE1ES0_Li32ELi64ELi256ELb0ELi3EEvPKT_PKT0_S8_ifPKiSA_SA_iPKfiiiPfSD_PS3_PT2_iSC_SC_,"axG",@progbits,_Z38paged_attention_ll4mi_QKV_mfma4_kernelI14__hip_bfloat16hLN4vllm18Fp8KVCacheDataTypeE1ES0_Li32ELi64ELi256ELb0ELi3EEvPKT_PKT0_S8_ifPKiSA_SA_iPKfiiiPfSD_PS3_PT2_iSC_SC_,comdat
.Lfunc_end736:
	.size	_Z38paged_attention_ll4mi_QKV_mfma4_kernelI14__hip_bfloat16hLN4vllm18Fp8KVCacheDataTypeE1ES0_Li32ELi64ELi256ELb0ELi3EEvPKT_PKT0_S8_ifPKiSA_SA_iPKfiiiPfSD_PS3_PT2_iSC_SC_, .Lfunc_end736-_Z38paged_attention_ll4mi_QKV_mfma4_kernelI14__hip_bfloat16hLN4vllm18Fp8KVCacheDataTypeE1ES0_Li32ELi64ELi256ELb0ELi3EEvPKT_PKT0_S8_ifPKiSA_SA_iPKfiiiPfSD_PS3_PT2_iSC_SC_
                                        ; -- End function
	.section	.AMDGPU.csdata,"",@progbits
; Kernel info:
; codeLenInByte = 29136
; NumSgprs: 46
; NumVgprs: 55
; NumAgprs: 4
; TotalNumVgprs: 60
; ScratchSize: 0
; MemoryBound: 0
; FloatMode: 240
; IeeeMode: 1
; LDSByteSize: 2720 bytes/workgroup (compile time only)
; SGPRBlocks: 5
; VGPRBlocks: 7
; NumSGPRsForWavesPerEU: 46
; NumVGPRsForWavesPerEU: 60
; AccumOffset: 56
; Occupancy: 8
; WaveLimiterHint : 1
; COMPUTE_PGM_RSRC2:SCRATCH_EN: 0
; COMPUTE_PGM_RSRC2:USER_SGPR: 6
; COMPUTE_PGM_RSRC2:TRAP_HANDLER: 0
; COMPUTE_PGM_RSRC2:TGID_X_EN: 1
; COMPUTE_PGM_RSRC2:TGID_Y_EN: 1
; COMPUTE_PGM_RSRC2:TGID_Z_EN: 1
; COMPUTE_PGM_RSRC2:TIDIG_COMP_CNT: 0
; COMPUTE_PGM_RSRC3_GFX90A:ACCUM_OFFSET: 13
; COMPUTE_PGM_RSRC3_GFX90A:TG_SPLIT: 0
	.section	.text._Z38paged_attention_ll4mi_QKV_mfma4_kernelI14__hip_bfloat16hLN4vllm18Fp8KVCacheDataTypeE1ES0_Li32ELi64ELi256ELb0ELi4EEvPKT_PKT0_S8_ifPKiSA_SA_iPKfiiiPfSD_PS3_PT2_iSC_SC_,"axG",@progbits,_Z38paged_attention_ll4mi_QKV_mfma4_kernelI14__hip_bfloat16hLN4vllm18Fp8KVCacheDataTypeE1ES0_Li32ELi64ELi256ELb0ELi4EEvPKT_PKT0_S8_ifPKiSA_SA_iPKfiiiPfSD_PS3_PT2_iSC_SC_,comdat
	.protected	_Z38paged_attention_ll4mi_QKV_mfma4_kernelI14__hip_bfloat16hLN4vllm18Fp8KVCacheDataTypeE1ES0_Li32ELi64ELi256ELb0ELi4EEvPKT_PKT0_S8_ifPKiSA_SA_iPKfiiiPfSD_PS3_PT2_iSC_SC_ ; -- Begin function _Z38paged_attention_ll4mi_QKV_mfma4_kernelI14__hip_bfloat16hLN4vllm18Fp8KVCacheDataTypeE1ES0_Li32ELi64ELi256ELb0ELi4EEvPKT_PKT0_S8_ifPKiSA_SA_iPKfiiiPfSD_PS3_PT2_iSC_SC_
	.globl	_Z38paged_attention_ll4mi_QKV_mfma4_kernelI14__hip_bfloat16hLN4vllm18Fp8KVCacheDataTypeE1ES0_Li32ELi64ELi256ELb0ELi4EEvPKT_PKT0_S8_ifPKiSA_SA_iPKfiiiPfSD_PS3_PT2_iSC_SC_
	.p2align	8
	.type	_Z38paged_attention_ll4mi_QKV_mfma4_kernelI14__hip_bfloat16hLN4vllm18Fp8KVCacheDataTypeE1ES0_Li32ELi64ELi256ELb0ELi4EEvPKT_PKT0_S8_ifPKiSA_SA_iPKfiiiPfSD_PS3_PT2_iSC_SC_,@function
_Z38paged_attention_ll4mi_QKV_mfma4_kernelI14__hip_bfloat16hLN4vllm18Fp8KVCacheDataTypeE1ES0_Li32ELi64ELi256ELb0ELi4EEvPKT_PKT0_S8_ifPKiSA_SA_iPKfiiiPfSD_PS3_PT2_iSC_SC_: ; @_Z38paged_attention_ll4mi_QKV_mfma4_kernelI14__hip_bfloat16hLN4vllm18Fp8KVCacheDataTypeE1ES0_Li32ELi64ELi256ELb0ELi4EEvPKT_PKT0_S8_ifPKiSA_SA_iPKfiiiPfSD_PS3_PT2_iSC_SC_
; %bb.0:
	s_load_dwordx2 s[2:3], s[4:5], 0x30
	s_mov_b32 s28, s7
	s_mov_b64 s[0:1], 0
	s_waitcnt lgkmcnt(0)
	s_cmp_lg_u64 s[2:3], 0
	s_cselect_b64 s[10:11], -1, 0
	s_and_b64 vcc, exec, s[10:11]
	s_cbranch_vccz .LBB737_786
; %bb.1:
	s_add_i32 s12, s6, 1
	s_mov_b32 s13, 0
	s_lshl_b64 s[14:15], s[12:13], 2
	s_add_u32 s14, s2, s14
	s_mov_b32 s7, s13
	s_addc_u32 s15, s3, s15
	s_lshl_b64 s[12:13], s[6:7], 2
	s_add_u32 s12, s2, s12
	s_addc_u32 s13, s3, s13
	s_load_dword s9, s[14:15], 0x0
	s_load_dword s16, s[12:13], 0x0
	s_mov_b64 s[38:39], s[6:7]
	s_waitcnt lgkmcnt(0)
	s_sub_i32 s9, s9, s16
	s_cmp_eq_u32 s9, 1
	s_cselect_b64 s[12:13], -1, 0
	s_andn2_b64 vcc, exec, s[0:1]
	s_cbranch_vccnz .LBB737_3
.LBB737_2:
	s_mov_b32 s7, 0
	s_mov_b64 s[12:13], -1
	s_mov_b64 s[38:39], s[6:7]
.LBB737_3:
	s_andn2_b64 vcc, exec, s[12:13]
	s_cbranch_vccnz .LBB737_785
; %bb.4:
	s_load_dword s7, s[4:5], 0x9c
	s_load_dwordx2 s[0:1], s[4:5], 0x28
	s_add_u32 s34, s4, 0x90
	s_addc_u32 s35, s5, 0
	s_lshl_b64 s[20:21], s[38:39], 2
	s_waitcnt lgkmcnt(0)
	s_and_b32 s9, s7, 0xffff
	s_add_u32 s0, s0, s20
	s_addc_u32 s1, s1, s21
	s_load_dword s7, s[0:1], 0x0
	s_mul_i32 s9, s28, s9
	s_waitcnt lgkmcnt(0)
	s_cmp_ge_i32 s9, s7
	s_cbranch_scc1 .LBB737_785
; %bb.5:
	v_and_b32_e32 v2, 0xc0, v0
	v_add_u32_e32 v4, s9, v2
	v_lshrrev_b32_e32 v1, 6, v0
	v_cmp_gt_i32_e64 s[0:1], s7, v4
	v_cmp_le_i32_e32 vcc, s7, v4
                                        ; implicit-def: $sgpr23
                                        ; implicit-def: $sgpr22
	s_and_saveexec_b64 s[12:13], vcc
	s_xor_b64 s[12:13], exec, s[12:13]
	s_cbranch_execz .LBB737_7
; %bb.6:
	v_mul_u32_u24_e32 v2, 20, v1
	v_or_b32_e32 v2, 0xa00, v2
	v_mov_b32_e32 v3, 0xa50
	v_mov_b32_e32 v4, 0xff7fffff
	v_mad_u32_u24 v3, v1, 20, v3
	ds_write2_b32 v2, v4, v4 offset1:1
	v_mov_b32_e32 v2, 0
	ds_write2_b32 v3, v2, v2 offset1:1
	v_mov_b32_e32 v3, 0xa08
	s_mov_b32 s22, 0xff7fffff
	s_mov_b32 s23, 0
	v_mad_u32_u24 v3, v1, 20, v3
	v_mov_b32_e32 v5, 0xa58
	v_mad_u32_u24 v5, v1, 20, v5
	ds_write2_b32 v3, v4, v4 offset1:1
	ds_write2_b32 v5, v2, v2 offset1:1
                                        ; implicit-def: $vgpr4
.LBB737_7:
	s_or_saveexec_b64 s[36:37], s[12:13]
	s_load_dwordx2 s[30:31], s[4:5], 0x68
	s_load_dwordx4 s[16:19], s[4:5], 0x58
	s_load_dword s33, s[34:35], 0x4
	s_load_dwordx4 s[12:15], s[4:5], 0x80
	v_and_b32_e32 v42, 63, v0
	v_and_b32_e32 v43, 3, v0
	v_mov_b32_e32 v21, s23
	v_mov_b32_e32 v25, s22
	;; [unrolled: 1-line block ×5, first 2 shown]
                                        ; implicit-def: $vgpr14_vgpr15
                                        ; implicit-def: $vgpr10_vgpr11
                                        ; implicit-def: $vgpr6_vgpr7
                                        ; implicit-def: $vgpr2_vgpr3
	s_xor_b64 exec, exec, s[36:37]
	s_cbranch_execz .LBB737_397
; %bb.8:
	s_add_i32 s25, s7, 31
	s_ashr_i32 s26, s25, 31
	s_load_dwordx2 s[22:23], s[4:5], 0x20
	s_load_dword s24, s[4:5], 0x38
	s_lshr_b32 s26, s26, 27
	v_add_u32_e32 v44, s9, v0
	s_add_i32 s25, s25, s26
	v_ashrrev_i32_e32 v2, 31, v44
	s_ashr_i32 s25, s25, 5
	v_lshrrev_b32_e32 v2, 27, v2
	s_add_i32 s26, s25, -1
	v_add_u32_e32 v2, v44, v2
	v_ashrrev_i32_e32 v2, 5, v2
	v_mov_b32_e32 v3, s26
	v_cmp_gt_i32_e32 vcc, s7, v44
	s_waitcnt lgkmcnt(0)
	s_mul_i32 s40, s6, s24
	s_mov_b32 s41, 0
	v_cndmask_b32_e32 v2, v3, v2, vcc
	s_lshl_b64 s[24:25], s[40:41], 2
	v_ashrrev_i32_e32 v3, 31, v2
	s_add_u32 s22, s22, s24
	v_lshlrev_b64 v[2:3], 2, v[2:3]
	v_add_co_u32_e32 v6, vcc, s22, v2
	v_ashrrev_i32_e32 v2, 31, v4
	v_lshrrev_b32_e32 v2, 27, v2
	v_add_u32_e32 v2, v4, v2
	s_addc_u32 s23, s23, s25
	v_ashrrev_i32_e32 v4, 5, v2
	v_mov_b32_e32 v5, s23
	v_min_i32_e32 v2, s26, v4
	v_addc_co_u32_e32 v7, vcc, v5, v3, vcc
	v_ashrrev_i32_e32 v3, 31, v2
	v_lshlrev_b64 v[2:3], 2, v[2:3]
	v_add_co_u32_e32 v8, vcc, s22, v2
	v_add_u32_e32 v2, 1, v4
	v_min_i32_e32 v2, s26, v2
	v_addc_co_u32_e32 v9, vcc, v5, v3, vcc
	v_ashrrev_i32_e32 v3, 31, v2
	v_lshlrev_b64 v[2:3], 2, v[2:3]
	v_mov_b32_e32 v4, s23
	v_add_co_u32_e32 v10, vcc, s22, v2
	v_addc_co_u32_e32 v11, vcc, v4, v3, vcc
	global_load_dword v4, v[6:7], off
	global_load_dword v3, v[8:9], off
	;; [unrolled: 1-line block ×3, first 2 shown]
	s_load_dwordx4 s[24:27], s[4:5], 0x0
	s_load_dwordx2 s[42:43], s[4:5], 0x10
	s_andn2_b64 vcc, exec, s[10:11]
	s_cbranch_vccnz .LBB737_10
; %bb.9:
	s_add_u32 s2, s2, s20
	s_addc_u32 s3, s3, s21
	s_load_dword s40, s[2:3], 0x0
	s_waitcnt lgkmcnt(0)
	s_mov_b64 s[38:39], s[40:41]
.LBB737_10:
	s_load_dwordx4 s[20:23], s[4:5], 0x48
	v_lshrrev_b32_e32 v5, 2, v42
	v_lshlrev_b32_e32 v6, 3, v43
	v_add_lshl_u32 v5, v6, v5, 4
	v_mov_b32_e32 v39, 0
	s_waitcnt lgkmcnt(0)
	s_ashr_i32 s3, s20, 31
	s_mul_hi_u32 s9, s38, s20
	s_mul_i32 s3, s38, s3
	s_mul_i32 s10, s39, s20
	s_add_i32 s3, s9, s3
	s_mul_i32 s2, s38, s20
	s_add_i32 s3, s3, s10
	s_lshl_b64 s[2:3], s[2:3], 1
	s_add_u32 s9, s24, s2
	s_addc_u32 s10, s25, s3
	s_lshl_b32 s40, s8, 8
	s_lshl_b64 s[2:3], s[40:41], 1
	s_add_u32 s2, s9, s2
	s_addc_u32 s3, s10, s3
	s_mul_i32 s9, s8, s22
	global_load_dwordx4 v[18:21], v5, s[2:3]
	s_add_u32 s2, s9, s26
	s_addc_u32 s3, 0, s27
	v_pk_mov_b32 v[6:7], s[2:3], s[2:3] op_sel:[0,1]
	s_waitcnt vmcnt(3)
	v_mad_i64_i32 v[4:5], s[2:3], v4, s21, v[6:7]
	v_lshlrev_b32_e32 v6, 4, v0
	v_and_b32_e32 v6, 0x1f0, v6
	v_add_co_u32_e32 v4, vcc, v4, v6
	v_addc_co_u32_e32 v5, vcc, 0, v5, vcc
	global_load_dwordx4 v[34:37], v[4:5], off
	global_load_dwordx4 v[30:33], v[4:5], off offset:512
	global_load_dwordx4 v[26:29], v[4:5], off offset:1024
	;; [unrolled: 1-line block ×3, first 2 shown]
	s_add_u32 s2, s42, s9
	v_lshlrev_b32_e32 v4, 5, v42
	v_add_co_u32_e32 v6, vcc, s2, v4
	s_waitcnt vmcnt(6)
	v_mul_hi_i32 v4, v3, s21
	s_addc_u32 s3, s43, 0
	v_ashrrev_i32_e32 v4, 31, v4
	v_mov_b32_e32 v5, s3
	v_lshrrev_b32_e32 v38, 29, v4
	v_addc_co_u32_e32 v7, vcc, 0, v5, vcc
	v_mad_i64_i32 v[4:5], s[2:3], v3, s21, v[38:39]
	v_and_b32_e32 v3, -8, v4
	v_add_co_u32_e32 v4, vcc, v6, v3
	s_waitcnt vmcnt(5)
	v_mul_hi_i32 v3, v2, s21
	v_ashrrev_i32_e32 v3, 31, v3
	v_lshrrev_b32_e32 v38, 29, v3
	v_mad_i64_i32 v[2:3], s[2:3], v2, s21, v[38:39]
	v_addc_co_u32_e32 v5, vcc, v7, v5, vcc
	v_and_b32_e32 v2, -8, v2
	v_add_co_u32_e32 v40, vcc, v6, v2
	v_addc_co_u32_e32 v41, vcc, v7, v3, vcc
	global_load_dwordx4 v[10:13], v[4:5], off offset:16
	global_load_dwordx4 v[14:17], v[4:5], off
	s_nop 0
	global_load_dwordx4 v[2:5], v[40:41], off offset:16
	global_load_dwordx4 v[6:9], v[40:41], off
	v_mov_b32_e32 v45, 0
	s_waitcnt vmcnt(7)
	v_cmp_ne_u16_sdwa s[10:11], v34, v39 src0_sel:BYTE_0 src1_sel:DWORD
	s_and_saveexec_b64 s[2:3], s[10:11]
	s_cbranch_execz .LBB737_16
; %bb.11:
	s_movk_i32 s9, 0x80
	v_cmp_ne_u16_sdwa s[20:21], v34, s9 src0_sel:BYTE_0 src1_sel:DWORD
	v_mov_b32_e32 v45, 0xffff8000
	s_and_saveexec_b64 s[10:11], s[20:21]
	s_cbranch_execz .LBB737_15
; %bb.12:
	s_movk_i32 s9, 0x7f
	v_and_b32_e32 v38, 0x7f, v34
	v_cmp_ne_u32_e32 vcc, s9, v38
	v_mov_b32_e32 v45, 0x7f80
	s_and_saveexec_b64 s[20:21], vcc
	s_cbranch_execz .LBB737_14
; %bb.13:
	v_and_b32_e32 v40, 7, v34
	v_ffbh_u32_e32 v40, v40
	v_min_u32_e32 v40, 32, v40
	v_lshrrev_b32_e32 v41, 3, v38
	v_subrev_u32_e32 v45, 28, v40
	v_sub_u32_e32 v40, 29, v40
	v_cmp_gt_u32_e32 vcc, 8, v38
	v_cndmask_b32_e32 v38, v41, v40, vcc
	v_cndmask_b32_e32 v40, 0, v45, vcc
	v_lshlrev_b64 v[40:41], v40, v[34:35]
	v_lshlrev_b32_e32 v40, 20, v40
	v_lshlrev_b32_e32 v41, 24, v34
	v_bfrev_b32_e32 v45, 60
	v_and_b32_e32 v40, 0x700000, v40
	v_and_b32_e32 v41, 0x80000000, v41
	v_lshl_add_u32 v38, v38, 23, v45
	v_or3_b32 v38, v41, v38, v40
	v_lshrrev_b32_e32 v45, 16, v38
.LBB737_14:
	s_or_b64 exec, exec, s[20:21]
.LBB737_15:
	s_or_b64 exec, exec, s[10:11]
.LBB737_16:
	s_or_b64 exec, exec, s[2:3]
	v_lshrrev_b16_e32 v38, 8, v34
	v_cmp_ne_u16_e32 vcc, 0, v38
	s_and_saveexec_b64 s[2:3], vcc
	s_cbranch_execz .LBB737_22
; %bb.17:
	s_movk_i32 s9, 0x80
	v_cmp_ne_u16_sdwa s[20:21], v34, s9 src0_sel:BYTE_1 src1_sel:DWORD
	v_mov_b32_e32 v39, 0xffff8000
	s_and_saveexec_b64 s[10:11], s[20:21]
	s_cbranch_execz .LBB737_21
; %bb.18:
	s_movk_i32 s9, 0x7f
	v_and_b32_e32 v40, 0x7f, v38
	v_cmp_ne_u32_e32 vcc, s9, v40
	v_mov_b32_e32 v39, 0x7f80
	s_and_saveexec_b64 s[20:21], vcc
	s_cbranch_execz .LBB737_20
; %bb.19:
	v_and_b32_e32 v41, 7, v38
	v_ffbh_u32_e32 v39, v41
	v_min_u32_e32 v47, 32, v39
	v_subrev_u32_e32 v39, 28, v47
	v_lshlrev_b64 v[38:39], v39, v[38:39]
	v_lshrrev_b32_e32 v46, 3, v40
	v_sub_u32_e32 v39, 29, v47
	v_and_b32_e32 v38, 7, v38
	v_cmp_gt_u32_e32 vcc, 8, v40
	v_cndmask_b32_e32 v39, v46, v39, vcc
	v_cndmask_b32_e32 v38, v41, v38, vcc
	v_lshlrev_b32_e32 v40, 16, v34
	v_bfrev_b32_e32 v41, 60
	v_lshlrev_b32_e32 v38, 20, v38
	v_and_b32_e32 v40, 0x80000000, v40
	v_lshl_add_u32 v39, v39, 23, v41
	v_or3_b32 v38, v40, v39, v38
	v_lshrrev_b32_e32 v39, 16, v38
.LBB737_20:
	s_or_b64 exec, exec, s[20:21]
.LBB737_21:
	s_or_b64 exec, exec, s[10:11]
.LBB737_22:
	s_or_b64 exec, exec, s[2:3]
	s_movk_i32 s2, 0xff
	v_and_b32_sdwa v40, v34, s2 dst_sel:DWORD dst_unused:UNUSED_PAD src0_sel:WORD_1 src1_sel:DWORD
	v_lshrrev_b32_e32 v38, 16, v34
	v_cmp_ne_u16_e32 vcc, 0, v40
	v_mov_b32_e32 v41, 0
	v_mov_b32_e32 v46, 0
	s_and_saveexec_b64 s[2:3], vcc
	s_cbranch_execz .LBB737_28
; %bb.23:
	s_movk_i32 s9, 0x80
	v_cmp_ne_u16_e32 vcc, s9, v40
	v_mov_b32_e32 v46, 0xffff8000
	s_and_saveexec_b64 s[10:11], vcc
	s_cbranch_execz .LBB737_27
; %bb.24:
	v_bfe_u32 v40, v34, 16, 7
	s_movk_i32 s9, 0x7f
	v_cmp_ne_u32_e32 vcc, s9, v40
	v_mov_b32_e32 v46, 0x7f80
	s_and_saveexec_b64 s[20:21], vcc
	s_cbranch_execz .LBB737_26
; %bb.25:
	v_and_b32_e32 v48, 7, v38
	v_ffbh_u32_e32 v46, v48
	v_min_u32_e32 v50, 32, v46
	v_subrev_u32_e32 v46, 28, v50
	v_lshlrev_b64 v[46:47], v46, v[38:39]
	v_and_b32_e32 v46, 7, v46
	v_cmp_gt_u32_e32 vcc, 8, v40
	v_lshrrev_b32_e32 v49, 3, v40
	v_sub_u32_e32 v38, 29, v50
	v_cndmask_b32_e32 v40, v48, v46, vcc
	v_mov_b32_e32 v46, 24
	v_cndmask_b32_e32 v38, v49, v38, vcc
	v_lshlrev_b32_sdwa v46, v46, v34 dst_sel:DWORD dst_unused:UNUSED_PAD src0_sel:DWORD src1_sel:WORD_1
	v_bfrev_b32_e32 v47, 60
	v_lshlrev_b32_e32 v40, 20, v40
	v_and_b32_e32 v46, 0x80000000, v46
	v_lshl_add_u32 v38, v38, 23, v47
	v_or3_b32 v38, v46, v38, v40
	v_lshrrev_b32_e32 v46, 16, v38
.LBB737_26:
	s_or_b64 exec, exec, s[20:21]
.LBB737_27:
	s_or_b64 exec, exec, s[10:11]
.LBB737_28:
	s_or_b64 exec, exec, s[2:3]
	s_mov_b32 s2, 0xffffff
	v_cmp_lt_u32_e32 vcc, s2, v34
	v_mov_b32_e32 v47, 0
	s_and_saveexec_b64 s[2:3], vcc
	s_cbranch_execz .LBB737_34
; %bb.29:
	v_lshrrev_b32_e32 v38, 24, v34
	s_movk_i32 s9, 0x80
	v_cmp_ne_u32_e32 vcc, s9, v38
	v_mov_b32_e32 v47, 0xffff8000
	s_and_saveexec_b64 s[10:11], vcc
	s_cbranch_execz .LBB737_33
; %bb.30:
	v_bfe_u32 v40, v34, 24, 7
	s_movk_i32 s9, 0x7f
	v_cmp_ne_u32_e32 vcc, s9, v40
	v_mov_b32_e32 v47, 0x7f80
	s_and_saveexec_b64 s[20:21], vcc
	s_cbranch_execz .LBB737_32
; %bb.31:
	v_and_b32_e32 v47, 7, v38
	v_ffbh_u32_e32 v48, v47
	v_min_u32_e32 v51, 32, v48
	v_subrev_u32_e32 v48, 28, v51
	v_lshlrev_b64 v[48:49], v48, v[38:39]
	v_lshrrev_b32_e32 v50, 3, v40
	v_sub_u32_e32 v49, 29, v51
	v_and_b32_e32 v48, 7, v48
	v_cmp_gt_u32_e32 vcc, 8, v40
	v_cndmask_b32_e32 v40, v50, v49, vcc
	v_cndmask_b32_e32 v47, v47, v48, vcc
	v_lshlrev_b32_e32 v38, 24, v38
	v_bfrev_b32_e32 v48, 60
	v_lshlrev_b32_e32 v47, 20, v47
	v_and_b32_e32 v38, 0x80000000, v38
	v_lshl_add_u32 v40, v40, 23, v48
	v_or3_b32 v38, v38, v40, v47
	v_lshrrev_b32_e32 v47, 16, v38
.LBB737_32:
	s_or_b64 exec, exec, s[20:21]
.LBB737_33:
	s_or_b64 exec, exec, s[10:11]
.LBB737_34:
	s_or_b64 exec, exec, s[2:3]
	v_mov_b32_e32 v48, 0
	v_mov_b32_e32 v40, v35
	v_cmp_ne_u16_sdwa s[10:11], v35, v48 src0_sel:BYTE_0 src1_sel:DWORD
	v_mov_b32_e32 v49, 0
	s_and_saveexec_b64 s[2:3], s[10:11]
	s_cbranch_execz .LBB737_40
; %bb.35:
	s_movk_i32 s9, 0x80
	v_cmp_ne_u16_sdwa s[20:21], v35, s9 src0_sel:BYTE_0 src1_sel:DWORD
	v_mov_b32_e32 v49, 0xffff8000
	s_and_saveexec_b64 s[10:11], s[20:21]
	s_cbranch_execz .LBB737_39
; %bb.36:
	s_movk_i32 s9, 0x7f
	v_and_b32_e32 v38, 0x7f, v35
	v_cmp_ne_u32_e32 vcc, s9, v38
	v_mov_b32_e32 v49, 0x7f80
	s_and_saveexec_b64 s[20:21], vcc
	s_cbranch_execz .LBB737_38
; %bb.37:
	v_and_b32_e32 v49, 7, v35
	v_ffbh_u32_e32 v49, v49
	v_min_u32_e32 v49, 32, v49
	v_lshrrev_b32_e32 v50, 3, v38
	v_subrev_u32_e32 v51, 28, v49
	v_sub_u32_e32 v49, 29, v49
	v_cmp_gt_u32_e32 vcc, 8, v38
	v_cndmask_b32_e32 v38, v50, v49, vcc
	v_cndmask_b32_e32 v49, 0, v51, vcc
	v_lshlrev_b64 v[50:51], v49, v[40:41]
	v_lshlrev_b32_e32 v41, 20, v50
	v_lshlrev_b32_e32 v49, 24, v40
	v_bfrev_b32_e32 v50, 60
	v_and_b32_e32 v41, 0x700000, v41
	v_and_b32_e32 v49, 0x80000000, v49
	v_lshl_add_u32 v38, v38, 23, v50
	v_or3_b32 v38, v49, v38, v41
	v_lshrrev_b32_e32 v49, 16, v38
.LBB737_38:
	s_or_b64 exec, exec, s[20:21]
.LBB737_39:
	s_or_b64 exec, exec, s[10:11]
.LBB737_40:
	s_or_b64 exec, exec, s[2:3]
	v_lshrrev_b16_e32 v38, 8, v40
	v_cmp_ne_u16_e32 vcc, 0, v38
	s_and_saveexec_b64 s[2:3], vcc
	s_cbranch_execz .LBB737_46
; %bb.41:
	s_movk_i32 s9, 0x80
	v_cmp_ne_u16_e32 vcc, s9, v38
	v_mov_b32_e32 v48, 0xffff8000
	s_and_saveexec_b64 s[10:11], vcc
	s_cbranch_execz .LBB737_45
; %bb.42:
	s_movk_i32 s9, 0x7f
	v_and_b32_e32 v41, 0x7f, v38
	v_cmp_ne_u32_e32 vcc, s9, v41
	v_mov_b32_e32 v48, 0x7f80
	s_and_saveexec_b64 s[20:21], vcc
	s_cbranch_execz .LBB737_44
; %bb.43:
	v_and_b32_e32 v48, 7, v38
	v_ffbh_u32_e32 v50, v48
	v_min_u32_e32 v53, 32, v50
	v_subrev_u32_e32 v50, 28, v53
	v_lshlrev_b64 v[50:51], v50, v[38:39]
	v_lshrrev_b32_e32 v52, 3, v41
	v_sub_u32_e32 v38, 29, v53
	v_and_b32_e32 v50, 7, v50
	v_cmp_gt_u32_e32 vcc, 8, v41
	v_cndmask_b32_e32 v38, v52, v38, vcc
	v_cndmask_b32_e32 v41, v48, v50, vcc
	v_lshlrev_b32_e32 v40, 16, v40
	v_bfrev_b32_e32 v48, 60
	v_lshlrev_b32_e32 v41, 20, v41
	v_and_b32_e32 v40, 0x80000000, v40
	v_lshl_add_u32 v38, v38, 23, v48
	v_or3_b32 v38, v40, v38, v41
	v_lshrrev_b32_e32 v48, 16, v38
.LBB737_44:
	s_or_b64 exec, exec, s[20:21]
.LBB737_45:
	s_or_b64 exec, exec, s[10:11]
.LBB737_46:
	s_or_b64 exec, exec, s[2:3]
	s_movk_i32 s2, 0xff
	v_and_b32_sdwa v50, v35, s2 dst_sel:DWORD dst_unused:UNUSED_PAD src0_sel:WORD_1 src1_sel:DWORD
	v_lshrrev_b32_e32 v38, 16, v35
	v_cmp_ne_u16_e32 vcc, 0, v50
	v_mov_b32_e32 v40, 0
	v_mov_b32_e32 v41, 0
	s_and_saveexec_b64 s[2:3], vcc
	s_cbranch_execz .LBB737_52
; %bb.47:
	s_movk_i32 s9, 0x80
	v_cmp_ne_u16_e32 vcc, s9, v50
	v_mov_b32_e32 v41, 0xffff8000
	s_and_saveexec_b64 s[10:11], vcc
	s_cbranch_execz .LBB737_51
; %bb.48:
	v_bfe_u32 v50, v35, 16, 7
	s_movk_i32 s9, 0x7f
	v_cmp_ne_u32_e32 vcc, s9, v50
	v_mov_b32_e32 v41, 0x7f80
	s_and_saveexec_b64 s[20:21], vcc
	s_cbranch_execz .LBB737_50
; %bb.49:
	v_and_b32_e32 v41, 7, v38
	v_ffbh_u32_e32 v52, v41
	v_min_u32_e32 v54, 32, v52
	v_subrev_u32_e32 v52, 28, v54
	v_lshlrev_b64 v[52:53], v52, v[38:39]
	v_lshrrev_b32_e32 v51, 3, v50
	v_sub_u32_e32 v38, 29, v54
	v_and_b32_e32 v52, 7, v52
	v_cmp_gt_u32_e32 vcc, 8, v50
	v_mov_b32_e32 v50, 24
	v_cndmask_b32_e32 v38, v51, v38, vcc
	v_cndmask_b32_e32 v41, v41, v52, vcc
	v_lshlrev_b32_sdwa v50, v50, v35 dst_sel:DWORD dst_unused:UNUSED_PAD src0_sel:DWORD src1_sel:WORD_1
	v_bfrev_b32_e32 v51, 60
	v_lshlrev_b32_e32 v41, 20, v41
	v_and_b32_e32 v50, 0x80000000, v50
	v_lshl_add_u32 v38, v38, 23, v51
	v_or3_b32 v38, v50, v38, v41
	v_lshrrev_b32_e32 v41, 16, v38
.LBB737_50:
	s_or_b64 exec, exec, s[20:21]
.LBB737_51:
	s_or_b64 exec, exec, s[10:11]
.LBB737_52:
	s_or_b64 exec, exec, s[2:3]
	s_mov_b32 s2, -1
	s_mov_b32 s3, 0xffffff
	v_cmp_lt_u64_e32 vcc, s[2:3], v[34:35]
	s_and_saveexec_b64 s[2:3], vcc
	s_cbranch_execz .LBB737_58
; %bb.53:
	v_lshrrev_b32_e32 v34, 24, v35
	s_movk_i32 s9, 0x80
	v_cmp_ne_u32_e32 vcc, s9, v34
	v_mov_b32_e32 v40, 0xffff8000
	s_and_saveexec_b64 s[10:11], vcc
	s_cbranch_execz .LBB737_57
; %bb.54:
	v_bfe_u32 v35, v35, 24, 7
	s_movk_i32 s9, 0x7f
	v_cmp_ne_u32_e32 vcc, s9, v35
	v_mov_b32_e32 v40, 0x7f80
	s_and_saveexec_b64 s[20:21], vcc
	s_cbranch_execz .LBB737_56
; %bb.55:
	v_and_b32_e32 v38, 7, v34
	v_ffbh_u32_e32 v50, v38
	v_min_u32_e32 v52, 32, v50
	v_subrev_u32_e32 v50, 28, v52
	v_lshlrev_b64 v[50:51], v50, v[34:35]
	v_lshrrev_b32_e32 v40, 3, v35
	v_sub_u32_e32 v51, 29, v52
	v_and_b32_e32 v50, 7, v50
	v_cmp_gt_u32_e32 vcc, 8, v35
	v_cndmask_b32_e32 v35, v40, v51, vcc
	v_cndmask_b32_e32 v38, v38, v50, vcc
	v_lshlrev_b32_e32 v34, 24, v34
	v_bfrev_b32_e32 v40, 60
	v_lshlrev_b32_e32 v38, 20, v38
	v_and_b32_e32 v34, 0x80000000, v34
	v_lshl_add_u32 v35, v35, 23, v40
	v_or3_b32 v34, v34, v35, v38
	v_lshrrev_b32_e32 v40, 16, v34
.LBB737_56:
	s_or_b64 exec, exec, s[20:21]
.LBB737_57:
	s_or_b64 exec, exec, s[10:11]
.LBB737_58:
	s_or_b64 exec, exec, s[2:3]
	s_mov_b32 s2, 0x5040100
	v_perm_b32 v35, v47, v46, s2
	v_perm_b32 v34, v39, v45, s2
	;; [unrolled: 1-line block ×4, first 2 shown]
	v_mfma_f32_4x4x4bf16_1k a[0:3], v[18:19], v[34:35], 0 cbsz:4
	v_mov_b32_e32 v39, 0
	v_mfma_f32_4x4x4bf16_1k a[0:3], v[20:21], v[40:41], a[0:3] cbsz:4
	v_mov_b32_e32 v40, 0
	v_cmp_ne_u16_sdwa s[10:11], v36, v40 src0_sel:BYTE_0 src1_sel:DWORD
	s_and_saveexec_b64 s[2:3], s[10:11]
	s_cbranch_execz .LBB737_64
; %bb.59:
	s_movk_i32 s9, 0x80
	v_cmp_ne_u16_sdwa s[20:21], v36, s9 src0_sel:BYTE_0 src1_sel:DWORD
	v_mov_b32_e32 v39, 0xffff8000
	s_and_saveexec_b64 s[10:11], s[20:21]
	s_cbranch_execz .LBB737_63
; %bb.60:
	s_movk_i32 s9, 0x7f
	v_and_b32_e32 v34, 0x7f, v36
	v_cmp_ne_u32_e32 vcc, s9, v34
	v_mov_b32_e32 v39, 0x7f80
	s_and_saveexec_b64 s[20:21], vcc
	s_cbranch_execz .LBB737_62
; %bb.61:
	v_and_b32_e32 v35, 7, v36
	v_ffbh_u32_e32 v35, v35
	v_min_u32_e32 v35, 32, v35
	v_subrev_u32_e32 v39, 28, v35
	v_cmp_gt_u32_e32 vcc, 8, v34
	v_lshrrev_b32_e32 v38, 3, v34
	v_sub_u32_e32 v35, 29, v35
	v_cndmask_b32_e32 v34, 0, v39, vcc
	v_cndmask_b32_e32 v38, v38, v35, vcc
	v_lshlrev_b64 v[34:35], v34, v[36:37]
	v_lshlrev_b32_e32 v34, 20, v34
	v_lshlrev_b32_e32 v35, 24, v36
	v_bfrev_b32_e32 v39, 60
	v_and_b32_e32 v34, 0x700000, v34
	v_and_b32_e32 v35, 0x80000000, v35
	v_lshl_add_u32 v38, v38, 23, v39
	v_or3_b32 v34, v35, v38, v34
	v_lshrrev_b32_e32 v39, 16, v34
.LBB737_62:
	s_or_b64 exec, exec, s[20:21]
.LBB737_63:
	s_or_b64 exec, exec, s[10:11]
.LBB737_64:
	s_or_b64 exec, exec, s[2:3]
	v_lshrrev_b16_e32 v34, 8, v36
	v_cmp_ne_u16_e32 vcc, 0, v34
	s_and_saveexec_b64 s[2:3], vcc
	s_cbranch_execz .LBB737_70
; %bb.65:
	s_movk_i32 s9, 0x80
	v_cmp_ne_u16_e32 vcc, s9, v34
	v_mov_b32_e32 v40, 0xffff8000
	s_and_saveexec_b64 s[10:11], vcc
	s_cbranch_execz .LBB737_69
; %bb.66:
	s_movk_i32 s9, 0x7f
	v_and_b32_e32 v35, 0x7f, v34
	v_cmp_ne_u32_e32 vcc, s9, v35
	v_mov_b32_e32 v40, 0x7f80
	s_and_saveexec_b64 s[20:21], vcc
	s_cbranch_execz .LBB737_68
; %bb.67:
	v_and_b32_e32 v38, 7, v34
	v_ffbh_u32_e32 v40, v38
	v_min_u32_e32 v46, 32, v40
	v_subrev_u32_e32 v40, 28, v46
	v_lshlrev_b64 v[40:41], v40, v[34:35]
	v_lshrrev_b32_e32 v45, 3, v35
	v_sub_u32_e32 v34, 29, v46
	v_and_b32_e32 v40, 7, v40
	v_cmp_gt_u32_e32 vcc, 8, v35
	v_cndmask_b32_e32 v34, v45, v34, vcc
	v_cndmask_b32_e32 v35, v38, v40, vcc
	v_lshlrev_b32_e32 v38, 16, v36
	v_bfrev_b32_e32 v40, 60
	v_lshlrev_b32_e32 v35, 20, v35
	v_and_b32_e32 v38, 0x80000000, v38
	v_lshl_add_u32 v34, v34, 23, v40
	v_or3_b32 v34, v38, v34, v35
	v_lshrrev_b32_e32 v40, 16, v34
.LBB737_68:
	s_or_b64 exec, exec, s[20:21]
.LBB737_69:
	s_or_b64 exec, exec, s[10:11]
.LBB737_70:
	s_or_b64 exec, exec, s[2:3]
	s_movk_i32 s2, 0xff
	v_and_b32_sdwa v38, v36, s2 dst_sel:DWORD dst_unused:UNUSED_PAD src0_sel:WORD_1 src1_sel:DWORD
	v_lshrrev_b32_e32 v34, 16, v36
	v_cmp_ne_u16_e32 vcc, 0, v38
	v_mov_b32_e32 v35, 0
	v_mov_b32_e32 v41, 0
	s_and_saveexec_b64 s[2:3], vcc
	s_cbranch_execz .LBB737_76
; %bb.71:
	s_movk_i32 s9, 0x80
	v_cmp_ne_u16_e32 vcc, s9, v38
	v_mov_b32_e32 v41, 0xffff8000
	s_and_saveexec_b64 s[10:11], vcc
	s_cbranch_execz .LBB737_75
; %bb.72:
	v_bfe_u32 v38, v36, 16, 7
	s_movk_i32 s9, 0x7f
	v_cmp_ne_u32_e32 vcc, s9, v38
	v_mov_b32_e32 v41, 0x7f80
	s_and_saveexec_b64 s[20:21], vcc
	s_cbranch_execz .LBB737_74
; %bb.73:
	v_and_b32_e32 v41, 7, v34
	v_ffbh_u32_e32 v46, v41
	v_min_u32_e32 v48, 32, v46
	v_subrev_u32_e32 v46, 28, v48
	v_lshlrev_b64 v[46:47], v46, v[34:35]
	v_and_b32_e32 v46, 7, v46
	v_cmp_gt_u32_e32 vcc, 8, v38
	v_lshrrev_b32_e32 v45, 3, v38
	v_sub_u32_e32 v34, 29, v48
	v_cndmask_b32_e32 v38, v41, v46, vcc
	v_mov_b32_e32 v41, 24
	v_cndmask_b32_e32 v34, v45, v34, vcc
	v_lshlrev_b32_sdwa v41, v41, v36 dst_sel:DWORD dst_unused:UNUSED_PAD src0_sel:DWORD src1_sel:WORD_1
	v_bfrev_b32_e32 v45, 60
	v_lshlrev_b32_e32 v38, 20, v38
	v_and_b32_e32 v41, 0x80000000, v41
	v_lshl_add_u32 v34, v34, 23, v45
	v_or3_b32 v34, v41, v34, v38
	v_lshrrev_b32_e32 v41, 16, v34
.LBB737_74:
	s_or_b64 exec, exec, s[20:21]
.LBB737_75:
	s_or_b64 exec, exec, s[10:11]
.LBB737_76:
	s_or_b64 exec, exec, s[2:3]
	s_mov_b32 s2, 0xffffff
	v_cmp_lt_u32_e32 vcc, s2, v36
	v_mov_b32_e32 v45, 0
	s_and_saveexec_b64 s[2:3], vcc
	s_cbranch_execz .LBB737_82
; %bb.77:
	v_lshrrev_b32_e32 v34, 24, v36
	s_movk_i32 s9, 0x80
	v_cmp_ne_u32_e32 vcc, s9, v34
	v_mov_b32_e32 v45, 0xffff8000
	s_and_saveexec_b64 s[10:11], vcc
	s_cbranch_execz .LBB737_81
; %bb.78:
	v_bfe_u32 v38, v36, 24, 7
	s_movk_i32 s9, 0x7f
	v_cmp_ne_u32_e32 vcc, s9, v38
	v_mov_b32_e32 v45, 0x7f80
	s_and_saveexec_b64 s[20:21], vcc
	s_cbranch_execz .LBB737_80
; %bb.79:
	v_and_b32_e32 v45, 7, v34
	v_ffbh_u32_e32 v46, v45
	v_min_u32_e32 v49, 32, v46
	v_subrev_u32_e32 v46, 28, v49
	v_lshlrev_b64 v[46:47], v46, v[34:35]
	v_lshrrev_b32_e32 v48, 3, v38
	v_sub_u32_e32 v47, 29, v49
	v_and_b32_e32 v46, 7, v46
	v_cmp_gt_u32_e32 vcc, 8, v38
	v_cndmask_b32_e32 v38, v48, v47, vcc
	v_cndmask_b32_e32 v45, v45, v46, vcc
	v_lshlrev_b32_e32 v34, 24, v34
	v_bfrev_b32_e32 v46, 60
	v_lshlrev_b32_e32 v45, 20, v45
	v_and_b32_e32 v34, 0x80000000, v34
	v_lshl_add_u32 v38, v38, 23, v46
	v_or3_b32 v34, v34, v38, v45
	v_lshrrev_b32_e32 v45, 16, v34
.LBB737_80:
	s_or_b64 exec, exec, s[20:21]
.LBB737_81:
	s_or_b64 exec, exec, s[10:11]
.LBB737_82:
	s_or_b64 exec, exec, s[2:3]
	v_mov_b32_e32 v46, 0
	v_mov_b32_e32 v34, v37
	v_cmp_ne_u16_sdwa s[10:11], v37, v46 src0_sel:BYTE_0 src1_sel:DWORD
	v_mov_b32_e32 v47, 0
	s_and_saveexec_b64 s[2:3], s[10:11]
	s_cbranch_execz .LBB737_88
; %bb.83:
	s_movk_i32 s9, 0x80
	v_cmp_ne_u16_sdwa s[20:21], v37, s9 src0_sel:BYTE_0 src1_sel:DWORD
	v_mov_b32_e32 v47, 0xffff8000
	s_and_saveexec_b64 s[10:11], s[20:21]
	s_cbranch_execz .LBB737_87
; %bb.84:
	s_movk_i32 s9, 0x7f
	v_and_b32_e32 v38, 0x7f, v37
	v_cmp_ne_u32_e32 vcc, s9, v38
	v_mov_b32_e32 v47, 0x7f80
	s_and_saveexec_b64 s[20:21], vcc
	s_cbranch_execz .LBB737_86
; %bb.85:
	v_and_b32_e32 v47, 7, v37
	v_ffbh_u32_e32 v47, v47
	v_min_u32_e32 v47, 32, v47
	v_lshrrev_b32_e32 v48, 3, v38
	v_subrev_u32_e32 v49, 28, v47
	v_sub_u32_e32 v47, 29, v47
	v_cmp_gt_u32_e32 vcc, 8, v38
	v_cndmask_b32_e32 v38, v48, v47, vcc
	v_cndmask_b32_e32 v47, 0, v49, vcc
	v_lshlrev_b64 v[48:49], v47, v[34:35]
	v_lshlrev_b32_e32 v35, 20, v48
	v_lshlrev_b32_e32 v47, 24, v34
	v_bfrev_b32_e32 v48, 60
	v_and_b32_e32 v35, 0x700000, v35
	v_and_b32_e32 v47, 0x80000000, v47
	v_lshl_add_u32 v38, v38, 23, v48
	v_or3_b32 v35, v47, v38, v35
	v_lshrrev_b32_e32 v47, 16, v35
.LBB737_86:
	s_or_b64 exec, exec, s[20:21]
.LBB737_87:
	s_or_b64 exec, exec, s[10:11]
.LBB737_88:
	s_or_b64 exec, exec, s[2:3]
	v_lshrrev_b16_e32 v38, 8, v34
	v_cmp_ne_u16_e32 vcc, 0, v38
	s_and_saveexec_b64 s[2:3], vcc
	s_cbranch_execz .LBB737_94
; %bb.89:
	s_movk_i32 s9, 0x80
	v_cmp_ne_u16_e32 vcc, s9, v38
	v_mov_b32_e32 v46, 0xffff8000
	s_and_saveexec_b64 s[10:11], vcc
	s_cbranch_execz .LBB737_93
; %bb.90:
	s_movk_i32 s9, 0x7f
	v_and_b32_e32 v35, 0x7f, v38
	v_cmp_ne_u32_e32 vcc, s9, v35
	v_mov_b32_e32 v46, 0x7f80
	s_and_saveexec_b64 s[20:21], vcc
	s_cbranch_execz .LBB737_92
; %bb.91:
	v_and_b32_e32 v46, 7, v38
	v_ffbh_u32_e32 v48, v46
	v_min_u32_e32 v51, 32, v48
	v_subrev_u32_e32 v48, 28, v51
	v_lshlrev_b64 v[48:49], v48, v[38:39]
	v_lshrrev_b32_e32 v50, 3, v35
	v_sub_u32_e32 v38, 29, v51
	v_and_b32_e32 v48, 7, v48
	v_cmp_gt_u32_e32 vcc, 8, v35
	v_cndmask_b32_e32 v35, v50, v38, vcc
	v_cndmask_b32_e32 v38, v46, v48, vcc
	v_lshlrev_b32_e32 v34, 16, v34
	v_bfrev_b32_e32 v46, 60
	v_lshlrev_b32_e32 v38, 20, v38
	v_and_b32_e32 v34, 0x80000000, v34
	v_lshl_add_u32 v35, v35, 23, v46
	v_or3_b32 v34, v34, v35, v38
	v_lshrrev_b32_e32 v46, 16, v34
.LBB737_92:
	s_or_b64 exec, exec, s[20:21]
.LBB737_93:
	s_or_b64 exec, exec, s[10:11]
.LBB737_94:
	s_or_b64 exec, exec, s[2:3]
	s_movk_i32 s2, 0xff
	v_and_b32_sdwa v48, v37, s2 dst_sel:DWORD dst_unused:UNUSED_PAD src0_sel:WORD_1 src1_sel:DWORD
	v_lshrrev_b32_e32 v34, 16, v37
	v_cmp_ne_u16_e32 vcc, 0, v48
	v_mov_b32_e32 v35, 0
	v_mov_b32_e32 v38, 0
	s_and_saveexec_b64 s[2:3], vcc
	s_cbranch_execz .LBB737_100
; %bb.95:
	s_movk_i32 s9, 0x80
	v_cmp_ne_u16_e32 vcc, s9, v48
	v_mov_b32_e32 v38, 0xffff8000
	s_and_saveexec_b64 s[10:11], vcc
	s_cbranch_execz .LBB737_99
; %bb.96:
	v_bfe_u32 v48, v37, 16, 7
	s_movk_i32 s9, 0x7f
	v_cmp_ne_u32_e32 vcc, s9, v48
	v_mov_b32_e32 v38, 0x7f80
	s_and_saveexec_b64 s[20:21], vcc
	s_cbranch_execz .LBB737_98
; %bb.97:
	v_and_b32_e32 v38, 7, v34
	v_ffbh_u32_e32 v50, v38
	v_min_u32_e32 v52, 32, v50
	v_subrev_u32_e32 v50, 28, v52
	v_lshlrev_b64 v[50:51], v50, v[34:35]
	v_lshrrev_b32_e32 v49, 3, v48
	v_sub_u32_e32 v34, 29, v52
	v_and_b32_e32 v50, 7, v50
	v_cmp_gt_u32_e32 vcc, 8, v48
	v_mov_b32_e32 v48, 24
	v_cndmask_b32_e32 v34, v49, v34, vcc
	v_cndmask_b32_e32 v38, v38, v50, vcc
	v_lshlrev_b32_sdwa v48, v48, v37 dst_sel:DWORD dst_unused:UNUSED_PAD src0_sel:DWORD src1_sel:WORD_1
	v_bfrev_b32_e32 v49, 60
	v_lshlrev_b32_e32 v38, 20, v38
	v_and_b32_e32 v48, 0x80000000, v48
	v_lshl_add_u32 v34, v34, 23, v49
	v_or3_b32 v34, v48, v34, v38
	v_lshrrev_b32_e32 v38, 16, v34
.LBB737_98:
	s_or_b64 exec, exec, s[20:21]
.LBB737_99:
	s_or_b64 exec, exec, s[10:11]
.LBB737_100:
	s_or_b64 exec, exec, s[2:3]
	s_mov_b32 s2, -1
	s_mov_b32 s3, 0xffffff
	v_cmp_lt_u64_e32 vcc, s[2:3], v[36:37]
	s_and_saveexec_b64 s[2:3], vcc
	s_cbranch_execz .LBB737_106
; %bb.101:
	v_lshrrev_b32_e32 v34, 24, v37
	s_movk_i32 s9, 0x80
	v_cmp_ne_u32_e32 vcc, s9, v34
	v_mov_b32_e32 v35, 0xffff8000
	s_and_saveexec_b64 s[10:11], vcc
	s_cbranch_execz .LBB737_105
; %bb.102:
	v_bfe_u32 v36, v37, 24, 7
	s_movk_i32 s9, 0x7f
	v_cmp_ne_u32_e32 vcc, s9, v36
	v_mov_b32_e32 v35, 0x7f80
	s_and_saveexec_b64 s[20:21], vcc
	s_cbranch_execz .LBB737_104
; %bb.103:
	v_and_b32_e32 v35, 7, v34
	v_ffbh_u32_e32 v48, v35
	v_min_u32_e32 v50, 32, v48
	v_subrev_u32_e32 v48, 28, v50
	v_lshlrev_b64 v[48:49], v48, v[34:35]
	v_lshrrev_b32_e32 v37, 3, v36
	v_sub_u32_e32 v49, 29, v50
	v_and_b32_e32 v48, 7, v48
	v_cmp_gt_u32_e32 vcc, 8, v36
	v_cndmask_b32_e32 v36, v37, v49, vcc
	v_cndmask_b32_e32 v35, v35, v48, vcc
	v_lshlrev_b32_e32 v34, 24, v34
	v_bfrev_b32_e32 v37, 60
	v_lshlrev_b32_e32 v35, 20, v35
	v_and_b32_e32 v34, 0x80000000, v34
	v_lshl_add_u32 v36, v36, 23, v37
	v_or3_b32 v34, v34, v36, v35
	v_lshrrev_b32_e32 v35, 16, v34
.LBB737_104:
	s_or_b64 exec, exec, s[20:21]
.LBB737_105:
	s_or_b64 exec, exec, s[10:11]
.LBB737_106:
	s_or_b64 exec, exec, s[2:3]
	s_mov_b32 s2, 0x5040100
	v_perm_b32 v37, v45, v41, s2
	v_perm_b32 v36, v40, v39, s2
	;; [unrolled: 1-line block ×4, first 2 shown]
	v_mfma_f32_4x4x4bf16_1k a[0:3], v[18:19], v[36:37], a[0:3] cbsz:4 abid:1
	v_mov_b32_e32 v37, 0
	v_mfma_f32_4x4x4bf16_1k a[0:3], v[20:21], v[34:35], a[0:3] cbsz:4 abid:1
	s_waitcnt vmcnt(6)
	v_cmp_ne_u16_sdwa s[10:11], v30, v37 src0_sel:BYTE_0 src1_sel:DWORD
	v_mov_b32_e32 v38, 0
	s_and_saveexec_b64 s[2:3], s[10:11]
	s_cbranch_execz .LBB737_112
; %bb.107:
	s_movk_i32 s9, 0x80
	v_cmp_ne_u16_sdwa s[20:21], v30, s9 src0_sel:BYTE_0 src1_sel:DWORD
	v_mov_b32_e32 v38, 0xffff8000
	s_and_saveexec_b64 s[10:11], s[20:21]
	s_cbranch_execz .LBB737_111
; %bb.108:
	s_movk_i32 s9, 0x7f
	v_and_b32_e32 v34, 0x7f, v30
	v_cmp_ne_u32_e32 vcc, s9, v34
	v_mov_b32_e32 v38, 0x7f80
	s_and_saveexec_b64 s[20:21], vcc
	s_cbranch_execz .LBB737_110
; %bb.109:
	v_and_b32_e32 v35, 7, v30
	v_ffbh_u32_e32 v35, v35
	v_min_u32_e32 v35, 32, v35
	v_subrev_u32_e32 v38, 28, v35
	v_cmp_gt_u32_e32 vcc, 8, v34
	v_lshrrev_b32_e32 v36, 3, v34
	v_sub_u32_e32 v35, 29, v35
	v_cndmask_b32_e32 v34, 0, v38, vcc
	v_cndmask_b32_e32 v36, v36, v35, vcc
	v_lshlrev_b64 v[34:35], v34, v[30:31]
	v_lshlrev_b32_e32 v34, 20, v34
	v_lshlrev_b32_e32 v35, 24, v30
	v_bfrev_b32_e32 v38, 60
	v_and_b32_e32 v34, 0x700000, v34
	v_and_b32_e32 v35, 0x80000000, v35
	v_lshl_add_u32 v36, v36, 23, v38
	v_or3_b32 v34, v35, v36, v34
	v_lshrrev_b32_e32 v38, 16, v34
.LBB737_110:
	s_or_b64 exec, exec, s[20:21]
.LBB737_111:
	s_or_b64 exec, exec, s[10:11]
.LBB737_112:
	s_or_b64 exec, exec, s[2:3]
	v_lshrrev_b16_e32 v34, 8, v30
	v_cmp_ne_u16_e32 vcc, 0, v34
	s_and_saveexec_b64 s[2:3], vcc
	s_cbranch_execz .LBB737_118
; %bb.113:
	s_movk_i32 s9, 0x80
	v_cmp_ne_u16_e32 vcc, s9, v34
	v_mov_b32_e32 v37, 0xffff8000
	s_and_saveexec_b64 s[10:11], vcc
	s_cbranch_execz .LBB737_117
; %bb.114:
	s_movk_i32 s9, 0x7f
	v_and_b32_e32 v35, 0x7f, v34
	v_cmp_ne_u32_e32 vcc, s9, v35
	v_mov_b32_e32 v37, 0x7f80
	s_and_saveexec_b64 s[20:21], vcc
	s_cbranch_execz .LBB737_116
; %bb.115:
	v_and_b32_e32 v39, 7, v34
	v_ffbh_u32_e32 v36, v39
	v_min_u32_e32 v41, 32, v36
	v_subrev_u32_e32 v36, 28, v41
	v_lshlrev_b64 v[36:37], v36, v[34:35]
	v_lshrrev_b32_e32 v40, 3, v35
	v_sub_u32_e32 v34, 29, v41
	v_and_b32_e32 v36, 7, v36
	v_cmp_gt_u32_e32 vcc, 8, v35
	v_cndmask_b32_e32 v34, v40, v34, vcc
	v_cndmask_b32_e32 v35, v39, v36, vcc
	v_lshlrev_b32_e32 v36, 16, v30
	v_bfrev_b32_e32 v37, 60
	v_lshlrev_b32_e32 v35, 20, v35
	v_and_b32_e32 v36, 0x80000000, v36
	v_lshl_add_u32 v34, v34, 23, v37
	v_or3_b32 v34, v36, v34, v35
	v_lshrrev_b32_e32 v37, 16, v34
.LBB737_116:
	s_or_b64 exec, exec, s[20:21]
.LBB737_117:
	s_or_b64 exec, exec, s[10:11]
.LBB737_118:
	s_or_b64 exec, exec, s[2:3]
	s_movk_i32 s2, 0xff
	v_and_b32_sdwa v36, v30, s2 dst_sel:DWORD dst_unused:UNUSED_PAD src0_sel:WORD_1 src1_sel:DWORD
	v_lshrrev_b32_e32 v34, 16, v30
	v_cmp_ne_u16_e32 vcc, 0, v36
	v_mov_b32_e32 v35, 0
	v_mov_b32_e32 v39, 0
	s_and_saveexec_b64 s[2:3], vcc
	s_cbranch_execz .LBB737_124
; %bb.119:
	s_movk_i32 s9, 0x80
	v_cmp_ne_u16_e32 vcc, s9, v36
	v_mov_b32_e32 v39, 0xffff8000
	s_and_saveexec_b64 s[10:11], vcc
	s_cbranch_execz .LBB737_123
; %bb.120:
	v_bfe_u32 v36, v30, 16, 7
	s_movk_i32 s9, 0x7f
	v_cmp_ne_u32_e32 vcc, s9, v36
	v_mov_b32_e32 v39, 0x7f80
	s_and_saveexec_b64 s[20:21], vcc
	s_cbranch_execz .LBB737_122
; %bb.121:
	v_and_b32_e32 v39, 7, v34
	v_ffbh_u32_e32 v40, v39
	v_min_u32_e32 v46, 32, v40
	v_subrev_u32_e32 v40, 28, v46
	v_lshlrev_b64 v[40:41], v40, v[34:35]
	v_and_b32_e32 v40, 7, v40
	v_cmp_gt_u32_e32 vcc, 8, v36
	v_lshrrev_b32_e32 v45, 3, v36
	v_sub_u32_e32 v34, 29, v46
	v_cndmask_b32_e32 v36, v39, v40, vcc
	v_mov_b32_e32 v39, 24
	v_cndmask_b32_e32 v34, v45, v34, vcc
	v_lshlrev_b32_sdwa v39, v39, v30 dst_sel:DWORD dst_unused:UNUSED_PAD src0_sel:DWORD src1_sel:WORD_1
	v_bfrev_b32_e32 v40, 60
	v_lshlrev_b32_e32 v36, 20, v36
	v_and_b32_e32 v39, 0x80000000, v39
	v_lshl_add_u32 v34, v34, 23, v40
	v_or3_b32 v34, v39, v34, v36
	v_lshrrev_b32_e32 v39, 16, v34
.LBB737_122:
	s_or_b64 exec, exec, s[20:21]
.LBB737_123:
	s_or_b64 exec, exec, s[10:11]
.LBB737_124:
	s_or_b64 exec, exec, s[2:3]
	s_mov_b32 s2, 0xffffff
	v_cmp_lt_u32_e32 vcc, s2, v30
	v_mov_b32_e32 v40, 0
	s_and_saveexec_b64 s[2:3], vcc
	s_cbranch_execz .LBB737_130
; %bb.125:
	v_lshrrev_b32_e32 v34, 24, v30
	s_movk_i32 s9, 0x80
	v_cmp_ne_u32_e32 vcc, s9, v34
	v_mov_b32_e32 v40, 0xffff8000
	s_and_saveexec_b64 s[10:11], vcc
	s_cbranch_execz .LBB737_129
; %bb.126:
	v_bfe_u32 v36, v30, 24, 7
	s_movk_i32 s9, 0x7f
	v_cmp_ne_u32_e32 vcc, s9, v36
	v_mov_b32_e32 v40, 0x7f80
	s_and_saveexec_b64 s[20:21], vcc
	s_cbranch_execz .LBB737_128
; %bb.127:
	v_and_b32_e32 v45, 7, v34
	v_ffbh_u32_e32 v40, v45
	v_min_u32_e32 v47, 32, v40
	v_subrev_u32_e32 v40, 28, v47
	v_lshlrev_b64 v[40:41], v40, v[34:35]
	v_lshrrev_b32_e32 v46, 3, v36
	v_sub_u32_e32 v41, 29, v47
	v_and_b32_e32 v40, 7, v40
	v_cmp_gt_u32_e32 vcc, 8, v36
	v_cndmask_b32_e32 v36, v46, v41, vcc
	v_cndmask_b32_e32 v40, v45, v40, vcc
	v_lshlrev_b32_e32 v34, 24, v34
	v_bfrev_b32_e32 v41, 60
	v_lshlrev_b32_e32 v40, 20, v40
	v_and_b32_e32 v34, 0x80000000, v34
	v_lshl_add_u32 v36, v36, 23, v41
	v_or3_b32 v34, v34, v36, v40
	v_lshrrev_b32_e32 v40, 16, v34
.LBB737_128:
	s_or_b64 exec, exec, s[20:21]
.LBB737_129:
	s_or_b64 exec, exec, s[10:11]
.LBB737_130:
	s_or_b64 exec, exec, s[2:3]
	v_mov_b32_e32 v41, 0
	v_mov_b32_e32 v34, v31
	v_cmp_ne_u16_sdwa s[10:11], v31, v41 src0_sel:BYTE_0 src1_sel:DWORD
	v_mov_b32_e32 v45, 0
	s_and_saveexec_b64 s[2:3], s[10:11]
	s_cbranch_execz .LBB737_136
; %bb.131:
	s_movk_i32 s9, 0x80
	v_cmp_ne_u16_sdwa s[20:21], v31, s9 src0_sel:BYTE_0 src1_sel:DWORD
	v_mov_b32_e32 v45, 0xffff8000
	s_and_saveexec_b64 s[10:11], s[20:21]
	s_cbranch_execz .LBB737_135
; %bb.132:
	s_movk_i32 s9, 0x7f
	v_and_b32_e32 v36, 0x7f, v31
	v_cmp_ne_u32_e32 vcc, s9, v36
	v_mov_b32_e32 v45, 0x7f80
	s_and_saveexec_b64 s[20:21], vcc
	s_cbranch_execz .LBB737_134
; %bb.133:
	v_and_b32_e32 v45, 7, v31
	v_ffbh_u32_e32 v45, v45
	v_min_u32_e32 v45, 32, v45
	v_lshrrev_b32_e32 v46, 3, v36
	v_subrev_u32_e32 v47, 28, v45
	v_sub_u32_e32 v45, 29, v45
	v_cmp_gt_u32_e32 vcc, 8, v36
	v_cndmask_b32_e32 v36, v46, v45, vcc
	v_cndmask_b32_e32 v45, 0, v47, vcc
	v_lshlrev_b64 v[46:47], v45, v[34:35]
	v_lshlrev_b32_e32 v35, 20, v46
	v_lshlrev_b32_e32 v45, 24, v34
	v_bfrev_b32_e32 v46, 60
	v_and_b32_e32 v35, 0x700000, v35
	v_and_b32_e32 v45, 0x80000000, v45
	v_lshl_add_u32 v36, v36, 23, v46
	v_or3_b32 v35, v45, v36, v35
	v_lshrrev_b32_e32 v45, 16, v35
.LBB737_134:
	s_or_b64 exec, exec, s[20:21]
.LBB737_135:
	s_or_b64 exec, exec, s[10:11]
.LBB737_136:
	s_or_b64 exec, exec, s[2:3]
	v_lshrrev_b16_e32 v36, 8, v34
	v_cmp_ne_u16_e32 vcc, 0, v36
	s_and_saveexec_b64 s[2:3], vcc
	s_cbranch_execz .LBB737_142
; %bb.137:
	s_movk_i32 s9, 0x80
	v_cmp_ne_u16_e32 vcc, s9, v36
	v_mov_b32_e32 v41, 0xffff8000
	s_and_saveexec_b64 s[10:11], vcc
	s_cbranch_execz .LBB737_141
; %bb.138:
	s_movk_i32 s9, 0x7f
	v_and_b32_e32 v35, 0x7f, v36
	v_cmp_ne_u32_e32 vcc, s9, v35
	v_mov_b32_e32 v41, 0x7f80
	s_and_saveexec_b64 s[20:21], vcc
	s_cbranch_execz .LBB737_140
; %bb.139:
	v_and_b32_e32 v41, 7, v36
	v_ffbh_u32_e32 v46, v41
	v_min_u32_e32 v49, 32, v46
	v_subrev_u32_e32 v46, 28, v49
	v_lshlrev_b64 v[46:47], v46, v[36:37]
	v_lshrrev_b32_e32 v48, 3, v35
	v_sub_u32_e32 v36, 29, v49
	v_and_b32_e32 v46, 7, v46
	v_cmp_gt_u32_e32 vcc, 8, v35
	v_cndmask_b32_e32 v35, v48, v36, vcc
	v_cndmask_b32_e32 v36, v41, v46, vcc
	v_lshlrev_b32_e32 v34, 16, v34
	v_bfrev_b32_e32 v41, 60
	v_lshlrev_b32_e32 v36, 20, v36
	v_and_b32_e32 v34, 0x80000000, v34
	v_lshl_add_u32 v35, v35, 23, v41
	v_or3_b32 v34, v34, v35, v36
	v_lshrrev_b32_e32 v41, 16, v34
.LBB737_140:
	s_or_b64 exec, exec, s[20:21]
.LBB737_141:
	s_or_b64 exec, exec, s[10:11]
.LBB737_142:
	s_or_b64 exec, exec, s[2:3]
	s_movk_i32 s2, 0xff
	v_and_b32_sdwa v46, v31, s2 dst_sel:DWORD dst_unused:UNUSED_PAD src0_sel:WORD_1 src1_sel:DWORD
	v_lshrrev_b32_e32 v34, 16, v31
	v_cmp_ne_u16_e32 vcc, 0, v46
	v_mov_b32_e32 v35, 0
	v_mov_b32_e32 v36, 0
	s_and_saveexec_b64 s[2:3], vcc
	s_cbranch_execz .LBB737_148
; %bb.143:
	s_movk_i32 s9, 0x80
	v_cmp_ne_u16_e32 vcc, s9, v46
	v_mov_b32_e32 v36, 0xffff8000
	s_and_saveexec_b64 s[10:11], vcc
	s_cbranch_execz .LBB737_147
; %bb.144:
	v_bfe_u32 v46, v31, 16, 7
	s_movk_i32 s9, 0x7f
	v_cmp_ne_u32_e32 vcc, s9, v46
	v_mov_b32_e32 v36, 0x7f80
	s_and_saveexec_b64 s[20:21], vcc
	s_cbranch_execz .LBB737_146
; %bb.145:
	v_and_b32_e32 v36, 7, v34
	v_ffbh_u32_e32 v48, v36
	v_min_u32_e32 v50, 32, v48
	v_subrev_u32_e32 v48, 28, v50
	v_lshlrev_b64 v[48:49], v48, v[34:35]
	v_lshrrev_b32_e32 v47, 3, v46
	v_sub_u32_e32 v34, 29, v50
	v_and_b32_e32 v48, 7, v48
	v_cmp_gt_u32_e32 vcc, 8, v46
	v_mov_b32_e32 v46, 24
	v_cndmask_b32_e32 v34, v47, v34, vcc
	v_cndmask_b32_e32 v36, v36, v48, vcc
	v_lshlrev_b32_sdwa v46, v46, v31 dst_sel:DWORD dst_unused:UNUSED_PAD src0_sel:DWORD src1_sel:WORD_1
	v_bfrev_b32_e32 v47, 60
	v_lshlrev_b32_e32 v36, 20, v36
	v_and_b32_e32 v46, 0x80000000, v46
	v_lshl_add_u32 v34, v34, 23, v47
	v_or3_b32 v34, v46, v34, v36
	v_lshrrev_b32_e32 v36, 16, v34
.LBB737_146:
	s_or_b64 exec, exec, s[20:21]
.LBB737_147:
	s_or_b64 exec, exec, s[10:11]
.LBB737_148:
	s_or_b64 exec, exec, s[2:3]
	s_mov_b32 s2, -1
	s_mov_b32 s3, 0xffffff
	v_cmp_lt_u64_e32 vcc, s[2:3], v[30:31]
	s_and_saveexec_b64 s[2:3], vcc
	s_cbranch_execz .LBB737_154
; %bb.149:
	v_lshrrev_b32_e32 v30, 24, v31
	s_movk_i32 s9, 0x80
	v_cmp_ne_u32_e32 vcc, s9, v30
	v_mov_b32_e32 v35, 0xffff8000
	s_and_saveexec_b64 s[10:11], vcc
	s_cbranch_execz .LBB737_153
; %bb.150:
	v_bfe_u32 v31, v31, 24, 7
	s_movk_i32 s9, 0x7f
	v_cmp_ne_u32_e32 vcc, s9, v31
	v_mov_b32_e32 v35, 0x7f80
	s_and_saveexec_b64 s[20:21], vcc
	s_cbranch_execz .LBB737_152
; %bb.151:
	v_and_b32_e32 v46, 7, v30
	v_ffbh_u32_e32 v34, v46
	v_min_u32_e32 v48, 32, v34
	v_subrev_u32_e32 v34, 28, v48
	v_lshlrev_b64 v[34:35], v34, v[30:31]
	v_lshrrev_b32_e32 v47, 3, v31
	v_sub_u32_e32 v35, 29, v48
	v_and_b32_e32 v34, 7, v34
	v_cmp_gt_u32_e32 vcc, 8, v31
	v_cndmask_b32_e32 v31, v47, v35, vcc
	v_cndmask_b32_e32 v34, v46, v34, vcc
	v_lshlrev_b32_e32 v30, 24, v30
	v_bfrev_b32_e32 v35, 60
	v_lshlrev_b32_e32 v34, 20, v34
	v_and_b32_e32 v30, 0x80000000, v30
	v_lshl_add_u32 v31, v31, 23, v35
	v_or3_b32 v30, v30, v31, v34
	v_lshrrev_b32_e32 v35, 16, v30
.LBB737_152:
	s_or_b64 exec, exec, s[20:21]
.LBB737_153:
	s_or_b64 exec, exec, s[10:11]
.LBB737_154:
	s_or_b64 exec, exec, s[2:3]
	s_mov_b32 s2, 0x5040100
	v_perm_b32 v31, v40, v39, s2
	v_perm_b32 v30, v37, v38, s2
	;; [unrolled: 1-line block ×4, first 2 shown]
	v_mfma_f32_4x4x4bf16_1k a[0:3], v[18:19], v[30:31], a[0:3] cbsz:4 abid:2
	v_mov_b32_e32 v36, 0
	v_mfma_f32_4x4x4bf16_1k a[0:3], v[20:21], v[34:35], a[0:3] cbsz:4 abid:2
	v_mov_b32_e32 v35, 0
	v_cmp_ne_u16_sdwa s[10:11], v32, v35 src0_sel:BYTE_0 src1_sel:DWORD
	s_and_saveexec_b64 s[2:3], s[10:11]
	s_cbranch_execz .LBB737_160
; %bb.155:
	s_movk_i32 s9, 0x80
	v_cmp_ne_u16_sdwa s[20:21], v32, s9 src0_sel:BYTE_0 src1_sel:DWORD
	v_mov_b32_e32 v36, 0xffff8000
	s_and_saveexec_b64 s[10:11], s[20:21]
	s_cbranch_execz .LBB737_159
; %bb.156:
	s_movk_i32 s9, 0x7f
	v_and_b32_e32 v30, 0x7f, v32
	v_cmp_ne_u32_e32 vcc, s9, v30
	v_mov_b32_e32 v36, 0x7f80
	s_and_saveexec_b64 s[20:21], vcc
	s_cbranch_execz .LBB737_158
; %bb.157:
	v_and_b32_e32 v31, 7, v32
	v_ffbh_u32_e32 v31, v31
	v_min_u32_e32 v31, 32, v31
	v_subrev_u32_e32 v36, 28, v31
	v_cmp_gt_u32_e32 vcc, 8, v30
	v_lshrrev_b32_e32 v34, 3, v30
	v_sub_u32_e32 v31, 29, v31
	v_cndmask_b32_e32 v30, 0, v36, vcc
	v_cndmask_b32_e32 v34, v34, v31, vcc
	v_lshlrev_b64 v[30:31], v30, v[32:33]
	v_lshlrev_b32_e32 v30, 20, v30
	v_lshlrev_b32_e32 v31, 24, v32
	v_bfrev_b32_e32 v36, 60
	v_and_b32_e32 v30, 0x700000, v30
	v_and_b32_e32 v31, 0x80000000, v31
	v_lshl_add_u32 v34, v34, 23, v36
	v_or3_b32 v30, v31, v34, v30
	v_lshrrev_b32_e32 v36, 16, v30
.LBB737_158:
	s_or_b64 exec, exec, s[20:21]
.LBB737_159:
	s_or_b64 exec, exec, s[10:11]
.LBB737_160:
	s_or_b64 exec, exec, s[2:3]
	v_lshrrev_b16_e32 v30, 8, v32
	v_cmp_ne_u16_e32 vcc, 0, v30
	s_and_saveexec_b64 s[2:3], vcc
	s_cbranch_execz .LBB737_166
; %bb.161:
	s_movk_i32 s9, 0x80
	v_cmp_ne_u16_e32 vcc, s9, v30
	v_mov_b32_e32 v35, 0xffff8000
	s_and_saveexec_b64 s[10:11], vcc
	s_cbranch_execz .LBB737_165
; %bb.162:
	s_movk_i32 s9, 0x7f
	v_and_b32_e32 v31, 0x7f, v30
	v_cmp_ne_u32_e32 vcc, s9, v31
	v_mov_b32_e32 v35, 0x7f80
	s_and_saveexec_b64 s[20:21], vcc
	s_cbranch_execz .LBB737_164
; %bb.163:
	v_and_b32_e32 v37, 7, v30
	v_ffbh_u32_e32 v34, v37
	v_min_u32_e32 v39, 32, v34
	v_subrev_u32_e32 v34, 28, v39
	v_lshlrev_b64 v[34:35], v34, v[30:31]
	v_lshrrev_b32_e32 v38, 3, v31
	v_sub_u32_e32 v30, 29, v39
	v_and_b32_e32 v34, 7, v34
	v_cmp_gt_u32_e32 vcc, 8, v31
	v_cndmask_b32_e32 v30, v38, v30, vcc
	v_cndmask_b32_e32 v31, v37, v34, vcc
	v_lshlrev_b32_e32 v34, 16, v32
	v_bfrev_b32_e32 v35, 60
	v_lshlrev_b32_e32 v31, 20, v31
	v_and_b32_e32 v34, 0x80000000, v34
	v_lshl_add_u32 v30, v30, 23, v35
	v_or3_b32 v30, v34, v30, v31
	v_lshrrev_b32_e32 v35, 16, v30
.LBB737_164:
	s_or_b64 exec, exec, s[20:21]
.LBB737_165:
	s_or_b64 exec, exec, s[10:11]
.LBB737_166:
	s_or_b64 exec, exec, s[2:3]
	s_movk_i32 s2, 0xff
	v_and_b32_sdwa v34, v32, s2 dst_sel:DWORD dst_unused:UNUSED_PAD src0_sel:WORD_1 src1_sel:DWORD
	v_lshrrev_b32_e32 v30, 16, v32
	v_cmp_ne_u16_e32 vcc, 0, v34
	v_mov_b32_e32 v31, 0
	v_mov_b32_e32 v37, 0
	s_and_saveexec_b64 s[2:3], vcc
	s_cbranch_execz .LBB737_172
; %bb.167:
	s_movk_i32 s9, 0x80
	v_cmp_ne_u16_e32 vcc, s9, v34
	v_mov_b32_e32 v37, 0xffff8000
	s_and_saveexec_b64 s[10:11], vcc
	s_cbranch_execz .LBB737_171
; %bb.168:
	v_bfe_u32 v34, v32, 16, 7
	s_movk_i32 s9, 0x7f
	v_cmp_ne_u32_e32 vcc, s9, v34
	v_mov_b32_e32 v37, 0x7f80
	s_and_saveexec_b64 s[20:21], vcc
	s_cbranch_execz .LBB737_170
; %bb.169:
	v_and_b32_e32 v37, 7, v30
	v_ffbh_u32_e32 v38, v37
	v_min_u32_e32 v41, 32, v38
	v_subrev_u32_e32 v38, 28, v41
	v_lshlrev_b64 v[38:39], v38, v[30:31]
	v_and_b32_e32 v38, 7, v38
	v_cmp_gt_u32_e32 vcc, 8, v34
	v_lshrrev_b32_e32 v40, 3, v34
	v_sub_u32_e32 v30, 29, v41
	v_cndmask_b32_e32 v34, v37, v38, vcc
	v_mov_b32_e32 v37, 24
	v_cndmask_b32_e32 v30, v40, v30, vcc
	v_lshlrev_b32_sdwa v37, v37, v32 dst_sel:DWORD dst_unused:UNUSED_PAD src0_sel:DWORD src1_sel:WORD_1
	v_bfrev_b32_e32 v38, 60
	v_lshlrev_b32_e32 v34, 20, v34
	v_and_b32_e32 v37, 0x80000000, v37
	v_lshl_add_u32 v30, v30, 23, v38
	v_or3_b32 v30, v37, v30, v34
	v_lshrrev_b32_e32 v37, 16, v30
.LBB737_170:
	s_or_b64 exec, exec, s[20:21]
.LBB737_171:
	s_or_b64 exec, exec, s[10:11]
.LBB737_172:
	s_or_b64 exec, exec, s[2:3]
	s_mov_b32 s2, 0xffffff
	v_cmp_lt_u32_e32 vcc, s2, v32
	v_mov_b32_e32 v38, 0
	s_and_saveexec_b64 s[2:3], vcc
	s_cbranch_execz .LBB737_178
; %bb.173:
	v_lshrrev_b32_e32 v30, 24, v32
	s_movk_i32 s9, 0x80
	v_cmp_ne_u32_e32 vcc, s9, v30
	v_mov_b32_e32 v38, 0xffff8000
	s_and_saveexec_b64 s[10:11], vcc
	s_cbranch_execz .LBB737_177
; %bb.174:
	v_bfe_u32 v34, v32, 24, 7
	s_movk_i32 s9, 0x7f
	v_cmp_ne_u32_e32 vcc, s9, v34
	v_mov_b32_e32 v38, 0x7f80
	s_and_saveexec_b64 s[20:21], vcc
	s_cbranch_execz .LBB737_176
; %bb.175:
	v_and_b32_e32 v40, 7, v30
	v_ffbh_u32_e32 v38, v40
	v_min_u32_e32 v45, 32, v38
	v_subrev_u32_e32 v38, 28, v45
	v_lshlrev_b64 v[38:39], v38, v[30:31]
	v_lshrrev_b32_e32 v41, 3, v34
	v_sub_u32_e32 v39, 29, v45
	v_and_b32_e32 v38, 7, v38
	v_cmp_gt_u32_e32 vcc, 8, v34
	v_cndmask_b32_e32 v34, v41, v39, vcc
	v_cndmask_b32_e32 v38, v40, v38, vcc
	v_lshlrev_b32_e32 v30, 24, v30
	v_bfrev_b32_e32 v39, 60
	v_lshlrev_b32_e32 v38, 20, v38
	v_and_b32_e32 v30, 0x80000000, v30
	v_lshl_add_u32 v34, v34, 23, v39
	v_or3_b32 v30, v30, v34, v38
	v_lshrrev_b32_e32 v38, 16, v30
.LBB737_176:
	s_or_b64 exec, exec, s[20:21]
.LBB737_177:
	s_or_b64 exec, exec, s[10:11]
.LBB737_178:
	s_or_b64 exec, exec, s[2:3]
	v_mov_b32_e32 v39, 0
	v_mov_b32_e32 v30, v33
	v_cmp_ne_u16_sdwa s[10:11], v33, v39 src0_sel:BYTE_0 src1_sel:DWORD
	v_mov_b32_e32 v40, 0
	s_and_saveexec_b64 s[2:3], s[10:11]
	s_cbranch_execz .LBB737_184
; %bb.179:
	s_movk_i32 s9, 0x80
	v_cmp_ne_u16_sdwa s[20:21], v33, s9 src0_sel:BYTE_0 src1_sel:DWORD
	v_mov_b32_e32 v40, 0xffff8000
	s_and_saveexec_b64 s[10:11], s[20:21]
	s_cbranch_execz .LBB737_183
; %bb.180:
	s_movk_i32 s9, 0x7f
	v_and_b32_e32 v34, 0x7f, v33
	v_cmp_ne_u32_e32 vcc, s9, v34
	v_mov_b32_e32 v40, 0x7f80
	s_and_saveexec_b64 s[20:21], vcc
	s_cbranch_execz .LBB737_182
; %bb.181:
	v_and_b32_e32 v40, 7, v33
	v_ffbh_u32_e32 v40, v40
	v_min_u32_e32 v40, 32, v40
	v_lshrrev_b32_e32 v41, 3, v34
	v_subrev_u32_e32 v45, 28, v40
	v_sub_u32_e32 v40, 29, v40
	v_cmp_gt_u32_e32 vcc, 8, v34
	v_cndmask_b32_e32 v34, v41, v40, vcc
	v_cndmask_b32_e32 v40, 0, v45, vcc
	v_lshlrev_b64 v[40:41], v40, v[30:31]
	v_lshlrev_b32_e32 v31, 20, v40
	v_lshlrev_b32_e32 v40, 24, v30
	v_bfrev_b32_e32 v41, 60
	v_and_b32_e32 v31, 0x700000, v31
	v_and_b32_e32 v40, 0x80000000, v40
	v_lshl_add_u32 v34, v34, 23, v41
	v_or3_b32 v31, v40, v34, v31
	v_lshrrev_b32_e32 v40, 16, v31
.LBB737_182:
	s_or_b64 exec, exec, s[20:21]
.LBB737_183:
	s_or_b64 exec, exec, s[10:11]
.LBB737_184:
	s_or_b64 exec, exec, s[2:3]
	v_lshrrev_b16_e32 v34, 8, v30
	v_cmp_ne_u16_e32 vcc, 0, v34
	s_and_saveexec_b64 s[2:3], vcc
	s_cbranch_execz .LBB737_190
; %bb.185:
	s_movk_i32 s9, 0x80
	v_cmp_ne_u16_e32 vcc, s9, v34
	v_mov_b32_e32 v39, 0xffff8000
	s_and_saveexec_b64 s[10:11], vcc
	s_cbranch_execz .LBB737_189
; %bb.186:
	s_movk_i32 s9, 0x7f
	v_and_b32_e32 v31, 0x7f, v34
	v_cmp_ne_u32_e32 vcc, s9, v31
	v_mov_b32_e32 v39, 0x7f80
	s_and_saveexec_b64 s[20:21], vcc
	s_cbranch_execz .LBB737_188
; %bb.187:
	v_and_b32_e32 v39, 7, v34
	v_ffbh_u32_e32 v45, v39
	v_min_u32_e32 v45, 32, v45
	v_subrev_u32_e32 v46, 28, v45
	v_lshlrev_b64 v[46:47], v46, v[34:35]
	v_lshrrev_b32_e32 v41, 3, v31
	v_sub_u32_e32 v34, 29, v45
	v_and_b32_e32 v45, 7, v46
	v_cmp_gt_u32_e32 vcc, 8, v31
	v_cndmask_b32_e32 v31, v41, v34, vcc
	v_cndmask_b32_e32 v34, v39, v45, vcc
	v_lshlrev_b32_e32 v30, 16, v30
	v_bfrev_b32_e32 v39, 60
	v_lshlrev_b32_e32 v34, 20, v34
	v_and_b32_e32 v30, 0x80000000, v30
	v_lshl_add_u32 v31, v31, 23, v39
	v_or3_b32 v30, v30, v31, v34
	v_lshrrev_b32_e32 v39, 16, v30
.LBB737_188:
	s_or_b64 exec, exec, s[20:21]
.LBB737_189:
	s_or_b64 exec, exec, s[10:11]
.LBB737_190:
	s_or_b64 exec, exec, s[2:3]
	s_movk_i32 s2, 0xff
	v_and_b32_sdwa v41, v33, s2 dst_sel:DWORD dst_unused:UNUSED_PAD src0_sel:WORD_1 src1_sel:DWORD
	v_lshrrev_b32_e32 v30, 16, v33
	v_cmp_ne_u16_e32 vcc, 0, v41
	v_mov_b32_e32 v31, 0
	v_mov_b32_e32 v34, 0
	s_and_saveexec_b64 s[2:3], vcc
	s_cbranch_execz .LBB737_196
; %bb.191:
	s_movk_i32 s9, 0x80
	v_cmp_ne_u16_e32 vcc, s9, v41
	v_mov_b32_e32 v34, 0xffff8000
	s_and_saveexec_b64 s[10:11], vcc
	s_cbranch_execz .LBB737_195
; %bb.192:
	v_bfe_u32 v41, v33, 16, 7
	s_movk_i32 s9, 0x7f
	v_cmp_ne_u32_e32 vcc, s9, v41
	v_mov_b32_e32 v34, 0x7f80
	s_and_saveexec_b64 s[20:21], vcc
	s_cbranch_execz .LBB737_194
; %bb.193:
	v_and_b32_e32 v34, 7, v30
	v_ffbh_u32_e32 v46, v34
	v_min_u32_e32 v48, 32, v46
	v_subrev_u32_e32 v46, 28, v48
	v_lshlrev_b64 v[46:47], v46, v[30:31]
	v_lshrrev_b32_e32 v45, 3, v41
	v_sub_u32_e32 v30, 29, v48
	v_and_b32_e32 v46, 7, v46
	v_cmp_gt_u32_e32 vcc, 8, v41
	v_mov_b32_e32 v41, 24
	v_cndmask_b32_e32 v30, v45, v30, vcc
	v_cndmask_b32_e32 v34, v34, v46, vcc
	v_lshlrev_b32_sdwa v41, v41, v33 dst_sel:DWORD dst_unused:UNUSED_PAD src0_sel:DWORD src1_sel:WORD_1
	v_bfrev_b32_e32 v45, 60
	v_lshlrev_b32_e32 v34, 20, v34
	v_and_b32_e32 v41, 0x80000000, v41
	v_lshl_add_u32 v30, v30, 23, v45
	v_or3_b32 v30, v41, v30, v34
	v_lshrrev_b32_e32 v34, 16, v30
.LBB737_194:
	s_or_b64 exec, exec, s[20:21]
.LBB737_195:
	s_or_b64 exec, exec, s[10:11]
.LBB737_196:
	s_or_b64 exec, exec, s[2:3]
	s_mov_b32 s2, -1
	s_mov_b32 s3, 0xffffff
	v_cmp_lt_u64_e32 vcc, s[2:3], v[32:33]
	s_and_saveexec_b64 s[2:3], vcc
	s_cbranch_execz .LBB737_202
; %bb.197:
	v_lshrrev_b32_e32 v30, 24, v33
	s_movk_i32 s9, 0x80
	v_cmp_ne_u32_e32 vcc, s9, v30
	v_mov_b32_e32 v31, 0xffff8000
	s_and_saveexec_b64 s[10:11], vcc
	s_cbranch_execz .LBB737_201
; %bb.198:
	v_bfe_u32 v32, v33, 24, 7
	s_movk_i32 s9, 0x7f
	v_cmp_ne_u32_e32 vcc, s9, v32
	v_mov_b32_e32 v31, 0x7f80
	s_and_saveexec_b64 s[20:21], vcc
	s_cbranch_execz .LBB737_200
; %bb.199:
	v_and_b32_e32 v31, 7, v30
	v_ffbh_u32_e32 v41, v31
	v_min_u32_e32 v41, 32, v41
	v_subrev_u32_e32 v45, 28, v41
	v_lshlrev_b64 v[46:47], v45, v[30:31]
	v_lshrrev_b32_e32 v33, 3, v32
	v_sub_u32_e32 v41, 29, v41
	v_and_b32_e32 v45, 7, v46
	v_cmp_gt_u32_e32 vcc, 8, v32
	v_cndmask_b32_e32 v32, v33, v41, vcc
	v_cndmask_b32_e32 v31, v31, v45, vcc
	v_lshlrev_b32_e32 v30, 24, v30
	v_bfrev_b32_e32 v33, 60
	v_lshlrev_b32_e32 v31, 20, v31
	v_and_b32_e32 v30, 0x80000000, v30
	v_lshl_add_u32 v32, v32, 23, v33
	v_or3_b32 v30, v30, v32, v31
	v_lshrrev_b32_e32 v31, 16, v30
.LBB737_200:
	s_or_b64 exec, exec, s[20:21]
.LBB737_201:
	s_or_b64 exec, exec, s[10:11]
.LBB737_202:
	s_or_b64 exec, exec, s[2:3]
	s_mov_b32 s2, 0x5040100
	v_perm_b32 v33, v38, v37, s2
	v_perm_b32 v32, v35, v36, s2
	;; [unrolled: 1-line block ×4, first 2 shown]
	v_mfma_f32_4x4x4bf16_1k a[0:3], v[18:19], v[32:33], a[0:3] cbsz:4 abid:3
	v_mov_b32_e32 v33, 0
	v_mfma_f32_4x4x4bf16_1k a[0:3], v[20:21], v[30:31], a[0:3] cbsz:4 abid:3
	s_waitcnt vmcnt(5)
	v_cmp_ne_u16_sdwa s[10:11], v26, v33 src0_sel:BYTE_0 src1_sel:DWORD
	v_mov_b32_e32 v34, 0
	s_and_saveexec_b64 s[2:3], s[10:11]
	s_cbranch_execz .LBB737_208
; %bb.203:
	s_movk_i32 s9, 0x80
	v_cmp_ne_u16_sdwa s[20:21], v26, s9 src0_sel:BYTE_0 src1_sel:DWORD
	v_mov_b32_e32 v34, 0xffff8000
	s_and_saveexec_b64 s[10:11], s[20:21]
	s_cbranch_execz .LBB737_207
; %bb.204:
	s_movk_i32 s9, 0x7f
	v_and_b32_e32 v30, 0x7f, v26
	v_cmp_ne_u32_e32 vcc, s9, v30
	v_mov_b32_e32 v34, 0x7f80
	s_and_saveexec_b64 s[20:21], vcc
	s_cbranch_execz .LBB737_206
; %bb.205:
	v_and_b32_e32 v31, 7, v26
	v_ffbh_u32_e32 v31, v31
	v_min_u32_e32 v31, 32, v31
	v_subrev_u32_e32 v34, 28, v31
	v_cmp_gt_u32_e32 vcc, 8, v30
	v_lshrrev_b32_e32 v32, 3, v30
	v_sub_u32_e32 v31, 29, v31
	v_cndmask_b32_e32 v30, 0, v34, vcc
	v_cndmask_b32_e32 v32, v32, v31, vcc
	v_lshlrev_b64 v[30:31], v30, v[26:27]
	v_lshlrev_b32_e32 v30, 20, v30
	v_lshlrev_b32_e32 v31, 24, v26
	v_bfrev_b32_e32 v34, 60
	v_and_b32_e32 v30, 0x700000, v30
	v_and_b32_e32 v31, 0x80000000, v31
	v_lshl_add_u32 v32, v32, 23, v34
	v_or3_b32 v30, v31, v32, v30
	v_lshrrev_b32_e32 v34, 16, v30
.LBB737_206:
	s_or_b64 exec, exec, s[20:21]
.LBB737_207:
	s_or_b64 exec, exec, s[10:11]
.LBB737_208:
	s_or_b64 exec, exec, s[2:3]
	v_lshrrev_b16_e32 v30, 8, v26
	v_cmp_ne_u16_e32 vcc, 0, v30
	s_and_saveexec_b64 s[2:3], vcc
	s_cbranch_execz .LBB737_214
; %bb.209:
	s_movk_i32 s9, 0x80
	v_cmp_ne_u16_e32 vcc, s9, v30
	v_mov_b32_e32 v33, 0xffff8000
	s_and_saveexec_b64 s[10:11], vcc
	s_cbranch_execz .LBB737_213
; %bb.210:
	s_movk_i32 s9, 0x7f
	v_and_b32_e32 v31, 0x7f, v30
	v_cmp_ne_u32_e32 vcc, s9, v31
	v_mov_b32_e32 v33, 0x7f80
	s_and_saveexec_b64 s[20:21], vcc
	s_cbranch_execz .LBB737_212
; %bb.211:
	v_and_b32_e32 v35, 7, v30
	v_ffbh_u32_e32 v32, v35
	v_min_u32_e32 v37, 32, v32
	v_subrev_u32_e32 v32, 28, v37
	v_lshlrev_b64 v[32:33], v32, v[30:31]
	v_lshrrev_b32_e32 v36, 3, v31
	v_sub_u32_e32 v30, 29, v37
	v_and_b32_e32 v32, 7, v32
	v_cmp_gt_u32_e32 vcc, 8, v31
	v_cndmask_b32_e32 v30, v36, v30, vcc
	v_cndmask_b32_e32 v31, v35, v32, vcc
	v_lshlrev_b32_e32 v32, 16, v26
	v_bfrev_b32_e32 v33, 60
	v_lshlrev_b32_e32 v31, 20, v31
	v_and_b32_e32 v32, 0x80000000, v32
	v_lshl_add_u32 v30, v30, 23, v33
	v_or3_b32 v30, v32, v30, v31
	v_lshrrev_b32_e32 v33, 16, v30
.LBB737_212:
	s_or_b64 exec, exec, s[20:21]
.LBB737_213:
	s_or_b64 exec, exec, s[10:11]
.LBB737_214:
	s_or_b64 exec, exec, s[2:3]
	s_movk_i32 s2, 0xff
	v_and_b32_sdwa v32, v26, s2 dst_sel:DWORD dst_unused:UNUSED_PAD src0_sel:WORD_1 src1_sel:DWORD
	v_lshrrev_b32_e32 v30, 16, v26
	v_cmp_ne_u16_e32 vcc, 0, v32
	v_mov_b32_e32 v31, 0
	v_mov_b32_e32 v35, 0
	s_and_saveexec_b64 s[2:3], vcc
	s_cbranch_execz .LBB737_220
; %bb.215:
	s_movk_i32 s9, 0x80
	v_cmp_ne_u16_e32 vcc, s9, v32
	v_mov_b32_e32 v35, 0xffff8000
	s_and_saveexec_b64 s[10:11], vcc
	s_cbranch_execz .LBB737_219
; %bb.216:
	v_bfe_u32 v32, v26, 16, 7
	s_movk_i32 s9, 0x7f
	v_cmp_ne_u32_e32 vcc, s9, v32
	v_mov_b32_e32 v35, 0x7f80
	s_and_saveexec_b64 s[20:21], vcc
	s_cbranch_execz .LBB737_218
; %bb.217:
	v_and_b32_e32 v35, 7, v30
	v_ffbh_u32_e32 v36, v35
	v_min_u32_e32 v39, 32, v36
	v_subrev_u32_e32 v36, 28, v39
	v_lshlrev_b64 v[36:37], v36, v[30:31]
	v_and_b32_e32 v36, 7, v36
	v_cmp_gt_u32_e32 vcc, 8, v32
	v_lshrrev_b32_e32 v38, 3, v32
	v_sub_u32_e32 v30, 29, v39
	v_cndmask_b32_e32 v32, v35, v36, vcc
	v_mov_b32_e32 v35, 24
	v_cndmask_b32_e32 v30, v38, v30, vcc
	v_lshlrev_b32_sdwa v35, v35, v26 dst_sel:DWORD dst_unused:UNUSED_PAD src0_sel:DWORD src1_sel:WORD_1
	v_bfrev_b32_e32 v36, 60
	v_lshlrev_b32_e32 v32, 20, v32
	v_and_b32_e32 v35, 0x80000000, v35
	v_lshl_add_u32 v30, v30, 23, v36
	v_or3_b32 v30, v35, v30, v32
	v_lshrrev_b32_e32 v35, 16, v30
.LBB737_218:
	s_or_b64 exec, exec, s[20:21]
.LBB737_219:
	s_or_b64 exec, exec, s[10:11]
.LBB737_220:
	s_or_b64 exec, exec, s[2:3]
	s_mov_b32 s2, 0xffffff
	v_cmp_lt_u32_e32 vcc, s2, v26
	v_mov_b32_e32 v36, 0
	s_and_saveexec_b64 s[2:3], vcc
	s_cbranch_execz .LBB737_226
; %bb.221:
	v_lshrrev_b32_e32 v30, 24, v26
	s_movk_i32 s9, 0x80
	v_cmp_ne_u32_e32 vcc, s9, v30
	v_mov_b32_e32 v36, 0xffff8000
	s_and_saveexec_b64 s[10:11], vcc
	s_cbranch_execz .LBB737_225
; %bb.222:
	v_bfe_u32 v32, v26, 24, 7
	s_movk_i32 s9, 0x7f
	v_cmp_ne_u32_e32 vcc, s9, v32
	v_mov_b32_e32 v36, 0x7f80
	s_and_saveexec_b64 s[20:21], vcc
	s_cbranch_execz .LBB737_224
; %bb.223:
	v_and_b32_e32 v38, 7, v30
	v_ffbh_u32_e32 v36, v38
	v_min_u32_e32 v40, 32, v36
	v_subrev_u32_e32 v36, 28, v40
	v_lshlrev_b64 v[36:37], v36, v[30:31]
	v_lshrrev_b32_e32 v39, 3, v32
	v_sub_u32_e32 v37, 29, v40
	v_and_b32_e32 v36, 7, v36
	v_cmp_gt_u32_e32 vcc, 8, v32
	v_cndmask_b32_e32 v32, v39, v37, vcc
	v_cndmask_b32_e32 v36, v38, v36, vcc
	v_lshlrev_b32_e32 v30, 24, v30
	v_bfrev_b32_e32 v37, 60
	v_lshlrev_b32_e32 v36, 20, v36
	v_and_b32_e32 v30, 0x80000000, v30
	v_lshl_add_u32 v32, v32, 23, v37
	v_or3_b32 v30, v30, v32, v36
	v_lshrrev_b32_e32 v36, 16, v30
.LBB737_224:
	s_or_b64 exec, exec, s[20:21]
.LBB737_225:
	s_or_b64 exec, exec, s[10:11]
.LBB737_226:
	s_or_b64 exec, exec, s[2:3]
	v_mov_b32_e32 v37, 0
	v_mov_b32_e32 v30, v27
	v_cmp_ne_u16_sdwa s[10:11], v27, v37 src0_sel:BYTE_0 src1_sel:DWORD
	v_mov_b32_e32 v38, 0
	s_and_saveexec_b64 s[2:3], s[10:11]
	s_cbranch_execz .LBB737_232
; %bb.227:
	s_movk_i32 s9, 0x80
	v_cmp_ne_u16_sdwa s[20:21], v27, s9 src0_sel:BYTE_0 src1_sel:DWORD
	v_mov_b32_e32 v38, 0xffff8000
	s_and_saveexec_b64 s[10:11], s[20:21]
	s_cbranch_execz .LBB737_231
; %bb.228:
	s_movk_i32 s9, 0x7f
	v_and_b32_e32 v32, 0x7f, v27
	v_cmp_ne_u32_e32 vcc, s9, v32
	v_mov_b32_e32 v38, 0x7f80
	s_and_saveexec_b64 s[20:21], vcc
	s_cbranch_execz .LBB737_230
; %bb.229:
	v_and_b32_e32 v38, 7, v27
	v_ffbh_u32_e32 v38, v38
	v_min_u32_e32 v38, 32, v38
	v_lshrrev_b32_e32 v39, 3, v32
	v_subrev_u32_e32 v40, 28, v38
	v_sub_u32_e32 v38, 29, v38
	v_cmp_gt_u32_e32 vcc, 8, v32
	v_cndmask_b32_e32 v32, v39, v38, vcc
	v_cndmask_b32_e32 v38, 0, v40, vcc
	v_lshlrev_b64 v[38:39], v38, v[30:31]
	v_lshlrev_b32_e32 v31, 20, v38
	v_lshlrev_b32_e32 v38, 24, v30
	v_bfrev_b32_e32 v39, 60
	v_and_b32_e32 v31, 0x700000, v31
	v_and_b32_e32 v38, 0x80000000, v38
	v_lshl_add_u32 v32, v32, 23, v39
	v_or3_b32 v31, v38, v32, v31
	v_lshrrev_b32_e32 v38, 16, v31
.LBB737_230:
	s_or_b64 exec, exec, s[20:21]
.LBB737_231:
	s_or_b64 exec, exec, s[10:11]
.LBB737_232:
	s_or_b64 exec, exec, s[2:3]
	v_lshrrev_b16_e32 v32, 8, v30
	v_cmp_ne_u16_e32 vcc, 0, v32
	s_and_saveexec_b64 s[2:3], vcc
	s_cbranch_execz .LBB737_238
; %bb.233:
	s_movk_i32 s9, 0x80
	v_cmp_ne_u16_e32 vcc, s9, v32
	v_mov_b32_e32 v37, 0xffff8000
	s_and_saveexec_b64 s[10:11], vcc
	s_cbranch_execz .LBB737_237
; %bb.234:
	s_movk_i32 s9, 0x7f
	v_and_b32_e32 v31, 0x7f, v32
	v_cmp_ne_u32_e32 vcc, s9, v31
	v_mov_b32_e32 v37, 0x7f80
	s_and_saveexec_b64 s[20:21], vcc
	s_cbranch_execz .LBB737_236
; %bb.235:
	v_and_b32_e32 v37, 7, v32
	v_ffbh_u32_e32 v40, v37
	v_min_u32_e32 v45, 32, v40
	v_subrev_u32_e32 v40, 28, v45
	v_lshlrev_b64 v[40:41], v40, v[32:33]
	v_lshrrev_b32_e32 v39, 3, v31
	v_sub_u32_e32 v32, 29, v45
	v_and_b32_e32 v40, 7, v40
	v_cmp_gt_u32_e32 vcc, 8, v31
	v_cndmask_b32_e32 v31, v39, v32, vcc
	v_cndmask_b32_e32 v32, v37, v40, vcc
	v_lshlrev_b32_e32 v30, 16, v30
	v_bfrev_b32_e32 v37, 60
	v_lshlrev_b32_e32 v32, 20, v32
	v_and_b32_e32 v30, 0x80000000, v30
	v_lshl_add_u32 v31, v31, 23, v37
	v_or3_b32 v30, v30, v31, v32
	v_lshrrev_b32_e32 v37, 16, v30
.LBB737_236:
	s_or_b64 exec, exec, s[20:21]
.LBB737_237:
	s_or_b64 exec, exec, s[10:11]
.LBB737_238:
	s_or_b64 exec, exec, s[2:3]
	s_movk_i32 s2, 0xff
	v_and_b32_sdwa v39, v27, s2 dst_sel:DWORD dst_unused:UNUSED_PAD src0_sel:WORD_1 src1_sel:DWORD
	v_lshrrev_b32_e32 v30, 16, v27
	v_cmp_ne_u16_e32 vcc, 0, v39
	v_mov_b32_e32 v31, 0
	v_mov_b32_e32 v32, 0
	s_and_saveexec_b64 s[2:3], vcc
	s_cbranch_execz .LBB737_244
; %bb.239:
	s_movk_i32 s9, 0x80
	v_cmp_ne_u16_e32 vcc, s9, v39
	v_mov_b32_e32 v32, 0xffff8000
	s_and_saveexec_b64 s[10:11], vcc
	s_cbranch_execz .LBB737_243
; %bb.240:
	v_bfe_u32 v39, v27, 16, 7
	s_movk_i32 s9, 0x7f
	v_cmp_ne_u32_e32 vcc, s9, v39
	v_mov_b32_e32 v32, 0x7f80
	s_and_saveexec_b64 s[20:21], vcc
	s_cbranch_execz .LBB737_242
; %bb.241:
	v_and_b32_e32 v32, 7, v30
	v_ffbh_u32_e32 v40, v32
	v_min_u32_e32 v46, 32, v40
	v_subrev_u32_e32 v40, 28, v46
	v_lshlrev_b64 v[40:41], v40, v[30:31]
	v_lshrrev_b32_e32 v45, 3, v39
	v_sub_u32_e32 v30, 29, v46
	v_and_b32_e32 v40, 7, v40
	v_cmp_gt_u32_e32 vcc, 8, v39
	v_mov_b32_e32 v39, 24
	v_cndmask_b32_e32 v30, v45, v30, vcc
	v_cndmask_b32_e32 v32, v32, v40, vcc
	v_lshlrev_b32_sdwa v39, v39, v27 dst_sel:DWORD dst_unused:UNUSED_PAD src0_sel:DWORD src1_sel:WORD_1
	v_bfrev_b32_e32 v40, 60
	v_lshlrev_b32_e32 v32, 20, v32
	v_and_b32_e32 v39, 0x80000000, v39
	v_lshl_add_u32 v30, v30, 23, v40
	v_or3_b32 v30, v39, v30, v32
	v_lshrrev_b32_e32 v32, 16, v30
.LBB737_242:
	s_or_b64 exec, exec, s[20:21]
.LBB737_243:
	s_or_b64 exec, exec, s[10:11]
.LBB737_244:
	s_or_b64 exec, exec, s[2:3]
	s_mov_b32 s2, -1
	s_mov_b32 s3, 0xffffff
	v_cmp_lt_u64_e32 vcc, s[2:3], v[26:27]
	s_and_saveexec_b64 s[2:3], vcc
	s_cbranch_execz .LBB737_250
; %bb.245:
	v_lshrrev_b32_e32 v26, 24, v27
	s_movk_i32 s9, 0x80
	v_cmp_ne_u32_e32 vcc, s9, v26
	v_mov_b32_e32 v31, 0xffff8000
	s_and_saveexec_b64 s[10:11], vcc
	s_cbranch_execz .LBB737_249
; %bb.246:
	v_bfe_u32 v27, v27, 24, 7
	s_movk_i32 s9, 0x7f
	v_cmp_ne_u32_e32 vcc, s9, v27
	v_mov_b32_e32 v31, 0x7f80
	s_and_saveexec_b64 s[20:21], vcc
	s_cbranch_execz .LBB737_248
; %bb.247:
	v_and_b32_e32 v39, 7, v26
	v_ffbh_u32_e32 v30, v39
	v_min_u32_e32 v41, 32, v30
	v_subrev_u32_e32 v30, 28, v41
	v_lshlrev_b64 v[30:31], v30, v[26:27]
	v_lshrrev_b32_e32 v40, 3, v27
	v_sub_u32_e32 v31, 29, v41
	v_and_b32_e32 v30, 7, v30
	v_cmp_gt_u32_e32 vcc, 8, v27
	v_cndmask_b32_e32 v27, v40, v31, vcc
	v_cndmask_b32_e32 v30, v39, v30, vcc
	v_lshlrev_b32_e32 v26, 24, v26
	v_bfrev_b32_e32 v31, 60
	v_lshlrev_b32_e32 v30, 20, v30
	v_and_b32_e32 v26, 0x80000000, v26
	v_lshl_add_u32 v27, v27, 23, v31
	v_or3_b32 v26, v26, v27, v30
	v_lshrrev_b32_e32 v31, 16, v26
.LBB737_248:
	s_or_b64 exec, exec, s[20:21]
.LBB737_249:
	s_or_b64 exec, exec, s[10:11]
.LBB737_250:
	s_or_b64 exec, exec, s[2:3]
	s_mov_b32 s2, 0x5040100
	v_perm_b32 v27, v36, v35, s2
	v_perm_b32 v26, v33, v34, s2
	;; [unrolled: 1-line block ×4, first 2 shown]
	v_mfma_f32_4x4x4bf16_1k a[0:3], v[18:19], v[26:27], a[0:3] cbsz:4 abid:4
	v_mov_b32_e32 v32, 0
	v_mfma_f32_4x4x4bf16_1k a[0:3], v[20:21], v[30:31], a[0:3] cbsz:4 abid:4
	v_mov_b32_e32 v31, 0
	v_cmp_ne_u16_sdwa s[10:11], v28, v31 src0_sel:BYTE_0 src1_sel:DWORD
	s_and_saveexec_b64 s[2:3], s[10:11]
	s_cbranch_execz .LBB737_256
; %bb.251:
	s_movk_i32 s9, 0x80
	v_cmp_ne_u16_sdwa s[20:21], v28, s9 src0_sel:BYTE_0 src1_sel:DWORD
	v_mov_b32_e32 v32, 0xffff8000
	s_and_saveexec_b64 s[10:11], s[20:21]
	s_cbranch_execz .LBB737_255
; %bb.252:
	s_movk_i32 s9, 0x7f
	v_and_b32_e32 v26, 0x7f, v28
	v_cmp_ne_u32_e32 vcc, s9, v26
	v_mov_b32_e32 v32, 0x7f80
	s_and_saveexec_b64 s[20:21], vcc
	s_cbranch_execz .LBB737_254
; %bb.253:
	v_and_b32_e32 v27, 7, v28
	v_ffbh_u32_e32 v27, v27
	v_min_u32_e32 v27, 32, v27
	v_subrev_u32_e32 v32, 28, v27
	v_cmp_gt_u32_e32 vcc, 8, v26
	v_lshrrev_b32_e32 v30, 3, v26
	v_sub_u32_e32 v27, 29, v27
	v_cndmask_b32_e32 v26, 0, v32, vcc
	v_cndmask_b32_e32 v30, v30, v27, vcc
	v_lshlrev_b64 v[26:27], v26, v[28:29]
	v_lshlrev_b32_e32 v26, 20, v26
	v_lshlrev_b32_e32 v27, 24, v28
	v_bfrev_b32_e32 v32, 60
	v_and_b32_e32 v26, 0x700000, v26
	v_and_b32_e32 v27, 0x80000000, v27
	v_lshl_add_u32 v30, v30, 23, v32
	v_or3_b32 v26, v27, v30, v26
	v_lshrrev_b32_e32 v32, 16, v26
.LBB737_254:
	s_or_b64 exec, exec, s[20:21]
.LBB737_255:
	s_or_b64 exec, exec, s[10:11]
.LBB737_256:
	s_or_b64 exec, exec, s[2:3]
	v_lshrrev_b16_e32 v26, 8, v28
	v_cmp_ne_u16_e32 vcc, 0, v26
	s_and_saveexec_b64 s[2:3], vcc
	s_cbranch_execz .LBB737_262
; %bb.257:
	s_movk_i32 s9, 0x80
	v_cmp_ne_u16_e32 vcc, s9, v26
	v_mov_b32_e32 v31, 0xffff8000
	s_and_saveexec_b64 s[10:11], vcc
	s_cbranch_execz .LBB737_261
; %bb.258:
	s_movk_i32 s9, 0x7f
	v_and_b32_e32 v27, 0x7f, v26
	v_cmp_ne_u32_e32 vcc, s9, v27
	v_mov_b32_e32 v31, 0x7f80
	s_and_saveexec_b64 s[20:21], vcc
	s_cbranch_execz .LBB737_260
; %bb.259:
	v_and_b32_e32 v33, 7, v26
	v_ffbh_u32_e32 v30, v33
	v_min_u32_e32 v35, 32, v30
	v_subrev_u32_e32 v30, 28, v35
	v_lshlrev_b64 v[30:31], v30, v[26:27]
	v_lshrrev_b32_e32 v34, 3, v27
	v_sub_u32_e32 v26, 29, v35
	v_and_b32_e32 v30, 7, v30
	v_cmp_gt_u32_e32 vcc, 8, v27
	v_cndmask_b32_e32 v26, v34, v26, vcc
	v_cndmask_b32_e32 v27, v33, v30, vcc
	v_lshlrev_b32_e32 v30, 16, v28
	v_bfrev_b32_e32 v31, 60
	v_lshlrev_b32_e32 v27, 20, v27
	v_and_b32_e32 v30, 0x80000000, v30
	v_lshl_add_u32 v26, v26, 23, v31
	v_or3_b32 v26, v30, v26, v27
	v_lshrrev_b32_e32 v31, 16, v26
.LBB737_260:
	s_or_b64 exec, exec, s[20:21]
.LBB737_261:
	s_or_b64 exec, exec, s[10:11]
.LBB737_262:
	s_or_b64 exec, exec, s[2:3]
	s_movk_i32 s2, 0xff
	v_and_b32_sdwa v30, v28, s2 dst_sel:DWORD dst_unused:UNUSED_PAD src0_sel:WORD_1 src1_sel:DWORD
	v_lshrrev_b32_e32 v26, 16, v28
	v_cmp_ne_u16_e32 vcc, 0, v30
	v_mov_b32_e32 v27, 0
	v_mov_b32_e32 v33, 0
	s_and_saveexec_b64 s[2:3], vcc
	s_cbranch_execz .LBB737_268
; %bb.263:
	s_movk_i32 s9, 0x80
	v_cmp_ne_u16_e32 vcc, s9, v30
	v_mov_b32_e32 v33, 0xffff8000
	s_and_saveexec_b64 s[10:11], vcc
	s_cbranch_execz .LBB737_267
; %bb.264:
	v_bfe_u32 v30, v28, 16, 7
	s_movk_i32 s9, 0x7f
	v_cmp_ne_u32_e32 vcc, s9, v30
	v_mov_b32_e32 v33, 0x7f80
	s_and_saveexec_b64 s[20:21], vcc
	s_cbranch_execz .LBB737_266
; %bb.265:
	v_and_b32_e32 v33, 7, v26
	v_ffbh_u32_e32 v34, v33
	v_min_u32_e32 v37, 32, v34
	v_subrev_u32_e32 v34, 28, v37
	v_lshlrev_b64 v[34:35], v34, v[26:27]
	v_and_b32_e32 v34, 7, v34
	v_cmp_gt_u32_e32 vcc, 8, v30
	v_lshrrev_b32_e32 v36, 3, v30
	v_sub_u32_e32 v26, 29, v37
	v_cndmask_b32_e32 v30, v33, v34, vcc
	v_mov_b32_e32 v33, 24
	v_cndmask_b32_e32 v26, v36, v26, vcc
	v_lshlrev_b32_sdwa v33, v33, v28 dst_sel:DWORD dst_unused:UNUSED_PAD src0_sel:DWORD src1_sel:WORD_1
	v_bfrev_b32_e32 v34, 60
	v_lshlrev_b32_e32 v30, 20, v30
	v_and_b32_e32 v33, 0x80000000, v33
	v_lshl_add_u32 v26, v26, 23, v34
	v_or3_b32 v26, v33, v26, v30
	v_lshrrev_b32_e32 v33, 16, v26
.LBB737_266:
	s_or_b64 exec, exec, s[20:21]
.LBB737_267:
	s_or_b64 exec, exec, s[10:11]
.LBB737_268:
	s_or_b64 exec, exec, s[2:3]
	s_mov_b32 s2, 0xffffff
	v_cmp_lt_u32_e32 vcc, s2, v28
	v_mov_b32_e32 v34, 0
	s_and_saveexec_b64 s[2:3], vcc
	s_cbranch_execz .LBB737_274
; %bb.269:
	v_lshrrev_b32_e32 v26, 24, v28
	s_movk_i32 s9, 0x80
	v_cmp_ne_u32_e32 vcc, s9, v26
	v_mov_b32_e32 v34, 0xffff8000
	s_and_saveexec_b64 s[10:11], vcc
	s_cbranch_execz .LBB737_273
; %bb.270:
	v_bfe_u32 v30, v28, 24, 7
	s_movk_i32 s9, 0x7f
	v_cmp_ne_u32_e32 vcc, s9, v30
	v_mov_b32_e32 v34, 0x7f80
	s_and_saveexec_b64 s[20:21], vcc
	s_cbranch_execz .LBB737_272
; %bb.271:
	v_and_b32_e32 v36, 7, v26
	v_ffbh_u32_e32 v34, v36
	v_min_u32_e32 v38, 32, v34
	v_subrev_u32_e32 v34, 28, v38
	v_lshlrev_b64 v[34:35], v34, v[26:27]
	v_lshrrev_b32_e32 v37, 3, v30
	v_sub_u32_e32 v35, 29, v38
	v_and_b32_e32 v34, 7, v34
	v_cmp_gt_u32_e32 vcc, 8, v30
	v_cndmask_b32_e32 v30, v37, v35, vcc
	v_cndmask_b32_e32 v34, v36, v34, vcc
	v_lshlrev_b32_e32 v26, 24, v26
	v_bfrev_b32_e32 v35, 60
	v_lshlrev_b32_e32 v34, 20, v34
	v_and_b32_e32 v26, 0x80000000, v26
	v_lshl_add_u32 v30, v30, 23, v35
	v_or3_b32 v26, v26, v30, v34
	v_lshrrev_b32_e32 v34, 16, v26
.LBB737_272:
	s_or_b64 exec, exec, s[20:21]
.LBB737_273:
	s_or_b64 exec, exec, s[10:11]
.LBB737_274:
	s_or_b64 exec, exec, s[2:3]
	v_mov_b32_e32 v35, 0
	v_mov_b32_e32 v26, v29
	v_cmp_ne_u16_sdwa s[10:11], v29, v35 src0_sel:BYTE_0 src1_sel:DWORD
	v_mov_b32_e32 v36, 0
	s_and_saveexec_b64 s[2:3], s[10:11]
	s_cbranch_execz .LBB737_280
; %bb.275:
	s_movk_i32 s9, 0x80
	v_cmp_ne_u16_sdwa s[20:21], v29, s9 src0_sel:BYTE_0 src1_sel:DWORD
	v_mov_b32_e32 v36, 0xffff8000
	s_and_saveexec_b64 s[10:11], s[20:21]
	s_cbranch_execz .LBB737_279
; %bb.276:
	s_movk_i32 s9, 0x7f
	v_and_b32_e32 v30, 0x7f, v29
	v_cmp_ne_u32_e32 vcc, s9, v30
	v_mov_b32_e32 v36, 0x7f80
	s_and_saveexec_b64 s[20:21], vcc
	s_cbranch_execz .LBB737_278
; %bb.277:
	v_and_b32_e32 v36, 7, v29
	v_ffbh_u32_e32 v36, v36
	v_min_u32_e32 v36, 32, v36
	v_lshrrev_b32_e32 v37, 3, v30
	v_subrev_u32_e32 v38, 28, v36
	v_sub_u32_e32 v36, 29, v36
	v_cmp_gt_u32_e32 vcc, 8, v30
	v_cndmask_b32_e32 v30, v37, v36, vcc
	v_cndmask_b32_e32 v36, 0, v38, vcc
	v_lshlrev_b64 v[36:37], v36, v[26:27]
	v_lshlrev_b32_e32 v27, 20, v36
	v_lshlrev_b32_e32 v36, 24, v26
	v_bfrev_b32_e32 v37, 60
	v_and_b32_e32 v27, 0x700000, v27
	v_and_b32_e32 v36, 0x80000000, v36
	v_lshl_add_u32 v30, v30, 23, v37
	v_or3_b32 v27, v36, v30, v27
	v_lshrrev_b32_e32 v36, 16, v27
.LBB737_278:
	s_or_b64 exec, exec, s[20:21]
.LBB737_279:
	s_or_b64 exec, exec, s[10:11]
.LBB737_280:
	s_or_b64 exec, exec, s[2:3]
	v_lshrrev_b16_e32 v30, 8, v26
	v_cmp_ne_u16_e32 vcc, 0, v30
	s_and_saveexec_b64 s[2:3], vcc
	s_cbranch_execz .LBB737_286
; %bb.281:
	s_movk_i32 s9, 0x80
	v_cmp_ne_u16_e32 vcc, s9, v30
	v_mov_b32_e32 v35, 0xffff8000
	s_and_saveexec_b64 s[10:11], vcc
	s_cbranch_execz .LBB737_285
; %bb.282:
	s_movk_i32 s9, 0x7f
	v_and_b32_e32 v27, 0x7f, v30
	v_cmp_ne_u32_e32 vcc, s9, v27
	v_mov_b32_e32 v35, 0x7f80
	s_and_saveexec_b64 s[20:21], vcc
	s_cbranch_execz .LBB737_284
; %bb.283:
	v_and_b32_e32 v35, 7, v30
	v_ffbh_u32_e32 v38, v35
	v_min_u32_e32 v40, 32, v38
	v_subrev_u32_e32 v38, 28, v40
	v_lshlrev_b64 v[38:39], v38, v[30:31]
	v_lshrrev_b32_e32 v37, 3, v27
	v_sub_u32_e32 v30, 29, v40
	v_and_b32_e32 v38, 7, v38
	v_cmp_gt_u32_e32 vcc, 8, v27
	v_cndmask_b32_e32 v27, v37, v30, vcc
	v_cndmask_b32_e32 v30, v35, v38, vcc
	v_lshlrev_b32_e32 v26, 16, v26
	v_bfrev_b32_e32 v35, 60
	v_lshlrev_b32_e32 v30, 20, v30
	v_and_b32_e32 v26, 0x80000000, v26
	v_lshl_add_u32 v27, v27, 23, v35
	v_or3_b32 v26, v26, v27, v30
	v_lshrrev_b32_e32 v35, 16, v26
.LBB737_284:
	s_or_b64 exec, exec, s[20:21]
.LBB737_285:
	s_or_b64 exec, exec, s[10:11]
.LBB737_286:
	s_or_b64 exec, exec, s[2:3]
	s_movk_i32 s2, 0xff
	v_and_b32_sdwa v37, v29, s2 dst_sel:DWORD dst_unused:UNUSED_PAD src0_sel:WORD_1 src1_sel:DWORD
	v_lshrrev_b32_e32 v26, 16, v29
	v_cmp_ne_u16_e32 vcc, 0, v37
	v_mov_b32_e32 v27, 0
	v_mov_b32_e32 v30, 0
	s_and_saveexec_b64 s[2:3], vcc
	s_cbranch_execz .LBB737_292
; %bb.287:
	s_movk_i32 s9, 0x80
	v_cmp_ne_u16_e32 vcc, s9, v37
	v_mov_b32_e32 v30, 0xffff8000
	s_and_saveexec_b64 s[10:11], vcc
	s_cbranch_execz .LBB737_291
; %bb.288:
	v_bfe_u32 v37, v29, 16, 7
	s_movk_i32 s9, 0x7f
	v_cmp_ne_u32_e32 vcc, s9, v37
	v_mov_b32_e32 v30, 0x7f80
	s_and_saveexec_b64 s[20:21], vcc
	s_cbranch_execz .LBB737_290
; %bb.289:
	v_and_b32_e32 v30, 7, v26
	v_ffbh_u32_e32 v38, v30
	v_min_u32_e32 v41, 32, v38
	v_subrev_u32_e32 v38, 28, v41
	v_lshlrev_b64 v[38:39], v38, v[26:27]
	v_lshrrev_b32_e32 v40, 3, v37
	v_sub_u32_e32 v26, 29, v41
	v_and_b32_e32 v38, 7, v38
	v_cmp_gt_u32_e32 vcc, 8, v37
	v_mov_b32_e32 v37, 24
	v_cndmask_b32_e32 v26, v40, v26, vcc
	v_cndmask_b32_e32 v30, v30, v38, vcc
	v_lshlrev_b32_sdwa v37, v37, v29 dst_sel:DWORD dst_unused:UNUSED_PAD src0_sel:DWORD src1_sel:WORD_1
	v_bfrev_b32_e32 v38, 60
	v_lshlrev_b32_e32 v30, 20, v30
	v_and_b32_e32 v37, 0x80000000, v37
	v_lshl_add_u32 v26, v26, 23, v38
	v_or3_b32 v26, v37, v26, v30
	v_lshrrev_b32_e32 v30, 16, v26
.LBB737_290:
	s_or_b64 exec, exec, s[20:21]
.LBB737_291:
	s_or_b64 exec, exec, s[10:11]
.LBB737_292:
	s_or_b64 exec, exec, s[2:3]
	s_mov_b32 s2, -1
	s_mov_b32 s3, 0xffffff
	v_cmp_lt_u64_e32 vcc, s[2:3], v[28:29]
	s_and_saveexec_b64 s[2:3], vcc
	s_cbranch_execz .LBB737_298
; %bb.293:
	v_lshrrev_b32_e32 v26, 24, v29
	s_movk_i32 s9, 0x80
	v_cmp_ne_u32_e32 vcc, s9, v26
	v_mov_b32_e32 v27, 0xffff8000
	s_and_saveexec_b64 s[10:11], vcc
	s_cbranch_execz .LBB737_297
; %bb.294:
	v_bfe_u32 v28, v29, 24, 7
	s_movk_i32 s9, 0x7f
	v_cmp_ne_u32_e32 vcc, s9, v28
	v_mov_b32_e32 v27, 0x7f80
	s_and_saveexec_b64 s[20:21], vcc
	s_cbranch_execz .LBB737_296
; %bb.295:
	v_and_b32_e32 v27, 7, v26
	v_ffbh_u32_e32 v37, v27
	v_min_u32_e32 v37, 32, v37
	v_subrev_u32_e32 v38, 28, v37
	v_lshlrev_b64 v[38:39], v38, v[26:27]
	v_lshrrev_b32_e32 v29, 3, v28
	v_sub_u32_e32 v37, 29, v37
	v_and_b32_e32 v38, 7, v38
	v_cmp_gt_u32_e32 vcc, 8, v28
	v_cndmask_b32_e32 v28, v29, v37, vcc
	v_cndmask_b32_e32 v27, v27, v38, vcc
	v_lshlrev_b32_e32 v26, 24, v26
	v_bfrev_b32_e32 v29, 60
	v_lshlrev_b32_e32 v27, 20, v27
	v_and_b32_e32 v26, 0x80000000, v26
	v_lshl_add_u32 v28, v28, 23, v29
	v_or3_b32 v26, v26, v28, v27
	v_lshrrev_b32_e32 v27, 16, v26
.LBB737_296:
	s_or_b64 exec, exec, s[20:21]
.LBB737_297:
	s_or_b64 exec, exec, s[10:11]
.LBB737_298:
	s_or_b64 exec, exec, s[2:3]
	s_mov_b32 s2, 0x5040100
	v_perm_b32 v29, v34, v33, s2
	v_perm_b32 v28, v31, v32, s2
	;; [unrolled: 1-line block ×4, first 2 shown]
	v_mfma_f32_4x4x4bf16_1k a[0:3], v[18:19], v[28:29], a[0:3] cbsz:4 abid:5
	v_mov_b32_e32 v29, 0
	v_mfma_f32_4x4x4bf16_1k a[0:3], v[20:21], v[26:27], a[0:3] cbsz:4 abid:5
	s_waitcnt vmcnt(4)
	v_cmp_ne_u16_sdwa s[10:11], v22, v29 src0_sel:BYTE_0 src1_sel:DWORD
	v_mov_b32_e32 v30, 0
	s_and_saveexec_b64 s[2:3], s[10:11]
	s_cbranch_execz .LBB737_304
; %bb.299:
	s_movk_i32 s9, 0x80
	v_cmp_ne_u16_sdwa s[20:21], v22, s9 src0_sel:BYTE_0 src1_sel:DWORD
	v_mov_b32_e32 v30, 0xffff8000
	s_and_saveexec_b64 s[10:11], s[20:21]
	s_cbranch_execz .LBB737_303
; %bb.300:
	s_movk_i32 s9, 0x7f
	v_and_b32_e32 v26, 0x7f, v22
	v_cmp_ne_u32_e32 vcc, s9, v26
	v_mov_b32_e32 v30, 0x7f80
	s_and_saveexec_b64 s[20:21], vcc
	s_cbranch_execz .LBB737_302
; %bb.301:
	v_and_b32_e32 v27, 7, v22
	v_ffbh_u32_e32 v27, v27
	v_min_u32_e32 v27, 32, v27
	v_subrev_u32_e32 v30, 28, v27
	v_cmp_gt_u32_e32 vcc, 8, v26
	v_lshrrev_b32_e32 v28, 3, v26
	v_sub_u32_e32 v27, 29, v27
	v_cndmask_b32_e32 v26, 0, v30, vcc
	v_cndmask_b32_e32 v28, v28, v27, vcc
	v_lshlrev_b64 v[26:27], v26, v[22:23]
	v_lshlrev_b32_e32 v26, 20, v26
	v_lshlrev_b32_e32 v27, 24, v22
	v_bfrev_b32_e32 v30, 60
	v_and_b32_e32 v26, 0x700000, v26
	v_and_b32_e32 v27, 0x80000000, v27
	v_lshl_add_u32 v28, v28, 23, v30
	v_or3_b32 v26, v27, v28, v26
	v_lshrrev_b32_e32 v30, 16, v26
.LBB737_302:
	s_or_b64 exec, exec, s[20:21]
.LBB737_303:
	s_or_b64 exec, exec, s[10:11]
.LBB737_304:
	s_or_b64 exec, exec, s[2:3]
	v_lshrrev_b16_e32 v26, 8, v22
	v_cmp_ne_u16_e32 vcc, 0, v26
	s_and_saveexec_b64 s[2:3], vcc
	s_cbranch_execz .LBB737_310
; %bb.305:
	s_movk_i32 s9, 0x80
	v_cmp_ne_u16_e32 vcc, s9, v26
	v_mov_b32_e32 v29, 0xffff8000
	s_and_saveexec_b64 s[10:11], vcc
	s_cbranch_execz .LBB737_309
; %bb.306:
	s_movk_i32 s9, 0x7f
	v_and_b32_e32 v27, 0x7f, v26
	v_cmp_ne_u32_e32 vcc, s9, v27
	v_mov_b32_e32 v29, 0x7f80
	s_and_saveexec_b64 s[20:21], vcc
	s_cbranch_execz .LBB737_308
; %bb.307:
	v_and_b32_e32 v31, 7, v26
	v_ffbh_u32_e32 v28, v31
	v_min_u32_e32 v33, 32, v28
	v_subrev_u32_e32 v28, 28, v33
	v_lshlrev_b64 v[28:29], v28, v[26:27]
	v_lshrrev_b32_e32 v32, 3, v27
	v_sub_u32_e32 v26, 29, v33
	v_and_b32_e32 v28, 7, v28
	v_cmp_gt_u32_e32 vcc, 8, v27
	v_cndmask_b32_e32 v26, v32, v26, vcc
	v_cndmask_b32_e32 v27, v31, v28, vcc
	v_lshlrev_b32_e32 v28, 16, v22
	v_bfrev_b32_e32 v29, 60
	v_lshlrev_b32_e32 v27, 20, v27
	v_and_b32_e32 v28, 0x80000000, v28
	v_lshl_add_u32 v26, v26, 23, v29
	v_or3_b32 v26, v28, v26, v27
	v_lshrrev_b32_e32 v29, 16, v26
.LBB737_308:
	s_or_b64 exec, exec, s[20:21]
.LBB737_309:
	s_or_b64 exec, exec, s[10:11]
.LBB737_310:
	s_or_b64 exec, exec, s[2:3]
	s_movk_i32 s2, 0xff
	v_and_b32_sdwa v28, v22, s2 dst_sel:DWORD dst_unused:UNUSED_PAD src0_sel:WORD_1 src1_sel:DWORD
	v_lshrrev_b32_e32 v26, 16, v22
	v_cmp_ne_u16_e32 vcc, 0, v28
	v_mov_b32_e32 v27, 0
	v_mov_b32_e32 v31, 0
	s_and_saveexec_b64 s[2:3], vcc
	s_cbranch_execz .LBB737_316
; %bb.311:
	s_movk_i32 s9, 0x80
	v_cmp_ne_u16_e32 vcc, s9, v28
	v_mov_b32_e32 v31, 0xffff8000
	s_and_saveexec_b64 s[10:11], vcc
	s_cbranch_execz .LBB737_315
; %bb.312:
	v_bfe_u32 v28, v22, 16, 7
	s_movk_i32 s9, 0x7f
	v_cmp_ne_u32_e32 vcc, s9, v28
	v_mov_b32_e32 v31, 0x7f80
	s_and_saveexec_b64 s[20:21], vcc
	s_cbranch_execz .LBB737_314
; %bb.313:
	v_and_b32_e32 v31, 7, v26
	v_ffbh_u32_e32 v32, v31
	v_min_u32_e32 v35, 32, v32
	v_subrev_u32_e32 v32, 28, v35
	v_lshlrev_b64 v[32:33], v32, v[26:27]
	v_and_b32_e32 v32, 7, v32
	v_cmp_gt_u32_e32 vcc, 8, v28
	v_lshrrev_b32_e32 v34, 3, v28
	v_sub_u32_e32 v26, 29, v35
	v_cndmask_b32_e32 v28, v31, v32, vcc
	v_mov_b32_e32 v31, 24
	v_cndmask_b32_e32 v26, v34, v26, vcc
	v_lshlrev_b32_sdwa v31, v31, v22 dst_sel:DWORD dst_unused:UNUSED_PAD src0_sel:DWORD src1_sel:WORD_1
	v_bfrev_b32_e32 v32, 60
	v_lshlrev_b32_e32 v28, 20, v28
	v_and_b32_e32 v31, 0x80000000, v31
	v_lshl_add_u32 v26, v26, 23, v32
	v_or3_b32 v26, v31, v26, v28
	v_lshrrev_b32_e32 v31, 16, v26
.LBB737_314:
	s_or_b64 exec, exec, s[20:21]
.LBB737_315:
	s_or_b64 exec, exec, s[10:11]
.LBB737_316:
	s_or_b64 exec, exec, s[2:3]
	s_mov_b32 s2, 0xffffff
	v_cmp_lt_u32_e32 vcc, s2, v22
	v_mov_b32_e32 v32, 0
	s_and_saveexec_b64 s[2:3], vcc
	s_cbranch_execz .LBB737_322
; %bb.317:
	v_lshrrev_b32_e32 v26, 24, v22
	s_movk_i32 s9, 0x80
	v_cmp_ne_u32_e32 vcc, s9, v26
	v_mov_b32_e32 v32, 0xffff8000
	s_and_saveexec_b64 s[10:11], vcc
	s_cbranch_execz .LBB737_321
; %bb.318:
	v_bfe_u32 v28, v22, 24, 7
	s_movk_i32 s9, 0x7f
	v_cmp_ne_u32_e32 vcc, s9, v28
	v_mov_b32_e32 v32, 0x7f80
	s_and_saveexec_b64 s[20:21], vcc
	s_cbranch_execz .LBB737_320
; %bb.319:
	v_and_b32_e32 v34, 7, v26
	v_ffbh_u32_e32 v32, v34
	v_min_u32_e32 v36, 32, v32
	v_subrev_u32_e32 v32, 28, v36
	v_lshlrev_b64 v[32:33], v32, v[26:27]
	v_lshrrev_b32_e32 v35, 3, v28
	v_sub_u32_e32 v33, 29, v36
	v_and_b32_e32 v32, 7, v32
	v_cmp_gt_u32_e32 vcc, 8, v28
	v_cndmask_b32_e32 v28, v35, v33, vcc
	v_cndmask_b32_e32 v32, v34, v32, vcc
	v_lshlrev_b32_e32 v26, 24, v26
	v_bfrev_b32_e32 v33, 60
	v_lshlrev_b32_e32 v32, 20, v32
	v_and_b32_e32 v26, 0x80000000, v26
	v_lshl_add_u32 v28, v28, 23, v33
	v_or3_b32 v26, v26, v28, v32
	v_lshrrev_b32_e32 v32, 16, v26
.LBB737_320:
	s_or_b64 exec, exec, s[20:21]
.LBB737_321:
	s_or_b64 exec, exec, s[10:11]
.LBB737_322:
	s_or_b64 exec, exec, s[2:3]
	v_mov_b32_e32 v33, 0
	v_mov_b32_e32 v26, v23
	v_cmp_ne_u16_sdwa s[10:11], v23, v33 src0_sel:BYTE_0 src1_sel:DWORD
	v_mov_b32_e32 v34, 0
	s_and_saveexec_b64 s[2:3], s[10:11]
	s_cbranch_execz .LBB737_328
; %bb.323:
	s_movk_i32 s9, 0x80
	v_cmp_ne_u16_sdwa s[20:21], v23, s9 src0_sel:BYTE_0 src1_sel:DWORD
	v_mov_b32_e32 v34, 0xffff8000
	s_and_saveexec_b64 s[10:11], s[20:21]
	s_cbranch_execz .LBB737_327
; %bb.324:
	s_movk_i32 s9, 0x7f
	v_and_b32_e32 v28, 0x7f, v23
	v_cmp_ne_u32_e32 vcc, s9, v28
	v_mov_b32_e32 v34, 0x7f80
	s_and_saveexec_b64 s[20:21], vcc
	s_cbranch_execz .LBB737_326
; %bb.325:
	v_and_b32_e32 v34, 7, v23
	v_ffbh_u32_e32 v34, v34
	v_min_u32_e32 v34, 32, v34
	v_lshrrev_b32_e32 v35, 3, v28
	v_subrev_u32_e32 v36, 28, v34
	v_sub_u32_e32 v34, 29, v34
	v_cmp_gt_u32_e32 vcc, 8, v28
	v_cndmask_b32_e32 v28, v35, v34, vcc
	v_cndmask_b32_e32 v34, 0, v36, vcc
	v_lshlrev_b64 v[34:35], v34, v[26:27]
	v_lshlrev_b32_e32 v27, 20, v34
	v_lshlrev_b32_e32 v34, 24, v26
	v_bfrev_b32_e32 v35, 60
	v_and_b32_e32 v27, 0x700000, v27
	v_and_b32_e32 v34, 0x80000000, v34
	v_lshl_add_u32 v28, v28, 23, v35
	v_or3_b32 v27, v34, v28, v27
	v_lshrrev_b32_e32 v34, 16, v27
.LBB737_326:
	s_or_b64 exec, exec, s[20:21]
.LBB737_327:
	s_or_b64 exec, exec, s[10:11]
.LBB737_328:
	s_or_b64 exec, exec, s[2:3]
	v_lshrrev_b16_e32 v28, 8, v26
	v_cmp_ne_u16_e32 vcc, 0, v28
	s_and_saveexec_b64 s[2:3], vcc
	s_cbranch_execz .LBB737_334
; %bb.329:
	s_movk_i32 s9, 0x80
	v_cmp_ne_u16_e32 vcc, s9, v28
	v_mov_b32_e32 v33, 0xffff8000
	s_and_saveexec_b64 s[10:11], vcc
	s_cbranch_execz .LBB737_333
; %bb.330:
	s_movk_i32 s9, 0x7f
	v_and_b32_e32 v27, 0x7f, v28
	v_cmp_ne_u32_e32 vcc, s9, v27
	v_mov_b32_e32 v33, 0x7f80
	s_and_saveexec_b64 s[20:21], vcc
	s_cbranch_execz .LBB737_332
; %bb.331:
	v_and_b32_e32 v33, 7, v28
	v_ffbh_u32_e32 v36, v33
	v_min_u32_e32 v38, 32, v36
	v_subrev_u32_e32 v36, 28, v38
	v_lshlrev_b64 v[36:37], v36, v[28:29]
	v_lshrrev_b32_e32 v35, 3, v27
	v_sub_u32_e32 v28, 29, v38
	v_and_b32_e32 v36, 7, v36
	v_cmp_gt_u32_e32 vcc, 8, v27
	v_cndmask_b32_e32 v27, v35, v28, vcc
	v_cndmask_b32_e32 v28, v33, v36, vcc
	v_lshlrev_b32_e32 v26, 16, v26
	v_bfrev_b32_e32 v33, 60
	v_lshlrev_b32_e32 v28, 20, v28
	v_and_b32_e32 v26, 0x80000000, v26
	v_lshl_add_u32 v27, v27, 23, v33
	v_or3_b32 v26, v26, v27, v28
	v_lshrrev_b32_e32 v33, 16, v26
.LBB737_332:
	s_or_b64 exec, exec, s[20:21]
.LBB737_333:
	s_or_b64 exec, exec, s[10:11]
.LBB737_334:
	s_or_b64 exec, exec, s[2:3]
	s_movk_i32 s2, 0xff
	v_and_b32_sdwa v35, v23, s2 dst_sel:DWORD dst_unused:UNUSED_PAD src0_sel:WORD_1 src1_sel:DWORD
	v_lshrrev_b32_e32 v26, 16, v23
	v_cmp_ne_u16_e32 vcc, 0, v35
	v_mov_b32_e32 v27, 0
	v_mov_b32_e32 v28, 0
	s_and_saveexec_b64 s[2:3], vcc
	s_cbranch_execz .LBB737_340
; %bb.335:
	s_movk_i32 s9, 0x80
	v_cmp_ne_u16_e32 vcc, s9, v35
	v_mov_b32_e32 v28, 0xffff8000
	s_and_saveexec_b64 s[10:11], vcc
	s_cbranch_execz .LBB737_339
; %bb.336:
	v_bfe_u32 v35, v23, 16, 7
	s_movk_i32 s9, 0x7f
	v_cmp_ne_u32_e32 vcc, s9, v35
	v_mov_b32_e32 v28, 0x7f80
	s_and_saveexec_b64 s[20:21], vcc
	s_cbranch_execz .LBB737_338
; %bb.337:
	v_and_b32_e32 v28, 7, v26
	v_ffbh_u32_e32 v36, v28
	v_min_u32_e32 v39, 32, v36
	v_subrev_u32_e32 v36, 28, v39
	v_lshlrev_b64 v[36:37], v36, v[26:27]
	v_lshrrev_b32_e32 v38, 3, v35
	v_sub_u32_e32 v26, 29, v39
	v_and_b32_e32 v36, 7, v36
	v_cmp_gt_u32_e32 vcc, 8, v35
	v_mov_b32_e32 v35, 24
	v_cndmask_b32_e32 v26, v38, v26, vcc
	v_cndmask_b32_e32 v28, v28, v36, vcc
	v_lshlrev_b32_sdwa v35, v35, v23 dst_sel:DWORD dst_unused:UNUSED_PAD src0_sel:DWORD src1_sel:WORD_1
	v_bfrev_b32_e32 v36, 60
	v_lshlrev_b32_e32 v28, 20, v28
	v_and_b32_e32 v35, 0x80000000, v35
	v_lshl_add_u32 v26, v26, 23, v36
	v_or3_b32 v26, v35, v26, v28
	v_lshrrev_b32_e32 v28, 16, v26
.LBB737_338:
	s_or_b64 exec, exec, s[20:21]
.LBB737_339:
	s_or_b64 exec, exec, s[10:11]
.LBB737_340:
	s_or_b64 exec, exec, s[2:3]
	s_mov_b32 s2, -1
	s_mov_b32 s3, 0xffffff
	v_cmp_lt_u64_e32 vcc, s[2:3], v[22:23]
	s_and_saveexec_b64 s[2:3], vcc
	s_cbranch_execz .LBB737_346
; %bb.341:
	v_lshrrev_b32_e32 v22, 24, v23
	s_movk_i32 s9, 0x80
	v_cmp_ne_u32_e32 vcc, s9, v22
	v_mov_b32_e32 v27, 0xffff8000
	s_and_saveexec_b64 s[10:11], vcc
	s_cbranch_execz .LBB737_345
; %bb.342:
	v_bfe_u32 v23, v23, 24, 7
	s_movk_i32 s9, 0x7f
	v_cmp_ne_u32_e32 vcc, s9, v23
	v_mov_b32_e32 v27, 0x7f80
	s_and_saveexec_b64 s[20:21], vcc
	s_cbranch_execz .LBB737_344
; %bb.343:
	v_and_b32_e32 v35, 7, v22
	v_ffbh_u32_e32 v26, v35
	v_min_u32_e32 v37, 32, v26
	v_subrev_u32_e32 v26, 28, v37
	v_lshlrev_b64 v[26:27], v26, v[22:23]
	v_lshrrev_b32_e32 v36, 3, v23
	v_sub_u32_e32 v27, 29, v37
	v_and_b32_e32 v26, 7, v26
	v_cmp_gt_u32_e32 vcc, 8, v23
	v_cndmask_b32_e32 v23, v36, v27, vcc
	v_cndmask_b32_e32 v26, v35, v26, vcc
	v_lshlrev_b32_e32 v22, 24, v22
	v_bfrev_b32_e32 v27, 60
	v_lshlrev_b32_e32 v26, 20, v26
	v_and_b32_e32 v22, 0x80000000, v22
	v_lshl_add_u32 v23, v23, 23, v27
	v_or3_b32 v22, v22, v23, v26
	v_lshrrev_b32_e32 v27, 16, v22
.LBB737_344:
	s_or_b64 exec, exec, s[20:21]
.LBB737_345:
	s_or_b64 exec, exec, s[10:11]
.LBB737_346:
	s_or_b64 exec, exec, s[2:3]
	s_mov_b32 s2, 0x5040100
	v_perm_b32 v23, v32, v31, s2
	v_perm_b32 v22, v29, v30, s2
	v_perm_b32 v27, v27, v28, s2
	v_perm_b32 v26, v33, v34, s2
	v_mfma_f32_4x4x4bf16_1k a[0:3], v[18:19], v[22:23], a[0:3] cbsz:4 abid:6
	v_mov_b32_e32 v28, 0
	v_mfma_f32_4x4x4bf16_1k a[0:3], v[20:21], v[26:27], a[0:3] cbsz:4 abid:6
	v_mov_b32_e32 v27, 0
	v_cmp_ne_u16_sdwa s[10:11], v24, v27 src0_sel:BYTE_0 src1_sel:DWORD
	s_and_saveexec_b64 s[2:3], s[10:11]
	s_cbranch_execz .LBB737_352
; %bb.347:
	s_movk_i32 s9, 0x80
	v_cmp_ne_u16_sdwa s[20:21], v24, s9 src0_sel:BYTE_0 src1_sel:DWORD
	v_mov_b32_e32 v28, 0xffff8000
	s_and_saveexec_b64 s[10:11], s[20:21]
	s_cbranch_execz .LBB737_351
; %bb.348:
	s_movk_i32 s9, 0x7f
	v_and_b32_e32 v22, 0x7f, v24
	v_cmp_ne_u32_e32 vcc, s9, v22
	v_mov_b32_e32 v28, 0x7f80
	s_and_saveexec_b64 s[20:21], vcc
	s_cbranch_execz .LBB737_350
; %bb.349:
	v_and_b32_e32 v23, 7, v24
	v_ffbh_u32_e32 v23, v23
	v_min_u32_e32 v23, 32, v23
	v_subrev_u32_e32 v28, 28, v23
	v_cmp_gt_u32_e32 vcc, 8, v22
	v_lshrrev_b32_e32 v26, 3, v22
	v_sub_u32_e32 v23, 29, v23
	v_cndmask_b32_e32 v22, 0, v28, vcc
	v_cndmask_b32_e32 v26, v26, v23, vcc
	v_lshlrev_b64 v[22:23], v22, v[24:25]
	v_lshlrev_b32_e32 v22, 20, v22
	v_lshlrev_b32_e32 v23, 24, v24
	v_bfrev_b32_e32 v28, 60
	v_and_b32_e32 v22, 0x700000, v22
	v_and_b32_e32 v23, 0x80000000, v23
	v_lshl_add_u32 v26, v26, 23, v28
	v_or3_b32 v22, v23, v26, v22
	v_lshrrev_b32_e32 v28, 16, v22
.LBB737_350:
	s_or_b64 exec, exec, s[20:21]
.LBB737_351:
	s_or_b64 exec, exec, s[10:11]
.LBB737_352:
	s_or_b64 exec, exec, s[2:3]
	v_lshrrev_b16_e32 v22, 8, v24
	v_cmp_ne_u16_e32 vcc, 0, v22
	s_and_saveexec_b64 s[2:3], vcc
	s_cbranch_execz .LBB737_358
; %bb.353:
	s_movk_i32 s9, 0x80
	v_cmp_ne_u16_e32 vcc, s9, v22
	v_mov_b32_e32 v27, 0xffff8000
	s_and_saveexec_b64 s[10:11], vcc
	s_cbranch_execz .LBB737_357
; %bb.354:
	s_movk_i32 s9, 0x7f
	v_and_b32_e32 v23, 0x7f, v22
	v_cmp_ne_u32_e32 vcc, s9, v23
	v_mov_b32_e32 v27, 0x7f80
	s_and_saveexec_b64 s[20:21], vcc
	s_cbranch_execz .LBB737_356
; %bb.355:
	v_and_b32_e32 v29, 7, v22
	v_ffbh_u32_e32 v26, v29
	v_min_u32_e32 v31, 32, v26
	v_subrev_u32_e32 v26, 28, v31
	v_lshlrev_b64 v[26:27], v26, v[22:23]
	v_lshrrev_b32_e32 v30, 3, v23
	v_sub_u32_e32 v22, 29, v31
	v_and_b32_e32 v26, 7, v26
	v_cmp_gt_u32_e32 vcc, 8, v23
	v_cndmask_b32_e32 v22, v30, v22, vcc
	v_cndmask_b32_e32 v23, v29, v26, vcc
	v_lshlrev_b32_e32 v26, 16, v24
	v_bfrev_b32_e32 v27, 60
	v_lshlrev_b32_e32 v23, 20, v23
	v_and_b32_e32 v26, 0x80000000, v26
	v_lshl_add_u32 v22, v22, 23, v27
	v_or3_b32 v22, v26, v22, v23
	v_lshrrev_b32_e32 v27, 16, v22
.LBB737_356:
	s_or_b64 exec, exec, s[20:21]
.LBB737_357:
	s_or_b64 exec, exec, s[10:11]
.LBB737_358:
	s_or_b64 exec, exec, s[2:3]
	s_movk_i32 s2, 0xff
	v_and_b32_sdwa v26, v24, s2 dst_sel:DWORD dst_unused:UNUSED_PAD src0_sel:WORD_1 src1_sel:DWORD
	v_lshrrev_b32_e32 v22, 16, v24
	v_cmp_ne_u16_e32 vcc, 0, v26
	v_mov_b32_e32 v23, 0
	v_mov_b32_e32 v29, 0
	s_and_saveexec_b64 s[2:3], vcc
	s_cbranch_execz .LBB737_364
; %bb.359:
	s_movk_i32 s9, 0x80
	v_cmp_ne_u16_e32 vcc, s9, v26
	v_mov_b32_e32 v29, 0xffff8000
	s_and_saveexec_b64 s[10:11], vcc
	s_cbranch_execz .LBB737_363
; %bb.360:
	v_bfe_u32 v26, v24, 16, 7
	s_movk_i32 s9, 0x7f
	v_cmp_ne_u32_e32 vcc, s9, v26
	v_mov_b32_e32 v29, 0x7f80
	s_and_saveexec_b64 s[20:21], vcc
	s_cbranch_execz .LBB737_362
; %bb.361:
	v_and_b32_e32 v29, 7, v22
	v_ffbh_u32_e32 v30, v29
	v_min_u32_e32 v33, 32, v30
	v_subrev_u32_e32 v30, 28, v33
	v_lshlrev_b64 v[30:31], v30, v[22:23]
	v_and_b32_e32 v30, 7, v30
	v_cmp_gt_u32_e32 vcc, 8, v26
	v_lshrrev_b32_e32 v32, 3, v26
	v_sub_u32_e32 v22, 29, v33
	v_cndmask_b32_e32 v26, v29, v30, vcc
	v_mov_b32_e32 v29, 24
	v_cndmask_b32_e32 v22, v32, v22, vcc
	v_lshlrev_b32_sdwa v29, v29, v24 dst_sel:DWORD dst_unused:UNUSED_PAD src0_sel:DWORD src1_sel:WORD_1
	v_bfrev_b32_e32 v30, 60
	v_lshlrev_b32_e32 v26, 20, v26
	v_and_b32_e32 v29, 0x80000000, v29
	v_lshl_add_u32 v22, v22, 23, v30
	v_or3_b32 v22, v29, v22, v26
	v_lshrrev_b32_e32 v29, 16, v22
.LBB737_362:
	s_or_b64 exec, exec, s[20:21]
.LBB737_363:
	s_or_b64 exec, exec, s[10:11]
.LBB737_364:
	s_or_b64 exec, exec, s[2:3]
	s_mov_b32 s2, 0xffffff
	v_cmp_lt_u32_e32 vcc, s2, v24
	v_mov_b32_e32 v30, 0
	s_and_saveexec_b64 s[2:3], vcc
	s_cbranch_execz .LBB737_370
; %bb.365:
	v_lshrrev_b32_e32 v22, 24, v24
	s_movk_i32 s9, 0x80
	v_cmp_ne_u32_e32 vcc, s9, v22
	v_mov_b32_e32 v30, 0xffff8000
	s_and_saveexec_b64 s[10:11], vcc
	s_cbranch_execz .LBB737_369
; %bb.366:
	v_bfe_u32 v26, v24, 24, 7
	s_movk_i32 s9, 0x7f
	v_cmp_ne_u32_e32 vcc, s9, v26
	v_mov_b32_e32 v30, 0x7f80
	s_and_saveexec_b64 s[20:21], vcc
	s_cbranch_execz .LBB737_368
; %bb.367:
	v_and_b32_e32 v32, 7, v22
	v_ffbh_u32_e32 v30, v32
	v_min_u32_e32 v34, 32, v30
	v_subrev_u32_e32 v30, 28, v34
	v_lshlrev_b64 v[30:31], v30, v[22:23]
	v_lshrrev_b32_e32 v33, 3, v26
	v_sub_u32_e32 v31, 29, v34
	v_and_b32_e32 v30, 7, v30
	v_cmp_gt_u32_e32 vcc, 8, v26
	v_cndmask_b32_e32 v26, v33, v31, vcc
	v_cndmask_b32_e32 v30, v32, v30, vcc
	v_lshlrev_b32_e32 v22, 24, v22
	v_bfrev_b32_e32 v31, 60
	v_lshlrev_b32_e32 v30, 20, v30
	v_and_b32_e32 v22, 0x80000000, v22
	v_lshl_add_u32 v26, v26, 23, v31
	v_or3_b32 v22, v22, v26, v30
	v_lshrrev_b32_e32 v30, 16, v22
.LBB737_368:
	s_or_b64 exec, exec, s[20:21]
.LBB737_369:
	s_or_b64 exec, exec, s[10:11]
.LBB737_370:
	s_or_b64 exec, exec, s[2:3]
	v_mov_b32_e32 v31, 0
	v_mov_b32_e32 v22, v25
	v_cmp_ne_u16_sdwa s[10:11], v25, v31 src0_sel:BYTE_0 src1_sel:DWORD
	v_mov_b32_e32 v32, 0
	s_and_saveexec_b64 s[2:3], s[10:11]
	s_cbranch_execz .LBB737_376
; %bb.371:
	s_movk_i32 s9, 0x80
	v_cmp_ne_u16_sdwa s[20:21], v25, s9 src0_sel:BYTE_0 src1_sel:DWORD
	v_mov_b32_e32 v32, 0xffff8000
	s_and_saveexec_b64 s[10:11], s[20:21]
	s_cbranch_execz .LBB737_375
; %bb.372:
	s_movk_i32 s9, 0x7f
	v_and_b32_e32 v26, 0x7f, v25
	v_cmp_ne_u32_e32 vcc, s9, v26
	v_mov_b32_e32 v32, 0x7f80
	s_and_saveexec_b64 s[20:21], vcc
	s_cbranch_execz .LBB737_374
; %bb.373:
	v_and_b32_e32 v32, 7, v25
	v_ffbh_u32_e32 v32, v32
	v_min_u32_e32 v32, 32, v32
	v_lshrrev_b32_e32 v33, 3, v26
	v_subrev_u32_e32 v34, 28, v32
	v_sub_u32_e32 v32, 29, v32
	v_cmp_gt_u32_e32 vcc, 8, v26
	v_cndmask_b32_e32 v26, v33, v32, vcc
	v_cndmask_b32_e32 v32, 0, v34, vcc
	v_lshlrev_b64 v[32:33], v32, v[22:23]
	v_lshlrev_b32_e32 v23, 20, v32
	v_lshlrev_b32_e32 v32, 24, v22
	v_bfrev_b32_e32 v33, 60
	v_and_b32_e32 v23, 0x700000, v23
	v_and_b32_e32 v32, 0x80000000, v32
	v_lshl_add_u32 v26, v26, 23, v33
	v_or3_b32 v23, v32, v26, v23
	v_lshrrev_b32_e32 v32, 16, v23
.LBB737_374:
	s_or_b64 exec, exec, s[20:21]
.LBB737_375:
	s_or_b64 exec, exec, s[10:11]
.LBB737_376:
	s_or_b64 exec, exec, s[2:3]
	v_lshrrev_b16_e32 v26, 8, v22
	v_cmp_ne_u16_e32 vcc, 0, v26
	s_and_saveexec_b64 s[2:3], vcc
	s_cbranch_execz .LBB737_382
; %bb.377:
	s_movk_i32 s9, 0x80
	v_cmp_ne_u16_e32 vcc, s9, v26
	v_mov_b32_e32 v31, 0xffff8000
	s_and_saveexec_b64 s[10:11], vcc
	s_cbranch_execz .LBB737_381
; %bb.378:
	s_movk_i32 s9, 0x7f
	v_and_b32_e32 v23, 0x7f, v26
	v_cmp_ne_u32_e32 vcc, s9, v23
	v_mov_b32_e32 v31, 0x7f80
	s_and_saveexec_b64 s[20:21], vcc
	s_cbranch_execz .LBB737_380
; %bb.379:
	v_and_b32_e32 v31, 7, v26
	v_ffbh_u32_e32 v34, v31
	v_min_u32_e32 v36, 32, v34
	v_subrev_u32_e32 v34, 28, v36
	v_lshlrev_b64 v[34:35], v34, v[26:27]
	v_lshrrev_b32_e32 v33, 3, v23
	v_sub_u32_e32 v26, 29, v36
	v_and_b32_e32 v34, 7, v34
	v_cmp_gt_u32_e32 vcc, 8, v23
	v_cndmask_b32_e32 v23, v33, v26, vcc
	v_cndmask_b32_e32 v26, v31, v34, vcc
	v_lshlrev_b32_e32 v22, 16, v22
	v_bfrev_b32_e32 v31, 60
	v_lshlrev_b32_e32 v26, 20, v26
	v_and_b32_e32 v22, 0x80000000, v22
	v_lshl_add_u32 v23, v23, 23, v31
	v_or3_b32 v22, v22, v23, v26
	v_lshrrev_b32_e32 v31, 16, v22
.LBB737_380:
	s_or_b64 exec, exec, s[20:21]
.LBB737_381:
	s_or_b64 exec, exec, s[10:11]
.LBB737_382:
	s_or_b64 exec, exec, s[2:3]
	s_movk_i32 s2, 0xff
	v_and_b32_sdwa v33, v25, s2 dst_sel:DWORD dst_unused:UNUSED_PAD src0_sel:WORD_1 src1_sel:DWORD
	v_lshrrev_b32_e32 v22, 16, v25
	v_cmp_ne_u16_e32 vcc, 0, v33
	v_mov_b32_e32 v23, 0
	v_mov_b32_e32 v26, 0
	s_and_saveexec_b64 s[2:3], vcc
	s_cbranch_execz .LBB737_388
; %bb.383:
	s_movk_i32 s9, 0x80
	v_cmp_ne_u16_e32 vcc, s9, v33
	v_mov_b32_e32 v26, 0xffff8000
	s_and_saveexec_b64 s[10:11], vcc
	s_cbranch_execz .LBB737_387
; %bb.384:
	v_bfe_u32 v33, v25, 16, 7
	s_movk_i32 s9, 0x7f
	v_cmp_ne_u32_e32 vcc, s9, v33
	v_mov_b32_e32 v26, 0x7f80
	s_and_saveexec_b64 s[20:21], vcc
	s_cbranch_execz .LBB737_386
; %bb.385:
	v_and_b32_e32 v26, 7, v22
	v_ffbh_u32_e32 v34, v26
	v_min_u32_e32 v37, 32, v34
	v_subrev_u32_e32 v34, 28, v37
	v_lshlrev_b64 v[34:35], v34, v[22:23]
	v_lshrrev_b32_e32 v36, 3, v33
	v_sub_u32_e32 v22, 29, v37
	v_and_b32_e32 v34, 7, v34
	v_cmp_gt_u32_e32 vcc, 8, v33
	v_mov_b32_e32 v33, 24
	v_cndmask_b32_e32 v22, v36, v22, vcc
	v_cndmask_b32_e32 v26, v26, v34, vcc
	v_lshlrev_b32_sdwa v33, v33, v25 dst_sel:DWORD dst_unused:UNUSED_PAD src0_sel:DWORD src1_sel:WORD_1
	v_bfrev_b32_e32 v34, 60
	v_lshlrev_b32_e32 v26, 20, v26
	v_and_b32_e32 v33, 0x80000000, v33
	v_lshl_add_u32 v22, v22, 23, v34
	v_or3_b32 v22, v33, v22, v26
	v_lshrrev_b32_e32 v26, 16, v22
.LBB737_386:
	s_or_b64 exec, exec, s[20:21]
.LBB737_387:
	s_or_b64 exec, exec, s[10:11]
.LBB737_388:
	s_or_b64 exec, exec, s[2:3]
	s_mov_b32 s2, -1
	s_mov_b32 s3, 0xffffff
	v_cmp_lt_u64_e32 vcc, s[2:3], v[24:25]
	s_and_saveexec_b64 s[2:3], vcc
	s_cbranch_execz .LBB737_394
; %bb.389:
	v_lshrrev_b32_e32 v22, 24, v25
	s_movk_i32 s9, 0x80
	v_cmp_ne_u32_e32 vcc, s9, v22
	v_mov_b32_e32 v23, 0xffff8000
	s_and_saveexec_b64 s[10:11], vcc
	s_cbranch_execz .LBB737_393
; %bb.390:
	v_bfe_u32 v24, v25, 24, 7
	s_movk_i32 s9, 0x7f
	v_cmp_ne_u32_e32 vcc, s9, v24
	v_mov_b32_e32 v23, 0x7f80
	s_and_saveexec_b64 s[20:21], vcc
	s_cbranch_execz .LBB737_392
; %bb.391:
	v_and_b32_e32 v23, 7, v22
	v_ffbh_u32_e32 v33, v23
	v_min_u32_e32 v33, 32, v33
	v_subrev_u32_e32 v34, 28, v33
	v_lshlrev_b64 v[34:35], v34, v[22:23]
	v_lshrrev_b32_e32 v25, 3, v24
	v_sub_u32_e32 v33, 29, v33
	v_and_b32_e32 v34, 7, v34
	v_cmp_gt_u32_e32 vcc, 8, v24
	v_cndmask_b32_e32 v24, v25, v33, vcc
	v_cndmask_b32_e32 v23, v23, v34, vcc
	v_lshlrev_b32_e32 v22, 24, v22
	v_bfrev_b32_e32 v25, 60
	v_lshlrev_b32_e32 v23, 20, v23
	v_and_b32_e32 v22, 0x80000000, v22
	v_lshl_add_u32 v24, v24, 23, v25
	v_or3_b32 v22, v22, v24, v23
	v_lshrrev_b32_e32 v23, 16, v22
.LBB737_392:
	s_or_b64 exec, exec, s[20:21]
.LBB737_393:
	s_or_b64 exec, exec, s[10:11]
.LBB737_394:
	s_or_b64 exec, exec, s[2:3]
	s_mov_b32 s3, 0x5040100
	s_load_dword s2, s[4:5], 0x1c
	v_perm_b32 v25, v30, v29, s3
	v_perm_b32 v24, v27, v28, s3
	;; [unrolled: 1-line block ×4, first 2 shown]
	v_mfma_f32_4x4x4bf16_1k a[0:3], v[18:19], v[24:25], a[0:3] cbsz:4 abid:7
	s_load_dword s3, s[12:13], 0x0
	v_mfma_f32_4x4x4bf16_1k a[0:3], v[20:21], v[22:23], a[0:3] cbsz:4 abid:7
	s_waitcnt lgkmcnt(0)
	v_mov_b32_e32 v18, s2
	v_cmp_eq_u32_e32 vcc, 0, v43
	v_mul_f32_e32 v20, s3, v18
	s_nop 0
	v_accvgpr_read_b32 v23, a1
	v_accvgpr_read_b32 v22, a0
	v_pk_mul_f32 v[22:23], v[22:23], v[20:21] op_sel_hi:[1,0]
	v_accvgpr_read_b32 v19, a3
	v_accvgpr_read_b32 v18, a2
	v_pk_mul_f32 v[18:19], v[18:19], v[20:21] op_sel_hi:[1,0]
	v_cndmask_b32_e64 v20, 0, 1.0, vcc
	v_cmp_eq_u32_e32 vcc, 1, v43
	s_nop 0
	v_mfma_f32_4x4x1f32 a[0:3], v22, v20, 0
	v_cndmask_b32_e64 v20, 0, 1.0, vcc
	v_cmp_eq_u32_e32 vcc, 2, v43
	v_mov_b32_e32 v22, 0xff7fffff
	v_mfma_f32_4x4x1f32 a[0:3], v23, v20, a[0:3]
	v_cndmask_b32_e64 v20, 0, 1.0, vcc
	v_cmp_eq_u32_e32 vcc, 3, v43
	s_nop 0
	v_mfma_f32_4x4x1f32 a[0:3], v18, v20, a[0:3]
	v_cndmask_b32_e64 v18, 0, 1.0, vcc
	s_nop 1
	v_mfma_f32_4x4x1f32 a[0:3], v19, v18, a[0:3]
	v_and_b32_e32 v18, -4, v44
	v_cmp_gt_i32_e32 vcc, s7, v18
	v_lshlrev_b32_e32 v19, 2, v0
	v_and_or_b32 v19, v19, 48, v43
	v_lshlrev_b32_e32 v26, 2, v19
	v_accvgpr_read_b32 v20, a0
	v_max_f32_e32 v21, v20, v20
	v_max_f32_e32 v21, 0xff7fffff, v21
	v_accvgpr_read_b32 v23, a1
	v_cndmask_b32_e32 v21, v22, v21, vcc
	v_or_b32_e32 v22, 1, v18
	v_max_f32_e32 v24, v23, v23
	v_max_f32_e32 v24, v21, v24
	v_cmp_gt_i32_e64 s[2:3], s7, v22
	v_accvgpr_read_b32 v22, a2
	v_cndmask_b32_e64 v21, v21, v24, s[2:3]
	v_or_b32_e32 v18, 2, v18
	v_max_f32_e32 v24, v22, v22
	v_max_f32_e32 v24, v21, v24
	v_cmp_gt_i32_e64 s[4:5], s7, v18
	v_cndmask_b32_e64 v18, v21, v24, s[4:5]
	v_accvgpr_read_b32 v24, a3
	v_or_b32_e32 v21, 3, v44
	v_max_f32_e32 v25, v24, v24
	v_max_f32_e32 v25, v18, v25
	v_cmp_gt_i32_e64 s[10:11], s7, v21
	v_cndmask_b32_e64 v18, v18, v25, s[10:11]
	;;#ASMSTART
	v_nop
 v_nop
 v_max_f32_dpp v18, v18, v18 row_ror:4
	;;#ASMEND
	;;#ASMSTART
	v_nop
 v_nop
 v_max_f32_dpp v18, v18, v18 row_ror:8
	;;#ASMEND
	ds_bpermute_b32 v18, v26, v18
	s_waitcnt lgkmcnt(0)
	;;#ASMSTART
	v_nop
 v_nop
 v_max_f32_dpp v18, v18, v18 row_ror:4
	;;#ASMEND
	;;#ASMSTART
	v_nop
 v_nop
 v_max_f32_dpp v25, v18, v18 row_ror:8
	;;#ASMEND
	v_sub_f32_e32 v18, v20, v25
	v_mul_f32_e32 v18, 0x3fb8aa3b, v18
	v_sub_f32_e32 v19, v23, v25
	v_exp_f32_e32 v18, v18
	v_mul_f32_e32 v19, 0x3fb8aa3b, v19
	v_sub_f32_e32 v21, v22, v25
	v_exp_f32_e32 v19, v19
	;; [unrolled: 3-line block ×3, first 2 shown]
	v_mul_f32_e32 v22, 0x3fb8aa3b, v22
	v_exp_f32_e32 v22, v22
	v_cndmask_b32_e32 v18, 0, v18, vcc
	v_add_f32_e32 v20, 0, v18
	v_cndmask_b32_e64 v19, 0, v19, s[2:3]
	v_add_f32_e32 v23, v20, v19
	v_cndmask_b32_e64 v20, 0, v21, s[4:5]
	;; [unrolled: 2-line block ×3, first 2 shown]
	v_add_f32_e32 v22, v23, v21
	;;#ASMSTART
	v_nop
 v_nop
 v_add_f32_dpp v22, v22, v22 row_ror:4
	;;#ASMEND
	;;#ASMSTART
	v_nop
 v_nop
 v_add_f32_dpp v22, v22, v22 row_ror:8
	;;#ASMEND
	ds_bpermute_b32 v22, v26, v22
	s_waitcnt lgkmcnt(0)
	;;#ASMSTART
	v_nop
 v_nop
 v_add_f32_dpp v22, v22, v22 row_ror:4
	;;#ASMEND
	v_cmp_gt_u32_e32 vcc, 4, v42
	;;#ASMSTART
	v_nop
 v_nop
 v_add_f32_dpp v22, v22, v22 row_ror:8
	;;#ASMEND
	s_and_saveexec_b64 s[2:3], vcc
	s_cbranch_execz .LBB737_396
; %bb.395:
	v_mul_u32_u24_e32 v23, 20, v1
	v_lshl_add_u32 v23, v43, 2, v23
	v_add_u32_e32 v23, 0x800, v23
	ds_write2_b32 v23, v25, v22 offset0:128 offset1:148
.LBB737_396:
	s_or_b64 exec, exec, s[2:3]
.LBB737_397:
	s_or_b64 exec, exec, s[36:37]
	v_lshlrev_b32_e32 v22, 2, v43
	v_add_u32_e32 v24, 0x800, v22
	s_waitcnt lgkmcnt(0)
	s_barrier
	s_load_dword s2, s[34:35], 0x8
	ds_read2_b32 v[22:23], v24 offset0:128 offset1:133
	ds_read2_b32 v[28:29], v24 offset0:138 offset1:143
	s_mov_b32 s7, 0xff7fffff
	s_mul_i32 s3, s6, s33
	ds_read2_b32 v[30:31], v24 offset0:148 offset1:153
	s_waitcnt lgkmcnt(0)
	v_max3_f32 v26, v22, s7, v23
	v_max3_f32 v26, v26, v28, v29
	v_sub_f32_e32 v22, v22, v26
	v_mul_f32_e32 v22, 0x3fb8aa3b, v22
	v_exp_f32_e32 v27, v22
	v_sub_f32_e32 v22, v23, v26
	v_mul_f32_e32 v22, 0x3fb8aa3b, v22
	s_mul_i32 s3, s3, s2
	v_exp_f32_e32 v32, v22
	ds_read2_b32 v[22:23], v24 offset0:158 offset1:163
	v_sub_f32_e32 v24, v28, v26
	s_lshl_b32 s2, s3, 2
	s_mov_b32 s3, 0
	v_mul_f32_e32 v24, 0x3fb8aa3b, v24
	v_sub_f32_e32 v28, v29, v26
	s_lshl_b32 s10, s8, 2
	s_lshl_b64 s[4:5], s[2:3], 2
	v_exp_f32_e32 v24, v24
	v_mul_f32_e32 v28, 0x3fb8aa3b, v28
	s_mov_b32 s29, s3
	s_add_u32 s3, s16, s4
	v_exp_f32_e32 v28, v28
	s_addc_u32 s6, s17, s5
	v_fma_f32 v27, v27, v30, 0
	s_add_u32 s7, s18, s4
	v_fmac_f32_e32 v27, v32, v31
	s_addc_u32 s8, s19, s5
	s_lshl_b64 s[4:5], s[28:29], 2
	s_waitcnt lgkmcnt(0)
	v_fmac_f32_e32 v27, v24, v22
	v_or_b32_e32 v22, s10, v43
	s_add_u32 s7, s7, s4
	v_fmac_f32_e32 v27, v28, v23
	v_mul_lo_u32 v22, s33, v22
	v_mov_b32_e32 v23, 0
	s_addc_u32 s8, s8, s5
	v_lshlrev_b64 v[28:29], 2, v[22:23]
	s_add_u32 s3, s3, s4
	v_mov_b32_e32 v22, s8
	v_add_co_u32_e32 v30, vcc, s7, v28
	s_addc_u32 s4, s6, s5
	v_addc_co_u32_e32 v31, vcc, v22, v29, vcc
	v_mov_b32_e32 v22, s4
	v_add_co_u32_e32 v28, vcc, s3, v28
	v_addc_co_u32_e32 v29, vcc, v22, v29, vcc
	v_mov_b32_e32 v22, v23
	global_store_dword v[30:31], v26, off
	global_store_dword v[28:29], v27, off
	s_and_saveexec_b64 s[4:5], s[0:1]
	s_cbranch_execz .LBB737_783
; %bb.398:
	v_mov_b32_e32 v28, 0
	s_waitcnt vmcnt(4)
	v_cmp_ne_u16_sdwa s[6:7], v14, v28 src0_sel:BYTE_0 src1_sel:DWORD
	v_mov_b32_e32 v29, 0
	s_and_saveexec_b64 s[0:1], s[6:7]
	s_cbranch_execz .LBB737_404
; %bb.399:
	s_movk_i32 s3, 0x80
	v_cmp_ne_u16_sdwa s[8:9], v14, s3 src0_sel:BYTE_0 src1_sel:DWORD
	v_mov_b32_e32 v29, 0xffff8000
	s_and_saveexec_b64 s[6:7], s[8:9]
	s_cbranch_execz .LBB737_403
; %bb.400:
	s_movk_i32 s3, 0x7f
	v_and_b32_e32 v22, 0x7f, v14
	v_cmp_ne_u32_e32 vcc, s3, v22
	v_mov_b32_e32 v29, 0x7f80
	s_and_saveexec_b64 s[8:9], vcc
	s_cbranch_execz .LBB737_402
; %bb.401:
	v_and_b32_e32 v23, 7, v14
	v_ffbh_u32_e32 v23, v23
	v_min_u32_e32 v23, 32, v23
	v_subrev_u32_e32 v29, 28, v23
	v_cmp_gt_u32_e32 vcc, 8, v22
	v_lshrrev_b32_e32 v24, 3, v22
	v_sub_u32_e32 v23, 29, v23
	v_cndmask_b32_e32 v22, 0, v29, vcc
	v_cndmask_b32_e32 v24, v24, v23, vcc
	v_lshlrev_b64 v[22:23], v22, v[14:15]
	v_lshlrev_b32_e32 v22, 20, v22
	v_lshlrev_b32_e32 v23, 24, v14
	v_bfrev_b32_e32 v29, 60
	v_and_b32_e32 v22, 0x700000, v22
	v_and_b32_e32 v23, 0x80000000, v23
	v_lshl_add_u32 v24, v24, 23, v29
	v_or3_b32 v22, v23, v24, v22
	v_lshrrev_b32_e32 v29, 16, v22
.LBB737_402:
	s_or_b64 exec, exec, s[8:9]
.LBB737_403:
	s_or_b64 exec, exec, s[6:7]
.LBB737_404:
	s_or_b64 exec, exec, s[0:1]
	v_lshrrev_b16_e32 v22, 8, v14
	v_cmp_ne_u16_e32 vcc, 0, v22
	s_and_saveexec_b64 s[0:1], vcc
	s_cbranch_execz .LBB737_410
; %bb.405:
	s_movk_i32 s3, 0x80
	v_cmp_ne_u16_e32 vcc, s3, v22
	v_mov_b32_e32 v28, 0xffff8000
	s_and_saveexec_b64 s[6:7], vcc
	s_cbranch_execz .LBB737_409
; %bb.406:
	s_movk_i32 s3, 0x7f
	v_and_b32_e32 v23, 0x7f, v22
	v_cmp_ne_u32_e32 vcc, s3, v23
	v_mov_b32_e32 v28, 0x7f80
	s_and_saveexec_b64 s[8:9], vcc
	s_cbranch_execz .LBB737_408
; %bb.407:
	v_and_b32_e32 v24, 7, v22
	v_ffbh_u32_e32 v30, v24
	v_min_u32_e32 v32, 32, v30
	v_subrev_u32_e32 v30, 28, v32
	v_lshlrev_b64 v[30:31], v30, v[22:23]
	v_lshrrev_b32_e32 v28, 3, v23
	v_sub_u32_e32 v22, 29, v32
	v_and_b32_e32 v30, 7, v30
	v_cmp_gt_u32_e32 vcc, 8, v23
	v_cndmask_b32_e32 v22, v28, v22, vcc
	v_cndmask_b32_e32 v23, v24, v30, vcc
	v_lshlrev_b32_e32 v24, 16, v14
	v_bfrev_b32_e32 v28, 60
	v_lshlrev_b32_e32 v23, 20, v23
	v_and_b32_e32 v24, 0x80000000, v24
	v_lshl_add_u32 v22, v22, 23, v28
	v_or3_b32 v22, v24, v22, v23
	v_lshrrev_b32_e32 v28, 16, v22
.LBB737_408:
	s_or_b64 exec, exec, s[8:9]
.LBB737_409:
	s_or_b64 exec, exec, s[6:7]
.LBB737_410:
	s_or_b64 exec, exec, s[0:1]
	s_movk_i32 s0, 0xff
	v_and_b32_sdwa v24, v14, s0 dst_sel:DWORD dst_unused:UNUSED_PAD src0_sel:WORD_1 src1_sel:DWORD
	v_lshrrev_b32_e32 v22, 16, v14
	v_cmp_ne_u16_e32 vcc, 0, v24
	v_mov_b32_e32 v23, 0
	v_mov_b32_e32 v30, 0
	s_and_saveexec_b64 s[0:1], vcc
	s_cbranch_execz .LBB737_416
; %bb.411:
	s_movk_i32 s3, 0x80
	v_cmp_ne_u16_e32 vcc, s3, v24
	v_mov_b32_e32 v30, 0xffff8000
	s_and_saveexec_b64 s[6:7], vcc
	s_cbranch_execz .LBB737_415
; %bb.412:
	v_bfe_u32 v24, v14, 16, 7
	s_movk_i32 s3, 0x7f
	v_cmp_ne_u32_e32 vcc, s3, v24
	v_mov_b32_e32 v30, 0x7f80
	s_and_saveexec_b64 s[8:9], vcc
	s_cbranch_execz .LBB737_414
; %bb.413:
	v_and_b32_e32 v32, 7, v22
	v_ffbh_u32_e32 v30, v32
	v_min_u32_e32 v34, 32, v30
	v_subrev_u32_e32 v30, 28, v34
	v_lshlrev_b64 v[30:31], v30, v[22:23]
	v_and_b32_e32 v30, 7, v30
	v_cmp_gt_u32_e32 vcc, 8, v24
	v_lshrrev_b32_e32 v33, 3, v24
	v_sub_u32_e32 v22, 29, v34
	v_cndmask_b32_e32 v24, v32, v30, vcc
	v_mov_b32_e32 v30, 24
	v_cndmask_b32_e32 v22, v33, v22, vcc
	v_lshlrev_b32_sdwa v30, v30, v14 dst_sel:DWORD dst_unused:UNUSED_PAD src0_sel:DWORD src1_sel:WORD_1
	v_bfrev_b32_e32 v31, 60
	v_lshlrev_b32_e32 v24, 20, v24
	v_and_b32_e32 v30, 0x80000000, v30
	v_lshl_add_u32 v22, v22, 23, v31
	v_or3_b32 v22, v30, v22, v24
	v_lshrrev_b32_e32 v30, 16, v22
.LBB737_414:
	s_or_b64 exec, exec, s[8:9]
.LBB737_415:
	s_or_b64 exec, exec, s[6:7]
.LBB737_416:
	s_or_b64 exec, exec, s[0:1]
	s_mov_b32 s0, 0xffffff
	v_cmp_lt_u32_e32 vcc, s0, v14
	v_mov_b32_e32 v31, 0
	s_and_saveexec_b64 s[0:1], vcc
	s_cbranch_execz .LBB737_422
; %bb.417:
	v_lshrrev_b32_e32 v22, 24, v14
	s_movk_i32 s3, 0x80
	v_cmp_ne_u32_e32 vcc, s3, v22
	v_mov_b32_e32 v31, 0xffff8000
	s_and_saveexec_b64 s[6:7], vcc
	s_cbranch_execz .LBB737_421
; %bb.418:
	v_bfe_u32 v24, v14, 24, 7
	s_movk_i32 s3, 0x7f
	v_cmp_ne_u32_e32 vcc, s3, v24
	v_mov_b32_e32 v31, 0x7f80
	s_and_saveexec_b64 s[8:9], vcc
	s_cbranch_execz .LBB737_420
; %bb.419:
	v_and_b32_e32 v31, 7, v22
	v_ffbh_u32_e32 v32, v31
	v_min_u32_e32 v35, 32, v32
	v_subrev_u32_e32 v32, 28, v35
	v_lshlrev_b64 v[32:33], v32, v[22:23]
	v_lshrrev_b32_e32 v34, 3, v24
	v_sub_u32_e32 v33, 29, v35
	v_and_b32_e32 v32, 7, v32
	v_cmp_gt_u32_e32 vcc, 8, v24
	v_cndmask_b32_e32 v24, v34, v33, vcc
	v_cndmask_b32_e32 v31, v31, v32, vcc
	v_lshlrev_b32_e32 v22, 24, v22
	v_bfrev_b32_e32 v32, 60
	v_lshlrev_b32_e32 v31, 20, v31
	v_and_b32_e32 v22, 0x80000000, v22
	v_lshl_add_u32 v24, v24, 23, v32
	v_or3_b32 v22, v22, v24, v31
	v_lshrrev_b32_e32 v31, 16, v22
.LBB737_420:
	s_or_b64 exec, exec, s[8:9]
.LBB737_421:
	s_or_b64 exec, exec, s[6:7]
.LBB737_422:
	s_or_b64 exec, exec, s[0:1]
	v_mov_b32_e32 v32, 0
	v_mov_b32_e32 v22, v15
	v_cmp_ne_u16_sdwa s[6:7], v15, v32 src0_sel:BYTE_0 src1_sel:DWORD
	v_mov_b32_e32 v33, 0
	s_and_saveexec_b64 s[0:1], s[6:7]
	s_cbranch_execz .LBB737_428
; %bb.423:
	s_movk_i32 s3, 0x80
	v_cmp_ne_u16_sdwa s[8:9], v15, s3 src0_sel:BYTE_0 src1_sel:DWORD
	v_mov_b32_e32 v33, 0xffff8000
	s_and_saveexec_b64 s[6:7], s[8:9]
	s_cbranch_execz .LBB737_427
; %bb.424:
	s_movk_i32 s3, 0x7f
	v_and_b32_e32 v24, 0x7f, v15
	v_cmp_ne_u32_e32 vcc, s3, v24
	v_mov_b32_e32 v33, 0x7f80
	s_and_saveexec_b64 s[8:9], vcc
	s_cbranch_execz .LBB737_426
; %bb.425:
	v_and_b32_e32 v33, 7, v15
	v_ffbh_u32_e32 v33, v33
	v_min_u32_e32 v33, 32, v33
	v_lshrrev_b32_e32 v34, 3, v24
	v_subrev_u32_e32 v35, 28, v33
	v_sub_u32_e32 v33, 29, v33
	v_cmp_gt_u32_e32 vcc, 8, v24
	v_cndmask_b32_e32 v24, v34, v33, vcc
	v_cndmask_b32_e32 v33, 0, v35, vcc
	v_lshlrev_b64 v[34:35], v33, v[22:23]
	v_lshlrev_b32_e32 v23, 20, v34
	v_lshlrev_b32_e32 v33, 24, v22
	v_bfrev_b32_e32 v34, 60
	v_and_b32_e32 v23, 0x700000, v23
	v_and_b32_e32 v33, 0x80000000, v33
	v_lshl_add_u32 v24, v24, 23, v34
	v_or3_b32 v23, v33, v24, v23
	v_lshrrev_b32_e32 v33, 16, v23
.LBB737_426:
	s_or_b64 exec, exec, s[8:9]
.LBB737_427:
	s_or_b64 exec, exec, s[6:7]
.LBB737_428:
	s_or_b64 exec, exec, s[0:1]
	v_lshrrev_b16_e32 v24, 8, v22
	v_cmp_ne_u16_e32 vcc, 0, v24
	s_and_saveexec_b64 s[0:1], vcc
	s_cbranch_execz .LBB737_434
; %bb.429:
	s_movk_i32 s3, 0x80
	v_cmp_ne_u16_e32 vcc, s3, v24
	v_mov_b32_e32 v32, 0xffff8000
	s_and_saveexec_b64 s[6:7], vcc
	s_cbranch_execz .LBB737_433
; %bb.430:
	s_movk_i32 s3, 0x7f
	v_and_b32_e32 v23, 0x7f, v24
	v_cmp_ne_u32_e32 vcc, s3, v23
	v_mov_b32_e32 v32, 0x7f80
	s_and_saveexec_b64 s[8:9], vcc
	s_cbranch_execz .LBB737_432
; %bb.431:
	v_and_b32_e32 v32, 7, v24
	v_ffbh_u32_e32 v34, v32
	v_min_u32_e32 v37, 32, v34
	v_subrev_u32_e32 v34, 28, v37
	v_lshlrev_b64 v[34:35], v34, v[24:25]
	v_lshrrev_b32_e32 v36, 3, v23
	v_sub_u32_e32 v24, 29, v37
	v_and_b32_e32 v34, 7, v34
	v_cmp_gt_u32_e32 vcc, 8, v23
	v_cndmask_b32_e32 v23, v36, v24, vcc
	v_cndmask_b32_e32 v24, v32, v34, vcc
	v_lshlrev_b32_e32 v22, 16, v22
	v_bfrev_b32_e32 v32, 60
	v_lshlrev_b32_e32 v24, 20, v24
	v_and_b32_e32 v22, 0x80000000, v22
	v_lshl_add_u32 v23, v23, 23, v32
	v_or3_b32 v22, v22, v23, v24
	v_lshrrev_b32_e32 v32, 16, v22
.LBB737_432:
	s_or_b64 exec, exec, s[8:9]
.LBB737_433:
	s_or_b64 exec, exec, s[6:7]
.LBB737_434:
	s_or_b64 exec, exec, s[0:1]
	s_movk_i32 s0, 0xff
	v_and_b32_sdwa v34, v15, s0 dst_sel:DWORD dst_unused:UNUSED_PAD src0_sel:WORD_1 src1_sel:DWORD
	v_lshrrev_b32_e32 v22, 16, v15
	v_cmp_ne_u16_e32 vcc, 0, v34
	v_mov_b32_e32 v23, 0
	v_mov_b32_e32 v24, 0
	s_and_saveexec_b64 s[0:1], vcc
	s_cbranch_execz .LBB737_440
; %bb.435:
	s_movk_i32 s3, 0x80
	v_cmp_ne_u16_e32 vcc, s3, v34
	v_mov_b32_e32 v24, 0xffff8000
	s_and_saveexec_b64 s[6:7], vcc
	s_cbranch_execz .LBB737_439
; %bb.436:
	v_bfe_u32 v34, v15, 16, 7
	s_movk_i32 s3, 0x7f
	v_cmp_ne_u32_e32 vcc, s3, v34
	v_mov_b32_e32 v24, 0x7f80
	s_and_saveexec_b64 s[8:9], vcc
	s_cbranch_execz .LBB737_438
; %bb.437:
	v_and_b32_e32 v24, 7, v22
	v_ffbh_u32_e32 v36, v24
	v_min_u32_e32 v38, 32, v36
	v_subrev_u32_e32 v36, 28, v38
	v_lshlrev_b64 v[36:37], v36, v[22:23]
	v_lshrrev_b32_e32 v35, 3, v34
	v_sub_u32_e32 v22, 29, v38
	v_and_b32_e32 v36, 7, v36
	v_cmp_gt_u32_e32 vcc, 8, v34
	v_mov_b32_e32 v34, 24
	v_cndmask_b32_e32 v22, v35, v22, vcc
	v_cndmask_b32_e32 v24, v24, v36, vcc
	v_lshlrev_b32_sdwa v34, v34, v15 dst_sel:DWORD dst_unused:UNUSED_PAD src0_sel:DWORD src1_sel:WORD_1
	v_bfrev_b32_e32 v35, 60
	v_lshlrev_b32_e32 v24, 20, v24
	v_and_b32_e32 v34, 0x80000000, v34
	v_lshl_add_u32 v22, v22, 23, v35
	v_or3_b32 v22, v34, v22, v24
	v_lshrrev_b32_e32 v24, 16, v22
.LBB737_438:
	s_or_b64 exec, exec, s[8:9]
.LBB737_439:
	s_or_b64 exec, exec, s[6:7]
.LBB737_440:
	s_or_b64 exec, exec, s[0:1]
	s_mov_b32 s0, -1
	s_mov_b32 s1, 0xffffff
	v_cmp_lt_u64_e32 vcc, s[0:1], v[14:15]
	s_and_saveexec_b64 s[0:1], vcc
	s_cbranch_execz .LBB737_446
; %bb.441:
	v_lshrrev_b32_e32 v14, 24, v15
	s_movk_i32 s3, 0x80
	v_cmp_ne_u32_e32 vcc, s3, v14
	v_mov_b32_e32 v23, 0xffff8000
	s_and_saveexec_b64 s[6:7], vcc
	s_cbranch_execz .LBB737_445
; %bb.442:
	v_bfe_u32 v15, v15, 24, 7
	s_movk_i32 s3, 0x7f
	v_cmp_ne_u32_e32 vcc, s3, v15
	v_mov_b32_e32 v23, 0x7f80
	s_and_saveexec_b64 s[8:9], vcc
	s_cbranch_execz .LBB737_444
; %bb.443:
	v_and_b32_e32 v34, 7, v14
	v_ffbh_u32_e32 v22, v34
	v_min_u32_e32 v36, 32, v22
	v_subrev_u32_e32 v22, 28, v36
	v_lshlrev_b64 v[22:23], v22, v[14:15]
	v_lshrrev_b32_e32 v35, 3, v15
	v_sub_u32_e32 v23, 29, v36
	v_and_b32_e32 v22, 7, v22
	v_cmp_gt_u32_e32 vcc, 8, v15
	v_cndmask_b32_e32 v15, v35, v23, vcc
	v_cndmask_b32_e32 v22, v34, v22, vcc
	v_lshlrev_b32_e32 v14, 24, v14
	v_bfrev_b32_e32 v23, 60
	v_lshlrev_b32_e32 v22, 20, v22
	v_and_b32_e32 v14, 0x80000000, v14
	v_lshl_add_u32 v15, v15, 23, v23
	v_or3_b32 v14, v14, v15, v22
	v_lshrrev_b32_e32 v23, 16, v14
.LBB737_444:
	s_or_b64 exec, exec, s[8:9]
.LBB737_445:
	s_or_b64 exec, exec, s[6:7]
.LBB737_446:
	s_or_b64 exec, exec, s[0:1]
	v_add_f32_e32 v14, 0x358637bd, v27
	v_div_scale_f32 v15, s[0:1], v14, v14, 1.0
	v_rcp_f32_e32 v22, v15
	v_div_scale_f32 v27, vcc, 1.0, v14, 1.0
	v_sub_f32_e32 v25, v25, v26
	v_fma_f32 v34, -v15, v22, 1.0
	v_fmac_f32_e32 v22, v34, v22
	v_mul_f32_e32 v34, v27, v22
	v_fma_f32 v35, -v15, v34, v27
	v_mul_f32_e32 v25, 0x3fb8aa3b, v25
	v_fmac_f32_e32 v34, v35, v22
	v_exp_f32_e32 v25, v25
	v_fma_f32 v15, -v15, v34, v27
	v_div_fmas_f32 v15, v15, v22, v34
	v_div_fixup_f32 v14, v15, v14, 1.0
	v_mul_f32_e32 v14, v25, v14
	v_pk_mul_f32 v[20:21], v[20:21], v[14:15] op_sel_hi:[1,0]
	v_pk_mul_f32 v[14:15], v[18:19], v[14:15] op_sel_hi:[1,0]
	v_bfe_u32 v18, v15, 16, 1
	v_bfe_u32 v19, v14, 16, 1
	s_movk_i32 s0, 0x7fff
	v_add3_u32 v14, v14, v19, s0
	v_add3_u32 v15, v15, v18, s0
	s_mov_b32 s1, 0x7060302
	v_perm_b32 v14, v15, v14, s1
	v_bfe_u32 v15, v21, 16, 1
	v_bfe_u32 v18, v20, 16, 1
	v_add3_u32 v18, v20, v18, s0
	v_add3_u32 v15, v21, v15, s0
	v_perm_b32 v15, v15, v18, s1
	s_mov_b32 s0, 0x5040100
	v_perm_b32 v19, v31, v30, s0
	v_perm_b32 v18, v28, v29, s0
	v_perm_b32 v23, v23, v24, s0
	v_perm_b32 v22, v32, v33, s0
	v_mfma_f32_4x4x4bf16_1k a[0:3], v[14:15], v[18:19], 0 cbsz:4
	v_mov_b32_e32 v21, 0
	v_mfma_f32_4x4x4bf16_1k a[0:3], v[14:15], v[22:23], a[0:3] cbsz:4 abid:1
	v_mov_b32_e32 v22, 0
	v_cmp_ne_u16_sdwa s[6:7], v16, v22 src0_sel:BYTE_0 src1_sel:DWORD
	s_and_saveexec_b64 s[0:1], s[6:7]
	s_cbranch_execz .LBB737_452
; %bb.447:
	s_movk_i32 s3, 0x80
	v_cmp_ne_u16_sdwa s[8:9], v16, s3 src0_sel:BYTE_0 src1_sel:DWORD
	v_mov_b32_e32 v21, 0xffff8000
	s_and_saveexec_b64 s[6:7], s[8:9]
	s_cbranch_execz .LBB737_451
; %bb.448:
	s_movk_i32 s3, 0x7f
	v_and_b32_e32 v18, 0x7f, v16
	v_cmp_ne_u32_e32 vcc, s3, v18
	v_mov_b32_e32 v21, 0x7f80
	s_and_saveexec_b64 s[8:9], vcc
	s_cbranch_execz .LBB737_450
; %bb.449:
	v_and_b32_e32 v19, 7, v16
	v_ffbh_u32_e32 v19, v19
	v_min_u32_e32 v19, 32, v19
	v_subrev_u32_e32 v21, 28, v19
	v_cmp_gt_u32_e32 vcc, 8, v18
	v_lshrrev_b32_e32 v20, 3, v18
	v_sub_u32_e32 v19, 29, v19
	v_cndmask_b32_e32 v18, 0, v21, vcc
	v_cndmask_b32_e32 v20, v20, v19, vcc
	v_lshlrev_b64 v[18:19], v18, v[16:17]
	v_lshlrev_b32_e32 v18, 20, v18
	v_lshlrev_b32_e32 v19, 24, v16
	v_bfrev_b32_e32 v21, 60
	v_and_b32_e32 v18, 0x700000, v18
	v_and_b32_e32 v19, 0x80000000, v19
	v_lshl_add_u32 v20, v20, 23, v21
	v_or3_b32 v18, v19, v20, v18
	v_lshrrev_b32_e32 v21, 16, v18
.LBB737_450:
	s_or_b64 exec, exec, s[8:9]
.LBB737_451:
	s_or_b64 exec, exec, s[6:7]
.LBB737_452:
	s_or_b64 exec, exec, s[0:1]
	v_lshrrev_b16_e32 v18, 8, v16
	v_cmp_ne_u16_e32 vcc, 0, v18
	s_and_saveexec_b64 s[0:1], vcc
	s_cbranch_execz .LBB737_458
; %bb.453:
	s_movk_i32 s3, 0x80
	v_cmp_ne_u16_e32 vcc, s3, v18
	v_mov_b32_e32 v22, 0xffff8000
	s_and_saveexec_b64 s[6:7], vcc
	s_cbranch_execz .LBB737_457
; %bb.454:
	s_movk_i32 s3, 0x7f
	v_and_b32_e32 v19, 0x7f, v18
	v_cmp_ne_u32_e32 vcc, s3, v19
	v_mov_b32_e32 v22, 0x7f80
	s_and_saveexec_b64 s[8:9], vcc
	s_cbranch_execz .LBB737_456
; %bb.455:
	v_and_b32_e32 v20, 7, v18
	v_ffbh_u32_e32 v22, v20
	v_min_u32_e32 v25, 32, v22
	v_subrev_u32_e32 v22, 28, v25
	v_lshlrev_b64 v[22:23], v22, v[18:19]
	v_lshrrev_b32_e32 v24, 3, v19
	v_sub_u32_e32 v18, 29, v25
	v_and_b32_e32 v22, 7, v22
	v_cmp_gt_u32_e32 vcc, 8, v19
	v_cndmask_b32_e32 v18, v24, v18, vcc
	v_cndmask_b32_e32 v19, v20, v22, vcc
	v_lshlrev_b32_e32 v20, 16, v16
	v_bfrev_b32_e32 v22, 60
	v_lshlrev_b32_e32 v19, 20, v19
	v_and_b32_e32 v20, 0x80000000, v20
	v_lshl_add_u32 v18, v18, 23, v22
	v_or3_b32 v18, v20, v18, v19
	v_lshrrev_b32_e32 v22, 16, v18
.LBB737_456:
	s_or_b64 exec, exec, s[8:9]
.LBB737_457:
	s_or_b64 exec, exec, s[6:7]
.LBB737_458:
	s_or_b64 exec, exec, s[0:1]
	s_movk_i32 s0, 0xff
	v_and_b32_sdwa v20, v16, s0 dst_sel:DWORD dst_unused:UNUSED_PAD src0_sel:WORD_1 src1_sel:DWORD
	v_lshrrev_b32_e32 v18, 16, v16
	v_cmp_ne_u16_e32 vcc, 0, v20
	v_mov_b32_e32 v19, 0
	v_mov_b32_e32 v23, 0
	s_and_saveexec_b64 s[0:1], vcc
	s_cbranch_execz .LBB737_464
; %bb.459:
	s_movk_i32 s3, 0x80
	v_cmp_ne_u16_e32 vcc, s3, v20
	v_mov_b32_e32 v23, 0xffff8000
	s_and_saveexec_b64 s[6:7], vcc
	s_cbranch_execz .LBB737_463
; %bb.460:
	v_bfe_u32 v20, v16, 16, 7
	s_movk_i32 s3, 0x7f
	v_cmp_ne_u32_e32 vcc, s3, v20
	v_mov_b32_e32 v23, 0x7f80
	s_and_saveexec_b64 s[8:9], vcc
	s_cbranch_execz .LBB737_462
; %bb.461:
	v_and_b32_e32 v23, 7, v18
	v_ffbh_u32_e32 v24, v23
	v_min_u32_e32 v27, 32, v24
	v_subrev_u32_e32 v24, 28, v27
	v_lshlrev_b64 v[24:25], v24, v[18:19]
	v_and_b32_e32 v24, 7, v24
	v_cmp_gt_u32_e32 vcc, 8, v20
	v_lshrrev_b32_e32 v26, 3, v20
	v_sub_u32_e32 v18, 29, v27
	v_cndmask_b32_e32 v20, v23, v24, vcc
	v_mov_b32_e32 v23, 24
	v_cndmask_b32_e32 v18, v26, v18, vcc
	v_lshlrev_b32_sdwa v23, v23, v16 dst_sel:DWORD dst_unused:UNUSED_PAD src0_sel:DWORD src1_sel:WORD_1
	v_bfrev_b32_e32 v24, 60
	v_lshlrev_b32_e32 v20, 20, v20
	v_and_b32_e32 v23, 0x80000000, v23
	v_lshl_add_u32 v18, v18, 23, v24
	v_or3_b32 v18, v23, v18, v20
	v_lshrrev_b32_e32 v23, 16, v18
.LBB737_462:
	s_or_b64 exec, exec, s[8:9]
.LBB737_463:
	s_or_b64 exec, exec, s[6:7]
.LBB737_464:
	s_or_b64 exec, exec, s[0:1]
	s_mov_b32 s0, 0xffffff
	v_cmp_lt_u32_e32 vcc, s0, v16
	v_mov_b32_e32 v24, 0
	s_and_saveexec_b64 s[0:1], vcc
	s_cbranch_execz .LBB737_470
; %bb.465:
	v_lshrrev_b32_e32 v18, 24, v16
	s_movk_i32 s3, 0x80
	v_cmp_ne_u32_e32 vcc, s3, v18
	v_mov_b32_e32 v24, 0xffff8000
	s_and_saveexec_b64 s[6:7], vcc
	s_cbranch_execz .LBB737_469
; %bb.466:
	v_bfe_u32 v20, v16, 24, 7
	s_movk_i32 s3, 0x7f
	v_cmp_ne_u32_e32 vcc, s3, v20
	v_mov_b32_e32 v24, 0x7f80
	s_and_saveexec_b64 s[8:9], vcc
	s_cbranch_execz .LBB737_468
; %bb.467:
	v_and_b32_e32 v26, 7, v18
	v_ffbh_u32_e32 v24, v26
	v_min_u32_e32 v28, 32, v24
	v_subrev_u32_e32 v24, 28, v28
	v_lshlrev_b64 v[24:25], v24, v[18:19]
	v_lshrrev_b32_e32 v27, 3, v20
	v_sub_u32_e32 v25, 29, v28
	v_and_b32_e32 v24, 7, v24
	v_cmp_gt_u32_e32 vcc, 8, v20
	v_cndmask_b32_e32 v20, v27, v25, vcc
	v_cndmask_b32_e32 v24, v26, v24, vcc
	v_lshlrev_b32_e32 v18, 24, v18
	v_bfrev_b32_e32 v25, 60
	v_lshlrev_b32_e32 v24, 20, v24
	v_and_b32_e32 v18, 0x80000000, v18
	v_lshl_add_u32 v20, v20, 23, v25
	v_or3_b32 v18, v18, v20, v24
	v_lshrrev_b32_e32 v24, 16, v18
.LBB737_468:
	s_or_b64 exec, exec, s[8:9]
.LBB737_469:
	s_or_b64 exec, exec, s[6:7]
.LBB737_470:
	s_or_b64 exec, exec, s[0:1]
	v_mov_b32_e32 v25, 0
	v_mov_b32_e32 v18, v17
	v_cmp_ne_u16_sdwa s[6:7], v17, v25 src0_sel:BYTE_0 src1_sel:DWORD
	v_mov_b32_e32 v26, 0
	s_and_saveexec_b64 s[0:1], s[6:7]
	s_cbranch_execz .LBB737_476
; %bb.471:
	s_movk_i32 s3, 0x80
	v_cmp_ne_u16_sdwa s[8:9], v17, s3 src0_sel:BYTE_0 src1_sel:DWORD
	v_mov_b32_e32 v26, 0xffff8000
	s_and_saveexec_b64 s[6:7], s[8:9]
	s_cbranch_execz .LBB737_475
; %bb.472:
	s_movk_i32 s3, 0x7f
	v_and_b32_e32 v20, 0x7f, v17
	v_cmp_ne_u32_e32 vcc, s3, v20
	v_mov_b32_e32 v26, 0x7f80
	s_and_saveexec_b64 s[8:9], vcc
	s_cbranch_execz .LBB737_474
; %bb.473:
	v_and_b32_e32 v26, 7, v17
	v_ffbh_u32_e32 v26, v26
	v_min_u32_e32 v26, 32, v26
	v_lshrrev_b32_e32 v27, 3, v20
	v_subrev_u32_e32 v28, 28, v26
	v_sub_u32_e32 v26, 29, v26
	v_cmp_gt_u32_e32 vcc, 8, v20
	v_cndmask_b32_e32 v20, v27, v26, vcc
	v_cndmask_b32_e32 v26, 0, v28, vcc
	v_lshlrev_b64 v[26:27], v26, v[18:19]
	v_lshlrev_b32_e32 v19, 20, v26
	v_lshlrev_b32_e32 v26, 24, v18
	v_bfrev_b32_e32 v27, 60
	v_and_b32_e32 v19, 0x700000, v19
	v_and_b32_e32 v26, 0x80000000, v26
	v_lshl_add_u32 v20, v20, 23, v27
	v_or3_b32 v19, v26, v20, v19
	v_lshrrev_b32_e32 v26, 16, v19
.LBB737_474:
	s_or_b64 exec, exec, s[8:9]
.LBB737_475:
	s_or_b64 exec, exec, s[6:7]
.LBB737_476:
	s_or_b64 exec, exec, s[0:1]
	v_lshrrev_b16_e32 v20, 8, v18
	v_cmp_ne_u16_e32 vcc, 0, v20
	s_and_saveexec_b64 s[0:1], vcc
	s_cbranch_execz .LBB737_482
; %bb.477:
	s_movk_i32 s3, 0x80
	v_cmp_ne_u16_e32 vcc, s3, v20
	v_mov_b32_e32 v25, 0xffff8000
	s_and_saveexec_b64 s[6:7], vcc
	s_cbranch_execz .LBB737_481
; %bb.478:
	s_movk_i32 s3, 0x7f
	v_and_b32_e32 v19, 0x7f, v20
	v_cmp_ne_u32_e32 vcc, s3, v19
	v_mov_b32_e32 v25, 0x7f80
	s_and_saveexec_b64 s[8:9], vcc
	s_cbranch_execz .LBB737_480
; %bb.479:
	v_and_b32_e32 v25, 7, v20
	v_ffbh_u32_e32 v28, v25
	v_min_u32_e32 v30, 32, v28
	v_subrev_u32_e32 v28, 28, v30
	v_lshlrev_b64 v[28:29], v28, v[20:21]
	v_lshrrev_b32_e32 v27, 3, v19
	v_sub_u32_e32 v20, 29, v30
	v_and_b32_e32 v28, 7, v28
	v_cmp_gt_u32_e32 vcc, 8, v19
	v_cndmask_b32_e32 v19, v27, v20, vcc
	v_cndmask_b32_e32 v20, v25, v28, vcc
	v_lshlrev_b32_e32 v18, 16, v18
	v_bfrev_b32_e32 v25, 60
	v_lshlrev_b32_e32 v20, 20, v20
	v_and_b32_e32 v18, 0x80000000, v18
	v_lshl_add_u32 v19, v19, 23, v25
	v_or3_b32 v18, v18, v19, v20
	v_lshrrev_b32_e32 v25, 16, v18
.LBB737_480:
	s_or_b64 exec, exec, s[8:9]
.LBB737_481:
	s_or_b64 exec, exec, s[6:7]
.LBB737_482:
	s_or_b64 exec, exec, s[0:1]
	s_movk_i32 s0, 0xff
	v_and_b32_sdwa v27, v17, s0 dst_sel:DWORD dst_unused:UNUSED_PAD src0_sel:WORD_1 src1_sel:DWORD
	v_lshrrev_b32_e32 v18, 16, v17
	v_cmp_ne_u16_e32 vcc, 0, v27
	v_mov_b32_e32 v19, 0
	v_mov_b32_e32 v20, 0
	s_and_saveexec_b64 s[0:1], vcc
	s_cbranch_execz .LBB737_488
; %bb.483:
	s_movk_i32 s3, 0x80
	v_cmp_ne_u16_e32 vcc, s3, v27
	v_mov_b32_e32 v20, 0xffff8000
	s_and_saveexec_b64 s[6:7], vcc
	s_cbranch_execz .LBB737_487
; %bb.484:
	v_bfe_u32 v27, v17, 16, 7
	s_movk_i32 s3, 0x7f
	v_cmp_ne_u32_e32 vcc, s3, v27
	v_mov_b32_e32 v20, 0x7f80
	s_and_saveexec_b64 s[8:9], vcc
	s_cbranch_execz .LBB737_486
; %bb.485:
	v_and_b32_e32 v20, 7, v18
	v_ffbh_u32_e32 v28, v20
	v_min_u32_e32 v31, 32, v28
	v_subrev_u32_e32 v28, 28, v31
	v_lshlrev_b64 v[28:29], v28, v[18:19]
	v_lshrrev_b32_e32 v30, 3, v27
	v_sub_u32_e32 v18, 29, v31
	v_and_b32_e32 v28, 7, v28
	v_cmp_gt_u32_e32 vcc, 8, v27
	v_mov_b32_e32 v27, 24
	v_cndmask_b32_e32 v18, v30, v18, vcc
	v_cndmask_b32_e32 v20, v20, v28, vcc
	v_lshlrev_b32_sdwa v27, v27, v17 dst_sel:DWORD dst_unused:UNUSED_PAD src0_sel:DWORD src1_sel:WORD_1
	v_bfrev_b32_e32 v28, 60
	v_lshlrev_b32_e32 v20, 20, v20
	v_and_b32_e32 v27, 0x80000000, v27
	v_lshl_add_u32 v18, v18, 23, v28
	v_or3_b32 v18, v27, v18, v20
	v_lshrrev_b32_e32 v20, 16, v18
.LBB737_486:
	s_or_b64 exec, exec, s[8:9]
.LBB737_487:
	s_or_b64 exec, exec, s[6:7]
.LBB737_488:
	s_or_b64 exec, exec, s[0:1]
	s_mov_b32 s0, -1
	s_mov_b32 s1, 0xffffff
	v_cmp_lt_u64_e32 vcc, s[0:1], v[16:17]
	s_and_saveexec_b64 s[0:1], vcc
	s_cbranch_execz .LBB737_494
; %bb.489:
	v_lshrrev_b32_e32 v16, 24, v17
	s_movk_i32 s3, 0x80
	v_cmp_ne_u32_e32 vcc, s3, v16
	v_mov_b32_e32 v19, 0xffff8000
	s_and_saveexec_b64 s[6:7], vcc
	s_cbranch_execz .LBB737_493
; %bb.490:
	v_bfe_u32 v17, v17, 24, 7
	s_movk_i32 s3, 0x7f
	v_cmp_ne_u32_e32 vcc, s3, v17
	v_mov_b32_e32 v19, 0x7f80
	s_and_saveexec_b64 s[8:9], vcc
	s_cbranch_execz .LBB737_492
; %bb.491:
	v_and_b32_e32 v27, 7, v16
	v_ffbh_u32_e32 v18, v27
	v_min_u32_e32 v29, 32, v18
	v_subrev_u32_e32 v18, 28, v29
	v_lshlrev_b64 v[18:19], v18, v[16:17]
	v_lshrrev_b32_e32 v28, 3, v17
	v_sub_u32_e32 v19, 29, v29
	v_and_b32_e32 v18, 7, v18
	v_cmp_gt_u32_e32 vcc, 8, v17
	v_cndmask_b32_e32 v17, v28, v19, vcc
	v_cndmask_b32_e32 v18, v27, v18, vcc
	v_lshlrev_b32_e32 v16, 24, v16
	v_bfrev_b32_e32 v19, 60
	v_lshlrev_b32_e32 v18, 20, v18
	v_and_b32_e32 v16, 0x80000000, v16
	v_lshl_add_u32 v17, v17, 23, v19
	v_or3_b32 v16, v16, v17, v18
	v_lshrrev_b32_e32 v19, 16, v16
.LBB737_492:
	s_or_b64 exec, exec, s[8:9]
.LBB737_493:
	s_or_b64 exec, exec, s[6:7]
.LBB737_494:
	s_or_b64 exec, exec, s[0:1]
	s_mov_b32 s0, 0x5040100
	v_perm_b32 v17, v24, v23, s0
	v_perm_b32 v16, v22, v21, s0
	;; [unrolled: 1-line block ×4, first 2 shown]
	v_mfma_f32_4x4x4bf16_1k a[0:3], v[14:15], v[16:17], a[0:3] cbsz:4 abid:2
	v_mov_b32_e32 v20, 0
	v_mfma_f32_4x4x4bf16_1k a[0:3], v[14:15], v[18:19], a[0:3] cbsz:4 abid:3
	v_mov_b32_e32 v19, 0
	v_cmp_ne_u16_sdwa s[6:7], v10, v19 src0_sel:BYTE_0 src1_sel:DWORD
	s_and_saveexec_b64 s[0:1], s[6:7]
	s_cbranch_execz .LBB737_500
; %bb.495:
	s_movk_i32 s3, 0x80
	v_cmp_ne_u16_sdwa s[8:9], v10, s3 src0_sel:BYTE_0 src1_sel:DWORD
	v_mov_b32_e32 v20, 0xffff8000
	s_and_saveexec_b64 s[6:7], s[8:9]
	s_cbranch_execz .LBB737_499
; %bb.496:
	s_movk_i32 s3, 0x7f
	v_and_b32_e32 v16, 0x7f, v10
	v_cmp_ne_u32_e32 vcc, s3, v16
	v_mov_b32_e32 v20, 0x7f80
	s_and_saveexec_b64 s[8:9], vcc
	s_cbranch_execz .LBB737_498
; %bb.497:
	v_and_b32_e32 v17, 7, v10
	v_ffbh_u32_e32 v17, v17
	v_min_u32_e32 v17, 32, v17
	v_subrev_u32_e32 v20, 28, v17
	v_cmp_gt_u32_e32 vcc, 8, v16
	v_lshrrev_b32_e32 v18, 3, v16
	v_sub_u32_e32 v17, 29, v17
	v_cndmask_b32_e32 v16, 0, v20, vcc
	v_cndmask_b32_e32 v18, v18, v17, vcc
	v_lshlrev_b64 v[16:17], v16, v[10:11]
	v_lshlrev_b32_e32 v16, 20, v16
	v_lshlrev_b32_e32 v17, 24, v10
	v_bfrev_b32_e32 v20, 60
	v_and_b32_e32 v16, 0x700000, v16
	v_and_b32_e32 v17, 0x80000000, v17
	v_lshl_add_u32 v18, v18, 23, v20
	v_or3_b32 v16, v17, v18, v16
	v_lshrrev_b32_e32 v20, 16, v16
.LBB737_498:
	s_or_b64 exec, exec, s[8:9]
.LBB737_499:
	s_or_b64 exec, exec, s[6:7]
.LBB737_500:
	s_or_b64 exec, exec, s[0:1]
	v_lshrrev_b16_e32 v16, 8, v10
	v_cmp_ne_u16_e32 vcc, 0, v16
	s_and_saveexec_b64 s[0:1], vcc
	s_cbranch_execz .LBB737_506
; %bb.501:
	s_movk_i32 s3, 0x80
	v_cmp_ne_u16_e32 vcc, s3, v16
	v_mov_b32_e32 v19, 0xffff8000
	s_and_saveexec_b64 s[6:7], vcc
	s_cbranch_execz .LBB737_505
; %bb.502:
	s_movk_i32 s3, 0x7f
	v_and_b32_e32 v17, 0x7f, v16
	v_cmp_ne_u32_e32 vcc, s3, v17
	v_mov_b32_e32 v19, 0x7f80
	s_and_saveexec_b64 s[8:9], vcc
	s_cbranch_execz .LBB737_504
; %bb.503:
	v_and_b32_e32 v21, 7, v16
	v_ffbh_u32_e32 v18, v21
	v_min_u32_e32 v23, 32, v18
	v_subrev_u32_e32 v18, 28, v23
	v_lshlrev_b64 v[18:19], v18, v[16:17]
	v_lshrrev_b32_e32 v22, 3, v17
	v_sub_u32_e32 v16, 29, v23
	v_and_b32_e32 v18, 7, v18
	v_cmp_gt_u32_e32 vcc, 8, v17
	v_cndmask_b32_e32 v16, v22, v16, vcc
	v_cndmask_b32_e32 v17, v21, v18, vcc
	v_lshlrev_b32_e32 v18, 16, v10
	v_bfrev_b32_e32 v19, 60
	v_lshlrev_b32_e32 v17, 20, v17
	v_and_b32_e32 v18, 0x80000000, v18
	v_lshl_add_u32 v16, v16, 23, v19
	v_or3_b32 v16, v18, v16, v17
	v_lshrrev_b32_e32 v19, 16, v16
.LBB737_504:
	s_or_b64 exec, exec, s[8:9]
.LBB737_505:
	s_or_b64 exec, exec, s[6:7]
.LBB737_506:
	s_or_b64 exec, exec, s[0:1]
	s_movk_i32 s0, 0xff
	v_and_b32_sdwa v18, v10, s0 dst_sel:DWORD dst_unused:UNUSED_PAD src0_sel:WORD_1 src1_sel:DWORD
	v_lshrrev_b32_e32 v16, 16, v10
	v_cmp_ne_u16_e32 vcc, 0, v18
	v_mov_b32_e32 v17, 0
	v_mov_b32_e32 v21, 0
	s_and_saveexec_b64 s[0:1], vcc
	s_cbranch_execz .LBB737_512
; %bb.507:
	s_movk_i32 s3, 0x80
	v_cmp_ne_u16_e32 vcc, s3, v18
	v_mov_b32_e32 v21, 0xffff8000
	s_and_saveexec_b64 s[6:7], vcc
	s_cbranch_execz .LBB737_511
; %bb.508:
	v_bfe_u32 v18, v10, 16, 7
	s_movk_i32 s3, 0x7f
	v_cmp_ne_u32_e32 vcc, s3, v18
	v_mov_b32_e32 v21, 0x7f80
	s_and_saveexec_b64 s[8:9], vcc
	s_cbranch_execz .LBB737_510
; %bb.509:
	v_and_b32_e32 v21, 7, v16
	v_ffbh_u32_e32 v22, v21
	v_min_u32_e32 v25, 32, v22
	v_subrev_u32_e32 v22, 28, v25
	v_lshlrev_b64 v[22:23], v22, v[16:17]
	v_and_b32_e32 v22, 7, v22
	v_cmp_gt_u32_e32 vcc, 8, v18
	v_lshrrev_b32_e32 v24, 3, v18
	v_sub_u32_e32 v16, 29, v25
	v_cndmask_b32_e32 v18, v21, v22, vcc
	v_mov_b32_e32 v21, 24
	v_cndmask_b32_e32 v16, v24, v16, vcc
	v_lshlrev_b32_sdwa v21, v21, v10 dst_sel:DWORD dst_unused:UNUSED_PAD src0_sel:DWORD src1_sel:WORD_1
	v_bfrev_b32_e32 v22, 60
	v_lshlrev_b32_e32 v18, 20, v18
	v_and_b32_e32 v21, 0x80000000, v21
	v_lshl_add_u32 v16, v16, 23, v22
	v_or3_b32 v16, v21, v16, v18
	v_lshrrev_b32_e32 v21, 16, v16
.LBB737_510:
	s_or_b64 exec, exec, s[8:9]
.LBB737_511:
	s_or_b64 exec, exec, s[6:7]
.LBB737_512:
	s_or_b64 exec, exec, s[0:1]
	s_mov_b32 s0, 0xffffff
	v_cmp_lt_u32_e32 vcc, s0, v10
	v_mov_b32_e32 v22, 0
	s_and_saveexec_b64 s[0:1], vcc
	s_cbranch_execz .LBB737_518
; %bb.513:
	v_lshrrev_b32_e32 v16, 24, v10
	s_movk_i32 s3, 0x80
	v_cmp_ne_u32_e32 vcc, s3, v16
	v_mov_b32_e32 v22, 0xffff8000
	s_and_saveexec_b64 s[6:7], vcc
	s_cbranch_execz .LBB737_517
; %bb.514:
	v_bfe_u32 v18, v10, 24, 7
	s_movk_i32 s3, 0x7f
	v_cmp_ne_u32_e32 vcc, s3, v18
	v_mov_b32_e32 v22, 0x7f80
	s_and_saveexec_b64 s[8:9], vcc
	s_cbranch_execz .LBB737_516
; %bb.515:
	v_and_b32_e32 v24, 7, v16
	v_ffbh_u32_e32 v22, v24
	v_min_u32_e32 v26, 32, v22
	v_subrev_u32_e32 v22, 28, v26
	v_lshlrev_b64 v[22:23], v22, v[16:17]
	v_lshrrev_b32_e32 v25, 3, v18
	v_sub_u32_e32 v23, 29, v26
	v_and_b32_e32 v22, 7, v22
	v_cmp_gt_u32_e32 vcc, 8, v18
	v_cndmask_b32_e32 v18, v25, v23, vcc
	v_cndmask_b32_e32 v22, v24, v22, vcc
	v_lshlrev_b32_e32 v16, 24, v16
	v_bfrev_b32_e32 v23, 60
	v_lshlrev_b32_e32 v22, 20, v22
	v_and_b32_e32 v16, 0x80000000, v16
	v_lshl_add_u32 v18, v18, 23, v23
	v_or3_b32 v16, v16, v18, v22
	v_lshrrev_b32_e32 v22, 16, v16
.LBB737_516:
	s_or_b64 exec, exec, s[8:9]
.LBB737_517:
	s_or_b64 exec, exec, s[6:7]
.LBB737_518:
	s_or_b64 exec, exec, s[0:1]
	v_mov_b32_e32 v23, 0
	v_mov_b32_e32 v16, v11
	v_cmp_ne_u16_sdwa s[6:7], v11, v23 src0_sel:BYTE_0 src1_sel:DWORD
	v_mov_b32_e32 v24, 0
	s_and_saveexec_b64 s[0:1], s[6:7]
	s_cbranch_execz .LBB737_524
; %bb.519:
	s_movk_i32 s3, 0x80
	v_cmp_ne_u16_sdwa s[8:9], v11, s3 src0_sel:BYTE_0 src1_sel:DWORD
	v_mov_b32_e32 v24, 0xffff8000
	s_and_saveexec_b64 s[6:7], s[8:9]
	s_cbranch_execz .LBB737_523
; %bb.520:
	s_movk_i32 s3, 0x7f
	v_and_b32_e32 v18, 0x7f, v11
	v_cmp_ne_u32_e32 vcc, s3, v18
	v_mov_b32_e32 v24, 0x7f80
	s_and_saveexec_b64 s[8:9], vcc
	s_cbranch_execz .LBB737_522
; %bb.521:
	v_and_b32_e32 v24, 7, v11
	v_ffbh_u32_e32 v24, v24
	v_min_u32_e32 v24, 32, v24
	v_lshrrev_b32_e32 v25, 3, v18
	v_subrev_u32_e32 v26, 28, v24
	v_sub_u32_e32 v24, 29, v24
	v_cmp_gt_u32_e32 vcc, 8, v18
	v_cndmask_b32_e32 v18, v25, v24, vcc
	v_cndmask_b32_e32 v24, 0, v26, vcc
	v_lshlrev_b64 v[24:25], v24, v[16:17]
	v_lshlrev_b32_e32 v17, 20, v24
	v_lshlrev_b32_e32 v24, 24, v16
	v_bfrev_b32_e32 v25, 60
	v_and_b32_e32 v17, 0x700000, v17
	v_and_b32_e32 v24, 0x80000000, v24
	v_lshl_add_u32 v18, v18, 23, v25
	v_or3_b32 v17, v24, v18, v17
	v_lshrrev_b32_e32 v24, 16, v17
.LBB737_522:
	s_or_b64 exec, exec, s[8:9]
.LBB737_523:
	s_or_b64 exec, exec, s[6:7]
.LBB737_524:
	s_or_b64 exec, exec, s[0:1]
	v_lshrrev_b16_e32 v18, 8, v16
	v_cmp_ne_u16_e32 vcc, 0, v18
	s_and_saveexec_b64 s[0:1], vcc
	s_cbranch_execz .LBB737_530
; %bb.525:
	s_movk_i32 s3, 0x80
	v_cmp_ne_u16_e32 vcc, s3, v18
	v_mov_b32_e32 v23, 0xffff8000
	s_and_saveexec_b64 s[6:7], vcc
	s_cbranch_execz .LBB737_529
; %bb.526:
	s_movk_i32 s3, 0x7f
	v_and_b32_e32 v17, 0x7f, v18
	v_cmp_ne_u32_e32 vcc, s3, v17
	v_mov_b32_e32 v23, 0x7f80
	s_and_saveexec_b64 s[8:9], vcc
	s_cbranch_execz .LBB737_528
; %bb.527:
	v_and_b32_e32 v23, 7, v18
	v_ffbh_u32_e32 v26, v23
	v_min_u32_e32 v28, 32, v26
	v_subrev_u32_e32 v26, 28, v28
	v_lshlrev_b64 v[26:27], v26, v[18:19]
	v_lshrrev_b32_e32 v25, 3, v17
	v_sub_u32_e32 v18, 29, v28
	v_and_b32_e32 v26, 7, v26
	v_cmp_gt_u32_e32 vcc, 8, v17
	v_cndmask_b32_e32 v17, v25, v18, vcc
	v_cndmask_b32_e32 v18, v23, v26, vcc
	v_lshlrev_b32_e32 v16, 16, v16
	v_bfrev_b32_e32 v23, 60
	v_lshlrev_b32_e32 v18, 20, v18
	v_and_b32_e32 v16, 0x80000000, v16
	v_lshl_add_u32 v17, v17, 23, v23
	v_or3_b32 v16, v16, v17, v18
	v_lshrrev_b32_e32 v23, 16, v16
.LBB737_528:
	s_or_b64 exec, exec, s[8:9]
.LBB737_529:
	s_or_b64 exec, exec, s[6:7]
.LBB737_530:
	s_or_b64 exec, exec, s[0:1]
	s_movk_i32 s0, 0xff
	v_and_b32_sdwa v25, v11, s0 dst_sel:DWORD dst_unused:UNUSED_PAD src0_sel:WORD_1 src1_sel:DWORD
	v_lshrrev_b32_e32 v16, 16, v11
	v_cmp_ne_u16_e32 vcc, 0, v25
	v_mov_b32_e32 v17, 0
	v_mov_b32_e32 v18, 0
	s_and_saveexec_b64 s[0:1], vcc
	s_cbranch_execz .LBB737_536
; %bb.531:
	s_movk_i32 s3, 0x80
	v_cmp_ne_u16_e32 vcc, s3, v25
	v_mov_b32_e32 v18, 0xffff8000
	s_and_saveexec_b64 s[6:7], vcc
	s_cbranch_execz .LBB737_535
; %bb.532:
	v_bfe_u32 v25, v11, 16, 7
	s_movk_i32 s3, 0x7f
	v_cmp_ne_u32_e32 vcc, s3, v25
	v_mov_b32_e32 v18, 0x7f80
	s_and_saveexec_b64 s[8:9], vcc
	s_cbranch_execz .LBB737_534
; %bb.533:
	v_and_b32_e32 v18, 7, v16
	v_ffbh_u32_e32 v26, v18
	v_min_u32_e32 v29, 32, v26
	v_subrev_u32_e32 v26, 28, v29
	v_lshlrev_b64 v[26:27], v26, v[16:17]
	v_lshrrev_b32_e32 v28, 3, v25
	v_sub_u32_e32 v16, 29, v29
	v_and_b32_e32 v26, 7, v26
	v_cmp_gt_u32_e32 vcc, 8, v25
	v_mov_b32_e32 v25, 24
	v_cndmask_b32_e32 v16, v28, v16, vcc
	v_cndmask_b32_e32 v18, v18, v26, vcc
	v_lshlrev_b32_sdwa v25, v25, v11 dst_sel:DWORD dst_unused:UNUSED_PAD src0_sel:DWORD src1_sel:WORD_1
	v_bfrev_b32_e32 v26, 60
	v_lshlrev_b32_e32 v18, 20, v18
	v_and_b32_e32 v25, 0x80000000, v25
	v_lshl_add_u32 v16, v16, 23, v26
	v_or3_b32 v16, v25, v16, v18
	v_lshrrev_b32_e32 v18, 16, v16
.LBB737_534:
	s_or_b64 exec, exec, s[8:9]
.LBB737_535:
	s_or_b64 exec, exec, s[6:7]
.LBB737_536:
	s_or_b64 exec, exec, s[0:1]
	s_mov_b32 s0, -1
	s_mov_b32 s1, 0xffffff
	v_cmp_lt_u64_e32 vcc, s[0:1], v[10:11]
	s_and_saveexec_b64 s[0:1], vcc
	s_cbranch_execz .LBB737_542
; %bb.537:
	v_lshrrev_b32_e32 v10, 24, v11
	s_movk_i32 s3, 0x80
	v_cmp_ne_u32_e32 vcc, s3, v10
	v_mov_b32_e32 v17, 0xffff8000
	s_and_saveexec_b64 s[6:7], vcc
	s_cbranch_execz .LBB737_541
; %bb.538:
	v_bfe_u32 v11, v11, 24, 7
	s_movk_i32 s3, 0x7f
	v_cmp_ne_u32_e32 vcc, s3, v11
	v_mov_b32_e32 v17, 0x7f80
	s_and_saveexec_b64 s[8:9], vcc
	s_cbranch_execz .LBB737_540
; %bb.539:
	v_and_b32_e32 v25, 7, v10
	v_ffbh_u32_e32 v16, v25
	v_min_u32_e32 v27, 32, v16
	v_subrev_u32_e32 v16, 28, v27
	v_lshlrev_b64 v[16:17], v16, v[10:11]
	v_lshrrev_b32_e32 v26, 3, v11
	v_sub_u32_e32 v17, 29, v27
	v_and_b32_e32 v16, 7, v16
	v_cmp_gt_u32_e32 vcc, 8, v11
	v_cndmask_b32_e32 v11, v26, v17, vcc
	v_cndmask_b32_e32 v16, v25, v16, vcc
	v_lshlrev_b32_e32 v10, 24, v10
	v_bfrev_b32_e32 v17, 60
	v_lshlrev_b32_e32 v16, 20, v16
	v_and_b32_e32 v10, 0x80000000, v10
	v_lshl_add_u32 v11, v11, 23, v17
	v_or3_b32 v10, v10, v11, v16
	v_lshrrev_b32_e32 v17, 16, v10
.LBB737_540:
	s_or_b64 exec, exec, s[8:9]
.LBB737_541:
	s_or_b64 exec, exec, s[6:7]
.LBB737_542:
	s_or_b64 exec, exec, s[0:1]
	s_mov_b32 s0, 0x5040100
	v_perm_b32 v11, v22, v21, s0
	v_perm_b32 v10, v19, v20, s0
	;; [unrolled: 1-line block ×4, first 2 shown]
	v_mfma_f32_4x4x4bf16_1k a[0:3], v[14:15], v[10:11], a[0:3] cbsz:4 abid:4
	v_mov_b32_e32 v18, 0
	v_mfma_f32_4x4x4bf16_1k a[0:3], v[14:15], v[16:17], a[0:3] cbsz:4 abid:5
	v_mov_b32_e32 v17, 0
	v_cmp_ne_u16_sdwa s[6:7], v12, v17 src0_sel:BYTE_0 src1_sel:DWORD
	s_and_saveexec_b64 s[0:1], s[6:7]
	s_cbranch_execz .LBB737_548
; %bb.543:
	s_movk_i32 s3, 0x80
	v_cmp_ne_u16_sdwa s[8:9], v12, s3 src0_sel:BYTE_0 src1_sel:DWORD
	v_mov_b32_e32 v18, 0xffff8000
	s_and_saveexec_b64 s[6:7], s[8:9]
	s_cbranch_execz .LBB737_547
; %bb.544:
	s_movk_i32 s3, 0x7f
	v_and_b32_e32 v10, 0x7f, v12
	v_cmp_ne_u32_e32 vcc, s3, v10
	v_mov_b32_e32 v18, 0x7f80
	s_and_saveexec_b64 s[8:9], vcc
	s_cbranch_execz .LBB737_546
; %bb.545:
	v_and_b32_e32 v11, 7, v12
	v_ffbh_u32_e32 v11, v11
	v_min_u32_e32 v11, 32, v11
	v_subrev_u32_e32 v18, 28, v11
	v_cmp_gt_u32_e32 vcc, 8, v10
	v_lshrrev_b32_e32 v16, 3, v10
	v_sub_u32_e32 v11, 29, v11
	v_cndmask_b32_e32 v10, 0, v18, vcc
	v_cndmask_b32_e32 v16, v16, v11, vcc
	v_lshlrev_b64 v[10:11], v10, v[12:13]
	v_lshlrev_b32_e32 v10, 20, v10
	v_lshlrev_b32_e32 v11, 24, v12
	v_bfrev_b32_e32 v18, 60
	v_and_b32_e32 v10, 0x700000, v10
	v_and_b32_e32 v11, 0x80000000, v11
	v_lshl_add_u32 v16, v16, 23, v18
	v_or3_b32 v10, v11, v16, v10
	v_lshrrev_b32_e32 v18, 16, v10
.LBB737_546:
	s_or_b64 exec, exec, s[8:9]
.LBB737_547:
	s_or_b64 exec, exec, s[6:7]
.LBB737_548:
	s_or_b64 exec, exec, s[0:1]
	v_lshrrev_b16_e32 v10, 8, v12
	v_cmp_ne_u16_e32 vcc, 0, v10
	s_and_saveexec_b64 s[0:1], vcc
	s_cbranch_execz .LBB737_554
; %bb.549:
	s_movk_i32 s3, 0x80
	v_cmp_ne_u16_e32 vcc, s3, v10
	v_mov_b32_e32 v17, 0xffff8000
	s_and_saveexec_b64 s[6:7], vcc
	s_cbranch_execz .LBB737_553
; %bb.550:
	s_movk_i32 s3, 0x7f
	v_and_b32_e32 v11, 0x7f, v10
	v_cmp_ne_u32_e32 vcc, s3, v11
	v_mov_b32_e32 v17, 0x7f80
	s_and_saveexec_b64 s[8:9], vcc
	s_cbranch_execz .LBB737_552
; %bb.551:
	v_and_b32_e32 v19, 7, v10
	v_ffbh_u32_e32 v16, v19
	v_min_u32_e32 v21, 32, v16
	v_subrev_u32_e32 v16, 28, v21
	v_lshlrev_b64 v[16:17], v16, v[10:11]
	v_lshrrev_b32_e32 v20, 3, v11
	v_sub_u32_e32 v10, 29, v21
	v_and_b32_e32 v16, 7, v16
	v_cmp_gt_u32_e32 vcc, 8, v11
	v_cndmask_b32_e32 v10, v20, v10, vcc
	v_cndmask_b32_e32 v11, v19, v16, vcc
	v_lshlrev_b32_e32 v16, 16, v12
	v_bfrev_b32_e32 v17, 60
	v_lshlrev_b32_e32 v11, 20, v11
	v_and_b32_e32 v16, 0x80000000, v16
	v_lshl_add_u32 v10, v10, 23, v17
	v_or3_b32 v10, v16, v10, v11
	v_lshrrev_b32_e32 v17, 16, v10
.LBB737_552:
	s_or_b64 exec, exec, s[8:9]
.LBB737_553:
	s_or_b64 exec, exec, s[6:7]
.LBB737_554:
	s_or_b64 exec, exec, s[0:1]
	s_movk_i32 s0, 0xff
	v_and_b32_sdwa v16, v12, s0 dst_sel:DWORD dst_unused:UNUSED_PAD src0_sel:WORD_1 src1_sel:DWORD
	v_lshrrev_b32_e32 v10, 16, v12
	v_cmp_ne_u16_e32 vcc, 0, v16
	v_mov_b32_e32 v11, 0
	v_mov_b32_e32 v19, 0
	s_and_saveexec_b64 s[0:1], vcc
	s_cbranch_execz .LBB737_560
; %bb.555:
	s_movk_i32 s3, 0x80
	v_cmp_ne_u16_e32 vcc, s3, v16
	v_mov_b32_e32 v19, 0xffff8000
	s_and_saveexec_b64 s[6:7], vcc
	s_cbranch_execz .LBB737_559
; %bb.556:
	v_bfe_u32 v16, v12, 16, 7
	s_movk_i32 s3, 0x7f
	v_cmp_ne_u32_e32 vcc, s3, v16
	v_mov_b32_e32 v19, 0x7f80
	s_and_saveexec_b64 s[8:9], vcc
	s_cbranch_execz .LBB737_558
; %bb.557:
	v_and_b32_e32 v19, 7, v10
	v_ffbh_u32_e32 v20, v19
	v_min_u32_e32 v23, 32, v20
	v_subrev_u32_e32 v20, 28, v23
	v_lshlrev_b64 v[20:21], v20, v[10:11]
	v_and_b32_e32 v20, 7, v20
	v_cmp_gt_u32_e32 vcc, 8, v16
	v_lshrrev_b32_e32 v22, 3, v16
	v_sub_u32_e32 v10, 29, v23
	v_cndmask_b32_e32 v16, v19, v20, vcc
	v_mov_b32_e32 v19, 24
	v_cndmask_b32_e32 v10, v22, v10, vcc
	v_lshlrev_b32_sdwa v19, v19, v12 dst_sel:DWORD dst_unused:UNUSED_PAD src0_sel:DWORD src1_sel:WORD_1
	v_bfrev_b32_e32 v20, 60
	v_lshlrev_b32_e32 v16, 20, v16
	v_and_b32_e32 v19, 0x80000000, v19
	v_lshl_add_u32 v10, v10, 23, v20
	v_or3_b32 v10, v19, v10, v16
	v_lshrrev_b32_e32 v19, 16, v10
.LBB737_558:
	s_or_b64 exec, exec, s[8:9]
.LBB737_559:
	s_or_b64 exec, exec, s[6:7]
.LBB737_560:
	s_or_b64 exec, exec, s[0:1]
	s_mov_b32 s0, 0xffffff
	v_cmp_lt_u32_e32 vcc, s0, v12
	v_mov_b32_e32 v20, 0
	s_and_saveexec_b64 s[0:1], vcc
	s_cbranch_execz .LBB737_566
; %bb.561:
	v_lshrrev_b32_e32 v10, 24, v12
	s_movk_i32 s3, 0x80
	v_cmp_ne_u32_e32 vcc, s3, v10
	v_mov_b32_e32 v20, 0xffff8000
	s_and_saveexec_b64 s[6:7], vcc
	s_cbranch_execz .LBB737_565
; %bb.562:
	v_bfe_u32 v16, v12, 24, 7
	s_movk_i32 s3, 0x7f
	v_cmp_ne_u32_e32 vcc, s3, v16
	v_mov_b32_e32 v20, 0x7f80
	s_and_saveexec_b64 s[8:9], vcc
	s_cbranch_execz .LBB737_564
; %bb.563:
	v_and_b32_e32 v22, 7, v10
	v_ffbh_u32_e32 v20, v22
	v_min_u32_e32 v24, 32, v20
	v_subrev_u32_e32 v20, 28, v24
	v_lshlrev_b64 v[20:21], v20, v[10:11]
	v_lshrrev_b32_e32 v23, 3, v16
	v_sub_u32_e32 v21, 29, v24
	v_and_b32_e32 v20, 7, v20
	v_cmp_gt_u32_e32 vcc, 8, v16
	v_cndmask_b32_e32 v16, v23, v21, vcc
	v_cndmask_b32_e32 v20, v22, v20, vcc
	v_lshlrev_b32_e32 v10, 24, v10
	v_bfrev_b32_e32 v21, 60
	v_lshlrev_b32_e32 v20, 20, v20
	v_and_b32_e32 v10, 0x80000000, v10
	v_lshl_add_u32 v16, v16, 23, v21
	v_or3_b32 v10, v10, v16, v20
	v_lshrrev_b32_e32 v20, 16, v10
.LBB737_564:
	s_or_b64 exec, exec, s[8:9]
.LBB737_565:
	s_or_b64 exec, exec, s[6:7]
.LBB737_566:
	s_or_b64 exec, exec, s[0:1]
	v_mov_b32_e32 v21, 0
	v_mov_b32_e32 v10, v13
	v_cmp_ne_u16_sdwa s[6:7], v13, v21 src0_sel:BYTE_0 src1_sel:DWORD
	v_mov_b32_e32 v22, 0
	s_and_saveexec_b64 s[0:1], s[6:7]
	s_cbranch_execz .LBB737_572
; %bb.567:
	s_movk_i32 s3, 0x80
	v_cmp_ne_u16_sdwa s[8:9], v13, s3 src0_sel:BYTE_0 src1_sel:DWORD
	v_mov_b32_e32 v22, 0xffff8000
	s_and_saveexec_b64 s[6:7], s[8:9]
	s_cbranch_execz .LBB737_571
; %bb.568:
	s_movk_i32 s3, 0x7f
	v_and_b32_e32 v16, 0x7f, v13
	v_cmp_ne_u32_e32 vcc, s3, v16
	v_mov_b32_e32 v22, 0x7f80
	s_and_saveexec_b64 s[8:9], vcc
	s_cbranch_execz .LBB737_570
; %bb.569:
	v_and_b32_e32 v22, 7, v13
	v_ffbh_u32_e32 v22, v22
	v_min_u32_e32 v22, 32, v22
	v_lshrrev_b32_e32 v23, 3, v16
	v_subrev_u32_e32 v24, 28, v22
	v_sub_u32_e32 v22, 29, v22
	v_cmp_gt_u32_e32 vcc, 8, v16
	v_cndmask_b32_e32 v16, v23, v22, vcc
	v_cndmask_b32_e32 v22, 0, v24, vcc
	v_lshlrev_b64 v[22:23], v22, v[10:11]
	v_lshlrev_b32_e32 v11, 20, v22
	v_lshlrev_b32_e32 v22, 24, v10
	v_bfrev_b32_e32 v23, 60
	v_and_b32_e32 v11, 0x700000, v11
	v_and_b32_e32 v22, 0x80000000, v22
	v_lshl_add_u32 v16, v16, 23, v23
	v_or3_b32 v11, v22, v16, v11
	v_lshrrev_b32_e32 v22, 16, v11
.LBB737_570:
	s_or_b64 exec, exec, s[8:9]
.LBB737_571:
	s_or_b64 exec, exec, s[6:7]
.LBB737_572:
	s_or_b64 exec, exec, s[0:1]
	v_lshrrev_b16_e32 v16, 8, v10
	v_cmp_ne_u16_e32 vcc, 0, v16
	s_and_saveexec_b64 s[0:1], vcc
	s_cbranch_execz .LBB737_578
; %bb.573:
	s_movk_i32 s3, 0x80
	v_cmp_ne_u16_e32 vcc, s3, v16
	v_mov_b32_e32 v21, 0xffff8000
	s_and_saveexec_b64 s[6:7], vcc
	s_cbranch_execz .LBB737_577
; %bb.574:
	s_movk_i32 s3, 0x7f
	v_and_b32_e32 v11, 0x7f, v16
	v_cmp_ne_u32_e32 vcc, s3, v11
	v_mov_b32_e32 v21, 0x7f80
	s_and_saveexec_b64 s[8:9], vcc
	s_cbranch_execz .LBB737_576
; %bb.575:
	v_and_b32_e32 v21, 7, v16
	v_ffbh_u32_e32 v24, v21
	v_min_u32_e32 v26, 32, v24
	v_subrev_u32_e32 v24, 28, v26
	v_lshlrev_b64 v[24:25], v24, v[16:17]
	v_lshrrev_b32_e32 v23, 3, v11
	v_sub_u32_e32 v16, 29, v26
	v_and_b32_e32 v24, 7, v24
	v_cmp_gt_u32_e32 vcc, 8, v11
	v_cndmask_b32_e32 v11, v23, v16, vcc
	v_cndmask_b32_e32 v16, v21, v24, vcc
	v_lshlrev_b32_e32 v10, 16, v10
	v_bfrev_b32_e32 v21, 60
	v_lshlrev_b32_e32 v16, 20, v16
	v_and_b32_e32 v10, 0x80000000, v10
	v_lshl_add_u32 v11, v11, 23, v21
	v_or3_b32 v10, v10, v11, v16
	v_lshrrev_b32_e32 v21, 16, v10
.LBB737_576:
	s_or_b64 exec, exec, s[8:9]
.LBB737_577:
	s_or_b64 exec, exec, s[6:7]
.LBB737_578:
	s_or_b64 exec, exec, s[0:1]
	s_movk_i32 s0, 0xff
	v_and_b32_sdwa v23, v13, s0 dst_sel:DWORD dst_unused:UNUSED_PAD src0_sel:WORD_1 src1_sel:DWORD
	v_lshrrev_b32_e32 v10, 16, v13
	v_cmp_ne_u16_e32 vcc, 0, v23
	v_mov_b32_e32 v11, 0
	v_mov_b32_e32 v16, 0
	s_and_saveexec_b64 s[0:1], vcc
	s_cbranch_execz .LBB737_584
; %bb.579:
	s_movk_i32 s3, 0x80
	v_cmp_ne_u16_e32 vcc, s3, v23
	v_mov_b32_e32 v16, 0xffff8000
	s_and_saveexec_b64 s[6:7], vcc
	s_cbranch_execz .LBB737_583
; %bb.580:
	v_bfe_u32 v23, v13, 16, 7
	s_movk_i32 s3, 0x7f
	v_cmp_ne_u32_e32 vcc, s3, v23
	v_mov_b32_e32 v16, 0x7f80
	s_and_saveexec_b64 s[8:9], vcc
	s_cbranch_execz .LBB737_582
; %bb.581:
	v_and_b32_e32 v16, 7, v10
	v_ffbh_u32_e32 v24, v16
	v_min_u32_e32 v27, 32, v24
	v_subrev_u32_e32 v24, 28, v27
	v_lshlrev_b64 v[24:25], v24, v[10:11]
	v_lshrrev_b32_e32 v26, 3, v23
	v_sub_u32_e32 v10, 29, v27
	v_and_b32_e32 v24, 7, v24
	v_cmp_gt_u32_e32 vcc, 8, v23
	v_mov_b32_e32 v23, 24
	v_cndmask_b32_e32 v10, v26, v10, vcc
	v_cndmask_b32_e32 v16, v16, v24, vcc
	v_lshlrev_b32_sdwa v23, v23, v13 dst_sel:DWORD dst_unused:UNUSED_PAD src0_sel:DWORD src1_sel:WORD_1
	v_bfrev_b32_e32 v24, 60
	v_lshlrev_b32_e32 v16, 20, v16
	v_and_b32_e32 v23, 0x80000000, v23
	v_lshl_add_u32 v10, v10, 23, v24
	v_or3_b32 v10, v23, v10, v16
	v_lshrrev_b32_e32 v16, 16, v10
.LBB737_582:
	s_or_b64 exec, exec, s[8:9]
.LBB737_583:
	s_or_b64 exec, exec, s[6:7]
.LBB737_584:
	s_or_b64 exec, exec, s[0:1]
	s_mov_b32 s0, -1
	s_mov_b32 s1, 0xffffff
	v_cmp_lt_u64_e32 vcc, s[0:1], v[12:13]
	s_and_saveexec_b64 s[0:1], vcc
	s_cbranch_execz .LBB737_590
; %bb.585:
	v_lshrrev_b32_e32 v10, 24, v13
	s_movk_i32 s3, 0x80
	v_cmp_ne_u32_e32 vcc, s3, v10
	v_mov_b32_e32 v11, 0xffff8000
	s_and_saveexec_b64 s[6:7], vcc
	s_cbranch_execz .LBB737_589
; %bb.586:
	v_bfe_u32 v12, v13, 24, 7
	s_movk_i32 s3, 0x7f
	v_cmp_ne_u32_e32 vcc, s3, v12
	v_mov_b32_e32 v11, 0x7f80
	s_and_saveexec_b64 s[8:9], vcc
	s_cbranch_execz .LBB737_588
; %bb.587:
	v_and_b32_e32 v11, 7, v10
	v_ffbh_u32_e32 v23, v11
	v_min_u32_e32 v23, 32, v23
	v_subrev_u32_e32 v24, 28, v23
	v_lshlrev_b64 v[24:25], v24, v[10:11]
	v_lshrrev_b32_e32 v13, 3, v12
	v_sub_u32_e32 v23, 29, v23
	v_and_b32_e32 v24, 7, v24
	v_cmp_gt_u32_e32 vcc, 8, v12
	v_cndmask_b32_e32 v12, v13, v23, vcc
	v_cndmask_b32_e32 v11, v11, v24, vcc
	v_lshlrev_b32_e32 v10, 24, v10
	v_bfrev_b32_e32 v13, 60
	v_lshlrev_b32_e32 v11, 20, v11
	v_and_b32_e32 v10, 0x80000000, v10
	v_lshl_add_u32 v12, v12, 23, v13
	v_or3_b32 v10, v10, v12, v11
	v_lshrrev_b32_e32 v11, 16, v10
.LBB737_588:
	s_or_b64 exec, exec, s[8:9]
.LBB737_589:
	s_or_b64 exec, exec, s[6:7]
.LBB737_590:
	s_or_b64 exec, exec, s[0:1]
	s_mov_b32 s0, 0x5040100
	v_perm_b32 v13, v20, v19, s0
	v_perm_b32 v12, v17, v18, s0
	;; [unrolled: 1-line block ×4, first 2 shown]
	v_mfma_f32_4x4x4bf16_1k a[0:3], v[14:15], v[12:13], a[0:3] cbsz:4 abid:6
	v_mov_b32_e32 v13, 0
	v_mfma_f32_4x4x4bf16_1k a[0:3], v[14:15], v[10:11], a[0:3] cbsz:4 abid:7
	s_waitcnt vmcnt(2)
	v_cmp_ne_u16_sdwa s[6:7], v6, v13 src0_sel:BYTE_0 src1_sel:DWORD
	v_mov_b32_e32 v16, 0
	s_and_saveexec_b64 s[0:1], s[6:7]
	s_cbranch_execz .LBB737_596
; %bb.591:
	s_movk_i32 s3, 0x80
	v_cmp_ne_u16_sdwa s[8:9], v6, s3 src0_sel:BYTE_0 src1_sel:DWORD
	v_mov_b32_e32 v16, 0xffff8000
	s_and_saveexec_b64 s[6:7], s[8:9]
	s_cbranch_execz .LBB737_595
; %bb.592:
	s_movk_i32 s3, 0x7f
	v_and_b32_e32 v10, 0x7f, v6
	v_cmp_ne_u32_e32 vcc, s3, v10
	v_mov_b32_e32 v16, 0x7f80
	s_and_saveexec_b64 s[8:9], vcc
	s_cbranch_execz .LBB737_594
; %bb.593:
	v_and_b32_e32 v11, 7, v6
	v_ffbh_u32_e32 v11, v11
	v_min_u32_e32 v11, 32, v11
	v_subrev_u32_e32 v16, 28, v11
	v_cmp_gt_u32_e32 vcc, 8, v10
	v_lshrrev_b32_e32 v12, 3, v10
	v_sub_u32_e32 v11, 29, v11
	v_cndmask_b32_e32 v10, 0, v16, vcc
	v_cndmask_b32_e32 v12, v12, v11, vcc
	v_lshlrev_b64 v[10:11], v10, v[6:7]
	v_lshlrev_b32_e32 v10, 20, v10
	v_lshlrev_b32_e32 v11, 24, v6
	v_bfrev_b32_e32 v16, 60
	v_and_b32_e32 v10, 0x700000, v10
	v_and_b32_e32 v11, 0x80000000, v11
	v_lshl_add_u32 v12, v12, 23, v16
	v_or3_b32 v10, v11, v12, v10
	v_lshrrev_b32_e32 v16, 16, v10
.LBB737_594:
	s_or_b64 exec, exec, s[8:9]
.LBB737_595:
	s_or_b64 exec, exec, s[6:7]
.LBB737_596:
	s_or_b64 exec, exec, s[0:1]
	v_lshrrev_b16_e32 v10, 8, v6
	v_cmp_ne_u16_e32 vcc, 0, v10
	s_and_saveexec_b64 s[0:1], vcc
	s_cbranch_execz .LBB737_602
; %bb.597:
	s_movk_i32 s3, 0x80
	v_cmp_ne_u16_e32 vcc, s3, v10
	v_mov_b32_e32 v13, 0xffff8000
	s_and_saveexec_b64 s[6:7], vcc
	s_cbranch_execz .LBB737_601
; %bb.598:
	s_movk_i32 s3, 0x7f
	v_and_b32_e32 v11, 0x7f, v10
	v_cmp_ne_u32_e32 vcc, s3, v11
	v_mov_b32_e32 v13, 0x7f80
	s_and_saveexec_b64 s[8:9], vcc
	s_cbranch_execz .LBB737_600
; %bb.599:
	v_and_b32_e32 v17, 7, v10
	v_ffbh_u32_e32 v12, v17
	v_min_u32_e32 v19, 32, v12
	v_subrev_u32_e32 v12, 28, v19
	v_lshlrev_b64 v[12:13], v12, v[10:11]
	v_lshrrev_b32_e32 v18, 3, v11
	v_sub_u32_e32 v10, 29, v19
	v_and_b32_e32 v12, 7, v12
	v_cmp_gt_u32_e32 vcc, 8, v11
	v_cndmask_b32_e32 v10, v18, v10, vcc
	v_cndmask_b32_e32 v11, v17, v12, vcc
	v_lshlrev_b32_e32 v12, 16, v6
	v_bfrev_b32_e32 v13, 60
	v_lshlrev_b32_e32 v11, 20, v11
	v_and_b32_e32 v12, 0x80000000, v12
	v_lshl_add_u32 v10, v10, 23, v13
	v_or3_b32 v10, v12, v10, v11
	v_lshrrev_b32_e32 v13, 16, v10
.LBB737_600:
	s_or_b64 exec, exec, s[8:9]
.LBB737_601:
	s_or_b64 exec, exec, s[6:7]
.LBB737_602:
	s_or_b64 exec, exec, s[0:1]
	s_movk_i32 s0, 0xff
	v_and_b32_sdwa v12, v6, s0 dst_sel:DWORD dst_unused:UNUSED_PAD src0_sel:WORD_1 src1_sel:DWORD
	v_lshrrev_b32_e32 v10, 16, v6
	v_cmp_ne_u16_e32 vcc, 0, v12
	v_mov_b32_e32 v11, 0
	v_mov_b32_e32 v17, 0
	s_and_saveexec_b64 s[0:1], vcc
	s_cbranch_execz .LBB737_608
; %bb.603:
	s_movk_i32 s3, 0x80
	v_cmp_ne_u16_e32 vcc, s3, v12
	v_mov_b32_e32 v17, 0xffff8000
	s_and_saveexec_b64 s[6:7], vcc
	s_cbranch_execz .LBB737_607
; %bb.604:
	v_bfe_u32 v12, v6, 16, 7
	s_movk_i32 s3, 0x7f
	v_cmp_ne_u32_e32 vcc, s3, v12
	v_mov_b32_e32 v17, 0x7f80
	s_and_saveexec_b64 s[8:9], vcc
	s_cbranch_execz .LBB737_606
; %bb.605:
	v_and_b32_e32 v17, 7, v10
	v_ffbh_u32_e32 v18, v17
	v_min_u32_e32 v21, 32, v18
	v_subrev_u32_e32 v18, 28, v21
	v_lshlrev_b64 v[18:19], v18, v[10:11]
	v_and_b32_e32 v18, 7, v18
	v_cmp_gt_u32_e32 vcc, 8, v12
	v_lshrrev_b32_e32 v20, 3, v12
	v_sub_u32_e32 v10, 29, v21
	v_cndmask_b32_e32 v12, v17, v18, vcc
	v_mov_b32_e32 v17, 24
	v_cndmask_b32_e32 v10, v20, v10, vcc
	v_lshlrev_b32_sdwa v17, v17, v6 dst_sel:DWORD dst_unused:UNUSED_PAD src0_sel:DWORD src1_sel:WORD_1
	v_bfrev_b32_e32 v18, 60
	v_lshlrev_b32_e32 v12, 20, v12
	v_and_b32_e32 v17, 0x80000000, v17
	v_lshl_add_u32 v10, v10, 23, v18
	v_or3_b32 v10, v17, v10, v12
	v_lshrrev_b32_e32 v17, 16, v10
.LBB737_606:
	s_or_b64 exec, exec, s[8:9]
.LBB737_607:
	s_or_b64 exec, exec, s[6:7]
.LBB737_608:
	s_or_b64 exec, exec, s[0:1]
	s_mov_b32 s0, 0xffffff
	v_cmp_lt_u32_e32 vcc, s0, v6
	v_mov_b32_e32 v18, 0
	s_and_saveexec_b64 s[0:1], vcc
	s_cbranch_execz .LBB737_614
; %bb.609:
	v_lshrrev_b32_e32 v10, 24, v6
	s_movk_i32 s3, 0x80
	v_cmp_ne_u32_e32 vcc, s3, v10
	v_mov_b32_e32 v18, 0xffff8000
	s_and_saveexec_b64 s[6:7], vcc
	s_cbranch_execz .LBB737_613
; %bb.610:
	v_bfe_u32 v12, v6, 24, 7
	s_movk_i32 s3, 0x7f
	v_cmp_ne_u32_e32 vcc, s3, v12
	v_mov_b32_e32 v18, 0x7f80
	s_and_saveexec_b64 s[8:9], vcc
	s_cbranch_execz .LBB737_612
; %bb.611:
	v_and_b32_e32 v20, 7, v10
	v_ffbh_u32_e32 v18, v20
	v_min_u32_e32 v22, 32, v18
	v_subrev_u32_e32 v18, 28, v22
	v_lshlrev_b64 v[18:19], v18, v[10:11]
	v_lshrrev_b32_e32 v21, 3, v12
	v_sub_u32_e32 v19, 29, v22
	v_and_b32_e32 v18, 7, v18
	v_cmp_gt_u32_e32 vcc, 8, v12
	v_cndmask_b32_e32 v12, v21, v19, vcc
	v_cndmask_b32_e32 v18, v20, v18, vcc
	v_lshlrev_b32_e32 v10, 24, v10
	v_bfrev_b32_e32 v19, 60
	v_lshlrev_b32_e32 v18, 20, v18
	v_and_b32_e32 v10, 0x80000000, v10
	v_lshl_add_u32 v12, v12, 23, v19
	v_or3_b32 v10, v10, v12, v18
	v_lshrrev_b32_e32 v18, 16, v10
.LBB737_612:
	s_or_b64 exec, exec, s[8:9]
.LBB737_613:
	s_or_b64 exec, exec, s[6:7]
.LBB737_614:
	s_or_b64 exec, exec, s[0:1]
	v_mov_b32_e32 v19, 0
	v_mov_b32_e32 v10, v7
	v_cmp_ne_u16_sdwa s[6:7], v7, v19 src0_sel:BYTE_0 src1_sel:DWORD
	v_mov_b32_e32 v20, 0
	s_and_saveexec_b64 s[0:1], s[6:7]
	s_cbranch_execz .LBB737_620
; %bb.615:
	s_movk_i32 s3, 0x80
	v_cmp_ne_u16_sdwa s[8:9], v7, s3 src0_sel:BYTE_0 src1_sel:DWORD
	v_mov_b32_e32 v20, 0xffff8000
	s_and_saveexec_b64 s[6:7], s[8:9]
	s_cbranch_execz .LBB737_619
; %bb.616:
	s_movk_i32 s3, 0x7f
	v_and_b32_e32 v12, 0x7f, v7
	v_cmp_ne_u32_e32 vcc, s3, v12
	v_mov_b32_e32 v20, 0x7f80
	s_and_saveexec_b64 s[8:9], vcc
	s_cbranch_execz .LBB737_618
; %bb.617:
	v_and_b32_e32 v20, 7, v7
	v_ffbh_u32_e32 v20, v20
	v_min_u32_e32 v20, 32, v20
	v_lshrrev_b32_e32 v21, 3, v12
	v_subrev_u32_e32 v22, 28, v20
	v_sub_u32_e32 v20, 29, v20
	v_cmp_gt_u32_e32 vcc, 8, v12
	v_cndmask_b32_e32 v12, v21, v20, vcc
	v_cndmask_b32_e32 v20, 0, v22, vcc
	v_lshlrev_b64 v[20:21], v20, v[10:11]
	v_lshlrev_b32_e32 v11, 20, v20
	v_lshlrev_b32_e32 v20, 24, v10
	v_bfrev_b32_e32 v21, 60
	v_and_b32_e32 v11, 0x700000, v11
	v_and_b32_e32 v20, 0x80000000, v20
	v_lshl_add_u32 v12, v12, 23, v21
	v_or3_b32 v11, v20, v12, v11
	v_lshrrev_b32_e32 v20, 16, v11
.LBB737_618:
	s_or_b64 exec, exec, s[8:9]
.LBB737_619:
	s_or_b64 exec, exec, s[6:7]
.LBB737_620:
	s_or_b64 exec, exec, s[0:1]
	v_lshrrev_b16_e32 v12, 8, v10
	v_cmp_ne_u16_e32 vcc, 0, v12
	s_and_saveexec_b64 s[0:1], vcc
	s_cbranch_execz .LBB737_626
; %bb.621:
	s_movk_i32 s3, 0x80
	v_cmp_ne_u16_e32 vcc, s3, v12
	v_mov_b32_e32 v19, 0xffff8000
	s_and_saveexec_b64 s[6:7], vcc
	s_cbranch_execz .LBB737_625
; %bb.622:
	s_movk_i32 s3, 0x7f
	v_and_b32_e32 v11, 0x7f, v12
	v_cmp_ne_u32_e32 vcc, s3, v11
	v_mov_b32_e32 v19, 0x7f80
	s_and_saveexec_b64 s[8:9], vcc
	s_cbranch_execz .LBB737_624
; %bb.623:
	v_and_b32_e32 v19, 7, v12
	v_ffbh_u32_e32 v22, v19
	v_min_u32_e32 v24, 32, v22
	v_subrev_u32_e32 v22, 28, v24
	v_lshlrev_b64 v[22:23], v22, v[12:13]
	v_lshrrev_b32_e32 v21, 3, v11
	v_sub_u32_e32 v12, 29, v24
	v_and_b32_e32 v22, 7, v22
	v_cmp_gt_u32_e32 vcc, 8, v11
	v_cndmask_b32_e32 v11, v21, v12, vcc
	v_cndmask_b32_e32 v12, v19, v22, vcc
	v_lshlrev_b32_e32 v10, 16, v10
	v_bfrev_b32_e32 v19, 60
	v_lshlrev_b32_e32 v12, 20, v12
	v_and_b32_e32 v10, 0x80000000, v10
	v_lshl_add_u32 v11, v11, 23, v19
	v_or3_b32 v10, v10, v11, v12
	v_lshrrev_b32_e32 v19, 16, v10
.LBB737_624:
	s_or_b64 exec, exec, s[8:9]
.LBB737_625:
	s_or_b64 exec, exec, s[6:7]
.LBB737_626:
	s_or_b64 exec, exec, s[0:1]
	s_movk_i32 s0, 0xff
	v_and_b32_sdwa v21, v7, s0 dst_sel:DWORD dst_unused:UNUSED_PAD src0_sel:WORD_1 src1_sel:DWORD
	v_lshrrev_b32_e32 v10, 16, v7
	v_cmp_ne_u16_e32 vcc, 0, v21
	v_mov_b32_e32 v11, 0
	v_mov_b32_e32 v12, 0
	s_and_saveexec_b64 s[0:1], vcc
	s_cbranch_execz .LBB737_632
; %bb.627:
	s_movk_i32 s3, 0x80
	v_cmp_ne_u16_e32 vcc, s3, v21
	v_mov_b32_e32 v12, 0xffff8000
	s_and_saveexec_b64 s[6:7], vcc
	s_cbranch_execz .LBB737_631
; %bb.628:
	v_bfe_u32 v21, v7, 16, 7
	s_movk_i32 s3, 0x7f
	v_cmp_ne_u32_e32 vcc, s3, v21
	v_mov_b32_e32 v12, 0x7f80
	s_and_saveexec_b64 s[8:9], vcc
	s_cbranch_execz .LBB737_630
; %bb.629:
	v_and_b32_e32 v12, 7, v10
	v_ffbh_u32_e32 v22, v12
	v_min_u32_e32 v25, 32, v22
	v_subrev_u32_e32 v22, 28, v25
	v_lshlrev_b64 v[22:23], v22, v[10:11]
	v_lshrrev_b32_e32 v24, 3, v21
	v_sub_u32_e32 v10, 29, v25
	v_and_b32_e32 v22, 7, v22
	v_cmp_gt_u32_e32 vcc, 8, v21
	v_mov_b32_e32 v21, 24
	v_cndmask_b32_e32 v10, v24, v10, vcc
	v_cndmask_b32_e32 v12, v12, v22, vcc
	v_lshlrev_b32_sdwa v21, v21, v7 dst_sel:DWORD dst_unused:UNUSED_PAD src0_sel:DWORD src1_sel:WORD_1
	v_bfrev_b32_e32 v22, 60
	v_lshlrev_b32_e32 v12, 20, v12
	v_and_b32_e32 v21, 0x80000000, v21
	v_lshl_add_u32 v10, v10, 23, v22
	v_or3_b32 v10, v21, v10, v12
	v_lshrrev_b32_e32 v12, 16, v10
.LBB737_630:
	s_or_b64 exec, exec, s[8:9]
.LBB737_631:
	s_or_b64 exec, exec, s[6:7]
.LBB737_632:
	s_or_b64 exec, exec, s[0:1]
	s_mov_b32 s0, -1
	s_mov_b32 s1, 0xffffff
	v_cmp_lt_u64_e32 vcc, s[0:1], v[6:7]
	s_and_saveexec_b64 s[0:1], vcc
	s_cbranch_execz .LBB737_638
; %bb.633:
	v_lshrrev_b32_e32 v6, 24, v7
	s_movk_i32 s3, 0x80
	v_cmp_ne_u32_e32 vcc, s3, v6
	v_mov_b32_e32 v11, 0xffff8000
	s_and_saveexec_b64 s[6:7], vcc
	s_cbranch_execz .LBB737_637
; %bb.634:
	v_bfe_u32 v7, v7, 24, 7
	s_movk_i32 s3, 0x7f
	v_cmp_ne_u32_e32 vcc, s3, v7
	v_mov_b32_e32 v11, 0x7f80
	s_and_saveexec_b64 s[8:9], vcc
	s_cbranch_execz .LBB737_636
; %bb.635:
	v_and_b32_e32 v21, 7, v6
	v_ffbh_u32_e32 v10, v21
	v_min_u32_e32 v23, 32, v10
	v_subrev_u32_e32 v10, 28, v23
	v_lshlrev_b64 v[10:11], v10, v[6:7]
	v_lshrrev_b32_e32 v22, 3, v7
	v_sub_u32_e32 v11, 29, v23
	v_and_b32_e32 v10, 7, v10
	v_cmp_gt_u32_e32 vcc, 8, v7
	v_cndmask_b32_e32 v7, v22, v11, vcc
	v_cndmask_b32_e32 v10, v21, v10, vcc
	v_lshlrev_b32_e32 v6, 24, v6
	v_bfrev_b32_e32 v11, 60
	v_lshlrev_b32_e32 v10, 20, v10
	v_and_b32_e32 v6, 0x80000000, v6
	v_lshl_add_u32 v7, v7, 23, v11
	v_or3_b32 v6, v6, v7, v10
	v_lshrrev_b32_e32 v11, 16, v6
.LBB737_636:
	s_or_b64 exec, exec, s[8:9]
.LBB737_637:
	s_or_b64 exec, exec, s[6:7]
.LBB737_638:
	s_or_b64 exec, exec, s[0:1]
	s_mov_b32 s0, 0x5040100
	v_perm_b32 v7, v18, v17, s0
	v_perm_b32 v6, v13, v16, s0
	;; [unrolled: 1-line block ×4, first 2 shown]
	v_mfma_f32_4x4x4bf16_1k a[0:3], v[14:15], v[6:7], a[0:3] cbsz:4 abid:8
	v_mov_b32_e32 v12, 0
	v_mfma_f32_4x4x4bf16_1k a[0:3], v[14:15], v[10:11], a[0:3] cbsz:4 abid:9
	v_mov_b32_e32 v11, 0
	v_cmp_ne_u16_sdwa s[6:7], v8, v11 src0_sel:BYTE_0 src1_sel:DWORD
	s_and_saveexec_b64 s[0:1], s[6:7]
	s_cbranch_execz .LBB737_644
; %bb.639:
	s_movk_i32 s3, 0x80
	v_cmp_ne_u16_sdwa s[8:9], v8, s3 src0_sel:BYTE_0 src1_sel:DWORD
	v_mov_b32_e32 v12, 0xffff8000
	s_and_saveexec_b64 s[6:7], s[8:9]
	s_cbranch_execz .LBB737_643
; %bb.640:
	s_movk_i32 s3, 0x7f
	v_and_b32_e32 v6, 0x7f, v8
	v_cmp_ne_u32_e32 vcc, s3, v6
	v_mov_b32_e32 v12, 0x7f80
	s_and_saveexec_b64 s[8:9], vcc
	s_cbranch_execz .LBB737_642
; %bb.641:
	v_and_b32_e32 v7, 7, v8
	v_ffbh_u32_e32 v7, v7
	v_min_u32_e32 v7, 32, v7
	v_subrev_u32_e32 v12, 28, v7
	v_cmp_gt_u32_e32 vcc, 8, v6
	v_lshrrev_b32_e32 v10, 3, v6
	v_sub_u32_e32 v7, 29, v7
	v_cndmask_b32_e32 v6, 0, v12, vcc
	v_cndmask_b32_e32 v10, v10, v7, vcc
	v_lshlrev_b64 v[6:7], v6, v[8:9]
	v_lshlrev_b32_e32 v6, 20, v6
	v_lshlrev_b32_e32 v7, 24, v8
	v_bfrev_b32_e32 v12, 60
	v_and_b32_e32 v6, 0x700000, v6
	v_and_b32_e32 v7, 0x80000000, v7
	v_lshl_add_u32 v10, v10, 23, v12
	v_or3_b32 v6, v7, v10, v6
	v_lshrrev_b32_e32 v12, 16, v6
.LBB737_642:
	s_or_b64 exec, exec, s[8:9]
.LBB737_643:
	s_or_b64 exec, exec, s[6:7]
.LBB737_644:
	s_or_b64 exec, exec, s[0:1]
	v_lshrrev_b16_e32 v6, 8, v8
	v_cmp_ne_u16_e32 vcc, 0, v6
	s_and_saveexec_b64 s[0:1], vcc
	s_cbranch_execz .LBB737_650
; %bb.645:
	s_movk_i32 s3, 0x80
	v_cmp_ne_u16_e32 vcc, s3, v6
	v_mov_b32_e32 v11, 0xffff8000
	s_and_saveexec_b64 s[6:7], vcc
	s_cbranch_execz .LBB737_649
; %bb.646:
	s_movk_i32 s3, 0x7f
	v_and_b32_e32 v7, 0x7f, v6
	v_cmp_ne_u32_e32 vcc, s3, v7
	v_mov_b32_e32 v11, 0x7f80
	s_and_saveexec_b64 s[8:9], vcc
	s_cbranch_execz .LBB737_648
; %bb.647:
	v_and_b32_e32 v13, 7, v6
	v_ffbh_u32_e32 v10, v13
	v_min_u32_e32 v17, 32, v10
	v_subrev_u32_e32 v10, 28, v17
	v_lshlrev_b64 v[10:11], v10, v[6:7]
	v_lshrrev_b32_e32 v16, 3, v7
	v_sub_u32_e32 v6, 29, v17
	v_and_b32_e32 v10, 7, v10
	v_cmp_gt_u32_e32 vcc, 8, v7
	v_cndmask_b32_e32 v6, v16, v6, vcc
	v_cndmask_b32_e32 v7, v13, v10, vcc
	v_lshlrev_b32_e32 v10, 16, v8
	v_bfrev_b32_e32 v11, 60
	v_lshlrev_b32_e32 v7, 20, v7
	v_and_b32_e32 v10, 0x80000000, v10
	v_lshl_add_u32 v6, v6, 23, v11
	v_or3_b32 v6, v10, v6, v7
	v_lshrrev_b32_e32 v11, 16, v6
.LBB737_648:
	s_or_b64 exec, exec, s[8:9]
.LBB737_649:
	s_or_b64 exec, exec, s[6:7]
.LBB737_650:
	s_or_b64 exec, exec, s[0:1]
	s_movk_i32 s0, 0xff
	v_and_b32_sdwa v10, v8, s0 dst_sel:DWORD dst_unused:UNUSED_PAD src0_sel:WORD_1 src1_sel:DWORD
	v_lshrrev_b32_e32 v6, 16, v8
	v_cmp_ne_u16_e32 vcc, 0, v10
	v_mov_b32_e32 v7, 0
	v_mov_b32_e32 v13, 0
	s_and_saveexec_b64 s[0:1], vcc
	s_cbranch_execz .LBB737_656
; %bb.651:
	s_movk_i32 s3, 0x80
	v_cmp_ne_u16_e32 vcc, s3, v10
	v_mov_b32_e32 v13, 0xffff8000
	s_and_saveexec_b64 s[6:7], vcc
	s_cbranch_execz .LBB737_655
; %bb.652:
	v_bfe_u32 v10, v8, 16, 7
	s_movk_i32 s3, 0x7f
	v_cmp_ne_u32_e32 vcc, s3, v10
	v_mov_b32_e32 v13, 0x7f80
	s_and_saveexec_b64 s[8:9], vcc
	s_cbranch_execz .LBB737_654
; %bb.653:
	v_and_b32_e32 v13, 7, v6
	v_ffbh_u32_e32 v16, v13
	v_min_u32_e32 v19, 32, v16
	v_subrev_u32_e32 v16, 28, v19
	v_lshlrev_b64 v[16:17], v16, v[6:7]
	v_and_b32_e32 v16, 7, v16
	v_cmp_gt_u32_e32 vcc, 8, v10
	v_lshrrev_b32_e32 v18, 3, v10
	v_sub_u32_e32 v6, 29, v19
	v_cndmask_b32_e32 v10, v13, v16, vcc
	v_mov_b32_e32 v13, 24
	v_cndmask_b32_e32 v6, v18, v6, vcc
	v_lshlrev_b32_sdwa v13, v13, v8 dst_sel:DWORD dst_unused:UNUSED_PAD src0_sel:DWORD src1_sel:WORD_1
	v_bfrev_b32_e32 v16, 60
	v_lshlrev_b32_e32 v10, 20, v10
	v_and_b32_e32 v13, 0x80000000, v13
	v_lshl_add_u32 v6, v6, 23, v16
	v_or3_b32 v6, v13, v6, v10
	v_lshrrev_b32_e32 v13, 16, v6
.LBB737_654:
	s_or_b64 exec, exec, s[8:9]
.LBB737_655:
	s_or_b64 exec, exec, s[6:7]
.LBB737_656:
	s_or_b64 exec, exec, s[0:1]
	s_mov_b32 s0, 0xffffff
	v_cmp_lt_u32_e32 vcc, s0, v8
	v_mov_b32_e32 v16, 0
	s_and_saveexec_b64 s[0:1], vcc
	s_cbranch_execz .LBB737_662
; %bb.657:
	v_lshrrev_b32_e32 v6, 24, v8
	s_movk_i32 s3, 0x80
	v_cmp_ne_u32_e32 vcc, s3, v6
	v_mov_b32_e32 v16, 0xffff8000
	s_and_saveexec_b64 s[6:7], vcc
	s_cbranch_execz .LBB737_661
; %bb.658:
	v_bfe_u32 v10, v8, 24, 7
	s_movk_i32 s3, 0x7f
	v_cmp_ne_u32_e32 vcc, s3, v10
	v_mov_b32_e32 v16, 0x7f80
	s_and_saveexec_b64 s[8:9], vcc
	s_cbranch_execz .LBB737_660
; %bb.659:
	v_and_b32_e32 v18, 7, v6
	v_ffbh_u32_e32 v16, v18
	v_min_u32_e32 v20, 32, v16
	v_subrev_u32_e32 v16, 28, v20
	v_lshlrev_b64 v[16:17], v16, v[6:7]
	v_lshrrev_b32_e32 v19, 3, v10
	v_sub_u32_e32 v17, 29, v20
	v_and_b32_e32 v16, 7, v16
	v_cmp_gt_u32_e32 vcc, 8, v10
	v_cndmask_b32_e32 v10, v19, v17, vcc
	v_cndmask_b32_e32 v16, v18, v16, vcc
	v_lshlrev_b32_e32 v6, 24, v6
	v_bfrev_b32_e32 v17, 60
	v_lshlrev_b32_e32 v16, 20, v16
	v_and_b32_e32 v6, 0x80000000, v6
	v_lshl_add_u32 v10, v10, 23, v17
	v_or3_b32 v6, v6, v10, v16
	v_lshrrev_b32_e32 v16, 16, v6
.LBB737_660:
	s_or_b64 exec, exec, s[8:9]
.LBB737_661:
	s_or_b64 exec, exec, s[6:7]
.LBB737_662:
	s_or_b64 exec, exec, s[0:1]
	v_mov_b32_e32 v17, 0
	v_mov_b32_e32 v6, v9
	v_cmp_ne_u16_sdwa s[6:7], v9, v17 src0_sel:BYTE_0 src1_sel:DWORD
	v_mov_b32_e32 v18, 0
	s_and_saveexec_b64 s[0:1], s[6:7]
	s_cbranch_execz .LBB737_668
; %bb.663:
	s_movk_i32 s3, 0x80
	v_cmp_ne_u16_sdwa s[8:9], v9, s3 src0_sel:BYTE_0 src1_sel:DWORD
	v_mov_b32_e32 v18, 0xffff8000
	s_and_saveexec_b64 s[6:7], s[8:9]
	s_cbranch_execz .LBB737_667
; %bb.664:
	s_movk_i32 s3, 0x7f
	v_and_b32_e32 v10, 0x7f, v9
	v_cmp_ne_u32_e32 vcc, s3, v10
	v_mov_b32_e32 v18, 0x7f80
	s_and_saveexec_b64 s[8:9], vcc
	s_cbranch_execz .LBB737_666
; %bb.665:
	v_and_b32_e32 v18, 7, v9
	v_ffbh_u32_e32 v18, v18
	v_min_u32_e32 v18, 32, v18
	v_lshrrev_b32_e32 v19, 3, v10
	v_subrev_u32_e32 v20, 28, v18
	v_sub_u32_e32 v18, 29, v18
	v_cmp_gt_u32_e32 vcc, 8, v10
	v_cndmask_b32_e32 v10, v19, v18, vcc
	v_cndmask_b32_e32 v18, 0, v20, vcc
	v_lshlrev_b64 v[18:19], v18, v[6:7]
	v_lshlrev_b32_e32 v7, 20, v18
	v_lshlrev_b32_e32 v18, 24, v6
	v_bfrev_b32_e32 v19, 60
	v_and_b32_e32 v7, 0x700000, v7
	v_and_b32_e32 v18, 0x80000000, v18
	v_lshl_add_u32 v10, v10, 23, v19
	v_or3_b32 v7, v18, v10, v7
	v_lshrrev_b32_e32 v18, 16, v7
.LBB737_666:
	s_or_b64 exec, exec, s[8:9]
.LBB737_667:
	s_or_b64 exec, exec, s[6:7]
.LBB737_668:
	s_or_b64 exec, exec, s[0:1]
	v_lshrrev_b16_e32 v10, 8, v6
	v_cmp_ne_u16_e32 vcc, 0, v10
	s_and_saveexec_b64 s[0:1], vcc
	s_cbranch_execz .LBB737_674
; %bb.669:
	s_movk_i32 s3, 0x80
	v_cmp_ne_u16_e32 vcc, s3, v10
	v_mov_b32_e32 v17, 0xffff8000
	s_and_saveexec_b64 s[6:7], vcc
	s_cbranch_execz .LBB737_673
; %bb.670:
	s_movk_i32 s3, 0x7f
	v_and_b32_e32 v7, 0x7f, v10
	v_cmp_ne_u32_e32 vcc, s3, v7
	v_mov_b32_e32 v17, 0x7f80
	s_and_saveexec_b64 s[8:9], vcc
	s_cbranch_execz .LBB737_672
; %bb.671:
	v_and_b32_e32 v17, 7, v10
	v_ffbh_u32_e32 v20, v17
	v_min_u32_e32 v22, 32, v20
	v_subrev_u32_e32 v20, 28, v22
	v_lshlrev_b64 v[20:21], v20, v[10:11]
	v_lshrrev_b32_e32 v19, 3, v7
	v_sub_u32_e32 v10, 29, v22
	v_and_b32_e32 v20, 7, v20
	v_cmp_gt_u32_e32 vcc, 8, v7
	v_cndmask_b32_e32 v7, v19, v10, vcc
	v_cndmask_b32_e32 v10, v17, v20, vcc
	v_lshlrev_b32_e32 v6, 16, v6
	v_bfrev_b32_e32 v17, 60
	v_lshlrev_b32_e32 v10, 20, v10
	v_and_b32_e32 v6, 0x80000000, v6
	v_lshl_add_u32 v7, v7, 23, v17
	v_or3_b32 v6, v6, v7, v10
	v_lshrrev_b32_e32 v17, 16, v6
.LBB737_672:
	s_or_b64 exec, exec, s[8:9]
.LBB737_673:
	s_or_b64 exec, exec, s[6:7]
.LBB737_674:
	s_or_b64 exec, exec, s[0:1]
	s_movk_i32 s0, 0xff
	v_and_b32_sdwa v19, v9, s0 dst_sel:DWORD dst_unused:UNUSED_PAD src0_sel:WORD_1 src1_sel:DWORD
	v_lshrrev_b32_e32 v6, 16, v9
	v_cmp_ne_u16_e32 vcc, 0, v19
	v_mov_b32_e32 v7, 0
	v_mov_b32_e32 v10, 0
	s_and_saveexec_b64 s[0:1], vcc
	s_cbranch_execz .LBB737_680
; %bb.675:
	s_movk_i32 s3, 0x80
	v_cmp_ne_u16_e32 vcc, s3, v19
	v_mov_b32_e32 v10, 0xffff8000
	s_and_saveexec_b64 s[6:7], vcc
	s_cbranch_execz .LBB737_679
; %bb.676:
	v_bfe_u32 v19, v9, 16, 7
	s_movk_i32 s3, 0x7f
	v_cmp_ne_u32_e32 vcc, s3, v19
	v_mov_b32_e32 v10, 0x7f80
	s_and_saveexec_b64 s[8:9], vcc
	s_cbranch_execz .LBB737_678
; %bb.677:
	v_and_b32_e32 v10, 7, v6
	v_ffbh_u32_e32 v20, v10
	v_min_u32_e32 v23, 32, v20
	v_subrev_u32_e32 v20, 28, v23
	v_lshlrev_b64 v[20:21], v20, v[6:7]
	v_lshrrev_b32_e32 v22, 3, v19
	v_sub_u32_e32 v6, 29, v23
	v_and_b32_e32 v20, 7, v20
	v_cmp_gt_u32_e32 vcc, 8, v19
	v_mov_b32_e32 v19, 24
	v_cndmask_b32_e32 v6, v22, v6, vcc
	v_cndmask_b32_e32 v10, v10, v20, vcc
	v_lshlrev_b32_sdwa v19, v19, v9 dst_sel:DWORD dst_unused:UNUSED_PAD src0_sel:DWORD src1_sel:WORD_1
	v_bfrev_b32_e32 v20, 60
	v_lshlrev_b32_e32 v10, 20, v10
	v_and_b32_e32 v19, 0x80000000, v19
	v_lshl_add_u32 v6, v6, 23, v20
	v_or3_b32 v6, v19, v6, v10
	v_lshrrev_b32_e32 v10, 16, v6
.LBB737_678:
	s_or_b64 exec, exec, s[8:9]
.LBB737_679:
	s_or_b64 exec, exec, s[6:7]
.LBB737_680:
	s_or_b64 exec, exec, s[0:1]
	s_mov_b32 s0, -1
	s_mov_b32 s1, 0xffffff
	v_cmp_lt_u64_e32 vcc, s[0:1], v[8:9]
	s_and_saveexec_b64 s[0:1], vcc
	s_cbranch_execz .LBB737_686
; %bb.681:
	v_lshrrev_b32_e32 v6, 24, v9
	s_movk_i32 s3, 0x80
	v_cmp_ne_u32_e32 vcc, s3, v6
	v_mov_b32_e32 v7, 0xffff8000
	s_and_saveexec_b64 s[6:7], vcc
	s_cbranch_execz .LBB737_685
; %bb.682:
	v_bfe_u32 v8, v9, 24, 7
	s_movk_i32 s3, 0x7f
	v_cmp_ne_u32_e32 vcc, s3, v8
	v_mov_b32_e32 v7, 0x7f80
	s_and_saveexec_b64 s[8:9], vcc
	s_cbranch_execz .LBB737_684
; %bb.683:
	v_and_b32_e32 v7, 7, v6
	v_ffbh_u32_e32 v19, v7
	v_min_u32_e32 v19, 32, v19
	v_subrev_u32_e32 v20, 28, v19
	v_lshlrev_b64 v[20:21], v20, v[6:7]
	v_lshrrev_b32_e32 v9, 3, v8
	v_sub_u32_e32 v19, 29, v19
	v_and_b32_e32 v20, 7, v20
	v_cmp_gt_u32_e32 vcc, 8, v8
	v_cndmask_b32_e32 v8, v9, v19, vcc
	v_cndmask_b32_e32 v7, v7, v20, vcc
	v_lshlrev_b32_e32 v6, 24, v6
	v_bfrev_b32_e32 v9, 60
	v_lshlrev_b32_e32 v7, 20, v7
	v_and_b32_e32 v6, 0x80000000, v6
	v_lshl_add_u32 v8, v8, 23, v9
	v_or3_b32 v6, v6, v8, v7
	v_lshrrev_b32_e32 v7, 16, v6
.LBB737_684:
	s_or_b64 exec, exec, s[8:9]
.LBB737_685:
	s_or_b64 exec, exec, s[6:7]
.LBB737_686:
	s_or_b64 exec, exec, s[0:1]
	s_mov_b32 s0, 0x5040100
	v_perm_b32 v9, v16, v13, s0
	v_perm_b32 v8, v11, v12, s0
	;; [unrolled: 1-line block ×4, first 2 shown]
	v_mfma_f32_4x4x4bf16_1k a[0:3], v[14:15], v[8:9], a[0:3] cbsz:4 abid:10
	v_mov_b32_e32 v9, 0
	v_mfma_f32_4x4x4bf16_1k a[0:3], v[14:15], v[6:7], a[0:3] cbsz:4 abid:11
	v_cmp_ne_u16_sdwa s[6:7], v2, v9 src0_sel:BYTE_0 src1_sel:DWORD
	v_mov_b32_e32 v10, 0
	s_and_saveexec_b64 s[0:1], s[6:7]
	s_cbranch_execz .LBB737_692
; %bb.687:
	s_movk_i32 s3, 0x80
	v_cmp_ne_u16_sdwa s[8:9], v2, s3 src0_sel:BYTE_0 src1_sel:DWORD
	v_mov_b32_e32 v10, 0xffff8000
	s_and_saveexec_b64 s[6:7], s[8:9]
	s_cbranch_execz .LBB737_691
; %bb.688:
	s_movk_i32 s3, 0x7f
	v_and_b32_e32 v6, 0x7f, v2
	v_cmp_ne_u32_e32 vcc, s3, v6
	v_mov_b32_e32 v10, 0x7f80
	s_and_saveexec_b64 s[8:9], vcc
	s_cbranch_execz .LBB737_690
; %bb.689:
	v_and_b32_e32 v7, 7, v2
	v_ffbh_u32_e32 v7, v7
	v_min_u32_e32 v7, 32, v7
	v_subrev_u32_e32 v10, 28, v7
	v_cmp_gt_u32_e32 vcc, 8, v6
	v_lshrrev_b32_e32 v8, 3, v6
	v_sub_u32_e32 v7, 29, v7
	v_cndmask_b32_e32 v6, 0, v10, vcc
	v_cndmask_b32_e32 v8, v8, v7, vcc
	v_lshlrev_b64 v[6:7], v6, v[2:3]
	v_lshlrev_b32_e32 v6, 20, v6
	v_lshlrev_b32_e32 v7, 24, v2
	v_bfrev_b32_e32 v10, 60
	v_and_b32_e32 v6, 0x700000, v6
	v_and_b32_e32 v7, 0x80000000, v7
	v_lshl_add_u32 v8, v8, 23, v10
	v_or3_b32 v6, v7, v8, v6
	v_lshrrev_b32_e32 v10, 16, v6
.LBB737_690:
	s_or_b64 exec, exec, s[8:9]
.LBB737_691:
	s_or_b64 exec, exec, s[6:7]
.LBB737_692:
	s_or_b64 exec, exec, s[0:1]
	v_lshrrev_b16_e32 v6, 8, v2
	v_cmp_ne_u16_e32 vcc, 0, v6
	s_and_saveexec_b64 s[0:1], vcc
	s_cbranch_execz .LBB737_698
; %bb.693:
	s_movk_i32 s3, 0x80
	v_cmp_ne_u16_e32 vcc, s3, v6
	v_mov_b32_e32 v9, 0xffff8000
	s_and_saveexec_b64 s[6:7], vcc
	s_cbranch_execz .LBB737_697
; %bb.694:
	s_movk_i32 s3, 0x7f
	v_and_b32_e32 v7, 0x7f, v6
	v_cmp_ne_u32_e32 vcc, s3, v7
	v_mov_b32_e32 v9, 0x7f80
	s_and_saveexec_b64 s[8:9], vcc
	s_cbranch_execz .LBB737_696
; %bb.695:
	v_and_b32_e32 v11, 7, v6
	v_ffbh_u32_e32 v8, v11
	v_min_u32_e32 v13, 32, v8
	v_subrev_u32_e32 v8, 28, v13
	v_lshlrev_b64 v[8:9], v8, v[6:7]
	v_lshrrev_b32_e32 v12, 3, v7
	v_sub_u32_e32 v6, 29, v13
	v_and_b32_e32 v8, 7, v8
	v_cmp_gt_u32_e32 vcc, 8, v7
	v_cndmask_b32_e32 v6, v12, v6, vcc
	v_cndmask_b32_e32 v7, v11, v8, vcc
	v_lshlrev_b32_e32 v8, 16, v2
	v_bfrev_b32_e32 v9, 60
	v_lshlrev_b32_e32 v7, 20, v7
	v_and_b32_e32 v8, 0x80000000, v8
	v_lshl_add_u32 v6, v6, 23, v9
	v_or3_b32 v6, v8, v6, v7
	v_lshrrev_b32_e32 v9, 16, v6
.LBB737_696:
	s_or_b64 exec, exec, s[8:9]
.LBB737_697:
	s_or_b64 exec, exec, s[6:7]
.LBB737_698:
	s_or_b64 exec, exec, s[0:1]
	s_movk_i32 s0, 0xff
	v_and_b32_sdwa v8, v2, s0 dst_sel:DWORD dst_unused:UNUSED_PAD src0_sel:WORD_1 src1_sel:DWORD
	v_lshrrev_b32_e32 v6, 16, v2
	v_cmp_ne_u16_e32 vcc, 0, v8
	v_mov_b32_e32 v7, 0
	v_mov_b32_e32 v11, 0
	s_and_saveexec_b64 s[0:1], vcc
	s_cbranch_execz .LBB737_704
; %bb.699:
	s_movk_i32 s3, 0x80
	v_cmp_ne_u16_e32 vcc, s3, v8
	v_mov_b32_e32 v11, 0xffff8000
	s_and_saveexec_b64 s[6:7], vcc
	s_cbranch_execz .LBB737_703
; %bb.700:
	v_bfe_u32 v8, v2, 16, 7
	s_movk_i32 s3, 0x7f
	v_cmp_ne_u32_e32 vcc, s3, v8
	v_mov_b32_e32 v11, 0x7f80
	s_and_saveexec_b64 s[8:9], vcc
	s_cbranch_execz .LBB737_702
; %bb.701:
	v_and_b32_e32 v11, 7, v6
	v_ffbh_u32_e32 v12, v11
	v_min_u32_e32 v17, 32, v12
	v_subrev_u32_e32 v12, 28, v17
	v_lshlrev_b64 v[12:13], v12, v[6:7]
	v_and_b32_e32 v12, 7, v12
	v_cmp_gt_u32_e32 vcc, 8, v8
	v_lshrrev_b32_e32 v16, 3, v8
	v_sub_u32_e32 v6, 29, v17
	v_cndmask_b32_e32 v8, v11, v12, vcc
	v_mov_b32_e32 v11, 24
	v_cndmask_b32_e32 v6, v16, v6, vcc
	v_lshlrev_b32_sdwa v11, v11, v2 dst_sel:DWORD dst_unused:UNUSED_PAD src0_sel:DWORD src1_sel:WORD_1
	v_bfrev_b32_e32 v12, 60
	v_lshlrev_b32_e32 v8, 20, v8
	v_and_b32_e32 v11, 0x80000000, v11
	v_lshl_add_u32 v6, v6, 23, v12
	v_or3_b32 v6, v11, v6, v8
	v_lshrrev_b32_e32 v11, 16, v6
.LBB737_702:
	s_or_b64 exec, exec, s[8:9]
.LBB737_703:
	s_or_b64 exec, exec, s[6:7]
.LBB737_704:
	s_or_b64 exec, exec, s[0:1]
	s_mov_b32 s0, 0xffffff
	v_cmp_lt_u32_e32 vcc, s0, v2
	v_mov_b32_e32 v12, 0
	s_and_saveexec_b64 s[0:1], vcc
	s_cbranch_execz .LBB737_710
; %bb.705:
	v_lshrrev_b32_e32 v6, 24, v2
	s_movk_i32 s3, 0x80
	v_cmp_ne_u32_e32 vcc, s3, v6
	v_mov_b32_e32 v12, 0xffff8000
	s_and_saveexec_b64 s[6:7], vcc
	s_cbranch_execz .LBB737_709
; %bb.706:
	v_bfe_u32 v8, v2, 24, 7
	s_movk_i32 s3, 0x7f
	v_cmp_ne_u32_e32 vcc, s3, v8
	v_mov_b32_e32 v12, 0x7f80
	s_and_saveexec_b64 s[8:9], vcc
	s_cbranch_execz .LBB737_708
; %bb.707:
	v_and_b32_e32 v16, 7, v6
	v_ffbh_u32_e32 v12, v16
	v_min_u32_e32 v18, 32, v12
	v_subrev_u32_e32 v12, 28, v18
	v_lshlrev_b64 v[12:13], v12, v[6:7]
	v_lshrrev_b32_e32 v17, 3, v8
	v_sub_u32_e32 v13, 29, v18
	v_and_b32_e32 v12, 7, v12
	v_cmp_gt_u32_e32 vcc, 8, v8
	v_cndmask_b32_e32 v8, v17, v13, vcc
	v_cndmask_b32_e32 v12, v16, v12, vcc
	v_lshlrev_b32_e32 v6, 24, v6
	v_bfrev_b32_e32 v13, 60
	v_lshlrev_b32_e32 v12, 20, v12
	v_and_b32_e32 v6, 0x80000000, v6
	v_lshl_add_u32 v8, v8, 23, v13
	v_or3_b32 v6, v6, v8, v12
	v_lshrrev_b32_e32 v12, 16, v6
.LBB737_708:
	s_or_b64 exec, exec, s[8:9]
.LBB737_709:
	s_or_b64 exec, exec, s[6:7]
.LBB737_710:
	s_or_b64 exec, exec, s[0:1]
	v_mov_b32_e32 v13, 0
	v_mov_b32_e32 v6, v3
	v_cmp_ne_u16_sdwa s[6:7], v3, v13 src0_sel:BYTE_0 src1_sel:DWORD
	v_mov_b32_e32 v16, 0
	s_and_saveexec_b64 s[0:1], s[6:7]
	s_cbranch_execz .LBB737_716
; %bb.711:
	s_movk_i32 s3, 0x80
	v_cmp_ne_u16_sdwa s[8:9], v3, s3 src0_sel:BYTE_0 src1_sel:DWORD
	v_mov_b32_e32 v16, 0xffff8000
	s_and_saveexec_b64 s[6:7], s[8:9]
	s_cbranch_execz .LBB737_715
; %bb.712:
	s_movk_i32 s3, 0x7f
	v_and_b32_e32 v8, 0x7f, v3
	v_cmp_ne_u32_e32 vcc, s3, v8
	v_mov_b32_e32 v16, 0x7f80
	s_and_saveexec_b64 s[8:9], vcc
	s_cbranch_execz .LBB737_714
; %bb.713:
	v_and_b32_e32 v16, 7, v3
	v_ffbh_u32_e32 v16, v16
	v_min_u32_e32 v16, 32, v16
	v_lshrrev_b32_e32 v17, 3, v8
	v_subrev_u32_e32 v18, 28, v16
	v_sub_u32_e32 v16, 29, v16
	v_cmp_gt_u32_e32 vcc, 8, v8
	v_cndmask_b32_e32 v8, v17, v16, vcc
	v_cndmask_b32_e32 v16, 0, v18, vcc
	v_lshlrev_b64 v[16:17], v16, v[6:7]
	v_lshlrev_b32_e32 v7, 20, v16
	v_lshlrev_b32_e32 v16, 24, v6
	v_bfrev_b32_e32 v17, 60
	v_and_b32_e32 v7, 0x700000, v7
	v_and_b32_e32 v16, 0x80000000, v16
	v_lshl_add_u32 v8, v8, 23, v17
	v_or3_b32 v7, v16, v8, v7
	v_lshrrev_b32_e32 v16, 16, v7
.LBB737_714:
	s_or_b64 exec, exec, s[8:9]
.LBB737_715:
	s_or_b64 exec, exec, s[6:7]
.LBB737_716:
	s_or_b64 exec, exec, s[0:1]
	v_lshrrev_b16_e32 v8, 8, v6
	v_cmp_ne_u16_e32 vcc, 0, v8
	s_and_saveexec_b64 s[0:1], vcc
	s_cbranch_execz .LBB737_722
; %bb.717:
	s_movk_i32 s3, 0x80
	v_cmp_ne_u16_e32 vcc, s3, v8
	v_mov_b32_e32 v13, 0xffff8000
	s_and_saveexec_b64 s[6:7], vcc
	s_cbranch_execz .LBB737_721
; %bb.718:
	s_movk_i32 s3, 0x7f
	v_and_b32_e32 v7, 0x7f, v8
	v_cmp_ne_u32_e32 vcc, s3, v7
	v_mov_b32_e32 v13, 0x7f80
	s_and_saveexec_b64 s[8:9], vcc
	s_cbranch_execz .LBB737_720
; %bb.719:
	v_and_b32_e32 v13, 7, v8
	v_ffbh_u32_e32 v18, v13
	v_min_u32_e32 v20, 32, v18
	v_subrev_u32_e32 v18, 28, v20
	v_lshlrev_b64 v[18:19], v18, v[8:9]
	v_lshrrev_b32_e32 v17, 3, v7
	v_sub_u32_e32 v8, 29, v20
	v_and_b32_e32 v18, 7, v18
	v_cmp_gt_u32_e32 vcc, 8, v7
	v_cndmask_b32_e32 v7, v17, v8, vcc
	v_cndmask_b32_e32 v8, v13, v18, vcc
	v_lshlrev_b32_e32 v6, 16, v6
	v_bfrev_b32_e32 v13, 60
	v_lshlrev_b32_e32 v8, 20, v8
	v_and_b32_e32 v6, 0x80000000, v6
	v_lshl_add_u32 v7, v7, 23, v13
	v_or3_b32 v6, v6, v7, v8
	v_lshrrev_b32_e32 v13, 16, v6
.LBB737_720:
	s_or_b64 exec, exec, s[8:9]
.LBB737_721:
	s_or_b64 exec, exec, s[6:7]
.LBB737_722:
	s_or_b64 exec, exec, s[0:1]
	s_movk_i32 s0, 0xff
	v_and_b32_sdwa v17, v3, s0 dst_sel:DWORD dst_unused:UNUSED_PAD src0_sel:WORD_1 src1_sel:DWORD
	v_lshrrev_b32_e32 v6, 16, v3
	v_cmp_ne_u16_e32 vcc, 0, v17
	v_mov_b32_e32 v7, 0
	v_mov_b32_e32 v8, 0
	s_and_saveexec_b64 s[0:1], vcc
	s_cbranch_execz .LBB737_728
; %bb.723:
	s_movk_i32 s3, 0x80
	v_cmp_ne_u16_e32 vcc, s3, v17
	v_mov_b32_e32 v8, 0xffff8000
	s_and_saveexec_b64 s[6:7], vcc
	s_cbranch_execz .LBB737_727
; %bb.724:
	v_bfe_u32 v17, v3, 16, 7
	s_movk_i32 s3, 0x7f
	v_cmp_ne_u32_e32 vcc, s3, v17
	v_mov_b32_e32 v8, 0x7f80
	s_and_saveexec_b64 s[8:9], vcc
	s_cbranch_execz .LBB737_726
; %bb.725:
	v_and_b32_e32 v8, 7, v6
	v_ffbh_u32_e32 v18, v8
	v_min_u32_e32 v21, 32, v18
	v_subrev_u32_e32 v18, 28, v21
	v_lshlrev_b64 v[18:19], v18, v[6:7]
	v_lshrrev_b32_e32 v20, 3, v17
	v_sub_u32_e32 v6, 29, v21
	v_and_b32_e32 v18, 7, v18
	v_cmp_gt_u32_e32 vcc, 8, v17
	v_mov_b32_e32 v17, 24
	v_cndmask_b32_e32 v6, v20, v6, vcc
	v_cndmask_b32_e32 v8, v8, v18, vcc
	v_lshlrev_b32_sdwa v17, v17, v3 dst_sel:DWORD dst_unused:UNUSED_PAD src0_sel:DWORD src1_sel:WORD_1
	v_bfrev_b32_e32 v18, 60
	v_lshlrev_b32_e32 v8, 20, v8
	v_and_b32_e32 v17, 0x80000000, v17
	v_lshl_add_u32 v6, v6, 23, v18
	v_or3_b32 v6, v17, v6, v8
	v_lshrrev_b32_e32 v8, 16, v6
.LBB737_726:
	s_or_b64 exec, exec, s[8:9]
.LBB737_727:
	s_or_b64 exec, exec, s[6:7]
.LBB737_728:
	s_or_b64 exec, exec, s[0:1]
	s_mov_b32 s0, -1
	s_mov_b32 s1, 0xffffff
	v_cmp_lt_u64_e32 vcc, s[0:1], v[2:3]
	s_and_saveexec_b64 s[0:1], vcc
	s_cbranch_execz .LBB737_734
; %bb.729:
	v_lshrrev_b32_e32 v2, 24, v3
	s_movk_i32 s3, 0x80
	v_cmp_ne_u32_e32 vcc, s3, v2
	v_mov_b32_e32 v7, 0xffff8000
	s_and_saveexec_b64 s[6:7], vcc
	s_cbranch_execz .LBB737_733
; %bb.730:
	v_bfe_u32 v3, v3, 24, 7
	s_movk_i32 s3, 0x7f
	v_cmp_ne_u32_e32 vcc, s3, v3
	v_mov_b32_e32 v7, 0x7f80
	s_and_saveexec_b64 s[8:9], vcc
	s_cbranch_execz .LBB737_732
; %bb.731:
	v_and_b32_e32 v17, 7, v2
	v_ffbh_u32_e32 v6, v17
	v_min_u32_e32 v19, 32, v6
	v_subrev_u32_e32 v6, 28, v19
	v_lshlrev_b64 v[6:7], v6, v[2:3]
	v_lshrrev_b32_e32 v18, 3, v3
	v_sub_u32_e32 v7, 29, v19
	v_and_b32_e32 v6, 7, v6
	v_cmp_gt_u32_e32 vcc, 8, v3
	v_cndmask_b32_e32 v3, v18, v7, vcc
	v_cndmask_b32_e32 v6, v17, v6, vcc
	v_lshlrev_b32_e32 v2, 24, v2
	v_bfrev_b32_e32 v7, 60
	v_lshlrev_b32_e32 v6, 20, v6
	v_and_b32_e32 v2, 0x80000000, v2
	v_lshl_add_u32 v3, v3, 23, v7
	v_or3_b32 v2, v2, v3, v6
	v_lshrrev_b32_e32 v7, 16, v2
.LBB737_732:
	s_or_b64 exec, exec, s[8:9]
.LBB737_733:
	s_or_b64 exec, exec, s[6:7]
.LBB737_734:
	s_or_b64 exec, exec, s[0:1]
	s_mov_b32 s0, 0x5040100
	v_perm_b32 v3, v12, v11, s0
	v_perm_b32 v2, v9, v10, s0
	;; [unrolled: 1-line block ×4, first 2 shown]
	v_mfma_f32_4x4x4bf16_1k a[0:3], v[14:15], v[2:3], a[0:3] cbsz:4 abid:12
	v_mov_b32_e32 v8, 0
	v_mfma_f32_4x4x4bf16_1k a[0:3], v[14:15], v[6:7], a[0:3] cbsz:4 abid:13
	v_mov_b32_e32 v7, 0
	v_cmp_ne_u16_sdwa s[6:7], v4, v7 src0_sel:BYTE_0 src1_sel:DWORD
	s_and_saveexec_b64 s[0:1], s[6:7]
	s_cbranch_execz .LBB737_740
; %bb.735:
	s_movk_i32 s3, 0x80
	v_cmp_ne_u16_sdwa s[8:9], v4, s3 src0_sel:BYTE_0 src1_sel:DWORD
	v_mov_b32_e32 v8, 0xffff8000
	s_and_saveexec_b64 s[6:7], s[8:9]
	s_cbranch_execz .LBB737_739
; %bb.736:
	s_movk_i32 s3, 0x7f
	v_and_b32_e32 v2, 0x7f, v4
	v_cmp_ne_u32_e32 vcc, s3, v2
	v_mov_b32_e32 v8, 0x7f80
	s_and_saveexec_b64 s[8:9], vcc
	s_cbranch_execz .LBB737_738
; %bb.737:
	v_and_b32_e32 v3, 7, v4
	v_ffbh_u32_e32 v3, v3
	v_min_u32_e32 v3, 32, v3
	v_subrev_u32_e32 v8, 28, v3
	v_cmp_gt_u32_e32 vcc, 8, v2
	v_lshrrev_b32_e32 v6, 3, v2
	v_sub_u32_e32 v3, 29, v3
	v_cndmask_b32_e32 v2, 0, v8, vcc
	v_cndmask_b32_e32 v6, v6, v3, vcc
	v_lshlrev_b64 v[2:3], v2, v[4:5]
	v_lshlrev_b32_e32 v2, 20, v2
	v_lshlrev_b32_e32 v3, 24, v4
	v_bfrev_b32_e32 v8, 60
	v_and_b32_e32 v2, 0x700000, v2
	v_and_b32_e32 v3, 0x80000000, v3
	v_lshl_add_u32 v6, v6, 23, v8
	v_or3_b32 v2, v3, v6, v2
	v_lshrrev_b32_e32 v8, 16, v2
.LBB737_738:
	s_or_b64 exec, exec, s[8:9]
.LBB737_739:
	s_or_b64 exec, exec, s[6:7]
.LBB737_740:
	s_or_b64 exec, exec, s[0:1]
	v_lshrrev_b16_e32 v2, 8, v4
	v_cmp_ne_u16_e32 vcc, 0, v2
	s_and_saveexec_b64 s[0:1], vcc
	s_cbranch_execz .LBB737_746
; %bb.741:
	s_movk_i32 s3, 0x80
	v_cmp_ne_u16_e32 vcc, s3, v2
	v_mov_b32_e32 v7, 0xffff8000
	s_and_saveexec_b64 s[6:7], vcc
	s_cbranch_execz .LBB737_745
; %bb.742:
	s_movk_i32 s3, 0x7f
	v_and_b32_e32 v3, 0x7f, v2
	v_cmp_ne_u32_e32 vcc, s3, v3
	v_mov_b32_e32 v7, 0x7f80
	s_and_saveexec_b64 s[8:9], vcc
	s_cbranch_execz .LBB737_744
; %bb.743:
	v_and_b32_e32 v9, 7, v2
	v_ffbh_u32_e32 v6, v9
	v_min_u32_e32 v11, 32, v6
	v_subrev_u32_e32 v6, 28, v11
	v_lshlrev_b64 v[6:7], v6, v[2:3]
	v_lshrrev_b32_e32 v10, 3, v3
	v_sub_u32_e32 v2, 29, v11
	v_and_b32_e32 v6, 7, v6
	v_cmp_gt_u32_e32 vcc, 8, v3
	v_cndmask_b32_e32 v2, v10, v2, vcc
	v_cndmask_b32_e32 v3, v9, v6, vcc
	v_lshlrev_b32_e32 v6, 16, v4
	v_bfrev_b32_e32 v7, 60
	v_lshlrev_b32_e32 v3, 20, v3
	v_and_b32_e32 v6, 0x80000000, v6
	v_lshl_add_u32 v2, v2, 23, v7
	v_or3_b32 v2, v6, v2, v3
	v_lshrrev_b32_e32 v7, 16, v2
.LBB737_744:
	s_or_b64 exec, exec, s[8:9]
.LBB737_745:
	s_or_b64 exec, exec, s[6:7]
.LBB737_746:
	s_or_b64 exec, exec, s[0:1]
	s_movk_i32 s0, 0xff
	v_and_b32_sdwa v6, v4, s0 dst_sel:DWORD dst_unused:UNUSED_PAD src0_sel:WORD_1 src1_sel:DWORD
	v_lshrrev_b32_e32 v2, 16, v4
	v_cmp_ne_u16_e32 vcc, 0, v6
	v_mov_b32_e32 v3, 0
	v_mov_b32_e32 v9, 0
	s_and_saveexec_b64 s[0:1], vcc
	s_cbranch_execz .LBB737_752
; %bb.747:
	s_movk_i32 s3, 0x80
	v_cmp_ne_u16_e32 vcc, s3, v6
	v_mov_b32_e32 v9, 0xffff8000
	s_and_saveexec_b64 s[6:7], vcc
	s_cbranch_execz .LBB737_751
; %bb.748:
	v_bfe_u32 v6, v4, 16, 7
	s_movk_i32 s3, 0x7f
	v_cmp_ne_u32_e32 vcc, s3, v6
	v_mov_b32_e32 v9, 0x7f80
	s_and_saveexec_b64 s[8:9], vcc
	s_cbranch_execz .LBB737_750
; %bb.749:
	v_and_b32_e32 v9, 7, v2
	v_ffbh_u32_e32 v10, v9
	v_min_u32_e32 v13, 32, v10
	v_subrev_u32_e32 v10, 28, v13
	v_lshlrev_b64 v[10:11], v10, v[2:3]
	v_and_b32_e32 v10, 7, v10
	v_cmp_gt_u32_e32 vcc, 8, v6
	v_lshrrev_b32_e32 v12, 3, v6
	v_sub_u32_e32 v2, 29, v13
	v_cndmask_b32_e32 v6, v9, v10, vcc
	v_mov_b32_e32 v9, 24
	v_cndmask_b32_e32 v2, v12, v2, vcc
	v_lshlrev_b32_sdwa v9, v9, v4 dst_sel:DWORD dst_unused:UNUSED_PAD src0_sel:DWORD src1_sel:WORD_1
	v_bfrev_b32_e32 v10, 60
	v_lshlrev_b32_e32 v6, 20, v6
	v_and_b32_e32 v9, 0x80000000, v9
	v_lshl_add_u32 v2, v2, 23, v10
	v_or3_b32 v2, v9, v2, v6
	v_lshrrev_b32_e32 v9, 16, v2
.LBB737_750:
	s_or_b64 exec, exec, s[8:9]
.LBB737_751:
	s_or_b64 exec, exec, s[6:7]
.LBB737_752:
	s_or_b64 exec, exec, s[0:1]
	s_mov_b32 s0, 0xffffff
	v_cmp_lt_u32_e32 vcc, s0, v4
	v_mov_b32_e32 v10, 0
	s_and_saveexec_b64 s[0:1], vcc
	s_cbranch_execz .LBB737_758
; %bb.753:
	v_lshrrev_b32_e32 v2, 24, v4
	s_movk_i32 s3, 0x80
	v_cmp_ne_u32_e32 vcc, s3, v2
	v_mov_b32_e32 v10, 0xffff8000
	s_and_saveexec_b64 s[6:7], vcc
	s_cbranch_execz .LBB737_757
; %bb.754:
	v_bfe_u32 v6, v4, 24, 7
	s_movk_i32 s3, 0x7f
	v_cmp_ne_u32_e32 vcc, s3, v6
	v_mov_b32_e32 v10, 0x7f80
	s_and_saveexec_b64 s[8:9], vcc
	s_cbranch_execz .LBB737_756
; %bb.755:
	v_and_b32_e32 v12, 7, v2
	v_ffbh_u32_e32 v10, v12
	v_min_u32_e32 v16, 32, v10
	v_subrev_u32_e32 v10, 28, v16
	v_lshlrev_b64 v[10:11], v10, v[2:3]
	v_lshrrev_b32_e32 v13, 3, v6
	v_sub_u32_e32 v11, 29, v16
	v_and_b32_e32 v10, 7, v10
	v_cmp_gt_u32_e32 vcc, 8, v6
	v_cndmask_b32_e32 v6, v13, v11, vcc
	v_cndmask_b32_e32 v10, v12, v10, vcc
	v_lshlrev_b32_e32 v2, 24, v2
	v_bfrev_b32_e32 v11, 60
	v_lshlrev_b32_e32 v10, 20, v10
	v_and_b32_e32 v2, 0x80000000, v2
	v_lshl_add_u32 v6, v6, 23, v11
	v_or3_b32 v2, v2, v6, v10
	v_lshrrev_b32_e32 v10, 16, v2
.LBB737_756:
	s_or_b64 exec, exec, s[8:9]
.LBB737_757:
	s_or_b64 exec, exec, s[6:7]
.LBB737_758:
	s_or_b64 exec, exec, s[0:1]
	v_mov_b32_e32 v11, 0
	v_mov_b32_e32 v2, v5
	v_cmp_ne_u16_sdwa s[6:7], v5, v11 src0_sel:BYTE_0 src1_sel:DWORD
	v_mov_b32_e32 v12, 0
	s_and_saveexec_b64 s[0:1], s[6:7]
	s_cbranch_execz .LBB737_764
; %bb.759:
	s_movk_i32 s3, 0x80
	v_cmp_ne_u16_sdwa s[8:9], v5, s3 src0_sel:BYTE_0 src1_sel:DWORD
	v_mov_b32_e32 v12, 0xffff8000
	s_and_saveexec_b64 s[6:7], s[8:9]
	s_cbranch_execz .LBB737_763
; %bb.760:
	s_movk_i32 s3, 0x7f
	v_and_b32_e32 v6, 0x7f, v5
	v_cmp_ne_u32_e32 vcc, s3, v6
	v_mov_b32_e32 v12, 0x7f80
	s_and_saveexec_b64 s[8:9], vcc
	s_cbranch_execz .LBB737_762
; %bb.761:
	v_and_b32_e32 v12, 7, v5
	v_ffbh_u32_e32 v12, v12
	v_min_u32_e32 v12, 32, v12
	v_lshrrev_b32_e32 v13, 3, v6
	v_subrev_u32_e32 v16, 28, v12
	v_sub_u32_e32 v12, 29, v12
	v_cmp_gt_u32_e32 vcc, 8, v6
	v_cndmask_b32_e32 v6, v13, v12, vcc
	v_cndmask_b32_e32 v12, 0, v16, vcc
	v_lshlrev_b64 v[12:13], v12, v[2:3]
	v_lshlrev_b32_e32 v3, 20, v12
	v_lshlrev_b32_e32 v12, 24, v2
	v_bfrev_b32_e32 v13, 60
	v_and_b32_e32 v3, 0x700000, v3
	v_and_b32_e32 v12, 0x80000000, v12
	v_lshl_add_u32 v6, v6, 23, v13
	v_or3_b32 v3, v12, v6, v3
	v_lshrrev_b32_e32 v12, 16, v3
.LBB737_762:
	s_or_b64 exec, exec, s[8:9]
.LBB737_763:
	s_or_b64 exec, exec, s[6:7]
.LBB737_764:
	s_or_b64 exec, exec, s[0:1]
	v_lshrrev_b16_e32 v6, 8, v2
	v_cmp_ne_u16_e32 vcc, 0, v6
	s_and_saveexec_b64 s[0:1], vcc
	s_cbranch_execz .LBB737_770
; %bb.765:
	s_movk_i32 s3, 0x80
	v_cmp_ne_u16_e32 vcc, s3, v6
	v_mov_b32_e32 v11, 0xffff8000
	s_and_saveexec_b64 s[6:7], vcc
	s_cbranch_execz .LBB737_769
; %bb.766:
	s_movk_i32 s3, 0x7f
	v_and_b32_e32 v3, 0x7f, v6
	v_cmp_ne_u32_e32 vcc, s3, v3
	v_mov_b32_e32 v11, 0x7f80
	s_and_saveexec_b64 s[8:9], vcc
	s_cbranch_execz .LBB737_768
; %bb.767:
	v_and_b32_e32 v11, 7, v6
	v_ffbh_u32_e32 v16, v11
	v_min_u32_e32 v18, 32, v16
	v_subrev_u32_e32 v16, 28, v18
	v_lshlrev_b64 v[16:17], v16, v[6:7]
	v_lshrrev_b32_e32 v13, 3, v3
	v_sub_u32_e32 v6, 29, v18
	v_and_b32_e32 v16, 7, v16
	v_cmp_gt_u32_e32 vcc, 8, v3
	v_cndmask_b32_e32 v3, v13, v6, vcc
	v_cndmask_b32_e32 v6, v11, v16, vcc
	v_lshlrev_b32_e32 v2, 16, v2
	v_bfrev_b32_e32 v11, 60
	v_lshlrev_b32_e32 v6, 20, v6
	v_and_b32_e32 v2, 0x80000000, v2
	v_lshl_add_u32 v3, v3, 23, v11
	v_or3_b32 v2, v2, v3, v6
	v_lshrrev_b32_e32 v11, 16, v2
.LBB737_768:
	s_or_b64 exec, exec, s[8:9]
.LBB737_769:
	s_or_b64 exec, exec, s[6:7]
.LBB737_770:
	s_or_b64 exec, exec, s[0:1]
	s_movk_i32 s0, 0xff
	v_and_b32_sdwa v13, v5, s0 dst_sel:DWORD dst_unused:UNUSED_PAD src0_sel:WORD_1 src1_sel:DWORD
	v_lshrrev_b32_e32 v2, 16, v5
	v_cmp_ne_u16_e32 vcc, 0, v13
	v_mov_b32_e32 v3, 0
	v_mov_b32_e32 v6, 0
	s_and_saveexec_b64 s[0:1], vcc
	s_cbranch_execz .LBB737_776
; %bb.771:
	s_movk_i32 s3, 0x80
	v_cmp_ne_u16_e32 vcc, s3, v13
	v_mov_b32_e32 v6, 0xffff8000
	s_and_saveexec_b64 s[6:7], vcc
	s_cbranch_execz .LBB737_775
; %bb.772:
	v_bfe_u32 v13, v5, 16, 7
	s_movk_i32 s3, 0x7f
	v_cmp_ne_u32_e32 vcc, s3, v13
	v_mov_b32_e32 v6, 0x7f80
	s_and_saveexec_b64 s[8:9], vcc
	s_cbranch_execz .LBB737_774
; %bb.773:
	v_and_b32_e32 v6, 7, v2
	v_ffbh_u32_e32 v16, v6
	v_min_u32_e32 v19, 32, v16
	v_subrev_u32_e32 v16, 28, v19
	v_lshlrev_b64 v[16:17], v16, v[2:3]
	v_lshrrev_b32_e32 v18, 3, v13
	v_sub_u32_e32 v2, 29, v19
	v_and_b32_e32 v16, 7, v16
	v_cmp_gt_u32_e32 vcc, 8, v13
	v_mov_b32_e32 v13, 24
	v_cndmask_b32_e32 v2, v18, v2, vcc
	v_cndmask_b32_e32 v6, v6, v16, vcc
	v_lshlrev_b32_sdwa v13, v13, v5 dst_sel:DWORD dst_unused:UNUSED_PAD src0_sel:DWORD src1_sel:WORD_1
	v_bfrev_b32_e32 v16, 60
	v_lshlrev_b32_e32 v6, 20, v6
	v_and_b32_e32 v13, 0x80000000, v13
	v_lshl_add_u32 v2, v2, 23, v16
	v_or3_b32 v2, v13, v2, v6
	v_lshrrev_b32_e32 v6, 16, v2
.LBB737_774:
	s_or_b64 exec, exec, s[8:9]
.LBB737_775:
	s_or_b64 exec, exec, s[6:7]
.LBB737_776:
	s_or_b64 exec, exec, s[0:1]
	s_mov_b32 s0, -1
	s_mov_b32 s1, 0xffffff
	v_cmp_lt_u64_e32 vcc, s[0:1], v[4:5]
	s_and_saveexec_b64 s[0:1], vcc
	s_cbranch_execz .LBB737_782
; %bb.777:
	v_lshrrev_b32_e32 v2, 24, v5
	s_movk_i32 s3, 0x80
	v_cmp_ne_u32_e32 vcc, s3, v2
	v_mov_b32_e32 v3, 0xffff8000
	s_and_saveexec_b64 s[6:7], vcc
	s_cbranch_execz .LBB737_781
; %bb.778:
	v_bfe_u32 v4, v5, 24, 7
	s_movk_i32 s3, 0x7f
	v_cmp_ne_u32_e32 vcc, s3, v4
	v_mov_b32_e32 v3, 0x7f80
	s_and_saveexec_b64 s[8:9], vcc
	s_cbranch_execz .LBB737_780
; %bb.779:
	v_and_b32_e32 v3, 7, v2
	v_ffbh_u32_e32 v13, v3
	v_min_u32_e32 v13, 32, v13
	v_subrev_u32_e32 v16, 28, v13
	v_lshlrev_b64 v[16:17], v16, v[2:3]
	v_lshrrev_b32_e32 v5, 3, v4
	v_sub_u32_e32 v13, 29, v13
	v_and_b32_e32 v16, 7, v16
	v_cmp_gt_u32_e32 vcc, 8, v4
	v_cndmask_b32_e32 v4, v5, v13, vcc
	v_cndmask_b32_e32 v3, v3, v16, vcc
	v_lshlrev_b32_e32 v2, 24, v2
	v_bfrev_b32_e32 v5, 60
	v_lshlrev_b32_e32 v3, 20, v3
	v_and_b32_e32 v2, 0x80000000, v2
	v_lshl_add_u32 v4, v4, 23, v5
	v_or3_b32 v2, v2, v4, v3
	v_lshrrev_b32_e32 v3, 16, v2
.LBB737_780:
	s_or_b64 exec, exec, s[8:9]
.LBB737_781:
	s_or_b64 exec, exec, s[6:7]
.LBB737_782:
	s_or_b64 exec, exec, s[0:1]
	s_mov_b32 s0, 0x5040100
	v_perm_b32 v5, v10, v9, s0
	v_perm_b32 v4, v7, v8, s0
	;; [unrolled: 1-line block ×4, first 2 shown]
	v_mfma_f32_4x4x4bf16_1k a[0:3], v[14:15], v[4:5], a[0:3] cbsz:4 abid:14
	s_load_dword s0, s[14:15], 0x0
	v_mfma_f32_4x4x4bf16_1k a[0:3], v[14:15], v[2:3], a[0:3] cbsz:4 abid:15
	s_nop 4
	v_accvgpr_read_b32 v5, a1
	v_accvgpr_read_b32 v4, a0
	v_accvgpr_read_b32 v3, a3
	v_accvgpr_read_b32 v2, a2
	s_waitcnt lgkmcnt(0)
	v_pk_mul_f32 v[4:5], v[4:5], s[0:1] op_sel_hi:[1,0]
	v_pk_mul_f32 v[2:3], v[2:3], s[0:1] op_sel_hi:[1,0]
	v_bfe_u32 v6, v5, 16, 1
	v_bfe_u32 v7, v4, 16, 1
	s_movk_i32 s0, 0x7fff
	v_add3_u32 v4, v4, v7, s0
	v_add3_u32 v5, v5, v6, s0
	v_bfe_u32 v6, v3, 16, 1
	v_bfe_u32 v7, v2, 16, 1
	v_add3_u32 v2, v2, v7, s0
	v_add3_u32 v3, v3, v6, s0
	s_mov_b32 s0, 0x7060302
	v_perm_b32 v23, v3, v2, s0
	v_perm_b32 v22, v5, v4, s0
.LBB737_783:
	s_or_b64 exec, exec, s[4:5]
	v_lshlrev_b32_e32 v1, 3, v1
	v_mad_u32_u24 v1, v42, 40, v1
	v_cmp_gt_u32_e32 vcc, 64, v0
	ds_write_b64 v1, v[22:23]
	s_waitcnt lgkmcnt(0)
	s_barrier
	s_and_saveexec_b64 s[0:1], vcc
	s_cbranch_execz .LBB737_785
; %bb.784:
	v_mul_u32_u24_e32 v1, 40, v42
	s_waitcnt vmcnt(3)
	ds_read2_b64 v[2:5], v1 offset1:1
	s_waitcnt vmcnt(2)
	ds_read2_b64 v[6:9], v1 offset0:2 offset1:3
	s_mov_b32 s1, 0
	s_lshl_b32 s0, s2, 6
	s_lshl_b64 s[2:3], s[0:1], 1
	s_waitcnt lgkmcnt(1)
	v_lshlrev_b32_e32 v1, 16, v2
	v_and_b32_e32 v2, 0xffff0000, v2
	v_add_f32_e32 v1, 0, v1
	v_add_f32_e32 v2, 0, v2
	v_lshlrev_b32_e32 v10, 16, v3
	v_and_b32_e32 v3, 0xffff0000, v3
	v_and_b32_e32 v1, 0xffff0000, v1
	;; [unrolled: 1-line block ×3, first 2 shown]
	v_add_f32_e32 v3, 0, v3
	v_lshlrev_b32_e32 v11, 16, v4
	v_and_b32_e32 v4, 0xffff0000, v4
	v_add_f32_e32 v10, 0, v10
	v_and_b32_e32 v3, 0xffff0000, v3
	v_add_f32_e32 v1, v1, v11
	v_add_f32_e32 v2, v2, v4
	v_lshlrev_b32_e32 v4, 16, v5
	v_and_b32_e32 v5, 0xffff0000, v5
	v_and_b32_e32 v10, 0xffff0000, v10
	;; [unrolled: 1-line block ×3, first 2 shown]
	v_add_f32_e32 v3, v3, v5
	s_waitcnt lgkmcnt(0)
	v_lshlrev_b32_e32 v5, 16, v6
	v_and_b32_e32 v2, 0xffff0000, v2
	v_add_f32_e32 v4, v10, v4
	v_add_f32_e32 v1, v1, v5
	v_and_b32_e32 v5, 0xffff0000, v6
	v_and_b32_e32 v4, 0xffff0000, v4
	v_add_f32_e32 v2, v2, v5
	v_lshlrev_b32_e32 v5, 16, v7
	s_add_u32 s2, s30, s2
	v_and_b32_e32 v3, 0xffff0000, v3
	v_add_f32_e32 v4, v4, v5
	v_and_b32_e32 v5, 0xffff0000, v7
	s_addc_u32 s3, s31, s3
	s_lshl_b32 s0, s28, 6
	v_and_b32_e32 v1, 0xffff0000, v1
	v_add_f32_e32 v3, v3, v5
	v_lshlrev_b32_e32 v5, 16, v8
	s_lshl_b64 s[0:1], s[0:1], 1
	v_and_b32_e32 v2, 0xffff0000, v2
	v_add_f32_e32 v1, v1, v5
	v_and_b32_e32 v5, 0xffff0000, v8
	s_add_u32 s0, s2, s0
	v_and_b32_e32 v4, 0xffff0000, v4
	v_add_f32_e32 v6, v2, v5
	v_lshlrev_b32_e32 v2, 16, v9
	s_addc_u32 s1, s3, s1
	s_lshl_b32 s2, s33, 6
	v_and_b32_e32 v3, 0xffff0000, v3
	v_add_f32_e32 v7, v4, v2
	v_and_b32_e32 v2, 0xffff0000, v9
	s_mul_i32 s3, s2, s10
	v_add_f32_e32 v8, v3, v2
	v_or_b32_e32 v2, s3, v0
	v_mov_b32_e32 v3, 0
	v_lshlrev_b64 v[4:5], 1, v[2:3]
	v_mov_b32_e32 v2, s1
	v_add_co_u32_e32 v4, vcc, s0, v4
	s_add_i32 s3, s3, s2
	v_addc_co_u32_e32 v5, vcc, v2, v5, vcc
	v_or_b32_e32 v2, s3, v0
	global_store_short_d16_hi v[4:5], v1, off
	v_lshlrev_b64 v[4:5], 1, v[2:3]
	v_mov_b32_e32 v1, s1
	v_add_co_u32_e32 v4, vcc, s0, v4
	s_add_i32 s3, s3, s2
	v_addc_co_u32_e32 v5, vcc, v1, v5, vcc
	v_or_b32_e32 v2, s3, v0
	global_store_short_d16_hi v[4:5], v6, off
	v_lshlrev_b64 v[4:5], 1, v[2:3]
	s_add_i32 s3, s3, s2
	v_add_co_u32_e32 v4, vcc, s0, v4
	v_or_b32_e32 v2, s3, v0
	v_addc_co_u32_e32 v5, vcc, v1, v5, vcc
	v_lshlrev_b64 v[0:1], 1, v[2:3]
	v_mov_b32_e32 v2, s1
	v_add_co_u32_e32 v0, vcc, s0, v0
	v_addc_co_u32_e32 v1, vcc, v2, v1, vcc
	global_store_short_d16_hi v[4:5], v7, off
	global_store_short_d16_hi v[0:1], v8, off
.LBB737_785:
	s_endpgm
.LBB737_786:
	s_mov_b64 s[12:13], 0
                                        ; implicit-def: $sgpr38_sgpr39
	s_branch .LBB737_2
	.section	.rodata,"a",@progbits
	.p2align	6, 0x0
	.amdhsa_kernel _Z38paged_attention_ll4mi_QKV_mfma4_kernelI14__hip_bfloat16hLN4vllm18Fp8KVCacheDataTypeE1ES0_Li32ELi64ELi256ELb0ELi4EEvPKT_PKT0_S8_ifPKiSA_SA_iPKfiiiPfSD_PS3_PT2_iSC_SC_
		.amdhsa_group_segment_fixed_size 2720
		.amdhsa_private_segment_fixed_size 0
		.amdhsa_kernarg_size 400
		.amdhsa_user_sgpr_count 6
		.amdhsa_user_sgpr_private_segment_buffer 1
		.amdhsa_user_sgpr_dispatch_ptr 0
		.amdhsa_user_sgpr_queue_ptr 0
		.amdhsa_user_sgpr_kernarg_segment_ptr 1
		.amdhsa_user_sgpr_dispatch_id 0
		.amdhsa_user_sgpr_flat_scratch_init 0
		.amdhsa_user_sgpr_kernarg_preload_length 0
		.amdhsa_user_sgpr_kernarg_preload_offset 0
		.amdhsa_user_sgpr_private_segment_size 0
		.amdhsa_uses_dynamic_stack 0
		.amdhsa_system_sgpr_private_segment_wavefront_offset 0
		.amdhsa_system_sgpr_workgroup_id_x 1
		.amdhsa_system_sgpr_workgroup_id_y 1
		.amdhsa_system_sgpr_workgroup_id_z 1
		.amdhsa_system_sgpr_workgroup_info 0
		.amdhsa_system_vgpr_workitem_id 0
		.amdhsa_next_free_vgpr 60
		.amdhsa_next_free_sgpr 44
		.amdhsa_accum_offset 56
		.amdhsa_reserve_vcc 1
		.amdhsa_reserve_flat_scratch 0
		.amdhsa_float_round_mode_32 0
		.amdhsa_float_round_mode_16_64 0
		.amdhsa_float_denorm_mode_32 3
		.amdhsa_float_denorm_mode_16_64 3
		.amdhsa_dx10_clamp 1
		.amdhsa_ieee_mode 1
		.amdhsa_fp16_overflow 0
		.amdhsa_tg_split 0
		.amdhsa_exception_fp_ieee_invalid_op 0
		.amdhsa_exception_fp_denorm_src 0
		.amdhsa_exception_fp_ieee_div_zero 0
		.amdhsa_exception_fp_ieee_overflow 0
		.amdhsa_exception_fp_ieee_underflow 0
		.amdhsa_exception_fp_ieee_inexact 0
		.amdhsa_exception_int_div_zero 0
	.end_amdhsa_kernel
	.section	.text._Z38paged_attention_ll4mi_QKV_mfma4_kernelI14__hip_bfloat16hLN4vllm18Fp8KVCacheDataTypeE1ES0_Li32ELi64ELi256ELb0ELi4EEvPKT_PKT0_S8_ifPKiSA_SA_iPKfiiiPfSD_PS3_PT2_iSC_SC_,"axG",@progbits,_Z38paged_attention_ll4mi_QKV_mfma4_kernelI14__hip_bfloat16hLN4vllm18Fp8KVCacheDataTypeE1ES0_Li32ELi64ELi256ELb0ELi4EEvPKT_PKT0_S8_ifPKiSA_SA_iPKfiiiPfSD_PS3_PT2_iSC_SC_,comdat
.Lfunc_end737:
	.size	_Z38paged_attention_ll4mi_QKV_mfma4_kernelI14__hip_bfloat16hLN4vllm18Fp8KVCacheDataTypeE1ES0_Li32ELi64ELi256ELb0ELi4EEvPKT_PKT0_S8_ifPKiSA_SA_iPKfiiiPfSD_PS3_PT2_iSC_SC_, .Lfunc_end737-_Z38paged_attention_ll4mi_QKV_mfma4_kernelI14__hip_bfloat16hLN4vllm18Fp8KVCacheDataTypeE1ES0_Li32ELi64ELi256ELb0ELi4EEvPKT_PKT0_S8_ifPKiSA_SA_iPKfiiiPfSD_PS3_PT2_iSC_SC_
                                        ; -- End function
	.section	.AMDGPU.csdata,"",@progbits
; Kernel info:
; codeLenInByte = 27736
; NumSgprs: 48
; NumVgprs: 55
; NumAgprs: 4
; TotalNumVgprs: 60
; ScratchSize: 0
; MemoryBound: 0
; FloatMode: 240
; IeeeMode: 1
; LDSByteSize: 2720 bytes/workgroup (compile time only)
; SGPRBlocks: 5
; VGPRBlocks: 7
; NumSGPRsForWavesPerEU: 48
; NumVGPRsForWavesPerEU: 60
; AccumOffset: 56
; Occupancy: 8
; WaveLimiterHint : 1
; COMPUTE_PGM_RSRC2:SCRATCH_EN: 0
; COMPUTE_PGM_RSRC2:USER_SGPR: 6
; COMPUTE_PGM_RSRC2:TRAP_HANDLER: 0
; COMPUTE_PGM_RSRC2:TGID_X_EN: 1
; COMPUTE_PGM_RSRC2:TGID_Y_EN: 1
; COMPUTE_PGM_RSRC2:TGID_Z_EN: 1
; COMPUTE_PGM_RSRC2:TIDIG_COMP_CNT: 0
; COMPUTE_PGM_RSRC3_GFX90A:ACCUM_OFFSET: 13
; COMPUTE_PGM_RSRC3_GFX90A:TG_SPLIT: 0
	.section	.text._Z39paged_attention_ll4mi_QKV_mfma16_kernelI14__hip_bfloat16hLN4vllm18Fp8KVCacheDataTypeE1ES0_Li32ELi64ELi256ELb0ELi5EL8MFMAType1EEvPKT_PKT0_S9_ifPKiSB_SB_iPKfiiiPfSE_PS4_PT2_iSD_SD_,"axG",@progbits,_Z39paged_attention_ll4mi_QKV_mfma16_kernelI14__hip_bfloat16hLN4vllm18Fp8KVCacheDataTypeE1ES0_Li32ELi64ELi256ELb0ELi5EL8MFMAType1EEvPKT_PKT0_S9_ifPKiSB_SB_iPKfiiiPfSE_PS4_PT2_iSD_SD_,comdat
	.protected	_Z39paged_attention_ll4mi_QKV_mfma16_kernelI14__hip_bfloat16hLN4vllm18Fp8KVCacheDataTypeE1ES0_Li32ELi64ELi256ELb0ELi5EL8MFMAType1EEvPKT_PKT0_S9_ifPKiSB_SB_iPKfiiiPfSE_PS4_PT2_iSD_SD_ ; -- Begin function _Z39paged_attention_ll4mi_QKV_mfma16_kernelI14__hip_bfloat16hLN4vllm18Fp8KVCacheDataTypeE1ES0_Li32ELi64ELi256ELb0ELi5EL8MFMAType1EEvPKT_PKT0_S9_ifPKiSB_SB_iPKfiiiPfSE_PS4_PT2_iSD_SD_
	.globl	_Z39paged_attention_ll4mi_QKV_mfma16_kernelI14__hip_bfloat16hLN4vllm18Fp8KVCacheDataTypeE1ES0_Li32ELi64ELi256ELb0ELi5EL8MFMAType1EEvPKT_PKT0_S9_ifPKiSB_SB_iPKfiiiPfSE_PS4_PT2_iSD_SD_
	.p2align	8
	.type	_Z39paged_attention_ll4mi_QKV_mfma16_kernelI14__hip_bfloat16hLN4vllm18Fp8KVCacheDataTypeE1ES0_Li32ELi64ELi256ELb0ELi5EL8MFMAType1EEvPKT_PKT0_S9_ifPKiSB_SB_iPKfiiiPfSE_PS4_PT2_iSD_SD_,@function
_Z39paged_attention_ll4mi_QKV_mfma16_kernelI14__hip_bfloat16hLN4vllm18Fp8KVCacheDataTypeE1ES0_Li32ELi64ELi256ELb0ELi5EL8MFMAType1EEvPKT_PKT0_S9_ifPKiSB_SB_iPKfiiiPfSE_PS4_PT2_iSD_SD_: ; @_Z39paged_attention_ll4mi_QKV_mfma16_kernelI14__hip_bfloat16hLN4vllm18Fp8KVCacheDataTypeE1ES0_Li32ELi64ELi256ELb0ELi5EL8MFMAType1EEvPKT_PKT0_S9_ifPKiSB_SB_iPKfiiiPfSE_PS4_PT2_iSD_SD_
; %bb.0:
	s_load_dwordx2 s[12:13], s[4:5], 0x30
	s_add_u32 flat_scratch_lo, s6, s11
	s_addc_u32 flat_scratch_hi, s7, 0
	s_add_u32 s0, s0, s11
	s_addc_u32 s1, s1, 0
	s_waitcnt lgkmcnt(0)
	s_cmp_lg_u64 s[12:13], 0
	s_cselect_b64 s[14:15], -1, 0
	s_mov_b32 s6, s9
	s_mov_b64 s[16:17], 0
	s_and_b64 vcc, exec, s[14:15]
	s_mov_b32 s32, 0
	s_cbranch_vccz .LBB738_11
; %bb.1:
	s_add_i32 s18, s8, 1
	s_mov_b32 s19, 0
	s_lshl_b64 s[20:21], s[18:19], 2
	s_add_u32 s20, s12, s20
	s_mov_b32 s9, s19
	s_addc_u32 s21, s13, s21
	s_lshl_b64 s[18:19], s[8:9], 2
	s_add_u32 s18, s12, s18
	s_addc_u32 s19, s13, s19
	s_load_dword s7, s[20:21], 0x0
	s_load_dword s11, s[18:19], 0x0
	s_waitcnt lgkmcnt(0)
	s_sub_i32 s7, s7, s11
	s_cmp_eq_u32 s7, 1
	s_cselect_b64 s[18:19], -1, 0
	s_andn2_b64 vcc, exec, s[16:17]
	s_cbranch_vccnz .LBB738_3
.LBB738_2:
	s_mov_b32 s9, 0
	s_mov_b64 s[18:19], -1
.LBB738_3:
	s_andn2_b64 vcc, exec, s[18:19]
	s_cbranch_vccnz .LBB738_10
; %bb.4:
	s_load_dwordx2 s[18:19], s[4:5], 0x28
	s_lshl_b64 s[16:17], s[8:9], 2
	s_waitcnt lgkmcnt(0)
	s_add_u32 s18, s18, s16
	s_addc_u32 s19, s19, s17
	s_load_dword s7, s[18:19], 0x0
	s_lshl_b32 s6, s6, 8
	s_waitcnt lgkmcnt(0)
	s_cmp_ge_i32 s6, s7
	s_cbranch_scc1 .LBB738_10
; %bb.5:
	s_andn2_b64 vcc, exec, s[14:15]
	s_cbranch_vccnz .LBB738_7
; %bb.6:
	s_add_u32 s6, s12, s16
	s_addc_u32 s7, s13, s17
	s_load_dword s8, s[6:7], 0x0
.LBB738_7:
	v_and_b32_e32 v1, 15, v0
	s_movk_i32 s6, 0x50
	v_cmp_gt_u32_e32 vcc, s6, v0
	v_cmp_gt_u32_e64 s[6:7], 8, v1
	s_and_b64 s[12:13], s[6:7], vcc
	s_and_saveexec_b64 s[6:7], s[12:13]
	s_cbranch_execz .LBB738_9
; %bb.8:
	s_load_dword s11, s[4:5], 0x48
	s_load_dwordx2 s[12:13], s[4:5], 0x0
	v_lshrrev_b32_e32 v6, 4, v0
	s_mul_i32 s10, s10, 5
	v_add_lshl_u32 v2, v6, s10, 6
	s_waitcnt lgkmcnt(0)
	s_ashr_i32 s9, s11, 31
	s_mul_hi_u32 s14, s8, s11
	s_mul_i32 s9, s8, s9
	s_add_i32 s9, s14, s9
	s_mul_i32 s8, s8, s11
	s_lshl_b64 s[8:9], s[8:9], 1
	s_add_u32 s8, s12, s8
	v_ashrrev_i32_e32 v3, 31, v2
	s_addc_u32 s9, s13, s9
	v_lshlrev_b64 v[2:3], 1, v[2:3]
	v_mov_b32_e32 v4, s9
	v_add_co_u32_e32 v2, vcc, s8, v2
	v_addc_co_u32_e32 v3, vcc, v4, v3, vcc
	v_lshlrev_b32_e32 v4, 4, v1
	v_add_co_u32_e32 v2, vcc, v2, v4
	v_addc_co_u32_e32 v3, vcc, 0, v3, vcc
	global_load_dwordx4 v[2:5], v[2:3], off
	v_lshlrev_b32_e32 v0, 4, v0
	v_lshlrev_b32_e32 v1, 8, v1
	v_and_b32_e32 v0, 16, v0
	v_lshlrev_b32_e32 v6, 5, v6
	v_and_b32_e32 v1, 0xe00, v1
	v_or3_b32 v0, v1, v6, v0
	s_waitcnt vmcnt(0)
	ds_write_b128 v0, v[2:5]
.LBB738_9:
	s_or_b64 exec, exec, s[6:7]
	s_waitcnt lgkmcnt(0)
	s_add_u32 s8, s4, 0x90
	s_addc_u32 s9, s5, 0
	s_getpc_b64 s[4:5]
	s_add_u32 s4, s4, __PRETTY_FUNCTION__._Z39paged_attention_ll4mi_QKV_mfma16_kernelI14__hip_bfloat16hLN4vllm18Fp8KVCacheDataTypeE1ES0_Li32ELi64ELi256ELb0ELi5EL8MFMAType1EEvPKT_PKT0_S9_ifPKiSB_SB_iPKfiiiPfSE_PS4_PT2_iSD_SD_@rel32@lo+4
	s_addc_u32 s5, s5, __PRETTY_FUNCTION__._Z39paged_attention_ll4mi_QKV_mfma16_kernelI14__hip_bfloat16hLN4vllm18Fp8KVCacheDataTypeE1ES0_Li32ELi64ELi256ELb0ELi5EL8MFMAType1EEvPKT_PKT0_S9_ifPKiSB_SB_iPKfiiiPfSE_PS4_PT2_iSD_SD_@rel32@hi+12
	v_mov_b32_e32 v0, 0x288
	v_mov_b32_e32 v1, s4
	;; [unrolled: 1-line block ×3, first 2 shown]
	s_barrier
	s_getpc_b64 s[6:7]
	s_add_u32 s6, s6, __assert_fail@rel32@lo+4
	s_addc_u32 s7, s7, __assert_fail@rel32@hi+12
	s_swappc_b64 s[30:31], s[6:7]
	; divergent unreachable
.LBB738_10:
	s_endpgm
.LBB738_11:
	s_mov_b64 s[18:19], 0
	s_branch .LBB738_2
	.section	.rodata,"a",@progbits
	.p2align	6, 0x0
	.amdhsa_kernel _Z39paged_attention_ll4mi_QKV_mfma16_kernelI14__hip_bfloat16hLN4vllm18Fp8KVCacheDataTypeE1ES0_Li32ELi64ELi256ELb0ELi5EL8MFMAType1EEvPKT_PKT0_S9_ifPKiSB_SB_iPKfiiiPfSE_PS4_PT2_iSD_SD_
		.amdhsa_group_segment_fixed_size 8192
		.amdhsa_private_segment_fixed_size 64
		.amdhsa_kernarg_size 400
		.amdhsa_user_sgpr_count 8
		.amdhsa_user_sgpr_private_segment_buffer 1
		.amdhsa_user_sgpr_dispatch_ptr 0
		.amdhsa_user_sgpr_queue_ptr 0
		.amdhsa_user_sgpr_kernarg_segment_ptr 1
		.amdhsa_user_sgpr_dispatch_id 0
		.amdhsa_user_sgpr_flat_scratch_init 1
		.amdhsa_user_sgpr_kernarg_preload_length 0
		.amdhsa_user_sgpr_kernarg_preload_offset 0
		.amdhsa_user_sgpr_private_segment_size 0
		.amdhsa_uses_dynamic_stack 0
		.amdhsa_system_sgpr_private_segment_wavefront_offset 1
		.amdhsa_system_sgpr_workgroup_id_x 1
		.amdhsa_system_sgpr_workgroup_id_y 1
		.amdhsa_system_sgpr_workgroup_id_z 1
		.amdhsa_system_sgpr_workgroup_info 0
		.amdhsa_system_vgpr_workitem_id 0
		.amdhsa_next_free_vgpr 45
		.amdhsa_next_free_sgpr 34
		.amdhsa_accum_offset 44
		.amdhsa_reserve_vcc 1
		.amdhsa_reserve_flat_scratch 1
		.amdhsa_float_round_mode_32 0
		.amdhsa_float_round_mode_16_64 0
		.amdhsa_float_denorm_mode_32 3
		.amdhsa_float_denorm_mode_16_64 3
		.amdhsa_dx10_clamp 1
		.amdhsa_ieee_mode 1
		.amdhsa_fp16_overflow 0
		.amdhsa_tg_split 0
		.amdhsa_exception_fp_ieee_invalid_op 0
		.amdhsa_exception_fp_denorm_src 0
		.amdhsa_exception_fp_ieee_div_zero 0
		.amdhsa_exception_fp_ieee_overflow 0
		.amdhsa_exception_fp_ieee_underflow 0
		.amdhsa_exception_fp_ieee_inexact 0
		.amdhsa_exception_int_div_zero 0
	.end_amdhsa_kernel
	.section	.text._Z39paged_attention_ll4mi_QKV_mfma16_kernelI14__hip_bfloat16hLN4vllm18Fp8KVCacheDataTypeE1ES0_Li32ELi64ELi256ELb0ELi5EL8MFMAType1EEvPKT_PKT0_S9_ifPKiSB_SB_iPKfiiiPfSE_PS4_PT2_iSD_SD_,"axG",@progbits,_Z39paged_attention_ll4mi_QKV_mfma16_kernelI14__hip_bfloat16hLN4vllm18Fp8KVCacheDataTypeE1ES0_Li32ELi64ELi256ELb0ELi5EL8MFMAType1EEvPKT_PKT0_S9_ifPKiSB_SB_iPKfiiiPfSE_PS4_PT2_iSD_SD_,comdat
.Lfunc_end738:
	.size	_Z39paged_attention_ll4mi_QKV_mfma16_kernelI14__hip_bfloat16hLN4vllm18Fp8KVCacheDataTypeE1ES0_Li32ELi64ELi256ELb0ELi5EL8MFMAType1EEvPKT_PKT0_S9_ifPKiSB_SB_iPKfiiiPfSE_PS4_PT2_iSD_SD_, .Lfunc_end738-_Z39paged_attention_ll4mi_QKV_mfma16_kernelI14__hip_bfloat16hLN4vllm18Fp8KVCacheDataTypeE1ES0_Li32ELi64ELi256ELb0ELi5EL8MFMAType1EEvPKT_PKT0_S9_ifPKiSB_SB_iPKfiiiPfSE_PS4_PT2_iSD_SD_
                                        ; -- End function
	.section	.AMDGPU.csdata,"",@progbits
; Kernel info:
; codeLenInByte = 504
; NumSgprs: 40
; NumVgprs: 42
; NumAgprs: 1
; TotalNumVgprs: 45
; ScratchSize: 64
; MemoryBound: 0
; FloatMode: 240
; IeeeMode: 1
; LDSByteSize: 8192 bytes/workgroup (compile time only)
; SGPRBlocks: 4
; VGPRBlocks: 5
; NumSGPRsForWavesPerEU: 40
; NumVGPRsForWavesPerEU: 45
; AccumOffset: 44
; Occupancy: 8
; WaveLimiterHint : 1
; COMPUTE_PGM_RSRC2:SCRATCH_EN: 1
; COMPUTE_PGM_RSRC2:USER_SGPR: 8
; COMPUTE_PGM_RSRC2:TRAP_HANDLER: 0
; COMPUTE_PGM_RSRC2:TGID_X_EN: 1
; COMPUTE_PGM_RSRC2:TGID_Y_EN: 1
; COMPUTE_PGM_RSRC2:TGID_Z_EN: 1
; COMPUTE_PGM_RSRC2:TIDIG_COMP_CNT: 0
; COMPUTE_PGM_RSRC3_GFX90A:ACCUM_OFFSET: 10
; COMPUTE_PGM_RSRC3_GFX90A:TG_SPLIT: 0
	.section	.text._Z39paged_attention_ll4mi_QKV_mfma16_kernelI14__hip_bfloat16hLN4vllm18Fp8KVCacheDataTypeE1ES0_Li32ELi64ELi256ELb0ELi6EL8MFMAType1EEvPKT_PKT0_S9_ifPKiSB_SB_iPKfiiiPfSE_PS4_PT2_iSD_SD_,"axG",@progbits,_Z39paged_attention_ll4mi_QKV_mfma16_kernelI14__hip_bfloat16hLN4vllm18Fp8KVCacheDataTypeE1ES0_Li32ELi64ELi256ELb0ELi6EL8MFMAType1EEvPKT_PKT0_S9_ifPKiSB_SB_iPKfiiiPfSE_PS4_PT2_iSD_SD_,comdat
	.protected	_Z39paged_attention_ll4mi_QKV_mfma16_kernelI14__hip_bfloat16hLN4vllm18Fp8KVCacheDataTypeE1ES0_Li32ELi64ELi256ELb0ELi6EL8MFMAType1EEvPKT_PKT0_S9_ifPKiSB_SB_iPKfiiiPfSE_PS4_PT2_iSD_SD_ ; -- Begin function _Z39paged_attention_ll4mi_QKV_mfma16_kernelI14__hip_bfloat16hLN4vllm18Fp8KVCacheDataTypeE1ES0_Li32ELi64ELi256ELb0ELi6EL8MFMAType1EEvPKT_PKT0_S9_ifPKiSB_SB_iPKfiiiPfSE_PS4_PT2_iSD_SD_
	.globl	_Z39paged_attention_ll4mi_QKV_mfma16_kernelI14__hip_bfloat16hLN4vllm18Fp8KVCacheDataTypeE1ES0_Li32ELi64ELi256ELb0ELi6EL8MFMAType1EEvPKT_PKT0_S9_ifPKiSB_SB_iPKfiiiPfSE_PS4_PT2_iSD_SD_
	.p2align	8
	.type	_Z39paged_attention_ll4mi_QKV_mfma16_kernelI14__hip_bfloat16hLN4vllm18Fp8KVCacheDataTypeE1ES0_Li32ELi64ELi256ELb0ELi6EL8MFMAType1EEvPKT_PKT0_S9_ifPKiSB_SB_iPKfiiiPfSE_PS4_PT2_iSD_SD_,@function
_Z39paged_attention_ll4mi_QKV_mfma16_kernelI14__hip_bfloat16hLN4vllm18Fp8KVCacheDataTypeE1ES0_Li32ELi64ELi256ELb0ELi6EL8MFMAType1EEvPKT_PKT0_S9_ifPKiSB_SB_iPKfiiiPfSE_PS4_PT2_iSD_SD_: ; @_Z39paged_attention_ll4mi_QKV_mfma16_kernelI14__hip_bfloat16hLN4vllm18Fp8KVCacheDataTypeE1ES0_Li32ELi64ELi256ELb0ELi6EL8MFMAType1EEvPKT_PKT0_S9_ifPKiSB_SB_iPKfiiiPfSE_PS4_PT2_iSD_SD_
; %bb.0:
	s_load_dwordx2 s[12:13], s[4:5], 0x30
	s_add_u32 flat_scratch_lo, s6, s11
	s_addc_u32 flat_scratch_hi, s7, 0
	s_add_u32 s0, s0, s11
	s_addc_u32 s1, s1, 0
	s_waitcnt lgkmcnt(0)
	s_cmp_lg_u64 s[12:13], 0
	s_cselect_b64 s[14:15], -1, 0
	s_mov_b32 s6, s9
	s_mov_b64 s[16:17], 0
	s_and_b64 vcc, exec, s[14:15]
	s_mov_b32 s32, 0
	s_cbranch_vccz .LBB739_11
; %bb.1:
	s_add_i32 s18, s8, 1
	s_mov_b32 s19, 0
	s_lshl_b64 s[20:21], s[18:19], 2
	s_add_u32 s20, s12, s20
	s_mov_b32 s9, s19
	s_addc_u32 s21, s13, s21
	s_lshl_b64 s[18:19], s[8:9], 2
	s_add_u32 s18, s12, s18
	s_addc_u32 s19, s13, s19
	s_load_dword s7, s[20:21], 0x0
	s_load_dword s11, s[18:19], 0x0
	s_waitcnt lgkmcnt(0)
	s_sub_i32 s7, s7, s11
	s_cmp_eq_u32 s7, 1
	s_cselect_b64 s[18:19], -1, 0
	s_andn2_b64 vcc, exec, s[16:17]
	s_cbranch_vccnz .LBB739_3
.LBB739_2:
	s_mov_b32 s9, 0
	s_mov_b64 s[18:19], -1
.LBB739_3:
	s_andn2_b64 vcc, exec, s[18:19]
	s_cbranch_vccnz .LBB739_10
; %bb.4:
	s_load_dwordx2 s[18:19], s[4:5], 0x28
	s_lshl_b64 s[16:17], s[8:9], 2
	s_waitcnt lgkmcnt(0)
	s_add_u32 s18, s18, s16
	s_addc_u32 s19, s19, s17
	s_load_dword s7, s[18:19], 0x0
	s_lshl_b32 s6, s6, 8
	s_waitcnt lgkmcnt(0)
	s_cmp_ge_i32 s6, s7
	s_cbranch_scc1 .LBB739_10
; %bb.5:
	s_andn2_b64 vcc, exec, s[14:15]
	s_cbranch_vccnz .LBB739_7
; %bb.6:
	s_add_u32 s6, s12, s16
	s_addc_u32 s7, s13, s17
	s_load_dword s8, s[6:7], 0x0
.LBB739_7:
	v_and_b32_e32 v1, 15, v0
	s_movk_i32 s6, 0x60
	v_cmp_gt_u32_e32 vcc, s6, v0
	v_cmp_gt_u32_e64 s[6:7], 8, v1
	s_and_b64 s[12:13], s[6:7], vcc
	s_and_saveexec_b64 s[6:7], s[12:13]
	s_cbranch_execz .LBB739_9
; %bb.8:
	s_load_dword s11, s[4:5], 0x48
	s_load_dwordx2 s[12:13], s[4:5], 0x0
	v_lshrrev_b32_e32 v6, 4, v0
	s_mul_i32 s10, s10, 6
	v_add_lshl_u32 v2, v6, s10, 6
	s_waitcnt lgkmcnt(0)
	s_ashr_i32 s9, s11, 31
	s_mul_hi_u32 s14, s8, s11
	s_mul_i32 s9, s8, s9
	s_add_i32 s9, s14, s9
	s_mul_i32 s8, s8, s11
	s_lshl_b64 s[8:9], s[8:9], 1
	s_add_u32 s8, s12, s8
	v_ashrrev_i32_e32 v3, 31, v2
	s_addc_u32 s9, s13, s9
	v_lshlrev_b64 v[2:3], 1, v[2:3]
	v_mov_b32_e32 v4, s9
	v_add_co_u32_e32 v2, vcc, s8, v2
	v_addc_co_u32_e32 v3, vcc, v4, v3, vcc
	v_lshlrev_b32_e32 v4, 4, v1
	v_add_co_u32_e32 v2, vcc, v2, v4
	v_addc_co_u32_e32 v3, vcc, 0, v3, vcc
	global_load_dwordx4 v[2:5], v[2:3], off
	v_lshlrev_b32_e32 v0, 4, v0
	v_lshlrev_b32_e32 v1, 8, v1
	v_and_b32_e32 v0, 16, v0
	v_lshlrev_b32_e32 v6, 5, v6
	v_and_b32_e32 v1, 0xe00, v1
	v_or3_b32 v0, v1, v6, v0
	s_waitcnt vmcnt(0)
	ds_write_b128 v0, v[2:5]
.LBB739_9:
	s_or_b64 exec, exec, s[6:7]
	s_waitcnt lgkmcnt(0)
	s_add_u32 s8, s4, 0x90
	s_addc_u32 s9, s5, 0
	s_getpc_b64 s[4:5]
	s_add_u32 s4, s4, __PRETTY_FUNCTION__._Z39paged_attention_ll4mi_QKV_mfma16_kernelI14__hip_bfloat16hLN4vllm18Fp8KVCacheDataTypeE1ES0_Li32ELi64ELi256ELb0ELi6EL8MFMAType1EEvPKT_PKT0_S9_ifPKiSB_SB_iPKfiiiPfSE_PS4_PT2_iSD_SD_@rel32@lo+4
	s_addc_u32 s5, s5, __PRETTY_FUNCTION__._Z39paged_attention_ll4mi_QKV_mfma16_kernelI14__hip_bfloat16hLN4vllm18Fp8KVCacheDataTypeE1ES0_Li32ELi64ELi256ELb0ELi6EL8MFMAType1EEvPKT_PKT0_S9_ifPKiSB_SB_iPKfiiiPfSE_PS4_PT2_iSD_SD_@rel32@hi+12
	v_mov_b32_e32 v0, 0x288
	v_mov_b32_e32 v1, s4
	v_mov_b32_e32 v2, s5
	s_barrier
	s_getpc_b64 s[6:7]
	s_add_u32 s6, s6, __assert_fail@rel32@lo+4
	s_addc_u32 s7, s7, __assert_fail@rel32@hi+12
	s_swappc_b64 s[30:31], s[6:7]
	; divergent unreachable
.LBB739_10:
	s_endpgm
.LBB739_11:
	s_mov_b64 s[18:19], 0
	s_branch .LBB739_2
	.section	.rodata,"a",@progbits
	.p2align	6, 0x0
	.amdhsa_kernel _Z39paged_attention_ll4mi_QKV_mfma16_kernelI14__hip_bfloat16hLN4vllm18Fp8KVCacheDataTypeE1ES0_Li32ELi64ELi256ELb0ELi6EL8MFMAType1EEvPKT_PKT0_S9_ifPKiSB_SB_iPKfiiiPfSE_PS4_PT2_iSD_SD_
		.amdhsa_group_segment_fixed_size 8192
		.amdhsa_private_segment_fixed_size 64
		.amdhsa_kernarg_size 400
		.amdhsa_user_sgpr_count 8
		.amdhsa_user_sgpr_private_segment_buffer 1
		.amdhsa_user_sgpr_dispatch_ptr 0
		.amdhsa_user_sgpr_queue_ptr 0
		.amdhsa_user_sgpr_kernarg_segment_ptr 1
		.amdhsa_user_sgpr_dispatch_id 0
		.amdhsa_user_sgpr_flat_scratch_init 1
		.amdhsa_user_sgpr_kernarg_preload_length 0
		.amdhsa_user_sgpr_kernarg_preload_offset 0
		.amdhsa_user_sgpr_private_segment_size 0
		.amdhsa_uses_dynamic_stack 0
		.amdhsa_system_sgpr_private_segment_wavefront_offset 1
		.amdhsa_system_sgpr_workgroup_id_x 1
		.amdhsa_system_sgpr_workgroup_id_y 1
		.amdhsa_system_sgpr_workgroup_id_z 1
		.amdhsa_system_sgpr_workgroup_info 0
		.amdhsa_system_vgpr_workitem_id 0
		.amdhsa_next_free_vgpr 45
		.amdhsa_next_free_sgpr 34
		.amdhsa_accum_offset 44
		.amdhsa_reserve_vcc 1
		.amdhsa_reserve_flat_scratch 1
		.amdhsa_float_round_mode_32 0
		.amdhsa_float_round_mode_16_64 0
		.amdhsa_float_denorm_mode_32 3
		.amdhsa_float_denorm_mode_16_64 3
		.amdhsa_dx10_clamp 1
		.amdhsa_ieee_mode 1
		.amdhsa_fp16_overflow 0
		.amdhsa_tg_split 0
		.amdhsa_exception_fp_ieee_invalid_op 0
		.amdhsa_exception_fp_denorm_src 0
		.amdhsa_exception_fp_ieee_div_zero 0
		.amdhsa_exception_fp_ieee_overflow 0
		.amdhsa_exception_fp_ieee_underflow 0
		.amdhsa_exception_fp_ieee_inexact 0
		.amdhsa_exception_int_div_zero 0
	.end_amdhsa_kernel
	.section	.text._Z39paged_attention_ll4mi_QKV_mfma16_kernelI14__hip_bfloat16hLN4vllm18Fp8KVCacheDataTypeE1ES0_Li32ELi64ELi256ELb0ELi6EL8MFMAType1EEvPKT_PKT0_S9_ifPKiSB_SB_iPKfiiiPfSE_PS4_PT2_iSD_SD_,"axG",@progbits,_Z39paged_attention_ll4mi_QKV_mfma16_kernelI14__hip_bfloat16hLN4vllm18Fp8KVCacheDataTypeE1ES0_Li32ELi64ELi256ELb0ELi6EL8MFMAType1EEvPKT_PKT0_S9_ifPKiSB_SB_iPKfiiiPfSE_PS4_PT2_iSD_SD_,comdat
.Lfunc_end739:
	.size	_Z39paged_attention_ll4mi_QKV_mfma16_kernelI14__hip_bfloat16hLN4vllm18Fp8KVCacheDataTypeE1ES0_Li32ELi64ELi256ELb0ELi6EL8MFMAType1EEvPKT_PKT0_S9_ifPKiSB_SB_iPKfiiiPfSE_PS4_PT2_iSD_SD_, .Lfunc_end739-_Z39paged_attention_ll4mi_QKV_mfma16_kernelI14__hip_bfloat16hLN4vllm18Fp8KVCacheDataTypeE1ES0_Li32ELi64ELi256ELb0ELi6EL8MFMAType1EEvPKT_PKT0_S9_ifPKiSB_SB_iPKfiiiPfSE_PS4_PT2_iSD_SD_
                                        ; -- End function
	.section	.AMDGPU.csdata,"",@progbits
; Kernel info:
; codeLenInByte = 504
; NumSgprs: 40
; NumVgprs: 42
; NumAgprs: 1
; TotalNumVgprs: 45
; ScratchSize: 64
; MemoryBound: 0
; FloatMode: 240
; IeeeMode: 1
; LDSByteSize: 8192 bytes/workgroup (compile time only)
; SGPRBlocks: 4
; VGPRBlocks: 5
; NumSGPRsForWavesPerEU: 40
; NumVGPRsForWavesPerEU: 45
; AccumOffset: 44
; Occupancy: 8
; WaveLimiterHint : 1
; COMPUTE_PGM_RSRC2:SCRATCH_EN: 1
; COMPUTE_PGM_RSRC2:USER_SGPR: 8
; COMPUTE_PGM_RSRC2:TRAP_HANDLER: 0
; COMPUTE_PGM_RSRC2:TGID_X_EN: 1
; COMPUTE_PGM_RSRC2:TGID_Y_EN: 1
; COMPUTE_PGM_RSRC2:TGID_Z_EN: 1
; COMPUTE_PGM_RSRC2:TIDIG_COMP_CNT: 0
; COMPUTE_PGM_RSRC3_GFX90A:ACCUM_OFFSET: 10
; COMPUTE_PGM_RSRC3_GFX90A:TG_SPLIT: 0
	.section	.text._Z39paged_attention_ll4mi_QKV_mfma16_kernelI14__hip_bfloat16hLN4vllm18Fp8KVCacheDataTypeE1ES0_Li32ELi64ELi256ELb0ELi7EL8MFMAType1EEvPKT_PKT0_S9_ifPKiSB_SB_iPKfiiiPfSE_PS4_PT2_iSD_SD_,"axG",@progbits,_Z39paged_attention_ll4mi_QKV_mfma16_kernelI14__hip_bfloat16hLN4vllm18Fp8KVCacheDataTypeE1ES0_Li32ELi64ELi256ELb0ELi7EL8MFMAType1EEvPKT_PKT0_S9_ifPKiSB_SB_iPKfiiiPfSE_PS4_PT2_iSD_SD_,comdat
	.protected	_Z39paged_attention_ll4mi_QKV_mfma16_kernelI14__hip_bfloat16hLN4vllm18Fp8KVCacheDataTypeE1ES0_Li32ELi64ELi256ELb0ELi7EL8MFMAType1EEvPKT_PKT0_S9_ifPKiSB_SB_iPKfiiiPfSE_PS4_PT2_iSD_SD_ ; -- Begin function _Z39paged_attention_ll4mi_QKV_mfma16_kernelI14__hip_bfloat16hLN4vllm18Fp8KVCacheDataTypeE1ES0_Li32ELi64ELi256ELb0ELi7EL8MFMAType1EEvPKT_PKT0_S9_ifPKiSB_SB_iPKfiiiPfSE_PS4_PT2_iSD_SD_
	.globl	_Z39paged_attention_ll4mi_QKV_mfma16_kernelI14__hip_bfloat16hLN4vllm18Fp8KVCacheDataTypeE1ES0_Li32ELi64ELi256ELb0ELi7EL8MFMAType1EEvPKT_PKT0_S9_ifPKiSB_SB_iPKfiiiPfSE_PS4_PT2_iSD_SD_
	.p2align	8
	.type	_Z39paged_attention_ll4mi_QKV_mfma16_kernelI14__hip_bfloat16hLN4vllm18Fp8KVCacheDataTypeE1ES0_Li32ELi64ELi256ELb0ELi7EL8MFMAType1EEvPKT_PKT0_S9_ifPKiSB_SB_iPKfiiiPfSE_PS4_PT2_iSD_SD_,@function
_Z39paged_attention_ll4mi_QKV_mfma16_kernelI14__hip_bfloat16hLN4vllm18Fp8KVCacheDataTypeE1ES0_Li32ELi64ELi256ELb0ELi7EL8MFMAType1EEvPKT_PKT0_S9_ifPKiSB_SB_iPKfiiiPfSE_PS4_PT2_iSD_SD_: ; @_Z39paged_attention_ll4mi_QKV_mfma16_kernelI14__hip_bfloat16hLN4vllm18Fp8KVCacheDataTypeE1ES0_Li32ELi64ELi256ELb0ELi7EL8MFMAType1EEvPKT_PKT0_S9_ifPKiSB_SB_iPKfiiiPfSE_PS4_PT2_iSD_SD_
; %bb.0:
	s_load_dwordx2 s[12:13], s[4:5], 0x30
	s_add_u32 flat_scratch_lo, s6, s11
	s_addc_u32 flat_scratch_hi, s7, 0
	s_add_u32 s0, s0, s11
	s_addc_u32 s1, s1, 0
	s_waitcnt lgkmcnt(0)
	s_cmp_lg_u64 s[12:13], 0
	s_cselect_b64 s[14:15], -1, 0
	s_mov_b32 s6, s9
	s_mov_b64 s[16:17], 0
	s_and_b64 vcc, exec, s[14:15]
	s_mov_b32 s32, 0
	s_cbranch_vccz .LBB740_11
; %bb.1:
	s_add_i32 s18, s8, 1
	s_mov_b32 s19, 0
	s_lshl_b64 s[20:21], s[18:19], 2
	s_add_u32 s20, s12, s20
	s_mov_b32 s9, s19
	s_addc_u32 s21, s13, s21
	s_lshl_b64 s[18:19], s[8:9], 2
	s_add_u32 s18, s12, s18
	s_addc_u32 s19, s13, s19
	s_load_dword s7, s[20:21], 0x0
	s_load_dword s11, s[18:19], 0x0
	s_waitcnt lgkmcnt(0)
	s_sub_i32 s7, s7, s11
	s_cmp_eq_u32 s7, 1
	s_cselect_b64 s[18:19], -1, 0
	s_andn2_b64 vcc, exec, s[16:17]
	s_cbranch_vccnz .LBB740_3
.LBB740_2:
	s_mov_b32 s9, 0
	s_mov_b64 s[18:19], -1
.LBB740_3:
	s_andn2_b64 vcc, exec, s[18:19]
	s_cbranch_vccnz .LBB740_10
; %bb.4:
	s_load_dwordx2 s[18:19], s[4:5], 0x28
	s_lshl_b64 s[16:17], s[8:9], 2
	s_waitcnt lgkmcnt(0)
	s_add_u32 s18, s18, s16
	s_addc_u32 s19, s19, s17
	s_load_dword s7, s[18:19], 0x0
	s_lshl_b32 s6, s6, 8
	s_waitcnt lgkmcnt(0)
	s_cmp_ge_i32 s6, s7
	s_cbranch_scc1 .LBB740_10
; %bb.5:
	s_andn2_b64 vcc, exec, s[14:15]
	s_cbranch_vccnz .LBB740_7
; %bb.6:
	s_add_u32 s6, s12, s16
	s_addc_u32 s7, s13, s17
	s_load_dword s8, s[6:7], 0x0
.LBB740_7:
	v_and_b32_e32 v1, 15, v0
	s_movk_i32 s6, 0x70
	v_cmp_gt_u32_e32 vcc, s6, v0
	v_cmp_gt_u32_e64 s[6:7], 8, v1
	s_and_b64 s[12:13], s[6:7], vcc
	s_and_saveexec_b64 s[6:7], s[12:13]
	s_cbranch_execz .LBB740_9
; %bb.8:
	s_load_dword s11, s[4:5], 0x48
	s_load_dwordx2 s[12:13], s[4:5], 0x0
	v_lshrrev_b32_e32 v6, 4, v0
	s_mul_i32 s10, s10, 7
	v_add_lshl_u32 v2, v6, s10, 6
	s_waitcnt lgkmcnt(0)
	s_ashr_i32 s9, s11, 31
	s_mul_hi_u32 s14, s8, s11
	s_mul_i32 s9, s8, s9
	s_add_i32 s9, s14, s9
	s_mul_i32 s8, s8, s11
	s_lshl_b64 s[8:9], s[8:9], 1
	s_add_u32 s8, s12, s8
	v_ashrrev_i32_e32 v3, 31, v2
	s_addc_u32 s9, s13, s9
	v_lshlrev_b64 v[2:3], 1, v[2:3]
	v_mov_b32_e32 v4, s9
	v_add_co_u32_e32 v2, vcc, s8, v2
	v_addc_co_u32_e32 v3, vcc, v4, v3, vcc
	v_lshlrev_b32_e32 v4, 4, v1
	v_add_co_u32_e32 v2, vcc, v2, v4
	v_addc_co_u32_e32 v3, vcc, 0, v3, vcc
	global_load_dwordx4 v[2:5], v[2:3], off
	v_lshlrev_b32_e32 v0, 4, v0
	v_lshlrev_b32_e32 v1, 8, v1
	v_and_b32_e32 v0, 16, v0
	v_lshlrev_b32_e32 v6, 5, v6
	v_and_b32_e32 v1, 0xe00, v1
	v_or3_b32 v0, v1, v6, v0
	s_waitcnt vmcnt(0)
	ds_write_b128 v0, v[2:5]
.LBB740_9:
	s_or_b64 exec, exec, s[6:7]
	s_waitcnt lgkmcnt(0)
	s_add_u32 s8, s4, 0x90
	s_addc_u32 s9, s5, 0
	s_getpc_b64 s[4:5]
	s_add_u32 s4, s4, __PRETTY_FUNCTION__._Z39paged_attention_ll4mi_QKV_mfma16_kernelI14__hip_bfloat16hLN4vllm18Fp8KVCacheDataTypeE1ES0_Li32ELi64ELi256ELb0ELi7EL8MFMAType1EEvPKT_PKT0_S9_ifPKiSB_SB_iPKfiiiPfSE_PS4_PT2_iSD_SD_@rel32@lo+4
	s_addc_u32 s5, s5, __PRETTY_FUNCTION__._Z39paged_attention_ll4mi_QKV_mfma16_kernelI14__hip_bfloat16hLN4vllm18Fp8KVCacheDataTypeE1ES0_Li32ELi64ELi256ELb0ELi7EL8MFMAType1EEvPKT_PKT0_S9_ifPKiSB_SB_iPKfiiiPfSE_PS4_PT2_iSD_SD_@rel32@hi+12
	v_mov_b32_e32 v0, 0x288
	v_mov_b32_e32 v1, s4
	;; [unrolled: 1-line block ×3, first 2 shown]
	s_barrier
	s_getpc_b64 s[6:7]
	s_add_u32 s6, s6, __assert_fail@rel32@lo+4
	s_addc_u32 s7, s7, __assert_fail@rel32@hi+12
	s_swappc_b64 s[30:31], s[6:7]
	; divergent unreachable
.LBB740_10:
	s_endpgm
.LBB740_11:
	s_mov_b64 s[18:19], 0
	s_branch .LBB740_2
	.section	.rodata,"a",@progbits
	.p2align	6, 0x0
	.amdhsa_kernel _Z39paged_attention_ll4mi_QKV_mfma16_kernelI14__hip_bfloat16hLN4vllm18Fp8KVCacheDataTypeE1ES0_Li32ELi64ELi256ELb0ELi7EL8MFMAType1EEvPKT_PKT0_S9_ifPKiSB_SB_iPKfiiiPfSE_PS4_PT2_iSD_SD_
		.amdhsa_group_segment_fixed_size 8192
		.amdhsa_private_segment_fixed_size 64
		.amdhsa_kernarg_size 400
		.amdhsa_user_sgpr_count 8
		.amdhsa_user_sgpr_private_segment_buffer 1
		.amdhsa_user_sgpr_dispatch_ptr 0
		.amdhsa_user_sgpr_queue_ptr 0
		.amdhsa_user_sgpr_kernarg_segment_ptr 1
		.amdhsa_user_sgpr_dispatch_id 0
		.amdhsa_user_sgpr_flat_scratch_init 1
		.amdhsa_user_sgpr_kernarg_preload_length 0
		.amdhsa_user_sgpr_kernarg_preload_offset 0
		.amdhsa_user_sgpr_private_segment_size 0
		.amdhsa_uses_dynamic_stack 0
		.amdhsa_system_sgpr_private_segment_wavefront_offset 1
		.amdhsa_system_sgpr_workgroup_id_x 1
		.amdhsa_system_sgpr_workgroup_id_y 1
		.amdhsa_system_sgpr_workgroup_id_z 1
		.amdhsa_system_sgpr_workgroup_info 0
		.amdhsa_system_vgpr_workitem_id 0
		.amdhsa_next_free_vgpr 45
		.amdhsa_next_free_sgpr 34
		.amdhsa_accum_offset 44
		.amdhsa_reserve_vcc 1
		.amdhsa_reserve_flat_scratch 1
		.amdhsa_float_round_mode_32 0
		.amdhsa_float_round_mode_16_64 0
		.amdhsa_float_denorm_mode_32 3
		.amdhsa_float_denorm_mode_16_64 3
		.amdhsa_dx10_clamp 1
		.amdhsa_ieee_mode 1
		.amdhsa_fp16_overflow 0
		.amdhsa_tg_split 0
		.amdhsa_exception_fp_ieee_invalid_op 0
		.amdhsa_exception_fp_denorm_src 0
		.amdhsa_exception_fp_ieee_div_zero 0
		.amdhsa_exception_fp_ieee_overflow 0
		.amdhsa_exception_fp_ieee_underflow 0
		.amdhsa_exception_fp_ieee_inexact 0
		.amdhsa_exception_int_div_zero 0
	.end_amdhsa_kernel
	.section	.text._Z39paged_attention_ll4mi_QKV_mfma16_kernelI14__hip_bfloat16hLN4vllm18Fp8KVCacheDataTypeE1ES0_Li32ELi64ELi256ELb0ELi7EL8MFMAType1EEvPKT_PKT0_S9_ifPKiSB_SB_iPKfiiiPfSE_PS4_PT2_iSD_SD_,"axG",@progbits,_Z39paged_attention_ll4mi_QKV_mfma16_kernelI14__hip_bfloat16hLN4vllm18Fp8KVCacheDataTypeE1ES0_Li32ELi64ELi256ELb0ELi7EL8MFMAType1EEvPKT_PKT0_S9_ifPKiSB_SB_iPKfiiiPfSE_PS4_PT2_iSD_SD_,comdat
.Lfunc_end740:
	.size	_Z39paged_attention_ll4mi_QKV_mfma16_kernelI14__hip_bfloat16hLN4vllm18Fp8KVCacheDataTypeE1ES0_Li32ELi64ELi256ELb0ELi7EL8MFMAType1EEvPKT_PKT0_S9_ifPKiSB_SB_iPKfiiiPfSE_PS4_PT2_iSD_SD_, .Lfunc_end740-_Z39paged_attention_ll4mi_QKV_mfma16_kernelI14__hip_bfloat16hLN4vllm18Fp8KVCacheDataTypeE1ES0_Li32ELi64ELi256ELb0ELi7EL8MFMAType1EEvPKT_PKT0_S9_ifPKiSB_SB_iPKfiiiPfSE_PS4_PT2_iSD_SD_
                                        ; -- End function
	.section	.AMDGPU.csdata,"",@progbits
; Kernel info:
; codeLenInByte = 504
; NumSgprs: 40
; NumVgprs: 42
; NumAgprs: 1
; TotalNumVgprs: 45
; ScratchSize: 64
; MemoryBound: 0
; FloatMode: 240
; IeeeMode: 1
; LDSByteSize: 8192 bytes/workgroup (compile time only)
; SGPRBlocks: 4
; VGPRBlocks: 5
; NumSGPRsForWavesPerEU: 40
; NumVGPRsForWavesPerEU: 45
; AccumOffset: 44
; Occupancy: 8
; WaveLimiterHint : 1
; COMPUTE_PGM_RSRC2:SCRATCH_EN: 1
; COMPUTE_PGM_RSRC2:USER_SGPR: 8
; COMPUTE_PGM_RSRC2:TRAP_HANDLER: 0
; COMPUTE_PGM_RSRC2:TGID_X_EN: 1
; COMPUTE_PGM_RSRC2:TGID_Y_EN: 1
; COMPUTE_PGM_RSRC2:TGID_Z_EN: 1
; COMPUTE_PGM_RSRC2:TIDIG_COMP_CNT: 0
; COMPUTE_PGM_RSRC3_GFX90A:ACCUM_OFFSET: 10
; COMPUTE_PGM_RSRC3_GFX90A:TG_SPLIT: 0
	.section	.text._Z39paged_attention_ll4mi_QKV_mfma16_kernelI14__hip_bfloat16hLN4vllm18Fp8KVCacheDataTypeE1ES0_Li32ELi64ELi256ELb0ELi8EL8MFMAType1EEvPKT_PKT0_S9_ifPKiSB_SB_iPKfiiiPfSE_PS4_PT2_iSD_SD_,"axG",@progbits,_Z39paged_attention_ll4mi_QKV_mfma16_kernelI14__hip_bfloat16hLN4vllm18Fp8KVCacheDataTypeE1ES0_Li32ELi64ELi256ELb0ELi8EL8MFMAType1EEvPKT_PKT0_S9_ifPKiSB_SB_iPKfiiiPfSE_PS4_PT2_iSD_SD_,comdat
	.protected	_Z39paged_attention_ll4mi_QKV_mfma16_kernelI14__hip_bfloat16hLN4vllm18Fp8KVCacheDataTypeE1ES0_Li32ELi64ELi256ELb0ELi8EL8MFMAType1EEvPKT_PKT0_S9_ifPKiSB_SB_iPKfiiiPfSE_PS4_PT2_iSD_SD_ ; -- Begin function _Z39paged_attention_ll4mi_QKV_mfma16_kernelI14__hip_bfloat16hLN4vllm18Fp8KVCacheDataTypeE1ES0_Li32ELi64ELi256ELb0ELi8EL8MFMAType1EEvPKT_PKT0_S9_ifPKiSB_SB_iPKfiiiPfSE_PS4_PT2_iSD_SD_
	.globl	_Z39paged_attention_ll4mi_QKV_mfma16_kernelI14__hip_bfloat16hLN4vllm18Fp8KVCacheDataTypeE1ES0_Li32ELi64ELi256ELb0ELi8EL8MFMAType1EEvPKT_PKT0_S9_ifPKiSB_SB_iPKfiiiPfSE_PS4_PT2_iSD_SD_
	.p2align	8
	.type	_Z39paged_attention_ll4mi_QKV_mfma16_kernelI14__hip_bfloat16hLN4vllm18Fp8KVCacheDataTypeE1ES0_Li32ELi64ELi256ELb0ELi8EL8MFMAType1EEvPKT_PKT0_S9_ifPKiSB_SB_iPKfiiiPfSE_PS4_PT2_iSD_SD_,@function
_Z39paged_attention_ll4mi_QKV_mfma16_kernelI14__hip_bfloat16hLN4vllm18Fp8KVCacheDataTypeE1ES0_Li32ELi64ELi256ELb0ELi8EL8MFMAType1EEvPKT_PKT0_S9_ifPKiSB_SB_iPKfiiiPfSE_PS4_PT2_iSD_SD_: ; @_Z39paged_attention_ll4mi_QKV_mfma16_kernelI14__hip_bfloat16hLN4vllm18Fp8KVCacheDataTypeE1ES0_Li32ELi64ELi256ELb0ELi8EL8MFMAType1EEvPKT_PKT0_S9_ifPKiSB_SB_iPKfiiiPfSE_PS4_PT2_iSD_SD_
; %bb.0:
	s_load_dwordx2 s[12:13], s[4:5], 0x30
	s_add_u32 flat_scratch_lo, s6, s11
	s_addc_u32 flat_scratch_hi, s7, 0
	s_add_u32 s0, s0, s11
	s_addc_u32 s1, s1, 0
	s_waitcnt lgkmcnt(0)
	s_cmp_lg_u64 s[12:13], 0
	s_cselect_b64 s[14:15], -1, 0
	s_mov_b32 s6, s9
	s_mov_b64 s[16:17], 0
	s_and_b64 vcc, exec, s[14:15]
	s_mov_b32 s32, 0
	s_cbranch_vccz .LBB741_11
; %bb.1:
	s_add_i32 s18, s8, 1
	s_mov_b32 s19, 0
	s_lshl_b64 s[20:21], s[18:19], 2
	s_add_u32 s20, s12, s20
	s_mov_b32 s9, s19
	s_addc_u32 s21, s13, s21
	s_lshl_b64 s[18:19], s[8:9], 2
	s_add_u32 s18, s12, s18
	s_addc_u32 s19, s13, s19
	s_load_dword s7, s[20:21], 0x0
	s_load_dword s11, s[18:19], 0x0
	s_waitcnt lgkmcnt(0)
	s_sub_i32 s7, s7, s11
	s_cmp_eq_u32 s7, 1
	s_cselect_b64 s[18:19], -1, 0
	s_andn2_b64 vcc, exec, s[16:17]
	s_cbranch_vccnz .LBB741_3
.LBB741_2:
	s_mov_b32 s9, 0
	s_mov_b64 s[18:19], -1
.LBB741_3:
	s_andn2_b64 vcc, exec, s[18:19]
	s_cbranch_vccnz .LBB741_10
; %bb.4:
	s_load_dwordx2 s[18:19], s[4:5], 0x28
	s_lshl_b64 s[16:17], s[8:9], 2
	s_waitcnt lgkmcnt(0)
	s_add_u32 s18, s18, s16
	s_addc_u32 s19, s19, s17
	s_load_dword s7, s[18:19], 0x0
	s_lshl_b32 s6, s6, 8
	s_waitcnt lgkmcnt(0)
	s_cmp_ge_i32 s6, s7
	s_cbranch_scc1 .LBB741_10
; %bb.5:
	s_andn2_b64 vcc, exec, s[14:15]
	s_cbranch_vccnz .LBB741_7
; %bb.6:
	s_add_u32 s6, s12, s16
	s_addc_u32 s7, s13, s17
	s_load_dword s8, s[6:7], 0x0
.LBB741_7:
	v_and_b32_e32 v1, 15, v0
	s_movk_i32 s6, 0x80
	v_cmp_gt_u32_e32 vcc, s6, v0
	v_cmp_gt_u32_e64 s[6:7], 8, v1
	s_and_b64 s[12:13], vcc, s[6:7]
	s_and_saveexec_b64 s[6:7], s[12:13]
	s_cbranch_execz .LBB741_9
; %bb.8:
	s_load_dword s9, s[4:5], 0x48
	s_load_dwordx2 s[12:13], s[4:5], 0x0
	v_lshrrev_b32_e32 v6, 4, v0
	v_lshlrev_b32_e32 v0, 4, v0
	v_and_b32_e32 v0, 16, v0
	s_waitcnt lgkmcnt(0)
	s_ashr_i32 s11, s9, 31
	s_mul_hi_u32 s15, s8, s9
	s_mul_i32 s14, s8, s9
	s_mul_i32 s8, s8, s11
	s_add_i32 s15, s15, s8
	s_lshl_b64 s[8:9], s[14:15], 1
	s_add_u32 s8, s12, s8
	s_addc_u32 s9, s13, s9
	s_lshl_b32 s10, s10, 9
	v_lshl_or_b32 v2, v6, 6, s10
	v_ashrrev_i32_e32 v3, 31, v2
	v_lshlrev_b64 v[2:3], 1, v[2:3]
	v_mov_b32_e32 v4, s9
	v_add_co_u32_e32 v2, vcc, s8, v2
	v_addc_co_u32_e32 v3, vcc, v4, v3, vcc
	v_lshlrev_b32_e32 v4, 4, v1
	v_add_co_u32_e32 v2, vcc, v2, v4
	v_addc_co_u32_e32 v3, vcc, 0, v3, vcc
	global_load_dwordx4 v[2:5], v[2:3], off
	v_lshlrev_b32_e32 v1, 8, v1
	v_lshlrev_b32_e32 v6, 5, v6
	v_and_b32_e32 v1, 0xe00, v1
	v_or3_b32 v0, v1, v6, v0
	s_waitcnt vmcnt(0)
	ds_write_b128 v0, v[2:5]
.LBB741_9:
	s_or_b64 exec, exec, s[6:7]
	s_waitcnt lgkmcnt(0)
	s_add_u32 s8, s4, 0x90
	s_addc_u32 s9, s5, 0
	s_getpc_b64 s[4:5]
	s_add_u32 s4, s4, __PRETTY_FUNCTION__._Z39paged_attention_ll4mi_QKV_mfma16_kernelI14__hip_bfloat16hLN4vllm18Fp8KVCacheDataTypeE1ES0_Li32ELi64ELi256ELb0ELi8EL8MFMAType1EEvPKT_PKT0_S9_ifPKiSB_SB_iPKfiiiPfSE_PS4_PT2_iSD_SD_@rel32@lo+4
	s_addc_u32 s5, s5, __PRETTY_FUNCTION__._Z39paged_attention_ll4mi_QKV_mfma16_kernelI14__hip_bfloat16hLN4vllm18Fp8KVCacheDataTypeE1ES0_Li32ELi64ELi256ELb0ELi8EL8MFMAType1EEvPKT_PKT0_S9_ifPKiSB_SB_iPKfiiiPfSE_PS4_PT2_iSD_SD_@rel32@hi+12
	v_mov_b32_e32 v0, 0x288
	v_mov_b32_e32 v1, s4
	;; [unrolled: 1-line block ×3, first 2 shown]
	s_barrier
	s_getpc_b64 s[6:7]
	s_add_u32 s6, s6, __assert_fail@rel32@lo+4
	s_addc_u32 s7, s7, __assert_fail@rel32@hi+12
	s_swappc_b64 s[30:31], s[6:7]
	; divergent unreachable
.LBB741_10:
	s_endpgm
.LBB741_11:
	s_mov_b64 s[18:19], 0
	s_branch .LBB741_2
	.section	.rodata,"a",@progbits
	.p2align	6, 0x0
	.amdhsa_kernel _Z39paged_attention_ll4mi_QKV_mfma16_kernelI14__hip_bfloat16hLN4vllm18Fp8KVCacheDataTypeE1ES0_Li32ELi64ELi256ELb0ELi8EL8MFMAType1EEvPKT_PKT0_S9_ifPKiSB_SB_iPKfiiiPfSE_PS4_PT2_iSD_SD_
		.amdhsa_group_segment_fixed_size 8192
		.amdhsa_private_segment_fixed_size 64
		.amdhsa_kernarg_size 400
		.amdhsa_user_sgpr_count 8
		.amdhsa_user_sgpr_private_segment_buffer 1
		.amdhsa_user_sgpr_dispatch_ptr 0
		.amdhsa_user_sgpr_queue_ptr 0
		.amdhsa_user_sgpr_kernarg_segment_ptr 1
		.amdhsa_user_sgpr_dispatch_id 0
		.amdhsa_user_sgpr_flat_scratch_init 1
		.amdhsa_user_sgpr_kernarg_preload_length 0
		.amdhsa_user_sgpr_kernarg_preload_offset 0
		.amdhsa_user_sgpr_private_segment_size 0
		.amdhsa_uses_dynamic_stack 0
		.amdhsa_system_sgpr_private_segment_wavefront_offset 1
		.amdhsa_system_sgpr_workgroup_id_x 1
		.amdhsa_system_sgpr_workgroup_id_y 1
		.amdhsa_system_sgpr_workgroup_id_z 1
		.amdhsa_system_sgpr_workgroup_info 0
		.amdhsa_system_vgpr_workitem_id 0
		.amdhsa_next_free_vgpr 45
		.amdhsa_next_free_sgpr 34
		.amdhsa_accum_offset 44
		.amdhsa_reserve_vcc 1
		.amdhsa_reserve_flat_scratch 1
		.amdhsa_float_round_mode_32 0
		.amdhsa_float_round_mode_16_64 0
		.amdhsa_float_denorm_mode_32 3
		.amdhsa_float_denorm_mode_16_64 3
		.amdhsa_dx10_clamp 1
		.amdhsa_ieee_mode 1
		.amdhsa_fp16_overflow 0
		.amdhsa_tg_split 0
		.amdhsa_exception_fp_ieee_invalid_op 0
		.amdhsa_exception_fp_denorm_src 0
		.amdhsa_exception_fp_ieee_div_zero 0
		.amdhsa_exception_fp_ieee_overflow 0
		.amdhsa_exception_fp_ieee_underflow 0
		.amdhsa_exception_fp_ieee_inexact 0
		.amdhsa_exception_int_div_zero 0
	.end_amdhsa_kernel
	.section	.text._Z39paged_attention_ll4mi_QKV_mfma16_kernelI14__hip_bfloat16hLN4vllm18Fp8KVCacheDataTypeE1ES0_Li32ELi64ELi256ELb0ELi8EL8MFMAType1EEvPKT_PKT0_S9_ifPKiSB_SB_iPKfiiiPfSE_PS4_PT2_iSD_SD_,"axG",@progbits,_Z39paged_attention_ll4mi_QKV_mfma16_kernelI14__hip_bfloat16hLN4vllm18Fp8KVCacheDataTypeE1ES0_Li32ELi64ELi256ELb0ELi8EL8MFMAType1EEvPKT_PKT0_S9_ifPKiSB_SB_iPKfiiiPfSE_PS4_PT2_iSD_SD_,comdat
.Lfunc_end741:
	.size	_Z39paged_attention_ll4mi_QKV_mfma16_kernelI14__hip_bfloat16hLN4vllm18Fp8KVCacheDataTypeE1ES0_Li32ELi64ELi256ELb0ELi8EL8MFMAType1EEvPKT_PKT0_S9_ifPKiSB_SB_iPKfiiiPfSE_PS4_PT2_iSD_SD_, .Lfunc_end741-_Z39paged_attention_ll4mi_QKV_mfma16_kernelI14__hip_bfloat16hLN4vllm18Fp8KVCacheDataTypeE1ES0_Li32ELi64ELi256ELb0ELi8EL8MFMAType1EEvPKT_PKT0_S9_ifPKiSB_SB_iPKfiiiPfSE_PS4_PT2_iSD_SD_
                                        ; -- End function
	.section	.AMDGPU.csdata,"",@progbits
; Kernel info:
; codeLenInByte = 504
; NumSgprs: 40
; NumVgprs: 42
; NumAgprs: 1
; TotalNumVgprs: 45
; ScratchSize: 64
; MemoryBound: 0
; FloatMode: 240
; IeeeMode: 1
; LDSByteSize: 8192 bytes/workgroup (compile time only)
; SGPRBlocks: 4
; VGPRBlocks: 5
; NumSGPRsForWavesPerEU: 40
; NumVGPRsForWavesPerEU: 45
; AccumOffset: 44
; Occupancy: 8
; WaveLimiterHint : 1
; COMPUTE_PGM_RSRC2:SCRATCH_EN: 1
; COMPUTE_PGM_RSRC2:USER_SGPR: 8
; COMPUTE_PGM_RSRC2:TRAP_HANDLER: 0
; COMPUTE_PGM_RSRC2:TGID_X_EN: 1
; COMPUTE_PGM_RSRC2:TGID_Y_EN: 1
; COMPUTE_PGM_RSRC2:TGID_Z_EN: 1
; COMPUTE_PGM_RSRC2:TIDIG_COMP_CNT: 0
; COMPUTE_PGM_RSRC3_GFX90A:ACCUM_OFFSET: 10
; COMPUTE_PGM_RSRC3_GFX90A:TG_SPLIT: 0
	.section	.text._Z39paged_attention_ll4mi_QKV_mfma16_kernelI14__hip_bfloat16hLN4vllm18Fp8KVCacheDataTypeE1ES0_Li32ELi64ELi256ELb0ELi9EL8MFMAType1EEvPKT_PKT0_S9_ifPKiSB_SB_iPKfiiiPfSE_PS4_PT2_iSD_SD_,"axG",@progbits,_Z39paged_attention_ll4mi_QKV_mfma16_kernelI14__hip_bfloat16hLN4vllm18Fp8KVCacheDataTypeE1ES0_Li32ELi64ELi256ELb0ELi9EL8MFMAType1EEvPKT_PKT0_S9_ifPKiSB_SB_iPKfiiiPfSE_PS4_PT2_iSD_SD_,comdat
	.protected	_Z39paged_attention_ll4mi_QKV_mfma16_kernelI14__hip_bfloat16hLN4vllm18Fp8KVCacheDataTypeE1ES0_Li32ELi64ELi256ELb0ELi9EL8MFMAType1EEvPKT_PKT0_S9_ifPKiSB_SB_iPKfiiiPfSE_PS4_PT2_iSD_SD_ ; -- Begin function _Z39paged_attention_ll4mi_QKV_mfma16_kernelI14__hip_bfloat16hLN4vllm18Fp8KVCacheDataTypeE1ES0_Li32ELi64ELi256ELb0ELi9EL8MFMAType1EEvPKT_PKT0_S9_ifPKiSB_SB_iPKfiiiPfSE_PS4_PT2_iSD_SD_
	.globl	_Z39paged_attention_ll4mi_QKV_mfma16_kernelI14__hip_bfloat16hLN4vllm18Fp8KVCacheDataTypeE1ES0_Li32ELi64ELi256ELb0ELi9EL8MFMAType1EEvPKT_PKT0_S9_ifPKiSB_SB_iPKfiiiPfSE_PS4_PT2_iSD_SD_
	.p2align	8
	.type	_Z39paged_attention_ll4mi_QKV_mfma16_kernelI14__hip_bfloat16hLN4vllm18Fp8KVCacheDataTypeE1ES0_Li32ELi64ELi256ELb0ELi9EL8MFMAType1EEvPKT_PKT0_S9_ifPKiSB_SB_iPKfiiiPfSE_PS4_PT2_iSD_SD_,@function
_Z39paged_attention_ll4mi_QKV_mfma16_kernelI14__hip_bfloat16hLN4vllm18Fp8KVCacheDataTypeE1ES0_Li32ELi64ELi256ELb0ELi9EL8MFMAType1EEvPKT_PKT0_S9_ifPKiSB_SB_iPKfiiiPfSE_PS4_PT2_iSD_SD_: ; @_Z39paged_attention_ll4mi_QKV_mfma16_kernelI14__hip_bfloat16hLN4vllm18Fp8KVCacheDataTypeE1ES0_Li32ELi64ELi256ELb0ELi9EL8MFMAType1EEvPKT_PKT0_S9_ifPKiSB_SB_iPKfiiiPfSE_PS4_PT2_iSD_SD_
; %bb.0:
	s_load_dwordx2 s[12:13], s[4:5], 0x30
	s_add_u32 flat_scratch_lo, s6, s11
	s_addc_u32 flat_scratch_hi, s7, 0
	s_add_u32 s0, s0, s11
	s_addc_u32 s1, s1, 0
	s_waitcnt lgkmcnt(0)
	s_cmp_lg_u64 s[12:13], 0
	s_cselect_b64 s[14:15], -1, 0
	s_mov_b32 s6, s9
	s_mov_b64 s[16:17], 0
	s_and_b64 vcc, exec, s[14:15]
	s_mov_b32 s32, 0
	s_cbranch_vccz .LBB742_11
; %bb.1:
	s_add_i32 s18, s8, 1
	s_mov_b32 s19, 0
	s_lshl_b64 s[20:21], s[18:19], 2
	s_add_u32 s20, s12, s20
	s_mov_b32 s9, s19
	s_addc_u32 s21, s13, s21
	s_lshl_b64 s[18:19], s[8:9], 2
	s_add_u32 s18, s12, s18
	s_addc_u32 s19, s13, s19
	s_load_dword s7, s[20:21], 0x0
	s_load_dword s11, s[18:19], 0x0
	s_waitcnt lgkmcnt(0)
	s_sub_i32 s7, s7, s11
	s_cmp_eq_u32 s7, 1
	s_cselect_b64 s[18:19], -1, 0
	s_andn2_b64 vcc, exec, s[16:17]
	s_cbranch_vccnz .LBB742_3
.LBB742_2:
	s_mov_b32 s9, 0
	s_mov_b64 s[18:19], -1
.LBB742_3:
	s_andn2_b64 vcc, exec, s[18:19]
	s_cbranch_vccnz .LBB742_10
; %bb.4:
	s_load_dwordx2 s[18:19], s[4:5], 0x28
	s_lshl_b64 s[16:17], s[8:9], 2
	s_waitcnt lgkmcnt(0)
	s_add_u32 s18, s18, s16
	s_addc_u32 s19, s19, s17
	s_load_dword s7, s[18:19], 0x0
	s_lshl_b32 s6, s6, 8
	s_waitcnt lgkmcnt(0)
	s_cmp_ge_i32 s6, s7
	s_cbranch_scc1 .LBB742_10
; %bb.5:
	s_andn2_b64 vcc, exec, s[14:15]
	s_cbranch_vccnz .LBB742_7
; %bb.6:
	s_add_u32 s6, s12, s16
	s_addc_u32 s7, s13, s17
	s_load_dword s8, s[6:7], 0x0
.LBB742_7:
	v_and_b32_e32 v1, 15, v0
	s_movk_i32 s6, 0x90
	v_cmp_gt_u32_e32 vcc, s6, v0
	v_cmp_gt_u32_e64 s[6:7], 8, v1
	s_and_b64 s[12:13], s[6:7], vcc
	s_and_saveexec_b64 s[6:7], s[12:13]
	s_cbranch_execz .LBB742_9
; %bb.8:
	s_load_dword s11, s[4:5], 0x48
	s_load_dwordx2 s[12:13], s[4:5], 0x0
	v_lshrrev_b32_e32 v6, 4, v0
	s_mul_i32 s10, s10, 9
	v_add_lshl_u32 v2, v6, s10, 6
	s_waitcnt lgkmcnt(0)
	s_ashr_i32 s9, s11, 31
	s_mul_hi_u32 s14, s8, s11
	s_mul_i32 s9, s8, s9
	s_add_i32 s9, s14, s9
	s_mul_i32 s8, s8, s11
	s_lshl_b64 s[8:9], s[8:9], 1
	s_add_u32 s8, s12, s8
	v_ashrrev_i32_e32 v3, 31, v2
	s_addc_u32 s9, s13, s9
	v_lshlrev_b64 v[2:3], 1, v[2:3]
	v_mov_b32_e32 v4, s9
	v_add_co_u32_e32 v2, vcc, s8, v2
	v_addc_co_u32_e32 v3, vcc, v4, v3, vcc
	v_lshlrev_b32_e32 v4, 4, v1
	v_add_co_u32_e32 v2, vcc, v2, v4
	v_addc_co_u32_e32 v3, vcc, 0, v3, vcc
	global_load_dwordx4 v[2:5], v[2:3], off
	v_lshlrev_b32_e32 v0, 4, v0
	v_lshlrev_b32_e32 v1, 8, v1
	v_and_b32_e32 v0, 16, v0
	v_lshlrev_b32_e32 v6, 5, v6
	v_and_b32_e32 v1, 0xe00, v1
	v_or3_b32 v0, v1, v6, v0
	s_waitcnt vmcnt(0)
	ds_write_b128 v0, v[2:5]
.LBB742_9:
	s_or_b64 exec, exec, s[6:7]
	s_waitcnt lgkmcnt(0)
	s_add_u32 s8, s4, 0x90
	s_addc_u32 s9, s5, 0
	s_getpc_b64 s[4:5]
	s_add_u32 s4, s4, __PRETTY_FUNCTION__._Z39paged_attention_ll4mi_QKV_mfma16_kernelI14__hip_bfloat16hLN4vllm18Fp8KVCacheDataTypeE1ES0_Li32ELi64ELi256ELb0ELi9EL8MFMAType1EEvPKT_PKT0_S9_ifPKiSB_SB_iPKfiiiPfSE_PS4_PT2_iSD_SD_@rel32@lo+4
	s_addc_u32 s5, s5, __PRETTY_FUNCTION__._Z39paged_attention_ll4mi_QKV_mfma16_kernelI14__hip_bfloat16hLN4vllm18Fp8KVCacheDataTypeE1ES0_Li32ELi64ELi256ELb0ELi9EL8MFMAType1EEvPKT_PKT0_S9_ifPKiSB_SB_iPKfiiiPfSE_PS4_PT2_iSD_SD_@rel32@hi+12
	v_mov_b32_e32 v0, 0x288
	v_mov_b32_e32 v1, s4
	;; [unrolled: 1-line block ×3, first 2 shown]
	s_barrier
	s_getpc_b64 s[6:7]
	s_add_u32 s6, s6, __assert_fail@rel32@lo+4
	s_addc_u32 s7, s7, __assert_fail@rel32@hi+12
	s_swappc_b64 s[30:31], s[6:7]
	; divergent unreachable
.LBB742_10:
	s_endpgm
.LBB742_11:
	s_mov_b64 s[18:19], 0
	s_branch .LBB742_2
	.section	.rodata,"a",@progbits
	.p2align	6, 0x0
	.amdhsa_kernel _Z39paged_attention_ll4mi_QKV_mfma16_kernelI14__hip_bfloat16hLN4vllm18Fp8KVCacheDataTypeE1ES0_Li32ELi64ELi256ELb0ELi9EL8MFMAType1EEvPKT_PKT0_S9_ifPKiSB_SB_iPKfiiiPfSE_PS4_PT2_iSD_SD_
		.amdhsa_group_segment_fixed_size 8192
		.amdhsa_private_segment_fixed_size 64
		.amdhsa_kernarg_size 400
		.amdhsa_user_sgpr_count 8
		.amdhsa_user_sgpr_private_segment_buffer 1
		.amdhsa_user_sgpr_dispatch_ptr 0
		.amdhsa_user_sgpr_queue_ptr 0
		.amdhsa_user_sgpr_kernarg_segment_ptr 1
		.amdhsa_user_sgpr_dispatch_id 0
		.amdhsa_user_sgpr_flat_scratch_init 1
		.amdhsa_user_sgpr_kernarg_preload_length 0
		.amdhsa_user_sgpr_kernarg_preload_offset 0
		.amdhsa_user_sgpr_private_segment_size 0
		.amdhsa_uses_dynamic_stack 0
		.amdhsa_system_sgpr_private_segment_wavefront_offset 1
		.amdhsa_system_sgpr_workgroup_id_x 1
		.amdhsa_system_sgpr_workgroup_id_y 1
		.amdhsa_system_sgpr_workgroup_id_z 1
		.amdhsa_system_sgpr_workgroup_info 0
		.amdhsa_system_vgpr_workitem_id 0
		.amdhsa_next_free_vgpr 45
		.amdhsa_next_free_sgpr 34
		.amdhsa_accum_offset 44
		.amdhsa_reserve_vcc 1
		.amdhsa_reserve_flat_scratch 1
		.amdhsa_float_round_mode_32 0
		.amdhsa_float_round_mode_16_64 0
		.amdhsa_float_denorm_mode_32 3
		.amdhsa_float_denorm_mode_16_64 3
		.amdhsa_dx10_clamp 1
		.amdhsa_ieee_mode 1
		.amdhsa_fp16_overflow 0
		.amdhsa_tg_split 0
		.amdhsa_exception_fp_ieee_invalid_op 0
		.amdhsa_exception_fp_denorm_src 0
		.amdhsa_exception_fp_ieee_div_zero 0
		.amdhsa_exception_fp_ieee_overflow 0
		.amdhsa_exception_fp_ieee_underflow 0
		.amdhsa_exception_fp_ieee_inexact 0
		.amdhsa_exception_int_div_zero 0
	.end_amdhsa_kernel
	.section	.text._Z39paged_attention_ll4mi_QKV_mfma16_kernelI14__hip_bfloat16hLN4vllm18Fp8KVCacheDataTypeE1ES0_Li32ELi64ELi256ELb0ELi9EL8MFMAType1EEvPKT_PKT0_S9_ifPKiSB_SB_iPKfiiiPfSE_PS4_PT2_iSD_SD_,"axG",@progbits,_Z39paged_attention_ll4mi_QKV_mfma16_kernelI14__hip_bfloat16hLN4vllm18Fp8KVCacheDataTypeE1ES0_Li32ELi64ELi256ELb0ELi9EL8MFMAType1EEvPKT_PKT0_S9_ifPKiSB_SB_iPKfiiiPfSE_PS4_PT2_iSD_SD_,comdat
.Lfunc_end742:
	.size	_Z39paged_attention_ll4mi_QKV_mfma16_kernelI14__hip_bfloat16hLN4vllm18Fp8KVCacheDataTypeE1ES0_Li32ELi64ELi256ELb0ELi9EL8MFMAType1EEvPKT_PKT0_S9_ifPKiSB_SB_iPKfiiiPfSE_PS4_PT2_iSD_SD_, .Lfunc_end742-_Z39paged_attention_ll4mi_QKV_mfma16_kernelI14__hip_bfloat16hLN4vllm18Fp8KVCacheDataTypeE1ES0_Li32ELi64ELi256ELb0ELi9EL8MFMAType1EEvPKT_PKT0_S9_ifPKiSB_SB_iPKfiiiPfSE_PS4_PT2_iSD_SD_
                                        ; -- End function
	.section	.AMDGPU.csdata,"",@progbits
; Kernel info:
; codeLenInByte = 504
; NumSgprs: 40
; NumVgprs: 42
; NumAgprs: 1
; TotalNumVgprs: 45
; ScratchSize: 64
; MemoryBound: 0
; FloatMode: 240
; IeeeMode: 1
; LDSByteSize: 8192 bytes/workgroup (compile time only)
; SGPRBlocks: 4
; VGPRBlocks: 5
; NumSGPRsForWavesPerEU: 40
; NumVGPRsForWavesPerEU: 45
; AccumOffset: 44
; Occupancy: 8
; WaveLimiterHint : 1
; COMPUTE_PGM_RSRC2:SCRATCH_EN: 1
; COMPUTE_PGM_RSRC2:USER_SGPR: 8
; COMPUTE_PGM_RSRC2:TRAP_HANDLER: 0
; COMPUTE_PGM_RSRC2:TGID_X_EN: 1
; COMPUTE_PGM_RSRC2:TGID_Y_EN: 1
; COMPUTE_PGM_RSRC2:TGID_Z_EN: 1
; COMPUTE_PGM_RSRC2:TIDIG_COMP_CNT: 0
; COMPUTE_PGM_RSRC3_GFX90A:ACCUM_OFFSET: 10
; COMPUTE_PGM_RSRC3_GFX90A:TG_SPLIT: 0
	.section	.text._Z39paged_attention_ll4mi_QKV_mfma16_kernelI14__hip_bfloat16hLN4vllm18Fp8KVCacheDataTypeE1ES0_Li32ELi64ELi256ELb0ELi10EL8MFMAType1EEvPKT_PKT0_S9_ifPKiSB_SB_iPKfiiiPfSE_PS4_PT2_iSD_SD_,"axG",@progbits,_Z39paged_attention_ll4mi_QKV_mfma16_kernelI14__hip_bfloat16hLN4vllm18Fp8KVCacheDataTypeE1ES0_Li32ELi64ELi256ELb0ELi10EL8MFMAType1EEvPKT_PKT0_S9_ifPKiSB_SB_iPKfiiiPfSE_PS4_PT2_iSD_SD_,comdat
	.protected	_Z39paged_attention_ll4mi_QKV_mfma16_kernelI14__hip_bfloat16hLN4vllm18Fp8KVCacheDataTypeE1ES0_Li32ELi64ELi256ELb0ELi10EL8MFMAType1EEvPKT_PKT0_S9_ifPKiSB_SB_iPKfiiiPfSE_PS4_PT2_iSD_SD_ ; -- Begin function _Z39paged_attention_ll4mi_QKV_mfma16_kernelI14__hip_bfloat16hLN4vllm18Fp8KVCacheDataTypeE1ES0_Li32ELi64ELi256ELb0ELi10EL8MFMAType1EEvPKT_PKT0_S9_ifPKiSB_SB_iPKfiiiPfSE_PS4_PT2_iSD_SD_
	.globl	_Z39paged_attention_ll4mi_QKV_mfma16_kernelI14__hip_bfloat16hLN4vllm18Fp8KVCacheDataTypeE1ES0_Li32ELi64ELi256ELb0ELi10EL8MFMAType1EEvPKT_PKT0_S9_ifPKiSB_SB_iPKfiiiPfSE_PS4_PT2_iSD_SD_
	.p2align	8
	.type	_Z39paged_attention_ll4mi_QKV_mfma16_kernelI14__hip_bfloat16hLN4vllm18Fp8KVCacheDataTypeE1ES0_Li32ELi64ELi256ELb0ELi10EL8MFMAType1EEvPKT_PKT0_S9_ifPKiSB_SB_iPKfiiiPfSE_PS4_PT2_iSD_SD_,@function
_Z39paged_attention_ll4mi_QKV_mfma16_kernelI14__hip_bfloat16hLN4vllm18Fp8KVCacheDataTypeE1ES0_Li32ELi64ELi256ELb0ELi10EL8MFMAType1EEvPKT_PKT0_S9_ifPKiSB_SB_iPKfiiiPfSE_PS4_PT2_iSD_SD_: ; @_Z39paged_attention_ll4mi_QKV_mfma16_kernelI14__hip_bfloat16hLN4vllm18Fp8KVCacheDataTypeE1ES0_Li32ELi64ELi256ELb0ELi10EL8MFMAType1EEvPKT_PKT0_S9_ifPKiSB_SB_iPKfiiiPfSE_PS4_PT2_iSD_SD_
; %bb.0:
	s_load_dwordx2 s[12:13], s[4:5], 0x30
	s_add_u32 flat_scratch_lo, s6, s11
	s_addc_u32 flat_scratch_hi, s7, 0
	s_add_u32 s0, s0, s11
	s_addc_u32 s1, s1, 0
	s_waitcnt lgkmcnt(0)
	s_cmp_lg_u64 s[12:13], 0
	s_cselect_b64 s[14:15], -1, 0
	s_mov_b32 s6, s9
	s_mov_b64 s[16:17], 0
	s_and_b64 vcc, exec, s[14:15]
	s_mov_b32 s32, 0
	s_cbranch_vccz .LBB743_11
; %bb.1:
	s_add_i32 s18, s8, 1
	s_mov_b32 s19, 0
	s_lshl_b64 s[20:21], s[18:19], 2
	s_add_u32 s20, s12, s20
	s_mov_b32 s9, s19
	s_addc_u32 s21, s13, s21
	s_lshl_b64 s[18:19], s[8:9], 2
	s_add_u32 s18, s12, s18
	s_addc_u32 s19, s13, s19
	s_load_dword s7, s[20:21], 0x0
	s_load_dword s11, s[18:19], 0x0
	s_waitcnt lgkmcnt(0)
	s_sub_i32 s7, s7, s11
	s_cmp_eq_u32 s7, 1
	s_cselect_b64 s[18:19], -1, 0
	s_andn2_b64 vcc, exec, s[16:17]
	s_cbranch_vccnz .LBB743_3
.LBB743_2:
	s_mov_b32 s9, 0
	s_mov_b64 s[18:19], -1
.LBB743_3:
	s_andn2_b64 vcc, exec, s[18:19]
	s_cbranch_vccnz .LBB743_10
; %bb.4:
	s_load_dwordx2 s[18:19], s[4:5], 0x28
	s_lshl_b64 s[16:17], s[8:9], 2
	s_waitcnt lgkmcnt(0)
	s_add_u32 s18, s18, s16
	s_addc_u32 s19, s19, s17
	s_load_dword s7, s[18:19], 0x0
	s_lshl_b32 s6, s6, 8
	s_waitcnt lgkmcnt(0)
	s_cmp_ge_i32 s6, s7
	s_cbranch_scc1 .LBB743_10
; %bb.5:
	s_andn2_b64 vcc, exec, s[14:15]
	s_cbranch_vccnz .LBB743_7
; %bb.6:
	s_add_u32 s6, s12, s16
	s_addc_u32 s7, s13, s17
	s_load_dword s8, s[6:7], 0x0
.LBB743_7:
	v_and_b32_e32 v1, 15, v0
	s_movk_i32 s6, 0xa0
	v_cmp_gt_u32_e32 vcc, s6, v0
	v_cmp_gt_u32_e64 s[6:7], 8, v1
	s_and_b64 s[12:13], s[6:7], vcc
	s_and_saveexec_b64 s[6:7], s[12:13]
	s_cbranch_execz .LBB743_9
; %bb.8:
	s_load_dword s11, s[4:5], 0x48
	s_load_dwordx2 s[12:13], s[4:5], 0x0
	v_lshrrev_b32_e32 v6, 4, v0
	s_mul_i32 s10, s10, 10
	v_add_lshl_u32 v2, v6, s10, 6
	s_waitcnt lgkmcnt(0)
	s_ashr_i32 s9, s11, 31
	s_mul_hi_u32 s14, s8, s11
	s_mul_i32 s9, s8, s9
	s_add_i32 s9, s14, s9
	s_mul_i32 s8, s8, s11
	s_lshl_b64 s[8:9], s[8:9], 1
	s_add_u32 s8, s12, s8
	v_ashrrev_i32_e32 v3, 31, v2
	s_addc_u32 s9, s13, s9
	v_lshlrev_b64 v[2:3], 1, v[2:3]
	v_mov_b32_e32 v4, s9
	v_add_co_u32_e32 v2, vcc, s8, v2
	v_addc_co_u32_e32 v3, vcc, v4, v3, vcc
	v_lshlrev_b32_e32 v4, 4, v1
	v_add_co_u32_e32 v2, vcc, v2, v4
	v_addc_co_u32_e32 v3, vcc, 0, v3, vcc
	global_load_dwordx4 v[2:5], v[2:3], off
	v_lshlrev_b32_e32 v0, 4, v0
	v_lshlrev_b32_e32 v1, 8, v1
	v_and_b32_e32 v0, 16, v0
	v_lshlrev_b32_e32 v6, 5, v6
	v_and_b32_e32 v1, 0xe00, v1
	v_or3_b32 v0, v1, v6, v0
	s_waitcnt vmcnt(0)
	ds_write_b128 v0, v[2:5]
.LBB743_9:
	s_or_b64 exec, exec, s[6:7]
	s_waitcnt lgkmcnt(0)
	s_add_u32 s8, s4, 0x90
	s_addc_u32 s9, s5, 0
	s_getpc_b64 s[4:5]
	s_add_u32 s4, s4, __PRETTY_FUNCTION__._Z39paged_attention_ll4mi_QKV_mfma16_kernelI14__hip_bfloat16hLN4vllm18Fp8KVCacheDataTypeE1ES0_Li32ELi64ELi256ELb0ELi10EL8MFMAType1EEvPKT_PKT0_S9_ifPKiSB_SB_iPKfiiiPfSE_PS4_PT2_iSD_SD_@rel32@lo+4
	s_addc_u32 s5, s5, __PRETTY_FUNCTION__._Z39paged_attention_ll4mi_QKV_mfma16_kernelI14__hip_bfloat16hLN4vllm18Fp8KVCacheDataTypeE1ES0_Li32ELi64ELi256ELb0ELi10EL8MFMAType1EEvPKT_PKT0_S9_ifPKiSB_SB_iPKfiiiPfSE_PS4_PT2_iSD_SD_@rel32@hi+12
	v_mov_b32_e32 v0, 0x288
	v_mov_b32_e32 v1, s4
	;; [unrolled: 1-line block ×3, first 2 shown]
	s_barrier
	s_getpc_b64 s[6:7]
	s_add_u32 s6, s6, __assert_fail@rel32@lo+4
	s_addc_u32 s7, s7, __assert_fail@rel32@hi+12
	s_swappc_b64 s[30:31], s[6:7]
	; divergent unreachable
.LBB743_10:
	s_endpgm
.LBB743_11:
	s_mov_b64 s[18:19], 0
	s_branch .LBB743_2
	.section	.rodata,"a",@progbits
	.p2align	6, 0x0
	.amdhsa_kernel _Z39paged_attention_ll4mi_QKV_mfma16_kernelI14__hip_bfloat16hLN4vllm18Fp8KVCacheDataTypeE1ES0_Li32ELi64ELi256ELb0ELi10EL8MFMAType1EEvPKT_PKT0_S9_ifPKiSB_SB_iPKfiiiPfSE_PS4_PT2_iSD_SD_
		.amdhsa_group_segment_fixed_size 8192
		.amdhsa_private_segment_fixed_size 64
		.amdhsa_kernarg_size 400
		.amdhsa_user_sgpr_count 8
		.amdhsa_user_sgpr_private_segment_buffer 1
		.amdhsa_user_sgpr_dispatch_ptr 0
		.amdhsa_user_sgpr_queue_ptr 0
		.amdhsa_user_sgpr_kernarg_segment_ptr 1
		.amdhsa_user_sgpr_dispatch_id 0
		.amdhsa_user_sgpr_flat_scratch_init 1
		.amdhsa_user_sgpr_kernarg_preload_length 0
		.amdhsa_user_sgpr_kernarg_preload_offset 0
		.amdhsa_user_sgpr_private_segment_size 0
		.amdhsa_uses_dynamic_stack 0
		.amdhsa_system_sgpr_private_segment_wavefront_offset 1
		.amdhsa_system_sgpr_workgroup_id_x 1
		.amdhsa_system_sgpr_workgroup_id_y 1
		.amdhsa_system_sgpr_workgroup_id_z 1
		.amdhsa_system_sgpr_workgroup_info 0
		.amdhsa_system_vgpr_workitem_id 0
		.amdhsa_next_free_vgpr 45
		.amdhsa_next_free_sgpr 34
		.amdhsa_accum_offset 44
		.amdhsa_reserve_vcc 1
		.amdhsa_reserve_flat_scratch 1
		.amdhsa_float_round_mode_32 0
		.amdhsa_float_round_mode_16_64 0
		.amdhsa_float_denorm_mode_32 3
		.amdhsa_float_denorm_mode_16_64 3
		.amdhsa_dx10_clamp 1
		.amdhsa_ieee_mode 1
		.amdhsa_fp16_overflow 0
		.amdhsa_tg_split 0
		.amdhsa_exception_fp_ieee_invalid_op 0
		.amdhsa_exception_fp_denorm_src 0
		.amdhsa_exception_fp_ieee_div_zero 0
		.amdhsa_exception_fp_ieee_overflow 0
		.amdhsa_exception_fp_ieee_underflow 0
		.amdhsa_exception_fp_ieee_inexact 0
		.amdhsa_exception_int_div_zero 0
	.end_amdhsa_kernel
	.section	.text._Z39paged_attention_ll4mi_QKV_mfma16_kernelI14__hip_bfloat16hLN4vllm18Fp8KVCacheDataTypeE1ES0_Li32ELi64ELi256ELb0ELi10EL8MFMAType1EEvPKT_PKT0_S9_ifPKiSB_SB_iPKfiiiPfSE_PS4_PT2_iSD_SD_,"axG",@progbits,_Z39paged_attention_ll4mi_QKV_mfma16_kernelI14__hip_bfloat16hLN4vllm18Fp8KVCacheDataTypeE1ES0_Li32ELi64ELi256ELb0ELi10EL8MFMAType1EEvPKT_PKT0_S9_ifPKiSB_SB_iPKfiiiPfSE_PS4_PT2_iSD_SD_,comdat
.Lfunc_end743:
	.size	_Z39paged_attention_ll4mi_QKV_mfma16_kernelI14__hip_bfloat16hLN4vllm18Fp8KVCacheDataTypeE1ES0_Li32ELi64ELi256ELb0ELi10EL8MFMAType1EEvPKT_PKT0_S9_ifPKiSB_SB_iPKfiiiPfSE_PS4_PT2_iSD_SD_, .Lfunc_end743-_Z39paged_attention_ll4mi_QKV_mfma16_kernelI14__hip_bfloat16hLN4vllm18Fp8KVCacheDataTypeE1ES0_Li32ELi64ELi256ELb0ELi10EL8MFMAType1EEvPKT_PKT0_S9_ifPKiSB_SB_iPKfiiiPfSE_PS4_PT2_iSD_SD_
                                        ; -- End function
	.section	.AMDGPU.csdata,"",@progbits
; Kernel info:
; codeLenInByte = 504
; NumSgprs: 40
; NumVgprs: 42
; NumAgprs: 1
; TotalNumVgprs: 45
; ScratchSize: 64
; MemoryBound: 0
; FloatMode: 240
; IeeeMode: 1
; LDSByteSize: 8192 bytes/workgroup (compile time only)
; SGPRBlocks: 4
; VGPRBlocks: 5
; NumSGPRsForWavesPerEU: 40
; NumVGPRsForWavesPerEU: 45
; AccumOffset: 44
; Occupancy: 8
; WaveLimiterHint : 1
; COMPUTE_PGM_RSRC2:SCRATCH_EN: 1
; COMPUTE_PGM_RSRC2:USER_SGPR: 8
; COMPUTE_PGM_RSRC2:TRAP_HANDLER: 0
; COMPUTE_PGM_RSRC2:TGID_X_EN: 1
; COMPUTE_PGM_RSRC2:TGID_Y_EN: 1
; COMPUTE_PGM_RSRC2:TGID_Z_EN: 1
; COMPUTE_PGM_RSRC2:TIDIG_COMP_CNT: 0
; COMPUTE_PGM_RSRC3_GFX90A:ACCUM_OFFSET: 10
; COMPUTE_PGM_RSRC3_GFX90A:TG_SPLIT: 0
	.section	.text._Z39paged_attention_ll4mi_QKV_mfma16_kernelI14__hip_bfloat16hLN4vllm18Fp8KVCacheDataTypeE1ES0_Li32ELi64ELi256ELb0ELi11EL8MFMAType1EEvPKT_PKT0_S9_ifPKiSB_SB_iPKfiiiPfSE_PS4_PT2_iSD_SD_,"axG",@progbits,_Z39paged_attention_ll4mi_QKV_mfma16_kernelI14__hip_bfloat16hLN4vllm18Fp8KVCacheDataTypeE1ES0_Li32ELi64ELi256ELb0ELi11EL8MFMAType1EEvPKT_PKT0_S9_ifPKiSB_SB_iPKfiiiPfSE_PS4_PT2_iSD_SD_,comdat
	.protected	_Z39paged_attention_ll4mi_QKV_mfma16_kernelI14__hip_bfloat16hLN4vllm18Fp8KVCacheDataTypeE1ES0_Li32ELi64ELi256ELb0ELi11EL8MFMAType1EEvPKT_PKT0_S9_ifPKiSB_SB_iPKfiiiPfSE_PS4_PT2_iSD_SD_ ; -- Begin function _Z39paged_attention_ll4mi_QKV_mfma16_kernelI14__hip_bfloat16hLN4vllm18Fp8KVCacheDataTypeE1ES0_Li32ELi64ELi256ELb0ELi11EL8MFMAType1EEvPKT_PKT0_S9_ifPKiSB_SB_iPKfiiiPfSE_PS4_PT2_iSD_SD_
	.globl	_Z39paged_attention_ll4mi_QKV_mfma16_kernelI14__hip_bfloat16hLN4vllm18Fp8KVCacheDataTypeE1ES0_Li32ELi64ELi256ELb0ELi11EL8MFMAType1EEvPKT_PKT0_S9_ifPKiSB_SB_iPKfiiiPfSE_PS4_PT2_iSD_SD_
	.p2align	8
	.type	_Z39paged_attention_ll4mi_QKV_mfma16_kernelI14__hip_bfloat16hLN4vllm18Fp8KVCacheDataTypeE1ES0_Li32ELi64ELi256ELb0ELi11EL8MFMAType1EEvPKT_PKT0_S9_ifPKiSB_SB_iPKfiiiPfSE_PS4_PT2_iSD_SD_,@function
_Z39paged_attention_ll4mi_QKV_mfma16_kernelI14__hip_bfloat16hLN4vllm18Fp8KVCacheDataTypeE1ES0_Li32ELi64ELi256ELb0ELi11EL8MFMAType1EEvPKT_PKT0_S9_ifPKiSB_SB_iPKfiiiPfSE_PS4_PT2_iSD_SD_: ; @_Z39paged_attention_ll4mi_QKV_mfma16_kernelI14__hip_bfloat16hLN4vllm18Fp8KVCacheDataTypeE1ES0_Li32ELi64ELi256ELb0ELi11EL8MFMAType1EEvPKT_PKT0_S9_ifPKiSB_SB_iPKfiiiPfSE_PS4_PT2_iSD_SD_
; %bb.0:
	s_load_dwordx2 s[12:13], s[4:5], 0x30
	s_add_u32 flat_scratch_lo, s6, s11
	s_addc_u32 flat_scratch_hi, s7, 0
	s_add_u32 s0, s0, s11
	s_addc_u32 s1, s1, 0
	s_waitcnt lgkmcnt(0)
	s_cmp_lg_u64 s[12:13], 0
	s_cselect_b64 s[14:15], -1, 0
	s_mov_b32 s6, s9
	s_mov_b64 s[16:17], 0
	s_and_b64 vcc, exec, s[14:15]
	s_mov_b32 s32, 0
	s_cbranch_vccz .LBB744_11
; %bb.1:
	s_add_i32 s18, s8, 1
	s_mov_b32 s19, 0
	s_lshl_b64 s[20:21], s[18:19], 2
	s_add_u32 s20, s12, s20
	s_mov_b32 s9, s19
	s_addc_u32 s21, s13, s21
	s_lshl_b64 s[18:19], s[8:9], 2
	s_add_u32 s18, s12, s18
	s_addc_u32 s19, s13, s19
	s_load_dword s7, s[20:21], 0x0
	s_load_dword s11, s[18:19], 0x0
	s_waitcnt lgkmcnt(0)
	s_sub_i32 s7, s7, s11
	s_cmp_eq_u32 s7, 1
	s_cselect_b64 s[18:19], -1, 0
	s_andn2_b64 vcc, exec, s[16:17]
	s_cbranch_vccnz .LBB744_3
.LBB744_2:
	s_mov_b32 s9, 0
	s_mov_b64 s[18:19], -1
.LBB744_3:
	s_andn2_b64 vcc, exec, s[18:19]
	s_cbranch_vccnz .LBB744_10
; %bb.4:
	s_load_dwordx2 s[18:19], s[4:5], 0x28
	s_lshl_b64 s[16:17], s[8:9], 2
	s_waitcnt lgkmcnt(0)
	s_add_u32 s18, s18, s16
	s_addc_u32 s19, s19, s17
	s_load_dword s7, s[18:19], 0x0
	s_lshl_b32 s6, s6, 8
	s_waitcnt lgkmcnt(0)
	s_cmp_ge_i32 s6, s7
	s_cbranch_scc1 .LBB744_10
; %bb.5:
	s_andn2_b64 vcc, exec, s[14:15]
	s_cbranch_vccnz .LBB744_7
; %bb.6:
	s_add_u32 s6, s12, s16
	s_addc_u32 s7, s13, s17
	s_load_dword s8, s[6:7], 0x0
.LBB744_7:
	v_and_b32_e32 v1, 15, v0
	s_movk_i32 s6, 0xb0
	v_cmp_gt_u32_e32 vcc, s6, v0
	v_cmp_gt_u32_e64 s[6:7], 8, v1
	s_and_b64 s[12:13], s[6:7], vcc
	s_and_saveexec_b64 s[6:7], s[12:13]
	s_cbranch_execz .LBB744_9
; %bb.8:
	s_load_dword s11, s[4:5], 0x48
	s_load_dwordx2 s[12:13], s[4:5], 0x0
	v_lshrrev_b32_e32 v6, 4, v0
	s_mul_i32 s10, s10, 11
	v_add_lshl_u32 v2, v6, s10, 6
	s_waitcnt lgkmcnt(0)
	s_ashr_i32 s9, s11, 31
	s_mul_hi_u32 s14, s8, s11
	s_mul_i32 s9, s8, s9
	s_add_i32 s9, s14, s9
	s_mul_i32 s8, s8, s11
	s_lshl_b64 s[8:9], s[8:9], 1
	s_add_u32 s8, s12, s8
	v_ashrrev_i32_e32 v3, 31, v2
	s_addc_u32 s9, s13, s9
	v_lshlrev_b64 v[2:3], 1, v[2:3]
	v_mov_b32_e32 v4, s9
	v_add_co_u32_e32 v2, vcc, s8, v2
	v_addc_co_u32_e32 v3, vcc, v4, v3, vcc
	v_lshlrev_b32_e32 v4, 4, v1
	v_add_co_u32_e32 v2, vcc, v2, v4
	v_addc_co_u32_e32 v3, vcc, 0, v3, vcc
	global_load_dwordx4 v[2:5], v[2:3], off
	v_lshlrev_b32_e32 v0, 4, v0
	v_lshlrev_b32_e32 v1, 8, v1
	v_and_b32_e32 v0, 16, v0
	v_lshlrev_b32_e32 v6, 5, v6
	v_and_b32_e32 v1, 0xe00, v1
	v_or3_b32 v0, v1, v6, v0
	s_waitcnt vmcnt(0)
	ds_write_b128 v0, v[2:5]
.LBB744_9:
	s_or_b64 exec, exec, s[6:7]
	s_waitcnt lgkmcnt(0)
	s_add_u32 s8, s4, 0x90
	s_addc_u32 s9, s5, 0
	s_getpc_b64 s[4:5]
	s_add_u32 s4, s4, __PRETTY_FUNCTION__._Z39paged_attention_ll4mi_QKV_mfma16_kernelI14__hip_bfloat16hLN4vllm18Fp8KVCacheDataTypeE1ES0_Li32ELi64ELi256ELb0ELi11EL8MFMAType1EEvPKT_PKT0_S9_ifPKiSB_SB_iPKfiiiPfSE_PS4_PT2_iSD_SD_@rel32@lo+4
	s_addc_u32 s5, s5, __PRETTY_FUNCTION__._Z39paged_attention_ll4mi_QKV_mfma16_kernelI14__hip_bfloat16hLN4vllm18Fp8KVCacheDataTypeE1ES0_Li32ELi64ELi256ELb0ELi11EL8MFMAType1EEvPKT_PKT0_S9_ifPKiSB_SB_iPKfiiiPfSE_PS4_PT2_iSD_SD_@rel32@hi+12
	v_mov_b32_e32 v0, 0x288
	v_mov_b32_e32 v1, s4
	;; [unrolled: 1-line block ×3, first 2 shown]
	s_barrier
	s_getpc_b64 s[6:7]
	s_add_u32 s6, s6, __assert_fail@rel32@lo+4
	s_addc_u32 s7, s7, __assert_fail@rel32@hi+12
	s_swappc_b64 s[30:31], s[6:7]
	; divergent unreachable
.LBB744_10:
	s_endpgm
.LBB744_11:
	s_mov_b64 s[18:19], 0
	s_branch .LBB744_2
	.section	.rodata,"a",@progbits
	.p2align	6, 0x0
	.amdhsa_kernel _Z39paged_attention_ll4mi_QKV_mfma16_kernelI14__hip_bfloat16hLN4vllm18Fp8KVCacheDataTypeE1ES0_Li32ELi64ELi256ELb0ELi11EL8MFMAType1EEvPKT_PKT0_S9_ifPKiSB_SB_iPKfiiiPfSE_PS4_PT2_iSD_SD_
		.amdhsa_group_segment_fixed_size 8192
		.amdhsa_private_segment_fixed_size 64
		.amdhsa_kernarg_size 400
		.amdhsa_user_sgpr_count 8
		.amdhsa_user_sgpr_private_segment_buffer 1
		.amdhsa_user_sgpr_dispatch_ptr 0
		.amdhsa_user_sgpr_queue_ptr 0
		.amdhsa_user_sgpr_kernarg_segment_ptr 1
		.amdhsa_user_sgpr_dispatch_id 0
		.amdhsa_user_sgpr_flat_scratch_init 1
		.amdhsa_user_sgpr_kernarg_preload_length 0
		.amdhsa_user_sgpr_kernarg_preload_offset 0
		.amdhsa_user_sgpr_private_segment_size 0
		.amdhsa_uses_dynamic_stack 0
		.amdhsa_system_sgpr_private_segment_wavefront_offset 1
		.amdhsa_system_sgpr_workgroup_id_x 1
		.amdhsa_system_sgpr_workgroup_id_y 1
		.amdhsa_system_sgpr_workgroup_id_z 1
		.amdhsa_system_sgpr_workgroup_info 0
		.amdhsa_system_vgpr_workitem_id 0
		.amdhsa_next_free_vgpr 45
		.amdhsa_next_free_sgpr 34
		.amdhsa_accum_offset 44
		.amdhsa_reserve_vcc 1
		.amdhsa_reserve_flat_scratch 1
		.amdhsa_float_round_mode_32 0
		.amdhsa_float_round_mode_16_64 0
		.amdhsa_float_denorm_mode_32 3
		.amdhsa_float_denorm_mode_16_64 3
		.amdhsa_dx10_clamp 1
		.amdhsa_ieee_mode 1
		.amdhsa_fp16_overflow 0
		.amdhsa_tg_split 0
		.amdhsa_exception_fp_ieee_invalid_op 0
		.amdhsa_exception_fp_denorm_src 0
		.amdhsa_exception_fp_ieee_div_zero 0
		.amdhsa_exception_fp_ieee_overflow 0
		.amdhsa_exception_fp_ieee_underflow 0
		.amdhsa_exception_fp_ieee_inexact 0
		.amdhsa_exception_int_div_zero 0
	.end_amdhsa_kernel
	.section	.text._Z39paged_attention_ll4mi_QKV_mfma16_kernelI14__hip_bfloat16hLN4vllm18Fp8KVCacheDataTypeE1ES0_Li32ELi64ELi256ELb0ELi11EL8MFMAType1EEvPKT_PKT0_S9_ifPKiSB_SB_iPKfiiiPfSE_PS4_PT2_iSD_SD_,"axG",@progbits,_Z39paged_attention_ll4mi_QKV_mfma16_kernelI14__hip_bfloat16hLN4vllm18Fp8KVCacheDataTypeE1ES0_Li32ELi64ELi256ELb0ELi11EL8MFMAType1EEvPKT_PKT0_S9_ifPKiSB_SB_iPKfiiiPfSE_PS4_PT2_iSD_SD_,comdat
.Lfunc_end744:
	.size	_Z39paged_attention_ll4mi_QKV_mfma16_kernelI14__hip_bfloat16hLN4vllm18Fp8KVCacheDataTypeE1ES0_Li32ELi64ELi256ELb0ELi11EL8MFMAType1EEvPKT_PKT0_S9_ifPKiSB_SB_iPKfiiiPfSE_PS4_PT2_iSD_SD_, .Lfunc_end744-_Z39paged_attention_ll4mi_QKV_mfma16_kernelI14__hip_bfloat16hLN4vllm18Fp8KVCacheDataTypeE1ES0_Li32ELi64ELi256ELb0ELi11EL8MFMAType1EEvPKT_PKT0_S9_ifPKiSB_SB_iPKfiiiPfSE_PS4_PT2_iSD_SD_
                                        ; -- End function
	.section	.AMDGPU.csdata,"",@progbits
; Kernel info:
; codeLenInByte = 504
; NumSgprs: 40
; NumVgprs: 42
; NumAgprs: 1
; TotalNumVgprs: 45
; ScratchSize: 64
; MemoryBound: 0
; FloatMode: 240
; IeeeMode: 1
; LDSByteSize: 8192 bytes/workgroup (compile time only)
; SGPRBlocks: 4
; VGPRBlocks: 5
; NumSGPRsForWavesPerEU: 40
; NumVGPRsForWavesPerEU: 45
; AccumOffset: 44
; Occupancy: 8
; WaveLimiterHint : 1
; COMPUTE_PGM_RSRC2:SCRATCH_EN: 1
; COMPUTE_PGM_RSRC2:USER_SGPR: 8
; COMPUTE_PGM_RSRC2:TRAP_HANDLER: 0
; COMPUTE_PGM_RSRC2:TGID_X_EN: 1
; COMPUTE_PGM_RSRC2:TGID_Y_EN: 1
; COMPUTE_PGM_RSRC2:TGID_Z_EN: 1
; COMPUTE_PGM_RSRC2:TIDIG_COMP_CNT: 0
; COMPUTE_PGM_RSRC3_GFX90A:ACCUM_OFFSET: 10
; COMPUTE_PGM_RSRC3_GFX90A:TG_SPLIT: 0
	.section	.text._Z39paged_attention_ll4mi_QKV_mfma16_kernelI14__hip_bfloat16hLN4vllm18Fp8KVCacheDataTypeE1ES0_Li32ELi64ELi256ELb0ELi12EL8MFMAType1EEvPKT_PKT0_S9_ifPKiSB_SB_iPKfiiiPfSE_PS4_PT2_iSD_SD_,"axG",@progbits,_Z39paged_attention_ll4mi_QKV_mfma16_kernelI14__hip_bfloat16hLN4vllm18Fp8KVCacheDataTypeE1ES0_Li32ELi64ELi256ELb0ELi12EL8MFMAType1EEvPKT_PKT0_S9_ifPKiSB_SB_iPKfiiiPfSE_PS4_PT2_iSD_SD_,comdat
	.protected	_Z39paged_attention_ll4mi_QKV_mfma16_kernelI14__hip_bfloat16hLN4vllm18Fp8KVCacheDataTypeE1ES0_Li32ELi64ELi256ELb0ELi12EL8MFMAType1EEvPKT_PKT0_S9_ifPKiSB_SB_iPKfiiiPfSE_PS4_PT2_iSD_SD_ ; -- Begin function _Z39paged_attention_ll4mi_QKV_mfma16_kernelI14__hip_bfloat16hLN4vllm18Fp8KVCacheDataTypeE1ES0_Li32ELi64ELi256ELb0ELi12EL8MFMAType1EEvPKT_PKT0_S9_ifPKiSB_SB_iPKfiiiPfSE_PS4_PT2_iSD_SD_
	.globl	_Z39paged_attention_ll4mi_QKV_mfma16_kernelI14__hip_bfloat16hLN4vllm18Fp8KVCacheDataTypeE1ES0_Li32ELi64ELi256ELb0ELi12EL8MFMAType1EEvPKT_PKT0_S9_ifPKiSB_SB_iPKfiiiPfSE_PS4_PT2_iSD_SD_
	.p2align	8
	.type	_Z39paged_attention_ll4mi_QKV_mfma16_kernelI14__hip_bfloat16hLN4vllm18Fp8KVCacheDataTypeE1ES0_Li32ELi64ELi256ELb0ELi12EL8MFMAType1EEvPKT_PKT0_S9_ifPKiSB_SB_iPKfiiiPfSE_PS4_PT2_iSD_SD_,@function
_Z39paged_attention_ll4mi_QKV_mfma16_kernelI14__hip_bfloat16hLN4vllm18Fp8KVCacheDataTypeE1ES0_Li32ELi64ELi256ELb0ELi12EL8MFMAType1EEvPKT_PKT0_S9_ifPKiSB_SB_iPKfiiiPfSE_PS4_PT2_iSD_SD_: ; @_Z39paged_attention_ll4mi_QKV_mfma16_kernelI14__hip_bfloat16hLN4vllm18Fp8KVCacheDataTypeE1ES0_Li32ELi64ELi256ELb0ELi12EL8MFMAType1EEvPKT_PKT0_S9_ifPKiSB_SB_iPKfiiiPfSE_PS4_PT2_iSD_SD_
; %bb.0:
	s_load_dwordx2 s[12:13], s[4:5], 0x30
	s_add_u32 flat_scratch_lo, s6, s11
	s_addc_u32 flat_scratch_hi, s7, 0
	s_add_u32 s0, s0, s11
	s_addc_u32 s1, s1, 0
	s_waitcnt lgkmcnt(0)
	s_cmp_lg_u64 s[12:13], 0
	s_cselect_b64 s[14:15], -1, 0
	s_mov_b32 s6, s9
	s_mov_b64 s[16:17], 0
	s_and_b64 vcc, exec, s[14:15]
	s_mov_b32 s32, 0
	s_cbranch_vccz .LBB745_11
; %bb.1:
	s_add_i32 s18, s8, 1
	s_mov_b32 s19, 0
	s_lshl_b64 s[20:21], s[18:19], 2
	s_add_u32 s20, s12, s20
	s_mov_b32 s9, s19
	s_addc_u32 s21, s13, s21
	s_lshl_b64 s[18:19], s[8:9], 2
	s_add_u32 s18, s12, s18
	s_addc_u32 s19, s13, s19
	s_load_dword s7, s[20:21], 0x0
	s_load_dword s11, s[18:19], 0x0
	s_waitcnt lgkmcnt(0)
	s_sub_i32 s7, s7, s11
	s_cmp_eq_u32 s7, 1
	s_cselect_b64 s[18:19], -1, 0
	s_andn2_b64 vcc, exec, s[16:17]
	s_cbranch_vccnz .LBB745_3
.LBB745_2:
	s_mov_b32 s9, 0
	s_mov_b64 s[18:19], -1
.LBB745_3:
	s_andn2_b64 vcc, exec, s[18:19]
	s_cbranch_vccnz .LBB745_10
; %bb.4:
	s_load_dwordx2 s[18:19], s[4:5], 0x28
	s_lshl_b64 s[16:17], s[8:9], 2
	s_waitcnt lgkmcnt(0)
	s_add_u32 s18, s18, s16
	s_addc_u32 s19, s19, s17
	s_load_dword s7, s[18:19], 0x0
	s_lshl_b32 s6, s6, 8
	s_waitcnt lgkmcnt(0)
	s_cmp_ge_i32 s6, s7
	s_cbranch_scc1 .LBB745_10
; %bb.5:
	s_andn2_b64 vcc, exec, s[14:15]
	s_cbranch_vccnz .LBB745_7
; %bb.6:
	s_add_u32 s6, s12, s16
	s_addc_u32 s7, s13, s17
	s_load_dword s8, s[6:7], 0x0
.LBB745_7:
	v_and_b32_e32 v1, 15, v0
	s_movk_i32 s6, 0xc0
	v_cmp_gt_u32_e32 vcc, s6, v0
	v_cmp_gt_u32_e64 s[6:7], 8, v1
	s_and_b64 s[12:13], vcc, s[6:7]
	s_and_saveexec_b64 s[6:7], s[12:13]
	s_cbranch_execz .LBB745_9
; %bb.8:
	s_load_dword s11, s[4:5], 0x48
	s_load_dwordx2 s[12:13], s[4:5], 0x0
	v_lshrrev_b32_e32 v6, 4, v0
	s_mul_i32 s10, s10, 12
	v_add_lshl_u32 v2, v6, s10, 6
	s_waitcnt lgkmcnt(0)
	s_ashr_i32 s9, s11, 31
	s_mul_hi_u32 s14, s8, s11
	s_mul_i32 s9, s8, s9
	s_add_i32 s9, s14, s9
	s_mul_i32 s8, s8, s11
	s_lshl_b64 s[8:9], s[8:9], 1
	s_add_u32 s8, s12, s8
	v_ashrrev_i32_e32 v3, 31, v2
	s_addc_u32 s9, s13, s9
	v_lshlrev_b64 v[2:3], 1, v[2:3]
	v_mov_b32_e32 v4, s9
	v_add_co_u32_e32 v2, vcc, s8, v2
	v_addc_co_u32_e32 v3, vcc, v4, v3, vcc
	v_lshlrev_b32_e32 v4, 4, v1
	v_add_co_u32_e32 v2, vcc, v2, v4
	v_addc_co_u32_e32 v3, vcc, 0, v3, vcc
	global_load_dwordx4 v[2:5], v[2:3], off
	v_lshlrev_b32_e32 v0, 4, v0
	v_lshlrev_b32_e32 v1, 8, v1
	v_and_b32_e32 v0, 16, v0
	v_lshlrev_b32_e32 v6, 5, v6
	v_and_b32_e32 v1, 0xe00, v1
	v_or3_b32 v0, v1, v6, v0
	s_waitcnt vmcnt(0)
	ds_write_b128 v0, v[2:5]
.LBB745_9:
	s_or_b64 exec, exec, s[6:7]
	s_waitcnt lgkmcnt(0)
	s_add_u32 s8, s4, 0x90
	s_addc_u32 s9, s5, 0
	s_getpc_b64 s[4:5]
	s_add_u32 s4, s4, __PRETTY_FUNCTION__._Z39paged_attention_ll4mi_QKV_mfma16_kernelI14__hip_bfloat16hLN4vllm18Fp8KVCacheDataTypeE1ES0_Li32ELi64ELi256ELb0ELi12EL8MFMAType1EEvPKT_PKT0_S9_ifPKiSB_SB_iPKfiiiPfSE_PS4_PT2_iSD_SD_@rel32@lo+4
	s_addc_u32 s5, s5, __PRETTY_FUNCTION__._Z39paged_attention_ll4mi_QKV_mfma16_kernelI14__hip_bfloat16hLN4vllm18Fp8KVCacheDataTypeE1ES0_Li32ELi64ELi256ELb0ELi12EL8MFMAType1EEvPKT_PKT0_S9_ifPKiSB_SB_iPKfiiiPfSE_PS4_PT2_iSD_SD_@rel32@hi+12
	v_mov_b32_e32 v0, 0x288
	v_mov_b32_e32 v1, s4
	;; [unrolled: 1-line block ×3, first 2 shown]
	s_barrier
	s_getpc_b64 s[6:7]
	s_add_u32 s6, s6, __assert_fail@rel32@lo+4
	s_addc_u32 s7, s7, __assert_fail@rel32@hi+12
	s_swappc_b64 s[30:31], s[6:7]
	; divergent unreachable
.LBB745_10:
	s_endpgm
.LBB745_11:
	s_mov_b64 s[18:19], 0
	s_branch .LBB745_2
	.section	.rodata,"a",@progbits
	.p2align	6, 0x0
	.amdhsa_kernel _Z39paged_attention_ll4mi_QKV_mfma16_kernelI14__hip_bfloat16hLN4vllm18Fp8KVCacheDataTypeE1ES0_Li32ELi64ELi256ELb0ELi12EL8MFMAType1EEvPKT_PKT0_S9_ifPKiSB_SB_iPKfiiiPfSE_PS4_PT2_iSD_SD_
		.amdhsa_group_segment_fixed_size 8192
		.amdhsa_private_segment_fixed_size 64
		.amdhsa_kernarg_size 400
		.amdhsa_user_sgpr_count 8
		.amdhsa_user_sgpr_private_segment_buffer 1
		.amdhsa_user_sgpr_dispatch_ptr 0
		.amdhsa_user_sgpr_queue_ptr 0
		.amdhsa_user_sgpr_kernarg_segment_ptr 1
		.amdhsa_user_sgpr_dispatch_id 0
		.amdhsa_user_sgpr_flat_scratch_init 1
		.amdhsa_user_sgpr_kernarg_preload_length 0
		.amdhsa_user_sgpr_kernarg_preload_offset 0
		.amdhsa_user_sgpr_private_segment_size 0
		.amdhsa_uses_dynamic_stack 0
		.amdhsa_system_sgpr_private_segment_wavefront_offset 1
		.amdhsa_system_sgpr_workgroup_id_x 1
		.amdhsa_system_sgpr_workgroup_id_y 1
		.amdhsa_system_sgpr_workgroup_id_z 1
		.amdhsa_system_sgpr_workgroup_info 0
		.amdhsa_system_vgpr_workitem_id 0
		.amdhsa_next_free_vgpr 45
		.amdhsa_next_free_sgpr 34
		.amdhsa_accum_offset 44
		.amdhsa_reserve_vcc 1
		.amdhsa_reserve_flat_scratch 1
		.amdhsa_float_round_mode_32 0
		.amdhsa_float_round_mode_16_64 0
		.amdhsa_float_denorm_mode_32 3
		.amdhsa_float_denorm_mode_16_64 3
		.amdhsa_dx10_clamp 1
		.amdhsa_ieee_mode 1
		.amdhsa_fp16_overflow 0
		.amdhsa_tg_split 0
		.amdhsa_exception_fp_ieee_invalid_op 0
		.amdhsa_exception_fp_denorm_src 0
		.amdhsa_exception_fp_ieee_div_zero 0
		.amdhsa_exception_fp_ieee_overflow 0
		.amdhsa_exception_fp_ieee_underflow 0
		.amdhsa_exception_fp_ieee_inexact 0
		.amdhsa_exception_int_div_zero 0
	.end_amdhsa_kernel
	.section	.text._Z39paged_attention_ll4mi_QKV_mfma16_kernelI14__hip_bfloat16hLN4vllm18Fp8KVCacheDataTypeE1ES0_Li32ELi64ELi256ELb0ELi12EL8MFMAType1EEvPKT_PKT0_S9_ifPKiSB_SB_iPKfiiiPfSE_PS4_PT2_iSD_SD_,"axG",@progbits,_Z39paged_attention_ll4mi_QKV_mfma16_kernelI14__hip_bfloat16hLN4vllm18Fp8KVCacheDataTypeE1ES0_Li32ELi64ELi256ELb0ELi12EL8MFMAType1EEvPKT_PKT0_S9_ifPKiSB_SB_iPKfiiiPfSE_PS4_PT2_iSD_SD_,comdat
.Lfunc_end745:
	.size	_Z39paged_attention_ll4mi_QKV_mfma16_kernelI14__hip_bfloat16hLN4vllm18Fp8KVCacheDataTypeE1ES0_Li32ELi64ELi256ELb0ELi12EL8MFMAType1EEvPKT_PKT0_S9_ifPKiSB_SB_iPKfiiiPfSE_PS4_PT2_iSD_SD_, .Lfunc_end745-_Z39paged_attention_ll4mi_QKV_mfma16_kernelI14__hip_bfloat16hLN4vllm18Fp8KVCacheDataTypeE1ES0_Li32ELi64ELi256ELb0ELi12EL8MFMAType1EEvPKT_PKT0_S9_ifPKiSB_SB_iPKfiiiPfSE_PS4_PT2_iSD_SD_
                                        ; -- End function
	.section	.AMDGPU.csdata,"",@progbits
; Kernel info:
; codeLenInByte = 504
; NumSgprs: 40
; NumVgprs: 42
; NumAgprs: 1
; TotalNumVgprs: 45
; ScratchSize: 64
; MemoryBound: 0
; FloatMode: 240
; IeeeMode: 1
; LDSByteSize: 8192 bytes/workgroup (compile time only)
; SGPRBlocks: 4
; VGPRBlocks: 5
; NumSGPRsForWavesPerEU: 40
; NumVGPRsForWavesPerEU: 45
; AccumOffset: 44
; Occupancy: 8
; WaveLimiterHint : 1
; COMPUTE_PGM_RSRC2:SCRATCH_EN: 1
; COMPUTE_PGM_RSRC2:USER_SGPR: 8
; COMPUTE_PGM_RSRC2:TRAP_HANDLER: 0
; COMPUTE_PGM_RSRC2:TGID_X_EN: 1
; COMPUTE_PGM_RSRC2:TGID_Y_EN: 1
; COMPUTE_PGM_RSRC2:TGID_Z_EN: 1
; COMPUTE_PGM_RSRC2:TIDIG_COMP_CNT: 0
; COMPUTE_PGM_RSRC3_GFX90A:ACCUM_OFFSET: 10
; COMPUTE_PGM_RSRC3_GFX90A:TG_SPLIT: 0
	.section	.text._Z39paged_attention_ll4mi_QKV_mfma16_kernelI14__hip_bfloat16hLN4vllm18Fp8KVCacheDataTypeE1ES0_Li32ELi64ELi256ELb0ELi13EL8MFMAType1EEvPKT_PKT0_S9_ifPKiSB_SB_iPKfiiiPfSE_PS4_PT2_iSD_SD_,"axG",@progbits,_Z39paged_attention_ll4mi_QKV_mfma16_kernelI14__hip_bfloat16hLN4vllm18Fp8KVCacheDataTypeE1ES0_Li32ELi64ELi256ELb0ELi13EL8MFMAType1EEvPKT_PKT0_S9_ifPKiSB_SB_iPKfiiiPfSE_PS4_PT2_iSD_SD_,comdat
	.protected	_Z39paged_attention_ll4mi_QKV_mfma16_kernelI14__hip_bfloat16hLN4vllm18Fp8KVCacheDataTypeE1ES0_Li32ELi64ELi256ELb0ELi13EL8MFMAType1EEvPKT_PKT0_S9_ifPKiSB_SB_iPKfiiiPfSE_PS4_PT2_iSD_SD_ ; -- Begin function _Z39paged_attention_ll4mi_QKV_mfma16_kernelI14__hip_bfloat16hLN4vllm18Fp8KVCacheDataTypeE1ES0_Li32ELi64ELi256ELb0ELi13EL8MFMAType1EEvPKT_PKT0_S9_ifPKiSB_SB_iPKfiiiPfSE_PS4_PT2_iSD_SD_
	.globl	_Z39paged_attention_ll4mi_QKV_mfma16_kernelI14__hip_bfloat16hLN4vllm18Fp8KVCacheDataTypeE1ES0_Li32ELi64ELi256ELb0ELi13EL8MFMAType1EEvPKT_PKT0_S9_ifPKiSB_SB_iPKfiiiPfSE_PS4_PT2_iSD_SD_
	.p2align	8
	.type	_Z39paged_attention_ll4mi_QKV_mfma16_kernelI14__hip_bfloat16hLN4vllm18Fp8KVCacheDataTypeE1ES0_Li32ELi64ELi256ELb0ELi13EL8MFMAType1EEvPKT_PKT0_S9_ifPKiSB_SB_iPKfiiiPfSE_PS4_PT2_iSD_SD_,@function
_Z39paged_attention_ll4mi_QKV_mfma16_kernelI14__hip_bfloat16hLN4vllm18Fp8KVCacheDataTypeE1ES0_Li32ELi64ELi256ELb0ELi13EL8MFMAType1EEvPKT_PKT0_S9_ifPKiSB_SB_iPKfiiiPfSE_PS4_PT2_iSD_SD_: ; @_Z39paged_attention_ll4mi_QKV_mfma16_kernelI14__hip_bfloat16hLN4vllm18Fp8KVCacheDataTypeE1ES0_Li32ELi64ELi256ELb0ELi13EL8MFMAType1EEvPKT_PKT0_S9_ifPKiSB_SB_iPKfiiiPfSE_PS4_PT2_iSD_SD_
; %bb.0:
	s_load_dwordx2 s[12:13], s[4:5], 0x30
	s_add_u32 flat_scratch_lo, s6, s11
	s_addc_u32 flat_scratch_hi, s7, 0
	s_add_u32 s0, s0, s11
	s_addc_u32 s1, s1, 0
	s_waitcnt lgkmcnt(0)
	s_cmp_lg_u64 s[12:13], 0
	s_cselect_b64 s[14:15], -1, 0
	s_mov_b32 s6, s9
	s_mov_b64 s[16:17], 0
	s_and_b64 vcc, exec, s[14:15]
	s_mov_b32 s32, 0
	s_cbranch_vccz .LBB746_11
; %bb.1:
	s_add_i32 s18, s8, 1
	s_mov_b32 s19, 0
	s_lshl_b64 s[20:21], s[18:19], 2
	s_add_u32 s20, s12, s20
	s_mov_b32 s9, s19
	s_addc_u32 s21, s13, s21
	s_lshl_b64 s[18:19], s[8:9], 2
	s_add_u32 s18, s12, s18
	s_addc_u32 s19, s13, s19
	s_load_dword s7, s[20:21], 0x0
	s_load_dword s11, s[18:19], 0x0
	s_waitcnt lgkmcnt(0)
	s_sub_i32 s7, s7, s11
	s_cmp_eq_u32 s7, 1
	s_cselect_b64 s[18:19], -1, 0
	s_andn2_b64 vcc, exec, s[16:17]
	s_cbranch_vccnz .LBB746_3
.LBB746_2:
	s_mov_b32 s9, 0
	s_mov_b64 s[18:19], -1
.LBB746_3:
	s_andn2_b64 vcc, exec, s[18:19]
	s_cbranch_vccnz .LBB746_10
; %bb.4:
	s_load_dwordx2 s[18:19], s[4:5], 0x28
	s_lshl_b64 s[16:17], s[8:9], 2
	s_waitcnt lgkmcnt(0)
	s_add_u32 s18, s18, s16
	s_addc_u32 s19, s19, s17
	s_load_dword s7, s[18:19], 0x0
	s_lshl_b32 s6, s6, 8
	s_waitcnt lgkmcnt(0)
	s_cmp_ge_i32 s6, s7
	s_cbranch_scc1 .LBB746_10
; %bb.5:
	s_andn2_b64 vcc, exec, s[14:15]
	s_cbranch_vccnz .LBB746_7
; %bb.6:
	s_add_u32 s6, s12, s16
	s_addc_u32 s7, s13, s17
	s_load_dword s8, s[6:7], 0x0
.LBB746_7:
	v_and_b32_e32 v1, 15, v0
	s_movk_i32 s6, 0xd0
	v_cmp_gt_u32_e32 vcc, s6, v0
	v_cmp_gt_u32_e64 s[6:7], 8, v1
	s_and_b64 s[12:13], s[6:7], vcc
	s_and_saveexec_b64 s[6:7], s[12:13]
	s_cbranch_execz .LBB746_9
; %bb.8:
	s_load_dword s11, s[4:5], 0x48
	s_load_dwordx2 s[12:13], s[4:5], 0x0
	v_lshrrev_b32_e32 v6, 4, v0
	s_mul_i32 s10, s10, 13
	v_add_lshl_u32 v2, v6, s10, 6
	s_waitcnt lgkmcnt(0)
	s_ashr_i32 s9, s11, 31
	s_mul_hi_u32 s14, s8, s11
	s_mul_i32 s9, s8, s9
	s_add_i32 s9, s14, s9
	s_mul_i32 s8, s8, s11
	s_lshl_b64 s[8:9], s[8:9], 1
	s_add_u32 s8, s12, s8
	v_ashrrev_i32_e32 v3, 31, v2
	s_addc_u32 s9, s13, s9
	v_lshlrev_b64 v[2:3], 1, v[2:3]
	v_mov_b32_e32 v4, s9
	v_add_co_u32_e32 v2, vcc, s8, v2
	v_addc_co_u32_e32 v3, vcc, v4, v3, vcc
	v_lshlrev_b32_e32 v4, 4, v1
	v_add_co_u32_e32 v2, vcc, v2, v4
	v_addc_co_u32_e32 v3, vcc, 0, v3, vcc
	global_load_dwordx4 v[2:5], v[2:3], off
	v_lshlrev_b32_e32 v0, 4, v0
	v_lshlrev_b32_e32 v1, 8, v1
	v_and_b32_e32 v0, 16, v0
	v_lshlrev_b32_e32 v6, 5, v6
	v_and_b32_e32 v1, 0xe00, v1
	v_or3_b32 v0, v1, v6, v0
	s_waitcnt vmcnt(0)
	ds_write_b128 v0, v[2:5]
.LBB746_9:
	s_or_b64 exec, exec, s[6:7]
	s_waitcnt lgkmcnt(0)
	s_add_u32 s8, s4, 0x90
	s_addc_u32 s9, s5, 0
	s_getpc_b64 s[4:5]
	s_add_u32 s4, s4, __PRETTY_FUNCTION__._Z39paged_attention_ll4mi_QKV_mfma16_kernelI14__hip_bfloat16hLN4vllm18Fp8KVCacheDataTypeE1ES0_Li32ELi64ELi256ELb0ELi13EL8MFMAType1EEvPKT_PKT0_S9_ifPKiSB_SB_iPKfiiiPfSE_PS4_PT2_iSD_SD_@rel32@lo+4
	s_addc_u32 s5, s5, __PRETTY_FUNCTION__._Z39paged_attention_ll4mi_QKV_mfma16_kernelI14__hip_bfloat16hLN4vllm18Fp8KVCacheDataTypeE1ES0_Li32ELi64ELi256ELb0ELi13EL8MFMAType1EEvPKT_PKT0_S9_ifPKiSB_SB_iPKfiiiPfSE_PS4_PT2_iSD_SD_@rel32@hi+12
	v_mov_b32_e32 v0, 0x288
	v_mov_b32_e32 v1, s4
	;; [unrolled: 1-line block ×3, first 2 shown]
	s_barrier
	s_getpc_b64 s[6:7]
	s_add_u32 s6, s6, __assert_fail@rel32@lo+4
	s_addc_u32 s7, s7, __assert_fail@rel32@hi+12
	s_swappc_b64 s[30:31], s[6:7]
	; divergent unreachable
.LBB746_10:
	s_endpgm
.LBB746_11:
	s_mov_b64 s[18:19], 0
	s_branch .LBB746_2
	.section	.rodata,"a",@progbits
	.p2align	6, 0x0
	.amdhsa_kernel _Z39paged_attention_ll4mi_QKV_mfma16_kernelI14__hip_bfloat16hLN4vllm18Fp8KVCacheDataTypeE1ES0_Li32ELi64ELi256ELb0ELi13EL8MFMAType1EEvPKT_PKT0_S9_ifPKiSB_SB_iPKfiiiPfSE_PS4_PT2_iSD_SD_
		.amdhsa_group_segment_fixed_size 8192
		.amdhsa_private_segment_fixed_size 64
		.amdhsa_kernarg_size 400
		.amdhsa_user_sgpr_count 8
		.amdhsa_user_sgpr_private_segment_buffer 1
		.amdhsa_user_sgpr_dispatch_ptr 0
		.amdhsa_user_sgpr_queue_ptr 0
		.amdhsa_user_sgpr_kernarg_segment_ptr 1
		.amdhsa_user_sgpr_dispatch_id 0
		.amdhsa_user_sgpr_flat_scratch_init 1
		.amdhsa_user_sgpr_kernarg_preload_length 0
		.amdhsa_user_sgpr_kernarg_preload_offset 0
		.amdhsa_user_sgpr_private_segment_size 0
		.amdhsa_uses_dynamic_stack 0
		.amdhsa_system_sgpr_private_segment_wavefront_offset 1
		.amdhsa_system_sgpr_workgroup_id_x 1
		.amdhsa_system_sgpr_workgroup_id_y 1
		.amdhsa_system_sgpr_workgroup_id_z 1
		.amdhsa_system_sgpr_workgroup_info 0
		.amdhsa_system_vgpr_workitem_id 0
		.amdhsa_next_free_vgpr 45
		.amdhsa_next_free_sgpr 34
		.amdhsa_accum_offset 44
		.amdhsa_reserve_vcc 1
		.amdhsa_reserve_flat_scratch 1
		.amdhsa_float_round_mode_32 0
		.amdhsa_float_round_mode_16_64 0
		.amdhsa_float_denorm_mode_32 3
		.amdhsa_float_denorm_mode_16_64 3
		.amdhsa_dx10_clamp 1
		.amdhsa_ieee_mode 1
		.amdhsa_fp16_overflow 0
		.amdhsa_tg_split 0
		.amdhsa_exception_fp_ieee_invalid_op 0
		.amdhsa_exception_fp_denorm_src 0
		.amdhsa_exception_fp_ieee_div_zero 0
		.amdhsa_exception_fp_ieee_overflow 0
		.amdhsa_exception_fp_ieee_underflow 0
		.amdhsa_exception_fp_ieee_inexact 0
		.amdhsa_exception_int_div_zero 0
	.end_amdhsa_kernel
	.section	.text._Z39paged_attention_ll4mi_QKV_mfma16_kernelI14__hip_bfloat16hLN4vllm18Fp8KVCacheDataTypeE1ES0_Li32ELi64ELi256ELb0ELi13EL8MFMAType1EEvPKT_PKT0_S9_ifPKiSB_SB_iPKfiiiPfSE_PS4_PT2_iSD_SD_,"axG",@progbits,_Z39paged_attention_ll4mi_QKV_mfma16_kernelI14__hip_bfloat16hLN4vllm18Fp8KVCacheDataTypeE1ES0_Li32ELi64ELi256ELb0ELi13EL8MFMAType1EEvPKT_PKT0_S9_ifPKiSB_SB_iPKfiiiPfSE_PS4_PT2_iSD_SD_,comdat
.Lfunc_end746:
	.size	_Z39paged_attention_ll4mi_QKV_mfma16_kernelI14__hip_bfloat16hLN4vllm18Fp8KVCacheDataTypeE1ES0_Li32ELi64ELi256ELb0ELi13EL8MFMAType1EEvPKT_PKT0_S9_ifPKiSB_SB_iPKfiiiPfSE_PS4_PT2_iSD_SD_, .Lfunc_end746-_Z39paged_attention_ll4mi_QKV_mfma16_kernelI14__hip_bfloat16hLN4vllm18Fp8KVCacheDataTypeE1ES0_Li32ELi64ELi256ELb0ELi13EL8MFMAType1EEvPKT_PKT0_S9_ifPKiSB_SB_iPKfiiiPfSE_PS4_PT2_iSD_SD_
                                        ; -- End function
	.section	.AMDGPU.csdata,"",@progbits
; Kernel info:
; codeLenInByte = 504
; NumSgprs: 40
; NumVgprs: 42
; NumAgprs: 1
; TotalNumVgprs: 45
; ScratchSize: 64
; MemoryBound: 0
; FloatMode: 240
; IeeeMode: 1
; LDSByteSize: 8192 bytes/workgroup (compile time only)
; SGPRBlocks: 4
; VGPRBlocks: 5
; NumSGPRsForWavesPerEU: 40
; NumVGPRsForWavesPerEU: 45
; AccumOffset: 44
; Occupancy: 8
; WaveLimiterHint : 1
; COMPUTE_PGM_RSRC2:SCRATCH_EN: 1
; COMPUTE_PGM_RSRC2:USER_SGPR: 8
; COMPUTE_PGM_RSRC2:TRAP_HANDLER: 0
; COMPUTE_PGM_RSRC2:TGID_X_EN: 1
; COMPUTE_PGM_RSRC2:TGID_Y_EN: 1
; COMPUTE_PGM_RSRC2:TGID_Z_EN: 1
; COMPUTE_PGM_RSRC2:TIDIG_COMP_CNT: 0
; COMPUTE_PGM_RSRC3_GFX90A:ACCUM_OFFSET: 10
; COMPUTE_PGM_RSRC3_GFX90A:TG_SPLIT: 0
	.section	.text._Z39paged_attention_ll4mi_QKV_mfma16_kernelI14__hip_bfloat16hLN4vllm18Fp8KVCacheDataTypeE1ES0_Li32ELi64ELi256ELb0ELi14EL8MFMAType1EEvPKT_PKT0_S9_ifPKiSB_SB_iPKfiiiPfSE_PS4_PT2_iSD_SD_,"axG",@progbits,_Z39paged_attention_ll4mi_QKV_mfma16_kernelI14__hip_bfloat16hLN4vllm18Fp8KVCacheDataTypeE1ES0_Li32ELi64ELi256ELb0ELi14EL8MFMAType1EEvPKT_PKT0_S9_ifPKiSB_SB_iPKfiiiPfSE_PS4_PT2_iSD_SD_,comdat
	.protected	_Z39paged_attention_ll4mi_QKV_mfma16_kernelI14__hip_bfloat16hLN4vllm18Fp8KVCacheDataTypeE1ES0_Li32ELi64ELi256ELb0ELi14EL8MFMAType1EEvPKT_PKT0_S9_ifPKiSB_SB_iPKfiiiPfSE_PS4_PT2_iSD_SD_ ; -- Begin function _Z39paged_attention_ll4mi_QKV_mfma16_kernelI14__hip_bfloat16hLN4vllm18Fp8KVCacheDataTypeE1ES0_Li32ELi64ELi256ELb0ELi14EL8MFMAType1EEvPKT_PKT0_S9_ifPKiSB_SB_iPKfiiiPfSE_PS4_PT2_iSD_SD_
	.globl	_Z39paged_attention_ll4mi_QKV_mfma16_kernelI14__hip_bfloat16hLN4vllm18Fp8KVCacheDataTypeE1ES0_Li32ELi64ELi256ELb0ELi14EL8MFMAType1EEvPKT_PKT0_S9_ifPKiSB_SB_iPKfiiiPfSE_PS4_PT2_iSD_SD_
	.p2align	8
	.type	_Z39paged_attention_ll4mi_QKV_mfma16_kernelI14__hip_bfloat16hLN4vllm18Fp8KVCacheDataTypeE1ES0_Li32ELi64ELi256ELb0ELi14EL8MFMAType1EEvPKT_PKT0_S9_ifPKiSB_SB_iPKfiiiPfSE_PS4_PT2_iSD_SD_,@function
_Z39paged_attention_ll4mi_QKV_mfma16_kernelI14__hip_bfloat16hLN4vllm18Fp8KVCacheDataTypeE1ES0_Li32ELi64ELi256ELb0ELi14EL8MFMAType1EEvPKT_PKT0_S9_ifPKiSB_SB_iPKfiiiPfSE_PS4_PT2_iSD_SD_: ; @_Z39paged_attention_ll4mi_QKV_mfma16_kernelI14__hip_bfloat16hLN4vllm18Fp8KVCacheDataTypeE1ES0_Li32ELi64ELi256ELb0ELi14EL8MFMAType1EEvPKT_PKT0_S9_ifPKiSB_SB_iPKfiiiPfSE_PS4_PT2_iSD_SD_
; %bb.0:
	s_load_dwordx2 s[12:13], s[4:5], 0x30
	s_add_u32 flat_scratch_lo, s6, s11
	s_addc_u32 flat_scratch_hi, s7, 0
	s_add_u32 s0, s0, s11
	s_addc_u32 s1, s1, 0
	s_waitcnt lgkmcnt(0)
	s_cmp_lg_u64 s[12:13], 0
	s_cselect_b64 s[14:15], -1, 0
	s_mov_b32 s6, s9
	s_mov_b64 s[16:17], 0
	s_and_b64 vcc, exec, s[14:15]
	s_mov_b32 s32, 0
	s_cbranch_vccz .LBB747_11
; %bb.1:
	s_add_i32 s18, s8, 1
	s_mov_b32 s19, 0
	s_lshl_b64 s[20:21], s[18:19], 2
	s_add_u32 s20, s12, s20
	s_mov_b32 s9, s19
	s_addc_u32 s21, s13, s21
	s_lshl_b64 s[18:19], s[8:9], 2
	s_add_u32 s18, s12, s18
	s_addc_u32 s19, s13, s19
	s_load_dword s7, s[20:21], 0x0
	s_load_dword s11, s[18:19], 0x0
	s_waitcnt lgkmcnt(0)
	s_sub_i32 s7, s7, s11
	s_cmp_eq_u32 s7, 1
	s_cselect_b64 s[18:19], -1, 0
	s_andn2_b64 vcc, exec, s[16:17]
	s_cbranch_vccnz .LBB747_3
.LBB747_2:
	s_mov_b32 s9, 0
	s_mov_b64 s[18:19], -1
.LBB747_3:
	s_andn2_b64 vcc, exec, s[18:19]
	s_cbranch_vccnz .LBB747_10
; %bb.4:
	s_load_dwordx2 s[18:19], s[4:5], 0x28
	s_lshl_b64 s[16:17], s[8:9], 2
	s_waitcnt lgkmcnt(0)
	s_add_u32 s18, s18, s16
	s_addc_u32 s19, s19, s17
	s_load_dword s7, s[18:19], 0x0
	s_lshl_b32 s6, s6, 8
	s_waitcnt lgkmcnt(0)
	s_cmp_ge_i32 s6, s7
	s_cbranch_scc1 .LBB747_10
; %bb.5:
	s_andn2_b64 vcc, exec, s[14:15]
	s_cbranch_vccnz .LBB747_7
; %bb.6:
	s_add_u32 s6, s12, s16
	s_addc_u32 s7, s13, s17
	s_load_dword s8, s[6:7], 0x0
.LBB747_7:
	v_and_b32_e32 v1, 15, v0
	s_movk_i32 s6, 0xe0
	v_cmp_gt_u32_e32 vcc, s6, v0
	v_cmp_gt_u32_e64 s[6:7], 8, v1
	s_and_b64 s[12:13], s[6:7], vcc
	s_and_saveexec_b64 s[6:7], s[12:13]
	s_cbranch_execz .LBB747_9
; %bb.8:
	s_load_dword s11, s[4:5], 0x48
	s_load_dwordx2 s[12:13], s[4:5], 0x0
	v_lshrrev_b32_e32 v6, 4, v0
	s_mul_i32 s10, s10, 14
	v_add_lshl_u32 v2, v6, s10, 6
	s_waitcnt lgkmcnt(0)
	s_ashr_i32 s9, s11, 31
	s_mul_hi_u32 s14, s8, s11
	s_mul_i32 s9, s8, s9
	s_add_i32 s9, s14, s9
	s_mul_i32 s8, s8, s11
	s_lshl_b64 s[8:9], s[8:9], 1
	s_add_u32 s8, s12, s8
	v_ashrrev_i32_e32 v3, 31, v2
	s_addc_u32 s9, s13, s9
	v_lshlrev_b64 v[2:3], 1, v[2:3]
	v_mov_b32_e32 v4, s9
	v_add_co_u32_e32 v2, vcc, s8, v2
	v_addc_co_u32_e32 v3, vcc, v4, v3, vcc
	v_lshlrev_b32_e32 v4, 4, v1
	v_add_co_u32_e32 v2, vcc, v2, v4
	v_addc_co_u32_e32 v3, vcc, 0, v3, vcc
	global_load_dwordx4 v[2:5], v[2:3], off
	v_lshlrev_b32_e32 v0, 4, v0
	v_lshlrev_b32_e32 v1, 8, v1
	v_and_b32_e32 v0, 16, v0
	v_lshlrev_b32_e32 v6, 5, v6
	v_and_b32_e32 v1, 0xe00, v1
	v_or3_b32 v0, v1, v6, v0
	s_waitcnt vmcnt(0)
	ds_write_b128 v0, v[2:5]
.LBB747_9:
	s_or_b64 exec, exec, s[6:7]
	s_waitcnt lgkmcnt(0)
	s_add_u32 s8, s4, 0x90
	s_addc_u32 s9, s5, 0
	s_getpc_b64 s[4:5]
	s_add_u32 s4, s4, __PRETTY_FUNCTION__._Z39paged_attention_ll4mi_QKV_mfma16_kernelI14__hip_bfloat16hLN4vllm18Fp8KVCacheDataTypeE1ES0_Li32ELi64ELi256ELb0ELi14EL8MFMAType1EEvPKT_PKT0_S9_ifPKiSB_SB_iPKfiiiPfSE_PS4_PT2_iSD_SD_@rel32@lo+4
	s_addc_u32 s5, s5, __PRETTY_FUNCTION__._Z39paged_attention_ll4mi_QKV_mfma16_kernelI14__hip_bfloat16hLN4vllm18Fp8KVCacheDataTypeE1ES0_Li32ELi64ELi256ELb0ELi14EL8MFMAType1EEvPKT_PKT0_S9_ifPKiSB_SB_iPKfiiiPfSE_PS4_PT2_iSD_SD_@rel32@hi+12
	v_mov_b32_e32 v0, 0x288
	v_mov_b32_e32 v1, s4
	;; [unrolled: 1-line block ×3, first 2 shown]
	s_barrier
	s_getpc_b64 s[6:7]
	s_add_u32 s6, s6, __assert_fail@rel32@lo+4
	s_addc_u32 s7, s7, __assert_fail@rel32@hi+12
	s_swappc_b64 s[30:31], s[6:7]
	; divergent unreachable
.LBB747_10:
	s_endpgm
.LBB747_11:
	s_mov_b64 s[18:19], 0
	s_branch .LBB747_2
	.section	.rodata,"a",@progbits
	.p2align	6, 0x0
	.amdhsa_kernel _Z39paged_attention_ll4mi_QKV_mfma16_kernelI14__hip_bfloat16hLN4vllm18Fp8KVCacheDataTypeE1ES0_Li32ELi64ELi256ELb0ELi14EL8MFMAType1EEvPKT_PKT0_S9_ifPKiSB_SB_iPKfiiiPfSE_PS4_PT2_iSD_SD_
		.amdhsa_group_segment_fixed_size 8192
		.amdhsa_private_segment_fixed_size 64
		.amdhsa_kernarg_size 400
		.amdhsa_user_sgpr_count 8
		.amdhsa_user_sgpr_private_segment_buffer 1
		.amdhsa_user_sgpr_dispatch_ptr 0
		.amdhsa_user_sgpr_queue_ptr 0
		.amdhsa_user_sgpr_kernarg_segment_ptr 1
		.amdhsa_user_sgpr_dispatch_id 0
		.amdhsa_user_sgpr_flat_scratch_init 1
		.amdhsa_user_sgpr_kernarg_preload_length 0
		.amdhsa_user_sgpr_kernarg_preload_offset 0
		.amdhsa_user_sgpr_private_segment_size 0
		.amdhsa_uses_dynamic_stack 0
		.amdhsa_system_sgpr_private_segment_wavefront_offset 1
		.amdhsa_system_sgpr_workgroup_id_x 1
		.amdhsa_system_sgpr_workgroup_id_y 1
		.amdhsa_system_sgpr_workgroup_id_z 1
		.amdhsa_system_sgpr_workgroup_info 0
		.amdhsa_system_vgpr_workitem_id 0
		.amdhsa_next_free_vgpr 45
		.amdhsa_next_free_sgpr 34
		.amdhsa_accum_offset 44
		.amdhsa_reserve_vcc 1
		.amdhsa_reserve_flat_scratch 1
		.amdhsa_float_round_mode_32 0
		.amdhsa_float_round_mode_16_64 0
		.amdhsa_float_denorm_mode_32 3
		.amdhsa_float_denorm_mode_16_64 3
		.amdhsa_dx10_clamp 1
		.amdhsa_ieee_mode 1
		.amdhsa_fp16_overflow 0
		.amdhsa_tg_split 0
		.amdhsa_exception_fp_ieee_invalid_op 0
		.amdhsa_exception_fp_denorm_src 0
		.amdhsa_exception_fp_ieee_div_zero 0
		.amdhsa_exception_fp_ieee_overflow 0
		.amdhsa_exception_fp_ieee_underflow 0
		.amdhsa_exception_fp_ieee_inexact 0
		.amdhsa_exception_int_div_zero 0
	.end_amdhsa_kernel
	.section	.text._Z39paged_attention_ll4mi_QKV_mfma16_kernelI14__hip_bfloat16hLN4vllm18Fp8KVCacheDataTypeE1ES0_Li32ELi64ELi256ELb0ELi14EL8MFMAType1EEvPKT_PKT0_S9_ifPKiSB_SB_iPKfiiiPfSE_PS4_PT2_iSD_SD_,"axG",@progbits,_Z39paged_attention_ll4mi_QKV_mfma16_kernelI14__hip_bfloat16hLN4vllm18Fp8KVCacheDataTypeE1ES0_Li32ELi64ELi256ELb0ELi14EL8MFMAType1EEvPKT_PKT0_S9_ifPKiSB_SB_iPKfiiiPfSE_PS4_PT2_iSD_SD_,comdat
.Lfunc_end747:
	.size	_Z39paged_attention_ll4mi_QKV_mfma16_kernelI14__hip_bfloat16hLN4vllm18Fp8KVCacheDataTypeE1ES0_Li32ELi64ELi256ELb0ELi14EL8MFMAType1EEvPKT_PKT0_S9_ifPKiSB_SB_iPKfiiiPfSE_PS4_PT2_iSD_SD_, .Lfunc_end747-_Z39paged_attention_ll4mi_QKV_mfma16_kernelI14__hip_bfloat16hLN4vllm18Fp8KVCacheDataTypeE1ES0_Li32ELi64ELi256ELb0ELi14EL8MFMAType1EEvPKT_PKT0_S9_ifPKiSB_SB_iPKfiiiPfSE_PS4_PT2_iSD_SD_
                                        ; -- End function
	.section	.AMDGPU.csdata,"",@progbits
; Kernel info:
; codeLenInByte = 504
; NumSgprs: 40
; NumVgprs: 42
; NumAgprs: 1
; TotalNumVgprs: 45
; ScratchSize: 64
; MemoryBound: 0
; FloatMode: 240
; IeeeMode: 1
; LDSByteSize: 8192 bytes/workgroup (compile time only)
; SGPRBlocks: 4
; VGPRBlocks: 5
; NumSGPRsForWavesPerEU: 40
; NumVGPRsForWavesPerEU: 45
; AccumOffset: 44
; Occupancy: 8
; WaveLimiterHint : 1
; COMPUTE_PGM_RSRC2:SCRATCH_EN: 1
; COMPUTE_PGM_RSRC2:USER_SGPR: 8
; COMPUTE_PGM_RSRC2:TRAP_HANDLER: 0
; COMPUTE_PGM_RSRC2:TGID_X_EN: 1
; COMPUTE_PGM_RSRC2:TGID_Y_EN: 1
; COMPUTE_PGM_RSRC2:TGID_Z_EN: 1
; COMPUTE_PGM_RSRC2:TIDIG_COMP_CNT: 0
; COMPUTE_PGM_RSRC3_GFX90A:ACCUM_OFFSET: 10
; COMPUTE_PGM_RSRC3_GFX90A:TG_SPLIT: 0
	.section	.text._Z39paged_attention_ll4mi_QKV_mfma16_kernelI14__hip_bfloat16hLN4vllm18Fp8KVCacheDataTypeE1ES0_Li32ELi64ELi256ELb0ELi15EL8MFMAType1EEvPKT_PKT0_S9_ifPKiSB_SB_iPKfiiiPfSE_PS4_PT2_iSD_SD_,"axG",@progbits,_Z39paged_attention_ll4mi_QKV_mfma16_kernelI14__hip_bfloat16hLN4vllm18Fp8KVCacheDataTypeE1ES0_Li32ELi64ELi256ELb0ELi15EL8MFMAType1EEvPKT_PKT0_S9_ifPKiSB_SB_iPKfiiiPfSE_PS4_PT2_iSD_SD_,comdat
	.protected	_Z39paged_attention_ll4mi_QKV_mfma16_kernelI14__hip_bfloat16hLN4vllm18Fp8KVCacheDataTypeE1ES0_Li32ELi64ELi256ELb0ELi15EL8MFMAType1EEvPKT_PKT0_S9_ifPKiSB_SB_iPKfiiiPfSE_PS4_PT2_iSD_SD_ ; -- Begin function _Z39paged_attention_ll4mi_QKV_mfma16_kernelI14__hip_bfloat16hLN4vllm18Fp8KVCacheDataTypeE1ES0_Li32ELi64ELi256ELb0ELi15EL8MFMAType1EEvPKT_PKT0_S9_ifPKiSB_SB_iPKfiiiPfSE_PS4_PT2_iSD_SD_
	.globl	_Z39paged_attention_ll4mi_QKV_mfma16_kernelI14__hip_bfloat16hLN4vllm18Fp8KVCacheDataTypeE1ES0_Li32ELi64ELi256ELb0ELi15EL8MFMAType1EEvPKT_PKT0_S9_ifPKiSB_SB_iPKfiiiPfSE_PS4_PT2_iSD_SD_
	.p2align	8
	.type	_Z39paged_attention_ll4mi_QKV_mfma16_kernelI14__hip_bfloat16hLN4vllm18Fp8KVCacheDataTypeE1ES0_Li32ELi64ELi256ELb0ELi15EL8MFMAType1EEvPKT_PKT0_S9_ifPKiSB_SB_iPKfiiiPfSE_PS4_PT2_iSD_SD_,@function
_Z39paged_attention_ll4mi_QKV_mfma16_kernelI14__hip_bfloat16hLN4vllm18Fp8KVCacheDataTypeE1ES0_Li32ELi64ELi256ELb0ELi15EL8MFMAType1EEvPKT_PKT0_S9_ifPKiSB_SB_iPKfiiiPfSE_PS4_PT2_iSD_SD_: ; @_Z39paged_attention_ll4mi_QKV_mfma16_kernelI14__hip_bfloat16hLN4vllm18Fp8KVCacheDataTypeE1ES0_Li32ELi64ELi256ELb0ELi15EL8MFMAType1EEvPKT_PKT0_S9_ifPKiSB_SB_iPKfiiiPfSE_PS4_PT2_iSD_SD_
; %bb.0:
	s_load_dwordx2 s[12:13], s[4:5], 0x30
	s_add_u32 flat_scratch_lo, s6, s11
	s_addc_u32 flat_scratch_hi, s7, 0
	s_add_u32 s0, s0, s11
	s_addc_u32 s1, s1, 0
	s_waitcnt lgkmcnt(0)
	s_cmp_lg_u64 s[12:13], 0
	s_cselect_b64 s[14:15], -1, 0
	s_mov_b32 s6, s9
	s_mov_b64 s[16:17], 0
	s_and_b64 vcc, exec, s[14:15]
	s_mov_b32 s32, 0
	s_cbranch_vccz .LBB748_11
; %bb.1:
	s_add_i32 s18, s8, 1
	s_mov_b32 s19, 0
	s_lshl_b64 s[20:21], s[18:19], 2
	s_add_u32 s20, s12, s20
	s_mov_b32 s9, s19
	s_addc_u32 s21, s13, s21
	s_lshl_b64 s[18:19], s[8:9], 2
	s_add_u32 s18, s12, s18
	s_addc_u32 s19, s13, s19
	s_load_dword s7, s[20:21], 0x0
	s_load_dword s11, s[18:19], 0x0
	s_waitcnt lgkmcnt(0)
	s_sub_i32 s7, s7, s11
	s_cmp_eq_u32 s7, 1
	s_cselect_b64 s[18:19], -1, 0
	s_andn2_b64 vcc, exec, s[16:17]
	s_cbranch_vccnz .LBB748_3
.LBB748_2:
	s_mov_b32 s9, 0
	s_mov_b64 s[18:19], -1
.LBB748_3:
	s_andn2_b64 vcc, exec, s[18:19]
	s_cbranch_vccnz .LBB748_10
; %bb.4:
	s_load_dwordx2 s[18:19], s[4:5], 0x28
	s_lshl_b64 s[16:17], s[8:9], 2
	s_waitcnt lgkmcnt(0)
	s_add_u32 s18, s18, s16
	s_addc_u32 s19, s19, s17
	s_load_dword s7, s[18:19], 0x0
	s_lshl_b32 s6, s6, 8
	s_waitcnt lgkmcnt(0)
	s_cmp_ge_i32 s6, s7
	s_cbranch_scc1 .LBB748_10
; %bb.5:
	s_andn2_b64 vcc, exec, s[14:15]
	s_cbranch_vccnz .LBB748_7
; %bb.6:
	s_add_u32 s6, s12, s16
	s_addc_u32 s7, s13, s17
	s_load_dword s8, s[6:7], 0x0
.LBB748_7:
	v_and_b32_e32 v1, 15, v0
	s_movk_i32 s6, 0xf0
	v_cmp_gt_u32_e32 vcc, s6, v0
	v_cmp_gt_u32_e64 s[6:7], 8, v1
	s_and_b64 s[12:13], s[6:7], vcc
	s_and_saveexec_b64 s[6:7], s[12:13]
	s_cbranch_execz .LBB748_9
; %bb.8:
	s_load_dword s11, s[4:5], 0x48
	s_load_dwordx2 s[12:13], s[4:5], 0x0
	v_lshrrev_b32_e32 v6, 4, v0
	s_mul_i32 s10, s10, 15
	v_add_lshl_u32 v2, v6, s10, 6
	s_waitcnt lgkmcnt(0)
	s_ashr_i32 s9, s11, 31
	s_mul_hi_u32 s14, s8, s11
	s_mul_i32 s9, s8, s9
	s_add_i32 s9, s14, s9
	s_mul_i32 s8, s8, s11
	s_lshl_b64 s[8:9], s[8:9], 1
	s_add_u32 s8, s12, s8
	v_ashrrev_i32_e32 v3, 31, v2
	s_addc_u32 s9, s13, s9
	v_lshlrev_b64 v[2:3], 1, v[2:3]
	v_mov_b32_e32 v4, s9
	v_add_co_u32_e32 v2, vcc, s8, v2
	v_addc_co_u32_e32 v3, vcc, v4, v3, vcc
	v_lshlrev_b32_e32 v4, 4, v1
	v_add_co_u32_e32 v2, vcc, v2, v4
	v_addc_co_u32_e32 v3, vcc, 0, v3, vcc
	global_load_dwordx4 v[2:5], v[2:3], off
	v_lshlrev_b32_e32 v0, 4, v0
	v_lshlrev_b32_e32 v1, 8, v1
	v_and_b32_e32 v0, 16, v0
	v_lshlrev_b32_e32 v6, 5, v6
	v_and_b32_e32 v1, 0xe00, v1
	v_or3_b32 v0, v1, v6, v0
	s_waitcnt vmcnt(0)
	ds_write_b128 v0, v[2:5]
.LBB748_9:
	s_or_b64 exec, exec, s[6:7]
	s_waitcnt lgkmcnt(0)
	s_add_u32 s8, s4, 0x90
	s_addc_u32 s9, s5, 0
	s_getpc_b64 s[4:5]
	s_add_u32 s4, s4, __PRETTY_FUNCTION__._Z39paged_attention_ll4mi_QKV_mfma16_kernelI14__hip_bfloat16hLN4vllm18Fp8KVCacheDataTypeE1ES0_Li32ELi64ELi256ELb0ELi15EL8MFMAType1EEvPKT_PKT0_S9_ifPKiSB_SB_iPKfiiiPfSE_PS4_PT2_iSD_SD_@rel32@lo+4
	s_addc_u32 s5, s5, __PRETTY_FUNCTION__._Z39paged_attention_ll4mi_QKV_mfma16_kernelI14__hip_bfloat16hLN4vllm18Fp8KVCacheDataTypeE1ES0_Li32ELi64ELi256ELb0ELi15EL8MFMAType1EEvPKT_PKT0_S9_ifPKiSB_SB_iPKfiiiPfSE_PS4_PT2_iSD_SD_@rel32@hi+12
	v_mov_b32_e32 v0, 0x288
	v_mov_b32_e32 v1, s4
	;; [unrolled: 1-line block ×3, first 2 shown]
	s_barrier
	s_getpc_b64 s[6:7]
	s_add_u32 s6, s6, __assert_fail@rel32@lo+4
	s_addc_u32 s7, s7, __assert_fail@rel32@hi+12
	s_swappc_b64 s[30:31], s[6:7]
	; divergent unreachable
.LBB748_10:
	s_endpgm
.LBB748_11:
	s_mov_b64 s[18:19], 0
	s_branch .LBB748_2
	.section	.rodata,"a",@progbits
	.p2align	6, 0x0
	.amdhsa_kernel _Z39paged_attention_ll4mi_QKV_mfma16_kernelI14__hip_bfloat16hLN4vllm18Fp8KVCacheDataTypeE1ES0_Li32ELi64ELi256ELb0ELi15EL8MFMAType1EEvPKT_PKT0_S9_ifPKiSB_SB_iPKfiiiPfSE_PS4_PT2_iSD_SD_
		.amdhsa_group_segment_fixed_size 8192
		.amdhsa_private_segment_fixed_size 64
		.amdhsa_kernarg_size 400
		.amdhsa_user_sgpr_count 8
		.amdhsa_user_sgpr_private_segment_buffer 1
		.amdhsa_user_sgpr_dispatch_ptr 0
		.amdhsa_user_sgpr_queue_ptr 0
		.amdhsa_user_sgpr_kernarg_segment_ptr 1
		.amdhsa_user_sgpr_dispatch_id 0
		.amdhsa_user_sgpr_flat_scratch_init 1
		.amdhsa_user_sgpr_kernarg_preload_length 0
		.amdhsa_user_sgpr_kernarg_preload_offset 0
		.amdhsa_user_sgpr_private_segment_size 0
		.amdhsa_uses_dynamic_stack 0
		.amdhsa_system_sgpr_private_segment_wavefront_offset 1
		.amdhsa_system_sgpr_workgroup_id_x 1
		.amdhsa_system_sgpr_workgroup_id_y 1
		.amdhsa_system_sgpr_workgroup_id_z 1
		.amdhsa_system_sgpr_workgroup_info 0
		.amdhsa_system_vgpr_workitem_id 0
		.amdhsa_next_free_vgpr 45
		.amdhsa_next_free_sgpr 34
		.amdhsa_accum_offset 44
		.amdhsa_reserve_vcc 1
		.amdhsa_reserve_flat_scratch 1
		.amdhsa_float_round_mode_32 0
		.amdhsa_float_round_mode_16_64 0
		.amdhsa_float_denorm_mode_32 3
		.amdhsa_float_denorm_mode_16_64 3
		.amdhsa_dx10_clamp 1
		.amdhsa_ieee_mode 1
		.amdhsa_fp16_overflow 0
		.amdhsa_tg_split 0
		.amdhsa_exception_fp_ieee_invalid_op 0
		.amdhsa_exception_fp_denorm_src 0
		.amdhsa_exception_fp_ieee_div_zero 0
		.amdhsa_exception_fp_ieee_overflow 0
		.amdhsa_exception_fp_ieee_underflow 0
		.amdhsa_exception_fp_ieee_inexact 0
		.amdhsa_exception_int_div_zero 0
	.end_amdhsa_kernel
	.section	.text._Z39paged_attention_ll4mi_QKV_mfma16_kernelI14__hip_bfloat16hLN4vllm18Fp8KVCacheDataTypeE1ES0_Li32ELi64ELi256ELb0ELi15EL8MFMAType1EEvPKT_PKT0_S9_ifPKiSB_SB_iPKfiiiPfSE_PS4_PT2_iSD_SD_,"axG",@progbits,_Z39paged_attention_ll4mi_QKV_mfma16_kernelI14__hip_bfloat16hLN4vllm18Fp8KVCacheDataTypeE1ES0_Li32ELi64ELi256ELb0ELi15EL8MFMAType1EEvPKT_PKT0_S9_ifPKiSB_SB_iPKfiiiPfSE_PS4_PT2_iSD_SD_,comdat
.Lfunc_end748:
	.size	_Z39paged_attention_ll4mi_QKV_mfma16_kernelI14__hip_bfloat16hLN4vllm18Fp8KVCacheDataTypeE1ES0_Li32ELi64ELi256ELb0ELi15EL8MFMAType1EEvPKT_PKT0_S9_ifPKiSB_SB_iPKfiiiPfSE_PS4_PT2_iSD_SD_, .Lfunc_end748-_Z39paged_attention_ll4mi_QKV_mfma16_kernelI14__hip_bfloat16hLN4vllm18Fp8KVCacheDataTypeE1ES0_Li32ELi64ELi256ELb0ELi15EL8MFMAType1EEvPKT_PKT0_S9_ifPKiSB_SB_iPKfiiiPfSE_PS4_PT2_iSD_SD_
                                        ; -- End function
	.section	.AMDGPU.csdata,"",@progbits
; Kernel info:
; codeLenInByte = 504
; NumSgprs: 40
; NumVgprs: 42
; NumAgprs: 1
; TotalNumVgprs: 45
; ScratchSize: 64
; MemoryBound: 0
; FloatMode: 240
; IeeeMode: 1
; LDSByteSize: 8192 bytes/workgroup (compile time only)
; SGPRBlocks: 4
; VGPRBlocks: 5
; NumSGPRsForWavesPerEU: 40
; NumVGPRsForWavesPerEU: 45
; AccumOffset: 44
; Occupancy: 8
; WaveLimiterHint : 1
; COMPUTE_PGM_RSRC2:SCRATCH_EN: 1
; COMPUTE_PGM_RSRC2:USER_SGPR: 8
; COMPUTE_PGM_RSRC2:TRAP_HANDLER: 0
; COMPUTE_PGM_RSRC2:TGID_X_EN: 1
; COMPUTE_PGM_RSRC2:TGID_Y_EN: 1
; COMPUTE_PGM_RSRC2:TGID_Z_EN: 1
; COMPUTE_PGM_RSRC2:TIDIG_COMP_CNT: 0
; COMPUTE_PGM_RSRC3_GFX90A:ACCUM_OFFSET: 10
; COMPUTE_PGM_RSRC3_GFX90A:TG_SPLIT: 0
	.section	.text._Z39paged_attention_ll4mi_QKV_mfma16_kernelI14__hip_bfloat16hLN4vllm18Fp8KVCacheDataTypeE1ES0_Li32ELi64ELi256ELb0ELi16EL8MFMAType1EEvPKT_PKT0_S9_ifPKiSB_SB_iPKfiiiPfSE_PS4_PT2_iSD_SD_,"axG",@progbits,_Z39paged_attention_ll4mi_QKV_mfma16_kernelI14__hip_bfloat16hLN4vllm18Fp8KVCacheDataTypeE1ES0_Li32ELi64ELi256ELb0ELi16EL8MFMAType1EEvPKT_PKT0_S9_ifPKiSB_SB_iPKfiiiPfSE_PS4_PT2_iSD_SD_,comdat
	.protected	_Z39paged_attention_ll4mi_QKV_mfma16_kernelI14__hip_bfloat16hLN4vllm18Fp8KVCacheDataTypeE1ES0_Li32ELi64ELi256ELb0ELi16EL8MFMAType1EEvPKT_PKT0_S9_ifPKiSB_SB_iPKfiiiPfSE_PS4_PT2_iSD_SD_ ; -- Begin function _Z39paged_attention_ll4mi_QKV_mfma16_kernelI14__hip_bfloat16hLN4vllm18Fp8KVCacheDataTypeE1ES0_Li32ELi64ELi256ELb0ELi16EL8MFMAType1EEvPKT_PKT0_S9_ifPKiSB_SB_iPKfiiiPfSE_PS4_PT2_iSD_SD_
	.globl	_Z39paged_attention_ll4mi_QKV_mfma16_kernelI14__hip_bfloat16hLN4vllm18Fp8KVCacheDataTypeE1ES0_Li32ELi64ELi256ELb0ELi16EL8MFMAType1EEvPKT_PKT0_S9_ifPKiSB_SB_iPKfiiiPfSE_PS4_PT2_iSD_SD_
	.p2align	8
	.type	_Z39paged_attention_ll4mi_QKV_mfma16_kernelI14__hip_bfloat16hLN4vllm18Fp8KVCacheDataTypeE1ES0_Li32ELi64ELi256ELb0ELi16EL8MFMAType1EEvPKT_PKT0_S9_ifPKiSB_SB_iPKfiiiPfSE_PS4_PT2_iSD_SD_,@function
_Z39paged_attention_ll4mi_QKV_mfma16_kernelI14__hip_bfloat16hLN4vllm18Fp8KVCacheDataTypeE1ES0_Li32ELi64ELi256ELb0ELi16EL8MFMAType1EEvPKT_PKT0_S9_ifPKiSB_SB_iPKfiiiPfSE_PS4_PT2_iSD_SD_: ; @_Z39paged_attention_ll4mi_QKV_mfma16_kernelI14__hip_bfloat16hLN4vllm18Fp8KVCacheDataTypeE1ES0_Li32ELi64ELi256ELb0ELi16EL8MFMAType1EEvPKT_PKT0_S9_ifPKiSB_SB_iPKfiiiPfSE_PS4_PT2_iSD_SD_
; %bb.0:
	s_load_dwordx2 s[12:13], s[4:5], 0x30
	s_add_u32 flat_scratch_lo, s6, s11
	s_addc_u32 flat_scratch_hi, s7, 0
	s_add_u32 s0, s0, s11
	s_addc_u32 s1, s1, 0
	s_waitcnt lgkmcnt(0)
	s_cmp_lg_u64 s[12:13], 0
	s_cselect_b64 s[14:15], -1, 0
	s_mov_b32 s6, s9
	s_mov_b64 s[16:17], 0
	s_and_b64 vcc, exec, s[14:15]
	s_mov_b32 s32, 0
	s_cbranch_vccz .LBB749_11
; %bb.1:
	s_add_i32 s18, s8, 1
	s_mov_b32 s19, 0
	s_lshl_b64 s[20:21], s[18:19], 2
	s_add_u32 s20, s12, s20
	s_mov_b32 s9, s19
	s_addc_u32 s21, s13, s21
	s_lshl_b64 s[18:19], s[8:9], 2
	s_add_u32 s18, s12, s18
	s_addc_u32 s19, s13, s19
	s_load_dword s7, s[20:21], 0x0
	s_load_dword s11, s[18:19], 0x0
	s_waitcnt lgkmcnt(0)
	s_sub_i32 s7, s7, s11
	s_cmp_eq_u32 s7, 1
	s_cselect_b64 s[18:19], -1, 0
	s_andn2_b64 vcc, exec, s[16:17]
	s_cbranch_vccnz .LBB749_3
.LBB749_2:
	s_mov_b32 s9, 0
	s_mov_b64 s[18:19], -1
.LBB749_3:
	s_andn2_b64 vcc, exec, s[18:19]
	s_cbranch_vccnz .LBB749_10
; %bb.4:
	s_load_dwordx2 s[18:19], s[4:5], 0x28
	s_lshl_b64 s[16:17], s[8:9], 2
	s_waitcnt lgkmcnt(0)
	s_add_u32 s18, s18, s16
	s_addc_u32 s19, s19, s17
	s_load_dword s7, s[18:19], 0x0
	s_lshl_b32 s6, s6, 8
	s_waitcnt lgkmcnt(0)
	s_cmp_ge_i32 s6, s7
	s_cbranch_scc1 .LBB749_10
; %bb.5:
	s_andn2_b64 vcc, exec, s[14:15]
	s_cbranch_vccnz .LBB749_7
; %bb.6:
	s_add_u32 s6, s12, s16
	s_addc_u32 s7, s13, s17
	s_load_dword s8, s[6:7], 0x0
.LBB749_7:
	v_and_b32_e32 v1, 15, v0
	s_movk_i32 s6, 0x100
	v_cmp_gt_u32_e32 vcc, s6, v0
	v_cmp_gt_u32_e64 s[6:7], 8, v1
	s_and_b64 s[12:13], vcc, s[6:7]
	s_and_saveexec_b64 s[6:7], s[12:13]
	s_cbranch_execz .LBB749_9
; %bb.8:
	s_load_dword s9, s[4:5], 0x48
	s_load_dwordx2 s[12:13], s[4:5], 0x0
	v_lshrrev_b32_e32 v6, 4, v0
	v_lshlrev_b32_e32 v0, 4, v0
	v_and_b32_e32 v0, 16, v0
	s_waitcnt lgkmcnt(0)
	s_ashr_i32 s11, s9, 31
	s_mul_hi_u32 s15, s8, s9
	s_mul_i32 s14, s8, s9
	s_mul_i32 s8, s8, s11
	s_add_i32 s15, s15, s8
	s_lshl_b64 s[8:9], s[14:15], 1
	s_add_u32 s8, s12, s8
	s_addc_u32 s9, s13, s9
	s_lshl_b32 s10, s10, 10
	v_lshl_or_b32 v2, v6, 6, s10
	v_ashrrev_i32_e32 v3, 31, v2
	v_lshlrev_b64 v[2:3], 1, v[2:3]
	v_mov_b32_e32 v4, s9
	v_add_co_u32_e32 v2, vcc, s8, v2
	v_addc_co_u32_e32 v3, vcc, v4, v3, vcc
	v_lshlrev_b32_e32 v4, 4, v1
	v_add_co_u32_e32 v2, vcc, v2, v4
	v_addc_co_u32_e32 v3, vcc, 0, v3, vcc
	global_load_dwordx4 v[2:5], v[2:3], off
	v_lshlrev_b32_e32 v1, 8, v1
	v_lshlrev_b32_e32 v6, 5, v6
	v_and_b32_e32 v1, 0xe00, v1
	v_or3_b32 v0, v1, v6, v0
	s_waitcnt vmcnt(0)
	ds_write_b128 v0, v[2:5]
.LBB749_9:
	s_or_b64 exec, exec, s[6:7]
	s_waitcnt lgkmcnt(0)
	s_add_u32 s8, s4, 0x90
	s_addc_u32 s9, s5, 0
	s_getpc_b64 s[4:5]
	s_add_u32 s4, s4, __PRETTY_FUNCTION__._Z39paged_attention_ll4mi_QKV_mfma16_kernelI14__hip_bfloat16hLN4vllm18Fp8KVCacheDataTypeE1ES0_Li32ELi64ELi256ELb0ELi16EL8MFMAType1EEvPKT_PKT0_S9_ifPKiSB_SB_iPKfiiiPfSE_PS4_PT2_iSD_SD_@rel32@lo+4
	s_addc_u32 s5, s5, __PRETTY_FUNCTION__._Z39paged_attention_ll4mi_QKV_mfma16_kernelI14__hip_bfloat16hLN4vllm18Fp8KVCacheDataTypeE1ES0_Li32ELi64ELi256ELb0ELi16EL8MFMAType1EEvPKT_PKT0_S9_ifPKiSB_SB_iPKfiiiPfSE_PS4_PT2_iSD_SD_@rel32@hi+12
	v_mov_b32_e32 v0, 0x288
	v_mov_b32_e32 v1, s4
	;; [unrolled: 1-line block ×3, first 2 shown]
	s_barrier
	s_getpc_b64 s[6:7]
	s_add_u32 s6, s6, __assert_fail@rel32@lo+4
	s_addc_u32 s7, s7, __assert_fail@rel32@hi+12
	s_swappc_b64 s[30:31], s[6:7]
	; divergent unreachable
.LBB749_10:
	s_endpgm
.LBB749_11:
	s_mov_b64 s[18:19], 0
	s_branch .LBB749_2
	.section	.rodata,"a",@progbits
	.p2align	6, 0x0
	.amdhsa_kernel _Z39paged_attention_ll4mi_QKV_mfma16_kernelI14__hip_bfloat16hLN4vllm18Fp8KVCacheDataTypeE1ES0_Li32ELi64ELi256ELb0ELi16EL8MFMAType1EEvPKT_PKT0_S9_ifPKiSB_SB_iPKfiiiPfSE_PS4_PT2_iSD_SD_
		.amdhsa_group_segment_fixed_size 8192
		.amdhsa_private_segment_fixed_size 64
		.amdhsa_kernarg_size 400
		.amdhsa_user_sgpr_count 8
		.amdhsa_user_sgpr_private_segment_buffer 1
		.amdhsa_user_sgpr_dispatch_ptr 0
		.amdhsa_user_sgpr_queue_ptr 0
		.amdhsa_user_sgpr_kernarg_segment_ptr 1
		.amdhsa_user_sgpr_dispatch_id 0
		.amdhsa_user_sgpr_flat_scratch_init 1
		.amdhsa_user_sgpr_kernarg_preload_length 0
		.amdhsa_user_sgpr_kernarg_preload_offset 0
		.amdhsa_user_sgpr_private_segment_size 0
		.amdhsa_uses_dynamic_stack 0
		.amdhsa_system_sgpr_private_segment_wavefront_offset 1
		.amdhsa_system_sgpr_workgroup_id_x 1
		.amdhsa_system_sgpr_workgroup_id_y 1
		.amdhsa_system_sgpr_workgroup_id_z 1
		.amdhsa_system_sgpr_workgroup_info 0
		.amdhsa_system_vgpr_workitem_id 0
		.amdhsa_next_free_vgpr 45
		.amdhsa_next_free_sgpr 34
		.amdhsa_accum_offset 44
		.amdhsa_reserve_vcc 1
		.amdhsa_reserve_flat_scratch 1
		.amdhsa_float_round_mode_32 0
		.amdhsa_float_round_mode_16_64 0
		.amdhsa_float_denorm_mode_32 3
		.amdhsa_float_denorm_mode_16_64 3
		.amdhsa_dx10_clamp 1
		.amdhsa_ieee_mode 1
		.amdhsa_fp16_overflow 0
		.amdhsa_tg_split 0
		.amdhsa_exception_fp_ieee_invalid_op 0
		.amdhsa_exception_fp_denorm_src 0
		.amdhsa_exception_fp_ieee_div_zero 0
		.amdhsa_exception_fp_ieee_overflow 0
		.amdhsa_exception_fp_ieee_underflow 0
		.amdhsa_exception_fp_ieee_inexact 0
		.amdhsa_exception_int_div_zero 0
	.end_amdhsa_kernel
	.section	.text._Z39paged_attention_ll4mi_QKV_mfma16_kernelI14__hip_bfloat16hLN4vllm18Fp8KVCacheDataTypeE1ES0_Li32ELi64ELi256ELb0ELi16EL8MFMAType1EEvPKT_PKT0_S9_ifPKiSB_SB_iPKfiiiPfSE_PS4_PT2_iSD_SD_,"axG",@progbits,_Z39paged_attention_ll4mi_QKV_mfma16_kernelI14__hip_bfloat16hLN4vllm18Fp8KVCacheDataTypeE1ES0_Li32ELi64ELi256ELb0ELi16EL8MFMAType1EEvPKT_PKT0_S9_ifPKiSB_SB_iPKfiiiPfSE_PS4_PT2_iSD_SD_,comdat
.Lfunc_end749:
	.size	_Z39paged_attention_ll4mi_QKV_mfma16_kernelI14__hip_bfloat16hLN4vllm18Fp8KVCacheDataTypeE1ES0_Li32ELi64ELi256ELb0ELi16EL8MFMAType1EEvPKT_PKT0_S9_ifPKiSB_SB_iPKfiiiPfSE_PS4_PT2_iSD_SD_, .Lfunc_end749-_Z39paged_attention_ll4mi_QKV_mfma16_kernelI14__hip_bfloat16hLN4vllm18Fp8KVCacheDataTypeE1ES0_Li32ELi64ELi256ELb0ELi16EL8MFMAType1EEvPKT_PKT0_S9_ifPKiSB_SB_iPKfiiiPfSE_PS4_PT2_iSD_SD_
                                        ; -- End function
	.section	.AMDGPU.csdata,"",@progbits
; Kernel info:
; codeLenInByte = 504
; NumSgprs: 40
; NumVgprs: 42
; NumAgprs: 1
; TotalNumVgprs: 45
; ScratchSize: 64
; MemoryBound: 0
; FloatMode: 240
; IeeeMode: 1
; LDSByteSize: 8192 bytes/workgroup (compile time only)
; SGPRBlocks: 4
; VGPRBlocks: 5
; NumSGPRsForWavesPerEU: 40
; NumVGPRsForWavesPerEU: 45
; AccumOffset: 44
; Occupancy: 8
; WaveLimiterHint : 1
; COMPUTE_PGM_RSRC2:SCRATCH_EN: 1
; COMPUTE_PGM_RSRC2:USER_SGPR: 8
; COMPUTE_PGM_RSRC2:TRAP_HANDLER: 0
; COMPUTE_PGM_RSRC2:TGID_X_EN: 1
; COMPUTE_PGM_RSRC2:TGID_Y_EN: 1
; COMPUTE_PGM_RSRC2:TGID_Z_EN: 1
; COMPUTE_PGM_RSRC2:TIDIG_COMP_CNT: 0
; COMPUTE_PGM_RSRC3_GFX90A:ACCUM_OFFSET: 10
; COMPUTE_PGM_RSRC3_GFX90A:TG_SPLIT: 0
	.section	.text._Z39paged_attention_ll4mi_QKV_mfma16_kernelI14__hip_bfloat16hLN4vllm18Fp8KVCacheDataTypeE1ES0_Li32ELi64ELi256ELb0ELi1EL8MFMAType1EEvPKT_PKT0_S9_ifPKiSB_SB_iPKfiiiPfSE_PS4_PT2_iSD_SD_,"axG",@progbits,_Z39paged_attention_ll4mi_QKV_mfma16_kernelI14__hip_bfloat16hLN4vllm18Fp8KVCacheDataTypeE1ES0_Li32ELi64ELi256ELb0ELi1EL8MFMAType1EEvPKT_PKT0_S9_ifPKiSB_SB_iPKfiiiPfSE_PS4_PT2_iSD_SD_,comdat
	.protected	_Z39paged_attention_ll4mi_QKV_mfma16_kernelI14__hip_bfloat16hLN4vllm18Fp8KVCacheDataTypeE1ES0_Li32ELi64ELi256ELb0ELi1EL8MFMAType1EEvPKT_PKT0_S9_ifPKiSB_SB_iPKfiiiPfSE_PS4_PT2_iSD_SD_ ; -- Begin function _Z39paged_attention_ll4mi_QKV_mfma16_kernelI14__hip_bfloat16hLN4vllm18Fp8KVCacheDataTypeE1ES0_Li32ELi64ELi256ELb0ELi1EL8MFMAType1EEvPKT_PKT0_S9_ifPKiSB_SB_iPKfiiiPfSE_PS4_PT2_iSD_SD_
	.globl	_Z39paged_attention_ll4mi_QKV_mfma16_kernelI14__hip_bfloat16hLN4vllm18Fp8KVCacheDataTypeE1ES0_Li32ELi64ELi256ELb0ELi1EL8MFMAType1EEvPKT_PKT0_S9_ifPKiSB_SB_iPKfiiiPfSE_PS4_PT2_iSD_SD_
	.p2align	8
	.type	_Z39paged_attention_ll4mi_QKV_mfma16_kernelI14__hip_bfloat16hLN4vllm18Fp8KVCacheDataTypeE1ES0_Li32ELi64ELi256ELb0ELi1EL8MFMAType1EEvPKT_PKT0_S9_ifPKiSB_SB_iPKfiiiPfSE_PS4_PT2_iSD_SD_,@function
_Z39paged_attention_ll4mi_QKV_mfma16_kernelI14__hip_bfloat16hLN4vllm18Fp8KVCacheDataTypeE1ES0_Li32ELi64ELi256ELb0ELi1EL8MFMAType1EEvPKT_PKT0_S9_ifPKiSB_SB_iPKfiiiPfSE_PS4_PT2_iSD_SD_: ; @_Z39paged_attention_ll4mi_QKV_mfma16_kernelI14__hip_bfloat16hLN4vllm18Fp8KVCacheDataTypeE1ES0_Li32ELi64ELi256ELb0ELi1EL8MFMAType1EEvPKT_PKT0_S9_ifPKiSB_SB_iPKfiiiPfSE_PS4_PT2_iSD_SD_
; %bb.0:
	s_load_dwordx2 s[12:13], s[4:5], 0x30
	s_add_u32 flat_scratch_lo, s6, s11
	s_addc_u32 flat_scratch_hi, s7, 0
	s_add_u32 s0, s0, s11
	s_addc_u32 s1, s1, 0
	s_waitcnt lgkmcnt(0)
	s_cmp_lg_u64 s[12:13], 0
	s_cselect_b64 s[14:15], -1, 0
	s_mov_b32 s6, s9
	s_mov_b64 s[16:17], 0
	s_and_b64 vcc, exec, s[14:15]
	s_mov_b32 s32, 0
	s_cbranch_vccz .LBB750_11
; %bb.1:
	s_add_i32 s18, s8, 1
	s_mov_b32 s19, 0
	s_lshl_b64 s[20:21], s[18:19], 2
	s_add_u32 s20, s12, s20
	s_mov_b32 s9, s19
	s_addc_u32 s21, s13, s21
	s_lshl_b64 s[18:19], s[8:9], 2
	s_add_u32 s18, s12, s18
	s_addc_u32 s19, s13, s19
	s_load_dword s7, s[20:21], 0x0
	s_load_dword s11, s[18:19], 0x0
	s_waitcnt lgkmcnt(0)
	s_sub_i32 s7, s7, s11
	s_cmp_eq_u32 s7, 1
	s_cselect_b64 s[18:19], -1, 0
	s_andn2_b64 vcc, exec, s[16:17]
	s_cbranch_vccnz .LBB750_3
.LBB750_2:
	s_mov_b32 s9, 0
	s_mov_b64 s[18:19], -1
.LBB750_3:
	s_andn2_b64 vcc, exec, s[18:19]
	s_cbranch_vccnz .LBB750_10
; %bb.4:
	s_load_dwordx2 s[18:19], s[4:5], 0x28
	s_lshl_b64 s[16:17], s[8:9], 2
	s_waitcnt lgkmcnt(0)
	s_add_u32 s18, s18, s16
	s_addc_u32 s19, s19, s17
	s_load_dword s7, s[18:19], 0x0
	s_lshl_b32 s6, s6, 8
	s_waitcnt lgkmcnt(0)
	s_cmp_ge_i32 s6, s7
	s_cbranch_scc1 .LBB750_10
; %bb.5:
	s_andn2_b64 vcc, exec, s[14:15]
	s_cbranch_vccnz .LBB750_7
; %bb.6:
	s_add_u32 s6, s12, s16
	s_addc_u32 s7, s13, s17
	s_load_dword s8, s[6:7], 0x0
.LBB750_7:
	v_cmp_gt_u32_e32 vcc, 8, v0
	s_and_saveexec_b64 s[6:7], vcc
	s_cbranch_execz .LBB750_9
; %bb.8:
	s_load_dword s9, s[4:5], 0x48
	s_load_dwordx2 s[12:13], s[4:5], 0x0
	v_lshlrev_b32_e32 v1, 4, v0
	v_lshlrev_b32_e32 v0, 8, v0
	s_waitcnt lgkmcnt(0)
	s_ashr_i32 s11, s9, 31
	s_mul_hi_u32 s15, s8, s9
	s_mul_i32 s14, s8, s9
	s_mul_i32 s8, s8, s11
	s_add_i32 s15, s15, s8
	s_lshl_b64 s[8:9], s[14:15], 1
	s_add_u32 s11, s12, s8
	s_addc_u32 s12, s13, s9
	s_lshl_b32 s8, s10, 6
	s_ashr_i32 s9, s8, 31
	s_lshl_b64 s[8:9], s[8:9], 1
	s_add_u32 s8, s11, s8
	s_addc_u32 s9, s12, s9
	global_load_dwordx4 v[2:5], v1, s[8:9]
	v_and_b32_e32 v1, 16, v1
	s_mov_b32 s8, 0xfe00
	v_and_or_b32 v0, v0, s8, v1
	s_waitcnt vmcnt(0)
	ds_write_b128 v0, v[2:5]
.LBB750_9:
	s_or_b64 exec, exec, s[6:7]
	s_waitcnt lgkmcnt(0)
	s_add_u32 s8, s4, 0x90
	s_addc_u32 s9, s5, 0
	s_getpc_b64 s[4:5]
	s_add_u32 s4, s4, __PRETTY_FUNCTION__._Z39paged_attention_ll4mi_QKV_mfma16_kernelI14__hip_bfloat16hLN4vllm18Fp8KVCacheDataTypeE1ES0_Li32ELi64ELi256ELb0ELi1EL8MFMAType1EEvPKT_PKT0_S9_ifPKiSB_SB_iPKfiiiPfSE_PS4_PT2_iSD_SD_@rel32@lo+4
	s_addc_u32 s5, s5, __PRETTY_FUNCTION__._Z39paged_attention_ll4mi_QKV_mfma16_kernelI14__hip_bfloat16hLN4vllm18Fp8KVCacheDataTypeE1ES0_Li32ELi64ELi256ELb0ELi1EL8MFMAType1EEvPKT_PKT0_S9_ifPKiSB_SB_iPKfiiiPfSE_PS4_PT2_iSD_SD_@rel32@hi+12
	v_mov_b32_e32 v0, 0x288
	v_mov_b32_e32 v1, s4
	;; [unrolled: 1-line block ×3, first 2 shown]
	s_barrier
	s_getpc_b64 s[6:7]
	s_add_u32 s6, s6, __assert_fail@rel32@lo+4
	s_addc_u32 s7, s7, __assert_fail@rel32@hi+12
	s_swappc_b64 s[30:31], s[6:7]
	; divergent unreachable
.LBB750_10:
	s_endpgm
.LBB750_11:
	s_mov_b64 s[18:19], 0
	s_branch .LBB750_2
	.section	.rodata,"a",@progbits
	.p2align	6, 0x0
	.amdhsa_kernel _Z39paged_attention_ll4mi_QKV_mfma16_kernelI14__hip_bfloat16hLN4vllm18Fp8KVCacheDataTypeE1ES0_Li32ELi64ELi256ELb0ELi1EL8MFMAType1EEvPKT_PKT0_S9_ifPKiSB_SB_iPKfiiiPfSE_PS4_PT2_iSD_SD_
		.amdhsa_group_segment_fixed_size 8192
		.amdhsa_private_segment_fixed_size 64
		.amdhsa_kernarg_size 400
		.amdhsa_user_sgpr_count 8
		.amdhsa_user_sgpr_private_segment_buffer 1
		.amdhsa_user_sgpr_dispatch_ptr 0
		.amdhsa_user_sgpr_queue_ptr 0
		.amdhsa_user_sgpr_kernarg_segment_ptr 1
		.amdhsa_user_sgpr_dispatch_id 0
		.amdhsa_user_sgpr_flat_scratch_init 1
		.amdhsa_user_sgpr_kernarg_preload_length 0
		.amdhsa_user_sgpr_kernarg_preload_offset 0
		.amdhsa_user_sgpr_private_segment_size 0
		.amdhsa_uses_dynamic_stack 0
		.amdhsa_system_sgpr_private_segment_wavefront_offset 1
		.amdhsa_system_sgpr_workgroup_id_x 1
		.amdhsa_system_sgpr_workgroup_id_y 1
		.amdhsa_system_sgpr_workgroup_id_z 1
		.amdhsa_system_sgpr_workgroup_info 0
		.amdhsa_system_vgpr_workitem_id 0
		.amdhsa_next_free_vgpr 45
		.amdhsa_next_free_sgpr 34
		.amdhsa_accum_offset 44
		.amdhsa_reserve_vcc 1
		.amdhsa_reserve_flat_scratch 1
		.amdhsa_float_round_mode_32 0
		.amdhsa_float_round_mode_16_64 0
		.amdhsa_float_denorm_mode_32 3
		.amdhsa_float_denorm_mode_16_64 3
		.amdhsa_dx10_clamp 1
		.amdhsa_ieee_mode 1
		.amdhsa_fp16_overflow 0
		.amdhsa_tg_split 0
		.amdhsa_exception_fp_ieee_invalid_op 0
		.amdhsa_exception_fp_denorm_src 0
		.amdhsa_exception_fp_ieee_div_zero 0
		.amdhsa_exception_fp_ieee_overflow 0
		.amdhsa_exception_fp_ieee_underflow 0
		.amdhsa_exception_fp_ieee_inexact 0
		.amdhsa_exception_int_div_zero 0
	.end_amdhsa_kernel
	.section	.text._Z39paged_attention_ll4mi_QKV_mfma16_kernelI14__hip_bfloat16hLN4vllm18Fp8KVCacheDataTypeE1ES0_Li32ELi64ELi256ELb0ELi1EL8MFMAType1EEvPKT_PKT0_S9_ifPKiSB_SB_iPKfiiiPfSE_PS4_PT2_iSD_SD_,"axG",@progbits,_Z39paged_attention_ll4mi_QKV_mfma16_kernelI14__hip_bfloat16hLN4vllm18Fp8KVCacheDataTypeE1ES0_Li32ELi64ELi256ELb0ELi1EL8MFMAType1EEvPKT_PKT0_S9_ifPKiSB_SB_iPKfiiiPfSE_PS4_PT2_iSD_SD_,comdat
.Lfunc_end750:
	.size	_Z39paged_attention_ll4mi_QKV_mfma16_kernelI14__hip_bfloat16hLN4vllm18Fp8KVCacheDataTypeE1ES0_Li32ELi64ELi256ELb0ELi1EL8MFMAType1EEvPKT_PKT0_S9_ifPKiSB_SB_iPKfiiiPfSE_PS4_PT2_iSD_SD_, .Lfunc_end750-_Z39paged_attention_ll4mi_QKV_mfma16_kernelI14__hip_bfloat16hLN4vllm18Fp8KVCacheDataTypeE1ES0_Li32ELi64ELi256ELb0ELi1EL8MFMAType1EEvPKT_PKT0_S9_ifPKiSB_SB_iPKfiiiPfSE_PS4_PT2_iSD_SD_
                                        ; -- End function
	.section	.AMDGPU.csdata,"",@progbits
; Kernel info:
; codeLenInByte = 448
; NumSgprs: 40
; NumVgprs: 42
; NumAgprs: 1
; TotalNumVgprs: 45
; ScratchSize: 64
; MemoryBound: 0
; FloatMode: 240
; IeeeMode: 1
; LDSByteSize: 8192 bytes/workgroup (compile time only)
; SGPRBlocks: 4
; VGPRBlocks: 5
; NumSGPRsForWavesPerEU: 40
; NumVGPRsForWavesPerEU: 45
; AccumOffset: 44
; Occupancy: 8
; WaveLimiterHint : 1
; COMPUTE_PGM_RSRC2:SCRATCH_EN: 1
; COMPUTE_PGM_RSRC2:USER_SGPR: 8
; COMPUTE_PGM_RSRC2:TRAP_HANDLER: 0
; COMPUTE_PGM_RSRC2:TGID_X_EN: 1
; COMPUTE_PGM_RSRC2:TGID_Y_EN: 1
; COMPUTE_PGM_RSRC2:TGID_Z_EN: 1
; COMPUTE_PGM_RSRC2:TIDIG_COMP_CNT: 0
; COMPUTE_PGM_RSRC3_GFX90A:ACCUM_OFFSET: 10
; COMPUTE_PGM_RSRC3_GFX90A:TG_SPLIT: 0
	.section	.text._Z39paged_attention_ll4mi_QKV_mfma16_kernelI14__hip_bfloat16hLN4vllm18Fp8KVCacheDataTypeE1ES0_Li32ELi64ELi256ELb0ELi2EL8MFMAType1EEvPKT_PKT0_S9_ifPKiSB_SB_iPKfiiiPfSE_PS4_PT2_iSD_SD_,"axG",@progbits,_Z39paged_attention_ll4mi_QKV_mfma16_kernelI14__hip_bfloat16hLN4vllm18Fp8KVCacheDataTypeE1ES0_Li32ELi64ELi256ELb0ELi2EL8MFMAType1EEvPKT_PKT0_S9_ifPKiSB_SB_iPKfiiiPfSE_PS4_PT2_iSD_SD_,comdat
	.protected	_Z39paged_attention_ll4mi_QKV_mfma16_kernelI14__hip_bfloat16hLN4vllm18Fp8KVCacheDataTypeE1ES0_Li32ELi64ELi256ELb0ELi2EL8MFMAType1EEvPKT_PKT0_S9_ifPKiSB_SB_iPKfiiiPfSE_PS4_PT2_iSD_SD_ ; -- Begin function _Z39paged_attention_ll4mi_QKV_mfma16_kernelI14__hip_bfloat16hLN4vllm18Fp8KVCacheDataTypeE1ES0_Li32ELi64ELi256ELb0ELi2EL8MFMAType1EEvPKT_PKT0_S9_ifPKiSB_SB_iPKfiiiPfSE_PS4_PT2_iSD_SD_
	.globl	_Z39paged_attention_ll4mi_QKV_mfma16_kernelI14__hip_bfloat16hLN4vllm18Fp8KVCacheDataTypeE1ES0_Li32ELi64ELi256ELb0ELi2EL8MFMAType1EEvPKT_PKT0_S9_ifPKiSB_SB_iPKfiiiPfSE_PS4_PT2_iSD_SD_
	.p2align	8
	.type	_Z39paged_attention_ll4mi_QKV_mfma16_kernelI14__hip_bfloat16hLN4vllm18Fp8KVCacheDataTypeE1ES0_Li32ELi64ELi256ELb0ELi2EL8MFMAType1EEvPKT_PKT0_S9_ifPKiSB_SB_iPKfiiiPfSE_PS4_PT2_iSD_SD_,@function
_Z39paged_attention_ll4mi_QKV_mfma16_kernelI14__hip_bfloat16hLN4vllm18Fp8KVCacheDataTypeE1ES0_Li32ELi64ELi256ELb0ELi2EL8MFMAType1EEvPKT_PKT0_S9_ifPKiSB_SB_iPKfiiiPfSE_PS4_PT2_iSD_SD_: ; @_Z39paged_attention_ll4mi_QKV_mfma16_kernelI14__hip_bfloat16hLN4vllm18Fp8KVCacheDataTypeE1ES0_Li32ELi64ELi256ELb0ELi2EL8MFMAType1EEvPKT_PKT0_S9_ifPKiSB_SB_iPKfiiiPfSE_PS4_PT2_iSD_SD_
; %bb.0:
	s_load_dwordx2 s[12:13], s[4:5], 0x30
	s_add_u32 flat_scratch_lo, s6, s11
	s_addc_u32 flat_scratch_hi, s7, 0
	s_add_u32 s0, s0, s11
	s_addc_u32 s1, s1, 0
	s_waitcnt lgkmcnt(0)
	s_cmp_lg_u64 s[12:13], 0
	s_cselect_b64 s[14:15], -1, 0
	s_mov_b32 s6, s9
	s_mov_b64 s[16:17], 0
	s_and_b64 vcc, exec, s[14:15]
	s_mov_b32 s32, 0
	s_cbranch_vccz .LBB751_11
; %bb.1:
	s_add_i32 s18, s8, 1
	s_mov_b32 s19, 0
	s_lshl_b64 s[20:21], s[18:19], 2
	s_add_u32 s20, s12, s20
	s_mov_b32 s9, s19
	s_addc_u32 s21, s13, s21
	s_lshl_b64 s[18:19], s[8:9], 2
	s_add_u32 s18, s12, s18
	s_addc_u32 s19, s13, s19
	s_load_dword s7, s[20:21], 0x0
	s_load_dword s11, s[18:19], 0x0
	s_waitcnt lgkmcnt(0)
	s_sub_i32 s7, s7, s11
	s_cmp_eq_u32 s7, 1
	s_cselect_b64 s[18:19], -1, 0
	s_andn2_b64 vcc, exec, s[16:17]
	s_cbranch_vccnz .LBB751_3
.LBB751_2:
	s_mov_b32 s9, 0
	s_mov_b64 s[18:19], -1
.LBB751_3:
	s_andn2_b64 vcc, exec, s[18:19]
	s_cbranch_vccnz .LBB751_10
; %bb.4:
	s_load_dwordx2 s[18:19], s[4:5], 0x28
	s_lshl_b64 s[16:17], s[8:9], 2
	s_waitcnt lgkmcnt(0)
	s_add_u32 s18, s18, s16
	s_addc_u32 s19, s19, s17
	s_load_dword s7, s[18:19], 0x0
	s_lshl_b32 s6, s6, 8
	s_waitcnt lgkmcnt(0)
	s_cmp_ge_i32 s6, s7
	s_cbranch_scc1 .LBB751_10
; %bb.5:
	s_andn2_b64 vcc, exec, s[14:15]
	s_cbranch_vccnz .LBB751_7
; %bb.6:
	s_add_u32 s6, s12, s16
	s_addc_u32 s7, s13, s17
	s_load_dword s8, s[6:7], 0x0
.LBB751_7:
	v_and_b32_e32 v1, 15, v0
	v_cmp_gt_u32_e32 vcc, 32, v0
	v_cmp_gt_u32_e64 s[6:7], 8, v1
	s_and_b64 s[12:13], s[6:7], vcc
	s_and_saveexec_b64 s[6:7], s[12:13]
	s_cbranch_execz .LBB751_9
; %bb.8:
	s_load_dword s9, s[4:5], 0x48
	s_load_dwordx2 s[12:13], s[4:5], 0x0
	v_lshrrev_b32_e32 v6, 4, v0
	v_lshlrev_b32_e32 v0, 4, v0
	v_and_b32_e32 v0, 16, v0
	s_waitcnt lgkmcnt(0)
	s_ashr_i32 s11, s9, 31
	s_mul_hi_u32 s15, s8, s9
	s_mul_i32 s14, s8, s9
	s_mul_i32 s8, s8, s11
	s_add_i32 s15, s15, s8
	s_lshl_b64 s[8:9], s[14:15], 1
	s_add_u32 s8, s12, s8
	s_addc_u32 s9, s13, s9
	s_lshl_b32 s10, s10, 7
	v_lshl_or_b32 v2, v6, 6, s10
	v_ashrrev_i32_e32 v3, 31, v2
	v_lshlrev_b64 v[2:3], 1, v[2:3]
	v_mov_b32_e32 v4, s9
	v_add_co_u32_e32 v2, vcc, s8, v2
	v_addc_co_u32_e32 v3, vcc, v4, v3, vcc
	v_lshlrev_b32_e32 v4, 4, v1
	v_add_co_u32_e32 v2, vcc, v2, v4
	v_addc_co_u32_e32 v3, vcc, 0, v3, vcc
	global_load_dwordx4 v[2:5], v[2:3], off
	v_lshlrev_b32_e32 v1, 8, v1
	v_lshlrev_b32_e32 v6, 5, v6
	v_and_b32_e32 v1, 0xe00, v1
	v_or3_b32 v0, v1, v6, v0
	s_waitcnt vmcnt(0)
	ds_write_b128 v0, v[2:5]
.LBB751_9:
	s_or_b64 exec, exec, s[6:7]
	s_waitcnt lgkmcnt(0)
	s_add_u32 s8, s4, 0x90
	s_addc_u32 s9, s5, 0
	s_getpc_b64 s[4:5]
	s_add_u32 s4, s4, __PRETTY_FUNCTION__._Z39paged_attention_ll4mi_QKV_mfma16_kernelI14__hip_bfloat16hLN4vllm18Fp8KVCacheDataTypeE1ES0_Li32ELi64ELi256ELb0ELi2EL8MFMAType1EEvPKT_PKT0_S9_ifPKiSB_SB_iPKfiiiPfSE_PS4_PT2_iSD_SD_@rel32@lo+4
	s_addc_u32 s5, s5, __PRETTY_FUNCTION__._Z39paged_attention_ll4mi_QKV_mfma16_kernelI14__hip_bfloat16hLN4vllm18Fp8KVCacheDataTypeE1ES0_Li32ELi64ELi256ELb0ELi2EL8MFMAType1EEvPKT_PKT0_S9_ifPKiSB_SB_iPKfiiiPfSE_PS4_PT2_iSD_SD_@rel32@hi+12
	v_mov_b32_e32 v0, 0x288
	v_mov_b32_e32 v1, s4
	;; [unrolled: 1-line block ×3, first 2 shown]
	s_barrier
	s_getpc_b64 s[6:7]
	s_add_u32 s6, s6, __assert_fail@rel32@lo+4
	s_addc_u32 s7, s7, __assert_fail@rel32@hi+12
	s_swappc_b64 s[30:31], s[6:7]
	; divergent unreachable
.LBB751_10:
	s_endpgm
.LBB751_11:
	s_mov_b64 s[18:19], 0
	s_branch .LBB751_2
	.section	.rodata,"a",@progbits
	.p2align	6, 0x0
	.amdhsa_kernel _Z39paged_attention_ll4mi_QKV_mfma16_kernelI14__hip_bfloat16hLN4vllm18Fp8KVCacheDataTypeE1ES0_Li32ELi64ELi256ELb0ELi2EL8MFMAType1EEvPKT_PKT0_S9_ifPKiSB_SB_iPKfiiiPfSE_PS4_PT2_iSD_SD_
		.amdhsa_group_segment_fixed_size 8192
		.amdhsa_private_segment_fixed_size 64
		.amdhsa_kernarg_size 400
		.amdhsa_user_sgpr_count 8
		.amdhsa_user_sgpr_private_segment_buffer 1
		.amdhsa_user_sgpr_dispatch_ptr 0
		.amdhsa_user_sgpr_queue_ptr 0
		.amdhsa_user_sgpr_kernarg_segment_ptr 1
		.amdhsa_user_sgpr_dispatch_id 0
		.amdhsa_user_sgpr_flat_scratch_init 1
		.amdhsa_user_sgpr_kernarg_preload_length 0
		.amdhsa_user_sgpr_kernarg_preload_offset 0
		.amdhsa_user_sgpr_private_segment_size 0
		.amdhsa_uses_dynamic_stack 0
		.amdhsa_system_sgpr_private_segment_wavefront_offset 1
		.amdhsa_system_sgpr_workgroup_id_x 1
		.amdhsa_system_sgpr_workgroup_id_y 1
		.amdhsa_system_sgpr_workgroup_id_z 1
		.amdhsa_system_sgpr_workgroup_info 0
		.amdhsa_system_vgpr_workitem_id 0
		.amdhsa_next_free_vgpr 45
		.amdhsa_next_free_sgpr 34
		.amdhsa_accum_offset 44
		.amdhsa_reserve_vcc 1
		.amdhsa_reserve_flat_scratch 1
		.amdhsa_float_round_mode_32 0
		.amdhsa_float_round_mode_16_64 0
		.amdhsa_float_denorm_mode_32 3
		.amdhsa_float_denorm_mode_16_64 3
		.amdhsa_dx10_clamp 1
		.amdhsa_ieee_mode 1
		.amdhsa_fp16_overflow 0
		.amdhsa_tg_split 0
		.amdhsa_exception_fp_ieee_invalid_op 0
		.amdhsa_exception_fp_denorm_src 0
		.amdhsa_exception_fp_ieee_div_zero 0
		.amdhsa_exception_fp_ieee_overflow 0
		.amdhsa_exception_fp_ieee_underflow 0
		.amdhsa_exception_fp_ieee_inexact 0
		.amdhsa_exception_int_div_zero 0
	.end_amdhsa_kernel
	.section	.text._Z39paged_attention_ll4mi_QKV_mfma16_kernelI14__hip_bfloat16hLN4vllm18Fp8KVCacheDataTypeE1ES0_Li32ELi64ELi256ELb0ELi2EL8MFMAType1EEvPKT_PKT0_S9_ifPKiSB_SB_iPKfiiiPfSE_PS4_PT2_iSD_SD_,"axG",@progbits,_Z39paged_attention_ll4mi_QKV_mfma16_kernelI14__hip_bfloat16hLN4vllm18Fp8KVCacheDataTypeE1ES0_Li32ELi64ELi256ELb0ELi2EL8MFMAType1EEvPKT_PKT0_S9_ifPKiSB_SB_iPKfiiiPfSE_PS4_PT2_iSD_SD_,comdat
.Lfunc_end751:
	.size	_Z39paged_attention_ll4mi_QKV_mfma16_kernelI14__hip_bfloat16hLN4vllm18Fp8KVCacheDataTypeE1ES0_Li32ELi64ELi256ELb0ELi2EL8MFMAType1EEvPKT_PKT0_S9_ifPKiSB_SB_iPKfiiiPfSE_PS4_PT2_iSD_SD_, .Lfunc_end751-_Z39paged_attention_ll4mi_QKV_mfma16_kernelI14__hip_bfloat16hLN4vllm18Fp8KVCacheDataTypeE1ES0_Li32ELi64ELi256ELb0ELi2EL8MFMAType1EEvPKT_PKT0_S9_ifPKiSB_SB_iPKfiiiPfSE_PS4_PT2_iSD_SD_
                                        ; -- End function
	.section	.AMDGPU.csdata,"",@progbits
; Kernel info:
; codeLenInByte = 500
; NumSgprs: 40
; NumVgprs: 42
; NumAgprs: 1
; TotalNumVgprs: 45
; ScratchSize: 64
; MemoryBound: 0
; FloatMode: 240
; IeeeMode: 1
; LDSByteSize: 8192 bytes/workgroup (compile time only)
; SGPRBlocks: 4
; VGPRBlocks: 5
; NumSGPRsForWavesPerEU: 40
; NumVGPRsForWavesPerEU: 45
; AccumOffset: 44
; Occupancy: 8
; WaveLimiterHint : 1
; COMPUTE_PGM_RSRC2:SCRATCH_EN: 1
; COMPUTE_PGM_RSRC2:USER_SGPR: 8
; COMPUTE_PGM_RSRC2:TRAP_HANDLER: 0
; COMPUTE_PGM_RSRC2:TGID_X_EN: 1
; COMPUTE_PGM_RSRC2:TGID_Y_EN: 1
; COMPUTE_PGM_RSRC2:TGID_Z_EN: 1
; COMPUTE_PGM_RSRC2:TIDIG_COMP_CNT: 0
; COMPUTE_PGM_RSRC3_GFX90A:ACCUM_OFFSET: 10
; COMPUTE_PGM_RSRC3_GFX90A:TG_SPLIT: 0
	.section	.text._Z39paged_attention_ll4mi_QKV_mfma16_kernelI14__hip_bfloat16hLN4vllm18Fp8KVCacheDataTypeE1ES0_Li32ELi64ELi256ELb0ELi3EL8MFMAType1EEvPKT_PKT0_S9_ifPKiSB_SB_iPKfiiiPfSE_PS4_PT2_iSD_SD_,"axG",@progbits,_Z39paged_attention_ll4mi_QKV_mfma16_kernelI14__hip_bfloat16hLN4vllm18Fp8KVCacheDataTypeE1ES0_Li32ELi64ELi256ELb0ELi3EL8MFMAType1EEvPKT_PKT0_S9_ifPKiSB_SB_iPKfiiiPfSE_PS4_PT2_iSD_SD_,comdat
	.protected	_Z39paged_attention_ll4mi_QKV_mfma16_kernelI14__hip_bfloat16hLN4vllm18Fp8KVCacheDataTypeE1ES0_Li32ELi64ELi256ELb0ELi3EL8MFMAType1EEvPKT_PKT0_S9_ifPKiSB_SB_iPKfiiiPfSE_PS4_PT2_iSD_SD_ ; -- Begin function _Z39paged_attention_ll4mi_QKV_mfma16_kernelI14__hip_bfloat16hLN4vllm18Fp8KVCacheDataTypeE1ES0_Li32ELi64ELi256ELb0ELi3EL8MFMAType1EEvPKT_PKT0_S9_ifPKiSB_SB_iPKfiiiPfSE_PS4_PT2_iSD_SD_
	.globl	_Z39paged_attention_ll4mi_QKV_mfma16_kernelI14__hip_bfloat16hLN4vllm18Fp8KVCacheDataTypeE1ES0_Li32ELi64ELi256ELb0ELi3EL8MFMAType1EEvPKT_PKT0_S9_ifPKiSB_SB_iPKfiiiPfSE_PS4_PT2_iSD_SD_
	.p2align	8
	.type	_Z39paged_attention_ll4mi_QKV_mfma16_kernelI14__hip_bfloat16hLN4vllm18Fp8KVCacheDataTypeE1ES0_Li32ELi64ELi256ELb0ELi3EL8MFMAType1EEvPKT_PKT0_S9_ifPKiSB_SB_iPKfiiiPfSE_PS4_PT2_iSD_SD_,@function
_Z39paged_attention_ll4mi_QKV_mfma16_kernelI14__hip_bfloat16hLN4vllm18Fp8KVCacheDataTypeE1ES0_Li32ELi64ELi256ELb0ELi3EL8MFMAType1EEvPKT_PKT0_S9_ifPKiSB_SB_iPKfiiiPfSE_PS4_PT2_iSD_SD_: ; @_Z39paged_attention_ll4mi_QKV_mfma16_kernelI14__hip_bfloat16hLN4vllm18Fp8KVCacheDataTypeE1ES0_Li32ELi64ELi256ELb0ELi3EL8MFMAType1EEvPKT_PKT0_S9_ifPKiSB_SB_iPKfiiiPfSE_PS4_PT2_iSD_SD_
; %bb.0:
	s_load_dwordx2 s[12:13], s[4:5], 0x30
	s_add_u32 flat_scratch_lo, s6, s11
	s_addc_u32 flat_scratch_hi, s7, 0
	s_add_u32 s0, s0, s11
	s_addc_u32 s1, s1, 0
	s_waitcnt lgkmcnt(0)
	s_cmp_lg_u64 s[12:13], 0
	s_cselect_b64 s[14:15], -1, 0
	s_mov_b32 s6, s9
	s_mov_b64 s[16:17], 0
	s_and_b64 vcc, exec, s[14:15]
	s_mov_b32 s32, 0
	s_cbranch_vccz .LBB752_11
; %bb.1:
	s_add_i32 s18, s8, 1
	s_mov_b32 s19, 0
	s_lshl_b64 s[20:21], s[18:19], 2
	s_add_u32 s20, s12, s20
	s_mov_b32 s9, s19
	s_addc_u32 s21, s13, s21
	s_lshl_b64 s[18:19], s[8:9], 2
	s_add_u32 s18, s12, s18
	s_addc_u32 s19, s13, s19
	s_load_dword s7, s[20:21], 0x0
	s_load_dword s11, s[18:19], 0x0
	s_waitcnt lgkmcnt(0)
	s_sub_i32 s7, s7, s11
	s_cmp_eq_u32 s7, 1
	s_cselect_b64 s[18:19], -1, 0
	s_andn2_b64 vcc, exec, s[16:17]
	s_cbranch_vccnz .LBB752_3
.LBB752_2:
	s_mov_b32 s9, 0
	s_mov_b64 s[18:19], -1
.LBB752_3:
	s_andn2_b64 vcc, exec, s[18:19]
	s_cbranch_vccnz .LBB752_10
; %bb.4:
	s_load_dwordx2 s[18:19], s[4:5], 0x28
	s_lshl_b64 s[16:17], s[8:9], 2
	s_waitcnt lgkmcnt(0)
	s_add_u32 s18, s18, s16
	s_addc_u32 s19, s19, s17
	s_load_dword s7, s[18:19], 0x0
	s_lshl_b32 s6, s6, 8
	s_waitcnt lgkmcnt(0)
	s_cmp_ge_i32 s6, s7
	s_cbranch_scc1 .LBB752_10
; %bb.5:
	s_andn2_b64 vcc, exec, s[14:15]
	s_cbranch_vccnz .LBB752_7
; %bb.6:
	s_add_u32 s6, s12, s16
	s_addc_u32 s7, s13, s17
	s_load_dword s8, s[6:7], 0x0
.LBB752_7:
	v_and_b32_e32 v1, 15, v0
	v_cmp_gt_u32_e32 vcc, 48, v0
	v_cmp_gt_u32_e64 s[6:7], 8, v1
	s_and_b64 s[12:13], s[6:7], vcc
	s_and_saveexec_b64 s[6:7], s[12:13]
	s_cbranch_execz .LBB752_9
; %bb.8:
	s_load_dword s11, s[4:5], 0x48
	s_load_dwordx2 s[12:13], s[4:5], 0x0
	v_lshrrev_b32_e32 v6, 4, v0
	s_mul_i32 s10, s10, 3
	v_add_lshl_u32 v2, v6, s10, 6
	s_waitcnt lgkmcnt(0)
	s_ashr_i32 s9, s11, 31
	s_mul_hi_u32 s14, s8, s11
	s_mul_i32 s9, s8, s9
	s_add_i32 s9, s14, s9
	s_mul_i32 s8, s8, s11
	s_lshl_b64 s[8:9], s[8:9], 1
	s_add_u32 s8, s12, s8
	v_ashrrev_i32_e32 v3, 31, v2
	s_addc_u32 s9, s13, s9
	v_lshlrev_b64 v[2:3], 1, v[2:3]
	v_mov_b32_e32 v4, s9
	v_add_co_u32_e32 v2, vcc, s8, v2
	v_addc_co_u32_e32 v3, vcc, v4, v3, vcc
	v_lshlrev_b32_e32 v4, 4, v1
	v_add_co_u32_e32 v2, vcc, v2, v4
	v_addc_co_u32_e32 v3, vcc, 0, v3, vcc
	global_load_dwordx4 v[2:5], v[2:3], off
	v_lshlrev_b32_e32 v0, 4, v0
	v_lshlrev_b32_e32 v1, 8, v1
	v_and_b32_e32 v0, 16, v0
	v_lshlrev_b32_e32 v6, 5, v6
	v_and_b32_e32 v1, 0xe00, v1
	v_or3_b32 v0, v1, v6, v0
	s_waitcnt vmcnt(0)
	ds_write_b128 v0, v[2:5]
.LBB752_9:
	s_or_b64 exec, exec, s[6:7]
	s_waitcnt lgkmcnt(0)
	s_add_u32 s8, s4, 0x90
	s_addc_u32 s9, s5, 0
	s_getpc_b64 s[4:5]
	s_add_u32 s4, s4, __PRETTY_FUNCTION__._Z39paged_attention_ll4mi_QKV_mfma16_kernelI14__hip_bfloat16hLN4vllm18Fp8KVCacheDataTypeE1ES0_Li32ELi64ELi256ELb0ELi3EL8MFMAType1EEvPKT_PKT0_S9_ifPKiSB_SB_iPKfiiiPfSE_PS4_PT2_iSD_SD_@rel32@lo+4
	s_addc_u32 s5, s5, __PRETTY_FUNCTION__._Z39paged_attention_ll4mi_QKV_mfma16_kernelI14__hip_bfloat16hLN4vllm18Fp8KVCacheDataTypeE1ES0_Li32ELi64ELi256ELb0ELi3EL8MFMAType1EEvPKT_PKT0_S9_ifPKiSB_SB_iPKfiiiPfSE_PS4_PT2_iSD_SD_@rel32@hi+12
	v_mov_b32_e32 v0, 0x288
	v_mov_b32_e32 v1, s4
	;; [unrolled: 1-line block ×3, first 2 shown]
	s_barrier
	s_getpc_b64 s[6:7]
	s_add_u32 s6, s6, __assert_fail@rel32@lo+4
	s_addc_u32 s7, s7, __assert_fail@rel32@hi+12
	s_swappc_b64 s[30:31], s[6:7]
	; divergent unreachable
.LBB752_10:
	s_endpgm
.LBB752_11:
	s_mov_b64 s[18:19], 0
	s_branch .LBB752_2
	.section	.rodata,"a",@progbits
	.p2align	6, 0x0
	.amdhsa_kernel _Z39paged_attention_ll4mi_QKV_mfma16_kernelI14__hip_bfloat16hLN4vllm18Fp8KVCacheDataTypeE1ES0_Li32ELi64ELi256ELb0ELi3EL8MFMAType1EEvPKT_PKT0_S9_ifPKiSB_SB_iPKfiiiPfSE_PS4_PT2_iSD_SD_
		.amdhsa_group_segment_fixed_size 8192
		.amdhsa_private_segment_fixed_size 64
		.amdhsa_kernarg_size 400
		.amdhsa_user_sgpr_count 8
		.amdhsa_user_sgpr_private_segment_buffer 1
		.amdhsa_user_sgpr_dispatch_ptr 0
		.amdhsa_user_sgpr_queue_ptr 0
		.amdhsa_user_sgpr_kernarg_segment_ptr 1
		.amdhsa_user_sgpr_dispatch_id 0
		.amdhsa_user_sgpr_flat_scratch_init 1
		.amdhsa_user_sgpr_kernarg_preload_length 0
		.amdhsa_user_sgpr_kernarg_preload_offset 0
		.amdhsa_user_sgpr_private_segment_size 0
		.amdhsa_uses_dynamic_stack 0
		.amdhsa_system_sgpr_private_segment_wavefront_offset 1
		.amdhsa_system_sgpr_workgroup_id_x 1
		.amdhsa_system_sgpr_workgroup_id_y 1
		.amdhsa_system_sgpr_workgroup_id_z 1
		.amdhsa_system_sgpr_workgroup_info 0
		.amdhsa_system_vgpr_workitem_id 0
		.amdhsa_next_free_vgpr 45
		.amdhsa_next_free_sgpr 34
		.amdhsa_accum_offset 44
		.amdhsa_reserve_vcc 1
		.amdhsa_reserve_flat_scratch 1
		.amdhsa_float_round_mode_32 0
		.amdhsa_float_round_mode_16_64 0
		.amdhsa_float_denorm_mode_32 3
		.amdhsa_float_denorm_mode_16_64 3
		.amdhsa_dx10_clamp 1
		.amdhsa_ieee_mode 1
		.amdhsa_fp16_overflow 0
		.amdhsa_tg_split 0
		.amdhsa_exception_fp_ieee_invalid_op 0
		.amdhsa_exception_fp_denorm_src 0
		.amdhsa_exception_fp_ieee_div_zero 0
		.amdhsa_exception_fp_ieee_overflow 0
		.amdhsa_exception_fp_ieee_underflow 0
		.amdhsa_exception_fp_ieee_inexact 0
		.amdhsa_exception_int_div_zero 0
	.end_amdhsa_kernel
	.section	.text._Z39paged_attention_ll4mi_QKV_mfma16_kernelI14__hip_bfloat16hLN4vllm18Fp8KVCacheDataTypeE1ES0_Li32ELi64ELi256ELb0ELi3EL8MFMAType1EEvPKT_PKT0_S9_ifPKiSB_SB_iPKfiiiPfSE_PS4_PT2_iSD_SD_,"axG",@progbits,_Z39paged_attention_ll4mi_QKV_mfma16_kernelI14__hip_bfloat16hLN4vllm18Fp8KVCacheDataTypeE1ES0_Li32ELi64ELi256ELb0ELi3EL8MFMAType1EEvPKT_PKT0_S9_ifPKiSB_SB_iPKfiiiPfSE_PS4_PT2_iSD_SD_,comdat
.Lfunc_end752:
	.size	_Z39paged_attention_ll4mi_QKV_mfma16_kernelI14__hip_bfloat16hLN4vllm18Fp8KVCacheDataTypeE1ES0_Li32ELi64ELi256ELb0ELi3EL8MFMAType1EEvPKT_PKT0_S9_ifPKiSB_SB_iPKfiiiPfSE_PS4_PT2_iSD_SD_, .Lfunc_end752-_Z39paged_attention_ll4mi_QKV_mfma16_kernelI14__hip_bfloat16hLN4vllm18Fp8KVCacheDataTypeE1ES0_Li32ELi64ELi256ELb0ELi3EL8MFMAType1EEvPKT_PKT0_S9_ifPKiSB_SB_iPKfiiiPfSE_PS4_PT2_iSD_SD_
                                        ; -- End function
	.section	.AMDGPU.csdata,"",@progbits
; Kernel info:
; codeLenInByte = 500
; NumSgprs: 40
; NumVgprs: 42
; NumAgprs: 1
; TotalNumVgprs: 45
; ScratchSize: 64
; MemoryBound: 0
; FloatMode: 240
; IeeeMode: 1
; LDSByteSize: 8192 bytes/workgroup (compile time only)
; SGPRBlocks: 4
; VGPRBlocks: 5
; NumSGPRsForWavesPerEU: 40
; NumVGPRsForWavesPerEU: 45
; AccumOffset: 44
; Occupancy: 8
; WaveLimiterHint : 1
; COMPUTE_PGM_RSRC2:SCRATCH_EN: 1
; COMPUTE_PGM_RSRC2:USER_SGPR: 8
; COMPUTE_PGM_RSRC2:TRAP_HANDLER: 0
; COMPUTE_PGM_RSRC2:TGID_X_EN: 1
; COMPUTE_PGM_RSRC2:TGID_Y_EN: 1
; COMPUTE_PGM_RSRC2:TGID_Z_EN: 1
; COMPUTE_PGM_RSRC2:TIDIG_COMP_CNT: 0
; COMPUTE_PGM_RSRC3_GFX90A:ACCUM_OFFSET: 10
; COMPUTE_PGM_RSRC3_GFX90A:TG_SPLIT: 0
	.section	.text._Z39paged_attention_ll4mi_QKV_mfma16_kernelI14__hip_bfloat16hLN4vllm18Fp8KVCacheDataTypeE1ES0_Li32ELi64ELi256ELb0ELi4EL8MFMAType1EEvPKT_PKT0_S9_ifPKiSB_SB_iPKfiiiPfSE_PS4_PT2_iSD_SD_,"axG",@progbits,_Z39paged_attention_ll4mi_QKV_mfma16_kernelI14__hip_bfloat16hLN4vllm18Fp8KVCacheDataTypeE1ES0_Li32ELi64ELi256ELb0ELi4EL8MFMAType1EEvPKT_PKT0_S9_ifPKiSB_SB_iPKfiiiPfSE_PS4_PT2_iSD_SD_,comdat
	.protected	_Z39paged_attention_ll4mi_QKV_mfma16_kernelI14__hip_bfloat16hLN4vllm18Fp8KVCacheDataTypeE1ES0_Li32ELi64ELi256ELb0ELi4EL8MFMAType1EEvPKT_PKT0_S9_ifPKiSB_SB_iPKfiiiPfSE_PS4_PT2_iSD_SD_ ; -- Begin function _Z39paged_attention_ll4mi_QKV_mfma16_kernelI14__hip_bfloat16hLN4vllm18Fp8KVCacheDataTypeE1ES0_Li32ELi64ELi256ELb0ELi4EL8MFMAType1EEvPKT_PKT0_S9_ifPKiSB_SB_iPKfiiiPfSE_PS4_PT2_iSD_SD_
	.globl	_Z39paged_attention_ll4mi_QKV_mfma16_kernelI14__hip_bfloat16hLN4vllm18Fp8KVCacheDataTypeE1ES0_Li32ELi64ELi256ELb0ELi4EL8MFMAType1EEvPKT_PKT0_S9_ifPKiSB_SB_iPKfiiiPfSE_PS4_PT2_iSD_SD_
	.p2align	8
	.type	_Z39paged_attention_ll4mi_QKV_mfma16_kernelI14__hip_bfloat16hLN4vllm18Fp8KVCacheDataTypeE1ES0_Li32ELi64ELi256ELb0ELi4EL8MFMAType1EEvPKT_PKT0_S9_ifPKiSB_SB_iPKfiiiPfSE_PS4_PT2_iSD_SD_,@function
_Z39paged_attention_ll4mi_QKV_mfma16_kernelI14__hip_bfloat16hLN4vllm18Fp8KVCacheDataTypeE1ES0_Li32ELi64ELi256ELb0ELi4EL8MFMAType1EEvPKT_PKT0_S9_ifPKiSB_SB_iPKfiiiPfSE_PS4_PT2_iSD_SD_: ; @_Z39paged_attention_ll4mi_QKV_mfma16_kernelI14__hip_bfloat16hLN4vllm18Fp8KVCacheDataTypeE1ES0_Li32ELi64ELi256ELb0ELi4EL8MFMAType1EEvPKT_PKT0_S9_ifPKiSB_SB_iPKfiiiPfSE_PS4_PT2_iSD_SD_
; %bb.0:
	s_load_dwordx2 s[12:13], s[4:5], 0x30
	s_add_u32 flat_scratch_lo, s6, s11
	s_addc_u32 flat_scratch_hi, s7, 0
	s_add_u32 s0, s0, s11
	s_addc_u32 s1, s1, 0
	s_waitcnt lgkmcnt(0)
	s_cmp_lg_u64 s[12:13], 0
	s_cselect_b64 s[14:15], -1, 0
	s_mov_b32 s6, s9
	s_mov_b64 s[16:17], 0
	s_and_b64 vcc, exec, s[14:15]
	s_mov_b32 s32, 0
	s_cbranch_vccz .LBB753_11
; %bb.1:
	s_add_i32 s18, s8, 1
	s_mov_b32 s19, 0
	s_lshl_b64 s[20:21], s[18:19], 2
	s_add_u32 s20, s12, s20
	s_mov_b32 s9, s19
	s_addc_u32 s21, s13, s21
	s_lshl_b64 s[18:19], s[8:9], 2
	s_add_u32 s18, s12, s18
	s_addc_u32 s19, s13, s19
	s_load_dword s7, s[20:21], 0x0
	s_load_dword s11, s[18:19], 0x0
	s_waitcnt lgkmcnt(0)
	s_sub_i32 s7, s7, s11
	s_cmp_eq_u32 s7, 1
	s_cselect_b64 s[18:19], -1, 0
	s_andn2_b64 vcc, exec, s[16:17]
	s_cbranch_vccnz .LBB753_3
.LBB753_2:
	s_mov_b32 s9, 0
	s_mov_b64 s[18:19], -1
.LBB753_3:
	s_andn2_b64 vcc, exec, s[18:19]
	s_cbranch_vccnz .LBB753_10
; %bb.4:
	s_load_dwordx2 s[18:19], s[4:5], 0x28
	s_lshl_b64 s[16:17], s[8:9], 2
	s_waitcnt lgkmcnt(0)
	s_add_u32 s18, s18, s16
	s_addc_u32 s19, s19, s17
	s_load_dword s7, s[18:19], 0x0
	s_lshl_b32 s6, s6, 8
	s_waitcnt lgkmcnt(0)
	s_cmp_ge_i32 s6, s7
	s_cbranch_scc1 .LBB753_10
; %bb.5:
	s_andn2_b64 vcc, exec, s[14:15]
	s_cbranch_vccnz .LBB753_7
; %bb.6:
	s_add_u32 s6, s12, s16
	s_addc_u32 s7, s13, s17
	s_load_dword s8, s[6:7], 0x0
.LBB753_7:
	v_and_b32_e32 v1, 15, v0
	v_cmp_gt_u32_e32 vcc, 64, v0
	v_cmp_gt_u32_e64 s[6:7], 8, v1
	s_and_b64 s[12:13], vcc, s[6:7]
	s_and_saveexec_b64 s[6:7], s[12:13]
	s_cbranch_execz .LBB753_9
; %bb.8:
	s_load_dword s9, s[4:5], 0x48
	s_load_dwordx2 s[12:13], s[4:5], 0x0
	v_lshrrev_b32_e32 v6, 4, v0
	v_lshlrev_b32_e32 v0, 4, v0
	v_and_b32_e32 v0, 16, v0
	s_waitcnt lgkmcnt(0)
	s_ashr_i32 s11, s9, 31
	s_mul_hi_u32 s15, s8, s9
	s_mul_i32 s14, s8, s9
	s_mul_i32 s8, s8, s11
	s_add_i32 s15, s15, s8
	s_lshl_b64 s[8:9], s[14:15], 1
	s_add_u32 s8, s12, s8
	s_addc_u32 s9, s13, s9
	s_lshl_b32 s10, s10, 8
	v_lshl_or_b32 v2, v6, 6, s10
	v_ashrrev_i32_e32 v3, 31, v2
	v_lshlrev_b64 v[2:3], 1, v[2:3]
	v_mov_b32_e32 v4, s9
	v_add_co_u32_e32 v2, vcc, s8, v2
	v_addc_co_u32_e32 v3, vcc, v4, v3, vcc
	v_lshlrev_b32_e32 v4, 4, v1
	v_add_co_u32_e32 v2, vcc, v2, v4
	v_addc_co_u32_e32 v3, vcc, 0, v3, vcc
	global_load_dwordx4 v[2:5], v[2:3], off
	v_lshlrev_b32_e32 v1, 8, v1
	v_lshlrev_b32_e32 v6, 5, v6
	v_and_b32_e32 v1, 0xe00, v1
	v_or3_b32 v0, v1, v6, v0
	s_waitcnt vmcnt(0)
	ds_write_b128 v0, v[2:5]
.LBB753_9:
	s_or_b64 exec, exec, s[6:7]
	s_waitcnt lgkmcnt(0)
	s_add_u32 s8, s4, 0x90
	s_addc_u32 s9, s5, 0
	s_getpc_b64 s[4:5]
	s_add_u32 s4, s4, __PRETTY_FUNCTION__._Z39paged_attention_ll4mi_QKV_mfma16_kernelI14__hip_bfloat16hLN4vllm18Fp8KVCacheDataTypeE1ES0_Li32ELi64ELi256ELb0ELi4EL8MFMAType1EEvPKT_PKT0_S9_ifPKiSB_SB_iPKfiiiPfSE_PS4_PT2_iSD_SD_@rel32@lo+4
	s_addc_u32 s5, s5, __PRETTY_FUNCTION__._Z39paged_attention_ll4mi_QKV_mfma16_kernelI14__hip_bfloat16hLN4vllm18Fp8KVCacheDataTypeE1ES0_Li32ELi64ELi256ELb0ELi4EL8MFMAType1EEvPKT_PKT0_S9_ifPKiSB_SB_iPKfiiiPfSE_PS4_PT2_iSD_SD_@rel32@hi+12
	v_mov_b32_e32 v0, 0x288
	v_mov_b32_e32 v1, s4
	;; [unrolled: 1-line block ×3, first 2 shown]
	s_barrier
	s_getpc_b64 s[6:7]
	s_add_u32 s6, s6, __assert_fail@rel32@lo+4
	s_addc_u32 s7, s7, __assert_fail@rel32@hi+12
	s_swappc_b64 s[30:31], s[6:7]
	; divergent unreachable
.LBB753_10:
	s_endpgm
.LBB753_11:
	s_mov_b64 s[18:19], 0
	s_branch .LBB753_2
	.section	.rodata,"a",@progbits
	.p2align	6, 0x0
	.amdhsa_kernel _Z39paged_attention_ll4mi_QKV_mfma16_kernelI14__hip_bfloat16hLN4vllm18Fp8KVCacheDataTypeE1ES0_Li32ELi64ELi256ELb0ELi4EL8MFMAType1EEvPKT_PKT0_S9_ifPKiSB_SB_iPKfiiiPfSE_PS4_PT2_iSD_SD_
		.amdhsa_group_segment_fixed_size 8192
		.amdhsa_private_segment_fixed_size 64
		.amdhsa_kernarg_size 400
		.amdhsa_user_sgpr_count 8
		.amdhsa_user_sgpr_private_segment_buffer 1
		.amdhsa_user_sgpr_dispatch_ptr 0
		.amdhsa_user_sgpr_queue_ptr 0
		.amdhsa_user_sgpr_kernarg_segment_ptr 1
		.amdhsa_user_sgpr_dispatch_id 0
		.amdhsa_user_sgpr_flat_scratch_init 1
		.amdhsa_user_sgpr_kernarg_preload_length 0
		.amdhsa_user_sgpr_kernarg_preload_offset 0
		.amdhsa_user_sgpr_private_segment_size 0
		.amdhsa_uses_dynamic_stack 0
		.amdhsa_system_sgpr_private_segment_wavefront_offset 1
		.amdhsa_system_sgpr_workgroup_id_x 1
		.amdhsa_system_sgpr_workgroup_id_y 1
		.amdhsa_system_sgpr_workgroup_id_z 1
		.amdhsa_system_sgpr_workgroup_info 0
		.amdhsa_system_vgpr_workitem_id 0
		.amdhsa_next_free_vgpr 45
		.amdhsa_next_free_sgpr 34
		.amdhsa_accum_offset 44
		.amdhsa_reserve_vcc 1
		.amdhsa_reserve_flat_scratch 1
		.amdhsa_float_round_mode_32 0
		.amdhsa_float_round_mode_16_64 0
		.amdhsa_float_denorm_mode_32 3
		.amdhsa_float_denorm_mode_16_64 3
		.amdhsa_dx10_clamp 1
		.amdhsa_ieee_mode 1
		.amdhsa_fp16_overflow 0
		.amdhsa_tg_split 0
		.amdhsa_exception_fp_ieee_invalid_op 0
		.amdhsa_exception_fp_denorm_src 0
		.amdhsa_exception_fp_ieee_div_zero 0
		.amdhsa_exception_fp_ieee_overflow 0
		.amdhsa_exception_fp_ieee_underflow 0
		.amdhsa_exception_fp_ieee_inexact 0
		.amdhsa_exception_int_div_zero 0
	.end_amdhsa_kernel
	.section	.text._Z39paged_attention_ll4mi_QKV_mfma16_kernelI14__hip_bfloat16hLN4vllm18Fp8KVCacheDataTypeE1ES0_Li32ELi64ELi256ELb0ELi4EL8MFMAType1EEvPKT_PKT0_S9_ifPKiSB_SB_iPKfiiiPfSE_PS4_PT2_iSD_SD_,"axG",@progbits,_Z39paged_attention_ll4mi_QKV_mfma16_kernelI14__hip_bfloat16hLN4vllm18Fp8KVCacheDataTypeE1ES0_Li32ELi64ELi256ELb0ELi4EL8MFMAType1EEvPKT_PKT0_S9_ifPKiSB_SB_iPKfiiiPfSE_PS4_PT2_iSD_SD_,comdat
.Lfunc_end753:
	.size	_Z39paged_attention_ll4mi_QKV_mfma16_kernelI14__hip_bfloat16hLN4vllm18Fp8KVCacheDataTypeE1ES0_Li32ELi64ELi256ELb0ELi4EL8MFMAType1EEvPKT_PKT0_S9_ifPKiSB_SB_iPKfiiiPfSE_PS4_PT2_iSD_SD_, .Lfunc_end753-_Z39paged_attention_ll4mi_QKV_mfma16_kernelI14__hip_bfloat16hLN4vllm18Fp8KVCacheDataTypeE1ES0_Li32ELi64ELi256ELb0ELi4EL8MFMAType1EEvPKT_PKT0_S9_ifPKiSB_SB_iPKfiiiPfSE_PS4_PT2_iSD_SD_
                                        ; -- End function
	.section	.AMDGPU.csdata,"",@progbits
; Kernel info:
; codeLenInByte = 500
; NumSgprs: 40
; NumVgprs: 42
; NumAgprs: 1
; TotalNumVgprs: 45
; ScratchSize: 64
; MemoryBound: 0
; FloatMode: 240
; IeeeMode: 1
; LDSByteSize: 8192 bytes/workgroup (compile time only)
; SGPRBlocks: 4
; VGPRBlocks: 5
; NumSGPRsForWavesPerEU: 40
; NumVGPRsForWavesPerEU: 45
; AccumOffset: 44
; Occupancy: 8
; WaveLimiterHint : 1
; COMPUTE_PGM_RSRC2:SCRATCH_EN: 1
; COMPUTE_PGM_RSRC2:USER_SGPR: 8
; COMPUTE_PGM_RSRC2:TRAP_HANDLER: 0
; COMPUTE_PGM_RSRC2:TGID_X_EN: 1
; COMPUTE_PGM_RSRC2:TGID_Y_EN: 1
; COMPUTE_PGM_RSRC2:TGID_Z_EN: 1
; COMPUTE_PGM_RSRC2:TIDIG_COMP_CNT: 0
; COMPUTE_PGM_RSRC3_GFX90A:ACCUM_OFFSET: 10
; COMPUTE_PGM_RSRC3_GFX90A:TG_SPLIT: 0
	.section	.text._Z38paged_attention_ll4mi_QKV_mfma4_kernelI14__hip_bfloat16hLN4vllm18Fp8KVCacheDataTypeE1ES0_Li16ELi128ELi256ELb1ELi1EEvPKT_PKT0_S8_ifPKiSA_SA_iPKfiiiPfSD_PS3_PT2_iSC_SC_,"axG",@progbits,_Z38paged_attention_ll4mi_QKV_mfma4_kernelI14__hip_bfloat16hLN4vllm18Fp8KVCacheDataTypeE1ES0_Li16ELi128ELi256ELb1ELi1EEvPKT_PKT0_S8_ifPKiSA_SA_iPKfiiiPfSD_PS3_PT2_iSC_SC_,comdat
	.protected	_Z38paged_attention_ll4mi_QKV_mfma4_kernelI14__hip_bfloat16hLN4vllm18Fp8KVCacheDataTypeE1ES0_Li16ELi128ELi256ELb1ELi1EEvPKT_PKT0_S8_ifPKiSA_SA_iPKfiiiPfSD_PS3_PT2_iSC_SC_ ; -- Begin function _Z38paged_attention_ll4mi_QKV_mfma4_kernelI14__hip_bfloat16hLN4vllm18Fp8KVCacheDataTypeE1ES0_Li16ELi128ELi256ELb1ELi1EEvPKT_PKT0_S8_ifPKiSA_SA_iPKfiiiPfSD_PS3_PT2_iSC_SC_
	.globl	_Z38paged_attention_ll4mi_QKV_mfma4_kernelI14__hip_bfloat16hLN4vllm18Fp8KVCacheDataTypeE1ES0_Li16ELi128ELi256ELb1ELi1EEvPKT_PKT0_S8_ifPKiSA_SA_iPKfiiiPfSD_PS3_PT2_iSC_SC_
	.p2align	8
	.type	_Z38paged_attention_ll4mi_QKV_mfma4_kernelI14__hip_bfloat16hLN4vllm18Fp8KVCacheDataTypeE1ES0_Li16ELi128ELi256ELb1ELi1EEvPKT_PKT0_S8_ifPKiSA_SA_iPKfiiiPfSD_PS3_PT2_iSC_SC_,@function
_Z38paged_attention_ll4mi_QKV_mfma4_kernelI14__hip_bfloat16hLN4vllm18Fp8KVCacheDataTypeE1ES0_Li16ELi128ELi256ELb1ELi1EEvPKT_PKT0_S8_ifPKiSA_SA_iPKfiiiPfSD_PS3_PT2_iSC_SC_: ; @_Z38paged_attention_ll4mi_QKV_mfma4_kernelI14__hip_bfloat16hLN4vllm18Fp8KVCacheDataTypeE1ES0_Li16ELi128ELi256ELb1ELi1EEvPKT_PKT0_S8_ifPKiSA_SA_iPKfiiiPfSD_PS3_PT2_iSC_SC_
; %bb.0:
	s_load_dwordx2 s[12:13], s[4:5], 0x30
	s_add_u32 s0, s0, s11
	s_addc_u32 s1, s1, 0
	s_mov_b32 s28, s9
	s_mov_b64 s[6:7], 0
	s_waitcnt lgkmcnt(0)
	s_cmp_lg_u64 s[12:13], 0
	s_cselect_b64 s[14:15], -1, 0
	s_and_b64 vcc, exec, s[14:15]
	s_cbranch_vccz .LBB754_10
; %bb.1:
	s_add_i32 s16, s8, 1
	s_mov_b32 s17, 0
	s_lshl_b64 s[18:19], s[16:17], 2
	s_add_u32 s18, s12, s18
	s_mov_b32 s9, s17
	s_addc_u32 s19, s13, s19
	s_lshl_b64 s[16:17], s[8:9], 2
	s_add_u32 s16, s12, s16
	s_addc_u32 s17, s13, s17
	s_load_dword s11, s[18:19], 0x0
	s_load_dword s20, s[16:17], 0x0
	s_waitcnt lgkmcnt(0)
	s_sub_i32 s11, s11, s20
	s_cmp_eq_u32 s11, 1
	s_cselect_b64 s[16:17], -1, 0
	s_andn2_b64 vcc, exec, s[6:7]
	s_cbranch_vccnz .LBB754_3
.LBB754_2:
	s_mov_b32 s9, 0
	s_mov_b64 s[16:17], -1
.LBB754_3:
	s_andn2_b64 vcc, exec, s[16:17]
	s_cbranch_vccnz .LBB754_1180
; %bb.4:
	s_load_dword s11, s[4:5], 0x9c
	s_load_dwordx2 s[6:7], s[4:5], 0x28
	s_add_u32 s34, s4, 0x90
	s_addc_u32 s35, s5, 0
	s_lshl_b64 s[24:25], s[8:9], 2
	s_waitcnt lgkmcnt(0)
	s_and_b32 s11, s11, 0xffff
	s_add_u32 s6, s6, s24
	s_addc_u32 s7, s7, s25
	s_load_dword s9, s[6:7], 0x0
	s_mul_i32 s11, s28, s11
	s_waitcnt lgkmcnt(0)
	s_cmp_ge_i32 s11, s9
	s_cbranch_scc1 .LBB754_1180
; %bb.5:
	v_and_b32_e32 v1, 0xc0, v0
	v_add_u32_e32 v7, s11, v1
	v_lshrrev_b32_e32 v42, 6, v0
	v_cmp_le_i32_e64 s[6:7], s9, v7
                                        ; implicit-def: $sgpr27
                                        ; implicit-def: $sgpr26
	s_and_saveexec_b64 s[16:17], s[6:7]
	s_xor_b64 s[16:17], exec, s[16:17]
	s_cbranch_execz .LBB754_7
; %bb.6:
	v_mul_u32_u24_e32 v1, 20, v42
	v_or_b32_e32 v1, 0x1400, v1
	v_mov_b32_e32 v2, 0x1450
	v_mov_b32_e32 v3, 0xff7fffff
	v_mad_u32_u24 v2, v42, 20, v2
	ds_write2_b32 v1, v3, v3 offset1:1
	v_mov_b32_e32 v1, 0
	ds_write2_b32 v2, v1, v1 offset1:1
	v_mov_b32_e32 v2, 0x1408
	s_mov_b32 s26, 0xff7fffff
	s_mov_b32 s27, 0
	v_mad_u32_u24 v2, v42, 20, v2
	v_mov_b32_e32 v4, 0x1458
	v_mad_u32_u24 v4, v42, 20, v4
	ds_write2_b32 v2, v3, v3 offset1:1
	ds_write2_b32 v4, v1, v1 offset1:1
                                        ; implicit-def: $vgpr7
.LBB754_7:
	s_or_saveexec_b64 s[36:37], s[16:17]
	s_load_dwordx2 s[30:31], s[4:5], 0x68
	s_load_dwordx4 s[20:23], s[4:5], 0x58
	s_load_dword s33, s[34:35], 0x4
	s_load_dwordx4 s[16:19], s[4:5], 0x80
	v_and_b32_e32 v1, 63, v0
	v_and_b32_e32 v43, 3, v0
	v_mov_b32_e32 v5, s27
	v_mov_b32_e32 v6, s26
	;; [unrolled: 1-line block ×5, first 2 shown]
	s_xor_b64 exec, exec, s[36:37]
	s_cbranch_execz .LBB754_787
; %bb.8:
	s_add_i32 s38, s9, 15
	s_load_dwordx2 s[26:27], s[4:5], 0x20
	s_load_dword s29, s[4:5], 0x38
	s_ashr_i32 s39, s38, 31
	s_lshr_b32 s39, s39, 28
	v_add_u32_e32 v44, s11, v0
	s_add_i32 s38, s38, s39
	v_ashrrev_i32_e32 v2, 31, v44
	s_ashr_i32 s38, s38, 4
	v_lshrrev_b32_e32 v2, 28, v2
	s_add_i32 s40, s38, -1
	v_add_u32_e32 v2, v44, v2
	s_waitcnt lgkmcnt(0)
	s_mul_i32 s38, s8, s29
	s_mov_b32 s39, 0
	v_ashrrev_i32_e32 v2, 4, v2
	v_mov_b32_e32 v3, s40
	v_cmp_gt_i32_e32 vcc, s9, v44
	s_lshl_b64 s[38:39], s[38:39], 2
	v_cndmask_b32_e32 v2, v3, v2, vcc
	s_add_u32 s26, s26, s38
	v_ashrrev_i32_e32 v3, 31, v2
	s_addc_u32 s27, s27, s39
	v_lshlrev_b64 v[2:3], 2, v[2:3]
	v_mov_b32_e32 v4, s27
	v_add_co_u32_e32 v2, vcc, s26, v2
	v_addc_co_u32_e32 v3, vcc, v4, v3, vcc
	v_ashrrev_i32_e32 v4, 31, v7
	v_lshrrev_b32_e32 v4, 28, v4
	v_add_u32_e32 v4, v7, v4
	v_ashrrev_i32_e32 v12, 4, v4
	v_min_i32_e32 v4, s40, v12
	v_ashrrev_i32_e32 v5, 31, v4
	v_lshlrev_b64 v[4:5], 2, v[4:5]
	v_mov_b32_e32 v6, s27
	v_add_co_u32_e32 v4, vcc, s26, v4
	v_addc_co_u32_e32 v5, vcc, v6, v5, vcc
	v_add_u32_e32 v6, 1, v12
	v_min_i32_e32 v6, s40, v6
	v_ashrrev_i32_e32 v7, 31, v6
	v_lshlrev_b64 v[6:7], 2, v[6:7]
	v_add_co_u32_e32 v8, vcc, s26, v6
	v_add_u32_e32 v6, 2, v12
	v_mov_b32_e32 v9, s27
	v_min_i32_e32 v6, s40, v6
	v_addc_co_u32_e32 v9, vcc, v9, v7, vcc
	v_ashrrev_i32_e32 v7, 31, v6
	v_lshlrev_b64 v[6:7], 2, v[6:7]
	v_add_co_u32_e32 v10, vcc, s26, v6
	v_add_u32_e32 v6, 3, v12
	v_mov_b32_e32 v11, s27
	v_min_i32_e32 v6, s40, v6
	v_addc_co_u32_e32 v11, vcc, v11, v7, vcc
	v_ashrrev_i32_e32 v7, 31, v6
	v_lshlrev_b64 v[6:7], 2, v[6:7]
	v_mov_b32_e32 v13, s27
	v_add_co_u32_e32 v12, vcc, s26, v6
	v_addc_co_u32_e32 v13, vcc, v13, v7, vcc
	global_load_dword v6, v[2:3], off
	global_load_dword v47, v[4:5], off
	;; [unrolled: 1-line block ×5, first 2 shown]
	s_load_dwordx2 s[38:39], s[4:5], 0x8
	s_andn2_b64 vcc, exec, s[14:15]
	s_cbranch_vccnz .LBB754_11
; %bb.9:
	s_add_u32 s12, s12, s24
	s_addc_u32 s13, s13, s25
	s_load_dword s11, s[12:13], 0x0
	s_branch .LBB754_12
.LBB754_10:
	s_mov_b64 s[16:17], 0
	s_branch .LBB754_2
.LBB754_11:
	s_mov_b32 s11, s8
.LBB754_12:
	s_load_dwordx2 s[14:15], s[4:5], 0x10
	s_load_dwordx4 s[24:27], s[4:5], 0x48
	v_cmp_eq_u32_e32 vcc, 0, v43
	s_mov_b32 s41, 0
	v_mov_b32_e32 v45, 0
	v_mov_b32_e32 v2, 0
	v_mov_b32_e32 v3, 0
	v_mov_b32_e32 v4, 0
	v_mov_b32_e32 v5, 0
	s_and_saveexec_b64 s[12:13], vcc
	s_cbranch_execz .LBB754_14
; %bb.13:
	s_load_dwordx2 s[42:43], s[4:5], 0x0
	s_waitcnt lgkmcnt(0)
	s_ashr_i32 s27, s24, 31
	s_mul_hi_u32 s29, s11, s24
	s_mul_i32 s27, s11, s27
	s_add_i32 s45, s29, s27
	s_mul_i32 s44, s11, s24
	s_lshl_b64 s[44:45], s[44:45], 1
	s_add_u32 s11, s42, s44
	s_addc_u32 s24, s43, s45
	s_lshl_b32 s40, s10, 7
	s_lshl_b64 s[40:41], s[40:41], 1
	s_add_u32 s40, s11, s40
	s_addc_u32 s41, s24, s41
	v_lshlrev_b32_e32 v2, 2, v1
	global_load_dwordx4 v[2:5], v2, s[40:41]
.LBB754_14:
	s_or_b64 exec, exec, s[12:13]
	s_waitcnt lgkmcnt(0)
	s_mul_i32 s24, s10, s26
	s_add_u32 s12, s24, s38
	s_addc_u32 s13, 0, s39
	v_pk_mov_b32 v[8:9], s[12:13], s[12:13] op_sel:[0,1]
	s_waitcnt vmcnt(4)
	v_mad_i64_i32 v[6:7], s[12:13], v6, s25, v[8:9]
	v_lshlrev_b32_e32 v8, 4, v0
	v_and_b32_e32 v8, 0xf0, v8
	v_add_co_u32_e64 v38, s[12:13], v6, v8
	v_addc_co_u32_e64 v39, s[12:13], 0, v7, s[12:13]
	global_load_dwordx4 v[34:37], v[38:39], off
	global_load_dwordx4 v[30:33], v[38:39], off offset:256
	global_load_dwordx4 v[26:29], v[38:39], off offset:512
	global_load_dwordx4 v[22:25], v[38:39], off offset:768
	global_load_dwordx4 v[18:21], v[38:39], off offset:1024
	global_load_dwordx4 v[14:17], v[38:39], off offset:1280
	global_load_dwordx4 v[10:13], v[38:39], off offset:1536
	global_load_dwordx4 v[6:9], v[38:39], off offset:1792
	s_and_saveexec_b64 s[12:13], vcc
	s_cbranch_execz .LBB754_16
; %bb.15:
	s_load_dwordx2 s[26:27], s[4:5], 0x40
	s_mov_b32 s11, 0
	s_lshl_b64 s[38:39], s[10:11], 2
	s_waitcnt lgkmcnt(0)
	s_add_u32 s26, s26, s38
	s_addc_u32 s27, s27, s39
	s_load_dword s11, s[26:27], 0x0
	s_waitcnt lgkmcnt(0)
	v_mov_b32_e32 v45, s11
.LBB754_16:
	s_or_b64 exec, exec, s[12:13]
	s_waitcnt vmcnt(11)
	v_mul_hi_i32 v38, v47, s25
	v_ashrrev_i32_e32 v38, 31, v38
	v_lshrrev_b32_e32 v38, 29, v38
	v_mov_b32_e32 v39, 0
	s_add_u32 s11, s14, s24
	v_mad_i64_i32 v[48:49], s[12:13], v47, s25, v[38:39]
	s_addc_u32 s14, s15, 0
	v_and_b32_e32 v38, -8, v48
	v_mov_b32_e32 v47, s14
	v_add_co_u32_e64 v38, s[12:13], s11, v38
	v_addc_co_u32_e64 v47, s[12:13], v47, v49, s[12:13]
	v_lshlrev_b32_e32 v72, 4, v1
	v_add_co_u32_e64 v56, s[12:13], v38, v72
	s_waitcnt vmcnt(10)
	v_mul_hi_i32 v38, v46, s25
	v_ashrrev_i32_e32 v38, 31, v38
	v_lshrrev_b32_e32 v38, 29, v38
	v_addc_co_u32_e64 v57, s[12:13], 0, v47, s[12:13]
	v_mad_i64_i32 v[46:47], s[12:13], v46, s25, v[38:39]
	v_and_b32_e32 v38, -8, v46
	v_mov_b32_e32 v46, s14
	v_add_co_u32_e64 v38, s[12:13], s11, v38
	v_addc_co_u32_e64 v47, s[12:13], v46, v47, s[12:13]
	v_add_co_u32_e64 v46, s[12:13], v38, v72
	s_waitcnt vmcnt(9)
	v_mul_hi_i32 v38, v41, s25
	v_ashrrev_i32_e32 v38, 31, v38
	v_addc_co_u32_e64 v47, s[12:13], 0, v47, s[12:13]
	v_lshrrev_b32_e32 v38, 29, v38
	global_load_dwordx4 v[48:51], v[56:57], off
	global_load_dwordx4 v[52:55], v[56:57], off offset:1024
	s_nop 0
	global_load_dwordx4 v[56:59], v[46:47], off
	global_load_dwordx4 v[60:63], v[46:47], off offset:1024
	v_mad_i64_i32 v[46:47], s[12:13], v41, s25, v[38:39]
	v_and_b32_e32 v38, -8, v46
	v_mov_b32_e32 v41, s14
	v_add_co_u32_e64 v38, s[12:13], s11, v38
	v_addc_co_u32_e64 v41, s[12:13], v41, v47, s[12:13]
	v_add_co_u32_e64 v46, s[12:13], v38, v72
	s_waitcnt vmcnt(12)
	v_mul_hi_i32 v38, v40, s25
	v_ashrrev_i32_e32 v38, 31, v38
	v_lshrrev_b32_e32 v38, 29, v38
	v_addc_co_u32_e64 v47, s[12:13], 0, v41, s[12:13]
	v_mad_i64_i32 v[40:41], s[12:13], v40, s25, v[38:39]
	v_and_b32_e32 v38, -8, v40
	v_mov_b32_e32 v40, s14
	v_add_co_u32_e64 v38, s[12:13], s11, v38
	v_addc_co_u32_e64 v41, s[12:13], v40, v41, s[12:13]
	v_add_co_u32_e64 v40, s[12:13], v38, v72
	v_addc_co_u32_e64 v41, s[12:13], 0, v41, s[12:13]
	global_load_dwordx4 v[64:67], v[46:47], off
	global_load_dwordx4 v[68:71], v[46:47], off offset:1024
	global_load_dwordx4 v[72:75], v[40:41], off
	global_load_dwordx4 v[76:79], v[40:41], off offset:1024
	s_waitcnt vmcnt(15)
	v_cmp_ne_u16_sdwa s[12:13], v34, v39 src0_sel:BYTE_0 src1_sel:DWORD
	v_mov_b32_e32 v46, 0
	s_waitcnt vmcnt(7)
	buffer_store_dword v49, off, s[0:3], 0 offset:4
	buffer_store_dword v48, off, s[0:3], 0
	buffer_store_dword v51, off, s[0:3], 0 offset:12
	buffer_store_dword v50, off, s[0:3], 0 offset:8
	s_waitcnt vmcnt(10)
	buffer_store_dword v53, off, s[0:3], 0 offset:68
	buffer_store_dword v52, off, s[0:3], 0 offset:64
	buffer_store_dword v55, off, s[0:3], 0 offset:76
	buffer_store_dword v54, off, s[0:3], 0 offset:72
	s_waitcnt vmcnt(13)
	buffer_store_dword v57, off, s[0:3], 0 offset:20
	buffer_store_dword v56, off, s[0:3], 0 offset:16
	;; [unrolled: 5-line block ×7, first 2 shown]
	buffer_store_dword v79, off, s[0:3], 0 offset:124
	buffer_store_dword v78, off, s[0:3], 0 offset:120
	s_and_saveexec_b64 s[14:15], s[12:13]
	s_cbranch_execz .LBB754_22
; %bb.17:
	s_movk_i32 s11, 0x80
	v_cmp_ne_u16_sdwa s[12:13], v34, s11 src0_sel:BYTE_0 src1_sel:DWORD
	v_mov_b32_e32 v46, 0xffff8000
	s_and_saveexec_b64 s[24:25], s[12:13]
	s_cbranch_execz .LBB754_21
; %bb.18:
	s_movk_i32 s11, 0x7f
	v_and_b32_e32 v38, 0x7f, v34
	v_cmp_ne_u32_e64 s[12:13], s11, v38
	v_mov_b32_e32 v46, 0x7f80
	s_and_saveexec_b64 s[26:27], s[12:13]
	s_cbranch_execz .LBB754_20
; %bb.19:
	v_and_b32_e32 v40, 7, v34
	v_ffbh_u32_e32 v40, v40
	v_min_u32_e32 v40, 32, v40
	v_lshrrev_b32_e32 v41, 3, v38
	v_subrev_u32_e32 v46, 28, v40
	v_sub_u32_e32 v40, 29, v40
	v_cmp_gt_u32_e64 s[12:13], 8, v38
	v_cndmask_b32_e64 v38, v41, v40, s[12:13]
	v_cndmask_b32_e64 v40, 0, v46, s[12:13]
	v_lshlrev_b64 v[40:41], v40, v[34:35]
	v_lshlrev_b32_e32 v40, 20, v40
	v_lshlrev_b32_e32 v41, 24, v34
	v_bfrev_b32_e32 v46, 60
	v_and_b32_e32 v40, 0x700000, v40
	v_and_b32_e32 v41, 0x80000000, v41
	v_lshl_add_u32 v38, v38, 23, v46
	v_or3_b32 v38, v41, v38, v40
	v_lshrrev_b32_e32 v46, 16, v38
.LBB754_20:
	s_or_b64 exec, exec, s[26:27]
.LBB754_21:
	s_or_b64 exec, exec, s[24:25]
.LBB754_22:
	s_or_b64 exec, exec, s[14:15]
	v_lshrrev_b16_e32 v38, 8, v34
	v_cmp_ne_u16_e64 s[12:13], 0, v38
	s_and_saveexec_b64 s[14:15], s[12:13]
	s_cbranch_execz .LBB754_28
; %bb.23:
	s_movk_i32 s11, 0x80
	v_cmp_ne_u16_e64 s[12:13], s11, v38
	v_mov_b32_e32 v39, 0xffff8000
	s_and_saveexec_b64 s[24:25], s[12:13]
	s_cbranch_execz .LBB754_27
; %bb.24:
	s_movk_i32 s11, 0x7f
	v_and_b32_e32 v40, 0x7f, v38
	v_cmp_ne_u32_e64 s[12:13], s11, v40
	v_mov_b32_e32 v39, 0x7f80
	s_and_saveexec_b64 s[26:27], s[12:13]
	s_cbranch_execz .LBB754_26
; %bb.25:
	v_and_b32_e32 v41, 7, v38
	v_ffbh_u32_e32 v39, v41
	v_min_u32_e32 v48, 32, v39
	v_subrev_u32_e32 v39, 28, v48
	v_lshlrev_b64 v[38:39], v39, v[38:39]
	v_lshrrev_b32_e32 v47, 3, v40
	v_sub_u32_e32 v39, 29, v48
	v_and_b32_e32 v38, 7, v38
	v_cmp_gt_u32_e64 s[12:13], 8, v40
	v_cndmask_b32_e64 v39, v47, v39, s[12:13]
	v_cndmask_b32_e64 v38, v41, v38, s[12:13]
	v_lshlrev_b32_e32 v40, 16, v34
	v_bfrev_b32_e32 v41, 60
	v_lshlrev_b32_e32 v38, 20, v38
	v_and_b32_e32 v40, 0x80000000, v40
	v_lshl_add_u32 v39, v39, 23, v41
	v_or3_b32 v38, v40, v39, v38
	v_lshrrev_b32_e32 v39, 16, v38
.LBB754_26:
	s_or_b64 exec, exec, s[26:27]
.LBB754_27:
	s_or_b64 exec, exec, s[24:25]
.LBB754_28:
	s_or_b64 exec, exec, s[14:15]
	s_movk_i32 s11, 0xff
	v_and_b32_sdwa v40, v34, s11 dst_sel:DWORD dst_unused:UNUSED_PAD src0_sel:WORD_1 src1_sel:DWORD
	v_lshrrev_b32_e32 v38, 16, v34
	v_cmp_ne_u16_e64 s[12:13], 0, v40
	v_mov_b32_e32 v41, 0
	v_mov_b32_e32 v47, 0
	s_and_saveexec_b64 s[14:15], s[12:13]
	s_cbranch_execz .LBB754_34
; %bb.29:
	s_movk_i32 s11, 0x80
	v_cmp_ne_u16_e64 s[12:13], s11, v40
	v_mov_b32_e32 v47, 0xffff8000
	s_and_saveexec_b64 s[24:25], s[12:13]
	s_cbranch_execz .LBB754_33
; %bb.30:
	v_bfe_u32 v40, v34, 16, 7
	s_movk_i32 s11, 0x7f
	v_cmp_ne_u32_e64 s[12:13], s11, v40
	v_mov_b32_e32 v47, 0x7f80
	s_and_saveexec_b64 s[26:27], s[12:13]
	s_cbranch_execz .LBB754_32
; %bb.31:
	v_and_b32_e32 v47, 7, v38
	v_ffbh_u32_e32 v48, v47
	v_min_u32_e32 v51, 32, v48
	v_subrev_u32_e32 v48, 28, v51
	v_lshlrev_b64 v[48:49], v48, v[38:39]
	v_and_b32_e32 v48, 7, v48
	v_cmp_gt_u32_e64 s[12:13], 8, v40
	v_lshrrev_b32_e32 v50, 3, v40
	v_sub_u32_e32 v38, 29, v51
	v_cndmask_b32_e64 v40, v47, v48, s[12:13]
	v_mov_b32_e32 v47, 24
	v_cndmask_b32_e64 v38, v50, v38, s[12:13]
	v_lshlrev_b32_sdwa v47, v47, v34 dst_sel:DWORD dst_unused:UNUSED_PAD src0_sel:DWORD src1_sel:WORD_1
	v_bfrev_b32_e32 v48, 60
	v_lshlrev_b32_e32 v40, 20, v40
	v_and_b32_e32 v47, 0x80000000, v47
	v_lshl_add_u32 v38, v38, 23, v48
	v_or3_b32 v38, v47, v38, v40
	v_lshrrev_b32_e32 v47, 16, v38
.LBB754_32:
	s_or_b64 exec, exec, s[26:27]
.LBB754_33:
	s_or_b64 exec, exec, s[24:25]
.LBB754_34:
	s_or_b64 exec, exec, s[14:15]
	s_mov_b32 s11, 0xffffff
	v_cmp_lt_u32_e64 s[12:13], s11, v34
	v_mov_b32_e32 v48, 0
	s_and_saveexec_b64 s[14:15], s[12:13]
	s_cbranch_execz .LBB754_40
; %bb.35:
	v_lshrrev_b32_e32 v38, 24, v34
	s_movk_i32 s11, 0x80
	v_cmp_ne_u32_e64 s[12:13], s11, v38
	v_mov_b32_e32 v48, 0xffff8000
	s_and_saveexec_b64 s[24:25], s[12:13]
	s_cbranch_execz .LBB754_39
; %bb.36:
	v_bfe_u32 v40, v34, 24, 7
	s_movk_i32 s11, 0x7f
	v_cmp_ne_u32_e64 s[12:13], s11, v40
	v_mov_b32_e32 v48, 0x7f80
	s_and_saveexec_b64 s[26:27], s[12:13]
	s_cbranch_execz .LBB754_38
; %bb.37:
	v_and_b32_e32 v50, 7, v38
	v_ffbh_u32_e32 v48, v50
	v_min_u32_e32 v52, 32, v48
	v_subrev_u32_e32 v48, 28, v52
	v_lshlrev_b64 v[48:49], v48, v[38:39]
	v_lshrrev_b32_e32 v51, 3, v40
	v_sub_u32_e32 v49, 29, v52
	v_and_b32_e32 v48, 7, v48
	v_cmp_gt_u32_e64 s[12:13], 8, v40
	v_cndmask_b32_e64 v40, v51, v49, s[12:13]
	v_cndmask_b32_e64 v48, v50, v48, s[12:13]
	v_lshlrev_b32_e32 v38, 24, v38
	v_bfrev_b32_e32 v49, 60
	v_lshlrev_b32_e32 v48, 20, v48
	v_and_b32_e32 v38, 0x80000000, v38
	v_lshl_add_u32 v40, v40, 23, v49
	v_or3_b32 v38, v38, v40, v48
	v_lshrrev_b32_e32 v48, 16, v38
.LBB754_38:
	s_or_b64 exec, exec, s[26:27]
.LBB754_39:
	s_or_b64 exec, exec, s[24:25]
.LBB754_40:
	s_or_b64 exec, exec, s[14:15]
	v_mov_b32_e32 v49, 0
	v_mov_b32_e32 v40, v35
	v_cmp_ne_u16_sdwa s[12:13], v35, v49 src0_sel:BYTE_0 src1_sel:DWORD
	v_mov_b32_e32 v50, 0
	s_and_saveexec_b64 s[14:15], s[12:13]
	s_cbranch_execz .LBB754_46
; %bb.41:
	s_movk_i32 s11, 0x80
	v_cmp_ne_u16_sdwa s[12:13], v35, s11 src0_sel:BYTE_0 src1_sel:DWORD
	v_mov_b32_e32 v50, 0xffff8000
	s_and_saveexec_b64 s[24:25], s[12:13]
	s_cbranch_execz .LBB754_45
; %bb.42:
	s_movk_i32 s11, 0x7f
	v_and_b32_e32 v38, 0x7f, v35
	v_cmp_ne_u32_e64 s[12:13], s11, v38
	v_mov_b32_e32 v50, 0x7f80
	s_and_saveexec_b64 s[26:27], s[12:13]
	s_cbranch_execz .LBB754_44
; %bb.43:
	v_and_b32_e32 v50, 7, v35
	v_ffbh_u32_e32 v50, v50
	v_min_u32_e32 v50, 32, v50
	v_lshrrev_b32_e32 v51, 3, v38
	v_subrev_u32_e32 v52, 28, v50
	v_sub_u32_e32 v50, 29, v50
	v_cmp_gt_u32_e64 s[12:13], 8, v38
	v_cndmask_b32_e64 v38, v51, v50, s[12:13]
	v_cndmask_b32_e64 v50, 0, v52, s[12:13]
	v_lshlrev_b64 v[50:51], v50, v[40:41]
	v_lshlrev_b32_e32 v41, 20, v50
	v_lshlrev_b32_e32 v50, 24, v40
	v_bfrev_b32_e32 v51, 60
	v_and_b32_e32 v41, 0x700000, v41
	v_and_b32_e32 v50, 0x80000000, v50
	v_lshl_add_u32 v38, v38, 23, v51
	v_or3_b32 v38, v50, v38, v41
	v_lshrrev_b32_e32 v50, 16, v38
.LBB754_44:
	s_or_b64 exec, exec, s[26:27]
.LBB754_45:
	s_or_b64 exec, exec, s[24:25]
.LBB754_46:
	s_or_b64 exec, exec, s[14:15]
	v_lshrrev_b16_e32 v38, 8, v40
	v_cmp_ne_u16_e64 s[12:13], 0, v38
	s_and_saveexec_b64 s[14:15], s[12:13]
	s_cbranch_execz .LBB754_52
; %bb.47:
	s_movk_i32 s11, 0x80
	v_cmp_ne_u16_e64 s[12:13], s11, v38
	v_mov_b32_e32 v49, 0xffff8000
	s_and_saveexec_b64 s[24:25], s[12:13]
	s_cbranch_execz .LBB754_51
; %bb.48:
	s_movk_i32 s11, 0x7f
	v_and_b32_e32 v41, 0x7f, v38
	v_cmp_ne_u32_e64 s[12:13], s11, v41
	v_mov_b32_e32 v49, 0x7f80
	s_and_saveexec_b64 s[26:27], s[12:13]
	s_cbranch_execz .LBB754_50
; %bb.49:
	v_and_b32_e32 v49, 7, v38
	v_ffbh_u32_e32 v52, v49
	v_min_u32_e32 v54, 32, v52
	v_subrev_u32_e32 v52, 28, v54
	v_lshlrev_b64 v[52:53], v52, v[38:39]
	v_lshrrev_b32_e32 v51, 3, v41
	v_sub_u32_e32 v38, 29, v54
	v_and_b32_e32 v52, 7, v52
	v_cmp_gt_u32_e64 s[12:13], 8, v41
	v_cndmask_b32_e64 v38, v51, v38, s[12:13]
	v_cndmask_b32_e64 v41, v49, v52, s[12:13]
	v_lshlrev_b32_e32 v40, 16, v40
	v_bfrev_b32_e32 v49, 60
	v_lshlrev_b32_e32 v41, 20, v41
	v_and_b32_e32 v40, 0x80000000, v40
	v_lshl_add_u32 v38, v38, 23, v49
	v_or3_b32 v38, v40, v38, v41
	v_lshrrev_b32_e32 v49, 16, v38
.LBB754_50:
	s_or_b64 exec, exec, s[26:27]
.LBB754_51:
	s_or_b64 exec, exec, s[24:25]
.LBB754_52:
	s_or_b64 exec, exec, s[14:15]
	s_movk_i32 s11, 0xff
	v_and_b32_sdwa v51, v35, s11 dst_sel:DWORD dst_unused:UNUSED_PAD src0_sel:WORD_1 src1_sel:DWORD
	v_lshrrev_b32_e32 v38, 16, v35
	v_cmp_ne_u16_e64 s[12:13], 0, v51
	v_mov_b32_e32 v40, 0
	v_mov_b32_e32 v41, 0
	s_and_saveexec_b64 s[14:15], s[12:13]
	s_cbranch_execz .LBB754_58
; %bb.53:
	s_movk_i32 s11, 0x80
	v_cmp_ne_u16_e64 s[12:13], s11, v51
	v_mov_b32_e32 v41, 0xffff8000
	s_and_saveexec_b64 s[24:25], s[12:13]
	s_cbranch_execz .LBB754_57
; %bb.54:
	v_bfe_u32 v51, v35, 16, 7
	s_movk_i32 s11, 0x7f
	v_cmp_ne_u32_e64 s[12:13], s11, v51
	v_mov_b32_e32 v41, 0x7f80
	s_and_saveexec_b64 s[26:27], s[12:13]
	s_cbranch_execz .LBB754_56
; %bb.55:
	v_and_b32_e32 v41, 7, v38
	v_ffbh_u32_e32 v52, v41
	v_min_u32_e32 v55, 32, v52
	v_subrev_u32_e32 v52, 28, v55
	v_lshlrev_b64 v[52:53], v52, v[38:39]
	v_lshrrev_b32_e32 v54, 3, v51
	v_sub_u32_e32 v38, 29, v55
	v_and_b32_e32 v52, 7, v52
	v_cmp_gt_u32_e64 s[12:13], 8, v51
	v_mov_b32_e32 v51, 24
	v_cndmask_b32_e64 v38, v54, v38, s[12:13]
	v_cndmask_b32_e64 v41, v41, v52, s[12:13]
	v_lshlrev_b32_sdwa v51, v51, v35 dst_sel:DWORD dst_unused:UNUSED_PAD src0_sel:DWORD src1_sel:WORD_1
	v_bfrev_b32_e32 v52, 60
	v_lshlrev_b32_e32 v41, 20, v41
	v_and_b32_e32 v51, 0x80000000, v51
	v_lshl_add_u32 v38, v38, 23, v52
	v_or3_b32 v38, v51, v38, v41
	v_lshrrev_b32_e32 v41, 16, v38
.LBB754_56:
	s_or_b64 exec, exec, s[26:27]
.LBB754_57:
	s_or_b64 exec, exec, s[24:25]
.LBB754_58:
	s_or_b64 exec, exec, s[14:15]
	s_mov_b32 s12, -1
	s_mov_b32 s13, 0xffffff
	v_cmp_lt_u64_e64 s[12:13], s[12:13], v[34:35]
	s_and_saveexec_b64 s[14:15], s[12:13]
	s_cbranch_execz .LBB754_64
; %bb.59:
	v_lshrrev_b32_e32 v34, 24, v35
	s_movk_i32 s11, 0x80
	v_cmp_ne_u32_e64 s[12:13], s11, v34
	v_mov_b32_e32 v40, 0xffff8000
	s_and_saveexec_b64 s[24:25], s[12:13]
	s_cbranch_execz .LBB754_63
; %bb.60:
	v_bfe_u32 v35, v35, 24, 7
	s_movk_i32 s11, 0x7f
	v_cmp_ne_u32_e64 s[12:13], s11, v35
	v_mov_b32_e32 v40, 0x7f80
	s_and_saveexec_b64 s[26:27], s[12:13]
	s_cbranch_execz .LBB754_62
; %bb.61:
	v_and_b32_e32 v38, 7, v34
	v_ffbh_u32_e32 v51, v38
	v_min_u32_e32 v51, 32, v51
	v_subrev_u32_e32 v52, 28, v51
	v_lshlrev_b64 v[52:53], v52, v[34:35]
	v_lshrrev_b32_e32 v40, 3, v35
	v_sub_u32_e32 v51, 29, v51
	v_and_b32_e32 v52, 7, v52
	v_cmp_gt_u32_e64 s[12:13], 8, v35
	v_cndmask_b32_e64 v35, v40, v51, s[12:13]
	v_cndmask_b32_e64 v38, v38, v52, s[12:13]
	v_lshlrev_b32_e32 v34, 24, v34
	v_bfrev_b32_e32 v40, 60
	v_lshlrev_b32_e32 v38, 20, v38
	v_and_b32_e32 v34, 0x80000000, v34
	v_lshl_add_u32 v35, v35, 23, v40
	v_or3_b32 v34, v34, v35, v38
	v_lshrrev_b32_e32 v40, 16, v34
.LBB754_62:
	s_or_b64 exec, exec, s[26:27]
.LBB754_63:
	s_or_b64 exec, exec, s[24:25]
.LBB754_64:
	s_or_b64 exec, exec, s[14:15]
	s_mov_b32 s11, 0x5040100
	v_perm_b32 v35, v48, v47, s11
	v_perm_b32 v34, v39, v46, s11
	;; [unrolled: 1-line block ×4, first 2 shown]
	v_mfma_f32_4x4x4bf16_1k a[0:3], v[2:3], v[34:35], 0 cbsz:4
	v_mov_b32_e32 v39, 0
	v_mfma_f32_4x4x4bf16_1k a[0:3], v[4:5], v[40:41], a[0:3] cbsz:4
	v_mov_b32_e32 v40, 0
	v_cmp_ne_u16_sdwa s[12:13], v36, v40 src0_sel:BYTE_0 src1_sel:DWORD
	s_and_saveexec_b64 s[14:15], s[12:13]
	s_cbranch_execz .LBB754_70
; %bb.65:
	s_movk_i32 s11, 0x80
	v_cmp_ne_u16_sdwa s[12:13], v36, s11 src0_sel:BYTE_0 src1_sel:DWORD
	v_mov_b32_e32 v39, 0xffff8000
	s_and_saveexec_b64 s[24:25], s[12:13]
	s_cbranch_execz .LBB754_69
; %bb.66:
	s_movk_i32 s11, 0x7f
	v_and_b32_e32 v34, 0x7f, v36
	v_cmp_ne_u32_e64 s[12:13], s11, v34
	v_mov_b32_e32 v39, 0x7f80
	s_and_saveexec_b64 s[26:27], s[12:13]
	s_cbranch_execz .LBB754_68
; %bb.67:
	v_and_b32_e32 v35, 7, v36
	v_ffbh_u32_e32 v35, v35
	v_min_u32_e32 v35, 32, v35
	v_subrev_u32_e32 v39, 28, v35
	v_cmp_gt_u32_e64 s[12:13], 8, v34
	v_lshrrev_b32_e32 v38, 3, v34
	v_sub_u32_e32 v35, 29, v35
	v_cndmask_b32_e64 v34, 0, v39, s[12:13]
	v_cndmask_b32_e64 v38, v38, v35, s[12:13]
	v_lshlrev_b64 v[34:35], v34, v[36:37]
	v_lshlrev_b32_e32 v34, 20, v34
	v_lshlrev_b32_e32 v35, 24, v36
	v_bfrev_b32_e32 v39, 60
	v_and_b32_e32 v34, 0x700000, v34
	v_and_b32_e32 v35, 0x80000000, v35
	v_lshl_add_u32 v38, v38, 23, v39
	v_or3_b32 v34, v35, v38, v34
	v_lshrrev_b32_e32 v39, 16, v34
.LBB754_68:
	s_or_b64 exec, exec, s[26:27]
.LBB754_69:
	s_or_b64 exec, exec, s[24:25]
.LBB754_70:
	s_or_b64 exec, exec, s[14:15]
	v_lshrrev_b16_e32 v34, 8, v36
	v_cmp_ne_u16_e64 s[12:13], 0, v34
	s_and_saveexec_b64 s[14:15], s[12:13]
	s_cbranch_execz .LBB754_76
; %bb.71:
	s_movk_i32 s11, 0x80
	v_cmp_ne_u16_e64 s[12:13], s11, v34
	v_mov_b32_e32 v40, 0xffff8000
	s_and_saveexec_b64 s[24:25], s[12:13]
	s_cbranch_execz .LBB754_75
; %bb.72:
	s_movk_i32 s11, 0x7f
	v_and_b32_e32 v35, 0x7f, v34
	v_cmp_ne_u32_e64 s[12:13], s11, v35
	v_mov_b32_e32 v40, 0x7f80
	s_and_saveexec_b64 s[26:27], s[12:13]
	s_cbranch_execz .LBB754_74
; %bb.73:
	v_and_b32_e32 v38, 7, v34
	v_ffbh_u32_e32 v40, v38
	v_min_u32_e32 v47, 32, v40
	v_subrev_u32_e32 v40, 28, v47
	v_lshlrev_b64 v[40:41], v40, v[34:35]
	v_lshrrev_b32_e32 v46, 3, v35
	v_sub_u32_e32 v34, 29, v47
	v_and_b32_e32 v40, 7, v40
	v_cmp_gt_u32_e64 s[12:13], 8, v35
	v_cndmask_b32_e64 v34, v46, v34, s[12:13]
	v_cndmask_b32_e64 v35, v38, v40, s[12:13]
	v_lshlrev_b32_e32 v38, 16, v36
	v_bfrev_b32_e32 v40, 60
	v_lshlrev_b32_e32 v35, 20, v35
	v_and_b32_e32 v38, 0x80000000, v38
	v_lshl_add_u32 v34, v34, 23, v40
	v_or3_b32 v34, v38, v34, v35
	v_lshrrev_b32_e32 v40, 16, v34
.LBB754_74:
	s_or_b64 exec, exec, s[26:27]
.LBB754_75:
	s_or_b64 exec, exec, s[24:25]
.LBB754_76:
	s_or_b64 exec, exec, s[14:15]
	s_movk_i32 s11, 0xff
	v_and_b32_sdwa v38, v36, s11 dst_sel:DWORD dst_unused:UNUSED_PAD src0_sel:WORD_1 src1_sel:DWORD
	v_lshrrev_b32_e32 v34, 16, v36
	v_cmp_ne_u16_e64 s[12:13], 0, v38
	v_mov_b32_e32 v35, 0
	v_mov_b32_e32 v41, 0
	s_and_saveexec_b64 s[14:15], s[12:13]
	s_cbranch_execz .LBB754_82
; %bb.77:
	s_movk_i32 s11, 0x80
	v_cmp_ne_u16_e64 s[12:13], s11, v38
	v_mov_b32_e32 v41, 0xffff8000
	s_and_saveexec_b64 s[24:25], s[12:13]
	s_cbranch_execz .LBB754_81
; %bb.78:
	v_bfe_u32 v38, v36, 16, 7
	s_movk_i32 s11, 0x7f
	v_cmp_ne_u32_e64 s[12:13], s11, v38
	v_mov_b32_e32 v41, 0x7f80
	s_and_saveexec_b64 s[26:27], s[12:13]
	s_cbranch_execz .LBB754_80
; %bb.79:
	v_and_b32_e32 v41, 7, v34
	v_ffbh_u32_e32 v46, v41
	v_min_u32_e32 v49, 32, v46
	v_subrev_u32_e32 v46, 28, v49
	v_lshlrev_b64 v[46:47], v46, v[34:35]
	v_and_b32_e32 v46, 7, v46
	v_cmp_gt_u32_e64 s[12:13], 8, v38
	v_lshrrev_b32_e32 v48, 3, v38
	v_sub_u32_e32 v34, 29, v49
	v_cndmask_b32_e64 v38, v41, v46, s[12:13]
	v_mov_b32_e32 v41, 24
	v_cndmask_b32_e64 v34, v48, v34, s[12:13]
	v_lshlrev_b32_sdwa v41, v41, v36 dst_sel:DWORD dst_unused:UNUSED_PAD src0_sel:DWORD src1_sel:WORD_1
	v_bfrev_b32_e32 v46, 60
	v_lshlrev_b32_e32 v38, 20, v38
	v_and_b32_e32 v41, 0x80000000, v41
	v_lshl_add_u32 v34, v34, 23, v46
	v_or3_b32 v34, v41, v34, v38
	v_lshrrev_b32_e32 v41, 16, v34
.LBB754_80:
	s_or_b64 exec, exec, s[26:27]
.LBB754_81:
	s_or_b64 exec, exec, s[24:25]
.LBB754_82:
	s_or_b64 exec, exec, s[14:15]
	s_mov_b32 s11, 0xffffff
	v_cmp_lt_u32_e64 s[12:13], s11, v36
	v_mov_b32_e32 v46, 0
	s_and_saveexec_b64 s[14:15], s[12:13]
	s_cbranch_execz .LBB754_88
; %bb.83:
	v_lshrrev_b32_e32 v34, 24, v36
	s_movk_i32 s11, 0x80
	v_cmp_ne_u32_e64 s[12:13], s11, v34
	v_mov_b32_e32 v46, 0xffff8000
	s_and_saveexec_b64 s[24:25], s[12:13]
	s_cbranch_execz .LBB754_87
; %bb.84:
	v_bfe_u32 v38, v36, 24, 7
	s_movk_i32 s11, 0x7f
	v_cmp_ne_u32_e64 s[12:13], s11, v38
	v_mov_b32_e32 v46, 0x7f80
	s_and_saveexec_b64 s[26:27], s[12:13]
	s_cbranch_execz .LBB754_86
; %bb.85:
	v_and_b32_e32 v48, 7, v34
	v_ffbh_u32_e32 v46, v48
	v_min_u32_e32 v50, 32, v46
	v_subrev_u32_e32 v46, 28, v50
	v_lshlrev_b64 v[46:47], v46, v[34:35]
	v_lshrrev_b32_e32 v49, 3, v38
	v_sub_u32_e32 v47, 29, v50
	v_and_b32_e32 v46, 7, v46
	v_cmp_gt_u32_e64 s[12:13], 8, v38
	v_cndmask_b32_e64 v38, v49, v47, s[12:13]
	v_cndmask_b32_e64 v46, v48, v46, s[12:13]
	v_lshlrev_b32_e32 v34, 24, v34
	v_bfrev_b32_e32 v47, 60
	v_lshlrev_b32_e32 v46, 20, v46
	v_and_b32_e32 v34, 0x80000000, v34
	v_lshl_add_u32 v38, v38, 23, v47
	v_or3_b32 v34, v34, v38, v46
	v_lshrrev_b32_e32 v46, 16, v34
.LBB754_86:
	s_or_b64 exec, exec, s[26:27]
.LBB754_87:
	s_or_b64 exec, exec, s[24:25]
.LBB754_88:
	s_or_b64 exec, exec, s[14:15]
	v_mov_b32_e32 v47, 0
	v_mov_b32_e32 v34, v37
	v_cmp_ne_u16_sdwa s[12:13], v37, v47 src0_sel:BYTE_0 src1_sel:DWORD
	v_mov_b32_e32 v48, 0
	s_and_saveexec_b64 s[14:15], s[12:13]
	s_cbranch_execz .LBB754_94
; %bb.89:
	s_movk_i32 s11, 0x80
	v_cmp_ne_u16_sdwa s[12:13], v37, s11 src0_sel:BYTE_0 src1_sel:DWORD
	v_mov_b32_e32 v48, 0xffff8000
	s_and_saveexec_b64 s[24:25], s[12:13]
	s_cbranch_execz .LBB754_93
; %bb.90:
	s_movk_i32 s11, 0x7f
	v_and_b32_e32 v38, 0x7f, v37
	v_cmp_ne_u32_e64 s[12:13], s11, v38
	v_mov_b32_e32 v48, 0x7f80
	s_and_saveexec_b64 s[26:27], s[12:13]
	s_cbranch_execz .LBB754_92
; %bb.91:
	v_and_b32_e32 v48, 7, v37
	v_ffbh_u32_e32 v48, v48
	v_min_u32_e32 v48, 32, v48
	v_lshrrev_b32_e32 v49, 3, v38
	v_subrev_u32_e32 v50, 28, v48
	v_sub_u32_e32 v48, 29, v48
	v_cmp_gt_u32_e64 s[12:13], 8, v38
	v_cndmask_b32_e64 v38, v49, v48, s[12:13]
	v_cndmask_b32_e64 v48, 0, v50, s[12:13]
	v_lshlrev_b64 v[48:49], v48, v[34:35]
	v_lshlrev_b32_e32 v35, 20, v48
	v_lshlrev_b32_e32 v48, 24, v34
	v_bfrev_b32_e32 v49, 60
	v_and_b32_e32 v35, 0x700000, v35
	v_and_b32_e32 v48, 0x80000000, v48
	v_lshl_add_u32 v38, v38, 23, v49
	v_or3_b32 v35, v48, v38, v35
	v_lshrrev_b32_e32 v48, 16, v35
.LBB754_92:
	s_or_b64 exec, exec, s[26:27]
.LBB754_93:
	s_or_b64 exec, exec, s[24:25]
.LBB754_94:
	s_or_b64 exec, exec, s[14:15]
	v_lshrrev_b16_e32 v38, 8, v34
	v_cmp_ne_u16_e64 s[12:13], 0, v38
	s_and_saveexec_b64 s[14:15], s[12:13]
	s_cbranch_execz .LBB754_100
; %bb.95:
	s_movk_i32 s11, 0x80
	v_cmp_ne_u16_e64 s[12:13], s11, v38
	v_mov_b32_e32 v47, 0xffff8000
	s_and_saveexec_b64 s[24:25], s[12:13]
	s_cbranch_execz .LBB754_99
; %bb.96:
	s_movk_i32 s11, 0x7f
	v_and_b32_e32 v35, 0x7f, v38
	v_cmp_ne_u32_e64 s[12:13], s11, v35
	v_mov_b32_e32 v47, 0x7f80
	s_and_saveexec_b64 s[26:27], s[12:13]
	s_cbranch_execz .LBB754_98
; %bb.97:
	v_and_b32_e32 v47, 7, v38
	v_ffbh_u32_e32 v50, v47
	v_min_u32_e32 v52, 32, v50
	v_subrev_u32_e32 v50, 28, v52
	v_lshlrev_b64 v[50:51], v50, v[38:39]
	v_lshrrev_b32_e32 v49, 3, v35
	v_sub_u32_e32 v38, 29, v52
	v_and_b32_e32 v50, 7, v50
	v_cmp_gt_u32_e64 s[12:13], 8, v35
	v_cndmask_b32_e64 v35, v49, v38, s[12:13]
	v_cndmask_b32_e64 v38, v47, v50, s[12:13]
	v_lshlrev_b32_e32 v34, 16, v34
	v_bfrev_b32_e32 v47, 60
	v_lshlrev_b32_e32 v38, 20, v38
	v_and_b32_e32 v34, 0x80000000, v34
	v_lshl_add_u32 v35, v35, 23, v47
	v_or3_b32 v34, v34, v35, v38
	v_lshrrev_b32_e32 v47, 16, v34
.LBB754_98:
	s_or_b64 exec, exec, s[26:27]
.LBB754_99:
	s_or_b64 exec, exec, s[24:25]
.LBB754_100:
	s_or_b64 exec, exec, s[14:15]
	s_movk_i32 s11, 0xff
	v_and_b32_sdwa v49, v37, s11 dst_sel:DWORD dst_unused:UNUSED_PAD src0_sel:WORD_1 src1_sel:DWORD
	v_lshrrev_b32_e32 v34, 16, v37
	v_cmp_ne_u16_e64 s[12:13], 0, v49
	v_mov_b32_e32 v35, 0
	v_mov_b32_e32 v38, 0
	s_and_saveexec_b64 s[14:15], s[12:13]
	s_cbranch_execz .LBB754_106
; %bb.101:
	s_movk_i32 s11, 0x80
	v_cmp_ne_u16_e64 s[12:13], s11, v49
	v_mov_b32_e32 v38, 0xffff8000
	s_and_saveexec_b64 s[24:25], s[12:13]
	s_cbranch_execz .LBB754_105
; %bb.102:
	v_bfe_u32 v49, v37, 16, 7
	s_movk_i32 s11, 0x7f
	v_cmp_ne_u32_e64 s[12:13], s11, v49
	v_mov_b32_e32 v38, 0x7f80
	s_and_saveexec_b64 s[26:27], s[12:13]
	s_cbranch_execz .LBB754_104
; %bb.103:
	v_and_b32_e32 v38, 7, v34
	v_ffbh_u32_e32 v50, v38
	v_min_u32_e32 v53, 32, v50
	v_subrev_u32_e32 v50, 28, v53
	v_lshlrev_b64 v[50:51], v50, v[34:35]
	v_lshrrev_b32_e32 v52, 3, v49
	v_sub_u32_e32 v34, 29, v53
	v_and_b32_e32 v50, 7, v50
	v_cmp_gt_u32_e64 s[12:13], 8, v49
	v_mov_b32_e32 v49, 24
	v_cndmask_b32_e64 v34, v52, v34, s[12:13]
	v_cndmask_b32_e64 v38, v38, v50, s[12:13]
	v_lshlrev_b32_sdwa v49, v49, v37 dst_sel:DWORD dst_unused:UNUSED_PAD src0_sel:DWORD src1_sel:WORD_1
	v_bfrev_b32_e32 v50, 60
	v_lshlrev_b32_e32 v38, 20, v38
	v_and_b32_e32 v49, 0x80000000, v49
	v_lshl_add_u32 v34, v34, 23, v50
	v_or3_b32 v34, v49, v34, v38
	v_lshrrev_b32_e32 v38, 16, v34
.LBB754_104:
	s_or_b64 exec, exec, s[26:27]
.LBB754_105:
	s_or_b64 exec, exec, s[24:25]
.LBB754_106:
	s_or_b64 exec, exec, s[14:15]
	s_mov_b32 s12, -1
	s_mov_b32 s13, 0xffffff
	v_cmp_lt_u64_e64 s[12:13], s[12:13], v[36:37]
	s_and_saveexec_b64 s[14:15], s[12:13]
	s_cbranch_execz .LBB754_112
; %bb.107:
	v_lshrrev_b32_e32 v34, 24, v37
	s_movk_i32 s11, 0x80
	v_cmp_ne_u32_e64 s[12:13], s11, v34
	v_mov_b32_e32 v35, 0xffff8000
	s_and_saveexec_b64 s[24:25], s[12:13]
	s_cbranch_execz .LBB754_111
; %bb.108:
	v_bfe_u32 v36, v37, 24, 7
	s_movk_i32 s11, 0x7f
	v_cmp_ne_u32_e64 s[12:13], s11, v36
	v_mov_b32_e32 v35, 0x7f80
	s_and_saveexec_b64 s[26:27], s[12:13]
	s_cbranch_execz .LBB754_110
; %bb.109:
	v_and_b32_e32 v35, 7, v34
	v_ffbh_u32_e32 v49, v35
	v_min_u32_e32 v49, 32, v49
	v_subrev_u32_e32 v50, 28, v49
	v_lshlrev_b64 v[50:51], v50, v[34:35]
	v_lshrrev_b32_e32 v37, 3, v36
	v_sub_u32_e32 v49, 29, v49
	v_and_b32_e32 v50, 7, v50
	v_cmp_gt_u32_e64 s[12:13], 8, v36
	v_cndmask_b32_e64 v36, v37, v49, s[12:13]
	v_cndmask_b32_e64 v35, v35, v50, s[12:13]
	v_lshlrev_b32_e32 v34, 24, v34
	v_bfrev_b32_e32 v37, 60
	v_lshlrev_b32_e32 v35, 20, v35
	v_and_b32_e32 v34, 0x80000000, v34
	v_lshl_add_u32 v36, v36, 23, v37
	v_or3_b32 v34, v34, v36, v35
	v_lshrrev_b32_e32 v35, 16, v34
.LBB754_110:
	s_or_b64 exec, exec, s[26:27]
.LBB754_111:
	s_or_b64 exec, exec, s[24:25]
.LBB754_112:
	s_or_b64 exec, exec, s[14:15]
	s_mov_b32 s11, 0x5040100
	v_perm_b32 v37, v46, v41, s11
	v_perm_b32 v36, v40, v39, s11
	;; [unrolled: 1-line block ×4, first 2 shown]
	v_mfma_f32_4x4x4bf16_1k a[0:3], v[2:3], v[36:37], a[0:3] cbsz:4 abid:1
	v_mov_b32_e32 v37, 0
	v_mfma_f32_4x4x4bf16_1k a[0:3], v[4:5], v[34:35], a[0:3] cbsz:4 abid:1
	v_cmp_ne_u16_sdwa s[12:13], v30, v37 src0_sel:BYTE_0 src1_sel:DWORD
	v_mov_b32_e32 v38, 0
	s_and_saveexec_b64 s[14:15], s[12:13]
	s_cbranch_execz .LBB754_118
; %bb.113:
	s_movk_i32 s11, 0x80
	v_cmp_ne_u16_sdwa s[12:13], v30, s11 src0_sel:BYTE_0 src1_sel:DWORD
	v_mov_b32_e32 v38, 0xffff8000
	s_and_saveexec_b64 s[24:25], s[12:13]
	s_cbranch_execz .LBB754_117
; %bb.114:
	s_movk_i32 s11, 0x7f
	v_and_b32_e32 v34, 0x7f, v30
	v_cmp_ne_u32_e64 s[12:13], s11, v34
	v_mov_b32_e32 v38, 0x7f80
	s_and_saveexec_b64 s[26:27], s[12:13]
	s_cbranch_execz .LBB754_116
; %bb.115:
	v_and_b32_e32 v35, 7, v30
	v_ffbh_u32_e32 v35, v35
	v_min_u32_e32 v35, 32, v35
	v_subrev_u32_e32 v38, 28, v35
	v_cmp_gt_u32_e64 s[12:13], 8, v34
	v_lshrrev_b32_e32 v36, 3, v34
	v_sub_u32_e32 v35, 29, v35
	v_cndmask_b32_e64 v34, 0, v38, s[12:13]
	v_cndmask_b32_e64 v36, v36, v35, s[12:13]
	v_lshlrev_b64 v[34:35], v34, v[30:31]
	v_lshlrev_b32_e32 v34, 20, v34
	v_lshlrev_b32_e32 v35, 24, v30
	v_bfrev_b32_e32 v38, 60
	v_and_b32_e32 v34, 0x700000, v34
	v_and_b32_e32 v35, 0x80000000, v35
	v_lshl_add_u32 v36, v36, 23, v38
	v_or3_b32 v34, v35, v36, v34
	v_lshrrev_b32_e32 v38, 16, v34
.LBB754_116:
	s_or_b64 exec, exec, s[26:27]
.LBB754_117:
	s_or_b64 exec, exec, s[24:25]
.LBB754_118:
	s_or_b64 exec, exec, s[14:15]
	v_lshrrev_b16_e32 v34, 8, v30
	v_cmp_ne_u16_e64 s[12:13], 0, v34
	s_and_saveexec_b64 s[14:15], s[12:13]
	s_cbranch_execz .LBB754_124
; %bb.119:
	s_movk_i32 s11, 0x80
	v_cmp_ne_u16_e64 s[12:13], s11, v34
	v_mov_b32_e32 v37, 0xffff8000
	s_and_saveexec_b64 s[24:25], s[12:13]
	s_cbranch_execz .LBB754_123
; %bb.120:
	s_movk_i32 s11, 0x7f
	v_and_b32_e32 v35, 0x7f, v34
	v_cmp_ne_u32_e64 s[12:13], s11, v35
	v_mov_b32_e32 v37, 0x7f80
	s_and_saveexec_b64 s[26:27], s[12:13]
	s_cbranch_execz .LBB754_122
; %bb.121:
	v_and_b32_e32 v39, 7, v34
	v_ffbh_u32_e32 v36, v39
	v_min_u32_e32 v41, 32, v36
	v_subrev_u32_e32 v36, 28, v41
	v_lshlrev_b64 v[36:37], v36, v[34:35]
	v_lshrrev_b32_e32 v40, 3, v35
	v_sub_u32_e32 v34, 29, v41
	v_and_b32_e32 v36, 7, v36
	v_cmp_gt_u32_e64 s[12:13], 8, v35
	v_cndmask_b32_e64 v34, v40, v34, s[12:13]
	v_cndmask_b32_e64 v35, v39, v36, s[12:13]
	v_lshlrev_b32_e32 v36, 16, v30
	v_bfrev_b32_e32 v37, 60
	v_lshlrev_b32_e32 v35, 20, v35
	v_and_b32_e32 v36, 0x80000000, v36
	v_lshl_add_u32 v34, v34, 23, v37
	v_or3_b32 v34, v36, v34, v35
	v_lshrrev_b32_e32 v37, 16, v34
.LBB754_122:
	s_or_b64 exec, exec, s[26:27]
.LBB754_123:
	s_or_b64 exec, exec, s[24:25]
.LBB754_124:
	s_or_b64 exec, exec, s[14:15]
	s_movk_i32 s11, 0xff
	v_and_b32_sdwa v36, v30, s11 dst_sel:DWORD dst_unused:UNUSED_PAD src0_sel:WORD_1 src1_sel:DWORD
	v_lshrrev_b32_e32 v34, 16, v30
	v_cmp_ne_u16_e64 s[12:13], 0, v36
	v_mov_b32_e32 v35, 0
	v_mov_b32_e32 v39, 0
	s_and_saveexec_b64 s[14:15], s[12:13]
	s_cbranch_execz .LBB754_130
; %bb.125:
	s_movk_i32 s11, 0x80
	v_cmp_ne_u16_e64 s[12:13], s11, v36
	v_mov_b32_e32 v39, 0xffff8000
	s_and_saveexec_b64 s[24:25], s[12:13]
	s_cbranch_execz .LBB754_129
; %bb.126:
	v_bfe_u32 v36, v30, 16, 7
	s_movk_i32 s11, 0x7f
	v_cmp_ne_u32_e64 s[12:13], s11, v36
	v_mov_b32_e32 v39, 0x7f80
	s_and_saveexec_b64 s[26:27], s[12:13]
	s_cbranch_execz .LBB754_128
; %bb.127:
	v_and_b32_e32 v39, 7, v34
	v_ffbh_u32_e32 v40, v39
	v_min_u32_e32 v47, 32, v40
	v_subrev_u32_e32 v40, 28, v47
	v_lshlrev_b64 v[40:41], v40, v[34:35]
	v_and_b32_e32 v40, 7, v40
	v_cmp_gt_u32_e64 s[12:13], 8, v36
	v_lshrrev_b32_e32 v46, 3, v36
	v_sub_u32_e32 v34, 29, v47
	v_cndmask_b32_e64 v36, v39, v40, s[12:13]
	v_mov_b32_e32 v39, 24
	v_cndmask_b32_e64 v34, v46, v34, s[12:13]
	v_lshlrev_b32_sdwa v39, v39, v30 dst_sel:DWORD dst_unused:UNUSED_PAD src0_sel:DWORD src1_sel:WORD_1
	v_bfrev_b32_e32 v40, 60
	v_lshlrev_b32_e32 v36, 20, v36
	v_and_b32_e32 v39, 0x80000000, v39
	v_lshl_add_u32 v34, v34, 23, v40
	v_or3_b32 v34, v39, v34, v36
	v_lshrrev_b32_e32 v39, 16, v34
.LBB754_128:
	s_or_b64 exec, exec, s[26:27]
.LBB754_129:
	s_or_b64 exec, exec, s[24:25]
.LBB754_130:
	s_or_b64 exec, exec, s[14:15]
	s_mov_b32 s11, 0xffffff
	v_cmp_lt_u32_e64 s[12:13], s11, v30
	v_mov_b32_e32 v40, 0
	s_and_saveexec_b64 s[14:15], s[12:13]
	s_cbranch_execz .LBB754_136
; %bb.131:
	v_lshrrev_b32_e32 v34, 24, v30
	s_movk_i32 s11, 0x80
	v_cmp_ne_u32_e64 s[12:13], s11, v34
	v_mov_b32_e32 v40, 0xffff8000
	s_and_saveexec_b64 s[24:25], s[12:13]
	s_cbranch_execz .LBB754_135
; %bb.132:
	v_bfe_u32 v36, v30, 24, 7
	s_movk_i32 s11, 0x7f
	v_cmp_ne_u32_e64 s[12:13], s11, v36
	v_mov_b32_e32 v40, 0x7f80
	s_and_saveexec_b64 s[26:27], s[12:13]
	s_cbranch_execz .LBB754_134
; %bb.133:
	v_and_b32_e32 v46, 7, v34
	v_ffbh_u32_e32 v40, v46
	v_min_u32_e32 v48, 32, v40
	v_subrev_u32_e32 v40, 28, v48
	v_lshlrev_b64 v[40:41], v40, v[34:35]
	v_lshrrev_b32_e32 v47, 3, v36
	v_sub_u32_e32 v41, 29, v48
	v_and_b32_e32 v40, 7, v40
	v_cmp_gt_u32_e64 s[12:13], 8, v36
	v_cndmask_b32_e64 v36, v47, v41, s[12:13]
	v_cndmask_b32_e64 v40, v46, v40, s[12:13]
	v_lshlrev_b32_e32 v34, 24, v34
	v_bfrev_b32_e32 v41, 60
	v_lshlrev_b32_e32 v40, 20, v40
	v_and_b32_e32 v34, 0x80000000, v34
	v_lshl_add_u32 v36, v36, 23, v41
	v_or3_b32 v34, v34, v36, v40
	v_lshrrev_b32_e32 v40, 16, v34
.LBB754_134:
	s_or_b64 exec, exec, s[26:27]
.LBB754_135:
	s_or_b64 exec, exec, s[24:25]
.LBB754_136:
	s_or_b64 exec, exec, s[14:15]
	v_mov_b32_e32 v41, 0
	v_mov_b32_e32 v34, v31
	v_cmp_ne_u16_sdwa s[12:13], v31, v41 src0_sel:BYTE_0 src1_sel:DWORD
	v_mov_b32_e32 v46, 0
	s_and_saveexec_b64 s[14:15], s[12:13]
	s_cbranch_execz .LBB754_142
; %bb.137:
	s_movk_i32 s11, 0x80
	v_cmp_ne_u16_sdwa s[12:13], v31, s11 src0_sel:BYTE_0 src1_sel:DWORD
	v_mov_b32_e32 v46, 0xffff8000
	s_and_saveexec_b64 s[24:25], s[12:13]
	s_cbranch_execz .LBB754_141
; %bb.138:
	s_movk_i32 s11, 0x7f
	v_and_b32_e32 v36, 0x7f, v31
	v_cmp_ne_u32_e64 s[12:13], s11, v36
	v_mov_b32_e32 v46, 0x7f80
	s_and_saveexec_b64 s[26:27], s[12:13]
	s_cbranch_execz .LBB754_140
; %bb.139:
	v_and_b32_e32 v46, 7, v31
	v_ffbh_u32_e32 v46, v46
	v_min_u32_e32 v46, 32, v46
	v_lshrrev_b32_e32 v47, 3, v36
	v_subrev_u32_e32 v48, 28, v46
	v_sub_u32_e32 v46, 29, v46
	v_cmp_gt_u32_e64 s[12:13], 8, v36
	v_cndmask_b32_e64 v36, v47, v46, s[12:13]
	v_cndmask_b32_e64 v46, 0, v48, s[12:13]
	v_lshlrev_b64 v[46:47], v46, v[34:35]
	v_lshlrev_b32_e32 v35, 20, v46
	v_lshlrev_b32_e32 v46, 24, v34
	v_bfrev_b32_e32 v47, 60
	v_and_b32_e32 v35, 0x700000, v35
	v_and_b32_e32 v46, 0x80000000, v46
	v_lshl_add_u32 v36, v36, 23, v47
	v_or3_b32 v35, v46, v36, v35
	v_lshrrev_b32_e32 v46, 16, v35
.LBB754_140:
	s_or_b64 exec, exec, s[26:27]
.LBB754_141:
	s_or_b64 exec, exec, s[24:25]
.LBB754_142:
	s_or_b64 exec, exec, s[14:15]
	v_lshrrev_b16_e32 v36, 8, v34
	v_cmp_ne_u16_e64 s[12:13], 0, v36
	s_and_saveexec_b64 s[14:15], s[12:13]
	s_cbranch_execz .LBB754_148
; %bb.143:
	s_movk_i32 s11, 0x80
	v_cmp_ne_u16_e64 s[12:13], s11, v36
	v_mov_b32_e32 v41, 0xffff8000
	s_and_saveexec_b64 s[24:25], s[12:13]
	s_cbranch_execz .LBB754_147
; %bb.144:
	s_movk_i32 s11, 0x7f
	v_and_b32_e32 v35, 0x7f, v36
	v_cmp_ne_u32_e64 s[12:13], s11, v35
	v_mov_b32_e32 v41, 0x7f80
	s_and_saveexec_b64 s[26:27], s[12:13]
	s_cbranch_execz .LBB754_146
; %bb.145:
	v_and_b32_e32 v41, 7, v36
	v_ffbh_u32_e32 v48, v41
	v_min_u32_e32 v50, 32, v48
	v_subrev_u32_e32 v48, 28, v50
	v_lshlrev_b64 v[48:49], v48, v[36:37]
	v_lshrrev_b32_e32 v47, 3, v35
	v_sub_u32_e32 v36, 29, v50
	v_and_b32_e32 v48, 7, v48
	v_cmp_gt_u32_e64 s[12:13], 8, v35
	v_cndmask_b32_e64 v35, v47, v36, s[12:13]
	v_cndmask_b32_e64 v36, v41, v48, s[12:13]
	v_lshlrev_b32_e32 v34, 16, v34
	v_bfrev_b32_e32 v41, 60
	v_lshlrev_b32_e32 v36, 20, v36
	v_and_b32_e32 v34, 0x80000000, v34
	v_lshl_add_u32 v35, v35, 23, v41
	v_or3_b32 v34, v34, v35, v36
	v_lshrrev_b32_e32 v41, 16, v34
.LBB754_146:
	s_or_b64 exec, exec, s[26:27]
.LBB754_147:
	s_or_b64 exec, exec, s[24:25]
.LBB754_148:
	s_or_b64 exec, exec, s[14:15]
	s_movk_i32 s11, 0xff
	v_and_b32_sdwa v47, v31, s11 dst_sel:DWORD dst_unused:UNUSED_PAD src0_sel:WORD_1 src1_sel:DWORD
	v_lshrrev_b32_e32 v34, 16, v31
	v_cmp_ne_u16_e64 s[12:13], 0, v47
	v_mov_b32_e32 v35, 0
	v_mov_b32_e32 v36, 0
	s_and_saveexec_b64 s[14:15], s[12:13]
	s_cbranch_execz .LBB754_154
; %bb.149:
	s_movk_i32 s11, 0x80
	v_cmp_ne_u16_e64 s[12:13], s11, v47
	v_mov_b32_e32 v36, 0xffff8000
	s_and_saveexec_b64 s[24:25], s[12:13]
	s_cbranch_execz .LBB754_153
; %bb.150:
	v_bfe_u32 v47, v31, 16, 7
	s_movk_i32 s11, 0x7f
	v_cmp_ne_u32_e64 s[12:13], s11, v47
	v_mov_b32_e32 v36, 0x7f80
	s_and_saveexec_b64 s[26:27], s[12:13]
	s_cbranch_execz .LBB754_152
; %bb.151:
	v_and_b32_e32 v36, 7, v34
	v_ffbh_u32_e32 v48, v36
	v_min_u32_e32 v51, 32, v48
	v_subrev_u32_e32 v48, 28, v51
	v_lshlrev_b64 v[48:49], v48, v[34:35]
	v_lshrrev_b32_e32 v50, 3, v47
	v_sub_u32_e32 v34, 29, v51
	v_and_b32_e32 v48, 7, v48
	v_cmp_gt_u32_e64 s[12:13], 8, v47
	v_mov_b32_e32 v47, 24
	v_cndmask_b32_e64 v34, v50, v34, s[12:13]
	v_cndmask_b32_e64 v36, v36, v48, s[12:13]
	v_lshlrev_b32_sdwa v47, v47, v31 dst_sel:DWORD dst_unused:UNUSED_PAD src0_sel:DWORD src1_sel:WORD_1
	v_bfrev_b32_e32 v48, 60
	v_lshlrev_b32_e32 v36, 20, v36
	v_and_b32_e32 v47, 0x80000000, v47
	v_lshl_add_u32 v34, v34, 23, v48
	v_or3_b32 v34, v47, v34, v36
	v_lshrrev_b32_e32 v36, 16, v34
.LBB754_152:
	s_or_b64 exec, exec, s[26:27]
.LBB754_153:
	s_or_b64 exec, exec, s[24:25]
.LBB754_154:
	s_or_b64 exec, exec, s[14:15]
	s_mov_b32 s12, -1
	s_mov_b32 s13, 0xffffff
	v_cmp_lt_u64_e64 s[12:13], s[12:13], v[30:31]
	s_and_saveexec_b64 s[14:15], s[12:13]
	s_cbranch_execz .LBB754_160
; %bb.155:
	v_lshrrev_b32_e32 v30, 24, v31
	s_movk_i32 s11, 0x80
	v_cmp_ne_u32_e64 s[12:13], s11, v30
	v_mov_b32_e32 v35, 0xffff8000
	s_and_saveexec_b64 s[24:25], s[12:13]
	s_cbranch_execz .LBB754_159
; %bb.156:
	v_bfe_u32 v31, v31, 24, 7
	s_movk_i32 s11, 0x7f
	v_cmp_ne_u32_e64 s[12:13], s11, v31
	v_mov_b32_e32 v35, 0x7f80
	s_and_saveexec_b64 s[26:27], s[12:13]
	s_cbranch_execz .LBB754_158
; %bb.157:
	v_and_b32_e32 v47, 7, v30
	v_ffbh_u32_e32 v34, v47
	v_min_u32_e32 v49, 32, v34
	v_subrev_u32_e32 v34, 28, v49
	v_lshlrev_b64 v[34:35], v34, v[30:31]
	v_lshrrev_b32_e32 v48, 3, v31
	v_sub_u32_e32 v35, 29, v49
	v_and_b32_e32 v34, 7, v34
	v_cmp_gt_u32_e64 s[12:13], 8, v31
	v_cndmask_b32_e64 v31, v48, v35, s[12:13]
	v_cndmask_b32_e64 v34, v47, v34, s[12:13]
	v_lshlrev_b32_e32 v30, 24, v30
	v_bfrev_b32_e32 v35, 60
	v_lshlrev_b32_e32 v34, 20, v34
	v_and_b32_e32 v30, 0x80000000, v30
	v_lshl_add_u32 v31, v31, 23, v35
	v_or3_b32 v30, v30, v31, v34
	v_lshrrev_b32_e32 v35, 16, v30
.LBB754_158:
	s_or_b64 exec, exec, s[26:27]
.LBB754_159:
	s_or_b64 exec, exec, s[24:25]
.LBB754_160:
	s_or_b64 exec, exec, s[14:15]
	s_mov_b32 s11, 0x5040100
	v_perm_b32 v31, v40, v39, s11
	v_perm_b32 v30, v37, v38, s11
	;; [unrolled: 1-line block ×4, first 2 shown]
	v_mfma_f32_4x4x4bf16_1k a[0:3], v[2:3], v[30:31], a[0:3] cbsz:4 abid:2
	v_mov_b32_e32 v36, 0
	v_mfma_f32_4x4x4bf16_1k a[0:3], v[4:5], v[34:35], a[0:3] cbsz:4 abid:2
	v_mov_b32_e32 v35, 0
	v_cmp_ne_u16_sdwa s[12:13], v32, v35 src0_sel:BYTE_0 src1_sel:DWORD
	s_and_saveexec_b64 s[14:15], s[12:13]
	s_cbranch_execz .LBB754_166
; %bb.161:
	s_movk_i32 s11, 0x80
	v_cmp_ne_u16_sdwa s[12:13], v32, s11 src0_sel:BYTE_0 src1_sel:DWORD
	v_mov_b32_e32 v36, 0xffff8000
	s_and_saveexec_b64 s[24:25], s[12:13]
	s_cbranch_execz .LBB754_165
; %bb.162:
	s_movk_i32 s11, 0x7f
	v_and_b32_e32 v30, 0x7f, v32
	v_cmp_ne_u32_e64 s[12:13], s11, v30
	v_mov_b32_e32 v36, 0x7f80
	s_and_saveexec_b64 s[26:27], s[12:13]
	s_cbranch_execz .LBB754_164
; %bb.163:
	v_and_b32_e32 v31, 7, v32
	v_ffbh_u32_e32 v31, v31
	v_min_u32_e32 v31, 32, v31
	v_subrev_u32_e32 v36, 28, v31
	v_cmp_gt_u32_e64 s[12:13], 8, v30
	v_lshrrev_b32_e32 v34, 3, v30
	v_sub_u32_e32 v31, 29, v31
	v_cndmask_b32_e64 v30, 0, v36, s[12:13]
	v_cndmask_b32_e64 v34, v34, v31, s[12:13]
	v_lshlrev_b64 v[30:31], v30, v[32:33]
	v_lshlrev_b32_e32 v30, 20, v30
	v_lshlrev_b32_e32 v31, 24, v32
	v_bfrev_b32_e32 v36, 60
	v_and_b32_e32 v30, 0x700000, v30
	v_and_b32_e32 v31, 0x80000000, v31
	v_lshl_add_u32 v34, v34, 23, v36
	v_or3_b32 v30, v31, v34, v30
	v_lshrrev_b32_e32 v36, 16, v30
.LBB754_164:
	s_or_b64 exec, exec, s[26:27]
.LBB754_165:
	s_or_b64 exec, exec, s[24:25]
.LBB754_166:
	s_or_b64 exec, exec, s[14:15]
	v_lshrrev_b16_e32 v30, 8, v32
	v_cmp_ne_u16_e64 s[12:13], 0, v30
	s_and_saveexec_b64 s[14:15], s[12:13]
	s_cbranch_execz .LBB754_172
; %bb.167:
	s_movk_i32 s11, 0x80
	v_cmp_ne_u16_e64 s[12:13], s11, v30
	v_mov_b32_e32 v35, 0xffff8000
	s_and_saveexec_b64 s[24:25], s[12:13]
	s_cbranch_execz .LBB754_171
; %bb.168:
	s_movk_i32 s11, 0x7f
	v_and_b32_e32 v31, 0x7f, v30
	v_cmp_ne_u32_e64 s[12:13], s11, v31
	v_mov_b32_e32 v35, 0x7f80
	s_and_saveexec_b64 s[26:27], s[12:13]
	s_cbranch_execz .LBB754_170
; %bb.169:
	v_and_b32_e32 v37, 7, v30
	v_ffbh_u32_e32 v34, v37
	v_min_u32_e32 v39, 32, v34
	v_subrev_u32_e32 v34, 28, v39
	v_lshlrev_b64 v[34:35], v34, v[30:31]
	v_lshrrev_b32_e32 v38, 3, v31
	v_sub_u32_e32 v30, 29, v39
	v_and_b32_e32 v34, 7, v34
	v_cmp_gt_u32_e64 s[12:13], 8, v31
	v_cndmask_b32_e64 v30, v38, v30, s[12:13]
	v_cndmask_b32_e64 v31, v37, v34, s[12:13]
	v_lshlrev_b32_e32 v34, 16, v32
	v_bfrev_b32_e32 v35, 60
	v_lshlrev_b32_e32 v31, 20, v31
	v_and_b32_e32 v34, 0x80000000, v34
	v_lshl_add_u32 v30, v30, 23, v35
	v_or3_b32 v30, v34, v30, v31
	v_lshrrev_b32_e32 v35, 16, v30
.LBB754_170:
	s_or_b64 exec, exec, s[26:27]
.LBB754_171:
	s_or_b64 exec, exec, s[24:25]
.LBB754_172:
	s_or_b64 exec, exec, s[14:15]
	s_movk_i32 s11, 0xff
	v_and_b32_sdwa v34, v32, s11 dst_sel:DWORD dst_unused:UNUSED_PAD src0_sel:WORD_1 src1_sel:DWORD
	v_lshrrev_b32_e32 v30, 16, v32
	v_cmp_ne_u16_e64 s[12:13], 0, v34
	v_mov_b32_e32 v31, 0
	v_mov_b32_e32 v37, 0
	s_and_saveexec_b64 s[14:15], s[12:13]
	s_cbranch_execz .LBB754_178
; %bb.173:
	s_movk_i32 s11, 0x80
	v_cmp_ne_u16_e64 s[12:13], s11, v34
	v_mov_b32_e32 v37, 0xffff8000
	s_and_saveexec_b64 s[24:25], s[12:13]
	s_cbranch_execz .LBB754_177
; %bb.174:
	v_bfe_u32 v34, v32, 16, 7
	s_movk_i32 s11, 0x7f
	v_cmp_ne_u32_e64 s[12:13], s11, v34
	v_mov_b32_e32 v37, 0x7f80
	s_and_saveexec_b64 s[26:27], s[12:13]
	s_cbranch_execz .LBB754_176
; %bb.175:
	v_and_b32_e32 v37, 7, v30
	v_ffbh_u32_e32 v38, v37
	v_min_u32_e32 v41, 32, v38
	v_subrev_u32_e32 v38, 28, v41
	v_lshlrev_b64 v[38:39], v38, v[30:31]
	v_and_b32_e32 v38, 7, v38
	v_cmp_gt_u32_e64 s[12:13], 8, v34
	v_lshrrev_b32_e32 v40, 3, v34
	v_sub_u32_e32 v30, 29, v41
	v_cndmask_b32_e64 v34, v37, v38, s[12:13]
	v_mov_b32_e32 v37, 24
	v_cndmask_b32_e64 v30, v40, v30, s[12:13]
	v_lshlrev_b32_sdwa v37, v37, v32 dst_sel:DWORD dst_unused:UNUSED_PAD src0_sel:DWORD src1_sel:WORD_1
	v_bfrev_b32_e32 v38, 60
	v_lshlrev_b32_e32 v34, 20, v34
	v_and_b32_e32 v37, 0x80000000, v37
	v_lshl_add_u32 v30, v30, 23, v38
	v_or3_b32 v30, v37, v30, v34
	v_lshrrev_b32_e32 v37, 16, v30
.LBB754_176:
	s_or_b64 exec, exec, s[26:27]
.LBB754_177:
	s_or_b64 exec, exec, s[24:25]
.LBB754_178:
	s_or_b64 exec, exec, s[14:15]
	s_mov_b32 s11, 0xffffff
	v_cmp_lt_u32_e64 s[12:13], s11, v32
	v_mov_b32_e32 v38, 0
	s_and_saveexec_b64 s[14:15], s[12:13]
	s_cbranch_execz .LBB754_184
; %bb.179:
	v_lshrrev_b32_e32 v30, 24, v32
	s_movk_i32 s11, 0x80
	v_cmp_ne_u32_e64 s[12:13], s11, v30
	v_mov_b32_e32 v38, 0xffff8000
	s_and_saveexec_b64 s[24:25], s[12:13]
	s_cbranch_execz .LBB754_183
; %bb.180:
	v_bfe_u32 v34, v32, 24, 7
	s_movk_i32 s11, 0x7f
	v_cmp_ne_u32_e64 s[12:13], s11, v34
	v_mov_b32_e32 v38, 0x7f80
	s_and_saveexec_b64 s[26:27], s[12:13]
	s_cbranch_execz .LBB754_182
; %bb.181:
	v_and_b32_e32 v40, 7, v30
	v_ffbh_u32_e32 v38, v40
	v_min_u32_e32 v46, 32, v38
	v_subrev_u32_e32 v38, 28, v46
	v_lshlrev_b64 v[38:39], v38, v[30:31]
	v_lshrrev_b32_e32 v41, 3, v34
	v_sub_u32_e32 v39, 29, v46
	v_and_b32_e32 v38, 7, v38
	v_cmp_gt_u32_e64 s[12:13], 8, v34
	v_cndmask_b32_e64 v34, v41, v39, s[12:13]
	v_cndmask_b32_e64 v38, v40, v38, s[12:13]
	v_lshlrev_b32_e32 v30, 24, v30
	v_bfrev_b32_e32 v39, 60
	v_lshlrev_b32_e32 v38, 20, v38
	v_and_b32_e32 v30, 0x80000000, v30
	v_lshl_add_u32 v34, v34, 23, v39
	v_or3_b32 v30, v30, v34, v38
	v_lshrrev_b32_e32 v38, 16, v30
.LBB754_182:
	s_or_b64 exec, exec, s[26:27]
.LBB754_183:
	s_or_b64 exec, exec, s[24:25]
.LBB754_184:
	s_or_b64 exec, exec, s[14:15]
	v_mov_b32_e32 v39, 0
	v_mov_b32_e32 v30, v33
	v_cmp_ne_u16_sdwa s[12:13], v33, v39 src0_sel:BYTE_0 src1_sel:DWORD
	v_mov_b32_e32 v40, 0
	s_and_saveexec_b64 s[14:15], s[12:13]
	s_cbranch_execz .LBB754_190
; %bb.185:
	s_movk_i32 s11, 0x80
	v_cmp_ne_u16_sdwa s[12:13], v33, s11 src0_sel:BYTE_0 src1_sel:DWORD
	v_mov_b32_e32 v40, 0xffff8000
	s_and_saveexec_b64 s[24:25], s[12:13]
	s_cbranch_execz .LBB754_189
; %bb.186:
	s_movk_i32 s11, 0x7f
	v_and_b32_e32 v34, 0x7f, v33
	v_cmp_ne_u32_e64 s[12:13], s11, v34
	v_mov_b32_e32 v40, 0x7f80
	s_and_saveexec_b64 s[26:27], s[12:13]
	s_cbranch_execz .LBB754_188
; %bb.187:
	v_and_b32_e32 v40, 7, v33
	v_ffbh_u32_e32 v40, v40
	v_min_u32_e32 v40, 32, v40
	v_lshrrev_b32_e32 v41, 3, v34
	v_subrev_u32_e32 v46, 28, v40
	v_sub_u32_e32 v40, 29, v40
	v_cmp_gt_u32_e64 s[12:13], 8, v34
	v_cndmask_b32_e64 v34, v41, v40, s[12:13]
	v_cndmask_b32_e64 v40, 0, v46, s[12:13]
	v_lshlrev_b64 v[40:41], v40, v[30:31]
	v_lshlrev_b32_e32 v31, 20, v40
	v_lshlrev_b32_e32 v40, 24, v30
	v_bfrev_b32_e32 v41, 60
	v_and_b32_e32 v31, 0x700000, v31
	v_and_b32_e32 v40, 0x80000000, v40
	v_lshl_add_u32 v34, v34, 23, v41
	v_or3_b32 v31, v40, v34, v31
	v_lshrrev_b32_e32 v40, 16, v31
.LBB754_188:
	s_or_b64 exec, exec, s[26:27]
.LBB754_189:
	s_or_b64 exec, exec, s[24:25]
.LBB754_190:
	s_or_b64 exec, exec, s[14:15]
	v_lshrrev_b16_e32 v34, 8, v30
	v_cmp_ne_u16_e64 s[12:13], 0, v34
	s_and_saveexec_b64 s[14:15], s[12:13]
	s_cbranch_execz .LBB754_196
; %bb.191:
	s_movk_i32 s11, 0x80
	v_cmp_ne_u16_e64 s[12:13], s11, v34
	v_mov_b32_e32 v39, 0xffff8000
	s_and_saveexec_b64 s[24:25], s[12:13]
	s_cbranch_execz .LBB754_195
; %bb.192:
	s_movk_i32 s11, 0x7f
	v_and_b32_e32 v31, 0x7f, v34
	v_cmp_ne_u32_e64 s[12:13], s11, v31
	v_mov_b32_e32 v39, 0x7f80
	s_and_saveexec_b64 s[26:27], s[12:13]
	s_cbranch_execz .LBB754_194
; %bb.193:
	v_and_b32_e32 v39, 7, v34
	v_ffbh_u32_e32 v46, v39
	v_min_u32_e32 v48, 32, v46
	v_subrev_u32_e32 v46, 28, v48
	v_lshlrev_b64 v[46:47], v46, v[34:35]
	v_lshrrev_b32_e32 v41, 3, v31
	v_sub_u32_e32 v34, 29, v48
	v_and_b32_e32 v46, 7, v46
	v_cmp_gt_u32_e64 s[12:13], 8, v31
	v_cndmask_b32_e64 v31, v41, v34, s[12:13]
	v_cndmask_b32_e64 v34, v39, v46, s[12:13]
	v_lshlrev_b32_e32 v30, 16, v30
	v_bfrev_b32_e32 v39, 60
	v_lshlrev_b32_e32 v34, 20, v34
	v_and_b32_e32 v30, 0x80000000, v30
	v_lshl_add_u32 v31, v31, 23, v39
	v_or3_b32 v30, v30, v31, v34
	v_lshrrev_b32_e32 v39, 16, v30
.LBB754_194:
	s_or_b64 exec, exec, s[26:27]
.LBB754_195:
	s_or_b64 exec, exec, s[24:25]
.LBB754_196:
	s_or_b64 exec, exec, s[14:15]
	s_movk_i32 s11, 0xff
	v_and_b32_sdwa v41, v33, s11 dst_sel:DWORD dst_unused:UNUSED_PAD src0_sel:WORD_1 src1_sel:DWORD
	v_lshrrev_b32_e32 v30, 16, v33
	v_cmp_ne_u16_e64 s[12:13], 0, v41
	v_mov_b32_e32 v31, 0
	v_mov_b32_e32 v34, 0
	s_and_saveexec_b64 s[14:15], s[12:13]
	s_cbranch_execz .LBB754_202
; %bb.197:
	s_movk_i32 s11, 0x80
	v_cmp_ne_u16_e64 s[12:13], s11, v41
	v_mov_b32_e32 v34, 0xffff8000
	s_and_saveexec_b64 s[24:25], s[12:13]
	s_cbranch_execz .LBB754_201
; %bb.198:
	v_bfe_u32 v41, v33, 16, 7
	s_movk_i32 s11, 0x7f
	v_cmp_ne_u32_e64 s[12:13], s11, v41
	v_mov_b32_e32 v34, 0x7f80
	s_and_saveexec_b64 s[26:27], s[12:13]
	s_cbranch_execz .LBB754_200
; %bb.199:
	v_and_b32_e32 v34, 7, v30
	v_ffbh_u32_e32 v46, v34
	v_min_u32_e32 v49, 32, v46
	v_subrev_u32_e32 v46, 28, v49
	v_lshlrev_b64 v[46:47], v46, v[30:31]
	v_lshrrev_b32_e32 v48, 3, v41
	v_sub_u32_e32 v30, 29, v49
	v_and_b32_e32 v46, 7, v46
	v_cmp_gt_u32_e64 s[12:13], 8, v41
	v_mov_b32_e32 v41, 24
	v_cndmask_b32_e64 v30, v48, v30, s[12:13]
	v_cndmask_b32_e64 v34, v34, v46, s[12:13]
	v_lshlrev_b32_sdwa v41, v41, v33 dst_sel:DWORD dst_unused:UNUSED_PAD src0_sel:DWORD src1_sel:WORD_1
	v_bfrev_b32_e32 v46, 60
	v_lshlrev_b32_e32 v34, 20, v34
	v_and_b32_e32 v41, 0x80000000, v41
	v_lshl_add_u32 v30, v30, 23, v46
	v_or3_b32 v30, v41, v30, v34
	v_lshrrev_b32_e32 v34, 16, v30
.LBB754_200:
	s_or_b64 exec, exec, s[26:27]
.LBB754_201:
	s_or_b64 exec, exec, s[24:25]
.LBB754_202:
	s_or_b64 exec, exec, s[14:15]
	s_mov_b32 s12, -1
	s_mov_b32 s13, 0xffffff
	v_cmp_lt_u64_e64 s[12:13], s[12:13], v[32:33]
	s_and_saveexec_b64 s[14:15], s[12:13]
	s_cbranch_execz .LBB754_208
; %bb.203:
	v_lshrrev_b32_e32 v30, 24, v33
	s_movk_i32 s11, 0x80
	v_cmp_ne_u32_e64 s[12:13], s11, v30
	v_mov_b32_e32 v31, 0xffff8000
	s_and_saveexec_b64 s[24:25], s[12:13]
	s_cbranch_execz .LBB754_207
; %bb.204:
	v_bfe_u32 v32, v33, 24, 7
	s_movk_i32 s11, 0x7f
	v_cmp_ne_u32_e64 s[12:13], s11, v32
	v_mov_b32_e32 v31, 0x7f80
	s_and_saveexec_b64 s[26:27], s[12:13]
	s_cbranch_execz .LBB754_206
; %bb.205:
	v_and_b32_e32 v31, 7, v30
	v_ffbh_u32_e32 v41, v31
	v_min_u32_e32 v41, 32, v41
	v_subrev_u32_e32 v46, 28, v41
	v_lshlrev_b64 v[46:47], v46, v[30:31]
	v_lshrrev_b32_e32 v33, 3, v32
	v_sub_u32_e32 v41, 29, v41
	v_and_b32_e32 v46, 7, v46
	v_cmp_gt_u32_e64 s[12:13], 8, v32
	v_cndmask_b32_e64 v32, v33, v41, s[12:13]
	v_cndmask_b32_e64 v31, v31, v46, s[12:13]
	v_lshlrev_b32_e32 v30, 24, v30
	v_bfrev_b32_e32 v33, 60
	v_lshlrev_b32_e32 v31, 20, v31
	v_and_b32_e32 v30, 0x80000000, v30
	v_lshl_add_u32 v32, v32, 23, v33
	v_or3_b32 v30, v30, v32, v31
	v_lshrrev_b32_e32 v31, 16, v30
.LBB754_206:
	s_or_b64 exec, exec, s[26:27]
.LBB754_207:
	s_or_b64 exec, exec, s[24:25]
.LBB754_208:
	s_or_b64 exec, exec, s[14:15]
	s_mov_b32 s11, 0x5040100
	v_perm_b32 v33, v38, v37, s11
	v_perm_b32 v32, v35, v36, s11
	v_perm_b32 v31, v31, v34, s11
	v_perm_b32 v30, v39, v40, s11
	v_mfma_f32_4x4x4bf16_1k a[0:3], v[2:3], v[32:33], a[0:3] cbsz:4 abid:3
	v_mov_b32_e32 v33, 0
	v_mfma_f32_4x4x4bf16_1k a[0:3], v[4:5], v[30:31], a[0:3] cbsz:4 abid:3
	v_cmp_ne_u16_sdwa s[12:13], v26, v33 src0_sel:BYTE_0 src1_sel:DWORD
	v_mov_b32_e32 v34, 0
	s_and_saveexec_b64 s[14:15], s[12:13]
	s_cbranch_execz .LBB754_214
; %bb.209:
	s_movk_i32 s11, 0x80
	v_cmp_ne_u16_sdwa s[12:13], v26, s11 src0_sel:BYTE_0 src1_sel:DWORD
	v_mov_b32_e32 v34, 0xffff8000
	s_and_saveexec_b64 s[24:25], s[12:13]
	s_cbranch_execz .LBB754_213
; %bb.210:
	s_movk_i32 s11, 0x7f
	v_and_b32_e32 v30, 0x7f, v26
	v_cmp_ne_u32_e64 s[12:13], s11, v30
	v_mov_b32_e32 v34, 0x7f80
	s_and_saveexec_b64 s[26:27], s[12:13]
	s_cbranch_execz .LBB754_212
; %bb.211:
	v_and_b32_e32 v31, 7, v26
	v_ffbh_u32_e32 v31, v31
	v_min_u32_e32 v31, 32, v31
	v_subrev_u32_e32 v34, 28, v31
	v_cmp_gt_u32_e64 s[12:13], 8, v30
	v_lshrrev_b32_e32 v32, 3, v30
	v_sub_u32_e32 v31, 29, v31
	v_cndmask_b32_e64 v30, 0, v34, s[12:13]
	v_cndmask_b32_e64 v32, v32, v31, s[12:13]
	v_lshlrev_b64 v[30:31], v30, v[26:27]
	v_lshlrev_b32_e32 v30, 20, v30
	v_lshlrev_b32_e32 v31, 24, v26
	v_bfrev_b32_e32 v34, 60
	v_and_b32_e32 v30, 0x700000, v30
	v_and_b32_e32 v31, 0x80000000, v31
	v_lshl_add_u32 v32, v32, 23, v34
	v_or3_b32 v30, v31, v32, v30
	v_lshrrev_b32_e32 v34, 16, v30
.LBB754_212:
	s_or_b64 exec, exec, s[26:27]
.LBB754_213:
	s_or_b64 exec, exec, s[24:25]
.LBB754_214:
	s_or_b64 exec, exec, s[14:15]
	v_lshrrev_b16_e32 v30, 8, v26
	v_cmp_ne_u16_e64 s[12:13], 0, v30
	s_and_saveexec_b64 s[14:15], s[12:13]
	s_cbranch_execz .LBB754_220
; %bb.215:
	s_movk_i32 s11, 0x80
	v_cmp_ne_u16_e64 s[12:13], s11, v30
	v_mov_b32_e32 v33, 0xffff8000
	s_and_saveexec_b64 s[24:25], s[12:13]
	s_cbranch_execz .LBB754_219
; %bb.216:
	s_movk_i32 s11, 0x7f
	v_and_b32_e32 v31, 0x7f, v30
	v_cmp_ne_u32_e64 s[12:13], s11, v31
	v_mov_b32_e32 v33, 0x7f80
	s_and_saveexec_b64 s[26:27], s[12:13]
	s_cbranch_execz .LBB754_218
; %bb.217:
	v_and_b32_e32 v35, 7, v30
	v_ffbh_u32_e32 v32, v35
	v_min_u32_e32 v37, 32, v32
	v_subrev_u32_e32 v32, 28, v37
	v_lshlrev_b64 v[32:33], v32, v[30:31]
	v_lshrrev_b32_e32 v36, 3, v31
	v_sub_u32_e32 v30, 29, v37
	v_and_b32_e32 v32, 7, v32
	v_cmp_gt_u32_e64 s[12:13], 8, v31
	v_cndmask_b32_e64 v30, v36, v30, s[12:13]
	v_cndmask_b32_e64 v31, v35, v32, s[12:13]
	v_lshlrev_b32_e32 v32, 16, v26
	v_bfrev_b32_e32 v33, 60
	v_lshlrev_b32_e32 v31, 20, v31
	v_and_b32_e32 v32, 0x80000000, v32
	v_lshl_add_u32 v30, v30, 23, v33
	v_or3_b32 v30, v32, v30, v31
	v_lshrrev_b32_e32 v33, 16, v30
.LBB754_218:
	s_or_b64 exec, exec, s[26:27]
.LBB754_219:
	s_or_b64 exec, exec, s[24:25]
.LBB754_220:
	s_or_b64 exec, exec, s[14:15]
	s_movk_i32 s11, 0xff
	v_and_b32_sdwa v32, v26, s11 dst_sel:DWORD dst_unused:UNUSED_PAD src0_sel:WORD_1 src1_sel:DWORD
	v_lshrrev_b32_e32 v30, 16, v26
	v_cmp_ne_u16_e64 s[12:13], 0, v32
	v_mov_b32_e32 v31, 0
	v_mov_b32_e32 v35, 0
	s_and_saveexec_b64 s[14:15], s[12:13]
	s_cbranch_execz .LBB754_226
; %bb.221:
	s_movk_i32 s11, 0x80
	v_cmp_ne_u16_e64 s[12:13], s11, v32
	v_mov_b32_e32 v35, 0xffff8000
	s_and_saveexec_b64 s[24:25], s[12:13]
	s_cbranch_execz .LBB754_225
; %bb.222:
	v_bfe_u32 v32, v26, 16, 7
	s_movk_i32 s11, 0x7f
	v_cmp_ne_u32_e64 s[12:13], s11, v32
	v_mov_b32_e32 v35, 0x7f80
	s_and_saveexec_b64 s[26:27], s[12:13]
	s_cbranch_execz .LBB754_224
; %bb.223:
	v_and_b32_e32 v35, 7, v30
	v_ffbh_u32_e32 v36, v35
	v_min_u32_e32 v39, 32, v36
	v_subrev_u32_e32 v36, 28, v39
	v_lshlrev_b64 v[36:37], v36, v[30:31]
	v_and_b32_e32 v36, 7, v36
	v_cmp_gt_u32_e64 s[12:13], 8, v32
	v_lshrrev_b32_e32 v38, 3, v32
	v_sub_u32_e32 v30, 29, v39
	v_cndmask_b32_e64 v32, v35, v36, s[12:13]
	v_mov_b32_e32 v35, 24
	v_cndmask_b32_e64 v30, v38, v30, s[12:13]
	v_lshlrev_b32_sdwa v35, v35, v26 dst_sel:DWORD dst_unused:UNUSED_PAD src0_sel:DWORD src1_sel:WORD_1
	v_bfrev_b32_e32 v36, 60
	v_lshlrev_b32_e32 v32, 20, v32
	v_and_b32_e32 v35, 0x80000000, v35
	v_lshl_add_u32 v30, v30, 23, v36
	v_or3_b32 v30, v35, v30, v32
	v_lshrrev_b32_e32 v35, 16, v30
.LBB754_224:
	s_or_b64 exec, exec, s[26:27]
.LBB754_225:
	s_or_b64 exec, exec, s[24:25]
.LBB754_226:
	s_or_b64 exec, exec, s[14:15]
	s_mov_b32 s11, 0xffffff
	v_cmp_lt_u32_e64 s[12:13], s11, v26
	v_mov_b32_e32 v36, 0
	s_and_saveexec_b64 s[14:15], s[12:13]
	s_cbranch_execz .LBB754_232
; %bb.227:
	v_lshrrev_b32_e32 v30, 24, v26
	s_movk_i32 s11, 0x80
	v_cmp_ne_u32_e64 s[12:13], s11, v30
	v_mov_b32_e32 v36, 0xffff8000
	s_and_saveexec_b64 s[24:25], s[12:13]
	s_cbranch_execz .LBB754_231
; %bb.228:
	v_bfe_u32 v32, v26, 24, 7
	s_movk_i32 s11, 0x7f
	v_cmp_ne_u32_e64 s[12:13], s11, v32
	v_mov_b32_e32 v36, 0x7f80
	s_and_saveexec_b64 s[26:27], s[12:13]
	s_cbranch_execz .LBB754_230
; %bb.229:
	v_and_b32_e32 v38, 7, v30
	v_ffbh_u32_e32 v36, v38
	v_min_u32_e32 v40, 32, v36
	v_subrev_u32_e32 v36, 28, v40
	v_lshlrev_b64 v[36:37], v36, v[30:31]
	v_lshrrev_b32_e32 v39, 3, v32
	v_sub_u32_e32 v37, 29, v40
	v_and_b32_e32 v36, 7, v36
	v_cmp_gt_u32_e64 s[12:13], 8, v32
	v_cndmask_b32_e64 v32, v39, v37, s[12:13]
	v_cndmask_b32_e64 v36, v38, v36, s[12:13]
	v_lshlrev_b32_e32 v30, 24, v30
	v_bfrev_b32_e32 v37, 60
	v_lshlrev_b32_e32 v36, 20, v36
	v_and_b32_e32 v30, 0x80000000, v30
	v_lshl_add_u32 v32, v32, 23, v37
	v_or3_b32 v30, v30, v32, v36
	v_lshrrev_b32_e32 v36, 16, v30
.LBB754_230:
	s_or_b64 exec, exec, s[26:27]
.LBB754_231:
	s_or_b64 exec, exec, s[24:25]
.LBB754_232:
	s_or_b64 exec, exec, s[14:15]
	v_mov_b32_e32 v37, 0
	v_mov_b32_e32 v30, v27
	v_cmp_ne_u16_sdwa s[12:13], v27, v37 src0_sel:BYTE_0 src1_sel:DWORD
	v_mov_b32_e32 v38, 0
	s_and_saveexec_b64 s[14:15], s[12:13]
	s_cbranch_execz .LBB754_238
; %bb.233:
	s_movk_i32 s11, 0x80
	v_cmp_ne_u16_sdwa s[12:13], v27, s11 src0_sel:BYTE_0 src1_sel:DWORD
	v_mov_b32_e32 v38, 0xffff8000
	s_and_saveexec_b64 s[24:25], s[12:13]
	s_cbranch_execz .LBB754_237
; %bb.234:
	s_movk_i32 s11, 0x7f
	v_and_b32_e32 v32, 0x7f, v27
	v_cmp_ne_u32_e64 s[12:13], s11, v32
	v_mov_b32_e32 v38, 0x7f80
	s_and_saveexec_b64 s[26:27], s[12:13]
	s_cbranch_execz .LBB754_236
; %bb.235:
	v_and_b32_e32 v38, 7, v27
	v_ffbh_u32_e32 v38, v38
	v_min_u32_e32 v38, 32, v38
	v_lshrrev_b32_e32 v39, 3, v32
	v_subrev_u32_e32 v40, 28, v38
	v_sub_u32_e32 v38, 29, v38
	v_cmp_gt_u32_e64 s[12:13], 8, v32
	v_cndmask_b32_e64 v32, v39, v38, s[12:13]
	v_cndmask_b32_e64 v38, 0, v40, s[12:13]
	v_lshlrev_b64 v[38:39], v38, v[30:31]
	v_lshlrev_b32_e32 v31, 20, v38
	v_lshlrev_b32_e32 v38, 24, v30
	v_bfrev_b32_e32 v39, 60
	v_and_b32_e32 v31, 0x700000, v31
	v_and_b32_e32 v38, 0x80000000, v38
	v_lshl_add_u32 v32, v32, 23, v39
	v_or3_b32 v31, v38, v32, v31
	v_lshrrev_b32_e32 v38, 16, v31
.LBB754_236:
	s_or_b64 exec, exec, s[26:27]
.LBB754_237:
	s_or_b64 exec, exec, s[24:25]
.LBB754_238:
	s_or_b64 exec, exec, s[14:15]
	v_lshrrev_b16_e32 v32, 8, v30
	v_cmp_ne_u16_e64 s[12:13], 0, v32
	s_and_saveexec_b64 s[14:15], s[12:13]
	s_cbranch_execz .LBB754_244
; %bb.239:
	s_movk_i32 s11, 0x80
	v_cmp_ne_u16_e64 s[12:13], s11, v32
	v_mov_b32_e32 v37, 0xffff8000
	s_and_saveexec_b64 s[24:25], s[12:13]
	s_cbranch_execz .LBB754_243
; %bb.240:
	s_movk_i32 s11, 0x7f
	v_and_b32_e32 v31, 0x7f, v32
	v_cmp_ne_u32_e64 s[12:13], s11, v31
	v_mov_b32_e32 v37, 0x7f80
	s_and_saveexec_b64 s[26:27], s[12:13]
	s_cbranch_execz .LBB754_242
; %bb.241:
	v_and_b32_e32 v37, 7, v32
	v_ffbh_u32_e32 v40, v37
	v_min_u32_e32 v46, 32, v40
	v_subrev_u32_e32 v40, 28, v46
	v_lshlrev_b64 v[40:41], v40, v[32:33]
	v_lshrrev_b32_e32 v39, 3, v31
	v_sub_u32_e32 v32, 29, v46
	v_and_b32_e32 v40, 7, v40
	v_cmp_gt_u32_e64 s[12:13], 8, v31
	v_cndmask_b32_e64 v31, v39, v32, s[12:13]
	v_cndmask_b32_e64 v32, v37, v40, s[12:13]
	v_lshlrev_b32_e32 v30, 16, v30
	v_bfrev_b32_e32 v37, 60
	v_lshlrev_b32_e32 v32, 20, v32
	v_and_b32_e32 v30, 0x80000000, v30
	v_lshl_add_u32 v31, v31, 23, v37
	v_or3_b32 v30, v30, v31, v32
	v_lshrrev_b32_e32 v37, 16, v30
.LBB754_242:
	s_or_b64 exec, exec, s[26:27]
.LBB754_243:
	s_or_b64 exec, exec, s[24:25]
.LBB754_244:
	s_or_b64 exec, exec, s[14:15]
	s_movk_i32 s11, 0xff
	v_and_b32_sdwa v39, v27, s11 dst_sel:DWORD dst_unused:UNUSED_PAD src0_sel:WORD_1 src1_sel:DWORD
	v_lshrrev_b32_e32 v30, 16, v27
	v_cmp_ne_u16_e64 s[12:13], 0, v39
	v_mov_b32_e32 v31, 0
	v_mov_b32_e32 v32, 0
	s_and_saveexec_b64 s[14:15], s[12:13]
	s_cbranch_execz .LBB754_250
; %bb.245:
	s_movk_i32 s11, 0x80
	v_cmp_ne_u16_e64 s[12:13], s11, v39
	v_mov_b32_e32 v32, 0xffff8000
	s_and_saveexec_b64 s[24:25], s[12:13]
	s_cbranch_execz .LBB754_249
; %bb.246:
	v_bfe_u32 v39, v27, 16, 7
	s_movk_i32 s11, 0x7f
	v_cmp_ne_u32_e64 s[12:13], s11, v39
	v_mov_b32_e32 v32, 0x7f80
	s_and_saveexec_b64 s[26:27], s[12:13]
	s_cbranch_execz .LBB754_248
; %bb.247:
	v_and_b32_e32 v32, 7, v30
	v_ffbh_u32_e32 v40, v32
	v_min_u32_e32 v47, 32, v40
	v_subrev_u32_e32 v40, 28, v47
	v_lshlrev_b64 v[40:41], v40, v[30:31]
	v_lshrrev_b32_e32 v46, 3, v39
	v_sub_u32_e32 v30, 29, v47
	v_and_b32_e32 v40, 7, v40
	v_cmp_gt_u32_e64 s[12:13], 8, v39
	v_mov_b32_e32 v39, 24
	v_cndmask_b32_e64 v30, v46, v30, s[12:13]
	v_cndmask_b32_e64 v32, v32, v40, s[12:13]
	v_lshlrev_b32_sdwa v39, v39, v27 dst_sel:DWORD dst_unused:UNUSED_PAD src0_sel:DWORD src1_sel:WORD_1
	v_bfrev_b32_e32 v40, 60
	v_lshlrev_b32_e32 v32, 20, v32
	v_and_b32_e32 v39, 0x80000000, v39
	v_lshl_add_u32 v30, v30, 23, v40
	v_or3_b32 v30, v39, v30, v32
	v_lshrrev_b32_e32 v32, 16, v30
.LBB754_248:
	s_or_b64 exec, exec, s[26:27]
.LBB754_249:
	s_or_b64 exec, exec, s[24:25]
.LBB754_250:
	s_or_b64 exec, exec, s[14:15]
	s_mov_b32 s12, -1
	s_mov_b32 s13, 0xffffff
	v_cmp_lt_u64_e64 s[12:13], s[12:13], v[26:27]
	s_and_saveexec_b64 s[14:15], s[12:13]
	s_cbranch_execz .LBB754_256
; %bb.251:
	v_lshrrev_b32_e32 v26, 24, v27
	s_movk_i32 s11, 0x80
	v_cmp_ne_u32_e64 s[12:13], s11, v26
	v_mov_b32_e32 v31, 0xffff8000
	s_and_saveexec_b64 s[24:25], s[12:13]
	s_cbranch_execz .LBB754_255
; %bb.252:
	v_bfe_u32 v27, v27, 24, 7
	s_movk_i32 s11, 0x7f
	v_cmp_ne_u32_e64 s[12:13], s11, v27
	v_mov_b32_e32 v31, 0x7f80
	s_and_saveexec_b64 s[26:27], s[12:13]
	s_cbranch_execz .LBB754_254
; %bb.253:
	v_and_b32_e32 v39, 7, v26
	v_ffbh_u32_e32 v30, v39
	v_min_u32_e32 v41, 32, v30
	v_subrev_u32_e32 v30, 28, v41
	v_lshlrev_b64 v[30:31], v30, v[26:27]
	v_lshrrev_b32_e32 v40, 3, v27
	v_sub_u32_e32 v31, 29, v41
	v_and_b32_e32 v30, 7, v30
	v_cmp_gt_u32_e64 s[12:13], 8, v27
	v_cndmask_b32_e64 v27, v40, v31, s[12:13]
	v_cndmask_b32_e64 v30, v39, v30, s[12:13]
	v_lshlrev_b32_e32 v26, 24, v26
	v_bfrev_b32_e32 v31, 60
	v_lshlrev_b32_e32 v30, 20, v30
	v_and_b32_e32 v26, 0x80000000, v26
	v_lshl_add_u32 v27, v27, 23, v31
	v_or3_b32 v26, v26, v27, v30
	v_lshrrev_b32_e32 v31, 16, v26
.LBB754_254:
	s_or_b64 exec, exec, s[26:27]
.LBB754_255:
	s_or_b64 exec, exec, s[24:25]
.LBB754_256:
	s_or_b64 exec, exec, s[14:15]
	s_mov_b32 s11, 0x5040100
	v_perm_b32 v27, v36, v35, s11
	v_perm_b32 v26, v33, v34, s11
	;; [unrolled: 1-line block ×4, first 2 shown]
	v_mfma_f32_4x4x4bf16_1k a[0:3], v[2:3], v[26:27], a[0:3] cbsz:4 abid:4
	v_mov_b32_e32 v32, 0
	v_mfma_f32_4x4x4bf16_1k a[0:3], v[4:5], v[30:31], a[0:3] cbsz:4 abid:4
	v_mov_b32_e32 v31, 0
	v_cmp_ne_u16_sdwa s[12:13], v28, v31 src0_sel:BYTE_0 src1_sel:DWORD
	s_and_saveexec_b64 s[14:15], s[12:13]
	s_cbranch_execz .LBB754_262
; %bb.257:
	s_movk_i32 s11, 0x80
	v_cmp_ne_u16_sdwa s[12:13], v28, s11 src0_sel:BYTE_0 src1_sel:DWORD
	v_mov_b32_e32 v32, 0xffff8000
	s_and_saveexec_b64 s[24:25], s[12:13]
	s_cbranch_execz .LBB754_261
; %bb.258:
	s_movk_i32 s11, 0x7f
	v_and_b32_e32 v26, 0x7f, v28
	v_cmp_ne_u32_e64 s[12:13], s11, v26
	v_mov_b32_e32 v32, 0x7f80
	s_and_saveexec_b64 s[26:27], s[12:13]
	s_cbranch_execz .LBB754_260
; %bb.259:
	v_and_b32_e32 v27, 7, v28
	v_ffbh_u32_e32 v27, v27
	v_min_u32_e32 v27, 32, v27
	v_subrev_u32_e32 v32, 28, v27
	v_cmp_gt_u32_e64 s[12:13], 8, v26
	v_lshrrev_b32_e32 v30, 3, v26
	v_sub_u32_e32 v27, 29, v27
	v_cndmask_b32_e64 v26, 0, v32, s[12:13]
	v_cndmask_b32_e64 v30, v30, v27, s[12:13]
	v_lshlrev_b64 v[26:27], v26, v[28:29]
	v_lshlrev_b32_e32 v26, 20, v26
	v_lshlrev_b32_e32 v27, 24, v28
	v_bfrev_b32_e32 v32, 60
	v_and_b32_e32 v26, 0x700000, v26
	v_and_b32_e32 v27, 0x80000000, v27
	v_lshl_add_u32 v30, v30, 23, v32
	v_or3_b32 v26, v27, v30, v26
	v_lshrrev_b32_e32 v32, 16, v26
.LBB754_260:
	s_or_b64 exec, exec, s[26:27]
.LBB754_261:
	s_or_b64 exec, exec, s[24:25]
.LBB754_262:
	s_or_b64 exec, exec, s[14:15]
	v_lshrrev_b16_e32 v26, 8, v28
	v_cmp_ne_u16_e64 s[12:13], 0, v26
	s_and_saveexec_b64 s[14:15], s[12:13]
	s_cbranch_execz .LBB754_268
; %bb.263:
	s_movk_i32 s11, 0x80
	v_cmp_ne_u16_e64 s[12:13], s11, v26
	v_mov_b32_e32 v31, 0xffff8000
	s_and_saveexec_b64 s[24:25], s[12:13]
	s_cbranch_execz .LBB754_267
; %bb.264:
	s_movk_i32 s11, 0x7f
	v_and_b32_e32 v27, 0x7f, v26
	v_cmp_ne_u32_e64 s[12:13], s11, v27
	v_mov_b32_e32 v31, 0x7f80
	s_and_saveexec_b64 s[26:27], s[12:13]
	s_cbranch_execz .LBB754_266
; %bb.265:
	v_and_b32_e32 v33, 7, v26
	v_ffbh_u32_e32 v30, v33
	v_min_u32_e32 v35, 32, v30
	v_subrev_u32_e32 v30, 28, v35
	v_lshlrev_b64 v[30:31], v30, v[26:27]
	v_lshrrev_b32_e32 v34, 3, v27
	v_sub_u32_e32 v26, 29, v35
	v_and_b32_e32 v30, 7, v30
	v_cmp_gt_u32_e64 s[12:13], 8, v27
	v_cndmask_b32_e64 v26, v34, v26, s[12:13]
	v_cndmask_b32_e64 v27, v33, v30, s[12:13]
	v_lshlrev_b32_e32 v30, 16, v28
	v_bfrev_b32_e32 v31, 60
	v_lshlrev_b32_e32 v27, 20, v27
	v_and_b32_e32 v30, 0x80000000, v30
	v_lshl_add_u32 v26, v26, 23, v31
	v_or3_b32 v26, v30, v26, v27
	v_lshrrev_b32_e32 v31, 16, v26
.LBB754_266:
	s_or_b64 exec, exec, s[26:27]
.LBB754_267:
	s_or_b64 exec, exec, s[24:25]
.LBB754_268:
	s_or_b64 exec, exec, s[14:15]
	s_movk_i32 s11, 0xff
	v_and_b32_sdwa v30, v28, s11 dst_sel:DWORD dst_unused:UNUSED_PAD src0_sel:WORD_1 src1_sel:DWORD
	v_lshrrev_b32_e32 v26, 16, v28
	v_cmp_ne_u16_e64 s[12:13], 0, v30
	v_mov_b32_e32 v27, 0
	v_mov_b32_e32 v33, 0
	s_and_saveexec_b64 s[14:15], s[12:13]
	s_cbranch_execz .LBB754_274
; %bb.269:
	s_movk_i32 s11, 0x80
	v_cmp_ne_u16_e64 s[12:13], s11, v30
	v_mov_b32_e32 v33, 0xffff8000
	s_and_saveexec_b64 s[24:25], s[12:13]
	s_cbranch_execz .LBB754_273
; %bb.270:
	v_bfe_u32 v30, v28, 16, 7
	s_movk_i32 s11, 0x7f
	v_cmp_ne_u32_e64 s[12:13], s11, v30
	v_mov_b32_e32 v33, 0x7f80
	s_and_saveexec_b64 s[26:27], s[12:13]
	s_cbranch_execz .LBB754_272
; %bb.271:
	v_and_b32_e32 v33, 7, v26
	v_ffbh_u32_e32 v34, v33
	v_min_u32_e32 v37, 32, v34
	v_subrev_u32_e32 v34, 28, v37
	v_lshlrev_b64 v[34:35], v34, v[26:27]
	v_and_b32_e32 v34, 7, v34
	v_cmp_gt_u32_e64 s[12:13], 8, v30
	v_lshrrev_b32_e32 v36, 3, v30
	v_sub_u32_e32 v26, 29, v37
	v_cndmask_b32_e64 v30, v33, v34, s[12:13]
	v_mov_b32_e32 v33, 24
	v_cndmask_b32_e64 v26, v36, v26, s[12:13]
	v_lshlrev_b32_sdwa v33, v33, v28 dst_sel:DWORD dst_unused:UNUSED_PAD src0_sel:DWORD src1_sel:WORD_1
	v_bfrev_b32_e32 v34, 60
	v_lshlrev_b32_e32 v30, 20, v30
	v_and_b32_e32 v33, 0x80000000, v33
	v_lshl_add_u32 v26, v26, 23, v34
	v_or3_b32 v26, v33, v26, v30
	v_lshrrev_b32_e32 v33, 16, v26
.LBB754_272:
	s_or_b64 exec, exec, s[26:27]
.LBB754_273:
	s_or_b64 exec, exec, s[24:25]
.LBB754_274:
	s_or_b64 exec, exec, s[14:15]
	s_mov_b32 s11, 0xffffff
	v_cmp_lt_u32_e64 s[12:13], s11, v28
	v_mov_b32_e32 v34, 0
	s_and_saveexec_b64 s[14:15], s[12:13]
	s_cbranch_execz .LBB754_280
; %bb.275:
	v_lshrrev_b32_e32 v26, 24, v28
	s_movk_i32 s11, 0x80
	v_cmp_ne_u32_e64 s[12:13], s11, v26
	v_mov_b32_e32 v34, 0xffff8000
	s_and_saveexec_b64 s[24:25], s[12:13]
	s_cbranch_execz .LBB754_279
; %bb.276:
	v_bfe_u32 v30, v28, 24, 7
	s_movk_i32 s11, 0x7f
	v_cmp_ne_u32_e64 s[12:13], s11, v30
	v_mov_b32_e32 v34, 0x7f80
	s_and_saveexec_b64 s[26:27], s[12:13]
	s_cbranch_execz .LBB754_278
; %bb.277:
	v_and_b32_e32 v36, 7, v26
	v_ffbh_u32_e32 v34, v36
	v_min_u32_e32 v38, 32, v34
	v_subrev_u32_e32 v34, 28, v38
	v_lshlrev_b64 v[34:35], v34, v[26:27]
	v_lshrrev_b32_e32 v37, 3, v30
	v_sub_u32_e32 v35, 29, v38
	v_and_b32_e32 v34, 7, v34
	v_cmp_gt_u32_e64 s[12:13], 8, v30
	v_cndmask_b32_e64 v30, v37, v35, s[12:13]
	v_cndmask_b32_e64 v34, v36, v34, s[12:13]
	v_lshlrev_b32_e32 v26, 24, v26
	v_bfrev_b32_e32 v35, 60
	v_lshlrev_b32_e32 v34, 20, v34
	v_and_b32_e32 v26, 0x80000000, v26
	v_lshl_add_u32 v30, v30, 23, v35
	v_or3_b32 v26, v26, v30, v34
	v_lshrrev_b32_e32 v34, 16, v26
.LBB754_278:
	s_or_b64 exec, exec, s[26:27]
.LBB754_279:
	s_or_b64 exec, exec, s[24:25]
.LBB754_280:
	s_or_b64 exec, exec, s[14:15]
	v_mov_b32_e32 v35, 0
	v_mov_b32_e32 v26, v29
	v_cmp_ne_u16_sdwa s[12:13], v29, v35 src0_sel:BYTE_0 src1_sel:DWORD
	v_mov_b32_e32 v36, 0
	s_and_saveexec_b64 s[14:15], s[12:13]
	s_cbranch_execz .LBB754_286
; %bb.281:
	s_movk_i32 s11, 0x80
	v_cmp_ne_u16_sdwa s[12:13], v29, s11 src0_sel:BYTE_0 src1_sel:DWORD
	v_mov_b32_e32 v36, 0xffff8000
	s_and_saveexec_b64 s[24:25], s[12:13]
	s_cbranch_execz .LBB754_285
; %bb.282:
	s_movk_i32 s11, 0x7f
	v_and_b32_e32 v30, 0x7f, v29
	v_cmp_ne_u32_e64 s[12:13], s11, v30
	v_mov_b32_e32 v36, 0x7f80
	s_and_saveexec_b64 s[26:27], s[12:13]
	s_cbranch_execz .LBB754_284
; %bb.283:
	v_and_b32_e32 v36, 7, v29
	v_ffbh_u32_e32 v36, v36
	v_min_u32_e32 v36, 32, v36
	v_lshrrev_b32_e32 v37, 3, v30
	v_subrev_u32_e32 v38, 28, v36
	v_sub_u32_e32 v36, 29, v36
	v_cmp_gt_u32_e64 s[12:13], 8, v30
	v_cndmask_b32_e64 v30, v37, v36, s[12:13]
	v_cndmask_b32_e64 v36, 0, v38, s[12:13]
	v_lshlrev_b64 v[36:37], v36, v[26:27]
	v_lshlrev_b32_e32 v27, 20, v36
	v_lshlrev_b32_e32 v36, 24, v26
	v_bfrev_b32_e32 v37, 60
	v_and_b32_e32 v27, 0x700000, v27
	v_and_b32_e32 v36, 0x80000000, v36
	v_lshl_add_u32 v30, v30, 23, v37
	v_or3_b32 v27, v36, v30, v27
	v_lshrrev_b32_e32 v36, 16, v27
.LBB754_284:
	s_or_b64 exec, exec, s[26:27]
.LBB754_285:
	s_or_b64 exec, exec, s[24:25]
.LBB754_286:
	s_or_b64 exec, exec, s[14:15]
	v_lshrrev_b16_e32 v30, 8, v26
	v_cmp_ne_u16_e64 s[12:13], 0, v30
	s_and_saveexec_b64 s[14:15], s[12:13]
	s_cbranch_execz .LBB754_292
; %bb.287:
	s_movk_i32 s11, 0x80
	v_cmp_ne_u16_e64 s[12:13], s11, v30
	v_mov_b32_e32 v35, 0xffff8000
	s_and_saveexec_b64 s[24:25], s[12:13]
	s_cbranch_execz .LBB754_291
; %bb.288:
	s_movk_i32 s11, 0x7f
	v_and_b32_e32 v27, 0x7f, v30
	v_cmp_ne_u32_e64 s[12:13], s11, v27
	v_mov_b32_e32 v35, 0x7f80
	s_and_saveexec_b64 s[26:27], s[12:13]
	s_cbranch_execz .LBB754_290
; %bb.289:
	v_and_b32_e32 v35, 7, v30
	v_ffbh_u32_e32 v38, v35
	v_min_u32_e32 v40, 32, v38
	v_subrev_u32_e32 v38, 28, v40
	v_lshlrev_b64 v[38:39], v38, v[30:31]
	v_lshrrev_b32_e32 v37, 3, v27
	v_sub_u32_e32 v30, 29, v40
	v_and_b32_e32 v38, 7, v38
	v_cmp_gt_u32_e64 s[12:13], 8, v27
	v_cndmask_b32_e64 v27, v37, v30, s[12:13]
	v_cndmask_b32_e64 v30, v35, v38, s[12:13]
	v_lshlrev_b32_e32 v26, 16, v26
	v_bfrev_b32_e32 v35, 60
	v_lshlrev_b32_e32 v30, 20, v30
	v_and_b32_e32 v26, 0x80000000, v26
	v_lshl_add_u32 v27, v27, 23, v35
	v_or3_b32 v26, v26, v27, v30
	v_lshrrev_b32_e32 v35, 16, v26
.LBB754_290:
	s_or_b64 exec, exec, s[26:27]
.LBB754_291:
	s_or_b64 exec, exec, s[24:25]
.LBB754_292:
	s_or_b64 exec, exec, s[14:15]
	s_movk_i32 s11, 0xff
	v_and_b32_sdwa v37, v29, s11 dst_sel:DWORD dst_unused:UNUSED_PAD src0_sel:WORD_1 src1_sel:DWORD
	v_lshrrev_b32_e32 v26, 16, v29
	v_cmp_ne_u16_e64 s[12:13], 0, v37
	v_mov_b32_e32 v27, 0
	v_mov_b32_e32 v30, 0
	s_and_saveexec_b64 s[14:15], s[12:13]
	s_cbranch_execz .LBB754_298
; %bb.293:
	s_movk_i32 s11, 0x80
	v_cmp_ne_u16_e64 s[12:13], s11, v37
	v_mov_b32_e32 v30, 0xffff8000
	s_and_saveexec_b64 s[24:25], s[12:13]
	s_cbranch_execz .LBB754_297
; %bb.294:
	v_bfe_u32 v37, v29, 16, 7
	s_movk_i32 s11, 0x7f
	v_cmp_ne_u32_e64 s[12:13], s11, v37
	v_mov_b32_e32 v30, 0x7f80
	s_and_saveexec_b64 s[26:27], s[12:13]
	s_cbranch_execz .LBB754_296
; %bb.295:
	v_and_b32_e32 v30, 7, v26
	v_ffbh_u32_e32 v38, v30
	v_min_u32_e32 v41, 32, v38
	v_subrev_u32_e32 v38, 28, v41
	v_lshlrev_b64 v[38:39], v38, v[26:27]
	v_lshrrev_b32_e32 v40, 3, v37
	v_sub_u32_e32 v26, 29, v41
	v_and_b32_e32 v38, 7, v38
	v_cmp_gt_u32_e64 s[12:13], 8, v37
	v_mov_b32_e32 v37, 24
	v_cndmask_b32_e64 v26, v40, v26, s[12:13]
	v_cndmask_b32_e64 v30, v30, v38, s[12:13]
	v_lshlrev_b32_sdwa v37, v37, v29 dst_sel:DWORD dst_unused:UNUSED_PAD src0_sel:DWORD src1_sel:WORD_1
	v_bfrev_b32_e32 v38, 60
	v_lshlrev_b32_e32 v30, 20, v30
	v_and_b32_e32 v37, 0x80000000, v37
	v_lshl_add_u32 v26, v26, 23, v38
	v_or3_b32 v26, v37, v26, v30
	v_lshrrev_b32_e32 v30, 16, v26
.LBB754_296:
	s_or_b64 exec, exec, s[26:27]
.LBB754_297:
	s_or_b64 exec, exec, s[24:25]
.LBB754_298:
	s_or_b64 exec, exec, s[14:15]
	s_mov_b32 s12, -1
	s_mov_b32 s13, 0xffffff
	v_cmp_lt_u64_e64 s[12:13], s[12:13], v[28:29]
	s_and_saveexec_b64 s[14:15], s[12:13]
	s_cbranch_execz .LBB754_304
; %bb.299:
	v_lshrrev_b32_e32 v26, 24, v29
	s_movk_i32 s11, 0x80
	v_cmp_ne_u32_e64 s[12:13], s11, v26
	v_mov_b32_e32 v27, 0xffff8000
	s_and_saveexec_b64 s[24:25], s[12:13]
	s_cbranch_execz .LBB754_303
; %bb.300:
	v_bfe_u32 v28, v29, 24, 7
	s_movk_i32 s11, 0x7f
	v_cmp_ne_u32_e64 s[12:13], s11, v28
	v_mov_b32_e32 v27, 0x7f80
	s_and_saveexec_b64 s[26:27], s[12:13]
	s_cbranch_execz .LBB754_302
; %bb.301:
	v_and_b32_e32 v27, 7, v26
	v_ffbh_u32_e32 v37, v27
	v_min_u32_e32 v37, 32, v37
	v_subrev_u32_e32 v38, 28, v37
	v_lshlrev_b64 v[38:39], v38, v[26:27]
	v_lshrrev_b32_e32 v29, 3, v28
	v_sub_u32_e32 v37, 29, v37
	v_and_b32_e32 v38, 7, v38
	v_cmp_gt_u32_e64 s[12:13], 8, v28
	v_cndmask_b32_e64 v28, v29, v37, s[12:13]
	v_cndmask_b32_e64 v27, v27, v38, s[12:13]
	v_lshlrev_b32_e32 v26, 24, v26
	v_bfrev_b32_e32 v29, 60
	v_lshlrev_b32_e32 v27, 20, v27
	v_and_b32_e32 v26, 0x80000000, v26
	v_lshl_add_u32 v28, v28, 23, v29
	v_or3_b32 v26, v26, v28, v27
	v_lshrrev_b32_e32 v27, 16, v26
.LBB754_302:
	s_or_b64 exec, exec, s[26:27]
.LBB754_303:
	s_or_b64 exec, exec, s[24:25]
.LBB754_304:
	s_or_b64 exec, exec, s[14:15]
	s_mov_b32 s11, 0x5040100
	v_perm_b32 v29, v34, v33, s11
	v_perm_b32 v28, v31, v32, s11
	v_perm_b32 v27, v27, v30, s11
	v_perm_b32 v26, v35, v36, s11
	v_mfma_f32_4x4x4bf16_1k a[0:3], v[2:3], v[28:29], a[0:3] cbsz:4 abid:5
	v_mov_b32_e32 v29, 0
	v_mfma_f32_4x4x4bf16_1k a[0:3], v[4:5], v[26:27], a[0:3] cbsz:4 abid:5
	v_cmp_ne_u16_sdwa s[12:13], v22, v29 src0_sel:BYTE_0 src1_sel:DWORD
	v_mov_b32_e32 v30, 0
	s_and_saveexec_b64 s[14:15], s[12:13]
	s_cbranch_execz .LBB754_310
; %bb.305:
	s_movk_i32 s11, 0x80
	v_cmp_ne_u16_sdwa s[12:13], v22, s11 src0_sel:BYTE_0 src1_sel:DWORD
	v_mov_b32_e32 v30, 0xffff8000
	s_and_saveexec_b64 s[24:25], s[12:13]
	s_cbranch_execz .LBB754_309
; %bb.306:
	s_movk_i32 s11, 0x7f
	v_and_b32_e32 v26, 0x7f, v22
	v_cmp_ne_u32_e64 s[12:13], s11, v26
	v_mov_b32_e32 v30, 0x7f80
	s_and_saveexec_b64 s[26:27], s[12:13]
	s_cbranch_execz .LBB754_308
; %bb.307:
	v_and_b32_e32 v27, 7, v22
	v_ffbh_u32_e32 v27, v27
	v_min_u32_e32 v27, 32, v27
	v_subrev_u32_e32 v30, 28, v27
	v_cmp_gt_u32_e64 s[12:13], 8, v26
	v_lshrrev_b32_e32 v28, 3, v26
	v_sub_u32_e32 v27, 29, v27
	v_cndmask_b32_e64 v26, 0, v30, s[12:13]
	v_cndmask_b32_e64 v28, v28, v27, s[12:13]
	v_lshlrev_b64 v[26:27], v26, v[22:23]
	v_lshlrev_b32_e32 v26, 20, v26
	v_lshlrev_b32_e32 v27, 24, v22
	v_bfrev_b32_e32 v30, 60
	v_and_b32_e32 v26, 0x700000, v26
	v_and_b32_e32 v27, 0x80000000, v27
	v_lshl_add_u32 v28, v28, 23, v30
	v_or3_b32 v26, v27, v28, v26
	v_lshrrev_b32_e32 v30, 16, v26
.LBB754_308:
	s_or_b64 exec, exec, s[26:27]
.LBB754_309:
	s_or_b64 exec, exec, s[24:25]
.LBB754_310:
	s_or_b64 exec, exec, s[14:15]
	v_lshrrev_b16_e32 v26, 8, v22
	v_cmp_ne_u16_e64 s[12:13], 0, v26
	s_and_saveexec_b64 s[14:15], s[12:13]
	s_cbranch_execz .LBB754_316
; %bb.311:
	s_movk_i32 s11, 0x80
	v_cmp_ne_u16_e64 s[12:13], s11, v26
	v_mov_b32_e32 v29, 0xffff8000
	s_and_saveexec_b64 s[24:25], s[12:13]
	s_cbranch_execz .LBB754_315
; %bb.312:
	s_movk_i32 s11, 0x7f
	v_and_b32_e32 v27, 0x7f, v26
	v_cmp_ne_u32_e64 s[12:13], s11, v27
	v_mov_b32_e32 v29, 0x7f80
	s_and_saveexec_b64 s[26:27], s[12:13]
	s_cbranch_execz .LBB754_314
; %bb.313:
	v_and_b32_e32 v31, 7, v26
	v_ffbh_u32_e32 v28, v31
	v_min_u32_e32 v33, 32, v28
	v_subrev_u32_e32 v28, 28, v33
	v_lshlrev_b64 v[28:29], v28, v[26:27]
	v_lshrrev_b32_e32 v32, 3, v27
	v_sub_u32_e32 v26, 29, v33
	v_and_b32_e32 v28, 7, v28
	v_cmp_gt_u32_e64 s[12:13], 8, v27
	v_cndmask_b32_e64 v26, v32, v26, s[12:13]
	v_cndmask_b32_e64 v27, v31, v28, s[12:13]
	v_lshlrev_b32_e32 v28, 16, v22
	v_bfrev_b32_e32 v29, 60
	v_lshlrev_b32_e32 v27, 20, v27
	v_and_b32_e32 v28, 0x80000000, v28
	v_lshl_add_u32 v26, v26, 23, v29
	v_or3_b32 v26, v28, v26, v27
	v_lshrrev_b32_e32 v29, 16, v26
.LBB754_314:
	s_or_b64 exec, exec, s[26:27]
.LBB754_315:
	s_or_b64 exec, exec, s[24:25]
.LBB754_316:
	s_or_b64 exec, exec, s[14:15]
	s_movk_i32 s11, 0xff
	v_and_b32_sdwa v28, v22, s11 dst_sel:DWORD dst_unused:UNUSED_PAD src0_sel:WORD_1 src1_sel:DWORD
	v_lshrrev_b32_e32 v26, 16, v22
	v_cmp_ne_u16_e64 s[12:13], 0, v28
	v_mov_b32_e32 v27, 0
	v_mov_b32_e32 v31, 0
	s_and_saveexec_b64 s[14:15], s[12:13]
	s_cbranch_execz .LBB754_322
; %bb.317:
	s_movk_i32 s11, 0x80
	v_cmp_ne_u16_e64 s[12:13], s11, v28
	v_mov_b32_e32 v31, 0xffff8000
	s_and_saveexec_b64 s[24:25], s[12:13]
	s_cbranch_execz .LBB754_321
; %bb.318:
	v_bfe_u32 v28, v22, 16, 7
	s_movk_i32 s11, 0x7f
	v_cmp_ne_u32_e64 s[12:13], s11, v28
	v_mov_b32_e32 v31, 0x7f80
	s_and_saveexec_b64 s[26:27], s[12:13]
	s_cbranch_execz .LBB754_320
; %bb.319:
	v_and_b32_e32 v31, 7, v26
	v_ffbh_u32_e32 v32, v31
	v_min_u32_e32 v35, 32, v32
	v_subrev_u32_e32 v32, 28, v35
	v_lshlrev_b64 v[32:33], v32, v[26:27]
	v_and_b32_e32 v32, 7, v32
	v_cmp_gt_u32_e64 s[12:13], 8, v28
	v_lshrrev_b32_e32 v34, 3, v28
	v_sub_u32_e32 v26, 29, v35
	v_cndmask_b32_e64 v28, v31, v32, s[12:13]
	v_mov_b32_e32 v31, 24
	v_cndmask_b32_e64 v26, v34, v26, s[12:13]
	v_lshlrev_b32_sdwa v31, v31, v22 dst_sel:DWORD dst_unused:UNUSED_PAD src0_sel:DWORD src1_sel:WORD_1
	v_bfrev_b32_e32 v32, 60
	v_lshlrev_b32_e32 v28, 20, v28
	v_and_b32_e32 v31, 0x80000000, v31
	v_lshl_add_u32 v26, v26, 23, v32
	v_or3_b32 v26, v31, v26, v28
	v_lshrrev_b32_e32 v31, 16, v26
.LBB754_320:
	s_or_b64 exec, exec, s[26:27]
.LBB754_321:
	s_or_b64 exec, exec, s[24:25]
.LBB754_322:
	s_or_b64 exec, exec, s[14:15]
	s_mov_b32 s11, 0xffffff
	v_cmp_lt_u32_e64 s[12:13], s11, v22
	v_mov_b32_e32 v32, 0
	s_and_saveexec_b64 s[14:15], s[12:13]
	s_cbranch_execz .LBB754_328
; %bb.323:
	v_lshrrev_b32_e32 v26, 24, v22
	s_movk_i32 s11, 0x80
	v_cmp_ne_u32_e64 s[12:13], s11, v26
	v_mov_b32_e32 v32, 0xffff8000
	s_and_saveexec_b64 s[24:25], s[12:13]
	s_cbranch_execz .LBB754_327
; %bb.324:
	v_bfe_u32 v28, v22, 24, 7
	s_movk_i32 s11, 0x7f
	v_cmp_ne_u32_e64 s[12:13], s11, v28
	v_mov_b32_e32 v32, 0x7f80
	s_and_saveexec_b64 s[26:27], s[12:13]
	s_cbranch_execz .LBB754_326
; %bb.325:
	v_and_b32_e32 v34, 7, v26
	v_ffbh_u32_e32 v32, v34
	v_min_u32_e32 v36, 32, v32
	v_subrev_u32_e32 v32, 28, v36
	v_lshlrev_b64 v[32:33], v32, v[26:27]
	v_lshrrev_b32_e32 v35, 3, v28
	v_sub_u32_e32 v33, 29, v36
	v_and_b32_e32 v32, 7, v32
	v_cmp_gt_u32_e64 s[12:13], 8, v28
	v_cndmask_b32_e64 v28, v35, v33, s[12:13]
	v_cndmask_b32_e64 v32, v34, v32, s[12:13]
	v_lshlrev_b32_e32 v26, 24, v26
	v_bfrev_b32_e32 v33, 60
	v_lshlrev_b32_e32 v32, 20, v32
	v_and_b32_e32 v26, 0x80000000, v26
	v_lshl_add_u32 v28, v28, 23, v33
	v_or3_b32 v26, v26, v28, v32
	v_lshrrev_b32_e32 v32, 16, v26
.LBB754_326:
	s_or_b64 exec, exec, s[26:27]
.LBB754_327:
	s_or_b64 exec, exec, s[24:25]
.LBB754_328:
	s_or_b64 exec, exec, s[14:15]
	v_mov_b32_e32 v33, 0
	v_mov_b32_e32 v26, v23
	v_cmp_ne_u16_sdwa s[12:13], v23, v33 src0_sel:BYTE_0 src1_sel:DWORD
	v_mov_b32_e32 v34, 0
	s_and_saveexec_b64 s[14:15], s[12:13]
	s_cbranch_execz .LBB754_334
; %bb.329:
	s_movk_i32 s11, 0x80
	v_cmp_ne_u16_sdwa s[12:13], v23, s11 src0_sel:BYTE_0 src1_sel:DWORD
	v_mov_b32_e32 v34, 0xffff8000
	s_and_saveexec_b64 s[24:25], s[12:13]
	s_cbranch_execz .LBB754_333
; %bb.330:
	s_movk_i32 s11, 0x7f
	v_and_b32_e32 v28, 0x7f, v23
	v_cmp_ne_u32_e64 s[12:13], s11, v28
	v_mov_b32_e32 v34, 0x7f80
	s_and_saveexec_b64 s[26:27], s[12:13]
	s_cbranch_execz .LBB754_332
; %bb.331:
	v_and_b32_e32 v34, 7, v23
	v_ffbh_u32_e32 v34, v34
	v_min_u32_e32 v34, 32, v34
	v_lshrrev_b32_e32 v35, 3, v28
	v_subrev_u32_e32 v36, 28, v34
	v_sub_u32_e32 v34, 29, v34
	v_cmp_gt_u32_e64 s[12:13], 8, v28
	v_cndmask_b32_e64 v28, v35, v34, s[12:13]
	v_cndmask_b32_e64 v34, 0, v36, s[12:13]
	v_lshlrev_b64 v[34:35], v34, v[26:27]
	v_lshlrev_b32_e32 v27, 20, v34
	v_lshlrev_b32_e32 v34, 24, v26
	v_bfrev_b32_e32 v35, 60
	v_and_b32_e32 v27, 0x700000, v27
	v_and_b32_e32 v34, 0x80000000, v34
	v_lshl_add_u32 v28, v28, 23, v35
	v_or3_b32 v27, v34, v28, v27
	v_lshrrev_b32_e32 v34, 16, v27
.LBB754_332:
	s_or_b64 exec, exec, s[26:27]
.LBB754_333:
	s_or_b64 exec, exec, s[24:25]
.LBB754_334:
	s_or_b64 exec, exec, s[14:15]
	v_lshrrev_b16_e32 v28, 8, v26
	v_cmp_ne_u16_e64 s[12:13], 0, v28
	s_and_saveexec_b64 s[14:15], s[12:13]
	s_cbranch_execz .LBB754_340
; %bb.335:
	s_movk_i32 s11, 0x80
	v_cmp_ne_u16_e64 s[12:13], s11, v28
	v_mov_b32_e32 v33, 0xffff8000
	s_and_saveexec_b64 s[24:25], s[12:13]
	s_cbranch_execz .LBB754_339
; %bb.336:
	s_movk_i32 s11, 0x7f
	v_and_b32_e32 v27, 0x7f, v28
	v_cmp_ne_u32_e64 s[12:13], s11, v27
	v_mov_b32_e32 v33, 0x7f80
	s_and_saveexec_b64 s[26:27], s[12:13]
	s_cbranch_execz .LBB754_338
; %bb.337:
	v_and_b32_e32 v33, 7, v28
	v_ffbh_u32_e32 v36, v33
	v_min_u32_e32 v38, 32, v36
	v_subrev_u32_e32 v36, 28, v38
	v_lshlrev_b64 v[36:37], v36, v[28:29]
	v_lshrrev_b32_e32 v35, 3, v27
	v_sub_u32_e32 v28, 29, v38
	v_and_b32_e32 v36, 7, v36
	v_cmp_gt_u32_e64 s[12:13], 8, v27
	v_cndmask_b32_e64 v27, v35, v28, s[12:13]
	v_cndmask_b32_e64 v28, v33, v36, s[12:13]
	v_lshlrev_b32_e32 v26, 16, v26
	v_bfrev_b32_e32 v33, 60
	v_lshlrev_b32_e32 v28, 20, v28
	v_and_b32_e32 v26, 0x80000000, v26
	v_lshl_add_u32 v27, v27, 23, v33
	v_or3_b32 v26, v26, v27, v28
	v_lshrrev_b32_e32 v33, 16, v26
.LBB754_338:
	s_or_b64 exec, exec, s[26:27]
.LBB754_339:
	s_or_b64 exec, exec, s[24:25]
.LBB754_340:
	s_or_b64 exec, exec, s[14:15]
	s_movk_i32 s11, 0xff
	v_and_b32_sdwa v35, v23, s11 dst_sel:DWORD dst_unused:UNUSED_PAD src0_sel:WORD_1 src1_sel:DWORD
	v_lshrrev_b32_e32 v26, 16, v23
	v_cmp_ne_u16_e64 s[12:13], 0, v35
	v_mov_b32_e32 v27, 0
	v_mov_b32_e32 v28, 0
	s_and_saveexec_b64 s[14:15], s[12:13]
	s_cbranch_execz .LBB754_346
; %bb.341:
	s_movk_i32 s11, 0x80
	v_cmp_ne_u16_e64 s[12:13], s11, v35
	v_mov_b32_e32 v28, 0xffff8000
	s_and_saveexec_b64 s[24:25], s[12:13]
	s_cbranch_execz .LBB754_345
; %bb.342:
	v_bfe_u32 v35, v23, 16, 7
	s_movk_i32 s11, 0x7f
	v_cmp_ne_u32_e64 s[12:13], s11, v35
	v_mov_b32_e32 v28, 0x7f80
	s_and_saveexec_b64 s[26:27], s[12:13]
	s_cbranch_execz .LBB754_344
; %bb.343:
	v_and_b32_e32 v28, 7, v26
	v_ffbh_u32_e32 v36, v28
	v_min_u32_e32 v39, 32, v36
	v_subrev_u32_e32 v36, 28, v39
	v_lshlrev_b64 v[36:37], v36, v[26:27]
	v_lshrrev_b32_e32 v38, 3, v35
	v_sub_u32_e32 v26, 29, v39
	v_and_b32_e32 v36, 7, v36
	v_cmp_gt_u32_e64 s[12:13], 8, v35
	v_mov_b32_e32 v35, 24
	v_cndmask_b32_e64 v26, v38, v26, s[12:13]
	v_cndmask_b32_e64 v28, v28, v36, s[12:13]
	v_lshlrev_b32_sdwa v35, v35, v23 dst_sel:DWORD dst_unused:UNUSED_PAD src0_sel:DWORD src1_sel:WORD_1
	v_bfrev_b32_e32 v36, 60
	v_lshlrev_b32_e32 v28, 20, v28
	v_and_b32_e32 v35, 0x80000000, v35
	v_lshl_add_u32 v26, v26, 23, v36
	v_or3_b32 v26, v35, v26, v28
	v_lshrrev_b32_e32 v28, 16, v26
.LBB754_344:
	s_or_b64 exec, exec, s[26:27]
.LBB754_345:
	s_or_b64 exec, exec, s[24:25]
.LBB754_346:
	s_or_b64 exec, exec, s[14:15]
	s_mov_b32 s12, -1
	s_mov_b32 s13, 0xffffff
	v_cmp_lt_u64_e64 s[12:13], s[12:13], v[22:23]
	s_and_saveexec_b64 s[14:15], s[12:13]
	s_cbranch_execz .LBB754_352
; %bb.347:
	v_lshrrev_b32_e32 v22, 24, v23
	s_movk_i32 s11, 0x80
	v_cmp_ne_u32_e64 s[12:13], s11, v22
	v_mov_b32_e32 v27, 0xffff8000
	s_and_saveexec_b64 s[24:25], s[12:13]
	s_cbranch_execz .LBB754_351
; %bb.348:
	v_bfe_u32 v23, v23, 24, 7
	s_movk_i32 s11, 0x7f
	v_cmp_ne_u32_e64 s[12:13], s11, v23
	v_mov_b32_e32 v27, 0x7f80
	s_and_saveexec_b64 s[26:27], s[12:13]
	s_cbranch_execz .LBB754_350
; %bb.349:
	v_and_b32_e32 v35, 7, v22
	v_ffbh_u32_e32 v26, v35
	v_min_u32_e32 v37, 32, v26
	v_subrev_u32_e32 v26, 28, v37
	v_lshlrev_b64 v[26:27], v26, v[22:23]
	v_lshrrev_b32_e32 v36, 3, v23
	v_sub_u32_e32 v27, 29, v37
	v_and_b32_e32 v26, 7, v26
	v_cmp_gt_u32_e64 s[12:13], 8, v23
	v_cndmask_b32_e64 v23, v36, v27, s[12:13]
	v_cndmask_b32_e64 v26, v35, v26, s[12:13]
	v_lshlrev_b32_e32 v22, 24, v22
	v_bfrev_b32_e32 v27, 60
	v_lshlrev_b32_e32 v26, 20, v26
	v_and_b32_e32 v22, 0x80000000, v22
	v_lshl_add_u32 v23, v23, 23, v27
	v_or3_b32 v22, v22, v23, v26
	v_lshrrev_b32_e32 v27, 16, v22
.LBB754_350:
	s_or_b64 exec, exec, s[26:27]
.LBB754_351:
	s_or_b64 exec, exec, s[24:25]
.LBB754_352:
	s_or_b64 exec, exec, s[14:15]
	s_mov_b32 s11, 0x5040100
	v_perm_b32 v23, v32, v31, s11
	v_perm_b32 v22, v29, v30, s11
	;; [unrolled: 1-line block ×4, first 2 shown]
	v_mfma_f32_4x4x4bf16_1k a[0:3], v[2:3], v[22:23], a[0:3] cbsz:4 abid:6
	v_mov_b32_e32 v28, 0
	v_mfma_f32_4x4x4bf16_1k a[0:3], v[4:5], v[26:27], a[0:3] cbsz:4 abid:6
	v_mov_b32_e32 v27, 0
	v_cmp_ne_u16_sdwa s[12:13], v24, v27 src0_sel:BYTE_0 src1_sel:DWORD
	s_and_saveexec_b64 s[14:15], s[12:13]
	s_cbranch_execz .LBB754_358
; %bb.353:
	s_movk_i32 s11, 0x80
	v_cmp_ne_u16_sdwa s[12:13], v24, s11 src0_sel:BYTE_0 src1_sel:DWORD
	v_mov_b32_e32 v28, 0xffff8000
	s_and_saveexec_b64 s[24:25], s[12:13]
	s_cbranch_execz .LBB754_357
; %bb.354:
	s_movk_i32 s11, 0x7f
	v_and_b32_e32 v22, 0x7f, v24
	v_cmp_ne_u32_e64 s[12:13], s11, v22
	v_mov_b32_e32 v28, 0x7f80
	s_and_saveexec_b64 s[26:27], s[12:13]
	s_cbranch_execz .LBB754_356
; %bb.355:
	v_and_b32_e32 v23, 7, v24
	v_ffbh_u32_e32 v23, v23
	v_min_u32_e32 v23, 32, v23
	v_subrev_u32_e32 v28, 28, v23
	v_cmp_gt_u32_e64 s[12:13], 8, v22
	v_lshrrev_b32_e32 v26, 3, v22
	v_sub_u32_e32 v23, 29, v23
	v_cndmask_b32_e64 v22, 0, v28, s[12:13]
	v_cndmask_b32_e64 v26, v26, v23, s[12:13]
	v_lshlrev_b64 v[22:23], v22, v[24:25]
	v_lshlrev_b32_e32 v22, 20, v22
	v_lshlrev_b32_e32 v23, 24, v24
	v_bfrev_b32_e32 v28, 60
	v_and_b32_e32 v22, 0x700000, v22
	v_and_b32_e32 v23, 0x80000000, v23
	v_lshl_add_u32 v26, v26, 23, v28
	v_or3_b32 v22, v23, v26, v22
	v_lshrrev_b32_e32 v28, 16, v22
.LBB754_356:
	s_or_b64 exec, exec, s[26:27]
.LBB754_357:
	s_or_b64 exec, exec, s[24:25]
.LBB754_358:
	s_or_b64 exec, exec, s[14:15]
	v_lshrrev_b16_e32 v22, 8, v24
	v_cmp_ne_u16_e64 s[12:13], 0, v22
	s_and_saveexec_b64 s[14:15], s[12:13]
	s_cbranch_execz .LBB754_364
; %bb.359:
	s_movk_i32 s11, 0x80
	v_cmp_ne_u16_e64 s[12:13], s11, v22
	v_mov_b32_e32 v27, 0xffff8000
	s_and_saveexec_b64 s[24:25], s[12:13]
	s_cbranch_execz .LBB754_363
; %bb.360:
	s_movk_i32 s11, 0x7f
	v_and_b32_e32 v23, 0x7f, v22
	v_cmp_ne_u32_e64 s[12:13], s11, v23
	v_mov_b32_e32 v27, 0x7f80
	s_and_saveexec_b64 s[26:27], s[12:13]
	s_cbranch_execz .LBB754_362
; %bb.361:
	v_and_b32_e32 v29, 7, v22
	v_ffbh_u32_e32 v26, v29
	v_min_u32_e32 v31, 32, v26
	v_subrev_u32_e32 v26, 28, v31
	v_lshlrev_b64 v[26:27], v26, v[22:23]
	v_lshrrev_b32_e32 v30, 3, v23
	v_sub_u32_e32 v22, 29, v31
	v_and_b32_e32 v26, 7, v26
	v_cmp_gt_u32_e64 s[12:13], 8, v23
	v_cndmask_b32_e64 v22, v30, v22, s[12:13]
	v_cndmask_b32_e64 v23, v29, v26, s[12:13]
	v_lshlrev_b32_e32 v26, 16, v24
	v_bfrev_b32_e32 v27, 60
	v_lshlrev_b32_e32 v23, 20, v23
	v_and_b32_e32 v26, 0x80000000, v26
	v_lshl_add_u32 v22, v22, 23, v27
	v_or3_b32 v22, v26, v22, v23
	v_lshrrev_b32_e32 v27, 16, v22
.LBB754_362:
	s_or_b64 exec, exec, s[26:27]
.LBB754_363:
	s_or_b64 exec, exec, s[24:25]
.LBB754_364:
	s_or_b64 exec, exec, s[14:15]
	s_movk_i32 s11, 0xff
	v_and_b32_sdwa v26, v24, s11 dst_sel:DWORD dst_unused:UNUSED_PAD src0_sel:WORD_1 src1_sel:DWORD
	v_lshrrev_b32_e32 v22, 16, v24
	v_cmp_ne_u16_e64 s[12:13], 0, v26
	v_mov_b32_e32 v23, 0
	v_mov_b32_e32 v29, 0
	s_and_saveexec_b64 s[14:15], s[12:13]
	s_cbranch_execz .LBB754_370
; %bb.365:
	s_movk_i32 s11, 0x80
	v_cmp_ne_u16_e64 s[12:13], s11, v26
	v_mov_b32_e32 v29, 0xffff8000
	s_and_saveexec_b64 s[24:25], s[12:13]
	s_cbranch_execz .LBB754_369
; %bb.366:
	v_bfe_u32 v26, v24, 16, 7
	s_movk_i32 s11, 0x7f
	v_cmp_ne_u32_e64 s[12:13], s11, v26
	v_mov_b32_e32 v29, 0x7f80
	s_and_saveexec_b64 s[26:27], s[12:13]
	s_cbranch_execz .LBB754_368
; %bb.367:
	v_and_b32_e32 v29, 7, v22
	v_ffbh_u32_e32 v30, v29
	v_min_u32_e32 v33, 32, v30
	v_subrev_u32_e32 v30, 28, v33
	v_lshlrev_b64 v[30:31], v30, v[22:23]
	v_and_b32_e32 v30, 7, v30
	v_cmp_gt_u32_e64 s[12:13], 8, v26
	v_lshrrev_b32_e32 v32, 3, v26
	v_sub_u32_e32 v22, 29, v33
	v_cndmask_b32_e64 v26, v29, v30, s[12:13]
	v_mov_b32_e32 v29, 24
	v_cndmask_b32_e64 v22, v32, v22, s[12:13]
	v_lshlrev_b32_sdwa v29, v29, v24 dst_sel:DWORD dst_unused:UNUSED_PAD src0_sel:DWORD src1_sel:WORD_1
	v_bfrev_b32_e32 v30, 60
	v_lshlrev_b32_e32 v26, 20, v26
	v_and_b32_e32 v29, 0x80000000, v29
	v_lshl_add_u32 v22, v22, 23, v30
	v_or3_b32 v22, v29, v22, v26
	v_lshrrev_b32_e32 v29, 16, v22
.LBB754_368:
	s_or_b64 exec, exec, s[26:27]
.LBB754_369:
	s_or_b64 exec, exec, s[24:25]
.LBB754_370:
	s_or_b64 exec, exec, s[14:15]
	s_mov_b32 s11, 0xffffff
	v_cmp_lt_u32_e64 s[12:13], s11, v24
	v_mov_b32_e32 v30, 0
	s_and_saveexec_b64 s[14:15], s[12:13]
	s_cbranch_execz .LBB754_376
; %bb.371:
	v_lshrrev_b32_e32 v22, 24, v24
	s_movk_i32 s11, 0x80
	v_cmp_ne_u32_e64 s[12:13], s11, v22
	v_mov_b32_e32 v30, 0xffff8000
	s_and_saveexec_b64 s[24:25], s[12:13]
	s_cbranch_execz .LBB754_375
; %bb.372:
	v_bfe_u32 v26, v24, 24, 7
	s_movk_i32 s11, 0x7f
	v_cmp_ne_u32_e64 s[12:13], s11, v26
	v_mov_b32_e32 v30, 0x7f80
	s_and_saveexec_b64 s[26:27], s[12:13]
	s_cbranch_execz .LBB754_374
; %bb.373:
	v_and_b32_e32 v32, 7, v22
	v_ffbh_u32_e32 v30, v32
	v_min_u32_e32 v34, 32, v30
	v_subrev_u32_e32 v30, 28, v34
	v_lshlrev_b64 v[30:31], v30, v[22:23]
	v_lshrrev_b32_e32 v33, 3, v26
	v_sub_u32_e32 v31, 29, v34
	v_and_b32_e32 v30, 7, v30
	v_cmp_gt_u32_e64 s[12:13], 8, v26
	v_cndmask_b32_e64 v26, v33, v31, s[12:13]
	v_cndmask_b32_e64 v30, v32, v30, s[12:13]
	v_lshlrev_b32_e32 v22, 24, v22
	v_bfrev_b32_e32 v31, 60
	v_lshlrev_b32_e32 v30, 20, v30
	v_and_b32_e32 v22, 0x80000000, v22
	v_lshl_add_u32 v26, v26, 23, v31
	v_or3_b32 v22, v22, v26, v30
	v_lshrrev_b32_e32 v30, 16, v22
.LBB754_374:
	s_or_b64 exec, exec, s[26:27]
.LBB754_375:
	s_or_b64 exec, exec, s[24:25]
.LBB754_376:
	s_or_b64 exec, exec, s[14:15]
	v_mov_b32_e32 v31, 0
	v_mov_b32_e32 v22, v25
	v_cmp_ne_u16_sdwa s[12:13], v25, v31 src0_sel:BYTE_0 src1_sel:DWORD
	v_mov_b32_e32 v32, 0
	s_and_saveexec_b64 s[14:15], s[12:13]
	s_cbranch_execz .LBB754_382
; %bb.377:
	s_movk_i32 s11, 0x80
	v_cmp_ne_u16_sdwa s[12:13], v25, s11 src0_sel:BYTE_0 src1_sel:DWORD
	v_mov_b32_e32 v32, 0xffff8000
	s_and_saveexec_b64 s[24:25], s[12:13]
	s_cbranch_execz .LBB754_381
; %bb.378:
	s_movk_i32 s11, 0x7f
	v_and_b32_e32 v26, 0x7f, v25
	v_cmp_ne_u32_e64 s[12:13], s11, v26
	v_mov_b32_e32 v32, 0x7f80
	s_and_saveexec_b64 s[26:27], s[12:13]
	s_cbranch_execz .LBB754_380
; %bb.379:
	v_and_b32_e32 v32, 7, v25
	v_ffbh_u32_e32 v32, v32
	v_min_u32_e32 v32, 32, v32
	v_lshrrev_b32_e32 v33, 3, v26
	v_subrev_u32_e32 v34, 28, v32
	v_sub_u32_e32 v32, 29, v32
	v_cmp_gt_u32_e64 s[12:13], 8, v26
	v_cndmask_b32_e64 v26, v33, v32, s[12:13]
	v_cndmask_b32_e64 v32, 0, v34, s[12:13]
	v_lshlrev_b64 v[32:33], v32, v[22:23]
	v_lshlrev_b32_e32 v23, 20, v32
	v_lshlrev_b32_e32 v32, 24, v22
	v_bfrev_b32_e32 v33, 60
	v_and_b32_e32 v23, 0x700000, v23
	v_and_b32_e32 v32, 0x80000000, v32
	v_lshl_add_u32 v26, v26, 23, v33
	v_or3_b32 v23, v32, v26, v23
	v_lshrrev_b32_e32 v32, 16, v23
.LBB754_380:
	s_or_b64 exec, exec, s[26:27]
.LBB754_381:
	s_or_b64 exec, exec, s[24:25]
.LBB754_382:
	s_or_b64 exec, exec, s[14:15]
	v_lshrrev_b16_e32 v26, 8, v22
	v_cmp_ne_u16_e64 s[12:13], 0, v26
	s_and_saveexec_b64 s[14:15], s[12:13]
	s_cbranch_execz .LBB754_388
; %bb.383:
	s_movk_i32 s11, 0x80
	v_cmp_ne_u16_e64 s[12:13], s11, v26
	v_mov_b32_e32 v31, 0xffff8000
	s_and_saveexec_b64 s[24:25], s[12:13]
	s_cbranch_execz .LBB754_387
; %bb.384:
	s_movk_i32 s11, 0x7f
	v_and_b32_e32 v23, 0x7f, v26
	v_cmp_ne_u32_e64 s[12:13], s11, v23
	v_mov_b32_e32 v31, 0x7f80
	s_and_saveexec_b64 s[26:27], s[12:13]
	s_cbranch_execz .LBB754_386
; %bb.385:
	v_and_b32_e32 v31, 7, v26
	v_ffbh_u32_e32 v34, v31
	v_min_u32_e32 v36, 32, v34
	v_subrev_u32_e32 v34, 28, v36
	v_lshlrev_b64 v[34:35], v34, v[26:27]
	v_lshrrev_b32_e32 v33, 3, v23
	v_sub_u32_e32 v26, 29, v36
	v_and_b32_e32 v34, 7, v34
	v_cmp_gt_u32_e64 s[12:13], 8, v23
	v_cndmask_b32_e64 v23, v33, v26, s[12:13]
	v_cndmask_b32_e64 v26, v31, v34, s[12:13]
	v_lshlrev_b32_e32 v22, 16, v22
	v_bfrev_b32_e32 v31, 60
	v_lshlrev_b32_e32 v26, 20, v26
	v_and_b32_e32 v22, 0x80000000, v22
	v_lshl_add_u32 v23, v23, 23, v31
	v_or3_b32 v22, v22, v23, v26
	v_lshrrev_b32_e32 v31, 16, v22
.LBB754_386:
	s_or_b64 exec, exec, s[26:27]
.LBB754_387:
	s_or_b64 exec, exec, s[24:25]
.LBB754_388:
	s_or_b64 exec, exec, s[14:15]
	s_movk_i32 s11, 0xff
	v_and_b32_sdwa v33, v25, s11 dst_sel:DWORD dst_unused:UNUSED_PAD src0_sel:WORD_1 src1_sel:DWORD
	v_lshrrev_b32_e32 v22, 16, v25
	v_cmp_ne_u16_e64 s[12:13], 0, v33
	v_mov_b32_e32 v23, 0
	v_mov_b32_e32 v26, 0
	s_and_saveexec_b64 s[14:15], s[12:13]
	s_cbranch_execz .LBB754_394
; %bb.389:
	s_movk_i32 s11, 0x80
	v_cmp_ne_u16_e64 s[12:13], s11, v33
	v_mov_b32_e32 v26, 0xffff8000
	s_and_saveexec_b64 s[24:25], s[12:13]
	s_cbranch_execz .LBB754_393
; %bb.390:
	v_bfe_u32 v33, v25, 16, 7
	s_movk_i32 s11, 0x7f
	v_cmp_ne_u32_e64 s[12:13], s11, v33
	v_mov_b32_e32 v26, 0x7f80
	s_and_saveexec_b64 s[26:27], s[12:13]
	s_cbranch_execz .LBB754_392
; %bb.391:
	v_and_b32_e32 v26, 7, v22
	v_ffbh_u32_e32 v34, v26
	v_min_u32_e32 v37, 32, v34
	v_subrev_u32_e32 v34, 28, v37
	v_lshlrev_b64 v[34:35], v34, v[22:23]
	v_lshrrev_b32_e32 v36, 3, v33
	v_sub_u32_e32 v22, 29, v37
	v_and_b32_e32 v34, 7, v34
	v_cmp_gt_u32_e64 s[12:13], 8, v33
	v_mov_b32_e32 v33, 24
	v_cndmask_b32_e64 v22, v36, v22, s[12:13]
	v_cndmask_b32_e64 v26, v26, v34, s[12:13]
	v_lshlrev_b32_sdwa v33, v33, v25 dst_sel:DWORD dst_unused:UNUSED_PAD src0_sel:DWORD src1_sel:WORD_1
	v_bfrev_b32_e32 v34, 60
	v_lshlrev_b32_e32 v26, 20, v26
	v_and_b32_e32 v33, 0x80000000, v33
	v_lshl_add_u32 v22, v22, 23, v34
	v_or3_b32 v22, v33, v22, v26
	v_lshrrev_b32_e32 v26, 16, v22
.LBB754_392:
	s_or_b64 exec, exec, s[26:27]
.LBB754_393:
	s_or_b64 exec, exec, s[24:25]
.LBB754_394:
	s_or_b64 exec, exec, s[14:15]
	s_mov_b32 s12, -1
	s_mov_b32 s13, 0xffffff
	v_cmp_lt_u64_e64 s[12:13], s[12:13], v[24:25]
	s_and_saveexec_b64 s[14:15], s[12:13]
	s_cbranch_execz .LBB754_400
; %bb.395:
	v_lshrrev_b32_e32 v22, 24, v25
	s_movk_i32 s11, 0x80
	v_cmp_ne_u32_e64 s[12:13], s11, v22
	v_mov_b32_e32 v23, 0xffff8000
	s_and_saveexec_b64 s[24:25], s[12:13]
	s_cbranch_execz .LBB754_399
; %bb.396:
	v_bfe_u32 v24, v25, 24, 7
	s_movk_i32 s11, 0x7f
	v_cmp_ne_u32_e64 s[12:13], s11, v24
	v_mov_b32_e32 v23, 0x7f80
	s_and_saveexec_b64 s[26:27], s[12:13]
	s_cbranch_execz .LBB754_398
; %bb.397:
	v_and_b32_e32 v23, 7, v22
	v_ffbh_u32_e32 v33, v23
	v_min_u32_e32 v33, 32, v33
	v_subrev_u32_e32 v34, 28, v33
	v_lshlrev_b64 v[34:35], v34, v[22:23]
	v_lshrrev_b32_e32 v25, 3, v24
	v_sub_u32_e32 v33, 29, v33
	v_and_b32_e32 v34, 7, v34
	v_cmp_gt_u32_e64 s[12:13], 8, v24
	v_cndmask_b32_e64 v24, v25, v33, s[12:13]
	v_cndmask_b32_e64 v23, v23, v34, s[12:13]
	v_lshlrev_b32_e32 v22, 24, v22
	v_bfrev_b32_e32 v25, 60
	v_lshlrev_b32_e32 v23, 20, v23
	v_and_b32_e32 v22, 0x80000000, v22
	v_lshl_add_u32 v24, v24, 23, v25
	v_or3_b32 v22, v22, v24, v23
	v_lshrrev_b32_e32 v23, 16, v22
.LBB754_398:
	s_or_b64 exec, exec, s[26:27]
.LBB754_399:
	s_or_b64 exec, exec, s[24:25]
.LBB754_400:
	s_or_b64 exec, exec, s[14:15]
	s_mov_b32 s11, 0x5040100
	v_perm_b32 v25, v30, v29, s11
	v_perm_b32 v24, v27, v28, s11
	;; [unrolled: 1-line block ×4, first 2 shown]
	v_mfma_f32_4x4x4bf16_1k a[0:3], v[2:3], v[24:25], a[0:3] cbsz:4 abid:7
	v_mov_b32_e32 v25, 0
	v_mfma_f32_4x4x4bf16_1k a[0:3], v[4:5], v[22:23], a[0:3] cbsz:4 abid:7
	v_cmp_ne_u16_sdwa s[12:13], v18, v25 src0_sel:BYTE_0 src1_sel:DWORD
	v_mov_b32_e32 v26, 0
	s_and_saveexec_b64 s[14:15], s[12:13]
	s_cbranch_execz .LBB754_406
; %bb.401:
	s_movk_i32 s11, 0x80
	v_cmp_ne_u16_sdwa s[12:13], v18, s11 src0_sel:BYTE_0 src1_sel:DWORD
	v_mov_b32_e32 v26, 0xffff8000
	s_and_saveexec_b64 s[24:25], s[12:13]
	s_cbranch_execz .LBB754_405
; %bb.402:
	s_movk_i32 s11, 0x7f
	v_and_b32_e32 v22, 0x7f, v18
	v_cmp_ne_u32_e64 s[12:13], s11, v22
	v_mov_b32_e32 v26, 0x7f80
	s_and_saveexec_b64 s[26:27], s[12:13]
	s_cbranch_execz .LBB754_404
; %bb.403:
	v_and_b32_e32 v23, 7, v18
	v_ffbh_u32_e32 v23, v23
	v_min_u32_e32 v23, 32, v23
	v_subrev_u32_e32 v26, 28, v23
	v_cmp_gt_u32_e64 s[12:13], 8, v22
	v_lshrrev_b32_e32 v24, 3, v22
	v_sub_u32_e32 v23, 29, v23
	v_cndmask_b32_e64 v22, 0, v26, s[12:13]
	v_cndmask_b32_e64 v24, v24, v23, s[12:13]
	v_lshlrev_b64 v[22:23], v22, v[18:19]
	v_lshlrev_b32_e32 v22, 20, v22
	v_lshlrev_b32_e32 v23, 24, v18
	v_bfrev_b32_e32 v26, 60
	v_and_b32_e32 v22, 0x700000, v22
	v_and_b32_e32 v23, 0x80000000, v23
	v_lshl_add_u32 v24, v24, 23, v26
	v_or3_b32 v22, v23, v24, v22
	v_lshrrev_b32_e32 v26, 16, v22
.LBB754_404:
	s_or_b64 exec, exec, s[26:27]
.LBB754_405:
	s_or_b64 exec, exec, s[24:25]
.LBB754_406:
	s_or_b64 exec, exec, s[14:15]
	v_lshrrev_b16_e32 v22, 8, v18
	v_cmp_ne_u16_e64 s[12:13], 0, v22
	s_and_saveexec_b64 s[14:15], s[12:13]
	s_cbranch_execz .LBB754_412
; %bb.407:
	s_movk_i32 s11, 0x80
	v_cmp_ne_u16_e64 s[12:13], s11, v22
	v_mov_b32_e32 v25, 0xffff8000
	s_and_saveexec_b64 s[24:25], s[12:13]
	s_cbranch_execz .LBB754_411
; %bb.408:
	s_movk_i32 s11, 0x7f
	v_and_b32_e32 v23, 0x7f, v22
	v_cmp_ne_u32_e64 s[12:13], s11, v23
	v_mov_b32_e32 v25, 0x7f80
	s_and_saveexec_b64 s[26:27], s[12:13]
	s_cbranch_execz .LBB754_410
; %bb.409:
	v_and_b32_e32 v27, 7, v22
	v_ffbh_u32_e32 v24, v27
	v_min_u32_e32 v29, 32, v24
	v_subrev_u32_e32 v24, 28, v29
	v_lshlrev_b64 v[24:25], v24, v[22:23]
	v_lshrrev_b32_e32 v28, 3, v23
	v_sub_u32_e32 v22, 29, v29
	v_and_b32_e32 v24, 7, v24
	v_cmp_gt_u32_e64 s[12:13], 8, v23
	v_cndmask_b32_e64 v22, v28, v22, s[12:13]
	v_cndmask_b32_e64 v23, v27, v24, s[12:13]
	v_lshlrev_b32_e32 v24, 16, v18
	v_bfrev_b32_e32 v25, 60
	v_lshlrev_b32_e32 v23, 20, v23
	v_and_b32_e32 v24, 0x80000000, v24
	v_lshl_add_u32 v22, v22, 23, v25
	v_or3_b32 v22, v24, v22, v23
	v_lshrrev_b32_e32 v25, 16, v22
.LBB754_410:
	s_or_b64 exec, exec, s[26:27]
.LBB754_411:
	s_or_b64 exec, exec, s[24:25]
.LBB754_412:
	s_or_b64 exec, exec, s[14:15]
	s_movk_i32 s11, 0xff
	v_and_b32_sdwa v24, v18, s11 dst_sel:DWORD dst_unused:UNUSED_PAD src0_sel:WORD_1 src1_sel:DWORD
	v_lshrrev_b32_e32 v22, 16, v18
	v_cmp_ne_u16_e64 s[12:13], 0, v24
	v_mov_b32_e32 v23, 0
	v_mov_b32_e32 v27, 0
	s_and_saveexec_b64 s[14:15], s[12:13]
	s_cbranch_execz .LBB754_418
; %bb.413:
	s_movk_i32 s11, 0x80
	v_cmp_ne_u16_e64 s[12:13], s11, v24
	v_mov_b32_e32 v27, 0xffff8000
	s_and_saveexec_b64 s[24:25], s[12:13]
	s_cbranch_execz .LBB754_417
; %bb.414:
	v_bfe_u32 v24, v18, 16, 7
	s_movk_i32 s11, 0x7f
	v_cmp_ne_u32_e64 s[12:13], s11, v24
	v_mov_b32_e32 v27, 0x7f80
	s_and_saveexec_b64 s[26:27], s[12:13]
	s_cbranch_execz .LBB754_416
; %bb.415:
	v_and_b32_e32 v27, 7, v22
	v_ffbh_u32_e32 v28, v27
	v_min_u32_e32 v31, 32, v28
	v_subrev_u32_e32 v28, 28, v31
	v_lshlrev_b64 v[28:29], v28, v[22:23]
	v_and_b32_e32 v28, 7, v28
	v_cmp_gt_u32_e64 s[12:13], 8, v24
	v_lshrrev_b32_e32 v30, 3, v24
	v_sub_u32_e32 v22, 29, v31
	v_cndmask_b32_e64 v24, v27, v28, s[12:13]
	v_mov_b32_e32 v27, 24
	v_cndmask_b32_e64 v22, v30, v22, s[12:13]
	v_lshlrev_b32_sdwa v27, v27, v18 dst_sel:DWORD dst_unused:UNUSED_PAD src0_sel:DWORD src1_sel:WORD_1
	v_bfrev_b32_e32 v28, 60
	v_lshlrev_b32_e32 v24, 20, v24
	v_and_b32_e32 v27, 0x80000000, v27
	v_lshl_add_u32 v22, v22, 23, v28
	v_or3_b32 v22, v27, v22, v24
	v_lshrrev_b32_e32 v27, 16, v22
.LBB754_416:
	s_or_b64 exec, exec, s[26:27]
.LBB754_417:
	s_or_b64 exec, exec, s[24:25]
.LBB754_418:
	s_or_b64 exec, exec, s[14:15]
	s_mov_b32 s11, 0xffffff
	v_cmp_lt_u32_e64 s[12:13], s11, v18
	v_mov_b32_e32 v28, 0
	s_and_saveexec_b64 s[14:15], s[12:13]
	s_cbranch_execz .LBB754_424
; %bb.419:
	v_lshrrev_b32_e32 v22, 24, v18
	s_movk_i32 s11, 0x80
	v_cmp_ne_u32_e64 s[12:13], s11, v22
	v_mov_b32_e32 v28, 0xffff8000
	s_and_saveexec_b64 s[24:25], s[12:13]
	s_cbranch_execz .LBB754_423
; %bb.420:
	v_bfe_u32 v24, v18, 24, 7
	s_movk_i32 s11, 0x7f
	v_cmp_ne_u32_e64 s[12:13], s11, v24
	v_mov_b32_e32 v28, 0x7f80
	s_and_saveexec_b64 s[26:27], s[12:13]
	s_cbranch_execz .LBB754_422
; %bb.421:
	v_and_b32_e32 v30, 7, v22
	v_ffbh_u32_e32 v28, v30
	v_min_u32_e32 v32, 32, v28
	v_subrev_u32_e32 v28, 28, v32
	v_lshlrev_b64 v[28:29], v28, v[22:23]
	v_lshrrev_b32_e32 v31, 3, v24
	v_sub_u32_e32 v29, 29, v32
	v_and_b32_e32 v28, 7, v28
	v_cmp_gt_u32_e64 s[12:13], 8, v24
	v_cndmask_b32_e64 v24, v31, v29, s[12:13]
	v_cndmask_b32_e64 v28, v30, v28, s[12:13]
	v_lshlrev_b32_e32 v22, 24, v22
	v_bfrev_b32_e32 v29, 60
	v_lshlrev_b32_e32 v28, 20, v28
	v_and_b32_e32 v22, 0x80000000, v22
	v_lshl_add_u32 v24, v24, 23, v29
	v_or3_b32 v22, v22, v24, v28
	v_lshrrev_b32_e32 v28, 16, v22
.LBB754_422:
	s_or_b64 exec, exec, s[26:27]
.LBB754_423:
	s_or_b64 exec, exec, s[24:25]
.LBB754_424:
	s_or_b64 exec, exec, s[14:15]
	v_mov_b32_e32 v29, 0
	v_mov_b32_e32 v22, v19
	v_cmp_ne_u16_sdwa s[12:13], v19, v29 src0_sel:BYTE_0 src1_sel:DWORD
	v_mov_b32_e32 v30, 0
	s_and_saveexec_b64 s[14:15], s[12:13]
	s_cbranch_execz .LBB754_430
; %bb.425:
	s_movk_i32 s11, 0x80
	v_cmp_ne_u16_sdwa s[12:13], v19, s11 src0_sel:BYTE_0 src1_sel:DWORD
	v_mov_b32_e32 v30, 0xffff8000
	s_and_saveexec_b64 s[24:25], s[12:13]
	s_cbranch_execz .LBB754_429
; %bb.426:
	s_movk_i32 s11, 0x7f
	v_and_b32_e32 v24, 0x7f, v19
	v_cmp_ne_u32_e64 s[12:13], s11, v24
	v_mov_b32_e32 v30, 0x7f80
	s_and_saveexec_b64 s[26:27], s[12:13]
	s_cbranch_execz .LBB754_428
; %bb.427:
	v_and_b32_e32 v30, 7, v19
	v_ffbh_u32_e32 v30, v30
	v_min_u32_e32 v30, 32, v30
	v_lshrrev_b32_e32 v31, 3, v24
	v_subrev_u32_e32 v32, 28, v30
	v_sub_u32_e32 v30, 29, v30
	v_cmp_gt_u32_e64 s[12:13], 8, v24
	v_cndmask_b32_e64 v24, v31, v30, s[12:13]
	v_cndmask_b32_e64 v30, 0, v32, s[12:13]
	v_lshlrev_b64 v[30:31], v30, v[22:23]
	v_lshlrev_b32_e32 v23, 20, v30
	v_lshlrev_b32_e32 v30, 24, v22
	v_bfrev_b32_e32 v31, 60
	v_and_b32_e32 v23, 0x700000, v23
	v_and_b32_e32 v30, 0x80000000, v30
	v_lshl_add_u32 v24, v24, 23, v31
	v_or3_b32 v23, v30, v24, v23
	v_lshrrev_b32_e32 v30, 16, v23
.LBB754_428:
	s_or_b64 exec, exec, s[26:27]
.LBB754_429:
	s_or_b64 exec, exec, s[24:25]
.LBB754_430:
	s_or_b64 exec, exec, s[14:15]
	v_lshrrev_b16_e32 v24, 8, v22
	v_cmp_ne_u16_e64 s[12:13], 0, v24
	s_and_saveexec_b64 s[14:15], s[12:13]
	s_cbranch_execz .LBB754_436
; %bb.431:
	s_movk_i32 s11, 0x80
	v_cmp_ne_u16_e64 s[12:13], s11, v24
	v_mov_b32_e32 v29, 0xffff8000
	s_and_saveexec_b64 s[24:25], s[12:13]
	s_cbranch_execz .LBB754_435
; %bb.432:
	s_movk_i32 s11, 0x7f
	v_and_b32_e32 v23, 0x7f, v24
	v_cmp_ne_u32_e64 s[12:13], s11, v23
	v_mov_b32_e32 v29, 0x7f80
	s_and_saveexec_b64 s[26:27], s[12:13]
	s_cbranch_execz .LBB754_434
; %bb.433:
	v_and_b32_e32 v29, 7, v24
	v_ffbh_u32_e32 v32, v29
	v_min_u32_e32 v34, 32, v32
	v_subrev_u32_e32 v32, 28, v34
	v_lshlrev_b64 v[32:33], v32, v[24:25]
	v_lshrrev_b32_e32 v31, 3, v23
	v_sub_u32_e32 v24, 29, v34
	v_and_b32_e32 v32, 7, v32
	v_cmp_gt_u32_e64 s[12:13], 8, v23
	v_cndmask_b32_e64 v23, v31, v24, s[12:13]
	v_cndmask_b32_e64 v24, v29, v32, s[12:13]
	v_lshlrev_b32_e32 v22, 16, v22
	v_bfrev_b32_e32 v29, 60
	v_lshlrev_b32_e32 v24, 20, v24
	v_and_b32_e32 v22, 0x80000000, v22
	v_lshl_add_u32 v23, v23, 23, v29
	v_or3_b32 v22, v22, v23, v24
	v_lshrrev_b32_e32 v29, 16, v22
.LBB754_434:
	s_or_b64 exec, exec, s[26:27]
.LBB754_435:
	s_or_b64 exec, exec, s[24:25]
.LBB754_436:
	s_or_b64 exec, exec, s[14:15]
	s_movk_i32 s11, 0xff
	v_and_b32_sdwa v31, v19, s11 dst_sel:DWORD dst_unused:UNUSED_PAD src0_sel:WORD_1 src1_sel:DWORD
	v_lshrrev_b32_e32 v22, 16, v19
	v_cmp_ne_u16_e64 s[12:13], 0, v31
	v_mov_b32_e32 v23, 0
	v_mov_b32_e32 v24, 0
	s_and_saveexec_b64 s[14:15], s[12:13]
	s_cbranch_execz .LBB754_442
; %bb.437:
	s_movk_i32 s11, 0x80
	v_cmp_ne_u16_e64 s[12:13], s11, v31
	v_mov_b32_e32 v24, 0xffff8000
	s_and_saveexec_b64 s[24:25], s[12:13]
	s_cbranch_execz .LBB754_441
; %bb.438:
	v_bfe_u32 v31, v19, 16, 7
	s_movk_i32 s11, 0x7f
	v_cmp_ne_u32_e64 s[12:13], s11, v31
	v_mov_b32_e32 v24, 0x7f80
	s_and_saveexec_b64 s[26:27], s[12:13]
	s_cbranch_execz .LBB754_440
; %bb.439:
	v_and_b32_e32 v24, 7, v22
	v_ffbh_u32_e32 v32, v24
	v_min_u32_e32 v35, 32, v32
	v_subrev_u32_e32 v32, 28, v35
	v_lshlrev_b64 v[32:33], v32, v[22:23]
	v_lshrrev_b32_e32 v34, 3, v31
	v_sub_u32_e32 v22, 29, v35
	v_and_b32_e32 v32, 7, v32
	v_cmp_gt_u32_e64 s[12:13], 8, v31
	v_mov_b32_e32 v31, 24
	v_cndmask_b32_e64 v22, v34, v22, s[12:13]
	v_cndmask_b32_e64 v24, v24, v32, s[12:13]
	v_lshlrev_b32_sdwa v31, v31, v19 dst_sel:DWORD dst_unused:UNUSED_PAD src0_sel:DWORD src1_sel:WORD_1
	v_bfrev_b32_e32 v32, 60
	v_lshlrev_b32_e32 v24, 20, v24
	v_and_b32_e32 v31, 0x80000000, v31
	v_lshl_add_u32 v22, v22, 23, v32
	v_or3_b32 v22, v31, v22, v24
	v_lshrrev_b32_e32 v24, 16, v22
.LBB754_440:
	s_or_b64 exec, exec, s[26:27]
.LBB754_441:
	s_or_b64 exec, exec, s[24:25]
.LBB754_442:
	s_or_b64 exec, exec, s[14:15]
	s_mov_b32 s12, -1
	s_mov_b32 s13, 0xffffff
	v_cmp_lt_u64_e64 s[12:13], s[12:13], v[18:19]
	s_and_saveexec_b64 s[14:15], s[12:13]
	s_cbranch_execz .LBB754_448
; %bb.443:
	v_lshrrev_b32_e32 v18, 24, v19
	s_movk_i32 s11, 0x80
	v_cmp_ne_u32_e64 s[12:13], s11, v18
	v_mov_b32_e32 v23, 0xffff8000
	s_and_saveexec_b64 s[24:25], s[12:13]
	s_cbranch_execz .LBB754_447
; %bb.444:
	v_bfe_u32 v19, v19, 24, 7
	s_movk_i32 s11, 0x7f
	v_cmp_ne_u32_e64 s[12:13], s11, v19
	v_mov_b32_e32 v23, 0x7f80
	s_and_saveexec_b64 s[26:27], s[12:13]
	s_cbranch_execz .LBB754_446
; %bb.445:
	v_and_b32_e32 v31, 7, v18
	v_ffbh_u32_e32 v22, v31
	v_min_u32_e32 v33, 32, v22
	v_subrev_u32_e32 v22, 28, v33
	v_lshlrev_b64 v[22:23], v22, v[18:19]
	v_lshrrev_b32_e32 v32, 3, v19
	v_sub_u32_e32 v23, 29, v33
	v_and_b32_e32 v22, 7, v22
	v_cmp_gt_u32_e64 s[12:13], 8, v19
	v_cndmask_b32_e64 v19, v32, v23, s[12:13]
	v_cndmask_b32_e64 v22, v31, v22, s[12:13]
	v_lshlrev_b32_e32 v18, 24, v18
	v_bfrev_b32_e32 v23, 60
	v_lshlrev_b32_e32 v22, 20, v22
	v_and_b32_e32 v18, 0x80000000, v18
	v_lshl_add_u32 v19, v19, 23, v23
	v_or3_b32 v18, v18, v19, v22
	v_lshrrev_b32_e32 v23, 16, v18
.LBB754_446:
	s_or_b64 exec, exec, s[26:27]
.LBB754_447:
	s_or_b64 exec, exec, s[24:25]
.LBB754_448:
	s_or_b64 exec, exec, s[14:15]
	s_mov_b32 s11, 0x5040100
	v_perm_b32 v19, v28, v27, s11
	v_perm_b32 v18, v25, v26, s11
	;; [unrolled: 1-line block ×4, first 2 shown]
	v_mfma_f32_4x4x4bf16_1k a[0:3], v[2:3], v[18:19], a[0:3] cbsz:4 abid:8
	v_mov_b32_e32 v24, 0
	v_mfma_f32_4x4x4bf16_1k a[0:3], v[4:5], v[22:23], a[0:3] cbsz:4 abid:8
	v_mov_b32_e32 v23, 0
	v_cmp_ne_u16_sdwa s[12:13], v20, v23 src0_sel:BYTE_0 src1_sel:DWORD
	s_and_saveexec_b64 s[14:15], s[12:13]
	s_cbranch_execz .LBB754_454
; %bb.449:
	s_movk_i32 s11, 0x80
	v_cmp_ne_u16_sdwa s[12:13], v20, s11 src0_sel:BYTE_0 src1_sel:DWORD
	v_mov_b32_e32 v24, 0xffff8000
	s_and_saveexec_b64 s[24:25], s[12:13]
	s_cbranch_execz .LBB754_453
; %bb.450:
	s_movk_i32 s11, 0x7f
	v_and_b32_e32 v18, 0x7f, v20
	v_cmp_ne_u32_e64 s[12:13], s11, v18
	v_mov_b32_e32 v24, 0x7f80
	s_and_saveexec_b64 s[26:27], s[12:13]
	s_cbranch_execz .LBB754_452
; %bb.451:
	v_and_b32_e32 v19, 7, v20
	v_ffbh_u32_e32 v19, v19
	v_min_u32_e32 v19, 32, v19
	v_subrev_u32_e32 v24, 28, v19
	v_cmp_gt_u32_e64 s[12:13], 8, v18
	v_lshrrev_b32_e32 v22, 3, v18
	v_sub_u32_e32 v19, 29, v19
	v_cndmask_b32_e64 v18, 0, v24, s[12:13]
	v_cndmask_b32_e64 v22, v22, v19, s[12:13]
	v_lshlrev_b64 v[18:19], v18, v[20:21]
	v_lshlrev_b32_e32 v18, 20, v18
	v_lshlrev_b32_e32 v19, 24, v20
	v_bfrev_b32_e32 v24, 60
	v_and_b32_e32 v18, 0x700000, v18
	v_and_b32_e32 v19, 0x80000000, v19
	v_lshl_add_u32 v22, v22, 23, v24
	v_or3_b32 v18, v19, v22, v18
	v_lshrrev_b32_e32 v24, 16, v18
.LBB754_452:
	s_or_b64 exec, exec, s[26:27]
.LBB754_453:
	s_or_b64 exec, exec, s[24:25]
.LBB754_454:
	s_or_b64 exec, exec, s[14:15]
	v_lshrrev_b16_e32 v18, 8, v20
	v_cmp_ne_u16_e64 s[12:13], 0, v18
	s_and_saveexec_b64 s[14:15], s[12:13]
	s_cbranch_execz .LBB754_460
; %bb.455:
	s_movk_i32 s11, 0x80
	v_cmp_ne_u16_e64 s[12:13], s11, v18
	v_mov_b32_e32 v23, 0xffff8000
	s_and_saveexec_b64 s[24:25], s[12:13]
	s_cbranch_execz .LBB754_459
; %bb.456:
	s_movk_i32 s11, 0x7f
	v_and_b32_e32 v19, 0x7f, v18
	v_cmp_ne_u32_e64 s[12:13], s11, v19
	v_mov_b32_e32 v23, 0x7f80
	s_and_saveexec_b64 s[26:27], s[12:13]
	s_cbranch_execz .LBB754_458
; %bb.457:
	v_and_b32_e32 v25, 7, v18
	v_ffbh_u32_e32 v22, v25
	v_min_u32_e32 v27, 32, v22
	v_subrev_u32_e32 v22, 28, v27
	v_lshlrev_b64 v[22:23], v22, v[18:19]
	v_lshrrev_b32_e32 v26, 3, v19
	v_sub_u32_e32 v18, 29, v27
	v_and_b32_e32 v22, 7, v22
	v_cmp_gt_u32_e64 s[12:13], 8, v19
	v_cndmask_b32_e64 v18, v26, v18, s[12:13]
	v_cndmask_b32_e64 v19, v25, v22, s[12:13]
	v_lshlrev_b32_e32 v22, 16, v20
	v_bfrev_b32_e32 v23, 60
	v_lshlrev_b32_e32 v19, 20, v19
	v_and_b32_e32 v22, 0x80000000, v22
	v_lshl_add_u32 v18, v18, 23, v23
	v_or3_b32 v18, v22, v18, v19
	v_lshrrev_b32_e32 v23, 16, v18
.LBB754_458:
	s_or_b64 exec, exec, s[26:27]
.LBB754_459:
	s_or_b64 exec, exec, s[24:25]
.LBB754_460:
	s_or_b64 exec, exec, s[14:15]
	s_movk_i32 s11, 0xff
	v_and_b32_sdwa v22, v20, s11 dst_sel:DWORD dst_unused:UNUSED_PAD src0_sel:WORD_1 src1_sel:DWORD
	v_lshrrev_b32_e32 v18, 16, v20
	v_cmp_ne_u16_e64 s[12:13], 0, v22
	v_mov_b32_e32 v19, 0
	v_mov_b32_e32 v25, 0
	s_and_saveexec_b64 s[14:15], s[12:13]
	s_cbranch_execz .LBB754_466
; %bb.461:
	s_movk_i32 s11, 0x80
	v_cmp_ne_u16_e64 s[12:13], s11, v22
	v_mov_b32_e32 v25, 0xffff8000
	s_and_saveexec_b64 s[24:25], s[12:13]
	s_cbranch_execz .LBB754_465
; %bb.462:
	v_bfe_u32 v22, v20, 16, 7
	s_movk_i32 s11, 0x7f
	v_cmp_ne_u32_e64 s[12:13], s11, v22
	v_mov_b32_e32 v25, 0x7f80
	s_and_saveexec_b64 s[26:27], s[12:13]
	s_cbranch_execz .LBB754_464
; %bb.463:
	v_and_b32_e32 v25, 7, v18
	v_ffbh_u32_e32 v26, v25
	v_min_u32_e32 v29, 32, v26
	v_subrev_u32_e32 v26, 28, v29
	v_lshlrev_b64 v[26:27], v26, v[18:19]
	v_and_b32_e32 v26, 7, v26
	v_cmp_gt_u32_e64 s[12:13], 8, v22
	v_lshrrev_b32_e32 v28, 3, v22
	v_sub_u32_e32 v18, 29, v29
	v_cndmask_b32_e64 v22, v25, v26, s[12:13]
	v_mov_b32_e32 v25, 24
	v_cndmask_b32_e64 v18, v28, v18, s[12:13]
	v_lshlrev_b32_sdwa v25, v25, v20 dst_sel:DWORD dst_unused:UNUSED_PAD src0_sel:DWORD src1_sel:WORD_1
	v_bfrev_b32_e32 v26, 60
	v_lshlrev_b32_e32 v22, 20, v22
	v_and_b32_e32 v25, 0x80000000, v25
	v_lshl_add_u32 v18, v18, 23, v26
	v_or3_b32 v18, v25, v18, v22
	v_lshrrev_b32_e32 v25, 16, v18
.LBB754_464:
	s_or_b64 exec, exec, s[26:27]
.LBB754_465:
	s_or_b64 exec, exec, s[24:25]
.LBB754_466:
	s_or_b64 exec, exec, s[14:15]
	s_mov_b32 s11, 0xffffff
	v_cmp_lt_u32_e64 s[12:13], s11, v20
	v_mov_b32_e32 v26, 0
	s_and_saveexec_b64 s[14:15], s[12:13]
	s_cbranch_execz .LBB754_472
; %bb.467:
	v_lshrrev_b32_e32 v18, 24, v20
	s_movk_i32 s11, 0x80
	v_cmp_ne_u32_e64 s[12:13], s11, v18
	v_mov_b32_e32 v26, 0xffff8000
	s_and_saveexec_b64 s[24:25], s[12:13]
	s_cbranch_execz .LBB754_471
; %bb.468:
	v_bfe_u32 v22, v20, 24, 7
	s_movk_i32 s11, 0x7f
	v_cmp_ne_u32_e64 s[12:13], s11, v22
	v_mov_b32_e32 v26, 0x7f80
	s_and_saveexec_b64 s[26:27], s[12:13]
	s_cbranch_execz .LBB754_470
; %bb.469:
	v_and_b32_e32 v28, 7, v18
	v_ffbh_u32_e32 v26, v28
	v_min_u32_e32 v30, 32, v26
	v_subrev_u32_e32 v26, 28, v30
	v_lshlrev_b64 v[26:27], v26, v[18:19]
	v_lshrrev_b32_e32 v29, 3, v22
	v_sub_u32_e32 v27, 29, v30
	v_and_b32_e32 v26, 7, v26
	v_cmp_gt_u32_e64 s[12:13], 8, v22
	v_cndmask_b32_e64 v22, v29, v27, s[12:13]
	v_cndmask_b32_e64 v26, v28, v26, s[12:13]
	v_lshlrev_b32_e32 v18, 24, v18
	v_bfrev_b32_e32 v27, 60
	v_lshlrev_b32_e32 v26, 20, v26
	v_and_b32_e32 v18, 0x80000000, v18
	v_lshl_add_u32 v22, v22, 23, v27
	v_or3_b32 v18, v18, v22, v26
	v_lshrrev_b32_e32 v26, 16, v18
.LBB754_470:
	s_or_b64 exec, exec, s[26:27]
.LBB754_471:
	s_or_b64 exec, exec, s[24:25]
.LBB754_472:
	s_or_b64 exec, exec, s[14:15]
	v_mov_b32_e32 v27, 0
	v_mov_b32_e32 v18, v21
	v_cmp_ne_u16_sdwa s[12:13], v21, v27 src0_sel:BYTE_0 src1_sel:DWORD
	v_mov_b32_e32 v28, 0
	s_and_saveexec_b64 s[14:15], s[12:13]
	s_cbranch_execz .LBB754_478
; %bb.473:
	s_movk_i32 s11, 0x80
	v_cmp_ne_u16_sdwa s[12:13], v21, s11 src0_sel:BYTE_0 src1_sel:DWORD
	v_mov_b32_e32 v28, 0xffff8000
	s_and_saveexec_b64 s[24:25], s[12:13]
	s_cbranch_execz .LBB754_477
; %bb.474:
	s_movk_i32 s11, 0x7f
	v_and_b32_e32 v22, 0x7f, v21
	v_cmp_ne_u32_e64 s[12:13], s11, v22
	v_mov_b32_e32 v28, 0x7f80
	s_and_saveexec_b64 s[26:27], s[12:13]
	s_cbranch_execz .LBB754_476
; %bb.475:
	v_and_b32_e32 v28, 7, v21
	v_ffbh_u32_e32 v28, v28
	v_min_u32_e32 v28, 32, v28
	v_lshrrev_b32_e32 v29, 3, v22
	v_subrev_u32_e32 v30, 28, v28
	v_sub_u32_e32 v28, 29, v28
	v_cmp_gt_u32_e64 s[12:13], 8, v22
	v_cndmask_b32_e64 v22, v29, v28, s[12:13]
	v_cndmask_b32_e64 v28, 0, v30, s[12:13]
	v_lshlrev_b64 v[28:29], v28, v[18:19]
	v_lshlrev_b32_e32 v19, 20, v28
	v_lshlrev_b32_e32 v28, 24, v18
	v_bfrev_b32_e32 v29, 60
	v_and_b32_e32 v19, 0x700000, v19
	v_and_b32_e32 v28, 0x80000000, v28
	v_lshl_add_u32 v22, v22, 23, v29
	v_or3_b32 v19, v28, v22, v19
	v_lshrrev_b32_e32 v28, 16, v19
.LBB754_476:
	s_or_b64 exec, exec, s[26:27]
.LBB754_477:
	s_or_b64 exec, exec, s[24:25]
.LBB754_478:
	s_or_b64 exec, exec, s[14:15]
	v_lshrrev_b16_e32 v22, 8, v18
	v_cmp_ne_u16_e64 s[12:13], 0, v22
	s_and_saveexec_b64 s[14:15], s[12:13]
	s_cbranch_execz .LBB754_484
; %bb.479:
	s_movk_i32 s11, 0x80
	v_cmp_ne_u16_e64 s[12:13], s11, v22
	v_mov_b32_e32 v27, 0xffff8000
	s_and_saveexec_b64 s[24:25], s[12:13]
	s_cbranch_execz .LBB754_483
; %bb.480:
	s_movk_i32 s11, 0x7f
	v_and_b32_e32 v19, 0x7f, v22
	v_cmp_ne_u32_e64 s[12:13], s11, v19
	v_mov_b32_e32 v27, 0x7f80
	s_and_saveexec_b64 s[26:27], s[12:13]
	s_cbranch_execz .LBB754_482
; %bb.481:
	v_and_b32_e32 v27, 7, v22
	v_ffbh_u32_e32 v30, v27
	v_min_u32_e32 v32, 32, v30
	v_subrev_u32_e32 v30, 28, v32
	v_lshlrev_b64 v[30:31], v30, v[22:23]
	v_lshrrev_b32_e32 v29, 3, v19
	v_sub_u32_e32 v22, 29, v32
	v_and_b32_e32 v30, 7, v30
	v_cmp_gt_u32_e64 s[12:13], 8, v19
	v_cndmask_b32_e64 v19, v29, v22, s[12:13]
	v_cndmask_b32_e64 v22, v27, v30, s[12:13]
	v_lshlrev_b32_e32 v18, 16, v18
	v_bfrev_b32_e32 v27, 60
	v_lshlrev_b32_e32 v22, 20, v22
	v_and_b32_e32 v18, 0x80000000, v18
	v_lshl_add_u32 v19, v19, 23, v27
	v_or3_b32 v18, v18, v19, v22
	v_lshrrev_b32_e32 v27, 16, v18
.LBB754_482:
	s_or_b64 exec, exec, s[26:27]
.LBB754_483:
	s_or_b64 exec, exec, s[24:25]
.LBB754_484:
	s_or_b64 exec, exec, s[14:15]
	s_movk_i32 s11, 0xff
	v_and_b32_sdwa v29, v21, s11 dst_sel:DWORD dst_unused:UNUSED_PAD src0_sel:WORD_1 src1_sel:DWORD
	v_lshrrev_b32_e32 v18, 16, v21
	v_cmp_ne_u16_e64 s[12:13], 0, v29
	v_mov_b32_e32 v19, 0
	v_mov_b32_e32 v22, 0
	s_and_saveexec_b64 s[14:15], s[12:13]
	s_cbranch_execz .LBB754_490
; %bb.485:
	s_movk_i32 s11, 0x80
	v_cmp_ne_u16_e64 s[12:13], s11, v29
	v_mov_b32_e32 v22, 0xffff8000
	s_and_saveexec_b64 s[24:25], s[12:13]
	s_cbranch_execz .LBB754_489
; %bb.486:
	v_bfe_u32 v29, v21, 16, 7
	s_movk_i32 s11, 0x7f
	v_cmp_ne_u32_e64 s[12:13], s11, v29
	v_mov_b32_e32 v22, 0x7f80
	s_and_saveexec_b64 s[26:27], s[12:13]
	s_cbranch_execz .LBB754_488
; %bb.487:
	v_and_b32_e32 v22, 7, v18
	v_ffbh_u32_e32 v30, v22
	v_min_u32_e32 v33, 32, v30
	v_subrev_u32_e32 v30, 28, v33
	v_lshlrev_b64 v[30:31], v30, v[18:19]
	v_lshrrev_b32_e32 v32, 3, v29
	v_sub_u32_e32 v18, 29, v33
	v_and_b32_e32 v30, 7, v30
	v_cmp_gt_u32_e64 s[12:13], 8, v29
	v_mov_b32_e32 v29, 24
	v_cndmask_b32_e64 v18, v32, v18, s[12:13]
	v_cndmask_b32_e64 v22, v22, v30, s[12:13]
	v_lshlrev_b32_sdwa v29, v29, v21 dst_sel:DWORD dst_unused:UNUSED_PAD src0_sel:DWORD src1_sel:WORD_1
	v_bfrev_b32_e32 v30, 60
	v_lshlrev_b32_e32 v22, 20, v22
	v_and_b32_e32 v29, 0x80000000, v29
	v_lshl_add_u32 v18, v18, 23, v30
	v_or3_b32 v18, v29, v18, v22
	v_lshrrev_b32_e32 v22, 16, v18
.LBB754_488:
	s_or_b64 exec, exec, s[26:27]
.LBB754_489:
	s_or_b64 exec, exec, s[24:25]
.LBB754_490:
	s_or_b64 exec, exec, s[14:15]
	s_mov_b32 s12, -1
	s_mov_b32 s13, 0xffffff
	v_cmp_lt_u64_e64 s[12:13], s[12:13], v[20:21]
	s_and_saveexec_b64 s[14:15], s[12:13]
	s_cbranch_execz .LBB754_496
; %bb.491:
	v_lshrrev_b32_e32 v18, 24, v21
	s_movk_i32 s11, 0x80
	v_cmp_ne_u32_e64 s[12:13], s11, v18
	v_mov_b32_e32 v19, 0xffff8000
	s_and_saveexec_b64 s[24:25], s[12:13]
	s_cbranch_execz .LBB754_495
; %bb.492:
	v_bfe_u32 v20, v21, 24, 7
	s_movk_i32 s11, 0x7f
	v_cmp_ne_u32_e64 s[12:13], s11, v20
	v_mov_b32_e32 v19, 0x7f80
	s_and_saveexec_b64 s[26:27], s[12:13]
	s_cbranch_execz .LBB754_494
; %bb.493:
	v_and_b32_e32 v19, 7, v18
	v_ffbh_u32_e32 v29, v19
	v_min_u32_e32 v29, 32, v29
	v_subrev_u32_e32 v30, 28, v29
	v_lshlrev_b64 v[30:31], v30, v[18:19]
	v_lshrrev_b32_e32 v21, 3, v20
	v_sub_u32_e32 v29, 29, v29
	v_and_b32_e32 v30, 7, v30
	v_cmp_gt_u32_e64 s[12:13], 8, v20
	v_cndmask_b32_e64 v20, v21, v29, s[12:13]
	v_cndmask_b32_e64 v19, v19, v30, s[12:13]
	v_lshlrev_b32_e32 v18, 24, v18
	v_bfrev_b32_e32 v21, 60
	v_lshlrev_b32_e32 v19, 20, v19
	v_and_b32_e32 v18, 0x80000000, v18
	v_lshl_add_u32 v20, v20, 23, v21
	v_or3_b32 v18, v18, v20, v19
	v_lshrrev_b32_e32 v19, 16, v18
.LBB754_494:
	s_or_b64 exec, exec, s[26:27]
.LBB754_495:
	s_or_b64 exec, exec, s[24:25]
.LBB754_496:
	s_or_b64 exec, exec, s[14:15]
	s_mov_b32 s11, 0x5040100
	v_perm_b32 v21, v26, v25, s11
	v_perm_b32 v20, v23, v24, s11
	;; [unrolled: 1-line block ×4, first 2 shown]
	v_mfma_f32_4x4x4bf16_1k a[0:3], v[2:3], v[20:21], a[0:3] cbsz:4 abid:9
	v_mov_b32_e32 v21, 0
	v_mfma_f32_4x4x4bf16_1k a[0:3], v[4:5], v[18:19], a[0:3] cbsz:4 abid:9
	v_cmp_ne_u16_sdwa s[12:13], v14, v21 src0_sel:BYTE_0 src1_sel:DWORD
	v_mov_b32_e32 v22, 0
	s_and_saveexec_b64 s[14:15], s[12:13]
	s_cbranch_execz .LBB754_502
; %bb.497:
	s_movk_i32 s11, 0x80
	v_cmp_ne_u16_sdwa s[12:13], v14, s11 src0_sel:BYTE_0 src1_sel:DWORD
	v_mov_b32_e32 v22, 0xffff8000
	s_and_saveexec_b64 s[24:25], s[12:13]
	s_cbranch_execz .LBB754_501
; %bb.498:
	s_movk_i32 s11, 0x7f
	v_and_b32_e32 v18, 0x7f, v14
	v_cmp_ne_u32_e64 s[12:13], s11, v18
	v_mov_b32_e32 v22, 0x7f80
	s_and_saveexec_b64 s[26:27], s[12:13]
	s_cbranch_execz .LBB754_500
; %bb.499:
	v_and_b32_e32 v19, 7, v14
	v_ffbh_u32_e32 v19, v19
	v_min_u32_e32 v19, 32, v19
	v_subrev_u32_e32 v22, 28, v19
	v_cmp_gt_u32_e64 s[12:13], 8, v18
	v_lshrrev_b32_e32 v20, 3, v18
	v_sub_u32_e32 v19, 29, v19
	v_cndmask_b32_e64 v18, 0, v22, s[12:13]
	v_cndmask_b32_e64 v20, v20, v19, s[12:13]
	v_lshlrev_b64 v[18:19], v18, v[14:15]
	v_lshlrev_b32_e32 v18, 20, v18
	v_lshlrev_b32_e32 v19, 24, v14
	v_bfrev_b32_e32 v22, 60
	v_and_b32_e32 v18, 0x700000, v18
	v_and_b32_e32 v19, 0x80000000, v19
	v_lshl_add_u32 v20, v20, 23, v22
	v_or3_b32 v18, v19, v20, v18
	v_lshrrev_b32_e32 v22, 16, v18
.LBB754_500:
	s_or_b64 exec, exec, s[26:27]
.LBB754_501:
	s_or_b64 exec, exec, s[24:25]
.LBB754_502:
	s_or_b64 exec, exec, s[14:15]
	v_lshrrev_b16_e32 v18, 8, v14
	v_cmp_ne_u16_e64 s[12:13], 0, v18
	s_and_saveexec_b64 s[14:15], s[12:13]
	s_cbranch_execz .LBB754_508
; %bb.503:
	s_movk_i32 s11, 0x80
	v_cmp_ne_u16_e64 s[12:13], s11, v18
	v_mov_b32_e32 v21, 0xffff8000
	s_and_saveexec_b64 s[24:25], s[12:13]
	s_cbranch_execz .LBB754_507
; %bb.504:
	s_movk_i32 s11, 0x7f
	v_and_b32_e32 v19, 0x7f, v18
	v_cmp_ne_u32_e64 s[12:13], s11, v19
	v_mov_b32_e32 v21, 0x7f80
	s_and_saveexec_b64 s[26:27], s[12:13]
	s_cbranch_execz .LBB754_506
; %bb.505:
	v_and_b32_e32 v23, 7, v18
	v_ffbh_u32_e32 v20, v23
	v_min_u32_e32 v25, 32, v20
	v_subrev_u32_e32 v20, 28, v25
	v_lshlrev_b64 v[20:21], v20, v[18:19]
	v_lshrrev_b32_e32 v24, 3, v19
	v_sub_u32_e32 v18, 29, v25
	v_and_b32_e32 v20, 7, v20
	v_cmp_gt_u32_e64 s[12:13], 8, v19
	v_cndmask_b32_e64 v18, v24, v18, s[12:13]
	v_cndmask_b32_e64 v19, v23, v20, s[12:13]
	v_lshlrev_b32_e32 v20, 16, v14
	v_bfrev_b32_e32 v21, 60
	v_lshlrev_b32_e32 v19, 20, v19
	v_and_b32_e32 v20, 0x80000000, v20
	v_lshl_add_u32 v18, v18, 23, v21
	v_or3_b32 v18, v20, v18, v19
	v_lshrrev_b32_e32 v21, 16, v18
.LBB754_506:
	s_or_b64 exec, exec, s[26:27]
.LBB754_507:
	s_or_b64 exec, exec, s[24:25]
.LBB754_508:
	s_or_b64 exec, exec, s[14:15]
	s_movk_i32 s11, 0xff
	v_and_b32_sdwa v20, v14, s11 dst_sel:DWORD dst_unused:UNUSED_PAD src0_sel:WORD_1 src1_sel:DWORD
	v_lshrrev_b32_e32 v18, 16, v14
	v_cmp_ne_u16_e64 s[12:13], 0, v20
	v_mov_b32_e32 v19, 0
	v_mov_b32_e32 v23, 0
	s_and_saveexec_b64 s[14:15], s[12:13]
	s_cbranch_execz .LBB754_514
; %bb.509:
	s_movk_i32 s11, 0x80
	v_cmp_ne_u16_e64 s[12:13], s11, v20
	v_mov_b32_e32 v23, 0xffff8000
	s_and_saveexec_b64 s[24:25], s[12:13]
	s_cbranch_execz .LBB754_513
; %bb.510:
	v_bfe_u32 v20, v14, 16, 7
	s_movk_i32 s11, 0x7f
	v_cmp_ne_u32_e64 s[12:13], s11, v20
	v_mov_b32_e32 v23, 0x7f80
	s_and_saveexec_b64 s[26:27], s[12:13]
	s_cbranch_execz .LBB754_512
; %bb.511:
	v_and_b32_e32 v23, 7, v18
	v_ffbh_u32_e32 v24, v23
	v_min_u32_e32 v27, 32, v24
	v_subrev_u32_e32 v24, 28, v27
	v_lshlrev_b64 v[24:25], v24, v[18:19]
	v_and_b32_e32 v24, 7, v24
	v_cmp_gt_u32_e64 s[12:13], 8, v20
	v_lshrrev_b32_e32 v26, 3, v20
	v_sub_u32_e32 v18, 29, v27
	v_cndmask_b32_e64 v20, v23, v24, s[12:13]
	v_mov_b32_e32 v23, 24
	v_cndmask_b32_e64 v18, v26, v18, s[12:13]
	v_lshlrev_b32_sdwa v23, v23, v14 dst_sel:DWORD dst_unused:UNUSED_PAD src0_sel:DWORD src1_sel:WORD_1
	v_bfrev_b32_e32 v24, 60
	v_lshlrev_b32_e32 v20, 20, v20
	v_and_b32_e32 v23, 0x80000000, v23
	v_lshl_add_u32 v18, v18, 23, v24
	v_or3_b32 v18, v23, v18, v20
	v_lshrrev_b32_e32 v23, 16, v18
.LBB754_512:
	s_or_b64 exec, exec, s[26:27]
.LBB754_513:
	s_or_b64 exec, exec, s[24:25]
.LBB754_514:
	s_or_b64 exec, exec, s[14:15]
	s_mov_b32 s11, 0xffffff
	v_cmp_lt_u32_e64 s[12:13], s11, v14
	v_mov_b32_e32 v24, 0
	s_and_saveexec_b64 s[14:15], s[12:13]
	s_cbranch_execz .LBB754_520
; %bb.515:
	v_lshrrev_b32_e32 v18, 24, v14
	s_movk_i32 s11, 0x80
	v_cmp_ne_u32_e64 s[12:13], s11, v18
	v_mov_b32_e32 v24, 0xffff8000
	s_and_saveexec_b64 s[24:25], s[12:13]
	s_cbranch_execz .LBB754_519
; %bb.516:
	v_bfe_u32 v20, v14, 24, 7
	s_movk_i32 s11, 0x7f
	v_cmp_ne_u32_e64 s[12:13], s11, v20
	v_mov_b32_e32 v24, 0x7f80
	s_and_saveexec_b64 s[26:27], s[12:13]
	s_cbranch_execz .LBB754_518
; %bb.517:
	v_and_b32_e32 v26, 7, v18
	v_ffbh_u32_e32 v24, v26
	v_min_u32_e32 v28, 32, v24
	v_subrev_u32_e32 v24, 28, v28
	v_lshlrev_b64 v[24:25], v24, v[18:19]
	v_lshrrev_b32_e32 v27, 3, v20
	v_sub_u32_e32 v25, 29, v28
	v_and_b32_e32 v24, 7, v24
	v_cmp_gt_u32_e64 s[12:13], 8, v20
	v_cndmask_b32_e64 v20, v27, v25, s[12:13]
	v_cndmask_b32_e64 v24, v26, v24, s[12:13]
	v_lshlrev_b32_e32 v18, 24, v18
	v_bfrev_b32_e32 v25, 60
	v_lshlrev_b32_e32 v24, 20, v24
	v_and_b32_e32 v18, 0x80000000, v18
	v_lshl_add_u32 v20, v20, 23, v25
	v_or3_b32 v18, v18, v20, v24
	v_lshrrev_b32_e32 v24, 16, v18
.LBB754_518:
	s_or_b64 exec, exec, s[26:27]
.LBB754_519:
	s_or_b64 exec, exec, s[24:25]
.LBB754_520:
	s_or_b64 exec, exec, s[14:15]
	v_mov_b32_e32 v25, 0
	v_mov_b32_e32 v18, v15
	v_cmp_ne_u16_sdwa s[12:13], v15, v25 src0_sel:BYTE_0 src1_sel:DWORD
	v_mov_b32_e32 v26, 0
	s_and_saveexec_b64 s[14:15], s[12:13]
	s_cbranch_execz .LBB754_526
; %bb.521:
	s_movk_i32 s11, 0x80
	v_cmp_ne_u16_sdwa s[12:13], v15, s11 src0_sel:BYTE_0 src1_sel:DWORD
	v_mov_b32_e32 v26, 0xffff8000
	s_and_saveexec_b64 s[24:25], s[12:13]
	s_cbranch_execz .LBB754_525
; %bb.522:
	s_movk_i32 s11, 0x7f
	v_and_b32_e32 v20, 0x7f, v15
	v_cmp_ne_u32_e64 s[12:13], s11, v20
	v_mov_b32_e32 v26, 0x7f80
	s_and_saveexec_b64 s[26:27], s[12:13]
	s_cbranch_execz .LBB754_524
; %bb.523:
	v_and_b32_e32 v26, 7, v15
	v_ffbh_u32_e32 v26, v26
	v_min_u32_e32 v26, 32, v26
	v_lshrrev_b32_e32 v27, 3, v20
	v_subrev_u32_e32 v28, 28, v26
	v_sub_u32_e32 v26, 29, v26
	v_cmp_gt_u32_e64 s[12:13], 8, v20
	v_cndmask_b32_e64 v20, v27, v26, s[12:13]
	v_cndmask_b32_e64 v26, 0, v28, s[12:13]
	v_lshlrev_b64 v[26:27], v26, v[18:19]
	v_lshlrev_b32_e32 v19, 20, v26
	v_lshlrev_b32_e32 v26, 24, v18
	v_bfrev_b32_e32 v27, 60
	v_and_b32_e32 v19, 0x700000, v19
	v_and_b32_e32 v26, 0x80000000, v26
	v_lshl_add_u32 v20, v20, 23, v27
	v_or3_b32 v19, v26, v20, v19
	v_lshrrev_b32_e32 v26, 16, v19
.LBB754_524:
	s_or_b64 exec, exec, s[26:27]
.LBB754_525:
	s_or_b64 exec, exec, s[24:25]
.LBB754_526:
	s_or_b64 exec, exec, s[14:15]
	v_lshrrev_b16_e32 v20, 8, v18
	v_cmp_ne_u16_e64 s[12:13], 0, v20
	s_and_saveexec_b64 s[14:15], s[12:13]
	s_cbranch_execz .LBB754_532
; %bb.527:
	s_movk_i32 s11, 0x80
	v_cmp_ne_u16_e64 s[12:13], s11, v20
	v_mov_b32_e32 v25, 0xffff8000
	s_and_saveexec_b64 s[24:25], s[12:13]
	s_cbranch_execz .LBB754_531
; %bb.528:
	s_movk_i32 s11, 0x7f
	v_and_b32_e32 v19, 0x7f, v20
	v_cmp_ne_u32_e64 s[12:13], s11, v19
	v_mov_b32_e32 v25, 0x7f80
	s_and_saveexec_b64 s[26:27], s[12:13]
	s_cbranch_execz .LBB754_530
; %bb.529:
	v_and_b32_e32 v25, 7, v20
	v_ffbh_u32_e32 v28, v25
	v_min_u32_e32 v30, 32, v28
	v_subrev_u32_e32 v28, 28, v30
	v_lshlrev_b64 v[28:29], v28, v[20:21]
	v_lshrrev_b32_e32 v27, 3, v19
	v_sub_u32_e32 v20, 29, v30
	v_and_b32_e32 v28, 7, v28
	v_cmp_gt_u32_e64 s[12:13], 8, v19
	v_cndmask_b32_e64 v19, v27, v20, s[12:13]
	v_cndmask_b32_e64 v20, v25, v28, s[12:13]
	v_lshlrev_b32_e32 v18, 16, v18
	v_bfrev_b32_e32 v25, 60
	v_lshlrev_b32_e32 v20, 20, v20
	v_and_b32_e32 v18, 0x80000000, v18
	v_lshl_add_u32 v19, v19, 23, v25
	v_or3_b32 v18, v18, v19, v20
	v_lshrrev_b32_e32 v25, 16, v18
.LBB754_530:
	s_or_b64 exec, exec, s[26:27]
.LBB754_531:
	s_or_b64 exec, exec, s[24:25]
.LBB754_532:
	s_or_b64 exec, exec, s[14:15]
	s_movk_i32 s11, 0xff
	v_and_b32_sdwa v27, v15, s11 dst_sel:DWORD dst_unused:UNUSED_PAD src0_sel:WORD_1 src1_sel:DWORD
	v_lshrrev_b32_e32 v18, 16, v15
	v_cmp_ne_u16_e64 s[12:13], 0, v27
	v_mov_b32_e32 v19, 0
	v_mov_b32_e32 v20, 0
	s_and_saveexec_b64 s[14:15], s[12:13]
	s_cbranch_execz .LBB754_538
; %bb.533:
	s_movk_i32 s11, 0x80
	v_cmp_ne_u16_e64 s[12:13], s11, v27
	v_mov_b32_e32 v20, 0xffff8000
	s_and_saveexec_b64 s[24:25], s[12:13]
	s_cbranch_execz .LBB754_537
; %bb.534:
	v_bfe_u32 v27, v15, 16, 7
	s_movk_i32 s11, 0x7f
	v_cmp_ne_u32_e64 s[12:13], s11, v27
	v_mov_b32_e32 v20, 0x7f80
	s_and_saveexec_b64 s[26:27], s[12:13]
	s_cbranch_execz .LBB754_536
; %bb.535:
	v_and_b32_e32 v20, 7, v18
	v_ffbh_u32_e32 v28, v20
	v_min_u32_e32 v31, 32, v28
	v_subrev_u32_e32 v28, 28, v31
	v_lshlrev_b64 v[28:29], v28, v[18:19]
	v_lshrrev_b32_e32 v30, 3, v27
	v_sub_u32_e32 v18, 29, v31
	v_and_b32_e32 v28, 7, v28
	v_cmp_gt_u32_e64 s[12:13], 8, v27
	v_mov_b32_e32 v27, 24
	v_cndmask_b32_e64 v18, v30, v18, s[12:13]
	v_cndmask_b32_e64 v20, v20, v28, s[12:13]
	v_lshlrev_b32_sdwa v27, v27, v15 dst_sel:DWORD dst_unused:UNUSED_PAD src0_sel:DWORD src1_sel:WORD_1
	v_bfrev_b32_e32 v28, 60
	v_lshlrev_b32_e32 v20, 20, v20
	v_and_b32_e32 v27, 0x80000000, v27
	v_lshl_add_u32 v18, v18, 23, v28
	v_or3_b32 v18, v27, v18, v20
	v_lshrrev_b32_e32 v20, 16, v18
.LBB754_536:
	s_or_b64 exec, exec, s[26:27]
.LBB754_537:
	s_or_b64 exec, exec, s[24:25]
.LBB754_538:
	s_or_b64 exec, exec, s[14:15]
	s_mov_b32 s12, -1
	s_mov_b32 s13, 0xffffff
	v_cmp_lt_u64_e64 s[12:13], s[12:13], v[14:15]
	s_and_saveexec_b64 s[14:15], s[12:13]
	s_cbranch_execz .LBB754_544
; %bb.539:
	v_lshrrev_b32_e32 v14, 24, v15
	s_movk_i32 s11, 0x80
	v_cmp_ne_u32_e64 s[12:13], s11, v14
	v_mov_b32_e32 v19, 0xffff8000
	s_and_saveexec_b64 s[24:25], s[12:13]
	s_cbranch_execz .LBB754_543
; %bb.540:
	v_bfe_u32 v15, v15, 24, 7
	s_movk_i32 s11, 0x7f
	v_cmp_ne_u32_e64 s[12:13], s11, v15
	v_mov_b32_e32 v19, 0x7f80
	s_and_saveexec_b64 s[26:27], s[12:13]
	s_cbranch_execz .LBB754_542
; %bb.541:
	v_and_b32_e32 v27, 7, v14
	v_ffbh_u32_e32 v18, v27
	v_min_u32_e32 v29, 32, v18
	v_subrev_u32_e32 v18, 28, v29
	v_lshlrev_b64 v[18:19], v18, v[14:15]
	v_lshrrev_b32_e32 v28, 3, v15
	v_sub_u32_e32 v19, 29, v29
	v_and_b32_e32 v18, 7, v18
	v_cmp_gt_u32_e64 s[12:13], 8, v15
	v_cndmask_b32_e64 v15, v28, v19, s[12:13]
	v_cndmask_b32_e64 v18, v27, v18, s[12:13]
	v_lshlrev_b32_e32 v14, 24, v14
	v_bfrev_b32_e32 v19, 60
	v_lshlrev_b32_e32 v18, 20, v18
	v_and_b32_e32 v14, 0x80000000, v14
	v_lshl_add_u32 v15, v15, 23, v19
	v_or3_b32 v14, v14, v15, v18
	v_lshrrev_b32_e32 v19, 16, v14
.LBB754_542:
	s_or_b64 exec, exec, s[26:27]
.LBB754_543:
	s_or_b64 exec, exec, s[24:25]
.LBB754_544:
	s_or_b64 exec, exec, s[14:15]
	s_mov_b32 s11, 0x5040100
	v_perm_b32 v15, v24, v23, s11
	v_perm_b32 v14, v21, v22, s11
	;; [unrolled: 1-line block ×4, first 2 shown]
	v_mfma_f32_4x4x4bf16_1k a[0:3], v[2:3], v[14:15], a[0:3] cbsz:4 abid:10
	v_mov_b32_e32 v20, 0
	v_mfma_f32_4x4x4bf16_1k a[0:3], v[4:5], v[18:19], a[0:3] cbsz:4 abid:10
	v_mov_b32_e32 v19, 0
	v_cmp_ne_u16_sdwa s[12:13], v16, v19 src0_sel:BYTE_0 src1_sel:DWORD
	s_and_saveexec_b64 s[14:15], s[12:13]
	s_cbranch_execz .LBB754_550
; %bb.545:
	s_movk_i32 s11, 0x80
	v_cmp_ne_u16_sdwa s[12:13], v16, s11 src0_sel:BYTE_0 src1_sel:DWORD
	v_mov_b32_e32 v20, 0xffff8000
	s_and_saveexec_b64 s[24:25], s[12:13]
	s_cbranch_execz .LBB754_549
; %bb.546:
	s_movk_i32 s11, 0x7f
	v_and_b32_e32 v14, 0x7f, v16
	v_cmp_ne_u32_e64 s[12:13], s11, v14
	v_mov_b32_e32 v20, 0x7f80
	s_and_saveexec_b64 s[26:27], s[12:13]
	s_cbranch_execz .LBB754_548
; %bb.547:
	v_and_b32_e32 v15, 7, v16
	v_ffbh_u32_e32 v15, v15
	v_min_u32_e32 v15, 32, v15
	v_subrev_u32_e32 v20, 28, v15
	v_cmp_gt_u32_e64 s[12:13], 8, v14
	v_lshrrev_b32_e32 v18, 3, v14
	v_sub_u32_e32 v15, 29, v15
	v_cndmask_b32_e64 v14, 0, v20, s[12:13]
	v_cndmask_b32_e64 v18, v18, v15, s[12:13]
	v_lshlrev_b64 v[14:15], v14, v[16:17]
	v_lshlrev_b32_e32 v14, 20, v14
	v_lshlrev_b32_e32 v15, 24, v16
	v_bfrev_b32_e32 v20, 60
	v_and_b32_e32 v14, 0x700000, v14
	v_and_b32_e32 v15, 0x80000000, v15
	v_lshl_add_u32 v18, v18, 23, v20
	v_or3_b32 v14, v15, v18, v14
	v_lshrrev_b32_e32 v20, 16, v14
.LBB754_548:
	s_or_b64 exec, exec, s[26:27]
.LBB754_549:
	s_or_b64 exec, exec, s[24:25]
.LBB754_550:
	s_or_b64 exec, exec, s[14:15]
	v_lshrrev_b16_e32 v14, 8, v16
	v_cmp_ne_u16_e64 s[12:13], 0, v14
	s_and_saveexec_b64 s[14:15], s[12:13]
	s_cbranch_execz .LBB754_556
; %bb.551:
	s_movk_i32 s11, 0x80
	v_cmp_ne_u16_e64 s[12:13], s11, v14
	v_mov_b32_e32 v19, 0xffff8000
	s_and_saveexec_b64 s[24:25], s[12:13]
	s_cbranch_execz .LBB754_555
; %bb.552:
	s_movk_i32 s11, 0x7f
	v_and_b32_e32 v15, 0x7f, v14
	v_cmp_ne_u32_e64 s[12:13], s11, v15
	v_mov_b32_e32 v19, 0x7f80
	s_and_saveexec_b64 s[26:27], s[12:13]
	s_cbranch_execz .LBB754_554
; %bb.553:
	v_and_b32_e32 v21, 7, v14
	v_ffbh_u32_e32 v18, v21
	v_min_u32_e32 v23, 32, v18
	v_subrev_u32_e32 v18, 28, v23
	v_lshlrev_b64 v[18:19], v18, v[14:15]
	v_lshrrev_b32_e32 v22, 3, v15
	v_sub_u32_e32 v14, 29, v23
	v_and_b32_e32 v18, 7, v18
	v_cmp_gt_u32_e64 s[12:13], 8, v15
	v_cndmask_b32_e64 v14, v22, v14, s[12:13]
	v_cndmask_b32_e64 v15, v21, v18, s[12:13]
	v_lshlrev_b32_e32 v18, 16, v16
	v_bfrev_b32_e32 v19, 60
	v_lshlrev_b32_e32 v15, 20, v15
	v_and_b32_e32 v18, 0x80000000, v18
	v_lshl_add_u32 v14, v14, 23, v19
	v_or3_b32 v14, v18, v14, v15
	v_lshrrev_b32_e32 v19, 16, v14
.LBB754_554:
	s_or_b64 exec, exec, s[26:27]
.LBB754_555:
	s_or_b64 exec, exec, s[24:25]
.LBB754_556:
	s_or_b64 exec, exec, s[14:15]
	s_movk_i32 s11, 0xff
	v_and_b32_sdwa v18, v16, s11 dst_sel:DWORD dst_unused:UNUSED_PAD src0_sel:WORD_1 src1_sel:DWORD
	v_lshrrev_b32_e32 v14, 16, v16
	v_cmp_ne_u16_e64 s[12:13], 0, v18
	v_mov_b32_e32 v15, 0
	v_mov_b32_e32 v21, 0
	s_and_saveexec_b64 s[14:15], s[12:13]
	s_cbranch_execz .LBB754_562
; %bb.557:
	s_movk_i32 s11, 0x80
	v_cmp_ne_u16_e64 s[12:13], s11, v18
	v_mov_b32_e32 v21, 0xffff8000
	s_and_saveexec_b64 s[24:25], s[12:13]
	s_cbranch_execz .LBB754_561
; %bb.558:
	v_bfe_u32 v18, v16, 16, 7
	s_movk_i32 s11, 0x7f
	v_cmp_ne_u32_e64 s[12:13], s11, v18
	v_mov_b32_e32 v21, 0x7f80
	s_and_saveexec_b64 s[26:27], s[12:13]
	s_cbranch_execz .LBB754_560
; %bb.559:
	v_and_b32_e32 v21, 7, v14
	v_ffbh_u32_e32 v22, v21
	v_min_u32_e32 v25, 32, v22
	v_subrev_u32_e32 v22, 28, v25
	v_lshlrev_b64 v[22:23], v22, v[14:15]
	v_and_b32_e32 v22, 7, v22
	v_cmp_gt_u32_e64 s[12:13], 8, v18
	v_lshrrev_b32_e32 v24, 3, v18
	v_sub_u32_e32 v14, 29, v25
	v_cndmask_b32_e64 v18, v21, v22, s[12:13]
	v_mov_b32_e32 v21, 24
	v_cndmask_b32_e64 v14, v24, v14, s[12:13]
	v_lshlrev_b32_sdwa v21, v21, v16 dst_sel:DWORD dst_unused:UNUSED_PAD src0_sel:DWORD src1_sel:WORD_1
	v_bfrev_b32_e32 v22, 60
	v_lshlrev_b32_e32 v18, 20, v18
	v_and_b32_e32 v21, 0x80000000, v21
	v_lshl_add_u32 v14, v14, 23, v22
	v_or3_b32 v14, v21, v14, v18
	v_lshrrev_b32_e32 v21, 16, v14
.LBB754_560:
	s_or_b64 exec, exec, s[26:27]
.LBB754_561:
	s_or_b64 exec, exec, s[24:25]
.LBB754_562:
	s_or_b64 exec, exec, s[14:15]
	s_mov_b32 s11, 0xffffff
	v_cmp_lt_u32_e64 s[12:13], s11, v16
	v_mov_b32_e32 v22, 0
	s_and_saveexec_b64 s[14:15], s[12:13]
	s_cbranch_execz .LBB754_568
; %bb.563:
	v_lshrrev_b32_e32 v14, 24, v16
	s_movk_i32 s11, 0x80
	v_cmp_ne_u32_e64 s[12:13], s11, v14
	v_mov_b32_e32 v22, 0xffff8000
	s_and_saveexec_b64 s[24:25], s[12:13]
	s_cbranch_execz .LBB754_567
; %bb.564:
	v_bfe_u32 v18, v16, 24, 7
	s_movk_i32 s11, 0x7f
	v_cmp_ne_u32_e64 s[12:13], s11, v18
	v_mov_b32_e32 v22, 0x7f80
	s_and_saveexec_b64 s[26:27], s[12:13]
	s_cbranch_execz .LBB754_566
; %bb.565:
	v_and_b32_e32 v24, 7, v14
	v_ffbh_u32_e32 v22, v24
	v_min_u32_e32 v26, 32, v22
	v_subrev_u32_e32 v22, 28, v26
	v_lshlrev_b64 v[22:23], v22, v[14:15]
	v_lshrrev_b32_e32 v25, 3, v18
	v_sub_u32_e32 v23, 29, v26
	v_and_b32_e32 v22, 7, v22
	v_cmp_gt_u32_e64 s[12:13], 8, v18
	v_cndmask_b32_e64 v18, v25, v23, s[12:13]
	v_cndmask_b32_e64 v22, v24, v22, s[12:13]
	v_lshlrev_b32_e32 v14, 24, v14
	v_bfrev_b32_e32 v23, 60
	v_lshlrev_b32_e32 v22, 20, v22
	v_and_b32_e32 v14, 0x80000000, v14
	v_lshl_add_u32 v18, v18, 23, v23
	v_or3_b32 v14, v14, v18, v22
	v_lshrrev_b32_e32 v22, 16, v14
.LBB754_566:
	s_or_b64 exec, exec, s[26:27]
.LBB754_567:
	s_or_b64 exec, exec, s[24:25]
.LBB754_568:
	s_or_b64 exec, exec, s[14:15]
	v_mov_b32_e32 v23, 0
	v_mov_b32_e32 v14, v17
	v_cmp_ne_u16_sdwa s[12:13], v17, v23 src0_sel:BYTE_0 src1_sel:DWORD
	v_mov_b32_e32 v24, 0
	s_and_saveexec_b64 s[14:15], s[12:13]
	s_cbranch_execz .LBB754_574
; %bb.569:
	s_movk_i32 s11, 0x80
	v_cmp_ne_u16_sdwa s[12:13], v17, s11 src0_sel:BYTE_0 src1_sel:DWORD
	v_mov_b32_e32 v24, 0xffff8000
	s_and_saveexec_b64 s[24:25], s[12:13]
	s_cbranch_execz .LBB754_573
; %bb.570:
	s_movk_i32 s11, 0x7f
	v_and_b32_e32 v18, 0x7f, v17
	v_cmp_ne_u32_e64 s[12:13], s11, v18
	v_mov_b32_e32 v24, 0x7f80
	s_and_saveexec_b64 s[26:27], s[12:13]
	s_cbranch_execz .LBB754_572
; %bb.571:
	v_and_b32_e32 v24, 7, v17
	v_ffbh_u32_e32 v24, v24
	v_min_u32_e32 v24, 32, v24
	v_lshrrev_b32_e32 v25, 3, v18
	v_subrev_u32_e32 v26, 28, v24
	v_sub_u32_e32 v24, 29, v24
	v_cmp_gt_u32_e64 s[12:13], 8, v18
	v_cndmask_b32_e64 v18, v25, v24, s[12:13]
	v_cndmask_b32_e64 v24, 0, v26, s[12:13]
	v_lshlrev_b64 v[24:25], v24, v[14:15]
	v_lshlrev_b32_e32 v15, 20, v24
	v_lshlrev_b32_e32 v24, 24, v14
	v_bfrev_b32_e32 v25, 60
	v_and_b32_e32 v15, 0x700000, v15
	v_and_b32_e32 v24, 0x80000000, v24
	v_lshl_add_u32 v18, v18, 23, v25
	v_or3_b32 v15, v24, v18, v15
	v_lshrrev_b32_e32 v24, 16, v15
.LBB754_572:
	s_or_b64 exec, exec, s[26:27]
.LBB754_573:
	s_or_b64 exec, exec, s[24:25]
.LBB754_574:
	s_or_b64 exec, exec, s[14:15]
	v_lshrrev_b16_e32 v18, 8, v14
	v_cmp_ne_u16_e64 s[12:13], 0, v18
	s_and_saveexec_b64 s[14:15], s[12:13]
	s_cbranch_execz .LBB754_580
; %bb.575:
	s_movk_i32 s11, 0x80
	v_cmp_ne_u16_e64 s[12:13], s11, v18
	v_mov_b32_e32 v23, 0xffff8000
	s_and_saveexec_b64 s[24:25], s[12:13]
	s_cbranch_execz .LBB754_579
; %bb.576:
	s_movk_i32 s11, 0x7f
	v_and_b32_e32 v15, 0x7f, v18
	v_cmp_ne_u32_e64 s[12:13], s11, v15
	v_mov_b32_e32 v23, 0x7f80
	s_and_saveexec_b64 s[26:27], s[12:13]
	s_cbranch_execz .LBB754_578
; %bb.577:
	v_and_b32_e32 v23, 7, v18
	v_ffbh_u32_e32 v26, v23
	v_min_u32_e32 v28, 32, v26
	v_subrev_u32_e32 v26, 28, v28
	v_lshlrev_b64 v[26:27], v26, v[18:19]
	v_lshrrev_b32_e32 v25, 3, v15
	v_sub_u32_e32 v18, 29, v28
	v_and_b32_e32 v26, 7, v26
	v_cmp_gt_u32_e64 s[12:13], 8, v15
	v_cndmask_b32_e64 v15, v25, v18, s[12:13]
	v_cndmask_b32_e64 v18, v23, v26, s[12:13]
	v_lshlrev_b32_e32 v14, 16, v14
	v_bfrev_b32_e32 v23, 60
	v_lshlrev_b32_e32 v18, 20, v18
	v_and_b32_e32 v14, 0x80000000, v14
	v_lshl_add_u32 v15, v15, 23, v23
	v_or3_b32 v14, v14, v15, v18
	v_lshrrev_b32_e32 v23, 16, v14
.LBB754_578:
	s_or_b64 exec, exec, s[26:27]
.LBB754_579:
	s_or_b64 exec, exec, s[24:25]
.LBB754_580:
	s_or_b64 exec, exec, s[14:15]
	s_movk_i32 s11, 0xff
	v_and_b32_sdwa v25, v17, s11 dst_sel:DWORD dst_unused:UNUSED_PAD src0_sel:WORD_1 src1_sel:DWORD
	v_lshrrev_b32_e32 v14, 16, v17
	v_cmp_ne_u16_e64 s[12:13], 0, v25
	v_mov_b32_e32 v15, 0
	v_mov_b32_e32 v18, 0
	s_and_saveexec_b64 s[14:15], s[12:13]
	s_cbranch_execz .LBB754_586
; %bb.581:
	s_movk_i32 s11, 0x80
	v_cmp_ne_u16_e64 s[12:13], s11, v25
	v_mov_b32_e32 v18, 0xffff8000
	s_and_saveexec_b64 s[24:25], s[12:13]
	s_cbranch_execz .LBB754_585
; %bb.582:
	v_bfe_u32 v25, v17, 16, 7
	s_movk_i32 s11, 0x7f
	v_cmp_ne_u32_e64 s[12:13], s11, v25
	v_mov_b32_e32 v18, 0x7f80
	s_and_saveexec_b64 s[26:27], s[12:13]
	s_cbranch_execz .LBB754_584
; %bb.583:
	v_and_b32_e32 v18, 7, v14
	v_ffbh_u32_e32 v26, v18
	v_min_u32_e32 v29, 32, v26
	v_subrev_u32_e32 v26, 28, v29
	v_lshlrev_b64 v[26:27], v26, v[14:15]
	v_lshrrev_b32_e32 v28, 3, v25
	v_sub_u32_e32 v14, 29, v29
	v_and_b32_e32 v26, 7, v26
	v_cmp_gt_u32_e64 s[12:13], 8, v25
	v_mov_b32_e32 v25, 24
	v_cndmask_b32_e64 v14, v28, v14, s[12:13]
	v_cndmask_b32_e64 v18, v18, v26, s[12:13]
	v_lshlrev_b32_sdwa v25, v25, v17 dst_sel:DWORD dst_unused:UNUSED_PAD src0_sel:DWORD src1_sel:WORD_1
	v_bfrev_b32_e32 v26, 60
	v_lshlrev_b32_e32 v18, 20, v18
	v_and_b32_e32 v25, 0x80000000, v25
	v_lshl_add_u32 v14, v14, 23, v26
	v_or3_b32 v14, v25, v14, v18
	v_lshrrev_b32_e32 v18, 16, v14
.LBB754_584:
	s_or_b64 exec, exec, s[26:27]
.LBB754_585:
	s_or_b64 exec, exec, s[24:25]
.LBB754_586:
	s_or_b64 exec, exec, s[14:15]
	s_mov_b32 s12, -1
	s_mov_b32 s13, 0xffffff
	v_cmp_lt_u64_e64 s[12:13], s[12:13], v[16:17]
	s_and_saveexec_b64 s[14:15], s[12:13]
	s_cbranch_execz .LBB754_592
; %bb.587:
	v_lshrrev_b32_e32 v14, 24, v17
	s_movk_i32 s11, 0x80
	v_cmp_ne_u32_e64 s[12:13], s11, v14
	v_mov_b32_e32 v15, 0xffff8000
	s_and_saveexec_b64 s[24:25], s[12:13]
	s_cbranch_execz .LBB754_591
; %bb.588:
	v_bfe_u32 v16, v17, 24, 7
	s_movk_i32 s11, 0x7f
	v_cmp_ne_u32_e64 s[12:13], s11, v16
	v_mov_b32_e32 v15, 0x7f80
	s_and_saveexec_b64 s[26:27], s[12:13]
	s_cbranch_execz .LBB754_590
; %bb.589:
	v_and_b32_e32 v15, 7, v14
	v_ffbh_u32_e32 v25, v15
	v_min_u32_e32 v25, 32, v25
	v_subrev_u32_e32 v26, 28, v25
	v_lshlrev_b64 v[26:27], v26, v[14:15]
	v_lshrrev_b32_e32 v17, 3, v16
	v_sub_u32_e32 v25, 29, v25
	v_and_b32_e32 v26, 7, v26
	v_cmp_gt_u32_e64 s[12:13], 8, v16
	v_cndmask_b32_e64 v16, v17, v25, s[12:13]
	v_cndmask_b32_e64 v15, v15, v26, s[12:13]
	v_lshlrev_b32_e32 v14, 24, v14
	v_bfrev_b32_e32 v17, 60
	v_lshlrev_b32_e32 v15, 20, v15
	v_and_b32_e32 v14, 0x80000000, v14
	v_lshl_add_u32 v16, v16, 23, v17
	v_or3_b32 v14, v14, v16, v15
	v_lshrrev_b32_e32 v15, 16, v14
.LBB754_590:
	s_or_b64 exec, exec, s[26:27]
.LBB754_591:
	s_or_b64 exec, exec, s[24:25]
.LBB754_592:
	s_or_b64 exec, exec, s[14:15]
	s_mov_b32 s11, 0x5040100
	v_perm_b32 v17, v22, v21, s11
	v_perm_b32 v16, v19, v20, s11
	;; [unrolled: 1-line block ×4, first 2 shown]
	v_mfma_f32_4x4x4bf16_1k a[0:3], v[2:3], v[16:17], a[0:3] cbsz:4 abid:11
	v_mov_b32_e32 v17, 0
	v_mfma_f32_4x4x4bf16_1k a[0:3], v[4:5], v[14:15], a[0:3] cbsz:4 abid:11
	v_cmp_ne_u16_sdwa s[12:13], v10, v17 src0_sel:BYTE_0 src1_sel:DWORD
	v_mov_b32_e32 v18, 0
	s_and_saveexec_b64 s[14:15], s[12:13]
	s_cbranch_execz .LBB754_598
; %bb.593:
	s_movk_i32 s11, 0x80
	v_cmp_ne_u16_sdwa s[12:13], v10, s11 src0_sel:BYTE_0 src1_sel:DWORD
	v_mov_b32_e32 v18, 0xffff8000
	s_and_saveexec_b64 s[24:25], s[12:13]
	s_cbranch_execz .LBB754_597
; %bb.594:
	s_movk_i32 s11, 0x7f
	v_and_b32_e32 v14, 0x7f, v10
	v_cmp_ne_u32_e64 s[12:13], s11, v14
	v_mov_b32_e32 v18, 0x7f80
	s_and_saveexec_b64 s[26:27], s[12:13]
	s_cbranch_execz .LBB754_596
; %bb.595:
	v_and_b32_e32 v15, 7, v10
	v_ffbh_u32_e32 v15, v15
	v_min_u32_e32 v15, 32, v15
	v_subrev_u32_e32 v18, 28, v15
	v_cmp_gt_u32_e64 s[12:13], 8, v14
	v_lshrrev_b32_e32 v16, 3, v14
	v_sub_u32_e32 v15, 29, v15
	v_cndmask_b32_e64 v14, 0, v18, s[12:13]
	v_cndmask_b32_e64 v16, v16, v15, s[12:13]
	v_lshlrev_b64 v[14:15], v14, v[10:11]
	v_lshlrev_b32_e32 v14, 20, v14
	v_lshlrev_b32_e32 v15, 24, v10
	v_bfrev_b32_e32 v18, 60
	v_and_b32_e32 v14, 0x700000, v14
	v_and_b32_e32 v15, 0x80000000, v15
	v_lshl_add_u32 v16, v16, 23, v18
	v_or3_b32 v14, v15, v16, v14
	v_lshrrev_b32_e32 v18, 16, v14
.LBB754_596:
	s_or_b64 exec, exec, s[26:27]
.LBB754_597:
	s_or_b64 exec, exec, s[24:25]
.LBB754_598:
	s_or_b64 exec, exec, s[14:15]
	v_lshrrev_b16_e32 v14, 8, v10
	v_cmp_ne_u16_e64 s[12:13], 0, v14
	s_and_saveexec_b64 s[14:15], s[12:13]
	s_cbranch_execz .LBB754_604
; %bb.599:
	s_movk_i32 s11, 0x80
	v_cmp_ne_u16_e64 s[12:13], s11, v14
	v_mov_b32_e32 v17, 0xffff8000
	s_and_saveexec_b64 s[24:25], s[12:13]
	s_cbranch_execz .LBB754_603
; %bb.600:
	s_movk_i32 s11, 0x7f
	v_and_b32_e32 v15, 0x7f, v14
	v_cmp_ne_u32_e64 s[12:13], s11, v15
	v_mov_b32_e32 v17, 0x7f80
	s_and_saveexec_b64 s[26:27], s[12:13]
	s_cbranch_execz .LBB754_602
; %bb.601:
	v_and_b32_e32 v19, 7, v14
	v_ffbh_u32_e32 v16, v19
	v_min_u32_e32 v21, 32, v16
	v_subrev_u32_e32 v16, 28, v21
	v_lshlrev_b64 v[16:17], v16, v[14:15]
	v_lshrrev_b32_e32 v20, 3, v15
	v_sub_u32_e32 v14, 29, v21
	v_and_b32_e32 v16, 7, v16
	v_cmp_gt_u32_e64 s[12:13], 8, v15
	v_cndmask_b32_e64 v14, v20, v14, s[12:13]
	v_cndmask_b32_e64 v15, v19, v16, s[12:13]
	v_lshlrev_b32_e32 v16, 16, v10
	v_bfrev_b32_e32 v17, 60
	v_lshlrev_b32_e32 v15, 20, v15
	v_and_b32_e32 v16, 0x80000000, v16
	v_lshl_add_u32 v14, v14, 23, v17
	v_or3_b32 v14, v16, v14, v15
	v_lshrrev_b32_e32 v17, 16, v14
.LBB754_602:
	s_or_b64 exec, exec, s[26:27]
.LBB754_603:
	s_or_b64 exec, exec, s[24:25]
.LBB754_604:
	s_or_b64 exec, exec, s[14:15]
	s_movk_i32 s11, 0xff
	v_and_b32_sdwa v16, v10, s11 dst_sel:DWORD dst_unused:UNUSED_PAD src0_sel:WORD_1 src1_sel:DWORD
	v_lshrrev_b32_e32 v14, 16, v10
	v_cmp_ne_u16_e64 s[12:13], 0, v16
	v_mov_b32_e32 v15, 0
	v_mov_b32_e32 v19, 0
	s_and_saveexec_b64 s[14:15], s[12:13]
	s_cbranch_execz .LBB754_610
; %bb.605:
	s_movk_i32 s11, 0x80
	v_cmp_ne_u16_e64 s[12:13], s11, v16
	v_mov_b32_e32 v19, 0xffff8000
	s_and_saveexec_b64 s[24:25], s[12:13]
	s_cbranch_execz .LBB754_609
; %bb.606:
	v_bfe_u32 v16, v10, 16, 7
	s_movk_i32 s11, 0x7f
	v_cmp_ne_u32_e64 s[12:13], s11, v16
	v_mov_b32_e32 v19, 0x7f80
	s_and_saveexec_b64 s[26:27], s[12:13]
	s_cbranch_execz .LBB754_608
; %bb.607:
	v_and_b32_e32 v19, 7, v14
	v_ffbh_u32_e32 v20, v19
	v_min_u32_e32 v23, 32, v20
	v_subrev_u32_e32 v20, 28, v23
	v_lshlrev_b64 v[20:21], v20, v[14:15]
	v_and_b32_e32 v20, 7, v20
	v_cmp_gt_u32_e64 s[12:13], 8, v16
	v_lshrrev_b32_e32 v22, 3, v16
	v_sub_u32_e32 v14, 29, v23
	v_cndmask_b32_e64 v16, v19, v20, s[12:13]
	v_mov_b32_e32 v19, 24
	v_cndmask_b32_e64 v14, v22, v14, s[12:13]
	v_lshlrev_b32_sdwa v19, v19, v10 dst_sel:DWORD dst_unused:UNUSED_PAD src0_sel:DWORD src1_sel:WORD_1
	v_bfrev_b32_e32 v20, 60
	v_lshlrev_b32_e32 v16, 20, v16
	v_and_b32_e32 v19, 0x80000000, v19
	v_lshl_add_u32 v14, v14, 23, v20
	v_or3_b32 v14, v19, v14, v16
	v_lshrrev_b32_e32 v19, 16, v14
.LBB754_608:
	s_or_b64 exec, exec, s[26:27]
.LBB754_609:
	s_or_b64 exec, exec, s[24:25]
.LBB754_610:
	s_or_b64 exec, exec, s[14:15]
	s_mov_b32 s11, 0xffffff
	v_cmp_lt_u32_e64 s[12:13], s11, v10
	v_mov_b32_e32 v20, 0
	s_and_saveexec_b64 s[14:15], s[12:13]
	s_cbranch_execz .LBB754_616
; %bb.611:
	v_lshrrev_b32_e32 v14, 24, v10
	s_movk_i32 s11, 0x80
	v_cmp_ne_u32_e64 s[12:13], s11, v14
	v_mov_b32_e32 v20, 0xffff8000
	s_and_saveexec_b64 s[24:25], s[12:13]
	s_cbranch_execz .LBB754_615
; %bb.612:
	v_bfe_u32 v16, v10, 24, 7
	s_movk_i32 s11, 0x7f
	v_cmp_ne_u32_e64 s[12:13], s11, v16
	v_mov_b32_e32 v20, 0x7f80
	s_and_saveexec_b64 s[26:27], s[12:13]
	s_cbranch_execz .LBB754_614
; %bb.613:
	v_and_b32_e32 v22, 7, v14
	v_ffbh_u32_e32 v20, v22
	v_min_u32_e32 v24, 32, v20
	v_subrev_u32_e32 v20, 28, v24
	v_lshlrev_b64 v[20:21], v20, v[14:15]
	v_lshrrev_b32_e32 v23, 3, v16
	v_sub_u32_e32 v21, 29, v24
	v_and_b32_e32 v20, 7, v20
	v_cmp_gt_u32_e64 s[12:13], 8, v16
	v_cndmask_b32_e64 v16, v23, v21, s[12:13]
	v_cndmask_b32_e64 v20, v22, v20, s[12:13]
	v_lshlrev_b32_e32 v14, 24, v14
	v_bfrev_b32_e32 v21, 60
	v_lshlrev_b32_e32 v20, 20, v20
	v_and_b32_e32 v14, 0x80000000, v14
	v_lshl_add_u32 v16, v16, 23, v21
	v_or3_b32 v14, v14, v16, v20
	v_lshrrev_b32_e32 v20, 16, v14
.LBB754_614:
	s_or_b64 exec, exec, s[26:27]
.LBB754_615:
	s_or_b64 exec, exec, s[24:25]
.LBB754_616:
	s_or_b64 exec, exec, s[14:15]
	v_mov_b32_e32 v21, 0
	v_mov_b32_e32 v14, v11
	v_cmp_ne_u16_sdwa s[12:13], v11, v21 src0_sel:BYTE_0 src1_sel:DWORD
	v_mov_b32_e32 v22, 0
	s_and_saveexec_b64 s[14:15], s[12:13]
	s_cbranch_execz .LBB754_622
; %bb.617:
	s_movk_i32 s11, 0x80
	v_cmp_ne_u16_sdwa s[12:13], v11, s11 src0_sel:BYTE_0 src1_sel:DWORD
	v_mov_b32_e32 v22, 0xffff8000
	s_and_saveexec_b64 s[24:25], s[12:13]
	s_cbranch_execz .LBB754_621
; %bb.618:
	s_movk_i32 s11, 0x7f
	v_and_b32_e32 v16, 0x7f, v11
	v_cmp_ne_u32_e64 s[12:13], s11, v16
	v_mov_b32_e32 v22, 0x7f80
	s_and_saveexec_b64 s[26:27], s[12:13]
	s_cbranch_execz .LBB754_620
; %bb.619:
	v_and_b32_e32 v22, 7, v11
	v_ffbh_u32_e32 v22, v22
	v_min_u32_e32 v22, 32, v22
	v_lshrrev_b32_e32 v23, 3, v16
	v_subrev_u32_e32 v24, 28, v22
	v_sub_u32_e32 v22, 29, v22
	v_cmp_gt_u32_e64 s[12:13], 8, v16
	v_cndmask_b32_e64 v16, v23, v22, s[12:13]
	v_cndmask_b32_e64 v22, 0, v24, s[12:13]
	v_lshlrev_b64 v[22:23], v22, v[14:15]
	v_lshlrev_b32_e32 v15, 20, v22
	v_lshlrev_b32_e32 v22, 24, v14
	v_bfrev_b32_e32 v23, 60
	v_and_b32_e32 v15, 0x700000, v15
	v_and_b32_e32 v22, 0x80000000, v22
	v_lshl_add_u32 v16, v16, 23, v23
	v_or3_b32 v15, v22, v16, v15
	v_lshrrev_b32_e32 v22, 16, v15
.LBB754_620:
	s_or_b64 exec, exec, s[26:27]
.LBB754_621:
	s_or_b64 exec, exec, s[24:25]
.LBB754_622:
	s_or_b64 exec, exec, s[14:15]
	v_lshrrev_b16_e32 v16, 8, v14
	v_cmp_ne_u16_e64 s[12:13], 0, v16
	s_and_saveexec_b64 s[14:15], s[12:13]
	s_cbranch_execz .LBB754_628
; %bb.623:
	s_movk_i32 s11, 0x80
	v_cmp_ne_u16_e64 s[12:13], s11, v16
	v_mov_b32_e32 v21, 0xffff8000
	s_and_saveexec_b64 s[24:25], s[12:13]
	s_cbranch_execz .LBB754_627
; %bb.624:
	s_movk_i32 s11, 0x7f
	v_and_b32_e32 v15, 0x7f, v16
	v_cmp_ne_u32_e64 s[12:13], s11, v15
	v_mov_b32_e32 v21, 0x7f80
	s_and_saveexec_b64 s[26:27], s[12:13]
	s_cbranch_execz .LBB754_626
; %bb.625:
	v_and_b32_e32 v21, 7, v16
	v_ffbh_u32_e32 v24, v21
	v_min_u32_e32 v26, 32, v24
	v_subrev_u32_e32 v24, 28, v26
	v_lshlrev_b64 v[24:25], v24, v[16:17]
	v_lshrrev_b32_e32 v23, 3, v15
	v_sub_u32_e32 v16, 29, v26
	v_and_b32_e32 v24, 7, v24
	v_cmp_gt_u32_e64 s[12:13], 8, v15
	v_cndmask_b32_e64 v15, v23, v16, s[12:13]
	v_cndmask_b32_e64 v16, v21, v24, s[12:13]
	v_lshlrev_b32_e32 v14, 16, v14
	v_bfrev_b32_e32 v21, 60
	v_lshlrev_b32_e32 v16, 20, v16
	v_and_b32_e32 v14, 0x80000000, v14
	v_lshl_add_u32 v15, v15, 23, v21
	v_or3_b32 v14, v14, v15, v16
	v_lshrrev_b32_e32 v21, 16, v14
.LBB754_626:
	s_or_b64 exec, exec, s[26:27]
.LBB754_627:
	s_or_b64 exec, exec, s[24:25]
.LBB754_628:
	s_or_b64 exec, exec, s[14:15]
	s_movk_i32 s11, 0xff
	v_and_b32_sdwa v23, v11, s11 dst_sel:DWORD dst_unused:UNUSED_PAD src0_sel:WORD_1 src1_sel:DWORD
	v_lshrrev_b32_e32 v14, 16, v11
	v_cmp_ne_u16_e64 s[12:13], 0, v23
	v_mov_b32_e32 v15, 0
	v_mov_b32_e32 v16, 0
	s_and_saveexec_b64 s[14:15], s[12:13]
	s_cbranch_execz .LBB754_634
; %bb.629:
	s_movk_i32 s11, 0x80
	v_cmp_ne_u16_e64 s[12:13], s11, v23
	v_mov_b32_e32 v16, 0xffff8000
	s_and_saveexec_b64 s[24:25], s[12:13]
	s_cbranch_execz .LBB754_633
; %bb.630:
	v_bfe_u32 v23, v11, 16, 7
	s_movk_i32 s11, 0x7f
	v_cmp_ne_u32_e64 s[12:13], s11, v23
	v_mov_b32_e32 v16, 0x7f80
	s_and_saveexec_b64 s[26:27], s[12:13]
	s_cbranch_execz .LBB754_632
; %bb.631:
	v_and_b32_e32 v16, 7, v14
	v_ffbh_u32_e32 v24, v16
	v_min_u32_e32 v27, 32, v24
	v_subrev_u32_e32 v24, 28, v27
	v_lshlrev_b64 v[24:25], v24, v[14:15]
	v_lshrrev_b32_e32 v26, 3, v23
	v_sub_u32_e32 v14, 29, v27
	v_and_b32_e32 v24, 7, v24
	v_cmp_gt_u32_e64 s[12:13], 8, v23
	v_mov_b32_e32 v23, 24
	v_cndmask_b32_e64 v14, v26, v14, s[12:13]
	v_cndmask_b32_e64 v16, v16, v24, s[12:13]
	v_lshlrev_b32_sdwa v23, v23, v11 dst_sel:DWORD dst_unused:UNUSED_PAD src0_sel:DWORD src1_sel:WORD_1
	v_bfrev_b32_e32 v24, 60
	v_lshlrev_b32_e32 v16, 20, v16
	v_and_b32_e32 v23, 0x80000000, v23
	v_lshl_add_u32 v14, v14, 23, v24
	v_or3_b32 v14, v23, v14, v16
	v_lshrrev_b32_e32 v16, 16, v14
.LBB754_632:
	s_or_b64 exec, exec, s[26:27]
.LBB754_633:
	s_or_b64 exec, exec, s[24:25]
.LBB754_634:
	s_or_b64 exec, exec, s[14:15]
	s_mov_b32 s12, -1
	s_mov_b32 s13, 0xffffff
	v_cmp_lt_u64_e64 s[12:13], s[12:13], v[10:11]
	s_and_saveexec_b64 s[14:15], s[12:13]
	s_cbranch_execz .LBB754_640
; %bb.635:
	v_lshrrev_b32_e32 v10, 24, v11
	s_movk_i32 s11, 0x80
	v_cmp_ne_u32_e64 s[12:13], s11, v10
	v_mov_b32_e32 v15, 0xffff8000
	s_and_saveexec_b64 s[24:25], s[12:13]
	s_cbranch_execz .LBB754_639
; %bb.636:
	v_bfe_u32 v11, v11, 24, 7
	s_movk_i32 s11, 0x7f
	v_cmp_ne_u32_e64 s[12:13], s11, v11
	v_mov_b32_e32 v15, 0x7f80
	s_and_saveexec_b64 s[26:27], s[12:13]
	s_cbranch_execz .LBB754_638
; %bb.637:
	v_and_b32_e32 v23, 7, v10
	v_ffbh_u32_e32 v14, v23
	v_min_u32_e32 v25, 32, v14
	v_subrev_u32_e32 v14, 28, v25
	v_lshlrev_b64 v[14:15], v14, v[10:11]
	v_lshrrev_b32_e32 v24, 3, v11
	v_sub_u32_e32 v15, 29, v25
	v_and_b32_e32 v14, 7, v14
	v_cmp_gt_u32_e64 s[12:13], 8, v11
	v_cndmask_b32_e64 v11, v24, v15, s[12:13]
	v_cndmask_b32_e64 v14, v23, v14, s[12:13]
	v_lshlrev_b32_e32 v10, 24, v10
	v_bfrev_b32_e32 v15, 60
	v_lshlrev_b32_e32 v14, 20, v14
	v_and_b32_e32 v10, 0x80000000, v10
	v_lshl_add_u32 v11, v11, 23, v15
	v_or3_b32 v10, v10, v11, v14
	v_lshrrev_b32_e32 v15, 16, v10
.LBB754_638:
	s_or_b64 exec, exec, s[26:27]
.LBB754_639:
	s_or_b64 exec, exec, s[24:25]
.LBB754_640:
	s_or_b64 exec, exec, s[14:15]
	s_mov_b32 s11, 0x5040100
	v_perm_b32 v11, v20, v19, s11
	v_perm_b32 v10, v17, v18, s11
	;; [unrolled: 1-line block ×4, first 2 shown]
	v_mfma_f32_4x4x4bf16_1k a[0:3], v[2:3], v[10:11], a[0:3] cbsz:4 abid:12
	v_mov_b32_e32 v16, 0
	v_mfma_f32_4x4x4bf16_1k a[0:3], v[4:5], v[14:15], a[0:3] cbsz:4 abid:12
	v_mov_b32_e32 v15, 0
	v_cmp_ne_u16_sdwa s[12:13], v12, v15 src0_sel:BYTE_0 src1_sel:DWORD
	s_and_saveexec_b64 s[14:15], s[12:13]
	s_cbranch_execz .LBB754_646
; %bb.641:
	s_movk_i32 s11, 0x80
	v_cmp_ne_u16_sdwa s[12:13], v12, s11 src0_sel:BYTE_0 src1_sel:DWORD
	v_mov_b32_e32 v16, 0xffff8000
	s_and_saveexec_b64 s[24:25], s[12:13]
	s_cbranch_execz .LBB754_645
; %bb.642:
	s_movk_i32 s11, 0x7f
	v_and_b32_e32 v10, 0x7f, v12
	v_cmp_ne_u32_e64 s[12:13], s11, v10
	v_mov_b32_e32 v16, 0x7f80
	s_and_saveexec_b64 s[26:27], s[12:13]
	s_cbranch_execz .LBB754_644
; %bb.643:
	v_and_b32_e32 v11, 7, v12
	v_ffbh_u32_e32 v11, v11
	v_min_u32_e32 v11, 32, v11
	v_subrev_u32_e32 v16, 28, v11
	v_cmp_gt_u32_e64 s[12:13], 8, v10
	v_lshrrev_b32_e32 v14, 3, v10
	v_sub_u32_e32 v11, 29, v11
	v_cndmask_b32_e64 v10, 0, v16, s[12:13]
	v_cndmask_b32_e64 v14, v14, v11, s[12:13]
	v_lshlrev_b64 v[10:11], v10, v[12:13]
	v_lshlrev_b32_e32 v10, 20, v10
	v_lshlrev_b32_e32 v11, 24, v12
	v_bfrev_b32_e32 v16, 60
	v_and_b32_e32 v10, 0x700000, v10
	v_and_b32_e32 v11, 0x80000000, v11
	v_lshl_add_u32 v14, v14, 23, v16
	v_or3_b32 v10, v11, v14, v10
	v_lshrrev_b32_e32 v16, 16, v10
.LBB754_644:
	s_or_b64 exec, exec, s[26:27]
.LBB754_645:
	s_or_b64 exec, exec, s[24:25]
.LBB754_646:
	s_or_b64 exec, exec, s[14:15]
	v_lshrrev_b16_e32 v10, 8, v12
	v_cmp_ne_u16_e64 s[12:13], 0, v10
	s_and_saveexec_b64 s[14:15], s[12:13]
	s_cbranch_execz .LBB754_652
; %bb.647:
	s_movk_i32 s11, 0x80
	v_cmp_ne_u16_e64 s[12:13], s11, v10
	v_mov_b32_e32 v15, 0xffff8000
	s_and_saveexec_b64 s[24:25], s[12:13]
	s_cbranch_execz .LBB754_651
; %bb.648:
	s_movk_i32 s11, 0x7f
	v_and_b32_e32 v11, 0x7f, v10
	v_cmp_ne_u32_e64 s[12:13], s11, v11
	v_mov_b32_e32 v15, 0x7f80
	s_and_saveexec_b64 s[26:27], s[12:13]
	s_cbranch_execz .LBB754_650
; %bb.649:
	v_and_b32_e32 v17, 7, v10
	v_ffbh_u32_e32 v14, v17
	v_min_u32_e32 v19, 32, v14
	v_subrev_u32_e32 v14, 28, v19
	v_lshlrev_b64 v[14:15], v14, v[10:11]
	v_lshrrev_b32_e32 v18, 3, v11
	v_sub_u32_e32 v10, 29, v19
	v_and_b32_e32 v14, 7, v14
	v_cmp_gt_u32_e64 s[12:13], 8, v11
	v_cndmask_b32_e64 v10, v18, v10, s[12:13]
	v_cndmask_b32_e64 v11, v17, v14, s[12:13]
	v_lshlrev_b32_e32 v14, 16, v12
	v_bfrev_b32_e32 v15, 60
	v_lshlrev_b32_e32 v11, 20, v11
	v_and_b32_e32 v14, 0x80000000, v14
	v_lshl_add_u32 v10, v10, 23, v15
	v_or3_b32 v10, v14, v10, v11
	v_lshrrev_b32_e32 v15, 16, v10
.LBB754_650:
	s_or_b64 exec, exec, s[26:27]
.LBB754_651:
	s_or_b64 exec, exec, s[24:25]
.LBB754_652:
	s_or_b64 exec, exec, s[14:15]
	s_movk_i32 s11, 0xff
	v_and_b32_sdwa v14, v12, s11 dst_sel:DWORD dst_unused:UNUSED_PAD src0_sel:WORD_1 src1_sel:DWORD
	v_lshrrev_b32_e32 v10, 16, v12
	v_cmp_ne_u16_e64 s[12:13], 0, v14
	v_mov_b32_e32 v11, 0
	v_mov_b32_e32 v17, 0
	s_and_saveexec_b64 s[14:15], s[12:13]
	s_cbranch_execz .LBB754_658
; %bb.653:
	s_movk_i32 s11, 0x80
	v_cmp_ne_u16_e64 s[12:13], s11, v14
	v_mov_b32_e32 v17, 0xffff8000
	s_and_saveexec_b64 s[24:25], s[12:13]
	s_cbranch_execz .LBB754_657
; %bb.654:
	v_bfe_u32 v14, v12, 16, 7
	s_movk_i32 s11, 0x7f
	v_cmp_ne_u32_e64 s[12:13], s11, v14
	v_mov_b32_e32 v17, 0x7f80
	s_and_saveexec_b64 s[26:27], s[12:13]
	s_cbranch_execz .LBB754_656
; %bb.655:
	v_and_b32_e32 v17, 7, v10
	v_ffbh_u32_e32 v18, v17
	v_min_u32_e32 v21, 32, v18
	v_subrev_u32_e32 v18, 28, v21
	v_lshlrev_b64 v[18:19], v18, v[10:11]
	v_and_b32_e32 v18, 7, v18
	v_cmp_gt_u32_e64 s[12:13], 8, v14
	v_lshrrev_b32_e32 v20, 3, v14
	v_sub_u32_e32 v10, 29, v21
	v_cndmask_b32_e64 v14, v17, v18, s[12:13]
	v_mov_b32_e32 v17, 24
	v_cndmask_b32_e64 v10, v20, v10, s[12:13]
	v_lshlrev_b32_sdwa v17, v17, v12 dst_sel:DWORD dst_unused:UNUSED_PAD src0_sel:DWORD src1_sel:WORD_1
	v_bfrev_b32_e32 v18, 60
	v_lshlrev_b32_e32 v14, 20, v14
	v_and_b32_e32 v17, 0x80000000, v17
	v_lshl_add_u32 v10, v10, 23, v18
	v_or3_b32 v10, v17, v10, v14
	v_lshrrev_b32_e32 v17, 16, v10
.LBB754_656:
	s_or_b64 exec, exec, s[26:27]
.LBB754_657:
	s_or_b64 exec, exec, s[24:25]
.LBB754_658:
	s_or_b64 exec, exec, s[14:15]
	s_mov_b32 s11, 0xffffff
	v_cmp_lt_u32_e64 s[12:13], s11, v12
	v_mov_b32_e32 v18, 0
	s_and_saveexec_b64 s[14:15], s[12:13]
	s_cbranch_execz .LBB754_664
; %bb.659:
	v_lshrrev_b32_e32 v10, 24, v12
	s_movk_i32 s11, 0x80
	v_cmp_ne_u32_e64 s[12:13], s11, v10
	v_mov_b32_e32 v18, 0xffff8000
	s_and_saveexec_b64 s[24:25], s[12:13]
	s_cbranch_execz .LBB754_663
; %bb.660:
	v_bfe_u32 v14, v12, 24, 7
	s_movk_i32 s11, 0x7f
	v_cmp_ne_u32_e64 s[12:13], s11, v14
	v_mov_b32_e32 v18, 0x7f80
	s_and_saveexec_b64 s[26:27], s[12:13]
	s_cbranch_execz .LBB754_662
; %bb.661:
	v_and_b32_e32 v20, 7, v10
	v_ffbh_u32_e32 v18, v20
	v_min_u32_e32 v22, 32, v18
	v_subrev_u32_e32 v18, 28, v22
	v_lshlrev_b64 v[18:19], v18, v[10:11]
	v_lshrrev_b32_e32 v21, 3, v14
	v_sub_u32_e32 v19, 29, v22
	v_and_b32_e32 v18, 7, v18
	v_cmp_gt_u32_e64 s[12:13], 8, v14
	v_cndmask_b32_e64 v14, v21, v19, s[12:13]
	v_cndmask_b32_e64 v18, v20, v18, s[12:13]
	v_lshlrev_b32_e32 v10, 24, v10
	v_bfrev_b32_e32 v19, 60
	v_lshlrev_b32_e32 v18, 20, v18
	v_and_b32_e32 v10, 0x80000000, v10
	v_lshl_add_u32 v14, v14, 23, v19
	v_or3_b32 v10, v10, v14, v18
	v_lshrrev_b32_e32 v18, 16, v10
.LBB754_662:
	s_or_b64 exec, exec, s[26:27]
.LBB754_663:
	s_or_b64 exec, exec, s[24:25]
.LBB754_664:
	s_or_b64 exec, exec, s[14:15]
	v_mov_b32_e32 v19, 0
	v_mov_b32_e32 v10, v13
	v_cmp_ne_u16_sdwa s[12:13], v13, v19 src0_sel:BYTE_0 src1_sel:DWORD
	v_mov_b32_e32 v20, 0
	s_and_saveexec_b64 s[14:15], s[12:13]
	s_cbranch_execz .LBB754_670
; %bb.665:
	s_movk_i32 s11, 0x80
	v_cmp_ne_u16_sdwa s[12:13], v13, s11 src0_sel:BYTE_0 src1_sel:DWORD
	v_mov_b32_e32 v20, 0xffff8000
	s_and_saveexec_b64 s[24:25], s[12:13]
	s_cbranch_execz .LBB754_669
; %bb.666:
	s_movk_i32 s11, 0x7f
	v_and_b32_e32 v14, 0x7f, v13
	v_cmp_ne_u32_e64 s[12:13], s11, v14
	v_mov_b32_e32 v20, 0x7f80
	s_and_saveexec_b64 s[26:27], s[12:13]
	s_cbranch_execz .LBB754_668
; %bb.667:
	v_and_b32_e32 v20, 7, v13
	v_ffbh_u32_e32 v20, v20
	v_min_u32_e32 v20, 32, v20
	v_lshrrev_b32_e32 v21, 3, v14
	v_subrev_u32_e32 v22, 28, v20
	v_sub_u32_e32 v20, 29, v20
	v_cmp_gt_u32_e64 s[12:13], 8, v14
	v_cndmask_b32_e64 v14, v21, v20, s[12:13]
	v_cndmask_b32_e64 v20, 0, v22, s[12:13]
	v_lshlrev_b64 v[20:21], v20, v[10:11]
	v_lshlrev_b32_e32 v11, 20, v20
	v_lshlrev_b32_e32 v20, 24, v10
	v_bfrev_b32_e32 v21, 60
	v_and_b32_e32 v11, 0x700000, v11
	v_and_b32_e32 v20, 0x80000000, v20
	v_lshl_add_u32 v14, v14, 23, v21
	v_or3_b32 v11, v20, v14, v11
	v_lshrrev_b32_e32 v20, 16, v11
.LBB754_668:
	s_or_b64 exec, exec, s[26:27]
.LBB754_669:
	s_or_b64 exec, exec, s[24:25]
.LBB754_670:
	s_or_b64 exec, exec, s[14:15]
	v_lshrrev_b16_e32 v14, 8, v10
	v_cmp_ne_u16_e64 s[12:13], 0, v14
	s_and_saveexec_b64 s[14:15], s[12:13]
	s_cbranch_execz .LBB754_676
; %bb.671:
	s_movk_i32 s11, 0x80
	v_cmp_ne_u16_e64 s[12:13], s11, v14
	v_mov_b32_e32 v19, 0xffff8000
	s_and_saveexec_b64 s[24:25], s[12:13]
	s_cbranch_execz .LBB754_675
; %bb.672:
	s_movk_i32 s11, 0x7f
	v_and_b32_e32 v11, 0x7f, v14
	v_cmp_ne_u32_e64 s[12:13], s11, v11
	v_mov_b32_e32 v19, 0x7f80
	s_and_saveexec_b64 s[26:27], s[12:13]
	s_cbranch_execz .LBB754_674
; %bb.673:
	v_and_b32_e32 v19, 7, v14
	v_ffbh_u32_e32 v22, v19
	v_min_u32_e32 v24, 32, v22
	v_subrev_u32_e32 v22, 28, v24
	v_lshlrev_b64 v[22:23], v22, v[14:15]
	v_lshrrev_b32_e32 v21, 3, v11
	v_sub_u32_e32 v14, 29, v24
	v_and_b32_e32 v22, 7, v22
	v_cmp_gt_u32_e64 s[12:13], 8, v11
	v_cndmask_b32_e64 v11, v21, v14, s[12:13]
	v_cndmask_b32_e64 v14, v19, v22, s[12:13]
	v_lshlrev_b32_e32 v10, 16, v10
	v_bfrev_b32_e32 v19, 60
	v_lshlrev_b32_e32 v14, 20, v14
	v_and_b32_e32 v10, 0x80000000, v10
	v_lshl_add_u32 v11, v11, 23, v19
	v_or3_b32 v10, v10, v11, v14
	v_lshrrev_b32_e32 v19, 16, v10
.LBB754_674:
	s_or_b64 exec, exec, s[26:27]
.LBB754_675:
	s_or_b64 exec, exec, s[24:25]
.LBB754_676:
	s_or_b64 exec, exec, s[14:15]
	s_movk_i32 s11, 0xff
	v_and_b32_sdwa v21, v13, s11 dst_sel:DWORD dst_unused:UNUSED_PAD src0_sel:WORD_1 src1_sel:DWORD
	v_lshrrev_b32_e32 v10, 16, v13
	v_cmp_ne_u16_e64 s[12:13], 0, v21
	v_mov_b32_e32 v11, 0
	v_mov_b32_e32 v14, 0
	s_and_saveexec_b64 s[14:15], s[12:13]
	s_cbranch_execz .LBB754_682
; %bb.677:
	s_movk_i32 s11, 0x80
	v_cmp_ne_u16_e64 s[12:13], s11, v21
	v_mov_b32_e32 v14, 0xffff8000
	s_and_saveexec_b64 s[24:25], s[12:13]
	s_cbranch_execz .LBB754_681
; %bb.678:
	v_bfe_u32 v21, v13, 16, 7
	s_movk_i32 s11, 0x7f
	v_cmp_ne_u32_e64 s[12:13], s11, v21
	v_mov_b32_e32 v14, 0x7f80
	s_and_saveexec_b64 s[26:27], s[12:13]
	s_cbranch_execz .LBB754_680
; %bb.679:
	v_and_b32_e32 v14, 7, v10
	v_ffbh_u32_e32 v22, v14
	v_min_u32_e32 v25, 32, v22
	v_subrev_u32_e32 v22, 28, v25
	v_lshlrev_b64 v[22:23], v22, v[10:11]
	v_lshrrev_b32_e32 v24, 3, v21
	v_sub_u32_e32 v10, 29, v25
	v_and_b32_e32 v22, 7, v22
	v_cmp_gt_u32_e64 s[12:13], 8, v21
	v_mov_b32_e32 v21, 24
	v_cndmask_b32_e64 v10, v24, v10, s[12:13]
	v_cndmask_b32_e64 v14, v14, v22, s[12:13]
	v_lshlrev_b32_sdwa v21, v21, v13 dst_sel:DWORD dst_unused:UNUSED_PAD src0_sel:DWORD src1_sel:WORD_1
	v_bfrev_b32_e32 v22, 60
	v_lshlrev_b32_e32 v14, 20, v14
	v_and_b32_e32 v21, 0x80000000, v21
	v_lshl_add_u32 v10, v10, 23, v22
	v_or3_b32 v10, v21, v10, v14
	v_lshrrev_b32_e32 v14, 16, v10
.LBB754_680:
	s_or_b64 exec, exec, s[26:27]
.LBB754_681:
	s_or_b64 exec, exec, s[24:25]
.LBB754_682:
	s_or_b64 exec, exec, s[14:15]
	s_mov_b32 s12, -1
	s_mov_b32 s13, 0xffffff
	v_cmp_lt_u64_e64 s[12:13], s[12:13], v[12:13]
	s_and_saveexec_b64 s[14:15], s[12:13]
	s_cbranch_execz .LBB754_688
; %bb.683:
	v_lshrrev_b32_e32 v10, 24, v13
	s_movk_i32 s11, 0x80
	v_cmp_ne_u32_e64 s[12:13], s11, v10
	v_mov_b32_e32 v11, 0xffff8000
	s_and_saveexec_b64 s[24:25], s[12:13]
	s_cbranch_execz .LBB754_687
; %bb.684:
	v_bfe_u32 v12, v13, 24, 7
	s_movk_i32 s11, 0x7f
	v_cmp_ne_u32_e64 s[12:13], s11, v12
	v_mov_b32_e32 v11, 0x7f80
	s_and_saveexec_b64 s[26:27], s[12:13]
	s_cbranch_execz .LBB754_686
; %bb.685:
	v_and_b32_e32 v11, 7, v10
	v_ffbh_u32_e32 v21, v11
	v_min_u32_e32 v21, 32, v21
	v_subrev_u32_e32 v22, 28, v21
	v_lshlrev_b64 v[22:23], v22, v[10:11]
	v_lshrrev_b32_e32 v13, 3, v12
	v_sub_u32_e32 v21, 29, v21
	v_and_b32_e32 v22, 7, v22
	v_cmp_gt_u32_e64 s[12:13], 8, v12
	v_cndmask_b32_e64 v12, v13, v21, s[12:13]
	v_cndmask_b32_e64 v11, v11, v22, s[12:13]
	v_lshlrev_b32_e32 v10, 24, v10
	v_bfrev_b32_e32 v13, 60
	v_lshlrev_b32_e32 v11, 20, v11
	v_and_b32_e32 v10, 0x80000000, v10
	v_lshl_add_u32 v12, v12, 23, v13
	v_or3_b32 v10, v10, v12, v11
	v_lshrrev_b32_e32 v11, 16, v10
.LBB754_686:
	s_or_b64 exec, exec, s[26:27]
.LBB754_687:
	s_or_b64 exec, exec, s[24:25]
.LBB754_688:
	s_or_b64 exec, exec, s[14:15]
	s_mov_b32 s11, 0x5040100
	v_perm_b32 v13, v18, v17, s11
	v_perm_b32 v12, v15, v16, s11
	;; [unrolled: 1-line block ×4, first 2 shown]
	v_mfma_f32_4x4x4bf16_1k a[0:3], v[2:3], v[12:13], a[0:3] cbsz:4 abid:13
	v_mov_b32_e32 v13, 0
	v_mfma_f32_4x4x4bf16_1k a[0:3], v[4:5], v[10:11], a[0:3] cbsz:4 abid:13
	v_cmp_ne_u16_sdwa s[12:13], v6, v13 src0_sel:BYTE_0 src1_sel:DWORD
	v_mov_b32_e32 v14, 0
	s_and_saveexec_b64 s[14:15], s[12:13]
	s_cbranch_execz .LBB754_694
; %bb.689:
	s_movk_i32 s11, 0x80
	v_cmp_ne_u16_sdwa s[12:13], v6, s11 src0_sel:BYTE_0 src1_sel:DWORD
	v_mov_b32_e32 v14, 0xffff8000
	s_and_saveexec_b64 s[24:25], s[12:13]
	s_cbranch_execz .LBB754_693
; %bb.690:
	s_movk_i32 s11, 0x7f
	v_and_b32_e32 v10, 0x7f, v6
	v_cmp_ne_u32_e64 s[12:13], s11, v10
	v_mov_b32_e32 v14, 0x7f80
	s_and_saveexec_b64 s[26:27], s[12:13]
	s_cbranch_execz .LBB754_692
; %bb.691:
	v_and_b32_e32 v11, 7, v6
	v_ffbh_u32_e32 v11, v11
	v_min_u32_e32 v11, 32, v11
	v_subrev_u32_e32 v14, 28, v11
	v_cmp_gt_u32_e64 s[12:13], 8, v10
	v_lshrrev_b32_e32 v12, 3, v10
	v_sub_u32_e32 v11, 29, v11
	v_cndmask_b32_e64 v10, 0, v14, s[12:13]
	v_cndmask_b32_e64 v12, v12, v11, s[12:13]
	v_lshlrev_b64 v[10:11], v10, v[6:7]
	v_lshlrev_b32_e32 v10, 20, v10
	v_lshlrev_b32_e32 v11, 24, v6
	v_bfrev_b32_e32 v14, 60
	v_and_b32_e32 v10, 0x700000, v10
	v_and_b32_e32 v11, 0x80000000, v11
	v_lshl_add_u32 v12, v12, 23, v14
	v_or3_b32 v10, v11, v12, v10
	v_lshrrev_b32_e32 v14, 16, v10
.LBB754_692:
	s_or_b64 exec, exec, s[26:27]
.LBB754_693:
	s_or_b64 exec, exec, s[24:25]
.LBB754_694:
	s_or_b64 exec, exec, s[14:15]
	v_lshrrev_b16_e32 v10, 8, v6
	v_cmp_ne_u16_e64 s[12:13], 0, v10
	s_and_saveexec_b64 s[14:15], s[12:13]
	s_cbranch_execz .LBB754_700
; %bb.695:
	s_movk_i32 s11, 0x80
	v_cmp_ne_u16_e64 s[12:13], s11, v10
	v_mov_b32_e32 v13, 0xffff8000
	s_and_saveexec_b64 s[24:25], s[12:13]
	s_cbranch_execz .LBB754_699
; %bb.696:
	s_movk_i32 s11, 0x7f
	v_and_b32_e32 v11, 0x7f, v10
	v_cmp_ne_u32_e64 s[12:13], s11, v11
	v_mov_b32_e32 v13, 0x7f80
	s_and_saveexec_b64 s[26:27], s[12:13]
	s_cbranch_execz .LBB754_698
; %bb.697:
	v_and_b32_e32 v15, 7, v10
	v_ffbh_u32_e32 v12, v15
	v_min_u32_e32 v17, 32, v12
	v_subrev_u32_e32 v12, 28, v17
	v_lshlrev_b64 v[12:13], v12, v[10:11]
	v_lshrrev_b32_e32 v16, 3, v11
	v_sub_u32_e32 v10, 29, v17
	v_and_b32_e32 v12, 7, v12
	v_cmp_gt_u32_e64 s[12:13], 8, v11
	v_cndmask_b32_e64 v10, v16, v10, s[12:13]
	v_cndmask_b32_e64 v11, v15, v12, s[12:13]
	v_lshlrev_b32_e32 v12, 16, v6
	v_bfrev_b32_e32 v13, 60
	v_lshlrev_b32_e32 v11, 20, v11
	v_and_b32_e32 v12, 0x80000000, v12
	v_lshl_add_u32 v10, v10, 23, v13
	v_or3_b32 v10, v12, v10, v11
	v_lshrrev_b32_e32 v13, 16, v10
.LBB754_698:
	s_or_b64 exec, exec, s[26:27]
.LBB754_699:
	s_or_b64 exec, exec, s[24:25]
.LBB754_700:
	s_or_b64 exec, exec, s[14:15]
	s_movk_i32 s11, 0xff
	v_and_b32_sdwa v12, v6, s11 dst_sel:DWORD dst_unused:UNUSED_PAD src0_sel:WORD_1 src1_sel:DWORD
	v_lshrrev_b32_e32 v10, 16, v6
	v_cmp_ne_u16_e64 s[12:13], 0, v12
	v_mov_b32_e32 v11, 0
	v_mov_b32_e32 v15, 0
	s_and_saveexec_b64 s[14:15], s[12:13]
	s_cbranch_execz .LBB754_706
; %bb.701:
	s_movk_i32 s11, 0x80
	v_cmp_ne_u16_e64 s[12:13], s11, v12
	v_mov_b32_e32 v15, 0xffff8000
	s_and_saveexec_b64 s[24:25], s[12:13]
	s_cbranch_execz .LBB754_705
; %bb.702:
	v_bfe_u32 v12, v6, 16, 7
	s_movk_i32 s11, 0x7f
	v_cmp_ne_u32_e64 s[12:13], s11, v12
	v_mov_b32_e32 v15, 0x7f80
	s_and_saveexec_b64 s[26:27], s[12:13]
	s_cbranch_execz .LBB754_704
; %bb.703:
	v_and_b32_e32 v15, 7, v10
	v_ffbh_u32_e32 v16, v15
	v_min_u32_e32 v19, 32, v16
	v_subrev_u32_e32 v16, 28, v19
	v_lshlrev_b64 v[16:17], v16, v[10:11]
	v_and_b32_e32 v16, 7, v16
	v_cmp_gt_u32_e64 s[12:13], 8, v12
	v_lshrrev_b32_e32 v18, 3, v12
	v_sub_u32_e32 v10, 29, v19
	v_cndmask_b32_e64 v12, v15, v16, s[12:13]
	v_mov_b32_e32 v15, 24
	v_cndmask_b32_e64 v10, v18, v10, s[12:13]
	v_lshlrev_b32_sdwa v15, v15, v6 dst_sel:DWORD dst_unused:UNUSED_PAD src0_sel:DWORD src1_sel:WORD_1
	v_bfrev_b32_e32 v16, 60
	v_lshlrev_b32_e32 v12, 20, v12
	v_and_b32_e32 v15, 0x80000000, v15
	v_lshl_add_u32 v10, v10, 23, v16
	v_or3_b32 v10, v15, v10, v12
	v_lshrrev_b32_e32 v15, 16, v10
.LBB754_704:
	s_or_b64 exec, exec, s[26:27]
.LBB754_705:
	s_or_b64 exec, exec, s[24:25]
.LBB754_706:
	s_or_b64 exec, exec, s[14:15]
	s_mov_b32 s11, 0xffffff
	v_cmp_lt_u32_e64 s[12:13], s11, v6
	v_mov_b32_e32 v16, 0
	s_and_saveexec_b64 s[14:15], s[12:13]
	s_cbranch_execz .LBB754_712
; %bb.707:
	v_lshrrev_b32_e32 v10, 24, v6
	s_movk_i32 s11, 0x80
	v_cmp_ne_u32_e64 s[12:13], s11, v10
	v_mov_b32_e32 v16, 0xffff8000
	s_and_saveexec_b64 s[24:25], s[12:13]
	s_cbranch_execz .LBB754_711
; %bb.708:
	v_bfe_u32 v12, v6, 24, 7
	s_movk_i32 s11, 0x7f
	v_cmp_ne_u32_e64 s[12:13], s11, v12
	v_mov_b32_e32 v16, 0x7f80
	s_and_saveexec_b64 s[26:27], s[12:13]
	s_cbranch_execz .LBB754_710
; %bb.709:
	v_and_b32_e32 v18, 7, v10
	v_ffbh_u32_e32 v16, v18
	v_min_u32_e32 v20, 32, v16
	v_subrev_u32_e32 v16, 28, v20
	v_lshlrev_b64 v[16:17], v16, v[10:11]
	v_lshrrev_b32_e32 v19, 3, v12
	v_sub_u32_e32 v17, 29, v20
	v_and_b32_e32 v16, 7, v16
	v_cmp_gt_u32_e64 s[12:13], 8, v12
	v_cndmask_b32_e64 v12, v19, v17, s[12:13]
	v_cndmask_b32_e64 v16, v18, v16, s[12:13]
	v_lshlrev_b32_e32 v10, 24, v10
	v_bfrev_b32_e32 v17, 60
	v_lshlrev_b32_e32 v16, 20, v16
	v_and_b32_e32 v10, 0x80000000, v10
	v_lshl_add_u32 v12, v12, 23, v17
	v_or3_b32 v10, v10, v12, v16
	v_lshrrev_b32_e32 v16, 16, v10
.LBB754_710:
	s_or_b64 exec, exec, s[26:27]
.LBB754_711:
	s_or_b64 exec, exec, s[24:25]
.LBB754_712:
	s_or_b64 exec, exec, s[14:15]
	v_mov_b32_e32 v17, 0
	v_mov_b32_e32 v10, v7
	v_cmp_ne_u16_sdwa s[12:13], v7, v17 src0_sel:BYTE_0 src1_sel:DWORD
	v_mov_b32_e32 v18, 0
	s_and_saveexec_b64 s[14:15], s[12:13]
	s_cbranch_execz .LBB754_718
; %bb.713:
	s_movk_i32 s11, 0x80
	v_cmp_ne_u16_sdwa s[12:13], v7, s11 src0_sel:BYTE_0 src1_sel:DWORD
	v_mov_b32_e32 v18, 0xffff8000
	s_and_saveexec_b64 s[24:25], s[12:13]
	s_cbranch_execz .LBB754_717
; %bb.714:
	s_movk_i32 s11, 0x7f
	v_and_b32_e32 v12, 0x7f, v7
	v_cmp_ne_u32_e64 s[12:13], s11, v12
	v_mov_b32_e32 v18, 0x7f80
	s_and_saveexec_b64 s[26:27], s[12:13]
	s_cbranch_execz .LBB754_716
; %bb.715:
	v_and_b32_e32 v18, 7, v7
	v_ffbh_u32_e32 v18, v18
	v_min_u32_e32 v18, 32, v18
	v_lshrrev_b32_e32 v19, 3, v12
	v_subrev_u32_e32 v20, 28, v18
	v_sub_u32_e32 v18, 29, v18
	v_cmp_gt_u32_e64 s[12:13], 8, v12
	v_cndmask_b32_e64 v12, v19, v18, s[12:13]
	v_cndmask_b32_e64 v18, 0, v20, s[12:13]
	v_lshlrev_b64 v[18:19], v18, v[10:11]
	v_lshlrev_b32_e32 v11, 20, v18
	v_lshlrev_b32_e32 v18, 24, v10
	v_bfrev_b32_e32 v19, 60
	v_and_b32_e32 v11, 0x700000, v11
	v_and_b32_e32 v18, 0x80000000, v18
	v_lshl_add_u32 v12, v12, 23, v19
	v_or3_b32 v11, v18, v12, v11
	v_lshrrev_b32_e32 v18, 16, v11
.LBB754_716:
	s_or_b64 exec, exec, s[26:27]
.LBB754_717:
	s_or_b64 exec, exec, s[24:25]
.LBB754_718:
	s_or_b64 exec, exec, s[14:15]
	v_lshrrev_b16_e32 v12, 8, v10
	v_cmp_ne_u16_e64 s[12:13], 0, v12
	s_and_saveexec_b64 s[14:15], s[12:13]
	s_cbranch_execz .LBB754_724
; %bb.719:
	s_movk_i32 s11, 0x80
	v_cmp_ne_u16_e64 s[12:13], s11, v12
	v_mov_b32_e32 v17, 0xffff8000
	s_and_saveexec_b64 s[24:25], s[12:13]
	s_cbranch_execz .LBB754_723
; %bb.720:
	s_movk_i32 s11, 0x7f
	v_and_b32_e32 v11, 0x7f, v12
	v_cmp_ne_u32_e64 s[12:13], s11, v11
	v_mov_b32_e32 v17, 0x7f80
	s_and_saveexec_b64 s[26:27], s[12:13]
	s_cbranch_execz .LBB754_722
; %bb.721:
	v_and_b32_e32 v17, 7, v12
	v_ffbh_u32_e32 v20, v17
	v_min_u32_e32 v22, 32, v20
	v_subrev_u32_e32 v20, 28, v22
	v_lshlrev_b64 v[20:21], v20, v[12:13]
	v_lshrrev_b32_e32 v19, 3, v11
	v_sub_u32_e32 v12, 29, v22
	v_and_b32_e32 v20, 7, v20
	v_cmp_gt_u32_e64 s[12:13], 8, v11
	v_cndmask_b32_e64 v11, v19, v12, s[12:13]
	v_cndmask_b32_e64 v12, v17, v20, s[12:13]
	v_lshlrev_b32_e32 v10, 16, v10
	v_bfrev_b32_e32 v17, 60
	v_lshlrev_b32_e32 v12, 20, v12
	v_and_b32_e32 v10, 0x80000000, v10
	v_lshl_add_u32 v11, v11, 23, v17
	v_or3_b32 v10, v10, v11, v12
	v_lshrrev_b32_e32 v17, 16, v10
.LBB754_722:
	s_or_b64 exec, exec, s[26:27]
.LBB754_723:
	s_or_b64 exec, exec, s[24:25]
.LBB754_724:
	s_or_b64 exec, exec, s[14:15]
	s_movk_i32 s11, 0xff
	v_and_b32_sdwa v19, v7, s11 dst_sel:DWORD dst_unused:UNUSED_PAD src0_sel:WORD_1 src1_sel:DWORD
	v_lshrrev_b32_e32 v10, 16, v7
	v_cmp_ne_u16_e64 s[12:13], 0, v19
	v_mov_b32_e32 v11, 0
	v_mov_b32_e32 v12, 0
	s_and_saveexec_b64 s[14:15], s[12:13]
	s_cbranch_execz .LBB754_730
; %bb.725:
	s_movk_i32 s11, 0x80
	v_cmp_ne_u16_e64 s[12:13], s11, v19
	v_mov_b32_e32 v12, 0xffff8000
	s_and_saveexec_b64 s[24:25], s[12:13]
	s_cbranch_execz .LBB754_729
; %bb.726:
	v_bfe_u32 v19, v7, 16, 7
	s_movk_i32 s11, 0x7f
	v_cmp_ne_u32_e64 s[12:13], s11, v19
	v_mov_b32_e32 v12, 0x7f80
	s_and_saveexec_b64 s[26:27], s[12:13]
	s_cbranch_execz .LBB754_728
; %bb.727:
	v_and_b32_e32 v12, 7, v10
	v_ffbh_u32_e32 v20, v12
	v_min_u32_e32 v23, 32, v20
	v_subrev_u32_e32 v20, 28, v23
	v_lshlrev_b64 v[20:21], v20, v[10:11]
	v_lshrrev_b32_e32 v22, 3, v19
	v_sub_u32_e32 v10, 29, v23
	v_and_b32_e32 v20, 7, v20
	v_cmp_gt_u32_e64 s[12:13], 8, v19
	v_mov_b32_e32 v19, 24
	v_cndmask_b32_e64 v10, v22, v10, s[12:13]
	v_cndmask_b32_e64 v12, v12, v20, s[12:13]
	v_lshlrev_b32_sdwa v19, v19, v7 dst_sel:DWORD dst_unused:UNUSED_PAD src0_sel:DWORD src1_sel:WORD_1
	v_bfrev_b32_e32 v20, 60
	v_lshlrev_b32_e32 v12, 20, v12
	v_and_b32_e32 v19, 0x80000000, v19
	v_lshl_add_u32 v10, v10, 23, v20
	v_or3_b32 v10, v19, v10, v12
	v_lshrrev_b32_e32 v12, 16, v10
.LBB754_728:
	s_or_b64 exec, exec, s[26:27]
.LBB754_729:
	s_or_b64 exec, exec, s[24:25]
.LBB754_730:
	s_or_b64 exec, exec, s[14:15]
	s_mov_b32 s12, -1
	s_mov_b32 s13, 0xffffff
	v_cmp_lt_u64_e64 s[12:13], s[12:13], v[6:7]
	s_and_saveexec_b64 s[14:15], s[12:13]
	s_cbranch_execz .LBB754_736
; %bb.731:
	v_lshrrev_b32_e32 v6, 24, v7
	s_movk_i32 s11, 0x80
	v_cmp_ne_u32_e64 s[12:13], s11, v6
	v_mov_b32_e32 v11, 0xffff8000
	s_and_saveexec_b64 s[24:25], s[12:13]
	s_cbranch_execz .LBB754_735
; %bb.732:
	v_bfe_u32 v7, v7, 24, 7
	s_movk_i32 s11, 0x7f
	v_cmp_ne_u32_e64 s[12:13], s11, v7
	v_mov_b32_e32 v11, 0x7f80
	s_and_saveexec_b64 s[26:27], s[12:13]
	s_cbranch_execz .LBB754_734
; %bb.733:
	v_and_b32_e32 v19, 7, v6
	v_ffbh_u32_e32 v10, v19
	v_min_u32_e32 v21, 32, v10
	v_subrev_u32_e32 v10, 28, v21
	v_lshlrev_b64 v[10:11], v10, v[6:7]
	v_lshrrev_b32_e32 v20, 3, v7
	v_sub_u32_e32 v11, 29, v21
	v_and_b32_e32 v10, 7, v10
	v_cmp_gt_u32_e64 s[12:13], 8, v7
	v_cndmask_b32_e64 v7, v20, v11, s[12:13]
	v_cndmask_b32_e64 v10, v19, v10, s[12:13]
	v_lshlrev_b32_e32 v6, 24, v6
	v_bfrev_b32_e32 v11, 60
	v_lshlrev_b32_e32 v10, 20, v10
	v_and_b32_e32 v6, 0x80000000, v6
	v_lshl_add_u32 v7, v7, 23, v11
	v_or3_b32 v6, v6, v7, v10
	v_lshrrev_b32_e32 v11, 16, v6
.LBB754_734:
	s_or_b64 exec, exec, s[26:27]
.LBB754_735:
	s_or_b64 exec, exec, s[24:25]
.LBB754_736:
	s_or_b64 exec, exec, s[14:15]
	s_mov_b32 s11, 0x5040100
	v_perm_b32 v7, v16, v15, s11
	v_perm_b32 v6, v13, v14, s11
	;; [unrolled: 1-line block ×4, first 2 shown]
	v_mfma_f32_4x4x4bf16_1k a[0:3], v[2:3], v[6:7], a[0:3] cbsz:4 abid:14
	v_mov_b32_e32 v12, 0
	v_mfma_f32_4x4x4bf16_1k a[0:3], v[4:5], v[10:11], a[0:3] cbsz:4 abid:14
	v_mov_b32_e32 v11, 0
	v_cmp_ne_u16_sdwa s[12:13], v8, v11 src0_sel:BYTE_0 src1_sel:DWORD
	s_and_saveexec_b64 s[14:15], s[12:13]
	s_cbranch_execz .LBB754_742
; %bb.737:
	s_movk_i32 s11, 0x80
	v_cmp_ne_u16_sdwa s[12:13], v8, s11 src0_sel:BYTE_0 src1_sel:DWORD
	v_mov_b32_e32 v12, 0xffff8000
	s_and_saveexec_b64 s[24:25], s[12:13]
	s_cbranch_execz .LBB754_741
; %bb.738:
	s_movk_i32 s11, 0x7f
	v_and_b32_e32 v6, 0x7f, v8
	v_cmp_ne_u32_e64 s[12:13], s11, v6
	v_mov_b32_e32 v12, 0x7f80
	s_and_saveexec_b64 s[26:27], s[12:13]
	s_cbranch_execz .LBB754_740
; %bb.739:
	v_and_b32_e32 v7, 7, v8
	v_ffbh_u32_e32 v7, v7
	v_min_u32_e32 v7, 32, v7
	v_subrev_u32_e32 v12, 28, v7
	v_cmp_gt_u32_e64 s[12:13], 8, v6
	v_lshrrev_b32_e32 v10, 3, v6
	v_sub_u32_e32 v7, 29, v7
	v_cndmask_b32_e64 v6, 0, v12, s[12:13]
	v_cndmask_b32_e64 v10, v10, v7, s[12:13]
	v_lshlrev_b64 v[6:7], v6, v[8:9]
	v_lshlrev_b32_e32 v6, 20, v6
	v_lshlrev_b32_e32 v7, 24, v8
	v_bfrev_b32_e32 v12, 60
	v_and_b32_e32 v6, 0x700000, v6
	v_and_b32_e32 v7, 0x80000000, v7
	v_lshl_add_u32 v10, v10, 23, v12
	v_or3_b32 v6, v7, v10, v6
	v_lshrrev_b32_e32 v12, 16, v6
.LBB754_740:
	s_or_b64 exec, exec, s[26:27]
.LBB754_741:
	s_or_b64 exec, exec, s[24:25]
.LBB754_742:
	s_or_b64 exec, exec, s[14:15]
	v_lshrrev_b16_e32 v6, 8, v8
	v_cmp_ne_u16_e64 s[12:13], 0, v6
	s_and_saveexec_b64 s[14:15], s[12:13]
	s_cbranch_execz .LBB754_748
; %bb.743:
	s_movk_i32 s11, 0x80
	v_cmp_ne_u16_e64 s[12:13], s11, v6
	v_mov_b32_e32 v11, 0xffff8000
	s_and_saveexec_b64 s[24:25], s[12:13]
	s_cbranch_execz .LBB754_747
; %bb.744:
	s_movk_i32 s11, 0x7f
	v_and_b32_e32 v7, 0x7f, v6
	v_cmp_ne_u32_e64 s[12:13], s11, v7
	v_mov_b32_e32 v11, 0x7f80
	s_and_saveexec_b64 s[26:27], s[12:13]
	s_cbranch_execz .LBB754_746
; %bb.745:
	v_and_b32_e32 v13, 7, v6
	v_ffbh_u32_e32 v10, v13
	v_min_u32_e32 v15, 32, v10
	v_subrev_u32_e32 v10, 28, v15
	v_lshlrev_b64 v[10:11], v10, v[6:7]
	v_lshrrev_b32_e32 v14, 3, v7
	v_sub_u32_e32 v6, 29, v15
	v_and_b32_e32 v10, 7, v10
	v_cmp_gt_u32_e64 s[12:13], 8, v7
	v_cndmask_b32_e64 v6, v14, v6, s[12:13]
	v_cndmask_b32_e64 v7, v13, v10, s[12:13]
	v_lshlrev_b32_e32 v10, 16, v8
	v_bfrev_b32_e32 v11, 60
	v_lshlrev_b32_e32 v7, 20, v7
	v_and_b32_e32 v10, 0x80000000, v10
	v_lshl_add_u32 v6, v6, 23, v11
	v_or3_b32 v6, v10, v6, v7
	v_lshrrev_b32_e32 v11, 16, v6
.LBB754_746:
	s_or_b64 exec, exec, s[26:27]
.LBB754_747:
	s_or_b64 exec, exec, s[24:25]
.LBB754_748:
	s_or_b64 exec, exec, s[14:15]
	s_movk_i32 s11, 0xff
	v_and_b32_sdwa v10, v8, s11 dst_sel:DWORD dst_unused:UNUSED_PAD src0_sel:WORD_1 src1_sel:DWORD
	v_lshrrev_b32_e32 v6, 16, v8
	v_cmp_ne_u16_e64 s[12:13], 0, v10
	v_mov_b32_e32 v7, 0
	v_mov_b32_e32 v13, 0
	s_and_saveexec_b64 s[14:15], s[12:13]
	s_cbranch_execz .LBB754_754
; %bb.749:
	s_movk_i32 s11, 0x80
	v_cmp_ne_u16_e64 s[12:13], s11, v10
	v_mov_b32_e32 v13, 0xffff8000
	s_and_saveexec_b64 s[24:25], s[12:13]
	s_cbranch_execz .LBB754_753
; %bb.750:
	v_bfe_u32 v10, v8, 16, 7
	s_movk_i32 s11, 0x7f
	v_cmp_ne_u32_e64 s[12:13], s11, v10
	v_mov_b32_e32 v13, 0x7f80
	s_and_saveexec_b64 s[26:27], s[12:13]
	s_cbranch_execz .LBB754_752
; %bb.751:
	v_and_b32_e32 v13, 7, v6
	v_ffbh_u32_e32 v14, v13
	v_min_u32_e32 v17, 32, v14
	v_subrev_u32_e32 v14, 28, v17
	v_lshlrev_b64 v[14:15], v14, v[6:7]
	v_and_b32_e32 v14, 7, v14
	v_cmp_gt_u32_e64 s[12:13], 8, v10
	v_lshrrev_b32_e32 v16, 3, v10
	v_sub_u32_e32 v6, 29, v17
	v_cndmask_b32_e64 v10, v13, v14, s[12:13]
	v_mov_b32_e32 v13, 24
	v_cndmask_b32_e64 v6, v16, v6, s[12:13]
	v_lshlrev_b32_sdwa v13, v13, v8 dst_sel:DWORD dst_unused:UNUSED_PAD src0_sel:DWORD src1_sel:WORD_1
	v_bfrev_b32_e32 v14, 60
	v_lshlrev_b32_e32 v10, 20, v10
	v_and_b32_e32 v13, 0x80000000, v13
	v_lshl_add_u32 v6, v6, 23, v14
	v_or3_b32 v6, v13, v6, v10
	v_lshrrev_b32_e32 v13, 16, v6
.LBB754_752:
	s_or_b64 exec, exec, s[26:27]
.LBB754_753:
	s_or_b64 exec, exec, s[24:25]
.LBB754_754:
	s_or_b64 exec, exec, s[14:15]
	s_mov_b32 s11, 0xffffff
	v_cmp_lt_u32_e64 s[12:13], s11, v8
	v_mov_b32_e32 v14, 0
	s_and_saveexec_b64 s[14:15], s[12:13]
	s_cbranch_execz .LBB754_760
; %bb.755:
	v_lshrrev_b32_e32 v6, 24, v8
	s_movk_i32 s11, 0x80
	v_cmp_ne_u32_e64 s[12:13], s11, v6
	v_mov_b32_e32 v14, 0xffff8000
	s_and_saveexec_b64 s[24:25], s[12:13]
	s_cbranch_execz .LBB754_759
; %bb.756:
	v_bfe_u32 v10, v8, 24, 7
	s_movk_i32 s11, 0x7f
	v_cmp_ne_u32_e64 s[12:13], s11, v10
	v_mov_b32_e32 v14, 0x7f80
	s_and_saveexec_b64 s[26:27], s[12:13]
	s_cbranch_execz .LBB754_758
; %bb.757:
	v_and_b32_e32 v16, 7, v6
	v_ffbh_u32_e32 v14, v16
	v_min_u32_e32 v18, 32, v14
	v_subrev_u32_e32 v14, 28, v18
	v_lshlrev_b64 v[14:15], v14, v[6:7]
	v_lshrrev_b32_e32 v17, 3, v10
	v_sub_u32_e32 v15, 29, v18
	v_and_b32_e32 v14, 7, v14
	v_cmp_gt_u32_e64 s[12:13], 8, v10
	v_cndmask_b32_e64 v10, v17, v15, s[12:13]
	v_cndmask_b32_e64 v14, v16, v14, s[12:13]
	v_lshlrev_b32_e32 v6, 24, v6
	v_bfrev_b32_e32 v15, 60
	v_lshlrev_b32_e32 v14, 20, v14
	v_and_b32_e32 v6, 0x80000000, v6
	v_lshl_add_u32 v10, v10, 23, v15
	v_or3_b32 v6, v6, v10, v14
	v_lshrrev_b32_e32 v14, 16, v6
.LBB754_758:
	s_or_b64 exec, exec, s[26:27]
.LBB754_759:
	s_or_b64 exec, exec, s[24:25]
.LBB754_760:
	s_or_b64 exec, exec, s[14:15]
	v_mov_b32_e32 v15, 0
	v_mov_b32_e32 v6, v9
	v_cmp_ne_u16_sdwa s[12:13], v9, v15 src0_sel:BYTE_0 src1_sel:DWORD
	v_mov_b32_e32 v16, 0
	s_and_saveexec_b64 s[14:15], s[12:13]
	s_cbranch_execz .LBB754_766
; %bb.761:
	s_movk_i32 s11, 0x80
	v_cmp_ne_u16_sdwa s[12:13], v9, s11 src0_sel:BYTE_0 src1_sel:DWORD
	v_mov_b32_e32 v16, 0xffff8000
	s_and_saveexec_b64 s[24:25], s[12:13]
	s_cbranch_execz .LBB754_765
; %bb.762:
	s_movk_i32 s11, 0x7f
	v_and_b32_e32 v10, 0x7f, v9
	v_cmp_ne_u32_e64 s[12:13], s11, v10
	v_mov_b32_e32 v16, 0x7f80
	s_and_saveexec_b64 s[26:27], s[12:13]
	s_cbranch_execz .LBB754_764
; %bb.763:
	v_and_b32_e32 v16, 7, v9
	v_ffbh_u32_e32 v16, v16
	v_min_u32_e32 v16, 32, v16
	v_lshrrev_b32_e32 v17, 3, v10
	v_subrev_u32_e32 v18, 28, v16
	v_sub_u32_e32 v16, 29, v16
	v_cmp_gt_u32_e64 s[12:13], 8, v10
	v_cndmask_b32_e64 v10, v17, v16, s[12:13]
	v_cndmask_b32_e64 v16, 0, v18, s[12:13]
	v_lshlrev_b64 v[16:17], v16, v[6:7]
	v_lshlrev_b32_e32 v7, 20, v16
	v_lshlrev_b32_e32 v16, 24, v6
	v_bfrev_b32_e32 v17, 60
	v_and_b32_e32 v7, 0x700000, v7
	v_and_b32_e32 v16, 0x80000000, v16
	v_lshl_add_u32 v10, v10, 23, v17
	v_or3_b32 v7, v16, v10, v7
	v_lshrrev_b32_e32 v16, 16, v7
.LBB754_764:
	s_or_b64 exec, exec, s[26:27]
.LBB754_765:
	s_or_b64 exec, exec, s[24:25]
.LBB754_766:
	s_or_b64 exec, exec, s[14:15]
	v_lshrrev_b16_e32 v10, 8, v6
	v_cmp_ne_u16_e64 s[12:13], 0, v10
	s_and_saveexec_b64 s[14:15], s[12:13]
	s_cbranch_execz .LBB754_772
; %bb.767:
	s_movk_i32 s11, 0x80
	v_cmp_ne_u16_e64 s[12:13], s11, v10
	v_mov_b32_e32 v15, 0xffff8000
	s_and_saveexec_b64 s[24:25], s[12:13]
	s_cbranch_execz .LBB754_771
; %bb.768:
	s_movk_i32 s11, 0x7f
	v_and_b32_e32 v7, 0x7f, v10
	v_cmp_ne_u32_e64 s[12:13], s11, v7
	v_mov_b32_e32 v15, 0x7f80
	s_and_saveexec_b64 s[26:27], s[12:13]
	s_cbranch_execz .LBB754_770
; %bb.769:
	v_and_b32_e32 v15, 7, v10
	v_ffbh_u32_e32 v18, v15
	v_min_u32_e32 v20, 32, v18
	v_subrev_u32_e32 v18, 28, v20
	v_lshlrev_b64 v[18:19], v18, v[10:11]
	v_lshrrev_b32_e32 v17, 3, v7
	v_sub_u32_e32 v10, 29, v20
	v_and_b32_e32 v18, 7, v18
	v_cmp_gt_u32_e64 s[12:13], 8, v7
	v_cndmask_b32_e64 v7, v17, v10, s[12:13]
	v_cndmask_b32_e64 v10, v15, v18, s[12:13]
	v_lshlrev_b32_e32 v6, 16, v6
	v_bfrev_b32_e32 v15, 60
	v_lshlrev_b32_e32 v10, 20, v10
	v_and_b32_e32 v6, 0x80000000, v6
	v_lshl_add_u32 v7, v7, 23, v15
	v_or3_b32 v6, v6, v7, v10
	v_lshrrev_b32_e32 v15, 16, v6
.LBB754_770:
	s_or_b64 exec, exec, s[26:27]
.LBB754_771:
	s_or_b64 exec, exec, s[24:25]
.LBB754_772:
	s_or_b64 exec, exec, s[14:15]
	s_movk_i32 s11, 0xff
	v_and_b32_sdwa v17, v9, s11 dst_sel:DWORD dst_unused:UNUSED_PAD src0_sel:WORD_1 src1_sel:DWORD
	v_lshrrev_b32_e32 v6, 16, v9
	v_cmp_ne_u16_e64 s[12:13], 0, v17
	v_mov_b32_e32 v7, 0
	v_mov_b32_e32 v10, 0
	s_and_saveexec_b64 s[14:15], s[12:13]
	s_cbranch_execz .LBB754_778
; %bb.773:
	s_movk_i32 s11, 0x80
	v_cmp_ne_u16_e64 s[12:13], s11, v17
	v_mov_b32_e32 v10, 0xffff8000
	s_and_saveexec_b64 s[24:25], s[12:13]
	s_cbranch_execz .LBB754_777
; %bb.774:
	v_bfe_u32 v17, v9, 16, 7
	s_movk_i32 s11, 0x7f
	v_cmp_ne_u32_e64 s[12:13], s11, v17
	v_mov_b32_e32 v10, 0x7f80
	s_and_saveexec_b64 s[26:27], s[12:13]
	s_cbranch_execz .LBB754_776
; %bb.775:
	v_and_b32_e32 v10, 7, v6
	v_ffbh_u32_e32 v18, v10
	v_min_u32_e32 v21, 32, v18
	v_subrev_u32_e32 v18, 28, v21
	v_lshlrev_b64 v[18:19], v18, v[6:7]
	v_lshrrev_b32_e32 v20, 3, v17
	v_sub_u32_e32 v6, 29, v21
	v_and_b32_e32 v18, 7, v18
	v_cmp_gt_u32_e64 s[12:13], 8, v17
	v_mov_b32_e32 v17, 24
	v_cndmask_b32_e64 v6, v20, v6, s[12:13]
	v_cndmask_b32_e64 v10, v10, v18, s[12:13]
	v_lshlrev_b32_sdwa v17, v17, v9 dst_sel:DWORD dst_unused:UNUSED_PAD src0_sel:DWORD src1_sel:WORD_1
	v_bfrev_b32_e32 v18, 60
	v_lshlrev_b32_e32 v10, 20, v10
	v_and_b32_e32 v17, 0x80000000, v17
	v_lshl_add_u32 v6, v6, 23, v18
	v_or3_b32 v6, v17, v6, v10
	v_lshrrev_b32_e32 v10, 16, v6
.LBB754_776:
	s_or_b64 exec, exec, s[26:27]
.LBB754_777:
	s_or_b64 exec, exec, s[24:25]
.LBB754_778:
	s_or_b64 exec, exec, s[14:15]
	s_mov_b32 s12, -1
	s_mov_b32 s13, 0xffffff
	v_cmp_lt_u64_e64 s[12:13], s[12:13], v[8:9]
	s_and_saveexec_b64 s[14:15], s[12:13]
	s_cbranch_execz .LBB754_784
; %bb.779:
	v_lshrrev_b32_e32 v6, 24, v9
	s_movk_i32 s11, 0x80
	v_cmp_ne_u32_e64 s[12:13], s11, v6
	v_mov_b32_e32 v7, 0xffff8000
	s_and_saveexec_b64 s[24:25], s[12:13]
	s_cbranch_execz .LBB754_783
; %bb.780:
	v_bfe_u32 v8, v9, 24, 7
	s_movk_i32 s11, 0x7f
	v_cmp_ne_u32_e64 s[12:13], s11, v8
	v_mov_b32_e32 v7, 0x7f80
	s_and_saveexec_b64 s[26:27], s[12:13]
	s_cbranch_execz .LBB754_782
; %bb.781:
	v_and_b32_e32 v7, 7, v6
	v_ffbh_u32_e32 v17, v7
	v_min_u32_e32 v17, 32, v17
	v_subrev_u32_e32 v18, 28, v17
	v_lshlrev_b64 v[18:19], v18, v[6:7]
	v_lshrrev_b32_e32 v9, 3, v8
	v_sub_u32_e32 v17, 29, v17
	v_and_b32_e32 v18, 7, v18
	v_cmp_gt_u32_e64 s[12:13], 8, v8
	v_cndmask_b32_e64 v8, v9, v17, s[12:13]
	v_cndmask_b32_e64 v7, v7, v18, s[12:13]
	v_lshlrev_b32_e32 v6, 24, v6
	v_bfrev_b32_e32 v9, 60
	v_lshlrev_b32_e32 v7, 20, v7
	v_and_b32_e32 v6, 0x80000000, v6
	v_lshl_add_u32 v8, v8, 23, v9
	v_or3_b32 v6, v6, v8, v7
	v_lshrrev_b32_e32 v7, 16, v6
.LBB754_782:
	s_or_b64 exec, exec, s[26:27]
.LBB754_783:
	s_or_b64 exec, exec, s[24:25]
.LBB754_784:
	s_or_b64 exec, exec, s[14:15]
	s_load_dword s4, s[4:5], 0x1c
	s_mov_b32 s5, 0x5040100
	v_perm_b32 v9, v14, v13, s5
	v_perm_b32 v8, v11, v12, s5
	s_load_dword s11, s[16:17], 0x0
	v_perm_b32 v7, v7, v10, s5
	v_mfma_f32_4x4x4bf16_1k a[0:3], v[2:3], v[8:9], a[0:3] cbsz:4 abid:15
	v_perm_b32 v6, v15, v16, s5
	s_waitcnt lgkmcnt(0)
	v_mov_b32_e32 v2, s4
	v_mul_f32_e32 v2, s11, v2
	v_mfma_f32_4x4x4bf16_1k a[0:3], v[4:5], v[6:7], a[0:3] cbsz:4 abid:15
	v_mov_b32_e32 v9, 0xff7fffff
	s_nop 3
	v_accvgpr_read_b32 v5, a1
	v_accvgpr_read_b32 v4, a0
	v_pk_mul_f32 v[4:5], v[4:5], v[2:3] op_sel_hi:[1,0]
	v_accvgpr_read_b32 v7, a3
	v_accvgpr_read_b32 v6, a2
	v_pk_mul_f32 v[2:3], v[6:7], v[2:3] op_sel_hi:[1,0]
	v_cndmask_b32_e64 v6, 0, 1.0, vcc
	v_cmp_eq_u32_e32 vcc, 1, v43
	s_nop 0
	v_mfma_f32_4x4x1f32 a[0:3], v4, v6, 0
	v_cndmask_b32_e64 v4, 0, 1.0, vcc
	v_cmp_eq_u32_e32 vcc, 2, v43
	s_nop 0
	v_mfma_f32_4x4x1f32 a[0:3], v5, v4, a[0:3]
	;; [unrolled: 4-line block ×3, first 2 shown]
	v_cndmask_b32_e64 v2, 0, 1.0, vcc
	s_nop 1
	v_mfma_f32_4x4x1f32 a[0:3], v3, v2, a[0:3]
	v_and_b32_e32 v2, -4, v44
	v_subrev_u32_e32 v3, s9, v2
	v_add_u32_e32 v4, 1, v3
	v_cvt_f32_i32_e32 v4, v4
	v_add_u32_e32 v5, 2, v3
	v_cvt_f32_i32_e32 v5, v5
	v_accvgpr_read_b32 v6, a0
	v_fma_f32 v4, v45, v4, v6
	v_accvgpr_read_b32 v6, a1
	v_fma_f32 v5, v45, v5, v6
	v_add_u32_e32 v6, 3, v3
	v_cvt_f32_i32_e32 v6, v6
	v_accvgpr_read_b32 v7, a2
	v_add_u32_e32 v3, 4, v3
	v_cmp_gt_i32_e32 vcc, s9, v2
	v_fma_f32 v7, v45, v6, v7
	v_max_f32_e32 v6, 0xff7fffff, v4
	v_cvt_f32_i32_e32 v3, v3
	v_cndmask_b32_e32 v6, v9, v6, vcc
	v_or_b32_e32 v9, 1, v2
	v_max_f32_e32 v10, v6, v5
	v_cmp_gt_i32_e64 s[4:5], s9, v9
	v_cndmask_b32_e64 v6, v6, v10, s[4:5]
	v_or_b32_e32 v2, 2, v2
	v_accvgpr_read_b32 v8, a3
	v_max_f32_e32 v9, v6, v7
	v_cmp_gt_i32_e64 s[12:13], s9, v2
	v_fmac_f32_e32 v8, v45, v3
	v_cndmask_b32_e64 v2, v6, v9, s[12:13]
	v_or_b32_e32 v6, 3, v44
	v_max_f32_e32 v9, v2, v8
	v_cmp_gt_i32_e64 s[14:15], s9, v6
	v_lshlrev_b32_e32 v3, 2, v0
	v_cndmask_b32_e64 v2, v2, v9, s[14:15]
	v_and_or_b32 v3, v3, 48, v43
	;;#ASMSTART
	v_nop
 v_nop
 v_max_f32_dpp v2, v2, v2 row_ror:4
	;;#ASMEND
	v_lshlrev_b32_e32 v9, 2, v3
	;;#ASMSTART
	v_nop
 v_nop
 v_max_f32_dpp v2, v2, v2 row_ror:8
	;;#ASMEND
	ds_bpermute_b32 v2, v9, v2
	s_waitcnt lgkmcnt(0)
	;;#ASMSTART
	v_nop
 v_nop
 v_max_f32_dpp v2, v2, v2 row_ror:4
	;;#ASMEND
	;;#ASMSTART
	v_nop
 v_nop
 v_max_f32_dpp v6, v2, v2 row_ror:8
	;;#ASMEND
	v_sub_f32_e32 v2, v4, v6
	v_mul_f32_e32 v2, 0x3fb8aa3b, v2
	v_sub_f32_e32 v3, v5, v6
	v_exp_f32_e32 v2, v2
	v_mul_f32_e32 v3, 0x3fb8aa3b, v3
	v_sub_f32_e32 v5, v7, v6
	v_exp_f32_e32 v3, v3
	;; [unrolled: 3-line block ×3, first 2 shown]
	v_mul_f32_e32 v7, 0x3fb8aa3b, v7
	v_exp_f32_e32 v7, v7
	v_cndmask_b32_e32 v2, 0, v2, vcc
	v_add_f32_e32 v4, 0, v2
	v_cndmask_b32_e64 v3, 0, v3, s[4:5]
	v_add_f32_e32 v8, v4, v3
	v_cndmask_b32_e64 v4, 0, v5, s[12:13]
	;; [unrolled: 2-line block ×3, first 2 shown]
	v_add_f32_e32 v7, v8, v5
	;;#ASMSTART
	v_nop
 v_nop
 v_add_f32_dpp v7, v7, v7 row_ror:4
	;;#ASMEND
	;;#ASMSTART
	v_nop
 v_nop
 v_add_f32_dpp v7, v7, v7 row_ror:8
	;;#ASMEND
	ds_bpermute_b32 v7, v9, v7
	s_waitcnt lgkmcnt(0)
	;;#ASMSTART
	v_nop
 v_nop
 v_add_f32_dpp v7, v7, v7 row_ror:4
	;;#ASMEND
	v_cmp_gt_u32_e32 vcc, 4, v1
	;;#ASMSTART
	v_nop
 v_nop
 v_add_f32_dpp v7, v7, v7 row_ror:8
	;;#ASMEND
	s_and_saveexec_b64 s[4:5], vcc
	s_cbranch_execz .LBB754_786
; %bb.785:
	v_mul_u32_u24_e32 v8, 20, v42
	v_lshl_add_u32 v8, v43, 2, v8
	v_add_u32_e32 v8, 0x1400, v8
	ds_write2_b32 v8, v6, v7 offset1:20
.LBB754_786:
	s_or_b64 exec, exec, s[4:5]
.LBB754_787:
	s_or_b64 exec, exec, s[36:37]
	s_waitcnt lgkmcnt(0)
	s_barrier
	s_load_dword s4, s[34:35], 0x8
	v_lshlrev_b32_e32 v7, 2, v43
	v_add_u32_e32 v9, 0x1400, v7
	ds_read2_b32 v[10:11], v9 offset1:5
	ds_read2_b32 v[12:13], v9 offset0:10 offset1:15
	s_mul_i32 s5, s33, s8
	s_waitcnt lgkmcnt(0)
	s_mul_i32 s4, s5, s4
	s_mov_b32 s5, 0xff7fffff
	v_max3_f32 v7, v10, s5, v11
	v_max3_f32 v8, v7, v12, v13
	v_sub_f32_e32 v7, v10, v8
	v_sub_f32_e32 v10, v11, v8
	v_mul_f32_e32 v10, 0x3fb8aa3b, v10
	ds_read2_b32 v[14:15], v9 offset0:20 offset1:25
	v_mul_f32_e32 v7, 0x3fb8aa3b, v7
	v_exp_f32_e32 v17, v10
	ds_read2_b32 v[10:11], v9 offset0:30 offset1:35
	v_sub_f32_e32 v9, v12, v8
	v_exp_f32_e32 v16, v7
	v_mul_f32_e32 v9, 0x3fb8aa3b, v9
	v_exp_f32_e32 v12, v9
	v_sub_f32_e32 v9, v13, v8
	v_mul_f32_e32 v9, 0x3fb8aa3b, v9
	v_exp_f32_e32 v13, v9
	s_waitcnt lgkmcnt(1)
	v_fma_f32 v9, v16, v14, 0
	v_fmac_f32_e32 v9, v17, v15
	s_waitcnt lgkmcnt(0)
	v_fmac_f32_e32 v9, v12, v10
	v_mov_b32_e32 v7, 0
	v_fmac_f32_e32 v9, v13, v11
	s_mov_b32 s5, 0
	v_cmp_eq_u32_e32 vcc, 0, v43
	s_and_saveexec_b64 s[8:9], vcc
	s_cbranch_execz .LBB754_789
; %bb.788:
	s_lshl_b64 s[12:13], s[4:5], 2
	s_add_u32 s11, s20, s12
	s_mov_b32 s29, s5
	s_addc_u32 s16, s21, s13
	s_lshl_b64 s[14:15], s[28:29], 2
	s_add_u32 s11, s11, s14
	s_addc_u32 s16, s16, s15
	s_add_u32 s12, s22, s12
	s_addc_u32 s13, s23, s13
	s_add_u32 s17, s12, s14
	s_addc_u32 s20, s13, s15
	s_mul_i32 s12, s33, s10
	s_mov_b32 s13, s5
	s_lshl_b64 s[12:13], s[12:13], 2
	s_add_u32 s14, s11, s12
	s_addc_u32 s15, s16, s13
	s_add_u32 s12, s17, s12
	s_addc_u32 s13, s20, s13
	global_store_dword v7, v8, s[12:13]
	global_store_dword v7, v9, s[14:15]
.LBB754_789:
	s_or_b64 exec, exec, s[8:9]
	v_lshlrev_b32_e32 v7, 3, v42
	s_and_saveexec_b64 s[8:9], s[6:7]
	s_xor_b64 s[6:7], exec, s[8:9]
	s_cbranch_execz .LBB754_791
; %bb.790:
	s_mov_b32 s8, 0
	s_mov_b32 s9, s8
	v_mad_u32_u24 v4, v1, 40, v7
	v_pk_mov_b32 v[2:3], s[8:9], s[8:9] op_sel:[0,1]
	ds_write2st64_b64 v4, v[2:3], v[2:3] offset1:5
                                        ; implicit-def: $vgpr7
                                        ; implicit-def: $vgpr9
                                        ; implicit-def: $vgpr6
                                        ; implicit-def: $vgpr8
                                        ; implicit-def: $vgpr4
                                        ; implicit-def: $vgpr2
.LBB754_791:
	s_andn2_saveexec_b64 s[6:7], s[6:7]
	s_cbranch_execz .LBB754_1178
; %bb.792:
	v_add_f32_e32 v9, 0x358637bd, v9
	v_div_scale_f32 v10, s[8:9], v9, v9, 1.0
	v_rcp_f32_e32 v11, v10
	v_div_scale_f32 v12, vcc, 1.0, v9, 1.0
	v_sub_f32_e32 v6, v6, v8
	v_fma_f32 v13, -v10, v11, 1.0
	v_fmac_f32_e32 v11, v13, v11
	v_mul_f32_e32 v13, v12, v11
	v_fma_f32 v14, -v10, v13, v12
	v_mul_f32_e32 v6, 0x3fb8aa3b, v6
	v_fmac_f32_e32 v13, v14, v11
	v_exp_f32_e32 v6, v6
	v_fma_f32 v10, -v10, v13, v12
	v_div_fmas_f32 v8, v10, v11, v13
	v_div_fixup_f32 v8, v8, v9, 1.0
	v_mul_f32_e32 v6, v6, v8
	v_pk_mul_f32 v[2:3], v[2:3], v[6:7] op_sel_hi:[1,0]
	s_load_dword s8, s[18:19], 0x0
	v_pk_mul_f32 v[4:5], v[4:5], v[6:7] op_sel_hi:[1,0]
	v_bfe_u32 v6, v3, 16, 1
	v_bfe_u32 v8, v2, 16, 1
	s_movk_i32 s5, 0x7fff
	v_add3_u32 v2, v2, v8, s5
	v_add3_u32 v3, v3, v6, s5
	s_mov_b32 s11, 0x7060302
	v_perm_b32 v2, v3, v2, s11
	v_bfe_u32 v3, v5, 16, 1
	v_bfe_u32 v6, v4, 16, 1
	v_add3_u32 v4, v4, v6, s5
	v_add3_u32 v3, v5, v3, s5
	v_mov_b32_e32 v11, 0
	v_perm_b32 v3, v3, v4, s11
	v_add_u32_e32 v5, 64, v11
	s_waitcnt lgkmcnt(0)
	s_mov_b32 s9, s8
	s_mov_b32 s12, s8
	;; [unrolled: 1-line block ×4, first 2 shown]
	s_mov_b64 s[14:15], -1
	s_movk_i32 s22, 0x80
	s_movk_i32 s24, 0x7f
	s_mov_b32 s25, 0xffffff
	s_mov_b32 s26, 0x5040100
	v_mov_b32_e32 v9, 0
	v_bfrev_b32_e32 v10, 60
	s_branch .LBB754_796
.LBB754_793:                            ;   in Loop: Header=BB754_796 Depth=1
	s_or_b64 exec, exec, s[20:21]
.LBB754_794:                            ;   in Loop: Header=BB754_796 Depth=1
	s_or_b64 exec, exec, s[18:19]
.LBB754_795:                            ;   in Loop: Header=BB754_796 Depth=1
	s_or_b64 exec, exec, s[16:17]
	v_perm_b32 v19, v15, v12, s26
	v_perm_b32 v18, v11, v13, s26
	;; [unrolled: 1-line block ×4, first 2 shown]
	v_mfma_f32_4x4x4bf16_1k a[0:3], v[2:3], v[18:19], a[0:3] cbsz:4 abid:14
	s_mul_i32 s16, s23, 0xa00
	v_mfma_f32_4x4x4bf16_1k a[0:3], v[2:3], v[12:13], a[0:3] cbsz:4 abid:15
	s_mov_b32 s23, 1
	v_mov_b32_e32 v11, v5
	s_nop 2
	v_accvgpr_read_b32 v15, a1
	v_accvgpr_read_b32 v14, a0
	v_pk_mul_f32 v[14:15], v[14:15], s[8:9]
	v_accvgpr_read_b32 v13, a3
	v_accvgpr_read_b32 v12, a2
	v_bfe_u32 v4, v15, 16, 1
	v_bfe_u32 v6, v14, 16, 1
	v_pk_mul_f32 v[12:13], v[12:13], s[12:13]
	v_add3_u32 v6, v14, v6, s5
	v_add3_u32 v4, v15, v4, s5
	v_perm_b32 v14, v4, v6, s11
	v_bfe_u32 v4, v13, 16, 1
	v_bfe_u32 v6, v12, 16, 1
	v_add3_u32 v6, v12, v6, s5
	v_add3_u32 v4, v13, v4, s5
	v_perm_b32 v15, v4, v6, s11
	v_mul_u32_u24_e32 v4, 40, v1
	v_add3_u32 v4, s16, v4, v7
	s_xor_b64 s[16:17], s[14:15], -1
	s_mov_b64 s[14:15], 0
	s_andn2_b64 vcc, exec, s[16:17]
	ds_write_b64 v4, v[14:15]
	s_cbranch_vccz .LBB754_1178
.LBB754_796:                            ; =>This Inner Loop Header: Depth=1
	buffer_load_dword v6, v11, s[0:3], 0 offen
	buffer_load_dword v4, v11, s[0:3], 0 offen offset:4
	v_mov_b32_e32 v13, 0
	s_waitcnt vmcnt(1)
	v_cmp_ne_u16_sdwa s[18:19], v6, v9 src0_sel:BYTE_0 src1_sel:DWORD
	s_and_saveexec_b64 s[16:17], s[18:19]
	s_cbranch_execz .LBB754_802
; %bb.797:                              ;   in Loop: Header=BB754_796 Depth=1
	v_cmp_ne_u16_sdwa s[20:21], v6, s22 src0_sel:BYTE_0 src1_sel:DWORD
	v_mov_b32_e32 v13, 0xffff8000
	s_and_saveexec_b64 s[18:19], s[20:21]
	s_cbranch_execz .LBB754_801
; %bb.798:                              ;   in Loop: Header=BB754_796 Depth=1
	v_and_b32_e32 v8, 0x7f, v6
	v_cmp_ne_u32_e32 vcc, s24, v8
	v_mov_b32_e32 v13, 0x7f80
	s_and_saveexec_b64 s[20:21], vcc
	s_cbranch_execz .LBB754_800
; %bb.799:                              ;   in Loop: Header=BB754_796 Depth=1
	v_and_b32_e32 v14, 7, v6
	v_ffbh_u32_e32 v12, v14
	v_min_u32_e32 v16, 32, v12
	v_subrev_u32_e32 v12, 28, v16
	v_lshlrev_b64 v[12:13], v12, v[6:7]
	v_lshrrev_b32_e32 v15, 3, v8
	v_sub_u32_e32 v13, 29, v16
	v_and_b32_e32 v12, 7, v12
	v_cmp_gt_u32_e32 vcc, 8, v8
	v_cndmask_b32_e32 v8, v15, v13, vcc
	v_cndmask_b32_e32 v12, v14, v12, vcc
	v_lshlrev_b32_e32 v13, 24, v6
	v_lshlrev_b32_e32 v12, 20, v12
	v_and_b32_e32 v13, 0x80000000, v13
	v_lshl_add_u32 v8, v8, 23, v10
	v_or3_b32 v8, v13, v8, v12
	v_lshrrev_b32_e32 v13, 16, v8
.LBB754_800:                            ;   in Loop: Header=BB754_796 Depth=1
	s_or_b64 exec, exec, s[20:21]
.LBB754_801:                            ;   in Loop: Header=BB754_796 Depth=1
	s_or_b64 exec, exec, s[18:19]
.LBB754_802:                            ;   in Loop: Header=BB754_796 Depth=1
	s_or_b64 exec, exec, s[16:17]
	v_lshrrev_b16_e32 v8, 8, v6
	v_cmp_ne_u16_e32 vcc, 0, v8
	v_mov_b32_e32 v15, 0
	v_mov_b32_e32 v14, 0
	s_and_saveexec_b64 s[16:17], vcc
	s_cbranch_execz .LBB754_808
; %bb.803:                              ;   in Loop: Header=BB754_796 Depth=1
	v_cmp_ne_u16_e32 vcc, s22, v8
	v_mov_b32_e32 v14, 0xffff8000
	s_and_saveexec_b64 s[18:19], vcc
	s_cbranch_execz .LBB754_807
; %bb.804:                              ;   in Loop: Header=BB754_796 Depth=1
	v_and_b32_e32 v12, 0x7f, v8
	v_cmp_ne_u32_e32 vcc, s24, v12
	v_mov_b32_e32 v14, 0x7f80
	s_and_saveexec_b64 s[20:21], vcc
	s_cbranch_execz .LBB754_806
; %bb.805:                              ;   in Loop: Header=BB754_796 Depth=1
	v_and_b32_e32 v14, 7, v8
	v_ffbh_u32_e32 v16, v14
	v_min_u32_e32 v19, 32, v16
	v_subrev_u32_e32 v16, 28, v19
	v_lshlrev_b64 v[16:17], v16, v[8:9]
	v_lshrrev_b32_e32 v18, 3, v12
	v_sub_u32_e32 v8, 29, v19
	v_and_b32_e32 v16, 7, v16
	v_cmp_gt_u32_e32 vcc, 8, v12
	v_cndmask_b32_e32 v8, v18, v8, vcc
	v_cndmask_b32_e32 v12, v14, v16, vcc
	v_lshlrev_b32_e32 v14, 16, v6
	v_lshlrev_b32_e32 v12, 20, v12
	v_and_b32_e32 v14, 0x80000000, v14
	v_lshl_add_u32 v8, v8, 23, v10
	v_or3_b32 v8, v14, v8, v12
	v_lshrrev_b32_e32 v14, 16, v8
.LBB754_806:                            ;   in Loop: Header=BB754_796 Depth=1
	s_or_b64 exec, exec, s[20:21]
.LBB754_807:                            ;   in Loop: Header=BB754_796 Depth=1
	s_or_b64 exec, exec, s[18:19]
.LBB754_808:                            ;   in Loop: Header=BB754_796 Depth=1
	s_or_b64 exec, exec, s[16:17]
	v_lshrrev_b32_e32 v8, 16, v6
	v_cmp_ne_u16_sdwa s[18:19], v8, v9 src0_sel:BYTE_0 src1_sel:DWORD
	s_and_saveexec_b64 s[16:17], s[18:19]
	s_cbranch_execz .LBB754_814
; %bb.809:                              ;   in Loop: Header=BB754_796 Depth=1
	v_cmp_ne_u16_sdwa s[20:21], v8, s22 src0_sel:BYTE_0 src1_sel:DWORD
	v_mov_b32_e32 v15, 0xffff8000
	s_and_saveexec_b64 s[18:19], s[20:21]
	s_cbranch_execz .LBB754_813
; %bb.810:                              ;   in Loop: Header=BB754_796 Depth=1
	v_bfe_u32 v12, v6, 16, 7
	v_cmp_ne_u32_e32 vcc, s24, v12
	v_mov_b32_e32 v15, 0x7f80
	s_and_saveexec_b64 s[20:21], vcc
	s_cbranch_execz .LBB754_812
; %bb.811:                              ;   in Loop: Header=BB754_796 Depth=1
	v_and_b32_e32 v15, 7, v8
	v_ffbh_u32_e32 v16, v15
	v_min_u32_e32 v19, 32, v16
	v_subrev_u32_e32 v16, 28, v19
	v_lshlrev_b64 v[16:17], v16, v[8:9]
	v_lshrrev_b32_e32 v18, 3, v12
	v_sub_u32_e32 v17, 29, v19
	v_and_b32_e32 v16, 7, v16
	v_cmp_gt_u32_e32 vcc, 8, v12
	v_cndmask_b32_e32 v12, v18, v17, vcc
	v_cndmask_b32_e32 v15, v15, v16, vcc
	v_lshlrev_b32_e32 v8, 24, v8
	v_lshlrev_b32_e32 v15, 20, v15
	v_and_b32_e32 v8, 0x80000000, v8
	v_lshl_add_u32 v12, v12, 23, v10
	v_or3_b32 v8, v8, v12, v15
	v_lshrrev_b32_e32 v15, 16, v8
.LBB754_812:                            ;   in Loop: Header=BB754_796 Depth=1
	s_or_b64 exec, exec, s[20:21]
.LBB754_813:                            ;   in Loop: Header=BB754_796 Depth=1
	s_or_b64 exec, exec, s[18:19]
.LBB754_814:                            ;   in Loop: Header=BB754_796 Depth=1
	s_or_b64 exec, exec, s[16:17]
	v_cmp_lt_u32_e32 vcc, s25, v6
	v_mov_b32_e32 v16, 0
	v_mov_b32_e32 v17, 0
	s_and_saveexec_b64 s[16:17], vcc
	s_cbranch_execz .LBB754_820
; %bb.815:                              ;   in Loop: Header=BB754_796 Depth=1
	v_lshrrev_b32_e32 v8, 24, v6
	v_cmp_ne_u32_e32 vcc, s22, v8
	v_mov_b32_e32 v17, 0xffff8000
	s_and_saveexec_b64 s[18:19], vcc
	s_cbranch_execz .LBB754_819
; %bb.816:                              ;   in Loop: Header=BB754_796 Depth=1
	v_bfe_u32 v6, v6, 24, 7
	v_cmp_ne_u32_e32 vcc, s24, v6
	v_mov_b32_e32 v17, 0x7f80
	s_and_saveexec_b64 s[20:21], vcc
	s_cbranch_execz .LBB754_818
; %bb.817:                              ;   in Loop: Header=BB754_796 Depth=1
	v_and_b32_e32 v12, 7, v8
	v_ffbh_u32_e32 v18, v12
	v_min_u32_e32 v20, 32, v18
	v_subrev_u32_e32 v18, 28, v20
	v_lshlrev_b64 v[18:19], v18, v[8:9]
	v_lshrrev_b32_e32 v17, 3, v6
	v_sub_u32_e32 v19, 29, v20
	v_and_b32_e32 v18, 7, v18
	v_cmp_gt_u32_e32 vcc, 8, v6
	v_cndmask_b32_e32 v6, v17, v19, vcc
	v_cndmask_b32_e32 v12, v12, v18, vcc
	v_lshlrev_b32_e32 v8, 24, v8
	v_lshlrev_b32_e32 v12, 20, v12
	v_and_b32_e32 v8, 0x80000000, v8
	v_lshl_add_u32 v6, v6, 23, v10
	v_or3_b32 v6, v8, v6, v12
	v_lshrrev_b32_e32 v17, 16, v6
.LBB754_818:                            ;   in Loop: Header=BB754_796 Depth=1
	s_or_b64 exec, exec, s[20:21]
.LBB754_819:                            ;   in Loop: Header=BB754_796 Depth=1
	s_or_b64 exec, exec, s[18:19]
.LBB754_820:                            ;   in Loop: Header=BB754_796 Depth=1
	s_or_b64 exec, exec, s[16:17]
	s_waitcnt vmcnt(0)
	v_cmp_ne_u16_sdwa s[18:19], v4, v9 src0_sel:BYTE_0 src1_sel:DWORD
	s_and_saveexec_b64 s[16:17], s[18:19]
	s_cbranch_execz .LBB754_826
; %bb.821:                              ;   in Loop: Header=BB754_796 Depth=1
	v_cmp_ne_u16_sdwa s[20:21], v4, s22 src0_sel:BYTE_0 src1_sel:DWORD
	v_mov_b32_e32 v16, 0xffff8000
	s_and_saveexec_b64 s[18:19], s[20:21]
	s_cbranch_execz .LBB754_825
; %bb.822:                              ;   in Loop: Header=BB754_796 Depth=1
	v_and_b32_e32 v6, 0x7f, v4
	v_cmp_ne_u32_e32 vcc, s24, v6
	v_mov_b32_e32 v16, 0x7f80
	s_and_saveexec_b64 s[20:21], vcc
	s_cbranch_execz .LBB754_824
; %bb.823:                              ;   in Loop: Header=BB754_796 Depth=1
	v_and_b32_e32 v8, 7, v4
	v_ffbh_u32_e32 v16, v8
	v_min_u32_e32 v16, 32, v16
	v_subrev_u32_e32 v18, 28, v16
	v_lshlrev_b64 v[18:19], v18, v[4:5]
	v_lshrrev_b32_e32 v12, 3, v6
	v_sub_u32_e32 v16, 29, v16
	v_and_b32_e32 v18, 7, v18
	v_cmp_gt_u32_e32 vcc, 8, v6
	v_cndmask_b32_e32 v6, v12, v16, vcc
	v_cndmask_b32_e32 v8, v8, v18, vcc
	v_lshlrev_b32_e32 v12, 24, v4
	v_lshlrev_b32_e32 v8, 20, v8
	v_and_b32_e32 v12, 0x80000000, v12
	v_lshl_add_u32 v6, v6, 23, v10
	v_or3_b32 v6, v12, v6, v8
	v_lshrrev_b32_e32 v16, 16, v6
.LBB754_824:                            ;   in Loop: Header=BB754_796 Depth=1
	s_or_b64 exec, exec, s[20:21]
.LBB754_825:                            ;   in Loop: Header=BB754_796 Depth=1
	s_or_b64 exec, exec, s[18:19]
.LBB754_826:                            ;   in Loop: Header=BB754_796 Depth=1
	s_or_b64 exec, exec, s[16:17]
	v_lshrrev_b16_e32 v6, 8, v4
	v_cmp_ne_u16_e32 vcc, 0, v6
	v_mov_b32_e32 v18, 0
	v_mov_b32_e32 v8, 0
	s_and_saveexec_b64 s[16:17], vcc
	s_cbranch_execz .LBB754_832
; %bb.827:                              ;   in Loop: Header=BB754_796 Depth=1
	v_cmp_ne_u16_e32 vcc, s22, v6
	v_mov_b32_e32 v8, 0xffff8000
	s_and_saveexec_b64 s[18:19], vcc
	s_cbranch_execz .LBB754_831
; %bb.828:                              ;   in Loop: Header=BB754_796 Depth=1
	v_and_b32_e32 v12, 0x7f, v6
	v_cmp_ne_u32_e32 vcc, s24, v12
	v_mov_b32_e32 v8, 0x7f80
	s_and_saveexec_b64 s[20:21], vcc
	s_cbranch_execz .LBB754_830
; %bb.829:                              ;   in Loop: Header=BB754_796 Depth=1
	v_and_b32_e32 v8, 7, v6
	v_ffbh_u32_e32 v20, v8
	v_min_u32_e32 v22, 32, v20
	v_subrev_u32_e32 v20, 28, v22
	v_lshlrev_b64 v[20:21], v20, v[6:7]
	v_lshrrev_b32_e32 v19, 3, v12
	v_sub_u32_e32 v6, 29, v22
	v_and_b32_e32 v20, 7, v20
	v_cmp_gt_u32_e32 vcc, 8, v12
	v_cndmask_b32_e32 v6, v19, v6, vcc
	v_cndmask_b32_e32 v8, v8, v20, vcc
	v_lshlrev_b32_e32 v12, 16, v4
	v_lshlrev_b32_e32 v8, 20, v8
	v_and_b32_e32 v12, 0x80000000, v12
	v_lshl_add_u32 v6, v6, 23, v10
	v_or3_b32 v6, v12, v6, v8
	v_lshrrev_b32_e32 v8, 16, v6
.LBB754_830:                            ;   in Loop: Header=BB754_796 Depth=1
	s_or_b64 exec, exec, s[20:21]
.LBB754_831:                            ;   in Loop: Header=BB754_796 Depth=1
	s_or_b64 exec, exec, s[18:19]
.LBB754_832:                            ;   in Loop: Header=BB754_796 Depth=1
	s_or_b64 exec, exec, s[16:17]
	v_lshrrev_b32_e32 v6, 16, v4
	v_cmp_ne_u16_sdwa s[18:19], v6, v9 src0_sel:BYTE_0 src1_sel:DWORD
	s_and_saveexec_b64 s[16:17], s[18:19]
	s_cbranch_execz .LBB754_838
; %bb.833:                              ;   in Loop: Header=BB754_796 Depth=1
	v_cmp_ne_u16_sdwa s[20:21], v6, s22 src0_sel:BYTE_0 src1_sel:DWORD
	v_mov_b32_e32 v18, 0xffff8000
	s_and_saveexec_b64 s[18:19], s[20:21]
	s_cbranch_execz .LBB754_837
; %bb.834:                              ;   in Loop: Header=BB754_796 Depth=1
	v_bfe_u32 v12, v4, 16, 7
	v_cmp_ne_u32_e32 vcc, s24, v12
	v_mov_b32_e32 v18, 0x7f80
	s_and_saveexec_b64 s[20:21], vcc
	s_cbranch_execz .LBB754_836
; %bb.835:                              ;   in Loop: Header=BB754_796 Depth=1
	v_and_b32_e32 v20, 7, v6
	v_ffbh_u32_e32 v18, v20
	v_min_u32_e32 v22, 32, v18
	v_subrev_u32_e32 v18, 28, v22
	v_lshlrev_b64 v[18:19], v18, v[6:7]
	v_lshrrev_b32_e32 v21, 3, v12
	v_sub_u32_e32 v19, 29, v22
	v_and_b32_e32 v18, 7, v18
	v_cmp_gt_u32_e32 vcc, 8, v12
	v_cndmask_b32_e32 v12, v21, v19, vcc
	v_cndmask_b32_e32 v18, v20, v18, vcc
	v_lshlrev_b32_e32 v6, 24, v6
	v_lshlrev_b32_e32 v18, 20, v18
	v_and_b32_e32 v6, 0x80000000, v6
	v_lshl_add_u32 v12, v12, 23, v10
	v_or3_b32 v6, v6, v12, v18
	v_lshrrev_b32_e32 v18, 16, v6
.LBB754_836:                            ;   in Loop: Header=BB754_796 Depth=1
	s_or_b64 exec, exec, s[20:21]
.LBB754_837:                            ;   in Loop: Header=BB754_796 Depth=1
	s_or_b64 exec, exec, s[18:19]
.LBB754_838:                            ;   in Loop: Header=BB754_796 Depth=1
	s_or_b64 exec, exec, s[16:17]
	v_cmp_lt_u32_e32 vcc, s25, v4
	v_mov_b32_e32 v12, 0
	v_mov_b32_e32 v19, 0
	s_and_saveexec_b64 s[16:17], vcc
	s_cbranch_execz .LBB754_844
; %bb.839:                              ;   in Loop: Header=BB754_796 Depth=1
	v_lshrrev_b32_e32 v6, 24, v4
	v_cmp_ne_u32_e32 vcc, s22, v6
	v_mov_b32_e32 v19, 0xffff8000
	s_and_saveexec_b64 s[18:19], vcc
	s_cbranch_execz .LBB754_843
; %bb.840:                              ;   in Loop: Header=BB754_796 Depth=1
	v_bfe_u32 v4, v4, 24, 7
	v_cmp_ne_u32_e32 vcc, s24, v4
	v_mov_b32_e32 v19, 0x7f80
	s_and_saveexec_b64 s[20:21], vcc
	s_cbranch_execz .LBB754_842
; %bb.841:                              ;   in Loop: Header=BB754_796 Depth=1
	v_and_b32_e32 v19, 7, v6
	v_ffbh_u32_e32 v20, v19
	v_min_u32_e32 v23, 32, v20
	v_subrev_u32_e32 v20, 28, v23
	v_lshlrev_b64 v[20:21], v20, v[6:7]
	v_lshrrev_b32_e32 v22, 3, v4
	v_sub_u32_e32 v21, 29, v23
	v_and_b32_e32 v20, 7, v20
	v_cmp_gt_u32_e32 vcc, 8, v4
	v_cndmask_b32_e32 v4, v22, v21, vcc
	v_cndmask_b32_e32 v19, v19, v20, vcc
	v_lshlrev_b32_e32 v6, 24, v6
	v_lshlrev_b32_e32 v19, 20, v19
	v_and_b32_e32 v6, 0x80000000, v6
	v_lshl_add_u32 v4, v4, 23, v10
	v_or3_b32 v4, v6, v4, v19
	v_lshrrev_b32_e32 v19, 16, v4
.LBB754_842:                            ;   in Loop: Header=BB754_796 Depth=1
	s_or_b64 exec, exec, s[20:21]
.LBB754_843:                            ;   in Loop: Header=BB754_796 Depth=1
	s_or_b64 exec, exec, s[18:19]
.LBB754_844:                            ;   in Loop: Header=BB754_796 Depth=1
	s_or_b64 exec, exec, s[16:17]
	buffer_load_dword v6, v11, s[0:3], 0 offen offset:8
	buffer_load_dword v4, v11, s[0:3], 0 offen offset:12
	v_perm_b32 v15, v17, v15, s26
	v_perm_b32 v14, v14, v13, s26
	;; [unrolled: 1-line block ×4, first 2 shown]
	v_mfma_f32_4x4x4bf16_1k a[0:3], v[2:3], v[14:15], 0 cbsz:4
	s_waitcnt vmcnt(1)
	v_cmp_ne_u16_sdwa s[18:19], v6, v9 src0_sel:BYTE_0 src1_sel:DWORD
	v_mfma_f32_4x4x4bf16_1k a[0:3], v[2:3], v[16:17], a[0:3] cbsz:4 abid:1
	s_and_saveexec_b64 s[16:17], s[18:19]
	s_cbranch_execz .LBB754_850
; %bb.845:                              ;   in Loop: Header=BB754_796 Depth=1
	v_cmp_ne_u16_sdwa s[20:21], v6, s22 src0_sel:BYTE_0 src1_sel:DWORD
	v_mov_b32_e32 v12, 0xffff8000
	s_and_saveexec_b64 s[18:19], s[20:21]
	s_cbranch_execz .LBB754_849
; %bb.846:                              ;   in Loop: Header=BB754_796 Depth=1
	v_and_b32_e32 v8, 0x7f, v6
	v_cmp_ne_u32_e32 vcc, s24, v8
	v_mov_b32_e32 v12, 0x7f80
	s_and_saveexec_b64 s[20:21], vcc
	s_cbranch_execz .LBB754_848
; %bb.847:                              ;   in Loop: Header=BB754_796 Depth=1
	v_and_b32_e32 v14, 7, v6
	v_ffbh_u32_e32 v12, v14
	v_min_u32_e32 v16, 32, v12
	v_subrev_u32_e32 v12, 28, v16
	v_lshlrev_b64 v[12:13], v12, v[6:7]
	v_lshrrev_b32_e32 v15, 3, v8
	v_sub_u32_e32 v13, 29, v16
	v_and_b32_e32 v12, 7, v12
	v_cmp_gt_u32_e32 vcc, 8, v8
	v_cndmask_b32_e32 v8, v15, v13, vcc
	v_cndmask_b32_e32 v12, v14, v12, vcc
	v_lshlrev_b32_e32 v13, 24, v6
	v_lshlrev_b32_e32 v12, 20, v12
	v_and_b32_e32 v13, 0x80000000, v13
	v_lshl_add_u32 v8, v8, 23, v10
	v_or3_b32 v8, v13, v8, v12
	v_lshrrev_b32_e32 v12, 16, v8
.LBB754_848:                            ;   in Loop: Header=BB754_796 Depth=1
	s_or_b64 exec, exec, s[20:21]
.LBB754_849:                            ;   in Loop: Header=BB754_796 Depth=1
	s_or_b64 exec, exec, s[18:19]
.LBB754_850:                            ;   in Loop: Header=BB754_796 Depth=1
	s_or_b64 exec, exec, s[16:17]
	v_lshrrev_b16_e32 v8, 8, v6
	v_cmp_ne_u16_e32 vcc, 0, v8
	v_mov_b32_e32 v15, 0
	v_mov_b32_e32 v14, 0
	s_and_saveexec_b64 s[16:17], vcc
	s_cbranch_execz .LBB754_856
; %bb.851:                              ;   in Loop: Header=BB754_796 Depth=1
	v_cmp_ne_u16_e32 vcc, s22, v8
	v_mov_b32_e32 v14, 0xffff8000
	s_and_saveexec_b64 s[18:19], vcc
	s_cbranch_execz .LBB754_855
; %bb.852:                              ;   in Loop: Header=BB754_796 Depth=1
	v_and_b32_e32 v13, 0x7f, v8
	v_cmp_ne_u32_e32 vcc, s24, v13
	v_mov_b32_e32 v14, 0x7f80
	s_and_saveexec_b64 s[20:21], vcc
	s_cbranch_execz .LBB754_854
; %bb.853:                              ;   in Loop: Header=BB754_796 Depth=1
	v_and_b32_e32 v14, 7, v8
	v_ffbh_u32_e32 v16, v14
	v_min_u32_e32 v19, 32, v16
	v_subrev_u32_e32 v16, 28, v19
	v_lshlrev_b64 v[16:17], v16, v[8:9]
	v_lshrrev_b32_e32 v18, 3, v13
	v_sub_u32_e32 v8, 29, v19
	v_and_b32_e32 v16, 7, v16
	v_cmp_gt_u32_e32 vcc, 8, v13
	v_cndmask_b32_e32 v8, v18, v8, vcc
	v_cndmask_b32_e32 v13, v14, v16, vcc
	v_lshlrev_b32_e32 v14, 16, v6
	v_lshlrev_b32_e32 v13, 20, v13
	v_and_b32_e32 v14, 0x80000000, v14
	v_lshl_add_u32 v8, v8, 23, v10
	v_or3_b32 v8, v14, v8, v13
	v_lshrrev_b32_e32 v14, 16, v8
.LBB754_854:                            ;   in Loop: Header=BB754_796 Depth=1
	s_or_b64 exec, exec, s[20:21]
.LBB754_855:                            ;   in Loop: Header=BB754_796 Depth=1
	s_or_b64 exec, exec, s[18:19]
.LBB754_856:                            ;   in Loop: Header=BB754_796 Depth=1
	s_or_b64 exec, exec, s[16:17]
	v_lshrrev_b32_e32 v8, 16, v6
	v_cmp_ne_u16_sdwa s[18:19], v8, v9 src0_sel:BYTE_0 src1_sel:DWORD
	s_and_saveexec_b64 s[16:17], s[18:19]
	s_cbranch_execz .LBB754_862
; %bb.857:                              ;   in Loop: Header=BB754_796 Depth=1
	v_cmp_ne_u16_sdwa s[20:21], v8, s22 src0_sel:BYTE_0 src1_sel:DWORD
	v_mov_b32_e32 v15, 0xffff8000
	s_and_saveexec_b64 s[18:19], s[20:21]
	s_cbranch_execz .LBB754_861
; %bb.858:                              ;   in Loop: Header=BB754_796 Depth=1
	v_bfe_u32 v13, v6, 16, 7
	v_cmp_ne_u32_e32 vcc, s24, v13
	v_mov_b32_e32 v15, 0x7f80
	s_and_saveexec_b64 s[20:21], vcc
	s_cbranch_execz .LBB754_860
; %bb.859:                              ;   in Loop: Header=BB754_796 Depth=1
	v_and_b32_e32 v15, 7, v8
	v_ffbh_u32_e32 v16, v15
	v_min_u32_e32 v19, 32, v16
	v_subrev_u32_e32 v16, 28, v19
	v_lshlrev_b64 v[16:17], v16, v[8:9]
	v_lshrrev_b32_e32 v18, 3, v13
	v_sub_u32_e32 v17, 29, v19
	v_and_b32_e32 v16, 7, v16
	v_cmp_gt_u32_e32 vcc, 8, v13
	v_cndmask_b32_e32 v13, v18, v17, vcc
	v_cndmask_b32_e32 v15, v15, v16, vcc
	v_lshlrev_b32_e32 v8, 24, v8
	v_lshlrev_b32_e32 v15, 20, v15
	v_and_b32_e32 v8, 0x80000000, v8
	v_lshl_add_u32 v13, v13, 23, v10
	v_or3_b32 v8, v8, v13, v15
	v_lshrrev_b32_e32 v15, 16, v8
.LBB754_860:                            ;   in Loop: Header=BB754_796 Depth=1
	s_or_b64 exec, exec, s[20:21]
.LBB754_861:                            ;   in Loop: Header=BB754_796 Depth=1
	s_or_b64 exec, exec, s[18:19]
.LBB754_862:                            ;   in Loop: Header=BB754_796 Depth=1
	s_or_b64 exec, exec, s[16:17]
	v_cmp_lt_u32_e32 vcc, s25, v6
	v_mov_b32_e32 v16, 0
	v_mov_b32_e32 v17, 0
	s_and_saveexec_b64 s[16:17], vcc
	s_cbranch_execz .LBB754_868
; %bb.863:                              ;   in Loop: Header=BB754_796 Depth=1
	v_lshrrev_b32_e32 v8, 24, v6
	v_cmp_ne_u32_e32 vcc, s22, v8
	v_mov_b32_e32 v17, 0xffff8000
	s_and_saveexec_b64 s[18:19], vcc
	s_cbranch_execz .LBB754_867
; %bb.864:                              ;   in Loop: Header=BB754_796 Depth=1
	v_bfe_u32 v6, v6, 24, 7
	v_cmp_ne_u32_e32 vcc, s24, v6
	v_mov_b32_e32 v17, 0x7f80
	s_and_saveexec_b64 s[20:21], vcc
	s_cbranch_execz .LBB754_866
; %bb.865:                              ;   in Loop: Header=BB754_796 Depth=1
	v_and_b32_e32 v13, 7, v8
	v_ffbh_u32_e32 v18, v13
	v_min_u32_e32 v20, 32, v18
	v_subrev_u32_e32 v18, 28, v20
	v_lshlrev_b64 v[18:19], v18, v[8:9]
	v_lshrrev_b32_e32 v17, 3, v6
	v_sub_u32_e32 v19, 29, v20
	v_and_b32_e32 v18, 7, v18
	v_cmp_gt_u32_e32 vcc, 8, v6
	v_cndmask_b32_e32 v6, v17, v19, vcc
	v_cndmask_b32_e32 v13, v13, v18, vcc
	v_lshlrev_b32_e32 v8, 24, v8
	v_lshlrev_b32_e32 v13, 20, v13
	v_and_b32_e32 v8, 0x80000000, v8
	v_lshl_add_u32 v6, v6, 23, v10
	v_or3_b32 v6, v8, v6, v13
	v_lshrrev_b32_e32 v17, 16, v6
.LBB754_866:                            ;   in Loop: Header=BB754_796 Depth=1
	s_or_b64 exec, exec, s[20:21]
.LBB754_867:                            ;   in Loop: Header=BB754_796 Depth=1
	s_or_b64 exec, exec, s[18:19]
.LBB754_868:                            ;   in Loop: Header=BB754_796 Depth=1
	s_or_b64 exec, exec, s[16:17]
	s_waitcnt vmcnt(0)
	v_cmp_ne_u16_sdwa s[18:19], v4, v9 src0_sel:BYTE_0 src1_sel:DWORD
	s_and_saveexec_b64 s[16:17], s[18:19]
	s_cbranch_execz .LBB754_874
; %bb.869:                              ;   in Loop: Header=BB754_796 Depth=1
	v_cmp_ne_u16_sdwa s[20:21], v4, s22 src0_sel:BYTE_0 src1_sel:DWORD
	v_mov_b32_e32 v16, 0xffff8000
	s_and_saveexec_b64 s[18:19], s[20:21]
	s_cbranch_execz .LBB754_873
; %bb.870:                              ;   in Loop: Header=BB754_796 Depth=1
	v_and_b32_e32 v6, 0x7f, v4
	v_cmp_ne_u32_e32 vcc, s24, v6
	v_mov_b32_e32 v16, 0x7f80
	s_and_saveexec_b64 s[20:21], vcc
	s_cbranch_execz .LBB754_872
; %bb.871:                              ;   in Loop: Header=BB754_796 Depth=1
	v_and_b32_e32 v8, 7, v4
	v_ffbh_u32_e32 v16, v8
	v_min_u32_e32 v16, 32, v16
	v_subrev_u32_e32 v18, 28, v16
	v_lshlrev_b64 v[18:19], v18, v[4:5]
	v_lshrrev_b32_e32 v13, 3, v6
	v_sub_u32_e32 v16, 29, v16
	v_and_b32_e32 v18, 7, v18
	v_cmp_gt_u32_e32 vcc, 8, v6
	v_cndmask_b32_e32 v6, v13, v16, vcc
	v_cndmask_b32_e32 v8, v8, v18, vcc
	v_lshlrev_b32_e32 v13, 24, v4
	v_lshlrev_b32_e32 v8, 20, v8
	v_and_b32_e32 v13, 0x80000000, v13
	v_lshl_add_u32 v6, v6, 23, v10
	v_or3_b32 v6, v13, v6, v8
	v_lshrrev_b32_e32 v16, 16, v6
.LBB754_872:                            ;   in Loop: Header=BB754_796 Depth=1
	s_or_b64 exec, exec, s[20:21]
.LBB754_873:                            ;   in Loop: Header=BB754_796 Depth=1
	s_or_b64 exec, exec, s[18:19]
.LBB754_874:                            ;   in Loop: Header=BB754_796 Depth=1
	s_or_b64 exec, exec, s[16:17]
	v_lshrrev_b16_e32 v6, 8, v4
	v_cmp_ne_u16_e32 vcc, 0, v6
	v_mov_b32_e32 v18, 0
	v_mov_b32_e32 v8, 0
	s_and_saveexec_b64 s[16:17], vcc
	s_cbranch_execz .LBB754_880
; %bb.875:                              ;   in Loop: Header=BB754_796 Depth=1
	v_cmp_ne_u16_e32 vcc, s22, v6
	v_mov_b32_e32 v8, 0xffff8000
	s_and_saveexec_b64 s[18:19], vcc
	s_cbranch_execz .LBB754_879
; %bb.876:                              ;   in Loop: Header=BB754_796 Depth=1
	v_and_b32_e32 v13, 0x7f, v6
	v_cmp_ne_u32_e32 vcc, s24, v13
	v_mov_b32_e32 v8, 0x7f80
	s_and_saveexec_b64 s[20:21], vcc
	s_cbranch_execz .LBB754_878
; %bb.877:                              ;   in Loop: Header=BB754_796 Depth=1
	v_and_b32_e32 v8, 7, v6
	v_ffbh_u32_e32 v20, v8
	v_min_u32_e32 v22, 32, v20
	v_subrev_u32_e32 v20, 28, v22
	v_lshlrev_b64 v[20:21], v20, v[6:7]
	v_lshrrev_b32_e32 v19, 3, v13
	v_sub_u32_e32 v6, 29, v22
	v_and_b32_e32 v20, 7, v20
	v_cmp_gt_u32_e32 vcc, 8, v13
	v_cndmask_b32_e32 v6, v19, v6, vcc
	v_cndmask_b32_e32 v8, v8, v20, vcc
	v_lshlrev_b32_e32 v13, 16, v4
	v_lshlrev_b32_e32 v8, 20, v8
	v_and_b32_e32 v13, 0x80000000, v13
	v_lshl_add_u32 v6, v6, 23, v10
	v_or3_b32 v6, v13, v6, v8
	v_lshrrev_b32_e32 v8, 16, v6
.LBB754_878:                            ;   in Loop: Header=BB754_796 Depth=1
	s_or_b64 exec, exec, s[20:21]
.LBB754_879:                            ;   in Loop: Header=BB754_796 Depth=1
	s_or_b64 exec, exec, s[18:19]
.LBB754_880:                            ;   in Loop: Header=BB754_796 Depth=1
	s_or_b64 exec, exec, s[16:17]
	v_lshrrev_b32_e32 v6, 16, v4
	v_cmp_ne_u16_sdwa s[18:19], v6, v9 src0_sel:BYTE_0 src1_sel:DWORD
	s_and_saveexec_b64 s[16:17], s[18:19]
	s_cbranch_execz .LBB754_886
; %bb.881:                              ;   in Loop: Header=BB754_796 Depth=1
	v_cmp_ne_u16_sdwa s[20:21], v6, s22 src0_sel:BYTE_0 src1_sel:DWORD
	v_mov_b32_e32 v18, 0xffff8000
	s_and_saveexec_b64 s[18:19], s[20:21]
	s_cbranch_execz .LBB754_885
; %bb.882:                              ;   in Loop: Header=BB754_796 Depth=1
	v_bfe_u32 v13, v4, 16, 7
	v_cmp_ne_u32_e32 vcc, s24, v13
	v_mov_b32_e32 v18, 0x7f80
	s_and_saveexec_b64 s[20:21], vcc
	s_cbranch_execz .LBB754_884
; %bb.883:                              ;   in Loop: Header=BB754_796 Depth=1
	v_and_b32_e32 v20, 7, v6
	v_ffbh_u32_e32 v18, v20
	v_min_u32_e32 v22, 32, v18
	v_subrev_u32_e32 v18, 28, v22
	v_lshlrev_b64 v[18:19], v18, v[6:7]
	v_lshrrev_b32_e32 v21, 3, v13
	v_sub_u32_e32 v19, 29, v22
	v_and_b32_e32 v18, 7, v18
	v_cmp_gt_u32_e32 vcc, 8, v13
	v_cndmask_b32_e32 v13, v21, v19, vcc
	v_cndmask_b32_e32 v18, v20, v18, vcc
	v_lshlrev_b32_e32 v6, 24, v6
	v_lshlrev_b32_e32 v18, 20, v18
	v_and_b32_e32 v6, 0x80000000, v6
	v_lshl_add_u32 v13, v13, 23, v10
	v_or3_b32 v6, v6, v13, v18
	v_lshrrev_b32_e32 v18, 16, v6
.LBB754_884:                            ;   in Loop: Header=BB754_796 Depth=1
	s_or_b64 exec, exec, s[20:21]
.LBB754_885:                            ;   in Loop: Header=BB754_796 Depth=1
	s_or_b64 exec, exec, s[18:19]
.LBB754_886:                            ;   in Loop: Header=BB754_796 Depth=1
	s_or_b64 exec, exec, s[16:17]
	v_cmp_lt_u32_e32 vcc, s25, v4
	v_mov_b32_e32 v13, 0
	v_mov_b32_e32 v19, 0
	s_and_saveexec_b64 s[16:17], vcc
	s_cbranch_execz .LBB754_892
; %bb.887:                              ;   in Loop: Header=BB754_796 Depth=1
	v_lshrrev_b32_e32 v6, 24, v4
	v_cmp_ne_u32_e32 vcc, s22, v6
	v_mov_b32_e32 v19, 0xffff8000
	s_and_saveexec_b64 s[18:19], vcc
	s_cbranch_execz .LBB754_891
; %bb.888:                              ;   in Loop: Header=BB754_796 Depth=1
	v_bfe_u32 v4, v4, 24, 7
	v_cmp_ne_u32_e32 vcc, s24, v4
	v_mov_b32_e32 v19, 0x7f80
	s_and_saveexec_b64 s[20:21], vcc
	s_cbranch_execz .LBB754_890
; %bb.889:                              ;   in Loop: Header=BB754_796 Depth=1
	v_and_b32_e32 v19, 7, v6
	v_ffbh_u32_e32 v20, v19
	v_min_u32_e32 v23, 32, v20
	v_subrev_u32_e32 v20, 28, v23
	v_lshlrev_b64 v[20:21], v20, v[6:7]
	v_lshrrev_b32_e32 v22, 3, v4
	v_sub_u32_e32 v21, 29, v23
	v_and_b32_e32 v20, 7, v20
	v_cmp_gt_u32_e32 vcc, 8, v4
	v_cndmask_b32_e32 v4, v22, v21, vcc
	v_cndmask_b32_e32 v19, v19, v20, vcc
	v_lshlrev_b32_e32 v6, 24, v6
	v_lshlrev_b32_e32 v19, 20, v19
	v_and_b32_e32 v6, 0x80000000, v6
	v_lshl_add_u32 v4, v4, 23, v10
	v_or3_b32 v4, v6, v4, v19
	v_lshrrev_b32_e32 v19, 16, v4
.LBB754_890:                            ;   in Loop: Header=BB754_796 Depth=1
	s_or_b64 exec, exec, s[20:21]
.LBB754_891:                            ;   in Loop: Header=BB754_796 Depth=1
	s_or_b64 exec, exec, s[18:19]
.LBB754_892:                            ;   in Loop: Header=BB754_796 Depth=1
	s_or_b64 exec, exec, s[16:17]
	buffer_load_dword v6, v11, s[0:3], 0 offen offset:16
	buffer_load_dword v4, v11, s[0:3], 0 offen offset:20
	v_perm_b32 v15, v17, v15, s26
	v_perm_b32 v14, v14, v12, s26
	v_perm_b32 v17, v19, v18, s26
	v_perm_b32 v16, v8, v16, s26
	v_mfma_f32_4x4x4bf16_1k a[0:3], v[2:3], v[14:15], a[0:3] cbsz:4 abid:2
	s_waitcnt vmcnt(1)
	v_cmp_ne_u16_sdwa s[18:19], v6, v9 src0_sel:BYTE_0 src1_sel:DWORD
	v_mfma_f32_4x4x4bf16_1k a[0:3], v[2:3], v[16:17], a[0:3] cbsz:4 abid:3
	s_and_saveexec_b64 s[16:17], s[18:19]
	s_cbranch_execz .LBB754_898
; %bb.893:                              ;   in Loop: Header=BB754_796 Depth=1
	v_cmp_ne_u16_sdwa s[20:21], v6, s22 src0_sel:BYTE_0 src1_sel:DWORD
	v_mov_b32_e32 v13, 0xffff8000
	s_and_saveexec_b64 s[18:19], s[20:21]
	s_cbranch_execz .LBB754_897
; %bb.894:                              ;   in Loop: Header=BB754_796 Depth=1
	v_and_b32_e32 v8, 0x7f, v6
	v_cmp_ne_u32_e32 vcc, s24, v8
	v_mov_b32_e32 v13, 0x7f80
	s_and_saveexec_b64 s[20:21], vcc
	s_cbranch_execz .LBB754_896
; %bb.895:                              ;   in Loop: Header=BB754_796 Depth=1
	v_and_b32_e32 v14, 7, v6
	v_ffbh_u32_e32 v12, v14
	v_min_u32_e32 v16, 32, v12
	v_subrev_u32_e32 v12, 28, v16
	v_lshlrev_b64 v[12:13], v12, v[6:7]
	v_lshrrev_b32_e32 v15, 3, v8
	v_sub_u32_e32 v13, 29, v16
	v_and_b32_e32 v12, 7, v12
	v_cmp_gt_u32_e32 vcc, 8, v8
	v_cndmask_b32_e32 v8, v15, v13, vcc
	v_cndmask_b32_e32 v12, v14, v12, vcc
	v_lshlrev_b32_e32 v13, 24, v6
	v_lshlrev_b32_e32 v12, 20, v12
	v_and_b32_e32 v13, 0x80000000, v13
	v_lshl_add_u32 v8, v8, 23, v10
	v_or3_b32 v8, v13, v8, v12
	v_lshrrev_b32_e32 v13, 16, v8
.LBB754_896:                            ;   in Loop: Header=BB754_796 Depth=1
	s_or_b64 exec, exec, s[20:21]
.LBB754_897:                            ;   in Loop: Header=BB754_796 Depth=1
	s_or_b64 exec, exec, s[18:19]
.LBB754_898:                            ;   in Loop: Header=BB754_796 Depth=1
	s_or_b64 exec, exec, s[16:17]
	v_lshrrev_b16_e32 v8, 8, v6
	v_cmp_ne_u16_e32 vcc, 0, v8
	v_mov_b32_e32 v15, 0
	v_mov_b32_e32 v14, 0
	s_and_saveexec_b64 s[16:17], vcc
	s_cbranch_execz .LBB754_904
; %bb.899:                              ;   in Loop: Header=BB754_796 Depth=1
	v_cmp_ne_u16_e32 vcc, s22, v8
	v_mov_b32_e32 v14, 0xffff8000
	s_and_saveexec_b64 s[18:19], vcc
	s_cbranch_execz .LBB754_903
; %bb.900:                              ;   in Loop: Header=BB754_796 Depth=1
	v_and_b32_e32 v12, 0x7f, v8
	v_cmp_ne_u32_e32 vcc, s24, v12
	v_mov_b32_e32 v14, 0x7f80
	s_and_saveexec_b64 s[20:21], vcc
	s_cbranch_execz .LBB754_902
; %bb.901:                              ;   in Loop: Header=BB754_796 Depth=1
	v_and_b32_e32 v14, 7, v8
	v_ffbh_u32_e32 v16, v14
	v_min_u32_e32 v19, 32, v16
	v_subrev_u32_e32 v16, 28, v19
	v_lshlrev_b64 v[16:17], v16, v[8:9]
	v_lshrrev_b32_e32 v18, 3, v12
	v_sub_u32_e32 v8, 29, v19
	v_and_b32_e32 v16, 7, v16
	v_cmp_gt_u32_e32 vcc, 8, v12
	v_cndmask_b32_e32 v8, v18, v8, vcc
	v_cndmask_b32_e32 v12, v14, v16, vcc
	v_lshlrev_b32_e32 v14, 16, v6
	v_lshlrev_b32_e32 v12, 20, v12
	v_and_b32_e32 v14, 0x80000000, v14
	v_lshl_add_u32 v8, v8, 23, v10
	v_or3_b32 v8, v14, v8, v12
	v_lshrrev_b32_e32 v14, 16, v8
.LBB754_902:                            ;   in Loop: Header=BB754_796 Depth=1
	s_or_b64 exec, exec, s[20:21]
.LBB754_903:                            ;   in Loop: Header=BB754_796 Depth=1
	s_or_b64 exec, exec, s[18:19]
.LBB754_904:                            ;   in Loop: Header=BB754_796 Depth=1
	s_or_b64 exec, exec, s[16:17]
	v_lshrrev_b32_e32 v8, 16, v6
	v_cmp_ne_u16_sdwa s[18:19], v8, v9 src0_sel:BYTE_0 src1_sel:DWORD
	s_and_saveexec_b64 s[16:17], s[18:19]
	s_cbranch_execz .LBB754_910
; %bb.905:                              ;   in Loop: Header=BB754_796 Depth=1
	v_cmp_ne_u16_sdwa s[20:21], v8, s22 src0_sel:BYTE_0 src1_sel:DWORD
	v_mov_b32_e32 v15, 0xffff8000
	s_and_saveexec_b64 s[18:19], s[20:21]
	s_cbranch_execz .LBB754_909
; %bb.906:                              ;   in Loop: Header=BB754_796 Depth=1
	v_bfe_u32 v12, v6, 16, 7
	v_cmp_ne_u32_e32 vcc, s24, v12
	v_mov_b32_e32 v15, 0x7f80
	s_and_saveexec_b64 s[20:21], vcc
	s_cbranch_execz .LBB754_908
; %bb.907:                              ;   in Loop: Header=BB754_796 Depth=1
	v_and_b32_e32 v15, 7, v8
	v_ffbh_u32_e32 v16, v15
	v_min_u32_e32 v19, 32, v16
	v_subrev_u32_e32 v16, 28, v19
	v_lshlrev_b64 v[16:17], v16, v[8:9]
	v_lshrrev_b32_e32 v18, 3, v12
	v_sub_u32_e32 v17, 29, v19
	v_and_b32_e32 v16, 7, v16
	v_cmp_gt_u32_e32 vcc, 8, v12
	v_cndmask_b32_e32 v12, v18, v17, vcc
	v_cndmask_b32_e32 v15, v15, v16, vcc
	v_lshlrev_b32_e32 v8, 24, v8
	v_lshlrev_b32_e32 v15, 20, v15
	v_and_b32_e32 v8, 0x80000000, v8
	v_lshl_add_u32 v12, v12, 23, v10
	v_or3_b32 v8, v8, v12, v15
	v_lshrrev_b32_e32 v15, 16, v8
.LBB754_908:                            ;   in Loop: Header=BB754_796 Depth=1
	s_or_b64 exec, exec, s[20:21]
.LBB754_909:                            ;   in Loop: Header=BB754_796 Depth=1
	s_or_b64 exec, exec, s[18:19]
.LBB754_910:                            ;   in Loop: Header=BB754_796 Depth=1
	s_or_b64 exec, exec, s[16:17]
	v_cmp_lt_u32_e32 vcc, s25, v6
	v_mov_b32_e32 v16, 0
	v_mov_b32_e32 v17, 0
	s_and_saveexec_b64 s[16:17], vcc
	s_cbranch_execz .LBB754_916
; %bb.911:                              ;   in Loop: Header=BB754_796 Depth=1
	v_lshrrev_b32_e32 v8, 24, v6
	v_cmp_ne_u32_e32 vcc, s22, v8
	v_mov_b32_e32 v17, 0xffff8000
	s_and_saveexec_b64 s[18:19], vcc
	s_cbranch_execz .LBB754_915
; %bb.912:                              ;   in Loop: Header=BB754_796 Depth=1
	v_bfe_u32 v6, v6, 24, 7
	v_cmp_ne_u32_e32 vcc, s24, v6
	v_mov_b32_e32 v17, 0x7f80
	s_and_saveexec_b64 s[20:21], vcc
	s_cbranch_execz .LBB754_914
; %bb.913:                              ;   in Loop: Header=BB754_796 Depth=1
	v_and_b32_e32 v12, 7, v8
	v_ffbh_u32_e32 v18, v12
	v_min_u32_e32 v20, 32, v18
	v_subrev_u32_e32 v18, 28, v20
	v_lshlrev_b64 v[18:19], v18, v[8:9]
	v_lshrrev_b32_e32 v17, 3, v6
	v_sub_u32_e32 v19, 29, v20
	v_and_b32_e32 v18, 7, v18
	v_cmp_gt_u32_e32 vcc, 8, v6
	v_cndmask_b32_e32 v6, v17, v19, vcc
	v_cndmask_b32_e32 v12, v12, v18, vcc
	v_lshlrev_b32_e32 v8, 24, v8
	v_lshlrev_b32_e32 v12, 20, v12
	v_and_b32_e32 v8, 0x80000000, v8
	v_lshl_add_u32 v6, v6, 23, v10
	v_or3_b32 v6, v8, v6, v12
	v_lshrrev_b32_e32 v17, 16, v6
.LBB754_914:                            ;   in Loop: Header=BB754_796 Depth=1
	s_or_b64 exec, exec, s[20:21]
.LBB754_915:                            ;   in Loop: Header=BB754_796 Depth=1
	s_or_b64 exec, exec, s[18:19]
.LBB754_916:                            ;   in Loop: Header=BB754_796 Depth=1
	s_or_b64 exec, exec, s[16:17]
	s_waitcnt vmcnt(0)
	v_cmp_ne_u16_sdwa s[18:19], v4, v9 src0_sel:BYTE_0 src1_sel:DWORD
	s_and_saveexec_b64 s[16:17], s[18:19]
	s_cbranch_execz .LBB754_922
; %bb.917:                              ;   in Loop: Header=BB754_796 Depth=1
	v_cmp_ne_u16_sdwa s[20:21], v4, s22 src0_sel:BYTE_0 src1_sel:DWORD
	v_mov_b32_e32 v16, 0xffff8000
	s_and_saveexec_b64 s[18:19], s[20:21]
	s_cbranch_execz .LBB754_921
; %bb.918:                              ;   in Loop: Header=BB754_796 Depth=1
	v_and_b32_e32 v6, 0x7f, v4
	v_cmp_ne_u32_e32 vcc, s24, v6
	v_mov_b32_e32 v16, 0x7f80
	s_and_saveexec_b64 s[20:21], vcc
	s_cbranch_execz .LBB754_920
; %bb.919:                              ;   in Loop: Header=BB754_796 Depth=1
	v_and_b32_e32 v8, 7, v4
	v_ffbh_u32_e32 v16, v8
	v_min_u32_e32 v16, 32, v16
	v_subrev_u32_e32 v18, 28, v16
	v_lshlrev_b64 v[18:19], v18, v[4:5]
	v_lshrrev_b32_e32 v12, 3, v6
	v_sub_u32_e32 v16, 29, v16
	v_and_b32_e32 v18, 7, v18
	v_cmp_gt_u32_e32 vcc, 8, v6
	v_cndmask_b32_e32 v6, v12, v16, vcc
	v_cndmask_b32_e32 v8, v8, v18, vcc
	v_lshlrev_b32_e32 v12, 24, v4
	v_lshlrev_b32_e32 v8, 20, v8
	v_and_b32_e32 v12, 0x80000000, v12
	v_lshl_add_u32 v6, v6, 23, v10
	v_or3_b32 v6, v12, v6, v8
	v_lshrrev_b32_e32 v16, 16, v6
.LBB754_920:                            ;   in Loop: Header=BB754_796 Depth=1
	s_or_b64 exec, exec, s[20:21]
.LBB754_921:                            ;   in Loop: Header=BB754_796 Depth=1
	s_or_b64 exec, exec, s[18:19]
.LBB754_922:                            ;   in Loop: Header=BB754_796 Depth=1
	s_or_b64 exec, exec, s[16:17]
	v_lshrrev_b16_e32 v6, 8, v4
	v_cmp_ne_u16_e32 vcc, 0, v6
	v_mov_b32_e32 v18, 0
	v_mov_b32_e32 v8, 0
	s_and_saveexec_b64 s[16:17], vcc
	s_cbranch_execz .LBB754_928
; %bb.923:                              ;   in Loop: Header=BB754_796 Depth=1
	v_cmp_ne_u16_e32 vcc, s22, v6
	v_mov_b32_e32 v8, 0xffff8000
	s_and_saveexec_b64 s[18:19], vcc
	s_cbranch_execz .LBB754_927
; %bb.924:                              ;   in Loop: Header=BB754_796 Depth=1
	v_and_b32_e32 v12, 0x7f, v6
	v_cmp_ne_u32_e32 vcc, s24, v12
	v_mov_b32_e32 v8, 0x7f80
	s_and_saveexec_b64 s[20:21], vcc
	s_cbranch_execz .LBB754_926
; %bb.925:                              ;   in Loop: Header=BB754_796 Depth=1
	v_and_b32_e32 v8, 7, v6
	v_ffbh_u32_e32 v20, v8
	v_min_u32_e32 v22, 32, v20
	v_subrev_u32_e32 v20, 28, v22
	v_lshlrev_b64 v[20:21], v20, v[6:7]
	v_lshrrev_b32_e32 v19, 3, v12
	v_sub_u32_e32 v6, 29, v22
	v_and_b32_e32 v20, 7, v20
	v_cmp_gt_u32_e32 vcc, 8, v12
	v_cndmask_b32_e32 v6, v19, v6, vcc
	v_cndmask_b32_e32 v8, v8, v20, vcc
	v_lshlrev_b32_e32 v12, 16, v4
	v_lshlrev_b32_e32 v8, 20, v8
	v_and_b32_e32 v12, 0x80000000, v12
	v_lshl_add_u32 v6, v6, 23, v10
	v_or3_b32 v6, v12, v6, v8
	v_lshrrev_b32_e32 v8, 16, v6
.LBB754_926:                            ;   in Loop: Header=BB754_796 Depth=1
	s_or_b64 exec, exec, s[20:21]
.LBB754_927:                            ;   in Loop: Header=BB754_796 Depth=1
	s_or_b64 exec, exec, s[18:19]
.LBB754_928:                            ;   in Loop: Header=BB754_796 Depth=1
	s_or_b64 exec, exec, s[16:17]
	v_lshrrev_b32_e32 v6, 16, v4
	v_cmp_ne_u16_sdwa s[18:19], v6, v9 src0_sel:BYTE_0 src1_sel:DWORD
	s_and_saveexec_b64 s[16:17], s[18:19]
	s_cbranch_execz .LBB754_934
; %bb.929:                              ;   in Loop: Header=BB754_796 Depth=1
	v_cmp_ne_u16_sdwa s[20:21], v6, s22 src0_sel:BYTE_0 src1_sel:DWORD
	v_mov_b32_e32 v18, 0xffff8000
	s_and_saveexec_b64 s[18:19], s[20:21]
	s_cbranch_execz .LBB754_933
; %bb.930:                              ;   in Loop: Header=BB754_796 Depth=1
	v_bfe_u32 v12, v4, 16, 7
	v_cmp_ne_u32_e32 vcc, s24, v12
	v_mov_b32_e32 v18, 0x7f80
	s_and_saveexec_b64 s[20:21], vcc
	s_cbranch_execz .LBB754_932
; %bb.931:                              ;   in Loop: Header=BB754_796 Depth=1
	v_and_b32_e32 v20, 7, v6
	v_ffbh_u32_e32 v18, v20
	v_min_u32_e32 v22, 32, v18
	v_subrev_u32_e32 v18, 28, v22
	v_lshlrev_b64 v[18:19], v18, v[6:7]
	v_lshrrev_b32_e32 v21, 3, v12
	v_sub_u32_e32 v19, 29, v22
	v_and_b32_e32 v18, 7, v18
	v_cmp_gt_u32_e32 vcc, 8, v12
	v_cndmask_b32_e32 v12, v21, v19, vcc
	v_cndmask_b32_e32 v18, v20, v18, vcc
	v_lshlrev_b32_e32 v6, 24, v6
	v_lshlrev_b32_e32 v18, 20, v18
	v_and_b32_e32 v6, 0x80000000, v6
	v_lshl_add_u32 v12, v12, 23, v10
	v_or3_b32 v6, v6, v12, v18
	v_lshrrev_b32_e32 v18, 16, v6
.LBB754_932:                            ;   in Loop: Header=BB754_796 Depth=1
	s_or_b64 exec, exec, s[20:21]
.LBB754_933:                            ;   in Loop: Header=BB754_796 Depth=1
	s_or_b64 exec, exec, s[18:19]
.LBB754_934:                            ;   in Loop: Header=BB754_796 Depth=1
	s_or_b64 exec, exec, s[16:17]
	v_cmp_lt_u32_e32 vcc, s25, v4
	v_mov_b32_e32 v12, 0
	v_mov_b32_e32 v19, 0
	s_and_saveexec_b64 s[16:17], vcc
	s_cbranch_execz .LBB754_940
; %bb.935:                              ;   in Loop: Header=BB754_796 Depth=1
	v_lshrrev_b32_e32 v6, 24, v4
	v_cmp_ne_u32_e32 vcc, s22, v6
	v_mov_b32_e32 v19, 0xffff8000
	s_and_saveexec_b64 s[18:19], vcc
	s_cbranch_execz .LBB754_939
; %bb.936:                              ;   in Loop: Header=BB754_796 Depth=1
	v_bfe_u32 v4, v4, 24, 7
	v_cmp_ne_u32_e32 vcc, s24, v4
	v_mov_b32_e32 v19, 0x7f80
	s_and_saveexec_b64 s[20:21], vcc
	s_cbranch_execz .LBB754_938
; %bb.937:                              ;   in Loop: Header=BB754_796 Depth=1
	v_and_b32_e32 v19, 7, v6
	v_ffbh_u32_e32 v20, v19
	v_min_u32_e32 v23, 32, v20
	v_subrev_u32_e32 v20, 28, v23
	v_lshlrev_b64 v[20:21], v20, v[6:7]
	v_lshrrev_b32_e32 v22, 3, v4
	v_sub_u32_e32 v21, 29, v23
	v_and_b32_e32 v20, 7, v20
	v_cmp_gt_u32_e32 vcc, 8, v4
	v_cndmask_b32_e32 v4, v22, v21, vcc
	v_cndmask_b32_e32 v19, v19, v20, vcc
	v_lshlrev_b32_e32 v6, 24, v6
	v_lshlrev_b32_e32 v19, 20, v19
	v_and_b32_e32 v6, 0x80000000, v6
	v_lshl_add_u32 v4, v4, 23, v10
	v_or3_b32 v4, v6, v4, v19
	v_lshrrev_b32_e32 v19, 16, v4
.LBB754_938:                            ;   in Loop: Header=BB754_796 Depth=1
	s_or_b64 exec, exec, s[20:21]
.LBB754_939:                            ;   in Loop: Header=BB754_796 Depth=1
	s_or_b64 exec, exec, s[18:19]
.LBB754_940:                            ;   in Loop: Header=BB754_796 Depth=1
	s_or_b64 exec, exec, s[16:17]
	buffer_load_dword v6, v11, s[0:3], 0 offen offset:24
	buffer_load_dword v4, v11, s[0:3], 0 offen offset:28
	v_perm_b32 v15, v17, v15, s26
	v_perm_b32 v14, v14, v13, s26
	;; [unrolled: 1-line block ×4, first 2 shown]
	v_mfma_f32_4x4x4bf16_1k a[0:3], v[2:3], v[14:15], a[0:3] cbsz:4 abid:4
	s_waitcnt vmcnt(1)
	v_cmp_ne_u16_sdwa s[18:19], v6, v9 src0_sel:BYTE_0 src1_sel:DWORD
	v_mfma_f32_4x4x4bf16_1k a[0:3], v[2:3], v[16:17], a[0:3] cbsz:4 abid:5
	s_and_saveexec_b64 s[16:17], s[18:19]
	s_cbranch_execz .LBB754_946
; %bb.941:                              ;   in Loop: Header=BB754_796 Depth=1
	v_cmp_ne_u16_sdwa s[20:21], v6, s22 src0_sel:BYTE_0 src1_sel:DWORD
	v_mov_b32_e32 v12, 0xffff8000
	s_and_saveexec_b64 s[18:19], s[20:21]
	s_cbranch_execz .LBB754_945
; %bb.942:                              ;   in Loop: Header=BB754_796 Depth=1
	v_and_b32_e32 v8, 0x7f, v6
	v_cmp_ne_u32_e32 vcc, s24, v8
	v_mov_b32_e32 v12, 0x7f80
	s_and_saveexec_b64 s[20:21], vcc
	s_cbranch_execz .LBB754_944
; %bb.943:                              ;   in Loop: Header=BB754_796 Depth=1
	v_and_b32_e32 v14, 7, v6
	v_ffbh_u32_e32 v12, v14
	v_min_u32_e32 v16, 32, v12
	v_subrev_u32_e32 v12, 28, v16
	v_lshlrev_b64 v[12:13], v12, v[6:7]
	v_lshrrev_b32_e32 v15, 3, v8
	v_sub_u32_e32 v13, 29, v16
	v_and_b32_e32 v12, 7, v12
	v_cmp_gt_u32_e32 vcc, 8, v8
	v_cndmask_b32_e32 v8, v15, v13, vcc
	v_cndmask_b32_e32 v12, v14, v12, vcc
	v_lshlrev_b32_e32 v13, 24, v6
	v_lshlrev_b32_e32 v12, 20, v12
	v_and_b32_e32 v13, 0x80000000, v13
	v_lshl_add_u32 v8, v8, 23, v10
	v_or3_b32 v8, v13, v8, v12
	v_lshrrev_b32_e32 v12, 16, v8
.LBB754_944:                            ;   in Loop: Header=BB754_796 Depth=1
	s_or_b64 exec, exec, s[20:21]
.LBB754_945:                            ;   in Loop: Header=BB754_796 Depth=1
	s_or_b64 exec, exec, s[18:19]
.LBB754_946:                            ;   in Loop: Header=BB754_796 Depth=1
	s_or_b64 exec, exec, s[16:17]
	v_lshrrev_b16_e32 v8, 8, v6
	v_cmp_ne_u16_e32 vcc, 0, v8
	v_mov_b32_e32 v15, 0
	v_mov_b32_e32 v14, 0
	s_and_saveexec_b64 s[16:17], vcc
	s_cbranch_execz .LBB754_952
; %bb.947:                              ;   in Loop: Header=BB754_796 Depth=1
	v_cmp_ne_u16_e32 vcc, s22, v8
	v_mov_b32_e32 v14, 0xffff8000
	s_and_saveexec_b64 s[18:19], vcc
	s_cbranch_execz .LBB754_951
; %bb.948:                              ;   in Loop: Header=BB754_796 Depth=1
	v_and_b32_e32 v13, 0x7f, v8
	v_cmp_ne_u32_e32 vcc, s24, v13
	v_mov_b32_e32 v14, 0x7f80
	s_and_saveexec_b64 s[20:21], vcc
	s_cbranch_execz .LBB754_950
; %bb.949:                              ;   in Loop: Header=BB754_796 Depth=1
	v_and_b32_e32 v14, 7, v8
	v_ffbh_u32_e32 v16, v14
	v_min_u32_e32 v19, 32, v16
	v_subrev_u32_e32 v16, 28, v19
	v_lshlrev_b64 v[16:17], v16, v[8:9]
	v_lshrrev_b32_e32 v18, 3, v13
	v_sub_u32_e32 v8, 29, v19
	v_and_b32_e32 v16, 7, v16
	v_cmp_gt_u32_e32 vcc, 8, v13
	v_cndmask_b32_e32 v8, v18, v8, vcc
	v_cndmask_b32_e32 v13, v14, v16, vcc
	v_lshlrev_b32_e32 v14, 16, v6
	v_lshlrev_b32_e32 v13, 20, v13
	v_and_b32_e32 v14, 0x80000000, v14
	v_lshl_add_u32 v8, v8, 23, v10
	v_or3_b32 v8, v14, v8, v13
	v_lshrrev_b32_e32 v14, 16, v8
.LBB754_950:                            ;   in Loop: Header=BB754_796 Depth=1
	s_or_b64 exec, exec, s[20:21]
.LBB754_951:                            ;   in Loop: Header=BB754_796 Depth=1
	s_or_b64 exec, exec, s[18:19]
.LBB754_952:                            ;   in Loop: Header=BB754_796 Depth=1
	s_or_b64 exec, exec, s[16:17]
	v_lshrrev_b32_e32 v8, 16, v6
	v_cmp_ne_u16_sdwa s[18:19], v8, v9 src0_sel:BYTE_0 src1_sel:DWORD
	s_and_saveexec_b64 s[16:17], s[18:19]
	s_cbranch_execz .LBB754_958
; %bb.953:                              ;   in Loop: Header=BB754_796 Depth=1
	v_cmp_ne_u16_sdwa s[20:21], v8, s22 src0_sel:BYTE_0 src1_sel:DWORD
	v_mov_b32_e32 v15, 0xffff8000
	s_and_saveexec_b64 s[18:19], s[20:21]
	s_cbranch_execz .LBB754_957
; %bb.954:                              ;   in Loop: Header=BB754_796 Depth=1
	v_bfe_u32 v13, v6, 16, 7
	v_cmp_ne_u32_e32 vcc, s24, v13
	v_mov_b32_e32 v15, 0x7f80
	s_and_saveexec_b64 s[20:21], vcc
	s_cbranch_execz .LBB754_956
; %bb.955:                              ;   in Loop: Header=BB754_796 Depth=1
	v_and_b32_e32 v15, 7, v8
	v_ffbh_u32_e32 v16, v15
	v_min_u32_e32 v19, 32, v16
	v_subrev_u32_e32 v16, 28, v19
	v_lshlrev_b64 v[16:17], v16, v[8:9]
	v_lshrrev_b32_e32 v18, 3, v13
	v_sub_u32_e32 v17, 29, v19
	v_and_b32_e32 v16, 7, v16
	v_cmp_gt_u32_e32 vcc, 8, v13
	v_cndmask_b32_e32 v13, v18, v17, vcc
	v_cndmask_b32_e32 v15, v15, v16, vcc
	v_lshlrev_b32_e32 v8, 24, v8
	v_lshlrev_b32_e32 v15, 20, v15
	v_and_b32_e32 v8, 0x80000000, v8
	v_lshl_add_u32 v13, v13, 23, v10
	v_or3_b32 v8, v8, v13, v15
	v_lshrrev_b32_e32 v15, 16, v8
.LBB754_956:                            ;   in Loop: Header=BB754_796 Depth=1
	s_or_b64 exec, exec, s[20:21]
.LBB754_957:                            ;   in Loop: Header=BB754_796 Depth=1
	s_or_b64 exec, exec, s[18:19]
.LBB754_958:                            ;   in Loop: Header=BB754_796 Depth=1
	s_or_b64 exec, exec, s[16:17]
	v_cmp_lt_u32_e32 vcc, s25, v6
	v_mov_b32_e32 v16, 0
	v_mov_b32_e32 v17, 0
	s_and_saveexec_b64 s[16:17], vcc
	s_cbranch_execz .LBB754_964
; %bb.959:                              ;   in Loop: Header=BB754_796 Depth=1
	v_lshrrev_b32_e32 v8, 24, v6
	v_cmp_ne_u32_e32 vcc, s22, v8
	v_mov_b32_e32 v17, 0xffff8000
	s_and_saveexec_b64 s[18:19], vcc
	s_cbranch_execz .LBB754_963
; %bb.960:                              ;   in Loop: Header=BB754_796 Depth=1
	v_bfe_u32 v6, v6, 24, 7
	v_cmp_ne_u32_e32 vcc, s24, v6
	v_mov_b32_e32 v17, 0x7f80
	s_and_saveexec_b64 s[20:21], vcc
	s_cbranch_execz .LBB754_962
; %bb.961:                              ;   in Loop: Header=BB754_796 Depth=1
	v_and_b32_e32 v13, 7, v8
	v_ffbh_u32_e32 v18, v13
	v_min_u32_e32 v20, 32, v18
	v_subrev_u32_e32 v18, 28, v20
	v_lshlrev_b64 v[18:19], v18, v[8:9]
	v_lshrrev_b32_e32 v17, 3, v6
	v_sub_u32_e32 v19, 29, v20
	v_and_b32_e32 v18, 7, v18
	v_cmp_gt_u32_e32 vcc, 8, v6
	v_cndmask_b32_e32 v6, v17, v19, vcc
	v_cndmask_b32_e32 v13, v13, v18, vcc
	v_lshlrev_b32_e32 v8, 24, v8
	v_lshlrev_b32_e32 v13, 20, v13
	v_and_b32_e32 v8, 0x80000000, v8
	v_lshl_add_u32 v6, v6, 23, v10
	v_or3_b32 v6, v8, v6, v13
	v_lshrrev_b32_e32 v17, 16, v6
.LBB754_962:                            ;   in Loop: Header=BB754_796 Depth=1
	s_or_b64 exec, exec, s[20:21]
.LBB754_963:                            ;   in Loop: Header=BB754_796 Depth=1
	s_or_b64 exec, exec, s[18:19]
.LBB754_964:                            ;   in Loop: Header=BB754_796 Depth=1
	s_or_b64 exec, exec, s[16:17]
	s_waitcnt vmcnt(0)
	v_cmp_ne_u16_sdwa s[18:19], v4, v9 src0_sel:BYTE_0 src1_sel:DWORD
	s_and_saveexec_b64 s[16:17], s[18:19]
	s_cbranch_execz .LBB754_970
; %bb.965:                              ;   in Loop: Header=BB754_796 Depth=1
	v_cmp_ne_u16_sdwa s[20:21], v4, s22 src0_sel:BYTE_0 src1_sel:DWORD
	v_mov_b32_e32 v16, 0xffff8000
	s_and_saveexec_b64 s[18:19], s[20:21]
	s_cbranch_execz .LBB754_969
; %bb.966:                              ;   in Loop: Header=BB754_796 Depth=1
	v_and_b32_e32 v6, 0x7f, v4
	v_cmp_ne_u32_e32 vcc, s24, v6
	v_mov_b32_e32 v16, 0x7f80
	s_and_saveexec_b64 s[20:21], vcc
	s_cbranch_execz .LBB754_968
; %bb.967:                              ;   in Loop: Header=BB754_796 Depth=1
	v_and_b32_e32 v8, 7, v4
	v_ffbh_u32_e32 v16, v8
	v_min_u32_e32 v16, 32, v16
	v_subrev_u32_e32 v18, 28, v16
	v_lshlrev_b64 v[18:19], v18, v[4:5]
	v_lshrrev_b32_e32 v13, 3, v6
	v_sub_u32_e32 v16, 29, v16
	v_and_b32_e32 v18, 7, v18
	v_cmp_gt_u32_e32 vcc, 8, v6
	v_cndmask_b32_e32 v6, v13, v16, vcc
	v_cndmask_b32_e32 v8, v8, v18, vcc
	v_lshlrev_b32_e32 v13, 24, v4
	v_lshlrev_b32_e32 v8, 20, v8
	v_and_b32_e32 v13, 0x80000000, v13
	v_lshl_add_u32 v6, v6, 23, v10
	v_or3_b32 v6, v13, v6, v8
	v_lshrrev_b32_e32 v16, 16, v6
.LBB754_968:                            ;   in Loop: Header=BB754_796 Depth=1
	s_or_b64 exec, exec, s[20:21]
.LBB754_969:                            ;   in Loop: Header=BB754_796 Depth=1
	s_or_b64 exec, exec, s[18:19]
.LBB754_970:                            ;   in Loop: Header=BB754_796 Depth=1
	s_or_b64 exec, exec, s[16:17]
	v_lshrrev_b16_e32 v6, 8, v4
	v_cmp_ne_u16_e32 vcc, 0, v6
	v_mov_b32_e32 v18, 0
	v_mov_b32_e32 v8, 0
	s_and_saveexec_b64 s[16:17], vcc
	s_cbranch_execz .LBB754_976
; %bb.971:                              ;   in Loop: Header=BB754_796 Depth=1
	v_cmp_ne_u16_e32 vcc, s22, v6
	v_mov_b32_e32 v8, 0xffff8000
	s_and_saveexec_b64 s[18:19], vcc
	s_cbranch_execz .LBB754_975
; %bb.972:                              ;   in Loop: Header=BB754_796 Depth=1
	v_and_b32_e32 v13, 0x7f, v6
	v_cmp_ne_u32_e32 vcc, s24, v13
	v_mov_b32_e32 v8, 0x7f80
	s_and_saveexec_b64 s[20:21], vcc
	s_cbranch_execz .LBB754_974
; %bb.973:                              ;   in Loop: Header=BB754_796 Depth=1
	v_and_b32_e32 v8, 7, v6
	v_ffbh_u32_e32 v20, v8
	v_min_u32_e32 v22, 32, v20
	v_subrev_u32_e32 v20, 28, v22
	v_lshlrev_b64 v[20:21], v20, v[6:7]
	v_lshrrev_b32_e32 v19, 3, v13
	v_sub_u32_e32 v6, 29, v22
	v_and_b32_e32 v20, 7, v20
	v_cmp_gt_u32_e32 vcc, 8, v13
	v_cndmask_b32_e32 v6, v19, v6, vcc
	v_cndmask_b32_e32 v8, v8, v20, vcc
	v_lshlrev_b32_e32 v13, 16, v4
	v_lshlrev_b32_e32 v8, 20, v8
	v_and_b32_e32 v13, 0x80000000, v13
	v_lshl_add_u32 v6, v6, 23, v10
	v_or3_b32 v6, v13, v6, v8
	v_lshrrev_b32_e32 v8, 16, v6
.LBB754_974:                            ;   in Loop: Header=BB754_796 Depth=1
	s_or_b64 exec, exec, s[20:21]
.LBB754_975:                            ;   in Loop: Header=BB754_796 Depth=1
	s_or_b64 exec, exec, s[18:19]
.LBB754_976:                            ;   in Loop: Header=BB754_796 Depth=1
	s_or_b64 exec, exec, s[16:17]
	v_lshrrev_b32_e32 v6, 16, v4
	v_cmp_ne_u16_sdwa s[18:19], v6, v9 src0_sel:BYTE_0 src1_sel:DWORD
	s_and_saveexec_b64 s[16:17], s[18:19]
	s_cbranch_execz .LBB754_982
; %bb.977:                              ;   in Loop: Header=BB754_796 Depth=1
	v_cmp_ne_u16_sdwa s[20:21], v6, s22 src0_sel:BYTE_0 src1_sel:DWORD
	v_mov_b32_e32 v18, 0xffff8000
	s_and_saveexec_b64 s[18:19], s[20:21]
	s_cbranch_execz .LBB754_981
; %bb.978:                              ;   in Loop: Header=BB754_796 Depth=1
	v_bfe_u32 v13, v4, 16, 7
	v_cmp_ne_u32_e32 vcc, s24, v13
	v_mov_b32_e32 v18, 0x7f80
	s_and_saveexec_b64 s[20:21], vcc
	s_cbranch_execz .LBB754_980
; %bb.979:                              ;   in Loop: Header=BB754_796 Depth=1
	v_and_b32_e32 v20, 7, v6
	v_ffbh_u32_e32 v18, v20
	v_min_u32_e32 v22, 32, v18
	v_subrev_u32_e32 v18, 28, v22
	v_lshlrev_b64 v[18:19], v18, v[6:7]
	v_lshrrev_b32_e32 v21, 3, v13
	v_sub_u32_e32 v19, 29, v22
	v_and_b32_e32 v18, 7, v18
	v_cmp_gt_u32_e32 vcc, 8, v13
	v_cndmask_b32_e32 v13, v21, v19, vcc
	v_cndmask_b32_e32 v18, v20, v18, vcc
	v_lshlrev_b32_e32 v6, 24, v6
	v_lshlrev_b32_e32 v18, 20, v18
	v_and_b32_e32 v6, 0x80000000, v6
	v_lshl_add_u32 v13, v13, 23, v10
	v_or3_b32 v6, v6, v13, v18
	v_lshrrev_b32_e32 v18, 16, v6
.LBB754_980:                            ;   in Loop: Header=BB754_796 Depth=1
	s_or_b64 exec, exec, s[20:21]
.LBB754_981:                            ;   in Loop: Header=BB754_796 Depth=1
	s_or_b64 exec, exec, s[18:19]
.LBB754_982:                            ;   in Loop: Header=BB754_796 Depth=1
	s_or_b64 exec, exec, s[16:17]
	v_cmp_lt_u32_e32 vcc, s25, v4
	v_mov_b32_e32 v13, 0
	v_mov_b32_e32 v19, 0
	s_and_saveexec_b64 s[16:17], vcc
	s_cbranch_execz .LBB754_988
; %bb.983:                              ;   in Loop: Header=BB754_796 Depth=1
	v_lshrrev_b32_e32 v6, 24, v4
	v_cmp_ne_u32_e32 vcc, s22, v6
	v_mov_b32_e32 v19, 0xffff8000
	s_and_saveexec_b64 s[18:19], vcc
	s_cbranch_execz .LBB754_987
; %bb.984:                              ;   in Loop: Header=BB754_796 Depth=1
	v_bfe_u32 v4, v4, 24, 7
	v_cmp_ne_u32_e32 vcc, s24, v4
	v_mov_b32_e32 v19, 0x7f80
	s_and_saveexec_b64 s[20:21], vcc
	s_cbranch_execz .LBB754_986
; %bb.985:                              ;   in Loop: Header=BB754_796 Depth=1
	v_and_b32_e32 v19, 7, v6
	v_ffbh_u32_e32 v20, v19
	v_min_u32_e32 v23, 32, v20
	v_subrev_u32_e32 v20, 28, v23
	v_lshlrev_b64 v[20:21], v20, v[6:7]
	v_lshrrev_b32_e32 v22, 3, v4
	v_sub_u32_e32 v21, 29, v23
	v_and_b32_e32 v20, 7, v20
	v_cmp_gt_u32_e32 vcc, 8, v4
	v_cndmask_b32_e32 v4, v22, v21, vcc
	v_cndmask_b32_e32 v19, v19, v20, vcc
	v_lshlrev_b32_e32 v6, 24, v6
	v_lshlrev_b32_e32 v19, 20, v19
	v_and_b32_e32 v6, 0x80000000, v6
	v_lshl_add_u32 v4, v4, 23, v10
	v_or3_b32 v4, v6, v4, v19
	v_lshrrev_b32_e32 v19, 16, v4
.LBB754_986:                            ;   in Loop: Header=BB754_796 Depth=1
	s_or_b64 exec, exec, s[20:21]
.LBB754_987:                            ;   in Loop: Header=BB754_796 Depth=1
	s_or_b64 exec, exec, s[18:19]
.LBB754_988:                            ;   in Loop: Header=BB754_796 Depth=1
	s_or_b64 exec, exec, s[16:17]
	buffer_load_dword v6, v11, s[0:3], 0 offen offset:32
	buffer_load_dword v4, v11, s[0:3], 0 offen offset:36
	v_perm_b32 v15, v17, v15, s26
	v_perm_b32 v14, v14, v12, s26
	;; [unrolled: 1-line block ×4, first 2 shown]
	v_mfma_f32_4x4x4bf16_1k a[0:3], v[2:3], v[14:15], a[0:3] cbsz:4 abid:6
	s_waitcnt vmcnt(1)
	v_cmp_ne_u16_sdwa s[18:19], v6, v9 src0_sel:BYTE_0 src1_sel:DWORD
	v_mfma_f32_4x4x4bf16_1k a[0:3], v[2:3], v[16:17], a[0:3] cbsz:4 abid:7
	s_and_saveexec_b64 s[16:17], s[18:19]
	s_cbranch_execz .LBB754_994
; %bb.989:                              ;   in Loop: Header=BB754_796 Depth=1
	v_cmp_ne_u16_sdwa s[20:21], v6, s22 src0_sel:BYTE_0 src1_sel:DWORD
	v_mov_b32_e32 v13, 0xffff8000
	s_and_saveexec_b64 s[18:19], s[20:21]
	s_cbranch_execz .LBB754_993
; %bb.990:                              ;   in Loop: Header=BB754_796 Depth=1
	v_and_b32_e32 v8, 0x7f, v6
	v_cmp_ne_u32_e32 vcc, s24, v8
	v_mov_b32_e32 v13, 0x7f80
	s_and_saveexec_b64 s[20:21], vcc
	s_cbranch_execz .LBB754_992
; %bb.991:                              ;   in Loop: Header=BB754_796 Depth=1
	v_and_b32_e32 v14, 7, v6
	v_ffbh_u32_e32 v12, v14
	v_min_u32_e32 v16, 32, v12
	v_subrev_u32_e32 v12, 28, v16
	v_lshlrev_b64 v[12:13], v12, v[6:7]
	v_lshrrev_b32_e32 v15, 3, v8
	v_sub_u32_e32 v13, 29, v16
	v_and_b32_e32 v12, 7, v12
	v_cmp_gt_u32_e32 vcc, 8, v8
	v_cndmask_b32_e32 v8, v15, v13, vcc
	v_cndmask_b32_e32 v12, v14, v12, vcc
	v_lshlrev_b32_e32 v13, 24, v6
	v_lshlrev_b32_e32 v12, 20, v12
	v_and_b32_e32 v13, 0x80000000, v13
	v_lshl_add_u32 v8, v8, 23, v10
	v_or3_b32 v8, v13, v8, v12
	v_lshrrev_b32_e32 v13, 16, v8
.LBB754_992:                            ;   in Loop: Header=BB754_796 Depth=1
	s_or_b64 exec, exec, s[20:21]
.LBB754_993:                            ;   in Loop: Header=BB754_796 Depth=1
	s_or_b64 exec, exec, s[18:19]
.LBB754_994:                            ;   in Loop: Header=BB754_796 Depth=1
	s_or_b64 exec, exec, s[16:17]
	v_lshrrev_b16_e32 v8, 8, v6
	v_cmp_ne_u16_e32 vcc, 0, v8
	v_mov_b32_e32 v15, 0
	v_mov_b32_e32 v12, 0
	s_and_saveexec_b64 s[16:17], vcc
	s_cbranch_execz .LBB754_1000
; %bb.995:                              ;   in Loop: Header=BB754_796 Depth=1
	v_cmp_ne_u16_e32 vcc, s22, v8
	v_mov_b32_e32 v12, 0xffff8000
	s_and_saveexec_b64 s[18:19], vcc
	s_cbranch_execz .LBB754_999
; %bb.996:                              ;   in Loop: Header=BB754_796 Depth=1
	v_and_b32_e32 v14, 0x7f, v8
	v_cmp_ne_u32_e32 vcc, s24, v14
	v_mov_b32_e32 v12, 0x7f80
	s_and_saveexec_b64 s[20:21], vcc
	s_cbranch_execz .LBB754_998
; %bb.997:                              ;   in Loop: Header=BB754_796 Depth=1
	v_and_b32_e32 v12, 7, v8
	v_ffbh_u32_e32 v16, v12
	v_min_u32_e32 v19, 32, v16
	v_subrev_u32_e32 v16, 28, v19
	v_lshlrev_b64 v[16:17], v16, v[8:9]
	v_lshrrev_b32_e32 v18, 3, v14
	v_sub_u32_e32 v8, 29, v19
	v_and_b32_e32 v16, 7, v16
	v_cmp_gt_u32_e32 vcc, 8, v14
	v_cndmask_b32_e32 v8, v18, v8, vcc
	v_cndmask_b32_e32 v12, v12, v16, vcc
	v_lshlrev_b32_e32 v14, 16, v6
	v_lshlrev_b32_e32 v12, 20, v12
	v_and_b32_e32 v14, 0x80000000, v14
	v_lshl_add_u32 v8, v8, 23, v10
	v_or3_b32 v8, v14, v8, v12
	v_lshrrev_b32_e32 v12, 16, v8
.LBB754_998:                            ;   in Loop: Header=BB754_796 Depth=1
	s_or_b64 exec, exec, s[20:21]
.LBB754_999:                            ;   in Loop: Header=BB754_796 Depth=1
	s_or_b64 exec, exec, s[18:19]
.LBB754_1000:                           ;   in Loop: Header=BB754_796 Depth=1
	s_or_b64 exec, exec, s[16:17]
	v_lshrrev_b32_e32 v8, 16, v6
	v_cmp_ne_u16_sdwa s[18:19], v8, v9 src0_sel:BYTE_0 src1_sel:DWORD
	s_and_saveexec_b64 s[16:17], s[18:19]
	s_cbranch_execz .LBB754_1006
; %bb.1001:                             ;   in Loop: Header=BB754_796 Depth=1
	v_cmp_ne_u16_sdwa s[20:21], v8, s22 src0_sel:BYTE_0 src1_sel:DWORD
	v_mov_b32_e32 v15, 0xffff8000
	s_and_saveexec_b64 s[18:19], s[20:21]
	s_cbranch_execz .LBB754_1005
; %bb.1002:                             ;   in Loop: Header=BB754_796 Depth=1
	v_bfe_u32 v14, v6, 16, 7
	v_cmp_ne_u32_e32 vcc, s24, v14
	v_mov_b32_e32 v15, 0x7f80
	s_and_saveexec_b64 s[20:21], vcc
	s_cbranch_execz .LBB754_1004
; %bb.1003:                             ;   in Loop: Header=BB754_796 Depth=1
	v_and_b32_e32 v15, 7, v8
	v_ffbh_u32_e32 v16, v15
	v_min_u32_e32 v19, 32, v16
	v_subrev_u32_e32 v16, 28, v19
	v_lshlrev_b64 v[16:17], v16, v[8:9]
	v_lshrrev_b32_e32 v18, 3, v14
	v_sub_u32_e32 v17, 29, v19
	v_and_b32_e32 v16, 7, v16
	v_cmp_gt_u32_e32 vcc, 8, v14
	v_cndmask_b32_e32 v14, v18, v17, vcc
	v_cndmask_b32_e32 v15, v15, v16, vcc
	v_lshlrev_b32_e32 v8, 24, v8
	v_lshlrev_b32_e32 v15, 20, v15
	v_and_b32_e32 v8, 0x80000000, v8
	v_lshl_add_u32 v14, v14, 23, v10
	v_or3_b32 v8, v8, v14, v15
	v_lshrrev_b32_e32 v15, 16, v8
.LBB754_1004:                           ;   in Loop: Header=BB754_796 Depth=1
	s_or_b64 exec, exec, s[20:21]
.LBB754_1005:                           ;   in Loop: Header=BB754_796 Depth=1
	s_or_b64 exec, exec, s[18:19]
.LBB754_1006:                           ;   in Loop: Header=BB754_796 Depth=1
	s_or_b64 exec, exec, s[16:17]
	v_cmp_lt_u32_e32 vcc, s25, v6
	v_mov_b32_e32 v16, 0
	v_mov_b32_e32 v17, 0
	s_and_saveexec_b64 s[16:17], vcc
	s_cbranch_execz .LBB754_1012
; %bb.1007:                             ;   in Loop: Header=BB754_796 Depth=1
	v_lshrrev_b32_e32 v8, 24, v6
	v_cmp_ne_u32_e32 vcc, s22, v8
	v_mov_b32_e32 v17, 0xffff8000
	s_and_saveexec_b64 s[18:19], vcc
	s_cbranch_execz .LBB754_1011
; %bb.1008:                             ;   in Loop: Header=BB754_796 Depth=1
	v_bfe_u32 v6, v6, 24, 7
	v_cmp_ne_u32_e32 vcc, s24, v6
	v_mov_b32_e32 v17, 0x7f80
	s_and_saveexec_b64 s[20:21], vcc
	s_cbranch_execz .LBB754_1010
; %bb.1009:                             ;   in Loop: Header=BB754_796 Depth=1
	v_and_b32_e32 v14, 7, v8
	v_ffbh_u32_e32 v18, v14
	v_min_u32_e32 v20, 32, v18
	v_subrev_u32_e32 v18, 28, v20
	v_lshlrev_b64 v[18:19], v18, v[8:9]
	v_lshrrev_b32_e32 v17, 3, v6
	v_sub_u32_e32 v19, 29, v20
	v_and_b32_e32 v18, 7, v18
	v_cmp_gt_u32_e32 vcc, 8, v6
	v_cndmask_b32_e32 v6, v17, v19, vcc
	v_cndmask_b32_e32 v14, v14, v18, vcc
	v_lshlrev_b32_e32 v8, 24, v8
	v_lshlrev_b32_e32 v14, 20, v14
	v_and_b32_e32 v8, 0x80000000, v8
	v_lshl_add_u32 v6, v6, 23, v10
	v_or3_b32 v6, v8, v6, v14
	v_lshrrev_b32_e32 v17, 16, v6
.LBB754_1010:                           ;   in Loop: Header=BB754_796 Depth=1
	s_or_b64 exec, exec, s[20:21]
.LBB754_1011:                           ;   in Loop: Header=BB754_796 Depth=1
	s_or_b64 exec, exec, s[18:19]
.LBB754_1012:                           ;   in Loop: Header=BB754_796 Depth=1
	s_or_b64 exec, exec, s[16:17]
	s_waitcnt vmcnt(0)
	v_cmp_ne_u16_sdwa s[18:19], v4, v9 src0_sel:BYTE_0 src1_sel:DWORD
	s_and_saveexec_b64 s[16:17], s[18:19]
	s_cbranch_execz .LBB754_1018
; %bb.1013:                             ;   in Loop: Header=BB754_796 Depth=1
	v_cmp_ne_u16_sdwa s[20:21], v4, s22 src0_sel:BYTE_0 src1_sel:DWORD
	v_mov_b32_e32 v16, 0xffff8000
	s_and_saveexec_b64 s[18:19], s[20:21]
	s_cbranch_execz .LBB754_1017
; %bb.1014:                             ;   in Loop: Header=BB754_796 Depth=1
	v_and_b32_e32 v6, 0x7f, v4
	v_cmp_ne_u32_e32 vcc, s24, v6
	v_mov_b32_e32 v16, 0x7f80
	s_and_saveexec_b64 s[20:21], vcc
	s_cbranch_execz .LBB754_1016
; %bb.1015:                             ;   in Loop: Header=BB754_796 Depth=1
	v_and_b32_e32 v8, 7, v4
	v_ffbh_u32_e32 v16, v8
	v_min_u32_e32 v16, 32, v16
	v_subrev_u32_e32 v18, 28, v16
	v_lshlrev_b64 v[18:19], v18, v[4:5]
	v_lshrrev_b32_e32 v14, 3, v6
	v_sub_u32_e32 v16, 29, v16
	v_and_b32_e32 v18, 7, v18
	v_cmp_gt_u32_e32 vcc, 8, v6
	v_cndmask_b32_e32 v6, v14, v16, vcc
	v_cndmask_b32_e32 v8, v8, v18, vcc
	v_lshlrev_b32_e32 v14, 24, v4
	v_lshlrev_b32_e32 v8, 20, v8
	v_and_b32_e32 v14, 0x80000000, v14
	v_lshl_add_u32 v6, v6, 23, v10
	v_or3_b32 v6, v14, v6, v8
	v_lshrrev_b32_e32 v16, 16, v6
.LBB754_1016:                           ;   in Loop: Header=BB754_796 Depth=1
	s_or_b64 exec, exec, s[20:21]
.LBB754_1017:                           ;   in Loop: Header=BB754_796 Depth=1
	s_or_b64 exec, exec, s[18:19]
.LBB754_1018:                           ;   in Loop: Header=BB754_796 Depth=1
	s_or_b64 exec, exec, s[16:17]
	v_lshrrev_b16_e32 v6, 8, v4
	v_cmp_ne_u16_e32 vcc, 0, v6
	v_mov_b32_e32 v18, 0
	v_mov_b32_e32 v8, 0
	s_and_saveexec_b64 s[16:17], vcc
	s_cbranch_execz .LBB754_1024
; %bb.1019:                             ;   in Loop: Header=BB754_796 Depth=1
	v_cmp_ne_u16_e32 vcc, s22, v6
	v_mov_b32_e32 v8, 0xffff8000
	s_and_saveexec_b64 s[18:19], vcc
	s_cbranch_execz .LBB754_1023
; %bb.1020:                             ;   in Loop: Header=BB754_796 Depth=1
	v_and_b32_e32 v14, 0x7f, v6
	v_cmp_ne_u32_e32 vcc, s24, v14
	v_mov_b32_e32 v8, 0x7f80
	s_and_saveexec_b64 s[20:21], vcc
	s_cbranch_execz .LBB754_1022
; %bb.1021:                             ;   in Loop: Header=BB754_796 Depth=1
	v_and_b32_e32 v8, 7, v6
	v_ffbh_u32_e32 v20, v8
	v_min_u32_e32 v22, 32, v20
	v_subrev_u32_e32 v20, 28, v22
	v_lshlrev_b64 v[20:21], v20, v[6:7]
	v_lshrrev_b32_e32 v19, 3, v14
	v_sub_u32_e32 v6, 29, v22
	v_and_b32_e32 v20, 7, v20
	v_cmp_gt_u32_e32 vcc, 8, v14
	v_cndmask_b32_e32 v6, v19, v6, vcc
	v_cndmask_b32_e32 v8, v8, v20, vcc
	v_lshlrev_b32_e32 v14, 16, v4
	v_lshlrev_b32_e32 v8, 20, v8
	v_and_b32_e32 v14, 0x80000000, v14
	v_lshl_add_u32 v6, v6, 23, v10
	v_or3_b32 v6, v14, v6, v8
	v_lshrrev_b32_e32 v8, 16, v6
.LBB754_1022:                           ;   in Loop: Header=BB754_796 Depth=1
	s_or_b64 exec, exec, s[20:21]
.LBB754_1023:                           ;   in Loop: Header=BB754_796 Depth=1
	s_or_b64 exec, exec, s[18:19]
.LBB754_1024:                           ;   in Loop: Header=BB754_796 Depth=1
	s_or_b64 exec, exec, s[16:17]
	v_lshrrev_b32_e32 v6, 16, v4
	v_cmp_ne_u16_sdwa s[18:19], v6, v9 src0_sel:BYTE_0 src1_sel:DWORD
	s_and_saveexec_b64 s[16:17], s[18:19]
	s_cbranch_execz .LBB754_1030
; %bb.1025:                             ;   in Loop: Header=BB754_796 Depth=1
	v_cmp_ne_u16_sdwa s[20:21], v6, s22 src0_sel:BYTE_0 src1_sel:DWORD
	v_mov_b32_e32 v18, 0xffff8000
	s_and_saveexec_b64 s[18:19], s[20:21]
	s_cbranch_execz .LBB754_1029
; %bb.1026:                             ;   in Loop: Header=BB754_796 Depth=1
	v_bfe_u32 v14, v4, 16, 7
	v_cmp_ne_u32_e32 vcc, s24, v14
	v_mov_b32_e32 v18, 0x7f80
	s_and_saveexec_b64 s[20:21], vcc
	s_cbranch_execz .LBB754_1028
; %bb.1027:                             ;   in Loop: Header=BB754_796 Depth=1
	v_and_b32_e32 v20, 7, v6
	v_ffbh_u32_e32 v18, v20
	v_min_u32_e32 v22, 32, v18
	v_subrev_u32_e32 v18, 28, v22
	v_lshlrev_b64 v[18:19], v18, v[6:7]
	v_lshrrev_b32_e32 v21, 3, v14
	v_sub_u32_e32 v19, 29, v22
	v_and_b32_e32 v18, 7, v18
	v_cmp_gt_u32_e32 vcc, 8, v14
	v_cndmask_b32_e32 v14, v21, v19, vcc
	v_cndmask_b32_e32 v18, v20, v18, vcc
	v_lshlrev_b32_e32 v6, 24, v6
	v_lshlrev_b32_e32 v18, 20, v18
	v_and_b32_e32 v6, 0x80000000, v6
	v_lshl_add_u32 v14, v14, 23, v10
	v_or3_b32 v6, v6, v14, v18
	v_lshrrev_b32_e32 v18, 16, v6
.LBB754_1028:                           ;   in Loop: Header=BB754_796 Depth=1
	s_or_b64 exec, exec, s[20:21]
.LBB754_1029:                           ;   in Loop: Header=BB754_796 Depth=1
	s_or_b64 exec, exec, s[18:19]
.LBB754_1030:                           ;   in Loop: Header=BB754_796 Depth=1
	s_or_b64 exec, exec, s[16:17]
	v_cmp_lt_u32_e32 vcc, s25, v4
	v_mov_b32_e32 v14, 0
	v_mov_b32_e32 v19, 0
	s_and_saveexec_b64 s[16:17], vcc
	s_cbranch_execz .LBB754_1036
; %bb.1031:                             ;   in Loop: Header=BB754_796 Depth=1
	v_lshrrev_b32_e32 v6, 24, v4
	v_cmp_ne_u32_e32 vcc, s22, v6
	v_mov_b32_e32 v19, 0xffff8000
	s_and_saveexec_b64 s[18:19], vcc
	s_cbranch_execz .LBB754_1035
; %bb.1032:                             ;   in Loop: Header=BB754_796 Depth=1
	v_bfe_u32 v4, v4, 24, 7
	v_cmp_ne_u32_e32 vcc, s24, v4
	v_mov_b32_e32 v19, 0x7f80
	s_and_saveexec_b64 s[20:21], vcc
	s_cbranch_execz .LBB754_1034
; %bb.1033:                             ;   in Loop: Header=BB754_796 Depth=1
	v_and_b32_e32 v19, 7, v6
	v_ffbh_u32_e32 v20, v19
	v_min_u32_e32 v23, 32, v20
	v_subrev_u32_e32 v20, 28, v23
	v_lshlrev_b64 v[20:21], v20, v[6:7]
	v_lshrrev_b32_e32 v22, 3, v4
	v_sub_u32_e32 v21, 29, v23
	v_and_b32_e32 v20, 7, v20
	v_cmp_gt_u32_e32 vcc, 8, v4
	v_cndmask_b32_e32 v4, v22, v21, vcc
	v_cndmask_b32_e32 v19, v19, v20, vcc
	v_lshlrev_b32_e32 v6, 24, v6
	v_lshlrev_b32_e32 v19, 20, v19
	v_and_b32_e32 v6, 0x80000000, v6
	v_lshl_add_u32 v4, v4, 23, v10
	v_or3_b32 v4, v6, v4, v19
	v_lshrrev_b32_e32 v19, 16, v4
.LBB754_1034:                           ;   in Loop: Header=BB754_796 Depth=1
	s_or_b64 exec, exec, s[20:21]
.LBB754_1035:                           ;   in Loop: Header=BB754_796 Depth=1
	s_or_b64 exec, exec, s[18:19]
.LBB754_1036:                           ;   in Loop: Header=BB754_796 Depth=1
	s_or_b64 exec, exec, s[16:17]
	buffer_load_dword v6, v11, s[0:3], 0 offen offset:40
	buffer_load_dword v4, v11, s[0:3], 0 offen offset:44
	v_perm_b32 v21, v17, v15, s26
	v_perm_b32 v20, v12, v13, s26
	;; [unrolled: 1-line block ×4, first 2 shown]
	v_mfma_f32_4x4x4bf16_1k a[0:3], v[2:3], v[20:21], a[0:3] cbsz:4 abid:8
	s_waitcnt vmcnt(1)
	v_cmp_ne_u16_sdwa s[18:19], v6, v9 src0_sel:BYTE_0 src1_sel:DWORD
	v_mfma_f32_4x4x4bf16_1k a[0:3], v[2:3], v[12:13], a[0:3] cbsz:4 abid:9
	s_and_saveexec_b64 s[16:17], s[18:19]
	s_cbranch_execz .LBB754_1042
; %bb.1037:                             ;   in Loop: Header=BB754_796 Depth=1
	v_cmp_ne_u16_sdwa s[20:21], v6, s22 src0_sel:BYTE_0 src1_sel:DWORD
	v_mov_b32_e32 v14, 0xffff8000
	s_and_saveexec_b64 s[18:19], s[20:21]
	s_cbranch_execz .LBB754_1041
; %bb.1038:                             ;   in Loop: Header=BB754_796 Depth=1
	v_and_b32_e32 v8, 0x7f, v6
	v_cmp_ne_u32_e32 vcc, s24, v8
	v_mov_b32_e32 v14, 0x7f80
	s_and_saveexec_b64 s[20:21], vcc
	s_cbranch_execz .LBB754_1040
; %bb.1039:                             ;   in Loop: Header=BB754_796 Depth=1
	v_and_b32_e32 v14, 7, v6
	v_ffbh_u32_e32 v12, v14
	v_min_u32_e32 v16, 32, v12
	v_subrev_u32_e32 v12, 28, v16
	v_lshlrev_b64 v[12:13], v12, v[6:7]
	v_lshrrev_b32_e32 v15, 3, v8
	v_sub_u32_e32 v13, 29, v16
	v_and_b32_e32 v12, 7, v12
	v_cmp_gt_u32_e32 vcc, 8, v8
	v_cndmask_b32_e32 v8, v15, v13, vcc
	v_cndmask_b32_e32 v12, v14, v12, vcc
	v_lshlrev_b32_e32 v13, 24, v6
	v_lshlrev_b32_e32 v12, 20, v12
	v_and_b32_e32 v13, 0x80000000, v13
	v_lshl_add_u32 v8, v8, 23, v10
	v_or3_b32 v8, v13, v8, v12
	v_lshrrev_b32_e32 v14, 16, v8
.LBB754_1040:                           ;   in Loop: Header=BB754_796 Depth=1
	s_or_b64 exec, exec, s[20:21]
.LBB754_1041:                           ;   in Loop: Header=BB754_796 Depth=1
	s_or_b64 exec, exec, s[18:19]
.LBB754_1042:                           ;   in Loop: Header=BB754_796 Depth=1
	s_or_b64 exec, exec, s[16:17]
	v_lshrrev_b16_e32 v8, 8, v6
	v_cmp_ne_u16_e32 vcc, 0, v8
	v_mov_b32_e32 v15, 0
	v_mov_b32_e32 v13, 0
	s_and_saveexec_b64 s[16:17], vcc
	s_cbranch_execz .LBB754_1048
; %bb.1043:                             ;   in Loop: Header=BB754_796 Depth=1
	v_cmp_ne_u16_e32 vcc, s22, v8
	v_mov_b32_e32 v13, 0xffff8000
	s_and_saveexec_b64 s[18:19], vcc
	s_cbranch_execz .LBB754_1047
; %bb.1044:                             ;   in Loop: Header=BB754_796 Depth=1
	v_and_b32_e32 v12, 0x7f, v8
	v_cmp_ne_u32_e32 vcc, s24, v12
	v_mov_b32_e32 v13, 0x7f80
	s_and_saveexec_b64 s[20:21], vcc
	s_cbranch_execz .LBB754_1046
; %bb.1045:                             ;   in Loop: Header=BB754_796 Depth=1
	v_and_b32_e32 v13, 7, v8
	v_ffbh_u32_e32 v16, v13
	v_min_u32_e32 v19, 32, v16
	v_subrev_u32_e32 v16, 28, v19
	v_lshlrev_b64 v[16:17], v16, v[8:9]
	v_lshrrev_b32_e32 v18, 3, v12
	v_sub_u32_e32 v8, 29, v19
	v_and_b32_e32 v16, 7, v16
	v_cmp_gt_u32_e32 vcc, 8, v12
	v_cndmask_b32_e32 v8, v18, v8, vcc
	v_cndmask_b32_e32 v12, v13, v16, vcc
	v_lshlrev_b32_e32 v13, 16, v6
	v_lshlrev_b32_e32 v12, 20, v12
	v_and_b32_e32 v13, 0x80000000, v13
	v_lshl_add_u32 v8, v8, 23, v10
	v_or3_b32 v8, v13, v8, v12
	v_lshrrev_b32_e32 v13, 16, v8
.LBB754_1046:                           ;   in Loop: Header=BB754_796 Depth=1
	s_or_b64 exec, exec, s[20:21]
.LBB754_1047:                           ;   in Loop: Header=BB754_796 Depth=1
	s_or_b64 exec, exec, s[18:19]
.LBB754_1048:                           ;   in Loop: Header=BB754_796 Depth=1
	s_or_b64 exec, exec, s[16:17]
	v_lshrrev_b32_e32 v8, 16, v6
	v_cmp_ne_u16_sdwa s[18:19], v8, v9 src0_sel:BYTE_0 src1_sel:DWORD
	s_and_saveexec_b64 s[16:17], s[18:19]
	s_cbranch_execz .LBB754_1054
; %bb.1049:                             ;   in Loop: Header=BB754_796 Depth=1
	v_cmp_ne_u16_sdwa s[20:21], v8, s22 src0_sel:BYTE_0 src1_sel:DWORD
	v_mov_b32_e32 v15, 0xffff8000
	s_and_saveexec_b64 s[18:19], s[20:21]
	s_cbranch_execz .LBB754_1053
; %bb.1050:                             ;   in Loop: Header=BB754_796 Depth=1
	v_bfe_u32 v12, v6, 16, 7
	v_cmp_ne_u32_e32 vcc, s24, v12
	v_mov_b32_e32 v15, 0x7f80
	s_and_saveexec_b64 s[20:21], vcc
	s_cbranch_execz .LBB754_1052
; %bb.1051:                             ;   in Loop: Header=BB754_796 Depth=1
	v_and_b32_e32 v15, 7, v8
	v_ffbh_u32_e32 v16, v15
	v_min_u32_e32 v19, 32, v16
	v_subrev_u32_e32 v16, 28, v19
	v_lshlrev_b64 v[16:17], v16, v[8:9]
	v_lshrrev_b32_e32 v18, 3, v12
	v_sub_u32_e32 v17, 29, v19
	v_and_b32_e32 v16, 7, v16
	v_cmp_gt_u32_e32 vcc, 8, v12
	v_cndmask_b32_e32 v12, v18, v17, vcc
	v_cndmask_b32_e32 v15, v15, v16, vcc
	v_lshlrev_b32_e32 v8, 24, v8
	v_lshlrev_b32_e32 v15, 20, v15
	v_and_b32_e32 v8, 0x80000000, v8
	v_lshl_add_u32 v12, v12, 23, v10
	v_or3_b32 v8, v8, v12, v15
	v_lshrrev_b32_e32 v15, 16, v8
.LBB754_1052:                           ;   in Loop: Header=BB754_796 Depth=1
	s_or_b64 exec, exec, s[20:21]
.LBB754_1053:                           ;   in Loop: Header=BB754_796 Depth=1
	s_or_b64 exec, exec, s[18:19]
.LBB754_1054:                           ;   in Loop: Header=BB754_796 Depth=1
	s_or_b64 exec, exec, s[16:17]
	v_cmp_lt_u32_e32 vcc, s25, v6
	v_mov_b32_e32 v16, 0
	v_mov_b32_e32 v17, 0
	s_and_saveexec_b64 s[16:17], vcc
	s_cbranch_execz .LBB754_1060
; %bb.1055:                             ;   in Loop: Header=BB754_796 Depth=1
	v_lshrrev_b32_e32 v8, 24, v6
	v_cmp_ne_u32_e32 vcc, s22, v8
	v_mov_b32_e32 v17, 0xffff8000
	s_and_saveexec_b64 s[18:19], vcc
	s_cbranch_execz .LBB754_1059
; %bb.1056:                             ;   in Loop: Header=BB754_796 Depth=1
	v_bfe_u32 v6, v6, 24, 7
	v_cmp_ne_u32_e32 vcc, s24, v6
	v_mov_b32_e32 v17, 0x7f80
	s_and_saveexec_b64 s[20:21], vcc
	s_cbranch_execz .LBB754_1058
; %bb.1057:                             ;   in Loop: Header=BB754_796 Depth=1
	v_and_b32_e32 v12, 7, v8
	v_ffbh_u32_e32 v18, v12
	v_min_u32_e32 v20, 32, v18
	v_subrev_u32_e32 v18, 28, v20
	v_lshlrev_b64 v[18:19], v18, v[8:9]
	v_lshrrev_b32_e32 v17, 3, v6
	v_sub_u32_e32 v19, 29, v20
	v_and_b32_e32 v18, 7, v18
	v_cmp_gt_u32_e32 vcc, 8, v6
	v_cndmask_b32_e32 v6, v17, v19, vcc
	v_cndmask_b32_e32 v12, v12, v18, vcc
	v_lshlrev_b32_e32 v8, 24, v8
	v_lshlrev_b32_e32 v12, 20, v12
	v_and_b32_e32 v8, 0x80000000, v8
	v_lshl_add_u32 v6, v6, 23, v10
	v_or3_b32 v6, v8, v6, v12
	v_lshrrev_b32_e32 v17, 16, v6
.LBB754_1058:                           ;   in Loop: Header=BB754_796 Depth=1
	s_or_b64 exec, exec, s[20:21]
.LBB754_1059:                           ;   in Loop: Header=BB754_796 Depth=1
	s_or_b64 exec, exec, s[18:19]
.LBB754_1060:                           ;   in Loop: Header=BB754_796 Depth=1
	s_or_b64 exec, exec, s[16:17]
	s_waitcnt vmcnt(0)
	v_cmp_ne_u16_sdwa s[18:19], v4, v9 src0_sel:BYTE_0 src1_sel:DWORD
	s_and_saveexec_b64 s[16:17], s[18:19]
	s_cbranch_execz .LBB754_1066
; %bb.1061:                             ;   in Loop: Header=BB754_796 Depth=1
	v_cmp_ne_u16_sdwa s[20:21], v4, s22 src0_sel:BYTE_0 src1_sel:DWORD
	v_mov_b32_e32 v16, 0xffff8000
	s_and_saveexec_b64 s[18:19], s[20:21]
	s_cbranch_execz .LBB754_1065
; %bb.1062:                             ;   in Loop: Header=BB754_796 Depth=1
	v_and_b32_e32 v6, 0x7f, v4
	v_cmp_ne_u32_e32 vcc, s24, v6
	v_mov_b32_e32 v16, 0x7f80
	s_and_saveexec_b64 s[20:21], vcc
	s_cbranch_execz .LBB754_1064
; %bb.1063:                             ;   in Loop: Header=BB754_796 Depth=1
	v_and_b32_e32 v8, 7, v4
	v_ffbh_u32_e32 v16, v8
	v_min_u32_e32 v16, 32, v16
	v_subrev_u32_e32 v18, 28, v16
	v_lshlrev_b64 v[18:19], v18, v[4:5]
	v_lshrrev_b32_e32 v12, 3, v6
	v_sub_u32_e32 v16, 29, v16
	v_and_b32_e32 v18, 7, v18
	v_cmp_gt_u32_e32 vcc, 8, v6
	v_cndmask_b32_e32 v6, v12, v16, vcc
	v_cndmask_b32_e32 v8, v8, v18, vcc
	v_lshlrev_b32_e32 v12, 24, v4
	v_lshlrev_b32_e32 v8, 20, v8
	v_and_b32_e32 v12, 0x80000000, v12
	v_lshl_add_u32 v6, v6, 23, v10
	v_or3_b32 v6, v12, v6, v8
	v_lshrrev_b32_e32 v16, 16, v6
.LBB754_1064:                           ;   in Loop: Header=BB754_796 Depth=1
	s_or_b64 exec, exec, s[20:21]
.LBB754_1065:                           ;   in Loop: Header=BB754_796 Depth=1
	s_or_b64 exec, exec, s[18:19]
.LBB754_1066:                           ;   in Loop: Header=BB754_796 Depth=1
	s_or_b64 exec, exec, s[16:17]
	v_lshrrev_b16_e32 v6, 8, v4
	v_cmp_ne_u16_e32 vcc, 0, v6
	v_mov_b32_e32 v18, 0
	v_mov_b32_e32 v8, 0
	s_and_saveexec_b64 s[16:17], vcc
	s_cbranch_execz .LBB754_1072
; %bb.1067:                             ;   in Loop: Header=BB754_796 Depth=1
	v_cmp_ne_u16_e32 vcc, s22, v6
	v_mov_b32_e32 v8, 0xffff8000
	s_and_saveexec_b64 s[18:19], vcc
	s_cbranch_execz .LBB754_1071
; %bb.1068:                             ;   in Loop: Header=BB754_796 Depth=1
	v_and_b32_e32 v12, 0x7f, v6
	v_cmp_ne_u32_e32 vcc, s24, v12
	v_mov_b32_e32 v8, 0x7f80
	s_and_saveexec_b64 s[20:21], vcc
	s_cbranch_execz .LBB754_1070
; %bb.1069:                             ;   in Loop: Header=BB754_796 Depth=1
	v_and_b32_e32 v8, 7, v6
	v_ffbh_u32_e32 v20, v8
	v_min_u32_e32 v22, 32, v20
	v_subrev_u32_e32 v20, 28, v22
	v_lshlrev_b64 v[20:21], v20, v[6:7]
	v_lshrrev_b32_e32 v19, 3, v12
	v_sub_u32_e32 v6, 29, v22
	v_and_b32_e32 v20, 7, v20
	v_cmp_gt_u32_e32 vcc, 8, v12
	v_cndmask_b32_e32 v6, v19, v6, vcc
	v_cndmask_b32_e32 v8, v8, v20, vcc
	v_lshlrev_b32_e32 v12, 16, v4
	v_lshlrev_b32_e32 v8, 20, v8
	v_and_b32_e32 v12, 0x80000000, v12
	v_lshl_add_u32 v6, v6, 23, v10
	v_or3_b32 v6, v12, v6, v8
	v_lshrrev_b32_e32 v8, 16, v6
.LBB754_1070:                           ;   in Loop: Header=BB754_796 Depth=1
	s_or_b64 exec, exec, s[20:21]
.LBB754_1071:                           ;   in Loop: Header=BB754_796 Depth=1
	s_or_b64 exec, exec, s[18:19]
.LBB754_1072:                           ;   in Loop: Header=BB754_796 Depth=1
	s_or_b64 exec, exec, s[16:17]
	v_lshrrev_b32_e32 v6, 16, v4
	v_cmp_ne_u16_sdwa s[18:19], v6, v9 src0_sel:BYTE_0 src1_sel:DWORD
	s_and_saveexec_b64 s[16:17], s[18:19]
	s_cbranch_execz .LBB754_1078
; %bb.1073:                             ;   in Loop: Header=BB754_796 Depth=1
	v_cmp_ne_u16_sdwa s[20:21], v6, s22 src0_sel:BYTE_0 src1_sel:DWORD
	v_mov_b32_e32 v18, 0xffff8000
	s_and_saveexec_b64 s[18:19], s[20:21]
	s_cbranch_execz .LBB754_1077
; %bb.1074:                             ;   in Loop: Header=BB754_796 Depth=1
	v_bfe_u32 v12, v4, 16, 7
	v_cmp_ne_u32_e32 vcc, s24, v12
	v_mov_b32_e32 v18, 0x7f80
	s_and_saveexec_b64 s[20:21], vcc
	s_cbranch_execz .LBB754_1076
; %bb.1075:                             ;   in Loop: Header=BB754_796 Depth=1
	v_and_b32_e32 v20, 7, v6
	v_ffbh_u32_e32 v18, v20
	v_min_u32_e32 v22, 32, v18
	v_subrev_u32_e32 v18, 28, v22
	v_lshlrev_b64 v[18:19], v18, v[6:7]
	v_lshrrev_b32_e32 v21, 3, v12
	v_sub_u32_e32 v19, 29, v22
	v_and_b32_e32 v18, 7, v18
	v_cmp_gt_u32_e32 vcc, 8, v12
	v_cndmask_b32_e32 v12, v21, v19, vcc
	v_cndmask_b32_e32 v18, v20, v18, vcc
	v_lshlrev_b32_e32 v6, 24, v6
	v_lshlrev_b32_e32 v18, 20, v18
	v_and_b32_e32 v6, 0x80000000, v6
	v_lshl_add_u32 v12, v12, 23, v10
	v_or3_b32 v6, v6, v12, v18
	v_lshrrev_b32_e32 v18, 16, v6
.LBB754_1076:                           ;   in Loop: Header=BB754_796 Depth=1
	s_or_b64 exec, exec, s[20:21]
.LBB754_1077:                           ;   in Loop: Header=BB754_796 Depth=1
	s_or_b64 exec, exec, s[18:19]
.LBB754_1078:                           ;   in Loop: Header=BB754_796 Depth=1
	s_or_b64 exec, exec, s[16:17]
	v_cmp_lt_u32_e32 vcc, s25, v4
	v_mov_b32_e32 v12, 0
	v_mov_b32_e32 v19, 0
	s_and_saveexec_b64 s[16:17], vcc
	s_cbranch_execz .LBB754_1084
; %bb.1079:                             ;   in Loop: Header=BB754_796 Depth=1
	v_lshrrev_b32_e32 v6, 24, v4
	v_cmp_ne_u32_e32 vcc, s22, v6
	v_mov_b32_e32 v19, 0xffff8000
	s_and_saveexec_b64 s[18:19], vcc
	s_cbranch_execz .LBB754_1083
; %bb.1080:                             ;   in Loop: Header=BB754_796 Depth=1
	v_bfe_u32 v4, v4, 24, 7
	v_cmp_ne_u32_e32 vcc, s24, v4
	v_mov_b32_e32 v19, 0x7f80
	s_and_saveexec_b64 s[20:21], vcc
	s_cbranch_execz .LBB754_1082
; %bb.1081:                             ;   in Loop: Header=BB754_796 Depth=1
	v_and_b32_e32 v19, 7, v6
	v_ffbh_u32_e32 v20, v19
	v_min_u32_e32 v23, 32, v20
	v_subrev_u32_e32 v20, 28, v23
	v_lshlrev_b64 v[20:21], v20, v[6:7]
	v_lshrrev_b32_e32 v22, 3, v4
	v_sub_u32_e32 v21, 29, v23
	v_and_b32_e32 v20, 7, v20
	v_cmp_gt_u32_e32 vcc, 8, v4
	v_cndmask_b32_e32 v4, v22, v21, vcc
	v_cndmask_b32_e32 v19, v19, v20, vcc
	v_lshlrev_b32_e32 v6, 24, v6
	v_lshlrev_b32_e32 v19, 20, v19
	v_and_b32_e32 v6, 0x80000000, v6
	v_lshl_add_u32 v4, v4, 23, v10
	v_or3_b32 v4, v6, v4, v19
	v_lshrrev_b32_e32 v19, 16, v4
.LBB754_1082:                           ;   in Loop: Header=BB754_796 Depth=1
	s_or_b64 exec, exec, s[20:21]
.LBB754_1083:                           ;   in Loop: Header=BB754_796 Depth=1
	s_or_b64 exec, exec, s[18:19]
.LBB754_1084:                           ;   in Loop: Header=BB754_796 Depth=1
	s_or_b64 exec, exec, s[16:17]
	buffer_load_dword v6, v11, s[0:3], 0 offen offset:48
	buffer_load_dword v4, v11, s[0:3], 0 offen offset:52
	v_perm_b32 v15, v17, v15, s26
	v_perm_b32 v14, v13, v14, s26
	;; [unrolled: 1-line block ×4, first 2 shown]
	v_mfma_f32_4x4x4bf16_1k a[0:3], v[2:3], v[14:15], a[0:3] cbsz:4 abid:10
	s_waitcnt vmcnt(1)
	v_cmp_ne_u16_sdwa s[18:19], v6, v9 src0_sel:BYTE_0 src1_sel:DWORD
	v_mfma_f32_4x4x4bf16_1k a[0:3], v[2:3], v[16:17], a[0:3] cbsz:4 abid:11
	s_and_saveexec_b64 s[16:17], s[18:19]
	s_cbranch_execz .LBB754_1090
; %bb.1085:                             ;   in Loop: Header=BB754_796 Depth=1
	v_cmp_ne_u16_sdwa s[20:21], v6, s22 src0_sel:BYTE_0 src1_sel:DWORD
	v_mov_b32_e32 v12, 0xffff8000
	s_and_saveexec_b64 s[18:19], s[20:21]
	s_cbranch_execz .LBB754_1089
; %bb.1086:                             ;   in Loop: Header=BB754_796 Depth=1
	v_and_b32_e32 v8, 0x7f, v6
	v_cmp_ne_u32_e32 vcc, s24, v8
	v_mov_b32_e32 v12, 0x7f80
	s_and_saveexec_b64 s[20:21], vcc
	s_cbranch_execz .LBB754_1088
; %bb.1087:                             ;   in Loop: Header=BB754_796 Depth=1
	v_and_b32_e32 v14, 7, v6
	v_ffbh_u32_e32 v12, v14
	v_min_u32_e32 v16, 32, v12
	v_subrev_u32_e32 v12, 28, v16
	v_lshlrev_b64 v[12:13], v12, v[6:7]
	v_lshrrev_b32_e32 v15, 3, v8
	v_sub_u32_e32 v13, 29, v16
	v_and_b32_e32 v12, 7, v12
	v_cmp_gt_u32_e32 vcc, 8, v8
	v_cndmask_b32_e32 v8, v15, v13, vcc
	v_cndmask_b32_e32 v12, v14, v12, vcc
	v_lshlrev_b32_e32 v13, 24, v6
	v_lshlrev_b32_e32 v12, 20, v12
	v_and_b32_e32 v13, 0x80000000, v13
	v_lshl_add_u32 v8, v8, 23, v10
	v_or3_b32 v8, v13, v8, v12
	v_lshrrev_b32_e32 v12, 16, v8
.LBB754_1088:                           ;   in Loop: Header=BB754_796 Depth=1
	s_or_b64 exec, exec, s[20:21]
.LBB754_1089:                           ;   in Loop: Header=BB754_796 Depth=1
	s_or_b64 exec, exec, s[18:19]
.LBB754_1090:                           ;   in Loop: Header=BB754_796 Depth=1
	s_or_b64 exec, exec, s[16:17]
	v_lshrrev_b16_e32 v8, 8, v6
	v_cmp_ne_u16_e32 vcc, 0, v8
	v_mov_b32_e32 v15, 0
	v_mov_b32_e32 v14, 0
	s_and_saveexec_b64 s[16:17], vcc
	s_cbranch_execz .LBB754_1096
; %bb.1091:                             ;   in Loop: Header=BB754_796 Depth=1
	v_cmp_ne_u16_e32 vcc, s22, v8
	v_mov_b32_e32 v14, 0xffff8000
	s_and_saveexec_b64 s[18:19], vcc
	s_cbranch_execz .LBB754_1095
; %bb.1092:                             ;   in Loop: Header=BB754_796 Depth=1
	v_and_b32_e32 v13, 0x7f, v8
	v_cmp_ne_u32_e32 vcc, s24, v13
	v_mov_b32_e32 v14, 0x7f80
	s_and_saveexec_b64 s[20:21], vcc
	s_cbranch_execz .LBB754_1094
; %bb.1093:                             ;   in Loop: Header=BB754_796 Depth=1
	v_and_b32_e32 v14, 7, v8
	v_ffbh_u32_e32 v16, v14
	v_min_u32_e32 v19, 32, v16
	v_subrev_u32_e32 v16, 28, v19
	v_lshlrev_b64 v[16:17], v16, v[8:9]
	v_lshrrev_b32_e32 v18, 3, v13
	v_sub_u32_e32 v8, 29, v19
	v_and_b32_e32 v16, 7, v16
	v_cmp_gt_u32_e32 vcc, 8, v13
	v_cndmask_b32_e32 v8, v18, v8, vcc
	v_cndmask_b32_e32 v13, v14, v16, vcc
	v_lshlrev_b32_e32 v14, 16, v6
	v_lshlrev_b32_e32 v13, 20, v13
	v_and_b32_e32 v14, 0x80000000, v14
	v_lshl_add_u32 v8, v8, 23, v10
	v_or3_b32 v8, v14, v8, v13
	v_lshrrev_b32_e32 v14, 16, v8
.LBB754_1094:                           ;   in Loop: Header=BB754_796 Depth=1
	s_or_b64 exec, exec, s[20:21]
.LBB754_1095:                           ;   in Loop: Header=BB754_796 Depth=1
	s_or_b64 exec, exec, s[18:19]
.LBB754_1096:                           ;   in Loop: Header=BB754_796 Depth=1
	s_or_b64 exec, exec, s[16:17]
	v_lshrrev_b32_e32 v8, 16, v6
	v_cmp_ne_u16_sdwa s[18:19], v8, v9 src0_sel:BYTE_0 src1_sel:DWORD
	s_and_saveexec_b64 s[16:17], s[18:19]
	s_cbranch_execz .LBB754_1102
; %bb.1097:                             ;   in Loop: Header=BB754_796 Depth=1
	v_cmp_ne_u16_sdwa s[20:21], v8, s22 src0_sel:BYTE_0 src1_sel:DWORD
	v_mov_b32_e32 v15, 0xffff8000
	s_and_saveexec_b64 s[18:19], s[20:21]
	s_cbranch_execz .LBB754_1101
; %bb.1098:                             ;   in Loop: Header=BB754_796 Depth=1
	v_bfe_u32 v13, v6, 16, 7
	v_cmp_ne_u32_e32 vcc, s24, v13
	v_mov_b32_e32 v15, 0x7f80
	s_and_saveexec_b64 s[20:21], vcc
	s_cbranch_execz .LBB754_1100
; %bb.1099:                             ;   in Loop: Header=BB754_796 Depth=1
	v_and_b32_e32 v15, 7, v8
	v_ffbh_u32_e32 v16, v15
	v_min_u32_e32 v19, 32, v16
	v_subrev_u32_e32 v16, 28, v19
	v_lshlrev_b64 v[16:17], v16, v[8:9]
	v_lshrrev_b32_e32 v18, 3, v13
	v_sub_u32_e32 v17, 29, v19
	v_and_b32_e32 v16, 7, v16
	v_cmp_gt_u32_e32 vcc, 8, v13
	v_cndmask_b32_e32 v13, v18, v17, vcc
	v_cndmask_b32_e32 v15, v15, v16, vcc
	v_lshlrev_b32_e32 v8, 24, v8
	v_lshlrev_b32_e32 v15, 20, v15
	v_and_b32_e32 v8, 0x80000000, v8
	v_lshl_add_u32 v13, v13, 23, v10
	v_or3_b32 v8, v8, v13, v15
	v_lshrrev_b32_e32 v15, 16, v8
.LBB754_1100:                           ;   in Loop: Header=BB754_796 Depth=1
	s_or_b64 exec, exec, s[20:21]
.LBB754_1101:                           ;   in Loop: Header=BB754_796 Depth=1
	s_or_b64 exec, exec, s[18:19]
.LBB754_1102:                           ;   in Loop: Header=BB754_796 Depth=1
	s_or_b64 exec, exec, s[16:17]
	v_cmp_lt_u32_e32 vcc, s25, v6
	v_mov_b32_e32 v16, 0
	v_mov_b32_e32 v17, 0
	s_and_saveexec_b64 s[16:17], vcc
	s_cbranch_execz .LBB754_1108
; %bb.1103:                             ;   in Loop: Header=BB754_796 Depth=1
	v_lshrrev_b32_e32 v8, 24, v6
	v_cmp_ne_u32_e32 vcc, s22, v8
	v_mov_b32_e32 v17, 0xffff8000
	s_and_saveexec_b64 s[18:19], vcc
	s_cbranch_execz .LBB754_1107
; %bb.1104:                             ;   in Loop: Header=BB754_796 Depth=1
	v_bfe_u32 v6, v6, 24, 7
	v_cmp_ne_u32_e32 vcc, s24, v6
	v_mov_b32_e32 v17, 0x7f80
	s_and_saveexec_b64 s[20:21], vcc
	s_cbranch_execz .LBB754_1106
; %bb.1105:                             ;   in Loop: Header=BB754_796 Depth=1
	v_and_b32_e32 v13, 7, v8
	v_ffbh_u32_e32 v18, v13
	v_min_u32_e32 v20, 32, v18
	v_subrev_u32_e32 v18, 28, v20
	v_lshlrev_b64 v[18:19], v18, v[8:9]
	v_lshrrev_b32_e32 v17, 3, v6
	v_sub_u32_e32 v19, 29, v20
	v_and_b32_e32 v18, 7, v18
	v_cmp_gt_u32_e32 vcc, 8, v6
	v_cndmask_b32_e32 v6, v17, v19, vcc
	v_cndmask_b32_e32 v13, v13, v18, vcc
	v_lshlrev_b32_e32 v8, 24, v8
	v_lshlrev_b32_e32 v13, 20, v13
	v_and_b32_e32 v8, 0x80000000, v8
	v_lshl_add_u32 v6, v6, 23, v10
	v_or3_b32 v6, v8, v6, v13
	v_lshrrev_b32_e32 v17, 16, v6
.LBB754_1106:                           ;   in Loop: Header=BB754_796 Depth=1
	s_or_b64 exec, exec, s[20:21]
.LBB754_1107:                           ;   in Loop: Header=BB754_796 Depth=1
	s_or_b64 exec, exec, s[18:19]
.LBB754_1108:                           ;   in Loop: Header=BB754_796 Depth=1
	s_or_b64 exec, exec, s[16:17]
	s_waitcnt vmcnt(0)
	v_cmp_ne_u16_sdwa s[18:19], v4, v9 src0_sel:BYTE_0 src1_sel:DWORD
	s_and_saveexec_b64 s[16:17], s[18:19]
	s_cbranch_execz .LBB754_1114
; %bb.1109:                             ;   in Loop: Header=BB754_796 Depth=1
	v_cmp_ne_u16_sdwa s[20:21], v4, s22 src0_sel:BYTE_0 src1_sel:DWORD
	v_mov_b32_e32 v16, 0xffff8000
	s_and_saveexec_b64 s[18:19], s[20:21]
	s_cbranch_execz .LBB754_1113
; %bb.1110:                             ;   in Loop: Header=BB754_796 Depth=1
	v_and_b32_e32 v6, 0x7f, v4
	v_cmp_ne_u32_e32 vcc, s24, v6
	v_mov_b32_e32 v16, 0x7f80
	s_and_saveexec_b64 s[20:21], vcc
	s_cbranch_execz .LBB754_1112
; %bb.1111:                             ;   in Loop: Header=BB754_796 Depth=1
	v_and_b32_e32 v8, 7, v4
	v_ffbh_u32_e32 v16, v8
	v_min_u32_e32 v16, 32, v16
	v_subrev_u32_e32 v18, 28, v16
	v_lshlrev_b64 v[18:19], v18, v[4:5]
	v_lshrrev_b32_e32 v13, 3, v6
	v_sub_u32_e32 v16, 29, v16
	v_and_b32_e32 v18, 7, v18
	v_cmp_gt_u32_e32 vcc, 8, v6
	v_cndmask_b32_e32 v6, v13, v16, vcc
	v_cndmask_b32_e32 v8, v8, v18, vcc
	v_lshlrev_b32_e32 v13, 24, v4
	v_lshlrev_b32_e32 v8, 20, v8
	v_and_b32_e32 v13, 0x80000000, v13
	v_lshl_add_u32 v6, v6, 23, v10
	v_or3_b32 v6, v13, v6, v8
	v_lshrrev_b32_e32 v16, 16, v6
.LBB754_1112:                           ;   in Loop: Header=BB754_796 Depth=1
	s_or_b64 exec, exec, s[20:21]
.LBB754_1113:                           ;   in Loop: Header=BB754_796 Depth=1
	s_or_b64 exec, exec, s[18:19]
.LBB754_1114:                           ;   in Loop: Header=BB754_796 Depth=1
	s_or_b64 exec, exec, s[16:17]
	v_lshrrev_b16_e32 v6, 8, v4
	v_cmp_ne_u16_e32 vcc, 0, v6
	v_mov_b32_e32 v18, 0
	v_mov_b32_e32 v8, 0
	s_and_saveexec_b64 s[16:17], vcc
	s_cbranch_execz .LBB754_1120
; %bb.1115:                             ;   in Loop: Header=BB754_796 Depth=1
	v_cmp_ne_u16_e32 vcc, s22, v6
	v_mov_b32_e32 v8, 0xffff8000
	s_and_saveexec_b64 s[18:19], vcc
	s_cbranch_execz .LBB754_1119
; %bb.1116:                             ;   in Loop: Header=BB754_796 Depth=1
	v_and_b32_e32 v13, 0x7f, v6
	v_cmp_ne_u32_e32 vcc, s24, v13
	v_mov_b32_e32 v8, 0x7f80
	s_and_saveexec_b64 s[20:21], vcc
	s_cbranch_execz .LBB754_1118
; %bb.1117:                             ;   in Loop: Header=BB754_796 Depth=1
	v_and_b32_e32 v8, 7, v6
	v_ffbh_u32_e32 v20, v8
	v_min_u32_e32 v22, 32, v20
	v_subrev_u32_e32 v20, 28, v22
	v_lshlrev_b64 v[20:21], v20, v[6:7]
	v_lshrrev_b32_e32 v19, 3, v13
	v_sub_u32_e32 v6, 29, v22
	v_and_b32_e32 v20, 7, v20
	v_cmp_gt_u32_e32 vcc, 8, v13
	v_cndmask_b32_e32 v6, v19, v6, vcc
	v_cndmask_b32_e32 v8, v8, v20, vcc
	v_lshlrev_b32_e32 v13, 16, v4
	v_lshlrev_b32_e32 v8, 20, v8
	v_and_b32_e32 v13, 0x80000000, v13
	v_lshl_add_u32 v6, v6, 23, v10
	v_or3_b32 v6, v13, v6, v8
	v_lshrrev_b32_e32 v8, 16, v6
.LBB754_1118:                           ;   in Loop: Header=BB754_796 Depth=1
	s_or_b64 exec, exec, s[20:21]
.LBB754_1119:                           ;   in Loop: Header=BB754_796 Depth=1
	s_or_b64 exec, exec, s[18:19]
.LBB754_1120:                           ;   in Loop: Header=BB754_796 Depth=1
	s_or_b64 exec, exec, s[16:17]
	v_lshrrev_b32_e32 v6, 16, v4
	v_cmp_ne_u16_sdwa s[18:19], v6, v9 src0_sel:BYTE_0 src1_sel:DWORD
	s_and_saveexec_b64 s[16:17], s[18:19]
	s_cbranch_execz .LBB754_1126
; %bb.1121:                             ;   in Loop: Header=BB754_796 Depth=1
	v_cmp_ne_u16_sdwa s[20:21], v6, s22 src0_sel:BYTE_0 src1_sel:DWORD
	v_mov_b32_e32 v18, 0xffff8000
	s_and_saveexec_b64 s[18:19], s[20:21]
	s_cbranch_execz .LBB754_1125
; %bb.1122:                             ;   in Loop: Header=BB754_796 Depth=1
	v_bfe_u32 v13, v4, 16, 7
	v_cmp_ne_u32_e32 vcc, s24, v13
	v_mov_b32_e32 v18, 0x7f80
	s_and_saveexec_b64 s[20:21], vcc
	s_cbranch_execz .LBB754_1124
; %bb.1123:                             ;   in Loop: Header=BB754_796 Depth=1
	v_and_b32_e32 v20, 7, v6
	v_ffbh_u32_e32 v18, v20
	v_min_u32_e32 v22, 32, v18
	v_subrev_u32_e32 v18, 28, v22
	v_lshlrev_b64 v[18:19], v18, v[6:7]
	v_lshrrev_b32_e32 v21, 3, v13
	v_sub_u32_e32 v19, 29, v22
	v_and_b32_e32 v18, 7, v18
	v_cmp_gt_u32_e32 vcc, 8, v13
	v_cndmask_b32_e32 v13, v21, v19, vcc
	v_cndmask_b32_e32 v18, v20, v18, vcc
	v_lshlrev_b32_e32 v6, 24, v6
	v_lshlrev_b32_e32 v18, 20, v18
	v_and_b32_e32 v6, 0x80000000, v6
	v_lshl_add_u32 v13, v13, 23, v10
	v_or3_b32 v6, v6, v13, v18
	v_lshrrev_b32_e32 v18, 16, v6
.LBB754_1124:                           ;   in Loop: Header=BB754_796 Depth=1
	s_or_b64 exec, exec, s[20:21]
.LBB754_1125:                           ;   in Loop: Header=BB754_796 Depth=1
	s_or_b64 exec, exec, s[18:19]
.LBB754_1126:                           ;   in Loop: Header=BB754_796 Depth=1
	s_or_b64 exec, exec, s[16:17]
	v_cmp_lt_u32_e32 vcc, s25, v4
	v_mov_b32_e32 v13, 0
	v_mov_b32_e32 v19, 0
	s_and_saveexec_b64 s[16:17], vcc
	s_cbranch_execz .LBB754_1132
; %bb.1127:                             ;   in Loop: Header=BB754_796 Depth=1
	v_lshrrev_b32_e32 v6, 24, v4
	v_cmp_ne_u32_e32 vcc, s22, v6
	v_mov_b32_e32 v19, 0xffff8000
	s_and_saveexec_b64 s[18:19], vcc
	s_cbranch_execz .LBB754_1131
; %bb.1128:                             ;   in Loop: Header=BB754_796 Depth=1
	v_bfe_u32 v4, v4, 24, 7
	v_cmp_ne_u32_e32 vcc, s24, v4
	v_mov_b32_e32 v19, 0x7f80
	s_and_saveexec_b64 s[20:21], vcc
	s_cbranch_execz .LBB754_1130
; %bb.1129:                             ;   in Loop: Header=BB754_796 Depth=1
	v_and_b32_e32 v19, 7, v6
	v_ffbh_u32_e32 v20, v19
	v_min_u32_e32 v23, 32, v20
	v_subrev_u32_e32 v20, 28, v23
	v_lshlrev_b64 v[20:21], v20, v[6:7]
	v_lshrrev_b32_e32 v22, 3, v4
	v_sub_u32_e32 v21, 29, v23
	v_and_b32_e32 v20, 7, v20
	v_cmp_gt_u32_e32 vcc, 8, v4
	v_cndmask_b32_e32 v4, v22, v21, vcc
	v_cndmask_b32_e32 v19, v19, v20, vcc
	v_lshlrev_b32_e32 v6, 24, v6
	v_lshlrev_b32_e32 v19, 20, v19
	v_and_b32_e32 v6, 0x80000000, v6
	v_lshl_add_u32 v4, v4, 23, v10
	v_or3_b32 v4, v6, v4, v19
	v_lshrrev_b32_e32 v19, 16, v4
.LBB754_1130:                           ;   in Loop: Header=BB754_796 Depth=1
	s_or_b64 exec, exec, s[20:21]
.LBB754_1131:                           ;   in Loop: Header=BB754_796 Depth=1
	s_or_b64 exec, exec, s[18:19]
.LBB754_1132:                           ;   in Loop: Header=BB754_796 Depth=1
	s_or_b64 exec, exec, s[16:17]
	buffer_load_dword v6, v11, s[0:3], 0 offen offset:56
	buffer_load_dword v4, v11, s[0:3], 0 offen offset:60
	v_perm_b32 v15, v17, v15, s26
	v_perm_b32 v14, v14, v12, s26
	;; [unrolled: 1-line block ×4, first 2 shown]
	v_mfma_f32_4x4x4bf16_1k a[0:3], v[2:3], v[14:15], a[0:3] cbsz:4 abid:12
	s_waitcnt vmcnt(1)
	v_cmp_ne_u16_sdwa s[18:19], v6, v9 src0_sel:BYTE_0 src1_sel:DWORD
	v_mfma_f32_4x4x4bf16_1k a[0:3], v[2:3], v[16:17], a[0:3] cbsz:4 abid:13
	s_and_saveexec_b64 s[16:17], s[18:19]
	s_cbranch_execz .LBB754_1138
; %bb.1133:                             ;   in Loop: Header=BB754_796 Depth=1
	v_cmp_ne_u16_sdwa s[20:21], v6, s22 src0_sel:BYTE_0 src1_sel:DWORD
	v_mov_b32_e32 v13, 0xffff8000
	s_and_saveexec_b64 s[18:19], s[20:21]
	s_cbranch_execz .LBB754_1137
; %bb.1134:                             ;   in Loop: Header=BB754_796 Depth=1
	v_and_b32_e32 v8, 0x7f, v6
	v_cmp_ne_u32_e32 vcc, s24, v8
	v_mov_b32_e32 v13, 0x7f80
	s_and_saveexec_b64 s[20:21], vcc
	s_cbranch_execz .LBB754_1136
; %bb.1135:                             ;   in Loop: Header=BB754_796 Depth=1
	v_and_b32_e32 v11, 7, v6
	v_ffbh_u32_e32 v12, v11
	v_min_u32_e32 v15, 32, v12
	v_subrev_u32_e32 v12, 28, v15
	v_lshlrev_b64 v[12:13], v12, v[6:7]
	v_lshrrev_b32_e32 v14, 3, v8
	v_sub_u32_e32 v13, 29, v15
	v_and_b32_e32 v12, 7, v12
	v_cmp_gt_u32_e32 vcc, 8, v8
	v_cndmask_b32_e32 v8, v14, v13, vcc
	v_cndmask_b32_e32 v11, v11, v12, vcc
	v_lshlrev_b32_e32 v12, 24, v6
	v_lshlrev_b32_e32 v11, 20, v11
	v_and_b32_e32 v12, 0x80000000, v12
	v_lshl_add_u32 v8, v8, 23, v10
	v_or3_b32 v8, v12, v8, v11
	v_lshrrev_b32_e32 v13, 16, v8
.LBB754_1136:                           ;   in Loop: Header=BB754_796 Depth=1
	s_or_b64 exec, exec, s[20:21]
.LBB754_1137:                           ;   in Loop: Header=BB754_796 Depth=1
	s_or_b64 exec, exec, s[18:19]
.LBB754_1138:                           ;   in Loop: Header=BB754_796 Depth=1
	s_or_b64 exec, exec, s[16:17]
	v_lshrrev_b16_e32 v8, 8, v6
	v_cmp_ne_u16_e32 vcc, 0, v8
	v_mov_b32_e32 v12, 0
	v_mov_b32_e32 v11, 0
	s_and_saveexec_b64 s[16:17], vcc
	s_cbranch_execz .LBB754_1144
; %bb.1139:                             ;   in Loop: Header=BB754_796 Depth=1
	v_cmp_ne_u16_e32 vcc, s22, v8
	v_mov_b32_e32 v11, 0xffff8000
	s_and_saveexec_b64 s[18:19], vcc
	s_cbranch_execz .LBB754_1143
; %bb.1140:                             ;   in Loop: Header=BB754_796 Depth=1
	v_and_b32_e32 v14, 0x7f, v8
	v_cmp_ne_u32_e32 vcc, s24, v14
	v_mov_b32_e32 v11, 0x7f80
	s_and_saveexec_b64 s[20:21], vcc
	s_cbranch_execz .LBB754_1142
; %bb.1141:                             ;   in Loop: Header=BB754_796 Depth=1
	v_and_b32_e32 v11, 7, v8
	v_ffbh_u32_e32 v16, v11
	v_min_u32_e32 v18, 32, v16
	v_subrev_u32_e32 v16, 28, v18
	v_lshlrev_b64 v[16:17], v16, v[8:9]
	v_lshrrev_b32_e32 v15, 3, v14
	v_sub_u32_e32 v8, 29, v18
	v_and_b32_e32 v16, 7, v16
	v_cmp_gt_u32_e32 vcc, 8, v14
	v_cndmask_b32_e32 v8, v15, v8, vcc
	v_cndmask_b32_e32 v11, v11, v16, vcc
	v_lshlrev_b32_e32 v14, 16, v6
	v_lshlrev_b32_e32 v11, 20, v11
	v_and_b32_e32 v14, 0x80000000, v14
	v_lshl_add_u32 v8, v8, 23, v10
	v_or3_b32 v8, v14, v8, v11
	v_lshrrev_b32_e32 v11, 16, v8
.LBB754_1142:                           ;   in Loop: Header=BB754_796 Depth=1
	s_or_b64 exec, exec, s[20:21]
.LBB754_1143:                           ;   in Loop: Header=BB754_796 Depth=1
	s_or_b64 exec, exec, s[18:19]
.LBB754_1144:                           ;   in Loop: Header=BB754_796 Depth=1
	s_or_b64 exec, exec, s[16:17]
	v_lshrrev_b32_e32 v8, 16, v6
	v_cmp_ne_u16_sdwa s[18:19], v8, v9 src0_sel:BYTE_0 src1_sel:DWORD
	s_and_saveexec_b64 s[16:17], s[18:19]
	s_cbranch_execz .LBB754_1150
; %bb.1145:                             ;   in Loop: Header=BB754_796 Depth=1
	v_cmp_ne_u16_sdwa s[20:21], v8, s22 src0_sel:BYTE_0 src1_sel:DWORD
	v_mov_b32_e32 v12, 0xffff8000
	s_and_saveexec_b64 s[18:19], s[20:21]
	s_cbranch_execz .LBB754_1149
; %bb.1146:                             ;   in Loop: Header=BB754_796 Depth=1
	v_bfe_u32 v14, v6, 16, 7
	v_cmp_ne_u32_e32 vcc, s24, v14
	v_mov_b32_e32 v12, 0x7f80
	s_and_saveexec_b64 s[20:21], vcc
	s_cbranch_execz .LBB754_1148
; %bb.1147:                             ;   in Loop: Header=BB754_796 Depth=1
	v_and_b32_e32 v12, 7, v8
	v_ffbh_u32_e32 v16, v12
	v_min_u32_e32 v18, 32, v16
	v_subrev_u32_e32 v16, 28, v18
	v_lshlrev_b64 v[16:17], v16, v[8:9]
	v_lshrrev_b32_e32 v15, 3, v14
	v_sub_u32_e32 v17, 29, v18
	v_and_b32_e32 v16, 7, v16
	v_cmp_gt_u32_e32 vcc, 8, v14
	v_cndmask_b32_e32 v14, v15, v17, vcc
	v_cndmask_b32_e32 v12, v12, v16, vcc
	v_lshlrev_b32_e32 v8, 24, v8
	v_lshlrev_b32_e32 v12, 20, v12
	v_and_b32_e32 v8, 0x80000000, v8
	v_lshl_add_u32 v14, v14, 23, v10
	v_or3_b32 v8, v8, v14, v12
	v_lshrrev_b32_e32 v12, 16, v8
.LBB754_1148:                           ;   in Loop: Header=BB754_796 Depth=1
	s_or_b64 exec, exec, s[20:21]
.LBB754_1149:                           ;   in Loop: Header=BB754_796 Depth=1
	s_or_b64 exec, exec, s[18:19]
.LBB754_1150:                           ;   in Loop: Header=BB754_796 Depth=1
	s_or_b64 exec, exec, s[16:17]
	v_cmp_lt_u32_e32 vcc, s25, v6
	v_mov_b32_e32 v14, 0
	v_mov_b32_e32 v15, 0
	s_and_saveexec_b64 s[16:17], vcc
	s_cbranch_execz .LBB754_1156
; %bb.1151:                             ;   in Loop: Header=BB754_796 Depth=1
	v_lshrrev_b32_e32 v8, 24, v6
	v_cmp_ne_u32_e32 vcc, s22, v8
	v_mov_b32_e32 v15, 0xffff8000
	s_and_saveexec_b64 s[18:19], vcc
	s_cbranch_execz .LBB754_1155
; %bb.1152:                             ;   in Loop: Header=BB754_796 Depth=1
	v_bfe_u32 v6, v6, 24, 7
	v_cmp_ne_u32_e32 vcc, s24, v6
	v_mov_b32_e32 v15, 0x7f80
	s_and_saveexec_b64 s[20:21], vcc
	s_cbranch_execz .LBB754_1154
; %bb.1153:                             ;   in Loop: Header=BB754_796 Depth=1
	v_and_b32_e32 v15, 7, v8
	v_ffbh_u32_e32 v16, v15
	v_min_u32_e32 v19, 32, v16
	v_subrev_u32_e32 v16, 28, v19
	v_lshlrev_b64 v[16:17], v16, v[8:9]
	v_lshrrev_b32_e32 v18, 3, v6
	v_sub_u32_e32 v17, 29, v19
	v_and_b32_e32 v16, 7, v16
	v_cmp_gt_u32_e32 vcc, 8, v6
	v_cndmask_b32_e32 v6, v18, v17, vcc
	v_cndmask_b32_e32 v15, v15, v16, vcc
	v_lshlrev_b32_e32 v8, 24, v8
	v_lshlrev_b32_e32 v15, 20, v15
	v_and_b32_e32 v8, 0x80000000, v8
	v_lshl_add_u32 v6, v6, 23, v10
	v_or3_b32 v6, v8, v6, v15
	v_lshrrev_b32_e32 v15, 16, v6
.LBB754_1154:                           ;   in Loop: Header=BB754_796 Depth=1
	s_or_b64 exec, exec, s[20:21]
.LBB754_1155:                           ;   in Loop: Header=BB754_796 Depth=1
	s_or_b64 exec, exec, s[18:19]
.LBB754_1156:                           ;   in Loop: Header=BB754_796 Depth=1
	s_or_b64 exec, exec, s[16:17]
	s_waitcnt vmcnt(0)
	v_cmp_ne_u16_sdwa s[18:19], v4, v9 src0_sel:BYTE_0 src1_sel:DWORD
	s_and_saveexec_b64 s[16:17], s[18:19]
	s_cbranch_execz .LBB754_1162
; %bb.1157:                             ;   in Loop: Header=BB754_796 Depth=1
	v_cmp_ne_u16_sdwa s[20:21], v4, s22 src0_sel:BYTE_0 src1_sel:DWORD
	v_mov_b32_e32 v14, 0xffff8000
	s_and_saveexec_b64 s[18:19], s[20:21]
	s_cbranch_execz .LBB754_1161
; %bb.1158:                             ;   in Loop: Header=BB754_796 Depth=1
	v_and_b32_e32 v6, 0x7f, v4
	v_cmp_ne_u32_e32 vcc, s24, v6
	v_mov_b32_e32 v14, 0x7f80
	s_and_saveexec_b64 s[20:21], vcc
	s_cbranch_execz .LBB754_1160
; %bb.1159:                             ;   in Loop: Header=BB754_796 Depth=1
	v_and_b32_e32 v8, 7, v4
	v_ffbh_u32_e32 v16, v8
	v_min_u32_e32 v18, 32, v16
	v_subrev_u32_e32 v16, 28, v18
	v_lshlrev_b64 v[16:17], v16, v[4:5]
	v_lshrrev_b32_e32 v14, 3, v6
	v_sub_u32_e32 v17, 29, v18
	v_and_b32_e32 v16, 7, v16
	v_cmp_gt_u32_e32 vcc, 8, v6
	v_cndmask_b32_e32 v6, v14, v17, vcc
	v_cndmask_b32_e32 v8, v8, v16, vcc
	v_lshlrev_b32_e32 v14, 24, v4
	v_lshlrev_b32_e32 v8, 20, v8
	v_and_b32_e32 v14, 0x80000000, v14
	v_lshl_add_u32 v6, v6, 23, v10
	v_or3_b32 v6, v14, v6, v8
	v_lshrrev_b32_e32 v14, 16, v6
.LBB754_1160:                           ;   in Loop: Header=BB754_796 Depth=1
	s_or_b64 exec, exec, s[20:21]
.LBB754_1161:                           ;   in Loop: Header=BB754_796 Depth=1
	s_or_b64 exec, exec, s[18:19]
.LBB754_1162:                           ;   in Loop: Header=BB754_796 Depth=1
	s_or_b64 exec, exec, s[16:17]
	v_lshrrev_b16_e32 v6, 8, v4
	v_cmp_ne_u16_e32 vcc, 0, v6
	v_mov_b32_e32 v16, 0
	v_mov_b32_e32 v8, 0
	s_and_saveexec_b64 s[16:17], vcc
	s_cbranch_execz .LBB754_1168
; %bb.1163:                             ;   in Loop: Header=BB754_796 Depth=1
	v_cmp_ne_u16_e32 vcc, s22, v6
	v_mov_b32_e32 v8, 0xffff8000
	s_and_saveexec_b64 s[18:19], vcc
	s_cbranch_execz .LBB754_1167
; %bb.1164:                             ;   in Loop: Header=BB754_796 Depth=1
	v_and_b32_e32 v17, 0x7f, v6
	v_cmp_ne_u32_e32 vcc, s24, v17
	v_mov_b32_e32 v8, 0x7f80
	s_and_saveexec_b64 s[20:21], vcc
	s_cbranch_execz .LBB754_1166
; %bb.1165:                             ;   in Loop: Header=BB754_796 Depth=1
	v_and_b32_e32 v8, 7, v6
	v_ffbh_u32_e32 v18, v8
	v_min_u32_e32 v21, 32, v18
	v_subrev_u32_e32 v18, 28, v21
	v_lshlrev_b64 v[18:19], v18, v[6:7]
	v_lshrrev_b32_e32 v20, 3, v17
	v_sub_u32_e32 v6, 29, v21
	v_and_b32_e32 v18, 7, v18
	v_cmp_gt_u32_e32 vcc, 8, v17
	v_cndmask_b32_e32 v6, v20, v6, vcc
	v_cndmask_b32_e32 v8, v8, v18, vcc
	v_lshlrev_b32_e32 v17, 16, v4
	v_lshlrev_b32_e32 v8, 20, v8
	v_and_b32_e32 v17, 0x80000000, v17
	v_lshl_add_u32 v6, v6, 23, v10
	v_or3_b32 v6, v17, v6, v8
	v_lshrrev_b32_e32 v8, 16, v6
.LBB754_1166:                           ;   in Loop: Header=BB754_796 Depth=1
	s_or_b64 exec, exec, s[20:21]
.LBB754_1167:                           ;   in Loop: Header=BB754_796 Depth=1
	s_or_b64 exec, exec, s[18:19]
.LBB754_1168:                           ;   in Loop: Header=BB754_796 Depth=1
	s_or_b64 exec, exec, s[16:17]
	v_lshrrev_b32_e32 v6, 16, v4
	v_cmp_ne_u16_sdwa s[18:19], v6, v9 src0_sel:BYTE_0 src1_sel:DWORD
	s_and_saveexec_b64 s[16:17], s[18:19]
	s_cbranch_execz .LBB754_1174
; %bb.1169:                             ;   in Loop: Header=BB754_796 Depth=1
	v_cmp_ne_u16_sdwa s[20:21], v6, s22 src0_sel:BYTE_0 src1_sel:DWORD
	v_mov_b32_e32 v16, 0xffff8000
	s_and_saveexec_b64 s[18:19], s[20:21]
	s_cbranch_execz .LBB754_1173
; %bb.1170:                             ;   in Loop: Header=BB754_796 Depth=1
	v_bfe_u32 v17, v4, 16, 7
	v_cmp_ne_u32_e32 vcc, s24, v17
	v_mov_b32_e32 v16, 0x7f80
	s_and_saveexec_b64 s[20:21], vcc
	s_cbranch_execz .LBB754_1172
; %bb.1171:                             ;   in Loop: Header=BB754_796 Depth=1
	v_and_b32_e32 v16, 7, v6
	v_ffbh_u32_e32 v18, v16
	v_min_u32_e32 v21, 32, v18
	v_subrev_u32_e32 v18, 28, v21
	v_lshlrev_b64 v[18:19], v18, v[6:7]
	v_lshrrev_b32_e32 v20, 3, v17
	v_sub_u32_e32 v19, 29, v21
	v_and_b32_e32 v18, 7, v18
	v_cmp_gt_u32_e32 vcc, 8, v17
	v_cndmask_b32_e32 v17, v20, v19, vcc
	v_cndmask_b32_e32 v16, v16, v18, vcc
	v_lshlrev_b32_e32 v6, 24, v6
	v_lshlrev_b32_e32 v16, 20, v16
	v_and_b32_e32 v6, 0x80000000, v6
	v_lshl_add_u32 v17, v17, 23, v10
	v_or3_b32 v6, v6, v17, v16
	v_lshrrev_b32_e32 v16, 16, v6
.LBB754_1172:                           ;   in Loop: Header=BB754_796 Depth=1
	s_or_b64 exec, exec, s[20:21]
.LBB754_1173:                           ;   in Loop: Header=BB754_796 Depth=1
	s_or_b64 exec, exec, s[18:19]
.LBB754_1174:                           ;   in Loop: Header=BB754_796 Depth=1
	s_or_b64 exec, exec, s[16:17]
	v_cmp_lt_u32_e32 vcc, s25, v4
	v_mov_b32_e32 v17, 0
	s_and_saveexec_b64 s[16:17], vcc
	s_cbranch_execz .LBB754_795
; %bb.1175:                             ;   in Loop: Header=BB754_796 Depth=1
	v_lshrrev_b32_e32 v6, 24, v4
	v_cmp_ne_u32_e32 vcc, s22, v6
	v_mov_b32_e32 v17, 0xffff8000
	s_and_saveexec_b64 s[18:19], vcc
	s_cbranch_execz .LBB754_794
; %bb.1176:                             ;   in Loop: Header=BB754_796 Depth=1
	v_bfe_u32 v4, v4, 24, 7
	v_cmp_ne_u32_e32 vcc, s24, v4
	v_mov_b32_e32 v17, 0x7f80
	s_and_saveexec_b64 s[20:21], vcc
	s_cbranch_execz .LBB754_793
; %bb.1177:                             ;   in Loop: Header=BB754_796 Depth=1
	v_and_b32_e32 v17, 7, v6
	v_ffbh_u32_e32 v18, v17
	v_min_u32_e32 v21, 32, v18
	v_subrev_u32_e32 v18, 28, v21
	v_lshlrev_b64 v[18:19], v18, v[6:7]
	v_lshrrev_b32_e32 v20, 3, v4
	v_sub_u32_e32 v19, 29, v21
	v_and_b32_e32 v18, 7, v18
	v_cmp_gt_u32_e32 vcc, 8, v4
	v_cndmask_b32_e32 v4, v20, v19, vcc
	v_cndmask_b32_e32 v17, v17, v18, vcc
	v_lshlrev_b32_e32 v6, 24, v6
	v_lshlrev_b32_e32 v17, 20, v17
	v_and_b32_e32 v6, 0x80000000, v6
	v_lshl_add_u32 v4, v4, 23, v10
	v_or3_b32 v4, v6, v4, v17
	v_lshrrev_b32_e32 v17, 16, v4
	s_branch .LBB754_793
.LBB754_1178:
	s_or_b64 exec, exec, s[6:7]
	v_cmp_gt_u32_e32 vcc, 64, v0
	s_waitcnt lgkmcnt(0)
	s_barrier
	s_and_saveexec_b64 s[6:7], vcc
	s_cbranch_execz .LBB754_1180
; %bb.1179:
	v_mov_b32_e32 v2, 0xa00
	v_mad_u32_u24 v2, v1, 40, v2
	ds_read2_b64 v[2:5], v2 offset1:1
	s_waitcnt lgkmcnt(0)
	v_mov_b32_e32 v3, 0xa10
	v_mul_u32_u24_e32 v10, 40, v1
	v_mad_u32_u24 v1, v1, 40, v3
	ds_read2_b64 v[6:9], v1 offset1:1
	v_lshlrev_b32_e32 v1, 16, v2
	s_mov_b32 s5, 0
	v_add_f32_e32 v1, 0, v1
	s_lshl_b32 s4, s4, 7
	v_and_b32_e32 v1, 0xffff0000, v1
	v_lshlrev_b32_e32 v2, 16, v4
	s_lshl_b64 s[6:7], s[4:5], 1
	v_add_f32_e32 v1, v1, v2
	s_add_u32 s6, s30, s6
	v_and_b32_e32 v1, 0xffff0000, v1
	s_waitcnt lgkmcnt(0)
	v_lshlrev_b32_e32 v2, 16, v6
	s_addc_u32 s7, s31, s7
	s_lshl_b32 s4, s28, 7
	v_add_f32_e32 v1, v1, v2
	s_lshl_b64 s[4:5], s[4:5], 1
	v_and_b32_e32 v1, 0xffff0000, v1
	v_lshlrev_b32_e32 v2, 16, v8
	s_add_u32 s4, s6, s4
	s_mul_i32 s6, s10, s33
	v_add_f32_e32 v11, v1, v2
	v_lshl_or_b32 v0, s6, 7, v0
	v_mov_b32_e32 v1, 0
	v_lshlrev_b64 v[4:5], 1, v[0:1]
	ds_read2_b64 v[0:3], v10 offset1:1
	s_addc_u32 s5, s7, s5
	v_mov_b32_e32 v6, s5
	v_add_co_u32_e32 v8, vcc, s4, v4
	v_addc_co_u32_e32 v9, vcc, v6, v5, vcc
	ds_read2_b64 v[4:7], v10 offset0:2 offset1:3
	s_waitcnt lgkmcnt(1)
	v_lshlrev_b32_e32 v0, 16, v0
	v_add_f32_e32 v0, 0, v0
	v_and_b32_e32 v0, 0xffff0000, v0
	v_lshlrev_b32_e32 v1, 16, v2
	v_add_f32_e32 v0, v0, v1
	v_and_b32_e32 v0, 0xffff0000, v0
	s_waitcnt lgkmcnt(0)
	v_lshlrev_b32_e32 v1, 16, v4
	v_add_f32_e32 v0, v0, v1
	v_and_b32_e32 v0, 0xffff0000, v0
	v_lshlrev_b32_e32 v1, 16, v6
	v_add_f32_e32 v0, v0, v1
	global_store_short_d16_hi v[8:9], v0, off
	global_store_short_d16_hi v[8:9], v11, off offset:128
.LBB754_1180:
	s_endpgm
	.section	.rodata,"a",@progbits
	.p2align	6, 0x0
	.amdhsa_kernel _Z38paged_attention_ll4mi_QKV_mfma4_kernelI14__hip_bfloat16hLN4vllm18Fp8KVCacheDataTypeE1ES0_Li16ELi128ELi256ELb1ELi1EEvPKT_PKT0_S8_ifPKiSA_SA_iPKfiiiPfSD_PS3_PT2_iSC_SC_
		.amdhsa_group_segment_fixed_size 5280
		.amdhsa_private_segment_fixed_size 144
		.amdhsa_kernarg_size 400
		.amdhsa_user_sgpr_count 8
		.amdhsa_user_sgpr_private_segment_buffer 1
		.amdhsa_user_sgpr_dispatch_ptr 0
		.amdhsa_user_sgpr_queue_ptr 0
		.amdhsa_user_sgpr_kernarg_segment_ptr 1
		.amdhsa_user_sgpr_dispatch_id 0
		.amdhsa_user_sgpr_flat_scratch_init 1
		.amdhsa_user_sgpr_kernarg_preload_length 0
		.amdhsa_user_sgpr_kernarg_preload_offset 0
		.amdhsa_user_sgpr_private_segment_size 0
		.amdhsa_uses_dynamic_stack 0
		.amdhsa_system_sgpr_private_segment_wavefront_offset 1
		.amdhsa_system_sgpr_workgroup_id_x 1
		.amdhsa_system_sgpr_workgroup_id_y 1
		.amdhsa_system_sgpr_workgroup_id_z 1
		.amdhsa_system_sgpr_workgroup_info 0
		.amdhsa_system_vgpr_workitem_id 0
		.amdhsa_next_free_vgpr 84
		.amdhsa_next_free_sgpr 46
		.amdhsa_accum_offset 80
		.amdhsa_reserve_vcc 1
		.amdhsa_reserve_flat_scratch 0
		.amdhsa_float_round_mode_32 0
		.amdhsa_float_round_mode_16_64 0
		.amdhsa_float_denorm_mode_32 3
		.amdhsa_float_denorm_mode_16_64 3
		.amdhsa_dx10_clamp 1
		.amdhsa_ieee_mode 1
		.amdhsa_fp16_overflow 0
		.amdhsa_tg_split 0
		.amdhsa_exception_fp_ieee_invalid_op 0
		.amdhsa_exception_fp_denorm_src 0
		.amdhsa_exception_fp_ieee_div_zero 0
		.amdhsa_exception_fp_ieee_overflow 0
		.amdhsa_exception_fp_ieee_underflow 0
		.amdhsa_exception_fp_ieee_inexact 0
		.amdhsa_exception_int_div_zero 0
	.end_amdhsa_kernel
	.section	.text._Z38paged_attention_ll4mi_QKV_mfma4_kernelI14__hip_bfloat16hLN4vllm18Fp8KVCacheDataTypeE1ES0_Li16ELi128ELi256ELb1ELi1EEvPKT_PKT0_S8_ifPKiSA_SA_iPKfiiiPfSD_PS3_PT2_iSC_SC_,"axG",@progbits,_Z38paged_attention_ll4mi_QKV_mfma4_kernelI14__hip_bfloat16hLN4vllm18Fp8KVCacheDataTypeE1ES0_Li16ELi128ELi256ELb1ELi1EEvPKT_PKT0_S8_ifPKiSA_SA_iPKfiiiPfSD_PS3_PT2_iSC_SC_,comdat
.Lfunc_end754:
	.size	_Z38paged_attention_ll4mi_QKV_mfma4_kernelI14__hip_bfloat16hLN4vllm18Fp8KVCacheDataTypeE1ES0_Li16ELi128ELi256ELb1ELi1EEvPKT_PKT0_S8_ifPKiSA_SA_iPKfiiiPfSD_PS3_PT2_iSC_SC_, .Lfunc_end754-_Z38paged_attention_ll4mi_QKV_mfma4_kernelI14__hip_bfloat16hLN4vllm18Fp8KVCacheDataTypeE1ES0_Li16ELi128ELi256ELb1ELi1EEvPKT_PKT0_S8_ifPKiSA_SA_iPKfiiiPfSD_PS3_PT2_iSC_SC_
                                        ; -- End function
	.section	.AMDGPU.csdata,"",@progbits
; Kernel info:
; codeLenInByte = 42484
; NumSgprs: 50
; NumVgprs: 80
; NumAgprs: 4
; TotalNumVgprs: 84
; ScratchSize: 144
; MemoryBound: 0
; FloatMode: 240
; IeeeMode: 1
; LDSByteSize: 5280 bytes/workgroup (compile time only)
; SGPRBlocks: 6
; VGPRBlocks: 10
; NumSGPRsForWavesPerEU: 50
; NumVGPRsForWavesPerEU: 84
; AccumOffset: 80
; Occupancy: 5
; WaveLimiterHint : 1
; COMPUTE_PGM_RSRC2:SCRATCH_EN: 1
; COMPUTE_PGM_RSRC2:USER_SGPR: 8
; COMPUTE_PGM_RSRC2:TRAP_HANDLER: 0
; COMPUTE_PGM_RSRC2:TGID_X_EN: 1
; COMPUTE_PGM_RSRC2:TGID_Y_EN: 1
; COMPUTE_PGM_RSRC2:TGID_Z_EN: 1
; COMPUTE_PGM_RSRC2:TIDIG_COMP_CNT: 0
; COMPUTE_PGM_RSRC3_GFX90A:ACCUM_OFFSET: 19
; COMPUTE_PGM_RSRC3_GFX90A:TG_SPLIT: 0
	.section	.text._Z38paged_attention_ll4mi_QKV_mfma4_kernelI14__hip_bfloat16hLN4vllm18Fp8KVCacheDataTypeE1ES0_Li16ELi128ELi256ELb1ELi2EEvPKT_PKT0_S8_ifPKiSA_SA_iPKfiiiPfSD_PS3_PT2_iSC_SC_,"axG",@progbits,_Z38paged_attention_ll4mi_QKV_mfma4_kernelI14__hip_bfloat16hLN4vllm18Fp8KVCacheDataTypeE1ES0_Li16ELi128ELi256ELb1ELi2EEvPKT_PKT0_S8_ifPKiSA_SA_iPKfiiiPfSD_PS3_PT2_iSC_SC_,comdat
	.protected	_Z38paged_attention_ll4mi_QKV_mfma4_kernelI14__hip_bfloat16hLN4vllm18Fp8KVCacheDataTypeE1ES0_Li16ELi128ELi256ELb1ELi2EEvPKT_PKT0_S8_ifPKiSA_SA_iPKfiiiPfSD_PS3_PT2_iSC_SC_ ; -- Begin function _Z38paged_attention_ll4mi_QKV_mfma4_kernelI14__hip_bfloat16hLN4vllm18Fp8KVCacheDataTypeE1ES0_Li16ELi128ELi256ELb1ELi2EEvPKT_PKT0_S8_ifPKiSA_SA_iPKfiiiPfSD_PS3_PT2_iSC_SC_
	.globl	_Z38paged_attention_ll4mi_QKV_mfma4_kernelI14__hip_bfloat16hLN4vllm18Fp8KVCacheDataTypeE1ES0_Li16ELi128ELi256ELb1ELi2EEvPKT_PKT0_S8_ifPKiSA_SA_iPKfiiiPfSD_PS3_PT2_iSC_SC_
	.p2align	8
	.type	_Z38paged_attention_ll4mi_QKV_mfma4_kernelI14__hip_bfloat16hLN4vllm18Fp8KVCacheDataTypeE1ES0_Li16ELi128ELi256ELb1ELi2EEvPKT_PKT0_S8_ifPKiSA_SA_iPKfiiiPfSD_PS3_PT2_iSC_SC_,@function
_Z38paged_attention_ll4mi_QKV_mfma4_kernelI14__hip_bfloat16hLN4vllm18Fp8KVCacheDataTypeE1ES0_Li16ELi128ELi256ELb1ELi2EEvPKT_PKT0_S8_ifPKiSA_SA_iPKfiiiPfSD_PS3_PT2_iSC_SC_: ; @_Z38paged_attention_ll4mi_QKV_mfma4_kernelI14__hip_bfloat16hLN4vllm18Fp8KVCacheDataTypeE1ES0_Li16ELi128ELi256ELb1ELi2EEvPKT_PKT0_S8_ifPKiSA_SA_iPKfiiiPfSD_PS3_PT2_iSC_SC_
; %bb.0:
	s_load_dwordx2 s[20:21], s[4:5], 0x30
	s_add_u32 s0, s0, s11
	s_addc_u32 s1, s1, 0
	s_mov_b32 s24, s9
	s_mov_b64 s[6:7], 0
	s_waitcnt lgkmcnt(0)
	s_cmp_lg_u64 s[20:21], 0
	s_cselect_b64 s[22:23], -1, 0
	s_and_b64 vcc, exec, s[22:23]
	s_cbranch_vccz .LBB755_10
; %bb.1:
	s_add_i32 s12, s8, 1
	s_mov_b32 s13, 0
	s_lshl_b64 s[14:15], s[12:13], 2
	s_add_u32 s14, s20, s14
	s_mov_b32 s9, s13
	s_addc_u32 s15, s21, s15
	s_lshl_b64 s[12:13], s[8:9], 2
	s_add_u32 s12, s20, s12
	s_addc_u32 s13, s21, s13
	s_load_dword s11, s[14:15], 0x0
	s_load_dword s16, s[12:13], 0x0
	s_waitcnt lgkmcnt(0)
	s_sub_i32 s11, s11, s16
	s_cmp_eq_u32 s11, 1
	s_cselect_b64 s[12:13], -1, 0
	s_andn2_b64 vcc, exec, s[6:7]
	s_cbranch_vccnz .LBB755_3
.LBB755_2:
	s_mov_b32 s9, 0
	s_mov_b64 s[12:13], -1
.LBB755_3:
	s_andn2_b64 vcc, exec, s[12:13]
	s_cbranch_vccnz .LBB755_1180
; %bb.4:
	s_load_dword s11, s[4:5], 0x9c
	s_load_dwordx2 s[6:7], s[4:5], 0x28
	s_add_u32 s28, s4, 0x90
	s_addc_u32 s29, s5, 0
	s_lshl_b64 s[34:35], s[8:9], 2
	s_waitcnt lgkmcnt(0)
	s_and_b32 s11, s11, 0xffff
	s_add_u32 s6, s6, s34
	s_addc_u32 s7, s7, s35
	s_load_dword s9, s[6:7], 0x0
	s_mul_i32 s11, s24, s11
	s_waitcnt lgkmcnt(0)
	s_cmp_ge_i32 s11, s9
	s_cbranch_scc1 .LBB755_1180
; %bb.5:
	v_and_b32_e32 v1, 0xc0, v0
	v_add_u32_e32 v7, s11, v1
	v_lshrrev_b32_e32 v42, 6, v0
	v_cmp_le_i32_e64 s[6:7], s9, v7
                                        ; implicit-def: $sgpr36
                                        ; implicit-def: $sgpr25
	s_and_saveexec_b64 s[12:13], s[6:7]
	s_xor_b64 s[12:13], exec, s[12:13]
	s_cbranch_execz .LBB755_7
; %bb.6:
	v_mul_u32_u24_e32 v1, 20, v42
	v_or_b32_e32 v1, 0x1400, v1
	v_mov_b32_e32 v2, 0x1450
	v_mov_b32_e32 v3, 0xff7fffff
	v_mad_u32_u24 v2, v42, 20, v2
	ds_write2_b32 v1, v3, v3 offset1:1
	v_mov_b32_e32 v1, 0
	ds_write2_b32 v2, v1, v1 offset1:1
	v_mov_b32_e32 v2, 0x1408
	s_mov_b32 s25, 0xff7fffff
	s_mov_b32 s36, 0
	v_mad_u32_u24 v2, v42, 20, v2
	v_mov_b32_e32 v4, 0x1458
	v_mad_u32_u24 v4, v42, 20, v4
	ds_write2_b32 v2, v3, v3 offset1:1
	ds_write2_b32 v4, v1, v1 offset1:1
                                        ; implicit-def: $vgpr7
.LBB755_7:
	s_or_saveexec_b64 s[30:31], s[12:13]
	s_load_dwordx2 s[26:27], s[4:5], 0x68
	s_load_dwordx4 s[16:19], s[4:5], 0x58
	s_load_dword s42, s[28:29], 0x4
	s_load_dwordx4 s[12:15], s[4:5], 0x80
	v_and_b32_e32 v1, 63, v0
	v_and_b32_e32 v43, 3, v0
	s_lshl_b32 s33, s10, 1
	v_mov_b32_e32 v5, s36
	v_mov_b32_e32 v6, s25
	;; [unrolled: 1-line block ×5, first 2 shown]
	s_xor_b64 exec, exec, s[30:31]
	s_cbranch_execz .LBB755_787
; %bb.8:
	s_add_i32 s38, s9, 15
	s_load_dwordx2 s[36:37], s[4:5], 0x20
	s_load_dword s25, s[4:5], 0x38
	s_ashr_i32 s39, s38, 31
	s_lshr_b32 s39, s39, 28
	v_add_u32_e32 v44, s11, v0
	s_add_i32 s38, s38, s39
	v_ashrrev_i32_e32 v2, 31, v44
	s_ashr_i32 s38, s38, 4
	v_lshrrev_b32_e32 v2, 28, v2
	s_add_i32 s40, s38, -1
	v_add_u32_e32 v2, v44, v2
	s_waitcnt lgkmcnt(0)
	s_mul_i32 s38, s8, s25
	s_mov_b32 s39, 0
	v_ashrrev_i32_e32 v2, 4, v2
	v_mov_b32_e32 v3, s40
	v_cmp_gt_i32_e32 vcc, s9, v44
	s_lshl_b64 s[38:39], s[38:39], 2
	v_cndmask_b32_e32 v2, v3, v2, vcc
	s_add_u32 s25, s36, s38
	v_ashrrev_i32_e32 v3, 31, v2
	s_addc_u32 s36, s37, s39
	v_lshlrev_b64 v[2:3], 2, v[2:3]
	v_mov_b32_e32 v4, s36
	v_add_co_u32_e32 v2, vcc, s25, v2
	v_addc_co_u32_e32 v3, vcc, v4, v3, vcc
	v_ashrrev_i32_e32 v4, 31, v7
	v_lshrrev_b32_e32 v4, 28, v4
	v_add_u32_e32 v4, v7, v4
	v_ashrrev_i32_e32 v12, 4, v4
	v_min_i32_e32 v4, s40, v12
	v_ashrrev_i32_e32 v5, 31, v4
	v_lshlrev_b64 v[4:5], 2, v[4:5]
	v_mov_b32_e32 v6, s36
	v_add_co_u32_e32 v4, vcc, s25, v4
	v_addc_co_u32_e32 v5, vcc, v6, v5, vcc
	v_add_u32_e32 v6, 1, v12
	v_min_i32_e32 v6, s40, v6
	v_ashrrev_i32_e32 v7, 31, v6
	v_lshlrev_b64 v[6:7], 2, v[6:7]
	v_add_co_u32_e32 v8, vcc, s25, v6
	v_add_u32_e32 v6, 2, v12
	v_mov_b32_e32 v9, s36
	v_min_i32_e32 v6, s40, v6
	v_addc_co_u32_e32 v9, vcc, v9, v7, vcc
	v_ashrrev_i32_e32 v7, 31, v6
	v_lshlrev_b64 v[6:7], 2, v[6:7]
	v_add_co_u32_e32 v10, vcc, s25, v6
	v_add_u32_e32 v6, 3, v12
	v_mov_b32_e32 v11, s36
	v_min_i32_e32 v6, s40, v6
	v_addc_co_u32_e32 v11, vcc, v11, v7, vcc
	v_ashrrev_i32_e32 v7, 31, v6
	v_lshlrev_b64 v[6:7], 2, v[6:7]
	v_mov_b32_e32 v13, s36
	v_add_co_u32_e32 v12, vcc, s25, v6
	v_addc_co_u32_e32 v13, vcc, v13, v7, vcc
	global_load_dword v6, v[2:3], off
	global_load_dword v47, v[4:5], off
	;; [unrolled: 1-line block ×5, first 2 shown]
	s_load_dwordx2 s[36:37], s[4:5], 0x8
	s_andn2_b64 vcc, exec, s[22:23]
	s_cbranch_vccnz .LBB755_11
; %bb.9:
	s_add_u32 s20, s20, s34
	s_addc_u32 s21, s21, s35
	s_load_dword s11, s[20:21], 0x0
	s_branch .LBB755_12
.LBB755_10:
	s_mov_b64 s[12:13], 0
	s_branch .LBB755_2
.LBB755_11:
	s_mov_b32 s11, s8
.LBB755_12:
	s_load_dwordx2 s[34:35], s[4:5], 0x10
	s_load_dwordx4 s[20:23], s[4:5], 0x48
	v_cmp_gt_u32_e32 vcc, 2, v43
	s_mov_b32 s41, 0
	v_mov_b32_e32 v45, 0
	v_mov_b32_e32 v2, 0
	;; [unrolled: 1-line block ×5, first 2 shown]
	s_and_saveexec_b64 s[38:39], vcc
	s_cbranch_execz .LBB755_14
; %bb.13:
	s_load_dwordx2 s[44:45], s[4:5], 0x0
	s_waitcnt lgkmcnt(0)
	s_ashr_i32 s23, s20, 31
	s_mul_hi_u32 s25, s11, s20
	s_mul_i32 s23, s11, s23
	s_add_i32 s47, s25, s23
	s_mul_i32 s46, s11, s20
	s_lshl_b64 s[46:47], s[46:47], 1
	s_add_u32 s11, s44, s46
	s_addc_u32 s20, s45, s47
	s_lshl_b32 s40, s10, 8
	s_lshl_b64 s[40:41], s[40:41], 1
	v_lshlrev_b32_e32 v2, 2, v1
	s_add_u32 s40, s11, s40
	v_and_b32_e32 v2, 0xf0, v2
	s_addc_u32 s41, s20, s41
	v_lshl_or_b32 v2, v43, 8, v2
	global_load_dwordx4 v[2:5], v2, s[40:41]
.LBB755_14:
	s_or_b64 exec, exec, s[38:39]
	s_waitcnt lgkmcnt(0)
	s_mul_i32 s20, s10, s22
	s_add_u32 s10, s20, s36
	s_addc_u32 s11, 0, s37
	v_pk_mov_b32 v[8:9], s[10:11], s[10:11] op_sel:[0,1]
	s_waitcnt vmcnt(4)
	v_mad_i64_i32 v[6:7], s[10:11], v6, s21, v[8:9]
	v_lshlrev_b32_e32 v8, 4, v0
	v_and_b32_e32 v8, 0xf0, v8
	v_add_co_u32_e64 v38, s[10:11], v6, v8
	v_addc_co_u32_e64 v39, s[10:11], 0, v7, s[10:11]
	global_load_dwordx4 v[34:37], v[38:39], off
	global_load_dwordx4 v[30:33], v[38:39], off offset:256
	global_load_dwordx4 v[26:29], v[38:39], off offset:512
	;; [unrolled: 1-line block ×7, first 2 shown]
	s_and_saveexec_b64 s[10:11], vcc
	s_cbranch_execz .LBB755_16
; %bb.15:
	s_load_dwordx2 s[22:23], s[4:5], 0x40
	v_or_b32_e32 v38, s33, v43
	v_mov_b32_e32 v39, 0
	v_lshlrev_b64 v[38:39], 2, v[38:39]
	s_waitcnt lgkmcnt(0)
	v_mov_b32_e32 v45, s23
	v_add_co_u32_e32 v38, vcc, s22, v38
	v_addc_co_u32_e32 v39, vcc, v45, v39, vcc
	global_load_dword v45, v[38:39], off
.LBB755_16:
	s_or_b64 exec, exec, s[10:11]
	s_waitcnt vmcnt(11)
	v_mul_hi_i32 v38, v47, s21
	v_ashrrev_i32_e32 v38, 31, v38
	v_lshrrev_b32_e32 v38, 29, v38
	v_mov_b32_e32 v39, 0
	s_add_u32 s20, s34, s20
	v_mad_i64_i32 v[48:49], s[10:11], v47, s21, v[38:39]
	s_addc_u32 s22, s35, 0
	v_and_b32_e32 v38, -8, v48
	v_mov_b32_e32 v47, s22
	v_add_co_u32_e32 v38, vcc, s20, v38
	v_addc_co_u32_e32 v47, vcc, v47, v49, vcc
	v_lshlrev_b32_e32 v72, 4, v1
	v_add_co_u32_e32 v56, vcc, v38, v72
	s_waitcnt vmcnt(10)
	v_mul_hi_i32 v38, v46, s21
	v_ashrrev_i32_e32 v38, 31, v38
	v_lshrrev_b32_e32 v38, 29, v38
	v_addc_co_u32_e32 v57, vcc, 0, v47, vcc
	v_mad_i64_i32 v[46:47], s[10:11], v46, s21, v[38:39]
	v_and_b32_e32 v38, -8, v46
	v_mov_b32_e32 v46, s22
	v_add_co_u32_e32 v38, vcc, s20, v38
	v_addc_co_u32_e32 v47, vcc, v46, v47, vcc
	v_add_co_u32_e32 v46, vcc, v38, v72
	s_waitcnt vmcnt(9)
	v_mul_hi_i32 v38, v41, s21
	v_ashrrev_i32_e32 v38, 31, v38
	v_addc_co_u32_e32 v47, vcc, 0, v47, vcc
	v_lshrrev_b32_e32 v38, 29, v38
	global_load_dwordx4 v[48:51], v[56:57], off
	global_load_dwordx4 v[52:55], v[56:57], off offset:1024
	s_nop 0
	global_load_dwordx4 v[56:59], v[46:47], off
	global_load_dwordx4 v[60:63], v[46:47], off offset:1024
	v_mad_i64_i32 v[46:47], s[10:11], v41, s21, v[38:39]
	v_and_b32_e32 v38, -8, v46
	v_mov_b32_e32 v41, s22
	v_add_co_u32_e32 v38, vcc, s20, v38
	v_addc_co_u32_e32 v41, vcc, v41, v47, vcc
	v_add_co_u32_e32 v46, vcc, v38, v72
	s_waitcnt vmcnt(12)
	v_mul_hi_i32 v38, v40, s21
	v_ashrrev_i32_e32 v38, 31, v38
	v_lshrrev_b32_e32 v38, 29, v38
	v_addc_co_u32_e32 v47, vcc, 0, v41, vcc
	v_mad_i64_i32 v[40:41], s[10:11], v40, s21, v[38:39]
	v_and_b32_e32 v38, -8, v40
	v_mov_b32_e32 v40, s22
	v_add_co_u32_e32 v38, vcc, s20, v38
	v_addc_co_u32_e32 v41, vcc, v40, v41, vcc
	v_add_co_u32_e32 v40, vcc, v38, v72
	v_addc_co_u32_e32 v41, vcc, 0, v41, vcc
	global_load_dwordx4 v[64:67], v[46:47], off
	global_load_dwordx4 v[68:71], v[46:47], off offset:1024
	global_load_dwordx4 v[72:75], v[40:41], off
	global_load_dwordx4 v[76:79], v[40:41], off offset:1024
	s_waitcnt vmcnt(15)
	v_cmp_ne_u16_sdwa s[20:21], v34, v39 src0_sel:BYTE_0 src1_sel:DWORD
	v_mov_b32_e32 v46, 0
	s_waitcnt vmcnt(7)
	buffer_store_dword v49, off, s[0:3], 0 offset:4
	buffer_store_dword v48, off, s[0:3], 0
	buffer_store_dword v51, off, s[0:3], 0 offset:12
	buffer_store_dword v50, off, s[0:3], 0 offset:8
	s_waitcnt vmcnt(10)
	buffer_store_dword v53, off, s[0:3], 0 offset:68
	buffer_store_dword v52, off, s[0:3], 0 offset:64
	buffer_store_dword v55, off, s[0:3], 0 offset:76
	buffer_store_dword v54, off, s[0:3], 0 offset:72
	s_waitcnt vmcnt(13)
	buffer_store_dword v57, off, s[0:3], 0 offset:20
	buffer_store_dword v56, off, s[0:3], 0 offset:16
	;; [unrolled: 5-line block ×7, first 2 shown]
	buffer_store_dword v79, off, s[0:3], 0 offset:124
	buffer_store_dword v78, off, s[0:3], 0 offset:120
	s_and_saveexec_b64 s[10:11], s[20:21]
	s_cbranch_execz .LBB755_22
; %bb.17:
	s_movk_i32 s20, 0x80
	v_cmp_ne_u16_sdwa s[22:23], v34, s20 src0_sel:BYTE_0 src1_sel:DWORD
	v_mov_b32_e32 v46, 0xffff8000
	s_and_saveexec_b64 s[20:21], s[22:23]
	s_cbranch_execz .LBB755_21
; %bb.18:
	s_movk_i32 s22, 0x7f
	v_and_b32_e32 v38, 0x7f, v34
	v_cmp_ne_u32_e32 vcc, s22, v38
	v_mov_b32_e32 v46, 0x7f80
	s_and_saveexec_b64 s[22:23], vcc
	s_cbranch_execz .LBB755_20
; %bb.19:
	v_and_b32_e32 v40, 7, v34
	v_ffbh_u32_e32 v40, v40
	v_min_u32_e32 v40, 32, v40
	v_lshrrev_b32_e32 v41, 3, v38
	v_subrev_u32_e32 v46, 28, v40
	v_sub_u32_e32 v40, 29, v40
	v_cmp_gt_u32_e32 vcc, 8, v38
	v_cndmask_b32_e32 v38, v41, v40, vcc
	v_cndmask_b32_e32 v40, 0, v46, vcc
	v_lshlrev_b64 v[40:41], v40, v[34:35]
	v_lshlrev_b32_e32 v40, 20, v40
	v_lshlrev_b32_e32 v41, 24, v34
	v_bfrev_b32_e32 v46, 60
	v_and_b32_e32 v40, 0x700000, v40
	v_and_b32_e32 v41, 0x80000000, v41
	v_lshl_add_u32 v38, v38, 23, v46
	v_or3_b32 v38, v41, v38, v40
	v_lshrrev_b32_e32 v46, 16, v38
.LBB755_20:
	s_or_b64 exec, exec, s[22:23]
.LBB755_21:
	s_or_b64 exec, exec, s[20:21]
.LBB755_22:
	s_or_b64 exec, exec, s[10:11]
	v_lshrrev_b16_e32 v38, 8, v34
	v_cmp_ne_u16_e32 vcc, 0, v38
	s_and_saveexec_b64 s[10:11], vcc
	s_cbranch_execz .LBB755_28
; %bb.23:
	s_movk_i32 s20, 0x80
	v_cmp_ne_u16_e32 vcc, s20, v38
	v_mov_b32_e32 v39, 0xffff8000
	s_and_saveexec_b64 s[20:21], vcc
	s_cbranch_execz .LBB755_27
; %bb.24:
	s_movk_i32 s22, 0x7f
	v_and_b32_e32 v40, 0x7f, v38
	v_cmp_ne_u32_e32 vcc, s22, v40
	v_mov_b32_e32 v39, 0x7f80
	s_and_saveexec_b64 s[22:23], vcc
	s_cbranch_execz .LBB755_26
; %bb.25:
	v_and_b32_e32 v41, 7, v38
	v_ffbh_u32_e32 v39, v41
	v_min_u32_e32 v48, 32, v39
	v_subrev_u32_e32 v39, 28, v48
	v_lshlrev_b64 v[38:39], v39, v[38:39]
	v_lshrrev_b32_e32 v47, 3, v40
	v_sub_u32_e32 v39, 29, v48
	v_and_b32_e32 v38, 7, v38
	v_cmp_gt_u32_e32 vcc, 8, v40
	v_cndmask_b32_e32 v39, v47, v39, vcc
	v_cndmask_b32_e32 v38, v41, v38, vcc
	v_lshlrev_b32_e32 v40, 16, v34
	v_bfrev_b32_e32 v41, 60
	v_lshlrev_b32_e32 v38, 20, v38
	v_and_b32_e32 v40, 0x80000000, v40
	v_lshl_add_u32 v39, v39, 23, v41
	v_or3_b32 v38, v40, v39, v38
	v_lshrrev_b32_e32 v39, 16, v38
.LBB755_26:
	s_or_b64 exec, exec, s[22:23]
.LBB755_27:
	s_or_b64 exec, exec, s[20:21]
.LBB755_28:
	s_or_b64 exec, exec, s[10:11]
	s_movk_i32 s10, 0xff
	v_and_b32_sdwa v40, v34, s10 dst_sel:DWORD dst_unused:UNUSED_PAD src0_sel:WORD_1 src1_sel:DWORD
	v_lshrrev_b32_e32 v38, 16, v34
	v_cmp_ne_u16_e32 vcc, 0, v40
	v_mov_b32_e32 v41, 0
	v_mov_b32_e32 v47, 0
	s_and_saveexec_b64 s[10:11], vcc
	s_cbranch_execz .LBB755_34
; %bb.29:
	s_movk_i32 s20, 0x80
	v_cmp_ne_u16_e32 vcc, s20, v40
	v_mov_b32_e32 v47, 0xffff8000
	s_and_saveexec_b64 s[20:21], vcc
	s_cbranch_execz .LBB755_33
; %bb.30:
	v_bfe_u32 v40, v34, 16, 7
	s_movk_i32 s22, 0x7f
	v_cmp_ne_u32_e32 vcc, s22, v40
	v_mov_b32_e32 v47, 0x7f80
	s_and_saveexec_b64 s[22:23], vcc
	s_cbranch_execz .LBB755_32
; %bb.31:
	v_and_b32_e32 v47, 7, v38
	v_ffbh_u32_e32 v48, v47
	v_min_u32_e32 v51, 32, v48
	v_subrev_u32_e32 v48, 28, v51
	v_lshlrev_b64 v[48:49], v48, v[38:39]
	v_and_b32_e32 v48, 7, v48
	v_cmp_gt_u32_e32 vcc, 8, v40
	v_lshrrev_b32_e32 v50, 3, v40
	v_sub_u32_e32 v38, 29, v51
	v_cndmask_b32_e32 v40, v47, v48, vcc
	v_mov_b32_e32 v47, 24
	v_cndmask_b32_e32 v38, v50, v38, vcc
	v_lshlrev_b32_sdwa v47, v47, v34 dst_sel:DWORD dst_unused:UNUSED_PAD src0_sel:DWORD src1_sel:WORD_1
	v_bfrev_b32_e32 v48, 60
	v_lshlrev_b32_e32 v40, 20, v40
	v_and_b32_e32 v47, 0x80000000, v47
	v_lshl_add_u32 v38, v38, 23, v48
	v_or3_b32 v38, v47, v38, v40
	v_lshrrev_b32_e32 v47, 16, v38
.LBB755_32:
	s_or_b64 exec, exec, s[22:23]
.LBB755_33:
	s_or_b64 exec, exec, s[20:21]
.LBB755_34:
	s_or_b64 exec, exec, s[10:11]
	s_mov_b32 s10, 0xffffff
	v_cmp_lt_u32_e32 vcc, s10, v34
	v_mov_b32_e32 v48, 0
	s_and_saveexec_b64 s[10:11], vcc
	s_cbranch_execz .LBB755_40
; %bb.35:
	v_lshrrev_b32_e32 v38, 24, v34
	s_movk_i32 s20, 0x80
	v_cmp_ne_u32_e32 vcc, s20, v38
	v_mov_b32_e32 v48, 0xffff8000
	s_and_saveexec_b64 s[20:21], vcc
	s_cbranch_execz .LBB755_39
; %bb.36:
	v_bfe_u32 v40, v34, 24, 7
	s_movk_i32 s22, 0x7f
	v_cmp_ne_u32_e32 vcc, s22, v40
	v_mov_b32_e32 v48, 0x7f80
	s_and_saveexec_b64 s[22:23], vcc
	s_cbranch_execz .LBB755_38
; %bb.37:
	v_and_b32_e32 v50, 7, v38
	v_ffbh_u32_e32 v48, v50
	v_min_u32_e32 v52, 32, v48
	v_subrev_u32_e32 v48, 28, v52
	v_lshlrev_b64 v[48:49], v48, v[38:39]
	v_lshrrev_b32_e32 v51, 3, v40
	v_sub_u32_e32 v49, 29, v52
	v_and_b32_e32 v48, 7, v48
	v_cmp_gt_u32_e32 vcc, 8, v40
	v_cndmask_b32_e32 v40, v51, v49, vcc
	v_cndmask_b32_e32 v48, v50, v48, vcc
	v_lshlrev_b32_e32 v38, 24, v38
	v_bfrev_b32_e32 v49, 60
	v_lshlrev_b32_e32 v48, 20, v48
	v_and_b32_e32 v38, 0x80000000, v38
	v_lshl_add_u32 v40, v40, 23, v49
	v_or3_b32 v38, v38, v40, v48
	v_lshrrev_b32_e32 v48, 16, v38
.LBB755_38:
	s_or_b64 exec, exec, s[22:23]
.LBB755_39:
	s_or_b64 exec, exec, s[20:21]
.LBB755_40:
	s_or_b64 exec, exec, s[10:11]
	v_mov_b32_e32 v49, 0
	v_mov_b32_e32 v40, v35
	v_cmp_ne_u16_sdwa s[20:21], v35, v49 src0_sel:BYTE_0 src1_sel:DWORD
	v_mov_b32_e32 v50, 0
	s_and_saveexec_b64 s[10:11], s[20:21]
	s_cbranch_execz .LBB755_46
; %bb.41:
	s_movk_i32 s20, 0x80
	v_cmp_ne_u16_sdwa s[22:23], v35, s20 src0_sel:BYTE_0 src1_sel:DWORD
	v_mov_b32_e32 v50, 0xffff8000
	s_and_saveexec_b64 s[20:21], s[22:23]
	s_cbranch_execz .LBB755_45
; %bb.42:
	s_movk_i32 s22, 0x7f
	v_and_b32_e32 v38, 0x7f, v35
	v_cmp_ne_u32_e32 vcc, s22, v38
	v_mov_b32_e32 v50, 0x7f80
	s_and_saveexec_b64 s[22:23], vcc
	s_cbranch_execz .LBB755_44
; %bb.43:
	v_and_b32_e32 v50, 7, v35
	v_ffbh_u32_e32 v50, v50
	v_min_u32_e32 v50, 32, v50
	v_lshrrev_b32_e32 v51, 3, v38
	v_subrev_u32_e32 v52, 28, v50
	v_sub_u32_e32 v50, 29, v50
	v_cmp_gt_u32_e32 vcc, 8, v38
	v_cndmask_b32_e32 v38, v51, v50, vcc
	v_cndmask_b32_e32 v50, 0, v52, vcc
	v_lshlrev_b64 v[50:51], v50, v[40:41]
	v_lshlrev_b32_e32 v41, 20, v50
	v_lshlrev_b32_e32 v50, 24, v40
	v_bfrev_b32_e32 v51, 60
	v_and_b32_e32 v41, 0x700000, v41
	v_and_b32_e32 v50, 0x80000000, v50
	v_lshl_add_u32 v38, v38, 23, v51
	v_or3_b32 v38, v50, v38, v41
	v_lshrrev_b32_e32 v50, 16, v38
.LBB755_44:
	s_or_b64 exec, exec, s[22:23]
.LBB755_45:
	s_or_b64 exec, exec, s[20:21]
.LBB755_46:
	s_or_b64 exec, exec, s[10:11]
	v_lshrrev_b16_e32 v38, 8, v40
	v_cmp_ne_u16_e32 vcc, 0, v38
	s_and_saveexec_b64 s[10:11], vcc
	s_cbranch_execz .LBB755_52
; %bb.47:
	s_movk_i32 s20, 0x80
	v_cmp_ne_u16_e32 vcc, s20, v38
	v_mov_b32_e32 v49, 0xffff8000
	s_and_saveexec_b64 s[20:21], vcc
	s_cbranch_execz .LBB755_51
; %bb.48:
	s_movk_i32 s22, 0x7f
	v_and_b32_e32 v41, 0x7f, v38
	v_cmp_ne_u32_e32 vcc, s22, v41
	v_mov_b32_e32 v49, 0x7f80
	s_and_saveexec_b64 s[22:23], vcc
	s_cbranch_execz .LBB755_50
; %bb.49:
	v_and_b32_e32 v49, 7, v38
	v_ffbh_u32_e32 v52, v49
	v_min_u32_e32 v54, 32, v52
	v_subrev_u32_e32 v52, 28, v54
	v_lshlrev_b64 v[52:53], v52, v[38:39]
	v_lshrrev_b32_e32 v51, 3, v41
	v_sub_u32_e32 v38, 29, v54
	v_and_b32_e32 v52, 7, v52
	v_cmp_gt_u32_e32 vcc, 8, v41
	v_cndmask_b32_e32 v38, v51, v38, vcc
	v_cndmask_b32_e32 v41, v49, v52, vcc
	v_lshlrev_b32_e32 v40, 16, v40
	v_bfrev_b32_e32 v49, 60
	v_lshlrev_b32_e32 v41, 20, v41
	v_and_b32_e32 v40, 0x80000000, v40
	v_lshl_add_u32 v38, v38, 23, v49
	v_or3_b32 v38, v40, v38, v41
	v_lshrrev_b32_e32 v49, 16, v38
.LBB755_50:
	s_or_b64 exec, exec, s[22:23]
.LBB755_51:
	s_or_b64 exec, exec, s[20:21]
.LBB755_52:
	s_or_b64 exec, exec, s[10:11]
	s_movk_i32 s10, 0xff
	v_and_b32_sdwa v51, v35, s10 dst_sel:DWORD dst_unused:UNUSED_PAD src0_sel:WORD_1 src1_sel:DWORD
	v_lshrrev_b32_e32 v38, 16, v35
	v_cmp_ne_u16_e32 vcc, 0, v51
	v_mov_b32_e32 v40, 0
	v_mov_b32_e32 v41, 0
	s_and_saveexec_b64 s[10:11], vcc
	s_cbranch_execz .LBB755_58
; %bb.53:
	s_movk_i32 s20, 0x80
	v_cmp_ne_u16_e32 vcc, s20, v51
	v_mov_b32_e32 v41, 0xffff8000
	s_and_saveexec_b64 s[20:21], vcc
	s_cbranch_execz .LBB755_57
; %bb.54:
	v_bfe_u32 v51, v35, 16, 7
	s_movk_i32 s22, 0x7f
	v_cmp_ne_u32_e32 vcc, s22, v51
	v_mov_b32_e32 v41, 0x7f80
	s_and_saveexec_b64 s[22:23], vcc
	s_cbranch_execz .LBB755_56
; %bb.55:
	v_and_b32_e32 v41, 7, v38
	v_ffbh_u32_e32 v52, v41
	v_min_u32_e32 v55, 32, v52
	v_subrev_u32_e32 v52, 28, v55
	v_lshlrev_b64 v[52:53], v52, v[38:39]
	v_lshrrev_b32_e32 v54, 3, v51
	v_sub_u32_e32 v38, 29, v55
	v_and_b32_e32 v52, 7, v52
	v_cmp_gt_u32_e32 vcc, 8, v51
	v_mov_b32_e32 v51, 24
	v_cndmask_b32_e32 v38, v54, v38, vcc
	v_cndmask_b32_e32 v41, v41, v52, vcc
	v_lshlrev_b32_sdwa v51, v51, v35 dst_sel:DWORD dst_unused:UNUSED_PAD src0_sel:DWORD src1_sel:WORD_1
	v_bfrev_b32_e32 v52, 60
	v_lshlrev_b32_e32 v41, 20, v41
	v_and_b32_e32 v51, 0x80000000, v51
	v_lshl_add_u32 v38, v38, 23, v52
	v_or3_b32 v38, v51, v38, v41
	v_lshrrev_b32_e32 v41, 16, v38
.LBB755_56:
	s_or_b64 exec, exec, s[22:23]
.LBB755_57:
	s_or_b64 exec, exec, s[20:21]
.LBB755_58:
	s_or_b64 exec, exec, s[10:11]
	s_mov_b32 s10, -1
	s_mov_b32 s11, 0xffffff
	v_cmp_lt_u64_e32 vcc, s[10:11], v[34:35]
	s_and_saveexec_b64 s[10:11], vcc
	s_cbranch_execz .LBB755_64
; %bb.59:
	v_lshrrev_b32_e32 v34, 24, v35
	s_movk_i32 s20, 0x80
	v_cmp_ne_u32_e32 vcc, s20, v34
	v_mov_b32_e32 v40, 0xffff8000
	s_and_saveexec_b64 s[20:21], vcc
	s_cbranch_execz .LBB755_63
; %bb.60:
	v_bfe_u32 v35, v35, 24, 7
	s_movk_i32 s22, 0x7f
	v_cmp_ne_u32_e32 vcc, s22, v35
	v_mov_b32_e32 v40, 0x7f80
	s_and_saveexec_b64 s[22:23], vcc
	s_cbranch_execz .LBB755_62
; %bb.61:
	v_and_b32_e32 v38, 7, v34
	v_ffbh_u32_e32 v51, v38
	v_min_u32_e32 v51, 32, v51
	v_subrev_u32_e32 v52, 28, v51
	v_lshlrev_b64 v[52:53], v52, v[34:35]
	v_lshrrev_b32_e32 v40, 3, v35
	v_sub_u32_e32 v51, 29, v51
	v_and_b32_e32 v52, 7, v52
	v_cmp_gt_u32_e32 vcc, 8, v35
	v_cndmask_b32_e32 v35, v40, v51, vcc
	v_cndmask_b32_e32 v38, v38, v52, vcc
	v_lshlrev_b32_e32 v34, 24, v34
	v_bfrev_b32_e32 v40, 60
	v_lshlrev_b32_e32 v38, 20, v38
	v_and_b32_e32 v34, 0x80000000, v34
	v_lshl_add_u32 v35, v35, 23, v40
	v_or3_b32 v34, v34, v35, v38
	v_lshrrev_b32_e32 v40, 16, v34
.LBB755_62:
	s_or_b64 exec, exec, s[22:23]
.LBB755_63:
	s_or_b64 exec, exec, s[20:21]
.LBB755_64:
	s_or_b64 exec, exec, s[10:11]
	s_mov_b32 s10, 0x5040100
	v_perm_b32 v35, v48, v47, s10
	v_perm_b32 v34, v39, v46, s10
	;; [unrolled: 1-line block ×4, first 2 shown]
	v_mfma_f32_4x4x4bf16_1k a[0:3], v[2:3], v[34:35], 0 cbsz:4
	v_mov_b32_e32 v39, 0
	v_mfma_f32_4x4x4bf16_1k a[0:3], v[4:5], v[40:41], a[0:3] cbsz:4
	v_mov_b32_e32 v40, 0
	v_cmp_ne_u16_sdwa s[20:21], v36, v40 src0_sel:BYTE_0 src1_sel:DWORD
	s_and_saveexec_b64 s[10:11], s[20:21]
	s_cbranch_execz .LBB755_70
; %bb.65:
	s_movk_i32 s20, 0x80
	v_cmp_ne_u16_sdwa s[22:23], v36, s20 src0_sel:BYTE_0 src1_sel:DWORD
	v_mov_b32_e32 v39, 0xffff8000
	s_and_saveexec_b64 s[20:21], s[22:23]
	s_cbranch_execz .LBB755_69
; %bb.66:
	s_movk_i32 s22, 0x7f
	v_and_b32_e32 v34, 0x7f, v36
	v_cmp_ne_u32_e32 vcc, s22, v34
	v_mov_b32_e32 v39, 0x7f80
	s_and_saveexec_b64 s[22:23], vcc
	s_cbranch_execz .LBB755_68
; %bb.67:
	v_and_b32_e32 v35, 7, v36
	v_ffbh_u32_e32 v35, v35
	v_min_u32_e32 v35, 32, v35
	v_subrev_u32_e32 v39, 28, v35
	v_cmp_gt_u32_e32 vcc, 8, v34
	v_lshrrev_b32_e32 v38, 3, v34
	v_sub_u32_e32 v35, 29, v35
	v_cndmask_b32_e32 v34, 0, v39, vcc
	v_cndmask_b32_e32 v38, v38, v35, vcc
	v_lshlrev_b64 v[34:35], v34, v[36:37]
	v_lshlrev_b32_e32 v34, 20, v34
	v_lshlrev_b32_e32 v35, 24, v36
	v_bfrev_b32_e32 v39, 60
	v_and_b32_e32 v34, 0x700000, v34
	v_and_b32_e32 v35, 0x80000000, v35
	v_lshl_add_u32 v38, v38, 23, v39
	v_or3_b32 v34, v35, v38, v34
	v_lshrrev_b32_e32 v39, 16, v34
.LBB755_68:
	s_or_b64 exec, exec, s[22:23]
.LBB755_69:
	s_or_b64 exec, exec, s[20:21]
.LBB755_70:
	s_or_b64 exec, exec, s[10:11]
	v_lshrrev_b16_e32 v34, 8, v36
	v_cmp_ne_u16_e32 vcc, 0, v34
	s_and_saveexec_b64 s[10:11], vcc
	s_cbranch_execz .LBB755_76
; %bb.71:
	s_movk_i32 s20, 0x80
	v_cmp_ne_u16_e32 vcc, s20, v34
	v_mov_b32_e32 v40, 0xffff8000
	s_and_saveexec_b64 s[20:21], vcc
	s_cbranch_execz .LBB755_75
; %bb.72:
	s_movk_i32 s22, 0x7f
	v_and_b32_e32 v35, 0x7f, v34
	v_cmp_ne_u32_e32 vcc, s22, v35
	v_mov_b32_e32 v40, 0x7f80
	s_and_saveexec_b64 s[22:23], vcc
	s_cbranch_execz .LBB755_74
; %bb.73:
	v_and_b32_e32 v38, 7, v34
	v_ffbh_u32_e32 v40, v38
	v_min_u32_e32 v47, 32, v40
	v_subrev_u32_e32 v40, 28, v47
	v_lshlrev_b64 v[40:41], v40, v[34:35]
	v_lshrrev_b32_e32 v46, 3, v35
	v_sub_u32_e32 v34, 29, v47
	v_and_b32_e32 v40, 7, v40
	v_cmp_gt_u32_e32 vcc, 8, v35
	v_cndmask_b32_e32 v34, v46, v34, vcc
	v_cndmask_b32_e32 v35, v38, v40, vcc
	v_lshlrev_b32_e32 v38, 16, v36
	v_bfrev_b32_e32 v40, 60
	v_lshlrev_b32_e32 v35, 20, v35
	v_and_b32_e32 v38, 0x80000000, v38
	v_lshl_add_u32 v34, v34, 23, v40
	v_or3_b32 v34, v38, v34, v35
	v_lshrrev_b32_e32 v40, 16, v34
.LBB755_74:
	s_or_b64 exec, exec, s[22:23]
.LBB755_75:
	s_or_b64 exec, exec, s[20:21]
.LBB755_76:
	s_or_b64 exec, exec, s[10:11]
	s_movk_i32 s10, 0xff
	v_and_b32_sdwa v38, v36, s10 dst_sel:DWORD dst_unused:UNUSED_PAD src0_sel:WORD_1 src1_sel:DWORD
	v_lshrrev_b32_e32 v34, 16, v36
	v_cmp_ne_u16_e32 vcc, 0, v38
	v_mov_b32_e32 v35, 0
	v_mov_b32_e32 v41, 0
	s_and_saveexec_b64 s[10:11], vcc
	s_cbranch_execz .LBB755_82
; %bb.77:
	s_movk_i32 s20, 0x80
	v_cmp_ne_u16_e32 vcc, s20, v38
	v_mov_b32_e32 v41, 0xffff8000
	s_and_saveexec_b64 s[20:21], vcc
	s_cbranch_execz .LBB755_81
; %bb.78:
	v_bfe_u32 v38, v36, 16, 7
	s_movk_i32 s22, 0x7f
	v_cmp_ne_u32_e32 vcc, s22, v38
	v_mov_b32_e32 v41, 0x7f80
	s_and_saveexec_b64 s[22:23], vcc
	s_cbranch_execz .LBB755_80
; %bb.79:
	v_and_b32_e32 v41, 7, v34
	v_ffbh_u32_e32 v46, v41
	v_min_u32_e32 v49, 32, v46
	v_subrev_u32_e32 v46, 28, v49
	v_lshlrev_b64 v[46:47], v46, v[34:35]
	v_and_b32_e32 v46, 7, v46
	v_cmp_gt_u32_e32 vcc, 8, v38
	v_lshrrev_b32_e32 v48, 3, v38
	v_sub_u32_e32 v34, 29, v49
	v_cndmask_b32_e32 v38, v41, v46, vcc
	v_mov_b32_e32 v41, 24
	v_cndmask_b32_e32 v34, v48, v34, vcc
	v_lshlrev_b32_sdwa v41, v41, v36 dst_sel:DWORD dst_unused:UNUSED_PAD src0_sel:DWORD src1_sel:WORD_1
	v_bfrev_b32_e32 v46, 60
	v_lshlrev_b32_e32 v38, 20, v38
	v_and_b32_e32 v41, 0x80000000, v41
	v_lshl_add_u32 v34, v34, 23, v46
	v_or3_b32 v34, v41, v34, v38
	v_lshrrev_b32_e32 v41, 16, v34
.LBB755_80:
	s_or_b64 exec, exec, s[22:23]
.LBB755_81:
	s_or_b64 exec, exec, s[20:21]
.LBB755_82:
	s_or_b64 exec, exec, s[10:11]
	s_mov_b32 s10, 0xffffff
	v_cmp_lt_u32_e32 vcc, s10, v36
	v_mov_b32_e32 v46, 0
	s_and_saveexec_b64 s[10:11], vcc
	s_cbranch_execz .LBB755_88
; %bb.83:
	v_lshrrev_b32_e32 v34, 24, v36
	s_movk_i32 s20, 0x80
	v_cmp_ne_u32_e32 vcc, s20, v34
	v_mov_b32_e32 v46, 0xffff8000
	s_and_saveexec_b64 s[20:21], vcc
	s_cbranch_execz .LBB755_87
; %bb.84:
	v_bfe_u32 v38, v36, 24, 7
	s_movk_i32 s22, 0x7f
	v_cmp_ne_u32_e32 vcc, s22, v38
	v_mov_b32_e32 v46, 0x7f80
	s_and_saveexec_b64 s[22:23], vcc
	s_cbranch_execz .LBB755_86
; %bb.85:
	v_and_b32_e32 v48, 7, v34
	v_ffbh_u32_e32 v46, v48
	v_min_u32_e32 v50, 32, v46
	v_subrev_u32_e32 v46, 28, v50
	v_lshlrev_b64 v[46:47], v46, v[34:35]
	v_lshrrev_b32_e32 v49, 3, v38
	v_sub_u32_e32 v47, 29, v50
	v_and_b32_e32 v46, 7, v46
	v_cmp_gt_u32_e32 vcc, 8, v38
	v_cndmask_b32_e32 v38, v49, v47, vcc
	v_cndmask_b32_e32 v46, v48, v46, vcc
	v_lshlrev_b32_e32 v34, 24, v34
	v_bfrev_b32_e32 v47, 60
	v_lshlrev_b32_e32 v46, 20, v46
	v_and_b32_e32 v34, 0x80000000, v34
	v_lshl_add_u32 v38, v38, 23, v47
	v_or3_b32 v34, v34, v38, v46
	v_lshrrev_b32_e32 v46, 16, v34
.LBB755_86:
	s_or_b64 exec, exec, s[22:23]
.LBB755_87:
	s_or_b64 exec, exec, s[20:21]
.LBB755_88:
	s_or_b64 exec, exec, s[10:11]
	v_mov_b32_e32 v47, 0
	v_mov_b32_e32 v34, v37
	v_cmp_ne_u16_sdwa s[20:21], v37, v47 src0_sel:BYTE_0 src1_sel:DWORD
	v_mov_b32_e32 v48, 0
	s_and_saveexec_b64 s[10:11], s[20:21]
	s_cbranch_execz .LBB755_94
; %bb.89:
	s_movk_i32 s20, 0x80
	v_cmp_ne_u16_sdwa s[22:23], v37, s20 src0_sel:BYTE_0 src1_sel:DWORD
	v_mov_b32_e32 v48, 0xffff8000
	s_and_saveexec_b64 s[20:21], s[22:23]
	s_cbranch_execz .LBB755_93
; %bb.90:
	s_movk_i32 s22, 0x7f
	v_and_b32_e32 v38, 0x7f, v37
	v_cmp_ne_u32_e32 vcc, s22, v38
	v_mov_b32_e32 v48, 0x7f80
	s_and_saveexec_b64 s[22:23], vcc
	s_cbranch_execz .LBB755_92
; %bb.91:
	v_and_b32_e32 v48, 7, v37
	v_ffbh_u32_e32 v48, v48
	v_min_u32_e32 v48, 32, v48
	v_lshrrev_b32_e32 v49, 3, v38
	v_subrev_u32_e32 v50, 28, v48
	v_sub_u32_e32 v48, 29, v48
	v_cmp_gt_u32_e32 vcc, 8, v38
	v_cndmask_b32_e32 v38, v49, v48, vcc
	v_cndmask_b32_e32 v48, 0, v50, vcc
	v_lshlrev_b64 v[48:49], v48, v[34:35]
	v_lshlrev_b32_e32 v35, 20, v48
	v_lshlrev_b32_e32 v48, 24, v34
	v_bfrev_b32_e32 v49, 60
	v_and_b32_e32 v35, 0x700000, v35
	v_and_b32_e32 v48, 0x80000000, v48
	v_lshl_add_u32 v38, v38, 23, v49
	v_or3_b32 v35, v48, v38, v35
	v_lshrrev_b32_e32 v48, 16, v35
.LBB755_92:
	s_or_b64 exec, exec, s[22:23]
.LBB755_93:
	s_or_b64 exec, exec, s[20:21]
.LBB755_94:
	s_or_b64 exec, exec, s[10:11]
	v_lshrrev_b16_e32 v38, 8, v34
	v_cmp_ne_u16_e32 vcc, 0, v38
	s_and_saveexec_b64 s[10:11], vcc
	s_cbranch_execz .LBB755_100
; %bb.95:
	s_movk_i32 s20, 0x80
	v_cmp_ne_u16_e32 vcc, s20, v38
	v_mov_b32_e32 v47, 0xffff8000
	s_and_saveexec_b64 s[20:21], vcc
	s_cbranch_execz .LBB755_99
; %bb.96:
	s_movk_i32 s22, 0x7f
	v_and_b32_e32 v35, 0x7f, v38
	v_cmp_ne_u32_e32 vcc, s22, v35
	v_mov_b32_e32 v47, 0x7f80
	s_and_saveexec_b64 s[22:23], vcc
	s_cbranch_execz .LBB755_98
; %bb.97:
	v_and_b32_e32 v47, 7, v38
	v_ffbh_u32_e32 v50, v47
	v_min_u32_e32 v52, 32, v50
	v_subrev_u32_e32 v50, 28, v52
	v_lshlrev_b64 v[50:51], v50, v[38:39]
	v_lshrrev_b32_e32 v49, 3, v35
	v_sub_u32_e32 v38, 29, v52
	v_and_b32_e32 v50, 7, v50
	v_cmp_gt_u32_e32 vcc, 8, v35
	v_cndmask_b32_e32 v35, v49, v38, vcc
	v_cndmask_b32_e32 v38, v47, v50, vcc
	v_lshlrev_b32_e32 v34, 16, v34
	v_bfrev_b32_e32 v47, 60
	v_lshlrev_b32_e32 v38, 20, v38
	v_and_b32_e32 v34, 0x80000000, v34
	v_lshl_add_u32 v35, v35, 23, v47
	v_or3_b32 v34, v34, v35, v38
	v_lshrrev_b32_e32 v47, 16, v34
.LBB755_98:
	s_or_b64 exec, exec, s[22:23]
.LBB755_99:
	s_or_b64 exec, exec, s[20:21]
.LBB755_100:
	s_or_b64 exec, exec, s[10:11]
	s_movk_i32 s10, 0xff
	v_and_b32_sdwa v49, v37, s10 dst_sel:DWORD dst_unused:UNUSED_PAD src0_sel:WORD_1 src1_sel:DWORD
	v_lshrrev_b32_e32 v34, 16, v37
	v_cmp_ne_u16_e32 vcc, 0, v49
	v_mov_b32_e32 v35, 0
	v_mov_b32_e32 v38, 0
	s_and_saveexec_b64 s[10:11], vcc
	s_cbranch_execz .LBB755_106
; %bb.101:
	s_movk_i32 s20, 0x80
	v_cmp_ne_u16_e32 vcc, s20, v49
	v_mov_b32_e32 v38, 0xffff8000
	s_and_saveexec_b64 s[20:21], vcc
	s_cbranch_execz .LBB755_105
; %bb.102:
	v_bfe_u32 v49, v37, 16, 7
	s_movk_i32 s22, 0x7f
	v_cmp_ne_u32_e32 vcc, s22, v49
	v_mov_b32_e32 v38, 0x7f80
	s_and_saveexec_b64 s[22:23], vcc
	s_cbranch_execz .LBB755_104
; %bb.103:
	v_and_b32_e32 v38, 7, v34
	v_ffbh_u32_e32 v50, v38
	v_min_u32_e32 v53, 32, v50
	v_subrev_u32_e32 v50, 28, v53
	v_lshlrev_b64 v[50:51], v50, v[34:35]
	v_lshrrev_b32_e32 v52, 3, v49
	v_sub_u32_e32 v34, 29, v53
	v_and_b32_e32 v50, 7, v50
	v_cmp_gt_u32_e32 vcc, 8, v49
	v_mov_b32_e32 v49, 24
	v_cndmask_b32_e32 v34, v52, v34, vcc
	v_cndmask_b32_e32 v38, v38, v50, vcc
	v_lshlrev_b32_sdwa v49, v49, v37 dst_sel:DWORD dst_unused:UNUSED_PAD src0_sel:DWORD src1_sel:WORD_1
	v_bfrev_b32_e32 v50, 60
	v_lshlrev_b32_e32 v38, 20, v38
	v_and_b32_e32 v49, 0x80000000, v49
	v_lshl_add_u32 v34, v34, 23, v50
	v_or3_b32 v34, v49, v34, v38
	v_lshrrev_b32_e32 v38, 16, v34
.LBB755_104:
	s_or_b64 exec, exec, s[22:23]
.LBB755_105:
	s_or_b64 exec, exec, s[20:21]
.LBB755_106:
	s_or_b64 exec, exec, s[10:11]
	s_mov_b32 s10, -1
	s_mov_b32 s11, 0xffffff
	v_cmp_lt_u64_e32 vcc, s[10:11], v[36:37]
	s_and_saveexec_b64 s[10:11], vcc
	s_cbranch_execz .LBB755_112
; %bb.107:
	v_lshrrev_b32_e32 v34, 24, v37
	s_movk_i32 s20, 0x80
	v_cmp_ne_u32_e32 vcc, s20, v34
	v_mov_b32_e32 v35, 0xffff8000
	s_and_saveexec_b64 s[20:21], vcc
	s_cbranch_execz .LBB755_111
; %bb.108:
	v_bfe_u32 v36, v37, 24, 7
	s_movk_i32 s22, 0x7f
	v_cmp_ne_u32_e32 vcc, s22, v36
	v_mov_b32_e32 v35, 0x7f80
	s_and_saveexec_b64 s[22:23], vcc
	s_cbranch_execz .LBB755_110
; %bb.109:
	v_and_b32_e32 v35, 7, v34
	v_ffbh_u32_e32 v49, v35
	v_min_u32_e32 v49, 32, v49
	v_subrev_u32_e32 v50, 28, v49
	v_lshlrev_b64 v[50:51], v50, v[34:35]
	v_lshrrev_b32_e32 v37, 3, v36
	v_sub_u32_e32 v49, 29, v49
	v_and_b32_e32 v50, 7, v50
	v_cmp_gt_u32_e32 vcc, 8, v36
	v_cndmask_b32_e32 v36, v37, v49, vcc
	v_cndmask_b32_e32 v35, v35, v50, vcc
	v_lshlrev_b32_e32 v34, 24, v34
	v_bfrev_b32_e32 v37, 60
	v_lshlrev_b32_e32 v35, 20, v35
	v_and_b32_e32 v34, 0x80000000, v34
	v_lshl_add_u32 v36, v36, 23, v37
	v_or3_b32 v34, v34, v36, v35
	v_lshrrev_b32_e32 v35, 16, v34
.LBB755_110:
	s_or_b64 exec, exec, s[22:23]
.LBB755_111:
	s_or_b64 exec, exec, s[20:21]
.LBB755_112:
	s_or_b64 exec, exec, s[10:11]
	s_mov_b32 s10, 0x5040100
	v_perm_b32 v37, v46, v41, s10
	v_perm_b32 v36, v40, v39, s10
	;; [unrolled: 1-line block ×4, first 2 shown]
	v_mfma_f32_4x4x4bf16_1k a[0:3], v[2:3], v[36:37], a[0:3] cbsz:4 abid:1
	v_mov_b32_e32 v37, 0
	v_mfma_f32_4x4x4bf16_1k a[0:3], v[4:5], v[34:35], a[0:3] cbsz:4 abid:1
	v_cmp_ne_u16_sdwa s[20:21], v30, v37 src0_sel:BYTE_0 src1_sel:DWORD
	v_mov_b32_e32 v38, 0
	s_and_saveexec_b64 s[10:11], s[20:21]
	s_cbranch_execz .LBB755_118
; %bb.113:
	s_movk_i32 s20, 0x80
	v_cmp_ne_u16_sdwa s[22:23], v30, s20 src0_sel:BYTE_0 src1_sel:DWORD
	v_mov_b32_e32 v38, 0xffff8000
	s_and_saveexec_b64 s[20:21], s[22:23]
	s_cbranch_execz .LBB755_117
; %bb.114:
	s_movk_i32 s22, 0x7f
	v_and_b32_e32 v34, 0x7f, v30
	v_cmp_ne_u32_e32 vcc, s22, v34
	v_mov_b32_e32 v38, 0x7f80
	s_and_saveexec_b64 s[22:23], vcc
	s_cbranch_execz .LBB755_116
; %bb.115:
	v_and_b32_e32 v35, 7, v30
	v_ffbh_u32_e32 v35, v35
	v_min_u32_e32 v35, 32, v35
	v_subrev_u32_e32 v38, 28, v35
	v_cmp_gt_u32_e32 vcc, 8, v34
	v_lshrrev_b32_e32 v36, 3, v34
	v_sub_u32_e32 v35, 29, v35
	v_cndmask_b32_e32 v34, 0, v38, vcc
	v_cndmask_b32_e32 v36, v36, v35, vcc
	v_lshlrev_b64 v[34:35], v34, v[30:31]
	v_lshlrev_b32_e32 v34, 20, v34
	v_lshlrev_b32_e32 v35, 24, v30
	v_bfrev_b32_e32 v38, 60
	v_and_b32_e32 v34, 0x700000, v34
	v_and_b32_e32 v35, 0x80000000, v35
	v_lshl_add_u32 v36, v36, 23, v38
	v_or3_b32 v34, v35, v36, v34
	v_lshrrev_b32_e32 v38, 16, v34
.LBB755_116:
	s_or_b64 exec, exec, s[22:23]
.LBB755_117:
	s_or_b64 exec, exec, s[20:21]
.LBB755_118:
	s_or_b64 exec, exec, s[10:11]
	v_lshrrev_b16_e32 v34, 8, v30
	v_cmp_ne_u16_e32 vcc, 0, v34
	s_and_saveexec_b64 s[10:11], vcc
	s_cbranch_execz .LBB755_124
; %bb.119:
	s_movk_i32 s20, 0x80
	v_cmp_ne_u16_e32 vcc, s20, v34
	v_mov_b32_e32 v37, 0xffff8000
	s_and_saveexec_b64 s[20:21], vcc
	s_cbranch_execz .LBB755_123
; %bb.120:
	s_movk_i32 s22, 0x7f
	v_and_b32_e32 v35, 0x7f, v34
	v_cmp_ne_u32_e32 vcc, s22, v35
	v_mov_b32_e32 v37, 0x7f80
	s_and_saveexec_b64 s[22:23], vcc
	s_cbranch_execz .LBB755_122
; %bb.121:
	v_and_b32_e32 v39, 7, v34
	v_ffbh_u32_e32 v36, v39
	v_min_u32_e32 v41, 32, v36
	v_subrev_u32_e32 v36, 28, v41
	v_lshlrev_b64 v[36:37], v36, v[34:35]
	v_lshrrev_b32_e32 v40, 3, v35
	v_sub_u32_e32 v34, 29, v41
	v_and_b32_e32 v36, 7, v36
	v_cmp_gt_u32_e32 vcc, 8, v35
	v_cndmask_b32_e32 v34, v40, v34, vcc
	v_cndmask_b32_e32 v35, v39, v36, vcc
	v_lshlrev_b32_e32 v36, 16, v30
	v_bfrev_b32_e32 v37, 60
	v_lshlrev_b32_e32 v35, 20, v35
	v_and_b32_e32 v36, 0x80000000, v36
	v_lshl_add_u32 v34, v34, 23, v37
	v_or3_b32 v34, v36, v34, v35
	v_lshrrev_b32_e32 v37, 16, v34
.LBB755_122:
	s_or_b64 exec, exec, s[22:23]
.LBB755_123:
	s_or_b64 exec, exec, s[20:21]
.LBB755_124:
	s_or_b64 exec, exec, s[10:11]
	s_movk_i32 s10, 0xff
	v_and_b32_sdwa v36, v30, s10 dst_sel:DWORD dst_unused:UNUSED_PAD src0_sel:WORD_1 src1_sel:DWORD
	v_lshrrev_b32_e32 v34, 16, v30
	v_cmp_ne_u16_e32 vcc, 0, v36
	v_mov_b32_e32 v35, 0
	v_mov_b32_e32 v39, 0
	s_and_saveexec_b64 s[10:11], vcc
	s_cbranch_execz .LBB755_130
; %bb.125:
	s_movk_i32 s20, 0x80
	v_cmp_ne_u16_e32 vcc, s20, v36
	v_mov_b32_e32 v39, 0xffff8000
	s_and_saveexec_b64 s[20:21], vcc
	s_cbranch_execz .LBB755_129
; %bb.126:
	v_bfe_u32 v36, v30, 16, 7
	s_movk_i32 s22, 0x7f
	v_cmp_ne_u32_e32 vcc, s22, v36
	v_mov_b32_e32 v39, 0x7f80
	s_and_saveexec_b64 s[22:23], vcc
	s_cbranch_execz .LBB755_128
; %bb.127:
	v_and_b32_e32 v39, 7, v34
	v_ffbh_u32_e32 v40, v39
	v_min_u32_e32 v47, 32, v40
	v_subrev_u32_e32 v40, 28, v47
	v_lshlrev_b64 v[40:41], v40, v[34:35]
	v_and_b32_e32 v40, 7, v40
	v_cmp_gt_u32_e32 vcc, 8, v36
	v_lshrrev_b32_e32 v46, 3, v36
	v_sub_u32_e32 v34, 29, v47
	v_cndmask_b32_e32 v36, v39, v40, vcc
	v_mov_b32_e32 v39, 24
	v_cndmask_b32_e32 v34, v46, v34, vcc
	v_lshlrev_b32_sdwa v39, v39, v30 dst_sel:DWORD dst_unused:UNUSED_PAD src0_sel:DWORD src1_sel:WORD_1
	v_bfrev_b32_e32 v40, 60
	v_lshlrev_b32_e32 v36, 20, v36
	v_and_b32_e32 v39, 0x80000000, v39
	v_lshl_add_u32 v34, v34, 23, v40
	v_or3_b32 v34, v39, v34, v36
	v_lshrrev_b32_e32 v39, 16, v34
.LBB755_128:
	s_or_b64 exec, exec, s[22:23]
.LBB755_129:
	s_or_b64 exec, exec, s[20:21]
.LBB755_130:
	s_or_b64 exec, exec, s[10:11]
	s_mov_b32 s10, 0xffffff
	v_cmp_lt_u32_e32 vcc, s10, v30
	v_mov_b32_e32 v40, 0
	s_and_saveexec_b64 s[10:11], vcc
	s_cbranch_execz .LBB755_136
; %bb.131:
	v_lshrrev_b32_e32 v34, 24, v30
	s_movk_i32 s20, 0x80
	v_cmp_ne_u32_e32 vcc, s20, v34
	v_mov_b32_e32 v40, 0xffff8000
	s_and_saveexec_b64 s[20:21], vcc
	s_cbranch_execz .LBB755_135
; %bb.132:
	v_bfe_u32 v36, v30, 24, 7
	s_movk_i32 s22, 0x7f
	v_cmp_ne_u32_e32 vcc, s22, v36
	v_mov_b32_e32 v40, 0x7f80
	s_and_saveexec_b64 s[22:23], vcc
	s_cbranch_execz .LBB755_134
; %bb.133:
	v_and_b32_e32 v46, 7, v34
	v_ffbh_u32_e32 v40, v46
	v_min_u32_e32 v48, 32, v40
	v_subrev_u32_e32 v40, 28, v48
	v_lshlrev_b64 v[40:41], v40, v[34:35]
	v_lshrrev_b32_e32 v47, 3, v36
	v_sub_u32_e32 v41, 29, v48
	v_and_b32_e32 v40, 7, v40
	v_cmp_gt_u32_e32 vcc, 8, v36
	v_cndmask_b32_e32 v36, v47, v41, vcc
	v_cndmask_b32_e32 v40, v46, v40, vcc
	v_lshlrev_b32_e32 v34, 24, v34
	v_bfrev_b32_e32 v41, 60
	v_lshlrev_b32_e32 v40, 20, v40
	v_and_b32_e32 v34, 0x80000000, v34
	v_lshl_add_u32 v36, v36, 23, v41
	v_or3_b32 v34, v34, v36, v40
	v_lshrrev_b32_e32 v40, 16, v34
.LBB755_134:
	s_or_b64 exec, exec, s[22:23]
.LBB755_135:
	s_or_b64 exec, exec, s[20:21]
.LBB755_136:
	s_or_b64 exec, exec, s[10:11]
	v_mov_b32_e32 v41, 0
	v_mov_b32_e32 v34, v31
	v_cmp_ne_u16_sdwa s[20:21], v31, v41 src0_sel:BYTE_0 src1_sel:DWORD
	v_mov_b32_e32 v46, 0
	s_and_saveexec_b64 s[10:11], s[20:21]
	s_cbranch_execz .LBB755_142
; %bb.137:
	s_movk_i32 s20, 0x80
	v_cmp_ne_u16_sdwa s[22:23], v31, s20 src0_sel:BYTE_0 src1_sel:DWORD
	v_mov_b32_e32 v46, 0xffff8000
	s_and_saveexec_b64 s[20:21], s[22:23]
	s_cbranch_execz .LBB755_141
; %bb.138:
	s_movk_i32 s22, 0x7f
	v_and_b32_e32 v36, 0x7f, v31
	v_cmp_ne_u32_e32 vcc, s22, v36
	v_mov_b32_e32 v46, 0x7f80
	s_and_saveexec_b64 s[22:23], vcc
	s_cbranch_execz .LBB755_140
; %bb.139:
	v_and_b32_e32 v46, 7, v31
	v_ffbh_u32_e32 v46, v46
	v_min_u32_e32 v46, 32, v46
	v_lshrrev_b32_e32 v47, 3, v36
	v_subrev_u32_e32 v48, 28, v46
	v_sub_u32_e32 v46, 29, v46
	v_cmp_gt_u32_e32 vcc, 8, v36
	v_cndmask_b32_e32 v36, v47, v46, vcc
	v_cndmask_b32_e32 v46, 0, v48, vcc
	v_lshlrev_b64 v[46:47], v46, v[34:35]
	v_lshlrev_b32_e32 v35, 20, v46
	v_lshlrev_b32_e32 v46, 24, v34
	v_bfrev_b32_e32 v47, 60
	v_and_b32_e32 v35, 0x700000, v35
	v_and_b32_e32 v46, 0x80000000, v46
	v_lshl_add_u32 v36, v36, 23, v47
	v_or3_b32 v35, v46, v36, v35
	v_lshrrev_b32_e32 v46, 16, v35
.LBB755_140:
	s_or_b64 exec, exec, s[22:23]
.LBB755_141:
	s_or_b64 exec, exec, s[20:21]
.LBB755_142:
	s_or_b64 exec, exec, s[10:11]
	v_lshrrev_b16_e32 v36, 8, v34
	v_cmp_ne_u16_e32 vcc, 0, v36
	s_and_saveexec_b64 s[10:11], vcc
	s_cbranch_execz .LBB755_148
; %bb.143:
	s_movk_i32 s20, 0x80
	v_cmp_ne_u16_e32 vcc, s20, v36
	v_mov_b32_e32 v41, 0xffff8000
	s_and_saveexec_b64 s[20:21], vcc
	s_cbranch_execz .LBB755_147
; %bb.144:
	s_movk_i32 s22, 0x7f
	v_and_b32_e32 v35, 0x7f, v36
	v_cmp_ne_u32_e32 vcc, s22, v35
	v_mov_b32_e32 v41, 0x7f80
	s_and_saveexec_b64 s[22:23], vcc
	s_cbranch_execz .LBB755_146
; %bb.145:
	v_and_b32_e32 v41, 7, v36
	v_ffbh_u32_e32 v48, v41
	v_min_u32_e32 v50, 32, v48
	v_subrev_u32_e32 v48, 28, v50
	v_lshlrev_b64 v[48:49], v48, v[36:37]
	v_lshrrev_b32_e32 v47, 3, v35
	v_sub_u32_e32 v36, 29, v50
	v_and_b32_e32 v48, 7, v48
	v_cmp_gt_u32_e32 vcc, 8, v35
	v_cndmask_b32_e32 v35, v47, v36, vcc
	v_cndmask_b32_e32 v36, v41, v48, vcc
	v_lshlrev_b32_e32 v34, 16, v34
	v_bfrev_b32_e32 v41, 60
	v_lshlrev_b32_e32 v36, 20, v36
	v_and_b32_e32 v34, 0x80000000, v34
	v_lshl_add_u32 v35, v35, 23, v41
	v_or3_b32 v34, v34, v35, v36
	v_lshrrev_b32_e32 v41, 16, v34
.LBB755_146:
	s_or_b64 exec, exec, s[22:23]
.LBB755_147:
	s_or_b64 exec, exec, s[20:21]
.LBB755_148:
	s_or_b64 exec, exec, s[10:11]
	s_movk_i32 s10, 0xff
	v_and_b32_sdwa v47, v31, s10 dst_sel:DWORD dst_unused:UNUSED_PAD src0_sel:WORD_1 src1_sel:DWORD
	v_lshrrev_b32_e32 v34, 16, v31
	v_cmp_ne_u16_e32 vcc, 0, v47
	v_mov_b32_e32 v35, 0
	v_mov_b32_e32 v36, 0
	s_and_saveexec_b64 s[10:11], vcc
	s_cbranch_execz .LBB755_154
; %bb.149:
	s_movk_i32 s20, 0x80
	v_cmp_ne_u16_e32 vcc, s20, v47
	v_mov_b32_e32 v36, 0xffff8000
	s_and_saveexec_b64 s[20:21], vcc
	s_cbranch_execz .LBB755_153
; %bb.150:
	v_bfe_u32 v47, v31, 16, 7
	s_movk_i32 s22, 0x7f
	v_cmp_ne_u32_e32 vcc, s22, v47
	v_mov_b32_e32 v36, 0x7f80
	s_and_saveexec_b64 s[22:23], vcc
	s_cbranch_execz .LBB755_152
; %bb.151:
	v_and_b32_e32 v36, 7, v34
	v_ffbh_u32_e32 v48, v36
	v_min_u32_e32 v51, 32, v48
	v_subrev_u32_e32 v48, 28, v51
	v_lshlrev_b64 v[48:49], v48, v[34:35]
	v_lshrrev_b32_e32 v50, 3, v47
	v_sub_u32_e32 v34, 29, v51
	v_and_b32_e32 v48, 7, v48
	v_cmp_gt_u32_e32 vcc, 8, v47
	v_mov_b32_e32 v47, 24
	v_cndmask_b32_e32 v34, v50, v34, vcc
	v_cndmask_b32_e32 v36, v36, v48, vcc
	v_lshlrev_b32_sdwa v47, v47, v31 dst_sel:DWORD dst_unused:UNUSED_PAD src0_sel:DWORD src1_sel:WORD_1
	v_bfrev_b32_e32 v48, 60
	v_lshlrev_b32_e32 v36, 20, v36
	v_and_b32_e32 v47, 0x80000000, v47
	v_lshl_add_u32 v34, v34, 23, v48
	v_or3_b32 v34, v47, v34, v36
	v_lshrrev_b32_e32 v36, 16, v34
.LBB755_152:
	s_or_b64 exec, exec, s[22:23]
.LBB755_153:
	s_or_b64 exec, exec, s[20:21]
.LBB755_154:
	s_or_b64 exec, exec, s[10:11]
	s_mov_b32 s10, -1
	s_mov_b32 s11, 0xffffff
	v_cmp_lt_u64_e32 vcc, s[10:11], v[30:31]
	s_and_saveexec_b64 s[10:11], vcc
	s_cbranch_execz .LBB755_160
; %bb.155:
	v_lshrrev_b32_e32 v30, 24, v31
	s_movk_i32 s20, 0x80
	v_cmp_ne_u32_e32 vcc, s20, v30
	v_mov_b32_e32 v35, 0xffff8000
	s_and_saveexec_b64 s[20:21], vcc
	s_cbranch_execz .LBB755_159
; %bb.156:
	v_bfe_u32 v31, v31, 24, 7
	s_movk_i32 s22, 0x7f
	v_cmp_ne_u32_e32 vcc, s22, v31
	v_mov_b32_e32 v35, 0x7f80
	s_and_saveexec_b64 s[22:23], vcc
	s_cbranch_execz .LBB755_158
; %bb.157:
	v_and_b32_e32 v47, 7, v30
	v_ffbh_u32_e32 v34, v47
	v_min_u32_e32 v49, 32, v34
	v_subrev_u32_e32 v34, 28, v49
	v_lshlrev_b64 v[34:35], v34, v[30:31]
	v_lshrrev_b32_e32 v48, 3, v31
	v_sub_u32_e32 v35, 29, v49
	v_and_b32_e32 v34, 7, v34
	v_cmp_gt_u32_e32 vcc, 8, v31
	v_cndmask_b32_e32 v31, v48, v35, vcc
	v_cndmask_b32_e32 v34, v47, v34, vcc
	v_lshlrev_b32_e32 v30, 24, v30
	v_bfrev_b32_e32 v35, 60
	v_lshlrev_b32_e32 v34, 20, v34
	v_and_b32_e32 v30, 0x80000000, v30
	v_lshl_add_u32 v31, v31, 23, v35
	v_or3_b32 v30, v30, v31, v34
	v_lshrrev_b32_e32 v35, 16, v30
.LBB755_158:
	s_or_b64 exec, exec, s[22:23]
.LBB755_159:
	s_or_b64 exec, exec, s[20:21]
.LBB755_160:
	s_or_b64 exec, exec, s[10:11]
	s_mov_b32 s10, 0x5040100
	v_perm_b32 v31, v40, v39, s10
	v_perm_b32 v30, v37, v38, s10
	;; [unrolled: 1-line block ×4, first 2 shown]
	v_mfma_f32_4x4x4bf16_1k a[0:3], v[2:3], v[30:31], a[0:3] cbsz:4 abid:2
	v_mov_b32_e32 v36, 0
	v_mfma_f32_4x4x4bf16_1k a[0:3], v[4:5], v[34:35], a[0:3] cbsz:4 abid:2
	v_mov_b32_e32 v35, 0
	v_cmp_ne_u16_sdwa s[20:21], v32, v35 src0_sel:BYTE_0 src1_sel:DWORD
	s_and_saveexec_b64 s[10:11], s[20:21]
	s_cbranch_execz .LBB755_166
; %bb.161:
	s_movk_i32 s20, 0x80
	v_cmp_ne_u16_sdwa s[22:23], v32, s20 src0_sel:BYTE_0 src1_sel:DWORD
	v_mov_b32_e32 v36, 0xffff8000
	s_and_saveexec_b64 s[20:21], s[22:23]
	s_cbranch_execz .LBB755_165
; %bb.162:
	s_movk_i32 s22, 0x7f
	v_and_b32_e32 v30, 0x7f, v32
	v_cmp_ne_u32_e32 vcc, s22, v30
	v_mov_b32_e32 v36, 0x7f80
	s_and_saveexec_b64 s[22:23], vcc
	s_cbranch_execz .LBB755_164
; %bb.163:
	v_and_b32_e32 v31, 7, v32
	v_ffbh_u32_e32 v31, v31
	v_min_u32_e32 v31, 32, v31
	v_subrev_u32_e32 v36, 28, v31
	v_cmp_gt_u32_e32 vcc, 8, v30
	v_lshrrev_b32_e32 v34, 3, v30
	v_sub_u32_e32 v31, 29, v31
	v_cndmask_b32_e32 v30, 0, v36, vcc
	v_cndmask_b32_e32 v34, v34, v31, vcc
	v_lshlrev_b64 v[30:31], v30, v[32:33]
	v_lshlrev_b32_e32 v30, 20, v30
	v_lshlrev_b32_e32 v31, 24, v32
	v_bfrev_b32_e32 v36, 60
	v_and_b32_e32 v30, 0x700000, v30
	v_and_b32_e32 v31, 0x80000000, v31
	v_lshl_add_u32 v34, v34, 23, v36
	v_or3_b32 v30, v31, v34, v30
	v_lshrrev_b32_e32 v36, 16, v30
.LBB755_164:
	s_or_b64 exec, exec, s[22:23]
.LBB755_165:
	s_or_b64 exec, exec, s[20:21]
.LBB755_166:
	s_or_b64 exec, exec, s[10:11]
	v_lshrrev_b16_e32 v30, 8, v32
	v_cmp_ne_u16_e32 vcc, 0, v30
	s_and_saveexec_b64 s[10:11], vcc
	s_cbranch_execz .LBB755_172
; %bb.167:
	s_movk_i32 s20, 0x80
	v_cmp_ne_u16_e32 vcc, s20, v30
	v_mov_b32_e32 v35, 0xffff8000
	s_and_saveexec_b64 s[20:21], vcc
	s_cbranch_execz .LBB755_171
; %bb.168:
	s_movk_i32 s22, 0x7f
	v_and_b32_e32 v31, 0x7f, v30
	v_cmp_ne_u32_e32 vcc, s22, v31
	v_mov_b32_e32 v35, 0x7f80
	s_and_saveexec_b64 s[22:23], vcc
	s_cbranch_execz .LBB755_170
; %bb.169:
	v_and_b32_e32 v37, 7, v30
	v_ffbh_u32_e32 v34, v37
	v_min_u32_e32 v39, 32, v34
	v_subrev_u32_e32 v34, 28, v39
	v_lshlrev_b64 v[34:35], v34, v[30:31]
	v_lshrrev_b32_e32 v38, 3, v31
	v_sub_u32_e32 v30, 29, v39
	v_and_b32_e32 v34, 7, v34
	v_cmp_gt_u32_e32 vcc, 8, v31
	v_cndmask_b32_e32 v30, v38, v30, vcc
	v_cndmask_b32_e32 v31, v37, v34, vcc
	v_lshlrev_b32_e32 v34, 16, v32
	v_bfrev_b32_e32 v35, 60
	v_lshlrev_b32_e32 v31, 20, v31
	v_and_b32_e32 v34, 0x80000000, v34
	v_lshl_add_u32 v30, v30, 23, v35
	v_or3_b32 v30, v34, v30, v31
	v_lshrrev_b32_e32 v35, 16, v30
.LBB755_170:
	s_or_b64 exec, exec, s[22:23]
.LBB755_171:
	s_or_b64 exec, exec, s[20:21]
.LBB755_172:
	s_or_b64 exec, exec, s[10:11]
	s_movk_i32 s10, 0xff
	v_and_b32_sdwa v34, v32, s10 dst_sel:DWORD dst_unused:UNUSED_PAD src0_sel:WORD_1 src1_sel:DWORD
	v_lshrrev_b32_e32 v30, 16, v32
	v_cmp_ne_u16_e32 vcc, 0, v34
	v_mov_b32_e32 v31, 0
	v_mov_b32_e32 v37, 0
	s_and_saveexec_b64 s[10:11], vcc
	s_cbranch_execz .LBB755_178
; %bb.173:
	s_movk_i32 s20, 0x80
	v_cmp_ne_u16_e32 vcc, s20, v34
	v_mov_b32_e32 v37, 0xffff8000
	s_and_saveexec_b64 s[20:21], vcc
	s_cbranch_execz .LBB755_177
; %bb.174:
	v_bfe_u32 v34, v32, 16, 7
	s_movk_i32 s22, 0x7f
	v_cmp_ne_u32_e32 vcc, s22, v34
	v_mov_b32_e32 v37, 0x7f80
	s_and_saveexec_b64 s[22:23], vcc
	s_cbranch_execz .LBB755_176
; %bb.175:
	v_and_b32_e32 v37, 7, v30
	v_ffbh_u32_e32 v38, v37
	v_min_u32_e32 v41, 32, v38
	v_subrev_u32_e32 v38, 28, v41
	v_lshlrev_b64 v[38:39], v38, v[30:31]
	v_and_b32_e32 v38, 7, v38
	v_cmp_gt_u32_e32 vcc, 8, v34
	v_lshrrev_b32_e32 v40, 3, v34
	v_sub_u32_e32 v30, 29, v41
	v_cndmask_b32_e32 v34, v37, v38, vcc
	v_mov_b32_e32 v37, 24
	v_cndmask_b32_e32 v30, v40, v30, vcc
	v_lshlrev_b32_sdwa v37, v37, v32 dst_sel:DWORD dst_unused:UNUSED_PAD src0_sel:DWORD src1_sel:WORD_1
	v_bfrev_b32_e32 v38, 60
	v_lshlrev_b32_e32 v34, 20, v34
	v_and_b32_e32 v37, 0x80000000, v37
	v_lshl_add_u32 v30, v30, 23, v38
	v_or3_b32 v30, v37, v30, v34
	v_lshrrev_b32_e32 v37, 16, v30
.LBB755_176:
	s_or_b64 exec, exec, s[22:23]
.LBB755_177:
	s_or_b64 exec, exec, s[20:21]
.LBB755_178:
	s_or_b64 exec, exec, s[10:11]
	s_mov_b32 s10, 0xffffff
	v_cmp_lt_u32_e32 vcc, s10, v32
	v_mov_b32_e32 v38, 0
	s_and_saveexec_b64 s[10:11], vcc
	s_cbranch_execz .LBB755_184
; %bb.179:
	v_lshrrev_b32_e32 v30, 24, v32
	s_movk_i32 s20, 0x80
	v_cmp_ne_u32_e32 vcc, s20, v30
	v_mov_b32_e32 v38, 0xffff8000
	s_and_saveexec_b64 s[20:21], vcc
	s_cbranch_execz .LBB755_183
; %bb.180:
	v_bfe_u32 v34, v32, 24, 7
	s_movk_i32 s22, 0x7f
	v_cmp_ne_u32_e32 vcc, s22, v34
	v_mov_b32_e32 v38, 0x7f80
	s_and_saveexec_b64 s[22:23], vcc
	s_cbranch_execz .LBB755_182
; %bb.181:
	v_and_b32_e32 v40, 7, v30
	v_ffbh_u32_e32 v38, v40
	v_min_u32_e32 v46, 32, v38
	v_subrev_u32_e32 v38, 28, v46
	v_lshlrev_b64 v[38:39], v38, v[30:31]
	v_lshrrev_b32_e32 v41, 3, v34
	v_sub_u32_e32 v39, 29, v46
	v_and_b32_e32 v38, 7, v38
	v_cmp_gt_u32_e32 vcc, 8, v34
	v_cndmask_b32_e32 v34, v41, v39, vcc
	v_cndmask_b32_e32 v38, v40, v38, vcc
	v_lshlrev_b32_e32 v30, 24, v30
	v_bfrev_b32_e32 v39, 60
	v_lshlrev_b32_e32 v38, 20, v38
	v_and_b32_e32 v30, 0x80000000, v30
	v_lshl_add_u32 v34, v34, 23, v39
	v_or3_b32 v30, v30, v34, v38
	v_lshrrev_b32_e32 v38, 16, v30
.LBB755_182:
	s_or_b64 exec, exec, s[22:23]
.LBB755_183:
	s_or_b64 exec, exec, s[20:21]
.LBB755_184:
	s_or_b64 exec, exec, s[10:11]
	v_mov_b32_e32 v39, 0
	v_mov_b32_e32 v30, v33
	v_cmp_ne_u16_sdwa s[20:21], v33, v39 src0_sel:BYTE_0 src1_sel:DWORD
	v_mov_b32_e32 v40, 0
	s_and_saveexec_b64 s[10:11], s[20:21]
	s_cbranch_execz .LBB755_190
; %bb.185:
	s_movk_i32 s20, 0x80
	v_cmp_ne_u16_sdwa s[22:23], v33, s20 src0_sel:BYTE_0 src1_sel:DWORD
	v_mov_b32_e32 v40, 0xffff8000
	s_and_saveexec_b64 s[20:21], s[22:23]
	s_cbranch_execz .LBB755_189
; %bb.186:
	s_movk_i32 s22, 0x7f
	v_and_b32_e32 v34, 0x7f, v33
	v_cmp_ne_u32_e32 vcc, s22, v34
	v_mov_b32_e32 v40, 0x7f80
	s_and_saveexec_b64 s[22:23], vcc
	s_cbranch_execz .LBB755_188
; %bb.187:
	v_and_b32_e32 v40, 7, v33
	v_ffbh_u32_e32 v40, v40
	v_min_u32_e32 v40, 32, v40
	v_lshrrev_b32_e32 v41, 3, v34
	v_subrev_u32_e32 v46, 28, v40
	v_sub_u32_e32 v40, 29, v40
	v_cmp_gt_u32_e32 vcc, 8, v34
	v_cndmask_b32_e32 v34, v41, v40, vcc
	v_cndmask_b32_e32 v40, 0, v46, vcc
	v_lshlrev_b64 v[40:41], v40, v[30:31]
	v_lshlrev_b32_e32 v31, 20, v40
	v_lshlrev_b32_e32 v40, 24, v30
	v_bfrev_b32_e32 v41, 60
	v_and_b32_e32 v31, 0x700000, v31
	v_and_b32_e32 v40, 0x80000000, v40
	v_lshl_add_u32 v34, v34, 23, v41
	v_or3_b32 v31, v40, v34, v31
	v_lshrrev_b32_e32 v40, 16, v31
.LBB755_188:
	s_or_b64 exec, exec, s[22:23]
.LBB755_189:
	s_or_b64 exec, exec, s[20:21]
.LBB755_190:
	s_or_b64 exec, exec, s[10:11]
	v_lshrrev_b16_e32 v34, 8, v30
	v_cmp_ne_u16_e32 vcc, 0, v34
	s_and_saveexec_b64 s[10:11], vcc
	s_cbranch_execz .LBB755_196
; %bb.191:
	s_movk_i32 s20, 0x80
	v_cmp_ne_u16_e32 vcc, s20, v34
	v_mov_b32_e32 v39, 0xffff8000
	s_and_saveexec_b64 s[20:21], vcc
	s_cbranch_execz .LBB755_195
; %bb.192:
	s_movk_i32 s22, 0x7f
	v_and_b32_e32 v31, 0x7f, v34
	v_cmp_ne_u32_e32 vcc, s22, v31
	v_mov_b32_e32 v39, 0x7f80
	s_and_saveexec_b64 s[22:23], vcc
	s_cbranch_execz .LBB755_194
; %bb.193:
	v_and_b32_e32 v39, 7, v34
	v_ffbh_u32_e32 v46, v39
	v_min_u32_e32 v48, 32, v46
	v_subrev_u32_e32 v46, 28, v48
	v_lshlrev_b64 v[46:47], v46, v[34:35]
	v_lshrrev_b32_e32 v41, 3, v31
	v_sub_u32_e32 v34, 29, v48
	v_and_b32_e32 v46, 7, v46
	v_cmp_gt_u32_e32 vcc, 8, v31
	v_cndmask_b32_e32 v31, v41, v34, vcc
	v_cndmask_b32_e32 v34, v39, v46, vcc
	v_lshlrev_b32_e32 v30, 16, v30
	v_bfrev_b32_e32 v39, 60
	v_lshlrev_b32_e32 v34, 20, v34
	v_and_b32_e32 v30, 0x80000000, v30
	v_lshl_add_u32 v31, v31, 23, v39
	v_or3_b32 v30, v30, v31, v34
	v_lshrrev_b32_e32 v39, 16, v30
.LBB755_194:
	s_or_b64 exec, exec, s[22:23]
.LBB755_195:
	s_or_b64 exec, exec, s[20:21]
.LBB755_196:
	s_or_b64 exec, exec, s[10:11]
	s_movk_i32 s10, 0xff
	v_and_b32_sdwa v41, v33, s10 dst_sel:DWORD dst_unused:UNUSED_PAD src0_sel:WORD_1 src1_sel:DWORD
	v_lshrrev_b32_e32 v30, 16, v33
	v_cmp_ne_u16_e32 vcc, 0, v41
	v_mov_b32_e32 v31, 0
	v_mov_b32_e32 v34, 0
	s_and_saveexec_b64 s[10:11], vcc
	s_cbranch_execz .LBB755_202
; %bb.197:
	s_movk_i32 s20, 0x80
	v_cmp_ne_u16_e32 vcc, s20, v41
	v_mov_b32_e32 v34, 0xffff8000
	s_and_saveexec_b64 s[20:21], vcc
	s_cbranch_execz .LBB755_201
; %bb.198:
	v_bfe_u32 v41, v33, 16, 7
	s_movk_i32 s22, 0x7f
	v_cmp_ne_u32_e32 vcc, s22, v41
	v_mov_b32_e32 v34, 0x7f80
	s_and_saveexec_b64 s[22:23], vcc
	s_cbranch_execz .LBB755_200
; %bb.199:
	v_and_b32_e32 v34, 7, v30
	v_ffbh_u32_e32 v46, v34
	v_min_u32_e32 v49, 32, v46
	v_subrev_u32_e32 v46, 28, v49
	v_lshlrev_b64 v[46:47], v46, v[30:31]
	v_lshrrev_b32_e32 v48, 3, v41
	v_sub_u32_e32 v30, 29, v49
	v_and_b32_e32 v46, 7, v46
	v_cmp_gt_u32_e32 vcc, 8, v41
	v_mov_b32_e32 v41, 24
	v_cndmask_b32_e32 v30, v48, v30, vcc
	v_cndmask_b32_e32 v34, v34, v46, vcc
	v_lshlrev_b32_sdwa v41, v41, v33 dst_sel:DWORD dst_unused:UNUSED_PAD src0_sel:DWORD src1_sel:WORD_1
	v_bfrev_b32_e32 v46, 60
	v_lshlrev_b32_e32 v34, 20, v34
	v_and_b32_e32 v41, 0x80000000, v41
	v_lshl_add_u32 v30, v30, 23, v46
	v_or3_b32 v30, v41, v30, v34
	v_lshrrev_b32_e32 v34, 16, v30
.LBB755_200:
	s_or_b64 exec, exec, s[22:23]
.LBB755_201:
	s_or_b64 exec, exec, s[20:21]
.LBB755_202:
	s_or_b64 exec, exec, s[10:11]
	s_mov_b32 s10, -1
	s_mov_b32 s11, 0xffffff
	v_cmp_lt_u64_e32 vcc, s[10:11], v[32:33]
	s_and_saveexec_b64 s[10:11], vcc
	s_cbranch_execz .LBB755_208
; %bb.203:
	v_lshrrev_b32_e32 v30, 24, v33
	s_movk_i32 s20, 0x80
	v_cmp_ne_u32_e32 vcc, s20, v30
	v_mov_b32_e32 v31, 0xffff8000
	s_and_saveexec_b64 s[20:21], vcc
	s_cbranch_execz .LBB755_207
; %bb.204:
	v_bfe_u32 v32, v33, 24, 7
	s_movk_i32 s22, 0x7f
	v_cmp_ne_u32_e32 vcc, s22, v32
	v_mov_b32_e32 v31, 0x7f80
	s_and_saveexec_b64 s[22:23], vcc
	s_cbranch_execz .LBB755_206
; %bb.205:
	v_and_b32_e32 v31, 7, v30
	v_ffbh_u32_e32 v41, v31
	v_min_u32_e32 v41, 32, v41
	v_subrev_u32_e32 v46, 28, v41
	v_lshlrev_b64 v[46:47], v46, v[30:31]
	v_lshrrev_b32_e32 v33, 3, v32
	v_sub_u32_e32 v41, 29, v41
	v_and_b32_e32 v46, 7, v46
	v_cmp_gt_u32_e32 vcc, 8, v32
	v_cndmask_b32_e32 v32, v33, v41, vcc
	v_cndmask_b32_e32 v31, v31, v46, vcc
	v_lshlrev_b32_e32 v30, 24, v30
	v_bfrev_b32_e32 v33, 60
	v_lshlrev_b32_e32 v31, 20, v31
	v_and_b32_e32 v30, 0x80000000, v30
	v_lshl_add_u32 v32, v32, 23, v33
	v_or3_b32 v30, v30, v32, v31
	v_lshrrev_b32_e32 v31, 16, v30
.LBB755_206:
	s_or_b64 exec, exec, s[22:23]
.LBB755_207:
	s_or_b64 exec, exec, s[20:21]
.LBB755_208:
	s_or_b64 exec, exec, s[10:11]
	s_mov_b32 s10, 0x5040100
	v_perm_b32 v33, v38, v37, s10
	v_perm_b32 v32, v35, v36, s10
	;; [unrolled: 1-line block ×4, first 2 shown]
	v_mfma_f32_4x4x4bf16_1k a[0:3], v[2:3], v[32:33], a[0:3] cbsz:4 abid:3
	v_mov_b32_e32 v33, 0
	v_mfma_f32_4x4x4bf16_1k a[0:3], v[4:5], v[30:31], a[0:3] cbsz:4 abid:3
	v_cmp_ne_u16_sdwa s[20:21], v26, v33 src0_sel:BYTE_0 src1_sel:DWORD
	v_mov_b32_e32 v34, 0
	s_and_saveexec_b64 s[10:11], s[20:21]
	s_cbranch_execz .LBB755_214
; %bb.209:
	s_movk_i32 s20, 0x80
	v_cmp_ne_u16_sdwa s[22:23], v26, s20 src0_sel:BYTE_0 src1_sel:DWORD
	v_mov_b32_e32 v34, 0xffff8000
	s_and_saveexec_b64 s[20:21], s[22:23]
	s_cbranch_execz .LBB755_213
; %bb.210:
	s_movk_i32 s22, 0x7f
	v_and_b32_e32 v30, 0x7f, v26
	v_cmp_ne_u32_e32 vcc, s22, v30
	v_mov_b32_e32 v34, 0x7f80
	s_and_saveexec_b64 s[22:23], vcc
	s_cbranch_execz .LBB755_212
; %bb.211:
	v_and_b32_e32 v31, 7, v26
	v_ffbh_u32_e32 v31, v31
	v_min_u32_e32 v31, 32, v31
	v_subrev_u32_e32 v34, 28, v31
	v_cmp_gt_u32_e32 vcc, 8, v30
	v_lshrrev_b32_e32 v32, 3, v30
	v_sub_u32_e32 v31, 29, v31
	v_cndmask_b32_e32 v30, 0, v34, vcc
	v_cndmask_b32_e32 v32, v32, v31, vcc
	v_lshlrev_b64 v[30:31], v30, v[26:27]
	v_lshlrev_b32_e32 v30, 20, v30
	v_lshlrev_b32_e32 v31, 24, v26
	v_bfrev_b32_e32 v34, 60
	v_and_b32_e32 v30, 0x700000, v30
	v_and_b32_e32 v31, 0x80000000, v31
	v_lshl_add_u32 v32, v32, 23, v34
	v_or3_b32 v30, v31, v32, v30
	v_lshrrev_b32_e32 v34, 16, v30
.LBB755_212:
	s_or_b64 exec, exec, s[22:23]
.LBB755_213:
	s_or_b64 exec, exec, s[20:21]
.LBB755_214:
	s_or_b64 exec, exec, s[10:11]
	v_lshrrev_b16_e32 v30, 8, v26
	v_cmp_ne_u16_e32 vcc, 0, v30
	s_and_saveexec_b64 s[10:11], vcc
	s_cbranch_execz .LBB755_220
; %bb.215:
	s_movk_i32 s20, 0x80
	v_cmp_ne_u16_e32 vcc, s20, v30
	v_mov_b32_e32 v33, 0xffff8000
	s_and_saveexec_b64 s[20:21], vcc
	s_cbranch_execz .LBB755_219
; %bb.216:
	s_movk_i32 s22, 0x7f
	v_and_b32_e32 v31, 0x7f, v30
	v_cmp_ne_u32_e32 vcc, s22, v31
	v_mov_b32_e32 v33, 0x7f80
	s_and_saveexec_b64 s[22:23], vcc
	s_cbranch_execz .LBB755_218
; %bb.217:
	v_and_b32_e32 v35, 7, v30
	v_ffbh_u32_e32 v32, v35
	v_min_u32_e32 v37, 32, v32
	v_subrev_u32_e32 v32, 28, v37
	v_lshlrev_b64 v[32:33], v32, v[30:31]
	v_lshrrev_b32_e32 v36, 3, v31
	v_sub_u32_e32 v30, 29, v37
	v_and_b32_e32 v32, 7, v32
	v_cmp_gt_u32_e32 vcc, 8, v31
	v_cndmask_b32_e32 v30, v36, v30, vcc
	v_cndmask_b32_e32 v31, v35, v32, vcc
	v_lshlrev_b32_e32 v32, 16, v26
	v_bfrev_b32_e32 v33, 60
	v_lshlrev_b32_e32 v31, 20, v31
	v_and_b32_e32 v32, 0x80000000, v32
	v_lshl_add_u32 v30, v30, 23, v33
	v_or3_b32 v30, v32, v30, v31
	v_lshrrev_b32_e32 v33, 16, v30
.LBB755_218:
	s_or_b64 exec, exec, s[22:23]
.LBB755_219:
	s_or_b64 exec, exec, s[20:21]
.LBB755_220:
	s_or_b64 exec, exec, s[10:11]
	s_movk_i32 s10, 0xff
	v_and_b32_sdwa v32, v26, s10 dst_sel:DWORD dst_unused:UNUSED_PAD src0_sel:WORD_1 src1_sel:DWORD
	v_lshrrev_b32_e32 v30, 16, v26
	v_cmp_ne_u16_e32 vcc, 0, v32
	v_mov_b32_e32 v31, 0
	v_mov_b32_e32 v35, 0
	s_and_saveexec_b64 s[10:11], vcc
	s_cbranch_execz .LBB755_226
; %bb.221:
	s_movk_i32 s20, 0x80
	v_cmp_ne_u16_e32 vcc, s20, v32
	v_mov_b32_e32 v35, 0xffff8000
	s_and_saveexec_b64 s[20:21], vcc
	s_cbranch_execz .LBB755_225
; %bb.222:
	v_bfe_u32 v32, v26, 16, 7
	s_movk_i32 s22, 0x7f
	v_cmp_ne_u32_e32 vcc, s22, v32
	v_mov_b32_e32 v35, 0x7f80
	s_and_saveexec_b64 s[22:23], vcc
	s_cbranch_execz .LBB755_224
; %bb.223:
	v_and_b32_e32 v35, 7, v30
	v_ffbh_u32_e32 v36, v35
	v_min_u32_e32 v39, 32, v36
	v_subrev_u32_e32 v36, 28, v39
	v_lshlrev_b64 v[36:37], v36, v[30:31]
	v_and_b32_e32 v36, 7, v36
	v_cmp_gt_u32_e32 vcc, 8, v32
	v_lshrrev_b32_e32 v38, 3, v32
	v_sub_u32_e32 v30, 29, v39
	v_cndmask_b32_e32 v32, v35, v36, vcc
	v_mov_b32_e32 v35, 24
	v_cndmask_b32_e32 v30, v38, v30, vcc
	v_lshlrev_b32_sdwa v35, v35, v26 dst_sel:DWORD dst_unused:UNUSED_PAD src0_sel:DWORD src1_sel:WORD_1
	v_bfrev_b32_e32 v36, 60
	v_lshlrev_b32_e32 v32, 20, v32
	v_and_b32_e32 v35, 0x80000000, v35
	v_lshl_add_u32 v30, v30, 23, v36
	v_or3_b32 v30, v35, v30, v32
	v_lshrrev_b32_e32 v35, 16, v30
.LBB755_224:
	s_or_b64 exec, exec, s[22:23]
.LBB755_225:
	s_or_b64 exec, exec, s[20:21]
.LBB755_226:
	s_or_b64 exec, exec, s[10:11]
	s_mov_b32 s10, 0xffffff
	v_cmp_lt_u32_e32 vcc, s10, v26
	v_mov_b32_e32 v36, 0
	s_and_saveexec_b64 s[10:11], vcc
	s_cbranch_execz .LBB755_232
; %bb.227:
	v_lshrrev_b32_e32 v30, 24, v26
	s_movk_i32 s20, 0x80
	v_cmp_ne_u32_e32 vcc, s20, v30
	v_mov_b32_e32 v36, 0xffff8000
	s_and_saveexec_b64 s[20:21], vcc
	s_cbranch_execz .LBB755_231
; %bb.228:
	v_bfe_u32 v32, v26, 24, 7
	s_movk_i32 s22, 0x7f
	v_cmp_ne_u32_e32 vcc, s22, v32
	v_mov_b32_e32 v36, 0x7f80
	s_and_saveexec_b64 s[22:23], vcc
	s_cbranch_execz .LBB755_230
; %bb.229:
	v_and_b32_e32 v38, 7, v30
	v_ffbh_u32_e32 v36, v38
	v_min_u32_e32 v40, 32, v36
	v_subrev_u32_e32 v36, 28, v40
	v_lshlrev_b64 v[36:37], v36, v[30:31]
	v_lshrrev_b32_e32 v39, 3, v32
	v_sub_u32_e32 v37, 29, v40
	v_and_b32_e32 v36, 7, v36
	v_cmp_gt_u32_e32 vcc, 8, v32
	v_cndmask_b32_e32 v32, v39, v37, vcc
	v_cndmask_b32_e32 v36, v38, v36, vcc
	v_lshlrev_b32_e32 v30, 24, v30
	v_bfrev_b32_e32 v37, 60
	v_lshlrev_b32_e32 v36, 20, v36
	v_and_b32_e32 v30, 0x80000000, v30
	v_lshl_add_u32 v32, v32, 23, v37
	v_or3_b32 v30, v30, v32, v36
	v_lshrrev_b32_e32 v36, 16, v30
.LBB755_230:
	s_or_b64 exec, exec, s[22:23]
.LBB755_231:
	s_or_b64 exec, exec, s[20:21]
.LBB755_232:
	s_or_b64 exec, exec, s[10:11]
	v_mov_b32_e32 v37, 0
	v_mov_b32_e32 v30, v27
	v_cmp_ne_u16_sdwa s[20:21], v27, v37 src0_sel:BYTE_0 src1_sel:DWORD
	v_mov_b32_e32 v38, 0
	s_and_saveexec_b64 s[10:11], s[20:21]
	s_cbranch_execz .LBB755_238
; %bb.233:
	s_movk_i32 s20, 0x80
	v_cmp_ne_u16_sdwa s[22:23], v27, s20 src0_sel:BYTE_0 src1_sel:DWORD
	v_mov_b32_e32 v38, 0xffff8000
	s_and_saveexec_b64 s[20:21], s[22:23]
	s_cbranch_execz .LBB755_237
; %bb.234:
	s_movk_i32 s22, 0x7f
	v_and_b32_e32 v32, 0x7f, v27
	v_cmp_ne_u32_e32 vcc, s22, v32
	v_mov_b32_e32 v38, 0x7f80
	s_and_saveexec_b64 s[22:23], vcc
	s_cbranch_execz .LBB755_236
; %bb.235:
	v_and_b32_e32 v38, 7, v27
	v_ffbh_u32_e32 v38, v38
	v_min_u32_e32 v38, 32, v38
	v_lshrrev_b32_e32 v39, 3, v32
	v_subrev_u32_e32 v40, 28, v38
	v_sub_u32_e32 v38, 29, v38
	v_cmp_gt_u32_e32 vcc, 8, v32
	v_cndmask_b32_e32 v32, v39, v38, vcc
	v_cndmask_b32_e32 v38, 0, v40, vcc
	v_lshlrev_b64 v[38:39], v38, v[30:31]
	v_lshlrev_b32_e32 v31, 20, v38
	v_lshlrev_b32_e32 v38, 24, v30
	v_bfrev_b32_e32 v39, 60
	v_and_b32_e32 v31, 0x700000, v31
	v_and_b32_e32 v38, 0x80000000, v38
	v_lshl_add_u32 v32, v32, 23, v39
	v_or3_b32 v31, v38, v32, v31
	v_lshrrev_b32_e32 v38, 16, v31
.LBB755_236:
	s_or_b64 exec, exec, s[22:23]
.LBB755_237:
	s_or_b64 exec, exec, s[20:21]
.LBB755_238:
	s_or_b64 exec, exec, s[10:11]
	v_lshrrev_b16_e32 v32, 8, v30
	v_cmp_ne_u16_e32 vcc, 0, v32
	s_and_saveexec_b64 s[10:11], vcc
	s_cbranch_execz .LBB755_244
; %bb.239:
	s_movk_i32 s20, 0x80
	v_cmp_ne_u16_e32 vcc, s20, v32
	v_mov_b32_e32 v37, 0xffff8000
	s_and_saveexec_b64 s[20:21], vcc
	s_cbranch_execz .LBB755_243
; %bb.240:
	s_movk_i32 s22, 0x7f
	v_and_b32_e32 v31, 0x7f, v32
	v_cmp_ne_u32_e32 vcc, s22, v31
	v_mov_b32_e32 v37, 0x7f80
	s_and_saveexec_b64 s[22:23], vcc
	s_cbranch_execz .LBB755_242
; %bb.241:
	v_and_b32_e32 v37, 7, v32
	v_ffbh_u32_e32 v40, v37
	v_min_u32_e32 v46, 32, v40
	v_subrev_u32_e32 v40, 28, v46
	v_lshlrev_b64 v[40:41], v40, v[32:33]
	v_lshrrev_b32_e32 v39, 3, v31
	v_sub_u32_e32 v32, 29, v46
	v_and_b32_e32 v40, 7, v40
	v_cmp_gt_u32_e32 vcc, 8, v31
	v_cndmask_b32_e32 v31, v39, v32, vcc
	v_cndmask_b32_e32 v32, v37, v40, vcc
	v_lshlrev_b32_e32 v30, 16, v30
	v_bfrev_b32_e32 v37, 60
	v_lshlrev_b32_e32 v32, 20, v32
	v_and_b32_e32 v30, 0x80000000, v30
	v_lshl_add_u32 v31, v31, 23, v37
	v_or3_b32 v30, v30, v31, v32
	v_lshrrev_b32_e32 v37, 16, v30
.LBB755_242:
	s_or_b64 exec, exec, s[22:23]
.LBB755_243:
	s_or_b64 exec, exec, s[20:21]
.LBB755_244:
	s_or_b64 exec, exec, s[10:11]
	s_movk_i32 s10, 0xff
	v_and_b32_sdwa v39, v27, s10 dst_sel:DWORD dst_unused:UNUSED_PAD src0_sel:WORD_1 src1_sel:DWORD
	v_lshrrev_b32_e32 v30, 16, v27
	v_cmp_ne_u16_e32 vcc, 0, v39
	v_mov_b32_e32 v31, 0
	v_mov_b32_e32 v32, 0
	s_and_saveexec_b64 s[10:11], vcc
	s_cbranch_execz .LBB755_250
; %bb.245:
	s_movk_i32 s20, 0x80
	v_cmp_ne_u16_e32 vcc, s20, v39
	v_mov_b32_e32 v32, 0xffff8000
	s_and_saveexec_b64 s[20:21], vcc
	s_cbranch_execz .LBB755_249
; %bb.246:
	v_bfe_u32 v39, v27, 16, 7
	s_movk_i32 s22, 0x7f
	v_cmp_ne_u32_e32 vcc, s22, v39
	v_mov_b32_e32 v32, 0x7f80
	s_and_saveexec_b64 s[22:23], vcc
	s_cbranch_execz .LBB755_248
; %bb.247:
	v_and_b32_e32 v32, 7, v30
	v_ffbh_u32_e32 v40, v32
	v_min_u32_e32 v47, 32, v40
	v_subrev_u32_e32 v40, 28, v47
	v_lshlrev_b64 v[40:41], v40, v[30:31]
	v_lshrrev_b32_e32 v46, 3, v39
	v_sub_u32_e32 v30, 29, v47
	v_and_b32_e32 v40, 7, v40
	v_cmp_gt_u32_e32 vcc, 8, v39
	v_mov_b32_e32 v39, 24
	v_cndmask_b32_e32 v30, v46, v30, vcc
	v_cndmask_b32_e32 v32, v32, v40, vcc
	v_lshlrev_b32_sdwa v39, v39, v27 dst_sel:DWORD dst_unused:UNUSED_PAD src0_sel:DWORD src1_sel:WORD_1
	v_bfrev_b32_e32 v40, 60
	v_lshlrev_b32_e32 v32, 20, v32
	v_and_b32_e32 v39, 0x80000000, v39
	v_lshl_add_u32 v30, v30, 23, v40
	v_or3_b32 v30, v39, v30, v32
	v_lshrrev_b32_e32 v32, 16, v30
.LBB755_248:
	s_or_b64 exec, exec, s[22:23]
.LBB755_249:
	s_or_b64 exec, exec, s[20:21]
.LBB755_250:
	s_or_b64 exec, exec, s[10:11]
	s_mov_b32 s10, -1
	s_mov_b32 s11, 0xffffff
	v_cmp_lt_u64_e32 vcc, s[10:11], v[26:27]
	s_and_saveexec_b64 s[10:11], vcc
	s_cbranch_execz .LBB755_256
; %bb.251:
	v_lshrrev_b32_e32 v26, 24, v27
	s_movk_i32 s20, 0x80
	v_cmp_ne_u32_e32 vcc, s20, v26
	v_mov_b32_e32 v31, 0xffff8000
	s_and_saveexec_b64 s[20:21], vcc
	s_cbranch_execz .LBB755_255
; %bb.252:
	v_bfe_u32 v27, v27, 24, 7
	s_movk_i32 s22, 0x7f
	v_cmp_ne_u32_e32 vcc, s22, v27
	v_mov_b32_e32 v31, 0x7f80
	s_and_saveexec_b64 s[22:23], vcc
	s_cbranch_execz .LBB755_254
; %bb.253:
	v_and_b32_e32 v39, 7, v26
	v_ffbh_u32_e32 v30, v39
	v_min_u32_e32 v41, 32, v30
	v_subrev_u32_e32 v30, 28, v41
	v_lshlrev_b64 v[30:31], v30, v[26:27]
	v_lshrrev_b32_e32 v40, 3, v27
	v_sub_u32_e32 v31, 29, v41
	v_and_b32_e32 v30, 7, v30
	v_cmp_gt_u32_e32 vcc, 8, v27
	v_cndmask_b32_e32 v27, v40, v31, vcc
	v_cndmask_b32_e32 v30, v39, v30, vcc
	v_lshlrev_b32_e32 v26, 24, v26
	v_bfrev_b32_e32 v31, 60
	v_lshlrev_b32_e32 v30, 20, v30
	v_and_b32_e32 v26, 0x80000000, v26
	v_lshl_add_u32 v27, v27, 23, v31
	v_or3_b32 v26, v26, v27, v30
	v_lshrrev_b32_e32 v31, 16, v26
.LBB755_254:
	s_or_b64 exec, exec, s[22:23]
.LBB755_255:
	s_or_b64 exec, exec, s[20:21]
.LBB755_256:
	s_or_b64 exec, exec, s[10:11]
	s_mov_b32 s10, 0x5040100
	v_perm_b32 v27, v36, v35, s10
	v_perm_b32 v26, v33, v34, s10
	;; [unrolled: 1-line block ×4, first 2 shown]
	v_mfma_f32_4x4x4bf16_1k a[0:3], v[2:3], v[26:27], a[0:3] cbsz:4 abid:4
	v_mov_b32_e32 v32, 0
	v_mfma_f32_4x4x4bf16_1k a[0:3], v[4:5], v[30:31], a[0:3] cbsz:4 abid:4
	v_mov_b32_e32 v31, 0
	v_cmp_ne_u16_sdwa s[20:21], v28, v31 src0_sel:BYTE_0 src1_sel:DWORD
	s_and_saveexec_b64 s[10:11], s[20:21]
	s_cbranch_execz .LBB755_262
; %bb.257:
	s_movk_i32 s20, 0x80
	v_cmp_ne_u16_sdwa s[22:23], v28, s20 src0_sel:BYTE_0 src1_sel:DWORD
	v_mov_b32_e32 v32, 0xffff8000
	s_and_saveexec_b64 s[20:21], s[22:23]
	s_cbranch_execz .LBB755_261
; %bb.258:
	s_movk_i32 s22, 0x7f
	v_and_b32_e32 v26, 0x7f, v28
	v_cmp_ne_u32_e32 vcc, s22, v26
	v_mov_b32_e32 v32, 0x7f80
	s_and_saveexec_b64 s[22:23], vcc
	s_cbranch_execz .LBB755_260
; %bb.259:
	v_and_b32_e32 v27, 7, v28
	v_ffbh_u32_e32 v27, v27
	v_min_u32_e32 v27, 32, v27
	v_subrev_u32_e32 v32, 28, v27
	v_cmp_gt_u32_e32 vcc, 8, v26
	v_lshrrev_b32_e32 v30, 3, v26
	v_sub_u32_e32 v27, 29, v27
	v_cndmask_b32_e32 v26, 0, v32, vcc
	v_cndmask_b32_e32 v30, v30, v27, vcc
	v_lshlrev_b64 v[26:27], v26, v[28:29]
	v_lshlrev_b32_e32 v26, 20, v26
	v_lshlrev_b32_e32 v27, 24, v28
	v_bfrev_b32_e32 v32, 60
	v_and_b32_e32 v26, 0x700000, v26
	v_and_b32_e32 v27, 0x80000000, v27
	v_lshl_add_u32 v30, v30, 23, v32
	v_or3_b32 v26, v27, v30, v26
	v_lshrrev_b32_e32 v32, 16, v26
.LBB755_260:
	s_or_b64 exec, exec, s[22:23]
.LBB755_261:
	s_or_b64 exec, exec, s[20:21]
.LBB755_262:
	s_or_b64 exec, exec, s[10:11]
	v_lshrrev_b16_e32 v26, 8, v28
	v_cmp_ne_u16_e32 vcc, 0, v26
	s_and_saveexec_b64 s[10:11], vcc
	s_cbranch_execz .LBB755_268
; %bb.263:
	s_movk_i32 s20, 0x80
	v_cmp_ne_u16_e32 vcc, s20, v26
	v_mov_b32_e32 v31, 0xffff8000
	s_and_saveexec_b64 s[20:21], vcc
	s_cbranch_execz .LBB755_267
; %bb.264:
	s_movk_i32 s22, 0x7f
	v_and_b32_e32 v27, 0x7f, v26
	v_cmp_ne_u32_e32 vcc, s22, v27
	v_mov_b32_e32 v31, 0x7f80
	s_and_saveexec_b64 s[22:23], vcc
	s_cbranch_execz .LBB755_266
; %bb.265:
	v_and_b32_e32 v33, 7, v26
	v_ffbh_u32_e32 v30, v33
	v_min_u32_e32 v35, 32, v30
	v_subrev_u32_e32 v30, 28, v35
	v_lshlrev_b64 v[30:31], v30, v[26:27]
	v_lshrrev_b32_e32 v34, 3, v27
	v_sub_u32_e32 v26, 29, v35
	v_and_b32_e32 v30, 7, v30
	v_cmp_gt_u32_e32 vcc, 8, v27
	v_cndmask_b32_e32 v26, v34, v26, vcc
	v_cndmask_b32_e32 v27, v33, v30, vcc
	v_lshlrev_b32_e32 v30, 16, v28
	v_bfrev_b32_e32 v31, 60
	v_lshlrev_b32_e32 v27, 20, v27
	v_and_b32_e32 v30, 0x80000000, v30
	v_lshl_add_u32 v26, v26, 23, v31
	v_or3_b32 v26, v30, v26, v27
	v_lshrrev_b32_e32 v31, 16, v26
.LBB755_266:
	s_or_b64 exec, exec, s[22:23]
.LBB755_267:
	s_or_b64 exec, exec, s[20:21]
.LBB755_268:
	s_or_b64 exec, exec, s[10:11]
	s_movk_i32 s10, 0xff
	v_and_b32_sdwa v30, v28, s10 dst_sel:DWORD dst_unused:UNUSED_PAD src0_sel:WORD_1 src1_sel:DWORD
	v_lshrrev_b32_e32 v26, 16, v28
	v_cmp_ne_u16_e32 vcc, 0, v30
	v_mov_b32_e32 v27, 0
	v_mov_b32_e32 v33, 0
	s_and_saveexec_b64 s[10:11], vcc
	s_cbranch_execz .LBB755_274
; %bb.269:
	s_movk_i32 s20, 0x80
	v_cmp_ne_u16_e32 vcc, s20, v30
	v_mov_b32_e32 v33, 0xffff8000
	s_and_saveexec_b64 s[20:21], vcc
	s_cbranch_execz .LBB755_273
; %bb.270:
	v_bfe_u32 v30, v28, 16, 7
	s_movk_i32 s22, 0x7f
	v_cmp_ne_u32_e32 vcc, s22, v30
	v_mov_b32_e32 v33, 0x7f80
	s_and_saveexec_b64 s[22:23], vcc
	s_cbranch_execz .LBB755_272
; %bb.271:
	v_and_b32_e32 v33, 7, v26
	v_ffbh_u32_e32 v34, v33
	v_min_u32_e32 v37, 32, v34
	v_subrev_u32_e32 v34, 28, v37
	v_lshlrev_b64 v[34:35], v34, v[26:27]
	v_and_b32_e32 v34, 7, v34
	v_cmp_gt_u32_e32 vcc, 8, v30
	v_lshrrev_b32_e32 v36, 3, v30
	v_sub_u32_e32 v26, 29, v37
	v_cndmask_b32_e32 v30, v33, v34, vcc
	v_mov_b32_e32 v33, 24
	v_cndmask_b32_e32 v26, v36, v26, vcc
	v_lshlrev_b32_sdwa v33, v33, v28 dst_sel:DWORD dst_unused:UNUSED_PAD src0_sel:DWORD src1_sel:WORD_1
	v_bfrev_b32_e32 v34, 60
	v_lshlrev_b32_e32 v30, 20, v30
	v_and_b32_e32 v33, 0x80000000, v33
	v_lshl_add_u32 v26, v26, 23, v34
	v_or3_b32 v26, v33, v26, v30
	v_lshrrev_b32_e32 v33, 16, v26
.LBB755_272:
	s_or_b64 exec, exec, s[22:23]
.LBB755_273:
	s_or_b64 exec, exec, s[20:21]
.LBB755_274:
	s_or_b64 exec, exec, s[10:11]
	s_mov_b32 s10, 0xffffff
	v_cmp_lt_u32_e32 vcc, s10, v28
	v_mov_b32_e32 v34, 0
	s_and_saveexec_b64 s[10:11], vcc
	s_cbranch_execz .LBB755_280
; %bb.275:
	v_lshrrev_b32_e32 v26, 24, v28
	s_movk_i32 s20, 0x80
	v_cmp_ne_u32_e32 vcc, s20, v26
	v_mov_b32_e32 v34, 0xffff8000
	s_and_saveexec_b64 s[20:21], vcc
	s_cbranch_execz .LBB755_279
; %bb.276:
	v_bfe_u32 v30, v28, 24, 7
	s_movk_i32 s22, 0x7f
	v_cmp_ne_u32_e32 vcc, s22, v30
	v_mov_b32_e32 v34, 0x7f80
	s_and_saveexec_b64 s[22:23], vcc
	s_cbranch_execz .LBB755_278
; %bb.277:
	v_and_b32_e32 v36, 7, v26
	v_ffbh_u32_e32 v34, v36
	v_min_u32_e32 v38, 32, v34
	v_subrev_u32_e32 v34, 28, v38
	v_lshlrev_b64 v[34:35], v34, v[26:27]
	v_lshrrev_b32_e32 v37, 3, v30
	v_sub_u32_e32 v35, 29, v38
	v_and_b32_e32 v34, 7, v34
	v_cmp_gt_u32_e32 vcc, 8, v30
	v_cndmask_b32_e32 v30, v37, v35, vcc
	v_cndmask_b32_e32 v34, v36, v34, vcc
	v_lshlrev_b32_e32 v26, 24, v26
	v_bfrev_b32_e32 v35, 60
	v_lshlrev_b32_e32 v34, 20, v34
	v_and_b32_e32 v26, 0x80000000, v26
	v_lshl_add_u32 v30, v30, 23, v35
	v_or3_b32 v26, v26, v30, v34
	v_lshrrev_b32_e32 v34, 16, v26
.LBB755_278:
	s_or_b64 exec, exec, s[22:23]
.LBB755_279:
	s_or_b64 exec, exec, s[20:21]
.LBB755_280:
	s_or_b64 exec, exec, s[10:11]
	v_mov_b32_e32 v35, 0
	v_mov_b32_e32 v26, v29
	v_cmp_ne_u16_sdwa s[20:21], v29, v35 src0_sel:BYTE_0 src1_sel:DWORD
	v_mov_b32_e32 v36, 0
	s_and_saveexec_b64 s[10:11], s[20:21]
	s_cbranch_execz .LBB755_286
; %bb.281:
	s_movk_i32 s20, 0x80
	v_cmp_ne_u16_sdwa s[22:23], v29, s20 src0_sel:BYTE_0 src1_sel:DWORD
	v_mov_b32_e32 v36, 0xffff8000
	s_and_saveexec_b64 s[20:21], s[22:23]
	s_cbranch_execz .LBB755_285
; %bb.282:
	s_movk_i32 s22, 0x7f
	v_and_b32_e32 v30, 0x7f, v29
	v_cmp_ne_u32_e32 vcc, s22, v30
	v_mov_b32_e32 v36, 0x7f80
	s_and_saveexec_b64 s[22:23], vcc
	s_cbranch_execz .LBB755_284
; %bb.283:
	v_and_b32_e32 v36, 7, v29
	v_ffbh_u32_e32 v36, v36
	v_min_u32_e32 v36, 32, v36
	v_lshrrev_b32_e32 v37, 3, v30
	v_subrev_u32_e32 v38, 28, v36
	v_sub_u32_e32 v36, 29, v36
	v_cmp_gt_u32_e32 vcc, 8, v30
	v_cndmask_b32_e32 v30, v37, v36, vcc
	v_cndmask_b32_e32 v36, 0, v38, vcc
	v_lshlrev_b64 v[36:37], v36, v[26:27]
	v_lshlrev_b32_e32 v27, 20, v36
	v_lshlrev_b32_e32 v36, 24, v26
	v_bfrev_b32_e32 v37, 60
	v_and_b32_e32 v27, 0x700000, v27
	v_and_b32_e32 v36, 0x80000000, v36
	v_lshl_add_u32 v30, v30, 23, v37
	v_or3_b32 v27, v36, v30, v27
	v_lshrrev_b32_e32 v36, 16, v27
.LBB755_284:
	s_or_b64 exec, exec, s[22:23]
.LBB755_285:
	s_or_b64 exec, exec, s[20:21]
.LBB755_286:
	s_or_b64 exec, exec, s[10:11]
	v_lshrrev_b16_e32 v30, 8, v26
	v_cmp_ne_u16_e32 vcc, 0, v30
	s_and_saveexec_b64 s[10:11], vcc
	s_cbranch_execz .LBB755_292
; %bb.287:
	s_movk_i32 s20, 0x80
	v_cmp_ne_u16_e32 vcc, s20, v30
	v_mov_b32_e32 v35, 0xffff8000
	s_and_saveexec_b64 s[20:21], vcc
	s_cbranch_execz .LBB755_291
; %bb.288:
	s_movk_i32 s22, 0x7f
	v_and_b32_e32 v27, 0x7f, v30
	v_cmp_ne_u32_e32 vcc, s22, v27
	v_mov_b32_e32 v35, 0x7f80
	s_and_saveexec_b64 s[22:23], vcc
	s_cbranch_execz .LBB755_290
; %bb.289:
	v_and_b32_e32 v35, 7, v30
	v_ffbh_u32_e32 v38, v35
	v_min_u32_e32 v40, 32, v38
	v_subrev_u32_e32 v38, 28, v40
	v_lshlrev_b64 v[38:39], v38, v[30:31]
	v_lshrrev_b32_e32 v37, 3, v27
	v_sub_u32_e32 v30, 29, v40
	v_and_b32_e32 v38, 7, v38
	v_cmp_gt_u32_e32 vcc, 8, v27
	v_cndmask_b32_e32 v27, v37, v30, vcc
	v_cndmask_b32_e32 v30, v35, v38, vcc
	v_lshlrev_b32_e32 v26, 16, v26
	v_bfrev_b32_e32 v35, 60
	v_lshlrev_b32_e32 v30, 20, v30
	v_and_b32_e32 v26, 0x80000000, v26
	v_lshl_add_u32 v27, v27, 23, v35
	v_or3_b32 v26, v26, v27, v30
	v_lshrrev_b32_e32 v35, 16, v26
.LBB755_290:
	s_or_b64 exec, exec, s[22:23]
.LBB755_291:
	s_or_b64 exec, exec, s[20:21]
.LBB755_292:
	s_or_b64 exec, exec, s[10:11]
	s_movk_i32 s10, 0xff
	v_and_b32_sdwa v37, v29, s10 dst_sel:DWORD dst_unused:UNUSED_PAD src0_sel:WORD_1 src1_sel:DWORD
	v_lshrrev_b32_e32 v26, 16, v29
	v_cmp_ne_u16_e32 vcc, 0, v37
	v_mov_b32_e32 v27, 0
	v_mov_b32_e32 v30, 0
	s_and_saveexec_b64 s[10:11], vcc
	s_cbranch_execz .LBB755_298
; %bb.293:
	s_movk_i32 s20, 0x80
	v_cmp_ne_u16_e32 vcc, s20, v37
	v_mov_b32_e32 v30, 0xffff8000
	s_and_saveexec_b64 s[20:21], vcc
	s_cbranch_execz .LBB755_297
; %bb.294:
	v_bfe_u32 v37, v29, 16, 7
	s_movk_i32 s22, 0x7f
	v_cmp_ne_u32_e32 vcc, s22, v37
	v_mov_b32_e32 v30, 0x7f80
	s_and_saveexec_b64 s[22:23], vcc
	s_cbranch_execz .LBB755_296
; %bb.295:
	v_and_b32_e32 v30, 7, v26
	v_ffbh_u32_e32 v38, v30
	v_min_u32_e32 v41, 32, v38
	v_subrev_u32_e32 v38, 28, v41
	v_lshlrev_b64 v[38:39], v38, v[26:27]
	v_lshrrev_b32_e32 v40, 3, v37
	v_sub_u32_e32 v26, 29, v41
	v_and_b32_e32 v38, 7, v38
	v_cmp_gt_u32_e32 vcc, 8, v37
	v_mov_b32_e32 v37, 24
	v_cndmask_b32_e32 v26, v40, v26, vcc
	v_cndmask_b32_e32 v30, v30, v38, vcc
	v_lshlrev_b32_sdwa v37, v37, v29 dst_sel:DWORD dst_unused:UNUSED_PAD src0_sel:DWORD src1_sel:WORD_1
	v_bfrev_b32_e32 v38, 60
	v_lshlrev_b32_e32 v30, 20, v30
	v_and_b32_e32 v37, 0x80000000, v37
	v_lshl_add_u32 v26, v26, 23, v38
	v_or3_b32 v26, v37, v26, v30
	v_lshrrev_b32_e32 v30, 16, v26
.LBB755_296:
	s_or_b64 exec, exec, s[22:23]
.LBB755_297:
	s_or_b64 exec, exec, s[20:21]
.LBB755_298:
	s_or_b64 exec, exec, s[10:11]
	s_mov_b32 s10, -1
	s_mov_b32 s11, 0xffffff
	v_cmp_lt_u64_e32 vcc, s[10:11], v[28:29]
	s_and_saveexec_b64 s[10:11], vcc
	s_cbranch_execz .LBB755_304
; %bb.299:
	v_lshrrev_b32_e32 v26, 24, v29
	s_movk_i32 s20, 0x80
	v_cmp_ne_u32_e32 vcc, s20, v26
	v_mov_b32_e32 v27, 0xffff8000
	s_and_saveexec_b64 s[20:21], vcc
	s_cbranch_execz .LBB755_303
; %bb.300:
	v_bfe_u32 v28, v29, 24, 7
	s_movk_i32 s22, 0x7f
	v_cmp_ne_u32_e32 vcc, s22, v28
	v_mov_b32_e32 v27, 0x7f80
	s_and_saveexec_b64 s[22:23], vcc
	s_cbranch_execz .LBB755_302
; %bb.301:
	v_and_b32_e32 v27, 7, v26
	v_ffbh_u32_e32 v37, v27
	v_min_u32_e32 v37, 32, v37
	v_subrev_u32_e32 v38, 28, v37
	v_lshlrev_b64 v[38:39], v38, v[26:27]
	v_lshrrev_b32_e32 v29, 3, v28
	v_sub_u32_e32 v37, 29, v37
	v_and_b32_e32 v38, 7, v38
	v_cmp_gt_u32_e32 vcc, 8, v28
	v_cndmask_b32_e32 v28, v29, v37, vcc
	v_cndmask_b32_e32 v27, v27, v38, vcc
	v_lshlrev_b32_e32 v26, 24, v26
	v_bfrev_b32_e32 v29, 60
	v_lshlrev_b32_e32 v27, 20, v27
	v_and_b32_e32 v26, 0x80000000, v26
	v_lshl_add_u32 v28, v28, 23, v29
	v_or3_b32 v26, v26, v28, v27
	v_lshrrev_b32_e32 v27, 16, v26
.LBB755_302:
	s_or_b64 exec, exec, s[22:23]
.LBB755_303:
	s_or_b64 exec, exec, s[20:21]
.LBB755_304:
	s_or_b64 exec, exec, s[10:11]
	s_mov_b32 s10, 0x5040100
	v_perm_b32 v29, v34, v33, s10
	v_perm_b32 v28, v31, v32, s10
	v_perm_b32 v27, v27, v30, s10
	v_perm_b32 v26, v35, v36, s10
	v_mfma_f32_4x4x4bf16_1k a[0:3], v[2:3], v[28:29], a[0:3] cbsz:4 abid:5
	v_mov_b32_e32 v29, 0
	v_mfma_f32_4x4x4bf16_1k a[0:3], v[4:5], v[26:27], a[0:3] cbsz:4 abid:5
	v_cmp_ne_u16_sdwa s[20:21], v22, v29 src0_sel:BYTE_0 src1_sel:DWORD
	v_mov_b32_e32 v30, 0
	s_and_saveexec_b64 s[10:11], s[20:21]
	s_cbranch_execz .LBB755_310
; %bb.305:
	s_movk_i32 s20, 0x80
	v_cmp_ne_u16_sdwa s[22:23], v22, s20 src0_sel:BYTE_0 src1_sel:DWORD
	v_mov_b32_e32 v30, 0xffff8000
	s_and_saveexec_b64 s[20:21], s[22:23]
	s_cbranch_execz .LBB755_309
; %bb.306:
	s_movk_i32 s22, 0x7f
	v_and_b32_e32 v26, 0x7f, v22
	v_cmp_ne_u32_e32 vcc, s22, v26
	v_mov_b32_e32 v30, 0x7f80
	s_and_saveexec_b64 s[22:23], vcc
	s_cbranch_execz .LBB755_308
; %bb.307:
	v_and_b32_e32 v27, 7, v22
	v_ffbh_u32_e32 v27, v27
	v_min_u32_e32 v27, 32, v27
	v_subrev_u32_e32 v30, 28, v27
	v_cmp_gt_u32_e32 vcc, 8, v26
	v_lshrrev_b32_e32 v28, 3, v26
	v_sub_u32_e32 v27, 29, v27
	v_cndmask_b32_e32 v26, 0, v30, vcc
	v_cndmask_b32_e32 v28, v28, v27, vcc
	v_lshlrev_b64 v[26:27], v26, v[22:23]
	v_lshlrev_b32_e32 v26, 20, v26
	v_lshlrev_b32_e32 v27, 24, v22
	v_bfrev_b32_e32 v30, 60
	v_and_b32_e32 v26, 0x700000, v26
	v_and_b32_e32 v27, 0x80000000, v27
	v_lshl_add_u32 v28, v28, 23, v30
	v_or3_b32 v26, v27, v28, v26
	v_lshrrev_b32_e32 v30, 16, v26
.LBB755_308:
	s_or_b64 exec, exec, s[22:23]
.LBB755_309:
	s_or_b64 exec, exec, s[20:21]
.LBB755_310:
	s_or_b64 exec, exec, s[10:11]
	v_lshrrev_b16_e32 v26, 8, v22
	v_cmp_ne_u16_e32 vcc, 0, v26
	s_and_saveexec_b64 s[10:11], vcc
	s_cbranch_execz .LBB755_316
; %bb.311:
	s_movk_i32 s20, 0x80
	v_cmp_ne_u16_e32 vcc, s20, v26
	v_mov_b32_e32 v29, 0xffff8000
	s_and_saveexec_b64 s[20:21], vcc
	s_cbranch_execz .LBB755_315
; %bb.312:
	s_movk_i32 s22, 0x7f
	v_and_b32_e32 v27, 0x7f, v26
	v_cmp_ne_u32_e32 vcc, s22, v27
	v_mov_b32_e32 v29, 0x7f80
	s_and_saveexec_b64 s[22:23], vcc
	s_cbranch_execz .LBB755_314
; %bb.313:
	v_and_b32_e32 v31, 7, v26
	v_ffbh_u32_e32 v28, v31
	v_min_u32_e32 v33, 32, v28
	v_subrev_u32_e32 v28, 28, v33
	v_lshlrev_b64 v[28:29], v28, v[26:27]
	v_lshrrev_b32_e32 v32, 3, v27
	v_sub_u32_e32 v26, 29, v33
	v_and_b32_e32 v28, 7, v28
	v_cmp_gt_u32_e32 vcc, 8, v27
	v_cndmask_b32_e32 v26, v32, v26, vcc
	v_cndmask_b32_e32 v27, v31, v28, vcc
	v_lshlrev_b32_e32 v28, 16, v22
	v_bfrev_b32_e32 v29, 60
	v_lshlrev_b32_e32 v27, 20, v27
	v_and_b32_e32 v28, 0x80000000, v28
	v_lshl_add_u32 v26, v26, 23, v29
	v_or3_b32 v26, v28, v26, v27
	v_lshrrev_b32_e32 v29, 16, v26
.LBB755_314:
	s_or_b64 exec, exec, s[22:23]
.LBB755_315:
	s_or_b64 exec, exec, s[20:21]
.LBB755_316:
	s_or_b64 exec, exec, s[10:11]
	s_movk_i32 s10, 0xff
	v_and_b32_sdwa v28, v22, s10 dst_sel:DWORD dst_unused:UNUSED_PAD src0_sel:WORD_1 src1_sel:DWORD
	v_lshrrev_b32_e32 v26, 16, v22
	v_cmp_ne_u16_e32 vcc, 0, v28
	v_mov_b32_e32 v27, 0
	v_mov_b32_e32 v31, 0
	s_and_saveexec_b64 s[10:11], vcc
	s_cbranch_execz .LBB755_322
; %bb.317:
	s_movk_i32 s20, 0x80
	v_cmp_ne_u16_e32 vcc, s20, v28
	v_mov_b32_e32 v31, 0xffff8000
	s_and_saveexec_b64 s[20:21], vcc
	s_cbranch_execz .LBB755_321
; %bb.318:
	v_bfe_u32 v28, v22, 16, 7
	s_movk_i32 s22, 0x7f
	v_cmp_ne_u32_e32 vcc, s22, v28
	v_mov_b32_e32 v31, 0x7f80
	s_and_saveexec_b64 s[22:23], vcc
	s_cbranch_execz .LBB755_320
; %bb.319:
	v_and_b32_e32 v31, 7, v26
	v_ffbh_u32_e32 v32, v31
	v_min_u32_e32 v35, 32, v32
	v_subrev_u32_e32 v32, 28, v35
	v_lshlrev_b64 v[32:33], v32, v[26:27]
	v_and_b32_e32 v32, 7, v32
	v_cmp_gt_u32_e32 vcc, 8, v28
	v_lshrrev_b32_e32 v34, 3, v28
	v_sub_u32_e32 v26, 29, v35
	v_cndmask_b32_e32 v28, v31, v32, vcc
	v_mov_b32_e32 v31, 24
	v_cndmask_b32_e32 v26, v34, v26, vcc
	v_lshlrev_b32_sdwa v31, v31, v22 dst_sel:DWORD dst_unused:UNUSED_PAD src0_sel:DWORD src1_sel:WORD_1
	v_bfrev_b32_e32 v32, 60
	v_lshlrev_b32_e32 v28, 20, v28
	v_and_b32_e32 v31, 0x80000000, v31
	v_lshl_add_u32 v26, v26, 23, v32
	v_or3_b32 v26, v31, v26, v28
	v_lshrrev_b32_e32 v31, 16, v26
.LBB755_320:
	s_or_b64 exec, exec, s[22:23]
.LBB755_321:
	s_or_b64 exec, exec, s[20:21]
.LBB755_322:
	s_or_b64 exec, exec, s[10:11]
	s_mov_b32 s10, 0xffffff
	v_cmp_lt_u32_e32 vcc, s10, v22
	v_mov_b32_e32 v32, 0
	s_and_saveexec_b64 s[10:11], vcc
	s_cbranch_execz .LBB755_328
; %bb.323:
	v_lshrrev_b32_e32 v26, 24, v22
	s_movk_i32 s20, 0x80
	v_cmp_ne_u32_e32 vcc, s20, v26
	v_mov_b32_e32 v32, 0xffff8000
	s_and_saveexec_b64 s[20:21], vcc
	s_cbranch_execz .LBB755_327
; %bb.324:
	v_bfe_u32 v28, v22, 24, 7
	s_movk_i32 s22, 0x7f
	v_cmp_ne_u32_e32 vcc, s22, v28
	v_mov_b32_e32 v32, 0x7f80
	s_and_saveexec_b64 s[22:23], vcc
	s_cbranch_execz .LBB755_326
; %bb.325:
	v_and_b32_e32 v34, 7, v26
	v_ffbh_u32_e32 v32, v34
	v_min_u32_e32 v36, 32, v32
	v_subrev_u32_e32 v32, 28, v36
	v_lshlrev_b64 v[32:33], v32, v[26:27]
	v_lshrrev_b32_e32 v35, 3, v28
	v_sub_u32_e32 v33, 29, v36
	v_and_b32_e32 v32, 7, v32
	v_cmp_gt_u32_e32 vcc, 8, v28
	v_cndmask_b32_e32 v28, v35, v33, vcc
	v_cndmask_b32_e32 v32, v34, v32, vcc
	v_lshlrev_b32_e32 v26, 24, v26
	v_bfrev_b32_e32 v33, 60
	v_lshlrev_b32_e32 v32, 20, v32
	v_and_b32_e32 v26, 0x80000000, v26
	v_lshl_add_u32 v28, v28, 23, v33
	v_or3_b32 v26, v26, v28, v32
	v_lshrrev_b32_e32 v32, 16, v26
.LBB755_326:
	s_or_b64 exec, exec, s[22:23]
.LBB755_327:
	s_or_b64 exec, exec, s[20:21]
.LBB755_328:
	s_or_b64 exec, exec, s[10:11]
	v_mov_b32_e32 v33, 0
	v_mov_b32_e32 v26, v23
	v_cmp_ne_u16_sdwa s[20:21], v23, v33 src0_sel:BYTE_0 src1_sel:DWORD
	v_mov_b32_e32 v34, 0
	s_and_saveexec_b64 s[10:11], s[20:21]
	s_cbranch_execz .LBB755_334
; %bb.329:
	s_movk_i32 s20, 0x80
	v_cmp_ne_u16_sdwa s[22:23], v23, s20 src0_sel:BYTE_0 src1_sel:DWORD
	v_mov_b32_e32 v34, 0xffff8000
	s_and_saveexec_b64 s[20:21], s[22:23]
	s_cbranch_execz .LBB755_333
; %bb.330:
	s_movk_i32 s22, 0x7f
	v_and_b32_e32 v28, 0x7f, v23
	v_cmp_ne_u32_e32 vcc, s22, v28
	v_mov_b32_e32 v34, 0x7f80
	s_and_saveexec_b64 s[22:23], vcc
	s_cbranch_execz .LBB755_332
; %bb.331:
	v_and_b32_e32 v34, 7, v23
	v_ffbh_u32_e32 v34, v34
	v_min_u32_e32 v34, 32, v34
	v_lshrrev_b32_e32 v35, 3, v28
	v_subrev_u32_e32 v36, 28, v34
	v_sub_u32_e32 v34, 29, v34
	v_cmp_gt_u32_e32 vcc, 8, v28
	v_cndmask_b32_e32 v28, v35, v34, vcc
	v_cndmask_b32_e32 v34, 0, v36, vcc
	v_lshlrev_b64 v[34:35], v34, v[26:27]
	v_lshlrev_b32_e32 v27, 20, v34
	v_lshlrev_b32_e32 v34, 24, v26
	v_bfrev_b32_e32 v35, 60
	v_and_b32_e32 v27, 0x700000, v27
	v_and_b32_e32 v34, 0x80000000, v34
	v_lshl_add_u32 v28, v28, 23, v35
	v_or3_b32 v27, v34, v28, v27
	v_lshrrev_b32_e32 v34, 16, v27
.LBB755_332:
	s_or_b64 exec, exec, s[22:23]
.LBB755_333:
	s_or_b64 exec, exec, s[20:21]
.LBB755_334:
	s_or_b64 exec, exec, s[10:11]
	v_lshrrev_b16_e32 v28, 8, v26
	v_cmp_ne_u16_e32 vcc, 0, v28
	s_and_saveexec_b64 s[10:11], vcc
	s_cbranch_execz .LBB755_340
; %bb.335:
	s_movk_i32 s20, 0x80
	v_cmp_ne_u16_e32 vcc, s20, v28
	v_mov_b32_e32 v33, 0xffff8000
	s_and_saveexec_b64 s[20:21], vcc
	s_cbranch_execz .LBB755_339
; %bb.336:
	s_movk_i32 s22, 0x7f
	v_and_b32_e32 v27, 0x7f, v28
	v_cmp_ne_u32_e32 vcc, s22, v27
	v_mov_b32_e32 v33, 0x7f80
	s_and_saveexec_b64 s[22:23], vcc
	s_cbranch_execz .LBB755_338
; %bb.337:
	v_and_b32_e32 v33, 7, v28
	v_ffbh_u32_e32 v36, v33
	v_min_u32_e32 v38, 32, v36
	v_subrev_u32_e32 v36, 28, v38
	v_lshlrev_b64 v[36:37], v36, v[28:29]
	v_lshrrev_b32_e32 v35, 3, v27
	v_sub_u32_e32 v28, 29, v38
	v_and_b32_e32 v36, 7, v36
	v_cmp_gt_u32_e32 vcc, 8, v27
	v_cndmask_b32_e32 v27, v35, v28, vcc
	v_cndmask_b32_e32 v28, v33, v36, vcc
	v_lshlrev_b32_e32 v26, 16, v26
	v_bfrev_b32_e32 v33, 60
	v_lshlrev_b32_e32 v28, 20, v28
	v_and_b32_e32 v26, 0x80000000, v26
	v_lshl_add_u32 v27, v27, 23, v33
	v_or3_b32 v26, v26, v27, v28
	v_lshrrev_b32_e32 v33, 16, v26
.LBB755_338:
	s_or_b64 exec, exec, s[22:23]
.LBB755_339:
	s_or_b64 exec, exec, s[20:21]
.LBB755_340:
	s_or_b64 exec, exec, s[10:11]
	s_movk_i32 s10, 0xff
	v_and_b32_sdwa v35, v23, s10 dst_sel:DWORD dst_unused:UNUSED_PAD src0_sel:WORD_1 src1_sel:DWORD
	v_lshrrev_b32_e32 v26, 16, v23
	v_cmp_ne_u16_e32 vcc, 0, v35
	v_mov_b32_e32 v27, 0
	v_mov_b32_e32 v28, 0
	s_and_saveexec_b64 s[10:11], vcc
	s_cbranch_execz .LBB755_346
; %bb.341:
	s_movk_i32 s20, 0x80
	v_cmp_ne_u16_e32 vcc, s20, v35
	v_mov_b32_e32 v28, 0xffff8000
	s_and_saveexec_b64 s[20:21], vcc
	s_cbranch_execz .LBB755_345
; %bb.342:
	v_bfe_u32 v35, v23, 16, 7
	s_movk_i32 s22, 0x7f
	v_cmp_ne_u32_e32 vcc, s22, v35
	v_mov_b32_e32 v28, 0x7f80
	s_and_saveexec_b64 s[22:23], vcc
	s_cbranch_execz .LBB755_344
; %bb.343:
	v_and_b32_e32 v28, 7, v26
	v_ffbh_u32_e32 v36, v28
	v_min_u32_e32 v39, 32, v36
	v_subrev_u32_e32 v36, 28, v39
	v_lshlrev_b64 v[36:37], v36, v[26:27]
	v_lshrrev_b32_e32 v38, 3, v35
	v_sub_u32_e32 v26, 29, v39
	v_and_b32_e32 v36, 7, v36
	v_cmp_gt_u32_e32 vcc, 8, v35
	v_mov_b32_e32 v35, 24
	v_cndmask_b32_e32 v26, v38, v26, vcc
	v_cndmask_b32_e32 v28, v28, v36, vcc
	v_lshlrev_b32_sdwa v35, v35, v23 dst_sel:DWORD dst_unused:UNUSED_PAD src0_sel:DWORD src1_sel:WORD_1
	v_bfrev_b32_e32 v36, 60
	v_lshlrev_b32_e32 v28, 20, v28
	v_and_b32_e32 v35, 0x80000000, v35
	v_lshl_add_u32 v26, v26, 23, v36
	v_or3_b32 v26, v35, v26, v28
	v_lshrrev_b32_e32 v28, 16, v26
.LBB755_344:
	s_or_b64 exec, exec, s[22:23]
.LBB755_345:
	s_or_b64 exec, exec, s[20:21]
.LBB755_346:
	s_or_b64 exec, exec, s[10:11]
	s_mov_b32 s10, -1
	s_mov_b32 s11, 0xffffff
	v_cmp_lt_u64_e32 vcc, s[10:11], v[22:23]
	s_and_saveexec_b64 s[10:11], vcc
	s_cbranch_execz .LBB755_352
; %bb.347:
	v_lshrrev_b32_e32 v22, 24, v23
	s_movk_i32 s20, 0x80
	v_cmp_ne_u32_e32 vcc, s20, v22
	v_mov_b32_e32 v27, 0xffff8000
	s_and_saveexec_b64 s[20:21], vcc
	s_cbranch_execz .LBB755_351
; %bb.348:
	v_bfe_u32 v23, v23, 24, 7
	s_movk_i32 s22, 0x7f
	v_cmp_ne_u32_e32 vcc, s22, v23
	v_mov_b32_e32 v27, 0x7f80
	s_and_saveexec_b64 s[22:23], vcc
	s_cbranch_execz .LBB755_350
; %bb.349:
	v_and_b32_e32 v35, 7, v22
	v_ffbh_u32_e32 v26, v35
	v_min_u32_e32 v37, 32, v26
	v_subrev_u32_e32 v26, 28, v37
	v_lshlrev_b64 v[26:27], v26, v[22:23]
	v_lshrrev_b32_e32 v36, 3, v23
	v_sub_u32_e32 v27, 29, v37
	v_and_b32_e32 v26, 7, v26
	v_cmp_gt_u32_e32 vcc, 8, v23
	v_cndmask_b32_e32 v23, v36, v27, vcc
	v_cndmask_b32_e32 v26, v35, v26, vcc
	v_lshlrev_b32_e32 v22, 24, v22
	v_bfrev_b32_e32 v27, 60
	v_lshlrev_b32_e32 v26, 20, v26
	v_and_b32_e32 v22, 0x80000000, v22
	v_lshl_add_u32 v23, v23, 23, v27
	v_or3_b32 v22, v22, v23, v26
	v_lshrrev_b32_e32 v27, 16, v22
.LBB755_350:
	s_or_b64 exec, exec, s[22:23]
.LBB755_351:
	s_or_b64 exec, exec, s[20:21]
.LBB755_352:
	s_or_b64 exec, exec, s[10:11]
	s_mov_b32 s10, 0x5040100
	v_perm_b32 v23, v32, v31, s10
	v_perm_b32 v22, v29, v30, s10
	;; [unrolled: 1-line block ×4, first 2 shown]
	v_mfma_f32_4x4x4bf16_1k a[0:3], v[2:3], v[22:23], a[0:3] cbsz:4 abid:6
	v_mov_b32_e32 v28, 0
	v_mfma_f32_4x4x4bf16_1k a[0:3], v[4:5], v[26:27], a[0:3] cbsz:4 abid:6
	v_mov_b32_e32 v27, 0
	v_cmp_ne_u16_sdwa s[20:21], v24, v27 src0_sel:BYTE_0 src1_sel:DWORD
	s_and_saveexec_b64 s[10:11], s[20:21]
	s_cbranch_execz .LBB755_358
; %bb.353:
	s_movk_i32 s20, 0x80
	v_cmp_ne_u16_sdwa s[22:23], v24, s20 src0_sel:BYTE_0 src1_sel:DWORD
	v_mov_b32_e32 v28, 0xffff8000
	s_and_saveexec_b64 s[20:21], s[22:23]
	s_cbranch_execz .LBB755_357
; %bb.354:
	s_movk_i32 s22, 0x7f
	v_and_b32_e32 v22, 0x7f, v24
	v_cmp_ne_u32_e32 vcc, s22, v22
	v_mov_b32_e32 v28, 0x7f80
	s_and_saveexec_b64 s[22:23], vcc
	s_cbranch_execz .LBB755_356
; %bb.355:
	v_and_b32_e32 v23, 7, v24
	v_ffbh_u32_e32 v23, v23
	v_min_u32_e32 v23, 32, v23
	v_subrev_u32_e32 v28, 28, v23
	v_cmp_gt_u32_e32 vcc, 8, v22
	v_lshrrev_b32_e32 v26, 3, v22
	v_sub_u32_e32 v23, 29, v23
	v_cndmask_b32_e32 v22, 0, v28, vcc
	v_cndmask_b32_e32 v26, v26, v23, vcc
	v_lshlrev_b64 v[22:23], v22, v[24:25]
	v_lshlrev_b32_e32 v22, 20, v22
	v_lshlrev_b32_e32 v23, 24, v24
	v_bfrev_b32_e32 v28, 60
	v_and_b32_e32 v22, 0x700000, v22
	v_and_b32_e32 v23, 0x80000000, v23
	v_lshl_add_u32 v26, v26, 23, v28
	v_or3_b32 v22, v23, v26, v22
	v_lshrrev_b32_e32 v28, 16, v22
.LBB755_356:
	s_or_b64 exec, exec, s[22:23]
.LBB755_357:
	s_or_b64 exec, exec, s[20:21]
.LBB755_358:
	s_or_b64 exec, exec, s[10:11]
	v_lshrrev_b16_e32 v22, 8, v24
	v_cmp_ne_u16_e32 vcc, 0, v22
	s_and_saveexec_b64 s[10:11], vcc
	s_cbranch_execz .LBB755_364
; %bb.359:
	s_movk_i32 s20, 0x80
	v_cmp_ne_u16_e32 vcc, s20, v22
	v_mov_b32_e32 v27, 0xffff8000
	s_and_saveexec_b64 s[20:21], vcc
	s_cbranch_execz .LBB755_363
; %bb.360:
	s_movk_i32 s22, 0x7f
	v_and_b32_e32 v23, 0x7f, v22
	v_cmp_ne_u32_e32 vcc, s22, v23
	v_mov_b32_e32 v27, 0x7f80
	s_and_saveexec_b64 s[22:23], vcc
	s_cbranch_execz .LBB755_362
; %bb.361:
	v_and_b32_e32 v29, 7, v22
	v_ffbh_u32_e32 v26, v29
	v_min_u32_e32 v31, 32, v26
	v_subrev_u32_e32 v26, 28, v31
	v_lshlrev_b64 v[26:27], v26, v[22:23]
	v_lshrrev_b32_e32 v30, 3, v23
	v_sub_u32_e32 v22, 29, v31
	v_and_b32_e32 v26, 7, v26
	v_cmp_gt_u32_e32 vcc, 8, v23
	v_cndmask_b32_e32 v22, v30, v22, vcc
	v_cndmask_b32_e32 v23, v29, v26, vcc
	v_lshlrev_b32_e32 v26, 16, v24
	v_bfrev_b32_e32 v27, 60
	v_lshlrev_b32_e32 v23, 20, v23
	v_and_b32_e32 v26, 0x80000000, v26
	v_lshl_add_u32 v22, v22, 23, v27
	v_or3_b32 v22, v26, v22, v23
	v_lshrrev_b32_e32 v27, 16, v22
.LBB755_362:
	s_or_b64 exec, exec, s[22:23]
.LBB755_363:
	s_or_b64 exec, exec, s[20:21]
.LBB755_364:
	s_or_b64 exec, exec, s[10:11]
	s_movk_i32 s10, 0xff
	v_and_b32_sdwa v26, v24, s10 dst_sel:DWORD dst_unused:UNUSED_PAD src0_sel:WORD_1 src1_sel:DWORD
	v_lshrrev_b32_e32 v22, 16, v24
	v_cmp_ne_u16_e32 vcc, 0, v26
	v_mov_b32_e32 v23, 0
	v_mov_b32_e32 v29, 0
	s_and_saveexec_b64 s[10:11], vcc
	s_cbranch_execz .LBB755_370
; %bb.365:
	s_movk_i32 s20, 0x80
	v_cmp_ne_u16_e32 vcc, s20, v26
	v_mov_b32_e32 v29, 0xffff8000
	s_and_saveexec_b64 s[20:21], vcc
	s_cbranch_execz .LBB755_369
; %bb.366:
	v_bfe_u32 v26, v24, 16, 7
	s_movk_i32 s22, 0x7f
	v_cmp_ne_u32_e32 vcc, s22, v26
	v_mov_b32_e32 v29, 0x7f80
	s_and_saveexec_b64 s[22:23], vcc
	s_cbranch_execz .LBB755_368
; %bb.367:
	v_and_b32_e32 v29, 7, v22
	v_ffbh_u32_e32 v30, v29
	v_min_u32_e32 v33, 32, v30
	v_subrev_u32_e32 v30, 28, v33
	v_lshlrev_b64 v[30:31], v30, v[22:23]
	v_and_b32_e32 v30, 7, v30
	v_cmp_gt_u32_e32 vcc, 8, v26
	v_lshrrev_b32_e32 v32, 3, v26
	v_sub_u32_e32 v22, 29, v33
	v_cndmask_b32_e32 v26, v29, v30, vcc
	v_mov_b32_e32 v29, 24
	v_cndmask_b32_e32 v22, v32, v22, vcc
	v_lshlrev_b32_sdwa v29, v29, v24 dst_sel:DWORD dst_unused:UNUSED_PAD src0_sel:DWORD src1_sel:WORD_1
	v_bfrev_b32_e32 v30, 60
	v_lshlrev_b32_e32 v26, 20, v26
	v_and_b32_e32 v29, 0x80000000, v29
	v_lshl_add_u32 v22, v22, 23, v30
	v_or3_b32 v22, v29, v22, v26
	v_lshrrev_b32_e32 v29, 16, v22
.LBB755_368:
	s_or_b64 exec, exec, s[22:23]
.LBB755_369:
	s_or_b64 exec, exec, s[20:21]
.LBB755_370:
	s_or_b64 exec, exec, s[10:11]
	s_mov_b32 s10, 0xffffff
	v_cmp_lt_u32_e32 vcc, s10, v24
	v_mov_b32_e32 v30, 0
	s_and_saveexec_b64 s[10:11], vcc
	s_cbranch_execz .LBB755_376
; %bb.371:
	v_lshrrev_b32_e32 v22, 24, v24
	s_movk_i32 s20, 0x80
	v_cmp_ne_u32_e32 vcc, s20, v22
	v_mov_b32_e32 v30, 0xffff8000
	s_and_saveexec_b64 s[20:21], vcc
	s_cbranch_execz .LBB755_375
; %bb.372:
	v_bfe_u32 v26, v24, 24, 7
	s_movk_i32 s22, 0x7f
	v_cmp_ne_u32_e32 vcc, s22, v26
	v_mov_b32_e32 v30, 0x7f80
	s_and_saveexec_b64 s[22:23], vcc
	s_cbranch_execz .LBB755_374
; %bb.373:
	v_and_b32_e32 v32, 7, v22
	v_ffbh_u32_e32 v30, v32
	v_min_u32_e32 v34, 32, v30
	v_subrev_u32_e32 v30, 28, v34
	v_lshlrev_b64 v[30:31], v30, v[22:23]
	v_lshrrev_b32_e32 v33, 3, v26
	v_sub_u32_e32 v31, 29, v34
	v_and_b32_e32 v30, 7, v30
	v_cmp_gt_u32_e32 vcc, 8, v26
	v_cndmask_b32_e32 v26, v33, v31, vcc
	v_cndmask_b32_e32 v30, v32, v30, vcc
	v_lshlrev_b32_e32 v22, 24, v22
	v_bfrev_b32_e32 v31, 60
	v_lshlrev_b32_e32 v30, 20, v30
	v_and_b32_e32 v22, 0x80000000, v22
	v_lshl_add_u32 v26, v26, 23, v31
	v_or3_b32 v22, v22, v26, v30
	v_lshrrev_b32_e32 v30, 16, v22
.LBB755_374:
	s_or_b64 exec, exec, s[22:23]
.LBB755_375:
	s_or_b64 exec, exec, s[20:21]
.LBB755_376:
	s_or_b64 exec, exec, s[10:11]
	v_mov_b32_e32 v31, 0
	v_mov_b32_e32 v22, v25
	v_cmp_ne_u16_sdwa s[20:21], v25, v31 src0_sel:BYTE_0 src1_sel:DWORD
	v_mov_b32_e32 v32, 0
	s_and_saveexec_b64 s[10:11], s[20:21]
	s_cbranch_execz .LBB755_382
; %bb.377:
	s_movk_i32 s20, 0x80
	v_cmp_ne_u16_sdwa s[22:23], v25, s20 src0_sel:BYTE_0 src1_sel:DWORD
	v_mov_b32_e32 v32, 0xffff8000
	s_and_saveexec_b64 s[20:21], s[22:23]
	s_cbranch_execz .LBB755_381
; %bb.378:
	s_movk_i32 s22, 0x7f
	v_and_b32_e32 v26, 0x7f, v25
	v_cmp_ne_u32_e32 vcc, s22, v26
	v_mov_b32_e32 v32, 0x7f80
	s_and_saveexec_b64 s[22:23], vcc
	s_cbranch_execz .LBB755_380
; %bb.379:
	v_and_b32_e32 v32, 7, v25
	v_ffbh_u32_e32 v32, v32
	v_min_u32_e32 v32, 32, v32
	v_lshrrev_b32_e32 v33, 3, v26
	v_subrev_u32_e32 v34, 28, v32
	v_sub_u32_e32 v32, 29, v32
	v_cmp_gt_u32_e32 vcc, 8, v26
	v_cndmask_b32_e32 v26, v33, v32, vcc
	v_cndmask_b32_e32 v32, 0, v34, vcc
	v_lshlrev_b64 v[32:33], v32, v[22:23]
	v_lshlrev_b32_e32 v23, 20, v32
	v_lshlrev_b32_e32 v32, 24, v22
	v_bfrev_b32_e32 v33, 60
	v_and_b32_e32 v23, 0x700000, v23
	v_and_b32_e32 v32, 0x80000000, v32
	v_lshl_add_u32 v26, v26, 23, v33
	v_or3_b32 v23, v32, v26, v23
	v_lshrrev_b32_e32 v32, 16, v23
.LBB755_380:
	s_or_b64 exec, exec, s[22:23]
.LBB755_381:
	s_or_b64 exec, exec, s[20:21]
.LBB755_382:
	s_or_b64 exec, exec, s[10:11]
	v_lshrrev_b16_e32 v26, 8, v22
	v_cmp_ne_u16_e32 vcc, 0, v26
	s_and_saveexec_b64 s[10:11], vcc
	s_cbranch_execz .LBB755_388
; %bb.383:
	s_movk_i32 s20, 0x80
	v_cmp_ne_u16_e32 vcc, s20, v26
	v_mov_b32_e32 v31, 0xffff8000
	s_and_saveexec_b64 s[20:21], vcc
	s_cbranch_execz .LBB755_387
; %bb.384:
	s_movk_i32 s22, 0x7f
	v_and_b32_e32 v23, 0x7f, v26
	v_cmp_ne_u32_e32 vcc, s22, v23
	v_mov_b32_e32 v31, 0x7f80
	s_and_saveexec_b64 s[22:23], vcc
	s_cbranch_execz .LBB755_386
; %bb.385:
	v_and_b32_e32 v31, 7, v26
	v_ffbh_u32_e32 v34, v31
	v_min_u32_e32 v36, 32, v34
	v_subrev_u32_e32 v34, 28, v36
	v_lshlrev_b64 v[34:35], v34, v[26:27]
	v_lshrrev_b32_e32 v33, 3, v23
	v_sub_u32_e32 v26, 29, v36
	v_and_b32_e32 v34, 7, v34
	v_cmp_gt_u32_e32 vcc, 8, v23
	v_cndmask_b32_e32 v23, v33, v26, vcc
	v_cndmask_b32_e32 v26, v31, v34, vcc
	v_lshlrev_b32_e32 v22, 16, v22
	v_bfrev_b32_e32 v31, 60
	v_lshlrev_b32_e32 v26, 20, v26
	v_and_b32_e32 v22, 0x80000000, v22
	v_lshl_add_u32 v23, v23, 23, v31
	v_or3_b32 v22, v22, v23, v26
	v_lshrrev_b32_e32 v31, 16, v22
.LBB755_386:
	s_or_b64 exec, exec, s[22:23]
.LBB755_387:
	s_or_b64 exec, exec, s[20:21]
.LBB755_388:
	s_or_b64 exec, exec, s[10:11]
	s_movk_i32 s10, 0xff
	v_and_b32_sdwa v33, v25, s10 dst_sel:DWORD dst_unused:UNUSED_PAD src0_sel:WORD_1 src1_sel:DWORD
	v_lshrrev_b32_e32 v22, 16, v25
	v_cmp_ne_u16_e32 vcc, 0, v33
	v_mov_b32_e32 v23, 0
	v_mov_b32_e32 v26, 0
	s_and_saveexec_b64 s[10:11], vcc
	s_cbranch_execz .LBB755_394
; %bb.389:
	s_movk_i32 s20, 0x80
	v_cmp_ne_u16_e32 vcc, s20, v33
	v_mov_b32_e32 v26, 0xffff8000
	s_and_saveexec_b64 s[20:21], vcc
	s_cbranch_execz .LBB755_393
; %bb.390:
	v_bfe_u32 v33, v25, 16, 7
	s_movk_i32 s22, 0x7f
	v_cmp_ne_u32_e32 vcc, s22, v33
	v_mov_b32_e32 v26, 0x7f80
	s_and_saveexec_b64 s[22:23], vcc
	s_cbranch_execz .LBB755_392
; %bb.391:
	v_and_b32_e32 v26, 7, v22
	v_ffbh_u32_e32 v34, v26
	v_min_u32_e32 v37, 32, v34
	v_subrev_u32_e32 v34, 28, v37
	v_lshlrev_b64 v[34:35], v34, v[22:23]
	v_lshrrev_b32_e32 v36, 3, v33
	v_sub_u32_e32 v22, 29, v37
	v_and_b32_e32 v34, 7, v34
	v_cmp_gt_u32_e32 vcc, 8, v33
	v_mov_b32_e32 v33, 24
	v_cndmask_b32_e32 v22, v36, v22, vcc
	v_cndmask_b32_e32 v26, v26, v34, vcc
	v_lshlrev_b32_sdwa v33, v33, v25 dst_sel:DWORD dst_unused:UNUSED_PAD src0_sel:DWORD src1_sel:WORD_1
	v_bfrev_b32_e32 v34, 60
	v_lshlrev_b32_e32 v26, 20, v26
	v_and_b32_e32 v33, 0x80000000, v33
	v_lshl_add_u32 v22, v22, 23, v34
	v_or3_b32 v22, v33, v22, v26
	v_lshrrev_b32_e32 v26, 16, v22
.LBB755_392:
	s_or_b64 exec, exec, s[22:23]
.LBB755_393:
	s_or_b64 exec, exec, s[20:21]
.LBB755_394:
	s_or_b64 exec, exec, s[10:11]
	s_mov_b32 s10, -1
	s_mov_b32 s11, 0xffffff
	v_cmp_lt_u64_e32 vcc, s[10:11], v[24:25]
	s_and_saveexec_b64 s[10:11], vcc
	s_cbranch_execz .LBB755_400
; %bb.395:
	v_lshrrev_b32_e32 v22, 24, v25
	s_movk_i32 s20, 0x80
	v_cmp_ne_u32_e32 vcc, s20, v22
	v_mov_b32_e32 v23, 0xffff8000
	s_and_saveexec_b64 s[20:21], vcc
	s_cbranch_execz .LBB755_399
; %bb.396:
	v_bfe_u32 v24, v25, 24, 7
	s_movk_i32 s22, 0x7f
	v_cmp_ne_u32_e32 vcc, s22, v24
	v_mov_b32_e32 v23, 0x7f80
	s_and_saveexec_b64 s[22:23], vcc
	s_cbranch_execz .LBB755_398
; %bb.397:
	v_and_b32_e32 v23, 7, v22
	v_ffbh_u32_e32 v33, v23
	v_min_u32_e32 v33, 32, v33
	v_subrev_u32_e32 v34, 28, v33
	v_lshlrev_b64 v[34:35], v34, v[22:23]
	v_lshrrev_b32_e32 v25, 3, v24
	v_sub_u32_e32 v33, 29, v33
	v_and_b32_e32 v34, 7, v34
	v_cmp_gt_u32_e32 vcc, 8, v24
	v_cndmask_b32_e32 v24, v25, v33, vcc
	v_cndmask_b32_e32 v23, v23, v34, vcc
	v_lshlrev_b32_e32 v22, 24, v22
	v_bfrev_b32_e32 v25, 60
	v_lshlrev_b32_e32 v23, 20, v23
	v_and_b32_e32 v22, 0x80000000, v22
	v_lshl_add_u32 v24, v24, 23, v25
	v_or3_b32 v22, v22, v24, v23
	v_lshrrev_b32_e32 v23, 16, v22
.LBB755_398:
	s_or_b64 exec, exec, s[22:23]
.LBB755_399:
	s_or_b64 exec, exec, s[20:21]
.LBB755_400:
	s_or_b64 exec, exec, s[10:11]
	s_mov_b32 s10, 0x5040100
	v_perm_b32 v25, v30, v29, s10
	v_perm_b32 v24, v27, v28, s10
	;; [unrolled: 1-line block ×4, first 2 shown]
	v_mfma_f32_4x4x4bf16_1k a[0:3], v[2:3], v[24:25], a[0:3] cbsz:4 abid:7
	v_mov_b32_e32 v25, 0
	v_mfma_f32_4x4x4bf16_1k a[0:3], v[4:5], v[22:23], a[0:3] cbsz:4 abid:7
	v_cmp_ne_u16_sdwa s[20:21], v18, v25 src0_sel:BYTE_0 src1_sel:DWORD
	v_mov_b32_e32 v26, 0
	s_and_saveexec_b64 s[10:11], s[20:21]
	s_cbranch_execz .LBB755_406
; %bb.401:
	s_movk_i32 s20, 0x80
	v_cmp_ne_u16_sdwa s[22:23], v18, s20 src0_sel:BYTE_0 src1_sel:DWORD
	v_mov_b32_e32 v26, 0xffff8000
	s_and_saveexec_b64 s[20:21], s[22:23]
	s_cbranch_execz .LBB755_405
; %bb.402:
	s_movk_i32 s22, 0x7f
	v_and_b32_e32 v22, 0x7f, v18
	v_cmp_ne_u32_e32 vcc, s22, v22
	v_mov_b32_e32 v26, 0x7f80
	s_and_saveexec_b64 s[22:23], vcc
	s_cbranch_execz .LBB755_404
; %bb.403:
	v_and_b32_e32 v23, 7, v18
	v_ffbh_u32_e32 v23, v23
	v_min_u32_e32 v23, 32, v23
	v_subrev_u32_e32 v26, 28, v23
	v_cmp_gt_u32_e32 vcc, 8, v22
	v_lshrrev_b32_e32 v24, 3, v22
	v_sub_u32_e32 v23, 29, v23
	v_cndmask_b32_e32 v22, 0, v26, vcc
	v_cndmask_b32_e32 v24, v24, v23, vcc
	v_lshlrev_b64 v[22:23], v22, v[18:19]
	v_lshlrev_b32_e32 v22, 20, v22
	v_lshlrev_b32_e32 v23, 24, v18
	v_bfrev_b32_e32 v26, 60
	v_and_b32_e32 v22, 0x700000, v22
	v_and_b32_e32 v23, 0x80000000, v23
	v_lshl_add_u32 v24, v24, 23, v26
	v_or3_b32 v22, v23, v24, v22
	v_lshrrev_b32_e32 v26, 16, v22
.LBB755_404:
	s_or_b64 exec, exec, s[22:23]
.LBB755_405:
	s_or_b64 exec, exec, s[20:21]
.LBB755_406:
	s_or_b64 exec, exec, s[10:11]
	v_lshrrev_b16_e32 v22, 8, v18
	v_cmp_ne_u16_e32 vcc, 0, v22
	s_and_saveexec_b64 s[10:11], vcc
	s_cbranch_execz .LBB755_412
; %bb.407:
	s_movk_i32 s20, 0x80
	v_cmp_ne_u16_e32 vcc, s20, v22
	v_mov_b32_e32 v25, 0xffff8000
	s_and_saveexec_b64 s[20:21], vcc
	s_cbranch_execz .LBB755_411
; %bb.408:
	s_movk_i32 s22, 0x7f
	v_and_b32_e32 v23, 0x7f, v22
	v_cmp_ne_u32_e32 vcc, s22, v23
	v_mov_b32_e32 v25, 0x7f80
	s_and_saveexec_b64 s[22:23], vcc
	s_cbranch_execz .LBB755_410
; %bb.409:
	v_and_b32_e32 v27, 7, v22
	v_ffbh_u32_e32 v24, v27
	v_min_u32_e32 v29, 32, v24
	v_subrev_u32_e32 v24, 28, v29
	v_lshlrev_b64 v[24:25], v24, v[22:23]
	v_lshrrev_b32_e32 v28, 3, v23
	v_sub_u32_e32 v22, 29, v29
	v_and_b32_e32 v24, 7, v24
	v_cmp_gt_u32_e32 vcc, 8, v23
	v_cndmask_b32_e32 v22, v28, v22, vcc
	v_cndmask_b32_e32 v23, v27, v24, vcc
	v_lshlrev_b32_e32 v24, 16, v18
	v_bfrev_b32_e32 v25, 60
	v_lshlrev_b32_e32 v23, 20, v23
	v_and_b32_e32 v24, 0x80000000, v24
	v_lshl_add_u32 v22, v22, 23, v25
	v_or3_b32 v22, v24, v22, v23
	v_lshrrev_b32_e32 v25, 16, v22
.LBB755_410:
	s_or_b64 exec, exec, s[22:23]
.LBB755_411:
	s_or_b64 exec, exec, s[20:21]
.LBB755_412:
	s_or_b64 exec, exec, s[10:11]
	s_movk_i32 s10, 0xff
	v_and_b32_sdwa v24, v18, s10 dst_sel:DWORD dst_unused:UNUSED_PAD src0_sel:WORD_1 src1_sel:DWORD
	v_lshrrev_b32_e32 v22, 16, v18
	v_cmp_ne_u16_e32 vcc, 0, v24
	v_mov_b32_e32 v23, 0
	v_mov_b32_e32 v27, 0
	s_and_saveexec_b64 s[10:11], vcc
	s_cbranch_execz .LBB755_418
; %bb.413:
	s_movk_i32 s20, 0x80
	v_cmp_ne_u16_e32 vcc, s20, v24
	v_mov_b32_e32 v27, 0xffff8000
	s_and_saveexec_b64 s[20:21], vcc
	s_cbranch_execz .LBB755_417
; %bb.414:
	v_bfe_u32 v24, v18, 16, 7
	s_movk_i32 s22, 0x7f
	v_cmp_ne_u32_e32 vcc, s22, v24
	v_mov_b32_e32 v27, 0x7f80
	s_and_saveexec_b64 s[22:23], vcc
	s_cbranch_execz .LBB755_416
; %bb.415:
	v_and_b32_e32 v27, 7, v22
	v_ffbh_u32_e32 v28, v27
	v_min_u32_e32 v31, 32, v28
	v_subrev_u32_e32 v28, 28, v31
	v_lshlrev_b64 v[28:29], v28, v[22:23]
	v_and_b32_e32 v28, 7, v28
	v_cmp_gt_u32_e32 vcc, 8, v24
	v_lshrrev_b32_e32 v30, 3, v24
	v_sub_u32_e32 v22, 29, v31
	v_cndmask_b32_e32 v24, v27, v28, vcc
	v_mov_b32_e32 v27, 24
	v_cndmask_b32_e32 v22, v30, v22, vcc
	v_lshlrev_b32_sdwa v27, v27, v18 dst_sel:DWORD dst_unused:UNUSED_PAD src0_sel:DWORD src1_sel:WORD_1
	v_bfrev_b32_e32 v28, 60
	v_lshlrev_b32_e32 v24, 20, v24
	v_and_b32_e32 v27, 0x80000000, v27
	v_lshl_add_u32 v22, v22, 23, v28
	v_or3_b32 v22, v27, v22, v24
	v_lshrrev_b32_e32 v27, 16, v22
.LBB755_416:
	s_or_b64 exec, exec, s[22:23]
.LBB755_417:
	s_or_b64 exec, exec, s[20:21]
.LBB755_418:
	s_or_b64 exec, exec, s[10:11]
	s_mov_b32 s10, 0xffffff
	v_cmp_lt_u32_e32 vcc, s10, v18
	v_mov_b32_e32 v28, 0
	s_and_saveexec_b64 s[10:11], vcc
	s_cbranch_execz .LBB755_424
; %bb.419:
	v_lshrrev_b32_e32 v22, 24, v18
	s_movk_i32 s20, 0x80
	v_cmp_ne_u32_e32 vcc, s20, v22
	v_mov_b32_e32 v28, 0xffff8000
	s_and_saveexec_b64 s[20:21], vcc
	s_cbranch_execz .LBB755_423
; %bb.420:
	v_bfe_u32 v24, v18, 24, 7
	s_movk_i32 s22, 0x7f
	v_cmp_ne_u32_e32 vcc, s22, v24
	v_mov_b32_e32 v28, 0x7f80
	s_and_saveexec_b64 s[22:23], vcc
	s_cbranch_execz .LBB755_422
; %bb.421:
	v_and_b32_e32 v30, 7, v22
	v_ffbh_u32_e32 v28, v30
	v_min_u32_e32 v32, 32, v28
	v_subrev_u32_e32 v28, 28, v32
	v_lshlrev_b64 v[28:29], v28, v[22:23]
	v_lshrrev_b32_e32 v31, 3, v24
	v_sub_u32_e32 v29, 29, v32
	v_and_b32_e32 v28, 7, v28
	v_cmp_gt_u32_e32 vcc, 8, v24
	v_cndmask_b32_e32 v24, v31, v29, vcc
	v_cndmask_b32_e32 v28, v30, v28, vcc
	v_lshlrev_b32_e32 v22, 24, v22
	v_bfrev_b32_e32 v29, 60
	v_lshlrev_b32_e32 v28, 20, v28
	v_and_b32_e32 v22, 0x80000000, v22
	v_lshl_add_u32 v24, v24, 23, v29
	v_or3_b32 v22, v22, v24, v28
	v_lshrrev_b32_e32 v28, 16, v22
.LBB755_422:
	s_or_b64 exec, exec, s[22:23]
.LBB755_423:
	s_or_b64 exec, exec, s[20:21]
.LBB755_424:
	s_or_b64 exec, exec, s[10:11]
	v_mov_b32_e32 v29, 0
	v_mov_b32_e32 v22, v19
	v_cmp_ne_u16_sdwa s[20:21], v19, v29 src0_sel:BYTE_0 src1_sel:DWORD
	v_mov_b32_e32 v30, 0
	s_and_saveexec_b64 s[10:11], s[20:21]
	s_cbranch_execz .LBB755_430
; %bb.425:
	s_movk_i32 s20, 0x80
	v_cmp_ne_u16_sdwa s[22:23], v19, s20 src0_sel:BYTE_0 src1_sel:DWORD
	v_mov_b32_e32 v30, 0xffff8000
	s_and_saveexec_b64 s[20:21], s[22:23]
	s_cbranch_execz .LBB755_429
; %bb.426:
	s_movk_i32 s22, 0x7f
	v_and_b32_e32 v24, 0x7f, v19
	v_cmp_ne_u32_e32 vcc, s22, v24
	v_mov_b32_e32 v30, 0x7f80
	s_and_saveexec_b64 s[22:23], vcc
	s_cbranch_execz .LBB755_428
; %bb.427:
	v_and_b32_e32 v30, 7, v19
	v_ffbh_u32_e32 v30, v30
	v_min_u32_e32 v30, 32, v30
	v_lshrrev_b32_e32 v31, 3, v24
	v_subrev_u32_e32 v32, 28, v30
	v_sub_u32_e32 v30, 29, v30
	v_cmp_gt_u32_e32 vcc, 8, v24
	v_cndmask_b32_e32 v24, v31, v30, vcc
	v_cndmask_b32_e32 v30, 0, v32, vcc
	v_lshlrev_b64 v[30:31], v30, v[22:23]
	v_lshlrev_b32_e32 v23, 20, v30
	v_lshlrev_b32_e32 v30, 24, v22
	v_bfrev_b32_e32 v31, 60
	v_and_b32_e32 v23, 0x700000, v23
	v_and_b32_e32 v30, 0x80000000, v30
	v_lshl_add_u32 v24, v24, 23, v31
	v_or3_b32 v23, v30, v24, v23
	v_lshrrev_b32_e32 v30, 16, v23
.LBB755_428:
	s_or_b64 exec, exec, s[22:23]
.LBB755_429:
	s_or_b64 exec, exec, s[20:21]
.LBB755_430:
	s_or_b64 exec, exec, s[10:11]
	v_lshrrev_b16_e32 v24, 8, v22
	v_cmp_ne_u16_e32 vcc, 0, v24
	s_and_saveexec_b64 s[10:11], vcc
	s_cbranch_execz .LBB755_436
; %bb.431:
	s_movk_i32 s20, 0x80
	v_cmp_ne_u16_e32 vcc, s20, v24
	v_mov_b32_e32 v29, 0xffff8000
	s_and_saveexec_b64 s[20:21], vcc
	s_cbranch_execz .LBB755_435
; %bb.432:
	s_movk_i32 s22, 0x7f
	v_and_b32_e32 v23, 0x7f, v24
	v_cmp_ne_u32_e32 vcc, s22, v23
	v_mov_b32_e32 v29, 0x7f80
	s_and_saveexec_b64 s[22:23], vcc
	s_cbranch_execz .LBB755_434
; %bb.433:
	v_and_b32_e32 v29, 7, v24
	v_ffbh_u32_e32 v32, v29
	v_min_u32_e32 v34, 32, v32
	v_subrev_u32_e32 v32, 28, v34
	v_lshlrev_b64 v[32:33], v32, v[24:25]
	v_lshrrev_b32_e32 v31, 3, v23
	v_sub_u32_e32 v24, 29, v34
	v_and_b32_e32 v32, 7, v32
	v_cmp_gt_u32_e32 vcc, 8, v23
	v_cndmask_b32_e32 v23, v31, v24, vcc
	v_cndmask_b32_e32 v24, v29, v32, vcc
	v_lshlrev_b32_e32 v22, 16, v22
	v_bfrev_b32_e32 v29, 60
	v_lshlrev_b32_e32 v24, 20, v24
	v_and_b32_e32 v22, 0x80000000, v22
	v_lshl_add_u32 v23, v23, 23, v29
	v_or3_b32 v22, v22, v23, v24
	v_lshrrev_b32_e32 v29, 16, v22
.LBB755_434:
	s_or_b64 exec, exec, s[22:23]
.LBB755_435:
	s_or_b64 exec, exec, s[20:21]
.LBB755_436:
	s_or_b64 exec, exec, s[10:11]
	s_movk_i32 s10, 0xff
	v_and_b32_sdwa v31, v19, s10 dst_sel:DWORD dst_unused:UNUSED_PAD src0_sel:WORD_1 src1_sel:DWORD
	v_lshrrev_b32_e32 v22, 16, v19
	v_cmp_ne_u16_e32 vcc, 0, v31
	v_mov_b32_e32 v23, 0
	v_mov_b32_e32 v24, 0
	s_and_saveexec_b64 s[10:11], vcc
	s_cbranch_execz .LBB755_442
; %bb.437:
	s_movk_i32 s20, 0x80
	v_cmp_ne_u16_e32 vcc, s20, v31
	v_mov_b32_e32 v24, 0xffff8000
	s_and_saveexec_b64 s[20:21], vcc
	s_cbranch_execz .LBB755_441
; %bb.438:
	v_bfe_u32 v31, v19, 16, 7
	s_movk_i32 s22, 0x7f
	v_cmp_ne_u32_e32 vcc, s22, v31
	v_mov_b32_e32 v24, 0x7f80
	s_and_saveexec_b64 s[22:23], vcc
	s_cbranch_execz .LBB755_440
; %bb.439:
	v_and_b32_e32 v24, 7, v22
	v_ffbh_u32_e32 v32, v24
	v_min_u32_e32 v35, 32, v32
	v_subrev_u32_e32 v32, 28, v35
	v_lshlrev_b64 v[32:33], v32, v[22:23]
	v_lshrrev_b32_e32 v34, 3, v31
	v_sub_u32_e32 v22, 29, v35
	v_and_b32_e32 v32, 7, v32
	v_cmp_gt_u32_e32 vcc, 8, v31
	v_mov_b32_e32 v31, 24
	v_cndmask_b32_e32 v22, v34, v22, vcc
	v_cndmask_b32_e32 v24, v24, v32, vcc
	v_lshlrev_b32_sdwa v31, v31, v19 dst_sel:DWORD dst_unused:UNUSED_PAD src0_sel:DWORD src1_sel:WORD_1
	v_bfrev_b32_e32 v32, 60
	v_lshlrev_b32_e32 v24, 20, v24
	v_and_b32_e32 v31, 0x80000000, v31
	v_lshl_add_u32 v22, v22, 23, v32
	v_or3_b32 v22, v31, v22, v24
	v_lshrrev_b32_e32 v24, 16, v22
.LBB755_440:
	s_or_b64 exec, exec, s[22:23]
.LBB755_441:
	s_or_b64 exec, exec, s[20:21]
.LBB755_442:
	s_or_b64 exec, exec, s[10:11]
	s_mov_b32 s10, -1
	s_mov_b32 s11, 0xffffff
	v_cmp_lt_u64_e32 vcc, s[10:11], v[18:19]
	s_and_saveexec_b64 s[10:11], vcc
	s_cbranch_execz .LBB755_448
; %bb.443:
	v_lshrrev_b32_e32 v18, 24, v19
	s_movk_i32 s20, 0x80
	v_cmp_ne_u32_e32 vcc, s20, v18
	v_mov_b32_e32 v23, 0xffff8000
	s_and_saveexec_b64 s[20:21], vcc
	s_cbranch_execz .LBB755_447
; %bb.444:
	v_bfe_u32 v19, v19, 24, 7
	s_movk_i32 s22, 0x7f
	v_cmp_ne_u32_e32 vcc, s22, v19
	v_mov_b32_e32 v23, 0x7f80
	s_and_saveexec_b64 s[22:23], vcc
	s_cbranch_execz .LBB755_446
; %bb.445:
	v_and_b32_e32 v31, 7, v18
	v_ffbh_u32_e32 v22, v31
	v_min_u32_e32 v33, 32, v22
	v_subrev_u32_e32 v22, 28, v33
	v_lshlrev_b64 v[22:23], v22, v[18:19]
	v_lshrrev_b32_e32 v32, 3, v19
	v_sub_u32_e32 v23, 29, v33
	v_and_b32_e32 v22, 7, v22
	v_cmp_gt_u32_e32 vcc, 8, v19
	v_cndmask_b32_e32 v19, v32, v23, vcc
	v_cndmask_b32_e32 v22, v31, v22, vcc
	v_lshlrev_b32_e32 v18, 24, v18
	v_bfrev_b32_e32 v23, 60
	v_lshlrev_b32_e32 v22, 20, v22
	v_and_b32_e32 v18, 0x80000000, v18
	v_lshl_add_u32 v19, v19, 23, v23
	v_or3_b32 v18, v18, v19, v22
	v_lshrrev_b32_e32 v23, 16, v18
.LBB755_446:
	s_or_b64 exec, exec, s[22:23]
.LBB755_447:
	s_or_b64 exec, exec, s[20:21]
.LBB755_448:
	s_or_b64 exec, exec, s[10:11]
	s_mov_b32 s10, 0x5040100
	v_perm_b32 v19, v28, v27, s10
	v_perm_b32 v18, v25, v26, s10
	;; [unrolled: 1-line block ×4, first 2 shown]
	v_mfma_f32_4x4x4bf16_1k a[0:3], v[2:3], v[18:19], a[0:3] cbsz:4 abid:8
	v_mov_b32_e32 v24, 0
	v_mfma_f32_4x4x4bf16_1k a[0:3], v[4:5], v[22:23], a[0:3] cbsz:4 abid:8
	v_mov_b32_e32 v23, 0
	v_cmp_ne_u16_sdwa s[20:21], v20, v23 src0_sel:BYTE_0 src1_sel:DWORD
	s_and_saveexec_b64 s[10:11], s[20:21]
	s_cbranch_execz .LBB755_454
; %bb.449:
	s_movk_i32 s20, 0x80
	v_cmp_ne_u16_sdwa s[22:23], v20, s20 src0_sel:BYTE_0 src1_sel:DWORD
	v_mov_b32_e32 v24, 0xffff8000
	s_and_saveexec_b64 s[20:21], s[22:23]
	s_cbranch_execz .LBB755_453
; %bb.450:
	s_movk_i32 s22, 0x7f
	v_and_b32_e32 v18, 0x7f, v20
	v_cmp_ne_u32_e32 vcc, s22, v18
	v_mov_b32_e32 v24, 0x7f80
	s_and_saveexec_b64 s[22:23], vcc
	s_cbranch_execz .LBB755_452
; %bb.451:
	v_and_b32_e32 v19, 7, v20
	v_ffbh_u32_e32 v19, v19
	v_min_u32_e32 v19, 32, v19
	v_subrev_u32_e32 v24, 28, v19
	v_cmp_gt_u32_e32 vcc, 8, v18
	v_lshrrev_b32_e32 v22, 3, v18
	v_sub_u32_e32 v19, 29, v19
	v_cndmask_b32_e32 v18, 0, v24, vcc
	v_cndmask_b32_e32 v22, v22, v19, vcc
	v_lshlrev_b64 v[18:19], v18, v[20:21]
	v_lshlrev_b32_e32 v18, 20, v18
	v_lshlrev_b32_e32 v19, 24, v20
	v_bfrev_b32_e32 v24, 60
	v_and_b32_e32 v18, 0x700000, v18
	v_and_b32_e32 v19, 0x80000000, v19
	v_lshl_add_u32 v22, v22, 23, v24
	v_or3_b32 v18, v19, v22, v18
	v_lshrrev_b32_e32 v24, 16, v18
.LBB755_452:
	s_or_b64 exec, exec, s[22:23]
.LBB755_453:
	s_or_b64 exec, exec, s[20:21]
.LBB755_454:
	s_or_b64 exec, exec, s[10:11]
	v_lshrrev_b16_e32 v18, 8, v20
	v_cmp_ne_u16_e32 vcc, 0, v18
	s_and_saveexec_b64 s[10:11], vcc
	s_cbranch_execz .LBB755_460
; %bb.455:
	s_movk_i32 s20, 0x80
	v_cmp_ne_u16_e32 vcc, s20, v18
	v_mov_b32_e32 v23, 0xffff8000
	s_and_saveexec_b64 s[20:21], vcc
	s_cbranch_execz .LBB755_459
; %bb.456:
	s_movk_i32 s22, 0x7f
	v_and_b32_e32 v19, 0x7f, v18
	v_cmp_ne_u32_e32 vcc, s22, v19
	v_mov_b32_e32 v23, 0x7f80
	s_and_saveexec_b64 s[22:23], vcc
	s_cbranch_execz .LBB755_458
; %bb.457:
	v_and_b32_e32 v25, 7, v18
	v_ffbh_u32_e32 v22, v25
	v_min_u32_e32 v27, 32, v22
	v_subrev_u32_e32 v22, 28, v27
	v_lshlrev_b64 v[22:23], v22, v[18:19]
	v_lshrrev_b32_e32 v26, 3, v19
	v_sub_u32_e32 v18, 29, v27
	v_and_b32_e32 v22, 7, v22
	v_cmp_gt_u32_e32 vcc, 8, v19
	v_cndmask_b32_e32 v18, v26, v18, vcc
	v_cndmask_b32_e32 v19, v25, v22, vcc
	v_lshlrev_b32_e32 v22, 16, v20
	v_bfrev_b32_e32 v23, 60
	v_lshlrev_b32_e32 v19, 20, v19
	v_and_b32_e32 v22, 0x80000000, v22
	v_lshl_add_u32 v18, v18, 23, v23
	v_or3_b32 v18, v22, v18, v19
	v_lshrrev_b32_e32 v23, 16, v18
.LBB755_458:
	s_or_b64 exec, exec, s[22:23]
.LBB755_459:
	s_or_b64 exec, exec, s[20:21]
.LBB755_460:
	s_or_b64 exec, exec, s[10:11]
	s_movk_i32 s10, 0xff
	v_and_b32_sdwa v22, v20, s10 dst_sel:DWORD dst_unused:UNUSED_PAD src0_sel:WORD_1 src1_sel:DWORD
	v_lshrrev_b32_e32 v18, 16, v20
	v_cmp_ne_u16_e32 vcc, 0, v22
	v_mov_b32_e32 v19, 0
	v_mov_b32_e32 v25, 0
	s_and_saveexec_b64 s[10:11], vcc
	s_cbranch_execz .LBB755_466
; %bb.461:
	s_movk_i32 s20, 0x80
	v_cmp_ne_u16_e32 vcc, s20, v22
	v_mov_b32_e32 v25, 0xffff8000
	s_and_saveexec_b64 s[20:21], vcc
	s_cbranch_execz .LBB755_465
; %bb.462:
	v_bfe_u32 v22, v20, 16, 7
	s_movk_i32 s22, 0x7f
	v_cmp_ne_u32_e32 vcc, s22, v22
	v_mov_b32_e32 v25, 0x7f80
	s_and_saveexec_b64 s[22:23], vcc
	s_cbranch_execz .LBB755_464
; %bb.463:
	v_and_b32_e32 v25, 7, v18
	v_ffbh_u32_e32 v26, v25
	v_min_u32_e32 v29, 32, v26
	v_subrev_u32_e32 v26, 28, v29
	v_lshlrev_b64 v[26:27], v26, v[18:19]
	v_and_b32_e32 v26, 7, v26
	v_cmp_gt_u32_e32 vcc, 8, v22
	v_lshrrev_b32_e32 v28, 3, v22
	v_sub_u32_e32 v18, 29, v29
	v_cndmask_b32_e32 v22, v25, v26, vcc
	v_mov_b32_e32 v25, 24
	v_cndmask_b32_e32 v18, v28, v18, vcc
	v_lshlrev_b32_sdwa v25, v25, v20 dst_sel:DWORD dst_unused:UNUSED_PAD src0_sel:DWORD src1_sel:WORD_1
	v_bfrev_b32_e32 v26, 60
	v_lshlrev_b32_e32 v22, 20, v22
	v_and_b32_e32 v25, 0x80000000, v25
	v_lshl_add_u32 v18, v18, 23, v26
	v_or3_b32 v18, v25, v18, v22
	v_lshrrev_b32_e32 v25, 16, v18
.LBB755_464:
	s_or_b64 exec, exec, s[22:23]
.LBB755_465:
	s_or_b64 exec, exec, s[20:21]
.LBB755_466:
	s_or_b64 exec, exec, s[10:11]
	s_mov_b32 s10, 0xffffff
	v_cmp_lt_u32_e32 vcc, s10, v20
	v_mov_b32_e32 v26, 0
	s_and_saveexec_b64 s[10:11], vcc
	s_cbranch_execz .LBB755_472
; %bb.467:
	v_lshrrev_b32_e32 v18, 24, v20
	s_movk_i32 s20, 0x80
	v_cmp_ne_u32_e32 vcc, s20, v18
	v_mov_b32_e32 v26, 0xffff8000
	s_and_saveexec_b64 s[20:21], vcc
	s_cbranch_execz .LBB755_471
; %bb.468:
	v_bfe_u32 v22, v20, 24, 7
	s_movk_i32 s22, 0x7f
	v_cmp_ne_u32_e32 vcc, s22, v22
	v_mov_b32_e32 v26, 0x7f80
	s_and_saveexec_b64 s[22:23], vcc
	s_cbranch_execz .LBB755_470
; %bb.469:
	v_and_b32_e32 v28, 7, v18
	v_ffbh_u32_e32 v26, v28
	v_min_u32_e32 v30, 32, v26
	v_subrev_u32_e32 v26, 28, v30
	v_lshlrev_b64 v[26:27], v26, v[18:19]
	v_lshrrev_b32_e32 v29, 3, v22
	v_sub_u32_e32 v27, 29, v30
	v_and_b32_e32 v26, 7, v26
	v_cmp_gt_u32_e32 vcc, 8, v22
	v_cndmask_b32_e32 v22, v29, v27, vcc
	v_cndmask_b32_e32 v26, v28, v26, vcc
	v_lshlrev_b32_e32 v18, 24, v18
	v_bfrev_b32_e32 v27, 60
	v_lshlrev_b32_e32 v26, 20, v26
	v_and_b32_e32 v18, 0x80000000, v18
	v_lshl_add_u32 v22, v22, 23, v27
	v_or3_b32 v18, v18, v22, v26
	v_lshrrev_b32_e32 v26, 16, v18
.LBB755_470:
	s_or_b64 exec, exec, s[22:23]
.LBB755_471:
	s_or_b64 exec, exec, s[20:21]
.LBB755_472:
	s_or_b64 exec, exec, s[10:11]
	v_mov_b32_e32 v27, 0
	v_mov_b32_e32 v18, v21
	v_cmp_ne_u16_sdwa s[20:21], v21, v27 src0_sel:BYTE_0 src1_sel:DWORD
	v_mov_b32_e32 v28, 0
	s_and_saveexec_b64 s[10:11], s[20:21]
	s_cbranch_execz .LBB755_478
; %bb.473:
	s_movk_i32 s20, 0x80
	v_cmp_ne_u16_sdwa s[22:23], v21, s20 src0_sel:BYTE_0 src1_sel:DWORD
	v_mov_b32_e32 v28, 0xffff8000
	s_and_saveexec_b64 s[20:21], s[22:23]
	s_cbranch_execz .LBB755_477
; %bb.474:
	s_movk_i32 s22, 0x7f
	v_and_b32_e32 v22, 0x7f, v21
	v_cmp_ne_u32_e32 vcc, s22, v22
	v_mov_b32_e32 v28, 0x7f80
	s_and_saveexec_b64 s[22:23], vcc
	s_cbranch_execz .LBB755_476
; %bb.475:
	v_and_b32_e32 v28, 7, v21
	v_ffbh_u32_e32 v28, v28
	v_min_u32_e32 v28, 32, v28
	v_lshrrev_b32_e32 v29, 3, v22
	v_subrev_u32_e32 v30, 28, v28
	v_sub_u32_e32 v28, 29, v28
	v_cmp_gt_u32_e32 vcc, 8, v22
	v_cndmask_b32_e32 v22, v29, v28, vcc
	v_cndmask_b32_e32 v28, 0, v30, vcc
	v_lshlrev_b64 v[28:29], v28, v[18:19]
	v_lshlrev_b32_e32 v19, 20, v28
	v_lshlrev_b32_e32 v28, 24, v18
	v_bfrev_b32_e32 v29, 60
	v_and_b32_e32 v19, 0x700000, v19
	v_and_b32_e32 v28, 0x80000000, v28
	v_lshl_add_u32 v22, v22, 23, v29
	v_or3_b32 v19, v28, v22, v19
	v_lshrrev_b32_e32 v28, 16, v19
.LBB755_476:
	s_or_b64 exec, exec, s[22:23]
.LBB755_477:
	s_or_b64 exec, exec, s[20:21]
.LBB755_478:
	s_or_b64 exec, exec, s[10:11]
	v_lshrrev_b16_e32 v22, 8, v18
	v_cmp_ne_u16_e32 vcc, 0, v22
	s_and_saveexec_b64 s[10:11], vcc
	s_cbranch_execz .LBB755_484
; %bb.479:
	s_movk_i32 s20, 0x80
	v_cmp_ne_u16_e32 vcc, s20, v22
	v_mov_b32_e32 v27, 0xffff8000
	s_and_saveexec_b64 s[20:21], vcc
	s_cbranch_execz .LBB755_483
; %bb.480:
	s_movk_i32 s22, 0x7f
	v_and_b32_e32 v19, 0x7f, v22
	v_cmp_ne_u32_e32 vcc, s22, v19
	v_mov_b32_e32 v27, 0x7f80
	s_and_saveexec_b64 s[22:23], vcc
	s_cbranch_execz .LBB755_482
; %bb.481:
	v_and_b32_e32 v27, 7, v22
	v_ffbh_u32_e32 v30, v27
	v_min_u32_e32 v32, 32, v30
	v_subrev_u32_e32 v30, 28, v32
	v_lshlrev_b64 v[30:31], v30, v[22:23]
	v_lshrrev_b32_e32 v29, 3, v19
	v_sub_u32_e32 v22, 29, v32
	v_and_b32_e32 v30, 7, v30
	v_cmp_gt_u32_e32 vcc, 8, v19
	v_cndmask_b32_e32 v19, v29, v22, vcc
	v_cndmask_b32_e32 v22, v27, v30, vcc
	v_lshlrev_b32_e32 v18, 16, v18
	v_bfrev_b32_e32 v27, 60
	v_lshlrev_b32_e32 v22, 20, v22
	v_and_b32_e32 v18, 0x80000000, v18
	v_lshl_add_u32 v19, v19, 23, v27
	v_or3_b32 v18, v18, v19, v22
	v_lshrrev_b32_e32 v27, 16, v18
.LBB755_482:
	s_or_b64 exec, exec, s[22:23]
.LBB755_483:
	s_or_b64 exec, exec, s[20:21]
.LBB755_484:
	s_or_b64 exec, exec, s[10:11]
	s_movk_i32 s10, 0xff
	v_and_b32_sdwa v29, v21, s10 dst_sel:DWORD dst_unused:UNUSED_PAD src0_sel:WORD_1 src1_sel:DWORD
	v_lshrrev_b32_e32 v18, 16, v21
	v_cmp_ne_u16_e32 vcc, 0, v29
	v_mov_b32_e32 v19, 0
	v_mov_b32_e32 v22, 0
	s_and_saveexec_b64 s[10:11], vcc
	s_cbranch_execz .LBB755_490
; %bb.485:
	s_movk_i32 s20, 0x80
	v_cmp_ne_u16_e32 vcc, s20, v29
	v_mov_b32_e32 v22, 0xffff8000
	s_and_saveexec_b64 s[20:21], vcc
	s_cbranch_execz .LBB755_489
; %bb.486:
	v_bfe_u32 v29, v21, 16, 7
	s_movk_i32 s22, 0x7f
	v_cmp_ne_u32_e32 vcc, s22, v29
	v_mov_b32_e32 v22, 0x7f80
	s_and_saveexec_b64 s[22:23], vcc
	s_cbranch_execz .LBB755_488
; %bb.487:
	v_and_b32_e32 v22, 7, v18
	v_ffbh_u32_e32 v30, v22
	v_min_u32_e32 v33, 32, v30
	v_subrev_u32_e32 v30, 28, v33
	v_lshlrev_b64 v[30:31], v30, v[18:19]
	v_lshrrev_b32_e32 v32, 3, v29
	v_sub_u32_e32 v18, 29, v33
	v_and_b32_e32 v30, 7, v30
	v_cmp_gt_u32_e32 vcc, 8, v29
	v_mov_b32_e32 v29, 24
	v_cndmask_b32_e32 v18, v32, v18, vcc
	v_cndmask_b32_e32 v22, v22, v30, vcc
	v_lshlrev_b32_sdwa v29, v29, v21 dst_sel:DWORD dst_unused:UNUSED_PAD src0_sel:DWORD src1_sel:WORD_1
	v_bfrev_b32_e32 v30, 60
	v_lshlrev_b32_e32 v22, 20, v22
	v_and_b32_e32 v29, 0x80000000, v29
	v_lshl_add_u32 v18, v18, 23, v30
	v_or3_b32 v18, v29, v18, v22
	v_lshrrev_b32_e32 v22, 16, v18
.LBB755_488:
	s_or_b64 exec, exec, s[22:23]
.LBB755_489:
	s_or_b64 exec, exec, s[20:21]
.LBB755_490:
	s_or_b64 exec, exec, s[10:11]
	s_mov_b32 s10, -1
	s_mov_b32 s11, 0xffffff
	v_cmp_lt_u64_e32 vcc, s[10:11], v[20:21]
	s_and_saveexec_b64 s[10:11], vcc
	s_cbranch_execz .LBB755_496
; %bb.491:
	v_lshrrev_b32_e32 v18, 24, v21
	s_movk_i32 s20, 0x80
	v_cmp_ne_u32_e32 vcc, s20, v18
	v_mov_b32_e32 v19, 0xffff8000
	s_and_saveexec_b64 s[20:21], vcc
	s_cbranch_execz .LBB755_495
; %bb.492:
	v_bfe_u32 v20, v21, 24, 7
	s_movk_i32 s22, 0x7f
	v_cmp_ne_u32_e32 vcc, s22, v20
	v_mov_b32_e32 v19, 0x7f80
	s_and_saveexec_b64 s[22:23], vcc
	s_cbranch_execz .LBB755_494
; %bb.493:
	v_and_b32_e32 v19, 7, v18
	v_ffbh_u32_e32 v29, v19
	v_min_u32_e32 v29, 32, v29
	v_subrev_u32_e32 v30, 28, v29
	v_lshlrev_b64 v[30:31], v30, v[18:19]
	v_lshrrev_b32_e32 v21, 3, v20
	v_sub_u32_e32 v29, 29, v29
	v_and_b32_e32 v30, 7, v30
	v_cmp_gt_u32_e32 vcc, 8, v20
	v_cndmask_b32_e32 v20, v21, v29, vcc
	v_cndmask_b32_e32 v19, v19, v30, vcc
	v_lshlrev_b32_e32 v18, 24, v18
	v_bfrev_b32_e32 v21, 60
	v_lshlrev_b32_e32 v19, 20, v19
	v_and_b32_e32 v18, 0x80000000, v18
	v_lshl_add_u32 v20, v20, 23, v21
	v_or3_b32 v18, v18, v20, v19
	v_lshrrev_b32_e32 v19, 16, v18
.LBB755_494:
	s_or_b64 exec, exec, s[22:23]
.LBB755_495:
	s_or_b64 exec, exec, s[20:21]
.LBB755_496:
	s_or_b64 exec, exec, s[10:11]
	s_mov_b32 s10, 0x5040100
	v_perm_b32 v21, v26, v25, s10
	v_perm_b32 v20, v23, v24, s10
	;; [unrolled: 1-line block ×4, first 2 shown]
	v_mfma_f32_4x4x4bf16_1k a[0:3], v[2:3], v[20:21], a[0:3] cbsz:4 abid:9
	v_mov_b32_e32 v21, 0
	v_mfma_f32_4x4x4bf16_1k a[0:3], v[4:5], v[18:19], a[0:3] cbsz:4 abid:9
	v_cmp_ne_u16_sdwa s[20:21], v14, v21 src0_sel:BYTE_0 src1_sel:DWORD
	v_mov_b32_e32 v22, 0
	s_and_saveexec_b64 s[10:11], s[20:21]
	s_cbranch_execz .LBB755_502
; %bb.497:
	s_movk_i32 s20, 0x80
	v_cmp_ne_u16_sdwa s[22:23], v14, s20 src0_sel:BYTE_0 src1_sel:DWORD
	v_mov_b32_e32 v22, 0xffff8000
	s_and_saveexec_b64 s[20:21], s[22:23]
	s_cbranch_execz .LBB755_501
; %bb.498:
	s_movk_i32 s22, 0x7f
	v_and_b32_e32 v18, 0x7f, v14
	v_cmp_ne_u32_e32 vcc, s22, v18
	v_mov_b32_e32 v22, 0x7f80
	s_and_saveexec_b64 s[22:23], vcc
	s_cbranch_execz .LBB755_500
; %bb.499:
	v_and_b32_e32 v19, 7, v14
	v_ffbh_u32_e32 v19, v19
	v_min_u32_e32 v19, 32, v19
	v_subrev_u32_e32 v22, 28, v19
	v_cmp_gt_u32_e32 vcc, 8, v18
	v_lshrrev_b32_e32 v20, 3, v18
	v_sub_u32_e32 v19, 29, v19
	v_cndmask_b32_e32 v18, 0, v22, vcc
	v_cndmask_b32_e32 v20, v20, v19, vcc
	v_lshlrev_b64 v[18:19], v18, v[14:15]
	v_lshlrev_b32_e32 v18, 20, v18
	v_lshlrev_b32_e32 v19, 24, v14
	v_bfrev_b32_e32 v22, 60
	v_and_b32_e32 v18, 0x700000, v18
	v_and_b32_e32 v19, 0x80000000, v19
	v_lshl_add_u32 v20, v20, 23, v22
	v_or3_b32 v18, v19, v20, v18
	v_lshrrev_b32_e32 v22, 16, v18
.LBB755_500:
	s_or_b64 exec, exec, s[22:23]
.LBB755_501:
	s_or_b64 exec, exec, s[20:21]
.LBB755_502:
	s_or_b64 exec, exec, s[10:11]
	v_lshrrev_b16_e32 v18, 8, v14
	v_cmp_ne_u16_e32 vcc, 0, v18
	s_and_saveexec_b64 s[10:11], vcc
	s_cbranch_execz .LBB755_508
; %bb.503:
	s_movk_i32 s20, 0x80
	v_cmp_ne_u16_e32 vcc, s20, v18
	v_mov_b32_e32 v21, 0xffff8000
	s_and_saveexec_b64 s[20:21], vcc
	s_cbranch_execz .LBB755_507
; %bb.504:
	s_movk_i32 s22, 0x7f
	v_and_b32_e32 v19, 0x7f, v18
	v_cmp_ne_u32_e32 vcc, s22, v19
	v_mov_b32_e32 v21, 0x7f80
	s_and_saveexec_b64 s[22:23], vcc
	s_cbranch_execz .LBB755_506
; %bb.505:
	v_and_b32_e32 v23, 7, v18
	v_ffbh_u32_e32 v20, v23
	v_min_u32_e32 v25, 32, v20
	v_subrev_u32_e32 v20, 28, v25
	v_lshlrev_b64 v[20:21], v20, v[18:19]
	v_lshrrev_b32_e32 v24, 3, v19
	v_sub_u32_e32 v18, 29, v25
	v_and_b32_e32 v20, 7, v20
	v_cmp_gt_u32_e32 vcc, 8, v19
	v_cndmask_b32_e32 v18, v24, v18, vcc
	v_cndmask_b32_e32 v19, v23, v20, vcc
	v_lshlrev_b32_e32 v20, 16, v14
	v_bfrev_b32_e32 v21, 60
	v_lshlrev_b32_e32 v19, 20, v19
	v_and_b32_e32 v20, 0x80000000, v20
	v_lshl_add_u32 v18, v18, 23, v21
	v_or3_b32 v18, v20, v18, v19
	v_lshrrev_b32_e32 v21, 16, v18
.LBB755_506:
	s_or_b64 exec, exec, s[22:23]
.LBB755_507:
	s_or_b64 exec, exec, s[20:21]
.LBB755_508:
	s_or_b64 exec, exec, s[10:11]
	s_movk_i32 s10, 0xff
	v_and_b32_sdwa v20, v14, s10 dst_sel:DWORD dst_unused:UNUSED_PAD src0_sel:WORD_1 src1_sel:DWORD
	v_lshrrev_b32_e32 v18, 16, v14
	v_cmp_ne_u16_e32 vcc, 0, v20
	v_mov_b32_e32 v19, 0
	v_mov_b32_e32 v23, 0
	s_and_saveexec_b64 s[10:11], vcc
	s_cbranch_execz .LBB755_514
; %bb.509:
	s_movk_i32 s20, 0x80
	v_cmp_ne_u16_e32 vcc, s20, v20
	v_mov_b32_e32 v23, 0xffff8000
	s_and_saveexec_b64 s[20:21], vcc
	s_cbranch_execz .LBB755_513
; %bb.510:
	v_bfe_u32 v20, v14, 16, 7
	s_movk_i32 s22, 0x7f
	v_cmp_ne_u32_e32 vcc, s22, v20
	v_mov_b32_e32 v23, 0x7f80
	s_and_saveexec_b64 s[22:23], vcc
	s_cbranch_execz .LBB755_512
; %bb.511:
	v_and_b32_e32 v23, 7, v18
	v_ffbh_u32_e32 v24, v23
	v_min_u32_e32 v27, 32, v24
	v_subrev_u32_e32 v24, 28, v27
	v_lshlrev_b64 v[24:25], v24, v[18:19]
	v_and_b32_e32 v24, 7, v24
	v_cmp_gt_u32_e32 vcc, 8, v20
	v_lshrrev_b32_e32 v26, 3, v20
	v_sub_u32_e32 v18, 29, v27
	v_cndmask_b32_e32 v20, v23, v24, vcc
	v_mov_b32_e32 v23, 24
	v_cndmask_b32_e32 v18, v26, v18, vcc
	v_lshlrev_b32_sdwa v23, v23, v14 dst_sel:DWORD dst_unused:UNUSED_PAD src0_sel:DWORD src1_sel:WORD_1
	v_bfrev_b32_e32 v24, 60
	v_lshlrev_b32_e32 v20, 20, v20
	v_and_b32_e32 v23, 0x80000000, v23
	v_lshl_add_u32 v18, v18, 23, v24
	v_or3_b32 v18, v23, v18, v20
	v_lshrrev_b32_e32 v23, 16, v18
.LBB755_512:
	s_or_b64 exec, exec, s[22:23]
.LBB755_513:
	s_or_b64 exec, exec, s[20:21]
.LBB755_514:
	s_or_b64 exec, exec, s[10:11]
	s_mov_b32 s10, 0xffffff
	v_cmp_lt_u32_e32 vcc, s10, v14
	v_mov_b32_e32 v24, 0
	s_and_saveexec_b64 s[10:11], vcc
	s_cbranch_execz .LBB755_520
; %bb.515:
	v_lshrrev_b32_e32 v18, 24, v14
	s_movk_i32 s20, 0x80
	v_cmp_ne_u32_e32 vcc, s20, v18
	v_mov_b32_e32 v24, 0xffff8000
	s_and_saveexec_b64 s[20:21], vcc
	s_cbranch_execz .LBB755_519
; %bb.516:
	v_bfe_u32 v20, v14, 24, 7
	s_movk_i32 s22, 0x7f
	v_cmp_ne_u32_e32 vcc, s22, v20
	v_mov_b32_e32 v24, 0x7f80
	s_and_saveexec_b64 s[22:23], vcc
	s_cbranch_execz .LBB755_518
; %bb.517:
	v_and_b32_e32 v26, 7, v18
	v_ffbh_u32_e32 v24, v26
	v_min_u32_e32 v28, 32, v24
	v_subrev_u32_e32 v24, 28, v28
	v_lshlrev_b64 v[24:25], v24, v[18:19]
	v_lshrrev_b32_e32 v27, 3, v20
	v_sub_u32_e32 v25, 29, v28
	v_and_b32_e32 v24, 7, v24
	v_cmp_gt_u32_e32 vcc, 8, v20
	v_cndmask_b32_e32 v20, v27, v25, vcc
	v_cndmask_b32_e32 v24, v26, v24, vcc
	v_lshlrev_b32_e32 v18, 24, v18
	v_bfrev_b32_e32 v25, 60
	v_lshlrev_b32_e32 v24, 20, v24
	v_and_b32_e32 v18, 0x80000000, v18
	v_lshl_add_u32 v20, v20, 23, v25
	v_or3_b32 v18, v18, v20, v24
	v_lshrrev_b32_e32 v24, 16, v18
.LBB755_518:
	s_or_b64 exec, exec, s[22:23]
.LBB755_519:
	s_or_b64 exec, exec, s[20:21]
.LBB755_520:
	s_or_b64 exec, exec, s[10:11]
	v_mov_b32_e32 v25, 0
	v_mov_b32_e32 v18, v15
	v_cmp_ne_u16_sdwa s[20:21], v15, v25 src0_sel:BYTE_0 src1_sel:DWORD
	v_mov_b32_e32 v26, 0
	s_and_saveexec_b64 s[10:11], s[20:21]
	s_cbranch_execz .LBB755_526
; %bb.521:
	s_movk_i32 s20, 0x80
	v_cmp_ne_u16_sdwa s[22:23], v15, s20 src0_sel:BYTE_0 src1_sel:DWORD
	v_mov_b32_e32 v26, 0xffff8000
	s_and_saveexec_b64 s[20:21], s[22:23]
	s_cbranch_execz .LBB755_525
; %bb.522:
	s_movk_i32 s22, 0x7f
	v_and_b32_e32 v20, 0x7f, v15
	v_cmp_ne_u32_e32 vcc, s22, v20
	v_mov_b32_e32 v26, 0x7f80
	s_and_saveexec_b64 s[22:23], vcc
	s_cbranch_execz .LBB755_524
; %bb.523:
	v_and_b32_e32 v26, 7, v15
	v_ffbh_u32_e32 v26, v26
	v_min_u32_e32 v26, 32, v26
	v_lshrrev_b32_e32 v27, 3, v20
	v_subrev_u32_e32 v28, 28, v26
	v_sub_u32_e32 v26, 29, v26
	v_cmp_gt_u32_e32 vcc, 8, v20
	v_cndmask_b32_e32 v20, v27, v26, vcc
	v_cndmask_b32_e32 v26, 0, v28, vcc
	v_lshlrev_b64 v[26:27], v26, v[18:19]
	v_lshlrev_b32_e32 v19, 20, v26
	v_lshlrev_b32_e32 v26, 24, v18
	v_bfrev_b32_e32 v27, 60
	v_and_b32_e32 v19, 0x700000, v19
	v_and_b32_e32 v26, 0x80000000, v26
	v_lshl_add_u32 v20, v20, 23, v27
	v_or3_b32 v19, v26, v20, v19
	v_lshrrev_b32_e32 v26, 16, v19
.LBB755_524:
	s_or_b64 exec, exec, s[22:23]
.LBB755_525:
	s_or_b64 exec, exec, s[20:21]
.LBB755_526:
	s_or_b64 exec, exec, s[10:11]
	v_lshrrev_b16_e32 v20, 8, v18
	v_cmp_ne_u16_e32 vcc, 0, v20
	s_and_saveexec_b64 s[10:11], vcc
	s_cbranch_execz .LBB755_532
; %bb.527:
	s_movk_i32 s20, 0x80
	v_cmp_ne_u16_e32 vcc, s20, v20
	v_mov_b32_e32 v25, 0xffff8000
	s_and_saveexec_b64 s[20:21], vcc
	s_cbranch_execz .LBB755_531
; %bb.528:
	s_movk_i32 s22, 0x7f
	v_and_b32_e32 v19, 0x7f, v20
	v_cmp_ne_u32_e32 vcc, s22, v19
	v_mov_b32_e32 v25, 0x7f80
	s_and_saveexec_b64 s[22:23], vcc
	s_cbranch_execz .LBB755_530
; %bb.529:
	v_and_b32_e32 v25, 7, v20
	v_ffbh_u32_e32 v28, v25
	v_min_u32_e32 v30, 32, v28
	v_subrev_u32_e32 v28, 28, v30
	v_lshlrev_b64 v[28:29], v28, v[20:21]
	v_lshrrev_b32_e32 v27, 3, v19
	v_sub_u32_e32 v20, 29, v30
	v_and_b32_e32 v28, 7, v28
	v_cmp_gt_u32_e32 vcc, 8, v19
	v_cndmask_b32_e32 v19, v27, v20, vcc
	v_cndmask_b32_e32 v20, v25, v28, vcc
	v_lshlrev_b32_e32 v18, 16, v18
	v_bfrev_b32_e32 v25, 60
	v_lshlrev_b32_e32 v20, 20, v20
	v_and_b32_e32 v18, 0x80000000, v18
	v_lshl_add_u32 v19, v19, 23, v25
	v_or3_b32 v18, v18, v19, v20
	v_lshrrev_b32_e32 v25, 16, v18
.LBB755_530:
	s_or_b64 exec, exec, s[22:23]
.LBB755_531:
	s_or_b64 exec, exec, s[20:21]
.LBB755_532:
	s_or_b64 exec, exec, s[10:11]
	s_movk_i32 s10, 0xff
	v_and_b32_sdwa v27, v15, s10 dst_sel:DWORD dst_unused:UNUSED_PAD src0_sel:WORD_1 src1_sel:DWORD
	v_lshrrev_b32_e32 v18, 16, v15
	v_cmp_ne_u16_e32 vcc, 0, v27
	v_mov_b32_e32 v19, 0
	v_mov_b32_e32 v20, 0
	s_and_saveexec_b64 s[10:11], vcc
	s_cbranch_execz .LBB755_538
; %bb.533:
	s_movk_i32 s20, 0x80
	v_cmp_ne_u16_e32 vcc, s20, v27
	v_mov_b32_e32 v20, 0xffff8000
	s_and_saveexec_b64 s[20:21], vcc
	s_cbranch_execz .LBB755_537
; %bb.534:
	v_bfe_u32 v27, v15, 16, 7
	s_movk_i32 s22, 0x7f
	v_cmp_ne_u32_e32 vcc, s22, v27
	v_mov_b32_e32 v20, 0x7f80
	s_and_saveexec_b64 s[22:23], vcc
	s_cbranch_execz .LBB755_536
; %bb.535:
	v_and_b32_e32 v20, 7, v18
	v_ffbh_u32_e32 v28, v20
	v_min_u32_e32 v31, 32, v28
	v_subrev_u32_e32 v28, 28, v31
	v_lshlrev_b64 v[28:29], v28, v[18:19]
	v_lshrrev_b32_e32 v30, 3, v27
	v_sub_u32_e32 v18, 29, v31
	v_and_b32_e32 v28, 7, v28
	v_cmp_gt_u32_e32 vcc, 8, v27
	v_mov_b32_e32 v27, 24
	v_cndmask_b32_e32 v18, v30, v18, vcc
	v_cndmask_b32_e32 v20, v20, v28, vcc
	v_lshlrev_b32_sdwa v27, v27, v15 dst_sel:DWORD dst_unused:UNUSED_PAD src0_sel:DWORD src1_sel:WORD_1
	v_bfrev_b32_e32 v28, 60
	v_lshlrev_b32_e32 v20, 20, v20
	v_and_b32_e32 v27, 0x80000000, v27
	v_lshl_add_u32 v18, v18, 23, v28
	v_or3_b32 v18, v27, v18, v20
	v_lshrrev_b32_e32 v20, 16, v18
.LBB755_536:
	s_or_b64 exec, exec, s[22:23]
.LBB755_537:
	s_or_b64 exec, exec, s[20:21]
.LBB755_538:
	s_or_b64 exec, exec, s[10:11]
	s_mov_b32 s10, -1
	s_mov_b32 s11, 0xffffff
	v_cmp_lt_u64_e32 vcc, s[10:11], v[14:15]
	s_and_saveexec_b64 s[10:11], vcc
	s_cbranch_execz .LBB755_544
; %bb.539:
	v_lshrrev_b32_e32 v14, 24, v15
	s_movk_i32 s20, 0x80
	v_cmp_ne_u32_e32 vcc, s20, v14
	v_mov_b32_e32 v19, 0xffff8000
	s_and_saveexec_b64 s[20:21], vcc
	s_cbranch_execz .LBB755_543
; %bb.540:
	v_bfe_u32 v15, v15, 24, 7
	s_movk_i32 s22, 0x7f
	v_cmp_ne_u32_e32 vcc, s22, v15
	v_mov_b32_e32 v19, 0x7f80
	s_and_saveexec_b64 s[22:23], vcc
	s_cbranch_execz .LBB755_542
; %bb.541:
	v_and_b32_e32 v27, 7, v14
	v_ffbh_u32_e32 v18, v27
	v_min_u32_e32 v29, 32, v18
	v_subrev_u32_e32 v18, 28, v29
	v_lshlrev_b64 v[18:19], v18, v[14:15]
	v_lshrrev_b32_e32 v28, 3, v15
	v_sub_u32_e32 v19, 29, v29
	v_and_b32_e32 v18, 7, v18
	v_cmp_gt_u32_e32 vcc, 8, v15
	v_cndmask_b32_e32 v15, v28, v19, vcc
	v_cndmask_b32_e32 v18, v27, v18, vcc
	v_lshlrev_b32_e32 v14, 24, v14
	v_bfrev_b32_e32 v19, 60
	v_lshlrev_b32_e32 v18, 20, v18
	v_and_b32_e32 v14, 0x80000000, v14
	v_lshl_add_u32 v15, v15, 23, v19
	v_or3_b32 v14, v14, v15, v18
	v_lshrrev_b32_e32 v19, 16, v14
.LBB755_542:
	s_or_b64 exec, exec, s[22:23]
.LBB755_543:
	s_or_b64 exec, exec, s[20:21]
.LBB755_544:
	s_or_b64 exec, exec, s[10:11]
	s_mov_b32 s10, 0x5040100
	v_perm_b32 v15, v24, v23, s10
	v_perm_b32 v14, v21, v22, s10
	;; [unrolled: 1-line block ×4, first 2 shown]
	v_mfma_f32_4x4x4bf16_1k a[0:3], v[2:3], v[14:15], a[0:3] cbsz:4 abid:10
	v_mov_b32_e32 v20, 0
	v_mfma_f32_4x4x4bf16_1k a[0:3], v[4:5], v[18:19], a[0:3] cbsz:4 abid:10
	v_mov_b32_e32 v19, 0
	v_cmp_ne_u16_sdwa s[20:21], v16, v19 src0_sel:BYTE_0 src1_sel:DWORD
	s_and_saveexec_b64 s[10:11], s[20:21]
	s_cbranch_execz .LBB755_550
; %bb.545:
	s_movk_i32 s20, 0x80
	v_cmp_ne_u16_sdwa s[22:23], v16, s20 src0_sel:BYTE_0 src1_sel:DWORD
	v_mov_b32_e32 v20, 0xffff8000
	s_and_saveexec_b64 s[20:21], s[22:23]
	s_cbranch_execz .LBB755_549
; %bb.546:
	s_movk_i32 s22, 0x7f
	v_and_b32_e32 v14, 0x7f, v16
	v_cmp_ne_u32_e32 vcc, s22, v14
	v_mov_b32_e32 v20, 0x7f80
	s_and_saveexec_b64 s[22:23], vcc
	s_cbranch_execz .LBB755_548
; %bb.547:
	v_and_b32_e32 v15, 7, v16
	v_ffbh_u32_e32 v15, v15
	v_min_u32_e32 v15, 32, v15
	v_subrev_u32_e32 v20, 28, v15
	v_cmp_gt_u32_e32 vcc, 8, v14
	v_lshrrev_b32_e32 v18, 3, v14
	v_sub_u32_e32 v15, 29, v15
	v_cndmask_b32_e32 v14, 0, v20, vcc
	v_cndmask_b32_e32 v18, v18, v15, vcc
	v_lshlrev_b64 v[14:15], v14, v[16:17]
	v_lshlrev_b32_e32 v14, 20, v14
	v_lshlrev_b32_e32 v15, 24, v16
	v_bfrev_b32_e32 v20, 60
	v_and_b32_e32 v14, 0x700000, v14
	v_and_b32_e32 v15, 0x80000000, v15
	v_lshl_add_u32 v18, v18, 23, v20
	v_or3_b32 v14, v15, v18, v14
	v_lshrrev_b32_e32 v20, 16, v14
.LBB755_548:
	s_or_b64 exec, exec, s[22:23]
.LBB755_549:
	s_or_b64 exec, exec, s[20:21]
.LBB755_550:
	s_or_b64 exec, exec, s[10:11]
	v_lshrrev_b16_e32 v14, 8, v16
	v_cmp_ne_u16_e32 vcc, 0, v14
	s_and_saveexec_b64 s[10:11], vcc
	s_cbranch_execz .LBB755_556
; %bb.551:
	s_movk_i32 s20, 0x80
	v_cmp_ne_u16_e32 vcc, s20, v14
	v_mov_b32_e32 v19, 0xffff8000
	s_and_saveexec_b64 s[20:21], vcc
	s_cbranch_execz .LBB755_555
; %bb.552:
	s_movk_i32 s22, 0x7f
	v_and_b32_e32 v15, 0x7f, v14
	v_cmp_ne_u32_e32 vcc, s22, v15
	v_mov_b32_e32 v19, 0x7f80
	s_and_saveexec_b64 s[22:23], vcc
	s_cbranch_execz .LBB755_554
; %bb.553:
	v_and_b32_e32 v21, 7, v14
	v_ffbh_u32_e32 v18, v21
	v_min_u32_e32 v23, 32, v18
	v_subrev_u32_e32 v18, 28, v23
	v_lshlrev_b64 v[18:19], v18, v[14:15]
	v_lshrrev_b32_e32 v22, 3, v15
	v_sub_u32_e32 v14, 29, v23
	v_and_b32_e32 v18, 7, v18
	v_cmp_gt_u32_e32 vcc, 8, v15
	v_cndmask_b32_e32 v14, v22, v14, vcc
	v_cndmask_b32_e32 v15, v21, v18, vcc
	v_lshlrev_b32_e32 v18, 16, v16
	v_bfrev_b32_e32 v19, 60
	v_lshlrev_b32_e32 v15, 20, v15
	v_and_b32_e32 v18, 0x80000000, v18
	v_lshl_add_u32 v14, v14, 23, v19
	v_or3_b32 v14, v18, v14, v15
	v_lshrrev_b32_e32 v19, 16, v14
.LBB755_554:
	s_or_b64 exec, exec, s[22:23]
.LBB755_555:
	s_or_b64 exec, exec, s[20:21]
.LBB755_556:
	s_or_b64 exec, exec, s[10:11]
	s_movk_i32 s10, 0xff
	v_and_b32_sdwa v18, v16, s10 dst_sel:DWORD dst_unused:UNUSED_PAD src0_sel:WORD_1 src1_sel:DWORD
	v_lshrrev_b32_e32 v14, 16, v16
	v_cmp_ne_u16_e32 vcc, 0, v18
	v_mov_b32_e32 v15, 0
	v_mov_b32_e32 v21, 0
	s_and_saveexec_b64 s[10:11], vcc
	s_cbranch_execz .LBB755_562
; %bb.557:
	s_movk_i32 s20, 0x80
	v_cmp_ne_u16_e32 vcc, s20, v18
	v_mov_b32_e32 v21, 0xffff8000
	s_and_saveexec_b64 s[20:21], vcc
	s_cbranch_execz .LBB755_561
; %bb.558:
	v_bfe_u32 v18, v16, 16, 7
	s_movk_i32 s22, 0x7f
	v_cmp_ne_u32_e32 vcc, s22, v18
	v_mov_b32_e32 v21, 0x7f80
	s_and_saveexec_b64 s[22:23], vcc
	s_cbranch_execz .LBB755_560
; %bb.559:
	v_and_b32_e32 v21, 7, v14
	v_ffbh_u32_e32 v22, v21
	v_min_u32_e32 v25, 32, v22
	v_subrev_u32_e32 v22, 28, v25
	v_lshlrev_b64 v[22:23], v22, v[14:15]
	v_and_b32_e32 v22, 7, v22
	v_cmp_gt_u32_e32 vcc, 8, v18
	v_lshrrev_b32_e32 v24, 3, v18
	v_sub_u32_e32 v14, 29, v25
	v_cndmask_b32_e32 v18, v21, v22, vcc
	v_mov_b32_e32 v21, 24
	v_cndmask_b32_e32 v14, v24, v14, vcc
	v_lshlrev_b32_sdwa v21, v21, v16 dst_sel:DWORD dst_unused:UNUSED_PAD src0_sel:DWORD src1_sel:WORD_1
	v_bfrev_b32_e32 v22, 60
	v_lshlrev_b32_e32 v18, 20, v18
	v_and_b32_e32 v21, 0x80000000, v21
	v_lshl_add_u32 v14, v14, 23, v22
	v_or3_b32 v14, v21, v14, v18
	v_lshrrev_b32_e32 v21, 16, v14
.LBB755_560:
	s_or_b64 exec, exec, s[22:23]
.LBB755_561:
	s_or_b64 exec, exec, s[20:21]
.LBB755_562:
	s_or_b64 exec, exec, s[10:11]
	s_mov_b32 s10, 0xffffff
	v_cmp_lt_u32_e32 vcc, s10, v16
	v_mov_b32_e32 v22, 0
	s_and_saveexec_b64 s[10:11], vcc
	s_cbranch_execz .LBB755_568
; %bb.563:
	v_lshrrev_b32_e32 v14, 24, v16
	s_movk_i32 s20, 0x80
	v_cmp_ne_u32_e32 vcc, s20, v14
	v_mov_b32_e32 v22, 0xffff8000
	s_and_saveexec_b64 s[20:21], vcc
	s_cbranch_execz .LBB755_567
; %bb.564:
	v_bfe_u32 v18, v16, 24, 7
	s_movk_i32 s22, 0x7f
	v_cmp_ne_u32_e32 vcc, s22, v18
	v_mov_b32_e32 v22, 0x7f80
	s_and_saveexec_b64 s[22:23], vcc
	s_cbranch_execz .LBB755_566
; %bb.565:
	v_and_b32_e32 v24, 7, v14
	v_ffbh_u32_e32 v22, v24
	v_min_u32_e32 v26, 32, v22
	v_subrev_u32_e32 v22, 28, v26
	v_lshlrev_b64 v[22:23], v22, v[14:15]
	v_lshrrev_b32_e32 v25, 3, v18
	v_sub_u32_e32 v23, 29, v26
	v_and_b32_e32 v22, 7, v22
	v_cmp_gt_u32_e32 vcc, 8, v18
	v_cndmask_b32_e32 v18, v25, v23, vcc
	v_cndmask_b32_e32 v22, v24, v22, vcc
	v_lshlrev_b32_e32 v14, 24, v14
	v_bfrev_b32_e32 v23, 60
	v_lshlrev_b32_e32 v22, 20, v22
	v_and_b32_e32 v14, 0x80000000, v14
	v_lshl_add_u32 v18, v18, 23, v23
	v_or3_b32 v14, v14, v18, v22
	v_lshrrev_b32_e32 v22, 16, v14
.LBB755_566:
	s_or_b64 exec, exec, s[22:23]
.LBB755_567:
	s_or_b64 exec, exec, s[20:21]
.LBB755_568:
	s_or_b64 exec, exec, s[10:11]
	v_mov_b32_e32 v23, 0
	v_mov_b32_e32 v14, v17
	v_cmp_ne_u16_sdwa s[20:21], v17, v23 src0_sel:BYTE_0 src1_sel:DWORD
	v_mov_b32_e32 v24, 0
	s_and_saveexec_b64 s[10:11], s[20:21]
	s_cbranch_execz .LBB755_574
; %bb.569:
	s_movk_i32 s20, 0x80
	v_cmp_ne_u16_sdwa s[22:23], v17, s20 src0_sel:BYTE_0 src1_sel:DWORD
	v_mov_b32_e32 v24, 0xffff8000
	s_and_saveexec_b64 s[20:21], s[22:23]
	s_cbranch_execz .LBB755_573
; %bb.570:
	s_movk_i32 s22, 0x7f
	v_and_b32_e32 v18, 0x7f, v17
	v_cmp_ne_u32_e32 vcc, s22, v18
	v_mov_b32_e32 v24, 0x7f80
	s_and_saveexec_b64 s[22:23], vcc
	s_cbranch_execz .LBB755_572
; %bb.571:
	v_and_b32_e32 v24, 7, v17
	v_ffbh_u32_e32 v24, v24
	v_min_u32_e32 v24, 32, v24
	v_lshrrev_b32_e32 v25, 3, v18
	v_subrev_u32_e32 v26, 28, v24
	v_sub_u32_e32 v24, 29, v24
	v_cmp_gt_u32_e32 vcc, 8, v18
	v_cndmask_b32_e32 v18, v25, v24, vcc
	v_cndmask_b32_e32 v24, 0, v26, vcc
	v_lshlrev_b64 v[24:25], v24, v[14:15]
	v_lshlrev_b32_e32 v15, 20, v24
	v_lshlrev_b32_e32 v24, 24, v14
	v_bfrev_b32_e32 v25, 60
	v_and_b32_e32 v15, 0x700000, v15
	v_and_b32_e32 v24, 0x80000000, v24
	v_lshl_add_u32 v18, v18, 23, v25
	v_or3_b32 v15, v24, v18, v15
	v_lshrrev_b32_e32 v24, 16, v15
.LBB755_572:
	s_or_b64 exec, exec, s[22:23]
.LBB755_573:
	s_or_b64 exec, exec, s[20:21]
.LBB755_574:
	s_or_b64 exec, exec, s[10:11]
	v_lshrrev_b16_e32 v18, 8, v14
	v_cmp_ne_u16_e32 vcc, 0, v18
	s_and_saveexec_b64 s[10:11], vcc
	s_cbranch_execz .LBB755_580
; %bb.575:
	s_movk_i32 s20, 0x80
	v_cmp_ne_u16_e32 vcc, s20, v18
	v_mov_b32_e32 v23, 0xffff8000
	s_and_saveexec_b64 s[20:21], vcc
	s_cbranch_execz .LBB755_579
; %bb.576:
	s_movk_i32 s22, 0x7f
	v_and_b32_e32 v15, 0x7f, v18
	v_cmp_ne_u32_e32 vcc, s22, v15
	v_mov_b32_e32 v23, 0x7f80
	s_and_saveexec_b64 s[22:23], vcc
	s_cbranch_execz .LBB755_578
; %bb.577:
	v_and_b32_e32 v23, 7, v18
	v_ffbh_u32_e32 v26, v23
	v_min_u32_e32 v28, 32, v26
	v_subrev_u32_e32 v26, 28, v28
	v_lshlrev_b64 v[26:27], v26, v[18:19]
	v_lshrrev_b32_e32 v25, 3, v15
	v_sub_u32_e32 v18, 29, v28
	v_and_b32_e32 v26, 7, v26
	v_cmp_gt_u32_e32 vcc, 8, v15
	v_cndmask_b32_e32 v15, v25, v18, vcc
	v_cndmask_b32_e32 v18, v23, v26, vcc
	v_lshlrev_b32_e32 v14, 16, v14
	v_bfrev_b32_e32 v23, 60
	v_lshlrev_b32_e32 v18, 20, v18
	v_and_b32_e32 v14, 0x80000000, v14
	v_lshl_add_u32 v15, v15, 23, v23
	v_or3_b32 v14, v14, v15, v18
	v_lshrrev_b32_e32 v23, 16, v14
.LBB755_578:
	s_or_b64 exec, exec, s[22:23]
.LBB755_579:
	s_or_b64 exec, exec, s[20:21]
.LBB755_580:
	s_or_b64 exec, exec, s[10:11]
	s_movk_i32 s10, 0xff
	v_and_b32_sdwa v25, v17, s10 dst_sel:DWORD dst_unused:UNUSED_PAD src0_sel:WORD_1 src1_sel:DWORD
	v_lshrrev_b32_e32 v14, 16, v17
	v_cmp_ne_u16_e32 vcc, 0, v25
	v_mov_b32_e32 v15, 0
	v_mov_b32_e32 v18, 0
	s_and_saveexec_b64 s[10:11], vcc
	s_cbranch_execz .LBB755_586
; %bb.581:
	s_movk_i32 s20, 0x80
	v_cmp_ne_u16_e32 vcc, s20, v25
	v_mov_b32_e32 v18, 0xffff8000
	s_and_saveexec_b64 s[20:21], vcc
	s_cbranch_execz .LBB755_585
; %bb.582:
	v_bfe_u32 v25, v17, 16, 7
	s_movk_i32 s22, 0x7f
	v_cmp_ne_u32_e32 vcc, s22, v25
	v_mov_b32_e32 v18, 0x7f80
	s_and_saveexec_b64 s[22:23], vcc
	s_cbranch_execz .LBB755_584
; %bb.583:
	v_and_b32_e32 v18, 7, v14
	v_ffbh_u32_e32 v26, v18
	v_min_u32_e32 v29, 32, v26
	v_subrev_u32_e32 v26, 28, v29
	v_lshlrev_b64 v[26:27], v26, v[14:15]
	v_lshrrev_b32_e32 v28, 3, v25
	v_sub_u32_e32 v14, 29, v29
	v_and_b32_e32 v26, 7, v26
	v_cmp_gt_u32_e32 vcc, 8, v25
	v_mov_b32_e32 v25, 24
	v_cndmask_b32_e32 v14, v28, v14, vcc
	v_cndmask_b32_e32 v18, v18, v26, vcc
	v_lshlrev_b32_sdwa v25, v25, v17 dst_sel:DWORD dst_unused:UNUSED_PAD src0_sel:DWORD src1_sel:WORD_1
	v_bfrev_b32_e32 v26, 60
	v_lshlrev_b32_e32 v18, 20, v18
	v_and_b32_e32 v25, 0x80000000, v25
	v_lshl_add_u32 v14, v14, 23, v26
	v_or3_b32 v14, v25, v14, v18
	v_lshrrev_b32_e32 v18, 16, v14
.LBB755_584:
	s_or_b64 exec, exec, s[22:23]
.LBB755_585:
	s_or_b64 exec, exec, s[20:21]
.LBB755_586:
	s_or_b64 exec, exec, s[10:11]
	s_mov_b32 s10, -1
	s_mov_b32 s11, 0xffffff
	v_cmp_lt_u64_e32 vcc, s[10:11], v[16:17]
	s_and_saveexec_b64 s[10:11], vcc
	s_cbranch_execz .LBB755_592
; %bb.587:
	v_lshrrev_b32_e32 v14, 24, v17
	s_movk_i32 s20, 0x80
	v_cmp_ne_u32_e32 vcc, s20, v14
	v_mov_b32_e32 v15, 0xffff8000
	s_and_saveexec_b64 s[20:21], vcc
	s_cbranch_execz .LBB755_591
; %bb.588:
	v_bfe_u32 v16, v17, 24, 7
	s_movk_i32 s22, 0x7f
	v_cmp_ne_u32_e32 vcc, s22, v16
	v_mov_b32_e32 v15, 0x7f80
	s_and_saveexec_b64 s[22:23], vcc
	s_cbranch_execz .LBB755_590
; %bb.589:
	v_and_b32_e32 v15, 7, v14
	v_ffbh_u32_e32 v25, v15
	v_min_u32_e32 v25, 32, v25
	v_subrev_u32_e32 v26, 28, v25
	v_lshlrev_b64 v[26:27], v26, v[14:15]
	v_lshrrev_b32_e32 v17, 3, v16
	v_sub_u32_e32 v25, 29, v25
	v_and_b32_e32 v26, 7, v26
	v_cmp_gt_u32_e32 vcc, 8, v16
	v_cndmask_b32_e32 v16, v17, v25, vcc
	v_cndmask_b32_e32 v15, v15, v26, vcc
	v_lshlrev_b32_e32 v14, 24, v14
	v_bfrev_b32_e32 v17, 60
	v_lshlrev_b32_e32 v15, 20, v15
	v_and_b32_e32 v14, 0x80000000, v14
	v_lshl_add_u32 v16, v16, 23, v17
	v_or3_b32 v14, v14, v16, v15
	v_lshrrev_b32_e32 v15, 16, v14
.LBB755_590:
	s_or_b64 exec, exec, s[22:23]
.LBB755_591:
	s_or_b64 exec, exec, s[20:21]
.LBB755_592:
	s_or_b64 exec, exec, s[10:11]
	s_mov_b32 s10, 0x5040100
	v_perm_b32 v17, v22, v21, s10
	v_perm_b32 v16, v19, v20, s10
	;; [unrolled: 1-line block ×4, first 2 shown]
	v_mfma_f32_4x4x4bf16_1k a[0:3], v[2:3], v[16:17], a[0:3] cbsz:4 abid:11
	v_mov_b32_e32 v17, 0
	v_mfma_f32_4x4x4bf16_1k a[0:3], v[4:5], v[14:15], a[0:3] cbsz:4 abid:11
	v_cmp_ne_u16_sdwa s[20:21], v10, v17 src0_sel:BYTE_0 src1_sel:DWORD
	v_mov_b32_e32 v18, 0
	s_and_saveexec_b64 s[10:11], s[20:21]
	s_cbranch_execz .LBB755_598
; %bb.593:
	s_movk_i32 s20, 0x80
	v_cmp_ne_u16_sdwa s[22:23], v10, s20 src0_sel:BYTE_0 src1_sel:DWORD
	v_mov_b32_e32 v18, 0xffff8000
	s_and_saveexec_b64 s[20:21], s[22:23]
	s_cbranch_execz .LBB755_597
; %bb.594:
	s_movk_i32 s22, 0x7f
	v_and_b32_e32 v14, 0x7f, v10
	v_cmp_ne_u32_e32 vcc, s22, v14
	v_mov_b32_e32 v18, 0x7f80
	s_and_saveexec_b64 s[22:23], vcc
	s_cbranch_execz .LBB755_596
; %bb.595:
	v_and_b32_e32 v15, 7, v10
	v_ffbh_u32_e32 v15, v15
	v_min_u32_e32 v15, 32, v15
	v_subrev_u32_e32 v18, 28, v15
	v_cmp_gt_u32_e32 vcc, 8, v14
	v_lshrrev_b32_e32 v16, 3, v14
	v_sub_u32_e32 v15, 29, v15
	v_cndmask_b32_e32 v14, 0, v18, vcc
	v_cndmask_b32_e32 v16, v16, v15, vcc
	v_lshlrev_b64 v[14:15], v14, v[10:11]
	v_lshlrev_b32_e32 v14, 20, v14
	v_lshlrev_b32_e32 v15, 24, v10
	v_bfrev_b32_e32 v18, 60
	v_and_b32_e32 v14, 0x700000, v14
	v_and_b32_e32 v15, 0x80000000, v15
	v_lshl_add_u32 v16, v16, 23, v18
	v_or3_b32 v14, v15, v16, v14
	v_lshrrev_b32_e32 v18, 16, v14
.LBB755_596:
	s_or_b64 exec, exec, s[22:23]
.LBB755_597:
	s_or_b64 exec, exec, s[20:21]
.LBB755_598:
	s_or_b64 exec, exec, s[10:11]
	v_lshrrev_b16_e32 v14, 8, v10
	v_cmp_ne_u16_e32 vcc, 0, v14
	s_and_saveexec_b64 s[10:11], vcc
	s_cbranch_execz .LBB755_604
; %bb.599:
	s_movk_i32 s20, 0x80
	v_cmp_ne_u16_e32 vcc, s20, v14
	v_mov_b32_e32 v17, 0xffff8000
	s_and_saveexec_b64 s[20:21], vcc
	s_cbranch_execz .LBB755_603
; %bb.600:
	s_movk_i32 s22, 0x7f
	v_and_b32_e32 v15, 0x7f, v14
	v_cmp_ne_u32_e32 vcc, s22, v15
	v_mov_b32_e32 v17, 0x7f80
	s_and_saveexec_b64 s[22:23], vcc
	s_cbranch_execz .LBB755_602
; %bb.601:
	v_and_b32_e32 v19, 7, v14
	v_ffbh_u32_e32 v16, v19
	v_min_u32_e32 v21, 32, v16
	v_subrev_u32_e32 v16, 28, v21
	v_lshlrev_b64 v[16:17], v16, v[14:15]
	v_lshrrev_b32_e32 v20, 3, v15
	v_sub_u32_e32 v14, 29, v21
	v_and_b32_e32 v16, 7, v16
	v_cmp_gt_u32_e32 vcc, 8, v15
	v_cndmask_b32_e32 v14, v20, v14, vcc
	v_cndmask_b32_e32 v15, v19, v16, vcc
	v_lshlrev_b32_e32 v16, 16, v10
	v_bfrev_b32_e32 v17, 60
	v_lshlrev_b32_e32 v15, 20, v15
	v_and_b32_e32 v16, 0x80000000, v16
	v_lshl_add_u32 v14, v14, 23, v17
	v_or3_b32 v14, v16, v14, v15
	v_lshrrev_b32_e32 v17, 16, v14
.LBB755_602:
	s_or_b64 exec, exec, s[22:23]
.LBB755_603:
	s_or_b64 exec, exec, s[20:21]
.LBB755_604:
	s_or_b64 exec, exec, s[10:11]
	s_movk_i32 s10, 0xff
	v_and_b32_sdwa v16, v10, s10 dst_sel:DWORD dst_unused:UNUSED_PAD src0_sel:WORD_1 src1_sel:DWORD
	v_lshrrev_b32_e32 v14, 16, v10
	v_cmp_ne_u16_e32 vcc, 0, v16
	v_mov_b32_e32 v15, 0
	v_mov_b32_e32 v19, 0
	s_and_saveexec_b64 s[10:11], vcc
	s_cbranch_execz .LBB755_610
; %bb.605:
	s_movk_i32 s20, 0x80
	v_cmp_ne_u16_e32 vcc, s20, v16
	v_mov_b32_e32 v19, 0xffff8000
	s_and_saveexec_b64 s[20:21], vcc
	s_cbranch_execz .LBB755_609
; %bb.606:
	v_bfe_u32 v16, v10, 16, 7
	s_movk_i32 s22, 0x7f
	v_cmp_ne_u32_e32 vcc, s22, v16
	v_mov_b32_e32 v19, 0x7f80
	s_and_saveexec_b64 s[22:23], vcc
	s_cbranch_execz .LBB755_608
; %bb.607:
	v_and_b32_e32 v19, 7, v14
	v_ffbh_u32_e32 v20, v19
	v_min_u32_e32 v23, 32, v20
	v_subrev_u32_e32 v20, 28, v23
	v_lshlrev_b64 v[20:21], v20, v[14:15]
	v_and_b32_e32 v20, 7, v20
	v_cmp_gt_u32_e32 vcc, 8, v16
	v_lshrrev_b32_e32 v22, 3, v16
	v_sub_u32_e32 v14, 29, v23
	v_cndmask_b32_e32 v16, v19, v20, vcc
	v_mov_b32_e32 v19, 24
	v_cndmask_b32_e32 v14, v22, v14, vcc
	v_lshlrev_b32_sdwa v19, v19, v10 dst_sel:DWORD dst_unused:UNUSED_PAD src0_sel:DWORD src1_sel:WORD_1
	v_bfrev_b32_e32 v20, 60
	v_lshlrev_b32_e32 v16, 20, v16
	v_and_b32_e32 v19, 0x80000000, v19
	v_lshl_add_u32 v14, v14, 23, v20
	v_or3_b32 v14, v19, v14, v16
	v_lshrrev_b32_e32 v19, 16, v14
.LBB755_608:
	s_or_b64 exec, exec, s[22:23]
.LBB755_609:
	s_or_b64 exec, exec, s[20:21]
.LBB755_610:
	s_or_b64 exec, exec, s[10:11]
	s_mov_b32 s10, 0xffffff
	v_cmp_lt_u32_e32 vcc, s10, v10
	v_mov_b32_e32 v20, 0
	s_and_saveexec_b64 s[10:11], vcc
	s_cbranch_execz .LBB755_616
; %bb.611:
	v_lshrrev_b32_e32 v14, 24, v10
	s_movk_i32 s20, 0x80
	v_cmp_ne_u32_e32 vcc, s20, v14
	v_mov_b32_e32 v20, 0xffff8000
	s_and_saveexec_b64 s[20:21], vcc
	s_cbranch_execz .LBB755_615
; %bb.612:
	v_bfe_u32 v16, v10, 24, 7
	s_movk_i32 s22, 0x7f
	v_cmp_ne_u32_e32 vcc, s22, v16
	v_mov_b32_e32 v20, 0x7f80
	s_and_saveexec_b64 s[22:23], vcc
	s_cbranch_execz .LBB755_614
; %bb.613:
	v_and_b32_e32 v22, 7, v14
	v_ffbh_u32_e32 v20, v22
	v_min_u32_e32 v24, 32, v20
	v_subrev_u32_e32 v20, 28, v24
	v_lshlrev_b64 v[20:21], v20, v[14:15]
	v_lshrrev_b32_e32 v23, 3, v16
	v_sub_u32_e32 v21, 29, v24
	v_and_b32_e32 v20, 7, v20
	v_cmp_gt_u32_e32 vcc, 8, v16
	v_cndmask_b32_e32 v16, v23, v21, vcc
	v_cndmask_b32_e32 v20, v22, v20, vcc
	v_lshlrev_b32_e32 v14, 24, v14
	v_bfrev_b32_e32 v21, 60
	v_lshlrev_b32_e32 v20, 20, v20
	v_and_b32_e32 v14, 0x80000000, v14
	v_lshl_add_u32 v16, v16, 23, v21
	v_or3_b32 v14, v14, v16, v20
	v_lshrrev_b32_e32 v20, 16, v14
.LBB755_614:
	s_or_b64 exec, exec, s[22:23]
.LBB755_615:
	s_or_b64 exec, exec, s[20:21]
.LBB755_616:
	s_or_b64 exec, exec, s[10:11]
	v_mov_b32_e32 v21, 0
	v_mov_b32_e32 v14, v11
	v_cmp_ne_u16_sdwa s[20:21], v11, v21 src0_sel:BYTE_0 src1_sel:DWORD
	v_mov_b32_e32 v22, 0
	s_and_saveexec_b64 s[10:11], s[20:21]
	s_cbranch_execz .LBB755_622
; %bb.617:
	s_movk_i32 s20, 0x80
	v_cmp_ne_u16_sdwa s[22:23], v11, s20 src0_sel:BYTE_0 src1_sel:DWORD
	v_mov_b32_e32 v22, 0xffff8000
	s_and_saveexec_b64 s[20:21], s[22:23]
	s_cbranch_execz .LBB755_621
; %bb.618:
	s_movk_i32 s22, 0x7f
	v_and_b32_e32 v16, 0x7f, v11
	v_cmp_ne_u32_e32 vcc, s22, v16
	v_mov_b32_e32 v22, 0x7f80
	s_and_saveexec_b64 s[22:23], vcc
	s_cbranch_execz .LBB755_620
; %bb.619:
	v_and_b32_e32 v22, 7, v11
	v_ffbh_u32_e32 v22, v22
	v_min_u32_e32 v22, 32, v22
	v_lshrrev_b32_e32 v23, 3, v16
	v_subrev_u32_e32 v24, 28, v22
	v_sub_u32_e32 v22, 29, v22
	v_cmp_gt_u32_e32 vcc, 8, v16
	v_cndmask_b32_e32 v16, v23, v22, vcc
	v_cndmask_b32_e32 v22, 0, v24, vcc
	v_lshlrev_b64 v[22:23], v22, v[14:15]
	v_lshlrev_b32_e32 v15, 20, v22
	v_lshlrev_b32_e32 v22, 24, v14
	v_bfrev_b32_e32 v23, 60
	v_and_b32_e32 v15, 0x700000, v15
	v_and_b32_e32 v22, 0x80000000, v22
	v_lshl_add_u32 v16, v16, 23, v23
	v_or3_b32 v15, v22, v16, v15
	v_lshrrev_b32_e32 v22, 16, v15
.LBB755_620:
	s_or_b64 exec, exec, s[22:23]
.LBB755_621:
	s_or_b64 exec, exec, s[20:21]
.LBB755_622:
	s_or_b64 exec, exec, s[10:11]
	v_lshrrev_b16_e32 v16, 8, v14
	v_cmp_ne_u16_e32 vcc, 0, v16
	s_and_saveexec_b64 s[10:11], vcc
	s_cbranch_execz .LBB755_628
; %bb.623:
	s_movk_i32 s20, 0x80
	v_cmp_ne_u16_e32 vcc, s20, v16
	v_mov_b32_e32 v21, 0xffff8000
	s_and_saveexec_b64 s[20:21], vcc
	s_cbranch_execz .LBB755_627
; %bb.624:
	s_movk_i32 s22, 0x7f
	v_and_b32_e32 v15, 0x7f, v16
	v_cmp_ne_u32_e32 vcc, s22, v15
	v_mov_b32_e32 v21, 0x7f80
	s_and_saveexec_b64 s[22:23], vcc
	s_cbranch_execz .LBB755_626
; %bb.625:
	v_and_b32_e32 v21, 7, v16
	v_ffbh_u32_e32 v24, v21
	v_min_u32_e32 v26, 32, v24
	v_subrev_u32_e32 v24, 28, v26
	v_lshlrev_b64 v[24:25], v24, v[16:17]
	v_lshrrev_b32_e32 v23, 3, v15
	v_sub_u32_e32 v16, 29, v26
	v_and_b32_e32 v24, 7, v24
	v_cmp_gt_u32_e32 vcc, 8, v15
	v_cndmask_b32_e32 v15, v23, v16, vcc
	v_cndmask_b32_e32 v16, v21, v24, vcc
	v_lshlrev_b32_e32 v14, 16, v14
	v_bfrev_b32_e32 v21, 60
	v_lshlrev_b32_e32 v16, 20, v16
	v_and_b32_e32 v14, 0x80000000, v14
	v_lshl_add_u32 v15, v15, 23, v21
	v_or3_b32 v14, v14, v15, v16
	v_lshrrev_b32_e32 v21, 16, v14
.LBB755_626:
	s_or_b64 exec, exec, s[22:23]
.LBB755_627:
	s_or_b64 exec, exec, s[20:21]
.LBB755_628:
	s_or_b64 exec, exec, s[10:11]
	s_movk_i32 s10, 0xff
	v_and_b32_sdwa v23, v11, s10 dst_sel:DWORD dst_unused:UNUSED_PAD src0_sel:WORD_1 src1_sel:DWORD
	v_lshrrev_b32_e32 v14, 16, v11
	v_cmp_ne_u16_e32 vcc, 0, v23
	v_mov_b32_e32 v15, 0
	v_mov_b32_e32 v16, 0
	s_and_saveexec_b64 s[10:11], vcc
	s_cbranch_execz .LBB755_634
; %bb.629:
	s_movk_i32 s20, 0x80
	v_cmp_ne_u16_e32 vcc, s20, v23
	v_mov_b32_e32 v16, 0xffff8000
	s_and_saveexec_b64 s[20:21], vcc
	s_cbranch_execz .LBB755_633
; %bb.630:
	v_bfe_u32 v23, v11, 16, 7
	s_movk_i32 s22, 0x7f
	v_cmp_ne_u32_e32 vcc, s22, v23
	v_mov_b32_e32 v16, 0x7f80
	s_and_saveexec_b64 s[22:23], vcc
	s_cbranch_execz .LBB755_632
; %bb.631:
	v_and_b32_e32 v16, 7, v14
	v_ffbh_u32_e32 v24, v16
	v_min_u32_e32 v27, 32, v24
	v_subrev_u32_e32 v24, 28, v27
	v_lshlrev_b64 v[24:25], v24, v[14:15]
	v_lshrrev_b32_e32 v26, 3, v23
	v_sub_u32_e32 v14, 29, v27
	v_and_b32_e32 v24, 7, v24
	v_cmp_gt_u32_e32 vcc, 8, v23
	v_mov_b32_e32 v23, 24
	v_cndmask_b32_e32 v14, v26, v14, vcc
	v_cndmask_b32_e32 v16, v16, v24, vcc
	v_lshlrev_b32_sdwa v23, v23, v11 dst_sel:DWORD dst_unused:UNUSED_PAD src0_sel:DWORD src1_sel:WORD_1
	v_bfrev_b32_e32 v24, 60
	v_lshlrev_b32_e32 v16, 20, v16
	v_and_b32_e32 v23, 0x80000000, v23
	v_lshl_add_u32 v14, v14, 23, v24
	v_or3_b32 v14, v23, v14, v16
	v_lshrrev_b32_e32 v16, 16, v14
.LBB755_632:
	s_or_b64 exec, exec, s[22:23]
.LBB755_633:
	s_or_b64 exec, exec, s[20:21]
.LBB755_634:
	s_or_b64 exec, exec, s[10:11]
	s_mov_b32 s10, -1
	s_mov_b32 s11, 0xffffff
	v_cmp_lt_u64_e32 vcc, s[10:11], v[10:11]
	s_and_saveexec_b64 s[10:11], vcc
	s_cbranch_execz .LBB755_640
; %bb.635:
	v_lshrrev_b32_e32 v10, 24, v11
	s_movk_i32 s20, 0x80
	v_cmp_ne_u32_e32 vcc, s20, v10
	v_mov_b32_e32 v15, 0xffff8000
	s_and_saveexec_b64 s[20:21], vcc
	s_cbranch_execz .LBB755_639
; %bb.636:
	v_bfe_u32 v11, v11, 24, 7
	s_movk_i32 s22, 0x7f
	v_cmp_ne_u32_e32 vcc, s22, v11
	v_mov_b32_e32 v15, 0x7f80
	s_and_saveexec_b64 s[22:23], vcc
	s_cbranch_execz .LBB755_638
; %bb.637:
	v_and_b32_e32 v23, 7, v10
	v_ffbh_u32_e32 v14, v23
	v_min_u32_e32 v25, 32, v14
	v_subrev_u32_e32 v14, 28, v25
	v_lshlrev_b64 v[14:15], v14, v[10:11]
	v_lshrrev_b32_e32 v24, 3, v11
	v_sub_u32_e32 v15, 29, v25
	v_and_b32_e32 v14, 7, v14
	v_cmp_gt_u32_e32 vcc, 8, v11
	v_cndmask_b32_e32 v11, v24, v15, vcc
	v_cndmask_b32_e32 v14, v23, v14, vcc
	v_lshlrev_b32_e32 v10, 24, v10
	v_bfrev_b32_e32 v15, 60
	v_lshlrev_b32_e32 v14, 20, v14
	v_and_b32_e32 v10, 0x80000000, v10
	v_lshl_add_u32 v11, v11, 23, v15
	v_or3_b32 v10, v10, v11, v14
	v_lshrrev_b32_e32 v15, 16, v10
.LBB755_638:
	s_or_b64 exec, exec, s[22:23]
.LBB755_639:
	s_or_b64 exec, exec, s[20:21]
.LBB755_640:
	s_or_b64 exec, exec, s[10:11]
	s_mov_b32 s10, 0x5040100
	v_perm_b32 v11, v20, v19, s10
	v_perm_b32 v10, v17, v18, s10
	;; [unrolled: 1-line block ×4, first 2 shown]
	v_mfma_f32_4x4x4bf16_1k a[0:3], v[2:3], v[10:11], a[0:3] cbsz:4 abid:12
	v_mov_b32_e32 v16, 0
	v_mfma_f32_4x4x4bf16_1k a[0:3], v[4:5], v[14:15], a[0:3] cbsz:4 abid:12
	v_mov_b32_e32 v15, 0
	v_cmp_ne_u16_sdwa s[20:21], v12, v15 src0_sel:BYTE_0 src1_sel:DWORD
	s_and_saveexec_b64 s[10:11], s[20:21]
	s_cbranch_execz .LBB755_646
; %bb.641:
	s_movk_i32 s20, 0x80
	v_cmp_ne_u16_sdwa s[22:23], v12, s20 src0_sel:BYTE_0 src1_sel:DWORD
	v_mov_b32_e32 v16, 0xffff8000
	s_and_saveexec_b64 s[20:21], s[22:23]
	s_cbranch_execz .LBB755_645
; %bb.642:
	s_movk_i32 s22, 0x7f
	v_and_b32_e32 v10, 0x7f, v12
	v_cmp_ne_u32_e32 vcc, s22, v10
	v_mov_b32_e32 v16, 0x7f80
	s_and_saveexec_b64 s[22:23], vcc
	s_cbranch_execz .LBB755_644
; %bb.643:
	v_and_b32_e32 v11, 7, v12
	v_ffbh_u32_e32 v11, v11
	v_min_u32_e32 v11, 32, v11
	v_subrev_u32_e32 v16, 28, v11
	v_cmp_gt_u32_e32 vcc, 8, v10
	v_lshrrev_b32_e32 v14, 3, v10
	v_sub_u32_e32 v11, 29, v11
	v_cndmask_b32_e32 v10, 0, v16, vcc
	v_cndmask_b32_e32 v14, v14, v11, vcc
	v_lshlrev_b64 v[10:11], v10, v[12:13]
	v_lshlrev_b32_e32 v10, 20, v10
	v_lshlrev_b32_e32 v11, 24, v12
	v_bfrev_b32_e32 v16, 60
	v_and_b32_e32 v10, 0x700000, v10
	v_and_b32_e32 v11, 0x80000000, v11
	v_lshl_add_u32 v14, v14, 23, v16
	v_or3_b32 v10, v11, v14, v10
	v_lshrrev_b32_e32 v16, 16, v10
.LBB755_644:
	s_or_b64 exec, exec, s[22:23]
.LBB755_645:
	s_or_b64 exec, exec, s[20:21]
.LBB755_646:
	s_or_b64 exec, exec, s[10:11]
	v_lshrrev_b16_e32 v10, 8, v12
	v_cmp_ne_u16_e32 vcc, 0, v10
	s_and_saveexec_b64 s[10:11], vcc
	s_cbranch_execz .LBB755_652
; %bb.647:
	s_movk_i32 s20, 0x80
	v_cmp_ne_u16_e32 vcc, s20, v10
	v_mov_b32_e32 v15, 0xffff8000
	s_and_saveexec_b64 s[20:21], vcc
	s_cbranch_execz .LBB755_651
; %bb.648:
	s_movk_i32 s22, 0x7f
	v_and_b32_e32 v11, 0x7f, v10
	v_cmp_ne_u32_e32 vcc, s22, v11
	v_mov_b32_e32 v15, 0x7f80
	s_and_saveexec_b64 s[22:23], vcc
	s_cbranch_execz .LBB755_650
; %bb.649:
	v_and_b32_e32 v17, 7, v10
	v_ffbh_u32_e32 v14, v17
	v_min_u32_e32 v19, 32, v14
	v_subrev_u32_e32 v14, 28, v19
	v_lshlrev_b64 v[14:15], v14, v[10:11]
	v_lshrrev_b32_e32 v18, 3, v11
	v_sub_u32_e32 v10, 29, v19
	v_and_b32_e32 v14, 7, v14
	v_cmp_gt_u32_e32 vcc, 8, v11
	v_cndmask_b32_e32 v10, v18, v10, vcc
	v_cndmask_b32_e32 v11, v17, v14, vcc
	v_lshlrev_b32_e32 v14, 16, v12
	v_bfrev_b32_e32 v15, 60
	v_lshlrev_b32_e32 v11, 20, v11
	v_and_b32_e32 v14, 0x80000000, v14
	v_lshl_add_u32 v10, v10, 23, v15
	v_or3_b32 v10, v14, v10, v11
	v_lshrrev_b32_e32 v15, 16, v10
.LBB755_650:
	s_or_b64 exec, exec, s[22:23]
.LBB755_651:
	s_or_b64 exec, exec, s[20:21]
.LBB755_652:
	s_or_b64 exec, exec, s[10:11]
	s_movk_i32 s10, 0xff
	v_and_b32_sdwa v14, v12, s10 dst_sel:DWORD dst_unused:UNUSED_PAD src0_sel:WORD_1 src1_sel:DWORD
	v_lshrrev_b32_e32 v10, 16, v12
	v_cmp_ne_u16_e32 vcc, 0, v14
	v_mov_b32_e32 v11, 0
	v_mov_b32_e32 v17, 0
	s_and_saveexec_b64 s[10:11], vcc
	s_cbranch_execz .LBB755_658
; %bb.653:
	s_movk_i32 s20, 0x80
	v_cmp_ne_u16_e32 vcc, s20, v14
	v_mov_b32_e32 v17, 0xffff8000
	s_and_saveexec_b64 s[20:21], vcc
	s_cbranch_execz .LBB755_657
; %bb.654:
	v_bfe_u32 v14, v12, 16, 7
	s_movk_i32 s22, 0x7f
	v_cmp_ne_u32_e32 vcc, s22, v14
	v_mov_b32_e32 v17, 0x7f80
	s_and_saveexec_b64 s[22:23], vcc
	s_cbranch_execz .LBB755_656
; %bb.655:
	v_and_b32_e32 v17, 7, v10
	v_ffbh_u32_e32 v18, v17
	v_min_u32_e32 v21, 32, v18
	v_subrev_u32_e32 v18, 28, v21
	v_lshlrev_b64 v[18:19], v18, v[10:11]
	v_and_b32_e32 v18, 7, v18
	v_cmp_gt_u32_e32 vcc, 8, v14
	v_lshrrev_b32_e32 v20, 3, v14
	v_sub_u32_e32 v10, 29, v21
	v_cndmask_b32_e32 v14, v17, v18, vcc
	v_mov_b32_e32 v17, 24
	v_cndmask_b32_e32 v10, v20, v10, vcc
	v_lshlrev_b32_sdwa v17, v17, v12 dst_sel:DWORD dst_unused:UNUSED_PAD src0_sel:DWORD src1_sel:WORD_1
	v_bfrev_b32_e32 v18, 60
	v_lshlrev_b32_e32 v14, 20, v14
	v_and_b32_e32 v17, 0x80000000, v17
	v_lshl_add_u32 v10, v10, 23, v18
	v_or3_b32 v10, v17, v10, v14
	v_lshrrev_b32_e32 v17, 16, v10
.LBB755_656:
	s_or_b64 exec, exec, s[22:23]
.LBB755_657:
	s_or_b64 exec, exec, s[20:21]
.LBB755_658:
	s_or_b64 exec, exec, s[10:11]
	s_mov_b32 s10, 0xffffff
	v_cmp_lt_u32_e32 vcc, s10, v12
	v_mov_b32_e32 v18, 0
	s_and_saveexec_b64 s[10:11], vcc
	s_cbranch_execz .LBB755_664
; %bb.659:
	v_lshrrev_b32_e32 v10, 24, v12
	s_movk_i32 s20, 0x80
	v_cmp_ne_u32_e32 vcc, s20, v10
	v_mov_b32_e32 v18, 0xffff8000
	s_and_saveexec_b64 s[20:21], vcc
	s_cbranch_execz .LBB755_663
; %bb.660:
	v_bfe_u32 v14, v12, 24, 7
	s_movk_i32 s22, 0x7f
	v_cmp_ne_u32_e32 vcc, s22, v14
	v_mov_b32_e32 v18, 0x7f80
	s_and_saveexec_b64 s[22:23], vcc
	s_cbranch_execz .LBB755_662
; %bb.661:
	v_and_b32_e32 v20, 7, v10
	v_ffbh_u32_e32 v18, v20
	v_min_u32_e32 v22, 32, v18
	v_subrev_u32_e32 v18, 28, v22
	v_lshlrev_b64 v[18:19], v18, v[10:11]
	v_lshrrev_b32_e32 v21, 3, v14
	v_sub_u32_e32 v19, 29, v22
	v_and_b32_e32 v18, 7, v18
	v_cmp_gt_u32_e32 vcc, 8, v14
	v_cndmask_b32_e32 v14, v21, v19, vcc
	v_cndmask_b32_e32 v18, v20, v18, vcc
	v_lshlrev_b32_e32 v10, 24, v10
	v_bfrev_b32_e32 v19, 60
	v_lshlrev_b32_e32 v18, 20, v18
	v_and_b32_e32 v10, 0x80000000, v10
	v_lshl_add_u32 v14, v14, 23, v19
	v_or3_b32 v10, v10, v14, v18
	v_lshrrev_b32_e32 v18, 16, v10
.LBB755_662:
	s_or_b64 exec, exec, s[22:23]
.LBB755_663:
	s_or_b64 exec, exec, s[20:21]
.LBB755_664:
	s_or_b64 exec, exec, s[10:11]
	v_mov_b32_e32 v19, 0
	v_mov_b32_e32 v10, v13
	v_cmp_ne_u16_sdwa s[20:21], v13, v19 src0_sel:BYTE_0 src1_sel:DWORD
	v_mov_b32_e32 v20, 0
	s_and_saveexec_b64 s[10:11], s[20:21]
	s_cbranch_execz .LBB755_670
; %bb.665:
	s_movk_i32 s20, 0x80
	v_cmp_ne_u16_sdwa s[22:23], v13, s20 src0_sel:BYTE_0 src1_sel:DWORD
	v_mov_b32_e32 v20, 0xffff8000
	s_and_saveexec_b64 s[20:21], s[22:23]
	s_cbranch_execz .LBB755_669
; %bb.666:
	s_movk_i32 s22, 0x7f
	v_and_b32_e32 v14, 0x7f, v13
	v_cmp_ne_u32_e32 vcc, s22, v14
	v_mov_b32_e32 v20, 0x7f80
	s_and_saveexec_b64 s[22:23], vcc
	s_cbranch_execz .LBB755_668
; %bb.667:
	v_and_b32_e32 v20, 7, v13
	v_ffbh_u32_e32 v20, v20
	v_min_u32_e32 v20, 32, v20
	v_lshrrev_b32_e32 v21, 3, v14
	v_subrev_u32_e32 v22, 28, v20
	v_sub_u32_e32 v20, 29, v20
	v_cmp_gt_u32_e32 vcc, 8, v14
	v_cndmask_b32_e32 v14, v21, v20, vcc
	v_cndmask_b32_e32 v20, 0, v22, vcc
	v_lshlrev_b64 v[20:21], v20, v[10:11]
	v_lshlrev_b32_e32 v11, 20, v20
	v_lshlrev_b32_e32 v20, 24, v10
	v_bfrev_b32_e32 v21, 60
	v_and_b32_e32 v11, 0x700000, v11
	v_and_b32_e32 v20, 0x80000000, v20
	v_lshl_add_u32 v14, v14, 23, v21
	v_or3_b32 v11, v20, v14, v11
	v_lshrrev_b32_e32 v20, 16, v11
.LBB755_668:
	s_or_b64 exec, exec, s[22:23]
.LBB755_669:
	s_or_b64 exec, exec, s[20:21]
.LBB755_670:
	s_or_b64 exec, exec, s[10:11]
	v_lshrrev_b16_e32 v14, 8, v10
	v_cmp_ne_u16_e32 vcc, 0, v14
	s_and_saveexec_b64 s[10:11], vcc
	s_cbranch_execz .LBB755_676
; %bb.671:
	s_movk_i32 s20, 0x80
	v_cmp_ne_u16_e32 vcc, s20, v14
	v_mov_b32_e32 v19, 0xffff8000
	s_and_saveexec_b64 s[20:21], vcc
	s_cbranch_execz .LBB755_675
; %bb.672:
	s_movk_i32 s22, 0x7f
	v_and_b32_e32 v11, 0x7f, v14
	v_cmp_ne_u32_e32 vcc, s22, v11
	v_mov_b32_e32 v19, 0x7f80
	s_and_saveexec_b64 s[22:23], vcc
	s_cbranch_execz .LBB755_674
; %bb.673:
	v_and_b32_e32 v19, 7, v14
	v_ffbh_u32_e32 v22, v19
	v_min_u32_e32 v24, 32, v22
	v_subrev_u32_e32 v22, 28, v24
	v_lshlrev_b64 v[22:23], v22, v[14:15]
	v_lshrrev_b32_e32 v21, 3, v11
	v_sub_u32_e32 v14, 29, v24
	v_and_b32_e32 v22, 7, v22
	v_cmp_gt_u32_e32 vcc, 8, v11
	v_cndmask_b32_e32 v11, v21, v14, vcc
	v_cndmask_b32_e32 v14, v19, v22, vcc
	v_lshlrev_b32_e32 v10, 16, v10
	v_bfrev_b32_e32 v19, 60
	v_lshlrev_b32_e32 v14, 20, v14
	v_and_b32_e32 v10, 0x80000000, v10
	v_lshl_add_u32 v11, v11, 23, v19
	v_or3_b32 v10, v10, v11, v14
	v_lshrrev_b32_e32 v19, 16, v10
.LBB755_674:
	s_or_b64 exec, exec, s[22:23]
.LBB755_675:
	s_or_b64 exec, exec, s[20:21]
.LBB755_676:
	s_or_b64 exec, exec, s[10:11]
	s_movk_i32 s10, 0xff
	v_and_b32_sdwa v21, v13, s10 dst_sel:DWORD dst_unused:UNUSED_PAD src0_sel:WORD_1 src1_sel:DWORD
	v_lshrrev_b32_e32 v10, 16, v13
	v_cmp_ne_u16_e32 vcc, 0, v21
	v_mov_b32_e32 v11, 0
	v_mov_b32_e32 v14, 0
	s_and_saveexec_b64 s[10:11], vcc
	s_cbranch_execz .LBB755_682
; %bb.677:
	s_movk_i32 s20, 0x80
	v_cmp_ne_u16_e32 vcc, s20, v21
	v_mov_b32_e32 v14, 0xffff8000
	s_and_saveexec_b64 s[20:21], vcc
	s_cbranch_execz .LBB755_681
; %bb.678:
	v_bfe_u32 v21, v13, 16, 7
	s_movk_i32 s22, 0x7f
	v_cmp_ne_u32_e32 vcc, s22, v21
	v_mov_b32_e32 v14, 0x7f80
	s_and_saveexec_b64 s[22:23], vcc
	s_cbranch_execz .LBB755_680
; %bb.679:
	v_and_b32_e32 v14, 7, v10
	v_ffbh_u32_e32 v22, v14
	v_min_u32_e32 v25, 32, v22
	v_subrev_u32_e32 v22, 28, v25
	v_lshlrev_b64 v[22:23], v22, v[10:11]
	v_lshrrev_b32_e32 v24, 3, v21
	v_sub_u32_e32 v10, 29, v25
	v_and_b32_e32 v22, 7, v22
	v_cmp_gt_u32_e32 vcc, 8, v21
	v_mov_b32_e32 v21, 24
	v_cndmask_b32_e32 v10, v24, v10, vcc
	v_cndmask_b32_e32 v14, v14, v22, vcc
	v_lshlrev_b32_sdwa v21, v21, v13 dst_sel:DWORD dst_unused:UNUSED_PAD src0_sel:DWORD src1_sel:WORD_1
	v_bfrev_b32_e32 v22, 60
	v_lshlrev_b32_e32 v14, 20, v14
	v_and_b32_e32 v21, 0x80000000, v21
	v_lshl_add_u32 v10, v10, 23, v22
	v_or3_b32 v10, v21, v10, v14
	v_lshrrev_b32_e32 v14, 16, v10
.LBB755_680:
	s_or_b64 exec, exec, s[22:23]
.LBB755_681:
	s_or_b64 exec, exec, s[20:21]
.LBB755_682:
	s_or_b64 exec, exec, s[10:11]
	s_mov_b32 s10, -1
	s_mov_b32 s11, 0xffffff
	v_cmp_lt_u64_e32 vcc, s[10:11], v[12:13]
	s_and_saveexec_b64 s[10:11], vcc
	s_cbranch_execz .LBB755_688
; %bb.683:
	v_lshrrev_b32_e32 v10, 24, v13
	s_movk_i32 s20, 0x80
	v_cmp_ne_u32_e32 vcc, s20, v10
	v_mov_b32_e32 v11, 0xffff8000
	s_and_saveexec_b64 s[20:21], vcc
	s_cbranch_execz .LBB755_687
; %bb.684:
	v_bfe_u32 v12, v13, 24, 7
	s_movk_i32 s22, 0x7f
	v_cmp_ne_u32_e32 vcc, s22, v12
	v_mov_b32_e32 v11, 0x7f80
	s_and_saveexec_b64 s[22:23], vcc
	s_cbranch_execz .LBB755_686
; %bb.685:
	v_and_b32_e32 v11, 7, v10
	v_ffbh_u32_e32 v21, v11
	v_min_u32_e32 v21, 32, v21
	v_subrev_u32_e32 v22, 28, v21
	v_lshlrev_b64 v[22:23], v22, v[10:11]
	v_lshrrev_b32_e32 v13, 3, v12
	v_sub_u32_e32 v21, 29, v21
	v_and_b32_e32 v22, 7, v22
	v_cmp_gt_u32_e32 vcc, 8, v12
	v_cndmask_b32_e32 v12, v13, v21, vcc
	v_cndmask_b32_e32 v11, v11, v22, vcc
	v_lshlrev_b32_e32 v10, 24, v10
	v_bfrev_b32_e32 v13, 60
	v_lshlrev_b32_e32 v11, 20, v11
	v_and_b32_e32 v10, 0x80000000, v10
	v_lshl_add_u32 v12, v12, 23, v13
	v_or3_b32 v10, v10, v12, v11
	v_lshrrev_b32_e32 v11, 16, v10
.LBB755_686:
	s_or_b64 exec, exec, s[22:23]
.LBB755_687:
	s_or_b64 exec, exec, s[20:21]
.LBB755_688:
	s_or_b64 exec, exec, s[10:11]
	s_mov_b32 s10, 0x5040100
	v_perm_b32 v13, v18, v17, s10
	v_perm_b32 v12, v15, v16, s10
	;; [unrolled: 1-line block ×4, first 2 shown]
	v_mfma_f32_4x4x4bf16_1k a[0:3], v[2:3], v[12:13], a[0:3] cbsz:4 abid:13
	v_mov_b32_e32 v13, 0
	v_mfma_f32_4x4x4bf16_1k a[0:3], v[4:5], v[10:11], a[0:3] cbsz:4 abid:13
	v_cmp_ne_u16_sdwa s[20:21], v6, v13 src0_sel:BYTE_0 src1_sel:DWORD
	v_mov_b32_e32 v14, 0
	s_and_saveexec_b64 s[10:11], s[20:21]
	s_cbranch_execz .LBB755_694
; %bb.689:
	s_movk_i32 s20, 0x80
	v_cmp_ne_u16_sdwa s[22:23], v6, s20 src0_sel:BYTE_0 src1_sel:DWORD
	v_mov_b32_e32 v14, 0xffff8000
	s_and_saveexec_b64 s[20:21], s[22:23]
	s_cbranch_execz .LBB755_693
; %bb.690:
	s_movk_i32 s22, 0x7f
	v_and_b32_e32 v10, 0x7f, v6
	v_cmp_ne_u32_e32 vcc, s22, v10
	v_mov_b32_e32 v14, 0x7f80
	s_and_saveexec_b64 s[22:23], vcc
	s_cbranch_execz .LBB755_692
; %bb.691:
	v_and_b32_e32 v11, 7, v6
	v_ffbh_u32_e32 v11, v11
	v_min_u32_e32 v11, 32, v11
	v_subrev_u32_e32 v14, 28, v11
	v_cmp_gt_u32_e32 vcc, 8, v10
	v_lshrrev_b32_e32 v12, 3, v10
	v_sub_u32_e32 v11, 29, v11
	v_cndmask_b32_e32 v10, 0, v14, vcc
	v_cndmask_b32_e32 v12, v12, v11, vcc
	v_lshlrev_b64 v[10:11], v10, v[6:7]
	v_lshlrev_b32_e32 v10, 20, v10
	v_lshlrev_b32_e32 v11, 24, v6
	v_bfrev_b32_e32 v14, 60
	v_and_b32_e32 v10, 0x700000, v10
	v_and_b32_e32 v11, 0x80000000, v11
	v_lshl_add_u32 v12, v12, 23, v14
	v_or3_b32 v10, v11, v12, v10
	v_lshrrev_b32_e32 v14, 16, v10
.LBB755_692:
	s_or_b64 exec, exec, s[22:23]
.LBB755_693:
	s_or_b64 exec, exec, s[20:21]
.LBB755_694:
	s_or_b64 exec, exec, s[10:11]
	v_lshrrev_b16_e32 v10, 8, v6
	v_cmp_ne_u16_e32 vcc, 0, v10
	s_and_saveexec_b64 s[10:11], vcc
	s_cbranch_execz .LBB755_700
; %bb.695:
	s_movk_i32 s20, 0x80
	v_cmp_ne_u16_e32 vcc, s20, v10
	v_mov_b32_e32 v13, 0xffff8000
	s_and_saveexec_b64 s[20:21], vcc
	s_cbranch_execz .LBB755_699
; %bb.696:
	s_movk_i32 s22, 0x7f
	v_and_b32_e32 v11, 0x7f, v10
	v_cmp_ne_u32_e32 vcc, s22, v11
	v_mov_b32_e32 v13, 0x7f80
	s_and_saveexec_b64 s[22:23], vcc
	s_cbranch_execz .LBB755_698
; %bb.697:
	v_and_b32_e32 v15, 7, v10
	v_ffbh_u32_e32 v12, v15
	v_min_u32_e32 v17, 32, v12
	v_subrev_u32_e32 v12, 28, v17
	v_lshlrev_b64 v[12:13], v12, v[10:11]
	v_lshrrev_b32_e32 v16, 3, v11
	v_sub_u32_e32 v10, 29, v17
	v_and_b32_e32 v12, 7, v12
	v_cmp_gt_u32_e32 vcc, 8, v11
	v_cndmask_b32_e32 v10, v16, v10, vcc
	v_cndmask_b32_e32 v11, v15, v12, vcc
	v_lshlrev_b32_e32 v12, 16, v6
	v_bfrev_b32_e32 v13, 60
	v_lshlrev_b32_e32 v11, 20, v11
	v_and_b32_e32 v12, 0x80000000, v12
	v_lshl_add_u32 v10, v10, 23, v13
	v_or3_b32 v10, v12, v10, v11
	v_lshrrev_b32_e32 v13, 16, v10
.LBB755_698:
	s_or_b64 exec, exec, s[22:23]
.LBB755_699:
	s_or_b64 exec, exec, s[20:21]
.LBB755_700:
	s_or_b64 exec, exec, s[10:11]
	s_movk_i32 s10, 0xff
	v_and_b32_sdwa v12, v6, s10 dst_sel:DWORD dst_unused:UNUSED_PAD src0_sel:WORD_1 src1_sel:DWORD
	v_lshrrev_b32_e32 v10, 16, v6
	v_cmp_ne_u16_e32 vcc, 0, v12
	v_mov_b32_e32 v11, 0
	v_mov_b32_e32 v15, 0
	s_and_saveexec_b64 s[10:11], vcc
	s_cbranch_execz .LBB755_706
; %bb.701:
	s_movk_i32 s20, 0x80
	v_cmp_ne_u16_e32 vcc, s20, v12
	v_mov_b32_e32 v15, 0xffff8000
	s_and_saveexec_b64 s[20:21], vcc
	s_cbranch_execz .LBB755_705
; %bb.702:
	v_bfe_u32 v12, v6, 16, 7
	s_movk_i32 s22, 0x7f
	v_cmp_ne_u32_e32 vcc, s22, v12
	v_mov_b32_e32 v15, 0x7f80
	s_and_saveexec_b64 s[22:23], vcc
	s_cbranch_execz .LBB755_704
; %bb.703:
	v_and_b32_e32 v15, 7, v10
	v_ffbh_u32_e32 v16, v15
	v_min_u32_e32 v19, 32, v16
	v_subrev_u32_e32 v16, 28, v19
	v_lshlrev_b64 v[16:17], v16, v[10:11]
	v_and_b32_e32 v16, 7, v16
	v_cmp_gt_u32_e32 vcc, 8, v12
	v_lshrrev_b32_e32 v18, 3, v12
	v_sub_u32_e32 v10, 29, v19
	v_cndmask_b32_e32 v12, v15, v16, vcc
	v_mov_b32_e32 v15, 24
	v_cndmask_b32_e32 v10, v18, v10, vcc
	v_lshlrev_b32_sdwa v15, v15, v6 dst_sel:DWORD dst_unused:UNUSED_PAD src0_sel:DWORD src1_sel:WORD_1
	v_bfrev_b32_e32 v16, 60
	v_lshlrev_b32_e32 v12, 20, v12
	v_and_b32_e32 v15, 0x80000000, v15
	v_lshl_add_u32 v10, v10, 23, v16
	v_or3_b32 v10, v15, v10, v12
	v_lshrrev_b32_e32 v15, 16, v10
.LBB755_704:
	s_or_b64 exec, exec, s[22:23]
.LBB755_705:
	s_or_b64 exec, exec, s[20:21]
.LBB755_706:
	s_or_b64 exec, exec, s[10:11]
	s_mov_b32 s10, 0xffffff
	v_cmp_lt_u32_e32 vcc, s10, v6
	v_mov_b32_e32 v16, 0
	s_and_saveexec_b64 s[10:11], vcc
	s_cbranch_execz .LBB755_712
; %bb.707:
	v_lshrrev_b32_e32 v10, 24, v6
	s_movk_i32 s20, 0x80
	v_cmp_ne_u32_e32 vcc, s20, v10
	v_mov_b32_e32 v16, 0xffff8000
	s_and_saveexec_b64 s[20:21], vcc
	s_cbranch_execz .LBB755_711
; %bb.708:
	v_bfe_u32 v12, v6, 24, 7
	s_movk_i32 s22, 0x7f
	v_cmp_ne_u32_e32 vcc, s22, v12
	v_mov_b32_e32 v16, 0x7f80
	s_and_saveexec_b64 s[22:23], vcc
	s_cbranch_execz .LBB755_710
; %bb.709:
	v_and_b32_e32 v18, 7, v10
	v_ffbh_u32_e32 v16, v18
	v_min_u32_e32 v20, 32, v16
	v_subrev_u32_e32 v16, 28, v20
	v_lshlrev_b64 v[16:17], v16, v[10:11]
	v_lshrrev_b32_e32 v19, 3, v12
	v_sub_u32_e32 v17, 29, v20
	v_and_b32_e32 v16, 7, v16
	v_cmp_gt_u32_e32 vcc, 8, v12
	v_cndmask_b32_e32 v12, v19, v17, vcc
	v_cndmask_b32_e32 v16, v18, v16, vcc
	v_lshlrev_b32_e32 v10, 24, v10
	v_bfrev_b32_e32 v17, 60
	v_lshlrev_b32_e32 v16, 20, v16
	v_and_b32_e32 v10, 0x80000000, v10
	v_lshl_add_u32 v12, v12, 23, v17
	v_or3_b32 v10, v10, v12, v16
	v_lshrrev_b32_e32 v16, 16, v10
.LBB755_710:
	s_or_b64 exec, exec, s[22:23]
.LBB755_711:
	s_or_b64 exec, exec, s[20:21]
.LBB755_712:
	s_or_b64 exec, exec, s[10:11]
	v_mov_b32_e32 v17, 0
	v_mov_b32_e32 v10, v7
	v_cmp_ne_u16_sdwa s[20:21], v7, v17 src0_sel:BYTE_0 src1_sel:DWORD
	v_mov_b32_e32 v18, 0
	s_and_saveexec_b64 s[10:11], s[20:21]
	s_cbranch_execz .LBB755_718
; %bb.713:
	s_movk_i32 s20, 0x80
	v_cmp_ne_u16_sdwa s[22:23], v7, s20 src0_sel:BYTE_0 src1_sel:DWORD
	v_mov_b32_e32 v18, 0xffff8000
	s_and_saveexec_b64 s[20:21], s[22:23]
	s_cbranch_execz .LBB755_717
; %bb.714:
	s_movk_i32 s22, 0x7f
	v_and_b32_e32 v12, 0x7f, v7
	v_cmp_ne_u32_e32 vcc, s22, v12
	v_mov_b32_e32 v18, 0x7f80
	s_and_saveexec_b64 s[22:23], vcc
	s_cbranch_execz .LBB755_716
; %bb.715:
	v_and_b32_e32 v18, 7, v7
	v_ffbh_u32_e32 v18, v18
	v_min_u32_e32 v18, 32, v18
	v_lshrrev_b32_e32 v19, 3, v12
	v_subrev_u32_e32 v20, 28, v18
	v_sub_u32_e32 v18, 29, v18
	v_cmp_gt_u32_e32 vcc, 8, v12
	v_cndmask_b32_e32 v12, v19, v18, vcc
	v_cndmask_b32_e32 v18, 0, v20, vcc
	v_lshlrev_b64 v[18:19], v18, v[10:11]
	v_lshlrev_b32_e32 v11, 20, v18
	v_lshlrev_b32_e32 v18, 24, v10
	v_bfrev_b32_e32 v19, 60
	v_and_b32_e32 v11, 0x700000, v11
	v_and_b32_e32 v18, 0x80000000, v18
	v_lshl_add_u32 v12, v12, 23, v19
	v_or3_b32 v11, v18, v12, v11
	v_lshrrev_b32_e32 v18, 16, v11
.LBB755_716:
	s_or_b64 exec, exec, s[22:23]
.LBB755_717:
	s_or_b64 exec, exec, s[20:21]
.LBB755_718:
	s_or_b64 exec, exec, s[10:11]
	v_lshrrev_b16_e32 v12, 8, v10
	v_cmp_ne_u16_e32 vcc, 0, v12
	s_and_saveexec_b64 s[10:11], vcc
	s_cbranch_execz .LBB755_724
; %bb.719:
	s_movk_i32 s20, 0x80
	v_cmp_ne_u16_e32 vcc, s20, v12
	v_mov_b32_e32 v17, 0xffff8000
	s_and_saveexec_b64 s[20:21], vcc
	s_cbranch_execz .LBB755_723
; %bb.720:
	s_movk_i32 s22, 0x7f
	v_and_b32_e32 v11, 0x7f, v12
	v_cmp_ne_u32_e32 vcc, s22, v11
	v_mov_b32_e32 v17, 0x7f80
	s_and_saveexec_b64 s[22:23], vcc
	s_cbranch_execz .LBB755_722
; %bb.721:
	v_and_b32_e32 v17, 7, v12
	v_ffbh_u32_e32 v20, v17
	v_min_u32_e32 v22, 32, v20
	v_subrev_u32_e32 v20, 28, v22
	v_lshlrev_b64 v[20:21], v20, v[12:13]
	v_lshrrev_b32_e32 v19, 3, v11
	v_sub_u32_e32 v12, 29, v22
	v_and_b32_e32 v20, 7, v20
	v_cmp_gt_u32_e32 vcc, 8, v11
	v_cndmask_b32_e32 v11, v19, v12, vcc
	v_cndmask_b32_e32 v12, v17, v20, vcc
	v_lshlrev_b32_e32 v10, 16, v10
	v_bfrev_b32_e32 v17, 60
	v_lshlrev_b32_e32 v12, 20, v12
	v_and_b32_e32 v10, 0x80000000, v10
	v_lshl_add_u32 v11, v11, 23, v17
	v_or3_b32 v10, v10, v11, v12
	v_lshrrev_b32_e32 v17, 16, v10
.LBB755_722:
	s_or_b64 exec, exec, s[22:23]
.LBB755_723:
	s_or_b64 exec, exec, s[20:21]
.LBB755_724:
	s_or_b64 exec, exec, s[10:11]
	s_movk_i32 s10, 0xff
	v_and_b32_sdwa v19, v7, s10 dst_sel:DWORD dst_unused:UNUSED_PAD src0_sel:WORD_1 src1_sel:DWORD
	v_lshrrev_b32_e32 v10, 16, v7
	v_cmp_ne_u16_e32 vcc, 0, v19
	v_mov_b32_e32 v11, 0
	v_mov_b32_e32 v12, 0
	s_and_saveexec_b64 s[10:11], vcc
	s_cbranch_execz .LBB755_730
; %bb.725:
	s_movk_i32 s20, 0x80
	v_cmp_ne_u16_e32 vcc, s20, v19
	v_mov_b32_e32 v12, 0xffff8000
	s_and_saveexec_b64 s[20:21], vcc
	s_cbranch_execz .LBB755_729
; %bb.726:
	v_bfe_u32 v19, v7, 16, 7
	s_movk_i32 s22, 0x7f
	v_cmp_ne_u32_e32 vcc, s22, v19
	v_mov_b32_e32 v12, 0x7f80
	s_and_saveexec_b64 s[22:23], vcc
	s_cbranch_execz .LBB755_728
; %bb.727:
	v_and_b32_e32 v12, 7, v10
	v_ffbh_u32_e32 v20, v12
	v_min_u32_e32 v23, 32, v20
	v_subrev_u32_e32 v20, 28, v23
	v_lshlrev_b64 v[20:21], v20, v[10:11]
	v_lshrrev_b32_e32 v22, 3, v19
	v_sub_u32_e32 v10, 29, v23
	v_and_b32_e32 v20, 7, v20
	v_cmp_gt_u32_e32 vcc, 8, v19
	v_mov_b32_e32 v19, 24
	v_cndmask_b32_e32 v10, v22, v10, vcc
	v_cndmask_b32_e32 v12, v12, v20, vcc
	v_lshlrev_b32_sdwa v19, v19, v7 dst_sel:DWORD dst_unused:UNUSED_PAD src0_sel:DWORD src1_sel:WORD_1
	v_bfrev_b32_e32 v20, 60
	v_lshlrev_b32_e32 v12, 20, v12
	v_and_b32_e32 v19, 0x80000000, v19
	v_lshl_add_u32 v10, v10, 23, v20
	v_or3_b32 v10, v19, v10, v12
	v_lshrrev_b32_e32 v12, 16, v10
.LBB755_728:
	s_or_b64 exec, exec, s[22:23]
.LBB755_729:
	s_or_b64 exec, exec, s[20:21]
.LBB755_730:
	s_or_b64 exec, exec, s[10:11]
	s_mov_b32 s10, -1
	s_mov_b32 s11, 0xffffff
	v_cmp_lt_u64_e32 vcc, s[10:11], v[6:7]
	s_and_saveexec_b64 s[10:11], vcc
	s_cbranch_execz .LBB755_736
; %bb.731:
	v_lshrrev_b32_e32 v6, 24, v7
	s_movk_i32 s20, 0x80
	v_cmp_ne_u32_e32 vcc, s20, v6
	v_mov_b32_e32 v11, 0xffff8000
	s_and_saveexec_b64 s[20:21], vcc
	s_cbranch_execz .LBB755_735
; %bb.732:
	v_bfe_u32 v7, v7, 24, 7
	s_movk_i32 s22, 0x7f
	v_cmp_ne_u32_e32 vcc, s22, v7
	v_mov_b32_e32 v11, 0x7f80
	s_and_saveexec_b64 s[22:23], vcc
	s_cbranch_execz .LBB755_734
; %bb.733:
	v_and_b32_e32 v19, 7, v6
	v_ffbh_u32_e32 v10, v19
	v_min_u32_e32 v21, 32, v10
	v_subrev_u32_e32 v10, 28, v21
	v_lshlrev_b64 v[10:11], v10, v[6:7]
	v_lshrrev_b32_e32 v20, 3, v7
	v_sub_u32_e32 v11, 29, v21
	v_and_b32_e32 v10, 7, v10
	v_cmp_gt_u32_e32 vcc, 8, v7
	v_cndmask_b32_e32 v7, v20, v11, vcc
	v_cndmask_b32_e32 v10, v19, v10, vcc
	v_lshlrev_b32_e32 v6, 24, v6
	v_bfrev_b32_e32 v11, 60
	v_lshlrev_b32_e32 v10, 20, v10
	v_and_b32_e32 v6, 0x80000000, v6
	v_lshl_add_u32 v7, v7, 23, v11
	v_or3_b32 v6, v6, v7, v10
	v_lshrrev_b32_e32 v11, 16, v6
.LBB755_734:
	s_or_b64 exec, exec, s[22:23]
.LBB755_735:
	s_or_b64 exec, exec, s[20:21]
.LBB755_736:
	s_or_b64 exec, exec, s[10:11]
	s_mov_b32 s10, 0x5040100
	v_perm_b32 v7, v16, v15, s10
	v_perm_b32 v6, v13, v14, s10
	;; [unrolled: 1-line block ×4, first 2 shown]
	v_mfma_f32_4x4x4bf16_1k a[0:3], v[2:3], v[6:7], a[0:3] cbsz:4 abid:14
	v_mov_b32_e32 v12, 0
	v_mfma_f32_4x4x4bf16_1k a[0:3], v[4:5], v[10:11], a[0:3] cbsz:4 abid:14
	v_mov_b32_e32 v11, 0
	v_cmp_ne_u16_sdwa s[20:21], v8, v11 src0_sel:BYTE_0 src1_sel:DWORD
	s_and_saveexec_b64 s[10:11], s[20:21]
	s_cbranch_execz .LBB755_742
; %bb.737:
	s_movk_i32 s20, 0x80
	v_cmp_ne_u16_sdwa s[22:23], v8, s20 src0_sel:BYTE_0 src1_sel:DWORD
	v_mov_b32_e32 v12, 0xffff8000
	s_and_saveexec_b64 s[20:21], s[22:23]
	s_cbranch_execz .LBB755_741
; %bb.738:
	s_movk_i32 s22, 0x7f
	v_and_b32_e32 v6, 0x7f, v8
	v_cmp_ne_u32_e32 vcc, s22, v6
	v_mov_b32_e32 v12, 0x7f80
	s_and_saveexec_b64 s[22:23], vcc
	s_cbranch_execz .LBB755_740
; %bb.739:
	v_and_b32_e32 v7, 7, v8
	v_ffbh_u32_e32 v7, v7
	v_min_u32_e32 v7, 32, v7
	v_subrev_u32_e32 v12, 28, v7
	v_cmp_gt_u32_e32 vcc, 8, v6
	v_lshrrev_b32_e32 v10, 3, v6
	v_sub_u32_e32 v7, 29, v7
	v_cndmask_b32_e32 v6, 0, v12, vcc
	v_cndmask_b32_e32 v10, v10, v7, vcc
	v_lshlrev_b64 v[6:7], v6, v[8:9]
	v_lshlrev_b32_e32 v6, 20, v6
	v_lshlrev_b32_e32 v7, 24, v8
	v_bfrev_b32_e32 v12, 60
	v_and_b32_e32 v6, 0x700000, v6
	v_and_b32_e32 v7, 0x80000000, v7
	v_lshl_add_u32 v10, v10, 23, v12
	v_or3_b32 v6, v7, v10, v6
	v_lshrrev_b32_e32 v12, 16, v6
.LBB755_740:
	s_or_b64 exec, exec, s[22:23]
.LBB755_741:
	s_or_b64 exec, exec, s[20:21]
.LBB755_742:
	s_or_b64 exec, exec, s[10:11]
	v_lshrrev_b16_e32 v6, 8, v8
	v_cmp_ne_u16_e32 vcc, 0, v6
	s_and_saveexec_b64 s[10:11], vcc
	s_cbranch_execz .LBB755_748
; %bb.743:
	s_movk_i32 s20, 0x80
	v_cmp_ne_u16_e32 vcc, s20, v6
	v_mov_b32_e32 v11, 0xffff8000
	s_and_saveexec_b64 s[20:21], vcc
	s_cbranch_execz .LBB755_747
; %bb.744:
	s_movk_i32 s22, 0x7f
	v_and_b32_e32 v7, 0x7f, v6
	v_cmp_ne_u32_e32 vcc, s22, v7
	v_mov_b32_e32 v11, 0x7f80
	s_and_saveexec_b64 s[22:23], vcc
	s_cbranch_execz .LBB755_746
; %bb.745:
	v_and_b32_e32 v13, 7, v6
	v_ffbh_u32_e32 v10, v13
	v_min_u32_e32 v15, 32, v10
	v_subrev_u32_e32 v10, 28, v15
	v_lshlrev_b64 v[10:11], v10, v[6:7]
	v_lshrrev_b32_e32 v14, 3, v7
	v_sub_u32_e32 v6, 29, v15
	v_and_b32_e32 v10, 7, v10
	v_cmp_gt_u32_e32 vcc, 8, v7
	v_cndmask_b32_e32 v6, v14, v6, vcc
	v_cndmask_b32_e32 v7, v13, v10, vcc
	v_lshlrev_b32_e32 v10, 16, v8
	v_bfrev_b32_e32 v11, 60
	v_lshlrev_b32_e32 v7, 20, v7
	v_and_b32_e32 v10, 0x80000000, v10
	v_lshl_add_u32 v6, v6, 23, v11
	v_or3_b32 v6, v10, v6, v7
	v_lshrrev_b32_e32 v11, 16, v6
.LBB755_746:
	s_or_b64 exec, exec, s[22:23]
.LBB755_747:
	s_or_b64 exec, exec, s[20:21]
.LBB755_748:
	s_or_b64 exec, exec, s[10:11]
	s_movk_i32 s10, 0xff
	v_and_b32_sdwa v10, v8, s10 dst_sel:DWORD dst_unused:UNUSED_PAD src0_sel:WORD_1 src1_sel:DWORD
	v_lshrrev_b32_e32 v6, 16, v8
	v_cmp_ne_u16_e32 vcc, 0, v10
	v_mov_b32_e32 v7, 0
	v_mov_b32_e32 v13, 0
	s_and_saveexec_b64 s[10:11], vcc
	s_cbranch_execz .LBB755_754
; %bb.749:
	s_movk_i32 s20, 0x80
	v_cmp_ne_u16_e32 vcc, s20, v10
	v_mov_b32_e32 v13, 0xffff8000
	s_and_saveexec_b64 s[20:21], vcc
	s_cbranch_execz .LBB755_753
; %bb.750:
	v_bfe_u32 v10, v8, 16, 7
	s_movk_i32 s22, 0x7f
	v_cmp_ne_u32_e32 vcc, s22, v10
	v_mov_b32_e32 v13, 0x7f80
	s_and_saveexec_b64 s[22:23], vcc
	s_cbranch_execz .LBB755_752
; %bb.751:
	v_and_b32_e32 v13, 7, v6
	v_ffbh_u32_e32 v14, v13
	v_min_u32_e32 v17, 32, v14
	v_subrev_u32_e32 v14, 28, v17
	v_lshlrev_b64 v[14:15], v14, v[6:7]
	v_and_b32_e32 v14, 7, v14
	v_cmp_gt_u32_e32 vcc, 8, v10
	v_lshrrev_b32_e32 v16, 3, v10
	v_sub_u32_e32 v6, 29, v17
	v_cndmask_b32_e32 v10, v13, v14, vcc
	v_mov_b32_e32 v13, 24
	v_cndmask_b32_e32 v6, v16, v6, vcc
	v_lshlrev_b32_sdwa v13, v13, v8 dst_sel:DWORD dst_unused:UNUSED_PAD src0_sel:DWORD src1_sel:WORD_1
	v_bfrev_b32_e32 v14, 60
	v_lshlrev_b32_e32 v10, 20, v10
	v_and_b32_e32 v13, 0x80000000, v13
	v_lshl_add_u32 v6, v6, 23, v14
	v_or3_b32 v6, v13, v6, v10
	v_lshrrev_b32_e32 v13, 16, v6
.LBB755_752:
	s_or_b64 exec, exec, s[22:23]
.LBB755_753:
	s_or_b64 exec, exec, s[20:21]
.LBB755_754:
	s_or_b64 exec, exec, s[10:11]
	s_mov_b32 s10, 0xffffff
	v_cmp_lt_u32_e32 vcc, s10, v8
	v_mov_b32_e32 v14, 0
	s_and_saveexec_b64 s[10:11], vcc
	s_cbranch_execz .LBB755_760
; %bb.755:
	v_lshrrev_b32_e32 v6, 24, v8
	s_movk_i32 s20, 0x80
	v_cmp_ne_u32_e32 vcc, s20, v6
	v_mov_b32_e32 v14, 0xffff8000
	s_and_saveexec_b64 s[20:21], vcc
	s_cbranch_execz .LBB755_759
; %bb.756:
	v_bfe_u32 v10, v8, 24, 7
	s_movk_i32 s22, 0x7f
	v_cmp_ne_u32_e32 vcc, s22, v10
	v_mov_b32_e32 v14, 0x7f80
	s_and_saveexec_b64 s[22:23], vcc
	s_cbranch_execz .LBB755_758
; %bb.757:
	v_and_b32_e32 v16, 7, v6
	v_ffbh_u32_e32 v14, v16
	v_min_u32_e32 v18, 32, v14
	v_subrev_u32_e32 v14, 28, v18
	v_lshlrev_b64 v[14:15], v14, v[6:7]
	v_lshrrev_b32_e32 v17, 3, v10
	v_sub_u32_e32 v15, 29, v18
	v_and_b32_e32 v14, 7, v14
	v_cmp_gt_u32_e32 vcc, 8, v10
	v_cndmask_b32_e32 v10, v17, v15, vcc
	v_cndmask_b32_e32 v14, v16, v14, vcc
	v_lshlrev_b32_e32 v6, 24, v6
	v_bfrev_b32_e32 v15, 60
	v_lshlrev_b32_e32 v14, 20, v14
	v_and_b32_e32 v6, 0x80000000, v6
	v_lshl_add_u32 v10, v10, 23, v15
	v_or3_b32 v6, v6, v10, v14
	v_lshrrev_b32_e32 v14, 16, v6
.LBB755_758:
	s_or_b64 exec, exec, s[22:23]
.LBB755_759:
	s_or_b64 exec, exec, s[20:21]
.LBB755_760:
	s_or_b64 exec, exec, s[10:11]
	v_mov_b32_e32 v15, 0
	v_mov_b32_e32 v6, v9
	v_cmp_ne_u16_sdwa s[20:21], v9, v15 src0_sel:BYTE_0 src1_sel:DWORD
	v_mov_b32_e32 v16, 0
	s_and_saveexec_b64 s[10:11], s[20:21]
	s_cbranch_execz .LBB755_766
; %bb.761:
	s_movk_i32 s20, 0x80
	v_cmp_ne_u16_sdwa s[22:23], v9, s20 src0_sel:BYTE_0 src1_sel:DWORD
	v_mov_b32_e32 v16, 0xffff8000
	s_and_saveexec_b64 s[20:21], s[22:23]
	s_cbranch_execz .LBB755_765
; %bb.762:
	s_movk_i32 s22, 0x7f
	v_and_b32_e32 v10, 0x7f, v9
	v_cmp_ne_u32_e32 vcc, s22, v10
	v_mov_b32_e32 v16, 0x7f80
	s_and_saveexec_b64 s[22:23], vcc
	s_cbranch_execz .LBB755_764
; %bb.763:
	v_and_b32_e32 v16, 7, v9
	v_ffbh_u32_e32 v16, v16
	v_min_u32_e32 v16, 32, v16
	v_lshrrev_b32_e32 v17, 3, v10
	v_subrev_u32_e32 v18, 28, v16
	v_sub_u32_e32 v16, 29, v16
	v_cmp_gt_u32_e32 vcc, 8, v10
	v_cndmask_b32_e32 v10, v17, v16, vcc
	v_cndmask_b32_e32 v16, 0, v18, vcc
	v_lshlrev_b64 v[16:17], v16, v[6:7]
	v_lshlrev_b32_e32 v7, 20, v16
	v_lshlrev_b32_e32 v16, 24, v6
	v_bfrev_b32_e32 v17, 60
	v_and_b32_e32 v7, 0x700000, v7
	v_and_b32_e32 v16, 0x80000000, v16
	v_lshl_add_u32 v10, v10, 23, v17
	v_or3_b32 v7, v16, v10, v7
	v_lshrrev_b32_e32 v16, 16, v7
.LBB755_764:
	s_or_b64 exec, exec, s[22:23]
.LBB755_765:
	s_or_b64 exec, exec, s[20:21]
.LBB755_766:
	s_or_b64 exec, exec, s[10:11]
	v_lshrrev_b16_e32 v10, 8, v6
	v_cmp_ne_u16_e32 vcc, 0, v10
	s_and_saveexec_b64 s[10:11], vcc
	s_cbranch_execz .LBB755_772
; %bb.767:
	s_movk_i32 s20, 0x80
	v_cmp_ne_u16_e32 vcc, s20, v10
	v_mov_b32_e32 v15, 0xffff8000
	s_and_saveexec_b64 s[20:21], vcc
	s_cbranch_execz .LBB755_771
; %bb.768:
	s_movk_i32 s22, 0x7f
	v_and_b32_e32 v7, 0x7f, v10
	v_cmp_ne_u32_e32 vcc, s22, v7
	v_mov_b32_e32 v15, 0x7f80
	s_and_saveexec_b64 s[22:23], vcc
	s_cbranch_execz .LBB755_770
; %bb.769:
	v_and_b32_e32 v15, 7, v10
	v_ffbh_u32_e32 v18, v15
	v_min_u32_e32 v20, 32, v18
	v_subrev_u32_e32 v18, 28, v20
	v_lshlrev_b64 v[18:19], v18, v[10:11]
	v_lshrrev_b32_e32 v17, 3, v7
	v_sub_u32_e32 v10, 29, v20
	v_and_b32_e32 v18, 7, v18
	v_cmp_gt_u32_e32 vcc, 8, v7
	v_cndmask_b32_e32 v7, v17, v10, vcc
	v_cndmask_b32_e32 v10, v15, v18, vcc
	v_lshlrev_b32_e32 v6, 16, v6
	v_bfrev_b32_e32 v15, 60
	v_lshlrev_b32_e32 v10, 20, v10
	v_and_b32_e32 v6, 0x80000000, v6
	v_lshl_add_u32 v7, v7, 23, v15
	v_or3_b32 v6, v6, v7, v10
	v_lshrrev_b32_e32 v15, 16, v6
.LBB755_770:
	s_or_b64 exec, exec, s[22:23]
.LBB755_771:
	s_or_b64 exec, exec, s[20:21]
.LBB755_772:
	s_or_b64 exec, exec, s[10:11]
	s_movk_i32 s10, 0xff
	v_and_b32_sdwa v17, v9, s10 dst_sel:DWORD dst_unused:UNUSED_PAD src0_sel:WORD_1 src1_sel:DWORD
	v_lshrrev_b32_e32 v6, 16, v9
	v_cmp_ne_u16_e32 vcc, 0, v17
	v_mov_b32_e32 v7, 0
	v_mov_b32_e32 v10, 0
	s_and_saveexec_b64 s[10:11], vcc
	s_cbranch_execz .LBB755_778
; %bb.773:
	s_movk_i32 s20, 0x80
	v_cmp_ne_u16_e32 vcc, s20, v17
	v_mov_b32_e32 v10, 0xffff8000
	s_and_saveexec_b64 s[20:21], vcc
	s_cbranch_execz .LBB755_777
; %bb.774:
	v_bfe_u32 v17, v9, 16, 7
	s_movk_i32 s22, 0x7f
	v_cmp_ne_u32_e32 vcc, s22, v17
	v_mov_b32_e32 v10, 0x7f80
	s_and_saveexec_b64 s[22:23], vcc
	s_cbranch_execz .LBB755_776
; %bb.775:
	v_and_b32_e32 v10, 7, v6
	v_ffbh_u32_e32 v18, v10
	v_min_u32_e32 v21, 32, v18
	v_subrev_u32_e32 v18, 28, v21
	v_lshlrev_b64 v[18:19], v18, v[6:7]
	v_lshrrev_b32_e32 v20, 3, v17
	v_sub_u32_e32 v6, 29, v21
	v_and_b32_e32 v18, 7, v18
	v_cmp_gt_u32_e32 vcc, 8, v17
	v_mov_b32_e32 v17, 24
	v_cndmask_b32_e32 v6, v20, v6, vcc
	v_cndmask_b32_e32 v10, v10, v18, vcc
	v_lshlrev_b32_sdwa v17, v17, v9 dst_sel:DWORD dst_unused:UNUSED_PAD src0_sel:DWORD src1_sel:WORD_1
	v_bfrev_b32_e32 v18, 60
	v_lshlrev_b32_e32 v10, 20, v10
	v_and_b32_e32 v17, 0x80000000, v17
	v_lshl_add_u32 v6, v6, 23, v18
	v_or3_b32 v6, v17, v6, v10
	v_lshrrev_b32_e32 v10, 16, v6
.LBB755_776:
	s_or_b64 exec, exec, s[22:23]
.LBB755_777:
	s_or_b64 exec, exec, s[20:21]
.LBB755_778:
	s_or_b64 exec, exec, s[10:11]
	s_mov_b32 s10, -1
	s_mov_b32 s11, 0xffffff
	v_cmp_lt_u64_e32 vcc, s[10:11], v[8:9]
	s_and_saveexec_b64 s[10:11], vcc
	s_cbranch_execz .LBB755_784
; %bb.779:
	v_lshrrev_b32_e32 v6, 24, v9
	s_movk_i32 s20, 0x80
	v_cmp_ne_u32_e32 vcc, s20, v6
	v_mov_b32_e32 v7, 0xffff8000
	s_and_saveexec_b64 s[20:21], vcc
	s_cbranch_execz .LBB755_783
; %bb.780:
	v_bfe_u32 v8, v9, 24, 7
	s_movk_i32 s22, 0x7f
	v_cmp_ne_u32_e32 vcc, s22, v8
	v_mov_b32_e32 v7, 0x7f80
	s_and_saveexec_b64 s[22:23], vcc
	s_cbranch_execz .LBB755_782
; %bb.781:
	v_and_b32_e32 v7, 7, v6
	v_ffbh_u32_e32 v17, v7
	v_min_u32_e32 v17, 32, v17
	v_subrev_u32_e32 v18, 28, v17
	v_lshlrev_b64 v[18:19], v18, v[6:7]
	v_lshrrev_b32_e32 v9, 3, v8
	v_sub_u32_e32 v17, 29, v17
	v_and_b32_e32 v18, 7, v18
	v_cmp_gt_u32_e32 vcc, 8, v8
	v_cndmask_b32_e32 v8, v9, v17, vcc
	v_cndmask_b32_e32 v7, v7, v18, vcc
	v_lshlrev_b32_e32 v6, 24, v6
	v_bfrev_b32_e32 v9, 60
	v_lshlrev_b32_e32 v7, 20, v7
	v_and_b32_e32 v6, 0x80000000, v6
	v_lshl_add_u32 v8, v8, 23, v9
	v_or3_b32 v6, v6, v8, v7
	v_lshrrev_b32_e32 v7, 16, v6
.LBB755_782:
	s_or_b64 exec, exec, s[22:23]
.LBB755_783:
	s_or_b64 exec, exec, s[20:21]
.LBB755_784:
	s_or_b64 exec, exec, s[10:11]
	s_load_dword s4, s[4:5], 0x1c
	s_mov_b32 s5, 0x5040100
	v_perm_b32 v9, v14, v13, s5
	v_perm_b32 v8, v11, v12, s5
	;; [unrolled: 1-line block ×4, first 2 shown]
	v_mfma_f32_4x4x4bf16_1k a[0:3], v[2:3], v[8:9], a[0:3] cbsz:4 abid:15
	s_load_dword s5, s[12:13], 0x0
	v_mfma_f32_4x4x4bf16_1k a[0:3], v[4:5], v[6:7], a[0:3] cbsz:4 abid:15
	s_waitcnt lgkmcnt(0)
	v_mov_b32_e32 v2, s4
	v_cmp_eq_u32_e32 vcc, 0, v43
	v_mov_b32_e32 v9, 0xff7fffff
	v_mul_f32_e32 v4, s5, v2
	v_accvgpr_read_b32 v7, a1
	v_accvgpr_read_b32 v6, a0
	v_pk_mul_f32 v[6:7], v[6:7], v[4:5] op_sel_hi:[1,0]
	v_accvgpr_read_b32 v3, a3
	v_accvgpr_read_b32 v2, a2
	v_pk_mul_f32 v[2:3], v[2:3], v[4:5] op_sel_hi:[1,0]
	v_cndmask_b32_e64 v4, 0, 1.0, vcc
	v_cmp_eq_u32_e32 vcc, 1, v43
	s_nop 0
	v_mfma_f32_4x4x1f32 a[0:3], v6, v4, 0
	v_cndmask_b32_e64 v4, 0, 1.0, vcc
	v_cmp_eq_u32_e32 vcc, 2, v43
	s_nop 0
	v_mfma_f32_4x4x1f32 a[0:3], v7, v4, a[0:3]
	;; [unrolled: 4-line block ×3, first 2 shown]
	v_cndmask_b32_e64 v2, 0, 1.0, vcc
	s_nop 1
	v_mfma_f32_4x4x1f32 a[0:3], v3, v2, a[0:3]
	v_and_b32_e32 v2, -4, v44
	v_subrev_u32_e32 v3, s9, v2
	v_add_u32_e32 v4, 1, v3
	v_cvt_f32_i32_e32 v4, v4
	v_add_u32_e32 v5, 2, v3
	v_cvt_f32_i32_e32 v5, v5
	v_accvgpr_read_b32 v6, a0
	v_fma_f32 v4, v45, v4, v6
	v_accvgpr_read_b32 v6, a1
	v_fma_f32 v5, v45, v5, v6
	v_add_u32_e32 v6, 3, v3
	v_cvt_f32_i32_e32 v6, v6
	v_accvgpr_read_b32 v7, a2
	v_add_u32_e32 v3, 4, v3
	v_cmp_gt_i32_e32 vcc, s9, v2
	v_fma_f32 v7, v45, v6, v7
	v_max_f32_e32 v6, 0xff7fffff, v4
	v_cvt_f32_i32_e32 v3, v3
	v_cndmask_b32_e32 v6, v9, v6, vcc
	v_or_b32_e32 v9, 1, v2
	v_max_f32_e32 v10, v6, v5
	v_cmp_gt_i32_e64 s[4:5], s9, v9
	v_cndmask_b32_e64 v6, v6, v10, s[4:5]
	v_or_b32_e32 v2, 2, v2
	v_accvgpr_read_b32 v8, a3
	v_max_f32_e32 v9, v6, v7
	v_cmp_gt_i32_e64 s[10:11], s9, v2
	v_fmac_f32_e32 v8, v45, v3
	v_cndmask_b32_e64 v2, v6, v9, s[10:11]
	v_or_b32_e32 v6, 3, v44
	v_max_f32_e32 v9, v2, v8
	v_cmp_gt_i32_e64 s[12:13], s9, v6
	v_lshlrev_b32_e32 v3, 2, v0
	v_cndmask_b32_e64 v2, v2, v9, s[12:13]
	v_and_or_b32 v3, v3, 48, v43
	;;#ASMSTART
	v_nop
 v_nop
 v_max_f32_dpp v2, v2, v2 row_ror:4
	;;#ASMEND
	v_lshlrev_b32_e32 v9, 2, v3
	;;#ASMSTART
	v_nop
 v_nop
 v_max_f32_dpp v2, v2, v2 row_ror:8
	;;#ASMEND
	ds_bpermute_b32 v2, v9, v2
	s_waitcnt lgkmcnt(0)
	;;#ASMSTART
	v_nop
 v_nop
 v_max_f32_dpp v2, v2, v2 row_ror:4
	;;#ASMEND
	;;#ASMSTART
	v_nop
 v_nop
 v_max_f32_dpp v6, v2, v2 row_ror:8
	;;#ASMEND
	v_sub_f32_e32 v2, v4, v6
	v_mul_f32_e32 v2, 0x3fb8aa3b, v2
	v_sub_f32_e32 v3, v5, v6
	v_exp_f32_e32 v2, v2
	v_mul_f32_e32 v3, 0x3fb8aa3b, v3
	v_sub_f32_e32 v5, v7, v6
	v_exp_f32_e32 v3, v3
	;; [unrolled: 3-line block ×3, first 2 shown]
	v_mul_f32_e32 v7, 0x3fb8aa3b, v7
	v_exp_f32_e32 v7, v7
	v_cndmask_b32_e32 v2, 0, v2, vcc
	v_add_f32_e32 v4, 0, v2
	v_cndmask_b32_e64 v3, 0, v3, s[4:5]
	v_add_f32_e32 v8, v4, v3
	v_cndmask_b32_e64 v4, 0, v5, s[10:11]
	;; [unrolled: 2-line block ×3, first 2 shown]
	v_add_f32_e32 v7, v8, v5
	;;#ASMSTART
	v_nop
 v_nop
 v_add_f32_dpp v7, v7, v7 row_ror:4
	;;#ASMEND
	;;#ASMSTART
	v_nop
 v_nop
 v_add_f32_dpp v7, v7, v7 row_ror:8
	;;#ASMEND
	ds_bpermute_b32 v7, v9, v7
	s_waitcnt lgkmcnt(0)
	;;#ASMSTART
	v_nop
 v_nop
 v_add_f32_dpp v7, v7, v7 row_ror:4
	;;#ASMEND
	v_cmp_gt_u32_e32 vcc, 4, v1
	;;#ASMSTART
	v_nop
 v_nop
 v_add_f32_dpp v7, v7, v7 row_ror:8
	;;#ASMEND
	s_and_saveexec_b64 s[4:5], vcc
	s_cbranch_execz .LBB755_786
; %bb.785:
	v_mul_u32_u24_e32 v8, 20, v42
	v_lshl_add_u32 v8, v43, 2, v8
	v_add_u32_e32 v8, 0x1400, v8
	ds_write2_b32 v8, v6, v7 offset1:20
.LBB755_786:
	s_or_b64 exec, exec, s[4:5]
.LBB755_787:
	s_or_b64 exec, exec, s[30:31]
	s_waitcnt lgkmcnt(0)
	s_barrier
	s_load_dword s4, s[28:29], 0x8
	v_lshlrev_b32_e32 v7, 2, v43
	v_add_u32_e32 v7, 0x1400, v7
	ds_read2_b32 v[10:11], v7 offset1:5
	ds_read2_b32 v[12:13], v7 offset0:10 offset1:15
	s_mul_i32 s5, s8, s42
	s_waitcnt lgkmcnt(0)
	s_mul_i32 s5, s5, s4
	s_lshl_b32 s4, s5, 1
	s_mov_b32 s5, 0xff7fffff
	v_max3_f32 v8, v10, s5, v11
	v_max3_f32 v8, v8, v12, v13
	v_sub_f32_e32 v9, v10, v8
	v_sub_f32_e32 v10, v11, v8
	ds_read2_b32 v[14:15], v7 offset0:20 offset1:25
	v_mul_f32_e32 v9, 0x3fb8aa3b, v9
	v_mul_f32_e32 v10, 0x3fb8aa3b, v10
	v_exp_f32_e32 v9, v9
	v_exp_f32_e32 v16, v10
	ds_read2_b32 v[10:11], v7 offset0:30 offset1:35
	v_sub_f32_e32 v7, v12, v8
	v_mul_f32_e32 v7, 0x3fb8aa3b, v7
	v_sub_f32_e32 v12, v13, v8
	v_exp_f32_e32 v7, v7
	v_mul_f32_e32 v12, 0x3fb8aa3b, v12
	v_exp_f32_e32 v12, v12
	s_waitcnt lgkmcnt(1)
	v_fma_f32 v9, v9, v14, 0
	v_fmac_f32_e32 v9, v16, v15
	s_waitcnt lgkmcnt(0)
	v_fmac_f32_e32 v9, v7, v10
	v_fmac_f32_e32 v9, v12, v11
	v_cmp_gt_u32_e32 vcc, 2, v43
	s_and_saveexec_b64 s[8:9], vcc
	s_cbranch_execz .LBB755_789
; %bb.788:
	s_mov_b32 s5, 0
	s_lshl_b64 s[10:11], s[4:5], 2
	s_add_u32 s16, s16, s10
	s_mov_b32 s25, s5
	s_addc_u32 s17, s17, s11
	s_lshl_b64 s[12:13], s[24:25], 2
	s_add_u32 s5, s16, s12
	s_addc_u32 s16, s17, s13
	v_or_b32_e32 v7, s33, v43
	s_add_u32 s10, s18, s10
	v_mul_lo_u32 v10, s42, v7
	v_mov_b32_e32 v11, 0
	s_addc_u32 s11, s19, s11
	v_lshlrev_b64 v[10:11], 2, v[10:11]
	s_add_u32 s10, s10, s12
	v_mov_b32_e32 v7, s16
	v_add_co_u32_e32 v12, vcc, s5, v10
	s_addc_u32 s11, s11, s13
	v_addc_co_u32_e32 v13, vcc, v7, v11, vcc
	v_mov_b32_e32 v7, s11
	v_add_co_u32_e32 v10, vcc, s10, v10
	v_addc_co_u32_e32 v11, vcc, v7, v11, vcc
	global_store_dword v[10:11], v8, off
	global_store_dword v[12:13], v9, off
.LBB755_789:
	s_or_b64 exec, exec, s[8:9]
	v_lshlrev_b32_e32 v7, 3, v42
	s_and_saveexec_b64 s[8:9], s[6:7]
	s_xor_b64 s[6:7], exec, s[8:9]
	s_cbranch_execz .LBB755_791
; %bb.790:
	s_mov_b32 s8, 0
	s_mov_b32 s9, s8
	v_mad_u32_u24 v4, v1, 40, v7
	v_pk_mov_b32 v[2:3], s[8:9], s[8:9] op_sel:[0,1]
	ds_write2st64_b64 v4, v[2:3], v[2:3] offset1:5
                                        ; implicit-def: $vgpr7
                                        ; implicit-def: $vgpr9
                                        ; implicit-def: $vgpr6
                                        ; implicit-def: $vgpr8
                                        ; implicit-def: $vgpr4
                                        ; implicit-def: $vgpr2
.LBB755_791:
	s_andn2_saveexec_b64 s[6:7], s[6:7]
	s_cbranch_execz .LBB755_1178
; %bb.792:
	v_add_f32_e32 v9, 0x358637bd, v9
	v_div_scale_f32 v10, s[8:9], v9, v9, 1.0
	v_rcp_f32_e32 v11, v10
	v_div_scale_f32 v12, vcc, 1.0, v9, 1.0
	v_sub_f32_e32 v6, v6, v8
	v_fma_f32 v13, -v10, v11, 1.0
	v_fmac_f32_e32 v11, v13, v11
	v_mul_f32_e32 v13, v12, v11
	v_fma_f32 v14, -v10, v13, v12
	v_mul_f32_e32 v6, 0x3fb8aa3b, v6
	v_fmac_f32_e32 v13, v14, v11
	v_exp_f32_e32 v6, v6
	v_fma_f32 v10, -v10, v13, v12
	v_div_fmas_f32 v8, v10, v11, v13
	v_div_fixup_f32 v8, v8, v9, 1.0
	v_mul_f32_e32 v6, v6, v8
	v_pk_mul_f32 v[2:3], v[2:3], v[6:7] op_sel_hi:[1,0]
	s_load_dword s8, s[14:15], 0x0
	v_pk_mul_f32 v[4:5], v[4:5], v[6:7] op_sel_hi:[1,0]
	v_bfe_u32 v6, v3, 16, 1
	v_bfe_u32 v8, v2, 16, 1
	s_movk_i32 s5, 0x7fff
	v_add3_u32 v2, v2, v8, s5
	v_add3_u32 v3, v3, v6, s5
	s_mov_b32 s20, 0x7060302
	v_perm_b32 v2, v3, v2, s20
	v_bfe_u32 v3, v5, 16, 1
	v_bfe_u32 v6, v4, 16, 1
	v_add3_u32 v4, v4, v6, s5
	v_add3_u32 v3, v5, v3, s5
	v_mov_b32_e32 v11, 0
	v_perm_b32 v3, v3, v4, s20
	v_add_u32_e32 v5, 64, v11
	s_waitcnt lgkmcnt(0)
	s_mov_b32 s9, s8
	s_mov_b32 s10, s8
	;; [unrolled: 1-line block ×4, first 2 shown]
	s_mov_b64 s[12:13], -1
	s_movk_i32 s21, 0x80
	s_movk_i32 s23, 0x7f
	s_mov_b32 s25, 0xffffff
	s_mov_b32 s28, 0x5040100
	v_mov_b32_e32 v9, 0
	v_bfrev_b32_e32 v10, 60
	s_branch .LBB755_796
.LBB755_793:                            ;   in Loop: Header=BB755_796 Depth=1
	s_or_b64 exec, exec, s[18:19]
.LBB755_794:                            ;   in Loop: Header=BB755_796 Depth=1
	s_or_b64 exec, exec, s[16:17]
.LBB755_795:                            ;   in Loop: Header=BB755_796 Depth=1
	s_or_b64 exec, exec, s[14:15]
	v_perm_b32 v19, v15, v12, s28
	v_perm_b32 v18, v11, v13, s28
	;; [unrolled: 1-line block ×4, first 2 shown]
	v_mfma_f32_4x4x4bf16_1k a[0:3], v[2:3], v[18:19], a[0:3] cbsz:4 abid:14
	s_mul_i32 s14, s22, 0xa00
	v_mfma_f32_4x4x4bf16_1k a[0:3], v[2:3], v[12:13], a[0:3] cbsz:4 abid:15
	s_mov_b32 s22, 1
	v_mov_b32_e32 v11, v5
	s_nop 2
	v_accvgpr_read_b32 v15, a1
	v_accvgpr_read_b32 v14, a0
	v_pk_mul_f32 v[14:15], v[14:15], s[8:9]
	v_accvgpr_read_b32 v13, a3
	v_accvgpr_read_b32 v12, a2
	v_bfe_u32 v4, v15, 16, 1
	v_bfe_u32 v6, v14, 16, 1
	v_pk_mul_f32 v[12:13], v[12:13], s[10:11]
	v_add3_u32 v6, v14, v6, s5
	v_add3_u32 v4, v15, v4, s5
	v_perm_b32 v14, v4, v6, s20
	v_bfe_u32 v4, v13, 16, 1
	v_bfe_u32 v6, v12, 16, 1
	v_add3_u32 v6, v12, v6, s5
	v_add3_u32 v4, v13, v4, s5
	v_perm_b32 v15, v4, v6, s20
	v_mul_u32_u24_e32 v4, 40, v1
	v_add3_u32 v4, s14, v4, v7
	s_xor_b64 s[14:15], s[12:13], -1
	s_mov_b64 s[12:13], 0
	s_andn2_b64 vcc, exec, s[14:15]
	ds_write_b64 v4, v[14:15]
	s_cbranch_vccz .LBB755_1178
.LBB755_796:                            ; =>This Inner Loop Header: Depth=1
	buffer_load_dword v6, v11, s[0:3], 0 offen
	buffer_load_dword v4, v11, s[0:3], 0 offen offset:4
	v_mov_b32_e32 v13, 0
	s_waitcnt vmcnt(1)
	v_cmp_ne_u16_sdwa s[16:17], v6, v9 src0_sel:BYTE_0 src1_sel:DWORD
	s_and_saveexec_b64 s[14:15], s[16:17]
	s_cbranch_execz .LBB755_802
; %bb.797:                              ;   in Loop: Header=BB755_796 Depth=1
	v_cmp_ne_u16_sdwa s[18:19], v6, s21 src0_sel:BYTE_0 src1_sel:DWORD
	v_mov_b32_e32 v13, 0xffff8000
	s_and_saveexec_b64 s[16:17], s[18:19]
	s_cbranch_execz .LBB755_801
; %bb.798:                              ;   in Loop: Header=BB755_796 Depth=1
	v_and_b32_e32 v8, 0x7f, v6
	v_cmp_ne_u32_e32 vcc, s23, v8
	v_mov_b32_e32 v13, 0x7f80
	s_and_saveexec_b64 s[18:19], vcc
	s_cbranch_execz .LBB755_800
; %bb.799:                              ;   in Loop: Header=BB755_796 Depth=1
	v_and_b32_e32 v14, 7, v6
	v_ffbh_u32_e32 v12, v14
	v_min_u32_e32 v16, 32, v12
	v_subrev_u32_e32 v12, 28, v16
	v_lshlrev_b64 v[12:13], v12, v[6:7]
	v_lshrrev_b32_e32 v15, 3, v8
	v_sub_u32_e32 v13, 29, v16
	v_and_b32_e32 v12, 7, v12
	v_cmp_gt_u32_e32 vcc, 8, v8
	v_cndmask_b32_e32 v8, v15, v13, vcc
	v_cndmask_b32_e32 v12, v14, v12, vcc
	v_lshlrev_b32_e32 v13, 24, v6
	v_lshlrev_b32_e32 v12, 20, v12
	v_and_b32_e32 v13, 0x80000000, v13
	v_lshl_add_u32 v8, v8, 23, v10
	v_or3_b32 v8, v13, v8, v12
	v_lshrrev_b32_e32 v13, 16, v8
.LBB755_800:                            ;   in Loop: Header=BB755_796 Depth=1
	s_or_b64 exec, exec, s[18:19]
.LBB755_801:                            ;   in Loop: Header=BB755_796 Depth=1
	s_or_b64 exec, exec, s[16:17]
.LBB755_802:                            ;   in Loop: Header=BB755_796 Depth=1
	s_or_b64 exec, exec, s[14:15]
	v_lshrrev_b16_e32 v8, 8, v6
	v_cmp_ne_u16_e32 vcc, 0, v8
	v_mov_b32_e32 v15, 0
	v_mov_b32_e32 v14, 0
	s_and_saveexec_b64 s[14:15], vcc
	s_cbranch_execz .LBB755_808
; %bb.803:                              ;   in Loop: Header=BB755_796 Depth=1
	v_cmp_ne_u16_e32 vcc, s21, v8
	v_mov_b32_e32 v14, 0xffff8000
	s_and_saveexec_b64 s[16:17], vcc
	s_cbranch_execz .LBB755_807
; %bb.804:                              ;   in Loop: Header=BB755_796 Depth=1
	v_and_b32_e32 v12, 0x7f, v8
	v_cmp_ne_u32_e32 vcc, s23, v12
	v_mov_b32_e32 v14, 0x7f80
	s_and_saveexec_b64 s[18:19], vcc
	s_cbranch_execz .LBB755_806
; %bb.805:                              ;   in Loop: Header=BB755_796 Depth=1
	v_and_b32_e32 v14, 7, v8
	v_ffbh_u32_e32 v16, v14
	v_min_u32_e32 v19, 32, v16
	v_subrev_u32_e32 v16, 28, v19
	v_lshlrev_b64 v[16:17], v16, v[8:9]
	v_lshrrev_b32_e32 v18, 3, v12
	v_sub_u32_e32 v8, 29, v19
	v_and_b32_e32 v16, 7, v16
	v_cmp_gt_u32_e32 vcc, 8, v12
	v_cndmask_b32_e32 v8, v18, v8, vcc
	v_cndmask_b32_e32 v12, v14, v16, vcc
	v_lshlrev_b32_e32 v14, 16, v6
	v_lshlrev_b32_e32 v12, 20, v12
	v_and_b32_e32 v14, 0x80000000, v14
	v_lshl_add_u32 v8, v8, 23, v10
	v_or3_b32 v8, v14, v8, v12
	v_lshrrev_b32_e32 v14, 16, v8
.LBB755_806:                            ;   in Loop: Header=BB755_796 Depth=1
	s_or_b64 exec, exec, s[18:19]
.LBB755_807:                            ;   in Loop: Header=BB755_796 Depth=1
	s_or_b64 exec, exec, s[16:17]
.LBB755_808:                            ;   in Loop: Header=BB755_796 Depth=1
	s_or_b64 exec, exec, s[14:15]
	v_lshrrev_b32_e32 v8, 16, v6
	v_cmp_ne_u16_sdwa s[16:17], v8, v9 src0_sel:BYTE_0 src1_sel:DWORD
	s_and_saveexec_b64 s[14:15], s[16:17]
	s_cbranch_execz .LBB755_814
; %bb.809:                              ;   in Loop: Header=BB755_796 Depth=1
	v_cmp_ne_u16_sdwa s[18:19], v8, s21 src0_sel:BYTE_0 src1_sel:DWORD
	v_mov_b32_e32 v15, 0xffff8000
	s_and_saveexec_b64 s[16:17], s[18:19]
	s_cbranch_execz .LBB755_813
; %bb.810:                              ;   in Loop: Header=BB755_796 Depth=1
	v_bfe_u32 v12, v6, 16, 7
	v_cmp_ne_u32_e32 vcc, s23, v12
	v_mov_b32_e32 v15, 0x7f80
	s_and_saveexec_b64 s[18:19], vcc
	s_cbranch_execz .LBB755_812
; %bb.811:                              ;   in Loop: Header=BB755_796 Depth=1
	v_and_b32_e32 v15, 7, v8
	v_ffbh_u32_e32 v16, v15
	v_min_u32_e32 v19, 32, v16
	v_subrev_u32_e32 v16, 28, v19
	v_lshlrev_b64 v[16:17], v16, v[8:9]
	v_lshrrev_b32_e32 v18, 3, v12
	v_sub_u32_e32 v17, 29, v19
	v_and_b32_e32 v16, 7, v16
	v_cmp_gt_u32_e32 vcc, 8, v12
	v_cndmask_b32_e32 v12, v18, v17, vcc
	v_cndmask_b32_e32 v15, v15, v16, vcc
	v_lshlrev_b32_e32 v8, 24, v8
	v_lshlrev_b32_e32 v15, 20, v15
	v_and_b32_e32 v8, 0x80000000, v8
	v_lshl_add_u32 v12, v12, 23, v10
	v_or3_b32 v8, v8, v12, v15
	v_lshrrev_b32_e32 v15, 16, v8
.LBB755_812:                            ;   in Loop: Header=BB755_796 Depth=1
	s_or_b64 exec, exec, s[18:19]
.LBB755_813:                            ;   in Loop: Header=BB755_796 Depth=1
	s_or_b64 exec, exec, s[16:17]
.LBB755_814:                            ;   in Loop: Header=BB755_796 Depth=1
	s_or_b64 exec, exec, s[14:15]
	v_cmp_lt_u32_e32 vcc, s25, v6
	v_mov_b32_e32 v16, 0
	v_mov_b32_e32 v17, 0
	s_and_saveexec_b64 s[14:15], vcc
	s_cbranch_execz .LBB755_820
; %bb.815:                              ;   in Loop: Header=BB755_796 Depth=1
	v_lshrrev_b32_e32 v8, 24, v6
	v_cmp_ne_u32_e32 vcc, s21, v8
	v_mov_b32_e32 v17, 0xffff8000
	s_and_saveexec_b64 s[16:17], vcc
	s_cbranch_execz .LBB755_819
; %bb.816:                              ;   in Loop: Header=BB755_796 Depth=1
	v_bfe_u32 v6, v6, 24, 7
	v_cmp_ne_u32_e32 vcc, s23, v6
	v_mov_b32_e32 v17, 0x7f80
	s_and_saveexec_b64 s[18:19], vcc
	s_cbranch_execz .LBB755_818
; %bb.817:                              ;   in Loop: Header=BB755_796 Depth=1
	v_and_b32_e32 v12, 7, v8
	v_ffbh_u32_e32 v18, v12
	v_min_u32_e32 v20, 32, v18
	v_subrev_u32_e32 v18, 28, v20
	v_lshlrev_b64 v[18:19], v18, v[8:9]
	v_lshrrev_b32_e32 v17, 3, v6
	v_sub_u32_e32 v19, 29, v20
	v_and_b32_e32 v18, 7, v18
	v_cmp_gt_u32_e32 vcc, 8, v6
	v_cndmask_b32_e32 v6, v17, v19, vcc
	v_cndmask_b32_e32 v12, v12, v18, vcc
	v_lshlrev_b32_e32 v8, 24, v8
	v_lshlrev_b32_e32 v12, 20, v12
	v_and_b32_e32 v8, 0x80000000, v8
	v_lshl_add_u32 v6, v6, 23, v10
	v_or3_b32 v6, v8, v6, v12
	v_lshrrev_b32_e32 v17, 16, v6
.LBB755_818:                            ;   in Loop: Header=BB755_796 Depth=1
	s_or_b64 exec, exec, s[18:19]
.LBB755_819:                            ;   in Loop: Header=BB755_796 Depth=1
	s_or_b64 exec, exec, s[16:17]
.LBB755_820:                            ;   in Loop: Header=BB755_796 Depth=1
	s_or_b64 exec, exec, s[14:15]
	s_waitcnt vmcnt(0)
	v_cmp_ne_u16_sdwa s[16:17], v4, v9 src0_sel:BYTE_0 src1_sel:DWORD
	s_and_saveexec_b64 s[14:15], s[16:17]
	s_cbranch_execz .LBB755_826
; %bb.821:                              ;   in Loop: Header=BB755_796 Depth=1
	v_cmp_ne_u16_sdwa s[18:19], v4, s21 src0_sel:BYTE_0 src1_sel:DWORD
	v_mov_b32_e32 v16, 0xffff8000
	s_and_saveexec_b64 s[16:17], s[18:19]
	s_cbranch_execz .LBB755_825
; %bb.822:                              ;   in Loop: Header=BB755_796 Depth=1
	v_and_b32_e32 v6, 0x7f, v4
	v_cmp_ne_u32_e32 vcc, s23, v6
	v_mov_b32_e32 v16, 0x7f80
	s_and_saveexec_b64 s[18:19], vcc
	s_cbranch_execz .LBB755_824
; %bb.823:                              ;   in Loop: Header=BB755_796 Depth=1
	v_and_b32_e32 v8, 7, v4
	v_ffbh_u32_e32 v16, v8
	v_min_u32_e32 v16, 32, v16
	v_subrev_u32_e32 v18, 28, v16
	v_lshlrev_b64 v[18:19], v18, v[4:5]
	v_lshrrev_b32_e32 v12, 3, v6
	v_sub_u32_e32 v16, 29, v16
	v_and_b32_e32 v18, 7, v18
	v_cmp_gt_u32_e32 vcc, 8, v6
	v_cndmask_b32_e32 v6, v12, v16, vcc
	v_cndmask_b32_e32 v8, v8, v18, vcc
	v_lshlrev_b32_e32 v12, 24, v4
	v_lshlrev_b32_e32 v8, 20, v8
	v_and_b32_e32 v12, 0x80000000, v12
	v_lshl_add_u32 v6, v6, 23, v10
	v_or3_b32 v6, v12, v6, v8
	v_lshrrev_b32_e32 v16, 16, v6
.LBB755_824:                            ;   in Loop: Header=BB755_796 Depth=1
	s_or_b64 exec, exec, s[18:19]
.LBB755_825:                            ;   in Loop: Header=BB755_796 Depth=1
	s_or_b64 exec, exec, s[16:17]
.LBB755_826:                            ;   in Loop: Header=BB755_796 Depth=1
	s_or_b64 exec, exec, s[14:15]
	v_lshrrev_b16_e32 v6, 8, v4
	v_cmp_ne_u16_e32 vcc, 0, v6
	v_mov_b32_e32 v18, 0
	v_mov_b32_e32 v8, 0
	s_and_saveexec_b64 s[14:15], vcc
	s_cbranch_execz .LBB755_832
; %bb.827:                              ;   in Loop: Header=BB755_796 Depth=1
	v_cmp_ne_u16_e32 vcc, s21, v6
	v_mov_b32_e32 v8, 0xffff8000
	s_and_saveexec_b64 s[16:17], vcc
	s_cbranch_execz .LBB755_831
; %bb.828:                              ;   in Loop: Header=BB755_796 Depth=1
	v_and_b32_e32 v12, 0x7f, v6
	v_cmp_ne_u32_e32 vcc, s23, v12
	v_mov_b32_e32 v8, 0x7f80
	s_and_saveexec_b64 s[18:19], vcc
	s_cbranch_execz .LBB755_830
; %bb.829:                              ;   in Loop: Header=BB755_796 Depth=1
	v_and_b32_e32 v8, 7, v6
	v_ffbh_u32_e32 v20, v8
	v_min_u32_e32 v22, 32, v20
	v_subrev_u32_e32 v20, 28, v22
	v_lshlrev_b64 v[20:21], v20, v[6:7]
	v_lshrrev_b32_e32 v19, 3, v12
	v_sub_u32_e32 v6, 29, v22
	v_and_b32_e32 v20, 7, v20
	v_cmp_gt_u32_e32 vcc, 8, v12
	v_cndmask_b32_e32 v6, v19, v6, vcc
	v_cndmask_b32_e32 v8, v8, v20, vcc
	v_lshlrev_b32_e32 v12, 16, v4
	v_lshlrev_b32_e32 v8, 20, v8
	v_and_b32_e32 v12, 0x80000000, v12
	v_lshl_add_u32 v6, v6, 23, v10
	v_or3_b32 v6, v12, v6, v8
	v_lshrrev_b32_e32 v8, 16, v6
.LBB755_830:                            ;   in Loop: Header=BB755_796 Depth=1
	s_or_b64 exec, exec, s[18:19]
.LBB755_831:                            ;   in Loop: Header=BB755_796 Depth=1
	s_or_b64 exec, exec, s[16:17]
.LBB755_832:                            ;   in Loop: Header=BB755_796 Depth=1
	s_or_b64 exec, exec, s[14:15]
	v_lshrrev_b32_e32 v6, 16, v4
	v_cmp_ne_u16_sdwa s[16:17], v6, v9 src0_sel:BYTE_0 src1_sel:DWORD
	s_and_saveexec_b64 s[14:15], s[16:17]
	s_cbranch_execz .LBB755_838
; %bb.833:                              ;   in Loop: Header=BB755_796 Depth=1
	v_cmp_ne_u16_sdwa s[18:19], v6, s21 src0_sel:BYTE_0 src1_sel:DWORD
	v_mov_b32_e32 v18, 0xffff8000
	s_and_saveexec_b64 s[16:17], s[18:19]
	s_cbranch_execz .LBB755_837
; %bb.834:                              ;   in Loop: Header=BB755_796 Depth=1
	v_bfe_u32 v12, v4, 16, 7
	v_cmp_ne_u32_e32 vcc, s23, v12
	v_mov_b32_e32 v18, 0x7f80
	s_and_saveexec_b64 s[18:19], vcc
	s_cbranch_execz .LBB755_836
; %bb.835:                              ;   in Loop: Header=BB755_796 Depth=1
	v_and_b32_e32 v20, 7, v6
	v_ffbh_u32_e32 v18, v20
	v_min_u32_e32 v22, 32, v18
	v_subrev_u32_e32 v18, 28, v22
	v_lshlrev_b64 v[18:19], v18, v[6:7]
	v_lshrrev_b32_e32 v21, 3, v12
	v_sub_u32_e32 v19, 29, v22
	v_and_b32_e32 v18, 7, v18
	v_cmp_gt_u32_e32 vcc, 8, v12
	v_cndmask_b32_e32 v12, v21, v19, vcc
	v_cndmask_b32_e32 v18, v20, v18, vcc
	v_lshlrev_b32_e32 v6, 24, v6
	v_lshlrev_b32_e32 v18, 20, v18
	v_and_b32_e32 v6, 0x80000000, v6
	v_lshl_add_u32 v12, v12, 23, v10
	v_or3_b32 v6, v6, v12, v18
	v_lshrrev_b32_e32 v18, 16, v6
.LBB755_836:                            ;   in Loop: Header=BB755_796 Depth=1
	s_or_b64 exec, exec, s[18:19]
.LBB755_837:                            ;   in Loop: Header=BB755_796 Depth=1
	s_or_b64 exec, exec, s[16:17]
.LBB755_838:                            ;   in Loop: Header=BB755_796 Depth=1
	s_or_b64 exec, exec, s[14:15]
	v_cmp_lt_u32_e32 vcc, s25, v4
	v_mov_b32_e32 v12, 0
	v_mov_b32_e32 v19, 0
	s_and_saveexec_b64 s[14:15], vcc
	s_cbranch_execz .LBB755_844
; %bb.839:                              ;   in Loop: Header=BB755_796 Depth=1
	v_lshrrev_b32_e32 v6, 24, v4
	v_cmp_ne_u32_e32 vcc, s21, v6
	v_mov_b32_e32 v19, 0xffff8000
	s_and_saveexec_b64 s[16:17], vcc
	s_cbranch_execz .LBB755_843
; %bb.840:                              ;   in Loop: Header=BB755_796 Depth=1
	v_bfe_u32 v4, v4, 24, 7
	v_cmp_ne_u32_e32 vcc, s23, v4
	v_mov_b32_e32 v19, 0x7f80
	s_and_saveexec_b64 s[18:19], vcc
	s_cbranch_execz .LBB755_842
; %bb.841:                              ;   in Loop: Header=BB755_796 Depth=1
	v_and_b32_e32 v19, 7, v6
	v_ffbh_u32_e32 v20, v19
	v_min_u32_e32 v23, 32, v20
	v_subrev_u32_e32 v20, 28, v23
	v_lshlrev_b64 v[20:21], v20, v[6:7]
	v_lshrrev_b32_e32 v22, 3, v4
	v_sub_u32_e32 v21, 29, v23
	v_and_b32_e32 v20, 7, v20
	v_cmp_gt_u32_e32 vcc, 8, v4
	v_cndmask_b32_e32 v4, v22, v21, vcc
	v_cndmask_b32_e32 v19, v19, v20, vcc
	v_lshlrev_b32_e32 v6, 24, v6
	v_lshlrev_b32_e32 v19, 20, v19
	v_and_b32_e32 v6, 0x80000000, v6
	v_lshl_add_u32 v4, v4, 23, v10
	v_or3_b32 v4, v6, v4, v19
	v_lshrrev_b32_e32 v19, 16, v4
.LBB755_842:                            ;   in Loop: Header=BB755_796 Depth=1
	s_or_b64 exec, exec, s[18:19]
.LBB755_843:                            ;   in Loop: Header=BB755_796 Depth=1
	s_or_b64 exec, exec, s[16:17]
.LBB755_844:                            ;   in Loop: Header=BB755_796 Depth=1
	s_or_b64 exec, exec, s[14:15]
	buffer_load_dword v6, v11, s[0:3], 0 offen offset:8
	buffer_load_dword v4, v11, s[0:3], 0 offen offset:12
	v_perm_b32 v15, v17, v15, s28
	v_perm_b32 v14, v14, v13, s28
	;; [unrolled: 1-line block ×4, first 2 shown]
	v_mfma_f32_4x4x4bf16_1k a[0:3], v[2:3], v[14:15], 0 cbsz:4
	s_waitcnt vmcnt(1)
	v_cmp_ne_u16_sdwa s[16:17], v6, v9 src0_sel:BYTE_0 src1_sel:DWORD
	v_mfma_f32_4x4x4bf16_1k a[0:3], v[2:3], v[16:17], a[0:3] cbsz:4 abid:1
	s_and_saveexec_b64 s[14:15], s[16:17]
	s_cbranch_execz .LBB755_850
; %bb.845:                              ;   in Loop: Header=BB755_796 Depth=1
	v_cmp_ne_u16_sdwa s[18:19], v6, s21 src0_sel:BYTE_0 src1_sel:DWORD
	v_mov_b32_e32 v12, 0xffff8000
	s_and_saveexec_b64 s[16:17], s[18:19]
	s_cbranch_execz .LBB755_849
; %bb.846:                              ;   in Loop: Header=BB755_796 Depth=1
	v_and_b32_e32 v8, 0x7f, v6
	v_cmp_ne_u32_e32 vcc, s23, v8
	v_mov_b32_e32 v12, 0x7f80
	s_and_saveexec_b64 s[18:19], vcc
	s_cbranch_execz .LBB755_848
; %bb.847:                              ;   in Loop: Header=BB755_796 Depth=1
	v_and_b32_e32 v14, 7, v6
	v_ffbh_u32_e32 v12, v14
	v_min_u32_e32 v16, 32, v12
	v_subrev_u32_e32 v12, 28, v16
	v_lshlrev_b64 v[12:13], v12, v[6:7]
	v_lshrrev_b32_e32 v15, 3, v8
	v_sub_u32_e32 v13, 29, v16
	v_and_b32_e32 v12, 7, v12
	v_cmp_gt_u32_e32 vcc, 8, v8
	v_cndmask_b32_e32 v8, v15, v13, vcc
	v_cndmask_b32_e32 v12, v14, v12, vcc
	v_lshlrev_b32_e32 v13, 24, v6
	v_lshlrev_b32_e32 v12, 20, v12
	v_and_b32_e32 v13, 0x80000000, v13
	v_lshl_add_u32 v8, v8, 23, v10
	v_or3_b32 v8, v13, v8, v12
	v_lshrrev_b32_e32 v12, 16, v8
.LBB755_848:                            ;   in Loop: Header=BB755_796 Depth=1
	s_or_b64 exec, exec, s[18:19]
.LBB755_849:                            ;   in Loop: Header=BB755_796 Depth=1
	s_or_b64 exec, exec, s[16:17]
.LBB755_850:                            ;   in Loop: Header=BB755_796 Depth=1
	s_or_b64 exec, exec, s[14:15]
	v_lshrrev_b16_e32 v8, 8, v6
	v_cmp_ne_u16_e32 vcc, 0, v8
	v_mov_b32_e32 v15, 0
	v_mov_b32_e32 v14, 0
	s_and_saveexec_b64 s[14:15], vcc
	s_cbranch_execz .LBB755_856
; %bb.851:                              ;   in Loop: Header=BB755_796 Depth=1
	v_cmp_ne_u16_e32 vcc, s21, v8
	v_mov_b32_e32 v14, 0xffff8000
	s_and_saveexec_b64 s[16:17], vcc
	s_cbranch_execz .LBB755_855
; %bb.852:                              ;   in Loop: Header=BB755_796 Depth=1
	v_and_b32_e32 v13, 0x7f, v8
	v_cmp_ne_u32_e32 vcc, s23, v13
	v_mov_b32_e32 v14, 0x7f80
	s_and_saveexec_b64 s[18:19], vcc
	s_cbranch_execz .LBB755_854
; %bb.853:                              ;   in Loop: Header=BB755_796 Depth=1
	v_and_b32_e32 v14, 7, v8
	v_ffbh_u32_e32 v16, v14
	v_min_u32_e32 v19, 32, v16
	v_subrev_u32_e32 v16, 28, v19
	v_lshlrev_b64 v[16:17], v16, v[8:9]
	v_lshrrev_b32_e32 v18, 3, v13
	v_sub_u32_e32 v8, 29, v19
	v_and_b32_e32 v16, 7, v16
	v_cmp_gt_u32_e32 vcc, 8, v13
	v_cndmask_b32_e32 v8, v18, v8, vcc
	v_cndmask_b32_e32 v13, v14, v16, vcc
	v_lshlrev_b32_e32 v14, 16, v6
	v_lshlrev_b32_e32 v13, 20, v13
	v_and_b32_e32 v14, 0x80000000, v14
	v_lshl_add_u32 v8, v8, 23, v10
	v_or3_b32 v8, v14, v8, v13
	v_lshrrev_b32_e32 v14, 16, v8
.LBB755_854:                            ;   in Loop: Header=BB755_796 Depth=1
	s_or_b64 exec, exec, s[18:19]
.LBB755_855:                            ;   in Loop: Header=BB755_796 Depth=1
	s_or_b64 exec, exec, s[16:17]
.LBB755_856:                            ;   in Loop: Header=BB755_796 Depth=1
	s_or_b64 exec, exec, s[14:15]
	v_lshrrev_b32_e32 v8, 16, v6
	v_cmp_ne_u16_sdwa s[16:17], v8, v9 src0_sel:BYTE_0 src1_sel:DWORD
	s_and_saveexec_b64 s[14:15], s[16:17]
	s_cbranch_execz .LBB755_862
; %bb.857:                              ;   in Loop: Header=BB755_796 Depth=1
	v_cmp_ne_u16_sdwa s[18:19], v8, s21 src0_sel:BYTE_0 src1_sel:DWORD
	v_mov_b32_e32 v15, 0xffff8000
	s_and_saveexec_b64 s[16:17], s[18:19]
	s_cbranch_execz .LBB755_861
; %bb.858:                              ;   in Loop: Header=BB755_796 Depth=1
	v_bfe_u32 v13, v6, 16, 7
	v_cmp_ne_u32_e32 vcc, s23, v13
	v_mov_b32_e32 v15, 0x7f80
	s_and_saveexec_b64 s[18:19], vcc
	s_cbranch_execz .LBB755_860
; %bb.859:                              ;   in Loop: Header=BB755_796 Depth=1
	v_and_b32_e32 v15, 7, v8
	v_ffbh_u32_e32 v16, v15
	v_min_u32_e32 v19, 32, v16
	v_subrev_u32_e32 v16, 28, v19
	v_lshlrev_b64 v[16:17], v16, v[8:9]
	v_lshrrev_b32_e32 v18, 3, v13
	v_sub_u32_e32 v17, 29, v19
	v_and_b32_e32 v16, 7, v16
	v_cmp_gt_u32_e32 vcc, 8, v13
	v_cndmask_b32_e32 v13, v18, v17, vcc
	v_cndmask_b32_e32 v15, v15, v16, vcc
	v_lshlrev_b32_e32 v8, 24, v8
	v_lshlrev_b32_e32 v15, 20, v15
	v_and_b32_e32 v8, 0x80000000, v8
	v_lshl_add_u32 v13, v13, 23, v10
	v_or3_b32 v8, v8, v13, v15
	v_lshrrev_b32_e32 v15, 16, v8
.LBB755_860:                            ;   in Loop: Header=BB755_796 Depth=1
	s_or_b64 exec, exec, s[18:19]
.LBB755_861:                            ;   in Loop: Header=BB755_796 Depth=1
	s_or_b64 exec, exec, s[16:17]
.LBB755_862:                            ;   in Loop: Header=BB755_796 Depth=1
	s_or_b64 exec, exec, s[14:15]
	v_cmp_lt_u32_e32 vcc, s25, v6
	v_mov_b32_e32 v16, 0
	v_mov_b32_e32 v17, 0
	s_and_saveexec_b64 s[14:15], vcc
	s_cbranch_execz .LBB755_868
; %bb.863:                              ;   in Loop: Header=BB755_796 Depth=1
	v_lshrrev_b32_e32 v8, 24, v6
	v_cmp_ne_u32_e32 vcc, s21, v8
	v_mov_b32_e32 v17, 0xffff8000
	s_and_saveexec_b64 s[16:17], vcc
	s_cbranch_execz .LBB755_867
; %bb.864:                              ;   in Loop: Header=BB755_796 Depth=1
	v_bfe_u32 v6, v6, 24, 7
	v_cmp_ne_u32_e32 vcc, s23, v6
	v_mov_b32_e32 v17, 0x7f80
	s_and_saveexec_b64 s[18:19], vcc
	s_cbranch_execz .LBB755_866
; %bb.865:                              ;   in Loop: Header=BB755_796 Depth=1
	v_and_b32_e32 v13, 7, v8
	v_ffbh_u32_e32 v18, v13
	v_min_u32_e32 v20, 32, v18
	v_subrev_u32_e32 v18, 28, v20
	v_lshlrev_b64 v[18:19], v18, v[8:9]
	v_lshrrev_b32_e32 v17, 3, v6
	v_sub_u32_e32 v19, 29, v20
	v_and_b32_e32 v18, 7, v18
	v_cmp_gt_u32_e32 vcc, 8, v6
	v_cndmask_b32_e32 v6, v17, v19, vcc
	v_cndmask_b32_e32 v13, v13, v18, vcc
	v_lshlrev_b32_e32 v8, 24, v8
	v_lshlrev_b32_e32 v13, 20, v13
	v_and_b32_e32 v8, 0x80000000, v8
	v_lshl_add_u32 v6, v6, 23, v10
	v_or3_b32 v6, v8, v6, v13
	v_lshrrev_b32_e32 v17, 16, v6
.LBB755_866:                            ;   in Loop: Header=BB755_796 Depth=1
	s_or_b64 exec, exec, s[18:19]
.LBB755_867:                            ;   in Loop: Header=BB755_796 Depth=1
	s_or_b64 exec, exec, s[16:17]
.LBB755_868:                            ;   in Loop: Header=BB755_796 Depth=1
	s_or_b64 exec, exec, s[14:15]
	s_waitcnt vmcnt(0)
	v_cmp_ne_u16_sdwa s[16:17], v4, v9 src0_sel:BYTE_0 src1_sel:DWORD
	s_and_saveexec_b64 s[14:15], s[16:17]
	s_cbranch_execz .LBB755_874
; %bb.869:                              ;   in Loop: Header=BB755_796 Depth=1
	v_cmp_ne_u16_sdwa s[18:19], v4, s21 src0_sel:BYTE_0 src1_sel:DWORD
	v_mov_b32_e32 v16, 0xffff8000
	s_and_saveexec_b64 s[16:17], s[18:19]
	s_cbranch_execz .LBB755_873
; %bb.870:                              ;   in Loop: Header=BB755_796 Depth=1
	v_and_b32_e32 v6, 0x7f, v4
	v_cmp_ne_u32_e32 vcc, s23, v6
	v_mov_b32_e32 v16, 0x7f80
	s_and_saveexec_b64 s[18:19], vcc
	s_cbranch_execz .LBB755_872
; %bb.871:                              ;   in Loop: Header=BB755_796 Depth=1
	v_and_b32_e32 v8, 7, v4
	v_ffbh_u32_e32 v16, v8
	v_min_u32_e32 v16, 32, v16
	v_subrev_u32_e32 v18, 28, v16
	v_lshlrev_b64 v[18:19], v18, v[4:5]
	v_lshrrev_b32_e32 v13, 3, v6
	v_sub_u32_e32 v16, 29, v16
	v_and_b32_e32 v18, 7, v18
	v_cmp_gt_u32_e32 vcc, 8, v6
	v_cndmask_b32_e32 v6, v13, v16, vcc
	v_cndmask_b32_e32 v8, v8, v18, vcc
	v_lshlrev_b32_e32 v13, 24, v4
	v_lshlrev_b32_e32 v8, 20, v8
	v_and_b32_e32 v13, 0x80000000, v13
	v_lshl_add_u32 v6, v6, 23, v10
	v_or3_b32 v6, v13, v6, v8
	v_lshrrev_b32_e32 v16, 16, v6
.LBB755_872:                            ;   in Loop: Header=BB755_796 Depth=1
	s_or_b64 exec, exec, s[18:19]
.LBB755_873:                            ;   in Loop: Header=BB755_796 Depth=1
	s_or_b64 exec, exec, s[16:17]
.LBB755_874:                            ;   in Loop: Header=BB755_796 Depth=1
	s_or_b64 exec, exec, s[14:15]
	v_lshrrev_b16_e32 v6, 8, v4
	v_cmp_ne_u16_e32 vcc, 0, v6
	v_mov_b32_e32 v18, 0
	v_mov_b32_e32 v8, 0
	s_and_saveexec_b64 s[14:15], vcc
	s_cbranch_execz .LBB755_880
; %bb.875:                              ;   in Loop: Header=BB755_796 Depth=1
	v_cmp_ne_u16_e32 vcc, s21, v6
	v_mov_b32_e32 v8, 0xffff8000
	s_and_saveexec_b64 s[16:17], vcc
	s_cbranch_execz .LBB755_879
; %bb.876:                              ;   in Loop: Header=BB755_796 Depth=1
	v_and_b32_e32 v13, 0x7f, v6
	v_cmp_ne_u32_e32 vcc, s23, v13
	v_mov_b32_e32 v8, 0x7f80
	s_and_saveexec_b64 s[18:19], vcc
	s_cbranch_execz .LBB755_878
; %bb.877:                              ;   in Loop: Header=BB755_796 Depth=1
	v_and_b32_e32 v8, 7, v6
	v_ffbh_u32_e32 v20, v8
	v_min_u32_e32 v22, 32, v20
	v_subrev_u32_e32 v20, 28, v22
	v_lshlrev_b64 v[20:21], v20, v[6:7]
	v_lshrrev_b32_e32 v19, 3, v13
	v_sub_u32_e32 v6, 29, v22
	v_and_b32_e32 v20, 7, v20
	v_cmp_gt_u32_e32 vcc, 8, v13
	v_cndmask_b32_e32 v6, v19, v6, vcc
	v_cndmask_b32_e32 v8, v8, v20, vcc
	v_lshlrev_b32_e32 v13, 16, v4
	v_lshlrev_b32_e32 v8, 20, v8
	v_and_b32_e32 v13, 0x80000000, v13
	v_lshl_add_u32 v6, v6, 23, v10
	v_or3_b32 v6, v13, v6, v8
	v_lshrrev_b32_e32 v8, 16, v6
.LBB755_878:                            ;   in Loop: Header=BB755_796 Depth=1
	s_or_b64 exec, exec, s[18:19]
.LBB755_879:                            ;   in Loop: Header=BB755_796 Depth=1
	s_or_b64 exec, exec, s[16:17]
.LBB755_880:                            ;   in Loop: Header=BB755_796 Depth=1
	s_or_b64 exec, exec, s[14:15]
	v_lshrrev_b32_e32 v6, 16, v4
	v_cmp_ne_u16_sdwa s[16:17], v6, v9 src0_sel:BYTE_0 src1_sel:DWORD
	s_and_saveexec_b64 s[14:15], s[16:17]
	s_cbranch_execz .LBB755_886
; %bb.881:                              ;   in Loop: Header=BB755_796 Depth=1
	v_cmp_ne_u16_sdwa s[18:19], v6, s21 src0_sel:BYTE_0 src1_sel:DWORD
	v_mov_b32_e32 v18, 0xffff8000
	s_and_saveexec_b64 s[16:17], s[18:19]
	s_cbranch_execz .LBB755_885
; %bb.882:                              ;   in Loop: Header=BB755_796 Depth=1
	v_bfe_u32 v13, v4, 16, 7
	v_cmp_ne_u32_e32 vcc, s23, v13
	v_mov_b32_e32 v18, 0x7f80
	s_and_saveexec_b64 s[18:19], vcc
	s_cbranch_execz .LBB755_884
; %bb.883:                              ;   in Loop: Header=BB755_796 Depth=1
	v_and_b32_e32 v20, 7, v6
	v_ffbh_u32_e32 v18, v20
	v_min_u32_e32 v22, 32, v18
	v_subrev_u32_e32 v18, 28, v22
	v_lshlrev_b64 v[18:19], v18, v[6:7]
	v_lshrrev_b32_e32 v21, 3, v13
	v_sub_u32_e32 v19, 29, v22
	v_and_b32_e32 v18, 7, v18
	v_cmp_gt_u32_e32 vcc, 8, v13
	v_cndmask_b32_e32 v13, v21, v19, vcc
	v_cndmask_b32_e32 v18, v20, v18, vcc
	v_lshlrev_b32_e32 v6, 24, v6
	v_lshlrev_b32_e32 v18, 20, v18
	v_and_b32_e32 v6, 0x80000000, v6
	v_lshl_add_u32 v13, v13, 23, v10
	v_or3_b32 v6, v6, v13, v18
	v_lshrrev_b32_e32 v18, 16, v6
.LBB755_884:                            ;   in Loop: Header=BB755_796 Depth=1
	s_or_b64 exec, exec, s[18:19]
.LBB755_885:                            ;   in Loop: Header=BB755_796 Depth=1
	s_or_b64 exec, exec, s[16:17]
.LBB755_886:                            ;   in Loop: Header=BB755_796 Depth=1
	s_or_b64 exec, exec, s[14:15]
	v_cmp_lt_u32_e32 vcc, s25, v4
	v_mov_b32_e32 v13, 0
	v_mov_b32_e32 v19, 0
	s_and_saveexec_b64 s[14:15], vcc
	s_cbranch_execz .LBB755_892
; %bb.887:                              ;   in Loop: Header=BB755_796 Depth=1
	v_lshrrev_b32_e32 v6, 24, v4
	v_cmp_ne_u32_e32 vcc, s21, v6
	v_mov_b32_e32 v19, 0xffff8000
	s_and_saveexec_b64 s[16:17], vcc
	s_cbranch_execz .LBB755_891
; %bb.888:                              ;   in Loop: Header=BB755_796 Depth=1
	v_bfe_u32 v4, v4, 24, 7
	v_cmp_ne_u32_e32 vcc, s23, v4
	v_mov_b32_e32 v19, 0x7f80
	s_and_saveexec_b64 s[18:19], vcc
	s_cbranch_execz .LBB755_890
; %bb.889:                              ;   in Loop: Header=BB755_796 Depth=1
	v_and_b32_e32 v19, 7, v6
	v_ffbh_u32_e32 v20, v19
	v_min_u32_e32 v23, 32, v20
	v_subrev_u32_e32 v20, 28, v23
	v_lshlrev_b64 v[20:21], v20, v[6:7]
	v_lshrrev_b32_e32 v22, 3, v4
	v_sub_u32_e32 v21, 29, v23
	v_and_b32_e32 v20, 7, v20
	v_cmp_gt_u32_e32 vcc, 8, v4
	v_cndmask_b32_e32 v4, v22, v21, vcc
	v_cndmask_b32_e32 v19, v19, v20, vcc
	v_lshlrev_b32_e32 v6, 24, v6
	v_lshlrev_b32_e32 v19, 20, v19
	v_and_b32_e32 v6, 0x80000000, v6
	v_lshl_add_u32 v4, v4, 23, v10
	v_or3_b32 v4, v6, v4, v19
	v_lshrrev_b32_e32 v19, 16, v4
.LBB755_890:                            ;   in Loop: Header=BB755_796 Depth=1
	s_or_b64 exec, exec, s[18:19]
.LBB755_891:                            ;   in Loop: Header=BB755_796 Depth=1
	s_or_b64 exec, exec, s[16:17]
.LBB755_892:                            ;   in Loop: Header=BB755_796 Depth=1
	s_or_b64 exec, exec, s[14:15]
	buffer_load_dword v6, v11, s[0:3], 0 offen offset:16
	buffer_load_dword v4, v11, s[0:3], 0 offen offset:20
	v_perm_b32 v15, v17, v15, s28
	v_perm_b32 v14, v14, v12, s28
	v_perm_b32 v17, v19, v18, s28
	v_perm_b32 v16, v8, v16, s28
	v_mfma_f32_4x4x4bf16_1k a[0:3], v[2:3], v[14:15], a[0:3] cbsz:4 abid:2
	s_waitcnt vmcnt(1)
	v_cmp_ne_u16_sdwa s[16:17], v6, v9 src0_sel:BYTE_0 src1_sel:DWORD
	v_mfma_f32_4x4x4bf16_1k a[0:3], v[2:3], v[16:17], a[0:3] cbsz:4 abid:3
	s_and_saveexec_b64 s[14:15], s[16:17]
	s_cbranch_execz .LBB755_898
; %bb.893:                              ;   in Loop: Header=BB755_796 Depth=1
	v_cmp_ne_u16_sdwa s[18:19], v6, s21 src0_sel:BYTE_0 src1_sel:DWORD
	v_mov_b32_e32 v13, 0xffff8000
	s_and_saveexec_b64 s[16:17], s[18:19]
	s_cbranch_execz .LBB755_897
; %bb.894:                              ;   in Loop: Header=BB755_796 Depth=1
	v_and_b32_e32 v8, 0x7f, v6
	v_cmp_ne_u32_e32 vcc, s23, v8
	v_mov_b32_e32 v13, 0x7f80
	s_and_saveexec_b64 s[18:19], vcc
	s_cbranch_execz .LBB755_896
; %bb.895:                              ;   in Loop: Header=BB755_796 Depth=1
	v_and_b32_e32 v14, 7, v6
	v_ffbh_u32_e32 v12, v14
	v_min_u32_e32 v16, 32, v12
	v_subrev_u32_e32 v12, 28, v16
	v_lshlrev_b64 v[12:13], v12, v[6:7]
	v_lshrrev_b32_e32 v15, 3, v8
	v_sub_u32_e32 v13, 29, v16
	v_and_b32_e32 v12, 7, v12
	v_cmp_gt_u32_e32 vcc, 8, v8
	v_cndmask_b32_e32 v8, v15, v13, vcc
	v_cndmask_b32_e32 v12, v14, v12, vcc
	v_lshlrev_b32_e32 v13, 24, v6
	v_lshlrev_b32_e32 v12, 20, v12
	v_and_b32_e32 v13, 0x80000000, v13
	v_lshl_add_u32 v8, v8, 23, v10
	v_or3_b32 v8, v13, v8, v12
	v_lshrrev_b32_e32 v13, 16, v8
.LBB755_896:                            ;   in Loop: Header=BB755_796 Depth=1
	s_or_b64 exec, exec, s[18:19]
.LBB755_897:                            ;   in Loop: Header=BB755_796 Depth=1
	s_or_b64 exec, exec, s[16:17]
.LBB755_898:                            ;   in Loop: Header=BB755_796 Depth=1
	s_or_b64 exec, exec, s[14:15]
	v_lshrrev_b16_e32 v8, 8, v6
	v_cmp_ne_u16_e32 vcc, 0, v8
	v_mov_b32_e32 v15, 0
	v_mov_b32_e32 v14, 0
	s_and_saveexec_b64 s[14:15], vcc
	s_cbranch_execz .LBB755_904
; %bb.899:                              ;   in Loop: Header=BB755_796 Depth=1
	v_cmp_ne_u16_e32 vcc, s21, v8
	v_mov_b32_e32 v14, 0xffff8000
	s_and_saveexec_b64 s[16:17], vcc
	s_cbranch_execz .LBB755_903
; %bb.900:                              ;   in Loop: Header=BB755_796 Depth=1
	v_and_b32_e32 v12, 0x7f, v8
	v_cmp_ne_u32_e32 vcc, s23, v12
	v_mov_b32_e32 v14, 0x7f80
	s_and_saveexec_b64 s[18:19], vcc
	s_cbranch_execz .LBB755_902
; %bb.901:                              ;   in Loop: Header=BB755_796 Depth=1
	v_and_b32_e32 v14, 7, v8
	v_ffbh_u32_e32 v16, v14
	v_min_u32_e32 v19, 32, v16
	v_subrev_u32_e32 v16, 28, v19
	v_lshlrev_b64 v[16:17], v16, v[8:9]
	v_lshrrev_b32_e32 v18, 3, v12
	v_sub_u32_e32 v8, 29, v19
	v_and_b32_e32 v16, 7, v16
	v_cmp_gt_u32_e32 vcc, 8, v12
	v_cndmask_b32_e32 v8, v18, v8, vcc
	v_cndmask_b32_e32 v12, v14, v16, vcc
	v_lshlrev_b32_e32 v14, 16, v6
	v_lshlrev_b32_e32 v12, 20, v12
	v_and_b32_e32 v14, 0x80000000, v14
	v_lshl_add_u32 v8, v8, 23, v10
	v_or3_b32 v8, v14, v8, v12
	v_lshrrev_b32_e32 v14, 16, v8
.LBB755_902:                            ;   in Loop: Header=BB755_796 Depth=1
	s_or_b64 exec, exec, s[18:19]
.LBB755_903:                            ;   in Loop: Header=BB755_796 Depth=1
	s_or_b64 exec, exec, s[16:17]
.LBB755_904:                            ;   in Loop: Header=BB755_796 Depth=1
	s_or_b64 exec, exec, s[14:15]
	v_lshrrev_b32_e32 v8, 16, v6
	v_cmp_ne_u16_sdwa s[16:17], v8, v9 src0_sel:BYTE_0 src1_sel:DWORD
	s_and_saveexec_b64 s[14:15], s[16:17]
	s_cbranch_execz .LBB755_910
; %bb.905:                              ;   in Loop: Header=BB755_796 Depth=1
	v_cmp_ne_u16_sdwa s[18:19], v8, s21 src0_sel:BYTE_0 src1_sel:DWORD
	v_mov_b32_e32 v15, 0xffff8000
	s_and_saveexec_b64 s[16:17], s[18:19]
	s_cbranch_execz .LBB755_909
; %bb.906:                              ;   in Loop: Header=BB755_796 Depth=1
	v_bfe_u32 v12, v6, 16, 7
	v_cmp_ne_u32_e32 vcc, s23, v12
	v_mov_b32_e32 v15, 0x7f80
	s_and_saveexec_b64 s[18:19], vcc
	s_cbranch_execz .LBB755_908
; %bb.907:                              ;   in Loop: Header=BB755_796 Depth=1
	v_and_b32_e32 v15, 7, v8
	v_ffbh_u32_e32 v16, v15
	v_min_u32_e32 v19, 32, v16
	v_subrev_u32_e32 v16, 28, v19
	v_lshlrev_b64 v[16:17], v16, v[8:9]
	v_lshrrev_b32_e32 v18, 3, v12
	v_sub_u32_e32 v17, 29, v19
	v_and_b32_e32 v16, 7, v16
	v_cmp_gt_u32_e32 vcc, 8, v12
	v_cndmask_b32_e32 v12, v18, v17, vcc
	v_cndmask_b32_e32 v15, v15, v16, vcc
	v_lshlrev_b32_e32 v8, 24, v8
	v_lshlrev_b32_e32 v15, 20, v15
	v_and_b32_e32 v8, 0x80000000, v8
	v_lshl_add_u32 v12, v12, 23, v10
	v_or3_b32 v8, v8, v12, v15
	v_lshrrev_b32_e32 v15, 16, v8
.LBB755_908:                            ;   in Loop: Header=BB755_796 Depth=1
	s_or_b64 exec, exec, s[18:19]
.LBB755_909:                            ;   in Loop: Header=BB755_796 Depth=1
	s_or_b64 exec, exec, s[16:17]
.LBB755_910:                            ;   in Loop: Header=BB755_796 Depth=1
	s_or_b64 exec, exec, s[14:15]
	v_cmp_lt_u32_e32 vcc, s25, v6
	v_mov_b32_e32 v16, 0
	v_mov_b32_e32 v17, 0
	s_and_saveexec_b64 s[14:15], vcc
	s_cbranch_execz .LBB755_916
; %bb.911:                              ;   in Loop: Header=BB755_796 Depth=1
	v_lshrrev_b32_e32 v8, 24, v6
	v_cmp_ne_u32_e32 vcc, s21, v8
	v_mov_b32_e32 v17, 0xffff8000
	s_and_saveexec_b64 s[16:17], vcc
	s_cbranch_execz .LBB755_915
; %bb.912:                              ;   in Loop: Header=BB755_796 Depth=1
	v_bfe_u32 v6, v6, 24, 7
	v_cmp_ne_u32_e32 vcc, s23, v6
	v_mov_b32_e32 v17, 0x7f80
	s_and_saveexec_b64 s[18:19], vcc
	s_cbranch_execz .LBB755_914
; %bb.913:                              ;   in Loop: Header=BB755_796 Depth=1
	v_and_b32_e32 v12, 7, v8
	v_ffbh_u32_e32 v18, v12
	v_min_u32_e32 v20, 32, v18
	v_subrev_u32_e32 v18, 28, v20
	v_lshlrev_b64 v[18:19], v18, v[8:9]
	v_lshrrev_b32_e32 v17, 3, v6
	v_sub_u32_e32 v19, 29, v20
	v_and_b32_e32 v18, 7, v18
	v_cmp_gt_u32_e32 vcc, 8, v6
	v_cndmask_b32_e32 v6, v17, v19, vcc
	v_cndmask_b32_e32 v12, v12, v18, vcc
	v_lshlrev_b32_e32 v8, 24, v8
	v_lshlrev_b32_e32 v12, 20, v12
	v_and_b32_e32 v8, 0x80000000, v8
	v_lshl_add_u32 v6, v6, 23, v10
	v_or3_b32 v6, v8, v6, v12
	v_lshrrev_b32_e32 v17, 16, v6
.LBB755_914:                            ;   in Loop: Header=BB755_796 Depth=1
	s_or_b64 exec, exec, s[18:19]
.LBB755_915:                            ;   in Loop: Header=BB755_796 Depth=1
	s_or_b64 exec, exec, s[16:17]
.LBB755_916:                            ;   in Loop: Header=BB755_796 Depth=1
	s_or_b64 exec, exec, s[14:15]
	s_waitcnt vmcnt(0)
	v_cmp_ne_u16_sdwa s[16:17], v4, v9 src0_sel:BYTE_0 src1_sel:DWORD
	s_and_saveexec_b64 s[14:15], s[16:17]
	s_cbranch_execz .LBB755_922
; %bb.917:                              ;   in Loop: Header=BB755_796 Depth=1
	v_cmp_ne_u16_sdwa s[18:19], v4, s21 src0_sel:BYTE_0 src1_sel:DWORD
	v_mov_b32_e32 v16, 0xffff8000
	s_and_saveexec_b64 s[16:17], s[18:19]
	s_cbranch_execz .LBB755_921
; %bb.918:                              ;   in Loop: Header=BB755_796 Depth=1
	v_and_b32_e32 v6, 0x7f, v4
	v_cmp_ne_u32_e32 vcc, s23, v6
	v_mov_b32_e32 v16, 0x7f80
	s_and_saveexec_b64 s[18:19], vcc
	s_cbranch_execz .LBB755_920
; %bb.919:                              ;   in Loop: Header=BB755_796 Depth=1
	v_and_b32_e32 v8, 7, v4
	v_ffbh_u32_e32 v16, v8
	v_min_u32_e32 v16, 32, v16
	v_subrev_u32_e32 v18, 28, v16
	v_lshlrev_b64 v[18:19], v18, v[4:5]
	v_lshrrev_b32_e32 v12, 3, v6
	v_sub_u32_e32 v16, 29, v16
	v_and_b32_e32 v18, 7, v18
	v_cmp_gt_u32_e32 vcc, 8, v6
	v_cndmask_b32_e32 v6, v12, v16, vcc
	v_cndmask_b32_e32 v8, v8, v18, vcc
	v_lshlrev_b32_e32 v12, 24, v4
	v_lshlrev_b32_e32 v8, 20, v8
	v_and_b32_e32 v12, 0x80000000, v12
	v_lshl_add_u32 v6, v6, 23, v10
	v_or3_b32 v6, v12, v6, v8
	v_lshrrev_b32_e32 v16, 16, v6
.LBB755_920:                            ;   in Loop: Header=BB755_796 Depth=1
	s_or_b64 exec, exec, s[18:19]
.LBB755_921:                            ;   in Loop: Header=BB755_796 Depth=1
	s_or_b64 exec, exec, s[16:17]
.LBB755_922:                            ;   in Loop: Header=BB755_796 Depth=1
	s_or_b64 exec, exec, s[14:15]
	v_lshrrev_b16_e32 v6, 8, v4
	v_cmp_ne_u16_e32 vcc, 0, v6
	v_mov_b32_e32 v18, 0
	v_mov_b32_e32 v8, 0
	s_and_saveexec_b64 s[14:15], vcc
	s_cbranch_execz .LBB755_928
; %bb.923:                              ;   in Loop: Header=BB755_796 Depth=1
	v_cmp_ne_u16_e32 vcc, s21, v6
	v_mov_b32_e32 v8, 0xffff8000
	s_and_saveexec_b64 s[16:17], vcc
	s_cbranch_execz .LBB755_927
; %bb.924:                              ;   in Loop: Header=BB755_796 Depth=1
	v_and_b32_e32 v12, 0x7f, v6
	v_cmp_ne_u32_e32 vcc, s23, v12
	v_mov_b32_e32 v8, 0x7f80
	s_and_saveexec_b64 s[18:19], vcc
	s_cbranch_execz .LBB755_926
; %bb.925:                              ;   in Loop: Header=BB755_796 Depth=1
	v_and_b32_e32 v8, 7, v6
	v_ffbh_u32_e32 v20, v8
	v_min_u32_e32 v22, 32, v20
	v_subrev_u32_e32 v20, 28, v22
	v_lshlrev_b64 v[20:21], v20, v[6:7]
	v_lshrrev_b32_e32 v19, 3, v12
	v_sub_u32_e32 v6, 29, v22
	v_and_b32_e32 v20, 7, v20
	v_cmp_gt_u32_e32 vcc, 8, v12
	v_cndmask_b32_e32 v6, v19, v6, vcc
	v_cndmask_b32_e32 v8, v8, v20, vcc
	v_lshlrev_b32_e32 v12, 16, v4
	v_lshlrev_b32_e32 v8, 20, v8
	v_and_b32_e32 v12, 0x80000000, v12
	v_lshl_add_u32 v6, v6, 23, v10
	v_or3_b32 v6, v12, v6, v8
	v_lshrrev_b32_e32 v8, 16, v6
.LBB755_926:                            ;   in Loop: Header=BB755_796 Depth=1
	s_or_b64 exec, exec, s[18:19]
.LBB755_927:                            ;   in Loop: Header=BB755_796 Depth=1
	s_or_b64 exec, exec, s[16:17]
.LBB755_928:                            ;   in Loop: Header=BB755_796 Depth=1
	s_or_b64 exec, exec, s[14:15]
	v_lshrrev_b32_e32 v6, 16, v4
	v_cmp_ne_u16_sdwa s[16:17], v6, v9 src0_sel:BYTE_0 src1_sel:DWORD
	s_and_saveexec_b64 s[14:15], s[16:17]
	s_cbranch_execz .LBB755_934
; %bb.929:                              ;   in Loop: Header=BB755_796 Depth=1
	v_cmp_ne_u16_sdwa s[18:19], v6, s21 src0_sel:BYTE_0 src1_sel:DWORD
	v_mov_b32_e32 v18, 0xffff8000
	s_and_saveexec_b64 s[16:17], s[18:19]
	s_cbranch_execz .LBB755_933
; %bb.930:                              ;   in Loop: Header=BB755_796 Depth=1
	v_bfe_u32 v12, v4, 16, 7
	v_cmp_ne_u32_e32 vcc, s23, v12
	v_mov_b32_e32 v18, 0x7f80
	s_and_saveexec_b64 s[18:19], vcc
	s_cbranch_execz .LBB755_932
; %bb.931:                              ;   in Loop: Header=BB755_796 Depth=1
	v_and_b32_e32 v20, 7, v6
	v_ffbh_u32_e32 v18, v20
	v_min_u32_e32 v22, 32, v18
	v_subrev_u32_e32 v18, 28, v22
	v_lshlrev_b64 v[18:19], v18, v[6:7]
	v_lshrrev_b32_e32 v21, 3, v12
	v_sub_u32_e32 v19, 29, v22
	v_and_b32_e32 v18, 7, v18
	v_cmp_gt_u32_e32 vcc, 8, v12
	v_cndmask_b32_e32 v12, v21, v19, vcc
	v_cndmask_b32_e32 v18, v20, v18, vcc
	v_lshlrev_b32_e32 v6, 24, v6
	v_lshlrev_b32_e32 v18, 20, v18
	v_and_b32_e32 v6, 0x80000000, v6
	v_lshl_add_u32 v12, v12, 23, v10
	v_or3_b32 v6, v6, v12, v18
	v_lshrrev_b32_e32 v18, 16, v6
.LBB755_932:                            ;   in Loop: Header=BB755_796 Depth=1
	s_or_b64 exec, exec, s[18:19]
.LBB755_933:                            ;   in Loop: Header=BB755_796 Depth=1
	s_or_b64 exec, exec, s[16:17]
.LBB755_934:                            ;   in Loop: Header=BB755_796 Depth=1
	s_or_b64 exec, exec, s[14:15]
	v_cmp_lt_u32_e32 vcc, s25, v4
	v_mov_b32_e32 v12, 0
	v_mov_b32_e32 v19, 0
	s_and_saveexec_b64 s[14:15], vcc
	s_cbranch_execz .LBB755_940
; %bb.935:                              ;   in Loop: Header=BB755_796 Depth=1
	v_lshrrev_b32_e32 v6, 24, v4
	v_cmp_ne_u32_e32 vcc, s21, v6
	v_mov_b32_e32 v19, 0xffff8000
	s_and_saveexec_b64 s[16:17], vcc
	s_cbranch_execz .LBB755_939
; %bb.936:                              ;   in Loop: Header=BB755_796 Depth=1
	v_bfe_u32 v4, v4, 24, 7
	v_cmp_ne_u32_e32 vcc, s23, v4
	v_mov_b32_e32 v19, 0x7f80
	s_and_saveexec_b64 s[18:19], vcc
	s_cbranch_execz .LBB755_938
; %bb.937:                              ;   in Loop: Header=BB755_796 Depth=1
	v_and_b32_e32 v19, 7, v6
	v_ffbh_u32_e32 v20, v19
	v_min_u32_e32 v23, 32, v20
	v_subrev_u32_e32 v20, 28, v23
	v_lshlrev_b64 v[20:21], v20, v[6:7]
	v_lshrrev_b32_e32 v22, 3, v4
	v_sub_u32_e32 v21, 29, v23
	v_and_b32_e32 v20, 7, v20
	v_cmp_gt_u32_e32 vcc, 8, v4
	v_cndmask_b32_e32 v4, v22, v21, vcc
	v_cndmask_b32_e32 v19, v19, v20, vcc
	v_lshlrev_b32_e32 v6, 24, v6
	v_lshlrev_b32_e32 v19, 20, v19
	v_and_b32_e32 v6, 0x80000000, v6
	v_lshl_add_u32 v4, v4, 23, v10
	v_or3_b32 v4, v6, v4, v19
	v_lshrrev_b32_e32 v19, 16, v4
.LBB755_938:                            ;   in Loop: Header=BB755_796 Depth=1
	s_or_b64 exec, exec, s[18:19]
.LBB755_939:                            ;   in Loop: Header=BB755_796 Depth=1
	s_or_b64 exec, exec, s[16:17]
.LBB755_940:                            ;   in Loop: Header=BB755_796 Depth=1
	s_or_b64 exec, exec, s[14:15]
	buffer_load_dword v6, v11, s[0:3], 0 offen offset:24
	buffer_load_dword v4, v11, s[0:3], 0 offen offset:28
	v_perm_b32 v15, v17, v15, s28
	v_perm_b32 v14, v14, v13, s28
	;; [unrolled: 1-line block ×4, first 2 shown]
	v_mfma_f32_4x4x4bf16_1k a[0:3], v[2:3], v[14:15], a[0:3] cbsz:4 abid:4
	s_waitcnt vmcnt(1)
	v_cmp_ne_u16_sdwa s[16:17], v6, v9 src0_sel:BYTE_0 src1_sel:DWORD
	v_mfma_f32_4x4x4bf16_1k a[0:3], v[2:3], v[16:17], a[0:3] cbsz:4 abid:5
	s_and_saveexec_b64 s[14:15], s[16:17]
	s_cbranch_execz .LBB755_946
; %bb.941:                              ;   in Loop: Header=BB755_796 Depth=1
	v_cmp_ne_u16_sdwa s[18:19], v6, s21 src0_sel:BYTE_0 src1_sel:DWORD
	v_mov_b32_e32 v12, 0xffff8000
	s_and_saveexec_b64 s[16:17], s[18:19]
	s_cbranch_execz .LBB755_945
; %bb.942:                              ;   in Loop: Header=BB755_796 Depth=1
	v_and_b32_e32 v8, 0x7f, v6
	v_cmp_ne_u32_e32 vcc, s23, v8
	v_mov_b32_e32 v12, 0x7f80
	s_and_saveexec_b64 s[18:19], vcc
	s_cbranch_execz .LBB755_944
; %bb.943:                              ;   in Loop: Header=BB755_796 Depth=1
	v_and_b32_e32 v14, 7, v6
	v_ffbh_u32_e32 v12, v14
	v_min_u32_e32 v16, 32, v12
	v_subrev_u32_e32 v12, 28, v16
	v_lshlrev_b64 v[12:13], v12, v[6:7]
	v_lshrrev_b32_e32 v15, 3, v8
	v_sub_u32_e32 v13, 29, v16
	v_and_b32_e32 v12, 7, v12
	v_cmp_gt_u32_e32 vcc, 8, v8
	v_cndmask_b32_e32 v8, v15, v13, vcc
	v_cndmask_b32_e32 v12, v14, v12, vcc
	v_lshlrev_b32_e32 v13, 24, v6
	v_lshlrev_b32_e32 v12, 20, v12
	v_and_b32_e32 v13, 0x80000000, v13
	v_lshl_add_u32 v8, v8, 23, v10
	v_or3_b32 v8, v13, v8, v12
	v_lshrrev_b32_e32 v12, 16, v8
.LBB755_944:                            ;   in Loop: Header=BB755_796 Depth=1
	s_or_b64 exec, exec, s[18:19]
.LBB755_945:                            ;   in Loop: Header=BB755_796 Depth=1
	s_or_b64 exec, exec, s[16:17]
.LBB755_946:                            ;   in Loop: Header=BB755_796 Depth=1
	s_or_b64 exec, exec, s[14:15]
	v_lshrrev_b16_e32 v8, 8, v6
	v_cmp_ne_u16_e32 vcc, 0, v8
	v_mov_b32_e32 v15, 0
	v_mov_b32_e32 v14, 0
	s_and_saveexec_b64 s[14:15], vcc
	s_cbranch_execz .LBB755_952
; %bb.947:                              ;   in Loop: Header=BB755_796 Depth=1
	v_cmp_ne_u16_e32 vcc, s21, v8
	v_mov_b32_e32 v14, 0xffff8000
	s_and_saveexec_b64 s[16:17], vcc
	s_cbranch_execz .LBB755_951
; %bb.948:                              ;   in Loop: Header=BB755_796 Depth=1
	v_and_b32_e32 v13, 0x7f, v8
	v_cmp_ne_u32_e32 vcc, s23, v13
	v_mov_b32_e32 v14, 0x7f80
	s_and_saveexec_b64 s[18:19], vcc
	s_cbranch_execz .LBB755_950
; %bb.949:                              ;   in Loop: Header=BB755_796 Depth=1
	v_and_b32_e32 v14, 7, v8
	v_ffbh_u32_e32 v16, v14
	v_min_u32_e32 v19, 32, v16
	v_subrev_u32_e32 v16, 28, v19
	v_lshlrev_b64 v[16:17], v16, v[8:9]
	v_lshrrev_b32_e32 v18, 3, v13
	v_sub_u32_e32 v8, 29, v19
	v_and_b32_e32 v16, 7, v16
	v_cmp_gt_u32_e32 vcc, 8, v13
	v_cndmask_b32_e32 v8, v18, v8, vcc
	v_cndmask_b32_e32 v13, v14, v16, vcc
	v_lshlrev_b32_e32 v14, 16, v6
	v_lshlrev_b32_e32 v13, 20, v13
	v_and_b32_e32 v14, 0x80000000, v14
	v_lshl_add_u32 v8, v8, 23, v10
	v_or3_b32 v8, v14, v8, v13
	v_lshrrev_b32_e32 v14, 16, v8
.LBB755_950:                            ;   in Loop: Header=BB755_796 Depth=1
	s_or_b64 exec, exec, s[18:19]
.LBB755_951:                            ;   in Loop: Header=BB755_796 Depth=1
	s_or_b64 exec, exec, s[16:17]
.LBB755_952:                            ;   in Loop: Header=BB755_796 Depth=1
	s_or_b64 exec, exec, s[14:15]
	v_lshrrev_b32_e32 v8, 16, v6
	v_cmp_ne_u16_sdwa s[16:17], v8, v9 src0_sel:BYTE_0 src1_sel:DWORD
	s_and_saveexec_b64 s[14:15], s[16:17]
	s_cbranch_execz .LBB755_958
; %bb.953:                              ;   in Loop: Header=BB755_796 Depth=1
	v_cmp_ne_u16_sdwa s[18:19], v8, s21 src0_sel:BYTE_0 src1_sel:DWORD
	v_mov_b32_e32 v15, 0xffff8000
	s_and_saveexec_b64 s[16:17], s[18:19]
	s_cbranch_execz .LBB755_957
; %bb.954:                              ;   in Loop: Header=BB755_796 Depth=1
	v_bfe_u32 v13, v6, 16, 7
	v_cmp_ne_u32_e32 vcc, s23, v13
	v_mov_b32_e32 v15, 0x7f80
	s_and_saveexec_b64 s[18:19], vcc
	s_cbranch_execz .LBB755_956
; %bb.955:                              ;   in Loop: Header=BB755_796 Depth=1
	v_and_b32_e32 v15, 7, v8
	v_ffbh_u32_e32 v16, v15
	v_min_u32_e32 v19, 32, v16
	v_subrev_u32_e32 v16, 28, v19
	v_lshlrev_b64 v[16:17], v16, v[8:9]
	v_lshrrev_b32_e32 v18, 3, v13
	v_sub_u32_e32 v17, 29, v19
	v_and_b32_e32 v16, 7, v16
	v_cmp_gt_u32_e32 vcc, 8, v13
	v_cndmask_b32_e32 v13, v18, v17, vcc
	v_cndmask_b32_e32 v15, v15, v16, vcc
	v_lshlrev_b32_e32 v8, 24, v8
	v_lshlrev_b32_e32 v15, 20, v15
	v_and_b32_e32 v8, 0x80000000, v8
	v_lshl_add_u32 v13, v13, 23, v10
	v_or3_b32 v8, v8, v13, v15
	v_lshrrev_b32_e32 v15, 16, v8
.LBB755_956:                            ;   in Loop: Header=BB755_796 Depth=1
	s_or_b64 exec, exec, s[18:19]
.LBB755_957:                            ;   in Loop: Header=BB755_796 Depth=1
	s_or_b64 exec, exec, s[16:17]
.LBB755_958:                            ;   in Loop: Header=BB755_796 Depth=1
	s_or_b64 exec, exec, s[14:15]
	v_cmp_lt_u32_e32 vcc, s25, v6
	v_mov_b32_e32 v16, 0
	v_mov_b32_e32 v17, 0
	s_and_saveexec_b64 s[14:15], vcc
	s_cbranch_execz .LBB755_964
; %bb.959:                              ;   in Loop: Header=BB755_796 Depth=1
	v_lshrrev_b32_e32 v8, 24, v6
	v_cmp_ne_u32_e32 vcc, s21, v8
	v_mov_b32_e32 v17, 0xffff8000
	s_and_saveexec_b64 s[16:17], vcc
	s_cbranch_execz .LBB755_963
; %bb.960:                              ;   in Loop: Header=BB755_796 Depth=1
	v_bfe_u32 v6, v6, 24, 7
	v_cmp_ne_u32_e32 vcc, s23, v6
	v_mov_b32_e32 v17, 0x7f80
	s_and_saveexec_b64 s[18:19], vcc
	s_cbranch_execz .LBB755_962
; %bb.961:                              ;   in Loop: Header=BB755_796 Depth=1
	v_and_b32_e32 v13, 7, v8
	v_ffbh_u32_e32 v18, v13
	v_min_u32_e32 v20, 32, v18
	v_subrev_u32_e32 v18, 28, v20
	v_lshlrev_b64 v[18:19], v18, v[8:9]
	v_lshrrev_b32_e32 v17, 3, v6
	v_sub_u32_e32 v19, 29, v20
	v_and_b32_e32 v18, 7, v18
	v_cmp_gt_u32_e32 vcc, 8, v6
	v_cndmask_b32_e32 v6, v17, v19, vcc
	v_cndmask_b32_e32 v13, v13, v18, vcc
	v_lshlrev_b32_e32 v8, 24, v8
	v_lshlrev_b32_e32 v13, 20, v13
	v_and_b32_e32 v8, 0x80000000, v8
	v_lshl_add_u32 v6, v6, 23, v10
	v_or3_b32 v6, v8, v6, v13
	v_lshrrev_b32_e32 v17, 16, v6
.LBB755_962:                            ;   in Loop: Header=BB755_796 Depth=1
	s_or_b64 exec, exec, s[18:19]
.LBB755_963:                            ;   in Loop: Header=BB755_796 Depth=1
	s_or_b64 exec, exec, s[16:17]
.LBB755_964:                            ;   in Loop: Header=BB755_796 Depth=1
	s_or_b64 exec, exec, s[14:15]
	s_waitcnt vmcnt(0)
	v_cmp_ne_u16_sdwa s[16:17], v4, v9 src0_sel:BYTE_0 src1_sel:DWORD
	s_and_saveexec_b64 s[14:15], s[16:17]
	s_cbranch_execz .LBB755_970
; %bb.965:                              ;   in Loop: Header=BB755_796 Depth=1
	v_cmp_ne_u16_sdwa s[18:19], v4, s21 src0_sel:BYTE_0 src1_sel:DWORD
	v_mov_b32_e32 v16, 0xffff8000
	s_and_saveexec_b64 s[16:17], s[18:19]
	s_cbranch_execz .LBB755_969
; %bb.966:                              ;   in Loop: Header=BB755_796 Depth=1
	v_and_b32_e32 v6, 0x7f, v4
	v_cmp_ne_u32_e32 vcc, s23, v6
	v_mov_b32_e32 v16, 0x7f80
	s_and_saveexec_b64 s[18:19], vcc
	s_cbranch_execz .LBB755_968
; %bb.967:                              ;   in Loop: Header=BB755_796 Depth=1
	v_and_b32_e32 v8, 7, v4
	v_ffbh_u32_e32 v16, v8
	v_min_u32_e32 v16, 32, v16
	v_subrev_u32_e32 v18, 28, v16
	v_lshlrev_b64 v[18:19], v18, v[4:5]
	v_lshrrev_b32_e32 v13, 3, v6
	v_sub_u32_e32 v16, 29, v16
	v_and_b32_e32 v18, 7, v18
	v_cmp_gt_u32_e32 vcc, 8, v6
	v_cndmask_b32_e32 v6, v13, v16, vcc
	v_cndmask_b32_e32 v8, v8, v18, vcc
	v_lshlrev_b32_e32 v13, 24, v4
	v_lshlrev_b32_e32 v8, 20, v8
	v_and_b32_e32 v13, 0x80000000, v13
	v_lshl_add_u32 v6, v6, 23, v10
	v_or3_b32 v6, v13, v6, v8
	v_lshrrev_b32_e32 v16, 16, v6
.LBB755_968:                            ;   in Loop: Header=BB755_796 Depth=1
	s_or_b64 exec, exec, s[18:19]
.LBB755_969:                            ;   in Loop: Header=BB755_796 Depth=1
	s_or_b64 exec, exec, s[16:17]
.LBB755_970:                            ;   in Loop: Header=BB755_796 Depth=1
	s_or_b64 exec, exec, s[14:15]
	v_lshrrev_b16_e32 v6, 8, v4
	v_cmp_ne_u16_e32 vcc, 0, v6
	v_mov_b32_e32 v18, 0
	v_mov_b32_e32 v8, 0
	s_and_saveexec_b64 s[14:15], vcc
	s_cbranch_execz .LBB755_976
; %bb.971:                              ;   in Loop: Header=BB755_796 Depth=1
	v_cmp_ne_u16_e32 vcc, s21, v6
	v_mov_b32_e32 v8, 0xffff8000
	s_and_saveexec_b64 s[16:17], vcc
	s_cbranch_execz .LBB755_975
; %bb.972:                              ;   in Loop: Header=BB755_796 Depth=1
	v_and_b32_e32 v13, 0x7f, v6
	v_cmp_ne_u32_e32 vcc, s23, v13
	v_mov_b32_e32 v8, 0x7f80
	s_and_saveexec_b64 s[18:19], vcc
	s_cbranch_execz .LBB755_974
; %bb.973:                              ;   in Loop: Header=BB755_796 Depth=1
	v_and_b32_e32 v8, 7, v6
	v_ffbh_u32_e32 v20, v8
	v_min_u32_e32 v22, 32, v20
	v_subrev_u32_e32 v20, 28, v22
	v_lshlrev_b64 v[20:21], v20, v[6:7]
	v_lshrrev_b32_e32 v19, 3, v13
	v_sub_u32_e32 v6, 29, v22
	v_and_b32_e32 v20, 7, v20
	v_cmp_gt_u32_e32 vcc, 8, v13
	v_cndmask_b32_e32 v6, v19, v6, vcc
	v_cndmask_b32_e32 v8, v8, v20, vcc
	v_lshlrev_b32_e32 v13, 16, v4
	v_lshlrev_b32_e32 v8, 20, v8
	v_and_b32_e32 v13, 0x80000000, v13
	v_lshl_add_u32 v6, v6, 23, v10
	v_or3_b32 v6, v13, v6, v8
	v_lshrrev_b32_e32 v8, 16, v6
.LBB755_974:                            ;   in Loop: Header=BB755_796 Depth=1
	s_or_b64 exec, exec, s[18:19]
.LBB755_975:                            ;   in Loop: Header=BB755_796 Depth=1
	s_or_b64 exec, exec, s[16:17]
.LBB755_976:                            ;   in Loop: Header=BB755_796 Depth=1
	s_or_b64 exec, exec, s[14:15]
	v_lshrrev_b32_e32 v6, 16, v4
	v_cmp_ne_u16_sdwa s[16:17], v6, v9 src0_sel:BYTE_0 src1_sel:DWORD
	s_and_saveexec_b64 s[14:15], s[16:17]
	s_cbranch_execz .LBB755_982
; %bb.977:                              ;   in Loop: Header=BB755_796 Depth=1
	v_cmp_ne_u16_sdwa s[18:19], v6, s21 src0_sel:BYTE_0 src1_sel:DWORD
	v_mov_b32_e32 v18, 0xffff8000
	s_and_saveexec_b64 s[16:17], s[18:19]
	s_cbranch_execz .LBB755_981
; %bb.978:                              ;   in Loop: Header=BB755_796 Depth=1
	v_bfe_u32 v13, v4, 16, 7
	v_cmp_ne_u32_e32 vcc, s23, v13
	v_mov_b32_e32 v18, 0x7f80
	s_and_saveexec_b64 s[18:19], vcc
	s_cbranch_execz .LBB755_980
; %bb.979:                              ;   in Loop: Header=BB755_796 Depth=1
	v_and_b32_e32 v20, 7, v6
	v_ffbh_u32_e32 v18, v20
	v_min_u32_e32 v22, 32, v18
	v_subrev_u32_e32 v18, 28, v22
	v_lshlrev_b64 v[18:19], v18, v[6:7]
	v_lshrrev_b32_e32 v21, 3, v13
	v_sub_u32_e32 v19, 29, v22
	v_and_b32_e32 v18, 7, v18
	v_cmp_gt_u32_e32 vcc, 8, v13
	v_cndmask_b32_e32 v13, v21, v19, vcc
	v_cndmask_b32_e32 v18, v20, v18, vcc
	v_lshlrev_b32_e32 v6, 24, v6
	v_lshlrev_b32_e32 v18, 20, v18
	v_and_b32_e32 v6, 0x80000000, v6
	v_lshl_add_u32 v13, v13, 23, v10
	v_or3_b32 v6, v6, v13, v18
	v_lshrrev_b32_e32 v18, 16, v6
.LBB755_980:                            ;   in Loop: Header=BB755_796 Depth=1
	s_or_b64 exec, exec, s[18:19]
.LBB755_981:                            ;   in Loop: Header=BB755_796 Depth=1
	s_or_b64 exec, exec, s[16:17]
.LBB755_982:                            ;   in Loop: Header=BB755_796 Depth=1
	s_or_b64 exec, exec, s[14:15]
	v_cmp_lt_u32_e32 vcc, s25, v4
	v_mov_b32_e32 v13, 0
	v_mov_b32_e32 v19, 0
	s_and_saveexec_b64 s[14:15], vcc
	s_cbranch_execz .LBB755_988
; %bb.983:                              ;   in Loop: Header=BB755_796 Depth=1
	v_lshrrev_b32_e32 v6, 24, v4
	v_cmp_ne_u32_e32 vcc, s21, v6
	v_mov_b32_e32 v19, 0xffff8000
	s_and_saveexec_b64 s[16:17], vcc
	s_cbranch_execz .LBB755_987
; %bb.984:                              ;   in Loop: Header=BB755_796 Depth=1
	v_bfe_u32 v4, v4, 24, 7
	v_cmp_ne_u32_e32 vcc, s23, v4
	v_mov_b32_e32 v19, 0x7f80
	s_and_saveexec_b64 s[18:19], vcc
	s_cbranch_execz .LBB755_986
; %bb.985:                              ;   in Loop: Header=BB755_796 Depth=1
	v_and_b32_e32 v19, 7, v6
	v_ffbh_u32_e32 v20, v19
	v_min_u32_e32 v23, 32, v20
	v_subrev_u32_e32 v20, 28, v23
	v_lshlrev_b64 v[20:21], v20, v[6:7]
	v_lshrrev_b32_e32 v22, 3, v4
	v_sub_u32_e32 v21, 29, v23
	v_and_b32_e32 v20, 7, v20
	v_cmp_gt_u32_e32 vcc, 8, v4
	v_cndmask_b32_e32 v4, v22, v21, vcc
	v_cndmask_b32_e32 v19, v19, v20, vcc
	v_lshlrev_b32_e32 v6, 24, v6
	v_lshlrev_b32_e32 v19, 20, v19
	v_and_b32_e32 v6, 0x80000000, v6
	v_lshl_add_u32 v4, v4, 23, v10
	v_or3_b32 v4, v6, v4, v19
	v_lshrrev_b32_e32 v19, 16, v4
.LBB755_986:                            ;   in Loop: Header=BB755_796 Depth=1
	s_or_b64 exec, exec, s[18:19]
.LBB755_987:                            ;   in Loop: Header=BB755_796 Depth=1
	s_or_b64 exec, exec, s[16:17]
.LBB755_988:                            ;   in Loop: Header=BB755_796 Depth=1
	s_or_b64 exec, exec, s[14:15]
	buffer_load_dword v6, v11, s[0:3], 0 offen offset:32
	buffer_load_dword v4, v11, s[0:3], 0 offen offset:36
	v_perm_b32 v15, v17, v15, s28
	v_perm_b32 v14, v14, v12, s28
	;; [unrolled: 1-line block ×4, first 2 shown]
	v_mfma_f32_4x4x4bf16_1k a[0:3], v[2:3], v[14:15], a[0:3] cbsz:4 abid:6
	s_waitcnt vmcnt(1)
	v_cmp_ne_u16_sdwa s[16:17], v6, v9 src0_sel:BYTE_0 src1_sel:DWORD
	v_mfma_f32_4x4x4bf16_1k a[0:3], v[2:3], v[16:17], a[0:3] cbsz:4 abid:7
	s_and_saveexec_b64 s[14:15], s[16:17]
	s_cbranch_execz .LBB755_994
; %bb.989:                              ;   in Loop: Header=BB755_796 Depth=1
	v_cmp_ne_u16_sdwa s[18:19], v6, s21 src0_sel:BYTE_0 src1_sel:DWORD
	v_mov_b32_e32 v13, 0xffff8000
	s_and_saveexec_b64 s[16:17], s[18:19]
	s_cbranch_execz .LBB755_993
; %bb.990:                              ;   in Loop: Header=BB755_796 Depth=1
	v_and_b32_e32 v8, 0x7f, v6
	v_cmp_ne_u32_e32 vcc, s23, v8
	v_mov_b32_e32 v13, 0x7f80
	s_and_saveexec_b64 s[18:19], vcc
	s_cbranch_execz .LBB755_992
; %bb.991:                              ;   in Loop: Header=BB755_796 Depth=1
	v_and_b32_e32 v14, 7, v6
	v_ffbh_u32_e32 v12, v14
	v_min_u32_e32 v16, 32, v12
	v_subrev_u32_e32 v12, 28, v16
	v_lshlrev_b64 v[12:13], v12, v[6:7]
	v_lshrrev_b32_e32 v15, 3, v8
	v_sub_u32_e32 v13, 29, v16
	v_and_b32_e32 v12, 7, v12
	v_cmp_gt_u32_e32 vcc, 8, v8
	v_cndmask_b32_e32 v8, v15, v13, vcc
	v_cndmask_b32_e32 v12, v14, v12, vcc
	v_lshlrev_b32_e32 v13, 24, v6
	v_lshlrev_b32_e32 v12, 20, v12
	v_and_b32_e32 v13, 0x80000000, v13
	v_lshl_add_u32 v8, v8, 23, v10
	v_or3_b32 v8, v13, v8, v12
	v_lshrrev_b32_e32 v13, 16, v8
.LBB755_992:                            ;   in Loop: Header=BB755_796 Depth=1
	s_or_b64 exec, exec, s[18:19]
.LBB755_993:                            ;   in Loop: Header=BB755_796 Depth=1
	s_or_b64 exec, exec, s[16:17]
.LBB755_994:                            ;   in Loop: Header=BB755_796 Depth=1
	s_or_b64 exec, exec, s[14:15]
	v_lshrrev_b16_e32 v8, 8, v6
	v_cmp_ne_u16_e32 vcc, 0, v8
	v_mov_b32_e32 v15, 0
	v_mov_b32_e32 v12, 0
	s_and_saveexec_b64 s[14:15], vcc
	s_cbranch_execz .LBB755_1000
; %bb.995:                              ;   in Loop: Header=BB755_796 Depth=1
	v_cmp_ne_u16_e32 vcc, s21, v8
	v_mov_b32_e32 v12, 0xffff8000
	s_and_saveexec_b64 s[16:17], vcc
	s_cbranch_execz .LBB755_999
; %bb.996:                              ;   in Loop: Header=BB755_796 Depth=1
	v_and_b32_e32 v14, 0x7f, v8
	v_cmp_ne_u32_e32 vcc, s23, v14
	v_mov_b32_e32 v12, 0x7f80
	s_and_saveexec_b64 s[18:19], vcc
	s_cbranch_execz .LBB755_998
; %bb.997:                              ;   in Loop: Header=BB755_796 Depth=1
	v_and_b32_e32 v12, 7, v8
	v_ffbh_u32_e32 v16, v12
	v_min_u32_e32 v19, 32, v16
	v_subrev_u32_e32 v16, 28, v19
	v_lshlrev_b64 v[16:17], v16, v[8:9]
	v_lshrrev_b32_e32 v18, 3, v14
	v_sub_u32_e32 v8, 29, v19
	v_and_b32_e32 v16, 7, v16
	v_cmp_gt_u32_e32 vcc, 8, v14
	v_cndmask_b32_e32 v8, v18, v8, vcc
	v_cndmask_b32_e32 v12, v12, v16, vcc
	v_lshlrev_b32_e32 v14, 16, v6
	v_lshlrev_b32_e32 v12, 20, v12
	v_and_b32_e32 v14, 0x80000000, v14
	v_lshl_add_u32 v8, v8, 23, v10
	v_or3_b32 v8, v14, v8, v12
	v_lshrrev_b32_e32 v12, 16, v8
.LBB755_998:                            ;   in Loop: Header=BB755_796 Depth=1
	s_or_b64 exec, exec, s[18:19]
.LBB755_999:                            ;   in Loop: Header=BB755_796 Depth=1
	s_or_b64 exec, exec, s[16:17]
.LBB755_1000:                           ;   in Loop: Header=BB755_796 Depth=1
	s_or_b64 exec, exec, s[14:15]
	v_lshrrev_b32_e32 v8, 16, v6
	v_cmp_ne_u16_sdwa s[16:17], v8, v9 src0_sel:BYTE_0 src1_sel:DWORD
	s_and_saveexec_b64 s[14:15], s[16:17]
	s_cbranch_execz .LBB755_1006
; %bb.1001:                             ;   in Loop: Header=BB755_796 Depth=1
	v_cmp_ne_u16_sdwa s[18:19], v8, s21 src0_sel:BYTE_0 src1_sel:DWORD
	v_mov_b32_e32 v15, 0xffff8000
	s_and_saveexec_b64 s[16:17], s[18:19]
	s_cbranch_execz .LBB755_1005
; %bb.1002:                             ;   in Loop: Header=BB755_796 Depth=1
	v_bfe_u32 v14, v6, 16, 7
	v_cmp_ne_u32_e32 vcc, s23, v14
	v_mov_b32_e32 v15, 0x7f80
	s_and_saveexec_b64 s[18:19], vcc
	s_cbranch_execz .LBB755_1004
; %bb.1003:                             ;   in Loop: Header=BB755_796 Depth=1
	v_and_b32_e32 v15, 7, v8
	v_ffbh_u32_e32 v16, v15
	v_min_u32_e32 v19, 32, v16
	v_subrev_u32_e32 v16, 28, v19
	v_lshlrev_b64 v[16:17], v16, v[8:9]
	v_lshrrev_b32_e32 v18, 3, v14
	v_sub_u32_e32 v17, 29, v19
	v_and_b32_e32 v16, 7, v16
	v_cmp_gt_u32_e32 vcc, 8, v14
	v_cndmask_b32_e32 v14, v18, v17, vcc
	v_cndmask_b32_e32 v15, v15, v16, vcc
	v_lshlrev_b32_e32 v8, 24, v8
	v_lshlrev_b32_e32 v15, 20, v15
	v_and_b32_e32 v8, 0x80000000, v8
	v_lshl_add_u32 v14, v14, 23, v10
	v_or3_b32 v8, v8, v14, v15
	v_lshrrev_b32_e32 v15, 16, v8
.LBB755_1004:                           ;   in Loop: Header=BB755_796 Depth=1
	s_or_b64 exec, exec, s[18:19]
.LBB755_1005:                           ;   in Loop: Header=BB755_796 Depth=1
	s_or_b64 exec, exec, s[16:17]
.LBB755_1006:                           ;   in Loop: Header=BB755_796 Depth=1
	s_or_b64 exec, exec, s[14:15]
	v_cmp_lt_u32_e32 vcc, s25, v6
	v_mov_b32_e32 v16, 0
	v_mov_b32_e32 v17, 0
	s_and_saveexec_b64 s[14:15], vcc
	s_cbranch_execz .LBB755_1012
; %bb.1007:                             ;   in Loop: Header=BB755_796 Depth=1
	v_lshrrev_b32_e32 v8, 24, v6
	v_cmp_ne_u32_e32 vcc, s21, v8
	v_mov_b32_e32 v17, 0xffff8000
	s_and_saveexec_b64 s[16:17], vcc
	s_cbranch_execz .LBB755_1011
; %bb.1008:                             ;   in Loop: Header=BB755_796 Depth=1
	v_bfe_u32 v6, v6, 24, 7
	v_cmp_ne_u32_e32 vcc, s23, v6
	v_mov_b32_e32 v17, 0x7f80
	s_and_saveexec_b64 s[18:19], vcc
	s_cbranch_execz .LBB755_1010
; %bb.1009:                             ;   in Loop: Header=BB755_796 Depth=1
	v_and_b32_e32 v14, 7, v8
	v_ffbh_u32_e32 v18, v14
	v_min_u32_e32 v20, 32, v18
	v_subrev_u32_e32 v18, 28, v20
	v_lshlrev_b64 v[18:19], v18, v[8:9]
	v_lshrrev_b32_e32 v17, 3, v6
	v_sub_u32_e32 v19, 29, v20
	v_and_b32_e32 v18, 7, v18
	v_cmp_gt_u32_e32 vcc, 8, v6
	v_cndmask_b32_e32 v6, v17, v19, vcc
	v_cndmask_b32_e32 v14, v14, v18, vcc
	v_lshlrev_b32_e32 v8, 24, v8
	v_lshlrev_b32_e32 v14, 20, v14
	v_and_b32_e32 v8, 0x80000000, v8
	v_lshl_add_u32 v6, v6, 23, v10
	v_or3_b32 v6, v8, v6, v14
	v_lshrrev_b32_e32 v17, 16, v6
.LBB755_1010:                           ;   in Loop: Header=BB755_796 Depth=1
	s_or_b64 exec, exec, s[18:19]
.LBB755_1011:                           ;   in Loop: Header=BB755_796 Depth=1
	s_or_b64 exec, exec, s[16:17]
.LBB755_1012:                           ;   in Loop: Header=BB755_796 Depth=1
	s_or_b64 exec, exec, s[14:15]
	s_waitcnt vmcnt(0)
	v_cmp_ne_u16_sdwa s[16:17], v4, v9 src0_sel:BYTE_0 src1_sel:DWORD
	s_and_saveexec_b64 s[14:15], s[16:17]
	s_cbranch_execz .LBB755_1018
; %bb.1013:                             ;   in Loop: Header=BB755_796 Depth=1
	v_cmp_ne_u16_sdwa s[18:19], v4, s21 src0_sel:BYTE_0 src1_sel:DWORD
	v_mov_b32_e32 v16, 0xffff8000
	s_and_saveexec_b64 s[16:17], s[18:19]
	s_cbranch_execz .LBB755_1017
; %bb.1014:                             ;   in Loop: Header=BB755_796 Depth=1
	v_and_b32_e32 v6, 0x7f, v4
	v_cmp_ne_u32_e32 vcc, s23, v6
	v_mov_b32_e32 v16, 0x7f80
	s_and_saveexec_b64 s[18:19], vcc
	s_cbranch_execz .LBB755_1016
; %bb.1015:                             ;   in Loop: Header=BB755_796 Depth=1
	v_and_b32_e32 v8, 7, v4
	v_ffbh_u32_e32 v16, v8
	v_min_u32_e32 v16, 32, v16
	v_subrev_u32_e32 v18, 28, v16
	v_lshlrev_b64 v[18:19], v18, v[4:5]
	v_lshrrev_b32_e32 v14, 3, v6
	v_sub_u32_e32 v16, 29, v16
	v_and_b32_e32 v18, 7, v18
	v_cmp_gt_u32_e32 vcc, 8, v6
	v_cndmask_b32_e32 v6, v14, v16, vcc
	v_cndmask_b32_e32 v8, v8, v18, vcc
	v_lshlrev_b32_e32 v14, 24, v4
	v_lshlrev_b32_e32 v8, 20, v8
	v_and_b32_e32 v14, 0x80000000, v14
	v_lshl_add_u32 v6, v6, 23, v10
	v_or3_b32 v6, v14, v6, v8
	v_lshrrev_b32_e32 v16, 16, v6
.LBB755_1016:                           ;   in Loop: Header=BB755_796 Depth=1
	s_or_b64 exec, exec, s[18:19]
.LBB755_1017:                           ;   in Loop: Header=BB755_796 Depth=1
	s_or_b64 exec, exec, s[16:17]
.LBB755_1018:                           ;   in Loop: Header=BB755_796 Depth=1
	s_or_b64 exec, exec, s[14:15]
	v_lshrrev_b16_e32 v6, 8, v4
	v_cmp_ne_u16_e32 vcc, 0, v6
	v_mov_b32_e32 v18, 0
	v_mov_b32_e32 v8, 0
	s_and_saveexec_b64 s[14:15], vcc
	s_cbranch_execz .LBB755_1024
; %bb.1019:                             ;   in Loop: Header=BB755_796 Depth=1
	v_cmp_ne_u16_e32 vcc, s21, v6
	v_mov_b32_e32 v8, 0xffff8000
	s_and_saveexec_b64 s[16:17], vcc
	s_cbranch_execz .LBB755_1023
; %bb.1020:                             ;   in Loop: Header=BB755_796 Depth=1
	v_and_b32_e32 v14, 0x7f, v6
	v_cmp_ne_u32_e32 vcc, s23, v14
	v_mov_b32_e32 v8, 0x7f80
	s_and_saveexec_b64 s[18:19], vcc
	s_cbranch_execz .LBB755_1022
; %bb.1021:                             ;   in Loop: Header=BB755_796 Depth=1
	v_and_b32_e32 v8, 7, v6
	v_ffbh_u32_e32 v20, v8
	v_min_u32_e32 v22, 32, v20
	v_subrev_u32_e32 v20, 28, v22
	v_lshlrev_b64 v[20:21], v20, v[6:7]
	v_lshrrev_b32_e32 v19, 3, v14
	v_sub_u32_e32 v6, 29, v22
	v_and_b32_e32 v20, 7, v20
	v_cmp_gt_u32_e32 vcc, 8, v14
	v_cndmask_b32_e32 v6, v19, v6, vcc
	v_cndmask_b32_e32 v8, v8, v20, vcc
	v_lshlrev_b32_e32 v14, 16, v4
	v_lshlrev_b32_e32 v8, 20, v8
	v_and_b32_e32 v14, 0x80000000, v14
	v_lshl_add_u32 v6, v6, 23, v10
	v_or3_b32 v6, v14, v6, v8
	v_lshrrev_b32_e32 v8, 16, v6
.LBB755_1022:                           ;   in Loop: Header=BB755_796 Depth=1
	s_or_b64 exec, exec, s[18:19]
.LBB755_1023:                           ;   in Loop: Header=BB755_796 Depth=1
	s_or_b64 exec, exec, s[16:17]
.LBB755_1024:                           ;   in Loop: Header=BB755_796 Depth=1
	s_or_b64 exec, exec, s[14:15]
	v_lshrrev_b32_e32 v6, 16, v4
	v_cmp_ne_u16_sdwa s[16:17], v6, v9 src0_sel:BYTE_0 src1_sel:DWORD
	s_and_saveexec_b64 s[14:15], s[16:17]
	s_cbranch_execz .LBB755_1030
; %bb.1025:                             ;   in Loop: Header=BB755_796 Depth=1
	v_cmp_ne_u16_sdwa s[18:19], v6, s21 src0_sel:BYTE_0 src1_sel:DWORD
	v_mov_b32_e32 v18, 0xffff8000
	s_and_saveexec_b64 s[16:17], s[18:19]
	s_cbranch_execz .LBB755_1029
; %bb.1026:                             ;   in Loop: Header=BB755_796 Depth=1
	v_bfe_u32 v14, v4, 16, 7
	v_cmp_ne_u32_e32 vcc, s23, v14
	v_mov_b32_e32 v18, 0x7f80
	s_and_saveexec_b64 s[18:19], vcc
	s_cbranch_execz .LBB755_1028
; %bb.1027:                             ;   in Loop: Header=BB755_796 Depth=1
	v_and_b32_e32 v20, 7, v6
	v_ffbh_u32_e32 v18, v20
	v_min_u32_e32 v22, 32, v18
	v_subrev_u32_e32 v18, 28, v22
	v_lshlrev_b64 v[18:19], v18, v[6:7]
	v_lshrrev_b32_e32 v21, 3, v14
	v_sub_u32_e32 v19, 29, v22
	v_and_b32_e32 v18, 7, v18
	v_cmp_gt_u32_e32 vcc, 8, v14
	v_cndmask_b32_e32 v14, v21, v19, vcc
	v_cndmask_b32_e32 v18, v20, v18, vcc
	v_lshlrev_b32_e32 v6, 24, v6
	v_lshlrev_b32_e32 v18, 20, v18
	v_and_b32_e32 v6, 0x80000000, v6
	v_lshl_add_u32 v14, v14, 23, v10
	v_or3_b32 v6, v6, v14, v18
	v_lshrrev_b32_e32 v18, 16, v6
.LBB755_1028:                           ;   in Loop: Header=BB755_796 Depth=1
	s_or_b64 exec, exec, s[18:19]
.LBB755_1029:                           ;   in Loop: Header=BB755_796 Depth=1
	s_or_b64 exec, exec, s[16:17]
.LBB755_1030:                           ;   in Loop: Header=BB755_796 Depth=1
	s_or_b64 exec, exec, s[14:15]
	v_cmp_lt_u32_e32 vcc, s25, v4
	v_mov_b32_e32 v14, 0
	v_mov_b32_e32 v19, 0
	s_and_saveexec_b64 s[14:15], vcc
	s_cbranch_execz .LBB755_1036
; %bb.1031:                             ;   in Loop: Header=BB755_796 Depth=1
	v_lshrrev_b32_e32 v6, 24, v4
	v_cmp_ne_u32_e32 vcc, s21, v6
	v_mov_b32_e32 v19, 0xffff8000
	s_and_saveexec_b64 s[16:17], vcc
	s_cbranch_execz .LBB755_1035
; %bb.1032:                             ;   in Loop: Header=BB755_796 Depth=1
	v_bfe_u32 v4, v4, 24, 7
	v_cmp_ne_u32_e32 vcc, s23, v4
	v_mov_b32_e32 v19, 0x7f80
	s_and_saveexec_b64 s[18:19], vcc
	s_cbranch_execz .LBB755_1034
; %bb.1033:                             ;   in Loop: Header=BB755_796 Depth=1
	v_and_b32_e32 v19, 7, v6
	v_ffbh_u32_e32 v20, v19
	v_min_u32_e32 v23, 32, v20
	v_subrev_u32_e32 v20, 28, v23
	v_lshlrev_b64 v[20:21], v20, v[6:7]
	v_lshrrev_b32_e32 v22, 3, v4
	v_sub_u32_e32 v21, 29, v23
	v_and_b32_e32 v20, 7, v20
	v_cmp_gt_u32_e32 vcc, 8, v4
	v_cndmask_b32_e32 v4, v22, v21, vcc
	v_cndmask_b32_e32 v19, v19, v20, vcc
	v_lshlrev_b32_e32 v6, 24, v6
	v_lshlrev_b32_e32 v19, 20, v19
	v_and_b32_e32 v6, 0x80000000, v6
	v_lshl_add_u32 v4, v4, 23, v10
	v_or3_b32 v4, v6, v4, v19
	v_lshrrev_b32_e32 v19, 16, v4
.LBB755_1034:                           ;   in Loop: Header=BB755_796 Depth=1
	s_or_b64 exec, exec, s[18:19]
.LBB755_1035:                           ;   in Loop: Header=BB755_796 Depth=1
	s_or_b64 exec, exec, s[16:17]
.LBB755_1036:                           ;   in Loop: Header=BB755_796 Depth=1
	s_or_b64 exec, exec, s[14:15]
	buffer_load_dword v6, v11, s[0:3], 0 offen offset:40
	buffer_load_dword v4, v11, s[0:3], 0 offen offset:44
	v_perm_b32 v21, v17, v15, s28
	v_perm_b32 v20, v12, v13, s28
	;; [unrolled: 1-line block ×4, first 2 shown]
	v_mfma_f32_4x4x4bf16_1k a[0:3], v[2:3], v[20:21], a[0:3] cbsz:4 abid:8
	s_waitcnt vmcnt(1)
	v_cmp_ne_u16_sdwa s[16:17], v6, v9 src0_sel:BYTE_0 src1_sel:DWORD
	v_mfma_f32_4x4x4bf16_1k a[0:3], v[2:3], v[12:13], a[0:3] cbsz:4 abid:9
	s_and_saveexec_b64 s[14:15], s[16:17]
	s_cbranch_execz .LBB755_1042
; %bb.1037:                             ;   in Loop: Header=BB755_796 Depth=1
	v_cmp_ne_u16_sdwa s[18:19], v6, s21 src0_sel:BYTE_0 src1_sel:DWORD
	v_mov_b32_e32 v14, 0xffff8000
	s_and_saveexec_b64 s[16:17], s[18:19]
	s_cbranch_execz .LBB755_1041
; %bb.1038:                             ;   in Loop: Header=BB755_796 Depth=1
	v_and_b32_e32 v8, 0x7f, v6
	v_cmp_ne_u32_e32 vcc, s23, v8
	v_mov_b32_e32 v14, 0x7f80
	s_and_saveexec_b64 s[18:19], vcc
	s_cbranch_execz .LBB755_1040
; %bb.1039:                             ;   in Loop: Header=BB755_796 Depth=1
	v_and_b32_e32 v14, 7, v6
	v_ffbh_u32_e32 v12, v14
	v_min_u32_e32 v16, 32, v12
	v_subrev_u32_e32 v12, 28, v16
	v_lshlrev_b64 v[12:13], v12, v[6:7]
	v_lshrrev_b32_e32 v15, 3, v8
	v_sub_u32_e32 v13, 29, v16
	v_and_b32_e32 v12, 7, v12
	v_cmp_gt_u32_e32 vcc, 8, v8
	v_cndmask_b32_e32 v8, v15, v13, vcc
	v_cndmask_b32_e32 v12, v14, v12, vcc
	v_lshlrev_b32_e32 v13, 24, v6
	v_lshlrev_b32_e32 v12, 20, v12
	v_and_b32_e32 v13, 0x80000000, v13
	v_lshl_add_u32 v8, v8, 23, v10
	v_or3_b32 v8, v13, v8, v12
	v_lshrrev_b32_e32 v14, 16, v8
.LBB755_1040:                           ;   in Loop: Header=BB755_796 Depth=1
	s_or_b64 exec, exec, s[18:19]
.LBB755_1041:                           ;   in Loop: Header=BB755_796 Depth=1
	s_or_b64 exec, exec, s[16:17]
.LBB755_1042:                           ;   in Loop: Header=BB755_796 Depth=1
	s_or_b64 exec, exec, s[14:15]
	v_lshrrev_b16_e32 v8, 8, v6
	v_cmp_ne_u16_e32 vcc, 0, v8
	v_mov_b32_e32 v15, 0
	v_mov_b32_e32 v13, 0
	s_and_saveexec_b64 s[14:15], vcc
	s_cbranch_execz .LBB755_1048
; %bb.1043:                             ;   in Loop: Header=BB755_796 Depth=1
	v_cmp_ne_u16_e32 vcc, s21, v8
	v_mov_b32_e32 v13, 0xffff8000
	s_and_saveexec_b64 s[16:17], vcc
	s_cbranch_execz .LBB755_1047
; %bb.1044:                             ;   in Loop: Header=BB755_796 Depth=1
	v_and_b32_e32 v12, 0x7f, v8
	v_cmp_ne_u32_e32 vcc, s23, v12
	v_mov_b32_e32 v13, 0x7f80
	s_and_saveexec_b64 s[18:19], vcc
	s_cbranch_execz .LBB755_1046
; %bb.1045:                             ;   in Loop: Header=BB755_796 Depth=1
	v_and_b32_e32 v13, 7, v8
	v_ffbh_u32_e32 v16, v13
	v_min_u32_e32 v19, 32, v16
	v_subrev_u32_e32 v16, 28, v19
	v_lshlrev_b64 v[16:17], v16, v[8:9]
	v_lshrrev_b32_e32 v18, 3, v12
	v_sub_u32_e32 v8, 29, v19
	v_and_b32_e32 v16, 7, v16
	v_cmp_gt_u32_e32 vcc, 8, v12
	v_cndmask_b32_e32 v8, v18, v8, vcc
	v_cndmask_b32_e32 v12, v13, v16, vcc
	v_lshlrev_b32_e32 v13, 16, v6
	v_lshlrev_b32_e32 v12, 20, v12
	v_and_b32_e32 v13, 0x80000000, v13
	v_lshl_add_u32 v8, v8, 23, v10
	v_or3_b32 v8, v13, v8, v12
	v_lshrrev_b32_e32 v13, 16, v8
.LBB755_1046:                           ;   in Loop: Header=BB755_796 Depth=1
	s_or_b64 exec, exec, s[18:19]
.LBB755_1047:                           ;   in Loop: Header=BB755_796 Depth=1
	s_or_b64 exec, exec, s[16:17]
.LBB755_1048:                           ;   in Loop: Header=BB755_796 Depth=1
	s_or_b64 exec, exec, s[14:15]
	v_lshrrev_b32_e32 v8, 16, v6
	v_cmp_ne_u16_sdwa s[16:17], v8, v9 src0_sel:BYTE_0 src1_sel:DWORD
	s_and_saveexec_b64 s[14:15], s[16:17]
	s_cbranch_execz .LBB755_1054
; %bb.1049:                             ;   in Loop: Header=BB755_796 Depth=1
	v_cmp_ne_u16_sdwa s[18:19], v8, s21 src0_sel:BYTE_0 src1_sel:DWORD
	v_mov_b32_e32 v15, 0xffff8000
	s_and_saveexec_b64 s[16:17], s[18:19]
	s_cbranch_execz .LBB755_1053
; %bb.1050:                             ;   in Loop: Header=BB755_796 Depth=1
	v_bfe_u32 v12, v6, 16, 7
	v_cmp_ne_u32_e32 vcc, s23, v12
	v_mov_b32_e32 v15, 0x7f80
	s_and_saveexec_b64 s[18:19], vcc
	s_cbranch_execz .LBB755_1052
; %bb.1051:                             ;   in Loop: Header=BB755_796 Depth=1
	v_and_b32_e32 v15, 7, v8
	v_ffbh_u32_e32 v16, v15
	v_min_u32_e32 v19, 32, v16
	v_subrev_u32_e32 v16, 28, v19
	v_lshlrev_b64 v[16:17], v16, v[8:9]
	v_lshrrev_b32_e32 v18, 3, v12
	v_sub_u32_e32 v17, 29, v19
	v_and_b32_e32 v16, 7, v16
	v_cmp_gt_u32_e32 vcc, 8, v12
	v_cndmask_b32_e32 v12, v18, v17, vcc
	v_cndmask_b32_e32 v15, v15, v16, vcc
	v_lshlrev_b32_e32 v8, 24, v8
	v_lshlrev_b32_e32 v15, 20, v15
	v_and_b32_e32 v8, 0x80000000, v8
	v_lshl_add_u32 v12, v12, 23, v10
	v_or3_b32 v8, v8, v12, v15
	v_lshrrev_b32_e32 v15, 16, v8
.LBB755_1052:                           ;   in Loop: Header=BB755_796 Depth=1
	s_or_b64 exec, exec, s[18:19]
.LBB755_1053:                           ;   in Loop: Header=BB755_796 Depth=1
	s_or_b64 exec, exec, s[16:17]
.LBB755_1054:                           ;   in Loop: Header=BB755_796 Depth=1
	s_or_b64 exec, exec, s[14:15]
	v_cmp_lt_u32_e32 vcc, s25, v6
	v_mov_b32_e32 v16, 0
	v_mov_b32_e32 v17, 0
	s_and_saveexec_b64 s[14:15], vcc
	s_cbranch_execz .LBB755_1060
; %bb.1055:                             ;   in Loop: Header=BB755_796 Depth=1
	v_lshrrev_b32_e32 v8, 24, v6
	v_cmp_ne_u32_e32 vcc, s21, v8
	v_mov_b32_e32 v17, 0xffff8000
	s_and_saveexec_b64 s[16:17], vcc
	s_cbranch_execz .LBB755_1059
; %bb.1056:                             ;   in Loop: Header=BB755_796 Depth=1
	v_bfe_u32 v6, v6, 24, 7
	v_cmp_ne_u32_e32 vcc, s23, v6
	v_mov_b32_e32 v17, 0x7f80
	s_and_saveexec_b64 s[18:19], vcc
	s_cbranch_execz .LBB755_1058
; %bb.1057:                             ;   in Loop: Header=BB755_796 Depth=1
	v_and_b32_e32 v12, 7, v8
	v_ffbh_u32_e32 v18, v12
	v_min_u32_e32 v20, 32, v18
	v_subrev_u32_e32 v18, 28, v20
	v_lshlrev_b64 v[18:19], v18, v[8:9]
	v_lshrrev_b32_e32 v17, 3, v6
	v_sub_u32_e32 v19, 29, v20
	v_and_b32_e32 v18, 7, v18
	v_cmp_gt_u32_e32 vcc, 8, v6
	v_cndmask_b32_e32 v6, v17, v19, vcc
	v_cndmask_b32_e32 v12, v12, v18, vcc
	v_lshlrev_b32_e32 v8, 24, v8
	v_lshlrev_b32_e32 v12, 20, v12
	v_and_b32_e32 v8, 0x80000000, v8
	v_lshl_add_u32 v6, v6, 23, v10
	v_or3_b32 v6, v8, v6, v12
	v_lshrrev_b32_e32 v17, 16, v6
.LBB755_1058:                           ;   in Loop: Header=BB755_796 Depth=1
	s_or_b64 exec, exec, s[18:19]
.LBB755_1059:                           ;   in Loop: Header=BB755_796 Depth=1
	s_or_b64 exec, exec, s[16:17]
.LBB755_1060:                           ;   in Loop: Header=BB755_796 Depth=1
	s_or_b64 exec, exec, s[14:15]
	s_waitcnt vmcnt(0)
	v_cmp_ne_u16_sdwa s[16:17], v4, v9 src0_sel:BYTE_0 src1_sel:DWORD
	s_and_saveexec_b64 s[14:15], s[16:17]
	s_cbranch_execz .LBB755_1066
; %bb.1061:                             ;   in Loop: Header=BB755_796 Depth=1
	v_cmp_ne_u16_sdwa s[18:19], v4, s21 src0_sel:BYTE_0 src1_sel:DWORD
	v_mov_b32_e32 v16, 0xffff8000
	s_and_saveexec_b64 s[16:17], s[18:19]
	s_cbranch_execz .LBB755_1065
; %bb.1062:                             ;   in Loop: Header=BB755_796 Depth=1
	v_and_b32_e32 v6, 0x7f, v4
	v_cmp_ne_u32_e32 vcc, s23, v6
	v_mov_b32_e32 v16, 0x7f80
	s_and_saveexec_b64 s[18:19], vcc
	s_cbranch_execz .LBB755_1064
; %bb.1063:                             ;   in Loop: Header=BB755_796 Depth=1
	v_and_b32_e32 v8, 7, v4
	v_ffbh_u32_e32 v16, v8
	v_min_u32_e32 v16, 32, v16
	v_subrev_u32_e32 v18, 28, v16
	v_lshlrev_b64 v[18:19], v18, v[4:5]
	v_lshrrev_b32_e32 v12, 3, v6
	v_sub_u32_e32 v16, 29, v16
	v_and_b32_e32 v18, 7, v18
	v_cmp_gt_u32_e32 vcc, 8, v6
	v_cndmask_b32_e32 v6, v12, v16, vcc
	v_cndmask_b32_e32 v8, v8, v18, vcc
	v_lshlrev_b32_e32 v12, 24, v4
	v_lshlrev_b32_e32 v8, 20, v8
	v_and_b32_e32 v12, 0x80000000, v12
	v_lshl_add_u32 v6, v6, 23, v10
	v_or3_b32 v6, v12, v6, v8
	v_lshrrev_b32_e32 v16, 16, v6
.LBB755_1064:                           ;   in Loop: Header=BB755_796 Depth=1
	s_or_b64 exec, exec, s[18:19]
.LBB755_1065:                           ;   in Loop: Header=BB755_796 Depth=1
	s_or_b64 exec, exec, s[16:17]
.LBB755_1066:                           ;   in Loop: Header=BB755_796 Depth=1
	s_or_b64 exec, exec, s[14:15]
	v_lshrrev_b16_e32 v6, 8, v4
	v_cmp_ne_u16_e32 vcc, 0, v6
	v_mov_b32_e32 v18, 0
	v_mov_b32_e32 v8, 0
	s_and_saveexec_b64 s[14:15], vcc
	s_cbranch_execz .LBB755_1072
; %bb.1067:                             ;   in Loop: Header=BB755_796 Depth=1
	v_cmp_ne_u16_e32 vcc, s21, v6
	v_mov_b32_e32 v8, 0xffff8000
	s_and_saveexec_b64 s[16:17], vcc
	s_cbranch_execz .LBB755_1071
; %bb.1068:                             ;   in Loop: Header=BB755_796 Depth=1
	v_and_b32_e32 v12, 0x7f, v6
	v_cmp_ne_u32_e32 vcc, s23, v12
	v_mov_b32_e32 v8, 0x7f80
	s_and_saveexec_b64 s[18:19], vcc
	s_cbranch_execz .LBB755_1070
; %bb.1069:                             ;   in Loop: Header=BB755_796 Depth=1
	v_and_b32_e32 v8, 7, v6
	v_ffbh_u32_e32 v20, v8
	v_min_u32_e32 v22, 32, v20
	v_subrev_u32_e32 v20, 28, v22
	v_lshlrev_b64 v[20:21], v20, v[6:7]
	v_lshrrev_b32_e32 v19, 3, v12
	v_sub_u32_e32 v6, 29, v22
	v_and_b32_e32 v20, 7, v20
	v_cmp_gt_u32_e32 vcc, 8, v12
	v_cndmask_b32_e32 v6, v19, v6, vcc
	v_cndmask_b32_e32 v8, v8, v20, vcc
	v_lshlrev_b32_e32 v12, 16, v4
	v_lshlrev_b32_e32 v8, 20, v8
	v_and_b32_e32 v12, 0x80000000, v12
	v_lshl_add_u32 v6, v6, 23, v10
	v_or3_b32 v6, v12, v6, v8
	v_lshrrev_b32_e32 v8, 16, v6
.LBB755_1070:                           ;   in Loop: Header=BB755_796 Depth=1
	s_or_b64 exec, exec, s[18:19]
.LBB755_1071:                           ;   in Loop: Header=BB755_796 Depth=1
	s_or_b64 exec, exec, s[16:17]
.LBB755_1072:                           ;   in Loop: Header=BB755_796 Depth=1
	s_or_b64 exec, exec, s[14:15]
	v_lshrrev_b32_e32 v6, 16, v4
	v_cmp_ne_u16_sdwa s[16:17], v6, v9 src0_sel:BYTE_0 src1_sel:DWORD
	s_and_saveexec_b64 s[14:15], s[16:17]
	s_cbranch_execz .LBB755_1078
; %bb.1073:                             ;   in Loop: Header=BB755_796 Depth=1
	v_cmp_ne_u16_sdwa s[18:19], v6, s21 src0_sel:BYTE_0 src1_sel:DWORD
	v_mov_b32_e32 v18, 0xffff8000
	s_and_saveexec_b64 s[16:17], s[18:19]
	s_cbranch_execz .LBB755_1077
; %bb.1074:                             ;   in Loop: Header=BB755_796 Depth=1
	v_bfe_u32 v12, v4, 16, 7
	v_cmp_ne_u32_e32 vcc, s23, v12
	v_mov_b32_e32 v18, 0x7f80
	s_and_saveexec_b64 s[18:19], vcc
	s_cbranch_execz .LBB755_1076
; %bb.1075:                             ;   in Loop: Header=BB755_796 Depth=1
	v_and_b32_e32 v20, 7, v6
	v_ffbh_u32_e32 v18, v20
	v_min_u32_e32 v22, 32, v18
	v_subrev_u32_e32 v18, 28, v22
	v_lshlrev_b64 v[18:19], v18, v[6:7]
	v_lshrrev_b32_e32 v21, 3, v12
	v_sub_u32_e32 v19, 29, v22
	v_and_b32_e32 v18, 7, v18
	v_cmp_gt_u32_e32 vcc, 8, v12
	v_cndmask_b32_e32 v12, v21, v19, vcc
	v_cndmask_b32_e32 v18, v20, v18, vcc
	v_lshlrev_b32_e32 v6, 24, v6
	v_lshlrev_b32_e32 v18, 20, v18
	v_and_b32_e32 v6, 0x80000000, v6
	v_lshl_add_u32 v12, v12, 23, v10
	v_or3_b32 v6, v6, v12, v18
	v_lshrrev_b32_e32 v18, 16, v6
.LBB755_1076:                           ;   in Loop: Header=BB755_796 Depth=1
	s_or_b64 exec, exec, s[18:19]
.LBB755_1077:                           ;   in Loop: Header=BB755_796 Depth=1
	s_or_b64 exec, exec, s[16:17]
.LBB755_1078:                           ;   in Loop: Header=BB755_796 Depth=1
	s_or_b64 exec, exec, s[14:15]
	v_cmp_lt_u32_e32 vcc, s25, v4
	v_mov_b32_e32 v12, 0
	v_mov_b32_e32 v19, 0
	s_and_saveexec_b64 s[14:15], vcc
	s_cbranch_execz .LBB755_1084
; %bb.1079:                             ;   in Loop: Header=BB755_796 Depth=1
	v_lshrrev_b32_e32 v6, 24, v4
	v_cmp_ne_u32_e32 vcc, s21, v6
	v_mov_b32_e32 v19, 0xffff8000
	s_and_saveexec_b64 s[16:17], vcc
	s_cbranch_execz .LBB755_1083
; %bb.1080:                             ;   in Loop: Header=BB755_796 Depth=1
	v_bfe_u32 v4, v4, 24, 7
	v_cmp_ne_u32_e32 vcc, s23, v4
	v_mov_b32_e32 v19, 0x7f80
	s_and_saveexec_b64 s[18:19], vcc
	s_cbranch_execz .LBB755_1082
; %bb.1081:                             ;   in Loop: Header=BB755_796 Depth=1
	v_and_b32_e32 v19, 7, v6
	v_ffbh_u32_e32 v20, v19
	v_min_u32_e32 v23, 32, v20
	v_subrev_u32_e32 v20, 28, v23
	v_lshlrev_b64 v[20:21], v20, v[6:7]
	v_lshrrev_b32_e32 v22, 3, v4
	v_sub_u32_e32 v21, 29, v23
	v_and_b32_e32 v20, 7, v20
	v_cmp_gt_u32_e32 vcc, 8, v4
	v_cndmask_b32_e32 v4, v22, v21, vcc
	v_cndmask_b32_e32 v19, v19, v20, vcc
	v_lshlrev_b32_e32 v6, 24, v6
	v_lshlrev_b32_e32 v19, 20, v19
	v_and_b32_e32 v6, 0x80000000, v6
	v_lshl_add_u32 v4, v4, 23, v10
	v_or3_b32 v4, v6, v4, v19
	v_lshrrev_b32_e32 v19, 16, v4
.LBB755_1082:                           ;   in Loop: Header=BB755_796 Depth=1
	s_or_b64 exec, exec, s[18:19]
.LBB755_1083:                           ;   in Loop: Header=BB755_796 Depth=1
	s_or_b64 exec, exec, s[16:17]
.LBB755_1084:                           ;   in Loop: Header=BB755_796 Depth=1
	s_or_b64 exec, exec, s[14:15]
	buffer_load_dword v6, v11, s[0:3], 0 offen offset:48
	buffer_load_dword v4, v11, s[0:3], 0 offen offset:52
	v_perm_b32 v15, v17, v15, s28
	v_perm_b32 v14, v13, v14, s28
	;; [unrolled: 1-line block ×4, first 2 shown]
	v_mfma_f32_4x4x4bf16_1k a[0:3], v[2:3], v[14:15], a[0:3] cbsz:4 abid:10
	s_waitcnt vmcnt(1)
	v_cmp_ne_u16_sdwa s[16:17], v6, v9 src0_sel:BYTE_0 src1_sel:DWORD
	v_mfma_f32_4x4x4bf16_1k a[0:3], v[2:3], v[16:17], a[0:3] cbsz:4 abid:11
	s_and_saveexec_b64 s[14:15], s[16:17]
	s_cbranch_execz .LBB755_1090
; %bb.1085:                             ;   in Loop: Header=BB755_796 Depth=1
	v_cmp_ne_u16_sdwa s[18:19], v6, s21 src0_sel:BYTE_0 src1_sel:DWORD
	v_mov_b32_e32 v12, 0xffff8000
	s_and_saveexec_b64 s[16:17], s[18:19]
	s_cbranch_execz .LBB755_1089
; %bb.1086:                             ;   in Loop: Header=BB755_796 Depth=1
	v_and_b32_e32 v8, 0x7f, v6
	v_cmp_ne_u32_e32 vcc, s23, v8
	v_mov_b32_e32 v12, 0x7f80
	s_and_saveexec_b64 s[18:19], vcc
	s_cbranch_execz .LBB755_1088
; %bb.1087:                             ;   in Loop: Header=BB755_796 Depth=1
	v_and_b32_e32 v14, 7, v6
	v_ffbh_u32_e32 v12, v14
	v_min_u32_e32 v16, 32, v12
	v_subrev_u32_e32 v12, 28, v16
	v_lshlrev_b64 v[12:13], v12, v[6:7]
	v_lshrrev_b32_e32 v15, 3, v8
	v_sub_u32_e32 v13, 29, v16
	v_and_b32_e32 v12, 7, v12
	v_cmp_gt_u32_e32 vcc, 8, v8
	v_cndmask_b32_e32 v8, v15, v13, vcc
	v_cndmask_b32_e32 v12, v14, v12, vcc
	v_lshlrev_b32_e32 v13, 24, v6
	v_lshlrev_b32_e32 v12, 20, v12
	v_and_b32_e32 v13, 0x80000000, v13
	v_lshl_add_u32 v8, v8, 23, v10
	v_or3_b32 v8, v13, v8, v12
	v_lshrrev_b32_e32 v12, 16, v8
.LBB755_1088:                           ;   in Loop: Header=BB755_796 Depth=1
	s_or_b64 exec, exec, s[18:19]
.LBB755_1089:                           ;   in Loop: Header=BB755_796 Depth=1
	s_or_b64 exec, exec, s[16:17]
.LBB755_1090:                           ;   in Loop: Header=BB755_796 Depth=1
	s_or_b64 exec, exec, s[14:15]
	v_lshrrev_b16_e32 v8, 8, v6
	v_cmp_ne_u16_e32 vcc, 0, v8
	v_mov_b32_e32 v15, 0
	v_mov_b32_e32 v14, 0
	s_and_saveexec_b64 s[14:15], vcc
	s_cbranch_execz .LBB755_1096
; %bb.1091:                             ;   in Loop: Header=BB755_796 Depth=1
	v_cmp_ne_u16_e32 vcc, s21, v8
	v_mov_b32_e32 v14, 0xffff8000
	s_and_saveexec_b64 s[16:17], vcc
	s_cbranch_execz .LBB755_1095
; %bb.1092:                             ;   in Loop: Header=BB755_796 Depth=1
	v_and_b32_e32 v13, 0x7f, v8
	v_cmp_ne_u32_e32 vcc, s23, v13
	v_mov_b32_e32 v14, 0x7f80
	s_and_saveexec_b64 s[18:19], vcc
	s_cbranch_execz .LBB755_1094
; %bb.1093:                             ;   in Loop: Header=BB755_796 Depth=1
	v_and_b32_e32 v14, 7, v8
	v_ffbh_u32_e32 v16, v14
	v_min_u32_e32 v19, 32, v16
	v_subrev_u32_e32 v16, 28, v19
	v_lshlrev_b64 v[16:17], v16, v[8:9]
	v_lshrrev_b32_e32 v18, 3, v13
	v_sub_u32_e32 v8, 29, v19
	v_and_b32_e32 v16, 7, v16
	v_cmp_gt_u32_e32 vcc, 8, v13
	v_cndmask_b32_e32 v8, v18, v8, vcc
	v_cndmask_b32_e32 v13, v14, v16, vcc
	v_lshlrev_b32_e32 v14, 16, v6
	v_lshlrev_b32_e32 v13, 20, v13
	v_and_b32_e32 v14, 0x80000000, v14
	v_lshl_add_u32 v8, v8, 23, v10
	v_or3_b32 v8, v14, v8, v13
	v_lshrrev_b32_e32 v14, 16, v8
.LBB755_1094:                           ;   in Loop: Header=BB755_796 Depth=1
	s_or_b64 exec, exec, s[18:19]
.LBB755_1095:                           ;   in Loop: Header=BB755_796 Depth=1
	s_or_b64 exec, exec, s[16:17]
.LBB755_1096:                           ;   in Loop: Header=BB755_796 Depth=1
	s_or_b64 exec, exec, s[14:15]
	v_lshrrev_b32_e32 v8, 16, v6
	v_cmp_ne_u16_sdwa s[16:17], v8, v9 src0_sel:BYTE_0 src1_sel:DWORD
	s_and_saveexec_b64 s[14:15], s[16:17]
	s_cbranch_execz .LBB755_1102
; %bb.1097:                             ;   in Loop: Header=BB755_796 Depth=1
	v_cmp_ne_u16_sdwa s[18:19], v8, s21 src0_sel:BYTE_0 src1_sel:DWORD
	v_mov_b32_e32 v15, 0xffff8000
	s_and_saveexec_b64 s[16:17], s[18:19]
	s_cbranch_execz .LBB755_1101
; %bb.1098:                             ;   in Loop: Header=BB755_796 Depth=1
	v_bfe_u32 v13, v6, 16, 7
	v_cmp_ne_u32_e32 vcc, s23, v13
	v_mov_b32_e32 v15, 0x7f80
	s_and_saveexec_b64 s[18:19], vcc
	s_cbranch_execz .LBB755_1100
; %bb.1099:                             ;   in Loop: Header=BB755_796 Depth=1
	v_and_b32_e32 v15, 7, v8
	v_ffbh_u32_e32 v16, v15
	v_min_u32_e32 v19, 32, v16
	v_subrev_u32_e32 v16, 28, v19
	v_lshlrev_b64 v[16:17], v16, v[8:9]
	v_lshrrev_b32_e32 v18, 3, v13
	v_sub_u32_e32 v17, 29, v19
	v_and_b32_e32 v16, 7, v16
	v_cmp_gt_u32_e32 vcc, 8, v13
	v_cndmask_b32_e32 v13, v18, v17, vcc
	v_cndmask_b32_e32 v15, v15, v16, vcc
	v_lshlrev_b32_e32 v8, 24, v8
	v_lshlrev_b32_e32 v15, 20, v15
	v_and_b32_e32 v8, 0x80000000, v8
	v_lshl_add_u32 v13, v13, 23, v10
	v_or3_b32 v8, v8, v13, v15
	v_lshrrev_b32_e32 v15, 16, v8
.LBB755_1100:                           ;   in Loop: Header=BB755_796 Depth=1
	s_or_b64 exec, exec, s[18:19]
.LBB755_1101:                           ;   in Loop: Header=BB755_796 Depth=1
	s_or_b64 exec, exec, s[16:17]
.LBB755_1102:                           ;   in Loop: Header=BB755_796 Depth=1
	s_or_b64 exec, exec, s[14:15]
	v_cmp_lt_u32_e32 vcc, s25, v6
	v_mov_b32_e32 v16, 0
	v_mov_b32_e32 v17, 0
	s_and_saveexec_b64 s[14:15], vcc
	s_cbranch_execz .LBB755_1108
; %bb.1103:                             ;   in Loop: Header=BB755_796 Depth=1
	v_lshrrev_b32_e32 v8, 24, v6
	v_cmp_ne_u32_e32 vcc, s21, v8
	v_mov_b32_e32 v17, 0xffff8000
	s_and_saveexec_b64 s[16:17], vcc
	s_cbranch_execz .LBB755_1107
; %bb.1104:                             ;   in Loop: Header=BB755_796 Depth=1
	v_bfe_u32 v6, v6, 24, 7
	v_cmp_ne_u32_e32 vcc, s23, v6
	v_mov_b32_e32 v17, 0x7f80
	s_and_saveexec_b64 s[18:19], vcc
	s_cbranch_execz .LBB755_1106
; %bb.1105:                             ;   in Loop: Header=BB755_796 Depth=1
	v_and_b32_e32 v13, 7, v8
	v_ffbh_u32_e32 v18, v13
	v_min_u32_e32 v20, 32, v18
	v_subrev_u32_e32 v18, 28, v20
	v_lshlrev_b64 v[18:19], v18, v[8:9]
	v_lshrrev_b32_e32 v17, 3, v6
	v_sub_u32_e32 v19, 29, v20
	v_and_b32_e32 v18, 7, v18
	v_cmp_gt_u32_e32 vcc, 8, v6
	v_cndmask_b32_e32 v6, v17, v19, vcc
	v_cndmask_b32_e32 v13, v13, v18, vcc
	v_lshlrev_b32_e32 v8, 24, v8
	v_lshlrev_b32_e32 v13, 20, v13
	v_and_b32_e32 v8, 0x80000000, v8
	v_lshl_add_u32 v6, v6, 23, v10
	v_or3_b32 v6, v8, v6, v13
	v_lshrrev_b32_e32 v17, 16, v6
.LBB755_1106:                           ;   in Loop: Header=BB755_796 Depth=1
	s_or_b64 exec, exec, s[18:19]
.LBB755_1107:                           ;   in Loop: Header=BB755_796 Depth=1
	s_or_b64 exec, exec, s[16:17]
.LBB755_1108:                           ;   in Loop: Header=BB755_796 Depth=1
	s_or_b64 exec, exec, s[14:15]
	s_waitcnt vmcnt(0)
	v_cmp_ne_u16_sdwa s[16:17], v4, v9 src0_sel:BYTE_0 src1_sel:DWORD
	s_and_saveexec_b64 s[14:15], s[16:17]
	s_cbranch_execz .LBB755_1114
; %bb.1109:                             ;   in Loop: Header=BB755_796 Depth=1
	v_cmp_ne_u16_sdwa s[18:19], v4, s21 src0_sel:BYTE_0 src1_sel:DWORD
	v_mov_b32_e32 v16, 0xffff8000
	s_and_saveexec_b64 s[16:17], s[18:19]
	s_cbranch_execz .LBB755_1113
; %bb.1110:                             ;   in Loop: Header=BB755_796 Depth=1
	v_and_b32_e32 v6, 0x7f, v4
	v_cmp_ne_u32_e32 vcc, s23, v6
	v_mov_b32_e32 v16, 0x7f80
	s_and_saveexec_b64 s[18:19], vcc
	s_cbranch_execz .LBB755_1112
; %bb.1111:                             ;   in Loop: Header=BB755_796 Depth=1
	v_and_b32_e32 v8, 7, v4
	v_ffbh_u32_e32 v16, v8
	v_min_u32_e32 v16, 32, v16
	v_subrev_u32_e32 v18, 28, v16
	v_lshlrev_b64 v[18:19], v18, v[4:5]
	v_lshrrev_b32_e32 v13, 3, v6
	v_sub_u32_e32 v16, 29, v16
	v_and_b32_e32 v18, 7, v18
	v_cmp_gt_u32_e32 vcc, 8, v6
	v_cndmask_b32_e32 v6, v13, v16, vcc
	v_cndmask_b32_e32 v8, v8, v18, vcc
	v_lshlrev_b32_e32 v13, 24, v4
	v_lshlrev_b32_e32 v8, 20, v8
	v_and_b32_e32 v13, 0x80000000, v13
	v_lshl_add_u32 v6, v6, 23, v10
	v_or3_b32 v6, v13, v6, v8
	v_lshrrev_b32_e32 v16, 16, v6
.LBB755_1112:                           ;   in Loop: Header=BB755_796 Depth=1
	s_or_b64 exec, exec, s[18:19]
.LBB755_1113:                           ;   in Loop: Header=BB755_796 Depth=1
	s_or_b64 exec, exec, s[16:17]
.LBB755_1114:                           ;   in Loop: Header=BB755_796 Depth=1
	s_or_b64 exec, exec, s[14:15]
	v_lshrrev_b16_e32 v6, 8, v4
	v_cmp_ne_u16_e32 vcc, 0, v6
	v_mov_b32_e32 v18, 0
	v_mov_b32_e32 v8, 0
	s_and_saveexec_b64 s[14:15], vcc
	s_cbranch_execz .LBB755_1120
; %bb.1115:                             ;   in Loop: Header=BB755_796 Depth=1
	v_cmp_ne_u16_e32 vcc, s21, v6
	v_mov_b32_e32 v8, 0xffff8000
	s_and_saveexec_b64 s[16:17], vcc
	s_cbranch_execz .LBB755_1119
; %bb.1116:                             ;   in Loop: Header=BB755_796 Depth=1
	v_and_b32_e32 v13, 0x7f, v6
	v_cmp_ne_u32_e32 vcc, s23, v13
	v_mov_b32_e32 v8, 0x7f80
	s_and_saveexec_b64 s[18:19], vcc
	s_cbranch_execz .LBB755_1118
; %bb.1117:                             ;   in Loop: Header=BB755_796 Depth=1
	v_and_b32_e32 v8, 7, v6
	v_ffbh_u32_e32 v20, v8
	v_min_u32_e32 v22, 32, v20
	v_subrev_u32_e32 v20, 28, v22
	v_lshlrev_b64 v[20:21], v20, v[6:7]
	v_lshrrev_b32_e32 v19, 3, v13
	v_sub_u32_e32 v6, 29, v22
	v_and_b32_e32 v20, 7, v20
	v_cmp_gt_u32_e32 vcc, 8, v13
	v_cndmask_b32_e32 v6, v19, v6, vcc
	v_cndmask_b32_e32 v8, v8, v20, vcc
	v_lshlrev_b32_e32 v13, 16, v4
	v_lshlrev_b32_e32 v8, 20, v8
	v_and_b32_e32 v13, 0x80000000, v13
	v_lshl_add_u32 v6, v6, 23, v10
	v_or3_b32 v6, v13, v6, v8
	v_lshrrev_b32_e32 v8, 16, v6
.LBB755_1118:                           ;   in Loop: Header=BB755_796 Depth=1
	s_or_b64 exec, exec, s[18:19]
.LBB755_1119:                           ;   in Loop: Header=BB755_796 Depth=1
	s_or_b64 exec, exec, s[16:17]
.LBB755_1120:                           ;   in Loop: Header=BB755_796 Depth=1
	s_or_b64 exec, exec, s[14:15]
	v_lshrrev_b32_e32 v6, 16, v4
	v_cmp_ne_u16_sdwa s[16:17], v6, v9 src0_sel:BYTE_0 src1_sel:DWORD
	s_and_saveexec_b64 s[14:15], s[16:17]
	s_cbranch_execz .LBB755_1126
; %bb.1121:                             ;   in Loop: Header=BB755_796 Depth=1
	v_cmp_ne_u16_sdwa s[18:19], v6, s21 src0_sel:BYTE_0 src1_sel:DWORD
	v_mov_b32_e32 v18, 0xffff8000
	s_and_saveexec_b64 s[16:17], s[18:19]
	s_cbranch_execz .LBB755_1125
; %bb.1122:                             ;   in Loop: Header=BB755_796 Depth=1
	v_bfe_u32 v13, v4, 16, 7
	v_cmp_ne_u32_e32 vcc, s23, v13
	v_mov_b32_e32 v18, 0x7f80
	s_and_saveexec_b64 s[18:19], vcc
	s_cbranch_execz .LBB755_1124
; %bb.1123:                             ;   in Loop: Header=BB755_796 Depth=1
	v_and_b32_e32 v20, 7, v6
	v_ffbh_u32_e32 v18, v20
	v_min_u32_e32 v22, 32, v18
	v_subrev_u32_e32 v18, 28, v22
	v_lshlrev_b64 v[18:19], v18, v[6:7]
	v_lshrrev_b32_e32 v21, 3, v13
	v_sub_u32_e32 v19, 29, v22
	v_and_b32_e32 v18, 7, v18
	v_cmp_gt_u32_e32 vcc, 8, v13
	v_cndmask_b32_e32 v13, v21, v19, vcc
	v_cndmask_b32_e32 v18, v20, v18, vcc
	v_lshlrev_b32_e32 v6, 24, v6
	v_lshlrev_b32_e32 v18, 20, v18
	v_and_b32_e32 v6, 0x80000000, v6
	v_lshl_add_u32 v13, v13, 23, v10
	v_or3_b32 v6, v6, v13, v18
	v_lshrrev_b32_e32 v18, 16, v6
.LBB755_1124:                           ;   in Loop: Header=BB755_796 Depth=1
	s_or_b64 exec, exec, s[18:19]
.LBB755_1125:                           ;   in Loop: Header=BB755_796 Depth=1
	s_or_b64 exec, exec, s[16:17]
.LBB755_1126:                           ;   in Loop: Header=BB755_796 Depth=1
	s_or_b64 exec, exec, s[14:15]
	v_cmp_lt_u32_e32 vcc, s25, v4
	v_mov_b32_e32 v13, 0
	v_mov_b32_e32 v19, 0
	s_and_saveexec_b64 s[14:15], vcc
	s_cbranch_execz .LBB755_1132
; %bb.1127:                             ;   in Loop: Header=BB755_796 Depth=1
	v_lshrrev_b32_e32 v6, 24, v4
	v_cmp_ne_u32_e32 vcc, s21, v6
	v_mov_b32_e32 v19, 0xffff8000
	s_and_saveexec_b64 s[16:17], vcc
	s_cbranch_execz .LBB755_1131
; %bb.1128:                             ;   in Loop: Header=BB755_796 Depth=1
	v_bfe_u32 v4, v4, 24, 7
	v_cmp_ne_u32_e32 vcc, s23, v4
	v_mov_b32_e32 v19, 0x7f80
	s_and_saveexec_b64 s[18:19], vcc
	s_cbranch_execz .LBB755_1130
; %bb.1129:                             ;   in Loop: Header=BB755_796 Depth=1
	v_and_b32_e32 v19, 7, v6
	v_ffbh_u32_e32 v20, v19
	v_min_u32_e32 v23, 32, v20
	v_subrev_u32_e32 v20, 28, v23
	v_lshlrev_b64 v[20:21], v20, v[6:7]
	v_lshrrev_b32_e32 v22, 3, v4
	v_sub_u32_e32 v21, 29, v23
	v_and_b32_e32 v20, 7, v20
	v_cmp_gt_u32_e32 vcc, 8, v4
	v_cndmask_b32_e32 v4, v22, v21, vcc
	v_cndmask_b32_e32 v19, v19, v20, vcc
	v_lshlrev_b32_e32 v6, 24, v6
	v_lshlrev_b32_e32 v19, 20, v19
	v_and_b32_e32 v6, 0x80000000, v6
	v_lshl_add_u32 v4, v4, 23, v10
	v_or3_b32 v4, v6, v4, v19
	v_lshrrev_b32_e32 v19, 16, v4
.LBB755_1130:                           ;   in Loop: Header=BB755_796 Depth=1
	s_or_b64 exec, exec, s[18:19]
.LBB755_1131:                           ;   in Loop: Header=BB755_796 Depth=1
	s_or_b64 exec, exec, s[16:17]
.LBB755_1132:                           ;   in Loop: Header=BB755_796 Depth=1
	s_or_b64 exec, exec, s[14:15]
	buffer_load_dword v6, v11, s[0:3], 0 offen offset:56
	buffer_load_dword v4, v11, s[0:3], 0 offen offset:60
	v_perm_b32 v15, v17, v15, s28
	v_perm_b32 v14, v14, v12, s28
	v_perm_b32 v17, v19, v18, s28
	v_perm_b32 v16, v8, v16, s28
	v_mfma_f32_4x4x4bf16_1k a[0:3], v[2:3], v[14:15], a[0:3] cbsz:4 abid:12
	s_waitcnt vmcnt(1)
	v_cmp_ne_u16_sdwa s[16:17], v6, v9 src0_sel:BYTE_0 src1_sel:DWORD
	v_mfma_f32_4x4x4bf16_1k a[0:3], v[2:3], v[16:17], a[0:3] cbsz:4 abid:13
	s_and_saveexec_b64 s[14:15], s[16:17]
	s_cbranch_execz .LBB755_1138
; %bb.1133:                             ;   in Loop: Header=BB755_796 Depth=1
	v_cmp_ne_u16_sdwa s[18:19], v6, s21 src0_sel:BYTE_0 src1_sel:DWORD
	v_mov_b32_e32 v13, 0xffff8000
	s_and_saveexec_b64 s[16:17], s[18:19]
	s_cbranch_execz .LBB755_1137
; %bb.1134:                             ;   in Loop: Header=BB755_796 Depth=1
	v_and_b32_e32 v8, 0x7f, v6
	v_cmp_ne_u32_e32 vcc, s23, v8
	v_mov_b32_e32 v13, 0x7f80
	s_and_saveexec_b64 s[18:19], vcc
	s_cbranch_execz .LBB755_1136
; %bb.1135:                             ;   in Loop: Header=BB755_796 Depth=1
	v_and_b32_e32 v11, 7, v6
	v_ffbh_u32_e32 v12, v11
	v_min_u32_e32 v15, 32, v12
	v_subrev_u32_e32 v12, 28, v15
	v_lshlrev_b64 v[12:13], v12, v[6:7]
	v_lshrrev_b32_e32 v14, 3, v8
	v_sub_u32_e32 v13, 29, v15
	v_and_b32_e32 v12, 7, v12
	v_cmp_gt_u32_e32 vcc, 8, v8
	v_cndmask_b32_e32 v8, v14, v13, vcc
	v_cndmask_b32_e32 v11, v11, v12, vcc
	v_lshlrev_b32_e32 v12, 24, v6
	v_lshlrev_b32_e32 v11, 20, v11
	v_and_b32_e32 v12, 0x80000000, v12
	v_lshl_add_u32 v8, v8, 23, v10
	v_or3_b32 v8, v12, v8, v11
	v_lshrrev_b32_e32 v13, 16, v8
.LBB755_1136:                           ;   in Loop: Header=BB755_796 Depth=1
	s_or_b64 exec, exec, s[18:19]
.LBB755_1137:                           ;   in Loop: Header=BB755_796 Depth=1
	s_or_b64 exec, exec, s[16:17]
.LBB755_1138:                           ;   in Loop: Header=BB755_796 Depth=1
	s_or_b64 exec, exec, s[14:15]
	v_lshrrev_b16_e32 v8, 8, v6
	v_cmp_ne_u16_e32 vcc, 0, v8
	v_mov_b32_e32 v12, 0
	v_mov_b32_e32 v11, 0
	s_and_saveexec_b64 s[14:15], vcc
	s_cbranch_execz .LBB755_1144
; %bb.1139:                             ;   in Loop: Header=BB755_796 Depth=1
	v_cmp_ne_u16_e32 vcc, s21, v8
	v_mov_b32_e32 v11, 0xffff8000
	s_and_saveexec_b64 s[16:17], vcc
	s_cbranch_execz .LBB755_1143
; %bb.1140:                             ;   in Loop: Header=BB755_796 Depth=1
	v_and_b32_e32 v14, 0x7f, v8
	v_cmp_ne_u32_e32 vcc, s23, v14
	v_mov_b32_e32 v11, 0x7f80
	s_and_saveexec_b64 s[18:19], vcc
	s_cbranch_execz .LBB755_1142
; %bb.1141:                             ;   in Loop: Header=BB755_796 Depth=1
	v_and_b32_e32 v11, 7, v8
	v_ffbh_u32_e32 v16, v11
	v_min_u32_e32 v18, 32, v16
	v_subrev_u32_e32 v16, 28, v18
	v_lshlrev_b64 v[16:17], v16, v[8:9]
	v_lshrrev_b32_e32 v15, 3, v14
	v_sub_u32_e32 v8, 29, v18
	v_and_b32_e32 v16, 7, v16
	v_cmp_gt_u32_e32 vcc, 8, v14
	v_cndmask_b32_e32 v8, v15, v8, vcc
	v_cndmask_b32_e32 v11, v11, v16, vcc
	v_lshlrev_b32_e32 v14, 16, v6
	v_lshlrev_b32_e32 v11, 20, v11
	v_and_b32_e32 v14, 0x80000000, v14
	v_lshl_add_u32 v8, v8, 23, v10
	v_or3_b32 v8, v14, v8, v11
	v_lshrrev_b32_e32 v11, 16, v8
.LBB755_1142:                           ;   in Loop: Header=BB755_796 Depth=1
	s_or_b64 exec, exec, s[18:19]
.LBB755_1143:                           ;   in Loop: Header=BB755_796 Depth=1
	s_or_b64 exec, exec, s[16:17]
.LBB755_1144:                           ;   in Loop: Header=BB755_796 Depth=1
	s_or_b64 exec, exec, s[14:15]
	v_lshrrev_b32_e32 v8, 16, v6
	v_cmp_ne_u16_sdwa s[16:17], v8, v9 src0_sel:BYTE_0 src1_sel:DWORD
	s_and_saveexec_b64 s[14:15], s[16:17]
	s_cbranch_execz .LBB755_1150
; %bb.1145:                             ;   in Loop: Header=BB755_796 Depth=1
	v_cmp_ne_u16_sdwa s[18:19], v8, s21 src0_sel:BYTE_0 src1_sel:DWORD
	v_mov_b32_e32 v12, 0xffff8000
	s_and_saveexec_b64 s[16:17], s[18:19]
	s_cbranch_execz .LBB755_1149
; %bb.1146:                             ;   in Loop: Header=BB755_796 Depth=1
	v_bfe_u32 v14, v6, 16, 7
	v_cmp_ne_u32_e32 vcc, s23, v14
	v_mov_b32_e32 v12, 0x7f80
	s_and_saveexec_b64 s[18:19], vcc
	s_cbranch_execz .LBB755_1148
; %bb.1147:                             ;   in Loop: Header=BB755_796 Depth=1
	v_and_b32_e32 v12, 7, v8
	v_ffbh_u32_e32 v16, v12
	v_min_u32_e32 v18, 32, v16
	v_subrev_u32_e32 v16, 28, v18
	v_lshlrev_b64 v[16:17], v16, v[8:9]
	v_lshrrev_b32_e32 v15, 3, v14
	v_sub_u32_e32 v17, 29, v18
	v_and_b32_e32 v16, 7, v16
	v_cmp_gt_u32_e32 vcc, 8, v14
	v_cndmask_b32_e32 v14, v15, v17, vcc
	v_cndmask_b32_e32 v12, v12, v16, vcc
	v_lshlrev_b32_e32 v8, 24, v8
	v_lshlrev_b32_e32 v12, 20, v12
	v_and_b32_e32 v8, 0x80000000, v8
	v_lshl_add_u32 v14, v14, 23, v10
	v_or3_b32 v8, v8, v14, v12
	v_lshrrev_b32_e32 v12, 16, v8
.LBB755_1148:                           ;   in Loop: Header=BB755_796 Depth=1
	s_or_b64 exec, exec, s[18:19]
.LBB755_1149:                           ;   in Loop: Header=BB755_796 Depth=1
	s_or_b64 exec, exec, s[16:17]
.LBB755_1150:                           ;   in Loop: Header=BB755_796 Depth=1
	s_or_b64 exec, exec, s[14:15]
	v_cmp_lt_u32_e32 vcc, s25, v6
	v_mov_b32_e32 v14, 0
	v_mov_b32_e32 v15, 0
	s_and_saveexec_b64 s[14:15], vcc
	s_cbranch_execz .LBB755_1156
; %bb.1151:                             ;   in Loop: Header=BB755_796 Depth=1
	v_lshrrev_b32_e32 v8, 24, v6
	v_cmp_ne_u32_e32 vcc, s21, v8
	v_mov_b32_e32 v15, 0xffff8000
	s_and_saveexec_b64 s[16:17], vcc
	s_cbranch_execz .LBB755_1155
; %bb.1152:                             ;   in Loop: Header=BB755_796 Depth=1
	v_bfe_u32 v6, v6, 24, 7
	v_cmp_ne_u32_e32 vcc, s23, v6
	v_mov_b32_e32 v15, 0x7f80
	s_and_saveexec_b64 s[18:19], vcc
	s_cbranch_execz .LBB755_1154
; %bb.1153:                             ;   in Loop: Header=BB755_796 Depth=1
	v_and_b32_e32 v15, 7, v8
	v_ffbh_u32_e32 v16, v15
	v_min_u32_e32 v19, 32, v16
	v_subrev_u32_e32 v16, 28, v19
	v_lshlrev_b64 v[16:17], v16, v[8:9]
	v_lshrrev_b32_e32 v18, 3, v6
	v_sub_u32_e32 v17, 29, v19
	v_and_b32_e32 v16, 7, v16
	v_cmp_gt_u32_e32 vcc, 8, v6
	v_cndmask_b32_e32 v6, v18, v17, vcc
	v_cndmask_b32_e32 v15, v15, v16, vcc
	v_lshlrev_b32_e32 v8, 24, v8
	v_lshlrev_b32_e32 v15, 20, v15
	v_and_b32_e32 v8, 0x80000000, v8
	v_lshl_add_u32 v6, v6, 23, v10
	v_or3_b32 v6, v8, v6, v15
	v_lshrrev_b32_e32 v15, 16, v6
.LBB755_1154:                           ;   in Loop: Header=BB755_796 Depth=1
	s_or_b64 exec, exec, s[18:19]
.LBB755_1155:                           ;   in Loop: Header=BB755_796 Depth=1
	s_or_b64 exec, exec, s[16:17]
.LBB755_1156:                           ;   in Loop: Header=BB755_796 Depth=1
	s_or_b64 exec, exec, s[14:15]
	s_waitcnt vmcnt(0)
	v_cmp_ne_u16_sdwa s[16:17], v4, v9 src0_sel:BYTE_0 src1_sel:DWORD
	s_and_saveexec_b64 s[14:15], s[16:17]
	s_cbranch_execz .LBB755_1162
; %bb.1157:                             ;   in Loop: Header=BB755_796 Depth=1
	v_cmp_ne_u16_sdwa s[18:19], v4, s21 src0_sel:BYTE_0 src1_sel:DWORD
	v_mov_b32_e32 v14, 0xffff8000
	s_and_saveexec_b64 s[16:17], s[18:19]
	s_cbranch_execz .LBB755_1161
; %bb.1158:                             ;   in Loop: Header=BB755_796 Depth=1
	v_and_b32_e32 v6, 0x7f, v4
	v_cmp_ne_u32_e32 vcc, s23, v6
	v_mov_b32_e32 v14, 0x7f80
	s_and_saveexec_b64 s[18:19], vcc
	s_cbranch_execz .LBB755_1160
; %bb.1159:                             ;   in Loop: Header=BB755_796 Depth=1
	v_and_b32_e32 v8, 7, v4
	v_ffbh_u32_e32 v16, v8
	v_min_u32_e32 v18, 32, v16
	v_subrev_u32_e32 v16, 28, v18
	v_lshlrev_b64 v[16:17], v16, v[4:5]
	v_lshrrev_b32_e32 v14, 3, v6
	v_sub_u32_e32 v17, 29, v18
	v_and_b32_e32 v16, 7, v16
	v_cmp_gt_u32_e32 vcc, 8, v6
	v_cndmask_b32_e32 v6, v14, v17, vcc
	v_cndmask_b32_e32 v8, v8, v16, vcc
	v_lshlrev_b32_e32 v14, 24, v4
	v_lshlrev_b32_e32 v8, 20, v8
	v_and_b32_e32 v14, 0x80000000, v14
	v_lshl_add_u32 v6, v6, 23, v10
	v_or3_b32 v6, v14, v6, v8
	v_lshrrev_b32_e32 v14, 16, v6
.LBB755_1160:                           ;   in Loop: Header=BB755_796 Depth=1
	s_or_b64 exec, exec, s[18:19]
.LBB755_1161:                           ;   in Loop: Header=BB755_796 Depth=1
	s_or_b64 exec, exec, s[16:17]
.LBB755_1162:                           ;   in Loop: Header=BB755_796 Depth=1
	s_or_b64 exec, exec, s[14:15]
	v_lshrrev_b16_e32 v6, 8, v4
	v_cmp_ne_u16_e32 vcc, 0, v6
	v_mov_b32_e32 v16, 0
	v_mov_b32_e32 v8, 0
	s_and_saveexec_b64 s[14:15], vcc
	s_cbranch_execz .LBB755_1168
; %bb.1163:                             ;   in Loop: Header=BB755_796 Depth=1
	v_cmp_ne_u16_e32 vcc, s21, v6
	v_mov_b32_e32 v8, 0xffff8000
	s_and_saveexec_b64 s[16:17], vcc
	s_cbranch_execz .LBB755_1167
; %bb.1164:                             ;   in Loop: Header=BB755_796 Depth=1
	v_and_b32_e32 v17, 0x7f, v6
	v_cmp_ne_u32_e32 vcc, s23, v17
	v_mov_b32_e32 v8, 0x7f80
	s_and_saveexec_b64 s[18:19], vcc
	s_cbranch_execz .LBB755_1166
; %bb.1165:                             ;   in Loop: Header=BB755_796 Depth=1
	v_and_b32_e32 v8, 7, v6
	v_ffbh_u32_e32 v18, v8
	v_min_u32_e32 v21, 32, v18
	v_subrev_u32_e32 v18, 28, v21
	v_lshlrev_b64 v[18:19], v18, v[6:7]
	v_lshrrev_b32_e32 v20, 3, v17
	v_sub_u32_e32 v6, 29, v21
	v_and_b32_e32 v18, 7, v18
	v_cmp_gt_u32_e32 vcc, 8, v17
	v_cndmask_b32_e32 v6, v20, v6, vcc
	v_cndmask_b32_e32 v8, v8, v18, vcc
	v_lshlrev_b32_e32 v17, 16, v4
	v_lshlrev_b32_e32 v8, 20, v8
	v_and_b32_e32 v17, 0x80000000, v17
	v_lshl_add_u32 v6, v6, 23, v10
	v_or3_b32 v6, v17, v6, v8
	v_lshrrev_b32_e32 v8, 16, v6
.LBB755_1166:                           ;   in Loop: Header=BB755_796 Depth=1
	s_or_b64 exec, exec, s[18:19]
.LBB755_1167:                           ;   in Loop: Header=BB755_796 Depth=1
	s_or_b64 exec, exec, s[16:17]
.LBB755_1168:                           ;   in Loop: Header=BB755_796 Depth=1
	s_or_b64 exec, exec, s[14:15]
	v_lshrrev_b32_e32 v6, 16, v4
	v_cmp_ne_u16_sdwa s[16:17], v6, v9 src0_sel:BYTE_0 src1_sel:DWORD
	s_and_saveexec_b64 s[14:15], s[16:17]
	s_cbranch_execz .LBB755_1174
; %bb.1169:                             ;   in Loop: Header=BB755_796 Depth=1
	v_cmp_ne_u16_sdwa s[18:19], v6, s21 src0_sel:BYTE_0 src1_sel:DWORD
	v_mov_b32_e32 v16, 0xffff8000
	s_and_saveexec_b64 s[16:17], s[18:19]
	s_cbranch_execz .LBB755_1173
; %bb.1170:                             ;   in Loop: Header=BB755_796 Depth=1
	v_bfe_u32 v17, v4, 16, 7
	v_cmp_ne_u32_e32 vcc, s23, v17
	v_mov_b32_e32 v16, 0x7f80
	s_and_saveexec_b64 s[18:19], vcc
	s_cbranch_execz .LBB755_1172
; %bb.1171:                             ;   in Loop: Header=BB755_796 Depth=1
	v_and_b32_e32 v16, 7, v6
	v_ffbh_u32_e32 v18, v16
	v_min_u32_e32 v21, 32, v18
	v_subrev_u32_e32 v18, 28, v21
	v_lshlrev_b64 v[18:19], v18, v[6:7]
	v_lshrrev_b32_e32 v20, 3, v17
	v_sub_u32_e32 v19, 29, v21
	v_and_b32_e32 v18, 7, v18
	v_cmp_gt_u32_e32 vcc, 8, v17
	v_cndmask_b32_e32 v17, v20, v19, vcc
	v_cndmask_b32_e32 v16, v16, v18, vcc
	v_lshlrev_b32_e32 v6, 24, v6
	v_lshlrev_b32_e32 v16, 20, v16
	v_and_b32_e32 v6, 0x80000000, v6
	v_lshl_add_u32 v17, v17, 23, v10
	v_or3_b32 v6, v6, v17, v16
	v_lshrrev_b32_e32 v16, 16, v6
.LBB755_1172:                           ;   in Loop: Header=BB755_796 Depth=1
	s_or_b64 exec, exec, s[18:19]
.LBB755_1173:                           ;   in Loop: Header=BB755_796 Depth=1
	s_or_b64 exec, exec, s[16:17]
.LBB755_1174:                           ;   in Loop: Header=BB755_796 Depth=1
	s_or_b64 exec, exec, s[14:15]
	v_cmp_lt_u32_e32 vcc, s25, v4
	v_mov_b32_e32 v17, 0
	s_and_saveexec_b64 s[14:15], vcc
	s_cbranch_execz .LBB755_795
; %bb.1175:                             ;   in Loop: Header=BB755_796 Depth=1
	v_lshrrev_b32_e32 v6, 24, v4
	v_cmp_ne_u32_e32 vcc, s21, v6
	v_mov_b32_e32 v17, 0xffff8000
	s_and_saveexec_b64 s[16:17], vcc
	s_cbranch_execz .LBB755_794
; %bb.1176:                             ;   in Loop: Header=BB755_796 Depth=1
	v_bfe_u32 v4, v4, 24, 7
	v_cmp_ne_u32_e32 vcc, s23, v4
	v_mov_b32_e32 v17, 0x7f80
	s_and_saveexec_b64 s[18:19], vcc
	s_cbranch_execz .LBB755_793
; %bb.1177:                             ;   in Loop: Header=BB755_796 Depth=1
	v_and_b32_e32 v17, 7, v6
	v_ffbh_u32_e32 v18, v17
	v_min_u32_e32 v21, 32, v18
	v_subrev_u32_e32 v18, 28, v21
	v_lshlrev_b64 v[18:19], v18, v[6:7]
	v_lshrrev_b32_e32 v20, 3, v4
	v_sub_u32_e32 v19, 29, v21
	v_and_b32_e32 v18, 7, v18
	v_cmp_gt_u32_e32 vcc, 8, v4
	v_cndmask_b32_e32 v4, v20, v19, vcc
	v_cndmask_b32_e32 v17, v17, v18, vcc
	v_lshlrev_b32_e32 v6, 24, v6
	v_lshlrev_b32_e32 v17, 20, v17
	v_and_b32_e32 v6, 0x80000000, v6
	v_lshl_add_u32 v4, v4, 23, v10
	v_or3_b32 v4, v6, v4, v17
	v_lshrrev_b32_e32 v17, 16, v4
	s_branch .LBB755_793
.LBB755_1178:
	s_or_b64 exec, exec, s[6:7]
	v_cmp_gt_u32_e32 vcc, 64, v0
	s_waitcnt lgkmcnt(0)
	s_barrier
	s_and_saveexec_b64 s[6:7], vcc
	s_cbranch_execz .LBB755_1180
; %bb.1179:
	v_mul_u32_u24_e32 v6, 40, v1
	ds_read2_b64 v[2:5], v6 offset1:1
	ds_read2_b64 v[6:9], v6 offset0:2 offset1:3
	s_mov_b32 s5, 0
	s_lshl_b32 s4, s4, 7
	s_lshl_b64 s[6:7], s[4:5], 1
	s_waitcnt lgkmcnt(1)
	v_and_b32_e32 v3, 0xffff0000, v2
	v_add_f32_e32 v3, 0, v3
	v_and_b32_e32 v5, 0xffff0000, v4
	v_and_b32_e32 v3, 0xffff0000, v3
	v_add_f32_e32 v3, v3, v5
	s_waitcnt lgkmcnt(0)
	v_and_b32_e32 v7, 0xffff0000, v6
	v_and_b32_e32 v3, 0xffff0000, v3
	v_add_f32_e32 v3, v3, v7
	v_mov_b32_e32 v7, 0xa00
	v_mad_u32_u24 v7, v1, 40, v7
	ds_read2_b64 v[10:13], v7 offset1:1
	v_and_b32_e32 v3, 0xffff0000, v3
	v_and_b32_e32 v5, 0xffff0000, v8
	v_add_f32_e32 v7, v3, v5
	v_mov_b32_e32 v3, 0xa10
	v_mad_u32_u24 v1, v1, 40, v3
	ds_read2_b64 v[14:17], v1 offset1:1
	s_waitcnt lgkmcnt(1)
	v_lshlrev_b32_e32 v1, 16, v10
	v_add_f32_e32 v1, 0, v1
	v_and_b32_e32 v3, 0xffff0000, v10
	v_and_b32_e32 v1, 0xffff0000, v1
	v_add_f32_e32 v3, 0, v3
	v_lshlrev_b32_e32 v5, 16, v12
	v_and_b32_e32 v3, 0xffff0000, v3
	v_add_f32_e32 v1, v1, v5
	v_and_b32_e32 v5, 0xffff0000, v12
	v_and_b32_e32 v1, 0xffff0000, v1
	v_add_f32_e32 v3, v3, v5
	s_waitcnt lgkmcnt(0)
	v_lshlrev_b32_e32 v5, 16, v14
	v_and_b32_e32 v3, 0xffff0000, v3
	v_add_f32_e32 v1, v1, v5
	v_and_b32_e32 v5, 0xffff0000, v14
	v_and_b32_e32 v1, 0xffff0000, v1
	v_add_f32_e32 v3, v3, v5
	v_lshlrev_b32_e32 v5, 16, v16
	v_and_b32_e32 v3, 0xffff0000, v3
	v_add_f32_e32 v9, v1, v5
	v_and_b32_e32 v1, 0xffff0000, v16
	v_add_f32_e32 v10, v3, v1
	v_lshlrev_b32_e32 v1, 16, v2
	s_add_u32 s6, s26, s6
	v_add_f32_e32 v1, 0, v1
	s_addc_u32 s7, s27, s7
	s_lshl_b32 s4, s24, 7
	v_and_b32_e32 v1, 0xffff0000, v1
	v_lshlrev_b32_e32 v2, 16, v4
	s_lshl_b64 s[4:5], s[4:5], 1
	v_add_f32_e32 v1, v1, v2
	s_add_u32 s4, s6, s4
	v_and_b32_e32 v1, 0xffff0000, v1
	v_lshlrev_b32_e32 v2, 16, v6
	s_addc_u32 s5, s7, s5
	s_lshl_b32 s6, s42, 7
	v_add_f32_e32 v1, v1, v2
	v_and_b32_e32 v1, 0xffff0000, v1
	v_lshlrev_b32_e32 v2, 16, v8
	s_mul_i32 s7, s6, s33
	v_add_f32_e32 v1, v1, v2
	v_or_b32_e32 v2, s7, v0
	v_mov_b32_e32 v3, 0
	v_lshlrev_b64 v[4:5], 1, v[2:3]
	v_mov_b32_e32 v2, s5
	v_add_co_u32_e32 v4, vcc, s4, v4
	s_add_i32 s7, s7, s6
	v_addc_co_u32_e32 v5, vcc, v2, v5, vcc
	v_or_b32_e32 v2, s7, v0
	global_store_short_d16_hi v[4:5], v1, off
	v_lshlrev_b64 v[0:1], 1, v[2:3]
	v_mov_b32_e32 v2, s5
	v_add_co_u32_e32 v0, vcc, s4, v0
	v_addc_co_u32_e32 v1, vcc, v2, v1, vcc
	global_store_short_d16_hi v[0:1], v7, off
	global_store_short_d16_hi v[4:5], v9, off offset:128
	global_store_short_d16_hi v[0:1], v10, off offset:128
.LBB755_1180:
	s_endpgm
	.section	.rodata,"a",@progbits
	.p2align	6, 0x0
	.amdhsa_kernel _Z38paged_attention_ll4mi_QKV_mfma4_kernelI14__hip_bfloat16hLN4vllm18Fp8KVCacheDataTypeE1ES0_Li16ELi128ELi256ELb1ELi2EEvPKT_PKT0_S8_ifPKiSA_SA_iPKfiiiPfSD_PS3_PT2_iSC_SC_
		.amdhsa_group_segment_fixed_size 5280
		.amdhsa_private_segment_fixed_size 144
		.amdhsa_kernarg_size 400
		.amdhsa_user_sgpr_count 8
		.amdhsa_user_sgpr_private_segment_buffer 1
		.amdhsa_user_sgpr_dispatch_ptr 0
		.amdhsa_user_sgpr_queue_ptr 0
		.amdhsa_user_sgpr_kernarg_segment_ptr 1
		.amdhsa_user_sgpr_dispatch_id 0
		.amdhsa_user_sgpr_flat_scratch_init 1
		.amdhsa_user_sgpr_kernarg_preload_length 0
		.amdhsa_user_sgpr_kernarg_preload_offset 0
		.amdhsa_user_sgpr_private_segment_size 0
		.amdhsa_uses_dynamic_stack 0
		.amdhsa_system_sgpr_private_segment_wavefront_offset 1
		.amdhsa_system_sgpr_workgroup_id_x 1
		.amdhsa_system_sgpr_workgroup_id_y 1
		.amdhsa_system_sgpr_workgroup_id_z 1
		.amdhsa_system_sgpr_workgroup_info 0
		.amdhsa_system_vgpr_workitem_id 0
		.amdhsa_next_free_vgpr 84
		.amdhsa_next_free_sgpr 48
		.amdhsa_accum_offset 80
		.amdhsa_reserve_vcc 1
		.amdhsa_reserve_flat_scratch 0
		.amdhsa_float_round_mode_32 0
		.amdhsa_float_round_mode_16_64 0
		.amdhsa_float_denorm_mode_32 3
		.amdhsa_float_denorm_mode_16_64 3
		.amdhsa_dx10_clamp 1
		.amdhsa_ieee_mode 1
		.amdhsa_fp16_overflow 0
		.amdhsa_tg_split 0
		.amdhsa_exception_fp_ieee_invalid_op 0
		.amdhsa_exception_fp_denorm_src 0
		.amdhsa_exception_fp_ieee_div_zero 0
		.amdhsa_exception_fp_ieee_overflow 0
		.amdhsa_exception_fp_ieee_underflow 0
		.amdhsa_exception_fp_ieee_inexact 0
		.amdhsa_exception_int_div_zero 0
	.end_amdhsa_kernel
	.section	.text._Z38paged_attention_ll4mi_QKV_mfma4_kernelI14__hip_bfloat16hLN4vllm18Fp8KVCacheDataTypeE1ES0_Li16ELi128ELi256ELb1ELi2EEvPKT_PKT0_S8_ifPKiSA_SA_iPKfiiiPfSD_PS3_PT2_iSC_SC_,"axG",@progbits,_Z38paged_attention_ll4mi_QKV_mfma4_kernelI14__hip_bfloat16hLN4vllm18Fp8KVCacheDataTypeE1ES0_Li16ELi128ELi256ELb1ELi2EEvPKT_PKT0_S8_ifPKiSA_SA_iPKfiiiPfSD_PS3_PT2_iSC_SC_,comdat
.Lfunc_end755:
	.size	_Z38paged_attention_ll4mi_QKV_mfma4_kernelI14__hip_bfloat16hLN4vllm18Fp8KVCacheDataTypeE1ES0_Li16ELi128ELi256ELb1ELi2EEvPKT_PKT0_S8_ifPKiSA_SA_iPKfiiiPfSD_PS3_PT2_iSC_SC_, .Lfunc_end755-_Z38paged_attention_ll4mi_QKV_mfma4_kernelI14__hip_bfloat16hLN4vllm18Fp8KVCacheDataTypeE1ES0_Li16ELi128ELi256ELb1ELi2EEvPKT_PKT0_S8_ifPKiSA_SA_iPKfiiiPfSD_PS3_PT2_iSC_SC_
                                        ; -- End function
	.section	.AMDGPU.csdata,"",@progbits
; Kernel info:
; codeLenInByte = 39836
; NumSgprs: 52
; NumVgprs: 80
; NumAgprs: 4
; TotalNumVgprs: 84
; ScratchSize: 144
; MemoryBound: 0
; FloatMode: 240
; IeeeMode: 1
; LDSByteSize: 5280 bytes/workgroup (compile time only)
; SGPRBlocks: 6
; VGPRBlocks: 10
; NumSGPRsForWavesPerEU: 52
; NumVGPRsForWavesPerEU: 84
; AccumOffset: 80
; Occupancy: 5
; WaveLimiterHint : 1
; COMPUTE_PGM_RSRC2:SCRATCH_EN: 1
; COMPUTE_PGM_RSRC2:USER_SGPR: 8
; COMPUTE_PGM_RSRC2:TRAP_HANDLER: 0
; COMPUTE_PGM_RSRC2:TGID_X_EN: 1
; COMPUTE_PGM_RSRC2:TGID_Y_EN: 1
; COMPUTE_PGM_RSRC2:TGID_Z_EN: 1
; COMPUTE_PGM_RSRC2:TIDIG_COMP_CNT: 0
; COMPUTE_PGM_RSRC3_GFX90A:ACCUM_OFFSET: 19
; COMPUTE_PGM_RSRC3_GFX90A:TG_SPLIT: 0
	.section	.text._Z38paged_attention_ll4mi_QKV_mfma4_kernelI14__hip_bfloat16hLN4vllm18Fp8KVCacheDataTypeE1ES0_Li16ELi128ELi256ELb1ELi3EEvPKT_PKT0_S8_ifPKiSA_SA_iPKfiiiPfSD_PS3_PT2_iSC_SC_,"axG",@progbits,_Z38paged_attention_ll4mi_QKV_mfma4_kernelI14__hip_bfloat16hLN4vllm18Fp8KVCacheDataTypeE1ES0_Li16ELi128ELi256ELb1ELi3EEvPKT_PKT0_S8_ifPKiSA_SA_iPKfiiiPfSD_PS3_PT2_iSC_SC_,comdat
	.protected	_Z38paged_attention_ll4mi_QKV_mfma4_kernelI14__hip_bfloat16hLN4vllm18Fp8KVCacheDataTypeE1ES0_Li16ELi128ELi256ELb1ELi3EEvPKT_PKT0_S8_ifPKiSA_SA_iPKfiiiPfSD_PS3_PT2_iSC_SC_ ; -- Begin function _Z38paged_attention_ll4mi_QKV_mfma4_kernelI14__hip_bfloat16hLN4vllm18Fp8KVCacheDataTypeE1ES0_Li16ELi128ELi256ELb1ELi3EEvPKT_PKT0_S8_ifPKiSA_SA_iPKfiiiPfSD_PS3_PT2_iSC_SC_
	.globl	_Z38paged_attention_ll4mi_QKV_mfma4_kernelI14__hip_bfloat16hLN4vllm18Fp8KVCacheDataTypeE1ES0_Li16ELi128ELi256ELb1ELi3EEvPKT_PKT0_S8_ifPKiSA_SA_iPKfiiiPfSD_PS3_PT2_iSC_SC_
	.p2align	8
	.type	_Z38paged_attention_ll4mi_QKV_mfma4_kernelI14__hip_bfloat16hLN4vllm18Fp8KVCacheDataTypeE1ES0_Li16ELi128ELi256ELb1ELi3EEvPKT_PKT0_S8_ifPKiSA_SA_iPKfiiiPfSD_PS3_PT2_iSC_SC_,@function
_Z38paged_attention_ll4mi_QKV_mfma4_kernelI14__hip_bfloat16hLN4vllm18Fp8KVCacheDataTypeE1ES0_Li16ELi128ELi256ELb1ELi3EEvPKT_PKT0_S8_ifPKiSA_SA_iPKfiiiPfSD_PS3_PT2_iSC_SC_: ; @_Z38paged_attention_ll4mi_QKV_mfma4_kernelI14__hip_bfloat16hLN4vllm18Fp8KVCacheDataTypeE1ES0_Li16ELi128ELi256ELb1ELi3EEvPKT_PKT0_S8_ifPKiSA_SA_iPKfiiiPfSD_PS3_PT2_iSC_SC_
; %bb.0:
	s_load_dwordx2 s[12:13], s[4:5], 0x30
	s_add_u32 s0, s0, s11
	s_addc_u32 s1, s1, 0
	s_mov_b32 s14, s9
	s_mov_b64 s[6:7], 0
	s_waitcnt lgkmcnt(0)
	s_cmp_lg_u64 s[12:13], 0
	s_cselect_b64 s[24:25], -1, 0
	s_and_b64 vcc, exec, s[24:25]
	s_cbranch_vccz .LBB756_10
; %bb.1:
	s_add_i32 s16, s8, 1
	s_mov_b32 s17, 0
	s_lshl_b64 s[18:19], s[16:17], 2
	s_add_u32 s18, s12, s18
	s_mov_b32 s9, s17
	s_addc_u32 s19, s13, s19
	s_lshl_b64 s[16:17], s[8:9], 2
	s_add_u32 s16, s12, s16
	s_addc_u32 s17, s13, s17
	s_load_dword s11, s[18:19], 0x0
	s_load_dword s15, s[16:17], 0x0
	s_waitcnt lgkmcnt(0)
	s_sub_i32 s11, s11, s15
	s_cmp_eq_u32 s11, 1
	s_cselect_b64 s[16:17], -1, 0
	s_andn2_b64 vcc, exec, s[6:7]
	s_cbranch_vccnz .LBB756_3
.LBB756_2:
	s_mov_b32 s9, 0
	s_mov_b64 s[16:17], -1
.LBB756_3:
	s_andn2_b64 vcc, exec, s[16:17]
	s_cbranch_vccnz .LBB756_1180
; %bb.4:
	s_load_dword s11, s[4:5], 0x9c
	s_load_dwordx2 s[6:7], s[4:5], 0x28
	s_add_u32 s30, s4, 0x90
	s_addc_u32 s31, s5, 0
	s_lshl_b64 s[26:27], s[8:9], 2
	s_waitcnt lgkmcnt(0)
	s_and_b32 s11, s11, 0xffff
	s_add_u32 s6, s6, s26
	s_addc_u32 s7, s7, s27
	s_load_dword s9, s[6:7], 0x0
	s_mul_i32 s11, s14, s11
	s_waitcnt lgkmcnt(0)
	s_cmp_ge_i32 s11, s9
	s_cbranch_scc1 .LBB756_1180
; %bb.5:
	v_and_b32_e32 v1, 0xc0, v0
	v_add_u32_e32 v7, s11, v1
	v_lshrrev_b32_e32 v42, 6, v0
	v_cmp_le_i32_e64 s[6:7], s9, v7
                                        ; implicit-def: $sgpr36
                                        ; implicit-def: $sgpr15
	s_and_saveexec_b64 s[16:17], s[6:7]
	s_xor_b64 s[16:17], exec, s[16:17]
	s_cbranch_execz .LBB756_7
; %bb.6:
	v_mul_u32_u24_e32 v1, 20, v42
	v_or_b32_e32 v1, 0x1400, v1
	v_mov_b32_e32 v2, 0x1450
	v_mov_b32_e32 v3, 0xff7fffff
	v_mad_u32_u24 v2, v42, 20, v2
	ds_write2_b32 v1, v3, v3 offset1:1
	v_mov_b32_e32 v1, 0
	ds_write2_b32 v2, v1, v1 offset1:1
	v_mov_b32_e32 v2, 0x1408
	s_mov_b32 s15, 0xff7fffff
	s_mov_b32 s36, 0
	v_mad_u32_u24 v2, v42, 20, v2
	v_mov_b32_e32 v4, 0x1458
	v_mad_u32_u24 v4, v42, 20, v4
	ds_write2_b32 v2, v3, v3 offset1:1
	ds_write2_b32 v4, v1, v1 offset1:1
                                        ; implicit-def: $vgpr7
.LBB756_7:
	s_or_saveexec_b64 s[34:35], s[16:17]
	s_load_dwordx2 s[28:29], s[4:5], 0x68
	s_load_dwordx4 s[20:23], s[4:5], 0x58
	s_load_dword s44, s[30:31], 0x4
	s_load_dwordx4 s[16:19], s[4:5], 0x80
	v_and_b32_e32 v1, 63, v0
	v_and_b32_e32 v43, 3, v0
	s_mul_i32 s33, s10, 3
	v_mov_b32_e32 v5, s36
	v_mov_b32_e32 v6, s15
	;; [unrolled: 1-line block ×5, first 2 shown]
	s_xor_b64 exec, exec, s[34:35]
	s_cbranch_execz .LBB756_787
; %bb.8:
	s_add_i32 s38, s9, 15
	s_load_dwordx2 s[36:37], s[4:5], 0x20
	s_load_dword s15, s[4:5], 0x38
	s_ashr_i32 s39, s38, 31
	s_lshr_b32 s39, s39, 28
	v_add_u32_e32 v44, s11, v0
	s_add_i32 s38, s38, s39
	v_ashrrev_i32_e32 v2, 31, v44
	s_ashr_i32 s38, s38, 4
	v_lshrrev_b32_e32 v2, 28, v2
	s_add_i32 s40, s38, -1
	v_add_u32_e32 v2, v44, v2
	s_waitcnt lgkmcnt(0)
	s_mul_i32 s38, s8, s15
	s_mov_b32 s39, 0
	v_ashrrev_i32_e32 v2, 4, v2
	v_mov_b32_e32 v3, s40
	v_cmp_gt_i32_e32 vcc, s9, v44
	s_lshl_b64 s[38:39], s[38:39], 2
	v_cndmask_b32_e32 v2, v3, v2, vcc
	s_add_u32 s15, s36, s38
	v_ashrrev_i32_e32 v3, 31, v2
	s_addc_u32 s36, s37, s39
	v_lshlrev_b64 v[2:3], 2, v[2:3]
	v_mov_b32_e32 v4, s36
	v_add_co_u32_e32 v2, vcc, s15, v2
	v_addc_co_u32_e32 v3, vcc, v4, v3, vcc
	v_ashrrev_i32_e32 v4, 31, v7
	v_lshrrev_b32_e32 v4, 28, v4
	v_add_u32_e32 v4, v7, v4
	v_ashrrev_i32_e32 v12, 4, v4
	v_min_i32_e32 v4, s40, v12
	v_ashrrev_i32_e32 v5, 31, v4
	v_lshlrev_b64 v[4:5], 2, v[4:5]
	v_mov_b32_e32 v6, s36
	v_add_co_u32_e32 v4, vcc, s15, v4
	v_addc_co_u32_e32 v5, vcc, v6, v5, vcc
	v_add_u32_e32 v6, 1, v12
	v_min_i32_e32 v6, s40, v6
	v_ashrrev_i32_e32 v7, 31, v6
	v_lshlrev_b64 v[6:7], 2, v[6:7]
	v_add_co_u32_e32 v8, vcc, s15, v6
	v_add_u32_e32 v6, 2, v12
	v_mov_b32_e32 v9, s36
	v_min_i32_e32 v6, s40, v6
	v_addc_co_u32_e32 v9, vcc, v9, v7, vcc
	v_ashrrev_i32_e32 v7, 31, v6
	v_lshlrev_b64 v[6:7], 2, v[6:7]
	v_add_co_u32_e32 v10, vcc, s15, v6
	v_add_u32_e32 v6, 3, v12
	v_mov_b32_e32 v11, s36
	v_min_i32_e32 v6, s40, v6
	v_addc_co_u32_e32 v11, vcc, v11, v7, vcc
	v_ashrrev_i32_e32 v7, 31, v6
	v_lshlrev_b64 v[6:7], 2, v[6:7]
	v_mov_b32_e32 v13, s36
	v_add_co_u32_e32 v12, vcc, s15, v6
	v_addc_co_u32_e32 v13, vcc, v13, v7, vcc
	global_load_dword v6, v[2:3], off
	global_load_dword v47, v[4:5], off
	;; [unrolled: 1-line block ×5, first 2 shown]
	s_load_dwordx2 s[38:39], s[4:5], 0x8
	s_andn2_b64 vcc, exec, s[24:25]
	s_cbranch_vccnz .LBB756_11
; %bb.9:
	s_add_u32 s12, s12, s26
	s_addc_u32 s13, s13, s27
	s_load_dword s11, s[12:13], 0x0
	s_branch .LBB756_12
.LBB756_10:
	s_mov_b64 s[16:17], 0
	s_branch .LBB756_2
.LBB756_11:
	s_mov_b32 s11, s8
.LBB756_12:
	s_load_dwordx2 s[36:37], s[4:5], 0x10
	s_load_dwordx4 s[24:27], s[4:5], 0x48
	v_cmp_eq_u32_e32 vcc, 3, v43
	v_cmp_ne_u32_e64 s[12:13], 3, v43
	s_mov_b32 s43, 0
	v_mov_b32_e32 v45, 0
	v_mov_b32_e32 v2, 0
	;; [unrolled: 1-line block ×5, first 2 shown]
	s_and_saveexec_b64 s[40:41], s[12:13]
	s_cbranch_execz .LBB756_14
; %bb.13:
	s_load_dwordx2 s[46:47], s[4:5], 0x0
	s_waitcnt lgkmcnt(0)
	s_ashr_i32 s15, s24, 31
	s_mul_hi_u32 s27, s11, s24
	s_mul_i32 s15, s11, s15
	s_add_i32 s49, s27, s15
	s_mul_i32 s48, s11, s24
	s_lshl_b64 s[48:49], s[48:49], 1
	s_add_u32 s11, s46, s48
	s_mul_i32 s42, s10, 0x180
	s_addc_u32 s15, s47, s49
	s_lshl_b64 s[42:43], s[42:43], 1
	v_lshlrev_b32_e32 v2, 2, v1
	s_add_u32 s42, s11, s42
	v_and_b32_e32 v2, 0xf0, v2
	s_addc_u32 s43, s15, s43
	v_lshl_or_b32 v2, v43, 8, v2
	global_load_dwordx4 v[2:5], v2, s[42:43]
.LBB756_14:
	s_or_b64 exec, exec, s[40:41]
	s_waitcnt lgkmcnt(0)
	s_mul_i32 s15, s10, s26
	s_add_u32 s10, s15, s38
	s_addc_u32 s11, 0, s39
	v_pk_mov_b32 v[8:9], s[10:11], s[10:11] op_sel:[0,1]
	s_waitcnt vmcnt(4)
	v_mad_i64_i32 v[6:7], s[10:11], v6, s25, v[8:9]
	v_lshlrev_b32_e32 v8, 4, v0
	v_and_b32_e32 v8, 0xf0, v8
	v_add_co_u32_e64 v38, s[10:11], v6, v8
	v_addc_co_u32_e64 v39, s[10:11], 0, v7, s[10:11]
	global_load_dwordx4 v[34:37], v[38:39], off
	global_load_dwordx4 v[30:33], v[38:39], off offset:256
	global_load_dwordx4 v[26:29], v[38:39], off offset:512
	;; [unrolled: 1-line block ×7, first 2 shown]
	s_and_saveexec_b64 s[26:27], s[12:13]
	s_cbranch_execz .LBB756_16
; %bb.15:
	s_load_dwordx2 s[10:11], s[4:5], 0x40
	v_add_u32_e32 v38, s33, v43
	v_mov_b32_e32 v39, 0
	v_lshlrev_b64 v[38:39], 2, v[38:39]
	s_waitcnt lgkmcnt(0)
	v_mov_b32_e32 v45, s11
	v_add_co_u32_e64 v38, s[10:11], s10, v38
	v_addc_co_u32_e64 v39, s[10:11], v45, v39, s[10:11]
	global_load_dword v45, v[38:39], off
.LBB756_16:
	s_or_b64 exec, exec, s[26:27]
	s_waitcnt vmcnt(11)
	v_mul_hi_i32 v38, v47, s25
	v_ashrrev_i32_e32 v38, 31, v38
	v_lshrrev_b32_e32 v38, 29, v38
	v_mov_b32_e32 v39, 0
	s_add_u32 s12, s36, s15
	v_mad_i64_i32 v[48:49], s[10:11], v47, s25, v[38:39]
	s_addc_u32 s13, s37, 0
	v_and_b32_e32 v38, -8, v48
	v_mov_b32_e32 v47, s13
	v_add_co_u32_e64 v38, s[10:11], s12, v38
	v_addc_co_u32_e64 v47, s[10:11], v47, v49, s[10:11]
	v_lshlrev_b32_e32 v72, 4, v1
	v_add_co_u32_e64 v56, s[10:11], v38, v72
	s_waitcnt vmcnt(10)
	v_mul_hi_i32 v38, v46, s25
	v_ashrrev_i32_e32 v38, 31, v38
	v_lshrrev_b32_e32 v38, 29, v38
	v_addc_co_u32_e64 v57, s[10:11], 0, v47, s[10:11]
	v_mad_i64_i32 v[46:47], s[10:11], v46, s25, v[38:39]
	v_and_b32_e32 v38, -8, v46
	v_mov_b32_e32 v46, s13
	v_add_co_u32_e64 v38, s[10:11], s12, v38
	v_addc_co_u32_e64 v47, s[10:11], v46, v47, s[10:11]
	v_add_co_u32_e64 v46, s[10:11], v38, v72
	s_waitcnt vmcnt(9)
	v_mul_hi_i32 v38, v41, s25
	v_ashrrev_i32_e32 v38, 31, v38
	v_addc_co_u32_e64 v47, s[10:11], 0, v47, s[10:11]
	v_lshrrev_b32_e32 v38, 29, v38
	global_load_dwordx4 v[48:51], v[56:57], off
	global_load_dwordx4 v[52:55], v[56:57], off offset:1024
	s_nop 0
	global_load_dwordx4 v[56:59], v[46:47], off
	global_load_dwordx4 v[60:63], v[46:47], off offset:1024
	v_mad_i64_i32 v[46:47], s[10:11], v41, s25, v[38:39]
	v_and_b32_e32 v38, -8, v46
	v_mov_b32_e32 v41, s13
	v_add_co_u32_e64 v38, s[10:11], s12, v38
	v_addc_co_u32_e64 v41, s[10:11], v41, v47, s[10:11]
	v_add_co_u32_e64 v46, s[10:11], v38, v72
	s_waitcnt vmcnt(12)
	v_mul_hi_i32 v38, v40, s25
	v_ashrrev_i32_e32 v38, 31, v38
	v_lshrrev_b32_e32 v38, 29, v38
	v_addc_co_u32_e64 v47, s[10:11], 0, v41, s[10:11]
	v_mad_i64_i32 v[40:41], s[10:11], v40, s25, v[38:39]
	v_and_b32_e32 v38, -8, v40
	v_mov_b32_e32 v40, s13
	v_add_co_u32_e64 v38, s[10:11], s12, v38
	v_addc_co_u32_e64 v41, s[10:11], v40, v41, s[10:11]
	v_add_co_u32_e64 v40, s[10:11], v38, v72
	v_addc_co_u32_e64 v41, s[10:11], 0, v41, s[10:11]
	global_load_dwordx4 v[64:67], v[46:47], off
	global_load_dwordx4 v[68:71], v[46:47], off offset:1024
	global_load_dwordx4 v[72:75], v[40:41], off
	global_load_dwordx4 v[76:79], v[40:41], off offset:1024
	s_waitcnt vmcnt(15)
	v_cmp_ne_u16_sdwa s[10:11], v34, v39 src0_sel:BYTE_0 src1_sel:DWORD
	v_mov_b32_e32 v46, 0
	s_waitcnt vmcnt(7)
	buffer_store_dword v49, off, s[0:3], 0 offset:4
	buffer_store_dword v48, off, s[0:3], 0
	buffer_store_dword v51, off, s[0:3], 0 offset:12
	buffer_store_dword v50, off, s[0:3], 0 offset:8
	s_waitcnt vmcnt(10)
	buffer_store_dword v53, off, s[0:3], 0 offset:68
	buffer_store_dword v52, off, s[0:3], 0 offset:64
	buffer_store_dword v55, off, s[0:3], 0 offset:76
	buffer_store_dword v54, off, s[0:3], 0 offset:72
	s_waitcnt vmcnt(13)
	buffer_store_dword v57, off, s[0:3], 0 offset:20
	buffer_store_dword v56, off, s[0:3], 0 offset:16
	;; [unrolled: 5-line block ×7, first 2 shown]
	buffer_store_dword v79, off, s[0:3], 0 offset:124
	buffer_store_dword v78, off, s[0:3], 0 offset:120
	s_and_saveexec_b64 s[12:13], s[10:11]
	s_cbranch_execz .LBB756_22
; %bb.17:
	s_movk_i32 s10, 0x80
	v_cmp_ne_u16_sdwa s[10:11], v34, s10 src0_sel:BYTE_0 src1_sel:DWORD
	v_mov_b32_e32 v46, 0xffff8000
	s_and_saveexec_b64 s[24:25], s[10:11]
	s_cbranch_execz .LBB756_21
; %bb.18:
	s_movk_i32 s10, 0x7f
	v_and_b32_e32 v38, 0x7f, v34
	v_cmp_ne_u32_e64 s[10:11], s10, v38
	v_mov_b32_e32 v46, 0x7f80
	s_and_saveexec_b64 s[26:27], s[10:11]
	s_cbranch_execz .LBB756_20
; %bb.19:
	v_and_b32_e32 v40, 7, v34
	v_ffbh_u32_e32 v40, v40
	v_min_u32_e32 v40, 32, v40
	v_lshrrev_b32_e32 v41, 3, v38
	v_subrev_u32_e32 v46, 28, v40
	v_sub_u32_e32 v40, 29, v40
	v_cmp_gt_u32_e64 s[10:11], 8, v38
	v_cndmask_b32_e64 v38, v41, v40, s[10:11]
	v_cndmask_b32_e64 v40, 0, v46, s[10:11]
	v_lshlrev_b64 v[40:41], v40, v[34:35]
	v_lshlrev_b32_e32 v40, 20, v40
	v_lshlrev_b32_e32 v41, 24, v34
	v_bfrev_b32_e32 v46, 60
	v_and_b32_e32 v40, 0x700000, v40
	v_and_b32_e32 v41, 0x80000000, v41
	v_lshl_add_u32 v38, v38, 23, v46
	v_or3_b32 v38, v41, v38, v40
	v_lshrrev_b32_e32 v46, 16, v38
.LBB756_20:
	s_or_b64 exec, exec, s[26:27]
.LBB756_21:
	s_or_b64 exec, exec, s[24:25]
.LBB756_22:
	s_or_b64 exec, exec, s[12:13]
	v_lshrrev_b16_e32 v38, 8, v34
	v_cmp_ne_u16_e64 s[10:11], 0, v38
	s_and_saveexec_b64 s[12:13], s[10:11]
	s_cbranch_execz .LBB756_28
; %bb.23:
	s_movk_i32 s10, 0x80
	v_cmp_ne_u16_e64 s[10:11], s10, v38
	v_mov_b32_e32 v39, 0xffff8000
	s_and_saveexec_b64 s[24:25], s[10:11]
	s_cbranch_execz .LBB756_27
; %bb.24:
	s_movk_i32 s10, 0x7f
	v_and_b32_e32 v40, 0x7f, v38
	v_cmp_ne_u32_e64 s[10:11], s10, v40
	v_mov_b32_e32 v39, 0x7f80
	s_and_saveexec_b64 s[26:27], s[10:11]
	s_cbranch_execz .LBB756_26
; %bb.25:
	v_and_b32_e32 v41, 7, v38
	v_ffbh_u32_e32 v39, v41
	v_min_u32_e32 v48, 32, v39
	v_subrev_u32_e32 v39, 28, v48
	v_lshlrev_b64 v[38:39], v39, v[38:39]
	v_lshrrev_b32_e32 v47, 3, v40
	v_sub_u32_e32 v39, 29, v48
	v_and_b32_e32 v38, 7, v38
	v_cmp_gt_u32_e64 s[10:11], 8, v40
	v_cndmask_b32_e64 v39, v47, v39, s[10:11]
	v_cndmask_b32_e64 v38, v41, v38, s[10:11]
	v_lshlrev_b32_e32 v40, 16, v34
	v_bfrev_b32_e32 v41, 60
	v_lshlrev_b32_e32 v38, 20, v38
	v_and_b32_e32 v40, 0x80000000, v40
	v_lshl_add_u32 v39, v39, 23, v41
	v_or3_b32 v38, v40, v39, v38
	v_lshrrev_b32_e32 v39, 16, v38
.LBB756_26:
	s_or_b64 exec, exec, s[26:27]
.LBB756_27:
	s_or_b64 exec, exec, s[24:25]
.LBB756_28:
	s_or_b64 exec, exec, s[12:13]
	s_movk_i32 s10, 0xff
	v_and_b32_sdwa v40, v34, s10 dst_sel:DWORD dst_unused:UNUSED_PAD src0_sel:WORD_1 src1_sel:DWORD
	v_lshrrev_b32_e32 v38, 16, v34
	v_cmp_ne_u16_e64 s[10:11], 0, v40
	v_mov_b32_e32 v41, 0
	v_mov_b32_e32 v47, 0
	s_and_saveexec_b64 s[12:13], s[10:11]
	s_cbranch_execz .LBB756_34
; %bb.29:
	s_movk_i32 s10, 0x80
	v_cmp_ne_u16_e64 s[10:11], s10, v40
	v_mov_b32_e32 v47, 0xffff8000
	s_and_saveexec_b64 s[24:25], s[10:11]
	s_cbranch_execz .LBB756_33
; %bb.30:
	v_bfe_u32 v40, v34, 16, 7
	s_movk_i32 s10, 0x7f
	v_cmp_ne_u32_e64 s[10:11], s10, v40
	v_mov_b32_e32 v47, 0x7f80
	s_and_saveexec_b64 s[26:27], s[10:11]
	s_cbranch_execz .LBB756_32
; %bb.31:
	v_and_b32_e32 v47, 7, v38
	v_ffbh_u32_e32 v48, v47
	v_min_u32_e32 v51, 32, v48
	v_subrev_u32_e32 v48, 28, v51
	v_lshlrev_b64 v[48:49], v48, v[38:39]
	v_and_b32_e32 v48, 7, v48
	v_cmp_gt_u32_e64 s[10:11], 8, v40
	v_lshrrev_b32_e32 v50, 3, v40
	v_sub_u32_e32 v38, 29, v51
	v_cndmask_b32_e64 v40, v47, v48, s[10:11]
	v_mov_b32_e32 v47, 24
	v_cndmask_b32_e64 v38, v50, v38, s[10:11]
	v_lshlrev_b32_sdwa v47, v47, v34 dst_sel:DWORD dst_unused:UNUSED_PAD src0_sel:DWORD src1_sel:WORD_1
	v_bfrev_b32_e32 v48, 60
	v_lshlrev_b32_e32 v40, 20, v40
	v_and_b32_e32 v47, 0x80000000, v47
	v_lshl_add_u32 v38, v38, 23, v48
	v_or3_b32 v38, v47, v38, v40
	v_lshrrev_b32_e32 v47, 16, v38
.LBB756_32:
	s_or_b64 exec, exec, s[26:27]
.LBB756_33:
	s_or_b64 exec, exec, s[24:25]
.LBB756_34:
	s_or_b64 exec, exec, s[12:13]
	s_mov_b32 s10, 0xffffff
	v_cmp_lt_u32_e64 s[10:11], s10, v34
	v_mov_b32_e32 v48, 0
	s_and_saveexec_b64 s[12:13], s[10:11]
	s_cbranch_execz .LBB756_40
; %bb.35:
	v_lshrrev_b32_e32 v38, 24, v34
	s_movk_i32 s10, 0x80
	v_cmp_ne_u32_e64 s[10:11], s10, v38
	v_mov_b32_e32 v48, 0xffff8000
	s_and_saveexec_b64 s[24:25], s[10:11]
	s_cbranch_execz .LBB756_39
; %bb.36:
	v_bfe_u32 v40, v34, 24, 7
	s_movk_i32 s10, 0x7f
	v_cmp_ne_u32_e64 s[10:11], s10, v40
	v_mov_b32_e32 v48, 0x7f80
	s_and_saveexec_b64 s[26:27], s[10:11]
	s_cbranch_execz .LBB756_38
; %bb.37:
	v_and_b32_e32 v50, 7, v38
	v_ffbh_u32_e32 v48, v50
	v_min_u32_e32 v52, 32, v48
	v_subrev_u32_e32 v48, 28, v52
	v_lshlrev_b64 v[48:49], v48, v[38:39]
	v_lshrrev_b32_e32 v51, 3, v40
	v_sub_u32_e32 v49, 29, v52
	v_and_b32_e32 v48, 7, v48
	v_cmp_gt_u32_e64 s[10:11], 8, v40
	v_cndmask_b32_e64 v40, v51, v49, s[10:11]
	v_cndmask_b32_e64 v48, v50, v48, s[10:11]
	v_lshlrev_b32_e32 v38, 24, v38
	v_bfrev_b32_e32 v49, 60
	v_lshlrev_b32_e32 v48, 20, v48
	v_and_b32_e32 v38, 0x80000000, v38
	v_lshl_add_u32 v40, v40, 23, v49
	v_or3_b32 v38, v38, v40, v48
	v_lshrrev_b32_e32 v48, 16, v38
.LBB756_38:
	s_or_b64 exec, exec, s[26:27]
.LBB756_39:
	s_or_b64 exec, exec, s[24:25]
.LBB756_40:
	s_or_b64 exec, exec, s[12:13]
	v_mov_b32_e32 v49, 0
	v_mov_b32_e32 v40, v35
	v_cmp_ne_u16_sdwa s[10:11], v35, v49 src0_sel:BYTE_0 src1_sel:DWORD
	v_mov_b32_e32 v50, 0
	s_and_saveexec_b64 s[12:13], s[10:11]
	s_cbranch_execz .LBB756_46
; %bb.41:
	s_movk_i32 s10, 0x80
	v_cmp_ne_u16_sdwa s[10:11], v35, s10 src0_sel:BYTE_0 src1_sel:DWORD
	v_mov_b32_e32 v50, 0xffff8000
	s_and_saveexec_b64 s[24:25], s[10:11]
	s_cbranch_execz .LBB756_45
; %bb.42:
	s_movk_i32 s10, 0x7f
	v_and_b32_e32 v38, 0x7f, v35
	v_cmp_ne_u32_e64 s[10:11], s10, v38
	v_mov_b32_e32 v50, 0x7f80
	s_and_saveexec_b64 s[26:27], s[10:11]
	s_cbranch_execz .LBB756_44
; %bb.43:
	v_and_b32_e32 v50, 7, v35
	v_ffbh_u32_e32 v50, v50
	v_min_u32_e32 v50, 32, v50
	v_lshrrev_b32_e32 v51, 3, v38
	v_subrev_u32_e32 v52, 28, v50
	v_sub_u32_e32 v50, 29, v50
	v_cmp_gt_u32_e64 s[10:11], 8, v38
	v_cndmask_b32_e64 v38, v51, v50, s[10:11]
	v_cndmask_b32_e64 v50, 0, v52, s[10:11]
	v_lshlrev_b64 v[50:51], v50, v[40:41]
	v_lshlrev_b32_e32 v41, 20, v50
	v_lshlrev_b32_e32 v50, 24, v40
	v_bfrev_b32_e32 v51, 60
	v_and_b32_e32 v41, 0x700000, v41
	v_and_b32_e32 v50, 0x80000000, v50
	v_lshl_add_u32 v38, v38, 23, v51
	v_or3_b32 v38, v50, v38, v41
	v_lshrrev_b32_e32 v50, 16, v38
.LBB756_44:
	s_or_b64 exec, exec, s[26:27]
.LBB756_45:
	s_or_b64 exec, exec, s[24:25]
.LBB756_46:
	s_or_b64 exec, exec, s[12:13]
	v_lshrrev_b16_e32 v38, 8, v40
	v_cmp_ne_u16_e64 s[10:11], 0, v38
	s_and_saveexec_b64 s[12:13], s[10:11]
	s_cbranch_execz .LBB756_52
; %bb.47:
	s_movk_i32 s10, 0x80
	v_cmp_ne_u16_e64 s[10:11], s10, v38
	v_mov_b32_e32 v49, 0xffff8000
	s_and_saveexec_b64 s[24:25], s[10:11]
	s_cbranch_execz .LBB756_51
; %bb.48:
	s_movk_i32 s10, 0x7f
	v_and_b32_e32 v41, 0x7f, v38
	v_cmp_ne_u32_e64 s[10:11], s10, v41
	v_mov_b32_e32 v49, 0x7f80
	s_and_saveexec_b64 s[26:27], s[10:11]
	s_cbranch_execz .LBB756_50
; %bb.49:
	v_and_b32_e32 v49, 7, v38
	v_ffbh_u32_e32 v52, v49
	v_min_u32_e32 v54, 32, v52
	v_subrev_u32_e32 v52, 28, v54
	v_lshlrev_b64 v[52:53], v52, v[38:39]
	v_lshrrev_b32_e32 v51, 3, v41
	v_sub_u32_e32 v38, 29, v54
	v_and_b32_e32 v52, 7, v52
	v_cmp_gt_u32_e64 s[10:11], 8, v41
	v_cndmask_b32_e64 v38, v51, v38, s[10:11]
	v_cndmask_b32_e64 v41, v49, v52, s[10:11]
	v_lshlrev_b32_e32 v40, 16, v40
	v_bfrev_b32_e32 v49, 60
	v_lshlrev_b32_e32 v41, 20, v41
	v_and_b32_e32 v40, 0x80000000, v40
	v_lshl_add_u32 v38, v38, 23, v49
	v_or3_b32 v38, v40, v38, v41
	v_lshrrev_b32_e32 v49, 16, v38
.LBB756_50:
	s_or_b64 exec, exec, s[26:27]
.LBB756_51:
	s_or_b64 exec, exec, s[24:25]
.LBB756_52:
	s_or_b64 exec, exec, s[12:13]
	s_movk_i32 s10, 0xff
	v_and_b32_sdwa v51, v35, s10 dst_sel:DWORD dst_unused:UNUSED_PAD src0_sel:WORD_1 src1_sel:DWORD
	v_lshrrev_b32_e32 v38, 16, v35
	v_cmp_ne_u16_e64 s[10:11], 0, v51
	v_mov_b32_e32 v40, 0
	v_mov_b32_e32 v41, 0
	s_and_saveexec_b64 s[12:13], s[10:11]
	s_cbranch_execz .LBB756_58
; %bb.53:
	s_movk_i32 s10, 0x80
	v_cmp_ne_u16_e64 s[10:11], s10, v51
	v_mov_b32_e32 v41, 0xffff8000
	s_and_saveexec_b64 s[24:25], s[10:11]
	s_cbranch_execz .LBB756_57
; %bb.54:
	v_bfe_u32 v51, v35, 16, 7
	s_movk_i32 s10, 0x7f
	v_cmp_ne_u32_e64 s[10:11], s10, v51
	v_mov_b32_e32 v41, 0x7f80
	s_and_saveexec_b64 s[26:27], s[10:11]
	s_cbranch_execz .LBB756_56
; %bb.55:
	v_and_b32_e32 v41, 7, v38
	v_ffbh_u32_e32 v52, v41
	v_min_u32_e32 v55, 32, v52
	v_subrev_u32_e32 v52, 28, v55
	v_lshlrev_b64 v[52:53], v52, v[38:39]
	v_lshrrev_b32_e32 v54, 3, v51
	v_sub_u32_e32 v38, 29, v55
	v_and_b32_e32 v52, 7, v52
	v_cmp_gt_u32_e64 s[10:11], 8, v51
	v_mov_b32_e32 v51, 24
	v_cndmask_b32_e64 v38, v54, v38, s[10:11]
	v_cndmask_b32_e64 v41, v41, v52, s[10:11]
	v_lshlrev_b32_sdwa v51, v51, v35 dst_sel:DWORD dst_unused:UNUSED_PAD src0_sel:DWORD src1_sel:WORD_1
	v_bfrev_b32_e32 v52, 60
	v_lshlrev_b32_e32 v41, 20, v41
	v_and_b32_e32 v51, 0x80000000, v51
	v_lshl_add_u32 v38, v38, 23, v52
	v_or3_b32 v38, v51, v38, v41
	v_lshrrev_b32_e32 v41, 16, v38
.LBB756_56:
	s_or_b64 exec, exec, s[26:27]
.LBB756_57:
	s_or_b64 exec, exec, s[24:25]
.LBB756_58:
	s_or_b64 exec, exec, s[12:13]
	s_mov_b32 s10, -1
	s_mov_b32 s11, 0xffffff
	v_cmp_lt_u64_e64 s[10:11], s[10:11], v[34:35]
	s_and_saveexec_b64 s[12:13], s[10:11]
	s_cbranch_execz .LBB756_64
; %bb.59:
	v_lshrrev_b32_e32 v34, 24, v35
	s_movk_i32 s10, 0x80
	v_cmp_ne_u32_e64 s[10:11], s10, v34
	v_mov_b32_e32 v40, 0xffff8000
	s_and_saveexec_b64 s[24:25], s[10:11]
	s_cbranch_execz .LBB756_63
; %bb.60:
	v_bfe_u32 v35, v35, 24, 7
	s_movk_i32 s10, 0x7f
	v_cmp_ne_u32_e64 s[10:11], s10, v35
	v_mov_b32_e32 v40, 0x7f80
	s_and_saveexec_b64 s[26:27], s[10:11]
	s_cbranch_execz .LBB756_62
; %bb.61:
	v_and_b32_e32 v38, 7, v34
	v_ffbh_u32_e32 v51, v38
	v_min_u32_e32 v51, 32, v51
	v_subrev_u32_e32 v52, 28, v51
	v_lshlrev_b64 v[52:53], v52, v[34:35]
	v_lshrrev_b32_e32 v40, 3, v35
	v_sub_u32_e32 v51, 29, v51
	v_and_b32_e32 v52, 7, v52
	v_cmp_gt_u32_e64 s[10:11], 8, v35
	v_cndmask_b32_e64 v35, v40, v51, s[10:11]
	v_cndmask_b32_e64 v38, v38, v52, s[10:11]
	v_lshlrev_b32_e32 v34, 24, v34
	v_bfrev_b32_e32 v40, 60
	v_lshlrev_b32_e32 v38, 20, v38
	v_and_b32_e32 v34, 0x80000000, v34
	v_lshl_add_u32 v35, v35, 23, v40
	v_or3_b32 v34, v34, v35, v38
	v_lshrrev_b32_e32 v40, 16, v34
.LBB756_62:
	s_or_b64 exec, exec, s[26:27]
.LBB756_63:
	s_or_b64 exec, exec, s[24:25]
.LBB756_64:
	s_or_b64 exec, exec, s[12:13]
	s_mov_b32 s10, 0x5040100
	v_perm_b32 v35, v48, v47, s10
	v_perm_b32 v34, v39, v46, s10
	;; [unrolled: 1-line block ×4, first 2 shown]
	v_mfma_f32_4x4x4bf16_1k a[0:3], v[2:3], v[34:35], 0 cbsz:4
	v_mov_b32_e32 v39, 0
	v_mfma_f32_4x4x4bf16_1k a[0:3], v[4:5], v[40:41], a[0:3] cbsz:4
	v_mov_b32_e32 v40, 0
	v_cmp_ne_u16_sdwa s[10:11], v36, v40 src0_sel:BYTE_0 src1_sel:DWORD
	s_and_saveexec_b64 s[12:13], s[10:11]
	s_cbranch_execz .LBB756_70
; %bb.65:
	s_movk_i32 s10, 0x80
	v_cmp_ne_u16_sdwa s[10:11], v36, s10 src0_sel:BYTE_0 src1_sel:DWORD
	v_mov_b32_e32 v39, 0xffff8000
	s_and_saveexec_b64 s[24:25], s[10:11]
	s_cbranch_execz .LBB756_69
; %bb.66:
	s_movk_i32 s10, 0x7f
	v_and_b32_e32 v34, 0x7f, v36
	v_cmp_ne_u32_e64 s[10:11], s10, v34
	v_mov_b32_e32 v39, 0x7f80
	s_and_saveexec_b64 s[26:27], s[10:11]
	s_cbranch_execz .LBB756_68
; %bb.67:
	v_and_b32_e32 v35, 7, v36
	v_ffbh_u32_e32 v35, v35
	v_min_u32_e32 v35, 32, v35
	v_subrev_u32_e32 v39, 28, v35
	v_cmp_gt_u32_e64 s[10:11], 8, v34
	v_lshrrev_b32_e32 v38, 3, v34
	v_sub_u32_e32 v35, 29, v35
	v_cndmask_b32_e64 v34, 0, v39, s[10:11]
	v_cndmask_b32_e64 v38, v38, v35, s[10:11]
	v_lshlrev_b64 v[34:35], v34, v[36:37]
	v_lshlrev_b32_e32 v34, 20, v34
	v_lshlrev_b32_e32 v35, 24, v36
	v_bfrev_b32_e32 v39, 60
	v_and_b32_e32 v34, 0x700000, v34
	v_and_b32_e32 v35, 0x80000000, v35
	v_lshl_add_u32 v38, v38, 23, v39
	v_or3_b32 v34, v35, v38, v34
	v_lshrrev_b32_e32 v39, 16, v34
.LBB756_68:
	s_or_b64 exec, exec, s[26:27]
.LBB756_69:
	s_or_b64 exec, exec, s[24:25]
.LBB756_70:
	s_or_b64 exec, exec, s[12:13]
	v_lshrrev_b16_e32 v34, 8, v36
	v_cmp_ne_u16_e64 s[10:11], 0, v34
	s_and_saveexec_b64 s[12:13], s[10:11]
	s_cbranch_execz .LBB756_76
; %bb.71:
	s_movk_i32 s10, 0x80
	v_cmp_ne_u16_e64 s[10:11], s10, v34
	v_mov_b32_e32 v40, 0xffff8000
	s_and_saveexec_b64 s[24:25], s[10:11]
	s_cbranch_execz .LBB756_75
; %bb.72:
	s_movk_i32 s10, 0x7f
	v_and_b32_e32 v35, 0x7f, v34
	v_cmp_ne_u32_e64 s[10:11], s10, v35
	v_mov_b32_e32 v40, 0x7f80
	s_and_saveexec_b64 s[26:27], s[10:11]
	s_cbranch_execz .LBB756_74
; %bb.73:
	v_and_b32_e32 v38, 7, v34
	v_ffbh_u32_e32 v40, v38
	v_min_u32_e32 v47, 32, v40
	v_subrev_u32_e32 v40, 28, v47
	v_lshlrev_b64 v[40:41], v40, v[34:35]
	v_lshrrev_b32_e32 v46, 3, v35
	v_sub_u32_e32 v34, 29, v47
	v_and_b32_e32 v40, 7, v40
	v_cmp_gt_u32_e64 s[10:11], 8, v35
	v_cndmask_b32_e64 v34, v46, v34, s[10:11]
	v_cndmask_b32_e64 v35, v38, v40, s[10:11]
	v_lshlrev_b32_e32 v38, 16, v36
	v_bfrev_b32_e32 v40, 60
	v_lshlrev_b32_e32 v35, 20, v35
	v_and_b32_e32 v38, 0x80000000, v38
	v_lshl_add_u32 v34, v34, 23, v40
	v_or3_b32 v34, v38, v34, v35
	v_lshrrev_b32_e32 v40, 16, v34
.LBB756_74:
	s_or_b64 exec, exec, s[26:27]
.LBB756_75:
	s_or_b64 exec, exec, s[24:25]
.LBB756_76:
	s_or_b64 exec, exec, s[12:13]
	s_movk_i32 s10, 0xff
	v_and_b32_sdwa v38, v36, s10 dst_sel:DWORD dst_unused:UNUSED_PAD src0_sel:WORD_1 src1_sel:DWORD
	v_lshrrev_b32_e32 v34, 16, v36
	v_cmp_ne_u16_e64 s[10:11], 0, v38
	v_mov_b32_e32 v35, 0
	v_mov_b32_e32 v41, 0
	s_and_saveexec_b64 s[12:13], s[10:11]
	s_cbranch_execz .LBB756_82
; %bb.77:
	s_movk_i32 s10, 0x80
	v_cmp_ne_u16_e64 s[10:11], s10, v38
	v_mov_b32_e32 v41, 0xffff8000
	s_and_saveexec_b64 s[24:25], s[10:11]
	s_cbranch_execz .LBB756_81
; %bb.78:
	v_bfe_u32 v38, v36, 16, 7
	s_movk_i32 s10, 0x7f
	v_cmp_ne_u32_e64 s[10:11], s10, v38
	v_mov_b32_e32 v41, 0x7f80
	s_and_saveexec_b64 s[26:27], s[10:11]
	s_cbranch_execz .LBB756_80
; %bb.79:
	v_and_b32_e32 v41, 7, v34
	v_ffbh_u32_e32 v46, v41
	v_min_u32_e32 v49, 32, v46
	v_subrev_u32_e32 v46, 28, v49
	v_lshlrev_b64 v[46:47], v46, v[34:35]
	v_and_b32_e32 v46, 7, v46
	v_cmp_gt_u32_e64 s[10:11], 8, v38
	v_lshrrev_b32_e32 v48, 3, v38
	v_sub_u32_e32 v34, 29, v49
	v_cndmask_b32_e64 v38, v41, v46, s[10:11]
	v_mov_b32_e32 v41, 24
	v_cndmask_b32_e64 v34, v48, v34, s[10:11]
	v_lshlrev_b32_sdwa v41, v41, v36 dst_sel:DWORD dst_unused:UNUSED_PAD src0_sel:DWORD src1_sel:WORD_1
	v_bfrev_b32_e32 v46, 60
	v_lshlrev_b32_e32 v38, 20, v38
	v_and_b32_e32 v41, 0x80000000, v41
	v_lshl_add_u32 v34, v34, 23, v46
	v_or3_b32 v34, v41, v34, v38
	v_lshrrev_b32_e32 v41, 16, v34
.LBB756_80:
	s_or_b64 exec, exec, s[26:27]
.LBB756_81:
	s_or_b64 exec, exec, s[24:25]
.LBB756_82:
	s_or_b64 exec, exec, s[12:13]
	s_mov_b32 s10, 0xffffff
	v_cmp_lt_u32_e64 s[10:11], s10, v36
	v_mov_b32_e32 v46, 0
	s_and_saveexec_b64 s[12:13], s[10:11]
	s_cbranch_execz .LBB756_88
; %bb.83:
	v_lshrrev_b32_e32 v34, 24, v36
	s_movk_i32 s10, 0x80
	v_cmp_ne_u32_e64 s[10:11], s10, v34
	v_mov_b32_e32 v46, 0xffff8000
	s_and_saveexec_b64 s[24:25], s[10:11]
	s_cbranch_execz .LBB756_87
; %bb.84:
	v_bfe_u32 v38, v36, 24, 7
	s_movk_i32 s10, 0x7f
	v_cmp_ne_u32_e64 s[10:11], s10, v38
	v_mov_b32_e32 v46, 0x7f80
	s_and_saveexec_b64 s[26:27], s[10:11]
	s_cbranch_execz .LBB756_86
; %bb.85:
	v_and_b32_e32 v48, 7, v34
	v_ffbh_u32_e32 v46, v48
	v_min_u32_e32 v50, 32, v46
	v_subrev_u32_e32 v46, 28, v50
	v_lshlrev_b64 v[46:47], v46, v[34:35]
	v_lshrrev_b32_e32 v49, 3, v38
	v_sub_u32_e32 v47, 29, v50
	v_and_b32_e32 v46, 7, v46
	v_cmp_gt_u32_e64 s[10:11], 8, v38
	v_cndmask_b32_e64 v38, v49, v47, s[10:11]
	v_cndmask_b32_e64 v46, v48, v46, s[10:11]
	v_lshlrev_b32_e32 v34, 24, v34
	v_bfrev_b32_e32 v47, 60
	v_lshlrev_b32_e32 v46, 20, v46
	v_and_b32_e32 v34, 0x80000000, v34
	v_lshl_add_u32 v38, v38, 23, v47
	v_or3_b32 v34, v34, v38, v46
	v_lshrrev_b32_e32 v46, 16, v34
.LBB756_86:
	s_or_b64 exec, exec, s[26:27]
.LBB756_87:
	s_or_b64 exec, exec, s[24:25]
.LBB756_88:
	s_or_b64 exec, exec, s[12:13]
	v_mov_b32_e32 v47, 0
	v_mov_b32_e32 v34, v37
	v_cmp_ne_u16_sdwa s[10:11], v37, v47 src0_sel:BYTE_0 src1_sel:DWORD
	v_mov_b32_e32 v48, 0
	s_and_saveexec_b64 s[12:13], s[10:11]
	s_cbranch_execz .LBB756_94
; %bb.89:
	s_movk_i32 s10, 0x80
	v_cmp_ne_u16_sdwa s[10:11], v37, s10 src0_sel:BYTE_0 src1_sel:DWORD
	v_mov_b32_e32 v48, 0xffff8000
	s_and_saveexec_b64 s[24:25], s[10:11]
	s_cbranch_execz .LBB756_93
; %bb.90:
	s_movk_i32 s10, 0x7f
	v_and_b32_e32 v38, 0x7f, v37
	v_cmp_ne_u32_e64 s[10:11], s10, v38
	v_mov_b32_e32 v48, 0x7f80
	s_and_saveexec_b64 s[26:27], s[10:11]
	s_cbranch_execz .LBB756_92
; %bb.91:
	v_and_b32_e32 v48, 7, v37
	v_ffbh_u32_e32 v48, v48
	v_min_u32_e32 v48, 32, v48
	v_lshrrev_b32_e32 v49, 3, v38
	v_subrev_u32_e32 v50, 28, v48
	v_sub_u32_e32 v48, 29, v48
	v_cmp_gt_u32_e64 s[10:11], 8, v38
	v_cndmask_b32_e64 v38, v49, v48, s[10:11]
	v_cndmask_b32_e64 v48, 0, v50, s[10:11]
	v_lshlrev_b64 v[48:49], v48, v[34:35]
	v_lshlrev_b32_e32 v35, 20, v48
	v_lshlrev_b32_e32 v48, 24, v34
	v_bfrev_b32_e32 v49, 60
	v_and_b32_e32 v35, 0x700000, v35
	v_and_b32_e32 v48, 0x80000000, v48
	v_lshl_add_u32 v38, v38, 23, v49
	v_or3_b32 v35, v48, v38, v35
	v_lshrrev_b32_e32 v48, 16, v35
.LBB756_92:
	s_or_b64 exec, exec, s[26:27]
.LBB756_93:
	s_or_b64 exec, exec, s[24:25]
.LBB756_94:
	s_or_b64 exec, exec, s[12:13]
	v_lshrrev_b16_e32 v38, 8, v34
	v_cmp_ne_u16_e64 s[10:11], 0, v38
	s_and_saveexec_b64 s[12:13], s[10:11]
	s_cbranch_execz .LBB756_100
; %bb.95:
	s_movk_i32 s10, 0x80
	v_cmp_ne_u16_e64 s[10:11], s10, v38
	v_mov_b32_e32 v47, 0xffff8000
	s_and_saveexec_b64 s[24:25], s[10:11]
	s_cbranch_execz .LBB756_99
; %bb.96:
	s_movk_i32 s10, 0x7f
	v_and_b32_e32 v35, 0x7f, v38
	v_cmp_ne_u32_e64 s[10:11], s10, v35
	v_mov_b32_e32 v47, 0x7f80
	s_and_saveexec_b64 s[26:27], s[10:11]
	s_cbranch_execz .LBB756_98
; %bb.97:
	v_and_b32_e32 v47, 7, v38
	v_ffbh_u32_e32 v50, v47
	v_min_u32_e32 v52, 32, v50
	v_subrev_u32_e32 v50, 28, v52
	v_lshlrev_b64 v[50:51], v50, v[38:39]
	v_lshrrev_b32_e32 v49, 3, v35
	v_sub_u32_e32 v38, 29, v52
	v_and_b32_e32 v50, 7, v50
	v_cmp_gt_u32_e64 s[10:11], 8, v35
	v_cndmask_b32_e64 v35, v49, v38, s[10:11]
	v_cndmask_b32_e64 v38, v47, v50, s[10:11]
	v_lshlrev_b32_e32 v34, 16, v34
	v_bfrev_b32_e32 v47, 60
	v_lshlrev_b32_e32 v38, 20, v38
	v_and_b32_e32 v34, 0x80000000, v34
	v_lshl_add_u32 v35, v35, 23, v47
	v_or3_b32 v34, v34, v35, v38
	v_lshrrev_b32_e32 v47, 16, v34
.LBB756_98:
	s_or_b64 exec, exec, s[26:27]
.LBB756_99:
	s_or_b64 exec, exec, s[24:25]
.LBB756_100:
	s_or_b64 exec, exec, s[12:13]
	s_movk_i32 s10, 0xff
	v_and_b32_sdwa v49, v37, s10 dst_sel:DWORD dst_unused:UNUSED_PAD src0_sel:WORD_1 src1_sel:DWORD
	v_lshrrev_b32_e32 v34, 16, v37
	v_cmp_ne_u16_e64 s[10:11], 0, v49
	v_mov_b32_e32 v35, 0
	v_mov_b32_e32 v38, 0
	s_and_saveexec_b64 s[12:13], s[10:11]
	s_cbranch_execz .LBB756_106
; %bb.101:
	s_movk_i32 s10, 0x80
	v_cmp_ne_u16_e64 s[10:11], s10, v49
	v_mov_b32_e32 v38, 0xffff8000
	s_and_saveexec_b64 s[24:25], s[10:11]
	s_cbranch_execz .LBB756_105
; %bb.102:
	v_bfe_u32 v49, v37, 16, 7
	s_movk_i32 s10, 0x7f
	v_cmp_ne_u32_e64 s[10:11], s10, v49
	v_mov_b32_e32 v38, 0x7f80
	s_and_saveexec_b64 s[26:27], s[10:11]
	s_cbranch_execz .LBB756_104
; %bb.103:
	v_and_b32_e32 v38, 7, v34
	v_ffbh_u32_e32 v50, v38
	v_min_u32_e32 v53, 32, v50
	v_subrev_u32_e32 v50, 28, v53
	v_lshlrev_b64 v[50:51], v50, v[34:35]
	v_lshrrev_b32_e32 v52, 3, v49
	v_sub_u32_e32 v34, 29, v53
	v_and_b32_e32 v50, 7, v50
	v_cmp_gt_u32_e64 s[10:11], 8, v49
	v_mov_b32_e32 v49, 24
	v_cndmask_b32_e64 v34, v52, v34, s[10:11]
	v_cndmask_b32_e64 v38, v38, v50, s[10:11]
	v_lshlrev_b32_sdwa v49, v49, v37 dst_sel:DWORD dst_unused:UNUSED_PAD src0_sel:DWORD src1_sel:WORD_1
	v_bfrev_b32_e32 v50, 60
	v_lshlrev_b32_e32 v38, 20, v38
	v_and_b32_e32 v49, 0x80000000, v49
	v_lshl_add_u32 v34, v34, 23, v50
	v_or3_b32 v34, v49, v34, v38
	v_lshrrev_b32_e32 v38, 16, v34
.LBB756_104:
	s_or_b64 exec, exec, s[26:27]
.LBB756_105:
	s_or_b64 exec, exec, s[24:25]
.LBB756_106:
	s_or_b64 exec, exec, s[12:13]
	s_mov_b32 s10, -1
	s_mov_b32 s11, 0xffffff
	v_cmp_lt_u64_e64 s[10:11], s[10:11], v[36:37]
	s_and_saveexec_b64 s[12:13], s[10:11]
	s_cbranch_execz .LBB756_112
; %bb.107:
	v_lshrrev_b32_e32 v34, 24, v37
	s_movk_i32 s10, 0x80
	v_cmp_ne_u32_e64 s[10:11], s10, v34
	v_mov_b32_e32 v35, 0xffff8000
	s_and_saveexec_b64 s[24:25], s[10:11]
	s_cbranch_execz .LBB756_111
; %bb.108:
	v_bfe_u32 v36, v37, 24, 7
	s_movk_i32 s10, 0x7f
	v_cmp_ne_u32_e64 s[10:11], s10, v36
	v_mov_b32_e32 v35, 0x7f80
	s_and_saveexec_b64 s[26:27], s[10:11]
	s_cbranch_execz .LBB756_110
; %bb.109:
	v_and_b32_e32 v35, 7, v34
	v_ffbh_u32_e32 v49, v35
	v_min_u32_e32 v49, 32, v49
	v_subrev_u32_e32 v50, 28, v49
	v_lshlrev_b64 v[50:51], v50, v[34:35]
	v_lshrrev_b32_e32 v37, 3, v36
	v_sub_u32_e32 v49, 29, v49
	v_and_b32_e32 v50, 7, v50
	v_cmp_gt_u32_e64 s[10:11], 8, v36
	v_cndmask_b32_e64 v36, v37, v49, s[10:11]
	v_cndmask_b32_e64 v35, v35, v50, s[10:11]
	v_lshlrev_b32_e32 v34, 24, v34
	v_bfrev_b32_e32 v37, 60
	v_lshlrev_b32_e32 v35, 20, v35
	v_and_b32_e32 v34, 0x80000000, v34
	v_lshl_add_u32 v36, v36, 23, v37
	v_or3_b32 v34, v34, v36, v35
	v_lshrrev_b32_e32 v35, 16, v34
.LBB756_110:
	s_or_b64 exec, exec, s[26:27]
.LBB756_111:
	s_or_b64 exec, exec, s[24:25]
.LBB756_112:
	s_or_b64 exec, exec, s[12:13]
	s_mov_b32 s10, 0x5040100
	v_perm_b32 v37, v46, v41, s10
	v_perm_b32 v36, v40, v39, s10
	;; [unrolled: 1-line block ×4, first 2 shown]
	v_mfma_f32_4x4x4bf16_1k a[0:3], v[2:3], v[36:37], a[0:3] cbsz:4 abid:1
	v_mov_b32_e32 v37, 0
	v_mfma_f32_4x4x4bf16_1k a[0:3], v[4:5], v[34:35], a[0:3] cbsz:4 abid:1
	v_cmp_ne_u16_sdwa s[10:11], v30, v37 src0_sel:BYTE_0 src1_sel:DWORD
	v_mov_b32_e32 v38, 0
	s_and_saveexec_b64 s[12:13], s[10:11]
	s_cbranch_execz .LBB756_118
; %bb.113:
	s_movk_i32 s10, 0x80
	v_cmp_ne_u16_sdwa s[10:11], v30, s10 src0_sel:BYTE_0 src1_sel:DWORD
	v_mov_b32_e32 v38, 0xffff8000
	s_and_saveexec_b64 s[24:25], s[10:11]
	s_cbranch_execz .LBB756_117
; %bb.114:
	s_movk_i32 s10, 0x7f
	v_and_b32_e32 v34, 0x7f, v30
	v_cmp_ne_u32_e64 s[10:11], s10, v34
	v_mov_b32_e32 v38, 0x7f80
	s_and_saveexec_b64 s[26:27], s[10:11]
	s_cbranch_execz .LBB756_116
; %bb.115:
	v_and_b32_e32 v35, 7, v30
	v_ffbh_u32_e32 v35, v35
	v_min_u32_e32 v35, 32, v35
	v_subrev_u32_e32 v38, 28, v35
	v_cmp_gt_u32_e64 s[10:11], 8, v34
	v_lshrrev_b32_e32 v36, 3, v34
	v_sub_u32_e32 v35, 29, v35
	v_cndmask_b32_e64 v34, 0, v38, s[10:11]
	v_cndmask_b32_e64 v36, v36, v35, s[10:11]
	v_lshlrev_b64 v[34:35], v34, v[30:31]
	v_lshlrev_b32_e32 v34, 20, v34
	v_lshlrev_b32_e32 v35, 24, v30
	v_bfrev_b32_e32 v38, 60
	v_and_b32_e32 v34, 0x700000, v34
	v_and_b32_e32 v35, 0x80000000, v35
	v_lshl_add_u32 v36, v36, 23, v38
	v_or3_b32 v34, v35, v36, v34
	v_lshrrev_b32_e32 v38, 16, v34
.LBB756_116:
	s_or_b64 exec, exec, s[26:27]
.LBB756_117:
	s_or_b64 exec, exec, s[24:25]
.LBB756_118:
	s_or_b64 exec, exec, s[12:13]
	v_lshrrev_b16_e32 v34, 8, v30
	v_cmp_ne_u16_e64 s[10:11], 0, v34
	s_and_saveexec_b64 s[12:13], s[10:11]
	s_cbranch_execz .LBB756_124
; %bb.119:
	s_movk_i32 s10, 0x80
	v_cmp_ne_u16_e64 s[10:11], s10, v34
	v_mov_b32_e32 v37, 0xffff8000
	s_and_saveexec_b64 s[24:25], s[10:11]
	s_cbranch_execz .LBB756_123
; %bb.120:
	s_movk_i32 s10, 0x7f
	v_and_b32_e32 v35, 0x7f, v34
	v_cmp_ne_u32_e64 s[10:11], s10, v35
	v_mov_b32_e32 v37, 0x7f80
	s_and_saveexec_b64 s[26:27], s[10:11]
	s_cbranch_execz .LBB756_122
; %bb.121:
	v_and_b32_e32 v39, 7, v34
	v_ffbh_u32_e32 v36, v39
	v_min_u32_e32 v41, 32, v36
	v_subrev_u32_e32 v36, 28, v41
	v_lshlrev_b64 v[36:37], v36, v[34:35]
	v_lshrrev_b32_e32 v40, 3, v35
	v_sub_u32_e32 v34, 29, v41
	v_and_b32_e32 v36, 7, v36
	v_cmp_gt_u32_e64 s[10:11], 8, v35
	v_cndmask_b32_e64 v34, v40, v34, s[10:11]
	v_cndmask_b32_e64 v35, v39, v36, s[10:11]
	v_lshlrev_b32_e32 v36, 16, v30
	v_bfrev_b32_e32 v37, 60
	v_lshlrev_b32_e32 v35, 20, v35
	v_and_b32_e32 v36, 0x80000000, v36
	v_lshl_add_u32 v34, v34, 23, v37
	v_or3_b32 v34, v36, v34, v35
	v_lshrrev_b32_e32 v37, 16, v34
.LBB756_122:
	s_or_b64 exec, exec, s[26:27]
.LBB756_123:
	s_or_b64 exec, exec, s[24:25]
.LBB756_124:
	s_or_b64 exec, exec, s[12:13]
	s_movk_i32 s10, 0xff
	v_and_b32_sdwa v36, v30, s10 dst_sel:DWORD dst_unused:UNUSED_PAD src0_sel:WORD_1 src1_sel:DWORD
	v_lshrrev_b32_e32 v34, 16, v30
	v_cmp_ne_u16_e64 s[10:11], 0, v36
	v_mov_b32_e32 v35, 0
	v_mov_b32_e32 v39, 0
	s_and_saveexec_b64 s[12:13], s[10:11]
	s_cbranch_execz .LBB756_130
; %bb.125:
	s_movk_i32 s10, 0x80
	v_cmp_ne_u16_e64 s[10:11], s10, v36
	v_mov_b32_e32 v39, 0xffff8000
	s_and_saveexec_b64 s[24:25], s[10:11]
	s_cbranch_execz .LBB756_129
; %bb.126:
	v_bfe_u32 v36, v30, 16, 7
	s_movk_i32 s10, 0x7f
	v_cmp_ne_u32_e64 s[10:11], s10, v36
	v_mov_b32_e32 v39, 0x7f80
	s_and_saveexec_b64 s[26:27], s[10:11]
	s_cbranch_execz .LBB756_128
; %bb.127:
	v_and_b32_e32 v39, 7, v34
	v_ffbh_u32_e32 v40, v39
	v_min_u32_e32 v47, 32, v40
	v_subrev_u32_e32 v40, 28, v47
	v_lshlrev_b64 v[40:41], v40, v[34:35]
	v_and_b32_e32 v40, 7, v40
	v_cmp_gt_u32_e64 s[10:11], 8, v36
	v_lshrrev_b32_e32 v46, 3, v36
	v_sub_u32_e32 v34, 29, v47
	v_cndmask_b32_e64 v36, v39, v40, s[10:11]
	v_mov_b32_e32 v39, 24
	v_cndmask_b32_e64 v34, v46, v34, s[10:11]
	v_lshlrev_b32_sdwa v39, v39, v30 dst_sel:DWORD dst_unused:UNUSED_PAD src0_sel:DWORD src1_sel:WORD_1
	v_bfrev_b32_e32 v40, 60
	v_lshlrev_b32_e32 v36, 20, v36
	v_and_b32_e32 v39, 0x80000000, v39
	v_lshl_add_u32 v34, v34, 23, v40
	v_or3_b32 v34, v39, v34, v36
	v_lshrrev_b32_e32 v39, 16, v34
.LBB756_128:
	s_or_b64 exec, exec, s[26:27]
.LBB756_129:
	s_or_b64 exec, exec, s[24:25]
.LBB756_130:
	s_or_b64 exec, exec, s[12:13]
	s_mov_b32 s10, 0xffffff
	v_cmp_lt_u32_e64 s[10:11], s10, v30
	v_mov_b32_e32 v40, 0
	s_and_saveexec_b64 s[12:13], s[10:11]
	s_cbranch_execz .LBB756_136
; %bb.131:
	v_lshrrev_b32_e32 v34, 24, v30
	s_movk_i32 s10, 0x80
	v_cmp_ne_u32_e64 s[10:11], s10, v34
	v_mov_b32_e32 v40, 0xffff8000
	s_and_saveexec_b64 s[24:25], s[10:11]
	s_cbranch_execz .LBB756_135
; %bb.132:
	v_bfe_u32 v36, v30, 24, 7
	s_movk_i32 s10, 0x7f
	v_cmp_ne_u32_e64 s[10:11], s10, v36
	v_mov_b32_e32 v40, 0x7f80
	s_and_saveexec_b64 s[26:27], s[10:11]
	s_cbranch_execz .LBB756_134
; %bb.133:
	v_and_b32_e32 v46, 7, v34
	v_ffbh_u32_e32 v40, v46
	v_min_u32_e32 v48, 32, v40
	v_subrev_u32_e32 v40, 28, v48
	v_lshlrev_b64 v[40:41], v40, v[34:35]
	v_lshrrev_b32_e32 v47, 3, v36
	v_sub_u32_e32 v41, 29, v48
	v_and_b32_e32 v40, 7, v40
	v_cmp_gt_u32_e64 s[10:11], 8, v36
	v_cndmask_b32_e64 v36, v47, v41, s[10:11]
	v_cndmask_b32_e64 v40, v46, v40, s[10:11]
	v_lshlrev_b32_e32 v34, 24, v34
	v_bfrev_b32_e32 v41, 60
	v_lshlrev_b32_e32 v40, 20, v40
	v_and_b32_e32 v34, 0x80000000, v34
	v_lshl_add_u32 v36, v36, 23, v41
	v_or3_b32 v34, v34, v36, v40
	v_lshrrev_b32_e32 v40, 16, v34
.LBB756_134:
	s_or_b64 exec, exec, s[26:27]
.LBB756_135:
	s_or_b64 exec, exec, s[24:25]
.LBB756_136:
	s_or_b64 exec, exec, s[12:13]
	v_mov_b32_e32 v41, 0
	v_mov_b32_e32 v34, v31
	v_cmp_ne_u16_sdwa s[10:11], v31, v41 src0_sel:BYTE_0 src1_sel:DWORD
	v_mov_b32_e32 v46, 0
	s_and_saveexec_b64 s[12:13], s[10:11]
	s_cbranch_execz .LBB756_142
; %bb.137:
	s_movk_i32 s10, 0x80
	v_cmp_ne_u16_sdwa s[10:11], v31, s10 src0_sel:BYTE_0 src1_sel:DWORD
	v_mov_b32_e32 v46, 0xffff8000
	s_and_saveexec_b64 s[24:25], s[10:11]
	s_cbranch_execz .LBB756_141
; %bb.138:
	s_movk_i32 s10, 0x7f
	v_and_b32_e32 v36, 0x7f, v31
	v_cmp_ne_u32_e64 s[10:11], s10, v36
	v_mov_b32_e32 v46, 0x7f80
	s_and_saveexec_b64 s[26:27], s[10:11]
	s_cbranch_execz .LBB756_140
; %bb.139:
	v_and_b32_e32 v46, 7, v31
	v_ffbh_u32_e32 v46, v46
	v_min_u32_e32 v46, 32, v46
	v_lshrrev_b32_e32 v47, 3, v36
	v_subrev_u32_e32 v48, 28, v46
	v_sub_u32_e32 v46, 29, v46
	v_cmp_gt_u32_e64 s[10:11], 8, v36
	v_cndmask_b32_e64 v36, v47, v46, s[10:11]
	v_cndmask_b32_e64 v46, 0, v48, s[10:11]
	v_lshlrev_b64 v[46:47], v46, v[34:35]
	v_lshlrev_b32_e32 v35, 20, v46
	v_lshlrev_b32_e32 v46, 24, v34
	v_bfrev_b32_e32 v47, 60
	v_and_b32_e32 v35, 0x700000, v35
	v_and_b32_e32 v46, 0x80000000, v46
	v_lshl_add_u32 v36, v36, 23, v47
	v_or3_b32 v35, v46, v36, v35
	v_lshrrev_b32_e32 v46, 16, v35
.LBB756_140:
	s_or_b64 exec, exec, s[26:27]
.LBB756_141:
	s_or_b64 exec, exec, s[24:25]
.LBB756_142:
	s_or_b64 exec, exec, s[12:13]
	v_lshrrev_b16_e32 v36, 8, v34
	v_cmp_ne_u16_e64 s[10:11], 0, v36
	s_and_saveexec_b64 s[12:13], s[10:11]
	s_cbranch_execz .LBB756_148
; %bb.143:
	s_movk_i32 s10, 0x80
	v_cmp_ne_u16_e64 s[10:11], s10, v36
	v_mov_b32_e32 v41, 0xffff8000
	s_and_saveexec_b64 s[24:25], s[10:11]
	s_cbranch_execz .LBB756_147
; %bb.144:
	s_movk_i32 s10, 0x7f
	v_and_b32_e32 v35, 0x7f, v36
	v_cmp_ne_u32_e64 s[10:11], s10, v35
	v_mov_b32_e32 v41, 0x7f80
	s_and_saveexec_b64 s[26:27], s[10:11]
	s_cbranch_execz .LBB756_146
; %bb.145:
	v_and_b32_e32 v41, 7, v36
	v_ffbh_u32_e32 v48, v41
	v_min_u32_e32 v50, 32, v48
	v_subrev_u32_e32 v48, 28, v50
	v_lshlrev_b64 v[48:49], v48, v[36:37]
	v_lshrrev_b32_e32 v47, 3, v35
	v_sub_u32_e32 v36, 29, v50
	v_and_b32_e32 v48, 7, v48
	v_cmp_gt_u32_e64 s[10:11], 8, v35
	v_cndmask_b32_e64 v35, v47, v36, s[10:11]
	v_cndmask_b32_e64 v36, v41, v48, s[10:11]
	v_lshlrev_b32_e32 v34, 16, v34
	v_bfrev_b32_e32 v41, 60
	v_lshlrev_b32_e32 v36, 20, v36
	v_and_b32_e32 v34, 0x80000000, v34
	v_lshl_add_u32 v35, v35, 23, v41
	v_or3_b32 v34, v34, v35, v36
	v_lshrrev_b32_e32 v41, 16, v34
.LBB756_146:
	s_or_b64 exec, exec, s[26:27]
.LBB756_147:
	s_or_b64 exec, exec, s[24:25]
.LBB756_148:
	s_or_b64 exec, exec, s[12:13]
	s_movk_i32 s10, 0xff
	v_and_b32_sdwa v47, v31, s10 dst_sel:DWORD dst_unused:UNUSED_PAD src0_sel:WORD_1 src1_sel:DWORD
	v_lshrrev_b32_e32 v34, 16, v31
	v_cmp_ne_u16_e64 s[10:11], 0, v47
	v_mov_b32_e32 v35, 0
	v_mov_b32_e32 v36, 0
	s_and_saveexec_b64 s[12:13], s[10:11]
	s_cbranch_execz .LBB756_154
; %bb.149:
	s_movk_i32 s10, 0x80
	v_cmp_ne_u16_e64 s[10:11], s10, v47
	v_mov_b32_e32 v36, 0xffff8000
	s_and_saveexec_b64 s[24:25], s[10:11]
	s_cbranch_execz .LBB756_153
; %bb.150:
	v_bfe_u32 v47, v31, 16, 7
	s_movk_i32 s10, 0x7f
	v_cmp_ne_u32_e64 s[10:11], s10, v47
	v_mov_b32_e32 v36, 0x7f80
	s_and_saveexec_b64 s[26:27], s[10:11]
	s_cbranch_execz .LBB756_152
; %bb.151:
	v_and_b32_e32 v36, 7, v34
	v_ffbh_u32_e32 v48, v36
	v_min_u32_e32 v51, 32, v48
	v_subrev_u32_e32 v48, 28, v51
	v_lshlrev_b64 v[48:49], v48, v[34:35]
	v_lshrrev_b32_e32 v50, 3, v47
	v_sub_u32_e32 v34, 29, v51
	v_and_b32_e32 v48, 7, v48
	v_cmp_gt_u32_e64 s[10:11], 8, v47
	v_mov_b32_e32 v47, 24
	v_cndmask_b32_e64 v34, v50, v34, s[10:11]
	v_cndmask_b32_e64 v36, v36, v48, s[10:11]
	v_lshlrev_b32_sdwa v47, v47, v31 dst_sel:DWORD dst_unused:UNUSED_PAD src0_sel:DWORD src1_sel:WORD_1
	v_bfrev_b32_e32 v48, 60
	v_lshlrev_b32_e32 v36, 20, v36
	v_and_b32_e32 v47, 0x80000000, v47
	v_lshl_add_u32 v34, v34, 23, v48
	v_or3_b32 v34, v47, v34, v36
	v_lshrrev_b32_e32 v36, 16, v34
.LBB756_152:
	s_or_b64 exec, exec, s[26:27]
.LBB756_153:
	s_or_b64 exec, exec, s[24:25]
.LBB756_154:
	s_or_b64 exec, exec, s[12:13]
	s_mov_b32 s10, -1
	s_mov_b32 s11, 0xffffff
	v_cmp_lt_u64_e64 s[10:11], s[10:11], v[30:31]
	s_and_saveexec_b64 s[12:13], s[10:11]
	s_cbranch_execz .LBB756_160
; %bb.155:
	v_lshrrev_b32_e32 v30, 24, v31
	s_movk_i32 s10, 0x80
	v_cmp_ne_u32_e64 s[10:11], s10, v30
	v_mov_b32_e32 v35, 0xffff8000
	s_and_saveexec_b64 s[24:25], s[10:11]
	s_cbranch_execz .LBB756_159
; %bb.156:
	v_bfe_u32 v31, v31, 24, 7
	s_movk_i32 s10, 0x7f
	v_cmp_ne_u32_e64 s[10:11], s10, v31
	v_mov_b32_e32 v35, 0x7f80
	s_and_saveexec_b64 s[26:27], s[10:11]
	s_cbranch_execz .LBB756_158
; %bb.157:
	v_and_b32_e32 v47, 7, v30
	v_ffbh_u32_e32 v34, v47
	v_min_u32_e32 v49, 32, v34
	v_subrev_u32_e32 v34, 28, v49
	v_lshlrev_b64 v[34:35], v34, v[30:31]
	v_lshrrev_b32_e32 v48, 3, v31
	v_sub_u32_e32 v35, 29, v49
	v_and_b32_e32 v34, 7, v34
	v_cmp_gt_u32_e64 s[10:11], 8, v31
	v_cndmask_b32_e64 v31, v48, v35, s[10:11]
	v_cndmask_b32_e64 v34, v47, v34, s[10:11]
	v_lshlrev_b32_e32 v30, 24, v30
	v_bfrev_b32_e32 v35, 60
	v_lshlrev_b32_e32 v34, 20, v34
	v_and_b32_e32 v30, 0x80000000, v30
	v_lshl_add_u32 v31, v31, 23, v35
	v_or3_b32 v30, v30, v31, v34
	v_lshrrev_b32_e32 v35, 16, v30
.LBB756_158:
	s_or_b64 exec, exec, s[26:27]
.LBB756_159:
	s_or_b64 exec, exec, s[24:25]
.LBB756_160:
	s_or_b64 exec, exec, s[12:13]
	s_mov_b32 s10, 0x5040100
	v_perm_b32 v31, v40, v39, s10
	v_perm_b32 v30, v37, v38, s10
	;; [unrolled: 1-line block ×4, first 2 shown]
	v_mfma_f32_4x4x4bf16_1k a[0:3], v[2:3], v[30:31], a[0:3] cbsz:4 abid:2
	v_mov_b32_e32 v36, 0
	v_mfma_f32_4x4x4bf16_1k a[0:3], v[4:5], v[34:35], a[0:3] cbsz:4 abid:2
	v_mov_b32_e32 v35, 0
	v_cmp_ne_u16_sdwa s[10:11], v32, v35 src0_sel:BYTE_0 src1_sel:DWORD
	s_and_saveexec_b64 s[12:13], s[10:11]
	s_cbranch_execz .LBB756_166
; %bb.161:
	s_movk_i32 s10, 0x80
	v_cmp_ne_u16_sdwa s[10:11], v32, s10 src0_sel:BYTE_0 src1_sel:DWORD
	v_mov_b32_e32 v36, 0xffff8000
	s_and_saveexec_b64 s[24:25], s[10:11]
	s_cbranch_execz .LBB756_165
; %bb.162:
	s_movk_i32 s10, 0x7f
	v_and_b32_e32 v30, 0x7f, v32
	v_cmp_ne_u32_e64 s[10:11], s10, v30
	v_mov_b32_e32 v36, 0x7f80
	s_and_saveexec_b64 s[26:27], s[10:11]
	s_cbranch_execz .LBB756_164
; %bb.163:
	v_and_b32_e32 v31, 7, v32
	v_ffbh_u32_e32 v31, v31
	v_min_u32_e32 v31, 32, v31
	v_subrev_u32_e32 v36, 28, v31
	v_cmp_gt_u32_e64 s[10:11], 8, v30
	v_lshrrev_b32_e32 v34, 3, v30
	v_sub_u32_e32 v31, 29, v31
	v_cndmask_b32_e64 v30, 0, v36, s[10:11]
	v_cndmask_b32_e64 v34, v34, v31, s[10:11]
	v_lshlrev_b64 v[30:31], v30, v[32:33]
	v_lshlrev_b32_e32 v30, 20, v30
	v_lshlrev_b32_e32 v31, 24, v32
	v_bfrev_b32_e32 v36, 60
	v_and_b32_e32 v30, 0x700000, v30
	v_and_b32_e32 v31, 0x80000000, v31
	v_lshl_add_u32 v34, v34, 23, v36
	v_or3_b32 v30, v31, v34, v30
	v_lshrrev_b32_e32 v36, 16, v30
.LBB756_164:
	s_or_b64 exec, exec, s[26:27]
.LBB756_165:
	s_or_b64 exec, exec, s[24:25]
.LBB756_166:
	s_or_b64 exec, exec, s[12:13]
	v_lshrrev_b16_e32 v30, 8, v32
	v_cmp_ne_u16_e64 s[10:11], 0, v30
	s_and_saveexec_b64 s[12:13], s[10:11]
	s_cbranch_execz .LBB756_172
; %bb.167:
	s_movk_i32 s10, 0x80
	v_cmp_ne_u16_e64 s[10:11], s10, v30
	v_mov_b32_e32 v35, 0xffff8000
	s_and_saveexec_b64 s[24:25], s[10:11]
	s_cbranch_execz .LBB756_171
; %bb.168:
	s_movk_i32 s10, 0x7f
	v_and_b32_e32 v31, 0x7f, v30
	v_cmp_ne_u32_e64 s[10:11], s10, v31
	v_mov_b32_e32 v35, 0x7f80
	s_and_saveexec_b64 s[26:27], s[10:11]
	s_cbranch_execz .LBB756_170
; %bb.169:
	v_and_b32_e32 v37, 7, v30
	v_ffbh_u32_e32 v34, v37
	v_min_u32_e32 v39, 32, v34
	v_subrev_u32_e32 v34, 28, v39
	v_lshlrev_b64 v[34:35], v34, v[30:31]
	v_lshrrev_b32_e32 v38, 3, v31
	v_sub_u32_e32 v30, 29, v39
	v_and_b32_e32 v34, 7, v34
	v_cmp_gt_u32_e64 s[10:11], 8, v31
	v_cndmask_b32_e64 v30, v38, v30, s[10:11]
	v_cndmask_b32_e64 v31, v37, v34, s[10:11]
	v_lshlrev_b32_e32 v34, 16, v32
	v_bfrev_b32_e32 v35, 60
	v_lshlrev_b32_e32 v31, 20, v31
	v_and_b32_e32 v34, 0x80000000, v34
	v_lshl_add_u32 v30, v30, 23, v35
	v_or3_b32 v30, v34, v30, v31
	v_lshrrev_b32_e32 v35, 16, v30
.LBB756_170:
	s_or_b64 exec, exec, s[26:27]
.LBB756_171:
	s_or_b64 exec, exec, s[24:25]
.LBB756_172:
	s_or_b64 exec, exec, s[12:13]
	s_movk_i32 s10, 0xff
	v_and_b32_sdwa v34, v32, s10 dst_sel:DWORD dst_unused:UNUSED_PAD src0_sel:WORD_1 src1_sel:DWORD
	v_lshrrev_b32_e32 v30, 16, v32
	v_cmp_ne_u16_e64 s[10:11], 0, v34
	v_mov_b32_e32 v31, 0
	v_mov_b32_e32 v37, 0
	s_and_saveexec_b64 s[12:13], s[10:11]
	s_cbranch_execz .LBB756_178
; %bb.173:
	s_movk_i32 s10, 0x80
	v_cmp_ne_u16_e64 s[10:11], s10, v34
	v_mov_b32_e32 v37, 0xffff8000
	s_and_saveexec_b64 s[24:25], s[10:11]
	s_cbranch_execz .LBB756_177
; %bb.174:
	v_bfe_u32 v34, v32, 16, 7
	s_movk_i32 s10, 0x7f
	v_cmp_ne_u32_e64 s[10:11], s10, v34
	v_mov_b32_e32 v37, 0x7f80
	s_and_saveexec_b64 s[26:27], s[10:11]
	s_cbranch_execz .LBB756_176
; %bb.175:
	v_and_b32_e32 v37, 7, v30
	v_ffbh_u32_e32 v38, v37
	v_min_u32_e32 v41, 32, v38
	v_subrev_u32_e32 v38, 28, v41
	v_lshlrev_b64 v[38:39], v38, v[30:31]
	v_and_b32_e32 v38, 7, v38
	v_cmp_gt_u32_e64 s[10:11], 8, v34
	v_lshrrev_b32_e32 v40, 3, v34
	v_sub_u32_e32 v30, 29, v41
	v_cndmask_b32_e64 v34, v37, v38, s[10:11]
	v_mov_b32_e32 v37, 24
	v_cndmask_b32_e64 v30, v40, v30, s[10:11]
	v_lshlrev_b32_sdwa v37, v37, v32 dst_sel:DWORD dst_unused:UNUSED_PAD src0_sel:DWORD src1_sel:WORD_1
	v_bfrev_b32_e32 v38, 60
	v_lshlrev_b32_e32 v34, 20, v34
	v_and_b32_e32 v37, 0x80000000, v37
	v_lshl_add_u32 v30, v30, 23, v38
	v_or3_b32 v30, v37, v30, v34
	v_lshrrev_b32_e32 v37, 16, v30
.LBB756_176:
	s_or_b64 exec, exec, s[26:27]
.LBB756_177:
	s_or_b64 exec, exec, s[24:25]
.LBB756_178:
	s_or_b64 exec, exec, s[12:13]
	s_mov_b32 s10, 0xffffff
	v_cmp_lt_u32_e64 s[10:11], s10, v32
	v_mov_b32_e32 v38, 0
	s_and_saveexec_b64 s[12:13], s[10:11]
	s_cbranch_execz .LBB756_184
; %bb.179:
	v_lshrrev_b32_e32 v30, 24, v32
	s_movk_i32 s10, 0x80
	v_cmp_ne_u32_e64 s[10:11], s10, v30
	v_mov_b32_e32 v38, 0xffff8000
	s_and_saveexec_b64 s[24:25], s[10:11]
	s_cbranch_execz .LBB756_183
; %bb.180:
	v_bfe_u32 v34, v32, 24, 7
	s_movk_i32 s10, 0x7f
	v_cmp_ne_u32_e64 s[10:11], s10, v34
	v_mov_b32_e32 v38, 0x7f80
	s_and_saveexec_b64 s[26:27], s[10:11]
	s_cbranch_execz .LBB756_182
; %bb.181:
	v_and_b32_e32 v40, 7, v30
	v_ffbh_u32_e32 v38, v40
	v_min_u32_e32 v46, 32, v38
	v_subrev_u32_e32 v38, 28, v46
	v_lshlrev_b64 v[38:39], v38, v[30:31]
	v_lshrrev_b32_e32 v41, 3, v34
	v_sub_u32_e32 v39, 29, v46
	v_and_b32_e32 v38, 7, v38
	v_cmp_gt_u32_e64 s[10:11], 8, v34
	v_cndmask_b32_e64 v34, v41, v39, s[10:11]
	v_cndmask_b32_e64 v38, v40, v38, s[10:11]
	v_lshlrev_b32_e32 v30, 24, v30
	v_bfrev_b32_e32 v39, 60
	v_lshlrev_b32_e32 v38, 20, v38
	v_and_b32_e32 v30, 0x80000000, v30
	v_lshl_add_u32 v34, v34, 23, v39
	v_or3_b32 v30, v30, v34, v38
	v_lshrrev_b32_e32 v38, 16, v30
.LBB756_182:
	s_or_b64 exec, exec, s[26:27]
.LBB756_183:
	s_or_b64 exec, exec, s[24:25]
.LBB756_184:
	s_or_b64 exec, exec, s[12:13]
	v_mov_b32_e32 v39, 0
	v_mov_b32_e32 v30, v33
	v_cmp_ne_u16_sdwa s[10:11], v33, v39 src0_sel:BYTE_0 src1_sel:DWORD
	v_mov_b32_e32 v40, 0
	s_and_saveexec_b64 s[12:13], s[10:11]
	s_cbranch_execz .LBB756_190
; %bb.185:
	s_movk_i32 s10, 0x80
	v_cmp_ne_u16_sdwa s[10:11], v33, s10 src0_sel:BYTE_0 src1_sel:DWORD
	v_mov_b32_e32 v40, 0xffff8000
	s_and_saveexec_b64 s[24:25], s[10:11]
	s_cbranch_execz .LBB756_189
; %bb.186:
	s_movk_i32 s10, 0x7f
	v_and_b32_e32 v34, 0x7f, v33
	v_cmp_ne_u32_e64 s[10:11], s10, v34
	v_mov_b32_e32 v40, 0x7f80
	s_and_saveexec_b64 s[26:27], s[10:11]
	s_cbranch_execz .LBB756_188
; %bb.187:
	v_and_b32_e32 v40, 7, v33
	v_ffbh_u32_e32 v40, v40
	v_min_u32_e32 v40, 32, v40
	v_lshrrev_b32_e32 v41, 3, v34
	v_subrev_u32_e32 v46, 28, v40
	v_sub_u32_e32 v40, 29, v40
	v_cmp_gt_u32_e64 s[10:11], 8, v34
	v_cndmask_b32_e64 v34, v41, v40, s[10:11]
	v_cndmask_b32_e64 v40, 0, v46, s[10:11]
	v_lshlrev_b64 v[40:41], v40, v[30:31]
	v_lshlrev_b32_e32 v31, 20, v40
	v_lshlrev_b32_e32 v40, 24, v30
	v_bfrev_b32_e32 v41, 60
	v_and_b32_e32 v31, 0x700000, v31
	v_and_b32_e32 v40, 0x80000000, v40
	v_lshl_add_u32 v34, v34, 23, v41
	v_or3_b32 v31, v40, v34, v31
	v_lshrrev_b32_e32 v40, 16, v31
.LBB756_188:
	s_or_b64 exec, exec, s[26:27]
.LBB756_189:
	s_or_b64 exec, exec, s[24:25]
.LBB756_190:
	s_or_b64 exec, exec, s[12:13]
	v_lshrrev_b16_e32 v34, 8, v30
	v_cmp_ne_u16_e64 s[10:11], 0, v34
	s_and_saveexec_b64 s[12:13], s[10:11]
	s_cbranch_execz .LBB756_196
; %bb.191:
	s_movk_i32 s10, 0x80
	v_cmp_ne_u16_e64 s[10:11], s10, v34
	v_mov_b32_e32 v39, 0xffff8000
	s_and_saveexec_b64 s[24:25], s[10:11]
	s_cbranch_execz .LBB756_195
; %bb.192:
	s_movk_i32 s10, 0x7f
	v_and_b32_e32 v31, 0x7f, v34
	v_cmp_ne_u32_e64 s[10:11], s10, v31
	v_mov_b32_e32 v39, 0x7f80
	s_and_saveexec_b64 s[26:27], s[10:11]
	s_cbranch_execz .LBB756_194
; %bb.193:
	v_and_b32_e32 v39, 7, v34
	v_ffbh_u32_e32 v46, v39
	v_min_u32_e32 v48, 32, v46
	v_subrev_u32_e32 v46, 28, v48
	v_lshlrev_b64 v[46:47], v46, v[34:35]
	v_lshrrev_b32_e32 v41, 3, v31
	v_sub_u32_e32 v34, 29, v48
	v_and_b32_e32 v46, 7, v46
	v_cmp_gt_u32_e64 s[10:11], 8, v31
	v_cndmask_b32_e64 v31, v41, v34, s[10:11]
	v_cndmask_b32_e64 v34, v39, v46, s[10:11]
	v_lshlrev_b32_e32 v30, 16, v30
	v_bfrev_b32_e32 v39, 60
	v_lshlrev_b32_e32 v34, 20, v34
	v_and_b32_e32 v30, 0x80000000, v30
	v_lshl_add_u32 v31, v31, 23, v39
	v_or3_b32 v30, v30, v31, v34
	v_lshrrev_b32_e32 v39, 16, v30
.LBB756_194:
	s_or_b64 exec, exec, s[26:27]
.LBB756_195:
	s_or_b64 exec, exec, s[24:25]
.LBB756_196:
	s_or_b64 exec, exec, s[12:13]
	s_movk_i32 s10, 0xff
	v_and_b32_sdwa v41, v33, s10 dst_sel:DWORD dst_unused:UNUSED_PAD src0_sel:WORD_1 src1_sel:DWORD
	v_lshrrev_b32_e32 v30, 16, v33
	v_cmp_ne_u16_e64 s[10:11], 0, v41
	v_mov_b32_e32 v31, 0
	v_mov_b32_e32 v34, 0
	s_and_saveexec_b64 s[12:13], s[10:11]
	s_cbranch_execz .LBB756_202
; %bb.197:
	s_movk_i32 s10, 0x80
	v_cmp_ne_u16_e64 s[10:11], s10, v41
	v_mov_b32_e32 v34, 0xffff8000
	s_and_saveexec_b64 s[24:25], s[10:11]
	s_cbranch_execz .LBB756_201
; %bb.198:
	v_bfe_u32 v41, v33, 16, 7
	s_movk_i32 s10, 0x7f
	v_cmp_ne_u32_e64 s[10:11], s10, v41
	v_mov_b32_e32 v34, 0x7f80
	s_and_saveexec_b64 s[26:27], s[10:11]
	s_cbranch_execz .LBB756_200
; %bb.199:
	v_and_b32_e32 v34, 7, v30
	v_ffbh_u32_e32 v46, v34
	v_min_u32_e32 v49, 32, v46
	v_subrev_u32_e32 v46, 28, v49
	v_lshlrev_b64 v[46:47], v46, v[30:31]
	v_lshrrev_b32_e32 v48, 3, v41
	v_sub_u32_e32 v30, 29, v49
	v_and_b32_e32 v46, 7, v46
	v_cmp_gt_u32_e64 s[10:11], 8, v41
	v_mov_b32_e32 v41, 24
	v_cndmask_b32_e64 v30, v48, v30, s[10:11]
	v_cndmask_b32_e64 v34, v34, v46, s[10:11]
	v_lshlrev_b32_sdwa v41, v41, v33 dst_sel:DWORD dst_unused:UNUSED_PAD src0_sel:DWORD src1_sel:WORD_1
	v_bfrev_b32_e32 v46, 60
	v_lshlrev_b32_e32 v34, 20, v34
	v_and_b32_e32 v41, 0x80000000, v41
	v_lshl_add_u32 v30, v30, 23, v46
	v_or3_b32 v30, v41, v30, v34
	v_lshrrev_b32_e32 v34, 16, v30
.LBB756_200:
	s_or_b64 exec, exec, s[26:27]
.LBB756_201:
	s_or_b64 exec, exec, s[24:25]
.LBB756_202:
	s_or_b64 exec, exec, s[12:13]
	s_mov_b32 s10, -1
	s_mov_b32 s11, 0xffffff
	v_cmp_lt_u64_e64 s[10:11], s[10:11], v[32:33]
	s_and_saveexec_b64 s[12:13], s[10:11]
	s_cbranch_execz .LBB756_208
; %bb.203:
	v_lshrrev_b32_e32 v30, 24, v33
	s_movk_i32 s10, 0x80
	v_cmp_ne_u32_e64 s[10:11], s10, v30
	v_mov_b32_e32 v31, 0xffff8000
	s_and_saveexec_b64 s[24:25], s[10:11]
	s_cbranch_execz .LBB756_207
; %bb.204:
	v_bfe_u32 v32, v33, 24, 7
	s_movk_i32 s10, 0x7f
	v_cmp_ne_u32_e64 s[10:11], s10, v32
	v_mov_b32_e32 v31, 0x7f80
	s_and_saveexec_b64 s[26:27], s[10:11]
	s_cbranch_execz .LBB756_206
; %bb.205:
	v_and_b32_e32 v31, 7, v30
	v_ffbh_u32_e32 v41, v31
	v_min_u32_e32 v41, 32, v41
	v_subrev_u32_e32 v46, 28, v41
	v_lshlrev_b64 v[46:47], v46, v[30:31]
	v_lshrrev_b32_e32 v33, 3, v32
	v_sub_u32_e32 v41, 29, v41
	v_and_b32_e32 v46, 7, v46
	v_cmp_gt_u32_e64 s[10:11], 8, v32
	v_cndmask_b32_e64 v32, v33, v41, s[10:11]
	v_cndmask_b32_e64 v31, v31, v46, s[10:11]
	v_lshlrev_b32_e32 v30, 24, v30
	v_bfrev_b32_e32 v33, 60
	v_lshlrev_b32_e32 v31, 20, v31
	v_and_b32_e32 v30, 0x80000000, v30
	v_lshl_add_u32 v32, v32, 23, v33
	v_or3_b32 v30, v30, v32, v31
	v_lshrrev_b32_e32 v31, 16, v30
.LBB756_206:
	s_or_b64 exec, exec, s[26:27]
.LBB756_207:
	s_or_b64 exec, exec, s[24:25]
.LBB756_208:
	s_or_b64 exec, exec, s[12:13]
	s_mov_b32 s10, 0x5040100
	v_perm_b32 v33, v38, v37, s10
	v_perm_b32 v32, v35, v36, s10
	;; [unrolled: 1-line block ×4, first 2 shown]
	v_mfma_f32_4x4x4bf16_1k a[0:3], v[2:3], v[32:33], a[0:3] cbsz:4 abid:3
	v_mov_b32_e32 v33, 0
	v_mfma_f32_4x4x4bf16_1k a[0:3], v[4:5], v[30:31], a[0:3] cbsz:4 abid:3
	v_cmp_ne_u16_sdwa s[10:11], v26, v33 src0_sel:BYTE_0 src1_sel:DWORD
	v_mov_b32_e32 v34, 0
	s_and_saveexec_b64 s[12:13], s[10:11]
	s_cbranch_execz .LBB756_214
; %bb.209:
	s_movk_i32 s10, 0x80
	v_cmp_ne_u16_sdwa s[10:11], v26, s10 src0_sel:BYTE_0 src1_sel:DWORD
	v_mov_b32_e32 v34, 0xffff8000
	s_and_saveexec_b64 s[24:25], s[10:11]
	s_cbranch_execz .LBB756_213
; %bb.210:
	s_movk_i32 s10, 0x7f
	v_and_b32_e32 v30, 0x7f, v26
	v_cmp_ne_u32_e64 s[10:11], s10, v30
	v_mov_b32_e32 v34, 0x7f80
	s_and_saveexec_b64 s[26:27], s[10:11]
	s_cbranch_execz .LBB756_212
; %bb.211:
	v_and_b32_e32 v31, 7, v26
	v_ffbh_u32_e32 v31, v31
	v_min_u32_e32 v31, 32, v31
	v_subrev_u32_e32 v34, 28, v31
	v_cmp_gt_u32_e64 s[10:11], 8, v30
	v_lshrrev_b32_e32 v32, 3, v30
	v_sub_u32_e32 v31, 29, v31
	v_cndmask_b32_e64 v30, 0, v34, s[10:11]
	v_cndmask_b32_e64 v32, v32, v31, s[10:11]
	v_lshlrev_b64 v[30:31], v30, v[26:27]
	v_lshlrev_b32_e32 v30, 20, v30
	v_lshlrev_b32_e32 v31, 24, v26
	v_bfrev_b32_e32 v34, 60
	v_and_b32_e32 v30, 0x700000, v30
	v_and_b32_e32 v31, 0x80000000, v31
	v_lshl_add_u32 v32, v32, 23, v34
	v_or3_b32 v30, v31, v32, v30
	v_lshrrev_b32_e32 v34, 16, v30
.LBB756_212:
	s_or_b64 exec, exec, s[26:27]
.LBB756_213:
	s_or_b64 exec, exec, s[24:25]
.LBB756_214:
	s_or_b64 exec, exec, s[12:13]
	v_lshrrev_b16_e32 v30, 8, v26
	v_cmp_ne_u16_e64 s[10:11], 0, v30
	s_and_saveexec_b64 s[12:13], s[10:11]
	s_cbranch_execz .LBB756_220
; %bb.215:
	s_movk_i32 s10, 0x80
	v_cmp_ne_u16_e64 s[10:11], s10, v30
	v_mov_b32_e32 v33, 0xffff8000
	s_and_saveexec_b64 s[24:25], s[10:11]
	s_cbranch_execz .LBB756_219
; %bb.216:
	s_movk_i32 s10, 0x7f
	v_and_b32_e32 v31, 0x7f, v30
	v_cmp_ne_u32_e64 s[10:11], s10, v31
	v_mov_b32_e32 v33, 0x7f80
	s_and_saveexec_b64 s[26:27], s[10:11]
	s_cbranch_execz .LBB756_218
; %bb.217:
	v_and_b32_e32 v35, 7, v30
	v_ffbh_u32_e32 v32, v35
	v_min_u32_e32 v37, 32, v32
	v_subrev_u32_e32 v32, 28, v37
	v_lshlrev_b64 v[32:33], v32, v[30:31]
	v_lshrrev_b32_e32 v36, 3, v31
	v_sub_u32_e32 v30, 29, v37
	v_and_b32_e32 v32, 7, v32
	v_cmp_gt_u32_e64 s[10:11], 8, v31
	v_cndmask_b32_e64 v30, v36, v30, s[10:11]
	v_cndmask_b32_e64 v31, v35, v32, s[10:11]
	v_lshlrev_b32_e32 v32, 16, v26
	v_bfrev_b32_e32 v33, 60
	v_lshlrev_b32_e32 v31, 20, v31
	v_and_b32_e32 v32, 0x80000000, v32
	v_lshl_add_u32 v30, v30, 23, v33
	v_or3_b32 v30, v32, v30, v31
	v_lshrrev_b32_e32 v33, 16, v30
.LBB756_218:
	s_or_b64 exec, exec, s[26:27]
.LBB756_219:
	s_or_b64 exec, exec, s[24:25]
.LBB756_220:
	s_or_b64 exec, exec, s[12:13]
	s_movk_i32 s10, 0xff
	v_and_b32_sdwa v32, v26, s10 dst_sel:DWORD dst_unused:UNUSED_PAD src0_sel:WORD_1 src1_sel:DWORD
	v_lshrrev_b32_e32 v30, 16, v26
	v_cmp_ne_u16_e64 s[10:11], 0, v32
	v_mov_b32_e32 v31, 0
	v_mov_b32_e32 v35, 0
	s_and_saveexec_b64 s[12:13], s[10:11]
	s_cbranch_execz .LBB756_226
; %bb.221:
	s_movk_i32 s10, 0x80
	v_cmp_ne_u16_e64 s[10:11], s10, v32
	v_mov_b32_e32 v35, 0xffff8000
	s_and_saveexec_b64 s[24:25], s[10:11]
	s_cbranch_execz .LBB756_225
; %bb.222:
	v_bfe_u32 v32, v26, 16, 7
	s_movk_i32 s10, 0x7f
	v_cmp_ne_u32_e64 s[10:11], s10, v32
	v_mov_b32_e32 v35, 0x7f80
	s_and_saveexec_b64 s[26:27], s[10:11]
	s_cbranch_execz .LBB756_224
; %bb.223:
	v_and_b32_e32 v35, 7, v30
	v_ffbh_u32_e32 v36, v35
	v_min_u32_e32 v39, 32, v36
	v_subrev_u32_e32 v36, 28, v39
	v_lshlrev_b64 v[36:37], v36, v[30:31]
	v_and_b32_e32 v36, 7, v36
	v_cmp_gt_u32_e64 s[10:11], 8, v32
	v_lshrrev_b32_e32 v38, 3, v32
	v_sub_u32_e32 v30, 29, v39
	v_cndmask_b32_e64 v32, v35, v36, s[10:11]
	v_mov_b32_e32 v35, 24
	v_cndmask_b32_e64 v30, v38, v30, s[10:11]
	v_lshlrev_b32_sdwa v35, v35, v26 dst_sel:DWORD dst_unused:UNUSED_PAD src0_sel:DWORD src1_sel:WORD_1
	v_bfrev_b32_e32 v36, 60
	v_lshlrev_b32_e32 v32, 20, v32
	v_and_b32_e32 v35, 0x80000000, v35
	v_lshl_add_u32 v30, v30, 23, v36
	v_or3_b32 v30, v35, v30, v32
	v_lshrrev_b32_e32 v35, 16, v30
.LBB756_224:
	s_or_b64 exec, exec, s[26:27]
.LBB756_225:
	s_or_b64 exec, exec, s[24:25]
.LBB756_226:
	s_or_b64 exec, exec, s[12:13]
	s_mov_b32 s10, 0xffffff
	v_cmp_lt_u32_e64 s[10:11], s10, v26
	v_mov_b32_e32 v36, 0
	s_and_saveexec_b64 s[12:13], s[10:11]
	s_cbranch_execz .LBB756_232
; %bb.227:
	v_lshrrev_b32_e32 v30, 24, v26
	s_movk_i32 s10, 0x80
	v_cmp_ne_u32_e64 s[10:11], s10, v30
	v_mov_b32_e32 v36, 0xffff8000
	s_and_saveexec_b64 s[24:25], s[10:11]
	s_cbranch_execz .LBB756_231
; %bb.228:
	v_bfe_u32 v32, v26, 24, 7
	s_movk_i32 s10, 0x7f
	v_cmp_ne_u32_e64 s[10:11], s10, v32
	v_mov_b32_e32 v36, 0x7f80
	s_and_saveexec_b64 s[26:27], s[10:11]
	s_cbranch_execz .LBB756_230
; %bb.229:
	v_and_b32_e32 v38, 7, v30
	v_ffbh_u32_e32 v36, v38
	v_min_u32_e32 v40, 32, v36
	v_subrev_u32_e32 v36, 28, v40
	v_lshlrev_b64 v[36:37], v36, v[30:31]
	v_lshrrev_b32_e32 v39, 3, v32
	v_sub_u32_e32 v37, 29, v40
	v_and_b32_e32 v36, 7, v36
	v_cmp_gt_u32_e64 s[10:11], 8, v32
	v_cndmask_b32_e64 v32, v39, v37, s[10:11]
	v_cndmask_b32_e64 v36, v38, v36, s[10:11]
	v_lshlrev_b32_e32 v30, 24, v30
	v_bfrev_b32_e32 v37, 60
	v_lshlrev_b32_e32 v36, 20, v36
	v_and_b32_e32 v30, 0x80000000, v30
	v_lshl_add_u32 v32, v32, 23, v37
	v_or3_b32 v30, v30, v32, v36
	v_lshrrev_b32_e32 v36, 16, v30
.LBB756_230:
	s_or_b64 exec, exec, s[26:27]
.LBB756_231:
	s_or_b64 exec, exec, s[24:25]
.LBB756_232:
	s_or_b64 exec, exec, s[12:13]
	v_mov_b32_e32 v37, 0
	v_mov_b32_e32 v30, v27
	v_cmp_ne_u16_sdwa s[10:11], v27, v37 src0_sel:BYTE_0 src1_sel:DWORD
	v_mov_b32_e32 v38, 0
	s_and_saveexec_b64 s[12:13], s[10:11]
	s_cbranch_execz .LBB756_238
; %bb.233:
	s_movk_i32 s10, 0x80
	v_cmp_ne_u16_sdwa s[10:11], v27, s10 src0_sel:BYTE_0 src1_sel:DWORD
	v_mov_b32_e32 v38, 0xffff8000
	s_and_saveexec_b64 s[24:25], s[10:11]
	s_cbranch_execz .LBB756_237
; %bb.234:
	s_movk_i32 s10, 0x7f
	v_and_b32_e32 v32, 0x7f, v27
	v_cmp_ne_u32_e64 s[10:11], s10, v32
	v_mov_b32_e32 v38, 0x7f80
	s_and_saveexec_b64 s[26:27], s[10:11]
	s_cbranch_execz .LBB756_236
; %bb.235:
	v_and_b32_e32 v38, 7, v27
	v_ffbh_u32_e32 v38, v38
	v_min_u32_e32 v38, 32, v38
	v_lshrrev_b32_e32 v39, 3, v32
	v_subrev_u32_e32 v40, 28, v38
	v_sub_u32_e32 v38, 29, v38
	v_cmp_gt_u32_e64 s[10:11], 8, v32
	v_cndmask_b32_e64 v32, v39, v38, s[10:11]
	v_cndmask_b32_e64 v38, 0, v40, s[10:11]
	v_lshlrev_b64 v[38:39], v38, v[30:31]
	v_lshlrev_b32_e32 v31, 20, v38
	v_lshlrev_b32_e32 v38, 24, v30
	v_bfrev_b32_e32 v39, 60
	v_and_b32_e32 v31, 0x700000, v31
	v_and_b32_e32 v38, 0x80000000, v38
	v_lshl_add_u32 v32, v32, 23, v39
	v_or3_b32 v31, v38, v32, v31
	v_lshrrev_b32_e32 v38, 16, v31
.LBB756_236:
	s_or_b64 exec, exec, s[26:27]
.LBB756_237:
	s_or_b64 exec, exec, s[24:25]
.LBB756_238:
	s_or_b64 exec, exec, s[12:13]
	v_lshrrev_b16_e32 v32, 8, v30
	v_cmp_ne_u16_e64 s[10:11], 0, v32
	s_and_saveexec_b64 s[12:13], s[10:11]
	s_cbranch_execz .LBB756_244
; %bb.239:
	s_movk_i32 s10, 0x80
	v_cmp_ne_u16_e64 s[10:11], s10, v32
	v_mov_b32_e32 v37, 0xffff8000
	s_and_saveexec_b64 s[24:25], s[10:11]
	s_cbranch_execz .LBB756_243
; %bb.240:
	s_movk_i32 s10, 0x7f
	v_and_b32_e32 v31, 0x7f, v32
	v_cmp_ne_u32_e64 s[10:11], s10, v31
	v_mov_b32_e32 v37, 0x7f80
	s_and_saveexec_b64 s[26:27], s[10:11]
	s_cbranch_execz .LBB756_242
; %bb.241:
	v_and_b32_e32 v37, 7, v32
	v_ffbh_u32_e32 v40, v37
	v_min_u32_e32 v46, 32, v40
	v_subrev_u32_e32 v40, 28, v46
	v_lshlrev_b64 v[40:41], v40, v[32:33]
	v_lshrrev_b32_e32 v39, 3, v31
	v_sub_u32_e32 v32, 29, v46
	v_and_b32_e32 v40, 7, v40
	v_cmp_gt_u32_e64 s[10:11], 8, v31
	v_cndmask_b32_e64 v31, v39, v32, s[10:11]
	v_cndmask_b32_e64 v32, v37, v40, s[10:11]
	v_lshlrev_b32_e32 v30, 16, v30
	v_bfrev_b32_e32 v37, 60
	v_lshlrev_b32_e32 v32, 20, v32
	v_and_b32_e32 v30, 0x80000000, v30
	v_lshl_add_u32 v31, v31, 23, v37
	v_or3_b32 v30, v30, v31, v32
	v_lshrrev_b32_e32 v37, 16, v30
.LBB756_242:
	s_or_b64 exec, exec, s[26:27]
.LBB756_243:
	s_or_b64 exec, exec, s[24:25]
.LBB756_244:
	s_or_b64 exec, exec, s[12:13]
	s_movk_i32 s10, 0xff
	v_and_b32_sdwa v39, v27, s10 dst_sel:DWORD dst_unused:UNUSED_PAD src0_sel:WORD_1 src1_sel:DWORD
	v_lshrrev_b32_e32 v30, 16, v27
	v_cmp_ne_u16_e64 s[10:11], 0, v39
	v_mov_b32_e32 v31, 0
	v_mov_b32_e32 v32, 0
	s_and_saveexec_b64 s[12:13], s[10:11]
	s_cbranch_execz .LBB756_250
; %bb.245:
	s_movk_i32 s10, 0x80
	v_cmp_ne_u16_e64 s[10:11], s10, v39
	v_mov_b32_e32 v32, 0xffff8000
	s_and_saveexec_b64 s[24:25], s[10:11]
	s_cbranch_execz .LBB756_249
; %bb.246:
	v_bfe_u32 v39, v27, 16, 7
	s_movk_i32 s10, 0x7f
	v_cmp_ne_u32_e64 s[10:11], s10, v39
	v_mov_b32_e32 v32, 0x7f80
	s_and_saveexec_b64 s[26:27], s[10:11]
	s_cbranch_execz .LBB756_248
; %bb.247:
	v_and_b32_e32 v32, 7, v30
	v_ffbh_u32_e32 v40, v32
	v_min_u32_e32 v47, 32, v40
	v_subrev_u32_e32 v40, 28, v47
	v_lshlrev_b64 v[40:41], v40, v[30:31]
	v_lshrrev_b32_e32 v46, 3, v39
	v_sub_u32_e32 v30, 29, v47
	v_and_b32_e32 v40, 7, v40
	v_cmp_gt_u32_e64 s[10:11], 8, v39
	v_mov_b32_e32 v39, 24
	v_cndmask_b32_e64 v30, v46, v30, s[10:11]
	v_cndmask_b32_e64 v32, v32, v40, s[10:11]
	v_lshlrev_b32_sdwa v39, v39, v27 dst_sel:DWORD dst_unused:UNUSED_PAD src0_sel:DWORD src1_sel:WORD_1
	v_bfrev_b32_e32 v40, 60
	v_lshlrev_b32_e32 v32, 20, v32
	v_and_b32_e32 v39, 0x80000000, v39
	v_lshl_add_u32 v30, v30, 23, v40
	v_or3_b32 v30, v39, v30, v32
	v_lshrrev_b32_e32 v32, 16, v30
.LBB756_248:
	s_or_b64 exec, exec, s[26:27]
.LBB756_249:
	s_or_b64 exec, exec, s[24:25]
.LBB756_250:
	s_or_b64 exec, exec, s[12:13]
	s_mov_b32 s10, -1
	s_mov_b32 s11, 0xffffff
	v_cmp_lt_u64_e64 s[10:11], s[10:11], v[26:27]
	s_and_saveexec_b64 s[12:13], s[10:11]
	s_cbranch_execz .LBB756_256
; %bb.251:
	v_lshrrev_b32_e32 v26, 24, v27
	s_movk_i32 s10, 0x80
	v_cmp_ne_u32_e64 s[10:11], s10, v26
	v_mov_b32_e32 v31, 0xffff8000
	s_and_saveexec_b64 s[24:25], s[10:11]
	s_cbranch_execz .LBB756_255
; %bb.252:
	v_bfe_u32 v27, v27, 24, 7
	s_movk_i32 s10, 0x7f
	v_cmp_ne_u32_e64 s[10:11], s10, v27
	v_mov_b32_e32 v31, 0x7f80
	s_and_saveexec_b64 s[26:27], s[10:11]
	s_cbranch_execz .LBB756_254
; %bb.253:
	v_and_b32_e32 v39, 7, v26
	v_ffbh_u32_e32 v30, v39
	v_min_u32_e32 v41, 32, v30
	v_subrev_u32_e32 v30, 28, v41
	v_lshlrev_b64 v[30:31], v30, v[26:27]
	v_lshrrev_b32_e32 v40, 3, v27
	v_sub_u32_e32 v31, 29, v41
	v_and_b32_e32 v30, 7, v30
	v_cmp_gt_u32_e64 s[10:11], 8, v27
	v_cndmask_b32_e64 v27, v40, v31, s[10:11]
	v_cndmask_b32_e64 v30, v39, v30, s[10:11]
	v_lshlrev_b32_e32 v26, 24, v26
	v_bfrev_b32_e32 v31, 60
	v_lshlrev_b32_e32 v30, 20, v30
	v_and_b32_e32 v26, 0x80000000, v26
	v_lshl_add_u32 v27, v27, 23, v31
	v_or3_b32 v26, v26, v27, v30
	v_lshrrev_b32_e32 v31, 16, v26
.LBB756_254:
	s_or_b64 exec, exec, s[26:27]
.LBB756_255:
	s_or_b64 exec, exec, s[24:25]
.LBB756_256:
	s_or_b64 exec, exec, s[12:13]
	s_mov_b32 s10, 0x5040100
	v_perm_b32 v27, v36, v35, s10
	v_perm_b32 v26, v33, v34, s10
	;; [unrolled: 1-line block ×4, first 2 shown]
	v_mfma_f32_4x4x4bf16_1k a[0:3], v[2:3], v[26:27], a[0:3] cbsz:4 abid:4
	v_mov_b32_e32 v32, 0
	v_mfma_f32_4x4x4bf16_1k a[0:3], v[4:5], v[30:31], a[0:3] cbsz:4 abid:4
	v_mov_b32_e32 v31, 0
	v_cmp_ne_u16_sdwa s[10:11], v28, v31 src0_sel:BYTE_0 src1_sel:DWORD
	s_and_saveexec_b64 s[12:13], s[10:11]
	s_cbranch_execz .LBB756_262
; %bb.257:
	s_movk_i32 s10, 0x80
	v_cmp_ne_u16_sdwa s[10:11], v28, s10 src0_sel:BYTE_0 src1_sel:DWORD
	v_mov_b32_e32 v32, 0xffff8000
	s_and_saveexec_b64 s[24:25], s[10:11]
	s_cbranch_execz .LBB756_261
; %bb.258:
	s_movk_i32 s10, 0x7f
	v_and_b32_e32 v26, 0x7f, v28
	v_cmp_ne_u32_e64 s[10:11], s10, v26
	v_mov_b32_e32 v32, 0x7f80
	s_and_saveexec_b64 s[26:27], s[10:11]
	s_cbranch_execz .LBB756_260
; %bb.259:
	v_and_b32_e32 v27, 7, v28
	v_ffbh_u32_e32 v27, v27
	v_min_u32_e32 v27, 32, v27
	v_subrev_u32_e32 v32, 28, v27
	v_cmp_gt_u32_e64 s[10:11], 8, v26
	v_lshrrev_b32_e32 v30, 3, v26
	v_sub_u32_e32 v27, 29, v27
	v_cndmask_b32_e64 v26, 0, v32, s[10:11]
	v_cndmask_b32_e64 v30, v30, v27, s[10:11]
	v_lshlrev_b64 v[26:27], v26, v[28:29]
	v_lshlrev_b32_e32 v26, 20, v26
	v_lshlrev_b32_e32 v27, 24, v28
	v_bfrev_b32_e32 v32, 60
	v_and_b32_e32 v26, 0x700000, v26
	v_and_b32_e32 v27, 0x80000000, v27
	v_lshl_add_u32 v30, v30, 23, v32
	v_or3_b32 v26, v27, v30, v26
	v_lshrrev_b32_e32 v32, 16, v26
.LBB756_260:
	s_or_b64 exec, exec, s[26:27]
.LBB756_261:
	s_or_b64 exec, exec, s[24:25]
.LBB756_262:
	s_or_b64 exec, exec, s[12:13]
	v_lshrrev_b16_e32 v26, 8, v28
	v_cmp_ne_u16_e64 s[10:11], 0, v26
	s_and_saveexec_b64 s[12:13], s[10:11]
	s_cbranch_execz .LBB756_268
; %bb.263:
	s_movk_i32 s10, 0x80
	v_cmp_ne_u16_e64 s[10:11], s10, v26
	v_mov_b32_e32 v31, 0xffff8000
	s_and_saveexec_b64 s[24:25], s[10:11]
	s_cbranch_execz .LBB756_267
; %bb.264:
	s_movk_i32 s10, 0x7f
	v_and_b32_e32 v27, 0x7f, v26
	v_cmp_ne_u32_e64 s[10:11], s10, v27
	v_mov_b32_e32 v31, 0x7f80
	s_and_saveexec_b64 s[26:27], s[10:11]
	s_cbranch_execz .LBB756_266
; %bb.265:
	v_and_b32_e32 v33, 7, v26
	v_ffbh_u32_e32 v30, v33
	v_min_u32_e32 v35, 32, v30
	v_subrev_u32_e32 v30, 28, v35
	v_lshlrev_b64 v[30:31], v30, v[26:27]
	v_lshrrev_b32_e32 v34, 3, v27
	v_sub_u32_e32 v26, 29, v35
	v_and_b32_e32 v30, 7, v30
	v_cmp_gt_u32_e64 s[10:11], 8, v27
	v_cndmask_b32_e64 v26, v34, v26, s[10:11]
	v_cndmask_b32_e64 v27, v33, v30, s[10:11]
	v_lshlrev_b32_e32 v30, 16, v28
	v_bfrev_b32_e32 v31, 60
	v_lshlrev_b32_e32 v27, 20, v27
	v_and_b32_e32 v30, 0x80000000, v30
	v_lshl_add_u32 v26, v26, 23, v31
	v_or3_b32 v26, v30, v26, v27
	v_lshrrev_b32_e32 v31, 16, v26
.LBB756_266:
	s_or_b64 exec, exec, s[26:27]
.LBB756_267:
	s_or_b64 exec, exec, s[24:25]
.LBB756_268:
	s_or_b64 exec, exec, s[12:13]
	s_movk_i32 s10, 0xff
	v_and_b32_sdwa v30, v28, s10 dst_sel:DWORD dst_unused:UNUSED_PAD src0_sel:WORD_1 src1_sel:DWORD
	v_lshrrev_b32_e32 v26, 16, v28
	v_cmp_ne_u16_e64 s[10:11], 0, v30
	v_mov_b32_e32 v27, 0
	v_mov_b32_e32 v33, 0
	s_and_saveexec_b64 s[12:13], s[10:11]
	s_cbranch_execz .LBB756_274
; %bb.269:
	s_movk_i32 s10, 0x80
	v_cmp_ne_u16_e64 s[10:11], s10, v30
	v_mov_b32_e32 v33, 0xffff8000
	s_and_saveexec_b64 s[24:25], s[10:11]
	s_cbranch_execz .LBB756_273
; %bb.270:
	v_bfe_u32 v30, v28, 16, 7
	s_movk_i32 s10, 0x7f
	v_cmp_ne_u32_e64 s[10:11], s10, v30
	v_mov_b32_e32 v33, 0x7f80
	s_and_saveexec_b64 s[26:27], s[10:11]
	s_cbranch_execz .LBB756_272
; %bb.271:
	v_and_b32_e32 v33, 7, v26
	v_ffbh_u32_e32 v34, v33
	v_min_u32_e32 v37, 32, v34
	v_subrev_u32_e32 v34, 28, v37
	v_lshlrev_b64 v[34:35], v34, v[26:27]
	v_and_b32_e32 v34, 7, v34
	v_cmp_gt_u32_e64 s[10:11], 8, v30
	v_lshrrev_b32_e32 v36, 3, v30
	v_sub_u32_e32 v26, 29, v37
	v_cndmask_b32_e64 v30, v33, v34, s[10:11]
	v_mov_b32_e32 v33, 24
	v_cndmask_b32_e64 v26, v36, v26, s[10:11]
	v_lshlrev_b32_sdwa v33, v33, v28 dst_sel:DWORD dst_unused:UNUSED_PAD src0_sel:DWORD src1_sel:WORD_1
	v_bfrev_b32_e32 v34, 60
	v_lshlrev_b32_e32 v30, 20, v30
	v_and_b32_e32 v33, 0x80000000, v33
	v_lshl_add_u32 v26, v26, 23, v34
	v_or3_b32 v26, v33, v26, v30
	v_lshrrev_b32_e32 v33, 16, v26
.LBB756_272:
	s_or_b64 exec, exec, s[26:27]
.LBB756_273:
	s_or_b64 exec, exec, s[24:25]
.LBB756_274:
	s_or_b64 exec, exec, s[12:13]
	s_mov_b32 s10, 0xffffff
	v_cmp_lt_u32_e64 s[10:11], s10, v28
	v_mov_b32_e32 v34, 0
	s_and_saveexec_b64 s[12:13], s[10:11]
	s_cbranch_execz .LBB756_280
; %bb.275:
	v_lshrrev_b32_e32 v26, 24, v28
	s_movk_i32 s10, 0x80
	v_cmp_ne_u32_e64 s[10:11], s10, v26
	v_mov_b32_e32 v34, 0xffff8000
	s_and_saveexec_b64 s[24:25], s[10:11]
	s_cbranch_execz .LBB756_279
; %bb.276:
	v_bfe_u32 v30, v28, 24, 7
	s_movk_i32 s10, 0x7f
	v_cmp_ne_u32_e64 s[10:11], s10, v30
	v_mov_b32_e32 v34, 0x7f80
	s_and_saveexec_b64 s[26:27], s[10:11]
	s_cbranch_execz .LBB756_278
; %bb.277:
	v_and_b32_e32 v36, 7, v26
	v_ffbh_u32_e32 v34, v36
	v_min_u32_e32 v38, 32, v34
	v_subrev_u32_e32 v34, 28, v38
	v_lshlrev_b64 v[34:35], v34, v[26:27]
	v_lshrrev_b32_e32 v37, 3, v30
	v_sub_u32_e32 v35, 29, v38
	v_and_b32_e32 v34, 7, v34
	v_cmp_gt_u32_e64 s[10:11], 8, v30
	v_cndmask_b32_e64 v30, v37, v35, s[10:11]
	v_cndmask_b32_e64 v34, v36, v34, s[10:11]
	v_lshlrev_b32_e32 v26, 24, v26
	v_bfrev_b32_e32 v35, 60
	v_lshlrev_b32_e32 v34, 20, v34
	v_and_b32_e32 v26, 0x80000000, v26
	v_lshl_add_u32 v30, v30, 23, v35
	v_or3_b32 v26, v26, v30, v34
	v_lshrrev_b32_e32 v34, 16, v26
.LBB756_278:
	s_or_b64 exec, exec, s[26:27]
.LBB756_279:
	s_or_b64 exec, exec, s[24:25]
.LBB756_280:
	s_or_b64 exec, exec, s[12:13]
	v_mov_b32_e32 v35, 0
	v_mov_b32_e32 v26, v29
	v_cmp_ne_u16_sdwa s[10:11], v29, v35 src0_sel:BYTE_0 src1_sel:DWORD
	v_mov_b32_e32 v36, 0
	s_and_saveexec_b64 s[12:13], s[10:11]
	s_cbranch_execz .LBB756_286
; %bb.281:
	s_movk_i32 s10, 0x80
	v_cmp_ne_u16_sdwa s[10:11], v29, s10 src0_sel:BYTE_0 src1_sel:DWORD
	v_mov_b32_e32 v36, 0xffff8000
	s_and_saveexec_b64 s[24:25], s[10:11]
	s_cbranch_execz .LBB756_285
; %bb.282:
	s_movk_i32 s10, 0x7f
	v_and_b32_e32 v30, 0x7f, v29
	v_cmp_ne_u32_e64 s[10:11], s10, v30
	v_mov_b32_e32 v36, 0x7f80
	s_and_saveexec_b64 s[26:27], s[10:11]
	s_cbranch_execz .LBB756_284
; %bb.283:
	v_and_b32_e32 v36, 7, v29
	v_ffbh_u32_e32 v36, v36
	v_min_u32_e32 v36, 32, v36
	v_lshrrev_b32_e32 v37, 3, v30
	v_subrev_u32_e32 v38, 28, v36
	v_sub_u32_e32 v36, 29, v36
	v_cmp_gt_u32_e64 s[10:11], 8, v30
	v_cndmask_b32_e64 v30, v37, v36, s[10:11]
	v_cndmask_b32_e64 v36, 0, v38, s[10:11]
	v_lshlrev_b64 v[36:37], v36, v[26:27]
	v_lshlrev_b32_e32 v27, 20, v36
	v_lshlrev_b32_e32 v36, 24, v26
	v_bfrev_b32_e32 v37, 60
	v_and_b32_e32 v27, 0x700000, v27
	v_and_b32_e32 v36, 0x80000000, v36
	v_lshl_add_u32 v30, v30, 23, v37
	v_or3_b32 v27, v36, v30, v27
	v_lshrrev_b32_e32 v36, 16, v27
.LBB756_284:
	s_or_b64 exec, exec, s[26:27]
.LBB756_285:
	s_or_b64 exec, exec, s[24:25]
.LBB756_286:
	s_or_b64 exec, exec, s[12:13]
	v_lshrrev_b16_e32 v30, 8, v26
	v_cmp_ne_u16_e64 s[10:11], 0, v30
	s_and_saveexec_b64 s[12:13], s[10:11]
	s_cbranch_execz .LBB756_292
; %bb.287:
	s_movk_i32 s10, 0x80
	v_cmp_ne_u16_e64 s[10:11], s10, v30
	v_mov_b32_e32 v35, 0xffff8000
	s_and_saveexec_b64 s[24:25], s[10:11]
	s_cbranch_execz .LBB756_291
; %bb.288:
	s_movk_i32 s10, 0x7f
	v_and_b32_e32 v27, 0x7f, v30
	v_cmp_ne_u32_e64 s[10:11], s10, v27
	v_mov_b32_e32 v35, 0x7f80
	s_and_saveexec_b64 s[26:27], s[10:11]
	s_cbranch_execz .LBB756_290
; %bb.289:
	v_and_b32_e32 v35, 7, v30
	v_ffbh_u32_e32 v38, v35
	v_min_u32_e32 v40, 32, v38
	v_subrev_u32_e32 v38, 28, v40
	v_lshlrev_b64 v[38:39], v38, v[30:31]
	v_lshrrev_b32_e32 v37, 3, v27
	v_sub_u32_e32 v30, 29, v40
	v_and_b32_e32 v38, 7, v38
	v_cmp_gt_u32_e64 s[10:11], 8, v27
	v_cndmask_b32_e64 v27, v37, v30, s[10:11]
	v_cndmask_b32_e64 v30, v35, v38, s[10:11]
	v_lshlrev_b32_e32 v26, 16, v26
	v_bfrev_b32_e32 v35, 60
	v_lshlrev_b32_e32 v30, 20, v30
	v_and_b32_e32 v26, 0x80000000, v26
	v_lshl_add_u32 v27, v27, 23, v35
	v_or3_b32 v26, v26, v27, v30
	v_lshrrev_b32_e32 v35, 16, v26
.LBB756_290:
	s_or_b64 exec, exec, s[26:27]
.LBB756_291:
	s_or_b64 exec, exec, s[24:25]
.LBB756_292:
	s_or_b64 exec, exec, s[12:13]
	s_movk_i32 s10, 0xff
	v_and_b32_sdwa v37, v29, s10 dst_sel:DWORD dst_unused:UNUSED_PAD src0_sel:WORD_1 src1_sel:DWORD
	v_lshrrev_b32_e32 v26, 16, v29
	v_cmp_ne_u16_e64 s[10:11], 0, v37
	v_mov_b32_e32 v27, 0
	v_mov_b32_e32 v30, 0
	s_and_saveexec_b64 s[12:13], s[10:11]
	s_cbranch_execz .LBB756_298
; %bb.293:
	s_movk_i32 s10, 0x80
	v_cmp_ne_u16_e64 s[10:11], s10, v37
	v_mov_b32_e32 v30, 0xffff8000
	s_and_saveexec_b64 s[24:25], s[10:11]
	s_cbranch_execz .LBB756_297
; %bb.294:
	v_bfe_u32 v37, v29, 16, 7
	s_movk_i32 s10, 0x7f
	v_cmp_ne_u32_e64 s[10:11], s10, v37
	v_mov_b32_e32 v30, 0x7f80
	s_and_saveexec_b64 s[26:27], s[10:11]
	s_cbranch_execz .LBB756_296
; %bb.295:
	v_and_b32_e32 v30, 7, v26
	v_ffbh_u32_e32 v38, v30
	v_min_u32_e32 v41, 32, v38
	v_subrev_u32_e32 v38, 28, v41
	v_lshlrev_b64 v[38:39], v38, v[26:27]
	v_lshrrev_b32_e32 v40, 3, v37
	v_sub_u32_e32 v26, 29, v41
	v_and_b32_e32 v38, 7, v38
	v_cmp_gt_u32_e64 s[10:11], 8, v37
	v_mov_b32_e32 v37, 24
	v_cndmask_b32_e64 v26, v40, v26, s[10:11]
	v_cndmask_b32_e64 v30, v30, v38, s[10:11]
	v_lshlrev_b32_sdwa v37, v37, v29 dst_sel:DWORD dst_unused:UNUSED_PAD src0_sel:DWORD src1_sel:WORD_1
	v_bfrev_b32_e32 v38, 60
	v_lshlrev_b32_e32 v30, 20, v30
	v_and_b32_e32 v37, 0x80000000, v37
	v_lshl_add_u32 v26, v26, 23, v38
	v_or3_b32 v26, v37, v26, v30
	v_lshrrev_b32_e32 v30, 16, v26
.LBB756_296:
	s_or_b64 exec, exec, s[26:27]
.LBB756_297:
	s_or_b64 exec, exec, s[24:25]
.LBB756_298:
	s_or_b64 exec, exec, s[12:13]
	s_mov_b32 s10, -1
	s_mov_b32 s11, 0xffffff
	v_cmp_lt_u64_e64 s[10:11], s[10:11], v[28:29]
	s_and_saveexec_b64 s[12:13], s[10:11]
	s_cbranch_execz .LBB756_304
; %bb.299:
	v_lshrrev_b32_e32 v26, 24, v29
	s_movk_i32 s10, 0x80
	v_cmp_ne_u32_e64 s[10:11], s10, v26
	v_mov_b32_e32 v27, 0xffff8000
	s_and_saveexec_b64 s[24:25], s[10:11]
	s_cbranch_execz .LBB756_303
; %bb.300:
	v_bfe_u32 v28, v29, 24, 7
	s_movk_i32 s10, 0x7f
	v_cmp_ne_u32_e64 s[10:11], s10, v28
	v_mov_b32_e32 v27, 0x7f80
	s_and_saveexec_b64 s[26:27], s[10:11]
	s_cbranch_execz .LBB756_302
; %bb.301:
	v_and_b32_e32 v27, 7, v26
	v_ffbh_u32_e32 v37, v27
	v_min_u32_e32 v37, 32, v37
	v_subrev_u32_e32 v38, 28, v37
	v_lshlrev_b64 v[38:39], v38, v[26:27]
	v_lshrrev_b32_e32 v29, 3, v28
	v_sub_u32_e32 v37, 29, v37
	v_and_b32_e32 v38, 7, v38
	v_cmp_gt_u32_e64 s[10:11], 8, v28
	v_cndmask_b32_e64 v28, v29, v37, s[10:11]
	v_cndmask_b32_e64 v27, v27, v38, s[10:11]
	v_lshlrev_b32_e32 v26, 24, v26
	v_bfrev_b32_e32 v29, 60
	v_lshlrev_b32_e32 v27, 20, v27
	v_and_b32_e32 v26, 0x80000000, v26
	v_lshl_add_u32 v28, v28, 23, v29
	v_or3_b32 v26, v26, v28, v27
	v_lshrrev_b32_e32 v27, 16, v26
.LBB756_302:
	s_or_b64 exec, exec, s[26:27]
.LBB756_303:
	s_or_b64 exec, exec, s[24:25]
.LBB756_304:
	s_or_b64 exec, exec, s[12:13]
	s_mov_b32 s10, 0x5040100
	v_perm_b32 v29, v34, v33, s10
	v_perm_b32 v28, v31, v32, s10
	;; [unrolled: 1-line block ×4, first 2 shown]
	v_mfma_f32_4x4x4bf16_1k a[0:3], v[2:3], v[28:29], a[0:3] cbsz:4 abid:5
	v_mov_b32_e32 v29, 0
	v_mfma_f32_4x4x4bf16_1k a[0:3], v[4:5], v[26:27], a[0:3] cbsz:4 abid:5
	v_cmp_ne_u16_sdwa s[10:11], v22, v29 src0_sel:BYTE_0 src1_sel:DWORD
	v_mov_b32_e32 v30, 0
	s_and_saveexec_b64 s[12:13], s[10:11]
	s_cbranch_execz .LBB756_310
; %bb.305:
	s_movk_i32 s10, 0x80
	v_cmp_ne_u16_sdwa s[10:11], v22, s10 src0_sel:BYTE_0 src1_sel:DWORD
	v_mov_b32_e32 v30, 0xffff8000
	s_and_saveexec_b64 s[24:25], s[10:11]
	s_cbranch_execz .LBB756_309
; %bb.306:
	s_movk_i32 s10, 0x7f
	v_and_b32_e32 v26, 0x7f, v22
	v_cmp_ne_u32_e64 s[10:11], s10, v26
	v_mov_b32_e32 v30, 0x7f80
	s_and_saveexec_b64 s[26:27], s[10:11]
	s_cbranch_execz .LBB756_308
; %bb.307:
	v_and_b32_e32 v27, 7, v22
	v_ffbh_u32_e32 v27, v27
	v_min_u32_e32 v27, 32, v27
	v_subrev_u32_e32 v30, 28, v27
	v_cmp_gt_u32_e64 s[10:11], 8, v26
	v_lshrrev_b32_e32 v28, 3, v26
	v_sub_u32_e32 v27, 29, v27
	v_cndmask_b32_e64 v26, 0, v30, s[10:11]
	v_cndmask_b32_e64 v28, v28, v27, s[10:11]
	v_lshlrev_b64 v[26:27], v26, v[22:23]
	v_lshlrev_b32_e32 v26, 20, v26
	v_lshlrev_b32_e32 v27, 24, v22
	v_bfrev_b32_e32 v30, 60
	v_and_b32_e32 v26, 0x700000, v26
	v_and_b32_e32 v27, 0x80000000, v27
	v_lshl_add_u32 v28, v28, 23, v30
	v_or3_b32 v26, v27, v28, v26
	v_lshrrev_b32_e32 v30, 16, v26
.LBB756_308:
	s_or_b64 exec, exec, s[26:27]
.LBB756_309:
	s_or_b64 exec, exec, s[24:25]
.LBB756_310:
	s_or_b64 exec, exec, s[12:13]
	v_lshrrev_b16_e32 v26, 8, v22
	v_cmp_ne_u16_e64 s[10:11], 0, v26
	s_and_saveexec_b64 s[12:13], s[10:11]
	s_cbranch_execz .LBB756_316
; %bb.311:
	s_movk_i32 s10, 0x80
	v_cmp_ne_u16_e64 s[10:11], s10, v26
	v_mov_b32_e32 v29, 0xffff8000
	s_and_saveexec_b64 s[24:25], s[10:11]
	s_cbranch_execz .LBB756_315
; %bb.312:
	s_movk_i32 s10, 0x7f
	v_and_b32_e32 v27, 0x7f, v26
	v_cmp_ne_u32_e64 s[10:11], s10, v27
	v_mov_b32_e32 v29, 0x7f80
	s_and_saveexec_b64 s[26:27], s[10:11]
	s_cbranch_execz .LBB756_314
; %bb.313:
	v_and_b32_e32 v31, 7, v26
	v_ffbh_u32_e32 v28, v31
	v_min_u32_e32 v33, 32, v28
	v_subrev_u32_e32 v28, 28, v33
	v_lshlrev_b64 v[28:29], v28, v[26:27]
	v_lshrrev_b32_e32 v32, 3, v27
	v_sub_u32_e32 v26, 29, v33
	v_and_b32_e32 v28, 7, v28
	v_cmp_gt_u32_e64 s[10:11], 8, v27
	v_cndmask_b32_e64 v26, v32, v26, s[10:11]
	v_cndmask_b32_e64 v27, v31, v28, s[10:11]
	v_lshlrev_b32_e32 v28, 16, v22
	v_bfrev_b32_e32 v29, 60
	v_lshlrev_b32_e32 v27, 20, v27
	v_and_b32_e32 v28, 0x80000000, v28
	v_lshl_add_u32 v26, v26, 23, v29
	v_or3_b32 v26, v28, v26, v27
	v_lshrrev_b32_e32 v29, 16, v26
.LBB756_314:
	s_or_b64 exec, exec, s[26:27]
.LBB756_315:
	s_or_b64 exec, exec, s[24:25]
.LBB756_316:
	s_or_b64 exec, exec, s[12:13]
	s_movk_i32 s10, 0xff
	v_and_b32_sdwa v28, v22, s10 dst_sel:DWORD dst_unused:UNUSED_PAD src0_sel:WORD_1 src1_sel:DWORD
	v_lshrrev_b32_e32 v26, 16, v22
	v_cmp_ne_u16_e64 s[10:11], 0, v28
	v_mov_b32_e32 v27, 0
	v_mov_b32_e32 v31, 0
	s_and_saveexec_b64 s[12:13], s[10:11]
	s_cbranch_execz .LBB756_322
; %bb.317:
	s_movk_i32 s10, 0x80
	v_cmp_ne_u16_e64 s[10:11], s10, v28
	v_mov_b32_e32 v31, 0xffff8000
	s_and_saveexec_b64 s[24:25], s[10:11]
	s_cbranch_execz .LBB756_321
; %bb.318:
	v_bfe_u32 v28, v22, 16, 7
	s_movk_i32 s10, 0x7f
	v_cmp_ne_u32_e64 s[10:11], s10, v28
	v_mov_b32_e32 v31, 0x7f80
	s_and_saveexec_b64 s[26:27], s[10:11]
	s_cbranch_execz .LBB756_320
; %bb.319:
	v_and_b32_e32 v31, 7, v26
	v_ffbh_u32_e32 v32, v31
	v_min_u32_e32 v35, 32, v32
	v_subrev_u32_e32 v32, 28, v35
	v_lshlrev_b64 v[32:33], v32, v[26:27]
	v_and_b32_e32 v32, 7, v32
	v_cmp_gt_u32_e64 s[10:11], 8, v28
	v_lshrrev_b32_e32 v34, 3, v28
	v_sub_u32_e32 v26, 29, v35
	v_cndmask_b32_e64 v28, v31, v32, s[10:11]
	v_mov_b32_e32 v31, 24
	v_cndmask_b32_e64 v26, v34, v26, s[10:11]
	v_lshlrev_b32_sdwa v31, v31, v22 dst_sel:DWORD dst_unused:UNUSED_PAD src0_sel:DWORD src1_sel:WORD_1
	v_bfrev_b32_e32 v32, 60
	v_lshlrev_b32_e32 v28, 20, v28
	v_and_b32_e32 v31, 0x80000000, v31
	v_lshl_add_u32 v26, v26, 23, v32
	v_or3_b32 v26, v31, v26, v28
	v_lshrrev_b32_e32 v31, 16, v26
.LBB756_320:
	s_or_b64 exec, exec, s[26:27]
.LBB756_321:
	s_or_b64 exec, exec, s[24:25]
.LBB756_322:
	s_or_b64 exec, exec, s[12:13]
	s_mov_b32 s10, 0xffffff
	v_cmp_lt_u32_e64 s[10:11], s10, v22
	v_mov_b32_e32 v32, 0
	s_and_saveexec_b64 s[12:13], s[10:11]
	s_cbranch_execz .LBB756_328
; %bb.323:
	v_lshrrev_b32_e32 v26, 24, v22
	s_movk_i32 s10, 0x80
	v_cmp_ne_u32_e64 s[10:11], s10, v26
	v_mov_b32_e32 v32, 0xffff8000
	s_and_saveexec_b64 s[24:25], s[10:11]
	s_cbranch_execz .LBB756_327
; %bb.324:
	v_bfe_u32 v28, v22, 24, 7
	s_movk_i32 s10, 0x7f
	v_cmp_ne_u32_e64 s[10:11], s10, v28
	v_mov_b32_e32 v32, 0x7f80
	s_and_saveexec_b64 s[26:27], s[10:11]
	s_cbranch_execz .LBB756_326
; %bb.325:
	v_and_b32_e32 v34, 7, v26
	v_ffbh_u32_e32 v32, v34
	v_min_u32_e32 v36, 32, v32
	v_subrev_u32_e32 v32, 28, v36
	v_lshlrev_b64 v[32:33], v32, v[26:27]
	v_lshrrev_b32_e32 v35, 3, v28
	v_sub_u32_e32 v33, 29, v36
	v_and_b32_e32 v32, 7, v32
	v_cmp_gt_u32_e64 s[10:11], 8, v28
	v_cndmask_b32_e64 v28, v35, v33, s[10:11]
	v_cndmask_b32_e64 v32, v34, v32, s[10:11]
	v_lshlrev_b32_e32 v26, 24, v26
	v_bfrev_b32_e32 v33, 60
	v_lshlrev_b32_e32 v32, 20, v32
	v_and_b32_e32 v26, 0x80000000, v26
	v_lshl_add_u32 v28, v28, 23, v33
	v_or3_b32 v26, v26, v28, v32
	v_lshrrev_b32_e32 v32, 16, v26
.LBB756_326:
	s_or_b64 exec, exec, s[26:27]
.LBB756_327:
	s_or_b64 exec, exec, s[24:25]
.LBB756_328:
	s_or_b64 exec, exec, s[12:13]
	v_mov_b32_e32 v33, 0
	v_mov_b32_e32 v26, v23
	v_cmp_ne_u16_sdwa s[10:11], v23, v33 src0_sel:BYTE_0 src1_sel:DWORD
	v_mov_b32_e32 v34, 0
	s_and_saveexec_b64 s[12:13], s[10:11]
	s_cbranch_execz .LBB756_334
; %bb.329:
	s_movk_i32 s10, 0x80
	v_cmp_ne_u16_sdwa s[10:11], v23, s10 src0_sel:BYTE_0 src1_sel:DWORD
	v_mov_b32_e32 v34, 0xffff8000
	s_and_saveexec_b64 s[24:25], s[10:11]
	s_cbranch_execz .LBB756_333
; %bb.330:
	s_movk_i32 s10, 0x7f
	v_and_b32_e32 v28, 0x7f, v23
	v_cmp_ne_u32_e64 s[10:11], s10, v28
	v_mov_b32_e32 v34, 0x7f80
	s_and_saveexec_b64 s[26:27], s[10:11]
	s_cbranch_execz .LBB756_332
; %bb.331:
	v_and_b32_e32 v34, 7, v23
	v_ffbh_u32_e32 v34, v34
	v_min_u32_e32 v34, 32, v34
	v_lshrrev_b32_e32 v35, 3, v28
	v_subrev_u32_e32 v36, 28, v34
	v_sub_u32_e32 v34, 29, v34
	v_cmp_gt_u32_e64 s[10:11], 8, v28
	v_cndmask_b32_e64 v28, v35, v34, s[10:11]
	v_cndmask_b32_e64 v34, 0, v36, s[10:11]
	v_lshlrev_b64 v[34:35], v34, v[26:27]
	v_lshlrev_b32_e32 v27, 20, v34
	v_lshlrev_b32_e32 v34, 24, v26
	v_bfrev_b32_e32 v35, 60
	v_and_b32_e32 v27, 0x700000, v27
	v_and_b32_e32 v34, 0x80000000, v34
	v_lshl_add_u32 v28, v28, 23, v35
	v_or3_b32 v27, v34, v28, v27
	v_lshrrev_b32_e32 v34, 16, v27
.LBB756_332:
	s_or_b64 exec, exec, s[26:27]
.LBB756_333:
	s_or_b64 exec, exec, s[24:25]
.LBB756_334:
	s_or_b64 exec, exec, s[12:13]
	v_lshrrev_b16_e32 v28, 8, v26
	v_cmp_ne_u16_e64 s[10:11], 0, v28
	s_and_saveexec_b64 s[12:13], s[10:11]
	s_cbranch_execz .LBB756_340
; %bb.335:
	s_movk_i32 s10, 0x80
	v_cmp_ne_u16_e64 s[10:11], s10, v28
	v_mov_b32_e32 v33, 0xffff8000
	s_and_saveexec_b64 s[24:25], s[10:11]
	s_cbranch_execz .LBB756_339
; %bb.336:
	s_movk_i32 s10, 0x7f
	v_and_b32_e32 v27, 0x7f, v28
	v_cmp_ne_u32_e64 s[10:11], s10, v27
	v_mov_b32_e32 v33, 0x7f80
	s_and_saveexec_b64 s[26:27], s[10:11]
	s_cbranch_execz .LBB756_338
; %bb.337:
	v_and_b32_e32 v33, 7, v28
	v_ffbh_u32_e32 v36, v33
	v_min_u32_e32 v38, 32, v36
	v_subrev_u32_e32 v36, 28, v38
	v_lshlrev_b64 v[36:37], v36, v[28:29]
	v_lshrrev_b32_e32 v35, 3, v27
	v_sub_u32_e32 v28, 29, v38
	v_and_b32_e32 v36, 7, v36
	v_cmp_gt_u32_e64 s[10:11], 8, v27
	v_cndmask_b32_e64 v27, v35, v28, s[10:11]
	v_cndmask_b32_e64 v28, v33, v36, s[10:11]
	v_lshlrev_b32_e32 v26, 16, v26
	v_bfrev_b32_e32 v33, 60
	v_lshlrev_b32_e32 v28, 20, v28
	v_and_b32_e32 v26, 0x80000000, v26
	v_lshl_add_u32 v27, v27, 23, v33
	v_or3_b32 v26, v26, v27, v28
	v_lshrrev_b32_e32 v33, 16, v26
.LBB756_338:
	s_or_b64 exec, exec, s[26:27]
.LBB756_339:
	s_or_b64 exec, exec, s[24:25]
.LBB756_340:
	s_or_b64 exec, exec, s[12:13]
	s_movk_i32 s10, 0xff
	v_and_b32_sdwa v35, v23, s10 dst_sel:DWORD dst_unused:UNUSED_PAD src0_sel:WORD_1 src1_sel:DWORD
	v_lshrrev_b32_e32 v26, 16, v23
	v_cmp_ne_u16_e64 s[10:11], 0, v35
	v_mov_b32_e32 v27, 0
	v_mov_b32_e32 v28, 0
	s_and_saveexec_b64 s[12:13], s[10:11]
	s_cbranch_execz .LBB756_346
; %bb.341:
	s_movk_i32 s10, 0x80
	v_cmp_ne_u16_e64 s[10:11], s10, v35
	v_mov_b32_e32 v28, 0xffff8000
	s_and_saveexec_b64 s[24:25], s[10:11]
	s_cbranch_execz .LBB756_345
; %bb.342:
	v_bfe_u32 v35, v23, 16, 7
	s_movk_i32 s10, 0x7f
	v_cmp_ne_u32_e64 s[10:11], s10, v35
	v_mov_b32_e32 v28, 0x7f80
	s_and_saveexec_b64 s[26:27], s[10:11]
	s_cbranch_execz .LBB756_344
; %bb.343:
	v_and_b32_e32 v28, 7, v26
	v_ffbh_u32_e32 v36, v28
	v_min_u32_e32 v39, 32, v36
	v_subrev_u32_e32 v36, 28, v39
	v_lshlrev_b64 v[36:37], v36, v[26:27]
	v_lshrrev_b32_e32 v38, 3, v35
	v_sub_u32_e32 v26, 29, v39
	v_and_b32_e32 v36, 7, v36
	v_cmp_gt_u32_e64 s[10:11], 8, v35
	v_mov_b32_e32 v35, 24
	v_cndmask_b32_e64 v26, v38, v26, s[10:11]
	v_cndmask_b32_e64 v28, v28, v36, s[10:11]
	v_lshlrev_b32_sdwa v35, v35, v23 dst_sel:DWORD dst_unused:UNUSED_PAD src0_sel:DWORD src1_sel:WORD_1
	v_bfrev_b32_e32 v36, 60
	v_lshlrev_b32_e32 v28, 20, v28
	v_and_b32_e32 v35, 0x80000000, v35
	v_lshl_add_u32 v26, v26, 23, v36
	v_or3_b32 v26, v35, v26, v28
	v_lshrrev_b32_e32 v28, 16, v26
.LBB756_344:
	s_or_b64 exec, exec, s[26:27]
.LBB756_345:
	s_or_b64 exec, exec, s[24:25]
.LBB756_346:
	s_or_b64 exec, exec, s[12:13]
	s_mov_b32 s10, -1
	s_mov_b32 s11, 0xffffff
	v_cmp_lt_u64_e64 s[10:11], s[10:11], v[22:23]
	s_and_saveexec_b64 s[12:13], s[10:11]
	s_cbranch_execz .LBB756_352
; %bb.347:
	v_lshrrev_b32_e32 v22, 24, v23
	s_movk_i32 s10, 0x80
	v_cmp_ne_u32_e64 s[10:11], s10, v22
	v_mov_b32_e32 v27, 0xffff8000
	s_and_saveexec_b64 s[24:25], s[10:11]
	s_cbranch_execz .LBB756_351
; %bb.348:
	v_bfe_u32 v23, v23, 24, 7
	s_movk_i32 s10, 0x7f
	v_cmp_ne_u32_e64 s[10:11], s10, v23
	v_mov_b32_e32 v27, 0x7f80
	s_and_saveexec_b64 s[26:27], s[10:11]
	s_cbranch_execz .LBB756_350
; %bb.349:
	v_and_b32_e32 v35, 7, v22
	v_ffbh_u32_e32 v26, v35
	v_min_u32_e32 v37, 32, v26
	v_subrev_u32_e32 v26, 28, v37
	v_lshlrev_b64 v[26:27], v26, v[22:23]
	v_lshrrev_b32_e32 v36, 3, v23
	v_sub_u32_e32 v27, 29, v37
	v_and_b32_e32 v26, 7, v26
	v_cmp_gt_u32_e64 s[10:11], 8, v23
	v_cndmask_b32_e64 v23, v36, v27, s[10:11]
	v_cndmask_b32_e64 v26, v35, v26, s[10:11]
	v_lshlrev_b32_e32 v22, 24, v22
	v_bfrev_b32_e32 v27, 60
	v_lshlrev_b32_e32 v26, 20, v26
	v_and_b32_e32 v22, 0x80000000, v22
	v_lshl_add_u32 v23, v23, 23, v27
	v_or3_b32 v22, v22, v23, v26
	v_lshrrev_b32_e32 v27, 16, v22
.LBB756_350:
	s_or_b64 exec, exec, s[26:27]
.LBB756_351:
	s_or_b64 exec, exec, s[24:25]
.LBB756_352:
	s_or_b64 exec, exec, s[12:13]
	s_mov_b32 s10, 0x5040100
	v_perm_b32 v23, v32, v31, s10
	v_perm_b32 v22, v29, v30, s10
	;; [unrolled: 1-line block ×4, first 2 shown]
	v_mfma_f32_4x4x4bf16_1k a[0:3], v[2:3], v[22:23], a[0:3] cbsz:4 abid:6
	v_mov_b32_e32 v28, 0
	v_mfma_f32_4x4x4bf16_1k a[0:3], v[4:5], v[26:27], a[0:3] cbsz:4 abid:6
	v_mov_b32_e32 v27, 0
	v_cmp_ne_u16_sdwa s[10:11], v24, v27 src0_sel:BYTE_0 src1_sel:DWORD
	s_and_saveexec_b64 s[12:13], s[10:11]
	s_cbranch_execz .LBB756_358
; %bb.353:
	s_movk_i32 s10, 0x80
	v_cmp_ne_u16_sdwa s[10:11], v24, s10 src0_sel:BYTE_0 src1_sel:DWORD
	v_mov_b32_e32 v28, 0xffff8000
	s_and_saveexec_b64 s[24:25], s[10:11]
	s_cbranch_execz .LBB756_357
; %bb.354:
	s_movk_i32 s10, 0x7f
	v_and_b32_e32 v22, 0x7f, v24
	v_cmp_ne_u32_e64 s[10:11], s10, v22
	v_mov_b32_e32 v28, 0x7f80
	s_and_saveexec_b64 s[26:27], s[10:11]
	s_cbranch_execz .LBB756_356
; %bb.355:
	v_and_b32_e32 v23, 7, v24
	v_ffbh_u32_e32 v23, v23
	v_min_u32_e32 v23, 32, v23
	v_subrev_u32_e32 v28, 28, v23
	v_cmp_gt_u32_e64 s[10:11], 8, v22
	v_lshrrev_b32_e32 v26, 3, v22
	v_sub_u32_e32 v23, 29, v23
	v_cndmask_b32_e64 v22, 0, v28, s[10:11]
	v_cndmask_b32_e64 v26, v26, v23, s[10:11]
	v_lshlrev_b64 v[22:23], v22, v[24:25]
	v_lshlrev_b32_e32 v22, 20, v22
	v_lshlrev_b32_e32 v23, 24, v24
	v_bfrev_b32_e32 v28, 60
	v_and_b32_e32 v22, 0x700000, v22
	v_and_b32_e32 v23, 0x80000000, v23
	v_lshl_add_u32 v26, v26, 23, v28
	v_or3_b32 v22, v23, v26, v22
	v_lshrrev_b32_e32 v28, 16, v22
.LBB756_356:
	s_or_b64 exec, exec, s[26:27]
.LBB756_357:
	s_or_b64 exec, exec, s[24:25]
.LBB756_358:
	s_or_b64 exec, exec, s[12:13]
	v_lshrrev_b16_e32 v22, 8, v24
	v_cmp_ne_u16_e64 s[10:11], 0, v22
	s_and_saveexec_b64 s[12:13], s[10:11]
	s_cbranch_execz .LBB756_364
; %bb.359:
	s_movk_i32 s10, 0x80
	v_cmp_ne_u16_e64 s[10:11], s10, v22
	v_mov_b32_e32 v27, 0xffff8000
	s_and_saveexec_b64 s[24:25], s[10:11]
	s_cbranch_execz .LBB756_363
; %bb.360:
	s_movk_i32 s10, 0x7f
	v_and_b32_e32 v23, 0x7f, v22
	v_cmp_ne_u32_e64 s[10:11], s10, v23
	v_mov_b32_e32 v27, 0x7f80
	s_and_saveexec_b64 s[26:27], s[10:11]
	s_cbranch_execz .LBB756_362
; %bb.361:
	v_and_b32_e32 v29, 7, v22
	v_ffbh_u32_e32 v26, v29
	v_min_u32_e32 v31, 32, v26
	v_subrev_u32_e32 v26, 28, v31
	v_lshlrev_b64 v[26:27], v26, v[22:23]
	v_lshrrev_b32_e32 v30, 3, v23
	v_sub_u32_e32 v22, 29, v31
	v_and_b32_e32 v26, 7, v26
	v_cmp_gt_u32_e64 s[10:11], 8, v23
	v_cndmask_b32_e64 v22, v30, v22, s[10:11]
	v_cndmask_b32_e64 v23, v29, v26, s[10:11]
	v_lshlrev_b32_e32 v26, 16, v24
	v_bfrev_b32_e32 v27, 60
	v_lshlrev_b32_e32 v23, 20, v23
	v_and_b32_e32 v26, 0x80000000, v26
	v_lshl_add_u32 v22, v22, 23, v27
	v_or3_b32 v22, v26, v22, v23
	v_lshrrev_b32_e32 v27, 16, v22
.LBB756_362:
	s_or_b64 exec, exec, s[26:27]
.LBB756_363:
	s_or_b64 exec, exec, s[24:25]
.LBB756_364:
	s_or_b64 exec, exec, s[12:13]
	s_movk_i32 s10, 0xff
	v_and_b32_sdwa v26, v24, s10 dst_sel:DWORD dst_unused:UNUSED_PAD src0_sel:WORD_1 src1_sel:DWORD
	v_lshrrev_b32_e32 v22, 16, v24
	v_cmp_ne_u16_e64 s[10:11], 0, v26
	v_mov_b32_e32 v23, 0
	v_mov_b32_e32 v29, 0
	s_and_saveexec_b64 s[12:13], s[10:11]
	s_cbranch_execz .LBB756_370
; %bb.365:
	s_movk_i32 s10, 0x80
	v_cmp_ne_u16_e64 s[10:11], s10, v26
	v_mov_b32_e32 v29, 0xffff8000
	s_and_saveexec_b64 s[24:25], s[10:11]
	s_cbranch_execz .LBB756_369
; %bb.366:
	v_bfe_u32 v26, v24, 16, 7
	s_movk_i32 s10, 0x7f
	v_cmp_ne_u32_e64 s[10:11], s10, v26
	v_mov_b32_e32 v29, 0x7f80
	s_and_saveexec_b64 s[26:27], s[10:11]
	s_cbranch_execz .LBB756_368
; %bb.367:
	v_and_b32_e32 v29, 7, v22
	v_ffbh_u32_e32 v30, v29
	v_min_u32_e32 v33, 32, v30
	v_subrev_u32_e32 v30, 28, v33
	v_lshlrev_b64 v[30:31], v30, v[22:23]
	v_and_b32_e32 v30, 7, v30
	v_cmp_gt_u32_e64 s[10:11], 8, v26
	v_lshrrev_b32_e32 v32, 3, v26
	v_sub_u32_e32 v22, 29, v33
	v_cndmask_b32_e64 v26, v29, v30, s[10:11]
	v_mov_b32_e32 v29, 24
	v_cndmask_b32_e64 v22, v32, v22, s[10:11]
	v_lshlrev_b32_sdwa v29, v29, v24 dst_sel:DWORD dst_unused:UNUSED_PAD src0_sel:DWORD src1_sel:WORD_1
	v_bfrev_b32_e32 v30, 60
	v_lshlrev_b32_e32 v26, 20, v26
	v_and_b32_e32 v29, 0x80000000, v29
	v_lshl_add_u32 v22, v22, 23, v30
	v_or3_b32 v22, v29, v22, v26
	v_lshrrev_b32_e32 v29, 16, v22
.LBB756_368:
	s_or_b64 exec, exec, s[26:27]
.LBB756_369:
	s_or_b64 exec, exec, s[24:25]
.LBB756_370:
	s_or_b64 exec, exec, s[12:13]
	s_mov_b32 s10, 0xffffff
	v_cmp_lt_u32_e64 s[10:11], s10, v24
	v_mov_b32_e32 v30, 0
	s_and_saveexec_b64 s[12:13], s[10:11]
	s_cbranch_execz .LBB756_376
; %bb.371:
	v_lshrrev_b32_e32 v22, 24, v24
	s_movk_i32 s10, 0x80
	v_cmp_ne_u32_e64 s[10:11], s10, v22
	v_mov_b32_e32 v30, 0xffff8000
	s_and_saveexec_b64 s[24:25], s[10:11]
	s_cbranch_execz .LBB756_375
; %bb.372:
	v_bfe_u32 v26, v24, 24, 7
	s_movk_i32 s10, 0x7f
	v_cmp_ne_u32_e64 s[10:11], s10, v26
	v_mov_b32_e32 v30, 0x7f80
	s_and_saveexec_b64 s[26:27], s[10:11]
	s_cbranch_execz .LBB756_374
; %bb.373:
	v_and_b32_e32 v32, 7, v22
	v_ffbh_u32_e32 v30, v32
	v_min_u32_e32 v34, 32, v30
	v_subrev_u32_e32 v30, 28, v34
	v_lshlrev_b64 v[30:31], v30, v[22:23]
	v_lshrrev_b32_e32 v33, 3, v26
	v_sub_u32_e32 v31, 29, v34
	v_and_b32_e32 v30, 7, v30
	v_cmp_gt_u32_e64 s[10:11], 8, v26
	v_cndmask_b32_e64 v26, v33, v31, s[10:11]
	v_cndmask_b32_e64 v30, v32, v30, s[10:11]
	v_lshlrev_b32_e32 v22, 24, v22
	v_bfrev_b32_e32 v31, 60
	v_lshlrev_b32_e32 v30, 20, v30
	v_and_b32_e32 v22, 0x80000000, v22
	v_lshl_add_u32 v26, v26, 23, v31
	v_or3_b32 v22, v22, v26, v30
	v_lshrrev_b32_e32 v30, 16, v22
.LBB756_374:
	s_or_b64 exec, exec, s[26:27]
.LBB756_375:
	s_or_b64 exec, exec, s[24:25]
.LBB756_376:
	s_or_b64 exec, exec, s[12:13]
	v_mov_b32_e32 v31, 0
	v_mov_b32_e32 v22, v25
	v_cmp_ne_u16_sdwa s[10:11], v25, v31 src0_sel:BYTE_0 src1_sel:DWORD
	v_mov_b32_e32 v32, 0
	s_and_saveexec_b64 s[12:13], s[10:11]
	s_cbranch_execz .LBB756_382
; %bb.377:
	s_movk_i32 s10, 0x80
	v_cmp_ne_u16_sdwa s[10:11], v25, s10 src0_sel:BYTE_0 src1_sel:DWORD
	v_mov_b32_e32 v32, 0xffff8000
	s_and_saveexec_b64 s[24:25], s[10:11]
	s_cbranch_execz .LBB756_381
; %bb.378:
	s_movk_i32 s10, 0x7f
	v_and_b32_e32 v26, 0x7f, v25
	v_cmp_ne_u32_e64 s[10:11], s10, v26
	v_mov_b32_e32 v32, 0x7f80
	s_and_saveexec_b64 s[26:27], s[10:11]
	s_cbranch_execz .LBB756_380
; %bb.379:
	v_and_b32_e32 v32, 7, v25
	v_ffbh_u32_e32 v32, v32
	v_min_u32_e32 v32, 32, v32
	v_lshrrev_b32_e32 v33, 3, v26
	v_subrev_u32_e32 v34, 28, v32
	v_sub_u32_e32 v32, 29, v32
	v_cmp_gt_u32_e64 s[10:11], 8, v26
	v_cndmask_b32_e64 v26, v33, v32, s[10:11]
	v_cndmask_b32_e64 v32, 0, v34, s[10:11]
	v_lshlrev_b64 v[32:33], v32, v[22:23]
	v_lshlrev_b32_e32 v23, 20, v32
	v_lshlrev_b32_e32 v32, 24, v22
	v_bfrev_b32_e32 v33, 60
	v_and_b32_e32 v23, 0x700000, v23
	v_and_b32_e32 v32, 0x80000000, v32
	v_lshl_add_u32 v26, v26, 23, v33
	v_or3_b32 v23, v32, v26, v23
	v_lshrrev_b32_e32 v32, 16, v23
.LBB756_380:
	s_or_b64 exec, exec, s[26:27]
.LBB756_381:
	s_or_b64 exec, exec, s[24:25]
.LBB756_382:
	s_or_b64 exec, exec, s[12:13]
	v_lshrrev_b16_e32 v26, 8, v22
	v_cmp_ne_u16_e64 s[10:11], 0, v26
	s_and_saveexec_b64 s[12:13], s[10:11]
	s_cbranch_execz .LBB756_388
; %bb.383:
	s_movk_i32 s10, 0x80
	v_cmp_ne_u16_e64 s[10:11], s10, v26
	v_mov_b32_e32 v31, 0xffff8000
	s_and_saveexec_b64 s[24:25], s[10:11]
	s_cbranch_execz .LBB756_387
; %bb.384:
	s_movk_i32 s10, 0x7f
	v_and_b32_e32 v23, 0x7f, v26
	v_cmp_ne_u32_e64 s[10:11], s10, v23
	v_mov_b32_e32 v31, 0x7f80
	s_and_saveexec_b64 s[26:27], s[10:11]
	s_cbranch_execz .LBB756_386
; %bb.385:
	v_and_b32_e32 v31, 7, v26
	v_ffbh_u32_e32 v34, v31
	v_min_u32_e32 v36, 32, v34
	v_subrev_u32_e32 v34, 28, v36
	v_lshlrev_b64 v[34:35], v34, v[26:27]
	v_lshrrev_b32_e32 v33, 3, v23
	v_sub_u32_e32 v26, 29, v36
	v_and_b32_e32 v34, 7, v34
	v_cmp_gt_u32_e64 s[10:11], 8, v23
	v_cndmask_b32_e64 v23, v33, v26, s[10:11]
	v_cndmask_b32_e64 v26, v31, v34, s[10:11]
	v_lshlrev_b32_e32 v22, 16, v22
	v_bfrev_b32_e32 v31, 60
	v_lshlrev_b32_e32 v26, 20, v26
	v_and_b32_e32 v22, 0x80000000, v22
	v_lshl_add_u32 v23, v23, 23, v31
	v_or3_b32 v22, v22, v23, v26
	v_lshrrev_b32_e32 v31, 16, v22
.LBB756_386:
	s_or_b64 exec, exec, s[26:27]
.LBB756_387:
	s_or_b64 exec, exec, s[24:25]
.LBB756_388:
	s_or_b64 exec, exec, s[12:13]
	s_movk_i32 s10, 0xff
	v_and_b32_sdwa v33, v25, s10 dst_sel:DWORD dst_unused:UNUSED_PAD src0_sel:WORD_1 src1_sel:DWORD
	v_lshrrev_b32_e32 v22, 16, v25
	v_cmp_ne_u16_e64 s[10:11], 0, v33
	v_mov_b32_e32 v23, 0
	v_mov_b32_e32 v26, 0
	s_and_saveexec_b64 s[12:13], s[10:11]
	s_cbranch_execz .LBB756_394
; %bb.389:
	s_movk_i32 s10, 0x80
	v_cmp_ne_u16_e64 s[10:11], s10, v33
	v_mov_b32_e32 v26, 0xffff8000
	s_and_saveexec_b64 s[24:25], s[10:11]
	s_cbranch_execz .LBB756_393
; %bb.390:
	v_bfe_u32 v33, v25, 16, 7
	s_movk_i32 s10, 0x7f
	v_cmp_ne_u32_e64 s[10:11], s10, v33
	v_mov_b32_e32 v26, 0x7f80
	s_and_saveexec_b64 s[26:27], s[10:11]
	s_cbranch_execz .LBB756_392
; %bb.391:
	v_and_b32_e32 v26, 7, v22
	v_ffbh_u32_e32 v34, v26
	v_min_u32_e32 v37, 32, v34
	v_subrev_u32_e32 v34, 28, v37
	v_lshlrev_b64 v[34:35], v34, v[22:23]
	v_lshrrev_b32_e32 v36, 3, v33
	v_sub_u32_e32 v22, 29, v37
	v_and_b32_e32 v34, 7, v34
	v_cmp_gt_u32_e64 s[10:11], 8, v33
	v_mov_b32_e32 v33, 24
	v_cndmask_b32_e64 v22, v36, v22, s[10:11]
	v_cndmask_b32_e64 v26, v26, v34, s[10:11]
	v_lshlrev_b32_sdwa v33, v33, v25 dst_sel:DWORD dst_unused:UNUSED_PAD src0_sel:DWORD src1_sel:WORD_1
	v_bfrev_b32_e32 v34, 60
	v_lshlrev_b32_e32 v26, 20, v26
	v_and_b32_e32 v33, 0x80000000, v33
	v_lshl_add_u32 v22, v22, 23, v34
	v_or3_b32 v22, v33, v22, v26
	v_lshrrev_b32_e32 v26, 16, v22
.LBB756_392:
	s_or_b64 exec, exec, s[26:27]
.LBB756_393:
	s_or_b64 exec, exec, s[24:25]
.LBB756_394:
	s_or_b64 exec, exec, s[12:13]
	s_mov_b32 s10, -1
	s_mov_b32 s11, 0xffffff
	v_cmp_lt_u64_e64 s[10:11], s[10:11], v[24:25]
	s_and_saveexec_b64 s[12:13], s[10:11]
	s_cbranch_execz .LBB756_400
; %bb.395:
	v_lshrrev_b32_e32 v22, 24, v25
	s_movk_i32 s10, 0x80
	v_cmp_ne_u32_e64 s[10:11], s10, v22
	v_mov_b32_e32 v23, 0xffff8000
	s_and_saveexec_b64 s[24:25], s[10:11]
	s_cbranch_execz .LBB756_399
; %bb.396:
	v_bfe_u32 v24, v25, 24, 7
	s_movk_i32 s10, 0x7f
	v_cmp_ne_u32_e64 s[10:11], s10, v24
	v_mov_b32_e32 v23, 0x7f80
	s_and_saveexec_b64 s[26:27], s[10:11]
	s_cbranch_execz .LBB756_398
; %bb.397:
	v_and_b32_e32 v23, 7, v22
	v_ffbh_u32_e32 v33, v23
	v_min_u32_e32 v33, 32, v33
	v_subrev_u32_e32 v34, 28, v33
	v_lshlrev_b64 v[34:35], v34, v[22:23]
	v_lshrrev_b32_e32 v25, 3, v24
	v_sub_u32_e32 v33, 29, v33
	v_and_b32_e32 v34, 7, v34
	v_cmp_gt_u32_e64 s[10:11], 8, v24
	v_cndmask_b32_e64 v24, v25, v33, s[10:11]
	v_cndmask_b32_e64 v23, v23, v34, s[10:11]
	v_lshlrev_b32_e32 v22, 24, v22
	v_bfrev_b32_e32 v25, 60
	v_lshlrev_b32_e32 v23, 20, v23
	v_and_b32_e32 v22, 0x80000000, v22
	v_lshl_add_u32 v24, v24, 23, v25
	v_or3_b32 v22, v22, v24, v23
	v_lshrrev_b32_e32 v23, 16, v22
.LBB756_398:
	s_or_b64 exec, exec, s[26:27]
.LBB756_399:
	s_or_b64 exec, exec, s[24:25]
.LBB756_400:
	s_or_b64 exec, exec, s[12:13]
	s_mov_b32 s10, 0x5040100
	v_perm_b32 v25, v30, v29, s10
	v_perm_b32 v24, v27, v28, s10
	;; [unrolled: 1-line block ×4, first 2 shown]
	v_mfma_f32_4x4x4bf16_1k a[0:3], v[2:3], v[24:25], a[0:3] cbsz:4 abid:7
	v_mov_b32_e32 v25, 0
	v_mfma_f32_4x4x4bf16_1k a[0:3], v[4:5], v[22:23], a[0:3] cbsz:4 abid:7
	v_cmp_ne_u16_sdwa s[10:11], v18, v25 src0_sel:BYTE_0 src1_sel:DWORD
	v_mov_b32_e32 v26, 0
	s_and_saveexec_b64 s[12:13], s[10:11]
	s_cbranch_execz .LBB756_406
; %bb.401:
	s_movk_i32 s10, 0x80
	v_cmp_ne_u16_sdwa s[10:11], v18, s10 src0_sel:BYTE_0 src1_sel:DWORD
	v_mov_b32_e32 v26, 0xffff8000
	s_and_saveexec_b64 s[24:25], s[10:11]
	s_cbranch_execz .LBB756_405
; %bb.402:
	s_movk_i32 s10, 0x7f
	v_and_b32_e32 v22, 0x7f, v18
	v_cmp_ne_u32_e64 s[10:11], s10, v22
	v_mov_b32_e32 v26, 0x7f80
	s_and_saveexec_b64 s[26:27], s[10:11]
	s_cbranch_execz .LBB756_404
; %bb.403:
	v_and_b32_e32 v23, 7, v18
	v_ffbh_u32_e32 v23, v23
	v_min_u32_e32 v23, 32, v23
	v_subrev_u32_e32 v26, 28, v23
	v_cmp_gt_u32_e64 s[10:11], 8, v22
	v_lshrrev_b32_e32 v24, 3, v22
	v_sub_u32_e32 v23, 29, v23
	v_cndmask_b32_e64 v22, 0, v26, s[10:11]
	v_cndmask_b32_e64 v24, v24, v23, s[10:11]
	v_lshlrev_b64 v[22:23], v22, v[18:19]
	v_lshlrev_b32_e32 v22, 20, v22
	v_lshlrev_b32_e32 v23, 24, v18
	v_bfrev_b32_e32 v26, 60
	v_and_b32_e32 v22, 0x700000, v22
	v_and_b32_e32 v23, 0x80000000, v23
	v_lshl_add_u32 v24, v24, 23, v26
	v_or3_b32 v22, v23, v24, v22
	v_lshrrev_b32_e32 v26, 16, v22
.LBB756_404:
	s_or_b64 exec, exec, s[26:27]
.LBB756_405:
	s_or_b64 exec, exec, s[24:25]
.LBB756_406:
	s_or_b64 exec, exec, s[12:13]
	v_lshrrev_b16_e32 v22, 8, v18
	v_cmp_ne_u16_e64 s[10:11], 0, v22
	s_and_saveexec_b64 s[12:13], s[10:11]
	s_cbranch_execz .LBB756_412
; %bb.407:
	s_movk_i32 s10, 0x80
	v_cmp_ne_u16_e64 s[10:11], s10, v22
	v_mov_b32_e32 v25, 0xffff8000
	s_and_saveexec_b64 s[24:25], s[10:11]
	s_cbranch_execz .LBB756_411
; %bb.408:
	s_movk_i32 s10, 0x7f
	v_and_b32_e32 v23, 0x7f, v22
	v_cmp_ne_u32_e64 s[10:11], s10, v23
	v_mov_b32_e32 v25, 0x7f80
	s_and_saveexec_b64 s[26:27], s[10:11]
	s_cbranch_execz .LBB756_410
; %bb.409:
	v_and_b32_e32 v27, 7, v22
	v_ffbh_u32_e32 v24, v27
	v_min_u32_e32 v29, 32, v24
	v_subrev_u32_e32 v24, 28, v29
	v_lshlrev_b64 v[24:25], v24, v[22:23]
	v_lshrrev_b32_e32 v28, 3, v23
	v_sub_u32_e32 v22, 29, v29
	v_and_b32_e32 v24, 7, v24
	v_cmp_gt_u32_e64 s[10:11], 8, v23
	v_cndmask_b32_e64 v22, v28, v22, s[10:11]
	v_cndmask_b32_e64 v23, v27, v24, s[10:11]
	v_lshlrev_b32_e32 v24, 16, v18
	v_bfrev_b32_e32 v25, 60
	v_lshlrev_b32_e32 v23, 20, v23
	v_and_b32_e32 v24, 0x80000000, v24
	v_lshl_add_u32 v22, v22, 23, v25
	v_or3_b32 v22, v24, v22, v23
	v_lshrrev_b32_e32 v25, 16, v22
.LBB756_410:
	s_or_b64 exec, exec, s[26:27]
.LBB756_411:
	s_or_b64 exec, exec, s[24:25]
.LBB756_412:
	s_or_b64 exec, exec, s[12:13]
	s_movk_i32 s10, 0xff
	v_and_b32_sdwa v24, v18, s10 dst_sel:DWORD dst_unused:UNUSED_PAD src0_sel:WORD_1 src1_sel:DWORD
	v_lshrrev_b32_e32 v22, 16, v18
	v_cmp_ne_u16_e64 s[10:11], 0, v24
	v_mov_b32_e32 v23, 0
	v_mov_b32_e32 v27, 0
	s_and_saveexec_b64 s[12:13], s[10:11]
	s_cbranch_execz .LBB756_418
; %bb.413:
	s_movk_i32 s10, 0x80
	v_cmp_ne_u16_e64 s[10:11], s10, v24
	v_mov_b32_e32 v27, 0xffff8000
	s_and_saveexec_b64 s[24:25], s[10:11]
	s_cbranch_execz .LBB756_417
; %bb.414:
	v_bfe_u32 v24, v18, 16, 7
	s_movk_i32 s10, 0x7f
	v_cmp_ne_u32_e64 s[10:11], s10, v24
	v_mov_b32_e32 v27, 0x7f80
	s_and_saveexec_b64 s[26:27], s[10:11]
	s_cbranch_execz .LBB756_416
; %bb.415:
	v_and_b32_e32 v27, 7, v22
	v_ffbh_u32_e32 v28, v27
	v_min_u32_e32 v31, 32, v28
	v_subrev_u32_e32 v28, 28, v31
	v_lshlrev_b64 v[28:29], v28, v[22:23]
	v_and_b32_e32 v28, 7, v28
	v_cmp_gt_u32_e64 s[10:11], 8, v24
	v_lshrrev_b32_e32 v30, 3, v24
	v_sub_u32_e32 v22, 29, v31
	v_cndmask_b32_e64 v24, v27, v28, s[10:11]
	v_mov_b32_e32 v27, 24
	v_cndmask_b32_e64 v22, v30, v22, s[10:11]
	v_lshlrev_b32_sdwa v27, v27, v18 dst_sel:DWORD dst_unused:UNUSED_PAD src0_sel:DWORD src1_sel:WORD_1
	v_bfrev_b32_e32 v28, 60
	v_lshlrev_b32_e32 v24, 20, v24
	v_and_b32_e32 v27, 0x80000000, v27
	v_lshl_add_u32 v22, v22, 23, v28
	v_or3_b32 v22, v27, v22, v24
	v_lshrrev_b32_e32 v27, 16, v22
.LBB756_416:
	s_or_b64 exec, exec, s[26:27]
.LBB756_417:
	s_or_b64 exec, exec, s[24:25]
.LBB756_418:
	s_or_b64 exec, exec, s[12:13]
	s_mov_b32 s10, 0xffffff
	v_cmp_lt_u32_e64 s[10:11], s10, v18
	v_mov_b32_e32 v28, 0
	s_and_saveexec_b64 s[12:13], s[10:11]
	s_cbranch_execz .LBB756_424
; %bb.419:
	v_lshrrev_b32_e32 v22, 24, v18
	s_movk_i32 s10, 0x80
	v_cmp_ne_u32_e64 s[10:11], s10, v22
	v_mov_b32_e32 v28, 0xffff8000
	s_and_saveexec_b64 s[24:25], s[10:11]
	s_cbranch_execz .LBB756_423
; %bb.420:
	v_bfe_u32 v24, v18, 24, 7
	s_movk_i32 s10, 0x7f
	v_cmp_ne_u32_e64 s[10:11], s10, v24
	v_mov_b32_e32 v28, 0x7f80
	s_and_saveexec_b64 s[26:27], s[10:11]
	s_cbranch_execz .LBB756_422
; %bb.421:
	v_and_b32_e32 v30, 7, v22
	v_ffbh_u32_e32 v28, v30
	v_min_u32_e32 v32, 32, v28
	v_subrev_u32_e32 v28, 28, v32
	v_lshlrev_b64 v[28:29], v28, v[22:23]
	v_lshrrev_b32_e32 v31, 3, v24
	v_sub_u32_e32 v29, 29, v32
	v_and_b32_e32 v28, 7, v28
	v_cmp_gt_u32_e64 s[10:11], 8, v24
	v_cndmask_b32_e64 v24, v31, v29, s[10:11]
	v_cndmask_b32_e64 v28, v30, v28, s[10:11]
	v_lshlrev_b32_e32 v22, 24, v22
	v_bfrev_b32_e32 v29, 60
	v_lshlrev_b32_e32 v28, 20, v28
	v_and_b32_e32 v22, 0x80000000, v22
	v_lshl_add_u32 v24, v24, 23, v29
	v_or3_b32 v22, v22, v24, v28
	v_lshrrev_b32_e32 v28, 16, v22
.LBB756_422:
	s_or_b64 exec, exec, s[26:27]
.LBB756_423:
	s_or_b64 exec, exec, s[24:25]
.LBB756_424:
	s_or_b64 exec, exec, s[12:13]
	v_mov_b32_e32 v29, 0
	v_mov_b32_e32 v22, v19
	v_cmp_ne_u16_sdwa s[10:11], v19, v29 src0_sel:BYTE_0 src1_sel:DWORD
	v_mov_b32_e32 v30, 0
	s_and_saveexec_b64 s[12:13], s[10:11]
	s_cbranch_execz .LBB756_430
; %bb.425:
	s_movk_i32 s10, 0x80
	v_cmp_ne_u16_sdwa s[10:11], v19, s10 src0_sel:BYTE_0 src1_sel:DWORD
	v_mov_b32_e32 v30, 0xffff8000
	s_and_saveexec_b64 s[24:25], s[10:11]
	s_cbranch_execz .LBB756_429
; %bb.426:
	s_movk_i32 s10, 0x7f
	v_and_b32_e32 v24, 0x7f, v19
	v_cmp_ne_u32_e64 s[10:11], s10, v24
	v_mov_b32_e32 v30, 0x7f80
	s_and_saveexec_b64 s[26:27], s[10:11]
	s_cbranch_execz .LBB756_428
; %bb.427:
	v_and_b32_e32 v30, 7, v19
	v_ffbh_u32_e32 v30, v30
	v_min_u32_e32 v30, 32, v30
	v_lshrrev_b32_e32 v31, 3, v24
	v_subrev_u32_e32 v32, 28, v30
	v_sub_u32_e32 v30, 29, v30
	v_cmp_gt_u32_e64 s[10:11], 8, v24
	v_cndmask_b32_e64 v24, v31, v30, s[10:11]
	v_cndmask_b32_e64 v30, 0, v32, s[10:11]
	v_lshlrev_b64 v[30:31], v30, v[22:23]
	v_lshlrev_b32_e32 v23, 20, v30
	v_lshlrev_b32_e32 v30, 24, v22
	v_bfrev_b32_e32 v31, 60
	v_and_b32_e32 v23, 0x700000, v23
	v_and_b32_e32 v30, 0x80000000, v30
	v_lshl_add_u32 v24, v24, 23, v31
	v_or3_b32 v23, v30, v24, v23
	v_lshrrev_b32_e32 v30, 16, v23
.LBB756_428:
	s_or_b64 exec, exec, s[26:27]
.LBB756_429:
	s_or_b64 exec, exec, s[24:25]
.LBB756_430:
	s_or_b64 exec, exec, s[12:13]
	v_lshrrev_b16_e32 v24, 8, v22
	v_cmp_ne_u16_e64 s[10:11], 0, v24
	s_and_saveexec_b64 s[12:13], s[10:11]
	s_cbranch_execz .LBB756_436
; %bb.431:
	s_movk_i32 s10, 0x80
	v_cmp_ne_u16_e64 s[10:11], s10, v24
	v_mov_b32_e32 v29, 0xffff8000
	s_and_saveexec_b64 s[24:25], s[10:11]
	s_cbranch_execz .LBB756_435
; %bb.432:
	s_movk_i32 s10, 0x7f
	v_and_b32_e32 v23, 0x7f, v24
	v_cmp_ne_u32_e64 s[10:11], s10, v23
	v_mov_b32_e32 v29, 0x7f80
	s_and_saveexec_b64 s[26:27], s[10:11]
	s_cbranch_execz .LBB756_434
; %bb.433:
	v_and_b32_e32 v29, 7, v24
	v_ffbh_u32_e32 v32, v29
	v_min_u32_e32 v34, 32, v32
	v_subrev_u32_e32 v32, 28, v34
	v_lshlrev_b64 v[32:33], v32, v[24:25]
	v_lshrrev_b32_e32 v31, 3, v23
	v_sub_u32_e32 v24, 29, v34
	v_and_b32_e32 v32, 7, v32
	v_cmp_gt_u32_e64 s[10:11], 8, v23
	v_cndmask_b32_e64 v23, v31, v24, s[10:11]
	v_cndmask_b32_e64 v24, v29, v32, s[10:11]
	v_lshlrev_b32_e32 v22, 16, v22
	v_bfrev_b32_e32 v29, 60
	v_lshlrev_b32_e32 v24, 20, v24
	v_and_b32_e32 v22, 0x80000000, v22
	v_lshl_add_u32 v23, v23, 23, v29
	v_or3_b32 v22, v22, v23, v24
	v_lshrrev_b32_e32 v29, 16, v22
.LBB756_434:
	s_or_b64 exec, exec, s[26:27]
.LBB756_435:
	s_or_b64 exec, exec, s[24:25]
.LBB756_436:
	s_or_b64 exec, exec, s[12:13]
	s_movk_i32 s10, 0xff
	v_and_b32_sdwa v31, v19, s10 dst_sel:DWORD dst_unused:UNUSED_PAD src0_sel:WORD_1 src1_sel:DWORD
	v_lshrrev_b32_e32 v22, 16, v19
	v_cmp_ne_u16_e64 s[10:11], 0, v31
	v_mov_b32_e32 v23, 0
	v_mov_b32_e32 v24, 0
	s_and_saveexec_b64 s[12:13], s[10:11]
	s_cbranch_execz .LBB756_442
; %bb.437:
	s_movk_i32 s10, 0x80
	v_cmp_ne_u16_e64 s[10:11], s10, v31
	v_mov_b32_e32 v24, 0xffff8000
	s_and_saveexec_b64 s[24:25], s[10:11]
	s_cbranch_execz .LBB756_441
; %bb.438:
	v_bfe_u32 v31, v19, 16, 7
	s_movk_i32 s10, 0x7f
	v_cmp_ne_u32_e64 s[10:11], s10, v31
	v_mov_b32_e32 v24, 0x7f80
	s_and_saveexec_b64 s[26:27], s[10:11]
	s_cbranch_execz .LBB756_440
; %bb.439:
	v_and_b32_e32 v24, 7, v22
	v_ffbh_u32_e32 v32, v24
	v_min_u32_e32 v35, 32, v32
	v_subrev_u32_e32 v32, 28, v35
	v_lshlrev_b64 v[32:33], v32, v[22:23]
	v_lshrrev_b32_e32 v34, 3, v31
	v_sub_u32_e32 v22, 29, v35
	v_and_b32_e32 v32, 7, v32
	v_cmp_gt_u32_e64 s[10:11], 8, v31
	v_mov_b32_e32 v31, 24
	v_cndmask_b32_e64 v22, v34, v22, s[10:11]
	v_cndmask_b32_e64 v24, v24, v32, s[10:11]
	v_lshlrev_b32_sdwa v31, v31, v19 dst_sel:DWORD dst_unused:UNUSED_PAD src0_sel:DWORD src1_sel:WORD_1
	v_bfrev_b32_e32 v32, 60
	v_lshlrev_b32_e32 v24, 20, v24
	v_and_b32_e32 v31, 0x80000000, v31
	v_lshl_add_u32 v22, v22, 23, v32
	v_or3_b32 v22, v31, v22, v24
	v_lshrrev_b32_e32 v24, 16, v22
.LBB756_440:
	s_or_b64 exec, exec, s[26:27]
.LBB756_441:
	s_or_b64 exec, exec, s[24:25]
.LBB756_442:
	s_or_b64 exec, exec, s[12:13]
	s_mov_b32 s10, -1
	s_mov_b32 s11, 0xffffff
	v_cmp_lt_u64_e64 s[10:11], s[10:11], v[18:19]
	s_and_saveexec_b64 s[12:13], s[10:11]
	s_cbranch_execz .LBB756_448
; %bb.443:
	v_lshrrev_b32_e32 v18, 24, v19
	s_movk_i32 s10, 0x80
	v_cmp_ne_u32_e64 s[10:11], s10, v18
	v_mov_b32_e32 v23, 0xffff8000
	s_and_saveexec_b64 s[24:25], s[10:11]
	s_cbranch_execz .LBB756_447
; %bb.444:
	v_bfe_u32 v19, v19, 24, 7
	s_movk_i32 s10, 0x7f
	v_cmp_ne_u32_e64 s[10:11], s10, v19
	v_mov_b32_e32 v23, 0x7f80
	s_and_saveexec_b64 s[26:27], s[10:11]
	s_cbranch_execz .LBB756_446
; %bb.445:
	v_and_b32_e32 v31, 7, v18
	v_ffbh_u32_e32 v22, v31
	v_min_u32_e32 v33, 32, v22
	v_subrev_u32_e32 v22, 28, v33
	v_lshlrev_b64 v[22:23], v22, v[18:19]
	v_lshrrev_b32_e32 v32, 3, v19
	v_sub_u32_e32 v23, 29, v33
	v_and_b32_e32 v22, 7, v22
	v_cmp_gt_u32_e64 s[10:11], 8, v19
	v_cndmask_b32_e64 v19, v32, v23, s[10:11]
	v_cndmask_b32_e64 v22, v31, v22, s[10:11]
	v_lshlrev_b32_e32 v18, 24, v18
	v_bfrev_b32_e32 v23, 60
	v_lshlrev_b32_e32 v22, 20, v22
	v_and_b32_e32 v18, 0x80000000, v18
	v_lshl_add_u32 v19, v19, 23, v23
	v_or3_b32 v18, v18, v19, v22
	v_lshrrev_b32_e32 v23, 16, v18
.LBB756_446:
	s_or_b64 exec, exec, s[26:27]
.LBB756_447:
	s_or_b64 exec, exec, s[24:25]
.LBB756_448:
	s_or_b64 exec, exec, s[12:13]
	s_mov_b32 s10, 0x5040100
	v_perm_b32 v19, v28, v27, s10
	v_perm_b32 v18, v25, v26, s10
	;; [unrolled: 1-line block ×4, first 2 shown]
	v_mfma_f32_4x4x4bf16_1k a[0:3], v[2:3], v[18:19], a[0:3] cbsz:4 abid:8
	v_mov_b32_e32 v24, 0
	v_mfma_f32_4x4x4bf16_1k a[0:3], v[4:5], v[22:23], a[0:3] cbsz:4 abid:8
	v_mov_b32_e32 v23, 0
	v_cmp_ne_u16_sdwa s[10:11], v20, v23 src0_sel:BYTE_0 src1_sel:DWORD
	s_and_saveexec_b64 s[12:13], s[10:11]
	s_cbranch_execz .LBB756_454
; %bb.449:
	s_movk_i32 s10, 0x80
	v_cmp_ne_u16_sdwa s[10:11], v20, s10 src0_sel:BYTE_0 src1_sel:DWORD
	v_mov_b32_e32 v24, 0xffff8000
	s_and_saveexec_b64 s[24:25], s[10:11]
	s_cbranch_execz .LBB756_453
; %bb.450:
	s_movk_i32 s10, 0x7f
	v_and_b32_e32 v18, 0x7f, v20
	v_cmp_ne_u32_e64 s[10:11], s10, v18
	v_mov_b32_e32 v24, 0x7f80
	s_and_saveexec_b64 s[26:27], s[10:11]
	s_cbranch_execz .LBB756_452
; %bb.451:
	v_and_b32_e32 v19, 7, v20
	v_ffbh_u32_e32 v19, v19
	v_min_u32_e32 v19, 32, v19
	v_subrev_u32_e32 v24, 28, v19
	v_cmp_gt_u32_e64 s[10:11], 8, v18
	v_lshrrev_b32_e32 v22, 3, v18
	v_sub_u32_e32 v19, 29, v19
	v_cndmask_b32_e64 v18, 0, v24, s[10:11]
	v_cndmask_b32_e64 v22, v22, v19, s[10:11]
	v_lshlrev_b64 v[18:19], v18, v[20:21]
	v_lshlrev_b32_e32 v18, 20, v18
	v_lshlrev_b32_e32 v19, 24, v20
	v_bfrev_b32_e32 v24, 60
	v_and_b32_e32 v18, 0x700000, v18
	v_and_b32_e32 v19, 0x80000000, v19
	v_lshl_add_u32 v22, v22, 23, v24
	v_or3_b32 v18, v19, v22, v18
	v_lshrrev_b32_e32 v24, 16, v18
.LBB756_452:
	s_or_b64 exec, exec, s[26:27]
.LBB756_453:
	s_or_b64 exec, exec, s[24:25]
.LBB756_454:
	s_or_b64 exec, exec, s[12:13]
	v_lshrrev_b16_e32 v18, 8, v20
	v_cmp_ne_u16_e64 s[10:11], 0, v18
	s_and_saveexec_b64 s[12:13], s[10:11]
	s_cbranch_execz .LBB756_460
; %bb.455:
	s_movk_i32 s10, 0x80
	v_cmp_ne_u16_e64 s[10:11], s10, v18
	v_mov_b32_e32 v23, 0xffff8000
	s_and_saveexec_b64 s[24:25], s[10:11]
	s_cbranch_execz .LBB756_459
; %bb.456:
	s_movk_i32 s10, 0x7f
	v_and_b32_e32 v19, 0x7f, v18
	v_cmp_ne_u32_e64 s[10:11], s10, v19
	v_mov_b32_e32 v23, 0x7f80
	s_and_saveexec_b64 s[26:27], s[10:11]
	s_cbranch_execz .LBB756_458
; %bb.457:
	v_and_b32_e32 v25, 7, v18
	v_ffbh_u32_e32 v22, v25
	v_min_u32_e32 v27, 32, v22
	v_subrev_u32_e32 v22, 28, v27
	v_lshlrev_b64 v[22:23], v22, v[18:19]
	v_lshrrev_b32_e32 v26, 3, v19
	v_sub_u32_e32 v18, 29, v27
	v_and_b32_e32 v22, 7, v22
	v_cmp_gt_u32_e64 s[10:11], 8, v19
	v_cndmask_b32_e64 v18, v26, v18, s[10:11]
	v_cndmask_b32_e64 v19, v25, v22, s[10:11]
	v_lshlrev_b32_e32 v22, 16, v20
	v_bfrev_b32_e32 v23, 60
	v_lshlrev_b32_e32 v19, 20, v19
	v_and_b32_e32 v22, 0x80000000, v22
	v_lshl_add_u32 v18, v18, 23, v23
	v_or3_b32 v18, v22, v18, v19
	v_lshrrev_b32_e32 v23, 16, v18
.LBB756_458:
	s_or_b64 exec, exec, s[26:27]
.LBB756_459:
	s_or_b64 exec, exec, s[24:25]
.LBB756_460:
	s_or_b64 exec, exec, s[12:13]
	s_movk_i32 s10, 0xff
	v_and_b32_sdwa v22, v20, s10 dst_sel:DWORD dst_unused:UNUSED_PAD src0_sel:WORD_1 src1_sel:DWORD
	v_lshrrev_b32_e32 v18, 16, v20
	v_cmp_ne_u16_e64 s[10:11], 0, v22
	v_mov_b32_e32 v19, 0
	v_mov_b32_e32 v25, 0
	s_and_saveexec_b64 s[12:13], s[10:11]
	s_cbranch_execz .LBB756_466
; %bb.461:
	s_movk_i32 s10, 0x80
	v_cmp_ne_u16_e64 s[10:11], s10, v22
	v_mov_b32_e32 v25, 0xffff8000
	s_and_saveexec_b64 s[24:25], s[10:11]
	s_cbranch_execz .LBB756_465
; %bb.462:
	v_bfe_u32 v22, v20, 16, 7
	s_movk_i32 s10, 0x7f
	v_cmp_ne_u32_e64 s[10:11], s10, v22
	v_mov_b32_e32 v25, 0x7f80
	s_and_saveexec_b64 s[26:27], s[10:11]
	s_cbranch_execz .LBB756_464
; %bb.463:
	v_and_b32_e32 v25, 7, v18
	v_ffbh_u32_e32 v26, v25
	v_min_u32_e32 v29, 32, v26
	v_subrev_u32_e32 v26, 28, v29
	v_lshlrev_b64 v[26:27], v26, v[18:19]
	v_and_b32_e32 v26, 7, v26
	v_cmp_gt_u32_e64 s[10:11], 8, v22
	v_lshrrev_b32_e32 v28, 3, v22
	v_sub_u32_e32 v18, 29, v29
	v_cndmask_b32_e64 v22, v25, v26, s[10:11]
	v_mov_b32_e32 v25, 24
	v_cndmask_b32_e64 v18, v28, v18, s[10:11]
	v_lshlrev_b32_sdwa v25, v25, v20 dst_sel:DWORD dst_unused:UNUSED_PAD src0_sel:DWORD src1_sel:WORD_1
	v_bfrev_b32_e32 v26, 60
	v_lshlrev_b32_e32 v22, 20, v22
	v_and_b32_e32 v25, 0x80000000, v25
	v_lshl_add_u32 v18, v18, 23, v26
	v_or3_b32 v18, v25, v18, v22
	v_lshrrev_b32_e32 v25, 16, v18
.LBB756_464:
	s_or_b64 exec, exec, s[26:27]
.LBB756_465:
	s_or_b64 exec, exec, s[24:25]
.LBB756_466:
	s_or_b64 exec, exec, s[12:13]
	s_mov_b32 s10, 0xffffff
	v_cmp_lt_u32_e64 s[10:11], s10, v20
	v_mov_b32_e32 v26, 0
	s_and_saveexec_b64 s[12:13], s[10:11]
	s_cbranch_execz .LBB756_472
; %bb.467:
	v_lshrrev_b32_e32 v18, 24, v20
	s_movk_i32 s10, 0x80
	v_cmp_ne_u32_e64 s[10:11], s10, v18
	v_mov_b32_e32 v26, 0xffff8000
	s_and_saveexec_b64 s[24:25], s[10:11]
	s_cbranch_execz .LBB756_471
; %bb.468:
	v_bfe_u32 v22, v20, 24, 7
	s_movk_i32 s10, 0x7f
	v_cmp_ne_u32_e64 s[10:11], s10, v22
	v_mov_b32_e32 v26, 0x7f80
	s_and_saveexec_b64 s[26:27], s[10:11]
	s_cbranch_execz .LBB756_470
; %bb.469:
	v_and_b32_e32 v28, 7, v18
	v_ffbh_u32_e32 v26, v28
	v_min_u32_e32 v30, 32, v26
	v_subrev_u32_e32 v26, 28, v30
	v_lshlrev_b64 v[26:27], v26, v[18:19]
	v_lshrrev_b32_e32 v29, 3, v22
	v_sub_u32_e32 v27, 29, v30
	v_and_b32_e32 v26, 7, v26
	v_cmp_gt_u32_e64 s[10:11], 8, v22
	v_cndmask_b32_e64 v22, v29, v27, s[10:11]
	v_cndmask_b32_e64 v26, v28, v26, s[10:11]
	v_lshlrev_b32_e32 v18, 24, v18
	v_bfrev_b32_e32 v27, 60
	v_lshlrev_b32_e32 v26, 20, v26
	v_and_b32_e32 v18, 0x80000000, v18
	v_lshl_add_u32 v22, v22, 23, v27
	v_or3_b32 v18, v18, v22, v26
	v_lshrrev_b32_e32 v26, 16, v18
.LBB756_470:
	s_or_b64 exec, exec, s[26:27]
.LBB756_471:
	s_or_b64 exec, exec, s[24:25]
.LBB756_472:
	s_or_b64 exec, exec, s[12:13]
	v_mov_b32_e32 v27, 0
	v_mov_b32_e32 v18, v21
	v_cmp_ne_u16_sdwa s[10:11], v21, v27 src0_sel:BYTE_0 src1_sel:DWORD
	v_mov_b32_e32 v28, 0
	s_and_saveexec_b64 s[12:13], s[10:11]
	s_cbranch_execz .LBB756_478
; %bb.473:
	s_movk_i32 s10, 0x80
	v_cmp_ne_u16_sdwa s[10:11], v21, s10 src0_sel:BYTE_0 src1_sel:DWORD
	v_mov_b32_e32 v28, 0xffff8000
	s_and_saveexec_b64 s[24:25], s[10:11]
	s_cbranch_execz .LBB756_477
; %bb.474:
	s_movk_i32 s10, 0x7f
	v_and_b32_e32 v22, 0x7f, v21
	v_cmp_ne_u32_e64 s[10:11], s10, v22
	v_mov_b32_e32 v28, 0x7f80
	s_and_saveexec_b64 s[26:27], s[10:11]
	s_cbranch_execz .LBB756_476
; %bb.475:
	v_and_b32_e32 v28, 7, v21
	v_ffbh_u32_e32 v28, v28
	v_min_u32_e32 v28, 32, v28
	v_lshrrev_b32_e32 v29, 3, v22
	v_subrev_u32_e32 v30, 28, v28
	v_sub_u32_e32 v28, 29, v28
	v_cmp_gt_u32_e64 s[10:11], 8, v22
	v_cndmask_b32_e64 v22, v29, v28, s[10:11]
	v_cndmask_b32_e64 v28, 0, v30, s[10:11]
	v_lshlrev_b64 v[28:29], v28, v[18:19]
	v_lshlrev_b32_e32 v19, 20, v28
	v_lshlrev_b32_e32 v28, 24, v18
	v_bfrev_b32_e32 v29, 60
	v_and_b32_e32 v19, 0x700000, v19
	v_and_b32_e32 v28, 0x80000000, v28
	v_lshl_add_u32 v22, v22, 23, v29
	v_or3_b32 v19, v28, v22, v19
	v_lshrrev_b32_e32 v28, 16, v19
.LBB756_476:
	s_or_b64 exec, exec, s[26:27]
.LBB756_477:
	s_or_b64 exec, exec, s[24:25]
.LBB756_478:
	s_or_b64 exec, exec, s[12:13]
	v_lshrrev_b16_e32 v22, 8, v18
	v_cmp_ne_u16_e64 s[10:11], 0, v22
	s_and_saveexec_b64 s[12:13], s[10:11]
	s_cbranch_execz .LBB756_484
; %bb.479:
	s_movk_i32 s10, 0x80
	v_cmp_ne_u16_e64 s[10:11], s10, v22
	v_mov_b32_e32 v27, 0xffff8000
	s_and_saveexec_b64 s[24:25], s[10:11]
	s_cbranch_execz .LBB756_483
; %bb.480:
	s_movk_i32 s10, 0x7f
	v_and_b32_e32 v19, 0x7f, v22
	v_cmp_ne_u32_e64 s[10:11], s10, v19
	v_mov_b32_e32 v27, 0x7f80
	s_and_saveexec_b64 s[26:27], s[10:11]
	s_cbranch_execz .LBB756_482
; %bb.481:
	v_and_b32_e32 v27, 7, v22
	v_ffbh_u32_e32 v30, v27
	v_min_u32_e32 v32, 32, v30
	v_subrev_u32_e32 v30, 28, v32
	v_lshlrev_b64 v[30:31], v30, v[22:23]
	v_lshrrev_b32_e32 v29, 3, v19
	v_sub_u32_e32 v22, 29, v32
	v_and_b32_e32 v30, 7, v30
	v_cmp_gt_u32_e64 s[10:11], 8, v19
	v_cndmask_b32_e64 v19, v29, v22, s[10:11]
	v_cndmask_b32_e64 v22, v27, v30, s[10:11]
	v_lshlrev_b32_e32 v18, 16, v18
	v_bfrev_b32_e32 v27, 60
	v_lshlrev_b32_e32 v22, 20, v22
	v_and_b32_e32 v18, 0x80000000, v18
	v_lshl_add_u32 v19, v19, 23, v27
	v_or3_b32 v18, v18, v19, v22
	v_lshrrev_b32_e32 v27, 16, v18
.LBB756_482:
	s_or_b64 exec, exec, s[26:27]
.LBB756_483:
	s_or_b64 exec, exec, s[24:25]
.LBB756_484:
	s_or_b64 exec, exec, s[12:13]
	s_movk_i32 s10, 0xff
	v_and_b32_sdwa v29, v21, s10 dst_sel:DWORD dst_unused:UNUSED_PAD src0_sel:WORD_1 src1_sel:DWORD
	v_lshrrev_b32_e32 v18, 16, v21
	v_cmp_ne_u16_e64 s[10:11], 0, v29
	v_mov_b32_e32 v19, 0
	v_mov_b32_e32 v22, 0
	s_and_saveexec_b64 s[12:13], s[10:11]
	s_cbranch_execz .LBB756_490
; %bb.485:
	s_movk_i32 s10, 0x80
	v_cmp_ne_u16_e64 s[10:11], s10, v29
	v_mov_b32_e32 v22, 0xffff8000
	s_and_saveexec_b64 s[24:25], s[10:11]
	s_cbranch_execz .LBB756_489
; %bb.486:
	v_bfe_u32 v29, v21, 16, 7
	s_movk_i32 s10, 0x7f
	v_cmp_ne_u32_e64 s[10:11], s10, v29
	v_mov_b32_e32 v22, 0x7f80
	s_and_saveexec_b64 s[26:27], s[10:11]
	s_cbranch_execz .LBB756_488
; %bb.487:
	v_and_b32_e32 v22, 7, v18
	v_ffbh_u32_e32 v30, v22
	v_min_u32_e32 v33, 32, v30
	v_subrev_u32_e32 v30, 28, v33
	v_lshlrev_b64 v[30:31], v30, v[18:19]
	v_lshrrev_b32_e32 v32, 3, v29
	v_sub_u32_e32 v18, 29, v33
	v_and_b32_e32 v30, 7, v30
	v_cmp_gt_u32_e64 s[10:11], 8, v29
	v_mov_b32_e32 v29, 24
	v_cndmask_b32_e64 v18, v32, v18, s[10:11]
	v_cndmask_b32_e64 v22, v22, v30, s[10:11]
	v_lshlrev_b32_sdwa v29, v29, v21 dst_sel:DWORD dst_unused:UNUSED_PAD src0_sel:DWORD src1_sel:WORD_1
	v_bfrev_b32_e32 v30, 60
	v_lshlrev_b32_e32 v22, 20, v22
	v_and_b32_e32 v29, 0x80000000, v29
	v_lshl_add_u32 v18, v18, 23, v30
	v_or3_b32 v18, v29, v18, v22
	v_lshrrev_b32_e32 v22, 16, v18
.LBB756_488:
	s_or_b64 exec, exec, s[26:27]
.LBB756_489:
	s_or_b64 exec, exec, s[24:25]
.LBB756_490:
	s_or_b64 exec, exec, s[12:13]
	s_mov_b32 s10, -1
	s_mov_b32 s11, 0xffffff
	v_cmp_lt_u64_e64 s[10:11], s[10:11], v[20:21]
	s_and_saveexec_b64 s[12:13], s[10:11]
	s_cbranch_execz .LBB756_496
; %bb.491:
	v_lshrrev_b32_e32 v18, 24, v21
	s_movk_i32 s10, 0x80
	v_cmp_ne_u32_e64 s[10:11], s10, v18
	v_mov_b32_e32 v19, 0xffff8000
	s_and_saveexec_b64 s[24:25], s[10:11]
	s_cbranch_execz .LBB756_495
; %bb.492:
	v_bfe_u32 v20, v21, 24, 7
	s_movk_i32 s10, 0x7f
	v_cmp_ne_u32_e64 s[10:11], s10, v20
	v_mov_b32_e32 v19, 0x7f80
	s_and_saveexec_b64 s[26:27], s[10:11]
	s_cbranch_execz .LBB756_494
; %bb.493:
	v_and_b32_e32 v19, 7, v18
	v_ffbh_u32_e32 v29, v19
	v_min_u32_e32 v29, 32, v29
	v_subrev_u32_e32 v30, 28, v29
	v_lshlrev_b64 v[30:31], v30, v[18:19]
	v_lshrrev_b32_e32 v21, 3, v20
	v_sub_u32_e32 v29, 29, v29
	v_and_b32_e32 v30, 7, v30
	v_cmp_gt_u32_e64 s[10:11], 8, v20
	v_cndmask_b32_e64 v20, v21, v29, s[10:11]
	v_cndmask_b32_e64 v19, v19, v30, s[10:11]
	v_lshlrev_b32_e32 v18, 24, v18
	v_bfrev_b32_e32 v21, 60
	v_lshlrev_b32_e32 v19, 20, v19
	v_and_b32_e32 v18, 0x80000000, v18
	v_lshl_add_u32 v20, v20, 23, v21
	v_or3_b32 v18, v18, v20, v19
	v_lshrrev_b32_e32 v19, 16, v18
.LBB756_494:
	s_or_b64 exec, exec, s[26:27]
.LBB756_495:
	s_or_b64 exec, exec, s[24:25]
.LBB756_496:
	s_or_b64 exec, exec, s[12:13]
	s_mov_b32 s10, 0x5040100
	v_perm_b32 v21, v26, v25, s10
	v_perm_b32 v20, v23, v24, s10
	;; [unrolled: 1-line block ×4, first 2 shown]
	v_mfma_f32_4x4x4bf16_1k a[0:3], v[2:3], v[20:21], a[0:3] cbsz:4 abid:9
	v_mov_b32_e32 v21, 0
	v_mfma_f32_4x4x4bf16_1k a[0:3], v[4:5], v[18:19], a[0:3] cbsz:4 abid:9
	v_cmp_ne_u16_sdwa s[10:11], v14, v21 src0_sel:BYTE_0 src1_sel:DWORD
	v_mov_b32_e32 v22, 0
	s_and_saveexec_b64 s[12:13], s[10:11]
	s_cbranch_execz .LBB756_502
; %bb.497:
	s_movk_i32 s10, 0x80
	v_cmp_ne_u16_sdwa s[10:11], v14, s10 src0_sel:BYTE_0 src1_sel:DWORD
	v_mov_b32_e32 v22, 0xffff8000
	s_and_saveexec_b64 s[24:25], s[10:11]
	s_cbranch_execz .LBB756_501
; %bb.498:
	s_movk_i32 s10, 0x7f
	v_and_b32_e32 v18, 0x7f, v14
	v_cmp_ne_u32_e64 s[10:11], s10, v18
	v_mov_b32_e32 v22, 0x7f80
	s_and_saveexec_b64 s[26:27], s[10:11]
	s_cbranch_execz .LBB756_500
; %bb.499:
	v_and_b32_e32 v19, 7, v14
	v_ffbh_u32_e32 v19, v19
	v_min_u32_e32 v19, 32, v19
	v_subrev_u32_e32 v22, 28, v19
	v_cmp_gt_u32_e64 s[10:11], 8, v18
	v_lshrrev_b32_e32 v20, 3, v18
	v_sub_u32_e32 v19, 29, v19
	v_cndmask_b32_e64 v18, 0, v22, s[10:11]
	v_cndmask_b32_e64 v20, v20, v19, s[10:11]
	v_lshlrev_b64 v[18:19], v18, v[14:15]
	v_lshlrev_b32_e32 v18, 20, v18
	v_lshlrev_b32_e32 v19, 24, v14
	v_bfrev_b32_e32 v22, 60
	v_and_b32_e32 v18, 0x700000, v18
	v_and_b32_e32 v19, 0x80000000, v19
	v_lshl_add_u32 v20, v20, 23, v22
	v_or3_b32 v18, v19, v20, v18
	v_lshrrev_b32_e32 v22, 16, v18
.LBB756_500:
	s_or_b64 exec, exec, s[26:27]
.LBB756_501:
	s_or_b64 exec, exec, s[24:25]
.LBB756_502:
	s_or_b64 exec, exec, s[12:13]
	v_lshrrev_b16_e32 v18, 8, v14
	v_cmp_ne_u16_e64 s[10:11], 0, v18
	s_and_saveexec_b64 s[12:13], s[10:11]
	s_cbranch_execz .LBB756_508
; %bb.503:
	s_movk_i32 s10, 0x80
	v_cmp_ne_u16_e64 s[10:11], s10, v18
	v_mov_b32_e32 v21, 0xffff8000
	s_and_saveexec_b64 s[24:25], s[10:11]
	s_cbranch_execz .LBB756_507
; %bb.504:
	s_movk_i32 s10, 0x7f
	v_and_b32_e32 v19, 0x7f, v18
	v_cmp_ne_u32_e64 s[10:11], s10, v19
	v_mov_b32_e32 v21, 0x7f80
	s_and_saveexec_b64 s[26:27], s[10:11]
	s_cbranch_execz .LBB756_506
; %bb.505:
	v_and_b32_e32 v23, 7, v18
	v_ffbh_u32_e32 v20, v23
	v_min_u32_e32 v25, 32, v20
	v_subrev_u32_e32 v20, 28, v25
	v_lshlrev_b64 v[20:21], v20, v[18:19]
	v_lshrrev_b32_e32 v24, 3, v19
	v_sub_u32_e32 v18, 29, v25
	v_and_b32_e32 v20, 7, v20
	v_cmp_gt_u32_e64 s[10:11], 8, v19
	v_cndmask_b32_e64 v18, v24, v18, s[10:11]
	v_cndmask_b32_e64 v19, v23, v20, s[10:11]
	v_lshlrev_b32_e32 v20, 16, v14
	v_bfrev_b32_e32 v21, 60
	v_lshlrev_b32_e32 v19, 20, v19
	v_and_b32_e32 v20, 0x80000000, v20
	v_lshl_add_u32 v18, v18, 23, v21
	v_or3_b32 v18, v20, v18, v19
	v_lshrrev_b32_e32 v21, 16, v18
.LBB756_506:
	s_or_b64 exec, exec, s[26:27]
.LBB756_507:
	s_or_b64 exec, exec, s[24:25]
.LBB756_508:
	s_or_b64 exec, exec, s[12:13]
	s_movk_i32 s10, 0xff
	v_and_b32_sdwa v20, v14, s10 dst_sel:DWORD dst_unused:UNUSED_PAD src0_sel:WORD_1 src1_sel:DWORD
	v_lshrrev_b32_e32 v18, 16, v14
	v_cmp_ne_u16_e64 s[10:11], 0, v20
	v_mov_b32_e32 v19, 0
	v_mov_b32_e32 v23, 0
	s_and_saveexec_b64 s[12:13], s[10:11]
	s_cbranch_execz .LBB756_514
; %bb.509:
	s_movk_i32 s10, 0x80
	v_cmp_ne_u16_e64 s[10:11], s10, v20
	v_mov_b32_e32 v23, 0xffff8000
	s_and_saveexec_b64 s[24:25], s[10:11]
	s_cbranch_execz .LBB756_513
; %bb.510:
	v_bfe_u32 v20, v14, 16, 7
	s_movk_i32 s10, 0x7f
	v_cmp_ne_u32_e64 s[10:11], s10, v20
	v_mov_b32_e32 v23, 0x7f80
	s_and_saveexec_b64 s[26:27], s[10:11]
	s_cbranch_execz .LBB756_512
; %bb.511:
	v_and_b32_e32 v23, 7, v18
	v_ffbh_u32_e32 v24, v23
	v_min_u32_e32 v27, 32, v24
	v_subrev_u32_e32 v24, 28, v27
	v_lshlrev_b64 v[24:25], v24, v[18:19]
	v_and_b32_e32 v24, 7, v24
	v_cmp_gt_u32_e64 s[10:11], 8, v20
	v_lshrrev_b32_e32 v26, 3, v20
	v_sub_u32_e32 v18, 29, v27
	v_cndmask_b32_e64 v20, v23, v24, s[10:11]
	v_mov_b32_e32 v23, 24
	v_cndmask_b32_e64 v18, v26, v18, s[10:11]
	v_lshlrev_b32_sdwa v23, v23, v14 dst_sel:DWORD dst_unused:UNUSED_PAD src0_sel:DWORD src1_sel:WORD_1
	v_bfrev_b32_e32 v24, 60
	v_lshlrev_b32_e32 v20, 20, v20
	v_and_b32_e32 v23, 0x80000000, v23
	v_lshl_add_u32 v18, v18, 23, v24
	v_or3_b32 v18, v23, v18, v20
	v_lshrrev_b32_e32 v23, 16, v18
.LBB756_512:
	s_or_b64 exec, exec, s[26:27]
.LBB756_513:
	s_or_b64 exec, exec, s[24:25]
.LBB756_514:
	s_or_b64 exec, exec, s[12:13]
	s_mov_b32 s10, 0xffffff
	v_cmp_lt_u32_e64 s[10:11], s10, v14
	v_mov_b32_e32 v24, 0
	s_and_saveexec_b64 s[12:13], s[10:11]
	s_cbranch_execz .LBB756_520
; %bb.515:
	v_lshrrev_b32_e32 v18, 24, v14
	s_movk_i32 s10, 0x80
	v_cmp_ne_u32_e64 s[10:11], s10, v18
	v_mov_b32_e32 v24, 0xffff8000
	s_and_saveexec_b64 s[24:25], s[10:11]
	s_cbranch_execz .LBB756_519
; %bb.516:
	v_bfe_u32 v20, v14, 24, 7
	s_movk_i32 s10, 0x7f
	v_cmp_ne_u32_e64 s[10:11], s10, v20
	v_mov_b32_e32 v24, 0x7f80
	s_and_saveexec_b64 s[26:27], s[10:11]
	s_cbranch_execz .LBB756_518
; %bb.517:
	v_and_b32_e32 v26, 7, v18
	v_ffbh_u32_e32 v24, v26
	v_min_u32_e32 v28, 32, v24
	v_subrev_u32_e32 v24, 28, v28
	v_lshlrev_b64 v[24:25], v24, v[18:19]
	v_lshrrev_b32_e32 v27, 3, v20
	v_sub_u32_e32 v25, 29, v28
	v_and_b32_e32 v24, 7, v24
	v_cmp_gt_u32_e64 s[10:11], 8, v20
	v_cndmask_b32_e64 v20, v27, v25, s[10:11]
	v_cndmask_b32_e64 v24, v26, v24, s[10:11]
	v_lshlrev_b32_e32 v18, 24, v18
	v_bfrev_b32_e32 v25, 60
	v_lshlrev_b32_e32 v24, 20, v24
	v_and_b32_e32 v18, 0x80000000, v18
	v_lshl_add_u32 v20, v20, 23, v25
	v_or3_b32 v18, v18, v20, v24
	v_lshrrev_b32_e32 v24, 16, v18
.LBB756_518:
	s_or_b64 exec, exec, s[26:27]
.LBB756_519:
	s_or_b64 exec, exec, s[24:25]
.LBB756_520:
	s_or_b64 exec, exec, s[12:13]
	v_mov_b32_e32 v25, 0
	v_mov_b32_e32 v18, v15
	v_cmp_ne_u16_sdwa s[10:11], v15, v25 src0_sel:BYTE_0 src1_sel:DWORD
	v_mov_b32_e32 v26, 0
	s_and_saveexec_b64 s[12:13], s[10:11]
	s_cbranch_execz .LBB756_526
; %bb.521:
	s_movk_i32 s10, 0x80
	v_cmp_ne_u16_sdwa s[10:11], v15, s10 src0_sel:BYTE_0 src1_sel:DWORD
	v_mov_b32_e32 v26, 0xffff8000
	s_and_saveexec_b64 s[24:25], s[10:11]
	s_cbranch_execz .LBB756_525
; %bb.522:
	s_movk_i32 s10, 0x7f
	v_and_b32_e32 v20, 0x7f, v15
	v_cmp_ne_u32_e64 s[10:11], s10, v20
	v_mov_b32_e32 v26, 0x7f80
	s_and_saveexec_b64 s[26:27], s[10:11]
	s_cbranch_execz .LBB756_524
; %bb.523:
	v_and_b32_e32 v26, 7, v15
	v_ffbh_u32_e32 v26, v26
	v_min_u32_e32 v26, 32, v26
	v_lshrrev_b32_e32 v27, 3, v20
	v_subrev_u32_e32 v28, 28, v26
	v_sub_u32_e32 v26, 29, v26
	v_cmp_gt_u32_e64 s[10:11], 8, v20
	v_cndmask_b32_e64 v20, v27, v26, s[10:11]
	v_cndmask_b32_e64 v26, 0, v28, s[10:11]
	v_lshlrev_b64 v[26:27], v26, v[18:19]
	v_lshlrev_b32_e32 v19, 20, v26
	v_lshlrev_b32_e32 v26, 24, v18
	v_bfrev_b32_e32 v27, 60
	v_and_b32_e32 v19, 0x700000, v19
	v_and_b32_e32 v26, 0x80000000, v26
	v_lshl_add_u32 v20, v20, 23, v27
	v_or3_b32 v19, v26, v20, v19
	v_lshrrev_b32_e32 v26, 16, v19
.LBB756_524:
	s_or_b64 exec, exec, s[26:27]
.LBB756_525:
	s_or_b64 exec, exec, s[24:25]
.LBB756_526:
	s_or_b64 exec, exec, s[12:13]
	v_lshrrev_b16_e32 v20, 8, v18
	v_cmp_ne_u16_e64 s[10:11], 0, v20
	s_and_saveexec_b64 s[12:13], s[10:11]
	s_cbranch_execz .LBB756_532
; %bb.527:
	s_movk_i32 s10, 0x80
	v_cmp_ne_u16_e64 s[10:11], s10, v20
	v_mov_b32_e32 v25, 0xffff8000
	s_and_saveexec_b64 s[24:25], s[10:11]
	s_cbranch_execz .LBB756_531
; %bb.528:
	s_movk_i32 s10, 0x7f
	v_and_b32_e32 v19, 0x7f, v20
	v_cmp_ne_u32_e64 s[10:11], s10, v19
	v_mov_b32_e32 v25, 0x7f80
	s_and_saveexec_b64 s[26:27], s[10:11]
	s_cbranch_execz .LBB756_530
; %bb.529:
	v_and_b32_e32 v25, 7, v20
	v_ffbh_u32_e32 v28, v25
	v_min_u32_e32 v30, 32, v28
	v_subrev_u32_e32 v28, 28, v30
	v_lshlrev_b64 v[28:29], v28, v[20:21]
	v_lshrrev_b32_e32 v27, 3, v19
	v_sub_u32_e32 v20, 29, v30
	v_and_b32_e32 v28, 7, v28
	v_cmp_gt_u32_e64 s[10:11], 8, v19
	v_cndmask_b32_e64 v19, v27, v20, s[10:11]
	v_cndmask_b32_e64 v20, v25, v28, s[10:11]
	v_lshlrev_b32_e32 v18, 16, v18
	v_bfrev_b32_e32 v25, 60
	v_lshlrev_b32_e32 v20, 20, v20
	v_and_b32_e32 v18, 0x80000000, v18
	v_lshl_add_u32 v19, v19, 23, v25
	v_or3_b32 v18, v18, v19, v20
	v_lshrrev_b32_e32 v25, 16, v18
.LBB756_530:
	s_or_b64 exec, exec, s[26:27]
.LBB756_531:
	s_or_b64 exec, exec, s[24:25]
.LBB756_532:
	s_or_b64 exec, exec, s[12:13]
	s_movk_i32 s10, 0xff
	v_and_b32_sdwa v27, v15, s10 dst_sel:DWORD dst_unused:UNUSED_PAD src0_sel:WORD_1 src1_sel:DWORD
	v_lshrrev_b32_e32 v18, 16, v15
	v_cmp_ne_u16_e64 s[10:11], 0, v27
	v_mov_b32_e32 v19, 0
	v_mov_b32_e32 v20, 0
	s_and_saveexec_b64 s[12:13], s[10:11]
	s_cbranch_execz .LBB756_538
; %bb.533:
	s_movk_i32 s10, 0x80
	v_cmp_ne_u16_e64 s[10:11], s10, v27
	v_mov_b32_e32 v20, 0xffff8000
	s_and_saveexec_b64 s[24:25], s[10:11]
	s_cbranch_execz .LBB756_537
; %bb.534:
	v_bfe_u32 v27, v15, 16, 7
	s_movk_i32 s10, 0x7f
	v_cmp_ne_u32_e64 s[10:11], s10, v27
	v_mov_b32_e32 v20, 0x7f80
	s_and_saveexec_b64 s[26:27], s[10:11]
	s_cbranch_execz .LBB756_536
; %bb.535:
	v_and_b32_e32 v20, 7, v18
	v_ffbh_u32_e32 v28, v20
	v_min_u32_e32 v31, 32, v28
	v_subrev_u32_e32 v28, 28, v31
	v_lshlrev_b64 v[28:29], v28, v[18:19]
	v_lshrrev_b32_e32 v30, 3, v27
	v_sub_u32_e32 v18, 29, v31
	v_and_b32_e32 v28, 7, v28
	v_cmp_gt_u32_e64 s[10:11], 8, v27
	v_mov_b32_e32 v27, 24
	v_cndmask_b32_e64 v18, v30, v18, s[10:11]
	v_cndmask_b32_e64 v20, v20, v28, s[10:11]
	v_lshlrev_b32_sdwa v27, v27, v15 dst_sel:DWORD dst_unused:UNUSED_PAD src0_sel:DWORD src1_sel:WORD_1
	v_bfrev_b32_e32 v28, 60
	v_lshlrev_b32_e32 v20, 20, v20
	v_and_b32_e32 v27, 0x80000000, v27
	v_lshl_add_u32 v18, v18, 23, v28
	v_or3_b32 v18, v27, v18, v20
	v_lshrrev_b32_e32 v20, 16, v18
.LBB756_536:
	s_or_b64 exec, exec, s[26:27]
.LBB756_537:
	s_or_b64 exec, exec, s[24:25]
.LBB756_538:
	s_or_b64 exec, exec, s[12:13]
	s_mov_b32 s10, -1
	s_mov_b32 s11, 0xffffff
	v_cmp_lt_u64_e64 s[10:11], s[10:11], v[14:15]
	s_and_saveexec_b64 s[12:13], s[10:11]
	s_cbranch_execz .LBB756_544
; %bb.539:
	v_lshrrev_b32_e32 v14, 24, v15
	s_movk_i32 s10, 0x80
	v_cmp_ne_u32_e64 s[10:11], s10, v14
	v_mov_b32_e32 v19, 0xffff8000
	s_and_saveexec_b64 s[24:25], s[10:11]
	s_cbranch_execz .LBB756_543
; %bb.540:
	v_bfe_u32 v15, v15, 24, 7
	s_movk_i32 s10, 0x7f
	v_cmp_ne_u32_e64 s[10:11], s10, v15
	v_mov_b32_e32 v19, 0x7f80
	s_and_saveexec_b64 s[26:27], s[10:11]
	s_cbranch_execz .LBB756_542
; %bb.541:
	v_and_b32_e32 v27, 7, v14
	v_ffbh_u32_e32 v18, v27
	v_min_u32_e32 v29, 32, v18
	v_subrev_u32_e32 v18, 28, v29
	v_lshlrev_b64 v[18:19], v18, v[14:15]
	v_lshrrev_b32_e32 v28, 3, v15
	v_sub_u32_e32 v19, 29, v29
	v_and_b32_e32 v18, 7, v18
	v_cmp_gt_u32_e64 s[10:11], 8, v15
	v_cndmask_b32_e64 v15, v28, v19, s[10:11]
	v_cndmask_b32_e64 v18, v27, v18, s[10:11]
	v_lshlrev_b32_e32 v14, 24, v14
	v_bfrev_b32_e32 v19, 60
	v_lshlrev_b32_e32 v18, 20, v18
	v_and_b32_e32 v14, 0x80000000, v14
	v_lshl_add_u32 v15, v15, 23, v19
	v_or3_b32 v14, v14, v15, v18
	v_lshrrev_b32_e32 v19, 16, v14
.LBB756_542:
	s_or_b64 exec, exec, s[26:27]
.LBB756_543:
	s_or_b64 exec, exec, s[24:25]
.LBB756_544:
	s_or_b64 exec, exec, s[12:13]
	s_mov_b32 s10, 0x5040100
	v_perm_b32 v15, v24, v23, s10
	v_perm_b32 v14, v21, v22, s10
	;; [unrolled: 1-line block ×4, first 2 shown]
	v_mfma_f32_4x4x4bf16_1k a[0:3], v[2:3], v[14:15], a[0:3] cbsz:4 abid:10
	v_mov_b32_e32 v20, 0
	v_mfma_f32_4x4x4bf16_1k a[0:3], v[4:5], v[18:19], a[0:3] cbsz:4 abid:10
	v_mov_b32_e32 v19, 0
	v_cmp_ne_u16_sdwa s[10:11], v16, v19 src0_sel:BYTE_0 src1_sel:DWORD
	s_and_saveexec_b64 s[12:13], s[10:11]
	s_cbranch_execz .LBB756_550
; %bb.545:
	s_movk_i32 s10, 0x80
	v_cmp_ne_u16_sdwa s[10:11], v16, s10 src0_sel:BYTE_0 src1_sel:DWORD
	v_mov_b32_e32 v20, 0xffff8000
	s_and_saveexec_b64 s[24:25], s[10:11]
	s_cbranch_execz .LBB756_549
; %bb.546:
	s_movk_i32 s10, 0x7f
	v_and_b32_e32 v14, 0x7f, v16
	v_cmp_ne_u32_e64 s[10:11], s10, v14
	v_mov_b32_e32 v20, 0x7f80
	s_and_saveexec_b64 s[26:27], s[10:11]
	s_cbranch_execz .LBB756_548
; %bb.547:
	v_and_b32_e32 v15, 7, v16
	v_ffbh_u32_e32 v15, v15
	v_min_u32_e32 v15, 32, v15
	v_subrev_u32_e32 v20, 28, v15
	v_cmp_gt_u32_e64 s[10:11], 8, v14
	v_lshrrev_b32_e32 v18, 3, v14
	v_sub_u32_e32 v15, 29, v15
	v_cndmask_b32_e64 v14, 0, v20, s[10:11]
	v_cndmask_b32_e64 v18, v18, v15, s[10:11]
	v_lshlrev_b64 v[14:15], v14, v[16:17]
	v_lshlrev_b32_e32 v14, 20, v14
	v_lshlrev_b32_e32 v15, 24, v16
	v_bfrev_b32_e32 v20, 60
	v_and_b32_e32 v14, 0x700000, v14
	v_and_b32_e32 v15, 0x80000000, v15
	v_lshl_add_u32 v18, v18, 23, v20
	v_or3_b32 v14, v15, v18, v14
	v_lshrrev_b32_e32 v20, 16, v14
.LBB756_548:
	s_or_b64 exec, exec, s[26:27]
.LBB756_549:
	s_or_b64 exec, exec, s[24:25]
.LBB756_550:
	s_or_b64 exec, exec, s[12:13]
	v_lshrrev_b16_e32 v14, 8, v16
	v_cmp_ne_u16_e64 s[10:11], 0, v14
	s_and_saveexec_b64 s[12:13], s[10:11]
	s_cbranch_execz .LBB756_556
; %bb.551:
	s_movk_i32 s10, 0x80
	v_cmp_ne_u16_e64 s[10:11], s10, v14
	v_mov_b32_e32 v19, 0xffff8000
	s_and_saveexec_b64 s[24:25], s[10:11]
	s_cbranch_execz .LBB756_555
; %bb.552:
	s_movk_i32 s10, 0x7f
	v_and_b32_e32 v15, 0x7f, v14
	v_cmp_ne_u32_e64 s[10:11], s10, v15
	v_mov_b32_e32 v19, 0x7f80
	s_and_saveexec_b64 s[26:27], s[10:11]
	s_cbranch_execz .LBB756_554
; %bb.553:
	v_and_b32_e32 v21, 7, v14
	v_ffbh_u32_e32 v18, v21
	v_min_u32_e32 v23, 32, v18
	v_subrev_u32_e32 v18, 28, v23
	v_lshlrev_b64 v[18:19], v18, v[14:15]
	v_lshrrev_b32_e32 v22, 3, v15
	v_sub_u32_e32 v14, 29, v23
	v_and_b32_e32 v18, 7, v18
	v_cmp_gt_u32_e64 s[10:11], 8, v15
	v_cndmask_b32_e64 v14, v22, v14, s[10:11]
	v_cndmask_b32_e64 v15, v21, v18, s[10:11]
	v_lshlrev_b32_e32 v18, 16, v16
	v_bfrev_b32_e32 v19, 60
	v_lshlrev_b32_e32 v15, 20, v15
	v_and_b32_e32 v18, 0x80000000, v18
	v_lshl_add_u32 v14, v14, 23, v19
	v_or3_b32 v14, v18, v14, v15
	v_lshrrev_b32_e32 v19, 16, v14
.LBB756_554:
	s_or_b64 exec, exec, s[26:27]
.LBB756_555:
	s_or_b64 exec, exec, s[24:25]
.LBB756_556:
	s_or_b64 exec, exec, s[12:13]
	s_movk_i32 s10, 0xff
	v_and_b32_sdwa v18, v16, s10 dst_sel:DWORD dst_unused:UNUSED_PAD src0_sel:WORD_1 src1_sel:DWORD
	v_lshrrev_b32_e32 v14, 16, v16
	v_cmp_ne_u16_e64 s[10:11], 0, v18
	v_mov_b32_e32 v15, 0
	v_mov_b32_e32 v21, 0
	s_and_saveexec_b64 s[12:13], s[10:11]
	s_cbranch_execz .LBB756_562
; %bb.557:
	s_movk_i32 s10, 0x80
	v_cmp_ne_u16_e64 s[10:11], s10, v18
	v_mov_b32_e32 v21, 0xffff8000
	s_and_saveexec_b64 s[24:25], s[10:11]
	s_cbranch_execz .LBB756_561
; %bb.558:
	v_bfe_u32 v18, v16, 16, 7
	s_movk_i32 s10, 0x7f
	v_cmp_ne_u32_e64 s[10:11], s10, v18
	v_mov_b32_e32 v21, 0x7f80
	s_and_saveexec_b64 s[26:27], s[10:11]
	s_cbranch_execz .LBB756_560
; %bb.559:
	v_and_b32_e32 v21, 7, v14
	v_ffbh_u32_e32 v22, v21
	v_min_u32_e32 v25, 32, v22
	v_subrev_u32_e32 v22, 28, v25
	v_lshlrev_b64 v[22:23], v22, v[14:15]
	v_and_b32_e32 v22, 7, v22
	v_cmp_gt_u32_e64 s[10:11], 8, v18
	v_lshrrev_b32_e32 v24, 3, v18
	v_sub_u32_e32 v14, 29, v25
	v_cndmask_b32_e64 v18, v21, v22, s[10:11]
	v_mov_b32_e32 v21, 24
	v_cndmask_b32_e64 v14, v24, v14, s[10:11]
	v_lshlrev_b32_sdwa v21, v21, v16 dst_sel:DWORD dst_unused:UNUSED_PAD src0_sel:DWORD src1_sel:WORD_1
	v_bfrev_b32_e32 v22, 60
	v_lshlrev_b32_e32 v18, 20, v18
	v_and_b32_e32 v21, 0x80000000, v21
	v_lshl_add_u32 v14, v14, 23, v22
	v_or3_b32 v14, v21, v14, v18
	v_lshrrev_b32_e32 v21, 16, v14
.LBB756_560:
	s_or_b64 exec, exec, s[26:27]
.LBB756_561:
	s_or_b64 exec, exec, s[24:25]
.LBB756_562:
	s_or_b64 exec, exec, s[12:13]
	s_mov_b32 s10, 0xffffff
	v_cmp_lt_u32_e64 s[10:11], s10, v16
	v_mov_b32_e32 v22, 0
	s_and_saveexec_b64 s[12:13], s[10:11]
	s_cbranch_execz .LBB756_568
; %bb.563:
	v_lshrrev_b32_e32 v14, 24, v16
	s_movk_i32 s10, 0x80
	v_cmp_ne_u32_e64 s[10:11], s10, v14
	v_mov_b32_e32 v22, 0xffff8000
	s_and_saveexec_b64 s[24:25], s[10:11]
	s_cbranch_execz .LBB756_567
; %bb.564:
	v_bfe_u32 v18, v16, 24, 7
	s_movk_i32 s10, 0x7f
	v_cmp_ne_u32_e64 s[10:11], s10, v18
	v_mov_b32_e32 v22, 0x7f80
	s_and_saveexec_b64 s[26:27], s[10:11]
	s_cbranch_execz .LBB756_566
; %bb.565:
	v_and_b32_e32 v24, 7, v14
	v_ffbh_u32_e32 v22, v24
	v_min_u32_e32 v26, 32, v22
	v_subrev_u32_e32 v22, 28, v26
	v_lshlrev_b64 v[22:23], v22, v[14:15]
	v_lshrrev_b32_e32 v25, 3, v18
	v_sub_u32_e32 v23, 29, v26
	v_and_b32_e32 v22, 7, v22
	v_cmp_gt_u32_e64 s[10:11], 8, v18
	v_cndmask_b32_e64 v18, v25, v23, s[10:11]
	v_cndmask_b32_e64 v22, v24, v22, s[10:11]
	v_lshlrev_b32_e32 v14, 24, v14
	v_bfrev_b32_e32 v23, 60
	v_lshlrev_b32_e32 v22, 20, v22
	v_and_b32_e32 v14, 0x80000000, v14
	v_lshl_add_u32 v18, v18, 23, v23
	v_or3_b32 v14, v14, v18, v22
	v_lshrrev_b32_e32 v22, 16, v14
.LBB756_566:
	s_or_b64 exec, exec, s[26:27]
.LBB756_567:
	s_or_b64 exec, exec, s[24:25]
.LBB756_568:
	s_or_b64 exec, exec, s[12:13]
	v_mov_b32_e32 v23, 0
	v_mov_b32_e32 v14, v17
	v_cmp_ne_u16_sdwa s[10:11], v17, v23 src0_sel:BYTE_0 src1_sel:DWORD
	v_mov_b32_e32 v24, 0
	s_and_saveexec_b64 s[12:13], s[10:11]
	s_cbranch_execz .LBB756_574
; %bb.569:
	s_movk_i32 s10, 0x80
	v_cmp_ne_u16_sdwa s[10:11], v17, s10 src0_sel:BYTE_0 src1_sel:DWORD
	v_mov_b32_e32 v24, 0xffff8000
	s_and_saveexec_b64 s[24:25], s[10:11]
	s_cbranch_execz .LBB756_573
; %bb.570:
	s_movk_i32 s10, 0x7f
	v_and_b32_e32 v18, 0x7f, v17
	v_cmp_ne_u32_e64 s[10:11], s10, v18
	v_mov_b32_e32 v24, 0x7f80
	s_and_saveexec_b64 s[26:27], s[10:11]
	s_cbranch_execz .LBB756_572
; %bb.571:
	v_and_b32_e32 v24, 7, v17
	v_ffbh_u32_e32 v24, v24
	v_min_u32_e32 v24, 32, v24
	v_lshrrev_b32_e32 v25, 3, v18
	v_subrev_u32_e32 v26, 28, v24
	v_sub_u32_e32 v24, 29, v24
	v_cmp_gt_u32_e64 s[10:11], 8, v18
	v_cndmask_b32_e64 v18, v25, v24, s[10:11]
	v_cndmask_b32_e64 v24, 0, v26, s[10:11]
	v_lshlrev_b64 v[24:25], v24, v[14:15]
	v_lshlrev_b32_e32 v15, 20, v24
	v_lshlrev_b32_e32 v24, 24, v14
	v_bfrev_b32_e32 v25, 60
	v_and_b32_e32 v15, 0x700000, v15
	v_and_b32_e32 v24, 0x80000000, v24
	v_lshl_add_u32 v18, v18, 23, v25
	v_or3_b32 v15, v24, v18, v15
	v_lshrrev_b32_e32 v24, 16, v15
.LBB756_572:
	s_or_b64 exec, exec, s[26:27]
.LBB756_573:
	s_or_b64 exec, exec, s[24:25]
.LBB756_574:
	s_or_b64 exec, exec, s[12:13]
	v_lshrrev_b16_e32 v18, 8, v14
	v_cmp_ne_u16_e64 s[10:11], 0, v18
	s_and_saveexec_b64 s[12:13], s[10:11]
	s_cbranch_execz .LBB756_580
; %bb.575:
	s_movk_i32 s10, 0x80
	v_cmp_ne_u16_e64 s[10:11], s10, v18
	v_mov_b32_e32 v23, 0xffff8000
	s_and_saveexec_b64 s[24:25], s[10:11]
	s_cbranch_execz .LBB756_579
; %bb.576:
	s_movk_i32 s10, 0x7f
	v_and_b32_e32 v15, 0x7f, v18
	v_cmp_ne_u32_e64 s[10:11], s10, v15
	v_mov_b32_e32 v23, 0x7f80
	s_and_saveexec_b64 s[26:27], s[10:11]
	s_cbranch_execz .LBB756_578
; %bb.577:
	v_and_b32_e32 v23, 7, v18
	v_ffbh_u32_e32 v26, v23
	v_min_u32_e32 v28, 32, v26
	v_subrev_u32_e32 v26, 28, v28
	v_lshlrev_b64 v[26:27], v26, v[18:19]
	v_lshrrev_b32_e32 v25, 3, v15
	v_sub_u32_e32 v18, 29, v28
	v_and_b32_e32 v26, 7, v26
	v_cmp_gt_u32_e64 s[10:11], 8, v15
	v_cndmask_b32_e64 v15, v25, v18, s[10:11]
	v_cndmask_b32_e64 v18, v23, v26, s[10:11]
	v_lshlrev_b32_e32 v14, 16, v14
	v_bfrev_b32_e32 v23, 60
	v_lshlrev_b32_e32 v18, 20, v18
	v_and_b32_e32 v14, 0x80000000, v14
	v_lshl_add_u32 v15, v15, 23, v23
	v_or3_b32 v14, v14, v15, v18
	v_lshrrev_b32_e32 v23, 16, v14
.LBB756_578:
	s_or_b64 exec, exec, s[26:27]
.LBB756_579:
	s_or_b64 exec, exec, s[24:25]
.LBB756_580:
	s_or_b64 exec, exec, s[12:13]
	s_movk_i32 s10, 0xff
	v_and_b32_sdwa v25, v17, s10 dst_sel:DWORD dst_unused:UNUSED_PAD src0_sel:WORD_1 src1_sel:DWORD
	v_lshrrev_b32_e32 v14, 16, v17
	v_cmp_ne_u16_e64 s[10:11], 0, v25
	v_mov_b32_e32 v15, 0
	v_mov_b32_e32 v18, 0
	s_and_saveexec_b64 s[12:13], s[10:11]
	s_cbranch_execz .LBB756_586
; %bb.581:
	s_movk_i32 s10, 0x80
	v_cmp_ne_u16_e64 s[10:11], s10, v25
	v_mov_b32_e32 v18, 0xffff8000
	s_and_saveexec_b64 s[24:25], s[10:11]
	s_cbranch_execz .LBB756_585
; %bb.582:
	v_bfe_u32 v25, v17, 16, 7
	s_movk_i32 s10, 0x7f
	v_cmp_ne_u32_e64 s[10:11], s10, v25
	v_mov_b32_e32 v18, 0x7f80
	s_and_saveexec_b64 s[26:27], s[10:11]
	s_cbranch_execz .LBB756_584
; %bb.583:
	v_and_b32_e32 v18, 7, v14
	v_ffbh_u32_e32 v26, v18
	v_min_u32_e32 v29, 32, v26
	v_subrev_u32_e32 v26, 28, v29
	v_lshlrev_b64 v[26:27], v26, v[14:15]
	v_lshrrev_b32_e32 v28, 3, v25
	v_sub_u32_e32 v14, 29, v29
	v_and_b32_e32 v26, 7, v26
	v_cmp_gt_u32_e64 s[10:11], 8, v25
	v_mov_b32_e32 v25, 24
	v_cndmask_b32_e64 v14, v28, v14, s[10:11]
	v_cndmask_b32_e64 v18, v18, v26, s[10:11]
	v_lshlrev_b32_sdwa v25, v25, v17 dst_sel:DWORD dst_unused:UNUSED_PAD src0_sel:DWORD src1_sel:WORD_1
	v_bfrev_b32_e32 v26, 60
	v_lshlrev_b32_e32 v18, 20, v18
	v_and_b32_e32 v25, 0x80000000, v25
	v_lshl_add_u32 v14, v14, 23, v26
	v_or3_b32 v14, v25, v14, v18
	v_lshrrev_b32_e32 v18, 16, v14
.LBB756_584:
	s_or_b64 exec, exec, s[26:27]
.LBB756_585:
	s_or_b64 exec, exec, s[24:25]
.LBB756_586:
	s_or_b64 exec, exec, s[12:13]
	s_mov_b32 s10, -1
	s_mov_b32 s11, 0xffffff
	v_cmp_lt_u64_e64 s[10:11], s[10:11], v[16:17]
	s_and_saveexec_b64 s[12:13], s[10:11]
	s_cbranch_execz .LBB756_592
; %bb.587:
	v_lshrrev_b32_e32 v14, 24, v17
	s_movk_i32 s10, 0x80
	v_cmp_ne_u32_e64 s[10:11], s10, v14
	v_mov_b32_e32 v15, 0xffff8000
	s_and_saveexec_b64 s[24:25], s[10:11]
	s_cbranch_execz .LBB756_591
; %bb.588:
	v_bfe_u32 v16, v17, 24, 7
	s_movk_i32 s10, 0x7f
	v_cmp_ne_u32_e64 s[10:11], s10, v16
	v_mov_b32_e32 v15, 0x7f80
	s_and_saveexec_b64 s[26:27], s[10:11]
	s_cbranch_execz .LBB756_590
; %bb.589:
	v_and_b32_e32 v15, 7, v14
	v_ffbh_u32_e32 v25, v15
	v_min_u32_e32 v25, 32, v25
	v_subrev_u32_e32 v26, 28, v25
	v_lshlrev_b64 v[26:27], v26, v[14:15]
	v_lshrrev_b32_e32 v17, 3, v16
	v_sub_u32_e32 v25, 29, v25
	v_and_b32_e32 v26, 7, v26
	v_cmp_gt_u32_e64 s[10:11], 8, v16
	v_cndmask_b32_e64 v16, v17, v25, s[10:11]
	v_cndmask_b32_e64 v15, v15, v26, s[10:11]
	v_lshlrev_b32_e32 v14, 24, v14
	v_bfrev_b32_e32 v17, 60
	v_lshlrev_b32_e32 v15, 20, v15
	v_and_b32_e32 v14, 0x80000000, v14
	v_lshl_add_u32 v16, v16, 23, v17
	v_or3_b32 v14, v14, v16, v15
	v_lshrrev_b32_e32 v15, 16, v14
.LBB756_590:
	s_or_b64 exec, exec, s[26:27]
.LBB756_591:
	s_or_b64 exec, exec, s[24:25]
.LBB756_592:
	s_or_b64 exec, exec, s[12:13]
	s_mov_b32 s10, 0x5040100
	v_perm_b32 v17, v22, v21, s10
	v_perm_b32 v16, v19, v20, s10
	;; [unrolled: 1-line block ×4, first 2 shown]
	v_mfma_f32_4x4x4bf16_1k a[0:3], v[2:3], v[16:17], a[0:3] cbsz:4 abid:11
	v_mov_b32_e32 v17, 0
	v_mfma_f32_4x4x4bf16_1k a[0:3], v[4:5], v[14:15], a[0:3] cbsz:4 abid:11
	v_cmp_ne_u16_sdwa s[10:11], v10, v17 src0_sel:BYTE_0 src1_sel:DWORD
	v_mov_b32_e32 v18, 0
	s_and_saveexec_b64 s[12:13], s[10:11]
	s_cbranch_execz .LBB756_598
; %bb.593:
	s_movk_i32 s10, 0x80
	v_cmp_ne_u16_sdwa s[10:11], v10, s10 src0_sel:BYTE_0 src1_sel:DWORD
	v_mov_b32_e32 v18, 0xffff8000
	s_and_saveexec_b64 s[24:25], s[10:11]
	s_cbranch_execz .LBB756_597
; %bb.594:
	s_movk_i32 s10, 0x7f
	v_and_b32_e32 v14, 0x7f, v10
	v_cmp_ne_u32_e64 s[10:11], s10, v14
	v_mov_b32_e32 v18, 0x7f80
	s_and_saveexec_b64 s[26:27], s[10:11]
	s_cbranch_execz .LBB756_596
; %bb.595:
	v_and_b32_e32 v15, 7, v10
	v_ffbh_u32_e32 v15, v15
	v_min_u32_e32 v15, 32, v15
	v_subrev_u32_e32 v18, 28, v15
	v_cmp_gt_u32_e64 s[10:11], 8, v14
	v_lshrrev_b32_e32 v16, 3, v14
	v_sub_u32_e32 v15, 29, v15
	v_cndmask_b32_e64 v14, 0, v18, s[10:11]
	v_cndmask_b32_e64 v16, v16, v15, s[10:11]
	v_lshlrev_b64 v[14:15], v14, v[10:11]
	v_lshlrev_b32_e32 v14, 20, v14
	v_lshlrev_b32_e32 v15, 24, v10
	v_bfrev_b32_e32 v18, 60
	v_and_b32_e32 v14, 0x700000, v14
	v_and_b32_e32 v15, 0x80000000, v15
	v_lshl_add_u32 v16, v16, 23, v18
	v_or3_b32 v14, v15, v16, v14
	v_lshrrev_b32_e32 v18, 16, v14
.LBB756_596:
	s_or_b64 exec, exec, s[26:27]
.LBB756_597:
	s_or_b64 exec, exec, s[24:25]
.LBB756_598:
	s_or_b64 exec, exec, s[12:13]
	v_lshrrev_b16_e32 v14, 8, v10
	v_cmp_ne_u16_e64 s[10:11], 0, v14
	s_and_saveexec_b64 s[12:13], s[10:11]
	s_cbranch_execz .LBB756_604
; %bb.599:
	s_movk_i32 s10, 0x80
	v_cmp_ne_u16_e64 s[10:11], s10, v14
	v_mov_b32_e32 v17, 0xffff8000
	s_and_saveexec_b64 s[24:25], s[10:11]
	s_cbranch_execz .LBB756_603
; %bb.600:
	s_movk_i32 s10, 0x7f
	v_and_b32_e32 v15, 0x7f, v14
	v_cmp_ne_u32_e64 s[10:11], s10, v15
	v_mov_b32_e32 v17, 0x7f80
	s_and_saveexec_b64 s[26:27], s[10:11]
	s_cbranch_execz .LBB756_602
; %bb.601:
	v_and_b32_e32 v19, 7, v14
	v_ffbh_u32_e32 v16, v19
	v_min_u32_e32 v21, 32, v16
	v_subrev_u32_e32 v16, 28, v21
	v_lshlrev_b64 v[16:17], v16, v[14:15]
	v_lshrrev_b32_e32 v20, 3, v15
	v_sub_u32_e32 v14, 29, v21
	v_and_b32_e32 v16, 7, v16
	v_cmp_gt_u32_e64 s[10:11], 8, v15
	v_cndmask_b32_e64 v14, v20, v14, s[10:11]
	v_cndmask_b32_e64 v15, v19, v16, s[10:11]
	v_lshlrev_b32_e32 v16, 16, v10
	v_bfrev_b32_e32 v17, 60
	v_lshlrev_b32_e32 v15, 20, v15
	v_and_b32_e32 v16, 0x80000000, v16
	v_lshl_add_u32 v14, v14, 23, v17
	v_or3_b32 v14, v16, v14, v15
	v_lshrrev_b32_e32 v17, 16, v14
.LBB756_602:
	s_or_b64 exec, exec, s[26:27]
.LBB756_603:
	s_or_b64 exec, exec, s[24:25]
.LBB756_604:
	s_or_b64 exec, exec, s[12:13]
	s_movk_i32 s10, 0xff
	v_and_b32_sdwa v16, v10, s10 dst_sel:DWORD dst_unused:UNUSED_PAD src0_sel:WORD_1 src1_sel:DWORD
	v_lshrrev_b32_e32 v14, 16, v10
	v_cmp_ne_u16_e64 s[10:11], 0, v16
	v_mov_b32_e32 v15, 0
	v_mov_b32_e32 v19, 0
	s_and_saveexec_b64 s[12:13], s[10:11]
	s_cbranch_execz .LBB756_610
; %bb.605:
	s_movk_i32 s10, 0x80
	v_cmp_ne_u16_e64 s[10:11], s10, v16
	v_mov_b32_e32 v19, 0xffff8000
	s_and_saveexec_b64 s[24:25], s[10:11]
	s_cbranch_execz .LBB756_609
; %bb.606:
	v_bfe_u32 v16, v10, 16, 7
	s_movk_i32 s10, 0x7f
	v_cmp_ne_u32_e64 s[10:11], s10, v16
	v_mov_b32_e32 v19, 0x7f80
	s_and_saveexec_b64 s[26:27], s[10:11]
	s_cbranch_execz .LBB756_608
; %bb.607:
	v_and_b32_e32 v19, 7, v14
	v_ffbh_u32_e32 v20, v19
	v_min_u32_e32 v23, 32, v20
	v_subrev_u32_e32 v20, 28, v23
	v_lshlrev_b64 v[20:21], v20, v[14:15]
	v_and_b32_e32 v20, 7, v20
	v_cmp_gt_u32_e64 s[10:11], 8, v16
	v_lshrrev_b32_e32 v22, 3, v16
	v_sub_u32_e32 v14, 29, v23
	v_cndmask_b32_e64 v16, v19, v20, s[10:11]
	v_mov_b32_e32 v19, 24
	v_cndmask_b32_e64 v14, v22, v14, s[10:11]
	v_lshlrev_b32_sdwa v19, v19, v10 dst_sel:DWORD dst_unused:UNUSED_PAD src0_sel:DWORD src1_sel:WORD_1
	v_bfrev_b32_e32 v20, 60
	v_lshlrev_b32_e32 v16, 20, v16
	v_and_b32_e32 v19, 0x80000000, v19
	v_lshl_add_u32 v14, v14, 23, v20
	v_or3_b32 v14, v19, v14, v16
	v_lshrrev_b32_e32 v19, 16, v14
.LBB756_608:
	s_or_b64 exec, exec, s[26:27]
.LBB756_609:
	s_or_b64 exec, exec, s[24:25]
.LBB756_610:
	s_or_b64 exec, exec, s[12:13]
	s_mov_b32 s10, 0xffffff
	v_cmp_lt_u32_e64 s[10:11], s10, v10
	v_mov_b32_e32 v20, 0
	s_and_saveexec_b64 s[12:13], s[10:11]
	s_cbranch_execz .LBB756_616
; %bb.611:
	v_lshrrev_b32_e32 v14, 24, v10
	s_movk_i32 s10, 0x80
	v_cmp_ne_u32_e64 s[10:11], s10, v14
	v_mov_b32_e32 v20, 0xffff8000
	s_and_saveexec_b64 s[24:25], s[10:11]
	s_cbranch_execz .LBB756_615
; %bb.612:
	v_bfe_u32 v16, v10, 24, 7
	s_movk_i32 s10, 0x7f
	v_cmp_ne_u32_e64 s[10:11], s10, v16
	v_mov_b32_e32 v20, 0x7f80
	s_and_saveexec_b64 s[26:27], s[10:11]
	s_cbranch_execz .LBB756_614
; %bb.613:
	v_and_b32_e32 v22, 7, v14
	v_ffbh_u32_e32 v20, v22
	v_min_u32_e32 v24, 32, v20
	v_subrev_u32_e32 v20, 28, v24
	v_lshlrev_b64 v[20:21], v20, v[14:15]
	v_lshrrev_b32_e32 v23, 3, v16
	v_sub_u32_e32 v21, 29, v24
	v_and_b32_e32 v20, 7, v20
	v_cmp_gt_u32_e64 s[10:11], 8, v16
	v_cndmask_b32_e64 v16, v23, v21, s[10:11]
	v_cndmask_b32_e64 v20, v22, v20, s[10:11]
	v_lshlrev_b32_e32 v14, 24, v14
	v_bfrev_b32_e32 v21, 60
	v_lshlrev_b32_e32 v20, 20, v20
	v_and_b32_e32 v14, 0x80000000, v14
	v_lshl_add_u32 v16, v16, 23, v21
	v_or3_b32 v14, v14, v16, v20
	v_lshrrev_b32_e32 v20, 16, v14
.LBB756_614:
	s_or_b64 exec, exec, s[26:27]
.LBB756_615:
	s_or_b64 exec, exec, s[24:25]
.LBB756_616:
	s_or_b64 exec, exec, s[12:13]
	v_mov_b32_e32 v21, 0
	v_mov_b32_e32 v14, v11
	v_cmp_ne_u16_sdwa s[10:11], v11, v21 src0_sel:BYTE_0 src1_sel:DWORD
	v_mov_b32_e32 v22, 0
	s_and_saveexec_b64 s[12:13], s[10:11]
	s_cbranch_execz .LBB756_622
; %bb.617:
	s_movk_i32 s10, 0x80
	v_cmp_ne_u16_sdwa s[10:11], v11, s10 src0_sel:BYTE_0 src1_sel:DWORD
	v_mov_b32_e32 v22, 0xffff8000
	s_and_saveexec_b64 s[24:25], s[10:11]
	s_cbranch_execz .LBB756_621
; %bb.618:
	s_movk_i32 s10, 0x7f
	v_and_b32_e32 v16, 0x7f, v11
	v_cmp_ne_u32_e64 s[10:11], s10, v16
	v_mov_b32_e32 v22, 0x7f80
	s_and_saveexec_b64 s[26:27], s[10:11]
	s_cbranch_execz .LBB756_620
; %bb.619:
	v_and_b32_e32 v22, 7, v11
	v_ffbh_u32_e32 v22, v22
	v_min_u32_e32 v22, 32, v22
	v_lshrrev_b32_e32 v23, 3, v16
	v_subrev_u32_e32 v24, 28, v22
	v_sub_u32_e32 v22, 29, v22
	v_cmp_gt_u32_e64 s[10:11], 8, v16
	v_cndmask_b32_e64 v16, v23, v22, s[10:11]
	v_cndmask_b32_e64 v22, 0, v24, s[10:11]
	v_lshlrev_b64 v[22:23], v22, v[14:15]
	v_lshlrev_b32_e32 v15, 20, v22
	v_lshlrev_b32_e32 v22, 24, v14
	v_bfrev_b32_e32 v23, 60
	v_and_b32_e32 v15, 0x700000, v15
	v_and_b32_e32 v22, 0x80000000, v22
	v_lshl_add_u32 v16, v16, 23, v23
	v_or3_b32 v15, v22, v16, v15
	v_lshrrev_b32_e32 v22, 16, v15
.LBB756_620:
	s_or_b64 exec, exec, s[26:27]
.LBB756_621:
	s_or_b64 exec, exec, s[24:25]
.LBB756_622:
	s_or_b64 exec, exec, s[12:13]
	v_lshrrev_b16_e32 v16, 8, v14
	v_cmp_ne_u16_e64 s[10:11], 0, v16
	s_and_saveexec_b64 s[12:13], s[10:11]
	s_cbranch_execz .LBB756_628
; %bb.623:
	s_movk_i32 s10, 0x80
	v_cmp_ne_u16_e64 s[10:11], s10, v16
	v_mov_b32_e32 v21, 0xffff8000
	s_and_saveexec_b64 s[24:25], s[10:11]
	s_cbranch_execz .LBB756_627
; %bb.624:
	s_movk_i32 s10, 0x7f
	v_and_b32_e32 v15, 0x7f, v16
	v_cmp_ne_u32_e64 s[10:11], s10, v15
	v_mov_b32_e32 v21, 0x7f80
	s_and_saveexec_b64 s[26:27], s[10:11]
	s_cbranch_execz .LBB756_626
; %bb.625:
	v_and_b32_e32 v21, 7, v16
	v_ffbh_u32_e32 v24, v21
	v_min_u32_e32 v26, 32, v24
	v_subrev_u32_e32 v24, 28, v26
	v_lshlrev_b64 v[24:25], v24, v[16:17]
	v_lshrrev_b32_e32 v23, 3, v15
	v_sub_u32_e32 v16, 29, v26
	v_and_b32_e32 v24, 7, v24
	v_cmp_gt_u32_e64 s[10:11], 8, v15
	v_cndmask_b32_e64 v15, v23, v16, s[10:11]
	v_cndmask_b32_e64 v16, v21, v24, s[10:11]
	v_lshlrev_b32_e32 v14, 16, v14
	v_bfrev_b32_e32 v21, 60
	v_lshlrev_b32_e32 v16, 20, v16
	v_and_b32_e32 v14, 0x80000000, v14
	v_lshl_add_u32 v15, v15, 23, v21
	v_or3_b32 v14, v14, v15, v16
	v_lshrrev_b32_e32 v21, 16, v14
.LBB756_626:
	s_or_b64 exec, exec, s[26:27]
.LBB756_627:
	s_or_b64 exec, exec, s[24:25]
.LBB756_628:
	s_or_b64 exec, exec, s[12:13]
	s_movk_i32 s10, 0xff
	v_and_b32_sdwa v23, v11, s10 dst_sel:DWORD dst_unused:UNUSED_PAD src0_sel:WORD_1 src1_sel:DWORD
	v_lshrrev_b32_e32 v14, 16, v11
	v_cmp_ne_u16_e64 s[10:11], 0, v23
	v_mov_b32_e32 v15, 0
	v_mov_b32_e32 v16, 0
	s_and_saveexec_b64 s[12:13], s[10:11]
	s_cbranch_execz .LBB756_634
; %bb.629:
	s_movk_i32 s10, 0x80
	v_cmp_ne_u16_e64 s[10:11], s10, v23
	v_mov_b32_e32 v16, 0xffff8000
	s_and_saveexec_b64 s[24:25], s[10:11]
	s_cbranch_execz .LBB756_633
; %bb.630:
	v_bfe_u32 v23, v11, 16, 7
	s_movk_i32 s10, 0x7f
	v_cmp_ne_u32_e64 s[10:11], s10, v23
	v_mov_b32_e32 v16, 0x7f80
	s_and_saveexec_b64 s[26:27], s[10:11]
	s_cbranch_execz .LBB756_632
; %bb.631:
	v_and_b32_e32 v16, 7, v14
	v_ffbh_u32_e32 v24, v16
	v_min_u32_e32 v27, 32, v24
	v_subrev_u32_e32 v24, 28, v27
	v_lshlrev_b64 v[24:25], v24, v[14:15]
	v_lshrrev_b32_e32 v26, 3, v23
	v_sub_u32_e32 v14, 29, v27
	v_and_b32_e32 v24, 7, v24
	v_cmp_gt_u32_e64 s[10:11], 8, v23
	v_mov_b32_e32 v23, 24
	v_cndmask_b32_e64 v14, v26, v14, s[10:11]
	v_cndmask_b32_e64 v16, v16, v24, s[10:11]
	v_lshlrev_b32_sdwa v23, v23, v11 dst_sel:DWORD dst_unused:UNUSED_PAD src0_sel:DWORD src1_sel:WORD_1
	v_bfrev_b32_e32 v24, 60
	v_lshlrev_b32_e32 v16, 20, v16
	v_and_b32_e32 v23, 0x80000000, v23
	v_lshl_add_u32 v14, v14, 23, v24
	v_or3_b32 v14, v23, v14, v16
	v_lshrrev_b32_e32 v16, 16, v14
.LBB756_632:
	s_or_b64 exec, exec, s[26:27]
.LBB756_633:
	s_or_b64 exec, exec, s[24:25]
.LBB756_634:
	s_or_b64 exec, exec, s[12:13]
	s_mov_b32 s10, -1
	s_mov_b32 s11, 0xffffff
	v_cmp_lt_u64_e64 s[10:11], s[10:11], v[10:11]
	s_and_saveexec_b64 s[12:13], s[10:11]
	s_cbranch_execz .LBB756_640
; %bb.635:
	v_lshrrev_b32_e32 v10, 24, v11
	s_movk_i32 s10, 0x80
	v_cmp_ne_u32_e64 s[10:11], s10, v10
	v_mov_b32_e32 v15, 0xffff8000
	s_and_saveexec_b64 s[24:25], s[10:11]
	s_cbranch_execz .LBB756_639
; %bb.636:
	v_bfe_u32 v11, v11, 24, 7
	s_movk_i32 s10, 0x7f
	v_cmp_ne_u32_e64 s[10:11], s10, v11
	v_mov_b32_e32 v15, 0x7f80
	s_and_saveexec_b64 s[26:27], s[10:11]
	s_cbranch_execz .LBB756_638
; %bb.637:
	v_and_b32_e32 v23, 7, v10
	v_ffbh_u32_e32 v14, v23
	v_min_u32_e32 v25, 32, v14
	v_subrev_u32_e32 v14, 28, v25
	v_lshlrev_b64 v[14:15], v14, v[10:11]
	v_lshrrev_b32_e32 v24, 3, v11
	v_sub_u32_e32 v15, 29, v25
	v_and_b32_e32 v14, 7, v14
	v_cmp_gt_u32_e64 s[10:11], 8, v11
	v_cndmask_b32_e64 v11, v24, v15, s[10:11]
	v_cndmask_b32_e64 v14, v23, v14, s[10:11]
	v_lshlrev_b32_e32 v10, 24, v10
	v_bfrev_b32_e32 v15, 60
	v_lshlrev_b32_e32 v14, 20, v14
	v_and_b32_e32 v10, 0x80000000, v10
	v_lshl_add_u32 v11, v11, 23, v15
	v_or3_b32 v10, v10, v11, v14
	v_lshrrev_b32_e32 v15, 16, v10
.LBB756_638:
	s_or_b64 exec, exec, s[26:27]
.LBB756_639:
	s_or_b64 exec, exec, s[24:25]
.LBB756_640:
	s_or_b64 exec, exec, s[12:13]
	s_mov_b32 s10, 0x5040100
	v_perm_b32 v11, v20, v19, s10
	v_perm_b32 v10, v17, v18, s10
	;; [unrolled: 1-line block ×4, first 2 shown]
	v_mfma_f32_4x4x4bf16_1k a[0:3], v[2:3], v[10:11], a[0:3] cbsz:4 abid:12
	v_mov_b32_e32 v16, 0
	v_mfma_f32_4x4x4bf16_1k a[0:3], v[4:5], v[14:15], a[0:3] cbsz:4 abid:12
	v_mov_b32_e32 v15, 0
	v_cmp_ne_u16_sdwa s[10:11], v12, v15 src0_sel:BYTE_0 src1_sel:DWORD
	s_and_saveexec_b64 s[12:13], s[10:11]
	s_cbranch_execz .LBB756_646
; %bb.641:
	s_movk_i32 s10, 0x80
	v_cmp_ne_u16_sdwa s[10:11], v12, s10 src0_sel:BYTE_0 src1_sel:DWORD
	v_mov_b32_e32 v16, 0xffff8000
	s_and_saveexec_b64 s[24:25], s[10:11]
	s_cbranch_execz .LBB756_645
; %bb.642:
	s_movk_i32 s10, 0x7f
	v_and_b32_e32 v10, 0x7f, v12
	v_cmp_ne_u32_e64 s[10:11], s10, v10
	v_mov_b32_e32 v16, 0x7f80
	s_and_saveexec_b64 s[26:27], s[10:11]
	s_cbranch_execz .LBB756_644
; %bb.643:
	v_and_b32_e32 v11, 7, v12
	v_ffbh_u32_e32 v11, v11
	v_min_u32_e32 v11, 32, v11
	v_subrev_u32_e32 v16, 28, v11
	v_cmp_gt_u32_e64 s[10:11], 8, v10
	v_lshrrev_b32_e32 v14, 3, v10
	v_sub_u32_e32 v11, 29, v11
	v_cndmask_b32_e64 v10, 0, v16, s[10:11]
	v_cndmask_b32_e64 v14, v14, v11, s[10:11]
	v_lshlrev_b64 v[10:11], v10, v[12:13]
	v_lshlrev_b32_e32 v10, 20, v10
	v_lshlrev_b32_e32 v11, 24, v12
	v_bfrev_b32_e32 v16, 60
	v_and_b32_e32 v10, 0x700000, v10
	v_and_b32_e32 v11, 0x80000000, v11
	v_lshl_add_u32 v14, v14, 23, v16
	v_or3_b32 v10, v11, v14, v10
	v_lshrrev_b32_e32 v16, 16, v10
.LBB756_644:
	s_or_b64 exec, exec, s[26:27]
.LBB756_645:
	s_or_b64 exec, exec, s[24:25]
.LBB756_646:
	s_or_b64 exec, exec, s[12:13]
	v_lshrrev_b16_e32 v10, 8, v12
	v_cmp_ne_u16_e64 s[10:11], 0, v10
	s_and_saveexec_b64 s[12:13], s[10:11]
	s_cbranch_execz .LBB756_652
; %bb.647:
	s_movk_i32 s10, 0x80
	v_cmp_ne_u16_e64 s[10:11], s10, v10
	v_mov_b32_e32 v15, 0xffff8000
	s_and_saveexec_b64 s[24:25], s[10:11]
	s_cbranch_execz .LBB756_651
; %bb.648:
	s_movk_i32 s10, 0x7f
	v_and_b32_e32 v11, 0x7f, v10
	v_cmp_ne_u32_e64 s[10:11], s10, v11
	v_mov_b32_e32 v15, 0x7f80
	s_and_saveexec_b64 s[26:27], s[10:11]
	s_cbranch_execz .LBB756_650
; %bb.649:
	v_and_b32_e32 v17, 7, v10
	v_ffbh_u32_e32 v14, v17
	v_min_u32_e32 v19, 32, v14
	v_subrev_u32_e32 v14, 28, v19
	v_lshlrev_b64 v[14:15], v14, v[10:11]
	v_lshrrev_b32_e32 v18, 3, v11
	v_sub_u32_e32 v10, 29, v19
	v_and_b32_e32 v14, 7, v14
	v_cmp_gt_u32_e64 s[10:11], 8, v11
	v_cndmask_b32_e64 v10, v18, v10, s[10:11]
	v_cndmask_b32_e64 v11, v17, v14, s[10:11]
	v_lshlrev_b32_e32 v14, 16, v12
	v_bfrev_b32_e32 v15, 60
	v_lshlrev_b32_e32 v11, 20, v11
	v_and_b32_e32 v14, 0x80000000, v14
	v_lshl_add_u32 v10, v10, 23, v15
	v_or3_b32 v10, v14, v10, v11
	v_lshrrev_b32_e32 v15, 16, v10
.LBB756_650:
	s_or_b64 exec, exec, s[26:27]
.LBB756_651:
	s_or_b64 exec, exec, s[24:25]
.LBB756_652:
	s_or_b64 exec, exec, s[12:13]
	s_movk_i32 s10, 0xff
	v_and_b32_sdwa v14, v12, s10 dst_sel:DWORD dst_unused:UNUSED_PAD src0_sel:WORD_1 src1_sel:DWORD
	v_lshrrev_b32_e32 v10, 16, v12
	v_cmp_ne_u16_e64 s[10:11], 0, v14
	v_mov_b32_e32 v11, 0
	v_mov_b32_e32 v17, 0
	s_and_saveexec_b64 s[12:13], s[10:11]
	s_cbranch_execz .LBB756_658
; %bb.653:
	s_movk_i32 s10, 0x80
	v_cmp_ne_u16_e64 s[10:11], s10, v14
	v_mov_b32_e32 v17, 0xffff8000
	s_and_saveexec_b64 s[24:25], s[10:11]
	s_cbranch_execz .LBB756_657
; %bb.654:
	v_bfe_u32 v14, v12, 16, 7
	s_movk_i32 s10, 0x7f
	v_cmp_ne_u32_e64 s[10:11], s10, v14
	v_mov_b32_e32 v17, 0x7f80
	s_and_saveexec_b64 s[26:27], s[10:11]
	s_cbranch_execz .LBB756_656
; %bb.655:
	v_and_b32_e32 v17, 7, v10
	v_ffbh_u32_e32 v18, v17
	v_min_u32_e32 v21, 32, v18
	v_subrev_u32_e32 v18, 28, v21
	v_lshlrev_b64 v[18:19], v18, v[10:11]
	v_and_b32_e32 v18, 7, v18
	v_cmp_gt_u32_e64 s[10:11], 8, v14
	v_lshrrev_b32_e32 v20, 3, v14
	v_sub_u32_e32 v10, 29, v21
	v_cndmask_b32_e64 v14, v17, v18, s[10:11]
	v_mov_b32_e32 v17, 24
	v_cndmask_b32_e64 v10, v20, v10, s[10:11]
	v_lshlrev_b32_sdwa v17, v17, v12 dst_sel:DWORD dst_unused:UNUSED_PAD src0_sel:DWORD src1_sel:WORD_1
	v_bfrev_b32_e32 v18, 60
	v_lshlrev_b32_e32 v14, 20, v14
	v_and_b32_e32 v17, 0x80000000, v17
	v_lshl_add_u32 v10, v10, 23, v18
	v_or3_b32 v10, v17, v10, v14
	v_lshrrev_b32_e32 v17, 16, v10
.LBB756_656:
	s_or_b64 exec, exec, s[26:27]
.LBB756_657:
	s_or_b64 exec, exec, s[24:25]
.LBB756_658:
	s_or_b64 exec, exec, s[12:13]
	s_mov_b32 s10, 0xffffff
	v_cmp_lt_u32_e64 s[10:11], s10, v12
	v_mov_b32_e32 v18, 0
	s_and_saveexec_b64 s[12:13], s[10:11]
	s_cbranch_execz .LBB756_664
; %bb.659:
	v_lshrrev_b32_e32 v10, 24, v12
	s_movk_i32 s10, 0x80
	v_cmp_ne_u32_e64 s[10:11], s10, v10
	v_mov_b32_e32 v18, 0xffff8000
	s_and_saveexec_b64 s[24:25], s[10:11]
	s_cbranch_execz .LBB756_663
; %bb.660:
	v_bfe_u32 v14, v12, 24, 7
	s_movk_i32 s10, 0x7f
	v_cmp_ne_u32_e64 s[10:11], s10, v14
	v_mov_b32_e32 v18, 0x7f80
	s_and_saveexec_b64 s[26:27], s[10:11]
	s_cbranch_execz .LBB756_662
; %bb.661:
	v_and_b32_e32 v20, 7, v10
	v_ffbh_u32_e32 v18, v20
	v_min_u32_e32 v22, 32, v18
	v_subrev_u32_e32 v18, 28, v22
	v_lshlrev_b64 v[18:19], v18, v[10:11]
	v_lshrrev_b32_e32 v21, 3, v14
	v_sub_u32_e32 v19, 29, v22
	v_and_b32_e32 v18, 7, v18
	v_cmp_gt_u32_e64 s[10:11], 8, v14
	v_cndmask_b32_e64 v14, v21, v19, s[10:11]
	v_cndmask_b32_e64 v18, v20, v18, s[10:11]
	v_lshlrev_b32_e32 v10, 24, v10
	v_bfrev_b32_e32 v19, 60
	v_lshlrev_b32_e32 v18, 20, v18
	v_and_b32_e32 v10, 0x80000000, v10
	v_lshl_add_u32 v14, v14, 23, v19
	v_or3_b32 v10, v10, v14, v18
	v_lshrrev_b32_e32 v18, 16, v10
.LBB756_662:
	s_or_b64 exec, exec, s[26:27]
.LBB756_663:
	s_or_b64 exec, exec, s[24:25]
.LBB756_664:
	s_or_b64 exec, exec, s[12:13]
	v_mov_b32_e32 v19, 0
	v_mov_b32_e32 v10, v13
	v_cmp_ne_u16_sdwa s[10:11], v13, v19 src0_sel:BYTE_0 src1_sel:DWORD
	v_mov_b32_e32 v20, 0
	s_and_saveexec_b64 s[12:13], s[10:11]
	s_cbranch_execz .LBB756_670
; %bb.665:
	s_movk_i32 s10, 0x80
	v_cmp_ne_u16_sdwa s[10:11], v13, s10 src0_sel:BYTE_0 src1_sel:DWORD
	v_mov_b32_e32 v20, 0xffff8000
	s_and_saveexec_b64 s[24:25], s[10:11]
	s_cbranch_execz .LBB756_669
; %bb.666:
	s_movk_i32 s10, 0x7f
	v_and_b32_e32 v14, 0x7f, v13
	v_cmp_ne_u32_e64 s[10:11], s10, v14
	v_mov_b32_e32 v20, 0x7f80
	s_and_saveexec_b64 s[26:27], s[10:11]
	s_cbranch_execz .LBB756_668
; %bb.667:
	v_and_b32_e32 v20, 7, v13
	v_ffbh_u32_e32 v20, v20
	v_min_u32_e32 v20, 32, v20
	v_lshrrev_b32_e32 v21, 3, v14
	v_subrev_u32_e32 v22, 28, v20
	v_sub_u32_e32 v20, 29, v20
	v_cmp_gt_u32_e64 s[10:11], 8, v14
	v_cndmask_b32_e64 v14, v21, v20, s[10:11]
	v_cndmask_b32_e64 v20, 0, v22, s[10:11]
	v_lshlrev_b64 v[20:21], v20, v[10:11]
	v_lshlrev_b32_e32 v11, 20, v20
	v_lshlrev_b32_e32 v20, 24, v10
	v_bfrev_b32_e32 v21, 60
	v_and_b32_e32 v11, 0x700000, v11
	v_and_b32_e32 v20, 0x80000000, v20
	v_lshl_add_u32 v14, v14, 23, v21
	v_or3_b32 v11, v20, v14, v11
	v_lshrrev_b32_e32 v20, 16, v11
.LBB756_668:
	s_or_b64 exec, exec, s[26:27]
.LBB756_669:
	s_or_b64 exec, exec, s[24:25]
.LBB756_670:
	s_or_b64 exec, exec, s[12:13]
	v_lshrrev_b16_e32 v14, 8, v10
	v_cmp_ne_u16_e64 s[10:11], 0, v14
	s_and_saveexec_b64 s[12:13], s[10:11]
	s_cbranch_execz .LBB756_676
; %bb.671:
	s_movk_i32 s10, 0x80
	v_cmp_ne_u16_e64 s[10:11], s10, v14
	v_mov_b32_e32 v19, 0xffff8000
	s_and_saveexec_b64 s[24:25], s[10:11]
	s_cbranch_execz .LBB756_675
; %bb.672:
	s_movk_i32 s10, 0x7f
	v_and_b32_e32 v11, 0x7f, v14
	v_cmp_ne_u32_e64 s[10:11], s10, v11
	v_mov_b32_e32 v19, 0x7f80
	s_and_saveexec_b64 s[26:27], s[10:11]
	s_cbranch_execz .LBB756_674
; %bb.673:
	v_and_b32_e32 v19, 7, v14
	v_ffbh_u32_e32 v22, v19
	v_min_u32_e32 v24, 32, v22
	v_subrev_u32_e32 v22, 28, v24
	v_lshlrev_b64 v[22:23], v22, v[14:15]
	v_lshrrev_b32_e32 v21, 3, v11
	v_sub_u32_e32 v14, 29, v24
	v_and_b32_e32 v22, 7, v22
	v_cmp_gt_u32_e64 s[10:11], 8, v11
	v_cndmask_b32_e64 v11, v21, v14, s[10:11]
	v_cndmask_b32_e64 v14, v19, v22, s[10:11]
	v_lshlrev_b32_e32 v10, 16, v10
	v_bfrev_b32_e32 v19, 60
	v_lshlrev_b32_e32 v14, 20, v14
	v_and_b32_e32 v10, 0x80000000, v10
	v_lshl_add_u32 v11, v11, 23, v19
	v_or3_b32 v10, v10, v11, v14
	v_lshrrev_b32_e32 v19, 16, v10
.LBB756_674:
	s_or_b64 exec, exec, s[26:27]
.LBB756_675:
	s_or_b64 exec, exec, s[24:25]
.LBB756_676:
	s_or_b64 exec, exec, s[12:13]
	s_movk_i32 s10, 0xff
	v_and_b32_sdwa v21, v13, s10 dst_sel:DWORD dst_unused:UNUSED_PAD src0_sel:WORD_1 src1_sel:DWORD
	v_lshrrev_b32_e32 v10, 16, v13
	v_cmp_ne_u16_e64 s[10:11], 0, v21
	v_mov_b32_e32 v11, 0
	v_mov_b32_e32 v14, 0
	s_and_saveexec_b64 s[12:13], s[10:11]
	s_cbranch_execz .LBB756_682
; %bb.677:
	s_movk_i32 s10, 0x80
	v_cmp_ne_u16_e64 s[10:11], s10, v21
	v_mov_b32_e32 v14, 0xffff8000
	s_and_saveexec_b64 s[24:25], s[10:11]
	s_cbranch_execz .LBB756_681
; %bb.678:
	v_bfe_u32 v21, v13, 16, 7
	s_movk_i32 s10, 0x7f
	v_cmp_ne_u32_e64 s[10:11], s10, v21
	v_mov_b32_e32 v14, 0x7f80
	s_and_saveexec_b64 s[26:27], s[10:11]
	s_cbranch_execz .LBB756_680
; %bb.679:
	v_and_b32_e32 v14, 7, v10
	v_ffbh_u32_e32 v22, v14
	v_min_u32_e32 v25, 32, v22
	v_subrev_u32_e32 v22, 28, v25
	v_lshlrev_b64 v[22:23], v22, v[10:11]
	v_lshrrev_b32_e32 v24, 3, v21
	v_sub_u32_e32 v10, 29, v25
	v_and_b32_e32 v22, 7, v22
	v_cmp_gt_u32_e64 s[10:11], 8, v21
	v_mov_b32_e32 v21, 24
	v_cndmask_b32_e64 v10, v24, v10, s[10:11]
	v_cndmask_b32_e64 v14, v14, v22, s[10:11]
	v_lshlrev_b32_sdwa v21, v21, v13 dst_sel:DWORD dst_unused:UNUSED_PAD src0_sel:DWORD src1_sel:WORD_1
	v_bfrev_b32_e32 v22, 60
	v_lshlrev_b32_e32 v14, 20, v14
	v_and_b32_e32 v21, 0x80000000, v21
	v_lshl_add_u32 v10, v10, 23, v22
	v_or3_b32 v10, v21, v10, v14
	v_lshrrev_b32_e32 v14, 16, v10
.LBB756_680:
	s_or_b64 exec, exec, s[26:27]
.LBB756_681:
	s_or_b64 exec, exec, s[24:25]
.LBB756_682:
	s_or_b64 exec, exec, s[12:13]
	s_mov_b32 s10, -1
	s_mov_b32 s11, 0xffffff
	v_cmp_lt_u64_e64 s[10:11], s[10:11], v[12:13]
	s_and_saveexec_b64 s[12:13], s[10:11]
	s_cbranch_execz .LBB756_688
; %bb.683:
	v_lshrrev_b32_e32 v10, 24, v13
	s_movk_i32 s10, 0x80
	v_cmp_ne_u32_e64 s[10:11], s10, v10
	v_mov_b32_e32 v11, 0xffff8000
	s_and_saveexec_b64 s[24:25], s[10:11]
	s_cbranch_execz .LBB756_687
; %bb.684:
	v_bfe_u32 v12, v13, 24, 7
	s_movk_i32 s10, 0x7f
	v_cmp_ne_u32_e64 s[10:11], s10, v12
	v_mov_b32_e32 v11, 0x7f80
	s_and_saveexec_b64 s[26:27], s[10:11]
	s_cbranch_execz .LBB756_686
; %bb.685:
	v_and_b32_e32 v11, 7, v10
	v_ffbh_u32_e32 v21, v11
	v_min_u32_e32 v21, 32, v21
	v_subrev_u32_e32 v22, 28, v21
	v_lshlrev_b64 v[22:23], v22, v[10:11]
	v_lshrrev_b32_e32 v13, 3, v12
	v_sub_u32_e32 v21, 29, v21
	v_and_b32_e32 v22, 7, v22
	v_cmp_gt_u32_e64 s[10:11], 8, v12
	v_cndmask_b32_e64 v12, v13, v21, s[10:11]
	v_cndmask_b32_e64 v11, v11, v22, s[10:11]
	v_lshlrev_b32_e32 v10, 24, v10
	v_bfrev_b32_e32 v13, 60
	v_lshlrev_b32_e32 v11, 20, v11
	v_and_b32_e32 v10, 0x80000000, v10
	v_lshl_add_u32 v12, v12, 23, v13
	v_or3_b32 v10, v10, v12, v11
	v_lshrrev_b32_e32 v11, 16, v10
.LBB756_686:
	s_or_b64 exec, exec, s[26:27]
.LBB756_687:
	s_or_b64 exec, exec, s[24:25]
.LBB756_688:
	s_or_b64 exec, exec, s[12:13]
	s_mov_b32 s10, 0x5040100
	v_perm_b32 v13, v18, v17, s10
	v_perm_b32 v12, v15, v16, s10
	;; [unrolled: 1-line block ×4, first 2 shown]
	v_mfma_f32_4x4x4bf16_1k a[0:3], v[2:3], v[12:13], a[0:3] cbsz:4 abid:13
	v_mov_b32_e32 v13, 0
	v_mfma_f32_4x4x4bf16_1k a[0:3], v[4:5], v[10:11], a[0:3] cbsz:4 abid:13
	v_cmp_ne_u16_sdwa s[10:11], v6, v13 src0_sel:BYTE_0 src1_sel:DWORD
	v_mov_b32_e32 v14, 0
	s_and_saveexec_b64 s[12:13], s[10:11]
	s_cbranch_execz .LBB756_694
; %bb.689:
	s_movk_i32 s10, 0x80
	v_cmp_ne_u16_sdwa s[10:11], v6, s10 src0_sel:BYTE_0 src1_sel:DWORD
	v_mov_b32_e32 v14, 0xffff8000
	s_and_saveexec_b64 s[24:25], s[10:11]
	s_cbranch_execz .LBB756_693
; %bb.690:
	s_movk_i32 s10, 0x7f
	v_and_b32_e32 v10, 0x7f, v6
	v_cmp_ne_u32_e64 s[10:11], s10, v10
	v_mov_b32_e32 v14, 0x7f80
	s_and_saveexec_b64 s[26:27], s[10:11]
	s_cbranch_execz .LBB756_692
; %bb.691:
	v_and_b32_e32 v11, 7, v6
	v_ffbh_u32_e32 v11, v11
	v_min_u32_e32 v11, 32, v11
	v_subrev_u32_e32 v14, 28, v11
	v_cmp_gt_u32_e64 s[10:11], 8, v10
	v_lshrrev_b32_e32 v12, 3, v10
	v_sub_u32_e32 v11, 29, v11
	v_cndmask_b32_e64 v10, 0, v14, s[10:11]
	v_cndmask_b32_e64 v12, v12, v11, s[10:11]
	v_lshlrev_b64 v[10:11], v10, v[6:7]
	v_lshlrev_b32_e32 v10, 20, v10
	v_lshlrev_b32_e32 v11, 24, v6
	v_bfrev_b32_e32 v14, 60
	v_and_b32_e32 v10, 0x700000, v10
	v_and_b32_e32 v11, 0x80000000, v11
	v_lshl_add_u32 v12, v12, 23, v14
	v_or3_b32 v10, v11, v12, v10
	v_lshrrev_b32_e32 v14, 16, v10
.LBB756_692:
	s_or_b64 exec, exec, s[26:27]
.LBB756_693:
	s_or_b64 exec, exec, s[24:25]
.LBB756_694:
	s_or_b64 exec, exec, s[12:13]
	v_lshrrev_b16_e32 v10, 8, v6
	v_cmp_ne_u16_e64 s[10:11], 0, v10
	s_and_saveexec_b64 s[12:13], s[10:11]
	s_cbranch_execz .LBB756_700
; %bb.695:
	s_movk_i32 s10, 0x80
	v_cmp_ne_u16_e64 s[10:11], s10, v10
	v_mov_b32_e32 v13, 0xffff8000
	s_and_saveexec_b64 s[24:25], s[10:11]
	s_cbranch_execz .LBB756_699
; %bb.696:
	s_movk_i32 s10, 0x7f
	v_and_b32_e32 v11, 0x7f, v10
	v_cmp_ne_u32_e64 s[10:11], s10, v11
	v_mov_b32_e32 v13, 0x7f80
	s_and_saveexec_b64 s[26:27], s[10:11]
	s_cbranch_execz .LBB756_698
; %bb.697:
	v_and_b32_e32 v15, 7, v10
	v_ffbh_u32_e32 v12, v15
	v_min_u32_e32 v17, 32, v12
	v_subrev_u32_e32 v12, 28, v17
	v_lshlrev_b64 v[12:13], v12, v[10:11]
	v_lshrrev_b32_e32 v16, 3, v11
	v_sub_u32_e32 v10, 29, v17
	v_and_b32_e32 v12, 7, v12
	v_cmp_gt_u32_e64 s[10:11], 8, v11
	v_cndmask_b32_e64 v10, v16, v10, s[10:11]
	v_cndmask_b32_e64 v11, v15, v12, s[10:11]
	v_lshlrev_b32_e32 v12, 16, v6
	v_bfrev_b32_e32 v13, 60
	v_lshlrev_b32_e32 v11, 20, v11
	v_and_b32_e32 v12, 0x80000000, v12
	v_lshl_add_u32 v10, v10, 23, v13
	v_or3_b32 v10, v12, v10, v11
	v_lshrrev_b32_e32 v13, 16, v10
.LBB756_698:
	s_or_b64 exec, exec, s[26:27]
.LBB756_699:
	s_or_b64 exec, exec, s[24:25]
.LBB756_700:
	s_or_b64 exec, exec, s[12:13]
	s_movk_i32 s10, 0xff
	v_and_b32_sdwa v12, v6, s10 dst_sel:DWORD dst_unused:UNUSED_PAD src0_sel:WORD_1 src1_sel:DWORD
	v_lshrrev_b32_e32 v10, 16, v6
	v_cmp_ne_u16_e64 s[10:11], 0, v12
	v_mov_b32_e32 v11, 0
	v_mov_b32_e32 v15, 0
	s_and_saveexec_b64 s[12:13], s[10:11]
	s_cbranch_execz .LBB756_706
; %bb.701:
	s_movk_i32 s10, 0x80
	v_cmp_ne_u16_e64 s[10:11], s10, v12
	v_mov_b32_e32 v15, 0xffff8000
	s_and_saveexec_b64 s[24:25], s[10:11]
	s_cbranch_execz .LBB756_705
; %bb.702:
	v_bfe_u32 v12, v6, 16, 7
	s_movk_i32 s10, 0x7f
	v_cmp_ne_u32_e64 s[10:11], s10, v12
	v_mov_b32_e32 v15, 0x7f80
	s_and_saveexec_b64 s[26:27], s[10:11]
	s_cbranch_execz .LBB756_704
; %bb.703:
	v_and_b32_e32 v15, 7, v10
	v_ffbh_u32_e32 v16, v15
	v_min_u32_e32 v19, 32, v16
	v_subrev_u32_e32 v16, 28, v19
	v_lshlrev_b64 v[16:17], v16, v[10:11]
	v_and_b32_e32 v16, 7, v16
	v_cmp_gt_u32_e64 s[10:11], 8, v12
	v_lshrrev_b32_e32 v18, 3, v12
	v_sub_u32_e32 v10, 29, v19
	v_cndmask_b32_e64 v12, v15, v16, s[10:11]
	v_mov_b32_e32 v15, 24
	v_cndmask_b32_e64 v10, v18, v10, s[10:11]
	v_lshlrev_b32_sdwa v15, v15, v6 dst_sel:DWORD dst_unused:UNUSED_PAD src0_sel:DWORD src1_sel:WORD_1
	v_bfrev_b32_e32 v16, 60
	v_lshlrev_b32_e32 v12, 20, v12
	v_and_b32_e32 v15, 0x80000000, v15
	v_lshl_add_u32 v10, v10, 23, v16
	v_or3_b32 v10, v15, v10, v12
	v_lshrrev_b32_e32 v15, 16, v10
.LBB756_704:
	s_or_b64 exec, exec, s[26:27]
.LBB756_705:
	s_or_b64 exec, exec, s[24:25]
.LBB756_706:
	s_or_b64 exec, exec, s[12:13]
	s_mov_b32 s10, 0xffffff
	v_cmp_lt_u32_e64 s[10:11], s10, v6
	v_mov_b32_e32 v16, 0
	s_and_saveexec_b64 s[12:13], s[10:11]
	s_cbranch_execz .LBB756_712
; %bb.707:
	v_lshrrev_b32_e32 v10, 24, v6
	s_movk_i32 s10, 0x80
	v_cmp_ne_u32_e64 s[10:11], s10, v10
	v_mov_b32_e32 v16, 0xffff8000
	s_and_saveexec_b64 s[24:25], s[10:11]
	s_cbranch_execz .LBB756_711
; %bb.708:
	v_bfe_u32 v12, v6, 24, 7
	s_movk_i32 s10, 0x7f
	v_cmp_ne_u32_e64 s[10:11], s10, v12
	v_mov_b32_e32 v16, 0x7f80
	s_and_saveexec_b64 s[26:27], s[10:11]
	s_cbranch_execz .LBB756_710
; %bb.709:
	v_and_b32_e32 v18, 7, v10
	v_ffbh_u32_e32 v16, v18
	v_min_u32_e32 v20, 32, v16
	v_subrev_u32_e32 v16, 28, v20
	v_lshlrev_b64 v[16:17], v16, v[10:11]
	v_lshrrev_b32_e32 v19, 3, v12
	v_sub_u32_e32 v17, 29, v20
	v_and_b32_e32 v16, 7, v16
	v_cmp_gt_u32_e64 s[10:11], 8, v12
	v_cndmask_b32_e64 v12, v19, v17, s[10:11]
	v_cndmask_b32_e64 v16, v18, v16, s[10:11]
	v_lshlrev_b32_e32 v10, 24, v10
	v_bfrev_b32_e32 v17, 60
	v_lshlrev_b32_e32 v16, 20, v16
	v_and_b32_e32 v10, 0x80000000, v10
	v_lshl_add_u32 v12, v12, 23, v17
	v_or3_b32 v10, v10, v12, v16
	v_lshrrev_b32_e32 v16, 16, v10
.LBB756_710:
	s_or_b64 exec, exec, s[26:27]
.LBB756_711:
	s_or_b64 exec, exec, s[24:25]
.LBB756_712:
	s_or_b64 exec, exec, s[12:13]
	v_mov_b32_e32 v17, 0
	v_mov_b32_e32 v10, v7
	v_cmp_ne_u16_sdwa s[10:11], v7, v17 src0_sel:BYTE_0 src1_sel:DWORD
	v_mov_b32_e32 v18, 0
	s_and_saveexec_b64 s[12:13], s[10:11]
	s_cbranch_execz .LBB756_718
; %bb.713:
	s_movk_i32 s10, 0x80
	v_cmp_ne_u16_sdwa s[10:11], v7, s10 src0_sel:BYTE_0 src1_sel:DWORD
	v_mov_b32_e32 v18, 0xffff8000
	s_and_saveexec_b64 s[24:25], s[10:11]
	s_cbranch_execz .LBB756_717
; %bb.714:
	s_movk_i32 s10, 0x7f
	v_and_b32_e32 v12, 0x7f, v7
	v_cmp_ne_u32_e64 s[10:11], s10, v12
	v_mov_b32_e32 v18, 0x7f80
	s_and_saveexec_b64 s[26:27], s[10:11]
	s_cbranch_execz .LBB756_716
; %bb.715:
	v_and_b32_e32 v18, 7, v7
	v_ffbh_u32_e32 v18, v18
	v_min_u32_e32 v18, 32, v18
	v_lshrrev_b32_e32 v19, 3, v12
	v_subrev_u32_e32 v20, 28, v18
	v_sub_u32_e32 v18, 29, v18
	v_cmp_gt_u32_e64 s[10:11], 8, v12
	v_cndmask_b32_e64 v12, v19, v18, s[10:11]
	v_cndmask_b32_e64 v18, 0, v20, s[10:11]
	v_lshlrev_b64 v[18:19], v18, v[10:11]
	v_lshlrev_b32_e32 v11, 20, v18
	v_lshlrev_b32_e32 v18, 24, v10
	v_bfrev_b32_e32 v19, 60
	v_and_b32_e32 v11, 0x700000, v11
	v_and_b32_e32 v18, 0x80000000, v18
	v_lshl_add_u32 v12, v12, 23, v19
	v_or3_b32 v11, v18, v12, v11
	v_lshrrev_b32_e32 v18, 16, v11
.LBB756_716:
	s_or_b64 exec, exec, s[26:27]
.LBB756_717:
	s_or_b64 exec, exec, s[24:25]
.LBB756_718:
	s_or_b64 exec, exec, s[12:13]
	v_lshrrev_b16_e32 v12, 8, v10
	v_cmp_ne_u16_e64 s[10:11], 0, v12
	s_and_saveexec_b64 s[12:13], s[10:11]
	s_cbranch_execz .LBB756_724
; %bb.719:
	s_movk_i32 s10, 0x80
	v_cmp_ne_u16_e64 s[10:11], s10, v12
	v_mov_b32_e32 v17, 0xffff8000
	s_and_saveexec_b64 s[24:25], s[10:11]
	s_cbranch_execz .LBB756_723
; %bb.720:
	s_movk_i32 s10, 0x7f
	v_and_b32_e32 v11, 0x7f, v12
	v_cmp_ne_u32_e64 s[10:11], s10, v11
	v_mov_b32_e32 v17, 0x7f80
	s_and_saveexec_b64 s[26:27], s[10:11]
	s_cbranch_execz .LBB756_722
; %bb.721:
	v_and_b32_e32 v17, 7, v12
	v_ffbh_u32_e32 v20, v17
	v_min_u32_e32 v22, 32, v20
	v_subrev_u32_e32 v20, 28, v22
	v_lshlrev_b64 v[20:21], v20, v[12:13]
	v_lshrrev_b32_e32 v19, 3, v11
	v_sub_u32_e32 v12, 29, v22
	v_and_b32_e32 v20, 7, v20
	v_cmp_gt_u32_e64 s[10:11], 8, v11
	v_cndmask_b32_e64 v11, v19, v12, s[10:11]
	v_cndmask_b32_e64 v12, v17, v20, s[10:11]
	v_lshlrev_b32_e32 v10, 16, v10
	v_bfrev_b32_e32 v17, 60
	v_lshlrev_b32_e32 v12, 20, v12
	v_and_b32_e32 v10, 0x80000000, v10
	v_lshl_add_u32 v11, v11, 23, v17
	v_or3_b32 v10, v10, v11, v12
	v_lshrrev_b32_e32 v17, 16, v10
.LBB756_722:
	s_or_b64 exec, exec, s[26:27]
.LBB756_723:
	s_or_b64 exec, exec, s[24:25]
.LBB756_724:
	s_or_b64 exec, exec, s[12:13]
	s_movk_i32 s10, 0xff
	v_and_b32_sdwa v19, v7, s10 dst_sel:DWORD dst_unused:UNUSED_PAD src0_sel:WORD_1 src1_sel:DWORD
	v_lshrrev_b32_e32 v10, 16, v7
	v_cmp_ne_u16_e64 s[10:11], 0, v19
	v_mov_b32_e32 v11, 0
	v_mov_b32_e32 v12, 0
	s_and_saveexec_b64 s[12:13], s[10:11]
	s_cbranch_execz .LBB756_730
; %bb.725:
	s_movk_i32 s10, 0x80
	v_cmp_ne_u16_e64 s[10:11], s10, v19
	v_mov_b32_e32 v12, 0xffff8000
	s_and_saveexec_b64 s[24:25], s[10:11]
	s_cbranch_execz .LBB756_729
; %bb.726:
	v_bfe_u32 v19, v7, 16, 7
	s_movk_i32 s10, 0x7f
	v_cmp_ne_u32_e64 s[10:11], s10, v19
	v_mov_b32_e32 v12, 0x7f80
	s_and_saveexec_b64 s[26:27], s[10:11]
	s_cbranch_execz .LBB756_728
; %bb.727:
	v_and_b32_e32 v12, 7, v10
	v_ffbh_u32_e32 v20, v12
	v_min_u32_e32 v23, 32, v20
	v_subrev_u32_e32 v20, 28, v23
	v_lshlrev_b64 v[20:21], v20, v[10:11]
	v_lshrrev_b32_e32 v22, 3, v19
	v_sub_u32_e32 v10, 29, v23
	v_and_b32_e32 v20, 7, v20
	v_cmp_gt_u32_e64 s[10:11], 8, v19
	v_mov_b32_e32 v19, 24
	v_cndmask_b32_e64 v10, v22, v10, s[10:11]
	v_cndmask_b32_e64 v12, v12, v20, s[10:11]
	v_lshlrev_b32_sdwa v19, v19, v7 dst_sel:DWORD dst_unused:UNUSED_PAD src0_sel:DWORD src1_sel:WORD_1
	v_bfrev_b32_e32 v20, 60
	v_lshlrev_b32_e32 v12, 20, v12
	v_and_b32_e32 v19, 0x80000000, v19
	v_lshl_add_u32 v10, v10, 23, v20
	v_or3_b32 v10, v19, v10, v12
	v_lshrrev_b32_e32 v12, 16, v10
.LBB756_728:
	s_or_b64 exec, exec, s[26:27]
.LBB756_729:
	s_or_b64 exec, exec, s[24:25]
.LBB756_730:
	s_or_b64 exec, exec, s[12:13]
	s_mov_b32 s10, -1
	s_mov_b32 s11, 0xffffff
	v_cmp_lt_u64_e64 s[10:11], s[10:11], v[6:7]
	s_and_saveexec_b64 s[12:13], s[10:11]
	s_cbranch_execz .LBB756_736
; %bb.731:
	v_lshrrev_b32_e32 v6, 24, v7
	s_movk_i32 s10, 0x80
	v_cmp_ne_u32_e64 s[10:11], s10, v6
	v_mov_b32_e32 v11, 0xffff8000
	s_and_saveexec_b64 s[24:25], s[10:11]
	s_cbranch_execz .LBB756_735
; %bb.732:
	v_bfe_u32 v7, v7, 24, 7
	s_movk_i32 s10, 0x7f
	v_cmp_ne_u32_e64 s[10:11], s10, v7
	v_mov_b32_e32 v11, 0x7f80
	s_and_saveexec_b64 s[26:27], s[10:11]
	s_cbranch_execz .LBB756_734
; %bb.733:
	v_and_b32_e32 v19, 7, v6
	v_ffbh_u32_e32 v10, v19
	v_min_u32_e32 v21, 32, v10
	v_subrev_u32_e32 v10, 28, v21
	v_lshlrev_b64 v[10:11], v10, v[6:7]
	v_lshrrev_b32_e32 v20, 3, v7
	v_sub_u32_e32 v11, 29, v21
	v_and_b32_e32 v10, 7, v10
	v_cmp_gt_u32_e64 s[10:11], 8, v7
	v_cndmask_b32_e64 v7, v20, v11, s[10:11]
	v_cndmask_b32_e64 v10, v19, v10, s[10:11]
	v_lshlrev_b32_e32 v6, 24, v6
	v_bfrev_b32_e32 v11, 60
	v_lshlrev_b32_e32 v10, 20, v10
	v_and_b32_e32 v6, 0x80000000, v6
	v_lshl_add_u32 v7, v7, 23, v11
	v_or3_b32 v6, v6, v7, v10
	v_lshrrev_b32_e32 v11, 16, v6
.LBB756_734:
	s_or_b64 exec, exec, s[26:27]
.LBB756_735:
	s_or_b64 exec, exec, s[24:25]
.LBB756_736:
	s_or_b64 exec, exec, s[12:13]
	s_mov_b32 s10, 0x5040100
	v_perm_b32 v7, v16, v15, s10
	v_perm_b32 v6, v13, v14, s10
	;; [unrolled: 1-line block ×4, first 2 shown]
	v_mfma_f32_4x4x4bf16_1k a[0:3], v[2:3], v[6:7], a[0:3] cbsz:4 abid:14
	v_mov_b32_e32 v12, 0
	v_mfma_f32_4x4x4bf16_1k a[0:3], v[4:5], v[10:11], a[0:3] cbsz:4 abid:14
	v_mov_b32_e32 v11, 0
	v_cmp_ne_u16_sdwa s[10:11], v8, v11 src0_sel:BYTE_0 src1_sel:DWORD
	s_and_saveexec_b64 s[12:13], s[10:11]
	s_cbranch_execz .LBB756_742
; %bb.737:
	s_movk_i32 s10, 0x80
	v_cmp_ne_u16_sdwa s[10:11], v8, s10 src0_sel:BYTE_0 src1_sel:DWORD
	v_mov_b32_e32 v12, 0xffff8000
	s_and_saveexec_b64 s[24:25], s[10:11]
	s_cbranch_execz .LBB756_741
; %bb.738:
	s_movk_i32 s10, 0x7f
	v_and_b32_e32 v6, 0x7f, v8
	v_cmp_ne_u32_e64 s[10:11], s10, v6
	v_mov_b32_e32 v12, 0x7f80
	s_and_saveexec_b64 s[26:27], s[10:11]
	s_cbranch_execz .LBB756_740
; %bb.739:
	v_and_b32_e32 v7, 7, v8
	v_ffbh_u32_e32 v7, v7
	v_min_u32_e32 v7, 32, v7
	v_subrev_u32_e32 v12, 28, v7
	v_cmp_gt_u32_e64 s[10:11], 8, v6
	v_lshrrev_b32_e32 v10, 3, v6
	v_sub_u32_e32 v7, 29, v7
	v_cndmask_b32_e64 v6, 0, v12, s[10:11]
	v_cndmask_b32_e64 v10, v10, v7, s[10:11]
	v_lshlrev_b64 v[6:7], v6, v[8:9]
	v_lshlrev_b32_e32 v6, 20, v6
	v_lshlrev_b32_e32 v7, 24, v8
	v_bfrev_b32_e32 v12, 60
	v_and_b32_e32 v6, 0x700000, v6
	v_and_b32_e32 v7, 0x80000000, v7
	v_lshl_add_u32 v10, v10, 23, v12
	v_or3_b32 v6, v7, v10, v6
	v_lshrrev_b32_e32 v12, 16, v6
.LBB756_740:
	s_or_b64 exec, exec, s[26:27]
.LBB756_741:
	s_or_b64 exec, exec, s[24:25]
.LBB756_742:
	s_or_b64 exec, exec, s[12:13]
	v_lshrrev_b16_e32 v6, 8, v8
	v_cmp_ne_u16_e64 s[10:11], 0, v6
	s_and_saveexec_b64 s[12:13], s[10:11]
	s_cbranch_execz .LBB756_748
; %bb.743:
	s_movk_i32 s10, 0x80
	v_cmp_ne_u16_e64 s[10:11], s10, v6
	v_mov_b32_e32 v11, 0xffff8000
	s_and_saveexec_b64 s[24:25], s[10:11]
	s_cbranch_execz .LBB756_747
; %bb.744:
	s_movk_i32 s10, 0x7f
	v_and_b32_e32 v7, 0x7f, v6
	v_cmp_ne_u32_e64 s[10:11], s10, v7
	v_mov_b32_e32 v11, 0x7f80
	s_and_saveexec_b64 s[26:27], s[10:11]
	s_cbranch_execz .LBB756_746
; %bb.745:
	v_and_b32_e32 v13, 7, v6
	v_ffbh_u32_e32 v10, v13
	v_min_u32_e32 v15, 32, v10
	v_subrev_u32_e32 v10, 28, v15
	v_lshlrev_b64 v[10:11], v10, v[6:7]
	v_lshrrev_b32_e32 v14, 3, v7
	v_sub_u32_e32 v6, 29, v15
	v_and_b32_e32 v10, 7, v10
	v_cmp_gt_u32_e64 s[10:11], 8, v7
	v_cndmask_b32_e64 v6, v14, v6, s[10:11]
	v_cndmask_b32_e64 v7, v13, v10, s[10:11]
	v_lshlrev_b32_e32 v10, 16, v8
	v_bfrev_b32_e32 v11, 60
	v_lshlrev_b32_e32 v7, 20, v7
	v_and_b32_e32 v10, 0x80000000, v10
	v_lshl_add_u32 v6, v6, 23, v11
	v_or3_b32 v6, v10, v6, v7
	v_lshrrev_b32_e32 v11, 16, v6
.LBB756_746:
	s_or_b64 exec, exec, s[26:27]
.LBB756_747:
	s_or_b64 exec, exec, s[24:25]
.LBB756_748:
	s_or_b64 exec, exec, s[12:13]
	s_movk_i32 s10, 0xff
	v_and_b32_sdwa v10, v8, s10 dst_sel:DWORD dst_unused:UNUSED_PAD src0_sel:WORD_1 src1_sel:DWORD
	v_lshrrev_b32_e32 v6, 16, v8
	v_cmp_ne_u16_e64 s[10:11], 0, v10
	v_mov_b32_e32 v7, 0
	v_mov_b32_e32 v13, 0
	s_and_saveexec_b64 s[12:13], s[10:11]
	s_cbranch_execz .LBB756_754
; %bb.749:
	s_movk_i32 s10, 0x80
	v_cmp_ne_u16_e64 s[10:11], s10, v10
	v_mov_b32_e32 v13, 0xffff8000
	s_and_saveexec_b64 s[24:25], s[10:11]
	s_cbranch_execz .LBB756_753
; %bb.750:
	v_bfe_u32 v10, v8, 16, 7
	s_movk_i32 s10, 0x7f
	v_cmp_ne_u32_e64 s[10:11], s10, v10
	v_mov_b32_e32 v13, 0x7f80
	s_and_saveexec_b64 s[26:27], s[10:11]
	s_cbranch_execz .LBB756_752
; %bb.751:
	v_and_b32_e32 v13, 7, v6
	v_ffbh_u32_e32 v14, v13
	v_min_u32_e32 v17, 32, v14
	v_subrev_u32_e32 v14, 28, v17
	v_lshlrev_b64 v[14:15], v14, v[6:7]
	v_and_b32_e32 v14, 7, v14
	v_cmp_gt_u32_e64 s[10:11], 8, v10
	v_lshrrev_b32_e32 v16, 3, v10
	v_sub_u32_e32 v6, 29, v17
	v_cndmask_b32_e64 v10, v13, v14, s[10:11]
	v_mov_b32_e32 v13, 24
	v_cndmask_b32_e64 v6, v16, v6, s[10:11]
	v_lshlrev_b32_sdwa v13, v13, v8 dst_sel:DWORD dst_unused:UNUSED_PAD src0_sel:DWORD src1_sel:WORD_1
	v_bfrev_b32_e32 v14, 60
	v_lshlrev_b32_e32 v10, 20, v10
	v_and_b32_e32 v13, 0x80000000, v13
	v_lshl_add_u32 v6, v6, 23, v14
	v_or3_b32 v6, v13, v6, v10
	v_lshrrev_b32_e32 v13, 16, v6
.LBB756_752:
	s_or_b64 exec, exec, s[26:27]
.LBB756_753:
	s_or_b64 exec, exec, s[24:25]
.LBB756_754:
	s_or_b64 exec, exec, s[12:13]
	s_mov_b32 s10, 0xffffff
	v_cmp_lt_u32_e64 s[10:11], s10, v8
	v_mov_b32_e32 v14, 0
	s_and_saveexec_b64 s[12:13], s[10:11]
	s_cbranch_execz .LBB756_760
; %bb.755:
	v_lshrrev_b32_e32 v6, 24, v8
	s_movk_i32 s10, 0x80
	v_cmp_ne_u32_e64 s[10:11], s10, v6
	v_mov_b32_e32 v14, 0xffff8000
	s_and_saveexec_b64 s[24:25], s[10:11]
	s_cbranch_execz .LBB756_759
; %bb.756:
	v_bfe_u32 v10, v8, 24, 7
	s_movk_i32 s10, 0x7f
	v_cmp_ne_u32_e64 s[10:11], s10, v10
	v_mov_b32_e32 v14, 0x7f80
	s_and_saveexec_b64 s[26:27], s[10:11]
	s_cbranch_execz .LBB756_758
; %bb.757:
	v_and_b32_e32 v16, 7, v6
	v_ffbh_u32_e32 v14, v16
	v_min_u32_e32 v18, 32, v14
	v_subrev_u32_e32 v14, 28, v18
	v_lshlrev_b64 v[14:15], v14, v[6:7]
	v_lshrrev_b32_e32 v17, 3, v10
	v_sub_u32_e32 v15, 29, v18
	v_and_b32_e32 v14, 7, v14
	v_cmp_gt_u32_e64 s[10:11], 8, v10
	v_cndmask_b32_e64 v10, v17, v15, s[10:11]
	v_cndmask_b32_e64 v14, v16, v14, s[10:11]
	v_lshlrev_b32_e32 v6, 24, v6
	v_bfrev_b32_e32 v15, 60
	v_lshlrev_b32_e32 v14, 20, v14
	v_and_b32_e32 v6, 0x80000000, v6
	v_lshl_add_u32 v10, v10, 23, v15
	v_or3_b32 v6, v6, v10, v14
	v_lshrrev_b32_e32 v14, 16, v6
.LBB756_758:
	s_or_b64 exec, exec, s[26:27]
.LBB756_759:
	s_or_b64 exec, exec, s[24:25]
.LBB756_760:
	s_or_b64 exec, exec, s[12:13]
	v_mov_b32_e32 v15, 0
	v_mov_b32_e32 v6, v9
	v_cmp_ne_u16_sdwa s[10:11], v9, v15 src0_sel:BYTE_0 src1_sel:DWORD
	v_mov_b32_e32 v16, 0
	s_and_saveexec_b64 s[12:13], s[10:11]
	s_cbranch_execz .LBB756_766
; %bb.761:
	s_movk_i32 s10, 0x80
	v_cmp_ne_u16_sdwa s[10:11], v9, s10 src0_sel:BYTE_0 src1_sel:DWORD
	v_mov_b32_e32 v16, 0xffff8000
	s_and_saveexec_b64 s[24:25], s[10:11]
	s_cbranch_execz .LBB756_765
; %bb.762:
	s_movk_i32 s10, 0x7f
	v_and_b32_e32 v10, 0x7f, v9
	v_cmp_ne_u32_e64 s[10:11], s10, v10
	v_mov_b32_e32 v16, 0x7f80
	s_and_saveexec_b64 s[26:27], s[10:11]
	s_cbranch_execz .LBB756_764
; %bb.763:
	v_and_b32_e32 v16, 7, v9
	v_ffbh_u32_e32 v16, v16
	v_min_u32_e32 v16, 32, v16
	v_lshrrev_b32_e32 v17, 3, v10
	v_subrev_u32_e32 v18, 28, v16
	v_sub_u32_e32 v16, 29, v16
	v_cmp_gt_u32_e64 s[10:11], 8, v10
	v_cndmask_b32_e64 v10, v17, v16, s[10:11]
	v_cndmask_b32_e64 v16, 0, v18, s[10:11]
	v_lshlrev_b64 v[16:17], v16, v[6:7]
	v_lshlrev_b32_e32 v7, 20, v16
	v_lshlrev_b32_e32 v16, 24, v6
	v_bfrev_b32_e32 v17, 60
	v_and_b32_e32 v7, 0x700000, v7
	v_and_b32_e32 v16, 0x80000000, v16
	v_lshl_add_u32 v10, v10, 23, v17
	v_or3_b32 v7, v16, v10, v7
	v_lshrrev_b32_e32 v16, 16, v7
.LBB756_764:
	s_or_b64 exec, exec, s[26:27]
.LBB756_765:
	s_or_b64 exec, exec, s[24:25]
.LBB756_766:
	s_or_b64 exec, exec, s[12:13]
	v_lshrrev_b16_e32 v10, 8, v6
	v_cmp_ne_u16_e64 s[10:11], 0, v10
	s_and_saveexec_b64 s[12:13], s[10:11]
	s_cbranch_execz .LBB756_772
; %bb.767:
	s_movk_i32 s10, 0x80
	v_cmp_ne_u16_e64 s[10:11], s10, v10
	v_mov_b32_e32 v15, 0xffff8000
	s_and_saveexec_b64 s[24:25], s[10:11]
	s_cbranch_execz .LBB756_771
; %bb.768:
	s_movk_i32 s10, 0x7f
	v_and_b32_e32 v7, 0x7f, v10
	v_cmp_ne_u32_e64 s[10:11], s10, v7
	v_mov_b32_e32 v15, 0x7f80
	s_and_saveexec_b64 s[26:27], s[10:11]
	s_cbranch_execz .LBB756_770
; %bb.769:
	v_and_b32_e32 v15, 7, v10
	v_ffbh_u32_e32 v18, v15
	v_min_u32_e32 v20, 32, v18
	v_subrev_u32_e32 v18, 28, v20
	v_lshlrev_b64 v[18:19], v18, v[10:11]
	v_lshrrev_b32_e32 v17, 3, v7
	v_sub_u32_e32 v10, 29, v20
	v_and_b32_e32 v18, 7, v18
	v_cmp_gt_u32_e64 s[10:11], 8, v7
	v_cndmask_b32_e64 v7, v17, v10, s[10:11]
	v_cndmask_b32_e64 v10, v15, v18, s[10:11]
	v_lshlrev_b32_e32 v6, 16, v6
	v_bfrev_b32_e32 v15, 60
	v_lshlrev_b32_e32 v10, 20, v10
	v_and_b32_e32 v6, 0x80000000, v6
	v_lshl_add_u32 v7, v7, 23, v15
	v_or3_b32 v6, v6, v7, v10
	v_lshrrev_b32_e32 v15, 16, v6
.LBB756_770:
	s_or_b64 exec, exec, s[26:27]
.LBB756_771:
	s_or_b64 exec, exec, s[24:25]
.LBB756_772:
	s_or_b64 exec, exec, s[12:13]
	s_movk_i32 s10, 0xff
	v_and_b32_sdwa v17, v9, s10 dst_sel:DWORD dst_unused:UNUSED_PAD src0_sel:WORD_1 src1_sel:DWORD
	v_lshrrev_b32_e32 v6, 16, v9
	v_cmp_ne_u16_e64 s[10:11], 0, v17
	v_mov_b32_e32 v7, 0
	v_mov_b32_e32 v10, 0
	s_and_saveexec_b64 s[12:13], s[10:11]
	s_cbranch_execz .LBB756_778
; %bb.773:
	s_movk_i32 s10, 0x80
	v_cmp_ne_u16_e64 s[10:11], s10, v17
	v_mov_b32_e32 v10, 0xffff8000
	s_and_saveexec_b64 s[24:25], s[10:11]
	s_cbranch_execz .LBB756_777
; %bb.774:
	v_bfe_u32 v17, v9, 16, 7
	s_movk_i32 s10, 0x7f
	v_cmp_ne_u32_e64 s[10:11], s10, v17
	v_mov_b32_e32 v10, 0x7f80
	s_and_saveexec_b64 s[26:27], s[10:11]
	s_cbranch_execz .LBB756_776
; %bb.775:
	v_and_b32_e32 v10, 7, v6
	v_ffbh_u32_e32 v18, v10
	v_min_u32_e32 v21, 32, v18
	v_subrev_u32_e32 v18, 28, v21
	v_lshlrev_b64 v[18:19], v18, v[6:7]
	v_lshrrev_b32_e32 v20, 3, v17
	v_sub_u32_e32 v6, 29, v21
	v_and_b32_e32 v18, 7, v18
	v_cmp_gt_u32_e64 s[10:11], 8, v17
	v_mov_b32_e32 v17, 24
	v_cndmask_b32_e64 v6, v20, v6, s[10:11]
	v_cndmask_b32_e64 v10, v10, v18, s[10:11]
	v_lshlrev_b32_sdwa v17, v17, v9 dst_sel:DWORD dst_unused:UNUSED_PAD src0_sel:DWORD src1_sel:WORD_1
	v_bfrev_b32_e32 v18, 60
	v_lshlrev_b32_e32 v10, 20, v10
	v_and_b32_e32 v17, 0x80000000, v17
	v_lshl_add_u32 v6, v6, 23, v18
	v_or3_b32 v6, v17, v6, v10
	v_lshrrev_b32_e32 v10, 16, v6
.LBB756_776:
	s_or_b64 exec, exec, s[26:27]
.LBB756_777:
	s_or_b64 exec, exec, s[24:25]
.LBB756_778:
	s_or_b64 exec, exec, s[12:13]
	s_mov_b32 s10, -1
	s_mov_b32 s11, 0xffffff
	v_cmp_lt_u64_e64 s[10:11], s[10:11], v[8:9]
	s_and_saveexec_b64 s[12:13], s[10:11]
	s_cbranch_execz .LBB756_784
; %bb.779:
	v_lshrrev_b32_e32 v6, 24, v9
	s_movk_i32 s10, 0x80
	v_cmp_ne_u32_e64 s[10:11], s10, v6
	v_mov_b32_e32 v7, 0xffff8000
	s_and_saveexec_b64 s[24:25], s[10:11]
	s_cbranch_execz .LBB756_783
; %bb.780:
	v_bfe_u32 v8, v9, 24, 7
	s_movk_i32 s10, 0x7f
	v_cmp_ne_u32_e64 s[10:11], s10, v8
	v_mov_b32_e32 v7, 0x7f80
	s_and_saveexec_b64 s[26:27], s[10:11]
	s_cbranch_execz .LBB756_782
; %bb.781:
	v_and_b32_e32 v7, 7, v6
	v_ffbh_u32_e32 v17, v7
	v_min_u32_e32 v17, 32, v17
	v_subrev_u32_e32 v18, 28, v17
	v_lshlrev_b64 v[18:19], v18, v[6:7]
	v_lshrrev_b32_e32 v9, 3, v8
	v_sub_u32_e32 v17, 29, v17
	v_and_b32_e32 v18, 7, v18
	v_cmp_gt_u32_e64 s[10:11], 8, v8
	v_cndmask_b32_e64 v8, v9, v17, s[10:11]
	v_cndmask_b32_e64 v7, v7, v18, s[10:11]
	v_lshlrev_b32_e32 v6, 24, v6
	v_bfrev_b32_e32 v9, 60
	v_lshlrev_b32_e32 v7, 20, v7
	v_and_b32_e32 v6, 0x80000000, v6
	v_lshl_add_u32 v8, v8, 23, v9
	v_or3_b32 v6, v6, v8, v7
	v_lshrrev_b32_e32 v7, 16, v6
.LBB756_782:
	s_or_b64 exec, exec, s[26:27]
.LBB756_783:
	s_or_b64 exec, exec, s[24:25]
.LBB756_784:
	s_or_b64 exec, exec, s[12:13]
	s_load_dword s4, s[4:5], 0x1c
	s_mov_b32 s5, 0x5040100
	v_perm_b32 v9, v14, v13, s5
	v_perm_b32 v8, v11, v12, s5
	;; [unrolled: 1-line block ×4, first 2 shown]
	v_mfma_f32_4x4x4bf16_1k a[0:3], v[2:3], v[8:9], a[0:3] cbsz:4 abid:15
	s_load_dword s5, s[16:17], 0x0
	v_mfma_f32_4x4x4bf16_1k a[0:3], v[4:5], v[6:7], a[0:3] cbsz:4 abid:15
	s_waitcnt lgkmcnt(0)
	v_mov_b32_e32 v2, s4
	v_mov_b32_e32 v9, 0xff7fffff
	v_mul_f32_e32 v4, s5, v2
	v_cmp_eq_u32_e64 s[4:5], 0, v43
	v_accvgpr_read_b32 v7, a1
	v_accvgpr_read_b32 v6, a0
	v_pk_mul_f32 v[6:7], v[6:7], v[4:5] op_sel_hi:[1,0]
	v_accvgpr_read_b32 v3, a3
	v_accvgpr_read_b32 v2, a2
	v_pk_mul_f32 v[2:3], v[2:3], v[4:5] op_sel_hi:[1,0]
	v_cndmask_b32_e64 v4, 0, 1.0, s[4:5]
	v_cmp_eq_u32_e64 s[4:5], 1, v43
	s_nop 0
	v_mfma_f32_4x4x1f32 a[0:3], v6, v4, 0
	v_cndmask_b32_e64 v4, 0, 1.0, s[4:5]
	v_cmp_eq_u32_e64 s[4:5], 2, v43
	s_nop 0
	v_mfma_f32_4x4x1f32 a[0:3], v7, v4, a[0:3]
	v_cndmask_b32_e64 v4, 0, 1.0, s[4:5]
	s_nop 1
	v_mfma_f32_4x4x1f32 a[0:3], v2, v4, a[0:3]
	v_cndmask_b32_e64 v2, 0, 1.0, vcc
	s_nop 1
	v_mfma_f32_4x4x1f32 a[0:3], v3, v2, a[0:3]
	v_and_b32_e32 v2, -4, v44
	v_subrev_u32_e32 v3, s9, v2
	v_add_u32_e32 v4, 1, v3
	v_cvt_f32_i32_e32 v4, v4
	v_add_u32_e32 v5, 2, v3
	v_cvt_f32_i32_e32 v5, v5
	v_accvgpr_read_b32 v6, a0
	v_fma_f32 v4, v45, v4, v6
	v_accvgpr_read_b32 v6, a1
	v_fma_f32 v5, v45, v5, v6
	v_add_u32_e32 v6, 3, v3
	v_cvt_f32_i32_e32 v6, v6
	v_accvgpr_read_b32 v7, a2
	v_add_u32_e32 v3, 4, v3
	v_cmp_gt_i32_e32 vcc, s9, v2
	v_fma_f32 v7, v45, v6, v7
	v_max_f32_e32 v6, 0xff7fffff, v4
	v_cvt_f32_i32_e32 v3, v3
	v_cndmask_b32_e32 v6, v9, v6, vcc
	v_or_b32_e32 v9, 1, v2
	v_max_f32_e32 v10, v6, v5
	v_cmp_gt_i32_e64 s[4:5], s9, v9
	v_cndmask_b32_e64 v6, v6, v10, s[4:5]
	v_or_b32_e32 v2, 2, v2
	v_accvgpr_read_b32 v8, a3
	v_max_f32_e32 v9, v6, v7
	v_cmp_gt_i32_e64 s[10:11], s9, v2
	v_fmac_f32_e32 v8, v45, v3
	v_cndmask_b32_e64 v2, v6, v9, s[10:11]
	v_or_b32_e32 v6, 3, v44
	v_max_f32_e32 v9, v2, v8
	v_cmp_gt_i32_e64 s[12:13], s9, v6
	v_lshlrev_b32_e32 v3, 2, v0
	v_cndmask_b32_e64 v2, v2, v9, s[12:13]
	v_and_or_b32 v3, v3, 48, v43
	;;#ASMSTART
	v_nop
 v_nop
 v_max_f32_dpp v2, v2, v2 row_ror:4
	;;#ASMEND
	v_lshlrev_b32_e32 v9, 2, v3
	;;#ASMSTART
	v_nop
 v_nop
 v_max_f32_dpp v2, v2, v2 row_ror:8
	;;#ASMEND
	ds_bpermute_b32 v2, v9, v2
	s_waitcnt lgkmcnt(0)
	;;#ASMSTART
	v_nop
 v_nop
 v_max_f32_dpp v2, v2, v2 row_ror:4
	;;#ASMEND
	;;#ASMSTART
	v_nop
 v_nop
 v_max_f32_dpp v6, v2, v2 row_ror:8
	;;#ASMEND
	v_sub_f32_e32 v2, v4, v6
	v_mul_f32_e32 v2, 0x3fb8aa3b, v2
	v_sub_f32_e32 v3, v5, v6
	v_exp_f32_e32 v2, v2
	v_mul_f32_e32 v3, 0x3fb8aa3b, v3
	v_sub_f32_e32 v5, v7, v6
	v_exp_f32_e32 v3, v3
	;; [unrolled: 3-line block ×3, first 2 shown]
	v_mul_f32_e32 v7, 0x3fb8aa3b, v7
	v_exp_f32_e32 v7, v7
	v_cndmask_b32_e32 v2, 0, v2, vcc
	v_add_f32_e32 v4, 0, v2
	v_cndmask_b32_e64 v3, 0, v3, s[4:5]
	v_add_f32_e32 v8, v4, v3
	v_cndmask_b32_e64 v4, 0, v5, s[10:11]
	;; [unrolled: 2-line block ×3, first 2 shown]
	v_add_f32_e32 v7, v8, v5
	;;#ASMSTART
	v_nop
 v_nop
 v_add_f32_dpp v7, v7, v7 row_ror:4
	;;#ASMEND
	;;#ASMSTART
	v_nop
 v_nop
 v_add_f32_dpp v7, v7, v7 row_ror:8
	;;#ASMEND
	ds_bpermute_b32 v7, v9, v7
	s_waitcnt lgkmcnt(0)
	;;#ASMSTART
	v_nop
 v_nop
 v_add_f32_dpp v7, v7, v7 row_ror:4
	;;#ASMEND
	v_cmp_gt_u32_e32 vcc, 4, v1
	;;#ASMSTART
	v_nop
 v_nop
 v_add_f32_dpp v7, v7, v7 row_ror:8
	;;#ASMEND
	s_and_saveexec_b64 s[4:5], vcc
	s_cbranch_execz .LBB756_786
; %bb.785:
	v_mul_u32_u24_e32 v8, 20, v42
	v_lshl_add_u32 v8, v43, 2, v8
	v_add_u32_e32 v8, 0x1400, v8
	ds_write2_b32 v8, v6, v7 offset1:20
.LBB756_786:
	s_or_b64 exec, exec, s[4:5]
.LBB756_787:
	s_or_b64 exec, exec, s[34:35]
	s_waitcnt lgkmcnt(0)
	s_barrier
	s_load_dword s4, s[30:31], 0x8
	v_lshlrev_b32_e32 v7, 2, v43
	v_add_u32_e32 v7, 0x1400, v7
	ds_read2_b32 v[10:11], v7 offset1:5
	ds_read2_b32 v[12:13], v7 offset0:10 offset1:15
	s_mul_i32 s5, s8, s44
	s_waitcnt lgkmcnt(0)
	s_mul_i32 s4, s5, s4
	s_mov_b32 s5, 0xff7fffff
	v_max3_f32 v8, v10, s5, v11
	v_max3_f32 v8, v8, v12, v13
	v_sub_f32_e32 v9, v10, v8
	v_sub_f32_e32 v10, v11, v8
	ds_read2_b32 v[14:15], v7 offset0:20 offset1:25
	v_mul_f32_e32 v9, 0x3fb8aa3b, v9
	v_mul_f32_e32 v10, 0x3fb8aa3b, v10
	v_exp_f32_e32 v9, v9
	v_exp_f32_e32 v16, v10
	ds_read2_b32 v[10:11], v7 offset0:30 offset1:35
	v_sub_f32_e32 v7, v12, v8
	v_mul_f32_e32 v7, 0x3fb8aa3b, v7
	v_sub_f32_e32 v12, v13, v8
	v_exp_f32_e32 v7, v7
	v_mul_f32_e32 v12, 0x3fb8aa3b, v12
	v_exp_f32_e32 v12, v12
	s_waitcnt lgkmcnt(1)
	v_fma_f32 v9, v9, v14, 0
	v_fmac_f32_e32 v9, v16, v15
	s_waitcnt lgkmcnt(0)
	v_fmac_f32_e32 v9, v7, v10
	s_mul_i32 s4, s4, 3
	v_fmac_f32_e32 v9, v12, v11
	v_cmp_ne_u32_e32 vcc, 3, v43
	s_and_saveexec_b64 s[8:9], vcc
	s_cbranch_execz .LBB756_789
; %bb.788:
	s_mov_b32 s5, 0
	s_lshl_b64 s[10:11], s[4:5], 2
	s_add_u32 s16, s20, s10
	s_mov_b32 s15, s5
	s_addc_u32 s17, s21, s11
	s_lshl_b64 s[12:13], s[14:15], 2
	s_add_u32 s5, s16, s12
	s_addc_u32 s15, s17, s13
	v_add_u32_e32 v7, s33, v43
	s_add_u32 s10, s22, s10
	v_mul_lo_u32 v10, s44, v7
	v_mov_b32_e32 v11, 0
	s_addc_u32 s11, s23, s11
	v_lshlrev_b64 v[10:11], 2, v[10:11]
	s_add_u32 s10, s10, s12
	v_mov_b32_e32 v7, s15
	v_add_co_u32_e32 v12, vcc, s5, v10
	s_addc_u32 s11, s11, s13
	v_addc_co_u32_e32 v13, vcc, v7, v11, vcc
	v_mov_b32_e32 v7, s11
	v_add_co_u32_e32 v10, vcc, s10, v10
	v_addc_co_u32_e32 v11, vcc, v7, v11, vcc
	global_store_dword v[10:11], v8, off
	global_store_dword v[12:13], v9, off
.LBB756_789:
	s_or_b64 exec, exec, s[8:9]
	v_lshlrev_b32_e32 v7, 3, v42
	s_and_saveexec_b64 s[8:9], s[6:7]
	s_xor_b64 s[6:7], exec, s[8:9]
	s_cbranch_execz .LBB756_791
; %bb.790:
	s_mov_b32 s8, 0
	s_mov_b32 s9, s8
	v_mad_u32_u24 v4, v1, 40, v7
	v_pk_mov_b32 v[2:3], s[8:9], s[8:9] op_sel:[0,1]
	ds_write2st64_b64 v4, v[2:3], v[2:3] offset1:5
                                        ; implicit-def: $vgpr7
                                        ; implicit-def: $vgpr9
                                        ; implicit-def: $vgpr6
                                        ; implicit-def: $vgpr8
                                        ; implicit-def: $vgpr4
                                        ; implicit-def: $vgpr2
.LBB756_791:
	s_andn2_saveexec_b64 s[6:7], s[6:7]
	s_cbranch_execz .LBB756_1178
; %bb.792:
	v_add_f32_e32 v9, 0x358637bd, v9
	v_div_scale_f32 v10, s[8:9], v9, v9, 1.0
	v_rcp_f32_e32 v11, v10
	v_div_scale_f32 v12, vcc, 1.0, v9, 1.0
	v_sub_f32_e32 v6, v6, v8
	v_fma_f32 v13, -v10, v11, 1.0
	v_fmac_f32_e32 v11, v13, v11
	v_mul_f32_e32 v13, v12, v11
	v_fma_f32 v14, -v10, v13, v12
	v_mul_f32_e32 v6, 0x3fb8aa3b, v6
	v_fmac_f32_e32 v13, v14, v11
	v_exp_f32_e32 v6, v6
	v_fma_f32 v10, -v10, v13, v12
	v_div_fmas_f32 v8, v10, v11, v13
	v_div_fixup_f32 v8, v8, v9, 1.0
	v_mul_f32_e32 v6, v6, v8
	v_pk_mul_f32 v[2:3], v[2:3], v[6:7] op_sel_hi:[1,0]
	s_load_dword s8, s[18:19], 0x0
	v_pk_mul_f32 v[4:5], v[4:5], v[6:7] op_sel_hi:[1,0]
	v_bfe_u32 v6, v3, 16, 1
	v_bfe_u32 v8, v2, 16, 1
	s_movk_i32 s5, 0x7fff
	v_add3_u32 v2, v2, v8, s5
	v_add3_u32 v3, v3, v6, s5
	s_mov_b32 s15, 0x7060302
	v_perm_b32 v2, v3, v2, s15
	v_bfe_u32 v3, v5, 16, 1
	v_bfe_u32 v6, v4, 16, 1
	v_add3_u32 v4, v4, v6, s5
	v_add3_u32 v3, v5, v3, s5
	v_mov_b32_e32 v11, 0
	v_perm_b32 v3, v3, v4, s15
	v_add_u32_e32 v5, 64, v11
	s_waitcnt lgkmcnt(0)
	s_mov_b32 s9, s8
	s_mov_b32 s10, s8
	;; [unrolled: 1-line block ×4, first 2 shown]
	s_mov_b64 s[12:13], -1
	s_movk_i32 s22, 0x80
	s_movk_i32 s24, 0x7f
	s_mov_b32 s25, 0xffffff
	s_mov_b32 s26, 0x5040100
	v_mov_b32_e32 v9, 0
	v_bfrev_b32_e32 v10, 60
	s_branch .LBB756_796
.LBB756_793:                            ;   in Loop: Header=BB756_796 Depth=1
	s_or_b64 exec, exec, s[20:21]
.LBB756_794:                            ;   in Loop: Header=BB756_796 Depth=1
	s_or_b64 exec, exec, s[18:19]
.LBB756_795:                            ;   in Loop: Header=BB756_796 Depth=1
	s_or_b64 exec, exec, s[16:17]
	v_perm_b32 v19, v15, v12, s26
	v_perm_b32 v18, v11, v13, s26
	;; [unrolled: 1-line block ×4, first 2 shown]
	v_mfma_f32_4x4x4bf16_1k a[0:3], v[2:3], v[18:19], a[0:3] cbsz:4 abid:14
	s_mul_i32 s16, s23, 0xa00
	v_mfma_f32_4x4x4bf16_1k a[0:3], v[2:3], v[12:13], a[0:3] cbsz:4 abid:15
	s_mov_b32 s23, 1
	v_mov_b32_e32 v11, v5
	s_nop 2
	v_accvgpr_read_b32 v15, a1
	v_accvgpr_read_b32 v14, a0
	v_pk_mul_f32 v[14:15], v[14:15], s[8:9]
	v_accvgpr_read_b32 v13, a3
	v_accvgpr_read_b32 v12, a2
	v_bfe_u32 v4, v15, 16, 1
	v_bfe_u32 v6, v14, 16, 1
	v_pk_mul_f32 v[12:13], v[12:13], s[10:11]
	v_add3_u32 v6, v14, v6, s5
	v_add3_u32 v4, v15, v4, s5
	v_perm_b32 v14, v4, v6, s15
	v_bfe_u32 v4, v13, 16, 1
	v_bfe_u32 v6, v12, 16, 1
	v_add3_u32 v6, v12, v6, s5
	v_add3_u32 v4, v13, v4, s5
	v_perm_b32 v15, v4, v6, s15
	v_mul_u32_u24_e32 v4, 40, v1
	v_add3_u32 v4, s16, v4, v7
	s_xor_b64 s[16:17], s[12:13], -1
	s_mov_b64 s[12:13], 0
	s_andn2_b64 vcc, exec, s[16:17]
	ds_write_b64 v4, v[14:15]
	s_cbranch_vccz .LBB756_1178
.LBB756_796:                            ; =>This Inner Loop Header: Depth=1
	buffer_load_dword v6, v11, s[0:3], 0 offen
	buffer_load_dword v4, v11, s[0:3], 0 offen offset:4
	v_mov_b32_e32 v13, 0
	s_waitcnt vmcnt(1)
	v_cmp_ne_u16_sdwa s[18:19], v6, v9 src0_sel:BYTE_0 src1_sel:DWORD
	s_and_saveexec_b64 s[16:17], s[18:19]
	s_cbranch_execz .LBB756_802
; %bb.797:                              ;   in Loop: Header=BB756_796 Depth=1
	v_cmp_ne_u16_sdwa s[20:21], v6, s22 src0_sel:BYTE_0 src1_sel:DWORD
	v_mov_b32_e32 v13, 0xffff8000
	s_and_saveexec_b64 s[18:19], s[20:21]
	s_cbranch_execz .LBB756_801
; %bb.798:                              ;   in Loop: Header=BB756_796 Depth=1
	v_and_b32_e32 v8, 0x7f, v6
	v_cmp_ne_u32_e32 vcc, s24, v8
	v_mov_b32_e32 v13, 0x7f80
	s_and_saveexec_b64 s[20:21], vcc
	s_cbranch_execz .LBB756_800
; %bb.799:                              ;   in Loop: Header=BB756_796 Depth=1
	v_and_b32_e32 v14, 7, v6
	v_ffbh_u32_e32 v12, v14
	v_min_u32_e32 v16, 32, v12
	v_subrev_u32_e32 v12, 28, v16
	v_lshlrev_b64 v[12:13], v12, v[6:7]
	v_lshrrev_b32_e32 v15, 3, v8
	v_sub_u32_e32 v13, 29, v16
	v_and_b32_e32 v12, 7, v12
	v_cmp_gt_u32_e32 vcc, 8, v8
	v_cndmask_b32_e32 v8, v15, v13, vcc
	v_cndmask_b32_e32 v12, v14, v12, vcc
	v_lshlrev_b32_e32 v13, 24, v6
	v_lshlrev_b32_e32 v12, 20, v12
	v_and_b32_e32 v13, 0x80000000, v13
	v_lshl_add_u32 v8, v8, 23, v10
	v_or3_b32 v8, v13, v8, v12
	v_lshrrev_b32_e32 v13, 16, v8
.LBB756_800:                            ;   in Loop: Header=BB756_796 Depth=1
	s_or_b64 exec, exec, s[20:21]
.LBB756_801:                            ;   in Loop: Header=BB756_796 Depth=1
	s_or_b64 exec, exec, s[18:19]
.LBB756_802:                            ;   in Loop: Header=BB756_796 Depth=1
	s_or_b64 exec, exec, s[16:17]
	v_lshrrev_b16_e32 v8, 8, v6
	v_cmp_ne_u16_e32 vcc, 0, v8
	v_mov_b32_e32 v15, 0
	v_mov_b32_e32 v14, 0
	s_and_saveexec_b64 s[16:17], vcc
	s_cbranch_execz .LBB756_808
; %bb.803:                              ;   in Loop: Header=BB756_796 Depth=1
	v_cmp_ne_u16_e32 vcc, s22, v8
	v_mov_b32_e32 v14, 0xffff8000
	s_and_saveexec_b64 s[18:19], vcc
	s_cbranch_execz .LBB756_807
; %bb.804:                              ;   in Loop: Header=BB756_796 Depth=1
	v_and_b32_e32 v12, 0x7f, v8
	v_cmp_ne_u32_e32 vcc, s24, v12
	v_mov_b32_e32 v14, 0x7f80
	s_and_saveexec_b64 s[20:21], vcc
	s_cbranch_execz .LBB756_806
; %bb.805:                              ;   in Loop: Header=BB756_796 Depth=1
	v_and_b32_e32 v14, 7, v8
	v_ffbh_u32_e32 v16, v14
	v_min_u32_e32 v19, 32, v16
	v_subrev_u32_e32 v16, 28, v19
	v_lshlrev_b64 v[16:17], v16, v[8:9]
	v_lshrrev_b32_e32 v18, 3, v12
	v_sub_u32_e32 v8, 29, v19
	v_and_b32_e32 v16, 7, v16
	v_cmp_gt_u32_e32 vcc, 8, v12
	v_cndmask_b32_e32 v8, v18, v8, vcc
	v_cndmask_b32_e32 v12, v14, v16, vcc
	v_lshlrev_b32_e32 v14, 16, v6
	v_lshlrev_b32_e32 v12, 20, v12
	v_and_b32_e32 v14, 0x80000000, v14
	v_lshl_add_u32 v8, v8, 23, v10
	v_or3_b32 v8, v14, v8, v12
	v_lshrrev_b32_e32 v14, 16, v8
.LBB756_806:                            ;   in Loop: Header=BB756_796 Depth=1
	s_or_b64 exec, exec, s[20:21]
.LBB756_807:                            ;   in Loop: Header=BB756_796 Depth=1
	s_or_b64 exec, exec, s[18:19]
.LBB756_808:                            ;   in Loop: Header=BB756_796 Depth=1
	s_or_b64 exec, exec, s[16:17]
	v_lshrrev_b32_e32 v8, 16, v6
	v_cmp_ne_u16_sdwa s[18:19], v8, v9 src0_sel:BYTE_0 src1_sel:DWORD
	s_and_saveexec_b64 s[16:17], s[18:19]
	s_cbranch_execz .LBB756_814
; %bb.809:                              ;   in Loop: Header=BB756_796 Depth=1
	v_cmp_ne_u16_sdwa s[20:21], v8, s22 src0_sel:BYTE_0 src1_sel:DWORD
	v_mov_b32_e32 v15, 0xffff8000
	s_and_saveexec_b64 s[18:19], s[20:21]
	s_cbranch_execz .LBB756_813
; %bb.810:                              ;   in Loop: Header=BB756_796 Depth=1
	v_bfe_u32 v12, v6, 16, 7
	v_cmp_ne_u32_e32 vcc, s24, v12
	v_mov_b32_e32 v15, 0x7f80
	s_and_saveexec_b64 s[20:21], vcc
	s_cbranch_execz .LBB756_812
; %bb.811:                              ;   in Loop: Header=BB756_796 Depth=1
	v_and_b32_e32 v15, 7, v8
	v_ffbh_u32_e32 v16, v15
	v_min_u32_e32 v19, 32, v16
	v_subrev_u32_e32 v16, 28, v19
	v_lshlrev_b64 v[16:17], v16, v[8:9]
	v_lshrrev_b32_e32 v18, 3, v12
	v_sub_u32_e32 v17, 29, v19
	v_and_b32_e32 v16, 7, v16
	v_cmp_gt_u32_e32 vcc, 8, v12
	v_cndmask_b32_e32 v12, v18, v17, vcc
	v_cndmask_b32_e32 v15, v15, v16, vcc
	v_lshlrev_b32_e32 v8, 24, v8
	v_lshlrev_b32_e32 v15, 20, v15
	v_and_b32_e32 v8, 0x80000000, v8
	v_lshl_add_u32 v12, v12, 23, v10
	v_or3_b32 v8, v8, v12, v15
	v_lshrrev_b32_e32 v15, 16, v8
.LBB756_812:                            ;   in Loop: Header=BB756_796 Depth=1
	s_or_b64 exec, exec, s[20:21]
.LBB756_813:                            ;   in Loop: Header=BB756_796 Depth=1
	s_or_b64 exec, exec, s[18:19]
.LBB756_814:                            ;   in Loop: Header=BB756_796 Depth=1
	s_or_b64 exec, exec, s[16:17]
	v_cmp_lt_u32_e32 vcc, s25, v6
	v_mov_b32_e32 v16, 0
	v_mov_b32_e32 v17, 0
	s_and_saveexec_b64 s[16:17], vcc
	s_cbranch_execz .LBB756_820
; %bb.815:                              ;   in Loop: Header=BB756_796 Depth=1
	v_lshrrev_b32_e32 v8, 24, v6
	v_cmp_ne_u32_e32 vcc, s22, v8
	v_mov_b32_e32 v17, 0xffff8000
	s_and_saveexec_b64 s[18:19], vcc
	s_cbranch_execz .LBB756_819
; %bb.816:                              ;   in Loop: Header=BB756_796 Depth=1
	v_bfe_u32 v6, v6, 24, 7
	v_cmp_ne_u32_e32 vcc, s24, v6
	v_mov_b32_e32 v17, 0x7f80
	s_and_saveexec_b64 s[20:21], vcc
	s_cbranch_execz .LBB756_818
; %bb.817:                              ;   in Loop: Header=BB756_796 Depth=1
	v_and_b32_e32 v12, 7, v8
	v_ffbh_u32_e32 v18, v12
	v_min_u32_e32 v20, 32, v18
	v_subrev_u32_e32 v18, 28, v20
	v_lshlrev_b64 v[18:19], v18, v[8:9]
	v_lshrrev_b32_e32 v17, 3, v6
	v_sub_u32_e32 v19, 29, v20
	v_and_b32_e32 v18, 7, v18
	v_cmp_gt_u32_e32 vcc, 8, v6
	v_cndmask_b32_e32 v6, v17, v19, vcc
	v_cndmask_b32_e32 v12, v12, v18, vcc
	v_lshlrev_b32_e32 v8, 24, v8
	v_lshlrev_b32_e32 v12, 20, v12
	v_and_b32_e32 v8, 0x80000000, v8
	v_lshl_add_u32 v6, v6, 23, v10
	v_or3_b32 v6, v8, v6, v12
	v_lshrrev_b32_e32 v17, 16, v6
.LBB756_818:                            ;   in Loop: Header=BB756_796 Depth=1
	s_or_b64 exec, exec, s[20:21]
.LBB756_819:                            ;   in Loop: Header=BB756_796 Depth=1
	s_or_b64 exec, exec, s[18:19]
.LBB756_820:                            ;   in Loop: Header=BB756_796 Depth=1
	s_or_b64 exec, exec, s[16:17]
	s_waitcnt vmcnt(0)
	v_cmp_ne_u16_sdwa s[18:19], v4, v9 src0_sel:BYTE_0 src1_sel:DWORD
	s_and_saveexec_b64 s[16:17], s[18:19]
	s_cbranch_execz .LBB756_826
; %bb.821:                              ;   in Loop: Header=BB756_796 Depth=1
	v_cmp_ne_u16_sdwa s[20:21], v4, s22 src0_sel:BYTE_0 src1_sel:DWORD
	v_mov_b32_e32 v16, 0xffff8000
	s_and_saveexec_b64 s[18:19], s[20:21]
	s_cbranch_execz .LBB756_825
; %bb.822:                              ;   in Loop: Header=BB756_796 Depth=1
	v_and_b32_e32 v6, 0x7f, v4
	v_cmp_ne_u32_e32 vcc, s24, v6
	v_mov_b32_e32 v16, 0x7f80
	s_and_saveexec_b64 s[20:21], vcc
	s_cbranch_execz .LBB756_824
; %bb.823:                              ;   in Loop: Header=BB756_796 Depth=1
	v_and_b32_e32 v8, 7, v4
	v_ffbh_u32_e32 v16, v8
	v_min_u32_e32 v16, 32, v16
	v_subrev_u32_e32 v18, 28, v16
	v_lshlrev_b64 v[18:19], v18, v[4:5]
	v_lshrrev_b32_e32 v12, 3, v6
	v_sub_u32_e32 v16, 29, v16
	v_and_b32_e32 v18, 7, v18
	v_cmp_gt_u32_e32 vcc, 8, v6
	v_cndmask_b32_e32 v6, v12, v16, vcc
	v_cndmask_b32_e32 v8, v8, v18, vcc
	v_lshlrev_b32_e32 v12, 24, v4
	v_lshlrev_b32_e32 v8, 20, v8
	v_and_b32_e32 v12, 0x80000000, v12
	v_lshl_add_u32 v6, v6, 23, v10
	v_or3_b32 v6, v12, v6, v8
	v_lshrrev_b32_e32 v16, 16, v6
.LBB756_824:                            ;   in Loop: Header=BB756_796 Depth=1
	s_or_b64 exec, exec, s[20:21]
.LBB756_825:                            ;   in Loop: Header=BB756_796 Depth=1
	s_or_b64 exec, exec, s[18:19]
.LBB756_826:                            ;   in Loop: Header=BB756_796 Depth=1
	s_or_b64 exec, exec, s[16:17]
	v_lshrrev_b16_e32 v6, 8, v4
	v_cmp_ne_u16_e32 vcc, 0, v6
	v_mov_b32_e32 v18, 0
	v_mov_b32_e32 v8, 0
	s_and_saveexec_b64 s[16:17], vcc
	s_cbranch_execz .LBB756_832
; %bb.827:                              ;   in Loop: Header=BB756_796 Depth=1
	v_cmp_ne_u16_e32 vcc, s22, v6
	v_mov_b32_e32 v8, 0xffff8000
	s_and_saveexec_b64 s[18:19], vcc
	s_cbranch_execz .LBB756_831
; %bb.828:                              ;   in Loop: Header=BB756_796 Depth=1
	v_and_b32_e32 v12, 0x7f, v6
	v_cmp_ne_u32_e32 vcc, s24, v12
	v_mov_b32_e32 v8, 0x7f80
	s_and_saveexec_b64 s[20:21], vcc
	s_cbranch_execz .LBB756_830
; %bb.829:                              ;   in Loop: Header=BB756_796 Depth=1
	v_and_b32_e32 v8, 7, v6
	v_ffbh_u32_e32 v20, v8
	v_min_u32_e32 v22, 32, v20
	v_subrev_u32_e32 v20, 28, v22
	v_lshlrev_b64 v[20:21], v20, v[6:7]
	v_lshrrev_b32_e32 v19, 3, v12
	v_sub_u32_e32 v6, 29, v22
	v_and_b32_e32 v20, 7, v20
	v_cmp_gt_u32_e32 vcc, 8, v12
	v_cndmask_b32_e32 v6, v19, v6, vcc
	v_cndmask_b32_e32 v8, v8, v20, vcc
	v_lshlrev_b32_e32 v12, 16, v4
	v_lshlrev_b32_e32 v8, 20, v8
	v_and_b32_e32 v12, 0x80000000, v12
	v_lshl_add_u32 v6, v6, 23, v10
	v_or3_b32 v6, v12, v6, v8
	v_lshrrev_b32_e32 v8, 16, v6
.LBB756_830:                            ;   in Loop: Header=BB756_796 Depth=1
	s_or_b64 exec, exec, s[20:21]
.LBB756_831:                            ;   in Loop: Header=BB756_796 Depth=1
	s_or_b64 exec, exec, s[18:19]
.LBB756_832:                            ;   in Loop: Header=BB756_796 Depth=1
	s_or_b64 exec, exec, s[16:17]
	v_lshrrev_b32_e32 v6, 16, v4
	v_cmp_ne_u16_sdwa s[18:19], v6, v9 src0_sel:BYTE_0 src1_sel:DWORD
	s_and_saveexec_b64 s[16:17], s[18:19]
	s_cbranch_execz .LBB756_838
; %bb.833:                              ;   in Loop: Header=BB756_796 Depth=1
	v_cmp_ne_u16_sdwa s[20:21], v6, s22 src0_sel:BYTE_0 src1_sel:DWORD
	v_mov_b32_e32 v18, 0xffff8000
	s_and_saveexec_b64 s[18:19], s[20:21]
	s_cbranch_execz .LBB756_837
; %bb.834:                              ;   in Loop: Header=BB756_796 Depth=1
	v_bfe_u32 v12, v4, 16, 7
	v_cmp_ne_u32_e32 vcc, s24, v12
	v_mov_b32_e32 v18, 0x7f80
	s_and_saveexec_b64 s[20:21], vcc
	s_cbranch_execz .LBB756_836
; %bb.835:                              ;   in Loop: Header=BB756_796 Depth=1
	v_and_b32_e32 v20, 7, v6
	v_ffbh_u32_e32 v18, v20
	v_min_u32_e32 v22, 32, v18
	v_subrev_u32_e32 v18, 28, v22
	v_lshlrev_b64 v[18:19], v18, v[6:7]
	v_lshrrev_b32_e32 v21, 3, v12
	v_sub_u32_e32 v19, 29, v22
	v_and_b32_e32 v18, 7, v18
	v_cmp_gt_u32_e32 vcc, 8, v12
	v_cndmask_b32_e32 v12, v21, v19, vcc
	v_cndmask_b32_e32 v18, v20, v18, vcc
	v_lshlrev_b32_e32 v6, 24, v6
	v_lshlrev_b32_e32 v18, 20, v18
	v_and_b32_e32 v6, 0x80000000, v6
	v_lshl_add_u32 v12, v12, 23, v10
	v_or3_b32 v6, v6, v12, v18
	v_lshrrev_b32_e32 v18, 16, v6
.LBB756_836:                            ;   in Loop: Header=BB756_796 Depth=1
	s_or_b64 exec, exec, s[20:21]
.LBB756_837:                            ;   in Loop: Header=BB756_796 Depth=1
	s_or_b64 exec, exec, s[18:19]
.LBB756_838:                            ;   in Loop: Header=BB756_796 Depth=1
	s_or_b64 exec, exec, s[16:17]
	v_cmp_lt_u32_e32 vcc, s25, v4
	v_mov_b32_e32 v12, 0
	v_mov_b32_e32 v19, 0
	s_and_saveexec_b64 s[16:17], vcc
	s_cbranch_execz .LBB756_844
; %bb.839:                              ;   in Loop: Header=BB756_796 Depth=1
	v_lshrrev_b32_e32 v6, 24, v4
	v_cmp_ne_u32_e32 vcc, s22, v6
	v_mov_b32_e32 v19, 0xffff8000
	s_and_saveexec_b64 s[18:19], vcc
	s_cbranch_execz .LBB756_843
; %bb.840:                              ;   in Loop: Header=BB756_796 Depth=1
	v_bfe_u32 v4, v4, 24, 7
	v_cmp_ne_u32_e32 vcc, s24, v4
	v_mov_b32_e32 v19, 0x7f80
	s_and_saveexec_b64 s[20:21], vcc
	s_cbranch_execz .LBB756_842
; %bb.841:                              ;   in Loop: Header=BB756_796 Depth=1
	v_and_b32_e32 v19, 7, v6
	v_ffbh_u32_e32 v20, v19
	v_min_u32_e32 v23, 32, v20
	v_subrev_u32_e32 v20, 28, v23
	v_lshlrev_b64 v[20:21], v20, v[6:7]
	v_lshrrev_b32_e32 v22, 3, v4
	v_sub_u32_e32 v21, 29, v23
	v_and_b32_e32 v20, 7, v20
	v_cmp_gt_u32_e32 vcc, 8, v4
	v_cndmask_b32_e32 v4, v22, v21, vcc
	v_cndmask_b32_e32 v19, v19, v20, vcc
	v_lshlrev_b32_e32 v6, 24, v6
	v_lshlrev_b32_e32 v19, 20, v19
	v_and_b32_e32 v6, 0x80000000, v6
	v_lshl_add_u32 v4, v4, 23, v10
	v_or3_b32 v4, v6, v4, v19
	v_lshrrev_b32_e32 v19, 16, v4
.LBB756_842:                            ;   in Loop: Header=BB756_796 Depth=1
	s_or_b64 exec, exec, s[20:21]
.LBB756_843:                            ;   in Loop: Header=BB756_796 Depth=1
	s_or_b64 exec, exec, s[18:19]
.LBB756_844:                            ;   in Loop: Header=BB756_796 Depth=1
	s_or_b64 exec, exec, s[16:17]
	buffer_load_dword v6, v11, s[0:3], 0 offen offset:8
	buffer_load_dword v4, v11, s[0:3], 0 offen offset:12
	v_perm_b32 v15, v17, v15, s26
	v_perm_b32 v14, v14, v13, s26
	;; [unrolled: 1-line block ×4, first 2 shown]
	v_mfma_f32_4x4x4bf16_1k a[0:3], v[2:3], v[14:15], 0 cbsz:4
	s_waitcnt vmcnt(1)
	v_cmp_ne_u16_sdwa s[18:19], v6, v9 src0_sel:BYTE_0 src1_sel:DWORD
	v_mfma_f32_4x4x4bf16_1k a[0:3], v[2:3], v[16:17], a[0:3] cbsz:4 abid:1
	s_and_saveexec_b64 s[16:17], s[18:19]
	s_cbranch_execz .LBB756_850
; %bb.845:                              ;   in Loop: Header=BB756_796 Depth=1
	v_cmp_ne_u16_sdwa s[20:21], v6, s22 src0_sel:BYTE_0 src1_sel:DWORD
	v_mov_b32_e32 v12, 0xffff8000
	s_and_saveexec_b64 s[18:19], s[20:21]
	s_cbranch_execz .LBB756_849
; %bb.846:                              ;   in Loop: Header=BB756_796 Depth=1
	v_and_b32_e32 v8, 0x7f, v6
	v_cmp_ne_u32_e32 vcc, s24, v8
	v_mov_b32_e32 v12, 0x7f80
	s_and_saveexec_b64 s[20:21], vcc
	s_cbranch_execz .LBB756_848
; %bb.847:                              ;   in Loop: Header=BB756_796 Depth=1
	v_and_b32_e32 v14, 7, v6
	v_ffbh_u32_e32 v12, v14
	v_min_u32_e32 v16, 32, v12
	v_subrev_u32_e32 v12, 28, v16
	v_lshlrev_b64 v[12:13], v12, v[6:7]
	v_lshrrev_b32_e32 v15, 3, v8
	v_sub_u32_e32 v13, 29, v16
	v_and_b32_e32 v12, 7, v12
	v_cmp_gt_u32_e32 vcc, 8, v8
	v_cndmask_b32_e32 v8, v15, v13, vcc
	v_cndmask_b32_e32 v12, v14, v12, vcc
	v_lshlrev_b32_e32 v13, 24, v6
	v_lshlrev_b32_e32 v12, 20, v12
	v_and_b32_e32 v13, 0x80000000, v13
	v_lshl_add_u32 v8, v8, 23, v10
	v_or3_b32 v8, v13, v8, v12
	v_lshrrev_b32_e32 v12, 16, v8
.LBB756_848:                            ;   in Loop: Header=BB756_796 Depth=1
	s_or_b64 exec, exec, s[20:21]
.LBB756_849:                            ;   in Loop: Header=BB756_796 Depth=1
	s_or_b64 exec, exec, s[18:19]
.LBB756_850:                            ;   in Loop: Header=BB756_796 Depth=1
	s_or_b64 exec, exec, s[16:17]
	v_lshrrev_b16_e32 v8, 8, v6
	v_cmp_ne_u16_e32 vcc, 0, v8
	v_mov_b32_e32 v15, 0
	v_mov_b32_e32 v14, 0
	s_and_saveexec_b64 s[16:17], vcc
	s_cbranch_execz .LBB756_856
; %bb.851:                              ;   in Loop: Header=BB756_796 Depth=1
	v_cmp_ne_u16_e32 vcc, s22, v8
	v_mov_b32_e32 v14, 0xffff8000
	s_and_saveexec_b64 s[18:19], vcc
	s_cbranch_execz .LBB756_855
; %bb.852:                              ;   in Loop: Header=BB756_796 Depth=1
	v_and_b32_e32 v13, 0x7f, v8
	v_cmp_ne_u32_e32 vcc, s24, v13
	v_mov_b32_e32 v14, 0x7f80
	s_and_saveexec_b64 s[20:21], vcc
	s_cbranch_execz .LBB756_854
; %bb.853:                              ;   in Loop: Header=BB756_796 Depth=1
	v_and_b32_e32 v14, 7, v8
	v_ffbh_u32_e32 v16, v14
	v_min_u32_e32 v19, 32, v16
	v_subrev_u32_e32 v16, 28, v19
	v_lshlrev_b64 v[16:17], v16, v[8:9]
	v_lshrrev_b32_e32 v18, 3, v13
	v_sub_u32_e32 v8, 29, v19
	v_and_b32_e32 v16, 7, v16
	v_cmp_gt_u32_e32 vcc, 8, v13
	v_cndmask_b32_e32 v8, v18, v8, vcc
	v_cndmask_b32_e32 v13, v14, v16, vcc
	v_lshlrev_b32_e32 v14, 16, v6
	v_lshlrev_b32_e32 v13, 20, v13
	v_and_b32_e32 v14, 0x80000000, v14
	v_lshl_add_u32 v8, v8, 23, v10
	v_or3_b32 v8, v14, v8, v13
	v_lshrrev_b32_e32 v14, 16, v8
.LBB756_854:                            ;   in Loop: Header=BB756_796 Depth=1
	s_or_b64 exec, exec, s[20:21]
.LBB756_855:                            ;   in Loop: Header=BB756_796 Depth=1
	s_or_b64 exec, exec, s[18:19]
.LBB756_856:                            ;   in Loop: Header=BB756_796 Depth=1
	s_or_b64 exec, exec, s[16:17]
	v_lshrrev_b32_e32 v8, 16, v6
	v_cmp_ne_u16_sdwa s[18:19], v8, v9 src0_sel:BYTE_0 src1_sel:DWORD
	s_and_saveexec_b64 s[16:17], s[18:19]
	s_cbranch_execz .LBB756_862
; %bb.857:                              ;   in Loop: Header=BB756_796 Depth=1
	v_cmp_ne_u16_sdwa s[20:21], v8, s22 src0_sel:BYTE_0 src1_sel:DWORD
	v_mov_b32_e32 v15, 0xffff8000
	s_and_saveexec_b64 s[18:19], s[20:21]
	s_cbranch_execz .LBB756_861
; %bb.858:                              ;   in Loop: Header=BB756_796 Depth=1
	v_bfe_u32 v13, v6, 16, 7
	v_cmp_ne_u32_e32 vcc, s24, v13
	v_mov_b32_e32 v15, 0x7f80
	s_and_saveexec_b64 s[20:21], vcc
	s_cbranch_execz .LBB756_860
; %bb.859:                              ;   in Loop: Header=BB756_796 Depth=1
	v_and_b32_e32 v15, 7, v8
	v_ffbh_u32_e32 v16, v15
	v_min_u32_e32 v19, 32, v16
	v_subrev_u32_e32 v16, 28, v19
	v_lshlrev_b64 v[16:17], v16, v[8:9]
	v_lshrrev_b32_e32 v18, 3, v13
	v_sub_u32_e32 v17, 29, v19
	v_and_b32_e32 v16, 7, v16
	v_cmp_gt_u32_e32 vcc, 8, v13
	v_cndmask_b32_e32 v13, v18, v17, vcc
	v_cndmask_b32_e32 v15, v15, v16, vcc
	v_lshlrev_b32_e32 v8, 24, v8
	v_lshlrev_b32_e32 v15, 20, v15
	v_and_b32_e32 v8, 0x80000000, v8
	v_lshl_add_u32 v13, v13, 23, v10
	v_or3_b32 v8, v8, v13, v15
	v_lshrrev_b32_e32 v15, 16, v8
.LBB756_860:                            ;   in Loop: Header=BB756_796 Depth=1
	s_or_b64 exec, exec, s[20:21]
.LBB756_861:                            ;   in Loop: Header=BB756_796 Depth=1
	s_or_b64 exec, exec, s[18:19]
.LBB756_862:                            ;   in Loop: Header=BB756_796 Depth=1
	s_or_b64 exec, exec, s[16:17]
	v_cmp_lt_u32_e32 vcc, s25, v6
	v_mov_b32_e32 v16, 0
	v_mov_b32_e32 v17, 0
	s_and_saveexec_b64 s[16:17], vcc
	s_cbranch_execz .LBB756_868
; %bb.863:                              ;   in Loop: Header=BB756_796 Depth=1
	v_lshrrev_b32_e32 v8, 24, v6
	v_cmp_ne_u32_e32 vcc, s22, v8
	v_mov_b32_e32 v17, 0xffff8000
	s_and_saveexec_b64 s[18:19], vcc
	s_cbranch_execz .LBB756_867
; %bb.864:                              ;   in Loop: Header=BB756_796 Depth=1
	v_bfe_u32 v6, v6, 24, 7
	v_cmp_ne_u32_e32 vcc, s24, v6
	v_mov_b32_e32 v17, 0x7f80
	s_and_saveexec_b64 s[20:21], vcc
	s_cbranch_execz .LBB756_866
; %bb.865:                              ;   in Loop: Header=BB756_796 Depth=1
	v_and_b32_e32 v13, 7, v8
	v_ffbh_u32_e32 v18, v13
	v_min_u32_e32 v20, 32, v18
	v_subrev_u32_e32 v18, 28, v20
	v_lshlrev_b64 v[18:19], v18, v[8:9]
	v_lshrrev_b32_e32 v17, 3, v6
	v_sub_u32_e32 v19, 29, v20
	v_and_b32_e32 v18, 7, v18
	v_cmp_gt_u32_e32 vcc, 8, v6
	v_cndmask_b32_e32 v6, v17, v19, vcc
	v_cndmask_b32_e32 v13, v13, v18, vcc
	v_lshlrev_b32_e32 v8, 24, v8
	v_lshlrev_b32_e32 v13, 20, v13
	v_and_b32_e32 v8, 0x80000000, v8
	v_lshl_add_u32 v6, v6, 23, v10
	v_or3_b32 v6, v8, v6, v13
	v_lshrrev_b32_e32 v17, 16, v6
.LBB756_866:                            ;   in Loop: Header=BB756_796 Depth=1
	s_or_b64 exec, exec, s[20:21]
.LBB756_867:                            ;   in Loop: Header=BB756_796 Depth=1
	s_or_b64 exec, exec, s[18:19]
.LBB756_868:                            ;   in Loop: Header=BB756_796 Depth=1
	s_or_b64 exec, exec, s[16:17]
	s_waitcnt vmcnt(0)
	v_cmp_ne_u16_sdwa s[18:19], v4, v9 src0_sel:BYTE_0 src1_sel:DWORD
	s_and_saveexec_b64 s[16:17], s[18:19]
	s_cbranch_execz .LBB756_874
; %bb.869:                              ;   in Loop: Header=BB756_796 Depth=1
	v_cmp_ne_u16_sdwa s[20:21], v4, s22 src0_sel:BYTE_0 src1_sel:DWORD
	v_mov_b32_e32 v16, 0xffff8000
	s_and_saveexec_b64 s[18:19], s[20:21]
	s_cbranch_execz .LBB756_873
; %bb.870:                              ;   in Loop: Header=BB756_796 Depth=1
	v_and_b32_e32 v6, 0x7f, v4
	v_cmp_ne_u32_e32 vcc, s24, v6
	v_mov_b32_e32 v16, 0x7f80
	s_and_saveexec_b64 s[20:21], vcc
	s_cbranch_execz .LBB756_872
; %bb.871:                              ;   in Loop: Header=BB756_796 Depth=1
	v_and_b32_e32 v8, 7, v4
	v_ffbh_u32_e32 v16, v8
	v_min_u32_e32 v16, 32, v16
	v_subrev_u32_e32 v18, 28, v16
	v_lshlrev_b64 v[18:19], v18, v[4:5]
	v_lshrrev_b32_e32 v13, 3, v6
	v_sub_u32_e32 v16, 29, v16
	v_and_b32_e32 v18, 7, v18
	v_cmp_gt_u32_e32 vcc, 8, v6
	v_cndmask_b32_e32 v6, v13, v16, vcc
	v_cndmask_b32_e32 v8, v8, v18, vcc
	v_lshlrev_b32_e32 v13, 24, v4
	v_lshlrev_b32_e32 v8, 20, v8
	v_and_b32_e32 v13, 0x80000000, v13
	v_lshl_add_u32 v6, v6, 23, v10
	v_or3_b32 v6, v13, v6, v8
	v_lshrrev_b32_e32 v16, 16, v6
.LBB756_872:                            ;   in Loop: Header=BB756_796 Depth=1
	s_or_b64 exec, exec, s[20:21]
.LBB756_873:                            ;   in Loop: Header=BB756_796 Depth=1
	s_or_b64 exec, exec, s[18:19]
.LBB756_874:                            ;   in Loop: Header=BB756_796 Depth=1
	s_or_b64 exec, exec, s[16:17]
	v_lshrrev_b16_e32 v6, 8, v4
	v_cmp_ne_u16_e32 vcc, 0, v6
	v_mov_b32_e32 v18, 0
	v_mov_b32_e32 v8, 0
	s_and_saveexec_b64 s[16:17], vcc
	s_cbranch_execz .LBB756_880
; %bb.875:                              ;   in Loop: Header=BB756_796 Depth=1
	v_cmp_ne_u16_e32 vcc, s22, v6
	v_mov_b32_e32 v8, 0xffff8000
	s_and_saveexec_b64 s[18:19], vcc
	s_cbranch_execz .LBB756_879
; %bb.876:                              ;   in Loop: Header=BB756_796 Depth=1
	v_and_b32_e32 v13, 0x7f, v6
	v_cmp_ne_u32_e32 vcc, s24, v13
	v_mov_b32_e32 v8, 0x7f80
	s_and_saveexec_b64 s[20:21], vcc
	s_cbranch_execz .LBB756_878
; %bb.877:                              ;   in Loop: Header=BB756_796 Depth=1
	v_and_b32_e32 v8, 7, v6
	v_ffbh_u32_e32 v20, v8
	v_min_u32_e32 v22, 32, v20
	v_subrev_u32_e32 v20, 28, v22
	v_lshlrev_b64 v[20:21], v20, v[6:7]
	v_lshrrev_b32_e32 v19, 3, v13
	v_sub_u32_e32 v6, 29, v22
	v_and_b32_e32 v20, 7, v20
	v_cmp_gt_u32_e32 vcc, 8, v13
	v_cndmask_b32_e32 v6, v19, v6, vcc
	v_cndmask_b32_e32 v8, v8, v20, vcc
	v_lshlrev_b32_e32 v13, 16, v4
	v_lshlrev_b32_e32 v8, 20, v8
	v_and_b32_e32 v13, 0x80000000, v13
	v_lshl_add_u32 v6, v6, 23, v10
	v_or3_b32 v6, v13, v6, v8
	v_lshrrev_b32_e32 v8, 16, v6
.LBB756_878:                            ;   in Loop: Header=BB756_796 Depth=1
	s_or_b64 exec, exec, s[20:21]
.LBB756_879:                            ;   in Loop: Header=BB756_796 Depth=1
	s_or_b64 exec, exec, s[18:19]
.LBB756_880:                            ;   in Loop: Header=BB756_796 Depth=1
	s_or_b64 exec, exec, s[16:17]
	v_lshrrev_b32_e32 v6, 16, v4
	v_cmp_ne_u16_sdwa s[18:19], v6, v9 src0_sel:BYTE_0 src1_sel:DWORD
	s_and_saveexec_b64 s[16:17], s[18:19]
	s_cbranch_execz .LBB756_886
; %bb.881:                              ;   in Loop: Header=BB756_796 Depth=1
	v_cmp_ne_u16_sdwa s[20:21], v6, s22 src0_sel:BYTE_0 src1_sel:DWORD
	v_mov_b32_e32 v18, 0xffff8000
	s_and_saveexec_b64 s[18:19], s[20:21]
	s_cbranch_execz .LBB756_885
; %bb.882:                              ;   in Loop: Header=BB756_796 Depth=1
	v_bfe_u32 v13, v4, 16, 7
	v_cmp_ne_u32_e32 vcc, s24, v13
	v_mov_b32_e32 v18, 0x7f80
	s_and_saveexec_b64 s[20:21], vcc
	s_cbranch_execz .LBB756_884
; %bb.883:                              ;   in Loop: Header=BB756_796 Depth=1
	v_and_b32_e32 v20, 7, v6
	v_ffbh_u32_e32 v18, v20
	v_min_u32_e32 v22, 32, v18
	v_subrev_u32_e32 v18, 28, v22
	v_lshlrev_b64 v[18:19], v18, v[6:7]
	v_lshrrev_b32_e32 v21, 3, v13
	v_sub_u32_e32 v19, 29, v22
	v_and_b32_e32 v18, 7, v18
	v_cmp_gt_u32_e32 vcc, 8, v13
	v_cndmask_b32_e32 v13, v21, v19, vcc
	v_cndmask_b32_e32 v18, v20, v18, vcc
	v_lshlrev_b32_e32 v6, 24, v6
	v_lshlrev_b32_e32 v18, 20, v18
	v_and_b32_e32 v6, 0x80000000, v6
	v_lshl_add_u32 v13, v13, 23, v10
	v_or3_b32 v6, v6, v13, v18
	v_lshrrev_b32_e32 v18, 16, v6
.LBB756_884:                            ;   in Loop: Header=BB756_796 Depth=1
	s_or_b64 exec, exec, s[20:21]
.LBB756_885:                            ;   in Loop: Header=BB756_796 Depth=1
	s_or_b64 exec, exec, s[18:19]
.LBB756_886:                            ;   in Loop: Header=BB756_796 Depth=1
	s_or_b64 exec, exec, s[16:17]
	v_cmp_lt_u32_e32 vcc, s25, v4
	v_mov_b32_e32 v13, 0
	v_mov_b32_e32 v19, 0
	s_and_saveexec_b64 s[16:17], vcc
	s_cbranch_execz .LBB756_892
; %bb.887:                              ;   in Loop: Header=BB756_796 Depth=1
	v_lshrrev_b32_e32 v6, 24, v4
	v_cmp_ne_u32_e32 vcc, s22, v6
	v_mov_b32_e32 v19, 0xffff8000
	s_and_saveexec_b64 s[18:19], vcc
	s_cbranch_execz .LBB756_891
; %bb.888:                              ;   in Loop: Header=BB756_796 Depth=1
	v_bfe_u32 v4, v4, 24, 7
	v_cmp_ne_u32_e32 vcc, s24, v4
	v_mov_b32_e32 v19, 0x7f80
	s_and_saveexec_b64 s[20:21], vcc
	s_cbranch_execz .LBB756_890
; %bb.889:                              ;   in Loop: Header=BB756_796 Depth=1
	v_and_b32_e32 v19, 7, v6
	v_ffbh_u32_e32 v20, v19
	v_min_u32_e32 v23, 32, v20
	v_subrev_u32_e32 v20, 28, v23
	v_lshlrev_b64 v[20:21], v20, v[6:7]
	v_lshrrev_b32_e32 v22, 3, v4
	v_sub_u32_e32 v21, 29, v23
	v_and_b32_e32 v20, 7, v20
	v_cmp_gt_u32_e32 vcc, 8, v4
	v_cndmask_b32_e32 v4, v22, v21, vcc
	v_cndmask_b32_e32 v19, v19, v20, vcc
	v_lshlrev_b32_e32 v6, 24, v6
	v_lshlrev_b32_e32 v19, 20, v19
	v_and_b32_e32 v6, 0x80000000, v6
	v_lshl_add_u32 v4, v4, 23, v10
	v_or3_b32 v4, v6, v4, v19
	v_lshrrev_b32_e32 v19, 16, v4
.LBB756_890:                            ;   in Loop: Header=BB756_796 Depth=1
	s_or_b64 exec, exec, s[20:21]
.LBB756_891:                            ;   in Loop: Header=BB756_796 Depth=1
	s_or_b64 exec, exec, s[18:19]
.LBB756_892:                            ;   in Loop: Header=BB756_796 Depth=1
	s_or_b64 exec, exec, s[16:17]
	buffer_load_dword v6, v11, s[0:3], 0 offen offset:16
	buffer_load_dword v4, v11, s[0:3], 0 offen offset:20
	v_perm_b32 v15, v17, v15, s26
	v_perm_b32 v14, v14, v12, s26
	;; [unrolled: 1-line block ×4, first 2 shown]
	v_mfma_f32_4x4x4bf16_1k a[0:3], v[2:3], v[14:15], a[0:3] cbsz:4 abid:2
	s_waitcnt vmcnt(1)
	v_cmp_ne_u16_sdwa s[18:19], v6, v9 src0_sel:BYTE_0 src1_sel:DWORD
	v_mfma_f32_4x4x4bf16_1k a[0:3], v[2:3], v[16:17], a[0:3] cbsz:4 abid:3
	s_and_saveexec_b64 s[16:17], s[18:19]
	s_cbranch_execz .LBB756_898
; %bb.893:                              ;   in Loop: Header=BB756_796 Depth=1
	v_cmp_ne_u16_sdwa s[20:21], v6, s22 src0_sel:BYTE_0 src1_sel:DWORD
	v_mov_b32_e32 v13, 0xffff8000
	s_and_saveexec_b64 s[18:19], s[20:21]
	s_cbranch_execz .LBB756_897
; %bb.894:                              ;   in Loop: Header=BB756_796 Depth=1
	v_and_b32_e32 v8, 0x7f, v6
	v_cmp_ne_u32_e32 vcc, s24, v8
	v_mov_b32_e32 v13, 0x7f80
	s_and_saveexec_b64 s[20:21], vcc
	s_cbranch_execz .LBB756_896
; %bb.895:                              ;   in Loop: Header=BB756_796 Depth=1
	v_and_b32_e32 v14, 7, v6
	v_ffbh_u32_e32 v12, v14
	v_min_u32_e32 v16, 32, v12
	v_subrev_u32_e32 v12, 28, v16
	v_lshlrev_b64 v[12:13], v12, v[6:7]
	v_lshrrev_b32_e32 v15, 3, v8
	v_sub_u32_e32 v13, 29, v16
	v_and_b32_e32 v12, 7, v12
	v_cmp_gt_u32_e32 vcc, 8, v8
	v_cndmask_b32_e32 v8, v15, v13, vcc
	v_cndmask_b32_e32 v12, v14, v12, vcc
	v_lshlrev_b32_e32 v13, 24, v6
	v_lshlrev_b32_e32 v12, 20, v12
	v_and_b32_e32 v13, 0x80000000, v13
	v_lshl_add_u32 v8, v8, 23, v10
	v_or3_b32 v8, v13, v8, v12
	v_lshrrev_b32_e32 v13, 16, v8
.LBB756_896:                            ;   in Loop: Header=BB756_796 Depth=1
	s_or_b64 exec, exec, s[20:21]
.LBB756_897:                            ;   in Loop: Header=BB756_796 Depth=1
	s_or_b64 exec, exec, s[18:19]
.LBB756_898:                            ;   in Loop: Header=BB756_796 Depth=1
	s_or_b64 exec, exec, s[16:17]
	v_lshrrev_b16_e32 v8, 8, v6
	v_cmp_ne_u16_e32 vcc, 0, v8
	v_mov_b32_e32 v15, 0
	v_mov_b32_e32 v14, 0
	s_and_saveexec_b64 s[16:17], vcc
	s_cbranch_execz .LBB756_904
; %bb.899:                              ;   in Loop: Header=BB756_796 Depth=1
	v_cmp_ne_u16_e32 vcc, s22, v8
	v_mov_b32_e32 v14, 0xffff8000
	s_and_saveexec_b64 s[18:19], vcc
	s_cbranch_execz .LBB756_903
; %bb.900:                              ;   in Loop: Header=BB756_796 Depth=1
	v_and_b32_e32 v12, 0x7f, v8
	v_cmp_ne_u32_e32 vcc, s24, v12
	v_mov_b32_e32 v14, 0x7f80
	s_and_saveexec_b64 s[20:21], vcc
	s_cbranch_execz .LBB756_902
; %bb.901:                              ;   in Loop: Header=BB756_796 Depth=1
	v_and_b32_e32 v14, 7, v8
	v_ffbh_u32_e32 v16, v14
	v_min_u32_e32 v19, 32, v16
	v_subrev_u32_e32 v16, 28, v19
	v_lshlrev_b64 v[16:17], v16, v[8:9]
	v_lshrrev_b32_e32 v18, 3, v12
	v_sub_u32_e32 v8, 29, v19
	v_and_b32_e32 v16, 7, v16
	v_cmp_gt_u32_e32 vcc, 8, v12
	v_cndmask_b32_e32 v8, v18, v8, vcc
	v_cndmask_b32_e32 v12, v14, v16, vcc
	v_lshlrev_b32_e32 v14, 16, v6
	v_lshlrev_b32_e32 v12, 20, v12
	v_and_b32_e32 v14, 0x80000000, v14
	v_lshl_add_u32 v8, v8, 23, v10
	v_or3_b32 v8, v14, v8, v12
	v_lshrrev_b32_e32 v14, 16, v8
.LBB756_902:                            ;   in Loop: Header=BB756_796 Depth=1
	s_or_b64 exec, exec, s[20:21]
.LBB756_903:                            ;   in Loop: Header=BB756_796 Depth=1
	s_or_b64 exec, exec, s[18:19]
.LBB756_904:                            ;   in Loop: Header=BB756_796 Depth=1
	s_or_b64 exec, exec, s[16:17]
	v_lshrrev_b32_e32 v8, 16, v6
	v_cmp_ne_u16_sdwa s[18:19], v8, v9 src0_sel:BYTE_0 src1_sel:DWORD
	s_and_saveexec_b64 s[16:17], s[18:19]
	s_cbranch_execz .LBB756_910
; %bb.905:                              ;   in Loop: Header=BB756_796 Depth=1
	v_cmp_ne_u16_sdwa s[20:21], v8, s22 src0_sel:BYTE_0 src1_sel:DWORD
	v_mov_b32_e32 v15, 0xffff8000
	s_and_saveexec_b64 s[18:19], s[20:21]
	s_cbranch_execz .LBB756_909
; %bb.906:                              ;   in Loop: Header=BB756_796 Depth=1
	v_bfe_u32 v12, v6, 16, 7
	v_cmp_ne_u32_e32 vcc, s24, v12
	v_mov_b32_e32 v15, 0x7f80
	s_and_saveexec_b64 s[20:21], vcc
	s_cbranch_execz .LBB756_908
; %bb.907:                              ;   in Loop: Header=BB756_796 Depth=1
	v_and_b32_e32 v15, 7, v8
	v_ffbh_u32_e32 v16, v15
	v_min_u32_e32 v19, 32, v16
	v_subrev_u32_e32 v16, 28, v19
	v_lshlrev_b64 v[16:17], v16, v[8:9]
	v_lshrrev_b32_e32 v18, 3, v12
	v_sub_u32_e32 v17, 29, v19
	v_and_b32_e32 v16, 7, v16
	v_cmp_gt_u32_e32 vcc, 8, v12
	v_cndmask_b32_e32 v12, v18, v17, vcc
	v_cndmask_b32_e32 v15, v15, v16, vcc
	v_lshlrev_b32_e32 v8, 24, v8
	v_lshlrev_b32_e32 v15, 20, v15
	v_and_b32_e32 v8, 0x80000000, v8
	v_lshl_add_u32 v12, v12, 23, v10
	v_or3_b32 v8, v8, v12, v15
	v_lshrrev_b32_e32 v15, 16, v8
.LBB756_908:                            ;   in Loop: Header=BB756_796 Depth=1
	s_or_b64 exec, exec, s[20:21]
.LBB756_909:                            ;   in Loop: Header=BB756_796 Depth=1
	s_or_b64 exec, exec, s[18:19]
.LBB756_910:                            ;   in Loop: Header=BB756_796 Depth=1
	s_or_b64 exec, exec, s[16:17]
	v_cmp_lt_u32_e32 vcc, s25, v6
	v_mov_b32_e32 v16, 0
	v_mov_b32_e32 v17, 0
	s_and_saveexec_b64 s[16:17], vcc
	s_cbranch_execz .LBB756_916
; %bb.911:                              ;   in Loop: Header=BB756_796 Depth=1
	v_lshrrev_b32_e32 v8, 24, v6
	v_cmp_ne_u32_e32 vcc, s22, v8
	v_mov_b32_e32 v17, 0xffff8000
	s_and_saveexec_b64 s[18:19], vcc
	s_cbranch_execz .LBB756_915
; %bb.912:                              ;   in Loop: Header=BB756_796 Depth=1
	v_bfe_u32 v6, v6, 24, 7
	v_cmp_ne_u32_e32 vcc, s24, v6
	v_mov_b32_e32 v17, 0x7f80
	s_and_saveexec_b64 s[20:21], vcc
	s_cbranch_execz .LBB756_914
; %bb.913:                              ;   in Loop: Header=BB756_796 Depth=1
	v_and_b32_e32 v12, 7, v8
	v_ffbh_u32_e32 v18, v12
	v_min_u32_e32 v20, 32, v18
	v_subrev_u32_e32 v18, 28, v20
	v_lshlrev_b64 v[18:19], v18, v[8:9]
	v_lshrrev_b32_e32 v17, 3, v6
	v_sub_u32_e32 v19, 29, v20
	v_and_b32_e32 v18, 7, v18
	v_cmp_gt_u32_e32 vcc, 8, v6
	v_cndmask_b32_e32 v6, v17, v19, vcc
	v_cndmask_b32_e32 v12, v12, v18, vcc
	v_lshlrev_b32_e32 v8, 24, v8
	v_lshlrev_b32_e32 v12, 20, v12
	v_and_b32_e32 v8, 0x80000000, v8
	v_lshl_add_u32 v6, v6, 23, v10
	v_or3_b32 v6, v8, v6, v12
	v_lshrrev_b32_e32 v17, 16, v6
.LBB756_914:                            ;   in Loop: Header=BB756_796 Depth=1
	s_or_b64 exec, exec, s[20:21]
.LBB756_915:                            ;   in Loop: Header=BB756_796 Depth=1
	s_or_b64 exec, exec, s[18:19]
.LBB756_916:                            ;   in Loop: Header=BB756_796 Depth=1
	s_or_b64 exec, exec, s[16:17]
	s_waitcnt vmcnt(0)
	v_cmp_ne_u16_sdwa s[18:19], v4, v9 src0_sel:BYTE_0 src1_sel:DWORD
	s_and_saveexec_b64 s[16:17], s[18:19]
	s_cbranch_execz .LBB756_922
; %bb.917:                              ;   in Loop: Header=BB756_796 Depth=1
	v_cmp_ne_u16_sdwa s[20:21], v4, s22 src0_sel:BYTE_0 src1_sel:DWORD
	v_mov_b32_e32 v16, 0xffff8000
	s_and_saveexec_b64 s[18:19], s[20:21]
	s_cbranch_execz .LBB756_921
; %bb.918:                              ;   in Loop: Header=BB756_796 Depth=1
	v_and_b32_e32 v6, 0x7f, v4
	v_cmp_ne_u32_e32 vcc, s24, v6
	v_mov_b32_e32 v16, 0x7f80
	s_and_saveexec_b64 s[20:21], vcc
	s_cbranch_execz .LBB756_920
; %bb.919:                              ;   in Loop: Header=BB756_796 Depth=1
	v_and_b32_e32 v8, 7, v4
	v_ffbh_u32_e32 v16, v8
	v_min_u32_e32 v16, 32, v16
	v_subrev_u32_e32 v18, 28, v16
	v_lshlrev_b64 v[18:19], v18, v[4:5]
	v_lshrrev_b32_e32 v12, 3, v6
	v_sub_u32_e32 v16, 29, v16
	v_and_b32_e32 v18, 7, v18
	v_cmp_gt_u32_e32 vcc, 8, v6
	v_cndmask_b32_e32 v6, v12, v16, vcc
	v_cndmask_b32_e32 v8, v8, v18, vcc
	v_lshlrev_b32_e32 v12, 24, v4
	v_lshlrev_b32_e32 v8, 20, v8
	v_and_b32_e32 v12, 0x80000000, v12
	v_lshl_add_u32 v6, v6, 23, v10
	v_or3_b32 v6, v12, v6, v8
	v_lshrrev_b32_e32 v16, 16, v6
.LBB756_920:                            ;   in Loop: Header=BB756_796 Depth=1
	s_or_b64 exec, exec, s[20:21]
.LBB756_921:                            ;   in Loop: Header=BB756_796 Depth=1
	s_or_b64 exec, exec, s[18:19]
.LBB756_922:                            ;   in Loop: Header=BB756_796 Depth=1
	s_or_b64 exec, exec, s[16:17]
	v_lshrrev_b16_e32 v6, 8, v4
	v_cmp_ne_u16_e32 vcc, 0, v6
	v_mov_b32_e32 v18, 0
	v_mov_b32_e32 v8, 0
	s_and_saveexec_b64 s[16:17], vcc
	s_cbranch_execz .LBB756_928
; %bb.923:                              ;   in Loop: Header=BB756_796 Depth=1
	v_cmp_ne_u16_e32 vcc, s22, v6
	v_mov_b32_e32 v8, 0xffff8000
	s_and_saveexec_b64 s[18:19], vcc
	s_cbranch_execz .LBB756_927
; %bb.924:                              ;   in Loop: Header=BB756_796 Depth=1
	v_and_b32_e32 v12, 0x7f, v6
	v_cmp_ne_u32_e32 vcc, s24, v12
	v_mov_b32_e32 v8, 0x7f80
	s_and_saveexec_b64 s[20:21], vcc
	s_cbranch_execz .LBB756_926
; %bb.925:                              ;   in Loop: Header=BB756_796 Depth=1
	v_and_b32_e32 v8, 7, v6
	v_ffbh_u32_e32 v20, v8
	v_min_u32_e32 v22, 32, v20
	v_subrev_u32_e32 v20, 28, v22
	v_lshlrev_b64 v[20:21], v20, v[6:7]
	v_lshrrev_b32_e32 v19, 3, v12
	v_sub_u32_e32 v6, 29, v22
	v_and_b32_e32 v20, 7, v20
	v_cmp_gt_u32_e32 vcc, 8, v12
	v_cndmask_b32_e32 v6, v19, v6, vcc
	v_cndmask_b32_e32 v8, v8, v20, vcc
	v_lshlrev_b32_e32 v12, 16, v4
	v_lshlrev_b32_e32 v8, 20, v8
	v_and_b32_e32 v12, 0x80000000, v12
	v_lshl_add_u32 v6, v6, 23, v10
	v_or3_b32 v6, v12, v6, v8
	v_lshrrev_b32_e32 v8, 16, v6
.LBB756_926:                            ;   in Loop: Header=BB756_796 Depth=1
	s_or_b64 exec, exec, s[20:21]
.LBB756_927:                            ;   in Loop: Header=BB756_796 Depth=1
	s_or_b64 exec, exec, s[18:19]
.LBB756_928:                            ;   in Loop: Header=BB756_796 Depth=1
	s_or_b64 exec, exec, s[16:17]
	v_lshrrev_b32_e32 v6, 16, v4
	v_cmp_ne_u16_sdwa s[18:19], v6, v9 src0_sel:BYTE_0 src1_sel:DWORD
	s_and_saveexec_b64 s[16:17], s[18:19]
	s_cbranch_execz .LBB756_934
; %bb.929:                              ;   in Loop: Header=BB756_796 Depth=1
	v_cmp_ne_u16_sdwa s[20:21], v6, s22 src0_sel:BYTE_0 src1_sel:DWORD
	v_mov_b32_e32 v18, 0xffff8000
	s_and_saveexec_b64 s[18:19], s[20:21]
	s_cbranch_execz .LBB756_933
; %bb.930:                              ;   in Loop: Header=BB756_796 Depth=1
	v_bfe_u32 v12, v4, 16, 7
	v_cmp_ne_u32_e32 vcc, s24, v12
	v_mov_b32_e32 v18, 0x7f80
	s_and_saveexec_b64 s[20:21], vcc
	s_cbranch_execz .LBB756_932
; %bb.931:                              ;   in Loop: Header=BB756_796 Depth=1
	v_and_b32_e32 v20, 7, v6
	v_ffbh_u32_e32 v18, v20
	v_min_u32_e32 v22, 32, v18
	v_subrev_u32_e32 v18, 28, v22
	v_lshlrev_b64 v[18:19], v18, v[6:7]
	v_lshrrev_b32_e32 v21, 3, v12
	v_sub_u32_e32 v19, 29, v22
	v_and_b32_e32 v18, 7, v18
	v_cmp_gt_u32_e32 vcc, 8, v12
	v_cndmask_b32_e32 v12, v21, v19, vcc
	v_cndmask_b32_e32 v18, v20, v18, vcc
	v_lshlrev_b32_e32 v6, 24, v6
	v_lshlrev_b32_e32 v18, 20, v18
	v_and_b32_e32 v6, 0x80000000, v6
	v_lshl_add_u32 v12, v12, 23, v10
	v_or3_b32 v6, v6, v12, v18
	v_lshrrev_b32_e32 v18, 16, v6
.LBB756_932:                            ;   in Loop: Header=BB756_796 Depth=1
	s_or_b64 exec, exec, s[20:21]
.LBB756_933:                            ;   in Loop: Header=BB756_796 Depth=1
	s_or_b64 exec, exec, s[18:19]
.LBB756_934:                            ;   in Loop: Header=BB756_796 Depth=1
	s_or_b64 exec, exec, s[16:17]
	v_cmp_lt_u32_e32 vcc, s25, v4
	v_mov_b32_e32 v12, 0
	v_mov_b32_e32 v19, 0
	s_and_saveexec_b64 s[16:17], vcc
	s_cbranch_execz .LBB756_940
; %bb.935:                              ;   in Loop: Header=BB756_796 Depth=1
	v_lshrrev_b32_e32 v6, 24, v4
	v_cmp_ne_u32_e32 vcc, s22, v6
	v_mov_b32_e32 v19, 0xffff8000
	s_and_saveexec_b64 s[18:19], vcc
	s_cbranch_execz .LBB756_939
; %bb.936:                              ;   in Loop: Header=BB756_796 Depth=1
	v_bfe_u32 v4, v4, 24, 7
	v_cmp_ne_u32_e32 vcc, s24, v4
	v_mov_b32_e32 v19, 0x7f80
	s_and_saveexec_b64 s[20:21], vcc
	s_cbranch_execz .LBB756_938
; %bb.937:                              ;   in Loop: Header=BB756_796 Depth=1
	v_and_b32_e32 v19, 7, v6
	v_ffbh_u32_e32 v20, v19
	v_min_u32_e32 v23, 32, v20
	v_subrev_u32_e32 v20, 28, v23
	v_lshlrev_b64 v[20:21], v20, v[6:7]
	v_lshrrev_b32_e32 v22, 3, v4
	v_sub_u32_e32 v21, 29, v23
	v_and_b32_e32 v20, 7, v20
	v_cmp_gt_u32_e32 vcc, 8, v4
	v_cndmask_b32_e32 v4, v22, v21, vcc
	v_cndmask_b32_e32 v19, v19, v20, vcc
	v_lshlrev_b32_e32 v6, 24, v6
	v_lshlrev_b32_e32 v19, 20, v19
	v_and_b32_e32 v6, 0x80000000, v6
	v_lshl_add_u32 v4, v4, 23, v10
	v_or3_b32 v4, v6, v4, v19
	v_lshrrev_b32_e32 v19, 16, v4
.LBB756_938:                            ;   in Loop: Header=BB756_796 Depth=1
	s_or_b64 exec, exec, s[20:21]
.LBB756_939:                            ;   in Loop: Header=BB756_796 Depth=1
	s_or_b64 exec, exec, s[18:19]
.LBB756_940:                            ;   in Loop: Header=BB756_796 Depth=1
	s_or_b64 exec, exec, s[16:17]
	buffer_load_dword v6, v11, s[0:3], 0 offen offset:24
	buffer_load_dword v4, v11, s[0:3], 0 offen offset:28
	v_perm_b32 v15, v17, v15, s26
	v_perm_b32 v14, v14, v13, s26
	;; [unrolled: 1-line block ×4, first 2 shown]
	v_mfma_f32_4x4x4bf16_1k a[0:3], v[2:3], v[14:15], a[0:3] cbsz:4 abid:4
	s_waitcnt vmcnt(1)
	v_cmp_ne_u16_sdwa s[18:19], v6, v9 src0_sel:BYTE_0 src1_sel:DWORD
	v_mfma_f32_4x4x4bf16_1k a[0:3], v[2:3], v[16:17], a[0:3] cbsz:4 abid:5
	s_and_saveexec_b64 s[16:17], s[18:19]
	s_cbranch_execz .LBB756_946
; %bb.941:                              ;   in Loop: Header=BB756_796 Depth=1
	v_cmp_ne_u16_sdwa s[20:21], v6, s22 src0_sel:BYTE_0 src1_sel:DWORD
	v_mov_b32_e32 v12, 0xffff8000
	s_and_saveexec_b64 s[18:19], s[20:21]
	s_cbranch_execz .LBB756_945
; %bb.942:                              ;   in Loop: Header=BB756_796 Depth=1
	v_and_b32_e32 v8, 0x7f, v6
	v_cmp_ne_u32_e32 vcc, s24, v8
	v_mov_b32_e32 v12, 0x7f80
	s_and_saveexec_b64 s[20:21], vcc
	s_cbranch_execz .LBB756_944
; %bb.943:                              ;   in Loop: Header=BB756_796 Depth=1
	v_and_b32_e32 v14, 7, v6
	v_ffbh_u32_e32 v12, v14
	v_min_u32_e32 v16, 32, v12
	v_subrev_u32_e32 v12, 28, v16
	v_lshlrev_b64 v[12:13], v12, v[6:7]
	v_lshrrev_b32_e32 v15, 3, v8
	v_sub_u32_e32 v13, 29, v16
	v_and_b32_e32 v12, 7, v12
	v_cmp_gt_u32_e32 vcc, 8, v8
	v_cndmask_b32_e32 v8, v15, v13, vcc
	v_cndmask_b32_e32 v12, v14, v12, vcc
	v_lshlrev_b32_e32 v13, 24, v6
	v_lshlrev_b32_e32 v12, 20, v12
	v_and_b32_e32 v13, 0x80000000, v13
	v_lshl_add_u32 v8, v8, 23, v10
	v_or3_b32 v8, v13, v8, v12
	v_lshrrev_b32_e32 v12, 16, v8
.LBB756_944:                            ;   in Loop: Header=BB756_796 Depth=1
	s_or_b64 exec, exec, s[20:21]
.LBB756_945:                            ;   in Loop: Header=BB756_796 Depth=1
	s_or_b64 exec, exec, s[18:19]
.LBB756_946:                            ;   in Loop: Header=BB756_796 Depth=1
	s_or_b64 exec, exec, s[16:17]
	v_lshrrev_b16_e32 v8, 8, v6
	v_cmp_ne_u16_e32 vcc, 0, v8
	v_mov_b32_e32 v15, 0
	v_mov_b32_e32 v14, 0
	s_and_saveexec_b64 s[16:17], vcc
	s_cbranch_execz .LBB756_952
; %bb.947:                              ;   in Loop: Header=BB756_796 Depth=1
	v_cmp_ne_u16_e32 vcc, s22, v8
	v_mov_b32_e32 v14, 0xffff8000
	s_and_saveexec_b64 s[18:19], vcc
	s_cbranch_execz .LBB756_951
; %bb.948:                              ;   in Loop: Header=BB756_796 Depth=1
	v_and_b32_e32 v13, 0x7f, v8
	v_cmp_ne_u32_e32 vcc, s24, v13
	v_mov_b32_e32 v14, 0x7f80
	s_and_saveexec_b64 s[20:21], vcc
	s_cbranch_execz .LBB756_950
; %bb.949:                              ;   in Loop: Header=BB756_796 Depth=1
	v_and_b32_e32 v14, 7, v8
	v_ffbh_u32_e32 v16, v14
	v_min_u32_e32 v19, 32, v16
	v_subrev_u32_e32 v16, 28, v19
	v_lshlrev_b64 v[16:17], v16, v[8:9]
	v_lshrrev_b32_e32 v18, 3, v13
	v_sub_u32_e32 v8, 29, v19
	v_and_b32_e32 v16, 7, v16
	v_cmp_gt_u32_e32 vcc, 8, v13
	v_cndmask_b32_e32 v8, v18, v8, vcc
	v_cndmask_b32_e32 v13, v14, v16, vcc
	v_lshlrev_b32_e32 v14, 16, v6
	v_lshlrev_b32_e32 v13, 20, v13
	v_and_b32_e32 v14, 0x80000000, v14
	v_lshl_add_u32 v8, v8, 23, v10
	v_or3_b32 v8, v14, v8, v13
	v_lshrrev_b32_e32 v14, 16, v8
.LBB756_950:                            ;   in Loop: Header=BB756_796 Depth=1
	s_or_b64 exec, exec, s[20:21]
.LBB756_951:                            ;   in Loop: Header=BB756_796 Depth=1
	s_or_b64 exec, exec, s[18:19]
.LBB756_952:                            ;   in Loop: Header=BB756_796 Depth=1
	s_or_b64 exec, exec, s[16:17]
	v_lshrrev_b32_e32 v8, 16, v6
	v_cmp_ne_u16_sdwa s[18:19], v8, v9 src0_sel:BYTE_0 src1_sel:DWORD
	s_and_saveexec_b64 s[16:17], s[18:19]
	s_cbranch_execz .LBB756_958
; %bb.953:                              ;   in Loop: Header=BB756_796 Depth=1
	v_cmp_ne_u16_sdwa s[20:21], v8, s22 src0_sel:BYTE_0 src1_sel:DWORD
	v_mov_b32_e32 v15, 0xffff8000
	s_and_saveexec_b64 s[18:19], s[20:21]
	s_cbranch_execz .LBB756_957
; %bb.954:                              ;   in Loop: Header=BB756_796 Depth=1
	v_bfe_u32 v13, v6, 16, 7
	v_cmp_ne_u32_e32 vcc, s24, v13
	v_mov_b32_e32 v15, 0x7f80
	s_and_saveexec_b64 s[20:21], vcc
	s_cbranch_execz .LBB756_956
; %bb.955:                              ;   in Loop: Header=BB756_796 Depth=1
	v_and_b32_e32 v15, 7, v8
	v_ffbh_u32_e32 v16, v15
	v_min_u32_e32 v19, 32, v16
	v_subrev_u32_e32 v16, 28, v19
	v_lshlrev_b64 v[16:17], v16, v[8:9]
	v_lshrrev_b32_e32 v18, 3, v13
	v_sub_u32_e32 v17, 29, v19
	v_and_b32_e32 v16, 7, v16
	v_cmp_gt_u32_e32 vcc, 8, v13
	v_cndmask_b32_e32 v13, v18, v17, vcc
	v_cndmask_b32_e32 v15, v15, v16, vcc
	v_lshlrev_b32_e32 v8, 24, v8
	v_lshlrev_b32_e32 v15, 20, v15
	v_and_b32_e32 v8, 0x80000000, v8
	v_lshl_add_u32 v13, v13, 23, v10
	v_or3_b32 v8, v8, v13, v15
	v_lshrrev_b32_e32 v15, 16, v8
.LBB756_956:                            ;   in Loop: Header=BB756_796 Depth=1
	s_or_b64 exec, exec, s[20:21]
.LBB756_957:                            ;   in Loop: Header=BB756_796 Depth=1
	s_or_b64 exec, exec, s[18:19]
.LBB756_958:                            ;   in Loop: Header=BB756_796 Depth=1
	s_or_b64 exec, exec, s[16:17]
	v_cmp_lt_u32_e32 vcc, s25, v6
	v_mov_b32_e32 v16, 0
	v_mov_b32_e32 v17, 0
	s_and_saveexec_b64 s[16:17], vcc
	s_cbranch_execz .LBB756_964
; %bb.959:                              ;   in Loop: Header=BB756_796 Depth=1
	v_lshrrev_b32_e32 v8, 24, v6
	v_cmp_ne_u32_e32 vcc, s22, v8
	v_mov_b32_e32 v17, 0xffff8000
	s_and_saveexec_b64 s[18:19], vcc
	s_cbranch_execz .LBB756_963
; %bb.960:                              ;   in Loop: Header=BB756_796 Depth=1
	v_bfe_u32 v6, v6, 24, 7
	v_cmp_ne_u32_e32 vcc, s24, v6
	v_mov_b32_e32 v17, 0x7f80
	s_and_saveexec_b64 s[20:21], vcc
	s_cbranch_execz .LBB756_962
; %bb.961:                              ;   in Loop: Header=BB756_796 Depth=1
	v_and_b32_e32 v13, 7, v8
	v_ffbh_u32_e32 v18, v13
	v_min_u32_e32 v20, 32, v18
	v_subrev_u32_e32 v18, 28, v20
	v_lshlrev_b64 v[18:19], v18, v[8:9]
	v_lshrrev_b32_e32 v17, 3, v6
	v_sub_u32_e32 v19, 29, v20
	v_and_b32_e32 v18, 7, v18
	v_cmp_gt_u32_e32 vcc, 8, v6
	v_cndmask_b32_e32 v6, v17, v19, vcc
	v_cndmask_b32_e32 v13, v13, v18, vcc
	v_lshlrev_b32_e32 v8, 24, v8
	v_lshlrev_b32_e32 v13, 20, v13
	v_and_b32_e32 v8, 0x80000000, v8
	v_lshl_add_u32 v6, v6, 23, v10
	v_or3_b32 v6, v8, v6, v13
	v_lshrrev_b32_e32 v17, 16, v6
.LBB756_962:                            ;   in Loop: Header=BB756_796 Depth=1
	s_or_b64 exec, exec, s[20:21]
.LBB756_963:                            ;   in Loop: Header=BB756_796 Depth=1
	s_or_b64 exec, exec, s[18:19]
.LBB756_964:                            ;   in Loop: Header=BB756_796 Depth=1
	s_or_b64 exec, exec, s[16:17]
	s_waitcnt vmcnt(0)
	v_cmp_ne_u16_sdwa s[18:19], v4, v9 src0_sel:BYTE_0 src1_sel:DWORD
	s_and_saveexec_b64 s[16:17], s[18:19]
	s_cbranch_execz .LBB756_970
; %bb.965:                              ;   in Loop: Header=BB756_796 Depth=1
	v_cmp_ne_u16_sdwa s[20:21], v4, s22 src0_sel:BYTE_0 src1_sel:DWORD
	v_mov_b32_e32 v16, 0xffff8000
	s_and_saveexec_b64 s[18:19], s[20:21]
	s_cbranch_execz .LBB756_969
; %bb.966:                              ;   in Loop: Header=BB756_796 Depth=1
	v_and_b32_e32 v6, 0x7f, v4
	v_cmp_ne_u32_e32 vcc, s24, v6
	v_mov_b32_e32 v16, 0x7f80
	s_and_saveexec_b64 s[20:21], vcc
	s_cbranch_execz .LBB756_968
; %bb.967:                              ;   in Loop: Header=BB756_796 Depth=1
	v_and_b32_e32 v8, 7, v4
	v_ffbh_u32_e32 v16, v8
	v_min_u32_e32 v16, 32, v16
	v_subrev_u32_e32 v18, 28, v16
	v_lshlrev_b64 v[18:19], v18, v[4:5]
	v_lshrrev_b32_e32 v13, 3, v6
	v_sub_u32_e32 v16, 29, v16
	v_and_b32_e32 v18, 7, v18
	v_cmp_gt_u32_e32 vcc, 8, v6
	v_cndmask_b32_e32 v6, v13, v16, vcc
	v_cndmask_b32_e32 v8, v8, v18, vcc
	v_lshlrev_b32_e32 v13, 24, v4
	v_lshlrev_b32_e32 v8, 20, v8
	v_and_b32_e32 v13, 0x80000000, v13
	v_lshl_add_u32 v6, v6, 23, v10
	v_or3_b32 v6, v13, v6, v8
	v_lshrrev_b32_e32 v16, 16, v6
.LBB756_968:                            ;   in Loop: Header=BB756_796 Depth=1
	s_or_b64 exec, exec, s[20:21]
.LBB756_969:                            ;   in Loop: Header=BB756_796 Depth=1
	s_or_b64 exec, exec, s[18:19]
.LBB756_970:                            ;   in Loop: Header=BB756_796 Depth=1
	s_or_b64 exec, exec, s[16:17]
	v_lshrrev_b16_e32 v6, 8, v4
	v_cmp_ne_u16_e32 vcc, 0, v6
	v_mov_b32_e32 v18, 0
	v_mov_b32_e32 v8, 0
	s_and_saveexec_b64 s[16:17], vcc
	s_cbranch_execz .LBB756_976
; %bb.971:                              ;   in Loop: Header=BB756_796 Depth=1
	v_cmp_ne_u16_e32 vcc, s22, v6
	v_mov_b32_e32 v8, 0xffff8000
	s_and_saveexec_b64 s[18:19], vcc
	s_cbranch_execz .LBB756_975
; %bb.972:                              ;   in Loop: Header=BB756_796 Depth=1
	v_and_b32_e32 v13, 0x7f, v6
	v_cmp_ne_u32_e32 vcc, s24, v13
	v_mov_b32_e32 v8, 0x7f80
	s_and_saveexec_b64 s[20:21], vcc
	s_cbranch_execz .LBB756_974
; %bb.973:                              ;   in Loop: Header=BB756_796 Depth=1
	v_and_b32_e32 v8, 7, v6
	v_ffbh_u32_e32 v20, v8
	v_min_u32_e32 v22, 32, v20
	v_subrev_u32_e32 v20, 28, v22
	v_lshlrev_b64 v[20:21], v20, v[6:7]
	v_lshrrev_b32_e32 v19, 3, v13
	v_sub_u32_e32 v6, 29, v22
	v_and_b32_e32 v20, 7, v20
	v_cmp_gt_u32_e32 vcc, 8, v13
	v_cndmask_b32_e32 v6, v19, v6, vcc
	v_cndmask_b32_e32 v8, v8, v20, vcc
	v_lshlrev_b32_e32 v13, 16, v4
	v_lshlrev_b32_e32 v8, 20, v8
	v_and_b32_e32 v13, 0x80000000, v13
	v_lshl_add_u32 v6, v6, 23, v10
	v_or3_b32 v6, v13, v6, v8
	v_lshrrev_b32_e32 v8, 16, v6
.LBB756_974:                            ;   in Loop: Header=BB756_796 Depth=1
	s_or_b64 exec, exec, s[20:21]
.LBB756_975:                            ;   in Loop: Header=BB756_796 Depth=1
	s_or_b64 exec, exec, s[18:19]
.LBB756_976:                            ;   in Loop: Header=BB756_796 Depth=1
	s_or_b64 exec, exec, s[16:17]
	v_lshrrev_b32_e32 v6, 16, v4
	v_cmp_ne_u16_sdwa s[18:19], v6, v9 src0_sel:BYTE_0 src1_sel:DWORD
	s_and_saveexec_b64 s[16:17], s[18:19]
	s_cbranch_execz .LBB756_982
; %bb.977:                              ;   in Loop: Header=BB756_796 Depth=1
	v_cmp_ne_u16_sdwa s[20:21], v6, s22 src0_sel:BYTE_0 src1_sel:DWORD
	v_mov_b32_e32 v18, 0xffff8000
	s_and_saveexec_b64 s[18:19], s[20:21]
	s_cbranch_execz .LBB756_981
; %bb.978:                              ;   in Loop: Header=BB756_796 Depth=1
	v_bfe_u32 v13, v4, 16, 7
	v_cmp_ne_u32_e32 vcc, s24, v13
	v_mov_b32_e32 v18, 0x7f80
	s_and_saveexec_b64 s[20:21], vcc
	s_cbranch_execz .LBB756_980
; %bb.979:                              ;   in Loop: Header=BB756_796 Depth=1
	v_and_b32_e32 v20, 7, v6
	v_ffbh_u32_e32 v18, v20
	v_min_u32_e32 v22, 32, v18
	v_subrev_u32_e32 v18, 28, v22
	v_lshlrev_b64 v[18:19], v18, v[6:7]
	v_lshrrev_b32_e32 v21, 3, v13
	v_sub_u32_e32 v19, 29, v22
	v_and_b32_e32 v18, 7, v18
	v_cmp_gt_u32_e32 vcc, 8, v13
	v_cndmask_b32_e32 v13, v21, v19, vcc
	v_cndmask_b32_e32 v18, v20, v18, vcc
	v_lshlrev_b32_e32 v6, 24, v6
	v_lshlrev_b32_e32 v18, 20, v18
	v_and_b32_e32 v6, 0x80000000, v6
	v_lshl_add_u32 v13, v13, 23, v10
	v_or3_b32 v6, v6, v13, v18
	v_lshrrev_b32_e32 v18, 16, v6
.LBB756_980:                            ;   in Loop: Header=BB756_796 Depth=1
	s_or_b64 exec, exec, s[20:21]
.LBB756_981:                            ;   in Loop: Header=BB756_796 Depth=1
	s_or_b64 exec, exec, s[18:19]
.LBB756_982:                            ;   in Loop: Header=BB756_796 Depth=1
	s_or_b64 exec, exec, s[16:17]
	v_cmp_lt_u32_e32 vcc, s25, v4
	v_mov_b32_e32 v13, 0
	v_mov_b32_e32 v19, 0
	s_and_saveexec_b64 s[16:17], vcc
	s_cbranch_execz .LBB756_988
; %bb.983:                              ;   in Loop: Header=BB756_796 Depth=1
	v_lshrrev_b32_e32 v6, 24, v4
	v_cmp_ne_u32_e32 vcc, s22, v6
	v_mov_b32_e32 v19, 0xffff8000
	s_and_saveexec_b64 s[18:19], vcc
	s_cbranch_execz .LBB756_987
; %bb.984:                              ;   in Loop: Header=BB756_796 Depth=1
	v_bfe_u32 v4, v4, 24, 7
	v_cmp_ne_u32_e32 vcc, s24, v4
	v_mov_b32_e32 v19, 0x7f80
	s_and_saveexec_b64 s[20:21], vcc
	s_cbranch_execz .LBB756_986
; %bb.985:                              ;   in Loop: Header=BB756_796 Depth=1
	v_and_b32_e32 v19, 7, v6
	v_ffbh_u32_e32 v20, v19
	v_min_u32_e32 v23, 32, v20
	v_subrev_u32_e32 v20, 28, v23
	v_lshlrev_b64 v[20:21], v20, v[6:7]
	v_lshrrev_b32_e32 v22, 3, v4
	v_sub_u32_e32 v21, 29, v23
	v_and_b32_e32 v20, 7, v20
	v_cmp_gt_u32_e32 vcc, 8, v4
	v_cndmask_b32_e32 v4, v22, v21, vcc
	v_cndmask_b32_e32 v19, v19, v20, vcc
	v_lshlrev_b32_e32 v6, 24, v6
	v_lshlrev_b32_e32 v19, 20, v19
	v_and_b32_e32 v6, 0x80000000, v6
	v_lshl_add_u32 v4, v4, 23, v10
	v_or3_b32 v4, v6, v4, v19
	v_lshrrev_b32_e32 v19, 16, v4
.LBB756_986:                            ;   in Loop: Header=BB756_796 Depth=1
	s_or_b64 exec, exec, s[20:21]
.LBB756_987:                            ;   in Loop: Header=BB756_796 Depth=1
	s_or_b64 exec, exec, s[18:19]
.LBB756_988:                            ;   in Loop: Header=BB756_796 Depth=1
	s_or_b64 exec, exec, s[16:17]
	buffer_load_dword v6, v11, s[0:3], 0 offen offset:32
	buffer_load_dword v4, v11, s[0:3], 0 offen offset:36
	v_perm_b32 v15, v17, v15, s26
	v_perm_b32 v14, v14, v12, s26
	;; [unrolled: 1-line block ×4, first 2 shown]
	v_mfma_f32_4x4x4bf16_1k a[0:3], v[2:3], v[14:15], a[0:3] cbsz:4 abid:6
	s_waitcnt vmcnt(1)
	v_cmp_ne_u16_sdwa s[18:19], v6, v9 src0_sel:BYTE_0 src1_sel:DWORD
	v_mfma_f32_4x4x4bf16_1k a[0:3], v[2:3], v[16:17], a[0:3] cbsz:4 abid:7
	s_and_saveexec_b64 s[16:17], s[18:19]
	s_cbranch_execz .LBB756_994
; %bb.989:                              ;   in Loop: Header=BB756_796 Depth=1
	v_cmp_ne_u16_sdwa s[20:21], v6, s22 src0_sel:BYTE_0 src1_sel:DWORD
	v_mov_b32_e32 v13, 0xffff8000
	s_and_saveexec_b64 s[18:19], s[20:21]
	s_cbranch_execz .LBB756_993
; %bb.990:                              ;   in Loop: Header=BB756_796 Depth=1
	v_and_b32_e32 v8, 0x7f, v6
	v_cmp_ne_u32_e32 vcc, s24, v8
	v_mov_b32_e32 v13, 0x7f80
	s_and_saveexec_b64 s[20:21], vcc
	s_cbranch_execz .LBB756_992
; %bb.991:                              ;   in Loop: Header=BB756_796 Depth=1
	v_and_b32_e32 v14, 7, v6
	v_ffbh_u32_e32 v12, v14
	v_min_u32_e32 v16, 32, v12
	v_subrev_u32_e32 v12, 28, v16
	v_lshlrev_b64 v[12:13], v12, v[6:7]
	v_lshrrev_b32_e32 v15, 3, v8
	v_sub_u32_e32 v13, 29, v16
	v_and_b32_e32 v12, 7, v12
	v_cmp_gt_u32_e32 vcc, 8, v8
	v_cndmask_b32_e32 v8, v15, v13, vcc
	v_cndmask_b32_e32 v12, v14, v12, vcc
	v_lshlrev_b32_e32 v13, 24, v6
	v_lshlrev_b32_e32 v12, 20, v12
	v_and_b32_e32 v13, 0x80000000, v13
	v_lshl_add_u32 v8, v8, 23, v10
	v_or3_b32 v8, v13, v8, v12
	v_lshrrev_b32_e32 v13, 16, v8
.LBB756_992:                            ;   in Loop: Header=BB756_796 Depth=1
	s_or_b64 exec, exec, s[20:21]
.LBB756_993:                            ;   in Loop: Header=BB756_796 Depth=1
	s_or_b64 exec, exec, s[18:19]
.LBB756_994:                            ;   in Loop: Header=BB756_796 Depth=1
	s_or_b64 exec, exec, s[16:17]
	v_lshrrev_b16_e32 v8, 8, v6
	v_cmp_ne_u16_e32 vcc, 0, v8
	v_mov_b32_e32 v15, 0
	v_mov_b32_e32 v12, 0
	s_and_saveexec_b64 s[16:17], vcc
	s_cbranch_execz .LBB756_1000
; %bb.995:                              ;   in Loop: Header=BB756_796 Depth=1
	v_cmp_ne_u16_e32 vcc, s22, v8
	v_mov_b32_e32 v12, 0xffff8000
	s_and_saveexec_b64 s[18:19], vcc
	s_cbranch_execz .LBB756_999
; %bb.996:                              ;   in Loop: Header=BB756_796 Depth=1
	v_and_b32_e32 v14, 0x7f, v8
	v_cmp_ne_u32_e32 vcc, s24, v14
	v_mov_b32_e32 v12, 0x7f80
	s_and_saveexec_b64 s[20:21], vcc
	s_cbranch_execz .LBB756_998
; %bb.997:                              ;   in Loop: Header=BB756_796 Depth=1
	v_and_b32_e32 v12, 7, v8
	v_ffbh_u32_e32 v16, v12
	v_min_u32_e32 v19, 32, v16
	v_subrev_u32_e32 v16, 28, v19
	v_lshlrev_b64 v[16:17], v16, v[8:9]
	v_lshrrev_b32_e32 v18, 3, v14
	v_sub_u32_e32 v8, 29, v19
	v_and_b32_e32 v16, 7, v16
	v_cmp_gt_u32_e32 vcc, 8, v14
	v_cndmask_b32_e32 v8, v18, v8, vcc
	v_cndmask_b32_e32 v12, v12, v16, vcc
	v_lshlrev_b32_e32 v14, 16, v6
	v_lshlrev_b32_e32 v12, 20, v12
	v_and_b32_e32 v14, 0x80000000, v14
	v_lshl_add_u32 v8, v8, 23, v10
	v_or3_b32 v8, v14, v8, v12
	v_lshrrev_b32_e32 v12, 16, v8
.LBB756_998:                            ;   in Loop: Header=BB756_796 Depth=1
	s_or_b64 exec, exec, s[20:21]
.LBB756_999:                            ;   in Loop: Header=BB756_796 Depth=1
	s_or_b64 exec, exec, s[18:19]
.LBB756_1000:                           ;   in Loop: Header=BB756_796 Depth=1
	s_or_b64 exec, exec, s[16:17]
	v_lshrrev_b32_e32 v8, 16, v6
	v_cmp_ne_u16_sdwa s[18:19], v8, v9 src0_sel:BYTE_0 src1_sel:DWORD
	s_and_saveexec_b64 s[16:17], s[18:19]
	s_cbranch_execz .LBB756_1006
; %bb.1001:                             ;   in Loop: Header=BB756_796 Depth=1
	v_cmp_ne_u16_sdwa s[20:21], v8, s22 src0_sel:BYTE_0 src1_sel:DWORD
	v_mov_b32_e32 v15, 0xffff8000
	s_and_saveexec_b64 s[18:19], s[20:21]
	s_cbranch_execz .LBB756_1005
; %bb.1002:                             ;   in Loop: Header=BB756_796 Depth=1
	v_bfe_u32 v14, v6, 16, 7
	v_cmp_ne_u32_e32 vcc, s24, v14
	v_mov_b32_e32 v15, 0x7f80
	s_and_saveexec_b64 s[20:21], vcc
	s_cbranch_execz .LBB756_1004
; %bb.1003:                             ;   in Loop: Header=BB756_796 Depth=1
	v_and_b32_e32 v15, 7, v8
	v_ffbh_u32_e32 v16, v15
	v_min_u32_e32 v19, 32, v16
	v_subrev_u32_e32 v16, 28, v19
	v_lshlrev_b64 v[16:17], v16, v[8:9]
	v_lshrrev_b32_e32 v18, 3, v14
	v_sub_u32_e32 v17, 29, v19
	v_and_b32_e32 v16, 7, v16
	v_cmp_gt_u32_e32 vcc, 8, v14
	v_cndmask_b32_e32 v14, v18, v17, vcc
	v_cndmask_b32_e32 v15, v15, v16, vcc
	v_lshlrev_b32_e32 v8, 24, v8
	v_lshlrev_b32_e32 v15, 20, v15
	v_and_b32_e32 v8, 0x80000000, v8
	v_lshl_add_u32 v14, v14, 23, v10
	v_or3_b32 v8, v8, v14, v15
	v_lshrrev_b32_e32 v15, 16, v8
.LBB756_1004:                           ;   in Loop: Header=BB756_796 Depth=1
	s_or_b64 exec, exec, s[20:21]
.LBB756_1005:                           ;   in Loop: Header=BB756_796 Depth=1
	s_or_b64 exec, exec, s[18:19]
.LBB756_1006:                           ;   in Loop: Header=BB756_796 Depth=1
	s_or_b64 exec, exec, s[16:17]
	v_cmp_lt_u32_e32 vcc, s25, v6
	v_mov_b32_e32 v16, 0
	v_mov_b32_e32 v17, 0
	s_and_saveexec_b64 s[16:17], vcc
	s_cbranch_execz .LBB756_1012
; %bb.1007:                             ;   in Loop: Header=BB756_796 Depth=1
	v_lshrrev_b32_e32 v8, 24, v6
	v_cmp_ne_u32_e32 vcc, s22, v8
	v_mov_b32_e32 v17, 0xffff8000
	s_and_saveexec_b64 s[18:19], vcc
	s_cbranch_execz .LBB756_1011
; %bb.1008:                             ;   in Loop: Header=BB756_796 Depth=1
	v_bfe_u32 v6, v6, 24, 7
	v_cmp_ne_u32_e32 vcc, s24, v6
	v_mov_b32_e32 v17, 0x7f80
	s_and_saveexec_b64 s[20:21], vcc
	s_cbranch_execz .LBB756_1010
; %bb.1009:                             ;   in Loop: Header=BB756_796 Depth=1
	v_and_b32_e32 v14, 7, v8
	v_ffbh_u32_e32 v18, v14
	v_min_u32_e32 v20, 32, v18
	v_subrev_u32_e32 v18, 28, v20
	v_lshlrev_b64 v[18:19], v18, v[8:9]
	v_lshrrev_b32_e32 v17, 3, v6
	v_sub_u32_e32 v19, 29, v20
	v_and_b32_e32 v18, 7, v18
	v_cmp_gt_u32_e32 vcc, 8, v6
	v_cndmask_b32_e32 v6, v17, v19, vcc
	v_cndmask_b32_e32 v14, v14, v18, vcc
	v_lshlrev_b32_e32 v8, 24, v8
	v_lshlrev_b32_e32 v14, 20, v14
	v_and_b32_e32 v8, 0x80000000, v8
	v_lshl_add_u32 v6, v6, 23, v10
	v_or3_b32 v6, v8, v6, v14
	v_lshrrev_b32_e32 v17, 16, v6
.LBB756_1010:                           ;   in Loop: Header=BB756_796 Depth=1
	s_or_b64 exec, exec, s[20:21]
.LBB756_1011:                           ;   in Loop: Header=BB756_796 Depth=1
	s_or_b64 exec, exec, s[18:19]
.LBB756_1012:                           ;   in Loop: Header=BB756_796 Depth=1
	s_or_b64 exec, exec, s[16:17]
	s_waitcnt vmcnt(0)
	v_cmp_ne_u16_sdwa s[18:19], v4, v9 src0_sel:BYTE_0 src1_sel:DWORD
	s_and_saveexec_b64 s[16:17], s[18:19]
	s_cbranch_execz .LBB756_1018
; %bb.1013:                             ;   in Loop: Header=BB756_796 Depth=1
	v_cmp_ne_u16_sdwa s[20:21], v4, s22 src0_sel:BYTE_0 src1_sel:DWORD
	v_mov_b32_e32 v16, 0xffff8000
	s_and_saveexec_b64 s[18:19], s[20:21]
	s_cbranch_execz .LBB756_1017
; %bb.1014:                             ;   in Loop: Header=BB756_796 Depth=1
	v_and_b32_e32 v6, 0x7f, v4
	v_cmp_ne_u32_e32 vcc, s24, v6
	v_mov_b32_e32 v16, 0x7f80
	s_and_saveexec_b64 s[20:21], vcc
	s_cbranch_execz .LBB756_1016
; %bb.1015:                             ;   in Loop: Header=BB756_796 Depth=1
	v_and_b32_e32 v8, 7, v4
	v_ffbh_u32_e32 v16, v8
	v_min_u32_e32 v16, 32, v16
	v_subrev_u32_e32 v18, 28, v16
	v_lshlrev_b64 v[18:19], v18, v[4:5]
	v_lshrrev_b32_e32 v14, 3, v6
	v_sub_u32_e32 v16, 29, v16
	v_and_b32_e32 v18, 7, v18
	v_cmp_gt_u32_e32 vcc, 8, v6
	v_cndmask_b32_e32 v6, v14, v16, vcc
	v_cndmask_b32_e32 v8, v8, v18, vcc
	v_lshlrev_b32_e32 v14, 24, v4
	v_lshlrev_b32_e32 v8, 20, v8
	v_and_b32_e32 v14, 0x80000000, v14
	v_lshl_add_u32 v6, v6, 23, v10
	v_or3_b32 v6, v14, v6, v8
	v_lshrrev_b32_e32 v16, 16, v6
.LBB756_1016:                           ;   in Loop: Header=BB756_796 Depth=1
	s_or_b64 exec, exec, s[20:21]
.LBB756_1017:                           ;   in Loop: Header=BB756_796 Depth=1
	s_or_b64 exec, exec, s[18:19]
.LBB756_1018:                           ;   in Loop: Header=BB756_796 Depth=1
	s_or_b64 exec, exec, s[16:17]
	v_lshrrev_b16_e32 v6, 8, v4
	v_cmp_ne_u16_e32 vcc, 0, v6
	v_mov_b32_e32 v18, 0
	v_mov_b32_e32 v8, 0
	s_and_saveexec_b64 s[16:17], vcc
	s_cbranch_execz .LBB756_1024
; %bb.1019:                             ;   in Loop: Header=BB756_796 Depth=1
	v_cmp_ne_u16_e32 vcc, s22, v6
	v_mov_b32_e32 v8, 0xffff8000
	s_and_saveexec_b64 s[18:19], vcc
	s_cbranch_execz .LBB756_1023
; %bb.1020:                             ;   in Loop: Header=BB756_796 Depth=1
	v_and_b32_e32 v14, 0x7f, v6
	v_cmp_ne_u32_e32 vcc, s24, v14
	v_mov_b32_e32 v8, 0x7f80
	s_and_saveexec_b64 s[20:21], vcc
	s_cbranch_execz .LBB756_1022
; %bb.1021:                             ;   in Loop: Header=BB756_796 Depth=1
	v_and_b32_e32 v8, 7, v6
	v_ffbh_u32_e32 v20, v8
	v_min_u32_e32 v22, 32, v20
	v_subrev_u32_e32 v20, 28, v22
	v_lshlrev_b64 v[20:21], v20, v[6:7]
	v_lshrrev_b32_e32 v19, 3, v14
	v_sub_u32_e32 v6, 29, v22
	v_and_b32_e32 v20, 7, v20
	v_cmp_gt_u32_e32 vcc, 8, v14
	v_cndmask_b32_e32 v6, v19, v6, vcc
	v_cndmask_b32_e32 v8, v8, v20, vcc
	v_lshlrev_b32_e32 v14, 16, v4
	v_lshlrev_b32_e32 v8, 20, v8
	v_and_b32_e32 v14, 0x80000000, v14
	v_lshl_add_u32 v6, v6, 23, v10
	v_or3_b32 v6, v14, v6, v8
	v_lshrrev_b32_e32 v8, 16, v6
.LBB756_1022:                           ;   in Loop: Header=BB756_796 Depth=1
	s_or_b64 exec, exec, s[20:21]
.LBB756_1023:                           ;   in Loop: Header=BB756_796 Depth=1
	s_or_b64 exec, exec, s[18:19]
.LBB756_1024:                           ;   in Loop: Header=BB756_796 Depth=1
	s_or_b64 exec, exec, s[16:17]
	v_lshrrev_b32_e32 v6, 16, v4
	v_cmp_ne_u16_sdwa s[18:19], v6, v9 src0_sel:BYTE_0 src1_sel:DWORD
	s_and_saveexec_b64 s[16:17], s[18:19]
	s_cbranch_execz .LBB756_1030
; %bb.1025:                             ;   in Loop: Header=BB756_796 Depth=1
	v_cmp_ne_u16_sdwa s[20:21], v6, s22 src0_sel:BYTE_0 src1_sel:DWORD
	v_mov_b32_e32 v18, 0xffff8000
	s_and_saveexec_b64 s[18:19], s[20:21]
	s_cbranch_execz .LBB756_1029
; %bb.1026:                             ;   in Loop: Header=BB756_796 Depth=1
	v_bfe_u32 v14, v4, 16, 7
	v_cmp_ne_u32_e32 vcc, s24, v14
	v_mov_b32_e32 v18, 0x7f80
	s_and_saveexec_b64 s[20:21], vcc
	s_cbranch_execz .LBB756_1028
; %bb.1027:                             ;   in Loop: Header=BB756_796 Depth=1
	v_and_b32_e32 v20, 7, v6
	v_ffbh_u32_e32 v18, v20
	v_min_u32_e32 v22, 32, v18
	v_subrev_u32_e32 v18, 28, v22
	v_lshlrev_b64 v[18:19], v18, v[6:7]
	v_lshrrev_b32_e32 v21, 3, v14
	v_sub_u32_e32 v19, 29, v22
	v_and_b32_e32 v18, 7, v18
	v_cmp_gt_u32_e32 vcc, 8, v14
	v_cndmask_b32_e32 v14, v21, v19, vcc
	v_cndmask_b32_e32 v18, v20, v18, vcc
	v_lshlrev_b32_e32 v6, 24, v6
	v_lshlrev_b32_e32 v18, 20, v18
	v_and_b32_e32 v6, 0x80000000, v6
	v_lshl_add_u32 v14, v14, 23, v10
	v_or3_b32 v6, v6, v14, v18
	v_lshrrev_b32_e32 v18, 16, v6
.LBB756_1028:                           ;   in Loop: Header=BB756_796 Depth=1
	s_or_b64 exec, exec, s[20:21]
.LBB756_1029:                           ;   in Loop: Header=BB756_796 Depth=1
	s_or_b64 exec, exec, s[18:19]
.LBB756_1030:                           ;   in Loop: Header=BB756_796 Depth=1
	s_or_b64 exec, exec, s[16:17]
	v_cmp_lt_u32_e32 vcc, s25, v4
	v_mov_b32_e32 v14, 0
	v_mov_b32_e32 v19, 0
	s_and_saveexec_b64 s[16:17], vcc
	s_cbranch_execz .LBB756_1036
; %bb.1031:                             ;   in Loop: Header=BB756_796 Depth=1
	v_lshrrev_b32_e32 v6, 24, v4
	v_cmp_ne_u32_e32 vcc, s22, v6
	v_mov_b32_e32 v19, 0xffff8000
	s_and_saveexec_b64 s[18:19], vcc
	s_cbranch_execz .LBB756_1035
; %bb.1032:                             ;   in Loop: Header=BB756_796 Depth=1
	v_bfe_u32 v4, v4, 24, 7
	v_cmp_ne_u32_e32 vcc, s24, v4
	v_mov_b32_e32 v19, 0x7f80
	s_and_saveexec_b64 s[20:21], vcc
	s_cbranch_execz .LBB756_1034
; %bb.1033:                             ;   in Loop: Header=BB756_796 Depth=1
	v_and_b32_e32 v19, 7, v6
	v_ffbh_u32_e32 v20, v19
	v_min_u32_e32 v23, 32, v20
	v_subrev_u32_e32 v20, 28, v23
	v_lshlrev_b64 v[20:21], v20, v[6:7]
	v_lshrrev_b32_e32 v22, 3, v4
	v_sub_u32_e32 v21, 29, v23
	v_and_b32_e32 v20, 7, v20
	v_cmp_gt_u32_e32 vcc, 8, v4
	v_cndmask_b32_e32 v4, v22, v21, vcc
	v_cndmask_b32_e32 v19, v19, v20, vcc
	v_lshlrev_b32_e32 v6, 24, v6
	v_lshlrev_b32_e32 v19, 20, v19
	v_and_b32_e32 v6, 0x80000000, v6
	v_lshl_add_u32 v4, v4, 23, v10
	v_or3_b32 v4, v6, v4, v19
	v_lshrrev_b32_e32 v19, 16, v4
.LBB756_1034:                           ;   in Loop: Header=BB756_796 Depth=1
	s_or_b64 exec, exec, s[20:21]
.LBB756_1035:                           ;   in Loop: Header=BB756_796 Depth=1
	s_or_b64 exec, exec, s[18:19]
.LBB756_1036:                           ;   in Loop: Header=BB756_796 Depth=1
	s_or_b64 exec, exec, s[16:17]
	buffer_load_dword v6, v11, s[0:3], 0 offen offset:40
	buffer_load_dword v4, v11, s[0:3], 0 offen offset:44
	v_perm_b32 v21, v17, v15, s26
	v_perm_b32 v20, v12, v13, s26
	;; [unrolled: 1-line block ×4, first 2 shown]
	v_mfma_f32_4x4x4bf16_1k a[0:3], v[2:3], v[20:21], a[0:3] cbsz:4 abid:8
	s_waitcnt vmcnt(1)
	v_cmp_ne_u16_sdwa s[18:19], v6, v9 src0_sel:BYTE_0 src1_sel:DWORD
	v_mfma_f32_4x4x4bf16_1k a[0:3], v[2:3], v[12:13], a[0:3] cbsz:4 abid:9
	s_and_saveexec_b64 s[16:17], s[18:19]
	s_cbranch_execz .LBB756_1042
; %bb.1037:                             ;   in Loop: Header=BB756_796 Depth=1
	v_cmp_ne_u16_sdwa s[20:21], v6, s22 src0_sel:BYTE_0 src1_sel:DWORD
	v_mov_b32_e32 v14, 0xffff8000
	s_and_saveexec_b64 s[18:19], s[20:21]
	s_cbranch_execz .LBB756_1041
; %bb.1038:                             ;   in Loop: Header=BB756_796 Depth=1
	v_and_b32_e32 v8, 0x7f, v6
	v_cmp_ne_u32_e32 vcc, s24, v8
	v_mov_b32_e32 v14, 0x7f80
	s_and_saveexec_b64 s[20:21], vcc
	s_cbranch_execz .LBB756_1040
; %bb.1039:                             ;   in Loop: Header=BB756_796 Depth=1
	v_and_b32_e32 v14, 7, v6
	v_ffbh_u32_e32 v12, v14
	v_min_u32_e32 v16, 32, v12
	v_subrev_u32_e32 v12, 28, v16
	v_lshlrev_b64 v[12:13], v12, v[6:7]
	v_lshrrev_b32_e32 v15, 3, v8
	v_sub_u32_e32 v13, 29, v16
	v_and_b32_e32 v12, 7, v12
	v_cmp_gt_u32_e32 vcc, 8, v8
	v_cndmask_b32_e32 v8, v15, v13, vcc
	v_cndmask_b32_e32 v12, v14, v12, vcc
	v_lshlrev_b32_e32 v13, 24, v6
	v_lshlrev_b32_e32 v12, 20, v12
	v_and_b32_e32 v13, 0x80000000, v13
	v_lshl_add_u32 v8, v8, 23, v10
	v_or3_b32 v8, v13, v8, v12
	v_lshrrev_b32_e32 v14, 16, v8
.LBB756_1040:                           ;   in Loop: Header=BB756_796 Depth=1
	s_or_b64 exec, exec, s[20:21]
.LBB756_1041:                           ;   in Loop: Header=BB756_796 Depth=1
	s_or_b64 exec, exec, s[18:19]
.LBB756_1042:                           ;   in Loop: Header=BB756_796 Depth=1
	s_or_b64 exec, exec, s[16:17]
	v_lshrrev_b16_e32 v8, 8, v6
	v_cmp_ne_u16_e32 vcc, 0, v8
	v_mov_b32_e32 v15, 0
	v_mov_b32_e32 v13, 0
	s_and_saveexec_b64 s[16:17], vcc
	s_cbranch_execz .LBB756_1048
; %bb.1043:                             ;   in Loop: Header=BB756_796 Depth=1
	v_cmp_ne_u16_e32 vcc, s22, v8
	v_mov_b32_e32 v13, 0xffff8000
	s_and_saveexec_b64 s[18:19], vcc
	s_cbranch_execz .LBB756_1047
; %bb.1044:                             ;   in Loop: Header=BB756_796 Depth=1
	v_and_b32_e32 v12, 0x7f, v8
	v_cmp_ne_u32_e32 vcc, s24, v12
	v_mov_b32_e32 v13, 0x7f80
	s_and_saveexec_b64 s[20:21], vcc
	s_cbranch_execz .LBB756_1046
; %bb.1045:                             ;   in Loop: Header=BB756_796 Depth=1
	v_and_b32_e32 v13, 7, v8
	v_ffbh_u32_e32 v16, v13
	v_min_u32_e32 v19, 32, v16
	v_subrev_u32_e32 v16, 28, v19
	v_lshlrev_b64 v[16:17], v16, v[8:9]
	v_lshrrev_b32_e32 v18, 3, v12
	v_sub_u32_e32 v8, 29, v19
	v_and_b32_e32 v16, 7, v16
	v_cmp_gt_u32_e32 vcc, 8, v12
	v_cndmask_b32_e32 v8, v18, v8, vcc
	v_cndmask_b32_e32 v12, v13, v16, vcc
	v_lshlrev_b32_e32 v13, 16, v6
	v_lshlrev_b32_e32 v12, 20, v12
	v_and_b32_e32 v13, 0x80000000, v13
	v_lshl_add_u32 v8, v8, 23, v10
	v_or3_b32 v8, v13, v8, v12
	v_lshrrev_b32_e32 v13, 16, v8
.LBB756_1046:                           ;   in Loop: Header=BB756_796 Depth=1
	s_or_b64 exec, exec, s[20:21]
.LBB756_1047:                           ;   in Loop: Header=BB756_796 Depth=1
	s_or_b64 exec, exec, s[18:19]
.LBB756_1048:                           ;   in Loop: Header=BB756_796 Depth=1
	s_or_b64 exec, exec, s[16:17]
	v_lshrrev_b32_e32 v8, 16, v6
	v_cmp_ne_u16_sdwa s[18:19], v8, v9 src0_sel:BYTE_0 src1_sel:DWORD
	s_and_saveexec_b64 s[16:17], s[18:19]
	s_cbranch_execz .LBB756_1054
; %bb.1049:                             ;   in Loop: Header=BB756_796 Depth=1
	v_cmp_ne_u16_sdwa s[20:21], v8, s22 src0_sel:BYTE_0 src1_sel:DWORD
	v_mov_b32_e32 v15, 0xffff8000
	s_and_saveexec_b64 s[18:19], s[20:21]
	s_cbranch_execz .LBB756_1053
; %bb.1050:                             ;   in Loop: Header=BB756_796 Depth=1
	v_bfe_u32 v12, v6, 16, 7
	v_cmp_ne_u32_e32 vcc, s24, v12
	v_mov_b32_e32 v15, 0x7f80
	s_and_saveexec_b64 s[20:21], vcc
	s_cbranch_execz .LBB756_1052
; %bb.1051:                             ;   in Loop: Header=BB756_796 Depth=1
	v_and_b32_e32 v15, 7, v8
	v_ffbh_u32_e32 v16, v15
	v_min_u32_e32 v19, 32, v16
	v_subrev_u32_e32 v16, 28, v19
	v_lshlrev_b64 v[16:17], v16, v[8:9]
	v_lshrrev_b32_e32 v18, 3, v12
	v_sub_u32_e32 v17, 29, v19
	v_and_b32_e32 v16, 7, v16
	v_cmp_gt_u32_e32 vcc, 8, v12
	v_cndmask_b32_e32 v12, v18, v17, vcc
	v_cndmask_b32_e32 v15, v15, v16, vcc
	v_lshlrev_b32_e32 v8, 24, v8
	v_lshlrev_b32_e32 v15, 20, v15
	v_and_b32_e32 v8, 0x80000000, v8
	v_lshl_add_u32 v12, v12, 23, v10
	v_or3_b32 v8, v8, v12, v15
	v_lshrrev_b32_e32 v15, 16, v8
.LBB756_1052:                           ;   in Loop: Header=BB756_796 Depth=1
	s_or_b64 exec, exec, s[20:21]
.LBB756_1053:                           ;   in Loop: Header=BB756_796 Depth=1
	s_or_b64 exec, exec, s[18:19]
.LBB756_1054:                           ;   in Loop: Header=BB756_796 Depth=1
	s_or_b64 exec, exec, s[16:17]
	v_cmp_lt_u32_e32 vcc, s25, v6
	v_mov_b32_e32 v16, 0
	v_mov_b32_e32 v17, 0
	s_and_saveexec_b64 s[16:17], vcc
	s_cbranch_execz .LBB756_1060
; %bb.1055:                             ;   in Loop: Header=BB756_796 Depth=1
	v_lshrrev_b32_e32 v8, 24, v6
	v_cmp_ne_u32_e32 vcc, s22, v8
	v_mov_b32_e32 v17, 0xffff8000
	s_and_saveexec_b64 s[18:19], vcc
	s_cbranch_execz .LBB756_1059
; %bb.1056:                             ;   in Loop: Header=BB756_796 Depth=1
	v_bfe_u32 v6, v6, 24, 7
	v_cmp_ne_u32_e32 vcc, s24, v6
	v_mov_b32_e32 v17, 0x7f80
	s_and_saveexec_b64 s[20:21], vcc
	s_cbranch_execz .LBB756_1058
; %bb.1057:                             ;   in Loop: Header=BB756_796 Depth=1
	v_and_b32_e32 v12, 7, v8
	v_ffbh_u32_e32 v18, v12
	v_min_u32_e32 v20, 32, v18
	v_subrev_u32_e32 v18, 28, v20
	v_lshlrev_b64 v[18:19], v18, v[8:9]
	v_lshrrev_b32_e32 v17, 3, v6
	v_sub_u32_e32 v19, 29, v20
	v_and_b32_e32 v18, 7, v18
	v_cmp_gt_u32_e32 vcc, 8, v6
	v_cndmask_b32_e32 v6, v17, v19, vcc
	v_cndmask_b32_e32 v12, v12, v18, vcc
	v_lshlrev_b32_e32 v8, 24, v8
	v_lshlrev_b32_e32 v12, 20, v12
	v_and_b32_e32 v8, 0x80000000, v8
	v_lshl_add_u32 v6, v6, 23, v10
	v_or3_b32 v6, v8, v6, v12
	v_lshrrev_b32_e32 v17, 16, v6
.LBB756_1058:                           ;   in Loop: Header=BB756_796 Depth=1
	s_or_b64 exec, exec, s[20:21]
.LBB756_1059:                           ;   in Loop: Header=BB756_796 Depth=1
	s_or_b64 exec, exec, s[18:19]
.LBB756_1060:                           ;   in Loop: Header=BB756_796 Depth=1
	s_or_b64 exec, exec, s[16:17]
	s_waitcnt vmcnt(0)
	v_cmp_ne_u16_sdwa s[18:19], v4, v9 src0_sel:BYTE_0 src1_sel:DWORD
	s_and_saveexec_b64 s[16:17], s[18:19]
	s_cbranch_execz .LBB756_1066
; %bb.1061:                             ;   in Loop: Header=BB756_796 Depth=1
	v_cmp_ne_u16_sdwa s[20:21], v4, s22 src0_sel:BYTE_0 src1_sel:DWORD
	v_mov_b32_e32 v16, 0xffff8000
	s_and_saveexec_b64 s[18:19], s[20:21]
	s_cbranch_execz .LBB756_1065
; %bb.1062:                             ;   in Loop: Header=BB756_796 Depth=1
	v_and_b32_e32 v6, 0x7f, v4
	v_cmp_ne_u32_e32 vcc, s24, v6
	v_mov_b32_e32 v16, 0x7f80
	s_and_saveexec_b64 s[20:21], vcc
	s_cbranch_execz .LBB756_1064
; %bb.1063:                             ;   in Loop: Header=BB756_796 Depth=1
	v_and_b32_e32 v8, 7, v4
	v_ffbh_u32_e32 v16, v8
	v_min_u32_e32 v16, 32, v16
	v_subrev_u32_e32 v18, 28, v16
	v_lshlrev_b64 v[18:19], v18, v[4:5]
	v_lshrrev_b32_e32 v12, 3, v6
	v_sub_u32_e32 v16, 29, v16
	v_and_b32_e32 v18, 7, v18
	v_cmp_gt_u32_e32 vcc, 8, v6
	v_cndmask_b32_e32 v6, v12, v16, vcc
	v_cndmask_b32_e32 v8, v8, v18, vcc
	v_lshlrev_b32_e32 v12, 24, v4
	v_lshlrev_b32_e32 v8, 20, v8
	v_and_b32_e32 v12, 0x80000000, v12
	v_lshl_add_u32 v6, v6, 23, v10
	v_or3_b32 v6, v12, v6, v8
	v_lshrrev_b32_e32 v16, 16, v6
.LBB756_1064:                           ;   in Loop: Header=BB756_796 Depth=1
	s_or_b64 exec, exec, s[20:21]
.LBB756_1065:                           ;   in Loop: Header=BB756_796 Depth=1
	s_or_b64 exec, exec, s[18:19]
.LBB756_1066:                           ;   in Loop: Header=BB756_796 Depth=1
	s_or_b64 exec, exec, s[16:17]
	v_lshrrev_b16_e32 v6, 8, v4
	v_cmp_ne_u16_e32 vcc, 0, v6
	v_mov_b32_e32 v18, 0
	v_mov_b32_e32 v8, 0
	s_and_saveexec_b64 s[16:17], vcc
	s_cbranch_execz .LBB756_1072
; %bb.1067:                             ;   in Loop: Header=BB756_796 Depth=1
	v_cmp_ne_u16_e32 vcc, s22, v6
	v_mov_b32_e32 v8, 0xffff8000
	s_and_saveexec_b64 s[18:19], vcc
	s_cbranch_execz .LBB756_1071
; %bb.1068:                             ;   in Loop: Header=BB756_796 Depth=1
	v_and_b32_e32 v12, 0x7f, v6
	v_cmp_ne_u32_e32 vcc, s24, v12
	v_mov_b32_e32 v8, 0x7f80
	s_and_saveexec_b64 s[20:21], vcc
	s_cbranch_execz .LBB756_1070
; %bb.1069:                             ;   in Loop: Header=BB756_796 Depth=1
	v_and_b32_e32 v8, 7, v6
	v_ffbh_u32_e32 v20, v8
	v_min_u32_e32 v22, 32, v20
	v_subrev_u32_e32 v20, 28, v22
	v_lshlrev_b64 v[20:21], v20, v[6:7]
	v_lshrrev_b32_e32 v19, 3, v12
	v_sub_u32_e32 v6, 29, v22
	v_and_b32_e32 v20, 7, v20
	v_cmp_gt_u32_e32 vcc, 8, v12
	v_cndmask_b32_e32 v6, v19, v6, vcc
	v_cndmask_b32_e32 v8, v8, v20, vcc
	v_lshlrev_b32_e32 v12, 16, v4
	v_lshlrev_b32_e32 v8, 20, v8
	v_and_b32_e32 v12, 0x80000000, v12
	v_lshl_add_u32 v6, v6, 23, v10
	v_or3_b32 v6, v12, v6, v8
	v_lshrrev_b32_e32 v8, 16, v6
.LBB756_1070:                           ;   in Loop: Header=BB756_796 Depth=1
	s_or_b64 exec, exec, s[20:21]
.LBB756_1071:                           ;   in Loop: Header=BB756_796 Depth=1
	s_or_b64 exec, exec, s[18:19]
.LBB756_1072:                           ;   in Loop: Header=BB756_796 Depth=1
	s_or_b64 exec, exec, s[16:17]
	v_lshrrev_b32_e32 v6, 16, v4
	v_cmp_ne_u16_sdwa s[18:19], v6, v9 src0_sel:BYTE_0 src1_sel:DWORD
	s_and_saveexec_b64 s[16:17], s[18:19]
	s_cbranch_execz .LBB756_1078
; %bb.1073:                             ;   in Loop: Header=BB756_796 Depth=1
	v_cmp_ne_u16_sdwa s[20:21], v6, s22 src0_sel:BYTE_0 src1_sel:DWORD
	v_mov_b32_e32 v18, 0xffff8000
	s_and_saveexec_b64 s[18:19], s[20:21]
	s_cbranch_execz .LBB756_1077
; %bb.1074:                             ;   in Loop: Header=BB756_796 Depth=1
	v_bfe_u32 v12, v4, 16, 7
	v_cmp_ne_u32_e32 vcc, s24, v12
	v_mov_b32_e32 v18, 0x7f80
	s_and_saveexec_b64 s[20:21], vcc
	s_cbranch_execz .LBB756_1076
; %bb.1075:                             ;   in Loop: Header=BB756_796 Depth=1
	v_and_b32_e32 v20, 7, v6
	v_ffbh_u32_e32 v18, v20
	v_min_u32_e32 v22, 32, v18
	v_subrev_u32_e32 v18, 28, v22
	v_lshlrev_b64 v[18:19], v18, v[6:7]
	v_lshrrev_b32_e32 v21, 3, v12
	v_sub_u32_e32 v19, 29, v22
	v_and_b32_e32 v18, 7, v18
	v_cmp_gt_u32_e32 vcc, 8, v12
	v_cndmask_b32_e32 v12, v21, v19, vcc
	v_cndmask_b32_e32 v18, v20, v18, vcc
	v_lshlrev_b32_e32 v6, 24, v6
	v_lshlrev_b32_e32 v18, 20, v18
	v_and_b32_e32 v6, 0x80000000, v6
	v_lshl_add_u32 v12, v12, 23, v10
	v_or3_b32 v6, v6, v12, v18
	v_lshrrev_b32_e32 v18, 16, v6
.LBB756_1076:                           ;   in Loop: Header=BB756_796 Depth=1
	s_or_b64 exec, exec, s[20:21]
.LBB756_1077:                           ;   in Loop: Header=BB756_796 Depth=1
	s_or_b64 exec, exec, s[18:19]
.LBB756_1078:                           ;   in Loop: Header=BB756_796 Depth=1
	s_or_b64 exec, exec, s[16:17]
	v_cmp_lt_u32_e32 vcc, s25, v4
	v_mov_b32_e32 v12, 0
	v_mov_b32_e32 v19, 0
	s_and_saveexec_b64 s[16:17], vcc
	s_cbranch_execz .LBB756_1084
; %bb.1079:                             ;   in Loop: Header=BB756_796 Depth=1
	v_lshrrev_b32_e32 v6, 24, v4
	v_cmp_ne_u32_e32 vcc, s22, v6
	v_mov_b32_e32 v19, 0xffff8000
	s_and_saveexec_b64 s[18:19], vcc
	s_cbranch_execz .LBB756_1083
; %bb.1080:                             ;   in Loop: Header=BB756_796 Depth=1
	v_bfe_u32 v4, v4, 24, 7
	v_cmp_ne_u32_e32 vcc, s24, v4
	v_mov_b32_e32 v19, 0x7f80
	s_and_saveexec_b64 s[20:21], vcc
	s_cbranch_execz .LBB756_1082
; %bb.1081:                             ;   in Loop: Header=BB756_796 Depth=1
	v_and_b32_e32 v19, 7, v6
	v_ffbh_u32_e32 v20, v19
	v_min_u32_e32 v23, 32, v20
	v_subrev_u32_e32 v20, 28, v23
	v_lshlrev_b64 v[20:21], v20, v[6:7]
	v_lshrrev_b32_e32 v22, 3, v4
	v_sub_u32_e32 v21, 29, v23
	v_and_b32_e32 v20, 7, v20
	v_cmp_gt_u32_e32 vcc, 8, v4
	v_cndmask_b32_e32 v4, v22, v21, vcc
	v_cndmask_b32_e32 v19, v19, v20, vcc
	v_lshlrev_b32_e32 v6, 24, v6
	v_lshlrev_b32_e32 v19, 20, v19
	v_and_b32_e32 v6, 0x80000000, v6
	v_lshl_add_u32 v4, v4, 23, v10
	v_or3_b32 v4, v6, v4, v19
	v_lshrrev_b32_e32 v19, 16, v4
.LBB756_1082:                           ;   in Loop: Header=BB756_796 Depth=1
	s_or_b64 exec, exec, s[20:21]
.LBB756_1083:                           ;   in Loop: Header=BB756_796 Depth=1
	s_or_b64 exec, exec, s[18:19]
.LBB756_1084:                           ;   in Loop: Header=BB756_796 Depth=1
	s_or_b64 exec, exec, s[16:17]
	buffer_load_dword v6, v11, s[0:3], 0 offen offset:48
	buffer_load_dword v4, v11, s[0:3], 0 offen offset:52
	v_perm_b32 v15, v17, v15, s26
	v_perm_b32 v14, v13, v14, s26
	;; [unrolled: 1-line block ×4, first 2 shown]
	v_mfma_f32_4x4x4bf16_1k a[0:3], v[2:3], v[14:15], a[0:3] cbsz:4 abid:10
	s_waitcnt vmcnt(1)
	v_cmp_ne_u16_sdwa s[18:19], v6, v9 src0_sel:BYTE_0 src1_sel:DWORD
	v_mfma_f32_4x4x4bf16_1k a[0:3], v[2:3], v[16:17], a[0:3] cbsz:4 abid:11
	s_and_saveexec_b64 s[16:17], s[18:19]
	s_cbranch_execz .LBB756_1090
; %bb.1085:                             ;   in Loop: Header=BB756_796 Depth=1
	v_cmp_ne_u16_sdwa s[20:21], v6, s22 src0_sel:BYTE_0 src1_sel:DWORD
	v_mov_b32_e32 v12, 0xffff8000
	s_and_saveexec_b64 s[18:19], s[20:21]
	s_cbranch_execz .LBB756_1089
; %bb.1086:                             ;   in Loop: Header=BB756_796 Depth=1
	v_and_b32_e32 v8, 0x7f, v6
	v_cmp_ne_u32_e32 vcc, s24, v8
	v_mov_b32_e32 v12, 0x7f80
	s_and_saveexec_b64 s[20:21], vcc
	s_cbranch_execz .LBB756_1088
; %bb.1087:                             ;   in Loop: Header=BB756_796 Depth=1
	v_and_b32_e32 v14, 7, v6
	v_ffbh_u32_e32 v12, v14
	v_min_u32_e32 v16, 32, v12
	v_subrev_u32_e32 v12, 28, v16
	v_lshlrev_b64 v[12:13], v12, v[6:7]
	v_lshrrev_b32_e32 v15, 3, v8
	v_sub_u32_e32 v13, 29, v16
	v_and_b32_e32 v12, 7, v12
	v_cmp_gt_u32_e32 vcc, 8, v8
	v_cndmask_b32_e32 v8, v15, v13, vcc
	v_cndmask_b32_e32 v12, v14, v12, vcc
	v_lshlrev_b32_e32 v13, 24, v6
	v_lshlrev_b32_e32 v12, 20, v12
	v_and_b32_e32 v13, 0x80000000, v13
	v_lshl_add_u32 v8, v8, 23, v10
	v_or3_b32 v8, v13, v8, v12
	v_lshrrev_b32_e32 v12, 16, v8
.LBB756_1088:                           ;   in Loop: Header=BB756_796 Depth=1
	s_or_b64 exec, exec, s[20:21]
.LBB756_1089:                           ;   in Loop: Header=BB756_796 Depth=1
	s_or_b64 exec, exec, s[18:19]
.LBB756_1090:                           ;   in Loop: Header=BB756_796 Depth=1
	s_or_b64 exec, exec, s[16:17]
	v_lshrrev_b16_e32 v8, 8, v6
	v_cmp_ne_u16_e32 vcc, 0, v8
	v_mov_b32_e32 v15, 0
	v_mov_b32_e32 v14, 0
	s_and_saveexec_b64 s[16:17], vcc
	s_cbranch_execz .LBB756_1096
; %bb.1091:                             ;   in Loop: Header=BB756_796 Depth=1
	v_cmp_ne_u16_e32 vcc, s22, v8
	v_mov_b32_e32 v14, 0xffff8000
	s_and_saveexec_b64 s[18:19], vcc
	s_cbranch_execz .LBB756_1095
; %bb.1092:                             ;   in Loop: Header=BB756_796 Depth=1
	v_and_b32_e32 v13, 0x7f, v8
	v_cmp_ne_u32_e32 vcc, s24, v13
	v_mov_b32_e32 v14, 0x7f80
	s_and_saveexec_b64 s[20:21], vcc
	s_cbranch_execz .LBB756_1094
; %bb.1093:                             ;   in Loop: Header=BB756_796 Depth=1
	v_and_b32_e32 v14, 7, v8
	v_ffbh_u32_e32 v16, v14
	v_min_u32_e32 v19, 32, v16
	v_subrev_u32_e32 v16, 28, v19
	v_lshlrev_b64 v[16:17], v16, v[8:9]
	v_lshrrev_b32_e32 v18, 3, v13
	v_sub_u32_e32 v8, 29, v19
	v_and_b32_e32 v16, 7, v16
	v_cmp_gt_u32_e32 vcc, 8, v13
	v_cndmask_b32_e32 v8, v18, v8, vcc
	v_cndmask_b32_e32 v13, v14, v16, vcc
	v_lshlrev_b32_e32 v14, 16, v6
	v_lshlrev_b32_e32 v13, 20, v13
	v_and_b32_e32 v14, 0x80000000, v14
	v_lshl_add_u32 v8, v8, 23, v10
	v_or3_b32 v8, v14, v8, v13
	v_lshrrev_b32_e32 v14, 16, v8
.LBB756_1094:                           ;   in Loop: Header=BB756_796 Depth=1
	s_or_b64 exec, exec, s[20:21]
.LBB756_1095:                           ;   in Loop: Header=BB756_796 Depth=1
	s_or_b64 exec, exec, s[18:19]
.LBB756_1096:                           ;   in Loop: Header=BB756_796 Depth=1
	s_or_b64 exec, exec, s[16:17]
	v_lshrrev_b32_e32 v8, 16, v6
	v_cmp_ne_u16_sdwa s[18:19], v8, v9 src0_sel:BYTE_0 src1_sel:DWORD
	s_and_saveexec_b64 s[16:17], s[18:19]
	s_cbranch_execz .LBB756_1102
; %bb.1097:                             ;   in Loop: Header=BB756_796 Depth=1
	v_cmp_ne_u16_sdwa s[20:21], v8, s22 src0_sel:BYTE_0 src1_sel:DWORD
	v_mov_b32_e32 v15, 0xffff8000
	s_and_saveexec_b64 s[18:19], s[20:21]
	s_cbranch_execz .LBB756_1101
; %bb.1098:                             ;   in Loop: Header=BB756_796 Depth=1
	v_bfe_u32 v13, v6, 16, 7
	v_cmp_ne_u32_e32 vcc, s24, v13
	v_mov_b32_e32 v15, 0x7f80
	s_and_saveexec_b64 s[20:21], vcc
	s_cbranch_execz .LBB756_1100
; %bb.1099:                             ;   in Loop: Header=BB756_796 Depth=1
	v_and_b32_e32 v15, 7, v8
	v_ffbh_u32_e32 v16, v15
	v_min_u32_e32 v19, 32, v16
	v_subrev_u32_e32 v16, 28, v19
	v_lshlrev_b64 v[16:17], v16, v[8:9]
	v_lshrrev_b32_e32 v18, 3, v13
	v_sub_u32_e32 v17, 29, v19
	v_and_b32_e32 v16, 7, v16
	v_cmp_gt_u32_e32 vcc, 8, v13
	v_cndmask_b32_e32 v13, v18, v17, vcc
	v_cndmask_b32_e32 v15, v15, v16, vcc
	v_lshlrev_b32_e32 v8, 24, v8
	v_lshlrev_b32_e32 v15, 20, v15
	v_and_b32_e32 v8, 0x80000000, v8
	v_lshl_add_u32 v13, v13, 23, v10
	v_or3_b32 v8, v8, v13, v15
	v_lshrrev_b32_e32 v15, 16, v8
.LBB756_1100:                           ;   in Loop: Header=BB756_796 Depth=1
	s_or_b64 exec, exec, s[20:21]
.LBB756_1101:                           ;   in Loop: Header=BB756_796 Depth=1
	s_or_b64 exec, exec, s[18:19]
.LBB756_1102:                           ;   in Loop: Header=BB756_796 Depth=1
	s_or_b64 exec, exec, s[16:17]
	v_cmp_lt_u32_e32 vcc, s25, v6
	v_mov_b32_e32 v16, 0
	v_mov_b32_e32 v17, 0
	s_and_saveexec_b64 s[16:17], vcc
	s_cbranch_execz .LBB756_1108
; %bb.1103:                             ;   in Loop: Header=BB756_796 Depth=1
	v_lshrrev_b32_e32 v8, 24, v6
	v_cmp_ne_u32_e32 vcc, s22, v8
	v_mov_b32_e32 v17, 0xffff8000
	s_and_saveexec_b64 s[18:19], vcc
	s_cbranch_execz .LBB756_1107
; %bb.1104:                             ;   in Loop: Header=BB756_796 Depth=1
	v_bfe_u32 v6, v6, 24, 7
	v_cmp_ne_u32_e32 vcc, s24, v6
	v_mov_b32_e32 v17, 0x7f80
	s_and_saveexec_b64 s[20:21], vcc
	s_cbranch_execz .LBB756_1106
; %bb.1105:                             ;   in Loop: Header=BB756_796 Depth=1
	v_and_b32_e32 v13, 7, v8
	v_ffbh_u32_e32 v18, v13
	v_min_u32_e32 v20, 32, v18
	v_subrev_u32_e32 v18, 28, v20
	v_lshlrev_b64 v[18:19], v18, v[8:9]
	v_lshrrev_b32_e32 v17, 3, v6
	v_sub_u32_e32 v19, 29, v20
	v_and_b32_e32 v18, 7, v18
	v_cmp_gt_u32_e32 vcc, 8, v6
	v_cndmask_b32_e32 v6, v17, v19, vcc
	v_cndmask_b32_e32 v13, v13, v18, vcc
	v_lshlrev_b32_e32 v8, 24, v8
	v_lshlrev_b32_e32 v13, 20, v13
	v_and_b32_e32 v8, 0x80000000, v8
	v_lshl_add_u32 v6, v6, 23, v10
	v_or3_b32 v6, v8, v6, v13
	v_lshrrev_b32_e32 v17, 16, v6
.LBB756_1106:                           ;   in Loop: Header=BB756_796 Depth=1
	s_or_b64 exec, exec, s[20:21]
.LBB756_1107:                           ;   in Loop: Header=BB756_796 Depth=1
	s_or_b64 exec, exec, s[18:19]
.LBB756_1108:                           ;   in Loop: Header=BB756_796 Depth=1
	s_or_b64 exec, exec, s[16:17]
	s_waitcnt vmcnt(0)
	v_cmp_ne_u16_sdwa s[18:19], v4, v9 src0_sel:BYTE_0 src1_sel:DWORD
	s_and_saveexec_b64 s[16:17], s[18:19]
	s_cbranch_execz .LBB756_1114
; %bb.1109:                             ;   in Loop: Header=BB756_796 Depth=1
	v_cmp_ne_u16_sdwa s[20:21], v4, s22 src0_sel:BYTE_0 src1_sel:DWORD
	v_mov_b32_e32 v16, 0xffff8000
	s_and_saveexec_b64 s[18:19], s[20:21]
	s_cbranch_execz .LBB756_1113
; %bb.1110:                             ;   in Loop: Header=BB756_796 Depth=1
	v_and_b32_e32 v6, 0x7f, v4
	v_cmp_ne_u32_e32 vcc, s24, v6
	v_mov_b32_e32 v16, 0x7f80
	s_and_saveexec_b64 s[20:21], vcc
	s_cbranch_execz .LBB756_1112
; %bb.1111:                             ;   in Loop: Header=BB756_796 Depth=1
	v_and_b32_e32 v8, 7, v4
	v_ffbh_u32_e32 v16, v8
	v_min_u32_e32 v16, 32, v16
	v_subrev_u32_e32 v18, 28, v16
	v_lshlrev_b64 v[18:19], v18, v[4:5]
	v_lshrrev_b32_e32 v13, 3, v6
	v_sub_u32_e32 v16, 29, v16
	v_and_b32_e32 v18, 7, v18
	v_cmp_gt_u32_e32 vcc, 8, v6
	v_cndmask_b32_e32 v6, v13, v16, vcc
	v_cndmask_b32_e32 v8, v8, v18, vcc
	v_lshlrev_b32_e32 v13, 24, v4
	v_lshlrev_b32_e32 v8, 20, v8
	v_and_b32_e32 v13, 0x80000000, v13
	v_lshl_add_u32 v6, v6, 23, v10
	v_or3_b32 v6, v13, v6, v8
	v_lshrrev_b32_e32 v16, 16, v6
.LBB756_1112:                           ;   in Loop: Header=BB756_796 Depth=1
	s_or_b64 exec, exec, s[20:21]
.LBB756_1113:                           ;   in Loop: Header=BB756_796 Depth=1
	s_or_b64 exec, exec, s[18:19]
.LBB756_1114:                           ;   in Loop: Header=BB756_796 Depth=1
	s_or_b64 exec, exec, s[16:17]
	v_lshrrev_b16_e32 v6, 8, v4
	v_cmp_ne_u16_e32 vcc, 0, v6
	v_mov_b32_e32 v18, 0
	v_mov_b32_e32 v8, 0
	s_and_saveexec_b64 s[16:17], vcc
	s_cbranch_execz .LBB756_1120
; %bb.1115:                             ;   in Loop: Header=BB756_796 Depth=1
	v_cmp_ne_u16_e32 vcc, s22, v6
	v_mov_b32_e32 v8, 0xffff8000
	s_and_saveexec_b64 s[18:19], vcc
	s_cbranch_execz .LBB756_1119
; %bb.1116:                             ;   in Loop: Header=BB756_796 Depth=1
	v_and_b32_e32 v13, 0x7f, v6
	v_cmp_ne_u32_e32 vcc, s24, v13
	v_mov_b32_e32 v8, 0x7f80
	s_and_saveexec_b64 s[20:21], vcc
	s_cbranch_execz .LBB756_1118
; %bb.1117:                             ;   in Loop: Header=BB756_796 Depth=1
	v_and_b32_e32 v8, 7, v6
	v_ffbh_u32_e32 v20, v8
	v_min_u32_e32 v22, 32, v20
	v_subrev_u32_e32 v20, 28, v22
	v_lshlrev_b64 v[20:21], v20, v[6:7]
	v_lshrrev_b32_e32 v19, 3, v13
	v_sub_u32_e32 v6, 29, v22
	v_and_b32_e32 v20, 7, v20
	v_cmp_gt_u32_e32 vcc, 8, v13
	v_cndmask_b32_e32 v6, v19, v6, vcc
	v_cndmask_b32_e32 v8, v8, v20, vcc
	v_lshlrev_b32_e32 v13, 16, v4
	v_lshlrev_b32_e32 v8, 20, v8
	v_and_b32_e32 v13, 0x80000000, v13
	v_lshl_add_u32 v6, v6, 23, v10
	v_or3_b32 v6, v13, v6, v8
	v_lshrrev_b32_e32 v8, 16, v6
.LBB756_1118:                           ;   in Loop: Header=BB756_796 Depth=1
	s_or_b64 exec, exec, s[20:21]
.LBB756_1119:                           ;   in Loop: Header=BB756_796 Depth=1
	s_or_b64 exec, exec, s[18:19]
.LBB756_1120:                           ;   in Loop: Header=BB756_796 Depth=1
	s_or_b64 exec, exec, s[16:17]
	v_lshrrev_b32_e32 v6, 16, v4
	v_cmp_ne_u16_sdwa s[18:19], v6, v9 src0_sel:BYTE_0 src1_sel:DWORD
	s_and_saveexec_b64 s[16:17], s[18:19]
	s_cbranch_execz .LBB756_1126
; %bb.1121:                             ;   in Loop: Header=BB756_796 Depth=1
	v_cmp_ne_u16_sdwa s[20:21], v6, s22 src0_sel:BYTE_0 src1_sel:DWORD
	v_mov_b32_e32 v18, 0xffff8000
	s_and_saveexec_b64 s[18:19], s[20:21]
	s_cbranch_execz .LBB756_1125
; %bb.1122:                             ;   in Loop: Header=BB756_796 Depth=1
	v_bfe_u32 v13, v4, 16, 7
	v_cmp_ne_u32_e32 vcc, s24, v13
	v_mov_b32_e32 v18, 0x7f80
	s_and_saveexec_b64 s[20:21], vcc
	s_cbranch_execz .LBB756_1124
; %bb.1123:                             ;   in Loop: Header=BB756_796 Depth=1
	v_and_b32_e32 v20, 7, v6
	v_ffbh_u32_e32 v18, v20
	v_min_u32_e32 v22, 32, v18
	v_subrev_u32_e32 v18, 28, v22
	v_lshlrev_b64 v[18:19], v18, v[6:7]
	v_lshrrev_b32_e32 v21, 3, v13
	v_sub_u32_e32 v19, 29, v22
	v_and_b32_e32 v18, 7, v18
	v_cmp_gt_u32_e32 vcc, 8, v13
	v_cndmask_b32_e32 v13, v21, v19, vcc
	v_cndmask_b32_e32 v18, v20, v18, vcc
	v_lshlrev_b32_e32 v6, 24, v6
	v_lshlrev_b32_e32 v18, 20, v18
	v_and_b32_e32 v6, 0x80000000, v6
	v_lshl_add_u32 v13, v13, 23, v10
	v_or3_b32 v6, v6, v13, v18
	v_lshrrev_b32_e32 v18, 16, v6
.LBB756_1124:                           ;   in Loop: Header=BB756_796 Depth=1
	s_or_b64 exec, exec, s[20:21]
.LBB756_1125:                           ;   in Loop: Header=BB756_796 Depth=1
	s_or_b64 exec, exec, s[18:19]
.LBB756_1126:                           ;   in Loop: Header=BB756_796 Depth=1
	s_or_b64 exec, exec, s[16:17]
	v_cmp_lt_u32_e32 vcc, s25, v4
	v_mov_b32_e32 v13, 0
	v_mov_b32_e32 v19, 0
	s_and_saveexec_b64 s[16:17], vcc
	s_cbranch_execz .LBB756_1132
; %bb.1127:                             ;   in Loop: Header=BB756_796 Depth=1
	v_lshrrev_b32_e32 v6, 24, v4
	v_cmp_ne_u32_e32 vcc, s22, v6
	v_mov_b32_e32 v19, 0xffff8000
	s_and_saveexec_b64 s[18:19], vcc
	s_cbranch_execz .LBB756_1131
; %bb.1128:                             ;   in Loop: Header=BB756_796 Depth=1
	v_bfe_u32 v4, v4, 24, 7
	v_cmp_ne_u32_e32 vcc, s24, v4
	v_mov_b32_e32 v19, 0x7f80
	s_and_saveexec_b64 s[20:21], vcc
	s_cbranch_execz .LBB756_1130
; %bb.1129:                             ;   in Loop: Header=BB756_796 Depth=1
	v_and_b32_e32 v19, 7, v6
	v_ffbh_u32_e32 v20, v19
	v_min_u32_e32 v23, 32, v20
	v_subrev_u32_e32 v20, 28, v23
	v_lshlrev_b64 v[20:21], v20, v[6:7]
	v_lshrrev_b32_e32 v22, 3, v4
	v_sub_u32_e32 v21, 29, v23
	v_and_b32_e32 v20, 7, v20
	v_cmp_gt_u32_e32 vcc, 8, v4
	v_cndmask_b32_e32 v4, v22, v21, vcc
	v_cndmask_b32_e32 v19, v19, v20, vcc
	v_lshlrev_b32_e32 v6, 24, v6
	v_lshlrev_b32_e32 v19, 20, v19
	v_and_b32_e32 v6, 0x80000000, v6
	v_lshl_add_u32 v4, v4, 23, v10
	v_or3_b32 v4, v6, v4, v19
	v_lshrrev_b32_e32 v19, 16, v4
.LBB756_1130:                           ;   in Loop: Header=BB756_796 Depth=1
	s_or_b64 exec, exec, s[20:21]
.LBB756_1131:                           ;   in Loop: Header=BB756_796 Depth=1
	s_or_b64 exec, exec, s[18:19]
.LBB756_1132:                           ;   in Loop: Header=BB756_796 Depth=1
	s_or_b64 exec, exec, s[16:17]
	buffer_load_dword v6, v11, s[0:3], 0 offen offset:56
	buffer_load_dword v4, v11, s[0:3], 0 offen offset:60
	v_perm_b32 v15, v17, v15, s26
	v_perm_b32 v14, v14, v12, s26
	v_perm_b32 v17, v19, v18, s26
	v_perm_b32 v16, v8, v16, s26
	v_mfma_f32_4x4x4bf16_1k a[0:3], v[2:3], v[14:15], a[0:3] cbsz:4 abid:12
	s_waitcnt vmcnt(1)
	v_cmp_ne_u16_sdwa s[18:19], v6, v9 src0_sel:BYTE_0 src1_sel:DWORD
	v_mfma_f32_4x4x4bf16_1k a[0:3], v[2:3], v[16:17], a[0:3] cbsz:4 abid:13
	s_and_saveexec_b64 s[16:17], s[18:19]
	s_cbranch_execz .LBB756_1138
; %bb.1133:                             ;   in Loop: Header=BB756_796 Depth=1
	v_cmp_ne_u16_sdwa s[20:21], v6, s22 src0_sel:BYTE_0 src1_sel:DWORD
	v_mov_b32_e32 v13, 0xffff8000
	s_and_saveexec_b64 s[18:19], s[20:21]
	s_cbranch_execz .LBB756_1137
; %bb.1134:                             ;   in Loop: Header=BB756_796 Depth=1
	v_and_b32_e32 v8, 0x7f, v6
	v_cmp_ne_u32_e32 vcc, s24, v8
	v_mov_b32_e32 v13, 0x7f80
	s_and_saveexec_b64 s[20:21], vcc
	s_cbranch_execz .LBB756_1136
; %bb.1135:                             ;   in Loop: Header=BB756_796 Depth=1
	v_and_b32_e32 v11, 7, v6
	v_ffbh_u32_e32 v12, v11
	v_min_u32_e32 v15, 32, v12
	v_subrev_u32_e32 v12, 28, v15
	v_lshlrev_b64 v[12:13], v12, v[6:7]
	v_lshrrev_b32_e32 v14, 3, v8
	v_sub_u32_e32 v13, 29, v15
	v_and_b32_e32 v12, 7, v12
	v_cmp_gt_u32_e32 vcc, 8, v8
	v_cndmask_b32_e32 v8, v14, v13, vcc
	v_cndmask_b32_e32 v11, v11, v12, vcc
	v_lshlrev_b32_e32 v12, 24, v6
	v_lshlrev_b32_e32 v11, 20, v11
	v_and_b32_e32 v12, 0x80000000, v12
	v_lshl_add_u32 v8, v8, 23, v10
	v_or3_b32 v8, v12, v8, v11
	v_lshrrev_b32_e32 v13, 16, v8
.LBB756_1136:                           ;   in Loop: Header=BB756_796 Depth=1
	s_or_b64 exec, exec, s[20:21]
.LBB756_1137:                           ;   in Loop: Header=BB756_796 Depth=1
	s_or_b64 exec, exec, s[18:19]
.LBB756_1138:                           ;   in Loop: Header=BB756_796 Depth=1
	s_or_b64 exec, exec, s[16:17]
	v_lshrrev_b16_e32 v8, 8, v6
	v_cmp_ne_u16_e32 vcc, 0, v8
	v_mov_b32_e32 v12, 0
	v_mov_b32_e32 v11, 0
	s_and_saveexec_b64 s[16:17], vcc
	s_cbranch_execz .LBB756_1144
; %bb.1139:                             ;   in Loop: Header=BB756_796 Depth=1
	v_cmp_ne_u16_e32 vcc, s22, v8
	v_mov_b32_e32 v11, 0xffff8000
	s_and_saveexec_b64 s[18:19], vcc
	s_cbranch_execz .LBB756_1143
; %bb.1140:                             ;   in Loop: Header=BB756_796 Depth=1
	v_and_b32_e32 v14, 0x7f, v8
	v_cmp_ne_u32_e32 vcc, s24, v14
	v_mov_b32_e32 v11, 0x7f80
	s_and_saveexec_b64 s[20:21], vcc
	s_cbranch_execz .LBB756_1142
; %bb.1141:                             ;   in Loop: Header=BB756_796 Depth=1
	v_and_b32_e32 v11, 7, v8
	v_ffbh_u32_e32 v16, v11
	v_min_u32_e32 v18, 32, v16
	v_subrev_u32_e32 v16, 28, v18
	v_lshlrev_b64 v[16:17], v16, v[8:9]
	v_lshrrev_b32_e32 v15, 3, v14
	v_sub_u32_e32 v8, 29, v18
	v_and_b32_e32 v16, 7, v16
	v_cmp_gt_u32_e32 vcc, 8, v14
	v_cndmask_b32_e32 v8, v15, v8, vcc
	v_cndmask_b32_e32 v11, v11, v16, vcc
	v_lshlrev_b32_e32 v14, 16, v6
	v_lshlrev_b32_e32 v11, 20, v11
	v_and_b32_e32 v14, 0x80000000, v14
	v_lshl_add_u32 v8, v8, 23, v10
	v_or3_b32 v8, v14, v8, v11
	v_lshrrev_b32_e32 v11, 16, v8
.LBB756_1142:                           ;   in Loop: Header=BB756_796 Depth=1
	s_or_b64 exec, exec, s[20:21]
.LBB756_1143:                           ;   in Loop: Header=BB756_796 Depth=1
	s_or_b64 exec, exec, s[18:19]
.LBB756_1144:                           ;   in Loop: Header=BB756_796 Depth=1
	s_or_b64 exec, exec, s[16:17]
	v_lshrrev_b32_e32 v8, 16, v6
	v_cmp_ne_u16_sdwa s[18:19], v8, v9 src0_sel:BYTE_0 src1_sel:DWORD
	s_and_saveexec_b64 s[16:17], s[18:19]
	s_cbranch_execz .LBB756_1150
; %bb.1145:                             ;   in Loop: Header=BB756_796 Depth=1
	v_cmp_ne_u16_sdwa s[20:21], v8, s22 src0_sel:BYTE_0 src1_sel:DWORD
	v_mov_b32_e32 v12, 0xffff8000
	s_and_saveexec_b64 s[18:19], s[20:21]
	s_cbranch_execz .LBB756_1149
; %bb.1146:                             ;   in Loop: Header=BB756_796 Depth=1
	v_bfe_u32 v14, v6, 16, 7
	v_cmp_ne_u32_e32 vcc, s24, v14
	v_mov_b32_e32 v12, 0x7f80
	s_and_saveexec_b64 s[20:21], vcc
	s_cbranch_execz .LBB756_1148
; %bb.1147:                             ;   in Loop: Header=BB756_796 Depth=1
	v_and_b32_e32 v12, 7, v8
	v_ffbh_u32_e32 v16, v12
	v_min_u32_e32 v18, 32, v16
	v_subrev_u32_e32 v16, 28, v18
	v_lshlrev_b64 v[16:17], v16, v[8:9]
	v_lshrrev_b32_e32 v15, 3, v14
	v_sub_u32_e32 v17, 29, v18
	v_and_b32_e32 v16, 7, v16
	v_cmp_gt_u32_e32 vcc, 8, v14
	v_cndmask_b32_e32 v14, v15, v17, vcc
	v_cndmask_b32_e32 v12, v12, v16, vcc
	v_lshlrev_b32_e32 v8, 24, v8
	v_lshlrev_b32_e32 v12, 20, v12
	v_and_b32_e32 v8, 0x80000000, v8
	v_lshl_add_u32 v14, v14, 23, v10
	v_or3_b32 v8, v8, v14, v12
	v_lshrrev_b32_e32 v12, 16, v8
.LBB756_1148:                           ;   in Loop: Header=BB756_796 Depth=1
	s_or_b64 exec, exec, s[20:21]
.LBB756_1149:                           ;   in Loop: Header=BB756_796 Depth=1
	s_or_b64 exec, exec, s[18:19]
.LBB756_1150:                           ;   in Loop: Header=BB756_796 Depth=1
	s_or_b64 exec, exec, s[16:17]
	v_cmp_lt_u32_e32 vcc, s25, v6
	v_mov_b32_e32 v14, 0
	v_mov_b32_e32 v15, 0
	s_and_saveexec_b64 s[16:17], vcc
	s_cbranch_execz .LBB756_1156
; %bb.1151:                             ;   in Loop: Header=BB756_796 Depth=1
	v_lshrrev_b32_e32 v8, 24, v6
	v_cmp_ne_u32_e32 vcc, s22, v8
	v_mov_b32_e32 v15, 0xffff8000
	s_and_saveexec_b64 s[18:19], vcc
	s_cbranch_execz .LBB756_1155
; %bb.1152:                             ;   in Loop: Header=BB756_796 Depth=1
	v_bfe_u32 v6, v6, 24, 7
	v_cmp_ne_u32_e32 vcc, s24, v6
	v_mov_b32_e32 v15, 0x7f80
	s_and_saveexec_b64 s[20:21], vcc
	s_cbranch_execz .LBB756_1154
; %bb.1153:                             ;   in Loop: Header=BB756_796 Depth=1
	v_and_b32_e32 v15, 7, v8
	v_ffbh_u32_e32 v16, v15
	v_min_u32_e32 v19, 32, v16
	v_subrev_u32_e32 v16, 28, v19
	v_lshlrev_b64 v[16:17], v16, v[8:9]
	v_lshrrev_b32_e32 v18, 3, v6
	v_sub_u32_e32 v17, 29, v19
	v_and_b32_e32 v16, 7, v16
	v_cmp_gt_u32_e32 vcc, 8, v6
	v_cndmask_b32_e32 v6, v18, v17, vcc
	v_cndmask_b32_e32 v15, v15, v16, vcc
	v_lshlrev_b32_e32 v8, 24, v8
	v_lshlrev_b32_e32 v15, 20, v15
	v_and_b32_e32 v8, 0x80000000, v8
	v_lshl_add_u32 v6, v6, 23, v10
	v_or3_b32 v6, v8, v6, v15
	v_lshrrev_b32_e32 v15, 16, v6
.LBB756_1154:                           ;   in Loop: Header=BB756_796 Depth=1
	s_or_b64 exec, exec, s[20:21]
.LBB756_1155:                           ;   in Loop: Header=BB756_796 Depth=1
	s_or_b64 exec, exec, s[18:19]
.LBB756_1156:                           ;   in Loop: Header=BB756_796 Depth=1
	s_or_b64 exec, exec, s[16:17]
	s_waitcnt vmcnt(0)
	v_cmp_ne_u16_sdwa s[18:19], v4, v9 src0_sel:BYTE_0 src1_sel:DWORD
	s_and_saveexec_b64 s[16:17], s[18:19]
	s_cbranch_execz .LBB756_1162
; %bb.1157:                             ;   in Loop: Header=BB756_796 Depth=1
	v_cmp_ne_u16_sdwa s[20:21], v4, s22 src0_sel:BYTE_0 src1_sel:DWORD
	v_mov_b32_e32 v14, 0xffff8000
	s_and_saveexec_b64 s[18:19], s[20:21]
	s_cbranch_execz .LBB756_1161
; %bb.1158:                             ;   in Loop: Header=BB756_796 Depth=1
	v_and_b32_e32 v6, 0x7f, v4
	v_cmp_ne_u32_e32 vcc, s24, v6
	v_mov_b32_e32 v14, 0x7f80
	s_and_saveexec_b64 s[20:21], vcc
	s_cbranch_execz .LBB756_1160
; %bb.1159:                             ;   in Loop: Header=BB756_796 Depth=1
	v_and_b32_e32 v8, 7, v4
	v_ffbh_u32_e32 v16, v8
	v_min_u32_e32 v18, 32, v16
	v_subrev_u32_e32 v16, 28, v18
	v_lshlrev_b64 v[16:17], v16, v[4:5]
	v_lshrrev_b32_e32 v14, 3, v6
	v_sub_u32_e32 v17, 29, v18
	v_and_b32_e32 v16, 7, v16
	v_cmp_gt_u32_e32 vcc, 8, v6
	v_cndmask_b32_e32 v6, v14, v17, vcc
	v_cndmask_b32_e32 v8, v8, v16, vcc
	v_lshlrev_b32_e32 v14, 24, v4
	v_lshlrev_b32_e32 v8, 20, v8
	v_and_b32_e32 v14, 0x80000000, v14
	v_lshl_add_u32 v6, v6, 23, v10
	v_or3_b32 v6, v14, v6, v8
	v_lshrrev_b32_e32 v14, 16, v6
.LBB756_1160:                           ;   in Loop: Header=BB756_796 Depth=1
	s_or_b64 exec, exec, s[20:21]
.LBB756_1161:                           ;   in Loop: Header=BB756_796 Depth=1
	s_or_b64 exec, exec, s[18:19]
.LBB756_1162:                           ;   in Loop: Header=BB756_796 Depth=1
	s_or_b64 exec, exec, s[16:17]
	v_lshrrev_b16_e32 v6, 8, v4
	v_cmp_ne_u16_e32 vcc, 0, v6
	v_mov_b32_e32 v16, 0
	v_mov_b32_e32 v8, 0
	s_and_saveexec_b64 s[16:17], vcc
	s_cbranch_execz .LBB756_1168
; %bb.1163:                             ;   in Loop: Header=BB756_796 Depth=1
	v_cmp_ne_u16_e32 vcc, s22, v6
	v_mov_b32_e32 v8, 0xffff8000
	s_and_saveexec_b64 s[18:19], vcc
	s_cbranch_execz .LBB756_1167
; %bb.1164:                             ;   in Loop: Header=BB756_796 Depth=1
	v_and_b32_e32 v17, 0x7f, v6
	v_cmp_ne_u32_e32 vcc, s24, v17
	v_mov_b32_e32 v8, 0x7f80
	s_and_saveexec_b64 s[20:21], vcc
	s_cbranch_execz .LBB756_1166
; %bb.1165:                             ;   in Loop: Header=BB756_796 Depth=1
	v_and_b32_e32 v8, 7, v6
	v_ffbh_u32_e32 v18, v8
	v_min_u32_e32 v21, 32, v18
	v_subrev_u32_e32 v18, 28, v21
	v_lshlrev_b64 v[18:19], v18, v[6:7]
	v_lshrrev_b32_e32 v20, 3, v17
	v_sub_u32_e32 v6, 29, v21
	v_and_b32_e32 v18, 7, v18
	v_cmp_gt_u32_e32 vcc, 8, v17
	v_cndmask_b32_e32 v6, v20, v6, vcc
	v_cndmask_b32_e32 v8, v8, v18, vcc
	v_lshlrev_b32_e32 v17, 16, v4
	v_lshlrev_b32_e32 v8, 20, v8
	v_and_b32_e32 v17, 0x80000000, v17
	v_lshl_add_u32 v6, v6, 23, v10
	v_or3_b32 v6, v17, v6, v8
	v_lshrrev_b32_e32 v8, 16, v6
.LBB756_1166:                           ;   in Loop: Header=BB756_796 Depth=1
	s_or_b64 exec, exec, s[20:21]
.LBB756_1167:                           ;   in Loop: Header=BB756_796 Depth=1
	s_or_b64 exec, exec, s[18:19]
.LBB756_1168:                           ;   in Loop: Header=BB756_796 Depth=1
	s_or_b64 exec, exec, s[16:17]
	v_lshrrev_b32_e32 v6, 16, v4
	v_cmp_ne_u16_sdwa s[18:19], v6, v9 src0_sel:BYTE_0 src1_sel:DWORD
	s_and_saveexec_b64 s[16:17], s[18:19]
	s_cbranch_execz .LBB756_1174
; %bb.1169:                             ;   in Loop: Header=BB756_796 Depth=1
	v_cmp_ne_u16_sdwa s[20:21], v6, s22 src0_sel:BYTE_0 src1_sel:DWORD
	v_mov_b32_e32 v16, 0xffff8000
	s_and_saveexec_b64 s[18:19], s[20:21]
	s_cbranch_execz .LBB756_1173
; %bb.1170:                             ;   in Loop: Header=BB756_796 Depth=1
	v_bfe_u32 v17, v4, 16, 7
	v_cmp_ne_u32_e32 vcc, s24, v17
	v_mov_b32_e32 v16, 0x7f80
	s_and_saveexec_b64 s[20:21], vcc
	s_cbranch_execz .LBB756_1172
; %bb.1171:                             ;   in Loop: Header=BB756_796 Depth=1
	v_and_b32_e32 v16, 7, v6
	v_ffbh_u32_e32 v18, v16
	v_min_u32_e32 v21, 32, v18
	v_subrev_u32_e32 v18, 28, v21
	v_lshlrev_b64 v[18:19], v18, v[6:7]
	v_lshrrev_b32_e32 v20, 3, v17
	v_sub_u32_e32 v19, 29, v21
	v_and_b32_e32 v18, 7, v18
	v_cmp_gt_u32_e32 vcc, 8, v17
	v_cndmask_b32_e32 v17, v20, v19, vcc
	v_cndmask_b32_e32 v16, v16, v18, vcc
	v_lshlrev_b32_e32 v6, 24, v6
	v_lshlrev_b32_e32 v16, 20, v16
	v_and_b32_e32 v6, 0x80000000, v6
	v_lshl_add_u32 v17, v17, 23, v10
	v_or3_b32 v6, v6, v17, v16
	v_lshrrev_b32_e32 v16, 16, v6
.LBB756_1172:                           ;   in Loop: Header=BB756_796 Depth=1
	s_or_b64 exec, exec, s[20:21]
.LBB756_1173:                           ;   in Loop: Header=BB756_796 Depth=1
	s_or_b64 exec, exec, s[18:19]
.LBB756_1174:                           ;   in Loop: Header=BB756_796 Depth=1
	s_or_b64 exec, exec, s[16:17]
	v_cmp_lt_u32_e32 vcc, s25, v4
	v_mov_b32_e32 v17, 0
	s_and_saveexec_b64 s[16:17], vcc
	s_cbranch_execz .LBB756_795
; %bb.1175:                             ;   in Loop: Header=BB756_796 Depth=1
	v_lshrrev_b32_e32 v6, 24, v4
	v_cmp_ne_u32_e32 vcc, s22, v6
	v_mov_b32_e32 v17, 0xffff8000
	s_and_saveexec_b64 s[18:19], vcc
	s_cbranch_execz .LBB756_794
; %bb.1176:                             ;   in Loop: Header=BB756_796 Depth=1
	v_bfe_u32 v4, v4, 24, 7
	v_cmp_ne_u32_e32 vcc, s24, v4
	v_mov_b32_e32 v17, 0x7f80
	s_and_saveexec_b64 s[20:21], vcc
	s_cbranch_execz .LBB756_793
; %bb.1177:                             ;   in Loop: Header=BB756_796 Depth=1
	v_and_b32_e32 v17, 7, v6
	v_ffbh_u32_e32 v18, v17
	v_min_u32_e32 v21, 32, v18
	v_subrev_u32_e32 v18, 28, v21
	v_lshlrev_b64 v[18:19], v18, v[6:7]
	v_lshrrev_b32_e32 v20, 3, v4
	v_sub_u32_e32 v19, 29, v21
	v_and_b32_e32 v18, 7, v18
	v_cmp_gt_u32_e32 vcc, 8, v4
	v_cndmask_b32_e32 v4, v20, v19, vcc
	v_cndmask_b32_e32 v17, v17, v18, vcc
	v_lshlrev_b32_e32 v6, 24, v6
	v_lshlrev_b32_e32 v17, 20, v17
	v_and_b32_e32 v6, 0x80000000, v6
	v_lshl_add_u32 v4, v4, 23, v10
	v_or3_b32 v4, v6, v4, v17
	v_lshrrev_b32_e32 v17, 16, v4
	s_branch .LBB756_793
.LBB756_1178:
	s_or_b64 exec, exec, s[6:7]
	v_cmp_gt_u32_e32 vcc, 64, v0
	s_waitcnt lgkmcnt(0)
	s_barrier
	s_and_saveexec_b64 s[6:7], vcc
	s_cbranch_execz .LBB756_1180
; %bb.1179:
	v_mul_u32_u24_e32 v6, 40, v1
	ds_read2_b64 v[2:5], v6 offset1:1
	ds_read2_b64 v[6:9], v6 offset0:2 offset1:3
	s_mov_b32 s5, 0
	s_lshl_b32 s4, s4, 7
	s_lshl_b64 s[6:7], s[4:5], 1
	s_waitcnt lgkmcnt(1)
	v_and_b32_e32 v10, 0xffff0000, v2
	v_lshlrev_b32_e32 v3, 16, v3
	v_add_f32_e32 v10, 0, v10
	v_add_f32_e32 v3, 0, v3
	v_and_b32_e32 v10, 0xffff0000, v10
	v_and_b32_e32 v11, 0xffff0000, v4
	;; [unrolled: 1-line block ×3, first 2 shown]
	v_add_f32_e32 v10, v10, v11
	v_lshlrev_b32_e32 v5, 16, v5
	v_and_b32_e32 v10, 0xffff0000, v10
	v_add_f32_e32 v3, v3, v5
	s_waitcnt lgkmcnt(0)
	v_and_b32_e32 v5, 0xffff0000, v6
	v_and_b32_e32 v3, 0xffff0000, v3
	v_add_f32_e32 v5, v10, v5
	v_lshlrev_b32_e32 v7, 16, v7
	v_and_b32_e32 v5, 0xffff0000, v5
	v_add_f32_e32 v3, v3, v7
	v_and_b32_e32 v7, 0xffff0000, v8
	v_add_f32_e32 v18, v5, v7
	v_mov_b32_e32 v7, 0xa00
	v_mad_u32_u24 v7, v1, 40, v7
	ds_read2_b64 v[10:13], v7 offset1:1
	v_and_b32_e32 v3, 0xffff0000, v3
	v_lshlrev_b32_e32 v5, 16, v9
	v_add_f32_e32 v9, v3, v5
	v_mov_b32_e32 v3, 0xa10
	v_mad_u32_u24 v1, v1, 40, v3
	ds_read2_b64 v[14:17], v1 offset1:1
	s_waitcnt lgkmcnt(1)
	v_lshlrev_b32_e32 v1, 16, v10
	v_add_f32_e32 v1, 0, v1
	v_and_b32_e32 v3, 0xffff0000, v10
	v_and_b32_e32 v1, 0xffff0000, v1
	v_add_f32_e32 v3, 0, v3
	v_lshlrev_b32_e32 v5, 16, v11
	v_lshlrev_b32_e32 v7, 16, v12
	v_and_b32_e32 v3, 0xffff0000, v3
	v_add_f32_e32 v5, 0, v5
	v_add_f32_e32 v1, v1, v7
	v_and_b32_e32 v7, 0xffff0000, v12
	v_and_b32_e32 v5, 0xffff0000, v5
	v_add_f32_e32 v3, v3, v7
	v_lshlrev_b32_e32 v7, 16, v13
	v_and_b32_e32 v1, 0xffff0000, v1
	v_add_f32_e32 v5, v5, v7
	s_waitcnt lgkmcnt(0)
	v_lshlrev_b32_e32 v7, 16, v14
	v_and_b32_e32 v3, 0xffff0000, v3
	v_add_f32_e32 v1, v1, v7
	v_and_b32_e32 v7, 0xffff0000, v14
	v_and_b32_e32 v5, 0xffff0000, v5
	v_add_f32_e32 v3, v3, v7
	v_lshlrev_b32_e32 v7, 16, v15
	v_and_b32_e32 v1, 0xffff0000, v1
	v_add_f32_e32 v5, v5, v7
	v_lshlrev_b32_e32 v7, 16, v16
	v_and_b32_e32 v3, 0xffff0000, v3
	v_add_f32_e32 v10, v1, v7
	v_and_b32_e32 v1, 0xffff0000, v16
	v_and_b32_e32 v5, 0xffff0000, v5
	v_add_f32_e32 v11, v3, v1
	v_lshlrev_b32_e32 v1, 16, v17
	v_add_f32_e32 v12, v5, v1
	v_lshlrev_b32_e32 v1, 16, v2
	s_add_u32 s6, s28, s6
	v_add_f32_e32 v1, 0, v1
	s_addc_u32 s7, s29, s7
	s_lshl_b32 s4, s14, 7
	v_and_b32_e32 v1, 0xffff0000, v1
	v_lshlrev_b32_e32 v2, 16, v4
	s_lshl_b64 s[4:5], s[4:5], 1
	v_add_f32_e32 v1, v1, v2
	s_add_u32 s4, s6, s4
	v_and_b32_e32 v1, 0xffff0000, v1
	v_lshlrev_b32_e32 v2, 16, v6
	s_addc_u32 s5, s7, s5
	s_lshl_b32 s6, s44, 7
	v_add_f32_e32 v1, v1, v2
	v_and_b32_e32 v1, 0xffff0000, v1
	v_lshlrev_b32_e32 v2, 16, v8
	s_mul_i32 s7, s6, s33
	v_add_f32_e32 v1, v1, v2
	v_or_b32_e32 v2, s7, v0
	v_mov_b32_e32 v3, 0
	v_lshlrev_b64 v[4:5], 1, v[2:3]
	v_mov_b32_e32 v2, s5
	v_add_co_u32_e32 v4, vcc, s4, v4
	s_add_i32 s7, s7, s6
	v_addc_co_u32_e32 v5, vcc, v2, v5, vcc
	v_or_b32_e32 v2, s7, v0
	v_lshlrev_b64 v[6:7], 1, v[2:3]
	s_add_i32 s7, s7, s6
	global_store_short_d16_hi v[4:5], v1, off
	v_mov_b32_e32 v1, s5
	v_add_co_u32_e32 v6, vcc, s4, v6
	v_or_b32_e32 v2, s7, v0
	v_addc_co_u32_e32 v7, vcc, v1, v7, vcc
	v_lshlrev_b64 v[0:1], 1, v[2:3]
	v_mov_b32_e32 v2, s5
	v_add_co_u32_e32 v0, vcc, s4, v0
	v_addc_co_u32_e32 v1, vcc, v2, v1, vcc
	global_store_short_d16_hi v[6:7], v18, off
	global_store_short_d16_hi v[0:1], v9, off
	global_store_short_d16_hi v[4:5], v10, off offset:128
	global_store_short_d16_hi v[6:7], v11, off offset:128
	;; [unrolled: 1-line block ×3, first 2 shown]
.LBB756_1180:
	s_endpgm
	.section	.rodata,"a",@progbits
	.p2align	6, 0x0
	.amdhsa_kernel _Z38paged_attention_ll4mi_QKV_mfma4_kernelI14__hip_bfloat16hLN4vllm18Fp8KVCacheDataTypeE1ES0_Li16ELi128ELi256ELb1ELi3EEvPKT_PKT0_S8_ifPKiSA_SA_iPKfiiiPfSD_PS3_PT2_iSC_SC_
		.amdhsa_group_segment_fixed_size 5280
		.amdhsa_private_segment_fixed_size 144
		.amdhsa_kernarg_size 400
		.amdhsa_user_sgpr_count 8
		.amdhsa_user_sgpr_private_segment_buffer 1
		.amdhsa_user_sgpr_dispatch_ptr 0
		.amdhsa_user_sgpr_queue_ptr 0
		.amdhsa_user_sgpr_kernarg_segment_ptr 1
		.amdhsa_user_sgpr_dispatch_id 0
		.amdhsa_user_sgpr_flat_scratch_init 1
		.amdhsa_user_sgpr_kernarg_preload_length 0
		.amdhsa_user_sgpr_kernarg_preload_offset 0
		.amdhsa_user_sgpr_private_segment_size 0
		.amdhsa_uses_dynamic_stack 0
		.amdhsa_system_sgpr_private_segment_wavefront_offset 1
		.amdhsa_system_sgpr_workgroup_id_x 1
		.amdhsa_system_sgpr_workgroup_id_y 1
		.amdhsa_system_sgpr_workgroup_id_z 1
		.amdhsa_system_sgpr_workgroup_info 0
		.amdhsa_system_vgpr_workitem_id 0
		.amdhsa_next_free_vgpr 84
		.amdhsa_next_free_sgpr 50
		.amdhsa_accum_offset 80
		.amdhsa_reserve_vcc 1
		.amdhsa_reserve_flat_scratch 0
		.amdhsa_float_round_mode_32 0
		.amdhsa_float_round_mode_16_64 0
		.amdhsa_float_denorm_mode_32 3
		.amdhsa_float_denorm_mode_16_64 3
		.amdhsa_dx10_clamp 1
		.amdhsa_ieee_mode 1
		.amdhsa_fp16_overflow 0
		.amdhsa_tg_split 0
		.amdhsa_exception_fp_ieee_invalid_op 0
		.amdhsa_exception_fp_denorm_src 0
		.amdhsa_exception_fp_ieee_div_zero 0
		.amdhsa_exception_fp_ieee_overflow 0
		.amdhsa_exception_fp_ieee_underflow 0
		.amdhsa_exception_fp_ieee_inexact 0
		.amdhsa_exception_int_div_zero 0
	.end_amdhsa_kernel
	.section	.text._Z38paged_attention_ll4mi_QKV_mfma4_kernelI14__hip_bfloat16hLN4vllm18Fp8KVCacheDataTypeE1ES0_Li16ELi128ELi256ELb1ELi3EEvPKT_PKT0_S8_ifPKiSA_SA_iPKfiiiPfSD_PS3_PT2_iSC_SC_,"axG",@progbits,_Z38paged_attention_ll4mi_QKV_mfma4_kernelI14__hip_bfloat16hLN4vllm18Fp8KVCacheDataTypeE1ES0_Li16ELi128ELi256ELb1ELi3EEvPKT_PKT0_S8_ifPKiSA_SA_iPKfiiiPfSD_PS3_PT2_iSC_SC_,comdat
.Lfunc_end756:
	.size	_Z38paged_attention_ll4mi_QKV_mfma4_kernelI14__hip_bfloat16hLN4vllm18Fp8KVCacheDataTypeE1ES0_Li16ELi128ELi256ELb1ELi3EEvPKT_PKT0_S8_ifPKiSA_SA_iPKfiiiPfSD_PS3_PT2_iSC_SC_, .Lfunc_end756-_Z38paged_attention_ll4mi_QKV_mfma4_kernelI14__hip_bfloat16hLN4vllm18Fp8KVCacheDataTypeE1ES0_Li16ELi128ELi256ELb1ELi3EEvPKT_PKT0_S8_ifPKiSA_SA_iPKfiiiPfSD_PS3_PT2_iSC_SC_
                                        ; -- End function
	.section	.AMDGPU.csdata,"",@progbits
; Kernel info:
; codeLenInByte = 42900
; NumSgprs: 54
; NumVgprs: 80
; NumAgprs: 4
; TotalNumVgprs: 84
; ScratchSize: 144
; MemoryBound: 0
; FloatMode: 240
; IeeeMode: 1
; LDSByteSize: 5280 bytes/workgroup (compile time only)
; SGPRBlocks: 6
; VGPRBlocks: 10
; NumSGPRsForWavesPerEU: 54
; NumVGPRsForWavesPerEU: 84
; AccumOffset: 80
; Occupancy: 5
; WaveLimiterHint : 1
; COMPUTE_PGM_RSRC2:SCRATCH_EN: 1
; COMPUTE_PGM_RSRC2:USER_SGPR: 8
; COMPUTE_PGM_RSRC2:TRAP_HANDLER: 0
; COMPUTE_PGM_RSRC2:TGID_X_EN: 1
; COMPUTE_PGM_RSRC2:TGID_Y_EN: 1
; COMPUTE_PGM_RSRC2:TGID_Z_EN: 1
; COMPUTE_PGM_RSRC2:TIDIG_COMP_CNT: 0
; COMPUTE_PGM_RSRC3_GFX90A:ACCUM_OFFSET: 19
; COMPUTE_PGM_RSRC3_GFX90A:TG_SPLIT: 0
	.section	.text._Z38paged_attention_ll4mi_QKV_mfma4_kernelI14__hip_bfloat16hLN4vllm18Fp8KVCacheDataTypeE1ES0_Li16ELi128ELi256ELb1ELi4EEvPKT_PKT0_S8_ifPKiSA_SA_iPKfiiiPfSD_PS3_PT2_iSC_SC_,"axG",@progbits,_Z38paged_attention_ll4mi_QKV_mfma4_kernelI14__hip_bfloat16hLN4vllm18Fp8KVCacheDataTypeE1ES0_Li16ELi128ELi256ELb1ELi4EEvPKT_PKT0_S8_ifPKiSA_SA_iPKfiiiPfSD_PS3_PT2_iSC_SC_,comdat
	.protected	_Z38paged_attention_ll4mi_QKV_mfma4_kernelI14__hip_bfloat16hLN4vllm18Fp8KVCacheDataTypeE1ES0_Li16ELi128ELi256ELb1ELi4EEvPKT_PKT0_S8_ifPKiSA_SA_iPKfiiiPfSD_PS3_PT2_iSC_SC_ ; -- Begin function _Z38paged_attention_ll4mi_QKV_mfma4_kernelI14__hip_bfloat16hLN4vllm18Fp8KVCacheDataTypeE1ES0_Li16ELi128ELi256ELb1ELi4EEvPKT_PKT0_S8_ifPKiSA_SA_iPKfiiiPfSD_PS3_PT2_iSC_SC_
	.globl	_Z38paged_attention_ll4mi_QKV_mfma4_kernelI14__hip_bfloat16hLN4vllm18Fp8KVCacheDataTypeE1ES0_Li16ELi128ELi256ELb1ELi4EEvPKT_PKT0_S8_ifPKiSA_SA_iPKfiiiPfSD_PS3_PT2_iSC_SC_
	.p2align	8
	.type	_Z38paged_attention_ll4mi_QKV_mfma4_kernelI14__hip_bfloat16hLN4vllm18Fp8KVCacheDataTypeE1ES0_Li16ELi128ELi256ELb1ELi4EEvPKT_PKT0_S8_ifPKiSA_SA_iPKfiiiPfSD_PS3_PT2_iSC_SC_,@function
_Z38paged_attention_ll4mi_QKV_mfma4_kernelI14__hip_bfloat16hLN4vllm18Fp8KVCacheDataTypeE1ES0_Li16ELi128ELi256ELb1ELi4EEvPKT_PKT0_S8_ifPKiSA_SA_iPKfiiiPfSD_PS3_PT2_iSC_SC_: ; @_Z38paged_attention_ll4mi_QKV_mfma4_kernelI14__hip_bfloat16hLN4vllm18Fp8KVCacheDataTypeE1ES0_Li16ELi128ELi256ELb1ELi4EEvPKT_PKT0_S8_ifPKiSA_SA_iPKfiiiPfSD_PS3_PT2_iSC_SC_
; %bb.0:
	s_load_dwordx2 s[20:21], s[4:5], 0x30
	s_add_u32 s0, s0, s11
	s_addc_u32 s1, s1, 0
	s_mov_b32 s28, s9
	s_mov_b64 s[6:7], 0
	s_waitcnt lgkmcnt(0)
	s_cmp_lg_u64 s[20:21], 0
	s_cselect_b64 s[22:23], -1, 0
	s_and_b64 vcc, exec, s[22:23]
	s_cbranch_vccz .LBB757_1170
; %bb.1:
	s_add_i32 s12, s8, 1
	s_mov_b32 s13, 0
	s_lshl_b64 s[14:15], s[12:13], 2
	s_add_u32 s14, s20, s14
	s_mov_b32 s9, s13
	s_addc_u32 s15, s21, s15
	s_lshl_b64 s[12:13], s[8:9], 2
	s_add_u32 s12, s20, s12
	s_addc_u32 s13, s21, s13
	s_load_dword s11, s[14:15], 0x0
	s_load_dword s16, s[12:13], 0x0
	s_mov_b64 s[38:39], s[8:9]
	s_waitcnt lgkmcnt(0)
	s_sub_i32 s11, s11, s16
	s_cmp_eq_u32 s11, 1
	s_cselect_b64 s[12:13], -1, 0
	s_andn2_b64 vcc, exec, s[6:7]
	s_cbranch_vccnz .LBB757_3
.LBB757_2:
	s_mov_b32 s9, 0
	s_mov_b64 s[12:13], -1
	s_mov_b64 s[38:39], s[8:9]
.LBB757_3:
	s_andn2_b64 vcc, exec, s[12:13]
	s_cbranch_vccnz .LBB757_1173
; %bb.4:
	s_load_dword s9, s[4:5], 0x9c
	s_load_dwordx2 s[6:7], s[4:5], 0x28
	s_add_u32 s34, s4, 0x90
	s_addc_u32 s35, s5, 0
	s_lshl_b64 s[40:41], s[38:39], 2
	s_waitcnt lgkmcnt(0)
	s_and_b32 s11, s9, 0xffff
	s_add_u32 s6, s6, s40
	s_addc_u32 s7, s7, s41
	s_load_dword s9, s[6:7], 0x0
	s_mul_i32 s11, s28, s11
	s_waitcnt lgkmcnt(0)
	s_cmp_ge_i32 s11, s9
	s_cbranch_scc1 .LBB757_1173
; %bb.5:
	v_and_b32_e32 v1, 0xc0, v0
	v_and_b32_e32 v44, 3, v0
	s_lshl_b32 s33, s10, 2
	v_add_u32_e32 v7, s11, v1
	v_lshrrev_b32_e32 v43, 6, v0
	v_cmp_le_i32_e64 s[6:7], s9, v7
	v_or_b32_e32 v38, s33, v44
                                        ; implicit-def: $sgpr25
                                        ; implicit-def: $sgpr24
	s_and_saveexec_b64 s[12:13], s[6:7]
	s_xor_b64 s[12:13], exec, s[12:13]
	s_cbranch_execz .LBB757_7
; %bb.6:
	v_mul_u32_u24_e32 v1, 20, v43
	v_or_b32_e32 v1, 0x1400, v1
	v_mov_b32_e32 v2, 0x1450
	v_mov_b32_e32 v3, 0xff7fffff
	v_mad_u32_u24 v2, v43, 20, v2
	ds_write2_b32 v1, v3, v3 offset1:1
	v_mov_b32_e32 v1, 0
	ds_write2_b32 v2, v1, v1 offset1:1
	v_mov_b32_e32 v2, 0x1408
	s_mov_b32 s24, 0xff7fffff
	s_mov_b32 s25, 0
	v_mad_u32_u24 v2, v43, 20, v2
	v_mov_b32_e32 v4, 0x1458
	v_or_b32_e32 v38, s33, v44
	v_mad_u32_u24 v4, v43, 20, v4
	ds_write2_b32 v2, v3, v3 offset1:1
	ds_write2_b32 v4, v1, v1 offset1:1
                                        ; implicit-def: $vgpr7
.LBB757_7:
	s_or_saveexec_b64 s[36:37], s[12:13]
	s_load_dwordx2 s[30:31], s[4:5], 0x68
	s_load_dwordx4 s[16:19], s[4:5], 0x58
	s_load_dword s48, s[34:35], 0x4
	s_load_dwordx4 s[12:15], s[4:5], 0x80
	v_and_b32_e32 v1, 63, v0
	v_mov_b32_e32 v5, s25
	v_mov_b32_e32 v6, s24
	;; [unrolled: 1-line block ×5, first 2 shown]
	s_xor_b64 exec, exec, s[36:37]
	s_cbranch_execz .LBB757_781
; %bb.8:
	s_add_i32 s27, s9, 15
	s_ashr_i32 s29, s27, 31
	s_load_dwordx2 s[24:25], s[4:5], 0x20
	s_load_dword s26, s[4:5], 0x38
	s_lshr_b32 s29, s29, 28
	v_add_u32_e32 v45, s11, v0
	s_add_i32 s27, s27, s29
	v_ashrrev_i32_e32 v2, 31, v45
	s_ashr_i32 s27, s27, 4
	v_lshrrev_b32_e32 v2, 28, v2
	s_add_i32 s29, s27, -1
	v_add_u32_e32 v2, v45, v2
	v_ashrrev_i32_e32 v2, 4, v2
	v_mov_b32_e32 v3, s29
	v_cmp_gt_i32_e32 vcc, s9, v45
	s_waitcnt lgkmcnt(0)
	s_mul_i32 s44, s8, s26
	s_mov_b32 s45, 0
	v_cndmask_b32_e32 v2, v3, v2, vcc
	s_lshl_b64 s[26:27], s[44:45], 2
	v_ashrrev_i32_e32 v3, 31, v2
	s_add_u32 s24, s24, s26
	v_lshlrev_b64 v[2:3], 2, v[2:3]
	v_add_co_u32_e32 v8, vcc, s24, v2
	v_ashrrev_i32_e32 v2, 31, v7
	s_addc_u32 s25, s25, s27
	v_lshrrev_b32_e32 v2, 28, v2
	v_mov_b32_e32 v4, s25
	v_add_u32_e32 v2, v7, v2
	v_addc_co_u32_e32 v9, vcc, v4, v3, vcc
	v_ashrrev_i32_e32 v4, 4, v2
	v_min_i32_e32 v2, s29, v4
	v_ashrrev_i32_e32 v3, 31, v2
	v_lshlrev_b64 v[2:3], 2, v[2:3]
	v_add_co_u32_e32 v10, vcc, s24, v2
	v_add_u32_e32 v2, 1, v4
	v_mov_b32_e32 v5, s25
	v_min_i32_e32 v2, s29, v2
	v_addc_co_u32_e32 v11, vcc, v5, v3, vcc
	v_ashrrev_i32_e32 v3, 31, v2
	v_lshlrev_b64 v[2:3], 2, v[2:3]
	v_add_co_u32_e32 v12, vcc, s24, v2
	v_add_u32_e32 v2, 2, v4
	v_min_i32_e32 v2, s29, v2
	v_addc_co_u32_e32 v13, vcc, v5, v3, vcc
	v_ashrrev_i32_e32 v3, 31, v2
	v_lshlrev_b64 v[2:3], 2, v[2:3]
	v_add_co_u32_e32 v14, vcc, s24, v2
	v_add_u32_e32 v2, 3, v4
	v_min_i32_e32 v2, s29, v2
	v_addc_co_u32_e32 v15, vcc, v5, v3, vcc
	v_ashrrev_i32_e32 v3, 31, v2
	v_lshlrev_b64 v[2:3], 2, v[2:3]
	v_mov_b32_e32 v4, s25
	v_add_co_u32_e32 v16, vcc, s24, v2
	v_addc_co_u32_e32 v17, vcc, v4, v3, vcc
	global_load_dword v7, v[8:9], off
	global_load_dword v4, v[10:11], off
	;; [unrolled: 1-line block ×5, first 2 shown]
	s_load_dwordx2 s[42:43], s[4:5], 0x40
	s_load_dwordx4 s[24:27], s[4:5], 0x0
	s_load_dwordx2 s[46:47], s[4:5], 0x10
	s_andn2_b64 vcc, exec, s[22:23]
	s_cbranch_vccnz .LBB757_10
; %bb.9:
	s_add_u32 s20, s20, s40
	s_addc_u32 s21, s21, s41
	s_load_dword s44, s[20:21], 0x0
	s_waitcnt lgkmcnt(0)
	s_mov_b64 s[38:39], s[44:45]
.LBB757_10:
	s_load_dwordx4 s[20:23], s[4:5], 0x48
	v_mov_b32_e32 v39, 0
	v_mov_b32_e32 v9, v39
	v_lshlrev_b32_e32 v42, 4, v1
	v_mov_b32_e32 v13, v39
	s_waitcnt lgkmcnt(0)
	s_ashr_i32 s11, s20, 31
	s_mul_hi_u32 s23, s38, s20
	s_mul_i32 s11, s38, s11
	s_mul_i32 s29, s39, s20
	s_add_i32 s11, s23, s11
	s_mul_i32 s40, s38, s20
	s_add_i32 s41, s11, s29
	s_lshl_b64 s[38:39], s[40:41], 1
	s_add_u32 s11, s24, s38
	s_addc_u32 s20, s25, s39
	s_lshl_b32 s44, s10, 9
	s_lshl_b64 s[24:25], s[44:45], 1
	s_add_u32 s24, s11, s24
	s_addc_u32 s25, s20, s25
	s_mul_i32 s20, s10, s22
	s_waitcnt vmcnt(3)
	v_mul_hi_i32 v5, v4, s21
	s_add_u32 s10, s20, s26
	v_ashrrev_i32_e32 v5, 31, v5
	s_addc_u32 s11, 0, s27
	v_lshrrev_b32_e32 v8, 29, v5
	s_add_u32 s20, s46, s20
	v_mad_i64_i32 v[4:5], s[22:23], v4, s21, v[8:9]
	s_addc_u32 s26, s47, 0
	v_and_b32_e32 v4, -8, v4
	v_mov_b32_e32 v8, s26
	v_add_co_u32_e32 v4, vcc, s20, v4
	v_addc_co_u32_e32 v5, vcc, v8, v5, vcc
	v_add_co_u32_e32 v4, vcc, v4, v42
	v_addc_co_u32_e32 v5, vcc, 0, v5, vcc
	global_load_dwordx4 v[8:11], v[4:5], off
	global_load_dwordx4 v[46:49], v[4:5], off offset:1024
	s_waitcnt vmcnt(4)
	v_mul_hi_i32 v4, v3, s21
	v_ashrrev_i32_e32 v4, 31, v4
	v_lshrrev_b32_e32 v4, 29, v4
	v_mov_b32_e32 v5, v39
	v_mad_i64_i32 v[4:5], s[22:23], v3, s21, v[4:5]
	v_and_b32_e32 v3, -8, v4
	v_mov_b32_e32 v4, s26
	v_add_co_u32_e32 v3, vcc, s20, v3
	v_addc_co_u32_e32 v5, vcc, v4, v5, vcc
	v_add_co_u32_e32 v4, vcc, v3, v42
	s_waitcnt vmcnt(3)
	v_mul_hi_i32 v3, v2, s21
	v_ashrrev_i32_e32 v3, 31, v3
	v_lshrrev_b32_e32 v12, 29, v3
	v_mad_i64_i32 v[2:3], s[22:23], v2, s21, v[12:13]
	v_addc_co_u32_e32 v5, vcc, 0, v5, vcc
	v_and_b32_e32 v2, -8, v2
	v_mov_b32_e32 v12, s26
	v_add_co_u32_e32 v2, vcc, s20, v2
	v_addc_co_u32_e32 v3, vcc, v12, v3, vcc
	global_load_dwordx4 v[50:53], v[4:5], off
	global_load_dwordx4 v[54:57], v[4:5], off offset:1024
	v_add_co_u32_e32 v12, vcc, v2, v42
	v_addc_co_u32_e32 v13, vcc, 0, v3, vcc
	global_load_dwordx4 v[58:61], v[12:13], off
	v_lshlrev_b32_e32 v2, 2, v1
	v_lshlrev_b32_e32 v3, 4, v0
	v_and_b32_e32 v5, 0xf0, v2
	v_and_b32_e32 v16, 0xf0, v3
	v_lshlrev_b64 v[2:3], 2, v[38:39]
	v_mov_b32_e32 v4, s43
	v_add_co_u32_e32 v40, vcc, s42, v2
	v_pk_mov_b32 v[14:15], s[10:11], s[10:11] op_sel:[0,1]
	v_addc_co_u32_e32 v41, vcc, v4, v3, vcc
	v_mad_i64_i32 v[14:15], s[10:11], v7, s21, v[14:15]
	v_add_co_u32_e32 v70, vcc, v14, v16
	s_waitcnt vmcnt(5)
	v_mul_hi_i32 v7, v6, s21
	v_lshl_or_b32 v5, v44, 8, v5
	v_addc_co_u32_e32 v71, vcc, 0, v15, vcc
	v_ashrrev_i32_e32 v7, 31, v7
	global_load_dwordx4 v[2:5], v5, s[24:25]
	s_nop 0
	global_load_dwordx4 v[34:37], v[70:71], off
	global_load_dwordx4 v[30:33], v[70:71], off offset:256
	global_load_dwordx4 v[26:29], v[70:71], off offset:512
	global_load_dwordx4 v[22:25], v[70:71], off offset:768
	global_load_dwordx4 v[18:21], v[70:71], off offset:1024
	s_waitcnt vmcnt(10)
	buffer_store_dword v9, off, s[0:3], 0 offset:4
	buffer_store_dword v8, off, s[0:3], 0
	buffer_store_dword v11, off, s[0:3], 0 offset:12
	buffer_store_dword v10, off, s[0:3], 0 offset:8
	v_lshrrev_b32_e32 v8, 29, v7
	v_mov_b32_e32 v9, v39
	v_mad_i64_i32 v[6:7], s[10:11], v6, s21, v[8:9]
	v_and_b32_e32 v6, -8, v6
	v_mov_b32_e32 v8, s26
	v_add_co_u32_e32 v6, vcc, s20, v6
	v_addc_co_u32_e32 v7, vcc, v8, v7, vcc
	global_load_dwordx4 v[14:17], v[70:71], off offset:1280
	s_waitcnt vmcnt(14)
	buffer_store_dword v47, off, s[0:3], 0 offset:68
	buffer_store_dword v46, off, s[0:3], 0 offset:64
	;; [unrolled: 1-line block ×4, first 2 shown]
	v_add_co_u32_e32 v6, vcc, v6, v42
	global_load_dwordx4 v[62:65], v[12:13], off offset:1024
	v_addc_co_u32_e32 v7, vcc, 0, v7, vcc
	s_waitcnt vmcnt(18)
	buffer_store_dword v51, off, s[0:3], 0 offset:20
	buffer_store_dword v50, off, s[0:3], 0 offset:16
	;; [unrolled: 1-line block ×4, first 2 shown]
	global_load_dwordx4 v[48:51], v[6:7], off
	s_nop 0
	global_load_dwordx4 v[66:69], v[6:7], off offset:1024
	s_waitcnt vmcnt(23)
	buffer_store_dword v55, off, s[0:3], 0 offset:84
	buffer_store_dword v54, off, s[0:3], 0 offset:80
	;; [unrolled: 1-line block ×4, first 2 shown]
	global_load_dwordx4 v[10:13], v[70:71], off offset:1536
	s_waitcnt vmcnt(27)
	buffer_store_dword v59, off, s[0:3], 0 offset:36
	buffer_store_dword v58, off, s[0:3], 0 offset:32
	buffer_store_dword v61, off, s[0:3], 0 offset:44
	buffer_store_dword v60, off, s[0:3], 0 offset:40
	global_load_dwordx4 v[6:9], v[70:71], off offset:1792
	global_load_dword v46, v[40:41], off
	v_mov_b32_e32 v47, 0
	s_waitcnt vmcnt(17)
	buffer_store_dword v63, off, s[0:3], 0 offset:100
	buffer_store_dword v62, off, s[0:3], 0 offset:96
	buffer_store_dword v65, off, s[0:3], 0 offset:108
	buffer_store_dword v64, off, s[0:3], 0 offset:104
	s_waitcnt vmcnt(16)
	buffer_store_dword v49, off, s[0:3], 0 offset:52
	buffer_store_dword v48, off, s[0:3], 0 offset:48
	buffer_store_dword v51, off, s[0:3], 0 offset:60
	buffer_store_dword v50, off, s[0:3], 0 offset:56
	;; [unrolled: 5-line block ×3, first 2 shown]
	v_cmp_ne_u16_sdwa s[20:21], v34, v39 src0_sel:BYTE_0 src1_sel:DWORD
	s_and_saveexec_b64 s[10:11], s[20:21]
	s_cbranch_execz .LBB757_16
; %bb.11:
	s_movk_i32 s20, 0x80
	v_cmp_ne_u16_sdwa s[22:23], v34, s20 src0_sel:BYTE_0 src1_sel:DWORD
	v_mov_b32_e32 v47, 0xffff8000
	s_and_saveexec_b64 s[20:21], s[22:23]
	s_cbranch_execz .LBB757_15
; %bb.12:
	s_movk_i32 s22, 0x7f
	v_and_b32_e32 v40, 0x7f, v34
	v_cmp_ne_u32_e32 vcc, s22, v40
	v_mov_b32_e32 v47, 0x7f80
	s_and_saveexec_b64 s[22:23], vcc
	s_cbranch_execz .LBB757_14
; %bb.13:
	v_and_b32_e32 v41, 7, v34
	v_ffbh_u32_e32 v41, v41
	v_min_u32_e32 v41, 32, v41
	v_subrev_u32_e32 v47, 28, v41
	v_cmp_gt_u32_e32 vcc, 8, v40
	v_lshrrev_b32_e32 v42, 3, v40
	v_sub_u32_e32 v41, 29, v41
	v_cndmask_b32_e32 v40, 0, v47, vcc
	v_cndmask_b32_e32 v42, v42, v41, vcc
	v_lshlrev_b64 v[40:41], v40, v[34:35]
	v_lshlrev_b32_e32 v40, 20, v40
	v_lshlrev_b32_e32 v41, 24, v34
	v_bfrev_b32_e32 v47, 60
	v_and_b32_e32 v40, 0x700000, v40
	v_and_b32_e32 v41, 0x80000000, v41
	v_lshl_add_u32 v42, v42, 23, v47
	v_or3_b32 v40, v41, v42, v40
	v_lshrrev_b32_e32 v47, 16, v40
.LBB757_14:
	s_or_b64 exec, exec, s[22:23]
.LBB757_15:
	s_or_b64 exec, exec, s[20:21]
.LBB757_16:
	s_or_b64 exec, exec, s[10:11]
	v_lshrrev_b16_e32 v40, 8, v34
	v_cmp_ne_u16_e32 vcc, 0, v40
	s_and_saveexec_b64 s[10:11], vcc
	s_cbranch_execz .LBB757_22
; %bb.17:
	s_movk_i32 s20, 0x80
	v_cmp_ne_u16_sdwa s[22:23], v34, s20 src0_sel:BYTE_1 src1_sel:DWORD
	v_mov_b32_e32 v39, 0xffff8000
	s_and_saveexec_b64 s[20:21], s[22:23]
	s_cbranch_execz .LBB757_21
; %bb.18:
	s_movk_i32 s22, 0x7f
	v_and_b32_e32 v41, 0x7f, v40
	v_cmp_ne_u32_e32 vcc, s22, v41
	v_mov_b32_e32 v39, 0x7f80
	s_and_saveexec_b64 s[22:23], vcc
	s_cbranch_execz .LBB757_20
; %bb.19:
	v_and_b32_e32 v39, 7, v40
	v_ffbh_u32_e32 v48, v39
	v_min_u32_e32 v50, 32, v48
	v_subrev_u32_e32 v48, 28, v50
	v_lshlrev_b64 v[48:49], v48, v[40:41]
	v_lshrrev_b32_e32 v42, 3, v41
	v_sub_u32_e32 v40, 29, v50
	v_and_b32_e32 v48, 7, v48
	v_cmp_gt_u32_e32 vcc, 8, v41
	v_cndmask_b32_e32 v40, v42, v40, vcc
	v_cndmask_b32_e32 v39, v39, v48, vcc
	v_lshlrev_b32_e32 v41, 16, v34
	v_bfrev_b32_e32 v42, 60
	v_lshlrev_b32_e32 v39, 20, v39
	v_and_b32_e32 v41, 0x80000000, v41
	v_lshl_add_u32 v40, v40, 23, v42
	v_or3_b32 v39, v41, v40, v39
	v_lshrrev_b32_e32 v39, 16, v39
.LBB757_20:
	s_or_b64 exec, exec, s[22:23]
.LBB757_21:
	s_or_b64 exec, exec, s[20:21]
.LBB757_22:
	s_or_b64 exec, exec, s[10:11]
	s_movk_i32 s10, 0xff
	v_and_b32_sdwa v42, v34, s10 dst_sel:DWORD dst_unused:UNUSED_PAD src0_sel:WORD_1 src1_sel:DWORD
	v_lshrrev_b32_e32 v40, 16, v34
	v_cmp_ne_u16_e32 vcc, 0, v42
	v_mov_b32_e32 v41, 0
	v_mov_b32_e32 v48, 0
	s_and_saveexec_b64 s[10:11], vcc
	s_cbranch_execz .LBB757_28
; %bb.23:
	s_movk_i32 s20, 0x80
	v_cmp_ne_u16_e32 vcc, s20, v42
	v_mov_b32_e32 v48, 0xffff8000
	s_and_saveexec_b64 s[20:21], vcc
	s_cbranch_execz .LBB757_27
; %bb.24:
	v_bfe_u32 v42, v34, 16, 7
	s_movk_i32 s22, 0x7f
	v_cmp_ne_u32_e32 vcc, s22, v42
	v_mov_b32_e32 v48, 0x7f80
	s_and_saveexec_b64 s[22:23], vcc
	s_cbranch_execz .LBB757_26
; %bb.25:
	v_and_b32_e32 v50, 7, v40
	v_ffbh_u32_e32 v48, v50
	v_min_u32_e32 v52, 32, v48
	v_subrev_u32_e32 v48, 28, v52
	v_lshlrev_b64 v[48:49], v48, v[40:41]
	v_and_b32_e32 v48, 7, v48
	v_cmp_gt_u32_e32 vcc, 8, v42
	v_lshrrev_b32_e32 v51, 3, v42
	v_sub_u32_e32 v40, 29, v52
	v_cndmask_b32_e32 v42, v50, v48, vcc
	v_mov_b32_e32 v48, 24
	v_cndmask_b32_e32 v40, v51, v40, vcc
	v_lshlrev_b32_sdwa v48, v48, v34 dst_sel:DWORD dst_unused:UNUSED_PAD src0_sel:DWORD src1_sel:WORD_1
	v_bfrev_b32_e32 v49, 60
	v_lshlrev_b32_e32 v42, 20, v42
	v_and_b32_e32 v48, 0x80000000, v48
	v_lshl_add_u32 v40, v40, 23, v49
	v_or3_b32 v40, v48, v40, v42
	v_lshrrev_b32_e32 v48, 16, v40
.LBB757_26:
	s_or_b64 exec, exec, s[22:23]
.LBB757_27:
	s_or_b64 exec, exec, s[20:21]
.LBB757_28:
	s_or_b64 exec, exec, s[10:11]
	s_mov_b32 s10, 0xffffff
	v_cmp_lt_u32_e32 vcc, s10, v34
	v_mov_b32_e32 v49, 0
	s_and_saveexec_b64 s[10:11], vcc
	s_cbranch_execz .LBB757_34
; %bb.29:
	v_lshrrev_b32_e32 v40, 24, v34
	s_movk_i32 s20, 0x80
	v_cmp_ne_u32_e32 vcc, s20, v40
	v_mov_b32_e32 v49, 0xffff8000
	s_and_saveexec_b64 s[20:21], vcc
	s_cbranch_execz .LBB757_33
; %bb.30:
	v_bfe_u32 v42, v34, 24, 7
	s_movk_i32 s22, 0x7f
	v_cmp_ne_u32_e32 vcc, s22, v42
	v_mov_b32_e32 v49, 0x7f80
	s_and_saveexec_b64 s[22:23], vcc
	s_cbranch_execz .LBB757_32
; %bb.31:
	v_and_b32_e32 v49, 7, v40
	v_ffbh_u32_e32 v50, v49
	v_min_u32_e32 v53, 32, v50
	v_subrev_u32_e32 v50, 28, v53
	v_lshlrev_b64 v[50:51], v50, v[40:41]
	v_lshrrev_b32_e32 v52, 3, v42
	v_sub_u32_e32 v51, 29, v53
	v_and_b32_e32 v50, 7, v50
	v_cmp_gt_u32_e32 vcc, 8, v42
	v_cndmask_b32_e32 v42, v52, v51, vcc
	v_cndmask_b32_e32 v49, v49, v50, vcc
	v_lshlrev_b32_e32 v40, 24, v40
	v_bfrev_b32_e32 v50, 60
	v_lshlrev_b32_e32 v49, 20, v49
	v_and_b32_e32 v40, 0x80000000, v40
	v_lshl_add_u32 v42, v42, 23, v50
	v_or3_b32 v40, v40, v42, v49
	v_lshrrev_b32_e32 v49, 16, v40
.LBB757_32:
	s_or_b64 exec, exec, s[22:23]
.LBB757_33:
	s_or_b64 exec, exec, s[20:21]
.LBB757_34:
	s_or_b64 exec, exec, s[10:11]
	v_mov_b32_e32 v50, 0
	v_mov_b32_e32 v40, v35
	v_cmp_ne_u16_sdwa s[20:21], v35, v50 src0_sel:BYTE_0 src1_sel:DWORD
	v_mov_b32_e32 v51, 0
	s_and_saveexec_b64 s[10:11], s[20:21]
	s_cbranch_execz .LBB757_40
; %bb.35:
	s_movk_i32 s20, 0x80
	v_cmp_ne_u16_sdwa s[22:23], v35, s20 src0_sel:BYTE_0 src1_sel:DWORD
	v_mov_b32_e32 v51, 0xffff8000
	s_and_saveexec_b64 s[20:21], s[22:23]
	s_cbranch_execz .LBB757_39
; %bb.36:
	s_movk_i32 s22, 0x7f
	v_and_b32_e32 v42, 0x7f, v35
	v_cmp_ne_u32_e32 vcc, s22, v42
	v_mov_b32_e32 v51, 0x7f80
	s_and_saveexec_b64 s[22:23], vcc
	s_cbranch_execz .LBB757_38
; %bb.37:
	v_and_b32_e32 v51, 7, v35
	v_ffbh_u32_e32 v51, v51
	v_min_u32_e32 v51, 32, v51
	v_lshrrev_b32_e32 v52, 3, v42
	v_subrev_u32_e32 v53, 28, v51
	v_sub_u32_e32 v51, 29, v51
	v_cmp_gt_u32_e32 vcc, 8, v42
	v_cndmask_b32_e32 v42, v52, v51, vcc
	v_cndmask_b32_e32 v51, 0, v53, vcc
	v_lshlrev_b64 v[52:53], v51, v[40:41]
	v_lshlrev_b32_e32 v41, 20, v52
	v_lshlrev_b32_e32 v51, 24, v40
	v_bfrev_b32_e32 v52, 60
	v_and_b32_e32 v41, 0x700000, v41
	v_and_b32_e32 v51, 0x80000000, v51
	v_lshl_add_u32 v42, v42, 23, v52
	v_or3_b32 v41, v51, v42, v41
	v_lshrrev_b32_e32 v51, 16, v41
.LBB757_38:
	s_or_b64 exec, exec, s[22:23]
.LBB757_39:
	s_or_b64 exec, exec, s[20:21]
.LBB757_40:
	s_or_b64 exec, exec, s[10:11]
	v_lshrrev_b16_e32 v42, 8, v40
	v_cmp_ne_u16_e32 vcc, 0, v42
	s_and_saveexec_b64 s[10:11], vcc
	s_cbranch_execz .LBB757_46
; %bb.41:
	s_movk_i32 s20, 0x80
	v_cmp_ne_u16_e32 vcc, s20, v42
	v_mov_b32_e32 v50, 0xffff8000
	s_and_saveexec_b64 s[20:21], vcc
	s_cbranch_execz .LBB757_45
; %bb.42:
	s_movk_i32 s22, 0x7f
	v_and_b32_e32 v41, 0x7f, v42
	v_cmp_ne_u32_e32 vcc, s22, v41
	v_mov_b32_e32 v50, 0x7f80
	s_and_saveexec_b64 s[22:23], vcc
	s_cbranch_execz .LBB757_44
; %bb.43:
	v_and_b32_e32 v50, 7, v42
	v_ffbh_u32_e32 v52, v50
	v_min_u32_e32 v55, 32, v52
	v_subrev_u32_e32 v52, 28, v55
	v_lshlrev_b64 v[52:53], v52, v[42:43]
	v_lshrrev_b32_e32 v54, 3, v41
	v_sub_u32_e32 v42, 29, v55
	v_and_b32_e32 v52, 7, v52
	v_cmp_gt_u32_e32 vcc, 8, v41
	v_cndmask_b32_e32 v41, v54, v42, vcc
	v_cndmask_b32_e32 v42, v50, v52, vcc
	v_lshlrev_b32_e32 v40, 16, v40
	v_bfrev_b32_e32 v50, 60
	v_lshlrev_b32_e32 v42, 20, v42
	v_and_b32_e32 v40, 0x80000000, v40
	v_lshl_add_u32 v41, v41, 23, v50
	v_or3_b32 v40, v40, v41, v42
	v_lshrrev_b32_e32 v50, 16, v40
.LBB757_44:
	s_or_b64 exec, exec, s[22:23]
.LBB757_45:
	s_or_b64 exec, exec, s[20:21]
.LBB757_46:
	s_or_b64 exec, exec, s[10:11]
	s_movk_i32 s10, 0xff
	v_and_b32_sdwa v52, v35, s10 dst_sel:DWORD dst_unused:UNUSED_PAD src0_sel:WORD_1 src1_sel:DWORD
	v_lshrrev_b32_e32 v40, 16, v35
	v_cmp_ne_u16_e32 vcc, 0, v52
	v_mov_b32_e32 v41, 0
	v_mov_b32_e32 v42, 0
	s_and_saveexec_b64 s[10:11], vcc
	s_cbranch_execz .LBB757_52
; %bb.47:
	s_movk_i32 s20, 0x80
	v_cmp_ne_u16_e32 vcc, s20, v52
	v_mov_b32_e32 v42, 0xffff8000
	s_and_saveexec_b64 s[20:21], vcc
	s_cbranch_execz .LBB757_51
; %bb.48:
	v_bfe_u32 v52, v35, 16, 7
	s_movk_i32 s22, 0x7f
	v_cmp_ne_u32_e32 vcc, s22, v52
	v_mov_b32_e32 v42, 0x7f80
	s_and_saveexec_b64 s[22:23], vcc
	s_cbranch_execz .LBB757_50
; %bb.49:
	v_and_b32_e32 v42, 7, v40
	v_ffbh_u32_e32 v54, v42
	v_min_u32_e32 v56, 32, v54
	v_subrev_u32_e32 v54, 28, v56
	v_lshlrev_b64 v[54:55], v54, v[40:41]
	v_lshrrev_b32_e32 v53, 3, v52
	v_sub_u32_e32 v40, 29, v56
	v_and_b32_e32 v54, 7, v54
	v_cmp_gt_u32_e32 vcc, 8, v52
	v_mov_b32_e32 v52, 24
	v_cndmask_b32_e32 v40, v53, v40, vcc
	v_cndmask_b32_e32 v42, v42, v54, vcc
	v_lshlrev_b32_sdwa v52, v52, v35 dst_sel:DWORD dst_unused:UNUSED_PAD src0_sel:DWORD src1_sel:WORD_1
	v_bfrev_b32_e32 v53, 60
	v_lshlrev_b32_e32 v42, 20, v42
	v_and_b32_e32 v52, 0x80000000, v52
	v_lshl_add_u32 v40, v40, 23, v53
	v_or3_b32 v40, v52, v40, v42
	v_lshrrev_b32_e32 v42, 16, v40
.LBB757_50:
	s_or_b64 exec, exec, s[22:23]
.LBB757_51:
	s_or_b64 exec, exec, s[20:21]
.LBB757_52:
	s_or_b64 exec, exec, s[10:11]
	s_mov_b32 s10, -1
	s_mov_b32 s11, 0xffffff
	v_cmp_lt_u64_e32 vcc, s[10:11], v[34:35]
	s_and_saveexec_b64 s[10:11], vcc
	s_cbranch_execz .LBB757_58
; %bb.53:
	v_lshrrev_b32_e32 v34, 24, v35
	s_movk_i32 s20, 0x80
	v_cmp_ne_u32_e32 vcc, s20, v34
	v_mov_b32_e32 v41, 0xffff8000
	s_and_saveexec_b64 s[20:21], vcc
	s_cbranch_execz .LBB757_57
; %bb.54:
	v_bfe_u32 v35, v35, 24, 7
	s_movk_i32 s22, 0x7f
	v_cmp_ne_u32_e32 vcc, s22, v35
	v_mov_b32_e32 v41, 0x7f80
	s_and_saveexec_b64 s[22:23], vcc
	s_cbranch_execz .LBB757_56
; %bb.55:
	v_and_b32_e32 v52, 7, v34
	v_ffbh_u32_e32 v40, v52
	v_min_u32_e32 v54, 32, v40
	v_subrev_u32_e32 v40, 28, v54
	v_lshlrev_b64 v[40:41], v40, v[34:35]
	v_lshrrev_b32_e32 v53, 3, v35
	v_sub_u32_e32 v41, 29, v54
	v_and_b32_e32 v40, 7, v40
	v_cmp_gt_u32_e32 vcc, 8, v35
	v_cndmask_b32_e32 v35, v53, v41, vcc
	v_cndmask_b32_e32 v40, v52, v40, vcc
	v_lshlrev_b32_e32 v34, 24, v34
	v_bfrev_b32_e32 v41, 60
	v_lshlrev_b32_e32 v40, 20, v40
	v_and_b32_e32 v34, 0x80000000, v34
	v_lshl_add_u32 v35, v35, 23, v41
	v_or3_b32 v34, v34, v35, v40
	v_lshrrev_b32_e32 v41, 16, v34
.LBB757_56:
	s_or_b64 exec, exec, s[22:23]
.LBB757_57:
	s_or_b64 exec, exec, s[20:21]
.LBB757_58:
	s_or_b64 exec, exec, s[10:11]
	s_mov_b32 s10, 0x5040100
	v_perm_b32 v35, v49, v48, s10
	v_perm_b32 v34, v39, v47, s10
	;; [unrolled: 1-line block ×4, first 2 shown]
	v_mfma_f32_4x4x4bf16_1k a[0:3], v[2:3], v[34:35], 0 cbsz:4
	v_mov_b32_e32 v39, 0
	v_mfma_f32_4x4x4bf16_1k a[0:3], v[4:5], v[40:41], a[0:3] cbsz:4
	v_mov_b32_e32 v41, 0
	v_cmp_ne_u16_sdwa s[20:21], v36, v41 src0_sel:BYTE_0 src1_sel:DWORD
	s_and_saveexec_b64 s[10:11], s[20:21]
	s_cbranch_execz .LBB757_64
; %bb.59:
	s_movk_i32 s20, 0x80
	v_cmp_ne_u16_sdwa s[22:23], v36, s20 src0_sel:BYTE_0 src1_sel:DWORD
	v_mov_b32_e32 v39, 0xffff8000
	s_and_saveexec_b64 s[20:21], s[22:23]
	s_cbranch_execz .LBB757_63
; %bb.60:
	s_movk_i32 s22, 0x7f
	v_and_b32_e32 v34, 0x7f, v36
	v_cmp_ne_u32_e32 vcc, s22, v34
	v_mov_b32_e32 v39, 0x7f80
	s_and_saveexec_b64 s[22:23], vcc
	s_cbranch_execz .LBB757_62
; %bb.61:
	v_and_b32_e32 v35, 7, v36
	v_ffbh_u32_e32 v35, v35
	v_min_u32_e32 v35, 32, v35
	v_subrev_u32_e32 v40, 28, v35
	v_cmp_gt_u32_e32 vcc, 8, v34
	v_lshrrev_b32_e32 v39, 3, v34
	v_sub_u32_e32 v35, 29, v35
	v_cndmask_b32_e32 v34, 0, v40, vcc
	v_cndmask_b32_e32 v39, v39, v35, vcc
	v_lshlrev_b64 v[34:35], v34, v[36:37]
	v_lshlrev_b32_e32 v34, 20, v34
	v_lshlrev_b32_e32 v35, 24, v36
	v_bfrev_b32_e32 v40, 60
	v_and_b32_e32 v34, 0x700000, v34
	v_and_b32_e32 v35, 0x80000000, v35
	v_lshl_add_u32 v39, v39, 23, v40
	v_or3_b32 v34, v35, v39, v34
	v_lshrrev_b32_e32 v39, 16, v34
.LBB757_62:
	s_or_b64 exec, exec, s[22:23]
.LBB757_63:
	s_or_b64 exec, exec, s[20:21]
.LBB757_64:
	s_or_b64 exec, exec, s[10:11]
	v_lshrrev_b16_e32 v34, 8, v36
	v_cmp_ne_u16_e32 vcc, 0, v34
	s_and_saveexec_b64 s[10:11], vcc
	s_cbranch_execz .LBB757_70
; %bb.65:
	s_movk_i32 s20, 0x80
	v_cmp_ne_u16_e32 vcc, s20, v34
	v_mov_b32_e32 v41, 0xffff8000
	s_and_saveexec_b64 s[20:21], vcc
	s_cbranch_execz .LBB757_69
; %bb.66:
	s_movk_i32 s22, 0x7f
	v_and_b32_e32 v35, 0x7f, v34
	v_cmp_ne_u32_e32 vcc, s22, v35
	v_mov_b32_e32 v41, 0x7f80
	s_and_saveexec_b64 s[22:23], vcc
	s_cbranch_execz .LBB757_68
; %bb.67:
	v_and_b32_e32 v42, 7, v34
	v_ffbh_u32_e32 v40, v42
	v_min_u32_e32 v48, 32, v40
	v_subrev_u32_e32 v40, 28, v48
	v_lshlrev_b64 v[40:41], v40, v[34:35]
	v_lshrrev_b32_e32 v47, 3, v35
	v_sub_u32_e32 v34, 29, v48
	v_and_b32_e32 v40, 7, v40
	v_cmp_gt_u32_e32 vcc, 8, v35
	v_cndmask_b32_e32 v34, v47, v34, vcc
	v_cndmask_b32_e32 v35, v42, v40, vcc
	v_lshlrev_b32_e32 v40, 16, v36
	v_bfrev_b32_e32 v41, 60
	v_lshlrev_b32_e32 v35, 20, v35
	v_and_b32_e32 v40, 0x80000000, v40
	v_lshl_add_u32 v34, v34, 23, v41
	v_or3_b32 v34, v40, v34, v35
	v_lshrrev_b32_e32 v41, 16, v34
.LBB757_68:
	s_or_b64 exec, exec, s[22:23]
.LBB757_69:
	s_or_b64 exec, exec, s[20:21]
.LBB757_70:
	s_or_b64 exec, exec, s[10:11]
	s_movk_i32 s10, 0xff
	v_and_b32_sdwa v40, v36, s10 dst_sel:DWORD dst_unused:UNUSED_PAD src0_sel:WORD_1 src1_sel:DWORD
	v_lshrrev_b32_e32 v34, 16, v36
	v_cmp_ne_u16_e32 vcc, 0, v40
	v_mov_b32_e32 v35, 0
	v_mov_b32_e32 v42, 0
	s_and_saveexec_b64 s[10:11], vcc
	s_cbranch_execz .LBB757_76
; %bb.71:
	s_movk_i32 s20, 0x80
	v_cmp_ne_u16_e32 vcc, s20, v40
	v_mov_b32_e32 v42, 0xffff8000
	s_and_saveexec_b64 s[20:21], vcc
	s_cbranch_execz .LBB757_75
; %bb.72:
	v_bfe_u32 v40, v36, 16, 7
	s_movk_i32 s22, 0x7f
	v_cmp_ne_u32_e32 vcc, s22, v40
	v_mov_b32_e32 v42, 0x7f80
	s_and_saveexec_b64 s[22:23], vcc
	s_cbranch_execz .LBB757_74
; %bb.73:
	v_and_b32_e32 v42, 7, v34
	v_ffbh_u32_e32 v48, v42
	v_min_u32_e32 v50, 32, v48
	v_subrev_u32_e32 v48, 28, v50
	v_lshlrev_b64 v[48:49], v48, v[34:35]
	v_and_b32_e32 v48, 7, v48
	v_cmp_gt_u32_e32 vcc, 8, v40
	v_lshrrev_b32_e32 v47, 3, v40
	v_sub_u32_e32 v34, 29, v50
	v_cndmask_b32_e32 v40, v42, v48, vcc
	v_mov_b32_e32 v42, 24
	v_cndmask_b32_e32 v34, v47, v34, vcc
	v_lshlrev_b32_sdwa v42, v42, v36 dst_sel:DWORD dst_unused:UNUSED_PAD src0_sel:DWORD src1_sel:WORD_1
	v_bfrev_b32_e32 v47, 60
	v_lshlrev_b32_e32 v40, 20, v40
	v_and_b32_e32 v42, 0x80000000, v42
	v_lshl_add_u32 v34, v34, 23, v47
	v_or3_b32 v34, v42, v34, v40
	v_lshrrev_b32_e32 v42, 16, v34
.LBB757_74:
	s_or_b64 exec, exec, s[22:23]
.LBB757_75:
	s_or_b64 exec, exec, s[20:21]
.LBB757_76:
	s_or_b64 exec, exec, s[10:11]
	s_mov_b32 s10, 0xffffff
	v_cmp_lt_u32_e32 vcc, s10, v36
	v_mov_b32_e32 v47, 0
	s_and_saveexec_b64 s[10:11], vcc
	s_cbranch_execz .LBB757_82
; %bb.77:
	v_lshrrev_b32_e32 v34, 24, v36
	s_movk_i32 s20, 0x80
	v_cmp_ne_u32_e32 vcc, s20, v34
	v_mov_b32_e32 v47, 0xffff8000
	s_and_saveexec_b64 s[20:21], vcc
	s_cbranch_execz .LBB757_81
; %bb.78:
	v_bfe_u32 v40, v36, 24, 7
	s_movk_i32 s22, 0x7f
	v_cmp_ne_u32_e32 vcc, s22, v40
	v_mov_b32_e32 v47, 0x7f80
	s_and_saveexec_b64 s[22:23], vcc
	s_cbranch_execz .LBB757_80
; %bb.79:
	v_and_b32_e32 v47, 7, v34
	v_ffbh_u32_e32 v48, v47
	v_min_u32_e32 v51, 32, v48
	v_subrev_u32_e32 v48, 28, v51
	v_lshlrev_b64 v[48:49], v48, v[34:35]
	v_lshrrev_b32_e32 v50, 3, v40
	v_sub_u32_e32 v49, 29, v51
	v_and_b32_e32 v48, 7, v48
	v_cmp_gt_u32_e32 vcc, 8, v40
	v_cndmask_b32_e32 v40, v50, v49, vcc
	v_cndmask_b32_e32 v47, v47, v48, vcc
	v_lshlrev_b32_e32 v34, 24, v34
	v_bfrev_b32_e32 v48, 60
	v_lshlrev_b32_e32 v47, 20, v47
	v_and_b32_e32 v34, 0x80000000, v34
	v_lshl_add_u32 v40, v40, 23, v48
	v_or3_b32 v34, v34, v40, v47
	v_lshrrev_b32_e32 v47, 16, v34
.LBB757_80:
	s_or_b64 exec, exec, s[22:23]
.LBB757_81:
	s_or_b64 exec, exec, s[20:21]
.LBB757_82:
	s_or_b64 exec, exec, s[10:11]
	v_mov_b32_e32 v48, 0
	v_mov_b32_e32 v34, v37
	v_cmp_ne_u16_sdwa s[20:21], v37, v48 src0_sel:BYTE_0 src1_sel:DWORD
	v_mov_b32_e32 v49, 0
	s_and_saveexec_b64 s[10:11], s[20:21]
	s_cbranch_execz .LBB757_88
; %bb.83:
	s_movk_i32 s20, 0x80
	v_cmp_ne_u16_sdwa s[22:23], v37, s20 src0_sel:BYTE_0 src1_sel:DWORD
	v_mov_b32_e32 v49, 0xffff8000
	s_and_saveexec_b64 s[20:21], s[22:23]
	s_cbranch_execz .LBB757_87
; %bb.84:
	s_movk_i32 s22, 0x7f
	v_and_b32_e32 v40, 0x7f, v37
	v_cmp_ne_u32_e32 vcc, s22, v40
	v_mov_b32_e32 v49, 0x7f80
	s_and_saveexec_b64 s[22:23], vcc
	s_cbranch_execz .LBB757_86
; %bb.85:
	v_and_b32_e32 v49, 7, v37
	v_ffbh_u32_e32 v49, v49
	v_min_u32_e32 v49, 32, v49
	v_lshrrev_b32_e32 v50, 3, v40
	v_subrev_u32_e32 v51, 28, v49
	v_sub_u32_e32 v49, 29, v49
	v_cmp_gt_u32_e32 vcc, 8, v40
	v_cndmask_b32_e32 v40, v50, v49, vcc
	v_cndmask_b32_e32 v49, 0, v51, vcc
	v_lshlrev_b64 v[50:51], v49, v[34:35]
	v_lshlrev_b32_e32 v35, 20, v50
	v_lshlrev_b32_e32 v49, 24, v34
	v_bfrev_b32_e32 v50, 60
	v_and_b32_e32 v35, 0x700000, v35
	v_and_b32_e32 v49, 0x80000000, v49
	v_lshl_add_u32 v40, v40, 23, v50
	v_or3_b32 v35, v49, v40, v35
	v_lshrrev_b32_e32 v49, 16, v35
.LBB757_86:
	s_or_b64 exec, exec, s[22:23]
.LBB757_87:
	s_or_b64 exec, exec, s[20:21]
.LBB757_88:
	s_or_b64 exec, exec, s[10:11]
	v_lshrrev_b16_e32 v40, 8, v34
	v_cmp_ne_u16_e32 vcc, 0, v40
	s_and_saveexec_b64 s[10:11], vcc
	s_cbranch_execz .LBB757_94
; %bb.89:
	s_movk_i32 s20, 0x80
	v_cmp_ne_u16_e32 vcc, s20, v40
	v_mov_b32_e32 v48, 0xffff8000
	s_and_saveexec_b64 s[20:21], vcc
	s_cbranch_execz .LBB757_93
; %bb.90:
	s_movk_i32 s22, 0x7f
	v_and_b32_e32 v35, 0x7f, v40
	v_cmp_ne_u32_e32 vcc, s22, v35
	v_mov_b32_e32 v48, 0x7f80
	s_and_saveexec_b64 s[22:23], vcc
	s_cbranch_execz .LBB757_92
; %bb.91:
	v_and_b32_e32 v48, 7, v40
	v_ffbh_u32_e32 v50, v48
	v_min_u32_e32 v53, 32, v50
	v_subrev_u32_e32 v50, 28, v53
	v_lshlrev_b64 v[50:51], v50, v[40:41]
	v_lshrrev_b32_e32 v52, 3, v35
	v_sub_u32_e32 v40, 29, v53
	v_and_b32_e32 v50, 7, v50
	v_cmp_gt_u32_e32 vcc, 8, v35
	v_cndmask_b32_e32 v35, v52, v40, vcc
	v_cndmask_b32_e32 v40, v48, v50, vcc
	v_lshlrev_b32_e32 v34, 16, v34
	v_bfrev_b32_e32 v48, 60
	v_lshlrev_b32_e32 v40, 20, v40
	v_and_b32_e32 v34, 0x80000000, v34
	v_lshl_add_u32 v35, v35, 23, v48
	v_or3_b32 v34, v34, v35, v40
	v_lshrrev_b32_e32 v48, 16, v34
.LBB757_92:
	s_or_b64 exec, exec, s[22:23]
.LBB757_93:
	s_or_b64 exec, exec, s[20:21]
.LBB757_94:
	s_or_b64 exec, exec, s[10:11]
	s_movk_i32 s10, 0xff
	v_and_b32_sdwa v50, v37, s10 dst_sel:DWORD dst_unused:UNUSED_PAD src0_sel:WORD_1 src1_sel:DWORD
	v_lshrrev_b32_e32 v34, 16, v37
	v_cmp_ne_u16_e32 vcc, 0, v50
	v_mov_b32_e32 v35, 0
	v_mov_b32_e32 v40, 0
	s_and_saveexec_b64 s[10:11], vcc
	s_cbranch_execz .LBB757_100
; %bb.95:
	s_movk_i32 s20, 0x80
	v_cmp_ne_u16_e32 vcc, s20, v50
	v_mov_b32_e32 v40, 0xffff8000
	s_and_saveexec_b64 s[20:21], vcc
	s_cbranch_execz .LBB757_99
; %bb.96:
	v_bfe_u32 v50, v37, 16, 7
	s_movk_i32 s22, 0x7f
	v_cmp_ne_u32_e32 vcc, s22, v50
	v_mov_b32_e32 v40, 0x7f80
	s_and_saveexec_b64 s[22:23], vcc
	s_cbranch_execz .LBB757_98
; %bb.97:
	v_and_b32_e32 v40, 7, v34
	v_ffbh_u32_e32 v52, v40
	v_min_u32_e32 v54, 32, v52
	v_subrev_u32_e32 v52, 28, v54
	v_lshlrev_b64 v[52:53], v52, v[34:35]
	v_lshrrev_b32_e32 v51, 3, v50
	v_sub_u32_e32 v34, 29, v54
	v_and_b32_e32 v52, 7, v52
	v_cmp_gt_u32_e32 vcc, 8, v50
	v_mov_b32_e32 v50, 24
	v_cndmask_b32_e32 v34, v51, v34, vcc
	v_cndmask_b32_e32 v40, v40, v52, vcc
	v_lshlrev_b32_sdwa v50, v50, v37 dst_sel:DWORD dst_unused:UNUSED_PAD src0_sel:DWORD src1_sel:WORD_1
	v_bfrev_b32_e32 v51, 60
	v_lshlrev_b32_e32 v40, 20, v40
	v_and_b32_e32 v50, 0x80000000, v50
	v_lshl_add_u32 v34, v34, 23, v51
	v_or3_b32 v34, v50, v34, v40
	v_lshrrev_b32_e32 v40, 16, v34
.LBB757_98:
	s_or_b64 exec, exec, s[22:23]
.LBB757_99:
	s_or_b64 exec, exec, s[20:21]
.LBB757_100:
	s_or_b64 exec, exec, s[10:11]
	s_mov_b32 s10, -1
	s_mov_b32 s11, 0xffffff
	v_cmp_lt_u64_e32 vcc, s[10:11], v[36:37]
	s_and_saveexec_b64 s[10:11], vcc
	s_cbranch_execz .LBB757_106
; %bb.101:
	v_lshrrev_b32_e32 v34, 24, v37
	s_movk_i32 s20, 0x80
	v_cmp_ne_u32_e32 vcc, s20, v34
	v_mov_b32_e32 v35, 0xffff8000
	s_and_saveexec_b64 s[20:21], vcc
	s_cbranch_execz .LBB757_105
; %bb.102:
	v_bfe_u32 v36, v37, 24, 7
	s_movk_i32 s22, 0x7f
	v_cmp_ne_u32_e32 vcc, s22, v36
	v_mov_b32_e32 v35, 0x7f80
	s_and_saveexec_b64 s[22:23], vcc
	s_cbranch_execz .LBB757_104
; %bb.103:
	v_and_b32_e32 v35, 7, v34
	v_ffbh_u32_e32 v50, v35
	v_min_u32_e32 v52, 32, v50
	v_subrev_u32_e32 v50, 28, v52
	v_lshlrev_b64 v[50:51], v50, v[34:35]
	v_lshrrev_b32_e32 v37, 3, v36
	v_sub_u32_e32 v51, 29, v52
	v_and_b32_e32 v50, 7, v50
	v_cmp_gt_u32_e32 vcc, 8, v36
	v_cndmask_b32_e32 v36, v37, v51, vcc
	v_cndmask_b32_e32 v35, v35, v50, vcc
	v_lshlrev_b32_e32 v34, 24, v34
	v_bfrev_b32_e32 v37, 60
	v_lshlrev_b32_e32 v35, 20, v35
	v_and_b32_e32 v34, 0x80000000, v34
	v_lshl_add_u32 v36, v36, 23, v37
	v_or3_b32 v34, v34, v36, v35
	v_lshrrev_b32_e32 v35, 16, v34
.LBB757_104:
	s_or_b64 exec, exec, s[22:23]
.LBB757_105:
	s_or_b64 exec, exec, s[20:21]
.LBB757_106:
	s_or_b64 exec, exec, s[10:11]
	s_mov_b32 s10, 0x5040100
	v_perm_b32 v37, v47, v42, s10
	v_perm_b32 v36, v41, v39, s10
	v_perm_b32 v35, v35, v40, s10
	v_perm_b32 v34, v48, v49, s10
	v_mfma_f32_4x4x4bf16_1k a[0:3], v[2:3], v[36:37], a[0:3] cbsz:4 abid:1
	v_mov_b32_e32 v37, 0
	v_mfma_f32_4x4x4bf16_1k a[0:3], v[4:5], v[34:35], a[0:3] cbsz:4 abid:1
	v_cmp_ne_u16_sdwa s[20:21], v30, v37 src0_sel:BYTE_0 src1_sel:DWORD
	v_mov_b32_e32 v39, 0
	s_and_saveexec_b64 s[10:11], s[20:21]
	s_cbranch_execz .LBB757_112
; %bb.107:
	s_movk_i32 s20, 0x80
	v_cmp_ne_u16_sdwa s[22:23], v30, s20 src0_sel:BYTE_0 src1_sel:DWORD
	v_mov_b32_e32 v39, 0xffff8000
	s_and_saveexec_b64 s[20:21], s[22:23]
	s_cbranch_execz .LBB757_111
; %bb.108:
	s_movk_i32 s22, 0x7f
	v_and_b32_e32 v34, 0x7f, v30
	v_cmp_ne_u32_e32 vcc, s22, v34
	v_mov_b32_e32 v39, 0x7f80
	s_and_saveexec_b64 s[22:23], vcc
	s_cbranch_execz .LBB757_110
; %bb.109:
	v_and_b32_e32 v35, 7, v30
	v_ffbh_u32_e32 v35, v35
	v_min_u32_e32 v35, 32, v35
	v_subrev_u32_e32 v39, 28, v35
	v_cmp_gt_u32_e32 vcc, 8, v34
	v_lshrrev_b32_e32 v36, 3, v34
	v_sub_u32_e32 v35, 29, v35
	v_cndmask_b32_e32 v34, 0, v39, vcc
	v_cndmask_b32_e32 v36, v36, v35, vcc
	v_lshlrev_b64 v[34:35], v34, v[30:31]
	v_lshlrev_b32_e32 v34, 20, v34
	v_lshlrev_b32_e32 v35, 24, v30
	v_bfrev_b32_e32 v39, 60
	v_and_b32_e32 v34, 0x700000, v34
	v_and_b32_e32 v35, 0x80000000, v35
	v_lshl_add_u32 v36, v36, 23, v39
	v_or3_b32 v34, v35, v36, v34
	v_lshrrev_b32_e32 v39, 16, v34
.LBB757_110:
	s_or_b64 exec, exec, s[22:23]
.LBB757_111:
	s_or_b64 exec, exec, s[20:21]
.LBB757_112:
	s_or_b64 exec, exec, s[10:11]
	v_lshrrev_b16_e32 v34, 8, v30
	v_cmp_ne_u16_e32 vcc, 0, v34
	s_and_saveexec_b64 s[10:11], vcc
	s_cbranch_execz .LBB757_118
; %bb.113:
	s_movk_i32 s20, 0x80
	v_cmp_ne_u16_e32 vcc, s20, v34
	v_mov_b32_e32 v37, 0xffff8000
	s_and_saveexec_b64 s[20:21], vcc
	s_cbranch_execz .LBB757_117
; %bb.114:
	s_movk_i32 s22, 0x7f
	v_and_b32_e32 v35, 0x7f, v34
	v_cmp_ne_u32_e32 vcc, s22, v35
	v_mov_b32_e32 v37, 0x7f80
	s_and_saveexec_b64 s[22:23], vcc
	s_cbranch_execz .LBB757_116
; %bb.115:
	v_and_b32_e32 v40, 7, v34
	v_ffbh_u32_e32 v36, v40
	v_min_u32_e32 v42, 32, v36
	v_subrev_u32_e32 v36, 28, v42
	v_lshlrev_b64 v[36:37], v36, v[34:35]
	v_lshrrev_b32_e32 v41, 3, v35
	v_sub_u32_e32 v34, 29, v42
	v_and_b32_e32 v36, 7, v36
	v_cmp_gt_u32_e32 vcc, 8, v35
	v_cndmask_b32_e32 v34, v41, v34, vcc
	v_cndmask_b32_e32 v35, v40, v36, vcc
	v_lshlrev_b32_e32 v36, 16, v30
	v_bfrev_b32_e32 v37, 60
	v_lshlrev_b32_e32 v35, 20, v35
	v_and_b32_e32 v36, 0x80000000, v36
	v_lshl_add_u32 v34, v34, 23, v37
	v_or3_b32 v34, v36, v34, v35
	v_lshrrev_b32_e32 v37, 16, v34
.LBB757_116:
	s_or_b64 exec, exec, s[22:23]
.LBB757_117:
	s_or_b64 exec, exec, s[20:21]
.LBB757_118:
	s_or_b64 exec, exec, s[10:11]
	s_movk_i32 s10, 0xff
	v_and_b32_sdwa v36, v30, s10 dst_sel:DWORD dst_unused:UNUSED_PAD src0_sel:WORD_1 src1_sel:DWORD
	v_lshrrev_b32_e32 v34, 16, v30
	v_cmp_ne_u16_e32 vcc, 0, v36
	v_mov_b32_e32 v35, 0
	v_mov_b32_e32 v40, 0
	s_and_saveexec_b64 s[10:11], vcc
	s_cbranch_execz .LBB757_124
; %bb.119:
	s_movk_i32 s20, 0x80
	v_cmp_ne_u16_e32 vcc, s20, v36
	v_mov_b32_e32 v40, 0xffff8000
	s_and_saveexec_b64 s[20:21], vcc
	s_cbranch_execz .LBB757_123
; %bb.120:
	v_bfe_u32 v36, v30, 16, 7
	s_movk_i32 s22, 0x7f
	v_cmp_ne_u32_e32 vcc, s22, v36
	v_mov_b32_e32 v40, 0x7f80
	s_and_saveexec_b64 s[22:23], vcc
	s_cbranch_execz .LBB757_122
; %bb.121:
	v_and_b32_e32 v42, 7, v34
	v_ffbh_u32_e32 v40, v42
	v_min_u32_e32 v48, 32, v40
	v_subrev_u32_e32 v40, 28, v48
	v_lshlrev_b64 v[40:41], v40, v[34:35]
	v_and_b32_e32 v40, 7, v40
	v_cmp_gt_u32_e32 vcc, 8, v36
	v_lshrrev_b32_e32 v47, 3, v36
	v_sub_u32_e32 v34, 29, v48
	v_cndmask_b32_e32 v36, v42, v40, vcc
	v_mov_b32_e32 v40, 24
	v_cndmask_b32_e32 v34, v47, v34, vcc
	v_lshlrev_b32_sdwa v40, v40, v30 dst_sel:DWORD dst_unused:UNUSED_PAD src0_sel:DWORD src1_sel:WORD_1
	v_bfrev_b32_e32 v41, 60
	v_lshlrev_b32_e32 v36, 20, v36
	v_and_b32_e32 v40, 0x80000000, v40
	v_lshl_add_u32 v34, v34, 23, v41
	v_or3_b32 v34, v40, v34, v36
	v_lshrrev_b32_e32 v40, 16, v34
.LBB757_122:
	s_or_b64 exec, exec, s[22:23]
.LBB757_123:
	s_or_b64 exec, exec, s[20:21]
.LBB757_124:
	s_or_b64 exec, exec, s[10:11]
	s_mov_b32 s10, 0xffffff
	v_cmp_lt_u32_e32 vcc, s10, v30
	v_mov_b32_e32 v41, 0
	s_and_saveexec_b64 s[10:11], vcc
	s_cbranch_execz .LBB757_130
; %bb.125:
	v_lshrrev_b32_e32 v34, 24, v30
	s_movk_i32 s20, 0x80
	v_cmp_ne_u32_e32 vcc, s20, v34
	v_mov_b32_e32 v41, 0xffff8000
	s_and_saveexec_b64 s[20:21], vcc
	s_cbranch_execz .LBB757_129
; %bb.126:
	v_bfe_u32 v36, v30, 24, 7
	s_movk_i32 s22, 0x7f
	v_cmp_ne_u32_e32 vcc, s22, v36
	v_mov_b32_e32 v41, 0x7f80
	s_and_saveexec_b64 s[22:23], vcc
	s_cbranch_execz .LBB757_128
; %bb.127:
	v_and_b32_e32 v41, 7, v34
	v_ffbh_u32_e32 v47, v41
	v_min_u32_e32 v47, 32, v47
	v_subrev_u32_e32 v48, 28, v47
	v_lshlrev_b64 v[48:49], v48, v[34:35]
	v_lshrrev_b32_e32 v42, 3, v36
	v_sub_u32_e32 v47, 29, v47
	v_and_b32_e32 v48, 7, v48
	v_cmp_gt_u32_e32 vcc, 8, v36
	v_cndmask_b32_e32 v36, v42, v47, vcc
	v_cndmask_b32_e32 v41, v41, v48, vcc
	v_lshlrev_b32_e32 v34, 24, v34
	v_bfrev_b32_e32 v42, 60
	v_lshlrev_b32_e32 v41, 20, v41
	v_and_b32_e32 v34, 0x80000000, v34
	v_lshl_add_u32 v36, v36, 23, v42
	v_or3_b32 v34, v34, v36, v41
	v_lshrrev_b32_e32 v41, 16, v34
.LBB757_128:
	s_or_b64 exec, exec, s[22:23]
.LBB757_129:
	s_or_b64 exec, exec, s[20:21]
.LBB757_130:
	s_or_b64 exec, exec, s[10:11]
	v_mov_b32_e32 v42, 0
	v_mov_b32_e32 v34, v31
	v_cmp_ne_u16_sdwa s[20:21], v31, v42 src0_sel:BYTE_0 src1_sel:DWORD
	v_mov_b32_e32 v47, 0
	s_and_saveexec_b64 s[10:11], s[20:21]
	s_cbranch_execz .LBB757_136
; %bb.131:
	s_movk_i32 s20, 0x80
	v_cmp_ne_u16_sdwa s[22:23], v31, s20 src0_sel:BYTE_0 src1_sel:DWORD
	v_mov_b32_e32 v47, 0xffff8000
	s_and_saveexec_b64 s[20:21], s[22:23]
	s_cbranch_execz .LBB757_135
; %bb.132:
	s_movk_i32 s22, 0x7f
	v_and_b32_e32 v36, 0x7f, v31
	v_cmp_ne_u32_e32 vcc, s22, v36
	v_mov_b32_e32 v47, 0x7f80
	s_and_saveexec_b64 s[22:23], vcc
	s_cbranch_execz .LBB757_134
; %bb.133:
	v_and_b32_e32 v47, 7, v31
	v_ffbh_u32_e32 v47, v47
	v_min_u32_e32 v47, 32, v47
	v_lshrrev_b32_e32 v48, 3, v36
	v_subrev_u32_e32 v49, 28, v47
	v_sub_u32_e32 v47, 29, v47
	v_cmp_gt_u32_e32 vcc, 8, v36
	v_cndmask_b32_e32 v36, v48, v47, vcc
	v_cndmask_b32_e32 v47, 0, v49, vcc
	v_lshlrev_b64 v[48:49], v47, v[34:35]
	v_lshlrev_b32_e32 v35, 20, v48
	v_lshlrev_b32_e32 v47, 24, v34
	v_bfrev_b32_e32 v48, 60
	v_and_b32_e32 v35, 0x700000, v35
	v_and_b32_e32 v47, 0x80000000, v47
	v_lshl_add_u32 v36, v36, 23, v48
	v_or3_b32 v35, v47, v36, v35
	v_lshrrev_b32_e32 v47, 16, v35
.LBB757_134:
	s_or_b64 exec, exec, s[22:23]
.LBB757_135:
	s_or_b64 exec, exec, s[20:21]
.LBB757_136:
	s_or_b64 exec, exec, s[10:11]
	v_lshrrev_b16_e32 v36, 8, v34
	v_cmp_ne_u16_e32 vcc, 0, v36
	s_and_saveexec_b64 s[10:11], vcc
	s_cbranch_execz .LBB757_142
; %bb.137:
	s_movk_i32 s20, 0x80
	v_cmp_ne_u16_e32 vcc, s20, v36
	v_mov_b32_e32 v42, 0xffff8000
	s_and_saveexec_b64 s[20:21], vcc
	s_cbranch_execz .LBB757_141
; %bb.138:
	s_movk_i32 s22, 0x7f
	v_and_b32_e32 v35, 0x7f, v36
	v_cmp_ne_u32_e32 vcc, s22, v35
	v_mov_b32_e32 v42, 0x7f80
	s_and_saveexec_b64 s[22:23], vcc
	s_cbranch_execz .LBB757_140
; %bb.139:
	v_and_b32_e32 v42, 7, v36
	v_ffbh_u32_e32 v48, v42
	v_min_u32_e32 v51, 32, v48
	v_subrev_u32_e32 v48, 28, v51
	v_lshlrev_b64 v[48:49], v48, v[36:37]
	v_lshrrev_b32_e32 v50, 3, v35
	v_sub_u32_e32 v36, 29, v51
	v_and_b32_e32 v48, 7, v48
	v_cmp_gt_u32_e32 vcc, 8, v35
	v_cndmask_b32_e32 v35, v50, v36, vcc
	v_cndmask_b32_e32 v36, v42, v48, vcc
	v_lshlrev_b32_e32 v34, 16, v34
	v_bfrev_b32_e32 v42, 60
	v_lshlrev_b32_e32 v36, 20, v36
	v_and_b32_e32 v34, 0x80000000, v34
	v_lshl_add_u32 v35, v35, 23, v42
	v_or3_b32 v34, v34, v35, v36
	v_lshrrev_b32_e32 v42, 16, v34
.LBB757_140:
	s_or_b64 exec, exec, s[22:23]
.LBB757_141:
	s_or_b64 exec, exec, s[20:21]
.LBB757_142:
	s_or_b64 exec, exec, s[10:11]
	s_movk_i32 s10, 0xff
	v_and_b32_sdwa v48, v31, s10 dst_sel:DWORD dst_unused:UNUSED_PAD src0_sel:WORD_1 src1_sel:DWORD
	v_lshrrev_b32_e32 v34, 16, v31
	v_cmp_ne_u16_e32 vcc, 0, v48
	v_mov_b32_e32 v35, 0
	v_mov_b32_e32 v36, 0
	s_and_saveexec_b64 s[10:11], vcc
	s_cbranch_execz .LBB757_148
; %bb.143:
	s_movk_i32 s20, 0x80
	v_cmp_ne_u16_e32 vcc, s20, v48
	v_mov_b32_e32 v36, 0xffff8000
	s_and_saveexec_b64 s[20:21], vcc
	s_cbranch_execz .LBB757_147
; %bb.144:
	v_bfe_u32 v48, v31, 16, 7
	s_movk_i32 s22, 0x7f
	v_cmp_ne_u32_e32 vcc, s22, v48
	v_mov_b32_e32 v36, 0x7f80
	s_and_saveexec_b64 s[22:23], vcc
	s_cbranch_execz .LBB757_146
; %bb.145:
	v_and_b32_e32 v36, 7, v34
	v_ffbh_u32_e32 v50, v36
	v_min_u32_e32 v52, 32, v50
	v_subrev_u32_e32 v50, 28, v52
	v_lshlrev_b64 v[50:51], v50, v[34:35]
	v_lshrrev_b32_e32 v49, 3, v48
	v_sub_u32_e32 v34, 29, v52
	v_and_b32_e32 v50, 7, v50
	v_cmp_gt_u32_e32 vcc, 8, v48
	v_mov_b32_e32 v48, 24
	v_cndmask_b32_e32 v34, v49, v34, vcc
	v_cndmask_b32_e32 v36, v36, v50, vcc
	v_lshlrev_b32_sdwa v48, v48, v31 dst_sel:DWORD dst_unused:UNUSED_PAD src0_sel:DWORD src1_sel:WORD_1
	v_bfrev_b32_e32 v49, 60
	v_lshlrev_b32_e32 v36, 20, v36
	v_and_b32_e32 v48, 0x80000000, v48
	v_lshl_add_u32 v34, v34, 23, v49
	v_or3_b32 v34, v48, v34, v36
	v_lshrrev_b32_e32 v36, 16, v34
.LBB757_146:
	s_or_b64 exec, exec, s[22:23]
.LBB757_147:
	s_or_b64 exec, exec, s[20:21]
.LBB757_148:
	s_or_b64 exec, exec, s[10:11]
	s_mov_b32 s10, -1
	s_mov_b32 s11, 0xffffff
	v_cmp_lt_u64_e32 vcc, s[10:11], v[30:31]
	s_and_saveexec_b64 s[10:11], vcc
	s_cbranch_execz .LBB757_154
; %bb.149:
	v_lshrrev_b32_e32 v30, 24, v31
	s_movk_i32 s20, 0x80
	v_cmp_ne_u32_e32 vcc, s20, v30
	v_mov_b32_e32 v35, 0xffff8000
	s_and_saveexec_b64 s[20:21], vcc
	s_cbranch_execz .LBB757_153
; %bb.150:
	v_bfe_u32 v31, v31, 24, 7
	s_movk_i32 s22, 0x7f
	v_cmp_ne_u32_e32 vcc, s22, v31
	v_mov_b32_e32 v35, 0x7f80
	s_and_saveexec_b64 s[22:23], vcc
	s_cbranch_execz .LBB757_152
; %bb.151:
	v_and_b32_e32 v48, 7, v30
	v_ffbh_u32_e32 v34, v48
	v_min_u32_e32 v50, 32, v34
	v_subrev_u32_e32 v34, 28, v50
	v_lshlrev_b64 v[34:35], v34, v[30:31]
	v_lshrrev_b32_e32 v49, 3, v31
	v_sub_u32_e32 v35, 29, v50
	v_and_b32_e32 v34, 7, v34
	v_cmp_gt_u32_e32 vcc, 8, v31
	v_cndmask_b32_e32 v31, v49, v35, vcc
	v_cndmask_b32_e32 v34, v48, v34, vcc
	v_lshlrev_b32_e32 v30, 24, v30
	v_bfrev_b32_e32 v35, 60
	v_lshlrev_b32_e32 v34, 20, v34
	v_and_b32_e32 v30, 0x80000000, v30
	v_lshl_add_u32 v31, v31, 23, v35
	v_or3_b32 v30, v30, v31, v34
	v_lshrrev_b32_e32 v35, 16, v30
.LBB757_152:
	s_or_b64 exec, exec, s[22:23]
.LBB757_153:
	s_or_b64 exec, exec, s[20:21]
.LBB757_154:
	s_or_b64 exec, exec, s[10:11]
	s_mov_b32 s10, 0x5040100
	v_perm_b32 v31, v41, v40, s10
	v_perm_b32 v30, v37, v39, s10
	;; [unrolled: 1-line block ×4, first 2 shown]
	v_mfma_f32_4x4x4bf16_1k a[0:3], v[2:3], v[30:31], a[0:3] cbsz:4 abid:2
	v_mov_b32_e32 v36, 0
	v_mfma_f32_4x4x4bf16_1k a[0:3], v[4:5], v[34:35], a[0:3] cbsz:4 abid:2
	v_mov_b32_e32 v35, 0
	v_cmp_ne_u16_sdwa s[20:21], v32, v35 src0_sel:BYTE_0 src1_sel:DWORD
	s_and_saveexec_b64 s[10:11], s[20:21]
	s_cbranch_execz .LBB757_160
; %bb.155:
	s_movk_i32 s20, 0x80
	v_cmp_ne_u16_sdwa s[22:23], v32, s20 src0_sel:BYTE_0 src1_sel:DWORD
	v_mov_b32_e32 v36, 0xffff8000
	s_and_saveexec_b64 s[20:21], s[22:23]
	s_cbranch_execz .LBB757_159
; %bb.156:
	s_movk_i32 s22, 0x7f
	v_and_b32_e32 v30, 0x7f, v32
	v_cmp_ne_u32_e32 vcc, s22, v30
	v_mov_b32_e32 v36, 0x7f80
	s_and_saveexec_b64 s[22:23], vcc
	s_cbranch_execz .LBB757_158
; %bb.157:
	v_and_b32_e32 v31, 7, v32
	v_ffbh_u32_e32 v31, v31
	v_min_u32_e32 v31, 32, v31
	v_subrev_u32_e32 v36, 28, v31
	v_cmp_gt_u32_e32 vcc, 8, v30
	v_lshrrev_b32_e32 v34, 3, v30
	v_sub_u32_e32 v31, 29, v31
	v_cndmask_b32_e32 v30, 0, v36, vcc
	v_cndmask_b32_e32 v34, v34, v31, vcc
	v_lshlrev_b64 v[30:31], v30, v[32:33]
	v_lshlrev_b32_e32 v30, 20, v30
	v_lshlrev_b32_e32 v31, 24, v32
	v_bfrev_b32_e32 v36, 60
	v_and_b32_e32 v30, 0x700000, v30
	v_and_b32_e32 v31, 0x80000000, v31
	v_lshl_add_u32 v34, v34, 23, v36
	v_or3_b32 v30, v31, v34, v30
	v_lshrrev_b32_e32 v36, 16, v30
.LBB757_158:
	s_or_b64 exec, exec, s[22:23]
.LBB757_159:
	s_or_b64 exec, exec, s[20:21]
.LBB757_160:
	s_or_b64 exec, exec, s[10:11]
	v_lshrrev_b16_e32 v30, 8, v32
	v_cmp_ne_u16_e32 vcc, 0, v30
	s_and_saveexec_b64 s[10:11], vcc
	s_cbranch_execz .LBB757_166
; %bb.161:
	s_movk_i32 s20, 0x80
	v_cmp_ne_u16_e32 vcc, s20, v30
	v_mov_b32_e32 v35, 0xffff8000
	s_and_saveexec_b64 s[20:21], vcc
	s_cbranch_execz .LBB757_165
; %bb.162:
	s_movk_i32 s22, 0x7f
	v_and_b32_e32 v31, 0x7f, v30
	v_cmp_ne_u32_e32 vcc, s22, v31
	v_mov_b32_e32 v35, 0x7f80
	s_and_saveexec_b64 s[22:23], vcc
	s_cbranch_execz .LBB757_164
; %bb.163:
	v_and_b32_e32 v37, 7, v30
	v_ffbh_u32_e32 v34, v37
	v_min_u32_e32 v40, 32, v34
	v_subrev_u32_e32 v34, 28, v40
	v_lshlrev_b64 v[34:35], v34, v[30:31]
	v_lshrrev_b32_e32 v39, 3, v31
	v_sub_u32_e32 v30, 29, v40
	v_and_b32_e32 v34, 7, v34
	v_cmp_gt_u32_e32 vcc, 8, v31
	v_cndmask_b32_e32 v30, v39, v30, vcc
	v_cndmask_b32_e32 v31, v37, v34, vcc
	v_lshlrev_b32_e32 v34, 16, v32
	v_bfrev_b32_e32 v35, 60
	v_lshlrev_b32_e32 v31, 20, v31
	v_and_b32_e32 v34, 0x80000000, v34
	v_lshl_add_u32 v30, v30, 23, v35
	v_or3_b32 v30, v34, v30, v31
	v_lshrrev_b32_e32 v35, 16, v30
.LBB757_164:
	s_or_b64 exec, exec, s[22:23]
.LBB757_165:
	s_or_b64 exec, exec, s[20:21]
.LBB757_166:
	s_or_b64 exec, exec, s[10:11]
	s_movk_i32 s10, 0xff
	v_and_b32_sdwa v34, v32, s10 dst_sel:DWORD dst_unused:UNUSED_PAD src0_sel:WORD_1 src1_sel:DWORD
	v_lshrrev_b32_e32 v30, 16, v32
	v_cmp_ne_u16_e32 vcc, 0, v34
	v_mov_b32_e32 v31, 0
	v_mov_b32_e32 v37, 0
	s_and_saveexec_b64 s[10:11], vcc
	s_cbranch_execz .LBB757_172
; %bb.167:
	s_movk_i32 s20, 0x80
	v_cmp_ne_u16_e32 vcc, s20, v34
	v_mov_b32_e32 v37, 0xffff8000
	s_and_saveexec_b64 s[20:21], vcc
	s_cbranch_execz .LBB757_171
; %bb.168:
	v_bfe_u32 v34, v32, 16, 7
	s_movk_i32 s22, 0x7f
	v_cmp_ne_u32_e32 vcc, s22, v34
	v_mov_b32_e32 v37, 0x7f80
	s_and_saveexec_b64 s[22:23], vcc
	s_cbranch_execz .LBB757_170
; %bb.169:
	v_and_b32_e32 v37, 7, v30
	v_ffbh_u32_e32 v40, v37
	v_min_u32_e32 v42, 32, v40
	v_subrev_u32_e32 v40, 28, v42
	v_lshlrev_b64 v[40:41], v40, v[30:31]
	v_and_b32_e32 v40, 7, v40
	v_cmp_gt_u32_e32 vcc, 8, v34
	v_lshrrev_b32_e32 v39, 3, v34
	v_sub_u32_e32 v30, 29, v42
	v_cndmask_b32_e32 v34, v37, v40, vcc
	v_mov_b32_e32 v37, 24
	v_cndmask_b32_e32 v30, v39, v30, vcc
	v_lshlrev_b32_sdwa v37, v37, v32 dst_sel:DWORD dst_unused:UNUSED_PAD src0_sel:DWORD src1_sel:WORD_1
	v_bfrev_b32_e32 v39, 60
	v_lshlrev_b32_e32 v34, 20, v34
	v_and_b32_e32 v37, 0x80000000, v37
	v_lshl_add_u32 v30, v30, 23, v39
	v_or3_b32 v30, v37, v30, v34
	v_lshrrev_b32_e32 v37, 16, v30
.LBB757_170:
	s_or_b64 exec, exec, s[22:23]
.LBB757_171:
	s_or_b64 exec, exec, s[20:21]
.LBB757_172:
	s_or_b64 exec, exec, s[10:11]
	s_mov_b32 s10, 0xffffff
	v_cmp_lt_u32_e32 vcc, s10, v32
	v_mov_b32_e32 v39, 0
	s_and_saveexec_b64 s[10:11], vcc
	s_cbranch_execz .LBB757_178
; %bb.173:
	v_lshrrev_b32_e32 v30, 24, v32
	s_movk_i32 s20, 0x80
	v_cmp_ne_u32_e32 vcc, s20, v30
	v_mov_b32_e32 v39, 0xffff8000
	s_and_saveexec_b64 s[20:21], vcc
	s_cbranch_execz .LBB757_177
; %bb.174:
	v_bfe_u32 v34, v32, 24, 7
	s_movk_i32 s22, 0x7f
	v_cmp_ne_u32_e32 vcc, s22, v34
	v_mov_b32_e32 v39, 0x7f80
	s_and_saveexec_b64 s[22:23], vcc
	s_cbranch_execz .LBB757_176
; %bb.175:
	v_and_b32_e32 v39, 7, v30
	v_ffbh_u32_e32 v40, v39
	v_min_u32_e32 v47, 32, v40
	v_subrev_u32_e32 v40, 28, v47
	v_lshlrev_b64 v[40:41], v40, v[30:31]
	v_lshrrev_b32_e32 v42, 3, v34
	v_sub_u32_e32 v41, 29, v47
	v_and_b32_e32 v40, 7, v40
	v_cmp_gt_u32_e32 vcc, 8, v34
	v_cndmask_b32_e32 v34, v42, v41, vcc
	v_cndmask_b32_e32 v39, v39, v40, vcc
	v_lshlrev_b32_e32 v30, 24, v30
	v_bfrev_b32_e32 v40, 60
	v_lshlrev_b32_e32 v39, 20, v39
	v_and_b32_e32 v30, 0x80000000, v30
	v_lshl_add_u32 v34, v34, 23, v40
	v_or3_b32 v30, v30, v34, v39
	v_lshrrev_b32_e32 v39, 16, v30
.LBB757_176:
	s_or_b64 exec, exec, s[22:23]
.LBB757_177:
	s_or_b64 exec, exec, s[20:21]
.LBB757_178:
	s_or_b64 exec, exec, s[10:11]
	v_mov_b32_e32 v40, 0
	v_mov_b32_e32 v30, v33
	v_cmp_ne_u16_sdwa s[20:21], v33, v40 src0_sel:BYTE_0 src1_sel:DWORD
	v_mov_b32_e32 v41, 0
	s_and_saveexec_b64 s[10:11], s[20:21]
	s_cbranch_execz .LBB757_184
; %bb.179:
	s_movk_i32 s20, 0x80
	v_cmp_ne_u16_sdwa s[22:23], v33, s20 src0_sel:BYTE_0 src1_sel:DWORD
	v_mov_b32_e32 v41, 0xffff8000
	s_and_saveexec_b64 s[20:21], s[22:23]
	s_cbranch_execz .LBB757_183
; %bb.180:
	s_movk_i32 s22, 0x7f
	v_and_b32_e32 v34, 0x7f, v33
	v_cmp_ne_u32_e32 vcc, s22, v34
	v_mov_b32_e32 v41, 0x7f80
	s_and_saveexec_b64 s[22:23], vcc
	s_cbranch_execz .LBB757_182
; %bb.181:
	v_and_b32_e32 v41, 7, v33
	v_ffbh_u32_e32 v41, v41
	v_min_u32_e32 v41, 32, v41
	v_lshrrev_b32_e32 v42, 3, v34
	v_subrev_u32_e32 v47, 28, v41
	v_sub_u32_e32 v41, 29, v41
	v_cmp_gt_u32_e32 vcc, 8, v34
	v_cndmask_b32_e32 v34, v42, v41, vcc
	v_cndmask_b32_e32 v41, 0, v47, vcc
	v_lshlrev_b64 v[48:49], v41, v[30:31]
	v_lshlrev_b32_e32 v31, 20, v48
	v_lshlrev_b32_e32 v41, 24, v30
	v_bfrev_b32_e32 v42, 60
	v_and_b32_e32 v31, 0x700000, v31
	v_and_b32_e32 v41, 0x80000000, v41
	v_lshl_add_u32 v34, v34, 23, v42
	v_or3_b32 v31, v41, v34, v31
	v_lshrrev_b32_e32 v41, 16, v31
.LBB757_182:
	s_or_b64 exec, exec, s[22:23]
.LBB757_183:
	s_or_b64 exec, exec, s[20:21]
.LBB757_184:
	s_or_b64 exec, exec, s[10:11]
	v_lshrrev_b16_e32 v34, 8, v30
	v_cmp_ne_u16_e32 vcc, 0, v34
	s_and_saveexec_b64 s[10:11], vcc
	s_cbranch_execz .LBB757_190
; %bb.185:
	s_movk_i32 s20, 0x80
	v_cmp_ne_u16_e32 vcc, s20, v34
	v_mov_b32_e32 v40, 0xffff8000
	s_and_saveexec_b64 s[20:21], vcc
	s_cbranch_execz .LBB757_189
; %bb.186:
	s_movk_i32 s22, 0x7f
	v_and_b32_e32 v31, 0x7f, v34
	v_cmp_ne_u32_e32 vcc, s22, v31
	v_mov_b32_e32 v40, 0x7f80
	s_and_saveexec_b64 s[22:23], vcc
	s_cbranch_execz .LBB757_188
; %bb.187:
	v_and_b32_e32 v40, 7, v34
	v_ffbh_u32_e32 v47, v40
	v_min_u32_e32 v47, 32, v47
	v_subrev_u32_e32 v48, 28, v47
	v_lshlrev_b64 v[48:49], v48, v[34:35]
	v_lshrrev_b32_e32 v42, 3, v31
	v_sub_u32_e32 v34, 29, v47
	v_and_b32_e32 v47, 7, v48
	v_cmp_gt_u32_e32 vcc, 8, v31
	v_cndmask_b32_e32 v31, v42, v34, vcc
	v_cndmask_b32_e32 v34, v40, v47, vcc
	v_lshlrev_b32_e32 v30, 16, v30
	v_bfrev_b32_e32 v40, 60
	v_lshlrev_b32_e32 v34, 20, v34
	v_and_b32_e32 v30, 0x80000000, v30
	v_lshl_add_u32 v31, v31, 23, v40
	v_or3_b32 v30, v30, v31, v34
	v_lshrrev_b32_e32 v40, 16, v30
.LBB757_188:
	s_or_b64 exec, exec, s[22:23]
.LBB757_189:
	s_or_b64 exec, exec, s[20:21]
.LBB757_190:
	s_or_b64 exec, exec, s[10:11]
	s_movk_i32 s10, 0xff
	v_and_b32_sdwa v42, v33, s10 dst_sel:DWORD dst_unused:UNUSED_PAD src0_sel:WORD_1 src1_sel:DWORD
	v_lshrrev_b32_e32 v30, 16, v33
	v_cmp_ne_u16_e32 vcc, 0, v42
	v_mov_b32_e32 v31, 0
	v_mov_b32_e32 v34, 0
	s_and_saveexec_b64 s[10:11], vcc
	s_cbranch_execz .LBB757_196
; %bb.191:
	s_movk_i32 s20, 0x80
	v_cmp_ne_u16_e32 vcc, s20, v42
	v_mov_b32_e32 v34, 0xffff8000
	s_and_saveexec_b64 s[20:21], vcc
	s_cbranch_execz .LBB757_195
; %bb.192:
	v_bfe_u32 v42, v33, 16, 7
	s_movk_i32 s22, 0x7f
	v_cmp_ne_u32_e32 vcc, s22, v42
	v_mov_b32_e32 v34, 0x7f80
	s_and_saveexec_b64 s[22:23], vcc
	s_cbranch_execz .LBB757_194
; %bb.193:
	v_and_b32_e32 v34, 7, v30
	v_ffbh_u32_e32 v48, v34
	v_min_u32_e32 v50, 32, v48
	v_subrev_u32_e32 v48, 28, v50
	v_lshlrev_b64 v[48:49], v48, v[30:31]
	v_lshrrev_b32_e32 v47, 3, v42
	v_sub_u32_e32 v30, 29, v50
	v_and_b32_e32 v48, 7, v48
	v_cmp_gt_u32_e32 vcc, 8, v42
	v_mov_b32_e32 v42, 24
	v_cndmask_b32_e32 v30, v47, v30, vcc
	v_cndmask_b32_e32 v34, v34, v48, vcc
	v_lshlrev_b32_sdwa v42, v42, v33 dst_sel:DWORD dst_unused:UNUSED_PAD src0_sel:DWORD src1_sel:WORD_1
	v_bfrev_b32_e32 v47, 60
	v_lshlrev_b32_e32 v34, 20, v34
	v_and_b32_e32 v42, 0x80000000, v42
	v_lshl_add_u32 v30, v30, 23, v47
	v_or3_b32 v30, v42, v30, v34
	v_lshrrev_b32_e32 v34, 16, v30
.LBB757_194:
	s_or_b64 exec, exec, s[22:23]
.LBB757_195:
	s_or_b64 exec, exec, s[20:21]
.LBB757_196:
	s_or_b64 exec, exec, s[10:11]
	s_mov_b32 s10, -1
	s_mov_b32 s11, 0xffffff
	v_cmp_lt_u64_e32 vcc, s[10:11], v[32:33]
	s_and_saveexec_b64 s[10:11], vcc
	s_cbranch_execz .LBB757_202
; %bb.197:
	v_lshrrev_b32_e32 v30, 24, v33
	s_movk_i32 s20, 0x80
	v_cmp_ne_u32_e32 vcc, s20, v30
	v_mov_b32_e32 v31, 0xffff8000
	s_and_saveexec_b64 s[20:21], vcc
	s_cbranch_execz .LBB757_201
; %bb.198:
	v_bfe_u32 v32, v33, 24, 7
	s_movk_i32 s22, 0x7f
	v_cmp_ne_u32_e32 vcc, s22, v32
	v_mov_b32_e32 v31, 0x7f80
	s_and_saveexec_b64 s[22:23], vcc
	s_cbranch_execz .LBB757_200
; %bb.199:
	v_and_b32_e32 v31, 7, v30
	v_ffbh_u32_e32 v42, v31
	v_min_u32_e32 v42, 32, v42
	v_subrev_u32_e32 v47, 28, v42
	v_lshlrev_b64 v[48:49], v47, v[30:31]
	v_lshrrev_b32_e32 v33, 3, v32
	v_sub_u32_e32 v42, 29, v42
	v_and_b32_e32 v47, 7, v48
	v_cmp_gt_u32_e32 vcc, 8, v32
	v_cndmask_b32_e32 v32, v33, v42, vcc
	v_cndmask_b32_e32 v31, v31, v47, vcc
	v_lshlrev_b32_e32 v30, 24, v30
	v_bfrev_b32_e32 v33, 60
	v_lshlrev_b32_e32 v31, 20, v31
	v_and_b32_e32 v30, 0x80000000, v30
	v_lshl_add_u32 v32, v32, 23, v33
	v_or3_b32 v30, v30, v32, v31
	v_lshrrev_b32_e32 v31, 16, v30
.LBB757_200:
	s_or_b64 exec, exec, s[22:23]
.LBB757_201:
	s_or_b64 exec, exec, s[20:21]
.LBB757_202:
	s_or_b64 exec, exec, s[10:11]
	s_mov_b32 s10, 0x5040100
	v_perm_b32 v33, v39, v37, s10
	v_perm_b32 v32, v35, v36, s10
	;; [unrolled: 1-line block ×4, first 2 shown]
	v_mfma_f32_4x4x4bf16_1k a[0:3], v[2:3], v[32:33], a[0:3] cbsz:4 abid:3
	v_mov_b32_e32 v33, 0
	v_mfma_f32_4x4x4bf16_1k a[0:3], v[4:5], v[30:31], a[0:3] cbsz:4 abid:3
	v_cmp_ne_u16_sdwa s[20:21], v26, v33 src0_sel:BYTE_0 src1_sel:DWORD
	v_mov_b32_e32 v34, 0
	s_and_saveexec_b64 s[10:11], s[20:21]
	s_cbranch_execz .LBB757_208
; %bb.203:
	s_movk_i32 s20, 0x80
	v_cmp_ne_u16_sdwa s[22:23], v26, s20 src0_sel:BYTE_0 src1_sel:DWORD
	v_mov_b32_e32 v34, 0xffff8000
	s_and_saveexec_b64 s[20:21], s[22:23]
	s_cbranch_execz .LBB757_207
; %bb.204:
	s_movk_i32 s22, 0x7f
	v_and_b32_e32 v30, 0x7f, v26
	v_cmp_ne_u32_e32 vcc, s22, v30
	v_mov_b32_e32 v34, 0x7f80
	s_and_saveexec_b64 s[22:23], vcc
	s_cbranch_execz .LBB757_206
; %bb.205:
	v_and_b32_e32 v31, 7, v26
	v_ffbh_u32_e32 v31, v31
	v_min_u32_e32 v31, 32, v31
	v_subrev_u32_e32 v34, 28, v31
	v_cmp_gt_u32_e32 vcc, 8, v30
	v_lshrrev_b32_e32 v32, 3, v30
	v_sub_u32_e32 v31, 29, v31
	v_cndmask_b32_e32 v30, 0, v34, vcc
	v_cndmask_b32_e32 v32, v32, v31, vcc
	v_lshlrev_b64 v[30:31], v30, v[26:27]
	v_lshlrev_b32_e32 v30, 20, v30
	v_lshlrev_b32_e32 v31, 24, v26
	v_bfrev_b32_e32 v34, 60
	v_and_b32_e32 v30, 0x700000, v30
	v_and_b32_e32 v31, 0x80000000, v31
	v_lshl_add_u32 v32, v32, 23, v34
	v_or3_b32 v30, v31, v32, v30
	v_lshrrev_b32_e32 v34, 16, v30
.LBB757_206:
	s_or_b64 exec, exec, s[22:23]
.LBB757_207:
	s_or_b64 exec, exec, s[20:21]
.LBB757_208:
	s_or_b64 exec, exec, s[10:11]
	v_lshrrev_b16_e32 v30, 8, v26
	v_cmp_ne_u16_e32 vcc, 0, v30
	s_and_saveexec_b64 s[10:11], vcc
	s_cbranch_execz .LBB757_214
; %bb.209:
	s_movk_i32 s20, 0x80
	v_cmp_ne_u16_e32 vcc, s20, v30
	v_mov_b32_e32 v33, 0xffff8000
	s_and_saveexec_b64 s[20:21], vcc
	s_cbranch_execz .LBB757_213
; %bb.210:
	s_movk_i32 s22, 0x7f
	v_and_b32_e32 v31, 0x7f, v30
	v_cmp_ne_u32_e32 vcc, s22, v31
	v_mov_b32_e32 v33, 0x7f80
	s_and_saveexec_b64 s[22:23], vcc
	s_cbranch_execz .LBB757_212
; %bb.211:
	v_and_b32_e32 v35, 7, v30
	v_ffbh_u32_e32 v32, v35
	v_min_u32_e32 v37, 32, v32
	v_subrev_u32_e32 v32, 28, v37
	v_lshlrev_b64 v[32:33], v32, v[30:31]
	v_lshrrev_b32_e32 v36, 3, v31
	v_sub_u32_e32 v30, 29, v37
	v_and_b32_e32 v32, 7, v32
	v_cmp_gt_u32_e32 vcc, 8, v31
	v_cndmask_b32_e32 v30, v36, v30, vcc
	v_cndmask_b32_e32 v31, v35, v32, vcc
	v_lshlrev_b32_e32 v32, 16, v26
	v_bfrev_b32_e32 v33, 60
	v_lshlrev_b32_e32 v31, 20, v31
	v_and_b32_e32 v32, 0x80000000, v32
	v_lshl_add_u32 v30, v30, 23, v33
	v_or3_b32 v30, v32, v30, v31
	v_lshrrev_b32_e32 v33, 16, v30
.LBB757_212:
	s_or_b64 exec, exec, s[22:23]
.LBB757_213:
	s_or_b64 exec, exec, s[20:21]
.LBB757_214:
	s_or_b64 exec, exec, s[10:11]
	s_movk_i32 s10, 0xff
	v_and_b32_sdwa v32, v26, s10 dst_sel:DWORD dst_unused:UNUSED_PAD src0_sel:WORD_1 src1_sel:DWORD
	v_lshrrev_b32_e32 v30, 16, v26
	v_cmp_ne_u16_e32 vcc, 0, v32
	v_mov_b32_e32 v31, 0
	v_mov_b32_e32 v35, 0
	s_and_saveexec_b64 s[10:11], vcc
	s_cbranch_execz .LBB757_220
; %bb.215:
	s_movk_i32 s20, 0x80
	v_cmp_ne_u16_e32 vcc, s20, v32
	v_mov_b32_e32 v35, 0xffff8000
	s_and_saveexec_b64 s[20:21], vcc
	s_cbranch_execz .LBB757_219
; %bb.216:
	v_bfe_u32 v32, v26, 16, 7
	s_movk_i32 s22, 0x7f
	v_cmp_ne_u32_e32 vcc, s22, v32
	v_mov_b32_e32 v35, 0x7f80
	s_and_saveexec_b64 s[22:23], vcc
	s_cbranch_execz .LBB757_218
; %bb.217:
	v_and_b32_e32 v35, 7, v30
	v_ffbh_u32_e32 v36, v35
	v_min_u32_e32 v40, 32, v36
	v_subrev_u32_e32 v36, 28, v40
	v_lshlrev_b64 v[36:37], v36, v[30:31]
	v_and_b32_e32 v36, 7, v36
	v_cmp_gt_u32_e32 vcc, 8, v32
	v_lshrrev_b32_e32 v39, 3, v32
	v_sub_u32_e32 v30, 29, v40
	v_cndmask_b32_e32 v32, v35, v36, vcc
	v_mov_b32_e32 v35, 24
	v_cndmask_b32_e32 v30, v39, v30, vcc
	v_lshlrev_b32_sdwa v35, v35, v26 dst_sel:DWORD dst_unused:UNUSED_PAD src0_sel:DWORD src1_sel:WORD_1
	v_bfrev_b32_e32 v36, 60
	v_lshlrev_b32_e32 v32, 20, v32
	v_and_b32_e32 v35, 0x80000000, v35
	v_lshl_add_u32 v30, v30, 23, v36
	v_or3_b32 v30, v35, v30, v32
	v_lshrrev_b32_e32 v35, 16, v30
.LBB757_218:
	s_or_b64 exec, exec, s[22:23]
.LBB757_219:
	s_or_b64 exec, exec, s[20:21]
.LBB757_220:
	s_or_b64 exec, exec, s[10:11]
	s_mov_b32 s10, 0xffffff
	v_cmp_lt_u32_e32 vcc, s10, v26
	v_mov_b32_e32 v36, 0
	s_and_saveexec_b64 s[10:11], vcc
	s_cbranch_execz .LBB757_226
; %bb.221:
	v_lshrrev_b32_e32 v30, 24, v26
	s_movk_i32 s20, 0x80
	v_cmp_ne_u32_e32 vcc, s20, v30
	v_mov_b32_e32 v36, 0xffff8000
	s_and_saveexec_b64 s[20:21], vcc
	s_cbranch_execz .LBB757_225
; %bb.222:
	v_bfe_u32 v32, v26, 24, 7
	s_movk_i32 s22, 0x7f
	v_cmp_ne_u32_e32 vcc, s22, v32
	v_mov_b32_e32 v36, 0x7f80
	s_and_saveexec_b64 s[22:23], vcc
	s_cbranch_execz .LBB757_224
; %bb.223:
	v_and_b32_e32 v39, 7, v30
	v_ffbh_u32_e32 v36, v39
	v_min_u32_e32 v41, 32, v36
	v_subrev_u32_e32 v36, 28, v41
	v_lshlrev_b64 v[36:37], v36, v[30:31]
	v_lshrrev_b32_e32 v40, 3, v32
	v_sub_u32_e32 v37, 29, v41
	v_and_b32_e32 v36, 7, v36
	v_cmp_gt_u32_e32 vcc, 8, v32
	v_cndmask_b32_e32 v32, v40, v37, vcc
	v_cndmask_b32_e32 v36, v39, v36, vcc
	v_lshlrev_b32_e32 v30, 24, v30
	v_bfrev_b32_e32 v37, 60
	v_lshlrev_b32_e32 v36, 20, v36
	v_and_b32_e32 v30, 0x80000000, v30
	v_lshl_add_u32 v32, v32, 23, v37
	v_or3_b32 v30, v30, v32, v36
	v_lshrrev_b32_e32 v36, 16, v30
.LBB757_224:
	s_or_b64 exec, exec, s[22:23]
.LBB757_225:
	s_or_b64 exec, exec, s[20:21]
.LBB757_226:
	s_or_b64 exec, exec, s[10:11]
	v_mov_b32_e32 v37, 0
	v_mov_b32_e32 v30, v27
	v_cmp_ne_u16_sdwa s[20:21], v27, v37 src0_sel:BYTE_0 src1_sel:DWORD
	v_mov_b32_e32 v39, 0
	s_and_saveexec_b64 s[10:11], s[20:21]
	s_cbranch_execz .LBB757_232
; %bb.227:
	s_movk_i32 s20, 0x80
	v_cmp_ne_u16_sdwa s[22:23], v27, s20 src0_sel:BYTE_0 src1_sel:DWORD
	v_mov_b32_e32 v39, 0xffff8000
	s_and_saveexec_b64 s[20:21], s[22:23]
	s_cbranch_execz .LBB757_231
; %bb.228:
	s_movk_i32 s22, 0x7f
	v_and_b32_e32 v32, 0x7f, v27
	v_cmp_ne_u32_e32 vcc, s22, v32
	v_mov_b32_e32 v39, 0x7f80
	s_and_saveexec_b64 s[22:23], vcc
	s_cbranch_execz .LBB757_230
; %bb.229:
	v_and_b32_e32 v39, 7, v27
	v_ffbh_u32_e32 v39, v39
	v_min_u32_e32 v39, 32, v39
	v_lshrrev_b32_e32 v40, 3, v32
	v_subrev_u32_e32 v41, 28, v39
	v_sub_u32_e32 v39, 29, v39
	v_cmp_gt_u32_e32 vcc, 8, v32
	v_cndmask_b32_e32 v32, v40, v39, vcc
	v_cndmask_b32_e32 v39, 0, v41, vcc
	v_lshlrev_b64 v[40:41], v39, v[30:31]
	v_lshlrev_b32_e32 v31, 20, v40
	v_lshlrev_b32_e32 v39, 24, v30
	v_bfrev_b32_e32 v40, 60
	v_and_b32_e32 v31, 0x700000, v31
	v_and_b32_e32 v39, 0x80000000, v39
	v_lshl_add_u32 v32, v32, 23, v40
	v_or3_b32 v31, v39, v32, v31
	v_lshrrev_b32_e32 v39, 16, v31
.LBB757_230:
	s_or_b64 exec, exec, s[22:23]
.LBB757_231:
	s_or_b64 exec, exec, s[20:21]
.LBB757_232:
	s_or_b64 exec, exec, s[10:11]
	v_lshrrev_b16_e32 v32, 8, v30
	v_cmp_ne_u16_e32 vcc, 0, v32
	s_and_saveexec_b64 s[10:11], vcc
	s_cbranch_execz .LBB757_238
; %bb.233:
	s_movk_i32 s20, 0x80
	v_cmp_ne_u16_e32 vcc, s20, v32
	v_mov_b32_e32 v37, 0xffff8000
	s_and_saveexec_b64 s[20:21], vcc
	s_cbranch_execz .LBB757_237
; %bb.234:
	s_movk_i32 s22, 0x7f
	v_and_b32_e32 v31, 0x7f, v32
	v_cmp_ne_u32_e32 vcc, s22, v31
	v_mov_b32_e32 v37, 0x7f80
	s_and_saveexec_b64 s[22:23], vcc
	s_cbranch_execz .LBB757_236
; %bb.235:
	v_and_b32_e32 v37, 7, v32
	v_ffbh_u32_e32 v40, v37
	v_min_u32_e32 v47, 32, v40
	v_subrev_u32_e32 v40, 28, v47
	v_lshlrev_b64 v[40:41], v40, v[32:33]
	v_lshrrev_b32_e32 v42, 3, v31
	v_sub_u32_e32 v32, 29, v47
	v_and_b32_e32 v40, 7, v40
	v_cmp_gt_u32_e32 vcc, 8, v31
	v_cndmask_b32_e32 v31, v42, v32, vcc
	v_cndmask_b32_e32 v32, v37, v40, vcc
	v_lshlrev_b32_e32 v30, 16, v30
	v_bfrev_b32_e32 v37, 60
	v_lshlrev_b32_e32 v32, 20, v32
	v_and_b32_e32 v30, 0x80000000, v30
	v_lshl_add_u32 v31, v31, 23, v37
	v_or3_b32 v30, v30, v31, v32
	v_lshrrev_b32_e32 v37, 16, v30
.LBB757_236:
	s_or_b64 exec, exec, s[22:23]
.LBB757_237:
	s_or_b64 exec, exec, s[20:21]
.LBB757_238:
	s_or_b64 exec, exec, s[10:11]
	s_movk_i32 s10, 0xff
	v_and_b32_sdwa v40, v27, s10 dst_sel:DWORD dst_unused:UNUSED_PAD src0_sel:WORD_1 src1_sel:DWORD
	v_lshrrev_b32_e32 v30, 16, v27
	v_cmp_ne_u16_e32 vcc, 0, v40
	v_mov_b32_e32 v31, 0
	v_mov_b32_e32 v32, 0
	s_and_saveexec_b64 s[10:11], vcc
	s_cbranch_execz .LBB757_244
; %bb.239:
	s_movk_i32 s20, 0x80
	v_cmp_ne_u16_e32 vcc, s20, v40
	v_mov_b32_e32 v32, 0xffff8000
	s_and_saveexec_b64 s[20:21], vcc
	s_cbranch_execz .LBB757_243
; %bb.240:
	v_bfe_u32 v40, v27, 16, 7
	s_movk_i32 s22, 0x7f
	v_cmp_ne_u32_e32 vcc, s22, v40
	v_mov_b32_e32 v32, 0x7f80
	s_and_saveexec_b64 s[22:23], vcc
	s_cbranch_execz .LBB757_242
; %bb.241:
	v_and_b32_e32 v32, 7, v30
	v_ffbh_u32_e32 v42, v32
	v_min_u32_e32 v42, 32, v42
	v_subrev_u32_e32 v47, 28, v42
	v_lshlrev_b64 v[48:49], v47, v[30:31]
	v_lshrrev_b32_e32 v41, 3, v40
	v_sub_u32_e32 v30, 29, v42
	v_and_b32_e32 v42, 7, v48
	v_cmp_gt_u32_e32 vcc, 8, v40
	v_mov_b32_e32 v40, 24
	v_cndmask_b32_e32 v30, v41, v30, vcc
	v_cndmask_b32_e32 v32, v32, v42, vcc
	v_lshlrev_b32_sdwa v40, v40, v27 dst_sel:DWORD dst_unused:UNUSED_PAD src0_sel:DWORD src1_sel:WORD_1
	v_bfrev_b32_e32 v41, 60
	v_lshlrev_b32_e32 v32, 20, v32
	v_and_b32_e32 v40, 0x80000000, v40
	v_lshl_add_u32 v30, v30, 23, v41
	v_or3_b32 v30, v40, v30, v32
	v_lshrrev_b32_e32 v32, 16, v30
.LBB757_242:
	s_or_b64 exec, exec, s[22:23]
.LBB757_243:
	s_or_b64 exec, exec, s[20:21]
.LBB757_244:
	s_or_b64 exec, exec, s[10:11]
	s_mov_b32 s10, -1
	s_mov_b32 s11, 0xffffff
	v_cmp_lt_u64_e32 vcc, s[10:11], v[26:27]
	s_and_saveexec_b64 s[10:11], vcc
	s_cbranch_execz .LBB757_250
; %bb.245:
	v_lshrrev_b32_e32 v26, 24, v27
	s_movk_i32 s20, 0x80
	v_cmp_ne_u32_e32 vcc, s20, v26
	v_mov_b32_e32 v31, 0xffff8000
	s_and_saveexec_b64 s[20:21], vcc
	s_cbranch_execz .LBB757_249
; %bb.246:
	v_bfe_u32 v27, v27, 24, 7
	s_movk_i32 s22, 0x7f
	v_cmp_ne_u32_e32 vcc, s22, v27
	v_mov_b32_e32 v31, 0x7f80
	s_and_saveexec_b64 s[22:23], vcc
	s_cbranch_execz .LBB757_248
; %bb.247:
	v_and_b32_e32 v40, 7, v26
	v_ffbh_u32_e32 v30, v40
	v_min_u32_e32 v42, 32, v30
	v_subrev_u32_e32 v30, 28, v42
	v_lshlrev_b64 v[30:31], v30, v[26:27]
	v_lshrrev_b32_e32 v41, 3, v27
	v_sub_u32_e32 v31, 29, v42
	v_and_b32_e32 v30, 7, v30
	v_cmp_gt_u32_e32 vcc, 8, v27
	v_cndmask_b32_e32 v27, v41, v31, vcc
	v_cndmask_b32_e32 v30, v40, v30, vcc
	v_lshlrev_b32_e32 v26, 24, v26
	v_bfrev_b32_e32 v31, 60
	v_lshlrev_b32_e32 v30, 20, v30
	v_and_b32_e32 v26, 0x80000000, v26
	v_lshl_add_u32 v27, v27, 23, v31
	v_or3_b32 v26, v26, v27, v30
	v_lshrrev_b32_e32 v31, 16, v26
.LBB757_248:
	s_or_b64 exec, exec, s[22:23]
.LBB757_249:
	s_or_b64 exec, exec, s[20:21]
.LBB757_250:
	s_or_b64 exec, exec, s[10:11]
	s_mov_b32 s10, 0x5040100
	v_perm_b32 v27, v36, v35, s10
	v_perm_b32 v26, v33, v34, s10
	;; [unrolled: 1-line block ×4, first 2 shown]
	v_mfma_f32_4x4x4bf16_1k a[0:3], v[2:3], v[26:27], a[0:3] cbsz:4 abid:4
	v_mov_b32_e32 v32, 0
	v_mfma_f32_4x4x4bf16_1k a[0:3], v[4:5], v[30:31], a[0:3] cbsz:4 abid:4
	v_mov_b32_e32 v31, 0
	v_cmp_ne_u16_sdwa s[20:21], v28, v31 src0_sel:BYTE_0 src1_sel:DWORD
	s_and_saveexec_b64 s[10:11], s[20:21]
	s_cbranch_execz .LBB757_256
; %bb.251:
	s_movk_i32 s20, 0x80
	v_cmp_ne_u16_sdwa s[22:23], v28, s20 src0_sel:BYTE_0 src1_sel:DWORD
	v_mov_b32_e32 v32, 0xffff8000
	s_and_saveexec_b64 s[20:21], s[22:23]
	s_cbranch_execz .LBB757_255
; %bb.252:
	s_movk_i32 s22, 0x7f
	v_and_b32_e32 v26, 0x7f, v28
	v_cmp_ne_u32_e32 vcc, s22, v26
	v_mov_b32_e32 v32, 0x7f80
	s_and_saveexec_b64 s[22:23], vcc
	s_cbranch_execz .LBB757_254
; %bb.253:
	v_and_b32_e32 v27, 7, v28
	v_ffbh_u32_e32 v27, v27
	v_min_u32_e32 v27, 32, v27
	v_subrev_u32_e32 v32, 28, v27
	v_cmp_gt_u32_e32 vcc, 8, v26
	v_lshrrev_b32_e32 v30, 3, v26
	v_sub_u32_e32 v27, 29, v27
	v_cndmask_b32_e32 v26, 0, v32, vcc
	v_cndmask_b32_e32 v30, v30, v27, vcc
	v_lshlrev_b64 v[26:27], v26, v[28:29]
	v_lshlrev_b32_e32 v26, 20, v26
	v_lshlrev_b32_e32 v27, 24, v28
	v_bfrev_b32_e32 v32, 60
	v_and_b32_e32 v26, 0x700000, v26
	v_and_b32_e32 v27, 0x80000000, v27
	v_lshl_add_u32 v30, v30, 23, v32
	v_or3_b32 v26, v27, v30, v26
	v_lshrrev_b32_e32 v32, 16, v26
.LBB757_254:
	s_or_b64 exec, exec, s[22:23]
.LBB757_255:
	s_or_b64 exec, exec, s[20:21]
.LBB757_256:
	s_or_b64 exec, exec, s[10:11]
	v_lshrrev_b16_e32 v26, 8, v28
	v_cmp_ne_u16_e32 vcc, 0, v26
	s_and_saveexec_b64 s[10:11], vcc
	s_cbranch_execz .LBB757_262
; %bb.257:
	s_movk_i32 s20, 0x80
	v_cmp_ne_u16_e32 vcc, s20, v26
	v_mov_b32_e32 v31, 0xffff8000
	s_and_saveexec_b64 s[20:21], vcc
	s_cbranch_execz .LBB757_261
; %bb.258:
	s_movk_i32 s22, 0x7f
	v_and_b32_e32 v27, 0x7f, v26
	v_cmp_ne_u32_e32 vcc, s22, v27
	v_mov_b32_e32 v31, 0x7f80
	s_and_saveexec_b64 s[22:23], vcc
	s_cbranch_execz .LBB757_260
; %bb.259:
	v_and_b32_e32 v33, 7, v26
	v_ffbh_u32_e32 v30, v33
	v_min_u32_e32 v35, 32, v30
	v_subrev_u32_e32 v30, 28, v35
	v_lshlrev_b64 v[30:31], v30, v[26:27]
	v_lshrrev_b32_e32 v34, 3, v27
	v_sub_u32_e32 v26, 29, v35
	v_and_b32_e32 v30, 7, v30
	v_cmp_gt_u32_e32 vcc, 8, v27
	v_cndmask_b32_e32 v26, v34, v26, vcc
	v_cndmask_b32_e32 v27, v33, v30, vcc
	v_lshlrev_b32_e32 v30, 16, v28
	v_bfrev_b32_e32 v31, 60
	v_lshlrev_b32_e32 v27, 20, v27
	v_and_b32_e32 v30, 0x80000000, v30
	v_lshl_add_u32 v26, v26, 23, v31
	v_or3_b32 v26, v30, v26, v27
	v_lshrrev_b32_e32 v31, 16, v26
.LBB757_260:
	s_or_b64 exec, exec, s[22:23]
.LBB757_261:
	s_or_b64 exec, exec, s[20:21]
.LBB757_262:
	s_or_b64 exec, exec, s[10:11]
	s_movk_i32 s10, 0xff
	v_and_b32_sdwa v30, v28, s10 dst_sel:DWORD dst_unused:UNUSED_PAD src0_sel:WORD_1 src1_sel:DWORD
	v_lshrrev_b32_e32 v26, 16, v28
	v_cmp_ne_u16_e32 vcc, 0, v30
	v_mov_b32_e32 v27, 0
	v_mov_b32_e32 v33, 0
	s_and_saveexec_b64 s[10:11], vcc
	s_cbranch_execz .LBB757_268
; %bb.263:
	s_movk_i32 s20, 0x80
	v_cmp_ne_u16_e32 vcc, s20, v30
	v_mov_b32_e32 v33, 0xffff8000
	s_and_saveexec_b64 s[20:21], vcc
	s_cbranch_execz .LBB757_267
; %bb.264:
	v_bfe_u32 v30, v28, 16, 7
	s_movk_i32 s22, 0x7f
	v_cmp_ne_u32_e32 vcc, s22, v30
	v_mov_b32_e32 v33, 0x7f80
	s_and_saveexec_b64 s[22:23], vcc
	s_cbranch_execz .LBB757_266
; %bb.265:
	v_and_b32_e32 v33, 7, v26
	v_ffbh_u32_e32 v34, v33
	v_min_u32_e32 v37, 32, v34
	v_subrev_u32_e32 v34, 28, v37
	v_lshlrev_b64 v[34:35], v34, v[26:27]
	v_and_b32_e32 v34, 7, v34
	v_cmp_gt_u32_e32 vcc, 8, v30
	v_lshrrev_b32_e32 v36, 3, v30
	v_sub_u32_e32 v26, 29, v37
	v_cndmask_b32_e32 v30, v33, v34, vcc
	v_mov_b32_e32 v33, 24
	v_cndmask_b32_e32 v26, v36, v26, vcc
	v_lshlrev_b32_sdwa v33, v33, v28 dst_sel:DWORD dst_unused:UNUSED_PAD src0_sel:DWORD src1_sel:WORD_1
	v_bfrev_b32_e32 v34, 60
	v_lshlrev_b32_e32 v30, 20, v30
	v_and_b32_e32 v33, 0x80000000, v33
	v_lshl_add_u32 v26, v26, 23, v34
	v_or3_b32 v26, v33, v26, v30
	v_lshrrev_b32_e32 v33, 16, v26
.LBB757_266:
	s_or_b64 exec, exec, s[22:23]
.LBB757_267:
	s_or_b64 exec, exec, s[20:21]
.LBB757_268:
	s_or_b64 exec, exec, s[10:11]
	s_mov_b32 s10, 0xffffff
	v_cmp_lt_u32_e32 vcc, s10, v28
	v_mov_b32_e32 v34, 0
	s_and_saveexec_b64 s[10:11], vcc
	s_cbranch_execz .LBB757_274
; %bb.269:
	v_lshrrev_b32_e32 v26, 24, v28
	s_movk_i32 s20, 0x80
	v_cmp_ne_u32_e32 vcc, s20, v26
	v_mov_b32_e32 v34, 0xffff8000
	s_and_saveexec_b64 s[20:21], vcc
	s_cbranch_execz .LBB757_273
; %bb.270:
	v_bfe_u32 v30, v28, 24, 7
	s_movk_i32 s22, 0x7f
	v_cmp_ne_u32_e32 vcc, s22, v30
	v_mov_b32_e32 v34, 0x7f80
	s_and_saveexec_b64 s[22:23], vcc
	s_cbranch_execz .LBB757_272
; %bb.271:
	v_and_b32_e32 v36, 7, v26
	v_ffbh_u32_e32 v34, v36
	v_min_u32_e32 v39, 32, v34
	v_subrev_u32_e32 v34, 28, v39
	v_lshlrev_b64 v[34:35], v34, v[26:27]
	v_lshrrev_b32_e32 v37, 3, v30
	v_sub_u32_e32 v35, 29, v39
	v_and_b32_e32 v34, 7, v34
	v_cmp_gt_u32_e32 vcc, 8, v30
	v_cndmask_b32_e32 v30, v37, v35, vcc
	v_cndmask_b32_e32 v34, v36, v34, vcc
	v_lshlrev_b32_e32 v26, 24, v26
	v_bfrev_b32_e32 v35, 60
	v_lshlrev_b32_e32 v34, 20, v34
	v_and_b32_e32 v26, 0x80000000, v26
	v_lshl_add_u32 v30, v30, 23, v35
	v_or3_b32 v26, v26, v30, v34
	v_lshrrev_b32_e32 v34, 16, v26
.LBB757_272:
	s_or_b64 exec, exec, s[22:23]
.LBB757_273:
	s_or_b64 exec, exec, s[20:21]
.LBB757_274:
	s_or_b64 exec, exec, s[10:11]
	v_mov_b32_e32 v35, 0
	v_mov_b32_e32 v26, v29
	v_cmp_ne_u16_sdwa s[20:21], v29, v35 src0_sel:BYTE_0 src1_sel:DWORD
	v_mov_b32_e32 v36, 0
	s_and_saveexec_b64 s[10:11], s[20:21]
	s_cbranch_execz .LBB757_280
; %bb.275:
	s_movk_i32 s20, 0x80
	v_cmp_ne_u16_sdwa s[22:23], v29, s20 src0_sel:BYTE_0 src1_sel:DWORD
	v_mov_b32_e32 v36, 0xffff8000
	s_and_saveexec_b64 s[20:21], s[22:23]
	s_cbranch_execz .LBB757_279
; %bb.276:
	s_movk_i32 s22, 0x7f
	v_and_b32_e32 v30, 0x7f, v29
	v_cmp_ne_u32_e32 vcc, s22, v30
	v_mov_b32_e32 v36, 0x7f80
	s_and_saveexec_b64 s[22:23], vcc
	s_cbranch_execz .LBB757_278
; %bb.277:
	v_and_b32_e32 v36, 7, v29
	v_ffbh_u32_e32 v36, v36
	v_min_u32_e32 v36, 32, v36
	v_lshrrev_b32_e32 v37, 3, v30
	v_subrev_u32_e32 v39, 28, v36
	v_sub_u32_e32 v36, 29, v36
	v_cmp_gt_u32_e32 vcc, 8, v30
	v_cndmask_b32_e32 v30, v37, v36, vcc
	v_cndmask_b32_e32 v36, 0, v39, vcc
	v_lshlrev_b64 v[36:37], v36, v[26:27]
	v_lshlrev_b32_e32 v27, 20, v36
	v_lshlrev_b32_e32 v36, 24, v26
	v_bfrev_b32_e32 v37, 60
	v_and_b32_e32 v27, 0x700000, v27
	v_and_b32_e32 v36, 0x80000000, v36
	v_lshl_add_u32 v30, v30, 23, v37
	v_or3_b32 v27, v36, v30, v27
	v_lshrrev_b32_e32 v36, 16, v27
.LBB757_278:
	s_or_b64 exec, exec, s[22:23]
.LBB757_279:
	s_or_b64 exec, exec, s[20:21]
.LBB757_280:
	s_or_b64 exec, exec, s[10:11]
	v_lshrrev_b16_e32 v30, 8, v26
	v_cmp_ne_u16_e32 vcc, 0, v30
	s_and_saveexec_b64 s[10:11], vcc
	s_cbranch_execz .LBB757_286
; %bb.281:
	s_movk_i32 s20, 0x80
	v_cmp_ne_u16_e32 vcc, s20, v30
	v_mov_b32_e32 v35, 0xffff8000
	s_and_saveexec_b64 s[20:21], vcc
	s_cbranch_execz .LBB757_285
; %bb.282:
	s_movk_i32 s22, 0x7f
	v_and_b32_e32 v27, 0x7f, v30
	v_cmp_ne_u32_e32 vcc, s22, v27
	v_mov_b32_e32 v35, 0x7f80
	s_and_saveexec_b64 s[22:23], vcc
	s_cbranch_execz .LBB757_284
; %bb.283:
	v_and_b32_e32 v35, 7, v30
	v_ffbh_u32_e32 v39, v35
	v_min_u32_e32 v39, 32, v39
	v_subrev_u32_e32 v40, 28, v39
	v_lshlrev_b64 v[40:41], v40, v[30:31]
	v_lshrrev_b32_e32 v37, 3, v27
	v_sub_u32_e32 v30, 29, v39
	v_and_b32_e32 v39, 7, v40
	v_cmp_gt_u32_e32 vcc, 8, v27
	v_cndmask_b32_e32 v27, v37, v30, vcc
	v_cndmask_b32_e32 v30, v35, v39, vcc
	v_lshlrev_b32_e32 v26, 16, v26
	v_bfrev_b32_e32 v35, 60
	v_lshlrev_b32_e32 v30, 20, v30
	v_and_b32_e32 v26, 0x80000000, v26
	v_lshl_add_u32 v27, v27, 23, v35
	v_or3_b32 v26, v26, v27, v30
	v_lshrrev_b32_e32 v35, 16, v26
.LBB757_284:
	s_or_b64 exec, exec, s[22:23]
.LBB757_285:
	s_or_b64 exec, exec, s[20:21]
.LBB757_286:
	s_or_b64 exec, exec, s[10:11]
	s_movk_i32 s10, 0xff
	v_and_b32_sdwa v37, v29, s10 dst_sel:DWORD dst_unused:UNUSED_PAD src0_sel:WORD_1 src1_sel:DWORD
	v_lshrrev_b32_e32 v26, 16, v29
	v_cmp_ne_u16_e32 vcc, 0, v37
	v_mov_b32_e32 v27, 0
	v_mov_b32_e32 v30, 0
	s_and_saveexec_b64 s[10:11], vcc
	s_cbranch_execz .LBB757_292
; %bb.287:
	s_movk_i32 s20, 0x80
	v_cmp_ne_u16_e32 vcc, s20, v37
	v_mov_b32_e32 v30, 0xffff8000
	s_and_saveexec_b64 s[20:21], vcc
	s_cbranch_execz .LBB757_291
; %bb.288:
	v_bfe_u32 v37, v29, 16, 7
	s_movk_i32 s22, 0x7f
	v_cmp_ne_u32_e32 vcc, s22, v37
	v_mov_b32_e32 v30, 0x7f80
	s_and_saveexec_b64 s[22:23], vcc
	s_cbranch_execz .LBB757_290
; %bb.289:
	v_and_b32_e32 v30, 7, v26
	v_ffbh_u32_e32 v40, v30
	v_min_u32_e32 v42, 32, v40
	v_subrev_u32_e32 v40, 28, v42
	v_lshlrev_b64 v[40:41], v40, v[26:27]
	v_lshrrev_b32_e32 v39, 3, v37
	v_sub_u32_e32 v26, 29, v42
	v_and_b32_e32 v40, 7, v40
	v_cmp_gt_u32_e32 vcc, 8, v37
	v_mov_b32_e32 v37, 24
	v_cndmask_b32_e32 v26, v39, v26, vcc
	v_cndmask_b32_e32 v30, v30, v40, vcc
	v_lshlrev_b32_sdwa v37, v37, v29 dst_sel:DWORD dst_unused:UNUSED_PAD src0_sel:DWORD src1_sel:WORD_1
	v_bfrev_b32_e32 v39, 60
	v_lshlrev_b32_e32 v30, 20, v30
	v_and_b32_e32 v37, 0x80000000, v37
	v_lshl_add_u32 v26, v26, 23, v39
	v_or3_b32 v26, v37, v26, v30
	v_lshrrev_b32_e32 v30, 16, v26
.LBB757_290:
	s_or_b64 exec, exec, s[22:23]
.LBB757_291:
	s_or_b64 exec, exec, s[20:21]
.LBB757_292:
	s_or_b64 exec, exec, s[10:11]
	s_mov_b32 s10, -1
	s_mov_b32 s11, 0xffffff
	v_cmp_lt_u64_e32 vcc, s[10:11], v[28:29]
	s_and_saveexec_b64 s[10:11], vcc
	s_cbranch_execz .LBB757_298
; %bb.293:
	v_lshrrev_b32_e32 v26, 24, v29
	s_movk_i32 s20, 0x80
	v_cmp_ne_u32_e32 vcc, s20, v26
	v_mov_b32_e32 v27, 0xffff8000
	s_and_saveexec_b64 s[20:21], vcc
	s_cbranch_execz .LBB757_297
; %bb.294:
	v_bfe_u32 v28, v29, 24, 7
	s_movk_i32 s22, 0x7f
	v_cmp_ne_u32_e32 vcc, s22, v28
	v_mov_b32_e32 v27, 0x7f80
	s_and_saveexec_b64 s[22:23], vcc
	s_cbranch_execz .LBB757_296
; %bb.295:
	v_and_b32_e32 v27, 7, v26
	v_ffbh_u32_e32 v37, v27
	v_min_u32_e32 v37, 32, v37
	v_subrev_u32_e32 v39, 28, v37
	v_lshlrev_b64 v[40:41], v39, v[26:27]
	v_lshrrev_b32_e32 v29, 3, v28
	v_sub_u32_e32 v37, 29, v37
	v_and_b32_e32 v39, 7, v40
	v_cmp_gt_u32_e32 vcc, 8, v28
	v_cndmask_b32_e32 v28, v29, v37, vcc
	v_cndmask_b32_e32 v27, v27, v39, vcc
	v_lshlrev_b32_e32 v26, 24, v26
	v_bfrev_b32_e32 v29, 60
	v_lshlrev_b32_e32 v27, 20, v27
	v_and_b32_e32 v26, 0x80000000, v26
	v_lshl_add_u32 v28, v28, 23, v29
	v_or3_b32 v26, v26, v28, v27
	v_lshrrev_b32_e32 v27, 16, v26
.LBB757_296:
	s_or_b64 exec, exec, s[22:23]
.LBB757_297:
	s_or_b64 exec, exec, s[20:21]
.LBB757_298:
	s_or_b64 exec, exec, s[10:11]
	s_mov_b32 s10, 0x5040100
	v_perm_b32 v29, v34, v33, s10
	v_perm_b32 v28, v31, v32, s10
	;; [unrolled: 1-line block ×4, first 2 shown]
	v_mfma_f32_4x4x4bf16_1k a[0:3], v[2:3], v[28:29], a[0:3] cbsz:4 abid:5
	v_mov_b32_e32 v29, 0
	v_mfma_f32_4x4x4bf16_1k a[0:3], v[4:5], v[26:27], a[0:3] cbsz:4 abid:5
	v_cmp_ne_u16_sdwa s[20:21], v22, v29 src0_sel:BYTE_0 src1_sel:DWORD
	v_mov_b32_e32 v30, 0
	s_and_saveexec_b64 s[10:11], s[20:21]
	s_cbranch_execz .LBB757_304
; %bb.299:
	s_movk_i32 s20, 0x80
	v_cmp_ne_u16_sdwa s[22:23], v22, s20 src0_sel:BYTE_0 src1_sel:DWORD
	v_mov_b32_e32 v30, 0xffff8000
	s_and_saveexec_b64 s[20:21], s[22:23]
	s_cbranch_execz .LBB757_303
; %bb.300:
	s_movk_i32 s22, 0x7f
	v_and_b32_e32 v26, 0x7f, v22
	v_cmp_ne_u32_e32 vcc, s22, v26
	v_mov_b32_e32 v30, 0x7f80
	s_and_saveexec_b64 s[22:23], vcc
	s_cbranch_execz .LBB757_302
; %bb.301:
	v_and_b32_e32 v27, 7, v22
	v_ffbh_u32_e32 v27, v27
	v_min_u32_e32 v27, 32, v27
	v_subrev_u32_e32 v30, 28, v27
	v_cmp_gt_u32_e32 vcc, 8, v26
	v_lshrrev_b32_e32 v28, 3, v26
	v_sub_u32_e32 v27, 29, v27
	v_cndmask_b32_e32 v26, 0, v30, vcc
	v_cndmask_b32_e32 v28, v28, v27, vcc
	v_lshlrev_b64 v[26:27], v26, v[22:23]
	v_lshlrev_b32_e32 v26, 20, v26
	v_lshlrev_b32_e32 v27, 24, v22
	v_bfrev_b32_e32 v30, 60
	v_and_b32_e32 v26, 0x700000, v26
	v_and_b32_e32 v27, 0x80000000, v27
	v_lshl_add_u32 v28, v28, 23, v30
	v_or3_b32 v26, v27, v28, v26
	v_lshrrev_b32_e32 v30, 16, v26
.LBB757_302:
	s_or_b64 exec, exec, s[22:23]
.LBB757_303:
	s_or_b64 exec, exec, s[20:21]
.LBB757_304:
	s_or_b64 exec, exec, s[10:11]
	v_lshrrev_b16_e32 v26, 8, v22
	v_cmp_ne_u16_e32 vcc, 0, v26
	s_and_saveexec_b64 s[10:11], vcc
	s_cbranch_execz .LBB757_310
; %bb.305:
	s_movk_i32 s20, 0x80
	v_cmp_ne_u16_e32 vcc, s20, v26
	v_mov_b32_e32 v29, 0xffff8000
	s_and_saveexec_b64 s[20:21], vcc
	s_cbranch_execz .LBB757_309
; %bb.306:
	s_movk_i32 s22, 0x7f
	v_and_b32_e32 v27, 0x7f, v26
	v_cmp_ne_u32_e32 vcc, s22, v27
	v_mov_b32_e32 v29, 0x7f80
	s_and_saveexec_b64 s[22:23], vcc
	s_cbranch_execz .LBB757_308
; %bb.307:
	v_and_b32_e32 v31, 7, v26
	v_ffbh_u32_e32 v28, v31
	v_min_u32_e32 v33, 32, v28
	v_subrev_u32_e32 v28, 28, v33
	v_lshlrev_b64 v[28:29], v28, v[26:27]
	v_lshrrev_b32_e32 v32, 3, v27
	v_sub_u32_e32 v26, 29, v33
	v_and_b32_e32 v28, 7, v28
	v_cmp_gt_u32_e32 vcc, 8, v27
	v_cndmask_b32_e32 v26, v32, v26, vcc
	v_cndmask_b32_e32 v27, v31, v28, vcc
	v_lshlrev_b32_e32 v28, 16, v22
	v_bfrev_b32_e32 v29, 60
	v_lshlrev_b32_e32 v27, 20, v27
	v_and_b32_e32 v28, 0x80000000, v28
	v_lshl_add_u32 v26, v26, 23, v29
	v_or3_b32 v26, v28, v26, v27
	v_lshrrev_b32_e32 v29, 16, v26
.LBB757_308:
	s_or_b64 exec, exec, s[22:23]
.LBB757_309:
	s_or_b64 exec, exec, s[20:21]
.LBB757_310:
	s_or_b64 exec, exec, s[10:11]
	s_movk_i32 s10, 0xff
	v_and_b32_sdwa v28, v22, s10 dst_sel:DWORD dst_unused:UNUSED_PAD src0_sel:WORD_1 src1_sel:DWORD
	v_lshrrev_b32_e32 v26, 16, v22
	v_cmp_ne_u16_e32 vcc, 0, v28
	v_mov_b32_e32 v27, 0
	v_mov_b32_e32 v31, 0
	s_and_saveexec_b64 s[10:11], vcc
	s_cbranch_execz .LBB757_316
; %bb.311:
	s_movk_i32 s20, 0x80
	v_cmp_ne_u16_e32 vcc, s20, v28
	v_mov_b32_e32 v31, 0xffff8000
	s_and_saveexec_b64 s[20:21], vcc
	s_cbranch_execz .LBB757_315
; %bb.312:
	v_bfe_u32 v28, v22, 16, 7
	s_movk_i32 s22, 0x7f
	v_cmp_ne_u32_e32 vcc, s22, v28
	v_mov_b32_e32 v31, 0x7f80
	s_and_saveexec_b64 s[22:23], vcc
	s_cbranch_execz .LBB757_314
; %bb.313:
	v_and_b32_e32 v31, 7, v26
	v_ffbh_u32_e32 v32, v31
	v_min_u32_e32 v35, 32, v32
	v_subrev_u32_e32 v32, 28, v35
	v_lshlrev_b64 v[32:33], v32, v[26:27]
	v_and_b32_e32 v32, 7, v32
	v_cmp_gt_u32_e32 vcc, 8, v28
	v_lshrrev_b32_e32 v34, 3, v28
	v_sub_u32_e32 v26, 29, v35
	v_cndmask_b32_e32 v28, v31, v32, vcc
	v_mov_b32_e32 v31, 24
	v_cndmask_b32_e32 v26, v34, v26, vcc
	v_lshlrev_b32_sdwa v31, v31, v22 dst_sel:DWORD dst_unused:UNUSED_PAD src0_sel:DWORD src1_sel:WORD_1
	v_bfrev_b32_e32 v32, 60
	v_lshlrev_b32_e32 v28, 20, v28
	v_and_b32_e32 v31, 0x80000000, v31
	v_lshl_add_u32 v26, v26, 23, v32
	v_or3_b32 v26, v31, v26, v28
	v_lshrrev_b32_e32 v31, 16, v26
.LBB757_314:
	s_or_b64 exec, exec, s[22:23]
.LBB757_315:
	s_or_b64 exec, exec, s[20:21]
.LBB757_316:
	s_or_b64 exec, exec, s[10:11]
	s_mov_b32 s10, 0xffffff
	v_cmp_lt_u32_e32 vcc, s10, v22
	v_mov_b32_e32 v32, 0
	s_and_saveexec_b64 s[10:11], vcc
	s_cbranch_execz .LBB757_322
; %bb.317:
	v_lshrrev_b32_e32 v26, 24, v22
	s_movk_i32 s20, 0x80
	v_cmp_ne_u32_e32 vcc, s20, v26
	v_mov_b32_e32 v32, 0xffff8000
	s_and_saveexec_b64 s[20:21], vcc
	s_cbranch_execz .LBB757_321
; %bb.318:
	v_bfe_u32 v28, v22, 24, 7
	s_movk_i32 s22, 0x7f
	v_cmp_ne_u32_e32 vcc, s22, v28
	v_mov_b32_e32 v32, 0x7f80
	s_and_saveexec_b64 s[22:23], vcc
	s_cbranch_execz .LBB757_320
; %bb.319:
	v_and_b32_e32 v34, 7, v26
	v_ffbh_u32_e32 v32, v34
	v_min_u32_e32 v36, 32, v32
	v_subrev_u32_e32 v32, 28, v36
	v_lshlrev_b64 v[32:33], v32, v[26:27]
	v_lshrrev_b32_e32 v35, 3, v28
	v_sub_u32_e32 v33, 29, v36
	v_and_b32_e32 v32, 7, v32
	v_cmp_gt_u32_e32 vcc, 8, v28
	v_cndmask_b32_e32 v28, v35, v33, vcc
	v_cndmask_b32_e32 v32, v34, v32, vcc
	v_lshlrev_b32_e32 v26, 24, v26
	v_bfrev_b32_e32 v33, 60
	v_lshlrev_b32_e32 v32, 20, v32
	v_and_b32_e32 v26, 0x80000000, v26
	v_lshl_add_u32 v28, v28, 23, v33
	v_or3_b32 v26, v26, v28, v32
	v_lshrrev_b32_e32 v32, 16, v26
.LBB757_320:
	s_or_b64 exec, exec, s[22:23]
.LBB757_321:
	s_or_b64 exec, exec, s[20:21]
.LBB757_322:
	s_or_b64 exec, exec, s[10:11]
	v_mov_b32_e32 v33, 0
	v_mov_b32_e32 v26, v23
	v_cmp_ne_u16_sdwa s[20:21], v23, v33 src0_sel:BYTE_0 src1_sel:DWORD
	v_mov_b32_e32 v34, 0
	s_and_saveexec_b64 s[10:11], s[20:21]
	s_cbranch_execz .LBB757_328
; %bb.323:
	s_movk_i32 s20, 0x80
	v_cmp_ne_u16_sdwa s[22:23], v23, s20 src0_sel:BYTE_0 src1_sel:DWORD
	v_mov_b32_e32 v34, 0xffff8000
	s_and_saveexec_b64 s[20:21], s[22:23]
	s_cbranch_execz .LBB757_327
; %bb.324:
	s_movk_i32 s22, 0x7f
	v_and_b32_e32 v28, 0x7f, v23
	v_cmp_ne_u32_e32 vcc, s22, v28
	v_mov_b32_e32 v34, 0x7f80
	s_and_saveexec_b64 s[22:23], vcc
	s_cbranch_execz .LBB757_326
; %bb.325:
	v_and_b32_e32 v34, 7, v23
	v_ffbh_u32_e32 v34, v34
	v_min_u32_e32 v34, 32, v34
	v_lshrrev_b32_e32 v35, 3, v28
	v_subrev_u32_e32 v36, 28, v34
	v_sub_u32_e32 v34, 29, v34
	v_cmp_gt_u32_e32 vcc, 8, v28
	v_cndmask_b32_e32 v28, v35, v34, vcc
	v_cndmask_b32_e32 v34, 0, v36, vcc
	v_lshlrev_b64 v[34:35], v34, v[26:27]
	v_lshlrev_b32_e32 v27, 20, v34
	v_lshlrev_b32_e32 v34, 24, v26
	v_bfrev_b32_e32 v35, 60
	v_and_b32_e32 v27, 0x700000, v27
	v_and_b32_e32 v34, 0x80000000, v34
	v_lshl_add_u32 v28, v28, 23, v35
	v_or3_b32 v27, v34, v28, v27
	v_lshrrev_b32_e32 v34, 16, v27
.LBB757_326:
	s_or_b64 exec, exec, s[22:23]
.LBB757_327:
	s_or_b64 exec, exec, s[20:21]
.LBB757_328:
	s_or_b64 exec, exec, s[10:11]
	v_lshrrev_b16_e32 v28, 8, v26
	v_cmp_ne_u16_e32 vcc, 0, v28
	s_and_saveexec_b64 s[10:11], vcc
	s_cbranch_execz .LBB757_334
; %bb.329:
	s_movk_i32 s20, 0x80
	v_cmp_ne_u16_e32 vcc, s20, v28
	v_mov_b32_e32 v33, 0xffff8000
	s_and_saveexec_b64 s[20:21], vcc
	s_cbranch_execz .LBB757_333
; %bb.330:
	s_movk_i32 s22, 0x7f
	v_and_b32_e32 v27, 0x7f, v28
	v_cmp_ne_u32_e32 vcc, s22, v27
	v_mov_b32_e32 v33, 0x7f80
	s_and_saveexec_b64 s[22:23], vcc
	s_cbranch_execz .LBB757_332
; %bb.331:
	v_and_b32_e32 v33, 7, v28
	v_ffbh_u32_e32 v36, v33
	v_min_u32_e32 v39, 32, v36
	v_subrev_u32_e32 v36, 28, v39
	v_lshlrev_b64 v[36:37], v36, v[28:29]
	v_lshrrev_b32_e32 v35, 3, v27
	v_sub_u32_e32 v28, 29, v39
	v_and_b32_e32 v36, 7, v36
	v_cmp_gt_u32_e32 vcc, 8, v27
	v_cndmask_b32_e32 v27, v35, v28, vcc
	v_cndmask_b32_e32 v28, v33, v36, vcc
	v_lshlrev_b32_e32 v26, 16, v26
	v_bfrev_b32_e32 v33, 60
	v_lshlrev_b32_e32 v28, 20, v28
	v_and_b32_e32 v26, 0x80000000, v26
	v_lshl_add_u32 v27, v27, 23, v33
	v_or3_b32 v26, v26, v27, v28
	v_lshrrev_b32_e32 v33, 16, v26
.LBB757_332:
	s_or_b64 exec, exec, s[22:23]
.LBB757_333:
	s_or_b64 exec, exec, s[20:21]
.LBB757_334:
	s_or_b64 exec, exec, s[10:11]
	s_movk_i32 s10, 0xff
	v_and_b32_sdwa v35, v23, s10 dst_sel:DWORD dst_unused:UNUSED_PAD src0_sel:WORD_1 src1_sel:DWORD
	v_lshrrev_b32_e32 v26, 16, v23
	v_cmp_ne_u16_e32 vcc, 0, v35
	v_mov_b32_e32 v27, 0
	v_mov_b32_e32 v28, 0
	s_and_saveexec_b64 s[10:11], vcc
	s_cbranch_execz .LBB757_340
; %bb.335:
	s_movk_i32 s20, 0x80
	v_cmp_ne_u16_e32 vcc, s20, v35
	v_mov_b32_e32 v28, 0xffff8000
	s_and_saveexec_b64 s[20:21], vcc
	s_cbranch_execz .LBB757_339
; %bb.336:
	v_bfe_u32 v35, v23, 16, 7
	s_movk_i32 s22, 0x7f
	v_cmp_ne_u32_e32 vcc, s22, v35
	v_mov_b32_e32 v28, 0x7f80
	s_and_saveexec_b64 s[22:23], vcc
	s_cbranch_execz .LBB757_338
; %bb.337:
	v_and_b32_e32 v28, 7, v26
	v_ffbh_u32_e32 v36, v28
	v_min_u32_e32 v40, 32, v36
	v_subrev_u32_e32 v36, 28, v40
	v_lshlrev_b64 v[36:37], v36, v[26:27]
	v_lshrrev_b32_e32 v39, 3, v35
	v_sub_u32_e32 v26, 29, v40
	v_and_b32_e32 v36, 7, v36
	v_cmp_gt_u32_e32 vcc, 8, v35
	v_mov_b32_e32 v35, 24
	v_cndmask_b32_e32 v26, v39, v26, vcc
	v_cndmask_b32_e32 v28, v28, v36, vcc
	v_lshlrev_b32_sdwa v35, v35, v23 dst_sel:DWORD dst_unused:UNUSED_PAD src0_sel:DWORD src1_sel:WORD_1
	v_bfrev_b32_e32 v36, 60
	v_lshlrev_b32_e32 v28, 20, v28
	v_and_b32_e32 v35, 0x80000000, v35
	v_lshl_add_u32 v26, v26, 23, v36
	v_or3_b32 v26, v35, v26, v28
	v_lshrrev_b32_e32 v28, 16, v26
.LBB757_338:
	s_or_b64 exec, exec, s[22:23]
.LBB757_339:
	s_or_b64 exec, exec, s[20:21]
.LBB757_340:
	s_or_b64 exec, exec, s[10:11]
	s_mov_b32 s10, -1
	s_mov_b32 s11, 0xffffff
	v_cmp_lt_u64_e32 vcc, s[10:11], v[22:23]
	s_and_saveexec_b64 s[10:11], vcc
	s_cbranch_execz .LBB757_346
; %bb.341:
	v_lshrrev_b32_e32 v22, 24, v23
	s_movk_i32 s20, 0x80
	v_cmp_ne_u32_e32 vcc, s20, v22
	v_mov_b32_e32 v27, 0xffff8000
	s_and_saveexec_b64 s[20:21], vcc
	s_cbranch_execz .LBB757_345
; %bb.342:
	v_bfe_u32 v23, v23, 24, 7
	s_movk_i32 s22, 0x7f
	v_cmp_ne_u32_e32 vcc, s22, v23
	v_mov_b32_e32 v27, 0x7f80
	s_and_saveexec_b64 s[22:23], vcc
	s_cbranch_execz .LBB757_344
; %bb.343:
	v_and_b32_e32 v35, 7, v22
	v_ffbh_u32_e32 v26, v35
	v_min_u32_e32 v37, 32, v26
	v_subrev_u32_e32 v26, 28, v37
	v_lshlrev_b64 v[26:27], v26, v[22:23]
	v_lshrrev_b32_e32 v36, 3, v23
	v_sub_u32_e32 v27, 29, v37
	v_and_b32_e32 v26, 7, v26
	v_cmp_gt_u32_e32 vcc, 8, v23
	v_cndmask_b32_e32 v23, v36, v27, vcc
	v_cndmask_b32_e32 v26, v35, v26, vcc
	v_lshlrev_b32_e32 v22, 24, v22
	v_bfrev_b32_e32 v27, 60
	v_lshlrev_b32_e32 v26, 20, v26
	v_and_b32_e32 v22, 0x80000000, v22
	v_lshl_add_u32 v23, v23, 23, v27
	v_or3_b32 v22, v22, v23, v26
	v_lshrrev_b32_e32 v27, 16, v22
.LBB757_344:
	s_or_b64 exec, exec, s[22:23]
.LBB757_345:
	s_or_b64 exec, exec, s[20:21]
.LBB757_346:
	s_or_b64 exec, exec, s[10:11]
	s_mov_b32 s10, 0x5040100
	v_perm_b32 v23, v32, v31, s10
	v_perm_b32 v22, v29, v30, s10
	v_perm_b32 v27, v27, v28, s10
	v_perm_b32 v26, v33, v34, s10
	v_mfma_f32_4x4x4bf16_1k a[0:3], v[2:3], v[22:23], a[0:3] cbsz:4 abid:6
	v_mov_b32_e32 v28, 0
	v_mfma_f32_4x4x4bf16_1k a[0:3], v[4:5], v[26:27], a[0:3] cbsz:4 abid:6
	v_mov_b32_e32 v27, 0
	v_cmp_ne_u16_sdwa s[20:21], v24, v27 src0_sel:BYTE_0 src1_sel:DWORD
	s_and_saveexec_b64 s[10:11], s[20:21]
	s_cbranch_execz .LBB757_352
; %bb.347:
	s_movk_i32 s20, 0x80
	v_cmp_ne_u16_sdwa s[22:23], v24, s20 src0_sel:BYTE_0 src1_sel:DWORD
	v_mov_b32_e32 v28, 0xffff8000
	s_and_saveexec_b64 s[20:21], s[22:23]
	s_cbranch_execz .LBB757_351
; %bb.348:
	s_movk_i32 s22, 0x7f
	v_and_b32_e32 v22, 0x7f, v24
	v_cmp_ne_u32_e32 vcc, s22, v22
	v_mov_b32_e32 v28, 0x7f80
	s_and_saveexec_b64 s[22:23], vcc
	s_cbranch_execz .LBB757_350
; %bb.349:
	v_and_b32_e32 v23, 7, v24
	v_ffbh_u32_e32 v23, v23
	v_min_u32_e32 v23, 32, v23
	v_subrev_u32_e32 v28, 28, v23
	v_cmp_gt_u32_e32 vcc, 8, v22
	v_lshrrev_b32_e32 v26, 3, v22
	v_sub_u32_e32 v23, 29, v23
	v_cndmask_b32_e32 v22, 0, v28, vcc
	v_cndmask_b32_e32 v26, v26, v23, vcc
	v_lshlrev_b64 v[22:23], v22, v[24:25]
	v_lshlrev_b32_e32 v22, 20, v22
	v_lshlrev_b32_e32 v23, 24, v24
	v_bfrev_b32_e32 v28, 60
	v_and_b32_e32 v22, 0x700000, v22
	v_and_b32_e32 v23, 0x80000000, v23
	v_lshl_add_u32 v26, v26, 23, v28
	v_or3_b32 v22, v23, v26, v22
	v_lshrrev_b32_e32 v28, 16, v22
.LBB757_350:
	s_or_b64 exec, exec, s[22:23]
.LBB757_351:
	s_or_b64 exec, exec, s[20:21]
.LBB757_352:
	s_or_b64 exec, exec, s[10:11]
	v_lshrrev_b16_e32 v22, 8, v24
	v_cmp_ne_u16_e32 vcc, 0, v22
	s_and_saveexec_b64 s[10:11], vcc
	s_cbranch_execz .LBB757_358
; %bb.353:
	s_movk_i32 s20, 0x80
	v_cmp_ne_u16_e32 vcc, s20, v22
	v_mov_b32_e32 v27, 0xffff8000
	s_and_saveexec_b64 s[20:21], vcc
	s_cbranch_execz .LBB757_357
; %bb.354:
	s_movk_i32 s22, 0x7f
	v_and_b32_e32 v23, 0x7f, v22
	v_cmp_ne_u32_e32 vcc, s22, v23
	v_mov_b32_e32 v27, 0x7f80
	s_and_saveexec_b64 s[22:23], vcc
	s_cbranch_execz .LBB757_356
; %bb.355:
	v_and_b32_e32 v29, 7, v22
	v_ffbh_u32_e32 v26, v29
	v_min_u32_e32 v31, 32, v26
	v_subrev_u32_e32 v26, 28, v31
	v_lshlrev_b64 v[26:27], v26, v[22:23]
	v_lshrrev_b32_e32 v30, 3, v23
	v_sub_u32_e32 v22, 29, v31
	v_and_b32_e32 v26, 7, v26
	v_cmp_gt_u32_e32 vcc, 8, v23
	v_cndmask_b32_e32 v22, v30, v22, vcc
	v_cndmask_b32_e32 v23, v29, v26, vcc
	v_lshlrev_b32_e32 v26, 16, v24
	v_bfrev_b32_e32 v27, 60
	v_lshlrev_b32_e32 v23, 20, v23
	v_and_b32_e32 v26, 0x80000000, v26
	v_lshl_add_u32 v22, v22, 23, v27
	v_or3_b32 v22, v26, v22, v23
	v_lshrrev_b32_e32 v27, 16, v22
.LBB757_356:
	s_or_b64 exec, exec, s[22:23]
.LBB757_357:
	s_or_b64 exec, exec, s[20:21]
.LBB757_358:
	s_or_b64 exec, exec, s[10:11]
	s_movk_i32 s10, 0xff
	v_and_b32_sdwa v26, v24, s10 dst_sel:DWORD dst_unused:UNUSED_PAD src0_sel:WORD_1 src1_sel:DWORD
	v_lshrrev_b32_e32 v22, 16, v24
	v_cmp_ne_u16_e32 vcc, 0, v26
	v_mov_b32_e32 v23, 0
	v_mov_b32_e32 v29, 0
	s_and_saveexec_b64 s[10:11], vcc
	s_cbranch_execz .LBB757_364
; %bb.359:
	s_movk_i32 s20, 0x80
	v_cmp_ne_u16_e32 vcc, s20, v26
	v_mov_b32_e32 v29, 0xffff8000
	s_and_saveexec_b64 s[20:21], vcc
	s_cbranch_execz .LBB757_363
; %bb.360:
	v_bfe_u32 v26, v24, 16, 7
	s_movk_i32 s22, 0x7f
	v_cmp_ne_u32_e32 vcc, s22, v26
	v_mov_b32_e32 v29, 0x7f80
	s_and_saveexec_b64 s[22:23], vcc
	s_cbranch_execz .LBB757_362
; %bb.361:
	v_and_b32_e32 v29, 7, v22
	v_ffbh_u32_e32 v30, v29
	v_min_u32_e32 v33, 32, v30
	v_subrev_u32_e32 v30, 28, v33
	v_lshlrev_b64 v[30:31], v30, v[22:23]
	v_and_b32_e32 v30, 7, v30
	v_cmp_gt_u32_e32 vcc, 8, v26
	v_lshrrev_b32_e32 v32, 3, v26
	v_sub_u32_e32 v22, 29, v33
	v_cndmask_b32_e32 v26, v29, v30, vcc
	v_mov_b32_e32 v29, 24
	v_cndmask_b32_e32 v22, v32, v22, vcc
	v_lshlrev_b32_sdwa v29, v29, v24 dst_sel:DWORD dst_unused:UNUSED_PAD src0_sel:DWORD src1_sel:WORD_1
	v_bfrev_b32_e32 v30, 60
	v_lshlrev_b32_e32 v26, 20, v26
	v_and_b32_e32 v29, 0x80000000, v29
	v_lshl_add_u32 v22, v22, 23, v30
	v_or3_b32 v22, v29, v22, v26
	v_lshrrev_b32_e32 v29, 16, v22
.LBB757_362:
	s_or_b64 exec, exec, s[22:23]
.LBB757_363:
	s_or_b64 exec, exec, s[20:21]
.LBB757_364:
	s_or_b64 exec, exec, s[10:11]
	s_mov_b32 s10, 0xffffff
	v_cmp_lt_u32_e32 vcc, s10, v24
	v_mov_b32_e32 v30, 0
	s_and_saveexec_b64 s[10:11], vcc
	s_cbranch_execz .LBB757_370
; %bb.365:
	v_lshrrev_b32_e32 v22, 24, v24
	s_movk_i32 s20, 0x80
	v_cmp_ne_u32_e32 vcc, s20, v22
	v_mov_b32_e32 v30, 0xffff8000
	s_and_saveexec_b64 s[20:21], vcc
	s_cbranch_execz .LBB757_369
; %bb.366:
	v_bfe_u32 v26, v24, 24, 7
	s_movk_i32 s22, 0x7f
	v_cmp_ne_u32_e32 vcc, s22, v26
	v_mov_b32_e32 v30, 0x7f80
	s_and_saveexec_b64 s[22:23], vcc
	s_cbranch_execz .LBB757_368
; %bb.367:
	v_and_b32_e32 v32, 7, v22
	v_ffbh_u32_e32 v30, v32
	v_min_u32_e32 v34, 32, v30
	v_subrev_u32_e32 v30, 28, v34
	v_lshlrev_b64 v[30:31], v30, v[22:23]
	v_lshrrev_b32_e32 v33, 3, v26
	v_sub_u32_e32 v31, 29, v34
	v_and_b32_e32 v30, 7, v30
	v_cmp_gt_u32_e32 vcc, 8, v26
	v_cndmask_b32_e32 v26, v33, v31, vcc
	v_cndmask_b32_e32 v30, v32, v30, vcc
	v_lshlrev_b32_e32 v22, 24, v22
	v_bfrev_b32_e32 v31, 60
	v_lshlrev_b32_e32 v30, 20, v30
	v_and_b32_e32 v22, 0x80000000, v22
	v_lshl_add_u32 v26, v26, 23, v31
	v_or3_b32 v22, v22, v26, v30
	v_lshrrev_b32_e32 v30, 16, v22
.LBB757_368:
	s_or_b64 exec, exec, s[22:23]
.LBB757_369:
	s_or_b64 exec, exec, s[20:21]
.LBB757_370:
	s_or_b64 exec, exec, s[10:11]
	v_mov_b32_e32 v31, 0
	v_mov_b32_e32 v22, v25
	v_cmp_ne_u16_sdwa s[20:21], v25, v31 src0_sel:BYTE_0 src1_sel:DWORD
	v_mov_b32_e32 v32, 0
	s_and_saveexec_b64 s[10:11], s[20:21]
	s_cbranch_execz .LBB757_376
; %bb.371:
	s_movk_i32 s20, 0x80
	v_cmp_ne_u16_sdwa s[22:23], v25, s20 src0_sel:BYTE_0 src1_sel:DWORD
	v_mov_b32_e32 v32, 0xffff8000
	s_and_saveexec_b64 s[20:21], s[22:23]
	s_cbranch_execz .LBB757_375
; %bb.372:
	s_movk_i32 s22, 0x7f
	v_and_b32_e32 v26, 0x7f, v25
	v_cmp_ne_u32_e32 vcc, s22, v26
	v_mov_b32_e32 v32, 0x7f80
	s_and_saveexec_b64 s[22:23], vcc
	s_cbranch_execz .LBB757_374
; %bb.373:
	v_and_b32_e32 v32, 7, v25
	v_ffbh_u32_e32 v32, v32
	v_min_u32_e32 v32, 32, v32
	v_lshrrev_b32_e32 v33, 3, v26
	v_subrev_u32_e32 v34, 28, v32
	v_sub_u32_e32 v32, 29, v32
	v_cmp_gt_u32_e32 vcc, 8, v26
	v_cndmask_b32_e32 v26, v33, v32, vcc
	v_cndmask_b32_e32 v32, 0, v34, vcc
	v_lshlrev_b64 v[32:33], v32, v[22:23]
	v_lshlrev_b32_e32 v23, 20, v32
	v_lshlrev_b32_e32 v32, 24, v22
	v_bfrev_b32_e32 v33, 60
	v_and_b32_e32 v23, 0x700000, v23
	v_and_b32_e32 v32, 0x80000000, v32
	v_lshl_add_u32 v26, v26, 23, v33
	v_or3_b32 v23, v32, v26, v23
	v_lshrrev_b32_e32 v32, 16, v23
.LBB757_374:
	s_or_b64 exec, exec, s[22:23]
.LBB757_375:
	s_or_b64 exec, exec, s[20:21]
.LBB757_376:
	s_or_b64 exec, exec, s[10:11]
	v_lshrrev_b16_e32 v26, 8, v22
	v_cmp_ne_u16_e32 vcc, 0, v26
	s_and_saveexec_b64 s[10:11], vcc
	s_cbranch_execz .LBB757_382
; %bb.377:
	s_movk_i32 s20, 0x80
	v_cmp_ne_u16_e32 vcc, s20, v26
	v_mov_b32_e32 v31, 0xffff8000
	s_and_saveexec_b64 s[20:21], vcc
	s_cbranch_execz .LBB757_381
; %bb.378:
	s_movk_i32 s22, 0x7f
	v_and_b32_e32 v23, 0x7f, v26
	v_cmp_ne_u32_e32 vcc, s22, v23
	v_mov_b32_e32 v31, 0x7f80
	s_and_saveexec_b64 s[22:23], vcc
	s_cbranch_execz .LBB757_380
; %bb.379:
	v_and_b32_e32 v31, 7, v26
	v_ffbh_u32_e32 v34, v31
	v_min_u32_e32 v36, 32, v34
	v_subrev_u32_e32 v34, 28, v36
	v_lshlrev_b64 v[34:35], v34, v[26:27]
	v_lshrrev_b32_e32 v33, 3, v23
	v_sub_u32_e32 v26, 29, v36
	v_and_b32_e32 v34, 7, v34
	v_cmp_gt_u32_e32 vcc, 8, v23
	v_cndmask_b32_e32 v23, v33, v26, vcc
	v_cndmask_b32_e32 v26, v31, v34, vcc
	v_lshlrev_b32_e32 v22, 16, v22
	v_bfrev_b32_e32 v31, 60
	v_lshlrev_b32_e32 v26, 20, v26
	v_and_b32_e32 v22, 0x80000000, v22
	v_lshl_add_u32 v23, v23, 23, v31
	v_or3_b32 v22, v22, v23, v26
	v_lshrrev_b32_e32 v31, 16, v22
.LBB757_380:
	s_or_b64 exec, exec, s[22:23]
.LBB757_381:
	s_or_b64 exec, exec, s[20:21]
.LBB757_382:
	s_or_b64 exec, exec, s[10:11]
	s_movk_i32 s10, 0xff
	v_and_b32_sdwa v33, v25, s10 dst_sel:DWORD dst_unused:UNUSED_PAD src0_sel:WORD_1 src1_sel:DWORD
	v_lshrrev_b32_e32 v22, 16, v25
	v_cmp_ne_u16_e32 vcc, 0, v33
	v_mov_b32_e32 v23, 0
	v_mov_b32_e32 v26, 0
	s_and_saveexec_b64 s[10:11], vcc
	s_cbranch_execz .LBB757_388
; %bb.383:
	s_movk_i32 s20, 0x80
	v_cmp_ne_u16_e32 vcc, s20, v33
	v_mov_b32_e32 v26, 0xffff8000
	s_and_saveexec_b64 s[20:21], vcc
	s_cbranch_execz .LBB757_387
; %bb.384:
	v_bfe_u32 v33, v25, 16, 7
	s_movk_i32 s22, 0x7f
	v_cmp_ne_u32_e32 vcc, s22, v33
	v_mov_b32_e32 v26, 0x7f80
	s_and_saveexec_b64 s[22:23], vcc
	s_cbranch_execz .LBB757_386
; %bb.385:
	v_and_b32_e32 v26, 7, v22
	v_ffbh_u32_e32 v34, v26
	v_min_u32_e32 v37, 32, v34
	v_subrev_u32_e32 v34, 28, v37
	v_lshlrev_b64 v[34:35], v34, v[22:23]
	v_lshrrev_b32_e32 v36, 3, v33
	v_sub_u32_e32 v22, 29, v37
	v_and_b32_e32 v34, 7, v34
	v_cmp_gt_u32_e32 vcc, 8, v33
	v_mov_b32_e32 v33, 24
	v_cndmask_b32_e32 v22, v36, v22, vcc
	v_cndmask_b32_e32 v26, v26, v34, vcc
	v_lshlrev_b32_sdwa v33, v33, v25 dst_sel:DWORD dst_unused:UNUSED_PAD src0_sel:DWORD src1_sel:WORD_1
	v_bfrev_b32_e32 v34, 60
	v_lshlrev_b32_e32 v26, 20, v26
	v_and_b32_e32 v33, 0x80000000, v33
	v_lshl_add_u32 v22, v22, 23, v34
	v_or3_b32 v22, v33, v22, v26
	v_lshrrev_b32_e32 v26, 16, v22
.LBB757_386:
	s_or_b64 exec, exec, s[22:23]
.LBB757_387:
	s_or_b64 exec, exec, s[20:21]
.LBB757_388:
	s_or_b64 exec, exec, s[10:11]
	s_mov_b32 s10, -1
	s_mov_b32 s11, 0xffffff
	v_cmp_lt_u64_e32 vcc, s[10:11], v[24:25]
	s_and_saveexec_b64 s[10:11], vcc
	s_cbranch_execz .LBB757_394
; %bb.389:
	v_lshrrev_b32_e32 v22, 24, v25
	s_movk_i32 s20, 0x80
	v_cmp_ne_u32_e32 vcc, s20, v22
	v_mov_b32_e32 v23, 0xffff8000
	s_and_saveexec_b64 s[20:21], vcc
	s_cbranch_execz .LBB757_393
; %bb.390:
	v_bfe_u32 v24, v25, 24, 7
	s_movk_i32 s22, 0x7f
	v_cmp_ne_u32_e32 vcc, s22, v24
	v_mov_b32_e32 v23, 0x7f80
	s_and_saveexec_b64 s[22:23], vcc
	s_cbranch_execz .LBB757_392
; %bb.391:
	v_and_b32_e32 v23, 7, v22
	v_ffbh_u32_e32 v33, v23
	v_min_u32_e32 v33, 32, v33
	v_subrev_u32_e32 v34, 28, v33
	v_lshlrev_b64 v[34:35], v34, v[22:23]
	v_lshrrev_b32_e32 v25, 3, v24
	v_sub_u32_e32 v33, 29, v33
	v_and_b32_e32 v34, 7, v34
	v_cmp_gt_u32_e32 vcc, 8, v24
	v_cndmask_b32_e32 v24, v25, v33, vcc
	v_cndmask_b32_e32 v23, v23, v34, vcc
	v_lshlrev_b32_e32 v22, 24, v22
	v_bfrev_b32_e32 v25, 60
	v_lshlrev_b32_e32 v23, 20, v23
	v_and_b32_e32 v22, 0x80000000, v22
	v_lshl_add_u32 v24, v24, 23, v25
	v_or3_b32 v22, v22, v24, v23
	v_lshrrev_b32_e32 v23, 16, v22
.LBB757_392:
	s_or_b64 exec, exec, s[22:23]
.LBB757_393:
	s_or_b64 exec, exec, s[20:21]
.LBB757_394:
	s_or_b64 exec, exec, s[10:11]
	s_mov_b32 s10, 0x5040100
	v_perm_b32 v25, v30, v29, s10
	v_perm_b32 v24, v27, v28, s10
	;; [unrolled: 1-line block ×4, first 2 shown]
	v_mfma_f32_4x4x4bf16_1k a[0:3], v[2:3], v[24:25], a[0:3] cbsz:4 abid:7
	v_mov_b32_e32 v25, 0
	v_mfma_f32_4x4x4bf16_1k a[0:3], v[4:5], v[22:23], a[0:3] cbsz:4 abid:7
	v_cmp_ne_u16_sdwa s[20:21], v18, v25 src0_sel:BYTE_0 src1_sel:DWORD
	v_mov_b32_e32 v26, 0
	s_and_saveexec_b64 s[10:11], s[20:21]
	s_cbranch_execz .LBB757_400
; %bb.395:
	s_movk_i32 s20, 0x80
	v_cmp_ne_u16_sdwa s[22:23], v18, s20 src0_sel:BYTE_0 src1_sel:DWORD
	v_mov_b32_e32 v26, 0xffff8000
	s_and_saveexec_b64 s[20:21], s[22:23]
	s_cbranch_execz .LBB757_399
; %bb.396:
	s_movk_i32 s22, 0x7f
	v_and_b32_e32 v22, 0x7f, v18
	v_cmp_ne_u32_e32 vcc, s22, v22
	v_mov_b32_e32 v26, 0x7f80
	s_and_saveexec_b64 s[22:23], vcc
	s_cbranch_execz .LBB757_398
; %bb.397:
	v_and_b32_e32 v23, 7, v18
	v_ffbh_u32_e32 v23, v23
	v_min_u32_e32 v23, 32, v23
	v_subrev_u32_e32 v26, 28, v23
	v_cmp_gt_u32_e32 vcc, 8, v22
	v_lshrrev_b32_e32 v24, 3, v22
	v_sub_u32_e32 v23, 29, v23
	v_cndmask_b32_e32 v22, 0, v26, vcc
	v_cndmask_b32_e32 v24, v24, v23, vcc
	v_lshlrev_b64 v[22:23], v22, v[18:19]
	v_lshlrev_b32_e32 v22, 20, v22
	v_lshlrev_b32_e32 v23, 24, v18
	v_bfrev_b32_e32 v26, 60
	v_and_b32_e32 v22, 0x700000, v22
	v_and_b32_e32 v23, 0x80000000, v23
	v_lshl_add_u32 v24, v24, 23, v26
	v_or3_b32 v22, v23, v24, v22
	v_lshrrev_b32_e32 v26, 16, v22
.LBB757_398:
	s_or_b64 exec, exec, s[22:23]
.LBB757_399:
	s_or_b64 exec, exec, s[20:21]
.LBB757_400:
	s_or_b64 exec, exec, s[10:11]
	v_lshrrev_b16_e32 v22, 8, v18
	v_cmp_ne_u16_e32 vcc, 0, v22
	s_and_saveexec_b64 s[10:11], vcc
	s_cbranch_execz .LBB757_406
; %bb.401:
	s_movk_i32 s20, 0x80
	v_cmp_ne_u16_e32 vcc, s20, v22
	v_mov_b32_e32 v25, 0xffff8000
	s_and_saveexec_b64 s[20:21], vcc
	s_cbranch_execz .LBB757_405
; %bb.402:
	s_movk_i32 s22, 0x7f
	v_and_b32_e32 v23, 0x7f, v22
	v_cmp_ne_u32_e32 vcc, s22, v23
	v_mov_b32_e32 v25, 0x7f80
	s_and_saveexec_b64 s[22:23], vcc
	s_cbranch_execz .LBB757_404
; %bb.403:
	v_and_b32_e32 v27, 7, v22
	v_ffbh_u32_e32 v24, v27
	v_min_u32_e32 v29, 32, v24
	v_subrev_u32_e32 v24, 28, v29
	v_lshlrev_b64 v[24:25], v24, v[22:23]
	v_lshrrev_b32_e32 v28, 3, v23
	v_sub_u32_e32 v22, 29, v29
	v_and_b32_e32 v24, 7, v24
	v_cmp_gt_u32_e32 vcc, 8, v23
	v_cndmask_b32_e32 v22, v28, v22, vcc
	v_cndmask_b32_e32 v23, v27, v24, vcc
	v_lshlrev_b32_e32 v24, 16, v18
	v_bfrev_b32_e32 v25, 60
	v_lshlrev_b32_e32 v23, 20, v23
	v_and_b32_e32 v24, 0x80000000, v24
	v_lshl_add_u32 v22, v22, 23, v25
	v_or3_b32 v22, v24, v22, v23
	v_lshrrev_b32_e32 v25, 16, v22
.LBB757_404:
	s_or_b64 exec, exec, s[22:23]
.LBB757_405:
	s_or_b64 exec, exec, s[20:21]
.LBB757_406:
	s_or_b64 exec, exec, s[10:11]
	s_movk_i32 s10, 0xff
	v_and_b32_sdwa v24, v18, s10 dst_sel:DWORD dst_unused:UNUSED_PAD src0_sel:WORD_1 src1_sel:DWORD
	v_lshrrev_b32_e32 v22, 16, v18
	v_cmp_ne_u16_e32 vcc, 0, v24
	v_mov_b32_e32 v23, 0
	v_mov_b32_e32 v27, 0
	s_and_saveexec_b64 s[10:11], vcc
	s_cbranch_execz .LBB757_412
; %bb.407:
	s_movk_i32 s20, 0x80
	v_cmp_ne_u16_e32 vcc, s20, v24
	v_mov_b32_e32 v27, 0xffff8000
	s_and_saveexec_b64 s[20:21], vcc
	s_cbranch_execz .LBB757_411
; %bb.408:
	v_bfe_u32 v24, v18, 16, 7
	s_movk_i32 s22, 0x7f
	v_cmp_ne_u32_e32 vcc, s22, v24
	v_mov_b32_e32 v27, 0x7f80
	s_and_saveexec_b64 s[22:23], vcc
	s_cbranch_execz .LBB757_410
; %bb.409:
	v_and_b32_e32 v27, 7, v22
	v_ffbh_u32_e32 v28, v27
	v_min_u32_e32 v31, 32, v28
	v_subrev_u32_e32 v28, 28, v31
	v_lshlrev_b64 v[28:29], v28, v[22:23]
	v_and_b32_e32 v28, 7, v28
	v_cmp_gt_u32_e32 vcc, 8, v24
	v_lshrrev_b32_e32 v30, 3, v24
	v_sub_u32_e32 v22, 29, v31
	v_cndmask_b32_e32 v24, v27, v28, vcc
	v_mov_b32_e32 v27, 24
	v_cndmask_b32_e32 v22, v30, v22, vcc
	v_lshlrev_b32_sdwa v27, v27, v18 dst_sel:DWORD dst_unused:UNUSED_PAD src0_sel:DWORD src1_sel:WORD_1
	v_bfrev_b32_e32 v28, 60
	v_lshlrev_b32_e32 v24, 20, v24
	v_and_b32_e32 v27, 0x80000000, v27
	v_lshl_add_u32 v22, v22, 23, v28
	v_or3_b32 v22, v27, v22, v24
	v_lshrrev_b32_e32 v27, 16, v22
.LBB757_410:
	s_or_b64 exec, exec, s[22:23]
.LBB757_411:
	s_or_b64 exec, exec, s[20:21]
.LBB757_412:
	s_or_b64 exec, exec, s[10:11]
	s_mov_b32 s10, 0xffffff
	v_cmp_lt_u32_e32 vcc, s10, v18
	v_mov_b32_e32 v28, 0
	s_and_saveexec_b64 s[10:11], vcc
	s_cbranch_execz .LBB757_418
; %bb.413:
	v_lshrrev_b32_e32 v22, 24, v18
	s_movk_i32 s20, 0x80
	v_cmp_ne_u32_e32 vcc, s20, v22
	v_mov_b32_e32 v28, 0xffff8000
	s_and_saveexec_b64 s[20:21], vcc
	s_cbranch_execz .LBB757_417
; %bb.414:
	v_bfe_u32 v24, v18, 24, 7
	s_movk_i32 s22, 0x7f
	v_cmp_ne_u32_e32 vcc, s22, v24
	v_mov_b32_e32 v28, 0x7f80
	s_and_saveexec_b64 s[22:23], vcc
	s_cbranch_execz .LBB757_416
; %bb.415:
	v_and_b32_e32 v30, 7, v22
	v_ffbh_u32_e32 v28, v30
	v_min_u32_e32 v32, 32, v28
	v_subrev_u32_e32 v28, 28, v32
	v_lshlrev_b64 v[28:29], v28, v[22:23]
	v_lshrrev_b32_e32 v31, 3, v24
	v_sub_u32_e32 v29, 29, v32
	v_and_b32_e32 v28, 7, v28
	v_cmp_gt_u32_e32 vcc, 8, v24
	v_cndmask_b32_e32 v24, v31, v29, vcc
	v_cndmask_b32_e32 v28, v30, v28, vcc
	v_lshlrev_b32_e32 v22, 24, v22
	v_bfrev_b32_e32 v29, 60
	v_lshlrev_b32_e32 v28, 20, v28
	v_and_b32_e32 v22, 0x80000000, v22
	v_lshl_add_u32 v24, v24, 23, v29
	v_or3_b32 v22, v22, v24, v28
	v_lshrrev_b32_e32 v28, 16, v22
.LBB757_416:
	s_or_b64 exec, exec, s[22:23]
.LBB757_417:
	s_or_b64 exec, exec, s[20:21]
.LBB757_418:
	s_or_b64 exec, exec, s[10:11]
	v_mov_b32_e32 v29, 0
	v_mov_b32_e32 v22, v19
	v_cmp_ne_u16_sdwa s[20:21], v19, v29 src0_sel:BYTE_0 src1_sel:DWORD
	v_mov_b32_e32 v30, 0
	s_and_saveexec_b64 s[10:11], s[20:21]
	s_cbranch_execz .LBB757_424
; %bb.419:
	s_movk_i32 s20, 0x80
	v_cmp_ne_u16_sdwa s[22:23], v19, s20 src0_sel:BYTE_0 src1_sel:DWORD
	v_mov_b32_e32 v30, 0xffff8000
	s_and_saveexec_b64 s[20:21], s[22:23]
	s_cbranch_execz .LBB757_423
; %bb.420:
	s_movk_i32 s22, 0x7f
	v_and_b32_e32 v24, 0x7f, v19
	v_cmp_ne_u32_e32 vcc, s22, v24
	v_mov_b32_e32 v30, 0x7f80
	s_and_saveexec_b64 s[22:23], vcc
	s_cbranch_execz .LBB757_422
; %bb.421:
	v_and_b32_e32 v30, 7, v19
	v_ffbh_u32_e32 v30, v30
	v_min_u32_e32 v30, 32, v30
	v_lshrrev_b32_e32 v31, 3, v24
	v_subrev_u32_e32 v32, 28, v30
	v_sub_u32_e32 v30, 29, v30
	v_cmp_gt_u32_e32 vcc, 8, v24
	v_cndmask_b32_e32 v24, v31, v30, vcc
	v_cndmask_b32_e32 v30, 0, v32, vcc
	v_lshlrev_b64 v[30:31], v30, v[22:23]
	v_lshlrev_b32_e32 v23, 20, v30
	v_lshlrev_b32_e32 v30, 24, v22
	v_bfrev_b32_e32 v31, 60
	v_and_b32_e32 v23, 0x700000, v23
	v_and_b32_e32 v30, 0x80000000, v30
	v_lshl_add_u32 v24, v24, 23, v31
	v_or3_b32 v23, v30, v24, v23
	v_lshrrev_b32_e32 v30, 16, v23
.LBB757_422:
	s_or_b64 exec, exec, s[22:23]
.LBB757_423:
	s_or_b64 exec, exec, s[20:21]
.LBB757_424:
	s_or_b64 exec, exec, s[10:11]
	v_lshrrev_b16_e32 v24, 8, v22
	v_cmp_ne_u16_e32 vcc, 0, v24
	s_and_saveexec_b64 s[10:11], vcc
	s_cbranch_execz .LBB757_430
; %bb.425:
	s_movk_i32 s20, 0x80
	v_cmp_ne_u16_e32 vcc, s20, v24
	v_mov_b32_e32 v29, 0xffff8000
	s_and_saveexec_b64 s[20:21], vcc
	s_cbranch_execz .LBB757_429
; %bb.426:
	s_movk_i32 s22, 0x7f
	v_and_b32_e32 v23, 0x7f, v24
	v_cmp_ne_u32_e32 vcc, s22, v23
	v_mov_b32_e32 v29, 0x7f80
	s_and_saveexec_b64 s[22:23], vcc
	s_cbranch_execz .LBB757_428
; %bb.427:
	v_and_b32_e32 v29, 7, v24
	v_ffbh_u32_e32 v32, v29
	v_min_u32_e32 v34, 32, v32
	v_subrev_u32_e32 v32, 28, v34
	v_lshlrev_b64 v[32:33], v32, v[24:25]
	v_lshrrev_b32_e32 v31, 3, v23
	v_sub_u32_e32 v24, 29, v34
	v_and_b32_e32 v32, 7, v32
	v_cmp_gt_u32_e32 vcc, 8, v23
	v_cndmask_b32_e32 v23, v31, v24, vcc
	v_cndmask_b32_e32 v24, v29, v32, vcc
	v_lshlrev_b32_e32 v22, 16, v22
	v_bfrev_b32_e32 v29, 60
	v_lshlrev_b32_e32 v24, 20, v24
	v_and_b32_e32 v22, 0x80000000, v22
	v_lshl_add_u32 v23, v23, 23, v29
	v_or3_b32 v22, v22, v23, v24
	v_lshrrev_b32_e32 v29, 16, v22
.LBB757_428:
	s_or_b64 exec, exec, s[22:23]
.LBB757_429:
	s_or_b64 exec, exec, s[20:21]
.LBB757_430:
	s_or_b64 exec, exec, s[10:11]
	s_movk_i32 s10, 0xff
	v_and_b32_sdwa v31, v19, s10 dst_sel:DWORD dst_unused:UNUSED_PAD src0_sel:WORD_1 src1_sel:DWORD
	v_lshrrev_b32_e32 v22, 16, v19
	v_cmp_ne_u16_e32 vcc, 0, v31
	v_mov_b32_e32 v23, 0
	v_mov_b32_e32 v24, 0
	s_and_saveexec_b64 s[10:11], vcc
	s_cbranch_execz .LBB757_436
; %bb.431:
	s_movk_i32 s20, 0x80
	v_cmp_ne_u16_e32 vcc, s20, v31
	v_mov_b32_e32 v24, 0xffff8000
	s_and_saveexec_b64 s[20:21], vcc
	s_cbranch_execz .LBB757_435
; %bb.432:
	v_bfe_u32 v31, v19, 16, 7
	s_movk_i32 s22, 0x7f
	v_cmp_ne_u32_e32 vcc, s22, v31
	v_mov_b32_e32 v24, 0x7f80
	s_and_saveexec_b64 s[22:23], vcc
	s_cbranch_execz .LBB757_434
; %bb.433:
	v_and_b32_e32 v24, 7, v22
	v_ffbh_u32_e32 v32, v24
	v_min_u32_e32 v35, 32, v32
	v_subrev_u32_e32 v32, 28, v35
	v_lshlrev_b64 v[32:33], v32, v[22:23]
	v_lshrrev_b32_e32 v34, 3, v31
	v_sub_u32_e32 v22, 29, v35
	v_and_b32_e32 v32, 7, v32
	v_cmp_gt_u32_e32 vcc, 8, v31
	v_mov_b32_e32 v31, 24
	v_cndmask_b32_e32 v22, v34, v22, vcc
	v_cndmask_b32_e32 v24, v24, v32, vcc
	v_lshlrev_b32_sdwa v31, v31, v19 dst_sel:DWORD dst_unused:UNUSED_PAD src0_sel:DWORD src1_sel:WORD_1
	v_bfrev_b32_e32 v32, 60
	v_lshlrev_b32_e32 v24, 20, v24
	v_and_b32_e32 v31, 0x80000000, v31
	v_lshl_add_u32 v22, v22, 23, v32
	v_or3_b32 v22, v31, v22, v24
	v_lshrrev_b32_e32 v24, 16, v22
.LBB757_434:
	s_or_b64 exec, exec, s[22:23]
.LBB757_435:
	s_or_b64 exec, exec, s[20:21]
.LBB757_436:
	s_or_b64 exec, exec, s[10:11]
	s_mov_b32 s10, -1
	s_mov_b32 s11, 0xffffff
	v_cmp_lt_u64_e32 vcc, s[10:11], v[18:19]
	s_and_saveexec_b64 s[10:11], vcc
	s_cbranch_execz .LBB757_442
; %bb.437:
	v_lshrrev_b32_e32 v18, 24, v19
	s_movk_i32 s20, 0x80
	v_cmp_ne_u32_e32 vcc, s20, v18
	v_mov_b32_e32 v23, 0xffff8000
	s_and_saveexec_b64 s[20:21], vcc
	s_cbranch_execz .LBB757_441
; %bb.438:
	v_bfe_u32 v19, v19, 24, 7
	s_movk_i32 s22, 0x7f
	v_cmp_ne_u32_e32 vcc, s22, v19
	v_mov_b32_e32 v23, 0x7f80
	s_and_saveexec_b64 s[22:23], vcc
	s_cbranch_execz .LBB757_440
; %bb.439:
	v_and_b32_e32 v31, 7, v18
	v_ffbh_u32_e32 v22, v31
	v_min_u32_e32 v33, 32, v22
	v_subrev_u32_e32 v22, 28, v33
	v_lshlrev_b64 v[22:23], v22, v[18:19]
	v_lshrrev_b32_e32 v32, 3, v19
	v_sub_u32_e32 v23, 29, v33
	v_and_b32_e32 v22, 7, v22
	v_cmp_gt_u32_e32 vcc, 8, v19
	v_cndmask_b32_e32 v19, v32, v23, vcc
	v_cndmask_b32_e32 v22, v31, v22, vcc
	v_lshlrev_b32_e32 v18, 24, v18
	v_bfrev_b32_e32 v23, 60
	v_lshlrev_b32_e32 v22, 20, v22
	v_and_b32_e32 v18, 0x80000000, v18
	v_lshl_add_u32 v19, v19, 23, v23
	v_or3_b32 v18, v18, v19, v22
	v_lshrrev_b32_e32 v23, 16, v18
.LBB757_440:
	s_or_b64 exec, exec, s[22:23]
.LBB757_441:
	s_or_b64 exec, exec, s[20:21]
.LBB757_442:
	s_or_b64 exec, exec, s[10:11]
	s_mov_b32 s10, 0x5040100
	v_perm_b32 v19, v28, v27, s10
	v_perm_b32 v18, v25, v26, s10
	v_perm_b32 v23, v23, v24, s10
	v_perm_b32 v22, v29, v30, s10
	v_mfma_f32_4x4x4bf16_1k a[0:3], v[2:3], v[18:19], a[0:3] cbsz:4 abid:8
	v_mov_b32_e32 v24, 0
	v_mfma_f32_4x4x4bf16_1k a[0:3], v[4:5], v[22:23], a[0:3] cbsz:4 abid:8
	v_mov_b32_e32 v23, 0
	v_cmp_ne_u16_sdwa s[20:21], v20, v23 src0_sel:BYTE_0 src1_sel:DWORD
	s_and_saveexec_b64 s[10:11], s[20:21]
	s_cbranch_execz .LBB757_448
; %bb.443:
	s_movk_i32 s20, 0x80
	v_cmp_ne_u16_sdwa s[22:23], v20, s20 src0_sel:BYTE_0 src1_sel:DWORD
	v_mov_b32_e32 v24, 0xffff8000
	s_and_saveexec_b64 s[20:21], s[22:23]
	s_cbranch_execz .LBB757_447
; %bb.444:
	s_movk_i32 s22, 0x7f
	v_and_b32_e32 v18, 0x7f, v20
	v_cmp_ne_u32_e32 vcc, s22, v18
	v_mov_b32_e32 v24, 0x7f80
	s_and_saveexec_b64 s[22:23], vcc
	s_cbranch_execz .LBB757_446
; %bb.445:
	v_and_b32_e32 v19, 7, v20
	v_ffbh_u32_e32 v19, v19
	v_min_u32_e32 v19, 32, v19
	v_subrev_u32_e32 v24, 28, v19
	v_cmp_gt_u32_e32 vcc, 8, v18
	v_lshrrev_b32_e32 v22, 3, v18
	v_sub_u32_e32 v19, 29, v19
	v_cndmask_b32_e32 v18, 0, v24, vcc
	v_cndmask_b32_e32 v22, v22, v19, vcc
	v_lshlrev_b64 v[18:19], v18, v[20:21]
	v_lshlrev_b32_e32 v18, 20, v18
	v_lshlrev_b32_e32 v19, 24, v20
	v_bfrev_b32_e32 v24, 60
	v_and_b32_e32 v18, 0x700000, v18
	v_and_b32_e32 v19, 0x80000000, v19
	v_lshl_add_u32 v22, v22, 23, v24
	v_or3_b32 v18, v19, v22, v18
	v_lshrrev_b32_e32 v24, 16, v18
.LBB757_446:
	s_or_b64 exec, exec, s[22:23]
.LBB757_447:
	s_or_b64 exec, exec, s[20:21]
.LBB757_448:
	s_or_b64 exec, exec, s[10:11]
	v_lshrrev_b16_e32 v18, 8, v20
	v_cmp_ne_u16_e32 vcc, 0, v18
	s_and_saveexec_b64 s[10:11], vcc
	s_cbranch_execz .LBB757_454
; %bb.449:
	s_movk_i32 s20, 0x80
	v_cmp_ne_u16_e32 vcc, s20, v18
	v_mov_b32_e32 v23, 0xffff8000
	s_and_saveexec_b64 s[20:21], vcc
	s_cbranch_execz .LBB757_453
; %bb.450:
	s_movk_i32 s22, 0x7f
	v_and_b32_e32 v19, 0x7f, v18
	v_cmp_ne_u32_e32 vcc, s22, v19
	v_mov_b32_e32 v23, 0x7f80
	s_and_saveexec_b64 s[22:23], vcc
	s_cbranch_execz .LBB757_452
; %bb.451:
	v_and_b32_e32 v25, 7, v18
	v_ffbh_u32_e32 v22, v25
	v_min_u32_e32 v27, 32, v22
	v_subrev_u32_e32 v22, 28, v27
	v_lshlrev_b64 v[22:23], v22, v[18:19]
	v_lshrrev_b32_e32 v26, 3, v19
	v_sub_u32_e32 v18, 29, v27
	v_and_b32_e32 v22, 7, v22
	v_cmp_gt_u32_e32 vcc, 8, v19
	v_cndmask_b32_e32 v18, v26, v18, vcc
	v_cndmask_b32_e32 v19, v25, v22, vcc
	v_lshlrev_b32_e32 v22, 16, v20
	v_bfrev_b32_e32 v23, 60
	v_lshlrev_b32_e32 v19, 20, v19
	v_and_b32_e32 v22, 0x80000000, v22
	v_lshl_add_u32 v18, v18, 23, v23
	v_or3_b32 v18, v22, v18, v19
	v_lshrrev_b32_e32 v23, 16, v18
.LBB757_452:
	s_or_b64 exec, exec, s[22:23]
.LBB757_453:
	s_or_b64 exec, exec, s[20:21]
.LBB757_454:
	s_or_b64 exec, exec, s[10:11]
	s_movk_i32 s10, 0xff
	v_and_b32_sdwa v22, v20, s10 dst_sel:DWORD dst_unused:UNUSED_PAD src0_sel:WORD_1 src1_sel:DWORD
	v_lshrrev_b32_e32 v18, 16, v20
	v_cmp_ne_u16_e32 vcc, 0, v22
	v_mov_b32_e32 v19, 0
	v_mov_b32_e32 v25, 0
	s_and_saveexec_b64 s[10:11], vcc
	s_cbranch_execz .LBB757_460
; %bb.455:
	s_movk_i32 s20, 0x80
	v_cmp_ne_u16_e32 vcc, s20, v22
	v_mov_b32_e32 v25, 0xffff8000
	s_and_saveexec_b64 s[20:21], vcc
	s_cbranch_execz .LBB757_459
; %bb.456:
	v_bfe_u32 v22, v20, 16, 7
	s_movk_i32 s22, 0x7f
	v_cmp_ne_u32_e32 vcc, s22, v22
	v_mov_b32_e32 v25, 0x7f80
	s_and_saveexec_b64 s[22:23], vcc
	s_cbranch_execz .LBB757_458
; %bb.457:
	v_and_b32_e32 v25, 7, v18
	v_ffbh_u32_e32 v26, v25
	v_min_u32_e32 v29, 32, v26
	v_subrev_u32_e32 v26, 28, v29
	v_lshlrev_b64 v[26:27], v26, v[18:19]
	v_and_b32_e32 v26, 7, v26
	v_cmp_gt_u32_e32 vcc, 8, v22
	v_lshrrev_b32_e32 v28, 3, v22
	v_sub_u32_e32 v18, 29, v29
	v_cndmask_b32_e32 v22, v25, v26, vcc
	v_mov_b32_e32 v25, 24
	v_cndmask_b32_e32 v18, v28, v18, vcc
	v_lshlrev_b32_sdwa v25, v25, v20 dst_sel:DWORD dst_unused:UNUSED_PAD src0_sel:DWORD src1_sel:WORD_1
	v_bfrev_b32_e32 v26, 60
	v_lshlrev_b32_e32 v22, 20, v22
	v_and_b32_e32 v25, 0x80000000, v25
	v_lshl_add_u32 v18, v18, 23, v26
	v_or3_b32 v18, v25, v18, v22
	v_lshrrev_b32_e32 v25, 16, v18
.LBB757_458:
	s_or_b64 exec, exec, s[22:23]
.LBB757_459:
	s_or_b64 exec, exec, s[20:21]
.LBB757_460:
	s_or_b64 exec, exec, s[10:11]
	s_mov_b32 s10, 0xffffff
	v_cmp_lt_u32_e32 vcc, s10, v20
	v_mov_b32_e32 v26, 0
	s_and_saveexec_b64 s[10:11], vcc
	s_cbranch_execz .LBB757_466
; %bb.461:
	v_lshrrev_b32_e32 v18, 24, v20
	s_movk_i32 s20, 0x80
	v_cmp_ne_u32_e32 vcc, s20, v18
	v_mov_b32_e32 v26, 0xffff8000
	s_and_saveexec_b64 s[20:21], vcc
	s_cbranch_execz .LBB757_465
; %bb.462:
	v_bfe_u32 v22, v20, 24, 7
	s_movk_i32 s22, 0x7f
	v_cmp_ne_u32_e32 vcc, s22, v22
	v_mov_b32_e32 v26, 0x7f80
	s_and_saveexec_b64 s[22:23], vcc
	s_cbranch_execz .LBB757_464
; %bb.463:
	v_and_b32_e32 v28, 7, v18
	v_ffbh_u32_e32 v26, v28
	v_min_u32_e32 v30, 32, v26
	v_subrev_u32_e32 v26, 28, v30
	v_lshlrev_b64 v[26:27], v26, v[18:19]
	v_lshrrev_b32_e32 v29, 3, v22
	v_sub_u32_e32 v27, 29, v30
	v_and_b32_e32 v26, 7, v26
	v_cmp_gt_u32_e32 vcc, 8, v22
	v_cndmask_b32_e32 v22, v29, v27, vcc
	v_cndmask_b32_e32 v26, v28, v26, vcc
	v_lshlrev_b32_e32 v18, 24, v18
	v_bfrev_b32_e32 v27, 60
	v_lshlrev_b32_e32 v26, 20, v26
	v_and_b32_e32 v18, 0x80000000, v18
	v_lshl_add_u32 v22, v22, 23, v27
	v_or3_b32 v18, v18, v22, v26
	v_lshrrev_b32_e32 v26, 16, v18
.LBB757_464:
	s_or_b64 exec, exec, s[22:23]
.LBB757_465:
	s_or_b64 exec, exec, s[20:21]
.LBB757_466:
	s_or_b64 exec, exec, s[10:11]
	v_mov_b32_e32 v27, 0
	v_mov_b32_e32 v18, v21
	v_cmp_ne_u16_sdwa s[20:21], v21, v27 src0_sel:BYTE_0 src1_sel:DWORD
	v_mov_b32_e32 v28, 0
	s_and_saveexec_b64 s[10:11], s[20:21]
	s_cbranch_execz .LBB757_472
; %bb.467:
	s_movk_i32 s20, 0x80
	v_cmp_ne_u16_sdwa s[22:23], v21, s20 src0_sel:BYTE_0 src1_sel:DWORD
	v_mov_b32_e32 v28, 0xffff8000
	s_and_saveexec_b64 s[20:21], s[22:23]
	s_cbranch_execz .LBB757_471
; %bb.468:
	s_movk_i32 s22, 0x7f
	v_and_b32_e32 v22, 0x7f, v21
	v_cmp_ne_u32_e32 vcc, s22, v22
	v_mov_b32_e32 v28, 0x7f80
	s_and_saveexec_b64 s[22:23], vcc
	s_cbranch_execz .LBB757_470
; %bb.469:
	v_and_b32_e32 v28, 7, v21
	v_ffbh_u32_e32 v28, v28
	v_min_u32_e32 v28, 32, v28
	v_lshrrev_b32_e32 v29, 3, v22
	v_subrev_u32_e32 v30, 28, v28
	v_sub_u32_e32 v28, 29, v28
	v_cmp_gt_u32_e32 vcc, 8, v22
	v_cndmask_b32_e32 v22, v29, v28, vcc
	v_cndmask_b32_e32 v28, 0, v30, vcc
	v_lshlrev_b64 v[28:29], v28, v[18:19]
	v_lshlrev_b32_e32 v19, 20, v28
	v_lshlrev_b32_e32 v28, 24, v18
	v_bfrev_b32_e32 v29, 60
	v_and_b32_e32 v19, 0x700000, v19
	v_and_b32_e32 v28, 0x80000000, v28
	v_lshl_add_u32 v22, v22, 23, v29
	v_or3_b32 v19, v28, v22, v19
	v_lshrrev_b32_e32 v28, 16, v19
.LBB757_470:
	s_or_b64 exec, exec, s[22:23]
.LBB757_471:
	s_or_b64 exec, exec, s[20:21]
.LBB757_472:
	s_or_b64 exec, exec, s[10:11]
	v_lshrrev_b16_e32 v22, 8, v18
	v_cmp_ne_u16_e32 vcc, 0, v22
	s_and_saveexec_b64 s[10:11], vcc
	s_cbranch_execz .LBB757_478
; %bb.473:
	s_movk_i32 s20, 0x80
	v_cmp_ne_u16_e32 vcc, s20, v22
	v_mov_b32_e32 v27, 0xffff8000
	s_and_saveexec_b64 s[20:21], vcc
	s_cbranch_execz .LBB757_477
; %bb.474:
	s_movk_i32 s22, 0x7f
	v_and_b32_e32 v19, 0x7f, v22
	v_cmp_ne_u32_e32 vcc, s22, v19
	v_mov_b32_e32 v27, 0x7f80
	s_and_saveexec_b64 s[22:23], vcc
	s_cbranch_execz .LBB757_476
; %bb.475:
	v_and_b32_e32 v27, 7, v22
	v_ffbh_u32_e32 v30, v27
	v_min_u32_e32 v32, 32, v30
	v_subrev_u32_e32 v30, 28, v32
	v_lshlrev_b64 v[30:31], v30, v[22:23]
	v_lshrrev_b32_e32 v29, 3, v19
	v_sub_u32_e32 v22, 29, v32
	v_and_b32_e32 v30, 7, v30
	v_cmp_gt_u32_e32 vcc, 8, v19
	v_cndmask_b32_e32 v19, v29, v22, vcc
	v_cndmask_b32_e32 v22, v27, v30, vcc
	v_lshlrev_b32_e32 v18, 16, v18
	v_bfrev_b32_e32 v27, 60
	v_lshlrev_b32_e32 v22, 20, v22
	v_and_b32_e32 v18, 0x80000000, v18
	v_lshl_add_u32 v19, v19, 23, v27
	v_or3_b32 v18, v18, v19, v22
	v_lshrrev_b32_e32 v27, 16, v18
.LBB757_476:
	s_or_b64 exec, exec, s[22:23]
.LBB757_477:
	s_or_b64 exec, exec, s[20:21]
.LBB757_478:
	s_or_b64 exec, exec, s[10:11]
	s_movk_i32 s10, 0xff
	v_and_b32_sdwa v29, v21, s10 dst_sel:DWORD dst_unused:UNUSED_PAD src0_sel:WORD_1 src1_sel:DWORD
	v_lshrrev_b32_e32 v18, 16, v21
	v_cmp_ne_u16_e32 vcc, 0, v29
	v_mov_b32_e32 v19, 0
	v_mov_b32_e32 v22, 0
	s_and_saveexec_b64 s[10:11], vcc
	s_cbranch_execz .LBB757_484
; %bb.479:
	s_movk_i32 s20, 0x80
	v_cmp_ne_u16_e32 vcc, s20, v29
	v_mov_b32_e32 v22, 0xffff8000
	s_and_saveexec_b64 s[20:21], vcc
	s_cbranch_execz .LBB757_483
; %bb.480:
	v_bfe_u32 v29, v21, 16, 7
	s_movk_i32 s22, 0x7f
	v_cmp_ne_u32_e32 vcc, s22, v29
	v_mov_b32_e32 v22, 0x7f80
	s_and_saveexec_b64 s[22:23], vcc
	s_cbranch_execz .LBB757_482
; %bb.481:
	v_and_b32_e32 v22, 7, v18
	v_ffbh_u32_e32 v30, v22
	v_min_u32_e32 v33, 32, v30
	v_subrev_u32_e32 v30, 28, v33
	v_lshlrev_b64 v[30:31], v30, v[18:19]
	v_lshrrev_b32_e32 v32, 3, v29
	v_sub_u32_e32 v18, 29, v33
	v_and_b32_e32 v30, 7, v30
	v_cmp_gt_u32_e32 vcc, 8, v29
	v_mov_b32_e32 v29, 24
	v_cndmask_b32_e32 v18, v32, v18, vcc
	v_cndmask_b32_e32 v22, v22, v30, vcc
	v_lshlrev_b32_sdwa v29, v29, v21 dst_sel:DWORD dst_unused:UNUSED_PAD src0_sel:DWORD src1_sel:WORD_1
	v_bfrev_b32_e32 v30, 60
	v_lshlrev_b32_e32 v22, 20, v22
	v_and_b32_e32 v29, 0x80000000, v29
	v_lshl_add_u32 v18, v18, 23, v30
	v_or3_b32 v18, v29, v18, v22
	v_lshrrev_b32_e32 v22, 16, v18
.LBB757_482:
	s_or_b64 exec, exec, s[22:23]
.LBB757_483:
	s_or_b64 exec, exec, s[20:21]
.LBB757_484:
	s_or_b64 exec, exec, s[10:11]
	s_mov_b32 s10, -1
	s_mov_b32 s11, 0xffffff
	v_cmp_lt_u64_e32 vcc, s[10:11], v[20:21]
	s_and_saveexec_b64 s[10:11], vcc
	s_cbranch_execz .LBB757_490
; %bb.485:
	v_lshrrev_b32_e32 v18, 24, v21
	s_movk_i32 s20, 0x80
	v_cmp_ne_u32_e32 vcc, s20, v18
	v_mov_b32_e32 v19, 0xffff8000
	s_and_saveexec_b64 s[20:21], vcc
	s_cbranch_execz .LBB757_489
; %bb.486:
	v_bfe_u32 v20, v21, 24, 7
	s_movk_i32 s22, 0x7f
	v_cmp_ne_u32_e32 vcc, s22, v20
	v_mov_b32_e32 v19, 0x7f80
	s_and_saveexec_b64 s[22:23], vcc
	s_cbranch_execz .LBB757_488
; %bb.487:
	v_and_b32_e32 v19, 7, v18
	v_ffbh_u32_e32 v29, v19
	v_min_u32_e32 v29, 32, v29
	v_subrev_u32_e32 v30, 28, v29
	v_lshlrev_b64 v[30:31], v30, v[18:19]
	v_lshrrev_b32_e32 v21, 3, v20
	v_sub_u32_e32 v29, 29, v29
	v_and_b32_e32 v30, 7, v30
	v_cmp_gt_u32_e32 vcc, 8, v20
	v_cndmask_b32_e32 v20, v21, v29, vcc
	v_cndmask_b32_e32 v19, v19, v30, vcc
	v_lshlrev_b32_e32 v18, 24, v18
	v_bfrev_b32_e32 v21, 60
	v_lshlrev_b32_e32 v19, 20, v19
	v_and_b32_e32 v18, 0x80000000, v18
	v_lshl_add_u32 v20, v20, 23, v21
	v_or3_b32 v18, v18, v20, v19
	v_lshrrev_b32_e32 v19, 16, v18
.LBB757_488:
	s_or_b64 exec, exec, s[22:23]
.LBB757_489:
	s_or_b64 exec, exec, s[20:21]
.LBB757_490:
	s_or_b64 exec, exec, s[10:11]
	s_mov_b32 s10, 0x5040100
	v_perm_b32 v21, v26, v25, s10
	v_perm_b32 v20, v23, v24, s10
	;; [unrolled: 1-line block ×4, first 2 shown]
	v_mfma_f32_4x4x4bf16_1k a[0:3], v[2:3], v[20:21], a[0:3] cbsz:4 abid:9
	v_mov_b32_e32 v21, 0
	v_mfma_f32_4x4x4bf16_1k a[0:3], v[4:5], v[18:19], a[0:3] cbsz:4 abid:9
	v_cmp_ne_u16_sdwa s[20:21], v14, v21 src0_sel:BYTE_0 src1_sel:DWORD
	v_mov_b32_e32 v22, 0
	s_and_saveexec_b64 s[10:11], s[20:21]
	s_cbranch_execz .LBB757_496
; %bb.491:
	s_movk_i32 s20, 0x80
	v_cmp_ne_u16_sdwa s[22:23], v14, s20 src0_sel:BYTE_0 src1_sel:DWORD
	v_mov_b32_e32 v22, 0xffff8000
	s_and_saveexec_b64 s[20:21], s[22:23]
	s_cbranch_execz .LBB757_495
; %bb.492:
	s_movk_i32 s22, 0x7f
	v_and_b32_e32 v18, 0x7f, v14
	v_cmp_ne_u32_e32 vcc, s22, v18
	v_mov_b32_e32 v22, 0x7f80
	s_and_saveexec_b64 s[22:23], vcc
	s_cbranch_execz .LBB757_494
; %bb.493:
	v_and_b32_e32 v19, 7, v14
	v_ffbh_u32_e32 v19, v19
	v_min_u32_e32 v19, 32, v19
	v_subrev_u32_e32 v22, 28, v19
	v_cmp_gt_u32_e32 vcc, 8, v18
	v_lshrrev_b32_e32 v20, 3, v18
	v_sub_u32_e32 v19, 29, v19
	v_cndmask_b32_e32 v18, 0, v22, vcc
	v_cndmask_b32_e32 v20, v20, v19, vcc
	v_lshlrev_b64 v[18:19], v18, v[14:15]
	v_lshlrev_b32_e32 v18, 20, v18
	v_lshlrev_b32_e32 v19, 24, v14
	v_bfrev_b32_e32 v22, 60
	v_and_b32_e32 v18, 0x700000, v18
	v_and_b32_e32 v19, 0x80000000, v19
	v_lshl_add_u32 v20, v20, 23, v22
	v_or3_b32 v18, v19, v20, v18
	v_lshrrev_b32_e32 v22, 16, v18
.LBB757_494:
	s_or_b64 exec, exec, s[22:23]
.LBB757_495:
	s_or_b64 exec, exec, s[20:21]
.LBB757_496:
	s_or_b64 exec, exec, s[10:11]
	v_lshrrev_b16_e32 v18, 8, v14
	v_cmp_ne_u16_e32 vcc, 0, v18
	s_and_saveexec_b64 s[10:11], vcc
	s_cbranch_execz .LBB757_502
; %bb.497:
	s_movk_i32 s20, 0x80
	v_cmp_ne_u16_e32 vcc, s20, v18
	v_mov_b32_e32 v21, 0xffff8000
	s_and_saveexec_b64 s[20:21], vcc
	s_cbranch_execz .LBB757_501
; %bb.498:
	s_movk_i32 s22, 0x7f
	v_and_b32_e32 v19, 0x7f, v18
	v_cmp_ne_u32_e32 vcc, s22, v19
	v_mov_b32_e32 v21, 0x7f80
	s_and_saveexec_b64 s[22:23], vcc
	s_cbranch_execz .LBB757_500
; %bb.499:
	v_and_b32_e32 v23, 7, v18
	v_ffbh_u32_e32 v20, v23
	v_min_u32_e32 v25, 32, v20
	v_subrev_u32_e32 v20, 28, v25
	v_lshlrev_b64 v[20:21], v20, v[18:19]
	v_lshrrev_b32_e32 v24, 3, v19
	v_sub_u32_e32 v18, 29, v25
	v_and_b32_e32 v20, 7, v20
	v_cmp_gt_u32_e32 vcc, 8, v19
	v_cndmask_b32_e32 v18, v24, v18, vcc
	v_cndmask_b32_e32 v19, v23, v20, vcc
	v_lshlrev_b32_e32 v20, 16, v14
	v_bfrev_b32_e32 v21, 60
	v_lshlrev_b32_e32 v19, 20, v19
	v_and_b32_e32 v20, 0x80000000, v20
	v_lshl_add_u32 v18, v18, 23, v21
	v_or3_b32 v18, v20, v18, v19
	v_lshrrev_b32_e32 v21, 16, v18
.LBB757_500:
	s_or_b64 exec, exec, s[22:23]
.LBB757_501:
	s_or_b64 exec, exec, s[20:21]
.LBB757_502:
	s_or_b64 exec, exec, s[10:11]
	s_movk_i32 s10, 0xff
	v_and_b32_sdwa v20, v14, s10 dst_sel:DWORD dst_unused:UNUSED_PAD src0_sel:WORD_1 src1_sel:DWORD
	v_lshrrev_b32_e32 v18, 16, v14
	v_cmp_ne_u16_e32 vcc, 0, v20
	v_mov_b32_e32 v19, 0
	v_mov_b32_e32 v23, 0
	s_and_saveexec_b64 s[10:11], vcc
	s_cbranch_execz .LBB757_508
; %bb.503:
	s_movk_i32 s20, 0x80
	v_cmp_ne_u16_e32 vcc, s20, v20
	v_mov_b32_e32 v23, 0xffff8000
	s_and_saveexec_b64 s[20:21], vcc
	s_cbranch_execz .LBB757_507
; %bb.504:
	v_bfe_u32 v20, v14, 16, 7
	s_movk_i32 s22, 0x7f
	v_cmp_ne_u32_e32 vcc, s22, v20
	v_mov_b32_e32 v23, 0x7f80
	s_and_saveexec_b64 s[22:23], vcc
	s_cbranch_execz .LBB757_506
; %bb.505:
	v_and_b32_e32 v23, 7, v18
	v_ffbh_u32_e32 v24, v23
	v_min_u32_e32 v27, 32, v24
	v_subrev_u32_e32 v24, 28, v27
	v_lshlrev_b64 v[24:25], v24, v[18:19]
	v_and_b32_e32 v24, 7, v24
	v_cmp_gt_u32_e32 vcc, 8, v20
	v_lshrrev_b32_e32 v26, 3, v20
	v_sub_u32_e32 v18, 29, v27
	v_cndmask_b32_e32 v20, v23, v24, vcc
	v_mov_b32_e32 v23, 24
	v_cndmask_b32_e32 v18, v26, v18, vcc
	v_lshlrev_b32_sdwa v23, v23, v14 dst_sel:DWORD dst_unused:UNUSED_PAD src0_sel:DWORD src1_sel:WORD_1
	v_bfrev_b32_e32 v24, 60
	v_lshlrev_b32_e32 v20, 20, v20
	v_and_b32_e32 v23, 0x80000000, v23
	v_lshl_add_u32 v18, v18, 23, v24
	v_or3_b32 v18, v23, v18, v20
	v_lshrrev_b32_e32 v23, 16, v18
.LBB757_506:
	s_or_b64 exec, exec, s[22:23]
.LBB757_507:
	s_or_b64 exec, exec, s[20:21]
.LBB757_508:
	s_or_b64 exec, exec, s[10:11]
	s_mov_b32 s10, 0xffffff
	v_cmp_lt_u32_e32 vcc, s10, v14
	v_mov_b32_e32 v24, 0
	s_and_saveexec_b64 s[10:11], vcc
	s_cbranch_execz .LBB757_514
; %bb.509:
	v_lshrrev_b32_e32 v18, 24, v14
	s_movk_i32 s20, 0x80
	v_cmp_ne_u32_e32 vcc, s20, v18
	v_mov_b32_e32 v24, 0xffff8000
	s_and_saveexec_b64 s[20:21], vcc
	s_cbranch_execz .LBB757_513
; %bb.510:
	v_bfe_u32 v20, v14, 24, 7
	s_movk_i32 s22, 0x7f
	v_cmp_ne_u32_e32 vcc, s22, v20
	v_mov_b32_e32 v24, 0x7f80
	s_and_saveexec_b64 s[22:23], vcc
	s_cbranch_execz .LBB757_512
; %bb.511:
	v_and_b32_e32 v26, 7, v18
	v_ffbh_u32_e32 v24, v26
	v_min_u32_e32 v28, 32, v24
	v_subrev_u32_e32 v24, 28, v28
	v_lshlrev_b64 v[24:25], v24, v[18:19]
	v_lshrrev_b32_e32 v27, 3, v20
	v_sub_u32_e32 v25, 29, v28
	v_and_b32_e32 v24, 7, v24
	v_cmp_gt_u32_e32 vcc, 8, v20
	v_cndmask_b32_e32 v20, v27, v25, vcc
	v_cndmask_b32_e32 v24, v26, v24, vcc
	v_lshlrev_b32_e32 v18, 24, v18
	v_bfrev_b32_e32 v25, 60
	v_lshlrev_b32_e32 v24, 20, v24
	v_and_b32_e32 v18, 0x80000000, v18
	v_lshl_add_u32 v20, v20, 23, v25
	v_or3_b32 v18, v18, v20, v24
	v_lshrrev_b32_e32 v24, 16, v18
.LBB757_512:
	s_or_b64 exec, exec, s[22:23]
.LBB757_513:
	s_or_b64 exec, exec, s[20:21]
.LBB757_514:
	s_or_b64 exec, exec, s[10:11]
	v_mov_b32_e32 v25, 0
	v_mov_b32_e32 v18, v15
	v_cmp_ne_u16_sdwa s[20:21], v15, v25 src0_sel:BYTE_0 src1_sel:DWORD
	v_mov_b32_e32 v26, 0
	s_and_saveexec_b64 s[10:11], s[20:21]
	s_cbranch_execz .LBB757_520
; %bb.515:
	s_movk_i32 s20, 0x80
	v_cmp_ne_u16_sdwa s[22:23], v15, s20 src0_sel:BYTE_0 src1_sel:DWORD
	v_mov_b32_e32 v26, 0xffff8000
	s_and_saveexec_b64 s[20:21], s[22:23]
	s_cbranch_execz .LBB757_519
; %bb.516:
	s_movk_i32 s22, 0x7f
	v_and_b32_e32 v20, 0x7f, v15
	v_cmp_ne_u32_e32 vcc, s22, v20
	v_mov_b32_e32 v26, 0x7f80
	s_and_saveexec_b64 s[22:23], vcc
	s_cbranch_execz .LBB757_518
; %bb.517:
	v_and_b32_e32 v26, 7, v15
	v_ffbh_u32_e32 v26, v26
	v_min_u32_e32 v26, 32, v26
	v_lshrrev_b32_e32 v27, 3, v20
	v_subrev_u32_e32 v28, 28, v26
	v_sub_u32_e32 v26, 29, v26
	v_cmp_gt_u32_e32 vcc, 8, v20
	v_cndmask_b32_e32 v20, v27, v26, vcc
	v_cndmask_b32_e32 v26, 0, v28, vcc
	v_lshlrev_b64 v[26:27], v26, v[18:19]
	v_lshlrev_b32_e32 v19, 20, v26
	v_lshlrev_b32_e32 v26, 24, v18
	v_bfrev_b32_e32 v27, 60
	v_and_b32_e32 v19, 0x700000, v19
	v_and_b32_e32 v26, 0x80000000, v26
	v_lshl_add_u32 v20, v20, 23, v27
	v_or3_b32 v19, v26, v20, v19
	v_lshrrev_b32_e32 v26, 16, v19
.LBB757_518:
	s_or_b64 exec, exec, s[22:23]
.LBB757_519:
	s_or_b64 exec, exec, s[20:21]
.LBB757_520:
	s_or_b64 exec, exec, s[10:11]
	v_lshrrev_b16_e32 v20, 8, v18
	v_cmp_ne_u16_e32 vcc, 0, v20
	s_and_saveexec_b64 s[10:11], vcc
	s_cbranch_execz .LBB757_526
; %bb.521:
	s_movk_i32 s20, 0x80
	v_cmp_ne_u16_e32 vcc, s20, v20
	v_mov_b32_e32 v25, 0xffff8000
	s_and_saveexec_b64 s[20:21], vcc
	s_cbranch_execz .LBB757_525
; %bb.522:
	s_movk_i32 s22, 0x7f
	v_and_b32_e32 v19, 0x7f, v20
	v_cmp_ne_u32_e32 vcc, s22, v19
	v_mov_b32_e32 v25, 0x7f80
	s_and_saveexec_b64 s[22:23], vcc
	s_cbranch_execz .LBB757_524
; %bb.523:
	v_and_b32_e32 v25, 7, v20
	v_ffbh_u32_e32 v28, v25
	v_min_u32_e32 v30, 32, v28
	v_subrev_u32_e32 v28, 28, v30
	v_lshlrev_b64 v[28:29], v28, v[20:21]
	v_lshrrev_b32_e32 v27, 3, v19
	v_sub_u32_e32 v20, 29, v30
	v_and_b32_e32 v28, 7, v28
	v_cmp_gt_u32_e32 vcc, 8, v19
	v_cndmask_b32_e32 v19, v27, v20, vcc
	v_cndmask_b32_e32 v20, v25, v28, vcc
	v_lshlrev_b32_e32 v18, 16, v18
	v_bfrev_b32_e32 v25, 60
	v_lshlrev_b32_e32 v20, 20, v20
	v_and_b32_e32 v18, 0x80000000, v18
	v_lshl_add_u32 v19, v19, 23, v25
	v_or3_b32 v18, v18, v19, v20
	v_lshrrev_b32_e32 v25, 16, v18
.LBB757_524:
	s_or_b64 exec, exec, s[22:23]
.LBB757_525:
	s_or_b64 exec, exec, s[20:21]
.LBB757_526:
	s_or_b64 exec, exec, s[10:11]
	s_movk_i32 s10, 0xff
	v_and_b32_sdwa v27, v15, s10 dst_sel:DWORD dst_unused:UNUSED_PAD src0_sel:WORD_1 src1_sel:DWORD
	v_lshrrev_b32_e32 v18, 16, v15
	v_cmp_ne_u16_e32 vcc, 0, v27
	v_mov_b32_e32 v19, 0
	v_mov_b32_e32 v20, 0
	s_and_saveexec_b64 s[10:11], vcc
	s_cbranch_execz .LBB757_532
; %bb.527:
	s_movk_i32 s20, 0x80
	v_cmp_ne_u16_e32 vcc, s20, v27
	v_mov_b32_e32 v20, 0xffff8000
	s_and_saveexec_b64 s[20:21], vcc
	s_cbranch_execz .LBB757_531
; %bb.528:
	v_bfe_u32 v27, v15, 16, 7
	s_movk_i32 s22, 0x7f
	v_cmp_ne_u32_e32 vcc, s22, v27
	v_mov_b32_e32 v20, 0x7f80
	s_and_saveexec_b64 s[22:23], vcc
	s_cbranch_execz .LBB757_530
; %bb.529:
	v_and_b32_e32 v20, 7, v18
	v_ffbh_u32_e32 v28, v20
	v_min_u32_e32 v31, 32, v28
	v_subrev_u32_e32 v28, 28, v31
	v_lshlrev_b64 v[28:29], v28, v[18:19]
	v_lshrrev_b32_e32 v30, 3, v27
	v_sub_u32_e32 v18, 29, v31
	v_and_b32_e32 v28, 7, v28
	v_cmp_gt_u32_e32 vcc, 8, v27
	v_mov_b32_e32 v27, 24
	v_cndmask_b32_e32 v18, v30, v18, vcc
	v_cndmask_b32_e32 v20, v20, v28, vcc
	v_lshlrev_b32_sdwa v27, v27, v15 dst_sel:DWORD dst_unused:UNUSED_PAD src0_sel:DWORD src1_sel:WORD_1
	v_bfrev_b32_e32 v28, 60
	v_lshlrev_b32_e32 v20, 20, v20
	v_and_b32_e32 v27, 0x80000000, v27
	v_lshl_add_u32 v18, v18, 23, v28
	v_or3_b32 v18, v27, v18, v20
	v_lshrrev_b32_e32 v20, 16, v18
.LBB757_530:
	s_or_b64 exec, exec, s[22:23]
.LBB757_531:
	s_or_b64 exec, exec, s[20:21]
.LBB757_532:
	s_or_b64 exec, exec, s[10:11]
	s_mov_b32 s10, -1
	s_mov_b32 s11, 0xffffff
	v_cmp_lt_u64_e32 vcc, s[10:11], v[14:15]
	s_and_saveexec_b64 s[10:11], vcc
	s_cbranch_execz .LBB757_538
; %bb.533:
	v_lshrrev_b32_e32 v14, 24, v15
	s_movk_i32 s20, 0x80
	v_cmp_ne_u32_e32 vcc, s20, v14
	v_mov_b32_e32 v19, 0xffff8000
	s_and_saveexec_b64 s[20:21], vcc
	s_cbranch_execz .LBB757_537
; %bb.534:
	v_bfe_u32 v15, v15, 24, 7
	s_movk_i32 s22, 0x7f
	v_cmp_ne_u32_e32 vcc, s22, v15
	v_mov_b32_e32 v19, 0x7f80
	s_and_saveexec_b64 s[22:23], vcc
	s_cbranch_execz .LBB757_536
; %bb.535:
	v_and_b32_e32 v27, 7, v14
	v_ffbh_u32_e32 v18, v27
	v_min_u32_e32 v29, 32, v18
	v_subrev_u32_e32 v18, 28, v29
	v_lshlrev_b64 v[18:19], v18, v[14:15]
	v_lshrrev_b32_e32 v28, 3, v15
	v_sub_u32_e32 v19, 29, v29
	v_and_b32_e32 v18, 7, v18
	v_cmp_gt_u32_e32 vcc, 8, v15
	v_cndmask_b32_e32 v15, v28, v19, vcc
	v_cndmask_b32_e32 v18, v27, v18, vcc
	v_lshlrev_b32_e32 v14, 24, v14
	v_bfrev_b32_e32 v19, 60
	v_lshlrev_b32_e32 v18, 20, v18
	v_and_b32_e32 v14, 0x80000000, v14
	v_lshl_add_u32 v15, v15, 23, v19
	v_or3_b32 v14, v14, v15, v18
	v_lshrrev_b32_e32 v19, 16, v14
.LBB757_536:
	s_or_b64 exec, exec, s[22:23]
.LBB757_537:
	s_or_b64 exec, exec, s[20:21]
.LBB757_538:
	s_or_b64 exec, exec, s[10:11]
	s_mov_b32 s10, 0x5040100
	v_perm_b32 v15, v24, v23, s10
	v_perm_b32 v14, v21, v22, s10
	;; [unrolled: 1-line block ×4, first 2 shown]
	v_mfma_f32_4x4x4bf16_1k a[0:3], v[2:3], v[14:15], a[0:3] cbsz:4 abid:10
	v_mov_b32_e32 v20, 0
	v_mfma_f32_4x4x4bf16_1k a[0:3], v[4:5], v[18:19], a[0:3] cbsz:4 abid:10
	v_mov_b32_e32 v19, 0
	v_cmp_ne_u16_sdwa s[20:21], v16, v19 src0_sel:BYTE_0 src1_sel:DWORD
	s_and_saveexec_b64 s[10:11], s[20:21]
	s_cbranch_execz .LBB757_544
; %bb.539:
	s_movk_i32 s20, 0x80
	v_cmp_ne_u16_sdwa s[22:23], v16, s20 src0_sel:BYTE_0 src1_sel:DWORD
	v_mov_b32_e32 v20, 0xffff8000
	s_and_saveexec_b64 s[20:21], s[22:23]
	s_cbranch_execz .LBB757_543
; %bb.540:
	s_movk_i32 s22, 0x7f
	v_and_b32_e32 v14, 0x7f, v16
	v_cmp_ne_u32_e32 vcc, s22, v14
	v_mov_b32_e32 v20, 0x7f80
	s_and_saveexec_b64 s[22:23], vcc
	s_cbranch_execz .LBB757_542
; %bb.541:
	v_and_b32_e32 v15, 7, v16
	v_ffbh_u32_e32 v15, v15
	v_min_u32_e32 v15, 32, v15
	v_subrev_u32_e32 v20, 28, v15
	v_cmp_gt_u32_e32 vcc, 8, v14
	v_lshrrev_b32_e32 v18, 3, v14
	v_sub_u32_e32 v15, 29, v15
	v_cndmask_b32_e32 v14, 0, v20, vcc
	v_cndmask_b32_e32 v18, v18, v15, vcc
	v_lshlrev_b64 v[14:15], v14, v[16:17]
	v_lshlrev_b32_e32 v14, 20, v14
	v_lshlrev_b32_e32 v15, 24, v16
	v_bfrev_b32_e32 v20, 60
	v_and_b32_e32 v14, 0x700000, v14
	v_and_b32_e32 v15, 0x80000000, v15
	v_lshl_add_u32 v18, v18, 23, v20
	v_or3_b32 v14, v15, v18, v14
	v_lshrrev_b32_e32 v20, 16, v14
.LBB757_542:
	s_or_b64 exec, exec, s[22:23]
.LBB757_543:
	s_or_b64 exec, exec, s[20:21]
.LBB757_544:
	s_or_b64 exec, exec, s[10:11]
	v_lshrrev_b16_e32 v14, 8, v16
	v_cmp_ne_u16_e32 vcc, 0, v14
	s_and_saveexec_b64 s[10:11], vcc
	s_cbranch_execz .LBB757_550
; %bb.545:
	s_movk_i32 s20, 0x80
	v_cmp_ne_u16_e32 vcc, s20, v14
	v_mov_b32_e32 v19, 0xffff8000
	s_and_saveexec_b64 s[20:21], vcc
	s_cbranch_execz .LBB757_549
; %bb.546:
	s_movk_i32 s22, 0x7f
	v_and_b32_e32 v15, 0x7f, v14
	v_cmp_ne_u32_e32 vcc, s22, v15
	v_mov_b32_e32 v19, 0x7f80
	s_and_saveexec_b64 s[22:23], vcc
	s_cbranch_execz .LBB757_548
; %bb.547:
	v_and_b32_e32 v21, 7, v14
	v_ffbh_u32_e32 v18, v21
	v_min_u32_e32 v23, 32, v18
	v_subrev_u32_e32 v18, 28, v23
	v_lshlrev_b64 v[18:19], v18, v[14:15]
	v_lshrrev_b32_e32 v22, 3, v15
	v_sub_u32_e32 v14, 29, v23
	v_and_b32_e32 v18, 7, v18
	v_cmp_gt_u32_e32 vcc, 8, v15
	v_cndmask_b32_e32 v14, v22, v14, vcc
	v_cndmask_b32_e32 v15, v21, v18, vcc
	v_lshlrev_b32_e32 v18, 16, v16
	v_bfrev_b32_e32 v19, 60
	v_lshlrev_b32_e32 v15, 20, v15
	v_and_b32_e32 v18, 0x80000000, v18
	v_lshl_add_u32 v14, v14, 23, v19
	v_or3_b32 v14, v18, v14, v15
	v_lshrrev_b32_e32 v19, 16, v14
.LBB757_548:
	s_or_b64 exec, exec, s[22:23]
.LBB757_549:
	s_or_b64 exec, exec, s[20:21]
.LBB757_550:
	s_or_b64 exec, exec, s[10:11]
	s_movk_i32 s10, 0xff
	v_and_b32_sdwa v18, v16, s10 dst_sel:DWORD dst_unused:UNUSED_PAD src0_sel:WORD_1 src1_sel:DWORD
	v_lshrrev_b32_e32 v14, 16, v16
	v_cmp_ne_u16_e32 vcc, 0, v18
	v_mov_b32_e32 v15, 0
	v_mov_b32_e32 v21, 0
	s_and_saveexec_b64 s[10:11], vcc
	s_cbranch_execz .LBB757_556
; %bb.551:
	s_movk_i32 s20, 0x80
	v_cmp_ne_u16_e32 vcc, s20, v18
	v_mov_b32_e32 v21, 0xffff8000
	s_and_saveexec_b64 s[20:21], vcc
	s_cbranch_execz .LBB757_555
; %bb.552:
	v_bfe_u32 v18, v16, 16, 7
	s_movk_i32 s22, 0x7f
	v_cmp_ne_u32_e32 vcc, s22, v18
	v_mov_b32_e32 v21, 0x7f80
	s_and_saveexec_b64 s[22:23], vcc
	s_cbranch_execz .LBB757_554
; %bb.553:
	v_and_b32_e32 v21, 7, v14
	v_ffbh_u32_e32 v22, v21
	v_min_u32_e32 v25, 32, v22
	v_subrev_u32_e32 v22, 28, v25
	v_lshlrev_b64 v[22:23], v22, v[14:15]
	v_and_b32_e32 v22, 7, v22
	v_cmp_gt_u32_e32 vcc, 8, v18
	v_lshrrev_b32_e32 v24, 3, v18
	v_sub_u32_e32 v14, 29, v25
	v_cndmask_b32_e32 v18, v21, v22, vcc
	v_mov_b32_e32 v21, 24
	v_cndmask_b32_e32 v14, v24, v14, vcc
	v_lshlrev_b32_sdwa v21, v21, v16 dst_sel:DWORD dst_unused:UNUSED_PAD src0_sel:DWORD src1_sel:WORD_1
	v_bfrev_b32_e32 v22, 60
	v_lshlrev_b32_e32 v18, 20, v18
	v_and_b32_e32 v21, 0x80000000, v21
	v_lshl_add_u32 v14, v14, 23, v22
	v_or3_b32 v14, v21, v14, v18
	v_lshrrev_b32_e32 v21, 16, v14
.LBB757_554:
	s_or_b64 exec, exec, s[22:23]
.LBB757_555:
	s_or_b64 exec, exec, s[20:21]
.LBB757_556:
	s_or_b64 exec, exec, s[10:11]
	s_mov_b32 s10, 0xffffff
	v_cmp_lt_u32_e32 vcc, s10, v16
	v_mov_b32_e32 v22, 0
	s_and_saveexec_b64 s[10:11], vcc
	s_cbranch_execz .LBB757_562
; %bb.557:
	v_lshrrev_b32_e32 v14, 24, v16
	s_movk_i32 s20, 0x80
	v_cmp_ne_u32_e32 vcc, s20, v14
	v_mov_b32_e32 v22, 0xffff8000
	s_and_saveexec_b64 s[20:21], vcc
	s_cbranch_execz .LBB757_561
; %bb.558:
	v_bfe_u32 v18, v16, 24, 7
	s_movk_i32 s22, 0x7f
	v_cmp_ne_u32_e32 vcc, s22, v18
	v_mov_b32_e32 v22, 0x7f80
	s_and_saveexec_b64 s[22:23], vcc
	s_cbranch_execz .LBB757_560
; %bb.559:
	v_and_b32_e32 v24, 7, v14
	v_ffbh_u32_e32 v22, v24
	v_min_u32_e32 v26, 32, v22
	v_subrev_u32_e32 v22, 28, v26
	v_lshlrev_b64 v[22:23], v22, v[14:15]
	v_lshrrev_b32_e32 v25, 3, v18
	v_sub_u32_e32 v23, 29, v26
	v_and_b32_e32 v22, 7, v22
	v_cmp_gt_u32_e32 vcc, 8, v18
	v_cndmask_b32_e32 v18, v25, v23, vcc
	v_cndmask_b32_e32 v22, v24, v22, vcc
	v_lshlrev_b32_e32 v14, 24, v14
	v_bfrev_b32_e32 v23, 60
	v_lshlrev_b32_e32 v22, 20, v22
	v_and_b32_e32 v14, 0x80000000, v14
	v_lshl_add_u32 v18, v18, 23, v23
	v_or3_b32 v14, v14, v18, v22
	v_lshrrev_b32_e32 v22, 16, v14
.LBB757_560:
	s_or_b64 exec, exec, s[22:23]
.LBB757_561:
	s_or_b64 exec, exec, s[20:21]
.LBB757_562:
	s_or_b64 exec, exec, s[10:11]
	v_mov_b32_e32 v23, 0
	v_mov_b32_e32 v14, v17
	v_cmp_ne_u16_sdwa s[20:21], v17, v23 src0_sel:BYTE_0 src1_sel:DWORD
	v_mov_b32_e32 v24, 0
	s_and_saveexec_b64 s[10:11], s[20:21]
	s_cbranch_execz .LBB757_568
; %bb.563:
	s_movk_i32 s20, 0x80
	v_cmp_ne_u16_sdwa s[22:23], v17, s20 src0_sel:BYTE_0 src1_sel:DWORD
	v_mov_b32_e32 v24, 0xffff8000
	s_and_saveexec_b64 s[20:21], s[22:23]
	s_cbranch_execz .LBB757_567
; %bb.564:
	s_movk_i32 s22, 0x7f
	v_and_b32_e32 v18, 0x7f, v17
	v_cmp_ne_u32_e32 vcc, s22, v18
	v_mov_b32_e32 v24, 0x7f80
	s_and_saveexec_b64 s[22:23], vcc
	s_cbranch_execz .LBB757_566
; %bb.565:
	v_and_b32_e32 v24, 7, v17
	v_ffbh_u32_e32 v24, v24
	v_min_u32_e32 v24, 32, v24
	v_lshrrev_b32_e32 v25, 3, v18
	v_subrev_u32_e32 v26, 28, v24
	v_sub_u32_e32 v24, 29, v24
	v_cmp_gt_u32_e32 vcc, 8, v18
	v_cndmask_b32_e32 v18, v25, v24, vcc
	v_cndmask_b32_e32 v24, 0, v26, vcc
	v_lshlrev_b64 v[24:25], v24, v[14:15]
	v_lshlrev_b32_e32 v15, 20, v24
	v_lshlrev_b32_e32 v24, 24, v14
	v_bfrev_b32_e32 v25, 60
	v_and_b32_e32 v15, 0x700000, v15
	v_and_b32_e32 v24, 0x80000000, v24
	v_lshl_add_u32 v18, v18, 23, v25
	v_or3_b32 v15, v24, v18, v15
	v_lshrrev_b32_e32 v24, 16, v15
.LBB757_566:
	s_or_b64 exec, exec, s[22:23]
.LBB757_567:
	s_or_b64 exec, exec, s[20:21]
.LBB757_568:
	s_or_b64 exec, exec, s[10:11]
	v_lshrrev_b16_e32 v18, 8, v14
	v_cmp_ne_u16_e32 vcc, 0, v18
	s_and_saveexec_b64 s[10:11], vcc
	s_cbranch_execz .LBB757_574
; %bb.569:
	s_movk_i32 s20, 0x80
	v_cmp_ne_u16_e32 vcc, s20, v18
	v_mov_b32_e32 v23, 0xffff8000
	s_and_saveexec_b64 s[20:21], vcc
	s_cbranch_execz .LBB757_573
; %bb.570:
	s_movk_i32 s22, 0x7f
	v_and_b32_e32 v15, 0x7f, v18
	v_cmp_ne_u32_e32 vcc, s22, v15
	v_mov_b32_e32 v23, 0x7f80
	s_and_saveexec_b64 s[22:23], vcc
	s_cbranch_execz .LBB757_572
; %bb.571:
	v_and_b32_e32 v23, 7, v18
	v_ffbh_u32_e32 v26, v23
	v_min_u32_e32 v28, 32, v26
	v_subrev_u32_e32 v26, 28, v28
	v_lshlrev_b64 v[26:27], v26, v[18:19]
	v_lshrrev_b32_e32 v25, 3, v15
	v_sub_u32_e32 v18, 29, v28
	v_and_b32_e32 v26, 7, v26
	v_cmp_gt_u32_e32 vcc, 8, v15
	v_cndmask_b32_e32 v15, v25, v18, vcc
	v_cndmask_b32_e32 v18, v23, v26, vcc
	v_lshlrev_b32_e32 v14, 16, v14
	v_bfrev_b32_e32 v23, 60
	v_lshlrev_b32_e32 v18, 20, v18
	v_and_b32_e32 v14, 0x80000000, v14
	v_lshl_add_u32 v15, v15, 23, v23
	v_or3_b32 v14, v14, v15, v18
	v_lshrrev_b32_e32 v23, 16, v14
.LBB757_572:
	s_or_b64 exec, exec, s[22:23]
.LBB757_573:
	s_or_b64 exec, exec, s[20:21]
.LBB757_574:
	s_or_b64 exec, exec, s[10:11]
	s_movk_i32 s10, 0xff
	v_and_b32_sdwa v25, v17, s10 dst_sel:DWORD dst_unused:UNUSED_PAD src0_sel:WORD_1 src1_sel:DWORD
	v_lshrrev_b32_e32 v14, 16, v17
	v_cmp_ne_u16_e32 vcc, 0, v25
	v_mov_b32_e32 v15, 0
	v_mov_b32_e32 v18, 0
	s_and_saveexec_b64 s[10:11], vcc
	s_cbranch_execz .LBB757_580
; %bb.575:
	s_movk_i32 s20, 0x80
	v_cmp_ne_u16_e32 vcc, s20, v25
	v_mov_b32_e32 v18, 0xffff8000
	s_and_saveexec_b64 s[20:21], vcc
	s_cbranch_execz .LBB757_579
; %bb.576:
	v_bfe_u32 v25, v17, 16, 7
	s_movk_i32 s22, 0x7f
	v_cmp_ne_u32_e32 vcc, s22, v25
	v_mov_b32_e32 v18, 0x7f80
	s_and_saveexec_b64 s[22:23], vcc
	s_cbranch_execz .LBB757_578
; %bb.577:
	v_and_b32_e32 v18, 7, v14
	v_ffbh_u32_e32 v26, v18
	v_min_u32_e32 v29, 32, v26
	v_subrev_u32_e32 v26, 28, v29
	v_lshlrev_b64 v[26:27], v26, v[14:15]
	v_lshrrev_b32_e32 v28, 3, v25
	v_sub_u32_e32 v14, 29, v29
	v_and_b32_e32 v26, 7, v26
	v_cmp_gt_u32_e32 vcc, 8, v25
	v_mov_b32_e32 v25, 24
	v_cndmask_b32_e32 v14, v28, v14, vcc
	v_cndmask_b32_e32 v18, v18, v26, vcc
	v_lshlrev_b32_sdwa v25, v25, v17 dst_sel:DWORD dst_unused:UNUSED_PAD src0_sel:DWORD src1_sel:WORD_1
	v_bfrev_b32_e32 v26, 60
	v_lshlrev_b32_e32 v18, 20, v18
	v_and_b32_e32 v25, 0x80000000, v25
	v_lshl_add_u32 v14, v14, 23, v26
	v_or3_b32 v14, v25, v14, v18
	v_lshrrev_b32_e32 v18, 16, v14
.LBB757_578:
	s_or_b64 exec, exec, s[22:23]
.LBB757_579:
	s_or_b64 exec, exec, s[20:21]
.LBB757_580:
	s_or_b64 exec, exec, s[10:11]
	s_mov_b32 s10, -1
	s_mov_b32 s11, 0xffffff
	v_cmp_lt_u64_e32 vcc, s[10:11], v[16:17]
	s_and_saveexec_b64 s[10:11], vcc
	s_cbranch_execz .LBB757_586
; %bb.581:
	v_lshrrev_b32_e32 v14, 24, v17
	s_movk_i32 s20, 0x80
	v_cmp_ne_u32_e32 vcc, s20, v14
	v_mov_b32_e32 v15, 0xffff8000
	s_and_saveexec_b64 s[20:21], vcc
	s_cbranch_execz .LBB757_585
; %bb.582:
	v_bfe_u32 v16, v17, 24, 7
	s_movk_i32 s22, 0x7f
	v_cmp_ne_u32_e32 vcc, s22, v16
	v_mov_b32_e32 v15, 0x7f80
	s_and_saveexec_b64 s[22:23], vcc
	s_cbranch_execz .LBB757_584
; %bb.583:
	v_and_b32_e32 v15, 7, v14
	v_ffbh_u32_e32 v25, v15
	v_min_u32_e32 v25, 32, v25
	v_subrev_u32_e32 v26, 28, v25
	v_lshlrev_b64 v[26:27], v26, v[14:15]
	v_lshrrev_b32_e32 v17, 3, v16
	v_sub_u32_e32 v25, 29, v25
	v_and_b32_e32 v26, 7, v26
	v_cmp_gt_u32_e32 vcc, 8, v16
	v_cndmask_b32_e32 v16, v17, v25, vcc
	v_cndmask_b32_e32 v15, v15, v26, vcc
	v_lshlrev_b32_e32 v14, 24, v14
	v_bfrev_b32_e32 v17, 60
	v_lshlrev_b32_e32 v15, 20, v15
	v_and_b32_e32 v14, 0x80000000, v14
	v_lshl_add_u32 v16, v16, 23, v17
	v_or3_b32 v14, v14, v16, v15
	v_lshrrev_b32_e32 v15, 16, v14
.LBB757_584:
	s_or_b64 exec, exec, s[22:23]
.LBB757_585:
	s_or_b64 exec, exec, s[20:21]
.LBB757_586:
	s_or_b64 exec, exec, s[10:11]
	s_mov_b32 s10, 0x5040100
	v_perm_b32 v17, v22, v21, s10
	v_perm_b32 v16, v19, v20, s10
	;; [unrolled: 1-line block ×4, first 2 shown]
	v_mfma_f32_4x4x4bf16_1k a[0:3], v[2:3], v[16:17], a[0:3] cbsz:4 abid:11
	v_mov_b32_e32 v17, 0
	v_mfma_f32_4x4x4bf16_1k a[0:3], v[4:5], v[14:15], a[0:3] cbsz:4 abid:11
	s_waitcnt vmcnt(18)
	v_cmp_ne_u16_sdwa s[20:21], v10, v17 src0_sel:BYTE_0 src1_sel:DWORD
	v_mov_b32_e32 v18, 0
	s_and_saveexec_b64 s[10:11], s[20:21]
	s_cbranch_execz .LBB757_592
; %bb.587:
	s_movk_i32 s20, 0x80
	v_cmp_ne_u16_sdwa s[22:23], v10, s20 src0_sel:BYTE_0 src1_sel:DWORD
	v_mov_b32_e32 v18, 0xffff8000
	s_and_saveexec_b64 s[20:21], s[22:23]
	s_cbranch_execz .LBB757_591
; %bb.588:
	s_movk_i32 s22, 0x7f
	v_and_b32_e32 v14, 0x7f, v10
	v_cmp_ne_u32_e32 vcc, s22, v14
	v_mov_b32_e32 v18, 0x7f80
	s_and_saveexec_b64 s[22:23], vcc
	s_cbranch_execz .LBB757_590
; %bb.589:
	v_and_b32_e32 v15, 7, v10
	v_ffbh_u32_e32 v15, v15
	v_min_u32_e32 v15, 32, v15
	v_subrev_u32_e32 v18, 28, v15
	v_cmp_gt_u32_e32 vcc, 8, v14
	v_lshrrev_b32_e32 v16, 3, v14
	v_sub_u32_e32 v15, 29, v15
	v_cndmask_b32_e32 v14, 0, v18, vcc
	v_cndmask_b32_e32 v16, v16, v15, vcc
	v_lshlrev_b64 v[14:15], v14, v[10:11]
	v_lshlrev_b32_e32 v14, 20, v14
	v_lshlrev_b32_e32 v15, 24, v10
	v_bfrev_b32_e32 v18, 60
	v_and_b32_e32 v14, 0x700000, v14
	v_and_b32_e32 v15, 0x80000000, v15
	v_lshl_add_u32 v16, v16, 23, v18
	v_or3_b32 v14, v15, v16, v14
	v_lshrrev_b32_e32 v18, 16, v14
.LBB757_590:
	s_or_b64 exec, exec, s[22:23]
.LBB757_591:
	s_or_b64 exec, exec, s[20:21]
.LBB757_592:
	s_or_b64 exec, exec, s[10:11]
	v_lshrrev_b16_e32 v14, 8, v10
	v_cmp_ne_u16_e32 vcc, 0, v14
	s_and_saveexec_b64 s[10:11], vcc
	s_cbranch_execz .LBB757_598
; %bb.593:
	s_movk_i32 s20, 0x80
	v_cmp_ne_u16_e32 vcc, s20, v14
	v_mov_b32_e32 v17, 0xffff8000
	s_and_saveexec_b64 s[20:21], vcc
	s_cbranch_execz .LBB757_597
; %bb.594:
	s_movk_i32 s22, 0x7f
	v_and_b32_e32 v15, 0x7f, v14
	v_cmp_ne_u32_e32 vcc, s22, v15
	v_mov_b32_e32 v17, 0x7f80
	s_and_saveexec_b64 s[22:23], vcc
	s_cbranch_execz .LBB757_596
; %bb.595:
	v_and_b32_e32 v19, 7, v14
	v_ffbh_u32_e32 v16, v19
	v_min_u32_e32 v21, 32, v16
	v_subrev_u32_e32 v16, 28, v21
	v_lshlrev_b64 v[16:17], v16, v[14:15]
	v_lshrrev_b32_e32 v20, 3, v15
	v_sub_u32_e32 v14, 29, v21
	v_and_b32_e32 v16, 7, v16
	v_cmp_gt_u32_e32 vcc, 8, v15
	v_cndmask_b32_e32 v14, v20, v14, vcc
	v_cndmask_b32_e32 v15, v19, v16, vcc
	v_lshlrev_b32_e32 v16, 16, v10
	v_bfrev_b32_e32 v17, 60
	v_lshlrev_b32_e32 v15, 20, v15
	v_and_b32_e32 v16, 0x80000000, v16
	v_lshl_add_u32 v14, v14, 23, v17
	v_or3_b32 v14, v16, v14, v15
	v_lshrrev_b32_e32 v17, 16, v14
.LBB757_596:
	s_or_b64 exec, exec, s[22:23]
.LBB757_597:
	s_or_b64 exec, exec, s[20:21]
.LBB757_598:
	s_or_b64 exec, exec, s[10:11]
	s_movk_i32 s10, 0xff
	v_and_b32_sdwa v16, v10, s10 dst_sel:DWORD dst_unused:UNUSED_PAD src0_sel:WORD_1 src1_sel:DWORD
	v_lshrrev_b32_e32 v14, 16, v10
	v_cmp_ne_u16_e32 vcc, 0, v16
	v_mov_b32_e32 v15, 0
	v_mov_b32_e32 v19, 0
	s_and_saveexec_b64 s[10:11], vcc
	s_cbranch_execz .LBB757_604
; %bb.599:
	s_movk_i32 s20, 0x80
	v_cmp_ne_u16_e32 vcc, s20, v16
	v_mov_b32_e32 v19, 0xffff8000
	s_and_saveexec_b64 s[20:21], vcc
	s_cbranch_execz .LBB757_603
; %bb.600:
	v_bfe_u32 v16, v10, 16, 7
	s_movk_i32 s22, 0x7f
	v_cmp_ne_u32_e32 vcc, s22, v16
	v_mov_b32_e32 v19, 0x7f80
	s_and_saveexec_b64 s[22:23], vcc
	s_cbranch_execz .LBB757_602
; %bb.601:
	v_and_b32_e32 v19, 7, v14
	v_ffbh_u32_e32 v20, v19
	v_min_u32_e32 v23, 32, v20
	v_subrev_u32_e32 v20, 28, v23
	v_lshlrev_b64 v[20:21], v20, v[14:15]
	v_and_b32_e32 v20, 7, v20
	v_cmp_gt_u32_e32 vcc, 8, v16
	v_lshrrev_b32_e32 v22, 3, v16
	v_sub_u32_e32 v14, 29, v23
	v_cndmask_b32_e32 v16, v19, v20, vcc
	v_mov_b32_e32 v19, 24
	v_cndmask_b32_e32 v14, v22, v14, vcc
	v_lshlrev_b32_sdwa v19, v19, v10 dst_sel:DWORD dst_unused:UNUSED_PAD src0_sel:DWORD src1_sel:WORD_1
	v_bfrev_b32_e32 v20, 60
	v_lshlrev_b32_e32 v16, 20, v16
	v_and_b32_e32 v19, 0x80000000, v19
	v_lshl_add_u32 v14, v14, 23, v20
	v_or3_b32 v14, v19, v14, v16
	v_lshrrev_b32_e32 v19, 16, v14
.LBB757_602:
	s_or_b64 exec, exec, s[22:23]
.LBB757_603:
	s_or_b64 exec, exec, s[20:21]
.LBB757_604:
	s_or_b64 exec, exec, s[10:11]
	s_mov_b32 s10, 0xffffff
	v_cmp_lt_u32_e32 vcc, s10, v10
	v_mov_b32_e32 v20, 0
	s_and_saveexec_b64 s[10:11], vcc
	s_cbranch_execz .LBB757_610
; %bb.605:
	v_lshrrev_b32_e32 v14, 24, v10
	s_movk_i32 s20, 0x80
	v_cmp_ne_u32_e32 vcc, s20, v14
	v_mov_b32_e32 v20, 0xffff8000
	s_and_saveexec_b64 s[20:21], vcc
	s_cbranch_execz .LBB757_609
; %bb.606:
	v_bfe_u32 v16, v10, 24, 7
	s_movk_i32 s22, 0x7f
	v_cmp_ne_u32_e32 vcc, s22, v16
	v_mov_b32_e32 v20, 0x7f80
	s_and_saveexec_b64 s[22:23], vcc
	s_cbranch_execz .LBB757_608
; %bb.607:
	v_and_b32_e32 v22, 7, v14
	v_ffbh_u32_e32 v20, v22
	v_min_u32_e32 v24, 32, v20
	v_subrev_u32_e32 v20, 28, v24
	v_lshlrev_b64 v[20:21], v20, v[14:15]
	v_lshrrev_b32_e32 v23, 3, v16
	v_sub_u32_e32 v21, 29, v24
	v_and_b32_e32 v20, 7, v20
	v_cmp_gt_u32_e32 vcc, 8, v16
	v_cndmask_b32_e32 v16, v23, v21, vcc
	v_cndmask_b32_e32 v20, v22, v20, vcc
	v_lshlrev_b32_e32 v14, 24, v14
	v_bfrev_b32_e32 v21, 60
	v_lshlrev_b32_e32 v20, 20, v20
	v_and_b32_e32 v14, 0x80000000, v14
	v_lshl_add_u32 v16, v16, 23, v21
	v_or3_b32 v14, v14, v16, v20
	v_lshrrev_b32_e32 v20, 16, v14
.LBB757_608:
	s_or_b64 exec, exec, s[22:23]
.LBB757_609:
	s_or_b64 exec, exec, s[20:21]
.LBB757_610:
	s_or_b64 exec, exec, s[10:11]
	v_mov_b32_e32 v21, 0
	v_mov_b32_e32 v14, v11
	v_cmp_ne_u16_sdwa s[20:21], v11, v21 src0_sel:BYTE_0 src1_sel:DWORD
	v_mov_b32_e32 v22, 0
	s_and_saveexec_b64 s[10:11], s[20:21]
	s_cbranch_execz .LBB757_616
; %bb.611:
	s_movk_i32 s20, 0x80
	v_cmp_ne_u16_sdwa s[22:23], v11, s20 src0_sel:BYTE_0 src1_sel:DWORD
	v_mov_b32_e32 v22, 0xffff8000
	s_and_saveexec_b64 s[20:21], s[22:23]
	s_cbranch_execz .LBB757_615
; %bb.612:
	s_movk_i32 s22, 0x7f
	v_and_b32_e32 v16, 0x7f, v11
	v_cmp_ne_u32_e32 vcc, s22, v16
	v_mov_b32_e32 v22, 0x7f80
	s_and_saveexec_b64 s[22:23], vcc
	s_cbranch_execz .LBB757_614
; %bb.613:
	v_and_b32_e32 v22, 7, v11
	v_ffbh_u32_e32 v22, v22
	v_min_u32_e32 v22, 32, v22
	v_lshrrev_b32_e32 v23, 3, v16
	v_subrev_u32_e32 v24, 28, v22
	v_sub_u32_e32 v22, 29, v22
	v_cmp_gt_u32_e32 vcc, 8, v16
	v_cndmask_b32_e32 v16, v23, v22, vcc
	v_cndmask_b32_e32 v22, 0, v24, vcc
	v_lshlrev_b64 v[22:23], v22, v[14:15]
	v_lshlrev_b32_e32 v15, 20, v22
	v_lshlrev_b32_e32 v22, 24, v14
	v_bfrev_b32_e32 v23, 60
	v_and_b32_e32 v15, 0x700000, v15
	v_and_b32_e32 v22, 0x80000000, v22
	v_lshl_add_u32 v16, v16, 23, v23
	v_or3_b32 v15, v22, v16, v15
	v_lshrrev_b32_e32 v22, 16, v15
.LBB757_614:
	s_or_b64 exec, exec, s[22:23]
.LBB757_615:
	s_or_b64 exec, exec, s[20:21]
.LBB757_616:
	s_or_b64 exec, exec, s[10:11]
	v_lshrrev_b16_e32 v16, 8, v14
	v_cmp_ne_u16_e32 vcc, 0, v16
	s_and_saveexec_b64 s[10:11], vcc
	s_cbranch_execz .LBB757_622
; %bb.617:
	s_movk_i32 s20, 0x80
	v_cmp_ne_u16_e32 vcc, s20, v16
	v_mov_b32_e32 v21, 0xffff8000
	s_and_saveexec_b64 s[20:21], vcc
	s_cbranch_execz .LBB757_621
; %bb.618:
	s_movk_i32 s22, 0x7f
	v_and_b32_e32 v15, 0x7f, v16
	v_cmp_ne_u32_e32 vcc, s22, v15
	v_mov_b32_e32 v21, 0x7f80
	s_and_saveexec_b64 s[22:23], vcc
	s_cbranch_execz .LBB757_620
; %bb.619:
	v_and_b32_e32 v21, 7, v16
	v_ffbh_u32_e32 v24, v21
	v_min_u32_e32 v26, 32, v24
	v_subrev_u32_e32 v24, 28, v26
	v_lshlrev_b64 v[24:25], v24, v[16:17]
	v_lshrrev_b32_e32 v23, 3, v15
	v_sub_u32_e32 v16, 29, v26
	v_and_b32_e32 v24, 7, v24
	v_cmp_gt_u32_e32 vcc, 8, v15
	v_cndmask_b32_e32 v15, v23, v16, vcc
	v_cndmask_b32_e32 v16, v21, v24, vcc
	v_lshlrev_b32_e32 v14, 16, v14
	v_bfrev_b32_e32 v21, 60
	v_lshlrev_b32_e32 v16, 20, v16
	v_and_b32_e32 v14, 0x80000000, v14
	v_lshl_add_u32 v15, v15, 23, v21
	v_or3_b32 v14, v14, v15, v16
	v_lshrrev_b32_e32 v21, 16, v14
.LBB757_620:
	s_or_b64 exec, exec, s[22:23]
.LBB757_621:
	s_or_b64 exec, exec, s[20:21]
.LBB757_622:
	s_or_b64 exec, exec, s[10:11]
	s_movk_i32 s10, 0xff
	v_and_b32_sdwa v23, v11, s10 dst_sel:DWORD dst_unused:UNUSED_PAD src0_sel:WORD_1 src1_sel:DWORD
	v_lshrrev_b32_e32 v14, 16, v11
	v_cmp_ne_u16_e32 vcc, 0, v23
	v_mov_b32_e32 v15, 0
	v_mov_b32_e32 v16, 0
	s_and_saveexec_b64 s[10:11], vcc
	s_cbranch_execz .LBB757_628
; %bb.623:
	s_movk_i32 s20, 0x80
	v_cmp_ne_u16_e32 vcc, s20, v23
	v_mov_b32_e32 v16, 0xffff8000
	s_and_saveexec_b64 s[20:21], vcc
	s_cbranch_execz .LBB757_627
; %bb.624:
	v_bfe_u32 v23, v11, 16, 7
	s_movk_i32 s22, 0x7f
	v_cmp_ne_u32_e32 vcc, s22, v23
	v_mov_b32_e32 v16, 0x7f80
	s_and_saveexec_b64 s[22:23], vcc
	s_cbranch_execz .LBB757_626
; %bb.625:
	v_and_b32_e32 v16, 7, v14
	v_ffbh_u32_e32 v24, v16
	v_min_u32_e32 v27, 32, v24
	v_subrev_u32_e32 v24, 28, v27
	v_lshlrev_b64 v[24:25], v24, v[14:15]
	v_lshrrev_b32_e32 v26, 3, v23
	v_sub_u32_e32 v14, 29, v27
	v_and_b32_e32 v24, 7, v24
	v_cmp_gt_u32_e32 vcc, 8, v23
	v_mov_b32_e32 v23, 24
	v_cndmask_b32_e32 v14, v26, v14, vcc
	v_cndmask_b32_e32 v16, v16, v24, vcc
	v_lshlrev_b32_sdwa v23, v23, v11 dst_sel:DWORD dst_unused:UNUSED_PAD src0_sel:DWORD src1_sel:WORD_1
	v_bfrev_b32_e32 v24, 60
	v_lshlrev_b32_e32 v16, 20, v16
	v_and_b32_e32 v23, 0x80000000, v23
	v_lshl_add_u32 v14, v14, 23, v24
	v_or3_b32 v14, v23, v14, v16
	v_lshrrev_b32_e32 v16, 16, v14
.LBB757_626:
	s_or_b64 exec, exec, s[22:23]
.LBB757_627:
	s_or_b64 exec, exec, s[20:21]
.LBB757_628:
	s_or_b64 exec, exec, s[10:11]
	s_mov_b32 s10, -1
	s_mov_b32 s11, 0xffffff
	v_cmp_lt_u64_e32 vcc, s[10:11], v[10:11]
	s_and_saveexec_b64 s[10:11], vcc
	s_cbranch_execz .LBB757_634
; %bb.629:
	v_lshrrev_b32_e32 v10, 24, v11
	s_movk_i32 s20, 0x80
	v_cmp_ne_u32_e32 vcc, s20, v10
	v_mov_b32_e32 v15, 0xffff8000
	s_and_saveexec_b64 s[20:21], vcc
	s_cbranch_execz .LBB757_633
; %bb.630:
	v_bfe_u32 v11, v11, 24, 7
	s_movk_i32 s22, 0x7f
	v_cmp_ne_u32_e32 vcc, s22, v11
	v_mov_b32_e32 v15, 0x7f80
	s_and_saveexec_b64 s[22:23], vcc
	s_cbranch_execz .LBB757_632
; %bb.631:
	v_and_b32_e32 v23, 7, v10
	v_ffbh_u32_e32 v14, v23
	v_min_u32_e32 v25, 32, v14
	v_subrev_u32_e32 v14, 28, v25
	v_lshlrev_b64 v[14:15], v14, v[10:11]
	v_lshrrev_b32_e32 v24, 3, v11
	v_sub_u32_e32 v15, 29, v25
	v_and_b32_e32 v14, 7, v14
	v_cmp_gt_u32_e32 vcc, 8, v11
	v_cndmask_b32_e32 v11, v24, v15, vcc
	v_cndmask_b32_e32 v14, v23, v14, vcc
	v_lshlrev_b32_e32 v10, 24, v10
	v_bfrev_b32_e32 v15, 60
	v_lshlrev_b32_e32 v14, 20, v14
	v_and_b32_e32 v10, 0x80000000, v10
	v_lshl_add_u32 v11, v11, 23, v15
	v_or3_b32 v10, v10, v11, v14
	v_lshrrev_b32_e32 v15, 16, v10
.LBB757_632:
	s_or_b64 exec, exec, s[22:23]
.LBB757_633:
	s_or_b64 exec, exec, s[20:21]
.LBB757_634:
	s_or_b64 exec, exec, s[10:11]
	s_mov_b32 s10, 0x5040100
	v_perm_b32 v11, v20, v19, s10
	v_perm_b32 v10, v17, v18, s10
	;; [unrolled: 1-line block ×4, first 2 shown]
	v_mfma_f32_4x4x4bf16_1k a[0:3], v[2:3], v[10:11], a[0:3] cbsz:4 abid:12
	v_mov_b32_e32 v16, 0
	v_mfma_f32_4x4x4bf16_1k a[0:3], v[4:5], v[14:15], a[0:3] cbsz:4 abid:12
	v_mov_b32_e32 v15, 0
	v_cmp_ne_u16_sdwa s[20:21], v12, v15 src0_sel:BYTE_0 src1_sel:DWORD
	s_and_saveexec_b64 s[10:11], s[20:21]
	s_cbranch_execz .LBB757_640
; %bb.635:
	s_movk_i32 s20, 0x80
	v_cmp_ne_u16_sdwa s[22:23], v12, s20 src0_sel:BYTE_0 src1_sel:DWORD
	v_mov_b32_e32 v16, 0xffff8000
	s_and_saveexec_b64 s[20:21], s[22:23]
	s_cbranch_execz .LBB757_639
; %bb.636:
	s_movk_i32 s22, 0x7f
	v_and_b32_e32 v10, 0x7f, v12
	v_cmp_ne_u32_e32 vcc, s22, v10
	v_mov_b32_e32 v16, 0x7f80
	s_and_saveexec_b64 s[22:23], vcc
	s_cbranch_execz .LBB757_638
; %bb.637:
	v_and_b32_e32 v11, 7, v12
	v_ffbh_u32_e32 v11, v11
	v_min_u32_e32 v11, 32, v11
	v_subrev_u32_e32 v16, 28, v11
	v_cmp_gt_u32_e32 vcc, 8, v10
	v_lshrrev_b32_e32 v14, 3, v10
	v_sub_u32_e32 v11, 29, v11
	v_cndmask_b32_e32 v10, 0, v16, vcc
	v_cndmask_b32_e32 v14, v14, v11, vcc
	v_lshlrev_b64 v[10:11], v10, v[12:13]
	v_lshlrev_b32_e32 v10, 20, v10
	v_lshlrev_b32_e32 v11, 24, v12
	v_bfrev_b32_e32 v16, 60
	v_and_b32_e32 v10, 0x700000, v10
	v_and_b32_e32 v11, 0x80000000, v11
	v_lshl_add_u32 v14, v14, 23, v16
	v_or3_b32 v10, v11, v14, v10
	v_lshrrev_b32_e32 v16, 16, v10
.LBB757_638:
	s_or_b64 exec, exec, s[22:23]
.LBB757_639:
	s_or_b64 exec, exec, s[20:21]
.LBB757_640:
	s_or_b64 exec, exec, s[10:11]
	v_lshrrev_b16_e32 v10, 8, v12
	v_cmp_ne_u16_e32 vcc, 0, v10
	s_and_saveexec_b64 s[10:11], vcc
	s_cbranch_execz .LBB757_646
; %bb.641:
	s_movk_i32 s20, 0x80
	v_cmp_ne_u16_e32 vcc, s20, v10
	v_mov_b32_e32 v15, 0xffff8000
	s_and_saveexec_b64 s[20:21], vcc
	s_cbranch_execz .LBB757_645
; %bb.642:
	s_movk_i32 s22, 0x7f
	v_and_b32_e32 v11, 0x7f, v10
	v_cmp_ne_u32_e32 vcc, s22, v11
	v_mov_b32_e32 v15, 0x7f80
	s_and_saveexec_b64 s[22:23], vcc
	s_cbranch_execz .LBB757_644
; %bb.643:
	v_and_b32_e32 v17, 7, v10
	v_ffbh_u32_e32 v14, v17
	v_min_u32_e32 v19, 32, v14
	v_subrev_u32_e32 v14, 28, v19
	v_lshlrev_b64 v[14:15], v14, v[10:11]
	v_lshrrev_b32_e32 v18, 3, v11
	v_sub_u32_e32 v10, 29, v19
	v_and_b32_e32 v14, 7, v14
	v_cmp_gt_u32_e32 vcc, 8, v11
	v_cndmask_b32_e32 v10, v18, v10, vcc
	v_cndmask_b32_e32 v11, v17, v14, vcc
	v_lshlrev_b32_e32 v14, 16, v12
	v_bfrev_b32_e32 v15, 60
	v_lshlrev_b32_e32 v11, 20, v11
	v_and_b32_e32 v14, 0x80000000, v14
	v_lshl_add_u32 v10, v10, 23, v15
	v_or3_b32 v10, v14, v10, v11
	v_lshrrev_b32_e32 v15, 16, v10
.LBB757_644:
	s_or_b64 exec, exec, s[22:23]
.LBB757_645:
	s_or_b64 exec, exec, s[20:21]
.LBB757_646:
	s_or_b64 exec, exec, s[10:11]
	s_movk_i32 s10, 0xff
	v_and_b32_sdwa v14, v12, s10 dst_sel:DWORD dst_unused:UNUSED_PAD src0_sel:WORD_1 src1_sel:DWORD
	v_lshrrev_b32_e32 v10, 16, v12
	v_cmp_ne_u16_e32 vcc, 0, v14
	v_mov_b32_e32 v11, 0
	v_mov_b32_e32 v17, 0
	s_and_saveexec_b64 s[10:11], vcc
	s_cbranch_execz .LBB757_652
; %bb.647:
	s_movk_i32 s20, 0x80
	v_cmp_ne_u16_e32 vcc, s20, v14
	v_mov_b32_e32 v17, 0xffff8000
	s_and_saveexec_b64 s[20:21], vcc
	s_cbranch_execz .LBB757_651
; %bb.648:
	v_bfe_u32 v14, v12, 16, 7
	s_movk_i32 s22, 0x7f
	v_cmp_ne_u32_e32 vcc, s22, v14
	v_mov_b32_e32 v17, 0x7f80
	s_and_saveexec_b64 s[22:23], vcc
	s_cbranch_execz .LBB757_650
; %bb.649:
	v_and_b32_e32 v17, 7, v10
	v_ffbh_u32_e32 v18, v17
	v_min_u32_e32 v21, 32, v18
	v_subrev_u32_e32 v18, 28, v21
	v_lshlrev_b64 v[18:19], v18, v[10:11]
	v_and_b32_e32 v18, 7, v18
	v_cmp_gt_u32_e32 vcc, 8, v14
	v_lshrrev_b32_e32 v20, 3, v14
	v_sub_u32_e32 v10, 29, v21
	v_cndmask_b32_e32 v14, v17, v18, vcc
	v_mov_b32_e32 v17, 24
	v_cndmask_b32_e32 v10, v20, v10, vcc
	v_lshlrev_b32_sdwa v17, v17, v12 dst_sel:DWORD dst_unused:UNUSED_PAD src0_sel:DWORD src1_sel:WORD_1
	v_bfrev_b32_e32 v18, 60
	v_lshlrev_b32_e32 v14, 20, v14
	v_and_b32_e32 v17, 0x80000000, v17
	v_lshl_add_u32 v10, v10, 23, v18
	v_or3_b32 v10, v17, v10, v14
	v_lshrrev_b32_e32 v17, 16, v10
.LBB757_650:
	s_or_b64 exec, exec, s[22:23]
.LBB757_651:
	s_or_b64 exec, exec, s[20:21]
.LBB757_652:
	s_or_b64 exec, exec, s[10:11]
	s_mov_b32 s10, 0xffffff
	v_cmp_lt_u32_e32 vcc, s10, v12
	v_mov_b32_e32 v18, 0
	s_and_saveexec_b64 s[10:11], vcc
	s_cbranch_execz .LBB757_658
; %bb.653:
	v_lshrrev_b32_e32 v10, 24, v12
	s_movk_i32 s20, 0x80
	v_cmp_ne_u32_e32 vcc, s20, v10
	v_mov_b32_e32 v18, 0xffff8000
	s_and_saveexec_b64 s[20:21], vcc
	s_cbranch_execz .LBB757_657
; %bb.654:
	v_bfe_u32 v14, v12, 24, 7
	s_movk_i32 s22, 0x7f
	v_cmp_ne_u32_e32 vcc, s22, v14
	v_mov_b32_e32 v18, 0x7f80
	s_and_saveexec_b64 s[22:23], vcc
	s_cbranch_execz .LBB757_656
; %bb.655:
	v_and_b32_e32 v20, 7, v10
	v_ffbh_u32_e32 v18, v20
	v_min_u32_e32 v22, 32, v18
	v_subrev_u32_e32 v18, 28, v22
	v_lshlrev_b64 v[18:19], v18, v[10:11]
	v_lshrrev_b32_e32 v21, 3, v14
	v_sub_u32_e32 v19, 29, v22
	v_and_b32_e32 v18, 7, v18
	v_cmp_gt_u32_e32 vcc, 8, v14
	v_cndmask_b32_e32 v14, v21, v19, vcc
	v_cndmask_b32_e32 v18, v20, v18, vcc
	v_lshlrev_b32_e32 v10, 24, v10
	v_bfrev_b32_e32 v19, 60
	v_lshlrev_b32_e32 v18, 20, v18
	v_and_b32_e32 v10, 0x80000000, v10
	v_lshl_add_u32 v14, v14, 23, v19
	v_or3_b32 v10, v10, v14, v18
	v_lshrrev_b32_e32 v18, 16, v10
.LBB757_656:
	s_or_b64 exec, exec, s[22:23]
.LBB757_657:
	s_or_b64 exec, exec, s[20:21]
.LBB757_658:
	s_or_b64 exec, exec, s[10:11]
	v_mov_b32_e32 v19, 0
	v_mov_b32_e32 v10, v13
	v_cmp_ne_u16_sdwa s[20:21], v13, v19 src0_sel:BYTE_0 src1_sel:DWORD
	v_mov_b32_e32 v20, 0
	s_and_saveexec_b64 s[10:11], s[20:21]
	s_cbranch_execz .LBB757_664
; %bb.659:
	s_movk_i32 s20, 0x80
	v_cmp_ne_u16_sdwa s[22:23], v13, s20 src0_sel:BYTE_0 src1_sel:DWORD
	v_mov_b32_e32 v20, 0xffff8000
	s_and_saveexec_b64 s[20:21], s[22:23]
	s_cbranch_execz .LBB757_663
; %bb.660:
	s_movk_i32 s22, 0x7f
	v_and_b32_e32 v14, 0x7f, v13
	v_cmp_ne_u32_e32 vcc, s22, v14
	v_mov_b32_e32 v20, 0x7f80
	s_and_saveexec_b64 s[22:23], vcc
	s_cbranch_execz .LBB757_662
; %bb.661:
	v_and_b32_e32 v20, 7, v13
	v_ffbh_u32_e32 v20, v20
	v_min_u32_e32 v20, 32, v20
	v_lshrrev_b32_e32 v21, 3, v14
	v_subrev_u32_e32 v22, 28, v20
	v_sub_u32_e32 v20, 29, v20
	v_cmp_gt_u32_e32 vcc, 8, v14
	v_cndmask_b32_e32 v14, v21, v20, vcc
	v_cndmask_b32_e32 v20, 0, v22, vcc
	v_lshlrev_b64 v[20:21], v20, v[10:11]
	v_lshlrev_b32_e32 v11, 20, v20
	v_lshlrev_b32_e32 v20, 24, v10
	v_bfrev_b32_e32 v21, 60
	v_and_b32_e32 v11, 0x700000, v11
	v_and_b32_e32 v20, 0x80000000, v20
	v_lshl_add_u32 v14, v14, 23, v21
	v_or3_b32 v11, v20, v14, v11
	v_lshrrev_b32_e32 v20, 16, v11
.LBB757_662:
	s_or_b64 exec, exec, s[22:23]
.LBB757_663:
	s_or_b64 exec, exec, s[20:21]
.LBB757_664:
	s_or_b64 exec, exec, s[10:11]
	v_lshrrev_b16_e32 v14, 8, v10
	v_cmp_ne_u16_e32 vcc, 0, v14
	s_and_saveexec_b64 s[10:11], vcc
	s_cbranch_execz .LBB757_670
; %bb.665:
	s_movk_i32 s20, 0x80
	v_cmp_ne_u16_e32 vcc, s20, v14
	v_mov_b32_e32 v19, 0xffff8000
	s_and_saveexec_b64 s[20:21], vcc
	s_cbranch_execz .LBB757_669
; %bb.666:
	s_movk_i32 s22, 0x7f
	v_and_b32_e32 v11, 0x7f, v14
	v_cmp_ne_u32_e32 vcc, s22, v11
	v_mov_b32_e32 v19, 0x7f80
	s_and_saveexec_b64 s[22:23], vcc
	s_cbranch_execz .LBB757_668
; %bb.667:
	v_and_b32_e32 v19, 7, v14
	v_ffbh_u32_e32 v22, v19
	v_min_u32_e32 v24, 32, v22
	v_subrev_u32_e32 v22, 28, v24
	v_lshlrev_b64 v[22:23], v22, v[14:15]
	v_lshrrev_b32_e32 v21, 3, v11
	v_sub_u32_e32 v14, 29, v24
	v_and_b32_e32 v22, 7, v22
	v_cmp_gt_u32_e32 vcc, 8, v11
	v_cndmask_b32_e32 v11, v21, v14, vcc
	v_cndmask_b32_e32 v14, v19, v22, vcc
	v_lshlrev_b32_e32 v10, 16, v10
	v_bfrev_b32_e32 v19, 60
	v_lshlrev_b32_e32 v14, 20, v14
	v_and_b32_e32 v10, 0x80000000, v10
	v_lshl_add_u32 v11, v11, 23, v19
	v_or3_b32 v10, v10, v11, v14
	v_lshrrev_b32_e32 v19, 16, v10
.LBB757_668:
	s_or_b64 exec, exec, s[22:23]
.LBB757_669:
	s_or_b64 exec, exec, s[20:21]
.LBB757_670:
	s_or_b64 exec, exec, s[10:11]
	s_movk_i32 s10, 0xff
	v_and_b32_sdwa v21, v13, s10 dst_sel:DWORD dst_unused:UNUSED_PAD src0_sel:WORD_1 src1_sel:DWORD
	v_lshrrev_b32_e32 v10, 16, v13
	v_cmp_ne_u16_e32 vcc, 0, v21
	v_mov_b32_e32 v11, 0
	v_mov_b32_e32 v14, 0
	s_and_saveexec_b64 s[10:11], vcc
	s_cbranch_execz .LBB757_676
; %bb.671:
	s_movk_i32 s20, 0x80
	v_cmp_ne_u16_e32 vcc, s20, v21
	v_mov_b32_e32 v14, 0xffff8000
	s_and_saveexec_b64 s[20:21], vcc
	s_cbranch_execz .LBB757_675
; %bb.672:
	v_bfe_u32 v21, v13, 16, 7
	s_movk_i32 s22, 0x7f
	v_cmp_ne_u32_e32 vcc, s22, v21
	v_mov_b32_e32 v14, 0x7f80
	s_and_saveexec_b64 s[22:23], vcc
	s_cbranch_execz .LBB757_674
; %bb.673:
	v_and_b32_e32 v14, 7, v10
	v_ffbh_u32_e32 v22, v14
	v_min_u32_e32 v25, 32, v22
	v_subrev_u32_e32 v22, 28, v25
	v_lshlrev_b64 v[22:23], v22, v[10:11]
	v_lshrrev_b32_e32 v24, 3, v21
	v_sub_u32_e32 v10, 29, v25
	v_and_b32_e32 v22, 7, v22
	v_cmp_gt_u32_e32 vcc, 8, v21
	v_mov_b32_e32 v21, 24
	v_cndmask_b32_e32 v10, v24, v10, vcc
	v_cndmask_b32_e32 v14, v14, v22, vcc
	v_lshlrev_b32_sdwa v21, v21, v13 dst_sel:DWORD dst_unused:UNUSED_PAD src0_sel:DWORD src1_sel:WORD_1
	v_bfrev_b32_e32 v22, 60
	v_lshlrev_b32_e32 v14, 20, v14
	v_and_b32_e32 v21, 0x80000000, v21
	v_lshl_add_u32 v10, v10, 23, v22
	v_or3_b32 v10, v21, v10, v14
	v_lshrrev_b32_e32 v14, 16, v10
.LBB757_674:
	s_or_b64 exec, exec, s[22:23]
.LBB757_675:
	s_or_b64 exec, exec, s[20:21]
.LBB757_676:
	s_or_b64 exec, exec, s[10:11]
	s_mov_b32 s10, -1
	s_mov_b32 s11, 0xffffff
	v_cmp_lt_u64_e32 vcc, s[10:11], v[12:13]
	s_and_saveexec_b64 s[10:11], vcc
	s_cbranch_execz .LBB757_682
; %bb.677:
	v_lshrrev_b32_e32 v10, 24, v13
	s_movk_i32 s20, 0x80
	v_cmp_ne_u32_e32 vcc, s20, v10
	v_mov_b32_e32 v11, 0xffff8000
	s_and_saveexec_b64 s[20:21], vcc
	s_cbranch_execz .LBB757_681
; %bb.678:
	v_bfe_u32 v12, v13, 24, 7
	s_movk_i32 s22, 0x7f
	v_cmp_ne_u32_e32 vcc, s22, v12
	v_mov_b32_e32 v11, 0x7f80
	s_and_saveexec_b64 s[22:23], vcc
	s_cbranch_execz .LBB757_680
; %bb.679:
	v_and_b32_e32 v11, 7, v10
	v_ffbh_u32_e32 v21, v11
	v_min_u32_e32 v21, 32, v21
	v_subrev_u32_e32 v22, 28, v21
	v_lshlrev_b64 v[22:23], v22, v[10:11]
	v_lshrrev_b32_e32 v13, 3, v12
	v_sub_u32_e32 v21, 29, v21
	v_and_b32_e32 v22, 7, v22
	v_cmp_gt_u32_e32 vcc, 8, v12
	v_cndmask_b32_e32 v12, v13, v21, vcc
	v_cndmask_b32_e32 v11, v11, v22, vcc
	v_lshlrev_b32_e32 v10, 24, v10
	v_bfrev_b32_e32 v13, 60
	v_lshlrev_b32_e32 v11, 20, v11
	v_and_b32_e32 v10, 0x80000000, v10
	v_lshl_add_u32 v12, v12, 23, v13
	v_or3_b32 v10, v10, v12, v11
	v_lshrrev_b32_e32 v11, 16, v10
.LBB757_680:
	s_or_b64 exec, exec, s[22:23]
.LBB757_681:
	s_or_b64 exec, exec, s[20:21]
.LBB757_682:
	s_or_b64 exec, exec, s[10:11]
	s_mov_b32 s10, 0x5040100
	v_perm_b32 v13, v18, v17, s10
	v_perm_b32 v12, v15, v16, s10
	;; [unrolled: 1-line block ×4, first 2 shown]
	v_mfma_f32_4x4x4bf16_1k a[0:3], v[2:3], v[12:13], a[0:3] cbsz:4 abid:13
	v_mov_b32_e32 v13, 0
	v_mfma_f32_4x4x4bf16_1k a[0:3], v[4:5], v[10:11], a[0:3] cbsz:4 abid:13
	s_waitcnt vmcnt(13)
	v_cmp_ne_u16_sdwa s[20:21], v6, v13 src0_sel:BYTE_0 src1_sel:DWORD
	v_mov_b32_e32 v14, 0
	s_and_saveexec_b64 s[10:11], s[20:21]
	s_cbranch_execz .LBB757_688
; %bb.683:
	s_movk_i32 s20, 0x80
	v_cmp_ne_u16_sdwa s[22:23], v6, s20 src0_sel:BYTE_0 src1_sel:DWORD
	v_mov_b32_e32 v14, 0xffff8000
	s_and_saveexec_b64 s[20:21], s[22:23]
	s_cbranch_execz .LBB757_687
; %bb.684:
	s_movk_i32 s22, 0x7f
	v_and_b32_e32 v10, 0x7f, v6
	v_cmp_ne_u32_e32 vcc, s22, v10
	v_mov_b32_e32 v14, 0x7f80
	s_and_saveexec_b64 s[22:23], vcc
	s_cbranch_execz .LBB757_686
; %bb.685:
	v_and_b32_e32 v11, 7, v6
	v_ffbh_u32_e32 v11, v11
	v_min_u32_e32 v11, 32, v11
	v_subrev_u32_e32 v14, 28, v11
	v_cmp_gt_u32_e32 vcc, 8, v10
	v_lshrrev_b32_e32 v12, 3, v10
	v_sub_u32_e32 v11, 29, v11
	v_cndmask_b32_e32 v10, 0, v14, vcc
	v_cndmask_b32_e32 v12, v12, v11, vcc
	v_lshlrev_b64 v[10:11], v10, v[6:7]
	v_lshlrev_b32_e32 v10, 20, v10
	v_lshlrev_b32_e32 v11, 24, v6
	v_bfrev_b32_e32 v14, 60
	v_and_b32_e32 v10, 0x700000, v10
	v_and_b32_e32 v11, 0x80000000, v11
	v_lshl_add_u32 v12, v12, 23, v14
	v_or3_b32 v10, v11, v12, v10
	v_lshrrev_b32_e32 v14, 16, v10
.LBB757_686:
	s_or_b64 exec, exec, s[22:23]
.LBB757_687:
	s_or_b64 exec, exec, s[20:21]
.LBB757_688:
	s_or_b64 exec, exec, s[10:11]
	v_lshrrev_b16_e32 v10, 8, v6
	v_cmp_ne_u16_e32 vcc, 0, v10
	s_and_saveexec_b64 s[10:11], vcc
	s_cbranch_execz .LBB757_694
; %bb.689:
	s_movk_i32 s20, 0x80
	v_cmp_ne_u16_e32 vcc, s20, v10
	v_mov_b32_e32 v13, 0xffff8000
	s_and_saveexec_b64 s[20:21], vcc
	s_cbranch_execz .LBB757_693
; %bb.690:
	s_movk_i32 s22, 0x7f
	v_and_b32_e32 v11, 0x7f, v10
	v_cmp_ne_u32_e32 vcc, s22, v11
	v_mov_b32_e32 v13, 0x7f80
	s_and_saveexec_b64 s[22:23], vcc
	s_cbranch_execz .LBB757_692
; %bb.691:
	v_and_b32_e32 v15, 7, v10
	v_ffbh_u32_e32 v12, v15
	v_min_u32_e32 v17, 32, v12
	v_subrev_u32_e32 v12, 28, v17
	v_lshlrev_b64 v[12:13], v12, v[10:11]
	v_lshrrev_b32_e32 v16, 3, v11
	v_sub_u32_e32 v10, 29, v17
	v_and_b32_e32 v12, 7, v12
	v_cmp_gt_u32_e32 vcc, 8, v11
	v_cndmask_b32_e32 v10, v16, v10, vcc
	v_cndmask_b32_e32 v11, v15, v12, vcc
	v_lshlrev_b32_e32 v12, 16, v6
	v_bfrev_b32_e32 v13, 60
	v_lshlrev_b32_e32 v11, 20, v11
	v_and_b32_e32 v12, 0x80000000, v12
	v_lshl_add_u32 v10, v10, 23, v13
	v_or3_b32 v10, v12, v10, v11
	v_lshrrev_b32_e32 v13, 16, v10
.LBB757_692:
	s_or_b64 exec, exec, s[22:23]
.LBB757_693:
	s_or_b64 exec, exec, s[20:21]
.LBB757_694:
	s_or_b64 exec, exec, s[10:11]
	s_movk_i32 s10, 0xff
	v_and_b32_sdwa v12, v6, s10 dst_sel:DWORD dst_unused:UNUSED_PAD src0_sel:WORD_1 src1_sel:DWORD
	v_lshrrev_b32_e32 v10, 16, v6
	v_cmp_ne_u16_e32 vcc, 0, v12
	v_mov_b32_e32 v11, 0
	v_mov_b32_e32 v15, 0
	s_and_saveexec_b64 s[10:11], vcc
	s_cbranch_execz .LBB757_700
; %bb.695:
	s_movk_i32 s20, 0x80
	v_cmp_ne_u16_e32 vcc, s20, v12
	v_mov_b32_e32 v15, 0xffff8000
	s_and_saveexec_b64 s[20:21], vcc
	s_cbranch_execz .LBB757_699
; %bb.696:
	v_bfe_u32 v12, v6, 16, 7
	s_movk_i32 s22, 0x7f
	v_cmp_ne_u32_e32 vcc, s22, v12
	v_mov_b32_e32 v15, 0x7f80
	s_and_saveexec_b64 s[22:23], vcc
	s_cbranch_execz .LBB757_698
; %bb.697:
	v_and_b32_e32 v15, 7, v10
	v_ffbh_u32_e32 v16, v15
	v_min_u32_e32 v19, 32, v16
	v_subrev_u32_e32 v16, 28, v19
	v_lshlrev_b64 v[16:17], v16, v[10:11]
	v_and_b32_e32 v16, 7, v16
	v_cmp_gt_u32_e32 vcc, 8, v12
	v_lshrrev_b32_e32 v18, 3, v12
	v_sub_u32_e32 v10, 29, v19
	v_cndmask_b32_e32 v12, v15, v16, vcc
	v_mov_b32_e32 v15, 24
	v_cndmask_b32_e32 v10, v18, v10, vcc
	v_lshlrev_b32_sdwa v15, v15, v6 dst_sel:DWORD dst_unused:UNUSED_PAD src0_sel:DWORD src1_sel:WORD_1
	v_bfrev_b32_e32 v16, 60
	v_lshlrev_b32_e32 v12, 20, v12
	v_and_b32_e32 v15, 0x80000000, v15
	v_lshl_add_u32 v10, v10, 23, v16
	v_or3_b32 v10, v15, v10, v12
	v_lshrrev_b32_e32 v15, 16, v10
.LBB757_698:
	s_or_b64 exec, exec, s[22:23]
.LBB757_699:
	s_or_b64 exec, exec, s[20:21]
.LBB757_700:
	s_or_b64 exec, exec, s[10:11]
	s_mov_b32 s10, 0xffffff
	v_cmp_lt_u32_e32 vcc, s10, v6
	v_mov_b32_e32 v16, 0
	s_and_saveexec_b64 s[10:11], vcc
	s_cbranch_execz .LBB757_706
; %bb.701:
	v_lshrrev_b32_e32 v10, 24, v6
	s_movk_i32 s20, 0x80
	v_cmp_ne_u32_e32 vcc, s20, v10
	v_mov_b32_e32 v16, 0xffff8000
	s_and_saveexec_b64 s[20:21], vcc
	s_cbranch_execz .LBB757_705
; %bb.702:
	v_bfe_u32 v12, v6, 24, 7
	s_movk_i32 s22, 0x7f
	v_cmp_ne_u32_e32 vcc, s22, v12
	v_mov_b32_e32 v16, 0x7f80
	s_and_saveexec_b64 s[22:23], vcc
	s_cbranch_execz .LBB757_704
; %bb.703:
	v_and_b32_e32 v18, 7, v10
	v_ffbh_u32_e32 v16, v18
	v_min_u32_e32 v20, 32, v16
	v_subrev_u32_e32 v16, 28, v20
	v_lshlrev_b64 v[16:17], v16, v[10:11]
	v_lshrrev_b32_e32 v19, 3, v12
	v_sub_u32_e32 v17, 29, v20
	v_and_b32_e32 v16, 7, v16
	v_cmp_gt_u32_e32 vcc, 8, v12
	v_cndmask_b32_e32 v12, v19, v17, vcc
	v_cndmask_b32_e32 v16, v18, v16, vcc
	v_lshlrev_b32_e32 v10, 24, v10
	v_bfrev_b32_e32 v17, 60
	v_lshlrev_b32_e32 v16, 20, v16
	v_and_b32_e32 v10, 0x80000000, v10
	v_lshl_add_u32 v12, v12, 23, v17
	v_or3_b32 v10, v10, v12, v16
	v_lshrrev_b32_e32 v16, 16, v10
.LBB757_704:
	s_or_b64 exec, exec, s[22:23]
.LBB757_705:
	s_or_b64 exec, exec, s[20:21]
.LBB757_706:
	s_or_b64 exec, exec, s[10:11]
	v_mov_b32_e32 v17, 0
	v_mov_b32_e32 v10, v7
	v_cmp_ne_u16_sdwa s[20:21], v7, v17 src0_sel:BYTE_0 src1_sel:DWORD
	v_mov_b32_e32 v18, 0
	s_and_saveexec_b64 s[10:11], s[20:21]
	s_cbranch_execz .LBB757_712
; %bb.707:
	s_movk_i32 s20, 0x80
	v_cmp_ne_u16_sdwa s[22:23], v7, s20 src0_sel:BYTE_0 src1_sel:DWORD
	v_mov_b32_e32 v18, 0xffff8000
	s_and_saveexec_b64 s[20:21], s[22:23]
	s_cbranch_execz .LBB757_711
; %bb.708:
	s_movk_i32 s22, 0x7f
	v_and_b32_e32 v12, 0x7f, v7
	v_cmp_ne_u32_e32 vcc, s22, v12
	v_mov_b32_e32 v18, 0x7f80
	s_and_saveexec_b64 s[22:23], vcc
	s_cbranch_execz .LBB757_710
; %bb.709:
	v_and_b32_e32 v18, 7, v7
	v_ffbh_u32_e32 v18, v18
	v_min_u32_e32 v18, 32, v18
	v_lshrrev_b32_e32 v19, 3, v12
	v_subrev_u32_e32 v20, 28, v18
	v_sub_u32_e32 v18, 29, v18
	v_cmp_gt_u32_e32 vcc, 8, v12
	v_cndmask_b32_e32 v12, v19, v18, vcc
	v_cndmask_b32_e32 v18, 0, v20, vcc
	v_lshlrev_b64 v[18:19], v18, v[10:11]
	v_lshlrev_b32_e32 v11, 20, v18
	v_lshlrev_b32_e32 v18, 24, v10
	v_bfrev_b32_e32 v19, 60
	v_and_b32_e32 v11, 0x700000, v11
	v_and_b32_e32 v18, 0x80000000, v18
	v_lshl_add_u32 v12, v12, 23, v19
	v_or3_b32 v11, v18, v12, v11
	v_lshrrev_b32_e32 v18, 16, v11
.LBB757_710:
	s_or_b64 exec, exec, s[22:23]
.LBB757_711:
	s_or_b64 exec, exec, s[20:21]
.LBB757_712:
	s_or_b64 exec, exec, s[10:11]
	v_lshrrev_b16_e32 v12, 8, v10
	v_cmp_ne_u16_e32 vcc, 0, v12
	s_and_saveexec_b64 s[10:11], vcc
	s_cbranch_execz .LBB757_718
; %bb.713:
	s_movk_i32 s20, 0x80
	v_cmp_ne_u16_e32 vcc, s20, v12
	v_mov_b32_e32 v17, 0xffff8000
	s_and_saveexec_b64 s[20:21], vcc
	s_cbranch_execz .LBB757_717
; %bb.714:
	s_movk_i32 s22, 0x7f
	v_and_b32_e32 v11, 0x7f, v12
	v_cmp_ne_u32_e32 vcc, s22, v11
	v_mov_b32_e32 v17, 0x7f80
	s_and_saveexec_b64 s[22:23], vcc
	s_cbranch_execz .LBB757_716
; %bb.715:
	v_and_b32_e32 v17, 7, v12
	v_ffbh_u32_e32 v20, v17
	v_min_u32_e32 v22, 32, v20
	v_subrev_u32_e32 v20, 28, v22
	v_lshlrev_b64 v[20:21], v20, v[12:13]
	v_lshrrev_b32_e32 v19, 3, v11
	v_sub_u32_e32 v12, 29, v22
	v_and_b32_e32 v20, 7, v20
	v_cmp_gt_u32_e32 vcc, 8, v11
	v_cndmask_b32_e32 v11, v19, v12, vcc
	v_cndmask_b32_e32 v12, v17, v20, vcc
	v_lshlrev_b32_e32 v10, 16, v10
	v_bfrev_b32_e32 v17, 60
	v_lshlrev_b32_e32 v12, 20, v12
	v_and_b32_e32 v10, 0x80000000, v10
	v_lshl_add_u32 v11, v11, 23, v17
	v_or3_b32 v10, v10, v11, v12
	v_lshrrev_b32_e32 v17, 16, v10
.LBB757_716:
	s_or_b64 exec, exec, s[22:23]
.LBB757_717:
	s_or_b64 exec, exec, s[20:21]
.LBB757_718:
	s_or_b64 exec, exec, s[10:11]
	s_movk_i32 s10, 0xff
	v_and_b32_sdwa v19, v7, s10 dst_sel:DWORD dst_unused:UNUSED_PAD src0_sel:WORD_1 src1_sel:DWORD
	v_lshrrev_b32_e32 v10, 16, v7
	v_cmp_ne_u16_e32 vcc, 0, v19
	v_mov_b32_e32 v11, 0
	v_mov_b32_e32 v12, 0
	s_and_saveexec_b64 s[10:11], vcc
	s_cbranch_execz .LBB757_724
; %bb.719:
	s_movk_i32 s20, 0x80
	v_cmp_ne_u16_e32 vcc, s20, v19
	v_mov_b32_e32 v12, 0xffff8000
	s_and_saveexec_b64 s[20:21], vcc
	s_cbranch_execz .LBB757_723
; %bb.720:
	v_bfe_u32 v19, v7, 16, 7
	s_movk_i32 s22, 0x7f
	v_cmp_ne_u32_e32 vcc, s22, v19
	v_mov_b32_e32 v12, 0x7f80
	s_and_saveexec_b64 s[22:23], vcc
	s_cbranch_execz .LBB757_722
; %bb.721:
	v_and_b32_e32 v12, 7, v10
	v_ffbh_u32_e32 v20, v12
	v_min_u32_e32 v23, 32, v20
	v_subrev_u32_e32 v20, 28, v23
	v_lshlrev_b64 v[20:21], v20, v[10:11]
	v_lshrrev_b32_e32 v22, 3, v19
	v_sub_u32_e32 v10, 29, v23
	v_and_b32_e32 v20, 7, v20
	v_cmp_gt_u32_e32 vcc, 8, v19
	v_mov_b32_e32 v19, 24
	v_cndmask_b32_e32 v10, v22, v10, vcc
	v_cndmask_b32_e32 v12, v12, v20, vcc
	v_lshlrev_b32_sdwa v19, v19, v7 dst_sel:DWORD dst_unused:UNUSED_PAD src0_sel:DWORD src1_sel:WORD_1
	v_bfrev_b32_e32 v20, 60
	v_lshlrev_b32_e32 v12, 20, v12
	v_and_b32_e32 v19, 0x80000000, v19
	v_lshl_add_u32 v10, v10, 23, v20
	v_or3_b32 v10, v19, v10, v12
	v_lshrrev_b32_e32 v12, 16, v10
.LBB757_722:
	s_or_b64 exec, exec, s[22:23]
.LBB757_723:
	s_or_b64 exec, exec, s[20:21]
.LBB757_724:
	s_or_b64 exec, exec, s[10:11]
	s_mov_b32 s10, -1
	s_mov_b32 s11, 0xffffff
	v_cmp_lt_u64_e32 vcc, s[10:11], v[6:7]
	s_and_saveexec_b64 s[10:11], vcc
	s_cbranch_execz .LBB757_730
; %bb.725:
	v_lshrrev_b32_e32 v6, 24, v7
	s_movk_i32 s20, 0x80
	v_cmp_ne_u32_e32 vcc, s20, v6
	v_mov_b32_e32 v11, 0xffff8000
	s_and_saveexec_b64 s[20:21], vcc
	s_cbranch_execz .LBB757_729
; %bb.726:
	v_bfe_u32 v7, v7, 24, 7
	s_movk_i32 s22, 0x7f
	v_cmp_ne_u32_e32 vcc, s22, v7
	v_mov_b32_e32 v11, 0x7f80
	s_and_saveexec_b64 s[22:23], vcc
	s_cbranch_execz .LBB757_728
; %bb.727:
	v_and_b32_e32 v19, 7, v6
	v_ffbh_u32_e32 v10, v19
	v_min_u32_e32 v21, 32, v10
	v_subrev_u32_e32 v10, 28, v21
	v_lshlrev_b64 v[10:11], v10, v[6:7]
	v_lshrrev_b32_e32 v20, 3, v7
	v_sub_u32_e32 v11, 29, v21
	v_and_b32_e32 v10, 7, v10
	v_cmp_gt_u32_e32 vcc, 8, v7
	v_cndmask_b32_e32 v7, v20, v11, vcc
	v_cndmask_b32_e32 v10, v19, v10, vcc
	v_lshlrev_b32_e32 v6, 24, v6
	v_bfrev_b32_e32 v11, 60
	v_lshlrev_b32_e32 v10, 20, v10
	v_and_b32_e32 v6, 0x80000000, v6
	v_lshl_add_u32 v7, v7, 23, v11
	v_or3_b32 v6, v6, v7, v10
	v_lshrrev_b32_e32 v11, 16, v6
.LBB757_728:
	s_or_b64 exec, exec, s[22:23]
.LBB757_729:
	s_or_b64 exec, exec, s[20:21]
.LBB757_730:
	s_or_b64 exec, exec, s[10:11]
	s_mov_b32 s10, 0x5040100
	v_perm_b32 v7, v16, v15, s10
	v_perm_b32 v6, v13, v14, s10
	;; [unrolled: 1-line block ×4, first 2 shown]
	v_mfma_f32_4x4x4bf16_1k a[0:3], v[2:3], v[6:7], a[0:3] cbsz:4 abid:14
	v_mov_b32_e32 v12, 0
	v_mfma_f32_4x4x4bf16_1k a[0:3], v[4:5], v[10:11], a[0:3] cbsz:4 abid:14
	v_mov_b32_e32 v11, 0
	v_cmp_ne_u16_sdwa s[20:21], v8, v11 src0_sel:BYTE_0 src1_sel:DWORD
	s_and_saveexec_b64 s[10:11], s[20:21]
	s_cbranch_execz .LBB757_736
; %bb.731:
	s_movk_i32 s20, 0x80
	v_cmp_ne_u16_sdwa s[22:23], v8, s20 src0_sel:BYTE_0 src1_sel:DWORD
	v_mov_b32_e32 v12, 0xffff8000
	s_and_saveexec_b64 s[20:21], s[22:23]
	s_cbranch_execz .LBB757_735
; %bb.732:
	s_movk_i32 s22, 0x7f
	v_and_b32_e32 v6, 0x7f, v8
	v_cmp_ne_u32_e32 vcc, s22, v6
	v_mov_b32_e32 v12, 0x7f80
	s_and_saveexec_b64 s[22:23], vcc
	s_cbranch_execz .LBB757_734
; %bb.733:
	v_and_b32_e32 v7, 7, v8
	v_ffbh_u32_e32 v7, v7
	v_min_u32_e32 v7, 32, v7
	v_subrev_u32_e32 v12, 28, v7
	v_cmp_gt_u32_e32 vcc, 8, v6
	v_lshrrev_b32_e32 v10, 3, v6
	v_sub_u32_e32 v7, 29, v7
	v_cndmask_b32_e32 v6, 0, v12, vcc
	v_cndmask_b32_e32 v10, v10, v7, vcc
	v_lshlrev_b64 v[6:7], v6, v[8:9]
	v_lshlrev_b32_e32 v6, 20, v6
	v_lshlrev_b32_e32 v7, 24, v8
	v_bfrev_b32_e32 v12, 60
	v_and_b32_e32 v6, 0x700000, v6
	v_and_b32_e32 v7, 0x80000000, v7
	v_lshl_add_u32 v10, v10, 23, v12
	v_or3_b32 v6, v7, v10, v6
	v_lshrrev_b32_e32 v12, 16, v6
.LBB757_734:
	s_or_b64 exec, exec, s[22:23]
.LBB757_735:
	s_or_b64 exec, exec, s[20:21]
.LBB757_736:
	s_or_b64 exec, exec, s[10:11]
	v_lshrrev_b16_e32 v6, 8, v8
	v_cmp_ne_u16_e32 vcc, 0, v6
	s_and_saveexec_b64 s[10:11], vcc
	s_cbranch_execz .LBB757_742
; %bb.737:
	s_movk_i32 s20, 0x80
	v_cmp_ne_u16_e32 vcc, s20, v6
	v_mov_b32_e32 v11, 0xffff8000
	s_and_saveexec_b64 s[20:21], vcc
	s_cbranch_execz .LBB757_741
; %bb.738:
	s_movk_i32 s22, 0x7f
	v_and_b32_e32 v7, 0x7f, v6
	v_cmp_ne_u32_e32 vcc, s22, v7
	v_mov_b32_e32 v11, 0x7f80
	s_and_saveexec_b64 s[22:23], vcc
	s_cbranch_execz .LBB757_740
; %bb.739:
	v_and_b32_e32 v13, 7, v6
	v_ffbh_u32_e32 v10, v13
	v_min_u32_e32 v15, 32, v10
	v_subrev_u32_e32 v10, 28, v15
	v_lshlrev_b64 v[10:11], v10, v[6:7]
	v_lshrrev_b32_e32 v14, 3, v7
	v_sub_u32_e32 v6, 29, v15
	v_and_b32_e32 v10, 7, v10
	v_cmp_gt_u32_e32 vcc, 8, v7
	v_cndmask_b32_e32 v6, v14, v6, vcc
	v_cndmask_b32_e32 v7, v13, v10, vcc
	v_lshlrev_b32_e32 v10, 16, v8
	v_bfrev_b32_e32 v11, 60
	v_lshlrev_b32_e32 v7, 20, v7
	v_and_b32_e32 v10, 0x80000000, v10
	v_lshl_add_u32 v6, v6, 23, v11
	v_or3_b32 v6, v10, v6, v7
	v_lshrrev_b32_e32 v11, 16, v6
.LBB757_740:
	s_or_b64 exec, exec, s[22:23]
.LBB757_741:
	s_or_b64 exec, exec, s[20:21]
.LBB757_742:
	s_or_b64 exec, exec, s[10:11]
	s_movk_i32 s10, 0xff
	v_and_b32_sdwa v10, v8, s10 dst_sel:DWORD dst_unused:UNUSED_PAD src0_sel:WORD_1 src1_sel:DWORD
	v_lshrrev_b32_e32 v6, 16, v8
	v_cmp_ne_u16_e32 vcc, 0, v10
	v_mov_b32_e32 v7, 0
	v_mov_b32_e32 v13, 0
	s_and_saveexec_b64 s[10:11], vcc
	s_cbranch_execz .LBB757_748
; %bb.743:
	s_movk_i32 s20, 0x80
	v_cmp_ne_u16_e32 vcc, s20, v10
	v_mov_b32_e32 v13, 0xffff8000
	s_and_saveexec_b64 s[20:21], vcc
	s_cbranch_execz .LBB757_747
; %bb.744:
	v_bfe_u32 v10, v8, 16, 7
	s_movk_i32 s22, 0x7f
	v_cmp_ne_u32_e32 vcc, s22, v10
	v_mov_b32_e32 v13, 0x7f80
	s_and_saveexec_b64 s[22:23], vcc
	s_cbranch_execz .LBB757_746
; %bb.745:
	v_and_b32_e32 v13, 7, v6
	v_ffbh_u32_e32 v14, v13
	v_min_u32_e32 v17, 32, v14
	v_subrev_u32_e32 v14, 28, v17
	v_lshlrev_b64 v[14:15], v14, v[6:7]
	v_and_b32_e32 v14, 7, v14
	v_cmp_gt_u32_e32 vcc, 8, v10
	v_lshrrev_b32_e32 v16, 3, v10
	v_sub_u32_e32 v6, 29, v17
	v_cndmask_b32_e32 v10, v13, v14, vcc
	v_mov_b32_e32 v13, 24
	v_cndmask_b32_e32 v6, v16, v6, vcc
	v_lshlrev_b32_sdwa v13, v13, v8 dst_sel:DWORD dst_unused:UNUSED_PAD src0_sel:DWORD src1_sel:WORD_1
	v_bfrev_b32_e32 v14, 60
	v_lshlrev_b32_e32 v10, 20, v10
	v_and_b32_e32 v13, 0x80000000, v13
	v_lshl_add_u32 v6, v6, 23, v14
	v_or3_b32 v6, v13, v6, v10
	v_lshrrev_b32_e32 v13, 16, v6
.LBB757_746:
	s_or_b64 exec, exec, s[22:23]
.LBB757_747:
	s_or_b64 exec, exec, s[20:21]
.LBB757_748:
	s_or_b64 exec, exec, s[10:11]
	s_mov_b32 s10, 0xffffff
	v_cmp_lt_u32_e32 vcc, s10, v8
	v_mov_b32_e32 v14, 0
	s_and_saveexec_b64 s[10:11], vcc
	s_cbranch_execz .LBB757_754
; %bb.749:
	v_lshrrev_b32_e32 v6, 24, v8
	s_movk_i32 s20, 0x80
	v_cmp_ne_u32_e32 vcc, s20, v6
	v_mov_b32_e32 v14, 0xffff8000
	s_and_saveexec_b64 s[20:21], vcc
	s_cbranch_execz .LBB757_753
; %bb.750:
	v_bfe_u32 v10, v8, 24, 7
	s_movk_i32 s22, 0x7f
	v_cmp_ne_u32_e32 vcc, s22, v10
	v_mov_b32_e32 v14, 0x7f80
	s_and_saveexec_b64 s[22:23], vcc
	s_cbranch_execz .LBB757_752
; %bb.751:
	v_and_b32_e32 v16, 7, v6
	v_ffbh_u32_e32 v14, v16
	v_min_u32_e32 v18, 32, v14
	v_subrev_u32_e32 v14, 28, v18
	v_lshlrev_b64 v[14:15], v14, v[6:7]
	v_lshrrev_b32_e32 v17, 3, v10
	v_sub_u32_e32 v15, 29, v18
	v_and_b32_e32 v14, 7, v14
	v_cmp_gt_u32_e32 vcc, 8, v10
	v_cndmask_b32_e32 v10, v17, v15, vcc
	v_cndmask_b32_e32 v14, v16, v14, vcc
	v_lshlrev_b32_e32 v6, 24, v6
	v_bfrev_b32_e32 v15, 60
	v_lshlrev_b32_e32 v14, 20, v14
	v_and_b32_e32 v6, 0x80000000, v6
	v_lshl_add_u32 v10, v10, 23, v15
	v_or3_b32 v6, v6, v10, v14
	v_lshrrev_b32_e32 v14, 16, v6
.LBB757_752:
	s_or_b64 exec, exec, s[22:23]
.LBB757_753:
	s_or_b64 exec, exec, s[20:21]
.LBB757_754:
	s_or_b64 exec, exec, s[10:11]
	v_mov_b32_e32 v15, 0
	v_mov_b32_e32 v6, v9
	v_cmp_ne_u16_sdwa s[20:21], v9, v15 src0_sel:BYTE_0 src1_sel:DWORD
	v_mov_b32_e32 v16, 0
	s_and_saveexec_b64 s[10:11], s[20:21]
	s_cbranch_execz .LBB757_760
; %bb.755:
	s_movk_i32 s20, 0x80
	v_cmp_ne_u16_sdwa s[22:23], v9, s20 src0_sel:BYTE_0 src1_sel:DWORD
	v_mov_b32_e32 v16, 0xffff8000
	s_and_saveexec_b64 s[20:21], s[22:23]
	s_cbranch_execz .LBB757_759
; %bb.756:
	s_movk_i32 s22, 0x7f
	v_and_b32_e32 v10, 0x7f, v9
	v_cmp_ne_u32_e32 vcc, s22, v10
	v_mov_b32_e32 v16, 0x7f80
	s_and_saveexec_b64 s[22:23], vcc
	s_cbranch_execz .LBB757_758
; %bb.757:
	v_and_b32_e32 v16, 7, v9
	v_ffbh_u32_e32 v16, v16
	v_min_u32_e32 v16, 32, v16
	v_lshrrev_b32_e32 v17, 3, v10
	v_subrev_u32_e32 v18, 28, v16
	v_sub_u32_e32 v16, 29, v16
	v_cmp_gt_u32_e32 vcc, 8, v10
	v_cndmask_b32_e32 v10, v17, v16, vcc
	v_cndmask_b32_e32 v16, 0, v18, vcc
	v_lshlrev_b64 v[16:17], v16, v[6:7]
	v_lshlrev_b32_e32 v7, 20, v16
	v_lshlrev_b32_e32 v16, 24, v6
	v_bfrev_b32_e32 v17, 60
	v_and_b32_e32 v7, 0x700000, v7
	v_and_b32_e32 v16, 0x80000000, v16
	v_lshl_add_u32 v10, v10, 23, v17
	v_or3_b32 v7, v16, v10, v7
	v_lshrrev_b32_e32 v16, 16, v7
.LBB757_758:
	s_or_b64 exec, exec, s[22:23]
.LBB757_759:
	s_or_b64 exec, exec, s[20:21]
.LBB757_760:
	s_or_b64 exec, exec, s[10:11]
	v_lshrrev_b16_e32 v10, 8, v6
	v_cmp_ne_u16_e32 vcc, 0, v10
	s_and_saveexec_b64 s[10:11], vcc
	s_cbranch_execz .LBB757_766
; %bb.761:
	s_movk_i32 s20, 0x80
	v_cmp_ne_u16_e32 vcc, s20, v10
	v_mov_b32_e32 v15, 0xffff8000
	s_and_saveexec_b64 s[20:21], vcc
	s_cbranch_execz .LBB757_765
; %bb.762:
	s_movk_i32 s22, 0x7f
	v_and_b32_e32 v7, 0x7f, v10
	v_cmp_ne_u32_e32 vcc, s22, v7
	v_mov_b32_e32 v15, 0x7f80
	s_and_saveexec_b64 s[22:23], vcc
	s_cbranch_execz .LBB757_764
; %bb.763:
	v_and_b32_e32 v15, 7, v10
	v_ffbh_u32_e32 v18, v15
	v_min_u32_e32 v20, 32, v18
	v_subrev_u32_e32 v18, 28, v20
	v_lshlrev_b64 v[18:19], v18, v[10:11]
	v_lshrrev_b32_e32 v17, 3, v7
	v_sub_u32_e32 v10, 29, v20
	v_and_b32_e32 v18, 7, v18
	v_cmp_gt_u32_e32 vcc, 8, v7
	v_cndmask_b32_e32 v7, v17, v10, vcc
	v_cndmask_b32_e32 v10, v15, v18, vcc
	v_lshlrev_b32_e32 v6, 16, v6
	v_bfrev_b32_e32 v15, 60
	v_lshlrev_b32_e32 v10, 20, v10
	v_and_b32_e32 v6, 0x80000000, v6
	v_lshl_add_u32 v7, v7, 23, v15
	v_or3_b32 v6, v6, v7, v10
	v_lshrrev_b32_e32 v15, 16, v6
.LBB757_764:
	s_or_b64 exec, exec, s[22:23]
.LBB757_765:
	s_or_b64 exec, exec, s[20:21]
.LBB757_766:
	s_or_b64 exec, exec, s[10:11]
	s_movk_i32 s10, 0xff
	v_and_b32_sdwa v17, v9, s10 dst_sel:DWORD dst_unused:UNUSED_PAD src0_sel:WORD_1 src1_sel:DWORD
	v_lshrrev_b32_e32 v6, 16, v9
	v_cmp_ne_u16_e32 vcc, 0, v17
	v_mov_b32_e32 v7, 0
	v_mov_b32_e32 v10, 0
	s_and_saveexec_b64 s[10:11], vcc
	s_cbranch_execz .LBB757_772
; %bb.767:
	s_movk_i32 s20, 0x80
	v_cmp_ne_u16_e32 vcc, s20, v17
	v_mov_b32_e32 v10, 0xffff8000
	s_and_saveexec_b64 s[20:21], vcc
	s_cbranch_execz .LBB757_771
; %bb.768:
	v_bfe_u32 v17, v9, 16, 7
	s_movk_i32 s22, 0x7f
	v_cmp_ne_u32_e32 vcc, s22, v17
	v_mov_b32_e32 v10, 0x7f80
	s_and_saveexec_b64 s[22:23], vcc
	s_cbranch_execz .LBB757_770
; %bb.769:
	v_and_b32_e32 v10, 7, v6
	v_ffbh_u32_e32 v18, v10
	v_min_u32_e32 v21, 32, v18
	v_subrev_u32_e32 v18, 28, v21
	v_lshlrev_b64 v[18:19], v18, v[6:7]
	v_lshrrev_b32_e32 v20, 3, v17
	v_sub_u32_e32 v6, 29, v21
	v_and_b32_e32 v18, 7, v18
	v_cmp_gt_u32_e32 vcc, 8, v17
	v_mov_b32_e32 v17, 24
	v_cndmask_b32_e32 v6, v20, v6, vcc
	v_cndmask_b32_e32 v10, v10, v18, vcc
	v_lshlrev_b32_sdwa v17, v17, v9 dst_sel:DWORD dst_unused:UNUSED_PAD src0_sel:DWORD src1_sel:WORD_1
	v_bfrev_b32_e32 v18, 60
	v_lshlrev_b32_e32 v10, 20, v10
	v_and_b32_e32 v17, 0x80000000, v17
	v_lshl_add_u32 v6, v6, 23, v18
	v_or3_b32 v6, v17, v6, v10
	v_lshrrev_b32_e32 v10, 16, v6
.LBB757_770:
	s_or_b64 exec, exec, s[22:23]
.LBB757_771:
	s_or_b64 exec, exec, s[20:21]
.LBB757_772:
	s_or_b64 exec, exec, s[10:11]
	s_mov_b32 s10, -1
	s_mov_b32 s11, 0xffffff
	v_cmp_lt_u64_e32 vcc, s[10:11], v[8:9]
	s_and_saveexec_b64 s[10:11], vcc
	s_cbranch_execz .LBB757_778
; %bb.773:
	v_lshrrev_b32_e32 v6, 24, v9
	s_movk_i32 s20, 0x80
	v_cmp_ne_u32_e32 vcc, s20, v6
	v_mov_b32_e32 v7, 0xffff8000
	s_and_saveexec_b64 s[20:21], vcc
	s_cbranch_execz .LBB757_777
; %bb.774:
	v_bfe_u32 v8, v9, 24, 7
	s_movk_i32 s22, 0x7f
	v_cmp_ne_u32_e32 vcc, s22, v8
	v_mov_b32_e32 v7, 0x7f80
	s_and_saveexec_b64 s[22:23], vcc
	s_cbranch_execz .LBB757_776
; %bb.775:
	v_and_b32_e32 v7, 7, v6
	v_ffbh_u32_e32 v17, v7
	v_min_u32_e32 v17, 32, v17
	v_subrev_u32_e32 v18, 28, v17
	v_lshlrev_b64 v[18:19], v18, v[6:7]
	v_lshrrev_b32_e32 v9, 3, v8
	v_sub_u32_e32 v17, 29, v17
	v_and_b32_e32 v18, 7, v18
	v_cmp_gt_u32_e32 vcc, 8, v8
	v_cndmask_b32_e32 v8, v9, v17, vcc
	v_cndmask_b32_e32 v7, v7, v18, vcc
	v_lshlrev_b32_e32 v6, 24, v6
	v_bfrev_b32_e32 v9, 60
	v_lshlrev_b32_e32 v7, 20, v7
	v_and_b32_e32 v6, 0x80000000, v6
	v_lshl_add_u32 v8, v8, 23, v9
	v_or3_b32 v6, v6, v8, v7
	v_lshrrev_b32_e32 v7, 16, v6
.LBB757_776:
	s_or_b64 exec, exec, s[22:23]
.LBB757_777:
	s_or_b64 exec, exec, s[20:21]
.LBB757_778:
	s_or_b64 exec, exec, s[10:11]
	s_load_dword s4, s[4:5], 0x1c
	s_mov_b32 s5, 0x5040100
	v_perm_b32 v9, v14, v13, s5
	v_perm_b32 v8, v11, v12, s5
	;; [unrolled: 1-line block ×4, first 2 shown]
	v_mfma_f32_4x4x4bf16_1k a[0:3], v[2:3], v[8:9], a[0:3] cbsz:4 abid:15
	s_load_dword s5, s[12:13], 0x0
	v_mfma_f32_4x4x4bf16_1k a[0:3], v[4:5], v[6:7], a[0:3] cbsz:4 abid:15
	s_waitcnt lgkmcnt(0)
	v_mov_b32_e32 v2, s4
	v_cmp_eq_u32_e32 vcc, 0, v44
	v_mov_b32_e32 v9, 0xff7fffff
	v_mul_f32_e32 v4, s5, v2
	v_accvgpr_read_b32 v7, a1
	v_accvgpr_read_b32 v6, a0
	v_pk_mul_f32 v[6:7], v[6:7], v[4:5] op_sel_hi:[1,0]
	v_accvgpr_read_b32 v3, a3
	v_accvgpr_read_b32 v2, a2
	v_pk_mul_f32 v[2:3], v[2:3], v[4:5] op_sel_hi:[1,0]
	v_cndmask_b32_e64 v4, 0, 1.0, vcc
	v_cmp_eq_u32_e32 vcc, 1, v44
	s_nop 0
	v_mfma_f32_4x4x1f32 a[0:3], v6, v4, 0
	v_cndmask_b32_e64 v4, 0, 1.0, vcc
	v_cmp_eq_u32_e32 vcc, 2, v44
	s_nop 0
	v_mfma_f32_4x4x1f32 a[0:3], v7, v4, a[0:3]
	;; [unrolled: 4-line block ×3, first 2 shown]
	v_cndmask_b32_e64 v2, 0, 1.0, vcc
	s_nop 1
	v_mfma_f32_4x4x1f32 a[0:3], v3, v2, a[0:3]
	v_and_b32_e32 v2, -4, v45
	v_subrev_u32_e32 v3, s9, v2
	v_add_u32_e32 v4, 1, v3
	v_cvt_f32_i32_e32 v4, v4
	v_add_u32_e32 v5, 2, v3
	v_cvt_f32_i32_e32 v5, v5
	v_accvgpr_read_b32 v6, a0
	s_waitcnt vmcnt(12)
	v_fma_f32 v4, v46, v4, v6
	v_accvgpr_read_b32 v6, a1
	v_fma_f32 v5, v46, v5, v6
	v_add_u32_e32 v6, 3, v3
	v_cvt_f32_i32_e32 v6, v6
	v_accvgpr_read_b32 v7, a2
	v_add_u32_e32 v3, 4, v3
	v_cmp_gt_i32_e32 vcc, s9, v2
	v_fma_f32 v7, v46, v6, v7
	v_max_f32_e32 v6, 0xff7fffff, v4
	v_cvt_f32_i32_e32 v3, v3
	v_cndmask_b32_e32 v6, v9, v6, vcc
	v_or_b32_e32 v9, 1, v2
	v_max_f32_e32 v10, v6, v5
	v_cmp_gt_i32_e64 s[4:5], s9, v9
	v_cndmask_b32_e64 v6, v6, v10, s[4:5]
	v_or_b32_e32 v2, 2, v2
	v_accvgpr_read_b32 v8, a3
	v_max_f32_e32 v9, v6, v7
	v_cmp_gt_i32_e64 s[10:11], s9, v2
	v_fmac_f32_e32 v8, v46, v3
	v_cndmask_b32_e64 v2, v6, v9, s[10:11]
	v_or_b32_e32 v6, 3, v45
	v_max_f32_e32 v9, v2, v8
	v_cmp_gt_i32_e64 s[12:13], s9, v6
	v_lshlrev_b32_e32 v3, 2, v0
	v_cndmask_b32_e64 v2, v2, v9, s[12:13]
	v_and_or_b32 v3, v3, 48, v44
	;;#ASMSTART
	v_nop
 v_nop
 v_max_f32_dpp v2, v2, v2 row_ror:4
	;;#ASMEND
	v_lshlrev_b32_e32 v9, 2, v3
	;;#ASMSTART
	v_nop
 v_nop
 v_max_f32_dpp v2, v2, v2 row_ror:8
	;;#ASMEND
	ds_bpermute_b32 v2, v9, v2
	s_waitcnt lgkmcnt(0)
	;;#ASMSTART
	v_nop
 v_nop
 v_max_f32_dpp v2, v2, v2 row_ror:4
	;;#ASMEND
	;;#ASMSTART
	v_nop
 v_nop
 v_max_f32_dpp v6, v2, v2 row_ror:8
	;;#ASMEND
	v_sub_f32_e32 v2, v4, v6
	v_mul_f32_e32 v2, 0x3fb8aa3b, v2
	v_sub_f32_e32 v3, v5, v6
	v_exp_f32_e32 v2, v2
	v_mul_f32_e32 v3, 0x3fb8aa3b, v3
	v_sub_f32_e32 v5, v7, v6
	v_exp_f32_e32 v3, v3
	v_mul_f32_e32 v5, 0x3fb8aa3b, v5
	v_sub_f32_e32 v7, v8, v6
	v_exp_f32_e32 v5, v5
	v_mul_f32_e32 v7, 0x3fb8aa3b, v7
	v_exp_f32_e32 v7, v7
	v_cndmask_b32_e32 v2, 0, v2, vcc
	v_add_f32_e32 v4, 0, v2
	v_cndmask_b32_e64 v3, 0, v3, s[4:5]
	v_add_f32_e32 v8, v4, v3
	v_cndmask_b32_e64 v4, 0, v5, s[10:11]
	;; [unrolled: 2-line block ×3, first 2 shown]
	v_add_f32_e32 v7, v8, v5
	;;#ASMSTART
	v_nop
 v_nop
 v_add_f32_dpp v7, v7, v7 row_ror:4
	;;#ASMEND
	;;#ASMSTART
	v_nop
 v_nop
 v_add_f32_dpp v7, v7, v7 row_ror:8
	;;#ASMEND
	ds_bpermute_b32 v7, v9, v7
	s_waitcnt lgkmcnt(0)
	;;#ASMSTART
	v_nop
 v_nop
 v_add_f32_dpp v7, v7, v7 row_ror:4
	;;#ASMEND
	v_cmp_gt_u32_e32 vcc, 4, v1
	;;#ASMSTART
	v_nop
 v_nop
 v_add_f32_dpp v7, v7, v7 row_ror:8
	;;#ASMEND
	s_and_saveexec_b64 s[4:5], vcc
	s_cbranch_execz .LBB757_780
; %bb.779:
	v_mul_u32_u24_e32 v8, 20, v43
	v_lshl_add_u32 v8, v44, 2, v8
	v_add_u32_e32 v8, 0x1400, v8
	ds_write2_b32 v8, v6, v7 offset1:20
.LBB757_780:
	s_or_b64 exec, exec, s[4:5]
.LBB757_781:
	s_or_b64 exec, exec, s[36:37]
	v_lshlrev_b32_e32 v7, 2, v44
	v_add_u32_e32 v7, 0x1400, v7
	s_waitcnt lgkmcnt(0)
	s_barrier
	s_load_dword s4, s[34:35], 0x8
	ds_read2_b32 v[10:11], v7 offset1:5
	ds_read2_b32 v[12:13], v7 offset0:10 offset1:15
	s_mov_b32 s12, 0xff7fffff
	s_mul_i32 s5, s8, s48
	ds_read2_b32 v[14:15], v7 offset0:20 offset1:25
	s_waitcnt lgkmcnt(0)
	v_max3_f32 v8, v10, s12, v11
	v_max3_f32 v8, v8, v12, v13
	v_sub_f32_e32 v9, v10, v8
	v_sub_f32_e32 v10, v11, v8
	v_mul_f32_e32 v9, 0x3fb8aa3b, v9
	v_mul_f32_e32 v10, 0x3fb8aa3b, v10
	s_mul_i32 s5, s5, s4
	v_exp_f32_e32 v9, v9
	v_exp_f32_e32 v16, v10
	ds_read2_b32 v[10:11], v7 offset0:30 offset1:35
	v_sub_f32_e32 v7, v12, v8
	s_lshl_b32 s4, s5, 2
	s_mov_b32 s5, 0
	v_mul_f32_e32 v7, 0x3fb8aa3b, v7
	v_sub_f32_e32 v12, v13, v8
	s_lshl_b64 s[8:9], s[4:5], 2
	v_exp_f32_e32 v7, v7
	v_mul_f32_e32 v12, 0x3fb8aa3b, v12
	s_add_u32 s10, s16, s8
	v_exp_f32_e32 v12, v12
	s_addc_u32 s11, s17, s9
	v_fma_f32 v9, v9, v14, 0
	s_mov_b32 s29, s5
	s_add_u32 s12, s18, s8
	v_fmac_f32_e32 v9, v16, v15
	s_addc_u32 s13, s19, s9
	s_lshl_b64 s[8:9], s[28:29], 2
	s_waitcnt lgkmcnt(0)
	v_fmac_f32_e32 v9, v7, v10
	s_add_u32 s12, s12, s8
	v_fmac_f32_e32 v9, v12, v11
	v_mul_lo_u32 v10, s48, v38
	v_mov_b32_e32 v11, 0
	s_addc_u32 s13, s13, s9
	v_lshlrev_b64 v[10:11], 2, v[10:11]
	s_add_u32 s8, s10, s8
	v_mov_b32_e32 v7, s13
	v_add_co_u32_e32 v12, vcc, s12, v10
	s_addc_u32 s9, s11, s9
	v_addc_co_u32_e32 v13, vcc, v7, v11, vcc
	v_mov_b32_e32 v7, s9
	v_add_co_u32_e32 v10, vcc, s8, v10
	v_addc_co_u32_e32 v11, vcc, v7, v11, vcc
	v_lshlrev_b32_e32 v7, 3, v43
	global_store_dword v[12:13], v8, off
	global_store_dword v[10:11], v9, off
	s_and_saveexec_b64 s[8:9], s[6:7]
	s_xor_b64 s[6:7], exec, s[8:9]
	s_cbranch_execz .LBB757_783
; %bb.782:
	s_mov_b32 s8, s5
	s_mov_b32 s9, s5
	v_mad_u32_u24 v4, v1, 40, v7
	v_pk_mov_b32 v[2:3], s[8:9], s[8:9] op_sel:[0,1]
	ds_write2st64_b64 v4, v[2:3], v[2:3] offset1:5
                                        ; implicit-def: $vgpr7
                                        ; implicit-def: $vgpr9
                                        ; implicit-def: $vgpr6
                                        ; implicit-def: $vgpr8
                                        ; implicit-def: $vgpr4
                                        ; implicit-def: $vgpr2
.LBB757_783:
	s_andn2_saveexec_b64 s[6:7], s[6:7]
	s_cbranch_execz .LBB757_1171
; %bb.784:
	v_add_f32_e32 v9, 0x358637bd, v9
	v_div_scale_f32 v10, s[8:9], v9, v9, 1.0
	v_rcp_f32_e32 v11, v10
	v_div_scale_f32 v12, vcc, 1.0, v9, 1.0
	v_sub_f32_e32 v6, v6, v8
	v_fma_f32 v13, -v10, v11, 1.0
	v_fmac_f32_e32 v11, v13, v11
	v_mul_f32_e32 v13, v12, v11
	v_fma_f32 v14, -v10, v13, v12
	v_mul_f32_e32 v6, 0x3fb8aa3b, v6
	v_fmac_f32_e32 v13, v14, v11
	v_exp_f32_e32 v6, v6
	v_fma_f32 v10, -v10, v13, v12
	v_div_fmas_f32 v8, v10, v11, v13
	v_div_fixup_f32 v8, v8, v9, 1.0
	v_mul_f32_e32 v6, v6, v8
	v_pk_mul_f32 v[2:3], v[2:3], v[6:7] op_sel_hi:[1,0]
	s_load_dword s8, s[14:15], 0x0
	v_pk_mul_f32 v[4:5], v[4:5], v[6:7] op_sel_hi:[1,0]
	v_bfe_u32 v6, v3, 16, 1
	v_bfe_u32 v8, v2, 16, 1
	s_movk_i32 s5, 0x7fff
	v_add3_u32 v2, v2, v8, s5
	v_add3_u32 v3, v3, v6, s5
	s_mov_b32 s20, 0x7060302
	v_perm_b32 v2, v3, v2, s20
	v_bfe_u32 v3, v5, 16, 1
	v_bfe_u32 v6, v4, 16, 1
	v_add3_u32 v4, v4, v6, s5
	v_add3_u32 v3, v5, v3, s5
	v_mov_b32_e32 v11, 0
	v_perm_b32 v3, v3, v4, s20
	v_add_u32_e32 v5, 64, v11
	s_waitcnt lgkmcnt(0)
	s_mov_b32 s9, s8
	s_mov_b32 s10, s8
	;; [unrolled: 1-line block ×4, first 2 shown]
	s_mov_b64 s[12:13], -1
	s_movk_i32 s21, 0x80
	s_movk_i32 s23, 0x7f
	s_mov_b32 s24, 0xffffff
	s_mov_b32 s25, 0x5040100
	v_mov_b32_e32 v9, 0
	v_bfrev_b32_e32 v10, 60
	s_branch .LBB757_788
.LBB757_785:                            ;   in Loop: Header=BB757_788 Depth=1
	s_or_b64 exec, exec, s[18:19]
.LBB757_786:                            ;   in Loop: Header=BB757_788 Depth=1
	s_or_b64 exec, exec, s[16:17]
.LBB757_787:                            ;   in Loop: Header=BB757_788 Depth=1
	s_or_b64 exec, exec, s[14:15]
	v_perm_b32 v19, v15, v12, s25
	v_perm_b32 v18, v11, v13, s25
	;; [unrolled: 1-line block ×4, first 2 shown]
	v_mfma_f32_4x4x4bf16_1k a[0:3], v[2:3], v[18:19], a[0:3] cbsz:4 abid:14
	s_mul_i32 s14, s22, 0xa00
	v_mfma_f32_4x4x4bf16_1k a[0:3], v[2:3], v[12:13], a[0:3] cbsz:4 abid:15
	s_mov_b32 s22, 1
	v_mov_b32_e32 v11, v5
	s_nop 2
	v_accvgpr_read_b32 v15, a1
	v_accvgpr_read_b32 v14, a0
	v_pk_mul_f32 v[14:15], v[14:15], s[8:9]
	v_accvgpr_read_b32 v13, a3
	v_accvgpr_read_b32 v12, a2
	v_bfe_u32 v4, v15, 16, 1
	v_bfe_u32 v6, v14, 16, 1
	v_pk_mul_f32 v[12:13], v[12:13], s[10:11]
	v_add3_u32 v6, v14, v6, s5
	v_add3_u32 v4, v15, v4, s5
	v_perm_b32 v14, v4, v6, s20
	v_bfe_u32 v4, v13, 16, 1
	v_bfe_u32 v6, v12, 16, 1
	v_add3_u32 v6, v12, v6, s5
	v_add3_u32 v4, v13, v4, s5
	v_perm_b32 v15, v4, v6, s20
	v_mul_u32_u24_e32 v4, 40, v1
	v_add3_u32 v4, s14, v4, v7
	s_xor_b64 s[14:15], s[12:13], -1
	s_mov_b64 s[12:13], 0
	s_andn2_b64 vcc, exec, s[14:15]
	ds_write_b64 v4, v[14:15]
	s_cbranch_vccz .LBB757_1171
.LBB757_788:                            ; =>This Inner Loop Header: Depth=1
	buffer_load_dword v6, v11, s[0:3], 0 offen
	buffer_load_dword v4, v11, s[0:3], 0 offen offset:4
	v_mov_b32_e32 v13, 0
	s_waitcnt vmcnt(1)
	v_cmp_ne_u16_sdwa s[16:17], v6, v9 src0_sel:BYTE_0 src1_sel:DWORD
	s_and_saveexec_b64 s[14:15], s[16:17]
	s_cbranch_execz .LBB757_794
; %bb.789:                              ;   in Loop: Header=BB757_788 Depth=1
	v_cmp_ne_u16_sdwa s[18:19], v6, s21 src0_sel:BYTE_0 src1_sel:DWORD
	v_mov_b32_e32 v13, 0xffff8000
	s_and_saveexec_b64 s[16:17], s[18:19]
	s_cbranch_execz .LBB757_793
; %bb.790:                              ;   in Loop: Header=BB757_788 Depth=1
	v_and_b32_e32 v8, 0x7f, v6
	v_cmp_ne_u32_e32 vcc, s23, v8
	v_mov_b32_e32 v13, 0x7f80
	s_and_saveexec_b64 s[18:19], vcc
	s_cbranch_execz .LBB757_792
; %bb.791:                              ;   in Loop: Header=BB757_788 Depth=1
	v_and_b32_e32 v14, 7, v6
	v_ffbh_u32_e32 v12, v14
	v_min_u32_e32 v16, 32, v12
	v_subrev_u32_e32 v12, 28, v16
	v_lshlrev_b64 v[12:13], v12, v[6:7]
	v_lshrrev_b32_e32 v15, 3, v8
	v_sub_u32_e32 v13, 29, v16
	v_and_b32_e32 v12, 7, v12
	v_cmp_gt_u32_e32 vcc, 8, v8
	v_cndmask_b32_e32 v8, v15, v13, vcc
	v_cndmask_b32_e32 v12, v14, v12, vcc
	v_lshlrev_b32_e32 v13, 24, v6
	v_lshlrev_b32_e32 v12, 20, v12
	v_and_b32_e32 v13, 0x80000000, v13
	v_lshl_add_u32 v8, v8, 23, v10
	v_or3_b32 v8, v13, v8, v12
	v_lshrrev_b32_e32 v13, 16, v8
.LBB757_792:                            ;   in Loop: Header=BB757_788 Depth=1
	s_or_b64 exec, exec, s[18:19]
.LBB757_793:                            ;   in Loop: Header=BB757_788 Depth=1
	s_or_b64 exec, exec, s[16:17]
.LBB757_794:                            ;   in Loop: Header=BB757_788 Depth=1
	s_or_b64 exec, exec, s[14:15]
	v_lshrrev_b16_e32 v8, 8, v6
	v_cmp_ne_u16_e32 vcc, 0, v8
	v_mov_b32_e32 v15, 0
	v_mov_b32_e32 v14, 0
	s_and_saveexec_b64 s[14:15], vcc
	s_cbranch_execz .LBB757_800
; %bb.795:                              ;   in Loop: Header=BB757_788 Depth=1
	v_cmp_ne_u16_e32 vcc, s21, v8
	v_mov_b32_e32 v14, 0xffff8000
	s_and_saveexec_b64 s[16:17], vcc
	s_cbranch_execz .LBB757_799
; %bb.796:                              ;   in Loop: Header=BB757_788 Depth=1
	v_and_b32_e32 v12, 0x7f, v8
	v_cmp_ne_u32_e32 vcc, s23, v12
	v_mov_b32_e32 v14, 0x7f80
	s_and_saveexec_b64 s[18:19], vcc
	s_cbranch_execz .LBB757_798
; %bb.797:                              ;   in Loop: Header=BB757_788 Depth=1
	v_and_b32_e32 v14, 7, v8
	v_ffbh_u32_e32 v16, v14
	v_min_u32_e32 v19, 32, v16
	v_subrev_u32_e32 v16, 28, v19
	v_lshlrev_b64 v[16:17], v16, v[8:9]
	v_lshrrev_b32_e32 v18, 3, v12
	v_sub_u32_e32 v8, 29, v19
	v_and_b32_e32 v16, 7, v16
	v_cmp_gt_u32_e32 vcc, 8, v12
	v_cndmask_b32_e32 v8, v18, v8, vcc
	v_cndmask_b32_e32 v12, v14, v16, vcc
	v_lshlrev_b32_e32 v14, 16, v6
	v_lshlrev_b32_e32 v12, 20, v12
	v_and_b32_e32 v14, 0x80000000, v14
	v_lshl_add_u32 v8, v8, 23, v10
	v_or3_b32 v8, v14, v8, v12
	v_lshrrev_b32_e32 v14, 16, v8
.LBB757_798:                            ;   in Loop: Header=BB757_788 Depth=1
	s_or_b64 exec, exec, s[18:19]
.LBB757_799:                            ;   in Loop: Header=BB757_788 Depth=1
	s_or_b64 exec, exec, s[16:17]
.LBB757_800:                            ;   in Loop: Header=BB757_788 Depth=1
	s_or_b64 exec, exec, s[14:15]
	v_lshrrev_b32_e32 v8, 16, v6
	v_cmp_ne_u16_sdwa s[16:17], v8, v9 src0_sel:BYTE_0 src1_sel:DWORD
	s_and_saveexec_b64 s[14:15], s[16:17]
	s_cbranch_execz .LBB757_806
; %bb.801:                              ;   in Loop: Header=BB757_788 Depth=1
	v_cmp_ne_u16_sdwa s[18:19], v8, s21 src0_sel:BYTE_0 src1_sel:DWORD
	v_mov_b32_e32 v15, 0xffff8000
	s_and_saveexec_b64 s[16:17], s[18:19]
	s_cbranch_execz .LBB757_805
; %bb.802:                              ;   in Loop: Header=BB757_788 Depth=1
	v_bfe_u32 v12, v6, 16, 7
	v_cmp_ne_u32_e32 vcc, s23, v12
	v_mov_b32_e32 v15, 0x7f80
	s_and_saveexec_b64 s[18:19], vcc
	s_cbranch_execz .LBB757_804
; %bb.803:                              ;   in Loop: Header=BB757_788 Depth=1
	v_and_b32_e32 v15, 7, v8
	v_ffbh_u32_e32 v16, v15
	v_min_u32_e32 v19, 32, v16
	v_subrev_u32_e32 v16, 28, v19
	v_lshlrev_b64 v[16:17], v16, v[8:9]
	v_lshrrev_b32_e32 v18, 3, v12
	v_sub_u32_e32 v17, 29, v19
	v_and_b32_e32 v16, 7, v16
	v_cmp_gt_u32_e32 vcc, 8, v12
	v_cndmask_b32_e32 v12, v18, v17, vcc
	v_cndmask_b32_e32 v15, v15, v16, vcc
	v_lshlrev_b32_e32 v8, 24, v8
	v_lshlrev_b32_e32 v15, 20, v15
	v_and_b32_e32 v8, 0x80000000, v8
	v_lshl_add_u32 v12, v12, 23, v10
	v_or3_b32 v8, v8, v12, v15
	v_lshrrev_b32_e32 v15, 16, v8
.LBB757_804:                            ;   in Loop: Header=BB757_788 Depth=1
	s_or_b64 exec, exec, s[18:19]
.LBB757_805:                            ;   in Loop: Header=BB757_788 Depth=1
	s_or_b64 exec, exec, s[16:17]
.LBB757_806:                            ;   in Loop: Header=BB757_788 Depth=1
	s_or_b64 exec, exec, s[14:15]
	v_cmp_lt_u32_e32 vcc, s24, v6
	v_mov_b32_e32 v16, 0
	v_mov_b32_e32 v17, 0
	s_and_saveexec_b64 s[14:15], vcc
	s_cbranch_execz .LBB757_812
; %bb.807:                              ;   in Loop: Header=BB757_788 Depth=1
	v_lshrrev_b32_e32 v8, 24, v6
	v_cmp_ne_u32_e32 vcc, s21, v8
	v_mov_b32_e32 v17, 0xffff8000
	s_and_saveexec_b64 s[16:17], vcc
	s_cbranch_execz .LBB757_811
; %bb.808:                              ;   in Loop: Header=BB757_788 Depth=1
	v_bfe_u32 v6, v6, 24, 7
	v_cmp_ne_u32_e32 vcc, s23, v6
	v_mov_b32_e32 v17, 0x7f80
	s_and_saveexec_b64 s[18:19], vcc
	s_cbranch_execz .LBB757_810
; %bb.809:                              ;   in Loop: Header=BB757_788 Depth=1
	v_and_b32_e32 v12, 7, v8
	v_ffbh_u32_e32 v18, v12
	v_min_u32_e32 v20, 32, v18
	v_subrev_u32_e32 v18, 28, v20
	v_lshlrev_b64 v[18:19], v18, v[8:9]
	v_lshrrev_b32_e32 v17, 3, v6
	v_sub_u32_e32 v19, 29, v20
	v_and_b32_e32 v18, 7, v18
	v_cmp_gt_u32_e32 vcc, 8, v6
	v_cndmask_b32_e32 v6, v17, v19, vcc
	v_cndmask_b32_e32 v12, v12, v18, vcc
	v_lshlrev_b32_e32 v8, 24, v8
	v_lshlrev_b32_e32 v12, 20, v12
	v_and_b32_e32 v8, 0x80000000, v8
	v_lshl_add_u32 v6, v6, 23, v10
	v_or3_b32 v6, v8, v6, v12
	v_lshrrev_b32_e32 v17, 16, v6
.LBB757_810:                            ;   in Loop: Header=BB757_788 Depth=1
	s_or_b64 exec, exec, s[18:19]
.LBB757_811:                            ;   in Loop: Header=BB757_788 Depth=1
	s_or_b64 exec, exec, s[16:17]
.LBB757_812:                            ;   in Loop: Header=BB757_788 Depth=1
	s_or_b64 exec, exec, s[14:15]
	s_waitcnt vmcnt(0)
	v_cmp_ne_u16_sdwa s[16:17], v4, v9 src0_sel:BYTE_0 src1_sel:DWORD
	s_and_saveexec_b64 s[14:15], s[16:17]
	s_cbranch_execz .LBB757_818
; %bb.813:                              ;   in Loop: Header=BB757_788 Depth=1
	v_cmp_ne_u16_sdwa s[18:19], v4, s21 src0_sel:BYTE_0 src1_sel:DWORD
	v_mov_b32_e32 v16, 0xffff8000
	s_and_saveexec_b64 s[16:17], s[18:19]
	s_cbranch_execz .LBB757_817
; %bb.814:                              ;   in Loop: Header=BB757_788 Depth=1
	v_and_b32_e32 v6, 0x7f, v4
	v_cmp_ne_u32_e32 vcc, s23, v6
	v_mov_b32_e32 v16, 0x7f80
	s_and_saveexec_b64 s[18:19], vcc
	s_cbranch_execz .LBB757_816
; %bb.815:                              ;   in Loop: Header=BB757_788 Depth=1
	v_and_b32_e32 v8, 7, v4
	v_ffbh_u32_e32 v16, v8
	v_min_u32_e32 v16, 32, v16
	v_subrev_u32_e32 v18, 28, v16
	v_lshlrev_b64 v[18:19], v18, v[4:5]
	v_lshrrev_b32_e32 v12, 3, v6
	v_sub_u32_e32 v16, 29, v16
	v_and_b32_e32 v18, 7, v18
	v_cmp_gt_u32_e32 vcc, 8, v6
	v_cndmask_b32_e32 v6, v12, v16, vcc
	v_cndmask_b32_e32 v8, v8, v18, vcc
	v_lshlrev_b32_e32 v12, 24, v4
	v_lshlrev_b32_e32 v8, 20, v8
	v_and_b32_e32 v12, 0x80000000, v12
	v_lshl_add_u32 v6, v6, 23, v10
	v_or3_b32 v6, v12, v6, v8
	v_lshrrev_b32_e32 v16, 16, v6
.LBB757_816:                            ;   in Loop: Header=BB757_788 Depth=1
	s_or_b64 exec, exec, s[18:19]
.LBB757_817:                            ;   in Loop: Header=BB757_788 Depth=1
	s_or_b64 exec, exec, s[16:17]
.LBB757_818:                            ;   in Loop: Header=BB757_788 Depth=1
	s_or_b64 exec, exec, s[14:15]
	v_lshrrev_b16_e32 v6, 8, v4
	v_cmp_ne_u16_e32 vcc, 0, v6
	v_mov_b32_e32 v18, 0
	v_mov_b32_e32 v8, 0
	s_and_saveexec_b64 s[14:15], vcc
	s_cbranch_execz .LBB757_824
; %bb.819:                              ;   in Loop: Header=BB757_788 Depth=1
	v_cmp_ne_u16_e32 vcc, s21, v6
	v_mov_b32_e32 v8, 0xffff8000
	s_and_saveexec_b64 s[16:17], vcc
	s_cbranch_execz .LBB757_823
; %bb.820:                              ;   in Loop: Header=BB757_788 Depth=1
	v_and_b32_e32 v12, 0x7f, v6
	v_cmp_ne_u32_e32 vcc, s23, v12
	v_mov_b32_e32 v8, 0x7f80
	s_and_saveexec_b64 s[18:19], vcc
	s_cbranch_execz .LBB757_822
; %bb.821:                              ;   in Loop: Header=BB757_788 Depth=1
	v_and_b32_e32 v8, 7, v6
	v_ffbh_u32_e32 v20, v8
	v_min_u32_e32 v22, 32, v20
	v_subrev_u32_e32 v20, 28, v22
	v_lshlrev_b64 v[20:21], v20, v[6:7]
	v_lshrrev_b32_e32 v19, 3, v12
	v_sub_u32_e32 v6, 29, v22
	v_and_b32_e32 v20, 7, v20
	v_cmp_gt_u32_e32 vcc, 8, v12
	v_cndmask_b32_e32 v6, v19, v6, vcc
	v_cndmask_b32_e32 v8, v8, v20, vcc
	v_lshlrev_b32_e32 v12, 16, v4
	v_lshlrev_b32_e32 v8, 20, v8
	v_and_b32_e32 v12, 0x80000000, v12
	v_lshl_add_u32 v6, v6, 23, v10
	v_or3_b32 v6, v12, v6, v8
	v_lshrrev_b32_e32 v8, 16, v6
.LBB757_822:                            ;   in Loop: Header=BB757_788 Depth=1
	s_or_b64 exec, exec, s[18:19]
.LBB757_823:                            ;   in Loop: Header=BB757_788 Depth=1
	s_or_b64 exec, exec, s[16:17]
.LBB757_824:                            ;   in Loop: Header=BB757_788 Depth=1
	s_or_b64 exec, exec, s[14:15]
	v_lshrrev_b32_e32 v6, 16, v4
	v_cmp_ne_u16_sdwa s[16:17], v6, v9 src0_sel:BYTE_0 src1_sel:DWORD
	s_and_saveexec_b64 s[14:15], s[16:17]
	s_cbranch_execz .LBB757_830
; %bb.825:                              ;   in Loop: Header=BB757_788 Depth=1
	v_cmp_ne_u16_sdwa s[18:19], v6, s21 src0_sel:BYTE_0 src1_sel:DWORD
	v_mov_b32_e32 v18, 0xffff8000
	s_and_saveexec_b64 s[16:17], s[18:19]
	s_cbranch_execz .LBB757_829
; %bb.826:                              ;   in Loop: Header=BB757_788 Depth=1
	v_bfe_u32 v12, v4, 16, 7
	v_cmp_ne_u32_e32 vcc, s23, v12
	v_mov_b32_e32 v18, 0x7f80
	s_and_saveexec_b64 s[18:19], vcc
	s_cbranch_execz .LBB757_828
; %bb.827:                              ;   in Loop: Header=BB757_788 Depth=1
	v_and_b32_e32 v20, 7, v6
	v_ffbh_u32_e32 v18, v20
	v_min_u32_e32 v22, 32, v18
	v_subrev_u32_e32 v18, 28, v22
	v_lshlrev_b64 v[18:19], v18, v[6:7]
	v_lshrrev_b32_e32 v21, 3, v12
	v_sub_u32_e32 v19, 29, v22
	v_and_b32_e32 v18, 7, v18
	v_cmp_gt_u32_e32 vcc, 8, v12
	v_cndmask_b32_e32 v12, v21, v19, vcc
	v_cndmask_b32_e32 v18, v20, v18, vcc
	v_lshlrev_b32_e32 v6, 24, v6
	v_lshlrev_b32_e32 v18, 20, v18
	v_and_b32_e32 v6, 0x80000000, v6
	v_lshl_add_u32 v12, v12, 23, v10
	v_or3_b32 v6, v6, v12, v18
	v_lshrrev_b32_e32 v18, 16, v6
.LBB757_828:                            ;   in Loop: Header=BB757_788 Depth=1
	s_or_b64 exec, exec, s[18:19]
.LBB757_829:                            ;   in Loop: Header=BB757_788 Depth=1
	s_or_b64 exec, exec, s[16:17]
.LBB757_830:                            ;   in Loop: Header=BB757_788 Depth=1
	s_or_b64 exec, exec, s[14:15]
	v_cmp_lt_u32_e32 vcc, s24, v4
	v_mov_b32_e32 v12, 0
	v_mov_b32_e32 v19, 0
	s_and_saveexec_b64 s[14:15], vcc
	s_cbranch_execz .LBB757_836
; %bb.831:                              ;   in Loop: Header=BB757_788 Depth=1
	v_lshrrev_b32_e32 v6, 24, v4
	v_cmp_ne_u32_e32 vcc, s21, v6
	v_mov_b32_e32 v19, 0xffff8000
	s_and_saveexec_b64 s[16:17], vcc
	s_cbranch_execz .LBB757_835
; %bb.832:                              ;   in Loop: Header=BB757_788 Depth=1
	v_bfe_u32 v4, v4, 24, 7
	v_cmp_ne_u32_e32 vcc, s23, v4
	v_mov_b32_e32 v19, 0x7f80
	s_and_saveexec_b64 s[18:19], vcc
	s_cbranch_execz .LBB757_834
; %bb.833:                              ;   in Loop: Header=BB757_788 Depth=1
	v_and_b32_e32 v19, 7, v6
	v_ffbh_u32_e32 v20, v19
	v_min_u32_e32 v23, 32, v20
	v_subrev_u32_e32 v20, 28, v23
	v_lshlrev_b64 v[20:21], v20, v[6:7]
	v_lshrrev_b32_e32 v22, 3, v4
	v_sub_u32_e32 v21, 29, v23
	v_and_b32_e32 v20, 7, v20
	v_cmp_gt_u32_e32 vcc, 8, v4
	v_cndmask_b32_e32 v4, v22, v21, vcc
	v_cndmask_b32_e32 v19, v19, v20, vcc
	v_lshlrev_b32_e32 v6, 24, v6
	v_lshlrev_b32_e32 v19, 20, v19
	v_and_b32_e32 v6, 0x80000000, v6
	v_lshl_add_u32 v4, v4, 23, v10
	v_or3_b32 v4, v6, v4, v19
	v_lshrrev_b32_e32 v19, 16, v4
.LBB757_834:                            ;   in Loop: Header=BB757_788 Depth=1
	s_or_b64 exec, exec, s[18:19]
.LBB757_835:                            ;   in Loop: Header=BB757_788 Depth=1
	s_or_b64 exec, exec, s[16:17]
.LBB757_836:                            ;   in Loop: Header=BB757_788 Depth=1
	s_or_b64 exec, exec, s[14:15]
	buffer_load_dword v6, v11, s[0:3], 0 offen offset:8
	buffer_load_dword v4, v11, s[0:3], 0 offen offset:12
	v_perm_b32 v15, v17, v15, s25
	v_perm_b32 v14, v14, v13, s25
	;; [unrolled: 1-line block ×4, first 2 shown]
	v_mfma_f32_4x4x4bf16_1k a[0:3], v[2:3], v[14:15], 0 cbsz:4
	s_waitcnt vmcnt(1)
	v_cmp_ne_u16_sdwa s[16:17], v6, v9 src0_sel:BYTE_0 src1_sel:DWORD
	v_mfma_f32_4x4x4bf16_1k a[0:3], v[2:3], v[16:17], a[0:3] cbsz:4 abid:1
	s_and_saveexec_b64 s[14:15], s[16:17]
	s_cbranch_execz .LBB757_842
; %bb.837:                              ;   in Loop: Header=BB757_788 Depth=1
	v_cmp_ne_u16_sdwa s[18:19], v6, s21 src0_sel:BYTE_0 src1_sel:DWORD
	v_mov_b32_e32 v12, 0xffff8000
	s_and_saveexec_b64 s[16:17], s[18:19]
	s_cbranch_execz .LBB757_841
; %bb.838:                              ;   in Loop: Header=BB757_788 Depth=1
	v_and_b32_e32 v8, 0x7f, v6
	v_cmp_ne_u32_e32 vcc, s23, v8
	v_mov_b32_e32 v12, 0x7f80
	s_and_saveexec_b64 s[18:19], vcc
	s_cbranch_execz .LBB757_840
; %bb.839:                              ;   in Loop: Header=BB757_788 Depth=1
	v_and_b32_e32 v14, 7, v6
	v_ffbh_u32_e32 v12, v14
	v_min_u32_e32 v16, 32, v12
	v_subrev_u32_e32 v12, 28, v16
	v_lshlrev_b64 v[12:13], v12, v[6:7]
	v_lshrrev_b32_e32 v15, 3, v8
	v_sub_u32_e32 v13, 29, v16
	v_and_b32_e32 v12, 7, v12
	v_cmp_gt_u32_e32 vcc, 8, v8
	v_cndmask_b32_e32 v8, v15, v13, vcc
	v_cndmask_b32_e32 v12, v14, v12, vcc
	v_lshlrev_b32_e32 v13, 24, v6
	v_lshlrev_b32_e32 v12, 20, v12
	v_and_b32_e32 v13, 0x80000000, v13
	v_lshl_add_u32 v8, v8, 23, v10
	v_or3_b32 v8, v13, v8, v12
	v_lshrrev_b32_e32 v12, 16, v8
.LBB757_840:                            ;   in Loop: Header=BB757_788 Depth=1
	s_or_b64 exec, exec, s[18:19]
.LBB757_841:                            ;   in Loop: Header=BB757_788 Depth=1
	s_or_b64 exec, exec, s[16:17]
.LBB757_842:                            ;   in Loop: Header=BB757_788 Depth=1
	s_or_b64 exec, exec, s[14:15]
	v_lshrrev_b16_e32 v8, 8, v6
	v_cmp_ne_u16_e32 vcc, 0, v8
	v_mov_b32_e32 v15, 0
	v_mov_b32_e32 v14, 0
	s_and_saveexec_b64 s[14:15], vcc
	s_cbranch_execz .LBB757_848
; %bb.843:                              ;   in Loop: Header=BB757_788 Depth=1
	v_cmp_ne_u16_e32 vcc, s21, v8
	v_mov_b32_e32 v14, 0xffff8000
	s_and_saveexec_b64 s[16:17], vcc
	s_cbranch_execz .LBB757_847
; %bb.844:                              ;   in Loop: Header=BB757_788 Depth=1
	v_and_b32_e32 v13, 0x7f, v8
	v_cmp_ne_u32_e32 vcc, s23, v13
	v_mov_b32_e32 v14, 0x7f80
	s_and_saveexec_b64 s[18:19], vcc
	s_cbranch_execz .LBB757_846
; %bb.845:                              ;   in Loop: Header=BB757_788 Depth=1
	v_and_b32_e32 v14, 7, v8
	v_ffbh_u32_e32 v16, v14
	v_min_u32_e32 v19, 32, v16
	v_subrev_u32_e32 v16, 28, v19
	v_lshlrev_b64 v[16:17], v16, v[8:9]
	v_lshrrev_b32_e32 v18, 3, v13
	v_sub_u32_e32 v8, 29, v19
	v_and_b32_e32 v16, 7, v16
	v_cmp_gt_u32_e32 vcc, 8, v13
	v_cndmask_b32_e32 v8, v18, v8, vcc
	v_cndmask_b32_e32 v13, v14, v16, vcc
	v_lshlrev_b32_e32 v14, 16, v6
	v_lshlrev_b32_e32 v13, 20, v13
	v_and_b32_e32 v14, 0x80000000, v14
	v_lshl_add_u32 v8, v8, 23, v10
	v_or3_b32 v8, v14, v8, v13
	v_lshrrev_b32_e32 v14, 16, v8
.LBB757_846:                            ;   in Loop: Header=BB757_788 Depth=1
	s_or_b64 exec, exec, s[18:19]
.LBB757_847:                            ;   in Loop: Header=BB757_788 Depth=1
	s_or_b64 exec, exec, s[16:17]
.LBB757_848:                            ;   in Loop: Header=BB757_788 Depth=1
	s_or_b64 exec, exec, s[14:15]
	v_lshrrev_b32_e32 v8, 16, v6
	v_cmp_ne_u16_sdwa s[16:17], v8, v9 src0_sel:BYTE_0 src1_sel:DWORD
	s_and_saveexec_b64 s[14:15], s[16:17]
	s_cbranch_execz .LBB757_854
; %bb.849:                              ;   in Loop: Header=BB757_788 Depth=1
	v_cmp_ne_u16_sdwa s[18:19], v8, s21 src0_sel:BYTE_0 src1_sel:DWORD
	v_mov_b32_e32 v15, 0xffff8000
	s_and_saveexec_b64 s[16:17], s[18:19]
	s_cbranch_execz .LBB757_853
; %bb.850:                              ;   in Loop: Header=BB757_788 Depth=1
	v_bfe_u32 v13, v6, 16, 7
	v_cmp_ne_u32_e32 vcc, s23, v13
	v_mov_b32_e32 v15, 0x7f80
	s_and_saveexec_b64 s[18:19], vcc
	s_cbranch_execz .LBB757_852
; %bb.851:                              ;   in Loop: Header=BB757_788 Depth=1
	v_and_b32_e32 v15, 7, v8
	v_ffbh_u32_e32 v16, v15
	v_min_u32_e32 v19, 32, v16
	v_subrev_u32_e32 v16, 28, v19
	v_lshlrev_b64 v[16:17], v16, v[8:9]
	v_lshrrev_b32_e32 v18, 3, v13
	v_sub_u32_e32 v17, 29, v19
	v_and_b32_e32 v16, 7, v16
	v_cmp_gt_u32_e32 vcc, 8, v13
	v_cndmask_b32_e32 v13, v18, v17, vcc
	v_cndmask_b32_e32 v15, v15, v16, vcc
	v_lshlrev_b32_e32 v8, 24, v8
	v_lshlrev_b32_e32 v15, 20, v15
	v_and_b32_e32 v8, 0x80000000, v8
	v_lshl_add_u32 v13, v13, 23, v10
	v_or3_b32 v8, v8, v13, v15
	v_lshrrev_b32_e32 v15, 16, v8
.LBB757_852:                            ;   in Loop: Header=BB757_788 Depth=1
	s_or_b64 exec, exec, s[18:19]
.LBB757_853:                            ;   in Loop: Header=BB757_788 Depth=1
	s_or_b64 exec, exec, s[16:17]
.LBB757_854:                            ;   in Loop: Header=BB757_788 Depth=1
	s_or_b64 exec, exec, s[14:15]
	v_cmp_lt_u32_e32 vcc, s24, v6
	v_mov_b32_e32 v16, 0
	v_mov_b32_e32 v17, 0
	s_and_saveexec_b64 s[14:15], vcc
	s_cbranch_execz .LBB757_860
; %bb.855:                              ;   in Loop: Header=BB757_788 Depth=1
	v_lshrrev_b32_e32 v8, 24, v6
	v_cmp_ne_u32_e32 vcc, s21, v8
	v_mov_b32_e32 v17, 0xffff8000
	s_and_saveexec_b64 s[16:17], vcc
	s_cbranch_execz .LBB757_859
; %bb.856:                              ;   in Loop: Header=BB757_788 Depth=1
	v_bfe_u32 v6, v6, 24, 7
	v_cmp_ne_u32_e32 vcc, s23, v6
	v_mov_b32_e32 v17, 0x7f80
	s_and_saveexec_b64 s[18:19], vcc
	s_cbranch_execz .LBB757_858
; %bb.857:                              ;   in Loop: Header=BB757_788 Depth=1
	v_and_b32_e32 v13, 7, v8
	v_ffbh_u32_e32 v18, v13
	v_min_u32_e32 v20, 32, v18
	v_subrev_u32_e32 v18, 28, v20
	v_lshlrev_b64 v[18:19], v18, v[8:9]
	v_lshrrev_b32_e32 v17, 3, v6
	v_sub_u32_e32 v19, 29, v20
	v_and_b32_e32 v18, 7, v18
	v_cmp_gt_u32_e32 vcc, 8, v6
	v_cndmask_b32_e32 v6, v17, v19, vcc
	v_cndmask_b32_e32 v13, v13, v18, vcc
	v_lshlrev_b32_e32 v8, 24, v8
	v_lshlrev_b32_e32 v13, 20, v13
	v_and_b32_e32 v8, 0x80000000, v8
	v_lshl_add_u32 v6, v6, 23, v10
	v_or3_b32 v6, v8, v6, v13
	v_lshrrev_b32_e32 v17, 16, v6
.LBB757_858:                            ;   in Loop: Header=BB757_788 Depth=1
	s_or_b64 exec, exec, s[18:19]
.LBB757_859:                            ;   in Loop: Header=BB757_788 Depth=1
	s_or_b64 exec, exec, s[16:17]
.LBB757_860:                            ;   in Loop: Header=BB757_788 Depth=1
	s_or_b64 exec, exec, s[14:15]
	s_waitcnt vmcnt(0)
	v_cmp_ne_u16_sdwa s[16:17], v4, v9 src0_sel:BYTE_0 src1_sel:DWORD
	s_and_saveexec_b64 s[14:15], s[16:17]
	s_cbranch_execz .LBB757_866
; %bb.861:                              ;   in Loop: Header=BB757_788 Depth=1
	v_cmp_ne_u16_sdwa s[18:19], v4, s21 src0_sel:BYTE_0 src1_sel:DWORD
	v_mov_b32_e32 v16, 0xffff8000
	s_and_saveexec_b64 s[16:17], s[18:19]
	s_cbranch_execz .LBB757_865
; %bb.862:                              ;   in Loop: Header=BB757_788 Depth=1
	v_and_b32_e32 v6, 0x7f, v4
	v_cmp_ne_u32_e32 vcc, s23, v6
	v_mov_b32_e32 v16, 0x7f80
	s_and_saveexec_b64 s[18:19], vcc
	s_cbranch_execz .LBB757_864
; %bb.863:                              ;   in Loop: Header=BB757_788 Depth=1
	v_and_b32_e32 v8, 7, v4
	v_ffbh_u32_e32 v16, v8
	v_min_u32_e32 v16, 32, v16
	v_subrev_u32_e32 v18, 28, v16
	v_lshlrev_b64 v[18:19], v18, v[4:5]
	v_lshrrev_b32_e32 v13, 3, v6
	v_sub_u32_e32 v16, 29, v16
	v_and_b32_e32 v18, 7, v18
	v_cmp_gt_u32_e32 vcc, 8, v6
	v_cndmask_b32_e32 v6, v13, v16, vcc
	v_cndmask_b32_e32 v8, v8, v18, vcc
	v_lshlrev_b32_e32 v13, 24, v4
	v_lshlrev_b32_e32 v8, 20, v8
	v_and_b32_e32 v13, 0x80000000, v13
	v_lshl_add_u32 v6, v6, 23, v10
	v_or3_b32 v6, v13, v6, v8
	v_lshrrev_b32_e32 v16, 16, v6
.LBB757_864:                            ;   in Loop: Header=BB757_788 Depth=1
	s_or_b64 exec, exec, s[18:19]
.LBB757_865:                            ;   in Loop: Header=BB757_788 Depth=1
	s_or_b64 exec, exec, s[16:17]
.LBB757_866:                            ;   in Loop: Header=BB757_788 Depth=1
	s_or_b64 exec, exec, s[14:15]
	v_lshrrev_b16_e32 v6, 8, v4
	v_cmp_ne_u16_e32 vcc, 0, v6
	v_mov_b32_e32 v18, 0
	v_mov_b32_e32 v8, 0
	s_and_saveexec_b64 s[14:15], vcc
	s_cbranch_execz .LBB757_872
; %bb.867:                              ;   in Loop: Header=BB757_788 Depth=1
	v_cmp_ne_u16_e32 vcc, s21, v6
	v_mov_b32_e32 v8, 0xffff8000
	s_and_saveexec_b64 s[16:17], vcc
	s_cbranch_execz .LBB757_871
; %bb.868:                              ;   in Loop: Header=BB757_788 Depth=1
	v_and_b32_e32 v13, 0x7f, v6
	v_cmp_ne_u32_e32 vcc, s23, v13
	v_mov_b32_e32 v8, 0x7f80
	s_and_saveexec_b64 s[18:19], vcc
	s_cbranch_execz .LBB757_870
; %bb.869:                              ;   in Loop: Header=BB757_788 Depth=1
	v_and_b32_e32 v8, 7, v6
	v_ffbh_u32_e32 v20, v8
	v_min_u32_e32 v22, 32, v20
	v_subrev_u32_e32 v20, 28, v22
	v_lshlrev_b64 v[20:21], v20, v[6:7]
	v_lshrrev_b32_e32 v19, 3, v13
	v_sub_u32_e32 v6, 29, v22
	v_and_b32_e32 v20, 7, v20
	v_cmp_gt_u32_e32 vcc, 8, v13
	v_cndmask_b32_e32 v6, v19, v6, vcc
	v_cndmask_b32_e32 v8, v8, v20, vcc
	v_lshlrev_b32_e32 v13, 16, v4
	v_lshlrev_b32_e32 v8, 20, v8
	v_and_b32_e32 v13, 0x80000000, v13
	v_lshl_add_u32 v6, v6, 23, v10
	v_or3_b32 v6, v13, v6, v8
	v_lshrrev_b32_e32 v8, 16, v6
.LBB757_870:                            ;   in Loop: Header=BB757_788 Depth=1
	s_or_b64 exec, exec, s[18:19]
.LBB757_871:                            ;   in Loop: Header=BB757_788 Depth=1
	s_or_b64 exec, exec, s[16:17]
.LBB757_872:                            ;   in Loop: Header=BB757_788 Depth=1
	s_or_b64 exec, exec, s[14:15]
	v_lshrrev_b32_e32 v6, 16, v4
	v_cmp_ne_u16_sdwa s[16:17], v6, v9 src0_sel:BYTE_0 src1_sel:DWORD
	s_and_saveexec_b64 s[14:15], s[16:17]
	s_cbranch_execz .LBB757_878
; %bb.873:                              ;   in Loop: Header=BB757_788 Depth=1
	v_cmp_ne_u16_sdwa s[18:19], v6, s21 src0_sel:BYTE_0 src1_sel:DWORD
	v_mov_b32_e32 v18, 0xffff8000
	s_and_saveexec_b64 s[16:17], s[18:19]
	s_cbranch_execz .LBB757_877
; %bb.874:                              ;   in Loop: Header=BB757_788 Depth=1
	v_bfe_u32 v13, v4, 16, 7
	v_cmp_ne_u32_e32 vcc, s23, v13
	v_mov_b32_e32 v18, 0x7f80
	s_and_saveexec_b64 s[18:19], vcc
	s_cbranch_execz .LBB757_876
; %bb.875:                              ;   in Loop: Header=BB757_788 Depth=1
	v_and_b32_e32 v20, 7, v6
	v_ffbh_u32_e32 v18, v20
	v_min_u32_e32 v22, 32, v18
	v_subrev_u32_e32 v18, 28, v22
	v_lshlrev_b64 v[18:19], v18, v[6:7]
	v_lshrrev_b32_e32 v21, 3, v13
	v_sub_u32_e32 v19, 29, v22
	v_and_b32_e32 v18, 7, v18
	v_cmp_gt_u32_e32 vcc, 8, v13
	v_cndmask_b32_e32 v13, v21, v19, vcc
	v_cndmask_b32_e32 v18, v20, v18, vcc
	v_lshlrev_b32_e32 v6, 24, v6
	v_lshlrev_b32_e32 v18, 20, v18
	v_and_b32_e32 v6, 0x80000000, v6
	v_lshl_add_u32 v13, v13, 23, v10
	v_or3_b32 v6, v6, v13, v18
	v_lshrrev_b32_e32 v18, 16, v6
.LBB757_876:                            ;   in Loop: Header=BB757_788 Depth=1
	s_or_b64 exec, exec, s[18:19]
.LBB757_877:                            ;   in Loop: Header=BB757_788 Depth=1
	s_or_b64 exec, exec, s[16:17]
.LBB757_878:                            ;   in Loop: Header=BB757_788 Depth=1
	s_or_b64 exec, exec, s[14:15]
	v_cmp_lt_u32_e32 vcc, s24, v4
	v_mov_b32_e32 v13, 0
	v_mov_b32_e32 v19, 0
	s_and_saveexec_b64 s[14:15], vcc
	s_cbranch_execz .LBB757_884
; %bb.879:                              ;   in Loop: Header=BB757_788 Depth=1
	v_lshrrev_b32_e32 v6, 24, v4
	v_cmp_ne_u32_e32 vcc, s21, v6
	v_mov_b32_e32 v19, 0xffff8000
	s_and_saveexec_b64 s[16:17], vcc
	s_cbranch_execz .LBB757_883
; %bb.880:                              ;   in Loop: Header=BB757_788 Depth=1
	v_bfe_u32 v4, v4, 24, 7
	v_cmp_ne_u32_e32 vcc, s23, v4
	v_mov_b32_e32 v19, 0x7f80
	s_and_saveexec_b64 s[18:19], vcc
	s_cbranch_execz .LBB757_882
; %bb.881:                              ;   in Loop: Header=BB757_788 Depth=1
	v_and_b32_e32 v19, 7, v6
	v_ffbh_u32_e32 v20, v19
	v_min_u32_e32 v23, 32, v20
	v_subrev_u32_e32 v20, 28, v23
	v_lshlrev_b64 v[20:21], v20, v[6:7]
	v_lshrrev_b32_e32 v22, 3, v4
	v_sub_u32_e32 v21, 29, v23
	v_and_b32_e32 v20, 7, v20
	v_cmp_gt_u32_e32 vcc, 8, v4
	v_cndmask_b32_e32 v4, v22, v21, vcc
	v_cndmask_b32_e32 v19, v19, v20, vcc
	v_lshlrev_b32_e32 v6, 24, v6
	v_lshlrev_b32_e32 v19, 20, v19
	v_and_b32_e32 v6, 0x80000000, v6
	v_lshl_add_u32 v4, v4, 23, v10
	v_or3_b32 v4, v6, v4, v19
	v_lshrrev_b32_e32 v19, 16, v4
.LBB757_882:                            ;   in Loop: Header=BB757_788 Depth=1
	s_or_b64 exec, exec, s[18:19]
.LBB757_883:                            ;   in Loop: Header=BB757_788 Depth=1
	s_or_b64 exec, exec, s[16:17]
.LBB757_884:                            ;   in Loop: Header=BB757_788 Depth=1
	s_or_b64 exec, exec, s[14:15]
	buffer_load_dword v6, v11, s[0:3], 0 offen offset:16
	buffer_load_dword v4, v11, s[0:3], 0 offen offset:20
	v_perm_b32 v15, v17, v15, s25
	v_perm_b32 v14, v14, v12, s25
	;; [unrolled: 1-line block ×4, first 2 shown]
	v_mfma_f32_4x4x4bf16_1k a[0:3], v[2:3], v[14:15], a[0:3] cbsz:4 abid:2
	s_waitcnt vmcnt(1)
	v_cmp_ne_u16_sdwa s[16:17], v6, v9 src0_sel:BYTE_0 src1_sel:DWORD
	v_mfma_f32_4x4x4bf16_1k a[0:3], v[2:3], v[16:17], a[0:3] cbsz:4 abid:3
	s_and_saveexec_b64 s[14:15], s[16:17]
	s_cbranch_execz .LBB757_890
; %bb.885:                              ;   in Loop: Header=BB757_788 Depth=1
	v_cmp_ne_u16_sdwa s[18:19], v6, s21 src0_sel:BYTE_0 src1_sel:DWORD
	v_mov_b32_e32 v13, 0xffff8000
	s_and_saveexec_b64 s[16:17], s[18:19]
	s_cbranch_execz .LBB757_889
; %bb.886:                              ;   in Loop: Header=BB757_788 Depth=1
	v_and_b32_e32 v8, 0x7f, v6
	v_cmp_ne_u32_e32 vcc, s23, v8
	v_mov_b32_e32 v13, 0x7f80
	s_and_saveexec_b64 s[18:19], vcc
	s_cbranch_execz .LBB757_888
; %bb.887:                              ;   in Loop: Header=BB757_788 Depth=1
	v_and_b32_e32 v14, 7, v6
	v_ffbh_u32_e32 v12, v14
	v_min_u32_e32 v16, 32, v12
	v_subrev_u32_e32 v12, 28, v16
	v_lshlrev_b64 v[12:13], v12, v[6:7]
	v_lshrrev_b32_e32 v15, 3, v8
	v_sub_u32_e32 v13, 29, v16
	v_and_b32_e32 v12, 7, v12
	v_cmp_gt_u32_e32 vcc, 8, v8
	v_cndmask_b32_e32 v8, v15, v13, vcc
	v_cndmask_b32_e32 v12, v14, v12, vcc
	v_lshlrev_b32_e32 v13, 24, v6
	v_lshlrev_b32_e32 v12, 20, v12
	v_and_b32_e32 v13, 0x80000000, v13
	v_lshl_add_u32 v8, v8, 23, v10
	v_or3_b32 v8, v13, v8, v12
	v_lshrrev_b32_e32 v13, 16, v8
.LBB757_888:                            ;   in Loop: Header=BB757_788 Depth=1
	s_or_b64 exec, exec, s[18:19]
.LBB757_889:                            ;   in Loop: Header=BB757_788 Depth=1
	s_or_b64 exec, exec, s[16:17]
.LBB757_890:                            ;   in Loop: Header=BB757_788 Depth=1
	s_or_b64 exec, exec, s[14:15]
	v_lshrrev_b16_e32 v8, 8, v6
	v_cmp_ne_u16_e32 vcc, 0, v8
	v_mov_b32_e32 v15, 0
	v_mov_b32_e32 v14, 0
	s_and_saveexec_b64 s[14:15], vcc
	s_cbranch_execz .LBB757_896
; %bb.891:                              ;   in Loop: Header=BB757_788 Depth=1
	v_cmp_ne_u16_e32 vcc, s21, v8
	v_mov_b32_e32 v14, 0xffff8000
	s_and_saveexec_b64 s[16:17], vcc
	s_cbranch_execz .LBB757_895
; %bb.892:                              ;   in Loop: Header=BB757_788 Depth=1
	v_and_b32_e32 v12, 0x7f, v8
	v_cmp_ne_u32_e32 vcc, s23, v12
	v_mov_b32_e32 v14, 0x7f80
	s_and_saveexec_b64 s[18:19], vcc
	s_cbranch_execz .LBB757_894
; %bb.893:                              ;   in Loop: Header=BB757_788 Depth=1
	v_and_b32_e32 v14, 7, v8
	v_ffbh_u32_e32 v16, v14
	v_min_u32_e32 v19, 32, v16
	v_subrev_u32_e32 v16, 28, v19
	v_lshlrev_b64 v[16:17], v16, v[8:9]
	v_lshrrev_b32_e32 v18, 3, v12
	v_sub_u32_e32 v8, 29, v19
	v_and_b32_e32 v16, 7, v16
	v_cmp_gt_u32_e32 vcc, 8, v12
	v_cndmask_b32_e32 v8, v18, v8, vcc
	v_cndmask_b32_e32 v12, v14, v16, vcc
	v_lshlrev_b32_e32 v14, 16, v6
	v_lshlrev_b32_e32 v12, 20, v12
	v_and_b32_e32 v14, 0x80000000, v14
	v_lshl_add_u32 v8, v8, 23, v10
	v_or3_b32 v8, v14, v8, v12
	v_lshrrev_b32_e32 v14, 16, v8
.LBB757_894:                            ;   in Loop: Header=BB757_788 Depth=1
	s_or_b64 exec, exec, s[18:19]
.LBB757_895:                            ;   in Loop: Header=BB757_788 Depth=1
	s_or_b64 exec, exec, s[16:17]
.LBB757_896:                            ;   in Loop: Header=BB757_788 Depth=1
	s_or_b64 exec, exec, s[14:15]
	v_lshrrev_b32_e32 v8, 16, v6
	v_cmp_ne_u16_sdwa s[16:17], v8, v9 src0_sel:BYTE_0 src1_sel:DWORD
	s_and_saveexec_b64 s[14:15], s[16:17]
	s_cbranch_execz .LBB757_902
; %bb.897:                              ;   in Loop: Header=BB757_788 Depth=1
	v_cmp_ne_u16_sdwa s[18:19], v8, s21 src0_sel:BYTE_0 src1_sel:DWORD
	v_mov_b32_e32 v15, 0xffff8000
	s_and_saveexec_b64 s[16:17], s[18:19]
	s_cbranch_execz .LBB757_901
; %bb.898:                              ;   in Loop: Header=BB757_788 Depth=1
	v_bfe_u32 v12, v6, 16, 7
	v_cmp_ne_u32_e32 vcc, s23, v12
	v_mov_b32_e32 v15, 0x7f80
	s_and_saveexec_b64 s[18:19], vcc
	s_cbranch_execz .LBB757_900
; %bb.899:                              ;   in Loop: Header=BB757_788 Depth=1
	v_and_b32_e32 v15, 7, v8
	v_ffbh_u32_e32 v16, v15
	v_min_u32_e32 v19, 32, v16
	v_subrev_u32_e32 v16, 28, v19
	v_lshlrev_b64 v[16:17], v16, v[8:9]
	v_lshrrev_b32_e32 v18, 3, v12
	v_sub_u32_e32 v17, 29, v19
	v_and_b32_e32 v16, 7, v16
	v_cmp_gt_u32_e32 vcc, 8, v12
	v_cndmask_b32_e32 v12, v18, v17, vcc
	v_cndmask_b32_e32 v15, v15, v16, vcc
	v_lshlrev_b32_e32 v8, 24, v8
	v_lshlrev_b32_e32 v15, 20, v15
	v_and_b32_e32 v8, 0x80000000, v8
	v_lshl_add_u32 v12, v12, 23, v10
	v_or3_b32 v8, v8, v12, v15
	v_lshrrev_b32_e32 v15, 16, v8
.LBB757_900:                            ;   in Loop: Header=BB757_788 Depth=1
	s_or_b64 exec, exec, s[18:19]
.LBB757_901:                            ;   in Loop: Header=BB757_788 Depth=1
	s_or_b64 exec, exec, s[16:17]
.LBB757_902:                            ;   in Loop: Header=BB757_788 Depth=1
	s_or_b64 exec, exec, s[14:15]
	v_cmp_lt_u32_e32 vcc, s24, v6
	v_mov_b32_e32 v16, 0
	v_mov_b32_e32 v17, 0
	s_and_saveexec_b64 s[14:15], vcc
	s_cbranch_execz .LBB757_908
; %bb.903:                              ;   in Loop: Header=BB757_788 Depth=1
	v_lshrrev_b32_e32 v8, 24, v6
	v_cmp_ne_u32_e32 vcc, s21, v8
	v_mov_b32_e32 v17, 0xffff8000
	s_and_saveexec_b64 s[16:17], vcc
	s_cbranch_execz .LBB757_907
; %bb.904:                              ;   in Loop: Header=BB757_788 Depth=1
	v_bfe_u32 v6, v6, 24, 7
	v_cmp_ne_u32_e32 vcc, s23, v6
	v_mov_b32_e32 v17, 0x7f80
	s_and_saveexec_b64 s[18:19], vcc
	s_cbranch_execz .LBB757_906
; %bb.905:                              ;   in Loop: Header=BB757_788 Depth=1
	v_and_b32_e32 v12, 7, v8
	v_ffbh_u32_e32 v18, v12
	v_min_u32_e32 v20, 32, v18
	v_subrev_u32_e32 v18, 28, v20
	v_lshlrev_b64 v[18:19], v18, v[8:9]
	v_lshrrev_b32_e32 v17, 3, v6
	v_sub_u32_e32 v19, 29, v20
	v_and_b32_e32 v18, 7, v18
	v_cmp_gt_u32_e32 vcc, 8, v6
	v_cndmask_b32_e32 v6, v17, v19, vcc
	v_cndmask_b32_e32 v12, v12, v18, vcc
	v_lshlrev_b32_e32 v8, 24, v8
	v_lshlrev_b32_e32 v12, 20, v12
	v_and_b32_e32 v8, 0x80000000, v8
	v_lshl_add_u32 v6, v6, 23, v10
	v_or3_b32 v6, v8, v6, v12
	v_lshrrev_b32_e32 v17, 16, v6
.LBB757_906:                            ;   in Loop: Header=BB757_788 Depth=1
	s_or_b64 exec, exec, s[18:19]
.LBB757_907:                            ;   in Loop: Header=BB757_788 Depth=1
	s_or_b64 exec, exec, s[16:17]
.LBB757_908:                            ;   in Loop: Header=BB757_788 Depth=1
	s_or_b64 exec, exec, s[14:15]
	s_waitcnt vmcnt(0)
	v_cmp_ne_u16_sdwa s[16:17], v4, v9 src0_sel:BYTE_0 src1_sel:DWORD
	s_and_saveexec_b64 s[14:15], s[16:17]
	s_cbranch_execz .LBB757_914
; %bb.909:                              ;   in Loop: Header=BB757_788 Depth=1
	v_cmp_ne_u16_sdwa s[18:19], v4, s21 src0_sel:BYTE_0 src1_sel:DWORD
	v_mov_b32_e32 v16, 0xffff8000
	s_and_saveexec_b64 s[16:17], s[18:19]
	s_cbranch_execz .LBB757_913
; %bb.910:                              ;   in Loop: Header=BB757_788 Depth=1
	v_and_b32_e32 v6, 0x7f, v4
	v_cmp_ne_u32_e32 vcc, s23, v6
	v_mov_b32_e32 v16, 0x7f80
	s_and_saveexec_b64 s[18:19], vcc
	s_cbranch_execz .LBB757_912
; %bb.911:                              ;   in Loop: Header=BB757_788 Depth=1
	v_and_b32_e32 v8, 7, v4
	v_ffbh_u32_e32 v16, v8
	v_min_u32_e32 v16, 32, v16
	v_subrev_u32_e32 v18, 28, v16
	v_lshlrev_b64 v[18:19], v18, v[4:5]
	v_lshrrev_b32_e32 v12, 3, v6
	v_sub_u32_e32 v16, 29, v16
	v_and_b32_e32 v18, 7, v18
	v_cmp_gt_u32_e32 vcc, 8, v6
	v_cndmask_b32_e32 v6, v12, v16, vcc
	v_cndmask_b32_e32 v8, v8, v18, vcc
	v_lshlrev_b32_e32 v12, 24, v4
	v_lshlrev_b32_e32 v8, 20, v8
	v_and_b32_e32 v12, 0x80000000, v12
	v_lshl_add_u32 v6, v6, 23, v10
	v_or3_b32 v6, v12, v6, v8
	v_lshrrev_b32_e32 v16, 16, v6
.LBB757_912:                            ;   in Loop: Header=BB757_788 Depth=1
	s_or_b64 exec, exec, s[18:19]
.LBB757_913:                            ;   in Loop: Header=BB757_788 Depth=1
	s_or_b64 exec, exec, s[16:17]
.LBB757_914:                            ;   in Loop: Header=BB757_788 Depth=1
	s_or_b64 exec, exec, s[14:15]
	v_lshrrev_b16_e32 v6, 8, v4
	v_cmp_ne_u16_e32 vcc, 0, v6
	v_mov_b32_e32 v18, 0
	v_mov_b32_e32 v8, 0
	s_and_saveexec_b64 s[14:15], vcc
	s_cbranch_execz .LBB757_920
; %bb.915:                              ;   in Loop: Header=BB757_788 Depth=1
	v_cmp_ne_u16_e32 vcc, s21, v6
	v_mov_b32_e32 v8, 0xffff8000
	s_and_saveexec_b64 s[16:17], vcc
	s_cbranch_execz .LBB757_919
; %bb.916:                              ;   in Loop: Header=BB757_788 Depth=1
	v_and_b32_e32 v12, 0x7f, v6
	v_cmp_ne_u32_e32 vcc, s23, v12
	v_mov_b32_e32 v8, 0x7f80
	s_and_saveexec_b64 s[18:19], vcc
	s_cbranch_execz .LBB757_918
; %bb.917:                              ;   in Loop: Header=BB757_788 Depth=1
	v_and_b32_e32 v8, 7, v6
	v_ffbh_u32_e32 v20, v8
	v_min_u32_e32 v22, 32, v20
	v_subrev_u32_e32 v20, 28, v22
	v_lshlrev_b64 v[20:21], v20, v[6:7]
	v_lshrrev_b32_e32 v19, 3, v12
	v_sub_u32_e32 v6, 29, v22
	v_and_b32_e32 v20, 7, v20
	v_cmp_gt_u32_e32 vcc, 8, v12
	v_cndmask_b32_e32 v6, v19, v6, vcc
	v_cndmask_b32_e32 v8, v8, v20, vcc
	v_lshlrev_b32_e32 v12, 16, v4
	v_lshlrev_b32_e32 v8, 20, v8
	v_and_b32_e32 v12, 0x80000000, v12
	v_lshl_add_u32 v6, v6, 23, v10
	v_or3_b32 v6, v12, v6, v8
	v_lshrrev_b32_e32 v8, 16, v6
.LBB757_918:                            ;   in Loop: Header=BB757_788 Depth=1
	s_or_b64 exec, exec, s[18:19]
.LBB757_919:                            ;   in Loop: Header=BB757_788 Depth=1
	s_or_b64 exec, exec, s[16:17]
.LBB757_920:                            ;   in Loop: Header=BB757_788 Depth=1
	s_or_b64 exec, exec, s[14:15]
	v_lshrrev_b32_e32 v6, 16, v4
	v_cmp_ne_u16_sdwa s[16:17], v6, v9 src0_sel:BYTE_0 src1_sel:DWORD
	s_and_saveexec_b64 s[14:15], s[16:17]
	s_cbranch_execz .LBB757_926
; %bb.921:                              ;   in Loop: Header=BB757_788 Depth=1
	v_cmp_ne_u16_sdwa s[18:19], v6, s21 src0_sel:BYTE_0 src1_sel:DWORD
	v_mov_b32_e32 v18, 0xffff8000
	s_and_saveexec_b64 s[16:17], s[18:19]
	s_cbranch_execz .LBB757_925
; %bb.922:                              ;   in Loop: Header=BB757_788 Depth=1
	v_bfe_u32 v12, v4, 16, 7
	v_cmp_ne_u32_e32 vcc, s23, v12
	v_mov_b32_e32 v18, 0x7f80
	s_and_saveexec_b64 s[18:19], vcc
	s_cbranch_execz .LBB757_924
; %bb.923:                              ;   in Loop: Header=BB757_788 Depth=1
	v_and_b32_e32 v20, 7, v6
	v_ffbh_u32_e32 v18, v20
	v_min_u32_e32 v22, 32, v18
	v_subrev_u32_e32 v18, 28, v22
	v_lshlrev_b64 v[18:19], v18, v[6:7]
	v_lshrrev_b32_e32 v21, 3, v12
	v_sub_u32_e32 v19, 29, v22
	v_and_b32_e32 v18, 7, v18
	v_cmp_gt_u32_e32 vcc, 8, v12
	v_cndmask_b32_e32 v12, v21, v19, vcc
	v_cndmask_b32_e32 v18, v20, v18, vcc
	v_lshlrev_b32_e32 v6, 24, v6
	v_lshlrev_b32_e32 v18, 20, v18
	v_and_b32_e32 v6, 0x80000000, v6
	v_lshl_add_u32 v12, v12, 23, v10
	v_or3_b32 v6, v6, v12, v18
	v_lshrrev_b32_e32 v18, 16, v6
.LBB757_924:                            ;   in Loop: Header=BB757_788 Depth=1
	s_or_b64 exec, exec, s[18:19]
.LBB757_925:                            ;   in Loop: Header=BB757_788 Depth=1
	s_or_b64 exec, exec, s[16:17]
.LBB757_926:                            ;   in Loop: Header=BB757_788 Depth=1
	s_or_b64 exec, exec, s[14:15]
	v_cmp_lt_u32_e32 vcc, s24, v4
	v_mov_b32_e32 v12, 0
	v_mov_b32_e32 v19, 0
	s_and_saveexec_b64 s[14:15], vcc
	s_cbranch_execz .LBB757_932
; %bb.927:                              ;   in Loop: Header=BB757_788 Depth=1
	v_lshrrev_b32_e32 v6, 24, v4
	v_cmp_ne_u32_e32 vcc, s21, v6
	v_mov_b32_e32 v19, 0xffff8000
	s_and_saveexec_b64 s[16:17], vcc
	s_cbranch_execz .LBB757_931
; %bb.928:                              ;   in Loop: Header=BB757_788 Depth=1
	v_bfe_u32 v4, v4, 24, 7
	v_cmp_ne_u32_e32 vcc, s23, v4
	v_mov_b32_e32 v19, 0x7f80
	s_and_saveexec_b64 s[18:19], vcc
	s_cbranch_execz .LBB757_930
; %bb.929:                              ;   in Loop: Header=BB757_788 Depth=1
	v_and_b32_e32 v19, 7, v6
	v_ffbh_u32_e32 v20, v19
	v_min_u32_e32 v23, 32, v20
	v_subrev_u32_e32 v20, 28, v23
	v_lshlrev_b64 v[20:21], v20, v[6:7]
	v_lshrrev_b32_e32 v22, 3, v4
	v_sub_u32_e32 v21, 29, v23
	v_and_b32_e32 v20, 7, v20
	v_cmp_gt_u32_e32 vcc, 8, v4
	v_cndmask_b32_e32 v4, v22, v21, vcc
	v_cndmask_b32_e32 v19, v19, v20, vcc
	v_lshlrev_b32_e32 v6, 24, v6
	v_lshlrev_b32_e32 v19, 20, v19
	v_and_b32_e32 v6, 0x80000000, v6
	v_lshl_add_u32 v4, v4, 23, v10
	v_or3_b32 v4, v6, v4, v19
	v_lshrrev_b32_e32 v19, 16, v4
.LBB757_930:                            ;   in Loop: Header=BB757_788 Depth=1
	s_or_b64 exec, exec, s[18:19]
.LBB757_931:                            ;   in Loop: Header=BB757_788 Depth=1
	s_or_b64 exec, exec, s[16:17]
.LBB757_932:                            ;   in Loop: Header=BB757_788 Depth=1
	s_or_b64 exec, exec, s[14:15]
	buffer_load_dword v6, v11, s[0:3], 0 offen offset:24
	buffer_load_dword v4, v11, s[0:3], 0 offen offset:28
	v_perm_b32 v15, v17, v15, s25
	v_perm_b32 v14, v14, v13, s25
	;; [unrolled: 1-line block ×4, first 2 shown]
	v_mfma_f32_4x4x4bf16_1k a[0:3], v[2:3], v[14:15], a[0:3] cbsz:4 abid:4
	s_waitcnt vmcnt(1)
	v_cmp_ne_u16_sdwa s[16:17], v6, v9 src0_sel:BYTE_0 src1_sel:DWORD
	v_mfma_f32_4x4x4bf16_1k a[0:3], v[2:3], v[16:17], a[0:3] cbsz:4 abid:5
	s_and_saveexec_b64 s[14:15], s[16:17]
	s_cbranch_execz .LBB757_938
; %bb.933:                              ;   in Loop: Header=BB757_788 Depth=1
	v_cmp_ne_u16_sdwa s[18:19], v6, s21 src0_sel:BYTE_0 src1_sel:DWORD
	v_mov_b32_e32 v12, 0xffff8000
	s_and_saveexec_b64 s[16:17], s[18:19]
	s_cbranch_execz .LBB757_937
; %bb.934:                              ;   in Loop: Header=BB757_788 Depth=1
	v_and_b32_e32 v8, 0x7f, v6
	v_cmp_ne_u32_e32 vcc, s23, v8
	v_mov_b32_e32 v12, 0x7f80
	s_and_saveexec_b64 s[18:19], vcc
	s_cbranch_execz .LBB757_936
; %bb.935:                              ;   in Loop: Header=BB757_788 Depth=1
	v_and_b32_e32 v14, 7, v6
	v_ffbh_u32_e32 v12, v14
	v_min_u32_e32 v16, 32, v12
	v_subrev_u32_e32 v12, 28, v16
	v_lshlrev_b64 v[12:13], v12, v[6:7]
	v_lshrrev_b32_e32 v15, 3, v8
	v_sub_u32_e32 v13, 29, v16
	v_and_b32_e32 v12, 7, v12
	v_cmp_gt_u32_e32 vcc, 8, v8
	v_cndmask_b32_e32 v8, v15, v13, vcc
	v_cndmask_b32_e32 v12, v14, v12, vcc
	v_lshlrev_b32_e32 v13, 24, v6
	v_lshlrev_b32_e32 v12, 20, v12
	v_and_b32_e32 v13, 0x80000000, v13
	v_lshl_add_u32 v8, v8, 23, v10
	v_or3_b32 v8, v13, v8, v12
	v_lshrrev_b32_e32 v12, 16, v8
.LBB757_936:                            ;   in Loop: Header=BB757_788 Depth=1
	s_or_b64 exec, exec, s[18:19]
.LBB757_937:                            ;   in Loop: Header=BB757_788 Depth=1
	s_or_b64 exec, exec, s[16:17]
.LBB757_938:                            ;   in Loop: Header=BB757_788 Depth=1
	s_or_b64 exec, exec, s[14:15]
	v_lshrrev_b16_e32 v8, 8, v6
	v_cmp_ne_u16_e32 vcc, 0, v8
	v_mov_b32_e32 v15, 0
	v_mov_b32_e32 v14, 0
	s_and_saveexec_b64 s[14:15], vcc
	s_cbranch_execz .LBB757_944
; %bb.939:                              ;   in Loop: Header=BB757_788 Depth=1
	v_cmp_ne_u16_e32 vcc, s21, v8
	v_mov_b32_e32 v14, 0xffff8000
	s_and_saveexec_b64 s[16:17], vcc
	s_cbranch_execz .LBB757_943
; %bb.940:                              ;   in Loop: Header=BB757_788 Depth=1
	v_and_b32_e32 v13, 0x7f, v8
	v_cmp_ne_u32_e32 vcc, s23, v13
	v_mov_b32_e32 v14, 0x7f80
	s_and_saveexec_b64 s[18:19], vcc
	s_cbranch_execz .LBB757_942
; %bb.941:                              ;   in Loop: Header=BB757_788 Depth=1
	v_and_b32_e32 v14, 7, v8
	v_ffbh_u32_e32 v16, v14
	v_min_u32_e32 v19, 32, v16
	v_subrev_u32_e32 v16, 28, v19
	v_lshlrev_b64 v[16:17], v16, v[8:9]
	v_lshrrev_b32_e32 v18, 3, v13
	v_sub_u32_e32 v8, 29, v19
	v_and_b32_e32 v16, 7, v16
	v_cmp_gt_u32_e32 vcc, 8, v13
	v_cndmask_b32_e32 v8, v18, v8, vcc
	v_cndmask_b32_e32 v13, v14, v16, vcc
	v_lshlrev_b32_e32 v14, 16, v6
	v_lshlrev_b32_e32 v13, 20, v13
	v_and_b32_e32 v14, 0x80000000, v14
	v_lshl_add_u32 v8, v8, 23, v10
	v_or3_b32 v8, v14, v8, v13
	v_lshrrev_b32_e32 v14, 16, v8
.LBB757_942:                            ;   in Loop: Header=BB757_788 Depth=1
	s_or_b64 exec, exec, s[18:19]
.LBB757_943:                            ;   in Loop: Header=BB757_788 Depth=1
	s_or_b64 exec, exec, s[16:17]
.LBB757_944:                            ;   in Loop: Header=BB757_788 Depth=1
	s_or_b64 exec, exec, s[14:15]
	v_lshrrev_b32_e32 v8, 16, v6
	v_cmp_ne_u16_sdwa s[16:17], v8, v9 src0_sel:BYTE_0 src1_sel:DWORD
	s_and_saveexec_b64 s[14:15], s[16:17]
	s_cbranch_execz .LBB757_950
; %bb.945:                              ;   in Loop: Header=BB757_788 Depth=1
	v_cmp_ne_u16_sdwa s[18:19], v8, s21 src0_sel:BYTE_0 src1_sel:DWORD
	v_mov_b32_e32 v15, 0xffff8000
	s_and_saveexec_b64 s[16:17], s[18:19]
	s_cbranch_execz .LBB757_949
; %bb.946:                              ;   in Loop: Header=BB757_788 Depth=1
	v_bfe_u32 v13, v6, 16, 7
	v_cmp_ne_u32_e32 vcc, s23, v13
	v_mov_b32_e32 v15, 0x7f80
	s_and_saveexec_b64 s[18:19], vcc
	s_cbranch_execz .LBB757_948
; %bb.947:                              ;   in Loop: Header=BB757_788 Depth=1
	v_and_b32_e32 v15, 7, v8
	v_ffbh_u32_e32 v16, v15
	v_min_u32_e32 v19, 32, v16
	v_subrev_u32_e32 v16, 28, v19
	v_lshlrev_b64 v[16:17], v16, v[8:9]
	v_lshrrev_b32_e32 v18, 3, v13
	v_sub_u32_e32 v17, 29, v19
	v_and_b32_e32 v16, 7, v16
	v_cmp_gt_u32_e32 vcc, 8, v13
	v_cndmask_b32_e32 v13, v18, v17, vcc
	v_cndmask_b32_e32 v15, v15, v16, vcc
	v_lshlrev_b32_e32 v8, 24, v8
	v_lshlrev_b32_e32 v15, 20, v15
	v_and_b32_e32 v8, 0x80000000, v8
	v_lshl_add_u32 v13, v13, 23, v10
	v_or3_b32 v8, v8, v13, v15
	v_lshrrev_b32_e32 v15, 16, v8
.LBB757_948:                            ;   in Loop: Header=BB757_788 Depth=1
	s_or_b64 exec, exec, s[18:19]
.LBB757_949:                            ;   in Loop: Header=BB757_788 Depth=1
	s_or_b64 exec, exec, s[16:17]
.LBB757_950:                            ;   in Loop: Header=BB757_788 Depth=1
	s_or_b64 exec, exec, s[14:15]
	v_cmp_lt_u32_e32 vcc, s24, v6
	v_mov_b32_e32 v16, 0
	v_mov_b32_e32 v17, 0
	s_and_saveexec_b64 s[14:15], vcc
	s_cbranch_execz .LBB757_956
; %bb.951:                              ;   in Loop: Header=BB757_788 Depth=1
	v_lshrrev_b32_e32 v8, 24, v6
	v_cmp_ne_u32_e32 vcc, s21, v8
	v_mov_b32_e32 v17, 0xffff8000
	s_and_saveexec_b64 s[16:17], vcc
	s_cbranch_execz .LBB757_955
; %bb.952:                              ;   in Loop: Header=BB757_788 Depth=1
	v_bfe_u32 v6, v6, 24, 7
	v_cmp_ne_u32_e32 vcc, s23, v6
	v_mov_b32_e32 v17, 0x7f80
	s_and_saveexec_b64 s[18:19], vcc
	s_cbranch_execz .LBB757_954
; %bb.953:                              ;   in Loop: Header=BB757_788 Depth=1
	v_and_b32_e32 v13, 7, v8
	v_ffbh_u32_e32 v18, v13
	v_min_u32_e32 v20, 32, v18
	v_subrev_u32_e32 v18, 28, v20
	v_lshlrev_b64 v[18:19], v18, v[8:9]
	v_lshrrev_b32_e32 v17, 3, v6
	v_sub_u32_e32 v19, 29, v20
	v_and_b32_e32 v18, 7, v18
	v_cmp_gt_u32_e32 vcc, 8, v6
	v_cndmask_b32_e32 v6, v17, v19, vcc
	v_cndmask_b32_e32 v13, v13, v18, vcc
	v_lshlrev_b32_e32 v8, 24, v8
	v_lshlrev_b32_e32 v13, 20, v13
	v_and_b32_e32 v8, 0x80000000, v8
	v_lshl_add_u32 v6, v6, 23, v10
	v_or3_b32 v6, v8, v6, v13
	v_lshrrev_b32_e32 v17, 16, v6
.LBB757_954:                            ;   in Loop: Header=BB757_788 Depth=1
	s_or_b64 exec, exec, s[18:19]
.LBB757_955:                            ;   in Loop: Header=BB757_788 Depth=1
	s_or_b64 exec, exec, s[16:17]
.LBB757_956:                            ;   in Loop: Header=BB757_788 Depth=1
	s_or_b64 exec, exec, s[14:15]
	s_waitcnt vmcnt(0)
	v_cmp_ne_u16_sdwa s[16:17], v4, v9 src0_sel:BYTE_0 src1_sel:DWORD
	s_and_saveexec_b64 s[14:15], s[16:17]
	s_cbranch_execz .LBB757_962
; %bb.957:                              ;   in Loop: Header=BB757_788 Depth=1
	v_cmp_ne_u16_sdwa s[18:19], v4, s21 src0_sel:BYTE_0 src1_sel:DWORD
	v_mov_b32_e32 v16, 0xffff8000
	s_and_saveexec_b64 s[16:17], s[18:19]
	s_cbranch_execz .LBB757_961
; %bb.958:                              ;   in Loop: Header=BB757_788 Depth=1
	v_and_b32_e32 v6, 0x7f, v4
	v_cmp_ne_u32_e32 vcc, s23, v6
	v_mov_b32_e32 v16, 0x7f80
	s_and_saveexec_b64 s[18:19], vcc
	s_cbranch_execz .LBB757_960
; %bb.959:                              ;   in Loop: Header=BB757_788 Depth=1
	v_and_b32_e32 v8, 7, v4
	v_ffbh_u32_e32 v16, v8
	v_min_u32_e32 v16, 32, v16
	v_subrev_u32_e32 v18, 28, v16
	v_lshlrev_b64 v[18:19], v18, v[4:5]
	v_lshrrev_b32_e32 v13, 3, v6
	v_sub_u32_e32 v16, 29, v16
	v_and_b32_e32 v18, 7, v18
	v_cmp_gt_u32_e32 vcc, 8, v6
	v_cndmask_b32_e32 v6, v13, v16, vcc
	v_cndmask_b32_e32 v8, v8, v18, vcc
	v_lshlrev_b32_e32 v13, 24, v4
	v_lshlrev_b32_e32 v8, 20, v8
	v_and_b32_e32 v13, 0x80000000, v13
	v_lshl_add_u32 v6, v6, 23, v10
	v_or3_b32 v6, v13, v6, v8
	v_lshrrev_b32_e32 v16, 16, v6
.LBB757_960:                            ;   in Loop: Header=BB757_788 Depth=1
	s_or_b64 exec, exec, s[18:19]
.LBB757_961:                            ;   in Loop: Header=BB757_788 Depth=1
	s_or_b64 exec, exec, s[16:17]
.LBB757_962:                            ;   in Loop: Header=BB757_788 Depth=1
	s_or_b64 exec, exec, s[14:15]
	v_lshrrev_b16_e32 v6, 8, v4
	v_cmp_ne_u16_e32 vcc, 0, v6
	v_mov_b32_e32 v18, 0
	v_mov_b32_e32 v8, 0
	s_and_saveexec_b64 s[14:15], vcc
	s_cbranch_execz .LBB757_968
; %bb.963:                              ;   in Loop: Header=BB757_788 Depth=1
	v_cmp_ne_u16_e32 vcc, s21, v6
	v_mov_b32_e32 v8, 0xffff8000
	s_and_saveexec_b64 s[16:17], vcc
	s_cbranch_execz .LBB757_967
; %bb.964:                              ;   in Loop: Header=BB757_788 Depth=1
	v_and_b32_e32 v13, 0x7f, v6
	v_cmp_ne_u32_e32 vcc, s23, v13
	v_mov_b32_e32 v8, 0x7f80
	s_and_saveexec_b64 s[18:19], vcc
	s_cbranch_execz .LBB757_966
; %bb.965:                              ;   in Loop: Header=BB757_788 Depth=1
	v_and_b32_e32 v8, 7, v6
	v_ffbh_u32_e32 v20, v8
	v_min_u32_e32 v22, 32, v20
	v_subrev_u32_e32 v20, 28, v22
	v_lshlrev_b64 v[20:21], v20, v[6:7]
	v_lshrrev_b32_e32 v19, 3, v13
	v_sub_u32_e32 v6, 29, v22
	v_and_b32_e32 v20, 7, v20
	v_cmp_gt_u32_e32 vcc, 8, v13
	v_cndmask_b32_e32 v6, v19, v6, vcc
	v_cndmask_b32_e32 v8, v8, v20, vcc
	v_lshlrev_b32_e32 v13, 16, v4
	v_lshlrev_b32_e32 v8, 20, v8
	v_and_b32_e32 v13, 0x80000000, v13
	v_lshl_add_u32 v6, v6, 23, v10
	v_or3_b32 v6, v13, v6, v8
	v_lshrrev_b32_e32 v8, 16, v6
.LBB757_966:                            ;   in Loop: Header=BB757_788 Depth=1
	s_or_b64 exec, exec, s[18:19]
.LBB757_967:                            ;   in Loop: Header=BB757_788 Depth=1
	s_or_b64 exec, exec, s[16:17]
.LBB757_968:                            ;   in Loop: Header=BB757_788 Depth=1
	s_or_b64 exec, exec, s[14:15]
	v_lshrrev_b32_e32 v6, 16, v4
	v_cmp_ne_u16_sdwa s[16:17], v6, v9 src0_sel:BYTE_0 src1_sel:DWORD
	s_and_saveexec_b64 s[14:15], s[16:17]
	s_cbranch_execz .LBB757_974
; %bb.969:                              ;   in Loop: Header=BB757_788 Depth=1
	v_cmp_ne_u16_sdwa s[18:19], v6, s21 src0_sel:BYTE_0 src1_sel:DWORD
	v_mov_b32_e32 v18, 0xffff8000
	s_and_saveexec_b64 s[16:17], s[18:19]
	s_cbranch_execz .LBB757_973
; %bb.970:                              ;   in Loop: Header=BB757_788 Depth=1
	v_bfe_u32 v13, v4, 16, 7
	v_cmp_ne_u32_e32 vcc, s23, v13
	v_mov_b32_e32 v18, 0x7f80
	s_and_saveexec_b64 s[18:19], vcc
	s_cbranch_execz .LBB757_972
; %bb.971:                              ;   in Loop: Header=BB757_788 Depth=1
	v_and_b32_e32 v20, 7, v6
	v_ffbh_u32_e32 v18, v20
	v_min_u32_e32 v22, 32, v18
	v_subrev_u32_e32 v18, 28, v22
	v_lshlrev_b64 v[18:19], v18, v[6:7]
	v_lshrrev_b32_e32 v21, 3, v13
	v_sub_u32_e32 v19, 29, v22
	v_and_b32_e32 v18, 7, v18
	v_cmp_gt_u32_e32 vcc, 8, v13
	v_cndmask_b32_e32 v13, v21, v19, vcc
	v_cndmask_b32_e32 v18, v20, v18, vcc
	v_lshlrev_b32_e32 v6, 24, v6
	v_lshlrev_b32_e32 v18, 20, v18
	v_and_b32_e32 v6, 0x80000000, v6
	v_lshl_add_u32 v13, v13, 23, v10
	v_or3_b32 v6, v6, v13, v18
	v_lshrrev_b32_e32 v18, 16, v6
.LBB757_972:                            ;   in Loop: Header=BB757_788 Depth=1
	s_or_b64 exec, exec, s[18:19]
.LBB757_973:                            ;   in Loop: Header=BB757_788 Depth=1
	s_or_b64 exec, exec, s[16:17]
.LBB757_974:                            ;   in Loop: Header=BB757_788 Depth=1
	s_or_b64 exec, exec, s[14:15]
	v_cmp_lt_u32_e32 vcc, s24, v4
	v_mov_b32_e32 v13, 0
	v_mov_b32_e32 v19, 0
	s_and_saveexec_b64 s[14:15], vcc
	s_cbranch_execz .LBB757_980
; %bb.975:                              ;   in Loop: Header=BB757_788 Depth=1
	v_lshrrev_b32_e32 v6, 24, v4
	v_cmp_ne_u32_e32 vcc, s21, v6
	v_mov_b32_e32 v19, 0xffff8000
	s_and_saveexec_b64 s[16:17], vcc
	s_cbranch_execz .LBB757_979
; %bb.976:                              ;   in Loop: Header=BB757_788 Depth=1
	v_bfe_u32 v4, v4, 24, 7
	v_cmp_ne_u32_e32 vcc, s23, v4
	v_mov_b32_e32 v19, 0x7f80
	s_and_saveexec_b64 s[18:19], vcc
	s_cbranch_execz .LBB757_978
; %bb.977:                              ;   in Loop: Header=BB757_788 Depth=1
	v_and_b32_e32 v19, 7, v6
	v_ffbh_u32_e32 v20, v19
	v_min_u32_e32 v23, 32, v20
	v_subrev_u32_e32 v20, 28, v23
	v_lshlrev_b64 v[20:21], v20, v[6:7]
	v_lshrrev_b32_e32 v22, 3, v4
	v_sub_u32_e32 v21, 29, v23
	v_and_b32_e32 v20, 7, v20
	v_cmp_gt_u32_e32 vcc, 8, v4
	v_cndmask_b32_e32 v4, v22, v21, vcc
	v_cndmask_b32_e32 v19, v19, v20, vcc
	v_lshlrev_b32_e32 v6, 24, v6
	v_lshlrev_b32_e32 v19, 20, v19
	v_and_b32_e32 v6, 0x80000000, v6
	v_lshl_add_u32 v4, v4, 23, v10
	v_or3_b32 v4, v6, v4, v19
	v_lshrrev_b32_e32 v19, 16, v4
.LBB757_978:                            ;   in Loop: Header=BB757_788 Depth=1
	s_or_b64 exec, exec, s[18:19]
.LBB757_979:                            ;   in Loop: Header=BB757_788 Depth=1
	s_or_b64 exec, exec, s[16:17]
.LBB757_980:                            ;   in Loop: Header=BB757_788 Depth=1
	s_or_b64 exec, exec, s[14:15]
	buffer_load_dword v6, v11, s[0:3], 0 offen offset:32
	buffer_load_dword v4, v11, s[0:3], 0 offen offset:36
	v_perm_b32 v15, v17, v15, s25
	v_perm_b32 v14, v14, v12, s25
	;; [unrolled: 1-line block ×4, first 2 shown]
	v_mfma_f32_4x4x4bf16_1k a[0:3], v[2:3], v[14:15], a[0:3] cbsz:4 abid:6
	s_waitcnt vmcnt(1)
	v_cmp_ne_u16_sdwa s[16:17], v6, v9 src0_sel:BYTE_0 src1_sel:DWORD
	v_mfma_f32_4x4x4bf16_1k a[0:3], v[2:3], v[16:17], a[0:3] cbsz:4 abid:7
	s_and_saveexec_b64 s[14:15], s[16:17]
	s_cbranch_execz .LBB757_986
; %bb.981:                              ;   in Loop: Header=BB757_788 Depth=1
	v_cmp_ne_u16_sdwa s[18:19], v6, s21 src0_sel:BYTE_0 src1_sel:DWORD
	v_mov_b32_e32 v13, 0xffff8000
	s_and_saveexec_b64 s[16:17], s[18:19]
	s_cbranch_execz .LBB757_985
; %bb.982:                              ;   in Loop: Header=BB757_788 Depth=1
	v_and_b32_e32 v8, 0x7f, v6
	v_cmp_ne_u32_e32 vcc, s23, v8
	v_mov_b32_e32 v13, 0x7f80
	s_and_saveexec_b64 s[18:19], vcc
	s_cbranch_execz .LBB757_984
; %bb.983:                              ;   in Loop: Header=BB757_788 Depth=1
	v_and_b32_e32 v14, 7, v6
	v_ffbh_u32_e32 v12, v14
	v_min_u32_e32 v16, 32, v12
	v_subrev_u32_e32 v12, 28, v16
	v_lshlrev_b64 v[12:13], v12, v[6:7]
	v_lshrrev_b32_e32 v15, 3, v8
	v_sub_u32_e32 v13, 29, v16
	v_and_b32_e32 v12, 7, v12
	v_cmp_gt_u32_e32 vcc, 8, v8
	v_cndmask_b32_e32 v8, v15, v13, vcc
	v_cndmask_b32_e32 v12, v14, v12, vcc
	v_lshlrev_b32_e32 v13, 24, v6
	v_lshlrev_b32_e32 v12, 20, v12
	v_and_b32_e32 v13, 0x80000000, v13
	v_lshl_add_u32 v8, v8, 23, v10
	v_or3_b32 v8, v13, v8, v12
	v_lshrrev_b32_e32 v13, 16, v8
.LBB757_984:                            ;   in Loop: Header=BB757_788 Depth=1
	s_or_b64 exec, exec, s[18:19]
.LBB757_985:                            ;   in Loop: Header=BB757_788 Depth=1
	s_or_b64 exec, exec, s[16:17]
.LBB757_986:                            ;   in Loop: Header=BB757_788 Depth=1
	s_or_b64 exec, exec, s[14:15]
	v_lshrrev_b16_e32 v8, 8, v6
	v_cmp_ne_u16_e32 vcc, 0, v8
	v_mov_b32_e32 v15, 0
	v_mov_b32_e32 v12, 0
	s_and_saveexec_b64 s[14:15], vcc
	s_cbranch_execz .LBB757_992
; %bb.987:                              ;   in Loop: Header=BB757_788 Depth=1
	v_cmp_ne_u16_e32 vcc, s21, v8
	v_mov_b32_e32 v12, 0xffff8000
	s_and_saveexec_b64 s[16:17], vcc
	s_cbranch_execz .LBB757_991
; %bb.988:                              ;   in Loop: Header=BB757_788 Depth=1
	v_and_b32_e32 v14, 0x7f, v8
	v_cmp_ne_u32_e32 vcc, s23, v14
	v_mov_b32_e32 v12, 0x7f80
	s_and_saveexec_b64 s[18:19], vcc
	s_cbranch_execz .LBB757_990
; %bb.989:                              ;   in Loop: Header=BB757_788 Depth=1
	v_and_b32_e32 v12, 7, v8
	v_ffbh_u32_e32 v16, v12
	v_min_u32_e32 v19, 32, v16
	v_subrev_u32_e32 v16, 28, v19
	v_lshlrev_b64 v[16:17], v16, v[8:9]
	v_lshrrev_b32_e32 v18, 3, v14
	v_sub_u32_e32 v8, 29, v19
	v_and_b32_e32 v16, 7, v16
	v_cmp_gt_u32_e32 vcc, 8, v14
	v_cndmask_b32_e32 v8, v18, v8, vcc
	v_cndmask_b32_e32 v12, v12, v16, vcc
	v_lshlrev_b32_e32 v14, 16, v6
	v_lshlrev_b32_e32 v12, 20, v12
	v_and_b32_e32 v14, 0x80000000, v14
	v_lshl_add_u32 v8, v8, 23, v10
	v_or3_b32 v8, v14, v8, v12
	v_lshrrev_b32_e32 v12, 16, v8
.LBB757_990:                            ;   in Loop: Header=BB757_788 Depth=1
	s_or_b64 exec, exec, s[18:19]
.LBB757_991:                            ;   in Loop: Header=BB757_788 Depth=1
	s_or_b64 exec, exec, s[16:17]
.LBB757_992:                            ;   in Loop: Header=BB757_788 Depth=1
	s_or_b64 exec, exec, s[14:15]
	v_lshrrev_b32_e32 v8, 16, v6
	v_cmp_ne_u16_sdwa s[16:17], v8, v9 src0_sel:BYTE_0 src1_sel:DWORD
	s_and_saveexec_b64 s[14:15], s[16:17]
	s_cbranch_execz .LBB757_998
; %bb.993:                              ;   in Loop: Header=BB757_788 Depth=1
	v_cmp_ne_u16_sdwa s[18:19], v8, s21 src0_sel:BYTE_0 src1_sel:DWORD
	v_mov_b32_e32 v15, 0xffff8000
	s_and_saveexec_b64 s[16:17], s[18:19]
	s_cbranch_execz .LBB757_997
; %bb.994:                              ;   in Loop: Header=BB757_788 Depth=1
	v_bfe_u32 v14, v6, 16, 7
	v_cmp_ne_u32_e32 vcc, s23, v14
	v_mov_b32_e32 v15, 0x7f80
	s_and_saveexec_b64 s[18:19], vcc
	s_cbranch_execz .LBB757_996
; %bb.995:                              ;   in Loop: Header=BB757_788 Depth=1
	v_and_b32_e32 v15, 7, v8
	v_ffbh_u32_e32 v16, v15
	v_min_u32_e32 v19, 32, v16
	v_subrev_u32_e32 v16, 28, v19
	v_lshlrev_b64 v[16:17], v16, v[8:9]
	v_lshrrev_b32_e32 v18, 3, v14
	v_sub_u32_e32 v17, 29, v19
	v_and_b32_e32 v16, 7, v16
	v_cmp_gt_u32_e32 vcc, 8, v14
	v_cndmask_b32_e32 v14, v18, v17, vcc
	v_cndmask_b32_e32 v15, v15, v16, vcc
	v_lshlrev_b32_e32 v8, 24, v8
	v_lshlrev_b32_e32 v15, 20, v15
	v_and_b32_e32 v8, 0x80000000, v8
	v_lshl_add_u32 v14, v14, 23, v10
	v_or3_b32 v8, v8, v14, v15
	v_lshrrev_b32_e32 v15, 16, v8
.LBB757_996:                            ;   in Loop: Header=BB757_788 Depth=1
	s_or_b64 exec, exec, s[18:19]
.LBB757_997:                            ;   in Loop: Header=BB757_788 Depth=1
	s_or_b64 exec, exec, s[16:17]
.LBB757_998:                            ;   in Loop: Header=BB757_788 Depth=1
	s_or_b64 exec, exec, s[14:15]
	v_cmp_lt_u32_e32 vcc, s24, v6
	v_mov_b32_e32 v16, 0
	v_mov_b32_e32 v17, 0
	s_and_saveexec_b64 s[14:15], vcc
	s_cbranch_execz .LBB757_1004
; %bb.999:                              ;   in Loop: Header=BB757_788 Depth=1
	v_lshrrev_b32_e32 v8, 24, v6
	v_cmp_ne_u32_e32 vcc, s21, v8
	v_mov_b32_e32 v17, 0xffff8000
	s_and_saveexec_b64 s[16:17], vcc
	s_cbranch_execz .LBB757_1003
; %bb.1000:                             ;   in Loop: Header=BB757_788 Depth=1
	v_bfe_u32 v6, v6, 24, 7
	v_cmp_ne_u32_e32 vcc, s23, v6
	v_mov_b32_e32 v17, 0x7f80
	s_and_saveexec_b64 s[18:19], vcc
	s_cbranch_execz .LBB757_1002
; %bb.1001:                             ;   in Loop: Header=BB757_788 Depth=1
	v_and_b32_e32 v14, 7, v8
	v_ffbh_u32_e32 v18, v14
	v_min_u32_e32 v20, 32, v18
	v_subrev_u32_e32 v18, 28, v20
	v_lshlrev_b64 v[18:19], v18, v[8:9]
	v_lshrrev_b32_e32 v17, 3, v6
	v_sub_u32_e32 v19, 29, v20
	v_and_b32_e32 v18, 7, v18
	v_cmp_gt_u32_e32 vcc, 8, v6
	v_cndmask_b32_e32 v6, v17, v19, vcc
	v_cndmask_b32_e32 v14, v14, v18, vcc
	v_lshlrev_b32_e32 v8, 24, v8
	v_lshlrev_b32_e32 v14, 20, v14
	v_and_b32_e32 v8, 0x80000000, v8
	v_lshl_add_u32 v6, v6, 23, v10
	v_or3_b32 v6, v8, v6, v14
	v_lshrrev_b32_e32 v17, 16, v6
.LBB757_1002:                           ;   in Loop: Header=BB757_788 Depth=1
	s_or_b64 exec, exec, s[18:19]
.LBB757_1003:                           ;   in Loop: Header=BB757_788 Depth=1
	s_or_b64 exec, exec, s[16:17]
.LBB757_1004:                           ;   in Loop: Header=BB757_788 Depth=1
	s_or_b64 exec, exec, s[14:15]
	s_waitcnt vmcnt(0)
	v_cmp_ne_u16_sdwa s[16:17], v4, v9 src0_sel:BYTE_0 src1_sel:DWORD
	s_and_saveexec_b64 s[14:15], s[16:17]
	s_cbranch_execz .LBB757_1010
; %bb.1005:                             ;   in Loop: Header=BB757_788 Depth=1
	v_cmp_ne_u16_sdwa s[18:19], v4, s21 src0_sel:BYTE_0 src1_sel:DWORD
	v_mov_b32_e32 v16, 0xffff8000
	s_and_saveexec_b64 s[16:17], s[18:19]
	s_cbranch_execz .LBB757_1009
; %bb.1006:                             ;   in Loop: Header=BB757_788 Depth=1
	v_and_b32_e32 v6, 0x7f, v4
	v_cmp_ne_u32_e32 vcc, s23, v6
	v_mov_b32_e32 v16, 0x7f80
	s_and_saveexec_b64 s[18:19], vcc
	s_cbranch_execz .LBB757_1008
; %bb.1007:                             ;   in Loop: Header=BB757_788 Depth=1
	v_and_b32_e32 v8, 7, v4
	v_ffbh_u32_e32 v16, v8
	v_min_u32_e32 v16, 32, v16
	v_subrev_u32_e32 v18, 28, v16
	v_lshlrev_b64 v[18:19], v18, v[4:5]
	v_lshrrev_b32_e32 v14, 3, v6
	v_sub_u32_e32 v16, 29, v16
	v_and_b32_e32 v18, 7, v18
	v_cmp_gt_u32_e32 vcc, 8, v6
	v_cndmask_b32_e32 v6, v14, v16, vcc
	v_cndmask_b32_e32 v8, v8, v18, vcc
	v_lshlrev_b32_e32 v14, 24, v4
	v_lshlrev_b32_e32 v8, 20, v8
	v_and_b32_e32 v14, 0x80000000, v14
	v_lshl_add_u32 v6, v6, 23, v10
	v_or3_b32 v6, v14, v6, v8
	v_lshrrev_b32_e32 v16, 16, v6
.LBB757_1008:                           ;   in Loop: Header=BB757_788 Depth=1
	s_or_b64 exec, exec, s[18:19]
.LBB757_1009:                           ;   in Loop: Header=BB757_788 Depth=1
	s_or_b64 exec, exec, s[16:17]
.LBB757_1010:                           ;   in Loop: Header=BB757_788 Depth=1
	s_or_b64 exec, exec, s[14:15]
	v_lshrrev_b16_e32 v6, 8, v4
	v_cmp_ne_u16_e32 vcc, 0, v6
	v_mov_b32_e32 v18, 0
	v_mov_b32_e32 v8, 0
	s_and_saveexec_b64 s[14:15], vcc
	s_cbranch_execz .LBB757_1016
; %bb.1011:                             ;   in Loop: Header=BB757_788 Depth=1
	v_cmp_ne_u16_e32 vcc, s21, v6
	v_mov_b32_e32 v8, 0xffff8000
	s_and_saveexec_b64 s[16:17], vcc
	s_cbranch_execz .LBB757_1015
; %bb.1012:                             ;   in Loop: Header=BB757_788 Depth=1
	v_and_b32_e32 v14, 0x7f, v6
	v_cmp_ne_u32_e32 vcc, s23, v14
	v_mov_b32_e32 v8, 0x7f80
	s_and_saveexec_b64 s[18:19], vcc
	s_cbranch_execz .LBB757_1014
; %bb.1013:                             ;   in Loop: Header=BB757_788 Depth=1
	v_and_b32_e32 v8, 7, v6
	v_ffbh_u32_e32 v20, v8
	v_min_u32_e32 v22, 32, v20
	v_subrev_u32_e32 v20, 28, v22
	v_lshlrev_b64 v[20:21], v20, v[6:7]
	v_lshrrev_b32_e32 v19, 3, v14
	v_sub_u32_e32 v6, 29, v22
	v_and_b32_e32 v20, 7, v20
	v_cmp_gt_u32_e32 vcc, 8, v14
	v_cndmask_b32_e32 v6, v19, v6, vcc
	v_cndmask_b32_e32 v8, v8, v20, vcc
	v_lshlrev_b32_e32 v14, 16, v4
	v_lshlrev_b32_e32 v8, 20, v8
	v_and_b32_e32 v14, 0x80000000, v14
	v_lshl_add_u32 v6, v6, 23, v10
	v_or3_b32 v6, v14, v6, v8
	v_lshrrev_b32_e32 v8, 16, v6
.LBB757_1014:                           ;   in Loop: Header=BB757_788 Depth=1
	s_or_b64 exec, exec, s[18:19]
.LBB757_1015:                           ;   in Loop: Header=BB757_788 Depth=1
	s_or_b64 exec, exec, s[16:17]
.LBB757_1016:                           ;   in Loop: Header=BB757_788 Depth=1
	s_or_b64 exec, exec, s[14:15]
	v_lshrrev_b32_e32 v6, 16, v4
	v_cmp_ne_u16_sdwa s[16:17], v6, v9 src0_sel:BYTE_0 src1_sel:DWORD
	s_and_saveexec_b64 s[14:15], s[16:17]
	s_cbranch_execz .LBB757_1022
; %bb.1017:                             ;   in Loop: Header=BB757_788 Depth=1
	v_cmp_ne_u16_sdwa s[18:19], v6, s21 src0_sel:BYTE_0 src1_sel:DWORD
	v_mov_b32_e32 v18, 0xffff8000
	s_and_saveexec_b64 s[16:17], s[18:19]
	s_cbranch_execz .LBB757_1021
; %bb.1018:                             ;   in Loop: Header=BB757_788 Depth=1
	v_bfe_u32 v14, v4, 16, 7
	v_cmp_ne_u32_e32 vcc, s23, v14
	v_mov_b32_e32 v18, 0x7f80
	s_and_saveexec_b64 s[18:19], vcc
	s_cbranch_execz .LBB757_1020
; %bb.1019:                             ;   in Loop: Header=BB757_788 Depth=1
	v_and_b32_e32 v20, 7, v6
	v_ffbh_u32_e32 v18, v20
	v_min_u32_e32 v22, 32, v18
	v_subrev_u32_e32 v18, 28, v22
	v_lshlrev_b64 v[18:19], v18, v[6:7]
	v_lshrrev_b32_e32 v21, 3, v14
	v_sub_u32_e32 v19, 29, v22
	v_and_b32_e32 v18, 7, v18
	v_cmp_gt_u32_e32 vcc, 8, v14
	v_cndmask_b32_e32 v14, v21, v19, vcc
	v_cndmask_b32_e32 v18, v20, v18, vcc
	v_lshlrev_b32_e32 v6, 24, v6
	v_lshlrev_b32_e32 v18, 20, v18
	v_and_b32_e32 v6, 0x80000000, v6
	v_lshl_add_u32 v14, v14, 23, v10
	v_or3_b32 v6, v6, v14, v18
	v_lshrrev_b32_e32 v18, 16, v6
.LBB757_1020:                           ;   in Loop: Header=BB757_788 Depth=1
	s_or_b64 exec, exec, s[18:19]
.LBB757_1021:                           ;   in Loop: Header=BB757_788 Depth=1
	s_or_b64 exec, exec, s[16:17]
.LBB757_1022:                           ;   in Loop: Header=BB757_788 Depth=1
	s_or_b64 exec, exec, s[14:15]
	v_cmp_lt_u32_e32 vcc, s24, v4
	v_mov_b32_e32 v14, 0
	v_mov_b32_e32 v19, 0
	s_and_saveexec_b64 s[14:15], vcc
	s_cbranch_execz .LBB757_1028
; %bb.1023:                             ;   in Loop: Header=BB757_788 Depth=1
	v_lshrrev_b32_e32 v6, 24, v4
	v_cmp_ne_u32_e32 vcc, s21, v6
	v_mov_b32_e32 v19, 0xffff8000
	s_and_saveexec_b64 s[16:17], vcc
	s_cbranch_execz .LBB757_1027
; %bb.1024:                             ;   in Loop: Header=BB757_788 Depth=1
	v_bfe_u32 v4, v4, 24, 7
	v_cmp_ne_u32_e32 vcc, s23, v4
	v_mov_b32_e32 v19, 0x7f80
	s_and_saveexec_b64 s[18:19], vcc
	s_cbranch_execz .LBB757_1026
; %bb.1025:                             ;   in Loop: Header=BB757_788 Depth=1
	v_and_b32_e32 v19, 7, v6
	v_ffbh_u32_e32 v20, v19
	v_min_u32_e32 v23, 32, v20
	v_subrev_u32_e32 v20, 28, v23
	v_lshlrev_b64 v[20:21], v20, v[6:7]
	v_lshrrev_b32_e32 v22, 3, v4
	v_sub_u32_e32 v21, 29, v23
	v_and_b32_e32 v20, 7, v20
	v_cmp_gt_u32_e32 vcc, 8, v4
	v_cndmask_b32_e32 v4, v22, v21, vcc
	v_cndmask_b32_e32 v19, v19, v20, vcc
	v_lshlrev_b32_e32 v6, 24, v6
	v_lshlrev_b32_e32 v19, 20, v19
	v_and_b32_e32 v6, 0x80000000, v6
	v_lshl_add_u32 v4, v4, 23, v10
	v_or3_b32 v4, v6, v4, v19
	v_lshrrev_b32_e32 v19, 16, v4
.LBB757_1026:                           ;   in Loop: Header=BB757_788 Depth=1
	s_or_b64 exec, exec, s[18:19]
.LBB757_1027:                           ;   in Loop: Header=BB757_788 Depth=1
	s_or_b64 exec, exec, s[16:17]
.LBB757_1028:                           ;   in Loop: Header=BB757_788 Depth=1
	s_or_b64 exec, exec, s[14:15]
	buffer_load_dword v6, v11, s[0:3], 0 offen offset:40
	buffer_load_dword v4, v11, s[0:3], 0 offen offset:44
	v_perm_b32 v21, v17, v15, s25
	v_perm_b32 v20, v12, v13, s25
	;; [unrolled: 1-line block ×4, first 2 shown]
	v_mfma_f32_4x4x4bf16_1k a[0:3], v[2:3], v[20:21], a[0:3] cbsz:4 abid:8
	s_waitcnt vmcnt(1)
	v_cmp_ne_u16_sdwa s[16:17], v6, v9 src0_sel:BYTE_0 src1_sel:DWORD
	v_mfma_f32_4x4x4bf16_1k a[0:3], v[2:3], v[12:13], a[0:3] cbsz:4 abid:9
	s_and_saveexec_b64 s[14:15], s[16:17]
	s_cbranch_execz .LBB757_1034
; %bb.1029:                             ;   in Loop: Header=BB757_788 Depth=1
	v_cmp_ne_u16_sdwa s[18:19], v6, s21 src0_sel:BYTE_0 src1_sel:DWORD
	v_mov_b32_e32 v14, 0xffff8000
	s_and_saveexec_b64 s[16:17], s[18:19]
	s_cbranch_execz .LBB757_1033
; %bb.1030:                             ;   in Loop: Header=BB757_788 Depth=1
	v_and_b32_e32 v8, 0x7f, v6
	v_cmp_ne_u32_e32 vcc, s23, v8
	v_mov_b32_e32 v14, 0x7f80
	s_and_saveexec_b64 s[18:19], vcc
	s_cbranch_execz .LBB757_1032
; %bb.1031:                             ;   in Loop: Header=BB757_788 Depth=1
	v_and_b32_e32 v14, 7, v6
	v_ffbh_u32_e32 v12, v14
	v_min_u32_e32 v16, 32, v12
	v_subrev_u32_e32 v12, 28, v16
	v_lshlrev_b64 v[12:13], v12, v[6:7]
	v_lshrrev_b32_e32 v15, 3, v8
	v_sub_u32_e32 v13, 29, v16
	v_and_b32_e32 v12, 7, v12
	v_cmp_gt_u32_e32 vcc, 8, v8
	v_cndmask_b32_e32 v8, v15, v13, vcc
	v_cndmask_b32_e32 v12, v14, v12, vcc
	v_lshlrev_b32_e32 v13, 24, v6
	v_lshlrev_b32_e32 v12, 20, v12
	v_and_b32_e32 v13, 0x80000000, v13
	v_lshl_add_u32 v8, v8, 23, v10
	v_or3_b32 v8, v13, v8, v12
	v_lshrrev_b32_e32 v14, 16, v8
.LBB757_1032:                           ;   in Loop: Header=BB757_788 Depth=1
	s_or_b64 exec, exec, s[18:19]
.LBB757_1033:                           ;   in Loop: Header=BB757_788 Depth=1
	s_or_b64 exec, exec, s[16:17]
.LBB757_1034:                           ;   in Loop: Header=BB757_788 Depth=1
	s_or_b64 exec, exec, s[14:15]
	v_lshrrev_b16_e32 v8, 8, v6
	v_cmp_ne_u16_e32 vcc, 0, v8
	v_mov_b32_e32 v15, 0
	v_mov_b32_e32 v13, 0
	s_and_saveexec_b64 s[14:15], vcc
	s_cbranch_execz .LBB757_1040
; %bb.1035:                             ;   in Loop: Header=BB757_788 Depth=1
	v_cmp_ne_u16_e32 vcc, s21, v8
	v_mov_b32_e32 v13, 0xffff8000
	s_and_saveexec_b64 s[16:17], vcc
	s_cbranch_execz .LBB757_1039
; %bb.1036:                             ;   in Loop: Header=BB757_788 Depth=1
	v_and_b32_e32 v12, 0x7f, v8
	v_cmp_ne_u32_e32 vcc, s23, v12
	v_mov_b32_e32 v13, 0x7f80
	s_and_saveexec_b64 s[18:19], vcc
	s_cbranch_execz .LBB757_1038
; %bb.1037:                             ;   in Loop: Header=BB757_788 Depth=1
	v_and_b32_e32 v13, 7, v8
	v_ffbh_u32_e32 v16, v13
	v_min_u32_e32 v19, 32, v16
	v_subrev_u32_e32 v16, 28, v19
	v_lshlrev_b64 v[16:17], v16, v[8:9]
	v_lshrrev_b32_e32 v18, 3, v12
	v_sub_u32_e32 v8, 29, v19
	v_and_b32_e32 v16, 7, v16
	v_cmp_gt_u32_e32 vcc, 8, v12
	v_cndmask_b32_e32 v8, v18, v8, vcc
	v_cndmask_b32_e32 v12, v13, v16, vcc
	v_lshlrev_b32_e32 v13, 16, v6
	v_lshlrev_b32_e32 v12, 20, v12
	v_and_b32_e32 v13, 0x80000000, v13
	v_lshl_add_u32 v8, v8, 23, v10
	v_or3_b32 v8, v13, v8, v12
	v_lshrrev_b32_e32 v13, 16, v8
.LBB757_1038:                           ;   in Loop: Header=BB757_788 Depth=1
	s_or_b64 exec, exec, s[18:19]
.LBB757_1039:                           ;   in Loop: Header=BB757_788 Depth=1
	s_or_b64 exec, exec, s[16:17]
.LBB757_1040:                           ;   in Loop: Header=BB757_788 Depth=1
	s_or_b64 exec, exec, s[14:15]
	v_lshrrev_b32_e32 v8, 16, v6
	v_cmp_ne_u16_sdwa s[16:17], v8, v9 src0_sel:BYTE_0 src1_sel:DWORD
	s_and_saveexec_b64 s[14:15], s[16:17]
	s_cbranch_execz .LBB757_1046
; %bb.1041:                             ;   in Loop: Header=BB757_788 Depth=1
	v_cmp_ne_u16_sdwa s[18:19], v8, s21 src0_sel:BYTE_0 src1_sel:DWORD
	v_mov_b32_e32 v15, 0xffff8000
	s_and_saveexec_b64 s[16:17], s[18:19]
	s_cbranch_execz .LBB757_1045
; %bb.1042:                             ;   in Loop: Header=BB757_788 Depth=1
	v_bfe_u32 v12, v6, 16, 7
	v_cmp_ne_u32_e32 vcc, s23, v12
	v_mov_b32_e32 v15, 0x7f80
	s_and_saveexec_b64 s[18:19], vcc
	s_cbranch_execz .LBB757_1044
; %bb.1043:                             ;   in Loop: Header=BB757_788 Depth=1
	v_and_b32_e32 v15, 7, v8
	v_ffbh_u32_e32 v16, v15
	v_min_u32_e32 v19, 32, v16
	v_subrev_u32_e32 v16, 28, v19
	v_lshlrev_b64 v[16:17], v16, v[8:9]
	v_lshrrev_b32_e32 v18, 3, v12
	v_sub_u32_e32 v17, 29, v19
	v_and_b32_e32 v16, 7, v16
	v_cmp_gt_u32_e32 vcc, 8, v12
	v_cndmask_b32_e32 v12, v18, v17, vcc
	v_cndmask_b32_e32 v15, v15, v16, vcc
	v_lshlrev_b32_e32 v8, 24, v8
	v_lshlrev_b32_e32 v15, 20, v15
	v_and_b32_e32 v8, 0x80000000, v8
	v_lshl_add_u32 v12, v12, 23, v10
	v_or3_b32 v8, v8, v12, v15
	v_lshrrev_b32_e32 v15, 16, v8
.LBB757_1044:                           ;   in Loop: Header=BB757_788 Depth=1
	s_or_b64 exec, exec, s[18:19]
.LBB757_1045:                           ;   in Loop: Header=BB757_788 Depth=1
	s_or_b64 exec, exec, s[16:17]
.LBB757_1046:                           ;   in Loop: Header=BB757_788 Depth=1
	s_or_b64 exec, exec, s[14:15]
	v_cmp_lt_u32_e32 vcc, s24, v6
	v_mov_b32_e32 v16, 0
	v_mov_b32_e32 v17, 0
	s_and_saveexec_b64 s[14:15], vcc
	s_cbranch_execz .LBB757_1052
; %bb.1047:                             ;   in Loop: Header=BB757_788 Depth=1
	v_lshrrev_b32_e32 v8, 24, v6
	v_cmp_ne_u32_e32 vcc, s21, v8
	v_mov_b32_e32 v17, 0xffff8000
	s_and_saveexec_b64 s[16:17], vcc
	s_cbranch_execz .LBB757_1051
; %bb.1048:                             ;   in Loop: Header=BB757_788 Depth=1
	v_bfe_u32 v6, v6, 24, 7
	v_cmp_ne_u32_e32 vcc, s23, v6
	v_mov_b32_e32 v17, 0x7f80
	s_and_saveexec_b64 s[18:19], vcc
	s_cbranch_execz .LBB757_1050
; %bb.1049:                             ;   in Loop: Header=BB757_788 Depth=1
	v_and_b32_e32 v12, 7, v8
	v_ffbh_u32_e32 v18, v12
	v_min_u32_e32 v20, 32, v18
	v_subrev_u32_e32 v18, 28, v20
	v_lshlrev_b64 v[18:19], v18, v[8:9]
	v_lshrrev_b32_e32 v17, 3, v6
	v_sub_u32_e32 v19, 29, v20
	v_and_b32_e32 v18, 7, v18
	v_cmp_gt_u32_e32 vcc, 8, v6
	v_cndmask_b32_e32 v6, v17, v19, vcc
	v_cndmask_b32_e32 v12, v12, v18, vcc
	v_lshlrev_b32_e32 v8, 24, v8
	v_lshlrev_b32_e32 v12, 20, v12
	v_and_b32_e32 v8, 0x80000000, v8
	v_lshl_add_u32 v6, v6, 23, v10
	v_or3_b32 v6, v8, v6, v12
	v_lshrrev_b32_e32 v17, 16, v6
.LBB757_1050:                           ;   in Loop: Header=BB757_788 Depth=1
	s_or_b64 exec, exec, s[18:19]
.LBB757_1051:                           ;   in Loop: Header=BB757_788 Depth=1
	s_or_b64 exec, exec, s[16:17]
.LBB757_1052:                           ;   in Loop: Header=BB757_788 Depth=1
	s_or_b64 exec, exec, s[14:15]
	s_waitcnt vmcnt(0)
	v_cmp_ne_u16_sdwa s[16:17], v4, v9 src0_sel:BYTE_0 src1_sel:DWORD
	s_and_saveexec_b64 s[14:15], s[16:17]
	s_cbranch_execz .LBB757_1058
; %bb.1053:                             ;   in Loop: Header=BB757_788 Depth=1
	v_cmp_ne_u16_sdwa s[18:19], v4, s21 src0_sel:BYTE_0 src1_sel:DWORD
	v_mov_b32_e32 v16, 0xffff8000
	s_and_saveexec_b64 s[16:17], s[18:19]
	s_cbranch_execz .LBB757_1057
; %bb.1054:                             ;   in Loop: Header=BB757_788 Depth=1
	v_and_b32_e32 v6, 0x7f, v4
	v_cmp_ne_u32_e32 vcc, s23, v6
	v_mov_b32_e32 v16, 0x7f80
	s_and_saveexec_b64 s[18:19], vcc
	s_cbranch_execz .LBB757_1056
; %bb.1055:                             ;   in Loop: Header=BB757_788 Depth=1
	v_and_b32_e32 v8, 7, v4
	v_ffbh_u32_e32 v16, v8
	v_min_u32_e32 v16, 32, v16
	v_subrev_u32_e32 v18, 28, v16
	v_lshlrev_b64 v[18:19], v18, v[4:5]
	v_lshrrev_b32_e32 v12, 3, v6
	v_sub_u32_e32 v16, 29, v16
	v_and_b32_e32 v18, 7, v18
	v_cmp_gt_u32_e32 vcc, 8, v6
	v_cndmask_b32_e32 v6, v12, v16, vcc
	v_cndmask_b32_e32 v8, v8, v18, vcc
	v_lshlrev_b32_e32 v12, 24, v4
	v_lshlrev_b32_e32 v8, 20, v8
	v_and_b32_e32 v12, 0x80000000, v12
	v_lshl_add_u32 v6, v6, 23, v10
	v_or3_b32 v6, v12, v6, v8
	v_lshrrev_b32_e32 v16, 16, v6
.LBB757_1056:                           ;   in Loop: Header=BB757_788 Depth=1
	s_or_b64 exec, exec, s[18:19]
.LBB757_1057:                           ;   in Loop: Header=BB757_788 Depth=1
	s_or_b64 exec, exec, s[16:17]
.LBB757_1058:                           ;   in Loop: Header=BB757_788 Depth=1
	s_or_b64 exec, exec, s[14:15]
	v_lshrrev_b16_e32 v6, 8, v4
	v_cmp_ne_u16_e32 vcc, 0, v6
	v_mov_b32_e32 v18, 0
	v_mov_b32_e32 v8, 0
	s_and_saveexec_b64 s[14:15], vcc
	s_cbranch_execz .LBB757_1064
; %bb.1059:                             ;   in Loop: Header=BB757_788 Depth=1
	v_cmp_ne_u16_e32 vcc, s21, v6
	v_mov_b32_e32 v8, 0xffff8000
	s_and_saveexec_b64 s[16:17], vcc
	s_cbranch_execz .LBB757_1063
; %bb.1060:                             ;   in Loop: Header=BB757_788 Depth=1
	v_and_b32_e32 v12, 0x7f, v6
	v_cmp_ne_u32_e32 vcc, s23, v12
	v_mov_b32_e32 v8, 0x7f80
	s_and_saveexec_b64 s[18:19], vcc
	s_cbranch_execz .LBB757_1062
; %bb.1061:                             ;   in Loop: Header=BB757_788 Depth=1
	v_and_b32_e32 v8, 7, v6
	v_ffbh_u32_e32 v20, v8
	v_min_u32_e32 v22, 32, v20
	v_subrev_u32_e32 v20, 28, v22
	v_lshlrev_b64 v[20:21], v20, v[6:7]
	v_lshrrev_b32_e32 v19, 3, v12
	v_sub_u32_e32 v6, 29, v22
	v_and_b32_e32 v20, 7, v20
	v_cmp_gt_u32_e32 vcc, 8, v12
	v_cndmask_b32_e32 v6, v19, v6, vcc
	v_cndmask_b32_e32 v8, v8, v20, vcc
	v_lshlrev_b32_e32 v12, 16, v4
	v_lshlrev_b32_e32 v8, 20, v8
	v_and_b32_e32 v12, 0x80000000, v12
	v_lshl_add_u32 v6, v6, 23, v10
	v_or3_b32 v6, v12, v6, v8
	v_lshrrev_b32_e32 v8, 16, v6
.LBB757_1062:                           ;   in Loop: Header=BB757_788 Depth=1
	s_or_b64 exec, exec, s[18:19]
.LBB757_1063:                           ;   in Loop: Header=BB757_788 Depth=1
	s_or_b64 exec, exec, s[16:17]
.LBB757_1064:                           ;   in Loop: Header=BB757_788 Depth=1
	s_or_b64 exec, exec, s[14:15]
	v_lshrrev_b32_e32 v6, 16, v4
	v_cmp_ne_u16_sdwa s[16:17], v6, v9 src0_sel:BYTE_0 src1_sel:DWORD
	s_and_saveexec_b64 s[14:15], s[16:17]
	s_cbranch_execz .LBB757_1070
; %bb.1065:                             ;   in Loop: Header=BB757_788 Depth=1
	v_cmp_ne_u16_sdwa s[18:19], v6, s21 src0_sel:BYTE_0 src1_sel:DWORD
	v_mov_b32_e32 v18, 0xffff8000
	s_and_saveexec_b64 s[16:17], s[18:19]
	s_cbranch_execz .LBB757_1069
; %bb.1066:                             ;   in Loop: Header=BB757_788 Depth=1
	v_bfe_u32 v12, v4, 16, 7
	v_cmp_ne_u32_e32 vcc, s23, v12
	v_mov_b32_e32 v18, 0x7f80
	s_and_saveexec_b64 s[18:19], vcc
	s_cbranch_execz .LBB757_1068
; %bb.1067:                             ;   in Loop: Header=BB757_788 Depth=1
	v_and_b32_e32 v20, 7, v6
	v_ffbh_u32_e32 v18, v20
	v_min_u32_e32 v22, 32, v18
	v_subrev_u32_e32 v18, 28, v22
	v_lshlrev_b64 v[18:19], v18, v[6:7]
	v_lshrrev_b32_e32 v21, 3, v12
	v_sub_u32_e32 v19, 29, v22
	v_and_b32_e32 v18, 7, v18
	v_cmp_gt_u32_e32 vcc, 8, v12
	v_cndmask_b32_e32 v12, v21, v19, vcc
	v_cndmask_b32_e32 v18, v20, v18, vcc
	v_lshlrev_b32_e32 v6, 24, v6
	v_lshlrev_b32_e32 v18, 20, v18
	v_and_b32_e32 v6, 0x80000000, v6
	v_lshl_add_u32 v12, v12, 23, v10
	v_or3_b32 v6, v6, v12, v18
	v_lshrrev_b32_e32 v18, 16, v6
.LBB757_1068:                           ;   in Loop: Header=BB757_788 Depth=1
	s_or_b64 exec, exec, s[18:19]
.LBB757_1069:                           ;   in Loop: Header=BB757_788 Depth=1
	s_or_b64 exec, exec, s[16:17]
.LBB757_1070:                           ;   in Loop: Header=BB757_788 Depth=1
	s_or_b64 exec, exec, s[14:15]
	v_cmp_lt_u32_e32 vcc, s24, v4
	v_mov_b32_e32 v12, 0
	v_mov_b32_e32 v19, 0
	s_and_saveexec_b64 s[14:15], vcc
	s_cbranch_execz .LBB757_1076
; %bb.1071:                             ;   in Loop: Header=BB757_788 Depth=1
	v_lshrrev_b32_e32 v6, 24, v4
	v_cmp_ne_u32_e32 vcc, s21, v6
	v_mov_b32_e32 v19, 0xffff8000
	s_and_saveexec_b64 s[16:17], vcc
	s_cbranch_execz .LBB757_1075
; %bb.1072:                             ;   in Loop: Header=BB757_788 Depth=1
	v_bfe_u32 v4, v4, 24, 7
	v_cmp_ne_u32_e32 vcc, s23, v4
	v_mov_b32_e32 v19, 0x7f80
	s_and_saveexec_b64 s[18:19], vcc
	s_cbranch_execz .LBB757_1074
; %bb.1073:                             ;   in Loop: Header=BB757_788 Depth=1
	v_and_b32_e32 v19, 7, v6
	v_ffbh_u32_e32 v20, v19
	v_min_u32_e32 v23, 32, v20
	v_subrev_u32_e32 v20, 28, v23
	v_lshlrev_b64 v[20:21], v20, v[6:7]
	v_lshrrev_b32_e32 v22, 3, v4
	v_sub_u32_e32 v21, 29, v23
	v_and_b32_e32 v20, 7, v20
	v_cmp_gt_u32_e32 vcc, 8, v4
	v_cndmask_b32_e32 v4, v22, v21, vcc
	v_cndmask_b32_e32 v19, v19, v20, vcc
	v_lshlrev_b32_e32 v6, 24, v6
	v_lshlrev_b32_e32 v19, 20, v19
	v_and_b32_e32 v6, 0x80000000, v6
	v_lshl_add_u32 v4, v4, 23, v10
	v_or3_b32 v4, v6, v4, v19
	v_lshrrev_b32_e32 v19, 16, v4
.LBB757_1074:                           ;   in Loop: Header=BB757_788 Depth=1
	s_or_b64 exec, exec, s[18:19]
.LBB757_1075:                           ;   in Loop: Header=BB757_788 Depth=1
	s_or_b64 exec, exec, s[16:17]
.LBB757_1076:                           ;   in Loop: Header=BB757_788 Depth=1
	s_or_b64 exec, exec, s[14:15]
	buffer_load_dword v6, v11, s[0:3], 0 offen offset:48
	buffer_load_dword v4, v11, s[0:3], 0 offen offset:52
	v_perm_b32 v15, v17, v15, s25
	v_perm_b32 v14, v13, v14, s25
	;; [unrolled: 1-line block ×4, first 2 shown]
	v_mfma_f32_4x4x4bf16_1k a[0:3], v[2:3], v[14:15], a[0:3] cbsz:4 abid:10
	s_waitcnt vmcnt(1)
	v_cmp_ne_u16_sdwa s[16:17], v6, v9 src0_sel:BYTE_0 src1_sel:DWORD
	v_mfma_f32_4x4x4bf16_1k a[0:3], v[2:3], v[16:17], a[0:3] cbsz:4 abid:11
	s_and_saveexec_b64 s[14:15], s[16:17]
	s_cbranch_execz .LBB757_1082
; %bb.1077:                             ;   in Loop: Header=BB757_788 Depth=1
	v_cmp_ne_u16_sdwa s[18:19], v6, s21 src0_sel:BYTE_0 src1_sel:DWORD
	v_mov_b32_e32 v12, 0xffff8000
	s_and_saveexec_b64 s[16:17], s[18:19]
	s_cbranch_execz .LBB757_1081
; %bb.1078:                             ;   in Loop: Header=BB757_788 Depth=1
	v_and_b32_e32 v8, 0x7f, v6
	v_cmp_ne_u32_e32 vcc, s23, v8
	v_mov_b32_e32 v12, 0x7f80
	s_and_saveexec_b64 s[18:19], vcc
	s_cbranch_execz .LBB757_1080
; %bb.1079:                             ;   in Loop: Header=BB757_788 Depth=1
	v_and_b32_e32 v14, 7, v6
	v_ffbh_u32_e32 v12, v14
	v_min_u32_e32 v16, 32, v12
	v_subrev_u32_e32 v12, 28, v16
	v_lshlrev_b64 v[12:13], v12, v[6:7]
	v_lshrrev_b32_e32 v15, 3, v8
	v_sub_u32_e32 v13, 29, v16
	v_and_b32_e32 v12, 7, v12
	v_cmp_gt_u32_e32 vcc, 8, v8
	v_cndmask_b32_e32 v8, v15, v13, vcc
	v_cndmask_b32_e32 v12, v14, v12, vcc
	v_lshlrev_b32_e32 v13, 24, v6
	v_lshlrev_b32_e32 v12, 20, v12
	v_and_b32_e32 v13, 0x80000000, v13
	v_lshl_add_u32 v8, v8, 23, v10
	v_or3_b32 v8, v13, v8, v12
	v_lshrrev_b32_e32 v12, 16, v8
.LBB757_1080:                           ;   in Loop: Header=BB757_788 Depth=1
	s_or_b64 exec, exec, s[18:19]
.LBB757_1081:                           ;   in Loop: Header=BB757_788 Depth=1
	s_or_b64 exec, exec, s[16:17]
.LBB757_1082:                           ;   in Loop: Header=BB757_788 Depth=1
	s_or_b64 exec, exec, s[14:15]
	v_lshrrev_b16_e32 v8, 8, v6
	v_cmp_ne_u16_e32 vcc, 0, v8
	v_mov_b32_e32 v15, 0
	v_mov_b32_e32 v14, 0
	s_and_saveexec_b64 s[14:15], vcc
	s_cbranch_execz .LBB757_1088
; %bb.1083:                             ;   in Loop: Header=BB757_788 Depth=1
	v_cmp_ne_u16_e32 vcc, s21, v8
	v_mov_b32_e32 v14, 0xffff8000
	s_and_saveexec_b64 s[16:17], vcc
	s_cbranch_execz .LBB757_1087
; %bb.1084:                             ;   in Loop: Header=BB757_788 Depth=1
	v_and_b32_e32 v13, 0x7f, v8
	v_cmp_ne_u32_e32 vcc, s23, v13
	v_mov_b32_e32 v14, 0x7f80
	s_and_saveexec_b64 s[18:19], vcc
	s_cbranch_execz .LBB757_1086
; %bb.1085:                             ;   in Loop: Header=BB757_788 Depth=1
	v_and_b32_e32 v14, 7, v8
	v_ffbh_u32_e32 v16, v14
	v_min_u32_e32 v19, 32, v16
	v_subrev_u32_e32 v16, 28, v19
	v_lshlrev_b64 v[16:17], v16, v[8:9]
	v_lshrrev_b32_e32 v18, 3, v13
	v_sub_u32_e32 v8, 29, v19
	v_and_b32_e32 v16, 7, v16
	v_cmp_gt_u32_e32 vcc, 8, v13
	v_cndmask_b32_e32 v8, v18, v8, vcc
	v_cndmask_b32_e32 v13, v14, v16, vcc
	v_lshlrev_b32_e32 v14, 16, v6
	v_lshlrev_b32_e32 v13, 20, v13
	v_and_b32_e32 v14, 0x80000000, v14
	v_lshl_add_u32 v8, v8, 23, v10
	v_or3_b32 v8, v14, v8, v13
	v_lshrrev_b32_e32 v14, 16, v8
.LBB757_1086:                           ;   in Loop: Header=BB757_788 Depth=1
	s_or_b64 exec, exec, s[18:19]
.LBB757_1087:                           ;   in Loop: Header=BB757_788 Depth=1
	s_or_b64 exec, exec, s[16:17]
.LBB757_1088:                           ;   in Loop: Header=BB757_788 Depth=1
	s_or_b64 exec, exec, s[14:15]
	v_lshrrev_b32_e32 v8, 16, v6
	v_cmp_ne_u16_sdwa s[16:17], v8, v9 src0_sel:BYTE_0 src1_sel:DWORD
	s_and_saveexec_b64 s[14:15], s[16:17]
	s_cbranch_execz .LBB757_1094
; %bb.1089:                             ;   in Loop: Header=BB757_788 Depth=1
	v_cmp_ne_u16_sdwa s[18:19], v8, s21 src0_sel:BYTE_0 src1_sel:DWORD
	v_mov_b32_e32 v15, 0xffff8000
	s_and_saveexec_b64 s[16:17], s[18:19]
	s_cbranch_execz .LBB757_1093
; %bb.1090:                             ;   in Loop: Header=BB757_788 Depth=1
	v_bfe_u32 v13, v6, 16, 7
	v_cmp_ne_u32_e32 vcc, s23, v13
	v_mov_b32_e32 v15, 0x7f80
	s_and_saveexec_b64 s[18:19], vcc
	s_cbranch_execz .LBB757_1092
; %bb.1091:                             ;   in Loop: Header=BB757_788 Depth=1
	v_and_b32_e32 v15, 7, v8
	v_ffbh_u32_e32 v16, v15
	v_min_u32_e32 v19, 32, v16
	v_subrev_u32_e32 v16, 28, v19
	v_lshlrev_b64 v[16:17], v16, v[8:9]
	v_lshrrev_b32_e32 v18, 3, v13
	v_sub_u32_e32 v17, 29, v19
	v_and_b32_e32 v16, 7, v16
	v_cmp_gt_u32_e32 vcc, 8, v13
	v_cndmask_b32_e32 v13, v18, v17, vcc
	v_cndmask_b32_e32 v15, v15, v16, vcc
	v_lshlrev_b32_e32 v8, 24, v8
	v_lshlrev_b32_e32 v15, 20, v15
	v_and_b32_e32 v8, 0x80000000, v8
	v_lshl_add_u32 v13, v13, 23, v10
	v_or3_b32 v8, v8, v13, v15
	v_lshrrev_b32_e32 v15, 16, v8
.LBB757_1092:                           ;   in Loop: Header=BB757_788 Depth=1
	s_or_b64 exec, exec, s[18:19]
.LBB757_1093:                           ;   in Loop: Header=BB757_788 Depth=1
	s_or_b64 exec, exec, s[16:17]
.LBB757_1094:                           ;   in Loop: Header=BB757_788 Depth=1
	s_or_b64 exec, exec, s[14:15]
	v_cmp_lt_u32_e32 vcc, s24, v6
	v_mov_b32_e32 v16, 0
	v_mov_b32_e32 v17, 0
	s_and_saveexec_b64 s[14:15], vcc
	s_cbranch_execz .LBB757_1100
; %bb.1095:                             ;   in Loop: Header=BB757_788 Depth=1
	v_lshrrev_b32_e32 v8, 24, v6
	v_cmp_ne_u32_e32 vcc, s21, v8
	v_mov_b32_e32 v17, 0xffff8000
	s_and_saveexec_b64 s[16:17], vcc
	s_cbranch_execz .LBB757_1099
; %bb.1096:                             ;   in Loop: Header=BB757_788 Depth=1
	v_bfe_u32 v6, v6, 24, 7
	v_cmp_ne_u32_e32 vcc, s23, v6
	v_mov_b32_e32 v17, 0x7f80
	s_and_saveexec_b64 s[18:19], vcc
	s_cbranch_execz .LBB757_1098
; %bb.1097:                             ;   in Loop: Header=BB757_788 Depth=1
	v_and_b32_e32 v13, 7, v8
	v_ffbh_u32_e32 v18, v13
	v_min_u32_e32 v20, 32, v18
	v_subrev_u32_e32 v18, 28, v20
	v_lshlrev_b64 v[18:19], v18, v[8:9]
	v_lshrrev_b32_e32 v17, 3, v6
	v_sub_u32_e32 v19, 29, v20
	v_and_b32_e32 v18, 7, v18
	v_cmp_gt_u32_e32 vcc, 8, v6
	v_cndmask_b32_e32 v6, v17, v19, vcc
	v_cndmask_b32_e32 v13, v13, v18, vcc
	v_lshlrev_b32_e32 v8, 24, v8
	v_lshlrev_b32_e32 v13, 20, v13
	v_and_b32_e32 v8, 0x80000000, v8
	v_lshl_add_u32 v6, v6, 23, v10
	v_or3_b32 v6, v8, v6, v13
	v_lshrrev_b32_e32 v17, 16, v6
.LBB757_1098:                           ;   in Loop: Header=BB757_788 Depth=1
	s_or_b64 exec, exec, s[18:19]
.LBB757_1099:                           ;   in Loop: Header=BB757_788 Depth=1
	s_or_b64 exec, exec, s[16:17]
.LBB757_1100:                           ;   in Loop: Header=BB757_788 Depth=1
	s_or_b64 exec, exec, s[14:15]
	s_waitcnt vmcnt(0)
	v_cmp_ne_u16_sdwa s[16:17], v4, v9 src0_sel:BYTE_0 src1_sel:DWORD
	s_and_saveexec_b64 s[14:15], s[16:17]
	s_cbranch_execz .LBB757_1106
; %bb.1101:                             ;   in Loop: Header=BB757_788 Depth=1
	v_cmp_ne_u16_sdwa s[18:19], v4, s21 src0_sel:BYTE_0 src1_sel:DWORD
	v_mov_b32_e32 v16, 0xffff8000
	s_and_saveexec_b64 s[16:17], s[18:19]
	s_cbranch_execz .LBB757_1105
; %bb.1102:                             ;   in Loop: Header=BB757_788 Depth=1
	v_and_b32_e32 v6, 0x7f, v4
	v_cmp_ne_u32_e32 vcc, s23, v6
	v_mov_b32_e32 v16, 0x7f80
	s_and_saveexec_b64 s[18:19], vcc
	s_cbranch_execz .LBB757_1104
; %bb.1103:                             ;   in Loop: Header=BB757_788 Depth=1
	v_and_b32_e32 v8, 7, v4
	v_ffbh_u32_e32 v16, v8
	v_min_u32_e32 v16, 32, v16
	v_subrev_u32_e32 v18, 28, v16
	v_lshlrev_b64 v[18:19], v18, v[4:5]
	v_lshrrev_b32_e32 v13, 3, v6
	v_sub_u32_e32 v16, 29, v16
	v_and_b32_e32 v18, 7, v18
	v_cmp_gt_u32_e32 vcc, 8, v6
	v_cndmask_b32_e32 v6, v13, v16, vcc
	v_cndmask_b32_e32 v8, v8, v18, vcc
	v_lshlrev_b32_e32 v13, 24, v4
	v_lshlrev_b32_e32 v8, 20, v8
	v_and_b32_e32 v13, 0x80000000, v13
	v_lshl_add_u32 v6, v6, 23, v10
	v_or3_b32 v6, v13, v6, v8
	v_lshrrev_b32_e32 v16, 16, v6
.LBB757_1104:                           ;   in Loop: Header=BB757_788 Depth=1
	s_or_b64 exec, exec, s[18:19]
.LBB757_1105:                           ;   in Loop: Header=BB757_788 Depth=1
	s_or_b64 exec, exec, s[16:17]
.LBB757_1106:                           ;   in Loop: Header=BB757_788 Depth=1
	s_or_b64 exec, exec, s[14:15]
	v_lshrrev_b16_e32 v6, 8, v4
	v_cmp_ne_u16_e32 vcc, 0, v6
	v_mov_b32_e32 v18, 0
	v_mov_b32_e32 v8, 0
	s_and_saveexec_b64 s[14:15], vcc
	s_cbranch_execz .LBB757_1112
; %bb.1107:                             ;   in Loop: Header=BB757_788 Depth=1
	v_cmp_ne_u16_e32 vcc, s21, v6
	v_mov_b32_e32 v8, 0xffff8000
	s_and_saveexec_b64 s[16:17], vcc
	s_cbranch_execz .LBB757_1111
; %bb.1108:                             ;   in Loop: Header=BB757_788 Depth=1
	v_and_b32_e32 v13, 0x7f, v6
	v_cmp_ne_u32_e32 vcc, s23, v13
	v_mov_b32_e32 v8, 0x7f80
	s_and_saveexec_b64 s[18:19], vcc
	s_cbranch_execz .LBB757_1110
; %bb.1109:                             ;   in Loop: Header=BB757_788 Depth=1
	v_and_b32_e32 v8, 7, v6
	v_ffbh_u32_e32 v20, v8
	v_min_u32_e32 v22, 32, v20
	v_subrev_u32_e32 v20, 28, v22
	v_lshlrev_b64 v[20:21], v20, v[6:7]
	v_lshrrev_b32_e32 v19, 3, v13
	v_sub_u32_e32 v6, 29, v22
	v_and_b32_e32 v20, 7, v20
	v_cmp_gt_u32_e32 vcc, 8, v13
	v_cndmask_b32_e32 v6, v19, v6, vcc
	v_cndmask_b32_e32 v8, v8, v20, vcc
	v_lshlrev_b32_e32 v13, 16, v4
	v_lshlrev_b32_e32 v8, 20, v8
	v_and_b32_e32 v13, 0x80000000, v13
	v_lshl_add_u32 v6, v6, 23, v10
	v_or3_b32 v6, v13, v6, v8
	v_lshrrev_b32_e32 v8, 16, v6
.LBB757_1110:                           ;   in Loop: Header=BB757_788 Depth=1
	s_or_b64 exec, exec, s[18:19]
.LBB757_1111:                           ;   in Loop: Header=BB757_788 Depth=1
	s_or_b64 exec, exec, s[16:17]
.LBB757_1112:                           ;   in Loop: Header=BB757_788 Depth=1
	s_or_b64 exec, exec, s[14:15]
	v_lshrrev_b32_e32 v6, 16, v4
	v_cmp_ne_u16_sdwa s[16:17], v6, v9 src0_sel:BYTE_0 src1_sel:DWORD
	s_and_saveexec_b64 s[14:15], s[16:17]
	s_cbranch_execz .LBB757_1118
; %bb.1113:                             ;   in Loop: Header=BB757_788 Depth=1
	v_cmp_ne_u16_sdwa s[18:19], v6, s21 src0_sel:BYTE_0 src1_sel:DWORD
	v_mov_b32_e32 v18, 0xffff8000
	s_and_saveexec_b64 s[16:17], s[18:19]
	s_cbranch_execz .LBB757_1117
; %bb.1114:                             ;   in Loop: Header=BB757_788 Depth=1
	v_bfe_u32 v13, v4, 16, 7
	v_cmp_ne_u32_e32 vcc, s23, v13
	v_mov_b32_e32 v18, 0x7f80
	s_and_saveexec_b64 s[18:19], vcc
	s_cbranch_execz .LBB757_1116
; %bb.1115:                             ;   in Loop: Header=BB757_788 Depth=1
	v_and_b32_e32 v20, 7, v6
	v_ffbh_u32_e32 v18, v20
	v_min_u32_e32 v22, 32, v18
	v_subrev_u32_e32 v18, 28, v22
	v_lshlrev_b64 v[18:19], v18, v[6:7]
	v_lshrrev_b32_e32 v21, 3, v13
	v_sub_u32_e32 v19, 29, v22
	v_and_b32_e32 v18, 7, v18
	v_cmp_gt_u32_e32 vcc, 8, v13
	v_cndmask_b32_e32 v13, v21, v19, vcc
	v_cndmask_b32_e32 v18, v20, v18, vcc
	v_lshlrev_b32_e32 v6, 24, v6
	v_lshlrev_b32_e32 v18, 20, v18
	v_and_b32_e32 v6, 0x80000000, v6
	v_lshl_add_u32 v13, v13, 23, v10
	v_or3_b32 v6, v6, v13, v18
	v_lshrrev_b32_e32 v18, 16, v6
.LBB757_1116:                           ;   in Loop: Header=BB757_788 Depth=1
	s_or_b64 exec, exec, s[18:19]
.LBB757_1117:                           ;   in Loop: Header=BB757_788 Depth=1
	s_or_b64 exec, exec, s[16:17]
.LBB757_1118:                           ;   in Loop: Header=BB757_788 Depth=1
	s_or_b64 exec, exec, s[14:15]
	v_cmp_lt_u32_e32 vcc, s24, v4
	v_mov_b32_e32 v13, 0
	v_mov_b32_e32 v19, 0
	s_and_saveexec_b64 s[14:15], vcc
	s_cbranch_execz .LBB757_1124
; %bb.1119:                             ;   in Loop: Header=BB757_788 Depth=1
	v_lshrrev_b32_e32 v6, 24, v4
	v_cmp_ne_u32_e32 vcc, s21, v6
	v_mov_b32_e32 v19, 0xffff8000
	s_and_saveexec_b64 s[16:17], vcc
	s_cbranch_execz .LBB757_1123
; %bb.1120:                             ;   in Loop: Header=BB757_788 Depth=1
	v_bfe_u32 v4, v4, 24, 7
	v_cmp_ne_u32_e32 vcc, s23, v4
	v_mov_b32_e32 v19, 0x7f80
	s_and_saveexec_b64 s[18:19], vcc
	s_cbranch_execz .LBB757_1122
; %bb.1121:                             ;   in Loop: Header=BB757_788 Depth=1
	v_and_b32_e32 v19, 7, v6
	v_ffbh_u32_e32 v20, v19
	v_min_u32_e32 v23, 32, v20
	v_subrev_u32_e32 v20, 28, v23
	v_lshlrev_b64 v[20:21], v20, v[6:7]
	v_lshrrev_b32_e32 v22, 3, v4
	v_sub_u32_e32 v21, 29, v23
	v_and_b32_e32 v20, 7, v20
	v_cmp_gt_u32_e32 vcc, 8, v4
	v_cndmask_b32_e32 v4, v22, v21, vcc
	v_cndmask_b32_e32 v19, v19, v20, vcc
	v_lshlrev_b32_e32 v6, 24, v6
	v_lshlrev_b32_e32 v19, 20, v19
	v_and_b32_e32 v6, 0x80000000, v6
	v_lshl_add_u32 v4, v4, 23, v10
	v_or3_b32 v4, v6, v4, v19
	v_lshrrev_b32_e32 v19, 16, v4
.LBB757_1122:                           ;   in Loop: Header=BB757_788 Depth=1
	s_or_b64 exec, exec, s[18:19]
.LBB757_1123:                           ;   in Loop: Header=BB757_788 Depth=1
	s_or_b64 exec, exec, s[16:17]
.LBB757_1124:                           ;   in Loop: Header=BB757_788 Depth=1
	s_or_b64 exec, exec, s[14:15]
	buffer_load_dword v6, v11, s[0:3], 0 offen offset:56
	buffer_load_dword v4, v11, s[0:3], 0 offen offset:60
	v_perm_b32 v15, v17, v15, s25
	v_perm_b32 v14, v14, v12, s25
	;; [unrolled: 1-line block ×4, first 2 shown]
	v_mfma_f32_4x4x4bf16_1k a[0:3], v[2:3], v[14:15], a[0:3] cbsz:4 abid:12
	s_waitcnt vmcnt(1)
	v_cmp_ne_u16_sdwa s[16:17], v6, v9 src0_sel:BYTE_0 src1_sel:DWORD
	v_mfma_f32_4x4x4bf16_1k a[0:3], v[2:3], v[16:17], a[0:3] cbsz:4 abid:13
	s_and_saveexec_b64 s[14:15], s[16:17]
	s_cbranch_execz .LBB757_1130
; %bb.1125:                             ;   in Loop: Header=BB757_788 Depth=1
	v_cmp_ne_u16_sdwa s[18:19], v6, s21 src0_sel:BYTE_0 src1_sel:DWORD
	v_mov_b32_e32 v13, 0xffff8000
	s_and_saveexec_b64 s[16:17], s[18:19]
	s_cbranch_execz .LBB757_1129
; %bb.1126:                             ;   in Loop: Header=BB757_788 Depth=1
	v_and_b32_e32 v8, 0x7f, v6
	v_cmp_ne_u32_e32 vcc, s23, v8
	v_mov_b32_e32 v13, 0x7f80
	s_and_saveexec_b64 s[18:19], vcc
	s_cbranch_execz .LBB757_1128
; %bb.1127:                             ;   in Loop: Header=BB757_788 Depth=1
	v_and_b32_e32 v11, 7, v6
	v_ffbh_u32_e32 v12, v11
	v_min_u32_e32 v15, 32, v12
	v_subrev_u32_e32 v12, 28, v15
	v_lshlrev_b64 v[12:13], v12, v[6:7]
	v_lshrrev_b32_e32 v14, 3, v8
	v_sub_u32_e32 v13, 29, v15
	v_and_b32_e32 v12, 7, v12
	v_cmp_gt_u32_e32 vcc, 8, v8
	v_cndmask_b32_e32 v8, v14, v13, vcc
	v_cndmask_b32_e32 v11, v11, v12, vcc
	v_lshlrev_b32_e32 v12, 24, v6
	v_lshlrev_b32_e32 v11, 20, v11
	v_and_b32_e32 v12, 0x80000000, v12
	v_lshl_add_u32 v8, v8, 23, v10
	v_or3_b32 v8, v12, v8, v11
	v_lshrrev_b32_e32 v13, 16, v8
.LBB757_1128:                           ;   in Loop: Header=BB757_788 Depth=1
	s_or_b64 exec, exec, s[18:19]
.LBB757_1129:                           ;   in Loop: Header=BB757_788 Depth=1
	s_or_b64 exec, exec, s[16:17]
.LBB757_1130:                           ;   in Loop: Header=BB757_788 Depth=1
	s_or_b64 exec, exec, s[14:15]
	v_lshrrev_b16_e32 v8, 8, v6
	v_cmp_ne_u16_e32 vcc, 0, v8
	v_mov_b32_e32 v12, 0
	v_mov_b32_e32 v11, 0
	s_and_saveexec_b64 s[14:15], vcc
	s_cbranch_execz .LBB757_1136
; %bb.1131:                             ;   in Loop: Header=BB757_788 Depth=1
	v_cmp_ne_u16_e32 vcc, s21, v8
	v_mov_b32_e32 v11, 0xffff8000
	s_and_saveexec_b64 s[16:17], vcc
	s_cbranch_execz .LBB757_1135
; %bb.1132:                             ;   in Loop: Header=BB757_788 Depth=1
	v_and_b32_e32 v14, 0x7f, v8
	v_cmp_ne_u32_e32 vcc, s23, v14
	v_mov_b32_e32 v11, 0x7f80
	s_and_saveexec_b64 s[18:19], vcc
	s_cbranch_execz .LBB757_1134
; %bb.1133:                             ;   in Loop: Header=BB757_788 Depth=1
	v_and_b32_e32 v11, 7, v8
	v_ffbh_u32_e32 v16, v11
	v_min_u32_e32 v18, 32, v16
	v_subrev_u32_e32 v16, 28, v18
	v_lshlrev_b64 v[16:17], v16, v[8:9]
	v_lshrrev_b32_e32 v15, 3, v14
	v_sub_u32_e32 v8, 29, v18
	v_and_b32_e32 v16, 7, v16
	v_cmp_gt_u32_e32 vcc, 8, v14
	v_cndmask_b32_e32 v8, v15, v8, vcc
	v_cndmask_b32_e32 v11, v11, v16, vcc
	v_lshlrev_b32_e32 v14, 16, v6
	v_lshlrev_b32_e32 v11, 20, v11
	v_and_b32_e32 v14, 0x80000000, v14
	v_lshl_add_u32 v8, v8, 23, v10
	v_or3_b32 v8, v14, v8, v11
	v_lshrrev_b32_e32 v11, 16, v8
.LBB757_1134:                           ;   in Loop: Header=BB757_788 Depth=1
	s_or_b64 exec, exec, s[18:19]
.LBB757_1135:                           ;   in Loop: Header=BB757_788 Depth=1
	s_or_b64 exec, exec, s[16:17]
.LBB757_1136:                           ;   in Loop: Header=BB757_788 Depth=1
	s_or_b64 exec, exec, s[14:15]
	v_lshrrev_b32_e32 v8, 16, v6
	v_cmp_ne_u16_sdwa s[16:17], v8, v9 src0_sel:BYTE_0 src1_sel:DWORD
	s_and_saveexec_b64 s[14:15], s[16:17]
	s_cbranch_execz .LBB757_1142
; %bb.1137:                             ;   in Loop: Header=BB757_788 Depth=1
	v_cmp_ne_u16_sdwa s[18:19], v8, s21 src0_sel:BYTE_0 src1_sel:DWORD
	v_mov_b32_e32 v12, 0xffff8000
	s_and_saveexec_b64 s[16:17], s[18:19]
	s_cbranch_execz .LBB757_1141
; %bb.1138:                             ;   in Loop: Header=BB757_788 Depth=1
	v_bfe_u32 v14, v6, 16, 7
	v_cmp_ne_u32_e32 vcc, s23, v14
	v_mov_b32_e32 v12, 0x7f80
	s_and_saveexec_b64 s[18:19], vcc
	s_cbranch_execz .LBB757_1140
; %bb.1139:                             ;   in Loop: Header=BB757_788 Depth=1
	v_and_b32_e32 v12, 7, v8
	v_ffbh_u32_e32 v16, v12
	v_min_u32_e32 v18, 32, v16
	v_subrev_u32_e32 v16, 28, v18
	v_lshlrev_b64 v[16:17], v16, v[8:9]
	v_lshrrev_b32_e32 v15, 3, v14
	v_sub_u32_e32 v17, 29, v18
	v_and_b32_e32 v16, 7, v16
	v_cmp_gt_u32_e32 vcc, 8, v14
	v_cndmask_b32_e32 v14, v15, v17, vcc
	v_cndmask_b32_e32 v12, v12, v16, vcc
	v_lshlrev_b32_e32 v8, 24, v8
	v_lshlrev_b32_e32 v12, 20, v12
	v_and_b32_e32 v8, 0x80000000, v8
	v_lshl_add_u32 v14, v14, 23, v10
	v_or3_b32 v8, v8, v14, v12
	v_lshrrev_b32_e32 v12, 16, v8
.LBB757_1140:                           ;   in Loop: Header=BB757_788 Depth=1
	s_or_b64 exec, exec, s[18:19]
.LBB757_1141:                           ;   in Loop: Header=BB757_788 Depth=1
	s_or_b64 exec, exec, s[16:17]
.LBB757_1142:                           ;   in Loop: Header=BB757_788 Depth=1
	s_or_b64 exec, exec, s[14:15]
	v_cmp_lt_u32_e32 vcc, s24, v6
	v_mov_b32_e32 v14, 0
	v_mov_b32_e32 v15, 0
	s_and_saveexec_b64 s[14:15], vcc
	s_cbranch_execz .LBB757_1148
; %bb.1143:                             ;   in Loop: Header=BB757_788 Depth=1
	v_lshrrev_b32_e32 v8, 24, v6
	v_cmp_ne_u32_e32 vcc, s21, v8
	v_mov_b32_e32 v15, 0xffff8000
	s_and_saveexec_b64 s[16:17], vcc
	s_cbranch_execz .LBB757_1147
; %bb.1144:                             ;   in Loop: Header=BB757_788 Depth=1
	v_bfe_u32 v6, v6, 24, 7
	v_cmp_ne_u32_e32 vcc, s23, v6
	v_mov_b32_e32 v15, 0x7f80
	s_and_saveexec_b64 s[18:19], vcc
	s_cbranch_execz .LBB757_1146
; %bb.1145:                             ;   in Loop: Header=BB757_788 Depth=1
	v_and_b32_e32 v15, 7, v8
	v_ffbh_u32_e32 v16, v15
	v_min_u32_e32 v19, 32, v16
	v_subrev_u32_e32 v16, 28, v19
	v_lshlrev_b64 v[16:17], v16, v[8:9]
	v_lshrrev_b32_e32 v18, 3, v6
	v_sub_u32_e32 v17, 29, v19
	v_and_b32_e32 v16, 7, v16
	v_cmp_gt_u32_e32 vcc, 8, v6
	v_cndmask_b32_e32 v6, v18, v17, vcc
	v_cndmask_b32_e32 v15, v15, v16, vcc
	v_lshlrev_b32_e32 v8, 24, v8
	v_lshlrev_b32_e32 v15, 20, v15
	v_and_b32_e32 v8, 0x80000000, v8
	v_lshl_add_u32 v6, v6, 23, v10
	v_or3_b32 v6, v8, v6, v15
	v_lshrrev_b32_e32 v15, 16, v6
.LBB757_1146:                           ;   in Loop: Header=BB757_788 Depth=1
	s_or_b64 exec, exec, s[18:19]
.LBB757_1147:                           ;   in Loop: Header=BB757_788 Depth=1
	s_or_b64 exec, exec, s[16:17]
.LBB757_1148:                           ;   in Loop: Header=BB757_788 Depth=1
	s_or_b64 exec, exec, s[14:15]
	s_waitcnt vmcnt(0)
	v_cmp_ne_u16_sdwa s[16:17], v4, v9 src0_sel:BYTE_0 src1_sel:DWORD
	s_and_saveexec_b64 s[14:15], s[16:17]
	s_cbranch_execz .LBB757_1154
; %bb.1149:                             ;   in Loop: Header=BB757_788 Depth=1
	v_cmp_ne_u16_sdwa s[18:19], v4, s21 src0_sel:BYTE_0 src1_sel:DWORD
	v_mov_b32_e32 v14, 0xffff8000
	s_and_saveexec_b64 s[16:17], s[18:19]
	s_cbranch_execz .LBB757_1153
; %bb.1150:                             ;   in Loop: Header=BB757_788 Depth=1
	v_and_b32_e32 v6, 0x7f, v4
	v_cmp_ne_u32_e32 vcc, s23, v6
	v_mov_b32_e32 v14, 0x7f80
	s_and_saveexec_b64 s[18:19], vcc
	s_cbranch_execz .LBB757_1152
; %bb.1151:                             ;   in Loop: Header=BB757_788 Depth=1
	v_and_b32_e32 v8, 7, v4
	v_ffbh_u32_e32 v16, v8
	v_min_u32_e32 v18, 32, v16
	v_subrev_u32_e32 v16, 28, v18
	v_lshlrev_b64 v[16:17], v16, v[4:5]
	v_lshrrev_b32_e32 v14, 3, v6
	v_sub_u32_e32 v17, 29, v18
	v_and_b32_e32 v16, 7, v16
	v_cmp_gt_u32_e32 vcc, 8, v6
	v_cndmask_b32_e32 v6, v14, v17, vcc
	v_cndmask_b32_e32 v8, v8, v16, vcc
	v_lshlrev_b32_e32 v14, 24, v4
	v_lshlrev_b32_e32 v8, 20, v8
	v_and_b32_e32 v14, 0x80000000, v14
	v_lshl_add_u32 v6, v6, 23, v10
	v_or3_b32 v6, v14, v6, v8
	v_lshrrev_b32_e32 v14, 16, v6
.LBB757_1152:                           ;   in Loop: Header=BB757_788 Depth=1
	s_or_b64 exec, exec, s[18:19]
.LBB757_1153:                           ;   in Loop: Header=BB757_788 Depth=1
	s_or_b64 exec, exec, s[16:17]
.LBB757_1154:                           ;   in Loop: Header=BB757_788 Depth=1
	s_or_b64 exec, exec, s[14:15]
	v_lshrrev_b16_e32 v6, 8, v4
	v_cmp_ne_u16_e32 vcc, 0, v6
	v_mov_b32_e32 v16, 0
	v_mov_b32_e32 v8, 0
	s_and_saveexec_b64 s[14:15], vcc
	s_cbranch_execz .LBB757_1160
; %bb.1155:                             ;   in Loop: Header=BB757_788 Depth=1
	v_cmp_ne_u16_e32 vcc, s21, v6
	v_mov_b32_e32 v8, 0xffff8000
	s_and_saveexec_b64 s[16:17], vcc
	s_cbranch_execz .LBB757_1159
; %bb.1156:                             ;   in Loop: Header=BB757_788 Depth=1
	v_and_b32_e32 v17, 0x7f, v6
	v_cmp_ne_u32_e32 vcc, s23, v17
	v_mov_b32_e32 v8, 0x7f80
	s_and_saveexec_b64 s[18:19], vcc
	s_cbranch_execz .LBB757_1158
; %bb.1157:                             ;   in Loop: Header=BB757_788 Depth=1
	v_and_b32_e32 v8, 7, v6
	v_ffbh_u32_e32 v18, v8
	v_min_u32_e32 v21, 32, v18
	v_subrev_u32_e32 v18, 28, v21
	v_lshlrev_b64 v[18:19], v18, v[6:7]
	v_lshrrev_b32_e32 v20, 3, v17
	v_sub_u32_e32 v6, 29, v21
	v_and_b32_e32 v18, 7, v18
	v_cmp_gt_u32_e32 vcc, 8, v17
	v_cndmask_b32_e32 v6, v20, v6, vcc
	v_cndmask_b32_e32 v8, v8, v18, vcc
	v_lshlrev_b32_e32 v17, 16, v4
	v_lshlrev_b32_e32 v8, 20, v8
	v_and_b32_e32 v17, 0x80000000, v17
	v_lshl_add_u32 v6, v6, 23, v10
	v_or3_b32 v6, v17, v6, v8
	v_lshrrev_b32_e32 v8, 16, v6
.LBB757_1158:                           ;   in Loop: Header=BB757_788 Depth=1
	s_or_b64 exec, exec, s[18:19]
.LBB757_1159:                           ;   in Loop: Header=BB757_788 Depth=1
	s_or_b64 exec, exec, s[16:17]
.LBB757_1160:                           ;   in Loop: Header=BB757_788 Depth=1
	s_or_b64 exec, exec, s[14:15]
	v_lshrrev_b32_e32 v6, 16, v4
	v_cmp_ne_u16_sdwa s[16:17], v6, v9 src0_sel:BYTE_0 src1_sel:DWORD
	s_and_saveexec_b64 s[14:15], s[16:17]
	s_cbranch_execz .LBB757_1166
; %bb.1161:                             ;   in Loop: Header=BB757_788 Depth=1
	v_cmp_ne_u16_sdwa s[18:19], v6, s21 src0_sel:BYTE_0 src1_sel:DWORD
	v_mov_b32_e32 v16, 0xffff8000
	s_and_saveexec_b64 s[16:17], s[18:19]
	s_cbranch_execz .LBB757_1165
; %bb.1162:                             ;   in Loop: Header=BB757_788 Depth=1
	v_bfe_u32 v17, v4, 16, 7
	v_cmp_ne_u32_e32 vcc, s23, v17
	v_mov_b32_e32 v16, 0x7f80
	s_and_saveexec_b64 s[18:19], vcc
	s_cbranch_execz .LBB757_1164
; %bb.1163:                             ;   in Loop: Header=BB757_788 Depth=1
	v_and_b32_e32 v16, 7, v6
	v_ffbh_u32_e32 v18, v16
	v_min_u32_e32 v21, 32, v18
	v_subrev_u32_e32 v18, 28, v21
	v_lshlrev_b64 v[18:19], v18, v[6:7]
	v_lshrrev_b32_e32 v20, 3, v17
	v_sub_u32_e32 v19, 29, v21
	v_and_b32_e32 v18, 7, v18
	v_cmp_gt_u32_e32 vcc, 8, v17
	v_cndmask_b32_e32 v17, v20, v19, vcc
	v_cndmask_b32_e32 v16, v16, v18, vcc
	v_lshlrev_b32_e32 v6, 24, v6
	v_lshlrev_b32_e32 v16, 20, v16
	v_and_b32_e32 v6, 0x80000000, v6
	v_lshl_add_u32 v17, v17, 23, v10
	v_or3_b32 v6, v6, v17, v16
	v_lshrrev_b32_e32 v16, 16, v6
.LBB757_1164:                           ;   in Loop: Header=BB757_788 Depth=1
	s_or_b64 exec, exec, s[18:19]
.LBB757_1165:                           ;   in Loop: Header=BB757_788 Depth=1
	s_or_b64 exec, exec, s[16:17]
.LBB757_1166:                           ;   in Loop: Header=BB757_788 Depth=1
	s_or_b64 exec, exec, s[14:15]
	v_cmp_lt_u32_e32 vcc, s24, v4
	v_mov_b32_e32 v17, 0
	s_and_saveexec_b64 s[14:15], vcc
	s_cbranch_execz .LBB757_787
; %bb.1167:                             ;   in Loop: Header=BB757_788 Depth=1
	v_lshrrev_b32_e32 v6, 24, v4
	v_cmp_ne_u32_e32 vcc, s21, v6
	v_mov_b32_e32 v17, 0xffff8000
	s_and_saveexec_b64 s[16:17], vcc
	s_cbranch_execz .LBB757_786
; %bb.1168:                             ;   in Loop: Header=BB757_788 Depth=1
	v_bfe_u32 v4, v4, 24, 7
	v_cmp_ne_u32_e32 vcc, s23, v4
	v_mov_b32_e32 v17, 0x7f80
	s_and_saveexec_b64 s[18:19], vcc
	s_cbranch_execz .LBB757_785
; %bb.1169:                             ;   in Loop: Header=BB757_788 Depth=1
	v_and_b32_e32 v17, 7, v6
	v_ffbh_u32_e32 v18, v17
	v_min_u32_e32 v21, 32, v18
	v_subrev_u32_e32 v18, 28, v21
	v_lshlrev_b64 v[18:19], v18, v[6:7]
	v_lshrrev_b32_e32 v20, 3, v4
	v_sub_u32_e32 v19, 29, v21
	v_and_b32_e32 v18, 7, v18
	v_cmp_gt_u32_e32 vcc, 8, v4
	v_cndmask_b32_e32 v4, v20, v19, vcc
	v_cndmask_b32_e32 v17, v17, v18, vcc
	v_lshlrev_b32_e32 v6, 24, v6
	v_lshlrev_b32_e32 v17, 20, v17
	v_and_b32_e32 v6, 0x80000000, v6
	v_lshl_add_u32 v4, v4, 23, v10
	v_or3_b32 v4, v6, v4, v17
	v_lshrrev_b32_e32 v17, 16, v4
	s_branch .LBB757_785
.LBB757_1170:
	s_mov_b64 s[12:13], 0
                                        ; implicit-def: $sgpr38_sgpr39
	s_branch .LBB757_2
.LBB757_1171:
	s_or_b64 exec, exec, s[6:7]
	v_cmp_gt_u32_e32 vcc, 64, v0
	s_waitcnt lgkmcnt(0)
	s_barrier
	s_and_saveexec_b64 s[6:7], vcc
	s_cbranch_execz .LBB757_1173
; %bb.1172:
	v_mul_u32_u24_e32 v6, 40, v1
	ds_read2_b64 v[2:5], v6 offset1:1
	ds_read2_b64 v[6:9], v6 offset0:2 offset1:3
	s_mov_b32 s5, 0
	s_lshl_b32 s4, s4, 7
	s_lshl_b64 s[6:7], s[4:5], 1
	s_waitcnt lgkmcnt(1)
	v_lshlrev_b32_e32 v10, 16, v2
	v_and_b32_e32 v2, 0xffff0000, v2
	v_add_f32_e32 v2, 0, v2
	v_lshlrev_b32_e32 v11, 16, v3
	v_and_b32_e32 v3, 0xffff0000, v3
	v_and_b32_e32 v2, 0xffff0000, v2
	v_add_f32_e32 v11, 0, v11
	v_add_f32_e32 v3, 0, v3
	v_lshlrev_b32_e32 v12, 16, v4
	v_and_b32_e32 v4, 0xffff0000, v4
	v_add_f32_e32 v10, 0, v10
	v_and_b32_e32 v11, 0xffff0000, v11
	v_and_b32_e32 v3, 0xffff0000, v3
	v_add_f32_e32 v2, v2, v4
	v_lshlrev_b32_e32 v4, 16, v5
	v_and_b32_e32 v5, 0xffff0000, v5
	v_and_b32_e32 v10, 0xffff0000, v10
	;; [unrolled: 1-line block ×3, first 2 shown]
	v_add_f32_e32 v4, v11, v4
	v_add_f32_e32 v3, v3, v5
	s_waitcnt lgkmcnt(0)
	v_lshlrev_b32_e32 v5, 16, v6
	v_and_b32_e32 v6, 0xffff0000, v6
	v_add_f32_e32 v10, v10, v12
	v_and_b32_e32 v4, 0xffff0000, v4
	v_add_f32_e32 v2, v2, v6
	v_lshlrev_b32_e32 v6, 16, v7
	v_and_b32_e32 v10, 0xffff0000, v10
	v_and_b32_e32 v3, 0xffff0000, v3
	v_add_f32_e32 v4, v4, v6
	v_and_b32_e32 v6, 0xffff0000, v7
	v_add_f32_e32 v5, v10, v5
	v_add_f32_e32 v3, v3, v6
	v_and_b32_e32 v5, 0xffff0000, v5
	v_and_b32_e32 v6, 0xffff0000, v3
	v_lshlrev_b32_e32 v3, 16, v8
	v_and_b32_e32 v2, 0xffff0000, v2
	v_add_f32_e32 v10, v5, v3
	v_and_b32_e32 v3, 0xffff0000, v8
	v_and_b32_e32 v4, 0xffff0000, v4
	v_add_f32_e32 v11, v2, v3
	v_lshlrev_b32_e32 v2, 16, v9
	v_add_f32_e32 v12, v4, v2
	v_mov_b32_e32 v2, 0xa00
	v_mad_u32_u24 v2, v1, 40, v2
	ds_read2_b64 v[2:5], v2 offset1:1
	v_and_b32_e32 v7, 0xffff0000, v9
	v_add_f32_e32 v13, v6, v7
	v_mov_b32_e32 v6, 0xa10
	v_mad_u32_u24 v1, v1, 40, v6
	ds_read2_b64 v[6:9], v1 offset1:1
	s_waitcnt lgkmcnt(1)
	v_lshlrev_b32_e32 v1, 16, v2
	v_and_b32_e32 v2, 0xffff0000, v2
	v_add_f32_e32 v1, 0, v1
	v_add_f32_e32 v2, 0, v2
	v_lshlrev_b32_e32 v14, 16, v3
	v_and_b32_e32 v3, 0xffff0000, v3
	v_and_b32_e32 v1, 0xffff0000, v1
	;; [unrolled: 1-line block ×3, first 2 shown]
	v_add_f32_e32 v3, 0, v3
	v_lshlrev_b32_e32 v15, 16, v4
	v_and_b32_e32 v4, 0xffff0000, v4
	v_add_f32_e32 v14, 0, v14
	v_and_b32_e32 v3, 0xffff0000, v3
	v_add_f32_e32 v1, v1, v15
	v_add_f32_e32 v2, v2, v4
	v_lshlrev_b32_e32 v4, 16, v5
	v_and_b32_e32 v5, 0xffff0000, v5
	v_and_b32_e32 v14, 0xffff0000, v14
	;; [unrolled: 1-line block ×3, first 2 shown]
	v_add_f32_e32 v3, v3, v5
	s_waitcnt lgkmcnt(0)
	v_lshlrev_b32_e32 v5, 16, v6
	v_and_b32_e32 v2, 0xffff0000, v2
	v_add_f32_e32 v4, v14, v4
	v_add_f32_e32 v1, v1, v5
	v_and_b32_e32 v5, 0xffff0000, v6
	v_and_b32_e32 v4, 0xffff0000, v4
	v_add_f32_e32 v2, v2, v5
	v_lshlrev_b32_e32 v5, 16, v7
	s_add_u32 s6, s30, s6
	v_and_b32_e32 v3, 0xffff0000, v3
	v_add_f32_e32 v4, v4, v5
	v_and_b32_e32 v5, 0xffff0000, v7
	s_addc_u32 s7, s31, s7
	s_lshl_b32 s4, s28, 7
	v_and_b32_e32 v1, 0xffff0000, v1
	v_add_f32_e32 v3, v3, v5
	v_lshlrev_b32_e32 v5, 16, v8
	s_lshl_b64 s[4:5], s[4:5], 1
	v_and_b32_e32 v2, 0xffff0000, v2
	v_add_f32_e32 v14, v1, v5
	v_and_b32_e32 v1, 0xffff0000, v8
	s_add_u32 s4, s6, s4
	v_and_b32_e32 v4, 0xffff0000, v4
	v_add_f32_e32 v15, v2, v1
	v_lshlrev_b32_e32 v1, 16, v9
	s_addc_u32 s5, s7, s5
	s_lshl_b32 s6, s48, 7
	v_and_b32_e32 v3, 0xffff0000, v3
	v_add_f32_e32 v16, v4, v1
	v_and_b32_e32 v1, 0xffff0000, v9
	s_mul_i32 s7, s6, s33
	v_add_f32_e32 v17, v3, v1
	v_or_b32_e32 v2, s7, v0
	v_mov_b32_e32 v3, 0
	v_lshlrev_b64 v[4:5], 1, v[2:3]
	s_add_i32 s7, s7, s6
	v_mov_b32_e32 v1, s5
	v_add_co_u32_e32 v4, vcc, s4, v4
	v_or_b32_e32 v2, s7, v0
	v_addc_co_u32_e32 v5, vcc, v1, v5, vcc
	v_lshlrev_b64 v[6:7], 1, v[2:3]
	s_add_i32 s7, s7, s6
	v_add_co_u32_e32 v6, vcc, s4, v6
	v_or_b32_e32 v2, s7, v0
	v_addc_co_u32_e32 v7, vcc, v1, v7, vcc
	v_lshlrev_b64 v[8:9], 1, v[2:3]
	s_add_i32 s7, s7, s6
	v_add_co_u32_e32 v8, vcc, s4, v8
	v_or_b32_e32 v2, s7, v0
	v_addc_co_u32_e32 v9, vcc, v1, v9, vcc
	v_lshlrev_b64 v[0:1], 1, v[2:3]
	v_mov_b32_e32 v2, s5
	v_add_co_u32_e32 v0, vcc, s4, v0
	v_addc_co_u32_e32 v1, vcc, v2, v1, vcc
	global_store_short_d16_hi v[4:5], v10, off
	global_store_short_d16_hi v[6:7], v11, off
	;; [unrolled: 1-line block ×4, first 2 shown]
	global_store_short_d16_hi v[4:5], v14, off offset:128
	global_store_short_d16_hi v[6:7], v15, off offset:128
	;; [unrolled: 1-line block ×4, first 2 shown]
.LBB757_1173:
	s_endpgm
	.section	.rodata,"a",@progbits
	.p2align	6, 0x0
	.amdhsa_kernel _Z38paged_attention_ll4mi_QKV_mfma4_kernelI14__hip_bfloat16hLN4vllm18Fp8KVCacheDataTypeE1ES0_Li16ELi128ELi256ELb1ELi4EEvPKT_PKT0_S8_ifPKiSA_SA_iPKfiiiPfSD_PS3_PT2_iSC_SC_
		.amdhsa_group_segment_fixed_size 5280
		.amdhsa_private_segment_fixed_size 144
		.amdhsa_kernarg_size 400
		.amdhsa_user_sgpr_count 8
		.amdhsa_user_sgpr_private_segment_buffer 1
		.amdhsa_user_sgpr_dispatch_ptr 0
		.amdhsa_user_sgpr_queue_ptr 0
		.amdhsa_user_sgpr_kernarg_segment_ptr 1
		.amdhsa_user_sgpr_dispatch_id 0
		.amdhsa_user_sgpr_flat_scratch_init 1
		.amdhsa_user_sgpr_kernarg_preload_length 0
		.amdhsa_user_sgpr_kernarg_preload_offset 0
		.amdhsa_user_sgpr_private_segment_size 0
		.amdhsa_uses_dynamic_stack 0
		.amdhsa_system_sgpr_private_segment_wavefront_offset 1
		.amdhsa_system_sgpr_workgroup_id_x 1
		.amdhsa_system_sgpr_workgroup_id_y 1
		.amdhsa_system_sgpr_workgroup_id_z 1
		.amdhsa_system_sgpr_workgroup_info 0
		.amdhsa_system_vgpr_workitem_id 0
		.amdhsa_next_free_vgpr 76
		.amdhsa_next_free_sgpr 49
		.amdhsa_accum_offset 72
		.amdhsa_reserve_vcc 1
		.amdhsa_reserve_flat_scratch 0
		.amdhsa_float_round_mode_32 0
		.amdhsa_float_round_mode_16_64 0
		.amdhsa_float_denorm_mode_32 3
		.amdhsa_float_denorm_mode_16_64 3
		.amdhsa_dx10_clamp 1
		.amdhsa_ieee_mode 1
		.amdhsa_fp16_overflow 0
		.amdhsa_tg_split 0
		.amdhsa_exception_fp_ieee_invalid_op 0
		.amdhsa_exception_fp_denorm_src 0
		.amdhsa_exception_fp_ieee_div_zero 0
		.amdhsa_exception_fp_ieee_overflow 0
		.amdhsa_exception_fp_ieee_underflow 0
		.amdhsa_exception_fp_ieee_inexact 0
		.amdhsa_exception_int_div_zero 0
	.end_amdhsa_kernel
	.section	.text._Z38paged_attention_ll4mi_QKV_mfma4_kernelI14__hip_bfloat16hLN4vllm18Fp8KVCacheDataTypeE1ES0_Li16ELi128ELi256ELb1ELi4EEvPKT_PKT0_S8_ifPKiSA_SA_iPKfiiiPfSD_PS3_PT2_iSC_SC_,"axG",@progbits,_Z38paged_attention_ll4mi_QKV_mfma4_kernelI14__hip_bfloat16hLN4vllm18Fp8KVCacheDataTypeE1ES0_Li16ELi128ELi256ELb1ELi4EEvPKT_PKT0_S8_ifPKiSA_SA_iPKfiiiPfSD_PS3_PT2_iSC_SC_,comdat
.Lfunc_end757:
	.size	_Z38paged_attention_ll4mi_QKV_mfma4_kernelI14__hip_bfloat16hLN4vllm18Fp8KVCacheDataTypeE1ES0_Li16ELi128ELi256ELb1ELi4EEvPKT_PKT0_S8_ifPKiSA_SA_iPKfiiiPfSD_PS3_PT2_iSC_SC_, .Lfunc_end757-_Z38paged_attention_ll4mi_QKV_mfma4_kernelI14__hip_bfloat16hLN4vllm18Fp8KVCacheDataTypeE1ES0_Li16ELi128ELi256ELb1ELi4EEvPKT_PKT0_S8_ifPKiSA_SA_iPKfiiiPfSD_PS3_PT2_iSC_SC_
                                        ; -- End function
	.section	.AMDGPU.csdata,"",@progbits
; Kernel info:
; codeLenInByte = 40108
; NumSgprs: 53
; NumVgprs: 72
; NumAgprs: 4
; TotalNumVgprs: 76
; ScratchSize: 144
; MemoryBound: 0
; FloatMode: 240
; IeeeMode: 1
; LDSByteSize: 5280 bytes/workgroup (compile time only)
; SGPRBlocks: 6
; VGPRBlocks: 9
; NumSGPRsForWavesPerEU: 53
; NumVGPRsForWavesPerEU: 76
; AccumOffset: 72
; Occupancy: 6
; WaveLimiterHint : 1
; COMPUTE_PGM_RSRC2:SCRATCH_EN: 1
; COMPUTE_PGM_RSRC2:USER_SGPR: 8
; COMPUTE_PGM_RSRC2:TRAP_HANDLER: 0
; COMPUTE_PGM_RSRC2:TGID_X_EN: 1
; COMPUTE_PGM_RSRC2:TGID_Y_EN: 1
; COMPUTE_PGM_RSRC2:TGID_Z_EN: 1
; COMPUTE_PGM_RSRC2:TIDIG_COMP_CNT: 0
; COMPUTE_PGM_RSRC3_GFX90A:ACCUM_OFFSET: 17
; COMPUTE_PGM_RSRC3_GFX90A:TG_SPLIT: 0
	.section	.text._Z39paged_attention_ll4mi_QKV_mfma16_kernelI14__hip_bfloat16hLN4vllm18Fp8KVCacheDataTypeE1ES0_Li16ELi128ELi256ELb1ELi5EL8MFMAType1EEvPKT_PKT0_S9_ifPKiSB_SB_iPKfiiiPfSE_PS4_PT2_iSD_SD_,"axG",@progbits,_Z39paged_attention_ll4mi_QKV_mfma16_kernelI14__hip_bfloat16hLN4vllm18Fp8KVCacheDataTypeE1ES0_Li16ELi128ELi256ELb1ELi5EL8MFMAType1EEvPKT_PKT0_S9_ifPKiSB_SB_iPKfiiiPfSE_PS4_PT2_iSD_SD_,comdat
	.protected	_Z39paged_attention_ll4mi_QKV_mfma16_kernelI14__hip_bfloat16hLN4vllm18Fp8KVCacheDataTypeE1ES0_Li16ELi128ELi256ELb1ELi5EL8MFMAType1EEvPKT_PKT0_S9_ifPKiSB_SB_iPKfiiiPfSE_PS4_PT2_iSD_SD_ ; -- Begin function _Z39paged_attention_ll4mi_QKV_mfma16_kernelI14__hip_bfloat16hLN4vllm18Fp8KVCacheDataTypeE1ES0_Li16ELi128ELi256ELb1ELi5EL8MFMAType1EEvPKT_PKT0_S9_ifPKiSB_SB_iPKfiiiPfSE_PS4_PT2_iSD_SD_
	.globl	_Z39paged_attention_ll4mi_QKV_mfma16_kernelI14__hip_bfloat16hLN4vllm18Fp8KVCacheDataTypeE1ES0_Li16ELi128ELi256ELb1ELi5EL8MFMAType1EEvPKT_PKT0_S9_ifPKiSB_SB_iPKfiiiPfSE_PS4_PT2_iSD_SD_
	.p2align	8
	.type	_Z39paged_attention_ll4mi_QKV_mfma16_kernelI14__hip_bfloat16hLN4vllm18Fp8KVCacheDataTypeE1ES0_Li16ELi128ELi256ELb1ELi5EL8MFMAType1EEvPKT_PKT0_S9_ifPKiSB_SB_iPKfiiiPfSE_PS4_PT2_iSD_SD_,@function
_Z39paged_attention_ll4mi_QKV_mfma16_kernelI14__hip_bfloat16hLN4vllm18Fp8KVCacheDataTypeE1ES0_Li16ELi128ELi256ELb1ELi5EL8MFMAType1EEvPKT_PKT0_S9_ifPKiSB_SB_iPKfiiiPfSE_PS4_PT2_iSD_SD_: ; @_Z39paged_attention_ll4mi_QKV_mfma16_kernelI14__hip_bfloat16hLN4vllm18Fp8KVCacheDataTypeE1ES0_Li16ELi128ELi256ELb1ELi5EL8MFMAType1EEvPKT_PKT0_S9_ifPKiSB_SB_iPKfiiiPfSE_PS4_PT2_iSD_SD_
; %bb.0:
	s_load_dwordx2 s[12:13], s[4:5], 0x30
	s_add_u32 flat_scratch_lo, s6, s11
	s_addc_u32 flat_scratch_hi, s7, 0
	s_add_u32 s0, s0, s11
	s_addc_u32 s1, s1, 0
	s_waitcnt lgkmcnt(0)
	s_cmp_lg_u64 s[12:13], 0
	s_cselect_b64 s[14:15], -1, 0
	s_mov_b32 s6, s9
	s_mov_b64 s[16:17], 0
	s_and_b64 vcc, exec, s[14:15]
	s_mov_b32 s32, 0
	s_cbranch_vccz .LBB758_11
; %bb.1:
	s_add_i32 s18, s8, 1
	s_mov_b32 s19, 0
	s_lshl_b64 s[20:21], s[18:19], 2
	s_add_u32 s20, s12, s20
	s_mov_b32 s9, s19
	s_addc_u32 s21, s13, s21
	s_lshl_b64 s[18:19], s[8:9], 2
	s_add_u32 s18, s12, s18
	s_addc_u32 s19, s13, s19
	s_load_dword s7, s[20:21], 0x0
	s_load_dword s11, s[18:19], 0x0
	s_waitcnt lgkmcnt(0)
	s_sub_i32 s7, s7, s11
	s_cmp_eq_u32 s7, 1
	s_cselect_b64 s[18:19], -1, 0
	s_andn2_b64 vcc, exec, s[16:17]
	s_cbranch_vccnz .LBB758_3
.LBB758_2:
	s_mov_b32 s9, 0
	s_mov_b64 s[18:19], -1
.LBB758_3:
	s_andn2_b64 vcc, exec, s[18:19]
	s_cbranch_vccnz .LBB758_10
; %bb.4:
	s_load_dwordx2 s[18:19], s[4:5], 0x28
	s_lshl_b64 s[16:17], s[8:9], 2
	s_waitcnt lgkmcnt(0)
	s_add_u32 s18, s18, s16
	s_addc_u32 s19, s19, s17
	s_load_dword s7, s[18:19], 0x0
	s_lshl_b32 s6, s6, 8
	s_waitcnt lgkmcnt(0)
	s_cmp_ge_i32 s6, s7
	s_cbranch_scc1 .LBB758_10
; %bb.5:
	s_andn2_b64 vcc, exec, s[14:15]
	s_cbranch_vccnz .LBB758_7
; %bb.6:
	s_add_u32 s6, s12, s16
	s_addc_u32 s7, s13, s17
	s_load_dword s8, s[6:7], 0x0
.LBB758_7:
	s_movk_i32 s6, 0x50
	v_cmp_gt_u32_e32 vcc, s6, v0
	s_and_saveexec_b64 s[6:7], vcc
	s_cbranch_execz .LBB758_9
; %bb.8:
	s_load_dword s11, s[4:5], 0x48
	s_load_dwordx2 s[12:13], s[4:5], 0x0
	v_lshrrev_b32_e32 v1, 4, v0
	s_mul_i32 s10, s10, 5
	v_add_lshl_u32 v2, v1, s10, 7
	s_waitcnt lgkmcnt(0)
	s_ashr_i32 s9, s11, 31
	s_mul_hi_u32 s14, s8, s11
	s_mul_i32 s9, s8, s9
	s_add_i32 s9, s14, s9
	s_mul_i32 s8, s8, s11
	s_lshl_b64 s[8:9], s[8:9], 1
	s_add_u32 s8, s12, s8
	v_ashrrev_i32_e32 v3, 31, v2
	s_addc_u32 s9, s13, s9
	v_lshlrev_b64 v[2:3], 1, v[2:3]
	v_and_b32_e32 v4, 15, v0
	v_mov_b32_e32 v5, s9
	v_add_co_u32_e32 v2, vcc, s8, v2
	v_addc_co_u32_e32 v3, vcc, v5, v3, vcc
	v_lshlrev_b32_e32 v4, 4, v4
	v_add_co_u32_e32 v2, vcc, v2, v4
	v_addc_co_u32_e32 v3, vcc, 0, v3, vcc
	global_load_dwordx4 v[2:5], v[2:3], off
	v_lshlrev_b32_e32 v6, 4, v0
	v_lshlrev_b32_e32 v0, 8, v0
	v_and_b32_e32 v6, 16, v6
	v_lshlrev_b32_e32 v1, 5, v1
	v_and_b32_e32 v0, 0xe00, v0
	v_or3_b32 v0, v0, v1, v6
	s_waitcnt vmcnt(0)
	ds_write_b128 v0, v[2:5]
.LBB758_9:
	s_or_b64 exec, exec, s[6:7]
	s_waitcnt lgkmcnt(0)
	s_add_u32 s8, s4, 0x90
	s_addc_u32 s9, s5, 0
	s_getpc_b64 s[4:5]
	s_add_u32 s4, s4, __PRETTY_FUNCTION__._Z39paged_attention_ll4mi_QKV_mfma16_kernelI14__hip_bfloat16hLN4vllm18Fp8KVCacheDataTypeE1ES0_Li16ELi128ELi256ELb1ELi5EL8MFMAType1EEvPKT_PKT0_S9_ifPKiSB_SB_iPKfiiiPfSE_PS4_PT2_iSD_SD_@rel32@lo+4
	s_addc_u32 s5, s5, __PRETTY_FUNCTION__._Z39paged_attention_ll4mi_QKV_mfma16_kernelI14__hip_bfloat16hLN4vllm18Fp8KVCacheDataTypeE1ES0_Li16ELi128ELi256ELb1ELi5EL8MFMAType1EEvPKT_PKT0_S9_ifPKiSB_SB_iPKfiiiPfSE_PS4_PT2_iSD_SD_@rel32@hi+12
	v_mov_b32_e32 v0, 0x288
	v_mov_b32_e32 v1, s4
	;; [unrolled: 1-line block ×3, first 2 shown]
	s_barrier
	s_getpc_b64 s[6:7]
	s_add_u32 s6, s6, __assert_fail@rel32@lo+4
	s_addc_u32 s7, s7, __assert_fail@rel32@hi+12
	s_swappc_b64 s[30:31], s[6:7]
	; divergent unreachable
.LBB758_10:
	s_endpgm
.LBB758_11:
	s_mov_b64 s[18:19], 0
	s_branch .LBB758_2
	.section	.rodata,"a",@progbits
	.p2align	6, 0x0
	.amdhsa_kernel _Z39paged_attention_ll4mi_QKV_mfma16_kernelI14__hip_bfloat16hLN4vllm18Fp8KVCacheDataTypeE1ES0_Li16ELi128ELi256ELb1ELi5EL8MFMAType1EEvPKT_PKT0_S9_ifPKiSB_SB_iPKfiiiPfSE_PS4_PT2_iSD_SD_
		.amdhsa_group_segment_fixed_size 8192
		.amdhsa_private_segment_fixed_size 64
		.amdhsa_kernarg_size 400
		.amdhsa_user_sgpr_count 8
		.amdhsa_user_sgpr_private_segment_buffer 1
		.amdhsa_user_sgpr_dispatch_ptr 0
		.amdhsa_user_sgpr_queue_ptr 0
		.amdhsa_user_sgpr_kernarg_segment_ptr 1
		.amdhsa_user_sgpr_dispatch_id 0
		.amdhsa_user_sgpr_flat_scratch_init 1
		.amdhsa_user_sgpr_kernarg_preload_length 0
		.amdhsa_user_sgpr_kernarg_preload_offset 0
		.amdhsa_user_sgpr_private_segment_size 0
		.amdhsa_uses_dynamic_stack 0
		.amdhsa_system_sgpr_private_segment_wavefront_offset 1
		.amdhsa_system_sgpr_workgroup_id_x 1
		.amdhsa_system_sgpr_workgroup_id_y 1
		.amdhsa_system_sgpr_workgroup_id_z 1
		.amdhsa_system_sgpr_workgroup_info 0
		.amdhsa_system_vgpr_workitem_id 0
		.amdhsa_next_free_vgpr 45
		.amdhsa_next_free_sgpr 34
		.amdhsa_accum_offset 44
		.amdhsa_reserve_vcc 1
		.amdhsa_reserve_flat_scratch 1
		.amdhsa_float_round_mode_32 0
		.amdhsa_float_round_mode_16_64 0
		.amdhsa_float_denorm_mode_32 3
		.amdhsa_float_denorm_mode_16_64 3
		.amdhsa_dx10_clamp 1
		.amdhsa_ieee_mode 1
		.amdhsa_fp16_overflow 0
		.amdhsa_tg_split 0
		.amdhsa_exception_fp_ieee_invalid_op 0
		.amdhsa_exception_fp_denorm_src 0
		.amdhsa_exception_fp_ieee_div_zero 0
		.amdhsa_exception_fp_ieee_overflow 0
		.amdhsa_exception_fp_ieee_underflow 0
		.amdhsa_exception_fp_ieee_inexact 0
		.amdhsa_exception_int_div_zero 0
	.end_amdhsa_kernel
	.section	.text._Z39paged_attention_ll4mi_QKV_mfma16_kernelI14__hip_bfloat16hLN4vllm18Fp8KVCacheDataTypeE1ES0_Li16ELi128ELi256ELb1ELi5EL8MFMAType1EEvPKT_PKT0_S9_ifPKiSB_SB_iPKfiiiPfSE_PS4_PT2_iSD_SD_,"axG",@progbits,_Z39paged_attention_ll4mi_QKV_mfma16_kernelI14__hip_bfloat16hLN4vllm18Fp8KVCacheDataTypeE1ES0_Li16ELi128ELi256ELb1ELi5EL8MFMAType1EEvPKT_PKT0_S9_ifPKiSB_SB_iPKfiiiPfSE_PS4_PT2_iSD_SD_,comdat
.Lfunc_end758:
	.size	_Z39paged_attention_ll4mi_QKV_mfma16_kernelI14__hip_bfloat16hLN4vllm18Fp8KVCacheDataTypeE1ES0_Li16ELi128ELi256ELb1ELi5EL8MFMAType1EEvPKT_PKT0_S9_ifPKiSB_SB_iPKfiiiPfSE_PS4_PT2_iSD_SD_, .Lfunc_end758-_Z39paged_attention_ll4mi_QKV_mfma16_kernelI14__hip_bfloat16hLN4vllm18Fp8KVCacheDataTypeE1ES0_Li16ELi128ELi256ELb1ELi5EL8MFMAType1EEvPKT_PKT0_S9_ifPKiSB_SB_iPKfiiiPfSE_PS4_PT2_iSD_SD_
                                        ; -- End function
	.section	.AMDGPU.csdata,"",@progbits
; Kernel info:
; codeLenInByte = 492
; NumSgprs: 40
; NumVgprs: 42
; NumAgprs: 1
; TotalNumVgprs: 45
; ScratchSize: 64
; MemoryBound: 0
; FloatMode: 240
; IeeeMode: 1
; LDSByteSize: 8192 bytes/workgroup (compile time only)
; SGPRBlocks: 4
; VGPRBlocks: 5
; NumSGPRsForWavesPerEU: 40
; NumVGPRsForWavesPerEU: 45
; AccumOffset: 44
; Occupancy: 8
; WaveLimiterHint : 1
; COMPUTE_PGM_RSRC2:SCRATCH_EN: 1
; COMPUTE_PGM_RSRC2:USER_SGPR: 8
; COMPUTE_PGM_RSRC2:TRAP_HANDLER: 0
; COMPUTE_PGM_RSRC2:TGID_X_EN: 1
; COMPUTE_PGM_RSRC2:TGID_Y_EN: 1
; COMPUTE_PGM_RSRC2:TGID_Z_EN: 1
; COMPUTE_PGM_RSRC2:TIDIG_COMP_CNT: 0
; COMPUTE_PGM_RSRC3_GFX90A:ACCUM_OFFSET: 10
; COMPUTE_PGM_RSRC3_GFX90A:TG_SPLIT: 0
	.section	.text._Z39paged_attention_ll4mi_QKV_mfma16_kernelI14__hip_bfloat16hLN4vllm18Fp8KVCacheDataTypeE1ES0_Li16ELi128ELi256ELb1ELi6EL8MFMAType1EEvPKT_PKT0_S9_ifPKiSB_SB_iPKfiiiPfSE_PS4_PT2_iSD_SD_,"axG",@progbits,_Z39paged_attention_ll4mi_QKV_mfma16_kernelI14__hip_bfloat16hLN4vllm18Fp8KVCacheDataTypeE1ES0_Li16ELi128ELi256ELb1ELi6EL8MFMAType1EEvPKT_PKT0_S9_ifPKiSB_SB_iPKfiiiPfSE_PS4_PT2_iSD_SD_,comdat
	.protected	_Z39paged_attention_ll4mi_QKV_mfma16_kernelI14__hip_bfloat16hLN4vllm18Fp8KVCacheDataTypeE1ES0_Li16ELi128ELi256ELb1ELi6EL8MFMAType1EEvPKT_PKT0_S9_ifPKiSB_SB_iPKfiiiPfSE_PS4_PT2_iSD_SD_ ; -- Begin function _Z39paged_attention_ll4mi_QKV_mfma16_kernelI14__hip_bfloat16hLN4vllm18Fp8KVCacheDataTypeE1ES0_Li16ELi128ELi256ELb1ELi6EL8MFMAType1EEvPKT_PKT0_S9_ifPKiSB_SB_iPKfiiiPfSE_PS4_PT2_iSD_SD_
	.globl	_Z39paged_attention_ll4mi_QKV_mfma16_kernelI14__hip_bfloat16hLN4vllm18Fp8KVCacheDataTypeE1ES0_Li16ELi128ELi256ELb1ELi6EL8MFMAType1EEvPKT_PKT0_S9_ifPKiSB_SB_iPKfiiiPfSE_PS4_PT2_iSD_SD_
	.p2align	8
	.type	_Z39paged_attention_ll4mi_QKV_mfma16_kernelI14__hip_bfloat16hLN4vllm18Fp8KVCacheDataTypeE1ES0_Li16ELi128ELi256ELb1ELi6EL8MFMAType1EEvPKT_PKT0_S9_ifPKiSB_SB_iPKfiiiPfSE_PS4_PT2_iSD_SD_,@function
_Z39paged_attention_ll4mi_QKV_mfma16_kernelI14__hip_bfloat16hLN4vllm18Fp8KVCacheDataTypeE1ES0_Li16ELi128ELi256ELb1ELi6EL8MFMAType1EEvPKT_PKT0_S9_ifPKiSB_SB_iPKfiiiPfSE_PS4_PT2_iSD_SD_: ; @_Z39paged_attention_ll4mi_QKV_mfma16_kernelI14__hip_bfloat16hLN4vllm18Fp8KVCacheDataTypeE1ES0_Li16ELi128ELi256ELb1ELi6EL8MFMAType1EEvPKT_PKT0_S9_ifPKiSB_SB_iPKfiiiPfSE_PS4_PT2_iSD_SD_
; %bb.0:
	s_load_dwordx2 s[12:13], s[4:5], 0x30
	s_add_u32 flat_scratch_lo, s6, s11
	s_addc_u32 flat_scratch_hi, s7, 0
	s_add_u32 s0, s0, s11
	s_addc_u32 s1, s1, 0
	s_waitcnt lgkmcnt(0)
	s_cmp_lg_u64 s[12:13], 0
	s_cselect_b64 s[14:15], -1, 0
	s_mov_b32 s6, s9
	s_mov_b64 s[16:17], 0
	s_and_b64 vcc, exec, s[14:15]
	s_mov_b32 s32, 0
	s_cbranch_vccz .LBB759_11
; %bb.1:
	s_add_i32 s18, s8, 1
	s_mov_b32 s19, 0
	s_lshl_b64 s[20:21], s[18:19], 2
	s_add_u32 s20, s12, s20
	s_mov_b32 s9, s19
	s_addc_u32 s21, s13, s21
	s_lshl_b64 s[18:19], s[8:9], 2
	s_add_u32 s18, s12, s18
	s_addc_u32 s19, s13, s19
	s_load_dword s7, s[20:21], 0x0
	s_load_dword s11, s[18:19], 0x0
	s_waitcnt lgkmcnt(0)
	s_sub_i32 s7, s7, s11
	s_cmp_eq_u32 s7, 1
	s_cselect_b64 s[18:19], -1, 0
	s_andn2_b64 vcc, exec, s[16:17]
	s_cbranch_vccnz .LBB759_3
.LBB759_2:
	s_mov_b32 s9, 0
	s_mov_b64 s[18:19], -1
.LBB759_3:
	s_andn2_b64 vcc, exec, s[18:19]
	s_cbranch_vccnz .LBB759_10
; %bb.4:
	s_load_dwordx2 s[18:19], s[4:5], 0x28
	s_lshl_b64 s[16:17], s[8:9], 2
	s_waitcnt lgkmcnt(0)
	s_add_u32 s18, s18, s16
	s_addc_u32 s19, s19, s17
	s_load_dword s7, s[18:19], 0x0
	s_lshl_b32 s6, s6, 8
	s_waitcnt lgkmcnt(0)
	s_cmp_ge_i32 s6, s7
	s_cbranch_scc1 .LBB759_10
; %bb.5:
	s_andn2_b64 vcc, exec, s[14:15]
	s_cbranch_vccnz .LBB759_7
; %bb.6:
	s_add_u32 s6, s12, s16
	s_addc_u32 s7, s13, s17
	s_load_dword s8, s[6:7], 0x0
.LBB759_7:
	s_movk_i32 s6, 0x60
	v_cmp_gt_u32_e32 vcc, s6, v0
	s_and_saveexec_b64 s[6:7], vcc
	s_cbranch_execz .LBB759_9
; %bb.8:
	s_load_dword s11, s[4:5], 0x48
	s_load_dwordx2 s[12:13], s[4:5], 0x0
	v_lshrrev_b32_e32 v1, 4, v0
	s_mul_i32 s10, s10, 6
	v_add_lshl_u32 v2, v1, s10, 7
	s_waitcnt lgkmcnt(0)
	s_ashr_i32 s9, s11, 31
	s_mul_hi_u32 s14, s8, s11
	s_mul_i32 s9, s8, s9
	s_add_i32 s9, s14, s9
	s_mul_i32 s8, s8, s11
	s_lshl_b64 s[8:9], s[8:9], 1
	s_add_u32 s8, s12, s8
	v_ashrrev_i32_e32 v3, 31, v2
	s_addc_u32 s9, s13, s9
	v_lshlrev_b64 v[2:3], 1, v[2:3]
	v_and_b32_e32 v4, 15, v0
	v_mov_b32_e32 v5, s9
	v_add_co_u32_e32 v2, vcc, s8, v2
	v_addc_co_u32_e32 v3, vcc, v5, v3, vcc
	v_lshlrev_b32_e32 v4, 4, v4
	v_add_co_u32_e32 v2, vcc, v2, v4
	v_addc_co_u32_e32 v3, vcc, 0, v3, vcc
	global_load_dwordx4 v[2:5], v[2:3], off
	v_lshlrev_b32_e32 v6, 4, v0
	v_lshlrev_b32_e32 v0, 8, v0
	v_and_b32_e32 v6, 16, v6
	v_lshlrev_b32_e32 v1, 5, v1
	v_and_b32_e32 v0, 0xe00, v0
	v_or3_b32 v0, v0, v1, v6
	s_waitcnt vmcnt(0)
	ds_write_b128 v0, v[2:5]
.LBB759_9:
	s_or_b64 exec, exec, s[6:7]
	s_waitcnt lgkmcnt(0)
	s_add_u32 s8, s4, 0x90
	s_addc_u32 s9, s5, 0
	s_getpc_b64 s[4:5]
	s_add_u32 s4, s4, __PRETTY_FUNCTION__._Z39paged_attention_ll4mi_QKV_mfma16_kernelI14__hip_bfloat16hLN4vllm18Fp8KVCacheDataTypeE1ES0_Li16ELi128ELi256ELb1ELi6EL8MFMAType1EEvPKT_PKT0_S9_ifPKiSB_SB_iPKfiiiPfSE_PS4_PT2_iSD_SD_@rel32@lo+4
	s_addc_u32 s5, s5, __PRETTY_FUNCTION__._Z39paged_attention_ll4mi_QKV_mfma16_kernelI14__hip_bfloat16hLN4vllm18Fp8KVCacheDataTypeE1ES0_Li16ELi128ELi256ELb1ELi6EL8MFMAType1EEvPKT_PKT0_S9_ifPKiSB_SB_iPKfiiiPfSE_PS4_PT2_iSD_SD_@rel32@hi+12
	v_mov_b32_e32 v0, 0x288
	v_mov_b32_e32 v1, s4
	;; [unrolled: 1-line block ×3, first 2 shown]
	s_barrier
	s_getpc_b64 s[6:7]
	s_add_u32 s6, s6, __assert_fail@rel32@lo+4
	s_addc_u32 s7, s7, __assert_fail@rel32@hi+12
	s_swappc_b64 s[30:31], s[6:7]
	; divergent unreachable
.LBB759_10:
	s_endpgm
.LBB759_11:
	s_mov_b64 s[18:19], 0
	s_branch .LBB759_2
	.section	.rodata,"a",@progbits
	.p2align	6, 0x0
	.amdhsa_kernel _Z39paged_attention_ll4mi_QKV_mfma16_kernelI14__hip_bfloat16hLN4vllm18Fp8KVCacheDataTypeE1ES0_Li16ELi128ELi256ELb1ELi6EL8MFMAType1EEvPKT_PKT0_S9_ifPKiSB_SB_iPKfiiiPfSE_PS4_PT2_iSD_SD_
		.amdhsa_group_segment_fixed_size 8192
		.amdhsa_private_segment_fixed_size 64
		.amdhsa_kernarg_size 400
		.amdhsa_user_sgpr_count 8
		.amdhsa_user_sgpr_private_segment_buffer 1
		.amdhsa_user_sgpr_dispatch_ptr 0
		.amdhsa_user_sgpr_queue_ptr 0
		.amdhsa_user_sgpr_kernarg_segment_ptr 1
		.amdhsa_user_sgpr_dispatch_id 0
		.amdhsa_user_sgpr_flat_scratch_init 1
		.amdhsa_user_sgpr_kernarg_preload_length 0
		.amdhsa_user_sgpr_kernarg_preload_offset 0
		.amdhsa_user_sgpr_private_segment_size 0
		.amdhsa_uses_dynamic_stack 0
		.amdhsa_system_sgpr_private_segment_wavefront_offset 1
		.amdhsa_system_sgpr_workgroup_id_x 1
		.amdhsa_system_sgpr_workgroup_id_y 1
		.amdhsa_system_sgpr_workgroup_id_z 1
		.amdhsa_system_sgpr_workgroup_info 0
		.amdhsa_system_vgpr_workitem_id 0
		.amdhsa_next_free_vgpr 45
		.amdhsa_next_free_sgpr 34
		.amdhsa_accum_offset 44
		.amdhsa_reserve_vcc 1
		.amdhsa_reserve_flat_scratch 1
		.amdhsa_float_round_mode_32 0
		.amdhsa_float_round_mode_16_64 0
		.amdhsa_float_denorm_mode_32 3
		.amdhsa_float_denorm_mode_16_64 3
		.amdhsa_dx10_clamp 1
		.amdhsa_ieee_mode 1
		.amdhsa_fp16_overflow 0
		.amdhsa_tg_split 0
		.amdhsa_exception_fp_ieee_invalid_op 0
		.amdhsa_exception_fp_denorm_src 0
		.amdhsa_exception_fp_ieee_div_zero 0
		.amdhsa_exception_fp_ieee_overflow 0
		.amdhsa_exception_fp_ieee_underflow 0
		.amdhsa_exception_fp_ieee_inexact 0
		.amdhsa_exception_int_div_zero 0
	.end_amdhsa_kernel
	.section	.text._Z39paged_attention_ll4mi_QKV_mfma16_kernelI14__hip_bfloat16hLN4vllm18Fp8KVCacheDataTypeE1ES0_Li16ELi128ELi256ELb1ELi6EL8MFMAType1EEvPKT_PKT0_S9_ifPKiSB_SB_iPKfiiiPfSE_PS4_PT2_iSD_SD_,"axG",@progbits,_Z39paged_attention_ll4mi_QKV_mfma16_kernelI14__hip_bfloat16hLN4vllm18Fp8KVCacheDataTypeE1ES0_Li16ELi128ELi256ELb1ELi6EL8MFMAType1EEvPKT_PKT0_S9_ifPKiSB_SB_iPKfiiiPfSE_PS4_PT2_iSD_SD_,comdat
.Lfunc_end759:
	.size	_Z39paged_attention_ll4mi_QKV_mfma16_kernelI14__hip_bfloat16hLN4vllm18Fp8KVCacheDataTypeE1ES0_Li16ELi128ELi256ELb1ELi6EL8MFMAType1EEvPKT_PKT0_S9_ifPKiSB_SB_iPKfiiiPfSE_PS4_PT2_iSD_SD_, .Lfunc_end759-_Z39paged_attention_ll4mi_QKV_mfma16_kernelI14__hip_bfloat16hLN4vllm18Fp8KVCacheDataTypeE1ES0_Li16ELi128ELi256ELb1ELi6EL8MFMAType1EEvPKT_PKT0_S9_ifPKiSB_SB_iPKfiiiPfSE_PS4_PT2_iSD_SD_
                                        ; -- End function
	.section	.AMDGPU.csdata,"",@progbits
; Kernel info:
; codeLenInByte = 492
; NumSgprs: 40
; NumVgprs: 42
; NumAgprs: 1
; TotalNumVgprs: 45
; ScratchSize: 64
; MemoryBound: 0
; FloatMode: 240
; IeeeMode: 1
; LDSByteSize: 8192 bytes/workgroup (compile time only)
; SGPRBlocks: 4
; VGPRBlocks: 5
; NumSGPRsForWavesPerEU: 40
; NumVGPRsForWavesPerEU: 45
; AccumOffset: 44
; Occupancy: 8
; WaveLimiterHint : 1
; COMPUTE_PGM_RSRC2:SCRATCH_EN: 1
; COMPUTE_PGM_RSRC2:USER_SGPR: 8
; COMPUTE_PGM_RSRC2:TRAP_HANDLER: 0
; COMPUTE_PGM_RSRC2:TGID_X_EN: 1
; COMPUTE_PGM_RSRC2:TGID_Y_EN: 1
; COMPUTE_PGM_RSRC2:TGID_Z_EN: 1
; COMPUTE_PGM_RSRC2:TIDIG_COMP_CNT: 0
; COMPUTE_PGM_RSRC3_GFX90A:ACCUM_OFFSET: 10
; COMPUTE_PGM_RSRC3_GFX90A:TG_SPLIT: 0
	.section	.text._Z39paged_attention_ll4mi_QKV_mfma16_kernelI14__hip_bfloat16hLN4vllm18Fp8KVCacheDataTypeE1ES0_Li16ELi128ELi256ELb1ELi7EL8MFMAType1EEvPKT_PKT0_S9_ifPKiSB_SB_iPKfiiiPfSE_PS4_PT2_iSD_SD_,"axG",@progbits,_Z39paged_attention_ll4mi_QKV_mfma16_kernelI14__hip_bfloat16hLN4vllm18Fp8KVCacheDataTypeE1ES0_Li16ELi128ELi256ELb1ELi7EL8MFMAType1EEvPKT_PKT0_S9_ifPKiSB_SB_iPKfiiiPfSE_PS4_PT2_iSD_SD_,comdat
	.protected	_Z39paged_attention_ll4mi_QKV_mfma16_kernelI14__hip_bfloat16hLN4vllm18Fp8KVCacheDataTypeE1ES0_Li16ELi128ELi256ELb1ELi7EL8MFMAType1EEvPKT_PKT0_S9_ifPKiSB_SB_iPKfiiiPfSE_PS4_PT2_iSD_SD_ ; -- Begin function _Z39paged_attention_ll4mi_QKV_mfma16_kernelI14__hip_bfloat16hLN4vllm18Fp8KVCacheDataTypeE1ES0_Li16ELi128ELi256ELb1ELi7EL8MFMAType1EEvPKT_PKT0_S9_ifPKiSB_SB_iPKfiiiPfSE_PS4_PT2_iSD_SD_
	.globl	_Z39paged_attention_ll4mi_QKV_mfma16_kernelI14__hip_bfloat16hLN4vllm18Fp8KVCacheDataTypeE1ES0_Li16ELi128ELi256ELb1ELi7EL8MFMAType1EEvPKT_PKT0_S9_ifPKiSB_SB_iPKfiiiPfSE_PS4_PT2_iSD_SD_
	.p2align	8
	.type	_Z39paged_attention_ll4mi_QKV_mfma16_kernelI14__hip_bfloat16hLN4vllm18Fp8KVCacheDataTypeE1ES0_Li16ELi128ELi256ELb1ELi7EL8MFMAType1EEvPKT_PKT0_S9_ifPKiSB_SB_iPKfiiiPfSE_PS4_PT2_iSD_SD_,@function
_Z39paged_attention_ll4mi_QKV_mfma16_kernelI14__hip_bfloat16hLN4vllm18Fp8KVCacheDataTypeE1ES0_Li16ELi128ELi256ELb1ELi7EL8MFMAType1EEvPKT_PKT0_S9_ifPKiSB_SB_iPKfiiiPfSE_PS4_PT2_iSD_SD_: ; @_Z39paged_attention_ll4mi_QKV_mfma16_kernelI14__hip_bfloat16hLN4vllm18Fp8KVCacheDataTypeE1ES0_Li16ELi128ELi256ELb1ELi7EL8MFMAType1EEvPKT_PKT0_S9_ifPKiSB_SB_iPKfiiiPfSE_PS4_PT2_iSD_SD_
; %bb.0:
	s_load_dwordx2 s[12:13], s[4:5], 0x30
	s_add_u32 flat_scratch_lo, s6, s11
	s_addc_u32 flat_scratch_hi, s7, 0
	s_add_u32 s0, s0, s11
	s_addc_u32 s1, s1, 0
	s_waitcnt lgkmcnt(0)
	s_cmp_lg_u64 s[12:13], 0
	s_cselect_b64 s[14:15], -1, 0
	s_mov_b32 s6, s9
	s_mov_b64 s[16:17], 0
	s_and_b64 vcc, exec, s[14:15]
	s_mov_b32 s32, 0
	s_cbranch_vccz .LBB760_11
; %bb.1:
	s_add_i32 s18, s8, 1
	s_mov_b32 s19, 0
	s_lshl_b64 s[20:21], s[18:19], 2
	s_add_u32 s20, s12, s20
	s_mov_b32 s9, s19
	s_addc_u32 s21, s13, s21
	s_lshl_b64 s[18:19], s[8:9], 2
	s_add_u32 s18, s12, s18
	s_addc_u32 s19, s13, s19
	s_load_dword s7, s[20:21], 0x0
	s_load_dword s11, s[18:19], 0x0
	s_waitcnt lgkmcnt(0)
	s_sub_i32 s7, s7, s11
	s_cmp_eq_u32 s7, 1
	s_cselect_b64 s[18:19], -1, 0
	s_andn2_b64 vcc, exec, s[16:17]
	s_cbranch_vccnz .LBB760_3
.LBB760_2:
	s_mov_b32 s9, 0
	s_mov_b64 s[18:19], -1
.LBB760_3:
	s_andn2_b64 vcc, exec, s[18:19]
	s_cbranch_vccnz .LBB760_10
; %bb.4:
	s_load_dwordx2 s[18:19], s[4:5], 0x28
	s_lshl_b64 s[16:17], s[8:9], 2
	s_waitcnt lgkmcnt(0)
	s_add_u32 s18, s18, s16
	s_addc_u32 s19, s19, s17
	s_load_dword s7, s[18:19], 0x0
	s_lshl_b32 s6, s6, 8
	s_waitcnt lgkmcnt(0)
	s_cmp_ge_i32 s6, s7
	s_cbranch_scc1 .LBB760_10
; %bb.5:
	s_andn2_b64 vcc, exec, s[14:15]
	s_cbranch_vccnz .LBB760_7
; %bb.6:
	s_add_u32 s6, s12, s16
	s_addc_u32 s7, s13, s17
	s_load_dword s8, s[6:7], 0x0
.LBB760_7:
	s_movk_i32 s6, 0x70
	v_cmp_gt_u32_e32 vcc, s6, v0
	s_and_saveexec_b64 s[6:7], vcc
	s_cbranch_execz .LBB760_9
; %bb.8:
	s_load_dword s11, s[4:5], 0x48
	s_load_dwordx2 s[12:13], s[4:5], 0x0
	v_lshrrev_b32_e32 v1, 4, v0
	s_mul_i32 s10, s10, 7
	v_add_lshl_u32 v2, v1, s10, 7
	s_waitcnt lgkmcnt(0)
	s_ashr_i32 s9, s11, 31
	s_mul_hi_u32 s14, s8, s11
	s_mul_i32 s9, s8, s9
	s_add_i32 s9, s14, s9
	s_mul_i32 s8, s8, s11
	s_lshl_b64 s[8:9], s[8:9], 1
	s_add_u32 s8, s12, s8
	v_ashrrev_i32_e32 v3, 31, v2
	s_addc_u32 s9, s13, s9
	v_lshlrev_b64 v[2:3], 1, v[2:3]
	v_and_b32_e32 v4, 15, v0
	v_mov_b32_e32 v5, s9
	v_add_co_u32_e32 v2, vcc, s8, v2
	v_addc_co_u32_e32 v3, vcc, v5, v3, vcc
	v_lshlrev_b32_e32 v4, 4, v4
	v_add_co_u32_e32 v2, vcc, v2, v4
	v_addc_co_u32_e32 v3, vcc, 0, v3, vcc
	global_load_dwordx4 v[2:5], v[2:3], off
	v_lshlrev_b32_e32 v6, 4, v0
	v_lshlrev_b32_e32 v0, 8, v0
	v_and_b32_e32 v6, 16, v6
	v_lshlrev_b32_e32 v1, 5, v1
	v_and_b32_e32 v0, 0xe00, v0
	v_or3_b32 v0, v0, v1, v6
	s_waitcnt vmcnt(0)
	ds_write_b128 v0, v[2:5]
.LBB760_9:
	s_or_b64 exec, exec, s[6:7]
	s_waitcnt lgkmcnt(0)
	s_add_u32 s8, s4, 0x90
	s_addc_u32 s9, s5, 0
	s_getpc_b64 s[4:5]
	s_add_u32 s4, s4, __PRETTY_FUNCTION__._Z39paged_attention_ll4mi_QKV_mfma16_kernelI14__hip_bfloat16hLN4vllm18Fp8KVCacheDataTypeE1ES0_Li16ELi128ELi256ELb1ELi7EL8MFMAType1EEvPKT_PKT0_S9_ifPKiSB_SB_iPKfiiiPfSE_PS4_PT2_iSD_SD_@rel32@lo+4
	s_addc_u32 s5, s5, __PRETTY_FUNCTION__._Z39paged_attention_ll4mi_QKV_mfma16_kernelI14__hip_bfloat16hLN4vllm18Fp8KVCacheDataTypeE1ES0_Li16ELi128ELi256ELb1ELi7EL8MFMAType1EEvPKT_PKT0_S9_ifPKiSB_SB_iPKfiiiPfSE_PS4_PT2_iSD_SD_@rel32@hi+12
	v_mov_b32_e32 v0, 0x288
	v_mov_b32_e32 v1, s4
	;; [unrolled: 1-line block ×3, first 2 shown]
	s_barrier
	s_getpc_b64 s[6:7]
	s_add_u32 s6, s6, __assert_fail@rel32@lo+4
	s_addc_u32 s7, s7, __assert_fail@rel32@hi+12
	s_swappc_b64 s[30:31], s[6:7]
	; divergent unreachable
.LBB760_10:
	s_endpgm
.LBB760_11:
	s_mov_b64 s[18:19], 0
	s_branch .LBB760_2
	.section	.rodata,"a",@progbits
	.p2align	6, 0x0
	.amdhsa_kernel _Z39paged_attention_ll4mi_QKV_mfma16_kernelI14__hip_bfloat16hLN4vllm18Fp8KVCacheDataTypeE1ES0_Li16ELi128ELi256ELb1ELi7EL8MFMAType1EEvPKT_PKT0_S9_ifPKiSB_SB_iPKfiiiPfSE_PS4_PT2_iSD_SD_
		.amdhsa_group_segment_fixed_size 8192
		.amdhsa_private_segment_fixed_size 64
		.amdhsa_kernarg_size 400
		.amdhsa_user_sgpr_count 8
		.amdhsa_user_sgpr_private_segment_buffer 1
		.amdhsa_user_sgpr_dispatch_ptr 0
		.amdhsa_user_sgpr_queue_ptr 0
		.amdhsa_user_sgpr_kernarg_segment_ptr 1
		.amdhsa_user_sgpr_dispatch_id 0
		.amdhsa_user_sgpr_flat_scratch_init 1
		.amdhsa_user_sgpr_kernarg_preload_length 0
		.amdhsa_user_sgpr_kernarg_preload_offset 0
		.amdhsa_user_sgpr_private_segment_size 0
		.amdhsa_uses_dynamic_stack 0
		.amdhsa_system_sgpr_private_segment_wavefront_offset 1
		.amdhsa_system_sgpr_workgroup_id_x 1
		.amdhsa_system_sgpr_workgroup_id_y 1
		.amdhsa_system_sgpr_workgroup_id_z 1
		.amdhsa_system_sgpr_workgroup_info 0
		.amdhsa_system_vgpr_workitem_id 0
		.amdhsa_next_free_vgpr 45
		.amdhsa_next_free_sgpr 34
		.amdhsa_accum_offset 44
		.amdhsa_reserve_vcc 1
		.amdhsa_reserve_flat_scratch 1
		.amdhsa_float_round_mode_32 0
		.amdhsa_float_round_mode_16_64 0
		.amdhsa_float_denorm_mode_32 3
		.amdhsa_float_denorm_mode_16_64 3
		.amdhsa_dx10_clamp 1
		.amdhsa_ieee_mode 1
		.amdhsa_fp16_overflow 0
		.amdhsa_tg_split 0
		.amdhsa_exception_fp_ieee_invalid_op 0
		.amdhsa_exception_fp_denorm_src 0
		.amdhsa_exception_fp_ieee_div_zero 0
		.amdhsa_exception_fp_ieee_overflow 0
		.amdhsa_exception_fp_ieee_underflow 0
		.amdhsa_exception_fp_ieee_inexact 0
		.amdhsa_exception_int_div_zero 0
	.end_amdhsa_kernel
	.section	.text._Z39paged_attention_ll4mi_QKV_mfma16_kernelI14__hip_bfloat16hLN4vllm18Fp8KVCacheDataTypeE1ES0_Li16ELi128ELi256ELb1ELi7EL8MFMAType1EEvPKT_PKT0_S9_ifPKiSB_SB_iPKfiiiPfSE_PS4_PT2_iSD_SD_,"axG",@progbits,_Z39paged_attention_ll4mi_QKV_mfma16_kernelI14__hip_bfloat16hLN4vllm18Fp8KVCacheDataTypeE1ES0_Li16ELi128ELi256ELb1ELi7EL8MFMAType1EEvPKT_PKT0_S9_ifPKiSB_SB_iPKfiiiPfSE_PS4_PT2_iSD_SD_,comdat
.Lfunc_end760:
	.size	_Z39paged_attention_ll4mi_QKV_mfma16_kernelI14__hip_bfloat16hLN4vllm18Fp8KVCacheDataTypeE1ES0_Li16ELi128ELi256ELb1ELi7EL8MFMAType1EEvPKT_PKT0_S9_ifPKiSB_SB_iPKfiiiPfSE_PS4_PT2_iSD_SD_, .Lfunc_end760-_Z39paged_attention_ll4mi_QKV_mfma16_kernelI14__hip_bfloat16hLN4vllm18Fp8KVCacheDataTypeE1ES0_Li16ELi128ELi256ELb1ELi7EL8MFMAType1EEvPKT_PKT0_S9_ifPKiSB_SB_iPKfiiiPfSE_PS4_PT2_iSD_SD_
                                        ; -- End function
	.section	.AMDGPU.csdata,"",@progbits
; Kernel info:
; codeLenInByte = 492
; NumSgprs: 40
; NumVgprs: 42
; NumAgprs: 1
; TotalNumVgprs: 45
; ScratchSize: 64
; MemoryBound: 0
; FloatMode: 240
; IeeeMode: 1
; LDSByteSize: 8192 bytes/workgroup (compile time only)
; SGPRBlocks: 4
; VGPRBlocks: 5
; NumSGPRsForWavesPerEU: 40
; NumVGPRsForWavesPerEU: 45
; AccumOffset: 44
; Occupancy: 8
; WaveLimiterHint : 1
; COMPUTE_PGM_RSRC2:SCRATCH_EN: 1
; COMPUTE_PGM_RSRC2:USER_SGPR: 8
; COMPUTE_PGM_RSRC2:TRAP_HANDLER: 0
; COMPUTE_PGM_RSRC2:TGID_X_EN: 1
; COMPUTE_PGM_RSRC2:TGID_Y_EN: 1
; COMPUTE_PGM_RSRC2:TGID_Z_EN: 1
; COMPUTE_PGM_RSRC2:TIDIG_COMP_CNT: 0
; COMPUTE_PGM_RSRC3_GFX90A:ACCUM_OFFSET: 10
; COMPUTE_PGM_RSRC3_GFX90A:TG_SPLIT: 0
	.section	.text._Z39paged_attention_ll4mi_QKV_mfma16_kernelI14__hip_bfloat16hLN4vllm18Fp8KVCacheDataTypeE1ES0_Li16ELi128ELi256ELb1ELi8EL8MFMAType1EEvPKT_PKT0_S9_ifPKiSB_SB_iPKfiiiPfSE_PS4_PT2_iSD_SD_,"axG",@progbits,_Z39paged_attention_ll4mi_QKV_mfma16_kernelI14__hip_bfloat16hLN4vllm18Fp8KVCacheDataTypeE1ES0_Li16ELi128ELi256ELb1ELi8EL8MFMAType1EEvPKT_PKT0_S9_ifPKiSB_SB_iPKfiiiPfSE_PS4_PT2_iSD_SD_,comdat
	.protected	_Z39paged_attention_ll4mi_QKV_mfma16_kernelI14__hip_bfloat16hLN4vllm18Fp8KVCacheDataTypeE1ES0_Li16ELi128ELi256ELb1ELi8EL8MFMAType1EEvPKT_PKT0_S9_ifPKiSB_SB_iPKfiiiPfSE_PS4_PT2_iSD_SD_ ; -- Begin function _Z39paged_attention_ll4mi_QKV_mfma16_kernelI14__hip_bfloat16hLN4vllm18Fp8KVCacheDataTypeE1ES0_Li16ELi128ELi256ELb1ELi8EL8MFMAType1EEvPKT_PKT0_S9_ifPKiSB_SB_iPKfiiiPfSE_PS4_PT2_iSD_SD_
	.globl	_Z39paged_attention_ll4mi_QKV_mfma16_kernelI14__hip_bfloat16hLN4vllm18Fp8KVCacheDataTypeE1ES0_Li16ELi128ELi256ELb1ELi8EL8MFMAType1EEvPKT_PKT0_S9_ifPKiSB_SB_iPKfiiiPfSE_PS4_PT2_iSD_SD_
	.p2align	8
	.type	_Z39paged_attention_ll4mi_QKV_mfma16_kernelI14__hip_bfloat16hLN4vllm18Fp8KVCacheDataTypeE1ES0_Li16ELi128ELi256ELb1ELi8EL8MFMAType1EEvPKT_PKT0_S9_ifPKiSB_SB_iPKfiiiPfSE_PS4_PT2_iSD_SD_,@function
_Z39paged_attention_ll4mi_QKV_mfma16_kernelI14__hip_bfloat16hLN4vllm18Fp8KVCacheDataTypeE1ES0_Li16ELi128ELi256ELb1ELi8EL8MFMAType1EEvPKT_PKT0_S9_ifPKiSB_SB_iPKfiiiPfSE_PS4_PT2_iSD_SD_: ; @_Z39paged_attention_ll4mi_QKV_mfma16_kernelI14__hip_bfloat16hLN4vllm18Fp8KVCacheDataTypeE1ES0_Li16ELi128ELi256ELb1ELi8EL8MFMAType1EEvPKT_PKT0_S9_ifPKiSB_SB_iPKfiiiPfSE_PS4_PT2_iSD_SD_
; %bb.0:
	s_load_dwordx2 s[12:13], s[4:5], 0x30
	s_add_u32 flat_scratch_lo, s6, s11
	s_addc_u32 flat_scratch_hi, s7, 0
	s_add_u32 s0, s0, s11
	s_addc_u32 s1, s1, 0
	s_waitcnt lgkmcnt(0)
	s_cmp_lg_u64 s[12:13], 0
	s_cselect_b64 s[14:15], -1, 0
	s_mov_b32 s6, s9
	s_mov_b64 s[16:17], 0
	s_and_b64 vcc, exec, s[14:15]
	s_mov_b32 s32, 0
	s_cbranch_vccz .LBB761_11
; %bb.1:
	s_add_i32 s18, s8, 1
	s_mov_b32 s19, 0
	s_lshl_b64 s[20:21], s[18:19], 2
	s_add_u32 s20, s12, s20
	s_mov_b32 s9, s19
	s_addc_u32 s21, s13, s21
	s_lshl_b64 s[18:19], s[8:9], 2
	s_add_u32 s18, s12, s18
	s_addc_u32 s19, s13, s19
	s_load_dword s7, s[20:21], 0x0
	s_load_dword s11, s[18:19], 0x0
	s_waitcnt lgkmcnt(0)
	s_sub_i32 s7, s7, s11
	s_cmp_eq_u32 s7, 1
	s_cselect_b64 s[18:19], -1, 0
	s_andn2_b64 vcc, exec, s[16:17]
	s_cbranch_vccnz .LBB761_3
.LBB761_2:
	s_mov_b32 s9, 0
	s_mov_b64 s[18:19], -1
.LBB761_3:
	s_andn2_b64 vcc, exec, s[18:19]
	s_cbranch_vccnz .LBB761_10
; %bb.4:
	s_load_dwordx2 s[18:19], s[4:5], 0x28
	s_lshl_b64 s[16:17], s[8:9], 2
	s_waitcnt lgkmcnt(0)
	s_add_u32 s18, s18, s16
	s_addc_u32 s19, s19, s17
	s_load_dword s7, s[18:19], 0x0
	s_lshl_b32 s6, s6, 8
	s_waitcnt lgkmcnt(0)
	s_cmp_ge_i32 s6, s7
	s_cbranch_scc1 .LBB761_10
; %bb.5:
	s_andn2_b64 vcc, exec, s[14:15]
	s_cbranch_vccnz .LBB761_7
; %bb.6:
	s_add_u32 s6, s12, s16
	s_addc_u32 s7, s13, s17
	s_load_dword s8, s[6:7], 0x0
.LBB761_7:
	s_movk_i32 s6, 0x80
	v_cmp_gt_u32_e32 vcc, s6, v0
	s_and_saveexec_b64 s[6:7], vcc
	s_cbranch_execz .LBB761_9
; %bb.8:
	s_load_dword s11, s[4:5], 0x48
	s_load_dwordx2 s[12:13], s[4:5], 0x0
	v_lshrrev_b32_e32 v6, 4, v0
	v_lshlrev_b32_e32 v2, 7, v6
	v_lshl_or_b32 v2, s10, 10, v2
	s_waitcnt lgkmcnt(0)
	s_ashr_i32 s9, s11, 31
	s_mul_hi_u32 s14, s8, s11
	s_mul_i32 s9, s8, s9
	s_add_i32 s9, s14, s9
	s_mul_i32 s8, s8, s11
	s_lshl_b64 s[8:9], s[8:9], 1
	s_add_u32 s8, s12, s8
	v_ashrrev_i32_e32 v3, 31, v2
	s_addc_u32 s9, s13, s9
	v_lshlrev_b64 v[2:3], 1, v[2:3]
	v_and_b32_e32 v1, 15, v0
	v_mov_b32_e32 v4, s9
	v_add_co_u32_e32 v2, vcc, s8, v2
	v_addc_co_u32_e32 v3, vcc, v4, v3, vcc
	v_lshlrev_b32_e32 v1, 4, v1
	v_add_co_u32_e32 v2, vcc, v2, v1
	v_addc_co_u32_e32 v3, vcc, 0, v3, vcc
	global_load_dwordx4 v[2:5], v[2:3], off
	v_lshlrev_b32_e32 v1, 4, v0
	v_lshlrev_b32_e32 v0, 8, v0
	v_and_b32_e32 v1, 16, v1
	v_lshlrev_b32_e32 v6, 5, v6
	v_and_b32_e32 v0, 0xe00, v0
	v_or3_b32 v0, v0, v6, v1
	s_waitcnt vmcnt(0)
	ds_write_b128 v0, v[2:5]
.LBB761_9:
	s_or_b64 exec, exec, s[6:7]
	s_waitcnt lgkmcnt(0)
	s_add_u32 s8, s4, 0x90
	s_addc_u32 s9, s5, 0
	s_getpc_b64 s[4:5]
	s_add_u32 s4, s4, __PRETTY_FUNCTION__._Z39paged_attention_ll4mi_QKV_mfma16_kernelI14__hip_bfloat16hLN4vllm18Fp8KVCacheDataTypeE1ES0_Li16ELi128ELi256ELb1ELi8EL8MFMAType1EEvPKT_PKT0_S9_ifPKiSB_SB_iPKfiiiPfSE_PS4_PT2_iSD_SD_@rel32@lo+4
	s_addc_u32 s5, s5, __PRETTY_FUNCTION__._Z39paged_attention_ll4mi_QKV_mfma16_kernelI14__hip_bfloat16hLN4vllm18Fp8KVCacheDataTypeE1ES0_Li16ELi128ELi256ELb1ELi8EL8MFMAType1EEvPKT_PKT0_S9_ifPKiSB_SB_iPKfiiiPfSE_PS4_PT2_iSD_SD_@rel32@hi+12
	v_mov_b32_e32 v0, 0x288
	v_mov_b32_e32 v1, s4
	;; [unrolled: 1-line block ×3, first 2 shown]
	s_barrier
	s_getpc_b64 s[6:7]
	s_add_u32 s6, s6, __assert_fail@rel32@lo+4
	s_addc_u32 s7, s7, __assert_fail@rel32@hi+12
	s_swappc_b64 s[30:31], s[6:7]
	; divergent unreachable
.LBB761_10:
	s_endpgm
.LBB761_11:
	s_mov_b64 s[18:19], 0
	s_branch .LBB761_2
	.section	.rodata,"a",@progbits
	.p2align	6, 0x0
	.amdhsa_kernel _Z39paged_attention_ll4mi_QKV_mfma16_kernelI14__hip_bfloat16hLN4vllm18Fp8KVCacheDataTypeE1ES0_Li16ELi128ELi256ELb1ELi8EL8MFMAType1EEvPKT_PKT0_S9_ifPKiSB_SB_iPKfiiiPfSE_PS4_PT2_iSD_SD_
		.amdhsa_group_segment_fixed_size 8192
		.amdhsa_private_segment_fixed_size 64
		.amdhsa_kernarg_size 400
		.amdhsa_user_sgpr_count 8
		.amdhsa_user_sgpr_private_segment_buffer 1
		.amdhsa_user_sgpr_dispatch_ptr 0
		.amdhsa_user_sgpr_queue_ptr 0
		.amdhsa_user_sgpr_kernarg_segment_ptr 1
		.amdhsa_user_sgpr_dispatch_id 0
		.amdhsa_user_sgpr_flat_scratch_init 1
		.amdhsa_user_sgpr_kernarg_preload_length 0
		.amdhsa_user_sgpr_kernarg_preload_offset 0
		.amdhsa_user_sgpr_private_segment_size 0
		.amdhsa_uses_dynamic_stack 0
		.amdhsa_system_sgpr_private_segment_wavefront_offset 1
		.amdhsa_system_sgpr_workgroup_id_x 1
		.amdhsa_system_sgpr_workgroup_id_y 1
		.amdhsa_system_sgpr_workgroup_id_z 1
		.amdhsa_system_sgpr_workgroup_info 0
		.amdhsa_system_vgpr_workitem_id 0
		.amdhsa_next_free_vgpr 45
		.amdhsa_next_free_sgpr 34
		.amdhsa_accum_offset 44
		.amdhsa_reserve_vcc 1
		.amdhsa_reserve_flat_scratch 1
		.amdhsa_float_round_mode_32 0
		.amdhsa_float_round_mode_16_64 0
		.amdhsa_float_denorm_mode_32 3
		.amdhsa_float_denorm_mode_16_64 3
		.amdhsa_dx10_clamp 1
		.amdhsa_ieee_mode 1
		.amdhsa_fp16_overflow 0
		.amdhsa_tg_split 0
		.amdhsa_exception_fp_ieee_invalid_op 0
		.amdhsa_exception_fp_denorm_src 0
		.amdhsa_exception_fp_ieee_div_zero 0
		.amdhsa_exception_fp_ieee_overflow 0
		.amdhsa_exception_fp_ieee_underflow 0
		.amdhsa_exception_fp_ieee_inexact 0
		.amdhsa_exception_int_div_zero 0
	.end_amdhsa_kernel
	.section	.text._Z39paged_attention_ll4mi_QKV_mfma16_kernelI14__hip_bfloat16hLN4vllm18Fp8KVCacheDataTypeE1ES0_Li16ELi128ELi256ELb1ELi8EL8MFMAType1EEvPKT_PKT0_S9_ifPKiSB_SB_iPKfiiiPfSE_PS4_PT2_iSD_SD_,"axG",@progbits,_Z39paged_attention_ll4mi_QKV_mfma16_kernelI14__hip_bfloat16hLN4vllm18Fp8KVCacheDataTypeE1ES0_Li16ELi128ELi256ELb1ELi8EL8MFMAType1EEvPKT_PKT0_S9_ifPKiSB_SB_iPKfiiiPfSE_PS4_PT2_iSD_SD_,comdat
.Lfunc_end761:
	.size	_Z39paged_attention_ll4mi_QKV_mfma16_kernelI14__hip_bfloat16hLN4vllm18Fp8KVCacheDataTypeE1ES0_Li16ELi128ELi256ELb1ELi8EL8MFMAType1EEvPKT_PKT0_S9_ifPKiSB_SB_iPKfiiiPfSE_PS4_PT2_iSD_SD_, .Lfunc_end761-_Z39paged_attention_ll4mi_QKV_mfma16_kernelI14__hip_bfloat16hLN4vllm18Fp8KVCacheDataTypeE1ES0_Li16ELi128ELi256ELb1ELi8EL8MFMAType1EEvPKT_PKT0_S9_ifPKiSB_SB_iPKfiiiPfSE_PS4_PT2_iSD_SD_
                                        ; -- End function
	.section	.AMDGPU.csdata,"",@progbits
; Kernel info:
; codeLenInByte = 492
; NumSgprs: 40
; NumVgprs: 42
; NumAgprs: 1
; TotalNumVgprs: 45
; ScratchSize: 64
; MemoryBound: 0
; FloatMode: 240
; IeeeMode: 1
; LDSByteSize: 8192 bytes/workgroup (compile time only)
; SGPRBlocks: 4
; VGPRBlocks: 5
; NumSGPRsForWavesPerEU: 40
; NumVGPRsForWavesPerEU: 45
; AccumOffset: 44
; Occupancy: 8
; WaveLimiterHint : 1
; COMPUTE_PGM_RSRC2:SCRATCH_EN: 1
; COMPUTE_PGM_RSRC2:USER_SGPR: 8
; COMPUTE_PGM_RSRC2:TRAP_HANDLER: 0
; COMPUTE_PGM_RSRC2:TGID_X_EN: 1
; COMPUTE_PGM_RSRC2:TGID_Y_EN: 1
; COMPUTE_PGM_RSRC2:TGID_Z_EN: 1
; COMPUTE_PGM_RSRC2:TIDIG_COMP_CNT: 0
; COMPUTE_PGM_RSRC3_GFX90A:ACCUM_OFFSET: 10
; COMPUTE_PGM_RSRC3_GFX90A:TG_SPLIT: 0
	.section	.text._Z39paged_attention_ll4mi_QKV_mfma16_kernelI14__hip_bfloat16hLN4vllm18Fp8KVCacheDataTypeE1ES0_Li16ELi128ELi256ELb1ELi9EL8MFMAType1EEvPKT_PKT0_S9_ifPKiSB_SB_iPKfiiiPfSE_PS4_PT2_iSD_SD_,"axG",@progbits,_Z39paged_attention_ll4mi_QKV_mfma16_kernelI14__hip_bfloat16hLN4vllm18Fp8KVCacheDataTypeE1ES0_Li16ELi128ELi256ELb1ELi9EL8MFMAType1EEvPKT_PKT0_S9_ifPKiSB_SB_iPKfiiiPfSE_PS4_PT2_iSD_SD_,comdat
	.protected	_Z39paged_attention_ll4mi_QKV_mfma16_kernelI14__hip_bfloat16hLN4vllm18Fp8KVCacheDataTypeE1ES0_Li16ELi128ELi256ELb1ELi9EL8MFMAType1EEvPKT_PKT0_S9_ifPKiSB_SB_iPKfiiiPfSE_PS4_PT2_iSD_SD_ ; -- Begin function _Z39paged_attention_ll4mi_QKV_mfma16_kernelI14__hip_bfloat16hLN4vllm18Fp8KVCacheDataTypeE1ES0_Li16ELi128ELi256ELb1ELi9EL8MFMAType1EEvPKT_PKT0_S9_ifPKiSB_SB_iPKfiiiPfSE_PS4_PT2_iSD_SD_
	.globl	_Z39paged_attention_ll4mi_QKV_mfma16_kernelI14__hip_bfloat16hLN4vllm18Fp8KVCacheDataTypeE1ES0_Li16ELi128ELi256ELb1ELi9EL8MFMAType1EEvPKT_PKT0_S9_ifPKiSB_SB_iPKfiiiPfSE_PS4_PT2_iSD_SD_
	.p2align	8
	.type	_Z39paged_attention_ll4mi_QKV_mfma16_kernelI14__hip_bfloat16hLN4vllm18Fp8KVCacheDataTypeE1ES0_Li16ELi128ELi256ELb1ELi9EL8MFMAType1EEvPKT_PKT0_S9_ifPKiSB_SB_iPKfiiiPfSE_PS4_PT2_iSD_SD_,@function
_Z39paged_attention_ll4mi_QKV_mfma16_kernelI14__hip_bfloat16hLN4vllm18Fp8KVCacheDataTypeE1ES0_Li16ELi128ELi256ELb1ELi9EL8MFMAType1EEvPKT_PKT0_S9_ifPKiSB_SB_iPKfiiiPfSE_PS4_PT2_iSD_SD_: ; @_Z39paged_attention_ll4mi_QKV_mfma16_kernelI14__hip_bfloat16hLN4vllm18Fp8KVCacheDataTypeE1ES0_Li16ELi128ELi256ELb1ELi9EL8MFMAType1EEvPKT_PKT0_S9_ifPKiSB_SB_iPKfiiiPfSE_PS4_PT2_iSD_SD_
; %bb.0:
	s_load_dwordx2 s[12:13], s[4:5], 0x30
	s_add_u32 flat_scratch_lo, s6, s11
	s_addc_u32 flat_scratch_hi, s7, 0
	s_add_u32 s0, s0, s11
	s_addc_u32 s1, s1, 0
	s_waitcnt lgkmcnt(0)
	s_cmp_lg_u64 s[12:13], 0
	s_cselect_b64 s[14:15], -1, 0
	s_mov_b32 s6, s9
	s_mov_b64 s[16:17], 0
	s_and_b64 vcc, exec, s[14:15]
	s_mov_b32 s32, 0
	s_cbranch_vccz .LBB762_11
; %bb.1:
	s_add_i32 s18, s8, 1
	s_mov_b32 s19, 0
	s_lshl_b64 s[20:21], s[18:19], 2
	s_add_u32 s20, s12, s20
	s_mov_b32 s9, s19
	s_addc_u32 s21, s13, s21
	s_lshl_b64 s[18:19], s[8:9], 2
	s_add_u32 s18, s12, s18
	s_addc_u32 s19, s13, s19
	s_load_dword s7, s[20:21], 0x0
	s_load_dword s11, s[18:19], 0x0
	s_waitcnt lgkmcnt(0)
	s_sub_i32 s7, s7, s11
	s_cmp_eq_u32 s7, 1
	s_cselect_b64 s[18:19], -1, 0
	s_andn2_b64 vcc, exec, s[16:17]
	s_cbranch_vccnz .LBB762_3
.LBB762_2:
	s_mov_b32 s9, 0
	s_mov_b64 s[18:19], -1
.LBB762_3:
	s_andn2_b64 vcc, exec, s[18:19]
	s_cbranch_vccnz .LBB762_10
; %bb.4:
	s_load_dwordx2 s[18:19], s[4:5], 0x28
	s_lshl_b64 s[16:17], s[8:9], 2
	s_waitcnt lgkmcnt(0)
	s_add_u32 s18, s18, s16
	s_addc_u32 s19, s19, s17
	s_load_dword s7, s[18:19], 0x0
	s_lshl_b32 s6, s6, 8
	s_waitcnt lgkmcnt(0)
	s_cmp_ge_i32 s6, s7
	s_cbranch_scc1 .LBB762_10
; %bb.5:
	s_andn2_b64 vcc, exec, s[14:15]
	s_cbranch_vccnz .LBB762_7
; %bb.6:
	s_add_u32 s6, s12, s16
	s_addc_u32 s7, s13, s17
	s_load_dword s8, s[6:7], 0x0
.LBB762_7:
	s_movk_i32 s6, 0x90
	v_cmp_gt_u32_e32 vcc, s6, v0
	s_and_saveexec_b64 s[6:7], vcc
	s_cbranch_execz .LBB762_9
; %bb.8:
	s_load_dword s11, s[4:5], 0x48
	s_load_dwordx2 s[12:13], s[4:5], 0x0
	v_lshrrev_b32_e32 v1, 4, v0
	s_mul_i32 s10, s10, 9
	v_add_lshl_u32 v2, v1, s10, 7
	s_waitcnt lgkmcnt(0)
	s_ashr_i32 s9, s11, 31
	s_mul_hi_u32 s14, s8, s11
	s_mul_i32 s9, s8, s9
	s_add_i32 s9, s14, s9
	s_mul_i32 s8, s8, s11
	s_lshl_b64 s[8:9], s[8:9], 1
	s_add_u32 s8, s12, s8
	v_ashrrev_i32_e32 v3, 31, v2
	s_addc_u32 s9, s13, s9
	v_lshlrev_b64 v[2:3], 1, v[2:3]
	v_and_b32_e32 v4, 15, v0
	v_mov_b32_e32 v5, s9
	v_add_co_u32_e32 v2, vcc, s8, v2
	v_addc_co_u32_e32 v3, vcc, v5, v3, vcc
	v_lshlrev_b32_e32 v4, 4, v4
	v_add_co_u32_e32 v2, vcc, v2, v4
	v_addc_co_u32_e32 v3, vcc, 0, v3, vcc
	global_load_dwordx4 v[2:5], v[2:3], off
	v_lshlrev_b32_e32 v6, 4, v0
	v_lshlrev_b32_e32 v0, 8, v0
	v_and_b32_e32 v6, 16, v6
	v_lshlrev_b32_e32 v1, 5, v1
	v_and_b32_e32 v0, 0xe00, v0
	v_or3_b32 v0, v0, v1, v6
	s_waitcnt vmcnt(0)
	ds_write_b128 v0, v[2:5]
.LBB762_9:
	s_or_b64 exec, exec, s[6:7]
	s_waitcnt lgkmcnt(0)
	s_add_u32 s8, s4, 0x90
	s_addc_u32 s9, s5, 0
	s_getpc_b64 s[4:5]
	s_add_u32 s4, s4, __PRETTY_FUNCTION__._Z39paged_attention_ll4mi_QKV_mfma16_kernelI14__hip_bfloat16hLN4vllm18Fp8KVCacheDataTypeE1ES0_Li16ELi128ELi256ELb1ELi9EL8MFMAType1EEvPKT_PKT0_S9_ifPKiSB_SB_iPKfiiiPfSE_PS4_PT2_iSD_SD_@rel32@lo+4
	s_addc_u32 s5, s5, __PRETTY_FUNCTION__._Z39paged_attention_ll4mi_QKV_mfma16_kernelI14__hip_bfloat16hLN4vllm18Fp8KVCacheDataTypeE1ES0_Li16ELi128ELi256ELb1ELi9EL8MFMAType1EEvPKT_PKT0_S9_ifPKiSB_SB_iPKfiiiPfSE_PS4_PT2_iSD_SD_@rel32@hi+12
	v_mov_b32_e32 v0, 0x288
	v_mov_b32_e32 v1, s4
	;; [unrolled: 1-line block ×3, first 2 shown]
	s_barrier
	s_getpc_b64 s[6:7]
	s_add_u32 s6, s6, __assert_fail@rel32@lo+4
	s_addc_u32 s7, s7, __assert_fail@rel32@hi+12
	s_swappc_b64 s[30:31], s[6:7]
	; divergent unreachable
.LBB762_10:
	s_endpgm
.LBB762_11:
	s_mov_b64 s[18:19], 0
	s_branch .LBB762_2
	.section	.rodata,"a",@progbits
	.p2align	6, 0x0
	.amdhsa_kernel _Z39paged_attention_ll4mi_QKV_mfma16_kernelI14__hip_bfloat16hLN4vllm18Fp8KVCacheDataTypeE1ES0_Li16ELi128ELi256ELb1ELi9EL8MFMAType1EEvPKT_PKT0_S9_ifPKiSB_SB_iPKfiiiPfSE_PS4_PT2_iSD_SD_
		.amdhsa_group_segment_fixed_size 8192
		.amdhsa_private_segment_fixed_size 64
		.amdhsa_kernarg_size 400
		.amdhsa_user_sgpr_count 8
		.amdhsa_user_sgpr_private_segment_buffer 1
		.amdhsa_user_sgpr_dispatch_ptr 0
		.amdhsa_user_sgpr_queue_ptr 0
		.amdhsa_user_sgpr_kernarg_segment_ptr 1
		.amdhsa_user_sgpr_dispatch_id 0
		.amdhsa_user_sgpr_flat_scratch_init 1
		.amdhsa_user_sgpr_kernarg_preload_length 0
		.amdhsa_user_sgpr_kernarg_preload_offset 0
		.amdhsa_user_sgpr_private_segment_size 0
		.amdhsa_uses_dynamic_stack 0
		.amdhsa_system_sgpr_private_segment_wavefront_offset 1
		.amdhsa_system_sgpr_workgroup_id_x 1
		.amdhsa_system_sgpr_workgroup_id_y 1
		.amdhsa_system_sgpr_workgroup_id_z 1
		.amdhsa_system_sgpr_workgroup_info 0
		.amdhsa_system_vgpr_workitem_id 0
		.amdhsa_next_free_vgpr 45
		.amdhsa_next_free_sgpr 34
		.amdhsa_accum_offset 44
		.amdhsa_reserve_vcc 1
		.amdhsa_reserve_flat_scratch 1
		.amdhsa_float_round_mode_32 0
		.amdhsa_float_round_mode_16_64 0
		.amdhsa_float_denorm_mode_32 3
		.amdhsa_float_denorm_mode_16_64 3
		.amdhsa_dx10_clamp 1
		.amdhsa_ieee_mode 1
		.amdhsa_fp16_overflow 0
		.amdhsa_tg_split 0
		.amdhsa_exception_fp_ieee_invalid_op 0
		.amdhsa_exception_fp_denorm_src 0
		.amdhsa_exception_fp_ieee_div_zero 0
		.amdhsa_exception_fp_ieee_overflow 0
		.amdhsa_exception_fp_ieee_underflow 0
		.amdhsa_exception_fp_ieee_inexact 0
		.amdhsa_exception_int_div_zero 0
	.end_amdhsa_kernel
	.section	.text._Z39paged_attention_ll4mi_QKV_mfma16_kernelI14__hip_bfloat16hLN4vllm18Fp8KVCacheDataTypeE1ES0_Li16ELi128ELi256ELb1ELi9EL8MFMAType1EEvPKT_PKT0_S9_ifPKiSB_SB_iPKfiiiPfSE_PS4_PT2_iSD_SD_,"axG",@progbits,_Z39paged_attention_ll4mi_QKV_mfma16_kernelI14__hip_bfloat16hLN4vllm18Fp8KVCacheDataTypeE1ES0_Li16ELi128ELi256ELb1ELi9EL8MFMAType1EEvPKT_PKT0_S9_ifPKiSB_SB_iPKfiiiPfSE_PS4_PT2_iSD_SD_,comdat
.Lfunc_end762:
	.size	_Z39paged_attention_ll4mi_QKV_mfma16_kernelI14__hip_bfloat16hLN4vllm18Fp8KVCacheDataTypeE1ES0_Li16ELi128ELi256ELb1ELi9EL8MFMAType1EEvPKT_PKT0_S9_ifPKiSB_SB_iPKfiiiPfSE_PS4_PT2_iSD_SD_, .Lfunc_end762-_Z39paged_attention_ll4mi_QKV_mfma16_kernelI14__hip_bfloat16hLN4vllm18Fp8KVCacheDataTypeE1ES0_Li16ELi128ELi256ELb1ELi9EL8MFMAType1EEvPKT_PKT0_S9_ifPKiSB_SB_iPKfiiiPfSE_PS4_PT2_iSD_SD_
                                        ; -- End function
	.section	.AMDGPU.csdata,"",@progbits
; Kernel info:
; codeLenInByte = 492
; NumSgprs: 40
; NumVgprs: 42
; NumAgprs: 1
; TotalNumVgprs: 45
; ScratchSize: 64
; MemoryBound: 0
; FloatMode: 240
; IeeeMode: 1
; LDSByteSize: 8192 bytes/workgroup (compile time only)
; SGPRBlocks: 4
; VGPRBlocks: 5
; NumSGPRsForWavesPerEU: 40
; NumVGPRsForWavesPerEU: 45
; AccumOffset: 44
; Occupancy: 8
; WaveLimiterHint : 1
; COMPUTE_PGM_RSRC2:SCRATCH_EN: 1
; COMPUTE_PGM_RSRC2:USER_SGPR: 8
; COMPUTE_PGM_RSRC2:TRAP_HANDLER: 0
; COMPUTE_PGM_RSRC2:TGID_X_EN: 1
; COMPUTE_PGM_RSRC2:TGID_Y_EN: 1
; COMPUTE_PGM_RSRC2:TGID_Z_EN: 1
; COMPUTE_PGM_RSRC2:TIDIG_COMP_CNT: 0
; COMPUTE_PGM_RSRC3_GFX90A:ACCUM_OFFSET: 10
; COMPUTE_PGM_RSRC3_GFX90A:TG_SPLIT: 0
	.section	.text._Z39paged_attention_ll4mi_QKV_mfma16_kernelI14__hip_bfloat16hLN4vllm18Fp8KVCacheDataTypeE1ES0_Li16ELi128ELi256ELb1ELi10EL8MFMAType1EEvPKT_PKT0_S9_ifPKiSB_SB_iPKfiiiPfSE_PS4_PT2_iSD_SD_,"axG",@progbits,_Z39paged_attention_ll4mi_QKV_mfma16_kernelI14__hip_bfloat16hLN4vllm18Fp8KVCacheDataTypeE1ES0_Li16ELi128ELi256ELb1ELi10EL8MFMAType1EEvPKT_PKT0_S9_ifPKiSB_SB_iPKfiiiPfSE_PS4_PT2_iSD_SD_,comdat
	.protected	_Z39paged_attention_ll4mi_QKV_mfma16_kernelI14__hip_bfloat16hLN4vllm18Fp8KVCacheDataTypeE1ES0_Li16ELi128ELi256ELb1ELi10EL8MFMAType1EEvPKT_PKT0_S9_ifPKiSB_SB_iPKfiiiPfSE_PS4_PT2_iSD_SD_ ; -- Begin function _Z39paged_attention_ll4mi_QKV_mfma16_kernelI14__hip_bfloat16hLN4vllm18Fp8KVCacheDataTypeE1ES0_Li16ELi128ELi256ELb1ELi10EL8MFMAType1EEvPKT_PKT0_S9_ifPKiSB_SB_iPKfiiiPfSE_PS4_PT2_iSD_SD_
	.globl	_Z39paged_attention_ll4mi_QKV_mfma16_kernelI14__hip_bfloat16hLN4vllm18Fp8KVCacheDataTypeE1ES0_Li16ELi128ELi256ELb1ELi10EL8MFMAType1EEvPKT_PKT0_S9_ifPKiSB_SB_iPKfiiiPfSE_PS4_PT2_iSD_SD_
	.p2align	8
	.type	_Z39paged_attention_ll4mi_QKV_mfma16_kernelI14__hip_bfloat16hLN4vllm18Fp8KVCacheDataTypeE1ES0_Li16ELi128ELi256ELb1ELi10EL8MFMAType1EEvPKT_PKT0_S9_ifPKiSB_SB_iPKfiiiPfSE_PS4_PT2_iSD_SD_,@function
_Z39paged_attention_ll4mi_QKV_mfma16_kernelI14__hip_bfloat16hLN4vllm18Fp8KVCacheDataTypeE1ES0_Li16ELi128ELi256ELb1ELi10EL8MFMAType1EEvPKT_PKT0_S9_ifPKiSB_SB_iPKfiiiPfSE_PS4_PT2_iSD_SD_: ; @_Z39paged_attention_ll4mi_QKV_mfma16_kernelI14__hip_bfloat16hLN4vllm18Fp8KVCacheDataTypeE1ES0_Li16ELi128ELi256ELb1ELi10EL8MFMAType1EEvPKT_PKT0_S9_ifPKiSB_SB_iPKfiiiPfSE_PS4_PT2_iSD_SD_
; %bb.0:
	s_load_dwordx2 s[12:13], s[4:5], 0x30
	s_add_u32 flat_scratch_lo, s6, s11
	s_addc_u32 flat_scratch_hi, s7, 0
	s_add_u32 s0, s0, s11
	s_addc_u32 s1, s1, 0
	s_waitcnt lgkmcnt(0)
	s_cmp_lg_u64 s[12:13], 0
	s_cselect_b64 s[14:15], -1, 0
	s_mov_b32 s6, s9
	s_mov_b64 s[16:17], 0
	s_and_b64 vcc, exec, s[14:15]
	s_mov_b32 s32, 0
	s_cbranch_vccz .LBB763_11
; %bb.1:
	s_add_i32 s18, s8, 1
	s_mov_b32 s19, 0
	s_lshl_b64 s[20:21], s[18:19], 2
	s_add_u32 s20, s12, s20
	s_mov_b32 s9, s19
	s_addc_u32 s21, s13, s21
	s_lshl_b64 s[18:19], s[8:9], 2
	s_add_u32 s18, s12, s18
	s_addc_u32 s19, s13, s19
	s_load_dword s7, s[20:21], 0x0
	s_load_dword s11, s[18:19], 0x0
	s_waitcnt lgkmcnt(0)
	s_sub_i32 s7, s7, s11
	s_cmp_eq_u32 s7, 1
	s_cselect_b64 s[18:19], -1, 0
	s_andn2_b64 vcc, exec, s[16:17]
	s_cbranch_vccnz .LBB763_3
.LBB763_2:
	s_mov_b32 s9, 0
	s_mov_b64 s[18:19], -1
.LBB763_3:
	s_andn2_b64 vcc, exec, s[18:19]
	s_cbranch_vccnz .LBB763_10
; %bb.4:
	s_load_dwordx2 s[18:19], s[4:5], 0x28
	s_lshl_b64 s[16:17], s[8:9], 2
	s_waitcnt lgkmcnt(0)
	s_add_u32 s18, s18, s16
	s_addc_u32 s19, s19, s17
	s_load_dword s7, s[18:19], 0x0
	s_lshl_b32 s6, s6, 8
	s_waitcnt lgkmcnt(0)
	s_cmp_ge_i32 s6, s7
	s_cbranch_scc1 .LBB763_10
; %bb.5:
	s_andn2_b64 vcc, exec, s[14:15]
	s_cbranch_vccnz .LBB763_7
; %bb.6:
	s_add_u32 s6, s12, s16
	s_addc_u32 s7, s13, s17
	s_load_dword s8, s[6:7], 0x0
.LBB763_7:
	s_movk_i32 s6, 0xa0
	v_cmp_gt_u32_e32 vcc, s6, v0
	s_and_saveexec_b64 s[6:7], vcc
	s_cbranch_execz .LBB763_9
; %bb.8:
	s_load_dword s11, s[4:5], 0x48
	s_load_dwordx2 s[12:13], s[4:5], 0x0
	v_lshrrev_b32_e32 v1, 4, v0
	s_mul_i32 s10, s10, 10
	v_add_lshl_u32 v2, v1, s10, 7
	s_waitcnt lgkmcnt(0)
	s_ashr_i32 s9, s11, 31
	s_mul_hi_u32 s14, s8, s11
	s_mul_i32 s9, s8, s9
	s_add_i32 s9, s14, s9
	s_mul_i32 s8, s8, s11
	s_lshl_b64 s[8:9], s[8:9], 1
	s_add_u32 s8, s12, s8
	v_ashrrev_i32_e32 v3, 31, v2
	s_addc_u32 s9, s13, s9
	v_lshlrev_b64 v[2:3], 1, v[2:3]
	v_and_b32_e32 v4, 15, v0
	v_mov_b32_e32 v5, s9
	v_add_co_u32_e32 v2, vcc, s8, v2
	v_addc_co_u32_e32 v3, vcc, v5, v3, vcc
	v_lshlrev_b32_e32 v4, 4, v4
	v_add_co_u32_e32 v2, vcc, v2, v4
	v_addc_co_u32_e32 v3, vcc, 0, v3, vcc
	global_load_dwordx4 v[2:5], v[2:3], off
	v_lshlrev_b32_e32 v6, 4, v0
	v_lshlrev_b32_e32 v0, 8, v0
	v_and_b32_e32 v6, 16, v6
	v_lshlrev_b32_e32 v1, 5, v1
	v_and_b32_e32 v0, 0xe00, v0
	v_or3_b32 v0, v0, v1, v6
	s_waitcnt vmcnt(0)
	ds_write_b128 v0, v[2:5]
.LBB763_9:
	s_or_b64 exec, exec, s[6:7]
	s_waitcnt lgkmcnt(0)
	s_add_u32 s8, s4, 0x90
	s_addc_u32 s9, s5, 0
	s_getpc_b64 s[4:5]
	s_add_u32 s4, s4, __PRETTY_FUNCTION__._Z39paged_attention_ll4mi_QKV_mfma16_kernelI14__hip_bfloat16hLN4vllm18Fp8KVCacheDataTypeE1ES0_Li16ELi128ELi256ELb1ELi10EL8MFMAType1EEvPKT_PKT0_S9_ifPKiSB_SB_iPKfiiiPfSE_PS4_PT2_iSD_SD_@rel32@lo+4
	s_addc_u32 s5, s5, __PRETTY_FUNCTION__._Z39paged_attention_ll4mi_QKV_mfma16_kernelI14__hip_bfloat16hLN4vllm18Fp8KVCacheDataTypeE1ES0_Li16ELi128ELi256ELb1ELi10EL8MFMAType1EEvPKT_PKT0_S9_ifPKiSB_SB_iPKfiiiPfSE_PS4_PT2_iSD_SD_@rel32@hi+12
	v_mov_b32_e32 v0, 0x288
	v_mov_b32_e32 v1, s4
	;; [unrolled: 1-line block ×3, first 2 shown]
	s_barrier
	s_getpc_b64 s[6:7]
	s_add_u32 s6, s6, __assert_fail@rel32@lo+4
	s_addc_u32 s7, s7, __assert_fail@rel32@hi+12
	s_swappc_b64 s[30:31], s[6:7]
	; divergent unreachable
.LBB763_10:
	s_endpgm
.LBB763_11:
	s_mov_b64 s[18:19], 0
	s_branch .LBB763_2
	.section	.rodata,"a",@progbits
	.p2align	6, 0x0
	.amdhsa_kernel _Z39paged_attention_ll4mi_QKV_mfma16_kernelI14__hip_bfloat16hLN4vllm18Fp8KVCacheDataTypeE1ES0_Li16ELi128ELi256ELb1ELi10EL8MFMAType1EEvPKT_PKT0_S9_ifPKiSB_SB_iPKfiiiPfSE_PS4_PT2_iSD_SD_
		.amdhsa_group_segment_fixed_size 8192
		.amdhsa_private_segment_fixed_size 64
		.amdhsa_kernarg_size 400
		.amdhsa_user_sgpr_count 8
		.amdhsa_user_sgpr_private_segment_buffer 1
		.amdhsa_user_sgpr_dispatch_ptr 0
		.amdhsa_user_sgpr_queue_ptr 0
		.amdhsa_user_sgpr_kernarg_segment_ptr 1
		.amdhsa_user_sgpr_dispatch_id 0
		.amdhsa_user_sgpr_flat_scratch_init 1
		.amdhsa_user_sgpr_kernarg_preload_length 0
		.amdhsa_user_sgpr_kernarg_preload_offset 0
		.amdhsa_user_sgpr_private_segment_size 0
		.amdhsa_uses_dynamic_stack 0
		.amdhsa_system_sgpr_private_segment_wavefront_offset 1
		.amdhsa_system_sgpr_workgroup_id_x 1
		.amdhsa_system_sgpr_workgroup_id_y 1
		.amdhsa_system_sgpr_workgroup_id_z 1
		.amdhsa_system_sgpr_workgroup_info 0
		.amdhsa_system_vgpr_workitem_id 0
		.amdhsa_next_free_vgpr 45
		.amdhsa_next_free_sgpr 34
		.amdhsa_accum_offset 44
		.amdhsa_reserve_vcc 1
		.amdhsa_reserve_flat_scratch 1
		.amdhsa_float_round_mode_32 0
		.amdhsa_float_round_mode_16_64 0
		.amdhsa_float_denorm_mode_32 3
		.amdhsa_float_denorm_mode_16_64 3
		.amdhsa_dx10_clamp 1
		.amdhsa_ieee_mode 1
		.amdhsa_fp16_overflow 0
		.amdhsa_tg_split 0
		.amdhsa_exception_fp_ieee_invalid_op 0
		.amdhsa_exception_fp_denorm_src 0
		.amdhsa_exception_fp_ieee_div_zero 0
		.amdhsa_exception_fp_ieee_overflow 0
		.amdhsa_exception_fp_ieee_underflow 0
		.amdhsa_exception_fp_ieee_inexact 0
		.amdhsa_exception_int_div_zero 0
	.end_amdhsa_kernel
	.section	.text._Z39paged_attention_ll4mi_QKV_mfma16_kernelI14__hip_bfloat16hLN4vllm18Fp8KVCacheDataTypeE1ES0_Li16ELi128ELi256ELb1ELi10EL8MFMAType1EEvPKT_PKT0_S9_ifPKiSB_SB_iPKfiiiPfSE_PS4_PT2_iSD_SD_,"axG",@progbits,_Z39paged_attention_ll4mi_QKV_mfma16_kernelI14__hip_bfloat16hLN4vllm18Fp8KVCacheDataTypeE1ES0_Li16ELi128ELi256ELb1ELi10EL8MFMAType1EEvPKT_PKT0_S9_ifPKiSB_SB_iPKfiiiPfSE_PS4_PT2_iSD_SD_,comdat
.Lfunc_end763:
	.size	_Z39paged_attention_ll4mi_QKV_mfma16_kernelI14__hip_bfloat16hLN4vllm18Fp8KVCacheDataTypeE1ES0_Li16ELi128ELi256ELb1ELi10EL8MFMAType1EEvPKT_PKT0_S9_ifPKiSB_SB_iPKfiiiPfSE_PS4_PT2_iSD_SD_, .Lfunc_end763-_Z39paged_attention_ll4mi_QKV_mfma16_kernelI14__hip_bfloat16hLN4vllm18Fp8KVCacheDataTypeE1ES0_Li16ELi128ELi256ELb1ELi10EL8MFMAType1EEvPKT_PKT0_S9_ifPKiSB_SB_iPKfiiiPfSE_PS4_PT2_iSD_SD_
                                        ; -- End function
	.section	.AMDGPU.csdata,"",@progbits
; Kernel info:
; codeLenInByte = 492
; NumSgprs: 40
; NumVgprs: 42
; NumAgprs: 1
; TotalNumVgprs: 45
; ScratchSize: 64
; MemoryBound: 0
; FloatMode: 240
; IeeeMode: 1
; LDSByteSize: 8192 bytes/workgroup (compile time only)
; SGPRBlocks: 4
; VGPRBlocks: 5
; NumSGPRsForWavesPerEU: 40
; NumVGPRsForWavesPerEU: 45
; AccumOffset: 44
; Occupancy: 8
; WaveLimiterHint : 1
; COMPUTE_PGM_RSRC2:SCRATCH_EN: 1
; COMPUTE_PGM_RSRC2:USER_SGPR: 8
; COMPUTE_PGM_RSRC2:TRAP_HANDLER: 0
; COMPUTE_PGM_RSRC2:TGID_X_EN: 1
; COMPUTE_PGM_RSRC2:TGID_Y_EN: 1
; COMPUTE_PGM_RSRC2:TGID_Z_EN: 1
; COMPUTE_PGM_RSRC2:TIDIG_COMP_CNT: 0
; COMPUTE_PGM_RSRC3_GFX90A:ACCUM_OFFSET: 10
; COMPUTE_PGM_RSRC3_GFX90A:TG_SPLIT: 0
	.section	.text._Z39paged_attention_ll4mi_QKV_mfma16_kernelI14__hip_bfloat16hLN4vllm18Fp8KVCacheDataTypeE1ES0_Li16ELi128ELi256ELb1ELi11EL8MFMAType1EEvPKT_PKT0_S9_ifPKiSB_SB_iPKfiiiPfSE_PS4_PT2_iSD_SD_,"axG",@progbits,_Z39paged_attention_ll4mi_QKV_mfma16_kernelI14__hip_bfloat16hLN4vllm18Fp8KVCacheDataTypeE1ES0_Li16ELi128ELi256ELb1ELi11EL8MFMAType1EEvPKT_PKT0_S9_ifPKiSB_SB_iPKfiiiPfSE_PS4_PT2_iSD_SD_,comdat
	.protected	_Z39paged_attention_ll4mi_QKV_mfma16_kernelI14__hip_bfloat16hLN4vllm18Fp8KVCacheDataTypeE1ES0_Li16ELi128ELi256ELb1ELi11EL8MFMAType1EEvPKT_PKT0_S9_ifPKiSB_SB_iPKfiiiPfSE_PS4_PT2_iSD_SD_ ; -- Begin function _Z39paged_attention_ll4mi_QKV_mfma16_kernelI14__hip_bfloat16hLN4vllm18Fp8KVCacheDataTypeE1ES0_Li16ELi128ELi256ELb1ELi11EL8MFMAType1EEvPKT_PKT0_S9_ifPKiSB_SB_iPKfiiiPfSE_PS4_PT2_iSD_SD_
	.globl	_Z39paged_attention_ll4mi_QKV_mfma16_kernelI14__hip_bfloat16hLN4vllm18Fp8KVCacheDataTypeE1ES0_Li16ELi128ELi256ELb1ELi11EL8MFMAType1EEvPKT_PKT0_S9_ifPKiSB_SB_iPKfiiiPfSE_PS4_PT2_iSD_SD_
	.p2align	8
	.type	_Z39paged_attention_ll4mi_QKV_mfma16_kernelI14__hip_bfloat16hLN4vllm18Fp8KVCacheDataTypeE1ES0_Li16ELi128ELi256ELb1ELi11EL8MFMAType1EEvPKT_PKT0_S9_ifPKiSB_SB_iPKfiiiPfSE_PS4_PT2_iSD_SD_,@function
_Z39paged_attention_ll4mi_QKV_mfma16_kernelI14__hip_bfloat16hLN4vllm18Fp8KVCacheDataTypeE1ES0_Li16ELi128ELi256ELb1ELi11EL8MFMAType1EEvPKT_PKT0_S9_ifPKiSB_SB_iPKfiiiPfSE_PS4_PT2_iSD_SD_: ; @_Z39paged_attention_ll4mi_QKV_mfma16_kernelI14__hip_bfloat16hLN4vllm18Fp8KVCacheDataTypeE1ES0_Li16ELi128ELi256ELb1ELi11EL8MFMAType1EEvPKT_PKT0_S9_ifPKiSB_SB_iPKfiiiPfSE_PS4_PT2_iSD_SD_
; %bb.0:
	s_load_dwordx2 s[12:13], s[4:5], 0x30
	s_add_u32 flat_scratch_lo, s6, s11
	s_addc_u32 flat_scratch_hi, s7, 0
	s_add_u32 s0, s0, s11
	s_addc_u32 s1, s1, 0
	s_waitcnt lgkmcnt(0)
	s_cmp_lg_u64 s[12:13], 0
	s_cselect_b64 s[14:15], -1, 0
	s_mov_b32 s6, s9
	s_mov_b64 s[16:17], 0
	s_and_b64 vcc, exec, s[14:15]
	s_mov_b32 s32, 0
	s_cbranch_vccz .LBB764_11
; %bb.1:
	s_add_i32 s18, s8, 1
	s_mov_b32 s19, 0
	s_lshl_b64 s[20:21], s[18:19], 2
	s_add_u32 s20, s12, s20
	s_mov_b32 s9, s19
	s_addc_u32 s21, s13, s21
	s_lshl_b64 s[18:19], s[8:9], 2
	s_add_u32 s18, s12, s18
	s_addc_u32 s19, s13, s19
	s_load_dword s7, s[20:21], 0x0
	s_load_dword s11, s[18:19], 0x0
	s_waitcnt lgkmcnt(0)
	s_sub_i32 s7, s7, s11
	s_cmp_eq_u32 s7, 1
	s_cselect_b64 s[18:19], -1, 0
	s_andn2_b64 vcc, exec, s[16:17]
	s_cbranch_vccnz .LBB764_3
.LBB764_2:
	s_mov_b32 s9, 0
	s_mov_b64 s[18:19], -1
.LBB764_3:
	s_andn2_b64 vcc, exec, s[18:19]
	s_cbranch_vccnz .LBB764_10
; %bb.4:
	s_load_dwordx2 s[18:19], s[4:5], 0x28
	s_lshl_b64 s[16:17], s[8:9], 2
	s_waitcnt lgkmcnt(0)
	s_add_u32 s18, s18, s16
	s_addc_u32 s19, s19, s17
	s_load_dword s7, s[18:19], 0x0
	s_lshl_b32 s6, s6, 8
	s_waitcnt lgkmcnt(0)
	s_cmp_ge_i32 s6, s7
	s_cbranch_scc1 .LBB764_10
; %bb.5:
	s_andn2_b64 vcc, exec, s[14:15]
	s_cbranch_vccnz .LBB764_7
; %bb.6:
	s_add_u32 s6, s12, s16
	s_addc_u32 s7, s13, s17
	s_load_dword s8, s[6:7], 0x0
.LBB764_7:
	s_movk_i32 s6, 0xb0
	v_cmp_gt_u32_e32 vcc, s6, v0
	s_and_saveexec_b64 s[6:7], vcc
	s_cbranch_execz .LBB764_9
; %bb.8:
	s_load_dword s11, s[4:5], 0x48
	s_load_dwordx2 s[12:13], s[4:5], 0x0
	v_lshrrev_b32_e32 v1, 4, v0
	s_mul_i32 s10, s10, 11
	v_add_lshl_u32 v2, v1, s10, 7
	s_waitcnt lgkmcnt(0)
	s_ashr_i32 s9, s11, 31
	s_mul_hi_u32 s14, s8, s11
	s_mul_i32 s9, s8, s9
	s_add_i32 s9, s14, s9
	s_mul_i32 s8, s8, s11
	s_lshl_b64 s[8:9], s[8:9], 1
	s_add_u32 s8, s12, s8
	v_ashrrev_i32_e32 v3, 31, v2
	s_addc_u32 s9, s13, s9
	v_lshlrev_b64 v[2:3], 1, v[2:3]
	v_and_b32_e32 v4, 15, v0
	v_mov_b32_e32 v5, s9
	v_add_co_u32_e32 v2, vcc, s8, v2
	v_addc_co_u32_e32 v3, vcc, v5, v3, vcc
	v_lshlrev_b32_e32 v4, 4, v4
	v_add_co_u32_e32 v2, vcc, v2, v4
	v_addc_co_u32_e32 v3, vcc, 0, v3, vcc
	global_load_dwordx4 v[2:5], v[2:3], off
	v_lshlrev_b32_e32 v6, 4, v0
	v_lshlrev_b32_e32 v0, 8, v0
	v_and_b32_e32 v6, 16, v6
	v_lshlrev_b32_e32 v1, 5, v1
	v_and_b32_e32 v0, 0xe00, v0
	v_or3_b32 v0, v0, v1, v6
	s_waitcnt vmcnt(0)
	ds_write_b128 v0, v[2:5]
.LBB764_9:
	s_or_b64 exec, exec, s[6:7]
	s_waitcnt lgkmcnt(0)
	s_add_u32 s8, s4, 0x90
	s_addc_u32 s9, s5, 0
	s_getpc_b64 s[4:5]
	s_add_u32 s4, s4, __PRETTY_FUNCTION__._Z39paged_attention_ll4mi_QKV_mfma16_kernelI14__hip_bfloat16hLN4vllm18Fp8KVCacheDataTypeE1ES0_Li16ELi128ELi256ELb1ELi11EL8MFMAType1EEvPKT_PKT0_S9_ifPKiSB_SB_iPKfiiiPfSE_PS4_PT2_iSD_SD_@rel32@lo+4
	s_addc_u32 s5, s5, __PRETTY_FUNCTION__._Z39paged_attention_ll4mi_QKV_mfma16_kernelI14__hip_bfloat16hLN4vllm18Fp8KVCacheDataTypeE1ES0_Li16ELi128ELi256ELb1ELi11EL8MFMAType1EEvPKT_PKT0_S9_ifPKiSB_SB_iPKfiiiPfSE_PS4_PT2_iSD_SD_@rel32@hi+12
	v_mov_b32_e32 v0, 0x288
	v_mov_b32_e32 v1, s4
	;; [unrolled: 1-line block ×3, first 2 shown]
	s_barrier
	s_getpc_b64 s[6:7]
	s_add_u32 s6, s6, __assert_fail@rel32@lo+4
	s_addc_u32 s7, s7, __assert_fail@rel32@hi+12
	s_swappc_b64 s[30:31], s[6:7]
	; divergent unreachable
.LBB764_10:
	s_endpgm
.LBB764_11:
	s_mov_b64 s[18:19], 0
	s_branch .LBB764_2
	.section	.rodata,"a",@progbits
	.p2align	6, 0x0
	.amdhsa_kernel _Z39paged_attention_ll4mi_QKV_mfma16_kernelI14__hip_bfloat16hLN4vllm18Fp8KVCacheDataTypeE1ES0_Li16ELi128ELi256ELb1ELi11EL8MFMAType1EEvPKT_PKT0_S9_ifPKiSB_SB_iPKfiiiPfSE_PS4_PT2_iSD_SD_
		.amdhsa_group_segment_fixed_size 8192
		.amdhsa_private_segment_fixed_size 64
		.amdhsa_kernarg_size 400
		.amdhsa_user_sgpr_count 8
		.amdhsa_user_sgpr_private_segment_buffer 1
		.amdhsa_user_sgpr_dispatch_ptr 0
		.amdhsa_user_sgpr_queue_ptr 0
		.amdhsa_user_sgpr_kernarg_segment_ptr 1
		.amdhsa_user_sgpr_dispatch_id 0
		.amdhsa_user_sgpr_flat_scratch_init 1
		.amdhsa_user_sgpr_kernarg_preload_length 0
		.amdhsa_user_sgpr_kernarg_preload_offset 0
		.amdhsa_user_sgpr_private_segment_size 0
		.amdhsa_uses_dynamic_stack 0
		.amdhsa_system_sgpr_private_segment_wavefront_offset 1
		.amdhsa_system_sgpr_workgroup_id_x 1
		.amdhsa_system_sgpr_workgroup_id_y 1
		.amdhsa_system_sgpr_workgroup_id_z 1
		.amdhsa_system_sgpr_workgroup_info 0
		.amdhsa_system_vgpr_workitem_id 0
		.amdhsa_next_free_vgpr 45
		.amdhsa_next_free_sgpr 34
		.amdhsa_accum_offset 44
		.amdhsa_reserve_vcc 1
		.amdhsa_reserve_flat_scratch 1
		.amdhsa_float_round_mode_32 0
		.amdhsa_float_round_mode_16_64 0
		.amdhsa_float_denorm_mode_32 3
		.amdhsa_float_denorm_mode_16_64 3
		.amdhsa_dx10_clamp 1
		.amdhsa_ieee_mode 1
		.amdhsa_fp16_overflow 0
		.amdhsa_tg_split 0
		.amdhsa_exception_fp_ieee_invalid_op 0
		.amdhsa_exception_fp_denorm_src 0
		.amdhsa_exception_fp_ieee_div_zero 0
		.amdhsa_exception_fp_ieee_overflow 0
		.amdhsa_exception_fp_ieee_underflow 0
		.amdhsa_exception_fp_ieee_inexact 0
		.amdhsa_exception_int_div_zero 0
	.end_amdhsa_kernel
	.section	.text._Z39paged_attention_ll4mi_QKV_mfma16_kernelI14__hip_bfloat16hLN4vllm18Fp8KVCacheDataTypeE1ES0_Li16ELi128ELi256ELb1ELi11EL8MFMAType1EEvPKT_PKT0_S9_ifPKiSB_SB_iPKfiiiPfSE_PS4_PT2_iSD_SD_,"axG",@progbits,_Z39paged_attention_ll4mi_QKV_mfma16_kernelI14__hip_bfloat16hLN4vllm18Fp8KVCacheDataTypeE1ES0_Li16ELi128ELi256ELb1ELi11EL8MFMAType1EEvPKT_PKT0_S9_ifPKiSB_SB_iPKfiiiPfSE_PS4_PT2_iSD_SD_,comdat
.Lfunc_end764:
	.size	_Z39paged_attention_ll4mi_QKV_mfma16_kernelI14__hip_bfloat16hLN4vllm18Fp8KVCacheDataTypeE1ES0_Li16ELi128ELi256ELb1ELi11EL8MFMAType1EEvPKT_PKT0_S9_ifPKiSB_SB_iPKfiiiPfSE_PS4_PT2_iSD_SD_, .Lfunc_end764-_Z39paged_attention_ll4mi_QKV_mfma16_kernelI14__hip_bfloat16hLN4vllm18Fp8KVCacheDataTypeE1ES0_Li16ELi128ELi256ELb1ELi11EL8MFMAType1EEvPKT_PKT0_S9_ifPKiSB_SB_iPKfiiiPfSE_PS4_PT2_iSD_SD_
                                        ; -- End function
	.section	.AMDGPU.csdata,"",@progbits
; Kernel info:
; codeLenInByte = 492
; NumSgprs: 40
; NumVgprs: 42
; NumAgprs: 1
; TotalNumVgprs: 45
; ScratchSize: 64
; MemoryBound: 0
; FloatMode: 240
; IeeeMode: 1
; LDSByteSize: 8192 bytes/workgroup (compile time only)
; SGPRBlocks: 4
; VGPRBlocks: 5
; NumSGPRsForWavesPerEU: 40
; NumVGPRsForWavesPerEU: 45
; AccumOffset: 44
; Occupancy: 8
; WaveLimiterHint : 1
; COMPUTE_PGM_RSRC2:SCRATCH_EN: 1
; COMPUTE_PGM_RSRC2:USER_SGPR: 8
; COMPUTE_PGM_RSRC2:TRAP_HANDLER: 0
; COMPUTE_PGM_RSRC2:TGID_X_EN: 1
; COMPUTE_PGM_RSRC2:TGID_Y_EN: 1
; COMPUTE_PGM_RSRC2:TGID_Z_EN: 1
; COMPUTE_PGM_RSRC2:TIDIG_COMP_CNT: 0
; COMPUTE_PGM_RSRC3_GFX90A:ACCUM_OFFSET: 10
; COMPUTE_PGM_RSRC3_GFX90A:TG_SPLIT: 0
	.section	.text._Z39paged_attention_ll4mi_QKV_mfma16_kernelI14__hip_bfloat16hLN4vllm18Fp8KVCacheDataTypeE1ES0_Li16ELi128ELi256ELb1ELi12EL8MFMAType1EEvPKT_PKT0_S9_ifPKiSB_SB_iPKfiiiPfSE_PS4_PT2_iSD_SD_,"axG",@progbits,_Z39paged_attention_ll4mi_QKV_mfma16_kernelI14__hip_bfloat16hLN4vllm18Fp8KVCacheDataTypeE1ES0_Li16ELi128ELi256ELb1ELi12EL8MFMAType1EEvPKT_PKT0_S9_ifPKiSB_SB_iPKfiiiPfSE_PS4_PT2_iSD_SD_,comdat
	.protected	_Z39paged_attention_ll4mi_QKV_mfma16_kernelI14__hip_bfloat16hLN4vllm18Fp8KVCacheDataTypeE1ES0_Li16ELi128ELi256ELb1ELi12EL8MFMAType1EEvPKT_PKT0_S9_ifPKiSB_SB_iPKfiiiPfSE_PS4_PT2_iSD_SD_ ; -- Begin function _Z39paged_attention_ll4mi_QKV_mfma16_kernelI14__hip_bfloat16hLN4vllm18Fp8KVCacheDataTypeE1ES0_Li16ELi128ELi256ELb1ELi12EL8MFMAType1EEvPKT_PKT0_S9_ifPKiSB_SB_iPKfiiiPfSE_PS4_PT2_iSD_SD_
	.globl	_Z39paged_attention_ll4mi_QKV_mfma16_kernelI14__hip_bfloat16hLN4vllm18Fp8KVCacheDataTypeE1ES0_Li16ELi128ELi256ELb1ELi12EL8MFMAType1EEvPKT_PKT0_S9_ifPKiSB_SB_iPKfiiiPfSE_PS4_PT2_iSD_SD_
	.p2align	8
	.type	_Z39paged_attention_ll4mi_QKV_mfma16_kernelI14__hip_bfloat16hLN4vllm18Fp8KVCacheDataTypeE1ES0_Li16ELi128ELi256ELb1ELi12EL8MFMAType1EEvPKT_PKT0_S9_ifPKiSB_SB_iPKfiiiPfSE_PS4_PT2_iSD_SD_,@function
_Z39paged_attention_ll4mi_QKV_mfma16_kernelI14__hip_bfloat16hLN4vllm18Fp8KVCacheDataTypeE1ES0_Li16ELi128ELi256ELb1ELi12EL8MFMAType1EEvPKT_PKT0_S9_ifPKiSB_SB_iPKfiiiPfSE_PS4_PT2_iSD_SD_: ; @_Z39paged_attention_ll4mi_QKV_mfma16_kernelI14__hip_bfloat16hLN4vllm18Fp8KVCacheDataTypeE1ES0_Li16ELi128ELi256ELb1ELi12EL8MFMAType1EEvPKT_PKT0_S9_ifPKiSB_SB_iPKfiiiPfSE_PS4_PT2_iSD_SD_
; %bb.0:
	s_load_dwordx2 s[12:13], s[4:5], 0x30
	s_add_u32 flat_scratch_lo, s6, s11
	s_addc_u32 flat_scratch_hi, s7, 0
	s_add_u32 s0, s0, s11
	s_addc_u32 s1, s1, 0
	s_waitcnt lgkmcnt(0)
	s_cmp_lg_u64 s[12:13], 0
	s_cselect_b64 s[14:15], -1, 0
	s_mov_b32 s6, s9
	s_mov_b64 s[16:17], 0
	s_and_b64 vcc, exec, s[14:15]
	s_mov_b32 s32, 0
	s_cbranch_vccz .LBB765_11
; %bb.1:
	s_add_i32 s18, s8, 1
	s_mov_b32 s19, 0
	s_lshl_b64 s[20:21], s[18:19], 2
	s_add_u32 s20, s12, s20
	s_mov_b32 s9, s19
	s_addc_u32 s21, s13, s21
	s_lshl_b64 s[18:19], s[8:9], 2
	s_add_u32 s18, s12, s18
	s_addc_u32 s19, s13, s19
	s_load_dword s7, s[20:21], 0x0
	s_load_dword s11, s[18:19], 0x0
	s_waitcnt lgkmcnt(0)
	s_sub_i32 s7, s7, s11
	s_cmp_eq_u32 s7, 1
	s_cselect_b64 s[18:19], -1, 0
	s_andn2_b64 vcc, exec, s[16:17]
	s_cbranch_vccnz .LBB765_3
.LBB765_2:
	s_mov_b32 s9, 0
	s_mov_b64 s[18:19], -1
.LBB765_3:
	s_andn2_b64 vcc, exec, s[18:19]
	s_cbranch_vccnz .LBB765_10
; %bb.4:
	s_load_dwordx2 s[18:19], s[4:5], 0x28
	s_lshl_b64 s[16:17], s[8:9], 2
	s_waitcnt lgkmcnt(0)
	s_add_u32 s18, s18, s16
	s_addc_u32 s19, s19, s17
	s_load_dword s7, s[18:19], 0x0
	s_lshl_b32 s6, s6, 8
	s_waitcnt lgkmcnt(0)
	s_cmp_ge_i32 s6, s7
	s_cbranch_scc1 .LBB765_10
; %bb.5:
	s_andn2_b64 vcc, exec, s[14:15]
	s_cbranch_vccnz .LBB765_7
; %bb.6:
	s_add_u32 s6, s12, s16
	s_addc_u32 s7, s13, s17
	s_load_dword s8, s[6:7], 0x0
.LBB765_7:
	s_movk_i32 s6, 0xc0
	v_cmp_gt_u32_e32 vcc, s6, v0
	s_and_saveexec_b64 s[6:7], vcc
	s_cbranch_execz .LBB765_9
; %bb.8:
	s_load_dword s11, s[4:5], 0x48
	s_load_dwordx2 s[12:13], s[4:5], 0x0
	v_lshrrev_b32_e32 v1, 4, v0
	s_mul_i32 s10, s10, 12
	v_add_lshl_u32 v2, v1, s10, 7
	s_waitcnt lgkmcnt(0)
	s_ashr_i32 s9, s11, 31
	s_mul_hi_u32 s14, s8, s11
	s_mul_i32 s9, s8, s9
	s_add_i32 s9, s14, s9
	s_mul_i32 s8, s8, s11
	s_lshl_b64 s[8:9], s[8:9], 1
	s_add_u32 s8, s12, s8
	v_ashrrev_i32_e32 v3, 31, v2
	s_addc_u32 s9, s13, s9
	v_lshlrev_b64 v[2:3], 1, v[2:3]
	v_and_b32_e32 v4, 15, v0
	v_mov_b32_e32 v5, s9
	v_add_co_u32_e32 v2, vcc, s8, v2
	v_addc_co_u32_e32 v3, vcc, v5, v3, vcc
	v_lshlrev_b32_e32 v4, 4, v4
	v_add_co_u32_e32 v2, vcc, v2, v4
	v_addc_co_u32_e32 v3, vcc, 0, v3, vcc
	global_load_dwordx4 v[2:5], v[2:3], off
	v_lshlrev_b32_e32 v6, 4, v0
	v_lshlrev_b32_e32 v0, 8, v0
	v_and_b32_e32 v6, 16, v6
	v_lshlrev_b32_e32 v1, 5, v1
	v_and_b32_e32 v0, 0xe00, v0
	v_or3_b32 v0, v0, v1, v6
	s_waitcnt vmcnt(0)
	ds_write_b128 v0, v[2:5]
.LBB765_9:
	s_or_b64 exec, exec, s[6:7]
	s_waitcnt lgkmcnt(0)
	s_add_u32 s8, s4, 0x90
	s_addc_u32 s9, s5, 0
	s_getpc_b64 s[4:5]
	s_add_u32 s4, s4, __PRETTY_FUNCTION__._Z39paged_attention_ll4mi_QKV_mfma16_kernelI14__hip_bfloat16hLN4vllm18Fp8KVCacheDataTypeE1ES0_Li16ELi128ELi256ELb1ELi12EL8MFMAType1EEvPKT_PKT0_S9_ifPKiSB_SB_iPKfiiiPfSE_PS4_PT2_iSD_SD_@rel32@lo+4
	s_addc_u32 s5, s5, __PRETTY_FUNCTION__._Z39paged_attention_ll4mi_QKV_mfma16_kernelI14__hip_bfloat16hLN4vllm18Fp8KVCacheDataTypeE1ES0_Li16ELi128ELi256ELb1ELi12EL8MFMAType1EEvPKT_PKT0_S9_ifPKiSB_SB_iPKfiiiPfSE_PS4_PT2_iSD_SD_@rel32@hi+12
	v_mov_b32_e32 v0, 0x288
	v_mov_b32_e32 v1, s4
	;; [unrolled: 1-line block ×3, first 2 shown]
	s_barrier
	s_getpc_b64 s[6:7]
	s_add_u32 s6, s6, __assert_fail@rel32@lo+4
	s_addc_u32 s7, s7, __assert_fail@rel32@hi+12
	s_swappc_b64 s[30:31], s[6:7]
	; divergent unreachable
.LBB765_10:
	s_endpgm
.LBB765_11:
	s_mov_b64 s[18:19], 0
	s_branch .LBB765_2
	.section	.rodata,"a",@progbits
	.p2align	6, 0x0
	.amdhsa_kernel _Z39paged_attention_ll4mi_QKV_mfma16_kernelI14__hip_bfloat16hLN4vllm18Fp8KVCacheDataTypeE1ES0_Li16ELi128ELi256ELb1ELi12EL8MFMAType1EEvPKT_PKT0_S9_ifPKiSB_SB_iPKfiiiPfSE_PS4_PT2_iSD_SD_
		.amdhsa_group_segment_fixed_size 8192
		.amdhsa_private_segment_fixed_size 64
		.amdhsa_kernarg_size 400
		.amdhsa_user_sgpr_count 8
		.amdhsa_user_sgpr_private_segment_buffer 1
		.amdhsa_user_sgpr_dispatch_ptr 0
		.amdhsa_user_sgpr_queue_ptr 0
		.amdhsa_user_sgpr_kernarg_segment_ptr 1
		.amdhsa_user_sgpr_dispatch_id 0
		.amdhsa_user_sgpr_flat_scratch_init 1
		.amdhsa_user_sgpr_kernarg_preload_length 0
		.amdhsa_user_sgpr_kernarg_preload_offset 0
		.amdhsa_user_sgpr_private_segment_size 0
		.amdhsa_uses_dynamic_stack 0
		.amdhsa_system_sgpr_private_segment_wavefront_offset 1
		.amdhsa_system_sgpr_workgroup_id_x 1
		.amdhsa_system_sgpr_workgroup_id_y 1
		.amdhsa_system_sgpr_workgroup_id_z 1
		.amdhsa_system_sgpr_workgroup_info 0
		.amdhsa_system_vgpr_workitem_id 0
		.amdhsa_next_free_vgpr 45
		.amdhsa_next_free_sgpr 34
		.amdhsa_accum_offset 44
		.amdhsa_reserve_vcc 1
		.amdhsa_reserve_flat_scratch 1
		.amdhsa_float_round_mode_32 0
		.amdhsa_float_round_mode_16_64 0
		.amdhsa_float_denorm_mode_32 3
		.amdhsa_float_denorm_mode_16_64 3
		.amdhsa_dx10_clamp 1
		.amdhsa_ieee_mode 1
		.amdhsa_fp16_overflow 0
		.amdhsa_tg_split 0
		.amdhsa_exception_fp_ieee_invalid_op 0
		.amdhsa_exception_fp_denorm_src 0
		.amdhsa_exception_fp_ieee_div_zero 0
		.amdhsa_exception_fp_ieee_overflow 0
		.amdhsa_exception_fp_ieee_underflow 0
		.amdhsa_exception_fp_ieee_inexact 0
		.amdhsa_exception_int_div_zero 0
	.end_amdhsa_kernel
	.section	.text._Z39paged_attention_ll4mi_QKV_mfma16_kernelI14__hip_bfloat16hLN4vllm18Fp8KVCacheDataTypeE1ES0_Li16ELi128ELi256ELb1ELi12EL8MFMAType1EEvPKT_PKT0_S9_ifPKiSB_SB_iPKfiiiPfSE_PS4_PT2_iSD_SD_,"axG",@progbits,_Z39paged_attention_ll4mi_QKV_mfma16_kernelI14__hip_bfloat16hLN4vllm18Fp8KVCacheDataTypeE1ES0_Li16ELi128ELi256ELb1ELi12EL8MFMAType1EEvPKT_PKT0_S9_ifPKiSB_SB_iPKfiiiPfSE_PS4_PT2_iSD_SD_,comdat
.Lfunc_end765:
	.size	_Z39paged_attention_ll4mi_QKV_mfma16_kernelI14__hip_bfloat16hLN4vllm18Fp8KVCacheDataTypeE1ES0_Li16ELi128ELi256ELb1ELi12EL8MFMAType1EEvPKT_PKT0_S9_ifPKiSB_SB_iPKfiiiPfSE_PS4_PT2_iSD_SD_, .Lfunc_end765-_Z39paged_attention_ll4mi_QKV_mfma16_kernelI14__hip_bfloat16hLN4vllm18Fp8KVCacheDataTypeE1ES0_Li16ELi128ELi256ELb1ELi12EL8MFMAType1EEvPKT_PKT0_S9_ifPKiSB_SB_iPKfiiiPfSE_PS4_PT2_iSD_SD_
                                        ; -- End function
	.section	.AMDGPU.csdata,"",@progbits
; Kernel info:
; codeLenInByte = 492
; NumSgprs: 40
; NumVgprs: 42
; NumAgprs: 1
; TotalNumVgprs: 45
; ScratchSize: 64
; MemoryBound: 0
; FloatMode: 240
; IeeeMode: 1
; LDSByteSize: 8192 bytes/workgroup (compile time only)
; SGPRBlocks: 4
; VGPRBlocks: 5
; NumSGPRsForWavesPerEU: 40
; NumVGPRsForWavesPerEU: 45
; AccumOffset: 44
; Occupancy: 8
; WaveLimiterHint : 1
; COMPUTE_PGM_RSRC2:SCRATCH_EN: 1
; COMPUTE_PGM_RSRC2:USER_SGPR: 8
; COMPUTE_PGM_RSRC2:TRAP_HANDLER: 0
; COMPUTE_PGM_RSRC2:TGID_X_EN: 1
; COMPUTE_PGM_RSRC2:TGID_Y_EN: 1
; COMPUTE_PGM_RSRC2:TGID_Z_EN: 1
; COMPUTE_PGM_RSRC2:TIDIG_COMP_CNT: 0
; COMPUTE_PGM_RSRC3_GFX90A:ACCUM_OFFSET: 10
; COMPUTE_PGM_RSRC3_GFX90A:TG_SPLIT: 0
	.section	.text._Z39paged_attention_ll4mi_QKV_mfma16_kernelI14__hip_bfloat16hLN4vllm18Fp8KVCacheDataTypeE1ES0_Li16ELi128ELi256ELb1ELi13EL8MFMAType1EEvPKT_PKT0_S9_ifPKiSB_SB_iPKfiiiPfSE_PS4_PT2_iSD_SD_,"axG",@progbits,_Z39paged_attention_ll4mi_QKV_mfma16_kernelI14__hip_bfloat16hLN4vllm18Fp8KVCacheDataTypeE1ES0_Li16ELi128ELi256ELb1ELi13EL8MFMAType1EEvPKT_PKT0_S9_ifPKiSB_SB_iPKfiiiPfSE_PS4_PT2_iSD_SD_,comdat
	.protected	_Z39paged_attention_ll4mi_QKV_mfma16_kernelI14__hip_bfloat16hLN4vllm18Fp8KVCacheDataTypeE1ES0_Li16ELi128ELi256ELb1ELi13EL8MFMAType1EEvPKT_PKT0_S9_ifPKiSB_SB_iPKfiiiPfSE_PS4_PT2_iSD_SD_ ; -- Begin function _Z39paged_attention_ll4mi_QKV_mfma16_kernelI14__hip_bfloat16hLN4vllm18Fp8KVCacheDataTypeE1ES0_Li16ELi128ELi256ELb1ELi13EL8MFMAType1EEvPKT_PKT0_S9_ifPKiSB_SB_iPKfiiiPfSE_PS4_PT2_iSD_SD_
	.globl	_Z39paged_attention_ll4mi_QKV_mfma16_kernelI14__hip_bfloat16hLN4vllm18Fp8KVCacheDataTypeE1ES0_Li16ELi128ELi256ELb1ELi13EL8MFMAType1EEvPKT_PKT0_S9_ifPKiSB_SB_iPKfiiiPfSE_PS4_PT2_iSD_SD_
	.p2align	8
	.type	_Z39paged_attention_ll4mi_QKV_mfma16_kernelI14__hip_bfloat16hLN4vllm18Fp8KVCacheDataTypeE1ES0_Li16ELi128ELi256ELb1ELi13EL8MFMAType1EEvPKT_PKT0_S9_ifPKiSB_SB_iPKfiiiPfSE_PS4_PT2_iSD_SD_,@function
_Z39paged_attention_ll4mi_QKV_mfma16_kernelI14__hip_bfloat16hLN4vllm18Fp8KVCacheDataTypeE1ES0_Li16ELi128ELi256ELb1ELi13EL8MFMAType1EEvPKT_PKT0_S9_ifPKiSB_SB_iPKfiiiPfSE_PS4_PT2_iSD_SD_: ; @_Z39paged_attention_ll4mi_QKV_mfma16_kernelI14__hip_bfloat16hLN4vllm18Fp8KVCacheDataTypeE1ES0_Li16ELi128ELi256ELb1ELi13EL8MFMAType1EEvPKT_PKT0_S9_ifPKiSB_SB_iPKfiiiPfSE_PS4_PT2_iSD_SD_
; %bb.0:
	s_load_dwordx2 s[12:13], s[4:5], 0x30
	s_add_u32 flat_scratch_lo, s6, s11
	s_addc_u32 flat_scratch_hi, s7, 0
	s_add_u32 s0, s0, s11
	s_addc_u32 s1, s1, 0
	s_waitcnt lgkmcnt(0)
	s_cmp_lg_u64 s[12:13], 0
	s_cselect_b64 s[14:15], -1, 0
	s_mov_b32 s6, s9
	s_mov_b64 s[16:17], 0
	s_and_b64 vcc, exec, s[14:15]
	s_mov_b32 s32, 0
	s_cbranch_vccz .LBB766_11
; %bb.1:
	s_add_i32 s18, s8, 1
	s_mov_b32 s19, 0
	s_lshl_b64 s[20:21], s[18:19], 2
	s_add_u32 s20, s12, s20
	s_mov_b32 s9, s19
	s_addc_u32 s21, s13, s21
	s_lshl_b64 s[18:19], s[8:9], 2
	s_add_u32 s18, s12, s18
	s_addc_u32 s19, s13, s19
	s_load_dword s7, s[20:21], 0x0
	s_load_dword s11, s[18:19], 0x0
	s_waitcnt lgkmcnt(0)
	s_sub_i32 s7, s7, s11
	s_cmp_eq_u32 s7, 1
	s_cselect_b64 s[18:19], -1, 0
	s_andn2_b64 vcc, exec, s[16:17]
	s_cbranch_vccnz .LBB766_3
.LBB766_2:
	s_mov_b32 s9, 0
	s_mov_b64 s[18:19], -1
.LBB766_3:
	s_andn2_b64 vcc, exec, s[18:19]
	s_cbranch_vccnz .LBB766_10
; %bb.4:
	s_load_dwordx2 s[18:19], s[4:5], 0x28
	s_lshl_b64 s[16:17], s[8:9], 2
	s_waitcnt lgkmcnt(0)
	s_add_u32 s18, s18, s16
	s_addc_u32 s19, s19, s17
	s_load_dword s7, s[18:19], 0x0
	s_lshl_b32 s6, s6, 8
	s_waitcnt lgkmcnt(0)
	s_cmp_ge_i32 s6, s7
	s_cbranch_scc1 .LBB766_10
; %bb.5:
	s_andn2_b64 vcc, exec, s[14:15]
	s_cbranch_vccnz .LBB766_7
; %bb.6:
	s_add_u32 s6, s12, s16
	s_addc_u32 s7, s13, s17
	s_load_dword s8, s[6:7], 0x0
.LBB766_7:
	s_movk_i32 s6, 0xd0
	v_cmp_gt_u32_e32 vcc, s6, v0
	s_and_saveexec_b64 s[6:7], vcc
	s_cbranch_execz .LBB766_9
; %bb.8:
	s_load_dword s11, s[4:5], 0x48
	s_load_dwordx2 s[12:13], s[4:5], 0x0
	v_lshrrev_b32_e32 v1, 4, v0
	s_mul_i32 s10, s10, 13
	v_add_lshl_u32 v2, v1, s10, 7
	s_waitcnt lgkmcnt(0)
	s_ashr_i32 s9, s11, 31
	s_mul_hi_u32 s14, s8, s11
	s_mul_i32 s9, s8, s9
	s_add_i32 s9, s14, s9
	s_mul_i32 s8, s8, s11
	s_lshl_b64 s[8:9], s[8:9], 1
	s_add_u32 s8, s12, s8
	v_ashrrev_i32_e32 v3, 31, v2
	s_addc_u32 s9, s13, s9
	v_lshlrev_b64 v[2:3], 1, v[2:3]
	v_and_b32_e32 v4, 15, v0
	v_mov_b32_e32 v5, s9
	v_add_co_u32_e32 v2, vcc, s8, v2
	v_addc_co_u32_e32 v3, vcc, v5, v3, vcc
	v_lshlrev_b32_e32 v4, 4, v4
	v_add_co_u32_e32 v2, vcc, v2, v4
	v_addc_co_u32_e32 v3, vcc, 0, v3, vcc
	global_load_dwordx4 v[2:5], v[2:3], off
	v_lshlrev_b32_e32 v6, 4, v0
	v_lshlrev_b32_e32 v0, 8, v0
	v_and_b32_e32 v6, 16, v6
	v_lshlrev_b32_e32 v1, 5, v1
	v_and_b32_e32 v0, 0xe00, v0
	v_or3_b32 v0, v0, v1, v6
	s_waitcnt vmcnt(0)
	ds_write_b128 v0, v[2:5]
.LBB766_9:
	s_or_b64 exec, exec, s[6:7]
	s_waitcnt lgkmcnt(0)
	s_add_u32 s8, s4, 0x90
	s_addc_u32 s9, s5, 0
	s_getpc_b64 s[4:5]
	s_add_u32 s4, s4, __PRETTY_FUNCTION__._Z39paged_attention_ll4mi_QKV_mfma16_kernelI14__hip_bfloat16hLN4vllm18Fp8KVCacheDataTypeE1ES0_Li16ELi128ELi256ELb1ELi13EL8MFMAType1EEvPKT_PKT0_S9_ifPKiSB_SB_iPKfiiiPfSE_PS4_PT2_iSD_SD_@rel32@lo+4
	s_addc_u32 s5, s5, __PRETTY_FUNCTION__._Z39paged_attention_ll4mi_QKV_mfma16_kernelI14__hip_bfloat16hLN4vllm18Fp8KVCacheDataTypeE1ES0_Li16ELi128ELi256ELb1ELi13EL8MFMAType1EEvPKT_PKT0_S9_ifPKiSB_SB_iPKfiiiPfSE_PS4_PT2_iSD_SD_@rel32@hi+12
	v_mov_b32_e32 v0, 0x288
	v_mov_b32_e32 v1, s4
	;; [unrolled: 1-line block ×3, first 2 shown]
	s_barrier
	s_getpc_b64 s[6:7]
	s_add_u32 s6, s6, __assert_fail@rel32@lo+4
	s_addc_u32 s7, s7, __assert_fail@rel32@hi+12
	s_swappc_b64 s[30:31], s[6:7]
	; divergent unreachable
.LBB766_10:
	s_endpgm
.LBB766_11:
	s_mov_b64 s[18:19], 0
	s_branch .LBB766_2
	.section	.rodata,"a",@progbits
	.p2align	6, 0x0
	.amdhsa_kernel _Z39paged_attention_ll4mi_QKV_mfma16_kernelI14__hip_bfloat16hLN4vllm18Fp8KVCacheDataTypeE1ES0_Li16ELi128ELi256ELb1ELi13EL8MFMAType1EEvPKT_PKT0_S9_ifPKiSB_SB_iPKfiiiPfSE_PS4_PT2_iSD_SD_
		.amdhsa_group_segment_fixed_size 8192
		.amdhsa_private_segment_fixed_size 64
		.amdhsa_kernarg_size 400
		.amdhsa_user_sgpr_count 8
		.amdhsa_user_sgpr_private_segment_buffer 1
		.amdhsa_user_sgpr_dispatch_ptr 0
		.amdhsa_user_sgpr_queue_ptr 0
		.amdhsa_user_sgpr_kernarg_segment_ptr 1
		.amdhsa_user_sgpr_dispatch_id 0
		.amdhsa_user_sgpr_flat_scratch_init 1
		.amdhsa_user_sgpr_kernarg_preload_length 0
		.amdhsa_user_sgpr_kernarg_preload_offset 0
		.amdhsa_user_sgpr_private_segment_size 0
		.amdhsa_uses_dynamic_stack 0
		.amdhsa_system_sgpr_private_segment_wavefront_offset 1
		.amdhsa_system_sgpr_workgroup_id_x 1
		.amdhsa_system_sgpr_workgroup_id_y 1
		.amdhsa_system_sgpr_workgroup_id_z 1
		.amdhsa_system_sgpr_workgroup_info 0
		.amdhsa_system_vgpr_workitem_id 0
		.amdhsa_next_free_vgpr 45
		.amdhsa_next_free_sgpr 34
		.amdhsa_accum_offset 44
		.amdhsa_reserve_vcc 1
		.amdhsa_reserve_flat_scratch 1
		.amdhsa_float_round_mode_32 0
		.amdhsa_float_round_mode_16_64 0
		.amdhsa_float_denorm_mode_32 3
		.amdhsa_float_denorm_mode_16_64 3
		.amdhsa_dx10_clamp 1
		.amdhsa_ieee_mode 1
		.amdhsa_fp16_overflow 0
		.amdhsa_tg_split 0
		.amdhsa_exception_fp_ieee_invalid_op 0
		.amdhsa_exception_fp_denorm_src 0
		.amdhsa_exception_fp_ieee_div_zero 0
		.amdhsa_exception_fp_ieee_overflow 0
		.amdhsa_exception_fp_ieee_underflow 0
		.amdhsa_exception_fp_ieee_inexact 0
		.amdhsa_exception_int_div_zero 0
	.end_amdhsa_kernel
	.section	.text._Z39paged_attention_ll4mi_QKV_mfma16_kernelI14__hip_bfloat16hLN4vllm18Fp8KVCacheDataTypeE1ES0_Li16ELi128ELi256ELb1ELi13EL8MFMAType1EEvPKT_PKT0_S9_ifPKiSB_SB_iPKfiiiPfSE_PS4_PT2_iSD_SD_,"axG",@progbits,_Z39paged_attention_ll4mi_QKV_mfma16_kernelI14__hip_bfloat16hLN4vllm18Fp8KVCacheDataTypeE1ES0_Li16ELi128ELi256ELb1ELi13EL8MFMAType1EEvPKT_PKT0_S9_ifPKiSB_SB_iPKfiiiPfSE_PS4_PT2_iSD_SD_,comdat
.Lfunc_end766:
	.size	_Z39paged_attention_ll4mi_QKV_mfma16_kernelI14__hip_bfloat16hLN4vllm18Fp8KVCacheDataTypeE1ES0_Li16ELi128ELi256ELb1ELi13EL8MFMAType1EEvPKT_PKT0_S9_ifPKiSB_SB_iPKfiiiPfSE_PS4_PT2_iSD_SD_, .Lfunc_end766-_Z39paged_attention_ll4mi_QKV_mfma16_kernelI14__hip_bfloat16hLN4vllm18Fp8KVCacheDataTypeE1ES0_Li16ELi128ELi256ELb1ELi13EL8MFMAType1EEvPKT_PKT0_S9_ifPKiSB_SB_iPKfiiiPfSE_PS4_PT2_iSD_SD_
                                        ; -- End function
	.section	.AMDGPU.csdata,"",@progbits
; Kernel info:
; codeLenInByte = 492
; NumSgprs: 40
; NumVgprs: 42
; NumAgprs: 1
; TotalNumVgprs: 45
; ScratchSize: 64
; MemoryBound: 0
; FloatMode: 240
; IeeeMode: 1
; LDSByteSize: 8192 bytes/workgroup (compile time only)
; SGPRBlocks: 4
; VGPRBlocks: 5
; NumSGPRsForWavesPerEU: 40
; NumVGPRsForWavesPerEU: 45
; AccumOffset: 44
; Occupancy: 8
; WaveLimiterHint : 1
; COMPUTE_PGM_RSRC2:SCRATCH_EN: 1
; COMPUTE_PGM_RSRC2:USER_SGPR: 8
; COMPUTE_PGM_RSRC2:TRAP_HANDLER: 0
; COMPUTE_PGM_RSRC2:TGID_X_EN: 1
; COMPUTE_PGM_RSRC2:TGID_Y_EN: 1
; COMPUTE_PGM_RSRC2:TGID_Z_EN: 1
; COMPUTE_PGM_RSRC2:TIDIG_COMP_CNT: 0
; COMPUTE_PGM_RSRC3_GFX90A:ACCUM_OFFSET: 10
; COMPUTE_PGM_RSRC3_GFX90A:TG_SPLIT: 0
	.section	.text._Z39paged_attention_ll4mi_QKV_mfma16_kernelI14__hip_bfloat16hLN4vllm18Fp8KVCacheDataTypeE1ES0_Li16ELi128ELi256ELb1ELi14EL8MFMAType1EEvPKT_PKT0_S9_ifPKiSB_SB_iPKfiiiPfSE_PS4_PT2_iSD_SD_,"axG",@progbits,_Z39paged_attention_ll4mi_QKV_mfma16_kernelI14__hip_bfloat16hLN4vllm18Fp8KVCacheDataTypeE1ES0_Li16ELi128ELi256ELb1ELi14EL8MFMAType1EEvPKT_PKT0_S9_ifPKiSB_SB_iPKfiiiPfSE_PS4_PT2_iSD_SD_,comdat
	.protected	_Z39paged_attention_ll4mi_QKV_mfma16_kernelI14__hip_bfloat16hLN4vllm18Fp8KVCacheDataTypeE1ES0_Li16ELi128ELi256ELb1ELi14EL8MFMAType1EEvPKT_PKT0_S9_ifPKiSB_SB_iPKfiiiPfSE_PS4_PT2_iSD_SD_ ; -- Begin function _Z39paged_attention_ll4mi_QKV_mfma16_kernelI14__hip_bfloat16hLN4vllm18Fp8KVCacheDataTypeE1ES0_Li16ELi128ELi256ELb1ELi14EL8MFMAType1EEvPKT_PKT0_S9_ifPKiSB_SB_iPKfiiiPfSE_PS4_PT2_iSD_SD_
	.globl	_Z39paged_attention_ll4mi_QKV_mfma16_kernelI14__hip_bfloat16hLN4vllm18Fp8KVCacheDataTypeE1ES0_Li16ELi128ELi256ELb1ELi14EL8MFMAType1EEvPKT_PKT0_S9_ifPKiSB_SB_iPKfiiiPfSE_PS4_PT2_iSD_SD_
	.p2align	8
	.type	_Z39paged_attention_ll4mi_QKV_mfma16_kernelI14__hip_bfloat16hLN4vllm18Fp8KVCacheDataTypeE1ES0_Li16ELi128ELi256ELb1ELi14EL8MFMAType1EEvPKT_PKT0_S9_ifPKiSB_SB_iPKfiiiPfSE_PS4_PT2_iSD_SD_,@function
_Z39paged_attention_ll4mi_QKV_mfma16_kernelI14__hip_bfloat16hLN4vllm18Fp8KVCacheDataTypeE1ES0_Li16ELi128ELi256ELb1ELi14EL8MFMAType1EEvPKT_PKT0_S9_ifPKiSB_SB_iPKfiiiPfSE_PS4_PT2_iSD_SD_: ; @_Z39paged_attention_ll4mi_QKV_mfma16_kernelI14__hip_bfloat16hLN4vllm18Fp8KVCacheDataTypeE1ES0_Li16ELi128ELi256ELb1ELi14EL8MFMAType1EEvPKT_PKT0_S9_ifPKiSB_SB_iPKfiiiPfSE_PS4_PT2_iSD_SD_
; %bb.0:
	s_load_dwordx2 s[12:13], s[4:5], 0x30
	s_add_u32 flat_scratch_lo, s6, s11
	s_addc_u32 flat_scratch_hi, s7, 0
	s_add_u32 s0, s0, s11
	s_addc_u32 s1, s1, 0
	s_waitcnt lgkmcnt(0)
	s_cmp_lg_u64 s[12:13], 0
	s_cselect_b64 s[14:15], -1, 0
	s_mov_b32 s6, s9
	s_mov_b64 s[16:17], 0
	s_and_b64 vcc, exec, s[14:15]
	s_mov_b32 s32, 0
	s_cbranch_vccz .LBB767_11
; %bb.1:
	s_add_i32 s18, s8, 1
	s_mov_b32 s19, 0
	s_lshl_b64 s[20:21], s[18:19], 2
	s_add_u32 s20, s12, s20
	s_mov_b32 s9, s19
	s_addc_u32 s21, s13, s21
	s_lshl_b64 s[18:19], s[8:9], 2
	s_add_u32 s18, s12, s18
	s_addc_u32 s19, s13, s19
	s_load_dword s7, s[20:21], 0x0
	s_load_dword s11, s[18:19], 0x0
	s_waitcnt lgkmcnt(0)
	s_sub_i32 s7, s7, s11
	s_cmp_eq_u32 s7, 1
	s_cselect_b64 s[18:19], -1, 0
	s_andn2_b64 vcc, exec, s[16:17]
	s_cbranch_vccnz .LBB767_3
.LBB767_2:
	s_mov_b32 s9, 0
	s_mov_b64 s[18:19], -1
.LBB767_3:
	s_andn2_b64 vcc, exec, s[18:19]
	s_cbranch_vccnz .LBB767_10
; %bb.4:
	s_load_dwordx2 s[18:19], s[4:5], 0x28
	s_lshl_b64 s[16:17], s[8:9], 2
	s_waitcnt lgkmcnt(0)
	s_add_u32 s18, s18, s16
	s_addc_u32 s19, s19, s17
	s_load_dword s7, s[18:19], 0x0
	s_lshl_b32 s6, s6, 8
	s_waitcnt lgkmcnt(0)
	s_cmp_ge_i32 s6, s7
	s_cbranch_scc1 .LBB767_10
; %bb.5:
	s_andn2_b64 vcc, exec, s[14:15]
	s_cbranch_vccnz .LBB767_7
; %bb.6:
	s_add_u32 s6, s12, s16
	s_addc_u32 s7, s13, s17
	s_load_dword s8, s[6:7], 0x0
.LBB767_7:
	s_movk_i32 s6, 0xe0
	v_cmp_gt_u32_e32 vcc, s6, v0
	s_and_saveexec_b64 s[6:7], vcc
	s_cbranch_execz .LBB767_9
; %bb.8:
	s_load_dword s11, s[4:5], 0x48
	s_load_dwordx2 s[12:13], s[4:5], 0x0
	v_lshrrev_b32_e32 v1, 4, v0
	s_mul_i32 s10, s10, 14
	v_add_lshl_u32 v2, v1, s10, 7
	s_waitcnt lgkmcnt(0)
	s_ashr_i32 s9, s11, 31
	s_mul_hi_u32 s14, s8, s11
	s_mul_i32 s9, s8, s9
	s_add_i32 s9, s14, s9
	s_mul_i32 s8, s8, s11
	s_lshl_b64 s[8:9], s[8:9], 1
	s_add_u32 s8, s12, s8
	v_ashrrev_i32_e32 v3, 31, v2
	s_addc_u32 s9, s13, s9
	v_lshlrev_b64 v[2:3], 1, v[2:3]
	v_and_b32_e32 v4, 15, v0
	v_mov_b32_e32 v5, s9
	v_add_co_u32_e32 v2, vcc, s8, v2
	v_addc_co_u32_e32 v3, vcc, v5, v3, vcc
	v_lshlrev_b32_e32 v4, 4, v4
	v_add_co_u32_e32 v2, vcc, v2, v4
	v_addc_co_u32_e32 v3, vcc, 0, v3, vcc
	global_load_dwordx4 v[2:5], v[2:3], off
	v_lshlrev_b32_e32 v6, 4, v0
	v_lshlrev_b32_e32 v0, 8, v0
	v_and_b32_e32 v6, 16, v6
	v_lshlrev_b32_e32 v1, 5, v1
	v_and_b32_e32 v0, 0xe00, v0
	v_or3_b32 v0, v0, v1, v6
	s_waitcnt vmcnt(0)
	ds_write_b128 v0, v[2:5]
.LBB767_9:
	s_or_b64 exec, exec, s[6:7]
	s_waitcnt lgkmcnt(0)
	s_add_u32 s8, s4, 0x90
	s_addc_u32 s9, s5, 0
	s_getpc_b64 s[4:5]
	s_add_u32 s4, s4, __PRETTY_FUNCTION__._Z39paged_attention_ll4mi_QKV_mfma16_kernelI14__hip_bfloat16hLN4vllm18Fp8KVCacheDataTypeE1ES0_Li16ELi128ELi256ELb1ELi14EL8MFMAType1EEvPKT_PKT0_S9_ifPKiSB_SB_iPKfiiiPfSE_PS4_PT2_iSD_SD_@rel32@lo+4
	s_addc_u32 s5, s5, __PRETTY_FUNCTION__._Z39paged_attention_ll4mi_QKV_mfma16_kernelI14__hip_bfloat16hLN4vllm18Fp8KVCacheDataTypeE1ES0_Li16ELi128ELi256ELb1ELi14EL8MFMAType1EEvPKT_PKT0_S9_ifPKiSB_SB_iPKfiiiPfSE_PS4_PT2_iSD_SD_@rel32@hi+12
	v_mov_b32_e32 v0, 0x288
	v_mov_b32_e32 v1, s4
	;; [unrolled: 1-line block ×3, first 2 shown]
	s_barrier
	s_getpc_b64 s[6:7]
	s_add_u32 s6, s6, __assert_fail@rel32@lo+4
	s_addc_u32 s7, s7, __assert_fail@rel32@hi+12
	s_swappc_b64 s[30:31], s[6:7]
	; divergent unreachable
.LBB767_10:
	s_endpgm
.LBB767_11:
	s_mov_b64 s[18:19], 0
	s_branch .LBB767_2
	.section	.rodata,"a",@progbits
	.p2align	6, 0x0
	.amdhsa_kernel _Z39paged_attention_ll4mi_QKV_mfma16_kernelI14__hip_bfloat16hLN4vllm18Fp8KVCacheDataTypeE1ES0_Li16ELi128ELi256ELb1ELi14EL8MFMAType1EEvPKT_PKT0_S9_ifPKiSB_SB_iPKfiiiPfSE_PS4_PT2_iSD_SD_
		.amdhsa_group_segment_fixed_size 8192
		.amdhsa_private_segment_fixed_size 64
		.amdhsa_kernarg_size 400
		.amdhsa_user_sgpr_count 8
		.amdhsa_user_sgpr_private_segment_buffer 1
		.amdhsa_user_sgpr_dispatch_ptr 0
		.amdhsa_user_sgpr_queue_ptr 0
		.amdhsa_user_sgpr_kernarg_segment_ptr 1
		.amdhsa_user_sgpr_dispatch_id 0
		.amdhsa_user_sgpr_flat_scratch_init 1
		.amdhsa_user_sgpr_kernarg_preload_length 0
		.amdhsa_user_sgpr_kernarg_preload_offset 0
		.amdhsa_user_sgpr_private_segment_size 0
		.amdhsa_uses_dynamic_stack 0
		.amdhsa_system_sgpr_private_segment_wavefront_offset 1
		.amdhsa_system_sgpr_workgroup_id_x 1
		.amdhsa_system_sgpr_workgroup_id_y 1
		.amdhsa_system_sgpr_workgroup_id_z 1
		.amdhsa_system_sgpr_workgroup_info 0
		.amdhsa_system_vgpr_workitem_id 0
		.amdhsa_next_free_vgpr 45
		.amdhsa_next_free_sgpr 34
		.amdhsa_accum_offset 44
		.amdhsa_reserve_vcc 1
		.amdhsa_reserve_flat_scratch 1
		.amdhsa_float_round_mode_32 0
		.amdhsa_float_round_mode_16_64 0
		.amdhsa_float_denorm_mode_32 3
		.amdhsa_float_denorm_mode_16_64 3
		.amdhsa_dx10_clamp 1
		.amdhsa_ieee_mode 1
		.amdhsa_fp16_overflow 0
		.amdhsa_tg_split 0
		.amdhsa_exception_fp_ieee_invalid_op 0
		.amdhsa_exception_fp_denorm_src 0
		.amdhsa_exception_fp_ieee_div_zero 0
		.amdhsa_exception_fp_ieee_overflow 0
		.amdhsa_exception_fp_ieee_underflow 0
		.amdhsa_exception_fp_ieee_inexact 0
		.amdhsa_exception_int_div_zero 0
	.end_amdhsa_kernel
	.section	.text._Z39paged_attention_ll4mi_QKV_mfma16_kernelI14__hip_bfloat16hLN4vllm18Fp8KVCacheDataTypeE1ES0_Li16ELi128ELi256ELb1ELi14EL8MFMAType1EEvPKT_PKT0_S9_ifPKiSB_SB_iPKfiiiPfSE_PS4_PT2_iSD_SD_,"axG",@progbits,_Z39paged_attention_ll4mi_QKV_mfma16_kernelI14__hip_bfloat16hLN4vllm18Fp8KVCacheDataTypeE1ES0_Li16ELi128ELi256ELb1ELi14EL8MFMAType1EEvPKT_PKT0_S9_ifPKiSB_SB_iPKfiiiPfSE_PS4_PT2_iSD_SD_,comdat
.Lfunc_end767:
	.size	_Z39paged_attention_ll4mi_QKV_mfma16_kernelI14__hip_bfloat16hLN4vllm18Fp8KVCacheDataTypeE1ES0_Li16ELi128ELi256ELb1ELi14EL8MFMAType1EEvPKT_PKT0_S9_ifPKiSB_SB_iPKfiiiPfSE_PS4_PT2_iSD_SD_, .Lfunc_end767-_Z39paged_attention_ll4mi_QKV_mfma16_kernelI14__hip_bfloat16hLN4vllm18Fp8KVCacheDataTypeE1ES0_Li16ELi128ELi256ELb1ELi14EL8MFMAType1EEvPKT_PKT0_S9_ifPKiSB_SB_iPKfiiiPfSE_PS4_PT2_iSD_SD_
                                        ; -- End function
	.section	.AMDGPU.csdata,"",@progbits
; Kernel info:
; codeLenInByte = 492
; NumSgprs: 40
; NumVgprs: 42
; NumAgprs: 1
; TotalNumVgprs: 45
; ScratchSize: 64
; MemoryBound: 0
; FloatMode: 240
; IeeeMode: 1
; LDSByteSize: 8192 bytes/workgroup (compile time only)
; SGPRBlocks: 4
; VGPRBlocks: 5
; NumSGPRsForWavesPerEU: 40
; NumVGPRsForWavesPerEU: 45
; AccumOffset: 44
; Occupancy: 8
; WaveLimiterHint : 1
; COMPUTE_PGM_RSRC2:SCRATCH_EN: 1
; COMPUTE_PGM_RSRC2:USER_SGPR: 8
; COMPUTE_PGM_RSRC2:TRAP_HANDLER: 0
; COMPUTE_PGM_RSRC2:TGID_X_EN: 1
; COMPUTE_PGM_RSRC2:TGID_Y_EN: 1
; COMPUTE_PGM_RSRC2:TGID_Z_EN: 1
; COMPUTE_PGM_RSRC2:TIDIG_COMP_CNT: 0
; COMPUTE_PGM_RSRC3_GFX90A:ACCUM_OFFSET: 10
; COMPUTE_PGM_RSRC3_GFX90A:TG_SPLIT: 0
	.section	.text._Z39paged_attention_ll4mi_QKV_mfma16_kernelI14__hip_bfloat16hLN4vllm18Fp8KVCacheDataTypeE1ES0_Li16ELi128ELi256ELb1ELi15EL8MFMAType1EEvPKT_PKT0_S9_ifPKiSB_SB_iPKfiiiPfSE_PS4_PT2_iSD_SD_,"axG",@progbits,_Z39paged_attention_ll4mi_QKV_mfma16_kernelI14__hip_bfloat16hLN4vllm18Fp8KVCacheDataTypeE1ES0_Li16ELi128ELi256ELb1ELi15EL8MFMAType1EEvPKT_PKT0_S9_ifPKiSB_SB_iPKfiiiPfSE_PS4_PT2_iSD_SD_,comdat
	.protected	_Z39paged_attention_ll4mi_QKV_mfma16_kernelI14__hip_bfloat16hLN4vllm18Fp8KVCacheDataTypeE1ES0_Li16ELi128ELi256ELb1ELi15EL8MFMAType1EEvPKT_PKT0_S9_ifPKiSB_SB_iPKfiiiPfSE_PS4_PT2_iSD_SD_ ; -- Begin function _Z39paged_attention_ll4mi_QKV_mfma16_kernelI14__hip_bfloat16hLN4vllm18Fp8KVCacheDataTypeE1ES0_Li16ELi128ELi256ELb1ELi15EL8MFMAType1EEvPKT_PKT0_S9_ifPKiSB_SB_iPKfiiiPfSE_PS4_PT2_iSD_SD_
	.globl	_Z39paged_attention_ll4mi_QKV_mfma16_kernelI14__hip_bfloat16hLN4vllm18Fp8KVCacheDataTypeE1ES0_Li16ELi128ELi256ELb1ELi15EL8MFMAType1EEvPKT_PKT0_S9_ifPKiSB_SB_iPKfiiiPfSE_PS4_PT2_iSD_SD_
	.p2align	8
	.type	_Z39paged_attention_ll4mi_QKV_mfma16_kernelI14__hip_bfloat16hLN4vllm18Fp8KVCacheDataTypeE1ES0_Li16ELi128ELi256ELb1ELi15EL8MFMAType1EEvPKT_PKT0_S9_ifPKiSB_SB_iPKfiiiPfSE_PS4_PT2_iSD_SD_,@function
_Z39paged_attention_ll4mi_QKV_mfma16_kernelI14__hip_bfloat16hLN4vllm18Fp8KVCacheDataTypeE1ES0_Li16ELi128ELi256ELb1ELi15EL8MFMAType1EEvPKT_PKT0_S9_ifPKiSB_SB_iPKfiiiPfSE_PS4_PT2_iSD_SD_: ; @_Z39paged_attention_ll4mi_QKV_mfma16_kernelI14__hip_bfloat16hLN4vllm18Fp8KVCacheDataTypeE1ES0_Li16ELi128ELi256ELb1ELi15EL8MFMAType1EEvPKT_PKT0_S9_ifPKiSB_SB_iPKfiiiPfSE_PS4_PT2_iSD_SD_
; %bb.0:
	s_load_dwordx2 s[12:13], s[4:5], 0x30
	s_add_u32 flat_scratch_lo, s6, s11
	s_addc_u32 flat_scratch_hi, s7, 0
	s_add_u32 s0, s0, s11
	s_addc_u32 s1, s1, 0
	s_waitcnt lgkmcnt(0)
	s_cmp_lg_u64 s[12:13], 0
	s_cselect_b64 s[14:15], -1, 0
	s_mov_b32 s6, s9
	s_mov_b64 s[16:17], 0
	s_and_b64 vcc, exec, s[14:15]
	s_mov_b32 s32, 0
	s_cbranch_vccz .LBB768_11
; %bb.1:
	s_add_i32 s18, s8, 1
	s_mov_b32 s19, 0
	s_lshl_b64 s[20:21], s[18:19], 2
	s_add_u32 s20, s12, s20
	s_mov_b32 s9, s19
	s_addc_u32 s21, s13, s21
	s_lshl_b64 s[18:19], s[8:9], 2
	s_add_u32 s18, s12, s18
	s_addc_u32 s19, s13, s19
	s_load_dword s7, s[20:21], 0x0
	s_load_dword s11, s[18:19], 0x0
	s_waitcnt lgkmcnt(0)
	s_sub_i32 s7, s7, s11
	s_cmp_eq_u32 s7, 1
	s_cselect_b64 s[18:19], -1, 0
	s_andn2_b64 vcc, exec, s[16:17]
	s_cbranch_vccnz .LBB768_3
.LBB768_2:
	s_mov_b32 s9, 0
	s_mov_b64 s[18:19], -1
.LBB768_3:
	s_andn2_b64 vcc, exec, s[18:19]
	s_cbranch_vccnz .LBB768_10
; %bb.4:
	s_load_dwordx2 s[18:19], s[4:5], 0x28
	s_lshl_b64 s[16:17], s[8:9], 2
	s_waitcnt lgkmcnt(0)
	s_add_u32 s18, s18, s16
	s_addc_u32 s19, s19, s17
	s_load_dword s7, s[18:19], 0x0
	s_lshl_b32 s6, s6, 8
	s_waitcnt lgkmcnt(0)
	s_cmp_ge_i32 s6, s7
	s_cbranch_scc1 .LBB768_10
; %bb.5:
	s_andn2_b64 vcc, exec, s[14:15]
	s_cbranch_vccnz .LBB768_7
; %bb.6:
	s_add_u32 s6, s12, s16
	s_addc_u32 s7, s13, s17
	s_load_dword s8, s[6:7], 0x0
.LBB768_7:
	s_movk_i32 s6, 0xf0
	v_cmp_gt_u32_e32 vcc, s6, v0
	s_and_saveexec_b64 s[6:7], vcc
	s_cbranch_execz .LBB768_9
; %bb.8:
	s_load_dword s11, s[4:5], 0x48
	s_load_dwordx2 s[12:13], s[4:5], 0x0
	v_lshrrev_b32_e32 v1, 4, v0
	s_mul_i32 s10, s10, 15
	v_add_lshl_u32 v2, v1, s10, 7
	s_waitcnt lgkmcnt(0)
	s_ashr_i32 s9, s11, 31
	s_mul_hi_u32 s14, s8, s11
	s_mul_i32 s9, s8, s9
	s_add_i32 s9, s14, s9
	s_mul_i32 s8, s8, s11
	s_lshl_b64 s[8:9], s[8:9], 1
	s_add_u32 s8, s12, s8
	v_ashrrev_i32_e32 v3, 31, v2
	s_addc_u32 s9, s13, s9
	v_lshlrev_b64 v[2:3], 1, v[2:3]
	v_and_b32_e32 v4, 15, v0
	v_mov_b32_e32 v5, s9
	v_add_co_u32_e32 v2, vcc, s8, v2
	v_addc_co_u32_e32 v3, vcc, v5, v3, vcc
	v_lshlrev_b32_e32 v4, 4, v4
	v_add_co_u32_e32 v2, vcc, v2, v4
	v_addc_co_u32_e32 v3, vcc, 0, v3, vcc
	global_load_dwordx4 v[2:5], v[2:3], off
	v_lshlrev_b32_e32 v6, 4, v0
	v_lshlrev_b32_e32 v0, 8, v0
	v_and_b32_e32 v6, 16, v6
	v_lshlrev_b32_e32 v1, 5, v1
	v_and_b32_e32 v0, 0xe00, v0
	v_or3_b32 v0, v0, v1, v6
	s_waitcnt vmcnt(0)
	ds_write_b128 v0, v[2:5]
.LBB768_9:
	s_or_b64 exec, exec, s[6:7]
	s_waitcnt lgkmcnt(0)
	s_add_u32 s8, s4, 0x90
	s_addc_u32 s9, s5, 0
	s_getpc_b64 s[4:5]
	s_add_u32 s4, s4, __PRETTY_FUNCTION__._Z39paged_attention_ll4mi_QKV_mfma16_kernelI14__hip_bfloat16hLN4vllm18Fp8KVCacheDataTypeE1ES0_Li16ELi128ELi256ELb1ELi15EL8MFMAType1EEvPKT_PKT0_S9_ifPKiSB_SB_iPKfiiiPfSE_PS4_PT2_iSD_SD_@rel32@lo+4
	s_addc_u32 s5, s5, __PRETTY_FUNCTION__._Z39paged_attention_ll4mi_QKV_mfma16_kernelI14__hip_bfloat16hLN4vllm18Fp8KVCacheDataTypeE1ES0_Li16ELi128ELi256ELb1ELi15EL8MFMAType1EEvPKT_PKT0_S9_ifPKiSB_SB_iPKfiiiPfSE_PS4_PT2_iSD_SD_@rel32@hi+12
	v_mov_b32_e32 v0, 0x288
	v_mov_b32_e32 v1, s4
	;; [unrolled: 1-line block ×3, first 2 shown]
	s_barrier
	s_getpc_b64 s[6:7]
	s_add_u32 s6, s6, __assert_fail@rel32@lo+4
	s_addc_u32 s7, s7, __assert_fail@rel32@hi+12
	s_swappc_b64 s[30:31], s[6:7]
	; divergent unreachable
.LBB768_10:
	s_endpgm
.LBB768_11:
	s_mov_b64 s[18:19], 0
	s_branch .LBB768_2
	.section	.rodata,"a",@progbits
	.p2align	6, 0x0
	.amdhsa_kernel _Z39paged_attention_ll4mi_QKV_mfma16_kernelI14__hip_bfloat16hLN4vllm18Fp8KVCacheDataTypeE1ES0_Li16ELi128ELi256ELb1ELi15EL8MFMAType1EEvPKT_PKT0_S9_ifPKiSB_SB_iPKfiiiPfSE_PS4_PT2_iSD_SD_
		.amdhsa_group_segment_fixed_size 8192
		.amdhsa_private_segment_fixed_size 64
		.amdhsa_kernarg_size 400
		.amdhsa_user_sgpr_count 8
		.amdhsa_user_sgpr_private_segment_buffer 1
		.amdhsa_user_sgpr_dispatch_ptr 0
		.amdhsa_user_sgpr_queue_ptr 0
		.amdhsa_user_sgpr_kernarg_segment_ptr 1
		.amdhsa_user_sgpr_dispatch_id 0
		.amdhsa_user_sgpr_flat_scratch_init 1
		.amdhsa_user_sgpr_kernarg_preload_length 0
		.amdhsa_user_sgpr_kernarg_preload_offset 0
		.amdhsa_user_sgpr_private_segment_size 0
		.amdhsa_uses_dynamic_stack 0
		.amdhsa_system_sgpr_private_segment_wavefront_offset 1
		.amdhsa_system_sgpr_workgroup_id_x 1
		.amdhsa_system_sgpr_workgroup_id_y 1
		.amdhsa_system_sgpr_workgroup_id_z 1
		.amdhsa_system_sgpr_workgroup_info 0
		.amdhsa_system_vgpr_workitem_id 0
		.amdhsa_next_free_vgpr 45
		.amdhsa_next_free_sgpr 34
		.amdhsa_accum_offset 44
		.amdhsa_reserve_vcc 1
		.amdhsa_reserve_flat_scratch 1
		.amdhsa_float_round_mode_32 0
		.amdhsa_float_round_mode_16_64 0
		.amdhsa_float_denorm_mode_32 3
		.amdhsa_float_denorm_mode_16_64 3
		.amdhsa_dx10_clamp 1
		.amdhsa_ieee_mode 1
		.amdhsa_fp16_overflow 0
		.amdhsa_tg_split 0
		.amdhsa_exception_fp_ieee_invalid_op 0
		.amdhsa_exception_fp_denorm_src 0
		.amdhsa_exception_fp_ieee_div_zero 0
		.amdhsa_exception_fp_ieee_overflow 0
		.amdhsa_exception_fp_ieee_underflow 0
		.amdhsa_exception_fp_ieee_inexact 0
		.amdhsa_exception_int_div_zero 0
	.end_amdhsa_kernel
	.section	.text._Z39paged_attention_ll4mi_QKV_mfma16_kernelI14__hip_bfloat16hLN4vllm18Fp8KVCacheDataTypeE1ES0_Li16ELi128ELi256ELb1ELi15EL8MFMAType1EEvPKT_PKT0_S9_ifPKiSB_SB_iPKfiiiPfSE_PS4_PT2_iSD_SD_,"axG",@progbits,_Z39paged_attention_ll4mi_QKV_mfma16_kernelI14__hip_bfloat16hLN4vllm18Fp8KVCacheDataTypeE1ES0_Li16ELi128ELi256ELb1ELi15EL8MFMAType1EEvPKT_PKT0_S9_ifPKiSB_SB_iPKfiiiPfSE_PS4_PT2_iSD_SD_,comdat
.Lfunc_end768:
	.size	_Z39paged_attention_ll4mi_QKV_mfma16_kernelI14__hip_bfloat16hLN4vllm18Fp8KVCacheDataTypeE1ES0_Li16ELi128ELi256ELb1ELi15EL8MFMAType1EEvPKT_PKT0_S9_ifPKiSB_SB_iPKfiiiPfSE_PS4_PT2_iSD_SD_, .Lfunc_end768-_Z39paged_attention_ll4mi_QKV_mfma16_kernelI14__hip_bfloat16hLN4vllm18Fp8KVCacheDataTypeE1ES0_Li16ELi128ELi256ELb1ELi15EL8MFMAType1EEvPKT_PKT0_S9_ifPKiSB_SB_iPKfiiiPfSE_PS4_PT2_iSD_SD_
                                        ; -- End function
	.section	.AMDGPU.csdata,"",@progbits
; Kernel info:
; codeLenInByte = 492
; NumSgprs: 40
; NumVgprs: 42
; NumAgprs: 1
; TotalNumVgprs: 45
; ScratchSize: 64
; MemoryBound: 0
; FloatMode: 240
; IeeeMode: 1
; LDSByteSize: 8192 bytes/workgroup (compile time only)
; SGPRBlocks: 4
; VGPRBlocks: 5
; NumSGPRsForWavesPerEU: 40
; NumVGPRsForWavesPerEU: 45
; AccumOffset: 44
; Occupancy: 8
; WaveLimiterHint : 1
; COMPUTE_PGM_RSRC2:SCRATCH_EN: 1
; COMPUTE_PGM_RSRC2:USER_SGPR: 8
; COMPUTE_PGM_RSRC2:TRAP_HANDLER: 0
; COMPUTE_PGM_RSRC2:TGID_X_EN: 1
; COMPUTE_PGM_RSRC2:TGID_Y_EN: 1
; COMPUTE_PGM_RSRC2:TGID_Z_EN: 1
; COMPUTE_PGM_RSRC2:TIDIG_COMP_CNT: 0
; COMPUTE_PGM_RSRC3_GFX90A:ACCUM_OFFSET: 10
; COMPUTE_PGM_RSRC3_GFX90A:TG_SPLIT: 0
	.section	.text._Z39paged_attention_ll4mi_QKV_mfma16_kernelI14__hip_bfloat16hLN4vllm18Fp8KVCacheDataTypeE1ES0_Li16ELi128ELi256ELb1ELi16EL8MFMAType1EEvPKT_PKT0_S9_ifPKiSB_SB_iPKfiiiPfSE_PS4_PT2_iSD_SD_,"axG",@progbits,_Z39paged_attention_ll4mi_QKV_mfma16_kernelI14__hip_bfloat16hLN4vllm18Fp8KVCacheDataTypeE1ES0_Li16ELi128ELi256ELb1ELi16EL8MFMAType1EEvPKT_PKT0_S9_ifPKiSB_SB_iPKfiiiPfSE_PS4_PT2_iSD_SD_,comdat
	.protected	_Z39paged_attention_ll4mi_QKV_mfma16_kernelI14__hip_bfloat16hLN4vllm18Fp8KVCacheDataTypeE1ES0_Li16ELi128ELi256ELb1ELi16EL8MFMAType1EEvPKT_PKT0_S9_ifPKiSB_SB_iPKfiiiPfSE_PS4_PT2_iSD_SD_ ; -- Begin function _Z39paged_attention_ll4mi_QKV_mfma16_kernelI14__hip_bfloat16hLN4vllm18Fp8KVCacheDataTypeE1ES0_Li16ELi128ELi256ELb1ELi16EL8MFMAType1EEvPKT_PKT0_S9_ifPKiSB_SB_iPKfiiiPfSE_PS4_PT2_iSD_SD_
	.globl	_Z39paged_attention_ll4mi_QKV_mfma16_kernelI14__hip_bfloat16hLN4vllm18Fp8KVCacheDataTypeE1ES0_Li16ELi128ELi256ELb1ELi16EL8MFMAType1EEvPKT_PKT0_S9_ifPKiSB_SB_iPKfiiiPfSE_PS4_PT2_iSD_SD_
	.p2align	8
	.type	_Z39paged_attention_ll4mi_QKV_mfma16_kernelI14__hip_bfloat16hLN4vllm18Fp8KVCacheDataTypeE1ES0_Li16ELi128ELi256ELb1ELi16EL8MFMAType1EEvPKT_PKT0_S9_ifPKiSB_SB_iPKfiiiPfSE_PS4_PT2_iSD_SD_,@function
_Z39paged_attention_ll4mi_QKV_mfma16_kernelI14__hip_bfloat16hLN4vllm18Fp8KVCacheDataTypeE1ES0_Li16ELi128ELi256ELb1ELi16EL8MFMAType1EEvPKT_PKT0_S9_ifPKiSB_SB_iPKfiiiPfSE_PS4_PT2_iSD_SD_: ; @_Z39paged_attention_ll4mi_QKV_mfma16_kernelI14__hip_bfloat16hLN4vllm18Fp8KVCacheDataTypeE1ES0_Li16ELi128ELi256ELb1ELi16EL8MFMAType1EEvPKT_PKT0_S9_ifPKiSB_SB_iPKfiiiPfSE_PS4_PT2_iSD_SD_
; %bb.0:
	s_load_dwordx2 s[12:13], s[4:5], 0x30
	s_add_u32 flat_scratch_lo, s6, s11
	s_addc_u32 flat_scratch_hi, s7, 0
	s_add_u32 s0, s0, s11
	s_addc_u32 s1, s1, 0
	s_waitcnt lgkmcnt(0)
	s_cmp_lg_u64 s[12:13], 0
	s_cselect_b64 s[14:15], -1, 0
	s_mov_b32 s6, s9
	s_mov_b64 s[16:17], 0
	s_and_b64 vcc, exec, s[14:15]
	s_mov_b32 s32, 0
	s_cbranch_vccz .LBB769_11
; %bb.1:
	s_add_i32 s18, s8, 1
	s_mov_b32 s19, 0
	s_lshl_b64 s[20:21], s[18:19], 2
	s_add_u32 s20, s12, s20
	s_mov_b32 s9, s19
	s_addc_u32 s21, s13, s21
	s_lshl_b64 s[18:19], s[8:9], 2
	s_add_u32 s18, s12, s18
	s_addc_u32 s19, s13, s19
	s_load_dword s7, s[20:21], 0x0
	s_load_dword s11, s[18:19], 0x0
	s_waitcnt lgkmcnt(0)
	s_sub_i32 s7, s7, s11
	s_cmp_eq_u32 s7, 1
	s_cselect_b64 s[18:19], -1, 0
	s_andn2_b64 vcc, exec, s[16:17]
	s_cbranch_vccnz .LBB769_3
.LBB769_2:
	s_mov_b32 s9, 0
	s_mov_b64 s[18:19], -1
.LBB769_3:
	s_andn2_b64 vcc, exec, s[18:19]
	s_cbranch_vccnz .LBB769_10
; %bb.4:
	s_load_dwordx2 s[18:19], s[4:5], 0x28
	s_lshl_b64 s[16:17], s[8:9], 2
	s_waitcnt lgkmcnt(0)
	s_add_u32 s18, s18, s16
	s_addc_u32 s19, s19, s17
	s_load_dword s7, s[18:19], 0x0
	s_lshl_b32 s6, s6, 8
	s_waitcnt lgkmcnt(0)
	s_cmp_ge_i32 s6, s7
	s_cbranch_scc1 .LBB769_10
; %bb.5:
	s_andn2_b64 vcc, exec, s[14:15]
	s_cbranch_vccnz .LBB769_7
; %bb.6:
	s_add_u32 s6, s12, s16
	s_addc_u32 s7, s13, s17
	s_load_dword s8, s[6:7], 0x0
.LBB769_7:
	s_movk_i32 s6, 0x100
	v_cmp_gt_u32_e32 vcc, s6, v0
	s_and_saveexec_b64 s[6:7], vcc
	s_cbranch_execz .LBB769_9
; %bb.8:
	s_load_dword s11, s[4:5], 0x48
	s_load_dwordx2 s[12:13], s[4:5], 0x0
	v_lshrrev_b32_e32 v6, 4, v0
	v_lshlrev_b32_e32 v2, 7, v6
	v_lshl_or_b32 v2, s10, 11, v2
	s_waitcnt lgkmcnt(0)
	s_ashr_i32 s9, s11, 31
	s_mul_hi_u32 s14, s8, s11
	s_mul_i32 s9, s8, s9
	s_add_i32 s9, s14, s9
	s_mul_i32 s8, s8, s11
	s_lshl_b64 s[8:9], s[8:9], 1
	s_add_u32 s8, s12, s8
	v_ashrrev_i32_e32 v3, 31, v2
	s_addc_u32 s9, s13, s9
	v_lshlrev_b64 v[2:3], 1, v[2:3]
	v_and_b32_e32 v1, 15, v0
	v_mov_b32_e32 v4, s9
	v_add_co_u32_e32 v2, vcc, s8, v2
	v_addc_co_u32_e32 v3, vcc, v4, v3, vcc
	v_lshlrev_b32_e32 v1, 4, v1
	v_add_co_u32_e32 v2, vcc, v2, v1
	v_addc_co_u32_e32 v3, vcc, 0, v3, vcc
	global_load_dwordx4 v[2:5], v[2:3], off
	v_lshlrev_b32_e32 v1, 4, v0
	v_lshlrev_b32_e32 v0, 8, v0
	v_and_b32_e32 v1, 16, v1
	v_lshlrev_b32_e32 v6, 5, v6
	v_and_b32_e32 v0, 0xe00, v0
	v_or3_b32 v0, v0, v6, v1
	s_waitcnt vmcnt(0)
	ds_write_b128 v0, v[2:5]
.LBB769_9:
	s_or_b64 exec, exec, s[6:7]
	s_waitcnt lgkmcnt(0)
	s_add_u32 s8, s4, 0x90
	s_addc_u32 s9, s5, 0
	s_getpc_b64 s[4:5]
	s_add_u32 s4, s4, __PRETTY_FUNCTION__._Z39paged_attention_ll4mi_QKV_mfma16_kernelI14__hip_bfloat16hLN4vllm18Fp8KVCacheDataTypeE1ES0_Li16ELi128ELi256ELb1ELi16EL8MFMAType1EEvPKT_PKT0_S9_ifPKiSB_SB_iPKfiiiPfSE_PS4_PT2_iSD_SD_@rel32@lo+4
	s_addc_u32 s5, s5, __PRETTY_FUNCTION__._Z39paged_attention_ll4mi_QKV_mfma16_kernelI14__hip_bfloat16hLN4vllm18Fp8KVCacheDataTypeE1ES0_Li16ELi128ELi256ELb1ELi16EL8MFMAType1EEvPKT_PKT0_S9_ifPKiSB_SB_iPKfiiiPfSE_PS4_PT2_iSD_SD_@rel32@hi+12
	v_mov_b32_e32 v0, 0x288
	v_mov_b32_e32 v1, s4
	;; [unrolled: 1-line block ×3, first 2 shown]
	s_barrier
	s_getpc_b64 s[6:7]
	s_add_u32 s6, s6, __assert_fail@rel32@lo+4
	s_addc_u32 s7, s7, __assert_fail@rel32@hi+12
	s_swappc_b64 s[30:31], s[6:7]
	; divergent unreachable
.LBB769_10:
	s_endpgm
.LBB769_11:
	s_mov_b64 s[18:19], 0
	s_branch .LBB769_2
	.section	.rodata,"a",@progbits
	.p2align	6, 0x0
	.amdhsa_kernel _Z39paged_attention_ll4mi_QKV_mfma16_kernelI14__hip_bfloat16hLN4vllm18Fp8KVCacheDataTypeE1ES0_Li16ELi128ELi256ELb1ELi16EL8MFMAType1EEvPKT_PKT0_S9_ifPKiSB_SB_iPKfiiiPfSE_PS4_PT2_iSD_SD_
		.amdhsa_group_segment_fixed_size 8192
		.amdhsa_private_segment_fixed_size 64
		.amdhsa_kernarg_size 400
		.amdhsa_user_sgpr_count 8
		.amdhsa_user_sgpr_private_segment_buffer 1
		.amdhsa_user_sgpr_dispatch_ptr 0
		.amdhsa_user_sgpr_queue_ptr 0
		.amdhsa_user_sgpr_kernarg_segment_ptr 1
		.amdhsa_user_sgpr_dispatch_id 0
		.amdhsa_user_sgpr_flat_scratch_init 1
		.amdhsa_user_sgpr_kernarg_preload_length 0
		.amdhsa_user_sgpr_kernarg_preload_offset 0
		.amdhsa_user_sgpr_private_segment_size 0
		.amdhsa_uses_dynamic_stack 0
		.amdhsa_system_sgpr_private_segment_wavefront_offset 1
		.amdhsa_system_sgpr_workgroup_id_x 1
		.amdhsa_system_sgpr_workgroup_id_y 1
		.amdhsa_system_sgpr_workgroup_id_z 1
		.amdhsa_system_sgpr_workgroup_info 0
		.amdhsa_system_vgpr_workitem_id 0
		.amdhsa_next_free_vgpr 45
		.amdhsa_next_free_sgpr 34
		.amdhsa_accum_offset 44
		.amdhsa_reserve_vcc 1
		.amdhsa_reserve_flat_scratch 1
		.amdhsa_float_round_mode_32 0
		.amdhsa_float_round_mode_16_64 0
		.amdhsa_float_denorm_mode_32 3
		.amdhsa_float_denorm_mode_16_64 3
		.amdhsa_dx10_clamp 1
		.amdhsa_ieee_mode 1
		.amdhsa_fp16_overflow 0
		.amdhsa_tg_split 0
		.amdhsa_exception_fp_ieee_invalid_op 0
		.amdhsa_exception_fp_denorm_src 0
		.amdhsa_exception_fp_ieee_div_zero 0
		.amdhsa_exception_fp_ieee_overflow 0
		.amdhsa_exception_fp_ieee_underflow 0
		.amdhsa_exception_fp_ieee_inexact 0
		.amdhsa_exception_int_div_zero 0
	.end_amdhsa_kernel
	.section	.text._Z39paged_attention_ll4mi_QKV_mfma16_kernelI14__hip_bfloat16hLN4vllm18Fp8KVCacheDataTypeE1ES0_Li16ELi128ELi256ELb1ELi16EL8MFMAType1EEvPKT_PKT0_S9_ifPKiSB_SB_iPKfiiiPfSE_PS4_PT2_iSD_SD_,"axG",@progbits,_Z39paged_attention_ll4mi_QKV_mfma16_kernelI14__hip_bfloat16hLN4vllm18Fp8KVCacheDataTypeE1ES0_Li16ELi128ELi256ELb1ELi16EL8MFMAType1EEvPKT_PKT0_S9_ifPKiSB_SB_iPKfiiiPfSE_PS4_PT2_iSD_SD_,comdat
.Lfunc_end769:
	.size	_Z39paged_attention_ll4mi_QKV_mfma16_kernelI14__hip_bfloat16hLN4vllm18Fp8KVCacheDataTypeE1ES0_Li16ELi128ELi256ELb1ELi16EL8MFMAType1EEvPKT_PKT0_S9_ifPKiSB_SB_iPKfiiiPfSE_PS4_PT2_iSD_SD_, .Lfunc_end769-_Z39paged_attention_ll4mi_QKV_mfma16_kernelI14__hip_bfloat16hLN4vllm18Fp8KVCacheDataTypeE1ES0_Li16ELi128ELi256ELb1ELi16EL8MFMAType1EEvPKT_PKT0_S9_ifPKiSB_SB_iPKfiiiPfSE_PS4_PT2_iSD_SD_
                                        ; -- End function
	.section	.AMDGPU.csdata,"",@progbits
; Kernel info:
; codeLenInByte = 492
; NumSgprs: 40
; NumVgprs: 42
; NumAgprs: 1
; TotalNumVgprs: 45
; ScratchSize: 64
; MemoryBound: 0
; FloatMode: 240
; IeeeMode: 1
; LDSByteSize: 8192 bytes/workgroup (compile time only)
; SGPRBlocks: 4
; VGPRBlocks: 5
; NumSGPRsForWavesPerEU: 40
; NumVGPRsForWavesPerEU: 45
; AccumOffset: 44
; Occupancy: 8
; WaveLimiterHint : 1
; COMPUTE_PGM_RSRC2:SCRATCH_EN: 1
; COMPUTE_PGM_RSRC2:USER_SGPR: 8
; COMPUTE_PGM_RSRC2:TRAP_HANDLER: 0
; COMPUTE_PGM_RSRC2:TGID_X_EN: 1
; COMPUTE_PGM_RSRC2:TGID_Y_EN: 1
; COMPUTE_PGM_RSRC2:TGID_Z_EN: 1
; COMPUTE_PGM_RSRC2:TIDIG_COMP_CNT: 0
; COMPUTE_PGM_RSRC3_GFX90A:ACCUM_OFFSET: 10
; COMPUTE_PGM_RSRC3_GFX90A:TG_SPLIT: 0
	.section	.text._Z39paged_attention_ll4mi_QKV_mfma16_kernelI14__hip_bfloat16hLN4vllm18Fp8KVCacheDataTypeE1ES0_Li16ELi128ELi256ELb1ELi1EL8MFMAType1EEvPKT_PKT0_S9_ifPKiSB_SB_iPKfiiiPfSE_PS4_PT2_iSD_SD_,"axG",@progbits,_Z39paged_attention_ll4mi_QKV_mfma16_kernelI14__hip_bfloat16hLN4vllm18Fp8KVCacheDataTypeE1ES0_Li16ELi128ELi256ELb1ELi1EL8MFMAType1EEvPKT_PKT0_S9_ifPKiSB_SB_iPKfiiiPfSE_PS4_PT2_iSD_SD_,comdat
	.protected	_Z39paged_attention_ll4mi_QKV_mfma16_kernelI14__hip_bfloat16hLN4vllm18Fp8KVCacheDataTypeE1ES0_Li16ELi128ELi256ELb1ELi1EL8MFMAType1EEvPKT_PKT0_S9_ifPKiSB_SB_iPKfiiiPfSE_PS4_PT2_iSD_SD_ ; -- Begin function _Z39paged_attention_ll4mi_QKV_mfma16_kernelI14__hip_bfloat16hLN4vllm18Fp8KVCacheDataTypeE1ES0_Li16ELi128ELi256ELb1ELi1EL8MFMAType1EEvPKT_PKT0_S9_ifPKiSB_SB_iPKfiiiPfSE_PS4_PT2_iSD_SD_
	.globl	_Z39paged_attention_ll4mi_QKV_mfma16_kernelI14__hip_bfloat16hLN4vllm18Fp8KVCacheDataTypeE1ES0_Li16ELi128ELi256ELb1ELi1EL8MFMAType1EEvPKT_PKT0_S9_ifPKiSB_SB_iPKfiiiPfSE_PS4_PT2_iSD_SD_
	.p2align	8
	.type	_Z39paged_attention_ll4mi_QKV_mfma16_kernelI14__hip_bfloat16hLN4vllm18Fp8KVCacheDataTypeE1ES0_Li16ELi128ELi256ELb1ELi1EL8MFMAType1EEvPKT_PKT0_S9_ifPKiSB_SB_iPKfiiiPfSE_PS4_PT2_iSD_SD_,@function
_Z39paged_attention_ll4mi_QKV_mfma16_kernelI14__hip_bfloat16hLN4vllm18Fp8KVCacheDataTypeE1ES0_Li16ELi128ELi256ELb1ELi1EL8MFMAType1EEvPKT_PKT0_S9_ifPKiSB_SB_iPKfiiiPfSE_PS4_PT2_iSD_SD_: ; @_Z39paged_attention_ll4mi_QKV_mfma16_kernelI14__hip_bfloat16hLN4vllm18Fp8KVCacheDataTypeE1ES0_Li16ELi128ELi256ELb1ELi1EL8MFMAType1EEvPKT_PKT0_S9_ifPKiSB_SB_iPKfiiiPfSE_PS4_PT2_iSD_SD_
; %bb.0:
	s_load_dwordx2 s[12:13], s[4:5], 0x30
	s_add_u32 flat_scratch_lo, s6, s11
	s_addc_u32 flat_scratch_hi, s7, 0
	s_add_u32 s0, s0, s11
	s_addc_u32 s1, s1, 0
	s_waitcnt lgkmcnt(0)
	s_cmp_lg_u64 s[12:13], 0
	s_cselect_b64 s[14:15], -1, 0
	s_mov_b32 s6, s9
	s_mov_b64 s[16:17], 0
	s_and_b64 vcc, exec, s[14:15]
	s_mov_b32 s32, 0
	s_cbranch_vccz .LBB770_11
; %bb.1:
	s_add_i32 s18, s8, 1
	s_mov_b32 s19, 0
	s_lshl_b64 s[20:21], s[18:19], 2
	s_add_u32 s20, s12, s20
	s_mov_b32 s9, s19
	s_addc_u32 s21, s13, s21
	s_lshl_b64 s[18:19], s[8:9], 2
	s_add_u32 s18, s12, s18
	s_addc_u32 s19, s13, s19
	s_load_dword s7, s[20:21], 0x0
	s_load_dword s11, s[18:19], 0x0
	s_waitcnt lgkmcnt(0)
	s_sub_i32 s7, s7, s11
	s_cmp_eq_u32 s7, 1
	s_cselect_b64 s[18:19], -1, 0
	s_andn2_b64 vcc, exec, s[16:17]
	s_cbranch_vccnz .LBB770_3
.LBB770_2:
	s_mov_b32 s9, 0
	s_mov_b64 s[18:19], -1
.LBB770_3:
	s_andn2_b64 vcc, exec, s[18:19]
	s_cbranch_vccnz .LBB770_10
; %bb.4:
	s_load_dwordx2 s[18:19], s[4:5], 0x28
	s_lshl_b64 s[16:17], s[8:9], 2
	s_waitcnt lgkmcnt(0)
	s_add_u32 s18, s18, s16
	s_addc_u32 s19, s19, s17
	s_load_dword s7, s[18:19], 0x0
	s_lshl_b32 s6, s6, 8
	s_waitcnt lgkmcnt(0)
	s_cmp_ge_i32 s6, s7
	s_cbranch_scc1 .LBB770_10
; %bb.5:
	s_andn2_b64 vcc, exec, s[14:15]
	s_cbranch_vccnz .LBB770_7
; %bb.6:
	s_add_u32 s6, s12, s16
	s_addc_u32 s7, s13, s17
	s_load_dword s8, s[6:7], 0x0
.LBB770_7:
	v_cmp_gt_u32_e32 vcc, 16, v0
	s_and_saveexec_b64 s[6:7], vcc
	s_cbranch_execz .LBB770_9
; %bb.8:
	s_load_dword s9, s[4:5], 0x48
	s_load_dwordx2 s[12:13], s[4:5], 0x0
	v_lshlrev_b32_e32 v1, 4, v0
	v_lshlrev_b32_e32 v0, 8, v0
	s_waitcnt lgkmcnt(0)
	s_ashr_i32 s11, s9, 31
	s_mul_hi_u32 s15, s8, s9
	s_mul_i32 s14, s8, s9
	s_mul_i32 s8, s8, s11
	s_add_i32 s15, s15, s8
	s_lshl_b64 s[8:9], s[14:15], 1
	s_add_u32 s11, s12, s8
	s_addc_u32 s12, s13, s9
	s_lshl_b32 s8, s10, 7
	s_ashr_i32 s9, s8, 31
	s_lshl_b64 s[8:9], s[8:9], 1
	s_add_u32 s8, s11, s8
	s_addc_u32 s9, s12, s9
	global_load_dwordx4 v[2:5], v1, s[8:9]
	v_and_b32_e32 v1, 16, v1
	s_mov_b32 s8, 0xfe00
	v_and_or_b32 v0, v0, s8, v1
	s_waitcnt vmcnt(0)
	ds_write_b128 v0, v[2:5]
.LBB770_9:
	s_or_b64 exec, exec, s[6:7]
	s_waitcnt lgkmcnt(0)
	s_add_u32 s8, s4, 0x90
	s_addc_u32 s9, s5, 0
	s_getpc_b64 s[4:5]
	s_add_u32 s4, s4, __PRETTY_FUNCTION__._Z39paged_attention_ll4mi_QKV_mfma16_kernelI14__hip_bfloat16hLN4vllm18Fp8KVCacheDataTypeE1ES0_Li16ELi128ELi256ELb1ELi1EL8MFMAType1EEvPKT_PKT0_S9_ifPKiSB_SB_iPKfiiiPfSE_PS4_PT2_iSD_SD_@rel32@lo+4
	s_addc_u32 s5, s5, __PRETTY_FUNCTION__._Z39paged_attention_ll4mi_QKV_mfma16_kernelI14__hip_bfloat16hLN4vllm18Fp8KVCacheDataTypeE1ES0_Li16ELi128ELi256ELb1ELi1EL8MFMAType1EEvPKT_PKT0_S9_ifPKiSB_SB_iPKfiiiPfSE_PS4_PT2_iSD_SD_@rel32@hi+12
	v_mov_b32_e32 v0, 0x288
	v_mov_b32_e32 v1, s4
	;; [unrolled: 1-line block ×3, first 2 shown]
	s_barrier
	s_getpc_b64 s[6:7]
	s_add_u32 s6, s6, __assert_fail@rel32@lo+4
	s_addc_u32 s7, s7, __assert_fail@rel32@hi+12
	s_swappc_b64 s[30:31], s[6:7]
	; divergent unreachable
.LBB770_10:
	s_endpgm
.LBB770_11:
	s_mov_b64 s[18:19], 0
	s_branch .LBB770_2
	.section	.rodata,"a",@progbits
	.p2align	6, 0x0
	.amdhsa_kernel _Z39paged_attention_ll4mi_QKV_mfma16_kernelI14__hip_bfloat16hLN4vllm18Fp8KVCacheDataTypeE1ES0_Li16ELi128ELi256ELb1ELi1EL8MFMAType1EEvPKT_PKT0_S9_ifPKiSB_SB_iPKfiiiPfSE_PS4_PT2_iSD_SD_
		.amdhsa_group_segment_fixed_size 8192
		.amdhsa_private_segment_fixed_size 64
		.amdhsa_kernarg_size 400
		.amdhsa_user_sgpr_count 8
		.amdhsa_user_sgpr_private_segment_buffer 1
		.amdhsa_user_sgpr_dispatch_ptr 0
		.amdhsa_user_sgpr_queue_ptr 0
		.amdhsa_user_sgpr_kernarg_segment_ptr 1
		.amdhsa_user_sgpr_dispatch_id 0
		.amdhsa_user_sgpr_flat_scratch_init 1
		.amdhsa_user_sgpr_kernarg_preload_length 0
		.amdhsa_user_sgpr_kernarg_preload_offset 0
		.amdhsa_user_sgpr_private_segment_size 0
		.amdhsa_uses_dynamic_stack 0
		.amdhsa_system_sgpr_private_segment_wavefront_offset 1
		.amdhsa_system_sgpr_workgroup_id_x 1
		.amdhsa_system_sgpr_workgroup_id_y 1
		.amdhsa_system_sgpr_workgroup_id_z 1
		.amdhsa_system_sgpr_workgroup_info 0
		.amdhsa_system_vgpr_workitem_id 0
		.amdhsa_next_free_vgpr 45
		.amdhsa_next_free_sgpr 34
		.amdhsa_accum_offset 44
		.amdhsa_reserve_vcc 1
		.amdhsa_reserve_flat_scratch 1
		.amdhsa_float_round_mode_32 0
		.amdhsa_float_round_mode_16_64 0
		.amdhsa_float_denorm_mode_32 3
		.amdhsa_float_denorm_mode_16_64 3
		.amdhsa_dx10_clamp 1
		.amdhsa_ieee_mode 1
		.amdhsa_fp16_overflow 0
		.amdhsa_tg_split 0
		.amdhsa_exception_fp_ieee_invalid_op 0
		.amdhsa_exception_fp_denorm_src 0
		.amdhsa_exception_fp_ieee_div_zero 0
		.amdhsa_exception_fp_ieee_overflow 0
		.amdhsa_exception_fp_ieee_underflow 0
		.amdhsa_exception_fp_ieee_inexact 0
		.amdhsa_exception_int_div_zero 0
	.end_amdhsa_kernel
	.section	.text._Z39paged_attention_ll4mi_QKV_mfma16_kernelI14__hip_bfloat16hLN4vllm18Fp8KVCacheDataTypeE1ES0_Li16ELi128ELi256ELb1ELi1EL8MFMAType1EEvPKT_PKT0_S9_ifPKiSB_SB_iPKfiiiPfSE_PS4_PT2_iSD_SD_,"axG",@progbits,_Z39paged_attention_ll4mi_QKV_mfma16_kernelI14__hip_bfloat16hLN4vllm18Fp8KVCacheDataTypeE1ES0_Li16ELi128ELi256ELb1ELi1EL8MFMAType1EEvPKT_PKT0_S9_ifPKiSB_SB_iPKfiiiPfSE_PS4_PT2_iSD_SD_,comdat
.Lfunc_end770:
	.size	_Z39paged_attention_ll4mi_QKV_mfma16_kernelI14__hip_bfloat16hLN4vllm18Fp8KVCacheDataTypeE1ES0_Li16ELi128ELi256ELb1ELi1EL8MFMAType1EEvPKT_PKT0_S9_ifPKiSB_SB_iPKfiiiPfSE_PS4_PT2_iSD_SD_, .Lfunc_end770-_Z39paged_attention_ll4mi_QKV_mfma16_kernelI14__hip_bfloat16hLN4vllm18Fp8KVCacheDataTypeE1ES0_Li16ELi128ELi256ELb1ELi1EL8MFMAType1EEvPKT_PKT0_S9_ifPKiSB_SB_iPKfiiiPfSE_PS4_PT2_iSD_SD_
                                        ; -- End function
	.section	.AMDGPU.csdata,"",@progbits
; Kernel info:
; codeLenInByte = 448
; NumSgprs: 40
; NumVgprs: 42
; NumAgprs: 1
; TotalNumVgprs: 45
; ScratchSize: 64
; MemoryBound: 0
; FloatMode: 240
; IeeeMode: 1
; LDSByteSize: 8192 bytes/workgroup (compile time only)
; SGPRBlocks: 4
; VGPRBlocks: 5
; NumSGPRsForWavesPerEU: 40
; NumVGPRsForWavesPerEU: 45
; AccumOffset: 44
; Occupancy: 8
; WaveLimiterHint : 1
; COMPUTE_PGM_RSRC2:SCRATCH_EN: 1
; COMPUTE_PGM_RSRC2:USER_SGPR: 8
; COMPUTE_PGM_RSRC2:TRAP_HANDLER: 0
; COMPUTE_PGM_RSRC2:TGID_X_EN: 1
; COMPUTE_PGM_RSRC2:TGID_Y_EN: 1
; COMPUTE_PGM_RSRC2:TGID_Z_EN: 1
; COMPUTE_PGM_RSRC2:TIDIG_COMP_CNT: 0
; COMPUTE_PGM_RSRC3_GFX90A:ACCUM_OFFSET: 10
; COMPUTE_PGM_RSRC3_GFX90A:TG_SPLIT: 0
	.section	.text._Z39paged_attention_ll4mi_QKV_mfma16_kernelI14__hip_bfloat16hLN4vllm18Fp8KVCacheDataTypeE1ES0_Li16ELi128ELi256ELb1ELi2EL8MFMAType1EEvPKT_PKT0_S9_ifPKiSB_SB_iPKfiiiPfSE_PS4_PT2_iSD_SD_,"axG",@progbits,_Z39paged_attention_ll4mi_QKV_mfma16_kernelI14__hip_bfloat16hLN4vllm18Fp8KVCacheDataTypeE1ES0_Li16ELi128ELi256ELb1ELi2EL8MFMAType1EEvPKT_PKT0_S9_ifPKiSB_SB_iPKfiiiPfSE_PS4_PT2_iSD_SD_,comdat
	.protected	_Z39paged_attention_ll4mi_QKV_mfma16_kernelI14__hip_bfloat16hLN4vllm18Fp8KVCacheDataTypeE1ES0_Li16ELi128ELi256ELb1ELi2EL8MFMAType1EEvPKT_PKT0_S9_ifPKiSB_SB_iPKfiiiPfSE_PS4_PT2_iSD_SD_ ; -- Begin function _Z39paged_attention_ll4mi_QKV_mfma16_kernelI14__hip_bfloat16hLN4vllm18Fp8KVCacheDataTypeE1ES0_Li16ELi128ELi256ELb1ELi2EL8MFMAType1EEvPKT_PKT0_S9_ifPKiSB_SB_iPKfiiiPfSE_PS4_PT2_iSD_SD_
	.globl	_Z39paged_attention_ll4mi_QKV_mfma16_kernelI14__hip_bfloat16hLN4vllm18Fp8KVCacheDataTypeE1ES0_Li16ELi128ELi256ELb1ELi2EL8MFMAType1EEvPKT_PKT0_S9_ifPKiSB_SB_iPKfiiiPfSE_PS4_PT2_iSD_SD_
	.p2align	8
	.type	_Z39paged_attention_ll4mi_QKV_mfma16_kernelI14__hip_bfloat16hLN4vllm18Fp8KVCacheDataTypeE1ES0_Li16ELi128ELi256ELb1ELi2EL8MFMAType1EEvPKT_PKT0_S9_ifPKiSB_SB_iPKfiiiPfSE_PS4_PT2_iSD_SD_,@function
_Z39paged_attention_ll4mi_QKV_mfma16_kernelI14__hip_bfloat16hLN4vllm18Fp8KVCacheDataTypeE1ES0_Li16ELi128ELi256ELb1ELi2EL8MFMAType1EEvPKT_PKT0_S9_ifPKiSB_SB_iPKfiiiPfSE_PS4_PT2_iSD_SD_: ; @_Z39paged_attention_ll4mi_QKV_mfma16_kernelI14__hip_bfloat16hLN4vllm18Fp8KVCacheDataTypeE1ES0_Li16ELi128ELi256ELb1ELi2EL8MFMAType1EEvPKT_PKT0_S9_ifPKiSB_SB_iPKfiiiPfSE_PS4_PT2_iSD_SD_
; %bb.0:
	s_load_dwordx2 s[12:13], s[4:5], 0x30
	s_add_u32 flat_scratch_lo, s6, s11
	s_addc_u32 flat_scratch_hi, s7, 0
	s_add_u32 s0, s0, s11
	s_addc_u32 s1, s1, 0
	s_waitcnt lgkmcnt(0)
	s_cmp_lg_u64 s[12:13], 0
	s_cselect_b64 s[14:15], -1, 0
	s_mov_b32 s6, s9
	s_mov_b64 s[16:17], 0
	s_and_b64 vcc, exec, s[14:15]
	s_mov_b32 s32, 0
	s_cbranch_vccz .LBB771_11
; %bb.1:
	s_add_i32 s18, s8, 1
	s_mov_b32 s19, 0
	s_lshl_b64 s[20:21], s[18:19], 2
	s_add_u32 s20, s12, s20
	s_mov_b32 s9, s19
	s_addc_u32 s21, s13, s21
	s_lshl_b64 s[18:19], s[8:9], 2
	s_add_u32 s18, s12, s18
	s_addc_u32 s19, s13, s19
	s_load_dword s7, s[20:21], 0x0
	s_load_dword s11, s[18:19], 0x0
	s_waitcnt lgkmcnt(0)
	s_sub_i32 s7, s7, s11
	s_cmp_eq_u32 s7, 1
	s_cselect_b64 s[18:19], -1, 0
	s_andn2_b64 vcc, exec, s[16:17]
	s_cbranch_vccnz .LBB771_3
.LBB771_2:
	s_mov_b32 s9, 0
	s_mov_b64 s[18:19], -1
.LBB771_3:
	s_andn2_b64 vcc, exec, s[18:19]
	s_cbranch_vccnz .LBB771_10
; %bb.4:
	s_load_dwordx2 s[18:19], s[4:5], 0x28
	s_lshl_b64 s[16:17], s[8:9], 2
	s_waitcnt lgkmcnt(0)
	s_add_u32 s18, s18, s16
	s_addc_u32 s19, s19, s17
	s_load_dword s7, s[18:19], 0x0
	s_lshl_b32 s6, s6, 8
	s_waitcnt lgkmcnt(0)
	s_cmp_ge_i32 s6, s7
	s_cbranch_scc1 .LBB771_10
; %bb.5:
	s_andn2_b64 vcc, exec, s[14:15]
	s_cbranch_vccnz .LBB771_7
; %bb.6:
	s_add_u32 s6, s12, s16
	s_addc_u32 s7, s13, s17
	s_load_dword s8, s[6:7], 0x0
.LBB771_7:
	v_cmp_gt_u32_e32 vcc, 32, v0
	s_and_saveexec_b64 s[6:7], vcc
	s_cbranch_execz .LBB771_9
; %bb.8:
	s_load_dword s11, s[4:5], 0x48
	s_load_dwordx2 s[12:13], s[4:5], 0x0
	v_lshrrev_b32_e32 v6, 4, v0
	v_lshlrev_b32_e32 v2, 7, v6
	v_lshl_or_b32 v2, s10, 8, v2
	s_waitcnt lgkmcnt(0)
	s_ashr_i32 s9, s11, 31
	s_mul_hi_u32 s14, s8, s11
	s_mul_i32 s9, s8, s9
	s_add_i32 s9, s14, s9
	s_mul_i32 s8, s8, s11
	s_lshl_b64 s[8:9], s[8:9], 1
	s_add_u32 s8, s12, s8
	v_ashrrev_i32_e32 v3, 31, v2
	s_addc_u32 s9, s13, s9
	v_lshlrev_b64 v[2:3], 1, v[2:3]
	v_and_b32_e32 v1, 15, v0
	v_mov_b32_e32 v4, s9
	v_add_co_u32_e32 v2, vcc, s8, v2
	v_addc_co_u32_e32 v3, vcc, v4, v3, vcc
	v_lshlrev_b32_e32 v1, 4, v1
	v_add_co_u32_e32 v2, vcc, v2, v1
	v_addc_co_u32_e32 v3, vcc, 0, v3, vcc
	global_load_dwordx4 v[2:5], v[2:3], off
	v_lshlrev_b32_e32 v1, 4, v0
	v_lshlrev_b32_e32 v0, 8, v0
	v_and_b32_e32 v1, 16, v1
	v_lshlrev_b32_e32 v6, 5, v6
	v_and_b32_e32 v0, 0xe00, v0
	v_or3_b32 v0, v0, v6, v1
	s_waitcnt vmcnt(0)
	ds_write_b128 v0, v[2:5]
.LBB771_9:
	s_or_b64 exec, exec, s[6:7]
	s_waitcnt lgkmcnt(0)
	s_add_u32 s8, s4, 0x90
	s_addc_u32 s9, s5, 0
	s_getpc_b64 s[4:5]
	s_add_u32 s4, s4, __PRETTY_FUNCTION__._Z39paged_attention_ll4mi_QKV_mfma16_kernelI14__hip_bfloat16hLN4vllm18Fp8KVCacheDataTypeE1ES0_Li16ELi128ELi256ELb1ELi2EL8MFMAType1EEvPKT_PKT0_S9_ifPKiSB_SB_iPKfiiiPfSE_PS4_PT2_iSD_SD_@rel32@lo+4
	s_addc_u32 s5, s5, __PRETTY_FUNCTION__._Z39paged_attention_ll4mi_QKV_mfma16_kernelI14__hip_bfloat16hLN4vllm18Fp8KVCacheDataTypeE1ES0_Li16ELi128ELi256ELb1ELi2EL8MFMAType1EEvPKT_PKT0_S9_ifPKiSB_SB_iPKfiiiPfSE_PS4_PT2_iSD_SD_@rel32@hi+12
	v_mov_b32_e32 v0, 0x288
	v_mov_b32_e32 v1, s4
	;; [unrolled: 1-line block ×3, first 2 shown]
	s_barrier
	s_getpc_b64 s[6:7]
	s_add_u32 s6, s6, __assert_fail@rel32@lo+4
	s_addc_u32 s7, s7, __assert_fail@rel32@hi+12
	s_swappc_b64 s[30:31], s[6:7]
	; divergent unreachable
.LBB771_10:
	s_endpgm
.LBB771_11:
	s_mov_b64 s[18:19], 0
	s_branch .LBB771_2
	.section	.rodata,"a",@progbits
	.p2align	6, 0x0
	.amdhsa_kernel _Z39paged_attention_ll4mi_QKV_mfma16_kernelI14__hip_bfloat16hLN4vllm18Fp8KVCacheDataTypeE1ES0_Li16ELi128ELi256ELb1ELi2EL8MFMAType1EEvPKT_PKT0_S9_ifPKiSB_SB_iPKfiiiPfSE_PS4_PT2_iSD_SD_
		.amdhsa_group_segment_fixed_size 8192
		.amdhsa_private_segment_fixed_size 64
		.amdhsa_kernarg_size 400
		.amdhsa_user_sgpr_count 8
		.amdhsa_user_sgpr_private_segment_buffer 1
		.amdhsa_user_sgpr_dispatch_ptr 0
		.amdhsa_user_sgpr_queue_ptr 0
		.amdhsa_user_sgpr_kernarg_segment_ptr 1
		.amdhsa_user_sgpr_dispatch_id 0
		.amdhsa_user_sgpr_flat_scratch_init 1
		.amdhsa_user_sgpr_kernarg_preload_length 0
		.amdhsa_user_sgpr_kernarg_preload_offset 0
		.amdhsa_user_sgpr_private_segment_size 0
		.amdhsa_uses_dynamic_stack 0
		.amdhsa_system_sgpr_private_segment_wavefront_offset 1
		.amdhsa_system_sgpr_workgroup_id_x 1
		.amdhsa_system_sgpr_workgroup_id_y 1
		.amdhsa_system_sgpr_workgroup_id_z 1
		.amdhsa_system_sgpr_workgroup_info 0
		.amdhsa_system_vgpr_workitem_id 0
		.amdhsa_next_free_vgpr 45
		.amdhsa_next_free_sgpr 34
		.amdhsa_accum_offset 44
		.amdhsa_reserve_vcc 1
		.amdhsa_reserve_flat_scratch 1
		.amdhsa_float_round_mode_32 0
		.amdhsa_float_round_mode_16_64 0
		.amdhsa_float_denorm_mode_32 3
		.amdhsa_float_denorm_mode_16_64 3
		.amdhsa_dx10_clamp 1
		.amdhsa_ieee_mode 1
		.amdhsa_fp16_overflow 0
		.amdhsa_tg_split 0
		.amdhsa_exception_fp_ieee_invalid_op 0
		.amdhsa_exception_fp_denorm_src 0
		.amdhsa_exception_fp_ieee_div_zero 0
		.amdhsa_exception_fp_ieee_overflow 0
		.amdhsa_exception_fp_ieee_underflow 0
		.amdhsa_exception_fp_ieee_inexact 0
		.amdhsa_exception_int_div_zero 0
	.end_amdhsa_kernel
	.section	.text._Z39paged_attention_ll4mi_QKV_mfma16_kernelI14__hip_bfloat16hLN4vllm18Fp8KVCacheDataTypeE1ES0_Li16ELi128ELi256ELb1ELi2EL8MFMAType1EEvPKT_PKT0_S9_ifPKiSB_SB_iPKfiiiPfSE_PS4_PT2_iSD_SD_,"axG",@progbits,_Z39paged_attention_ll4mi_QKV_mfma16_kernelI14__hip_bfloat16hLN4vllm18Fp8KVCacheDataTypeE1ES0_Li16ELi128ELi256ELb1ELi2EL8MFMAType1EEvPKT_PKT0_S9_ifPKiSB_SB_iPKfiiiPfSE_PS4_PT2_iSD_SD_,comdat
.Lfunc_end771:
	.size	_Z39paged_attention_ll4mi_QKV_mfma16_kernelI14__hip_bfloat16hLN4vllm18Fp8KVCacheDataTypeE1ES0_Li16ELi128ELi256ELb1ELi2EL8MFMAType1EEvPKT_PKT0_S9_ifPKiSB_SB_iPKfiiiPfSE_PS4_PT2_iSD_SD_, .Lfunc_end771-_Z39paged_attention_ll4mi_QKV_mfma16_kernelI14__hip_bfloat16hLN4vllm18Fp8KVCacheDataTypeE1ES0_Li16ELi128ELi256ELb1ELi2EL8MFMAType1EEvPKT_PKT0_S9_ifPKiSB_SB_iPKfiiiPfSE_PS4_PT2_iSD_SD_
                                        ; -- End function
	.section	.AMDGPU.csdata,"",@progbits
; Kernel info:
; codeLenInByte = 488
; NumSgprs: 40
; NumVgprs: 42
; NumAgprs: 1
; TotalNumVgprs: 45
; ScratchSize: 64
; MemoryBound: 0
; FloatMode: 240
; IeeeMode: 1
; LDSByteSize: 8192 bytes/workgroup (compile time only)
; SGPRBlocks: 4
; VGPRBlocks: 5
; NumSGPRsForWavesPerEU: 40
; NumVGPRsForWavesPerEU: 45
; AccumOffset: 44
; Occupancy: 8
; WaveLimiterHint : 1
; COMPUTE_PGM_RSRC2:SCRATCH_EN: 1
; COMPUTE_PGM_RSRC2:USER_SGPR: 8
; COMPUTE_PGM_RSRC2:TRAP_HANDLER: 0
; COMPUTE_PGM_RSRC2:TGID_X_EN: 1
; COMPUTE_PGM_RSRC2:TGID_Y_EN: 1
; COMPUTE_PGM_RSRC2:TGID_Z_EN: 1
; COMPUTE_PGM_RSRC2:TIDIG_COMP_CNT: 0
; COMPUTE_PGM_RSRC3_GFX90A:ACCUM_OFFSET: 10
; COMPUTE_PGM_RSRC3_GFX90A:TG_SPLIT: 0
	.section	.text._Z39paged_attention_ll4mi_QKV_mfma16_kernelI14__hip_bfloat16hLN4vllm18Fp8KVCacheDataTypeE1ES0_Li16ELi128ELi256ELb1ELi3EL8MFMAType1EEvPKT_PKT0_S9_ifPKiSB_SB_iPKfiiiPfSE_PS4_PT2_iSD_SD_,"axG",@progbits,_Z39paged_attention_ll4mi_QKV_mfma16_kernelI14__hip_bfloat16hLN4vllm18Fp8KVCacheDataTypeE1ES0_Li16ELi128ELi256ELb1ELi3EL8MFMAType1EEvPKT_PKT0_S9_ifPKiSB_SB_iPKfiiiPfSE_PS4_PT2_iSD_SD_,comdat
	.protected	_Z39paged_attention_ll4mi_QKV_mfma16_kernelI14__hip_bfloat16hLN4vllm18Fp8KVCacheDataTypeE1ES0_Li16ELi128ELi256ELb1ELi3EL8MFMAType1EEvPKT_PKT0_S9_ifPKiSB_SB_iPKfiiiPfSE_PS4_PT2_iSD_SD_ ; -- Begin function _Z39paged_attention_ll4mi_QKV_mfma16_kernelI14__hip_bfloat16hLN4vllm18Fp8KVCacheDataTypeE1ES0_Li16ELi128ELi256ELb1ELi3EL8MFMAType1EEvPKT_PKT0_S9_ifPKiSB_SB_iPKfiiiPfSE_PS4_PT2_iSD_SD_
	.globl	_Z39paged_attention_ll4mi_QKV_mfma16_kernelI14__hip_bfloat16hLN4vllm18Fp8KVCacheDataTypeE1ES0_Li16ELi128ELi256ELb1ELi3EL8MFMAType1EEvPKT_PKT0_S9_ifPKiSB_SB_iPKfiiiPfSE_PS4_PT2_iSD_SD_
	.p2align	8
	.type	_Z39paged_attention_ll4mi_QKV_mfma16_kernelI14__hip_bfloat16hLN4vllm18Fp8KVCacheDataTypeE1ES0_Li16ELi128ELi256ELb1ELi3EL8MFMAType1EEvPKT_PKT0_S9_ifPKiSB_SB_iPKfiiiPfSE_PS4_PT2_iSD_SD_,@function
_Z39paged_attention_ll4mi_QKV_mfma16_kernelI14__hip_bfloat16hLN4vllm18Fp8KVCacheDataTypeE1ES0_Li16ELi128ELi256ELb1ELi3EL8MFMAType1EEvPKT_PKT0_S9_ifPKiSB_SB_iPKfiiiPfSE_PS4_PT2_iSD_SD_: ; @_Z39paged_attention_ll4mi_QKV_mfma16_kernelI14__hip_bfloat16hLN4vllm18Fp8KVCacheDataTypeE1ES0_Li16ELi128ELi256ELb1ELi3EL8MFMAType1EEvPKT_PKT0_S9_ifPKiSB_SB_iPKfiiiPfSE_PS4_PT2_iSD_SD_
; %bb.0:
	s_load_dwordx2 s[12:13], s[4:5], 0x30
	s_add_u32 flat_scratch_lo, s6, s11
	s_addc_u32 flat_scratch_hi, s7, 0
	s_add_u32 s0, s0, s11
	s_addc_u32 s1, s1, 0
	s_waitcnt lgkmcnt(0)
	s_cmp_lg_u64 s[12:13], 0
	s_cselect_b64 s[14:15], -1, 0
	s_mov_b32 s6, s9
	s_mov_b64 s[16:17], 0
	s_and_b64 vcc, exec, s[14:15]
	s_mov_b32 s32, 0
	s_cbranch_vccz .LBB772_11
; %bb.1:
	s_add_i32 s18, s8, 1
	s_mov_b32 s19, 0
	s_lshl_b64 s[20:21], s[18:19], 2
	s_add_u32 s20, s12, s20
	s_mov_b32 s9, s19
	s_addc_u32 s21, s13, s21
	s_lshl_b64 s[18:19], s[8:9], 2
	s_add_u32 s18, s12, s18
	s_addc_u32 s19, s13, s19
	s_load_dword s7, s[20:21], 0x0
	s_load_dword s11, s[18:19], 0x0
	s_waitcnt lgkmcnt(0)
	s_sub_i32 s7, s7, s11
	s_cmp_eq_u32 s7, 1
	s_cselect_b64 s[18:19], -1, 0
	s_andn2_b64 vcc, exec, s[16:17]
	s_cbranch_vccnz .LBB772_3
.LBB772_2:
	s_mov_b32 s9, 0
	s_mov_b64 s[18:19], -1
.LBB772_3:
	s_andn2_b64 vcc, exec, s[18:19]
	s_cbranch_vccnz .LBB772_10
; %bb.4:
	s_load_dwordx2 s[18:19], s[4:5], 0x28
	s_lshl_b64 s[16:17], s[8:9], 2
	s_waitcnt lgkmcnt(0)
	s_add_u32 s18, s18, s16
	s_addc_u32 s19, s19, s17
	s_load_dword s7, s[18:19], 0x0
	s_lshl_b32 s6, s6, 8
	s_waitcnt lgkmcnt(0)
	s_cmp_ge_i32 s6, s7
	s_cbranch_scc1 .LBB772_10
; %bb.5:
	s_andn2_b64 vcc, exec, s[14:15]
	s_cbranch_vccnz .LBB772_7
; %bb.6:
	s_add_u32 s6, s12, s16
	s_addc_u32 s7, s13, s17
	s_load_dword s8, s[6:7], 0x0
.LBB772_7:
	v_cmp_gt_u32_e32 vcc, 48, v0
	s_and_saveexec_b64 s[6:7], vcc
	s_cbranch_execz .LBB772_9
; %bb.8:
	s_load_dword s11, s[4:5], 0x48
	s_load_dwordx2 s[12:13], s[4:5], 0x0
	v_lshrrev_b32_e32 v1, 4, v0
	s_mul_i32 s10, s10, 3
	v_add_lshl_u32 v2, v1, s10, 7
	s_waitcnt lgkmcnt(0)
	s_ashr_i32 s9, s11, 31
	s_mul_hi_u32 s14, s8, s11
	s_mul_i32 s9, s8, s9
	s_add_i32 s9, s14, s9
	s_mul_i32 s8, s8, s11
	s_lshl_b64 s[8:9], s[8:9], 1
	s_add_u32 s8, s12, s8
	v_ashrrev_i32_e32 v3, 31, v2
	s_addc_u32 s9, s13, s9
	v_lshlrev_b64 v[2:3], 1, v[2:3]
	v_and_b32_e32 v4, 15, v0
	v_mov_b32_e32 v5, s9
	v_add_co_u32_e32 v2, vcc, s8, v2
	v_addc_co_u32_e32 v3, vcc, v5, v3, vcc
	v_lshlrev_b32_e32 v4, 4, v4
	v_add_co_u32_e32 v2, vcc, v2, v4
	v_addc_co_u32_e32 v3, vcc, 0, v3, vcc
	global_load_dwordx4 v[2:5], v[2:3], off
	v_lshlrev_b32_e32 v6, 4, v0
	v_lshlrev_b32_e32 v0, 8, v0
	v_and_b32_e32 v6, 16, v6
	v_lshlrev_b32_e32 v1, 5, v1
	v_and_b32_e32 v0, 0xe00, v0
	v_or3_b32 v0, v0, v1, v6
	s_waitcnt vmcnt(0)
	ds_write_b128 v0, v[2:5]
.LBB772_9:
	s_or_b64 exec, exec, s[6:7]
	s_waitcnt lgkmcnt(0)
	s_add_u32 s8, s4, 0x90
	s_addc_u32 s9, s5, 0
	s_getpc_b64 s[4:5]
	s_add_u32 s4, s4, __PRETTY_FUNCTION__._Z39paged_attention_ll4mi_QKV_mfma16_kernelI14__hip_bfloat16hLN4vllm18Fp8KVCacheDataTypeE1ES0_Li16ELi128ELi256ELb1ELi3EL8MFMAType1EEvPKT_PKT0_S9_ifPKiSB_SB_iPKfiiiPfSE_PS4_PT2_iSD_SD_@rel32@lo+4
	s_addc_u32 s5, s5, __PRETTY_FUNCTION__._Z39paged_attention_ll4mi_QKV_mfma16_kernelI14__hip_bfloat16hLN4vllm18Fp8KVCacheDataTypeE1ES0_Li16ELi128ELi256ELb1ELi3EL8MFMAType1EEvPKT_PKT0_S9_ifPKiSB_SB_iPKfiiiPfSE_PS4_PT2_iSD_SD_@rel32@hi+12
	v_mov_b32_e32 v0, 0x288
	v_mov_b32_e32 v1, s4
	v_mov_b32_e32 v2, s5
	s_barrier
	s_getpc_b64 s[6:7]
	s_add_u32 s6, s6, __assert_fail@rel32@lo+4
	s_addc_u32 s7, s7, __assert_fail@rel32@hi+12
	s_swappc_b64 s[30:31], s[6:7]
	; divergent unreachable
.LBB772_10:
	s_endpgm
.LBB772_11:
	s_mov_b64 s[18:19], 0
	s_branch .LBB772_2
	.section	.rodata,"a",@progbits
	.p2align	6, 0x0
	.amdhsa_kernel _Z39paged_attention_ll4mi_QKV_mfma16_kernelI14__hip_bfloat16hLN4vllm18Fp8KVCacheDataTypeE1ES0_Li16ELi128ELi256ELb1ELi3EL8MFMAType1EEvPKT_PKT0_S9_ifPKiSB_SB_iPKfiiiPfSE_PS4_PT2_iSD_SD_
		.amdhsa_group_segment_fixed_size 8192
		.amdhsa_private_segment_fixed_size 64
		.amdhsa_kernarg_size 400
		.amdhsa_user_sgpr_count 8
		.amdhsa_user_sgpr_private_segment_buffer 1
		.amdhsa_user_sgpr_dispatch_ptr 0
		.amdhsa_user_sgpr_queue_ptr 0
		.amdhsa_user_sgpr_kernarg_segment_ptr 1
		.amdhsa_user_sgpr_dispatch_id 0
		.amdhsa_user_sgpr_flat_scratch_init 1
		.amdhsa_user_sgpr_kernarg_preload_length 0
		.amdhsa_user_sgpr_kernarg_preload_offset 0
		.amdhsa_user_sgpr_private_segment_size 0
		.amdhsa_uses_dynamic_stack 0
		.amdhsa_system_sgpr_private_segment_wavefront_offset 1
		.amdhsa_system_sgpr_workgroup_id_x 1
		.amdhsa_system_sgpr_workgroup_id_y 1
		.amdhsa_system_sgpr_workgroup_id_z 1
		.amdhsa_system_sgpr_workgroup_info 0
		.amdhsa_system_vgpr_workitem_id 0
		.amdhsa_next_free_vgpr 45
		.amdhsa_next_free_sgpr 34
		.amdhsa_accum_offset 44
		.amdhsa_reserve_vcc 1
		.amdhsa_reserve_flat_scratch 1
		.amdhsa_float_round_mode_32 0
		.amdhsa_float_round_mode_16_64 0
		.amdhsa_float_denorm_mode_32 3
		.amdhsa_float_denorm_mode_16_64 3
		.amdhsa_dx10_clamp 1
		.amdhsa_ieee_mode 1
		.amdhsa_fp16_overflow 0
		.amdhsa_tg_split 0
		.amdhsa_exception_fp_ieee_invalid_op 0
		.amdhsa_exception_fp_denorm_src 0
		.amdhsa_exception_fp_ieee_div_zero 0
		.amdhsa_exception_fp_ieee_overflow 0
		.amdhsa_exception_fp_ieee_underflow 0
		.amdhsa_exception_fp_ieee_inexact 0
		.amdhsa_exception_int_div_zero 0
	.end_amdhsa_kernel
	.section	.text._Z39paged_attention_ll4mi_QKV_mfma16_kernelI14__hip_bfloat16hLN4vllm18Fp8KVCacheDataTypeE1ES0_Li16ELi128ELi256ELb1ELi3EL8MFMAType1EEvPKT_PKT0_S9_ifPKiSB_SB_iPKfiiiPfSE_PS4_PT2_iSD_SD_,"axG",@progbits,_Z39paged_attention_ll4mi_QKV_mfma16_kernelI14__hip_bfloat16hLN4vllm18Fp8KVCacheDataTypeE1ES0_Li16ELi128ELi256ELb1ELi3EL8MFMAType1EEvPKT_PKT0_S9_ifPKiSB_SB_iPKfiiiPfSE_PS4_PT2_iSD_SD_,comdat
.Lfunc_end772:
	.size	_Z39paged_attention_ll4mi_QKV_mfma16_kernelI14__hip_bfloat16hLN4vllm18Fp8KVCacheDataTypeE1ES0_Li16ELi128ELi256ELb1ELi3EL8MFMAType1EEvPKT_PKT0_S9_ifPKiSB_SB_iPKfiiiPfSE_PS4_PT2_iSD_SD_, .Lfunc_end772-_Z39paged_attention_ll4mi_QKV_mfma16_kernelI14__hip_bfloat16hLN4vllm18Fp8KVCacheDataTypeE1ES0_Li16ELi128ELi256ELb1ELi3EL8MFMAType1EEvPKT_PKT0_S9_ifPKiSB_SB_iPKfiiiPfSE_PS4_PT2_iSD_SD_
                                        ; -- End function
	.section	.AMDGPU.csdata,"",@progbits
; Kernel info:
; codeLenInByte = 488
; NumSgprs: 40
; NumVgprs: 42
; NumAgprs: 1
; TotalNumVgprs: 45
; ScratchSize: 64
; MemoryBound: 0
; FloatMode: 240
; IeeeMode: 1
; LDSByteSize: 8192 bytes/workgroup (compile time only)
; SGPRBlocks: 4
; VGPRBlocks: 5
; NumSGPRsForWavesPerEU: 40
; NumVGPRsForWavesPerEU: 45
; AccumOffset: 44
; Occupancy: 8
; WaveLimiterHint : 1
; COMPUTE_PGM_RSRC2:SCRATCH_EN: 1
; COMPUTE_PGM_RSRC2:USER_SGPR: 8
; COMPUTE_PGM_RSRC2:TRAP_HANDLER: 0
; COMPUTE_PGM_RSRC2:TGID_X_EN: 1
; COMPUTE_PGM_RSRC2:TGID_Y_EN: 1
; COMPUTE_PGM_RSRC2:TGID_Z_EN: 1
; COMPUTE_PGM_RSRC2:TIDIG_COMP_CNT: 0
; COMPUTE_PGM_RSRC3_GFX90A:ACCUM_OFFSET: 10
; COMPUTE_PGM_RSRC3_GFX90A:TG_SPLIT: 0
	.section	.text._Z39paged_attention_ll4mi_QKV_mfma16_kernelI14__hip_bfloat16hLN4vllm18Fp8KVCacheDataTypeE1ES0_Li16ELi128ELi256ELb1ELi4EL8MFMAType1EEvPKT_PKT0_S9_ifPKiSB_SB_iPKfiiiPfSE_PS4_PT2_iSD_SD_,"axG",@progbits,_Z39paged_attention_ll4mi_QKV_mfma16_kernelI14__hip_bfloat16hLN4vllm18Fp8KVCacheDataTypeE1ES0_Li16ELi128ELi256ELb1ELi4EL8MFMAType1EEvPKT_PKT0_S9_ifPKiSB_SB_iPKfiiiPfSE_PS4_PT2_iSD_SD_,comdat
	.protected	_Z39paged_attention_ll4mi_QKV_mfma16_kernelI14__hip_bfloat16hLN4vllm18Fp8KVCacheDataTypeE1ES0_Li16ELi128ELi256ELb1ELi4EL8MFMAType1EEvPKT_PKT0_S9_ifPKiSB_SB_iPKfiiiPfSE_PS4_PT2_iSD_SD_ ; -- Begin function _Z39paged_attention_ll4mi_QKV_mfma16_kernelI14__hip_bfloat16hLN4vllm18Fp8KVCacheDataTypeE1ES0_Li16ELi128ELi256ELb1ELi4EL8MFMAType1EEvPKT_PKT0_S9_ifPKiSB_SB_iPKfiiiPfSE_PS4_PT2_iSD_SD_
	.globl	_Z39paged_attention_ll4mi_QKV_mfma16_kernelI14__hip_bfloat16hLN4vllm18Fp8KVCacheDataTypeE1ES0_Li16ELi128ELi256ELb1ELi4EL8MFMAType1EEvPKT_PKT0_S9_ifPKiSB_SB_iPKfiiiPfSE_PS4_PT2_iSD_SD_
	.p2align	8
	.type	_Z39paged_attention_ll4mi_QKV_mfma16_kernelI14__hip_bfloat16hLN4vllm18Fp8KVCacheDataTypeE1ES0_Li16ELi128ELi256ELb1ELi4EL8MFMAType1EEvPKT_PKT0_S9_ifPKiSB_SB_iPKfiiiPfSE_PS4_PT2_iSD_SD_,@function
_Z39paged_attention_ll4mi_QKV_mfma16_kernelI14__hip_bfloat16hLN4vllm18Fp8KVCacheDataTypeE1ES0_Li16ELi128ELi256ELb1ELi4EL8MFMAType1EEvPKT_PKT0_S9_ifPKiSB_SB_iPKfiiiPfSE_PS4_PT2_iSD_SD_: ; @_Z39paged_attention_ll4mi_QKV_mfma16_kernelI14__hip_bfloat16hLN4vllm18Fp8KVCacheDataTypeE1ES0_Li16ELi128ELi256ELb1ELi4EL8MFMAType1EEvPKT_PKT0_S9_ifPKiSB_SB_iPKfiiiPfSE_PS4_PT2_iSD_SD_
; %bb.0:
	s_load_dwordx2 s[12:13], s[4:5], 0x30
	s_add_u32 flat_scratch_lo, s6, s11
	s_addc_u32 flat_scratch_hi, s7, 0
	s_add_u32 s0, s0, s11
	s_addc_u32 s1, s1, 0
	s_waitcnt lgkmcnt(0)
	s_cmp_lg_u64 s[12:13], 0
	s_cselect_b64 s[14:15], -1, 0
	s_mov_b32 s6, s9
	s_mov_b64 s[16:17], 0
	s_and_b64 vcc, exec, s[14:15]
	s_mov_b32 s32, 0
	s_cbranch_vccz .LBB773_11
; %bb.1:
	s_add_i32 s18, s8, 1
	s_mov_b32 s19, 0
	s_lshl_b64 s[20:21], s[18:19], 2
	s_add_u32 s20, s12, s20
	s_mov_b32 s9, s19
	s_addc_u32 s21, s13, s21
	s_lshl_b64 s[18:19], s[8:9], 2
	s_add_u32 s18, s12, s18
	s_addc_u32 s19, s13, s19
	s_load_dword s7, s[20:21], 0x0
	s_load_dword s11, s[18:19], 0x0
	s_waitcnt lgkmcnt(0)
	s_sub_i32 s7, s7, s11
	s_cmp_eq_u32 s7, 1
	s_cselect_b64 s[18:19], -1, 0
	s_andn2_b64 vcc, exec, s[16:17]
	s_cbranch_vccnz .LBB773_3
.LBB773_2:
	s_mov_b32 s9, 0
	s_mov_b64 s[18:19], -1
.LBB773_3:
	s_andn2_b64 vcc, exec, s[18:19]
	s_cbranch_vccnz .LBB773_10
; %bb.4:
	s_load_dwordx2 s[18:19], s[4:5], 0x28
	s_lshl_b64 s[16:17], s[8:9], 2
	s_waitcnt lgkmcnt(0)
	s_add_u32 s18, s18, s16
	s_addc_u32 s19, s19, s17
	s_load_dword s7, s[18:19], 0x0
	s_lshl_b32 s6, s6, 8
	s_waitcnt lgkmcnt(0)
	s_cmp_ge_i32 s6, s7
	s_cbranch_scc1 .LBB773_10
; %bb.5:
	s_andn2_b64 vcc, exec, s[14:15]
	s_cbranch_vccnz .LBB773_7
; %bb.6:
	s_add_u32 s6, s12, s16
	s_addc_u32 s7, s13, s17
	s_load_dword s8, s[6:7], 0x0
.LBB773_7:
	v_cmp_gt_u32_e32 vcc, 64, v0
	s_and_saveexec_b64 s[6:7], vcc
	s_cbranch_execz .LBB773_9
; %bb.8:
	s_load_dword s11, s[4:5], 0x48
	s_load_dwordx2 s[12:13], s[4:5], 0x0
	v_lshrrev_b32_e32 v6, 4, v0
	v_lshlrev_b32_e32 v2, 7, v6
	v_lshl_or_b32 v2, s10, 9, v2
	s_waitcnt lgkmcnt(0)
	s_ashr_i32 s9, s11, 31
	s_mul_hi_u32 s14, s8, s11
	s_mul_i32 s9, s8, s9
	s_add_i32 s9, s14, s9
	s_mul_i32 s8, s8, s11
	s_lshl_b64 s[8:9], s[8:9], 1
	s_add_u32 s8, s12, s8
	v_ashrrev_i32_e32 v3, 31, v2
	s_addc_u32 s9, s13, s9
	v_lshlrev_b64 v[2:3], 1, v[2:3]
	v_and_b32_e32 v1, 15, v0
	v_mov_b32_e32 v4, s9
	v_add_co_u32_e32 v2, vcc, s8, v2
	v_addc_co_u32_e32 v3, vcc, v4, v3, vcc
	v_lshlrev_b32_e32 v1, 4, v1
	v_add_co_u32_e32 v2, vcc, v2, v1
	v_addc_co_u32_e32 v3, vcc, 0, v3, vcc
	global_load_dwordx4 v[2:5], v[2:3], off
	v_lshlrev_b32_e32 v1, 4, v0
	v_lshlrev_b32_e32 v0, 8, v0
	v_and_b32_e32 v1, 16, v1
	v_lshlrev_b32_e32 v6, 5, v6
	v_and_b32_e32 v0, 0xe00, v0
	v_or3_b32 v0, v0, v6, v1
	s_waitcnt vmcnt(0)
	ds_write_b128 v0, v[2:5]
.LBB773_9:
	s_or_b64 exec, exec, s[6:7]
	s_waitcnt lgkmcnt(0)
	s_add_u32 s8, s4, 0x90
	s_addc_u32 s9, s5, 0
	s_getpc_b64 s[4:5]
	s_add_u32 s4, s4, __PRETTY_FUNCTION__._Z39paged_attention_ll4mi_QKV_mfma16_kernelI14__hip_bfloat16hLN4vllm18Fp8KVCacheDataTypeE1ES0_Li16ELi128ELi256ELb1ELi4EL8MFMAType1EEvPKT_PKT0_S9_ifPKiSB_SB_iPKfiiiPfSE_PS4_PT2_iSD_SD_@rel32@lo+4
	s_addc_u32 s5, s5, __PRETTY_FUNCTION__._Z39paged_attention_ll4mi_QKV_mfma16_kernelI14__hip_bfloat16hLN4vllm18Fp8KVCacheDataTypeE1ES0_Li16ELi128ELi256ELb1ELi4EL8MFMAType1EEvPKT_PKT0_S9_ifPKiSB_SB_iPKfiiiPfSE_PS4_PT2_iSD_SD_@rel32@hi+12
	v_mov_b32_e32 v0, 0x288
	v_mov_b32_e32 v1, s4
	;; [unrolled: 1-line block ×3, first 2 shown]
	s_barrier
	s_getpc_b64 s[6:7]
	s_add_u32 s6, s6, __assert_fail@rel32@lo+4
	s_addc_u32 s7, s7, __assert_fail@rel32@hi+12
	s_swappc_b64 s[30:31], s[6:7]
	; divergent unreachable
.LBB773_10:
	s_endpgm
.LBB773_11:
	s_mov_b64 s[18:19], 0
	s_branch .LBB773_2
	.section	.rodata,"a",@progbits
	.p2align	6, 0x0
	.amdhsa_kernel _Z39paged_attention_ll4mi_QKV_mfma16_kernelI14__hip_bfloat16hLN4vllm18Fp8KVCacheDataTypeE1ES0_Li16ELi128ELi256ELb1ELi4EL8MFMAType1EEvPKT_PKT0_S9_ifPKiSB_SB_iPKfiiiPfSE_PS4_PT2_iSD_SD_
		.amdhsa_group_segment_fixed_size 8192
		.amdhsa_private_segment_fixed_size 64
		.amdhsa_kernarg_size 400
		.amdhsa_user_sgpr_count 8
		.amdhsa_user_sgpr_private_segment_buffer 1
		.amdhsa_user_sgpr_dispatch_ptr 0
		.amdhsa_user_sgpr_queue_ptr 0
		.amdhsa_user_sgpr_kernarg_segment_ptr 1
		.amdhsa_user_sgpr_dispatch_id 0
		.amdhsa_user_sgpr_flat_scratch_init 1
		.amdhsa_user_sgpr_kernarg_preload_length 0
		.amdhsa_user_sgpr_kernarg_preload_offset 0
		.amdhsa_user_sgpr_private_segment_size 0
		.amdhsa_uses_dynamic_stack 0
		.amdhsa_system_sgpr_private_segment_wavefront_offset 1
		.amdhsa_system_sgpr_workgroup_id_x 1
		.amdhsa_system_sgpr_workgroup_id_y 1
		.amdhsa_system_sgpr_workgroup_id_z 1
		.amdhsa_system_sgpr_workgroup_info 0
		.amdhsa_system_vgpr_workitem_id 0
		.amdhsa_next_free_vgpr 45
		.amdhsa_next_free_sgpr 34
		.amdhsa_accum_offset 44
		.amdhsa_reserve_vcc 1
		.amdhsa_reserve_flat_scratch 1
		.amdhsa_float_round_mode_32 0
		.amdhsa_float_round_mode_16_64 0
		.amdhsa_float_denorm_mode_32 3
		.amdhsa_float_denorm_mode_16_64 3
		.amdhsa_dx10_clamp 1
		.amdhsa_ieee_mode 1
		.amdhsa_fp16_overflow 0
		.amdhsa_tg_split 0
		.amdhsa_exception_fp_ieee_invalid_op 0
		.amdhsa_exception_fp_denorm_src 0
		.amdhsa_exception_fp_ieee_div_zero 0
		.amdhsa_exception_fp_ieee_overflow 0
		.amdhsa_exception_fp_ieee_underflow 0
		.amdhsa_exception_fp_ieee_inexact 0
		.amdhsa_exception_int_div_zero 0
	.end_amdhsa_kernel
	.section	.text._Z39paged_attention_ll4mi_QKV_mfma16_kernelI14__hip_bfloat16hLN4vllm18Fp8KVCacheDataTypeE1ES0_Li16ELi128ELi256ELb1ELi4EL8MFMAType1EEvPKT_PKT0_S9_ifPKiSB_SB_iPKfiiiPfSE_PS4_PT2_iSD_SD_,"axG",@progbits,_Z39paged_attention_ll4mi_QKV_mfma16_kernelI14__hip_bfloat16hLN4vllm18Fp8KVCacheDataTypeE1ES0_Li16ELi128ELi256ELb1ELi4EL8MFMAType1EEvPKT_PKT0_S9_ifPKiSB_SB_iPKfiiiPfSE_PS4_PT2_iSD_SD_,comdat
.Lfunc_end773:
	.size	_Z39paged_attention_ll4mi_QKV_mfma16_kernelI14__hip_bfloat16hLN4vllm18Fp8KVCacheDataTypeE1ES0_Li16ELi128ELi256ELb1ELi4EL8MFMAType1EEvPKT_PKT0_S9_ifPKiSB_SB_iPKfiiiPfSE_PS4_PT2_iSD_SD_, .Lfunc_end773-_Z39paged_attention_ll4mi_QKV_mfma16_kernelI14__hip_bfloat16hLN4vllm18Fp8KVCacheDataTypeE1ES0_Li16ELi128ELi256ELb1ELi4EL8MFMAType1EEvPKT_PKT0_S9_ifPKiSB_SB_iPKfiiiPfSE_PS4_PT2_iSD_SD_
                                        ; -- End function
	.section	.AMDGPU.csdata,"",@progbits
; Kernel info:
; codeLenInByte = 488
; NumSgprs: 40
; NumVgprs: 42
; NumAgprs: 1
; TotalNumVgprs: 45
; ScratchSize: 64
; MemoryBound: 0
; FloatMode: 240
; IeeeMode: 1
; LDSByteSize: 8192 bytes/workgroup (compile time only)
; SGPRBlocks: 4
; VGPRBlocks: 5
; NumSGPRsForWavesPerEU: 40
; NumVGPRsForWavesPerEU: 45
; AccumOffset: 44
; Occupancy: 8
; WaveLimiterHint : 1
; COMPUTE_PGM_RSRC2:SCRATCH_EN: 1
; COMPUTE_PGM_RSRC2:USER_SGPR: 8
; COMPUTE_PGM_RSRC2:TRAP_HANDLER: 0
; COMPUTE_PGM_RSRC2:TGID_X_EN: 1
; COMPUTE_PGM_RSRC2:TGID_Y_EN: 1
; COMPUTE_PGM_RSRC2:TGID_Z_EN: 1
; COMPUTE_PGM_RSRC2:TIDIG_COMP_CNT: 0
; COMPUTE_PGM_RSRC3_GFX90A:ACCUM_OFFSET: 10
; COMPUTE_PGM_RSRC3_GFX90A:TG_SPLIT: 0
	.section	.text._Z38paged_attention_ll4mi_QKV_mfma4_kernelI14__hip_bfloat16hLN4vllm18Fp8KVCacheDataTypeE1ES0_Li16ELi128ELi256ELb0ELi1EEvPKT_PKT0_S8_ifPKiSA_SA_iPKfiiiPfSD_PS3_PT2_iSC_SC_,"axG",@progbits,_Z38paged_attention_ll4mi_QKV_mfma4_kernelI14__hip_bfloat16hLN4vllm18Fp8KVCacheDataTypeE1ES0_Li16ELi128ELi256ELb0ELi1EEvPKT_PKT0_S8_ifPKiSA_SA_iPKfiiiPfSD_PS3_PT2_iSC_SC_,comdat
	.protected	_Z38paged_attention_ll4mi_QKV_mfma4_kernelI14__hip_bfloat16hLN4vllm18Fp8KVCacheDataTypeE1ES0_Li16ELi128ELi256ELb0ELi1EEvPKT_PKT0_S8_ifPKiSA_SA_iPKfiiiPfSD_PS3_PT2_iSC_SC_ ; -- Begin function _Z38paged_attention_ll4mi_QKV_mfma4_kernelI14__hip_bfloat16hLN4vllm18Fp8KVCacheDataTypeE1ES0_Li16ELi128ELi256ELb0ELi1EEvPKT_PKT0_S8_ifPKiSA_SA_iPKfiiiPfSD_PS3_PT2_iSC_SC_
	.globl	_Z38paged_attention_ll4mi_QKV_mfma4_kernelI14__hip_bfloat16hLN4vllm18Fp8KVCacheDataTypeE1ES0_Li16ELi128ELi256ELb0ELi1EEvPKT_PKT0_S8_ifPKiSA_SA_iPKfiiiPfSD_PS3_PT2_iSC_SC_
	.p2align	8
	.type	_Z38paged_attention_ll4mi_QKV_mfma4_kernelI14__hip_bfloat16hLN4vllm18Fp8KVCacheDataTypeE1ES0_Li16ELi128ELi256ELb0ELi1EEvPKT_PKT0_S8_ifPKiSA_SA_iPKfiiiPfSD_PS3_PT2_iSC_SC_,@function
_Z38paged_attention_ll4mi_QKV_mfma4_kernelI14__hip_bfloat16hLN4vllm18Fp8KVCacheDataTypeE1ES0_Li16ELi128ELi256ELb0ELi1EEvPKT_PKT0_S8_ifPKiSA_SA_iPKfiiiPfSD_PS3_PT2_iSC_SC_: ; @_Z38paged_attention_ll4mi_QKV_mfma4_kernelI14__hip_bfloat16hLN4vllm18Fp8KVCacheDataTypeE1ES0_Li16ELi128ELi256ELb0ELi1EEvPKT_PKT0_S8_ifPKiSA_SA_iPKfiiiPfSD_PS3_PT2_iSC_SC_
; %bb.0:
	s_load_dwordx2 s[24:25], s[4:5], 0x30
	s_add_u32 s0, s0, s11
	s_addc_u32 s1, s1, 0
	s_mov_b32 s28, s9
	s_mov_b64 s[6:7], 0
	s_waitcnt lgkmcnt(0)
	s_cmp_lg_u64 s[24:25], 0
	s_cselect_b64 s[26:27], -1, 0
	s_and_b64 vcc, exec, s[26:27]
	s_cbranch_vccz .LBB774_10
; %bb.1:
	s_add_i32 s12, s8, 1
	s_mov_b32 s13, 0
	s_lshl_b64 s[14:15], s[12:13], 2
	s_add_u32 s14, s24, s14
	s_mov_b32 s9, s13
	s_addc_u32 s15, s25, s15
	s_lshl_b64 s[12:13], s[8:9], 2
	s_add_u32 s12, s24, s12
	s_addc_u32 s13, s25, s13
	s_load_dword s11, s[14:15], 0x0
	s_load_dword s16, s[12:13], 0x0
	s_waitcnt lgkmcnt(0)
	s_sub_i32 s11, s11, s16
	s_cmp_eq_u32 s11, 1
	s_cselect_b64 s[12:13], -1, 0
	s_andn2_b64 vcc, exec, s[6:7]
	s_cbranch_vccnz .LBB774_3
.LBB774_2:
	s_mov_b32 s9, 0
	s_mov_b64 s[12:13], -1
.LBB774_3:
	s_andn2_b64 vcc, exec, s[12:13]
	s_cbranch_vccnz .LBB774_1178
; %bb.4:
	s_load_dword s11, s[4:5], 0x9c
	s_load_dwordx2 s[6:7], s[4:5], 0x28
	s_add_u32 s34, s4, 0x90
	s_addc_u32 s35, s5, 0
	s_lshl_b64 s[38:39], s[8:9], 2
	s_waitcnt lgkmcnt(0)
	s_and_b32 s11, s11, 0xffff
	s_add_u32 s6, s6, s38
	s_addc_u32 s7, s7, s39
	s_load_dword s9, s[6:7], 0x0
	s_mul_i32 s14, s28, s11
	s_waitcnt lgkmcnt(0)
	s_cmp_ge_i32 s14, s9
	s_cbranch_scc1 .LBB774_1178
; %bb.5:
	v_and_b32_e32 v1, 0xc0, v0
	v_add_u32_e32 v7, s14, v1
	v_lshrrev_b32_e32 v42, 6, v0
	v_cmp_le_i32_e64 s[6:7], s9, v7
                                        ; implicit-def: $sgpr29
                                        ; implicit-def: $sgpr15
	s_and_saveexec_b64 s[12:13], s[6:7]
	s_xor_b64 s[12:13], exec, s[12:13]
	s_cbranch_execz .LBB774_7
; %bb.6:
	v_mul_u32_u24_e32 v1, 20, v42
	v_or_b32_e32 v1, 0x1400, v1
	v_mov_b32_e32 v2, 0x1450
	v_mov_b32_e32 v3, 0xff7fffff
	v_mad_u32_u24 v2, v42, 20, v2
	ds_write2_b32 v1, v3, v3 offset1:1
	v_mov_b32_e32 v1, 0
	ds_write2_b32 v2, v1, v1 offset1:1
	v_mov_b32_e32 v2, 0x1408
	s_mov_b32 s15, 0xff7fffff
	s_mov_b32 s29, 0
	v_mad_u32_u24 v2, v42, 20, v2
	v_mov_b32_e32 v4, 0x1458
	v_mad_u32_u24 v4, v42, 20, v4
	ds_write2_b32 v2, v3, v3 offset1:1
	ds_write2_b32 v4, v1, v1 offset1:1
                                        ; implicit-def: $vgpr7
.LBB774_7:
	s_or_saveexec_b64 s[36:37], s[12:13]
	s_load_dwordx2 s[30:31], s[4:5], 0x68
	s_load_dwordx4 s[20:23], s[4:5], 0x58
	s_load_dword s11, s[34:35], 0x4
	s_load_dwordx4 s[16:19], s[4:5], 0x80
	v_and_b32_e32 v1, 63, v0
	v_and_b32_e32 v43, 3, v0
	v_mov_b32_e32 v5, s29
	v_mov_b32_e32 v6, s15
	;; [unrolled: 1-line block ×5, first 2 shown]
	s_xor_b64 exec, exec, s[36:37]
	s_cbranch_execz .LBB774_785
; %bb.8:
	s_add_i32 s29, s9, 15
	s_load_dwordx2 s[12:13], s[4:5], 0x20
	s_load_dword s15, s[4:5], 0x38
	s_ashr_i32 s33, s29, 31
	s_lshr_b32 s33, s33, 28
	v_add_u32_e32 v44, s14, v0
	s_add_i32 s29, s29, s33
	v_ashrrev_i32_e32 v2, 31, v44
	s_ashr_i32 s29, s29, 4
	v_lshrrev_b32_e32 v2, 28, v2
	s_add_i32 s29, s29, -1
	v_add_u32_e32 v2, v44, v2
	s_waitcnt lgkmcnt(0)
	s_mul_i32 s40, s8, s15
	s_mov_b32 s41, 0
	v_ashrrev_i32_e32 v2, 4, v2
	v_mov_b32_e32 v3, s29
	v_cmp_gt_i32_e32 vcc, s9, v44
	s_lshl_b64 s[40:41], s[40:41], 2
	v_cndmask_b32_e32 v2, v3, v2, vcc
	s_add_u32 s12, s12, s40
	v_ashrrev_i32_e32 v3, 31, v2
	s_addc_u32 s13, s13, s41
	v_lshlrev_b64 v[2:3], 2, v[2:3]
	v_mov_b32_e32 v4, s13
	v_add_co_u32_e32 v2, vcc, s12, v2
	v_addc_co_u32_e32 v3, vcc, v4, v3, vcc
	v_ashrrev_i32_e32 v4, 31, v7
	v_lshrrev_b32_e32 v4, 28, v4
	v_add_u32_e32 v4, v7, v4
	v_ashrrev_i32_e32 v8, 4, v4
	v_min_i32_e32 v4, s29, v8
	v_ashrrev_i32_e32 v5, 31, v4
	v_lshlrev_b64 v[4:5], 2, v[4:5]
	v_mov_b32_e32 v6, s13
	v_add_co_u32_e32 v4, vcc, s12, v4
	v_addc_co_u32_e32 v5, vcc, v6, v5, vcc
	v_add_u32_e32 v6, 1, v8
	v_min_i32_e32 v6, s29, v6
	v_ashrrev_i32_e32 v7, 31, v6
	v_lshlrev_b64 v[6:7], 2, v[6:7]
	v_add_co_u32_e32 v12, vcc, s12, v6
	v_add_u32_e32 v6, 2, v8
	v_mov_b32_e32 v9, s13
	v_min_i32_e32 v6, s29, v6
	v_addc_co_u32_e32 v13, vcc, v9, v7, vcc
	v_ashrrev_i32_e32 v7, 31, v6
	v_lshlrev_b64 v[6:7], 2, v[6:7]
	v_add_co_u32_e32 v14, vcc, s12, v6
	v_add_u32_e32 v6, 3, v8
	v_min_i32_e32 v6, s29, v6
	v_addc_co_u32_e32 v15, vcc, v9, v7, vcc
	v_ashrrev_i32_e32 v7, 31, v6
	v_lshlrev_b64 v[6:7], 2, v[6:7]
	v_mov_b32_e32 v8, s13
	v_add_co_u32_e32 v16, vcc, s12, v6
	v_addc_co_u32_e32 v17, vcc, v8, v7, vcc
	global_load_dword v7, v[2:3], off
	global_load_dword v10, v[4:5], off
	;; [unrolled: 1-line block ×5, first 2 shown]
	s_load_dwordx4 s[12:15], s[4:5], 0x8
	s_andn2_b64 vcc, exec, s[26:27]
	s_cbranch_vccnz .LBB774_11
; %bb.9:
	s_add_u32 s24, s24, s38
	s_addc_u32 s25, s25, s39
	s_load_dword s29, s[24:25], 0x0
	s_branch .LBB774_12
.LBB774_10:
	s_mov_b64 s[12:13], 0
	s_branch .LBB774_2
.LBB774_11:
	s_mov_b32 s29, s8
.LBB774_12:
	s_load_dwordx4 s[24:27], s[4:5], 0x48
	v_cmp_eq_u32_e32 vcc, 0, v43
	s_mov_b32 s41, 0
	v_mov_b32_e32 v39, 0
	v_mov_b32_e32 v2, 0
	;; [unrolled: 1-line block ×5, first 2 shown]
	s_and_saveexec_b64 s[38:39], vcc
	s_cbranch_execz .LBB774_14
; %bb.13:
	s_load_dwordx2 s[42:43], s[4:5], 0x0
	s_waitcnt lgkmcnt(0)
	s_ashr_i32 s27, s24, 31
	s_mul_hi_u32 s33, s29, s24
	s_mul_i32 s27, s29, s27
	s_add_i32 s45, s33, s27
	s_mul_i32 s44, s29, s24
	s_lshl_b64 s[44:45], s[44:45], 1
	s_add_u32 s24, s42, s44
	s_addc_u32 s27, s43, s45
	s_lshl_b32 s40, s10, 7
	s_lshl_b64 s[40:41], s[40:41], 1
	s_add_u32 s40, s24, s40
	s_addc_u32 s41, s27, s41
	v_lshlrev_b32_e32 v2, 2, v1
	global_load_dwordx4 v[2:5], v2, s[40:41]
.LBB774_14:
	s_or_b64 exec, exec, s[38:39]
	s_waitcnt lgkmcnt(0)
	s_mul_i32 s24, s10, s26
	s_waitcnt vmcnt(3)
	v_mul_hi_i32 v11, v10, s25
	s_add_u32 s26, s24, s12
	v_ashrrev_i32_e32 v11, 31, v11
	s_addc_u32 s27, 0, s13
	v_lshrrev_b32_e32 v38, 29, v11
	s_add_u32 s24, s14, s24
	v_mad_i64_i32 v[10:11], s[12:13], v10, s25, v[38:39]
	s_addc_u32 s29, s15, 0
	v_and_b32_e32 v10, -8, v10
	v_mov_b32_e32 v12, s29
	v_add_co_u32_e64 v10, s[12:13], s24, v10
	v_addc_co_u32_e64 v11, s[12:13], v12, v11, s[12:13]
	v_lshlrev_b32_e32 v45, 4, v1
	v_add_co_u32_e64 v14, s[12:13], v10, v45
	v_addc_co_u32_e64 v15, s[12:13], 0, v11, s[12:13]
	global_load_dwordx4 v[10:13], v[14:15], off
	global_load_dwordx4 v[46:49], v[14:15], off offset:1024
	s_waitcnt vmcnt(4)
	v_mul_hi_i32 v14, v9, s25
	v_ashrrev_i32_e32 v14, 31, v14
	v_lshrrev_b32_e32 v38, 29, v14
	v_mad_i64_i32 v[14:15], s[12:13], v9, s25, v[38:39]
	v_and_b32_e32 v9, -8, v14
	v_mov_b32_e32 v14, s29
	v_add_co_u32_e64 v9, s[12:13], s24, v9
	v_addc_co_u32_e64 v15, s[12:13], v14, v15, s[12:13]
	v_add_co_u32_e64 v14, s[12:13], v9, v45
	v_addc_co_u32_e64 v15, s[12:13], 0, v15, s[12:13]
	global_load_dwordx4 v[50:53], v[14:15], off
	global_load_dwordx4 v[54:57], v[14:15], off offset:1024
	s_waitcnt vmcnt(5)
	v_mul_hi_i32 v14, v8, s25
	s_waitcnt vmcnt(4)
	v_mul_hi_i32 v15, v6, s25
	v_lshlrev_b32_e32 v9, 4, v0
	v_ashrrev_i32_e32 v16, 31, v14
	v_ashrrev_i32_e32 v17, 31, v15
	v_pk_mov_b32 v[14:15], s[26:27], s[26:27] op_sel:[0,1]
	v_and_b32_e32 v9, 0xf0, v9
	v_mad_i64_i32 v[14:15], s[12:13], v7, s25, v[14:15]
	v_lshrrev_b32_e32 v38, 29, v16
	v_add_co_u32_e64 v40, s[12:13], v14, v9
	v_mad_i64_i32 v[8:9], s[14:15], v8, s25, v[38:39]
	v_lshrrev_b32_e32 v38, 29, v17
	v_addc_co_u32_e64 v41, s[12:13], 0, v15, s[12:13]
	v_and_b32_e32 v8, -8, v8
	v_mad_i64_i32 v[6:7], s[12:13], v6, s25, v[38:39]
	v_mov_b32_e32 v14, s29
	v_add_co_u32_e64 v8, s[12:13], s24, v8
	v_addc_co_u32_e64 v9, s[12:13], v14, v9, s[12:13]
	v_add_co_u32_e64 v8, s[12:13], v8, v45
	v_addc_co_u32_e64 v9, s[12:13], 0, v9, s[12:13]
	v_and_b32_e32 v6, -8, v6
	v_mov_b32_e32 v58, s29
	v_add_co_u32_e64 v6, s[12:13], s24, v6
	v_addc_co_u32_e64 v7, s[12:13], v58, v7, s[12:13]
	global_load_dwordx4 v[34:37], v[40:41], off
	global_load_dwordx4 v[30:33], v[40:41], off offset:256
	global_load_dwordx4 v[26:29], v[40:41], off offset:512
	global_load_dwordx4 v[22:25], v[40:41], off offset:768
	global_load_dwordx4 v[18:21], v[40:41], off offset:1024
	global_load_dwordx4 v[14:17], v[40:41], off offset:1280
	v_add_co_u32_e64 v6, s[12:13], v6, v45
	v_addc_co_u32_e64 v7, s[12:13], 0, v7, s[12:13]
	s_waitcnt vmcnt(9)
	buffer_store_dword v11, off, s[0:3], 0 offset:4
	buffer_store_dword v10, off, s[0:3], 0
	buffer_store_dword v13, off, s[0:3], 0 offset:12
	buffer_store_dword v12, off, s[0:3], 0 offset:8
	global_load_dwordx4 v[58:61], v[8:9], off
	global_load_dwordx4 v[62:65], v[8:9], off offset:1024
	s_waitcnt vmcnt(14)
	buffer_store_dword v47, off, s[0:3], 0 offset:68
	buffer_store_dword v46, off, s[0:3], 0 offset:64
	;; [unrolled: 1-line block ×4, first 2 shown]
	global_load_dwordx4 v[46:49], v[6:7], off
	s_waitcnt vmcnt(18)
	buffer_store_dword v51, off, s[0:3], 0 offset:20
	buffer_store_dword v50, off, s[0:3], 0 offset:16
	;; [unrolled: 1-line block ×4, first 2 shown]
	global_load_dwordx4 v[50:53], v[6:7], off offset:1024
	s_waitcnt vmcnt(22)
	buffer_store_dword v55, off, s[0:3], 0 offset:84
	buffer_store_dword v54, off, s[0:3], 0 offset:80
	;; [unrolled: 1-line block ×4, first 2 shown]
	global_load_dwordx4 v[10:13], v[40:41], off offset:1536
	global_load_dwordx4 v[6:9], v[40:41], off offset:1792
	s_waitcnt vmcnt(17)
	buffer_store_dword v59, off, s[0:3], 0 offset:36
	buffer_store_dword v58, off, s[0:3], 0 offset:32
	buffer_store_dword v61, off, s[0:3], 0 offset:44
	buffer_store_dword v60, off, s[0:3], 0 offset:40
	s_waitcnt vmcnt(20)
	buffer_store_dword v63, off, s[0:3], 0 offset:100
	buffer_store_dword v62, off, s[0:3], 0 offset:96
	buffer_store_dword v65, off, s[0:3], 0 offset:108
	buffer_store_dword v64, off, s[0:3], 0 offset:104
	;; [unrolled: 5-line block ×4, first 2 shown]
	v_cmp_ne_u16_sdwa s[12:13], v34, v39 src0_sel:BYTE_0 src1_sel:DWORD
	s_and_saveexec_b64 s[14:15], s[12:13]
	s_cbranch_execz .LBB774_20
; %bb.15:
	s_movk_i32 s12, 0x80
	v_cmp_ne_u16_sdwa s[12:13], v34, s12 src0_sel:BYTE_0 src1_sel:DWORD
	v_mov_b32_e32 v39, 0xffff8000
	s_and_saveexec_b64 s[24:25], s[12:13]
	s_cbranch_execz .LBB774_19
; %bb.16:
	s_movk_i32 s12, 0x7f
	v_and_b32_e32 v38, 0x7f, v34
	v_cmp_ne_u32_e64 s[12:13], s12, v38
	v_mov_b32_e32 v39, 0x7f80
	s_and_saveexec_b64 s[26:27], s[12:13]
	s_cbranch_execz .LBB774_18
; %bb.17:
	v_and_b32_e32 v39, 7, v34
	v_ffbh_u32_e32 v39, v39
	v_min_u32_e32 v39, 32, v39
	v_subrev_u32_e32 v41, 28, v39
	v_cmp_gt_u32_e64 s[12:13], 8, v38
	v_lshrrev_b32_e32 v40, 3, v38
	v_sub_u32_e32 v39, 29, v39
	v_cndmask_b32_e64 v38, 0, v41, s[12:13]
	v_cndmask_b32_e64 v40, v40, v39, s[12:13]
	v_lshlrev_b64 v[38:39], v38, v[34:35]
	v_lshlrev_b32_e32 v38, 20, v38
	v_lshlrev_b32_e32 v39, 24, v34
	v_bfrev_b32_e32 v41, 60
	v_and_b32_e32 v38, 0x700000, v38
	v_and_b32_e32 v39, 0x80000000, v39
	v_lshl_add_u32 v40, v40, 23, v41
	v_or3_b32 v38, v39, v40, v38
	v_lshrrev_b32_e32 v39, 16, v38
.LBB774_18:
	s_or_b64 exec, exec, s[26:27]
.LBB774_19:
	s_or_b64 exec, exec, s[24:25]
.LBB774_20:
	s_or_b64 exec, exec, s[14:15]
	v_lshrrev_b16_e32 v38, 8, v34
	v_cmp_ne_u16_e64 s[12:13], 0, v38
	v_mov_b32_e32 v46, 0
	v_mov_b32_e32 v45, 0
	s_and_saveexec_b64 s[14:15], s[12:13]
	s_cbranch_execz .LBB774_26
; %bb.21:
	s_movk_i32 s12, 0x80
	v_cmp_ne_u16_e64 s[12:13], s12, v38
	v_mov_b32_e32 v45, 0xffff8000
	s_and_saveexec_b64 s[24:25], s[12:13]
	s_cbranch_execz .LBB774_25
; %bb.22:
	s_movk_i32 s12, 0x7f
	v_and_b32_e32 v40, 0x7f, v38
	v_cmp_ne_u32_e64 s[12:13], s12, v40
	v_mov_b32_e32 v45, 0x7f80
	s_and_saveexec_b64 s[26:27], s[12:13]
	s_cbranch_execz .LBB774_24
; %bb.23:
	v_and_b32_e32 v41, 7, v38
	v_ffbh_u32_e32 v47, v41
	v_min_u32_e32 v47, 32, v47
	v_subrev_u32_e32 v48, 28, v47
	v_lshlrev_b64 v[48:49], v48, v[38:39]
	v_lshrrev_b32_e32 v45, 3, v40
	v_sub_u32_e32 v38, 29, v47
	v_and_b32_e32 v47, 7, v48
	v_cmp_gt_u32_e64 s[12:13], 8, v40
	v_cndmask_b32_e64 v38, v45, v38, s[12:13]
	v_cndmask_b32_e64 v40, v41, v47, s[12:13]
	v_lshlrev_b32_e32 v41, 16, v34
	v_bfrev_b32_e32 v45, 60
	v_lshlrev_b32_e32 v40, 20, v40
	v_and_b32_e32 v41, 0x80000000, v41
	v_lshl_add_u32 v38, v38, 23, v45
	v_or3_b32 v38, v41, v38, v40
	v_lshrrev_b32_e32 v45, 16, v38
.LBB774_24:
	s_or_b64 exec, exec, s[26:27]
.LBB774_25:
	s_or_b64 exec, exec, s[24:25]
.LBB774_26:
	s_or_b64 exec, exec, s[14:15]
	s_movk_i32 s12, 0xff
	v_and_b32_sdwa v40, v34, s12 dst_sel:DWORD dst_unused:UNUSED_PAD src0_sel:WORD_1 src1_sel:DWORD
	v_lshrrev_b32_e32 v38, 16, v34
	v_cmp_ne_u16_e64 s[12:13], 0, v40
	s_and_saveexec_b64 s[14:15], s[12:13]
	s_cbranch_execz .LBB774_32
; %bb.27:
	s_movk_i32 s12, 0x80
	v_cmp_ne_u16_e64 s[12:13], s12, v40
	v_mov_b32_e32 v46, 0xffff8000
	s_and_saveexec_b64 s[24:25], s[12:13]
	s_cbranch_execz .LBB774_31
; %bb.28:
	v_bfe_u32 v40, v34, 16, 7
	s_movk_i32 s12, 0x7f
	v_cmp_ne_u32_e64 s[12:13], s12, v40
	v_mov_b32_e32 v46, 0x7f80
	s_and_saveexec_b64 s[26:27], s[12:13]
	s_cbranch_execz .LBB774_30
; %bb.29:
	v_and_b32_e32 v41, 7, v38
	v_ffbh_u32_e32 v46, v41
	v_min_u32_e32 v49, 32, v46
	v_subrev_u32_e32 v46, 28, v49
	v_lshlrev_b64 v[46:47], v46, v[38:39]
	v_and_b32_e32 v46, 7, v46
	v_cmp_gt_u32_e64 s[12:13], 8, v40
	v_lshrrev_b32_e32 v48, 3, v40
	v_sub_u32_e32 v38, 29, v49
	v_cndmask_b32_e64 v40, v41, v46, s[12:13]
	v_mov_b32_e32 v41, 24
	v_cndmask_b32_e64 v38, v48, v38, s[12:13]
	v_lshlrev_b32_sdwa v41, v41, v34 dst_sel:DWORD dst_unused:UNUSED_PAD src0_sel:DWORD src1_sel:WORD_1
	v_bfrev_b32_e32 v46, 60
	v_lshlrev_b32_e32 v40, 20, v40
	v_and_b32_e32 v41, 0x80000000, v41
	v_lshl_add_u32 v38, v38, 23, v46
	v_or3_b32 v38, v41, v38, v40
	v_lshrrev_b32_e32 v46, 16, v38
.LBB774_30:
	s_or_b64 exec, exec, s[26:27]
.LBB774_31:
	s_or_b64 exec, exec, s[24:25]
.LBB774_32:
	s_or_b64 exec, exec, s[14:15]
	s_mov_b32 s12, 0xffffff
	v_cmp_lt_u32_e64 s[12:13], s12, v34
	v_mov_b32_e32 v41, 0
	v_mov_b32_e32 v47, 0
	s_and_saveexec_b64 s[14:15], s[12:13]
	s_cbranch_execz .LBB774_38
; %bb.33:
	v_lshrrev_b32_e32 v38, 24, v34
	s_movk_i32 s12, 0x80
	v_cmp_ne_u32_e64 s[12:13], s12, v38
	v_mov_b32_e32 v47, 0xffff8000
	s_and_saveexec_b64 s[24:25], s[12:13]
	s_cbranch_execz .LBB774_37
; %bb.34:
	v_bfe_u32 v40, v34, 24, 7
	s_movk_i32 s12, 0x7f
	v_cmp_ne_u32_e64 s[12:13], s12, v40
	v_mov_b32_e32 v47, 0x7f80
	s_and_saveexec_b64 s[26:27], s[12:13]
	s_cbranch_execz .LBB774_36
; %bb.35:
	v_and_b32_e32 v47, 7, v38
	v_ffbh_u32_e32 v48, v47
	v_min_u32_e32 v51, 32, v48
	v_subrev_u32_e32 v48, 28, v51
	v_lshlrev_b64 v[48:49], v48, v[38:39]
	v_lshrrev_b32_e32 v50, 3, v40
	v_sub_u32_e32 v49, 29, v51
	v_and_b32_e32 v48, 7, v48
	v_cmp_gt_u32_e64 s[12:13], 8, v40
	v_cndmask_b32_e64 v40, v50, v49, s[12:13]
	v_cndmask_b32_e64 v47, v47, v48, s[12:13]
	v_lshlrev_b32_e32 v38, 24, v38
	v_bfrev_b32_e32 v48, 60
	v_lshlrev_b32_e32 v47, 20, v47
	v_and_b32_e32 v38, 0x80000000, v38
	v_lshl_add_u32 v40, v40, 23, v48
	v_or3_b32 v38, v38, v40, v47
	v_lshrrev_b32_e32 v47, 16, v38
.LBB774_36:
	s_or_b64 exec, exec, s[26:27]
.LBB774_37:
	s_or_b64 exec, exec, s[24:25]
.LBB774_38:
	s_or_b64 exec, exec, s[14:15]
	v_mov_b32_e32 v40, v35
	v_cmp_ne_u16_sdwa s[12:13], v35, v41 src0_sel:BYTE_0 src1_sel:DWORD
	s_and_saveexec_b64 s[14:15], s[12:13]
	s_cbranch_execz .LBB774_44
; %bb.39:
	s_movk_i32 s12, 0x80
	v_cmp_ne_u16_sdwa s[12:13], v35, s12 src0_sel:BYTE_0 src1_sel:DWORD
	v_mov_b32_e32 v38, 0xffff8000
	s_and_saveexec_b64 s[24:25], s[12:13]
	s_cbranch_execz .LBB774_43
; %bb.40:
	s_movk_i32 s12, 0x7f
	v_and_b32_e32 v48, 0x7f, v35
	v_cmp_ne_u32_e64 s[12:13], s12, v48
	v_mov_b32_e32 v38, 0x7f80
	s_and_saveexec_b64 s[26:27], s[12:13]
	s_cbranch_execz .LBB774_42
; %bb.41:
	v_and_b32_e32 v38, 7, v35
	v_ffbh_u32_e32 v38, v38
	v_min_u32_e32 v38, 32, v38
	v_subrev_u32_e32 v50, 28, v38
	v_cmp_gt_u32_e64 s[12:13], 8, v48
	v_lshrrev_b32_e32 v49, 3, v48
	v_sub_u32_e32 v38, 29, v38
	v_cndmask_b32_e64 v48, 0, v50, s[12:13]
	v_cndmask_b32_e64 v38, v49, v38, s[12:13]
	v_lshlrev_b64 v[48:49], v48, v[40:41]
	v_lshlrev_b32_e32 v41, 20, v48
	v_lshlrev_b32_e32 v48, 24, v40
	v_bfrev_b32_e32 v49, 60
	v_and_b32_e32 v41, 0x700000, v41
	v_and_b32_e32 v48, 0x80000000, v48
	v_lshl_add_u32 v38, v38, 23, v49
	v_or3_b32 v38, v48, v38, v41
	v_lshrrev_b32_e32 v38, 16, v38
.LBB774_42:
	s_or_b64 exec, exec, s[26:27]
.LBB774_43:
	s_or_b64 exec, exec, s[24:25]
	v_mov_b32_e32 v41, v38
.LBB774_44:
	s_or_b64 exec, exec, s[14:15]
	v_lshrrev_b16_e32 v38, 8, v40
	v_cmp_ne_u16_e64 s[12:13], 0, v38
	v_mov_b32_e32 v49, 0
	v_mov_b32_e32 v48, 0
	s_and_saveexec_b64 s[14:15], s[12:13]
	s_cbranch_execz .LBB774_50
; %bb.45:
	s_movk_i32 s12, 0x80
	v_cmp_ne_u16_e64 s[12:13], s12, v38
	v_mov_b32_e32 v48, 0xffff8000
	s_and_saveexec_b64 s[24:25], s[12:13]
	s_cbranch_execz .LBB774_49
; %bb.46:
	s_movk_i32 s12, 0x7f
	v_and_b32_e32 v50, 0x7f, v38
	v_cmp_ne_u32_e64 s[12:13], s12, v50
	v_mov_b32_e32 v48, 0x7f80
	s_and_saveexec_b64 s[26:27], s[12:13]
	s_cbranch_execz .LBB774_48
; %bb.47:
	v_and_b32_e32 v48, 7, v38
	v_ffbh_u32_e32 v52, v48
	v_min_u32_e32 v54, 32, v52
	v_subrev_u32_e32 v52, 28, v54
	v_lshlrev_b64 v[52:53], v52, v[38:39]
	v_lshrrev_b32_e32 v51, 3, v50
	v_sub_u32_e32 v38, 29, v54
	v_and_b32_e32 v52, 7, v52
	v_cmp_gt_u32_e64 s[12:13], 8, v50
	v_cndmask_b32_e64 v38, v51, v38, s[12:13]
	v_cndmask_b32_e64 v48, v48, v52, s[12:13]
	v_lshlrev_b32_e32 v40, 16, v40
	v_bfrev_b32_e32 v50, 60
	v_lshlrev_b32_e32 v48, 20, v48
	v_and_b32_e32 v40, 0x80000000, v40
	v_lshl_add_u32 v38, v38, 23, v50
	v_or3_b32 v38, v40, v38, v48
	v_lshrrev_b32_e32 v48, 16, v38
.LBB774_48:
	s_or_b64 exec, exec, s[26:27]
.LBB774_49:
	s_or_b64 exec, exec, s[24:25]
.LBB774_50:
	s_or_b64 exec, exec, s[14:15]
	s_movk_i32 s12, 0xff
	v_and_b32_sdwa v40, v35, s12 dst_sel:DWORD dst_unused:UNUSED_PAD src0_sel:WORD_1 src1_sel:DWORD
	v_lshrrev_b32_e32 v38, 16, v35
	v_cmp_ne_u16_e64 s[12:13], 0, v40
	s_and_saveexec_b64 s[14:15], s[12:13]
	s_cbranch_execz .LBB774_56
; %bb.51:
	s_movk_i32 s12, 0x80
	v_cmp_ne_u16_e64 s[12:13], s12, v40
	v_mov_b32_e32 v49, 0xffff8000
	s_and_saveexec_b64 s[24:25], s[12:13]
	s_cbranch_execz .LBB774_55
; %bb.52:
	v_bfe_u32 v40, v35, 16, 7
	s_movk_i32 s12, 0x7f
	v_cmp_ne_u32_e64 s[12:13], s12, v40
	v_mov_b32_e32 v49, 0x7f80
	s_and_saveexec_b64 s[26:27], s[12:13]
	s_cbranch_execz .LBB774_54
; %bb.53:
	v_and_b32_e32 v49, 7, v38
	v_ffbh_u32_e32 v50, v49
	v_min_u32_e32 v53, 32, v50
	v_subrev_u32_e32 v50, 28, v53
	v_lshlrev_b64 v[50:51], v50, v[38:39]
	v_and_b32_e32 v50, 7, v50
	v_cmp_gt_u32_e64 s[12:13], 8, v40
	v_lshrrev_b32_e32 v52, 3, v40
	v_sub_u32_e32 v38, 29, v53
	v_cndmask_b32_e64 v40, v49, v50, s[12:13]
	v_mov_b32_e32 v49, 24
	v_cndmask_b32_e64 v38, v52, v38, s[12:13]
	v_lshlrev_b32_sdwa v49, v49, v35 dst_sel:DWORD dst_unused:UNUSED_PAD src0_sel:DWORD src1_sel:WORD_1
	v_bfrev_b32_e32 v50, 60
	v_lshlrev_b32_e32 v40, 20, v40
	v_and_b32_e32 v49, 0x80000000, v49
	v_lshl_add_u32 v38, v38, 23, v50
	v_or3_b32 v38, v49, v38, v40
	v_lshrrev_b32_e32 v49, 16, v38
.LBB774_54:
	s_or_b64 exec, exec, s[26:27]
.LBB774_55:
	s_or_b64 exec, exec, s[24:25]
.LBB774_56:
	s_or_b64 exec, exec, s[14:15]
	s_mov_b32 s12, -1
	s_mov_b32 s13, 0xffffff
	v_cmp_lt_u64_e64 s[12:13], s[12:13], v[34:35]
	v_mov_b32_e32 v40, 0
	v_mov_b32_e32 v38, 0
	s_and_saveexec_b64 s[14:15], s[12:13]
	s_cbranch_execz .LBB774_62
; %bb.57:
	v_lshrrev_b32_e32 v34, 24, v35
	s_movk_i32 s12, 0x80
	v_cmp_ne_u32_e64 s[12:13], s12, v34
	v_mov_b32_e32 v38, 0xffff8000
	s_and_saveexec_b64 s[24:25], s[12:13]
	s_cbranch_execz .LBB774_61
; %bb.58:
	v_bfe_u32 v35, v35, 24, 7
	s_movk_i32 s12, 0x7f
	v_cmp_ne_u32_e64 s[12:13], s12, v35
	v_mov_b32_e32 v38, 0x7f80
	s_and_saveexec_b64 s[26:27], s[12:13]
	s_cbranch_execz .LBB774_60
; %bb.59:
	v_and_b32_e32 v38, 7, v34
	v_ffbh_u32_e32 v50, v38
	v_min_u32_e32 v53, 32, v50
	v_subrev_u32_e32 v50, 28, v53
	v_lshlrev_b64 v[50:51], v50, v[34:35]
	v_lshrrev_b32_e32 v52, 3, v35
	v_sub_u32_e32 v51, 29, v53
	v_and_b32_e32 v50, 7, v50
	v_cmp_gt_u32_e64 s[12:13], 8, v35
	v_cndmask_b32_e64 v35, v52, v51, s[12:13]
	v_cndmask_b32_e64 v38, v38, v50, s[12:13]
	v_lshlrev_b32_e32 v34, 24, v34
	v_bfrev_b32_e32 v50, 60
	v_lshlrev_b32_e32 v38, 20, v38
	v_and_b32_e32 v34, 0x80000000, v34
	v_lshl_add_u32 v35, v35, 23, v50
	v_or3_b32 v34, v34, v35, v38
	v_lshrrev_b32_e32 v38, 16, v34
.LBB774_60:
	s_or_b64 exec, exec, s[26:27]
.LBB774_61:
	s_or_b64 exec, exec, s[24:25]
.LBB774_62:
	s_or_b64 exec, exec, s[14:15]
	s_mov_b32 s12, 0x5040100
	v_perm_b32 v35, v47, v46, s12
	v_perm_b32 v34, v45, v39, s12
	;; [unrolled: 1-line block ×4, first 2 shown]
	v_mfma_f32_4x4x4bf16_1k a[0:3], v[2:3], v[34:35], 0 cbsz:4
	v_cmp_ne_u16_sdwa s[12:13], v36, v40 src0_sel:BYTE_0 src1_sel:DWORD
	v_mfma_f32_4x4x4bf16_1k a[0:3], v[4:5], v[38:39], a[0:3] cbsz:4
	s_and_saveexec_b64 s[14:15], s[12:13]
	s_cbranch_execz .LBB774_68
; %bb.63:
	s_movk_i32 s12, 0x80
	v_cmp_ne_u16_sdwa s[12:13], v36, s12 src0_sel:BYTE_0 src1_sel:DWORD
	v_mov_b32_e32 v40, 0xffff8000
	s_and_saveexec_b64 s[24:25], s[12:13]
	s_cbranch_execz .LBB774_67
; %bb.64:
	s_movk_i32 s12, 0x7f
	v_and_b32_e32 v34, 0x7f, v36
	v_cmp_ne_u32_e64 s[12:13], s12, v34
	v_mov_b32_e32 v40, 0x7f80
	s_and_saveexec_b64 s[26:27], s[12:13]
	s_cbranch_execz .LBB774_66
; %bb.65:
	v_and_b32_e32 v35, 7, v36
	v_ffbh_u32_e32 v35, v35
	v_min_u32_e32 v35, 32, v35
	v_subrev_u32_e32 v39, 28, v35
	v_cmp_gt_u32_e64 s[12:13], 8, v34
	v_lshrrev_b32_e32 v38, 3, v34
	v_sub_u32_e32 v35, 29, v35
	v_cndmask_b32_e64 v34, 0, v39, s[12:13]
	v_cndmask_b32_e64 v38, v38, v35, s[12:13]
	v_lshlrev_b64 v[34:35], v34, v[36:37]
	v_lshlrev_b32_e32 v34, 20, v34
	v_lshlrev_b32_e32 v35, 24, v36
	v_bfrev_b32_e32 v39, 60
	v_and_b32_e32 v34, 0x700000, v34
	v_and_b32_e32 v35, 0x80000000, v35
	v_lshl_add_u32 v38, v38, 23, v39
	v_or3_b32 v34, v35, v38, v34
	v_lshrrev_b32_e32 v40, 16, v34
.LBB774_66:
	s_or_b64 exec, exec, s[26:27]
.LBB774_67:
	s_or_b64 exec, exec, s[24:25]
.LBB774_68:
	s_or_b64 exec, exec, s[14:15]
	v_lshrrev_b16_e32 v34, 8, v36
	v_cmp_ne_u16_e64 s[12:13], 0, v34
	v_mov_b32_e32 v41, 0
	v_mov_b32_e32 v39, 0
	s_and_saveexec_b64 s[14:15], s[12:13]
	s_cbranch_execz .LBB774_74
; %bb.69:
	s_movk_i32 s12, 0x80
	v_cmp_ne_u16_e64 s[12:13], s12, v34
	v_mov_b32_e32 v39, 0xffff8000
	s_and_saveexec_b64 s[24:25], s[12:13]
	s_cbranch_execz .LBB774_73
; %bb.70:
	s_movk_i32 s12, 0x7f
	v_and_b32_e32 v35, 0x7f, v34
	v_cmp_ne_u32_e64 s[12:13], s12, v35
	v_mov_b32_e32 v39, 0x7f80
	s_and_saveexec_b64 s[26:27], s[12:13]
	s_cbranch_execz .LBB774_72
; %bb.71:
	v_and_b32_e32 v45, 7, v34
	v_ffbh_u32_e32 v38, v45
	v_min_u32_e32 v47, 32, v38
	v_subrev_u32_e32 v38, 28, v47
	v_lshlrev_b64 v[38:39], v38, v[34:35]
	v_lshrrev_b32_e32 v46, 3, v35
	v_sub_u32_e32 v34, 29, v47
	v_and_b32_e32 v38, 7, v38
	v_cmp_gt_u32_e64 s[12:13], 8, v35
	v_cndmask_b32_e64 v34, v46, v34, s[12:13]
	v_cndmask_b32_e64 v35, v45, v38, s[12:13]
	v_lshlrev_b32_e32 v38, 16, v36
	v_bfrev_b32_e32 v39, 60
	v_lshlrev_b32_e32 v35, 20, v35
	v_and_b32_e32 v38, 0x80000000, v38
	v_lshl_add_u32 v34, v34, 23, v39
	v_or3_b32 v34, v38, v34, v35
	v_lshrrev_b32_e32 v39, 16, v34
.LBB774_72:
	s_or_b64 exec, exec, s[26:27]
.LBB774_73:
	s_or_b64 exec, exec, s[24:25]
.LBB774_74:
	s_or_b64 exec, exec, s[14:15]
	s_movk_i32 s12, 0xff
	v_and_b32_sdwa v35, v36, s12 dst_sel:DWORD dst_unused:UNUSED_PAD src0_sel:WORD_1 src1_sel:DWORD
	v_lshrrev_b32_e32 v34, 16, v36
	v_cmp_ne_u16_e64 s[12:13], 0, v35
	s_and_saveexec_b64 s[14:15], s[12:13]
	s_cbranch_execz .LBB774_80
; %bb.75:
	s_movk_i32 s12, 0x80
	v_cmp_ne_u16_e64 s[12:13], s12, v35
	v_mov_b32_e32 v41, 0xffff8000
	s_and_saveexec_b64 s[24:25], s[12:13]
	s_cbranch_execz .LBB774_79
; %bb.76:
	v_bfe_u32 v35, v36, 16, 7
	s_movk_i32 s12, 0x7f
	v_cmp_ne_u32_e64 s[12:13], s12, v35
	v_mov_b32_e32 v41, 0x7f80
	s_and_saveexec_b64 s[26:27], s[12:13]
	s_cbranch_execz .LBB774_78
; %bb.77:
	v_and_b32_e32 v38, 7, v34
	v_ffbh_u32_e32 v45, v38
	v_min_u32_e32 v45, 32, v45
	v_subrev_u32_e32 v46, 28, v45
	v_lshlrev_b64 v[46:47], v46, v[34:35]
	v_sub_u32_e32 v34, 29, v45
	v_and_b32_e32 v45, 7, v46
	v_cmp_gt_u32_e64 s[12:13], 8, v35
	v_lshrrev_b32_e32 v41, 3, v35
	v_cndmask_b32_e64 v35, v38, v45, s[12:13]
	v_mov_b32_e32 v38, 24
	v_cndmask_b32_e64 v34, v41, v34, s[12:13]
	v_lshlrev_b32_sdwa v38, v38, v36 dst_sel:DWORD dst_unused:UNUSED_PAD src0_sel:DWORD src1_sel:WORD_1
	v_bfrev_b32_e32 v41, 60
	v_lshlrev_b32_e32 v35, 20, v35
	v_and_b32_e32 v38, 0x80000000, v38
	v_lshl_add_u32 v34, v34, 23, v41
	v_or3_b32 v34, v38, v34, v35
	v_lshrrev_b32_e32 v41, 16, v34
.LBB774_78:
	s_or_b64 exec, exec, s[26:27]
.LBB774_79:
	s_or_b64 exec, exec, s[24:25]
.LBB774_80:
	s_or_b64 exec, exec, s[14:15]
	s_mov_b32 s12, 0xffffff
	v_cmp_lt_u32_e64 s[12:13], s12, v36
	v_mov_b32_e32 v35, 0
	v_mov_b32_e32 v45, 0
	s_and_saveexec_b64 s[14:15], s[12:13]
	s_cbranch_execz .LBB774_86
; %bb.81:
	v_lshrrev_b32_e32 v34, 24, v36
	s_movk_i32 s12, 0x80
	v_cmp_ne_u32_e64 s[12:13], s12, v34
	v_mov_b32_e32 v45, 0xffff8000
	s_and_saveexec_b64 s[24:25], s[12:13]
	s_cbranch_execz .LBB774_85
; %bb.82:
	v_bfe_u32 v38, v36, 24, 7
	s_movk_i32 s12, 0x7f
	v_cmp_ne_u32_e64 s[12:13], s12, v38
	v_mov_b32_e32 v45, 0x7f80
	s_and_saveexec_b64 s[26:27], s[12:13]
	s_cbranch_execz .LBB774_84
; %bb.83:
	v_and_b32_e32 v45, 7, v34
	v_ffbh_u32_e32 v46, v45
	v_min_u32_e32 v49, 32, v46
	v_subrev_u32_e32 v46, 28, v49
	v_lshlrev_b64 v[46:47], v46, v[34:35]
	v_lshrrev_b32_e32 v48, 3, v38
	v_sub_u32_e32 v47, 29, v49
	v_and_b32_e32 v46, 7, v46
	v_cmp_gt_u32_e64 s[12:13], 8, v38
	v_cndmask_b32_e64 v38, v48, v47, s[12:13]
	v_cndmask_b32_e64 v45, v45, v46, s[12:13]
	v_lshlrev_b32_e32 v34, 24, v34
	v_bfrev_b32_e32 v46, 60
	v_lshlrev_b32_e32 v45, 20, v45
	v_and_b32_e32 v34, 0x80000000, v34
	v_lshl_add_u32 v38, v38, 23, v46
	v_or3_b32 v34, v34, v38, v45
	v_lshrrev_b32_e32 v45, 16, v34
.LBB774_84:
	s_or_b64 exec, exec, s[26:27]
.LBB774_85:
	s_or_b64 exec, exec, s[24:25]
.LBB774_86:
	s_or_b64 exec, exec, s[14:15]
	v_mov_b32_e32 v34, v37
	v_cmp_ne_u16_sdwa s[12:13], v37, v35 src0_sel:BYTE_0 src1_sel:DWORD
	s_and_saveexec_b64 s[14:15], s[12:13]
	s_cbranch_execz .LBB774_92
; %bb.87:
	s_movk_i32 s12, 0x80
	v_cmp_ne_u16_sdwa s[12:13], v37, s12 src0_sel:BYTE_0 src1_sel:DWORD
	v_mov_b32_e32 v38, 0xffff8000
	s_and_saveexec_b64 s[24:25], s[12:13]
	s_cbranch_execz .LBB774_91
; %bb.88:
	s_movk_i32 s12, 0x7f
	v_and_b32_e32 v46, 0x7f, v37
	v_cmp_ne_u32_e64 s[12:13], s12, v46
	v_mov_b32_e32 v38, 0x7f80
	s_and_saveexec_b64 s[26:27], s[12:13]
	s_cbranch_execz .LBB774_90
; %bb.89:
	v_and_b32_e32 v38, 7, v37
	v_ffbh_u32_e32 v38, v38
	v_min_u32_e32 v38, 32, v38
	v_subrev_u32_e32 v48, 28, v38
	v_cmp_gt_u32_e64 s[12:13], 8, v46
	v_lshrrev_b32_e32 v47, 3, v46
	v_sub_u32_e32 v38, 29, v38
	v_cndmask_b32_e64 v46, 0, v48, s[12:13]
	v_cndmask_b32_e64 v38, v47, v38, s[12:13]
	v_lshlrev_b64 v[46:47], v46, v[34:35]
	v_lshlrev_b32_e32 v35, 20, v46
	v_lshlrev_b32_e32 v46, 24, v34
	v_bfrev_b32_e32 v47, 60
	v_and_b32_e32 v35, 0x700000, v35
	v_and_b32_e32 v46, 0x80000000, v46
	v_lshl_add_u32 v38, v38, 23, v47
	v_or3_b32 v35, v46, v38, v35
	v_lshrrev_b32_e32 v38, 16, v35
.LBB774_90:
	s_or_b64 exec, exec, s[26:27]
.LBB774_91:
	s_or_b64 exec, exec, s[24:25]
	v_mov_b32_e32 v35, v38
.LBB774_92:
	s_or_b64 exec, exec, s[14:15]
	v_lshrrev_b16_e32 v38, 8, v34
	v_cmp_ne_u16_e64 s[12:13], 0, v38
	v_mov_b32_e32 v47, 0
	v_mov_b32_e32 v46, 0
	s_and_saveexec_b64 s[14:15], s[12:13]
	s_cbranch_execz .LBB774_98
; %bb.93:
	s_movk_i32 s12, 0x80
	v_cmp_ne_u16_e64 s[12:13], s12, v38
	v_mov_b32_e32 v46, 0xffff8000
	s_and_saveexec_b64 s[24:25], s[12:13]
	s_cbranch_execz .LBB774_97
; %bb.94:
	s_movk_i32 s12, 0x7f
	v_and_b32_e32 v48, 0x7f, v38
	v_cmp_ne_u32_e64 s[12:13], s12, v48
	v_mov_b32_e32 v46, 0x7f80
	s_and_saveexec_b64 s[26:27], s[12:13]
	s_cbranch_execz .LBB774_96
; %bb.95:
	v_and_b32_e32 v46, 7, v38
	v_ffbh_u32_e32 v50, v46
	v_min_u32_e32 v52, 32, v50
	v_subrev_u32_e32 v50, 28, v52
	v_lshlrev_b64 v[50:51], v50, v[38:39]
	v_lshrrev_b32_e32 v49, 3, v48
	v_sub_u32_e32 v38, 29, v52
	v_and_b32_e32 v50, 7, v50
	v_cmp_gt_u32_e64 s[12:13], 8, v48
	v_cndmask_b32_e64 v38, v49, v38, s[12:13]
	v_cndmask_b32_e64 v46, v46, v50, s[12:13]
	v_lshlrev_b32_e32 v34, 16, v34
	v_bfrev_b32_e32 v48, 60
	v_lshlrev_b32_e32 v46, 20, v46
	v_and_b32_e32 v34, 0x80000000, v34
	v_lshl_add_u32 v38, v38, 23, v48
	v_or3_b32 v34, v34, v38, v46
	v_lshrrev_b32_e32 v46, 16, v34
.LBB774_96:
	s_or_b64 exec, exec, s[26:27]
.LBB774_97:
	s_or_b64 exec, exec, s[24:25]
.LBB774_98:
	s_or_b64 exec, exec, s[14:15]
	s_movk_i32 s12, 0xff
	v_and_b32_sdwa v38, v37, s12 dst_sel:DWORD dst_unused:UNUSED_PAD src0_sel:WORD_1 src1_sel:DWORD
	v_lshrrev_b32_e32 v34, 16, v37
	v_cmp_ne_u16_e64 s[12:13], 0, v38
	s_and_saveexec_b64 s[14:15], s[12:13]
	s_cbranch_execz .LBB774_104
; %bb.99:
	s_movk_i32 s12, 0x80
	v_cmp_ne_u16_e64 s[12:13], s12, v38
	v_mov_b32_e32 v47, 0xffff8000
	s_and_saveexec_b64 s[24:25], s[12:13]
	s_cbranch_execz .LBB774_103
; %bb.100:
	v_bfe_u32 v38, v37, 16, 7
	s_movk_i32 s12, 0x7f
	v_cmp_ne_u32_e64 s[12:13], s12, v38
	v_mov_b32_e32 v47, 0x7f80
	s_and_saveexec_b64 s[26:27], s[12:13]
	s_cbranch_execz .LBB774_102
; %bb.101:
	v_and_b32_e32 v47, 7, v34
	v_ffbh_u32_e32 v48, v47
	v_min_u32_e32 v51, 32, v48
	v_subrev_u32_e32 v48, 28, v51
	v_lshlrev_b64 v[48:49], v48, v[34:35]
	v_and_b32_e32 v48, 7, v48
	v_cmp_gt_u32_e64 s[12:13], 8, v38
	v_lshrrev_b32_e32 v50, 3, v38
	v_sub_u32_e32 v34, 29, v51
	v_cndmask_b32_e64 v38, v47, v48, s[12:13]
	v_mov_b32_e32 v47, 24
	v_cndmask_b32_e64 v34, v50, v34, s[12:13]
	v_lshlrev_b32_sdwa v47, v47, v37 dst_sel:DWORD dst_unused:UNUSED_PAD src0_sel:DWORD src1_sel:WORD_1
	v_bfrev_b32_e32 v48, 60
	v_lshlrev_b32_e32 v38, 20, v38
	v_and_b32_e32 v47, 0x80000000, v47
	v_lshl_add_u32 v34, v34, 23, v48
	v_or3_b32 v34, v47, v34, v38
	v_lshrrev_b32_e32 v47, 16, v34
.LBB774_102:
	s_or_b64 exec, exec, s[26:27]
.LBB774_103:
	s_or_b64 exec, exec, s[24:25]
.LBB774_104:
	s_or_b64 exec, exec, s[14:15]
	s_mov_b32 s12, -1
	s_mov_b32 s13, 0xffffff
	v_cmp_lt_u64_e64 s[12:13], s[12:13], v[36:37]
	v_mov_b32_e32 v38, 0
	v_mov_b32_e32 v36, 0
	s_and_saveexec_b64 s[14:15], s[12:13]
	s_cbranch_execz .LBB774_110
; %bb.105:
	v_lshrrev_b32_e32 v34, 24, v37
	s_movk_i32 s12, 0x80
	v_cmp_ne_u32_e64 s[12:13], s12, v34
	v_mov_b32_e32 v36, 0xffff8000
	s_and_saveexec_b64 s[24:25], s[12:13]
	s_cbranch_execz .LBB774_109
; %bb.106:
	v_bfe_u32 v37, v37, 24, 7
	s_movk_i32 s12, 0x7f
	v_cmp_ne_u32_e64 s[12:13], s12, v37
	v_mov_b32_e32 v36, 0x7f80
	s_and_saveexec_b64 s[26:27], s[12:13]
	s_cbranch_execz .LBB774_108
; %bb.107:
	v_and_b32_e32 v36, 7, v34
	v_ffbh_u32_e32 v48, v36
	v_min_u32_e32 v51, 32, v48
	v_subrev_u32_e32 v48, 28, v51
	v_lshlrev_b64 v[48:49], v48, v[34:35]
	v_lshrrev_b32_e32 v50, 3, v37
	v_sub_u32_e32 v49, 29, v51
	v_and_b32_e32 v48, 7, v48
	v_cmp_gt_u32_e64 s[12:13], 8, v37
	v_cndmask_b32_e64 v37, v50, v49, s[12:13]
	v_cndmask_b32_e64 v36, v36, v48, s[12:13]
	v_lshlrev_b32_e32 v34, 24, v34
	v_bfrev_b32_e32 v48, 60
	v_lshlrev_b32_e32 v36, 20, v36
	v_and_b32_e32 v34, 0x80000000, v34
	v_lshl_add_u32 v37, v37, 23, v48
	v_or3_b32 v34, v34, v37, v36
	v_lshrrev_b32_e32 v36, 16, v34
.LBB774_108:
	s_or_b64 exec, exec, s[26:27]
.LBB774_109:
	s_or_b64 exec, exec, s[24:25]
.LBB774_110:
	s_or_b64 exec, exec, s[14:15]
	s_mov_b32 s12, 0x5040100
	v_perm_b32 v41, v45, v41, s12
	v_perm_b32 v40, v39, v40, s12
	;; [unrolled: 1-line block ×4, first 2 shown]
	v_mfma_f32_4x4x4bf16_1k a[0:3], v[2:3], v[40:41], a[0:3] cbsz:4 abid:1
	v_cmp_ne_u16_sdwa s[12:13], v30, v38 src0_sel:BYTE_0 src1_sel:DWORD
	v_mfma_f32_4x4x4bf16_1k a[0:3], v[4:5], v[36:37], a[0:3] cbsz:4 abid:1
	s_and_saveexec_b64 s[14:15], s[12:13]
	s_cbranch_execz .LBB774_116
; %bb.111:
	s_movk_i32 s12, 0x80
	v_cmp_ne_u16_sdwa s[12:13], v30, s12 src0_sel:BYTE_0 src1_sel:DWORD
	v_mov_b32_e32 v38, 0xffff8000
	s_and_saveexec_b64 s[24:25], s[12:13]
	s_cbranch_execz .LBB774_115
; %bb.112:
	s_movk_i32 s12, 0x7f
	v_and_b32_e32 v34, 0x7f, v30
	v_cmp_ne_u32_e64 s[12:13], s12, v34
	v_mov_b32_e32 v38, 0x7f80
	s_and_saveexec_b64 s[26:27], s[12:13]
	s_cbranch_execz .LBB774_114
; %bb.113:
	v_and_b32_e32 v35, 7, v30
	v_ffbh_u32_e32 v35, v35
	v_min_u32_e32 v35, 32, v35
	v_subrev_u32_e32 v37, 28, v35
	v_cmp_gt_u32_e64 s[12:13], 8, v34
	v_lshrrev_b32_e32 v36, 3, v34
	v_sub_u32_e32 v35, 29, v35
	v_cndmask_b32_e64 v34, 0, v37, s[12:13]
	v_cndmask_b32_e64 v36, v36, v35, s[12:13]
	v_lshlrev_b64 v[34:35], v34, v[30:31]
	v_lshlrev_b32_e32 v34, 20, v34
	v_lshlrev_b32_e32 v35, 24, v30
	v_bfrev_b32_e32 v37, 60
	v_and_b32_e32 v34, 0x700000, v34
	v_and_b32_e32 v35, 0x80000000, v35
	v_lshl_add_u32 v36, v36, 23, v37
	v_or3_b32 v34, v35, v36, v34
	v_lshrrev_b32_e32 v38, 16, v34
.LBB774_114:
	s_or_b64 exec, exec, s[26:27]
.LBB774_115:
	s_or_b64 exec, exec, s[24:25]
.LBB774_116:
	s_or_b64 exec, exec, s[14:15]
	v_lshrrev_b16_e32 v34, 8, v30
	v_cmp_ne_u16_e64 s[12:13], 0, v34
	v_mov_b32_e32 v39, 0
	v_mov_b32_e32 v37, 0
	s_and_saveexec_b64 s[14:15], s[12:13]
	s_cbranch_execz .LBB774_122
; %bb.117:
	s_movk_i32 s12, 0x80
	v_cmp_ne_u16_e64 s[12:13], s12, v34
	v_mov_b32_e32 v37, 0xffff8000
	s_and_saveexec_b64 s[24:25], s[12:13]
	s_cbranch_execz .LBB774_121
; %bb.118:
	s_movk_i32 s12, 0x7f
	v_and_b32_e32 v35, 0x7f, v34
	v_cmp_ne_u32_e64 s[12:13], s12, v35
	v_mov_b32_e32 v37, 0x7f80
	s_and_saveexec_b64 s[26:27], s[12:13]
	s_cbranch_execz .LBB774_120
; %bb.119:
	v_and_b32_e32 v40, 7, v34
	v_ffbh_u32_e32 v36, v40
	v_min_u32_e32 v45, 32, v36
	v_subrev_u32_e32 v36, 28, v45
	v_lshlrev_b64 v[36:37], v36, v[34:35]
	v_lshrrev_b32_e32 v41, 3, v35
	v_sub_u32_e32 v34, 29, v45
	v_and_b32_e32 v36, 7, v36
	v_cmp_gt_u32_e64 s[12:13], 8, v35
	v_cndmask_b32_e64 v34, v41, v34, s[12:13]
	v_cndmask_b32_e64 v35, v40, v36, s[12:13]
	v_lshlrev_b32_e32 v36, 16, v30
	v_bfrev_b32_e32 v37, 60
	v_lshlrev_b32_e32 v35, 20, v35
	v_and_b32_e32 v36, 0x80000000, v36
	v_lshl_add_u32 v34, v34, 23, v37
	v_or3_b32 v34, v36, v34, v35
	v_lshrrev_b32_e32 v37, 16, v34
.LBB774_120:
	s_or_b64 exec, exec, s[26:27]
.LBB774_121:
	s_or_b64 exec, exec, s[24:25]
.LBB774_122:
	s_or_b64 exec, exec, s[14:15]
	s_movk_i32 s12, 0xff
	v_and_b32_sdwa v35, v30, s12 dst_sel:DWORD dst_unused:UNUSED_PAD src0_sel:WORD_1 src1_sel:DWORD
	v_lshrrev_b32_e32 v34, 16, v30
	v_cmp_ne_u16_e64 s[12:13], 0, v35
	s_and_saveexec_b64 s[14:15], s[12:13]
	s_cbranch_execz .LBB774_128
; %bb.123:
	s_movk_i32 s12, 0x80
	v_cmp_ne_u16_e64 s[12:13], s12, v35
	v_mov_b32_e32 v39, 0xffff8000
	s_and_saveexec_b64 s[24:25], s[12:13]
	s_cbranch_execz .LBB774_127
; %bb.124:
	v_bfe_u32 v35, v30, 16, 7
	s_movk_i32 s12, 0x7f
	v_cmp_ne_u32_e64 s[12:13], s12, v35
	v_mov_b32_e32 v39, 0x7f80
	s_and_saveexec_b64 s[26:27], s[12:13]
	s_cbranch_execz .LBB774_126
; %bb.125:
	v_and_b32_e32 v36, 7, v34
	v_ffbh_u32_e32 v40, v36
	v_min_u32_e32 v45, 32, v40
	v_subrev_u32_e32 v40, 28, v45
	v_lshlrev_b64 v[40:41], v40, v[34:35]
	v_and_b32_e32 v40, 7, v40
	v_cmp_gt_u32_e64 s[12:13], 8, v35
	v_lshrrev_b32_e32 v39, 3, v35
	v_sub_u32_e32 v34, 29, v45
	v_cndmask_b32_e64 v35, v36, v40, s[12:13]
	v_mov_b32_e32 v36, 24
	v_cndmask_b32_e64 v34, v39, v34, s[12:13]
	v_lshlrev_b32_sdwa v36, v36, v30 dst_sel:DWORD dst_unused:UNUSED_PAD src0_sel:DWORD src1_sel:WORD_1
	v_bfrev_b32_e32 v39, 60
	v_lshlrev_b32_e32 v35, 20, v35
	v_and_b32_e32 v36, 0x80000000, v36
	v_lshl_add_u32 v34, v34, 23, v39
	v_or3_b32 v34, v36, v34, v35
	v_lshrrev_b32_e32 v39, 16, v34
.LBB774_126:
	s_or_b64 exec, exec, s[26:27]
.LBB774_127:
	s_or_b64 exec, exec, s[24:25]
.LBB774_128:
	s_or_b64 exec, exec, s[14:15]
	s_mov_b32 s12, 0xffffff
	v_cmp_lt_u32_e64 s[12:13], s12, v30
	v_mov_b32_e32 v35, 0
	v_mov_b32_e32 v40, 0
	s_and_saveexec_b64 s[14:15], s[12:13]
	s_cbranch_execz .LBB774_134
; %bb.129:
	v_lshrrev_b32_e32 v34, 24, v30
	s_movk_i32 s12, 0x80
	v_cmp_ne_u32_e64 s[12:13], s12, v34
	v_mov_b32_e32 v40, 0xffff8000
	s_and_saveexec_b64 s[24:25], s[12:13]
	s_cbranch_execz .LBB774_133
; %bb.130:
	v_bfe_u32 v36, v30, 24, 7
	s_movk_i32 s12, 0x7f
	v_cmp_ne_u32_e64 s[12:13], s12, v36
	v_mov_b32_e32 v40, 0x7f80
	s_and_saveexec_b64 s[26:27], s[12:13]
	s_cbranch_execz .LBB774_132
; %bb.131:
	v_and_b32_e32 v45, 7, v34
	v_ffbh_u32_e32 v40, v45
	v_min_u32_e32 v47, 32, v40
	v_subrev_u32_e32 v40, 28, v47
	v_lshlrev_b64 v[40:41], v40, v[34:35]
	v_lshrrev_b32_e32 v46, 3, v36
	v_sub_u32_e32 v41, 29, v47
	v_and_b32_e32 v40, 7, v40
	v_cmp_gt_u32_e64 s[12:13], 8, v36
	v_cndmask_b32_e64 v36, v46, v41, s[12:13]
	v_cndmask_b32_e64 v40, v45, v40, s[12:13]
	v_lshlrev_b32_e32 v34, 24, v34
	v_bfrev_b32_e32 v41, 60
	v_lshlrev_b32_e32 v40, 20, v40
	v_and_b32_e32 v34, 0x80000000, v34
	v_lshl_add_u32 v36, v36, 23, v41
	v_or3_b32 v34, v34, v36, v40
	v_lshrrev_b32_e32 v40, 16, v34
.LBB774_132:
	s_or_b64 exec, exec, s[26:27]
.LBB774_133:
	s_or_b64 exec, exec, s[24:25]
.LBB774_134:
	s_or_b64 exec, exec, s[14:15]
	v_mov_b32_e32 v34, v31
	v_cmp_ne_u16_sdwa s[12:13], v31, v35 src0_sel:BYTE_0 src1_sel:DWORD
	s_and_saveexec_b64 s[14:15], s[12:13]
	s_cbranch_execz .LBB774_140
; %bb.135:
	s_movk_i32 s12, 0x80
	v_cmp_ne_u16_sdwa s[12:13], v31, s12 src0_sel:BYTE_0 src1_sel:DWORD
	v_mov_b32_e32 v36, 0xffff8000
	s_and_saveexec_b64 s[24:25], s[12:13]
	s_cbranch_execz .LBB774_139
; %bb.136:
	s_movk_i32 s12, 0x7f
	v_and_b32_e32 v41, 0x7f, v31
	v_cmp_ne_u32_e64 s[12:13], s12, v41
	v_mov_b32_e32 v36, 0x7f80
	s_and_saveexec_b64 s[26:27], s[12:13]
	s_cbranch_execz .LBB774_138
; %bb.137:
	v_and_b32_e32 v36, 7, v31
	v_ffbh_u32_e32 v36, v36
	v_min_u32_e32 v36, 32, v36
	v_subrev_u32_e32 v46, 28, v36
	v_cmp_gt_u32_e64 s[12:13], 8, v41
	v_lshrrev_b32_e32 v45, 3, v41
	v_cndmask_b32_e64 v41, 0, v46, s[12:13]
	v_sub_u32_e32 v36, 29, v36
	v_lshlrev_b64 v[46:47], v41, v[34:35]
	v_cndmask_b32_e64 v36, v45, v36, s[12:13]
	v_lshlrev_b32_e32 v35, 20, v46
	v_lshlrev_b32_e32 v41, 24, v34
	v_bfrev_b32_e32 v45, 60
	v_and_b32_e32 v35, 0x700000, v35
	v_and_b32_e32 v41, 0x80000000, v41
	v_lshl_add_u32 v36, v36, 23, v45
	v_or3_b32 v35, v41, v36, v35
	v_lshrrev_b32_e32 v36, 16, v35
.LBB774_138:
	s_or_b64 exec, exec, s[26:27]
.LBB774_139:
	s_or_b64 exec, exec, s[24:25]
	v_mov_b32_e32 v35, v36
.LBB774_140:
	s_or_b64 exec, exec, s[14:15]
	v_lshrrev_b16_e32 v36, 8, v34
	v_cmp_ne_u16_e64 s[12:13], 0, v36
	v_mov_b32_e32 v45, 0
	v_mov_b32_e32 v41, 0
	s_and_saveexec_b64 s[14:15], s[12:13]
	s_cbranch_execz .LBB774_146
; %bb.141:
	s_movk_i32 s12, 0x80
	v_cmp_ne_u16_e64 s[12:13], s12, v36
	v_mov_b32_e32 v41, 0xffff8000
	s_and_saveexec_b64 s[24:25], s[12:13]
	s_cbranch_execz .LBB774_145
; %bb.142:
	s_movk_i32 s12, 0x7f
	v_and_b32_e32 v46, 0x7f, v36
	v_cmp_ne_u32_e64 s[12:13], s12, v46
	v_mov_b32_e32 v41, 0x7f80
	s_and_saveexec_b64 s[26:27], s[12:13]
	s_cbranch_execz .LBB774_144
; %bb.143:
	v_and_b32_e32 v41, 7, v36
	v_ffbh_u32_e32 v48, v41
	v_min_u32_e32 v50, 32, v48
	v_subrev_u32_e32 v48, 28, v50
	v_lshlrev_b64 v[48:49], v48, v[36:37]
	v_lshrrev_b32_e32 v47, 3, v46
	v_sub_u32_e32 v36, 29, v50
	v_and_b32_e32 v48, 7, v48
	v_cmp_gt_u32_e64 s[12:13], 8, v46
	v_cndmask_b32_e64 v36, v47, v36, s[12:13]
	v_cndmask_b32_e64 v41, v41, v48, s[12:13]
	v_lshlrev_b32_e32 v34, 16, v34
	v_bfrev_b32_e32 v46, 60
	v_lshlrev_b32_e32 v41, 20, v41
	v_and_b32_e32 v34, 0x80000000, v34
	v_lshl_add_u32 v36, v36, 23, v46
	v_or3_b32 v34, v34, v36, v41
	v_lshrrev_b32_e32 v41, 16, v34
.LBB774_144:
	s_or_b64 exec, exec, s[26:27]
.LBB774_145:
	s_or_b64 exec, exec, s[24:25]
.LBB774_146:
	s_or_b64 exec, exec, s[14:15]
	s_movk_i32 s12, 0xff
	v_and_b32_sdwa v36, v31, s12 dst_sel:DWORD dst_unused:UNUSED_PAD src0_sel:WORD_1 src1_sel:DWORD
	v_lshrrev_b32_e32 v34, 16, v31
	v_cmp_ne_u16_e64 s[12:13], 0, v36
	s_and_saveexec_b64 s[14:15], s[12:13]
	s_cbranch_execz .LBB774_152
; %bb.147:
	s_movk_i32 s12, 0x80
	v_cmp_ne_u16_e64 s[12:13], s12, v36
	v_mov_b32_e32 v45, 0xffff8000
	s_and_saveexec_b64 s[24:25], s[12:13]
	s_cbranch_execz .LBB774_151
; %bb.148:
	v_bfe_u32 v36, v31, 16, 7
	s_movk_i32 s12, 0x7f
	v_cmp_ne_u32_e64 s[12:13], s12, v36
	v_mov_b32_e32 v45, 0x7f80
	s_and_saveexec_b64 s[26:27], s[12:13]
	s_cbranch_execz .LBB774_150
; %bb.149:
	v_and_b32_e32 v45, 7, v34
	v_ffbh_u32_e32 v46, v45
	v_min_u32_e32 v49, 32, v46
	v_subrev_u32_e32 v46, 28, v49
	v_lshlrev_b64 v[46:47], v46, v[34:35]
	v_and_b32_e32 v46, 7, v46
	v_cmp_gt_u32_e64 s[12:13], 8, v36
	v_lshrrev_b32_e32 v48, 3, v36
	v_sub_u32_e32 v34, 29, v49
	v_cndmask_b32_e64 v36, v45, v46, s[12:13]
	v_mov_b32_e32 v45, 24
	v_cndmask_b32_e64 v34, v48, v34, s[12:13]
	v_lshlrev_b32_sdwa v45, v45, v31 dst_sel:DWORD dst_unused:UNUSED_PAD src0_sel:DWORD src1_sel:WORD_1
	v_bfrev_b32_e32 v46, 60
	v_lshlrev_b32_e32 v36, 20, v36
	v_and_b32_e32 v45, 0x80000000, v45
	v_lshl_add_u32 v34, v34, 23, v46
	v_or3_b32 v34, v45, v34, v36
	v_lshrrev_b32_e32 v45, 16, v34
.LBB774_150:
	s_or_b64 exec, exec, s[26:27]
.LBB774_151:
	s_or_b64 exec, exec, s[24:25]
.LBB774_152:
	s_or_b64 exec, exec, s[14:15]
	s_mov_b32 s12, -1
	s_mov_b32 s13, 0xffffff
	v_cmp_lt_u64_e64 s[12:13], s[12:13], v[30:31]
	v_mov_b32_e32 v36, 0
	v_mov_b32_e32 v34, 0
	s_and_saveexec_b64 s[14:15], s[12:13]
	s_cbranch_execz .LBB774_158
; %bb.153:
	v_lshrrev_b32_e32 v30, 24, v31
	s_movk_i32 s12, 0x80
	v_cmp_ne_u32_e64 s[12:13], s12, v30
	v_mov_b32_e32 v34, 0xffff8000
	s_and_saveexec_b64 s[24:25], s[12:13]
	s_cbranch_execz .LBB774_157
; %bb.154:
	v_bfe_u32 v31, v31, 24, 7
	s_movk_i32 s12, 0x7f
	v_cmp_ne_u32_e64 s[12:13], s12, v31
	v_mov_b32_e32 v34, 0x7f80
	s_and_saveexec_b64 s[26:27], s[12:13]
	s_cbranch_execz .LBB774_156
; %bb.155:
	v_and_b32_e32 v34, 7, v30
	v_ffbh_u32_e32 v46, v34
	v_min_u32_e32 v49, 32, v46
	v_subrev_u32_e32 v46, 28, v49
	v_lshlrev_b64 v[46:47], v46, v[30:31]
	v_lshrrev_b32_e32 v48, 3, v31
	v_sub_u32_e32 v47, 29, v49
	v_and_b32_e32 v46, 7, v46
	v_cmp_gt_u32_e64 s[12:13], 8, v31
	v_cndmask_b32_e64 v31, v48, v47, s[12:13]
	v_cndmask_b32_e64 v34, v34, v46, s[12:13]
	v_lshlrev_b32_e32 v30, 24, v30
	v_bfrev_b32_e32 v46, 60
	v_lshlrev_b32_e32 v34, 20, v34
	v_and_b32_e32 v30, 0x80000000, v30
	v_lshl_add_u32 v31, v31, 23, v46
	v_or3_b32 v30, v30, v31, v34
	v_lshrrev_b32_e32 v34, 16, v30
.LBB774_156:
	s_or_b64 exec, exec, s[26:27]
.LBB774_157:
	s_or_b64 exec, exec, s[24:25]
.LBB774_158:
	s_or_b64 exec, exec, s[14:15]
	s_mov_b32 s12, 0x5040100
	v_perm_b32 v31, v40, v39, s12
	v_perm_b32 v30, v37, v38, s12
	;; [unrolled: 1-line block ×4, first 2 shown]
	v_mfma_f32_4x4x4bf16_1k a[0:3], v[2:3], v[30:31], a[0:3] cbsz:4 abid:2
	v_cmp_ne_u16_sdwa s[12:13], v32, v36 src0_sel:BYTE_0 src1_sel:DWORD
	v_mfma_f32_4x4x4bf16_1k a[0:3], v[4:5], v[38:39], a[0:3] cbsz:4 abid:2
	s_and_saveexec_b64 s[14:15], s[12:13]
	s_cbranch_execz .LBB774_164
; %bb.159:
	s_movk_i32 s12, 0x80
	v_cmp_ne_u16_sdwa s[12:13], v32, s12 src0_sel:BYTE_0 src1_sel:DWORD
	v_mov_b32_e32 v36, 0xffff8000
	s_and_saveexec_b64 s[24:25], s[12:13]
	s_cbranch_execz .LBB774_163
; %bb.160:
	s_movk_i32 s12, 0x7f
	v_and_b32_e32 v30, 0x7f, v32
	v_cmp_ne_u32_e64 s[12:13], s12, v30
	v_mov_b32_e32 v36, 0x7f80
	s_and_saveexec_b64 s[26:27], s[12:13]
	s_cbranch_execz .LBB774_162
; %bb.161:
	v_and_b32_e32 v31, 7, v32
	v_ffbh_u32_e32 v31, v31
	v_min_u32_e32 v31, 32, v31
	v_subrev_u32_e32 v35, 28, v31
	v_cmp_gt_u32_e64 s[12:13], 8, v30
	v_lshrrev_b32_e32 v34, 3, v30
	v_sub_u32_e32 v31, 29, v31
	v_cndmask_b32_e64 v30, 0, v35, s[12:13]
	v_cndmask_b32_e64 v34, v34, v31, s[12:13]
	v_lshlrev_b64 v[30:31], v30, v[32:33]
	v_lshlrev_b32_e32 v30, 20, v30
	v_lshlrev_b32_e32 v31, 24, v32
	v_bfrev_b32_e32 v35, 60
	v_and_b32_e32 v30, 0x700000, v30
	v_and_b32_e32 v31, 0x80000000, v31
	v_lshl_add_u32 v34, v34, 23, v35
	v_or3_b32 v30, v31, v34, v30
	v_lshrrev_b32_e32 v36, 16, v30
.LBB774_162:
	s_or_b64 exec, exec, s[26:27]
.LBB774_163:
	s_or_b64 exec, exec, s[24:25]
.LBB774_164:
	s_or_b64 exec, exec, s[14:15]
	v_lshrrev_b16_e32 v30, 8, v32
	v_cmp_ne_u16_e64 s[12:13], 0, v30
	v_mov_b32_e32 v37, 0
	v_mov_b32_e32 v35, 0
	s_and_saveexec_b64 s[14:15], s[12:13]
	s_cbranch_execz .LBB774_170
; %bb.165:
	s_movk_i32 s12, 0x80
	v_cmp_ne_u16_e64 s[12:13], s12, v30
	v_mov_b32_e32 v35, 0xffff8000
	s_and_saveexec_b64 s[24:25], s[12:13]
	s_cbranch_execz .LBB774_169
; %bb.166:
	s_movk_i32 s12, 0x7f
	v_and_b32_e32 v31, 0x7f, v30
	v_cmp_ne_u32_e64 s[12:13], s12, v31
	v_mov_b32_e32 v35, 0x7f80
	s_and_saveexec_b64 s[26:27], s[12:13]
	s_cbranch_execz .LBB774_168
; %bb.167:
	v_and_b32_e32 v38, 7, v30
	v_ffbh_u32_e32 v34, v38
	v_min_u32_e32 v40, 32, v34
	v_subrev_u32_e32 v34, 28, v40
	v_lshlrev_b64 v[34:35], v34, v[30:31]
	v_lshrrev_b32_e32 v39, 3, v31
	v_sub_u32_e32 v30, 29, v40
	v_and_b32_e32 v34, 7, v34
	v_cmp_gt_u32_e64 s[12:13], 8, v31
	v_cndmask_b32_e64 v30, v39, v30, s[12:13]
	v_cndmask_b32_e64 v31, v38, v34, s[12:13]
	v_lshlrev_b32_e32 v34, 16, v32
	v_bfrev_b32_e32 v35, 60
	v_lshlrev_b32_e32 v31, 20, v31
	v_and_b32_e32 v34, 0x80000000, v34
	v_lshl_add_u32 v30, v30, 23, v35
	v_or3_b32 v30, v34, v30, v31
	v_lshrrev_b32_e32 v35, 16, v30
.LBB774_168:
	s_or_b64 exec, exec, s[26:27]
.LBB774_169:
	s_or_b64 exec, exec, s[24:25]
.LBB774_170:
	s_or_b64 exec, exec, s[14:15]
	s_movk_i32 s12, 0xff
	v_and_b32_sdwa v31, v32, s12 dst_sel:DWORD dst_unused:UNUSED_PAD src0_sel:WORD_1 src1_sel:DWORD
	v_lshrrev_b32_e32 v30, 16, v32
	v_cmp_ne_u16_e64 s[12:13], 0, v31
	s_and_saveexec_b64 s[14:15], s[12:13]
	s_cbranch_execz .LBB774_176
; %bb.171:
	s_movk_i32 s12, 0x80
	v_cmp_ne_u16_e64 s[12:13], s12, v31
	v_mov_b32_e32 v37, 0xffff8000
	s_and_saveexec_b64 s[24:25], s[12:13]
	s_cbranch_execz .LBB774_175
; %bb.172:
	v_bfe_u32 v31, v32, 16, 7
	s_movk_i32 s12, 0x7f
	v_cmp_ne_u32_e64 s[12:13], s12, v31
	v_mov_b32_e32 v37, 0x7f80
	s_and_saveexec_b64 s[26:27], s[12:13]
	s_cbranch_execz .LBB774_174
; %bb.173:
	v_and_b32_e32 v34, 7, v30
	v_ffbh_u32_e32 v38, v34
	v_min_u32_e32 v40, 32, v38
	v_subrev_u32_e32 v38, 28, v40
	v_lshlrev_b64 v[38:39], v38, v[30:31]
	v_and_b32_e32 v38, 7, v38
	v_cmp_gt_u32_e64 s[12:13], 8, v31
	v_lshrrev_b32_e32 v37, 3, v31
	v_sub_u32_e32 v30, 29, v40
	v_cndmask_b32_e64 v31, v34, v38, s[12:13]
	v_mov_b32_e32 v34, 24
	v_cndmask_b32_e64 v30, v37, v30, s[12:13]
	v_lshlrev_b32_sdwa v34, v34, v32 dst_sel:DWORD dst_unused:UNUSED_PAD src0_sel:DWORD src1_sel:WORD_1
	v_bfrev_b32_e32 v37, 60
	v_lshlrev_b32_e32 v31, 20, v31
	v_and_b32_e32 v34, 0x80000000, v34
	v_lshl_add_u32 v30, v30, 23, v37
	v_or3_b32 v30, v34, v30, v31
	v_lshrrev_b32_e32 v37, 16, v30
.LBB774_174:
	s_or_b64 exec, exec, s[26:27]
.LBB774_175:
	s_or_b64 exec, exec, s[24:25]
.LBB774_176:
	s_or_b64 exec, exec, s[14:15]
	s_mov_b32 s12, 0xffffff
	v_cmp_lt_u32_e64 s[12:13], s12, v32
	v_mov_b32_e32 v31, 0
	v_mov_b32_e32 v38, 0
	s_and_saveexec_b64 s[14:15], s[12:13]
	s_cbranch_execz .LBB774_182
; %bb.177:
	v_lshrrev_b32_e32 v30, 24, v32
	s_movk_i32 s12, 0x80
	v_cmp_ne_u32_e64 s[12:13], s12, v30
	v_mov_b32_e32 v38, 0xffff8000
	s_and_saveexec_b64 s[24:25], s[12:13]
	s_cbranch_execz .LBB774_181
; %bb.178:
	v_bfe_u32 v34, v32, 24, 7
	s_movk_i32 s12, 0x7f
	v_cmp_ne_u32_e64 s[12:13], s12, v34
	v_mov_b32_e32 v38, 0x7f80
	s_and_saveexec_b64 s[26:27], s[12:13]
	s_cbranch_execz .LBB774_180
; %bb.179:
	v_and_b32_e32 v40, 7, v30
	v_ffbh_u32_e32 v38, v40
	v_min_u32_e32 v45, 32, v38
	v_subrev_u32_e32 v38, 28, v45
	v_lshlrev_b64 v[38:39], v38, v[30:31]
	v_lshrrev_b32_e32 v41, 3, v34
	v_sub_u32_e32 v39, 29, v45
	v_and_b32_e32 v38, 7, v38
	v_cmp_gt_u32_e64 s[12:13], 8, v34
	v_cndmask_b32_e64 v34, v41, v39, s[12:13]
	v_cndmask_b32_e64 v38, v40, v38, s[12:13]
	v_lshlrev_b32_e32 v30, 24, v30
	v_bfrev_b32_e32 v39, 60
	v_lshlrev_b32_e32 v38, 20, v38
	v_and_b32_e32 v30, 0x80000000, v30
	v_lshl_add_u32 v34, v34, 23, v39
	v_or3_b32 v30, v30, v34, v38
	v_lshrrev_b32_e32 v38, 16, v30
.LBB774_180:
	s_or_b64 exec, exec, s[26:27]
.LBB774_181:
	s_or_b64 exec, exec, s[24:25]
.LBB774_182:
	s_or_b64 exec, exec, s[14:15]
	v_mov_b32_e32 v30, v33
	v_cmp_ne_u16_sdwa s[12:13], v33, v31 src0_sel:BYTE_0 src1_sel:DWORD
	s_and_saveexec_b64 s[14:15], s[12:13]
	s_cbranch_execz .LBB774_188
; %bb.183:
	s_movk_i32 s12, 0x80
	v_cmp_ne_u16_sdwa s[12:13], v33, s12 src0_sel:BYTE_0 src1_sel:DWORD
	v_mov_b32_e32 v34, 0xffff8000
	s_and_saveexec_b64 s[24:25], s[12:13]
	s_cbranch_execz .LBB774_187
; %bb.184:
	s_movk_i32 s12, 0x7f
	v_and_b32_e32 v39, 0x7f, v33
	v_cmp_ne_u32_e64 s[12:13], s12, v39
	v_mov_b32_e32 v34, 0x7f80
	s_and_saveexec_b64 s[26:27], s[12:13]
	s_cbranch_execz .LBB774_186
; %bb.185:
	v_and_b32_e32 v34, 7, v33
	v_ffbh_u32_e32 v34, v34
	v_min_u32_e32 v34, 32, v34
	v_subrev_u32_e32 v41, 28, v34
	v_cmp_gt_u32_e64 s[12:13], 8, v39
	v_lshrrev_b32_e32 v40, 3, v39
	v_sub_u32_e32 v34, 29, v34
	v_cndmask_b32_e64 v39, 0, v41, s[12:13]
	v_cndmask_b32_e64 v34, v40, v34, s[12:13]
	v_lshlrev_b64 v[40:41], v39, v[30:31]
	v_lshlrev_b32_e32 v31, 20, v40
	v_lshlrev_b32_e32 v39, 24, v30
	v_bfrev_b32_e32 v40, 60
	v_and_b32_e32 v31, 0x700000, v31
	v_and_b32_e32 v39, 0x80000000, v39
	v_lshl_add_u32 v34, v34, 23, v40
	v_or3_b32 v31, v39, v34, v31
	v_lshrrev_b32_e32 v34, 16, v31
.LBB774_186:
	s_or_b64 exec, exec, s[26:27]
.LBB774_187:
	s_or_b64 exec, exec, s[24:25]
	v_mov_b32_e32 v31, v34
.LBB774_188:
	s_or_b64 exec, exec, s[14:15]
	v_lshrrev_b16_e32 v34, 8, v30
	v_cmp_ne_u16_e64 s[12:13], 0, v34
	v_mov_b32_e32 v40, 0
	v_mov_b32_e32 v39, 0
	s_and_saveexec_b64 s[14:15], s[12:13]
	s_cbranch_execz .LBB774_194
; %bb.189:
	s_movk_i32 s12, 0x80
	v_cmp_ne_u16_e64 s[12:13], s12, v34
	v_mov_b32_e32 v39, 0xffff8000
	s_and_saveexec_b64 s[24:25], s[12:13]
	s_cbranch_execz .LBB774_193
; %bb.190:
	s_movk_i32 s12, 0x7f
	v_and_b32_e32 v41, 0x7f, v34
	v_cmp_ne_u32_e64 s[12:13], s12, v41
	v_mov_b32_e32 v39, 0x7f80
	s_and_saveexec_b64 s[26:27], s[12:13]
	s_cbranch_execz .LBB774_192
; %bb.191:
	v_and_b32_e32 v39, 7, v34
	v_ffbh_u32_e32 v46, v39
	v_min_u32_e32 v48, 32, v46
	v_subrev_u32_e32 v46, 28, v48
	v_lshlrev_b64 v[46:47], v46, v[34:35]
	v_lshrrev_b32_e32 v45, 3, v41
	v_sub_u32_e32 v34, 29, v48
	v_and_b32_e32 v46, 7, v46
	v_cmp_gt_u32_e64 s[12:13], 8, v41
	v_cndmask_b32_e64 v34, v45, v34, s[12:13]
	v_cndmask_b32_e64 v39, v39, v46, s[12:13]
	v_lshlrev_b32_e32 v30, 16, v30
	v_bfrev_b32_e32 v41, 60
	v_lshlrev_b32_e32 v39, 20, v39
	v_and_b32_e32 v30, 0x80000000, v30
	v_lshl_add_u32 v34, v34, 23, v41
	v_or3_b32 v30, v30, v34, v39
	v_lshrrev_b32_e32 v39, 16, v30
.LBB774_192:
	s_or_b64 exec, exec, s[26:27]
.LBB774_193:
	s_or_b64 exec, exec, s[24:25]
.LBB774_194:
	s_or_b64 exec, exec, s[14:15]
	s_movk_i32 s12, 0xff
	v_and_b32_sdwa v34, v33, s12 dst_sel:DWORD dst_unused:UNUSED_PAD src0_sel:WORD_1 src1_sel:DWORD
	v_lshrrev_b32_e32 v30, 16, v33
	v_cmp_ne_u16_e64 s[12:13], 0, v34
	s_and_saveexec_b64 s[14:15], s[12:13]
	s_cbranch_execz .LBB774_200
; %bb.195:
	s_movk_i32 s12, 0x80
	v_cmp_ne_u16_e64 s[12:13], s12, v34
	v_mov_b32_e32 v40, 0xffff8000
	s_and_saveexec_b64 s[24:25], s[12:13]
	s_cbranch_execz .LBB774_199
; %bb.196:
	v_bfe_u32 v34, v33, 16, 7
	s_movk_i32 s12, 0x7f
	v_cmp_ne_u32_e64 s[12:13], s12, v34
	v_mov_b32_e32 v40, 0x7f80
	s_and_saveexec_b64 s[26:27], s[12:13]
	s_cbranch_execz .LBB774_198
; %bb.197:
	v_and_b32_e32 v45, 7, v30
	v_ffbh_u32_e32 v40, v45
	v_min_u32_e32 v47, 32, v40
	v_subrev_u32_e32 v40, 28, v47
	v_lshlrev_b64 v[40:41], v40, v[30:31]
	v_and_b32_e32 v40, 7, v40
	v_cmp_gt_u32_e64 s[12:13], 8, v34
	v_lshrrev_b32_e32 v46, 3, v34
	v_sub_u32_e32 v30, 29, v47
	v_cndmask_b32_e64 v34, v45, v40, s[12:13]
	v_mov_b32_e32 v40, 24
	v_cndmask_b32_e64 v30, v46, v30, s[12:13]
	v_lshlrev_b32_sdwa v40, v40, v33 dst_sel:DWORD dst_unused:UNUSED_PAD src0_sel:DWORD src1_sel:WORD_1
	v_bfrev_b32_e32 v41, 60
	v_lshlrev_b32_e32 v34, 20, v34
	v_and_b32_e32 v40, 0x80000000, v40
	v_lshl_add_u32 v30, v30, 23, v41
	v_or3_b32 v30, v40, v30, v34
	v_lshrrev_b32_e32 v40, 16, v30
.LBB774_198:
	s_or_b64 exec, exec, s[26:27]
.LBB774_199:
	s_or_b64 exec, exec, s[24:25]
.LBB774_200:
	s_or_b64 exec, exec, s[14:15]
	s_mov_b32 s12, -1
	s_mov_b32 s13, 0xffffff
	v_cmp_lt_u64_e64 s[12:13], s[12:13], v[32:33]
	v_mov_b32_e32 v34, 0
	v_mov_b32_e32 v32, 0
	s_and_saveexec_b64 s[14:15], s[12:13]
	s_cbranch_execz .LBB774_206
; %bb.201:
	v_lshrrev_b32_e32 v30, 24, v33
	s_movk_i32 s12, 0x80
	v_cmp_ne_u32_e64 s[12:13], s12, v30
	v_mov_b32_e32 v32, 0xffff8000
	s_and_saveexec_b64 s[24:25], s[12:13]
	s_cbranch_execz .LBB774_205
; %bb.202:
	v_bfe_u32 v33, v33, 24, 7
	s_movk_i32 s12, 0x7f
	v_cmp_ne_u32_e64 s[12:13], s12, v33
	v_mov_b32_e32 v32, 0x7f80
	s_and_saveexec_b64 s[26:27], s[12:13]
	s_cbranch_execz .LBB774_204
; %bb.203:
	v_and_b32_e32 v32, 7, v30
	v_ffbh_u32_e32 v45, v32
	v_min_u32_e32 v45, 32, v45
	v_subrev_u32_e32 v46, 28, v45
	v_lshlrev_b64 v[46:47], v46, v[30:31]
	v_lshrrev_b32_e32 v41, 3, v33
	v_sub_u32_e32 v45, 29, v45
	v_and_b32_e32 v46, 7, v46
	v_cmp_gt_u32_e64 s[12:13], 8, v33
	v_cndmask_b32_e64 v33, v41, v45, s[12:13]
	v_cndmask_b32_e64 v32, v32, v46, s[12:13]
	v_lshlrev_b32_e32 v30, 24, v30
	v_bfrev_b32_e32 v41, 60
	v_lshlrev_b32_e32 v32, 20, v32
	v_and_b32_e32 v30, 0x80000000, v30
	v_lshl_add_u32 v33, v33, 23, v41
	v_or3_b32 v30, v30, v33, v32
	v_lshrrev_b32_e32 v32, 16, v30
.LBB774_204:
	s_or_b64 exec, exec, s[26:27]
.LBB774_205:
	s_or_b64 exec, exec, s[24:25]
.LBB774_206:
	s_or_b64 exec, exec, s[14:15]
	s_mov_b32 s12, 0x5040100
	v_perm_b32 v37, v38, v37, s12
	v_perm_b32 v36, v35, v36, s12
	;; [unrolled: 1-line block ×4, first 2 shown]
	v_mfma_f32_4x4x4bf16_1k a[0:3], v[2:3], v[36:37], a[0:3] cbsz:4 abid:3
	v_cmp_ne_u16_sdwa s[12:13], v26, v34 src0_sel:BYTE_0 src1_sel:DWORD
	v_mfma_f32_4x4x4bf16_1k a[0:3], v[4:5], v[32:33], a[0:3] cbsz:4 abid:3
	s_and_saveexec_b64 s[14:15], s[12:13]
	s_cbranch_execz .LBB774_212
; %bb.207:
	s_movk_i32 s12, 0x80
	v_cmp_ne_u16_sdwa s[12:13], v26, s12 src0_sel:BYTE_0 src1_sel:DWORD
	v_mov_b32_e32 v34, 0xffff8000
	s_and_saveexec_b64 s[24:25], s[12:13]
	s_cbranch_execz .LBB774_211
; %bb.208:
	s_movk_i32 s12, 0x7f
	v_and_b32_e32 v30, 0x7f, v26
	v_cmp_ne_u32_e64 s[12:13], s12, v30
	v_mov_b32_e32 v34, 0x7f80
	s_and_saveexec_b64 s[26:27], s[12:13]
	s_cbranch_execz .LBB774_210
; %bb.209:
	v_and_b32_e32 v31, 7, v26
	v_ffbh_u32_e32 v31, v31
	v_min_u32_e32 v31, 32, v31
	v_subrev_u32_e32 v33, 28, v31
	v_cmp_gt_u32_e64 s[12:13], 8, v30
	v_lshrrev_b32_e32 v32, 3, v30
	v_sub_u32_e32 v31, 29, v31
	v_cndmask_b32_e64 v30, 0, v33, s[12:13]
	v_cndmask_b32_e64 v32, v32, v31, s[12:13]
	v_lshlrev_b64 v[30:31], v30, v[26:27]
	v_lshlrev_b32_e32 v30, 20, v30
	v_lshlrev_b32_e32 v31, 24, v26
	v_bfrev_b32_e32 v33, 60
	v_and_b32_e32 v30, 0x700000, v30
	v_and_b32_e32 v31, 0x80000000, v31
	v_lshl_add_u32 v32, v32, 23, v33
	v_or3_b32 v30, v31, v32, v30
	v_lshrrev_b32_e32 v34, 16, v30
.LBB774_210:
	s_or_b64 exec, exec, s[26:27]
.LBB774_211:
	s_or_b64 exec, exec, s[24:25]
.LBB774_212:
	s_or_b64 exec, exec, s[14:15]
	v_lshrrev_b16_e32 v30, 8, v26
	v_cmp_ne_u16_e64 s[12:13], 0, v30
	v_mov_b32_e32 v35, 0
	v_mov_b32_e32 v33, 0
	s_and_saveexec_b64 s[14:15], s[12:13]
	s_cbranch_execz .LBB774_218
; %bb.213:
	s_movk_i32 s12, 0x80
	v_cmp_ne_u16_e64 s[12:13], s12, v30
	v_mov_b32_e32 v33, 0xffff8000
	s_and_saveexec_b64 s[24:25], s[12:13]
	s_cbranch_execz .LBB774_217
; %bb.214:
	s_movk_i32 s12, 0x7f
	v_and_b32_e32 v31, 0x7f, v30
	v_cmp_ne_u32_e64 s[12:13], s12, v31
	v_mov_b32_e32 v33, 0x7f80
	s_and_saveexec_b64 s[26:27], s[12:13]
	s_cbranch_execz .LBB774_216
; %bb.215:
	v_and_b32_e32 v36, 7, v30
	v_ffbh_u32_e32 v32, v36
	v_min_u32_e32 v38, 32, v32
	v_subrev_u32_e32 v32, 28, v38
	v_lshlrev_b64 v[32:33], v32, v[30:31]
	v_lshrrev_b32_e32 v37, 3, v31
	v_sub_u32_e32 v30, 29, v38
	v_and_b32_e32 v32, 7, v32
	v_cmp_gt_u32_e64 s[12:13], 8, v31
	v_cndmask_b32_e64 v30, v37, v30, s[12:13]
	v_cndmask_b32_e64 v31, v36, v32, s[12:13]
	v_lshlrev_b32_e32 v32, 16, v26
	v_bfrev_b32_e32 v33, 60
	v_lshlrev_b32_e32 v31, 20, v31
	v_and_b32_e32 v32, 0x80000000, v32
	v_lshl_add_u32 v30, v30, 23, v33
	v_or3_b32 v30, v32, v30, v31
	v_lshrrev_b32_e32 v33, 16, v30
.LBB774_216:
	s_or_b64 exec, exec, s[26:27]
.LBB774_217:
	s_or_b64 exec, exec, s[24:25]
.LBB774_218:
	s_or_b64 exec, exec, s[14:15]
	s_movk_i32 s12, 0xff
	v_and_b32_sdwa v31, v26, s12 dst_sel:DWORD dst_unused:UNUSED_PAD src0_sel:WORD_1 src1_sel:DWORD
	v_lshrrev_b32_e32 v30, 16, v26
	v_cmp_ne_u16_e64 s[12:13], 0, v31
	s_and_saveexec_b64 s[14:15], s[12:13]
	s_cbranch_execz .LBB774_224
; %bb.219:
	s_movk_i32 s12, 0x80
	v_cmp_ne_u16_e64 s[12:13], s12, v31
	v_mov_b32_e32 v35, 0xffff8000
	s_and_saveexec_b64 s[24:25], s[12:13]
	s_cbranch_execz .LBB774_223
; %bb.220:
	v_bfe_u32 v31, v26, 16, 7
	s_movk_i32 s12, 0x7f
	v_cmp_ne_u32_e64 s[12:13], s12, v31
	v_mov_b32_e32 v35, 0x7f80
	s_and_saveexec_b64 s[26:27], s[12:13]
	s_cbranch_execz .LBB774_222
; %bb.221:
	v_and_b32_e32 v32, 7, v30
	v_ffbh_u32_e32 v36, v32
	v_min_u32_e32 v38, 32, v36
	v_subrev_u32_e32 v36, 28, v38
	v_lshlrev_b64 v[36:37], v36, v[30:31]
	v_and_b32_e32 v36, 7, v36
	v_cmp_gt_u32_e64 s[12:13], 8, v31
	v_lshrrev_b32_e32 v35, 3, v31
	v_sub_u32_e32 v30, 29, v38
	v_cndmask_b32_e64 v31, v32, v36, s[12:13]
	v_mov_b32_e32 v32, 24
	v_cndmask_b32_e64 v30, v35, v30, s[12:13]
	v_lshlrev_b32_sdwa v32, v32, v26 dst_sel:DWORD dst_unused:UNUSED_PAD src0_sel:DWORD src1_sel:WORD_1
	v_bfrev_b32_e32 v35, 60
	v_lshlrev_b32_e32 v31, 20, v31
	v_and_b32_e32 v32, 0x80000000, v32
	v_lshl_add_u32 v30, v30, 23, v35
	v_or3_b32 v30, v32, v30, v31
	v_lshrrev_b32_e32 v35, 16, v30
.LBB774_222:
	s_or_b64 exec, exec, s[26:27]
.LBB774_223:
	s_or_b64 exec, exec, s[24:25]
.LBB774_224:
	s_or_b64 exec, exec, s[14:15]
	s_mov_b32 s12, 0xffffff
	v_cmp_lt_u32_e64 s[12:13], s12, v26
	v_mov_b32_e32 v31, 0
	v_mov_b32_e32 v36, 0
	s_and_saveexec_b64 s[14:15], s[12:13]
	s_cbranch_execz .LBB774_230
; %bb.225:
	v_lshrrev_b32_e32 v30, 24, v26
	s_movk_i32 s12, 0x80
	v_cmp_ne_u32_e64 s[12:13], s12, v30
	v_mov_b32_e32 v36, 0xffff8000
	s_and_saveexec_b64 s[24:25], s[12:13]
	s_cbranch_execz .LBB774_229
; %bb.226:
	v_bfe_u32 v32, v26, 24, 7
	s_movk_i32 s12, 0x7f
	v_cmp_ne_u32_e64 s[12:13], s12, v32
	v_mov_b32_e32 v36, 0x7f80
	s_and_saveexec_b64 s[26:27], s[12:13]
	s_cbranch_execz .LBB774_228
; %bb.227:
	v_and_b32_e32 v38, 7, v30
	v_ffbh_u32_e32 v36, v38
	v_min_u32_e32 v40, 32, v36
	v_subrev_u32_e32 v36, 28, v40
	v_lshlrev_b64 v[36:37], v36, v[30:31]
	v_lshrrev_b32_e32 v39, 3, v32
	v_sub_u32_e32 v37, 29, v40
	v_and_b32_e32 v36, 7, v36
	v_cmp_gt_u32_e64 s[12:13], 8, v32
	v_cndmask_b32_e64 v32, v39, v37, s[12:13]
	v_cndmask_b32_e64 v36, v38, v36, s[12:13]
	v_lshlrev_b32_e32 v30, 24, v30
	v_bfrev_b32_e32 v37, 60
	v_lshlrev_b32_e32 v36, 20, v36
	v_and_b32_e32 v30, 0x80000000, v30
	v_lshl_add_u32 v32, v32, 23, v37
	v_or3_b32 v30, v30, v32, v36
	v_lshrrev_b32_e32 v36, 16, v30
.LBB774_228:
	s_or_b64 exec, exec, s[26:27]
.LBB774_229:
	s_or_b64 exec, exec, s[24:25]
.LBB774_230:
	s_or_b64 exec, exec, s[14:15]
	v_mov_b32_e32 v30, v27
	v_cmp_ne_u16_sdwa s[12:13], v27, v31 src0_sel:BYTE_0 src1_sel:DWORD
	s_and_saveexec_b64 s[14:15], s[12:13]
	s_cbranch_execz .LBB774_236
; %bb.231:
	s_movk_i32 s12, 0x80
	v_cmp_ne_u16_sdwa s[12:13], v27, s12 src0_sel:BYTE_0 src1_sel:DWORD
	v_mov_b32_e32 v32, 0xffff8000
	s_and_saveexec_b64 s[24:25], s[12:13]
	s_cbranch_execz .LBB774_235
; %bb.232:
	s_movk_i32 s12, 0x7f
	v_and_b32_e32 v37, 0x7f, v27
	v_cmp_ne_u32_e64 s[12:13], s12, v37
	v_mov_b32_e32 v32, 0x7f80
	s_and_saveexec_b64 s[26:27], s[12:13]
	s_cbranch_execz .LBB774_234
; %bb.233:
	v_and_b32_e32 v32, 7, v27
	v_ffbh_u32_e32 v32, v32
	v_min_u32_e32 v32, 32, v32
	v_subrev_u32_e32 v39, 28, v32
	v_cmp_gt_u32_e64 s[12:13], 8, v37
	v_lshrrev_b32_e32 v38, 3, v37
	v_sub_u32_e32 v32, 29, v32
	v_cndmask_b32_e64 v37, 0, v39, s[12:13]
	v_cndmask_b32_e64 v32, v38, v32, s[12:13]
	v_lshlrev_b64 v[38:39], v37, v[30:31]
	v_lshlrev_b32_e32 v31, 20, v38
	v_lshlrev_b32_e32 v37, 24, v30
	v_bfrev_b32_e32 v38, 60
	v_and_b32_e32 v31, 0x700000, v31
	v_and_b32_e32 v37, 0x80000000, v37
	v_lshl_add_u32 v32, v32, 23, v38
	v_or3_b32 v31, v37, v32, v31
	v_lshrrev_b32_e32 v32, 16, v31
.LBB774_234:
	s_or_b64 exec, exec, s[26:27]
.LBB774_235:
	s_or_b64 exec, exec, s[24:25]
	v_mov_b32_e32 v31, v32
.LBB774_236:
	s_or_b64 exec, exec, s[14:15]
	v_lshrrev_b16_e32 v32, 8, v30
	v_cmp_ne_u16_e64 s[12:13], 0, v32
	v_mov_b32_e32 v38, 0
	v_mov_b32_e32 v37, 0
	s_and_saveexec_b64 s[14:15], s[12:13]
	s_cbranch_execz .LBB774_242
; %bb.237:
	s_movk_i32 s12, 0x80
	v_cmp_ne_u16_e64 s[12:13], s12, v32
	v_mov_b32_e32 v37, 0xffff8000
	s_and_saveexec_b64 s[24:25], s[12:13]
	s_cbranch_execz .LBB774_241
; %bb.238:
	s_movk_i32 s12, 0x7f
	v_and_b32_e32 v39, 0x7f, v32
	v_cmp_ne_u32_e64 s[12:13], s12, v39
	v_mov_b32_e32 v37, 0x7f80
	s_and_saveexec_b64 s[26:27], s[12:13]
	s_cbranch_execz .LBB774_240
; %bb.239:
	v_and_b32_e32 v37, 7, v32
	v_ffbh_u32_e32 v40, v37
	v_min_u32_e32 v46, 32, v40
	v_subrev_u32_e32 v40, 28, v46
	v_lshlrev_b64 v[40:41], v40, v[32:33]
	v_lshrrev_b32_e32 v45, 3, v39
	v_sub_u32_e32 v32, 29, v46
	v_and_b32_e32 v40, 7, v40
	v_cmp_gt_u32_e64 s[12:13], 8, v39
	v_cndmask_b32_e64 v32, v45, v32, s[12:13]
	v_cndmask_b32_e64 v37, v37, v40, s[12:13]
	v_lshlrev_b32_e32 v30, 16, v30
	v_bfrev_b32_e32 v39, 60
	v_lshlrev_b32_e32 v37, 20, v37
	v_and_b32_e32 v30, 0x80000000, v30
	v_lshl_add_u32 v32, v32, 23, v39
	v_or3_b32 v30, v30, v32, v37
	v_lshrrev_b32_e32 v37, 16, v30
.LBB774_240:
	s_or_b64 exec, exec, s[26:27]
.LBB774_241:
	s_or_b64 exec, exec, s[24:25]
.LBB774_242:
	s_or_b64 exec, exec, s[14:15]
	s_movk_i32 s12, 0xff
	v_and_b32_sdwa v32, v27, s12 dst_sel:DWORD dst_unused:UNUSED_PAD src0_sel:WORD_1 src1_sel:DWORD
	v_lshrrev_b32_e32 v30, 16, v27
	v_cmp_ne_u16_e64 s[12:13], 0, v32
	s_and_saveexec_b64 s[14:15], s[12:13]
	s_cbranch_execz .LBB774_248
; %bb.243:
	s_movk_i32 s12, 0x80
	v_cmp_ne_u16_e64 s[12:13], s12, v32
	v_mov_b32_e32 v38, 0xffff8000
	s_and_saveexec_b64 s[24:25], s[12:13]
	s_cbranch_execz .LBB774_247
; %bb.244:
	v_bfe_u32 v32, v27, 16, 7
	s_movk_i32 s12, 0x7f
	v_cmp_ne_u32_e64 s[12:13], s12, v32
	v_mov_b32_e32 v38, 0x7f80
	s_and_saveexec_b64 s[26:27], s[12:13]
	s_cbranch_execz .LBB774_246
; %bb.245:
	v_and_b32_e32 v40, 7, v30
	v_ffbh_u32_e32 v38, v40
	v_min_u32_e32 v45, 32, v38
	v_subrev_u32_e32 v38, 28, v45
	v_lshlrev_b64 v[38:39], v38, v[30:31]
	v_and_b32_e32 v38, 7, v38
	v_cmp_gt_u32_e64 s[12:13], 8, v32
	v_lshrrev_b32_e32 v41, 3, v32
	v_sub_u32_e32 v30, 29, v45
	v_cndmask_b32_e64 v32, v40, v38, s[12:13]
	v_mov_b32_e32 v38, 24
	v_cndmask_b32_e64 v30, v41, v30, s[12:13]
	v_lshlrev_b32_sdwa v38, v38, v27 dst_sel:DWORD dst_unused:UNUSED_PAD src0_sel:DWORD src1_sel:WORD_1
	v_bfrev_b32_e32 v39, 60
	v_lshlrev_b32_e32 v32, 20, v32
	v_and_b32_e32 v38, 0x80000000, v38
	v_lshl_add_u32 v30, v30, 23, v39
	v_or3_b32 v30, v38, v30, v32
	v_lshrrev_b32_e32 v38, 16, v30
.LBB774_246:
	s_or_b64 exec, exec, s[26:27]
.LBB774_247:
	s_or_b64 exec, exec, s[24:25]
.LBB774_248:
	s_or_b64 exec, exec, s[14:15]
	s_mov_b32 s12, -1
	s_mov_b32 s13, 0xffffff
	v_cmp_lt_u64_e64 s[12:13], s[12:13], v[26:27]
	v_mov_b32_e32 v32, 0
	v_mov_b32_e32 v30, 0
	s_and_saveexec_b64 s[14:15], s[12:13]
	s_cbranch_execz .LBB774_254
; %bb.249:
	v_lshrrev_b32_e32 v26, 24, v27
	s_movk_i32 s12, 0x80
	v_cmp_ne_u32_e64 s[12:13], s12, v26
	v_mov_b32_e32 v30, 0xffff8000
	s_and_saveexec_b64 s[24:25], s[12:13]
	s_cbranch_execz .LBB774_253
; %bb.250:
	v_bfe_u32 v27, v27, 24, 7
	s_movk_i32 s12, 0x7f
	v_cmp_ne_u32_e64 s[12:13], s12, v27
	v_mov_b32_e32 v30, 0x7f80
	s_and_saveexec_b64 s[26:27], s[12:13]
	s_cbranch_execz .LBB774_252
; %bb.251:
	v_and_b32_e32 v30, 7, v26
	v_ffbh_u32_e32 v40, v30
	v_min_u32_e32 v45, 32, v40
	v_subrev_u32_e32 v40, 28, v45
	v_lshlrev_b64 v[40:41], v40, v[26:27]
	v_lshrrev_b32_e32 v39, 3, v27
	v_sub_u32_e32 v41, 29, v45
	v_and_b32_e32 v40, 7, v40
	v_cmp_gt_u32_e64 s[12:13], 8, v27
	v_cndmask_b32_e64 v27, v39, v41, s[12:13]
	v_cndmask_b32_e64 v30, v30, v40, s[12:13]
	v_lshlrev_b32_e32 v26, 24, v26
	v_bfrev_b32_e32 v39, 60
	v_lshlrev_b32_e32 v30, 20, v30
	v_and_b32_e32 v26, 0x80000000, v26
	v_lshl_add_u32 v27, v27, 23, v39
	v_or3_b32 v26, v26, v27, v30
	v_lshrrev_b32_e32 v30, 16, v26
.LBB774_252:
	s_or_b64 exec, exec, s[26:27]
.LBB774_253:
	s_or_b64 exec, exec, s[24:25]
.LBB774_254:
	s_or_b64 exec, exec, s[14:15]
	s_mov_b32 s12, 0x5040100
	v_perm_b32 v27, v36, v35, s12
	v_perm_b32 v26, v33, v34, s12
	;; [unrolled: 1-line block ×4, first 2 shown]
	v_mfma_f32_4x4x4bf16_1k a[0:3], v[2:3], v[26:27], a[0:3] cbsz:4 abid:4
	v_cmp_ne_u16_sdwa s[12:13], v28, v32 src0_sel:BYTE_0 src1_sel:DWORD
	v_mfma_f32_4x4x4bf16_1k a[0:3], v[4:5], v[34:35], a[0:3] cbsz:4 abid:4
	s_and_saveexec_b64 s[14:15], s[12:13]
	s_cbranch_execz .LBB774_260
; %bb.255:
	s_movk_i32 s12, 0x80
	v_cmp_ne_u16_sdwa s[12:13], v28, s12 src0_sel:BYTE_0 src1_sel:DWORD
	v_mov_b32_e32 v32, 0xffff8000
	s_and_saveexec_b64 s[24:25], s[12:13]
	s_cbranch_execz .LBB774_259
; %bb.256:
	s_movk_i32 s12, 0x7f
	v_and_b32_e32 v26, 0x7f, v28
	v_cmp_ne_u32_e64 s[12:13], s12, v26
	v_mov_b32_e32 v32, 0x7f80
	s_and_saveexec_b64 s[26:27], s[12:13]
	s_cbranch_execz .LBB774_258
; %bb.257:
	v_and_b32_e32 v27, 7, v28
	v_ffbh_u32_e32 v27, v27
	v_min_u32_e32 v27, 32, v27
	v_subrev_u32_e32 v31, 28, v27
	v_cmp_gt_u32_e64 s[12:13], 8, v26
	v_lshrrev_b32_e32 v30, 3, v26
	v_sub_u32_e32 v27, 29, v27
	v_cndmask_b32_e64 v26, 0, v31, s[12:13]
	v_cndmask_b32_e64 v30, v30, v27, s[12:13]
	v_lshlrev_b64 v[26:27], v26, v[28:29]
	v_lshlrev_b32_e32 v26, 20, v26
	v_lshlrev_b32_e32 v27, 24, v28
	v_bfrev_b32_e32 v31, 60
	v_and_b32_e32 v26, 0x700000, v26
	v_and_b32_e32 v27, 0x80000000, v27
	v_lshl_add_u32 v30, v30, 23, v31
	v_or3_b32 v26, v27, v30, v26
	v_lshrrev_b32_e32 v32, 16, v26
.LBB774_258:
	s_or_b64 exec, exec, s[26:27]
.LBB774_259:
	s_or_b64 exec, exec, s[24:25]
.LBB774_260:
	s_or_b64 exec, exec, s[14:15]
	v_lshrrev_b16_e32 v26, 8, v28
	v_cmp_ne_u16_e64 s[12:13], 0, v26
	v_mov_b32_e32 v33, 0
	v_mov_b32_e32 v31, 0
	s_and_saveexec_b64 s[14:15], s[12:13]
	s_cbranch_execz .LBB774_266
; %bb.261:
	s_movk_i32 s12, 0x80
	v_cmp_ne_u16_e64 s[12:13], s12, v26
	v_mov_b32_e32 v31, 0xffff8000
	s_and_saveexec_b64 s[24:25], s[12:13]
	s_cbranch_execz .LBB774_265
; %bb.262:
	s_movk_i32 s12, 0x7f
	v_and_b32_e32 v27, 0x7f, v26
	v_cmp_ne_u32_e64 s[12:13], s12, v27
	v_mov_b32_e32 v31, 0x7f80
	s_and_saveexec_b64 s[26:27], s[12:13]
	s_cbranch_execz .LBB774_264
; %bb.263:
	v_and_b32_e32 v34, 7, v26
	v_ffbh_u32_e32 v30, v34
	v_min_u32_e32 v36, 32, v30
	v_subrev_u32_e32 v30, 28, v36
	v_lshlrev_b64 v[30:31], v30, v[26:27]
	v_lshrrev_b32_e32 v35, 3, v27
	v_sub_u32_e32 v26, 29, v36
	v_and_b32_e32 v30, 7, v30
	v_cmp_gt_u32_e64 s[12:13], 8, v27
	v_cndmask_b32_e64 v26, v35, v26, s[12:13]
	v_cndmask_b32_e64 v27, v34, v30, s[12:13]
	v_lshlrev_b32_e32 v30, 16, v28
	v_bfrev_b32_e32 v31, 60
	v_lshlrev_b32_e32 v27, 20, v27
	v_and_b32_e32 v30, 0x80000000, v30
	v_lshl_add_u32 v26, v26, 23, v31
	v_or3_b32 v26, v30, v26, v27
	v_lshrrev_b32_e32 v31, 16, v26
.LBB774_264:
	s_or_b64 exec, exec, s[26:27]
.LBB774_265:
	s_or_b64 exec, exec, s[24:25]
.LBB774_266:
	s_or_b64 exec, exec, s[14:15]
	s_movk_i32 s12, 0xff
	v_and_b32_sdwa v27, v28, s12 dst_sel:DWORD dst_unused:UNUSED_PAD src0_sel:WORD_1 src1_sel:DWORD
	v_lshrrev_b32_e32 v26, 16, v28
	v_cmp_ne_u16_e64 s[12:13], 0, v27
	s_and_saveexec_b64 s[14:15], s[12:13]
	s_cbranch_execz .LBB774_272
; %bb.267:
	s_movk_i32 s12, 0x80
	v_cmp_ne_u16_e64 s[12:13], s12, v27
	v_mov_b32_e32 v33, 0xffff8000
	s_and_saveexec_b64 s[24:25], s[12:13]
	s_cbranch_execz .LBB774_271
; %bb.268:
	v_bfe_u32 v27, v28, 16, 7
	s_movk_i32 s12, 0x7f
	v_cmp_ne_u32_e64 s[12:13], s12, v27
	v_mov_b32_e32 v33, 0x7f80
	s_and_saveexec_b64 s[26:27], s[12:13]
	s_cbranch_execz .LBB774_270
; %bb.269:
	v_and_b32_e32 v30, 7, v26
	v_ffbh_u32_e32 v34, v30
	v_min_u32_e32 v36, 32, v34
	v_subrev_u32_e32 v34, 28, v36
	v_lshlrev_b64 v[34:35], v34, v[26:27]
	v_and_b32_e32 v34, 7, v34
	v_cmp_gt_u32_e64 s[12:13], 8, v27
	v_lshrrev_b32_e32 v33, 3, v27
	v_sub_u32_e32 v26, 29, v36
	v_cndmask_b32_e64 v27, v30, v34, s[12:13]
	v_mov_b32_e32 v30, 24
	v_cndmask_b32_e64 v26, v33, v26, s[12:13]
	v_lshlrev_b32_sdwa v30, v30, v28 dst_sel:DWORD dst_unused:UNUSED_PAD src0_sel:DWORD src1_sel:WORD_1
	v_bfrev_b32_e32 v33, 60
	v_lshlrev_b32_e32 v27, 20, v27
	v_and_b32_e32 v30, 0x80000000, v30
	v_lshl_add_u32 v26, v26, 23, v33
	v_or3_b32 v26, v30, v26, v27
	v_lshrrev_b32_e32 v33, 16, v26
.LBB774_270:
	s_or_b64 exec, exec, s[26:27]
.LBB774_271:
	s_or_b64 exec, exec, s[24:25]
.LBB774_272:
	s_or_b64 exec, exec, s[14:15]
	s_mov_b32 s12, 0xffffff
	v_cmp_lt_u32_e64 s[12:13], s12, v28
	v_mov_b32_e32 v27, 0
	v_mov_b32_e32 v34, 0
	s_and_saveexec_b64 s[14:15], s[12:13]
	s_cbranch_execz .LBB774_278
; %bb.273:
	v_lshrrev_b32_e32 v26, 24, v28
	s_movk_i32 s12, 0x80
	v_cmp_ne_u32_e64 s[12:13], s12, v26
	v_mov_b32_e32 v34, 0xffff8000
	s_and_saveexec_b64 s[24:25], s[12:13]
	s_cbranch_execz .LBB774_277
; %bb.274:
	v_bfe_u32 v30, v28, 24, 7
	s_movk_i32 s12, 0x7f
	v_cmp_ne_u32_e64 s[12:13], s12, v30
	v_mov_b32_e32 v34, 0x7f80
	s_and_saveexec_b64 s[26:27], s[12:13]
	s_cbranch_execz .LBB774_276
; %bb.275:
	v_and_b32_e32 v36, 7, v26
	v_ffbh_u32_e32 v34, v36
	v_min_u32_e32 v38, 32, v34
	v_subrev_u32_e32 v34, 28, v38
	v_lshlrev_b64 v[34:35], v34, v[26:27]
	v_lshrrev_b32_e32 v37, 3, v30
	v_sub_u32_e32 v35, 29, v38
	v_and_b32_e32 v34, 7, v34
	v_cmp_gt_u32_e64 s[12:13], 8, v30
	v_cndmask_b32_e64 v30, v37, v35, s[12:13]
	v_cndmask_b32_e64 v34, v36, v34, s[12:13]
	v_lshlrev_b32_e32 v26, 24, v26
	v_bfrev_b32_e32 v35, 60
	v_lshlrev_b32_e32 v34, 20, v34
	v_and_b32_e32 v26, 0x80000000, v26
	v_lshl_add_u32 v30, v30, 23, v35
	v_or3_b32 v26, v26, v30, v34
	v_lshrrev_b32_e32 v34, 16, v26
.LBB774_276:
	s_or_b64 exec, exec, s[26:27]
.LBB774_277:
	s_or_b64 exec, exec, s[24:25]
.LBB774_278:
	s_or_b64 exec, exec, s[14:15]
	v_mov_b32_e32 v26, v29
	v_cmp_ne_u16_sdwa s[12:13], v29, v27 src0_sel:BYTE_0 src1_sel:DWORD
	s_and_saveexec_b64 s[14:15], s[12:13]
	s_cbranch_execz .LBB774_284
; %bb.279:
	s_movk_i32 s12, 0x80
	v_cmp_ne_u16_sdwa s[12:13], v29, s12 src0_sel:BYTE_0 src1_sel:DWORD
	v_mov_b32_e32 v30, 0xffff8000
	s_and_saveexec_b64 s[24:25], s[12:13]
	s_cbranch_execz .LBB774_283
; %bb.280:
	s_movk_i32 s12, 0x7f
	v_and_b32_e32 v35, 0x7f, v29
	v_cmp_ne_u32_e64 s[12:13], s12, v35
	v_mov_b32_e32 v30, 0x7f80
	s_and_saveexec_b64 s[26:27], s[12:13]
	s_cbranch_execz .LBB774_282
; %bb.281:
	v_and_b32_e32 v30, 7, v29
	v_ffbh_u32_e32 v30, v30
	v_min_u32_e32 v30, 32, v30
	v_subrev_u32_e32 v37, 28, v30
	v_cmp_gt_u32_e64 s[12:13], 8, v35
	v_lshrrev_b32_e32 v36, 3, v35
	v_sub_u32_e32 v30, 29, v30
	v_cndmask_b32_e64 v35, 0, v37, s[12:13]
	v_cndmask_b32_e64 v30, v36, v30, s[12:13]
	v_lshlrev_b64 v[36:37], v35, v[26:27]
	v_lshlrev_b32_e32 v27, 20, v36
	v_lshlrev_b32_e32 v35, 24, v26
	v_bfrev_b32_e32 v36, 60
	v_and_b32_e32 v27, 0x700000, v27
	v_and_b32_e32 v35, 0x80000000, v35
	v_lshl_add_u32 v30, v30, 23, v36
	v_or3_b32 v27, v35, v30, v27
	v_lshrrev_b32_e32 v30, 16, v27
.LBB774_282:
	s_or_b64 exec, exec, s[26:27]
.LBB774_283:
	s_or_b64 exec, exec, s[24:25]
	v_mov_b32_e32 v27, v30
.LBB774_284:
	s_or_b64 exec, exec, s[14:15]
	v_lshrrev_b16_e32 v30, 8, v26
	v_cmp_ne_u16_e64 s[12:13], 0, v30
	v_mov_b32_e32 v36, 0
	v_mov_b32_e32 v35, 0
	s_and_saveexec_b64 s[14:15], s[12:13]
	s_cbranch_execz .LBB774_290
; %bb.285:
	s_movk_i32 s12, 0x80
	v_cmp_ne_u16_e64 s[12:13], s12, v30
	v_mov_b32_e32 v35, 0xffff8000
	s_and_saveexec_b64 s[24:25], s[12:13]
	s_cbranch_execz .LBB774_289
; %bb.286:
	s_movk_i32 s12, 0x7f
	v_and_b32_e32 v37, 0x7f, v30
	v_cmp_ne_u32_e64 s[12:13], s12, v37
	v_mov_b32_e32 v35, 0x7f80
	s_and_saveexec_b64 s[26:27], s[12:13]
	s_cbranch_execz .LBB774_288
; %bb.287:
	v_and_b32_e32 v35, 7, v30
	v_ffbh_u32_e32 v38, v35
	v_min_u32_e32 v41, 32, v38
	v_subrev_u32_e32 v38, 28, v41
	v_lshlrev_b64 v[38:39], v38, v[30:31]
	v_lshrrev_b32_e32 v40, 3, v37
	v_sub_u32_e32 v30, 29, v41
	v_and_b32_e32 v38, 7, v38
	v_cmp_gt_u32_e64 s[12:13], 8, v37
	v_cndmask_b32_e64 v30, v40, v30, s[12:13]
	v_cndmask_b32_e64 v35, v35, v38, s[12:13]
	v_lshlrev_b32_e32 v26, 16, v26
	v_bfrev_b32_e32 v37, 60
	v_lshlrev_b32_e32 v35, 20, v35
	v_and_b32_e32 v26, 0x80000000, v26
	v_lshl_add_u32 v30, v30, 23, v37
	v_or3_b32 v26, v26, v30, v35
	v_lshrrev_b32_e32 v35, 16, v26
.LBB774_288:
	s_or_b64 exec, exec, s[26:27]
.LBB774_289:
	s_or_b64 exec, exec, s[24:25]
.LBB774_290:
	s_or_b64 exec, exec, s[14:15]
	s_movk_i32 s12, 0xff
	v_and_b32_sdwa v30, v29, s12 dst_sel:DWORD dst_unused:UNUSED_PAD src0_sel:WORD_1 src1_sel:DWORD
	v_lshrrev_b32_e32 v26, 16, v29
	v_cmp_ne_u16_e64 s[12:13], 0, v30
	s_and_saveexec_b64 s[14:15], s[12:13]
	s_cbranch_execz .LBB774_296
; %bb.291:
	s_movk_i32 s12, 0x80
	v_cmp_ne_u16_e64 s[12:13], s12, v30
	v_mov_b32_e32 v36, 0xffff8000
	s_and_saveexec_b64 s[24:25], s[12:13]
	s_cbranch_execz .LBB774_295
; %bb.292:
	v_bfe_u32 v30, v29, 16, 7
	s_movk_i32 s12, 0x7f
	v_cmp_ne_u32_e64 s[12:13], s12, v30
	v_mov_b32_e32 v36, 0x7f80
	s_and_saveexec_b64 s[26:27], s[12:13]
	s_cbranch_execz .LBB774_294
; %bb.293:
	v_and_b32_e32 v38, 7, v26
	v_ffbh_u32_e32 v36, v38
	v_min_u32_e32 v40, 32, v36
	v_subrev_u32_e32 v36, 28, v40
	v_lshlrev_b64 v[36:37], v36, v[26:27]
	v_and_b32_e32 v36, 7, v36
	v_cmp_gt_u32_e64 s[12:13], 8, v30
	v_lshrrev_b32_e32 v39, 3, v30
	v_sub_u32_e32 v26, 29, v40
	v_cndmask_b32_e64 v30, v38, v36, s[12:13]
	v_mov_b32_e32 v36, 24
	v_cndmask_b32_e64 v26, v39, v26, s[12:13]
	v_lshlrev_b32_sdwa v36, v36, v29 dst_sel:DWORD dst_unused:UNUSED_PAD src0_sel:DWORD src1_sel:WORD_1
	v_bfrev_b32_e32 v37, 60
	v_lshlrev_b32_e32 v30, 20, v30
	v_and_b32_e32 v36, 0x80000000, v36
	v_lshl_add_u32 v26, v26, 23, v37
	v_or3_b32 v26, v36, v26, v30
	v_lshrrev_b32_e32 v36, 16, v26
.LBB774_294:
	s_or_b64 exec, exec, s[26:27]
.LBB774_295:
	s_or_b64 exec, exec, s[24:25]
.LBB774_296:
	s_or_b64 exec, exec, s[14:15]
	s_mov_b32 s12, -1
	s_mov_b32 s13, 0xffffff
	v_cmp_lt_u64_e64 s[12:13], s[12:13], v[28:29]
	v_mov_b32_e32 v30, 0
	v_mov_b32_e32 v28, 0
	s_and_saveexec_b64 s[14:15], s[12:13]
	s_cbranch_execz .LBB774_302
; %bb.297:
	v_lshrrev_b32_e32 v26, 24, v29
	s_movk_i32 s12, 0x80
	v_cmp_ne_u32_e64 s[12:13], s12, v26
	v_mov_b32_e32 v28, 0xffff8000
	s_and_saveexec_b64 s[24:25], s[12:13]
	s_cbranch_execz .LBB774_301
; %bb.298:
	v_bfe_u32 v29, v29, 24, 7
	s_movk_i32 s12, 0x7f
	v_cmp_ne_u32_e64 s[12:13], s12, v29
	v_mov_b32_e32 v28, 0x7f80
	s_and_saveexec_b64 s[26:27], s[12:13]
	s_cbranch_execz .LBB774_300
; %bb.299:
	v_and_b32_e32 v28, 7, v26
	v_ffbh_u32_e32 v38, v28
	v_min_u32_e32 v40, 32, v38
	v_subrev_u32_e32 v38, 28, v40
	v_lshlrev_b64 v[38:39], v38, v[26:27]
	v_lshrrev_b32_e32 v37, 3, v29
	v_sub_u32_e32 v39, 29, v40
	v_and_b32_e32 v38, 7, v38
	v_cmp_gt_u32_e64 s[12:13], 8, v29
	v_cndmask_b32_e64 v29, v37, v39, s[12:13]
	v_cndmask_b32_e64 v28, v28, v38, s[12:13]
	v_lshlrev_b32_e32 v26, 24, v26
	v_bfrev_b32_e32 v37, 60
	v_lshlrev_b32_e32 v28, 20, v28
	v_and_b32_e32 v26, 0x80000000, v26
	v_lshl_add_u32 v29, v29, 23, v37
	v_or3_b32 v26, v26, v29, v28
	v_lshrrev_b32_e32 v28, 16, v26
.LBB774_300:
	s_or_b64 exec, exec, s[26:27]
.LBB774_301:
	s_or_b64 exec, exec, s[24:25]
.LBB774_302:
	s_or_b64 exec, exec, s[14:15]
	s_mov_b32 s12, 0x5040100
	v_perm_b32 v33, v34, v33, s12
	v_perm_b32 v32, v31, v32, s12
	;; [unrolled: 1-line block ×4, first 2 shown]
	v_mfma_f32_4x4x4bf16_1k a[0:3], v[2:3], v[32:33], a[0:3] cbsz:4 abid:5
	v_cmp_ne_u16_sdwa s[12:13], v22, v30 src0_sel:BYTE_0 src1_sel:DWORD
	v_mfma_f32_4x4x4bf16_1k a[0:3], v[4:5], v[28:29], a[0:3] cbsz:4 abid:5
	s_and_saveexec_b64 s[14:15], s[12:13]
	s_cbranch_execz .LBB774_308
; %bb.303:
	s_movk_i32 s12, 0x80
	v_cmp_ne_u16_sdwa s[12:13], v22, s12 src0_sel:BYTE_0 src1_sel:DWORD
	v_mov_b32_e32 v30, 0xffff8000
	s_and_saveexec_b64 s[24:25], s[12:13]
	s_cbranch_execz .LBB774_307
; %bb.304:
	s_movk_i32 s12, 0x7f
	v_and_b32_e32 v26, 0x7f, v22
	v_cmp_ne_u32_e64 s[12:13], s12, v26
	v_mov_b32_e32 v30, 0x7f80
	s_and_saveexec_b64 s[26:27], s[12:13]
	s_cbranch_execz .LBB774_306
; %bb.305:
	v_and_b32_e32 v27, 7, v22
	v_ffbh_u32_e32 v27, v27
	v_min_u32_e32 v27, 32, v27
	v_subrev_u32_e32 v29, 28, v27
	v_cmp_gt_u32_e64 s[12:13], 8, v26
	v_lshrrev_b32_e32 v28, 3, v26
	v_sub_u32_e32 v27, 29, v27
	v_cndmask_b32_e64 v26, 0, v29, s[12:13]
	v_cndmask_b32_e64 v28, v28, v27, s[12:13]
	v_lshlrev_b64 v[26:27], v26, v[22:23]
	v_lshlrev_b32_e32 v26, 20, v26
	v_lshlrev_b32_e32 v27, 24, v22
	v_bfrev_b32_e32 v29, 60
	v_and_b32_e32 v26, 0x700000, v26
	v_and_b32_e32 v27, 0x80000000, v27
	v_lshl_add_u32 v28, v28, 23, v29
	v_or3_b32 v26, v27, v28, v26
	v_lshrrev_b32_e32 v30, 16, v26
.LBB774_306:
	s_or_b64 exec, exec, s[26:27]
.LBB774_307:
	s_or_b64 exec, exec, s[24:25]
.LBB774_308:
	s_or_b64 exec, exec, s[14:15]
	v_lshrrev_b16_e32 v26, 8, v22
	v_cmp_ne_u16_e64 s[12:13], 0, v26
	v_mov_b32_e32 v31, 0
	v_mov_b32_e32 v29, 0
	s_and_saveexec_b64 s[14:15], s[12:13]
	s_cbranch_execz .LBB774_314
; %bb.309:
	s_movk_i32 s12, 0x80
	v_cmp_ne_u16_e64 s[12:13], s12, v26
	v_mov_b32_e32 v29, 0xffff8000
	s_and_saveexec_b64 s[24:25], s[12:13]
	s_cbranch_execz .LBB774_313
; %bb.310:
	s_movk_i32 s12, 0x7f
	v_and_b32_e32 v27, 0x7f, v26
	v_cmp_ne_u32_e64 s[12:13], s12, v27
	v_mov_b32_e32 v29, 0x7f80
	s_and_saveexec_b64 s[26:27], s[12:13]
	s_cbranch_execz .LBB774_312
; %bb.311:
	v_and_b32_e32 v32, 7, v26
	v_ffbh_u32_e32 v28, v32
	v_min_u32_e32 v34, 32, v28
	v_subrev_u32_e32 v28, 28, v34
	v_lshlrev_b64 v[28:29], v28, v[26:27]
	v_lshrrev_b32_e32 v33, 3, v27
	v_sub_u32_e32 v26, 29, v34
	v_and_b32_e32 v28, 7, v28
	v_cmp_gt_u32_e64 s[12:13], 8, v27
	v_cndmask_b32_e64 v26, v33, v26, s[12:13]
	v_cndmask_b32_e64 v27, v32, v28, s[12:13]
	v_lshlrev_b32_e32 v28, 16, v22
	v_bfrev_b32_e32 v29, 60
	v_lshlrev_b32_e32 v27, 20, v27
	v_and_b32_e32 v28, 0x80000000, v28
	v_lshl_add_u32 v26, v26, 23, v29
	v_or3_b32 v26, v28, v26, v27
	v_lshrrev_b32_e32 v29, 16, v26
.LBB774_312:
	s_or_b64 exec, exec, s[26:27]
.LBB774_313:
	s_or_b64 exec, exec, s[24:25]
.LBB774_314:
	s_or_b64 exec, exec, s[14:15]
	s_movk_i32 s12, 0xff
	v_and_b32_sdwa v27, v22, s12 dst_sel:DWORD dst_unused:UNUSED_PAD src0_sel:WORD_1 src1_sel:DWORD
	v_lshrrev_b32_e32 v26, 16, v22
	v_cmp_ne_u16_e64 s[12:13], 0, v27
	s_and_saveexec_b64 s[14:15], s[12:13]
	s_cbranch_execz .LBB774_320
; %bb.315:
	s_movk_i32 s12, 0x80
	v_cmp_ne_u16_e64 s[12:13], s12, v27
	v_mov_b32_e32 v31, 0xffff8000
	s_and_saveexec_b64 s[24:25], s[12:13]
	s_cbranch_execz .LBB774_319
; %bb.316:
	v_bfe_u32 v27, v22, 16, 7
	s_movk_i32 s12, 0x7f
	v_cmp_ne_u32_e64 s[12:13], s12, v27
	v_mov_b32_e32 v31, 0x7f80
	s_and_saveexec_b64 s[26:27], s[12:13]
	s_cbranch_execz .LBB774_318
; %bb.317:
	v_and_b32_e32 v28, 7, v26
	v_ffbh_u32_e32 v32, v28
	v_min_u32_e32 v34, 32, v32
	v_subrev_u32_e32 v32, 28, v34
	v_lshlrev_b64 v[32:33], v32, v[26:27]
	v_and_b32_e32 v32, 7, v32
	v_cmp_gt_u32_e64 s[12:13], 8, v27
	v_lshrrev_b32_e32 v31, 3, v27
	v_sub_u32_e32 v26, 29, v34
	v_cndmask_b32_e64 v27, v28, v32, s[12:13]
	v_mov_b32_e32 v28, 24
	v_cndmask_b32_e64 v26, v31, v26, s[12:13]
	v_lshlrev_b32_sdwa v28, v28, v22 dst_sel:DWORD dst_unused:UNUSED_PAD src0_sel:DWORD src1_sel:WORD_1
	v_bfrev_b32_e32 v31, 60
	v_lshlrev_b32_e32 v27, 20, v27
	v_and_b32_e32 v28, 0x80000000, v28
	v_lshl_add_u32 v26, v26, 23, v31
	v_or3_b32 v26, v28, v26, v27
	v_lshrrev_b32_e32 v31, 16, v26
.LBB774_318:
	s_or_b64 exec, exec, s[26:27]
.LBB774_319:
	s_or_b64 exec, exec, s[24:25]
.LBB774_320:
	s_or_b64 exec, exec, s[14:15]
	s_mov_b32 s12, 0xffffff
	v_cmp_lt_u32_e64 s[12:13], s12, v22
	v_mov_b32_e32 v27, 0
	v_mov_b32_e32 v32, 0
	s_and_saveexec_b64 s[14:15], s[12:13]
	s_cbranch_execz .LBB774_326
; %bb.321:
	v_lshrrev_b32_e32 v26, 24, v22
	s_movk_i32 s12, 0x80
	v_cmp_ne_u32_e64 s[12:13], s12, v26
	v_mov_b32_e32 v32, 0xffff8000
	s_and_saveexec_b64 s[24:25], s[12:13]
	s_cbranch_execz .LBB774_325
; %bb.322:
	v_bfe_u32 v28, v22, 24, 7
	s_movk_i32 s12, 0x7f
	v_cmp_ne_u32_e64 s[12:13], s12, v28
	v_mov_b32_e32 v32, 0x7f80
	s_and_saveexec_b64 s[26:27], s[12:13]
	s_cbranch_execz .LBB774_324
; %bb.323:
	v_and_b32_e32 v34, 7, v26
	v_ffbh_u32_e32 v32, v34
	v_min_u32_e32 v36, 32, v32
	v_subrev_u32_e32 v32, 28, v36
	v_lshlrev_b64 v[32:33], v32, v[26:27]
	v_lshrrev_b32_e32 v35, 3, v28
	v_sub_u32_e32 v33, 29, v36
	v_and_b32_e32 v32, 7, v32
	v_cmp_gt_u32_e64 s[12:13], 8, v28
	v_cndmask_b32_e64 v28, v35, v33, s[12:13]
	v_cndmask_b32_e64 v32, v34, v32, s[12:13]
	v_lshlrev_b32_e32 v26, 24, v26
	v_bfrev_b32_e32 v33, 60
	v_lshlrev_b32_e32 v32, 20, v32
	v_and_b32_e32 v26, 0x80000000, v26
	v_lshl_add_u32 v28, v28, 23, v33
	v_or3_b32 v26, v26, v28, v32
	v_lshrrev_b32_e32 v32, 16, v26
.LBB774_324:
	s_or_b64 exec, exec, s[26:27]
.LBB774_325:
	s_or_b64 exec, exec, s[24:25]
.LBB774_326:
	s_or_b64 exec, exec, s[14:15]
	v_mov_b32_e32 v26, v23
	v_cmp_ne_u16_sdwa s[12:13], v23, v27 src0_sel:BYTE_0 src1_sel:DWORD
	s_and_saveexec_b64 s[14:15], s[12:13]
	s_cbranch_execz .LBB774_332
; %bb.327:
	s_movk_i32 s12, 0x80
	v_cmp_ne_u16_sdwa s[12:13], v23, s12 src0_sel:BYTE_0 src1_sel:DWORD
	v_mov_b32_e32 v28, 0xffff8000
	s_and_saveexec_b64 s[24:25], s[12:13]
	s_cbranch_execz .LBB774_331
; %bb.328:
	s_movk_i32 s12, 0x7f
	v_and_b32_e32 v33, 0x7f, v23
	v_cmp_ne_u32_e64 s[12:13], s12, v33
	v_mov_b32_e32 v28, 0x7f80
	s_and_saveexec_b64 s[26:27], s[12:13]
	s_cbranch_execz .LBB774_330
; %bb.329:
	v_and_b32_e32 v28, 7, v23
	v_ffbh_u32_e32 v28, v28
	v_min_u32_e32 v28, 32, v28
	v_subrev_u32_e32 v35, 28, v28
	v_cmp_gt_u32_e64 s[12:13], 8, v33
	v_lshrrev_b32_e32 v34, 3, v33
	v_sub_u32_e32 v28, 29, v28
	v_cndmask_b32_e64 v33, 0, v35, s[12:13]
	v_cndmask_b32_e64 v28, v34, v28, s[12:13]
	v_lshlrev_b64 v[34:35], v33, v[26:27]
	v_lshlrev_b32_e32 v27, 20, v34
	v_lshlrev_b32_e32 v33, 24, v26
	v_bfrev_b32_e32 v34, 60
	v_and_b32_e32 v27, 0x700000, v27
	v_and_b32_e32 v33, 0x80000000, v33
	v_lshl_add_u32 v28, v28, 23, v34
	v_or3_b32 v27, v33, v28, v27
	v_lshrrev_b32_e32 v28, 16, v27
.LBB774_330:
	s_or_b64 exec, exec, s[26:27]
.LBB774_331:
	s_or_b64 exec, exec, s[24:25]
	v_mov_b32_e32 v27, v28
.LBB774_332:
	s_or_b64 exec, exec, s[14:15]
	v_lshrrev_b16_e32 v28, 8, v26
	v_cmp_ne_u16_e64 s[12:13], 0, v28
	v_mov_b32_e32 v34, 0
	v_mov_b32_e32 v33, 0
	s_and_saveexec_b64 s[14:15], s[12:13]
	s_cbranch_execz .LBB774_338
; %bb.333:
	s_movk_i32 s12, 0x80
	v_cmp_ne_u16_e64 s[12:13], s12, v28
	v_mov_b32_e32 v33, 0xffff8000
	s_and_saveexec_b64 s[24:25], s[12:13]
	s_cbranch_execz .LBB774_337
; %bb.334:
	s_movk_i32 s12, 0x7f
	v_and_b32_e32 v35, 0x7f, v28
	v_cmp_ne_u32_e64 s[12:13], s12, v35
	v_mov_b32_e32 v33, 0x7f80
	s_and_saveexec_b64 s[26:27], s[12:13]
	s_cbranch_execz .LBB774_336
; %bb.335:
	v_and_b32_e32 v33, 7, v28
	v_ffbh_u32_e32 v36, v33
	v_min_u32_e32 v39, 32, v36
	v_subrev_u32_e32 v36, 28, v39
	v_lshlrev_b64 v[36:37], v36, v[28:29]
	v_lshrrev_b32_e32 v38, 3, v35
	v_sub_u32_e32 v28, 29, v39
	v_and_b32_e32 v36, 7, v36
	v_cmp_gt_u32_e64 s[12:13], 8, v35
	v_cndmask_b32_e64 v28, v38, v28, s[12:13]
	v_cndmask_b32_e64 v33, v33, v36, s[12:13]
	v_lshlrev_b32_e32 v26, 16, v26
	v_bfrev_b32_e32 v35, 60
	v_lshlrev_b32_e32 v33, 20, v33
	v_and_b32_e32 v26, 0x80000000, v26
	v_lshl_add_u32 v28, v28, 23, v35
	v_or3_b32 v26, v26, v28, v33
	v_lshrrev_b32_e32 v33, 16, v26
.LBB774_336:
	s_or_b64 exec, exec, s[26:27]
.LBB774_337:
	s_or_b64 exec, exec, s[24:25]
.LBB774_338:
	s_or_b64 exec, exec, s[14:15]
	s_movk_i32 s12, 0xff
	v_and_b32_sdwa v28, v23, s12 dst_sel:DWORD dst_unused:UNUSED_PAD src0_sel:WORD_1 src1_sel:DWORD
	v_lshrrev_b32_e32 v26, 16, v23
	v_cmp_ne_u16_e64 s[12:13], 0, v28
	s_and_saveexec_b64 s[14:15], s[12:13]
	s_cbranch_execz .LBB774_344
; %bb.339:
	s_movk_i32 s12, 0x80
	v_cmp_ne_u16_e64 s[12:13], s12, v28
	v_mov_b32_e32 v34, 0xffff8000
	s_and_saveexec_b64 s[24:25], s[12:13]
	s_cbranch_execz .LBB774_343
; %bb.340:
	v_bfe_u32 v28, v23, 16, 7
	s_movk_i32 s12, 0x7f
	v_cmp_ne_u32_e64 s[12:13], s12, v28
	v_mov_b32_e32 v34, 0x7f80
	s_and_saveexec_b64 s[26:27], s[12:13]
	s_cbranch_execz .LBB774_342
; %bb.341:
	v_and_b32_e32 v36, 7, v26
	v_ffbh_u32_e32 v34, v36
	v_min_u32_e32 v38, 32, v34
	v_subrev_u32_e32 v34, 28, v38
	v_lshlrev_b64 v[34:35], v34, v[26:27]
	v_and_b32_e32 v34, 7, v34
	v_cmp_gt_u32_e64 s[12:13], 8, v28
	v_lshrrev_b32_e32 v37, 3, v28
	v_sub_u32_e32 v26, 29, v38
	v_cndmask_b32_e64 v28, v36, v34, s[12:13]
	v_mov_b32_e32 v34, 24
	v_cndmask_b32_e64 v26, v37, v26, s[12:13]
	v_lshlrev_b32_sdwa v34, v34, v23 dst_sel:DWORD dst_unused:UNUSED_PAD src0_sel:DWORD src1_sel:WORD_1
	v_bfrev_b32_e32 v35, 60
	v_lshlrev_b32_e32 v28, 20, v28
	v_and_b32_e32 v34, 0x80000000, v34
	v_lshl_add_u32 v26, v26, 23, v35
	v_or3_b32 v26, v34, v26, v28
	v_lshrrev_b32_e32 v34, 16, v26
.LBB774_342:
	s_or_b64 exec, exec, s[26:27]
.LBB774_343:
	s_or_b64 exec, exec, s[24:25]
.LBB774_344:
	s_or_b64 exec, exec, s[14:15]
	s_mov_b32 s12, -1
	s_mov_b32 s13, 0xffffff
	v_cmp_lt_u64_e64 s[12:13], s[12:13], v[22:23]
	v_mov_b32_e32 v28, 0
	v_mov_b32_e32 v26, 0
	s_and_saveexec_b64 s[14:15], s[12:13]
	s_cbranch_execz .LBB774_350
; %bb.345:
	v_lshrrev_b32_e32 v22, 24, v23
	s_movk_i32 s12, 0x80
	v_cmp_ne_u32_e64 s[12:13], s12, v22
	v_mov_b32_e32 v26, 0xffff8000
	s_and_saveexec_b64 s[24:25], s[12:13]
	s_cbranch_execz .LBB774_349
; %bb.346:
	v_bfe_u32 v23, v23, 24, 7
	s_movk_i32 s12, 0x7f
	v_cmp_ne_u32_e64 s[12:13], s12, v23
	v_mov_b32_e32 v26, 0x7f80
	s_and_saveexec_b64 s[26:27], s[12:13]
	s_cbranch_execz .LBB774_348
; %bb.347:
	v_and_b32_e32 v26, 7, v22
	v_ffbh_u32_e32 v36, v26
	v_min_u32_e32 v38, 32, v36
	v_subrev_u32_e32 v36, 28, v38
	v_lshlrev_b64 v[36:37], v36, v[22:23]
	v_lshrrev_b32_e32 v35, 3, v23
	v_sub_u32_e32 v37, 29, v38
	v_and_b32_e32 v36, 7, v36
	v_cmp_gt_u32_e64 s[12:13], 8, v23
	v_cndmask_b32_e64 v23, v35, v37, s[12:13]
	v_cndmask_b32_e64 v26, v26, v36, s[12:13]
	v_lshlrev_b32_e32 v22, 24, v22
	v_bfrev_b32_e32 v35, 60
	v_lshlrev_b32_e32 v26, 20, v26
	v_and_b32_e32 v22, 0x80000000, v22
	v_lshl_add_u32 v23, v23, 23, v35
	v_or3_b32 v22, v22, v23, v26
	v_lshrrev_b32_e32 v26, 16, v22
.LBB774_348:
	s_or_b64 exec, exec, s[26:27]
.LBB774_349:
	s_or_b64 exec, exec, s[24:25]
.LBB774_350:
	s_or_b64 exec, exec, s[14:15]
	s_mov_b32 s12, 0x5040100
	v_perm_b32 v23, v32, v31, s12
	v_perm_b32 v22, v29, v30, s12
	;; [unrolled: 1-line block ×4, first 2 shown]
	v_mfma_f32_4x4x4bf16_1k a[0:3], v[2:3], v[22:23], a[0:3] cbsz:4 abid:6
	v_cmp_ne_u16_sdwa s[12:13], v24, v28 src0_sel:BYTE_0 src1_sel:DWORD
	v_mfma_f32_4x4x4bf16_1k a[0:3], v[4:5], v[30:31], a[0:3] cbsz:4 abid:6
	s_and_saveexec_b64 s[14:15], s[12:13]
	s_cbranch_execz .LBB774_356
; %bb.351:
	s_movk_i32 s12, 0x80
	v_cmp_ne_u16_sdwa s[12:13], v24, s12 src0_sel:BYTE_0 src1_sel:DWORD
	v_mov_b32_e32 v28, 0xffff8000
	s_and_saveexec_b64 s[24:25], s[12:13]
	s_cbranch_execz .LBB774_355
; %bb.352:
	s_movk_i32 s12, 0x7f
	v_and_b32_e32 v22, 0x7f, v24
	v_cmp_ne_u32_e64 s[12:13], s12, v22
	v_mov_b32_e32 v28, 0x7f80
	s_and_saveexec_b64 s[26:27], s[12:13]
	s_cbranch_execz .LBB774_354
; %bb.353:
	v_and_b32_e32 v23, 7, v24
	v_ffbh_u32_e32 v23, v23
	v_min_u32_e32 v23, 32, v23
	v_subrev_u32_e32 v27, 28, v23
	v_cmp_gt_u32_e64 s[12:13], 8, v22
	v_lshrrev_b32_e32 v26, 3, v22
	v_sub_u32_e32 v23, 29, v23
	v_cndmask_b32_e64 v22, 0, v27, s[12:13]
	v_cndmask_b32_e64 v26, v26, v23, s[12:13]
	v_lshlrev_b64 v[22:23], v22, v[24:25]
	v_lshlrev_b32_e32 v22, 20, v22
	v_lshlrev_b32_e32 v23, 24, v24
	v_bfrev_b32_e32 v27, 60
	v_and_b32_e32 v22, 0x700000, v22
	v_and_b32_e32 v23, 0x80000000, v23
	v_lshl_add_u32 v26, v26, 23, v27
	v_or3_b32 v22, v23, v26, v22
	v_lshrrev_b32_e32 v28, 16, v22
.LBB774_354:
	s_or_b64 exec, exec, s[26:27]
.LBB774_355:
	s_or_b64 exec, exec, s[24:25]
.LBB774_356:
	s_or_b64 exec, exec, s[14:15]
	v_lshrrev_b16_e32 v22, 8, v24
	v_cmp_ne_u16_e64 s[12:13], 0, v22
	v_mov_b32_e32 v29, 0
	v_mov_b32_e32 v27, 0
	s_and_saveexec_b64 s[14:15], s[12:13]
	s_cbranch_execz .LBB774_362
; %bb.357:
	s_movk_i32 s12, 0x80
	v_cmp_ne_u16_e64 s[12:13], s12, v22
	v_mov_b32_e32 v27, 0xffff8000
	s_and_saveexec_b64 s[24:25], s[12:13]
	s_cbranch_execz .LBB774_361
; %bb.358:
	s_movk_i32 s12, 0x7f
	v_and_b32_e32 v23, 0x7f, v22
	v_cmp_ne_u32_e64 s[12:13], s12, v23
	v_mov_b32_e32 v27, 0x7f80
	s_and_saveexec_b64 s[26:27], s[12:13]
	s_cbranch_execz .LBB774_360
; %bb.359:
	v_and_b32_e32 v30, 7, v22
	v_ffbh_u32_e32 v26, v30
	v_min_u32_e32 v32, 32, v26
	v_subrev_u32_e32 v26, 28, v32
	v_lshlrev_b64 v[26:27], v26, v[22:23]
	v_lshrrev_b32_e32 v31, 3, v23
	v_sub_u32_e32 v22, 29, v32
	v_and_b32_e32 v26, 7, v26
	v_cmp_gt_u32_e64 s[12:13], 8, v23
	v_cndmask_b32_e64 v22, v31, v22, s[12:13]
	v_cndmask_b32_e64 v23, v30, v26, s[12:13]
	v_lshlrev_b32_e32 v26, 16, v24
	v_bfrev_b32_e32 v27, 60
	v_lshlrev_b32_e32 v23, 20, v23
	v_and_b32_e32 v26, 0x80000000, v26
	v_lshl_add_u32 v22, v22, 23, v27
	v_or3_b32 v22, v26, v22, v23
	v_lshrrev_b32_e32 v27, 16, v22
.LBB774_360:
	s_or_b64 exec, exec, s[26:27]
.LBB774_361:
	s_or_b64 exec, exec, s[24:25]
.LBB774_362:
	s_or_b64 exec, exec, s[14:15]
	s_movk_i32 s12, 0xff
	v_and_b32_sdwa v23, v24, s12 dst_sel:DWORD dst_unused:UNUSED_PAD src0_sel:WORD_1 src1_sel:DWORD
	v_lshrrev_b32_e32 v22, 16, v24
	v_cmp_ne_u16_e64 s[12:13], 0, v23
	s_and_saveexec_b64 s[14:15], s[12:13]
	s_cbranch_execz .LBB774_368
; %bb.363:
	s_movk_i32 s12, 0x80
	v_cmp_ne_u16_e64 s[12:13], s12, v23
	v_mov_b32_e32 v29, 0xffff8000
	s_and_saveexec_b64 s[24:25], s[12:13]
	s_cbranch_execz .LBB774_367
; %bb.364:
	v_bfe_u32 v23, v24, 16, 7
	s_movk_i32 s12, 0x7f
	v_cmp_ne_u32_e64 s[12:13], s12, v23
	v_mov_b32_e32 v29, 0x7f80
	s_and_saveexec_b64 s[26:27], s[12:13]
	s_cbranch_execz .LBB774_366
; %bb.365:
	v_and_b32_e32 v26, 7, v22
	v_ffbh_u32_e32 v30, v26
	v_min_u32_e32 v32, 32, v30
	v_subrev_u32_e32 v30, 28, v32
	v_lshlrev_b64 v[30:31], v30, v[22:23]
	v_and_b32_e32 v30, 7, v30
	v_cmp_gt_u32_e64 s[12:13], 8, v23
	v_lshrrev_b32_e32 v29, 3, v23
	v_sub_u32_e32 v22, 29, v32
	v_cndmask_b32_e64 v23, v26, v30, s[12:13]
	v_mov_b32_e32 v26, 24
	v_cndmask_b32_e64 v22, v29, v22, s[12:13]
	v_lshlrev_b32_sdwa v26, v26, v24 dst_sel:DWORD dst_unused:UNUSED_PAD src0_sel:DWORD src1_sel:WORD_1
	v_bfrev_b32_e32 v29, 60
	v_lshlrev_b32_e32 v23, 20, v23
	v_and_b32_e32 v26, 0x80000000, v26
	v_lshl_add_u32 v22, v22, 23, v29
	v_or3_b32 v22, v26, v22, v23
	v_lshrrev_b32_e32 v29, 16, v22
.LBB774_366:
	s_or_b64 exec, exec, s[26:27]
.LBB774_367:
	s_or_b64 exec, exec, s[24:25]
.LBB774_368:
	s_or_b64 exec, exec, s[14:15]
	s_mov_b32 s12, 0xffffff
	v_cmp_lt_u32_e64 s[12:13], s12, v24
	v_mov_b32_e32 v23, 0
	v_mov_b32_e32 v30, 0
	s_and_saveexec_b64 s[14:15], s[12:13]
	s_cbranch_execz .LBB774_374
; %bb.369:
	v_lshrrev_b32_e32 v22, 24, v24
	s_movk_i32 s12, 0x80
	v_cmp_ne_u32_e64 s[12:13], s12, v22
	v_mov_b32_e32 v30, 0xffff8000
	s_and_saveexec_b64 s[24:25], s[12:13]
	s_cbranch_execz .LBB774_373
; %bb.370:
	v_bfe_u32 v26, v24, 24, 7
	s_movk_i32 s12, 0x7f
	v_cmp_ne_u32_e64 s[12:13], s12, v26
	v_mov_b32_e32 v30, 0x7f80
	s_and_saveexec_b64 s[26:27], s[12:13]
	s_cbranch_execz .LBB774_372
; %bb.371:
	v_and_b32_e32 v32, 7, v22
	v_ffbh_u32_e32 v30, v32
	v_min_u32_e32 v34, 32, v30
	v_subrev_u32_e32 v30, 28, v34
	v_lshlrev_b64 v[30:31], v30, v[22:23]
	v_lshrrev_b32_e32 v33, 3, v26
	v_sub_u32_e32 v31, 29, v34
	v_and_b32_e32 v30, 7, v30
	v_cmp_gt_u32_e64 s[12:13], 8, v26
	v_cndmask_b32_e64 v26, v33, v31, s[12:13]
	v_cndmask_b32_e64 v30, v32, v30, s[12:13]
	v_lshlrev_b32_e32 v22, 24, v22
	v_bfrev_b32_e32 v31, 60
	v_lshlrev_b32_e32 v30, 20, v30
	v_and_b32_e32 v22, 0x80000000, v22
	v_lshl_add_u32 v26, v26, 23, v31
	v_or3_b32 v22, v22, v26, v30
	v_lshrrev_b32_e32 v30, 16, v22
.LBB774_372:
	s_or_b64 exec, exec, s[26:27]
.LBB774_373:
	s_or_b64 exec, exec, s[24:25]
.LBB774_374:
	s_or_b64 exec, exec, s[14:15]
	v_mov_b32_e32 v22, v25
	v_cmp_ne_u16_sdwa s[12:13], v25, v23 src0_sel:BYTE_0 src1_sel:DWORD
	s_and_saveexec_b64 s[14:15], s[12:13]
	s_cbranch_execz .LBB774_380
; %bb.375:
	s_movk_i32 s12, 0x80
	v_cmp_ne_u16_sdwa s[12:13], v25, s12 src0_sel:BYTE_0 src1_sel:DWORD
	v_mov_b32_e32 v26, 0xffff8000
	s_and_saveexec_b64 s[24:25], s[12:13]
	s_cbranch_execz .LBB774_379
; %bb.376:
	s_movk_i32 s12, 0x7f
	v_and_b32_e32 v31, 0x7f, v25
	v_cmp_ne_u32_e64 s[12:13], s12, v31
	v_mov_b32_e32 v26, 0x7f80
	s_and_saveexec_b64 s[26:27], s[12:13]
	s_cbranch_execz .LBB774_378
; %bb.377:
	v_and_b32_e32 v26, 7, v25
	v_ffbh_u32_e32 v26, v26
	v_min_u32_e32 v26, 32, v26
	v_subrev_u32_e32 v33, 28, v26
	v_cmp_gt_u32_e64 s[12:13], 8, v31
	v_lshrrev_b32_e32 v32, 3, v31
	v_sub_u32_e32 v26, 29, v26
	v_cndmask_b32_e64 v31, 0, v33, s[12:13]
	v_cndmask_b32_e64 v26, v32, v26, s[12:13]
	v_lshlrev_b64 v[32:33], v31, v[22:23]
	v_lshlrev_b32_e32 v23, 20, v32
	v_lshlrev_b32_e32 v31, 24, v22
	v_bfrev_b32_e32 v32, 60
	v_and_b32_e32 v23, 0x700000, v23
	v_and_b32_e32 v31, 0x80000000, v31
	v_lshl_add_u32 v26, v26, 23, v32
	v_or3_b32 v23, v31, v26, v23
	v_lshrrev_b32_e32 v26, 16, v23
.LBB774_378:
	s_or_b64 exec, exec, s[26:27]
.LBB774_379:
	s_or_b64 exec, exec, s[24:25]
	v_mov_b32_e32 v23, v26
.LBB774_380:
	s_or_b64 exec, exec, s[14:15]
	v_lshrrev_b16_e32 v26, 8, v22
	v_cmp_ne_u16_e64 s[12:13], 0, v26
	v_mov_b32_e32 v32, 0
	v_mov_b32_e32 v31, 0
	s_and_saveexec_b64 s[14:15], s[12:13]
	s_cbranch_execz .LBB774_386
; %bb.381:
	s_movk_i32 s12, 0x80
	v_cmp_ne_u16_e64 s[12:13], s12, v26
	v_mov_b32_e32 v31, 0xffff8000
	s_and_saveexec_b64 s[24:25], s[12:13]
	s_cbranch_execz .LBB774_385
; %bb.382:
	s_movk_i32 s12, 0x7f
	v_and_b32_e32 v33, 0x7f, v26
	v_cmp_ne_u32_e64 s[12:13], s12, v33
	v_mov_b32_e32 v31, 0x7f80
	s_and_saveexec_b64 s[26:27], s[12:13]
	s_cbranch_execz .LBB774_384
; %bb.383:
	v_and_b32_e32 v31, 7, v26
	v_ffbh_u32_e32 v34, v31
	v_min_u32_e32 v37, 32, v34
	v_subrev_u32_e32 v34, 28, v37
	v_lshlrev_b64 v[34:35], v34, v[26:27]
	v_lshrrev_b32_e32 v36, 3, v33
	v_sub_u32_e32 v26, 29, v37
	v_and_b32_e32 v34, 7, v34
	v_cmp_gt_u32_e64 s[12:13], 8, v33
	v_cndmask_b32_e64 v26, v36, v26, s[12:13]
	v_cndmask_b32_e64 v31, v31, v34, s[12:13]
	v_lshlrev_b32_e32 v22, 16, v22
	v_bfrev_b32_e32 v33, 60
	v_lshlrev_b32_e32 v31, 20, v31
	v_and_b32_e32 v22, 0x80000000, v22
	v_lshl_add_u32 v26, v26, 23, v33
	v_or3_b32 v22, v22, v26, v31
	v_lshrrev_b32_e32 v31, 16, v22
.LBB774_384:
	s_or_b64 exec, exec, s[26:27]
.LBB774_385:
	s_or_b64 exec, exec, s[24:25]
.LBB774_386:
	s_or_b64 exec, exec, s[14:15]
	s_movk_i32 s12, 0xff
	v_and_b32_sdwa v26, v25, s12 dst_sel:DWORD dst_unused:UNUSED_PAD src0_sel:WORD_1 src1_sel:DWORD
	v_lshrrev_b32_e32 v22, 16, v25
	v_cmp_ne_u16_e64 s[12:13], 0, v26
	s_and_saveexec_b64 s[14:15], s[12:13]
	s_cbranch_execz .LBB774_392
; %bb.387:
	s_movk_i32 s12, 0x80
	v_cmp_ne_u16_e64 s[12:13], s12, v26
	v_mov_b32_e32 v32, 0xffff8000
	s_and_saveexec_b64 s[24:25], s[12:13]
	s_cbranch_execz .LBB774_391
; %bb.388:
	v_bfe_u32 v26, v25, 16, 7
	s_movk_i32 s12, 0x7f
	v_cmp_ne_u32_e64 s[12:13], s12, v26
	v_mov_b32_e32 v32, 0x7f80
	s_and_saveexec_b64 s[26:27], s[12:13]
	s_cbranch_execz .LBB774_390
; %bb.389:
	v_and_b32_e32 v34, 7, v22
	v_ffbh_u32_e32 v32, v34
	v_min_u32_e32 v36, 32, v32
	v_subrev_u32_e32 v32, 28, v36
	v_lshlrev_b64 v[32:33], v32, v[22:23]
	v_and_b32_e32 v32, 7, v32
	v_cmp_gt_u32_e64 s[12:13], 8, v26
	v_lshrrev_b32_e32 v35, 3, v26
	v_sub_u32_e32 v22, 29, v36
	v_cndmask_b32_e64 v26, v34, v32, s[12:13]
	v_mov_b32_e32 v32, 24
	v_cndmask_b32_e64 v22, v35, v22, s[12:13]
	v_lshlrev_b32_sdwa v32, v32, v25 dst_sel:DWORD dst_unused:UNUSED_PAD src0_sel:DWORD src1_sel:WORD_1
	v_bfrev_b32_e32 v33, 60
	v_lshlrev_b32_e32 v26, 20, v26
	v_and_b32_e32 v32, 0x80000000, v32
	v_lshl_add_u32 v22, v22, 23, v33
	v_or3_b32 v22, v32, v22, v26
	v_lshrrev_b32_e32 v32, 16, v22
.LBB774_390:
	s_or_b64 exec, exec, s[26:27]
.LBB774_391:
	s_or_b64 exec, exec, s[24:25]
.LBB774_392:
	s_or_b64 exec, exec, s[14:15]
	s_mov_b32 s12, -1
	s_mov_b32 s13, 0xffffff
	v_cmp_lt_u64_e64 s[12:13], s[12:13], v[24:25]
	v_mov_b32_e32 v26, 0
	v_mov_b32_e32 v24, 0
	s_and_saveexec_b64 s[14:15], s[12:13]
	s_cbranch_execz .LBB774_398
; %bb.393:
	v_lshrrev_b32_e32 v22, 24, v25
	s_movk_i32 s12, 0x80
	v_cmp_ne_u32_e64 s[12:13], s12, v22
	v_mov_b32_e32 v24, 0xffff8000
	s_and_saveexec_b64 s[24:25], s[12:13]
	s_cbranch_execz .LBB774_397
; %bb.394:
	v_bfe_u32 v25, v25, 24, 7
	s_movk_i32 s12, 0x7f
	v_cmp_ne_u32_e64 s[12:13], s12, v25
	v_mov_b32_e32 v24, 0x7f80
	s_and_saveexec_b64 s[26:27], s[12:13]
	s_cbranch_execz .LBB774_396
; %bb.395:
	v_and_b32_e32 v24, 7, v22
	v_ffbh_u32_e32 v34, v24
	v_min_u32_e32 v36, 32, v34
	v_subrev_u32_e32 v34, 28, v36
	v_lshlrev_b64 v[34:35], v34, v[22:23]
	v_lshrrev_b32_e32 v33, 3, v25
	v_sub_u32_e32 v35, 29, v36
	v_and_b32_e32 v34, 7, v34
	v_cmp_gt_u32_e64 s[12:13], 8, v25
	v_cndmask_b32_e64 v25, v33, v35, s[12:13]
	v_cndmask_b32_e64 v24, v24, v34, s[12:13]
	v_lshlrev_b32_e32 v22, 24, v22
	v_bfrev_b32_e32 v33, 60
	v_lshlrev_b32_e32 v24, 20, v24
	v_and_b32_e32 v22, 0x80000000, v22
	v_lshl_add_u32 v25, v25, 23, v33
	v_or3_b32 v22, v22, v25, v24
	v_lshrrev_b32_e32 v24, 16, v22
.LBB774_396:
	s_or_b64 exec, exec, s[26:27]
.LBB774_397:
	s_or_b64 exec, exec, s[24:25]
.LBB774_398:
	s_or_b64 exec, exec, s[14:15]
	s_mov_b32 s12, 0x5040100
	v_perm_b32 v29, v30, v29, s12
	v_perm_b32 v28, v27, v28, s12
	;; [unrolled: 1-line block ×4, first 2 shown]
	v_mfma_f32_4x4x4bf16_1k a[0:3], v[2:3], v[28:29], a[0:3] cbsz:4 abid:7
	v_cmp_ne_u16_sdwa s[12:13], v18, v26 src0_sel:BYTE_0 src1_sel:DWORD
	v_mfma_f32_4x4x4bf16_1k a[0:3], v[4:5], v[24:25], a[0:3] cbsz:4 abid:7
	s_and_saveexec_b64 s[14:15], s[12:13]
	s_cbranch_execz .LBB774_404
; %bb.399:
	s_movk_i32 s12, 0x80
	v_cmp_ne_u16_sdwa s[12:13], v18, s12 src0_sel:BYTE_0 src1_sel:DWORD
	v_mov_b32_e32 v26, 0xffff8000
	s_and_saveexec_b64 s[24:25], s[12:13]
	s_cbranch_execz .LBB774_403
; %bb.400:
	s_movk_i32 s12, 0x7f
	v_and_b32_e32 v22, 0x7f, v18
	v_cmp_ne_u32_e64 s[12:13], s12, v22
	v_mov_b32_e32 v26, 0x7f80
	s_and_saveexec_b64 s[26:27], s[12:13]
	s_cbranch_execz .LBB774_402
; %bb.401:
	v_and_b32_e32 v23, 7, v18
	v_ffbh_u32_e32 v23, v23
	v_min_u32_e32 v23, 32, v23
	v_subrev_u32_e32 v25, 28, v23
	v_cmp_gt_u32_e64 s[12:13], 8, v22
	v_lshrrev_b32_e32 v24, 3, v22
	v_sub_u32_e32 v23, 29, v23
	v_cndmask_b32_e64 v22, 0, v25, s[12:13]
	v_cndmask_b32_e64 v24, v24, v23, s[12:13]
	v_lshlrev_b64 v[22:23], v22, v[18:19]
	v_lshlrev_b32_e32 v22, 20, v22
	v_lshlrev_b32_e32 v23, 24, v18
	v_bfrev_b32_e32 v25, 60
	v_and_b32_e32 v22, 0x700000, v22
	v_and_b32_e32 v23, 0x80000000, v23
	v_lshl_add_u32 v24, v24, 23, v25
	v_or3_b32 v22, v23, v24, v22
	v_lshrrev_b32_e32 v26, 16, v22
.LBB774_402:
	s_or_b64 exec, exec, s[26:27]
.LBB774_403:
	s_or_b64 exec, exec, s[24:25]
.LBB774_404:
	s_or_b64 exec, exec, s[14:15]
	v_lshrrev_b16_e32 v22, 8, v18
	v_cmp_ne_u16_e64 s[12:13], 0, v22
	v_mov_b32_e32 v27, 0
	v_mov_b32_e32 v25, 0
	s_and_saveexec_b64 s[14:15], s[12:13]
	s_cbranch_execz .LBB774_410
; %bb.405:
	s_movk_i32 s12, 0x80
	v_cmp_ne_u16_e64 s[12:13], s12, v22
	v_mov_b32_e32 v25, 0xffff8000
	s_and_saveexec_b64 s[24:25], s[12:13]
	s_cbranch_execz .LBB774_409
; %bb.406:
	s_movk_i32 s12, 0x7f
	v_and_b32_e32 v23, 0x7f, v22
	v_cmp_ne_u32_e64 s[12:13], s12, v23
	v_mov_b32_e32 v25, 0x7f80
	s_and_saveexec_b64 s[26:27], s[12:13]
	s_cbranch_execz .LBB774_408
; %bb.407:
	v_and_b32_e32 v28, 7, v22
	v_ffbh_u32_e32 v24, v28
	v_min_u32_e32 v30, 32, v24
	v_subrev_u32_e32 v24, 28, v30
	v_lshlrev_b64 v[24:25], v24, v[22:23]
	v_lshrrev_b32_e32 v29, 3, v23
	v_sub_u32_e32 v22, 29, v30
	v_and_b32_e32 v24, 7, v24
	v_cmp_gt_u32_e64 s[12:13], 8, v23
	v_cndmask_b32_e64 v22, v29, v22, s[12:13]
	v_cndmask_b32_e64 v23, v28, v24, s[12:13]
	v_lshlrev_b32_e32 v24, 16, v18
	v_bfrev_b32_e32 v25, 60
	v_lshlrev_b32_e32 v23, 20, v23
	v_and_b32_e32 v24, 0x80000000, v24
	v_lshl_add_u32 v22, v22, 23, v25
	v_or3_b32 v22, v24, v22, v23
	v_lshrrev_b32_e32 v25, 16, v22
.LBB774_408:
	s_or_b64 exec, exec, s[26:27]
.LBB774_409:
	s_or_b64 exec, exec, s[24:25]
.LBB774_410:
	s_or_b64 exec, exec, s[14:15]
	s_movk_i32 s12, 0xff
	v_and_b32_sdwa v23, v18, s12 dst_sel:DWORD dst_unused:UNUSED_PAD src0_sel:WORD_1 src1_sel:DWORD
	v_lshrrev_b32_e32 v22, 16, v18
	v_cmp_ne_u16_e64 s[12:13], 0, v23
	s_and_saveexec_b64 s[14:15], s[12:13]
	s_cbranch_execz .LBB774_416
; %bb.411:
	s_movk_i32 s12, 0x80
	v_cmp_ne_u16_e64 s[12:13], s12, v23
	v_mov_b32_e32 v27, 0xffff8000
	s_and_saveexec_b64 s[24:25], s[12:13]
	s_cbranch_execz .LBB774_415
; %bb.412:
	v_bfe_u32 v23, v18, 16, 7
	s_movk_i32 s12, 0x7f
	v_cmp_ne_u32_e64 s[12:13], s12, v23
	v_mov_b32_e32 v27, 0x7f80
	s_and_saveexec_b64 s[26:27], s[12:13]
	s_cbranch_execz .LBB774_414
; %bb.413:
	v_and_b32_e32 v24, 7, v22
	v_ffbh_u32_e32 v28, v24
	v_min_u32_e32 v30, 32, v28
	v_subrev_u32_e32 v28, 28, v30
	v_lshlrev_b64 v[28:29], v28, v[22:23]
	v_and_b32_e32 v28, 7, v28
	v_cmp_gt_u32_e64 s[12:13], 8, v23
	v_lshrrev_b32_e32 v27, 3, v23
	v_sub_u32_e32 v22, 29, v30
	v_cndmask_b32_e64 v23, v24, v28, s[12:13]
	v_mov_b32_e32 v24, 24
	v_cndmask_b32_e64 v22, v27, v22, s[12:13]
	v_lshlrev_b32_sdwa v24, v24, v18 dst_sel:DWORD dst_unused:UNUSED_PAD src0_sel:DWORD src1_sel:WORD_1
	v_bfrev_b32_e32 v27, 60
	v_lshlrev_b32_e32 v23, 20, v23
	v_and_b32_e32 v24, 0x80000000, v24
	v_lshl_add_u32 v22, v22, 23, v27
	v_or3_b32 v22, v24, v22, v23
	v_lshrrev_b32_e32 v27, 16, v22
.LBB774_414:
	s_or_b64 exec, exec, s[26:27]
.LBB774_415:
	s_or_b64 exec, exec, s[24:25]
.LBB774_416:
	s_or_b64 exec, exec, s[14:15]
	s_mov_b32 s12, 0xffffff
	v_cmp_lt_u32_e64 s[12:13], s12, v18
	v_mov_b32_e32 v23, 0
	v_mov_b32_e32 v28, 0
	s_and_saveexec_b64 s[14:15], s[12:13]
	s_cbranch_execz .LBB774_422
; %bb.417:
	v_lshrrev_b32_e32 v22, 24, v18
	s_movk_i32 s12, 0x80
	v_cmp_ne_u32_e64 s[12:13], s12, v22
	v_mov_b32_e32 v28, 0xffff8000
	s_and_saveexec_b64 s[24:25], s[12:13]
	s_cbranch_execz .LBB774_421
; %bb.418:
	v_bfe_u32 v24, v18, 24, 7
	s_movk_i32 s12, 0x7f
	v_cmp_ne_u32_e64 s[12:13], s12, v24
	v_mov_b32_e32 v28, 0x7f80
	s_and_saveexec_b64 s[26:27], s[12:13]
	s_cbranch_execz .LBB774_420
; %bb.419:
	v_and_b32_e32 v30, 7, v22
	v_ffbh_u32_e32 v28, v30
	v_min_u32_e32 v32, 32, v28
	v_subrev_u32_e32 v28, 28, v32
	v_lshlrev_b64 v[28:29], v28, v[22:23]
	v_lshrrev_b32_e32 v31, 3, v24
	v_sub_u32_e32 v29, 29, v32
	v_and_b32_e32 v28, 7, v28
	v_cmp_gt_u32_e64 s[12:13], 8, v24
	v_cndmask_b32_e64 v24, v31, v29, s[12:13]
	v_cndmask_b32_e64 v28, v30, v28, s[12:13]
	v_lshlrev_b32_e32 v22, 24, v22
	v_bfrev_b32_e32 v29, 60
	v_lshlrev_b32_e32 v28, 20, v28
	v_and_b32_e32 v22, 0x80000000, v22
	v_lshl_add_u32 v24, v24, 23, v29
	v_or3_b32 v22, v22, v24, v28
	v_lshrrev_b32_e32 v28, 16, v22
.LBB774_420:
	s_or_b64 exec, exec, s[26:27]
.LBB774_421:
	s_or_b64 exec, exec, s[24:25]
.LBB774_422:
	s_or_b64 exec, exec, s[14:15]
	v_mov_b32_e32 v22, v19
	v_cmp_ne_u16_sdwa s[12:13], v19, v23 src0_sel:BYTE_0 src1_sel:DWORD
	s_and_saveexec_b64 s[14:15], s[12:13]
	s_cbranch_execz .LBB774_428
; %bb.423:
	s_movk_i32 s12, 0x80
	v_cmp_ne_u16_sdwa s[12:13], v19, s12 src0_sel:BYTE_0 src1_sel:DWORD
	v_mov_b32_e32 v24, 0xffff8000
	s_and_saveexec_b64 s[24:25], s[12:13]
	s_cbranch_execz .LBB774_427
; %bb.424:
	s_movk_i32 s12, 0x7f
	v_and_b32_e32 v29, 0x7f, v19
	v_cmp_ne_u32_e64 s[12:13], s12, v29
	v_mov_b32_e32 v24, 0x7f80
	s_and_saveexec_b64 s[26:27], s[12:13]
	s_cbranch_execz .LBB774_426
; %bb.425:
	v_and_b32_e32 v24, 7, v19
	v_ffbh_u32_e32 v24, v24
	v_min_u32_e32 v24, 32, v24
	v_subrev_u32_e32 v31, 28, v24
	v_cmp_gt_u32_e64 s[12:13], 8, v29
	v_lshrrev_b32_e32 v30, 3, v29
	v_sub_u32_e32 v24, 29, v24
	v_cndmask_b32_e64 v29, 0, v31, s[12:13]
	v_cndmask_b32_e64 v24, v30, v24, s[12:13]
	v_lshlrev_b64 v[30:31], v29, v[22:23]
	v_lshlrev_b32_e32 v23, 20, v30
	v_lshlrev_b32_e32 v29, 24, v22
	v_bfrev_b32_e32 v30, 60
	v_and_b32_e32 v23, 0x700000, v23
	v_and_b32_e32 v29, 0x80000000, v29
	v_lshl_add_u32 v24, v24, 23, v30
	v_or3_b32 v23, v29, v24, v23
	v_lshrrev_b32_e32 v24, 16, v23
.LBB774_426:
	s_or_b64 exec, exec, s[26:27]
.LBB774_427:
	s_or_b64 exec, exec, s[24:25]
	v_mov_b32_e32 v23, v24
.LBB774_428:
	s_or_b64 exec, exec, s[14:15]
	v_lshrrev_b16_e32 v24, 8, v22
	v_cmp_ne_u16_e64 s[12:13], 0, v24
	v_mov_b32_e32 v30, 0
	v_mov_b32_e32 v29, 0
	s_and_saveexec_b64 s[14:15], s[12:13]
	s_cbranch_execz .LBB774_434
; %bb.429:
	s_movk_i32 s12, 0x80
	v_cmp_ne_u16_e64 s[12:13], s12, v24
	v_mov_b32_e32 v29, 0xffff8000
	s_and_saveexec_b64 s[24:25], s[12:13]
	s_cbranch_execz .LBB774_433
; %bb.430:
	s_movk_i32 s12, 0x7f
	v_and_b32_e32 v31, 0x7f, v24
	v_cmp_ne_u32_e64 s[12:13], s12, v31
	v_mov_b32_e32 v29, 0x7f80
	s_and_saveexec_b64 s[26:27], s[12:13]
	s_cbranch_execz .LBB774_432
; %bb.431:
	v_and_b32_e32 v29, 7, v24
	v_ffbh_u32_e32 v32, v29
	v_min_u32_e32 v35, 32, v32
	v_subrev_u32_e32 v32, 28, v35
	v_lshlrev_b64 v[32:33], v32, v[24:25]
	v_lshrrev_b32_e32 v34, 3, v31
	v_sub_u32_e32 v24, 29, v35
	v_and_b32_e32 v32, 7, v32
	v_cmp_gt_u32_e64 s[12:13], 8, v31
	v_cndmask_b32_e64 v24, v34, v24, s[12:13]
	v_cndmask_b32_e64 v29, v29, v32, s[12:13]
	v_lshlrev_b32_e32 v22, 16, v22
	v_bfrev_b32_e32 v31, 60
	v_lshlrev_b32_e32 v29, 20, v29
	v_and_b32_e32 v22, 0x80000000, v22
	v_lshl_add_u32 v24, v24, 23, v31
	v_or3_b32 v22, v22, v24, v29
	v_lshrrev_b32_e32 v29, 16, v22
.LBB774_432:
	s_or_b64 exec, exec, s[26:27]
.LBB774_433:
	s_or_b64 exec, exec, s[24:25]
.LBB774_434:
	s_or_b64 exec, exec, s[14:15]
	s_movk_i32 s12, 0xff
	v_and_b32_sdwa v24, v19, s12 dst_sel:DWORD dst_unused:UNUSED_PAD src0_sel:WORD_1 src1_sel:DWORD
	v_lshrrev_b32_e32 v22, 16, v19
	v_cmp_ne_u16_e64 s[12:13], 0, v24
	s_and_saveexec_b64 s[14:15], s[12:13]
	s_cbranch_execz .LBB774_440
; %bb.435:
	s_movk_i32 s12, 0x80
	v_cmp_ne_u16_e64 s[12:13], s12, v24
	v_mov_b32_e32 v30, 0xffff8000
	s_and_saveexec_b64 s[24:25], s[12:13]
	s_cbranch_execz .LBB774_439
; %bb.436:
	v_bfe_u32 v24, v19, 16, 7
	s_movk_i32 s12, 0x7f
	v_cmp_ne_u32_e64 s[12:13], s12, v24
	v_mov_b32_e32 v30, 0x7f80
	s_and_saveexec_b64 s[26:27], s[12:13]
	s_cbranch_execz .LBB774_438
; %bb.437:
	v_and_b32_e32 v32, 7, v22
	v_ffbh_u32_e32 v30, v32
	v_min_u32_e32 v34, 32, v30
	v_subrev_u32_e32 v30, 28, v34
	v_lshlrev_b64 v[30:31], v30, v[22:23]
	v_and_b32_e32 v30, 7, v30
	v_cmp_gt_u32_e64 s[12:13], 8, v24
	v_lshrrev_b32_e32 v33, 3, v24
	v_sub_u32_e32 v22, 29, v34
	v_cndmask_b32_e64 v24, v32, v30, s[12:13]
	v_mov_b32_e32 v30, 24
	v_cndmask_b32_e64 v22, v33, v22, s[12:13]
	v_lshlrev_b32_sdwa v30, v30, v19 dst_sel:DWORD dst_unused:UNUSED_PAD src0_sel:DWORD src1_sel:WORD_1
	v_bfrev_b32_e32 v31, 60
	v_lshlrev_b32_e32 v24, 20, v24
	v_and_b32_e32 v30, 0x80000000, v30
	v_lshl_add_u32 v22, v22, 23, v31
	v_or3_b32 v22, v30, v22, v24
	v_lshrrev_b32_e32 v30, 16, v22
.LBB774_438:
	s_or_b64 exec, exec, s[26:27]
.LBB774_439:
	s_or_b64 exec, exec, s[24:25]
.LBB774_440:
	s_or_b64 exec, exec, s[14:15]
	s_mov_b32 s12, -1
	s_mov_b32 s13, 0xffffff
	v_cmp_lt_u64_e64 s[12:13], s[12:13], v[18:19]
	v_mov_b32_e32 v24, 0
	v_mov_b32_e32 v22, 0
	s_and_saveexec_b64 s[14:15], s[12:13]
	s_cbranch_execz .LBB774_446
; %bb.441:
	v_lshrrev_b32_e32 v18, 24, v19
	s_movk_i32 s12, 0x80
	v_cmp_ne_u32_e64 s[12:13], s12, v18
	v_mov_b32_e32 v22, 0xffff8000
	s_and_saveexec_b64 s[24:25], s[12:13]
	s_cbranch_execz .LBB774_445
; %bb.442:
	v_bfe_u32 v19, v19, 24, 7
	s_movk_i32 s12, 0x7f
	v_cmp_ne_u32_e64 s[12:13], s12, v19
	v_mov_b32_e32 v22, 0x7f80
	s_and_saveexec_b64 s[26:27], s[12:13]
	s_cbranch_execz .LBB774_444
; %bb.443:
	v_and_b32_e32 v22, 7, v18
	v_ffbh_u32_e32 v32, v22
	v_min_u32_e32 v34, 32, v32
	v_subrev_u32_e32 v32, 28, v34
	v_lshlrev_b64 v[32:33], v32, v[18:19]
	v_lshrrev_b32_e32 v31, 3, v19
	v_sub_u32_e32 v33, 29, v34
	v_and_b32_e32 v32, 7, v32
	v_cmp_gt_u32_e64 s[12:13], 8, v19
	v_cndmask_b32_e64 v19, v31, v33, s[12:13]
	v_cndmask_b32_e64 v22, v22, v32, s[12:13]
	v_lshlrev_b32_e32 v18, 24, v18
	v_bfrev_b32_e32 v31, 60
	v_lshlrev_b32_e32 v22, 20, v22
	v_and_b32_e32 v18, 0x80000000, v18
	v_lshl_add_u32 v19, v19, 23, v31
	v_or3_b32 v18, v18, v19, v22
	v_lshrrev_b32_e32 v22, 16, v18
.LBB774_444:
	s_or_b64 exec, exec, s[26:27]
.LBB774_445:
	s_or_b64 exec, exec, s[24:25]
.LBB774_446:
	s_or_b64 exec, exec, s[14:15]
	s_mov_b32 s12, 0x5040100
	v_perm_b32 v19, v28, v27, s12
	v_perm_b32 v18, v25, v26, s12
	;; [unrolled: 1-line block ×4, first 2 shown]
	v_mfma_f32_4x4x4bf16_1k a[0:3], v[2:3], v[18:19], a[0:3] cbsz:4 abid:8
	v_cmp_ne_u16_sdwa s[12:13], v20, v24 src0_sel:BYTE_0 src1_sel:DWORD
	v_mfma_f32_4x4x4bf16_1k a[0:3], v[4:5], v[26:27], a[0:3] cbsz:4 abid:8
	s_and_saveexec_b64 s[14:15], s[12:13]
	s_cbranch_execz .LBB774_452
; %bb.447:
	s_movk_i32 s12, 0x80
	v_cmp_ne_u16_sdwa s[12:13], v20, s12 src0_sel:BYTE_0 src1_sel:DWORD
	v_mov_b32_e32 v24, 0xffff8000
	s_and_saveexec_b64 s[24:25], s[12:13]
	s_cbranch_execz .LBB774_451
; %bb.448:
	s_movk_i32 s12, 0x7f
	v_and_b32_e32 v18, 0x7f, v20
	v_cmp_ne_u32_e64 s[12:13], s12, v18
	v_mov_b32_e32 v24, 0x7f80
	s_and_saveexec_b64 s[26:27], s[12:13]
	s_cbranch_execz .LBB774_450
; %bb.449:
	v_and_b32_e32 v19, 7, v20
	v_ffbh_u32_e32 v19, v19
	v_min_u32_e32 v19, 32, v19
	v_subrev_u32_e32 v23, 28, v19
	v_cmp_gt_u32_e64 s[12:13], 8, v18
	v_lshrrev_b32_e32 v22, 3, v18
	v_sub_u32_e32 v19, 29, v19
	v_cndmask_b32_e64 v18, 0, v23, s[12:13]
	v_cndmask_b32_e64 v22, v22, v19, s[12:13]
	v_lshlrev_b64 v[18:19], v18, v[20:21]
	v_lshlrev_b32_e32 v18, 20, v18
	v_lshlrev_b32_e32 v19, 24, v20
	v_bfrev_b32_e32 v23, 60
	v_and_b32_e32 v18, 0x700000, v18
	v_and_b32_e32 v19, 0x80000000, v19
	v_lshl_add_u32 v22, v22, 23, v23
	v_or3_b32 v18, v19, v22, v18
	v_lshrrev_b32_e32 v24, 16, v18
.LBB774_450:
	s_or_b64 exec, exec, s[26:27]
.LBB774_451:
	s_or_b64 exec, exec, s[24:25]
.LBB774_452:
	s_or_b64 exec, exec, s[14:15]
	v_lshrrev_b16_e32 v18, 8, v20
	v_cmp_ne_u16_e64 s[12:13], 0, v18
	v_mov_b32_e32 v25, 0
	v_mov_b32_e32 v23, 0
	s_and_saveexec_b64 s[14:15], s[12:13]
	s_cbranch_execz .LBB774_458
; %bb.453:
	s_movk_i32 s12, 0x80
	v_cmp_ne_u16_e64 s[12:13], s12, v18
	v_mov_b32_e32 v23, 0xffff8000
	s_and_saveexec_b64 s[24:25], s[12:13]
	s_cbranch_execz .LBB774_457
; %bb.454:
	s_movk_i32 s12, 0x7f
	v_and_b32_e32 v19, 0x7f, v18
	v_cmp_ne_u32_e64 s[12:13], s12, v19
	v_mov_b32_e32 v23, 0x7f80
	s_and_saveexec_b64 s[26:27], s[12:13]
	s_cbranch_execz .LBB774_456
; %bb.455:
	v_and_b32_e32 v26, 7, v18
	v_ffbh_u32_e32 v22, v26
	v_min_u32_e32 v28, 32, v22
	v_subrev_u32_e32 v22, 28, v28
	v_lshlrev_b64 v[22:23], v22, v[18:19]
	v_lshrrev_b32_e32 v27, 3, v19
	v_sub_u32_e32 v18, 29, v28
	v_and_b32_e32 v22, 7, v22
	v_cmp_gt_u32_e64 s[12:13], 8, v19
	v_cndmask_b32_e64 v18, v27, v18, s[12:13]
	v_cndmask_b32_e64 v19, v26, v22, s[12:13]
	v_lshlrev_b32_e32 v22, 16, v20
	v_bfrev_b32_e32 v23, 60
	v_lshlrev_b32_e32 v19, 20, v19
	v_and_b32_e32 v22, 0x80000000, v22
	v_lshl_add_u32 v18, v18, 23, v23
	v_or3_b32 v18, v22, v18, v19
	v_lshrrev_b32_e32 v23, 16, v18
.LBB774_456:
	s_or_b64 exec, exec, s[26:27]
.LBB774_457:
	s_or_b64 exec, exec, s[24:25]
.LBB774_458:
	s_or_b64 exec, exec, s[14:15]
	s_movk_i32 s12, 0xff
	v_and_b32_sdwa v19, v20, s12 dst_sel:DWORD dst_unused:UNUSED_PAD src0_sel:WORD_1 src1_sel:DWORD
	v_lshrrev_b32_e32 v18, 16, v20
	v_cmp_ne_u16_e64 s[12:13], 0, v19
	s_and_saveexec_b64 s[14:15], s[12:13]
	s_cbranch_execz .LBB774_464
; %bb.459:
	s_movk_i32 s12, 0x80
	v_cmp_ne_u16_e64 s[12:13], s12, v19
	v_mov_b32_e32 v25, 0xffff8000
	s_and_saveexec_b64 s[24:25], s[12:13]
	s_cbranch_execz .LBB774_463
; %bb.460:
	v_bfe_u32 v19, v20, 16, 7
	s_movk_i32 s12, 0x7f
	v_cmp_ne_u32_e64 s[12:13], s12, v19
	v_mov_b32_e32 v25, 0x7f80
	s_and_saveexec_b64 s[26:27], s[12:13]
	s_cbranch_execz .LBB774_462
; %bb.461:
	v_and_b32_e32 v22, 7, v18
	v_ffbh_u32_e32 v26, v22
	v_min_u32_e32 v28, 32, v26
	v_subrev_u32_e32 v26, 28, v28
	v_lshlrev_b64 v[26:27], v26, v[18:19]
	v_and_b32_e32 v26, 7, v26
	v_cmp_gt_u32_e64 s[12:13], 8, v19
	v_lshrrev_b32_e32 v25, 3, v19
	v_sub_u32_e32 v18, 29, v28
	v_cndmask_b32_e64 v19, v22, v26, s[12:13]
	v_mov_b32_e32 v22, 24
	v_cndmask_b32_e64 v18, v25, v18, s[12:13]
	v_lshlrev_b32_sdwa v22, v22, v20 dst_sel:DWORD dst_unused:UNUSED_PAD src0_sel:DWORD src1_sel:WORD_1
	v_bfrev_b32_e32 v25, 60
	v_lshlrev_b32_e32 v19, 20, v19
	v_and_b32_e32 v22, 0x80000000, v22
	v_lshl_add_u32 v18, v18, 23, v25
	v_or3_b32 v18, v22, v18, v19
	v_lshrrev_b32_e32 v25, 16, v18
.LBB774_462:
	s_or_b64 exec, exec, s[26:27]
.LBB774_463:
	s_or_b64 exec, exec, s[24:25]
.LBB774_464:
	s_or_b64 exec, exec, s[14:15]
	s_mov_b32 s12, 0xffffff
	v_cmp_lt_u32_e64 s[12:13], s12, v20
	v_mov_b32_e32 v19, 0
	v_mov_b32_e32 v26, 0
	s_and_saveexec_b64 s[14:15], s[12:13]
	s_cbranch_execz .LBB774_470
; %bb.465:
	v_lshrrev_b32_e32 v18, 24, v20
	s_movk_i32 s12, 0x80
	v_cmp_ne_u32_e64 s[12:13], s12, v18
	v_mov_b32_e32 v26, 0xffff8000
	s_and_saveexec_b64 s[24:25], s[12:13]
	s_cbranch_execz .LBB774_469
; %bb.466:
	v_bfe_u32 v22, v20, 24, 7
	s_movk_i32 s12, 0x7f
	v_cmp_ne_u32_e64 s[12:13], s12, v22
	v_mov_b32_e32 v26, 0x7f80
	s_and_saveexec_b64 s[26:27], s[12:13]
	s_cbranch_execz .LBB774_468
; %bb.467:
	v_and_b32_e32 v28, 7, v18
	v_ffbh_u32_e32 v26, v28
	v_min_u32_e32 v30, 32, v26
	v_subrev_u32_e32 v26, 28, v30
	v_lshlrev_b64 v[26:27], v26, v[18:19]
	v_lshrrev_b32_e32 v29, 3, v22
	v_sub_u32_e32 v27, 29, v30
	v_and_b32_e32 v26, 7, v26
	v_cmp_gt_u32_e64 s[12:13], 8, v22
	v_cndmask_b32_e64 v22, v29, v27, s[12:13]
	v_cndmask_b32_e64 v26, v28, v26, s[12:13]
	v_lshlrev_b32_e32 v18, 24, v18
	v_bfrev_b32_e32 v27, 60
	v_lshlrev_b32_e32 v26, 20, v26
	v_and_b32_e32 v18, 0x80000000, v18
	v_lshl_add_u32 v22, v22, 23, v27
	v_or3_b32 v18, v18, v22, v26
	v_lshrrev_b32_e32 v26, 16, v18
.LBB774_468:
	s_or_b64 exec, exec, s[26:27]
.LBB774_469:
	s_or_b64 exec, exec, s[24:25]
.LBB774_470:
	s_or_b64 exec, exec, s[14:15]
	v_mov_b32_e32 v18, v21
	v_cmp_ne_u16_sdwa s[12:13], v21, v19 src0_sel:BYTE_0 src1_sel:DWORD
	s_and_saveexec_b64 s[14:15], s[12:13]
	s_cbranch_execz .LBB774_476
; %bb.471:
	s_movk_i32 s12, 0x80
	v_cmp_ne_u16_sdwa s[12:13], v21, s12 src0_sel:BYTE_0 src1_sel:DWORD
	v_mov_b32_e32 v22, 0xffff8000
	s_and_saveexec_b64 s[24:25], s[12:13]
	s_cbranch_execz .LBB774_475
; %bb.472:
	s_movk_i32 s12, 0x7f
	v_and_b32_e32 v27, 0x7f, v21
	v_cmp_ne_u32_e64 s[12:13], s12, v27
	v_mov_b32_e32 v22, 0x7f80
	s_and_saveexec_b64 s[26:27], s[12:13]
	s_cbranch_execz .LBB774_474
; %bb.473:
	v_and_b32_e32 v22, 7, v21
	v_ffbh_u32_e32 v22, v22
	v_min_u32_e32 v22, 32, v22
	v_subrev_u32_e32 v29, 28, v22
	v_cmp_gt_u32_e64 s[12:13], 8, v27
	v_lshrrev_b32_e32 v28, 3, v27
	v_sub_u32_e32 v22, 29, v22
	v_cndmask_b32_e64 v27, 0, v29, s[12:13]
	v_cndmask_b32_e64 v22, v28, v22, s[12:13]
	v_lshlrev_b64 v[28:29], v27, v[18:19]
	v_lshlrev_b32_e32 v19, 20, v28
	v_lshlrev_b32_e32 v27, 24, v18
	v_bfrev_b32_e32 v28, 60
	v_and_b32_e32 v19, 0x700000, v19
	v_and_b32_e32 v27, 0x80000000, v27
	v_lshl_add_u32 v22, v22, 23, v28
	v_or3_b32 v19, v27, v22, v19
	v_lshrrev_b32_e32 v22, 16, v19
.LBB774_474:
	s_or_b64 exec, exec, s[26:27]
.LBB774_475:
	s_or_b64 exec, exec, s[24:25]
	v_mov_b32_e32 v19, v22
.LBB774_476:
	s_or_b64 exec, exec, s[14:15]
	v_lshrrev_b16_e32 v22, 8, v18
	v_cmp_ne_u16_e64 s[12:13], 0, v22
	v_mov_b32_e32 v28, 0
	v_mov_b32_e32 v27, 0
	s_and_saveexec_b64 s[14:15], s[12:13]
	s_cbranch_execz .LBB774_482
; %bb.477:
	s_movk_i32 s12, 0x80
	v_cmp_ne_u16_e64 s[12:13], s12, v22
	v_mov_b32_e32 v27, 0xffff8000
	s_and_saveexec_b64 s[24:25], s[12:13]
	s_cbranch_execz .LBB774_481
; %bb.478:
	s_movk_i32 s12, 0x7f
	v_and_b32_e32 v29, 0x7f, v22
	v_cmp_ne_u32_e64 s[12:13], s12, v29
	v_mov_b32_e32 v27, 0x7f80
	s_and_saveexec_b64 s[26:27], s[12:13]
	s_cbranch_execz .LBB774_480
; %bb.479:
	v_and_b32_e32 v27, 7, v22
	v_ffbh_u32_e32 v30, v27
	v_min_u32_e32 v33, 32, v30
	v_subrev_u32_e32 v30, 28, v33
	v_lshlrev_b64 v[30:31], v30, v[22:23]
	v_lshrrev_b32_e32 v32, 3, v29
	v_sub_u32_e32 v22, 29, v33
	v_and_b32_e32 v30, 7, v30
	v_cmp_gt_u32_e64 s[12:13], 8, v29
	v_cndmask_b32_e64 v22, v32, v22, s[12:13]
	v_cndmask_b32_e64 v27, v27, v30, s[12:13]
	v_lshlrev_b32_e32 v18, 16, v18
	v_bfrev_b32_e32 v29, 60
	v_lshlrev_b32_e32 v27, 20, v27
	v_and_b32_e32 v18, 0x80000000, v18
	v_lshl_add_u32 v22, v22, 23, v29
	v_or3_b32 v18, v18, v22, v27
	v_lshrrev_b32_e32 v27, 16, v18
.LBB774_480:
	s_or_b64 exec, exec, s[26:27]
.LBB774_481:
	s_or_b64 exec, exec, s[24:25]
.LBB774_482:
	s_or_b64 exec, exec, s[14:15]
	s_movk_i32 s12, 0xff
	v_and_b32_sdwa v22, v21, s12 dst_sel:DWORD dst_unused:UNUSED_PAD src0_sel:WORD_1 src1_sel:DWORD
	v_lshrrev_b32_e32 v18, 16, v21
	v_cmp_ne_u16_e64 s[12:13], 0, v22
	s_and_saveexec_b64 s[14:15], s[12:13]
	s_cbranch_execz .LBB774_488
; %bb.483:
	s_movk_i32 s12, 0x80
	v_cmp_ne_u16_e64 s[12:13], s12, v22
	v_mov_b32_e32 v28, 0xffff8000
	s_and_saveexec_b64 s[24:25], s[12:13]
	s_cbranch_execz .LBB774_487
; %bb.484:
	v_bfe_u32 v22, v21, 16, 7
	s_movk_i32 s12, 0x7f
	v_cmp_ne_u32_e64 s[12:13], s12, v22
	v_mov_b32_e32 v28, 0x7f80
	s_and_saveexec_b64 s[26:27], s[12:13]
	s_cbranch_execz .LBB774_486
; %bb.485:
	v_and_b32_e32 v30, 7, v18
	v_ffbh_u32_e32 v28, v30
	v_min_u32_e32 v32, 32, v28
	v_subrev_u32_e32 v28, 28, v32
	v_lshlrev_b64 v[28:29], v28, v[18:19]
	v_and_b32_e32 v28, 7, v28
	v_cmp_gt_u32_e64 s[12:13], 8, v22
	v_lshrrev_b32_e32 v31, 3, v22
	v_sub_u32_e32 v18, 29, v32
	v_cndmask_b32_e64 v22, v30, v28, s[12:13]
	v_mov_b32_e32 v28, 24
	v_cndmask_b32_e64 v18, v31, v18, s[12:13]
	v_lshlrev_b32_sdwa v28, v28, v21 dst_sel:DWORD dst_unused:UNUSED_PAD src0_sel:DWORD src1_sel:WORD_1
	v_bfrev_b32_e32 v29, 60
	v_lshlrev_b32_e32 v22, 20, v22
	v_and_b32_e32 v28, 0x80000000, v28
	v_lshl_add_u32 v18, v18, 23, v29
	v_or3_b32 v18, v28, v18, v22
	v_lshrrev_b32_e32 v28, 16, v18
.LBB774_486:
	s_or_b64 exec, exec, s[26:27]
.LBB774_487:
	s_or_b64 exec, exec, s[24:25]
.LBB774_488:
	s_or_b64 exec, exec, s[14:15]
	s_mov_b32 s12, -1
	s_mov_b32 s13, 0xffffff
	v_cmp_lt_u64_e64 s[12:13], s[12:13], v[20:21]
	v_mov_b32_e32 v22, 0
	v_mov_b32_e32 v20, 0
	s_and_saveexec_b64 s[14:15], s[12:13]
	s_cbranch_execz .LBB774_494
; %bb.489:
	v_lshrrev_b32_e32 v18, 24, v21
	s_movk_i32 s12, 0x80
	v_cmp_ne_u32_e64 s[12:13], s12, v18
	v_mov_b32_e32 v20, 0xffff8000
	s_and_saveexec_b64 s[24:25], s[12:13]
	s_cbranch_execz .LBB774_493
; %bb.490:
	v_bfe_u32 v21, v21, 24, 7
	s_movk_i32 s12, 0x7f
	v_cmp_ne_u32_e64 s[12:13], s12, v21
	v_mov_b32_e32 v20, 0x7f80
	s_and_saveexec_b64 s[26:27], s[12:13]
	s_cbranch_execz .LBB774_492
; %bb.491:
	v_and_b32_e32 v20, 7, v18
	v_ffbh_u32_e32 v30, v20
	v_min_u32_e32 v32, 32, v30
	v_subrev_u32_e32 v30, 28, v32
	v_lshlrev_b64 v[30:31], v30, v[18:19]
	v_lshrrev_b32_e32 v29, 3, v21
	v_sub_u32_e32 v31, 29, v32
	v_and_b32_e32 v30, 7, v30
	v_cmp_gt_u32_e64 s[12:13], 8, v21
	v_cndmask_b32_e64 v21, v29, v31, s[12:13]
	v_cndmask_b32_e64 v20, v20, v30, s[12:13]
	v_lshlrev_b32_e32 v18, 24, v18
	v_bfrev_b32_e32 v29, 60
	v_lshlrev_b32_e32 v20, 20, v20
	v_and_b32_e32 v18, 0x80000000, v18
	v_lshl_add_u32 v21, v21, 23, v29
	v_or3_b32 v18, v18, v21, v20
	v_lshrrev_b32_e32 v20, 16, v18
.LBB774_492:
	s_or_b64 exec, exec, s[26:27]
.LBB774_493:
	s_or_b64 exec, exec, s[24:25]
.LBB774_494:
	s_or_b64 exec, exec, s[14:15]
	s_mov_b32 s12, 0x5040100
	v_perm_b32 v25, v26, v25, s12
	v_perm_b32 v24, v23, v24, s12
	;; [unrolled: 1-line block ×4, first 2 shown]
	v_mfma_f32_4x4x4bf16_1k a[0:3], v[2:3], v[24:25], a[0:3] cbsz:4 abid:9
	v_cmp_ne_u16_sdwa s[12:13], v14, v22 src0_sel:BYTE_0 src1_sel:DWORD
	v_mfma_f32_4x4x4bf16_1k a[0:3], v[4:5], v[20:21], a[0:3] cbsz:4 abid:9
	s_and_saveexec_b64 s[14:15], s[12:13]
	s_cbranch_execz .LBB774_500
; %bb.495:
	s_movk_i32 s12, 0x80
	v_cmp_ne_u16_sdwa s[12:13], v14, s12 src0_sel:BYTE_0 src1_sel:DWORD
	v_mov_b32_e32 v22, 0xffff8000
	s_and_saveexec_b64 s[24:25], s[12:13]
	s_cbranch_execz .LBB774_499
; %bb.496:
	s_movk_i32 s12, 0x7f
	v_and_b32_e32 v18, 0x7f, v14
	v_cmp_ne_u32_e64 s[12:13], s12, v18
	v_mov_b32_e32 v22, 0x7f80
	s_and_saveexec_b64 s[26:27], s[12:13]
	s_cbranch_execz .LBB774_498
; %bb.497:
	v_and_b32_e32 v19, 7, v14
	v_ffbh_u32_e32 v19, v19
	v_min_u32_e32 v19, 32, v19
	v_subrev_u32_e32 v21, 28, v19
	v_cmp_gt_u32_e64 s[12:13], 8, v18
	v_lshrrev_b32_e32 v20, 3, v18
	v_sub_u32_e32 v19, 29, v19
	v_cndmask_b32_e64 v18, 0, v21, s[12:13]
	v_cndmask_b32_e64 v20, v20, v19, s[12:13]
	v_lshlrev_b64 v[18:19], v18, v[14:15]
	v_lshlrev_b32_e32 v18, 20, v18
	v_lshlrev_b32_e32 v19, 24, v14
	v_bfrev_b32_e32 v21, 60
	v_and_b32_e32 v18, 0x700000, v18
	v_and_b32_e32 v19, 0x80000000, v19
	v_lshl_add_u32 v20, v20, 23, v21
	v_or3_b32 v18, v19, v20, v18
	v_lshrrev_b32_e32 v22, 16, v18
.LBB774_498:
	s_or_b64 exec, exec, s[26:27]
.LBB774_499:
	s_or_b64 exec, exec, s[24:25]
.LBB774_500:
	s_or_b64 exec, exec, s[14:15]
	v_lshrrev_b16_e32 v18, 8, v14
	v_cmp_ne_u16_e64 s[12:13], 0, v18
	v_mov_b32_e32 v23, 0
	v_mov_b32_e32 v21, 0
	s_and_saveexec_b64 s[14:15], s[12:13]
	s_cbranch_execz .LBB774_506
; %bb.501:
	s_movk_i32 s12, 0x80
	v_cmp_ne_u16_e64 s[12:13], s12, v18
	v_mov_b32_e32 v21, 0xffff8000
	s_and_saveexec_b64 s[24:25], s[12:13]
	s_cbranch_execz .LBB774_505
; %bb.502:
	s_movk_i32 s12, 0x7f
	v_and_b32_e32 v19, 0x7f, v18
	v_cmp_ne_u32_e64 s[12:13], s12, v19
	v_mov_b32_e32 v21, 0x7f80
	s_and_saveexec_b64 s[26:27], s[12:13]
	s_cbranch_execz .LBB774_504
; %bb.503:
	v_and_b32_e32 v24, 7, v18
	v_ffbh_u32_e32 v20, v24
	v_min_u32_e32 v26, 32, v20
	v_subrev_u32_e32 v20, 28, v26
	v_lshlrev_b64 v[20:21], v20, v[18:19]
	v_lshrrev_b32_e32 v25, 3, v19
	v_sub_u32_e32 v18, 29, v26
	v_and_b32_e32 v20, 7, v20
	v_cmp_gt_u32_e64 s[12:13], 8, v19
	v_cndmask_b32_e64 v18, v25, v18, s[12:13]
	v_cndmask_b32_e64 v19, v24, v20, s[12:13]
	v_lshlrev_b32_e32 v20, 16, v14
	v_bfrev_b32_e32 v21, 60
	v_lshlrev_b32_e32 v19, 20, v19
	v_and_b32_e32 v20, 0x80000000, v20
	v_lshl_add_u32 v18, v18, 23, v21
	v_or3_b32 v18, v20, v18, v19
	v_lshrrev_b32_e32 v21, 16, v18
.LBB774_504:
	s_or_b64 exec, exec, s[26:27]
.LBB774_505:
	s_or_b64 exec, exec, s[24:25]
.LBB774_506:
	s_or_b64 exec, exec, s[14:15]
	s_movk_i32 s12, 0xff
	v_and_b32_sdwa v19, v14, s12 dst_sel:DWORD dst_unused:UNUSED_PAD src0_sel:WORD_1 src1_sel:DWORD
	v_lshrrev_b32_e32 v18, 16, v14
	v_cmp_ne_u16_e64 s[12:13], 0, v19
	s_and_saveexec_b64 s[14:15], s[12:13]
	s_cbranch_execz .LBB774_512
; %bb.507:
	s_movk_i32 s12, 0x80
	v_cmp_ne_u16_e64 s[12:13], s12, v19
	v_mov_b32_e32 v23, 0xffff8000
	s_and_saveexec_b64 s[24:25], s[12:13]
	s_cbranch_execz .LBB774_511
; %bb.508:
	v_bfe_u32 v19, v14, 16, 7
	s_movk_i32 s12, 0x7f
	v_cmp_ne_u32_e64 s[12:13], s12, v19
	v_mov_b32_e32 v23, 0x7f80
	s_and_saveexec_b64 s[26:27], s[12:13]
	s_cbranch_execz .LBB774_510
; %bb.509:
	v_and_b32_e32 v20, 7, v18
	v_ffbh_u32_e32 v24, v20
	v_min_u32_e32 v26, 32, v24
	v_subrev_u32_e32 v24, 28, v26
	v_lshlrev_b64 v[24:25], v24, v[18:19]
	v_and_b32_e32 v24, 7, v24
	v_cmp_gt_u32_e64 s[12:13], 8, v19
	v_lshrrev_b32_e32 v23, 3, v19
	v_sub_u32_e32 v18, 29, v26
	v_cndmask_b32_e64 v19, v20, v24, s[12:13]
	v_mov_b32_e32 v20, 24
	v_cndmask_b32_e64 v18, v23, v18, s[12:13]
	v_lshlrev_b32_sdwa v20, v20, v14 dst_sel:DWORD dst_unused:UNUSED_PAD src0_sel:DWORD src1_sel:WORD_1
	v_bfrev_b32_e32 v23, 60
	v_lshlrev_b32_e32 v19, 20, v19
	v_and_b32_e32 v20, 0x80000000, v20
	v_lshl_add_u32 v18, v18, 23, v23
	v_or3_b32 v18, v20, v18, v19
	v_lshrrev_b32_e32 v23, 16, v18
.LBB774_510:
	s_or_b64 exec, exec, s[26:27]
.LBB774_511:
	s_or_b64 exec, exec, s[24:25]
.LBB774_512:
	s_or_b64 exec, exec, s[14:15]
	s_mov_b32 s12, 0xffffff
	v_cmp_lt_u32_e64 s[12:13], s12, v14
	v_mov_b32_e32 v19, 0
	v_mov_b32_e32 v24, 0
	s_and_saveexec_b64 s[14:15], s[12:13]
	s_cbranch_execz .LBB774_518
; %bb.513:
	v_lshrrev_b32_e32 v18, 24, v14
	s_movk_i32 s12, 0x80
	v_cmp_ne_u32_e64 s[12:13], s12, v18
	v_mov_b32_e32 v24, 0xffff8000
	s_and_saveexec_b64 s[24:25], s[12:13]
	s_cbranch_execz .LBB774_517
; %bb.514:
	v_bfe_u32 v20, v14, 24, 7
	s_movk_i32 s12, 0x7f
	v_cmp_ne_u32_e64 s[12:13], s12, v20
	v_mov_b32_e32 v24, 0x7f80
	s_and_saveexec_b64 s[26:27], s[12:13]
	s_cbranch_execz .LBB774_516
; %bb.515:
	v_and_b32_e32 v26, 7, v18
	v_ffbh_u32_e32 v24, v26
	v_min_u32_e32 v28, 32, v24
	v_subrev_u32_e32 v24, 28, v28
	v_lshlrev_b64 v[24:25], v24, v[18:19]
	v_lshrrev_b32_e32 v27, 3, v20
	v_sub_u32_e32 v25, 29, v28
	v_and_b32_e32 v24, 7, v24
	v_cmp_gt_u32_e64 s[12:13], 8, v20
	v_cndmask_b32_e64 v20, v27, v25, s[12:13]
	v_cndmask_b32_e64 v24, v26, v24, s[12:13]
	v_lshlrev_b32_e32 v18, 24, v18
	v_bfrev_b32_e32 v25, 60
	v_lshlrev_b32_e32 v24, 20, v24
	v_and_b32_e32 v18, 0x80000000, v18
	v_lshl_add_u32 v20, v20, 23, v25
	v_or3_b32 v18, v18, v20, v24
	v_lshrrev_b32_e32 v24, 16, v18
.LBB774_516:
	s_or_b64 exec, exec, s[26:27]
.LBB774_517:
	s_or_b64 exec, exec, s[24:25]
.LBB774_518:
	s_or_b64 exec, exec, s[14:15]
	v_mov_b32_e32 v18, v15
	v_cmp_ne_u16_sdwa s[12:13], v15, v19 src0_sel:BYTE_0 src1_sel:DWORD
	s_and_saveexec_b64 s[14:15], s[12:13]
	s_cbranch_execz .LBB774_524
; %bb.519:
	s_movk_i32 s12, 0x80
	v_cmp_ne_u16_sdwa s[12:13], v15, s12 src0_sel:BYTE_0 src1_sel:DWORD
	v_mov_b32_e32 v20, 0xffff8000
	s_and_saveexec_b64 s[24:25], s[12:13]
	s_cbranch_execz .LBB774_523
; %bb.520:
	s_movk_i32 s12, 0x7f
	v_and_b32_e32 v25, 0x7f, v15
	v_cmp_ne_u32_e64 s[12:13], s12, v25
	v_mov_b32_e32 v20, 0x7f80
	s_and_saveexec_b64 s[26:27], s[12:13]
	s_cbranch_execz .LBB774_522
; %bb.521:
	v_and_b32_e32 v20, 7, v15
	v_ffbh_u32_e32 v20, v20
	v_min_u32_e32 v20, 32, v20
	v_subrev_u32_e32 v27, 28, v20
	v_cmp_gt_u32_e64 s[12:13], 8, v25
	v_lshrrev_b32_e32 v26, 3, v25
	v_sub_u32_e32 v20, 29, v20
	v_cndmask_b32_e64 v25, 0, v27, s[12:13]
	v_cndmask_b32_e64 v20, v26, v20, s[12:13]
	v_lshlrev_b64 v[26:27], v25, v[18:19]
	v_lshlrev_b32_e32 v19, 20, v26
	v_lshlrev_b32_e32 v25, 24, v18
	v_bfrev_b32_e32 v26, 60
	v_and_b32_e32 v19, 0x700000, v19
	v_and_b32_e32 v25, 0x80000000, v25
	v_lshl_add_u32 v20, v20, 23, v26
	v_or3_b32 v19, v25, v20, v19
	v_lshrrev_b32_e32 v20, 16, v19
.LBB774_522:
	s_or_b64 exec, exec, s[26:27]
.LBB774_523:
	s_or_b64 exec, exec, s[24:25]
	v_mov_b32_e32 v19, v20
.LBB774_524:
	s_or_b64 exec, exec, s[14:15]
	v_lshrrev_b16_e32 v20, 8, v18
	v_cmp_ne_u16_e64 s[12:13], 0, v20
	v_mov_b32_e32 v26, 0
	v_mov_b32_e32 v25, 0
	s_and_saveexec_b64 s[14:15], s[12:13]
	s_cbranch_execz .LBB774_530
; %bb.525:
	s_movk_i32 s12, 0x80
	v_cmp_ne_u16_e64 s[12:13], s12, v20
	v_mov_b32_e32 v25, 0xffff8000
	s_and_saveexec_b64 s[24:25], s[12:13]
	s_cbranch_execz .LBB774_529
; %bb.526:
	s_movk_i32 s12, 0x7f
	v_and_b32_e32 v27, 0x7f, v20
	v_cmp_ne_u32_e64 s[12:13], s12, v27
	v_mov_b32_e32 v25, 0x7f80
	s_and_saveexec_b64 s[26:27], s[12:13]
	s_cbranch_execz .LBB774_528
; %bb.527:
	v_and_b32_e32 v25, 7, v20
	v_ffbh_u32_e32 v28, v25
	v_min_u32_e32 v31, 32, v28
	v_subrev_u32_e32 v28, 28, v31
	v_lshlrev_b64 v[28:29], v28, v[20:21]
	v_lshrrev_b32_e32 v30, 3, v27
	v_sub_u32_e32 v20, 29, v31
	v_and_b32_e32 v28, 7, v28
	v_cmp_gt_u32_e64 s[12:13], 8, v27
	v_cndmask_b32_e64 v20, v30, v20, s[12:13]
	v_cndmask_b32_e64 v25, v25, v28, s[12:13]
	v_lshlrev_b32_e32 v18, 16, v18
	v_bfrev_b32_e32 v27, 60
	v_lshlrev_b32_e32 v25, 20, v25
	v_and_b32_e32 v18, 0x80000000, v18
	v_lshl_add_u32 v20, v20, 23, v27
	v_or3_b32 v18, v18, v20, v25
	v_lshrrev_b32_e32 v25, 16, v18
.LBB774_528:
	s_or_b64 exec, exec, s[26:27]
.LBB774_529:
	s_or_b64 exec, exec, s[24:25]
.LBB774_530:
	s_or_b64 exec, exec, s[14:15]
	s_movk_i32 s12, 0xff
	v_and_b32_sdwa v20, v15, s12 dst_sel:DWORD dst_unused:UNUSED_PAD src0_sel:WORD_1 src1_sel:DWORD
	v_lshrrev_b32_e32 v18, 16, v15
	v_cmp_ne_u16_e64 s[12:13], 0, v20
	s_and_saveexec_b64 s[14:15], s[12:13]
	s_cbranch_execz .LBB774_536
; %bb.531:
	s_movk_i32 s12, 0x80
	v_cmp_ne_u16_e64 s[12:13], s12, v20
	v_mov_b32_e32 v26, 0xffff8000
	s_and_saveexec_b64 s[24:25], s[12:13]
	s_cbranch_execz .LBB774_535
; %bb.532:
	v_bfe_u32 v20, v15, 16, 7
	s_movk_i32 s12, 0x7f
	v_cmp_ne_u32_e64 s[12:13], s12, v20
	v_mov_b32_e32 v26, 0x7f80
	s_and_saveexec_b64 s[26:27], s[12:13]
	s_cbranch_execz .LBB774_534
; %bb.533:
	v_and_b32_e32 v28, 7, v18
	v_ffbh_u32_e32 v26, v28
	v_min_u32_e32 v30, 32, v26
	v_subrev_u32_e32 v26, 28, v30
	v_lshlrev_b64 v[26:27], v26, v[18:19]
	v_and_b32_e32 v26, 7, v26
	v_cmp_gt_u32_e64 s[12:13], 8, v20
	v_lshrrev_b32_e32 v29, 3, v20
	v_sub_u32_e32 v18, 29, v30
	v_cndmask_b32_e64 v20, v28, v26, s[12:13]
	v_mov_b32_e32 v26, 24
	v_cndmask_b32_e64 v18, v29, v18, s[12:13]
	v_lshlrev_b32_sdwa v26, v26, v15 dst_sel:DWORD dst_unused:UNUSED_PAD src0_sel:DWORD src1_sel:WORD_1
	v_bfrev_b32_e32 v27, 60
	v_lshlrev_b32_e32 v20, 20, v20
	v_and_b32_e32 v26, 0x80000000, v26
	v_lshl_add_u32 v18, v18, 23, v27
	v_or3_b32 v18, v26, v18, v20
	v_lshrrev_b32_e32 v26, 16, v18
.LBB774_534:
	s_or_b64 exec, exec, s[26:27]
.LBB774_535:
	s_or_b64 exec, exec, s[24:25]
.LBB774_536:
	s_or_b64 exec, exec, s[14:15]
	s_mov_b32 s12, -1
	s_mov_b32 s13, 0xffffff
	v_cmp_lt_u64_e64 s[12:13], s[12:13], v[14:15]
	v_mov_b32_e32 v20, 0
	v_mov_b32_e32 v18, 0
	s_and_saveexec_b64 s[14:15], s[12:13]
	s_cbranch_execz .LBB774_542
; %bb.537:
	v_lshrrev_b32_e32 v14, 24, v15
	s_movk_i32 s12, 0x80
	v_cmp_ne_u32_e64 s[12:13], s12, v14
	v_mov_b32_e32 v18, 0xffff8000
	s_and_saveexec_b64 s[24:25], s[12:13]
	s_cbranch_execz .LBB774_541
; %bb.538:
	v_bfe_u32 v15, v15, 24, 7
	s_movk_i32 s12, 0x7f
	v_cmp_ne_u32_e64 s[12:13], s12, v15
	v_mov_b32_e32 v18, 0x7f80
	s_and_saveexec_b64 s[26:27], s[12:13]
	s_cbranch_execz .LBB774_540
; %bb.539:
	v_and_b32_e32 v18, 7, v14
	v_ffbh_u32_e32 v28, v18
	v_min_u32_e32 v30, 32, v28
	v_subrev_u32_e32 v28, 28, v30
	v_lshlrev_b64 v[28:29], v28, v[14:15]
	v_lshrrev_b32_e32 v27, 3, v15
	v_sub_u32_e32 v29, 29, v30
	v_and_b32_e32 v28, 7, v28
	v_cmp_gt_u32_e64 s[12:13], 8, v15
	v_cndmask_b32_e64 v15, v27, v29, s[12:13]
	v_cndmask_b32_e64 v18, v18, v28, s[12:13]
	v_lshlrev_b32_e32 v14, 24, v14
	v_bfrev_b32_e32 v27, 60
	v_lshlrev_b32_e32 v18, 20, v18
	v_and_b32_e32 v14, 0x80000000, v14
	v_lshl_add_u32 v15, v15, 23, v27
	v_or3_b32 v14, v14, v15, v18
	v_lshrrev_b32_e32 v18, 16, v14
.LBB774_540:
	s_or_b64 exec, exec, s[26:27]
.LBB774_541:
	s_or_b64 exec, exec, s[24:25]
.LBB774_542:
	s_or_b64 exec, exec, s[14:15]
	s_mov_b32 s12, 0x5040100
	v_perm_b32 v15, v24, v23, s12
	v_perm_b32 v14, v21, v22, s12
	;; [unrolled: 1-line block ×4, first 2 shown]
	v_mfma_f32_4x4x4bf16_1k a[0:3], v[2:3], v[14:15], a[0:3] cbsz:4 abid:10
	v_cmp_ne_u16_sdwa s[12:13], v16, v20 src0_sel:BYTE_0 src1_sel:DWORD
	v_mfma_f32_4x4x4bf16_1k a[0:3], v[4:5], v[22:23], a[0:3] cbsz:4 abid:10
	s_and_saveexec_b64 s[14:15], s[12:13]
	s_cbranch_execz .LBB774_548
; %bb.543:
	s_movk_i32 s12, 0x80
	v_cmp_ne_u16_sdwa s[12:13], v16, s12 src0_sel:BYTE_0 src1_sel:DWORD
	v_mov_b32_e32 v20, 0xffff8000
	s_and_saveexec_b64 s[24:25], s[12:13]
	s_cbranch_execz .LBB774_547
; %bb.544:
	s_movk_i32 s12, 0x7f
	v_and_b32_e32 v14, 0x7f, v16
	v_cmp_ne_u32_e64 s[12:13], s12, v14
	v_mov_b32_e32 v20, 0x7f80
	s_and_saveexec_b64 s[26:27], s[12:13]
	s_cbranch_execz .LBB774_546
; %bb.545:
	v_and_b32_e32 v15, 7, v16
	v_ffbh_u32_e32 v15, v15
	v_min_u32_e32 v15, 32, v15
	v_subrev_u32_e32 v19, 28, v15
	v_cmp_gt_u32_e64 s[12:13], 8, v14
	v_lshrrev_b32_e32 v18, 3, v14
	v_sub_u32_e32 v15, 29, v15
	v_cndmask_b32_e64 v14, 0, v19, s[12:13]
	v_cndmask_b32_e64 v18, v18, v15, s[12:13]
	v_lshlrev_b64 v[14:15], v14, v[16:17]
	v_lshlrev_b32_e32 v14, 20, v14
	v_lshlrev_b32_e32 v15, 24, v16
	v_bfrev_b32_e32 v19, 60
	v_and_b32_e32 v14, 0x700000, v14
	v_and_b32_e32 v15, 0x80000000, v15
	v_lshl_add_u32 v18, v18, 23, v19
	v_or3_b32 v14, v15, v18, v14
	v_lshrrev_b32_e32 v20, 16, v14
.LBB774_546:
	s_or_b64 exec, exec, s[26:27]
.LBB774_547:
	s_or_b64 exec, exec, s[24:25]
.LBB774_548:
	s_or_b64 exec, exec, s[14:15]
	v_lshrrev_b16_e32 v14, 8, v16
	v_cmp_ne_u16_e64 s[12:13], 0, v14
	v_mov_b32_e32 v21, 0
	v_mov_b32_e32 v19, 0
	s_and_saveexec_b64 s[14:15], s[12:13]
	s_cbranch_execz .LBB774_554
; %bb.549:
	s_movk_i32 s12, 0x80
	v_cmp_ne_u16_e64 s[12:13], s12, v14
	v_mov_b32_e32 v19, 0xffff8000
	s_and_saveexec_b64 s[24:25], s[12:13]
	s_cbranch_execz .LBB774_553
; %bb.550:
	s_movk_i32 s12, 0x7f
	v_and_b32_e32 v15, 0x7f, v14
	v_cmp_ne_u32_e64 s[12:13], s12, v15
	v_mov_b32_e32 v19, 0x7f80
	s_and_saveexec_b64 s[26:27], s[12:13]
	s_cbranch_execz .LBB774_552
; %bb.551:
	v_and_b32_e32 v22, 7, v14
	v_ffbh_u32_e32 v18, v22
	v_min_u32_e32 v24, 32, v18
	v_subrev_u32_e32 v18, 28, v24
	v_lshlrev_b64 v[18:19], v18, v[14:15]
	v_lshrrev_b32_e32 v23, 3, v15
	v_sub_u32_e32 v14, 29, v24
	v_and_b32_e32 v18, 7, v18
	v_cmp_gt_u32_e64 s[12:13], 8, v15
	v_cndmask_b32_e64 v14, v23, v14, s[12:13]
	v_cndmask_b32_e64 v15, v22, v18, s[12:13]
	v_lshlrev_b32_e32 v18, 16, v16
	v_bfrev_b32_e32 v19, 60
	v_lshlrev_b32_e32 v15, 20, v15
	v_and_b32_e32 v18, 0x80000000, v18
	v_lshl_add_u32 v14, v14, 23, v19
	v_or3_b32 v14, v18, v14, v15
	v_lshrrev_b32_e32 v19, 16, v14
.LBB774_552:
	s_or_b64 exec, exec, s[26:27]
.LBB774_553:
	s_or_b64 exec, exec, s[24:25]
.LBB774_554:
	s_or_b64 exec, exec, s[14:15]
	s_movk_i32 s12, 0xff
	v_and_b32_sdwa v15, v16, s12 dst_sel:DWORD dst_unused:UNUSED_PAD src0_sel:WORD_1 src1_sel:DWORD
	v_lshrrev_b32_e32 v14, 16, v16
	v_cmp_ne_u16_e64 s[12:13], 0, v15
	s_and_saveexec_b64 s[14:15], s[12:13]
	s_cbranch_execz .LBB774_560
; %bb.555:
	s_movk_i32 s12, 0x80
	v_cmp_ne_u16_e64 s[12:13], s12, v15
	v_mov_b32_e32 v21, 0xffff8000
	s_and_saveexec_b64 s[24:25], s[12:13]
	s_cbranch_execz .LBB774_559
; %bb.556:
	v_bfe_u32 v15, v16, 16, 7
	s_movk_i32 s12, 0x7f
	v_cmp_ne_u32_e64 s[12:13], s12, v15
	v_mov_b32_e32 v21, 0x7f80
	s_and_saveexec_b64 s[26:27], s[12:13]
	s_cbranch_execz .LBB774_558
; %bb.557:
	v_and_b32_e32 v18, 7, v14
	v_ffbh_u32_e32 v22, v18
	v_min_u32_e32 v24, 32, v22
	v_subrev_u32_e32 v22, 28, v24
	v_lshlrev_b64 v[22:23], v22, v[14:15]
	v_and_b32_e32 v22, 7, v22
	v_cmp_gt_u32_e64 s[12:13], 8, v15
	v_lshrrev_b32_e32 v21, 3, v15
	v_sub_u32_e32 v14, 29, v24
	v_cndmask_b32_e64 v15, v18, v22, s[12:13]
	v_mov_b32_e32 v18, 24
	v_cndmask_b32_e64 v14, v21, v14, s[12:13]
	v_lshlrev_b32_sdwa v18, v18, v16 dst_sel:DWORD dst_unused:UNUSED_PAD src0_sel:DWORD src1_sel:WORD_1
	v_bfrev_b32_e32 v21, 60
	v_lshlrev_b32_e32 v15, 20, v15
	v_and_b32_e32 v18, 0x80000000, v18
	v_lshl_add_u32 v14, v14, 23, v21
	v_or3_b32 v14, v18, v14, v15
	v_lshrrev_b32_e32 v21, 16, v14
.LBB774_558:
	s_or_b64 exec, exec, s[26:27]
.LBB774_559:
	s_or_b64 exec, exec, s[24:25]
.LBB774_560:
	s_or_b64 exec, exec, s[14:15]
	s_mov_b32 s12, 0xffffff
	v_cmp_lt_u32_e64 s[12:13], s12, v16
	v_mov_b32_e32 v15, 0
	v_mov_b32_e32 v22, 0
	s_and_saveexec_b64 s[14:15], s[12:13]
	s_cbranch_execz .LBB774_566
; %bb.561:
	v_lshrrev_b32_e32 v14, 24, v16
	s_movk_i32 s12, 0x80
	v_cmp_ne_u32_e64 s[12:13], s12, v14
	v_mov_b32_e32 v22, 0xffff8000
	s_and_saveexec_b64 s[24:25], s[12:13]
	s_cbranch_execz .LBB774_565
; %bb.562:
	v_bfe_u32 v18, v16, 24, 7
	s_movk_i32 s12, 0x7f
	v_cmp_ne_u32_e64 s[12:13], s12, v18
	v_mov_b32_e32 v22, 0x7f80
	s_and_saveexec_b64 s[26:27], s[12:13]
	s_cbranch_execz .LBB774_564
; %bb.563:
	v_and_b32_e32 v24, 7, v14
	v_ffbh_u32_e32 v22, v24
	v_min_u32_e32 v26, 32, v22
	v_subrev_u32_e32 v22, 28, v26
	v_lshlrev_b64 v[22:23], v22, v[14:15]
	v_lshrrev_b32_e32 v25, 3, v18
	v_sub_u32_e32 v23, 29, v26
	v_and_b32_e32 v22, 7, v22
	v_cmp_gt_u32_e64 s[12:13], 8, v18
	v_cndmask_b32_e64 v18, v25, v23, s[12:13]
	v_cndmask_b32_e64 v22, v24, v22, s[12:13]
	v_lshlrev_b32_e32 v14, 24, v14
	v_bfrev_b32_e32 v23, 60
	v_lshlrev_b32_e32 v22, 20, v22
	v_and_b32_e32 v14, 0x80000000, v14
	v_lshl_add_u32 v18, v18, 23, v23
	v_or3_b32 v14, v14, v18, v22
	v_lshrrev_b32_e32 v22, 16, v14
.LBB774_564:
	s_or_b64 exec, exec, s[26:27]
.LBB774_565:
	s_or_b64 exec, exec, s[24:25]
.LBB774_566:
	s_or_b64 exec, exec, s[14:15]
	v_mov_b32_e32 v14, v17
	v_cmp_ne_u16_sdwa s[12:13], v17, v15 src0_sel:BYTE_0 src1_sel:DWORD
	s_and_saveexec_b64 s[14:15], s[12:13]
	s_cbranch_execz .LBB774_572
; %bb.567:
	s_movk_i32 s12, 0x80
	v_cmp_ne_u16_sdwa s[12:13], v17, s12 src0_sel:BYTE_0 src1_sel:DWORD
	v_mov_b32_e32 v18, 0xffff8000
	s_and_saveexec_b64 s[24:25], s[12:13]
	s_cbranch_execz .LBB774_571
; %bb.568:
	s_movk_i32 s12, 0x7f
	v_and_b32_e32 v23, 0x7f, v17
	v_cmp_ne_u32_e64 s[12:13], s12, v23
	v_mov_b32_e32 v18, 0x7f80
	s_and_saveexec_b64 s[26:27], s[12:13]
	s_cbranch_execz .LBB774_570
; %bb.569:
	v_and_b32_e32 v18, 7, v17
	v_ffbh_u32_e32 v18, v18
	v_min_u32_e32 v18, 32, v18
	v_subrev_u32_e32 v25, 28, v18
	v_cmp_gt_u32_e64 s[12:13], 8, v23
	v_lshrrev_b32_e32 v24, 3, v23
	v_sub_u32_e32 v18, 29, v18
	v_cndmask_b32_e64 v23, 0, v25, s[12:13]
	v_cndmask_b32_e64 v18, v24, v18, s[12:13]
	v_lshlrev_b64 v[24:25], v23, v[14:15]
	v_lshlrev_b32_e32 v15, 20, v24
	v_lshlrev_b32_e32 v23, 24, v14
	v_bfrev_b32_e32 v24, 60
	v_and_b32_e32 v15, 0x700000, v15
	v_and_b32_e32 v23, 0x80000000, v23
	v_lshl_add_u32 v18, v18, 23, v24
	v_or3_b32 v15, v23, v18, v15
	v_lshrrev_b32_e32 v18, 16, v15
.LBB774_570:
	s_or_b64 exec, exec, s[26:27]
.LBB774_571:
	s_or_b64 exec, exec, s[24:25]
	v_mov_b32_e32 v15, v18
.LBB774_572:
	s_or_b64 exec, exec, s[14:15]
	v_lshrrev_b16_e32 v18, 8, v14
	v_cmp_ne_u16_e64 s[12:13], 0, v18
	v_mov_b32_e32 v24, 0
	v_mov_b32_e32 v23, 0
	s_and_saveexec_b64 s[14:15], s[12:13]
	s_cbranch_execz .LBB774_578
; %bb.573:
	s_movk_i32 s12, 0x80
	v_cmp_ne_u16_e64 s[12:13], s12, v18
	v_mov_b32_e32 v23, 0xffff8000
	s_and_saveexec_b64 s[24:25], s[12:13]
	s_cbranch_execz .LBB774_577
; %bb.574:
	s_movk_i32 s12, 0x7f
	v_and_b32_e32 v25, 0x7f, v18
	v_cmp_ne_u32_e64 s[12:13], s12, v25
	v_mov_b32_e32 v23, 0x7f80
	s_and_saveexec_b64 s[26:27], s[12:13]
	s_cbranch_execz .LBB774_576
; %bb.575:
	v_and_b32_e32 v23, 7, v18
	v_ffbh_u32_e32 v26, v23
	v_min_u32_e32 v29, 32, v26
	v_subrev_u32_e32 v26, 28, v29
	v_lshlrev_b64 v[26:27], v26, v[18:19]
	v_lshrrev_b32_e32 v28, 3, v25
	v_sub_u32_e32 v18, 29, v29
	v_and_b32_e32 v26, 7, v26
	v_cmp_gt_u32_e64 s[12:13], 8, v25
	v_cndmask_b32_e64 v18, v28, v18, s[12:13]
	v_cndmask_b32_e64 v23, v23, v26, s[12:13]
	v_lshlrev_b32_e32 v14, 16, v14
	v_bfrev_b32_e32 v25, 60
	v_lshlrev_b32_e32 v23, 20, v23
	v_and_b32_e32 v14, 0x80000000, v14
	v_lshl_add_u32 v18, v18, 23, v25
	v_or3_b32 v14, v14, v18, v23
	v_lshrrev_b32_e32 v23, 16, v14
.LBB774_576:
	s_or_b64 exec, exec, s[26:27]
.LBB774_577:
	s_or_b64 exec, exec, s[24:25]
.LBB774_578:
	s_or_b64 exec, exec, s[14:15]
	s_movk_i32 s12, 0xff
	v_and_b32_sdwa v18, v17, s12 dst_sel:DWORD dst_unused:UNUSED_PAD src0_sel:WORD_1 src1_sel:DWORD
	v_lshrrev_b32_e32 v14, 16, v17
	v_cmp_ne_u16_e64 s[12:13], 0, v18
	s_and_saveexec_b64 s[14:15], s[12:13]
	s_cbranch_execz .LBB774_584
; %bb.579:
	s_movk_i32 s12, 0x80
	v_cmp_ne_u16_e64 s[12:13], s12, v18
	v_mov_b32_e32 v24, 0xffff8000
	s_and_saveexec_b64 s[24:25], s[12:13]
	s_cbranch_execz .LBB774_583
; %bb.580:
	v_bfe_u32 v18, v17, 16, 7
	s_movk_i32 s12, 0x7f
	v_cmp_ne_u32_e64 s[12:13], s12, v18
	v_mov_b32_e32 v24, 0x7f80
	s_and_saveexec_b64 s[26:27], s[12:13]
	s_cbranch_execz .LBB774_582
; %bb.581:
	v_and_b32_e32 v26, 7, v14
	v_ffbh_u32_e32 v24, v26
	v_min_u32_e32 v28, 32, v24
	v_subrev_u32_e32 v24, 28, v28
	v_lshlrev_b64 v[24:25], v24, v[14:15]
	v_and_b32_e32 v24, 7, v24
	v_cmp_gt_u32_e64 s[12:13], 8, v18
	v_lshrrev_b32_e32 v27, 3, v18
	v_sub_u32_e32 v14, 29, v28
	v_cndmask_b32_e64 v18, v26, v24, s[12:13]
	v_mov_b32_e32 v24, 24
	v_cndmask_b32_e64 v14, v27, v14, s[12:13]
	v_lshlrev_b32_sdwa v24, v24, v17 dst_sel:DWORD dst_unused:UNUSED_PAD src0_sel:DWORD src1_sel:WORD_1
	v_bfrev_b32_e32 v25, 60
	v_lshlrev_b32_e32 v18, 20, v18
	v_and_b32_e32 v24, 0x80000000, v24
	v_lshl_add_u32 v14, v14, 23, v25
	v_or3_b32 v14, v24, v14, v18
	v_lshrrev_b32_e32 v24, 16, v14
.LBB774_582:
	s_or_b64 exec, exec, s[26:27]
.LBB774_583:
	s_or_b64 exec, exec, s[24:25]
.LBB774_584:
	s_or_b64 exec, exec, s[14:15]
	s_mov_b32 s12, -1
	s_mov_b32 s13, 0xffffff
	v_cmp_lt_u64_e64 s[12:13], s[12:13], v[16:17]
	v_mov_b32_e32 v18, 0
	v_mov_b32_e32 v16, 0
	s_and_saveexec_b64 s[14:15], s[12:13]
	s_cbranch_execz .LBB774_590
; %bb.585:
	v_lshrrev_b32_e32 v14, 24, v17
	s_movk_i32 s12, 0x80
	v_cmp_ne_u32_e64 s[12:13], s12, v14
	v_mov_b32_e32 v16, 0xffff8000
	s_and_saveexec_b64 s[24:25], s[12:13]
	s_cbranch_execz .LBB774_589
; %bb.586:
	v_bfe_u32 v17, v17, 24, 7
	s_movk_i32 s12, 0x7f
	v_cmp_ne_u32_e64 s[12:13], s12, v17
	v_mov_b32_e32 v16, 0x7f80
	s_and_saveexec_b64 s[26:27], s[12:13]
	s_cbranch_execz .LBB774_588
; %bb.587:
	v_and_b32_e32 v16, 7, v14
	v_ffbh_u32_e32 v26, v16
	v_min_u32_e32 v28, 32, v26
	v_subrev_u32_e32 v26, 28, v28
	v_lshlrev_b64 v[26:27], v26, v[14:15]
	v_lshrrev_b32_e32 v25, 3, v17
	v_sub_u32_e32 v27, 29, v28
	v_and_b32_e32 v26, 7, v26
	v_cmp_gt_u32_e64 s[12:13], 8, v17
	v_cndmask_b32_e64 v17, v25, v27, s[12:13]
	v_cndmask_b32_e64 v16, v16, v26, s[12:13]
	v_lshlrev_b32_e32 v14, 24, v14
	v_bfrev_b32_e32 v25, 60
	v_lshlrev_b32_e32 v16, 20, v16
	v_and_b32_e32 v14, 0x80000000, v14
	v_lshl_add_u32 v17, v17, 23, v25
	v_or3_b32 v14, v14, v17, v16
	v_lshrrev_b32_e32 v16, 16, v14
.LBB774_588:
	s_or_b64 exec, exec, s[26:27]
.LBB774_589:
	s_or_b64 exec, exec, s[24:25]
.LBB774_590:
	s_or_b64 exec, exec, s[14:15]
	s_mov_b32 s12, 0x5040100
	v_perm_b32 v21, v22, v21, s12
	v_perm_b32 v20, v19, v20, s12
	;; [unrolled: 1-line block ×4, first 2 shown]
	v_mfma_f32_4x4x4bf16_1k a[0:3], v[2:3], v[20:21], a[0:3] cbsz:4 abid:11
	s_waitcnt vmcnt(17)
	v_cmp_ne_u16_sdwa s[12:13], v10, v18 src0_sel:BYTE_0 src1_sel:DWORD
	v_mfma_f32_4x4x4bf16_1k a[0:3], v[4:5], v[16:17], a[0:3] cbsz:4 abid:11
	s_and_saveexec_b64 s[14:15], s[12:13]
	s_cbranch_execz .LBB774_596
; %bb.591:
	s_movk_i32 s12, 0x80
	v_cmp_ne_u16_sdwa s[12:13], v10, s12 src0_sel:BYTE_0 src1_sel:DWORD
	v_mov_b32_e32 v18, 0xffff8000
	s_and_saveexec_b64 s[24:25], s[12:13]
	s_cbranch_execz .LBB774_595
; %bb.592:
	s_movk_i32 s12, 0x7f
	v_and_b32_e32 v14, 0x7f, v10
	v_cmp_ne_u32_e64 s[12:13], s12, v14
	v_mov_b32_e32 v18, 0x7f80
	s_and_saveexec_b64 s[26:27], s[12:13]
	s_cbranch_execz .LBB774_594
; %bb.593:
	v_and_b32_e32 v15, 7, v10
	v_ffbh_u32_e32 v15, v15
	v_min_u32_e32 v15, 32, v15
	v_subrev_u32_e32 v17, 28, v15
	v_cmp_gt_u32_e64 s[12:13], 8, v14
	v_lshrrev_b32_e32 v16, 3, v14
	v_sub_u32_e32 v15, 29, v15
	v_cndmask_b32_e64 v14, 0, v17, s[12:13]
	v_cndmask_b32_e64 v16, v16, v15, s[12:13]
	v_lshlrev_b64 v[14:15], v14, v[10:11]
	v_lshlrev_b32_e32 v14, 20, v14
	v_lshlrev_b32_e32 v15, 24, v10
	v_bfrev_b32_e32 v17, 60
	v_and_b32_e32 v14, 0x700000, v14
	v_and_b32_e32 v15, 0x80000000, v15
	v_lshl_add_u32 v16, v16, 23, v17
	v_or3_b32 v14, v15, v16, v14
	v_lshrrev_b32_e32 v18, 16, v14
.LBB774_594:
	s_or_b64 exec, exec, s[26:27]
.LBB774_595:
	s_or_b64 exec, exec, s[24:25]
.LBB774_596:
	s_or_b64 exec, exec, s[14:15]
	v_lshrrev_b16_e32 v14, 8, v10
	v_cmp_ne_u16_e64 s[12:13], 0, v14
	v_mov_b32_e32 v19, 0
	v_mov_b32_e32 v17, 0
	s_and_saveexec_b64 s[14:15], s[12:13]
	s_cbranch_execz .LBB774_602
; %bb.597:
	s_movk_i32 s12, 0x80
	v_cmp_ne_u16_e64 s[12:13], s12, v14
	v_mov_b32_e32 v17, 0xffff8000
	s_and_saveexec_b64 s[24:25], s[12:13]
	s_cbranch_execz .LBB774_601
; %bb.598:
	s_movk_i32 s12, 0x7f
	v_and_b32_e32 v15, 0x7f, v14
	v_cmp_ne_u32_e64 s[12:13], s12, v15
	v_mov_b32_e32 v17, 0x7f80
	s_and_saveexec_b64 s[26:27], s[12:13]
	s_cbranch_execz .LBB774_600
; %bb.599:
	v_and_b32_e32 v20, 7, v14
	v_ffbh_u32_e32 v16, v20
	v_min_u32_e32 v22, 32, v16
	v_subrev_u32_e32 v16, 28, v22
	v_lshlrev_b64 v[16:17], v16, v[14:15]
	v_lshrrev_b32_e32 v21, 3, v15
	v_sub_u32_e32 v14, 29, v22
	v_and_b32_e32 v16, 7, v16
	v_cmp_gt_u32_e64 s[12:13], 8, v15
	v_cndmask_b32_e64 v14, v21, v14, s[12:13]
	v_cndmask_b32_e64 v15, v20, v16, s[12:13]
	v_lshlrev_b32_e32 v16, 16, v10
	v_bfrev_b32_e32 v17, 60
	v_lshlrev_b32_e32 v15, 20, v15
	v_and_b32_e32 v16, 0x80000000, v16
	v_lshl_add_u32 v14, v14, 23, v17
	v_or3_b32 v14, v16, v14, v15
	v_lshrrev_b32_e32 v17, 16, v14
.LBB774_600:
	s_or_b64 exec, exec, s[26:27]
.LBB774_601:
	s_or_b64 exec, exec, s[24:25]
.LBB774_602:
	s_or_b64 exec, exec, s[14:15]
	s_movk_i32 s12, 0xff
	v_and_b32_sdwa v15, v10, s12 dst_sel:DWORD dst_unused:UNUSED_PAD src0_sel:WORD_1 src1_sel:DWORD
	v_lshrrev_b32_e32 v14, 16, v10
	v_cmp_ne_u16_e64 s[12:13], 0, v15
	s_and_saveexec_b64 s[14:15], s[12:13]
	s_cbranch_execz .LBB774_608
; %bb.603:
	s_movk_i32 s12, 0x80
	v_cmp_ne_u16_e64 s[12:13], s12, v15
	v_mov_b32_e32 v19, 0xffff8000
	s_and_saveexec_b64 s[24:25], s[12:13]
	s_cbranch_execz .LBB774_607
; %bb.604:
	v_bfe_u32 v15, v10, 16, 7
	s_movk_i32 s12, 0x7f
	v_cmp_ne_u32_e64 s[12:13], s12, v15
	v_mov_b32_e32 v19, 0x7f80
	s_and_saveexec_b64 s[26:27], s[12:13]
	s_cbranch_execz .LBB774_606
; %bb.605:
	v_and_b32_e32 v16, 7, v14
	v_ffbh_u32_e32 v20, v16
	v_min_u32_e32 v22, 32, v20
	v_subrev_u32_e32 v20, 28, v22
	v_lshlrev_b64 v[20:21], v20, v[14:15]
	v_and_b32_e32 v20, 7, v20
	v_cmp_gt_u32_e64 s[12:13], 8, v15
	v_lshrrev_b32_e32 v19, 3, v15
	v_sub_u32_e32 v14, 29, v22
	v_cndmask_b32_e64 v15, v16, v20, s[12:13]
	v_mov_b32_e32 v16, 24
	v_cndmask_b32_e64 v14, v19, v14, s[12:13]
	v_lshlrev_b32_sdwa v16, v16, v10 dst_sel:DWORD dst_unused:UNUSED_PAD src0_sel:DWORD src1_sel:WORD_1
	v_bfrev_b32_e32 v19, 60
	v_lshlrev_b32_e32 v15, 20, v15
	v_and_b32_e32 v16, 0x80000000, v16
	v_lshl_add_u32 v14, v14, 23, v19
	v_or3_b32 v14, v16, v14, v15
	v_lshrrev_b32_e32 v19, 16, v14
.LBB774_606:
	s_or_b64 exec, exec, s[26:27]
.LBB774_607:
	s_or_b64 exec, exec, s[24:25]
.LBB774_608:
	s_or_b64 exec, exec, s[14:15]
	s_mov_b32 s12, 0xffffff
	v_cmp_lt_u32_e64 s[12:13], s12, v10
	v_mov_b32_e32 v15, 0
	v_mov_b32_e32 v20, 0
	s_and_saveexec_b64 s[14:15], s[12:13]
	s_cbranch_execz .LBB774_614
; %bb.609:
	v_lshrrev_b32_e32 v14, 24, v10
	s_movk_i32 s12, 0x80
	v_cmp_ne_u32_e64 s[12:13], s12, v14
	v_mov_b32_e32 v20, 0xffff8000
	s_and_saveexec_b64 s[24:25], s[12:13]
	s_cbranch_execz .LBB774_613
; %bb.610:
	v_bfe_u32 v16, v10, 24, 7
	s_movk_i32 s12, 0x7f
	v_cmp_ne_u32_e64 s[12:13], s12, v16
	v_mov_b32_e32 v20, 0x7f80
	s_and_saveexec_b64 s[26:27], s[12:13]
	s_cbranch_execz .LBB774_612
; %bb.611:
	v_and_b32_e32 v22, 7, v14
	v_ffbh_u32_e32 v20, v22
	v_min_u32_e32 v24, 32, v20
	v_subrev_u32_e32 v20, 28, v24
	v_lshlrev_b64 v[20:21], v20, v[14:15]
	v_lshrrev_b32_e32 v23, 3, v16
	v_sub_u32_e32 v21, 29, v24
	v_and_b32_e32 v20, 7, v20
	v_cmp_gt_u32_e64 s[12:13], 8, v16
	v_cndmask_b32_e64 v16, v23, v21, s[12:13]
	v_cndmask_b32_e64 v20, v22, v20, s[12:13]
	v_lshlrev_b32_e32 v14, 24, v14
	v_bfrev_b32_e32 v21, 60
	v_lshlrev_b32_e32 v20, 20, v20
	v_and_b32_e32 v14, 0x80000000, v14
	v_lshl_add_u32 v16, v16, 23, v21
	v_or3_b32 v14, v14, v16, v20
	v_lshrrev_b32_e32 v20, 16, v14
.LBB774_612:
	s_or_b64 exec, exec, s[26:27]
.LBB774_613:
	s_or_b64 exec, exec, s[24:25]
.LBB774_614:
	s_or_b64 exec, exec, s[14:15]
	v_mov_b32_e32 v14, v11
	v_cmp_ne_u16_sdwa s[12:13], v11, v15 src0_sel:BYTE_0 src1_sel:DWORD
	s_and_saveexec_b64 s[14:15], s[12:13]
	s_cbranch_execz .LBB774_620
; %bb.615:
	s_movk_i32 s12, 0x80
	v_cmp_ne_u16_sdwa s[12:13], v11, s12 src0_sel:BYTE_0 src1_sel:DWORD
	v_mov_b32_e32 v16, 0xffff8000
	s_and_saveexec_b64 s[24:25], s[12:13]
	s_cbranch_execz .LBB774_619
; %bb.616:
	s_movk_i32 s12, 0x7f
	v_and_b32_e32 v21, 0x7f, v11
	v_cmp_ne_u32_e64 s[12:13], s12, v21
	v_mov_b32_e32 v16, 0x7f80
	s_and_saveexec_b64 s[26:27], s[12:13]
	s_cbranch_execz .LBB774_618
; %bb.617:
	v_and_b32_e32 v16, 7, v11
	v_ffbh_u32_e32 v16, v16
	v_min_u32_e32 v16, 32, v16
	v_subrev_u32_e32 v23, 28, v16
	v_cmp_gt_u32_e64 s[12:13], 8, v21
	v_lshrrev_b32_e32 v22, 3, v21
	v_sub_u32_e32 v16, 29, v16
	v_cndmask_b32_e64 v21, 0, v23, s[12:13]
	v_cndmask_b32_e64 v16, v22, v16, s[12:13]
	v_lshlrev_b64 v[22:23], v21, v[14:15]
	v_lshlrev_b32_e32 v15, 20, v22
	v_lshlrev_b32_e32 v21, 24, v14
	v_bfrev_b32_e32 v22, 60
	v_and_b32_e32 v15, 0x700000, v15
	v_and_b32_e32 v21, 0x80000000, v21
	v_lshl_add_u32 v16, v16, 23, v22
	v_or3_b32 v15, v21, v16, v15
	v_lshrrev_b32_e32 v16, 16, v15
.LBB774_618:
	s_or_b64 exec, exec, s[26:27]
.LBB774_619:
	s_or_b64 exec, exec, s[24:25]
	v_mov_b32_e32 v15, v16
.LBB774_620:
	s_or_b64 exec, exec, s[14:15]
	v_lshrrev_b16_e32 v16, 8, v14
	v_cmp_ne_u16_e64 s[12:13], 0, v16
	v_mov_b32_e32 v22, 0
	v_mov_b32_e32 v21, 0
	s_and_saveexec_b64 s[14:15], s[12:13]
	s_cbranch_execz .LBB774_626
; %bb.621:
	s_movk_i32 s12, 0x80
	v_cmp_ne_u16_e64 s[12:13], s12, v16
	v_mov_b32_e32 v21, 0xffff8000
	s_and_saveexec_b64 s[24:25], s[12:13]
	s_cbranch_execz .LBB774_625
; %bb.622:
	s_movk_i32 s12, 0x7f
	v_and_b32_e32 v23, 0x7f, v16
	v_cmp_ne_u32_e64 s[12:13], s12, v23
	v_mov_b32_e32 v21, 0x7f80
	s_and_saveexec_b64 s[26:27], s[12:13]
	s_cbranch_execz .LBB774_624
; %bb.623:
	v_and_b32_e32 v21, 7, v16
	v_ffbh_u32_e32 v24, v21
	v_min_u32_e32 v27, 32, v24
	v_subrev_u32_e32 v24, 28, v27
	v_lshlrev_b64 v[24:25], v24, v[16:17]
	v_lshrrev_b32_e32 v26, 3, v23
	v_sub_u32_e32 v16, 29, v27
	v_and_b32_e32 v24, 7, v24
	v_cmp_gt_u32_e64 s[12:13], 8, v23
	v_cndmask_b32_e64 v16, v26, v16, s[12:13]
	v_cndmask_b32_e64 v21, v21, v24, s[12:13]
	v_lshlrev_b32_e32 v14, 16, v14
	v_bfrev_b32_e32 v23, 60
	v_lshlrev_b32_e32 v21, 20, v21
	v_and_b32_e32 v14, 0x80000000, v14
	v_lshl_add_u32 v16, v16, 23, v23
	v_or3_b32 v14, v14, v16, v21
	v_lshrrev_b32_e32 v21, 16, v14
.LBB774_624:
	s_or_b64 exec, exec, s[26:27]
.LBB774_625:
	s_or_b64 exec, exec, s[24:25]
.LBB774_626:
	s_or_b64 exec, exec, s[14:15]
	s_movk_i32 s12, 0xff
	v_and_b32_sdwa v16, v11, s12 dst_sel:DWORD dst_unused:UNUSED_PAD src0_sel:WORD_1 src1_sel:DWORD
	v_lshrrev_b32_e32 v14, 16, v11
	v_cmp_ne_u16_e64 s[12:13], 0, v16
	s_and_saveexec_b64 s[14:15], s[12:13]
	s_cbranch_execz .LBB774_632
; %bb.627:
	s_movk_i32 s12, 0x80
	v_cmp_ne_u16_e64 s[12:13], s12, v16
	v_mov_b32_e32 v22, 0xffff8000
	s_and_saveexec_b64 s[24:25], s[12:13]
	s_cbranch_execz .LBB774_631
; %bb.628:
	v_bfe_u32 v16, v11, 16, 7
	s_movk_i32 s12, 0x7f
	v_cmp_ne_u32_e64 s[12:13], s12, v16
	v_mov_b32_e32 v22, 0x7f80
	s_and_saveexec_b64 s[26:27], s[12:13]
	s_cbranch_execz .LBB774_630
; %bb.629:
	v_and_b32_e32 v24, 7, v14
	v_ffbh_u32_e32 v22, v24
	v_min_u32_e32 v26, 32, v22
	v_subrev_u32_e32 v22, 28, v26
	v_lshlrev_b64 v[22:23], v22, v[14:15]
	v_and_b32_e32 v22, 7, v22
	v_cmp_gt_u32_e64 s[12:13], 8, v16
	v_lshrrev_b32_e32 v25, 3, v16
	v_sub_u32_e32 v14, 29, v26
	v_cndmask_b32_e64 v16, v24, v22, s[12:13]
	v_mov_b32_e32 v22, 24
	v_cndmask_b32_e64 v14, v25, v14, s[12:13]
	v_lshlrev_b32_sdwa v22, v22, v11 dst_sel:DWORD dst_unused:UNUSED_PAD src0_sel:DWORD src1_sel:WORD_1
	v_bfrev_b32_e32 v23, 60
	v_lshlrev_b32_e32 v16, 20, v16
	v_and_b32_e32 v22, 0x80000000, v22
	v_lshl_add_u32 v14, v14, 23, v23
	v_or3_b32 v14, v22, v14, v16
	v_lshrrev_b32_e32 v22, 16, v14
.LBB774_630:
	s_or_b64 exec, exec, s[26:27]
.LBB774_631:
	s_or_b64 exec, exec, s[24:25]
.LBB774_632:
	s_or_b64 exec, exec, s[14:15]
	s_mov_b32 s12, -1
	s_mov_b32 s13, 0xffffff
	v_cmp_lt_u64_e64 s[12:13], s[12:13], v[10:11]
	v_mov_b32_e32 v16, 0
	v_mov_b32_e32 v14, 0
	s_and_saveexec_b64 s[14:15], s[12:13]
	s_cbranch_execz .LBB774_638
; %bb.633:
	v_lshrrev_b32_e32 v10, 24, v11
	s_movk_i32 s12, 0x80
	v_cmp_ne_u32_e64 s[12:13], s12, v10
	v_mov_b32_e32 v14, 0xffff8000
	s_and_saveexec_b64 s[24:25], s[12:13]
	s_cbranch_execz .LBB774_637
; %bb.634:
	v_bfe_u32 v11, v11, 24, 7
	s_movk_i32 s12, 0x7f
	v_cmp_ne_u32_e64 s[12:13], s12, v11
	v_mov_b32_e32 v14, 0x7f80
	s_and_saveexec_b64 s[26:27], s[12:13]
	s_cbranch_execz .LBB774_636
; %bb.635:
	v_and_b32_e32 v14, 7, v10
	v_ffbh_u32_e32 v24, v14
	v_min_u32_e32 v26, 32, v24
	v_subrev_u32_e32 v24, 28, v26
	v_lshlrev_b64 v[24:25], v24, v[10:11]
	v_lshrrev_b32_e32 v23, 3, v11
	v_sub_u32_e32 v25, 29, v26
	v_and_b32_e32 v24, 7, v24
	v_cmp_gt_u32_e64 s[12:13], 8, v11
	v_cndmask_b32_e64 v11, v23, v25, s[12:13]
	v_cndmask_b32_e64 v14, v14, v24, s[12:13]
	v_lshlrev_b32_e32 v10, 24, v10
	v_bfrev_b32_e32 v23, 60
	v_lshlrev_b32_e32 v14, 20, v14
	v_and_b32_e32 v10, 0x80000000, v10
	v_lshl_add_u32 v11, v11, 23, v23
	v_or3_b32 v10, v10, v11, v14
	v_lshrrev_b32_e32 v14, 16, v10
.LBB774_636:
	s_or_b64 exec, exec, s[26:27]
.LBB774_637:
	s_or_b64 exec, exec, s[24:25]
.LBB774_638:
	s_or_b64 exec, exec, s[14:15]
	s_mov_b32 s12, 0x5040100
	v_perm_b32 v11, v20, v19, s12
	v_perm_b32 v10, v17, v18, s12
	;; [unrolled: 1-line block ×4, first 2 shown]
	v_mfma_f32_4x4x4bf16_1k a[0:3], v[2:3], v[10:11], a[0:3] cbsz:4 abid:12
	v_cmp_ne_u16_sdwa s[12:13], v12, v16 src0_sel:BYTE_0 src1_sel:DWORD
	v_mfma_f32_4x4x4bf16_1k a[0:3], v[4:5], v[18:19], a[0:3] cbsz:4 abid:12
	s_and_saveexec_b64 s[14:15], s[12:13]
	s_cbranch_execz .LBB774_644
; %bb.639:
	s_movk_i32 s12, 0x80
	v_cmp_ne_u16_sdwa s[12:13], v12, s12 src0_sel:BYTE_0 src1_sel:DWORD
	v_mov_b32_e32 v16, 0xffff8000
	s_and_saveexec_b64 s[24:25], s[12:13]
	s_cbranch_execz .LBB774_643
; %bb.640:
	s_movk_i32 s12, 0x7f
	v_and_b32_e32 v10, 0x7f, v12
	v_cmp_ne_u32_e64 s[12:13], s12, v10
	v_mov_b32_e32 v16, 0x7f80
	s_and_saveexec_b64 s[26:27], s[12:13]
	s_cbranch_execz .LBB774_642
; %bb.641:
	v_and_b32_e32 v11, 7, v12
	v_ffbh_u32_e32 v11, v11
	v_min_u32_e32 v11, 32, v11
	v_subrev_u32_e32 v15, 28, v11
	v_cmp_gt_u32_e64 s[12:13], 8, v10
	v_lshrrev_b32_e32 v14, 3, v10
	v_sub_u32_e32 v11, 29, v11
	v_cndmask_b32_e64 v10, 0, v15, s[12:13]
	v_cndmask_b32_e64 v14, v14, v11, s[12:13]
	v_lshlrev_b64 v[10:11], v10, v[12:13]
	v_lshlrev_b32_e32 v10, 20, v10
	v_lshlrev_b32_e32 v11, 24, v12
	v_bfrev_b32_e32 v15, 60
	v_and_b32_e32 v10, 0x700000, v10
	v_and_b32_e32 v11, 0x80000000, v11
	v_lshl_add_u32 v14, v14, 23, v15
	v_or3_b32 v10, v11, v14, v10
	v_lshrrev_b32_e32 v16, 16, v10
.LBB774_642:
	s_or_b64 exec, exec, s[26:27]
.LBB774_643:
	s_or_b64 exec, exec, s[24:25]
.LBB774_644:
	s_or_b64 exec, exec, s[14:15]
	v_lshrrev_b16_e32 v10, 8, v12
	v_cmp_ne_u16_e64 s[12:13], 0, v10
	v_mov_b32_e32 v17, 0
	v_mov_b32_e32 v15, 0
	s_and_saveexec_b64 s[14:15], s[12:13]
	s_cbranch_execz .LBB774_650
; %bb.645:
	s_movk_i32 s12, 0x80
	v_cmp_ne_u16_e64 s[12:13], s12, v10
	v_mov_b32_e32 v15, 0xffff8000
	s_and_saveexec_b64 s[24:25], s[12:13]
	s_cbranch_execz .LBB774_649
; %bb.646:
	s_movk_i32 s12, 0x7f
	v_and_b32_e32 v11, 0x7f, v10
	v_cmp_ne_u32_e64 s[12:13], s12, v11
	v_mov_b32_e32 v15, 0x7f80
	s_and_saveexec_b64 s[26:27], s[12:13]
	s_cbranch_execz .LBB774_648
; %bb.647:
	v_and_b32_e32 v18, 7, v10
	v_ffbh_u32_e32 v14, v18
	v_min_u32_e32 v20, 32, v14
	v_subrev_u32_e32 v14, 28, v20
	v_lshlrev_b64 v[14:15], v14, v[10:11]
	v_lshrrev_b32_e32 v19, 3, v11
	v_sub_u32_e32 v10, 29, v20
	v_and_b32_e32 v14, 7, v14
	v_cmp_gt_u32_e64 s[12:13], 8, v11
	v_cndmask_b32_e64 v10, v19, v10, s[12:13]
	v_cndmask_b32_e64 v11, v18, v14, s[12:13]
	v_lshlrev_b32_e32 v14, 16, v12
	v_bfrev_b32_e32 v15, 60
	v_lshlrev_b32_e32 v11, 20, v11
	v_and_b32_e32 v14, 0x80000000, v14
	v_lshl_add_u32 v10, v10, 23, v15
	v_or3_b32 v10, v14, v10, v11
	v_lshrrev_b32_e32 v15, 16, v10
.LBB774_648:
	s_or_b64 exec, exec, s[26:27]
.LBB774_649:
	s_or_b64 exec, exec, s[24:25]
.LBB774_650:
	s_or_b64 exec, exec, s[14:15]
	s_movk_i32 s12, 0xff
	v_and_b32_sdwa v11, v12, s12 dst_sel:DWORD dst_unused:UNUSED_PAD src0_sel:WORD_1 src1_sel:DWORD
	v_lshrrev_b32_e32 v10, 16, v12
	v_cmp_ne_u16_e64 s[12:13], 0, v11
	s_and_saveexec_b64 s[14:15], s[12:13]
	s_cbranch_execz .LBB774_656
; %bb.651:
	s_movk_i32 s12, 0x80
	v_cmp_ne_u16_e64 s[12:13], s12, v11
	v_mov_b32_e32 v17, 0xffff8000
	s_and_saveexec_b64 s[24:25], s[12:13]
	s_cbranch_execz .LBB774_655
; %bb.652:
	v_bfe_u32 v11, v12, 16, 7
	s_movk_i32 s12, 0x7f
	v_cmp_ne_u32_e64 s[12:13], s12, v11
	v_mov_b32_e32 v17, 0x7f80
	s_and_saveexec_b64 s[26:27], s[12:13]
	s_cbranch_execz .LBB774_654
; %bb.653:
	v_and_b32_e32 v14, 7, v10
	v_ffbh_u32_e32 v18, v14
	v_min_u32_e32 v20, 32, v18
	v_subrev_u32_e32 v18, 28, v20
	v_lshlrev_b64 v[18:19], v18, v[10:11]
	v_and_b32_e32 v18, 7, v18
	v_cmp_gt_u32_e64 s[12:13], 8, v11
	v_lshrrev_b32_e32 v17, 3, v11
	v_sub_u32_e32 v10, 29, v20
	v_cndmask_b32_e64 v11, v14, v18, s[12:13]
	v_mov_b32_e32 v14, 24
	v_cndmask_b32_e64 v10, v17, v10, s[12:13]
	v_lshlrev_b32_sdwa v14, v14, v12 dst_sel:DWORD dst_unused:UNUSED_PAD src0_sel:DWORD src1_sel:WORD_1
	v_bfrev_b32_e32 v17, 60
	v_lshlrev_b32_e32 v11, 20, v11
	v_and_b32_e32 v14, 0x80000000, v14
	v_lshl_add_u32 v10, v10, 23, v17
	v_or3_b32 v10, v14, v10, v11
	v_lshrrev_b32_e32 v17, 16, v10
.LBB774_654:
	s_or_b64 exec, exec, s[26:27]
.LBB774_655:
	s_or_b64 exec, exec, s[24:25]
.LBB774_656:
	s_or_b64 exec, exec, s[14:15]
	s_mov_b32 s12, 0xffffff
	v_cmp_lt_u32_e64 s[12:13], s12, v12
	v_mov_b32_e32 v11, 0
	v_mov_b32_e32 v18, 0
	s_and_saveexec_b64 s[14:15], s[12:13]
	s_cbranch_execz .LBB774_662
; %bb.657:
	v_lshrrev_b32_e32 v10, 24, v12
	s_movk_i32 s12, 0x80
	v_cmp_ne_u32_e64 s[12:13], s12, v10
	v_mov_b32_e32 v18, 0xffff8000
	s_and_saveexec_b64 s[24:25], s[12:13]
	s_cbranch_execz .LBB774_661
; %bb.658:
	v_bfe_u32 v14, v12, 24, 7
	s_movk_i32 s12, 0x7f
	v_cmp_ne_u32_e64 s[12:13], s12, v14
	v_mov_b32_e32 v18, 0x7f80
	s_and_saveexec_b64 s[26:27], s[12:13]
	s_cbranch_execz .LBB774_660
; %bb.659:
	v_and_b32_e32 v20, 7, v10
	v_ffbh_u32_e32 v18, v20
	v_min_u32_e32 v22, 32, v18
	v_subrev_u32_e32 v18, 28, v22
	v_lshlrev_b64 v[18:19], v18, v[10:11]
	v_lshrrev_b32_e32 v21, 3, v14
	v_sub_u32_e32 v19, 29, v22
	v_and_b32_e32 v18, 7, v18
	v_cmp_gt_u32_e64 s[12:13], 8, v14
	v_cndmask_b32_e64 v14, v21, v19, s[12:13]
	v_cndmask_b32_e64 v18, v20, v18, s[12:13]
	v_lshlrev_b32_e32 v10, 24, v10
	v_bfrev_b32_e32 v19, 60
	v_lshlrev_b32_e32 v18, 20, v18
	v_and_b32_e32 v10, 0x80000000, v10
	v_lshl_add_u32 v14, v14, 23, v19
	v_or3_b32 v10, v10, v14, v18
	v_lshrrev_b32_e32 v18, 16, v10
.LBB774_660:
	s_or_b64 exec, exec, s[26:27]
.LBB774_661:
	s_or_b64 exec, exec, s[24:25]
.LBB774_662:
	s_or_b64 exec, exec, s[14:15]
	v_mov_b32_e32 v10, v13
	v_cmp_ne_u16_sdwa s[12:13], v13, v11 src0_sel:BYTE_0 src1_sel:DWORD
	s_and_saveexec_b64 s[14:15], s[12:13]
	s_cbranch_execz .LBB774_668
; %bb.663:
	s_movk_i32 s12, 0x80
	v_cmp_ne_u16_sdwa s[12:13], v13, s12 src0_sel:BYTE_0 src1_sel:DWORD
	v_mov_b32_e32 v14, 0xffff8000
	s_and_saveexec_b64 s[24:25], s[12:13]
	s_cbranch_execz .LBB774_667
; %bb.664:
	s_movk_i32 s12, 0x7f
	v_and_b32_e32 v19, 0x7f, v13
	v_cmp_ne_u32_e64 s[12:13], s12, v19
	v_mov_b32_e32 v14, 0x7f80
	s_and_saveexec_b64 s[26:27], s[12:13]
	s_cbranch_execz .LBB774_666
; %bb.665:
	v_and_b32_e32 v14, 7, v13
	v_ffbh_u32_e32 v14, v14
	v_min_u32_e32 v14, 32, v14
	v_subrev_u32_e32 v21, 28, v14
	v_cmp_gt_u32_e64 s[12:13], 8, v19
	v_lshrrev_b32_e32 v20, 3, v19
	v_sub_u32_e32 v14, 29, v14
	v_cndmask_b32_e64 v19, 0, v21, s[12:13]
	v_cndmask_b32_e64 v14, v20, v14, s[12:13]
	v_lshlrev_b64 v[20:21], v19, v[10:11]
	v_lshlrev_b32_e32 v11, 20, v20
	v_lshlrev_b32_e32 v19, 24, v10
	v_bfrev_b32_e32 v20, 60
	v_and_b32_e32 v11, 0x700000, v11
	v_and_b32_e32 v19, 0x80000000, v19
	v_lshl_add_u32 v14, v14, 23, v20
	v_or3_b32 v11, v19, v14, v11
	v_lshrrev_b32_e32 v14, 16, v11
.LBB774_666:
	s_or_b64 exec, exec, s[26:27]
.LBB774_667:
	s_or_b64 exec, exec, s[24:25]
	v_mov_b32_e32 v11, v14
.LBB774_668:
	s_or_b64 exec, exec, s[14:15]
	v_lshrrev_b16_e32 v14, 8, v10
	v_cmp_ne_u16_e64 s[12:13], 0, v14
	v_mov_b32_e32 v20, 0
	v_mov_b32_e32 v19, 0
	s_and_saveexec_b64 s[14:15], s[12:13]
	s_cbranch_execz .LBB774_674
; %bb.669:
	s_movk_i32 s12, 0x80
	v_cmp_ne_u16_e64 s[12:13], s12, v14
	v_mov_b32_e32 v19, 0xffff8000
	s_and_saveexec_b64 s[24:25], s[12:13]
	s_cbranch_execz .LBB774_673
; %bb.670:
	s_movk_i32 s12, 0x7f
	v_and_b32_e32 v21, 0x7f, v14
	v_cmp_ne_u32_e64 s[12:13], s12, v21
	v_mov_b32_e32 v19, 0x7f80
	s_and_saveexec_b64 s[26:27], s[12:13]
	s_cbranch_execz .LBB774_672
; %bb.671:
	v_and_b32_e32 v19, 7, v14
	v_ffbh_u32_e32 v22, v19
	v_min_u32_e32 v25, 32, v22
	v_subrev_u32_e32 v22, 28, v25
	v_lshlrev_b64 v[22:23], v22, v[14:15]
	v_lshrrev_b32_e32 v24, 3, v21
	v_sub_u32_e32 v14, 29, v25
	v_and_b32_e32 v22, 7, v22
	v_cmp_gt_u32_e64 s[12:13], 8, v21
	v_cndmask_b32_e64 v14, v24, v14, s[12:13]
	v_cndmask_b32_e64 v19, v19, v22, s[12:13]
	v_lshlrev_b32_e32 v10, 16, v10
	v_bfrev_b32_e32 v21, 60
	v_lshlrev_b32_e32 v19, 20, v19
	v_and_b32_e32 v10, 0x80000000, v10
	v_lshl_add_u32 v14, v14, 23, v21
	v_or3_b32 v10, v10, v14, v19
	v_lshrrev_b32_e32 v19, 16, v10
.LBB774_672:
	s_or_b64 exec, exec, s[26:27]
.LBB774_673:
	s_or_b64 exec, exec, s[24:25]
.LBB774_674:
	s_or_b64 exec, exec, s[14:15]
	s_movk_i32 s12, 0xff
	v_and_b32_sdwa v14, v13, s12 dst_sel:DWORD dst_unused:UNUSED_PAD src0_sel:WORD_1 src1_sel:DWORD
	v_lshrrev_b32_e32 v10, 16, v13
	v_cmp_ne_u16_e64 s[12:13], 0, v14
	s_and_saveexec_b64 s[14:15], s[12:13]
	s_cbranch_execz .LBB774_680
; %bb.675:
	s_movk_i32 s12, 0x80
	v_cmp_ne_u16_e64 s[12:13], s12, v14
	v_mov_b32_e32 v20, 0xffff8000
	s_and_saveexec_b64 s[24:25], s[12:13]
	s_cbranch_execz .LBB774_679
; %bb.676:
	v_bfe_u32 v14, v13, 16, 7
	s_movk_i32 s12, 0x7f
	v_cmp_ne_u32_e64 s[12:13], s12, v14
	v_mov_b32_e32 v20, 0x7f80
	s_and_saveexec_b64 s[26:27], s[12:13]
	s_cbranch_execz .LBB774_678
; %bb.677:
	v_and_b32_e32 v22, 7, v10
	v_ffbh_u32_e32 v20, v22
	v_min_u32_e32 v24, 32, v20
	v_subrev_u32_e32 v20, 28, v24
	v_lshlrev_b64 v[20:21], v20, v[10:11]
	v_and_b32_e32 v20, 7, v20
	v_cmp_gt_u32_e64 s[12:13], 8, v14
	v_lshrrev_b32_e32 v23, 3, v14
	v_sub_u32_e32 v10, 29, v24
	v_cndmask_b32_e64 v14, v22, v20, s[12:13]
	v_mov_b32_e32 v20, 24
	v_cndmask_b32_e64 v10, v23, v10, s[12:13]
	v_lshlrev_b32_sdwa v20, v20, v13 dst_sel:DWORD dst_unused:UNUSED_PAD src0_sel:DWORD src1_sel:WORD_1
	v_bfrev_b32_e32 v21, 60
	v_lshlrev_b32_e32 v14, 20, v14
	v_and_b32_e32 v20, 0x80000000, v20
	v_lshl_add_u32 v10, v10, 23, v21
	v_or3_b32 v10, v20, v10, v14
	v_lshrrev_b32_e32 v20, 16, v10
.LBB774_678:
	s_or_b64 exec, exec, s[26:27]
.LBB774_679:
	s_or_b64 exec, exec, s[24:25]
.LBB774_680:
	s_or_b64 exec, exec, s[14:15]
	s_mov_b32 s12, -1
	s_mov_b32 s13, 0xffffff
	v_cmp_lt_u64_e64 s[12:13], s[12:13], v[12:13]
	v_mov_b32_e32 v14, 0
	v_mov_b32_e32 v12, 0
	s_and_saveexec_b64 s[14:15], s[12:13]
	s_cbranch_execz .LBB774_686
; %bb.681:
	v_lshrrev_b32_e32 v10, 24, v13
	s_movk_i32 s12, 0x80
	v_cmp_ne_u32_e64 s[12:13], s12, v10
	v_mov_b32_e32 v12, 0xffff8000
	s_and_saveexec_b64 s[24:25], s[12:13]
	s_cbranch_execz .LBB774_685
; %bb.682:
	v_bfe_u32 v13, v13, 24, 7
	s_movk_i32 s12, 0x7f
	v_cmp_ne_u32_e64 s[12:13], s12, v13
	v_mov_b32_e32 v12, 0x7f80
	s_and_saveexec_b64 s[26:27], s[12:13]
	s_cbranch_execz .LBB774_684
; %bb.683:
	v_and_b32_e32 v12, 7, v10
	v_ffbh_u32_e32 v22, v12
	v_min_u32_e32 v24, 32, v22
	v_subrev_u32_e32 v22, 28, v24
	v_lshlrev_b64 v[22:23], v22, v[10:11]
	v_lshrrev_b32_e32 v21, 3, v13
	v_sub_u32_e32 v23, 29, v24
	v_and_b32_e32 v22, 7, v22
	v_cmp_gt_u32_e64 s[12:13], 8, v13
	v_cndmask_b32_e64 v13, v21, v23, s[12:13]
	v_cndmask_b32_e64 v12, v12, v22, s[12:13]
	v_lshlrev_b32_e32 v10, 24, v10
	v_bfrev_b32_e32 v21, 60
	v_lshlrev_b32_e32 v12, 20, v12
	v_and_b32_e32 v10, 0x80000000, v10
	v_lshl_add_u32 v13, v13, 23, v21
	v_or3_b32 v10, v10, v13, v12
	v_lshrrev_b32_e32 v12, 16, v10
.LBB774_684:
	s_or_b64 exec, exec, s[26:27]
.LBB774_685:
	s_or_b64 exec, exec, s[24:25]
.LBB774_686:
	s_or_b64 exec, exec, s[14:15]
	s_mov_b32 s12, 0x5040100
	v_perm_b32 v17, v18, v17, s12
	v_perm_b32 v16, v15, v16, s12
	v_perm_b32 v13, v12, v20, s12
	v_perm_b32 v12, v19, v11, s12
	v_mfma_f32_4x4x4bf16_1k a[0:3], v[2:3], v[16:17], a[0:3] cbsz:4 abid:13
	s_waitcnt vmcnt(16)
	v_cmp_ne_u16_sdwa s[12:13], v6, v14 src0_sel:BYTE_0 src1_sel:DWORD
	v_mfma_f32_4x4x4bf16_1k a[0:3], v[4:5], v[12:13], a[0:3] cbsz:4 abid:13
	s_and_saveexec_b64 s[14:15], s[12:13]
	s_cbranch_execz .LBB774_692
; %bb.687:
	s_movk_i32 s12, 0x80
	v_cmp_ne_u16_sdwa s[12:13], v6, s12 src0_sel:BYTE_0 src1_sel:DWORD
	v_mov_b32_e32 v14, 0xffff8000
	s_and_saveexec_b64 s[24:25], s[12:13]
	s_cbranch_execz .LBB774_691
; %bb.688:
	s_movk_i32 s12, 0x7f
	v_and_b32_e32 v10, 0x7f, v6
	v_cmp_ne_u32_e64 s[12:13], s12, v10
	v_mov_b32_e32 v14, 0x7f80
	s_and_saveexec_b64 s[26:27], s[12:13]
	s_cbranch_execz .LBB774_690
; %bb.689:
	v_and_b32_e32 v11, 7, v6
	v_ffbh_u32_e32 v11, v11
	v_min_u32_e32 v11, 32, v11
	v_subrev_u32_e32 v13, 28, v11
	v_cmp_gt_u32_e64 s[12:13], 8, v10
	v_lshrrev_b32_e32 v12, 3, v10
	v_sub_u32_e32 v11, 29, v11
	v_cndmask_b32_e64 v10, 0, v13, s[12:13]
	v_cndmask_b32_e64 v12, v12, v11, s[12:13]
	v_lshlrev_b64 v[10:11], v10, v[6:7]
	v_lshlrev_b32_e32 v10, 20, v10
	v_lshlrev_b32_e32 v11, 24, v6
	v_bfrev_b32_e32 v13, 60
	v_and_b32_e32 v10, 0x700000, v10
	v_and_b32_e32 v11, 0x80000000, v11
	v_lshl_add_u32 v12, v12, 23, v13
	v_or3_b32 v10, v11, v12, v10
	v_lshrrev_b32_e32 v14, 16, v10
.LBB774_690:
	s_or_b64 exec, exec, s[26:27]
.LBB774_691:
	s_or_b64 exec, exec, s[24:25]
.LBB774_692:
	s_or_b64 exec, exec, s[14:15]
	v_lshrrev_b16_e32 v10, 8, v6
	v_cmp_ne_u16_e64 s[12:13], 0, v10
	v_mov_b32_e32 v15, 0
	v_mov_b32_e32 v13, 0
	s_and_saveexec_b64 s[14:15], s[12:13]
	s_cbranch_execz .LBB774_698
; %bb.693:
	s_movk_i32 s12, 0x80
	v_cmp_ne_u16_e64 s[12:13], s12, v10
	v_mov_b32_e32 v13, 0xffff8000
	s_and_saveexec_b64 s[24:25], s[12:13]
	s_cbranch_execz .LBB774_697
; %bb.694:
	s_movk_i32 s12, 0x7f
	v_and_b32_e32 v11, 0x7f, v10
	v_cmp_ne_u32_e64 s[12:13], s12, v11
	v_mov_b32_e32 v13, 0x7f80
	s_and_saveexec_b64 s[26:27], s[12:13]
	s_cbranch_execz .LBB774_696
; %bb.695:
	v_and_b32_e32 v16, 7, v10
	v_ffbh_u32_e32 v12, v16
	v_min_u32_e32 v18, 32, v12
	v_subrev_u32_e32 v12, 28, v18
	v_lshlrev_b64 v[12:13], v12, v[10:11]
	v_lshrrev_b32_e32 v17, 3, v11
	v_sub_u32_e32 v10, 29, v18
	v_and_b32_e32 v12, 7, v12
	v_cmp_gt_u32_e64 s[12:13], 8, v11
	v_cndmask_b32_e64 v10, v17, v10, s[12:13]
	v_cndmask_b32_e64 v11, v16, v12, s[12:13]
	v_lshlrev_b32_e32 v12, 16, v6
	v_bfrev_b32_e32 v13, 60
	v_lshlrev_b32_e32 v11, 20, v11
	v_and_b32_e32 v12, 0x80000000, v12
	v_lshl_add_u32 v10, v10, 23, v13
	v_or3_b32 v10, v12, v10, v11
	v_lshrrev_b32_e32 v13, 16, v10
.LBB774_696:
	s_or_b64 exec, exec, s[26:27]
.LBB774_697:
	s_or_b64 exec, exec, s[24:25]
.LBB774_698:
	s_or_b64 exec, exec, s[14:15]
	s_movk_i32 s12, 0xff
	v_and_b32_sdwa v11, v6, s12 dst_sel:DWORD dst_unused:UNUSED_PAD src0_sel:WORD_1 src1_sel:DWORD
	v_lshrrev_b32_e32 v10, 16, v6
	v_cmp_ne_u16_e64 s[12:13], 0, v11
	s_and_saveexec_b64 s[14:15], s[12:13]
	s_cbranch_execz .LBB774_704
; %bb.699:
	s_movk_i32 s12, 0x80
	v_cmp_ne_u16_e64 s[12:13], s12, v11
	v_mov_b32_e32 v15, 0xffff8000
	s_and_saveexec_b64 s[24:25], s[12:13]
	s_cbranch_execz .LBB774_703
; %bb.700:
	v_bfe_u32 v11, v6, 16, 7
	s_movk_i32 s12, 0x7f
	v_cmp_ne_u32_e64 s[12:13], s12, v11
	v_mov_b32_e32 v15, 0x7f80
	s_and_saveexec_b64 s[26:27], s[12:13]
	s_cbranch_execz .LBB774_702
; %bb.701:
	v_and_b32_e32 v12, 7, v10
	v_ffbh_u32_e32 v16, v12
	v_min_u32_e32 v18, 32, v16
	v_subrev_u32_e32 v16, 28, v18
	v_lshlrev_b64 v[16:17], v16, v[10:11]
	v_and_b32_e32 v16, 7, v16
	v_cmp_gt_u32_e64 s[12:13], 8, v11
	v_lshrrev_b32_e32 v15, 3, v11
	v_sub_u32_e32 v10, 29, v18
	v_cndmask_b32_e64 v11, v12, v16, s[12:13]
	v_mov_b32_e32 v12, 24
	v_cndmask_b32_e64 v10, v15, v10, s[12:13]
	v_lshlrev_b32_sdwa v12, v12, v6 dst_sel:DWORD dst_unused:UNUSED_PAD src0_sel:DWORD src1_sel:WORD_1
	v_bfrev_b32_e32 v15, 60
	v_lshlrev_b32_e32 v11, 20, v11
	v_and_b32_e32 v12, 0x80000000, v12
	v_lshl_add_u32 v10, v10, 23, v15
	v_or3_b32 v10, v12, v10, v11
	v_lshrrev_b32_e32 v15, 16, v10
.LBB774_702:
	s_or_b64 exec, exec, s[26:27]
.LBB774_703:
	s_or_b64 exec, exec, s[24:25]
.LBB774_704:
	s_or_b64 exec, exec, s[14:15]
	s_mov_b32 s12, 0xffffff
	v_cmp_lt_u32_e64 s[12:13], s12, v6
	v_mov_b32_e32 v11, 0
	v_mov_b32_e32 v16, 0
	s_and_saveexec_b64 s[14:15], s[12:13]
	s_cbranch_execz .LBB774_710
; %bb.705:
	v_lshrrev_b32_e32 v10, 24, v6
	s_movk_i32 s12, 0x80
	v_cmp_ne_u32_e64 s[12:13], s12, v10
	v_mov_b32_e32 v16, 0xffff8000
	s_and_saveexec_b64 s[24:25], s[12:13]
	s_cbranch_execz .LBB774_709
; %bb.706:
	v_bfe_u32 v12, v6, 24, 7
	s_movk_i32 s12, 0x7f
	v_cmp_ne_u32_e64 s[12:13], s12, v12
	v_mov_b32_e32 v16, 0x7f80
	s_and_saveexec_b64 s[26:27], s[12:13]
	s_cbranch_execz .LBB774_708
; %bb.707:
	v_and_b32_e32 v18, 7, v10
	v_ffbh_u32_e32 v16, v18
	v_min_u32_e32 v20, 32, v16
	v_subrev_u32_e32 v16, 28, v20
	v_lshlrev_b64 v[16:17], v16, v[10:11]
	v_lshrrev_b32_e32 v19, 3, v12
	v_sub_u32_e32 v17, 29, v20
	v_and_b32_e32 v16, 7, v16
	v_cmp_gt_u32_e64 s[12:13], 8, v12
	v_cndmask_b32_e64 v12, v19, v17, s[12:13]
	v_cndmask_b32_e64 v16, v18, v16, s[12:13]
	v_lshlrev_b32_e32 v10, 24, v10
	v_bfrev_b32_e32 v17, 60
	v_lshlrev_b32_e32 v16, 20, v16
	v_and_b32_e32 v10, 0x80000000, v10
	v_lshl_add_u32 v12, v12, 23, v17
	v_or3_b32 v10, v10, v12, v16
	v_lshrrev_b32_e32 v16, 16, v10
.LBB774_708:
	s_or_b64 exec, exec, s[26:27]
.LBB774_709:
	s_or_b64 exec, exec, s[24:25]
.LBB774_710:
	s_or_b64 exec, exec, s[14:15]
	v_mov_b32_e32 v10, v7
	v_cmp_ne_u16_sdwa s[12:13], v7, v11 src0_sel:BYTE_0 src1_sel:DWORD
	s_and_saveexec_b64 s[14:15], s[12:13]
	s_cbranch_execz .LBB774_716
; %bb.711:
	s_movk_i32 s12, 0x80
	v_cmp_ne_u16_sdwa s[12:13], v7, s12 src0_sel:BYTE_0 src1_sel:DWORD
	v_mov_b32_e32 v12, 0xffff8000
	s_and_saveexec_b64 s[24:25], s[12:13]
	s_cbranch_execz .LBB774_715
; %bb.712:
	s_movk_i32 s12, 0x7f
	v_and_b32_e32 v17, 0x7f, v7
	v_cmp_ne_u32_e64 s[12:13], s12, v17
	v_mov_b32_e32 v12, 0x7f80
	s_and_saveexec_b64 s[26:27], s[12:13]
	s_cbranch_execz .LBB774_714
; %bb.713:
	v_and_b32_e32 v12, 7, v7
	v_ffbh_u32_e32 v12, v12
	v_min_u32_e32 v12, 32, v12
	v_subrev_u32_e32 v19, 28, v12
	v_cmp_gt_u32_e64 s[12:13], 8, v17
	v_lshrrev_b32_e32 v18, 3, v17
	v_sub_u32_e32 v12, 29, v12
	v_cndmask_b32_e64 v17, 0, v19, s[12:13]
	v_cndmask_b32_e64 v12, v18, v12, s[12:13]
	v_lshlrev_b64 v[18:19], v17, v[10:11]
	v_lshlrev_b32_e32 v11, 20, v18
	v_lshlrev_b32_e32 v17, 24, v10
	v_bfrev_b32_e32 v18, 60
	v_and_b32_e32 v11, 0x700000, v11
	v_and_b32_e32 v17, 0x80000000, v17
	v_lshl_add_u32 v12, v12, 23, v18
	v_or3_b32 v11, v17, v12, v11
	v_lshrrev_b32_e32 v12, 16, v11
.LBB774_714:
	s_or_b64 exec, exec, s[26:27]
.LBB774_715:
	s_or_b64 exec, exec, s[24:25]
	v_mov_b32_e32 v11, v12
.LBB774_716:
	s_or_b64 exec, exec, s[14:15]
	v_lshrrev_b16_e32 v12, 8, v10
	v_cmp_ne_u16_e64 s[12:13], 0, v12
	v_mov_b32_e32 v18, 0
	v_mov_b32_e32 v17, 0
	s_and_saveexec_b64 s[14:15], s[12:13]
	s_cbranch_execz .LBB774_722
; %bb.717:
	s_movk_i32 s12, 0x80
	v_cmp_ne_u16_e64 s[12:13], s12, v12
	v_mov_b32_e32 v17, 0xffff8000
	s_and_saveexec_b64 s[24:25], s[12:13]
	s_cbranch_execz .LBB774_721
; %bb.718:
	s_movk_i32 s12, 0x7f
	v_and_b32_e32 v19, 0x7f, v12
	v_cmp_ne_u32_e64 s[12:13], s12, v19
	v_mov_b32_e32 v17, 0x7f80
	s_and_saveexec_b64 s[26:27], s[12:13]
	s_cbranch_execz .LBB774_720
; %bb.719:
	v_and_b32_e32 v17, 7, v12
	v_ffbh_u32_e32 v20, v17
	v_min_u32_e32 v23, 32, v20
	v_subrev_u32_e32 v20, 28, v23
	v_lshlrev_b64 v[20:21], v20, v[12:13]
	v_lshrrev_b32_e32 v22, 3, v19
	v_sub_u32_e32 v12, 29, v23
	v_and_b32_e32 v20, 7, v20
	v_cmp_gt_u32_e64 s[12:13], 8, v19
	v_cndmask_b32_e64 v12, v22, v12, s[12:13]
	v_cndmask_b32_e64 v17, v17, v20, s[12:13]
	v_lshlrev_b32_e32 v10, 16, v10
	v_bfrev_b32_e32 v19, 60
	v_lshlrev_b32_e32 v17, 20, v17
	v_and_b32_e32 v10, 0x80000000, v10
	v_lshl_add_u32 v12, v12, 23, v19
	v_or3_b32 v10, v10, v12, v17
	v_lshrrev_b32_e32 v17, 16, v10
.LBB774_720:
	s_or_b64 exec, exec, s[26:27]
.LBB774_721:
	s_or_b64 exec, exec, s[24:25]
.LBB774_722:
	s_or_b64 exec, exec, s[14:15]
	s_movk_i32 s12, 0xff
	v_and_b32_sdwa v12, v7, s12 dst_sel:DWORD dst_unused:UNUSED_PAD src0_sel:WORD_1 src1_sel:DWORD
	v_lshrrev_b32_e32 v10, 16, v7
	v_cmp_ne_u16_e64 s[12:13], 0, v12
	s_and_saveexec_b64 s[14:15], s[12:13]
	s_cbranch_execz .LBB774_728
; %bb.723:
	s_movk_i32 s12, 0x80
	v_cmp_ne_u16_e64 s[12:13], s12, v12
	v_mov_b32_e32 v18, 0xffff8000
	s_and_saveexec_b64 s[24:25], s[12:13]
	s_cbranch_execz .LBB774_727
; %bb.724:
	v_bfe_u32 v12, v7, 16, 7
	s_movk_i32 s12, 0x7f
	v_cmp_ne_u32_e64 s[12:13], s12, v12
	v_mov_b32_e32 v18, 0x7f80
	s_and_saveexec_b64 s[26:27], s[12:13]
	s_cbranch_execz .LBB774_726
; %bb.725:
	v_and_b32_e32 v20, 7, v10
	v_ffbh_u32_e32 v18, v20
	v_min_u32_e32 v22, 32, v18
	v_subrev_u32_e32 v18, 28, v22
	v_lshlrev_b64 v[18:19], v18, v[10:11]
	v_and_b32_e32 v18, 7, v18
	v_cmp_gt_u32_e64 s[12:13], 8, v12
	v_lshrrev_b32_e32 v21, 3, v12
	v_sub_u32_e32 v10, 29, v22
	v_cndmask_b32_e64 v12, v20, v18, s[12:13]
	v_mov_b32_e32 v18, 24
	v_cndmask_b32_e64 v10, v21, v10, s[12:13]
	v_lshlrev_b32_sdwa v18, v18, v7 dst_sel:DWORD dst_unused:UNUSED_PAD src0_sel:DWORD src1_sel:WORD_1
	v_bfrev_b32_e32 v19, 60
	v_lshlrev_b32_e32 v12, 20, v12
	v_and_b32_e32 v18, 0x80000000, v18
	v_lshl_add_u32 v10, v10, 23, v19
	v_or3_b32 v10, v18, v10, v12
	v_lshrrev_b32_e32 v18, 16, v10
.LBB774_726:
	s_or_b64 exec, exec, s[26:27]
.LBB774_727:
	s_or_b64 exec, exec, s[24:25]
.LBB774_728:
	s_or_b64 exec, exec, s[14:15]
	s_mov_b32 s12, -1
	s_mov_b32 s13, 0xffffff
	v_cmp_lt_u64_e64 s[12:13], s[12:13], v[6:7]
	v_mov_b32_e32 v12, 0
	v_mov_b32_e32 v10, 0
	s_and_saveexec_b64 s[14:15], s[12:13]
	s_cbranch_execz .LBB774_734
; %bb.729:
	v_lshrrev_b32_e32 v6, 24, v7
	s_movk_i32 s12, 0x80
	v_cmp_ne_u32_e64 s[12:13], s12, v6
	v_mov_b32_e32 v10, 0xffff8000
	s_and_saveexec_b64 s[24:25], s[12:13]
	s_cbranch_execz .LBB774_733
; %bb.730:
	v_bfe_u32 v7, v7, 24, 7
	s_movk_i32 s12, 0x7f
	v_cmp_ne_u32_e64 s[12:13], s12, v7
	v_mov_b32_e32 v10, 0x7f80
	s_and_saveexec_b64 s[26:27], s[12:13]
	s_cbranch_execz .LBB774_732
; %bb.731:
	v_and_b32_e32 v10, 7, v6
	v_ffbh_u32_e32 v20, v10
	v_min_u32_e32 v22, 32, v20
	v_subrev_u32_e32 v20, 28, v22
	v_lshlrev_b64 v[20:21], v20, v[6:7]
	v_lshrrev_b32_e32 v19, 3, v7
	v_sub_u32_e32 v21, 29, v22
	v_and_b32_e32 v20, 7, v20
	v_cmp_gt_u32_e64 s[12:13], 8, v7
	v_cndmask_b32_e64 v7, v19, v21, s[12:13]
	v_cndmask_b32_e64 v10, v10, v20, s[12:13]
	v_lshlrev_b32_e32 v6, 24, v6
	v_bfrev_b32_e32 v19, 60
	v_lshlrev_b32_e32 v10, 20, v10
	v_and_b32_e32 v6, 0x80000000, v6
	v_lshl_add_u32 v7, v7, 23, v19
	v_or3_b32 v6, v6, v7, v10
	v_lshrrev_b32_e32 v10, 16, v6
.LBB774_732:
	s_or_b64 exec, exec, s[26:27]
.LBB774_733:
	s_or_b64 exec, exec, s[24:25]
.LBB774_734:
	s_or_b64 exec, exec, s[14:15]
	s_mov_b32 s12, 0x5040100
	v_perm_b32 v7, v16, v15, s12
	v_perm_b32 v6, v13, v14, s12
	;; [unrolled: 1-line block ×4, first 2 shown]
	v_mfma_f32_4x4x4bf16_1k a[0:3], v[2:3], v[6:7], a[0:3] cbsz:4 abid:14
	v_cmp_ne_u16_sdwa s[12:13], v8, v12 src0_sel:BYTE_0 src1_sel:DWORD
	v_mfma_f32_4x4x4bf16_1k a[0:3], v[4:5], v[14:15], a[0:3] cbsz:4 abid:14
	s_and_saveexec_b64 s[14:15], s[12:13]
	s_cbranch_execz .LBB774_740
; %bb.735:
	s_movk_i32 s12, 0x80
	v_cmp_ne_u16_sdwa s[12:13], v8, s12 src0_sel:BYTE_0 src1_sel:DWORD
	v_mov_b32_e32 v12, 0xffff8000
	s_and_saveexec_b64 s[24:25], s[12:13]
	s_cbranch_execz .LBB774_739
; %bb.736:
	s_movk_i32 s12, 0x7f
	v_and_b32_e32 v6, 0x7f, v8
	v_cmp_ne_u32_e64 s[12:13], s12, v6
	v_mov_b32_e32 v12, 0x7f80
	s_and_saveexec_b64 s[26:27], s[12:13]
	s_cbranch_execz .LBB774_738
; %bb.737:
	v_and_b32_e32 v7, 7, v8
	v_ffbh_u32_e32 v7, v7
	v_min_u32_e32 v7, 32, v7
	v_subrev_u32_e32 v11, 28, v7
	v_cmp_gt_u32_e64 s[12:13], 8, v6
	v_lshrrev_b32_e32 v10, 3, v6
	v_sub_u32_e32 v7, 29, v7
	v_cndmask_b32_e64 v6, 0, v11, s[12:13]
	v_cndmask_b32_e64 v10, v10, v7, s[12:13]
	v_lshlrev_b64 v[6:7], v6, v[8:9]
	v_lshlrev_b32_e32 v6, 20, v6
	v_lshlrev_b32_e32 v7, 24, v8
	v_bfrev_b32_e32 v11, 60
	v_and_b32_e32 v6, 0x700000, v6
	v_and_b32_e32 v7, 0x80000000, v7
	v_lshl_add_u32 v10, v10, 23, v11
	v_or3_b32 v6, v7, v10, v6
	v_lshrrev_b32_e32 v12, 16, v6
.LBB774_738:
	s_or_b64 exec, exec, s[26:27]
.LBB774_739:
	s_or_b64 exec, exec, s[24:25]
.LBB774_740:
	s_or_b64 exec, exec, s[14:15]
	v_lshrrev_b16_e32 v6, 8, v8
	v_cmp_ne_u16_e64 s[12:13], 0, v6
	v_mov_b32_e32 v13, 0
	v_mov_b32_e32 v11, 0
	s_and_saveexec_b64 s[14:15], s[12:13]
	s_cbranch_execz .LBB774_746
; %bb.741:
	s_movk_i32 s12, 0x80
	v_cmp_ne_u16_e64 s[12:13], s12, v6
	v_mov_b32_e32 v11, 0xffff8000
	s_and_saveexec_b64 s[24:25], s[12:13]
	s_cbranch_execz .LBB774_745
; %bb.742:
	s_movk_i32 s12, 0x7f
	v_and_b32_e32 v7, 0x7f, v6
	v_cmp_ne_u32_e64 s[12:13], s12, v7
	v_mov_b32_e32 v11, 0x7f80
	s_and_saveexec_b64 s[26:27], s[12:13]
	s_cbranch_execz .LBB774_744
; %bb.743:
	v_and_b32_e32 v14, 7, v6
	v_ffbh_u32_e32 v10, v14
	v_min_u32_e32 v16, 32, v10
	v_subrev_u32_e32 v10, 28, v16
	v_lshlrev_b64 v[10:11], v10, v[6:7]
	v_lshrrev_b32_e32 v15, 3, v7
	v_sub_u32_e32 v6, 29, v16
	v_and_b32_e32 v10, 7, v10
	v_cmp_gt_u32_e64 s[12:13], 8, v7
	v_cndmask_b32_e64 v6, v15, v6, s[12:13]
	v_cndmask_b32_e64 v7, v14, v10, s[12:13]
	v_lshlrev_b32_e32 v10, 16, v8
	v_bfrev_b32_e32 v11, 60
	v_lshlrev_b32_e32 v7, 20, v7
	v_and_b32_e32 v10, 0x80000000, v10
	v_lshl_add_u32 v6, v6, 23, v11
	v_or3_b32 v6, v10, v6, v7
	v_lshrrev_b32_e32 v11, 16, v6
.LBB774_744:
	s_or_b64 exec, exec, s[26:27]
.LBB774_745:
	s_or_b64 exec, exec, s[24:25]
.LBB774_746:
	s_or_b64 exec, exec, s[14:15]
	s_movk_i32 s12, 0xff
	v_and_b32_sdwa v7, v8, s12 dst_sel:DWORD dst_unused:UNUSED_PAD src0_sel:WORD_1 src1_sel:DWORD
	v_lshrrev_b32_e32 v6, 16, v8
	v_cmp_ne_u16_e64 s[12:13], 0, v7
	s_and_saveexec_b64 s[14:15], s[12:13]
	s_cbranch_execz .LBB774_752
; %bb.747:
	s_movk_i32 s12, 0x80
	v_cmp_ne_u16_e64 s[12:13], s12, v7
	v_mov_b32_e32 v13, 0xffff8000
	s_and_saveexec_b64 s[24:25], s[12:13]
	s_cbranch_execz .LBB774_751
; %bb.748:
	v_bfe_u32 v7, v8, 16, 7
	s_movk_i32 s12, 0x7f
	v_cmp_ne_u32_e64 s[12:13], s12, v7
	v_mov_b32_e32 v13, 0x7f80
	s_and_saveexec_b64 s[26:27], s[12:13]
	s_cbranch_execz .LBB774_750
; %bb.749:
	v_and_b32_e32 v10, 7, v6
	v_ffbh_u32_e32 v14, v10
	v_min_u32_e32 v16, 32, v14
	v_subrev_u32_e32 v14, 28, v16
	v_lshlrev_b64 v[14:15], v14, v[6:7]
	v_and_b32_e32 v14, 7, v14
	v_cmp_gt_u32_e64 s[12:13], 8, v7
	v_lshrrev_b32_e32 v13, 3, v7
	v_sub_u32_e32 v6, 29, v16
	v_cndmask_b32_e64 v7, v10, v14, s[12:13]
	v_mov_b32_e32 v10, 24
	v_cndmask_b32_e64 v6, v13, v6, s[12:13]
	v_lshlrev_b32_sdwa v10, v10, v8 dst_sel:DWORD dst_unused:UNUSED_PAD src0_sel:DWORD src1_sel:WORD_1
	v_bfrev_b32_e32 v13, 60
	v_lshlrev_b32_e32 v7, 20, v7
	v_and_b32_e32 v10, 0x80000000, v10
	v_lshl_add_u32 v6, v6, 23, v13
	v_or3_b32 v6, v10, v6, v7
	v_lshrrev_b32_e32 v13, 16, v6
.LBB774_750:
	s_or_b64 exec, exec, s[26:27]
.LBB774_751:
	s_or_b64 exec, exec, s[24:25]
.LBB774_752:
	s_or_b64 exec, exec, s[14:15]
	s_mov_b32 s12, 0xffffff
	v_cmp_lt_u32_e64 s[12:13], s12, v8
	v_mov_b32_e32 v7, 0
	v_mov_b32_e32 v14, 0
	s_and_saveexec_b64 s[14:15], s[12:13]
	s_cbranch_execz .LBB774_758
; %bb.753:
	v_lshrrev_b32_e32 v6, 24, v8
	s_movk_i32 s12, 0x80
	v_cmp_ne_u32_e64 s[12:13], s12, v6
	v_mov_b32_e32 v14, 0xffff8000
	s_and_saveexec_b64 s[24:25], s[12:13]
	s_cbranch_execz .LBB774_757
; %bb.754:
	v_bfe_u32 v10, v8, 24, 7
	s_movk_i32 s12, 0x7f
	v_cmp_ne_u32_e64 s[12:13], s12, v10
	v_mov_b32_e32 v14, 0x7f80
	s_and_saveexec_b64 s[26:27], s[12:13]
	s_cbranch_execz .LBB774_756
; %bb.755:
	v_and_b32_e32 v16, 7, v6
	v_ffbh_u32_e32 v14, v16
	v_min_u32_e32 v18, 32, v14
	v_subrev_u32_e32 v14, 28, v18
	v_lshlrev_b64 v[14:15], v14, v[6:7]
	v_lshrrev_b32_e32 v17, 3, v10
	v_sub_u32_e32 v15, 29, v18
	v_and_b32_e32 v14, 7, v14
	v_cmp_gt_u32_e64 s[12:13], 8, v10
	v_cndmask_b32_e64 v10, v17, v15, s[12:13]
	v_cndmask_b32_e64 v14, v16, v14, s[12:13]
	v_lshlrev_b32_e32 v6, 24, v6
	v_bfrev_b32_e32 v15, 60
	v_lshlrev_b32_e32 v14, 20, v14
	v_and_b32_e32 v6, 0x80000000, v6
	v_lshl_add_u32 v10, v10, 23, v15
	v_or3_b32 v6, v6, v10, v14
	v_lshrrev_b32_e32 v14, 16, v6
.LBB774_756:
	s_or_b64 exec, exec, s[26:27]
.LBB774_757:
	s_or_b64 exec, exec, s[24:25]
.LBB774_758:
	s_or_b64 exec, exec, s[14:15]
	v_mov_b32_e32 v6, v9
	v_cmp_ne_u16_sdwa s[12:13], v9, v7 src0_sel:BYTE_0 src1_sel:DWORD
	s_and_saveexec_b64 s[14:15], s[12:13]
	s_cbranch_execz .LBB774_764
; %bb.759:
	s_movk_i32 s12, 0x80
	v_cmp_ne_u16_sdwa s[12:13], v9, s12 src0_sel:BYTE_0 src1_sel:DWORD
	v_mov_b32_e32 v10, 0xffff8000
	s_and_saveexec_b64 s[24:25], s[12:13]
	s_cbranch_execz .LBB774_763
; %bb.760:
	s_movk_i32 s12, 0x7f
	v_and_b32_e32 v15, 0x7f, v9
	v_cmp_ne_u32_e64 s[12:13], s12, v15
	v_mov_b32_e32 v10, 0x7f80
	s_and_saveexec_b64 s[26:27], s[12:13]
	s_cbranch_execz .LBB774_762
; %bb.761:
	v_and_b32_e32 v10, 7, v9
	v_ffbh_u32_e32 v10, v10
	v_min_u32_e32 v10, 32, v10
	v_subrev_u32_e32 v17, 28, v10
	v_cmp_gt_u32_e64 s[12:13], 8, v15
	v_lshrrev_b32_e32 v16, 3, v15
	v_sub_u32_e32 v10, 29, v10
	v_cndmask_b32_e64 v15, 0, v17, s[12:13]
	v_cndmask_b32_e64 v10, v16, v10, s[12:13]
	v_lshlrev_b64 v[16:17], v15, v[6:7]
	v_lshlrev_b32_e32 v7, 20, v16
	v_lshlrev_b32_e32 v15, 24, v6
	v_bfrev_b32_e32 v16, 60
	v_and_b32_e32 v7, 0x700000, v7
	v_and_b32_e32 v15, 0x80000000, v15
	v_lshl_add_u32 v10, v10, 23, v16
	v_or3_b32 v7, v15, v10, v7
	v_lshrrev_b32_e32 v10, 16, v7
.LBB774_762:
	s_or_b64 exec, exec, s[26:27]
.LBB774_763:
	s_or_b64 exec, exec, s[24:25]
	v_mov_b32_e32 v7, v10
.LBB774_764:
	s_or_b64 exec, exec, s[14:15]
	v_lshrrev_b16_e32 v10, 8, v6
	v_cmp_ne_u16_e64 s[12:13], 0, v10
	v_mov_b32_e32 v16, 0
	v_mov_b32_e32 v15, 0
	s_and_saveexec_b64 s[14:15], s[12:13]
	s_cbranch_execz .LBB774_770
; %bb.765:
	s_movk_i32 s12, 0x80
	v_cmp_ne_u16_e64 s[12:13], s12, v10
	v_mov_b32_e32 v15, 0xffff8000
	s_and_saveexec_b64 s[24:25], s[12:13]
	s_cbranch_execz .LBB774_769
; %bb.766:
	s_movk_i32 s12, 0x7f
	v_and_b32_e32 v17, 0x7f, v10
	v_cmp_ne_u32_e64 s[12:13], s12, v17
	v_mov_b32_e32 v15, 0x7f80
	s_and_saveexec_b64 s[26:27], s[12:13]
	s_cbranch_execz .LBB774_768
; %bb.767:
	v_and_b32_e32 v15, 7, v10
	v_ffbh_u32_e32 v18, v15
	v_min_u32_e32 v21, 32, v18
	v_subrev_u32_e32 v18, 28, v21
	v_lshlrev_b64 v[18:19], v18, v[10:11]
	v_lshrrev_b32_e32 v20, 3, v17
	v_sub_u32_e32 v10, 29, v21
	v_and_b32_e32 v18, 7, v18
	v_cmp_gt_u32_e64 s[12:13], 8, v17
	v_cndmask_b32_e64 v10, v20, v10, s[12:13]
	v_cndmask_b32_e64 v15, v15, v18, s[12:13]
	v_lshlrev_b32_e32 v6, 16, v6
	v_bfrev_b32_e32 v17, 60
	v_lshlrev_b32_e32 v15, 20, v15
	v_and_b32_e32 v6, 0x80000000, v6
	v_lshl_add_u32 v10, v10, 23, v17
	v_or3_b32 v6, v6, v10, v15
	v_lshrrev_b32_e32 v15, 16, v6
.LBB774_768:
	s_or_b64 exec, exec, s[26:27]
.LBB774_769:
	s_or_b64 exec, exec, s[24:25]
.LBB774_770:
	s_or_b64 exec, exec, s[14:15]
	s_movk_i32 s12, 0xff
	v_and_b32_sdwa v10, v9, s12 dst_sel:DWORD dst_unused:UNUSED_PAD src0_sel:WORD_1 src1_sel:DWORD
	v_lshrrev_b32_e32 v6, 16, v9
	v_cmp_ne_u16_e64 s[12:13], 0, v10
	s_and_saveexec_b64 s[14:15], s[12:13]
	s_cbranch_execz .LBB774_776
; %bb.771:
	s_movk_i32 s12, 0x80
	v_cmp_ne_u16_e64 s[12:13], s12, v10
	v_mov_b32_e32 v16, 0xffff8000
	s_and_saveexec_b64 s[24:25], s[12:13]
	s_cbranch_execz .LBB774_775
; %bb.772:
	v_bfe_u32 v10, v9, 16, 7
	s_movk_i32 s12, 0x7f
	v_cmp_ne_u32_e64 s[12:13], s12, v10
	v_mov_b32_e32 v16, 0x7f80
	s_and_saveexec_b64 s[26:27], s[12:13]
	s_cbranch_execz .LBB774_774
; %bb.773:
	v_and_b32_e32 v18, 7, v6
	v_ffbh_u32_e32 v16, v18
	v_min_u32_e32 v20, 32, v16
	v_subrev_u32_e32 v16, 28, v20
	v_lshlrev_b64 v[16:17], v16, v[6:7]
	v_and_b32_e32 v16, 7, v16
	v_cmp_gt_u32_e64 s[12:13], 8, v10
	v_lshrrev_b32_e32 v19, 3, v10
	v_sub_u32_e32 v6, 29, v20
	v_cndmask_b32_e64 v10, v18, v16, s[12:13]
	v_mov_b32_e32 v16, 24
	v_cndmask_b32_e64 v6, v19, v6, s[12:13]
	v_lshlrev_b32_sdwa v16, v16, v9 dst_sel:DWORD dst_unused:UNUSED_PAD src0_sel:DWORD src1_sel:WORD_1
	v_bfrev_b32_e32 v17, 60
	v_lshlrev_b32_e32 v10, 20, v10
	v_and_b32_e32 v16, 0x80000000, v16
	v_lshl_add_u32 v6, v6, 23, v17
	v_or3_b32 v6, v16, v6, v10
	v_lshrrev_b32_e32 v16, 16, v6
.LBB774_774:
	s_or_b64 exec, exec, s[26:27]
.LBB774_775:
	s_or_b64 exec, exec, s[24:25]
.LBB774_776:
	s_or_b64 exec, exec, s[14:15]
	s_mov_b32 s12, -1
	s_mov_b32 s13, 0xffffff
	v_cmp_lt_u64_e64 s[12:13], s[12:13], v[8:9]
	v_mov_b32_e32 v8, 0
	s_and_saveexec_b64 s[14:15], s[12:13]
	s_cbranch_execz .LBB774_782
; %bb.777:
	v_lshrrev_b32_e32 v6, 24, v9
	s_movk_i32 s12, 0x80
	v_cmp_ne_u32_e64 s[12:13], s12, v6
	v_mov_b32_e32 v8, 0xffff8000
	s_and_saveexec_b64 s[24:25], s[12:13]
	s_cbranch_execz .LBB774_781
; %bb.778:
	v_bfe_u32 v9, v9, 24, 7
	s_movk_i32 s12, 0x7f
	v_cmp_ne_u32_e64 s[12:13], s12, v9
	v_mov_b32_e32 v8, 0x7f80
	s_and_saveexec_b64 s[26:27], s[12:13]
	s_cbranch_execz .LBB774_780
; %bb.779:
	v_and_b32_e32 v8, 7, v6
	v_ffbh_u32_e32 v17, v8
	v_min_u32_e32 v17, 32, v17
	v_subrev_u32_e32 v18, 28, v17
	v_lshlrev_b64 v[18:19], v18, v[6:7]
	v_lshrrev_b32_e32 v10, 3, v9
	v_sub_u32_e32 v17, 29, v17
	v_and_b32_e32 v18, 7, v18
	v_cmp_gt_u32_e64 s[12:13], 8, v9
	v_cndmask_b32_e64 v9, v10, v17, s[12:13]
	v_cndmask_b32_e64 v8, v8, v18, s[12:13]
	v_lshlrev_b32_e32 v6, 24, v6
	v_bfrev_b32_e32 v10, 60
	v_lshlrev_b32_e32 v8, 20, v8
	v_and_b32_e32 v6, 0x80000000, v6
	v_lshl_add_u32 v9, v9, 23, v10
	v_or3_b32 v6, v6, v9, v8
	v_lshrrev_b32_e32 v8, 16, v6
.LBB774_780:
	s_or_b64 exec, exec, s[26:27]
.LBB774_781:
	s_or_b64 exec, exec, s[24:25]
.LBB774_782:
	s_or_b64 exec, exec, s[14:15]
	s_load_dword s4, s[4:5], 0x1c
	s_mov_b32 s5, 0x5040100
	v_perm_b32 v13, v14, v13, s5
	v_perm_b32 v12, v11, v12, s5
	s_load_dword s12, s[16:17], 0x0
	v_perm_b32 v9, v8, v16, s5
	v_mfma_f32_4x4x4bf16_1k a[0:3], v[2:3], v[12:13], a[0:3] cbsz:4 abid:15
	v_perm_b32 v8, v15, v7, s5
	s_waitcnt lgkmcnt(0)
	v_mov_b32_e32 v2, s4
	v_mul_f32_e32 v2, s12, v2
	v_mfma_f32_4x4x4bf16_1k a[0:3], v[4:5], v[8:9], a[0:3] cbsz:4 abid:15
	s_nop 4
	v_accvgpr_read_b32 v5, a1
	v_accvgpr_read_b32 v4, a0
	v_pk_mul_f32 v[4:5], v[4:5], v[2:3] op_sel_hi:[1,0]
	v_accvgpr_read_b32 v7, a3
	v_accvgpr_read_b32 v6, a2
	v_pk_mul_f32 v[2:3], v[6:7], v[2:3] op_sel_hi:[1,0]
	v_cndmask_b32_e64 v6, 0, 1.0, vcc
	v_cmp_eq_u32_e32 vcc, 1, v43
	s_nop 0
	v_mfma_f32_4x4x1f32 a[0:3], v4, v6, 0
	v_cndmask_b32_e64 v4, 0, 1.0, vcc
	v_cmp_eq_u32_e32 vcc, 2, v43
	v_mov_b32_e32 v6, 0xff7fffff
	v_mfma_f32_4x4x1f32 a[0:3], v5, v4, a[0:3]
	v_cndmask_b32_e64 v4, 0, 1.0, vcc
	v_cmp_eq_u32_e32 vcc, 3, v43
	s_nop 0
	v_mfma_f32_4x4x1f32 a[0:3], v2, v4, a[0:3]
	v_cndmask_b32_e64 v2, 0, 1.0, vcc
	s_nop 1
	v_mfma_f32_4x4x1f32 a[0:3], v3, v2, a[0:3]
	v_and_b32_e32 v2, -4, v44
	v_cmp_gt_i32_e32 vcc, s9, v2
	v_lshlrev_b32_e32 v3, 2, v0
	v_and_or_b32 v3, v3, 48, v43
	v_lshlrev_b32_e32 v10, 2, v3
	v_accvgpr_read_b32 v4, a0
	v_max_f32_e32 v5, v4, v4
	v_max_f32_e32 v5, 0xff7fffff, v5
	v_accvgpr_read_b32 v7, a1
	v_cndmask_b32_e32 v5, v6, v5, vcc
	v_or_b32_e32 v6, 1, v2
	v_max_f32_e32 v8, v7, v7
	v_max_f32_e32 v8, v5, v8
	v_cmp_gt_i32_e64 s[4:5], s9, v6
	v_cndmask_b32_e64 v5, v5, v8, s[4:5]
	v_accvgpr_read_b32 v8, a2
	v_or_b32_e32 v2, 2, v2
	v_max_f32_e32 v6, v8, v8
	v_max_f32_e32 v6, v5, v6
	v_cmp_gt_i32_e64 s[12:13], s9, v2
	v_accvgpr_read_b32 v9, a3
	v_cndmask_b32_e64 v2, v5, v6, s[12:13]
	v_or_b32_e32 v5, 3, v44
	v_max_f32_e32 v6, v9, v9
	v_max_f32_e32 v6, v2, v6
	v_cmp_gt_i32_e64 s[14:15], s9, v5
	v_cndmask_b32_e64 v2, v2, v6, s[14:15]
	;;#ASMSTART
	v_nop
 v_nop
 v_max_f32_dpp v2, v2, v2 row_ror:4
	;;#ASMEND
	;;#ASMSTART
	v_nop
 v_nop
 v_max_f32_dpp v2, v2, v2 row_ror:8
	;;#ASMEND
	ds_bpermute_b32 v2, v10, v2
	s_waitcnt lgkmcnt(0)
	;;#ASMSTART
	v_nop
 v_nop
 v_max_f32_dpp v2, v2, v2 row_ror:4
	;;#ASMEND
	;;#ASMSTART
	v_nop
 v_nop
 v_max_f32_dpp v6, v2, v2 row_ror:8
	;;#ASMEND
	v_sub_f32_e32 v2, v4, v6
	v_mul_f32_e32 v2, 0x3fb8aa3b, v2
	v_sub_f32_e32 v3, v7, v6
	v_exp_f32_e32 v2, v2
	v_mul_f32_e32 v3, 0x3fb8aa3b, v3
	v_sub_f32_e32 v5, v8, v6
	v_exp_f32_e32 v3, v3
	;; [unrolled: 3-line block ×3, first 2 shown]
	v_mul_f32_e32 v7, 0x3fb8aa3b, v7
	v_exp_f32_e32 v7, v7
	v_cndmask_b32_e32 v2, 0, v2, vcc
	v_add_f32_e32 v4, 0, v2
	v_cndmask_b32_e64 v3, 0, v3, s[4:5]
	v_add_f32_e32 v8, v4, v3
	v_cndmask_b32_e64 v4, 0, v5, s[12:13]
	;; [unrolled: 2-line block ×3, first 2 shown]
	v_add_f32_e32 v7, v8, v5
	;;#ASMSTART
	v_nop
 v_nop
 v_add_f32_dpp v7, v7, v7 row_ror:4
	;;#ASMEND
	;;#ASMSTART
	v_nop
 v_nop
 v_add_f32_dpp v7, v7, v7 row_ror:8
	;;#ASMEND
	ds_bpermute_b32 v7, v10, v7
	s_waitcnt lgkmcnt(0)
	;;#ASMSTART
	v_nop
 v_nop
 v_add_f32_dpp v7, v7, v7 row_ror:4
	;;#ASMEND
	v_cmp_gt_u32_e32 vcc, 4, v1
	;;#ASMSTART
	v_nop
 v_nop
 v_add_f32_dpp v7, v7, v7 row_ror:8
	;;#ASMEND
	s_and_saveexec_b64 s[4:5], vcc
	s_cbranch_execz .LBB774_784
; %bb.783:
	v_mul_u32_u24_e32 v8, 20, v42
	v_lshl_add_u32 v8, v43, 2, v8
	v_add_u32_e32 v8, 0x1400, v8
	ds_write2_b32 v8, v6, v7 offset1:20
.LBB774_784:
	s_or_b64 exec, exec, s[4:5]
.LBB774_785:
	s_or_b64 exec, exec, s[36:37]
	s_waitcnt lgkmcnt(0)
	s_barrier
	s_load_dword s4, s[34:35], 0x8
	v_lshlrev_b32_e32 v7, 2, v43
	v_add_u32_e32 v9, 0x1400, v7
	ds_read2_b32 v[10:11], v9 offset1:5
	ds_read2_b32 v[12:13], v9 offset0:10 offset1:15
	s_mul_i32 s5, s11, s8
	s_waitcnt lgkmcnt(0)
	s_mul_i32 s4, s5, s4
	s_mov_b32 s5, 0xff7fffff
	v_max3_f32 v7, v10, s5, v11
	v_max3_f32 v8, v7, v12, v13
	v_sub_f32_e32 v7, v10, v8
	v_sub_f32_e32 v10, v11, v8
	v_mul_f32_e32 v10, 0x3fb8aa3b, v10
	ds_read2_b32 v[14:15], v9 offset0:20 offset1:25
	v_mul_f32_e32 v7, 0x3fb8aa3b, v7
	v_exp_f32_e32 v17, v10
	ds_read2_b32 v[10:11], v9 offset0:30 offset1:35
	v_sub_f32_e32 v9, v12, v8
	v_exp_f32_e32 v16, v7
	v_mul_f32_e32 v9, 0x3fb8aa3b, v9
	v_exp_f32_e32 v12, v9
	v_sub_f32_e32 v9, v13, v8
	v_mul_f32_e32 v9, 0x3fb8aa3b, v9
	v_exp_f32_e32 v13, v9
	s_waitcnt lgkmcnt(1)
	v_fma_f32 v9, v16, v14, 0
	v_fmac_f32_e32 v9, v17, v15
	s_waitcnt lgkmcnt(0)
	v_fmac_f32_e32 v9, v12, v10
	v_mov_b32_e32 v7, 0
	v_fmac_f32_e32 v9, v13, v11
	s_mov_b32 s5, 0
	v_cmp_eq_u32_e32 vcc, 0, v43
	s_and_saveexec_b64 s[8:9], vcc
	s_cbranch_execz .LBB774_787
; %bb.786:
	s_lshl_b64 s[12:13], s[4:5], 2
	s_add_u32 s16, s20, s12
	s_mov_b32 s29, s5
	s_addc_u32 s17, s21, s13
	s_lshl_b64 s[14:15], s[28:29], 2
	s_add_u32 s16, s16, s14
	s_addc_u32 s17, s17, s15
	s_add_u32 s12, s22, s12
	s_addc_u32 s13, s23, s13
	;; [unrolled: 2-line block ×3, first 2 shown]
	s_mul_i32 s12, s11, s10
	s_mov_b32 s13, s5
	s_lshl_b64 s[12:13], s[12:13], 2
	s_add_u32 s14, s16, s12
	s_addc_u32 s15, s17, s13
	s_add_u32 s12, s20, s12
	s_addc_u32 s13, s21, s13
	global_store_dword v7, v8, s[12:13]
	global_store_dword v7, v9, s[14:15]
.LBB774_787:
	s_or_b64 exec, exec, s[8:9]
	v_lshlrev_b32_e32 v7, 3, v42
	s_and_saveexec_b64 s[8:9], s[6:7]
	s_xor_b64 s[6:7], exec, s[8:9]
	s_cbranch_execz .LBB774_789
; %bb.788:
	s_mov_b32 s8, 0
	s_mov_b32 s9, s8
	v_mad_u32_u24 v4, v1, 40, v7
	v_pk_mov_b32 v[2:3], s[8:9], s[8:9] op_sel:[0,1]
	ds_write2st64_b64 v4, v[2:3], v[2:3] offset1:5
                                        ; implicit-def: $vgpr7
                                        ; implicit-def: $vgpr9
                                        ; implicit-def: $vgpr6
                                        ; implicit-def: $vgpr8
                                        ; implicit-def: $vgpr4
                                        ; implicit-def: $vgpr2
.LBB774_789:
	s_andn2_saveexec_b64 s[6:7], s[6:7]
	s_cbranch_execz .LBB774_1176
; %bb.790:
	v_add_f32_e32 v9, 0x358637bd, v9
	v_div_scale_f32 v10, s[8:9], v9, v9, 1.0
	v_rcp_f32_e32 v11, v10
	v_div_scale_f32 v12, vcc, 1.0, v9, 1.0
	v_sub_f32_e32 v6, v6, v8
	v_fma_f32 v13, -v10, v11, 1.0
	v_fmac_f32_e32 v11, v13, v11
	v_mul_f32_e32 v13, v12, v11
	v_fma_f32 v14, -v10, v13, v12
	v_mul_f32_e32 v6, 0x3fb8aa3b, v6
	v_fmac_f32_e32 v13, v14, v11
	v_exp_f32_e32 v6, v6
	v_fma_f32 v10, -v10, v13, v12
	v_div_fmas_f32 v8, v10, v11, v13
	v_div_fixup_f32 v8, v8, v9, 1.0
	v_mul_f32_e32 v6, v6, v8
	v_pk_mul_f32 v[2:3], v[2:3], v[6:7] op_sel_hi:[1,0]
	s_load_dword s8, s[18:19], 0x0
	v_pk_mul_f32 v[4:5], v[4:5], v[6:7] op_sel_hi:[1,0]
	v_bfe_u32 v6, v3, 16, 1
	v_bfe_u32 v8, v2, 16, 1
	s_movk_i32 s5, 0x7fff
	v_add3_u32 v2, v2, v8, s5
	v_add3_u32 v3, v3, v6, s5
	s_mov_b32 s22, 0x7060302
	v_perm_b32 v2, v3, v2, s22
	v_bfe_u32 v3, v5, 16, 1
	v_bfe_u32 v6, v4, 16, 1
	v_add3_u32 v4, v4, v6, s5
	v_add3_u32 v3, v5, v3, s5
	v_mov_b32_e32 v11, 0
	v_perm_b32 v3, v3, v4, s22
	v_add_u32_e32 v5, 64, v11
	s_waitcnt lgkmcnt(0)
	s_mov_b32 s9, s8
	s_mov_b32 s12, s8
	;; [unrolled: 1-line block ×4, first 2 shown]
	s_mov_b64 s[14:15], -1
	s_movk_i32 s23, 0x80
	s_movk_i32 s25, 0x7f
	s_mov_b32 s26, 0xffffff
	s_mov_b32 s27, 0x5040100
	v_mov_b32_e32 v9, 0
	v_bfrev_b32_e32 v10, 60
	s_branch .LBB774_794
.LBB774_791:                            ;   in Loop: Header=BB774_794 Depth=1
	s_or_b64 exec, exec, s[20:21]
.LBB774_792:                            ;   in Loop: Header=BB774_794 Depth=1
	s_or_b64 exec, exec, s[18:19]
.LBB774_793:                            ;   in Loop: Header=BB774_794 Depth=1
	s_or_b64 exec, exec, s[16:17]
	v_perm_b32 v19, v15, v12, s27
	v_perm_b32 v18, v11, v13, s27
	;; [unrolled: 1-line block ×4, first 2 shown]
	v_mfma_f32_4x4x4bf16_1k a[0:3], v[2:3], v[18:19], a[0:3] cbsz:4 abid:14
	s_mul_i32 s16, s24, 0xa00
	v_mfma_f32_4x4x4bf16_1k a[0:3], v[2:3], v[12:13], a[0:3] cbsz:4 abid:15
	s_mov_b32 s24, 1
	v_mov_b32_e32 v11, v5
	s_nop 2
	v_accvgpr_read_b32 v15, a1
	v_accvgpr_read_b32 v14, a0
	v_pk_mul_f32 v[14:15], v[14:15], s[8:9]
	v_accvgpr_read_b32 v13, a3
	v_accvgpr_read_b32 v12, a2
	v_bfe_u32 v4, v15, 16, 1
	v_bfe_u32 v6, v14, 16, 1
	v_pk_mul_f32 v[12:13], v[12:13], s[12:13]
	v_add3_u32 v6, v14, v6, s5
	v_add3_u32 v4, v15, v4, s5
	v_perm_b32 v14, v4, v6, s22
	v_bfe_u32 v4, v13, 16, 1
	v_bfe_u32 v6, v12, 16, 1
	v_add3_u32 v6, v12, v6, s5
	v_add3_u32 v4, v13, v4, s5
	v_perm_b32 v15, v4, v6, s22
	v_mul_u32_u24_e32 v4, 40, v1
	v_add3_u32 v4, s16, v4, v7
	s_xor_b64 s[16:17], s[14:15], -1
	s_mov_b64 s[14:15], 0
	s_andn2_b64 vcc, exec, s[16:17]
	ds_write_b64 v4, v[14:15]
	s_cbranch_vccz .LBB774_1176
.LBB774_794:                            ; =>This Inner Loop Header: Depth=1
	buffer_load_dword v6, v11, s[0:3], 0 offen
	buffer_load_dword v4, v11, s[0:3], 0 offen offset:4
	v_mov_b32_e32 v13, 0
	s_waitcnt vmcnt(1)
	v_cmp_ne_u16_sdwa s[18:19], v6, v9 src0_sel:BYTE_0 src1_sel:DWORD
	s_and_saveexec_b64 s[16:17], s[18:19]
	s_cbranch_execz .LBB774_800
; %bb.795:                              ;   in Loop: Header=BB774_794 Depth=1
	v_cmp_ne_u16_sdwa s[20:21], v6, s23 src0_sel:BYTE_0 src1_sel:DWORD
	v_mov_b32_e32 v13, 0xffff8000
	s_and_saveexec_b64 s[18:19], s[20:21]
	s_cbranch_execz .LBB774_799
; %bb.796:                              ;   in Loop: Header=BB774_794 Depth=1
	v_and_b32_e32 v8, 0x7f, v6
	v_cmp_ne_u32_e32 vcc, s25, v8
	v_mov_b32_e32 v13, 0x7f80
	s_and_saveexec_b64 s[20:21], vcc
	s_cbranch_execz .LBB774_798
; %bb.797:                              ;   in Loop: Header=BB774_794 Depth=1
	v_and_b32_e32 v14, 7, v6
	v_ffbh_u32_e32 v12, v14
	v_min_u32_e32 v16, 32, v12
	v_subrev_u32_e32 v12, 28, v16
	v_lshlrev_b64 v[12:13], v12, v[6:7]
	v_lshrrev_b32_e32 v15, 3, v8
	v_sub_u32_e32 v13, 29, v16
	v_and_b32_e32 v12, 7, v12
	v_cmp_gt_u32_e32 vcc, 8, v8
	v_cndmask_b32_e32 v8, v15, v13, vcc
	v_cndmask_b32_e32 v12, v14, v12, vcc
	v_lshlrev_b32_e32 v13, 24, v6
	v_lshlrev_b32_e32 v12, 20, v12
	v_and_b32_e32 v13, 0x80000000, v13
	v_lshl_add_u32 v8, v8, 23, v10
	v_or3_b32 v8, v13, v8, v12
	v_lshrrev_b32_e32 v13, 16, v8
.LBB774_798:                            ;   in Loop: Header=BB774_794 Depth=1
	s_or_b64 exec, exec, s[20:21]
.LBB774_799:                            ;   in Loop: Header=BB774_794 Depth=1
	s_or_b64 exec, exec, s[18:19]
.LBB774_800:                            ;   in Loop: Header=BB774_794 Depth=1
	s_or_b64 exec, exec, s[16:17]
	v_lshrrev_b16_e32 v8, 8, v6
	v_cmp_ne_u16_e32 vcc, 0, v8
	v_mov_b32_e32 v15, 0
	v_mov_b32_e32 v14, 0
	s_and_saveexec_b64 s[16:17], vcc
	s_cbranch_execz .LBB774_806
; %bb.801:                              ;   in Loop: Header=BB774_794 Depth=1
	v_cmp_ne_u16_e32 vcc, s23, v8
	v_mov_b32_e32 v14, 0xffff8000
	s_and_saveexec_b64 s[18:19], vcc
	s_cbranch_execz .LBB774_805
; %bb.802:                              ;   in Loop: Header=BB774_794 Depth=1
	v_and_b32_e32 v12, 0x7f, v8
	v_cmp_ne_u32_e32 vcc, s25, v12
	v_mov_b32_e32 v14, 0x7f80
	s_and_saveexec_b64 s[20:21], vcc
	s_cbranch_execz .LBB774_804
; %bb.803:                              ;   in Loop: Header=BB774_794 Depth=1
	v_and_b32_e32 v14, 7, v8
	v_ffbh_u32_e32 v16, v14
	v_min_u32_e32 v19, 32, v16
	v_subrev_u32_e32 v16, 28, v19
	v_lshlrev_b64 v[16:17], v16, v[8:9]
	v_lshrrev_b32_e32 v18, 3, v12
	v_sub_u32_e32 v8, 29, v19
	v_and_b32_e32 v16, 7, v16
	v_cmp_gt_u32_e32 vcc, 8, v12
	v_cndmask_b32_e32 v8, v18, v8, vcc
	v_cndmask_b32_e32 v12, v14, v16, vcc
	v_lshlrev_b32_e32 v14, 16, v6
	v_lshlrev_b32_e32 v12, 20, v12
	v_and_b32_e32 v14, 0x80000000, v14
	v_lshl_add_u32 v8, v8, 23, v10
	v_or3_b32 v8, v14, v8, v12
	v_lshrrev_b32_e32 v14, 16, v8
.LBB774_804:                            ;   in Loop: Header=BB774_794 Depth=1
	s_or_b64 exec, exec, s[20:21]
.LBB774_805:                            ;   in Loop: Header=BB774_794 Depth=1
	s_or_b64 exec, exec, s[18:19]
.LBB774_806:                            ;   in Loop: Header=BB774_794 Depth=1
	s_or_b64 exec, exec, s[16:17]
	v_lshrrev_b32_e32 v8, 16, v6
	v_cmp_ne_u16_sdwa s[18:19], v8, v9 src0_sel:BYTE_0 src1_sel:DWORD
	s_and_saveexec_b64 s[16:17], s[18:19]
	s_cbranch_execz .LBB774_812
; %bb.807:                              ;   in Loop: Header=BB774_794 Depth=1
	v_cmp_ne_u16_sdwa s[20:21], v8, s23 src0_sel:BYTE_0 src1_sel:DWORD
	v_mov_b32_e32 v15, 0xffff8000
	s_and_saveexec_b64 s[18:19], s[20:21]
	s_cbranch_execz .LBB774_811
; %bb.808:                              ;   in Loop: Header=BB774_794 Depth=1
	v_bfe_u32 v12, v6, 16, 7
	v_cmp_ne_u32_e32 vcc, s25, v12
	v_mov_b32_e32 v15, 0x7f80
	s_and_saveexec_b64 s[20:21], vcc
	s_cbranch_execz .LBB774_810
; %bb.809:                              ;   in Loop: Header=BB774_794 Depth=1
	v_and_b32_e32 v15, 7, v8
	v_ffbh_u32_e32 v16, v15
	v_min_u32_e32 v19, 32, v16
	v_subrev_u32_e32 v16, 28, v19
	v_lshlrev_b64 v[16:17], v16, v[8:9]
	v_lshrrev_b32_e32 v18, 3, v12
	v_sub_u32_e32 v17, 29, v19
	v_and_b32_e32 v16, 7, v16
	v_cmp_gt_u32_e32 vcc, 8, v12
	v_cndmask_b32_e32 v12, v18, v17, vcc
	v_cndmask_b32_e32 v15, v15, v16, vcc
	v_lshlrev_b32_e32 v8, 24, v8
	v_lshlrev_b32_e32 v15, 20, v15
	v_and_b32_e32 v8, 0x80000000, v8
	v_lshl_add_u32 v12, v12, 23, v10
	v_or3_b32 v8, v8, v12, v15
	v_lshrrev_b32_e32 v15, 16, v8
.LBB774_810:                            ;   in Loop: Header=BB774_794 Depth=1
	s_or_b64 exec, exec, s[20:21]
.LBB774_811:                            ;   in Loop: Header=BB774_794 Depth=1
	s_or_b64 exec, exec, s[18:19]
.LBB774_812:                            ;   in Loop: Header=BB774_794 Depth=1
	s_or_b64 exec, exec, s[16:17]
	v_cmp_lt_u32_e32 vcc, s26, v6
	v_mov_b32_e32 v16, 0
	v_mov_b32_e32 v17, 0
	s_and_saveexec_b64 s[16:17], vcc
	s_cbranch_execz .LBB774_818
; %bb.813:                              ;   in Loop: Header=BB774_794 Depth=1
	v_lshrrev_b32_e32 v8, 24, v6
	v_cmp_ne_u32_e32 vcc, s23, v8
	v_mov_b32_e32 v17, 0xffff8000
	s_and_saveexec_b64 s[18:19], vcc
	s_cbranch_execz .LBB774_817
; %bb.814:                              ;   in Loop: Header=BB774_794 Depth=1
	v_bfe_u32 v6, v6, 24, 7
	v_cmp_ne_u32_e32 vcc, s25, v6
	v_mov_b32_e32 v17, 0x7f80
	s_and_saveexec_b64 s[20:21], vcc
	s_cbranch_execz .LBB774_816
; %bb.815:                              ;   in Loop: Header=BB774_794 Depth=1
	v_and_b32_e32 v12, 7, v8
	v_ffbh_u32_e32 v18, v12
	v_min_u32_e32 v20, 32, v18
	v_subrev_u32_e32 v18, 28, v20
	v_lshlrev_b64 v[18:19], v18, v[8:9]
	v_lshrrev_b32_e32 v17, 3, v6
	v_sub_u32_e32 v19, 29, v20
	v_and_b32_e32 v18, 7, v18
	v_cmp_gt_u32_e32 vcc, 8, v6
	v_cndmask_b32_e32 v6, v17, v19, vcc
	v_cndmask_b32_e32 v12, v12, v18, vcc
	v_lshlrev_b32_e32 v8, 24, v8
	v_lshlrev_b32_e32 v12, 20, v12
	v_and_b32_e32 v8, 0x80000000, v8
	v_lshl_add_u32 v6, v6, 23, v10
	v_or3_b32 v6, v8, v6, v12
	v_lshrrev_b32_e32 v17, 16, v6
.LBB774_816:                            ;   in Loop: Header=BB774_794 Depth=1
	s_or_b64 exec, exec, s[20:21]
.LBB774_817:                            ;   in Loop: Header=BB774_794 Depth=1
	s_or_b64 exec, exec, s[18:19]
.LBB774_818:                            ;   in Loop: Header=BB774_794 Depth=1
	s_or_b64 exec, exec, s[16:17]
	s_waitcnt vmcnt(0)
	v_cmp_ne_u16_sdwa s[18:19], v4, v9 src0_sel:BYTE_0 src1_sel:DWORD
	s_and_saveexec_b64 s[16:17], s[18:19]
	s_cbranch_execz .LBB774_824
; %bb.819:                              ;   in Loop: Header=BB774_794 Depth=1
	v_cmp_ne_u16_sdwa s[20:21], v4, s23 src0_sel:BYTE_0 src1_sel:DWORD
	v_mov_b32_e32 v16, 0xffff8000
	s_and_saveexec_b64 s[18:19], s[20:21]
	s_cbranch_execz .LBB774_823
; %bb.820:                              ;   in Loop: Header=BB774_794 Depth=1
	v_and_b32_e32 v6, 0x7f, v4
	v_cmp_ne_u32_e32 vcc, s25, v6
	v_mov_b32_e32 v16, 0x7f80
	s_and_saveexec_b64 s[20:21], vcc
	s_cbranch_execz .LBB774_822
; %bb.821:                              ;   in Loop: Header=BB774_794 Depth=1
	v_and_b32_e32 v8, 7, v4
	v_ffbh_u32_e32 v16, v8
	v_min_u32_e32 v16, 32, v16
	v_subrev_u32_e32 v18, 28, v16
	v_lshlrev_b64 v[18:19], v18, v[4:5]
	v_lshrrev_b32_e32 v12, 3, v6
	v_sub_u32_e32 v16, 29, v16
	v_and_b32_e32 v18, 7, v18
	v_cmp_gt_u32_e32 vcc, 8, v6
	v_cndmask_b32_e32 v6, v12, v16, vcc
	v_cndmask_b32_e32 v8, v8, v18, vcc
	v_lshlrev_b32_e32 v12, 24, v4
	v_lshlrev_b32_e32 v8, 20, v8
	v_and_b32_e32 v12, 0x80000000, v12
	v_lshl_add_u32 v6, v6, 23, v10
	v_or3_b32 v6, v12, v6, v8
	v_lshrrev_b32_e32 v16, 16, v6
.LBB774_822:                            ;   in Loop: Header=BB774_794 Depth=1
	s_or_b64 exec, exec, s[20:21]
.LBB774_823:                            ;   in Loop: Header=BB774_794 Depth=1
	s_or_b64 exec, exec, s[18:19]
.LBB774_824:                            ;   in Loop: Header=BB774_794 Depth=1
	s_or_b64 exec, exec, s[16:17]
	v_lshrrev_b16_e32 v6, 8, v4
	v_cmp_ne_u16_e32 vcc, 0, v6
	v_mov_b32_e32 v18, 0
	v_mov_b32_e32 v8, 0
	s_and_saveexec_b64 s[16:17], vcc
	s_cbranch_execz .LBB774_830
; %bb.825:                              ;   in Loop: Header=BB774_794 Depth=1
	v_cmp_ne_u16_e32 vcc, s23, v6
	v_mov_b32_e32 v8, 0xffff8000
	s_and_saveexec_b64 s[18:19], vcc
	s_cbranch_execz .LBB774_829
; %bb.826:                              ;   in Loop: Header=BB774_794 Depth=1
	v_and_b32_e32 v12, 0x7f, v6
	v_cmp_ne_u32_e32 vcc, s25, v12
	v_mov_b32_e32 v8, 0x7f80
	s_and_saveexec_b64 s[20:21], vcc
	s_cbranch_execz .LBB774_828
; %bb.827:                              ;   in Loop: Header=BB774_794 Depth=1
	v_and_b32_e32 v8, 7, v6
	v_ffbh_u32_e32 v20, v8
	v_min_u32_e32 v22, 32, v20
	v_subrev_u32_e32 v20, 28, v22
	v_lshlrev_b64 v[20:21], v20, v[6:7]
	v_lshrrev_b32_e32 v19, 3, v12
	v_sub_u32_e32 v6, 29, v22
	v_and_b32_e32 v20, 7, v20
	v_cmp_gt_u32_e32 vcc, 8, v12
	v_cndmask_b32_e32 v6, v19, v6, vcc
	v_cndmask_b32_e32 v8, v8, v20, vcc
	v_lshlrev_b32_e32 v12, 16, v4
	v_lshlrev_b32_e32 v8, 20, v8
	v_and_b32_e32 v12, 0x80000000, v12
	v_lshl_add_u32 v6, v6, 23, v10
	v_or3_b32 v6, v12, v6, v8
	v_lshrrev_b32_e32 v8, 16, v6
.LBB774_828:                            ;   in Loop: Header=BB774_794 Depth=1
	s_or_b64 exec, exec, s[20:21]
.LBB774_829:                            ;   in Loop: Header=BB774_794 Depth=1
	s_or_b64 exec, exec, s[18:19]
.LBB774_830:                            ;   in Loop: Header=BB774_794 Depth=1
	s_or_b64 exec, exec, s[16:17]
	v_lshrrev_b32_e32 v6, 16, v4
	v_cmp_ne_u16_sdwa s[18:19], v6, v9 src0_sel:BYTE_0 src1_sel:DWORD
	s_and_saveexec_b64 s[16:17], s[18:19]
	s_cbranch_execz .LBB774_836
; %bb.831:                              ;   in Loop: Header=BB774_794 Depth=1
	v_cmp_ne_u16_sdwa s[20:21], v6, s23 src0_sel:BYTE_0 src1_sel:DWORD
	v_mov_b32_e32 v18, 0xffff8000
	s_and_saveexec_b64 s[18:19], s[20:21]
	s_cbranch_execz .LBB774_835
; %bb.832:                              ;   in Loop: Header=BB774_794 Depth=1
	v_bfe_u32 v12, v4, 16, 7
	v_cmp_ne_u32_e32 vcc, s25, v12
	v_mov_b32_e32 v18, 0x7f80
	s_and_saveexec_b64 s[20:21], vcc
	s_cbranch_execz .LBB774_834
; %bb.833:                              ;   in Loop: Header=BB774_794 Depth=1
	v_and_b32_e32 v20, 7, v6
	v_ffbh_u32_e32 v18, v20
	v_min_u32_e32 v22, 32, v18
	v_subrev_u32_e32 v18, 28, v22
	v_lshlrev_b64 v[18:19], v18, v[6:7]
	v_lshrrev_b32_e32 v21, 3, v12
	v_sub_u32_e32 v19, 29, v22
	v_and_b32_e32 v18, 7, v18
	v_cmp_gt_u32_e32 vcc, 8, v12
	v_cndmask_b32_e32 v12, v21, v19, vcc
	v_cndmask_b32_e32 v18, v20, v18, vcc
	v_lshlrev_b32_e32 v6, 24, v6
	v_lshlrev_b32_e32 v18, 20, v18
	v_and_b32_e32 v6, 0x80000000, v6
	v_lshl_add_u32 v12, v12, 23, v10
	v_or3_b32 v6, v6, v12, v18
	v_lshrrev_b32_e32 v18, 16, v6
.LBB774_834:                            ;   in Loop: Header=BB774_794 Depth=1
	s_or_b64 exec, exec, s[20:21]
.LBB774_835:                            ;   in Loop: Header=BB774_794 Depth=1
	s_or_b64 exec, exec, s[18:19]
.LBB774_836:                            ;   in Loop: Header=BB774_794 Depth=1
	s_or_b64 exec, exec, s[16:17]
	v_cmp_lt_u32_e32 vcc, s26, v4
	v_mov_b32_e32 v12, 0
	v_mov_b32_e32 v19, 0
	s_and_saveexec_b64 s[16:17], vcc
	s_cbranch_execz .LBB774_842
; %bb.837:                              ;   in Loop: Header=BB774_794 Depth=1
	v_lshrrev_b32_e32 v6, 24, v4
	v_cmp_ne_u32_e32 vcc, s23, v6
	v_mov_b32_e32 v19, 0xffff8000
	s_and_saveexec_b64 s[18:19], vcc
	s_cbranch_execz .LBB774_841
; %bb.838:                              ;   in Loop: Header=BB774_794 Depth=1
	v_bfe_u32 v4, v4, 24, 7
	v_cmp_ne_u32_e32 vcc, s25, v4
	v_mov_b32_e32 v19, 0x7f80
	s_and_saveexec_b64 s[20:21], vcc
	s_cbranch_execz .LBB774_840
; %bb.839:                              ;   in Loop: Header=BB774_794 Depth=1
	v_and_b32_e32 v19, 7, v6
	v_ffbh_u32_e32 v20, v19
	v_min_u32_e32 v23, 32, v20
	v_subrev_u32_e32 v20, 28, v23
	v_lshlrev_b64 v[20:21], v20, v[6:7]
	v_lshrrev_b32_e32 v22, 3, v4
	v_sub_u32_e32 v21, 29, v23
	v_and_b32_e32 v20, 7, v20
	v_cmp_gt_u32_e32 vcc, 8, v4
	v_cndmask_b32_e32 v4, v22, v21, vcc
	v_cndmask_b32_e32 v19, v19, v20, vcc
	v_lshlrev_b32_e32 v6, 24, v6
	v_lshlrev_b32_e32 v19, 20, v19
	v_and_b32_e32 v6, 0x80000000, v6
	v_lshl_add_u32 v4, v4, 23, v10
	v_or3_b32 v4, v6, v4, v19
	v_lshrrev_b32_e32 v19, 16, v4
.LBB774_840:                            ;   in Loop: Header=BB774_794 Depth=1
	s_or_b64 exec, exec, s[20:21]
.LBB774_841:                            ;   in Loop: Header=BB774_794 Depth=1
	s_or_b64 exec, exec, s[18:19]
.LBB774_842:                            ;   in Loop: Header=BB774_794 Depth=1
	s_or_b64 exec, exec, s[16:17]
	buffer_load_dword v6, v11, s[0:3], 0 offen offset:8
	buffer_load_dword v4, v11, s[0:3], 0 offen offset:12
	v_perm_b32 v15, v17, v15, s27
	v_perm_b32 v14, v14, v13, s27
	;; [unrolled: 1-line block ×4, first 2 shown]
	v_mfma_f32_4x4x4bf16_1k a[0:3], v[2:3], v[14:15], 0 cbsz:4
	s_waitcnt vmcnt(1)
	v_cmp_ne_u16_sdwa s[18:19], v6, v9 src0_sel:BYTE_0 src1_sel:DWORD
	v_mfma_f32_4x4x4bf16_1k a[0:3], v[2:3], v[16:17], a[0:3] cbsz:4 abid:1
	s_and_saveexec_b64 s[16:17], s[18:19]
	s_cbranch_execz .LBB774_848
; %bb.843:                              ;   in Loop: Header=BB774_794 Depth=1
	v_cmp_ne_u16_sdwa s[20:21], v6, s23 src0_sel:BYTE_0 src1_sel:DWORD
	v_mov_b32_e32 v12, 0xffff8000
	s_and_saveexec_b64 s[18:19], s[20:21]
	s_cbranch_execz .LBB774_847
; %bb.844:                              ;   in Loop: Header=BB774_794 Depth=1
	v_and_b32_e32 v8, 0x7f, v6
	v_cmp_ne_u32_e32 vcc, s25, v8
	v_mov_b32_e32 v12, 0x7f80
	s_and_saveexec_b64 s[20:21], vcc
	s_cbranch_execz .LBB774_846
; %bb.845:                              ;   in Loop: Header=BB774_794 Depth=1
	v_and_b32_e32 v14, 7, v6
	v_ffbh_u32_e32 v12, v14
	v_min_u32_e32 v16, 32, v12
	v_subrev_u32_e32 v12, 28, v16
	v_lshlrev_b64 v[12:13], v12, v[6:7]
	v_lshrrev_b32_e32 v15, 3, v8
	v_sub_u32_e32 v13, 29, v16
	v_and_b32_e32 v12, 7, v12
	v_cmp_gt_u32_e32 vcc, 8, v8
	v_cndmask_b32_e32 v8, v15, v13, vcc
	v_cndmask_b32_e32 v12, v14, v12, vcc
	v_lshlrev_b32_e32 v13, 24, v6
	v_lshlrev_b32_e32 v12, 20, v12
	v_and_b32_e32 v13, 0x80000000, v13
	v_lshl_add_u32 v8, v8, 23, v10
	v_or3_b32 v8, v13, v8, v12
	v_lshrrev_b32_e32 v12, 16, v8
.LBB774_846:                            ;   in Loop: Header=BB774_794 Depth=1
	s_or_b64 exec, exec, s[20:21]
.LBB774_847:                            ;   in Loop: Header=BB774_794 Depth=1
	s_or_b64 exec, exec, s[18:19]
.LBB774_848:                            ;   in Loop: Header=BB774_794 Depth=1
	s_or_b64 exec, exec, s[16:17]
	v_lshrrev_b16_e32 v8, 8, v6
	v_cmp_ne_u16_e32 vcc, 0, v8
	v_mov_b32_e32 v15, 0
	v_mov_b32_e32 v14, 0
	s_and_saveexec_b64 s[16:17], vcc
	s_cbranch_execz .LBB774_854
; %bb.849:                              ;   in Loop: Header=BB774_794 Depth=1
	v_cmp_ne_u16_e32 vcc, s23, v8
	v_mov_b32_e32 v14, 0xffff8000
	s_and_saveexec_b64 s[18:19], vcc
	s_cbranch_execz .LBB774_853
; %bb.850:                              ;   in Loop: Header=BB774_794 Depth=1
	v_and_b32_e32 v13, 0x7f, v8
	v_cmp_ne_u32_e32 vcc, s25, v13
	v_mov_b32_e32 v14, 0x7f80
	s_and_saveexec_b64 s[20:21], vcc
	s_cbranch_execz .LBB774_852
; %bb.851:                              ;   in Loop: Header=BB774_794 Depth=1
	v_and_b32_e32 v14, 7, v8
	v_ffbh_u32_e32 v16, v14
	v_min_u32_e32 v19, 32, v16
	v_subrev_u32_e32 v16, 28, v19
	v_lshlrev_b64 v[16:17], v16, v[8:9]
	v_lshrrev_b32_e32 v18, 3, v13
	v_sub_u32_e32 v8, 29, v19
	v_and_b32_e32 v16, 7, v16
	v_cmp_gt_u32_e32 vcc, 8, v13
	v_cndmask_b32_e32 v8, v18, v8, vcc
	v_cndmask_b32_e32 v13, v14, v16, vcc
	v_lshlrev_b32_e32 v14, 16, v6
	v_lshlrev_b32_e32 v13, 20, v13
	v_and_b32_e32 v14, 0x80000000, v14
	v_lshl_add_u32 v8, v8, 23, v10
	v_or3_b32 v8, v14, v8, v13
	v_lshrrev_b32_e32 v14, 16, v8
.LBB774_852:                            ;   in Loop: Header=BB774_794 Depth=1
	s_or_b64 exec, exec, s[20:21]
.LBB774_853:                            ;   in Loop: Header=BB774_794 Depth=1
	s_or_b64 exec, exec, s[18:19]
.LBB774_854:                            ;   in Loop: Header=BB774_794 Depth=1
	s_or_b64 exec, exec, s[16:17]
	v_lshrrev_b32_e32 v8, 16, v6
	v_cmp_ne_u16_sdwa s[18:19], v8, v9 src0_sel:BYTE_0 src1_sel:DWORD
	s_and_saveexec_b64 s[16:17], s[18:19]
	s_cbranch_execz .LBB774_860
; %bb.855:                              ;   in Loop: Header=BB774_794 Depth=1
	v_cmp_ne_u16_sdwa s[20:21], v8, s23 src0_sel:BYTE_0 src1_sel:DWORD
	v_mov_b32_e32 v15, 0xffff8000
	s_and_saveexec_b64 s[18:19], s[20:21]
	s_cbranch_execz .LBB774_859
; %bb.856:                              ;   in Loop: Header=BB774_794 Depth=1
	v_bfe_u32 v13, v6, 16, 7
	v_cmp_ne_u32_e32 vcc, s25, v13
	v_mov_b32_e32 v15, 0x7f80
	s_and_saveexec_b64 s[20:21], vcc
	s_cbranch_execz .LBB774_858
; %bb.857:                              ;   in Loop: Header=BB774_794 Depth=1
	v_and_b32_e32 v15, 7, v8
	v_ffbh_u32_e32 v16, v15
	v_min_u32_e32 v19, 32, v16
	v_subrev_u32_e32 v16, 28, v19
	v_lshlrev_b64 v[16:17], v16, v[8:9]
	v_lshrrev_b32_e32 v18, 3, v13
	v_sub_u32_e32 v17, 29, v19
	v_and_b32_e32 v16, 7, v16
	v_cmp_gt_u32_e32 vcc, 8, v13
	v_cndmask_b32_e32 v13, v18, v17, vcc
	v_cndmask_b32_e32 v15, v15, v16, vcc
	v_lshlrev_b32_e32 v8, 24, v8
	v_lshlrev_b32_e32 v15, 20, v15
	v_and_b32_e32 v8, 0x80000000, v8
	v_lshl_add_u32 v13, v13, 23, v10
	v_or3_b32 v8, v8, v13, v15
	v_lshrrev_b32_e32 v15, 16, v8
.LBB774_858:                            ;   in Loop: Header=BB774_794 Depth=1
	s_or_b64 exec, exec, s[20:21]
.LBB774_859:                            ;   in Loop: Header=BB774_794 Depth=1
	s_or_b64 exec, exec, s[18:19]
.LBB774_860:                            ;   in Loop: Header=BB774_794 Depth=1
	s_or_b64 exec, exec, s[16:17]
	v_cmp_lt_u32_e32 vcc, s26, v6
	v_mov_b32_e32 v16, 0
	v_mov_b32_e32 v17, 0
	s_and_saveexec_b64 s[16:17], vcc
	s_cbranch_execz .LBB774_866
; %bb.861:                              ;   in Loop: Header=BB774_794 Depth=1
	v_lshrrev_b32_e32 v8, 24, v6
	v_cmp_ne_u32_e32 vcc, s23, v8
	v_mov_b32_e32 v17, 0xffff8000
	s_and_saveexec_b64 s[18:19], vcc
	s_cbranch_execz .LBB774_865
; %bb.862:                              ;   in Loop: Header=BB774_794 Depth=1
	v_bfe_u32 v6, v6, 24, 7
	v_cmp_ne_u32_e32 vcc, s25, v6
	v_mov_b32_e32 v17, 0x7f80
	s_and_saveexec_b64 s[20:21], vcc
	s_cbranch_execz .LBB774_864
; %bb.863:                              ;   in Loop: Header=BB774_794 Depth=1
	v_and_b32_e32 v13, 7, v8
	v_ffbh_u32_e32 v18, v13
	v_min_u32_e32 v20, 32, v18
	v_subrev_u32_e32 v18, 28, v20
	v_lshlrev_b64 v[18:19], v18, v[8:9]
	v_lshrrev_b32_e32 v17, 3, v6
	v_sub_u32_e32 v19, 29, v20
	v_and_b32_e32 v18, 7, v18
	v_cmp_gt_u32_e32 vcc, 8, v6
	v_cndmask_b32_e32 v6, v17, v19, vcc
	v_cndmask_b32_e32 v13, v13, v18, vcc
	v_lshlrev_b32_e32 v8, 24, v8
	v_lshlrev_b32_e32 v13, 20, v13
	v_and_b32_e32 v8, 0x80000000, v8
	v_lshl_add_u32 v6, v6, 23, v10
	v_or3_b32 v6, v8, v6, v13
	v_lshrrev_b32_e32 v17, 16, v6
.LBB774_864:                            ;   in Loop: Header=BB774_794 Depth=1
	s_or_b64 exec, exec, s[20:21]
.LBB774_865:                            ;   in Loop: Header=BB774_794 Depth=1
	s_or_b64 exec, exec, s[18:19]
.LBB774_866:                            ;   in Loop: Header=BB774_794 Depth=1
	s_or_b64 exec, exec, s[16:17]
	s_waitcnt vmcnt(0)
	v_cmp_ne_u16_sdwa s[18:19], v4, v9 src0_sel:BYTE_0 src1_sel:DWORD
	s_and_saveexec_b64 s[16:17], s[18:19]
	s_cbranch_execz .LBB774_872
; %bb.867:                              ;   in Loop: Header=BB774_794 Depth=1
	v_cmp_ne_u16_sdwa s[20:21], v4, s23 src0_sel:BYTE_0 src1_sel:DWORD
	v_mov_b32_e32 v16, 0xffff8000
	s_and_saveexec_b64 s[18:19], s[20:21]
	s_cbranch_execz .LBB774_871
; %bb.868:                              ;   in Loop: Header=BB774_794 Depth=1
	v_and_b32_e32 v6, 0x7f, v4
	v_cmp_ne_u32_e32 vcc, s25, v6
	v_mov_b32_e32 v16, 0x7f80
	s_and_saveexec_b64 s[20:21], vcc
	s_cbranch_execz .LBB774_870
; %bb.869:                              ;   in Loop: Header=BB774_794 Depth=1
	v_and_b32_e32 v8, 7, v4
	v_ffbh_u32_e32 v16, v8
	v_min_u32_e32 v16, 32, v16
	v_subrev_u32_e32 v18, 28, v16
	v_lshlrev_b64 v[18:19], v18, v[4:5]
	v_lshrrev_b32_e32 v13, 3, v6
	v_sub_u32_e32 v16, 29, v16
	v_and_b32_e32 v18, 7, v18
	v_cmp_gt_u32_e32 vcc, 8, v6
	v_cndmask_b32_e32 v6, v13, v16, vcc
	v_cndmask_b32_e32 v8, v8, v18, vcc
	v_lshlrev_b32_e32 v13, 24, v4
	v_lshlrev_b32_e32 v8, 20, v8
	v_and_b32_e32 v13, 0x80000000, v13
	v_lshl_add_u32 v6, v6, 23, v10
	v_or3_b32 v6, v13, v6, v8
	v_lshrrev_b32_e32 v16, 16, v6
.LBB774_870:                            ;   in Loop: Header=BB774_794 Depth=1
	s_or_b64 exec, exec, s[20:21]
.LBB774_871:                            ;   in Loop: Header=BB774_794 Depth=1
	s_or_b64 exec, exec, s[18:19]
.LBB774_872:                            ;   in Loop: Header=BB774_794 Depth=1
	s_or_b64 exec, exec, s[16:17]
	v_lshrrev_b16_e32 v6, 8, v4
	v_cmp_ne_u16_e32 vcc, 0, v6
	v_mov_b32_e32 v18, 0
	v_mov_b32_e32 v8, 0
	s_and_saveexec_b64 s[16:17], vcc
	s_cbranch_execz .LBB774_878
; %bb.873:                              ;   in Loop: Header=BB774_794 Depth=1
	v_cmp_ne_u16_e32 vcc, s23, v6
	v_mov_b32_e32 v8, 0xffff8000
	s_and_saveexec_b64 s[18:19], vcc
	s_cbranch_execz .LBB774_877
; %bb.874:                              ;   in Loop: Header=BB774_794 Depth=1
	v_and_b32_e32 v13, 0x7f, v6
	v_cmp_ne_u32_e32 vcc, s25, v13
	v_mov_b32_e32 v8, 0x7f80
	s_and_saveexec_b64 s[20:21], vcc
	s_cbranch_execz .LBB774_876
; %bb.875:                              ;   in Loop: Header=BB774_794 Depth=1
	v_and_b32_e32 v8, 7, v6
	v_ffbh_u32_e32 v20, v8
	v_min_u32_e32 v22, 32, v20
	v_subrev_u32_e32 v20, 28, v22
	v_lshlrev_b64 v[20:21], v20, v[6:7]
	v_lshrrev_b32_e32 v19, 3, v13
	v_sub_u32_e32 v6, 29, v22
	v_and_b32_e32 v20, 7, v20
	v_cmp_gt_u32_e32 vcc, 8, v13
	v_cndmask_b32_e32 v6, v19, v6, vcc
	v_cndmask_b32_e32 v8, v8, v20, vcc
	v_lshlrev_b32_e32 v13, 16, v4
	v_lshlrev_b32_e32 v8, 20, v8
	v_and_b32_e32 v13, 0x80000000, v13
	v_lshl_add_u32 v6, v6, 23, v10
	v_or3_b32 v6, v13, v6, v8
	v_lshrrev_b32_e32 v8, 16, v6
.LBB774_876:                            ;   in Loop: Header=BB774_794 Depth=1
	s_or_b64 exec, exec, s[20:21]
.LBB774_877:                            ;   in Loop: Header=BB774_794 Depth=1
	s_or_b64 exec, exec, s[18:19]
.LBB774_878:                            ;   in Loop: Header=BB774_794 Depth=1
	s_or_b64 exec, exec, s[16:17]
	v_lshrrev_b32_e32 v6, 16, v4
	v_cmp_ne_u16_sdwa s[18:19], v6, v9 src0_sel:BYTE_0 src1_sel:DWORD
	s_and_saveexec_b64 s[16:17], s[18:19]
	s_cbranch_execz .LBB774_884
; %bb.879:                              ;   in Loop: Header=BB774_794 Depth=1
	v_cmp_ne_u16_sdwa s[20:21], v6, s23 src0_sel:BYTE_0 src1_sel:DWORD
	v_mov_b32_e32 v18, 0xffff8000
	s_and_saveexec_b64 s[18:19], s[20:21]
	s_cbranch_execz .LBB774_883
; %bb.880:                              ;   in Loop: Header=BB774_794 Depth=1
	v_bfe_u32 v13, v4, 16, 7
	v_cmp_ne_u32_e32 vcc, s25, v13
	v_mov_b32_e32 v18, 0x7f80
	s_and_saveexec_b64 s[20:21], vcc
	s_cbranch_execz .LBB774_882
; %bb.881:                              ;   in Loop: Header=BB774_794 Depth=1
	v_and_b32_e32 v20, 7, v6
	v_ffbh_u32_e32 v18, v20
	v_min_u32_e32 v22, 32, v18
	v_subrev_u32_e32 v18, 28, v22
	v_lshlrev_b64 v[18:19], v18, v[6:7]
	v_lshrrev_b32_e32 v21, 3, v13
	v_sub_u32_e32 v19, 29, v22
	v_and_b32_e32 v18, 7, v18
	v_cmp_gt_u32_e32 vcc, 8, v13
	v_cndmask_b32_e32 v13, v21, v19, vcc
	v_cndmask_b32_e32 v18, v20, v18, vcc
	v_lshlrev_b32_e32 v6, 24, v6
	v_lshlrev_b32_e32 v18, 20, v18
	v_and_b32_e32 v6, 0x80000000, v6
	v_lshl_add_u32 v13, v13, 23, v10
	v_or3_b32 v6, v6, v13, v18
	v_lshrrev_b32_e32 v18, 16, v6
.LBB774_882:                            ;   in Loop: Header=BB774_794 Depth=1
	s_or_b64 exec, exec, s[20:21]
.LBB774_883:                            ;   in Loop: Header=BB774_794 Depth=1
	s_or_b64 exec, exec, s[18:19]
.LBB774_884:                            ;   in Loop: Header=BB774_794 Depth=1
	s_or_b64 exec, exec, s[16:17]
	v_cmp_lt_u32_e32 vcc, s26, v4
	v_mov_b32_e32 v13, 0
	v_mov_b32_e32 v19, 0
	s_and_saveexec_b64 s[16:17], vcc
	s_cbranch_execz .LBB774_890
; %bb.885:                              ;   in Loop: Header=BB774_794 Depth=1
	v_lshrrev_b32_e32 v6, 24, v4
	v_cmp_ne_u32_e32 vcc, s23, v6
	v_mov_b32_e32 v19, 0xffff8000
	s_and_saveexec_b64 s[18:19], vcc
	s_cbranch_execz .LBB774_889
; %bb.886:                              ;   in Loop: Header=BB774_794 Depth=1
	v_bfe_u32 v4, v4, 24, 7
	v_cmp_ne_u32_e32 vcc, s25, v4
	v_mov_b32_e32 v19, 0x7f80
	s_and_saveexec_b64 s[20:21], vcc
	s_cbranch_execz .LBB774_888
; %bb.887:                              ;   in Loop: Header=BB774_794 Depth=1
	v_and_b32_e32 v19, 7, v6
	v_ffbh_u32_e32 v20, v19
	v_min_u32_e32 v23, 32, v20
	v_subrev_u32_e32 v20, 28, v23
	v_lshlrev_b64 v[20:21], v20, v[6:7]
	v_lshrrev_b32_e32 v22, 3, v4
	v_sub_u32_e32 v21, 29, v23
	v_and_b32_e32 v20, 7, v20
	v_cmp_gt_u32_e32 vcc, 8, v4
	v_cndmask_b32_e32 v4, v22, v21, vcc
	v_cndmask_b32_e32 v19, v19, v20, vcc
	v_lshlrev_b32_e32 v6, 24, v6
	v_lshlrev_b32_e32 v19, 20, v19
	v_and_b32_e32 v6, 0x80000000, v6
	v_lshl_add_u32 v4, v4, 23, v10
	v_or3_b32 v4, v6, v4, v19
	v_lshrrev_b32_e32 v19, 16, v4
.LBB774_888:                            ;   in Loop: Header=BB774_794 Depth=1
	s_or_b64 exec, exec, s[20:21]
.LBB774_889:                            ;   in Loop: Header=BB774_794 Depth=1
	s_or_b64 exec, exec, s[18:19]
.LBB774_890:                            ;   in Loop: Header=BB774_794 Depth=1
	s_or_b64 exec, exec, s[16:17]
	buffer_load_dword v6, v11, s[0:3], 0 offen offset:16
	buffer_load_dword v4, v11, s[0:3], 0 offen offset:20
	v_perm_b32 v15, v17, v15, s27
	v_perm_b32 v14, v14, v12, s27
	;; [unrolled: 1-line block ×4, first 2 shown]
	v_mfma_f32_4x4x4bf16_1k a[0:3], v[2:3], v[14:15], a[0:3] cbsz:4 abid:2
	s_waitcnt vmcnt(1)
	v_cmp_ne_u16_sdwa s[18:19], v6, v9 src0_sel:BYTE_0 src1_sel:DWORD
	v_mfma_f32_4x4x4bf16_1k a[0:3], v[2:3], v[16:17], a[0:3] cbsz:4 abid:3
	s_and_saveexec_b64 s[16:17], s[18:19]
	s_cbranch_execz .LBB774_896
; %bb.891:                              ;   in Loop: Header=BB774_794 Depth=1
	v_cmp_ne_u16_sdwa s[20:21], v6, s23 src0_sel:BYTE_0 src1_sel:DWORD
	v_mov_b32_e32 v13, 0xffff8000
	s_and_saveexec_b64 s[18:19], s[20:21]
	s_cbranch_execz .LBB774_895
; %bb.892:                              ;   in Loop: Header=BB774_794 Depth=1
	v_and_b32_e32 v8, 0x7f, v6
	v_cmp_ne_u32_e32 vcc, s25, v8
	v_mov_b32_e32 v13, 0x7f80
	s_and_saveexec_b64 s[20:21], vcc
	s_cbranch_execz .LBB774_894
; %bb.893:                              ;   in Loop: Header=BB774_794 Depth=1
	v_and_b32_e32 v14, 7, v6
	v_ffbh_u32_e32 v12, v14
	v_min_u32_e32 v16, 32, v12
	v_subrev_u32_e32 v12, 28, v16
	v_lshlrev_b64 v[12:13], v12, v[6:7]
	v_lshrrev_b32_e32 v15, 3, v8
	v_sub_u32_e32 v13, 29, v16
	v_and_b32_e32 v12, 7, v12
	v_cmp_gt_u32_e32 vcc, 8, v8
	v_cndmask_b32_e32 v8, v15, v13, vcc
	v_cndmask_b32_e32 v12, v14, v12, vcc
	v_lshlrev_b32_e32 v13, 24, v6
	v_lshlrev_b32_e32 v12, 20, v12
	v_and_b32_e32 v13, 0x80000000, v13
	v_lshl_add_u32 v8, v8, 23, v10
	v_or3_b32 v8, v13, v8, v12
	v_lshrrev_b32_e32 v13, 16, v8
.LBB774_894:                            ;   in Loop: Header=BB774_794 Depth=1
	s_or_b64 exec, exec, s[20:21]
.LBB774_895:                            ;   in Loop: Header=BB774_794 Depth=1
	s_or_b64 exec, exec, s[18:19]
.LBB774_896:                            ;   in Loop: Header=BB774_794 Depth=1
	s_or_b64 exec, exec, s[16:17]
	v_lshrrev_b16_e32 v8, 8, v6
	v_cmp_ne_u16_e32 vcc, 0, v8
	v_mov_b32_e32 v15, 0
	v_mov_b32_e32 v14, 0
	s_and_saveexec_b64 s[16:17], vcc
	s_cbranch_execz .LBB774_902
; %bb.897:                              ;   in Loop: Header=BB774_794 Depth=1
	v_cmp_ne_u16_e32 vcc, s23, v8
	v_mov_b32_e32 v14, 0xffff8000
	s_and_saveexec_b64 s[18:19], vcc
	s_cbranch_execz .LBB774_901
; %bb.898:                              ;   in Loop: Header=BB774_794 Depth=1
	v_and_b32_e32 v12, 0x7f, v8
	v_cmp_ne_u32_e32 vcc, s25, v12
	v_mov_b32_e32 v14, 0x7f80
	s_and_saveexec_b64 s[20:21], vcc
	s_cbranch_execz .LBB774_900
; %bb.899:                              ;   in Loop: Header=BB774_794 Depth=1
	v_and_b32_e32 v14, 7, v8
	v_ffbh_u32_e32 v16, v14
	v_min_u32_e32 v19, 32, v16
	v_subrev_u32_e32 v16, 28, v19
	v_lshlrev_b64 v[16:17], v16, v[8:9]
	v_lshrrev_b32_e32 v18, 3, v12
	v_sub_u32_e32 v8, 29, v19
	v_and_b32_e32 v16, 7, v16
	v_cmp_gt_u32_e32 vcc, 8, v12
	v_cndmask_b32_e32 v8, v18, v8, vcc
	v_cndmask_b32_e32 v12, v14, v16, vcc
	v_lshlrev_b32_e32 v14, 16, v6
	v_lshlrev_b32_e32 v12, 20, v12
	v_and_b32_e32 v14, 0x80000000, v14
	v_lshl_add_u32 v8, v8, 23, v10
	v_or3_b32 v8, v14, v8, v12
	v_lshrrev_b32_e32 v14, 16, v8
.LBB774_900:                            ;   in Loop: Header=BB774_794 Depth=1
	s_or_b64 exec, exec, s[20:21]
.LBB774_901:                            ;   in Loop: Header=BB774_794 Depth=1
	s_or_b64 exec, exec, s[18:19]
.LBB774_902:                            ;   in Loop: Header=BB774_794 Depth=1
	s_or_b64 exec, exec, s[16:17]
	v_lshrrev_b32_e32 v8, 16, v6
	v_cmp_ne_u16_sdwa s[18:19], v8, v9 src0_sel:BYTE_0 src1_sel:DWORD
	s_and_saveexec_b64 s[16:17], s[18:19]
	s_cbranch_execz .LBB774_908
; %bb.903:                              ;   in Loop: Header=BB774_794 Depth=1
	v_cmp_ne_u16_sdwa s[20:21], v8, s23 src0_sel:BYTE_0 src1_sel:DWORD
	v_mov_b32_e32 v15, 0xffff8000
	s_and_saveexec_b64 s[18:19], s[20:21]
	s_cbranch_execz .LBB774_907
; %bb.904:                              ;   in Loop: Header=BB774_794 Depth=1
	v_bfe_u32 v12, v6, 16, 7
	v_cmp_ne_u32_e32 vcc, s25, v12
	v_mov_b32_e32 v15, 0x7f80
	s_and_saveexec_b64 s[20:21], vcc
	s_cbranch_execz .LBB774_906
; %bb.905:                              ;   in Loop: Header=BB774_794 Depth=1
	v_and_b32_e32 v15, 7, v8
	v_ffbh_u32_e32 v16, v15
	v_min_u32_e32 v19, 32, v16
	v_subrev_u32_e32 v16, 28, v19
	v_lshlrev_b64 v[16:17], v16, v[8:9]
	v_lshrrev_b32_e32 v18, 3, v12
	v_sub_u32_e32 v17, 29, v19
	v_and_b32_e32 v16, 7, v16
	v_cmp_gt_u32_e32 vcc, 8, v12
	v_cndmask_b32_e32 v12, v18, v17, vcc
	v_cndmask_b32_e32 v15, v15, v16, vcc
	v_lshlrev_b32_e32 v8, 24, v8
	v_lshlrev_b32_e32 v15, 20, v15
	v_and_b32_e32 v8, 0x80000000, v8
	v_lshl_add_u32 v12, v12, 23, v10
	v_or3_b32 v8, v8, v12, v15
	v_lshrrev_b32_e32 v15, 16, v8
.LBB774_906:                            ;   in Loop: Header=BB774_794 Depth=1
	s_or_b64 exec, exec, s[20:21]
.LBB774_907:                            ;   in Loop: Header=BB774_794 Depth=1
	s_or_b64 exec, exec, s[18:19]
.LBB774_908:                            ;   in Loop: Header=BB774_794 Depth=1
	s_or_b64 exec, exec, s[16:17]
	v_cmp_lt_u32_e32 vcc, s26, v6
	v_mov_b32_e32 v16, 0
	v_mov_b32_e32 v17, 0
	s_and_saveexec_b64 s[16:17], vcc
	s_cbranch_execz .LBB774_914
; %bb.909:                              ;   in Loop: Header=BB774_794 Depth=1
	v_lshrrev_b32_e32 v8, 24, v6
	v_cmp_ne_u32_e32 vcc, s23, v8
	v_mov_b32_e32 v17, 0xffff8000
	s_and_saveexec_b64 s[18:19], vcc
	s_cbranch_execz .LBB774_913
; %bb.910:                              ;   in Loop: Header=BB774_794 Depth=1
	v_bfe_u32 v6, v6, 24, 7
	v_cmp_ne_u32_e32 vcc, s25, v6
	v_mov_b32_e32 v17, 0x7f80
	s_and_saveexec_b64 s[20:21], vcc
	s_cbranch_execz .LBB774_912
; %bb.911:                              ;   in Loop: Header=BB774_794 Depth=1
	v_and_b32_e32 v12, 7, v8
	v_ffbh_u32_e32 v18, v12
	v_min_u32_e32 v20, 32, v18
	v_subrev_u32_e32 v18, 28, v20
	v_lshlrev_b64 v[18:19], v18, v[8:9]
	v_lshrrev_b32_e32 v17, 3, v6
	v_sub_u32_e32 v19, 29, v20
	v_and_b32_e32 v18, 7, v18
	v_cmp_gt_u32_e32 vcc, 8, v6
	v_cndmask_b32_e32 v6, v17, v19, vcc
	v_cndmask_b32_e32 v12, v12, v18, vcc
	v_lshlrev_b32_e32 v8, 24, v8
	v_lshlrev_b32_e32 v12, 20, v12
	v_and_b32_e32 v8, 0x80000000, v8
	v_lshl_add_u32 v6, v6, 23, v10
	v_or3_b32 v6, v8, v6, v12
	v_lshrrev_b32_e32 v17, 16, v6
.LBB774_912:                            ;   in Loop: Header=BB774_794 Depth=1
	s_or_b64 exec, exec, s[20:21]
.LBB774_913:                            ;   in Loop: Header=BB774_794 Depth=1
	s_or_b64 exec, exec, s[18:19]
.LBB774_914:                            ;   in Loop: Header=BB774_794 Depth=1
	s_or_b64 exec, exec, s[16:17]
	s_waitcnt vmcnt(0)
	v_cmp_ne_u16_sdwa s[18:19], v4, v9 src0_sel:BYTE_0 src1_sel:DWORD
	s_and_saveexec_b64 s[16:17], s[18:19]
	s_cbranch_execz .LBB774_920
; %bb.915:                              ;   in Loop: Header=BB774_794 Depth=1
	v_cmp_ne_u16_sdwa s[20:21], v4, s23 src0_sel:BYTE_0 src1_sel:DWORD
	v_mov_b32_e32 v16, 0xffff8000
	s_and_saveexec_b64 s[18:19], s[20:21]
	s_cbranch_execz .LBB774_919
; %bb.916:                              ;   in Loop: Header=BB774_794 Depth=1
	v_and_b32_e32 v6, 0x7f, v4
	v_cmp_ne_u32_e32 vcc, s25, v6
	v_mov_b32_e32 v16, 0x7f80
	s_and_saveexec_b64 s[20:21], vcc
	s_cbranch_execz .LBB774_918
; %bb.917:                              ;   in Loop: Header=BB774_794 Depth=1
	v_and_b32_e32 v8, 7, v4
	v_ffbh_u32_e32 v16, v8
	v_min_u32_e32 v16, 32, v16
	v_subrev_u32_e32 v18, 28, v16
	v_lshlrev_b64 v[18:19], v18, v[4:5]
	v_lshrrev_b32_e32 v12, 3, v6
	v_sub_u32_e32 v16, 29, v16
	v_and_b32_e32 v18, 7, v18
	v_cmp_gt_u32_e32 vcc, 8, v6
	v_cndmask_b32_e32 v6, v12, v16, vcc
	v_cndmask_b32_e32 v8, v8, v18, vcc
	v_lshlrev_b32_e32 v12, 24, v4
	v_lshlrev_b32_e32 v8, 20, v8
	v_and_b32_e32 v12, 0x80000000, v12
	v_lshl_add_u32 v6, v6, 23, v10
	v_or3_b32 v6, v12, v6, v8
	v_lshrrev_b32_e32 v16, 16, v6
.LBB774_918:                            ;   in Loop: Header=BB774_794 Depth=1
	s_or_b64 exec, exec, s[20:21]
.LBB774_919:                            ;   in Loop: Header=BB774_794 Depth=1
	s_or_b64 exec, exec, s[18:19]
.LBB774_920:                            ;   in Loop: Header=BB774_794 Depth=1
	s_or_b64 exec, exec, s[16:17]
	v_lshrrev_b16_e32 v6, 8, v4
	v_cmp_ne_u16_e32 vcc, 0, v6
	v_mov_b32_e32 v18, 0
	v_mov_b32_e32 v8, 0
	s_and_saveexec_b64 s[16:17], vcc
	s_cbranch_execz .LBB774_926
; %bb.921:                              ;   in Loop: Header=BB774_794 Depth=1
	v_cmp_ne_u16_e32 vcc, s23, v6
	v_mov_b32_e32 v8, 0xffff8000
	s_and_saveexec_b64 s[18:19], vcc
	s_cbranch_execz .LBB774_925
; %bb.922:                              ;   in Loop: Header=BB774_794 Depth=1
	v_and_b32_e32 v12, 0x7f, v6
	v_cmp_ne_u32_e32 vcc, s25, v12
	v_mov_b32_e32 v8, 0x7f80
	s_and_saveexec_b64 s[20:21], vcc
	s_cbranch_execz .LBB774_924
; %bb.923:                              ;   in Loop: Header=BB774_794 Depth=1
	v_and_b32_e32 v8, 7, v6
	v_ffbh_u32_e32 v20, v8
	v_min_u32_e32 v22, 32, v20
	v_subrev_u32_e32 v20, 28, v22
	v_lshlrev_b64 v[20:21], v20, v[6:7]
	v_lshrrev_b32_e32 v19, 3, v12
	v_sub_u32_e32 v6, 29, v22
	v_and_b32_e32 v20, 7, v20
	v_cmp_gt_u32_e32 vcc, 8, v12
	v_cndmask_b32_e32 v6, v19, v6, vcc
	v_cndmask_b32_e32 v8, v8, v20, vcc
	v_lshlrev_b32_e32 v12, 16, v4
	v_lshlrev_b32_e32 v8, 20, v8
	v_and_b32_e32 v12, 0x80000000, v12
	v_lshl_add_u32 v6, v6, 23, v10
	v_or3_b32 v6, v12, v6, v8
	v_lshrrev_b32_e32 v8, 16, v6
.LBB774_924:                            ;   in Loop: Header=BB774_794 Depth=1
	s_or_b64 exec, exec, s[20:21]
.LBB774_925:                            ;   in Loop: Header=BB774_794 Depth=1
	s_or_b64 exec, exec, s[18:19]
.LBB774_926:                            ;   in Loop: Header=BB774_794 Depth=1
	s_or_b64 exec, exec, s[16:17]
	v_lshrrev_b32_e32 v6, 16, v4
	v_cmp_ne_u16_sdwa s[18:19], v6, v9 src0_sel:BYTE_0 src1_sel:DWORD
	s_and_saveexec_b64 s[16:17], s[18:19]
	s_cbranch_execz .LBB774_932
; %bb.927:                              ;   in Loop: Header=BB774_794 Depth=1
	v_cmp_ne_u16_sdwa s[20:21], v6, s23 src0_sel:BYTE_0 src1_sel:DWORD
	v_mov_b32_e32 v18, 0xffff8000
	s_and_saveexec_b64 s[18:19], s[20:21]
	s_cbranch_execz .LBB774_931
; %bb.928:                              ;   in Loop: Header=BB774_794 Depth=1
	v_bfe_u32 v12, v4, 16, 7
	v_cmp_ne_u32_e32 vcc, s25, v12
	v_mov_b32_e32 v18, 0x7f80
	s_and_saveexec_b64 s[20:21], vcc
	s_cbranch_execz .LBB774_930
; %bb.929:                              ;   in Loop: Header=BB774_794 Depth=1
	v_and_b32_e32 v20, 7, v6
	v_ffbh_u32_e32 v18, v20
	v_min_u32_e32 v22, 32, v18
	v_subrev_u32_e32 v18, 28, v22
	v_lshlrev_b64 v[18:19], v18, v[6:7]
	v_lshrrev_b32_e32 v21, 3, v12
	v_sub_u32_e32 v19, 29, v22
	v_and_b32_e32 v18, 7, v18
	v_cmp_gt_u32_e32 vcc, 8, v12
	v_cndmask_b32_e32 v12, v21, v19, vcc
	v_cndmask_b32_e32 v18, v20, v18, vcc
	v_lshlrev_b32_e32 v6, 24, v6
	v_lshlrev_b32_e32 v18, 20, v18
	v_and_b32_e32 v6, 0x80000000, v6
	v_lshl_add_u32 v12, v12, 23, v10
	v_or3_b32 v6, v6, v12, v18
	v_lshrrev_b32_e32 v18, 16, v6
.LBB774_930:                            ;   in Loop: Header=BB774_794 Depth=1
	s_or_b64 exec, exec, s[20:21]
.LBB774_931:                            ;   in Loop: Header=BB774_794 Depth=1
	s_or_b64 exec, exec, s[18:19]
.LBB774_932:                            ;   in Loop: Header=BB774_794 Depth=1
	s_or_b64 exec, exec, s[16:17]
	v_cmp_lt_u32_e32 vcc, s26, v4
	v_mov_b32_e32 v12, 0
	v_mov_b32_e32 v19, 0
	s_and_saveexec_b64 s[16:17], vcc
	s_cbranch_execz .LBB774_938
; %bb.933:                              ;   in Loop: Header=BB774_794 Depth=1
	v_lshrrev_b32_e32 v6, 24, v4
	v_cmp_ne_u32_e32 vcc, s23, v6
	v_mov_b32_e32 v19, 0xffff8000
	s_and_saveexec_b64 s[18:19], vcc
	s_cbranch_execz .LBB774_937
; %bb.934:                              ;   in Loop: Header=BB774_794 Depth=1
	v_bfe_u32 v4, v4, 24, 7
	v_cmp_ne_u32_e32 vcc, s25, v4
	v_mov_b32_e32 v19, 0x7f80
	s_and_saveexec_b64 s[20:21], vcc
	s_cbranch_execz .LBB774_936
; %bb.935:                              ;   in Loop: Header=BB774_794 Depth=1
	v_and_b32_e32 v19, 7, v6
	v_ffbh_u32_e32 v20, v19
	v_min_u32_e32 v23, 32, v20
	v_subrev_u32_e32 v20, 28, v23
	v_lshlrev_b64 v[20:21], v20, v[6:7]
	v_lshrrev_b32_e32 v22, 3, v4
	v_sub_u32_e32 v21, 29, v23
	v_and_b32_e32 v20, 7, v20
	v_cmp_gt_u32_e32 vcc, 8, v4
	v_cndmask_b32_e32 v4, v22, v21, vcc
	v_cndmask_b32_e32 v19, v19, v20, vcc
	v_lshlrev_b32_e32 v6, 24, v6
	v_lshlrev_b32_e32 v19, 20, v19
	v_and_b32_e32 v6, 0x80000000, v6
	v_lshl_add_u32 v4, v4, 23, v10
	v_or3_b32 v4, v6, v4, v19
	v_lshrrev_b32_e32 v19, 16, v4
.LBB774_936:                            ;   in Loop: Header=BB774_794 Depth=1
	s_or_b64 exec, exec, s[20:21]
.LBB774_937:                            ;   in Loop: Header=BB774_794 Depth=1
	s_or_b64 exec, exec, s[18:19]
.LBB774_938:                            ;   in Loop: Header=BB774_794 Depth=1
	s_or_b64 exec, exec, s[16:17]
	buffer_load_dword v6, v11, s[0:3], 0 offen offset:24
	buffer_load_dword v4, v11, s[0:3], 0 offen offset:28
	v_perm_b32 v15, v17, v15, s27
	v_perm_b32 v14, v14, v13, s27
	;; [unrolled: 1-line block ×4, first 2 shown]
	v_mfma_f32_4x4x4bf16_1k a[0:3], v[2:3], v[14:15], a[0:3] cbsz:4 abid:4
	s_waitcnt vmcnt(1)
	v_cmp_ne_u16_sdwa s[18:19], v6, v9 src0_sel:BYTE_0 src1_sel:DWORD
	v_mfma_f32_4x4x4bf16_1k a[0:3], v[2:3], v[16:17], a[0:3] cbsz:4 abid:5
	s_and_saveexec_b64 s[16:17], s[18:19]
	s_cbranch_execz .LBB774_944
; %bb.939:                              ;   in Loop: Header=BB774_794 Depth=1
	v_cmp_ne_u16_sdwa s[20:21], v6, s23 src0_sel:BYTE_0 src1_sel:DWORD
	v_mov_b32_e32 v12, 0xffff8000
	s_and_saveexec_b64 s[18:19], s[20:21]
	s_cbranch_execz .LBB774_943
; %bb.940:                              ;   in Loop: Header=BB774_794 Depth=1
	v_and_b32_e32 v8, 0x7f, v6
	v_cmp_ne_u32_e32 vcc, s25, v8
	v_mov_b32_e32 v12, 0x7f80
	s_and_saveexec_b64 s[20:21], vcc
	s_cbranch_execz .LBB774_942
; %bb.941:                              ;   in Loop: Header=BB774_794 Depth=1
	v_and_b32_e32 v14, 7, v6
	v_ffbh_u32_e32 v12, v14
	v_min_u32_e32 v16, 32, v12
	v_subrev_u32_e32 v12, 28, v16
	v_lshlrev_b64 v[12:13], v12, v[6:7]
	v_lshrrev_b32_e32 v15, 3, v8
	v_sub_u32_e32 v13, 29, v16
	v_and_b32_e32 v12, 7, v12
	v_cmp_gt_u32_e32 vcc, 8, v8
	v_cndmask_b32_e32 v8, v15, v13, vcc
	v_cndmask_b32_e32 v12, v14, v12, vcc
	v_lshlrev_b32_e32 v13, 24, v6
	v_lshlrev_b32_e32 v12, 20, v12
	v_and_b32_e32 v13, 0x80000000, v13
	v_lshl_add_u32 v8, v8, 23, v10
	v_or3_b32 v8, v13, v8, v12
	v_lshrrev_b32_e32 v12, 16, v8
.LBB774_942:                            ;   in Loop: Header=BB774_794 Depth=1
	s_or_b64 exec, exec, s[20:21]
.LBB774_943:                            ;   in Loop: Header=BB774_794 Depth=1
	s_or_b64 exec, exec, s[18:19]
.LBB774_944:                            ;   in Loop: Header=BB774_794 Depth=1
	s_or_b64 exec, exec, s[16:17]
	v_lshrrev_b16_e32 v8, 8, v6
	v_cmp_ne_u16_e32 vcc, 0, v8
	v_mov_b32_e32 v15, 0
	v_mov_b32_e32 v14, 0
	s_and_saveexec_b64 s[16:17], vcc
	s_cbranch_execz .LBB774_950
; %bb.945:                              ;   in Loop: Header=BB774_794 Depth=1
	v_cmp_ne_u16_e32 vcc, s23, v8
	v_mov_b32_e32 v14, 0xffff8000
	s_and_saveexec_b64 s[18:19], vcc
	s_cbranch_execz .LBB774_949
; %bb.946:                              ;   in Loop: Header=BB774_794 Depth=1
	v_and_b32_e32 v13, 0x7f, v8
	v_cmp_ne_u32_e32 vcc, s25, v13
	v_mov_b32_e32 v14, 0x7f80
	s_and_saveexec_b64 s[20:21], vcc
	s_cbranch_execz .LBB774_948
; %bb.947:                              ;   in Loop: Header=BB774_794 Depth=1
	v_and_b32_e32 v14, 7, v8
	v_ffbh_u32_e32 v16, v14
	v_min_u32_e32 v19, 32, v16
	v_subrev_u32_e32 v16, 28, v19
	v_lshlrev_b64 v[16:17], v16, v[8:9]
	v_lshrrev_b32_e32 v18, 3, v13
	v_sub_u32_e32 v8, 29, v19
	v_and_b32_e32 v16, 7, v16
	v_cmp_gt_u32_e32 vcc, 8, v13
	v_cndmask_b32_e32 v8, v18, v8, vcc
	v_cndmask_b32_e32 v13, v14, v16, vcc
	v_lshlrev_b32_e32 v14, 16, v6
	v_lshlrev_b32_e32 v13, 20, v13
	v_and_b32_e32 v14, 0x80000000, v14
	v_lshl_add_u32 v8, v8, 23, v10
	v_or3_b32 v8, v14, v8, v13
	v_lshrrev_b32_e32 v14, 16, v8
.LBB774_948:                            ;   in Loop: Header=BB774_794 Depth=1
	s_or_b64 exec, exec, s[20:21]
.LBB774_949:                            ;   in Loop: Header=BB774_794 Depth=1
	s_or_b64 exec, exec, s[18:19]
.LBB774_950:                            ;   in Loop: Header=BB774_794 Depth=1
	s_or_b64 exec, exec, s[16:17]
	v_lshrrev_b32_e32 v8, 16, v6
	v_cmp_ne_u16_sdwa s[18:19], v8, v9 src0_sel:BYTE_0 src1_sel:DWORD
	s_and_saveexec_b64 s[16:17], s[18:19]
	s_cbranch_execz .LBB774_956
; %bb.951:                              ;   in Loop: Header=BB774_794 Depth=1
	v_cmp_ne_u16_sdwa s[20:21], v8, s23 src0_sel:BYTE_0 src1_sel:DWORD
	v_mov_b32_e32 v15, 0xffff8000
	s_and_saveexec_b64 s[18:19], s[20:21]
	s_cbranch_execz .LBB774_955
; %bb.952:                              ;   in Loop: Header=BB774_794 Depth=1
	v_bfe_u32 v13, v6, 16, 7
	v_cmp_ne_u32_e32 vcc, s25, v13
	v_mov_b32_e32 v15, 0x7f80
	s_and_saveexec_b64 s[20:21], vcc
	s_cbranch_execz .LBB774_954
; %bb.953:                              ;   in Loop: Header=BB774_794 Depth=1
	v_and_b32_e32 v15, 7, v8
	v_ffbh_u32_e32 v16, v15
	v_min_u32_e32 v19, 32, v16
	v_subrev_u32_e32 v16, 28, v19
	v_lshlrev_b64 v[16:17], v16, v[8:9]
	v_lshrrev_b32_e32 v18, 3, v13
	v_sub_u32_e32 v17, 29, v19
	v_and_b32_e32 v16, 7, v16
	v_cmp_gt_u32_e32 vcc, 8, v13
	v_cndmask_b32_e32 v13, v18, v17, vcc
	v_cndmask_b32_e32 v15, v15, v16, vcc
	v_lshlrev_b32_e32 v8, 24, v8
	v_lshlrev_b32_e32 v15, 20, v15
	v_and_b32_e32 v8, 0x80000000, v8
	v_lshl_add_u32 v13, v13, 23, v10
	v_or3_b32 v8, v8, v13, v15
	v_lshrrev_b32_e32 v15, 16, v8
.LBB774_954:                            ;   in Loop: Header=BB774_794 Depth=1
	s_or_b64 exec, exec, s[20:21]
.LBB774_955:                            ;   in Loop: Header=BB774_794 Depth=1
	s_or_b64 exec, exec, s[18:19]
.LBB774_956:                            ;   in Loop: Header=BB774_794 Depth=1
	s_or_b64 exec, exec, s[16:17]
	v_cmp_lt_u32_e32 vcc, s26, v6
	v_mov_b32_e32 v16, 0
	v_mov_b32_e32 v17, 0
	s_and_saveexec_b64 s[16:17], vcc
	s_cbranch_execz .LBB774_962
; %bb.957:                              ;   in Loop: Header=BB774_794 Depth=1
	v_lshrrev_b32_e32 v8, 24, v6
	v_cmp_ne_u32_e32 vcc, s23, v8
	v_mov_b32_e32 v17, 0xffff8000
	s_and_saveexec_b64 s[18:19], vcc
	s_cbranch_execz .LBB774_961
; %bb.958:                              ;   in Loop: Header=BB774_794 Depth=1
	v_bfe_u32 v6, v6, 24, 7
	v_cmp_ne_u32_e32 vcc, s25, v6
	v_mov_b32_e32 v17, 0x7f80
	s_and_saveexec_b64 s[20:21], vcc
	s_cbranch_execz .LBB774_960
; %bb.959:                              ;   in Loop: Header=BB774_794 Depth=1
	v_and_b32_e32 v13, 7, v8
	v_ffbh_u32_e32 v18, v13
	v_min_u32_e32 v20, 32, v18
	v_subrev_u32_e32 v18, 28, v20
	v_lshlrev_b64 v[18:19], v18, v[8:9]
	v_lshrrev_b32_e32 v17, 3, v6
	v_sub_u32_e32 v19, 29, v20
	v_and_b32_e32 v18, 7, v18
	v_cmp_gt_u32_e32 vcc, 8, v6
	v_cndmask_b32_e32 v6, v17, v19, vcc
	v_cndmask_b32_e32 v13, v13, v18, vcc
	v_lshlrev_b32_e32 v8, 24, v8
	v_lshlrev_b32_e32 v13, 20, v13
	v_and_b32_e32 v8, 0x80000000, v8
	v_lshl_add_u32 v6, v6, 23, v10
	v_or3_b32 v6, v8, v6, v13
	v_lshrrev_b32_e32 v17, 16, v6
.LBB774_960:                            ;   in Loop: Header=BB774_794 Depth=1
	s_or_b64 exec, exec, s[20:21]
.LBB774_961:                            ;   in Loop: Header=BB774_794 Depth=1
	s_or_b64 exec, exec, s[18:19]
.LBB774_962:                            ;   in Loop: Header=BB774_794 Depth=1
	s_or_b64 exec, exec, s[16:17]
	s_waitcnt vmcnt(0)
	v_cmp_ne_u16_sdwa s[18:19], v4, v9 src0_sel:BYTE_0 src1_sel:DWORD
	s_and_saveexec_b64 s[16:17], s[18:19]
	s_cbranch_execz .LBB774_968
; %bb.963:                              ;   in Loop: Header=BB774_794 Depth=1
	v_cmp_ne_u16_sdwa s[20:21], v4, s23 src0_sel:BYTE_0 src1_sel:DWORD
	v_mov_b32_e32 v16, 0xffff8000
	s_and_saveexec_b64 s[18:19], s[20:21]
	s_cbranch_execz .LBB774_967
; %bb.964:                              ;   in Loop: Header=BB774_794 Depth=1
	v_and_b32_e32 v6, 0x7f, v4
	v_cmp_ne_u32_e32 vcc, s25, v6
	v_mov_b32_e32 v16, 0x7f80
	s_and_saveexec_b64 s[20:21], vcc
	s_cbranch_execz .LBB774_966
; %bb.965:                              ;   in Loop: Header=BB774_794 Depth=1
	v_and_b32_e32 v8, 7, v4
	v_ffbh_u32_e32 v16, v8
	v_min_u32_e32 v16, 32, v16
	v_subrev_u32_e32 v18, 28, v16
	v_lshlrev_b64 v[18:19], v18, v[4:5]
	v_lshrrev_b32_e32 v13, 3, v6
	v_sub_u32_e32 v16, 29, v16
	v_and_b32_e32 v18, 7, v18
	v_cmp_gt_u32_e32 vcc, 8, v6
	v_cndmask_b32_e32 v6, v13, v16, vcc
	v_cndmask_b32_e32 v8, v8, v18, vcc
	v_lshlrev_b32_e32 v13, 24, v4
	v_lshlrev_b32_e32 v8, 20, v8
	v_and_b32_e32 v13, 0x80000000, v13
	v_lshl_add_u32 v6, v6, 23, v10
	v_or3_b32 v6, v13, v6, v8
	v_lshrrev_b32_e32 v16, 16, v6
.LBB774_966:                            ;   in Loop: Header=BB774_794 Depth=1
	s_or_b64 exec, exec, s[20:21]
.LBB774_967:                            ;   in Loop: Header=BB774_794 Depth=1
	s_or_b64 exec, exec, s[18:19]
.LBB774_968:                            ;   in Loop: Header=BB774_794 Depth=1
	s_or_b64 exec, exec, s[16:17]
	v_lshrrev_b16_e32 v6, 8, v4
	v_cmp_ne_u16_e32 vcc, 0, v6
	v_mov_b32_e32 v18, 0
	v_mov_b32_e32 v8, 0
	s_and_saveexec_b64 s[16:17], vcc
	s_cbranch_execz .LBB774_974
; %bb.969:                              ;   in Loop: Header=BB774_794 Depth=1
	v_cmp_ne_u16_e32 vcc, s23, v6
	v_mov_b32_e32 v8, 0xffff8000
	s_and_saveexec_b64 s[18:19], vcc
	s_cbranch_execz .LBB774_973
; %bb.970:                              ;   in Loop: Header=BB774_794 Depth=1
	v_and_b32_e32 v13, 0x7f, v6
	v_cmp_ne_u32_e32 vcc, s25, v13
	v_mov_b32_e32 v8, 0x7f80
	s_and_saveexec_b64 s[20:21], vcc
	s_cbranch_execz .LBB774_972
; %bb.971:                              ;   in Loop: Header=BB774_794 Depth=1
	v_and_b32_e32 v8, 7, v6
	v_ffbh_u32_e32 v20, v8
	v_min_u32_e32 v22, 32, v20
	v_subrev_u32_e32 v20, 28, v22
	v_lshlrev_b64 v[20:21], v20, v[6:7]
	v_lshrrev_b32_e32 v19, 3, v13
	v_sub_u32_e32 v6, 29, v22
	v_and_b32_e32 v20, 7, v20
	v_cmp_gt_u32_e32 vcc, 8, v13
	v_cndmask_b32_e32 v6, v19, v6, vcc
	v_cndmask_b32_e32 v8, v8, v20, vcc
	v_lshlrev_b32_e32 v13, 16, v4
	v_lshlrev_b32_e32 v8, 20, v8
	v_and_b32_e32 v13, 0x80000000, v13
	v_lshl_add_u32 v6, v6, 23, v10
	v_or3_b32 v6, v13, v6, v8
	v_lshrrev_b32_e32 v8, 16, v6
.LBB774_972:                            ;   in Loop: Header=BB774_794 Depth=1
	s_or_b64 exec, exec, s[20:21]
.LBB774_973:                            ;   in Loop: Header=BB774_794 Depth=1
	s_or_b64 exec, exec, s[18:19]
.LBB774_974:                            ;   in Loop: Header=BB774_794 Depth=1
	s_or_b64 exec, exec, s[16:17]
	v_lshrrev_b32_e32 v6, 16, v4
	v_cmp_ne_u16_sdwa s[18:19], v6, v9 src0_sel:BYTE_0 src1_sel:DWORD
	s_and_saveexec_b64 s[16:17], s[18:19]
	s_cbranch_execz .LBB774_980
; %bb.975:                              ;   in Loop: Header=BB774_794 Depth=1
	v_cmp_ne_u16_sdwa s[20:21], v6, s23 src0_sel:BYTE_0 src1_sel:DWORD
	v_mov_b32_e32 v18, 0xffff8000
	s_and_saveexec_b64 s[18:19], s[20:21]
	s_cbranch_execz .LBB774_979
; %bb.976:                              ;   in Loop: Header=BB774_794 Depth=1
	v_bfe_u32 v13, v4, 16, 7
	v_cmp_ne_u32_e32 vcc, s25, v13
	v_mov_b32_e32 v18, 0x7f80
	s_and_saveexec_b64 s[20:21], vcc
	s_cbranch_execz .LBB774_978
; %bb.977:                              ;   in Loop: Header=BB774_794 Depth=1
	v_and_b32_e32 v20, 7, v6
	v_ffbh_u32_e32 v18, v20
	v_min_u32_e32 v22, 32, v18
	v_subrev_u32_e32 v18, 28, v22
	v_lshlrev_b64 v[18:19], v18, v[6:7]
	v_lshrrev_b32_e32 v21, 3, v13
	v_sub_u32_e32 v19, 29, v22
	v_and_b32_e32 v18, 7, v18
	v_cmp_gt_u32_e32 vcc, 8, v13
	v_cndmask_b32_e32 v13, v21, v19, vcc
	v_cndmask_b32_e32 v18, v20, v18, vcc
	v_lshlrev_b32_e32 v6, 24, v6
	v_lshlrev_b32_e32 v18, 20, v18
	v_and_b32_e32 v6, 0x80000000, v6
	v_lshl_add_u32 v13, v13, 23, v10
	v_or3_b32 v6, v6, v13, v18
	v_lshrrev_b32_e32 v18, 16, v6
.LBB774_978:                            ;   in Loop: Header=BB774_794 Depth=1
	s_or_b64 exec, exec, s[20:21]
.LBB774_979:                            ;   in Loop: Header=BB774_794 Depth=1
	s_or_b64 exec, exec, s[18:19]
.LBB774_980:                            ;   in Loop: Header=BB774_794 Depth=1
	s_or_b64 exec, exec, s[16:17]
	v_cmp_lt_u32_e32 vcc, s26, v4
	v_mov_b32_e32 v13, 0
	v_mov_b32_e32 v19, 0
	s_and_saveexec_b64 s[16:17], vcc
	s_cbranch_execz .LBB774_986
; %bb.981:                              ;   in Loop: Header=BB774_794 Depth=1
	v_lshrrev_b32_e32 v6, 24, v4
	v_cmp_ne_u32_e32 vcc, s23, v6
	v_mov_b32_e32 v19, 0xffff8000
	s_and_saveexec_b64 s[18:19], vcc
	s_cbranch_execz .LBB774_985
; %bb.982:                              ;   in Loop: Header=BB774_794 Depth=1
	v_bfe_u32 v4, v4, 24, 7
	v_cmp_ne_u32_e32 vcc, s25, v4
	v_mov_b32_e32 v19, 0x7f80
	s_and_saveexec_b64 s[20:21], vcc
	s_cbranch_execz .LBB774_984
; %bb.983:                              ;   in Loop: Header=BB774_794 Depth=1
	v_and_b32_e32 v19, 7, v6
	v_ffbh_u32_e32 v20, v19
	v_min_u32_e32 v23, 32, v20
	v_subrev_u32_e32 v20, 28, v23
	v_lshlrev_b64 v[20:21], v20, v[6:7]
	v_lshrrev_b32_e32 v22, 3, v4
	v_sub_u32_e32 v21, 29, v23
	v_and_b32_e32 v20, 7, v20
	v_cmp_gt_u32_e32 vcc, 8, v4
	v_cndmask_b32_e32 v4, v22, v21, vcc
	v_cndmask_b32_e32 v19, v19, v20, vcc
	v_lshlrev_b32_e32 v6, 24, v6
	v_lshlrev_b32_e32 v19, 20, v19
	v_and_b32_e32 v6, 0x80000000, v6
	v_lshl_add_u32 v4, v4, 23, v10
	v_or3_b32 v4, v6, v4, v19
	v_lshrrev_b32_e32 v19, 16, v4
.LBB774_984:                            ;   in Loop: Header=BB774_794 Depth=1
	s_or_b64 exec, exec, s[20:21]
.LBB774_985:                            ;   in Loop: Header=BB774_794 Depth=1
	s_or_b64 exec, exec, s[18:19]
.LBB774_986:                            ;   in Loop: Header=BB774_794 Depth=1
	s_or_b64 exec, exec, s[16:17]
	buffer_load_dword v6, v11, s[0:3], 0 offen offset:32
	buffer_load_dword v4, v11, s[0:3], 0 offen offset:36
	v_perm_b32 v15, v17, v15, s27
	v_perm_b32 v14, v14, v12, s27
	v_perm_b32 v17, v19, v18, s27
	v_perm_b32 v16, v8, v16, s27
	v_mfma_f32_4x4x4bf16_1k a[0:3], v[2:3], v[14:15], a[0:3] cbsz:4 abid:6
	s_waitcnt vmcnt(1)
	v_cmp_ne_u16_sdwa s[18:19], v6, v9 src0_sel:BYTE_0 src1_sel:DWORD
	v_mfma_f32_4x4x4bf16_1k a[0:3], v[2:3], v[16:17], a[0:3] cbsz:4 abid:7
	s_and_saveexec_b64 s[16:17], s[18:19]
	s_cbranch_execz .LBB774_992
; %bb.987:                              ;   in Loop: Header=BB774_794 Depth=1
	v_cmp_ne_u16_sdwa s[20:21], v6, s23 src0_sel:BYTE_0 src1_sel:DWORD
	v_mov_b32_e32 v13, 0xffff8000
	s_and_saveexec_b64 s[18:19], s[20:21]
	s_cbranch_execz .LBB774_991
; %bb.988:                              ;   in Loop: Header=BB774_794 Depth=1
	v_and_b32_e32 v8, 0x7f, v6
	v_cmp_ne_u32_e32 vcc, s25, v8
	v_mov_b32_e32 v13, 0x7f80
	s_and_saveexec_b64 s[20:21], vcc
	s_cbranch_execz .LBB774_990
; %bb.989:                              ;   in Loop: Header=BB774_794 Depth=1
	v_and_b32_e32 v14, 7, v6
	v_ffbh_u32_e32 v12, v14
	v_min_u32_e32 v16, 32, v12
	v_subrev_u32_e32 v12, 28, v16
	v_lshlrev_b64 v[12:13], v12, v[6:7]
	v_lshrrev_b32_e32 v15, 3, v8
	v_sub_u32_e32 v13, 29, v16
	v_and_b32_e32 v12, 7, v12
	v_cmp_gt_u32_e32 vcc, 8, v8
	v_cndmask_b32_e32 v8, v15, v13, vcc
	v_cndmask_b32_e32 v12, v14, v12, vcc
	v_lshlrev_b32_e32 v13, 24, v6
	v_lshlrev_b32_e32 v12, 20, v12
	v_and_b32_e32 v13, 0x80000000, v13
	v_lshl_add_u32 v8, v8, 23, v10
	v_or3_b32 v8, v13, v8, v12
	v_lshrrev_b32_e32 v13, 16, v8
.LBB774_990:                            ;   in Loop: Header=BB774_794 Depth=1
	s_or_b64 exec, exec, s[20:21]
.LBB774_991:                            ;   in Loop: Header=BB774_794 Depth=1
	s_or_b64 exec, exec, s[18:19]
.LBB774_992:                            ;   in Loop: Header=BB774_794 Depth=1
	s_or_b64 exec, exec, s[16:17]
	v_lshrrev_b16_e32 v8, 8, v6
	v_cmp_ne_u16_e32 vcc, 0, v8
	v_mov_b32_e32 v15, 0
	v_mov_b32_e32 v12, 0
	s_and_saveexec_b64 s[16:17], vcc
	s_cbranch_execz .LBB774_998
; %bb.993:                              ;   in Loop: Header=BB774_794 Depth=1
	v_cmp_ne_u16_e32 vcc, s23, v8
	v_mov_b32_e32 v12, 0xffff8000
	s_and_saveexec_b64 s[18:19], vcc
	s_cbranch_execz .LBB774_997
; %bb.994:                              ;   in Loop: Header=BB774_794 Depth=1
	v_and_b32_e32 v14, 0x7f, v8
	v_cmp_ne_u32_e32 vcc, s25, v14
	v_mov_b32_e32 v12, 0x7f80
	s_and_saveexec_b64 s[20:21], vcc
	s_cbranch_execz .LBB774_996
; %bb.995:                              ;   in Loop: Header=BB774_794 Depth=1
	v_and_b32_e32 v12, 7, v8
	v_ffbh_u32_e32 v16, v12
	v_min_u32_e32 v19, 32, v16
	v_subrev_u32_e32 v16, 28, v19
	v_lshlrev_b64 v[16:17], v16, v[8:9]
	v_lshrrev_b32_e32 v18, 3, v14
	v_sub_u32_e32 v8, 29, v19
	v_and_b32_e32 v16, 7, v16
	v_cmp_gt_u32_e32 vcc, 8, v14
	v_cndmask_b32_e32 v8, v18, v8, vcc
	v_cndmask_b32_e32 v12, v12, v16, vcc
	v_lshlrev_b32_e32 v14, 16, v6
	v_lshlrev_b32_e32 v12, 20, v12
	v_and_b32_e32 v14, 0x80000000, v14
	v_lshl_add_u32 v8, v8, 23, v10
	v_or3_b32 v8, v14, v8, v12
	v_lshrrev_b32_e32 v12, 16, v8
.LBB774_996:                            ;   in Loop: Header=BB774_794 Depth=1
	s_or_b64 exec, exec, s[20:21]
.LBB774_997:                            ;   in Loop: Header=BB774_794 Depth=1
	s_or_b64 exec, exec, s[18:19]
.LBB774_998:                            ;   in Loop: Header=BB774_794 Depth=1
	s_or_b64 exec, exec, s[16:17]
	v_lshrrev_b32_e32 v8, 16, v6
	v_cmp_ne_u16_sdwa s[18:19], v8, v9 src0_sel:BYTE_0 src1_sel:DWORD
	s_and_saveexec_b64 s[16:17], s[18:19]
	s_cbranch_execz .LBB774_1004
; %bb.999:                              ;   in Loop: Header=BB774_794 Depth=1
	v_cmp_ne_u16_sdwa s[20:21], v8, s23 src0_sel:BYTE_0 src1_sel:DWORD
	v_mov_b32_e32 v15, 0xffff8000
	s_and_saveexec_b64 s[18:19], s[20:21]
	s_cbranch_execz .LBB774_1003
; %bb.1000:                             ;   in Loop: Header=BB774_794 Depth=1
	v_bfe_u32 v14, v6, 16, 7
	v_cmp_ne_u32_e32 vcc, s25, v14
	v_mov_b32_e32 v15, 0x7f80
	s_and_saveexec_b64 s[20:21], vcc
	s_cbranch_execz .LBB774_1002
; %bb.1001:                             ;   in Loop: Header=BB774_794 Depth=1
	v_and_b32_e32 v15, 7, v8
	v_ffbh_u32_e32 v16, v15
	v_min_u32_e32 v19, 32, v16
	v_subrev_u32_e32 v16, 28, v19
	v_lshlrev_b64 v[16:17], v16, v[8:9]
	v_lshrrev_b32_e32 v18, 3, v14
	v_sub_u32_e32 v17, 29, v19
	v_and_b32_e32 v16, 7, v16
	v_cmp_gt_u32_e32 vcc, 8, v14
	v_cndmask_b32_e32 v14, v18, v17, vcc
	v_cndmask_b32_e32 v15, v15, v16, vcc
	v_lshlrev_b32_e32 v8, 24, v8
	v_lshlrev_b32_e32 v15, 20, v15
	v_and_b32_e32 v8, 0x80000000, v8
	v_lshl_add_u32 v14, v14, 23, v10
	v_or3_b32 v8, v8, v14, v15
	v_lshrrev_b32_e32 v15, 16, v8
.LBB774_1002:                           ;   in Loop: Header=BB774_794 Depth=1
	s_or_b64 exec, exec, s[20:21]
.LBB774_1003:                           ;   in Loop: Header=BB774_794 Depth=1
	s_or_b64 exec, exec, s[18:19]
.LBB774_1004:                           ;   in Loop: Header=BB774_794 Depth=1
	s_or_b64 exec, exec, s[16:17]
	v_cmp_lt_u32_e32 vcc, s26, v6
	v_mov_b32_e32 v16, 0
	v_mov_b32_e32 v17, 0
	s_and_saveexec_b64 s[16:17], vcc
	s_cbranch_execz .LBB774_1010
; %bb.1005:                             ;   in Loop: Header=BB774_794 Depth=1
	v_lshrrev_b32_e32 v8, 24, v6
	v_cmp_ne_u32_e32 vcc, s23, v8
	v_mov_b32_e32 v17, 0xffff8000
	s_and_saveexec_b64 s[18:19], vcc
	s_cbranch_execz .LBB774_1009
; %bb.1006:                             ;   in Loop: Header=BB774_794 Depth=1
	v_bfe_u32 v6, v6, 24, 7
	v_cmp_ne_u32_e32 vcc, s25, v6
	v_mov_b32_e32 v17, 0x7f80
	s_and_saveexec_b64 s[20:21], vcc
	s_cbranch_execz .LBB774_1008
; %bb.1007:                             ;   in Loop: Header=BB774_794 Depth=1
	v_and_b32_e32 v14, 7, v8
	v_ffbh_u32_e32 v18, v14
	v_min_u32_e32 v20, 32, v18
	v_subrev_u32_e32 v18, 28, v20
	v_lshlrev_b64 v[18:19], v18, v[8:9]
	v_lshrrev_b32_e32 v17, 3, v6
	v_sub_u32_e32 v19, 29, v20
	v_and_b32_e32 v18, 7, v18
	v_cmp_gt_u32_e32 vcc, 8, v6
	v_cndmask_b32_e32 v6, v17, v19, vcc
	v_cndmask_b32_e32 v14, v14, v18, vcc
	v_lshlrev_b32_e32 v8, 24, v8
	v_lshlrev_b32_e32 v14, 20, v14
	v_and_b32_e32 v8, 0x80000000, v8
	v_lshl_add_u32 v6, v6, 23, v10
	v_or3_b32 v6, v8, v6, v14
	v_lshrrev_b32_e32 v17, 16, v6
.LBB774_1008:                           ;   in Loop: Header=BB774_794 Depth=1
	s_or_b64 exec, exec, s[20:21]
.LBB774_1009:                           ;   in Loop: Header=BB774_794 Depth=1
	s_or_b64 exec, exec, s[18:19]
.LBB774_1010:                           ;   in Loop: Header=BB774_794 Depth=1
	s_or_b64 exec, exec, s[16:17]
	s_waitcnt vmcnt(0)
	v_cmp_ne_u16_sdwa s[18:19], v4, v9 src0_sel:BYTE_0 src1_sel:DWORD
	s_and_saveexec_b64 s[16:17], s[18:19]
	s_cbranch_execz .LBB774_1016
; %bb.1011:                             ;   in Loop: Header=BB774_794 Depth=1
	v_cmp_ne_u16_sdwa s[20:21], v4, s23 src0_sel:BYTE_0 src1_sel:DWORD
	v_mov_b32_e32 v16, 0xffff8000
	s_and_saveexec_b64 s[18:19], s[20:21]
	s_cbranch_execz .LBB774_1015
; %bb.1012:                             ;   in Loop: Header=BB774_794 Depth=1
	v_and_b32_e32 v6, 0x7f, v4
	v_cmp_ne_u32_e32 vcc, s25, v6
	v_mov_b32_e32 v16, 0x7f80
	s_and_saveexec_b64 s[20:21], vcc
	s_cbranch_execz .LBB774_1014
; %bb.1013:                             ;   in Loop: Header=BB774_794 Depth=1
	v_and_b32_e32 v8, 7, v4
	v_ffbh_u32_e32 v16, v8
	v_min_u32_e32 v16, 32, v16
	v_subrev_u32_e32 v18, 28, v16
	v_lshlrev_b64 v[18:19], v18, v[4:5]
	v_lshrrev_b32_e32 v14, 3, v6
	v_sub_u32_e32 v16, 29, v16
	v_and_b32_e32 v18, 7, v18
	v_cmp_gt_u32_e32 vcc, 8, v6
	v_cndmask_b32_e32 v6, v14, v16, vcc
	v_cndmask_b32_e32 v8, v8, v18, vcc
	v_lshlrev_b32_e32 v14, 24, v4
	v_lshlrev_b32_e32 v8, 20, v8
	v_and_b32_e32 v14, 0x80000000, v14
	v_lshl_add_u32 v6, v6, 23, v10
	v_or3_b32 v6, v14, v6, v8
	v_lshrrev_b32_e32 v16, 16, v6
.LBB774_1014:                           ;   in Loop: Header=BB774_794 Depth=1
	s_or_b64 exec, exec, s[20:21]
.LBB774_1015:                           ;   in Loop: Header=BB774_794 Depth=1
	s_or_b64 exec, exec, s[18:19]
.LBB774_1016:                           ;   in Loop: Header=BB774_794 Depth=1
	s_or_b64 exec, exec, s[16:17]
	v_lshrrev_b16_e32 v6, 8, v4
	v_cmp_ne_u16_e32 vcc, 0, v6
	v_mov_b32_e32 v18, 0
	v_mov_b32_e32 v8, 0
	s_and_saveexec_b64 s[16:17], vcc
	s_cbranch_execz .LBB774_1022
; %bb.1017:                             ;   in Loop: Header=BB774_794 Depth=1
	v_cmp_ne_u16_e32 vcc, s23, v6
	v_mov_b32_e32 v8, 0xffff8000
	s_and_saveexec_b64 s[18:19], vcc
	s_cbranch_execz .LBB774_1021
; %bb.1018:                             ;   in Loop: Header=BB774_794 Depth=1
	v_and_b32_e32 v14, 0x7f, v6
	v_cmp_ne_u32_e32 vcc, s25, v14
	v_mov_b32_e32 v8, 0x7f80
	s_and_saveexec_b64 s[20:21], vcc
	s_cbranch_execz .LBB774_1020
; %bb.1019:                             ;   in Loop: Header=BB774_794 Depth=1
	v_and_b32_e32 v8, 7, v6
	v_ffbh_u32_e32 v20, v8
	v_min_u32_e32 v22, 32, v20
	v_subrev_u32_e32 v20, 28, v22
	v_lshlrev_b64 v[20:21], v20, v[6:7]
	v_lshrrev_b32_e32 v19, 3, v14
	v_sub_u32_e32 v6, 29, v22
	v_and_b32_e32 v20, 7, v20
	v_cmp_gt_u32_e32 vcc, 8, v14
	v_cndmask_b32_e32 v6, v19, v6, vcc
	v_cndmask_b32_e32 v8, v8, v20, vcc
	v_lshlrev_b32_e32 v14, 16, v4
	v_lshlrev_b32_e32 v8, 20, v8
	v_and_b32_e32 v14, 0x80000000, v14
	v_lshl_add_u32 v6, v6, 23, v10
	v_or3_b32 v6, v14, v6, v8
	v_lshrrev_b32_e32 v8, 16, v6
.LBB774_1020:                           ;   in Loop: Header=BB774_794 Depth=1
	s_or_b64 exec, exec, s[20:21]
.LBB774_1021:                           ;   in Loop: Header=BB774_794 Depth=1
	s_or_b64 exec, exec, s[18:19]
.LBB774_1022:                           ;   in Loop: Header=BB774_794 Depth=1
	s_or_b64 exec, exec, s[16:17]
	v_lshrrev_b32_e32 v6, 16, v4
	v_cmp_ne_u16_sdwa s[18:19], v6, v9 src0_sel:BYTE_0 src1_sel:DWORD
	s_and_saveexec_b64 s[16:17], s[18:19]
	s_cbranch_execz .LBB774_1028
; %bb.1023:                             ;   in Loop: Header=BB774_794 Depth=1
	v_cmp_ne_u16_sdwa s[20:21], v6, s23 src0_sel:BYTE_0 src1_sel:DWORD
	v_mov_b32_e32 v18, 0xffff8000
	s_and_saveexec_b64 s[18:19], s[20:21]
	s_cbranch_execz .LBB774_1027
; %bb.1024:                             ;   in Loop: Header=BB774_794 Depth=1
	v_bfe_u32 v14, v4, 16, 7
	v_cmp_ne_u32_e32 vcc, s25, v14
	v_mov_b32_e32 v18, 0x7f80
	s_and_saveexec_b64 s[20:21], vcc
	s_cbranch_execz .LBB774_1026
; %bb.1025:                             ;   in Loop: Header=BB774_794 Depth=1
	v_and_b32_e32 v20, 7, v6
	v_ffbh_u32_e32 v18, v20
	v_min_u32_e32 v22, 32, v18
	v_subrev_u32_e32 v18, 28, v22
	v_lshlrev_b64 v[18:19], v18, v[6:7]
	v_lshrrev_b32_e32 v21, 3, v14
	v_sub_u32_e32 v19, 29, v22
	v_and_b32_e32 v18, 7, v18
	v_cmp_gt_u32_e32 vcc, 8, v14
	v_cndmask_b32_e32 v14, v21, v19, vcc
	v_cndmask_b32_e32 v18, v20, v18, vcc
	v_lshlrev_b32_e32 v6, 24, v6
	v_lshlrev_b32_e32 v18, 20, v18
	v_and_b32_e32 v6, 0x80000000, v6
	v_lshl_add_u32 v14, v14, 23, v10
	v_or3_b32 v6, v6, v14, v18
	v_lshrrev_b32_e32 v18, 16, v6
.LBB774_1026:                           ;   in Loop: Header=BB774_794 Depth=1
	s_or_b64 exec, exec, s[20:21]
.LBB774_1027:                           ;   in Loop: Header=BB774_794 Depth=1
	s_or_b64 exec, exec, s[18:19]
.LBB774_1028:                           ;   in Loop: Header=BB774_794 Depth=1
	s_or_b64 exec, exec, s[16:17]
	v_cmp_lt_u32_e32 vcc, s26, v4
	v_mov_b32_e32 v14, 0
	v_mov_b32_e32 v19, 0
	s_and_saveexec_b64 s[16:17], vcc
	s_cbranch_execz .LBB774_1034
; %bb.1029:                             ;   in Loop: Header=BB774_794 Depth=1
	v_lshrrev_b32_e32 v6, 24, v4
	v_cmp_ne_u32_e32 vcc, s23, v6
	v_mov_b32_e32 v19, 0xffff8000
	s_and_saveexec_b64 s[18:19], vcc
	s_cbranch_execz .LBB774_1033
; %bb.1030:                             ;   in Loop: Header=BB774_794 Depth=1
	v_bfe_u32 v4, v4, 24, 7
	v_cmp_ne_u32_e32 vcc, s25, v4
	v_mov_b32_e32 v19, 0x7f80
	s_and_saveexec_b64 s[20:21], vcc
	s_cbranch_execz .LBB774_1032
; %bb.1031:                             ;   in Loop: Header=BB774_794 Depth=1
	v_and_b32_e32 v19, 7, v6
	v_ffbh_u32_e32 v20, v19
	v_min_u32_e32 v23, 32, v20
	v_subrev_u32_e32 v20, 28, v23
	v_lshlrev_b64 v[20:21], v20, v[6:7]
	v_lshrrev_b32_e32 v22, 3, v4
	v_sub_u32_e32 v21, 29, v23
	v_and_b32_e32 v20, 7, v20
	v_cmp_gt_u32_e32 vcc, 8, v4
	v_cndmask_b32_e32 v4, v22, v21, vcc
	v_cndmask_b32_e32 v19, v19, v20, vcc
	v_lshlrev_b32_e32 v6, 24, v6
	v_lshlrev_b32_e32 v19, 20, v19
	v_and_b32_e32 v6, 0x80000000, v6
	v_lshl_add_u32 v4, v4, 23, v10
	v_or3_b32 v4, v6, v4, v19
	v_lshrrev_b32_e32 v19, 16, v4
.LBB774_1032:                           ;   in Loop: Header=BB774_794 Depth=1
	s_or_b64 exec, exec, s[20:21]
.LBB774_1033:                           ;   in Loop: Header=BB774_794 Depth=1
	s_or_b64 exec, exec, s[18:19]
.LBB774_1034:                           ;   in Loop: Header=BB774_794 Depth=1
	s_or_b64 exec, exec, s[16:17]
	buffer_load_dword v6, v11, s[0:3], 0 offen offset:40
	buffer_load_dword v4, v11, s[0:3], 0 offen offset:44
	v_perm_b32 v21, v17, v15, s27
	v_perm_b32 v20, v12, v13, s27
	;; [unrolled: 1-line block ×4, first 2 shown]
	v_mfma_f32_4x4x4bf16_1k a[0:3], v[2:3], v[20:21], a[0:3] cbsz:4 abid:8
	s_waitcnt vmcnt(1)
	v_cmp_ne_u16_sdwa s[18:19], v6, v9 src0_sel:BYTE_0 src1_sel:DWORD
	v_mfma_f32_4x4x4bf16_1k a[0:3], v[2:3], v[12:13], a[0:3] cbsz:4 abid:9
	s_and_saveexec_b64 s[16:17], s[18:19]
	s_cbranch_execz .LBB774_1040
; %bb.1035:                             ;   in Loop: Header=BB774_794 Depth=1
	v_cmp_ne_u16_sdwa s[20:21], v6, s23 src0_sel:BYTE_0 src1_sel:DWORD
	v_mov_b32_e32 v14, 0xffff8000
	s_and_saveexec_b64 s[18:19], s[20:21]
	s_cbranch_execz .LBB774_1039
; %bb.1036:                             ;   in Loop: Header=BB774_794 Depth=1
	v_and_b32_e32 v8, 0x7f, v6
	v_cmp_ne_u32_e32 vcc, s25, v8
	v_mov_b32_e32 v14, 0x7f80
	s_and_saveexec_b64 s[20:21], vcc
	s_cbranch_execz .LBB774_1038
; %bb.1037:                             ;   in Loop: Header=BB774_794 Depth=1
	v_and_b32_e32 v14, 7, v6
	v_ffbh_u32_e32 v12, v14
	v_min_u32_e32 v16, 32, v12
	v_subrev_u32_e32 v12, 28, v16
	v_lshlrev_b64 v[12:13], v12, v[6:7]
	v_lshrrev_b32_e32 v15, 3, v8
	v_sub_u32_e32 v13, 29, v16
	v_and_b32_e32 v12, 7, v12
	v_cmp_gt_u32_e32 vcc, 8, v8
	v_cndmask_b32_e32 v8, v15, v13, vcc
	v_cndmask_b32_e32 v12, v14, v12, vcc
	v_lshlrev_b32_e32 v13, 24, v6
	v_lshlrev_b32_e32 v12, 20, v12
	v_and_b32_e32 v13, 0x80000000, v13
	v_lshl_add_u32 v8, v8, 23, v10
	v_or3_b32 v8, v13, v8, v12
	v_lshrrev_b32_e32 v14, 16, v8
.LBB774_1038:                           ;   in Loop: Header=BB774_794 Depth=1
	s_or_b64 exec, exec, s[20:21]
.LBB774_1039:                           ;   in Loop: Header=BB774_794 Depth=1
	s_or_b64 exec, exec, s[18:19]
.LBB774_1040:                           ;   in Loop: Header=BB774_794 Depth=1
	s_or_b64 exec, exec, s[16:17]
	v_lshrrev_b16_e32 v8, 8, v6
	v_cmp_ne_u16_e32 vcc, 0, v8
	v_mov_b32_e32 v15, 0
	v_mov_b32_e32 v13, 0
	s_and_saveexec_b64 s[16:17], vcc
	s_cbranch_execz .LBB774_1046
; %bb.1041:                             ;   in Loop: Header=BB774_794 Depth=1
	v_cmp_ne_u16_e32 vcc, s23, v8
	v_mov_b32_e32 v13, 0xffff8000
	s_and_saveexec_b64 s[18:19], vcc
	s_cbranch_execz .LBB774_1045
; %bb.1042:                             ;   in Loop: Header=BB774_794 Depth=1
	v_and_b32_e32 v12, 0x7f, v8
	v_cmp_ne_u32_e32 vcc, s25, v12
	v_mov_b32_e32 v13, 0x7f80
	s_and_saveexec_b64 s[20:21], vcc
	s_cbranch_execz .LBB774_1044
; %bb.1043:                             ;   in Loop: Header=BB774_794 Depth=1
	v_and_b32_e32 v13, 7, v8
	v_ffbh_u32_e32 v16, v13
	v_min_u32_e32 v19, 32, v16
	v_subrev_u32_e32 v16, 28, v19
	v_lshlrev_b64 v[16:17], v16, v[8:9]
	v_lshrrev_b32_e32 v18, 3, v12
	v_sub_u32_e32 v8, 29, v19
	v_and_b32_e32 v16, 7, v16
	v_cmp_gt_u32_e32 vcc, 8, v12
	v_cndmask_b32_e32 v8, v18, v8, vcc
	v_cndmask_b32_e32 v12, v13, v16, vcc
	v_lshlrev_b32_e32 v13, 16, v6
	v_lshlrev_b32_e32 v12, 20, v12
	v_and_b32_e32 v13, 0x80000000, v13
	v_lshl_add_u32 v8, v8, 23, v10
	v_or3_b32 v8, v13, v8, v12
	v_lshrrev_b32_e32 v13, 16, v8
.LBB774_1044:                           ;   in Loop: Header=BB774_794 Depth=1
	s_or_b64 exec, exec, s[20:21]
.LBB774_1045:                           ;   in Loop: Header=BB774_794 Depth=1
	s_or_b64 exec, exec, s[18:19]
.LBB774_1046:                           ;   in Loop: Header=BB774_794 Depth=1
	s_or_b64 exec, exec, s[16:17]
	v_lshrrev_b32_e32 v8, 16, v6
	v_cmp_ne_u16_sdwa s[18:19], v8, v9 src0_sel:BYTE_0 src1_sel:DWORD
	s_and_saveexec_b64 s[16:17], s[18:19]
	s_cbranch_execz .LBB774_1052
; %bb.1047:                             ;   in Loop: Header=BB774_794 Depth=1
	v_cmp_ne_u16_sdwa s[20:21], v8, s23 src0_sel:BYTE_0 src1_sel:DWORD
	v_mov_b32_e32 v15, 0xffff8000
	s_and_saveexec_b64 s[18:19], s[20:21]
	s_cbranch_execz .LBB774_1051
; %bb.1048:                             ;   in Loop: Header=BB774_794 Depth=1
	v_bfe_u32 v12, v6, 16, 7
	v_cmp_ne_u32_e32 vcc, s25, v12
	v_mov_b32_e32 v15, 0x7f80
	s_and_saveexec_b64 s[20:21], vcc
	s_cbranch_execz .LBB774_1050
; %bb.1049:                             ;   in Loop: Header=BB774_794 Depth=1
	v_and_b32_e32 v15, 7, v8
	v_ffbh_u32_e32 v16, v15
	v_min_u32_e32 v19, 32, v16
	v_subrev_u32_e32 v16, 28, v19
	v_lshlrev_b64 v[16:17], v16, v[8:9]
	v_lshrrev_b32_e32 v18, 3, v12
	v_sub_u32_e32 v17, 29, v19
	v_and_b32_e32 v16, 7, v16
	v_cmp_gt_u32_e32 vcc, 8, v12
	v_cndmask_b32_e32 v12, v18, v17, vcc
	v_cndmask_b32_e32 v15, v15, v16, vcc
	v_lshlrev_b32_e32 v8, 24, v8
	v_lshlrev_b32_e32 v15, 20, v15
	v_and_b32_e32 v8, 0x80000000, v8
	v_lshl_add_u32 v12, v12, 23, v10
	v_or3_b32 v8, v8, v12, v15
	v_lshrrev_b32_e32 v15, 16, v8
.LBB774_1050:                           ;   in Loop: Header=BB774_794 Depth=1
	s_or_b64 exec, exec, s[20:21]
.LBB774_1051:                           ;   in Loop: Header=BB774_794 Depth=1
	s_or_b64 exec, exec, s[18:19]
.LBB774_1052:                           ;   in Loop: Header=BB774_794 Depth=1
	s_or_b64 exec, exec, s[16:17]
	v_cmp_lt_u32_e32 vcc, s26, v6
	v_mov_b32_e32 v16, 0
	v_mov_b32_e32 v17, 0
	s_and_saveexec_b64 s[16:17], vcc
	s_cbranch_execz .LBB774_1058
; %bb.1053:                             ;   in Loop: Header=BB774_794 Depth=1
	v_lshrrev_b32_e32 v8, 24, v6
	v_cmp_ne_u32_e32 vcc, s23, v8
	v_mov_b32_e32 v17, 0xffff8000
	s_and_saveexec_b64 s[18:19], vcc
	s_cbranch_execz .LBB774_1057
; %bb.1054:                             ;   in Loop: Header=BB774_794 Depth=1
	v_bfe_u32 v6, v6, 24, 7
	v_cmp_ne_u32_e32 vcc, s25, v6
	v_mov_b32_e32 v17, 0x7f80
	s_and_saveexec_b64 s[20:21], vcc
	s_cbranch_execz .LBB774_1056
; %bb.1055:                             ;   in Loop: Header=BB774_794 Depth=1
	v_and_b32_e32 v12, 7, v8
	v_ffbh_u32_e32 v18, v12
	v_min_u32_e32 v20, 32, v18
	v_subrev_u32_e32 v18, 28, v20
	v_lshlrev_b64 v[18:19], v18, v[8:9]
	v_lshrrev_b32_e32 v17, 3, v6
	v_sub_u32_e32 v19, 29, v20
	v_and_b32_e32 v18, 7, v18
	v_cmp_gt_u32_e32 vcc, 8, v6
	v_cndmask_b32_e32 v6, v17, v19, vcc
	v_cndmask_b32_e32 v12, v12, v18, vcc
	v_lshlrev_b32_e32 v8, 24, v8
	v_lshlrev_b32_e32 v12, 20, v12
	v_and_b32_e32 v8, 0x80000000, v8
	v_lshl_add_u32 v6, v6, 23, v10
	v_or3_b32 v6, v8, v6, v12
	v_lshrrev_b32_e32 v17, 16, v6
.LBB774_1056:                           ;   in Loop: Header=BB774_794 Depth=1
	s_or_b64 exec, exec, s[20:21]
.LBB774_1057:                           ;   in Loop: Header=BB774_794 Depth=1
	s_or_b64 exec, exec, s[18:19]
.LBB774_1058:                           ;   in Loop: Header=BB774_794 Depth=1
	s_or_b64 exec, exec, s[16:17]
	s_waitcnt vmcnt(0)
	v_cmp_ne_u16_sdwa s[18:19], v4, v9 src0_sel:BYTE_0 src1_sel:DWORD
	s_and_saveexec_b64 s[16:17], s[18:19]
	s_cbranch_execz .LBB774_1064
; %bb.1059:                             ;   in Loop: Header=BB774_794 Depth=1
	v_cmp_ne_u16_sdwa s[20:21], v4, s23 src0_sel:BYTE_0 src1_sel:DWORD
	v_mov_b32_e32 v16, 0xffff8000
	s_and_saveexec_b64 s[18:19], s[20:21]
	s_cbranch_execz .LBB774_1063
; %bb.1060:                             ;   in Loop: Header=BB774_794 Depth=1
	v_and_b32_e32 v6, 0x7f, v4
	v_cmp_ne_u32_e32 vcc, s25, v6
	v_mov_b32_e32 v16, 0x7f80
	s_and_saveexec_b64 s[20:21], vcc
	s_cbranch_execz .LBB774_1062
; %bb.1061:                             ;   in Loop: Header=BB774_794 Depth=1
	v_and_b32_e32 v8, 7, v4
	v_ffbh_u32_e32 v16, v8
	v_min_u32_e32 v16, 32, v16
	v_subrev_u32_e32 v18, 28, v16
	v_lshlrev_b64 v[18:19], v18, v[4:5]
	v_lshrrev_b32_e32 v12, 3, v6
	v_sub_u32_e32 v16, 29, v16
	v_and_b32_e32 v18, 7, v18
	v_cmp_gt_u32_e32 vcc, 8, v6
	v_cndmask_b32_e32 v6, v12, v16, vcc
	v_cndmask_b32_e32 v8, v8, v18, vcc
	v_lshlrev_b32_e32 v12, 24, v4
	v_lshlrev_b32_e32 v8, 20, v8
	v_and_b32_e32 v12, 0x80000000, v12
	v_lshl_add_u32 v6, v6, 23, v10
	v_or3_b32 v6, v12, v6, v8
	v_lshrrev_b32_e32 v16, 16, v6
.LBB774_1062:                           ;   in Loop: Header=BB774_794 Depth=1
	s_or_b64 exec, exec, s[20:21]
.LBB774_1063:                           ;   in Loop: Header=BB774_794 Depth=1
	s_or_b64 exec, exec, s[18:19]
.LBB774_1064:                           ;   in Loop: Header=BB774_794 Depth=1
	s_or_b64 exec, exec, s[16:17]
	v_lshrrev_b16_e32 v6, 8, v4
	v_cmp_ne_u16_e32 vcc, 0, v6
	v_mov_b32_e32 v18, 0
	v_mov_b32_e32 v8, 0
	s_and_saveexec_b64 s[16:17], vcc
	s_cbranch_execz .LBB774_1070
; %bb.1065:                             ;   in Loop: Header=BB774_794 Depth=1
	v_cmp_ne_u16_e32 vcc, s23, v6
	v_mov_b32_e32 v8, 0xffff8000
	s_and_saveexec_b64 s[18:19], vcc
	s_cbranch_execz .LBB774_1069
; %bb.1066:                             ;   in Loop: Header=BB774_794 Depth=1
	v_and_b32_e32 v12, 0x7f, v6
	v_cmp_ne_u32_e32 vcc, s25, v12
	v_mov_b32_e32 v8, 0x7f80
	s_and_saveexec_b64 s[20:21], vcc
	s_cbranch_execz .LBB774_1068
; %bb.1067:                             ;   in Loop: Header=BB774_794 Depth=1
	v_and_b32_e32 v8, 7, v6
	v_ffbh_u32_e32 v20, v8
	v_min_u32_e32 v22, 32, v20
	v_subrev_u32_e32 v20, 28, v22
	v_lshlrev_b64 v[20:21], v20, v[6:7]
	v_lshrrev_b32_e32 v19, 3, v12
	v_sub_u32_e32 v6, 29, v22
	v_and_b32_e32 v20, 7, v20
	v_cmp_gt_u32_e32 vcc, 8, v12
	v_cndmask_b32_e32 v6, v19, v6, vcc
	v_cndmask_b32_e32 v8, v8, v20, vcc
	v_lshlrev_b32_e32 v12, 16, v4
	v_lshlrev_b32_e32 v8, 20, v8
	v_and_b32_e32 v12, 0x80000000, v12
	v_lshl_add_u32 v6, v6, 23, v10
	v_or3_b32 v6, v12, v6, v8
	v_lshrrev_b32_e32 v8, 16, v6
.LBB774_1068:                           ;   in Loop: Header=BB774_794 Depth=1
	s_or_b64 exec, exec, s[20:21]
.LBB774_1069:                           ;   in Loop: Header=BB774_794 Depth=1
	s_or_b64 exec, exec, s[18:19]
.LBB774_1070:                           ;   in Loop: Header=BB774_794 Depth=1
	s_or_b64 exec, exec, s[16:17]
	v_lshrrev_b32_e32 v6, 16, v4
	v_cmp_ne_u16_sdwa s[18:19], v6, v9 src0_sel:BYTE_0 src1_sel:DWORD
	s_and_saveexec_b64 s[16:17], s[18:19]
	s_cbranch_execz .LBB774_1076
; %bb.1071:                             ;   in Loop: Header=BB774_794 Depth=1
	v_cmp_ne_u16_sdwa s[20:21], v6, s23 src0_sel:BYTE_0 src1_sel:DWORD
	v_mov_b32_e32 v18, 0xffff8000
	s_and_saveexec_b64 s[18:19], s[20:21]
	s_cbranch_execz .LBB774_1075
; %bb.1072:                             ;   in Loop: Header=BB774_794 Depth=1
	v_bfe_u32 v12, v4, 16, 7
	v_cmp_ne_u32_e32 vcc, s25, v12
	v_mov_b32_e32 v18, 0x7f80
	s_and_saveexec_b64 s[20:21], vcc
	s_cbranch_execz .LBB774_1074
; %bb.1073:                             ;   in Loop: Header=BB774_794 Depth=1
	v_and_b32_e32 v20, 7, v6
	v_ffbh_u32_e32 v18, v20
	v_min_u32_e32 v22, 32, v18
	v_subrev_u32_e32 v18, 28, v22
	v_lshlrev_b64 v[18:19], v18, v[6:7]
	v_lshrrev_b32_e32 v21, 3, v12
	v_sub_u32_e32 v19, 29, v22
	v_and_b32_e32 v18, 7, v18
	v_cmp_gt_u32_e32 vcc, 8, v12
	v_cndmask_b32_e32 v12, v21, v19, vcc
	v_cndmask_b32_e32 v18, v20, v18, vcc
	v_lshlrev_b32_e32 v6, 24, v6
	v_lshlrev_b32_e32 v18, 20, v18
	v_and_b32_e32 v6, 0x80000000, v6
	v_lshl_add_u32 v12, v12, 23, v10
	v_or3_b32 v6, v6, v12, v18
	v_lshrrev_b32_e32 v18, 16, v6
.LBB774_1074:                           ;   in Loop: Header=BB774_794 Depth=1
	s_or_b64 exec, exec, s[20:21]
.LBB774_1075:                           ;   in Loop: Header=BB774_794 Depth=1
	s_or_b64 exec, exec, s[18:19]
.LBB774_1076:                           ;   in Loop: Header=BB774_794 Depth=1
	s_or_b64 exec, exec, s[16:17]
	v_cmp_lt_u32_e32 vcc, s26, v4
	v_mov_b32_e32 v12, 0
	v_mov_b32_e32 v19, 0
	s_and_saveexec_b64 s[16:17], vcc
	s_cbranch_execz .LBB774_1082
; %bb.1077:                             ;   in Loop: Header=BB774_794 Depth=1
	v_lshrrev_b32_e32 v6, 24, v4
	v_cmp_ne_u32_e32 vcc, s23, v6
	v_mov_b32_e32 v19, 0xffff8000
	s_and_saveexec_b64 s[18:19], vcc
	s_cbranch_execz .LBB774_1081
; %bb.1078:                             ;   in Loop: Header=BB774_794 Depth=1
	v_bfe_u32 v4, v4, 24, 7
	v_cmp_ne_u32_e32 vcc, s25, v4
	v_mov_b32_e32 v19, 0x7f80
	s_and_saveexec_b64 s[20:21], vcc
	s_cbranch_execz .LBB774_1080
; %bb.1079:                             ;   in Loop: Header=BB774_794 Depth=1
	v_and_b32_e32 v19, 7, v6
	v_ffbh_u32_e32 v20, v19
	v_min_u32_e32 v23, 32, v20
	v_subrev_u32_e32 v20, 28, v23
	v_lshlrev_b64 v[20:21], v20, v[6:7]
	v_lshrrev_b32_e32 v22, 3, v4
	v_sub_u32_e32 v21, 29, v23
	v_and_b32_e32 v20, 7, v20
	v_cmp_gt_u32_e32 vcc, 8, v4
	v_cndmask_b32_e32 v4, v22, v21, vcc
	v_cndmask_b32_e32 v19, v19, v20, vcc
	v_lshlrev_b32_e32 v6, 24, v6
	v_lshlrev_b32_e32 v19, 20, v19
	v_and_b32_e32 v6, 0x80000000, v6
	v_lshl_add_u32 v4, v4, 23, v10
	v_or3_b32 v4, v6, v4, v19
	v_lshrrev_b32_e32 v19, 16, v4
.LBB774_1080:                           ;   in Loop: Header=BB774_794 Depth=1
	s_or_b64 exec, exec, s[20:21]
.LBB774_1081:                           ;   in Loop: Header=BB774_794 Depth=1
	s_or_b64 exec, exec, s[18:19]
.LBB774_1082:                           ;   in Loop: Header=BB774_794 Depth=1
	s_or_b64 exec, exec, s[16:17]
	buffer_load_dword v6, v11, s[0:3], 0 offen offset:48
	buffer_load_dword v4, v11, s[0:3], 0 offen offset:52
	v_perm_b32 v15, v17, v15, s27
	v_perm_b32 v14, v13, v14, s27
	;; [unrolled: 1-line block ×4, first 2 shown]
	v_mfma_f32_4x4x4bf16_1k a[0:3], v[2:3], v[14:15], a[0:3] cbsz:4 abid:10
	s_waitcnt vmcnt(1)
	v_cmp_ne_u16_sdwa s[18:19], v6, v9 src0_sel:BYTE_0 src1_sel:DWORD
	v_mfma_f32_4x4x4bf16_1k a[0:3], v[2:3], v[16:17], a[0:3] cbsz:4 abid:11
	s_and_saveexec_b64 s[16:17], s[18:19]
	s_cbranch_execz .LBB774_1088
; %bb.1083:                             ;   in Loop: Header=BB774_794 Depth=1
	v_cmp_ne_u16_sdwa s[20:21], v6, s23 src0_sel:BYTE_0 src1_sel:DWORD
	v_mov_b32_e32 v12, 0xffff8000
	s_and_saveexec_b64 s[18:19], s[20:21]
	s_cbranch_execz .LBB774_1087
; %bb.1084:                             ;   in Loop: Header=BB774_794 Depth=1
	v_and_b32_e32 v8, 0x7f, v6
	v_cmp_ne_u32_e32 vcc, s25, v8
	v_mov_b32_e32 v12, 0x7f80
	s_and_saveexec_b64 s[20:21], vcc
	s_cbranch_execz .LBB774_1086
; %bb.1085:                             ;   in Loop: Header=BB774_794 Depth=1
	v_and_b32_e32 v14, 7, v6
	v_ffbh_u32_e32 v12, v14
	v_min_u32_e32 v16, 32, v12
	v_subrev_u32_e32 v12, 28, v16
	v_lshlrev_b64 v[12:13], v12, v[6:7]
	v_lshrrev_b32_e32 v15, 3, v8
	v_sub_u32_e32 v13, 29, v16
	v_and_b32_e32 v12, 7, v12
	v_cmp_gt_u32_e32 vcc, 8, v8
	v_cndmask_b32_e32 v8, v15, v13, vcc
	v_cndmask_b32_e32 v12, v14, v12, vcc
	v_lshlrev_b32_e32 v13, 24, v6
	v_lshlrev_b32_e32 v12, 20, v12
	v_and_b32_e32 v13, 0x80000000, v13
	v_lshl_add_u32 v8, v8, 23, v10
	v_or3_b32 v8, v13, v8, v12
	v_lshrrev_b32_e32 v12, 16, v8
.LBB774_1086:                           ;   in Loop: Header=BB774_794 Depth=1
	s_or_b64 exec, exec, s[20:21]
.LBB774_1087:                           ;   in Loop: Header=BB774_794 Depth=1
	s_or_b64 exec, exec, s[18:19]
.LBB774_1088:                           ;   in Loop: Header=BB774_794 Depth=1
	s_or_b64 exec, exec, s[16:17]
	v_lshrrev_b16_e32 v8, 8, v6
	v_cmp_ne_u16_e32 vcc, 0, v8
	v_mov_b32_e32 v15, 0
	v_mov_b32_e32 v14, 0
	s_and_saveexec_b64 s[16:17], vcc
	s_cbranch_execz .LBB774_1094
; %bb.1089:                             ;   in Loop: Header=BB774_794 Depth=1
	v_cmp_ne_u16_e32 vcc, s23, v8
	v_mov_b32_e32 v14, 0xffff8000
	s_and_saveexec_b64 s[18:19], vcc
	s_cbranch_execz .LBB774_1093
; %bb.1090:                             ;   in Loop: Header=BB774_794 Depth=1
	v_and_b32_e32 v13, 0x7f, v8
	v_cmp_ne_u32_e32 vcc, s25, v13
	v_mov_b32_e32 v14, 0x7f80
	s_and_saveexec_b64 s[20:21], vcc
	s_cbranch_execz .LBB774_1092
; %bb.1091:                             ;   in Loop: Header=BB774_794 Depth=1
	v_and_b32_e32 v14, 7, v8
	v_ffbh_u32_e32 v16, v14
	v_min_u32_e32 v19, 32, v16
	v_subrev_u32_e32 v16, 28, v19
	v_lshlrev_b64 v[16:17], v16, v[8:9]
	v_lshrrev_b32_e32 v18, 3, v13
	v_sub_u32_e32 v8, 29, v19
	v_and_b32_e32 v16, 7, v16
	v_cmp_gt_u32_e32 vcc, 8, v13
	v_cndmask_b32_e32 v8, v18, v8, vcc
	v_cndmask_b32_e32 v13, v14, v16, vcc
	v_lshlrev_b32_e32 v14, 16, v6
	v_lshlrev_b32_e32 v13, 20, v13
	v_and_b32_e32 v14, 0x80000000, v14
	v_lshl_add_u32 v8, v8, 23, v10
	v_or3_b32 v8, v14, v8, v13
	v_lshrrev_b32_e32 v14, 16, v8
.LBB774_1092:                           ;   in Loop: Header=BB774_794 Depth=1
	s_or_b64 exec, exec, s[20:21]
.LBB774_1093:                           ;   in Loop: Header=BB774_794 Depth=1
	s_or_b64 exec, exec, s[18:19]
.LBB774_1094:                           ;   in Loop: Header=BB774_794 Depth=1
	s_or_b64 exec, exec, s[16:17]
	v_lshrrev_b32_e32 v8, 16, v6
	v_cmp_ne_u16_sdwa s[18:19], v8, v9 src0_sel:BYTE_0 src1_sel:DWORD
	s_and_saveexec_b64 s[16:17], s[18:19]
	s_cbranch_execz .LBB774_1100
; %bb.1095:                             ;   in Loop: Header=BB774_794 Depth=1
	v_cmp_ne_u16_sdwa s[20:21], v8, s23 src0_sel:BYTE_0 src1_sel:DWORD
	v_mov_b32_e32 v15, 0xffff8000
	s_and_saveexec_b64 s[18:19], s[20:21]
	s_cbranch_execz .LBB774_1099
; %bb.1096:                             ;   in Loop: Header=BB774_794 Depth=1
	v_bfe_u32 v13, v6, 16, 7
	v_cmp_ne_u32_e32 vcc, s25, v13
	v_mov_b32_e32 v15, 0x7f80
	s_and_saveexec_b64 s[20:21], vcc
	s_cbranch_execz .LBB774_1098
; %bb.1097:                             ;   in Loop: Header=BB774_794 Depth=1
	v_and_b32_e32 v15, 7, v8
	v_ffbh_u32_e32 v16, v15
	v_min_u32_e32 v19, 32, v16
	v_subrev_u32_e32 v16, 28, v19
	v_lshlrev_b64 v[16:17], v16, v[8:9]
	v_lshrrev_b32_e32 v18, 3, v13
	v_sub_u32_e32 v17, 29, v19
	v_and_b32_e32 v16, 7, v16
	v_cmp_gt_u32_e32 vcc, 8, v13
	v_cndmask_b32_e32 v13, v18, v17, vcc
	v_cndmask_b32_e32 v15, v15, v16, vcc
	v_lshlrev_b32_e32 v8, 24, v8
	v_lshlrev_b32_e32 v15, 20, v15
	v_and_b32_e32 v8, 0x80000000, v8
	v_lshl_add_u32 v13, v13, 23, v10
	v_or3_b32 v8, v8, v13, v15
	v_lshrrev_b32_e32 v15, 16, v8
.LBB774_1098:                           ;   in Loop: Header=BB774_794 Depth=1
	s_or_b64 exec, exec, s[20:21]
.LBB774_1099:                           ;   in Loop: Header=BB774_794 Depth=1
	s_or_b64 exec, exec, s[18:19]
.LBB774_1100:                           ;   in Loop: Header=BB774_794 Depth=1
	s_or_b64 exec, exec, s[16:17]
	v_cmp_lt_u32_e32 vcc, s26, v6
	v_mov_b32_e32 v16, 0
	v_mov_b32_e32 v17, 0
	s_and_saveexec_b64 s[16:17], vcc
	s_cbranch_execz .LBB774_1106
; %bb.1101:                             ;   in Loop: Header=BB774_794 Depth=1
	v_lshrrev_b32_e32 v8, 24, v6
	v_cmp_ne_u32_e32 vcc, s23, v8
	v_mov_b32_e32 v17, 0xffff8000
	s_and_saveexec_b64 s[18:19], vcc
	s_cbranch_execz .LBB774_1105
; %bb.1102:                             ;   in Loop: Header=BB774_794 Depth=1
	v_bfe_u32 v6, v6, 24, 7
	v_cmp_ne_u32_e32 vcc, s25, v6
	v_mov_b32_e32 v17, 0x7f80
	s_and_saveexec_b64 s[20:21], vcc
	s_cbranch_execz .LBB774_1104
; %bb.1103:                             ;   in Loop: Header=BB774_794 Depth=1
	v_and_b32_e32 v13, 7, v8
	v_ffbh_u32_e32 v18, v13
	v_min_u32_e32 v20, 32, v18
	v_subrev_u32_e32 v18, 28, v20
	v_lshlrev_b64 v[18:19], v18, v[8:9]
	v_lshrrev_b32_e32 v17, 3, v6
	v_sub_u32_e32 v19, 29, v20
	v_and_b32_e32 v18, 7, v18
	v_cmp_gt_u32_e32 vcc, 8, v6
	v_cndmask_b32_e32 v6, v17, v19, vcc
	v_cndmask_b32_e32 v13, v13, v18, vcc
	v_lshlrev_b32_e32 v8, 24, v8
	v_lshlrev_b32_e32 v13, 20, v13
	v_and_b32_e32 v8, 0x80000000, v8
	v_lshl_add_u32 v6, v6, 23, v10
	v_or3_b32 v6, v8, v6, v13
	v_lshrrev_b32_e32 v17, 16, v6
.LBB774_1104:                           ;   in Loop: Header=BB774_794 Depth=1
	s_or_b64 exec, exec, s[20:21]
.LBB774_1105:                           ;   in Loop: Header=BB774_794 Depth=1
	s_or_b64 exec, exec, s[18:19]
.LBB774_1106:                           ;   in Loop: Header=BB774_794 Depth=1
	s_or_b64 exec, exec, s[16:17]
	s_waitcnt vmcnt(0)
	v_cmp_ne_u16_sdwa s[18:19], v4, v9 src0_sel:BYTE_0 src1_sel:DWORD
	s_and_saveexec_b64 s[16:17], s[18:19]
	s_cbranch_execz .LBB774_1112
; %bb.1107:                             ;   in Loop: Header=BB774_794 Depth=1
	v_cmp_ne_u16_sdwa s[20:21], v4, s23 src0_sel:BYTE_0 src1_sel:DWORD
	v_mov_b32_e32 v16, 0xffff8000
	s_and_saveexec_b64 s[18:19], s[20:21]
	s_cbranch_execz .LBB774_1111
; %bb.1108:                             ;   in Loop: Header=BB774_794 Depth=1
	v_and_b32_e32 v6, 0x7f, v4
	v_cmp_ne_u32_e32 vcc, s25, v6
	v_mov_b32_e32 v16, 0x7f80
	s_and_saveexec_b64 s[20:21], vcc
	s_cbranch_execz .LBB774_1110
; %bb.1109:                             ;   in Loop: Header=BB774_794 Depth=1
	v_and_b32_e32 v8, 7, v4
	v_ffbh_u32_e32 v16, v8
	v_min_u32_e32 v16, 32, v16
	v_subrev_u32_e32 v18, 28, v16
	v_lshlrev_b64 v[18:19], v18, v[4:5]
	v_lshrrev_b32_e32 v13, 3, v6
	v_sub_u32_e32 v16, 29, v16
	v_and_b32_e32 v18, 7, v18
	v_cmp_gt_u32_e32 vcc, 8, v6
	v_cndmask_b32_e32 v6, v13, v16, vcc
	v_cndmask_b32_e32 v8, v8, v18, vcc
	v_lshlrev_b32_e32 v13, 24, v4
	v_lshlrev_b32_e32 v8, 20, v8
	v_and_b32_e32 v13, 0x80000000, v13
	v_lshl_add_u32 v6, v6, 23, v10
	v_or3_b32 v6, v13, v6, v8
	v_lshrrev_b32_e32 v16, 16, v6
.LBB774_1110:                           ;   in Loop: Header=BB774_794 Depth=1
	s_or_b64 exec, exec, s[20:21]
.LBB774_1111:                           ;   in Loop: Header=BB774_794 Depth=1
	s_or_b64 exec, exec, s[18:19]
.LBB774_1112:                           ;   in Loop: Header=BB774_794 Depth=1
	s_or_b64 exec, exec, s[16:17]
	v_lshrrev_b16_e32 v6, 8, v4
	v_cmp_ne_u16_e32 vcc, 0, v6
	v_mov_b32_e32 v18, 0
	v_mov_b32_e32 v8, 0
	s_and_saveexec_b64 s[16:17], vcc
	s_cbranch_execz .LBB774_1118
; %bb.1113:                             ;   in Loop: Header=BB774_794 Depth=1
	v_cmp_ne_u16_e32 vcc, s23, v6
	v_mov_b32_e32 v8, 0xffff8000
	s_and_saveexec_b64 s[18:19], vcc
	s_cbranch_execz .LBB774_1117
; %bb.1114:                             ;   in Loop: Header=BB774_794 Depth=1
	v_and_b32_e32 v13, 0x7f, v6
	v_cmp_ne_u32_e32 vcc, s25, v13
	v_mov_b32_e32 v8, 0x7f80
	s_and_saveexec_b64 s[20:21], vcc
	s_cbranch_execz .LBB774_1116
; %bb.1115:                             ;   in Loop: Header=BB774_794 Depth=1
	v_and_b32_e32 v8, 7, v6
	v_ffbh_u32_e32 v20, v8
	v_min_u32_e32 v22, 32, v20
	v_subrev_u32_e32 v20, 28, v22
	v_lshlrev_b64 v[20:21], v20, v[6:7]
	v_lshrrev_b32_e32 v19, 3, v13
	v_sub_u32_e32 v6, 29, v22
	v_and_b32_e32 v20, 7, v20
	v_cmp_gt_u32_e32 vcc, 8, v13
	v_cndmask_b32_e32 v6, v19, v6, vcc
	v_cndmask_b32_e32 v8, v8, v20, vcc
	v_lshlrev_b32_e32 v13, 16, v4
	v_lshlrev_b32_e32 v8, 20, v8
	v_and_b32_e32 v13, 0x80000000, v13
	v_lshl_add_u32 v6, v6, 23, v10
	v_or3_b32 v6, v13, v6, v8
	v_lshrrev_b32_e32 v8, 16, v6
.LBB774_1116:                           ;   in Loop: Header=BB774_794 Depth=1
	s_or_b64 exec, exec, s[20:21]
.LBB774_1117:                           ;   in Loop: Header=BB774_794 Depth=1
	s_or_b64 exec, exec, s[18:19]
.LBB774_1118:                           ;   in Loop: Header=BB774_794 Depth=1
	s_or_b64 exec, exec, s[16:17]
	v_lshrrev_b32_e32 v6, 16, v4
	v_cmp_ne_u16_sdwa s[18:19], v6, v9 src0_sel:BYTE_0 src1_sel:DWORD
	s_and_saveexec_b64 s[16:17], s[18:19]
	s_cbranch_execz .LBB774_1124
; %bb.1119:                             ;   in Loop: Header=BB774_794 Depth=1
	v_cmp_ne_u16_sdwa s[20:21], v6, s23 src0_sel:BYTE_0 src1_sel:DWORD
	v_mov_b32_e32 v18, 0xffff8000
	s_and_saveexec_b64 s[18:19], s[20:21]
	s_cbranch_execz .LBB774_1123
; %bb.1120:                             ;   in Loop: Header=BB774_794 Depth=1
	v_bfe_u32 v13, v4, 16, 7
	v_cmp_ne_u32_e32 vcc, s25, v13
	v_mov_b32_e32 v18, 0x7f80
	s_and_saveexec_b64 s[20:21], vcc
	s_cbranch_execz .LBB774_1122
; %bb.1121:                             ;   in Loop: Header=BB774_794 Depth=1
	v_and_b32_e32 v20, 7, v6
	v_ffbh_u32_e32 v18, v20
	v_min_u32_e32 v22, 32, v18
	v_subrev_u32_e32 v18, 28, v22
	v_lshlrev_b64 v[18:19], v18, v[6:7]
	v_lshrrev_b32_e32 v21, 3, v13
	v_sub_u32_e32 v19, 29, v22
	v_and_b32_e32 v18, 7, v18
	v_cmp_gt_u32_e32 vcc, 8, v13
	v_cndmask_b32_e32 v13, v21, v19, vcc
	v_cndmask_b32_e32 v18, v20, v18, vcc
	v_lshlrev_b32_e32 v6, 24, v6
	v_lshlrev_b32_e32 v18, 20, v18
	v_and_b32_e32 v6, 0x80000000, v6
	v_lshl_add_u32 v13, v13, 23, v10
	v_or3_b32 v6, v6, v13, v18
	v_lshrrev_b32_e32 v18, 16, v6
.LBB774_1122:                           ;   in Loop: Header=BB774_794 Depth=1
	s_or_b64 exec, exec, s[20:21]
.LBB774_1123:                           ;   in Loop: Header=BB774_794 Depth=1
	s_or_b64 exec, exec, s[18:19]
.LBB774_1124:                           ;   in Loop: Header=BB774_794 Depth=1
	s_or_b64 exec, exec, s[16:17]
	v_cmp_lt_u32_e32 vcc, s26, v4
	v_mov_b32_e32 v13, 0
	v_mov_b32_e32 v19, 0
	s_and_saveexec_b64 s[16:17], vcc
	s_cbranch_execz .LBB774_1130
; %bb.1125:                             ;   in Loop: Header=BB774_794 Depth=1
	v_lshrrev_b32_e32 v6, 24, v4
	v_cmp_ne_u32_e32 vcc, s23, v6
	v_mov_b32_e32 v19, 0xffff8000
	s_and_saveexec_b64 s[18:19], vcc
	s_cbranch_execz .LBB774_1129
; %bb.1126:                             ;   in Loop: Header=BB774_794 Depth=1
	v_bfe_u32 v4, v4, 24, 7
	v_cmp_ne_u32_e32 vcc, s25, v4
	v_mov_b32_e32 v19, 0x7f80
	s_and_saveexec_b64 s[20:21], vcc
	s_cbranch_execz .LBB774_1128
; %bb.1127:                             ;   in Loop: Header=BB774_794 Depth=1
	v_and_b32_e32 v19, 7, v6
	v_ffbh_u32_e32 v20, v19
	v_min_u32_e32 v23, 32, v20
	v_subrev_u32_e32 v20, 28, v23
	v_lshlrev_b64 v[20:21], v20, v[6:7]
	v_lshrrev_b32_e32 v22, 3, v4
	v_sub_u32_e32 v21, 29, v23
	v_and_b32_e32 v20, 7, v20
	v_cmp_gt_u32_e32 vcc, 8, v4
	v_cndmask_b32_e32 v4, v22, v21, vcc
	v_cndmask_b32_e32 v19, v19, v20, vcc
	v_lshlrev_b32_e32 v6, 24, v6
	v_lshlrev_b32_e32 v19, 20, v19
	v_and_b32_e32 v6, 0x80000000, v6
	v_lshl_add_u32 v4, v4, 23, v10
	v_or3_b32 v4, v6, v4, v19
	v_lshrrev_b32_e32 v19, 16, v4
.LBB774_1128:                           ;   in Loop: Header=BB774_794 Depth=1
	s_or_b64 exec, exec, s[20:21]
.LBB774_1129:                           ;   in Loop: Header=BB774_794 Depth=1
	s_or_b64 exec, exec, s[18:19]
.LBB774_1130:                           ;   in Loop: Header=BB774_794 Depth=1
	s_or_b64 exec, exec, s[16:17]
	buffer_load_dword v6, v11, s[0:3], 0 offen offset:56
	buffer_load_dword v4, v11, s[0:3], 0 offen offset:60
	v_perm_b32 v15, v17, v15, s27
	v_perm_b32 v14, v14, v12, s27
	;; [unrolled: 1-line block ×4, first 2 shown]
	v_mfma_f32_4x4x4bf16_1k a[0:3], v[2:3], v[14:15], a[0:3] cbsz:4 abid:12
	s_waitcnt vmcnt(1)
	v_cmp_ne_u16_sdwa s[18:19], v6, v9 src0_sel:BYTE_0 src1_sel:DWORD
	v_mfma_f32_4x4x4bf16_1k a[0:3], v[2:3], v[16:17], a[0:3] cbsz:4 abid:13
	s_and_saveexec_b64 s[16:17], s[18:19]
	s_cbranch_execz .LBB774_1136
; %bb.1131:                             ;   in Loop: Header=BB774_794 Depth=1
	v_cmp_ne_u16_sdwa s[20:21], v6, s23 src0_sel:BYTE_0 src1_sel:DWORD
	v_mov_b32_e32 v13, 0xffff8000
	s_and_saveexec_b64 s[18:19], s[20:21]
	s_cbranch_execz .LBB774_1135
; %bb.1132:                             ;   in Loop: Header=BB774_794 Depth=1
	v_and_b32_e32 v8, 0x7f, v6
	v_cmp_ne_u32_e32 vcc, s25, v8
	v_mov_b32_e32 v13, 0x7f80
	s_and_saveexec_b64 s[20:21], vcc
	s_cbranch_execz .LBB774_1134
; %bb.1133:                             ;   in Loop: Header=BB774_794 Depth=1
	v_and_b32_e32 v11, 7, v6
	v_ffbh_u32_e32 v12, v11
	v_min_u32_e32 v15, 32, v12
	v_subrev_u32_e32 v12, 28, v15
	v_lshlrev_b64 v[12:13], v12, v[6:7]
	v_lshrrev_b32_e32 v14, 3, v8
	v_sub_u32_e32 v13, 29, v15
	v_and_b32_e32 v12, 7, v12
	v_cmp_gt_u32_e32 vcc, 8, v8
	v_cndmask_b32_e32 v8, v14, v13, vcc
	v_cndmask_b32_e32 v11, v11, v12, vcc
	v_lshlrev_b32_e32 v12, 24, v6
	v_lshlrev_b32_e32 v11, 20, v11
	v_and_b32_e32 v12, 0x80000000, v12
	v_lshl_add_u32 v8, v8, 23, v10
	v_or3_b32 v8, v12, v8, v11
	v_lshrrev_b32_e32 v13, 16, v8
.LBB774_1134:                           ;   in Loop: Header=BB774_794 Depth=1
	s_or_b64 exec, exec, s[20:21]
.LBB774_1135:                           ;   in Loop: Header=BB774_794 Depth=1
	s_or_b64 exec, exec, s[18:19]
.LBB774_1136:                           ;   in Loop: Header=BB774_794 Depth=1
	s_or_b64 exec, exec, s[16:17]
	v_lshrrev_b16_e32 v8, 8, v6
	v_cmp_ne_u16_e32 vcc, 0, v8
	v_mov_b32_e32 v12, 0
	v_mov_b32_e32 v11, 0
	s_and_saveexec_b64 s[16:17], vcc
	s_cbranch_execz .LBB774_1142
; %bb.1137:                             ;   in Loop: Header=BB774_794 Depth=1
	v_cmp_ne_u16_e32 vcc, s23, v8
	v_mov_b32_e32 v11, 0xffff8000
	s_and_saveexec_b64 s[18:19], vcc
	s_cbranch_execz .LBB774_1141
; %bb.1138:                             ;   in Loop: Header=BB774_794 Depth=1
	v_and_b32_e32 v14, 0x7f, v8
	v_cmp_ne_u32_e32 vcc, s25, v14
	v_mov_b32_e32 v11, 0x7f80
	s_and_saveexec_b64 s[20:21], vcc
	s_cbranch_execz .LBB774_1140
; %bb.1139:                             ;   in Loop: Header=BB774_794 Depth=1
	v_and_b32_e32 v11, 7, v8
	v_ffbh_u32_e32 v16, v11
	v_min_u32_e32 v18, 32, v16
	v_subrev_u32_e32 v16, 28, v18
	v_lshlrev_b64 v[16:17], v16, v[8:9]
	v_lshrrev_b32_e32 v15, 3, v14
	v_sub_u32_e32 v8, 29, v18
	v_and_b32_e32 v16, 7, v16
	v_cmp_gt_u32_e32 vcc, 8, v14
	v_cndmask_b32_e32 v8, v15, v8, vcc
	v_cndmask_b32_e32 v11, v11, v16, vcc
	v_lshlrev_b32_e32 v14, 16, v6
	v_lshlrev_b32_e32 v11, 20, v11
	v_and_b32_e32 v14, 0x80000000, v14
	v_lshl_add_u32 v8, v8, 23, v10
	v_or3_b32 v8, v14, v8, v11
	v_lshrrev_b32_e32 v11, 16, v8
.LBB774_1140:                           ;   in Loop: Header=BB774_794 Depth=1
	s_or_b64 exec, exec, s[20:21]
.LBB774_1141:                           ;   in Loop: Header=BB774_794 Depth=1
	s_or_b64 exec, exec, s[18:19]
.LBB774_1142:                           ;   in Loop: Header=BB774_794 Depth=1
	s_or_b64 exec, exec, s[16:17]
	v_lshrrev_b32_e32 v8, 16, v6
	v_cmp_ne_u16_sdwa s[18:19], v8, v9 src0_sel:BYTE_0 src1_sel:DWORD
	s_and_saveexec_b64 s[16:17], s[18:19]
	s_cbranch_execz .LBB774_1148
; %bb.1143:                             ;   in Loop: Header=BB774_794 Depth=1
	v_cmp_ne_u16_sdwa s[20:21], v8, s23 src0_sel:BYTE_0 src1_sel:DWORD
	v_mov_b32_e32 v12, 0xffff8000
	s_and_saveexec_b64 s[18:19], s[20:21]
	s_cbranch_execz .LBB774_1147
; %bb.1144:                             ;   in Loop: Header=BB774_794 Depth=1
	v_bfe_u32 v14, v6, 16, 7
	v_cmp_ne_u32_e32 vcc, s25, v14
	v_mov_b32_e32 v12, 0x7f80
	s_and_saveexec_b64 s[20:21], vcc
	s_cbranch_execz .LBB774_1146
; %bb.1145:                             ;   in Loop: Header=BB774_794 Depth=1
	v_and_b32_e32 v12, 7, v8
	v_ffbh_u32_e32 v16, v12
	v_min_u32_e32 v18, 32, v16
	v_subrev_u32_e32 v16, 28, v18
	v_lshlrev_b64 v[16:17], v16, v[8:9]
	v_lshrrev_b32_e32 v15, 3, v14
	v_sub_u32_e32 v17, 29, v18
	v_and_b32_e32 v16, 7, v16
	v_cmp_gt_u32_e32 vcc, 8, v14
	v_cndmask_b32_e32 v14, v15, v17, vcc
	v_cndmask_b32_e32 v12, v12, v16, vcc
	v_lshlrev_b32_e32 v8, 24, v8
	v_lshlrev_b32_e32 v12, 20, v12
	v_and_b32_e32 v8, 0x80000000, v8
	v_lshl_add_u32 v14, v14, 23, v10
	v_or3_b32 v8, v8, v14, v12
	v_lshrrev_b32_e32 v12, 16, v8
.LBB774_1146:                           ;   in Loop: Header=BB774_794 Depth=1
	s_or_b64 exec, exec, s[20:21]
.LBB774_1147:                           ;   in Loop: Header=BB774_794 Depth=1
	s_or_b64 exec, exec, s[18:19]
.LBB774_1148:                           ;   in Loop: Header=BB774_794 Depth=1
	s_or_b64 exec, exec, s[16:17]
	v_cmp_lt_u32_e32 vcc, s26, v6
	v_mov_b32_e32 v14, 0
	v_mov_b32_e32 v15, 0
	s_and_saveexec_b64 s[16:17], vcc
	s_cbranch_execz .LBB774_1154
; %bb.1149:                             ;   in Loop: Header=BB774_794 Depth=1
	v_lshrrev_b32_e32 v8, 24, v6
	v_cmp_ne_u32_e32 vcc, s23, v8
	v_mov_b32_e32 v15, 0xffff8000
	s_and_saveexec_b64 s[18:19], vcc
	s_cbranch_execz .LBB774_1153
; %bb.1150:                             ;   in Loop: Header=BB774_794 Depth=1
	v_bfe_u32 v6, v6, 24, 7
	v_cmp_ne_u32_e32 vcc, s25, v6
	v_mov_b32_e32 v15, 0x7f80
	s_and_saveexec_b64 s[20:21], vcc
	s_cbranch_execz .LBB774_1152
; %bb.1151:                             ;   in Loop: Header=BB774_794 Depth=1
	v_and_b32_e32 v15, 7, v8
	v_ffbh_u32_e32 v16, v15
	v_min_u32_e32 v19, 32, v16
	v_subrev_u32_e32 v16, 28, v19
	v_lshlrev_b64 v[16:17], v16, v[8:9]
	v_lshrrev_b32_e32 v18, 3, v6
	v_sub_u32_e32 v17, 29, v19
	v_and_b32_e32 v16, 7, v16
	v_cmp_gt_u32_e32 vcc, 8, v6
	v_cndmask_b32_e32 v6, v18, v17, vcc
	v_cndmask_b32_e32 v15, v15, v16, vcc
	v_lshlrev_b32_e32 v8, 24, v8
	v_lshlrev_b32_e32 v15, 20, v15
	v_and_b32_e32 v8, 0x80000000, v8
	v_lshl_add_u32 v6, v6, 23, v10
	v_or3_b32 v6, v8, v6, v15
	v_lshrrev_b32_e32 v15, 16, v6
.LBB774_1152:                           ;   in Loop: Header=BB774_794 Depth=1
	s_or_b64 exec, exec, s[20:21]
.LBB774_1153:                           ;   in Loop: Header=BB774_794 Depth=1
	s_or_b64 exec, exec, s[18:19]
.LBB774_1154:                           ;   in Loop: Header=BB774_794 Depth=1
	s_or_b64 exec, exec, s[16:17]
	s_waitcnt vmcnt(0)
	v_cmp_ne_u16_sdwa s[18:19], v4, v9 src0_sel:BYTE_0 src1_sel:DWORD
	s_and_saveexec_b64 s[16:17], s[18:19]
	s_cbranch_execz .LBB774_1160
; %bb.1155:                             ;   in Loop: Header=BB774_794 Depth=1
	v_cmp_ne_u16_sdwa s[20:21], v4, s23 src0_sel:BYTE_0 src1_sel:DWORD
	v_mov_b32_e32 v14, 0xffff8000
	s_and_saveexec_b64 s[18:19], s[20:21]
	s_cbranch_execz .LBB774_1159
; %bb.1156:                             ;   in Loop: Header=BB774_794 Depth=1
	v_and_b32_e32 v6, 0x7f, v4
	v_cmp_ne_u32_e32 vcc, s25, v6
	v_mov_b32_e32 v14, 0x7f80
	s_and_saveexec_b64 s[20:21], vcc
	s_cbranch_execz .LBB774_1158
; %bb.1157:                             ;   in Loop: Header=BB774_794 Depth=1
	v_and_b32_e32 v8, 7, v4
	v_ffbh_u32_e32 v16, v8
	v_min_u32_e32 v18, 32, v16
	v_subrev_u32_e32 v16, 28, v18
	v_lshlrev_b64 v[16:17], v16, v[4:5]
	v_lshrrev_b32_e32 v14, 3, v6
	v_sub_u32_e32 v17, 29, v18
	v_and_b32_e32 v16, 7, v16
	v_cmp_gt_u32_e32 vcc, 8, v6
	v_cndmask_b32_e32 v6, v14, v17, vcc
	v_cndmask_b32_e32 v8, v8, v16, vcc
	v_lshlrev_b32_e32 v14, 24, v4
	v_lshlrev_b32_e32 v8, 20, v8
	v_and_b32_e32 v14, 0x80000000, v14
	v_lshl_add_u32 v6, v6, 23, v10
	v_or3_b32 v6, v14, v6, v8
	v_lshrrev_b32_e32 v14, 16, v6
.LBB774_1158:                           ;   in Loop: Header=BB774_794 Depth=1
	s_or_b64 exec, exec, s[20:21]
.LBB774_1159:                           ;   in Loop: Header=BB774_794 Depth=1
	s_or_b64 exec, exec, s[18:19]
.LBB774_1160:                           ;   in Loop: Header=BB774_794 Depth=1
	s_or_b64 exec, exec, s[16:17]
	v_lshrrev_b16_e32 v6, 8, v4
	v_cmp_ne_u16_e32 vcc, 0, v6
	v_mov_b32_e32 v16, 0
	v_mov_b32_e32 v8, 0
	s_and_saveexec_b64 s[16:17], vcc
	s_cbranch_execz .LBB774_1166
; %bb.1161:                             ;   in Loop: Header=BB774_794 Depth=1
	v_cmp_ne_u16_e32 vcc, s23, v6
	v_mov_b32_e32 v8, 0xffff8000
	s_and_saveexec_b64 s[18:19], vcc
	s_cbranch_execz .LBB774_1165
; %bb.1162:                             ;   in Loop: Header=BB774_794 Depth=1
	v_and_b32_e32 v17, 0x7f, v6
	v_cmp_ne_u32_e32 vcc, s25, v17
	v_mov_b32_e32 v8, 0x7f80
	s_and_saveexec_b64 s[20:21], vcc
	s_cbranch_execz .LBB774_1164
; %bb.1163:                             ;   in Loop: Header=BB774_794 Depth=1
	v_and_b32_e32 v8, 7, v6
	v_ffbh_u32_e32 v18, v8
	v_min_u32_e32 v21, 32, v18
	v_subrev_u32_e32 v18, 28, v21
	v_lshlrev_b64 v[18:19], v18, v[6:7]
	v_lshrrev_b32_e32 v20, 3, v17
	v_sub_u32_e32 v6, 29, v21
	v_and_b32_e32 v18, 7, v18
	v_cmp_gt_u32_e32 vcc, 8, v17
	v_cndmask_b32_e32 v6, v20, v6, vcc
	v_cndmask_b32_e32 v8, v8, v18, vcc
	v_lshlrev_b32_e32 v17, 16, v4
	v_lshlrev_b32_e32 v8, 20, v8
	v_and_b32_e32 v17, 0x80000000, v17
	v_lshl_add_u32 v6, v6, 23, v10
	v_or3_b32 v6, v17, v6, v8
	v_lshrrev_b32_e32 v8, 16, v6
.LBB774_1164:                           ;   in Loop: Header=BB774_794 Depth=1
	s_or_b64 exec, exec, s[20:21]
.LBB774_1165:                           ;   in Loop: Header=BB774_794 Depth=1
	s_or_b64 exec, exec, s[18:19]
.LBB774_1166:                           ;   in Loop: Header=BB774_794 Depth=1
	s_or_b64 exec, exec, s[16:17]
	v_lshrrev_b32_e32 v6, 16, v4
	v_cmp_ne_u16_sdwa s[18:19], v6, v9 src0_sel:BYTE_0 src1_sel:DWORD
	s_and_saveexec_b64 s[16:17], s[18:19]
	s_cbranch_execz .LBB774_1172
; %bb.1167:                             ;   in Loop: Header=BB774_794 Depth=1
	v_cmp_ne_u16_sdwa s[20:21], v6, s23 src0_sel:BYTE_0 src1_sel:DWORD
	v_mov_b32_e32 v16, 0xffff8000
	s_and_saveexec_b64 s[18:19], s[20:21]
	s_cbranch_execz .LBB774_1171
; %bb.1168:                             ;   in Loop: Header=BB774_794 Depth=1
	v_bfe_u32 v17, v4, 16, 7
	v_cmp_ne_u32_e32 vcc, s25, v17
	v_mov_b32_e32 v16, 0x7f80
	s_and_saveexec_b64 s[20:21], vcc
	s_cbranch_execz .LBB774_1170
; %bb.1169:                             ;   in Loop: Header=BB774_794 Depth=1
	v_and_b32_e32 v16, 7, v6
	v_ffbh_u32_e32 v18, v16
	v_min_u32_e32 v21, 32, v18
	v_subrev_u32_e32 v18, 28, v21
	v_lshlrev_b64 v[18:19], v18, v[6:7]
	v_lshrrev_b32_e32 v20, 3, v17
	v_sub_u32_e32 v19, 29, v21
	v_and_b32_e32 v18, 7, v18
	v_cmp_gt_u32_e32 vcc, 8, v17
	v_cndmask_b32_e32 v17, v20, v19, vcc
	v_cndmask_b32_e32 v16, v16, v18, vcc
	v_lshlrev_b32_e32 v6, 24, v6
	v_lshlrev_b32_e32 v16, 20, v16
	v_and_b32_e32 v6, 0x80000000, v6
	v_lshl_add_u32 v17, v17, 23, v10
	v_or3_b32 v6, v6, v17, v16
	v_lshrrev_b32_e32 v16, 16, v6
.LBB774_1170:                           ;   in Loop: Header=BB774_794 Depth=1
	s_or_b64 exec, exec, s[20:21]
.LBB774_1171:                           ;   in Loop: Header=BB774_794 Depth=1
	s_or_b64 exec, exec, s[18:19]
.LBB774_1172:                           ;   in Loop: Header=BB774_794 Depth=1
	s_or_b64 exec, exec, s[16:17]
	v_cmp_lt_u32_e32 vcc, s26, v4
	v_mov_b32_e32 v17, 0
	s_and_saveexec_b64 s[16:17], vcc
	s_cbranch_execz .LBB774_793
; %bb.1173:                             ;   in Loop: Header=BB774_794 Depth=1
	v_lshrrev_b32_e32 v6, 24, v4
	v_cmp_ne_u32_e32 vcc, s23, v6
	v_mov_b32_e32 v17, 0xffff8000
	s_and_saveexec_b64 s[18:19], vcc
	s_cbranch_execz .LBB774_792
; %bb.1174:                             ;   in Loop: Header=BB774_794 Depth=1
	v_bfe_u32 v4, v4, 24, 7
	v_cmp_ne_u32_e32 vcc, s25, v4
	v_mov_b32_e32 v17, 0x7f80
	s_and_saveexec_b64 s[20:21], vcc
	s_cbranch_execz .LBB774_791
; %bb.1175:                             ;   in Loop: Header=BB774_794 Depth=1
	v_and_b32_e32 v17, 7, v6
	v_ffbh_u32_e32 v18, v17
	v_min_u32_e32 v21, 32, v18
	v_subrev_u32_e32 v18, 28, v21
	v_lshlrev_b64 v[18:19], v18, v[6:7]
	v_lshrrev_b32_e32 v20, 3, v4
	v_sub_u32_e32 v19, 29, v21
	v_and_b32_e32 v18, 7, v18
	v_cmp_gt_u32_e32 vcc, 8, v4
	v_cndmask_b32_e32 v4, v20, v19, vcc
	v_cndmask_b32_e32 v17, v17, v18, vcc
	v_lshlrev_b32_e32 v6, 24, v6
	v_lshlrev_b32_e32 v17, 20, v17
	v_and_b32_e32 v6, 0x80000000, v6
	v_lshl_add_u32 v4, v4, 23, v10
	v_or3_b32 v4, v6, v4, v17
	v_lshrrev_b32_e32 v17, 16, v4
	s_branch .LBB774_791
.LBB774_1176:
	s_or_b64 exec, exec, s[6:7]
	v_cmp_gt_u32_e32 vcc, 64, v0
	s_waitcnt lgkmcnt(0)
	s_barrier
	s_and_saveexec_b64 s[6:7], vcc
	s_cbranch_execz .LBB774_1178
; %bb.1177:
	v_mov_b32_e32 v2, 0xa00
	v_mad_u32_u24 v2, v1, 40, v2
	ds_read2_b64 v[2:5], v2 offset1:1
	s_waitcnt lgkmcnt(0)
	v_mov_b32_e32 v3, 0xa10
	v_mul_u32_u24_e32 v10, 40, v1
	v_mad_u32_u24 v1, v1, 40, v3
	ds_read2_b64 v[6:9], v1 offset1:1
	v_lshlrev_b32_e32 v1, 16, v2
	v_add_f32_e32 v1, 0, v1
	v_and_b32_e32 v1, 0xffff0000, v1
	v_lshlrev_b32_e32 v2, 16, v4
	v_add_f32_e32 v1, v1, v2
	s_mov_b32 s5, 0
	v_and_b32_e32 v1, 0xffff0000, v1
	s_waitcnt lgkmcnt(0)
	v_lshlrev_b32_e32 v2, 16, v6
	s_lshl_b32 s4, s4, 7
	v_add_f32_e32 v1, v1, v2
	s_lshl_b64 s[6:7], s[4:5], 1
	v_and_b32_e32 v1, 0xffff0000, v1
	v_lshlrev_b32_e32 v2, 16, v8
	s_add_u32 s6, s30, s6
	s_mul_i32 s10, s10, s11
	v_add_f32_e32 v11, v1, v2
	s_addc_u32 s7, s31, s7
	s_lshl_b32 s4, s28, 7
	v_lshl_or_b32 v0, s10, 7, v0
	v_mov_b32_e32 v1, 0
	s_lshl_b64 s[4:5], s[4:5], 1
	v_lshlrev_b64 v[4:5], 1, v[0:1]
	ds_read2_b64 v[0:3], v10 offset1:1
	s_add_u32 s4, s6, s4
	s_addc_u32 s5, s7, s5
	v_mov_b32_e32 v6, s5
	v_add_co_u32_e32 v8, vcc, s4, v4
	v_addc_co_u32_e32 v9, vcc, v6, v5, vcc
	ds_read2_b64 v[4:7], v10 offset0:2 offset1:3
	s_waitcnt lgkmcnt(1)
	v_lshlrev_b32_e32 v0, 16, v0
	v_add_f32_e32 v0, 0, v0
	v_and_b32_e32 v0, 0xffff0000, v0
	v_lshlrev_b32_e32 v1, 16, v2
	v_add_f32_e32 v0, v0, v1
	v_and_b32_e32 v0, 0xffff0000, v0
	s_waitcnt lgkmcnt(0)
	v_lshlrev_b32_e32 v1, 16, v4
	v_add_f32_e32 v0, v0, v1
	v_and_b32_e32 v0, 0xffff0000, v0
	v_lshlrev_b32_e32 v1, 16, v6
	v_add_f32_e32 v0, v0, v1
	global_store_short_d16_hi v[8:9], v0, off
	global_store_short_d16_hi v[8:9], v11, off offset:128
.LBB774_1178:
	s_endpgm
	.section	.rodata,"a",@progbits
	.p2align	6, 0x0
	.amdhsa_kernel _Z38paged_attention_ll4mi_QKV_mfma4_kernelI14__hip_bfloat16hLN4vllm18Fp8KVCacheDataTypeE1ES0_Li16ELi128ELi256ELb0ELi1EEvPKT_PKT0_S8_ifPKiSA_SA_iPKfiiiPfSD_PS3_PT2_iSC_SC_
		.amdhsa_group_segment_fixed_size 5280
		.amdhsa_private_segment_fixed_size 144
		.amdhsa_kernarg_size 400
		.amdhsa_user_sgpr_count 8
		.amdhsa_user_sgpr_private_segment_buffer 1
		.amdhsa_user_sgpr_dispatch_ptr 0
		.amdhsa_user_sgpr_queue_ptr 0
		.amdhsa_user_sgpr_kernarg_segment_ptr 1
		.amdhsa_user_sgpr_dispatch_id 0
		.amdhsa_user_sgpr_flat_scratch_init 1
		.amdhsa_user_sgpr_kernarg_preload_length 0
		.amdhsa_user_sgpr_kernarg_preload_offset 0
		.amdhsa_user_sgpr_private_segment_size 0
		.amdhsa_uses_dynamic_stack 0
		.amdhsa_system_sgpr_private_segment_wavefront_offset 1
		.amdhsa_system_sgpr_workgroup_id_x 1
		.amdhsa_system_sgpr_workgroup_id_y 1
		.amdhsa_system_sgpr_workgroup_id_z 1
		.amdhsa_system_sgpr_workgroup_info 0
		.amdhsa_system_vgpr_workitem_id 0
		.amdhsa_next_free_vgpr 72
		.amdhsa_next_free_sgpr 46
		.amdhsa_accum_offset 68
		.amdhsa_reserve_vcc 1
		.amdhsa_reserve_flat_scratch 0
		.amdhsa_float_round_mode_32 0
		.amdhsa_float_round_mode_16_64 0
		.amdhsa_float_denorm_mode_32 3
		.amdhsa_float_denorm_mode_16_64 3
		.amdhsa_dx10_clamp 1
		.amdhsa_ieee_mode 1
		.amdhsa_fp16_overflow 0
		.amdhsa_tg_split 0
		.amdhsa_exception_fp_ieee_invalid_op 0
		.amdhsa_exception_fp_denorm_src 0
		.amdhsa_exception_fp_ieee_div_zero 0
		.amdhsa_exception_fp_ieee_overflow 0
		.amdhsa_exception_fp_ieee_underflow 0
		.amdhsa_exception_fp_ieee_inexact 0
		.amdhsa_exception_int_div_zero 0
	.end_amdhsa_kernel
	.section	.text._Z38paged_attention_ll4mi_QKV_mfma4_kernelI14__hip_bfloat16hLN4vllm18Fp8KVCacheDataTypeE1ES0_Li16ELi128ELi256ELb0ELi1EEvPKT_PKT0_S8_ifPKiSA_SA_iPKfiiiPfSD_PS3_PT2_iSC_SC_,"axG",@progbits,_Z38paged_attention_ll4mi_QKV_mfma4_kernelI14__hip_bfloat16hLN4vllm18Fp8KVCacheDataTypeE1ES0_Li16ELi128ELi256ELb0ELi1EEvPKT_PKT0_S8_ifPKiSA_SA_iPKfiiiPfSD_PS3_PT2_iSC_SC_,comdat
.Lfunc_end774:
	.size	_Z38paged_attention_ll4mi_QKV_mfma4_kernelI14__hip_bfloat16hLN4vllm18Fp8KVCacheDataTypeE1ES0_Li16ELi128ELi256ELb0ELi1EEvPKT_PKT0_S8_ifPKiSA_SA_iPKfiiiPfSD_PS3_PT2_iSC_SC_, .Lfunc_end774-_Z38paged_attention_ll4mi_QKV_mfma4_kernelI14__hip_bfloat16hLN4vllm18Fp8KVCacheDataTypeE1ES0_Li16ELi128ELi256ELb0ELi1EEvPKT_PKT0_S8_ifPKiSA_SA_iPKfiiiPfSD_PS3_PT2_iSC_SC_
                                        ; -- End function
	.section	.AMDGPU.csdata,"",@progbits
; Kernel info:
; codeLenInByte = 42356
; NumSgprs: 50
; NumVgprs: 66
; NumAgprs: 4
; TotalNumVgprs: 72
; ScratchSize: 144
; MemoryBound: 0
; FloatMode: 240
; IeeeMode: 1
; LDSByteSize: 5280 bytes/workgroup (compile time only)
; SGPRBlocks: 6
; VGPRBlocks: 8
; NumSGPRsForWavesPerEU: 50
; NumVGPRsForWavesPerEU: 72
; AccumOffset: 68
; Occupancy: 7
; WaveLimiterHint : 1
; COMPUTE_PGM_RSRC2:SCRATCH_EN: 1
; COMPUTE_PGM_RSRC2:USER_SGPR: 8
; COMPUTE_PGM_RSRC2:TRAP_HANDLER: 0
; COMPUTE_PGM_RSRC2:TGID_X_EN: 1
; COMPUTE_PGM_RSRC2:TGID_Y_EN: 1
; COMPUTE_PGM_RSRC2:TGID_Z_EN: 1
; COMPUTE_PGM_RSRC2:TIDIG_COMP_CNT: 0
; COMPUTE_PGM_RSRC3_GFX90A:ACCUM_OFFSET: 16
; COMPUTE_PGM_RSRC3_GFX90A:TG_SPLIT: 0
	.section	.text._Z38paged_attention_ll4mi_QKV_mfma4_kernelI14__hip_bfloat16hLN4vllm18Fp8KVCacheDataTypeE1ES0_Li16ELi128ELi256ELb0ELi2EEvPKT_PKT0_S8_ifPKiSA_SA_iPKfiiiPfSD_PS3_PT2_iSC_SC_,"axG",@progbits,_Z38paged_attention_ll4mi_QKV_mfma4_kernelI14__hip_bfloat16hLN4vllm18Fp8KVCacheDataTypeE1ES0_Li16ELi128ELi256ELb0ELi2EEvPKT_PKT0_S8_ifPKiSA_SA_iPKfiiiPfSD_PS3_PT2_iSC_SC_,comdat
	.protected	_Z38paged_attention_ll4mi_QKV_mfma4_kernelI14__hip_bfloat16hLN4vllm18Fp8KVCacheDataTypeE1ES0_Li16ELi128ELi256ELb0ELi2EEvPKT_PKT0_S8_ifPKiSA_SA_iPKfiiiPfSD_PS3_PT2_iSC_SC_ ; -- Begin function _Z38paged_attention_ll4mi_QKV_mfma4_kernelI14__hip_bfloat16hLN4vllm18Fp8KVCacheDataTypeE1ES0_Li16ELi128ELi256ELb0ELi2EEvPKT_PKT0_S8_ifPKiSA_SA_iPKfiiiPfSD_PS3_PT2_iSC_SC_
	.globl	_Z38paged_attention_ll4mi_QKV_mfma4_kernelI14__hip_bfloat16hLN4vllm18Fp8KVCacheDataTypeE1ES0_Li16ELi128ELi256ELb0ELi2EEvPKT_PKT0_S8_ifPKiSA_SA_iPKfiiiPfSD_PS3_PT2_iSC_SC_
	.p2align	8
	.type	_Z38paged_attention_ll4mi_QKV_mfma4_kernelI14__hip_bfloat16hLN4vllm18Fp8KVCacheDataTypeE1ES0_Li16ELi128ELi256ELb0ELi2EEvPKT_PKT0_S8_ifPKiSA_SA_iPKfiiiPfSD_PS3_PT2_iSC_SC_,@function
_Z38paged_attention_ll4mi_QKV_mfma4_kernelI14__hip_bfloat16hLN4vllm18Fp8KVCacheDataTypeE1ES0_Li16ELi128ELi256ELb0ELi2EEvPKT_PKT0_S8_ifPKiSA_SA_iPKfiiiPfSD_PS3_PT2_iSC_SC_: ; @_Z38paged_attention_ll4mi_QKV_mfma4_kernelI14__hip_bfloat16hLN4vllm18Fp8KVCacheDataTypeE1ES0_Li16ELi128ELi256ELb0ELi2EEvPKT_PKT0_S8_ifPKiSA_SA_iPKfiiiPfSD_PS3_PT2_iSC_SC_
; %bb.0:
	s_load_dwordx2 s[12:13], s[4:5], 0x30
	s_add_u32 s0, s0, s11
	s_addc_u32 s1, s1, 0
	s_mov_b32 s28, s9
	s_mov_b64 s[6:7], 0
	s_waitcnt lgkmcnt(0)
	s_cmp_lg_u64 s[12:13], 0
	s_cselect_b64 s[14:15], -1, 0
	s_and_b64 vcc, exec, s[14:15]
	s_cbranch_vccz .LBB775_10
; %bb.1:
	s_add_i32 s16, s8, 1
	s_mov_b32 s17, 0
	s_lshl_b64 s[18:19], s[16:17], 2
	s_add_u32 s18, s12, s18
	s_mov_b32 s9, s17
	s_addc_u32 s19, s13, s19
	s_lshl_b64 s[16:17], s[8:9], 2
	s_add_u32 s16, s12, s16
	s_addc_u32 s17, s13, s17
	s_load_dword s11, s[18:19], 0x0
	s_load_dword s20, s[16:17], 0x0
	s_waitcnt lgkmcnt(0)
	s_sub_i32 s11, s11, s20
	s_cmp_eq_u32 s11, 1
	s_cselect_b64 s[16:17], -1, 0
	s_andn2_b64 vcc, exec, s[6:7]
	s_cbranch_vccnz .LBB775_3
.LBB775_2:
	s_mov_b32 s9, 0
	s_mov_b64 s[16:17], -1
.LBB775_3:
	s_andn2_b64 vcc, exec, s[16:17]
	s_cbranch_vccnz .LBB775_1178
; %bb.4:
	s_load_dword s11, s[4:5], 0x9c
	s_load_dwordx2 s[6:7], s[4:5], 0x28
	s_add_u32 s34, s4, 0x90
	s_addc_u32 s35, s5, 0
	s_lshl_b64 s[38:39], s[8:9], 2
	s_waitcnt lgkmcnt(0)
	s_and_b32 s11, s11, 0xffff
	s_add_u32 s6, s6, s38
	s_addc_u32 s7, s7, s39
	s_load_dword s9, s[6:7], 0x0
	s_mul_i32 s11, s28, s11
	s_waitcnt lgkmcnt(0)
	s_cmp_ge_i32 s11, s9
	s_cbranch_scc1 .LBB775_1178
; %bb.5:
	v_and_b32_e32 v1, 0xc0, v0
	v_add_u32_e32 v7, s11, v1
	v_lshrrev_b32_e32 v42, 6, v0
	v_cmp_le_i32_e64 s[6:7], s9, v7
                                        ; implicit-def: $sgpr25
                                        ; implicit-def: $sgpr24
	s_and_saveexec_b64 s[16:17], s[6:7]
	s_xor_b64 s[16:17], exec, s[16:17]
	s_cbranch_execz .LBB775_7
; %bb.6:
	v_mul_u32_u24_e32 v1, 20, v42
	v_or_b32_e32 v1, 0x1400, v1
	v_mov_b32_e32 v2, 0x1450
	v_mov_b32_e32 v3, 0xff7fffff
	v_mad_u32_u24 v2, v42, 20, v2
	ds_write2_b32 v1, v3, v3 offset1:1
	v_mov_b32_e32 v1, 0
	ds_write2_b32 v2, v1, v1 offset1:1
	v_mov_b32_e32 v2, 0x1408
	s_mov_b32 s24, 0xff7fffff
	s_mov_b32 s25, 0
	v_mad_u32_u24 v2, v42, 20, v2
	v_mov_b32_e32 v4, 0x1458
	v_mad_u32_u24 v4, v42, 20, v4
	ds_write2_b32 v2, v3, v3 offset1:1
	ds_write2_b32 v4, v1, v1 offset1:1
                                        ; implicit-def: $vgpr7
.LBB775_7:
	s_or_saveexec_b64 s[36:37], s[16:17]
	s_load_dwordx2 s[30:31], s[4:5], 0x68
	s_load_dwordx4 s[20:23], s[4:5], 0x58
	s_load_dword s33, s[34:35], 0x4
	s_load_dwordx4 s[16:19], s[4:5], 0x80
	v_and_b32_e32 v1, 63, v0
	v_and_b32_e32 v43, 3, v0
	v_mov_b32_e32 v5, s25
	v_mov_b32_e32 v6, s24
	;; [unrolled: 1-line block ×5, first 2 shown]
	s_xor_b64 exec, exec, s[36:37]
	s_cbranch_execz .LBB775_785
; %bb.8:
	s_add_i32 s27, s9, 15
	s_load_dwordx2 s[24:25], s[4:5], 0x20
	s_load_dword s26, s[4:5], 0x38
	s_ashr_i32 s29, s27, 31
	s_lshr_b32 s29, s29, 28
	v_add_u32_e32 v44, s11, v0
	s_add_i32 s27, s27, s29
	v_ashrrev_i32_e32 v2, 31, v44
	s_ashr_i32 s27, s27, 4
	v_lshrrev_b32_e32 v2, 28, v2
	s_add_i32 s29, s27, -1
	v_add_u32_e32 v2, v44, v2
	s_waitcnt lgkmcnt(0)
	s_mul_i32 s26, s8, s26
	s_mov_b32 s27, 0
	v_ashrrev_i32_e32 v2, 4, v2
	v_mov_b32_e32 v3, s29
	v_cmp_gt_i32_e32 vcc, s9, v44
	s_lshl_b64 s[26:27], s[26:27], 2
	v_cndmask_b32_e32 v2, v3, v2, vcc
	s_add_u32 s24, s24, s26
	v_ashrrev_i32_e32 v3, 31, v2
	s_addc_u32 s25, s25, s27
	v_lshlrev_b64 v[2:3], 2, v[2:3]
	v_mov_b32_e32 v4, s25
	v_add_co_u32_e32 v2, vcc, s24, v2
	v_addc_co_u32_e32 v3, vcc, v4, v3, vcc
	v_ashrrev_i32_e32 v4, 31, v7
	v_lshrrev_b32_e32 v4, 28, v4
	v_add_u32_e32 v4, v7, v4
	v_ashrrev_i32_e32 v8, 4, v4
	v_min_i32_e32 v4, s29, v8
	v_ashrrev_i32_e32 v5, 31, v4
	v_lshlrev_b64 v[4:5], 2, v[4:5]
	v_mov_b32_e32 v6, s25
	v_add_co_u32_e32 v4, vcc, s24, v4
	v_addc_co_u32_e32 v5, vcc, v6, v5, vcc
	v_add_u32_e32 v6, 1, v8
	v_min_i32_e32 v6, s29, v6
	v_ashrrev_i32_e32 v7, 31, v6
	v_lshlrev_b64 v[6:7], 2, v[6:7]
	v_add_co_u32_e32 v12, vcc, s24, v6
	v_add_u32_e32 v6, 2, v8
	v_mov_b32_e32 v9, s25
	v_min_i32_e32 v6, s29, v6
	v_addc_co_u32_e32 v13, vcc, v9, v7, vcc
	v_ashrrev_i32_e32 v7, 31, v6
	v_lshlrev_b64 v[6:7], 2, v[6:7]
	v_add_co_u32_e32 v14, vcc, s24, v6
	v_add_u32_e32 v6, 3, v8
	v_min_i32_e32 v6, s29, v6
	v_addc_co_u32_e32 v15, vcc, v9, v7, vcc
	v_ashrrev_i32_e32 v7, 31, v6
	v_lshlrev_b64 v[6:7], 2, v[6:7]
	v_mov_b32_e32 v8, s25
	v_add_co_u32_e32 v16, vcc, s24, v6
	v_addc_co_u32_e32 v17, vcc, v8, v7, vcc
	global_load_dword v7, v[2:3], off
	global_load_dword v10, v[4:5], off
	global_load_dword v9, v[12:13], off
	global_load_dword v8, v[14:15], off
	global_load_dword v6, v[16:17], off
	s_load_dwordx4 s[24:27], s[4:5], 0x8
	s_andn2_b64 vcc, exec, s[14:15]
	s_cbranch_vccnz .LBB775_11
; %bb.9:
	s_add_u32 s12, s12, s38
	s_addc_u32 s13, s13, s39
	s_load_dword s11, s[12:13], 0x0
	s_branch .LBB775_12
.LBB775_10:
	s_mov_b64 s[16:17], 0
	s_branch .LBB775_2
.LBB775_11:
	s_mov_b32 s11, s8
.LBB775_12:
	s_load_dwordx4 s[12:15], s[4:5], 0x48
	v_cmp_gt_u32_e32 vcc, 2, v43
	s_mov_b32 s41, 0
	v_mov_b32_e32 v39, 0
	v_mov_b32_e32 v2, 0
	v_mov_b32_e32 v3, 0
	v_mov_b32_e32 v4, 0
	v_mov_b32_e32 v5, 0
	s_and_saveexec_b64 s[38:39], vcc
	s_cbranch_execz .LBB775_14
; %bb.13:
	s_load_dwordx2 s[42:43], s[4:5], 0x0
	s_waitcnt lgkmcnt(0)
	s_ashr_i32 s15, s12, 31
	s_mul_hi_u32 s29, s11, s12
	s_mul_i32 s15, s11, s15
	s_add_i32 s45, s29, s15
	s_mul_i32 s44, s11, s12
	s_lshl_b64 s[44:45], s[44:45], 1
	s_add_u32 s11, s42, s44
	s_addc_u32 s12, s43, s45
	s_lshl_b32 s40, s10, 8
	s_lshl_b64 s[40:41], s[40:41], 1
	v_lshlrev_b32_e32 v2, 2, v1
	s_add_u32 s40, s11, s40
	v_and_b32_e32 v2, 0xf0, v2
	s_addc_u32 s41, s12, s41
	v_lshl_or_b32 v2, v43, 8, v2
	global_load_dwordx4 v[2:5], v2, s[40:41]
.LBB775_14:
	s_or_b64 exec, exec, s[38:39]
	s_waitcnt lgkmcnt(0)
	s_mul_i32 s11, s10, s14
	s_waitcnt vmcnt(3)
	v_mul_hi_i32 v11, v10, s13
	s_add_u32 s14, s11, s24
	v_ashrrev_i32_e32 v11, 31, v11
	s_addc_u32 s15, 0, s25
	v_lshrrev_b32_e32 v38, 29, v11
	s_add_u32 s11, s26, s11
	v_mad_i64_i32 v[10:11], s[24:25], v10, s13, v[38:39]
	s_addc_u32 s12, s27, 0
	v_and_b32_e32 v10, -8, v10
	v_mov_b32_e32 v12, s12
	v_add_co_u32_e32 v10, vcc, s11, v10
	v_addc_co_u32_e32 v11, vcc, v12, v11, vcc
	v_lshlrev_b32_e32 v45, 4, v1
	v_add_co_u32_e32 v14, vcc, v10, v45
	v_addc_co_u32_e32 v15, vcc, 0, v11, vcc
	global_load_dwordx4 v[10:13], v[14:15], off
	global_load_dwordx4 v[46:49], v[14:15], off offset:1024
	s_waitcnt vmcnt(4)
	v_mul_hi_i32 v14, v9, s13
	v_ashrrev_i32_e32 v14, 31, v14
	v_lshrrev_b32_e32 v38, 29, v14
	v_mad_i64_i32 v[14:15], s[24:25], v9, s13, v[38:39]
	v_and_b32_e32 v9, -8, v14
	v_mov_b32_e32 v14, s12
	v_add_co_u32_e32 v9, vcc, s11, v9
	v_addc_co_u32_e32 v15, vcc, v14, v15, vcc
	v_add_co_u32_e32 v14, vcc, v9, v45
	v_addc_co_u32_e32 v15, vcc, 0, v15, vcc
	global_load_dwordx4 v[50:53], v[14:15], off
	global_load_dwordx4 v[54:57], v[14:15], off offset:1024
	s_waitcnt vmcnt(5)
	v_mul_hi_i32 v14, v8, s13
	s_waitcnt vmcnt(4)
	v_mul_hi_i32 v15, v6, s13
	v_lshlrev_b32_e32 v9, 4, v0
	v_ashrrev_i32_e32 v16, 31, v14
	v_ashrrev_i32_e32 v17, 31, v15
	v_pk_mov_b32 v[14:15], s[14:15], s[14:15] op_sel:[0,1]
	v_and_b32_e32 v9, 0xf0, v9
	v_mad_i64_i32 v[14:15], s[14:15], v7, s13, v[14:15]
	v_lshrrev_b32_e32 v38, 29, v16
	v_add_co_u32_e32 v40, vcc, v14, v9
	v_mad_i64_i32 v[8:9], s[14:15], v8, s13, v[38:39]
	v_addc_co_u32_e32 v41, vcc, 0, v15, vcc
	v_and_b32_e32 v8, -8, v8
	v_mov_b32_e32 v14, s12
	v_add_co_u32_e32 v8, vcc, s11, v8
	v_lshrrev_b32_e32 v38, 29, v17
	v_addc_co_u32_e32 v9, vcc, v14, v9, vcc
	v_mov_b32_e32 v58, s12
	v_mad_i64_i32 v[6:7], s[12:13], v6, s13, v[38:39]
	v_add_co_u32_e32 v8, vcc, v8, v45
	v_addc_co_u32_e32 v9, vcc, 0, v9, vcc
	v_and_b32_e32 v6, -8, v6
	v_add_co_u32_e32 v6, vcc, s11, v6
	v_addc_co_u32_e32 v7, vcc, v58, v7, vcc
	global_load_dwordx4 v[34:37], v[40:41], off
	global_load_dwordx4 v[30:33], v[40:41], off offset:256
	global_load_dwordx4 v[26:29], v[40:41], off offset:512
	;; [unrolled: 1-line block ×5, first 2 shown]
	v_add_co_u32_e32 v6, vcc, v6, v45
	v_addc_co_u32_e32 v7, vcc, 0, v7, vcc
	s_waitcnt vmcnt(9)
	buffer_store_dword v11, off, s[0:3], 0 offset:4
	buffer_store_dword v10, off, s[0:3], 0
	buffer_store_dword v13, off, s[0:3], 0 offset:12
	buffer_store_dword v12, off, s[0:3], 0 offset:8
	global_load_dwordx4 v[58:61], v[8:9], off
	global_load_dwordx4 v[62:65], v[8:9], off offset:1024
	s_waitcnt vmcnt(14)
	buffer_store_dword v47, off, s[0:3], 0 offset:68
	buffer_store_dword v46, off, s[0:3], 0 offset:64
	;; [unrolled: 1-line block ×4, first 2 shown]
	global_load_dwordx4 v[46:49], v[6:7], off
	s_waitcnt vmcnt(18)
	buffer_store_dword v51, off, s[0:3], 0 offset:20
	buffer_store_dword v50, off, s[0:3], 0 offset:16
	;; [unrolled: 1-line block ×4, first 2 shown]
	global_load_dwordx4 v[50:53], v[6:7], off offset:1024
	s_waitcnt vmcnt(22)
	buffer_store_dword v55, off, s[0:3], 0 offset:84
	buffer_store_dword v54, off, s[0:3], 0 offset:80
	;; [unrolled: 1-line block ×4, first 2 shown]
	global_load_dwordx4 v[10:13], v[40:41], off offset:1536
	global_load_dwordx4 v[6:9], v[40:41], off offset:1792
	s_waitcnt vmcnt(17)
	buffer_store_dword v59, off, s[0:3], 0 offset:36
	buffer_store_dword v58, off, s[0:3], 0 offset:32
	buffer_store_dword v61, off, s[0:3], 0 offset:44
	buffer_store_dword v60, off, s[0:3], 0 offset:40
	s_waitcnt vmcnt(20)
	buffer_store_dword v63, off, s[0:3], 0 offset:100
	buffer_store_dword v62, off, s[0:3], 0 offset:96
	buffer_store_dword v65, off, s[0:3], 0 offset:108
	buffer_store_dword v64, off, s[0:3], 0 offset:104
	s_waitcnt vmcnt(19)
	buffer_store_dword v47, off, s[0:3], 0 offset:52
	buffer_store_dword v46, off, s[0:3], 0 offset:48
	buffer_store_dword v49, off, s[0:3], 0 offset:60
	buffer_store_dword v48, off, s[0:3], 0 offset:56
	s_waitcnt vmcnt(18)
	buffer_store_dword v51, off, s[0:3], 0 offset:116
	buffer_store_dword v50, off, s[0:3], 0 offset:112
	buffer_store_dword v53, off, s[0:3], 0 offset:124
	buffer_store_dword v52, off, s[0:3], 0 offset:120
	v_cmp_ne_u16_sdwa s[14:15], v34, v39 src0_sel:BYTE_0 src1_sel:DWORD
	s_and_saveexec_b64 s[12:13], s[14:15]
	s_cbranch_execz .LBB775_20
; %bb.15:
	s_movk_i32 s11, 0x80
	v_cmp_ne_u16_sdwa s[24:25], v34, s11 src0_sel:BYTE_0 src1_sel:DWORD
	v_mov_b32_e32 v39, 0xffff8000
	s_and_saveexec_b64 s[14:15], s[24:25]
	s_cbranch_execz .LBB775_19
; %bb.16:
	s_movk_i32 s11, 0x7f
	v_and_b32_e32 v38, 0x7f, v34
	v_cmp_ne_u32_e32 vcc, s11, v38
	v_mov_b32_e32 v39, 0x7f80
	s_and_saveexec_b64 s[24:25], vcc
	s_cbranch_execz .LBB775_18
; %bb.17:
	v_and_b32_e32 v39, 7, v34
	v_ffbh_u32_e32 v39, v39
	v_min_u32_e32 v39, 32, v39
	v_subrev_u32_e32 v41, 28, v39
	v_cmp_gt_u32_e32 vcc, 8, v38
	v_lshrrev_b32_e32 v40, 3, v38
	v_sub_u32_e32 v39, 29, v39
	v_cndmask_b32_e32 v38, 0, v41, vcc
	v_cndmask_b32_e32 v40, v40, v39, vcc
	v_lshlrev_b64 v[38:39], v38, v[34:35]
	v_lshlrev_b32_e32 v38, 20, v38
	v_lshlrev_b32_e32 v39, 24, v34
	v_bfrev_b32_e32 v41, 60
	v_and_b32_e32 v38, 0x700000, v38
	v_and_b32_e32 v39, 0x80000000, v39
	v_lshl_add_u32 v40, v40, 23, v41
	v_or3_b32 v38, v39, v40, v38
	v_lshrrev_b32_e32 v39, 16, v38
.LBB775_18:
	s_or_b64 exec, exec, s[24:25]
.LBB775_19:
	s_or_b64 exec, exec, s[14:15]
.LBB775_20:
	s_or_b64 exec, exec, s[12:13]
	v_lshrrev_b16_e32 v38, 8, v34
	v_cmp_ne_u16_e32 vcc, 0, v38
	v_mov_b32_e32 v46, 0
	v_mov_b32_e32 v45, 0
	s_and_saveexec_b64 s[12:13], vcc
	s_cbranch_execz .LBB775_26
; %bb.21:
	s_movk_i32 s11, 0x80
	v_cmp_ne_u16_e32 vcc, s11, v38
	v_mov_b32_e32 v45, 0xffff8000
	s_and_saveexec_b64 s[14:15], vcc
	s_cbranch_execz .LBB775_25
; %bb.22:
	s_movk_i32 s11, 0x7f
	v_and_b32_e32 v40, 0x7f, v38
	v_cmp_ne_u32_e32 vcc, s11, v40
	v_mov_b32_e32 v45, 0x7f80
	s_and_saveexec_b64 s[24:25], vcc
	s_cbranch_execz .LBB775_24
; %bb.23:
	v_and_b32_e32 v41, 7, v38
	v_ffbh_u32_e32 v47, v41
	v_min_u32_e32 v47, 32, v47
	v_subrev_u32_e32 v48, 28, v47
	v_lshlrev_b64 v[48:49], v48, v[38:39]
	v_lshrrev_b32_e32 v45, 3, v40
	v_sub_u32_e32 v38, 29, v47
	v_and_b32_e32 v47, 7, v48
	v_cmp_gt_u32_e32 vcc, 8, v40
	v_cndmask_b32_e32 v38, v45, v38, vcc
	v_cndmask_b32_e32 v40, v41, v47, vcc
	v_lshlrev_b32_e32 v41, 16, v34
	v_bfrev_b32_e32 v45, 60
	v_lshlrev_b32_e32 v40, 20, v40
	v_and_b32_e32 v41, 0x80000000, v41
	v_lshl_add_u32 v38, v38, 23, v45
	v_or3_b32 v38, v41, v38, v40
	v_lshrrev_b32_e32 v45, 16, v38
.LBB775_24:
	s_or_b64 exec, exec, s[24:25]
.LBB775_25:
	s_or_b64 exec, exec, s[14:15]
.LBB775_26:
	s_or_b64 exec, exec, s[12:13]
	s_movk_i32 s11, 0xff
	v_and_b32_sdwa v40, v34, s11 dst_sel:DWORD dst_unused:UNUSED_PAD src0_sel:WORD_1 src1_sel:DWORD
	v_lshrrev_b32_e32 v38, 16, v34
	v_cmp_ne_u16_e32 vcc, 0, v40
	s_and_saveexec_b64 s[12:13], vcc
	s_cbranch_execz .LBB775_32
; %bb.27:
	s_movk_i32 s11, 0x80
	v_cmp_ne_u16_e32 vcc, s11, v40
	v_mov_b32_e32 v46, 0xffff8000
	s_and_saveexec_b64 s[14:15], vcc
	s_cbranch_execz .LBB775_31
; %bb.28:
	v_bfe_u32 v40, v34, 16, 7
	s_movk_i32 s11, 0x7f
	v_cmp_ne_u32_e32 vcc, s11, v40
	v_mov_b32_e32 v46, 0x7f80
	s_and_saveexec_b64 s[24:25], vcc
	s_cbranch_execz .LBB775_30
; %bb.29:
	v_and_b32_e32 v41, 7, v38
	v_ffbh_u32_e32 v46, v41
	v_min_u32_e32 v49, 32, v46
	v_subrev_u32_e32 v46, 28, v49
	v_lshlrev_b64 v[46:47], v46, v[38:39]
	v_and_b32_e32 v46, 7, v46
	v_cmp_gt_u32_e32 vcc, 8, v40
	v_lshrrev_b32_e32 v48, 3, v40
	v_sub_u32_e32 v38, 29, v49
	v_cndmask_b32_e32 v40, v41, v46, vcc
	v_mov_b32_e32 v41, 24
	v_cndmask_b32_e32 v38, v48, v38, vcc
	v_lshlrev_b32_sdwa v41, v41, v34 dst_sel:DWORD dst_unused:UNUSED_PAD src0_sel:DWORD src1_sel:WORD_1
	v_bfrev_b32_e32 v46, 60
	v_lshlrev_b32_e32 v40, 20, v40
	v_and_b32_e32 v41, 0x80000000, v41
	v_lshl_add_u32 v38, v38, 23, v46
	v_or3_b32 v38, v41, v38, v40
	v_lshrrev_b32_e32 v46, 16, v38
.LBB775_30:
	s_or_b64 exec, exec, s[24:25]
.LBB775_31:
	s_or_b64 exec, exec, s[14:15]
.LBB775_32:
	s_or_b64 exec, exec, s[12:13]
	s_mov_b32 s11, 0xffffff
	v_cmp_lt_u32_e32 vcc, s11, v34
	v_mov_b32_e32 v41, 0
	v_mov_b32_e32 v47, 0
	s_and_saveexec_b64 s[12:13], vcc
	s_cbranch_execz .LBB775_38
; %bb.33:
	v_lshrrev_b32_e32 v38, 24, v34
	s_movk_i32 s11, 0x80
	v_cmp_ne_u32_e32 vcc, s11, v38
	v_mov_b32_e32 v47, 0xffff8000
	s_and_saveexec_b64 s[14:15], vcc
	s_cbranch_execz .LBB775_37
; %bb.34:
	v_bfe_u32 v40, v34, 24, 7
	s_movk_i32 s11, 0x7f
	v_cmp_ne_u32_e32 vcc, s11, v40
	v_mov_b32_e32 v47, 0x7f80
	s_and_saveexec_b64 s[24:25], vcc
	s_cbranch_execz .LBB775_36
; %bb.35:
	v_and_b32_e32 v47, 7, v38
	v_ffbh_u32_e32 v48, v47
	v_min_u32_e32 v51, 32, v48
	v_subrev_u32_e32 v48, 28, v51
	v_lshlrev_b64 v[48:49], v48, v[38:39]
	v_lshrrev_b32_e32 v50, 3, v40
	v_sub_u32_e32 v49, 29, v51
	v_and_b32_e32 v48, 7, v48
	v_cmp_gt_u32_e32 vcc, 8, v40
	v_cndmask_b32_e32 v40, v50, v49, vcc
	v_cndmask_b32_e32 v47, v47, v48, vcc
	v_lshlrev_b32_e32 v38, 24, v38
	v_bfrev_b32_e32 v48, 60
	v_lshlrev_b32_e32 v47, 20, v47
	v_and_b32_e32 v38, 0x80000000, v38
	v_lshl_add_u32 v40, v40, 23, v48
	v_or3_b32 v38, v38, v40, v47
	v_lshrrev_b32_e32 v47, 16, v38
.LBB775_36:
	s_or_b64 exec, exec, s[24:25]
.LBB775_37:
	s_or_b64 exec, exec, s[14:15]
.LBB775_38:
	s_or_b64 exec, exec, s[12:13]
	v_mov_b32_e32 v40, v35
	v_cmp_ne_u16_sdwa s[14:15], v35, v41 src0_sel:BYTE_0 src1_sel:DWORD
	s_and_saveexec_b64 s[12:13], s[14:15]
	s_cbranch_execz .LBB775_44
; %bb.39:
	s_movk_i32 s11, 0x80
	v_cmp_ne_u16_sdwa s[24:25], v35, s11 src0_sel:BYTE_0 src1_sel:DWORD
	v_mov_b32_e32 v38, 0xffff8000
	s_and_saveexec_b64 s[14:15], s[24:25]
	s_cbranch_execz .LBB775_43
; %bb.40:
	s_movk_i32 s11, 0x7f
	v_and_b32_e32 v48, 0x7f, v35
	v_cmp_ne_u32_e32 vcc, s11, v48
	v_mov_b32_e32 v38, 0x7f80
	s_and_saveexec_b64 s[24:25], vcc
	s_cbranch_execz .LBB775_42
; %bb.41:
	v_and_b32_e32 v38, 7, v35
	v_ffbh_u32_e32 v38, v38
	v_min_u32_e32 v38, 32, v38
	v_subrev_u32_e32 v50, 28, v38
	v_cmp_gt_u32_e32 vcc, 8, v48
	v_lshrrev_b32_e32 v49, 3, v48
	v_sub_u32_e32 v38, 29, v38
	v_cndmask_b32_e32 v48, 0, v50, vcc
	v_cndmask_b32_e32 v38, v49, v38, vcc
	v_lshlrev_b64 v[48:49], v48, v[40:41]
	v_lshlrev_b32_e32 v41, 20, v48
	v_lshlrev_b32_e32 v48, 24, v40
	v_bfrev_b32_e32 v49, 60
	v_and_b32_e32 v41, 0x700000, v41
	v_and_b32_e32 v48, 0x80000000, v48
	v_lshl_add_u32 v38, v38, 23, v49
	v_or3_b32 v38, v48, v38, v41
	v_lshrrev_b32_e32 v38, 16, v38
.LBB775_42:
	s_or_b64 exec, exec, s[24:25]
.LBB775_43:
	s_or_b64 exec, exec, s[14:15]
	v_mov_b32_e32 v41, v38
.LBB775_44:
	s_or_b64 exec, exec, s[12:13]
	v_lshrrev_b16_e32 v38, 8, v40
	v_cmp_ne_u16_e32 vcc, 0, v38
	v_mov_b32_e32 v49, 0
	v_mov_b32_e32 v48, 0
	s_and_saveexec_b64 s[12:13], vcc
	s_cbranch_execz .LBB775_50
; %bb.45:
	s_movk_i32 s11, 0x80
	v_cmp_ne_u16_e32 vcc, s11, v38
	v_mov_b32_e32 v48, 0xffff8000
	s_and_saveexec_b64 s[14:15], vcc
	s_cbranch_execz .LBB775_49
; %bb.46:
	s_movk_i32 s11, 0x7f
	v_and_b32_e32 v50, 0x7f, v38
	v_cmp_ne_u32_e32 vcc, s11, v50
	v_mov_b32_e32 v48, 0x7f80
	s_and_saveexec_b64 s[24:25], vcc
	s_cbranch_execz .LBB775_48
; %bb.47:
	v_and_b32_e32 v48, 7, v38
	v_ffbh_u32_e32 v52, v48
	v_min_u32_e32 v54, 32, v52
	v_subrev_u32_e32 v52, 28, v54
	v_lshlrev_b64 v[52:53], v52, v[38:39]
	v_lshrrev_b32_e32 v51, 3, v50
	v_sub_u32_e32 v38, 29, v54
	v_and_b32_e32 v52, 7, v52
	v_cmp_gt_u32_e32 vcc, 8, v50
	v_cndmask_b32_e32 v38, v51, v38, vcc
	v_cndmask_b32_e32 v48, v48, v52, vcc
	v_lshlrev_b32_e32 v40, 16, v40
	v_bfrev_b32_e32 v50, 60
	v_lshlrev_b32_e32 v48, 20, v48
	v_and_b32_e32 v40, 0x80000000, v40
	v_lshl_add_u32 v38, v38, 23, v50
	v_or3_b32 v38, v40, v38, v48
	v_lshrrev_b32_e32 v48, 16, v38
.LBB775_48:
	s_or_b64 exec, exec, s[24:25]
.LBB775_49:
	s_or_b64 exec, exec, s[14:15]
.LBB775_50:
	s_or_b64 exec, exec, s[12:13]
	s_movk_i32 s11, 0xff
	v_and_b32_sdwa v40, v35, s11 dst_sel:DWORD dst_unused:UNUSED_PAD src0_sel:WORD_1 src1_sel:DWORD
	v_lshrrev_b32_e32 v38, 16, v35
	v_cmp_ne_u16_e32 vcc, 0, v40
	s_and_saveexec_b64 s[12:13], vcc
	s_cbranch_execz .LBB775_56
; %bb.51:
	s_movk_i32 s11, 0x80
	v_cmp_ne_u16_e32 vcc, s11, v40
	v_mov_b32_e32 v49, 0xffff8000
	s_and_saveexec_b64 s[14:15], vcc
	s_cbranch_execz .LBB775_55
; %bb.52:
	v_bfe_u32 v40, v35, 16, 7
	s_movk_i32 s11, 0x7f
	v_cmp_ne_u32_e32 vcc, s11, v40
	v_mov_b32_e32 v49, 0x7f80
	s_and_saveexec_b64 s[24:25], vcc
	s_cbranch_execz .LBB775_54
; %bb.53:
	v_and_b32_e32 v49, 7, v38
	v_ffbh_u32_e32 v50, v49
	v_min_u32_e32 v53, 32, v50
	v_subrev_u32_e32 v50, 28, v53
	v_lshlrev_b64 v[50:51], v50, v[38:39]
	v_and_b32_e32 v50, 7, v50
	v_cmp_gt_u32_e32 vcc, 8, v40
	v_lshrrev_b32_e32 v52, 3, v40
	v_sub_u32_e32 v38, 29, v53
	v_cndmask_b32_e32 v40, v49, v50, vcc
	v_mov_b32_e32 v49, 24
	v_cndmask_b32_e32 v38, v52, v38, vcc
	v_lshlrev_b32_sdwa v49, v49, v35 dst_sel:DWORD dst_unused:UNUSED_PAD src0_sel:DWORD src1_sel:WORD_1
	v_bfrev_b32_e32 v50, 60
	v_lshlrev_b32_e32 v40, 20, v40
	v_and_b32_e32 v49, 0x80000000, v49
	v_lshl_add_u32 v38, v38, 23, v50
	v_or3_b32 v38, v49, v38, v40
	v_lshrrev_b32_e32 v49, 16, v38
.LBB775_54:
	s_or_b64 exec, exec, s[24:25]
.LBB775_55:
	s_or_b64 exec, exec, s[14:15]
.LBB775_56:
	s_or_b64 exec, exec, s[12:13]
	s_mov_b32 s12, -1
	s_mov_b32 s13, 0xffffff
	v_cmp_lt_u64_e32 vcc, s[12:13], v[34:35]
	v_mov_b32_e32 v40, 0
	v_mov_b32_e32 v38, 0
	s_and_saveexec_b64 s[12:13], vcc
	s_cbranch_execz .LBB775_62
; %bb.57:
	v_lshrrev_b32_e32 v34, 24, v35
	s_movk_i32 s11, 0x80
	v_cmp_ne_u32_e32 vcc, s11, v34
	v_mov_b32_e32 v38, 0xffff8000
	s_and_saveexec_b64 s[14:15], vcc
	s_cbranch_execz .LBB775_61
; %bb.58:
	v_bfe_u32 v35, v35, 24, 7
	s_movk_i32 s11, 0x7f
	v_cmp_ne_u32_e32 vcc, s11, v35
	v_mov_b32_e32 v38, 0x7f80
	s_and_saveexec_b64 s[24:25], vcc
	s_cbranch_execz .LBB775_60
; %bb.59:
	v_and_b32_e32 v38, 7, v34
	v_ffbh_u32_e32 v50, v38
	v_min_u32_e32 v53, 32, v50
	v_subrev_u32_e32 v50, 28, v53
	v_lshlrev_b64 v[50:51], v50, v[34:35]
	v_lshrrev_b32_e32 v52, 3, v35
	v_sub_u32_e32 v51, 29, v53
	v_and_b32_e32 v50, 7, v50
	v_cmp_gt_u32_e32 vcc, 8, v35
	v_cndmask_b32_e32 v35, v52, v51, vcc
	v_cndmask_b32_e32 v38, v38, v50, vcc
	v_lshlrev_b32_e32 v34, 24, v34
	v_bfrev_b32_e32 v50, 60
	v_lshlrev_b32_e32 v38, 20, v38
	v_and_b32_e32 v34, 0x80000000, v34
	v_lshl_add_u32 v35, v35, 23, v50
	v_or3_b32 v34, v34, v35, v38
	v_lshrrev_b32_e32 v38, 16, v34
.LBB775_60:
	s_or_b64 exec, exec, s[24:25]
.LBB775_61:
	s_or_b64 exec, exec, s[14:15]
.LBB775_62:
	s_or_b64 exec, exec, s[12:13]
	s_mov_b32 s11, 0x5040100
	v_perm_b32 v35, v47, v46, s11
	v_perm_b32 v34, v45, v39, s11
	;; [unrolled: 1-line block ×4, first 2 shown]
	v_mfma_f32_4x4x4bf16_1k a[0:3], v[2:3], v[34:35], 0 cbsz:4
	v_cmp_ne_u16_sdwa s[14:15], v36, v40 src0_sel:BYTE_0 src1_sel:DWORD
	v_mfma_f32_4x4x4bf16_1k a[0:3], v[4:5], v[38:39], a[0:3] cbsz:4
	s_and_saveexec_b64 s[12:13], s[14:15]
	s_cbranch_execz .LBB775_68
; %bb.63:
	s_movk_i32 s11, 0x80
	v_cmp_ne_u16_sdwa s[24:25], v36, s11 src0_sel:BYTE_0 src1_sel:DWORD
	v_mov_b32_e32 v40, 0xffff8000
	s_and_saveexec_b64 s[14:15], s[24:25]
	s_cbranch_execz .LBB775_67
; %bb.64:
	s_movk_i32 s11, 0x7f
	v_and_b32_e32 v34, 0x7f, v36
	v_cmp_ne_u32_e32 vcc, s11, v34
	v_mov_b32_e32 v40, 0x7f80
	s_and_saveexec_b64 s[24:25], vcc
	s_cbranch_execz .LBB775_66
; %bb.65:
	v_and_b32_e32 v35, 7, v36
	v_ffbh_u32_e32 v35, v35
	v_min_u32_e32 v35, 32, v35
	v_subrev_u32_e32 v39, 28, v35
	v_cmp_gt_u32_e32 vcc, 8, v34
	v_lshrrev_b32_e32 v38, 3, v34
	v_sub_u32_e32 v35, 29, v35
	v_cndmask_b32_e32 v34, 0, v39, vcc
	v_cndmask_b32_e32 v38, v38, v35, vcc
	v_lshlrev_b64 v[34:35], v34, v[36:37]
	v_lshlrev_b32_e32 v34, 20, v34
	v_lshlrev_b32_e32 v35, 24, v36
	v_bfrev_b32_e32 v39, 60
	v_and_b32_e32 v34, 0x700000, v34
	v_and_b32_e32 v35, 0x80000000, v35
	v_lshl_add_u32 v38, v38, 23, v39
	v_or3_b32 v34, v35, v38, v34
	v_lshrrev_b32_e32 v40, 16, v34
.LBB775_66:
	s_or_b64 exec, exec, s[24:25]
.LBB775_67:
	s_or_b64 exec, exec, s[14:15]
.LBB775_68:
	s_or_b64 exec, exec, s[12:13]
	v_lshrrev_b16_e32 v34, 8, v36
	v_cmp_ne_u16_e32 vcc, 0, v34
	v_mov_b32_e32 v41, 0
	v_mov_b32_e32 v39, 0
	s_and_saveexec_b64 s[12:13], vcc
	s_cbranch_execz .LBB775_74
; %bb.69:
	s_movk_i32 s11, 0x80
	v_cmp_ne_u16_e32 vcc, s11, v34
	v_mov_b32_e32 v39, 0xffff8000
	s_and_saveexec_b64 s[14:15], vcc
	s_cbranch_execz .LBB775_73
; %bb.70:
	s_movk_i32 s11, 0x7f
	v_and_b32_e32 v35, 0x7f, v34
	v_cmp_ne_u32_e32 vcc, s11, v35
	v_mov_b32_e32 v39, 0x7f80
	s_and_saveexec_b64 s[24:25], vcc
	s_cbranch_execz .LBB775_72
; %bb.71:
	v_and_b32_e32 v45, 7, v34
	v_ffbh_u32_e32 v38, v45
	v_min_u32_e32 v47, 32, v38
	v_subrev_u32_e32 v38, 28, v47
	v_lshlrev_b64 v[38:39], v38, v[34:35]
	v_lshrrev_b32_e32 v46, 3, v35
	v_sub_u32_e32 v34, 29, v47
	v_and_b32_e32 v38, 7, v38
	v_cmp_gt_u32_e32 vcc, 8, v35
	v_cndmask_b32_e32 v34, v46, v34, vcc
	v_cndmask_b32_e32 v35, v45, v38, vcc
	v_lshlrev_b32_e32 v38, 16, v36
	v_bfrev_b32_e32 v39, 60
	v_lshlrev_b32_e32 v35, 20, v35
	v_and_b32_e32 v38, 0x80000000, v38
	v_lshl_add_u32 v34, v34, 23, v39
	v_or3_b32 v34, v38, v34, v35
	v_lshrrev_b32_e32 v39, 16, v34
.LBB775_72:
	s_or_b64 exec, exec, s[24:25]
.LBB775_73:
	s_or_b64 exec, exec, s[14:15]
.LBB775_74:
	s_or_b64 exec, exec, s[12:13]
	s_movk_i32 s11, 0xff
	v_and_b32_sdwa v35, v36, s11 dst_sel:DWORD dst_unused:UNUSED_PAD src0_sel:WORD_1 src1_sel:DWORD
	v_lshrrev_b32_e32 v34, 16, v36
	v_cmp_ne_u16_e32 vcc, 0, v35
	s_and_saveexec_b64 s[12:13], vcc
	s_cbranch_execz .LBB775_80
; %bb.75:
	s_movk_i32 s11, 0x80
	v_cmp_ne_u16_e32 vcc, s11, v35
	v_mov_b32_e32 v41, 0xffff8000
	s_and_saveexec_b64 s[14:15], vcc
	s_cbranch_execz .LBB775_79
; %bb.76:
	v_bfe_u32 v35, v36, 16, 7
	s_movk_i32 s11, 0x7f
	v_cmp_ne_u32_e32 vcc, s11, v35
	v_mov_b32_e32 v41, 0x7f80
	s_and_saveexec_b64 s[24:25], vcc
	s_cbranch_execz .LBB775_78
; %bb.77:
	v_and_b32_e32 v38, 7, v34
	v_ffbh_u32_e32 v45, v38
	v_min_u32_e32 v45, 32, v45
	v_subrev_u32_e32 v46, 28, v45
	v_lshlrev_b64 v[46:47], v46, v[34:35]
	v_sub_u32_e32 v34, 29, v45
	v_and_b32_e32 v45, 7, v46
	v_cmp_gt_u32_e32 vcc, 8, v35
	v_lshrrev_b32_e32 v41, 3, v35
	v_cndmask_b32_e32 v35, v38, v45, vcc
	v_mov_b32_e32 v38, 24
	v_cndmask_b32_e32 v34, v41, v34, vcc
	v_lshlrev_b32_sdwa v38, v38, v36 dst_sel:DWORD dst_unused:UNUSED_PAD src0_sel:DWORD src1_sel:WORD_1
	v_bfrev_b32_e32 v41, 60
	v_lshlrev_b32_e32 v35, 20, v35
	v_and_b32_e32 v38, 0x80000000, v38
	v_lshl_add_u32 v34, v34, 23, v41
	v_or3_b32 v34, v38, v34, v35
	v_lshrrev_b32_e32 v41, 16, v34
.LBB775_78:
	s_or_b64 exec, exec, s[24:25]
.LBB775_79:
	s_or_b64 exec, exec, s[14:15]
.LBB775_80:
	s_or_b64 exec, exec, s[12:13]
	s_mov_b32 s11, 0xffffff
	v_cmp_lt_u32_e32 vcc, s11, v36
	v_mov_b32_e32 v35, 0
	v_mov_b32_e32 v45, 0
	s_and_saveexec_b64 s[12:13], vcc
	s_cbranch_execz .LBB775_86
; %bb.81:
	v_lshrrev_b32_e32 v34, 24, v36
	s_movk_i32 s11, 0x80
	v_cmp_ne_u32_e32 vcc, s11, v34
	v_mov_b32_e32 v45, 0xffff8000
	s_and_saveexec_b64 s[14:15], vcc
	s_cbranch_execz .LBB775_85
; %bb.82:
	v_bfe_u32 v38, v36, 24, 7
	s_movk_i32 s11, 0x7f
	v_cmp_ne_u32_e32 vcc, s11, v38
	v_mov_b32_e32 v45, 0x7f80
	s_and_saveexec_b64 s[24:25], vcc
	s_cbranch_execz .LBB775_84
; %bb.83:
	v_and_b32_e32 v45, 7, v34
	v_ffbh_u32_e32 v46, v45
	v_min_u32_e32 v49, 32, v46
	v_subrev_u32_e32 v46, 28, v49
	v_lshlrev_b64 v[46:47], v46, v[34:35]
	v_lshrrev_b32_e32 v48, 3, v38
	v_sub_u32_e32 v47, 29, v49
	v_and_b32_e32 v46, 7, v46
	v_cmp_gt_u32_e32 vcc, 8, v38
	v_cndmask_b32_e32 v38, v48, v47, vcc
	v_cndmask_b32_e32 v45, v45, v46, vcc
	v_lshlrev_b32_e32 v34, 24, v34
	v_bfrev_b32_e32 v46, 60
	v_lshlrev_b32_e32 v45, 20, v45
	v_and_b32_e32 v34, 0x80000000, v34
	v_lshl_add_u32 v38, v38, 23, v46
	v_or3_b32 v34, v34, v38, v45
	v_lshrrev_b32_e32 v45, 16, v34
.LBB775_84:
	s_or_b64 exec, exec, s[24:25]
.LBB775_85:
	s_or_b64 exec, exec, s[14:15]
.LBB775_86:
	s_or_b64 exec, exec, s[12:13]
	v_mov_b32_e32 v34, v37
	v_cmp_ne_u16_sdwa s[14:15], v37, v35 src0_sel:BYTE_0 src1_sel:DWORD
	s_and_saveexec_b64 s[12:13], s[14:15]
	s_cbranch_execz .LBB775_92
; %bb.87:
	s_movk_i32 s11, 0x80
	v_cmp_ne_u16_sdwa s[24:25], v37, s11 src0_sel:BYTE_0 src1_sel:DWORD
	v_mov_b32_e32 v38, 0xffff8000
	s_and_saveexec_b64 s[14:15], s[24:25]
	s_cbranch_execz .LBB775_91
; %bb.88:
	s_movk_i32 s11, 0x7f
	v_and_b32_e32 v46, 0x7f, v37
	v_cmp_ne_u32_e32 vcc, s11, v46
	v_mov_b32_e32 v38, 0x7f80
	s_and_saveexec_b64 s[24:25], vcc
	s_cbranch_execz .LBB775_90
; %bb.89:
	v_and_b32_e32 v38, 7, v37
	v_ffbh_u32_e32 v38, v38
	v_min_u32_e32 v38, 32, v38
	v_subrev_u32_e32 v48, 28, v38
	v_cmp_gt_u32_e32 vcc, 8, v46
	v_lshrrev_b32_e32 v47, 3, v46
	v_sub_u32_e32 v38, 29, v38
	v_cndmask_b32_e32 v46, 0, v48, vcc
	v_cndmask_b32_e32 v38, v47, v38, vcc
	v_lshlrev_b64 v[46:47], v46, v[34:35]
	v_lshlrev_b32_e32 v35, 20, v46
	v_lshlrev_b32_e32 v46, 24, v34
	v_bfrev_b32_e32 v47, 60
	v_and_b32_e32 v35, 0x700000, v35
	v_and_b32_e32 v46, 0x80000000, v46
	v_lshl_add_u32 v38, v38, 23, v47
	v_or3_b32 v35, v46, v38, v35
	v_lshrrev_b32_e32 v38, 16, v35
.LBB775_90:
	s_or_b64 exec, exec, s[24:25]
.LBB775_91:
	s_or_b64 exec, exec, s[14:15]
	v_mov_b32_e32 v35, v38
.LBB775_92:
	s_or_b64 exec, exec, s[12:13]
	v_lshrrev_b16_e32 v38, 8, v34
	v_cmp_ne_u16_e32 vcc, 0, v38
	v_mov_b32_e32 v47, 0
	v_mov_b32_e32 v46, 0
	s_and_saveexec_b64 s[12:13], vcc
	s_cbranch_execz .LBB775_98
; %bb.93:
	s_movk_i32 s11, 0x80
	v_cmp_ne_u16_e32 vcc, s11, v38
	v_mov_b32_e32 v46, 0xffff8000
	s_and_saveexec_b64 s[14:15], vcc
	s_cbranch_execz .LBB775_97
; %bb.94:
	s_movk_i32 s11, 0x7f
	v_and_b32_e32 v48, 0x7f, v38
	v_cmp_ne_u32_e32 vcc, s11, v48
	v_mov_b32_e32 v46, 0x7f80
	s_and_saveexec_b64 s[24:25], vcc
	s_cbranch_execz .LBB775_96
; %bb.95:
	v_and_b32_e32 v46, 7, v38
	v_ffbh_u32_e32 v50, v46
	v_min_u32_e32 v52, 32, v50
	v_subrev_u32_e32 v50, 28, v52
	v_lshlrev_b64 v[50:51], v50, v[38:39]
	v_lshrrev_b32_e32 v49, 3, v48
	v_sub_u32_e32 v38, 29, v52
	v_and_b32_e32 v50, 7, v50
	v_cmp_gt_u32_e32 vcc, 8, v48
	v_cndmask_b32_e32 v38, v49, v38, vcc
	v_cndmask_b32_e32 v46, v46, v50, vcc
	v_lshlrev_b32_e32 v34, 16, v34
	v_bfrev_b32_e32 v48, 60
	v_lshlrev_b32_e32 v46, 20, v46
	v_and_b32_e32 v34, 0x80000000, v34
	v_lshl_add_u32 v38, v38, 23, v48
	v_or3_b32 v34, v34, v38, v46
	v_lshrrev_b32_e32 v46, 16, v34
.LBB775_96:
	s_or_b64 exec, exec, s[24:25]
.LBB775_97:
	s_or_b64 exec, exec, s[14:15]
.LBB775_98:
	s_or_b64 exec, exec, s[12:13]
	s_movk_i32 s11, 0xff
	v_and_b32_sdwa v38, v37, s11 dst_sel:DWORD dst_unused:UNUSED_PAD src0_sel:WORD_1 src1_sel:DWORD
	v_lshrrev_b32_e32 v34, 16, v37
	v_cmp_ne_u16_e32 vcc, 0, v38
	s_and_saveexec_b64 s[12:13], vcc
	s_cbranch_execz .LBB775_104
; %bb.99:
	s_movk_i32 s11, 0x80
	v_cmp_ne_u16_e32 vcc, s11, v38
	v_mov_b32_e32 v47, 0xffff8000
	s_and_saveexec_b64 s[14:15], vcc
	s_cbranch_execz .LBB775_103
; %bb.100:
	v_bfe_u32 v38, v37, 16, 7
	s_movk_i32 s11, 0x7f
	v_cmp_ne_u32_e32 vcc, s11, v38
	v_mov_b32_e32 v47, 0x7f80
	s_and_saveexec_b64 s[24:25], vcc
	s_cbranch_execz .LBB775_102
; %bb.101:
	v_and_b32_e32 v47, 7, v34
	v_ffbh_u32_e32 v48, v47
	v_min_u32_e32 v51, 32, v48
	v_subrev_u32_e32 v48, 28, v51
	v_lshlrev_b64 v[48:49], v48, v[34:35]
	v_and_b32_e32 v48, 7, v48
	v_cmp_gt_u32_e32 vcc, 8, v38
	v_lshrrev_b32_e32 v50, 3, v38
	v_sub_u32_e32 v34, 29, v51
	v_cndmask_b32_e32 v38, v47, v48, vcc
	v_mov_b32_e32 v47, 24
	v_cndmask_b32_e32 v34, v50, v34, vcc
	v_lshlrev_b32_sdwa v47, v47, v37 dst_sel:DWORD dst_unused:UNUSED_PAD src0_sel:DWORD src1_sel:WORD_1
	v_bfrev_b32_e32 v48, 60
	v_lshlrev_b32_e32 v38, 20, v38
	v_and_b32_e32 v47, 0x80000000, v47
	v_lshl_add_u32 v34, v34, 23, v48
	v_or3_b32 v34, v47, v34, v38
	v_lshrrev_b32_e32 v47, 16, v34
.LBB775_102:
	s_or_b64 exec, exec, s[24:25]
.LBB775_103:
	s_or_b64 exec, exec, s[14:15]
.LBB775_104:
	s_or_b64 exec, exec, s[12:13]
	s_mov_b32 s12, -1
	s_mov_b32 s13, 0xffffff
	v_cmp_lt_u64_e32 vcc, s[12:13], v[36:37]
	v_mov_b32_e32 v38, 0
	v_mov_b32_e32 v36, 0
	s_and_saveexec_b64 s[12:13], vcc
	s_cbranch_execz .LBB775_110
; %bb.105:
	v_lshrrev_b32_e32 v34, 24, v37
	s_movk_i32 s11, 0x80
	v_cmp_ne_u32_e32 vcc, s11, v34
	v_mov_b32_e32 v36, 0xffff8000
	s_and_saveexec_b64 s[14:15], vcc
	s_cbranch_execz .LBB775_109
; %bb.106:
	v_bfe_u32 v37, v37, 24, 7
	s_movk_i32 s11, 0x7f
	v_cmp_ne_u32_e32 vcc, s11, v37
	v_mov_b32_e32 v36, 0x7f80
	s_and_saveexec_b64 s[24:25], vcc
	s_cbranch_execz .LBB775_108
; %bb.107:
	v_and_b32_e32 v36, 7, v34
	v_ffbh_u32_e32 v48, v36
	v_min_u32_e32 v51, 32, v48
	v_subrev_u32_e32 v48, 28, v51
	v_lshlrev_b64 v[48:49], v48, v[34:35]
	v_lshrrev_b32_e32 v50, 3, v37
	v_sub_u32_e32 v49, 29, v51
	v_and_b32_e32 v48, 7, v48
	v_cmp_gt_u32_e32 vcc, 8, v37
	v_cndmask_b32_e32 v37, v50, v49, vcc
	v_cndmask_b32_e32 v36, v36, v48, vcc
	v_lshlrev_b32_e32 v34, 24, v34
	v_bfrev_b32_e32 v48, 60
	v_lshlrev_b32_e32 v36, 20, v36
	v_and_b32_e32 v34, 0x80000000, v34
	v_lshl_add_u32 v37, v37, 23, v48
	v_or3_b32 v34, v34, v37, v36
	v_lshrrev_b32_e32 v36, 16, v34
.LBB775_108:
	s_or_b64 exec, exec, s[24:25]
.LBB775_109:
	s_or_b64 exec, exec, s[14:15]
.LBB775_110:
	s_or_b64 exec, exec, s[12:13]
	s_mov_b32 s11, 0x5040100
	v_perm_b32 v41, v45, v41, s11
	v_perm_b32 v40, v39, v40, s11
	;; [unrolled: 1-line block ×4, first 2 shown]
	v_mfma_f32_4x4x4bf16_1k a[0:3], v[2:3], v[40:41], a[0:3] cbsz:4 abid:1
	v_cmp_ne_u16_sdwa s[14:15], v30, v38 src0_sel:BYTE_0 src1_sel:DWORD
	v_mfma_f32_4x4x4bf16_1k a[0:3], v[4:5], v[36:37], a[0:3] cbsz:4 abid:1
	s_and_saveexec_b64 s[12:13], s[14:15]
	s_cbranch_execz .LBB775_116
; %bb.111:
	s_movk_i32 s11, 0x80
	v_cmp_ne_u16_sdwa s[24:25], v30, s11 src0_sel:BYTE_0 src1_sel:DWORD
	v_mov_b32_e32 v38, 0xffff8000
	s_and_saveexec_b64 s[14:15], s[24:25]
	s_cbranch_execz .LBB775_115
; %bb.112:
	s_movk_i32 s11, 0x7f
	v_and_b32_e32 v34, 0x7f, v30
	v_cmp_ne_u32_e32 vcc, s11, v34
	v_mov_b32_e32 v38, 0x7f80
	s_and_saveexec_b64 s[24:25], vcc
	s_cbranch_execz .LBB775_114
; %bb.113:
	v_and_b32_e32 v35, 7, v30
	v_ffbh_u32_e32 v35, v35
	v_min_u32_e32 v35, 32, v35
	v_subrev_u32_e32 v37, 28, v35
	v_cmp_gt_u32_e32 vcc, 8, v34
	v_lshrrev_b32_e32 v36, 3, v34
	v_sub_u32_e32 v35, 29, v35
	v_cndmask_b32_e32 v34, 0, v37, vcc
	v_cndmask_b32_e32 v36, v36, v35, vcc
	v_lshlrev_b64 v[34:35], v34, v[30:31]
	v_lshlrev_b32_e32 v34, 20, v34
	v_lshlrev_b32_e32 v35, 24, v30
	v_bfrev_b32_e32 v37, 60
	v_and_b32_e32 v34, 0x700000, v34
	v_and_b32_e32 v35, 0x80000000, v35
	v_lshl_add_u32 v36, v36, 23, v37
	v_or3_b32 v34, v35, v36, v34
	v_lshrrev_b32_e32 v38, 16, v34
.LBB775_114:
	s_or_b64 exec, exec, s[24:25]
.LBB775_115:
	s_or_b64 exec, exec, s[14:15]
.LBB775_116:
	s_or_b64 exec, exec, s[12:13]
	v_lshrrev_b16_e32 v34, 8, v30
	v_cmp_ne_u16_e32 vcc, 0, v34
	v_mov_b32_e32 v39, 0
	v_mov_b32_e32 v37, 0
	s_and_saveexec_b64 s[12:13], vcc
	s_cbranch_execz .LBB775_122
; %bb.117:
	s_movk_i32 s11, 0x80
	v_cmp_ne_u16_e32 vcc, s11, v34
	v_mov_b32_e32 v37, 0xffff8000
	s_and_saveexec_b64 s[14:15], vcc
	s_cbranch_execz .LBB775_121
; %bb.118:
	s_movk_i32 s11, 0x7f
	v_and_b32_e32 v35, 0x7f, v34
	v_cmp_ne_u32_e32 vcc, s11, v35
	v_mov_b32_e32 v37, 0x7f80
	s_and_saveexec_b64 s[24:25], vcc
	s_cbranch_execz .LBB775_120
; %bb.119:
	v_and_b32_e32 v40, 7, v34
	v_ffbh_u32_e32 v36, v40
	v_min_u32_e32 v45, 32, v36
	v_subrev_u32_e32 v36, 28, v45
	v_lshlrev_b64 v[36:37], v36, v[34:35]
	v_lshrrev_b32_e32 v41, 3, v35
	v_sub_u32_e32 v34, 29, v45
	v_and_b32_e32 v36, 7, v36
	v_cmp_gt_u32_e32 vcc, 8, v35
	v_cndmask_b32_e32 v34, v41, v34, vcc
	v_cndmask_b32_e32 v35, v40, v36, vcc
	v_lshlrev_b32_e32 v36, 16, v30
	v_bfrev_b32_e32 v37, 60
	v_lshlrev_b32_e32 v35, 20, v35
	v_and_b32_e32 v36, 0x80000000, v36
	v_lshl_add_u32 v34, v34, 23, v37
	v_or3_b32 v34, v36, v34, v35
	v_lshrrev_b32_e32 v37, 16, v34
.LBB775_120:
	s_or_b64 exec, exec, s[24:25]
.LBB775_121:
	s_or_b64 exec, exec, s[14:15]
.LBB775_122:
	s_or_b64 exec, exec, s[12:13]
	s_movk_i32 s11, 0xff
	v_and_b32_sdwa v35, v30, s11 dst_sel:DWORD dst_unused:UNUSED_PAD src0_sel:WORD_1 src1_sel:DWORD
	v_lshrrev_b32_e32 v34, 16, v30
	v_cmp_ne_u16_e32 vcc, 0, v35
	s_and_saveexec_b64 s[12:13], vcc
	s_cbranch_execz .LBB775_128
; %bb.123:
	s_movk_i32 s11, 0x80
	v_cmp_ne_u16_e32 vcc, s11, v35
	v_mov_b32_e32 v39, 0xffff8000
	s_and_saveexec_b64 s[14:15], vcc
	s_cbranch_execz .LBB775_127
; %bb.124:
	v_bfe_u32 v35, v30, 16, 7
	s_movk_i32 s11, 0x7f
	v_cmp_ne_u32_e32 vcc, s11, v35
	v_mov_b32_e32 v39, 0x7f80
	s_and_saveexec_b64 s[24:25], vcc
	s_cbranch_execz .LBB775_126
; %bb.125:
	v_and_b32_e32 v36, 7, v34
	v_ffbh_u32_e32 v40, v36
	v_min_u32_e32 v45, 32, v40
	v_subrev_u32_e32 v40, 28, v45
	v_lshlrev_b64 v[40:41], v40, v[34:35]
	v_and_b32_e32 v40, 7, v40
	v_cmp_gt_u32_e32 vcc, 8, v35
	v_lshrrev_b32_e32 v39, 3, v35
	v_sub_u32_e32 v34, 29, v45
	v_cndmask_b32_e32 v35, v36, v40, vcc
	v_mov_b32_e32 v36, 24
	v_cndmask_b32_e32 v34, v39, v34, vcc
	v_lshlrev_b32_sdwa v36, v36, v30 dst_sel:DWORD dst_unused:UNUSED_PAD src0_sel:DWORD src1_sel:WORD_1
	v_bfrev_b32_e32 v39, 60
	v_lshlrev_b32_e32 v35, 20, v35
	v_and_b32_e32 v36, 0x80000000, v36
	v_lshl_add_u32 v34, v34, 23, v39
	v_or3_b32 v34, v36, v34, v35
	v_lshrrev_b32_e32 v39, 16, v34
.LBB775_126:
	s_or_b64 exec, exec, s[24:25]
.LBB775_127:
	s_or_b64 exec, exec, s[14:15]
.LBB775_128:
	s_or_b64 exec, exec, s[12:13]
	s_mov_b32 s11, 0xffffff
	v_cmp_lt_u32_e32 vcc, s11, v30
	v_mov_b32_e32 v35, 0
	v_mov_b32_e32 v40, 0
	s_and_saveexec_b64 s[12:13], vcc
	s_cbranch_execz .LBB775_134
; %bb.129:
	v_lshrrev_b32_e32 v34, 24, v30
	s_movk_i32 s11, 0x80
	v_cmp_ne_u32_e32 vcc, s11, v34
	v_mov_b32_e32 v40, 0xffff8000
	s_and_saveexec_b64 s[14:15], vcc
	s_cbranch_execz .LBB775_133
; %bb.130:
	v_bfe_u32 v36, v30, 24, 7
	s_movk_i32 s11, 0x7f
	v_cmp_ne_u32_e32 vcc, s11, v36
	v_mov_b32_e32 v40, 0x7f80
	s_and_saveexec_b64 s[24:25], vcc
	s_cbranch_execz .LBB775_132
; %bb.131:
	v_and_b32_e32 v45, 7, v34
	v_ffbh_u32_e32 v40, v45
	v_min_u32_e32 v47, 32, v40
	v_subrev_u32_e32 v40, 28, v47
	v_lshlrev_b64 v[40:41], v40, v[34:35]
	v_lshrrev_b32_e32 v46, 3, v36
	v_sub_u32_e32 v41, 29, v47
	v_and_b32_e32 v40, 7, v40
	v_cmp_gt_u32_e32 vcc, 8, v36
	v_cndmask_b32_e32 v36, v46, v41, vcc
	v_cndmask_b32_e32 v40, v45, v40, vcc
	v_lshlrev_b32_e32 v34, 24, v34
	v_bfrev_b32_e32 v41, 60
	v_lshlrev_b32_e32 v40, 20, v40
	v_and_b32_e32 v34, 0x80000000, v34
	v_lshl_add_u32 v36, v36, 23, v41
	v_or3_b32 v34, v34, v36, v40
	v_lshrrev_b32_e32 v40, 16, v34
.LBB775_132:
	s_or_b64 exec, exec, s[24:25]
.LBB775_133:
	s_or_b64 exec, exec, s[14:15]
.LBB775_134:
	s_or_b64 exec, exec, s[12:13]
	v_mov_b32_e32 v34, v31
	v_cmp_ne_u16_sdwa s[14:15], v31, v35 src0_sel:BYTE_0 src1_sel:DWORD
	s_and_saveexec_b64 s[12:13], s[14:15]
	s_cbranch_execz .LBB775_140
; %bb.135:
	s_movk_i32 s11, 0x80
	v_cmp_ne_u16_sdwa s[24:25], v31, s11 src0_sel:BYTE_0 src1_sel:DWORD
	v_mov_b32_e32 v36, 0xffff8000
	s_and_saveexec_b64 s[14:15], s[24:25]
	s_cbranch_execz .LBB775_139
; %bb.136:
	s_movk_i32 s11, 0x7f
	v_and_b32_e32 v41, 0x7f, v31
	v_cmp_ne_u32_e32 vcc, s11, v41
	v_mov_b32_e32 v36, 0x7f80
	s_and_saveexec_b64 s[24:25], vcc
	s_cbranch_execz .LBB775_138
; %bb.137:
	v_and_b32_e32 v36, 7, v31
	v_ffbh_u32_e32 v36, v36
	v_min_u32_e32 v36, 32, v36
	v_subrev_u32_e32 v46, 28, v36
	v_cmp_gt_u32_e32 vcc, 8, v41
	v_lshrrev_b32_e32 v45, 3, v41
	v_cndmask_b32_e32 v41, 0, v46, vcc
	v_sub_u32_e32 v36, 29, v36
	v_lshlrev_b64 v[46:47], v41, v[34:35]
	v_cndmask_b32_e32 v36, v45, v36, vcc
	v_lshlrev_b32_e32 v35, 20, v46
	v_lshlrev_b32_e32 v41, 24, v34
	v_bfrev_b32_e32 v45, 60
	v_and_b32_e32 v35, 0x700000, v35
	v_and_b32_e32 v41, 0x80000000, v41
	v_lshl_add_u32 v36, v36, 23, v45
	v_or3_b32 v35, v41, v36, v35
	v_lshrrev_b32_e32 v36, 16, v35
.LBB775_138:
	s_or_b64 exec, exec, s[24:25]
.LBB775_139:
	s_or_b64 exec, exec, s[14:15]
	v_mov_b32_e32 v35, v36
.LBB775_140:
	s_or_b64 exec, exec, s[12:13]
	v_lshrrev_b16_e32 v36, 8, v34
	v_cmp_ne_u16_e32 vcc, 0, v36
	v_mov_b32_e32 v45, 0
	v_mov_b32_e32 v41, 0
	s_and_saveexec_b64 s[12:13], vcc
	s_cbranch_execz .LBB775_146
; %bb.141:
	s_movk_i32 s11, 0x80
	v_cmp_ne_u16_e32 vcc, s11, v36
	v_mov_b32_e32 v41, 0xffff8000
	s_and_saveexec_b64 s[14:15], vcc
	s_cbranch_execz .LBB775_145
; %bb.142:
	s_movk_i32 s11, 0x7f
	v_and_b32_e32 v46, 0x7f, v36
	v_cmp_ne_u32_e32 vcc, s11, v46
	v_mov_b32_e32 v41, 0x7f80
	s_and_saveexec_b64 s[24:25], vcc
	s_cbranch_execz .LBB775_144
; %bb.143:
	v_and_b32_e32 v41, 7, v36
	v_ffbh_u32_e32 v48, v41
	v_min_u32_e32 v50, 32, v48
	v_subrev_u32_e32 v48, 28, v50
	v_lshlrev_b64 v[48:49], v48, v[36:37]
	v_lshrrev_b32_e32 v47, 3, v46
	v_sub_u32_e32 v36, 29, v50
	v_and_b32_e32 v48, 7, v48
	v_cmp_gt_u32_e32 vcc, 8, v46
	v_cndmask_b32_e32 v36, v47, v36, vcc
	v_cndmask_b32_e32 v41, v41, v48, vcc
	v_lshlrev_b32_e32 v34, 16, v34
	v_bfrev_b32_e32 v46, 60
	v_lshlrev_b32_e32 v41, 20, v41
	v_and_b32_e32 v34, 0x80000000, v34
	v_lshl_add_u32 v36, v36, 23, v46
	v_or3_b32 v34, v34, v36, v41
	v_lshrrev_b32_e32 v41, 16, v34
.LBB775_144:
	s_or_b64 exec, exec, s[24:25]
.LBB775_145:
	s_or_b64 exec, exec, s[14:15]
.LBB775_146:
	s_or_b64 exec, exec, s[12:13]
	s_movk_i32 s11, 0xff
	v_and_b32_sdwa v36, v31, s11 dst_sel:DWORD dst_unused:UNUSED_PAD src0_sel:WORD_1 src1_sel:DWORD
	v_lshrrev_b32_e32 v34, 16, v31
	v_cmp_ne_u16_e32 vcc, 0, v36
	s_and_saveexec_b64 s[12:13], vcc
	s_cbranch_execz .LBB775_152
; %bb.147:
	s_movk_i32 s11, 0x80
	v_cmp_ne_u16_e32 vcc, s11, v36
	v_mov_b32_e32 v45, 0xffff8000
	s_and_saveexec_b64 s[14:15], vcc
	s_cbranch_execz .LBB775_151
; %bb.148:
	v_bfe_u32 v36, v31, 16, 7
	s_movk_i32 s11, 0x7f
	v_cmp_ne_u32_e32 vcc, s11, v36
	v_mov_b32_e32 v45, 0x7f80
	s_and_saveexec_b64 s[24:25], vcc
	s_cbranch_execz .LBB775_150
; %bb.149:
	v_and_b32_e32 v45, 7, v34
	v_ffbh_u32_e32 v46, v45
	v_min_u32_e32 v49, 32, v46
	v_subrev_u32_e32 v46, 28, v49
	v_lshlrev_b64 v[46:47], v46, v[34:35]
	v_and_b32_e32 v46, 7, v46
	v_cmp_gt_u32_e32 vcc, 8, v36
	v_lshrrev_b32_e32 v48, 3, v36
	v_sub_u32_e32 v34, 29, v49
	v_cndmask_b32_e32 v36, v45, v46, vcc
	v_mov_b32_e32 v45, 24
	v_cndmask_b32_e32 v34, v48, v34, vcc
	v_lshlrev_b32_sdwa v45, v45, v31 dst_sel:DWORD dst_unused:UNUSED_PAD src0_sel:DWORD src1_sel:WORD_1
	v_bfrev_b32_e32 v46, 60
	v_lshlrev_b32_e32 v36, 20, v36
	v_and_b32_e32 v45, 0x80000000, v45
	v_lshl_add_u32 v34, v34, 23, v46
	v_or3_b32 v34, v45, v34, v36
	v_lshrrev_b32_e32 v45, 16, v34
.LBB775_150:
	s_or_b64 exec, exec, s[24:25]
.LBB775_151:
	s_or_b64 exec, exec, s[14:15]
.LBB775_152:
	s_or_b64 exec, exec, s[12:13]
	s_mov_b32 s12, -1
	s_mov_b32 s13, 0xffffff
	v_cmp_lt_u64_e32 vcc, s[12:13], v[30:31]
	v_mov_b32_e32 v36, 0
	v_mov_b32_e32 v34, 0
	s_and_saveexec_b64 s[12:13], vcc
	s_cbranch_execz .LBB775_158
; %bb.153:
	v_lshrrev_b32_e32 v30, 24, v31
	s_movk_i32 s11, 0x80
	v_cmp_ne_u32_e32 vcc, s11, v30
	v_mov_b32_e32 v34, 0xffff8000
	s_and_saveexec_b64 s[14:15], vcc
	s_cbranch_execz .LBB775_157
; %bb.154:
	v_bfe_u32 v31, v31, 24, 7
	s_movk_i32 s11, 0x7f
	v_cmp_ne_u32_e32 vcc, s11, v31
	v_mov_b32_e32 v34, 0x7f80
	s_and_saveexec_b64 s[24:25], vcc
	s_cbranch_execz .LBB775_156
; %bb.155:
	v_and_b32_e32 v34, 7, v30
	v_ffbh_u32_e32 v46, v34
	v_min_u32_e32 v49, 32, v46
	v_subrev_u32_e32 v46, 28, v49
	v_lshlrev_b64 v[46:47], v46, v[30:31]
	v_lshrrev_b32_e32 v48, 3, v31
	v_sub_u32_e32 v47, 29, v49
	v_and_b32_e32 v46, 7, v46
	v_cmp_gt_u32_e32 vcc, 8, v31
	v_cndmask_b32_e32 v31, v48, v47, vcc
	v_cndmask_b32_e32 v34, v34, v46, vcc
	v_lshlrev_b32_e32 v30, 24, v30
	v_bfrev_b32_e32 v46, 60
	v_lshlrev_b32_e32 v34, 20, v34
	v_and_b32_e32 v30, 0x80000000, v30
	v_lshl_add_u32 v31, v31, 23, v46
	v_or3_b32 v30, v30, v31, v34
	v_lshrrev_b32_e32 v34, 16, v30
.LBB775_156:
	s_or_b64 exec, exec, s[24:25]
.LBB775_157:
	s_or_b64 exec, exec, s[14:15]
.LBB775_158:
	s_or_b64 exec, exec, s[12:13]
	s_mov_b32 s11, 0x5040100
	v_perm_b32 v31, v40, v39, s11
	v_perm_b32 v30, v37, v38, s11
	;; [unrolled: 1-line block ×4, first 2 shown]
	v_mfma_f32_4x4x4bf16_1k a[0:3], v[2:3], v[30:31], a[0:3] cbsz:4 abid:2
	v_cmp_ne_u16_sdwa s[14:15], v32, v36 src0_sel:BYTE_0 src1_sel:DWORD
	v_mfma_f32_4x4x4bf16_1k a[0:3], v[4:5], v[38:39], a[0:3] cbsz:4 abid:2
	s_and_saveexec_b64 s[12:13], s[14:15]
	s_cbranch_execz .LBB775_164
; %bb.159:
	s_movk_i32 s11, 0x80
	v_cmp_ne_u16_sdwa s[24:25], v32, s11 src0_sel:BYTE_0 src1_sel:DWORD
	v_mov_b32_e32 v36, 0xffff8000
	s_and_saveexec_b64 s[14:15], s[24:25]
	s_cbranch_execz .LBB775_163
; %bb.160:
	s_movk_i32 s11, 0x7f
	v_and_b32_e32 v30, 0x7f, v32
	v_cmp_ne_u32_e32 vcc, s11, v30
	v_mov_b32_e32 v36, 0x7f80
	s_and_saveexec_b64 s[24:25], vcc
	s_cbranch_execz .LBB775_162
; %bb.161:
	v_and_b32_e32 v31, 7, v32
	v_ffbh_u32_e32 v31, v31
	v_min_u32_e32 v31, 32, v31
	v_subrev_u32_e32 v35, 28, v31
	v_cmp_gt_u32_e32 vcc, 8, v30
	v_lshrrev_b32_e32 v34, 3, v30
	v_sub_u32_e32 v31, 29, v31
	v_cndmask_b32_e32 v30, 0, v35, vcc
	v_cndmask_b32_e32 v34, v34, v31, vcc
	v_lshlrev_b64 v[30:31], v30, v[32:33]
	v_lshlrev_b32_e32 v30, 20, v30
	v_lshlrev_b32_e32 v31, 24, v32
	v_bfrev_b32_e32 v35, 60
	v_and_b32_e32 v30, 0x700000, v30
	v_and_b32_e32 v31, 0x80000000, v31
	v_lshl_add_u32 v34, v34, 23, v35
	v_or3_b32 v30, v31, v34, v30
	v_lshrrev_b32_e32 v36, 16, v30
.LBB775_162:
	s_or_b64 exec, exec, s[24:25]
.LBB775_163:
	s_or_b64 exec, exec, s[14:15]
.LBB775_164:
	s_or_b64 exec, exec, s[12:13]
	v_lshrrev_b16_e32 v30, 8, v32
	v_cmp_ne_u16_e32 vcc, 0, v30
	v_mov_b32_e32 v37, 0
	v_mov_b32_e32 v35, 0
	s_and_saveexec_b64 s[12:13], vcc
	s_cbranch_execz .LBB775_170
; %bb.165:
	s_movk_i32 s11, 0x80
	v_cmp_ne_u16_e32 vcc, s11, v30
	v_mov_b32_e32 v35, 0xffff8000
	s_and_saveexec_b64 s[14:15], vcc
	s_cbranch_execz .LBB775_169
; %bb.166:
	s_movk_i32 s11, 0x7f
	v_and_b32_e32 v31, 0x7f, v30
	v_cmp_ne_u32_e32 vcc, s11, v31
	v_mov_b32_e32 v35, 0x7f80
	s_and_saveexec_b64 s[24:25], vcc
	s_cbranch_execz .LBB775_168
; %bb.167:
	v_and_b32_e32 v38, 7, v30
	v_ffbh_u32_e32 v34, v38
	v_min_u32_e32 v40, 32, v34
	v_subrev_u32_e32 v34, 28, v40
	v_lshlrev_b64 v[34:35], v34, v[30:31]
	v_lshrrev_b32_e32 v39, 3, v31
	v_sub_u32_e32 v30, 29, v40
	v_and_b32_e32 v34, 7, v34
	v_cmp_gt_u32_e32 vcc, 8, v31
	v_cndmask_b32_e32 v30, v39, v30, vcc
	v_cndmask_b32_e32 v31, v38, v34, vcc
	v_lshlrev_b32_e32 v34, 16, v32
	v_bfrev_b32_e32 v35, 60
	v_lshlrev_b32_e32 v31, 20, v31
	v_and_b32_e32 v34, 0x80000000, v34
	v_lshl_add_u32 v30, v30, 23, v35
	v_or3_b32 v30, v34, v30, v31
	v_lshrrev_b32_e32 v35, 16, v30
.LBB775_168:
	s_or_b64 exec, exec, s[24:25]
.LBB775_169:
	s_or_b64 exec, exec, s[14:15]
.LBB775_170:
	s_or_b64 exec, exec, s[12:13]
	s_movk_i32 s11, 0xff
	v_and_b32_sdwa v31, v32, s11 dst_sel:DWORD dst_unused:UNUSED_PAD src0_sel:WORD_1 src1_sel:DWORD
	v_lshrrev_b32_e32 v30, 16, v32
	v_cmp_ne_u16_e32 vcc, 0, v31
	s_and_saveexec_b64 s[12:13], vcc
	s_cbranch_execz .LBB775_176
; %bb.171:
	s_movk_i32 s11, 0x80
	v_cmp_ne_u16_e32 vcc, s11, v31
	v_mov_b32_e32 v37, 0xffff8000
	s_and_saveexec_b64 s[14:15], vcc
	s_cbranch_execz .LBB775_175
; %bb.172:
	v_bfe_u32 v31, v32, 16, 7
	s_movk_i32 s11, 0x7f
	v_cmp_ne_u32_e32 vcc, s11, v31
	v_mov_b32_e32 v37, 0x7f80
	s_and_saveexec_b64 s[24:25], vcc
	s_cbranch_execz .LBB775_174
; %bb.173:
	v_and_b32_e32 v34, 7, v30
	v_ffbh_u32_e32 v38, v34
	v_min_u32_e32 v40, 32, v38
	v_subrev_u32_e32 v38, 28, v40
	v_lshlrev_b64 v[38:39], v38, v[30:31]
	v_and_b32_e32 v38, 7, v38
	v_cmp_gt_u32_e32 vcc, 8, v31
	v_lshrrev_b32_e32 v37, 3, v31
	v_sub_u32_e32 v30, 29, v40
	v_cndmask_b32_e32 v31, v34, v38, vcc
	v_mov_b32_e32 v34, 24
	v_cndmask_b32_e32 v30, v37, v30, vcc
	v_lshlrev_b32_sdwa v34, v34, v32 dst_sel:DWORD dst_unused:UNUSED_PAD src0_sel:DWORD src1_sel:WORD_1
	v_bfrev_b32_e32 v37, 60
	v_lshlrev_b32_e32 v31, 20, v31
	v_and_b32_e32 v34, 0x80000000, v34
	v_lshl_add_u32 v30, v30, 23, v37
	v_or3_b32 v30, v34, v30, v31
	v_lshrrev_b32_e32 v37, 16, v30
.LBB775_174:
	s_or_b64 exec, exec, s[24:25]
.LBB775_175:
	s_or_b64 exec, exec, s[14:15]
.LBB775_176:
	s_or_b64 exec, exec, s[12:13]
	s_mov_b32 s11, 0xffffff
	v_cmp_lt_u32_e32 vcc, s11, v32
	v_mov_b32_e32 v31, 0
	v_mov_b32_e32 v38, 0
	s_and_saveexec_b64 s[12:13], vcc
	s_cbranch_execz .LBB775_182
; %bb.177:
	v_lshrrev_b32_e32 v30, 24, v32
	s_movk_i32 s11, 0x80
	v_cmp_ne_u32_e32 vcc, s11, v30
	v_mov_b32_e32 v38, 0xffff8000
	s_and_saveexec_b64 s[14:15], vcc
	s_cbranch_execz .LBB775_181
; %bb.178:
	v_bfe_u32 v34, v32, 24, 7
	s_movk_i32 s11, 0x7f
	v_cmp_ne_u32_e32 vcc, s11, v34
	v_mov_b32_e32 v38, 0x7f80
	s_and_saveexec_b64 s[24:25], vcc
	s_cbranch_execz .LBB775_180
; %bb.179:
	v_and_b32_e32 v40, 7, v30
	v_ffbh_u32_e32 v38, v40
	v_min_u32_e32 v45, 32, v38
	v_subrev_u32_e32 v38, 28, v45
	v_lshlrev_b64 v[38:39], v38, v[30:31]
	v_lshrrev_b32_e32 v41, 3, v34
	v_sub_u32_e32 v39, 29, v45
	v_and_b32_e32 v38, 7, v38
	v_cmp_gt_u32_e32 vcc, 8, v34
	v_cndmask_b32_e32 v34, v41, v39, vcc
	v_cndmask_b32_e32 v38, v40, v38, vcc
	v_lshlrev_b32_e32 v30, 24, v30
	v_bfrev_b32_e32 v39, 60
	v_lshlrev_b32_e32 v38, 20, v38
	v_and_b32_e32 v30, 0x80000000, v30
	v_lshl_add_u32 v34, v34, 23, v39
	v_or3_b32 v30, v30, v34, v38
	v_lshrrev_b32_e32 v38, 16, v30
.LBB775_180:
	s_or_b64 exec, exec, s[24:25]
.LBB775_181:
	s_or_b64 exec, exec, s[14:15]
.LBB775_182:
	s_or_b64 exec, exec, s[12:13]
	v_mov_b32_e32 v30, v33
	v_cmp_ne_u16_sdwa s[14:15], v33, v31 src0_sel:BYTE_0 src1_sel:DWORD
	s_and_saveexec_b64 s[12:13], s[14:15]
	s_cbranch_execz .LBB775_188
; %bb.183:
	s_movk_i32 s11, 0x80
	v_cmp_ne_u16_sdwa s[24:25], v33, s11 src0_sel:BYTE_0 src1_sel:DWORD
	v_mov_b32_e32 v34, 0xffff8000
	s_and_saveexec_b64 s[14:15], s[24:25]
	s_cbranch_execz .LBB775_187
; %bb.184:
	s_movk_i32 s11, 0x7f
	v_and_b32_e32 v39, 0x7f, v33
	v_cmp_ne_u32_e32 vcc, s11, v39
	v_mov_b32_e32 v34, 0x7f80
	s_and_saveexec_b64 s[24:25], vcc
	s_cbranch_execz .LBB775_186
; %bb.185:
	v_and_b32_e32 v34, 7, v33
	v_ffbh_u32_e32 v34, v34
	v_min_u32_e32 v34, 32, v34
	v_subrev_u32_e32 v41, 28, v34
	v_cmp_gt_u32_e32 vcc, 8, v39
	v_lshrrev_b32_e32 v40, 3, v39
	v_sub_u32_e32 v34, 29, v34
	v_cndmask_b32_e32 v39, 0, v41, vcc
	v_cndmask_b32_e32 v34, v40, v34, vcc
	v_lshlrev_b64 v[40:41], v39, v[30:31]
	v_lshlrev_b32_e32 v31, 20, v40
	v_lshlrev_b32_e32 v39, 24, v30
	v_bfrev_b32_e32 v40, 60
	v_and_b32_e32 v31, 0x700000, v31
	v_and_b32_e32 v39, 0x80000000, v39
	v_lshl_add_u32 v34, v34, 23, v40
	v_or3_b32 v31, v39, v34, v31
	v_lshrrev_b32_e32 v34, 16, v31
.LBB775_186:
	s_or_b64 exec, exec, s[24:25]
.LBB775_187:
	s_or_b64 exec, exec, s[14:15]
	v_mov_b32_e32 v31, v34
.LBB775_188:
	s_or_b64 exec, exec, s[12:13]
	v_lshrrev_b16_e32 v34, 8, v30
	v_cmp_ne_u16_e32 vcc, 0, v34
	v_mov_b32_e32 v40, 0
	v_mov_b32_e32 v39, 0
	s_and_saveexec_b64 s[12:13], vcc
	s_cbranch_execz .LBB775_194
; %bb.189:
	s_movk_i32 s11, 0x80
	v_cmp_ne_u16_e32 vcc, s11, v34
	v_mov_b32_e32 v39, 0xffff8000
	s_and_saveexec_b64 s[14:15], vcc
	s_cbranch_execz .LBB775_193
; %bb.190:
	s_movk_i32 s11, 0x7f
	v_and_b32_e32 v41, 0x7f, v34
	v_cmp_ne_u32_e32 vcc, s11, v41
	v_mov_b32_e32 v39, 0x7f80
	s_and_saveexec_b64 s[24:25], vcc
	s_cbranch_execz .LBB775_192
; %bb.191:
	v_and_b32_e32 v39, 7, v34
	v_ffbh_u32_e32 v46, v39
	v_min_u32_e32 v48, 32, v46
	v_subrev_u32_e32 v46, 28, v48
	v_lshlrev_b64 v[46:47], v46, v[34:35]
	v_lshrrev_b32_e32 v45, 3, v41
	v_sub_u32_e32 v34, 29, v48
	v_and_b32_e32 v46, 7, v46
	v_cmp_gt_u32_e32 vcc, 8, v41
	v_cndmask_b32_e32 v34, v45, v34, vcc
	v_cndmask_b32_e32 v39, v39, v46, vcc
	v_lshlrev_b32_e32 v30, 16, v30
	v_bfrev_b32_e32 v41, 60
	v_lshlrev_b32_e32 v39, 20, v39
	v_and_b32_e32 v30, 0x80000000, v30
	v_lshl_add_u32 v34, v34, 23, v41
	v_or3_b32 v30, v30, v34, v39
	v_lshrrev_b32_e32 v39, 16, v30
.LBB775_192:
	s_or_b64 exec, exec, s[24:25]
.LBB775_193:
	s_or_b64 exec, exec, s[14:15]
.LBB775_194:
	s_or_b64 exec, exec, s[12:13]
	s_movk_i32 s11, 0xff
	v_and_b32_sdwa v34, v33, s11 dst_sel:DWORD dst_unused:UNUSED_PAD src0_sel:WORD_1 src1_sel:DWORD
	v_lshrrev_b32_e32 v30, 16, v33
	v_cmp_ne_u16_e32 vcc, 0, v34
	s_and_saveexec_b64 s[12:13], vcc
	s_cbranch_execz .LBB775_200
; %bb.195:
	s_movk_i32 s11, 0x80
	v_cmp_ne_u16_e32 vcc, s11, v34
	v_mov_b32_e32 v40, 0xffff8000
	s_and_saveexec_b64 s[14:15], vcc
	s_cbranch_execz .LBB775_199
; %bb.196:
	v_bfe_u32 v34, v33, 16, 7
	s_movk_i32 s11, 0x7f
	v_cmp_ne_u32_e32 vcc, s11, v34
	v_mov_b32_e32 v40, 0x7f80
	s_and_saveexec_b64 s[24:25], vcc
	s_cbranch_execz .LBB775_198
; %bb.197:
	v_and_b32_e32 v45, 7, v30
	v_ffbh_u32_e32 v40, v45
	v_min_u32_e32 v47, 32, v40
	v_subrev_u32_e32 v40, 28, v47
	v_lshlrev_b64 v[40:41], v40, v[30:31]
	v_and_b32_e32 v40, 7, v40
	v_cmp_gt_u32_e32 vcc, 8, v34
	v_lshrrev_b32_e32 v46, 3, v34
	v_sub_u32_e32 v30, 29, v47
	v_cndmask_b32_e32 v34, v45, v40, vcc
	v_mov_b32_e32 v40, 24
	v_cndmask_b32_e32 v30, v46, v30, vcc
	v_lshlrev_b32_sdwa v40, v40, v33 dst_sel:DWORD dst_unused:UNUSED_PAD src0_sel:DWORD src1_sel:WORD_1
	v_bfrev_b32_e32 v41, 60
	v_lshlrev_b32_e32 v34, 20, v34
	v_and_b32_e32 v40, 0x80000000, v40
	v_lshl_add_u32 v30, v30, 23, v41
	v_or3_b32 v30, v40, v30, v34
	v_lshrrev_b32_e32 v40, 16, v30
.LBB775_198:
	s_or_b64 exec, exec, s[24:25]
.LBB775_199:
	s_or_b64 exec, exec, s[14:15]
.LBB775_200:
	s_or_b64 exec, exec, s[12:13]
	s_mov_b32 s12, -1
	s_mov_b32 s13, 0xffffff
	v_cmp_lt_u64_e32 vcc, s[12:13], v[32:33]
	v_mov_b32_e32 v34, 0
	v_mov_b32_e32 v32, 0
	s_and_saveexec_b64 s[12:13], vcc
	s_cbranch_execz .LBB775_206
; %bb.201:
	v_lshrrev_b32_e32 v30, 24, v33
	s_movk_i32 s11, 0x80
	v_cmp_ne_u32_e32 vcc, s11, v30
	v_mov_b32_e32 v32, 0xffff8000
	s_and_saveexec_b64 s[14:15], vcc
	s_cbranch_execz .LBB775_205
; %bb.202:
	v_bfe_u32 v33, v33, 24, 7
	s_movk_i32 s11, 0x7f
	v_cmp_ne_u32_e32 vcc, s11, v33
	v_mov_b32_e32 v32, 0x7f80
	s_and_saveexec_b64 s[24:25], vcc
	s_cbranch_execz .LBB775_204
; %bb.203:
	v_and_b32_e32 v32, 7, v30
	v_ffbh_u32_e32 v45, v32
	v_min_u32_e32 v45, 32, v45
	v_subrev_u32_e32 v46, 28, v45
	v_lshlrev_b64 v[46:47], v46, v[30:31]
	v_lshrrev_b32_e32 v41, 3, v33
	v_sub_u32_e32 v45, 29, v45
	v_and_b32_e32 v46, 7, v46
	v_cmp_gt_u32_e32 vcc, 8, v33
	v_cndmask_b32_e32 v33, v41, v45, vcc
	v_cndmask_b32_e32 v32, v32, v46, vcc
	v_lshlrev_b32_e32 v30, 24, v30
	v_bfrev_b32_e32 v41, 60
	v_lshlrev_b32_e32 v32, 20, v32
	v_and_b32_e32 v30, 0x80000000, v30
	v_lshl_add_u32 v33, v33, 23, v41
	v_or3_b32 v30, v30, v33, v32
	v_lshrrev_b32_e32 v32, 16, v30
.LBB775_204:
	s_or_b64 exec, exec, s[24:25]
.LBB775_205:
	s_or_b64 exec, exec, s[14:15]
.LBB775_206:
	s_or_b64 exec, exec, s[12:13]
	s_mov_b32 s11, 0x5040100
	v_perm_b32 v37, v38, v37, s11
	v_perm_b32 v36, v35, v36, s11
	;; [unrolled: 1-line block ×4, first 2 shown]
	v_mfma_f32_4x4x4bf16_1k a[0:3], v[2:3], v[36:37], a[0:3] cbsz:4 abid:3
	v_cmp_ne_u16_sdwa s[14:15], v26, v34 src0_sel:BYTE_0 src1_sel:DWORD
	v_mfma_f32_4x4x4bf16_1k a[0:3], v[4:5], v[32:33], a[0:3] cbsz:4 abid:3
	s_and_saveexec_b64 s[12:13], s[14:15]
	s_cbranch_execz .LBB775_212
; %bb.207:
	s_movk_i32 s11, 0x80
	v_cmp_ne_u16_sdwa s[24:25], v26, s11 src0_sel:BYTE_0 src1_sel:DWORD
	v_mov_b32_e32 v34, 0xffff8000
	s_and_saveexec_b64 s[14:15], s[24:25]
	s_cbranch_execz .LBB775_211
; %bb.208:
	s_movk_i32 s11, 0x7f
	v_and_b32_e32 v30, 0x7f, v26
	v_cmp_ne_u32_e32 vcc, s11, v30
	v_mov_b32_e32 v34, 0x7f80
	s_and_saveexec_b64 s[24:25], vcc
	s_cbranch_execz .LBB775_210
; %bb.209:
	v_and_b32_e32 v31, 7, v26
	v_ffbh_u32_e32 v31, v31
	v_min_u32_e32 v31, 32, v31
	v_subrev_u32_e32 v33, 28, v31
	v_cmp_gt_u32_e32 vcc, 8, v30
	v_lshrrev_b32_e32 v32, 3, v30
	v_sub_u32_e32 v31, 29, v31
	v_cndmask_b32_e32 v30, 0, v33, vcc
	v_cndmask_b32_e32 v32, v32, v31, vcc
	v_lshlrev_b64 v[30:31], v30, v[26:27]
	v_lshlrev_b32_e32 v30, 20, v30
	v_lshlrev_b32_e32 v31, 24, v26
	v_bfrev_b32_e32 v33, 60
	v_and_b32_e32 v30, 0x700000, v30
	v_and_b32_e32 v31, 0x80000000, v31
	v_lshl_add_u32 v32, v32, 23, v33
	v_or3_b32 v30, v31, v32, v30
	v_lshrrev_b32_e32 v34, 16, v30
.LBB775_210:
	s_or_b64 exec, exec, s[24:25]
.LBB775_211:
	s_or_b64 exec, exec, s[14:15]
.LBB775_212:
	s_or_b64 exec, exec, s[12:13]
	v_lshrrev_b16_e32 v30, 8, v26
	v_cmp_ne_u16_e32 vcc, 0, v30
	v_mov_b32_e32 v35, 0
	v_mov_b32_e32 v33, 0
	s_and_saveexec_b64 s[12:13], vcc
	s_cbranch_execz .LBB775_218
; %bb.213:
	s_movk_i32 s11, 0x80
	v_cmp_ne_u16_e32 vcc, s11, v30
	v_mov_b32_e32 v33, 0xffff8000
	s_and_saveexec_b64 s[14:15], vcc
	s_cbranch_execz .LBB775_217
; %bb.214:
	s_movk_i32 s11, 0x7f
	v_and_b32_e32 v31, 0x7f, v30
	v_cmp_ne_u32_e32 vcc, s11, v31
	v_mov_b32_e32 v33, 0x7f80
	s_and_saveexec_b64 s[24:25], vcc
	s_cbranch_execz .LBB775_216
; %bb.215:
	v_and_b32_e32 v36, 7, v30
	v_ffbh_u32_e32 v32, v36
	v_min_u32_e32 v38, 32, v32
	v_subrev_u32_e32 v32, 28, v38
	v_lshlrev_b64 v[32:33], v32, v[30:31]
	v_lshrrev_b32_e32 v37, 3, v31
	v_sub_u32_e32 v30, 29, v38
	v_and_b32_e32 v32, 7, v32
	v_cmp_gt_u32_e32 vcc, 8, v31
	v_cndmask_b32_e32 v30, v37, v30, vcc
	v_cndmask_b32_e32 v31, v36, v32, vcc
	v_lshlrev_b32_e32 v32, 16, v26
	v_bfrev_b32_e32 v33, 60
	v_lshlrev_b32_e32 v31, 20, v31
	v_and_b32_e32 v32, 0x80000000, v32
	v_lshl_add_u32 v30, v30, 23, v33
	v_or3_b32 v30, v32, v30, v31
	v_lshrrev_b32_e32 v33, 16, v30
.LBB775_216:
	s_or_b64 exec, exec, s[24:25]
.LBB775_217:
	s_or_b64 exec, exec, s[14:15]
.LBB775_218:
	s_or_b64 exec, exec, s[12:13]
	s_movk_i32 s11, 0xff
	v_and_b32_sdwa v31, v26, s11 dst_sel:DWORD dst_unused:UNUSED_PAD src0_sel:WORD_1 src1_sel:DWORD
	v_lshrrev_b32_e32 v30, 16, v26
	v_cmp_ne_u16_e32 vcc, 0, v31
	s_and_saveexec_b64 s[12:13], vcc
	s_cbranch_execz .LBB775_224
; %bb.219:
	s_movk_i32 s11, 0x80
	v_cmp_ne_u16_e32 vcc, s11, v31
	v_mov_b32_e32 v35, 0xffff8000
	s_and_saveexec_b64 s[14:15], vcc
	s_cbranch_execz .LBB775_223
; %bb.220:
	v_bfe_u32 v31, v26, 16, 7
	s_movk_i32 s11, 0x7f
	v_cmp_ne_u32_e32 vcc, s11, v31
	v_mov_b32_e32 v35, 0x7f80
	s_and_saveexec_b64 s[24:25], vcc
	s_cbranch_execz .LBB775_222
; %bb.221:
	v_and_b32_e32 v32, 7, v30
	v_ffbh_u32_e32 v36, v32
	v_min_u32_e32 v38, 32, v36
	v_subrev_u32_e32 v36, 28, v38
	v_lshlrev_b64 v[36:37], v36, v[30:31]
	v_and_b32_e32 v36, 7, v36
	v_cmp_gt_u32_e32 vcc, 8, v31
	v_lshrrev_b32_e32 v35, 3, v31
	v_sub_u32_e32 v30, 29, v38
	v_cndmask_b32_e32 v31, v32, v36, vcc
	v_mov_b32_e32 v32, 24
	v_cndmask_b32_e32 v30, v35, v30, vcc
	v_lshlrev_b32_sdwa v32, v32, v26 dst_sel:DWORD dst_unused:UNUSED_PAD src0_sel:DWORD src1_sel:WORD_1
	v_bfrev_b32_e32 v35, 60
	v_lshlrev_b32_e32 v31, 20, v31
	v_and_b32_e32 v32, 0x80000000, v32
	v_lshl_add_u32 v30, v30, 23, v35
	v_or3_b32 v30, v32, v30, v31
	v_lshrrev_b32_e32 v35, 16, v30
.LBB775_222:
	s_or_b64 exec, exec, s[24:25]
.LBB775_223:
	s_or_b64 exec, exec, s[14:15]
.LBB775_224:
	s_or_b64 exec, exec, s[12:13]
	s_mov_b32 s11, 0xffffff
	v_cmp_lt_u32_e32 vcc, s11, v26
	v_mov_b32_e32 v31, 0
	v_mov_b32_e32 v36, 0
	s_and_saveexec_b64 s[12:13], vcc
	s_cbranch_execz .LBB775_230
; %bb.225:
	v_lshrrev_b32_e32 v30, 24, v26
	s_movk_i32 s11, 0x80
	v_cmp_ne_u32_e32 vcc, s11, v30
	v_mov_b32_e32 v36, 0xffff8000
	s_and_saveexec_b64 s[14:15], vcc
	s_cbranch_execz .LBB775_229
; %bb.226:
	v_bfe_u32 v32, v26, 24, 7
	s_movk_i32 s11, 0x7f
	v_cmp_ne_u32_e32 vcc, s11, v32
	v_mov_b32_e32 v36, 0x7f80
	s_and_saveexec_b64 s[24:25], vcc
	s_cbranch_execz .LBB775_228
; %bb.227:
	v_and_b32_e32 v38, 7, v30
	v_ffbh_u32_e32 v36, v38
	v_min_u32_e32 v40, 32, v36
	v_subrev_u32_e32 v36, 28, v40
	v_lshlrev_b64 v[36:37], v36, v[30:31]
	v_lshrrev_b32_e32 v39, 3, v32
	v_sub_u32_e32 v37, 29, v40
	v_and_b32_e32 v36, 7, v36
	v_cmp_gt_u32_e32 vcc, 8, v32
	v_cndmask_b32_e32 v32, v39, v37, vcc
	v_cndmask_b32_e32 v36, v38, v36, vcc
	v_lshlrev_b32_e32 v30, 24, v30
	v_bfrev_b32_e32 v37, 60
	v_lshlrev_b32_e32 v36, 20, v36
	v_and_b32_e32 v30, 0x80000000, v30
	v_lshl_add_u32 v32, v32, 23, v37
	v_or3_b32 v30, v30, v32, v36
	v_lshrrev_b32_e32 v36, 16, v30
.LBB775_228:
	s_or_b64 exec, exec, s[24:25]
.LBB775_229:
	s_or_b64 exec, exec, s[14:15]
.LBB775_230:
	s_or_b64 exec, exec, s[12:13]
	v_mov_b32_e32 v30, v27
	v_cmp_ne_u16_sdwa s[14:15], v27, v31 src0_sel:BYTE_0 src1_sel:DWORD
	s_and_saveexec_b64 s[12:13], s[14:15]
	s_cbranch_execz .LBB775_236
; %bb.231:
	s_movk_i32 s11, 0x80
	v_cmp_ne_u16_sdwa s[24:25], v27, s11 src0_sel:BYTE_0 src1_sel:DWORD
	v_mov_b32_e32 v32, 0xffff8000
	s_and_saveexec_b64 s[14:15], s[24:25]
	s_cbranch_execz .LBB775_235
; %bb.232:
	s_movk_i32 s11, 0x7f
	v_and_b32_e32 v37, 0x7f, v27
	v_cmp_ne_u32_e32 vcc, s11, v37
	v_mov_b32_e32 v32, 0x7f80
	s_and_saveexec_b64 s[24:25], vcc
	s_cbranch_execz .LBB775_234
; %bb.233:
	v_and_b32_e32 v32, 7, v27
	v_ffbh_u32_e32 v32, v32
	v_min_u32_e32 v32, 32, v32
	v_subrev_u32_e32 v39, 28, v32
	v_cmp_gt_u32_e32 vcc, 8, v37
	v_lshrrev_b32_e32 v38, 3, v37
	v_sub_u32_e32 v32, 29, v32
	v_cndmask_b32_e32 v37, 0, v39, vcc
	v_cndmask_b32_e32 v32, v38, v32, vcc
	v_lshlrev_b64 v[38:39], v37, v[30:31]
	v_lshlrev_b32_e32 v31, 20, v38
	v_lshlrev_b32_e32 v37, 24, v30
	v_bfrev_b32_e32 v38, 60
	v_and_b32_e32 v31, 0x700000, v31
	v_and_b32_e32 v37, 0x80000000, v37
	v_lshl_add_u32 v32, v32, 23, v38
	v_or3_b32 v31, v37, v32, v31
	v_lshrrev_b32_e32 v32, 16, v31
.LBB775_234:
	s_or_b64 exec, exec, s[24:25]
.LBB775_235:
	s_or_b64 exec, exec, s[14:15]
	v_mov_b32_e32 v31, v32
.LBB775_236:
	s_or_b64 exec, exec, s[12:13]
	v_lshrrev_b16_e32 v32, 8, v30
	v_cmp_ne_u16_e32 vcc, 0, v32
	v_mov_b32_e32 v38, 0
	v_mov_b32_e32 v37, 0
	s_and_saveexec_b64 s[12:13], vcc
	s_cbranch_execz .LBB775_242
; %bb.237:
	s_movk_i32 s11, 0x80
	v_cmp_ne_u16_e32 vcc, s11, v32
	v_mov_b32_e32 v37, 0xffff8000
	s_and_saveexec_b64 s[14:15], vcc
	s_cbranch_execz .LBB775_241
; %bb.238:
	s_movk_i32 s11, 0x7f
	v_and_b32_e32 v39, 0x7f, v32
	v_cmp_ne_u32_e32 vcc, s11, v39
	v_mov_b32_e32 v37, 0x7f80
	s_and_saveexec_b64 s[24:25], vcc
	s_cbranch_execz .LBB775_240
; %bb.239:
	v_and_b32_e32 v37, 7, v32
	v_ffbh_u32_e32 v40, v37
	v_min_u32_e32 v46, 32, v40
	v_subrev_u32_e32 v40, 28, v46
	v_lshlrev_b64 v[40:41], v40, v[32:33]
	v_lshrrev_b32_e32 v45, 3, v39
	v_sub_u32_e32 v32, 29, v46
	v_and_b32_e32 v40, 7, v40
	v_cmp_gt_u32_e32 vcc, 8, v39
	v_cndmask_b32_e32 v32, v45, v32, vcc
	v_cndmask_b32_e32 v37, v37, v40, vcc
	v_lshlrev_b32_e32 v30, 16, v30
	v_bfrev_b32_e32 v39, 60
	v_lshlrev_b32_e32 v37, 20, v37
	v_and_b32_e32 v30, 0x80000000, v30
	v_lshl_add_u32 v32, v32, 23, v39
	v_or3_b32 v30, v30, v32, v37
	v_lshrrev_b32_e32 v37, 16, v30
.LBB775_240:
	s_or_b64 exec, exec, s[24:25]
.LBB775_241:
	s_or_b64 exec, exec, s[14:15]
.LBB775_242:
	s_or_b64 exec, exec, s[12:13]
	s_movk_i32 s11, 0xff
	v_and_b32_sdwa v32, v27, s11 dst_sel:DWORD dst_unused:UNUSED_PAD src0_sel:WORD_1 src1_sel:DWORD
	v_lshrrev_b32_e32 v30, 16, v27
	v_cmp_ne_u16_e32 vcc, 0, v32
	s_and_saveexec_b64 s[12:13], vcc
	s_cbranch_execz .LBB775_248
; %bb.243:
	s_movk_i32 s11, 0x80
	v_cmp_ne_u16_e32 vcc, s11, v32
	v_mov_b32_e32 v38, 0xffff8000
	s_and_saveexec_b64 s[14:15], vcc
	s_cbranch_execz .LBB775_247
; %bb.244:
	v_bfe_u32 v32, v27, 16, 7
	s_movk_i32 s11, 0x7f
	v_cmp_ne_u32_e32 vcc, s11, v32
	v_mov_b32_e32 v38, 0x7f80
	s_and_saveexec_b64 s[24:25], vcc
	s_cbranch_execz .LBB775_246
; %bb.245:
	v_and_b32_e32 v40, 7, v30
	v_ffbh_u32_e32 v38, v40
	v_min_u32_e32 v45, 32, v38
	v_subrev_u32_e32 v38, 28, v45
	v_lshlrev_b64 v[38:39], v38, v[30:31]
	v_and_b32_e32 v38, 7, v38
	v_cmp_gt_u32_e32 vcc, 8, v32
	v_lshrrev_b32_e32 v41, 3, v32
	v_sub_u32_e32 v30, 29, v45
	v_cndmask_b32_e32 v32, v40, v38, vcc
	v_mov_b32_e32 v38, 24
	v_cndmask_b32_e32 v30, v41, v30, vcc
	v_lshlrev_b32_sdwa v38, v38, v27 dst_sel:DWORD dst_unused:UNUSED_PAD src0_sel:DWORD src1_sel:WORD_1
	v_bfrev_b32_e32 v39, 60
	v_lshlrev_b32_e32 v32, 20, v32
	v_and_b32_e32 v38, 0x80000000, v38
	v_lshl_add_u32 v30, v30, 23, v39
	v_or3_b32 v30, v38, v30, v32
	v_lshrrev_b32_e32 v38, 16, v30
.LBB775_246:
	s_or_b64 exec, exec, s[24:25]
.LBB775_247:
	s_or_b64 exec, exec, s[14:15]
.LBB775_248:
	s_or_b64 exec, exec, s[12:13]
	s_mov_b32 s12, -1
	s_mov_b32 s13, 0xffffff
	v_cmp_lt_u64_e32 vcc, s[12:13], v[26:27]
	v_mov_b32_e32 v32, 0
	v_mov_b32_e32 v30, 0
	s_and_saveexec_b64 s[12:13], vcc
	s_cbranch_execz .LBB775_254
; %bb.249:
	v_lshrrev_b32_e32 v26, 24, v27
	s_movk_i32 s11, 0x80
	v_cmp_ne_u32_e32 vcc, s11, v26
	v_mov_b32_e32 v30, 0xffff8000
	s_and_saveexec_b64 s[14:15], vcc
	s_cbranch_execz .LBB775_253
; %bb.250:
	v_bfe_u32 v27, v27, 24, 7
	s_movk_i32 s11, 0x7f
	v_cmp_ne_u32_e32 vcc, s11, v27
	v_mov_b32_e32 v30, 0x7f80
	s_and_saveexec_b64 s[24:25], vcc
	s_cbranch_execz .LBB775_252
; %bb.251:
	v_and_b32_e32 v30, 7, v26
	v_ffbh_u32_e32 v40, v30
	v_min_u32_e32 v45, 32, v40
	v_subrev_u32_e32 v40, 28, v45
	v_lshlrev_b64 v[40:41], v40, v[26:27]
	v_lshrrev_b32_e32 v39, 3, v27
	v_sub_u32_e32 v41, 29, v45
	v_and_b32_e32 v40, 7, v40
	v_cmp_gt_u32_e32 vcc, 8, v27
	v_cndmask_b32_e32 v27, v39, v41, vcc
	v_cndmask_b32_e32 v30, v30, v40, vcc
	v_lshlrev_b32_e32 v26, 24, v26
	v_bfrev_b32_e32 v39, 60
	v_lshlrev_b32_e32 v30, 20, v30
	v_and_b32_e32 v26, 0x80000000, v26
	v_lshl_add_u32 v27, v27, 23, v39
	v_or3_b32 v26, v26, v27, v30
	v_lshrrev_b32_e32 v30, 16, v26
.LBB775_252:
	s_or_b64 exec, exec, s[24:25]
.LBB775_253:
	s_or_b64 exec, exec, s[14:15]
.LBB775_254:
	s_or_b64 exec, exec, s[12:13]
	s_mov_b32 s11, 0x5040100
	v_perm_b32 v27, v36, v35, s11
	v_perm_b32 v26, v33, v34, s11
	;; [unrolled: 1-line block ×4, first 2 shown]
	v_mfma_f32_4x4x4bf16_1k a[0:3], v[2:3], v[26:27], a[0:3] cbsz:4 abid:4
	v_cmp_ne_u16_sdwa s[14:15], v28, v32 src0_sel:BYTE_0 src1_sel:DWORD
	v_mfma_f32_4x4x4bf16_1k a[0:3], v[4:5], v[34:35], a[0:3] cbsz:4 abid:4
	s_and_saveexec_b64 s[12:13], s[14:15]
	s_cbranch_execz .LBB775_260
; %bb.255:
	s_movk_i32 s11, 0x80
	v_cmp_ne_u16_sdwa s[24:25], v28, s11 src0_sel:BYTE_0 src1_sel:DWORD
	v_mov_b32_e32 v32, 0xffff8000
	s_and_saveexec_b64 s[14:15], s[24:25]
	s_cbranch_execz .LBB775_259
; %bb.256:
	s_movk_i32 s11, 0x7f
	v_and_b32_e32 v26, 0x7f, v28
	v_cmp_ne_u32_e32 vcc, s11, v26
	v_mov_b32_e32 v32, 0x7f80
	s_and_saveexec_b64 s[24:25], vcc
	s_cbranch_execz .LBB775_258
; %bb.257:
	v_and_b32_e32 v27, 7, v28
	v_ffbh_u32_e32 v27, v27
	v_min_u32_e32 v27, 32, v27
	v_subrev_u32_e32 v31, 28, v27
	v_cmp_gt_u32_e32 vcc, 8, v26
	v_lshrrev_b32_e32 v30, 3, v26
	v_sub_u32_e32 v27, 29, v27
	v_cndmask_b32_e32 v26, 0, v31, vcc
	v_cndmask_b32_e32 v30, v30, v27, vcc
	v_lshlrev_b64 v[26:27], v26, v[28:29]
	v_lshlrev_b32_e32 v26, 20, v26
	v_lshlrev_b32_e32 v27, 24, v28
	v_bfrev_b32_e32 v31, 60
	v_and_b32_e32 v26, 0x700000, v26
	v_and_b32_e32 v27, 0x80000000, v27
	v_lshl_add_u32 v30, v30, 23, v31
	v_or3_b32 v26, v27, v30, v26
	v_lshrrev_b32_e32 v32, 16, v26
.LBB775_258:
	s_or_b64 exec, exec, s[24:25]
.LBB775_259:
	s_or_b64 exec, exec, s[14:15]
.LBB775_260:
	s_or_b64 exec, exec, s[12:13]
	v_lshrrev_b16_e32 v26, 8, v28
	v_cmp_ne_u16_e32 vcc, 0, v26
	v_mov_b32_e32 v33, 0
	v_mov_b32_e32 v31, 0
	s_and_saveexec_b64 s[12:13], vcc
	s_cbranch_execz .LBB775_266
; %bb.261:
	s_movk_i32 s11, 0x80
	v_cmp_ne_u16_e32 vcc, s11, v26
	v_mov_b32_e32 v31, 0xffff8000
	s_and_saveexec_b64 s[14:15], vcc
	s_cbranch_execz .LBB775_265
; %bb.262:
	s_movk_i32 s11, 0x7f
	v_and_b32_e32 v27, 0x7f, v26
	v_cmp_ne_u32_e32 vcc, s11, v27
	v_mov_b32_e32 v31, 0x7f80
	s_and_saveexec_b64 s[24:25], vcc
	s_cbranch_execz .LBB775_264
; %bb.263:
	v_and_b32_e32 v34, 7, v26
	v_ffbh_u32_e32 v30, v34
	v_min_u32_e32 v36, 32, v30
	v_subrev_u32_e32 v30, 28, v36
	v_lshlrev_b64 v[30:31], v30, v[26:27]
	v_lshrrev_b32_e32 v35, 3, v27
	v_sub_u32_e32 v26, 29, v36
	v_and_b32_e32 v30, 7, v30
	v_cmp_gt_u32_e32 vcc, 8, v27
	v_cndmask_b32_e32 v26, v35, v26, vcc
	v_cndmask_b32_e32 v27, v34, v30, vcc
	v_lshlrev_b32_e32 v30, 16, v28
	v_bfrev_b32_e32 v31, 60
	v_lshlrev_b32_e32 v27, 20, v27
	v_and_b32_e32 v30, 0x80000000, v30
	v_lshl_add_u32 v26, v26, 23, v31
	v_or3_b32 v26, v30, v26, v27
	v_lshrrev_b32_e32 v31, 16, v26
.LBB775_264:
	s_or_b64 exec, exec, s[24:25]
.LBB775_265:
	s_or_b64 exec, exec, s[14:15]
.LBB775_266:
	s_or_b64 exec, exec, s[12:13]
	s_movk_i32 s11, 0xff
	v_and_b32_sdwa v27, v28, s11 dst_sel:DWORD dst_unused:UNUSED_PAD src0_sel:WORD_1 src1_sel:DWORD
	v_lshrrev_b32_e32 v26, 16, v28
	v_cmp_ne_u16_e32 vcc, 0, v27
	s_and_saveexec_b64 s[12:13], vcc
	s_cbranch_execz .LBB775_272
; %bb.267:
	s_movk_i32 s11, 0x80
	v_cmp_ne_u16_e32 vcc, s11, v27
	v_mov_b32_e32 v33, 0xffff8000
	s_and_saveexec_b64 s[14:15], vcc
	s_cbranch_execz .LBB775_271
; %bb.268:
	v_bfe_u32 v27, v28, 16, 7
	s_movk_i32 s11, 0x7f
	v_cmp_ne_u32_e32 vcc, s11, v27
	v_mov_b32_e32 v33, 0x7f80
	s_and_saveexec_b64 s[24:25], vcc
	s_cbranch_execz .LBB775_270
; %bb.269:
	v_and_b32_e32 v30, 7, v26
	v_ffbh_u32_e32 v34, v30
	v_min_u32_e32 v36, 32, v34
	v_subrev_u32_e32 v34, 28, v36
	v_lshlrev_b64 v[34:35], v34, v[26:27]
	v_and_b32_e32 v34, 7, v34
	v_cmp_gt_u32_e32 vcc, 8, v27
	v_lshrrev_b32_e32 v33, 3, v27
	v_sub_u32_e32 v26, 29, v36
	v_cndmask_b32_e32 v27, v30, v34, vcc
	v_mov_b32_e32 v30, 24
	v_cndmask_b32_e32 v26, v33, v26, vcc
	v_lshlrev_b32_sdwa v30, v30, v28 dst_sel:DWORD dst_unused:UNUSED_PAD src0_sel:DWORD src1_sel:WORD_1
	v_bfrev_b32_e32 v33, 60
	v_lshlrev_b32_e32 v27, 20, v27
	v_and_b32_e32 v30, 0x80000000, v30
	v_lshl_add_u32 v26, v26, 23, v33
	v_or3_b32 v26, v30, v26, v27
	v_lshrrev_b32_e32 v33, 16, v26
.LBB775_270:
	s_or_b64 exec, exec, s[24:25]
.LBB775_271:
	s_or_b64 exec, exec, s[14:15]
.LBB775_272:
	s_or_b64 exec, exec, s[12:13]
	s_mov_b32 s11, 0xffffff
	v_cmp_lt_u32_e32 vcc, s11, v28
	v_mov_b32_e32 v27, 0
	v_mov_b32_e32 v34, 0
	s_and_saveexec_b64 s[12:13], vcc
	s_cbranch_execz .LBB775_278
; %bb.273:
	v_lshrrev_b32_e32 v26, 24, v28
	s_movk_i32 s11, 0x80
	v_cmp_ne_u32_e32 vcc, s11, v26
	v_mov_b32_e32 v34, 0xffff8000
	s_and_saveexec_b64 s[14:15], vcc
	s_cbranch_execz .LBB775_277
; %bb.274:
	v_bfe_u32 v30, v28, 24, 7
	s_movk_i32 s11, 0x7f
	v_cmp_ne_u32_e32 vcc, s11, v30
	v_mov_b32_e32 v34, 0x7f80
	s_and_saveexec_b64 s[24:25], vcc
	s_cbranch_execz .LBB775_276
; %bb.275:
	v_and_b32_e32 v36, 7, v26
	v_ffbh_u32_e32 v34, v36
	v_min_u32_e32 v38, 32, v34
	v_subrev_u32_e32 v34, 28, v38
	v_lshlrev_b64 v[34:35], v34, v[26:27]
	v_lshrrev_b32_e32 v37, 3, v30
	v_sub_u32_e32 v35, 29, v38
	v_and_b32_e32 v34, 7, v34
	v_cmp_gt_u32_e32 vcc, 8, v30
	v_cndmask_b32_e32 v30, v37, v35, vcc
	v_cndmask_b32_e32 v34, v36, v34, vcc
	v_lshlrev_b32_e32 v26, 24, v26
	v_bfrev_b32_e32 v35, 60
	v_lshlrev_b32_e32 v34, 20, v34
	v_and_b32_e32 v26, 0x80000000, v26
	v_lshl_add_u32 v30, v30, 23, v35
	v_or3_b32 v26, v26, v30, v34
	v_lshrrev_b32_e32 v34, 16, v26
.LBB775_276:
	s_or_b64 exec, exec, s[24:25]
.LBB775_277:
	s_or_b64 exec, exec, s[14:15]
.LBB775_278:
	s_or_b64 exec, exec, s[12:13]
	v_mov_b32_e32 v26, v29
	v_cmp_ne_u16_sdwa s[14:15], v29, v27 src0_sel:BYTE_0 src1_sel:DWORD
	s_and_saveexec_b64 s[12:13], s[14:15]
	s_cbranch_execz .LBB775_284
; %bb.279:
	s_movk_i32 s11, 0x80
	v_cmp_ne_u16_sdwa s[24:25], v29, s11 src0_sel:BYTE_0 src1_sel:DWORD
	v_mov_b32_e32 v30, 0xffff8000
	s_and_saveexec_b64 s[14:15], s[24:25]
	s_cbranch_execz .LBB775_283
; %bb.280:
	s_movk_i32 s11, 0x7f
	v_and_b32_e32 v35, 0x7f, v29
	v_cmp_ne_u32_e32 vcc, s11, v35
	v_mov_b32_e32 v30, 0x7f80
	s_and_saveexec_b64 s[24:25], vcc
	s_cbranch_execz .LBB775_282
; %bb.281:
	v_and_b32_e32 v30, 7, v29
	v_ffbh_u32_e32 v30, v30
	v_min_u32_e32 v30, 32, v30
	v_subrev_u32_e32 v37, 28, v30
	v_cmp_gt_u32_e32 vcc, 8, v35
	v_lshrrev_b32_e32 v36, 3, v35
	v_sub_u32_e32 v30, 29, v30
	v_cndmask_b32_e32 v35, 0, v37, vcc
	v_cndmask_b32_e32 v30, v36, v30, vcc
	v_lshlrev_b64 v[36:37], v35, v[26:27]
	v_lshlrev_b32_e32 v27, 20, v36
	v_lshlrev_b32_e32 v35, 24, v26
	v_bfrev_b32_e32 v36, 60
	v_and_b32_e32 v27, 0x700000, v27
	v_and_b32_e32 v35, 0x80000000, v35
	v_lshl_add_u32 v30, v30, 23, v36
	v_or3_b32 v27, v35, v30, v27
	v_lshrrev_b32_e32 v30, 16, v27
.LBB775_282:
	s_or_b64 exec, exec, s[24:25]
.LBB775_283:
	s_or_b64 exec, exec, s[14:15]
	v_mov_b32_e32 v27, v30
.LBB775_284:
	s_or_b64 exec, exec, s[12:13]
	v_lshrrev_b16_e32 v30, 8, v26
	v_cmp_ne_u16_e32 vcc, 0, v30
	v_mov_b32_e32 v36, 0
	v_mov_b32_e32 v35, 0
	s_and_saveexec_b64 s[12:13], vcc
	s_cbranch_execz .LBB775_290
; %bb.285:
	s_movk_i32 s11, 0x80
	v_cmp_ne_u16_e32 vcc, s11, v30
	v_mov_b32_e32 v35, 0xffff8000
	s_and_saveexec_b64 s[14:15], vcc
	s_cbranch_execz .LBB775_289
; %bb.286:
	s_movk_i32 s11, 0x7f
	v_and_b32_e32 v37, 0x7f, v30
	v_cmp_ne_u32_e32 vcc, s11, v37
	v_mov_b32_e32 v35, 0x7f80
	s_and_saveexec_b64 s[24:25], vcc
	s_cbranch_execz .LBB775_288
; %bb.287:
	v_and_b32_e32 v35, 7, v30
	v_ffbh_u32_e32 v38, v35
	v_min_u32_e32 v41, 32, v38
	v_subrev_u32_e32 v38, 28, v41
	v_lshlrev_b64 v[38:39], v38, v[30:31]
	v_lshrrev_b32_e32 v40, 3, v37
	v_sub_u32_e32 v30, 29, v41
	v_and_b32_e32 v38, 7, v38
	v_cmp_gt_u32_e32 vcc, 8, v37
	v_cndmask_b32_e32 v30, v40, v30, vcc
	v_cndmask_b32_e32 v35, v35, v38, vcc
	v_lshlrev_b32_e32 v26, 16, v26
	v_bfrev_b32_e32 v37, 60
	v_lshlrev_b32_e32 v35, 20, v35
	v_and_b32_e32 v26, 0x80000000, v26
	v_lshl_add_u32 v30, v30, 23, v37
	v_or3_b32 v26, v26, v30, v35
	v_lshrrev_b32_e32 v35, 16, v26
.LBB775_288:
	s_or_b64 exec, exec, s[24:25]
.LBB775_289:
	s_or_b64 exec, exec, s[14:15]
.LBB775_290:
	s_or_b64 exec, exec, s[12:13]
	s_movk_i32 s11, 0xff
	v_and_b32_sdwa v30, v29, s11 dst_sel:DWORD dst_unused:UNUSED_PAD src0_sel:WORD_1 src1_sel:DWORD
	v_lshrrev_b32_e32 v26, 16, v29
	v_cmp_ne_u16_e32 vcc, 0, v30
	s_and_saveexec_b64 s[12:13], vcc
	s_cbranch_execz .LBB775_296
; %bb.291:
	s_movk_i32 s11, 0x80
	v_cmp_ne_u16_e32 vcc, s11, v30
	v_mov_b32_e32 v36, 0xffff8000
	s_and_saveexec_b64 s[14:15], vcc
	s_cbranch_execz .LBB775_295
; %bb.292:
	v_bfe_u32 v30, v29, 16, 7
	s_movk_i32 s11, 0x7f
	v_cmp_ne_u32_e32 vcc, s11, v30
	v_mov_b32_e32 v36, 0x7f80
	s_and_saveexec_b64 s[24:25], vcc
	s_cbranch_execz .LBB775_294
; %bb.293:
	v_and_b32_e32 v38, 7, v26
	v_ffbh_u32_e32 v36, v38
	v_min_u32_e32 v40, 32, v36
	v_subrev_u32_e32 v36, 28, v40
	v_lshlrev_b64 v[36:37], v36, v[26:27]
	v_and_b32_e32 v36, 7, v36
	v_cmp_gt_u32_e32 vcc, 8, v30
	v_lshrrev_b32_e32 v39, 3, v30
	v_sub_u32_e32 v26, 29, v40
	v_cndmask_b32_e32 v30, v38, v36, vcc
	v_mov_b32_e32 v36, 24
	v_cndmask_b32_e32 v26, v39, v26, vcc
	v_lshlrev_b32_sdwa v36, v36, v29 dst_sel:DWORD dst_unused:UNUSED_PAD src0_sel:DWORD src1_sel:WORD_1
	v_bfrev_b32_e32 v37, 60
	v_lshlrev_b32_e32 v30, 20, v30
	v_and_b32_e32 v36, 0x80000000, v36
	v_lshl_add_u32 v26, v26, 23, v37
	v_or3_b32 v26, v36, v26, v30
	v_lshrrev_b32_e32 v36, 16, v26
.LBB775_294:
	s_or_b64 exec, exec, s[24:25]
.LBB775_295:
	s_or_b64 exec, exec, s[14:15]
.LBB775_296:
	s_or_b64 exec, exec, s[12:13]
	s_mov_b32 s12, -1
	s_mov_b32 s13, 0xffffff
	v_cmp_lt_u64_e32 vcc, s[12:13], v[28:29]
	v_mov_b32_e32 v30, 0
	v_mov_b32_e32 v28, 0
	s_and_saveexec_b64 s[12:13], vcc
	s_cbranch_execz .LBB775_302
; %bb.297:
	v_lshrrev_b32_e32 v26, 24, v29
	s_movk_i32 s11, 0x80
	v_cmp_ne_u32_e32 vcc, s11, v26
	v_mov_b32_e32 v28, 0xffff8000
	s_and_saveexec_b64 s[14:15], vcc
	s_cbranch_execz .LBB775_301
; %bb.298:
	v_bfe_u32 v29, v29, 24, 7
	s_movk_i32 s11, 0x7f
	v_cmp_ne_u32_e32 vcc, s11, v29
	v_mov_b32_e32 v28, 0x7f80
	s_and_saveexec_b64 s[24:25], vcc
	s_cbranch_execz .LBB775_300
; %bb.299:
	v_and_b32_e32 v28, 7, v26
	v_ffbh_u32_e32 v38, v28
	v_min_u32_e32 v40, 32, v38
	v_subrev_u32_e32 v38, 28, v40
	v_lshlrev_b64 v[38:39], v38, v[26:27]
	v_lshrrev_b32_e32 v37, 3, v29
	v_sub_u32_e32 v39, 29, v40
	v_and_b32_e32 v38, 7, v38
	v_cmp_gt_u32_e32 vcc, 8, v29
	v_cndmask_b32_e32 v29, v37, v39, vcc
	v_cndmask_b32_e32 v28, v28, v38, vcc
	v_lshlrev_b32_e32 v26, 24, v26
	v_bfrev_b32_e32 v37, 60
	v_lshlrev_b32_e32 v28, 20, v28
	v_and_b32_e32 v26, 0x80000000, v26
	v_lshl_add_u32 v29, v29, 23, v37
	v_or3_b32 v26, v26, v29, v28
	v_lshrrev_b32_e32 v28, 16, v26
.LBB775_300:
	s_or_b64 exec, exec, s[24:25]
.LBB775_301:
	s_or_b64 exec, exec, s[14:15]
.LBB775_302:
	s_or_b64 exec, exec, s[12:13]
	s_mov_b32 s11, 0x5040100
	v_perm_b32 v33, v34, v33, s11
	v_perm_b32 v32, v31, v32, s11
	;; [unrolled: 1-line block ×4, first 2 shown]
	v_mfma_f32_4x4x4bf16_1k a[0:3], v[2:3], v[32:33], a[0:3] cbsz:4 abid:5
	v_cmp_ne_u16_sdwa s[14:15], v22, v30 src0_sel:BYTE_0 src1_sel:DWORD
	v_mfma_f32_4x4x4bf16_1k a[0:3], v[4:5], v[28:29], a[0:3] cbsz:4 abid:5
	s_and_saveexec_b64 s[12:13], s[14:15]
	s_cbranch_execz .LBB775_308
; %bb.303:
	s_movk_i32 s11, 0x80
	v_cmp_ne_u16_sdwa s[24:25], v22, s11 src0_sel:BYTE_0 src1_sel:DWORD
	v_mov_b32_e32 v30, 0xffff8000
	s_and_saveexec_b64 s[14:15], s[24:25]
	s_cbranch_execz .LBB775_307
; %bb.304:
	s_movk_i32 s11, 0x7f
	v_and_b32_e32 v26, 0x7f, v22
	v_cmp_ne_u32_e32 vcc, s11, v26
	v_mov_b32_e32 v30, 0x7f80
	s_and_saveexec_b64 s[24:25], vcc
	s_cbranch_execz .LBB775_306
; %bb.305:
	v_and_b32_e32 v27, 7, v22
	v_ffbh_u32_e32 v27, v27
	v_min_u32_e32 v27, 32, v27
	v_subrev_u32_e32 v29, 28, v27
	v_cmp_gt_u32_e32 vcc, 8, v26
	v_lshrrev_b32_e32 v28, 3, v26
	v_sub_u32_e32 v27, 29, v27
	v_cndmask_b32_e32 v26, 0, v29, vcc
	v_cndmask_b32_e32 v28, v28, v27, vcc
	v_lshlrev_b64 v[26:27], v26, v[22:23]
	v_lshlrev_b32_e32 v26, 20, v26
	v_lshlrev_b32_e32 v27, 24, v22
	v_bfrev_b32_e32 v29, 60
	v_and_b32_e32 v26, 0x700000, v26
	v_and_b32_e32 v27, 0x80000000, v27
	v_lshl_add_u32 v28, v28, 23, v29
	v_or3_b32 v26, v27, v28, v26
	v_lshrrev_b32_e32 v30, 16, v26
.LBB775_306:
	s_or_b64 exec, exec, s[24:25]
.LBB775_307:
	s_or_b64 exec, exec, s[14:15]
.LBB775_308:
	s_or_b64 exec, exec, s[12:13]
	v_lshrrev_b16_e32 v26, 8, v22
	v_cmp_ne_u16_e32 vcc, 0, v26
	v_mov_b32_e32 v31, 0
	v_mov_b32_e32 v29, 0
	s_and_saveexec_b64 s[12:13], vcc
	s_cbranch_execz .LBB775_314
; %bb.309:
	s_movk_i32 s11, 0x80
	v_cmp_ne_u16_e32 vcc, s11, v26
	v_mov_b32_e32 v29, 0xffff8000
	s_and_saveexec_b64 s[14:15], vcc
	s_cbranch_execz .LBB775_313
; %bb.310:
	s_movk_i32 s11, 0x7f
	v_and_b32_e32 v27, 0x7f, v26
	v_cmp_ne_u32_e32 vcc, s11, v27
	v_mov_b32_e32 v29, 0x7f80
	s_and_saveexec_b64 s[24:25], vcc
	s_cbranch_execz .LBB775_312
; %bb.311:
	v_and_b32_e32 v32, 7, v26
	v_ffbh_u32_e32 v28, v32
	v_min_u32_e32 v34, 32, v28
	v_subrev_u32_e32 v28, 28, v34
	v_lshlrev_b64 v[28:29], v28, v[26:27]
	v_lshrrev_b32_e32 v33, 3, v27
	v_sub_u32_e32 v26, 29, v34
	v_and_b32_e32 v28, 7, v28
	v_cmp_gt_u32_e32 vcc, 8, v27
	v_cndmask_b32_e32 v26, v33, v26, vcc
	v_cndmask_b32_e32 v27, v32, v28, vcc
	v_lshlrev_b32_e32 v28, 16, v22
	v_bfrev_b32_e32 v29, 60
	v_lshlrev_b32_e32 v27, 20, v27
	v_and_b32_e32 v28, 0x80000000, v28
	v_lshl_add_u32 v26, v26, 23, v29
	v_or3_b32 v26, v28, v26, v27
	v_lshrrev_b32_e32 v29, 16, v26
.LBB775_312:
	s_or_b64 exec, exec, s[24:25]
.LBB775_313:
	s_or_b64 exec, exec, s[14:15]
.LBB775_314:
	s_or_b64 exec, exec, s[12:13]
	s_movk_i32 s11, 0xff
	v_and_b32_sdwa v27, v22, s11 dst_sel:DWORD dst_unused:UNUSED_PAD src0_sel:WORD_1 src1_sel:DWORD
	v_lshrrev_b32_e32 v26, 16, v22
	v_cmp_ne_u16_e32 vcc, 0, v27
	s_and_saveexec_b64 s[12:13], vcc
	s_cbranch_execz .LBB775_320
; %bb.315:
	s_movk_i32 s11, 0x80
	v_cmp_ne_u16_e32 vcc, s11, v27
	v_mov_b32_e32 v31, 0xffff8000
	s_and_saveexec_b64 s[14:15], vcc
	s_cbranch_execz .LBB775_319
; %bb.316:
	v_bfe_u32 v27, v22, 16, 7
	s_movk_i32 s11, 0x7f
	v_cmp_ne_u32_e32 vcc, s11, v27
	v_mov_b32_e32 v31, 0x7f80
	s_and_saveexec_b64 s[24:25], vcc
	s_cbranch_execz .LBB775_318
; %bb.317:
	v_and_b32_e32 v28, 7, v26
	v_ffbh_u32_e32 v32, v28
	v_min_u32_e32 v34, 32, v32
	v_subrev_u32_e32 v32, 28, v34
	v_lshlrev_b64 v[32:33], v32, v[26:27]
	v_and_b32_e32 v32, 7, v32
	v_cmp_gt_u32_e32 vcc, 8, v27
	v_lshrrev_b32_e32 v31, 3, v27
	v_sub_u32_e32 v26, 29, v34
	v_cndmask_b32_e32 v27, v28, v32, vcc
	v_mov_b32_e32 v28, 24
	v_cndmask_b32_e32 v26, v31, v26, vcc
	v_lshlrev_b32_sdwa v28, v28, v22 dst_sel:DWORD dst_unused:UNUSED_PAD src0_sel:DWORD src1_sel:WORD_1
	v_bfrev_b32_e32 v31, 60
	v_lshlrev_b32_e32 v27, 20, v27
	v_and_b32_e32 v28, 0x80000000, v28
	v_lshl_add_u32 v26, v26, 23, v31
	v_or3_b32 v26, v28, v26, v27
	v_lshrrev_b32_e32 v31, 16, v26
.LBB775_318:
	s_or_b64 exec, exec, s[24:25]
.LBB775_319:
	s_or_b64 exec, exec, s[14:15]
.LBB775_320:
	s_or_b64 exec, exec, s[12:13]
	s_mov_b32 s11, 0xffffff
	v_cmp_lt_u32_e32 vcc, s11, v22
	v_mov_b32_e32 v27, 0
	v_mov_b32_e32 v32, 0
	s_and_saveexec_b64 s[12:13], vcc
	s_cbranch_execz .LBB775_326
; %bb.321:
	v_lshrrev_b32_e32 v26, 24, v22
	s_movk_i32 s11, 0x80
	v_cmp_ne_u32_e32 vcc, s11, v26
	v_mov_b32_e32 v32, 0xffff8000
	s_and_saveexec_b64 s[14:15], vcc
	s_cbranch_execz .LBB775_325
; %bb.322:
	v_bfe_u32 v28, v22, 24, 7
	s_movk_i32 s11, 0x7f
	v_cmp_ne_u32_e32 vcc, s11, v28
	v_mov_b32_e32 v32, 0x7f80
	s_and_saveexec_b64 s[24:25], vcc
	s_cbranch_execz .LBB775_324
; %bb.323:
	v_and_b32_e32 v34, 7, v26
	v_ffbh_u32_e32 v32, v34
	v_min_u32_e32 v36, 32, v32
	v_subrev_u32_e32 v32, 28, v36
	v_lshlrev_b64 v[32:33], v32, v[26:27]
	v_lshrrev_b32_e32 v35, 3, v28
	v_sub_u32_e32 v33, 29, v36
	v_and_b32_e32 v32, 7, v32
	v_cmp_gt_u32_e32 vcc, 8, v28
	v_cndmask_b32_e32 v28, v35, v33, vcc
	v_cndmask_b32_e32 v32, v34, v32, vcc
	v_lshlrev_b32_e32 v26, 24, v26
	v_bfrev_b32_e32 v33, 60
	v_lshlrev_b32_e32 v32, 20, v32
	v_and_b32_e32 v26, 0x80000000, v26
	v_lshl_add_u32 v28, v28, 23, v33
	v_or3_b32 v26, v26, v28, v32
	v_lshrrev_b32_e32 v32, 16, v26
.LBB775_324:
	s_or_b64 exec, exec, s[24:25]
.LBB775_325:
	s_or_b64 exec, exec, s[14:15]
.LBB775_326:
	s_or_b64 exec, exec, s[12:13]
	v_mov_b32_e32 v26, v23
	v_cmp_ne_u16_sdwa s[14:15], v23, v27 src0_sel:BYTE_0 src1_sel:DWORD
	s_and_saveexec_b64 s[12:13], s[14:15]
	s_cbranch_execz .LBB775_332
; %bb.327:
	s_movk_i32 s11, 0x80
	v_cmp_ne_u16_sdwa s[24:25], v23, s11 src0_sel:BYTE_0 src1_sel:DWORD
	v_mov_b32_e32 v28, 0xffff8000
	s_and_saveexec_b64 s[14:15], s[24:25]
	s_cbranch_execz .LBB775_331
; %bb.328:
	s_movk_i32 s11, 0x7f
	v_and_b32_e32 v33, 0x7f, v23
	v_cmp_ne_u32_e32 vcc, s11, v33
	v_mov_b32_e32 v28, 0x7f80
	s_and_saveexec_b64 s[24:25], vcc
	s_cbranch_execz .LBB775_330
; %bb.329:
	v_and_b32_e32 v28, 7, v23
	v_ffbh_u32_e32 v28, v28
	v_min_u32_e32 v28, 32, v28
	v_subrev_u32_e32 v35, 28, v28
	v_cmp_gt_u32_e32 vcc, 8, v33
	v_lshrrev_b32_e32 v34, 3, v33
	v_sub_u32_e32 v28, 29, v28
	v_cndmask_b32_e32 v33, 0, v35, vcc
	v_cndmask_b32_e32 v28, v34, v28, vcc
	v_lshlrev_b64 v[34:35], v33, v[26:27]
	v_lshlrev_b32_e32 v27, 20, v34
	v_lshlrev_b32_e32 v33, 24, v26
	v_bfrev_b32_e32 v34, 60
	v_and_b32_e32 v27, 0x700000, v27
	v_and_b32_e32 v33, 0x80000000, v33
	v_lshl_add_u32 v28, v28, 23, v34
	v_or3_b32 v27, v33, v28, v27
	v_lshrrev_b32_e32 v28, 16, v27
.LBB775_330:
	s_or_b64 exec, exec, s[24:25]
.LBB775_331:
	s_or_b64 exec, exec, s[14:15]
	v_mov_b32_e32 v27, v28
.LBB775_332:
	s_or_b64 exec, exec, s[12:13]
	v_lshrrev_b16_e32 v28, 8, v26
	v_cmp_ne_u16_e32 vcc, 0, v28
	v_mov_b32_e32 v34, 0
	v_mov_b32_e32 v33, 0
	s_and_saveexec_b64 s[12:13], vcc
	s_cbranch_execz .LBB775_338
; %bb.333:
	s_movk_i32 s11, 0x80
	v_cmp_ne_u16_e32 vcc, s11, v28
	v_mov_b32_e32 v33, 0xffff8000
	s_and_saveexec_b64 s[14:15], vcc
	s_cbranch_execz .LBB775_337
; %bb.334:
	s_movk_i32 s11, 0x7f
	v_and_b32_e32 v35, 0x7f, v28
	v_cmp_ne_u32_e32 vcc, s11, v35
	v_mov_b32_e32 v33, 0x7f80
	s_and_saveexec_b64 s[24:25], vcc
	s_cbranch_execz .LBB775_336
; %bb.335:
	v_and_b32_e32 v33, 7, v28
	v_ffbh_u32_e32 v36, v33
	v_min_u32_e32 v39, 32, v36
	v_subrev_u32_e32 v36, 28, v39
	v_lshlrev_b64 v[36:37], v36, v[28:29]
	v_lshrrev_b32_e32 v38, 3, v35
	v_sub_u32_e32 v28, 29, v39
	v_and_b32_e32 v36, 7, v36
	v_cmp_gt_u32_e32 vcc, 8, v35
	v_cndmask_b32_e32 v28, v38, v28, vcc
	v_cndmask_b32_e32 v33, v33, v36, vcc
	v_lshlrev_b32_e32 v26, 16, v26
	v_bfrev_b32_e32 v35, 60
	v_lshlrev_b32_e32 v33, 20, v33
	v_and_b32_e32 v26, 0x80000000, v26
	v_lshl_add_u32 v28, v28, 23, v35
	v_or3_b32 v26, v26, v28, v33
	v_lshrrev_b32_e32 v33, 16, v26
.LBB775_336:
	s_or_b64 exec, exec, s[24:25]
.LBB775_337:
	s_or_b64 exec, exec, s[14:15]
.LBB775_338:
	s_or_b64 exec, exec, s[12:13]
	s_movk_i32 s11, 0xff
	v_and_b32_sdwa v28, v23, s11 dst_sel:DWORD dst_unused:UNUSED_PAD src0_sel:WORD_1 src1_sel:DWORD
	v_lshrrev_b32_e32 v26, 16, v23
	v_cmp_ne_u16_e32 vcc, 0, v28
	s_and_saveexec_b64 s[12:13], vcc
	s_cbranch_execz .LBB775_344
; %bb.339:
	s_movk_i32 s11, 0x80
	v_cmp_ne_u16_e32 vcc, s11, v28
	v_mov_b32_e32 v34, 0xffff8000
	s_and_saveexec_b64 s[14:15], vcc
	s_cbranch_execz .LBB775_343
; %bb.340:
	v_bfe_u32 v28, v23, 16, 7
	s_movk_i32 s11, 0x7f
	v_cmp_ne_u32_e32 vcc, s11, v28
	v_mov_b32_e32 v34, 0x7f80
	s_and_saveexec_b64 s[24:25], vcc
	s_cbranch_execz .LBB775_342
; %bb.341:
	v_and_b32_e32 v36, 7, v26
	v_ffbh_u32_e32 v34, v36
	v_min_u32_e32 v38, 32, v34
	v_subrev_u32_e32 v34, 28, v38
	v_lshlrev_b64 v[34:35], v34, v[26:27]
	v_and_b32_e32 v34, 7, v34
	v_cmp_gt_u32_e32 vcc, 8, v28
	v_lshrrev_b32_e32 v37, 3, v28
	v_sub_u32_e32 v26, 29, v38
	v_cndmask_b32_e32 v28, v36, v34, vcc
	v_mov_b32_e32 v34, 24
	v_cndmask_b32_e32 v26, v37, v26, vcc
	v_lshlrev_b32_sdwa v34, v34, v23 dst_sel:DWORD dst_unused:UNUSED_PAD src0_sel:DWORD src1_sel:WORD_1
	v_bfrev_b32_e32 v35, 60
	v_lshlrev_b32_e32 v28, 20, v28
	v_and_b32_e32 v34, 0x80000000, v34
	v_lshl_add_u32 v26, v26, 23, v35
	v_or3_b32 v26, v34, v26, v28
	v_lshrrev_b32_e32 v34, 16, v26
.LBB775_342:
	s_or_b64 exec, exec, s[24:25]
.LBB775_343:
	s_or_b64 exec, exec, s[14:15]
.LBB775_344:
	s_or_b64 exec, exec, s[12:13]
	s_mov_b32 s12, -1
	s_mov_b32 s13, 0xffffff
	v_cmp_lt_u64_e32 vcc, s[12:13], v[22:23]
	v_mov_b32_e32 v28, 0
	v_mov_b32_e32 v26, 0
	s_and_saveexec_b64 s[12:13], vcc
	s_cbranch_execz .LBB775_350
; %bb.345:
	v_lshrrev_b32_e32 v22, 24, v23
	s_movk_i32 s11, 0x80
	v_cmp_ne_u32_e32 vcc, s11, v22
	v_mov_b32_e32 v26, 0xffff8000
	s_and_saveexec_b64 s[14:15], vcc
	s_cbranch_execz .LBB775_349
; %bb.346:
	v_bfe_u32 v23, v23, 24, 7
	s_movk_i32 s11, 0x7f
	v_cmp_ne_u32_e32 vcc, s11, v23
	v_mov_b32_e32 v26, 0x7f80
	s_and_saveexec_b64 s[24:25], vcc
	s_cbranch_execz .LBB775_348
; %bb.347:
	v_and_b32_e32 v26, 7, v22
	v_ffbh_u32_e32 v36, v26
	v_min_u32_e32 v38, 32, v36
	v_subrev_u32_e32 v36, 28, v38
	v_lshlrev_b64 v[36:37], v36, v[22:23]
	v_lshrrev_b32_e32 v35, 3, v23
	v_sub_u32_e32 v37, 29, v38
	v_and_b32_e32 v36, 7, v36
	v_cmp_gt_u32_e32 vcc, 8, v23
	v_cndmask_b32_e32 v23, v35, v37, vcc
	v_cndmask_b32_e32 v26, v26, v36, vcc
	v_lshlrev_b32_e32 v22, 24, v22
	v_bfrev_b32_e32 v35, 60
	v_lshlrev_b32_e32 v26, 20, v26
	v_and_b32_e32 v22, 0x80000000, v22
	v_lshl_add_u32 v23, v23, 23, v35
	v_or3_b32 v22, v22, v23, v26
	v_lshrrev_b32_e32 v26, 16, v22
.LBB775_348:
	s_or_b64 exec, exec, s[24:25]
.LBB775_349:
	s_or_b64 exec, exec, s[14:15]
.LBB775_350:
	s_or_b64 exec, exec, s[12:13]
	s_mov_b32 s11, 0x5040100
	v_perm_b32 v23, v32, v31, s11
	v_perm_b32 v22, v29, v30, s11
	;; [unrolled: 1-line block ×4, first 2 shown]
	v_mfma_f32_4x4x4bf16_1k a[0:3], v[2:3], v[22:23], a[0:3] cbsz:4 abid:6
	v_cmp_ne_u16_sdwa s[14:15], v24, v28 src0_sel:BYTE_0 src1_sel:DWORD
	v_mfma_f32_4x4x4bf16_1k a[0:3], v[4:5], v[30:31], a[0:3] cbsz:4 abid:6
	s_and_saveexec_b64 s[12:13], s[14:15]
	s_cbranch_execz .LBB775_356
; %bb.351:
	s_movk_i32 s11, 0x80
	v_cmp_ne_u16_sdwa s[24:25], v24, s11 src0_sel:BYTE_0 src1_sel:DWORD
	v_mov_b32_e32 v28, 0xffff8000
	s_and_saveexec_b64 s[14:15], s[24:25]
	s_cbranch_execz .LBB775_355
; %bb.352:
	s_movk_i32 s11, 0x7f
	v_and_b32_e32 v22, 0x7f, v24
	v_cmp_ne_u32_e32 vcc, s11, v22
	v_mov_b32_e32 v28, 0x7f80
	s_and_saveexec_b64 s[24:25], vcc
	s_cbranch_execz .LBB775_354
; %bb.353:
	v_and_b32_e32 v23, 7, v24
	v_ffbh_u32_e32 v23, v23
	v_min_u32_e32 v23, 32, v23
	v_subrev_u32_e32 v27, 28, v23
	v_cmp_gt_u32_e32 vcc, 8, v22
	v_lshrrev_b32_e32 v26, 3, v22
	v_sub_u32_e32 v23, 29, v23
	v_cndmask_b32_e32 v22, 0, v27, vcc
	v_cndmask_b32_e32 v26, v26, v23, vcc
	v_lshlrev_b64 v[22:23], v22, v[24:25]
	v_lshlrev_b32_e32 v22, 20, v22
	v_lshlrev_b32_e32 v23, 24, v24
	v_bfrev_b32_e32 v27, 60
	v_and_b32_e32 v22, 0x700000, v22
	v_and_b32_e32 v23, 0x80000000, v23
	v_lshl_add_u32 v26, v26, 23, v27
	v_or3_b32 v22, v23, v26, v22
	v_lshrrev_b32_e32 v28, 16, v22
.LBB775_354:
	s_or_b64 exec, exec, s[24:25]
.LBB775_355:
	s_or_b64 exec, exec, s[14:15]
.LBB775_356:
	s_or_b64 exec, exec, s[12:13]
	v_lshrrev_b16_e32 v22, 8, v24
	v_cmp_ne_u16_e32 vcc, 0, v22
	v_mov_b32_e32 v29, 0
	v_mov_b32_e32 v27, 0
	s_and_saveexec_b64 s[12:13], vcc
	s_cbranch_execz .LBB775_362
; %bb.357:
	s_movk_i32 s11, 0x80
	v_cmp_ne_u16_e32 vcc, s11, v22
	v_mov_b32_e32 v27, 0xffff8000
	s_and_saveexec_b64 s[14:15], vcc
	s_cbranch_execz .LBB775_361
; %bb.358:
	s_movk_i32 s11, 0x7f
	v_and_b32_e32 v23, 0x7f, v22
	v_cmp_ne_u32_e32 vcc, s11, v23
	v_mov_b32_e32 v27, 0x7f80
	s_and_saveexec_b64 s[24:25], vcc
	s_cbranch_execz .LBB775_360
; %bb.359:
	v_and_b32_e32 v30, 7, v22
	v_ffbh_u32_e32 v26, v30
	v_min_u32_e32 v32, 32, v26
	v_subrev_u32_e32 v26, 28, v32
	v_lshlrev_b64 v[26:27], v26, v[22:23]
	v_lshrrev_b32_e32 v31, 3, v23
	v_sub_u32_e32 v22, 29, v32
	v_and_b32_e32 v26, 7, v26
	v_cmp_gt_u32_e32 vcc, 8, v23
	v_cndmask_b32_e32 v22, v31, v22, vcc
	v_cndmask_b32_e32 v23, v30, v26, vcc
	v_lshlrev_b32_e32 v26, 16, v24
	v_bfrev_b32_e32 v27, 60
	v_lshlrev_b32_e32 v23, 20, v23
	v_and_b32_e32 v26, 0x80000000, v26
	v_lshl_add_u32 v22, v22, 23, v27
	v_or3_b32 v22, v26, v22, v23
	v_lshrrev_b32_e32 v27, 16, v22
.LBB775_360:
	s_or_b64 exec, exec, s[24:25]
.LBB775_361:
	s_or_b64 exec, exec, s[14:15]
.LBB775_362:
	s_or_b64 exec, exec, s[12:13]
	s_movk_i32 s11, 0xff
	v_and_b32_sdwa v23, v24, s11 dst_sel:DWORD dst_unused:UNUSED_PAD src0_sel:WORD_1 src1_sel:DWORD
	v_lshrrev_b32_e32 v22, 16, v24
	v_cmp_ne_u16_e32 vcc, 0, v23
	s_and_saveexec_b64 s[12:13], vcc
	s_cbranch_execz .LBB775_368
; %bb.363:
	s_movk_i32 s11, 0x80
	v_cmp_ne_u16_e32 vcc, s11, v23
	v_mov_b32_e32 v29, 0xffff8000
	s_and_saveexec_b64 s[14:15], vcc
	s_cbranch_execz .LBB775_367
; %bb.364:
	v_bfe_u32 v23, v24, 16, 7
	s_movk_i32 s11, 0x7f
	v_cmp_ne_u32_e32 vcc, s11, v23
	v_mov_b32_e32 v29, 0x7f80
	s_and_saveexec_b64 s[24:25], vcc
	s_cbranch_execz .LBB775_366
; %bb.365:
	v_and_b32_e32 v26, 7, v22
	v_ffbh_u32_e32 v30, v26
	v_min_u32_e32 v32, 32, v30
	v_subrev_u32_e32 v30, 28, v32
	v_lshlrev_b64 v[30:31], v30, v[22:23]
	v_and_b32_e32 v30, 7, v30
	v_cmp_gt_u32_e32 vcc, 8, v23
	v_lshrrev_b32_e32 v29, 3, v23
	v_sub_u32_e32 v22, 29, v32
	v_cndmask_b32_e32 v23, v26, v30, vcc
	v_mov_b32_e32 v26, 24
	v_cndmask_b32_e32 v22, v29, v22, vcc
	v_lshlrev_b32_sdwa v26, v26, v24 dst_sel:DWORD dst_unused:UNUSED_PAD src0_sel:DWORD src1_sel:WORD_1
	v_bfrev_b32_e32 v29, 60
	v_lshlrev_b32_e32 v23, 20, v23
	v_and_b32_e32 v26, 0x80000000, v26
	v_lshl_add_u32 v22, v22, 23, v29
	v_or3_b32 v22, v26, v22, v23
	v_lshrrev_b32_e32 v29, 16, v22
.LBB775_366:
	s_or_b64 exec, exec, s[24:25]
.LBB775_367:
	s_or_b64 exec, exec, s[14:15]
.LBB775_368:
	s_or_b64 exec, exec, s[12:13]
	s_mov_b32 s11, 0xffffff
	v_cmp_lt_u32_e32 vcc, s11, v24
	v_mov_b32_e32 v23, 0
	v_mov_b32_e32 v30, 0
	s_and_saveexec_b64 s[12:13], vcc
	s_cbranch_execz .LBB775_374
; %bb.369:
	v_lshrrev_b32_e32 v22, 24, v24
	s_movk_i32 s11, 0x80
	v_cmp_ne_u32_e32 vcc, s11, v22
	v_mov_b32_e32 v30, 0xffff8000
	s_and_saveexec_b64 s[14:15], vcc
	s_cbranch_execz .LBB775_373
; %bb.370:
	v_bfe_u32 v26, v24, 24, 7
	s_movk_i32 s11, 0x7f
	v_cmp_ne_u32_e32 vcc, s11, v26
	v_mov_b32_e32 v30, 0x7f80
	s_and_saveexec_b64 s[24:25], vcc
	s_cbranch_execz .LBB775_372
; %bb.371:
	v_and_b32_e32 v32, 7, v22
	v_ffbh_u32_e32 v30, v32
	v_min_u32_e32 v34, 32, v30
	v_subrev_u32_e32 v30, 28, v34
	v_lshlrev_b64 v[30:31], v30, v[22:23]
	v_lshrrev_b32_e32 v33, 3, v26
	v_sub_u32_e32 v31, 29, v34
	v_and_b32_e32 v30, 7, v30
	v_cmp_gt_u32_e32 vcc, 8, v26
	v_cndmask_b32_e32 v26, v33, v31, vcc
	v_cndmask_b32_e32 v30, v32, v30, vcc
	v_lshlrev_b32_e32 v22, 24, v22
	v_bfrev_b32_e32 v31, 60
	v_lshlrev_b32_e32 v30, 20, v30
	v_and_b32_e32 v22, 0x80000000, v22
	v_lshl_add_u32 v26, v26, 23, v31
	v_or3_b32 v22, v22, v26, v30
	v_lshrrev_b32_e32 v30, 16, v22
.LBB775_372:
	s_or_b64 exec, exec, s[24:25]
.LBB775_373:
	s_or_b64 exec, exec, s[14:15]
.LBB775_374:
	s_or_b64 exec, exec, s[12:13]
	v_mov_b32_e32 v22, v25
	v_cmp_ne_u16_sdwa s[14:15], v25, v23 src0_sel:BYTE_0 src1_sel:DWORD
	s_and_saveexec_b64 s[12:13], s[14:15]
	s_cbranch_execz .LBB775_380
; %bb.375:
	s_movk_i32 s11, 0x80
	v_cmp_ne_u16_sdwa s[24:25], v25, s11 src0_sel:BYTE_0 src1_sel:DWORD
	v_mov_b32_e32 v26, 0xffff8000
	s_and_saveexec_b64 s[14:15], s[24:25]
	s_cbranch_execz .LBB775_379
; %bb.376:
	s_movk_i32 s11, 0x7f
	v_and_b32_e32 v31, 0x7f, v25
	v_cmp_ne_u32_e32 vcc, s11, v31
	v_mov_b32_e32 v26, 0x7f80
	s_and_saveexec_b64 s[24:25], vcc
	s_cbranch_execz .LBB775_378
; %bb.377:
	v_and_b32_e32 v26, 7, v25
	v_ffbh_u32_e32 v26, v26
	v_min_u32_e32 v26, 32, v26
	v_subrev_u32_e32 v33, 28, v26
	v_cmp_gt_u32_e32 vcc, 8, v31
	v_lshrrev_b32_e32 v32, 3, v31
	v_sub_u32_e32 v26, 29, v26
	v_cndmask_b32_e32 v31, 0, v33, vcc
	v_cndmask_b32_e32 v26, v32, v26, vcc
	v_lshlrev_b64 v[32:33], v31, v[22:23]
	v_lshlrev_b32_e32 v23, 20, v32
	v_lshlrev_b32_e32 v31, 24, v22
	v_bfrev_b32_e32 v32, 60
	v_and_b32_e32 v23, 0x700000, v23
	v_and_b32_e32 v31, 0x80000000, v31
	v_lshl_add_u32 v26, v26, 23, v32
	v_or3_b32 v23, v31, v26, v23
	v_lshrrev_b32_e32 v26, 16, v23
.LBB775_378:
	s_or_b64 exec, exec, s[24:25]
.LBB775_379:
	s_or_b64 exec, exec, s[14:15]
	v_mov_b32_e32 v23, v26
.LBB775_380:
	s_or_b64 exec, exec, s[12:13]
	v_lshrrev_b16_e32 v26, 8, v22
	v_cmp_ne_u16_e32 vcc, 0, v26
	v_mov_b32_e32 v32, 0
	v_mov_b32_e32 v31, 0
	s_and_saveexec_b64 s[12:13], vcc
	s_cbranch_execz .LBB775_386
; %bb.381:
	s_movk_i32 s11, 0x80
	v_cmp_ne_u16_e32 vcc, s11, v26
	v_mov_b32_e32 v31, 0xffff8000
	s_and_saveexec_b64 s[14:15], vcc
	s_cbranch_execz .LBB775_385
; %bb.382:
	s_movk_i32 s11, 0x7f
	v_and_b32_e32 v33, 0x7f, v26
	v_cmp_ne_u32_e32 vcc, s11, v33
	v_mov_b32_e32 v31, 0x7f80
	s_and_saveexec_b64 s[24:25], vcc
	s_cbranch_execz .LBB775_384
; %bb.383:
	v_and_b32_e32 v31, 7, v26
	v_ffbh_u32_e32 v34, v31
	v_min_u32_e32 v37, 32, v34
	v_subrev_u32_e32 v34, 28, v37
	v_lshlrev_b64 v[34:35], v34, v[26:27]
	v_lshrrev_b32_e32 v36, 3, v33
	v_sub_u32_e32 v26, 29, v37
	v_and_b32_e32 v34, 7, v34
	v_cmp_gt_u32_e32 vcc, 8, v33
	v_cndmask_b32_e32 v26, v36, v26, vcc
	v_cndmask_b32_e32 v31, v31, v34, vcc
	v_lshlrev_b32_e32 v22, 16, v22
	v_bfrev_b32_e32 v33, 60
	v_lshlrev_b32_e32 v31, 20, v31
	v_and_b32_e32 v22, 0x80000000, v22
	v_lshl_add_u32 v26, v26, 23, v33
	v_or3_b32 v22, v22, v26, v31
	v_lshrrev_b32_e32 v31, 16, v22
.LBB775_384:
	s_or_b64 exec, exec, s[24:25]
.LBB775_385:
	s_or_b64 exec, exec, s[14:15]
.LBB775_386:
	s_or_b64 exec, exec, s[12:13]
	s_movk_i32 s11, 0xff
	v_and_b32_sdwa v26, v25, s11 dst_sel:DWORD dst_unused:UNUSED_PAD src0_sel:WORD_1 src1_sel:DWORD
	v_lshrrev_b32_e32 v22, 16, v25
	v_cmp_ne_u16_e32 vcc, 0, v26
	s_and_saveexec_b64 s[12:13], vcc
	s_cbranch_execz .LBB775_392
; %bb.387:
	s_movk_i32 s11, 0x80
	v_cmp_ne_u16_e32 vcc, s11, v26
	v_mov_b32_e32 v32, 0xffff8000
	s_and_saveexec_b64 s[14:15], vcc
	s_cbranch_execz .LBB775_391
; %bb.388:
	v_bfe_u32 v26, v25, 16, 7
	s_movk_i32 s11, 0x7f
	v_cmp_ne_u32_e32 vcc, s11, v26
	v_mov_b32_e32 v32, 0x7f80
	s_and_saveexec_b64 s[24:25], vcc
	s_cbranch_execz .LBB775_390
; %bb.389:
	v_and_b32_e32 v34, 7, v22
	v_ffbh_u32_e32 v32, v34
	v_min_u32_e32 v36, 32, v32
	v_subrev_u32_e32 v32, 28, v36
	v_lshlrev_b64 v[32:33], v32, v[22:23]
	v_and_b32_e32 v32, 7, v32
	v_cmp_gt_u32_e32 vcc, 8, v26
	v_lshrrev_b32_e32 v35, 3, v26
	v_sub_u32_e32 v22, 29, v36
	v_cndmask_b32_e32 v26, v34, v32, vcc
	v_mov_b32_e32 v32, 24
	v_cndmask_b32_e32 v22, v35, v22, vcc
	v_lshlrev_b32_sdwa v32, v32, v25 dst_sel:DWORD dst_unused:UNUSED_PAD src0_sel:DWORD src1_sel:WORD_1
	v_bfrev_b32_e32 v33, 60
	v_lshlrev_b32_e32 v26, 20, v26
	v_and_b32_e32 v32, 0x80000000, v32
	v_lshl_add_u32 v22, v22, 23, v33
	v_or3_b32 v22, v32, v22, v26
	v_lshrrev_b32_e32 v32, 16, v22
.LBB775_390:
	s_or_b64 exec, exec, s[24:25]
.LBB775_391:
	s_or_b64 exec, exec, s[14:15]
.LBB775_392:
	s_or_b64 exec, exec, s[12:13]
	s_mov_b32 s12, -1
	s_mov_b32 s13, 0xffffff
	v_cmp_lt_u64_e32 vcc, s[12:13], v[24:25]
	v_mov_b32_e32 v26, 0
	v_mov_b32_e32 v24, 0
	s_and_saveexec_b64 s[12:13], vcc
	s_cbranch_execz .LBB775_398
; %bb.393:
	v_lshrrev_b32_e32 v22, 24, v25
	s_movk_i32 s11, 0x80
	v_cmp_ne_u32_e32 vcc, s11, v22
	v_mov_b32_e32 v24, 0xffff8000
	s_and_saveexec_b64 s[14:15], vcc
	s_cbranch_execz .LBB775_397
; %bb.394:
	v_bfe_u32 v25, v25, 24, 7
	s_movk_i32 s11, 0x7f
	v_cmp_ne_u32_e32 vcc, s11, v25
	v_mov_b32_e32 v24, 0x7f80
	s_and_saveexec_b64 s[24:25], vcc
	s_cbranch_execz .LBB775_396
; %bb.395:
	v_and_b32_e32 v24, 7, v22
	v_ffbh_u32_e32 v34, v24
	v_min_u32_e32 v36, 32, v34
	v_subrev_u32_e32 v34, 28, v36
	v_lshlrev_b64 v[34:35], v34, v[22:23]
	v_lshrrev_b32_e32 v33, 3, v25
	v_sub_u32_e32 v35, 29, v36
	v_and_b32_e32 v34, 7, v34
	v_cmp_gt_u32_e32 vcc, 8, v25
	v_cndmask_b32_e32 v25, v33, v35, vcc
	v_cndmask_b32_e32 v24, v24, v34, vcc
	v_lshlrev_b32_e32 v22, 24, v22
	v_bfrev_b32_e32 v33, 60
	v_lshlrev_b32_e32 v24, 20, v24
	v_and_b32_e32 v22, 0x80000000, v22
	v_lshl_add_u32 v25, v25, 23, v33
	v_or3_b32 v22, v22, v25, v24
	v_lshrrev_b32_e32 v24, 16, v22
.LBB775_396:
	s_or_b64 exec, exec, s[24:25]
.LBB775_397:
	s_or_b64 exec, exec, s[14:15]
.LBB775_398:
	s_or_b64 exec, exec, s[12:13]
	s_mov_b32 s11, 0x5040100
	v_perm_b32 v29, v30, v29, s11
	v_perm_b32 v28, v27, v28, s11
	;; [unrolled: 1-line block ×4, first 2 shown]
	v_mfma_f32_4x4x4bf16_1k a[0:3], v[2:3], v[28:29], a[0:3] cbsz:4 abid:7
	v_cmp_ne_u16_sdwa s[14:15], v18, v26 src0_sel:BYTE_0 src1_sel:DWORD
	v_mfma_f32_4x4x4bf16_1k a[0:3], v[4:5], v[24:25], a[0:3] cbsz:4 abid:7
	s_and_saveexec_b64 s[12:13], s[14:15]
	s_cbranch_execz .LBB775_404
; %bb.399:
	s_movk_i32 s11, 0x80
	v_cmp_ne_u16_sdwa s[24:25], v18, s11 src0_sel:BYTE_0 src1_sel:DWORD
	v_mov_b32_e32 v26, 0xffff8000
	s_and_saveexec_b64 s[14:15], s[24:25]
	s_cbranch_execz .LBB775_403
; %bb.400:
	s_movk_i32 s11, 0x7f
	v_and_b32_e32 v22, 0x7f, v18
	v_cmp_ne_u32_e32 vcc, s11, v22
	v_mov_b32_e32 v26, 0x7f80
	s_and_saveexec_b64 s[24:25], vcc
	s_cbranch_execz .LBB775_402
; %bb.401:
	v_and_b32_e32 v23, 7, v18
	v_ffbh_u32_e32 v23, v23
	v_min_u32_e32 v23, 32, v23
	v_subrev_u32_e32 v25, 28, v23
	v_cmp_gt_u32_e32 vcc, 8, v22
	v_lshrrev_b32_e32 v24, 3, v22
	v_sub_u32_e32 v23, 29, v23
	v_cndmask_b32_e32 v22, 0, v25, vcc
	v_cndmask_b32_e32 v24, v24, v23, vcc
	v_lshlrev_b64 v[22:23], v22, v[18:19]
	v_lshlrev_b32_e32 v22, 20, v22
	v_lshlrev_b32_e32 v23, 24, v18
	v_bfrev_b32_e32 v25, 60
	v_and_b32_e32 v22, 0x700000, v22
	v_and_b32_e32 v23, 0x80000000, v23
	v_lshl_add_u32 v24, v24, 23, v25
	v_or3_b32 v22, v23, v24, v22
	v_lshrrev_b32_e32 v26, 16, v22
.LBB775_402:
	s_or_b64 exec, exec, s[24:25]
.LBB775_403:
	s_or_b64 exec, exec, s[14:15]
.LBB775_404:
	s_or_b64 exec, exec, s[12:13]
	v_lshrrev_b16_e32 v22, 8, v18
	v_cmp_ne_u16_e32 vcc, 0, v22
	v_mov_b32_e32 v27, 0
	v_mov_b32_e32 v25, 0
	s_and_saveexec_b64 s[12:13], vcc
	s_cbranch_execz .LBB775_410
; %bb.405:
	s_movk_i32 s11, 0x80
	v_cmp_ne_u16_e32 vcc, s11, v22
	v_mov_b32_e32 v25, 0xffff8000
	s_and_saveexec_b64 s[14:15], vcc
	s_cbranch_execz .LBB775_409
; %bb.406:
	s_movk_i32 s11, 0x7f
	v_and_b32_e32 v23, 0x7f, v22
	v_cmp_ne_u32_e32 vcc, s11, v23
	v_mov_b32_e32 v25, 0x7f80
	s_and_saveexec_b64 s[24:25], vcc
	s_cbranch_execz .LBB775_408
; %bb.407:
	v_and_b32_e32 v28, 7, v22
	v_ffbh_u32_e32 v24, v28
	v_min_u32_e32 v30, 32, v24
	v_subrev_u32_e32 v24, 28, v30
	v_lshlrev_b64 v[24:25], v24, v[22:23]
	v_lshrrev_b32_e32 v29, 3, v23
	v_sub_u32_e32 v22, 29, v30
	v_and_b32_e32 v24, 7, v24
	v_cmp_gt_u32_e32 vcc, 8, v23
	v_cndmask_b32_e32 v22, v29, v22, vcc
	v_cndmask_b32_e32 v23, v28, v24, vcc
	v_lshlrev_b32_e32 v24, 16, v18
	v_bfrev_b32_e32 v25, 60
	v_lshlrev_b32_e32 v23, 20, v23
	v_and_b32_e32 v24, 0x80000000, v24
	v_lshl_add_u32 v22, v22, 23, v25
	v_or3_b32 v22, v24, v22, v23
	v_lshrrev_b32_e32 v25, 16, v22
.LBB775_408:
	s_or_b64 exec, exec, s[24:25]
.LBB775_409:
	s_or_b64 exec, exec, s[14:15]
.LBB775_410:
	s_or_b64 exec, exec, s[12:13]
	s_movk_i32 s11, 0xff
	v_and_b32_sdwa v23, v18, s11 dst_sel:DWORD dst_unused:UNUSED_PAD src0_sel:WORD_1 src1_sel:DWORD
	v_lshrrev_b32_e32 v22, 16, v18
	v_cmp_ne_u16_e32 vcc, 0, v23
	s_and_saveexec_b64 s[12:13], vcc
	s_cbranch_execz .LBB775_416
; %bb.411:
	s_movk_i32 s11, 0x80
	v_cmp_ne_u16_e32 vcc, s11, v23
	v_mov_b32_e32 v27, 0xffff8000
	s_and_saveexec_b64 s[14:15], vcc
	s_cbranch_execz .LBB775_415
; %bb.412:
	v_bfe_u32 v23, v18, 16, 7
	s_movk_i32 s11, 0x7f
	v_cmp_ne_u32_e32 vcc, s11, v23
	v_mov_b32_e32 v27, 0x7f80
	s_and_saveexec_b64 s[24:25], vcc
	s_cbranch_execz .LBB775_414
; %bb.413:
	v_and_b32_e32 v24, 7, v22
	v_ffbh_u32_e32 v28, v24
	v_min_u32_e32 v30, 32, v28
	v_subrev_u32_e32 v28, 28, v30
	v_lshlrev_b64 v[28:29], v28, v[22:23]
	v_and_b32_e32 v28, 7, v28
	v_cmp_gt_u32_e32 vcc, 8, v23
	v_lshrrev_b32_e32 v27, 3, v23
	v_sub_u32_e32 v22, 29, v30
	v_cndmask_b32_e32 v23, v24, v28, vcc
	v_mov_b32_e32 v24, 24
	v_cndmask_b32_e32 v22, v27, v22, vcc
	v_lshlrev_b32_sdwa v24, v24, v18 dst_sel:DWORD dst_unused:UNUSED_PAD src0_sel:DWORD src1_sel:WORD_1
	v_bfrev_b32_e32 v27, 60
	v_lshlrev_b32_e32 v23, 20, v23
	v_and_b32_e32 v24, 0x80000000, v24
	v_lshl_add_u32 v22, v22, 23, v27
	v_or3_b32 v22, v24, v22, v23
	v_lshrrev_b32_e32 v27, 16, v22
.LBB775_414:
	s_or_b64 exec, exec, s[24:25]
.LBB775_415:
	s_or_b64 exec, exec, s[14:15]
.LBB775_416:
	s_or_b64 exec, exec, s[12:13]
	s_mov_b32 s11, 0xffffff
	v_cmp_lt_u32_e32 vcc, s11, v18
	v_mov_b32_e32 v23, 0
	v_mov_b32_e32 v28, 0
	s_and_saveexec_b64 s[12:13], vcc
	s_cbranch_execz .LBB775_422
; %bb.417:
	v_lshrrev_b32_e32 v22, 24, v18
	s_movk_i32 s11, 0x80
	v_cmp_ne_u32_e32 vcc, s11, v22
	v_mov_b32_e32 v28, 0xffff8000
	s_and_saveexec_b64 s[14:15], vcc
	s_cbranch_execz .LBB775_421
; %bb.418:
	v_bfe_u32 v24, v18, 24, 7
	s_movk_i32 s11, 0x7f
	v_cmp_ne_u32_e32 vcc, s11, v24
	v_mov_b32_e32 v28, 0x7f80
	s_and_saveexec_b64 s[24:25], vcc
	s_cbranch_execz .LBB775_420
; %bb.419:
	v_and_b32_e32 v30, 7, v22
	v_ffbh_u32_e32 v28, v30
	v_min_u32_e32 v32, 32, v28
	v_subrev_u32_e32 v28, 28, v32
	v_lshlrev_b64 v[28:29], v28, v[22:23]
	v_lshrrev_b32_e32 v31, 3, v24
	v_sub_u32_e32 v29, 29, v32
	v_and_b32_e32 v28, 7, v28
	v_cmp_gt_u32_e32 vcc, 8, v24
	v_cndmask_b32_e32 v24, v31, v29, vcc
	v_cndmask_b32_e32 v28, v30, v28, vcc
	v_lshlrev_b32_e32 v22, 24, v22
	v_bfrev_b32_e32 v29, 60
	v_lshlrev_b32_e32 v28, 20, v28
	v_and_b32_e32 v22, 0x80000000, v22
	v_lshl_add_u32 v24, v24, 23, v29
	v_or3_b32 v22, v22, v24, v28
	v_lshrrev_b32_e32 v28, 16, v22
.LBB775_420:
	s_or_b64 exec, exec, s[24:25]
.LBB775_421:
	s_or_b64 exec, exec, s[14:15]
.LBB775_422:
	s_or_b64 exec, exec, s[12:13]
	v_mov_b32_e32 v22, v19
	v_cmp_ne_u16_sdwa s[14:15], v19, v23 src0_sel:BYTE_0 src1_sel:DWORD
	s_and_saveexec_b64 s[12:13], s[14:15]
	s_cbranch_execz .LBB775_428
; %bb.423:
	s_movk_i32 s11, 0x80
	v_cmp_ne_u16_sdwa s[24:25], v19, s11 src0_sel:BYTE_0 src1_sel:DWORD
	v_mov_b32_e32 v24, 0xffff8000
	s_and_saveexec_b64 s[14:15], s[24:25]
	s_cbranch_execz .LBB775_427
; %bb.424:
	s_movk_i32 s11, 0x7f
	v_and_b32_e32 v29, 0x7f, v19
	v_cmp_ne_u32_e32 vcc, s11, v29
	v_mov_b32_e32 v24, 0x7f80
	s_and_saveexec_b64 s[24:25], vcc
	s_cbranch_execz .LBB775_426
; %bb.425:
	v_and_b32_e32 v24, 7, v19
	v_ffbh_u32_e32 v24, v24
	v_min_u32_e32 v24, 32, v24
	v_subrev_u32_e32 v31, 28, v24
	v_cmp_gt_u32_e32 vcc, 8, v29
	v_lshrrev_b32_e32 v30, 3, v29
	v_sub_u32_e32 v24, 29, v24
	v_cndmask_b32_e32 v29, 0, v31, vcc
	v_cndmask_b32_e32 v24, v30, v24, vcc
	v_lshlrev_b64 v[30:31], v29, v[22:23]
	v_lshlrev_b32_e32 v23, 20, v30
	v_lshlrev_b32_e32 v29, 24, v22
	v_bfrev_b32_e32 v30, 60
	v_and_b32_e32 v23, 0x700000, v23
	v_and_b32_e32 v29, 0x80000000, v29
	v_lshl_add_u32 v24, v24, 23, v30
	v_or3_b32 v23, v29, v24, v23
	v_lshrrev_b32_e32 v24, 16, v23
.LBB775_426:
	s_or_b64 exec, exec, s[24:25]
.LBB775_427:
	s_or_b64 exec, exec, s[14:15]
	v_mov_b32_e32 v23, v24
.LBB775_428:
	s_or_b64 exec, exec, s[12:13]
	v_lshrrev_b16_e32 v24, 8, v22
	v_cmp_ne_u16_e32 vcc, 0, v24
	v_mov_b32_e32 v30, 0
	v_mov_b32_e32 v29, 0
	s_and_saveexec_b64 s[12:13], vcc
	s_cbranch_execz .LBB775_434
; %bb.429:
	s_movk_i32 s11, 0x80
	v_cmp_ne_u16_e32 vcc, s11, v24
	v_mov_b32_e32 v29, 0xffff8000
	s_and_saveexec_b64 s[14:15], vcc
	s_cbranch_execz .LBB775_433
; %bb.430:
	s_movk_i32 s11, 0x7f
	v_and_b32_e32 v31, 0x7f, v24
	v_cmp_ne_u32_e32 vcc, s11, v31
	v_mov_b32_e32 v29, 0x7f80
	s_and_saveexec_b64 s[24:25], vcc
	s_cbranch_execz .LBB775_432
; %bb.431:
	v_and_b32_e32 v29, 7, v24
	v_ffbh_u32_e32 v32, v29
	v_min_u32_e32 v35, 32, v32
	v_subrev_u32_e32 v32, 28, v35
	v_lshlrev_b64 v[32:33], v32, v[24:25]
	v_lshrrev_b32_e32 v34, 3, v31
	v_sub_u32_e32 v24, 29, v35
	v_and_b32_e32 v32, 7, v32
	v_cmp_gt_u32_e32 vcc, 8, v31
	v_cndmask_b32_e32 v24, v34, v24, vcc
	v_cndmask_b32_e32 v29, v29, v32, vcc
	v_lshlrev_b32_e32 v22, 16, v22
	v_bfrev_b32_e32 v31, 60
	v_lshlrev_b32_e32 v29, 20, v29
	v_and_b32_e32 v22, 0x80000000, v22
	v_lshl_add_u32 v24, v24, 23, v31
	v_or3_b32 v22, v22, v24, v29
	v_lshrrev_b32_e32 v29, 16, v22
.LBB775_432:
	s_or_b64 exec, exec, s[24:25]
.LBB775_433:
	s_or_b64 exec, exec, s[14:15]
.LBB775_434:
	s_or_b64 exec, exec, s[12:13]
	s_movk_i32 s11, 0xff
	v_and_b32_sdwa v24, v19, s11 dst_sel:DWORD dst_unused:UNUSED_PAD src0_sel:WORD_1 src1_sel:DWORD
	v_lshrrev_b32_e32 v22, 16, v19
	v_cmp_ne_u16_e32 vcc, 0, v24
	s_and_saveexec_b64 s[12:13], vcc
	s_cbranch_execz .LBB775_440
; %bb.435:
	s_movk_i32 s11, 0x80
	v_cmp_ne_u16_e32 vcc, s11, v24
	v_mov_b32_e32 v30, 0xffff8000
	s_and_saveexec_b64 s[14:15], vcc
	s_cbranch_execz .LBB775_439
; %bb.436:
	v_bfe_u32 v24, v19, 16, 7
	s_movk_i32 s11, 0x7f
	v_cmp_ne_u32_e32 vcc, s11, v24
	v_mov_b32_e32 v30, 0x7f80
	s_and_saveexec_b64 s[24:25], vcc
	s_cbranch_execz .LBB775_438
; %bb.437:
	v_and_b32_e32 v32, 7, v22
	v_ffbh_u32_e32 v30, v32
	v_min_u32_e32 v34, 32, v30
	v_subrev_u32_e32 v30, 28, v34
	v_lshlrev_b64 v[30:31], v30, v[22:23]
	v_and_b32_e32 v30, 7, v30
	v_cmp_gt_u32_e32 vcc, 8, v24
	v_lshrrev_b32_e32 v33, 3, v24
	v_sub_u32_e32 v22, 29, v34
	v_cndmask_b32_e32 v24, v32, v30, vcc
	v_mov_b32_e32 v30, 24
	v_cndmask_b32_e32 v22, v33, v22, vcc
	v_lshlrev_b32_sdwa v30, v30, v19 dst_sel:DWORD dst_unused:UNUSED_PAD src0_sel:DWORD src1_sel:WORD_1
	v_bfrev_b32_e32 v31, 60
	v_lshlrev_b32_e32 v24, 20, v24
	v_and_b32_e32 v30, 0x80000000, v30
	v_lshl_add_u32 v22, v22, 23, v31
	v_or3_b32 v22, v30, v22, v24
	v_lshrrev_b32_e32 v30, 16, v22
.LBB775_438:
	s_or_b64 exec, exec, s[24:25]
.LBB775_439:
	s_or_b64 exec, exec, s[14:15]
.LBB775_440:
	s_or_b64 exec, exec, s[12:13]
	s_mov_b32 s12, -1
	s_mov_b32 s13, 0xffffff
	v_cmp_lt_u64_e32 vcc, s[12:13], v[18:19]
	v_mov_b32_e32 v24, 0
	v_mov_b32_e32 v22, 0
	s_and_saveexec_b64 s[12:13], vcc
	s_cbranch_execz .LBB775_446
; %bb.441:
	v_lshrrev_b32_e32 v18, 24, v19
	s_movk_i32 s11, 0x80
	v_cmp_ne_u32_e32 vcc, s11, v18
	v_mov_b32_e32 v22, 0xffff8000
	s_and_saveexec_b64 s[14:15], vcc
	s_cbranch_execz .LBB775_445
; %bb.442:
	v_bfe_u32 v19, v19, 24, 7
	s_movk_i32 s11, 0x7f
	v_cmp_ne_u32_e32 vcc, s11, v19
	v_mov_b32_e32 v22, 0x7f80
	s_and_saveexec_b64 s[24:25], vcc
	s_cbranch_execz .LBB775_444
; %bb.443:
	v_and_b32_e32 v22, 7, v18
	v_ffbh_u32_e32 v32, v22
	v_min_u32_e32 v34, 32, v32
	v_subrev_u32_e32 v32, 28, v34
	v_lshlrev_b64 v[32:33], v32, v[18:19]
	v_lshrrev_b32_e32 v31, 3, v19
	v_sub_u32_e32 v33, 29, v34
	v_and_b32_e32 v32, 7, v32
	v_cmp_gt_u32_e32 vcc, 8, v19
	v_cndmask_b32_e32 v19, v31, v33, vcc
	v_cndmask_b32_e32 v22, v22, v32, vcc
	v_lshlrev_b32_e32 v18, 24, v18
	v_bfrev_b32_e32 v31, 60
	v_lshlrev_b32_e32 v22, 20, v22
	v_and_b32_e32 v18, 0x80000000, v18
	v_lshl_add_u32 v19, v19, 23, v31
	v_or3_b32 v18, v18, v19, v22
	v_lshrrev_b32_e32 v22, 16, v18
.LBB775_444:
	s_or_b64 exec, exec, s[24:25]
.LBB775_445:
	s_or_b64 exec, exec, s[14:15]
.LBB775_446:
	s_or_b64 exec, exec, s[12:13]
	s_mov_b32 s11, 0x5040100
	v_perm_b32 v19, v28, v27, s11
	v_perm_b32 v18, v25, v26, s11
	;; [unrolled: 1-line block ×4, first 2 shown]
	v_mfma_f32_4x4x4bf16_1k a[0:3], v[2:3], v[18:19], a[0:3] cbsz:4 abid:8
	v_cmp_ne_u16_sdwa s[14:15], v20, v24 src0_sel:BYTE_0 src1_sel:DWORD
	v_mfma_f32_4x4x4bf16_1k a[0:3], v[4:5], v[26:27], a[0:3] cbsz:4 abid:8
	s_and_saveexec_b64 s[12:13], s[14:15]
	s_cbranch_execz .LBB775_452
; %bb.447:
	s_movk_i32 s11, 0x80
	v_cmp_ne_u16_sdwa s[24:25], v20, s11 src0_sel:BYTE_0 src1_sel:DWORD
	v_mov_b32_e32 v24, 0xffff8000
	s_and_saveexec_b64 s[14:15], s[24:25]
	s_cbranch_execz .LBB775_451
; %bb.448:
	s_movk_i32 s11, 0x7f
	v_and_b32_e32 v18, 0x7f, v20
	v_cmp_ne_u32_e32 vcc, s11, v18
	v_mov_b32_e32 v24, 0x7f80
	s_and_saveexec_b64 s[24:25], vcc
	s_cbranch_execz .LBB775_450
; %bb.449:
	v_and_b32_e32 v19, 7, v20
	v_ffbh_u32_e32 v19, v19
	v_min_u32_e32 v19, 32, v19
	v_subrev_u32_e32 v23, 28, v19
	v_cmp_gt_u32_e32 vcc, 8, v18
	v_lshrrev_b32_e32 v22, 3, v18
	v_sub_u32_e32 v19, 29, v19
	v_cndmask_b32_e32 v18, 0, v23, vcc
	v_cndmask_b32_e32 v22, v22, v19, vcc
	v_lshlrev_b64 v[18:19], v18, v[20:21]
	v_lshlrev_b32_e32 v18, 20, v18
	v_lshlrev_b32_e32 v19, 24, v20
	v_bfrev_b32_e32 v23, 60
	v_and_b32_e32 v18, 0x700000, v18
	v_and_b32_e32 v19, 0x80000000, v19
	v_lshl_add_u32 v22, v22, 23, v23
	v_or3_b32 v18, v19, v22, v18
	v_lshrrev_b32_e32 v24, 16, v18
.LBB775_450:
	s_or_b64 exec, exec, s[24:25]
.LBB775_451:
	s_or_b64 exec, exec, s[14:15]
.LBB775_452:
	s_or_b64 exec, exec, s[12:13]
	v_lshrrev_b16_e32 v18, 8, v20
	v_cmp_ne_u16_e32 vcc, 0, v18
	v_mov_b32_e32 v25, 0
	v_mov_b32_e32 v23, 0
	s_and_saveexec_b64 s[12:13], vcc
	s_cbranch_execz .LBB775_458
; %bb.453:
	s_movk_i32 s11, 0x80
	v_cmp_ne_u16_e32 vcc, s11, v18
	v_mov_b32_e32 v23, 0xffff8000
	s_and_saveexec_b64 s[14:15], vcc
	s_cbranch_execz .LBB775_457
; %bb.454:
	s_movk_i32 s11, 0x7f
	v_and_b32_e32 v19, 0x7f, v18
	v_cmp_ne_u32_e32 vcc, s11, v19
	v_mov_b32_e32 v23, 0x7f80
	s_and_saveexec_b64 s[24:25], vcc
	s_cbranch_execz .LBB775_456
; %bb.455:
	v_and_b32_e32 v26, 7, v18
	v_ffbh_u32_e32 v22, v26
	v_min_u32_e32 v28, 32, v22
	v_subrev_u32_e32 v22, 28, v28
	v_lshlrev_b64 v[22:23], v22, v[18:19]
	v_lshrrev_b32_e32 v27, 3, v19
	v_sub_u32_e32 v18, 29, v28
	v_and_b32_e32 v22, 7, v22
	v_cmp_gt_u32_e32 vcc, 8, v19
	v_cndmask_b32_e32 v18, v27, v18, vcc
	v_cndmask_b32_e32 v19, v26, v22, vcc
	v_lshlrev_b32_e32 v22, 16, v20
	v_bfrev_b32_e32 v23, 60
	v_lshlrev_b32_e32 v19, 20, v19
	v_and_b32_e32 v22, 0x80000000, v22
	v_lshl_add_u32 v18, v18, 23, v23
	v_or3_b32 v18, v22, v18, v19
	v_lshrrev_b32_e32 v23, 16, v18
.LBB775_456:
	s_or_b64 exec, exec, s[24:25]
.LBB775_457:
	s_or_b64 exec, exec, s[14:15]
.LBB775_458:
	s_or_b64 exec, exec, s[12:13]
	s_movk_i32 s11, 0xff
	v_and_b32_sdwa v19, v20, s11 dst_sel:DWORD dst_unused:UNUSED_PAD src0_sel:WORD_1 src1_sel:DWORD
	v_lshrrev_b32_e32 v18, 16, v20
	v_cmp_ne_u16_e32 vcc, 0, v19
	s_and_saveexec_b64 s[12:13], vcc
	s_cbranch_execz .LBB775_464
; %bb.459:
	s_movk_i32 s11, 0x80
	v_cmp_ne_u16_e32 vcc, s11, v19
	v_mov_b32_e32 v25, 0xffff8000
	s_and_saveexec_b64 s[14:15], vcc
	s_cbranch_execz .LBB775_463
; %bb.460:
	v_bfe_u32 v19, v20, 16, 7
	s_movk_i32 s11, 0x7f
	v_cmp_ne_u32_e32 vcc, s11, v19
	v_mov_b32_e32 v25, 0x7f80
	s_and_saveexec_b64 s[24:25], vcc
	s_cbranch_execz .LBB775_462
; %bb.461:
	v_and_b32_e32 v22, 7, v18
	v_ffbh_u32_e32 v26, v22
	v_min_u32_e32 v28, 32, v26
	v_subrev_u32_e32 v26, 28, v28
	v_lshlrev_b64 v[26:27], v26, v[18:19]
	v_and_b32_e32 v26, 7, v26
	v_cmp_gt_u32_e32 vcc, 8, v19
	v_lshrrev_b32_e32 v25, 3, v19
	v_sub_u32_e32 v18, 29, v28
	v_cndmask_b32_e32 v19, v22, v26, vcc
	v_mov_b32_e32 v22, 24
	v_cndmask_b32_e32 v18, v25, v18, vcc
	v_lshlrev_b32_sdwa v22, v22, v20 dst_sel:DWORD dst_unused:UNUSED_PAD src0_sel:DWORD src1_sel:WORD_1
	v_bfrev_b32_e32 v25, 60
	v_lshlrev_b32_e32 v19, 20, v19
	v_and_b32_e32 v22, 0x80000000, v22
	v_lshl_add_u32 v18, v18, 23, v25
	v_or3_b32 v18, v22, v18, v19
	v_lshrrev_b32_e32 v25, 16, v18
.LBB775_462:
	s_or_b64 exec, exec, s[24:25]
.LBB775_463:
	s_or_b64 exec, exec, s[14:15]
.LBB775_464:
	s_or_b64 exec, exec, s[12:13]
	s_mov_b32 s11, 0xffffff
	v_cmp_lt_u32_e32 vcc, s11, v20
	v_mov_b32_e32 v19, 0
	v_mov_b32_e32 v26, 0
	s_and_saveexec_b64 s[12:13], vcc
	s_cbranch_execz .LBB775_470
; %bb.465:
	v_lshrrev_b32_e32 v18, 24, v20
	s_movk_i32 s11, 0x80
	v_cmp_ne_u32_e32 vcc, s11, v18
	v_mov_b32_e32 v26, 0xffff8000
	s_and_saveexec_b64 s[14:15], vcc
	s_cbranch_execz .LBB775_469
; %bb.466:
	v_bfe_u32 v22, v20, 24, 7
	s_movk_i32 s11, 0x7f
	v_cmp_ne_u32_e32 vcc, s11, v22
	v_mov_b32_e32 v26, 0x7f80
	s_and_saveexec_b64 s[24:25], vcc
	s_cbranch_execz .LBB775_468
; %bb.467:
	v_and_b32_e32 v28, 7, v18
	v_ffbh_u32_e32 v26, v28
	v_min_u32_e32 v30, 32, v26
	v_subrev_u32_e32 v26, 28, v30
	v_lshlrev_b64 v[26:27], v26, v[18:19]
	v_lshrrev_b32_e32 v29, 3, v22
	v_sub_u32_e32 v27, 29, v30
	v_and_b32_e32 v26, 7, v26
	v_cmp_gt_u32_e32 vcc, 8, v22
	v_cndmask_b32_e32 v22, v29, v27, vcc
	v_cndmask_b32_e32 v26, v28, v26, vcc
	v_lshlrev_b32_e32 v18, 24, v18
	v_bfrev_b32_e32 v27, 60
	v_lshlrev_b32_e32 v26, 20, v26
	v_and_b32_e32 v18, 0x80000000, v18
	v_lshl_add_u32 v22, v22, 23, v27
	v_or3_b32 v18, v18, v22, v26
	v_lshrrev_b32_e32 v26, 16, v18
.LBB775_468:
	s_or_b64 exec, exec, s[24:25]
.LBB775_469:
	s_or_b64 exec, exec, s[14:15]
.LBB775_470:
	s_or_b64 exec, exec, s[12:13]
	v_mov_b32_e32 v18, v21
	v_cmp_ne_u16_sdwa s[14:15], v21, v19 src0_sel:BYTE_0 src1_sel:DWORD
	s_and_saveexec_b64 s[12:13], s[14:15]
	s_cbranch_execz .LBB775_476
; %bb.471:
	s_movk_i32 s11, 0x80
	v_cmp_ne_u16_sdwa s[24:25], v21, s11 src0_sel:BYTE_0 src1_sel:DWORD
	v_mov_b32_e32 v22, 0xffff8000
	s_and_saveexec_b64 s[14:15], s[24:25]
	s_cbranch_execz .LBB775_475
; %bb.472:
	s_movk_i32 s11, 0x7f
	v_and_b32_e32 v27, 0x7f, v21
	v_cmp_ne_u32_e32 vcc, s11, v27
	v_mov_b32_e32 v22, 0x7f80
	s_and_saveexec_b64 s[24:25], vcc
	s_cbranch_execz .LBB775_474
; %bb.473:
	v_and_b32_e32 v22, 7, v21
	v_ffbh_u32_e32 v22, v22
	v_min_u32_e32 v22, 32, v22
	v_subrev_u32_e32 v29, 28, v22
	v_cmp_gt_u32_e32 vcc, 8, v27
	v_lshrrev_b32_e32 v28, 3, v27
	v_sub_u32_e32 v22, 29, v22
	v_cndmask_b32_e32 v27, 0, v29, vcc
	v_cndmask_b32_e32 v22, v28, v22, vcc
	v_lshlrev_b64 v[28:29], v27, v[18:19]
	v_lshlrev_b32_e32 v19, 20, v28
	v_lshlrev_b32_e32 v27, 24, v18
	v_bfrev_b32_e32 v28, 60
	v_and_b32_e32 v19, 0x700000, v19
	v_and_b32_e32 v27, 0x80000000, v27
	v_lshl_add_u32 v22, v22, 23, v28
	v_or3_b32 v19, v27, v22, v19
	v_lshrrev_b32_e32 v22, 16, v19
.LBB775_474:
	s_or_b64 exec, exec, s[24:25]
.LBB775_475:
	s_or_b64 exec, exec, s[14:15]
	v_mov_b32_e32 v19, v22
.LBB775_476:
	s_or_b64 exec, exec, s[12:13]
	v_lshrrev_b16_e32 v22, 8, v18
	v_cmp_ne_u16_e32 vcc, 0, v22
	v_mov_b32_e32 v28, 0
	v_mov_b32_e32 v27, 0
	s_and_saveexec_b64 s[12:13], vcc
	s_cbranch_execz .LBB775_482
; %bb.477:
	s_movk_i32 s11, 0x80
	v_cmp_ne_u16_e32 vcc, s11, v22
	v_mov_b32_e32 v27, 0xffff8000
	s_and_saveexec_b64 s[14:15], vcc
	s_cbranch_execz .LBB775_481
; %bb.478:
	s_movk_i32 s11, 0x7f
	v_and_b32_e32 v29, 0x7f, v22
	v_cmp_ne_u32_e32 vcc, s11, v29
	v_mov_b32_e32 v27, 0x7f80
	s_and_saveexec_b64 s[24:25], vcc
	s_cbranch_execz .LBB775_480
; %bb.479:
	v_and_b32_e32 v27, 7, v22
	v_ffbh_u32_e32 v30, v27
	v_min_u32_e32 v33, 32, v30
	v_subrev_u32_e32 v30, 28, v33
	v_lshlrev_b64 v[30:31], v30, v[22:23]
	v_lshrrev_b32_e32 v32, 3, v29
	v_sub_u32_e32 v22, 29, v33
	v_and_b32_e32 v30, 7, v30
	v_cmp_gt_u32_e32 vcc, 8, v29
	v_cndmask_b32_e32 v22, v32, v22, vcc
	v_cndmask_b32_e32 v27, v27, v30, vcc
	v_lshlrev_b32_e32 v18, 16, v18
	v_bfrev_b32_e32 v29, 60
	v_lshlrev_b32_e32 v27, 20, v27
	v_and_b32_e32 v18, 0x80000000, v18
	v_lshl_add_u32 v22, v22, 23, v29
	v_or3_b32 v18, v18, v22, v27
	v_lshrrev_b32_e32 v27, 16, v18
.LBB775_480:
	s_or_b64 exec, exec, s[24:25]
.LBB775_481:
	s_or_b64 exec, exec, s[14:15]
.LBB775_482:
	s_or_b64 exec, exec, s[12:13]
	s_movk_i32 s11, 0xff
	v_and_b32_sdwa v22, v21, s11 dst_sel:DWORD dst_unused:UNUSED_PAD src0_sel:WORD_1 src1_sel:DWORD
	v_lshrrev_b32_e32 v18, 16, v21
	v_cmp_ne_u16_e32 vcc, 0, v22
	s_and_saveexec_b64 s[12:13], vcc
	s_cbranch_execz .LBB775_488
; %bb.483:
	s_movk_i32 s11, 0x80
	v_cmp_ne_u16_e32 vcc, s11, v22
	v_mov_b32_e32 v28, 0xffff8000
	s_and_saveexec_b64 s[14:15], vcc
	s_cbranch_execz .LBB775_487
; %bb.484:
	v_bfe_u32 v22, v21, 16, 7
	s_movk_i32 s11, 0x7f
	v_cmp_ne_u32_e32 vcc, s11, v22
	v_mov_b32_e32 v28, 0x7f80
	s_and_saveexec_b64 s[24:25], vcc
	s_cbranch_execz .LBB775_486
; %bb.485:
	v_and_b32_e32 v30, 7, v18
	v_ffbh_u32_e32 v28, v30
	v_min_u32_e32 v32, 32, v28
	v_subrev_u32_e32 v28, 28, v32
	v_lshlrev_b64 v[28:29], v28, v[18:19]
	v_and_b32_e32 v28, 7, v28
	v_cmp_gt_u32_e32 vcc, 8, v22
	v_lshrrev_b32_e32 v31, 3, v22
	v_sub_u32_e32 v18, 29, v32
	v_cndmask_b32_e32 v22, v30, v28, vcc
	v_mov_b32_e32 v28, 24
	v_cndmask_b32_e32 v18, v31, v18, vcc
	v_lshlrev_b32_sdwa v28, v28, v21 dst_sel:DWORD dst_unused:UNUSED_PAD src0_sel:DWORD src1_sel:WORD_1
	v_bfrev_b32_e32 v29, 60
	v_lshlrev_b32_e32 v22, 20, v22
	v_and_b32_e32 v28, 0x80000000, v28
	v_lshl_add_u32 v18, v18, 23, v29
	v_or3_b32 v18, v28, v18, v22
	v_lshrrev_b32_e32 v28, 16, v18
.LBB775_486:
	s_or_b64 exec, exec, s[24:25]
.LBB775_487:
	s_or_b64 exec, exec, s[14:15]
.LBB775_488:
	s_or_b64 exec, exec, s[12:13]
	s_mov_b32 s12, -1
	s_mov_b32 s13, 0xffffff
	v_cmp_lt_u64_e32 vcc, s[12:13], v[20:21]
	v_mov_b32_e32 v22, 0
	v_mov_b32_e32 v20, 0
	s_and_saveexec_b64 s[12:13], vcc
	s_cbranch_execz .LBB775_494
; %bb.489:
	v_lshrrev_b32_e32 v18, 24, v21
	s_movk_i32 s11, 0x80
	v_cmp_ne_u32_e32 vcc, s11, v18
	v_mov_b32_e32 v20, 0xffff8000
	s_and_saveexec_b64 s[14:15], vcc
	s_cbranch_execz .LBB775_493
; %bb.490:
	v_bfe_u32 v21, v21, 24, 7
	s_movk_i32 s11, 0x7f
	v_cmp_ne_u32_e32 vcc, s11, v21
	v_mov_b32_e32 v20, 0x7f80
	s_and_saveexec_b64 s[24:25], vcc
	s_cbranch_execz .LBB775_492
; %bb.491:
	v_and_b32_e32 v20, 7, v18
	v_ffbh_u32_e32 v30, v20
	v_min_u32_e32 v32, 32, v30
	v_subrev_u32_e32 v30, 28, v32
	v_lshlrev_b64 v[30:31], v30, v[18:19]
	v_lshrrev_b32_e32 v29, 3, v21
	v_sub_u32_e32 v31, 29, v32
	v_and_b32_e32 v30, 7, v30
	v_cmp_gt_u32_e32 vcc, 8, v21
	v_cndmask_b32_e32 v21, v29, v31, vcc
	v_cndmask_b32_e32 v20, v20, v30, vcc
	v_lshlrev_b32_e32 v18, 24, v18
	v_bfrev_b32_e32 v29, 60
	v_lshlrev_b32_e32 v20, 20, v20
	v_and_b32_e32 v18, 0x80000000, v18
	v_lshl_add_u32 v21, v21, 23, v29
	v_or3_b32 v18, v18, v21, v20
	v_lshrrev_b32_e32 v20, 16, v18
.LBB775_492:
	s_or_b64 exec, exec, s[24:25]
.LBB775_493:
	s_or_b64 exec, exec, s[14:15]
.LBB775_494:
	s_or_b64 exec, exec, s[12:13]
	s_mov_b32 s11, 0x5040100
	v_perm_b32 v25, v26, v25, s11
	v_perm_b32 v24, v23, v24, s11
	;; [unrolled: 1-line block ×4, first 2 shown]
	v_mfma_f32_4x4x4bf16_1k a[0:3], v[2:3], v[24:25], a[0:3] cbsz:4 abid:9
	v_cmp_ne_u16_sdwa s[14:15], v14, v22 src0_sel:BYTE_0 src1_sel:DWORD
	v_mfma_f32_4x4x4bf16_1k a[0:3], v[4:5], v[20:21], a[0:3] cbsz:4 abid:9
	s_and_saveexec_b64 s[12:13], s[14:15]
	s_cbranch_execz .LBB775_500
; %bb.495:
	s_movk_i32 s11, 0x80
	v_cmp_ne_u16_sdwa s[24:25], v14, s11 src0_sel:BYTE_0 src1_sel:DWORD
	v_mov_b32_e32 v22, 0xffff8000
	s_and_saveexec_b64 s[14:15], s[24:25]
	s_cbranch_execz .LBB775_499
; %bb.496:
	s_movk_i32 s11, 0x7f
	v_and_b32_e32 v18, 0x7f, v14
	v_cmp_ne_u32_e32 vcc, s11, v18
	v_mov_b32_e32 v22, 0x7f80
	s_and_saveexec_b64 s[24:25], vcc
	s_cbranch_execz .LBB775_498
; %bb.497:
	v_and_b32_e32 v19, 7, v14
	v_ffbh_u32_e32 v19, v19
	v_min_u32_e32 v19, 32, v19
	v_subrev_u32_e32 v21, 28, v19
	v_cmp_gt_u32_e32 vcc, 8, v18
	v_lshrrev_b32_e32 v20, 3, v18
	v_sub_u32_e32 v19, 29, v19
	v_cndmask_b32_e32 v18, 0, v21, vcc
	v_cndmask_b32_e32 v20, v20, v19, vcc
	v_lshlrev_b64 v[18:19], v18, v[14:15]
	v_lshlrev_b32_e32 v18, 20, v18
	v_lshlrev_b32_e32 v19, 24, v14
	v_bfrev_b32_e32 v21, 60
	v_and_b32_e32 v18, 0x700000, v18
	v_and_b32_e32 v19, 0x80000000, v19
	v_lshl_add_u32 v20, v20, 23, v21
	v_or3_b32 v18, v19, v20, v18
	v_lshrrev_b32_e32 v22, 16, v18
.LBB775_498:
	s_or_b64 exec, exec, s[24:25]
.LBB775_499:
	s_or_b64 exec, exec, s[14:15]
.LBB775_500:
	s_or_b64 exec, exec, s[12:13]
	v_lshrrev_b16_e32 v18, 8, v14
	v_cmp_ne_u16_e32 vcc, 0, v18
	v_mov_b32_e32 v23, 0
	v_mov_b32_e32 v21, 0
	s_and_saveexec_b64 s[12:13], vcc
	s_cbranch_execz .LBB775_506
; %bb.501:
	s_movk_i32 s11, 0x80
	v_cmp_ne_u16_e32 vcc, s11, v18
	v_mov_b32_e32 v21, 0xffff8000
	s_and_saveexec_b64 s[14:15], vcc
	s_cbranch_execz .LBB775_505
; %bb.502:
	s_movk_i32 s11, 0x7f
	v_and_b32_e32 v19, 0x7f, v18
	v_cmp_ne_u32_e32 vcc, s11, v19
	v_mov_b32_e32 v21, 0x7f80
	s_and_saveexec_b64 s[24:25], vcc
	s_cbranch_execz .LBB775_504
; %bb.503:
	v_and_b32_e32 v24, 7, v18
	v_ffbh_u32_e32 v20, v24
	v_min_u32_e32 v26, 32, v20
	v_subrev_u32_e32 v20, 28, v26
	v_lshlrev_b64 v[20:21], v20, v[18:19]
	v_lshrrev_b32_e32 v25, 3, v19
	v_sub_u32_e32 v18, 29, v26
	v_and_b32_e32 v20, 7, v20
	v_cmp_gt_u32_e32 vcc, 8, v19
	v_cndmask_b32_e32 v18, v25, v18, vcc
	v_cndmask_b32_e32 v19, v24, v20, vcc
	v_lshlrev_b32_e32 v20, 16, v14
	v_bfrev_b32_e32 v21, 60
	v_lshlrev_b32_e32 v19, 20, v19
	v_and_b32_e32 v20, 0x80000000, v20
	v_lshl_add_u32 v18, v18, 23, v21
	v_or3_b32 v18, v20, v18, v19
	v_lshrrev_b32_e32 v21, 16, v18
.LBB775_504:
	s_or_b64 exec, exec, s[24:25]
.LBB775_505:
	s_or_b64 exec, exec, s[14:15]
.LBB775_506:
	s_or_b64 exec, exec, s[12:13]
	s_movk_i32 s11, 0xff
	v_and_b32_sdwa v19, v14, s11 dst_sel:DWORD dst_unused:UNUSED_PAD src0_sel:WORD_1 src1_sel:DWORD
	v_lshrrev_b32_e32 v18, 16, v14
	v_cmp_ne_u16_e32 vcc, 0, v19
	s_and_saveexec_b64 s[12:13], vcc
	s_cbranch_execz .LBB775_512
; %bb.507:
	s_movk_i32 s11, 0x80
	v_cmp_ne_u16_e32 vcc, s11, v19
	v_mov_b32_e32 v23, 0xffff8000
	s_and_saveexec_b64 s[14:15], vcc
	s_cbranch_execz .LBB775_511
; %bb.508:
	v_bfe_u32 v19, v14, 16, 7
	s_movk_i32 s11, 0x7f
	v_cmp_ne_u32_e32 vcc, s11, v19
	v_mov_b32_e32 v23, 0x7f80
	s_and_saveexec_b64 s[24:25], vcc
	s_cbranch_execz .LBB775_510
; %bb.509:
	v_and_b32_e32 v20, 7, v18
	v_ffbh_u32_e32 v24, v20
	v_min_u32_e32 v26, 32, v24
	v_subrev_u32_e32 v24, 28, v26
	v_lshlrev_b64 v[24:25], v24, v[18:19]
	v_and_b32_e32 v24, 7, v24
	v_cmp_gt_u32_e32 vcc, 8, v19
	v_lshrrev_b32_e32 v23, 3, v19
	v_sub_u32_e32 v18, 29, v26
	v_cndmask_b32_e32 v19, v20, v24, vcc
	v_mov_b32_e32 v20, 24
	v_cndmask_b32_e32 v18, v23, v18, vcc
	v_lshlrev_b32_sdwa v20, v20, v14 dst_sel:DWORD dst_unused:UNUSED_PAD src0_sel:DWORD src1_sel:WORD_1
	v_bfrev_b32_e32 v23, 60
	v_lshlrev_b32_e32 v19, 20, v19
	v_and_b32_e32 v20, 0x80000000, v20
	v_lshl_add_u32 v18, v18, 23, v23
	v_or3_b32 v18, v20, v18, v19
	v_lshrrev_b32_e32 v23, 16, v18
.LBB775_510:
	s_or_b64 exec, exec, s[24:25]
.LBB775_511:
	s_or_b64 exec, exec, s[14:15]
.LBB775_512:
	s_or_b64 exec, exec, s[12:13]
	s_mov_b32 s11, 0xffffff
	v_cmp_lt_u32_e32 vcc, s11, v14
	v_mov_b32_e32 v19, 0
	v_mov_b32_e32 v24, 0
	s_and_saveexec_b64 s[12:13], vcc
	s_cbranch_execz .LBB775_518
; %bb.513:
	v_lshrrev_b32_e32 v18, 24, v14
	s_movk_i32 s11, 0x80
	v_cmp_ne_u32_e32 vcc, s11, v18
	v_mov_b32_e32 v24, 0xffff8000
	s_and_saveexec_b64 s[14:15], vcc
	s_cbranch_execz .LBB775_517
; %bb.514:
	v_bfe_u32 v20, v14, 24, 7
	s_movk_i32 s11, 0x7f
	v_cmp_ne_u32_e32 vcc, s11, v20
	v_mov_b32_e32 v24, 0x7f80
	s_and_saveexec_b64 s[24:25], vcc
	s_cbranch_execz .LBB775_516
; %bb.515:
	v_and_b32_e32 v26, 7, v18
	v_ffbh_u32_e32 v24, v26
	v_min_u32_e32 v28, 32, v24
	v_subrev_u32_e32 v24, 28, v28
	v_lshlrev_b64 v[24:25], v24, v[18:19]
	v_lshrrev_b32_e32 v27, 3, v20
	v_sub_u32_e32 v25, 29, v28
	v_and_b32_e32 v24, 7, v24
	v_cmp_gt_u32_e32 vcc, 8, v20
	v_cndmask_b32_e32 v20, v27, v25, vcc
	v_cndmask_b32_e32 v24, v26, v24, vcc
	v_lshlrev_b32_e32 v18, 24, v18
	v_bfrev_b32_e32 v25, 60
	v_lshlrev_b32_e32 v24, 20, v24
	v_and_b32_e32 v18, 0x80000000, v18
	v_lshl_add_u32 v20, v20, 23, v25
	v_or3_b32 v18, v18, v20, v24
	v_lshrrev_b32_e32 v24, 16, v18
.LBB775_516:
	s_or_b64 exec, exec, s[24:25]
.LBB775_517:
	s_or_b64 exec, exec, s[14:15]
.LBB775_518:
	s_or_b64 exec, exec, s[12:13]
	v_mov_b32_e32 v18, v15
	v_cmp_ne_u16_sdwa s[14:15], v15, v19 src0_sel:BYTE_0 src1_sel:DWORD
	s_and_saveexec_b64 s[12:13], s[14:15]
	s_cbranch_execz .LBB775_524
; %bb.519:
	s_movk_i32 s11, 0x80
	v_cmp_ne_u16_sdwa s[24:25], v15, s11 src0_sel:BYTE_0 src1_sel:DWORD
	v_mov_b32_e32 v20, 0xffff8000
	s_and_saveexec_b64 s[14:15], s[24:25]
	s_cbranch_execz .LBB775_523
; %bb.520:
	s_movk_i32 s11, 0x7f
	v_and_b32_e32 v25, 0x7f, v15
	v_cmp_ne_u32_e32 vcc, s11, v25
	v_mov_b32_e32 v20, 0x7f80
	s_and_saveexec_b64 s[24:25], vcc
	s_cbranch_execz .LBB775_522
; %bb.521:
	v_and_b32_e32 v20, 7, v15
	v_ffbh_u32_e32 v20, v20
	v_min_u32_e32 v20, 32, v20
	v_subrev_u32_e32 v27, 28, v20
	v_cmp_gt_u32_e32 vcc, 8, v25
	v_lshrrev_b32_e32 v26, 3, v25
	v_sub_u32_e32 v20, 29, v20
	v_cndmask_b32_e32 v25, 0, v27, vcc
	v_cndmask_b32_e32 v20, v26, v20, vcc
	v_lshlrev_b64 v[26:27], v25, v[18:19]
	v_lshlrev_b32_e32 v19, 20, v26
	v_lshlrev_b32_e32 v25, 24, v18
	v_bfrev_b32_e32 v26, 60
	v_and_b32_e32 v19, 0x700000, v19
	v_and_b32_e32 v25, 0x80000000, v25
	v_lshl_add_u32 v20, v20, 23, v26
	v_or3_b32 v19, v25, v20, v19
	v_lshrrev_b32_e32 v20, 16, v19
.LBB775_522:
	s_or_b64 exec, exec, s[24:25]
.LBB775_523:
	s_or_b64 exec, exec, s[14:15]
	v_mov_b32_e32 v19, v20
.LBB775_524:
	s_or_b64 exec, exec, s[12:13]
	v_lshrrev_b16_e32 v20, 8, v18
	v_cmp_ne_u16_e32 vcc, 0, v20
	v_mov_b32_e32 v26, 0
	v_mov_b32_e32 v25, 0
	s_and_saveexec_b64 s[12:13], vcc
	s_cbranch_execz .LBB775_530
; %bb.525:
	s_movk_i32 s11, 0x80
	v_cmp_ne_u16_e32 vcc, s11, v20
	v_mov_b32_e32 v25, 0xffff8000
	s_and_saveexec_b64 s[14:15], vcc
	s_cbranch_execz .LBB775_529
; %bb.526:
	s_movk_i32 s11, 0x7f
	v_and_b32_e32 v27, 0x7f, v20
	v_cmp_ne_u32_e32 vcc, s11, v27
	v_mov_b32_e32 v25, 0x7f80
	s_and_saveexec_b64 s[24:25], vcc
	s_cbranch_execz .LBB775_528
; %bb.527:
	v_and_b32_e32 v25, 7, v20
	v_ffbh_u32_e32 v28, v25
	v_min_u32_e32 v31, 32, v28
	v_subrev_u32_e32 v28, 28, v31
	v_lshlrev_b64 v[28:29], v28, v[20:21]
	v_lshrrev_b32_e32 v30, 3, v27
	v_sub_u32_e32 v20, 29, v31
	v_and_b32_e32 v28, 7, v28
	v_cmp_gt_u32_e32 vcc, 8, v27
	v_cndmask_b32_e32 v20, v30, v20, vcc
	v_cndmask_b32_e32 v25, v25, v28, vcc
	v_lshlrev_b32_e32 v18, 16, v18
	v_bfrev_b32_e32 v27, 60
	v_lshlrev_b32_e32 v25, 20, v25
	v_and_b32_e32 v18, 0x80000000, v18
	v_lshl_add_u32 v20, v20, 23, v27
	v_or3_b32 v18, v18, v20, v25
	v_lshrrev_b32_e32 v25, 16, v18
.LBB775_528:
	s_or_b64 exec, exec, s[24:25]
.LBB775_529:
	s_or_b64 exec, exec, s[14:15]
.LBB775_530:
	s_or_b64 exec, exec, s[12:13]
	s_movk_i32 s11, 0xff
	v_and_b32_sdwa v20, v15, s11 dst_sel:DWORD dst_unused:UNUSED_PAD src0_sel:WORD_1 src1_sel:DWORD
	v_lshrrev_b32_e32 v18, 16, v15
	v_cmp_ne_u16_e32 vcc, 0, v20
	s_and_saveexec_b64 s[12:13], vcc
	s_cbranch_execz .LBB775_536
; %bb.531:
	s_movk_i32 s11, 0x80
	v_cmp_ne_u16_e32 vcc, s11, v20
	v_mov_b32_e32 v26, 0xffff8000
	s_and_saveexec_b64 s[14:15], vcc
	s_cbranch_execz .LBB775_535
; %bb.532:
	v_bfe_u32 v20, v15, 16, 7
	s_movk_i32 s11, 0x7f
	v_cmp_ne_u32_e32 vcc, s11, v20
	v_mov_b32_e32 v26, 0x7f80
	s_and_saveexec_b64 s[24:25], vcc
	s_cbranch_execz .LBB775_534
; %bb.533:
	v_and_b32_e32 v28, 7, v18
	v_ffbh_u32_e32 v26, v28
	v_min_u32_e32 v30, 32, v26
	v_subrev_u32_e32 v26, 28, v30
	v_lshlrev_b64 v[26:27], v26, v[18:19]
	v_and_b32_e32 v26, 7, v26
	v_cmp_gt_u32_e32 vcc, 8, v20
	v_lshrrev_b32_e32 v29, 3, v20
	v_sub_u32_e32 v18, 29, v30
	v_cndmask_b32_e32 v20, v28, v26, vcc
	v_mov_b32_e32 v26, 24
	v_cndmask_b32_e32 v18, v29, v18, vcc
	v_lshlrev_b32_sdwa v26, v26, v15 dst_sel:DWORD dst_unused:UNUSED_PAD src0_sel:DWORD src1_sel:WORD_1
	v_bfrev_b32_e32 v27, 60
	v_lshlrev_b32_e32 v20, 20, v20
	v_and_b32_e32 v26, 0x80000000, v26
	v_lshl_add_u32 v18, v18, 23, v27
	v_or3_b32 v18, v26, v18, v20
	v_lshrrev_b32_e32 v26, 16, v18
.LBB775_534:
	s_or_b64 exec, exec, s[24:25]
.LBB775_535:
	s_or_b64 exec, exec, s[14:15]
.LBB775_536:
	s_or_b64 exec, exec, s[12:13]
	s_mov_b32 s12, -1
	s_mov_b32 s13, 0xffffff
	v_cmp_lt_u64_e32 vcc, s[12:13], v[14:15]
	v_mov_b32_e32 v20, 0
	v_mov_b32_e32 v18, 0
	s_and_saveexec_b64 s[12:13], vcc
	s_cbranch_execz .LBB775_542
; %bb.537:
	v_lshrrev_b32_e32 v14, 24, v15
	s_movk_i32 s11, 0x80
	v_cmp_ne_u32_e32 vcc, s11, v14
	v_mov_b32_e32 v18, 0xffff8000
	s_and_saveexec_b64 s[14:15], vcc
	s_cbranch_execz .LBB775_541
; %bb.538:
	v_bfe_u32 v15, v15, 24, 7
	s_movk_i32 s11, 0x7f
	v_cmp_ne_u32_e32 vcc, s11, v15
	v_mov_b32_e32 v18, 0x7f80
	s_and_saveexec_b64 s[24:25], vcc
	s_cbranch_execz .LBB775_540
; %bb.539:
	v_and_b32_e32 v18, 7, v14
	v_ffbh_u32_e32 v28, v18
	v_min_u32_e32 v30, 32, v28
	v_subrev_u32_e32 v28, 28, v30
	v_lshlrev_b64 v[28:29], v28, v[14:15]
	v_lshrrev_b32_e32 v27, 3, v15
	v_sub_u32_e32 v29, 29, v30
	v_and_b32_e32 v28, 7, v28
	v_cmp_gt_u32_e32 vcc, 8, v15
	v_cndmask_b32_e32 v15, v27, v29, vcc
	v_cndmask_b32_e32 v18, v18, v28, vcc
	v_lshlrev_b32_e32 v14, 24, v14
	v_bfrev_b32_e32 v27, 60
	v_lshlrev_b32_e32 v18, 20, v18
	v_and_b32_e32 v14, 0x80000000, v14
	v_lshl_add_u32 v15, v15, 23, v27
	v_or3_b32 v14, v14, v15, v18
	v_lshrrev_b32_e32 v18, 16, v14
.LBB775_540:
	s_or_b64 exec, exec, s[24:25]
.LBB775_541:
	s_or_b64 exec, exec, s[14:15]
.LBB775_542:
	s_or_b64 exec, exec, s[12:13]
	s_mov_b32 s11, 0x5040100
	v_perm_b32 v15, v24, v23, s11
	v_perm_b32 v14, v21, v22, s11
	;; [unrolled: 1-line block ×4, first 2 shown]
	v_mfma_f32_4x4x4bf16_1k a[0:3], v[2:3], v[14:15], a[0:3] cbsz:4 abid:10
	v_cmp_ne_u16_sdwa s[14:15], v16, v20 src0_sel:BYTE_0 src1_sel:DWORD
	v_mfma_f32_4x4x4bf16_1k a[0:3], v[4:5], v[22:23], a[0:3] cbsz:4 abid:10
	s_and_saveexec_b64 s[12:13], s[14:15]
	s_cbranch_execz .LBB775_548
; %bb.543:
	s_movk_i32 s11, 0x80
	v_cmp_ne_u16_sdwa s[24:25], v16, s11 src0_sel:BYTE_0 src1_sel:DWORD
	v_mov_b32_e32 v20, 0xffff8000
	s_and_saveexec_b64 s[14:15], s[24:25]
	s_cbranch_execz .LBB775_547
; %bb.544:
	s_movk_i32 s11, 0x7f
	v_and_b32_e32 v14, 0x7f, v16
	v_cmp_ne_u32_e32 vcc, s11, v14
	v_mov_b32_e32 v20, 0x7f80
	s_and_saveexec_b64 s[24:25], vcc
	s_cbranch_execz .LBB775_546
; %bb.545:
	v_and_b32_e32 v15, 7, v16
	v_ffbh_u32_e32 v15, v15
	v_min_u32_e32 v15, 32, v15
	v_subrev_u32_e32 v19, 28, v15
	v_cmp_gt_u32_e32 vcc, 8, v14
	v_lshrrev_b32_e32 v18, 3, v14
	v_sub_u32_e32 v15, 29, v15
	v_cndmask_b32_e32 v14, 0, v19, vcc
	v_cndmask_b32_e32 v18, v18, v15, vcc
	v_lshlrev_b64 v[14:15], v14, v[16:17]
	v_lshlrev_b32_e32 v14, 20, v14
	v_lshlrev_b32_e32 v15, 24, v16
	v_bfrev_b32_e32 v19, 60
	v_and_b32_e32 v14, 0x700000, v14
	v_and_b32_e32 v15, 0x80000000, v15
	v_lshl_add_u32 v18, v18, 23, v19
	v_or3_b32 v14, v15, v18, v14
	v_lshrrev_b32_e32 v20, 16, v14
.LBB775_546:
	s_or_b64 exec, exec, s[24:25]
.LBB775_547:
	s_or_b64 exec, exec, s[14:15]
.LBB775_548:
	s_or_b64 exec, exec, s[12:13]
	v_lshrrev_b16_e32 v14, 8, v16
	v_cmp_ne_u16_e32 vcc, 0, v14
	v_mov_b32_e32 v21, 0
	v_mov_b32_e32 v19, 0
	s_and_saveexec_b64 s[12:13], vcc
	s_cbranch_execz .LBB775_554
; %bb.549:
	s_movk_i32 s11, 0x80
	v_cmp_ne_u16_e32 vcc, s11, v14
	v_mov_b32_e32 v19, 0xffff8000
	s_and_saveexec_b64 s[14:15], vcc
	s_cbranch_execz .LBB775_553
; %bb.550:
	s_movk_i32 s11, 0x7f
	v_and_b32_e32 v15, 0x7f, v14
	v_cmp_ne_u32_e32 vcc, s11, v15
	v_mov_b32_e32 v19, 0x7f80
	s_and_saveexec_b64 s[24:25], vcc
	s_cbranch_execz .LBB775_552
; %bb.551:
	v_and_b32_e32 v22, 7, v14
	v_ffbh_u32_e32 v18, v22
	v_min_u32_e32 v24, 32, v18
	v_subrev_u32_e32 v18, 28, v24
	v_lshlrev_b64 v[18:19], v18, v[14:15]
	v_lshrrev_b32_e32 v23, 3, v15
	v_sub_u32_e32 v14, 29, v24
	v_and_b32_e32 v18, 7, v18
	v_cmp_gt_u32_e32 vcc, 8, v15
	v_cndmask_b32_e32 v14, v23, v14, vcc
	v_cndmask_b32_e32 v15, v22, v18, vcc
	v_lshlrev_b32_e32 v18, 16, v16
	v_bfrev_b32_e32 v19, 60
	v_lshlrev_b32_e32 v15, 20, v15
	v_and_b32_e32 v18, 0x80000000, v18
	v_lshl_add_u32 v14, v14, 23, v19
	v_or3_b32 v14, v18, v14, v15
	v_lshrrev_b32_e32 v19, 16, v14
.LBB775_552:
	s_or_b64 exec, exec, s[24:25]
.LBB775_553:
	s_or_b64 exec, exec, s[14:15]
.LBB775_554:
	s_or_b64 exec, exec, s[12:13]
	s_movk_i32 s11, 0xff
	v_and_b32_sdwa v15, v16, s11 dst_sel:DWORD dst_unused:UNUSED_PAD src0_sel:WORD_1 src1_sel:DWORD
	v_lshrrev_b32_e32 v14, 16, v16
	v_cmp_ne_u16_e32 vcc, 0, v15
	s_and_saveexec_b64 s[12:13], vcc
	s_cbranch_execz .LBB775_560
; %bb.555:
	s_movk_i32 s11, 0x80
	v_cmp_ne_u16_e32 vcc, s11, v15
	v_mov_b32_e32 v21, 0xffff8000
	s_and_saveexec_b64 s[14:15], vcc
	s_cbranch_execz .LBB775_559
; %bb.556:
	v_bfe_u32 v15, v16, 16, 7
	s_movk_i32 s11, 0x7f
	v_cmp_ne_u32_e32 vcc, s11, v15
	v_mov_b32_e32 v21, 0x7f80
	s_and_saveexec_b64 s[24:25], vcc
	s_cbranch_execz .LBB775_558
; %bb.557:
	v_and_b32_e32 v18, 7, v14
	v_ffbh_u32_e32 v22, v18
	v_min_u32_e32 v24, 32, v22
	v_subrev_u32_e32 v22, 28, v24
	v_lshlrev_b64 v[22:23], v22, v[14:15]
	v_and_b32_e32 v22, 7, v22
	v_cmp_gt_u32_e32 vcc, 8, v15
	v_lshrrev_b32_e32 v21, 3, v15
	v_sub_u32_e32 v14, 29, v24
	v_cndmask_b32_e32 v15, v18, v22, vcc
	v_mov_b32_e32 v18, 24
	v_cndmask_b32_e32 v14, v21, v14, vcc
	v_lshlrev_b32_sdwa v18, v18, v16 dst_sel:DWORD dst_unused:UNUSED_PAD src0_sel:DWORD src1_sel:WORD_1
	v_bfrev_b32_e32 v21, 60
	v_lshlrev_b32_e32 v15, 20, v15
	v_and_b32_e32 v18, 0x80000000, v18
	v_lshl_add_u32 v14, v14, 23, v21
	v_or3_b32 v14, v18, v14, v15
	v_lshrrev_b32_e32 v21, 16, v14
.LBB775_558:
	s_or_b64 exec, exec, s[24:25]
.LBB775_559:
	s_or_b64 exec, exec, s[14:15]
.LBB775_560:
	s_or_b64 exec, exec, s[12:13]
	s_mov_b32 s11, 0xffffff
	v_cmp_lt_u32_e32 vcc, s11, v16
	v_mov_b32_e32 v15, 0
	v_mov_b32_e32 v22, 0
	s_and_saveexec_b64 s[12:13], vcc
	s_cbranch_execz .LBB775_566
; %bb.561:
	v_lshrrev_b32_e32 v14, 24, v16
	s_movk_i32 s11, 0x80
	v_cmp_ne_u32_e32 vcc, s11, v14
	v_mov_b32_e32 v22, 0xffff8000
	s_and_saveexec_b64 s[14:15], vcc
	s_cbranch_execz .LBB775_565
; %bb.562:
	v_bfe_u32 v18, v16, 24, 7
	s_movk_i32 s11, 0x7f
	v_cmp_ne_u32_e32 vcc, s11, v18
	v_mov_b32_e32 v22, 0x7f80
	s_and_saveexec_b64 s[24:25], vcc
	s_cbranch_execz .LBB775_564
; %bb.563:
	v_and_b32_e32 v24, 7, v14
	v_ffbh_u32_e32 v22, v24
	v_min_u32_e32 v26, 32, v22
	v_subrev_u32_e32 v22, 28, v26
	v_lshlrev_b64 v[22:23], v22, v[14:15]
	v_lshrrev_b32_e32 v25, 3, v18
	v_sub_u32_e32 v23, 29, v26
	v_and_b32_e32 v22, 7, v22
	v_cmp_gt_u32_e32 vcc, 8, v18
	v_cndmask_b32_e32 v18, v25, v23, vcc
	v_cndmask_b32_e32 v22, v24, v22, vcc
	v_lshlrev_b32_e32 v14, 24, v14
	v_bfrev_b32_e32 v23, 60
	v_lshlrev_b32_e32 v22, 20, v22
	v_and_b32_e32 v14, 0x80000000, v14
	v_lshl_add_u32 v18, v18, 23, v23
	v_or3_b32 v14, v14, v18, v22
	v_lshrrev_b32_e32 v22, 16, v14
.LBB775_564:
	s_or_b64 exec, exec, s[24:25]
.LBB775_565:
	s_or_b64 exec, exec, s[14:15]
.LBB775_566:
	s_or_b64 exec, exec, s[12:13]
	v_mov_b32_e32 v14, v17
	v_cmp_ne_u16_sdwa s[14:15], v17, v15 src0_sel:BYTE_0 src1_sel:DWORD
	s_and_saveexec_b64 s[12:13], s[14:15]
	s_cbranch_execz .LBB775_572
; %bb.567:
	s_movk_i32 s11, 0x80
	v_cmp_ne_u16_sdwa s[24:25], v17, s11 src0_sel:BYTE_0 src1_sel:DWORD
	v_mov_b32_e32 v18, 0xffff8000
	s_and_saveexec_b64 s[14:15], s[24:25]
	s_cbranch_execz .LBB775_571
; %bb.568:
	s_movk_i32 s11, 0x7f
	v_and_b32_e32 v23, 0x7f, v17
	v_cmp_ne_u32_e32 vcc, s11, v23
	v_mov_b32_e32 v18, 0x7f80
	s_and_saveexec_b64 s[24:25], vcc
	s_cbranch_execz .LBB775_570
; %bb.569:
	v_and_b32_e32 v18, 7, v17
	v_ffbh_u32_e32 v18, v18
	v_min_u32_e32 v18, 32, v18
	v_subrev_u32_e32 v25, 28, v18
	v_cmp_gt_u32_e32 vcc, 8, v23
	v_lshrrev_b32_e32 v24, 3, v23
	v_sub_u32_e32 v18, 29, v18
	v_cndmask_b32_e32 v23, 0, v25, vcc
	v_cndmask_b32_e32 v18, v24, v18, vcc
	v_lshlrev_b64 v[24:25], v23, v[14:15]
	v_lshlrev_b32_e32 v15, 20, v24
	v_lshlrev_b32_e32 v23, 24, v14
	v_bfrev_b32_e32 v24, 60
	v_and_b32_e32 v15, 0x700000, v15
	v_and_b32_e32 v23, 0x80000000, v23
	v_lshl_add_u32 v18, v18, 23, v24
	v_or3_b32 v15, v23, v18, v15
	v_lshrrev_b32_e32 v18, 16, v15
.LBB775_570:
	s_or_b64 exec, exec, s[24:25]
.LBB775_571:
	s_or_b64 exec, exec, s[14:15]
	v_mov_b32_e32 v15, v18
.LBB775_572:
	s_or_b64 exec, exec, s[12:13]
	v_lshrrev_b16_e32 v18, 8, v14
	v_cmp_ne_u16_e32 vcc, 0, v18
	v_mov_b32_e32 v24, 0
	v_mov_b32_e32 v23, 0
	s_and_saveexec_b64 s[12:13], vcc
	s_cbranch_execz .LBB775_578
; %bb.573:
	s_movk_i32 s11, 0x80
	v_cmp_ne_u16_e32 vcc, s11, v18
	v_mov_b32_e32 v23, 0xffff8000
	s_and_saveexec_b64 s[14:15], vcc
	s_cbranch_execz .LBB775_577
; %bb.574:
	s_movk_i32 s11, 0x7f
	v_and_b32_e32 v25, 0x7f, v18
	v_cmp_ne_u32_e32 vcc, s11, v25
	v_mov_b32_e32 v23, 0x7f80
	s_and_saveexec_b64 s[24:25], vcc
	s_cbranch_execz .LBB775_576
; %bb.575:
	v_and_b32_e32 v23, 7, v18
	v_ffbh_u32_e32 v26, v23
	v_min_u32_e32 v29, 32, v26
	v_subrev_u32_e32 v26, 28, v29
	v_lshlrev_b64 v[26:27], v26, v[18:19]
	v_lshrrev_b32_e32 v28, 3, v25
	v_sub_u32_e32 v18, 29, v29
	v_and_b32_e32 v26, 7, v26
	v_cmp_gt_u32_e32 vcc, 8, v25
	v_cndmask_b32_e32 v18, v28, v18, vcc
	v_cndmask_b32_e32 v23, v23, v26, vcc
	v_lshlrev_b32_e32 v14, 16, v14
	v_bfrev_b32_e32 v25, 60
	v_lshlrev_b32_e32 v23, 20, v23
	v_and_b32_e32 v14, 0x80000000, v14
	v_lshl_add_u32 v18, v18, 23, v25
	v_or3_b32 v14, v14, v18, v23
	v_lshrrev_b32_e32 v23, 16, v14
.LBB775_576:
	s_or_b64 exec, exec, s[24:25]
.LBB775_577:
	s_or_b64 exec, exec, s[14:15]
.LBB775_578:
	s_or_b64 exec, exec, s[12:13]
	s_movk_i32 s11, 0xff
	v_and_b32_sdwa v18, v17, s11 dst_sel:DWORD dst_unused:UNUSED_PAD src0_sel:WORD_1 src1_sel:DWORD
	v_lshrrev_b32_e32 v14, 16, v17
	v_cmp_ne_u16_e32 vcc, 0, v18
	s_and_saveexec_b64 s[12:13], vcc
	s_cbranch_execz .LBB775_584
; %bb.579:
	s_movk_i32 s11, 0x80
	v_cmp_ne_u16_e32 vcc, s11, v18
	v_mov_b32_e32 v24, 0xffff8000
	s_and_saveexec_b64 s[14:15], vcc
	s_cbranch_execz .LBB775_583
; %bb.580:
	v_bfe_u32 v18, v17, 16, 7
	s_movk_i32 s11, 0x7f
	v_cmp_ne_u32_e32 vcc, s11, v18
	v_mov_b32_e32 v24, 0x7f80
	s_and_saveexec_b64 s[24:25], vcc
	s_cbranch_execz .LBB775_582
; %bb.581:
	v_and_b32_e32 v26, 7, v14
	v_ffbh_u32_e32 v24, v26
	v_min_u32_e32 v28, 32, v24
	v_subrev_u32_e32 v24, 28, v28
	v_lshlrev_b64 v[24:25], v24, v[14:15]
	v_and_b32_e32 v24, 7, v24
	v_cmp_gt_u32_e32 vcc, 8, v18
	v_lshrrev_b32_e32 v27, 3, v18
	v_sub_u32_e32 v14, 29, v28
	v_cndmask_b32_e32 v18, v26, v24, vcc
	v_mov_b32_e32 v24, 24
	v_cndmask_b32_e32 v14, v27, v14, vcc
	v_lshlrev_b32_sdwa v24, v24, v17 dst_sel:DWORD dst_unused:UNUSED_PAD src0_sel:DWORD src1_sel:WORD_1
	v_bfrev_b32_e32 v25, 60
	v_lshlrev_b32_e32 v18, 20, v18
	v_and_b32_e32 v24, 0x80000000, v24
	v_lshl_add_u32 v14, v14, 23, v25
	v_or3_b32 v14, v24, v14, v18
	v_lshrrev_b32_e32 v24, 16, v14
.LBB775_582:
	s_or_b64 exec, exec, s[24:25]
.LBB775_583:
	s_or_b64 exec, exec, s[14:15]
.LBB775_584:
	s_or_b64 exec, exec, s[12:13]
	s_mov_b32 s12, -1
	s_mov_b32 s13, 0xffffff
	v_cmp_lt_u64_e32 vcc, s[12:13], v[16:17]
	v_mov_b32_e32 v18, 0
	v_mov_b32_e32 v16, 0
	s_and_saveexec_b64 s[12:13], vcc
	s_cbranch_execz .LBB775_590
; %bb.585:
	v_lshrrev_b32_e32 v14, 24, v17
	s_movk_i32 s11, 0x80
	v_cmp_ne_u32_e32 vcc, s11, v14
	v_mov_b32_e32 v16, 0xffff8000
	s_and_saveexec_b64 s[14:15], vcc
	s_cbranch_execz .LBB775_589
; %bb.586:
	v_bfe_u32 v17, v17, 24, 7
	s_movk_i32 s11, 0x7f
	v_cmp_ne_u32_e32 vcc, s11, v17
	v_mov_b32_e32 v16, 0x7f80
	s_and_saveexec_b64 s[24:25], vcc
	s_cbranch_execz .LBB775_588
; %bb.587:
	v_and_b32_e32 v16, 7, v14
	v_ffbh_u32_e32 v26, v16
	v_min_u32_e32 v28, 32, v26
	v_subrev_u32_e32 v26, 28, v28
	v_lshlrev_b64 v[26:27], v26, v[14:15]
	v_lshrrev_b32_e32 v25, 3, v17
	v_sub_u32_e32 v27, 29, v28
	v_and_b32_e32 v26, 7, v26
	v_cmp_gt_u32_e32 vcc, 8, v17
	v_cndmask_b32_e32 v17, v25, v27, vcc
	v_cndmask_b32_e32 v16, v16, v26, vcc
	v_lshlrev_b32_e32 v14, 24, v14
	v_bfrev_b32_e32 v25, 60
	v_lshlrev_b32_e32 v16, 20, v16
	v_and_b32_e32 v14, 0x80000000, v14
	v_lshl_add_u32 v17, v17, 23, v25
	v_or3_b32 v14, v14, v17, v16
	v_lshrrev_b32_e32 v16, 16, v14
.LBB775_588:
	s_or_b64 exec, exec, s[24:25]
.LBB775_589:
	s_or_b64 exec, exec, s[14:15]
.LBB775_590:
	s_or_b64 exec, exec, s[12:13]
	s_mov_b32 s11, 0x5040100
	v_perm_b32 v21, v22, v21, s11
	v_perm_b32 v20, v19, v20, s11
	;; [unrolled: 1-line block ×4, first 2 shown]
	v_mfma_f32_4x4x4bf16_1k a[0:3], v[2:3], v[20:21], a[0:3] cbsz:4 abid:11
	s_waitcnt vmcnt(17)
	v_cmp_ne_u16_sdwa s[14:15], v10, v18 src0_sel:BYTE_0 src1_sel:DWORD
	v_mfma_f32_4x4x4bf16_1k a[0:3], v[4:5], v[16:17], a[0:3] cbsz:4 abid:11
	s_and_saveexec_b64 s[12:13], s[14:15]
	s_cbranch_execz .LBB775_596
; %bb.591:
	s_movk_i32 s11, 0x80
	v_cmp_ne_u16_sdwa s[24:25], v10, s11 src0_sel:BYTE_0 src1_sel:DWORD
	v_mov_b32_e32 v18, 0xffff8000
	s_and_saveexec_b64 s[14:15], s[24:25]
	s_cbranch_execz .LBB775_595
; %bb.592:
	s_movk_i32 s11, 0x7f
	v_and_b32_e32 v14, 0x7f, v10
	v_cmp_ne_u32_e32 vcc, s11, v14
	v_mov_b32_e32 v18, 0x7f80
	s_and_saveexec_b64 s[24:25], vcc
	s_cbranch_execz .LBB775_594
; %bb.593:
	v_and_b32_e32 v15, 7, v10
	v_ffbh_u32_e32 v15, v15
	v_min_u32_e32 v15, 32, v15
	v_subrev_u32_e32 v17, 28, v15
	v_cmp_gt_u32_e32 vcc, 8, v14
	v_lshrrev_b32_e32 v16, 3, v14
	v_sub_u32_e32 v15, 29, v15
	v_cndmask_b32_e32 v14, 0, v17, vcc
	v_cndmask_b32_e32 v16, v16, v15, vcc
	v_lshlrev_b64 v[14:15], v14, v[10:11]
	v_lshlrev_b32_e32 v14, 20, v14
	v_lshlrev_b32_e32 v15, 24, v10
	v_bfrev_b32_e32 v17, 60
	v_and_b32_e32 v14, 0x700000, v14
	v_and_b32_e32 v15, 0x80000000, v15
	v_lshl_add_u32 v16, v16, 23, v17
	v_or3_b32 v14, v15, v16, v14
	v_lshrrev_b32_e32 v18, 16, v14
.LBB775_594:
	s_or_b64 exec, exec, s[24:25]
.LBB775_595:
	s_or_b64 exec, exec, s[14:15]
.LBB775_596:
	s_or_b64 exec, exec, s[12:13]
	v_lshrrev_b16_e32 v14, 8, v10
	v_cmp_ne_u16_e32 vcc, 0, v14
	v_mov_b32_e32 v19, 0
	v_mov_b32_e32 v17, 0
	s_and_saveexec_b64 s[12:13], vcc
	s_cbranch_execz .LBB775_602
; %bb.597:
	s_movk_i32 s11, 0x80
	v_cmp_ne_u16_e32 vcc, s11, v14
	v_mov_b32_e32 v17, 0xffff8000
	s_and_saveexec_b64 s[14:15], vcc
	s_cbranch_execz .LBB775_601
; %bb.598:
	s_movk_i32 s11, 0x7f
	v_and_b32_e32 v15, 0x7f, v14
	v_cmp_ne_u32_e32 vcc, s11, v15
	v_mov_b32_e32 v17, 0x7f80
	s_and_saveexec_b64 s[24:25], vcc
	s_cbranch_execz .LBB775_600
; %bb.599:
	v_and_b32_e32 v20, 7, v14
	v_ffbh_u32_e32 v16, v20
	v_min_u32_e32 v22, 32, v16
	v_subrev_u32_e32 v16, 28, v22
	v_lshlrev_b64 v[16:17], v16, v[14:15]
	v_lshrrev_b32_e32 v21, 3, v15
	v_sub_u32_e32 v14, 29, v22
	v_and_b32_e32 v16, 7, v16
	v_cmp_gt_u32_e32 vcc, 8, v15
	v_cndmask_b32_e32 v14, v21, v14, vcc
	v_cndmask_b32_e32 v15, v20, v16, vcc
	v_lshlrev_b32_e32 v16, 16, v10
	v_bfrev_b32_e32 v17, 60
	v_lshlrev_b32_e32 v15, 20, v15
	v_and_b32_e32 v16, 0x80000000, v16
	v_lshl_add_u32 v14, v14, 23, v17
	v_or3_b32 v14, v16, v14, v15
	v_lshrrev_b32_e32 v17, 16, v14
.LBB775_600:
	s_or_b64 exec, exec, s[24:25]
.LBB775_601:
	s_or_b64 exec, exec, s[14:15]
.LBB775_602:
	s_or_b64 exec, exec, s[12:13]
	s_movk_i32 s11, 0xff
	v_and_b32_sdwa v15, v10, s11 dst_sel:DWORD dst_unused:UNUSED_PAD src0_sel:WORD_1 src1_sel:DWORD
	v_lshrrev_b32_e32 v14, 16, v10
	v_cmp_ne_u16_e32 vcc, 0, v15
	s_and_saveexec_b64 s[12:13], vcc
	s_cbranch_execz .LBB775_608
; %bb.603:
	s_movk_i32 s11, 0x80
	v_cmp_ne_u16_e32 vcc, s11, v15
	v_mov_b32_e32 v19, 0xffff8000
	s_and_saveexec_b64 s[14:15], vcc
	s_cbranch_execz .LBB775_607
; %bb.604:
	v_bfe_u32 v15, v10, 16, 7
	s_movk_i32 s11, 0x7f
	v_cmp_ne_u32_e32 vcc, s11, v15
	v_mov_b32_e32 v19, 0x7f80
	s_and_saveexec_b64 s[24:25], vcc
	s_cbranch_execz .LBB775_606
; %bb.605:
	v_and_b32_e32 v16, 7, v14
	v_ffbh_u32_e32 v20, v16
	v_min_u32_e32 v22, 32, v20
	v_subrev_u32_e32 v20, 28, v22
	v_lshlrev_b64 v[20:21], v20, v[14:15]
	v_and_b32_e32 v20, 7, v20
	v_cmp_gt_u32_e32 vcc, 8, v15
	v_lshrrev_b32_e32 v19, 3, v15
	v_sub_u32_e32 v14, 29, v22
	v_cndmask_b32_e32 v15, v16, v20, vcc
	v_mov_b32_e32 v16, 24
	v_cndmask_b32_e32 v14, v19, v14, vcc
	v_lshlrev_b32_sdwa v16, v16, v10 dst_sel:DWORD dst_unused:UNUSED_PAD src0_sel:DWORD src1_sel:WORD_1
	v_bfrev_b32_e32 v19, 60
	v_lshlrev_b32_e32 v15, 20, v15
	v_and_b32_e32 v16, 0x80000000, v16
	v_lshl_add_u32 v14, v14, 23, v19
	v_or3_b32 v14, v16, v14, v15
	v_lshrrev_b32_e32 v19, 16, v14
.LBB775_606:
	s_or_b64 exec, exec, s[24:25]
.LBB775_607:
	s_or_b64 exec, exec, s[14:15]
.LBB775_608:
	s_or_b64 exec, exec, s[12:13]
	s_mov_b32 s11, 0xffffff
	v_cmp_lt_u32_e32 vcc, s11, v10
	v_mov_b32_e32 v15, 0
	v_mov_b32_e32 v20, 0
	s_and_saveexec_b64 s[12:13], vcc
	s_cbranch_execz .LBB775_614
; %bb.609:
	v_lshrrev_b32_e32 v14, 24, v10
	s_movk_i32 s11, 0x80
	v_cmp_ne_u32_e32 vcc, s11, v14
	v_mov_b32_e32 v20, 0xffff8000
	s_and_saveexec_b64 s[14:15], vcc
	s_cbranch_execz .LBB775_613
; %bb.610:
	v_bfe_u32 v16, v10, 24, 7
	s_movk_i32 s11, 0x7f
	v_cmp_ne_u32_e32 vcc, s11, v16
	v_mov_b32_e32 v20, 0x7f80
	s_and_saveexec_b64 s[24:25], vcc
	s_cbranch_execz .LBB775_612
; %bb.611:
	v_and_b32_e32 v22, 7, v14
	v_ffbh_u32_e32 v20, v22
	v_min_u32_e32 v24, 32, v20
	v_subrev_u32_e32 v20, 28, v24
	v_lshlrev_b64 v[20:21], v20, v[14:15]
	v_lshrrev_b32_e32 v23, 3, v16
	v_sub_u32_e32 v21, 29, v24
	v_and_b32_e32 v20, 7, v20
	v_cmp_gt_u32_e32 vcc, 8, v16
	v_cndmask_b32_e32 v16, v23, v21, vcc
	v_cndmask_b32_e32 v20, v22, v20, vcc
	v_lshlrev_b32_e32 v14, 24, v14
	v_bfrev_b32_e32 v21, 60
	v_lshlrev_b32_e32 v20, 20, v20
	v_and_b32_e32 v14, 0x80000000, v14
	v_lshl_add_u32 v16, v16, 23, v21
	v_or3_b32 v14, v14, v16, v20
	v_lshrrev_b32_e32 v20, 16, v14
.LBB775_612:
	s_or_b64 exec, exec, s[24:25]
.LBB775_613:
	s_or_b64 exec, exec, s[14:15]
.LBB775_614:
	s_or_b64 exec, exec, s[12:13]
	v_mov_b32_e32 v14, v11
	v_cmp_ne_u16_sdwa s[14:15], v11, v15 src0_sel:BYTE_0 src1_sel:DWORD
	s_and_saveexec_b64 s[12:13], s[14:15]
	s_cbranch_execz .LBB775_620
; %bb.615:
	s_movk_i32 s11, 0x80
	v_cmp_ne_u16_sdwa s[24:25], v11, s11 src0_sel:BYTE_0 src1_sel:DWORD
	v_mov_b32_e32 v16, 0xffff8000
	s_and_saveexec_b64 s[14:15], s[24:25]
	s_cbranch_execz .LBB775_619
; %bb.616:
	s_movk_i32 s11, 0x7f
	v_and_b32_e32 v21, 0x7f, v11
	v_cmp_ne_u32_e32 vcc, s11, v21
	v_mov_b32_e32 v16, 0x7f80
	s_and_saveexec_b64 s[24:25], vcc
	s_cbranch_execz .LBB775_618
; %bb.617:
	v_and_b32_e32 v16, 7, v11
	v_ffbh_u32_e32 v16, v16
	v_min_u32_e32 v16, 32, v16
	v_subrev_u32_e32 v23, 28, v16
	v_cmp_gt_u32_e32 vcc, 8, v21
	v_lshrrev_b32_e32 v22, 3, v21
	v_sub_u32_e32 v16, 29, v16
	v_cndmask_b32_e32 v21, 0, v23, vcc
	v_cndmask_b32_e32 v16, v22, v16, vcc
	v_lshlrev_b64 v[22:23], v21, v[14:15]
	v_lshlrev_b32_e32 v15, 20, v22
	v_lshlrev_b32_e32 v21, 24, v14
	v_bfrev_b32_e32 v22, 60
	v_and_b32_e32 v15, 0x700000, v15
	v_and_b32_e32 v21, 0x80000000, v21
	v_lshl_add_u32 v16, v16, 23, v22
	v_or3_b32 v15, v21, v16, v15
	v_lshrrev_b32_e32 v16, 16, v15
.LBB775_618:
	s_or_b64 exec, exec, s[24:25]
.LBB775_619:
	s_or_b64 exec, exec, s[14:15]
	v_mov_b32_e32 v15, v16
.LBB775_620:
	s_or_b64 exec, exec, s[12:13]
	v_lshrrev_b16_e32 v16, 8, v14
	v_cmp_ne_u16_e32 vcc, 0, v16
	v_mov_b32_e32 v22, 0
	v_mov_b32_e32 v21, 0
	s_and_saveexec_b64 s[12:13], vcc
	s_cbranch_execz .LBB775_626
; %bb.621:
	s_movk_i32 s11, 0x80
	v_cmp_ne_u16_e32 vcc, s11, v16
	v_mov_b32_e32 v21, 0xffff8000
	s_and_saveexec_b64 s[14:15], vcc
	s_cbranch_execz .LBB775_625
; %bb.622:
	s_movk_i32 s11, 0x7f
	v_and_b32_e32 v23, 0x7f, v16
	v_cmp_ne_u32_e32 vcc, s11, v23
	v_mov_b32_e32 v21, 0x7f80
	s_and_saveexec_b64 s[24:25], vcc
	s_cbranch_execz .LBB775_624
; %bb.623:
	v_and_b32_e32 v21, 7, v16
	v_ffbh_u32_e32 v24, v21
	v_min_u32_e32 v27, 32, v24
	v_subrev_u32_e32 v24, 28, v27
	v_lshlrev_b64 v[24:25], v24, v[16:17]
	v_lshrrev_b32_e32 v26, 3, v23
	v_sub_u32_e32 v16, 29, v27
	v_and_b32_e32 v24, 7, v24
	v_cmp_gt_u32_e32 vcc, 8, v23
	v_cndmask_b32_e32 v16, v26, v16, vcc
	v_cndmask_b32_e32 v21, v21, v24, vcc
	v_lshlrev_b32_e32 v14, 16, v14
	v_bfrev_b32_e32 v23, 60
	v_lshlrev_b32_e32 v21, 20, v21
	v_and_b32_e32 v14, 0x80000000, v14
	v_lshl_add_u32 v16, v16, 23, v23
	v_or3_b32 v14, v14, v16, v21
	v_lshrrev_b32_e32 v21, 16, v14
.LBB775_624:
	s_or_b64 exec, exec, s[24:25]
.LBB775_625:
	s_or_b64 exec, exec, s[14:15]
.LBB775_626:
	s_or_b64 exec, exec, s[12:13]
	s_movk_i32 s11, 0xff
	v_and_b32_sdwa v16, v11, s11 dst_sel:DWORD dst_unused:UNUSED_PAD src0_sel:WORD_1 src1_sel:DWORD
	v_lshrrev_b32_e32 v14, 16, v11
	v_cmp_ne_u16_e32 vcc, 0, v16
	s_and_saveexec_b64 s[12:13], vcc
	s_cbranch_execz .LBB775_632
; %bb.627:
	s_movk_i32 s11, 0x80
	v_cmp_ne_u16_e32 vcc, s11, v16
	v_mov_b32_e32 v22, 0xffff8000
	s_and_saveexec_b64 s[14:15], vcc
	s_cbranch_execz .LBB775_631
; %bb.628:
	v_bfe_u32 v16, v11, 16, 7
	s_movk_i32 s11, 0x7f
	v_cmp_ne_u32_e32 vcc, s11, v16
	v_mov_b32_e32 v22, 0x7f80
	s_and_saveexec_b64 s[24:25], vcc
	s_cbranch_execz .LBB775_630
; %bb.629:
	v_and_b32_e32 v24, 7, v14
	v_ffbh_u32_e32 v22, v24
	v_min_u32_e32 v26, 32, v22
	v_subrev_u32_e32 v22, 28, v26
	v_lshlrev_b64 v[22:23], v22, v[14:15]
	v_and_b32_e32 v22, 7, v22
	v_cmp_gt_u32_e32 vcc, 8, v16
	v_lshrrev_b32_e32 v25, 3, v16
	v_sub_u32_e32 v14, 29, v26
	v_cndmask_b32_e32 v16, v24, v22, vcc
	v_mov_b32_e32 v22, 24
	v_cndmask_b32_e32 v14, v25, v14, vcc
	v_lshlrev_b32_sdwa v22, v22, v11 dst_sel:DWORD dst_unused:UNUSED_PAD src0_sel:DWORD src1_sel:WORD_1
	v_bfrev_b32_e32 v23, 60
	v_lshlrev_b32_e32 v16, 20, v16
	v_and_b32_e32 v22, 0x80000000, v22
	v_lshl_add_u32 v14, v14, 23, v23
	v_or3_b32 v14, v22, v14, v16
	v_lshrrev_b32_e32 v22, 16, v14
.LBB775_630:
	s_or_b64 exec, exec, s[24:25]
.LBB775_631:
	s_or_b64 exec, exec, s[14:15]
.LBB775_632:
	s_or_b64 exec, exec, s[12:13]
	s_mov_b32 s12, -1
	s_mov_b32 s13, 0xffffff
	v_cmp_lt_u64_e32 vcc, s[12:13], v[10:11]
	v_mov_b32_e32 v16, 0
	v_mov_b32_e32 v14, 0
	s_and_saveexec_b64 s[12:13], vcc
	s_cbranch_execz .LBB775_638
; %bb.633:
	v_lshrrev_b32_e32 v10, 24, v11
	s_movk_i32 s11, 0x80
	v_cmp_ne_u32_e32 vcc, s11, v10
	v_mov_b32_e32 v14, 0xffff8000
	s_and_saveexec_b64 s[14:15], vcc
	s_cbranch_execz .LBB775_637
; %bb.634:
	v_bfe_u32 v11, v11, 24, 7
	s_movk_i32 s11, 0x7f
	v_cmp_ne_u32_e32 vcc, s11, v11
	v_mov_b32_e32 v14, 0x7f80
	s_and_saveexec_b64 s[24:25], vcc
	s_cbranch_execz .LBB775_636
; %bb.635:
	v_and_b32_e32 v14, 7, v10
	v_ffbh_u32_e32 v24, v14
	v_min_u32_e32 v26, 32, v24
	v_subrev_u32_e32 v24, 28, v26
	v_lshlrev_b64 v[24:25], v24, v[10:11]
	v_lshrrev_b32_e32 v23, 3, v11
	v_sub_u32_e32 v25, 29, v26
	v_and_b32_e32 v24, 7, v24
	v_cmp_gt_u32_e32 vcc, 8, v11
	v_cndmask_b32_e32 v11, v23, v25, vcc
	v_cndmask_b32_e32 v14, v14, v24, vcc
	v_lshlrev_b32_e32 v10, 24, v10
	v_bfrev_b32_e32 v23, 60
	v_lshlrev_b32_e32 v14, 20, v14
	v_and_b32_e32 v10, 0x80000000, v10
	v_lshl_add_u32 v11, v11, 23, v23
	v_or3_b32 v10, v10, v11, v14
	v_lshrrev_b32_e32 v14, 16, v10
.LBB775_636:
	s_or_b64 exec, exec, s[24:25]
.LBB775_637:
	s_or_b64 exec, exec, s[14:15]
.LBB775_638:
	s_or_b64 exec, exec, s[12:13]
	s_mov_b32 s11, 0x5040100
	v_perm_b32 v11, v20, v19, s11
	v_perm_b32 v10, v17, v18, s11
	v_perm_b32 v19, v14, v22, s11
	v_perm_b32 v18, v21, v15, s11
	v_mfma_f32_4x4x4bf16_1k a[0:3], v[2:3], v[10:11], a[0:3] cbsz:4 abid:12
	v_cmp_ne_u16_sdwa s[14:15], v12, v16 src0_sel:BYTE_0 src1_sel:DWORD
	v_mfma_f32_4x4x4bf16_1k a[0:3], v[4:5], v[18:19], a[0:3] cbsz:4 abid:12
	s_and_saveexec_b64 s[12:13], s[14:15]
	s_cbranch_execz .LBB775_644
; %bb.639:
	s_movk_i32 s11, 0x80
	v_cmp_ne_u16_sdwa s[24:25], v12, s11 src0_sel:BYTE_0 src1_sel:DWORD
	v_mov_b32_e32 v16, 0xffff8000
	s_and_saveexec_b64 s[14:15], s[24:25]
	s_cbranch_execz .LBB775_643
; %bb.640:
	s_movk_i32 s11, 0x7f
	v_and_b32_e32 v10, 0x7f, v12
	v_cmp_ne_u32_e32 vcc, s11, v10
	v_mov_b32_e32 v16, 0x7f80
	s_and_saveexec_b64 s[24:25], vcc
	s_cbranch_execz .LBB775_642
; %bb.641:
	v_and_b32_e32 v11, 7, v12
	v_ffbh_u32_e32 v11, v11
	v_min_u32_e32 v11, 32, v11
	v_subrev_u32_e32 v15, 28, v11
	v_cmp_gt_u32_e32 vcc, 8, v10
	v_lshrrev_b32_e32 v14, 3, v10
	v_sub_u32_e32 v11, 29, v11
	v_cndmask_b32_e32 v10, 0, v15, vcc
	v_cndmask_b32_e32 v14, v14, v11, vcc
	v_lshlrev_b64 v[10:11], v10, v[12:13]
	v_lshlrev_b32_e32 v10, 20, v10
	v_lshlrev_b32_e32 v11, 24, v12
	v_bfrev_b32_e32 v15, 60
	v_and_b32_e32 v10, 0x700000, v10
	v_and_b32_e32 v11, 0x80000000, v11
	v_lshl_add_u32 v14, v14, 23, v15
	v_or3_b32 v10, v11, v14, v10
	v_lshrrev_b32_e32 v16, 16, v10
.LBB775_642:
	s_or_b64 exec, exec, s[24:25]
.LBB775_643:
	s_or_b64 exec, exec, s[14:15]
.LBB775_644:
	s_or_b64 exec, exec, s[12:13]
	v_lshrrev_b16_e32 v10, 8, v12
	v_cmp_ne_u16_e32 vcc, 0, v10
	v_mov_b32_e32 v17, 0
	v_mov_b32_e32 v15, 0
	s_and_saveexec_b64 s[12:13], vcc
	s_cbranch_execz .LBB775_650
; %bb.645:
	s_movk_i32 s11, 0x80
	v_cmp_ne_u16_e32 vcc, s11, v10
	v_mov_b32_e32 v15, 0xffff8000
	s_and_saveexec_b64 s[14:15], vcc
	s_cbranch_execz .LBB775_649
; %bb.646:
	s_movk_i32 s11, 0x7f
	v_and_b32_e32 v11, 0x7f, v10
	v_cmp_ne_u32_e32 vcc, s11, v11
	v_mov_b32_e32 v15, 0x7f80
	s_and_saveexec_b64 s[24:25], vcc
	s_cbranch_execz .LBB775_648
; %bb.647:
	v_and_b32_e32 v18, 7, v10
	v_ffbh_u32_e32 v14, v18
	v_min_u32_e32 v20, 32, v14
	v_subrev_u32_e32 v14, 28, v20
	v_lshlrev_b64 v[14:15], v14, v[10:11]
	v_lshrrev_b32_e32 v19, 3, v11
	v_sub_u32_e32 v10, 29, v20
	v_and_b32_e32 v14, 7, v14
	v_cmp_gt_u32_e32 vcc, 8, v11
	v_cndmask_b32_e32 v10, v19, v10, vcc
	v_cndmask_b32_e32 v11, v18, v14, vcc
	v_lshlrev_b32_e32 v14, 16, v12
	v_bfrev_b32_e32 v15, 60
	v_lshlrev_b32_e32 v11, 20, v11
	v_and_b32_e32 v14, 0x80000000, v14
	v_lshl_add_u32 v10, v10, 23, v15
	v_or3_b32 v10, v14, v10, v11
	v_lshrrev_b32_e32 v15, 16, v10
.LBB775_648:
	s_or_b64 exec, exec, s[24:25]
.LBB775_649:
	s_or_b64 exec, exec, s[14:15]
.LBB775_650:
	s_or_b64 exec, exec, s[12:13]
	s_movk_i32 s11, 0xff
	v_and_b32_sdwa v11, v12, s11 dst_sel:DWORD dst_unused:UNUSED_PAD src0_sel:WORD_1 src1_sel:DWORD
	v_lshrrev_b32_e32 v10, 16, v12
	v_cmp_ne_u16_e32 vcc, 0, v11
	s_and_saveexec_b64 s[12:13], vcc
	s_cbranch_execz .LBB775_656
; %bb.651:
	s_movk_i32 s11, 0x80
	v_cmp_ne_u16_e32 vcc, s11, v11
	v_mov_b32_e32 v17, 0xffff8000
	s_and_saveexec_b64 s[14:15], vcc
	s_cbranch_execz .LBB775_655
; %bb.652:
	v_bfe_u32 v11, v12, 16, 7
	s_movk_i32 s11, 0x7f
	v_cmp_ne_u32_e32 vcc, s11, v11
	v_mov_b32_e32 v17, 0x7f80
	s_and_saveexec_b64 s[24:25], vcc
	s_cbranch_execz .LBB775_654
; %bb.653:
	v_and_b32_e32 v14, 7, v10
	v_ffbh_u32_e32 v18, v14
	v_min_u32_e32 v20, 32, v18
	v_subrev_u32_e32 v18, 28, v20
	v_lshlrev_b64 v[18:19], v18, v[10:11]
	v_and_b32_e32 v18, 7, v18
	v_cmp_gt_u32_e32 vcc, 8, v11
	v_lshrrev_b32_e32 v17, 3, v11
	v_sub_u32_e32 v10, 29, v20
	v_cndmask_b32_e32 v11, v14, v18, vcc
	v_mov_b32_e32 v14, 24
	v_cndmask_b32_e32 v10, v17, v10, vcc
	v_lshlrev_b32_sdwa v14, v14, v12 dst_sel:DWORD dst_unused:UNUSED_PAD src0_sel:DWORD src1_sel:WORD_1
	v_bfrev_b32_e32 v17, 60
	v_lshlrev_b32_e32 v11, 20, v11
	v_and_b32_e32 v14, 0x80000000, v14
	v_lshl_add_u32 v10, v10, 23, v17
	v_or3_b32 v10, v14, v10, v11
	v_lshrrev_b32_e32 v17, 16, v10
.LBB775_654:
	s_or_b64 exec, exec, s[24:25]
.LBB775_655:
	s_or_b64 exec, exec, s[14:15]
.LBB775_656:
	s_or_b64 exec, exec, s[12:13]
	s_mov_b32 s11, 0xffffff
	v_cmp_lt_u32_e32 vcc, s11, v12
	v_mov_b32_e32 v11, 0
	v_mov_b32_e32 v18, 0
	s_and_saveexec_b64 s[12:13], vcc
	s_cbranch_execz .LBB775_662
; %bb.657:
	v_lshrrev_b32_e32 v10, 24, v12
	s_movk_i32 s11, 0x80
	v_cmp_ne_u32_e32 vcc, s11, v10
	v_mov_b32_e32 v18, 0xffff8000
	s_and_saveexec_b64 s[14:15], vcc
	s_cbranch_execz .LBB775_661
; %bb.658:
	v_bfe_u32 v14, v12, 24, 7
	s_movk_i32 s11, 0x7f
	v_cmp_ne_u32_e32 vcc, s11, v14
	v_mov_b32_e32 v18, 0x7f80
	s_and_saveexec_b64 s[24:25], vcc
	s_cbranch_execz .LBB775_660
; %bb.659:
	v_and_b32_e32 v20, 7, v10
	v_ffbh_u32_e32 v18, v20
	v_min_u32_e32 v22, 32, v18
	v_subrev_u32_e32 v18, 28, v22
	v_lshlrev_b64 v[18:19], v18, v[10:11]
	v_lshrrev_b32_e32 v21, 3, v14
	v_sub_u32_e32 v19, 29, v22
	v_and_b32_e32 v18, 7, v18
	v_cmp_gt_u32_e32 vcc, 8, v14
	v_cndmask_b32_e32 v14, v21, v19, vcc
	v_cndmask_b32_e32 v18, v20, v18, vcc
	v_lshlrev_b32_e32 v10, 24, v10
	v_bfrev_b32_e32 v19, 60
	v_lshlrev_b32_e32 v18, 20, v18
	v_and_b32_e32 v10, 0x80000000, v10
	v_lshl_add_u32 v14, v14, 23, v19
	v_or3_b32 v10, v10, v14, v18
	v_lshrrev_b32_e32 v18, 16, v10
.LBB775_660:
	s_or_b64 exec, exec, s[24:25]
.LBB775_661:
	s_or_b64 exec, exec, s[14:15]
.LBB775_662:
	s_or_b64 exec, exec, s[12:13]
	v_mov_b32_e32 v10, v13
	v_cmp_ne_u16_sdwa s[14:15], v13, v11 src0_sel:BYTE_0 src1_sel:DWORD
	s_and_saveexec_b64 s[12:13], s[14:15]
	s_cbranch_execz .LBB775_668
; %bb.663:
	s_movk_i32 s11, 0x80
	v_cmp_ne_u16_sdwa s[24:25], v13, s11 src0_sel:BYTE_0 src1_sel:DWORD
	v_mov_b32_e32 v14, 0xffff8000
	s_and_saveexec_b64 s[14:15], s[24:25]
	s_cbranch_execz .LBB775_667
; %bb.664:
	s_movk_i32 s11, 0x7f
	v_and_b32_e32 v19, 0x7f, v13
	v_cmp_ne_u32_e32 vcc, s11, v19
	v_mov_b32_e32 v14, 0x7f80
	s_and_saveexec_b64 s[24:25], vcc
	s_cbranch_execz .LBB775_666
; %bb.665:
	v_and_b32_e32 v14, 7, v13
	v_ffbh_u32_e32 v14, v14
	v_min_u32_e32 v14, 32, v14
	v_subrev_u32_e32 v21, 28, v14
	v_cmp_gt_u32_e32 vcc, 8, v19
	v_lshrrev_b32_e32 v20, 3, v19
	v_sub_u32_e32 v14, 29, v14
	v_cndmask_b32_e32 v19, 0, v21, vcc
	v_cndmask_b32_e32 v14, v20, v14, vcc
	v_lshlrev_b64 v[20:21], v19, v[10:11]
	v_lshlrev_b32_e32 v11, 20, v20
	v_lshlrev_b32_e32 v19, 24, v10
	v_bfrev_b32_e32 v20, 60
	v_and_b32_e32 v11, 0x700000, v11
	v_and_b32_e32 v19, 0x80000000, v19
	v_lshl_add_u32 v14, v14, 23, v20
	v_or3_b32 v11, v19, v14, v11
	v_lshrrev_b32_e32 v14, 16, v11
.LBB775_666:
	s_or_b64 exec, exec, s[24:25]
.LBB775_667:
	s_or_b64 exec, exec, s[14:15]
	v_mov_b32_e32 v11, v14
.LBB775_668:
	s_or_b64 exec, exec, s[12:13]
	v_lshrrev_b16_e32 v14, 8, v10
	v_cmp_ne_u16_e32 vcc, 0, v14
	v_mov_b32_e32 v20, 0
	v_mov_b32_e32 v19, 0
	s_and_saveexec_b64 s[12:13], vcc
	s_cbranch_execz .LBB775_674
; %bb.669:
	s_movk_i32 s11, 0x80
	v_cmp_ne_u16_e32 vcc, s11, v14
	v_mov_b32_e32 v19, 0xffff8000
	s_and_saveexec_b64 s[14:15], vcc
	s_cbranch_execz .LBB775_673
; %bb.670:
	s_movk_i32 s11, 0x7f
	v_and_b32_e32 v21, 0x7f, v14
	v_cmp_ne_u32_e32 vcc, s11, v21
	v_mov_b32_e32 v19, 0x7f80
	s_and_saveexec_b64 s[24:25], vcc
	s_cbranch_execz .LBB775_672
; %bb.671:
	v_and_b32_e32 v19, 7, v14
	v_ffbh_u32_e32 v22, v19
	v_min_u32_e32 v25, 32, v22
	v_subrev_u32_e32 v22, 28, v25
	v_lshlrev_b64 v[22:23], v22, v[14:15]
	v_lshrrev_b32_e32 v24, 3, v21
	v_sub_u32_e32 v14, 29, v25
	v_and_b32_e32 v22, 7, v22
	v_cmp_gt_u32_e32 vcc, 8, v21
	v_cndmask_b32_e32 v14, v24, v14, vcc
	v_cndmask_b32_e32 v19, v19, v22, vcc
	v_lshlrev_b32_e32 v10, 16, v10
	v_bfrev_b32_e32 v21, 60
	v_lshlrev_b32_e32 v19, 20, v19
	v_and_b32_e32 v10, 0x80000000, v10
	v_lshl_add_u32 v14, v14, 23, v21
	v_or3_b32 v10, v10, v14, v19
	v_lshrrev_b32_e32 v19, 16, v10
.LBB775_672:
	s_or_b64 exec, exec, s[24:25]
.LBB775_673:
	s_or_b64 exec, exec, s[14:15]
.LBB775_674:
	s_or_b64 exec, exec, s[12:13]
	s_movk_i32 s11, 0xff
	v_and_b32_sdwa v14, v13, s11 dst_sel:DWORD dst_unused:UNUSED_PAD src0_sel:WORD_1 src1_sel:DWORD
	v_lshrrev_b32_e32 v10, 16, v13
	v_cmp_ne_u16_e32 vcc, 0, v14
	s_and_saveexec_b64 s[12:13], vcc
	s_cbranch_execz .LBB775_680
; %bb.675:
	s_movk_i32 s11, 0x80
	v_cmp_ne_u16_e32 vcc, s11, v14
	v_mov_b32_e32 v20, 0xffff8000
	s_and_saveexec_b64 s[14:15], vcc
	s_cbranch_execz .LBB775_679
; %bb.676:
	v_bfe_u32 v14, v13, 16, 7
	s_movk_i32 s11, 0x7f
	v_cmp_ne_u32_e32 vcc, s11, v14
	v_mov_b32_e32 v20, 0x7f80
	s_and_saveexec_b64 s[24:25], vcc
	s_cbranch_execz .LBB775_678
; %bb.677:
	v_and_b32_e32 v22, 7, v10
	v_ffbh_u32_e32 v20, v22
	v_min_u32_e32 v24, 32, v20
	v_subrev_u32_e32 v20, 28, v24
	v_lshlrev_b64 v[20:21], v20, v[10:11]
	v_and_b32_e32 v20, 7, v20
	v_cmp_gt_u32_e32 vcc, 8, v14
	v_lshrrev_b32_e32 v23, 3, v14
	v_sub_u32_e32 v10, 29, v24
	v_cndmask_b32_e32 v14, v22, v20, vcc
	v_mov_b32_e32 v20, 24
	v_cndmask_b32_e32 v10, v23, v10, vcc
	v_lshlrev_b32_sdwa v20, v20, v13 dst_sel:DWORD dst_unused:UNUSED_PAD src0_sel:DWORD src1_sel:WORD_1
	v_bfrev_b32_e32 v21, 60
	v_lshlrev_b32_e32 v14, 20, v14
	v_and_b32_e32 v20, 0x80000000, v20
	v_lshl_add_u32 v10, v10, 23, v21
	v_or3_b32 v10, v20, v10, v14
	v_lshrrev_b32_e32 v20, 16, v10
.LBB775_678:
	s_or_b64 exec, exec, s[24:25]
.LBB775_679:
	s_or_b64 exec, exec, s[14:15]
.LBB775_680:
	s_or_b64 exec, exec, s[12:13]
	s_mov_b32 s12, -1
	s_mov_b32 s13, 0xffffff
	v_cmp_lt_u64_e32 vcc, s[12:13], v[12:13]
	v_mov_b32_e32 v14, 0
	v_mov_b32_e32 v12, 0
	s_and_saveexec_b64 s[12:13], vcc
	s_cbranch_execz .LBB775_686
; %bb.681:
	v_lshrrev_b32_e32 v10, 24, v13
	s_movk_i32 s11, 0x80
	v_cmp_ne_u32_e32 vcc, s11, v10
	v_mov_b32_e32 v12, 0xffff8000
	s_and_saveexec_b64 s[14:15], vcc
	s_cbranch_execz .LBB775_685
; %bb.682:
	v_bfe_u32 v13, v13, 24, 7
	s_movk_i32 s11, 0x7f
	v_cmp_ne_u32_e32 vcc, s11, v13
	v_mov_b32_e32 v12, 0x7f80
	s_and_saveexec_b64 s[24:25], vcc
	s_cbranch_execz .LBB775_684
; %bb.683:
	v_and_b32_e32 v12, 7, v10
	v_ffbh_u32_e32 v22, v12
	v_min_u32_e32 v24, 32, v22
	v_subrev_u32_e32 v22, 28, v24
	v_lshlrev_b64 v[22:23], v22, v[10:11]
	v_lshrrev_b32_e32 v21, 3, v13
	v_sub_u32_e32 v23, 29, v24
	v_and_b32_e32 v22, 7, v22
	v_cmp_gt_u32_e32 vcc, 8, v13
	v_cndmask_b32_e32 v13, v21, v23, vcc
	v_cndmask_b32_e32 v12, v12, v22, vcc
	v_lshlrev_b32_e32 v10, 24, v10
	v_bfrev_b32_e32 v21, 60
	v_lshlrev_b32_e32 v12, 20, v12
	v_and_b32_e32 v10, 0x80000000, v10
	v_lshl_add_u32 v13, v13, 23, v21
	v_or3_b32 v10, v10, v13, v12
	v_lshrrev_b32_e32 v12, 16, v10
.LBB775_684:
	s_or_b64 exec, exec, s[24:25]
.LBB775_685:
	s_or_b64 exec, exec, s[14:15]
.LBB775_686:
	s_or_b64 exec, exec, s[12:13]
	s_mov_b32 s11, 0x5040100
	v_perm_b32 v17, v18, v17, s11
	v_perm_b32 v16, v15, v16, s11
	;; [unrolled: 1-line block ×4, first 2 shown]
	v_mfma_f32_4x4x4bf16_1k a[0:3], v[2:3], v[16:17], a[0:3] cbsz:4 abid:13
	s_waitcnt vmcnt(16)
	v_cmp_ne_u16_sdwa s[14:15], v6, v14 src0_sel:BYTE_0 src1_sel:DWORD
	v_mfma_f32_4x4x4bf16_1k a[0:3], v[4:5], v[12:13], a[0:3] cbsz:4 abid:13
	s_and_saveexec_b64 s[12:13], s[14:15]
	s_cbranch_execz .LBB775_692
; %bb.687:
	s_movk_i32 s11, 0x80
	v_cmp_ne_u16_sdwa s[24:25], v6, s11 src0_sel:BYTE_0 src1_sel:DWORD
	v_mov_b32_e32 v14, 0xffff8000
	s_and_saveexec_b64 s[14:15], s[24:25]
	s_cbranch_execz .LBB775_691
; %bb.688:
	s_movk_i32 s11, 0x7f
	v_and_b32_e32 v10, 0x7f, v6
	v_cmp_ne_u32_e32 vcc, s11, v10
	v_mov_b32_e32 v14, 0x7f80
	s_and_saveexec_b64 s[24:25], vcc
	s_cbranch_execz .LBB775_690
; %bb.689:
	v_and_b32_e32 v11, 7, v6
	v_ffbh_u32_e32 v11, v11
	v_min_u32_e32 v11, 32, v11
	v_subrev_u32_e32 v13, 28, v11
	v_cmp_gt_u32_e32 vcc, 8, v10
	v_lshrrev_b32_e32 v12, 3, v10
	v_sub_u32_e32 v11, 29, v11
	v_cndmask_b32_e32 v10, 0, v13, vcc
	v_cndmask_b32_e32 v12, v12, v11, vcc
	v_lshlrev_b64 v[10:11], v10, v[6:7]
	v_lshlrev_b32_e32 v10, 20, v10
	v_lshlrev_b32_e32 v11, 24, v6
	v_bfrev_b32_e32 v13, 60
	v_and_b32_e32 v10, 0x700000, v10
	v_and_b32_e32 v11, 0x80000000, v11
	v_lshl_add_u32 v12, v12, 23, v13
	v_or3_b32 v10, v11, v12, v10
	v_lshrrev_b32_e32 v14, 16, v10
.LBB775_690:
	s_or_b64 exec, exec, s[24:25]
.LBB775_691:
	s_or_b64 exec, exec, s[14:15]
.LBB775_692:
	s_or_b64 exec, exec, s[12:13]
	v_lshrrev_b16_e32 v10, 8, v6
	v_cmp_ne_u16_e32 vcc, 0, v10
	v_mov_b32_e32 v15, 0
	v_mov_b32_e32 v13, 0
	s_and_saveexec_b64 s[12:13], vcc
	s_cbranch_execz .LBB775_698
; %bb.693:
	s_movk_i32 s11, 0x80
	v_cmp_ne_u16_e32 vcc, s11, v10
	v_mov_b32_e32 v13, 0xffff8000
	s_and_saveexec_b64 s[14:15], vcc
	s_cbranch_execz .LBB775_697
; %bb.694:
	s_movk_i32 s11, 0x7f
	v_and_b32_e32 v11, 0x7f, v10
	v_cmp_ne_u32_e32 vcc, s11, v11
	v_mov_b32_e32 v13, 0x7f80
	s_and_saveexec_b64 s[24:25], vcc
	s_cbranch_execz .LBB775_696
; %bb.695:
	v_and_b32_e32 v16, 7, v10
	v_ffbh_u32_e32 v12, v16
	v_min_u32_e32 v18, 32, v12
	v_subrev_u32_e32 v12, 28, v18
	v_lshlrev_b64 v[12:13], v12, v[10:11]
	v_lshrrev_b32_e32 v17, 3, v11
	v_sub_u32_e32 v10, 29, v18
	v_and_b32_e32 v12, 7, v12
	v_cmp_gt_u32_e32 vcc, 8, v11
	v_cndmask_b32_e32 v10, v17, v10, vcc
	v_cndmask_b32_e32 v11, v16, v12, vcc
	v_lshlrev_b32_e32 v12, 16, v6
	v_bfrev_b32_e32 v13, 60
	v_lshlrev_b32_e32 v11, 20, v11
	v_and_b32_e32 v12, 0x80000000, v12
	v_lshl_add_u32 v10, v10, 23, v13
	v_or3_b32 v10, v12, v10, v11
	v_lshrrev_b32_e32 v13, 16, v10
.LBB775_696:
	s_or_b64 exec, exec, s[24:25]
.LBB775_697:
	s_or_b64 exec, exec, s[14:15]
.LBB775_698:
	s_or_b64 exec, exec, s[12:13]
	s_movk_i32 s11, 0xff
	v_and_b32_sdwa v11, v6, s11 dst_sel:DWORD dst_unused:UNUSED_PAD src0_sel:WORD_1 src1_sel:DWORD
	v_lshrrev_b32_e32 v10, 16, v6
	v_cmp_ne_u16_e32 vcc, 0, v11
	s_and_saveexec_b64 s[12:13], vcc
	s_cbranch_execz .LBB775_704
; %bb.699:
	s_movk_i32 s11, 0x80
	v_cmp_ne_u16_e32 vcc, s11, v11
	v_mov_b32_e32 v15, 0xffff8000
	s_and_saveexec_b64 s[14:15], vcc
	s_cbranch_execz .LBB775_703
; %bb.700:
	v_bfe_u32 v11, v6, 16, 7
	s_movk_i32 s11, 0x7f
	v_cmp_ne_u32_e32 vcc, s11, v11
	v_mov_b32_e32 v15, 0x7f80
	s_and_saveexec_b64 s[24:25], vcc
	s_cbranch_execz .LBB775_702
; %bb.701:
	v_and_b32_e32 v12, 7, v10
	v_ffbh_u32_e32 v16, v12
	v_min_u32_e32 v18, 32, v16
	v_subrev_u32_e32 v16, 28, v18
	v_lshlrev_b64 v[16:17], v16, v[10:11]
	v_and_b32_e32 v16, 7, v16
	v_cmp_gt_u32_e32 vcc, 8, v11
	v_lshrrev_b32_e32 v15, 3, v11
	v_sub_u32_e32 v10, 29, v18
	v_cndmask_b32_e32 v11, v12, v16, vcc
	v_mov_b32_e32 v12, 24
	v_cndmask_b32_e32 v10, v15, v10, vcc
	v_lshlrev_b32_sdwa v12, v12, v6 dst_sel:DWORD dst_unused:UNUSED_PAD src0_sel:DWORD src1_sel:WORD_1
	v_bfrev_b32_e32 v15, 60
	v_lshlrev_b32_e32 v11, 20, v11
	v_and_b32_e32 v12, 0x80000000, v12
	v_lshl_add_u32 v10, v10, 23, v15
	v_or3_b32 v10, v12, v10, v11
	v_lshrrev_b32_e32 v15, 16, v10
.LBB775_702:
	s_or_b64 exec, exec, s[24:25]
.LBB775_703:
	s_or_b64 exec, exec, s[14:15]
.LBB775_704:
	s_or_b64 exec, exec, s[12:13]
	s_mov_b32 s11, 0xffffff
	v_cmp_lt_u32_e32 vcc, s11, v6
	v_mov_b32_e32 v11, 0
	v_mov_b32_e32 v16, 0
	s_and_saveexec_b64 s[12:13], vcc
	s_cbranch_execz .LBB775_710
; %bb.705:
	v_lshrrev_b32_e32 v10, 24, v6
	s_movk_i32 s11, 0x80
	v_cmp_ne_u32_e32 vcc, s11, v10
	v_mov_b32_e32 v16, 0xffff8000
	s_and_saveexec_b64 s[14:15], vcc
	s_cbranch_execz .LBB775_709
; %bb.706:
	v_bfe_u32 v12, v6, 24, 7
	s_movk_i32 s11, 0x7f
	v_cmp_ne_u32_e32 vcc, s11, v12
	v_mov_b32_e32 v16, 0x7f80
	s_and_saveexec_b64 s[24:25], vcc
	s_cbranch_execz .LBB775_708
; %bb.707:
	v_and_b32_e32 v18, 7, v10
	v_ffbh_u32_e32 v16, v18
	v_min_u32_e32 v20, 32, v16
	v_subrev_u32_e32 v16, 28, v20
	v_lshlrev_b64 v[16:17], v16, v[10:11]
	v_lshrrev_b32_e32 v19, 3, v12
	v_sub_u32_e32 v17, 29, v20
	v_and_b32_e32 v16, 7, v16
	v_cmp_gt_u32_e32 vcc, 8, v12
	v_cndmask_b32_e32 v12, v19, v17, vcc
	v_cndmask_b32_e32 v16, v18, v16, vcc
	v_lshlrev_b32_e32 v10, 24, v10
	v_bfrev_b32_e32 v17, 60
	v_lshlrev_b32_e32 v16, 20, v16
	v_and_b32_e32 v10, 0x80000000, v10
	v_lshl_add_u32 v12, v12, 23, v17
	v_or3_b32 v10, v10, v12, v16
	v_lshrrev_b32_e32 v16, 16, v10
.LBB775_708:
	s_or_b64 exec, exec, s[24:25]
.LBB775_709:
	s_or_b64 exec, exec, s[14:15]
.LBB775_710:
	s_or_b64 exec, exec, s[12:13]
	v_mov_b32_e32 v10, v7
	v_cmp_ne_u16_sdwa s[14:15], v7, v11 src0_sel:BYTE_0 src1_sel:DWORD
	s_and_saveexec_b64 s[12:13], s[14:15]
	s_cbranch_execz .LBB775_716
; %bb.711:
	s_movk_i32 s11, 0x80
	v_cmp_ne_u16_sdwa s[24:25], v7, s11 src0_sel:BYTE_0 src1_sel:DWORD
	v_mov_b32_e32 v12, 0xffff8000
	s_and_saveexec_b64 s[14:15], s[24:25]
	s_cbranch_execz .LBB775_715
; %bb.712:
	s_movk_i32 s11, 0x7f
	v_and_b32_e32 v17, 0x7f, v7
	v_cmp_ne_u32_e32 vcc, s11, v17
	v_mov_b32_e32 v12, 0x7f80
	s_and_saveexec_b64 s[24:25], vcc
	s_cbranch_execz .LBB775_714
; %bb.713:
	v_and_b32_e32 v12, 7, v7
	v_ffbh_u32_e32 v12, v12
	v_min_u32_e32 v12, 32, v12
	v_subrev_u32_e32 v19, 28, v12
	v_cmp_gt_u32_e32 vcc, 8, v17
	v_lshrrev_b32_e32 v18, 3, v17
	v_sub_u32_e32 v12, 29, v12
	v_cndmask_b32_e32 v17, 0, v19, vcc
	v_cndmask_b32_e32 v12, v18, v12, vcc
	v_lshlrev_b64 v[18:19], v17, v[10:11]
	v_lshlrev_b32_e32 v11, 20, v18
	v_lshlrev_b32_e32 v17, 24, v10
	v_bfrev_b32_e32 v18, 60
	v_and_b32_e32 v11, 0x700000, v11
	v_and_b32_e32 v17, 0x80000000, v17
	v_lshl_add_u32 v12, v12, 23, v18
	v_or3_b32 v11, v17, v12, v11
	v_lshrrev_b32_e32 v12, 16, v11
.LBB775_714:
	s_or_b64 exec, exec, s[24:25]
.LBB775_715:
	s_or_b64 exec, exec, s[14:15]
	v_mov_b32_e32 v11, v12
.LBB775_716:
	s_or_b64 exec, exec, s[12:13]
	v_lshrrev_b16_e32 v12, 8, v10
	v_cmp_ne_u16_e32 vcc, 0, v12
	v_mov_b32_e32 v18, 0
	v_mov_b32_e32 v17, 0
	s_and_saveexec_b64 s[12:13], vcc
	s_cbranch_execz .LBB775_722
; %bb.717:
	s_movk_i32 s11, 0x80
	v_cmp_ne_u16_e32 vcc, s11, v12
	v_mov_b32_e32 v17, 0xffff8000
	s_and_saveexec_b64 s[14:15], vcc
	s_cbranch_execz .LBB775_721
; %bb.718:
	s_movk_i32 s11, 0x7f
	v_and_b32_e32 v19, 0x7f, v12
	v_cmp_ne_u32_e32 vcc, s11, v19
	v_mov_b32_e32 v17, 0x7f80
	s_and_saveexec_b64 s[24:25], vcc
	s_cbranch_execz .LBB775_720
; %bb.719:
	v_and_b32_e32 v17, 7, v12
	v_ffbh_u32_e32 v20, v17
	v_min_u32_e32 v23, 32, v20
	v_subrev_u32_e32 v20, 28, v23
	v_lshlrev_b64 v[20:21], v20, v[12:13]
	v_lshrrev_b32_e32 v22, 3, v19
	v_sub_u32_e32 v12, 29, v23
	v_and_b32_e32 v20, 7, v20
	v_cmp_gt_u32_e32 vcc, 8, v19
	v_cndmask_b32_e32 v12, v22, v12, vcc
	v_cndmask_b32_e32 v17, v17, v20, vcc
	v_lshlrev_b32_e32 v10, 16, v10
	v_bfrev_b32_e32 v19, 60
	v_lshlrev_b32_e32 v17, 20, v17
	v_and_b32_e32 v10, 0x80000000, v10
	v_lshl_add_u32 v12, v12, 23, v19
	v_or3_b32 v10, v10, v12, v17
	v_lshrrev_b32_e32 v17, 16, v10
.LBB775_720:
	s_or_b64 exec, exec, s[24:25]
.LBB775_721:
	s_or_b64 exec, exec, s[14:15]
.LBB775_722:
	s_or_b64 exec, exec, s[12:13]
	s_movk_i32 s11, 0xff
	v_and_b32_sdwa v12, v7, s11 dst_sel:DWORD dst_unused:UNUSED_PAD src0_sel:WORD_1 src1_sel:DWORD
	v_lshrrev_b32_e32 v10, 16, v7
	v_cmp_ne_u16_e32 vcc, 0, v12
	s_and_saveexec_b64 s[12:13], vcc
	s_cbranch_execz .LBB775_728
; %bb.723:
	s_movk_i32 s11, 0x80
	v_cmp_ne_u16_e32 vcc, s11, v12
	v_mov_b32_e32 v18, 0xffff8000
	s_and_saveexec_b64 s[14:15], vcc
	s_cbranch_execz .LBB775_727
; %bb.724:
	v_bfe_u32 v12, v7, 16, 7
	s_movk_i32 s11, 0x7f
	v_cmp_ne_u32_e32 vcc, s11, v12
	v_mov_b32_e32 v18, 0x7f80
	s_and_saveexec_b64 s[24:25], vcc
	s_cbranch_execz .LBB775_726
; %bb.725:
	v_and_b32_e32 v20, 7, v10
	v_ffbh_u32_e32 v18, v20
	v_min_u32_e32 v22, 32, v18
	v_subrev_u32_e32 v18, 28, v22
	v_lshlrev_b64 v[18:19], v18, v[10:11]
	v_and_b32_e32 v18, 7, v18
	v_cmp_gt_u32_e32 vcc, 8, v12
	v_lshrrev_b32_e32 v21, 3, v12
	v_sub_u32_e32 v10, 29, v22
	v_cndmask_b32_e32 v12, v20, v18, vcc
	v_mov_b32_e32 v18, 24
	v_cndmask_b32_e32 v10, v21, v10, vcc
	v_lshlrev_b32_sdwa v18, v18, v7 dst_sel:DWORD dst_unused:UNUSED_PAD src0_sel:DWORD src1_sel:WORD_1
	v_bfrev_b32_e32 v19, 60
	v_lshlrev_b32_e32 v12, 20, v12
	v_and_b32_e32 v18, 0x80000000, v18
	v_lshl_add_u32 v10, v10, 23, v19
	v_or3_b32 v10, v18, v10, v12
	v_lshrrev_b32_e32 v18, 16, v10
.LBB775_726:
	s_or_b64 exec, exec, s[24:25]
.LBB775_727:
	s_or_b64 exec, exec, s[14:15]
.LBB775_728:
	s_or_b64 exec, exec, s[12:13]
	s_mov_b32 s12, -1
	s_mov_b32 s13, 0xffffff
	v_cmp_lt_u64_e32 vcc, s[12:13], v[6:7]
	v_mov_b32_e32 v12, 0
	v_mov_b32_e32 v10, 0
	s_and_saveexec_b64 s[12:13], vcc
	s_cbranch_execz .LBB775_734
; %bb.729:
	v_lshrrev_b32_e32 v6, 24, v7
	s_movk_i32 s11, 0x80
	v_cmp_ne_u32_e32 vcc, s11, v6
	v_mov_b32_e32 v10, 0xffff8000
	s_and_saveexec_b64 s[14:15], vcc
	s_cbranch_execz .LBB775_733
; %bb.730:
	v_bfe_u32 v7, v7, 24, 7
	s_movk_i32 s11, 0x7f
	v_cmp_ne_u32_e32 vcc, s11, v7
	v_mov_b32_e32 v10, 0x7f80
	s_and_saveexec_b64 s[24:25], vcc
	s_cbranch_execz .LBB775_732
; %bb.731:
	v_and_b32_e32 v10, 7, v6
	v_ffbh_u32_e32 v20, v10
	v_min_u32_e32 v22, 32, v20
	v_subrev_u32_e32 v20, 28, v22
	v_lshlrev_b64 v[20:21], v20, v[6:7]
	v_lshrrev_b32_e32 v19, 3, v7
	v_sub_u32_e32 v21, 29, v22
	v_and_b32_e32 v20, 7, v20
	v_cmp_gt_u32_e32 vcc, 8, v7
	v_cndmask_b32_e32 v7, v19, v21, vcc
	v_cndmask_b32_e32 v10, v10, v20, vcc
	v_lshlrev_b32_e32 v6, 24, v6
	v_bfrev_b32_e32 v19, 60
	v_lshlrev_b32_e32 v10, 20, v10
	v_and_b32_e32 v6, 0x80000000, v6
	v_lshl_add_u32 v7, v7, 23, v19
	v_or3_b32 v6, v6, v7, v10
	v_lshrrev_b32_e32 v10, 16, v6
.LBB775_732:
	s_or_b64 exec, exec, s[24:25]
.LBB775_733:
	s_or_b64 exec, exec, s[14:15]
.LBB775_734:
	s_or_b64 exec, exec, s[12:13]
	s_mov_b32 s11, 0x5040100
	v_perm_b32 v7, v16, v15, s11
	v_perm_b32 v6, v13, v14, s11
	;; [unrolled: 1-line block ×4, first 2 shown]
	v_mfma_f32_4x4x4bf16_1k a[0:3], v[2:3], v[6:7], a[0:3] cbsz:4 abid:14
	v_cmp_ne_u16_sdwa s[14:15], v8, v12 src0_sel:BYTE_0 src1_sel:DWORD
	v_mfma_f32_4x4x4bf16_1k a[0:3], v[4:5], v[14:15], a[0:3] cbsz:4 abid:14
	s_and_saveexec_b64 s[12:13], s[14:15]
	s_cbranch_execz .LBB775_740
; %bb.735:
	s_movk_i32 s11, 0x80
	v_cmp_ne_u16_sdwa s[24:25], v8, s11 src0_sel:BYTE_0 src1_sel:DWORD
	v_mov_b32_e32 v12, 0xffff8000
	s_and_saveexec_b64 s[14:15], s[24:25]
	s_cbranch_execz .LBB775_739
; %bb.736:
	s_movk_i32 s11, 0x7f
	v_and_b32_e32 v6, 0x7f, v8
	v_cmp_ne_u32_e32 vcc, s11, v6
	v_mov_b32_e32 v12, 0x7f80
	s_and_saveexec_b64 s[24:25], vcc
	s_cbranch_execz .LBB775_738
; %bb.737:
	v_and_b32_e32 v7, 7, v8
	v_ffbh_u32_e32 v7, v7
	v_min_u32_e32 v7, 32, v7
	v_subrev_u32_e32 v11, 28, v7
	v_cmp_gt_u32_e32 vcc, 8, v6
	v_lshrrev_b32_e32 v10, 3, v6
	v_sub_u32_e32 v7, 29, v7
	v_cndmask_b32_e32 v6, 0, v11, vcc
	v_cndmask_b32_e32 v10, v10, v7, vcc
	v_lshlrev_b64 v[6:7], v6, v[8:9]
	v_lshlrev_b32_e32 v6, 20, v6
	v_lshlrev_b32_e32 v7, 24, v8
	v_bfrev_b32_e32 v11, 60
	v_and_b32_e32 v6, 0x700000, v6
	v_and_b32_e32 v7, 0x80000000, v7
	v_lshl_add_u32 v10, v10, 23, v11
	v_or3_b32 v6, v7, v10, v6
	v_lshrrev_b32_e32 v12, 16, v6
.LBB775_738:
	s_or_b64 exec, exec, s[24:25]
.LBB775_739:
	s_or_b64 exec, exec, s[14:15]
.LBB775_740:
	s_or_b64 exec, exec, s[12:13]
	v_lshrrev_b16_e32 v6, 8, v8
	v_cmp_ne_u16_e32 vcc, 0, v6
	v_mov_b32_e32 v13, 0
	v_mov_b32_e32 v11, 0
	s_and_saveexec_b64 s[12:13], vcc
	s_cbranch_execz .LBB775_746
; %bb.741:
	s_movk_i32 s11, 0x80
	v_cmp_ne_u16_e32 vcc, s11, v6
	v_mov_b32_e32 v11, 0xffff8000
	s_and_saveexec_b64 s[14:15], vcc
	s_cbranch_execz .LBB775_745
; %bb.742:
	s_movk_i32 s11, 0x7f
	v_and_b32_e32 v7, 0x7f, v6
	v_cmp_ne_u32_e32 vcc, s11, v7
	v_mov_b32_e32 v11, 0x7f80
	s_and_saveexec_b64 s[24:25], vcc
	s_cbranch_execz .LBB775_744
; %bb.743:
	v_and_b32_e32 v14, 7, v6
	v_ffbh_u32_e32 v10, v14
	v_min_u32_e32 v16, 32, v10
	v_subrev_u32_e32 v10, 28, v16
	v_lshlrev_b64 v[10:11], v10, v[6:7]
	v_lshrrev_b32_e32 v15, 3, v7
	v_sub_u32_e32 v6, 29, v16
	v_and_b32_e32 v10, 7, v10
	v_cmp_gt_u32_e32 vcc, 8, v7
	v_cndmask_b32_e32 v6, v15, v6, vcc
	v_cndmask_b32_e32 v7, v14, v10, vcc
	v_lshlrev_b32_e32 v10, 16, v8
	v_bfrev_b32_e32 v11, 60
	v_lshlrev_b32_e32 v7, 20, v7
	v_and_b32_e32 v10, 0x80000000, v10
	v_lshl_add_u32 v6, v6, 23, v11
	v_or3_b32 v6, v10, v6, v7
	v_lshrrev_b32_e32 v11, 16, v6
.LBB775_744:
	s_or_b64 exec, exec, s[24:25]
.LBB775_745:
	s_or_b64 exec, exec, s[14:15]
.LBB775_746:
	s_or_b64 exec, exec, s[12:13]
	s_movk_i32 s11, 0xff
	v_and_b32_sdwa v7, v8, s11 dst_sel:DWORD dst_unused:UNUSED_PAD src0_sel:WORD_1 src1_sel:DWORD
	v_lshrrev_b32_e32 v6, 16, v8
	v_cmp_ne_u16_e32 vcc, 0, v7
	s_and_saveexec_b64 s[12:13], vcc
	s_cbranch_execz .LBB775_752
; %bb.747:
	s_movk_i32 s11, 0x80
	v_cmp_ne_u16_e32 vcc, s11, v7
	v_mov_b32_e32 v13, 0xffff8000
	s_and_saveexec_b64 s[14:15], vcc
	s_cbranch_execz .LBB775_751
; %bb.748:
	v_bfe_u32 v7, v8, 16, 7
	s_movk_i32 s11, 0x7f
	v_cmp_ne_u32_e32 vcc, s11, v7
	v_mov_b32_e32 v13, 0x7f80
	s_and_saveexec_b64 s[24:25], vcc
	s_cbranch_execz .LBB775_750
; %bb.749:
	v_and_b32_e32 v10, 7, v6
	v_ffbh_u32_e32 v14, v10
	v_min_u32_e32 v16, 32, v14
	v_subrev_u32_e32 v14, 28, v16
	v_lshlrev_b64 v[14:15], v14, v[6:7]
	v_and_b32_e32 v14, 7, v14
	v_cmp_gt_u32_e32 vcc, 8, v7
	v_lshrrev_b32_e32 v13, 3, v7
	v_sub_u32_e32 v6, 29, v16
	v_cndmask_b32_e32 v7, v10, v14, vcc
	v_mov_b32_e32 v10, 24
	v_cndmask_b32_e32 v6, v13, v6, vcc
	v_lshlrev_b32_sdwa v10, v10, v8 dst_sel:DWORD dst_unused:UNUSED_PAD src0_sel:DWORD src1_sel:WORD_1
	v_bfrev_b32_e32 v13, 60
	v_lshlrev_b32_e32 v7, 20, v7
	v_and_b32_e32 v10, 0x80000000, v10
	v_lshl_add_u32 v6, v6, 23, v13
	v_or3_b32 v6, v10, v6, v7
	v_lshrrev_b32_e32 v13, 16, v6
.LBB775_750:
	s_or_b64 exec, exec, s[24:25]
.LBB775_751:
	s_or_b64 exec, exec, s[14:15]
.LBB775_752:
	s_or_b64 exec, exec, s[12:13]
	s_mov_b32 s11, 0xffffff
	v_cmp_lt_u32_e32 vcc, s11, v8
	v_mov_b32_e32 v7, 0
	v_mov_b32_e32 v14, 0
	s_and_saveexec_b64 s[12:13], vcc
	s_cbranch_execz .LBB775_758
; %bb.753:
	v_lshrrev_b32_e32 v6, 24, v8
	s_movk_i32 s11, 0x80
	v_cmp_ne_u32_e32 vcc, s11, v6
	v_mov_b32_e32 v14, 0xffff8000
	s_and_saveexec_b64 s[14:15], vcc
	s_cbranch_execz .LBB775_757
; %bb.754:
	v_bfe_u32 v10, v8, 24, 7
	s_movk_i32 s11, 0x7f
	v_cmp_ne_u32_e32 vcc, s11, v10
	v_mov_b32_e32 v14, 0x7f80
	s_and_saveexec_b64 s[24:25], vcc
	s_cbranch_execz .LBB775_756
; %bb.755:
	v_and_b32_e32 v16, 7, v6
	v_ffbh_u32_e32 v14, v16
	v_min_u32_e32 v18, 32, v14
	v_subrev_u32_e32 v14, 28, v18
	v_lshlrev_b64 v[14:15], v14, v[6:7]
	v_lshrrev_b32_e32 v17, 3, v10
	v_sub_u32_e32 v15, 29, v18
	v_and_b32_e32 v14, 7, v14
	v_cmp_gt_u32_e32 vcc, 8, v10
	v_cndmask_b32_e32 v10, v17, v15, vcc
	v_cndmask_b32_e32 v14, v16, v14, vcc
	v_lshlrev_b32_e32 v6, 24, v6
	v_bfrev_b32_e32 v15, 60
	v_lshlrev_b32_e32 v14, 20, v14
	v_and_b32_e32 v6, 0x80000000, v6
	v_lshl_add_u32 v10, v10, 23, v15
	v_or3_b32 v6, v6, v10, v14
	v_lshrrev_b32_e32 v14, 16, v6
.LBB775_756:
	s_or_b64 exec, exec, s[24:25]
.LBB775_757:
	s_or_b64 exec, exec, s[14:15]
.LBB775_758:
	s_or_b64 exec, exec, s[12:13]
	v_mov_b32_e32 v6, v9
	v_cmp_ne_u16_sdwa s[14:15], v9, v7 src0_sel:BYTE_0 src1_sel:DWORD
	s_and_saveexec_b64 s[12:13], s[14:15]
	s_cbranch_execz .LBB775_764
; %bb.759:
	s_movk_i32 s11, 0x80
	v_cmp_ne_u16_sdwa s[24:25], v9, s11 src0_sel:BYTE_0 src1_sel:DWORD
	v_mov_b32_e32 v10, 0xffff8000
	s_and_saveexec_b64 s[14:15], s[24:25]
	s_cbranch_execz .LBB775_763
; %bb.760:
	s_movk_i32 s11, 0x7f
	v_and_b32_e32 v15, 0x7f, v9
	v_cmp_ne_u32_e32 vcc, s11, v15
	v_mov_b32_e32 v10, 0x7f80
	s_and_saveexec_b64 s[24:25], vcc
	s_cbranch_execz .LBB775_762
; %bb.761:
	v_and_b32_e32 v10, 7, v9
	v_ffbh_u32_e32 v10, v10
	v_min_u32_e32 v10, 32, v10
	v_subrev_u32_e32 v17, 28, v10
	v_cmp_gt_u32_e32 vcc, 8, v15
	v_lshrrev_b32_e32 v16, 3, v15
	v_sub_u32_e32 v10, 29, v10
	v_cndmask_b32_e32 v15, 0, v17, vcc
	v_cndmask_b32_e32 v10, v16, v10, vcc
	v_lshlrev_b64 v[16:17], v15, v[6:7]
	v_lshlrev_b32_e32 v7, 20, v16
	v_lshlrev_b32_e32 v15, 24, v6
	v_bfrev_b32_e32 v16, 60
	v_and_b32_e32 v7, 0x700000, v7
	v_and_b32_e32 v15, 0x80000000, v15
	v_lshl_add_u32 v10, v10, 23, v16
	v_or3_b32 v7, v15, v10, v7
	v_lshrrev_b32_e32 v10, 16, v7
.LBB775_762:
	s_or_b64 exec, exec, s[24:25]
.LBB775_763:
	s_or_b64 exec, exec, s[14:15]
	v_mov_b32_e32 v7, v10
.LBB775_764:
	s_or_b64 exec, exec, s[12:13]
	v_lshrrev_b16_e32 v10, 8, v6
	v_cmp_ne_u16_e32 vcc, 0, v10
	v_mov_b32_e32 v16, 0
	v_mov_b32_e32 v15, 0
	s_and_saveexec_b64 s[12:13], vcc
	s_cbranch_execz .LBB775_770
; %bb.765:
	s_movk_i32 s11, 0x80
	v_cmp_ne_u16_e32 vcc, s11, v10
	v_mov_b32_e32 v15, 0xffff8000
	s_and_saveexec_b64 s[14:15], vcc
	s_cbranch_execz .LBB775_769
; %bb.766:
	s_movk_i32 s11, 0x7f
	v_and_b32_e32 v17, 0x7f, v10
	v_cmp_ne_u32_e32 vcc, s11, v17
	v_mov_b32_e32 v15, 0x7f80
	s_and_saveexec_b64 s[24:25], vcc
	s_cbranch_execz .LBB775_768
; %bb.767:
	v_and_b32_e32 v15, 7, v10
	v_ffbh_u32_e32 v18, v15
	v_min_u32_e32 v21, 32, v18
	v_subrev_u32_e32 v18, 28, v21
	v_lshlrev_b64 v[18:19], v18, v[10:11]
	v_lshrrev_b32_e32 v20, 3, v17
	v_sub_u32_e32 v10, 29, v21
	v_and_b32_e32 v18, 7, v18
	v_cmp_gt_u32_e32 vcc, 8, v17
	v_cndmask_b32_e32 v10, v20, v10, vcc
	v_cndmask_b32_e32 v15, v15, v18, vcc
	v_lshlrev_b32_e32 v6, 16, v6
	v_bfrev_b32_e32 v17, 60
	v_lshlrev_b32_e32 v15, 20, v15
	v_and_b32_e32 v6, 0x80000000, v6
	v_lshl_add_u32 v10, v10, 23, v17
	v_or3_b32 v6, v6, v10, v15
	v_lshrrev_b32_e32 v15, 16, v6
.LBB775_768:
	s_or_b64 exec, exec, s[24:25]
.LBB775_769:
	s_or_b64 exec, exec, s[14:15]
.LBB775_770:
	s_or_b64 exec, exec, s[12:13]
	s_movk_i32 s11, 0xff
	v_and_b32_sdwa v10, v9, s11 dst_sel:DWORD dst_unused:UNUSED_PAD src0_sel:WORD_1 src1_sel:DWORD
	v_lshrrev_b32_e32 v6, 16, v9
	v_cmp_ne_u16_e32 vcc, 0, v10
	s_and_saveexec_b64 s[12:13], vcc
	s_cbranch_execz .LBB775_776
; %bb.771:
	s_movk_i32 s11, 0x80
	v_cmp_ne_u16_e32 vcc, s11, v10
	v_mov_b32_e32 v16, 0xffff8000
	s_and_saveexec_b64 s[14:15], vcc
	s_cbranch_execz .LBB775_775
; %bb.772:
	v_bfe_u32 v10, v9, 16, 7
	s_movk_i32 s11, 0x7f
	v_cmp_ne_u32_e32 vcc, s11, v10
	v_mov_b32_e32 v16, 0x7f80
	s_and_saveexec_b64 s[24:25], vcc
	s_cbranch_execz .LBB775_774
; %bb.773:
	v_and_b32_e32 v18, 7, v6
	v_ffbh_u32_e32 v16, v18
	v_min_u32_e32 v20, 32, v16
	v_subrev_u32_e32 v16, 28, v20
	v_lshlrev_b64 v[16:17], v16, v[6:7]
	v_and_b32_e32 v16, 7, v16
	v_cmp_gt_u32_e32 vcc, 8, v10
	v_lshrrev_b32_e32 v19, 3, v10
	v_sub_u32_e32 v6, 29, v20
	v_cndmask_b32_e32 v10, v18, v16, vcc
	v_mov_b32_e32 v16, 24
	v_cndmask_b32_e32 v6, v19, v6, vcc
	v_lshlrev_b32_sdwa v16, v16, v9 dst_sel:DWORD dst_unused:UNUSED_PAD src0_sel:DWORD src1_sel:WORD_1
	v_bfrev_b32_e32 v17, 60
	v_lshlrev_b32_e32 v10, 20, v10
	v_and_b32_e32 v16, 0x80000000, v16
	v_lshl_add_u32 v6, v6, 23, v17
	v_or3_b32 v6, v16, v6, v10
	v_lshrrev_b32_e32 v16, 16, v6
.LBB775_774:
	s_or_b64 exec, exec, s[24:25]
.LBB775_775:
	s_or_b64 exec, exec, s[14:15]
.LBB775_776:
	s_or_b64 exec, exec, s[12:13]
	s_mov_b32 s12, -1
	s_mov_b32 s13, 0xffffff
	v_cmp_lt_u64_e32 vcc, s[12:13], v[8:9]
	v_mov_b32_e32 v8, 0
	s_and_saveexec_b64 s[12:13], vcc
	s_cbranch_execz .LBB775_782
; %bb.777:
	v_lshrrev_b32_e32 v6, 24, v9
	s_movk_i32 s11, 0x80
	v_cmp_ne_u32_e32 vcc, s11, v6
	v_mov_b32_e32 v8, 0xffff8000
	s_and_saveexec_b64 s[14:15], vcc
	s_cbranch_execz .LBB775_781
; %bb.778:
	v_bfe_u32 v9, v9, 24, 7
	s_movk_i32 s11, 0x7f
	v_cmp_ne_u32_e32 vcc, s11, v9
	v_mov_b32_e32 v8, 0x7f80
	s_and_saveexec_b64 s[24:25], vcc
	s_cbranch_execz .LBB775_780
; %bb.779:
	v_and_b32_e32 v8, 7, v6
	v_ffbh_u32_e32 v17, v8
	v_min_u32_e32 v17, 32, v17
	v_subrev_u32_e32 v18, 28, v17
	v_lshlrev_b64 v[18:19], v18, v[6:7]
	v_lshrrev_b32_e32 v10, 3, v9
	v_sub_u32_e32 v17, 29, v17
	v_and_b32_e32 v18, 7, v18
	v_cmp_gt_u32_e32 vcc, 8, v9
	v_cndmask_b32_e32 v9, v10, v17, vcc
	v_cndmask_b32_e32 v8, v8, v18, vcc
	v_lshlrev_b32_e32 v6, 24, v6
	v_bfrev_b32_e32 v10, 60
	v_lshlrev_b32_e32 v8, 20, v8
	v_and_b32_e32 v6, 0x80000000, v6
	v_lshl_add_u32 v9, v9, 23, v10
	v_or3_b32 v6, v6, v9, v8
	v_lshrrev_b32_e32 v8, 16, v6
.LBB775_780:
	s_or_b64 exec, exec, s[24:25]
.LBB775_781:
	s_or_b64 exec, exec, s[14:15]
.LBB775_782:
	s_or_b64 exec, exec, s[12:13]
	s_load_dword s4, s[4:5], 0x1c
	s_mov_b32 s5, 0x5040100
	v_perm_b32 v13, v14, v13, s5
	v_perm_b32 v12, v11, v12, s5
	;; [unrolled: 1-line block ×4, first 2 shown]
	v_mfma_f32_4x4x4bf16_1k a[0:3], v[2:3], v[12:13], a[0:3] cbsz:4 abid:15
	s_load_dword s5, s[16:17], 0x0
	v_mfma_f32_4x4x4bf16_1k a[0:3], v[4:5], v[8:9], a[0:3] cbsz:4 abid:15
	s_waitcnt lgkmcnt(0)
	v_mov_b32_e32 v2, s4
	v_cmp_eq_u32_e32 vcc, 0, v43
	v_mul_f32_e32 v4, s5, v2
	s_nop 0
	v_accvgpr_read_b32 v7, a1
	v_accvgpr_read_b32 v6, a0
	v_pk_mul_f32 v[6:7], v[6:7], v[4:5] op_sel_hi:[1,0]
	v_accvgpr_read_b32 v3, a3
	v_accvgpr_read_b32 v2, a2
	v_pk_mul_f32 v[2:3], v[2:3], v[4:5] op_sel_hi:[1,0]
	v_cndmask_b32_e64 v4, 0, 1.0, vcc
	v_cmp_eq_u32_e32 vcc, 1, v43
	s_nop 0
	v_mfma_f32_4x4x1f32 a[0:3], v6, v4, 0
	v_cndmask_b32_e64 v4, 0, 1.0, vcc
	v_cmp_eq_u32_e32 vcc, 2, v43
	v_mov_b32_e32 v6, 0xff7fffff
	v_mfma_f32_4x4x1f32 a[0:3], v7, v4, a[0:3]
	v_cndmask_b32_e64 v4, 0, 1.0, vcc
	v_cmp_eq_u32_e32 vcc, 3, v43
	s_nop 0
	v_mfma_f32_4x4x1f32 a[0:3], v2, v4, a[0:3]
	v_cndmask_b32_e64 v2, 0, 1.0, vcc
	s_nop 1
	v_mfma_f32_4x4x1f32 a[0:3], v3, v2, a[0:3]
	v_and_b32_e32 v2, -4, v44
	v_cmp_gt_i32_e32 vcc, s9, v2
	v_lshlrev_b32_e32 v3, 2, v0
	v_and_or_b32 v3, v3, 48, v43
	v_lshlrev_b32_e32 v10, 2, v3
	v_accvgpr_read_b32 v4, a0
	v_max_f32_e32 v5, v4, v4
	v_max_f32_e32 v5, 0xff7fffff, v5
	v_accvgpr_read_b32 v7, a1
	v_cndmask_b32_e32 v5, v6, v5, vcc
	v_or_b32_e32 v6, 1, v2
	v_max_f32_e32 v8, v7, v7
	v_max_f32_e32 v8, v5, v8
	v_cmp_gt_i32_e64 s[4:5], s9, v6
	v_cndmask_b32_e64 v5, v5, v8, s[4:5]
	v_accvgpr_read_b32 v8, a2
	v_or_b32_e32 v2, 2, v2
	v_max_f32_e32 v6, v8, v8
	v_max_f32_e32 v6, v5, v6
	v_cmp_gt_i32_e64 s[12:13], s9, v2
	v_accvgpr_read_b32 v9, a3
	v_cndmask_b32_e64 v2, v5, v6, s[12:13]
	v_or_b32_e32 v5, 3, v44
	v_max_f32_e32 v6, v9, v9
	v_max_f32_e32 v6, v2, v6
	v_cmp_gt_i32_e64 s[14:15], s9, v5
	v_cndmask_b32_e64 v2, v2, v6, s[14:15]
	;;#ASMSTART
	v_nop
 v_nop
 v_max_f32_dpp v2, v2, v2 row_ror:4
	;;#ASMEND
	;;#ASMSTART
	v_nop
 v_nop
 v_max_f32_dpp v2, v2, v2 row_ror:8
	;;#ASMEND
	ds_bpermute_b32 v2, v10, v2
	s_waitcnt lgkmcnt(0)
	;;#ASMSTART
	v_nop
 v_nop
 v_max_f32_dpp v2, v2, v2 row_ror:4
	;;#ASMEND
	;;#ASMSTART
	v_nop
 v_nop
 v_max_f32_dpp v6, v2, v2 row_ror:8
	;;#ASMEND
	v_sub_f32_e32 v2, v4, v6
	v_mul_f32_e32 v2, 0x3fb8aa3b, v2
	v_sub_f32_e32 v3, v7, v6
	v_exp_f32_e32 v2, v2
	v_mul_f32_e32 v3, 0x3fb8aa3b, v3
	v_sub_f32_e32 v5, v8, v6
	v_exp_f32_e32 v3, v3
	;; [unrolled: 3-line block ×3, first 2 shown]
	v_mul_f32_e32 v7, 0x3fb8aa3b, v7
	v_exp_f32_e32 v7, v7
	v_cndmask_b32_e32 v2, 0, v2, vcc
	v_add_f32_e32 v4, 0, v2
	v_cndmask_b32_e64 v3, 0, v3, s[4:5]
	v_add_f32_e32 v8, v4, v3
	v_cndmask_b32_e64 v4, 0, v5, s[12:13]
	;; [unrolled: 2-line block ×3, first 2 shown]
	v_add_f32_e32 v7, v8, v5
	;;#ASMSTART
	v_nop
 v_nop
 v_add_f32_dpp v7, v7, v7 row_ror:4
	;;#ASMEND
	;;#ASMSTART
	v_nop
 v_nop
 v_add_f32_dpp v7, v7, v7 row_ror:8
	;;#ASMEND
	ds_bpermute_b32 v7, v10, v7
	s_waitcnt lgkmcnt(0)
	;;#ASMSTART
	v_nop
 v_nop
 v_add_f32_dpp v7, v7, v7 row_ror:4
	;;#ASMEND
	v_cmp_gt_u32_e32 vcc, 4, v1
	;;#ASMSTART
	v_nop
 v_nop
 v_add_f32_dpp v7, v7, v7 row_ror:8
	;;#ASMEND
	s_and_saveexec_b64 s[4:5], vcc
	s_cbranch_execz .LBB775_784
; %bb.783:
	v_mul_u32_u24_e32 v8, 20, v42
	v_lshl_add_u32 v8, v43, 2, v8
	v_add_u32_e32 v8, 0x1400, v8
	ds_write2_b32 v8, v6, v7 offset1:20
.LBB775_784:
	s_or_b64 exec, exec, s[4:5]
.LBB775_785:
	s_or_b64 exec, exec, s[36:37]
	s_waitcnt lgkmcnt(0)
	s_barrier
	s_load_dword s4, s[34:35], 0x8
	v_lshlrev_b32_e32 v7, 2, v43
	v_add_u32_e32 v7, 0x1400, v7
	ds_read2_b32 v[10:11], v7 offset1:5
	ds_read2_b32 v[12:13], v7 offset0:10 offset1:15
	s_mul_i32 s5, s8, s33
	s_waitcnt lgkmcnt(0)
	s_mul_i32 s5, s5, s4
	s_lshl_b32 s4, s5, 1
	s_mov_b32 s5, 0xff7fffff
	v_max3_f32 v8, v10, s5, v11
	v_max3_f32 v8, v8, v12, v13
	v_sub_f32_e32 v9, v10, v8
	v_sub_f32_e32 v10, v11, v8
	ds_read2_b32 v[14:15], v7 offset0:20 offset1:25
	v_mul_f32_e32 v9, 0x3fb8aa3b, v9
	v_mul_f32_e32 v10, 0x3fb8aa3b, v10
	v_exp_f32_e32 v9, v9
	v_exp_f32_e32 v16, v10
	ds_read2_b32 v[10:11], v7 offset0:30 offset1:35
	v_sub_f32_e32 v7, v12, v8
	v_mul_f32_e32 v7, 0x3fb8aa3b, v7
	v_sub_f32_e32 v12, v13, v8
	v_exp_f32_e32 v7, v7
	v_mul_f32_e32 v12, 0x3fb8aa3b, v12
	v_exp_f32_e32 v12, v12
	s_waitcnt lgkmcnt(1)
	v_fma_f32 v9, v9, v14, 0
	v_fmac_f32_e32 v9, v16, v15
	s_waitcnt lgkmcnt(0)
	v_fmac_f32_e32 v9, v7, v10
	s_lshl_b32 s24, s10, 1
	v_fmac_f32_e32 v9, v12, v11
	v_cmp_gt_u32_e32 vcc, 2, v43
	s_and_saveexec_b64 s[8:9], vcc
	s_cbranch_execz .LBB775_787
; %bb.786:
	s_mov_b32 s5, 0
	s_lshl_b64 s[10:11], s[4:5], 2
	s_add_u32 s14, s20, s10
	s_mov_b32 s29, s5
	s_addc_u32 s15, s21, s11
	s_lshl_b64 s[12:13], s[28:29], 2
	s_add_u32 s5, s14, s12
	s_addc_u32 s14, s15, s13
	v_or_b32_e32 v7, s24, v43
	s_add_u32 s10, s22, s10
	v_mul_lo_u32 v10, s33, v7
	v_mov_b32_e32 v11, 0
	s_addc_u32 s11, s23, s11
	v_lshlrev_b64 v[10:11], 2, v[10:11]
	s_add_u32 s10, s10, s12
	v_mov_b32_e32 v7, s14
	v_add_co_u32_e32 v12, vcc, s5, v10
	s_addc_u32 s11, s11, s13
	v_addc_co_u32_e32 v13, vcc, v7, v11, vcc
	v_mov_b32_e32 v7, s11
	v_add_co_u32_e32 v10, vcc, s10, v10
	v_addc_co_u32_e32 v11, vcc, v7, v11, vcc
	global_store_dword v[10:11], v8, off
	global_store_dword v[12:13], v9, off
.LBB775_787:
	s_or_b64 exec, exec, s[8:9]
	v_lshlrev_b32_e32 v7, 3, v42
	s_and_saveexec_b64 s[8:9], s[6:7]
	s_xor_b64 s[6:7], exec, s[8:9]
	s_cbranch_execz .LBB775_789
; %bb.788:
	s_mov_b32 s8, 0
	s_mov_b32 s9, s8
	v_mad_u32_u24 v4, v1, 40, v7
	v_pk_mov_b32 v[2:3], s[8:9], s[8:9] op_sel:[0,1]
	ds_write2st64_b64 v4, v[2:3], v[2:3] offset1:5
                                        ; implicit-def: $vgpr7
                                        ; implicit-def: $vgpr9
                                        ; implicit-def: $vgpr6
                                        ; implicit-def: $vgpr8
                                        ; implicit-def: $vgpr4
                                        ; implicit-def: $vgpr2
.LBB775_789:
	s_andn2_saveexec_b64 s[6:7], s[6:7]
	s_cbranch_execz .LBB775_1176
; %bb.790:
	v_add_f32_e32 v9, 0x358637bd, v9
	v_div_scale_f32 v10, s[8:9], v9, v9, 1.0
	v_rcp_f32_e32 v11, v10
	v_div_scale_f32 v12, vcc, 1.0, v9, 1.0
	v_sub_f32_e32 v6, v6, v8
	v_fma_f32 v13, -v10, v11, 1.0
	v_fmac_f32_e32 v11, v13, v11
	v_mul_f32_e32 v13, v12, v11
	v_fma_f32 v14, -v10, v13, v12
	v_mul_f32_e32 v6, 0x3fb8aa3b, v6
	v_fmac_f32_e32 v13, v14, v11
	v_exp_f32_e32 v6, v6
	v_fma_f32 v10, -v10, v13, v12
	v_div_fmas_f32 v8, v10, v11, v13
	v_div_fixup_f32 v8, v8, v9, 1.0
	v_mul_f32_e32 v6, v6, v8
	v_pk_mul_f32 v[2:3], v[2:3], v[6:7] op_sel_hi:[1,0]
	s_load_dword s8, s[18:19], 0x0
	v_pk_mul_f32 v[4:5], v[4:5], v[6:7] op_sel_hi:[1,0]
	v_bfe_u32 v6, v3, 16, 1
	v_bfe_u32 v8, v2, 16, 1
	s_movk_i32 s5, 0x7fff
	v_add3_u32 v2, v2, v8, s5
	v_add3_u32 v3, v3, v6, s5
	s_mov_b32 s20, 0x7060302
	v_perm_b32 v2, v3, v2, s20
	v_bfe_u32 v3, v5, 16, 1
	v_bfe_u32 v6, v4, 16, 1
	v_add3_u32 v4, v4, v6, s5
	v_add3_u32 v3, v5, v3, s5
	v_mov_b32_e32 v11, 0
	v_perm_b32 v3, v3, v4, s20
	v_add_u32_e32 v5, 64, v11
	s_waitcnt lgkmcnt(0)
	s_mov_b32 s9, s8
	s_mov_b32 s10, s8
	;; [unrolled: 1-line block ×4, first 2 shown]
	s_mov_b64 s[12:13], -1
	s_movk_i32 s21, 0x80
	s_movk_i32 s23, 0x7f
	s_mov_b32 s25, 0xffffff
	s_mov_b32 s26, 0x5040100
	v_mov_b32_e32 v9, 0
	v_bfrev_b32_e32 v10, 60
	s_branch .LBB775_794
.LBB775_791:                            ;   in Loop: Header=BB775_794 Depth=1
	s_or_b64 exec, exec, s[18:19]
.LBB775_792:                            ;   in Loop: Header=BB775_794 Depth=1
	s_or_b64 exec, exec, s[16:17]
.LBB775_793:                            ;   in Loop: Header=BB775_794 Depth=1
	s_or_b64 exec, exec, s[14:15]
	v_perm_b32 v19, v15, v12, s26
	v_perm_b32 v18, v11, v13, s26
	;; [unrolled: 1-line block ×4, first 2 shown]
	v_mfma_f32_4x4x4bf16_1k a[0:3], v[2:3], v[18:19], a[0:3] cbsz:4 abid:14
	s_mul_i32 s14, s22, 0xa00
	v_mfma_f32_4x4x4bf16_1k a[0:3], v[2:3], v[12:13], a[0:3] cbsz:4 abid:15
	s_mov_b32 s22, 1
	v_mov_b32_e32 v11, v5
	s_nop 2
	v_accvgpr_read_b32 v15, a1
	v_accvgpr_read_b32 v14, a0
	v_pk_mul_f32 v[14:15], v[14:15], s[8:9]
	v_accvgpr_read_b32 v13, a3
	v_accvgpr_read_b32 v12, a2
	v_bfe_u32 v4, v15, 16, 1
	v_bfe_u32 v6, v14, 16, 1
	v_pk_mul_f32 v[12:13], v[12:13], s[10:11]
	v_add3_u32 v6, v14, v6, s5
	v_add3_u32 v4, v15, v4, s5
	v_perm_b32 v14, v4, v6, s20
	v_bfe_u32 v4, v13, 16, 1
	v_bfe_u32 v6, v12, 16, 1
	v_add3_u32 v6, v12, v6, s5
	v_add3_u32 v4, v13, v4, s5
	v_perm_b32 v15, v4, v6, s20
	v_mul_u32_u24_e32 v4, 40, v1
	v_add3_u32 v4, s14, v4, v7
	s_xor_b64 s[14:15], s[12:13], -1
	s_mov_b64 s[12:13], 0
	s_andn2_b64 vcc, exec, s[14:15]
	ds_write_b64 v4, v[14:15]
	s_cbranch_vccz .LBB775_1176
.LBB775_794:                            ; =>This Inner Loop Header: Depth=1
	buffer_load_dword v6, v11, s[0:3], 0 offen
	buffer_load_dword v4, v11, s[0:3], 0 offen offset:4
	v_mov_b32_e32 v13, 0
	s_waitcnt vmcnt(1)
	v_cmp_ne_u16_sdwa s[16:17], v6, v9 src0_sel:BYTE_0 src1_sel:DWORD
	s_and_saveexec_b64 s[14:15], s[16:17]
	s_cbranch_execz .LBB775_800
; %bb.795:                              ;   in Loop: Header=BB775_794 Depth=1
	v_cmp_ne_u16_sdwa s[18:19], v6, s21 src0_sel:BYTE_0 src1_sel:DWORD
	v_mov_b32_e32 v13, 0xffff8000
	s_and_saveexec_b64 s[16:17], s[18:19]
	s_cbranch_execz .LBB775_799
; %bb.796:                              ;   in Loop: Header=BB775_794 Depth=1
	v_and_b32_e32 v8, 0x7f, v6
	v_cmp_ne_u32_e32 vcc, s23, v8
	v_mov_b32_e32 v13, 0x7f80
	s_and_saveexec_b64 s[18:19], vcc
	s_cbranch_execz .LBB775_798
; %bb.797:                              ;   in Loop: Header=BB775_794 Depth=1
	v_and_b32_e32 v14, 7, v6
	v_ffbh_u32_e32 v12, v14
	v_min_u32_e32 v16, 32, v12
	v_subrev_u32_e32 v12, 28, v16
	v_lshlrev_b64 v[12:13], v12, v[6:7]
	v_lshrrev_b32_e32 v15, 3, v8
	v_sub_u32_e32 v13, 29, v16
	v_and_b32_e32 v12, 7, v12
	v_cmp_gt_u32_e32 vcc, 8, v8
	v_cndmask_b32_e32 v8, v15, v13, vcc
	v_cndmask_b32_e32 v12, v14, v12, vcc
	v_lshlrev_b32_e32 v13, 24, v6
	v_lshlrev_b32_e32 v12, 20, v12
	v_and_b32_e32 v13, 0x80000000, v13
	v_lshl_add_u32 v8, v8, 23, v10
	v_or3_b32 v8, v13, v8, v12
	v_lshrrev_b32_e32 v13, 16, v8
.LBB775_798:                            ;   in Loop: Header=BB775_794 Depth=1
	s_or_b64 exec, exec, s[18:19]
.LBB775_799:                            ;   in Loop: Header=BB775_794 Depth=1
	s_or_b64 exec, exec, s[16:17]
.LBB775_800:                            ;   in Loop: Header=BB775_794 Depth=1
	s_or_b64 exec, exec, s[14:15]
	v_lshrrev_b16_e32 v8, 8, v6
	v_cmp_ne_u16_e32 vcc, 0, v8
	v_mov_b32_e32 v15, 0
	v_mov_b32_e32 v14, 0
	s_and_saveexec_b64 s[14:15], vcc
	s_cbranch_execz .LBB775_806
; %bb.801:                              ;   in Loop: Header=BB775_794 Depth=1
	v_cmp_ne_u16_e32 vcc, s21, v8
	v_mov_b32_e32 v14, 0xffff8000
	s_and_saveexec_b64 s[16:17], vcc
	s_cbranch_execz .LBB775_805
; %bb.802:                              ;   in Loop: Header=BB775_794 Depth=1
	v_and_b32_e32 v12, 0x7f, v8
	v_cmp_ne_u32_e32 vcc, s23, v12
	v_mov_b32_e32 v14, 0x7f80
	s_and_saveexec_b64 s[18:19], vcc
	s_cbranch_execz .LBB775_804
; %bb.803:                              ;   in Loop: Header=BB775_794 Depth=1
	v_and_b32_e32 v14, 7, v8
	v_ffbh_u32_e32 v16, v14
	v_min_u32_e32 v19, 32, v16
	v_subrev_u32_e32 v16, 28, v19
	v_lshlrev_b64 v[16:17], v16, v[8:9]
	v_lshrrev_b32_e32 v18, 3, v12
	v_sub_u32_e32 v8, 29, v19
	v_and_b32_e32 v16, 7, v16
	v_cmp_gt_u32_e32 vcc, 8, v12
	v_cndmask_b32_e32 v8, v18, v8, vcc
	v_cndmask_b32_e32 v12, v14, v16, vcc
	v_lshlrev_b32_e32 v14, 16, v6
	v_lshlrev_b32_e32 v12, 20, v12
	v_and_b32_e32 v14, 0x80000000, v14
	v_lshl_add_u32 v8, v8, 23, v10
	v_or3_b32 v8, v14, v8, v12
	v_lshrrev_b32_e32 v14, 16, v8
.LBB775_804:                            ;   in Loop: Header=BB775_794 Depth=1
	s_or_b64 exec, exec, s[18:19]
.LBB775_805:                            ;   in Loop: Header=BB775_794 Depth=1
	s_or_b64 exec, exec, s[16:17]
.LBB775_806:                            ;   in Loop: Header=BB775_794 Depth=1
	s_or_b64 exec, exec, s[14:15]
	v_lshrrev_b32_e32 v8, 16, v6
	v_cmp_ne_u16_sdwa s[16:17], v8, v9 src0_sel:BYTE_0 src1_sel:DWORD
	s_and_saveexec_b64 s[14:15], s[16:17]
	s_cbranch_execz .LBB775_812
; %bb.807:                              ;   in Loop: Header=BB775_794 Depth=1
	v_cmp_ne_u16_sdwa s[18:19], v8, s21 src0_sel:BYTE_0 src1_sel:DWORD
	v_mov_b32_e32 v15, 0xffff8000
	s_and_saveexec_b64 s[16:17], s[18:19]
	s_cbranch_execz .LBB775_811
; %bb.808:                              ;   in Loop: Header=BB775_794 Depth=1
	v_bfe_u32 v12, v6, 16, 7
	v_cmp_ne_u32_e32 vcc, s23, v12
	v_mov_b32_e32 v15, 0x7f80
	s_and_saveexec_b64 s[18:19], vcc
	s_cbranch_execz .LBB775_810
; %bb.809:                              ;   in Loop: Header=BB775_794 Depth=1
	v_and_b32_e32 v15, 7, v8
	v_ffbh_u32_e32 v16, v15
	v_min_u32_e32 v19, 32, v16
	v_subrev_u32_e32 v16, 28, v19
	v_lshlrev_b64 v[16:17], v16, v[8:9]
	v_lshrrev_b32_e32 v18, 3, v12
	v_sub_u32_e32 v17, 29, v19
	v_and_b32_e32 v16, 7, v16
	v_cmp_gt_u32_e32 vcc, 8, v12
	v_cndmask_b32_e32 v12, v18, v17, vcc
	v_cndmask_b32_e32 v15, v15, v16, vcc
	v_lshlrev_b32_e32 v8, 24, v8
	v_lshlrev_b32_e32 v15, 20, v15
	v_and_b32_e32 v8, 0x80000000, v8
	v_lshl_add_u32 v12, v12, 23, v10
	v_or3_b32 v8, v8, v12, v15
	v_lshrrev_b32_e32 v15, 16, v8
.LBB775_810:                            ;   in Loop: Header=BB775_794 Depth=1
	s_or_b64 exec, exec, s[18:19]
.LBB775_811:                            ;   in Loop: Header=BB775_794 Depth=1
	s_or_b64 exec, exec, s[16:17]
.LBB775_812:                            ;   in Loop: Header=BB775_794 Depth=1
	s_or_b64 exec, exec, s[14:15]
	v_cmp_lt_u32_e32 vcc, s25, v6
	v_mov_b32_e32 v16, 0
	v_mov_b32_e32 v17, 0
	s_and_saveexec_b64 s[14:15], vcc
	s_cbranch_execz .LBB775_818
; %bb.813:                              ;   in Loop: Header=BB775_794 Depth=1
	v_lshrrev_b32_e32 v8, 24, v6
	v_cmp_ne_u32_e32 vcc, s21, v8
	v_mov_b32_e32 v17, 0xffff8000
	s_and_saveexec_b64 s[16:17], vcc
	s_cbranch_execz .LBB775_817
; %bb.814:                              ;   in Loop: Header=BB775_794 Depth=1
	v_bfe_u32 v6, v6, 24, 7
	v_cmp_ne_u32_e32 vcc, s23, v6
	v_mov_b32_e32 v17, 0x7f80
	s_and_saveexec_b64 s[18:19], vcc
	s_cbranch_execz .LBB775_816
; %bb.815:                              ;   in Loop: Header=BB775_794 Depth=1
	v_and_b32_e32 v12, 7, v8
	v_ffbh_u32_e32 v18, v12
	v_min_u32_e32 v20, 32, v18
	v_subrev_u32_e32 v18, 28, v20
	v_lshlrev_b64 v[18:19], v18, v[8:9]
	v_lshrrev_b32_e32 v17, 3, v6
	v_sub_u32_e32 v19, 29, v20
	v_and_b32_e32 v18, 7, v18
	v_cmp_gt_u32_e32 vcc, 8, v6
	v_cndmask_b32_e32 v6, v17, v19, vcc
	v_cndmask_b32_e32 v12, v12, v18, vcc
	v_lshlrev_b32_e32 v8, 24, v8
	v_lshlrev_b32_e32 v12, 20, v12
	v_and_b32_e32 v8, 0x80000000, v8
	v_lshl_add_u32 v6, v6, 23, v10
	v_or3_b32 v6, v8, v6, v12
	v_lshrrev_b32_e32 v17, 16, v6
.LBB775_816:                            ;   in Loop: Header=BB775_794 Depth=1
	s_or_b64 exec, exec, s[18:19]
.LBB775_817:                            ;   in Loop: Header=BB775_794 Depth=1
	s_or_b64 exec, exec, s[16:17]
.LBB775_818:                            ;   in Loop: Header=BB775_794 Depth=1
	s_or_b64 exec, exec, s[14:15]
	s_waitcnt vmcnt(0)
	v_cmp_ne_u16_sdwa s[16:17], v4, v9 src0_sel:BYTE_0 src1_sel:DWORD
	s_and_saveexec_b64 s[14:15], s[16:17]
	s_cbranch_execz .LBB775_824
; %bb.819:                              ;   in Loop: Header=BB775_794 Depth=1
	v_cmp_ne_u16_sdwa s[18:19], v4, s21 src0_sel:BYTE_0 src1_sel:DWORD
	v_mov_b32_e32 v16, 0xffff8000
	s_and_saveexec_b64 s[16:17], s[18:19]
	s_cbranch_execz .LBB775_823
; %bb.820:                              ;   in Loop: Header=BB775_794 Depth=1
	v_and_b32_e32 v6, 0x7f, v4
	v_cmp_ne_u32_e32 vcc, s23, v6
	v_mov_b32_e32 v16, 0x7f80
	s_and_saveexec_b64 s[18:19], vcc
	s_cbranch_execz .LBB775_822
; %bb.821:                              ;   in Loop: Header=BB775_794 Depth=1
	v_and_b32_e32 v8, 7, v4
	v_ffbh_u32_e32 v16, v8
	v_min_u32_e32 v16, 32, v16
	v_subrev_u32_e32 v18, 28, v16
	v_lshlrev_b64 v[18:19], v18, v[4:5]
	v_lshrrev_b32_e32 v12, 3, v6
	v_sub_u32_e32 v16, 29, v16
	v_and_b32_e32 v18, 7, v18
	v_cmp_gt_u32_e32 vcc, 8, v6
	v_cndmask_b32_e32 v6, v12, v16, vcc
	v_cndmask_b32_e32 v8, v8, v18, vcc
	v_lshlrev_b32_e32 v12, 24, v4
	v_lshlrev_b32_e32 v8, 20, v8
	v_and_b32_e32 v12, 0x80000000, v12
	v_lshl_add_u32 v6, v6, 23, v10
	v_or3_b32 v6, v12, v6, v8
	v_lshrrev_b32_e32 v16, 16, v6
.LBB775_822:                            ;   in Loop: Header=BB775_794 Depth=1
	s_or_b64 exec, exec, s[18:19]
.LBB775_823:                            ;   in Loop: Header=BB775_794 Depth=1
	s_or_b64 exec, exec, s[16:17]
.LBB775_824:                            ;   in Loop: Header=BB775_794 Depth=1
	s_or_b64 exec, exec, s[14:15]
	v_lshrrev_b16_e32 v6, 8, v4
	v_cmp_ne_u16_e32 vcc, 0, v6
	v_mov_b32_e32 v18, 0
	v_mov_b32_e32 v8, 0
	s_and_saveexec_b64 s[14:15], vcc
	s_cbranch_execz .LBB775_830
; %bb.825:                              ;   in Loop: Header=BB775_794 Depth=1
	v_cmp_ne_u16_e32 vcc, s21, v6
	v_mov_b32_e32 v8, 0xffff8000
	s_and_saveexec_b64 s[16:17], vcc
	s_cbranch_execz .LBB775_829
; %bb.826:                              ;   in Loop: Header=BB775_794 Depth=1
	v_and_b32_e32 v12, 0x7f, v6
	v_cmp_ne_u32_e32 vcc, s23, v12
	v_mov_b32_e32 v8, 0x7f80
	s_and_saveexec_b64 s[18:19], vcc
	s_cbranch_execz .LBB775_828
; %bb.827:                              ;   in Loop: Header=BB775_794 Depth=1
	v_and_b32_e32 v8, 7, v6
	v_ffbh_u32_e32 v20, v8
	v_min_u32_e32 v22, 32, v20
	v_subrev_u32_e32 v20, 28, v22
	v_lshlrev_b64 v[20:21], v20, v[6:7]
	v_lshrrev_b32_e32 v19, 3, v12
	v_sub_u32_e32 v6, 29, v22
	v_and_b32_e32 v20, 7, v20
	v_cmp_gt_u32_e32 vcc, 8, v12
	v_cndmask_b32_e32 v6, v19, v6, vcc
	v_cndmask_b32_e32 v8, v8, v20, vcc
	v_lshlrev_b32_e32 v12, 16, v4
	v_lshlrev_b32_e32 v8, 20, v8
	v_and_b32_e32 v12, 0x80000000, v12
	v_lshl_add_u32 v6, v6, 23, v10
	v_or3_b32 v6, v12, v6, v8
	v_lshrrev_b32_e32 v8, 16, v6
.LBB775_828:                            ;   in Loop: Header=BB775_794 Depth=1
	s_or_b64 exec, exec, s[18:19]
.LBB775_829:                            ;   in Loop: Header=BB775_794 Depth=1
	s_or_b64 exec, exec, s[16:17]
.LBB775_830:                            ;   in Loop: Header=BB775_794 Depth=1
	s_or_b64 exec, exec, s[14:15]
	v_lshrrev_b32_e32 v6, 16, v4
	v_cmp_ne_u16_sdwa s[16:17], v6, v9 src0_sel:BYTE_0 src1_sel:DWORD
	s_and_saveexec_b64 s[14:15], s[16:17]
	s_cbranch_execz .LBB775_836
; %bb.831:                              ;   in Loop: Header=BB775_794 Depth=1
	v_cmp_ne_u16_sdwa s[18:19], v6, s21 src0_sel:BYTE_0 src1_sel:DWORD
	v_mov_b32_e32 v18, 0xffff8000
	s_and_saveexec_b64 s[16:17], s[18:19]
	s_cbranch_execz .LBB775_835
; %bb.832:                              ;   in Loop: Header=BB775_794 Depth=1
	v_bfe_u32 v12, v4, 16, 7
	v_cmp_ne_u32_e32 vcc, s23, v12
	v_mov_b32_e32 v18, 0x7f80
	s_and_saveexec_b64 s[18:19], vcc
	s_cbranch_execz .LBB775_834
; %bb.833:                              ;   in Loop: Header=BB775_794 Depth=1
	v_and_b32_e32 v20, 7, v6
	v_ffbh_u32_e32 v18, v20
	v_min_u32_e32 v22, 32, v18
	v_subrev_u32_e32 v18, 28, v22
	v_lshlrev_b64 v[18:19], v18, v[6:7]
	v_lshrrev_b32_e32 v21, 3, v12
	v_sub_u32_e32 v19, 29, v22
	v_and_b32_e32 v18, 7, v18
	v_cmp_gt_u32_e32 vcc, 8, v12
	v_cndmask_b32_e32 v12, v21, v19, vcc
	v_cndmask_b32_e32 v18, v20, v18, vcc
	v_lshlrev_b32_e32 v6, 24, v6
	v_lshlrev_b32_e32 v18, 20, v18
	v_and_b32_e32 v6, 0x80000000, v6
	v_lshl_add_u32 v12, v12, 23, v10
	v_or3_b32 v6, v6, v12, v18
	v_lshrrev_b32_e32 v18, 16, v6
.LBB775_834:                            ;   in Loop: Header=BB775_794 Depth=1
	s_or_b64 exec, exec, s[18:19]
.LBB775_835:                            ;   in Loop: Header=BB775_794 Depth=1
	s_or_b64 exec, exec, s[16:17]
.LBB775_836:                            ;   in Loop: Header=BB775_794 Depth=1
	s_or_b64 exec, exec, s[14:15]
	v_cmp_lt_u32_e32 vcc, s25, v4
	v_mov_b32_e32 v12, 0
	v_mov_b32_e32 v19, 0
	s_and_saveexec_b64 s[14:15], vcc
	s_cbranch_execz .LBB775_842
; %bb.837:                              ;   in Loop: Header=BB775_794 Depth=1
	v_lshrrev_b32_e32 v6, 24, v4
	v_cmp_ne_u32_e32 vcc, s21, v6
	v_mov_b32_e32 v19, 0xffff8000
	s_and_saveexec_b64 s[16:17], vcc
	s_cbranch_execz .LBB775_841
; %bb.838:                              ;   in Loop: Header=BB775_794 Depth=1
	v_bfe_u32 v4, v4, 24, 7
	v_cmp_ne_u32_e32 vcc, s23, v4
	v_mov_b32_e32 v19, 0x7f80
	s_and_saveexec_b64 s[18:19], vcc
	s_cbranch_execz .LBB775_840
; %bb.839:                              ;   in Loop: Header=BB775_794 Depth=1
	v_and_b32_e32 v19, 7, v6
	v_ffbh_u32_e32 v20, v19
	v_min_u32_e32 v23, 32, v20
	v_subrev_u32_e32 v20, 28, v23
	v_lshlrev_b64 v[20:21], v20, v[6:7]
	v_lshrrev_b32_e32 v22, 3, v4
	v_sub_u32_e32 v21, 29, v23
	v_and_b32_e32 v20, 7, v20
	v_cmp_gt_u32_e32 vcc, 8, v4
	v_cndmask_b32_e32 v4, v22, v21, vcc
	v_cndmask_b32_e32 v19, v19, v20, vcc
	v_lshlrev_b32_e32 v6, 24, v6
	v_lshlrev_b32_e32 v19, 20, v19
	v_and_b32_e32 v6, 0x80000000, v6
	v_lshl_add_u32 v4, v4, 23, v10
	v_or3_b32 v4, v6, v4, v19
	v_lshrrev_b32_e32 v19, 16, v4
.LBB775_840:                            ;   in Loop: Header=BB775_794 Depth=1
	s_or_b64 exec, exec, s[18:19]
.LBB775_841:                            ;   in Loop: Header=BB775_794 Depth=1
	s_or_b64 exec, exec, s[16:17]
.LBB775_842:                            ;   in Loop: Header=BB775_794 Depth=1
	s_or_b64 exec, exec, s[14:15]
	buffer_load_dword v6, v11, s[0:3], 0 offen offset:8
	buffer_load_dword v4, v11, s[0:3], 0 offen offset:12
	v_perm_b32 v15, v17, v15, s26
	v_perm_b32 v14, v14, v13, s26
	;; [unrolled: 1-line block ×4, first 2 shown]
	v_mfma_f32_4x4x4bf16_1k a[0:3], v[2:3], v[14:15], 0 cbsz:4
	s_waitcnt vmcnt(1)
	v_cmp_ne_u16_sdwa s[16:17], v6, v9 src0_sel:BYTE_0 src1_sel:DWORD
	v_mfma_f32_4x4x4bf16_1k a[0:3], v[2:3], v[16:17], a[0:3] cbsz:4 abid:1
	s_and_saveexec_b64 s[14:15], s[16:17]
	s_cbranch_execz .LBB775_848
; %bb.843:                              ;   in Loop: Header=BB775_794 Depth=1
	v_cmp_ne_u16_sdwa s[18:19], v6, s21 src0_sel:BYTE_0 src1_sel:DWORD
	v_mov_b32_e32 v12, 0xffff8000
	s_and_saveexec_b64 s[16:17], s[18:19]
	s_cbranch_execz .LBB775_847
; %bb.844:                              ;   in Loop: Header=BB775_794 Depth=1
	v_and_b32_e32 v8, 0x7f, v6
	v_cmp_ne_u32_e32 vcc, s23, v8
	v_mov_b32_e32 v12, 0x7f80
	s_and_saveexec_b64 s[18:19], vcc
	s_cbranch_execz .LBB775_846
; %bb.845:                              ;   in Loop: Header=BB775_794 Depth=1
	v_and_b32_e32 v14, 7, v6
	v_ffbh_u32_e32 v12, v14
	v_min_u32_e32 v16, 32, v12
	v_subrev_u32_e32 v12, 28, v16
	v_lshlrev_b64 v[12:13], v12, v[6:7]
	v_lshrrev_b32_e32 v15, 3, v8
	v_sub_u32_e32 v13, 29, v16
	v_and_b32_e32 v12, 7, v12
	v_cmp_gt_u32_e32 vcc, 8, v8
	v_cndmask_b32_e32 v8, v15, v13, vcc
	v_cndmask_b32_e32 v12, v14, v12, vcc
	v_lshlrev_b32_e32 v13, 24, v6
	v_lshlrev_b32_e32 v12, 20, v12
	v_and_b32_e32 v13, 0x80000000, v13
	v_lshl_add_u32 v8, v8, 23, v10
	v_or3_b32 v8, v13, v8, v12
	v_lshrrev_b32_e32 v12, 16, v8
.LBB775_846:                            ;   in Loop: Header=BB775_794 Depth=1
	s_or_b64 exec, exec, s[18:19]
.LBB775_847:                            ;   in Loop: Header=BB775_794 Depth=1
	s_or_b64 exec, exec, s[16:17]
.LBB775_848:                            ;   in Loop: Header=BB775_794 Depth=1
	s_or_b64 exec, exec, s[14:15]
	v_lshrrev_b16_e32 v8, 8, v6
	v_cmp_ne_u16_e32 vcc, 0, v8
	v_mov_b32_e32 v15, 0
	v_mov_b32_e32 v14, 0
	s_and_saveexec_b64 s[14:15], vcc
	s_cbranch_execz .LBB775_854
; %bb.849:                              ;   in Loop: Header=BB775_794 Depth=1
	v_cmp_ne_u16_e32 vcc, s21, v8
	v_mov_b32_e32 v14, 0xffff8000
	s_and_saveexec_b64 s[16:17], vcc
	s_cbranch_execz .LBB775_853
; %bb.850:                              ;   in Loop: Header=BB775_794 Depth=1
	v_and_b32_e32 v13, 0x7f, v8
	v_cmp_ne_u32_e32 vcc, s23, v13
	v_mov_b32_e32 v14, 0x7f80
	s_and_saveexec_b64 s[18:19], vcc
	s_cbranch_execz .LBB775_852
; %bb.851:                              ;   in Loop: Header=BB775_794 Depth=1
	v_and_b32_e32 v14, 7, v8
	v_ffbh_u32_e32 v16, v14
	v_min_u32_e32 v19, 32, v16
	v_subrev_u32_e32 v16, 28, v19
	v_lshlrev_b64 v[16:17], v16, v[8:9]
	v_lshrrev_b32_e32 v18, 3, v13
	v_sub_u32_e32 v8, 29, v19
	v_and_b32_e32 v16, 7, v16
	v_cmp_gt_u32_e32 vcc, 8, v13
	v_cndmask_b32_e32 v8, v18, v8, vcc
	v_cndmask_b32_e32 v13, v14, v16, vcc
	v_lshlrev_b32_e32 v14, 16, v6
	v_lshlrev_b32_e32 v13, 20, v13
	v_and_b32_e32 v14, 0x80000000, v14
	v_lshl_add_u32 v8, v8, 23, v10
	v_or3_b32 v8, v14, v8, v13
	v_lshrrev_b32_e32 v14, 16, v8
.LBB775_852:                            ;   in Loop: Header=BB775_794 Depth=1
	s_or_b64 exec, exec, s[18:19]
.LBB775_853:                            ;   in Loop: Header=BB775_794 Depth=1
	s_or_b64 exec, exec, s[16:17]
.LBB775_854:                            ;   in Loop: Header=BB775_794 Depth=1
	s_or_b64 exec, exec, s[14:15]
	v_lshrrev_b32_e32 v8, 16, v6
	v_cmp_ne_u16_sdwa s[16:17], v8, v9 src0_sel:BYTE_0 src1_sel:DWORD
	s_and_saveexec_b64 s[14:15], s[16:17]
	s_cbranch_execz .LBB775_860
; %bb.855:                              ;   in Loop: Header=BB775_794 Depth=1
	v_cmp_ne_u16_sdwa s[18:19], v8, s21 src0_sel:BYTE_0 src1_sel:DWORD
	v_mov_b32_e32 v15, 0xffff8000
	s_and_saveexec_b64 s[16:17], s[18:19]
	s_cbranch_execz .LBB775_859
; %bb.856:                              ;   in Loop: Header=BB775_794 Depth=1
	v_bfe_u32 v13, v6, 16, 7
	v_cmp_ne_u32_e32 vcc, s23, v13
	v_mov_b32_e32 v15, 0x7f80
	s_and_saveexec_b64 s[18:19], vcc
	s_cbranch_execz .LBB775_858
; %bb.857:                              ;   in Loop: Header=BB775_794 Depth=1
	v_and_b32_e32 v15, 7, v8
	v_ffbh_u32_e32 v16, v15
	v_min_u32_e32 v19, 32, v16
	v_subrev_u32_e32 v16, 28, v19
	v_lshlrev_b64 v[16:17], v16, v[8:9]
	v_lshrrev_b32_e32 v18, 3, v13
	v_sub_u32_e32 v17, 29, v19
	v_and_b32_e32 v16, 7, v16
	v_cmp_gt_u32_e32 vcc, 8, v13
	v_cndmask_b32_e32 v13, v18, v17, vcc
	v_cndmask_b32_e32 v15, v15, v16, vcc
	v_lshlrev_b32_e32 v8, 24, v8
	v_lshlrev_b32_e32 v15, 20, v15
	v_and_b32_e32 v8, 0x80000000, v8
	v_lshl_add_u32 v13, v13, 23, v10
	v_or3_b32 v8, v8, v13, v15
	v_lshrrev_b32_e32 v15, 16, v8
.LBB775_858:                            ;   in Loop: Header=BB775_794 Depth=1
	s_or_b64 exec, exec, s[18:19]
.LBB775_859:                            ;   in Loop: Header=BB775_794 Depth=1
	s_or_b64 exec, exec, s[16:17]
.LBB775_860:                            ;   in Loop: Header=BB775_794 Depth=1
	s_or_b64 exec, exec, s[14:15]
	v_cmp_lt_u32_e32 vcc, s25, v6
	v_mov_b32_e32 v16, 0
	v_mov_b32_e32 v17, 0
	s_and_saveexec_b64 s[14:15], vcc
	s_cbranch_execz .LBB775_866
; %bb.861:                              ;   in Loop: Header=BB775_794 Depth=1
	v_lshrrev_b32_e32 v8, 24, v6
	v_cmp_ne_u32_e32 vcc, s21, v8
	v_mov_b32_e32 v17, 0xffff8000
	s_and_saveexec_b64 s[16:17], vcc
	s_cbranch_execz .LBB775_865
; %bb.862:                              ;   in Loop: Header=BB775_794 Depth=1
	v_bfe_u32 v6, v6, 24, 7
	v_cmp_ne_u32_e32 vcc, s23, v6
	v_mov_b32_e32 v17, 0x7f80
	s_and_saveexec_b64 s[18:19], vcc
	s_cbranch_execz .LBB775_864
; %bb.863:                              ;   in Loop: Header=BB775_794 Depth=1
	v_and_b32_e32 v13, 7, v8
	v_ffbh_u32_e32 v18, v13
	v_min_u32_e32 v20, 32, v18
	v_subrev_u32_e32 v18, 28, v20
	v_lshlrev_b64 v[18:19], v18, v[8:9]
	v_lshrrev_b32_e32 v17, 3, v6
	v_sub_u32_e32 v19, 29, v20
	v_and_b32_e32 v18, 7, v18
	v_cmp_gt_u32_e32 vcc, 8, v6
	v_cndmask_b32_e32 v6, v17, v19, vcc
	v_cndmask_b32_e32 v13, v13, v18, vcc
	v_lshlrev_b32_e32 v8, 24, v8
	v_lshlrev_b32_e32 v13, 20, v13
	v_and_b32_e32 v8, 0x80000000, v8
	v_lshl_add_u32 v6, v6, 23, v10
	v_or3_b32 v6, v8, v6, v13
	v_lshrrev_b32_e32 v17, 16, v6
.LBB775_864:                            ;   in Loop: Header=BB775_794 Depth=1
	s_or_b64 exec, exec, s[18:19]
.LBB775_865:                            ;   in Loop: Header=BB775_794 Depth=1
	s_or_b64 exec, exec, s[16:17]
.LBB775_866:                            ;   in Loop: Header=BB775_794 Depth=1
	s_or_b64 exec, exec, s[14:15]
	s_waitcnt vmcnt(0)
	v_cmp_ne_u16_sdwa s[16:17], v4, v9 src0_sel:BYTE_0 src1_sel:DWORD
	s_and_saveexec_b64 s[14:15], s[16:17]
	s_cbranch_execz .LBB775_872
; %bb.867:                              ;   in Loop: Header=BB775_794 Depth=1
	v_cmp_ne_u16_sdwa s[18:19], v4, s21 src0_sel:BYTE_0 src1_sel:DWORD
	v_mov_b32_e32 v16, 0xffff8000
	s_and_saveexec_b64 s[16:17], s[18:19]
	s_cbranch_execz .LBB775_871
; %bb.868:                              ;   in Loop: Header=BB775_794 Depth=1
	v_and_b32_e32 v6, 0x7f, v4
	v_cmp_ne_u32_e32 vcc, s23, v6
	v_mov_b32_e32 v16, 0x7f80
	s_and_saveexec_b64 s[18:19], vcc
	s_cbranch_execz .LBB775_870
; %bb.869:                              ;   in Loop: Header=BB775_794 Depth=1
	v_and_b32_e32 v8, 7, v4
	v_ffbh_u32_e32 v16, v8
	v_min_u32_e32 v16, 32, v16
	v_subrev_u32_e32 v18, 28, v16
	v_lshlrev_b64 v[18:19], v18, v[4:5]
	v_lshrrev_b32_e32 v13, 3, v6
	v_sub_u32_e32 v16, 29, v16
	v_and_b32_e32 v18, 7, v18
	v_cmp_gt_u32_e32 vcc, 8, v6
	v_cndmask_b32_e32 v6, v13, v16, vcc
	v_cndmask_b32_e32 v8, v8, v18, vcc
	v_lshlrev_b32_e32 v13, 24, v4
	v_lshlrev_b32_e32 v8, 20, v8
	v_and_b32_e32 v13, 0x80000000, v13
	v_lshl_add_u32 v6, v6, 23, v10
	v_or3_b32 v6, v13, v6, v8
	v_lshrrev_b32_e32 v16, 16, v6
.LBB775_870:                            ;   in Loop: Header=BB775_794 Depth=1
	s_or_b64 exec, exec, s[18:19]
.LBB775_871:                            ;   in Loop: Header=BB775_794 Depth=1
	s_or_b64 exec, exec, s[16:17]
.LBB775_872:                            ;   in Loop: Header=BB775_794 Depth=1
	s_or_b64 exec, exec, s[14:15]
	v_lshrrev_b16_e32 v6, 8, v4
	v_cmp_ne_u16_e32 vcc, 0, v6
	v_mov_b32_e32 v18, 0
	v_mov_b32_e32 v8, 0
	s_and_saveexec_b64 s[14:15], vcc
	s_cbranch_execz .LBB775_878
; %bb.873:                              ;   in Loop: Header=BB775_794 Depth=1
	v_cmp_ne_u16_e32 vcc, s21, v6
	v_mov_b32_e32 v8, 0xffff8000
	s_and_saveexec_b64 s[16:17], vcc
	s_cbranch_execz .LBB775_877
; %bb.874:                              ;   in Loop: Header=BB775_794 Depth=1
	v_and_b32_e32 v13, 0x7f, v6
	v_cmp_ne_u32_e32 vcc, s23, v13
	v_mov_b32_e32 v8, 0x7f80
	s_and_saveexec_b64 s[18:19], vcc
	s_cbranch_execz .LBB775_876
; %bb.875:                              ;   in Loop: Header=BB775_794 Depth=1
	v_and_b32_e32 v8, 7, v6
	v_ffbh_u32_e32 v20, v8
	v_min_u32_e32 v22, 32, v20
	v_subrev_u32_e32 v20, 28, v22
	v_lshlrev_b64 v[20:21], v20, v[6:7]
	v_lshrrev_b32_e32 v19, 3, v13
	v_sub_u32_e32 v6, 29, v22
	v_and_b32_e32 v20, 7, v20
	v_cmp_gt_u32_e32 vcc, 8, v13
	v_cndmask_b32_e32 v6, v19, v6, vcc
	v_cndmask_b32_e32 v8, v8, v20, vcc
	v_lshlrev_b32_e32 v13, 16, v4
	v_lshlrev_b32_e32 v8, 20, v8
	v_and_b32_e32 v13, 0x80000000, v13
	v_lshl_add_u32 v6, v6, 23, v10
	v_or3_b32 v6, v13, v6, v8
	v_lshrrev_b32_e32 v8, 16, v6
.LBB775_876:                            ;   in Loop: Header=BB775_794 Depth=1
	s_or_b64 exec, exec, s[18:19]
.LBB775_877:                            ;   in Loop: Header=BB775_794 Depth=1
	s_or_b64 exec, exec, s[16:17]
.LBB775_878:                            ;   in Loop: Header=BB775_794 Depth=1
	s_or_b64 exec, exec, s[14:15]
	v_lshrrev_b32_e32 v6, 16, v4
	v_cmp_ne_u16_sdwa s[16:17], v6, v9 src0_sel:BYTE_0 src1_sel:DWORD
	s_and_saveexec_b64 s[14:15], s[16:17]
	s_cbranch_execz .LBB775_884
; %bb.879:                              ;   in Loop: Header=BB775_794 Depth=1
	v_cmp_ne_u16_sdwa s[18:19], v6, s21 src0_sel:BYTE_0 src1_sel:DWORD
	v_mov_b32_e32 v18, 0xffff8000
	s_and_saveexec_b64 s[16:17], s[18:19]
	s_cbranch_execz .LBB775_883
; %bb.880:                              ;   in Loop: Header=BB775_794 Depth=1
	v_bfe_u32 v13, v4, 16, 7
	v_cmp_ne_u32_e32 vcc, s23, v13
	v_mov_b32_e32 v18, 0x7f80
	s_and_saveexec_b64 s[18:19], vcc
	s_cbranch_execz .LBB775_882
; %bb.881:                              ;   in Loop: Header=BB775_794 Depth=1
	v_and_b32_e32 v20, 7, v6
	v_ffbh_u32_e32 v18, v20
	v_min_u32_e32 v22, 32, v18
	v_subrev_u32_e32 v18, 28, v22
	v_lshlrev_b64 v[18:19], v18, v[6:7]
	v_lshrrev_b32_e32 v21, 3, v13
	v_sub_u32_e32 v19, 29, v22
	v_and_b32_e32 v18, 7, v18
	v_cmp_gt_u32_e32 vcc, 8, v13
	v_cndmask_b32_e32 v13, v21, v19, vcc
	v_cndmask_b32_e32 v18, v20, v18, vcc
	v_lshlrev_b32_e32 v6, 24, v6
	v_lshlrev_b32_e32 v18, 20, v18
	v_and_b32_e32 v6, 0x80000000, v6
	v_lshl_add_u32 v13, v13, 23, v10
	v_or3_b32 v6, v6, v13, v18
	v_lshrrev_b32_e32 v18, 16, v6
.LBB775_882:                            ;   in Loop: Header=BB775_794 Depth=1
	s_or_b64 exec, exec, s[18:19]
.LBB775_883:                            ;   in Loop: Header=BB775_794 Depth=1
	s_or_b64 exec, exec, s[16:17]
.LBB775_884:                            ;   in Loop: Header=BB775_794 Depth=1
	s_or_b64 exec, exec, s[14:15]
	v_cmp_lt_u32_e32 vcc, s25, v4
	v_mov_b32_e32 v13, 0
	v_mov_b32_e32 v19, 0
	s_and_saveexec_b64 s[14:15], vcc
	s_cbranch_execz .LBB775_890
; %bb.885:                              ;   in Loop: Header=BB775_794 Depth=1
	v_lshrrev_b32_e32 v6, 24, v4
	v_cmp_ne_u32_e32 vcc, s21, v6
	v_mov_b32_e32 v19, 0xffff8000
	s_and_saveexec_b64 s[16:17], vcc
	s_cbranch_execz .LBB775_889
; %bb.886:                              ;   in Loop: Header=BB775_794 Depth=1
	v_bfe_u32 v4, v4, 24, 7
	v_cmp_ne_u32_e32 vcc, s23, v4
	v_mov_b32_e32 v19, 0x7f80
	s_and_saveexec_b64 s[18:19], vcc
	s_cbranch_execz .LBB775_888
; %bb.887:                              ;   in Loop: Header=BB775_794 Depth=1
	v_and_b32_e32 v19, 7, v6
	v_ffbh_u32_e32 v20, v19
	v_min_u32_e32 v23, 32, v20
	v_subrev_u32_e32 v20, 28, v23
	v_lshlrev_b64 v[20:21], v20, v[6:7]
	v_lshrrev_b32_e32 v22, 3, v4
	v_sub_u32_e32 v21, 29, v23
	v_and_b32_e32 v20, 7, v20
	v_cmp_gt_u32_e32 vcc, 8, v4
	v_cndmask_b32_e32 v4, v22, v21, vcc
	v_cndmask_b32_e32 v19, v19, v20, vcc
	v_lshlrev_b32_e32 v6, 24, v6
	v_lshlrev_b32_e32 v19, 20, v19
	v_and_b32_e32 v6, 0x80000000, v6
	v_lshl_add_u32 v4, v4, 23, v10
	v_or3_b32 v4, v6, v4, v19
	v_lshrrev_b32_e32 v19, 16, v4
.LBB775_888:                            ;   in Loop: Header=BB775_794 Depth=1
	s_or_b64 exec, exec, s[18:19]
.LBB775_889:                            ;   in Loop: Header=BB775_794 Depth=1
	s_or_b64 exec, exec, s[16:17]
.LBB775_890:                            ;   in Loop: Header=BB775_794 Depth=1
	s_or_b64 exec, exec, s[14:15]
	buffer_load_dword v6, v11, s[0:3], 0 offen offset:16
	buffer_load_dword v4, v11, s[0:3], 0 offen offset:20
	v_perm_b32 v15, v17, v15, s26
	v_perm_b32 v14, v14, v12, s26
	;; [unrolled: 1-line block ×4, first 2 shown]
	v_mfma_f32_4x4x4bf16_1k a[0:3], v[2:3], v[14:15], a[0:3] cbsz:4 abid:2
	s_waitcnt vmcnt(1)
	v_cmp_ne_u16_sdwa s[16:17], v6, v9 src0_sel:BYTE_0 src1_sel:DWORD
	v_mfma_f32_4x4x4bf16_1k a[0:3], v[2:3], v[16:17], a[0:3] cbsz:4 abid:3
	s_and_saveexec_b64 s[14:15], s[16:17]
	s_cbranch_execz .LBB775_896
; %bb.891:                              ;   in Loop: Header=BB775_794 Depth=1
	v_cmp_ne_u16_sdwa s[18:19], v6, s21 src0_sel:BYTE_0 src1_sel:DWORD
	v_mov_b32_e32 v13, 0xffff8000
	s_and_saveexec_b64 s[16:17], s[18:19]
	s_cbranch_execz .LBB775_895
; %bb.892:                              ;   in Loop: Header=BB775_794 Depth=1
	v_and_b32_e32 v8, 0x7f, v6
	v_cmp_ne_u32_e32 vcc, s23, v8
	v_mov_b32_e32 v13, 0x7f80
	s_and_saveexec_b64 s[18:19], vcc
	s_cbranch_execz .LBB775_894
; %bb.893:                              ;   in Loop: Header=BB775_794 Depth=1
	v_and_b32_e32 v14, 7, v6
	v_ffbh_u32_e32 v12, v14
	v_min_u32_e32 v16, 32, v12
	v_subrev_u32_e32 v12, 28, v16
	v_lshlrev_b64 v[12:13], v12, v[6:7]
	v_lshrrev_b32_e32 v15, 3, v8
	v_sub_u32_e32 v13, 29, v16
	v_and_b32_e32 v12, 7, v12
	v_cmp_gt_u32_e32 vcc, 8, v8
	v_cndmask_b32_e32 v8, v15, v13, vcc
	v_cndmask_b32_e32 v12, v14, v12, vcc
	v_lshlrev_b32_e32 v13, 24, v6
	v_lshlrev_b32_e32 v12, 20, v12
	v_and_b32_e32 v13, 0x80000000, v13
	v_lshl_add_u32 v8, v8, 23, v10
	v_or3_b32 v8, v13, v8, v12
	v_lshrrev_b32_e32 v13, 16, v8
.LBB775_894:                            ;   in Loop: Header=BB775_794 Depth=1
	s_or_b64 exec, exec, s[18:19]
.LBB775_895:                            ;   in Loop: Header=BB775_794 Depth=1
	s_or_b64 exec, exec, s[16:17]
.LBB775_896:                            ;   in Loop: Header=BB775_794 Depth=1
	s_or_b64 exec, exec, s[14:15]
	v_lshrrev_b16_e32 v8, 8, v6
	v_cmp_ne_u16_e32 vcc, 0, v8
	v_mov_b32_e32 v15, 0
	v_mov_b32_e32 v14, 0
	s_and_saveexec_b64 s[14:15], vcc
	s_cbranch_execz .LBB775_902
; %bb.897:                              ;   in Loop: Header=BB775_794 Depth=1
	v_cmp_ne_u16_e32 vcc, s21, v8
	v_mov_b32_e32 v14, 0xffff8000
	s_and_saveexec_b64 s[16:17], vcc
	s_cbranch_execz .LBB775_901
; %bb.898:                              ;   in Loop: Header=BB775_794 Depth=1
	v_and_b32_e32 v12, 0x7f, v8
	v_cmp_ne_u32_e32 vcc, s23, v12
	v_mov_b32_e32 v14, 0x7f80
	s_and_saveexec_b64 s[18:19], vcc
	s_cbranch_execz .LBB775_900
; %bb.899:                              ;   in Loop: Header=BB775_794 Depth=1
	v_and_b32_e32 v14, 7, v8
	v_ffbh_u32_e32 v16, v14
	v_min_u32_e32 v19, 32, v16
	v_subrev_u32_e32 v16, 28, v19
	v_lshlrev_b64 v[16:17], v16, v[8:9]
	v_lshrrev_b32_e32 v18, 3, v12
	v_sub_u32_e32 v8, 29, v19
	v_and_b32_e32 v16, 7, v16
	v_cmp_gt_u32_e32 vcc, 8, v12
	v_cndmask_b32_e32 v8, v18, v8, vcc
	v_cndmask_b32_e32 v12, v14, v16, vcc
	v_lshlrev_b32_e32 v14, 16, v6
	v_lshlrev_b32_e32 v12, 20, v12
	v_and_b32_e32 v14, 0x80000000, v14
	v_lshl_add_u32 v8, v8, 23, v10
	v_or3_b32 v8, v14, v8, v12
	v_lshrrev_b32_e32 v14, 16, v8
.LBB775_900:                            ;   in Loop: Header=BB775_794 Depth=1
	s_or_b64 exec, exec, s[18:19]
.LBB775_901:                            ;   in Loop: Header=BB775_794 Depth=1
	s_or_b64 exec, exec, s[16:17]
.LBB775_902:                            ;   in Loop: Header=BB775_794 Depth=1
	s_or_b64 exec, exec, s[14:15]
	v_lshrrev_b32_e32 v8, 16, v6
	v_cmp_ne_u16_sdwa s[16:17], v8, v9 src0_sel:BYTE_0 src1_sel:DWORD
	s_and_saveexec_b64 s[14:15], s[16:17]
	s_cbranch_execz .LBB775_908
; %bb.903:                              ;   in Loop: Header=BB775_794 Depth=1
	v_cmp_ne_u16_sdwa s[18:19], v8, s21 src0_sel:BYTE_0 src1_sel:DWORD
	v_mov_b32_e32 v15, 0xffff8000
	s_and_saveexec_b64 s[16:17], s[18:19]
	s_cbranch_execz .LBB775_907
; %bb.904:                              ;   in Loop: Header=BB775_794 Depth=1
	v_bfe_u32 v12, v6, 16, 7
	v_cmp_ne_u32_e32 vcc, s23, v12
	v_mov_b32_e32 v15, 0x7f80
	s_and_saveexec_b64 s[18:19], vcc
	s_cbranch_execz .LBB775_906
; %bb.905:                              ;   in Loop: Header=BB775_794 Depth=1
	v_and_b32_e32 v15, 7, v8
	v_ffbh_u32_e32 v16, v15
	v_min_u32_e32 v19, 32, v16
	v_subrev_u32_e32 v16, 28, v19
	v_lshlrev_b64 v[16:17], v16, v[8:9]
	v_lshrrev_b32_e32 v18, 3, v12
	v_sub_u32_e32 v17, 29, v19
	v_and_b32_e32 v16, 7, v16
	v_cmp_gt_u32_e32 vcc, 8, v12
	v_cndmask_b32_e32 v12, v18, v17, vcc
	v_cndmask_b32_e32 v15, v15, v16, vcc
	v_lshlrev_b32_e32 v8, 24, v8
	v_lshlrev_b32_e32 v15, 20, v15
	v_and_b32_e32 v8, 0x80000000, v8
	v_lshl_add_u32 v12, v12, 23, v10
	v_or3_b32 v8, v8, v12, v15
	v_lshrrev_b32_e32 v15, 16, v8
.LBB775_906:                            ;   in Loop: Header=BB775_794 Depth=1
	s_or_b64 exec, exec, s[18:19]
.LBB775_907:                            ;   in Loop: Header=BB775_794 Depth=1
	s_or_b64 exec, exec, s[16:17]
.LBB775_908:                            ;   in Loop: Header=BB775_794 Depth=1
	s_or_b64 exec, exec, s[14:15]
	v_cmp_lt_u32_e32 vcc, s25, v6
	v_mov_b32_e32 v16, 0
	v_mov_b32_e32 v17, 0
	s_and_saveexec_b64 s[14:15], vcc
	s_cbranch_execz .LBB775_914
; %bb.909:                              ;   in Loop: Header=BB775_794 Depth=1
	v_lshrrev_b32_e32 v8, 24, v6
	v_cmp_ne_u32_e32 vcc, s21, v8
	v_mov_b32_e32 v17, 0xffff8000
	s_and_saveexec_b64 s[16:17], vcc
	s_cbranch_execz .LBB775_913
; %bb.910:                              ;   in Loop: Header=BB775_794 Depth=1
	v_bfe_u32 v6, v6, 24, 7
	v_cmp_ne_u32_e32 vcc, s23, v6
	v_mov_b32_e32 v17, 0x7f80
	s_and_saveexec_b64 s[18:19], vcc
	s_cbranch_execz .LBB775_912
; %bb.911:                              ;   in Loop: Header=BB775_794 Depth=1
	v_and_b32_e32 v12, 7, v8
	v_ffbh_u32_e32 v18, v12
	v_min_u32_e32 v20, 32, v18
	v_subrev_u32_e32 v18, 28, v20
	v_lshlrev_b64 v[18:19], v18, v[8:9]
	v_lshrrev_b32_e32 v17, 3, v6
	v_sub_u32_e32 v19, 29, v20
	v_and_b32_e32 v18, 7, v18
	v_cmp_gt_u32_e32 vcc, 8, v6
	v_cndmask_b32_e32 v6, v17, v19, vcc
	v_cndmask_b32_e32 v12, v12, v18, vcc
	v_lshlrev_b32_e32 v8, 24, v8
	v_lshlrev_b32_e32 v12, 20, v12
	v_and_b32_e32 v8, 0x80000000, v8
	v_lshl_add_u32 v6, v6, 23, v10
	v_or3_b32 v6, v8, v6, v12
	v_lshrrev_b32_e32 v17, 16, v6
.LBB775_912:                            ;   in Loop: Header=BB775_794 Depth=1
	s_or_b64 exec, exec, s[18:19]
.LBB775_913:                            ;   in Loop: Header=BB775_794 Depth=1
	s_or_b64 exec, exec, s[16:17]
.LBB775_914:                            ;   in Loop: Header=BB775_794 Depth=1
	s_or_b64 exec, exec, s[14:15]
	s_waitcnt vmcnt(0)
	v_cmp_ne_u16_sdwa s[16:17], v4, v9 src0_sel:BYTE_0 src1_sel:DWORD
	s_and_saveexec_b64 s[14:15], s[16:17]
	s_cbranch_execz .LBB775_920
; %bb.915:                              ;   in Loop: Header=BB775_794 Depth=1
	v_cmp_ne_u16_sdwa s[18:19], v4, s21 src0_sel:BYTE_0 src1_sel:DWORD
	v_mov_b32_e32 v16, 0xffff8000
	s_and_saveexec_b64 s[16:17], s[18:19]
	s_cbranch_execz .LBB775_919
; %bb.916:                              ;   in Loop: Header=BB775_794 Depth=1
	v_and_b32_e32 v6, 0x7f, v4
	v_cmp_ne_u32_e32 vcc, s23, v6
	v_mov_b32_e32 v16, 0x7f80
	s_and_saveexec_b64 s[18:19], vcc
	s_cbranch_execz .LBB775_918
; %bb.917:                              ;   in Loop: Header=BB775_794 Depth=1
	v_and_b32_e32 v8, 7, v4
	v_ffbh_u32_e32 v16, v8
	v_min_u32_e32 v16, 32, v16
	v_subrev_u32_e32 v18, 28, v16
	v_lshlrev_b64 v[18:19], v18, v[4:5]
	v_lshrrev_b32_e32 v12, 3, v6
	v_sub_u32_e32 v16, 29, v16
	v_and_b32_e32 v18, 7, v18
	v_cmp_gt_u32_e32 vcc, 8, v6
	v_cndmask_b32_e32 v6, v12, v16, vcc
	v_cndmask_b32_e32 v8, v8, v18, vcc
	v_lshlrev_b32_e32 v12, 24, v4
	v_lshlrev_b32_e32 v8, 20, v8
	v_and_b32_e32 v12, 0x80000000, v12
	v_lshl_add_u32 v6, v6, 23, v10
	v_or3_b32 v6, v12, v6, v8
	v_lshrrev_b32_e32 v16, 16, v6
.LBB775_918:                            ;   in Loop: Header=BB775_794 Depth=1
	s_or_b64 exec, exec, s[18:19]
.LBB775_919:                            ;   in Loop: Header=BB775_794 Depth=1
	s_or_b64 exec, exec, s[16:17]
.LBB775_920:                            ;   in Loop: Header=BB775_794 Depth=1
	s_or_b64 exec, exec, s[14:15]
	v_lshrrev_b16_e32 v6, 8, v4
	v_cmp_ne_u16_e32 vcc, 0, v6
	v_mov_b32_e32 v18, 0
	v_mov_b32_e32 v8, 0
	s_and_saveexec_b64 s[14:15], vcc
	s_cbranch_execz .LBB775_926
; %bb.921:                              ;   in Loop: Header=BB775_794 Depth=1
	v_cmp_ne_u16_e32 vcc, s21, v6
	v_mov_b32_e32 v8, 0xffff8000
	s_and_saveexec_b64 s[16:17], vcc
	s_cbranch_execz .LBB775_925
; %bb.922:                              ;   in Loop: Header=BB775_794 Depth=1
	v_and_b32_e32 v12, 0x7f, v6
	v_cmp_ne_u32_e32 vcc, s23, v12
	v_mov_b32_e32 v8, 0x7f80
	s_and_saveexec_b64 s[18:19], vcc
	s_cbranch_execz .LBB775_924
; %bb.923:                              ;   in Loop: Header=BB775_794 Depth=1
	v_and_b32_e32 v8, 7, v6
	v_ffbh_u32_e32 v20, v8
	v_min_u32_e32 v22, 32, v20
	v_subrev_u32_e32 v20, 28, v22
	v_lshlrev_b64 v[20:21], v20, v[6:7]
	v_lshrrev_b32_e32 v19, 3, v12
	v_sub_u32_e32 v6, 29, v22
	v_and_b32_e32 v20, 7, v20
	v_cmp_gt_u32_e32 vcc, 8, v12
	v_cndmask_b32_e32 v6, v19, v6, vcc
	v_cndmask_b32_e32 v8, v8, v20, vcc
	v_lshlrev_b32_e32 v12, 16, v4
	v_lshlrev_b32_e32 v8, 20, v8
	v_and_b32_e32 v12, 0x80000000, v12
	v_lshl_add_u32 v6, v6, 23, v10
	v_or3_b32 v6, v12, v6, v8
	v_lshrrev_b32_e32 v8, 16, v6
.LBB775_924:                            ;   in Loop: Header=BB775_794 Depth=1
	s_or_b64 exec, exec, s[18:19]
.LBB775_925:                            ;   in Loop: Header=BB775_794 Depth=1
	s_or_b64 exec, exec, s[16:17]
.LBB775_926:                            ;   in Loop: Header=BB775_794 Depth=1
	s_or_b64 exec, exec, s[14:15]
	v_lshrrev_b32_e32 v6, 16, v4
	v_cmp_ne_u16_sdwa s[16:17], v6, v9 src0_sel:BYTE_0 src1_sel:DWORD
	s_and_saveexec_b64 s[14:15], s[16:17]
	s_cbranch_execz .LBB775_932
; %bb.927:                              ;   in Loop: Header=BB775_794 Depth=1
	v_cmp_ne_u16_sdwa s[18:19], v6, s21 src0_sel:BYTE_0 src1_sel:DWORD
	v_mov_b32_e32 v18, 0xffff8000
	s_and_saveexec_b64 s[16:17], s[18:19]
	s_cbranch_execz .LBB775_931
; %bb.928:                              ;   in Loop: Header=BB775_794 Depth=1
	v_bfe_u32 v12, v4, 16, 7
	v_cmp_ne_u32_e32 vcc, s23, v12
	v_mov_b32_e32 v18, 0x7f80
	s_and_saveexec_b64 s[18:19], vcc
	s_cbranch_execz .LBB775_930
; %bb.929:                              ;   in Loop: Header=BB775_794 Depth=1
	v_and_b32_e32 v20, 7, v6
	v_ffbh_u32_e32 v18, v20
	v_min_u32_e32 v22, 32, v18
	v_subrev_u32_e32 v18, 28, v22
	v_lshlrev_b64 v[18:19], v18, v[6:7]
	v_lshrrev_b32_e32 v21, 3, v12
	v_sub_u32_e32 v19, 29, v22
	v_and_b32_e32 v18, 7, v18
	v_cmp_gt_u32_e32 vcc, 8, v12
	v_cndmask_b32_e32 v12, v21, v19, vcc
	v_cndmask_b32_e32 v18, v20, v18, vcc
	v_lshlrev_b32_e32 v6, 24, v6
	v_lshlrev_b32_e32 v18, 20, v18
	v_and_b32_e32 v6, 0x80000000, v6
	v_lshl_add_u32 v12, v12, 23, v10
	v_or3_b32 v6, v6, v12, v18
	v_lshrrev_b32_e32 v18, 16, v6
.LBB775_930:                            ;   in Loop: Header=BB775_794 Depth=1
	s_or_b64 exec, exec, s[18:19]
.LBB775_931:                            ;   in Loop: Header=BB775_794 Depth=1
	s_or_b64 exec, exec, s[16:17]
.LBB775_932:                            ;   in Loop: Header=BB775_794 Depth=1
	s_or_b64 exec, exec, s[14:15]
	v_cmp_lt_u32_e32 vcc, s25, v4
	v_mov_b32_e32 v12, 0
	v_mov_b32_e32 v19, 0
	s_and_saveexec_b64 s[14:15], vcc
	s_cbranch_execz .LBB775_938
; %bb.933:                              ;   in Loop: Header=BB775_794 Depth=1
	v_lshrrev_b32_e32 v6, 24, v4
	v_cmp_ne_u32_e32 vcc, s21, v6
	v_mov_b32_e32 v19, 0xffff8000
	s_and_saveexec_b64 s[16:17], vcc
	s_cbranch_execz .LBB775_937
; %bb.934:                              ;   in Loop: Header=BB775_794 Depth=1
	v_bfe_u32 v4, v4, 24, 7
	v_cmp_ne_u32_e32 vcc, s23, v4
	v_mov_b32_e32 v19, 0x7f80
	s_and_saveexec_b64 s[18:19], vcc
	s_cbranch_execz .LBB775_936
; %bb.935:                              ;   in Loop: Header=BB775_794 Depth=1
	v_and_b32_e32 v19, 7, v6
	v_ffbh_u32_e32 v20, v19
	v_min_u32_e32 v23, 32, v20
	v_subrev_u32_e32 v20, 28, v23
	v_lshlrev_b64 v[20:21], v20, v[6:7]
	v_lshrrev_b32_e32 v22, 3, v4
	v_sub_u32_e32 v21, 29, v23
	v_and_b32_e32 v20, 7, v20
	v_cmp_gt_u32_e32 vcc, 8, v4
	v_cndmask_b32_e32 v4, v22, v21, vcc
	v_cndmask_b32_e32 v19, v19, v20, vcc
	v_lshlrev_b32_e32 v6, 24, v6
	v_lshlrev_b32_e32 v19, 20, v19
	v_and_b32_e32 v6, 0x80000000, v6
	v_lshl_add_u32 v4, v4, 23, v10
	v_or3_b32 v4, v6, v4, v19
	v_lshrrev_b32_e32 v19, 16, v4
.LBB775_936:                            ;   in Loop: Header=BB775_794 Depth=1
	s_or_b64 exec, exec, s[18:19]
.LBB775_937:                            ;   in Loop: Header=BB775_794 Depth=1
	s_or_b64 exec, exec, s[16:17]
.LBB775_938:                            ;   in Loop: Header=BB775_794 Depth=1
	s_or_b64 exec, exec, s[14:15]
	buffer_load_dword v6, v11, s[0:3], 0 offen offset:24
	buffer_load_dword v4, v11, s[0:3], 0 offen offset:28
	v_perm_b32 v15, v17, v15, s26
	v_perm_b32 v14, v14, v13, s26
	;; [unrolled: 1-line block ×4, first 2 shown]
	v_mfma_f32_4x4x4bf16_1k a[0:3], v[2:3], v[14:15], a[0:3] cbsz:4 abid:4
	s_waitcnt vmcnt(1)
	v_cmp_ne_u16_sdwa s[16:17], v6, v9 src0_sel:BYTE_0 src1_sel:DWORD
	v_mfma_f32_4x4x4bf16_1k a[0:3], v[2:3], v[16:17], a[0:3] cbsz:4 abid:5
	s_and_saveexec_b64 s[14:15], s[16:17]
	s_cbranch_execz .LBB775_944
; %bb.939:                              ;   in Loop: Header=BB775_794 Depth=1
	v_cmp_ne_u16_sdwa s[18:19], v6, s21 src0_sel:BYTE_0 src1_sel:DWORD
	v_mov_b32_e32 v12, 0xffff8000
	s_and_saveexec_b64 s[16:17], s[18:19]
	s_cbranch_execz .LBB775_943
; %bb.940:                              ;   in Loop: Header=BB775_794 Depth=1
	v_and_b32_e32 v8, 0x7f, v6
	v_cmp_ne_u32_e32 vcc, s23, v8
	v_mov_b32_e32 v12, 0x7f80
	s_and_saveexec_b64 s[18:19], vcc
	s_cbranch_execz .LBB775_942
; %bb.941:                              ;   in Loop: Header=BB775_794 Depth=1
	v_and_b32_e32 v14, 7, v6
	v_ffbh_u32_e32 v12, v14
	v_min_u32_e32 v16, 32, v12
	v_subrev_u32_e32 v12, 28, v16
	v_lshlrev_b64 v[12:13], v12, v[6:7]
	v_lshrrev_b32_e32 v15, 3, v8
	v_sub_u32_e32 v13, 29, v16
	v_and_b32_e32 v12, 7, v12
	v_cmp_gt_u32_e32 vcc, 8, v8
	v_cndmask_b32_e32 v8, v15, v13, vcc
	v_cndmask_b32_e32 v12, v14, v12, vcc
	v_lshlrev_b32_e32 v13, 24, v6
	v_lshlrev_b32_e32 v12, 20, v12
	v_and_b32_e32 v13, 0x80000000, v13
	v_lshl_add_u32 v8, v8, 23, v10
	v_or3_b32 v8, v13, v8, v12
	v_lshrrev_b32_e32 v12, 16, v8
.LBB775_942:                            ;   in Loop: Header=BB775_794 Depth=1
	s_or_b64 exec, exec, s[18:19]
.LBB775_943:                            ;   in Loop: Header=BB775_794 Depth=1
	s_or_b64 exec, exec, s[16:17]
.LBB775_944:                            ;   in Loop: Header=BB775_794 Depth=1
	s_or_b64 exec, exec, s[14:15]
	v_lshrrev_b16_e32 v8, 8, v6
	v_cmp_ne_u16_e32 vcc, 0, v8
	v_mov_b32_e32 v15, 0
	v_mov_b32_e32 v14, 0
	s_and_saveexec_b64 s[14:15], vcc
	s_cbranch_execz .LBB775_950
; %bb.945:                              ;   in Loop: Header=BB775_794 Depth=1
	v_cmp_ne_u16_e32 vcc, s21, v8
	v_mov_b32_e32 v14, 0xffff8000
	s_and_saveexec_b64 s[16:17], vcc
	s_cbranch_execz .LBB775_949
; %bb.946:                              ;   in Loop: Header=BB775_794 Depth=1
	v_and_b32_e32 v13, 0x7f, v8
	v_cmp_ne_u32_e32 vcc, s23, v13
	v_mov_b32_e32 v14, 0x7f80
	s_and_saveexec_b64 s[18:19], vcc
	s_cbranch_execz .LBB775_948
; %bb.947:                              ;   in Loop: Header=BB775_794 Depth=1
	v_and_b32_e32 v14, 7, v8
	v_ffbh_u32_e32 v16, v14
	v_min_u32_e32 v19, 32, v16
	v_subrev_u32_e32 v16, 28, v19
	v_lshlrev_b64 v[16:17], v16, v[8:9]
	v_lshrrev_b32_e32 v18, 3, v13
	v_sub_u32_e32 v8, 29, v19
	v_and_b32_e32 v16, 7, v16
	v_cmp_gt_u32_e32 vcc, 8, v13
	v_cndmask_b32_e32 v8, v18, v8, vcc
	v_cndmask_b32_e32 v13, v14, v16, vcc
	v_lshlrev_b32_e32 v14, 16, v6
	v_lshlrev_b32_e32 v13, 20, v13
	v_and_b32_e32 v14, 0x80000000, v14
	v_lshl_add_u32 v8, v8, 23, v10
	v_or3_b32 v8, v14, v8, v13
	v_lshrrev_b32_e32 v14, 16, v8
.LBB775_948:                            ;   in Loop: Header=BB775_794 Depth=1
	s_or_b64 exec, exec, s[18:19]
.LBB775_949:                            ;   in Loop: Header=BB775_794 Depth=1
	s_or_b64 exec, exec, s[16:17]
.LBB775_950:                            ;   in Loop: Header=BB775_794 Depth=1
	s_or_b64 exec, exec, s[14:15]
	v_lshrrev_b32_e32 v8, 16, v6
	v_cmp_ne_u16_sdwa s[16:17], v8, v9 src0_sel:BYTE_0 src1_sel:DWORD
	s_and_saveexec_b64 s[14:15], s[16:17]
	s_cbranch_execz .LBB775_956
; %bb.951:                              ;   in Loop: Header=BB775_794 Depth=1
	v_cmp_ne_u16_sdwa s[18:19], v8, s21 src0_sel:BYTE_0 src1_sel:DWORD
	v_mov_b32_e32 v15, 0xffff8000
	s_and_saveexec_b64 s[16:17], s[18:19]
	s_cbranch_execz .LBB775_955
; %bb.952:                              ;   in Loop: Header=BB775_794 Depth=1
	v_bfe_u32 v13, v6, 16, 7
	v_cmp_ne_u32_e32 vcc, s23, v13
	v_mov_b32_e32 v15, 0x7f80
	s_and_saveexec_b64 s[18:19], vcc
	s_cbranch_execz .LBB775_954
; %bb.953:                              ;   in Loop: Header=BB775_794 Depth=1
	v_and_b32_e32 v15, 7, v8
	v_ffbh_u32_e32 v16, v15
	v_min_u32_e32 v19, 32, v16
	v_subrev_u32_e32 v16, 28, v19
	v_lshlrev_b64 v[16:17], v16, v[8:9]
	v_lshrrev_b32_e32 v18, 3, v13
	v_sub_u32_e32 v17, 29, v19
	v_and_b32_e32 v16, 7, v16
	v_cmp_gt_u32_e32 vcc, 8, v13
	v_cndmask_b32_e32 v13, v18, v17, vcc
	v_cndmask_b32_e32 v15, v15, v16, vcc
	v_lshlrev_b32_e32 v8, 24, v8
	v_lshlrev_b32_e32 v15, 20, v15
	v_and_b32_e32 v8, 0x80000000, v8
	v_lshl_add_u32 v13, v13, 23, v10
	v_or3_b32 v8, v8, v13, v15
	v_lshrrev_b32_e32 v15, 16, v8
.LBB775_954:                            ;   in Loop: Header=BB775_794 Depth=1
	s_or_b64 exec, exec, s[18:19]
.LBB775_955:                            ;   in Loop: Header=BB775_794 Depth=1
	s_or_b64 exec, exec, s[16:17]
.LBB775_956:                            ;   in Loop: Header=BB775_794 Depth=1
	s_or_b64 exec, exec, s[14:15]
	v_cmp_lt_u32_e32 vcc, s25, v6
	v_mov_b32_e32 v16, 0
	v_mov_b32_e32 v17, 0
	s_and_saveexec_b64 s[14:15], vcc
	s_cbranch_execz .LBB775_962
; %bb.957:                              ;   in Loop: Header=BB775_794 Depth=1
	v_lshrrev_b32_e32 v8, 24, v6
	v_cmp_ne_u32_e32 vcc, s21, v8
	v_mov_b32_e32 v17, 0xffff8000
	s_and_saveexec_b64 s[16:17], vcc
	s_cbranch_execz .LBB775_961
; %bb.958:                              ;   in Loop: Header=BB775_794 Depth=1
	v_bfe_u32 v6, v6, 24, 7
	v_cmp_ne_u32_e32 vcc, s23, v6
	v_mov_b32_e32 v17, 0x7f80
	s_and_saveexec_b64 s[18:19], vcc
	s_cbranch_execz .LBB775_960
; %bb.959:                              ;   in Loop: Header=BB775_794 Depth=1
	v_and_b32_e32 v13, 7, v8
	v_ffbh_u32_e32 v18, v13
	v_min_u32_e32 v20, 32, v18
	v_subrev_u32_e32 v18, 28, v20
	v_lshlrev_b64 v[18:19], v18, v[8:9]
	v_lshrrev_b32_e32 v17, 3, v6
	v_sub_u32_e32 v19, 29, v20
	v_and_b32_e32 v18, 7, v18
	v_cmp_gt_u32_e32 vcc, 8, v6
	v_cndmask_b32_e32 v6, v17, v19, vcc
	v_cndmask_b32_e32 v13, v13, v18, vcc
	v_lshlrev_b32_e32 v8, 24, v8
	v_lshlrev_b32_e32 v13, 20, v13
	v_and_b32_e32 v8, 0x80000000, v8
	v_lshl_add_u32 v6, v6, 23, v10
	v_or3_b32 v6, v8, v6, v13
	v_lshrrev_b32_e32 v17, 16, v6
.LBB775_960:                            ;   in Loop: Header=BB775_794 Depth=1
	s_or_b64 exec, exec, s[18:19]
.LBB775_961:                            ;   in Loop: Header=BB775_794 Depth=1
	s_or_b64 exec, exec, s[16:17]
.LBB775_962:                            ;   in Loop: Header=BB775_794 Depth=1
	s_or_b64 exec, exec, s[14:15]
	s_waitcnt vmcnt(0)
	v_cmp_ne_u16_sdwa s[16:17], v4, v9 src0_sel:BYTE_0 src1_sel:DWORD
	s_and_saveexec_b64 s[14:15], s[16:17]
	s_cbranch_execz .LBB775_968
; %bb.963:                              ;   in Loop: Header=BB775_794 Depth=1
	v_cmp_ne_u16_sdwa s[18:19], v4, s21 src0_sel:BYTE_0 src1_sel:DWORD
	v_mov_b32_e32 v16, 0xffff8000
	s_and_saveexec_b64 s[16:17], s[18:19]
	s_cbranch_execz .LBB775_967
; %bb.964:                              ;   in Loop: Header=BB775_794 Depth=1
	v_and_b32_e32 v6, 0x7f, v4
	v_cmp_ne_u32_e32 vcc, s23, v6
	v_mov_b32_e32 v16, 0x7f80
	s_and_saveexec_b64 s[18:19], vcc
	s_cbranch_execz .LBB775_966
; %bb.965:                              ;   in Loop: Header=BB775_794 Depth=1
	v_and_b32_e32 v8, 7, v4
	v_ffbh_u32_e32 v16, v8
	v_min_u32_e32 v16, 32, v16
	v_subrev_u32_e32 v18, 28, v16
	v_lshlrev_b64 v[18:19], v18, v[4:5]
	v_lshrrev_b32_e32 v13, 3, v6
	v_sub_u32_e32 v16, 29, v16
	v_and_b32_e32 v18, 7, v18
	v_cmp_gt_u32_e32 vcc, 8, v6
	v_cndmask_b32_e32 v6, v13, v16, vcc
	v_cndmask_b32_e32 v8, v8, v18, vcc
	v_lshlrev_b32_e32 v13, 24, v4
	v_lshlrev_b32_e32 v8, 20, v8
	v_and_b32_e32 v13, 0x80000000, v13
	v_lshl_add_u32 v6, v6, 23, v10
	v_or3_b32 v6, v13, v6, v8
	v_lshrrev_b32_e32 v16, 16, v6
.LBB775_966:                            ;   in Loop: Header=BB775_794 Depth=1
	s_or_b64 exec, exec, s[18:19]
.LBB775_967:                            ;   in Loop: Header=BB775_794 Depth=1
	s_or_b64 exec, exec, s[16:17]
.LBB775_968:                            ;   in Loop: Header=BB775_794 Depth=1
	s_or_b64 exec, exec, s[14:15]
	v_lshrrev_b16_e32 v6, 8, v4
	v_cmp_ne_u16_e32 vcc, 0, v6
	v_mov_b32_e32 v18, 0
	v_mov_b32_e32 v8, 0
	s_and_saveexec_b64 s[14:15], vcc
	s_cbranch_execz .LBB775_974
; %bb.969:                              ;   in Loop: Header=BB775_794 Depth=1
	v_cmp_ne_u16_e32 vcc, s21, v6
	v_mov_b32_e32 v8, 0xffff8000
	s_and_saveexec_b64 s[16:17], vcc
	s_cbranch_execz .LBB775_973
; %bb.970:                              ;   in Loop: Header=BB775_794 Depth=1
	v_and_b32_e32 v13, 0x7f, v6
	v_cmp_ne_u32_e32 vcc, s23, v13
	v_mov_b32_e32 v8, 0x7f80
	s_and_saveexec_b64 s[18:19], vcc
	s_cbranch_execz .LBB775_972
; %bb.971:                              ;   in Loop: Header=BB775_794 Depth=1
	v_and_b32_e32 v8, 7, v6
	v_ffbh_u32_e32 v20, v8
	v_min_u32_e32 v22, 32, v20
	v_subrev_u32_e32 v20, 28, v22
	v_lshlrev_b64 v[20:21], v20, v[6:7]
	v_lshrrev_b32_e32 v19, 3, v13
	v_sub_u32_e32 v6, 29, v22
	v_and_b32_e32 v20, 7, v20
	v_cmp_gt_u32_e32 vcc, 8, v13
	v_cndmask_b32_e32 v6, v19, v6, vcc
	v_cndmask_b32_e32 v8, v8, v20, vcc
	v_lshlrev_b32_e32 v13, 16, v4
	v_lshlrev_b32_e32 v8, 20, v8
	v_and_b32_e32 v13, 0x80000000, v13
	v_lshl_add_u32 v6, v6, 23, v10
	v_or3_b32 v6, v13, v6, v8
	v_lshrrev_b32_e32 v8, 16, v6
.LBB775_972:                            ;   in Loop: Header=BB775_794 Depth=1
	s_or_b64 exec, exec, s[18:19]
.LBB775_973:                            ;   in Loop: Header=BB775_794 Depth=1
	s_or_b64 exec, exec, s[16:17]
.LBB775_974:                            ;   in Loop: Header=BB775_794 Depth=1
	s_or_b64 exec, exec, s[14:15]
	v_lshrrev_b32_e32 v6, 16, v4
	v_cmp_ne_u16_sdwa s[16:17], v6, v9 src0_sel:BYTE_0 src1_sel:DWORD
	s_and_saveexec_b64 s[14:15], s[16:17]
	s_cbranch_execz .LBB775_980
; %bb.975:                              ;   in Loop: Header=BB775_794 Depth=1
	v_cmp_ne_u16_sdwa s[18:19], v6, s21 src0_sel:BYTE_0 src1_sel:DWORD
	v_mov_b32_e32 v18, 0xffff8000
	s_and_saveexec_b64 s[16:17], s[18:19]
	s_cbranch_execz .LBB775_979
; %bb.976:                              ;   in Loop: Header=BB775_794 Depth=1
	v_bfe_u32 v13, v4, 16, 7
	v_cmp_ne_u32_e32 vcc, s23, v13
	v_mov_b32_e32 v18, 0x7f80
	s_and_saveexec_b64 s[18:19], vcc
	s_cbranch_execz .LBB775_978
; %bb.977:                              ;   in Loop: Header=BB775_794 Depth=1
	v_and_b32_e32 v20, 7, v6
	v_ffbh_u32_e32 v18, v20
	v_min_u32_e32 v22, 32, v18
	v_subrev_u32_e32 v18, 28, v22
	v_lshlrev_b64 v[18:19], v18, v[6:7]
	v_lshrrev_b32_e32 v21, 3, v13
	v_sub_u32_e32 v19, 29, v22
	v_and_b32_e32 v18, 7, v18
	v_cmp_gt_u32_e32 vcc, 8, v13
	v_cndmask_b32_e32 v13, v21, v19, vcc
	v_cndmask_b32_e32 v18, v20, v18, vcc
	v_lshlrev_b32_e32 v6, 24, v6
	v_lshlrev_b32_e32 v18, 20, v18
	v_and_b32_e32 v6, 0x80000000, v6
	v_lshl_add_u32 v13, v13, 23, v10
	v_or3_b32 v6, v6, v13, v18
	v_lshrrev_b32_e32 v18, 16, v6
.LBB775_978:                            ;   in Loop: Header=BB775_794 Depth=1
	s_or_b64 exec, exec, s[18:19]
.LBB775_979:                            ;   in Loop: Header=BB775_794 Depth=1
	s_or_b64 exec, exec, s[16:17]
.LBB775_980:                            ;   in Loop: Header=BB775_794 Depth=1
	s_or_b64 exec, exec, s[14:15]
	v_cmp_lt_u32_e32 vcc, s25, v4
	v_mov_b32_e32 v13, 0
	v_mov_b32_e32 v19, 0
	s_and_saveexec_b64 s[14:15], vcc
	s_cbranch_execz .LBB775_986
; %bb.981:                              ;   in Loop: Header=BB775_794 Depth=1
	v_lshrrev_b32_e32 v6, 24, v4
	v_cmp_ne_u32_e32 vcc, s21, v6
	v_mov_b32_e32 v19, 0xffff8000
	s_and_saveexec_b64 s[16:17], vcc
	s_cbranch_execz .LBB775_985
; %bb.982:                              ;   in Loop: Header=BB775_794 Depth=1
	v_bfe_u32 v4, v4, 24, 7
	v_cmp_ne_u32_e32 vcc, s23, v4
	v_mov_b32_e32 v19, 0x7f80
	s_and_saveexec_b64 s[18:19], vcc
	s_cbranch_execz .LBB775_984
; %bb.983:                              ;   in Loop: Header=BB775_794 Depth=1
	v_and_b32_e32 v19, 7, v6
	v_ffbh_u32_e32 v20, v19
	v_min_u32_e32 v23, 32, v20
	v_subrev_u32_e32 v20, 28, v23
	v_lshlrev_b64 v[20:21], v20, v[6:7]
	v_lshrrev_b32_e32 v22, 3, v4
	v_sub_u32_e32 v21, 29, v23
	v_and_b32_e32 v20, 7, v20
	v_cmp_gt_u32_e32 vcc, 8, v4
	v_cndmask_b32_e32 v4, v22, v21, vcc
	v_cndmask_b32_e32 v19, v19, v20, vcc
	v_lshlrev_b32_e32 v6, 24, v6
	v_lshlrev_b32_e32 v19, 20, v19
	v_and_b32_e32 v6, 0x80000000, v6
	v_lshl_add_u32 v4, v4, 23, v10
	v_or3_b32 v4, v6, v4, v19
	v_lshrrev_b32_e32 v19, 16, v4
.LBB775_984:                            ;   in Loop: Header=BB775_794 Depth=1
	s_or_b64 exec, exec, s[18:19]
.LBB775_985:                            ;   in Loop: Header=BB775_794 Depth=1
	s_or_b64 exec, exec, s[16:17]
.LBB775_986:                            ;   in Loop: Header=BB775_794 Depth=1
	s_or_b64 exec, exec, s[14:15]
	buffer_load_dword v6, v11, s[0:3], 0 offen offset:32
	buffer_load_dword v4, v11, s[0:3], 0 offen offset:36
	v_perm_b32 v15, v17, v15, s26
	v_perm_b32 v14, v14, v12, s26
	;; [unrolled: 1-line block ×4, first 2 shown]
	v_mfma_f32_4x4x4bf16_1k a[0:3], v[2:3], v[14:15], a[0:3] cbsz:4 abid:6
	s_waitcnt vmcnt(1)
	v_cmp_ne_u16_sdwa s[16:17], v6, v9 src0_sel:BYTE_0 src1_sel:DWORD
	v_mfma_f32_4x4x4bf16_1k a[0:3], v[2:3], v[16:17], a[0:3] cbsz:4 abid:7
	s_and_saveexec_b64 s[14:15], s[16:17]
	s_cbranch_execz .LBB775_992
; %bb.987:                              ;   in Loop: Header=BB775_794 Depth=1
	v_cmp_ne_u16_sdwa s[18:19], v6, s21 src0_sel:BYTE_0 src1_sel:DWORD
	v_mov_b32_e32 v13, 0xffff8000
	s_and_saveexec_b64 s[16:17], s[18:19]
	s_cbranch_execz .LBB775_991
; %bb.988:                              ;   in Loop: Header=BB775_794 Depth=1
	v_and_b32_e32 v8, 0x7f, v6
	v_cmp_ne_u32_e32 vcc, s23, v8
	v_mov_b32_e32 v13, 0x7f80
	s_and_saveexec_b64 s[18:19], vcc
	s_cbranch_execz .LBB775_990
; %bb.989:                              ;   in Loop: Header=BB775_794 Depth=1
	v_and_b32_e32 v14, 7, v6
	v_ffbh_u32_e32 v12, v14
	v_min_u32_e32 v16, 32, v12
	v_subrev_u32_e32 v12, 28, v16
	v_lshlrev_b64 v[12:13], v12, v[6:7]
	v_lshrrev_b32_e32 v15, 3, v8
	v_sub_u32_e32 v13, 29, v16
	v_and_b32_e32 v12, 7, v12
	v_cmp_gt_u32_e32 vcc, 8, v8
	v_cndmask_b32_e32 v8, v15, v13, vcc
	v_cndmask_b32_e32 v12, v14, v12, vcc
	v_lshlrev_b32_e32 v13, 24, v6
	v_lshlrev_b32_e32 v12, 20, v12
	v_and_b32_e32 v13, 0x80000000, v13
	v_lshl_add_u32 v8, v8, 23, v10
	v_or3_b32 v8, v13, v8, v12
	v_lshrrev_b32_e32 v13, 16, v8
.LBB775_990:                            ;   in Loop: Header=BB775_794 Depth=1
	s_or_b64 exec, exec, s[18:19]
.LBB775_991:                            ;   in Loop: Header=BB775_794 Depth=1
	s_or_b64 exec, exec, s[16:17]
.LBB775_992:                            ;   in Loop: Header=BB775_794 Depth=1
	s_or_b64 exec, exec, s[14:15]
	v_lshrrev_b16_e32 v8, 8, v6
	v_cmp_ne_u16_e32 vcc, 0, v8
	v_mov_b32_e32 v15, 0
	v_mov_b32_e32 v12, 0
	s_and_saveexec_b64 s[14:15], vcc
	s_cbranch_execz .LBB775_998
; %bb.993:                              ;   in Loop: Header=BB775_794 Depth=1
	v_cmp_ne_u16_e32 vcc, s21, v8
	v_mov_b32_e32 v12, 0xffff8000
	s_and_saveexec_b64 s[16:17], vcc
	s_cbranch_execz .LBB775_997
; %bb.994:                              ;   in Loop: Header=BB775_794 Depth=1
	v_and_b32_e32 v14, 0x7f, v8
	v_cmp_ne_u32_e32 vcc, s23, v14
	v_mov_b32_e32 v12, 0x7f80
	s_and_saveexec_b64 s[18:19], vcc
	s_cbranch_execz .LBB775_996
; %bb.995:                              ;   in Loop: Header=BB775_794 Depth=1
	v_and_b32_e32 v12, 7, v8
	v_ffbh_u32_e32 v16, v12
	v_min_u32_e32 v19, 32, v16
	v_subrev_u32_e32 v16, 28, v19
	v_lshlrev_b64 v[16:17], v16, v[8:9]
	v_lshrrev_b32_e32 v18, 3, v14
	v_sub_u32_e32 v8, 29, v19
	v_and_b32_e32 v16, 7, v16
	v_cmp_gt_u32_e32 vcc, 8, v14
	v_cndmask_b32_e32 v8, v18, v8, vcc
	v_cndmask_b32_e32 v12, v12, v16, vcc
	v_lshlrev_b32_e32 v14, 16, v6
	v_lshlrev_b32_e32 v12, 20, v12
	v_and_b32_e32 v14, 0x80000000, v14
	v_lshl_add_u32 v8, v8, 23, v10
	v_or3_b32 v8, v14, v8, v12
	v_lshrrev_b32_e32 v12, 16, v8
.LBB775_996:                            ;   in Loop: Header=BB775_794 Depth=1
	s_or_b64 exec, exec, s[18:19]
.LBB775_997:                            ;   in Loop: Header=BB775_794 Depth=1
	s_or_b64 exec, exec, s[16:17]
.LBB775_998:                            ;   in Loop: Header=BB775_794 Depth=1
	s_or_b64 exec, exec, s[14:15]
	v_lshrrev_b32_e32 v8, 16, v6
	v_cmp_ne_u16_sdwa s[16:17], v8, v9 src0_sel:BYTE_0 src1_sel:DWORD
	s_and_saveexec_b64 s[14:15], s[16:17]
	s_cbranch_execz .LBB775_1004
; %bb.999:                              ;   in Loop: Header=BB775_794 Depth=1
	v_cmp_ne_u16_sdwa s[18:19], v8, s21 src0_sel:BYTE_0 src1_sel:DWORD
	v_mov_b32_e32 v15, 0xffff8000
	s_and_saveexec_b64 s[16:17], s[18:19]
	s_cbranch_execz .LBB775_1003
; %bb.1000:                             ;   in Loop: Header=BB775_794 Depth=1
	v_bfe_u32 v14, v6, 16, 7
	v_cmp_ne_u32_e32 vcc, s23, v14
	v_mov_b32_e32 v15, 0x7f80
	s_and_saveexec_b64 s[18:19], vcc
	s_cbranch_execz .LBB775_1002
; %bb.1001:                             ;   in Loop: Header=BB775_794 Depth=1
	v_and_b32_e32 v15, 7, v8
	v_ffbh_u32_e32 v16, v15
	v_min_u32_e32 v19, 32, v16
	v_subrev_u32_e32 v16, 28, v19
	v_lshlrev_b64 v[16:17], v16, v[8:9]
	v_lshrrev_b32_e32 v18, 3, v14
	v_sub_u32_e32 v17, 29, v19
	v_and_b32_e32 v16, 7, v16
	v_cmp_gt_u32_e32 vcc, 8, v14
	v_cndmask_b32_e32 v14, v18, v17, vcc
	v_cndmask_b32_e32 v15, v15, v16, vcc
	v_lshlrev_b32_e32 v8, 24, v8
	v_lshlrev_b32_e32 v15, 20, v15
	v_and_b32_e32 v8, 0x80000000, v8
	v_lshl_add_u32 v14, v14, 23, v10
	v_or3_b32 v8, v8, v14, v15
	v_lshrrev_b32_e32 v15, 16, v8
.LBB775_1002:                           ;   in Loop: Header=BB775_794 Depth=1
	s_or_b64 exec, exec, s[18:19]
.LBB775_1003:                           ;   in Loop: Header=BB775_794 Depth=1
	s_or_b64 exec, exec, s[16:17]
.LBB775_1004:                           ;   in Loop: Header=BB775_794 Depth=1
	s_or_b64 exec, exec, s[14:15]
	v_cmp_lt_u32_e32 vcc, s25, v6
	v_mov_b32_e32 v16, 0
	v_mov_b32_e32 v17, 0
	s_and_saveexec_b64 s[14:15], vcc
	s_cbranch_execz .LBB775_1010
; %bb.1005:                             ;   in Loop: Header=BB775_794 Depth=1
	v_lshrrev_b32_e32 v8, 24, v6
	v_cmp_ne_u32_e32 vcc, s21, v8
	v_mov_b32_e32 v17, 0xffff8000
	s_and_saveexec_b64 s[16:17], vcc
	s_cbranch_execz .LBB775_1009
; %bb.1006:                             ;   in Loop: Header=BB775_794 Depth=1
	v_bfe_u32 v6, v6, 24, 7
	v_cmp_ne_u32_e32 vcc, s23, v6
	v_mov_b32_e32 v17, 0x7f80
	s_and_saveexec_b64 s[18:19], vcc
	s_cbranch_execz .LBB775_1008
; %bb.1007:                             ;   in Loop: Header=BB775_794 Depth=1
	v_and_b32_e32 v14, 7, v8
	v_ffbh_u32_e32 v18, v14
	v_min_u32_e32 v20, 32, v18
	v_subrev_u32_e32 v18, 28, v20
	v_lshlrev_b64 v[18:19], v18, v[8:9]
	v_lshrrev_b32_e32 v17, 3, v6
	v_sub_u32_e32 v19, 29, v20
	v_and_b32_e32 v18, 7, v18
	v_cmp_gt_u32_e32 vcc, 8, v6
	v_cndmask_b32_e32 v6, v17, v19, vcc
	v_cndmask_b32_e32 v14, v14, v18, vcc
	v_lshlrev_b32_e32 v8, 24, v8
	v_lshlrev_b32_e32 v14, 20, v14
	v_and_b32_e32 v8, 0x80000000, v8
	v_lshl_add_u32 v6, v6, 23, v10
	v_or3_b32 v6, v8, v6, v14
	v_lshrrev_b32_e32 v17, 16, v6
.LBB775_1008:                           ;   in Loop: Header=BB775_794 Depth=1
	s_or_b64 exec, exec, s[18:19]
.LBB775_1009:                           ;   in Loop: Header=BB775_794 Depth=1
	s_or_b64 exec, exec, s[16:17]
.LBB775_1010:                           ;   in Loop: Header=BB775_794 Depth=1
	s_or_b64 exec, exec, s[14:15]
	s_waitcnt vmcnt(0)
	v_cmp_ne_u16_sdwa s[16:17], v4, v9 src0_sel:BYTE_0 src1_sel:DWORD
	s_and_saveexec_b64 s[14:15], s[16:17]
	s_cbranch_execz .LBB775_1016
; %bb.1011:                             ;   in Loop: Header=BB775_794 Depth=1
	v_cmp_ne_u16_sdwa s[18:19], v4, s21 src0_sel:BYTE_0 src1_sel:DWORD
	v_mov_b32_e32 v16, 0xffff8000
	s_and_saveexec_b64 s[16:17], s[18:19]
	s_cbranch_execz .LBB775_1015
; %bb.1012:                             ;   in Loop: Header=BB775_794 Depth=1
	v_and_b32_e32 v6, 0x7f, v4
	v_cmp_ne_u32_e32 vcc, s23, v6
	v_mov_b32_e32 v16, 0x7f80
	s_and_saveexec_b64 s[18:19], vcc
	s_cbranch_execz .LBB775_1014
; %bb.1013:                             ;   in Loop: Header=BB775_794 Depth=1
	v_and_b32_e32 v8, 7, v4
	v_ffbh_u32_e32 v16, v8
	v_min_u32_e32 v16, 32, v16
	v_subrev_u32_e32 v18, 28, v16
	v_lshlrev_b64 v[18:19], v18, v[4:5]
	v_lshrrev_b32_e32 v14, 3, v6
	v_sub_u32_e32 v16, 29, v16
	v_and_b32_e32 v18, 7, v18
	v_cmp_gt_u32_e32 vcc, 8, v6
	v_cndmask_b32_e32 v6, v14, v16, vcc
	v_cndmask_b32_e32 v8, v8, v18, vcc
	v_lshlrev_b32_e32 v14, 24, v4
	v_lshlrev_b32_e32 v8, 20, v8
	v_and_b32_e32 v14, 0x80000000, v14
	v_lshl_add_u32 v6, v6, 23, v10
	v_or3_b32 v6, v14, v6, v8
	v_lshrrev_b32_e32 v16, 16, v6
.LBB775_1014:                           ;   in Loop: Header=BB775_794 Depth=1
	s_or_b64 exec, exec, s[18:19]
.LBB775_1015:                           ;   in Loop: Header=BB775_794 Depth=1
	s_or_b64 exec, exec, s[16:17]
.LBB775_1016:                           ;   in Loop: Header=BB775_794 Depth=1
	s_or_b64 exec, exec, s[14:15]
	v_lshrrev_b16_e32 v6, 8, v4
	v_cmp_ne_u16_e32 vcc, 0, v6
	v_mov_b32_e32 v18, 0
	v_mov_b32_e32 v8, 0
	s_and_saveexec_b64 s[14:15], vcc
	s_cbranch_execz .LBB775_1022
; %bb.1017:                             ;   in Loop: Header=BB775_794 Depth=1
	v_cmp_ne_u16_e32 vcc, s21, v6
	v_mov_b32_e32 v8, 0xffff8000
	s_and_saveexec_b64 s[16:17], vcc
	s_cbranch_execz .LBB775_1021
; %bb.1018:                             ;   in Loop: Header=BB775_794 Depth=1
	v_and_b32_e32 v14, 0x7f, v6
	v_cmp_ne_u32_e32 vcc, s23, v14
	v_mov_b32_e32 v8, 0x7f80
	s_and_saveexec_b64 s[18:19], vcc
	s_cbranch_execz .LBB775_1020
; %bb.1019:                             ;   in Loop: Header=BB775_794 Depth=1
	v_and_b32_e32 v8, 7, v6
	v_ffbh_u32_e32 v20, v8
	v_min_u32_e32 v22, 32, v20
	v_subrev_u32_e32 v20, 28, v22
	v_lshlrev_b64 v[20:21], v20, v[6:7]
	v_lshrrev_b32_e32 v19, 3, v14
	v_sub_u32_e32 v6, 29, v22
	v_and_b32_e32 v20, 7, v20
	v_cmp_gt_u32_e32 vcc, 8, v14
	v_cndmask_b32_e32 v6, v19, v6, vcc
	v_cndmask_b32_e32 v8, v8, v20, vcc
	v_lshlrev_b32_e32 v14, 16, v4
	v_lshlrev_b32_e32 v8, 20, v8
	v_and_b32_e32 v14, 0x80000000, v14
	v_lshl_add_u32 v6, v6, 23, v10
	v_or3_b32 v6, v14, v6, v8
	v_lshrrev_b32_e32 v8, 16, v6
.LBB775_1020:                           ;   in Loop: Header=BB775_794 Depth=1
	s_or_b64 exec, exec, s[18:19]
.LBB775_1021:                           ;   in Loop: Header=BB775_794 Depth=1
	s_or_b64 exec, exec, s[16:17]
.LBB775_1022:                           ;   in Loop: Header=BB775_794 Depth=1
	s_or_b64 exec, exec, s[14:15]
	v_lshrrev_b32_e32 v6, 16, v4
	v_cmp_ne_u16_sdwa s[16:17], v6, v9 src0_sel:BYTE_0 src1_sel:DWORD
	s_and_saveexec_b64 s[14:15], s[16:17]
	s_cbranch_execz .LBB775_1028
; %bb.1023:                             ;   in Loop: Header=BB775_794 Depth=1
	v_cmp_ne_u16_sdwa s[18:19], v6, s21 src0_sel:BYTE_0 src1_sel:DWORD
	v_mov_b32_e32 v18, 0xffff8000
	s_and_saveexec_b64 s[16:17], s[18:19]
	s_cbranch_execz .LBB775_1027
; %bb.1024:                             ;   in Loop: Header=BB775_794 Depth=1
	v_bfe_u32 v14, v4, 16, 7
	v_cmp_ne_u32_e32 vcc, s23, v14
	v_mov_b32_e32 v18, 0x7f80
	s_and_saveexec_b64 s[18:19], vcc
	s_cbranch_execz .LBB775_1026
; %bb.1025:                             ;   in Loop: Header=BB775_794 Depth=1
	v_and_b32_e32 v20, 7, v6
	v_ffbh_u32_e32 v18, v20
	v_min_u32_e32 v22, 32, v18
	v_subrev_u32_e32 v18, 28, v22
	v_lshlrev_b64 v[18:19], v18, v[6:7]
	v_lshrrev_b32_e32 v21, 3, v14
	v_sub_u32_e32 v19, 29, v22
	v_and_b32_e32 v18, 7, v18
	v_cmp_gt_u32_e32 vcc, 8, v14
	v_cndmask_b32_e32 v14, v21, v19, vcc
	v_cndmask_b32_e32 v18, v20, v18, vcc
	v_lshlrev_b32_e32 v6, 24, v6
	v_lshlrev_b32_e32 v18, 20, v18
	v_and_b32_e32 v6, 0x80000000, v6
	v_lshl_add_u32 v14, v14, 23, v10
	v_or3_b32 v6, v6, v14, v18
	v_lshrrev_b32_e32 v18, 16, v6
.LBB775_1026:                           ;   in Loop: Header=BB775_794 Depth=1
	s_or_b64 exec, exec, s[18:19]
.LBB775_1027:                           ;   in Loop: Header=BB775_794 Depth=1
	s_or_b64 exec, exec, s[16:17]
.LBB775_1028:                           ;   in Loop: Header=BB775_794 Depth=1
	s_or_b64 exec, exec, s[14:15]
	v_cmp_lt_u32_e32 vcc, s25, v4
	v_mov_b32_e32 v14, 0
	v_mov_b32_e32 v19, 0
	s_and_saveexec_b64 s[14:15], vcc
	s_cbranch_execz .LBB775_1034
; %bb.1029:                             ;   in Loop: Header=BB775_794 Depth=1
	v_lshrrev_b32_e32 v6, 24, v4
	v_cmp_ne_u32_e32 vcc, s21, v6
	v_mov_b32_e32 v19, 0xffff8000
	s_and_saveexec_b64 s[16:17], vcc
	s_cbranch_execz .LBB775_1033
; %bb.1030:                             ;   in Loop: Header=BB775_794 Depth=1
	v_bfe_u32 v4, v4, 24, 7
	v_cmp_ne_u32_e32 vcc, s23, v4
	v_mov_b32_e32 v19, 0x7f80
	s_and_saveexec_b64 s[18:19], vcc
	s_cbranch_execz .LBB775_1032
; %bb.1031:                             ;   in Loop: Header=BB775_794 Depth=1
	v_and_b32_e32 v19, 7, v6
	v_ffbh_u32_e32 v20, v19
	v_min_u32_e32 v23, 32, v20
	v_subrev_u32_e32 v20, 28, v23
	v_lshlrev_b64 v[20:21], v20, v[6:7]
	v_lshrrev_b32_e32 v22, 3, v4
	v_sub_u32_e32 v21, 29, v23
	v_and_b32_e32 v20, 7, v20
	v_cmp_gt_u32_e32 vcc, 8, v4
	v_cndmask_b32_e32 v4, v22, v21, vcc
	v_cndmask_b32_e32 v19, v19, v20, vcc
	v_lshlrev_b32_e32 v6, 24, v6
	v_lshlrev_b32_e32 v19, 20, v19
	v_and_b32_e32 v6, 0x80000000, v6
	v_lshl_add_u32 v4, v4, 23, v10
	v_or3_b32 v4, v6, v4, v19
	v_lshrrev_b32_e32 v19, 16, v4
.LBB775_1032:                           ;   in Loop: Header=BB775_794 Depth=1
	s_or_b64 exec, exec, s[18:19]
.LBB775_1033:                           ;   in Loop: Header=BB775_794 Depth=1
	s_or_b64 exec, exec, s[16:17]
.LBB775_1034:                           ;   in Loop: Header=BB775_794 Depth=1
	s_or_b64 exec, exec, s[14:15]
	buffer_load_dword v6, v11, s[0:3], 0 offen offset:40
	buffer_load_dword v4, v11, s[0:3], 0 offen offset:44
	v_perm_b32 v21, v17, v15, s26
	v_perm_b32 v20, v12, v13, s26
	;; [unrolled: 1-line block ×4, first 2 shown]
	v_mfma_f32_4x4x4bf16_1k a[0:3], v[2:3], v[20:21], a[0:3] cbsz:4 abid:8
	s_waitcnt vmcnt(1)
	v_cmp_ne_u16_sdwa s[16:17], v6, v9 src0_sel:BYTE_0 src1_sel:DWORD
	v_mfma_f32_4x4x4bf16_1k a[0:3], v[2:3], v[12:13], a[0:3] cbsz:4 abid:9
	s_and_saveexec_b64 s[14:15], s[16:17]
	s_cbranch_execz .LBB775_1040
; %bb.1035:                             ;   in Loop: Header=BB775_794 Depth=1
	v_cmp_ne_u16_sdwa s[18:19], v6, s21 src0_sel:BYTE_0 src1_sel:DWORD
	v_mov_b32_e32 v14, 0xffff8000
	s_and_saveexec_b64 s[16:17], s[18:19]
	s_cbranch_execz .LBB775_1039
; %bb.1036:                             ;   in Loop: Header=BB775_794 Depth=1
	v_and_b32_e32 v8, 0x7f, v6
	v_cmp_ne_u32_e32 vcc, s23, v8
	v_mov_b32_e32 v14, 0x7f80
	s_and_saveexec_b64 s[18:19], vcc
	s_cbranch_execz .LBB775_1038
; %bb.1037:                             ;   in Loop: Header=BB775_794 Depth=1
	v_and_b32_e32 v14, 7, v6
	v_ffbh_u32_e32 v12, v14
	v_min_u32_e32 v16, 32, v12
	v_subrev_u32_e32 v12, 28, v16
	v_lshlrev_b64 v[12:13], v12, v[6:7]
	v_lshrrev_b32_e32 v15, 3, v8
	v_sub_u32_e32 v13, 29, v16
	v_and_b32_e32 v12, 7, v12
	v_cmp_gt_u32_e32 vcc, 8, v8
	v_cndmask_b32_e32 v8, v15, v13, vcc
	v_cndmask_b32_e32 v12, v14, v12, vcc
	v_lshlrev_b32_e32 v13, 24, v6
	v_lshlrev_b32_e32 v12, 20, v12
	v_and_b32_e32 v13, 0x80000000, v13
	v_lshl_add_u32 v8, v8, 23, v10
	v_or3_b32 v8, v13, v8, v12
	v_lshrrev_b32_e32 v14, 16, v8
.LBB775_1038:                           ;   in Loop: Header=BB775_794 Depth=1
	s_or_b64 exec, exec, s[18:19]
.LBB775_1039:                           ;   in Loop: Header=BB775_794 Depth=1
	s_or_b64 exec, exec, s[16:17]
.LBB775_1040:                           ;   in Loop: Header=BB775_794 Depth=1
	s_or_b64 exec, exec, s[14:15]
	v_lshrrev_b16_e32 v8, 8, v6
	v_cmp_ne_u16_e32 vcc, 0, v8
	v_mov_b32_e32 v15, 0
	v_mov_b32_e32 v13, 0
	s_and_saveexec_b64 s[14:15], vcc
	s_cbranch_execz .LBB775_1046
; %bb.1041:                             ;   in Loop: Header=BB775_794 Depth=1
	v_cmp_ne_u16_e32 vcc, s21, v8
	v_mov_b32_e32 v13, 0xffff8000
	s_and_saveexec_b64 s[16:17], vcc
	s_cbranch_execz .LBB775_1045
; %bb.1042:                             ;   in Loop: Header=BB775_794 Depth=1
	v_and_b32_e32 v12, 0x7f, v8
	v_cmp_ne_u32_e32 vcc, s23, v12
	v_mov_b32_e32 v13, 0x7f80
	s_and_saveexec_b64 s[18:19], vcc
	s_cbranch_execz .LBB775_1044
; %bb.1043:                             ;   in Loop: Header=BB775_794 Depth=1
	v_and_b32_e32 v13, 7, v8
	v_ffbh_u32_e32 v16, v13
	v_min_u32_e32 v19, 32, v16
	v_subrev_u32_e32 v16, 28, v19
	v_lshlrev_b64 v[16:17], v16, v[8:9]
	v_lshrrev_b32_e32 v18, 3, v12
	v_sub_u32_e32 v8, 29, v19
	v_and_b32_e32 v16, 7, v16
	v_cmp_gt_u32_e32 vcc, 8, v12
	v_cndmask_b32_e32 v8, v18, v8, vcc
	v_cndmask_b32_e32 v12, v13, v16, vcc
	v_lshlrev_b32_e32 v13, 16, v6
	v_lshlrev_b32_e32 v12, 20, v12
	v_and_b32_e32 v13, 0x80000000, v13
	v_lshl_add_u32 v8, v8, 23, v10
	v_or3_b32 v8, v13, v8, v12
	v_lshrrev_b32_e32 v13, 16, v8
.LBB775_1044:                           ;   in Loop: Header=BB775_794 Depth=1
	s_or_b64 exec, exec, s[18:19]
.LBB775_1045:                           ;   in Loop: Header=BB775_794 Depth=1
	s_or_b64 exec, exec, s[16:17]
.LBB775_1046:                           ;   in Loop: Header=BB775_794 Depth=1
	s_or_b64 exec, exec, s[14:15]
	v_lshrrev_b32_e32 v8, 16, v6
	v_cmp_ne_u16_sdwa s[16:17], v8, v9 src0_sel:BYTE_0 src1_sel:DWORD
	s_and_saveexec_b64 s[14:15], s[16:17]
	s_cbranch_execz .LBB775_1052
; %bb.1047:                             ;   in Loop: Header=BB775_794 Depth=1
	v_cmp_ne_u16_sdwa s[18:19], v8, s21 src0_sel:BYTE_0 src1_sel:DWORD
	v_mov_b32_e32 v15, 0xffff8000
	s_and_saveexec_b64 s[16:17], s[18:19]
	s_cbranch_execz .LBB775_1051
; %bb.1048:                             ;   in Loop: Header=BB775_794 Depth=1
	v_bfe_u32 v12, v6, 16, 7
	v_cmp_ne_u32_e32 vcc, s23, v12
	v_mov_b32_e32 v15, 0x7f80
	s_and_saveexec_b64 s[18:19], vcc
	s_cbranch_execz .LBB775_1050
; %bb.1049:                             ;   in Loop: Header=BB775_794 Depth=1
	v_and_b32_e32 v15, 7, v8
	v_ffbh_u32_e32 v16, v15
	v_min_u32_e32 v19, 32, v16
	v_subrev_u32_e32 v16, 28, v19
	v_lshlrev_b64 v[16:17], v16, v[8:9]
	v_lshrrev_b32_e32 v18, 3, v12
	v_sub_u32_e32 v17, 29, v19
	v_and_b32_e32 v16, 7, v16
	v_cmp_gt_u32_e32 vcc, 8, v12
	v_cndmask_b32_e32 v12, v18, v17, vcc
	v_cndmask_b32_e32 v15, v15, v16, vcc
	v_lshlrev_b32_e32 v8, 24, v8
	v_lshlrev_b32_e32 v15, 20, v15
	v_and_b32_e32 v8, 0x80000000, v8
	v_lshl_add_u32 v12, v12, 23, v10
	v_or3_b32 v8, v8, v12, v15
	v_lshrrev_b32_e32 v15, 16, v8
.LBB775_1050:                           ;   in Loop: Header=BB775_794 Depth=1
	s_or_b64 exec, exec, s[18:19]
.LBB775_1051:                           ;   in Loop: Header=BB775_794 Depth=1
	s_or_b64 exec, exec, s[16:17]
.LBB775_1052:                           ;   in Loop: Header=BB775_794 Depth=1
	s_or_b64 exec, exec, s[14:15]
	v_cmp_lt_u32_e32 vcc, s25, v6
	v_mov_b32_e32 v16, 0
	v_mov_b32_e32 v17, 0
	s_and_saveexec_b64 s[14:15], vcc
	s_cbranch_execz .LBB775_1058
; %bb.1053:                             ;   in Loop: Header=BB775_794 Depth=1
	v_lshrrev_b32_e32 v8, 24, v6
	v_cmp_ne_u32_e32 vcc, s21, v8
	v_mov_b32_e32 v17, 0xffff8000
	s_and_saveexec_b64 s[16:17], vcc
	s_cbranch_execz .LBB775_1057
; %bb.1054:                             ;   in Loop: Header=BB775_794 Depth=1
	v_bfe_u32 v6, v6, 24, 7
	v_cmp_ne_u32_e32 vcc, s23, v6
	v_mov_b32_e32 v17, 0x7f80
	s_and_saveexec_b64 s[18:19], vcc
	s_cbranch_execz .LBB775_1056
; %bb.1055:                             ;   in Loop: Header=BB775_794 Depth=1
	v_and_b32_e32 v12, 7, v8
	v_ffbh_u32_e32 v18, v12
	v_min_u32_e32 v20, 32, v18
	v_subrev_u32_e32 v18, 28, v20
	v_lshlrev_b64 v[18:19], v18, v[8:9]
	v_lshrrev_b32_e32 v17, 3, v6
	v_sub_u32_e32 v19, 29, v20
	v_and_b32_e32 v18, 7, v18
	v_cmp_gt_u32_e32 vcc, 8, v6
	v_cndmask_b32_e32 v6, v17, v19, vcc
	v_cndmask_b32_e32 v12, v12, v18, vcc
	v_lshlrev_b32_e32 v8, 24, v8
	v_lshlrev_b32_e32 v12, 20, v12
	v_and_b32_e32 v8, 0x80000000, v8
	v_lshl_add_u32 v6, v6, 23, v10
	v_or3_b32 v6, v8, v6, v12
	v_lshrrev_b32_e32 v17, 16, v6
.LBB775_1056:                           ;   in Loop: Header=BB775_794 Depth=1
	s_or_b64 exec, exec, s[18:19]
.LBB775_1057:                           ;   in Loop: Header=BB775_794 Depth=1
	s_or_b64 exec, exec, s[16:17]
.LBB775_1058:                           ;   in Loop: Header=BB775_794 Depth=1
	s_or_b64 exec, exec, s[14:15]
	s_waitcnt vmcnt(0)
	v_cmp_ne_u16_sdwa s[16:17], v4, v9 src0_sel:BYTE_0 src1_sel:DWORD
	s_and_saveexec_b64 s[14:15], s[16:17]
	s_cbranch_execz .LBB775_1064
; %bb.1059:                             ;   in Loop: Header=BB775_794 Depth=1
	v_cmp_ne_u16_sdwa s[18:19], v4, s21 src0_sel:BYTE_0 src1_sel:DWORD
	v_mov_b32_e32 v16, 0xffff8000
	s_and_saveexec_b64 s[16:17], s[18:19]
	s_cbranch_execz .LBB775_1063
; %bb.1060:                             ;   in Loop: Header=BB775_794 Depth=1
	v_and_b32_e32 v6, 0x7f, v4
	v_cmp_ne_u32_e32 vcc, s23, v6
	v_mov_b32_e32 v16, 0x7f80
	s_and_saveexec_b64 s[18:19], vcc
	s_cbranch_execz .LBB775_1062
; %bb.1061:                             ;   in Loop: Header=BB775_794 Depth=1
	v_and_b32_e32 v8, 7, v4
	v_ffbh_u32_e32 v16, v8
	v_min_u32_e32 v16, 32, v16
	v_subrev_u32_e32 v18, 28, v16
	v_lshlrev_b64 v[18:19], v18, v[4:5]
	v_lshrrev_b32_e32 v12, 3, v6
	v_sub_u32_e32 v16, 29, v16
	v_and_b32_e32 v18, 7, v18
	v_cmp_gt_u32_e32 vcc, 8, v6
	v_cndmask_b32_e32 v6, v12, v16, vcc
	v_cndmask_b32_e32 v8, v8, v18, vcc
	v_lshlrev_b32_e32 v12, 24, v4
	v_lshlrev_b32_e32 v8, 20, v8
	v_and_b32_e32 v12, 0x80000000, v12
	v_lshl_add_u32 v6, v6, 23, v10
	v_or3_b32 v6, v12, v6, v8
	v_lshrrev_b32_e32 v16, 16, v6
.LBB775_1062:                           ;   in Loop: Header=BB775_794 Depth=1
	s_or_b64 exec, exec, s[18:19]
.LBB775_1063:                           ;   in Loop: Header=BB775_794 Depth=1
	s_or_b64 exec, exec, s[16:17]
.LBB775_1064:                           ;   in Loop: Header=BB775_794 Depth=1
	s_or_b64 exec, exec, s[14:15]
	v_lshrrev_b16_e32 v6, 8, v4
	v_cmp_ne_u16_e32 vcc, 0, v6
	v_mov_b32_e32 v18, 0
	v_mov_b32_e32 v8, 0
	s_and_saveexec_b64 s[14:15], vcc
	s_cbranch_execz .LBB775_1070
; %bb.1065:                             ;   in Loop: Header=BB775_794 Depth=1
	v_cmp_ne_u16_e32 vcc, s21, v6
	v_mov_b32_e32 v8, 0xffff8000
	s_and_saveexec_b64 s[16:17], vcc
	s_cbranch_execz .LBB775_1069
; %bb.1066:                             ;   in Loop: Header=BB775_794 Depth=1
	v_and_b32_e32 v12, 0x7f, v6
	v_cmp_ne_u32_e32 vcc, s23, v12
	v_mov_b32_e32 v8, 0x7f80
	s_and_saveexec_b64 s[18:19], vcc
	s_cbranch_execz .LBB775_1068
; %bb.1067:                             ;   in Loop: Header=BB775_794 Depth=1
	v_and_b32_e32 v8, 7, v6
	v_ffbh_u32_e32 v20, v8
	v_min_u32_e32 v22, 32, v20
	v_subrev_u32_e32 v20, 28, v22
	v_lshlrev_b64 v[20:21], v20, v[6:7]
	v_lshrrev_b32_e32 v19, 3, v12
	v_sub_u32_e32 v6, 29, v22
	v_and_b32_e32 v20, 7, v20
	v_cmp_gt_u32_e32 vcc, 8, v12
	v_cndmask_b32_e32 v6, v19, v6, vcc
	v_cndmask_b32_e32 v8, v8, v20, vcc
	v_lshlrev_b32_e32 v12, 16, v4
	v_lshlrev_b32_e32 v8, 20, v8
	v_and_b32_e32 v12, 0x80000000, v12
	v_lshl_add_u32 v6, v6, 23, v10
	v_or3_b32 v6, v12, v6, v8
	v_lshrrev_b32_e32 v8, 16, v6
.LBB775_1068:                           ;   in Loop: Header=BB775_794 Depth=1
	s_or_b64 exec, exec, s[18:19]
.LBB775_1069:                           ;   in Loop: Header=BB775_794 Depth=1
	s_or_b64 exec, exec, s[16:17]
.LBB775_1070:                           ;   in Loop: Header=BB775_794 Depth=1
	s_or_b64 exec, exec, s[14:15]
	v_lshrrev_b32_e32 v6, 16, v4
	v_cmp_ne_u16_sdwa s[16:17], v6, v9 src0_sel:BYTE_0 src1_sel:DWORD
	s_and_saveexec_b64 s[14:15], s[16:17]
	s_cbranch_execz .LBB775_1076
; %bb.1071:                             ;   in Loop: Header=BB775_794 Depth=1
	v_cmp_ne_u16_sdwa s[18:19], v6, s21 src0_sel:BYTE_0 src1_sel:DWORD
	v_mov_b32_e32 v18, 0xffff8000
	s_and_saveexec_b64 s[16:17], s[18:19]
	s_cbranch_execz .LBB775_1075
; %bb.1072:                             ;   in Loop: Header=BB775_794 Depth=1
	v_bfe_u32 v12, v4, 16, 7
	v_cmp_ne_u32_e32 vcc, s23, v12
	v_mov_b32_e32 v18, 0x7f80
	s_and_saveexec_b64 s[18:19], vcc
	s_cbranch_execz .LBB775_1074
; %bb.1073:                             ;   in Loop: Header=BB775_794 Depth=1
	v_and_b32_e32 v20, 7, v6
	v_ffbh_u32_e32 v18, v20
	v_min_u32_e32 v22, 32, v18
	v_subrev_u32_e32 v18, 28, v22
	v_lshlrev_b64 v[18:19], v18, v[6:7]
	v_lshrrev_b32_e32 v21, 3, v12
	v_sub_u32_e32 v19, 29, v22
	v_and_b32_e32 v18, 7, v18
	v_cmp_gt_u32_e32 vcc, 8, v12
	v_cndmask_b32_e32 v12, v21, v19, vcc
	v_cndmask_b32_e32 v18, v20, v18, vcc
	v_lshlrev_b32_e32 v6, 24, v6
	v_lshlrev_b32_e32 v18, 20, v18
	v_and_b32_e32 v6, 0x80000000, v6
	v_lshl_add_u32 v12, v12, 23, v10
	v_or3_b32 v6, v6, v12, v18
	v_lshrrev_b32_e32 v18, 16, v6
.LBB775_1074:                           ;   in Loop: Header=BB775_794 Depth=1
	s_or_b64 exec, exec, s[18:19]
.LBB775_1075:                           ;   in Loop: Header=BB775_794 Depth=1
	s_or_b64 exec, exec, s[16:17]
.LBB775_1076:                           ;   in Loop: Header=BB775_794 Depth=1
	s_or_b64 exec, exec, s[14:15]
	v_cmp_lt_u32_e32 vcc, s25, v4
	v_mov_b32_e32 v12, 0
	v_mov_b32_e32 v19, 0
	s_and_saveexec_b64 s[14:15], vcc
	s_cbranch_execz .LBB775_1082
; %bb.1077:                             ;   in Loop: Header=BB775_794 Depth=1
	v_lshrrev_b32_e32 v6, 24, v4
	v_cmp_ne_u32_e32 vcc, s21, v6
	v_mov_b32_e32 v19, 0xffff8000
	s_and_saveexec_b64 s[16:17], vcc
	s_cbranch_execz .LBB775_1081
; %bb.1078:                             ;   in Loop: Header=BB775_794 Depth=1
	v_bfe_u32 v4, v4, 24, 7
	v_cmp_ne_u32_e32 vcc, s23, v4
	v_mov_b32_e32 v19, 0x7f80
	s_and_saveexec_b64 s[18:19], vcc
	s_cbranch_execz .LBB775_1080
; %bb.1079:                             ;   in Loop: Header=BB775_794 Depth=1
	v_and_b32_e32 v19, 7, v6
	v_ffbh_u32_e32 v20, v19
	v_min_u32_e32 v23, 32, v20
	v_subrev_u32_e32 v20, 28, v23
	v_lshlrev_b64 v[20:21], v20, v[6:7]
	v_lshrrev_b32_e32 v22, 3, v4
	v_sub_u32_e32 v21, 29, v23
	v_and_b32_e32 v20, 7, v20
	v_cmp_gt_u32_e32 vcc, 8, v4
	v_cndmask_b32_e32 v4, v22, v21, vcc
	v_cndmask_b32_e32 v19, v19, v20, vcc
	v_lshlrev_b32_e32 v6, 24, v6
	v_lshlrev_b32_e32 v19, 20, v19
	v_and_b32_e32 v6, 0x80000000, v6
	v_lshl_add_u32 v4, v4, 23, v10
	v_or3_b32 v4, v6, v4, v19
	v_lshrrev_b32_e32 v19, 16, v4
.LBB775_1080:                           ;   in Loop: Header=BB775_794 Depth=1
	s_or_b64 exec, exec, s[18:19]
.LBB775_1081:                           ;   in Loop: Header=BB775_794 Depth=1
	s_or_b64 exec, exec, s[16:17]
.LBB775_1082:                           ;   in Loop: Header=BB775_794 Depth=1
	s_or_b64 exec, exec, s[14:15]
	buffer_load_dword v6, v11, s[0:3], 0 offen offset:48
	buffer_load_dword v4, v11, s[0:3], 0 offen offset:52
	v_perm_b32 v15, v17, v15, s26
	v_perm_b32 v14, v13, v14, s26
	;; [unrolled: 1-line block ×4, first 2 shown]
	v_mfma_f32_4x4x4bf16_1k a[0:3], v[2:3], v[14:15], a[0:3] cbsz:4 abid:10
	s_waitcnt vmcnt(1)
	v_cmp_ne_u16_sdwa s[16:17], v6, v9 src0_sel:BYTE_0 src1_sel:DWORD
	v_mfma_f32_4x4x4bf16_1k a[0:3], v[2:3], v[16:17], a[0:3] cbsz:4 abid:11
	s_and_saveexec_b64 s[14:15], s[16:17]
	s_cbranch_execz .LBB775_1088
; %bb.1083:                             ;   in Loop: Header=BB775_794 Depth=1
	v_cmp_ne_u16_sdwa s[18:19], v6, s21 src0_sel:BYTE_0 src1_sel:DWORD
	v_mov_b32_e32 v12, 0xffff8000
	s_and_saveexec_b64 s[16:17], s[18:19]
	s_cbranch_execz .LBB775_1087
; %bb.1084:                             ;   in Loop: Header=BB775_794 Depth=1
	v_and_b32_e32 v8, 0x7f, v6
	v_cmp_ne_u32_e32 vcc, s23, v8
	v_mov_b32_e32 v12, 0x7f80
	s_and_saveexec_b64 s[18:19], vcc
	s_cbranch_execz .LBB775_1086
; %bb.1085:                             ;   in Loop: Header=BB775_794 Depth=1
	v_and_b32_e32 v14, 7, v6
	v_ffbh_u32_e32 v12, v14
	v_min_u32_e32 v16, 32, v12
	v_subrev_u32_e32 v12, 28, v16
	v_lshlrev_b64 v[12:13], v12, v[6:7]
	v_lshrrev_b32_e32 v15, 3, v8
	v_sub_u32_e32 v13, 29, v16
	v_and_b32_e32 v12, 7, v12
	v_cmp_gt_u32_e32 vcc, 8, v8
	v_cndmask_b32_e32 v8, v15, v13, vcc
	v_cndmask_b32_e32 v12, v14, v12, vcc
	v_lshlrev_b32_e32 v13, 24, v6
	v_lshlrev_b32_e32 v12, 20, v12
	v_and_b32_e32 v13, 0x80000000, v13
	v_lshl_add_u32 v8, v8, 23, v10
	v_or3_b32 v8, v13, v8, v12
	v_lshrrev_b32_e32 v12, 16, v8
.LBB775_1086:                           ;   in Loop: Header=BB775_794 Depth=1
	s_or_b64 exec, exec, s[18:19]
.LBB775_1087:                           ;   in Loop: Header=BB775_794 Depth=1
	s_or_b64 exec, exec, s[16:17]
.LBB775_1088:                           ;   in Loop: Header=BB775_794 Depth=1
	s_or_b64 exec, exec, s[14:15]
	v_lshrrev_b16_e32 v8, 8, v6
	v_cmp_ne_u16_e32 vcc, 0, v8
	v_mov_b32_e32 v15, 0
	v_mov_b32_e32 v14, 0
	s_and_saveexec_b64 s[14:15], vcc
	s_cbranch_execz .LBB775_1094
; %bb.1089:                             ;   in Loop: Header=BB775_794 Depth=1
	v_cmp_ne_u16_e32 vcc, s21, v8
	v_mov_b32_e32 v14, 0xffff8000
	s_and_saveexec_b64 s[16:17], vcc
	s_cbranch_execz .LBB775_1093
; %bb.1090:                             ;   in Loop: Header=BB775_794 Depth=1
	v_and_b32_e32 v13, 0x7f, v8
	v_cmp_ne_u32_e32 vcc, s23, v13
	v_mov_b32_e32 v14, 0x7f80
	s_and_saveexec_b64 s[18:19], vcc
	s_cbranch_execz .LBB775_1092
; %bb.1091:                             ;   in Loop: Header=BB775_794 Depth=1
	v_and_b32_e32 v14, 7, v8
	v_ffbh_u32_e32 v16, v14
	v_min_u32_e32 v19, 32, v16
	v_subrev_u32_e32 v16, 28, v19
	v_lshlrev_b64 v[16:17], v16, v[8:9]
	v_lshrrev_b32_e32 v18, 3, v13
	v_sub_u32_e32 v8, 29, v19
	v_and_b32_e32 v16, 7, v16
	v_cmp_gt_u32_e32 vcc, 8, v13
	v_cndmask_b32_e32 v8, v18, v8, vcc
	v_cndmask_b32_e32 v13, v14, v16, vcc
	v_lshlrev_b32_e32 v14, 16, v6
	v_lshlrev_b32_e32 v13, 20, v13
	v_and_b32_e32 v14, 0x80000000, v14
	v_lshl_add_u32 v8, v8, 23, v10
	v_or3_b32 v8, v14, v8, v13
	v_lshrrev_b32_e32 v14, 16, v8
.LBB775_1092:                           ;   in Loop: Header=BB775_794 Depth=1
	s_or_b64 exec, exec, s[18:19]
.LBB775_1093:                           ;   in Loop: Header=BB775_794 Depth=1
	s_or_b64 exec, exec, s[16:17]
.LBB775_1094:                           ;   in Loop: Header=BB775_794 Depth=1
	s_or_b64 exec, exec, s[14:15]
	v_lshrrev_b32_e32 v8, 16, v6
	v_cmp_ne_u16_sdwa s[16:17], v8, v9 src0_sel:BYTE_0 src1_sel:DWORD
	s_and_saveexec_b64 s[14:15], s[16:17]
	s_cbranch_execz .LBB775_1100
; %bb.1095:                             ;   in Loop: Header=BB775_794 Depth=1
	v_cmp_ne_u16_sdwa s[18:19], v8, s21 src0_sel:BYTE_0 src1_sel:DWORD
	v_mov_b32_e32 v15, 0xffff8000
	s_and_saveexec_b64 s[16:17], s[18:19]
	s_cbranch_execz .LBB775_1099
; %bb.1096:                             ;   in Loop: Header=BB775_794 Depth=1
	v_bfe_u32 v13, v6, 16, 7
	v_cmp_ne_u32_e32 vcc, s23, v13
	v_mov_b32_e32 v15, 0x7f80
	s_and_saveexec_b64 s[18:19], vcc
	s_cbranch_execz .LBB775_1098
; %bb.1097:                             ;   in Loop: Header=BB775_794 Depth=1
	v_and_b32_e32 v15, 7, v8
	v_ffbh_u32_e32 v16, v15
	v_min_u32_e32 v19, 32, v16
	v_subrev_u32_e32 v16, 28, v19
	v_lshlrev_b64 v[16:17], v16, v[8:9]
	v_lshrrev_b32_e32 v18, 3, v13
	v_sub_u32_e32 v17, 29, v19
	v_and_b32_e32 v16, 7, v16
	v_cmp_gt_u32_e32 vcc, 8, v13
	v_cndmask_b32_e32 v13, v18, v17, vcc
	v_cndmask_b32_e32 v15, v15, v16, vcc
	v_lshlrev_b32_e32 v8, 24, v8
	v_lshlrev_b32_e32 v15, 20, v15
	v_and_b32_e32 v8, 0x80000000, v8
	v_lshl_add_u32 v13, v13, 23, v10
	v_or3_b32 v8, v8, v13, v15
	v_lshrrev_b32_e32 v15, 16, v8
.LBB775_1098:                           ;   in Loop: Header=BB775_794 Depth=1
	s_or_b64 exec, exec, s[18:19]
.LBB775_1099:                           ;   in Loop: Header=BB775_794 Depth=1
	s_or_b64 exec, exec, s[16:17]
.LBB775_1100:                           ;   in Loop: Header=BB775_794 Depth=1
	s_or_b64 exec, exec, s[14:15]
	v_cmp_lt_u32_e32 vcc, s25, v6
	v_mov_b32_e32 v16, 0
	v_mov_b32_e32 v17, 0
	s_and_saveexec_b64 s[14:15], vcc
	s_cbranch_execz .LBB775_1106
; %bb.1101:                             ;   in Loop: Header=BB775_794 Depth=1
	v_lshrrev_b32_e32 v8, 24, v6
	v_cmp_ne_u32_e32 vcc, s21, v8
	v_mov_b32_e32 v17, 0xffff8000
	s_and_saveexec_b64 s[16:17], vcc
	s_cbranch_execz .LBB775_1105
; %bb.1102:                             ;   in Loop: Header=BB775_794 Depth=1
	v_bfe_u32 v6, v6, 24, 7
	v_cmp_ne_u32_e32 vcc, s23, v6
	v_mov_b32_e32 v17, 0x7f80
	s_and_saveexec_b64 s[18:19], vcc
	s_cbranch_execz .LBB775_1104
; %bb.1103:                             ;   in Loop: Header=BB775_794 Depth=1
	v_and_b32_e32 v13, 7, v8
	v_ffbh_u32_e32 v18, v13
	v_min_u32_e32 v20, 32, v18
	v_subrev_u32_e32 v18, 28, v20
	v_lshlrev_b64 v[18:19], v18, v[8:9]
	v_lshrrev_b32_e32 v17, 3, v6
	v_sub_u32_e32 v19, 29, v20
	v_and_b32_e32 v18, 7, v18
	v_cmp_gt_u32_e32 vcc, 8, v6
	v_cndmask_b32_e32 v6, v17, v19, vcc
	v_cndmask_b32_e32 v13, v13, v18, vcc
	v_lshlrev_b32_e32 v8, 24, v8
	v_lshlrev_b32_e32 v13, 20, v13
	v_and_b32_e32 v8, 0x80000000, v8
	v_lshl_add_u32 v6, v6, 23, v10
	v_or3_b32 v6, v8, v6, v13
	v_lshrrev_b32_e32 v17, 16, v6
.LBB775_1104:                           ;   in Loop: Header=BB775_794 Depth=1
	s_or_b64 exec, exec, s[18:19]
.LBB775_1105:                           ;   in Loop: Header=BB775_794 Depth=1
	s_or_b64 exec, exec, s[16:17]
.LBB775_1106:                           ;   in Loop: Header=BB775_794 Depth=1
	s_or_b64 exec, exec, s[14:15]
	s_waitcnt vmcnt(0)
	v_cmp_ne_u16_sdwa s[16:17], v4, v9 src0_sel:BYTE_0 src1_sel:DWORD
	s_and_saveexec_b64 s[14:15], s[16:17]
	s_cbranch_execz .LBB775_1112
; %bb.1107:                             ;   in Loop: Header=BB775_794 Depth=1
	v_cmp_ne_u16_sdwa s[18:19], v4, s21 src0_sel:BYTE_0 src1_sel:DWORD
	v_mov_b32_e32 v16, 0xffff8000
	s_and_saveexec_b64 s[16:17], s[18:19]
	s_cbranch_execz .LBB775_1111
; %bb.1108:                             ;   in Loop: Header=BB775_794 Depth=1
	v_and_b32_e32 v6, 0x7f, v4
	v_cmp_ne_u32_e32 vcc, s23, v6
	v_mov_b32_e32 v16, 0x7f80
	s_and_saveexec_b64 s[18:19], vcc
	s_cbranch_execz .LBB775_1110
; %bb.1109:                             ;   in Loop: Header=BB775_794 Depth=1
	v_and_b32_e32 v8, 7, v4
	v_ffbh_u32_e32 v16, v8
	v_min_u32_e32 v16, 32, v16
	v_subrev_u32_e32 v18, 28, v16
	v_lshlrev_b64 v[18:19], v18, v[4:5]
	v_lshrrev_b32_e32 v13, 3, v6
	v_sub_u32_e32 v16, 29, v16
	v_and_b32_e32 v18, 7, v18
	v_cmp_gt_u32_e32 vcc, 8, v6
	v_cndmask_b32_e32 v6, v13, v16, vcc
	v_cndmask_b32_e32 v8, v8, v18, vcc
	v_lshlrev_b32_e32 v13, 24, v4
	v_lshlrev_b32_e32 v8, 20, v8
	v_and_b32_e32 v13, 0x80000000, v13
	v_lshl_add_u32 v6, v6, 23, v10
	v_or3_b32 v6, v13, v6, v8
	v_lshrrev_b32_e32 v16, 16, v6
.LBB775_1110:                           ;   in Loop: Header=BB775_794 Depth=1
	s_or_b64 exec, exec, s[18:19]
.LBB775_1111:                           ;   in Loop: Header=BB775_794 Depth=1
	s_or_b64 exec, exec, s[16:17]
.LBB775_1112:                           ;   in Loop: Header=BB775_794 Depth=1
	s_or_b64 exec, exec, s[14:15]
	v_lshrrev_b16_e32 v6, 8, v4
	v_cmp_ne_u16_e32 vcc, 0, v6
	v_mov_b32_e32 v18, 0
	v_mov_b32_e32 v8, 0
	s_and_saveexec_b64 s[14:15], vcc
	s_cbranch_execz .LBB775_1118
; %bb.1113:                             ;   in Loop: Header=BB775_794 Depth=1
	v_cmp_ne_u16_e32 vcc, s21, v6
	v_mov_b32_e32 v8, 0xffff8000
	s_and_saveexec_b64 s[16:17], vcc
	s_cbranch_execz .LBB775_1117
; %bb.1114:                             ;   in Loop: Header=BB775_794 Depth=1
	v_and_b32_e32 v13, 0x7f, v6
	v_cmp_ne_u32_e32 vcc, s23, v13
	v_mov_b32_e32 v8, 0x7f80
	s_and_saveexec_b64 s[18:19], vcc
	s_cbranch_execz .LBB775_1116
; %bb.1115:                             ;   in Loop: Header=BB775_794 Depth=1
	v_and_b32_e32 v8, 7, v6
	v_ffbh_u32_e32 v20, v8
	v_min_u32_e32 v22, 32, v20
	v_subrev_u32_e32 v20, 28, v22
	v_lshlrev_b64 v[20:21], v20, v[6:7]
	v_lshrrev_b32_e32 v19, 3, v13
	v_sub_u32_e32 v6, 29, v22
	v_and_b32_e32 v20, 7, v20
	v_cmp_gt_u32_e32 vcc, 8, v13
	v_cndmask_b32_e32 v6, v19, v6, vcc
	v_cndmask_b32_e32 v8, v8, v20, vcc
	v_lshlrev_b32_e32 v13, 16, v4
	v_lshlrev_b32_e32 v8, 20, v8
	v_and_b32_e32 v13, 0x80000000, v13
	v_lshl_add_u32 v6, v6, 23, v10
	v_or3_b32 v6, v13, v6, v8
	v_lshrrev_b32_e32 v8, 16, v6
.LBB775_1116:                           ;   in Loop: Header=BB775_794 Depth=1
	s_or_b64 exec, exec, s[18:19]
.LBB775_1117:                           ;   in Loop: Header=BB775_794 Depth=1
	s_or_b64 exec, exec, s[16:17]
.LBB775_1118:                           ;   in Loop: Header=BB775_794 Depth=1
	s_or_b64 exec, exec, s[14:15]
	v_lshrrev_b32_e32 v6, 16, v4
	v_cmp_ne_u16_sdwa s[16:17], v6, v9 src0_sel:BYTE_0 src1_sel:DWORD
	s_and_saveexec_b64 s[14:15], s[16:17]
	s_cbranch_execz .LBB775_1124
; %bb.1119:                             ;   in Loop: Header=BB775_794 Depth=1
	v_cmp_ne_u16_sdwa s[18:19], v6, s21 src0_sel:BYTE_0 src1_sel:DWORD
	v_mov_b32_e32 v18, 0xffff8000
	s_and_saveexec_b64 s[16:17], s[18:19]
	s_cbranch_execz .LBB775_1123
; %bb.1120:                             ;   in Loop: Header=BB775_794 Depth=1
	v_bfe_u32 v13, v4, 16, 7
	v_cmp_ne_u32_e32 vcc, s23, v13
	v_mov_b32_e32 v18, 0x7f80
	s_and_saveexec_b64 s[18:19], vcc
	s_cbranch_execz .LBB775_1122
; %bb.1121:                             ;   in Loop: Header=BB775_794 Depth=1
	v_and_b32_e32 v20, 7, v6
	v_ffbh_u32_e32 v18, v20
	v_min_u32_e32 v22, 32, v18
	v_subrev_u32_e32 v18, 28, v22
	v_lshlrev_b64 v[18:19], v18, v[6:7]
	v_lshrrev_b32_e32 v21, 3, v13
	v_sub_u32_e32 v19, 29, v22
	v_and_b32_e32 v18, 7, v18
	v_cmp_gt_u32_e32 vcc, 8, v13
	v_cndmask_b32_e32 v13, v21, v19, vcc
	v_cndmask_b32_e32 v18, v20, v18, vcc
	v_lshlrev_b32_e32 v6, 24, v6
	v_lshlrev_b32_e32 v18, 20, v18
	v_and_b32_e32 v6, 0x80000000, v6
	v_lshl_add_u32 v13, v13, 23, v10
	v_or3_b32 v6, v6, v13, v18
	v_lshrrev_b32_e32 v18, 16, v6
.LBB775_1122:                           ;   in Loop: Header=BB775_794 Depth=1
	s_or_b64 exec, exec, s[18:19]
.LBB775_1123:                           ;   in Loop: Header=BB775_794 Depth=1
	s_or_b64 exec, exec, s[16:17]
.LBB775_1124:                           ;   in Loop: Header=BB775_794 Depth=1
	s_or_b64 exec, exec, s[14:15]
	v_cmp_lt_u32_e32 vcc, s25, v4
	v_mov_b32_e32 v13, 0
	v_mov_b32_e32 v19, 0
	s_and_saveexec_b64 s[14:15], vcc
	s_cbranch_execz .LBB775_1130
; %bb.1125:                             ;   in Loop: Header=BB775_794 Depth=1
	v_lshrrev_b32_e32 v6, 24, v4
	v_cmp_ne_u32_e32 vcc, s21, v6
	v_mov_b32_e32 v19, 0xffff8000
	s_and_saveexec_b64 s[16:17], vcc
	s_cbranch_execz .LBB775_1129
; %bb.1126:                             ;   in Loop: Header=BB775_794 Depth=1
	v_bfe_u32 v4, v4, 24, 7
	v_cmp_ne_u32_e32 vcc, s23, v4
	v_mov_b32_e32 v19, 0x7f80
	s_and_saveexec_b64 s[18:19], vcc
	s_cbranch_execz .LBB775_1128
; %bb.1127:                             ;   in Loop: Header=BB775_794 Depth=1
	v_and_b32_e32 v19, 7, v6
	v_ffbh_u32_e32 v20, v19
	v_min_u32_e32 v23, 32, v20
	v_subrev_u32_e32 v20, 28, v23
	v_lshlrev_b64 v[20:21], v20, v[6:7]
	v_lshrrev_b32_e32 v22, 3, v4
	v_sub_u32_e32 v21, 29, v23
	v_and_b32_e32 v20, 7, v20
	v_cmp_gt_u32_e32 vcc, 8, v4
	v_cndmask_b32_e32 v4, v22, v21, vcc
	v_cndmask_b32_e32 v19, v19, v20, vcc
	v_lshlrev_b32_e32 v6, 24, v6
	v_lshlrev_b32_e32 v19, 20, v19
	v_and_b32_e32 v6, 0x80000000, v6
	v_lshl_add_u32 v4, v4, 23, v10
	v_or3_b32 v4, v6, v4, v19
	v_lshrrev_b32_e32 v19, 16, v4
.LBB775_1128:                           ;   in Loop: Header=BB775_794 Depth=1
	s_or_b64 exec, exec, s[18:19]
.LBB775_1129:                           ;   in Loop: Header=BB775_794 Depth=1
	s_or_b64 exec, exec, s[16:17]
.LBB775_1130:                           ;   in Loop: Header=BB775_794 Depth=1
	s_or_b64 exec, exec, s[14:15]
	buffer_load_dword v6, v11, s[0:3], 0 offen offset:56
	buffer_load_dword v4, v11, s[0:3], 0 offen offset:60
	v_perm_b32 v15, v17, v15, s26
	v_perm_b32 v14, v14, v12, s26
	;; [unrolled: 1-line block ×4, first 2 shown]
	v_mfma_f32_4x4x4bf16_1k a[0:3], v[2:3], v[14:15], a[0:3] cbsz:4 abid:12
	s_waitcnt vmcnt(1)
	v_cmp_ne_u16_sdwa s[16:17], v6, v9 src0_sel:BYTE_0 src1_sel:DWORD
	v_mfma_f32_4x4x4bf16_1k a[0:3], v[2:3], v[16:17], a[0:3] cbsz:4 abid:13
	s_and_saveexec_b64 s[14:15], s[16:17]
	s_cbranch_execz .LBB775_1136
; %bb.1131:                             ;   in Loop: Header=BB775_794 Depth=1
	v_cmp_ne_u16_sdwa s[18:19], v6, s21 src0_sel:BYTE_0 src1_sel:DWORD
	v_mov_b32_e32 v13, 0xffff8000
	s_and_saveexec_b64 s[16:17], s[18:19]
	s_cbranch_execz .LBB775_1135
; %bb.1132:                             ;   in Loop: Header=BB775_794 Depth=1
	v_and_b32_e32 v8, 0x7f, v6
	v_cmp_ne_u32_e32 vcc, s23, v8
	v_mov_b32_e32 v13, 0x7f80
	s_and_saveexec_b64 s[18:19], vcc
	s_cbranch_execz .LBB775_1134
; %bb.1133:                             ;   in Loop: Header=BB775_794 Depth=1
	v_and_b32_e32 v11, 7, v6
	v_ffbh_u32_e32 v12, v11
	v_min_u32_e32 v15, 32, v12
	v_subrev_u32_e32 v12, 28, v15
	v_lshlrev_b64 v[12:13], v12, v[6:7]
	v_lshrrev_b32_e32 v14, 3, v8
	v_sub_u32_e32 v13, 29, v15
	v_and_b32_e32 v12, 7, v12
	v_cmp_gt_u32_e32 vcc, 8, v8
	v_cndmask_b32_e32 v8, v14, v13, vcc
	v_cndmask_b32_e32 v11, v11, v12, vcc
	v_lshlrev_b32_e32 v12, 24, v6
	v_lshlrev_b32_e32 v11, 20, v11
	v_and_b32_e32 v12, 0x80000000, v12
	v_lshl_add_u32 v8, v8, 23, v10
	v_or3_b32 v8, v12, v8, v11
	v_lshrrev_b32_e32 v13, 16, v8
.LBB775_1134:                           ;   in Loop: Header=BB775_794 Depth=1
	s_or_b64 exec, exec, s[18:19]
.LBB775_1135:                           ;   in Loop: Header=BB775_794 Depth=1
	s_or_b64 exec, exec, s[16:17]
.LBB775_1136:                           ;   in Loop: Header=BB775_794 Depth=1
	s_or_b64 exec, exec, s[14:15]
	v_lshrrev_b16_e32 v8, 8, v6
	v_cmp_ne_u16_e32 vcc, 0, v8
	v_mov_b32_e32 v12, 0
	v_mov_b32_e32 v11, 0
	s_and_saveexec_b64 s[14:15], vcc
	s_cbranch_execz .LBB775_1142
; %bb.1137:                             ;   in Loop: Header=BB775_794 Depth=1
	v_cmp_ne_u16_e32 vcc, s21, v8
	v_mov_b32_e32 v11, 0xffff8000
	s_and_saveexec_b64 s[16:17], vcc
	s_cbranch_execz .LBB775_1141
; %bb.1138:                             ;   in Loop: Header=BB775_794 Depth=1
	v_and_b32_e32 v14, 0x7f, v8
	v_cmp_ne_u32_e32 vcc, s23, v14
	v_mov_b32_e32 v11, 0x7f80
	s_and_saveexec_b64 s[18:19], vcc
	s_cbranch_execz .LBB775_1140
; %bb.1139:                             ;   in Loop: Header=BB775_794 Depth=1
	v_and_b32_e32 v11, 7, v8
	v_ffbh_u32_e32 v16, v11
	v_min_u32_e32 v18, 32, v16
	v_subrev_u32_e32 v16, 28, v18
	v_lshlrev_b64 v[16:17], v16, v[8:9]
	v_lshrrev_b32_e32 v15, 3, v14
	v_sub_u32_e32 v8, 29, v18
	v_and_b32_e32 v16, 7, v16
	v_cmp_gt_u32_e32 vcc, 8, v14
	v_cndmask_b32_e32 v8, v15, v8, vcc
	v_cndmask_b32_e32 v11, v11, v16, vcc
	v_lshlrev_b32_e32 v14, 16, v6
	v_lshlrev_b32_e32 v11, 20, v11
	v_and_b32_e32 v14, 0x80000000, v14
	v_lshl_add_u32 v8, v8, 23, v10
	v_or3_b32 v8, v14, v8, v11
	v_lshrrev_b32_e32 v11, 16, v8
.LBB775_1140:                           ;   in Loop: Header=BB775_794 Depth=1
	s_or_b64 exec, exec, s[18:19]
.LBB775_1141:                           ;   in Loop: Header=BB775_794 Depth=1
	s_or_b64 exec, exec, s[16:17]
.LBB775_1142:                           ;   in Loop: Header=BB775_794 Depth=1
	s_or_b64 exec, exec, s[14:15]
	v_lshrrev_b32_e32 v8, 16, v6
	v_cmp_ne_u16_sdwa s[16:17], v8, v9 src0_sel:BYTE_0 src1_sel:DWORD
	s_and_saveexec_b64 s[14:15], s[16:17]
	s_cbranch_execz .LBB775_1148
; %bb.1143:                             ;   in Loop: Header=BB775_794 Depth=1
	v_cmp_ne_u16_sdwa s[18:19], v8, s21 src0_sel:BYTE_0 src1_sel:DWORD
	v_mov_b32_e32 v12, 0xffff8000
	s_and_saveexec_b64 s[16:17], s[18:19]
	s_cbranch_execz .LBB775_1147
; %bb.1144:                             ;   in Loop: Header=BB775_794 Depth=1
	v_bfe_u32 v14, v6, 16, 7
	v_cmp_ne_u32_e32 vcc, s23, v14
	v_mov_b32_e32 v12, 0x7f80
	s_and_saveexec_b64 s[18:19], vcc
	s_cbranch_execz .LBB775_1146
; %bb.1145:                             ;   in Loop: Header=BB775_794 Depth=1
	v_and_b32_e32 v12, 7, v8
	v_ffbh_u32_e32 v16, v12
	v_min_u32_e32 v18, 32, v16
	v_subrev_u32_e32 v16, 28, v18
	v_lshlrev_b64 v[16:17], v16, v[8:9]
	v_lshrrev_b32_e32 v15, 3, v14
	v_sub_u32_e32 v17, 29, v18
	v_and_b32_e32 v16, 7, v16
	v_cmp_gt_u32_e32 vcc, 8, v14
	v_cndmask_b32_e32 v14, v15, v17, vcc
	v_cndmask_b32_e32 v12, v12, v16, vcc
	v_lshlrev_b32_e32 v8, 24, v8
	v_lshlrev_b32_e32 v12, 20, v12
	v_and_b32_e32 v8, 0x80000000, v8
	v_lshl_add_u32 v14, v14, 23, v10
	v_or3_b32 v8, v8, v14, v12
	v_lshrrev_b32_e32 v12, 16, v8
.LBB775_1146:                           ;   in Loop: Header=BB775_794 Depth=1
	s_or_b64 exec, exec, s[18:19]
.LBB775_1147:                           ;   in Loop: Header=BB775_794 Depth=1
	s_or_b64 exec, exec, s[16:17]
.LBB775_1148:                           ;   in Loop: Header=BB775_794 Depth=1
	s_or_b64 exec, exec, s[14:15]
	v_cmp_lt_u32_e32 vcc, s25, v6
	v_mov_b32_e32 v14, 0
	v_mov_b32_e32 v15, 0
	s_and_saveexec_b64 s[14:15], vcc
	s_cbranch_execz .LBB775_1154
; %bb.1149:                             ;   in Loop: Header=BB775_794 Depth=1
	v_lshrrev_b32_e32 v8, 24, v6
	v_cmp_ne_u32_e32 vcc, s21, v8
	v_mov_b32_e32 v15, 0xffff8000
	s_and_saveexec_b64 s[16:17], vcc
	s_cbranch_execz .LBB775_1153
; %bb.1150:                             ;   in Loop: Header=BB775_794 Depth=1
	v_bfe_u32 v6, v6, 24, 7
	v_cmp_ne_u32_e32 vcc, s23, v6
	v_mov_b32_e32 v15, 0x7f80
	s_and_saveexec_b64 s[18:19], vcc
	s_cbranch_execz .LBB775_1152
; %bb.1151:                             ;   in Loop: Header=BB775_794 Depth=1
	v_and_b32_e32 v15, 7, v8
	v_ffbh_u32_e32 v16, v15
	v_min_u32_e32 v19, 32, v16
	v_subrev_u32_e32 v16, 28, v19
	v_lshlrev_b64 v[16:17], v16, v[8:9]
	v_lshrrev_b32_e32 v18, 3, v6
	v_sub_u32_e32 v17, 29, v19
	v_and_b32_e32 v16, 7, v16
	v_cmp_gt_u32_e32 vcc, 8, v6
	v_cndmask_b32_e32 v6, v18, v17, vcc
	v_cndmask_b32_e32 v15, v15, v16, vcc
	v_lshlrev_b32_e32 v8, 24, v8
	v_lshlrev_b32_e32 v15, 20, v15
	v_and_b32_e32 v8, 0x80000000, v8
	v_lshl_add_u32 v6, v6, 23, v10
	v_or3_b32 v6, v8, v6, v15
	v_lshrrev_b32_e32 v15, 16, v6
.LBB775_1152:                           ;   in Loop: Header=BB775_794 Depth=1
	s_or_b64 exec, exec, s[18:19]
.LBB775_1153:                           ;   in Loop: Header=BB775_794 Depth=1
	s_or_b64 exec, exec, s[16:17]
.LBB775_1154:                           ;   in Loop: Header=BB775_794 Depth=1
	s_or_b64 exec, exec, s[14:15]
	s_waitcnt vmcnt(0)
	v_cmp_ne_u16_sdwa s[16:17], v4, v9 src0_sel:BYTE_0 src1_sel:DWORD
	s_and_saveexec_b64 s[14:15], s[16:17]
	s_cbranch_execz .LBB775_1160
; %bb.1155:                             ;   in Loop: Header=BB775_794 Depth=1
	v_cmp_ne_u16_sdwa s[18:19], v4, s21 src0_sel:BYTE_0 src1_sel:DWORD
	v_mov_b32_e32 v14, 0xffff8000
	s_and_saveexec_b64 s[16:17], s[18:19]
	s_cbranch_execz .LBB775_1159
; %bb.1156:                             ;   in Loop: Header=BB775_794 Depth=1
	v_and_b32_e32 v6, 0x7f, v4
	v_cmp_ne_u32_e32 vcc, s23, v6
	v_mov_b32_e32 v14, 0x7f80
	s_and_saveexec_b64 s[18:19], vcc
	s_cbranch_execz .LBB775_1158
; %bb.1157:                             ;   in Loop: Header=BB775_794 Depth=1
	v_and_b32_e32 v8, 7, v4
	v_ffbh_u32_e32 v16, v8
	v_min_u32_e32 v18, 32, v16
	v_subrev_u32_e32 v16, 28, v18
	v_lshlrev_b64 v[16:17], v16, v[4:5]
	v_lshrrev_b32_e32 v14, 3, v6
	v_sub_u32_e32 v17, 29, v18
	v_and_b32_e32 v16, 7, v16
	v_cmp_gt_u32_e32 vcc, 8, v6
	v_cndmask_b32_e32 v6, v14, v17, vcc
	v_cndmask_b32_e32 v8, v8, v16, vcc
	v_lshlrev_b32_e32 v14, 24, v4
	v_lshlrev_b32_e32 v8, 20, v8
	v_and_b32_e32 v14, 0x80000000, v14
	v_lshl_add_u32 v6, v6, 23, v10
	v_or3_b32 v6, v14, v6, v8
	v_lshrrev_b32_e32 v14, 16, v6
.LBB775_1158:                           ;   in Loop: Header=BB775_794 Depth=1
	s_or_b64 exec, exec, s[18:19]
.LBB775_1159:                           ;   in Loop: Header=BB775_794 Depth=1
	s_or_b64 exec, exec, s[16:17]
.LBB775_1160:                           ;   in Loop: Header=BB775_794 Depth=1
	s_or_b64 exec, exec, s[14:15]
	v_lshrrev_b16_e32 v6, 8, v4
	v_cmp_ne_u16_e32 vcc, 0, v6
	v_mov_b32_e32 v16, 0
	v_mov_b32_e32 v8, 0
	s_and_saveexec_b64 s[14:15], vcc
	s_cbranch_execz .LBB775_1166
; %bb.1161:                             ;   in Loop: Header=BB775_794 Depth=1
	v_cmp_ne_u16_e32 vcc, s21, v6
	v_mov_b32_e32 v8, 0xffff8000
	s_and_saveexec_b64 s[16:17], vcc
	s_cbranch_execz .LBB775_1165
; %bb.1162:                             ;   in Loop: Header=BB775_794 Depth=1
	v_and_b32_e32 v17, 0x7f, v6
	v_cmp_ne_u32_e32 vcc, s23, v17
	v_mov_b32_e32 v8, 0x7f80
	s_and_saveexec_b64 s[18:19], vcc
	s_cbranch_execz .LBB775_1164
; %bb.1163:                             ;   in Loop: Header=BB775_794 Depth=1
	v_and_b32_e32 v8, 7, v6
	v_ffbh_u32_e32 v18, v8
	v_min_u32_e32 v21, 32, v18
	v_subrev_u32_e32 v18, 28, v21
	v_lshlrev_b64 v[18:19], v18, v[6:7]
	v_lshrrev_b32_e32 v20, 3, v17
	v_sub_u32_e32 v6, 29, v21
	v_and_b32_e32 v18, 7, v18
	v_cmp_gt_u32_e32 vcc, 8, v17
	v_cndmask_b32_e32 v6, v20, v6, vcc
	v_cndmask_b32_e32 v8, v8, v18, vcc
	v_lshlrev_b32_e32 v17, 16, v4
	v_lshlrev_b32_e32 v8, 20, v8
	v_and_b32_e32 v17, 0x80000000, v17
	v_lshl_add_u32 v6, v6, 23, v10
	v_or3_b32 v6, v17, v6, v8
	v_lshrrev_b32_e32 v8, 16, v6
.LBB775_1164:                           ;   in Loop: Header=BB775_794 Depth=1
	s_or_b64 exec, exec, s[18:19]
.LBB775_1165:                           ;   in Loop: Header=BB775_794 Depth=1
	s_or_b64 exec, exec, s[16:17]
.LBB775_1166:                           ;   in Loop: Header=BB775_794 Depth=1
	s_or_b64 exec, exec, s[14:15]
	v_lshrrev_b32_e32 v6, 16, v4
	v_cmp_ne_u16_sdwa s[16:17], v6, v9 src0_sel:BYTE_0 src1_sel:DWORD
	s_and_saveexec_b64 s[14:15], s[16:17]
	s_cbranch_execz .LBB775_1172
; %bb.1167:                             ;   in Loop: Header=BB775_794 Depth=1
	v_cmp_ne_u16_sdwa s[18:19], v6, s21 src0_sel:BYTE_0 src1_sel:DWORD
	v_mov_b32_e32 v16, 0xffff8000
	s_and_saveexec_b64 s[16:17], s[18:19]
	s_cbranch_execz .LBB775_1171
; %bb.1168:                             ;   in Loop: Header=BB775_794 Depth=1
	v_bfe_u32 v17, v4, 16, 7
	v_cmp_ne_u32_e32 vcc, s23, v17
	v_mov_b32_e32 v16, 0x7f80
	s_and_saveexec_b64 s[18:19], vcc
	s_cbranch_execz .LBB775_1170
; %bb.1169:                             ;   in Loop: Header=BB775_794 Depth=1
	v_and_b32_e32 v16, 7, v6
	v_ffbh_u32_e32 v18, v16
	v_min_u32_e32 v21, 32, v18
	v_subrev_u32_e32 v18, 28, v21
	v_lshlrev_b64 v[18:19], v18, v[6:7]
	v_lshrrev_b32_e32 v20, 3, v17
	v_sub_u32_e32 v19, 29, v21
	v_and_b32_e32 v18, 7, v18
	v_cmp_gt_u32_e32 vcc, 8, v17
	v_cndmask_b32_e32 v17, v20, v19, vcc
	v_cndmask_b32_e32 v16, v16, v18, vcc
	v_lshlrev_b32_e32 v6, 24, v6
	v_lshlrev_b32_e32 v16, 20, v16
	v_and_b32_e32 v6, 0x80000000, v6
	v_lshl_add_u32 v17, v17, 23, v10
	v_or3_b32 v6, v6, v17, v16
	v_lshrrev_b32_e32 v16, 16, v6
.LBB775_1170:                           ;   in Loop: Header=BB775_794 Depth=1
	s_or_b64 exec, exec, s[18:19]
.LBB775_1171:                           ;   in Loop: Header=BB775_794 Depth=1
	s_or_b64 exec, exec, s[16:17]
.LBB775_1172:                           ;   in Loop: Header=BB775_794 Depth=1
	s_or_b64 exec, exec, s[14:15]
	v_cmp_lt_u32_e32 vcc, s25, v4
	v_mov_b32_e32 v17, 0
	s_and_saveexec_b64 s[14:15], vcc
	s_cbranch_execz .LBB775_793
; %bb.1173:                             ;   in Loop: Header=BB775_794 Depth=1
	v_lshrrev_b32_e32 v6, 24, v4
	v_cmp_ne_u32_e32 vcc, s21, v6
	v_mov_b32_e32 v17, 0xffff8000
	s_and_saveexec_b64 s[16:17], vcc
	s_cbranch_execz .LBB775_792
; %bb.1174:                             ;   in Loop: Header=BB775_794 Depth=1
	v_bfe_u32 v4, v4, 24, 7
	v_cmp_ne_u32_e32 vcc, s23, v4
	v_mov_b32_e32 v17, 0x7f80
	s_and_saveexec_b64 s[18:19], vcc
	s_cbranch_execz .LBB775_791
; %bb.1175:                             ;   in Loop: Header=BB775_794 Depth=1
	v_and_b32_e32 v17, 7, v6
	v_ffbh_u32_e32 v18, v17
	v_min_u32_e32 v21, 32, v18
	v_subrev_u32_e32 v18, 28, v21
	v_lshlrev_b64 v[18:19], v18, v[6:7]
	v_lshrrev_b32_e32 v20, 3, v4
	v_sub_u32_e32 v19, 29, v21
	v_and_b32_e32 v18, 7, v18
	v_cmp_gt_u32_e32 vcc, 8, v4
	v_cndmask_b32_e32 v4, v20, v19, vcc
	v_cndmask_b32_e32 v17, v17, v18, vcc
	v_lshlrev_b32_e32 v6, 24, v6
	v_lshlrev_b32_e32 v17, 20, v17
	v_and_b32_e32 v6, 0x80000000, v6
	v_lshl_add_u32 v4, v4, 23, v10
	v_or3_b32 v4, v6, v4, v17
	v_lshrrev_b32_e32 v17, 16, v4
	s_branch .LBB775_791
.LBB775_1176:
	s_or_b64 exec, exec, s[6:7]
	v_cmp_gt_u32_e32 vcc, 64, v0
	s_waitcnt lgkmcnt(0)
	s_barrier
	s_and_saveexec_b64 s[6:7], vcc
	s_cbranch_execz .LBB775_1178
; %bb.1177:
	v_mul_u32_u24_e32 v6, 40, v1
	ds_read2_b64 v[2:5], v6 offset1:1
	ds_read2_b64 v[6:9], v6 offset0:2 offset1:3
	s_mov_b32 s5, 0
	s_lshl_b32 s4, s4, 7
	s_lshl_b64 s[6:7], s[4:5], 1
	s_waitcnt lgkmcnt(1)
	v_and_b32_e32 v3, 0xffff0000, v2
	v_add_f32_e32 v3, 0, v3
	v_and_b32_e32 v5, 0xffff0000, v4
	v_and_b32_e32 v3, 0xffff0000, v3
	v_add_f32_e32 v3, v3, v5
	s_waitcnt lgkmcnt(0)
	v_and_b32_e32 v7, 0xffff0000, v6
	v_and_b32_e32 v3, 0xffff0000, v3
	v_add_f32_e32 v3, v3, v7
	v_mov_b32_e32 v7, 0xa00
	v_mad_u32_u24 v7, v1, 40, v7
	ds_read2_b64 v[10:13], v7 offset1:1
	v_and_b32_e32 v3, 0xffff0000, v3
	v_and_b32_e32 v5, 0xffff0000, v8
	v_add_f32_e32 v7, v3, v5
	v_mov_b32_e32 v3, 0xa10
	v_mad_u32_u24 v1, v1, 40, v3
	ds_read2_b64 v[14:17], v1 offset1:1
	s_waitcnt lgkmcnt(1)
	v_lshlrev_b32_e32 v1, 16, v10
	v_add_f32_e32 v1, 0, v1
	v_and_b32_e32 v3, 0xffff0000, v10
	v_and_b32_e32 v1, 0xffff0000, v1
	v_add_f32_e32 v3, 0, v3
	v_lshlrev_b32_e32 v5, 16, v12
	v_and_b32_e32 v3, 0xffff0000, v3
	v_add_f32_e32 v1, v1, v5
	v_and_b32_e32 v5, 0xffff0000, v12
	v_and_b32_e32 v1, 0xffff0000, v1
	v_add_f32_e32 v3, v3, v5
	s_waitcnt lgkmcnt(0)
	v_lshlrev_b32_e32 v5, 16, v14
	v_and_b32_e32 v3, 0xffff0000, v3
	v_add_f32_e32 v1, v1, v5
	v_and_b32_e32 v5, 0xffff0000, v14
	v_and_b32_e32 v1, 0xffff0000, v1
	v_add_f32_e32 v3, v3, v5
	v_lshlrev_b32_e32 v5, 16, v16
	v_and_b32_e32 v3, 0xffff0000, v3
	v_add_f32_e32 v9, v1, v5
	v_and_b32_e32 v1, 0xffff0000, v16
	v_add_f32_e32 v10, v3, v1
	v_lshlrev_b32_e32 v1, 16, v2
	s_add_u32 s6, s30, s6
	v_add_f32_e32 v1, 0, v1
	s_addc_u32 s7, s31, s7
	s_lshl_b32 s4, s28, 7
	v_and_b32_e32 v1, 0xffff0000, v1
	v_lshlrev_b32_e32 v2, 16, v4
	s_lshl_b64 s[4:5], s[4:5], 1
	v_add_f32_e32 v1, v1, v2
	s_add_u32 s4, s6, s4
	v_and_b32_e32 v1, 0xffff0000, v1
	v_lshlrev_b32_e32 v2, 16, v6
	s_addc_u32 s5, s7, s5
	s_lshl_b32 s6, s33, 7
	v_add_f32_e32 v1, v1, v2
	v_and_b32_e32 v1, 0xffff0000, v1
	v_lshlrev_b32_e32 v2, 16, v8
	s_mul_i32 s7, s6, s24
	v_add_f32_e32 v1, v1, v2
	v_or_b32_e32 v2, s7, v0
	v_mov_b32_e32 v3, 0
	v_lshlrev_b64 v[4:5], 1, v[2:3]
	v_mov_b32_e32 v2, s5
	v_add_co_u32_e32 v4, vcc, s4, v4
	s_add_i32 s7, s7, s6
	v_addc_co_u32_e32 v5, vcc, v2, v5, vcc
	v_or_b32_e32 v2, s7, v0
	global_store_short_d16_hi v[4:5], v1, off
	v_lshlrev_b64 v[0:1], 1, v[2:3]
	v_mov_b32_e32 v2, s5
	v_add_co_u32_e32 v0, vcc, s4, v0
	v_addc_co_u32_e32 v1, vcc, v2, v1, vcc
	global_store_short_d16_hi v[0:1], v7, off
	global_store_short_d16_hi v[4:5], v9, off offset:128
	global_store_short_d16_hi v[0:1], v10, off offset:128
.LBB775_1178:
	s_endpgm
	.section	.rodata,"a",@progbits
	.p2align	6, 0x0
	.amdhsa_kernel _Z38paged_attention_ll4mi_QKV_mfma4_kernelI14__hip_bfloat16hLN4vllm18Fp8KVCacheDataTypeE1ES0_Li16ELi128ELi256ELb0ELi2EEvPKT_PKT0_S8_ifPKiSA_SA_iPKfiiiPfSD_PS3_PT2_iSC_SC_
		.amdhsa_group_segment_fixed_size 5280
		.amdhsa_private_segment_fixed_size 144
		.amdhsa_kernarg_size 400
		.amdhsa_user_sgpr_count 8
		.amdhsa_user_sgpr_private_segment_buffer 1
		.amdhsa_user_sgpr_dispatch_ptr 0
		.amdhsa_user_sgpr_queue_ptr 0
		.amdhsa_user_sgpr_kernarg_segment_ptr 1
		.amdhsa_user_sgpr_dispatch_id 0
		.amdhsa_user_sgpr_flat_scratch_init 1
		.amdhsa_user_sgpr_kernarg_preload_length 0
		.amdhsa_user_sgpr_kernarg_preload_offset 0
		.amdhsa_user_sgpr_private_segment_size 0
		.amdhsa_uses_dynamic_stack 0
		.amdhsa_system_sgpr_private_segment_wavefront_offset 1
		.amdhsa_system_sgpr_workgroup_id_x 1
		.amdhsa_system_sgpr_workgroup_id_y 1
		.amdhsa_system_sgpr_workgroup_id_z 1
		.amdhsa_system_sgpr_workgroup_info 0
		.amdhsa_system_vgpr_workitem_id 0
		.amdhsa_next_free_vgpr 72
		.amdhsa_next_free_sgpr 46
		.amdhsa_accum_offset 68
		.amdhsa_reserve_vcc 1
		.amdhsa_reserve_flat_scratch 0
		.amdhsa_float_round_mode_32 0
		.amdhsa_float_round_mode_16_64 0
		.amdhsa_float_denorm_mode_32 3
		.amdhsa_float_denorm_mode_16_64 3
		.amdhsa_dx10_clamp 1
		.amdhsa_ieee_mode 1
		.amdhsa_fp16_overflow 0
		.amdhsa_tg_split 0
		.amdhsa_exception_fp_ieee_invalid_op 0
		.amdhsa_exception_fp_denorm_src 0
		.amdhsa_exception_fp_ieee_div_zero 0
		.amdhsa_exception_fp_ieee_overflow 0
		.amdhsa_exception_fp_ieee_underflow 0
		.amdhsa_exception_fp_ieee_inexact 0
		.amdhsa_exception_int_div_zero 0
	.end_amdhsa_kernel
	.section	.text._Z38paged_attention_ll4mi_QKV_mfma4_kernelI14__hip_bfloat16hLN4vllm18Fp8KVCacheDataTypeE1ES0_Li16ELi128ELi256ELb0ELi2EEvPKT_PKT0_S8_ifPKiSA_SA_iPKfiiiPfSD_PS3_PT2_iSC_SC_,"axG",@progbits,_Z38paged_attention_ll4mi_QKV_mfma4_kernelI14__hip_bfloat16hLN4vllm18Fp8KVCacheDataTypeE1ES0_Li16ELi128ELi256ELb0ELi2EEvPKT_PKT0_S8_ifPKiSA_SA_iPKfiiiPfSD_PS3_PT2_iSC_SC_,comdat
.Lfunc_end775:
	.size	_Z38paged_attention_ll4mi_QKV_mfma4_kernelI14__hip_bfloat16hLN4vllm18Fp8KVCacheDataTypeE1ES0_Li16ELi128ELi256ELb0ELi2EEvPKT_PKT0_S8_ifPKiSA_SA_iPKfiiiPfSD_PS3_PT2_iSC_SC_, .Lfunc_end775-_Z38paged_attention_ll4mi_QKV_mfma4_kernelI14__hip_bfloat16hLN4vllm18Fp8KVCacheDataTypeE1ES0_Li16ELi128ELi256ELb0ELi2EEvPKT_PKT0_S8_ifPKiSA_SA_iPKfiiiPfSD_PS3_PT2_iSC_SC_
                                        ; -- End function
	.section	.AMDGPU.csdata,"",@progbits
; Kernel info:
; codeLenInByte = 39700
; NumSgprs: 50
; NumVgprs: 66
; NumAgprs: 4
; TotalNumVgprs: 72
; ScratchSize: 144
; MemoryBound: 0
; FloatMode: 240
; IeeeMode: 1
; LDSByteSize: 5280 bytes/workgroup (compile time only)
; SGPRBlocks: 6
; VGPRBlocks: 8
; NumSGPRsForWavesPerEU: 50
; NumVGPRsForWavesPerEU: 72
; AccumOffset: 68
; Occupancy: 7
; WaveLimiterHint : 1
; COMPUTE_PGM_RSRC2:SCRATCH_EN: 1
; COMPUTE_PGM_RSRC2:USER_SGPR: 8
; COMPUTE_PGM_RSRC2:TRAP_HANDLER: 0
; COMPUTE_PGM_RSRC2:TGID_X_EN: 1
; COMPUTE_PGM_RSRC2:TGID_Y_EN: 1
; COMPUTE_PGM_RSRC2:TGID_Z_EN: 1
; COMPUTE_PGM_RSRC2:TIDIG_COMP_CNT: 0
; COMPUTE_PGM_RSRC3_GFX90A:ACCUM_OFFSET: 16
; COMPUTE_PGM_RSRC3_GFX90A:TG_SPLIT: 0
	.section	.text._Z38paged_attention_ll4mi_QKV_mfma4_kernelI14__hip_bfloat16hLN4vllm18Fp8KVCacheDataTypeE1ES0_Li16ELi128ELi256ELb0ELi3EEvPKT_PKT0_S8_ifPKiSA_SA_iPKfiiiPfSD_PS3_PT2_iSC_SC_,"axG",@progbits,_Z38paged_attention_ll4mi_QKV_mfma4_kernelI14__hip_bfloat16hLN4vllm18Fp8KVCacheDataTypeE1ES0_Li16ELi128ELi256ELb0ELi3EEvPKT_PKT0_S8_ifPKiSA_SA_iPKfiiiPfSD_PS3_PT2_iSC_SC_,comdat
	.protected	_Z38paged_attention_ll4mi_QKV_mfma4_kernelI14__hip_bfloat16hLN4vllm18Fp8KVCacheDataTypeE1ES0_Li16ELi128ELi256ELb0ELi3EEvPKT_PKT0_S8_ifPKiSA_SA_iPKfiiiPfSD_PS3_PT2_iSC_SC_ ; -- Begin function _Z38paged_attention_ll4mi_QKV_mfma4_kernelI14__hip_bfloat16hLN4vllm18Fp8KVCacheDataTypeE1ES0_Li16ELi128ELi256ELb0ELi3EEvPKT_PKT0_S8_ifPKiSA_SA_iPKfiiiPfSD_PS3_PT2_iSC_SC_
	.globl	_Z38paged_attention_ll4mi_QKV_mfma4_kernelI14__hip_bfloat16hLN4vllm18Fp8KVCacheDataTypeE1ES0_Li16ELi128ELi256ELb0ELi3EEvPKT_PKT0_S8_ifPKiSA_SA_iPKfiiiPfSD_PS3_PT2_iSC_SC_
	.p2align	8
	.type	_Z38paged_attention_ll4mi_QKV_mfma4_kernelI14__hip_bfloat16hLN4vllm18Fp8KVCacheDataTypeE1ES0_Li16ELi128ELi256ELb0ELi3EEvPKT_PKT0_S8_ifPKiSA_SA_iPKfiiiPfSD_PS3_PT2_iSC_SC_,@function
_Z38paged_attention_ll4mi_QKV_mfma4_kernelI14__hip_bfloat16hLN4vllm18Fp8KVCacheDataTypeE1ES0_Li16ELi128ELi256ELb0ELi3EEvPKT_PKT0_S8_ifPKiSA_SA_iPKfiiiPfSD_PS3_PT2_iSC_SC_: ; @_Z38paged_attention_ll4mi_QKV_mfma4_kernelI14__hip_bfloat16hLN4vllm18Fp8KVCacheDataTypeE1ES0_Li16ELi128ELi256ELb0ELi3EEvPKT_PKT0_S8_ifPKiSA_SA_iPKfiiiPfSD_PS3_PT2_iSC_SC_
; %bb.0:
	s_load_dwordx2 s[12:13], s[4:5], 0x30
	s_add_u32 s0, s0, s11
	s_addc_u32 s1, s1, 0
	s_mov_b32 s34, s9
	s_mov_b64 s[6:7], 0
	s_waitcnt lgkmcnt(0)
	s_cmp_lg_u64 s[12:13], 0
	s_cselect_b64 s[14:15], -1, 0
	s_and_b64 vcc, exec, s[14:15]
	s_cbranch_vccz .LBB776_10
; %bb.1:
	s_add_i32 s16, s8, 1
	s_mov_b32 s17, 0
	s_lshl_b64 s[18:19], s[16:17], 2
	s_add_u32 s18, s12, s18
	s_mov_b32 s9, s17
	s_addc_u32 s19, s13, s19
	s_lshl_b64 s[16:17], s[8:9], 2
	s_add_u32 s16, s12, s16
	s_addc_u32 s17, s13, s17
	s_load_dword s11, s[18:19], 0x0
	s_load_dword s20, s[16:17], 0x0
	s_waitcnt lgkmcnt(0)
	s_sub_i32 s11, s11, s20
	s_cmp_eq_u32 s11, 1
	s_cselect_b64 s[16:17], -1, 0
	s_andn2_b64 vcc, exec, s[6:7]
	s_cbranch_vccnz .LBB776_3
.LBB776_2:
	s_mov_b32 s9, 0
	s_mov_b64 s[16:17], -1
.LBB776_3:
	s_andn2_b64 vcc, exec, s[16:17]
	s_cbranch_vccnz .LBB776_1178
; %bb.4:
	s_load_dword s11, s[4:5], 0x9c
	s_load_dwordx2 s[6:7], s[4:5], 0x28
	s_add_u32 s38, s4, 0x90
	s_addc_u32 s39, s5, 0
	s_lshl_b64 s[24:25], s[8:9], 2
	s_waitcnt lgkmcnt(0)
	s_and_b32 s11, s11, 0xffff
	s_add_u32 s6, s6, s24
	s_addc_u32 s7, s7, s25
	s_load_dword s9, s[6:7], 0x0
	s_mul_i32 s11, s34, s11
	s_waitcnt lgkmcnt(0)
	s_cmp_ge_i32 s11, s9
	s_cbranch_scc1 .LBB776_1178
; %bb.5:
	v_and_b32_e32 v1, 0xc0, v0
	v_add_u32_e32 v7, s11, v1
	v_lshrrev_b32_e32 v42, 6, v0
	v_cmp_le_i32_e64 s[6:7], s9, v7
                                        ; implicit-def: $sgpr27
                                        ; implicit-def: $sgpr26
	s_and_saveexec_b64 s[16:17], s[6:7]
	s_xor_b64 s[16:17], exec, s[16:17]
	s_cbranch_execz .LBB776_7
; %bb.6:
	v_mul_u32_u24_e32 v1, 20, v42
	v_or_b32_e32 v1, 0x1400, v1
	v_mov_b32_e32 v2, 0x1450
	v_mov_b32_e32 v3, 0xff7fffff
	v_mad_u32_u24 v2, v42, 20, v2
	ds_write2_b32 v1, v3, v3 offset1:1
	v_mov_b32_e32 v1, 0
	ds_write2_b32 v2, v1, v1 offset1:1
	v_mov_b32_e32 v2, 0x1408
	s_mov_b32 s26, 0xff7fffff
	s_mov_b32 s27, 0
	v_mad_u32_u24 v2, v42, 20, v2
	v_mov_b32_e32 v4, 0x1458
	v_mad_u32_u24 v4, v42, 20, v4
	ds_write2_b32 v2, v3, v3 offset1:1
	ds_write2_b32 v4, v1, v1 offset1:1
                                        ; implicit-def: $vgpr7
.LBB776_7:
	s_or_saveexec_b64 s[40:41], s[16:17]
	s_load_dwordx2 s[36:37], s[4:5], 0x68
	s_load_dwordx4 s[20:23], s[4:5], 0x58
	s_load_dword s33, s[38:39], 0x4
	s_load_dwordx4 s[16:19], s[4:5], 0x80
	v_and_b32_e32 v1, 63, v0
	v_and_b32_e32 v43, 3, v0
	v_mov_b32_e32 v5, s27
	v_mov_b32_e32 v6, s26
	;; [unrolled: 1-line block ×5, first 2 shown]
	s_xor_b64 exec, exec, s[40:41]
	s_cbranch_execz .LBB776_785
; %bb.8:
	s_add_i32 s29, s9, 15
	s_load_dwordx2 s[26:27], s[4:5], 0x20
	s_load_dword s28, s[4:5], 0x38
	s_ashr_i32 s30, s29, 31
	s_lshr_b32 s30, s30, 28
	v_add_u32_e32 v44, s11, v0
	s_add_i32 s29, s29, s30
	v_ashrrev_i32_e32 v2, 31, v44
	s_ashr_i32 s29, s29, 4
	v_lshrrev_b32_e32 v2, 28, v2
	s_add_i32 s30, s29, -1
	v_add_u32_e32 v2, v44, v2
	s_waitcnt lgkmcnt(0)
	s_mul_i32 s28, s8, s28
	s_mov_b32 s29, 0
	v_ashrrev_i32_e32 v2, 4, v2
	v_mov_b32_e32 v3, s30
	v_cmp_gt_i32_e32 vcc, s9, v44
	s_lshl_b64 s[28:29], s[28:29], 2
	v_cndmask_b32_e32 v2, v3, v2, vcc
	s_add_u32 s26, s26, s28
	v_ashrrev_i32_e32 v3, 31, v2
	s_addc_u32 s27, s27, s29
	v_lshlrev_b64 v[2:3], 2, v[2:3]
	v_mov_b32_e32 v4, s27
	v_add_co_u32_e32 v2, vcc, s26, v2
	v_addc_co_u32_e32 v3, vcc, v4, v3, vcc
	v_ashrrev_i32_e32 v4, 31, v7
	v_lshrrev_b32_e32 v4, 28, v4
	v_add_u32_e32 v4, v7, v4
	v_ashrrev_i32_e32 v8, 4, v4
	v_min_i32_e32 v4, s30, v8
	v_ashrrev_i32_e32 v5, 31, v4
	v_lshlrev_b64 v[4:5], 2, v[4:5]
	v_mov_b32_e32 v6, s27
	v_add_co_u32_e32 v4, vcc, s26, v4
	v_addc_co_u32_e32 v5, vcc, v6, v5, vcc
	v_add_u32_e32 v6, 1, v8
	v_min_i32_e32 v6, s30, v6
	v_ashrrev_i32_e32 v7, 31, v6
	v_lshlrev_b64 v[6:7], 2, v[6:7]
	v_add_co_u32_e32 v12, vcc, s26, v6
	v_add_u32_e32 v6, 2, v8
	v_mov_b32_e32 v9, s27
	v_min_i32_e32 v6, s30, v6
	v_addc_co_u32_e32 v13, vcc, v9, v7, vcc
	v_ashrrev_i32_e32 v7, 31, v6
	v_lshlrev_b64 v[6:7], 2, v[6:7]
	v_add_co_u32_e32 v14, vcc, s26, v6
	v_add_u32_e32 v6, 3, v8
	v_min_i32_e32 v6, s30, v6
	v_addc_co_u32_e32 v15, vcc, v9, v7, vcc
	v_ashrrev_i32_e32 v7, 31, v6
	v_lshlrev_b64 v[6:7], 2, v[6:7]
	v_mov_b32_e32 v8, s27
	v_add_co_u32_e32 v16, vcc, s26, v6
	v_addc_co_u32_e32 v17, vcc, v8, v7, vcc
	global_load_dword v7, v[2:3], off
	global_load_dword v10, v[4:5], off
	;; [unrolled: 1-line block ×5, first 2 shown]
	s_load_dwordx4 s[28:31], s[4:5], 0x8
	s_andn2_b64 vcc, exec, s[14:15]
	s_cbranch_vccnz .LBB776_11
; %bb.9:
	s_add_u32 s12, s12, s24
	s_addc_u32 s13, s13, s25
	s_load_dword s11, s[12:13], 0x0
	s_branch .LBB776_12
.LBB776_10:
	s_mov_b64 s[16:17], 0
	s_branch .LBB776_2
.LBB776_11:
	s_mov_b32 s11, s8
.LBB776_12:
	s_load_dwordx4 s[24:27], s[4:5], 0x48
	v_cmp_eq_u32_e32 vcc, 3, v43
	v_cmp_ne_u32_e64 s[12:13], 3, v43
	s_mov_b32 s43, 0
	v_mov_b32_e32 v39, 0
	v_mov_b32_e32 v2, 0
	;; [unrolled: 1-line block ×5, first 2 shown]
	s_and_saveexec_b64 s[14:15], s[12:13]
	s_cbranch_execz .LBB776_14
; %bb.13:
	s_load_dwordx2 s[12:13], s[4:5], 0x0
	s_waitcnt lgkmcnt(0)
	s_ashr_i32 s27, s24, 31
	s_mul_hi_u32 s35, s11, s24
	s_mul_i32 s27, s11, s27
	s_add_i32 s45, s35, s27
	s_mul_i32 s44, s11, s24
	s_lshl_b64 s[44:45], s[44:45], 1
	s_add_u32 s11, s12, s44
	s_mul_i32 s42, s10, 0x180
	s_addc_u32 s24, s13, s45
	s_lshl_b64 s[12:13], s[42:43], 1
	v_lshlrev_b32_e32 v2, 2, v1
	s_add_u32 s12, s11, s12
	v_and_b32_e32 v2, 0xf0, v2
	s_addc_u32 s13, s24, s13
	v_lshl_or_b32 v2, v43, 8, v2
	global_load_dwordx4 v[2:5], v2, s[12:13]
.LBB776_14:
	s_or_b64 exec, exec, s[14:15]
	s_waitcnt lgkmcnt(0)
	s_mul_i32 s11, s10, s26
	s_waitcnt vmcnt(3)
	v_mul_hi_i32 v11, v10, s25
	s_add_u32 s14, s11, s28
	v_ashrrev_i32_e32 v11, 31, v11
	s_addc_u32 s15, 0, s29
	v_lshrrev_b32_e32 v38, 29, v11
	s_add_u32 s11, s30, s11
	v_mad_i64_i32 v[10:11], s[12:13], v10, s25, v[38:39]
	s_addc_u32 s24, s31, 0
	v_and_b32_e32 v10, -8, v10
	v_mov_b32_e32 v12, s24
	v_add_co_u32_e64 v10, s[12:13], s11, v10
	v_addc_co_u32_e64 v11, s[12:13], v12, v11, s[12:13]
	v_lshlrev_b32_e32 v45, 4, v1
	v_add_co_u32_e64 v14, s[12:13], v10, v45
	v_addc_co_u32_e64 v15, s[12:13], 0, v11, s[12:13]
	global_load_dwordx4 v[10:13], v[14:15], off
	global_load_dwordx4 v[46:49], v[14:15], off offset:1024
	s_waitcnt vmcnt(4)
	v_mul_hi_i32 v14, v9, s25
	v_ashrrev_i32_e32 v14, 31, v14
	v_lshrrev_b32_e32 v38, 29, v14
	v_mad_i64_i32 v[14:15], s[12:13], v9, s25, v[38:39]
	v_and_b32_e32 v9, -8, v14
	v_mov_b32_e32 v14, s24
	v_add_co_u32_e64 v9, s[12:13], s11, v9
	v_addc_co_u32_e64 v15, s[12:13], v14, v15, s[12:13]
	v_add_co_u32_e64 v14, s[12:13], v9, v45
	v_addc_co_u32_e64 v15, s[12:13], 0, v15, s[12:13]
	global_load_dwordx4 v[50:53], v[14:15], off
	global_load_dwordx4 v[54:57], v[14:15], off offset:1024
	s_waitcnt vmcnt(5)
	v_mul_hi_i32 v14, v8, s25
	s_waitcnt vmcnt(4)
	v_mul_hi_i32 v15, v6, s25
	v_lshlrev_b32_e32 v9, 4, v0
	v_ashrrev_i32_e32 v16, 31, v14
	v_ashrrev_i32_e32 v17, 31, v15
	v_pk_mov_b32 v[14:15], s[14:15], s[14:15] op_sel:[0,1]
	v_and_b32_e32 v9, 0xf0, v9
	v_mad_i64_i32 v[14:15], s[12:13], v7, s25, v[14:15]
	v_lshrrev_b32_e32 v38, 29, v16
	v_add_co_u32_e64 v40, s[12:13], v14, v9
	v_mad_i64_i32 v[8:9], s[14:15], v8, s25, v[38:39]
	v_lshrrev_b32_e32 v38, 29, v17
	v_addc_co_u32_e64 v41, s[12:13], 0, v15, s[12:13]
	v_and_b32_e32 v8, -8, v8
	v_mad_i64_i32 v[6:7], s[12:13], v6, s25, v[38:39]
	v_mov_b32_e32 v14, s24
	v_add_co_u32_e64 v8, s[12:13], s11, v8
	v_addc_co_u32_e64 v9, s[12:13], v14, v9, s[12:13]
	v_add_co_u32_e64 v8, s[12:13], v8, v45
	v_addc_co_u32_e64 v9, s[12:13], 0, v9, s[12:13]
	v_and_b32_e32 v6, -8, v6
	v_mov_b32_e32 v58, s24
	v_add_co_u32_e64 v6, s[12:13], s11, v6
	v_addc_co_u32_e64 v7, s[12:13], v58, v7, s[12:13]
	global_load_dwordx4 v[34:37], v[40:41], off
	global_load_dwordx4 v[30:33], v[40:41], off offset:256
	global_load_dwordx4 v[26:29], v[40:41], off offset:512
	;; [unrolled: 1-line block ×5, first 2 shown]
	v_add_co_u32_e64 v6, s[12:13], v6, v45
	v_addc_co_u32_e64 v7, s[12:13], 0, v7, s[12:13]
	s_waitcnt vmcnt(9)
	buffer_store_dword v11, off, s[0:3], 0 offset:4
	buffer_store_dword v10, off, s[0:3], 0
	buffer_store_dword v13, off, s[0:3], 0 offset:12
	buffer_store_dword v12, off, s[0:3], 0 offset:8
	global_load_dwordx4 v[58:61], v[8:9], off
	global_load_dwordx4 v[62:65], v[8:9], off offset:1024
	s_waitcnt vmcnt(14)
	buffer_store_dword v47, off, s[0:3], 0 offset:68
	buffer_store_dword v46, off, s[0:3], 0 offset:64
	;; [unrolled: 1-line block ×4, first 2 shown]
	global_load_dwordx4 v[46:49], v[6:7], off
	s_waitcnt vmcnt(18)
	buffer_store_dword v51, off, s[0:3], 0 offset:20
	buffer_store_dword v50, off, s[0:3], 0 offset:16
	;; [unrolled: 1-line block ×4, first 2 shown]
	global_load_dwordx4 v[50:53], v[6:7], off offset:1024
	s_waitcnt vmcnt(22)
	buffer_store_dword v55, off, s[0:3], 0 offset:84
	buffer_store_dword v54, off, s[0:3], 0 offset:80
	;; [unrolled: 1-line block ×4, first 2 shown]
	global_load_dwordx4 v[10:13], v[40:41], off offset:1536
	global_load_dwordx4 v[6:9], v[40:41], off offset:1792
	s_waitcnt vmcnt(17)
	buffer_store_dword v59, off, s[0:3], 0 offset:36
	buffer_store_dword v58, off, s[0:3], 0 offset:32
	buffer_store_dword v61, off, s[0:3], 0 offset:44
	buffer_store_dword v60, off, s[0:3], 0 offset:40
	s_waitcnt vmcnt(20)
	buffer_store_dword v63, off, s[0:3], 0 offset:100
	buffer_store_dword v62, off, s[0:3], 0 offset:96
	buffer_store_dword v65, off, s[0:3], 0 offset:108
	buffer_store_dword v64, off, s[0:3], 0 offset:104
	;; [unrolled: 5-line block ×4, first 2 shown]
	v_cmp_ne_u16_sdwa s[12:13], v34, v39 src0_sel:BYTE_0 src1_sel:DWORD
	s_and_saveexec_b64 s[14:15], s[12:13]
	s_cbranch_execz .LBB776_20
; %bb.15:
	s_movk_i32 s11, 0x80
	v_cmp_ne_u16_sdwa s[12:13], v34, s11 src0_sel:BYTE_0 src1_sel:DWORD
	v_mov_b32_e32 v39, 0xffff8000
	s_and_saveexec_b64 s[24:25], s[12:13]
	s_cbranch_execz .LBB776_19
; %bb.16:
	s_movk_i32 s11, 0x7f
	v_and_b32_e32 v38, 0x7f, v34
	v_cmp_ne_u32_e64 s[12:13], s11, v38
	v_mov_b32_e32 v39, 0x7f80
	s_and_saveexec_b64 s[26:27], s[12:13]
	s_cbranch_execz .LBB776_18
; %bb.17:
	v_and_b32_e32 v39, 7, v34
	v_ffbh_u32_e32 v39, v39
	v_min_u32_e32 v39, 32, v39
	v_subrev_u32_e32 v41, 28, v39
	v_cmp_gt_u32_e64 s[12:13], 8, v38
	v_lshrrev_b32_e32 v40, 3, v38
	v_sub_u32_e32 v39, 29, v39
	v_cndmask_b32_e64 v38, 0, v41, s[12:13]
	v_cndmask_b32_e64 v40, v40, v39, s[12:13]
	v_lshlrev_b64 v[38:39], v38, v[34:35]
	v_lshlrev_b32_e32 v38, 20, v38
	v_lshlrev_b32_e32 v39, 24, v34
	v_bfrev_b32_e32 v41, 60
	v_and_b32_e32 v38, 0x700000, v38
	v_and_b32_e32 v39, 0x80000000, v39
	v_lshl_add_u32 v40, v40, 23, v41
	v_or3_b32 v38, v39, v40, v38
	v_lshrrev_b32_e32 v39, 16, v38
.LBB776_18:
	s_or_b64 exec, exec, s[26:27]
.LBB776_19:
	s_or_b64 exec, exec, s[24:25]
.LBB776_20:
	s_or_b64 exec, exec, s[14:15]
	v_lshrrev_b16_e32 v38, 8, v34
	v_cmp_ne_u16_e64 s[12:13], 0, v38
	v_mov_b32_e32 v46, 0
	v_mov_b32_e32 v45, 0
	s_and_saveexec_b64 s[14:15], s[12:13]
	s_cbranch_execz .LBB776_26
; %bb.21:
	s_movk_i32 s11, 0x80
	v_cmp_ne_u16_e64 s[12:13], s11, v38
	v_mov_b32_e32 v45, 0xffff8000
	s_and_saveexec_b64 s[24:25], s[12:13]
	s_cbranch_execz .LBB776_25
; %bb.22:
	s_movk_i32 s11, 0x7f
	v_and_b32_e32 v40, 0x7f, v38
	v_cmp_ne_u32_e64 s[12:13], s11, v40
	v_mov_b32_e32 v45, 0x7f80
	s_and_saveexec_b64 s[26:27], s[12:13]
	s_cbranch_execz .LBB776_24
; %bb.23:
	v_and_b32_e32 v41, 7, v38
	v_ffbh_u32_e32 v47, v41
	v_min_u32_e32 v47, 32, v47
	v_subrev_u32_e32 v48, 28, v47
	v_lshlrev_b64 v[48:49], v48, v[38:39]
	v_lshrrev_b32_e32 v45, 3, v40
	v_sub_u32_e32 v38, 29, v47
	v_and_b32_e32 v47, 7, v48
	v_cmp_gt_u32_e64 s[12:13], 8, v40
	v_cndmask_b32_e64 v38, v45, v38, s[12:13]
	v_cndmask_b32_e64 v40, v41, v47, s[12:13]
	v_lshlrev_b32_e32 v41, 16, v34
	v_bfrev_b32_e32 v45, 60
	v_lshlrev_b32_e32 v40, 20, v40
	v_and_b32_e32 v41, 0x80000000, v41
	v_lshl_add_u32 v38, v38, 23, v45
	v_or3_b32 v38, v41, v38, v40
	v_lshrrev_b32_e32 v45, 16, v38
.LBB776_24:
	s_or_b64 exec, exec, s[26:27]
.LBB776_25:
	s_or_b64 exec, exec, s[24:25]
.LBB776_26:
	s_or_b64 exec, exec, s[14:15]
	s_movk_i32 s11, 0xff
	v_and_b32_sdwa v40, v34, s11 dst_sel:DWORD dst_unused:UNUSED_PAD src0_sel:WORD_1 src1_sel:DWORD
	v_lshrrev_b32_e32 v38, 16, v34
	v_cmp_ne_u16_e64 s[12:13], 0, v40
	s_and_saveexec_b64 s[14:15], s[12:13]
	s_cbranch_execz .LBB776_32
; %bb.27:
	s_movk_i32 s11, 0x80
	v_cmp_ne_u16_e64 s[12:13], s11, v40
	v_mov_b32_e32 v46, 0xffff8000
	s_and_saveexec_b64 s[24:25], s[12:13]
	s_cbranch_execz .LBB776_31
; %bb.28:
	v_bfe_u32 v40, v34, 16, 7
	s_movk_i32 s11, 0x7f
	v_cmp_ne_u32_e64 s[12:13], s11, v40
	v_mov_b32_e32 v46, 0x7f80
	s_and_saveexec_b64 s[26:27], s[12:13]
	s_cbranch_execz .LBB776_30
; %bb.29:
	v_and_b32_e32 v41, 7, v38
	v_ffbh_u32_e32 v46, v41
	v_min_u32_e32 v49, 32, v46
	v_subrev_u32_e32 v46, 28, v49
	v_lshlrev_b64 v[46:47], v46, v[38:39]
	v_and_b32_e32 v46, 7, v46
	v_cmp_gt_u32_e64 s[12:13], 8, v40
	v_lshrrev_b32_e32 v48, 3, v40
	v_sub_u32_e32 v38, 29, v49
	v_cndmask_b32_e64 v40, v41, v46, s[12:13]
	v_mov_b32_e32 v41, 24
	v_cndmask_b32_e64 v38, v48, v38, s[12:13]
	v_lshlrev_b32_sdwa v41, v41, v34 dst_sel:DWORD dst_unused:UNUSED_PAD src0_sel:DWORD src1_sel:WORD_1
	v_bfrev_b32_e32 v46, 60
	v_lshlrev_b32_e32 v40, 20, v40
	v_and_b32_e32 v41, 0x80000000, v41
	v_lshl_add_u32 v38, v38, 23, v46
	v_or3_b32 v38, v41, v38, v40
	v_lshrrev_b32_e32 v46, 16, v38
.LBB776_30:
	s_or_b64 exec, exec, s[26:27]
.LBB776_31:
	s_or_b64 exec, exec, s[24:25]
.LBB776_32:
	s_or_b64 exec, exec, s[14:15]
	s_mov_b32 s11, 0xffffff
	v_cmp_lt_u32_e64 s[12:13], s11, v34
	v_mov_b32_e32 v41, 0
	v_mov_b32_e32 v47, 0
	s_and_saveexec_b64 s[14:15], s[12:13]
	s_cbranch_execz .LBB776_38
; %bb.33:
	v_lshrrev_b32_e32 v38, 24, v34
	s_movk_i32 s11, 0x80
	v_cmp_ne_u32_e64 s[12:13], s11, v38
	v_mov_b32_e32 v47, 0xffff8000
	s_and_saveexec_b64 s[24:25], s[12:13]
	s_cbranch_execz .LBB776_37
; %bb.34:
	v_bfe_u32 v40, v34, 24, 7
	s_movk_i32 s11, 0x7f
	v_cmp_ne_u32_e64 s[12:13], s11, v40
	v_mov_b32_e32 v47, 0x7f80
	s_and_saveexec_b64 s[26:27], s[12:13]
	s_cbranch_execz .LBB776_36
; %bb.35:
	v_and_b32_e32 v47, 7, v38
	v_ffbh_u32_e32 v48, v47
	v_min_u32_e32 v51, 32, v48
	v_subrev_u32_e32 v48, 28, v51
	v_lshlrev_b64 v[48:49], v48, v[38:39]
	v_lshrrev_b32_e32 v50, 3, v40
	v_sub_u32_e32 v49, 29, v51
	v_and_b32_e32 v48, 7, v48
	v_cmp_gt_u32_e64 s[12:13], 8, v40
	v_cndmask_b32_e64 v40, v50, v49, s[12:13]
	v_cndmask_b32_e64 v47, v47, v48, s[12:13]
	v_lshlrev_b32_e32 v38, 24, v38
	v_bfrev_b32_e32 v48, 60
	v_lshlrev_b32_e32 v47, 20, v47
	v_and_b32_e32 v38, 0x80000000, v38
	v_lshl_add_u32 v40, v40, 23, v48
	v_or3_b32 v38, v38, v40, v47
	v_lshrrev_b32_e32 v47, 16, v38
.LBB776_36:
	s_or_b64 exec, exec, s[26:27]
.LBB776_37:
	s_or_b64 exec, exec, s[24:25]
.LBB776_38:
	s_or_b64 exec, exec, s[14:15]
	v_mov_b32_e32 v40, v35
	v_cmp_ne_u16_sdwa s[12:13], v35, v41 src0_sel:BYTE_0 src1_sel:DWORD
	s_and_saveexec_b64 s[14:15], s[12:13]
	s_cbranch_execz .LBB776_44
; %bb.39:
	s_movk_i32 s11, 0x80
	v_cmp_ne_u16_sdwa s[12:13], v35, s11 src0_sel:BYTE_0 src1_sel:DWORD
	v_mov_b32_e32 v38, 0xffff8000
	s_and_saveexec_b64 s[24:25], s[12:13]
	s_cbranch_execz .LBB776_43
; %bb.40:
	s_movk_i32 s11, 0x7f
	v_and_b32_e32 v48, 0x7f, v35
	v_cmp_ne_u32_e64 s[12:13], s11, v48
	v_mov_b32_e32 v38, 0x7f80
	s_and_saveexec_b64 s[26:27], s[12:13]
	s_cbranch_execz .LBB776_42
; %bb.41:
	v_and_b32_e32 v38, 7, v35
	v_ffbh_u32_e32 v38, v38
	v_min_u32_e32 v38, 32, v38
	v_subrev_u32_e32 v50, 28, v38
	v_cmp_gt_u32_e64 s[12:13], 8, v48
	v_lshrrev_b32_e32 v49, 3, v48
	v_sub_u32_e32 v38, 29, v38
	v_cndmask_b32_e64 v48, 0, v50, s[12:13]
	v_cndmask_b32_e64 v38, v49, v38, s[12:13]
	v_lshlrev_b64 v[48:49], v48, v[40:41]
	v_lshlrev_b32_e32 v41, 20, v48
	v_lshlrev_b32_e32 v48, 24, v40
	v_bfrev_b32_e32 v49, 60
	v_and_b32_e32 v41, 0x700000, v41
	v_and_b32_e32 v48, 0x80000000, v48
	v_lshl_add_u32 v38, v38, 23, v49
	v_or3_b32 v38, v48, v38, v41
	v_lshrrev_b32_e32 v38, 16, v38
.LBB776_42:
	s_or_b64 exec, exec, s[26:27]
.LBB776_43:
	s_or_b64 exec, exec, s[24:25]
	v_mov_b32_e32 v41, v38
.LBB776_44:
	s_or_b64 exec, exec, s[14:15]
	v_lshrrev_b16_e32 v38, 8, v40
	v_cmp_ne_u16_e64 s[12:13], 0, v38
	v_mov_b32_e32 v49, 0
	v_mov_b32_e32 v48, 0
	s_and_saveexec_b64 s[14:15], s[12:13]
	s_cbranch_execz .LBB776_50
; %bb.45:
	s_movk_i32 s11, 0x80
	v_cmp_ne_u16_e64 s[12:13], s11, v38
	v_mov_b32_e32 v48, 0xffff8000
	s_and_saveexec_b64 s[24:25], s[12:13]
	s_cbranch_execz .LBB776_49
; %bb.46:
	s_movk_i32 s11, 0x7f
	v_and_b32_e32 v50, 0x7f, v38
	v_cmp_ne_u32_e64 s[12:13], s11, v50
	v_mov_b32_e32 v48, 0x7f80
	s_and_saveexec_b64 s[26:27], s[12:13]
	s_cbranch_execz .LBB776_48
; %bb.47:
	v_and_b32_e32 v48, 7, v38
	v_ffbh_u32_e32 v52, v48
	v_min_u32_e32 v54, 32, v52
	v_subrev_u32_e32 v52, 28, v54
	v_lshlrev_b64 v[52:53], v52, v[38:39]
	v_lshrrev_b32_e32 v51, 3, v50
	v_sub_u32_e32 v38, 29, v54
	v_and_b32_e32 v52, 7, v52
	v_cmp_gt_u32_e64 s[12:13], 8, v50
	v_cndmask_b32_e64 v38, v51, v38, s[12:13]
	v_cndmask_b32_e64 v48, v48, v52, s[12:13]
	v_lshlrev_b32_e32 v40, 16, v40
	v_bfrev_b32_e32 v50, 60
	v_lshlrev_b32_e32 v48, 20, v48
	v_and_b32_e32 v40, 0x80000000, v40
	v_lshl_add_u32 v38, v38, 23, v50
	v_or3_b32 v38, v40, v38, v48
	v_lshrrev_b32_e32 v48, 16, v38
.LBB776_48:
	s_or_b64 exec, exec, s[26:27]
.LBB776_49:
	s_or_b64 exec, exec, s[24:25]
.LBB776_50:
	s_or_b64 exec, exec, s[14:15]
	s_movk_i32 s11, 0xff
	v_and_b32_sdwa v40, v35, s11 dst_sel:DWORD dst_unused:UNUSED_PAD src0_sel:WORD_1 src1_sel:DWORD
	v_lshrrev_b32_e32 v38, 16, v35
	v_cmp_ne_u16_e64 s[12:13], 0, v40
	s_and_saveexec_b64 s[14:15], s[12:13]
	s_cbranch_execz .LBB776_56
; %bb.51:
	s_movk_i32 s11, 0x80
	v_cmp_ne_u16_e64 s[12:13], s11, v40
	v_mov_b32_e32 v49, 0xffff8000
	s_and_saveexec_b64 s[24:25], s[12:13]
	s_cbranch_execz .LBB776_55
; %bb.52:
	v_bfe_u32 v40, v35, 16, 7
	s_movk_i32 s11, 0x7f
	v_cmp_ne_u32_e64 s[12:13], s11, v40
	v_mov_b32_e32 v49, 0x7f80
	s_and_saveexec_b64 s[26:27], s[12:13]
	s_cbranch_execz .LBB776_54
; %bb.53:
	v_and_b32_e32 v49, 7, v38
	v_ffbh_u32_e32 v50, v49
	v_min_u32_e32 v53, 32, v50
	v_subrev_u32_e32 v50, 28, v53
	v_lshlrev_b64 v[50:51], v50, v[38:39]
	v_and_b32_e32 v50, 7, v50
	v_cmp_gt_u32_e64 s[12:13], 8, v40
	v_lshrrev_b32_e32 v52, 3, v40
	v_sub_u32_e32 v38, 29, v53
	v_cndmask_b32_e64 v40, v49, v50, s[12:13]
	v_mov_b32_e32 v49, 24
	v_cndmask_b32_e64 v38, v52, v38, s[12:13]
	v_lshlrev_b32_sdwa v49, v49, v35 dst_sel:DWORD dst_unused:UNUSED_PAD src0_sel:DWORD src1_sel:WORD_1
	v_bfrev_b32_e32 v50, 60
	v_lshlrev_b32_e32 v40, 20, v40
	v_and_b32_e32 v49, 0x80000000, v49
	v_lshl_add_u32 v38, v38, 23, v50
	v_or3_b32 v38, v49, v38, v40
	v_lshrrev_b32_e32 v49, 16, v38
.LBB776_54:
	s_or_b64 exec, exec, s[26:27]
.LBB776_55:
	s_or_b64 exec, exec, s[24:25]
.LBB776_56:
	s_or_b64 exec, exec, s[14:15]
	s_mov_b32 s12, -1
	s_mov_b32 s13, 0xffffff
	v_cmp_lt_u64_e64 s[12:13], s[12:13], v[34:35]
	v_mov_b32_e32 v40, 0
	v_mov_b32_e32 v38, 0
	s_and_saveexec_b64 s[14:15], s[12:13]
	s_cbranch_execz .LBB776_62
; %bb.57:
	v_lshrrev_b32_e32 v34, 24, v35
	s_movk_i32 s11, 0x80
	v_cmp_ne_u32_e64 s[12:13], s11, v34
	v_mov_b32_e32 v38, 0xffff8000
	s_and_saveexec_b64 s[24:25], s[12:13]
	s_cbranch_execz .LBB776_61
; %bb.58:
	v_bfe_u32 v35, v35, 24, 7
	s_movk_i32 s11, 0x7f
	v_cmp_ne_u32_e64 s[12:13], s11, v35
	v_mov_b32_e32 v38, 0x7f80
	s_and_saveexec_b64 s[26:27], s[12:13]
	s_cbranch_execz .LBB776_60
; %bb.59:
	v_and_b32_e32 v38, 7, v34
	v_ffbh_u32_e32 v50, v38
	v_min_u32_e32 v53, 32, v50
	v_subrev_u32_e32 v50, 28, v53
	v_lshlrev_b64 v[50:51], v50, v[34:35]
	v_lshrrev_b32_e32 v52, 3, v35
	v_sub_u32_e32 v51, 29, v53
	v_and_b32_e32 v50, 7, v50
	v_cmp_gt_u32_e64 s[12:13], 8, v35
	v_cndmask_b32_e64 v35, v52, v51, s[12:13]
	v_cndmask_b32_e64 v38, v38, v50, s[12:13]
	v_lshlrev_b32_e32 v34, 24, v34
	v_bfrev_b32_e32 v50, 60
	v_lshlrev_b32_e32 v38, 20, v38
	v_and_b32_e32 v34, 0x80000000, v34
	v_lshl_add_u32 v35, v35, 23, v50
	v_or3_b32 v34, v34, v35, v38
	v_lshrrev_b32_e32 v38, 16, v34
.LBB776_60:
	s_or_b64 exec, exec, s[26:27]
.LBB776_61:
	s_or_b64 exec, exec, s[24:25]
.LBB776_62:
	s_or_b64 exec, exec, s[14:15]
	s_mov_b32 s11, 0x5040100
	v_perm_b32 v35, v47, v46, s11
	v_perm_b32 v34, v45, v39, s11
	v_perm_b32 v39, v38, v49, s11
	v_perm_b32 v38, v48, v41, s11
	v_mfma_f32_4x4x4bf16_1k a[0:3], v[2:3], v[34:35], 0 cbsz:4
	v_cmp_ne_u16_sdwa s[12:13], v36, v40 src0_sel:BYTE_0 src1_sel:DWORD
	v_mfma_f32_4x4x4bf16_1k a[0:3], v[4:5], v[38:39], a[0:3] cbsz:4
	s_and_saveexec_b64 s[14:15], s[12:13]
	s_cbranch_execz .LBB776_68
; %bb.63:
	s_movk_i32 s11, 0x80
	v_cmp_ne_u16_sdwa s[12:13], v36, s11 src0_sel:BYTE_0 src1_sel:DWORD
	v_mov_b32_e32 v40, 0xffff8000
	s_and_saveexec_b64 s[24:25], s[12:13]
	s_cbranch_execz .LBB776_67
; %bb.64:
	s_movk_i32 s11, 0x7f
	v_and_b32_e32 v34, 0x7f, v36
	v_cmp_ne_u32_e64 s[12:13], s11, v34
	v_mov_b32_e32 v40, 0x7f80
	s_and_saveexec_b64 s[26:27], s[12:13]
	s_cbranch_execz .LBB776_66
; %bb.65:
	v_and_b32_e32 v35, 7, v36
	v_ffbh_u32_e32 v35, v35
	v_min_u32_e32 v35, 32, v35
	v_subrev_u32_e32 v39, 28, v35
	v_cmp_gt_u32_e64 s[12:13], 8, v34
	v_lshrrev_b32_e32 v38, 3, v34
	v_sub_u32_e32 v35, 29, v35
	v_cndmask_b32_e64 v34, 0, v39, s[12:13]
	v_cndmask_b32_e64 v38, v38, v35, s[12:13]
	v_lshlrev_b64 v[34:35], v34, v[36:37]
	v_lshlrev_b32_e32 v34, 20, v34
	v_lshlrev_b32_e32 v35, 24, v36
	v_bfrev_b32_e32 v39, 60
	v_and_b32_e32 v34, 0x700000, v34
	v_and_b32_e32 v35, 0x80000000, v35
	v_lshl_add_u32 v38, v38, 23, v39
	v_or3_b32 v34, v35, v38, v34
	v_lshrrev_b32_e32 v40, 16, v34
.LBB776_66:
	s_or_b64 exec, exec, s[26:27]
.LBB776_67:
	s_or_b64 exec, exec, s[24:25]
.LBB776_68:
	s_or_b64 exec, exec, s[14:15]
	v_lshrrev_b16_e32 v34, 8, v36
	v_cmp_ne_u16_e64 s[12:13], 0, v34
	v_mov_b32_e32 v41, 0
	v_mov_b32_e32 v39, 0
	s_and_saveexec_b64 s[14:15], s[12:13]
	s_cbranch_execz .LBB776_74
; %bb.69:
	s_movk_i32 s11, 0x80
	v_cmp_ne_u16_e64 s[12:13], s11, v34
	v_mov_b32_e32 v39, 0xffff8000
	s_and_saveexec_b64 s[24:25], s[12:13]
	s_cbranch_execz .LBB776_73
; %bb.70:
	s_movk_i32 s11, 0x7f
	v_and_b32_e32 v35, 0x7f, v34
	v_cmp_ne_u32_e64 s[12:13], s11, v35
	v_mov_b32_e32 v39, 0x7f80
	s_and_saveexec_b64 s[26:27], s[12:13]
	s_cbranch_execz .LBB776_72
; %bb.71:
	v_and_b32_e32 v45, 7, v34
	v_ffbh_u32_e32 v38, v45
	v_min_u32_e32 v47, 32, v38
	v_subrev_u32_e32 v38, 28, v47
	v_lshlrev_b64 v[38:39], v38, v[34:35]
	v_lshrrev_b32_e32 v46, 3, v35
	v_sub_u32_e32 v34, 29, v47
	v_and_b32_e32 v38, 7, v38
	v_cmp_gt_u32_e64 s[12:13], 8, v35
	v_cndmask_b32_e64 v34, v46, v34, s[12:13]
	v_cndmask_b32_e64 v35, v45, v38, s[12:13]
	v_lshlrev_b32_e32 v38, 16, v36
	v_bfrev_b32_e32 v39, 60
	v_lshlrev_b32_e32 v35, 20, v35
	v_and_b32_e32 v38, 0x80000000, v38
	v_lshl_add_u32 v34, v34, 23, v39
	v_or3_b32 v34, v38, v34, v35
	v_lshrrev_b32_e32 v39, 16, v34
.LBB776_72:
	s_or_b64 exec, exec, s[26:27]
.LBB776_73:
	s_or_b64 exec, exec, s[24:25]
.LBB776_74:
	s_or_b64 exec, exec, s[14:15]
	s_movk_i32 s11, 0xff
	v_and_b32_sdwa v35, v36, s11 dst_sel:DWORD dst_unused:UNUSED_PAD src0_sel:WORD_1 src1_sel:DWORD
	v_lshrrev_b32_e32 v34, 16, v36
	v_cmp_ne_u16_e64 s[12:13], 0, v35
	s_and_saveexec_b64 s[14:15], s[12:13]
	s_cbranch_execz .LBB776_80
; %bb.75:
	s_movk_i32 s11, 0x80
	v_cmp_ne_u16_e64 s[12:13], s11, v35
	v_mov_b32_e32 v41, 0xffff8000
	s_and_saveexec_b64 s[24:25], s[12:13]
	s_cbranch_execz .LBB776_79
; %bb.76:
	v_bfe_u32 v35, v36, 16, 7
	s_movk_i32 s11, 0x7f
	v_cmp_ne_u32_e64 s[12:13], s11, v35
	v_mov_b32_e32 v41, 0x7f80
	s_and_saveexec_b64 s[26:27], s[12:13]
	s_cbranch_execz .LBB776_78
; %bb.77:
	v_and_b32_e32 v38, 7, v34
	v_ffbh_u32_e32 v45, v38
	v_min_u32_e32 v45, 32, v45
	v_subrev_u32_e32 v46, 28, v45
	v_lshlrev_b64 v[46:47], v46, v[34:35]
	v_sub_u32_e32 v34, 29, v45
	v_and_b32_e32 v45, 7, v46
	v_cmp_gt_u32_e64 s[12:13], 8, v35
	v_lshrrev_b32_e32 v41, 3, v35
	v_cndmask_b32_e64 v35, v38, v45, s[12:13]
	v_mov_b32_e32 v38, 24
	v_cndmask_b32_e64 v34, v41, v34, s[12:13]
	v_lshlrev_b32_sdwa v38, v38, v36 dst_sel:DWORD dst_unused:UNUSED_PAD src0_sel:DWORD src1_sel:WORD_1
	v_bfrev_b32_e32 v41, 60
	v_lshlrev_b32_e32 v35, 20, v35
	v_and_b32_e32 v38, 0x80000000, v38
	v_lshl_add_u32 v34, v34, 23, v41
	v_or3_b32 v34, v38, v34, v35
	v_lshrrev_b32_e32 v41, 16, v34
.LBB776_78:
	s_or_b64 exec, exec, s[26:27]
.LBB776_79:
	s_or_b64 exec, exec, s[24:25]
.LBB776_80:
	s_or_b64 exec, exec, s[14:15]
	s_mov_b32 s11, 0xffffff
	v_cmp_lt_u32_e64 s[12:13], s11, v36
	v_mov_b32_e32 v35, 0
	v_mov_b32_e32 v45, 0
	s_and_saveexec_b64 s[14:15], s[12:13]
	s_cbranch_execz .LBB776_86
; %bb.81:
	v_lshrrev_b32_e32 v34, 24, v36
	s_movk_i32 s11, 0x80
	v_cmp_ne_u32_e64 s[12:13], s11, v34
	v_mov_b32_e32 v45, 0xffff8000
	s_and_saveexec_b64 s[24:25], s[12:13]
	s_cbranch_execz .LBB776_85
; %bb.82:
	v_bfe_u32 v38, v36, 24, 7
	s_movk_i32 s11, 0x7f
	v_cmp_ne_u32_e64 s[12:13], s11, v38
	v_mov_b32_e32 v45, 0x7f80
	s_and_saveexec_b64 s[26:27], s[12:13]
	s_cbranch_execz .LBB776_84
; %bb.83:
	v_and_b32_e32 v45, 7, v34
	v_ffbh_u32_e32 v46, v45
	v_min_u32_e32 v49, 32, v46
	v_subrev_u32_e32 v46, 28, v49
	v_lshlrev_b64 v[46:47], v46, v[34:35]
	v_lshrrev_b32_e32 v48, 3, v38
	v_sub_u32_e32 v47, 29, v49
	v_and_b32_e32 v46, 7, v46
	v_cmp_gt_u32_e64 s[12:13], 8, v38
	v_cndmask_b32_e64 v38, v48, v47, s[12:13]
	v_cndmask_b32_e64 v45, v45, v46, s[12:13]
	v_lshlrev_b32_e32 v34, 24, v34
	v_bfrev_b32_e32 v46, 60
	v_lshlrev_b32_e32 v45, 20, v45
	v_and_b32_e32 v34, 0x80000000, v34
	v_lshl_add_u32 v38, v38, 23, v46
	v_or3_b32 v34, v34, v38, v45
	v_lshrrev_b32_e32 v45, 16, v34
.LBB776_84:
	s_or_b64 exec, exec, s[26:27]
.LBB776_85:
	s_or_b64 exec, exec, s[24:25]
.LBB776_86:
	s_or_b64 exec, exec, s[14:15]
	v_mov_b32_e32 v34, v37
	v_cmp_ne_u16_sdwa s[12:13], v37, v35 src0_sel:BYTE_0 src1_sel:DWORD
	s_and_saveexec_b64 s[14:15], s[12:13]
	s_cbranch_execz .LBB776_92
; %bb.87:
	s_movk_i32 s11, 0x80
	v_cmp_ne_u16_sdwa s[12:13], v37, s11 src0_sel:BYTE_0 src1_sel:DWORD
	v_mov_b32_e32 v38, 0xffff8000
	s_and_saveexec_b64 s[24:25], s[12:13]
	s_cbranch_execz .LBB776_91
; %bb.88:
	s_movk_i32 s11, 0x7f
	v_and_b32_e32 v46, 0x7f, v37
	v_cmp_ne_u32_e64 s[12:13], s11, v46
	v_mov_b32_e32 v38, 0x7f80
	s_and_saveexec_b64 s[26:27], s[12:13]
	s_cbranch_execz .LBB776_90
; %bb.89:
	v_and_b32_e32 v38, 7, v37
	v_ffbh_u32_e32 v38, v38
	v_min_u32_e32 v38, 32, v38
	v_subrev_u32_e32 v48, 28, v38
	v_cmp_gt_u32_e64 s[12:13], 8, v46
	v_lshrrev_b32_e32 v47, 3, v46
	v_sub_u32_e32 v38, 29, v38
	v_cndmask_b32_e64 v46, 0, v48, s[12:13]
	v_cndmask_b32_e64 v38, v47, v38, s[12:13]
	v_lshlrev_b64 v[46:47], v46, v[34:35]
	v_lshlrev_b32_e32 v35, 20, v46
	v_lshlrev_b32_e32 v46, 24, v34
	v_bfrev_b32_e32 v47, 60
	v_and_b32_e32 v35, 0x700000, v35
	v_and_b32_e32 v46, 0x80000000, v46
	v_lshl_add_u32 v38, v38, 23, v47
	v_or3_b32 v35, v46, v38, v35
	v_lshrrev_b32_e32 v38, 16, v35
.LBB776_90:
	s_or_b64 exec, exec, s[26:27]
.LBB776_91:
	s_or_b64 exec, exec, s[24:25]
	v_mov_b32_e32 v35, v38
.LBB776_92:
	s_or_b64 exec, exec, s[14:15]
	v_lshrrev_b16_e32 v38, 8, v34
	v_cmp_ne_u16_e64 s[12:13], 0, v38
	v_mov_b32_e32 v47, 0
	v_mov_b32_e32 v46, 0
	s_and_saveexec_b64 s[14:15], s[12:13]
	s_cbranch_execz .LBB776_98
; %bb.93:
	s_movk_i32 s11, 0x80
	v_cmp_ne_u16_e64 s[12:13], s11, v38
	v_mov_b32_e32 v46, 0xffff8000
	s_and_saveexec_b64 s[24:25], s[12:13]
	s_cbranch_execz .LBB776_97
; %bb.94:
	s_movk_i32 s11, 0x7f
	v_and_b32_e32 v48, 0x7f, v38
	v_cmp_ne_u32_e64 s[12:13], s11, v48
	v_mov_b32_e32 v46, 0x7f80
	s_and_saveexec_b64 s[26:27], s[12:13]
	s_cbranch_execz .LBB776_96
; %bb.95:
	v_and_b32_e32 v46, 7, v38
	v_ffbh_u32_e32 v50, v46
	v_min_u32_e32 v52, 32, v50
	v_subrev_u32_e32 v50, 28, v52
	v_lshlrev_b64 v[50:51], v50, v[38:39]
	v_lshrrev_b32_e32 v49, 3, v48
	v_sub_u32_e32 v38, 29, v52
	v_and_b32_e32 v50, 7, v50
	v_cmp_gt_u32_e64 s[12:13], 8, v48
	v_cndmask_b32_e64 v38, v49, v38, s[12:13]
	v_cndmask_b32_e64 v46, v46, v50, s[12:13]
	v_lshlrev_b32_e32 v34, 16, v34
	v_bfrev_b32_e32 v48, 60
	v_lshlrev_b32_e32 v46, 20, v46
	v_and_b32_e32 v34, 0x80000000, v34
	v_lshl_add_u32 v38, v38, 23, v48
	v_or3_b32 v34, v34, v38, v46
	v_lshrrev_b32_e32 v46, 16, v34
.LBB776_96:
	s_or_b64 exec, exec, s[26:27]
.LBB776_97:
	s_or_b64 exec, exec, s[24:25]
.LBB776_98:
	s_or_b64 exec, exec, s[14:15]
	s_movk_i32 s11, 0xff
	v_and_b32_sdwa v38, v37, s11 dst_sel:DWORD dst_unused:UNUSED_PAD src0_sel:WORD_1 src1_sel:DWORD
	v_lshrrev_b32_e32 v34, 16, v37
	v_cmp_ne_u16_e64 s[12:13], 0, v38
	s_and_saveexec_b64 s[14:15], s[12:13]
	s_cbranch_execz .LBB776_104
; %bb.99:
	s_movk_i32 s11, 0x80
	v_cmp_ne_u16_e64 s[12:13], s11, v38
	v_mov_b32_e32 v47, 0xffff8000
	s_and_saveexec_b64 s[24:25], s[12:13]
	s_cbranch_execz .LBB776_103
; %bb.100:
	v_bfe_u32 v38, v37, 16, 7
	s_movk_i32 s11, 0x7f
	v_cmp_ne_u32_e64 s[12:13], s11, v38
	v_mov_b32_e32 v47, 0x7f80
	s_and_saveexec_b64 s[26:27], s[12:13]
	s_cbranch_execz .LBB776_102
; %bb.101:
	v_and_b32_e32 v47, 7, v34
	v_ffbh_u32_e32 v48, v47
	v_min_u32_e32 v51, 32, v48
	v_subrev_u32_e32 v48, 28, v51
	v_lshlrev_b64 v[48:49], v48, v[34:35]
	v_and_b32_e32 v48, 7, v48
	v_cmp_gt_u32_e64 s[12:13], 8, v38
	v_lshrrev_b32_e32 v50, 3, v38
	v_sub_u32_e32 v34, 29, v51
	v_cndmask_b32_e64 v38, v47, v48, s[12:13]
	v_mov_b32_e32 v47, 24
	v_cndmask_b32_e64 v34, v50, v34, s[12:13]
	v_lshlrev_b32_sdwa v47, v47, v37 dst_sel:DWORD dst_unused:UNUSED_PAD src0_sel:DWORD src1_sel:WORD_1
	v_bfrev_b32_e32 v48, 60
	v_lshlrev_b32_e32 v38, 20, v38
	v_and_b32_e32 v47, 0x80000000, v47
	v_lshl_add_u32 v34, v34, 23, v48
	v_or3_b32 v34, v47, v34, v38
	v_lshrrev_b32_e32 v47, 16, v34
.LBB776_102:
	s_or_b64 exec, exec, s[26:27]
.LBB776_103:
	s_or_b64 exec, exec, s[24:25]
.LBB776_104:
	s_or_b64 exec, exec, s[14:15]
	s_mov_b32 s12, -1
	s_mov_b32 s13, 0xffffff
	v_cmp_lt_u64_e64 s[12:13], s[12:13], v[36:37]
	v_mov_b32_e32 v38, 0
	v_mov_b32_e32 v36, 0
	s_and_saveexec_b64 s[14:15], s[12:13]
	s_cbranch_execz .LBB776_110
; %bb.105:
	v_lshrrev_b32_e32 v34, 24, v37
	s_movk_i32 s11, 0x80
	v_cmp_ne_u32_e64 s[12:13], s11, v34
	v_mov_b32_e32 v36, 0xffff8000
	s_and_saveexec_b64 s[24:25], s[12:13]
	s_cbranch_execz .LBB776_109
; %bb.106:
	v_bfe_u32 v37, v37, 24, 7
	s_movk_i32 s11, 0x7f
	v_cmp_ne_u32_e64 s[12:13], s11, v37
	v_mov_b32_e32 v36, 0x7f80
	s_and_saveexec_b64 s[26:27], s[12:13]
	s_cbranch_execz .LBB776_108
; %bb.107:
	v_and_b32_e32 v36, 7, v34
	v_ffbh_u32_e32 v48, v36
	v_min_u32_e32 v51, 32, v48
	v_subrev_u32_e32 v48, 28, v51
	v_lshlrev_b64 v[48:49], v48, v[34:35]
	v_lshrrev_b32_e32 v50, 3, v37
	v_sub_u32_e32 v49, 29, v51
	v_and_b32_e32 v48, 7, v48
	v_cmp_gt_u32_e64 s[12:13], 8, v37
	v_cndmask_b32_e64 v37, v50, v49, s[12:13]
	v_cndmask_b32_e64 v36, v36, v48, s[12:13]
	v_lshlrev_b32_e32 v34, 24, v34
	v_bfrev_b32_e32 v48, 60
	v_lshlrev_b32_e32 v36, 20, v36
	v_and_b32_e32 v34, 0x80000000, v34
	v_lshl_add_u32 v37, v37, 23, v48
	v_or3_b32 v34, v34, v37, v36
	v_lshrrev_b32_e32 v36, 16, v34
.LBB776_108:
	s_or_b64 exec, exec, s[26:27]
.LBB776_109:
	s_or_b64 exec, exec, s[24:25]
.LBB776_110:
	s_or_b64 exec, exec, s[14:15]
	s_mov_b32 s11, 0x5040100
	v_perm_b32 v41, v45, v41, s11
	v_perm_b32 v40, v39, v40, s11
	;; [unrolled: 1-line block ×4, first 2 shown]
	v_mfma_f32_4x4x4bf16_1k a[0:3], v[2:3], v[40:41], a[0:3] cbsz:4 abid:1
	v_cmp_ne_u16_sdwa s[12:13], v30, v38 src0_sel:BYTE_0 src1_sel:DWORD
	v_mfma_f32_4x4x4bf16_1k a[0:3], v[4:5], v[36:37], a[0:3] cbsz:4 abid:1
	s_and_saveexec_b64 s[14:15], s[12:13]
	s_cbranch_execz .LBB776_116
; %bb.111:
	s_movk_i32 s11, 0x80
	v_cmp_ne_u16_sdwa s[12:13], v30, s11 src0_sel:BYTE_0 src1_sel:DWORD
	v_mov_b32_e32 v38, 0xffff8000
	s_and_saveexec_b64 s[24:25], s[12:13]
	s_cbranch_execz .LBB776_115
; %bb.112:
	s_movk_i32 s11, 0x7f
	v_and_b32_e32 v34, 0x7f, v30
	v_cmp_ne_u32_e64 s[12:13], s11, v34
	v_mov_b32_e32 v38, 0x7f80
	s_and_saveexec_b64 s[26:27], s[12:13]
	s_cbranch_execz .LBB776_114
; %bb.113:
	v_and_b32_e32 v35, 7, v30
	v_ffbh_u32_e32 v35, v35
	v_min_u32_e32 v35, 32, v35
	v_subrev_u32_e32 v37, 28, v35
	v_cmp_gt_u32_e64 s[12:13], 8, v34
	v_lshrrev_b32_e32 v36, 3, v34
	v_sub_u32_e32 v35, 29, v35
	v_cndmask_b32_e64 v34, 0, v37, s[12:13]
	v_cndmask_b32_e64 v36, v36, v35, s[12:13]
	v_lshlrev_b64 v[34:35], v34, v[30:31]
	v_lshlrev_b32_e32 v34, 20, v34
	v_lshlrev_b32_e32 v35, 24, v30
	v_bfrev_b32_e32 v37, 60
	v_and_b32_e32 v34, 0x700000, v34
	v_and_b32_e32 v35, 0x80000000, v35
	v_lshl_add_u32 v36, v36, 23, v37
	v_or3_b32 v34, v35, v36, v34
	v_lshrrev_b32_e32 v38, 16, v34
.LBB776_114:
	s_or_b64 exec, exec, s[26:27]
.LBB776_115:
	s_or_b64 exec, exec, s[24:25]
.LBB776_116:
	s_or_b64 exec, exec, s[14:15]
	v_lshrrev_b16_e32 v34, 8, v30
	v_cmp_ne_u16_e64 s[12:13], 0, v34
	v_mov_b32_e32 v39, 0
	v_mov_b32_e32 v37, 0
	s_and_saveexec_b64 s[14:15], s[12:13]
	s_cbranch_execz .LBB776_122
; %bb.117:
	s_movk_i32 s11, 0x80
	v_cmp_ne_u16_e64 s[12:13], s11, v34
	v_mov_b32_e32 v37, 0xffff8000
	s_and_saveexec_b64 s[24:25], s[12:13]
	s_cbranch_execz .LBB776_121
; %bb.118:
	s_movk_i32 s11, 0x7f
	v_and_b32_e32 v35, 0x7f, v34
	v_cmp_ne_u32_e64 s[12:13], s11, v35
	v_mov_b32_e32 v37, 0x7f80
	s_and_saveexec_b64 s[26:27], s[12:13]
	s_cbranch_execz .LBB776_120
; %bb.119:
	v_and_b32_e32 v40, 7, v34
	v_ffbh_u32_e32 v36, v40
	v_min_u32_e32 v45, 32, v36
	v_subrev_u32_e32 v36, 28, v45
	v_lshlrev_b64 v[36:37], v36, v[34:35]
	v_lshrrev_b32_e32 v41, 3, v35
	v_sub_u32_e32 v34, 29, v45
	v_and_b32_e32 v36, 7, v36
	v_cmp_gt_u32_e64 s[12:13], 8, v35
	v_cndmask_b32_e64 v34, v41, v34, s[12:13]
	v_cndmask_b32_e64 v35, v40, v36, s[12:13]
	v_lshlrev_b32_e32 v36, 16, v30
	v_bfrev_b32_e32 v37, 60
	v_lshlrev_b32_e32 v35, 20, v35
	v_and_b32_e32 v36, 0x80000000, v36
	v_lshl_add_u32 v34, v34, 23, v37
	v_or3_b32 v34, v36, v34, v35
	v_lshrrev_b32_e32 v37, 16, v34
.LBB776_120:
	s_or_b64 exec, exec, s[26:27]
.LBB776_121:
	s_or_b64 exec, exec, s[24:25]
.LBB776_122:
	s_or_b64 exec, exec, s[14:15]
	s_movk_i32 s11, 0xff
	v_and_b32_sdwa v35, v30, s11 dst_sel:DWORD dst_unused:UNUSED_PAD src0_sel:WORD_1 src1_sel:DWORD
	v_lshrrev_b32_e32 v34, 16, v30
	v_cmp_ne_u16_e64 s[12:13], 0, v35
	s_and_saveexec_b64 s[14:15], s[12:13]
	s_cbranch_execz .LBB776_128
; %bb.123:
	s_movk_i32 s11, 0x80
	v_cmp_ne_u16_e64 s[12:13], s11, v35
	v_mov_b32_e32 v39, 0xffff8000
	s_and_saveexec_b64 s[24:25], s[12:13]
	s_cbranch_execz .LBB776_127
; %bb.124:
	v_bfe_u32 v35, v30, 16, 7
	s_movk_i32 s11, 0x7f
	v_cmp_ne_u32_e64 s[12:13], s11, v35
	v_mov_b32_e32 v39, 0x7f80
	s_and_saveexec_b64 s[26:27], s[12:13]
	s_cbranch_execz .LBB776_126
; %bb.125:
	v_and_b32_e32 v36, 7, v34
	v_ffbh_u32_e32 v40, v36
	v_min_u32_e32 v45, 32, v40
	v_subrev_u32_e32 v40, 28, v45
	v_lshlrev_b64 v[40:41], v40, v[34:35]
	v_and_b32_e32 v40, 7, v40
	v_cmp_gt_u32_e64 s[12:13], 8, v35
	v_lshrrev_b32_e32 v39, 3, v35
	v_sub_u32_e32 v34, 29, v45
	v_cndmask_b32_e64 v35, v36, v40, s[12:13]
	v_mov_b32_e32 v36, 24
	v_cndmask_b32_e64 v34, v39, v34, s[12:13]
	v_lshlrev_b32_sdwa v36, v36, v30 dst_sel:DWORD dst_unused:UNUSED_PAD src0_sel:DWORD src1_sel:WORD_1
	v_bfrev_b32_e32 v39, 60
	v_lshlrev_b32_e32 v35, 20, v35
	v_and_b32_e32 v36, 0x80000000, v36
	v_lshl_add_u32 v34, v34, 23, v39
	v_or3_b32 v34, v36, v34, v35
	v_lshrrev_b32_e32 v39, 16, v34
.LBB776_126:
	s_or_b64 exec, exec, s[26:27]
.LBB776_127:
	s_or_b64 exec, exec, s[24:25]
.LBB776_128:
	s_or_b64 exec, exec, s[14:15]
	s_mov_b32 s11, 0xffffff
	v_cmp_lt_u32_e64 s[12:13], s11, v30
	v_mov_b32_e32 v35, 0
	v_mov_b32_e32 v40, 0
	s_and_saveexec_b64 s[14:15], s[12:13]
	s_cbranch_execz .LBB776_134
; %bb.129:
	v_lshrrev_b32_e32 v34, 24, v30
	s_movk_i32 s11, 0x80
	v_cmp_ne_u32_e64 s[12:13], s11, v34
	v_mov_b32_e32 v40, 0xffff8000
	s_and_saveexec_b64 s[24:25], s[12:13]
	s_cbranch_execz .LBB776_133
; %bb.130:
	v_bfe_u32 v36, v30, 24, 7
	s_movk_i32 s11, 0x7f
	v_cmp_ne_u32_e64 s[12:13], s11, v36
	v_mov_b32_e32 v40, 0x7f80
	s_and_saveexec_b64 s[26:27], s[12:13]
	s_cbranch_execz .LBB776_132
; %bb.131:
	v_and_b32_e32 v45, 7, v34
	v_ffbh_u32_e32 v40, v45
	v_min_u32_e32 v47, 32, v40
	v_subrev_u32_e32 v40, 28, v47
	v_lshlrev_b64 v[40:41], v40, v[34:35]
	v_lshrrev_b32_e32 v46, 3, v36
	v_sub_u32_e32 v41, 29, v47
	v_and_b32_e32 v40, 7, v40
	v_cmp_gt_u32_e64 s[12:13], 8, v36
	v_cndmask_b32_e64 v36, v46, v41, s[12:13]
	v_cndmask_b32_e64 v40, v45, v40, s[12:13]
	v_lshlrev_b32_e32 v34, 24, v34
	v_bfrev_b32_e32 v41, 60
	v_lshlrev_b32_e32 v40, 20, v40
	v_and_b32_e32 v34, 0x80000000, v34
	v_lshl_add_u32 v36, v36, 23, v41
	v_or3_b32 v34, v34, v36, v40
	v_lshrrev_b32_e32 v40, 16, v34
.LBB776_132:
	s_or_b64 exec, exec, s[26:27]
.LBB776_133:
	s_or_b64 exec, exec, s[24:25]
.LBB776_134:
	s_or_b64 exec, exec, s[14:15]
	v_mov_b32_e32 v34, v31
	v_cmp_ne_u16_sdwa s[12:13], v31, v35 src0_sel:BYTE_0 src1_sel:DWORD
	s_and_saveexec_b64 s[14:15], s[12:13]
	s_cbranch_execz .LBB776_140
; %bb.135:
	s_movk_i32 s11, 0x80
	v_cmp_ne_u16_sdwa s[12:13], v31, s11 src0_sel:BYTE_0 src1_sel:DWORD
	v_mov_b32_e32 v36, 0xffff8000
	s_and_saveexec_b64 s[24:25], s[12:13]
	s_cbranch_execz .LBB776_139
; %bb.136:
	s_movk_i32 s11, 0x7f
	v_and_b32_e32 v41, 0x7f, v31
	v_cmp_ne_u32_e64 s[12:13], s11, v41
	v_mov_b32_e32 v36, 0x7f80
	s_and_saveexec_b64 s[26:27], s[12:13]
	s_cbranch_execz .LBB776_138
; %bb.137:
	v_and_b32_e32 v36, 7, v31
	v_ffbh_u32_e32 v36, v36
	v_min_u32_e32 v36, 32, v36
	v_subrev_u32_e32 v46, 28, v36
	v_cmp_gt_u32_e64 s[12:13], 8, v41
	v_lshrrev_b32_e32 v45, 3, v41
	v_cndmask_b32_e64 v41, 0, v46, s[12:13]
	v_sub_u32_e32 v36, 29, v36
	v_lshlrev_b64 v[46:47], v41, v[34:35]
	v_cndmask_b32_e64 v36, v45, v36, s[12:13]
	v_lshlrev_b32_e32 v35, 20, v46
	v_lshlrev_b32_e32 v41, 24, v34
	v_bfrev_b32_e32 v45, 60
	v_and_b32_e32 v35, 0x700000, v35
	v_and_b32_e32 v41, 0x80000000, v41
	v_lshl_add_u32 v36, v36, 23, v45
	v_or3_b32 v35, v41, v36, v35
	v_lshrrev_b32_e32 v36, 16, v35
.LBB776_138:
	s_or_b64 exec, exec, s[26:27]
.LBB776_139:
	s_or_b64 exec, exec, s[24:25]
	v_mov_b32_e32 v35, v36
.LBB776_140:
	s_or_b64 exec, exec, s[14:15]
	v_lshrrev_b16_e32 v36, 8, v34
	v_cmp_ne_u16_e64 s[12:13], 0, v36
	v_mov_b32_e32 v45, 0
	v_mov_b32_e32 v41, 0
	s_and_saveexec_b64 s[14:15], s[12:13]
	s_cbranch_execz .LBB776_146
; %bb.141:
	s_movk_i32 s11, 0x80
	v_cmp_ne_u16_e64 s[12:13], s11, v36
	v_mov_b32_e32 v41, 0xffff8000
	s_and_saveexec_b64 s[24:25], s[12:13]
	s_cbranch_execz .LBB776_145
; %bb.142:
	s_movk_i32 s11, 0x7f
	v_and_b32_e32 v46, 0x7f, v36
	v_cmp_ne_u32_e64 s[12:13], s11, v46
	v_mov_b32_e32 v41, 0x7f80
	s_and_saveexec_b64 s[26:27], s[12:13]
	s_cbranch_execz .LBB776_144
; %bb.143:
	v_and_b32_e32 v41, 7, v36
	v_ffbh_u32_e32 v48, v41
	v_min_u32_e32 v50, 32, v48
	v_subrev_u32_e32 v48, 28, v50
	v_lshlrev_b64 v[48:49], v48, v[36:37]
	v_lshrrev_b32_e32 v47, 3, v46
	v_sub_u32_e32 v36, 29, v50
	v_and_b32_e32 v48, 7, v48
	v_cmp_gt_u32_e64 s[12:13], 8, v46
	v_cndmask_b32_e64 v36, v47, v36, s[12:13]
	v_cndmask_b32_e64 v41, v41, v48, s[12:13]
	v_lshlrev_b32_e32 v34, 16, v34
	v_bfrev_b32_e32 v46, 60
	v_lshlrev_b32_e32 v41, 20, v41
	v_and_b32_e32 v34, 0x80000000, v34
	v_lshl_add_u32 v36, v36, 23, v46
	v_or3_b32 v34, v34, v36, v41
	v_lshrrev_b32_e32 v41, 16, v34
.LBB776_144:
	s_or_b64 exec, exec, s[26:27]
.LBB776_145:
	s_or_b64 exec, exec, s[24:25]
.LBB776_146:
	s_or_b64 exec, exec, s[14:15]
	s_movk_i32 s11, 0xff
	v_and_b32_sdwa v36, v31, s11 dst_sel:DWORD dst_unused:UNUSED_PAD src0_sel:WORD_1 src1_sel:DWORD
	v_lshrrev_b32_e32 v34, 16, v31
	v_cmp_ne_u16_e64 s[12:13], 0, v36
	s_and_saveexec_b64 s[14:15], s[12:13]
	s_cbranch_execz .LBB776_152
; %bb.147:
	s_movk_i32 s11, 0x80
	v_cmp_ne_u16_e64 s[12:13], s11, v36
	v_mov_b32_e32 v45, 0xffff8000
	s_and_saveexec_b64 s[24:25], s[12:13]
	s_cbranch_execz .LBB776_151
; %bb.148:
	v_bfe_u32 v36, v31, 16, 7
	s_movk_i32 s11, 0x7f
	v_cmp_ne_u32_e64 s[12:13], s11, v36
	v_mov_b32_e32 v45, 0x7f80
	s_and_saveexec_b64 s[26:27], s[12:13]
	s_cbranch_execz .LBB776_150
; %bb.149:
	v_and_b32_e32 v45, 7, v34
	v_ffbh_u32_e32 v46, v45
	v_min_u32_e32 v49, 32, v46
	v_subrev_u32_e32 v46, 28, v49
	v_lshlrev_b64 v[46:47], v46, v[34:35]
	v_and_b32_e32 v46, 7, v46
	v_cmp_gt_u32_e64 s[12:13], 8, v36
	v_lshrrev_b32_e32 v48, 3, v36
	v_sub_u32_e32 v34, 29, v49
	v_cndmask_b32_e64 v36, v45, v46, s[12:13]
	v_mov_b32_e32 v45, 24
	v_cndmask_b32_e64 v34, v48, v34, s[12:13]
	v_lshlrev_b32_sdwa v45, v45, v31 dst_sel:DWORD dst_unused:UNUSED_PAD src0_sel:DWORD src1_sel:WORD_1
	v_bfrev_b32_e32 v46, 60
	v_lshlrev_b32_e32 v36, 20, v36
	v_and_b32_e32 v45, 0x80000000, v45
	v_lshl_add_u32 v34, v34, 23, v46
	v_or3_b32 v34, v45, v34, v36
	v_lshrrev_b32_e32 v45, 16, v34
.LBB776_150:
	s_or_b64 exec, exec, s[26:27]
.LBB776_151:
	s_or_b64 exec, exec, s[24:25]
.LBB776_152:
	s_or_b64 exec, exec, s[14:15]
	s_mov_b32 s12, -1
	s_mov_b32 s13, 0xffffff
	v_cmp_lt_u64_e64 s[12:13], s[12:13], v[30:31]
	v_mov_b32_e32 v36, 0
	v_mov_b32_e32 v34, 0
	s_and_saveexec_b64 s[14:15], s[12:13]
	s_cbranch_execz .LBB776_158
; %bb.153:
	v_lshrrev_b32_e32 v30, 24, v31
	s_movk_i32 s11, 0x80
	v_cmp_ne_u32_e64 s[12:13], s11, v30
	v_mov_b32_e32 v34, 0xffff8000
	s_and_saveexec_b64 s[24:25], s[12:13]
	s_cbranch_execz .LBB776_157
; %bb.154:
	v_bfe_u32 v31, v31, 24, 7
	s_movk_i32 s11, 0x7f
	v_cmp_ne_u32_e64 s[12:13], s11, v31
	v_mov_b32_e32 v34, 0x7f80
	s_and_saveexec_b64 s[26:27], s[12:13]
	s_cbranch_execz .LBB776_156
; %bb.155:
	v_and_b32_e32 v34, 7, v30
	v_ffbh_u32_e32 v46, v34
	v_min_u32_e32 v49, 32, v46
	v_subrev_u32_e32 v46, 28, v49
	v_lshlrev_b64 v[46:47], v46, v[30:31]
	v_lshrrev_b32_e32 v48, 3, v31
	v_sub_u32_e32 v47, 29, v49
	v_and_b32_e32 v46, 7, v46
	v_cmp_gt_u32_e64 s[12:13], 8, v31
	v_cndmask_b32_e64 v31, v48, v47, s[12:13]
	v_cndmask_b32_e64 v34, v34, v46, s[12:13]
	v_lshlrev_b32_e32 v30, 24, v30
	v_bfrev_b32_e32 v46, 60
	v_lshlrev_b32_e32 v34, 20, v34
	v_and_b32_e32 v30, 0x80000000, v30
	v_lshl_add_u32 v31, v31, 23, v46
	v_or3_b32 v30, v30, v31, v34
	v_lshrrev_b32_e32 v34, 16, v30
.LBB776_156:
	s_or_b64 exec, exec, s[26:27]
.LBB776_157:
	s_or_b64 exec, exec, s[24:25]
.LBB776_158:
	s_or_b64 exec, exec, s[14:15]
	s_mov_b32 s11, 0x5040100
	v_perm_b32 v31, v40, v39, s11
	v_perm_b32 v30, v37, v38, s11
	;; [unrolled: 1-line block ×4, first 2 shown]
	v_mfma_f32_4x4x4bf16_1k a[0:3], v[2:3], v[30:31], a[0:3] cbsz:4 abid:2
	v_cmp_ne_u16_sdwa s[12:13], v32, v36 src0_sel:BYTE_0 src1_sel:DWORD
	v_mfma_f32_4x4x4bf16_1k a[0:3], v[4:5], v[38:39], a[0:3] cbsz:4 abid:2
	s_and_saveexec_b64 s[14:15], s[12:13]
	s_cbranch_execz .LBB776_164
; %bb.159:
	s_movk_i32 s11, 0x80
	v_cmp_ne_u16_sdwa s[12:13], v32, s11 src0_sel:BYTE_0 src1_sel:DWORD
	v_mov_b32_e32 v36, 0xffff8000
	s_and_saveexec_b64 s[24:25], s[12:13]
	s_cbranch_execz .LBB776_163
; %bb.160:
	s_movk_i32 s11, 0x7f
	v_and_b32_e32 v30, 0x7f, v32
	v_cmp_ne_u32_e64 s[12:13], s11, v30
	v_mov_b32_e32 v36, 0x7f80
	s_and_saveexec_b64 s[26:27], s[12:13]
	s_cbranch_execz .LBB776_162
; %bb.161:
	v_and_b32_e32 v31, 7, v32
	v_ffbh_u32_e32 v31, v31
	v_min_u32_e32 v31, 32, v31
	v_subrev_u32_e32 v35, 28, v31
	v_cmp_gt_u32_e64 s[12:13], 8, v30
	v_lshrrev_b32_e32 v34, 3, v30
	v_sub_u32_e32 v31, 29, v31
	v_cndmask_b32_e64 v30, 0, v35, s[12:13]
	v_cndmask_b32_e64 v34, v34, v31, s[12:13]
	v_lshlrev_b64 v[30:31], v30, v[32:33]
	v_lshlrev_b32_e32 v30, 20, v30
	v_lshlrev_b32_e32 v31, 24, v32
	v_bfrev_b32_e32 v35, 60
	v_and_b32_e32 v30, 0x700000, v30
	v_and_b32_e32 v31, 0x80000000, v31
	v_lshl_add_u32 v34, v34, 23, v35
	v_or3_b32 v30, v31, v34, v30
	v_lshrrev_b32_e32 v36, 16, v30
.LBB776_162:
	s_or_b64 exec, exec, s[26:27]
.LBB776_163:
	s_or_b64 exec, exec, s[24:25]
.LBB776_164:
	s_or_b64 exec, exec, s[14:15]
	v_lshrrev_b16_e32 v30, 8, v32
	v_cmp_ne_u16_e64 s[12:13], 0, v30
	v_mov_b32_e32 v37, 0
	v_mov_b32_e32 v35, 0
	s_and_saveexec_b64 s[14:15], s[12:13]
	s_cbranch_execz .LBB776_170
; %bb.165:
	s_movk_i32 s11, 0x80
	v_cmp_ne_u16_e64 s[12:13], s11, v30
	v_mov_b32_e32 v35, 0xffff8000
	s_and_saveexec_b64 s[24:25], s[12:13]
	s_cbranch_execz .LBB776_169
; %bb.166:
	s_movk_i32 s11, 0x7f
	v_and_b32_e32 v31, 0x7f, v30
	v_cmp_ne_u32_e64 s[12:13], s11, v31
	v_mov_b32_e32 v35, 0x7f80
	s_and_saveexec_b64 s[26:27], s[12:13]
	s_cbranch_execz .LBB776_168
; %bb.167:
	v_and_b32_e32 v38, 7, v30
	v_ffbh_u32_e32 v34, v38
	v_min_u32_e32 v40, 32, v34
	v_subrev_u32_e32 v34, 28, v40
	v_lshlrev_b64 v[34:35], v34, v[30:31]
	v_lshrrev_b32_e32 v39, 3, v31
	v_sub_u32_e32 v30, 29, v40
	v_and_b32_e32 v34, 7, v34
	v_cmp_gt_u32_e64 s[12:13], 8, v31
	v_cndmask_b32_e64 v30, v39, v30, s[12:13]
	v_cndmask_b32_e64 v31, v38, v34, s[12:13]
	v_lshlrev_b32_e32 v34, 16, v32
	v_bfrev_b32_e32 v35, 60
	v_lshlrev_b32_e32 v31, 20, v31
	v_and_b32_e32 v34, 0x80000000, v34
	v_lshl_add_u32 v30, v30, 23, v35
	v_or3_b32 v30, v34, v30, v31
	v_lshrrev_b32_e32 v35, 16, v30
.LBB776_168:
	s_or_b64 exec, exec, s[26:27]
.LBB776_169:
	s_or_b64 exec, exec, s[24:25]
.LBB776_170:
	s_or_b64 exec, exec, s[14:15]
	s_movk_i32 s11, 0xff
	v_and_b32_sdwa v31, v32, s11 dst_sel:DWORD dst_unused:UNUSED_PAD src0_sel:WORD_1 src1_sel:DWORD
	v_lshrrev_b32_e32 v30, 16, v32
	v_cmp_ne_u16_e64 s[12:13], 0, v31
	s_and_saveexec_b64 s[14:15], s[12:13]
	s_cbranch_execz .LBB776_176
; %bb.171:
	s_movk_i32 s11, 0x80
	v_cmp_ne_u16_e64 s[12:13], s11, v31
	v_mov_b32_e32 v37, 0xffff8000
	s_and_saveexec_b64 s[24:25], s[12:13]
	s_cbranch_execz .LBB776_175
; %bb.172:
	v_bfe_u32 v31, v32, 16, 7
	s_movk_i32 s11, 0x7f
	v_cmp_ne_u32_e64 s[12:13], s11, v31
	v_mov_b32_e32 v37, 0x7f80
	s_and_saveexec_b64 s[26:27], s[12:13]
	s_cbranch_execz .LBB776_174
; %bb.173:
	v_and_b32_e32 v34, 7, v30
	v_ffbh_u32_e32 v38, v34
	v_min_u32_e32 v40, 32, v38
	v_subrev_u32_e32 v38, 28, v40
	v_lshlrev_b64 v[38:39], v38, v[30:31]
	v_and_b32_e32 v38, 7, v38
	v_cmp_gt_u32_e64 s[12:13], 8, v31
	v_lshrrev_b32_e32 v37, 3, v31
	v_sub_u32_e32 v30, 29, v40
	v_cndmask_b32_e64 v31, v34, v38, s[12:13]
	v_mov_b32_e32 v34, 24
	v_cndmask_b32_e64 v30, v37, v30, s[12:13]
	v_lshlrev_b32_sdwa v34, v34, v32 dst_sel:DWORD dst_unused:UNUSED_PAD src0_sel:DWORD src1_sel:WORD_1
	v_bfrev_b32_e32 v37, 60
	v_lshlrev_b32_e32 v31, 20, v31
	v_and_b32_e32 v34, 0x80000000, v34
	v_lshl_add_u32 v30, v30, 23, v37
	v_or3_b32 v30, v34, v30, v31
	v_lshrrev_b32_e32 v37, 16, v30
.LBB776_174:
	s_or_b64 exec, exec, s[26:27]
.LBB776_175:
	s_or_b64 exec, exec, s[24:25]
.LBB776_176:
	s_or_b64 exec, exec, s[14:15]
	s_mov_b32 s11, 0xffffff
	v_cmp_lt_u32_e64 s[12:13], s11, v32
	v_mov_b32_e32 v31, 0
	v_mov_b32_e32 v38, 0
	s_and_saveexec_b64 s[14:15], s[12:13]
	s_cbranch_execz .LBB776_182
; %bb.177:
	v_lshrrev_b32_e32 v30, 24, v32
	s_movk_i32 s11, 0x80
	v_cmp_ne_u32_e64 s[12:13], s11, v30
	v_mov_b32_e32 v38, 0xffff8000
	s_and_saveexec_b64 s[24:25], s[12:13]
	s_cbranch_execz .LBB776_181
; %bb.178:
	v_bfe_u32 v34, v32, 24, 7
	s_movk_i32 s11, 0x7f
	v_cmp_ne_u32_e64 s[12:13], s11, v34
	v_mov_b32_e32 v38, 0x7f80
	s_and_saveexec_b64 s[26:27], s[12:13]
	s_cbranch_execz .LBB776_180
; %bb.179:
	v_and_b32_e32 v40, 7, v30
	v_ffbh_u32_e32 v38, v40
	v_min_u32_e32 v45, 32, v38
	v_subrev_u32_e32 v38, 28, v45
	v_lshlrev_b64 v[38:39], v38, v[30:31]
	v_lshrrev_b32_e32 v41, 3, v34
	v_sub_u32_e32 v39, 29, v45
	v_and_b32_e32 v38, 7, v38
	v_cmp_gt_u32_e64 s[12:13], 8, v34
	v_cndmask_b32_e64 v34, v41, v39, s[12:13]
	v_cndmask_b32_e64 v38, v40, v38, s[12:13]
	v_lshlrev_b32_e32 v30, 24, v30
	v_bfrev_b32_e32 v39, 60
	v_lshlrev_b32_e32 v38, 20, v38
	v_and_b32_e32 v30, 0x80000000, v30
	v_lshl_add_u32 v34, v34, 23, v39
	v_or3_b32 v30, v30, v34, v38
	v_lshrrev_b32_e32 v38, 16, v30
.LBB776_180:
	s_or_b64 exec, exec, s[26:27]
.LBB776_181:
	s_or_b64 exec, exec, s[24:25]
.LBB776_182:
	s_or_b64 exec, exec, s[14:15]
	v_mov_b32_e32 v30, v33
	v_cmp_ne_u16_sdwa s[12:13], v33, v31 src0_sel:BYTE_0 src1_sel:DWORD
	s_and_saveexec_b64 s[14:15], s[12:13]
	s_cbranch_execz .LBB776_188
; %bb.183:
	s_movk_i32 s11, 0x80
	v_cmp_ne_u16_sdwa s[12:13], v33, s11 src0_sel:BYTE_0 src1_sel:DWORD
	v_mov_b32_e32 v34, 0xffff8000
	s_and_saveexec_b64 s[24:25], s[12:13]
	s_cbranch_execz .LBB776_187
; %bb.184:
	s_movk_i32 s11, 0x7f
	v_and_b32_e32 v39, 0x7f, v33
	v_cmp_ne_u32_e64 s[12:13], s11, v39
	v_mov_b32_e32 v34, 0x7f80
	s_and_saveexec_b64 s[26:27], s[12:13]
	s_cbranch_execz .LBB776_186
; %bb.185:
	v_and_b32_e32 v34, 7, v33
	v_ffbh_u32_e32 v34, v34
	v_min_u32_e32 v34, 32, v34
	v_subrev_u32_e32 v41, 28, v34
	v_cmp_gt_u32_e64 s[12:13], 8, v39
	v_lshrrev_b32_e32 v40, 3, v39
	v_sub_u32_e32 v34, 29, v34
	v_cndmask_b32_e64 v39, 0, v41, s[12:13]
	v_cndmask_b32_e64 v34, v40, v34, s[12:13]
	v_lshlrev_b64 v[40:41], v39, v[30:31]
	v_lshlrev_b32_e32 v31, 20, v40
	v_lshlrev_b32_e32 v39, 24, v30
	v_bfrev_b32_e32 v40, 60
	v_and_b32_e32 v31, 0x700000, v31
	v_and_b32_e32 v39, 0x80000000, v39
	v_lshl_add_u32 v34, v34, 23, v40
	v_or3_b32 v31, v39, v34, v31
	v_lshrrev_b32_e32 v34, 16, v31
.LBB776_186:
	s_or_b64 exec, exec, s[26:27]
.LBB776_187:
	s_or_b64 exec, exec, s[24:25]
	v_mov_b32_e32 v31, v34
.LBB776_188:
	s_or_b64 exec, exec, s[14:15]
	v_lshrrev_b16_e32 v34, 8, v30
	v_cmp_ne_u16_e64 s[12:13], 0, v34
	v_mov_b32_e32 v40, 0
	v_mov_b32_e32 v39, 0
	s_and_saveexec_b64 s[14:15], s[12:13]
	s_cbranch_execz .LBB776_194
; %bb.189:
	s_movk_i32 s11, 0x80
	v_cmp_ne_u16_e64 s[12:13], s11, v34
	v_mov_b32_e32 v39, 0xffff8000
	s_and_saveexec_b64 s[24:25], s[12:13]
	s_cbranch_execz .LBB776_193
; %bb.190:
	s_movk_i32 s11, 0x7f
	v_and_b32_e32 v41, 0x7f, v34
	v_cmp_ne_u32_e64 s[12:13], s11, v41
	v_mov_b32_e32 v39, 0x7f80
	s_and_saveexec_b64 s[26:27], s[12:13]
	s_cbranch_execz .LBB776_192
; %bb.191:
	v_and_b32_e32 v39, 7, v34
	v_ffbh_u32_e32 v46, v39
	v_min_u32_e32 v48, 32, v46
	v_subrev_u32_e32 v46, 28, v48
	v_lshlrev_b64 v[46:47], v46, v[34:35]
	v_lshrrev_b32_e32 v45, 3, v41
	v_sub_u32_e32 v34, 29, v48
	v_and_b32_e32 v46, 7, v46
	v_cmp_gt_u32_e64 s[12:13], 8, v41
	v_cndmask_b32_e64 v34, v45, v34, s[12:13]
	v_cndmask_b32_e64 v39, v39, v46, s[12:13]
	v_lshlrev_b32_e32 v30, 16, v30
	v_bfrev_b32_e32 v41, 60
	v_lshlrev_b32_e32 v39, 20, v39
	v_and_b32_e32 v30, 0x80000000, v30
	v_lshl_add_u32 v34, v34, 23, v41
	v_or3_b32 v30, v30, v34, v39
	v_lshrrev_b32_e32 v39, 16, v30
.LBB776_192:
	s_or_b64 exec, exec, s[26:27]
.LBB776_193:
	s_or_b64 exec, exec, s[24:25]
.LBB776_194:
	s_or_b64 exec, exec, s[14:15]
	s_movk_i32 s11, 0xff
	v_and_b32_sdwa v34, v33, s11 dst_sel:DWORD dst_unused:UNUSED_PAD src0_sel:WORD_1 src1_sel:DWORD
	v_lshrrev_b32_e32 v30, 16, v33
	v_cmp_ne_u16_e64 s[12:13], 0, v34
	s_and_saveexec_b64 s[14:15], s[12:13]
	s_cbranch_execz .LBB776_200
; %bb.195:
	s_movk_i32 s11, 0x80
	v_cmp_ne_u16_e64 s[12:13], s11, v34
	v_mov_b32_e32 v40, 0xffff8000
	s_and_saveexec_b64 s[24:25], s[12:13]
	s_cbranch_execz .LBB776_199
; %bb.196:
	v_bfe_u32 v34, v33, 16, 7
	s_movk_i32 s11, 0x7f
	v_cmp_ne_u32_e64 s[12:13], s11, v34
	v_mov_b32_e32 v40, 0x7f80
	s_and_saveexec_b64 s[26:27], s[12:13]
	s_cbranch_execz .LBB776_198
; %bb.197:
	v_and_b32_e32 v45, 7, v30
	v_ffbh_u32_e32 v40, v45
	v_min_u32_e32 v47, 32, v40
	v_subrev_u32_e32 v40, 28, v47
	v_lshlrev_b64 v[40:41], v40, v[30:31]
	v_and_b32_e32 v40, 7, v40
	v_cmp_gt_u32_e64 s[12:13], 8, v34
	v_lshrrev_b32_e32 v46, 3, v34
	v_sub_u32_e32 v30, 29, v47
	v_cndmask_b32_e64 v34, v45, v40, s[12:13]
	v_mov_b32_e32 v40, 24
	v_cndmask_b32_e64 v30, v46, v30, s[12:13]
	v_lshlrev_b32_sdwa v40, v40, v33 dst_sel:DWORD dst_unused:UNUSED_PAD src0_sel:DWORD src1_sel:WORD_1
	v_bfrev_b32_e32 v41, 60
	v_lshlrev_b32_e32 v34, 20, v34
	v_and_b32_e32 v40, 0x80000000, v40
	v_lshl_add_u32 v30, v30, 23, v41
	v_or3_b32 v30, v40, v30, v34
	v_lshrrev_b32_e32 v40, 16, v30
.LBB776_198:
	s_or_b64 exec, exec, s[26:27]
.LBB776_199:
	s_or_b64 exec, exec, s[24:25]
.LBB776_200:
	s_or_b64 exec, exec, s[14:15]
	s_mov_b32 s12, -1
	s_mov_b32 s13, 0xffffff
	v_cmp_lt_u64_e64 s[12:13], s[12:13], v[32:33]
	v_mov_b32_e32 v34, 0
	v_mov_b32_e32 v32, 0
	s_and_saveexec_b64 s[14:15], s[12:13]
	s_cbranch_execz .LBB776_206
; %bb.201:
	v_lshrrev_b32_e32 v30, 24, v33
	s_movk_i32 s11, 0x80
	v_cmp_ne_u32_e64 s[12:13], s11, v30
	v_mov_b32_e32 v32, 0xffff8000
	s_and_saveexec_b64 s[24:25], s[12:13]
	s_cbranch_execz .LBB776_205
; %bb.202:
	v_bfe_u32 v33, v33, 24, 7
	s_movk_i32 s11, 0x7f
	v_cmp_ne_u32_e64 s[12:13], s11, v33
	v_mov_b32_e32 v32, 0x7f80
	s_and_saveexec_b64 s[26:27], s[12:13]
	s_cbranch_execz .LBB776_204
; %bb.203:
	v_and_b32_e32 v32, 7, v30
	v_ffbh_u32_e32 v45, v32
	v_min_u32_e32 v45, 32, v45
	v_subrev_u32_e32 v46, 28, v45
	v_lshlrev_b64 v[46:47], v46, v[30:31]
	v_lshrrev_b32_e32 v41, 3, v33
	v_sub_u32_e32 v45, 29, v45
	v_and_b32_e32 v46, 7, v46
	v_cmp_gt_u32_e64 s[12:13], 8, v33
	v_cndmask_b32_e64 v33, v41, v45, s[12:13]
	v_cndmask_b32_e64 v32, v32, v46, s[12:13]
	v_lshlrev_b32_e32 v30, 24, v30
	v_bfrev_b32_e32 v41, 60
	v_lshlrev_b32_e32 v32, 20, v32
	v_and_b32_e32 v30, 0x80000000, v30
	v_lshl_add_u32 v33, v33, 23, v41
	v_or3_b32 v30, v30, v33, v32
	v_lshrrev_b32_e32 v32, 16, v30
.LBB776_204:
	s_or_b64 exec, exec, s[26:27]
.LBB776_205:
	s_or_b64 exec, exec, s[24:25]
.LBB776_206:
	s_or_b64 exec, exec, s[14:15]
	s_mov_b32 s11, 0x5040100
	v_perm_b32 v37, v38, v37, s11
	v_perm_b32 v36, v35, v36, s11
	;; [unrolled: 1-line block ×4, first 2 shown]
	v_mfma_f32_4x4x4bf16_1k a[0:3], v[2:3], v[36:37], a[0:3] cbsz:4 abid:3
	v_cmp_ne_u16_sdwa s[12:13], v26, v34 src0_sel:BYTE_0 src1_sel:DWORD
	v_mfma_f32_4x4x4bf16_1k a[0:3], v[4:5], v[32:33], a[0:3] cbsz:4 abid:3
	s_and_saveexec_b64 s[14:15], s[12:13]
	s_cbranch_execz .LBB776_212
; %bb.207:
	s_movk_i32 s11, 0x80
	v_cmp_ne_u16_sdwa s[12:13], v26, s11 src0_sel:BYTE_0 src1_sel:DWORD
	v_mov_b32_e32 v34, 0xffff8000
	s_and_saveexec_b64 s[24:25], s[12:13]
	s_cbranch_execz .LBB776_211
; %bb.208:
	s_movk_i32 s11, 0x7f
	v_and_b32_e32 v30, 0x7f, v26
	v_cmp_ne_u32_e64 s[12:13], s11, v30
	v_mov_b32_e32 v34, 0x7f80
	s_and_saveexec_b64 s[26:27], s[12:13]
	s_cbranch_execz .LBB776_210
; %bb.209:
	v_and_b32_e32 v31, 7, v26
	v_ffbh_u32_e32 v31, v31
	v_min_u32_e32 v31, 32, v31
	v_subrev_u32_e32 v33, 28, v31
	v_cmp_gt_u32_e64 s[12:13], 8, v30
	v_lshrrev_b32_e32 v32, 3, v30
	v_sub_u32_e32 v31, 29, v31
	v_cndmask_b32_e64 v30, 0, v33, s[12:13]
	v_cndmask_b32_e64 v32, v32, v31, s[12:13]
	v_lshlrev_b64 v[30:31], v30, v[26:27]
	v_lshlrev_b32_e32 v30, 20, v30
	v_lshlrev_b32_e32 v31, 24, v26
	v_bfrev_b32_e32 v33, 60
	v_and_b32_e32 v30, 0x700000, v30
	v_and_b32_e32 v31, 0x80000000, v31
	v_lshl_add_u32 v32, v32, 23, v33
	v_or3_b32 v30, v31, v32, v30
	v_lshrrev_b32_e32 v34, 16, v30
.LBB776_210:
	s_or_b64 exec, exec, s[26:27]
.LBB776_211:
	s_or_b64 exec, exec, s[24:25]
.LBB776_212:
	s_or_b64 exec, exec, s[14:15]
	v_lshrrev_b16_e32 v30, 8, v26
	v_cmp_ne_u16_e64 s[12:13], 0, v30
	v_mov_b32_e32 v35, 0
	v_mov_b32_e32 v33, 0
	s_and_saveexec_b64 s[14:15], s[12:13]
	s_cbranch_execz .LBB776_218
; %bb.213:
	s_movk_i32 s11, 0x80
	v_cmp_ne_u16_e64 s[12:13], s11, v30
	v_mov_b32_e32 v33, 0xffff8000
	s_and_saveexec_b64 s[24:25], s[12:13]
	s_cbranch_execz .LBB776_217
; %bb.214:
	s_movk_i32 s11, 0x7f
	v_and_b32_e32 v31, 0x7f, v30
	v_cmp_ne_u32_e64 s[12:13], s11, v31
	v_mov_b32_e32 v33, 0x7f80
	s_and_saveexec_b64 s[26:27], s[12:13]
	s_cbranch_execz .LBB776_216
; %bb.215:
	v_and_b32_e32 v36, 7, v30
	v_ffbh_u32_e32 v32, v36
	v_min_u32_e32 v38, 32, v32
	v_subrev_u32_e32 v32, 28, v38
	v_lshlrev_b64 v[32:33], v32, v[30:31]
	v_lshrrev_b32_e32 v37, 3, v31
	v_sub_u32_e32 v30, 29, v38
	v_and_b32_e32 v32, 7, v32
	v_cmp_gt_u32_e64 s[12:13], 8, v31
	v_cndmask_b32_e64 v30, v37, v30, s[12:13]
	v_cndmask_b32_e64 v31, v36, v32, s[12:13]
	v_lshlrev_b32_e32 v32, 16, v26
	v_bfrev_b32_e32 v33, 60
	v_lshlrev_b32_e32 v31, 20, v31
	v_and_b32_e32 v32, 0x80000000, v32
	v_lshl_add_u32 v30, v30, 23, v33
	v_or3_b32 v30, v32, v30, v31
	v_lshrrev_b32_e32 v33, 16, v30
.LBB776_216:
	s_or_b64 exec, exec, s[26:27]
.LBB776_217:
	s_or_b64 exec, exec, s[24:25]
.LBB776_218:
	s_or_b64 exec, exec, s[14:15]
	s_movk_i32 s11, 0xff
	v_and_b32_sdwa v31, v26, s11 dst_sel:DWORD dst_unused:UNUSED_PAD src0_sel:WORD_1 src1_sel:DWORD
	v_lshrrev_b32_e32 v30, 16, v26
	v_cmp_ne_u16_e64 s[12:13], 0, v31
	s_and_saveexec_b64 s[14:15], s[12:13]
	s_cbranch_execz .LBB776_224
; %bb.219:
	s_movk_i32 s11, 0x80
	v_cmp_ne_u16_e64 s[12:13], s11, v31
	v_mov_b32_e32 v35, 0xffff8000
	s_and_saveexec_b64 s[24:25], s[12:13]
	s_cbranch_execz .LBB776_223
; %bb.220:
	v_bfe_u32 v31, v26, 16, 7
	s_movk_i32 s11, 0x7f
	v_cmp_ne_u32_e64 s[12:13], s11, v31
	v_mov_b32_e32 v35, 0x7f80
	s_and_saveexec_b64 s[26:27], s[12:13]
	s_cbranch_execz .LBB776_222
; %bb.221:
	v_and_b32_e32 v32, 7, v30
	v_ffbh_u32_e32 v36, v32
	v_min_u32_e32 v38, 32, v36
	v_subrev_u32_e32 v36, 28, v38
	v_lshlrev_b64 v[36:37], v36, v[30:31]
	v_and_b32_e32 v36, 7, v36
	v_cmp_gt_u32_e64 s[12:13], 8, v31
	v_lshrrev_b32_e32 v35, 3, v31
	v_sub_u32_e32 v30, 29, v38
	v_cndmask_b32_e64 v31, v32, v36, s[12:13]
	v_mov_b32_e32 v32, 24
	v_cndmask_b32_e64 v30, v35, v30, s[12:13]
	v_lshlrev_b32_sdwa v32, v32, v26 dst_sel:DWORD dst_unused:UNUSED_PAD src0_sel:DWORD src1_sel:WORD_1
	v_bfrev_b32_e32 v35, 60
	v_lshlrev_b32_e32 v31, 20, v31
	v_and_b32_e32 v32, 0x80000000, v32
	v_lshl_add_u32 v30, v30, 23, v35
	v_or3_b32 v30, v32, v30, v31
	v_lshrrev_b32_e32 v35, 16, v30
.LBB776_222:
	s_or_b64 exec, exec, s[26:27]
.LBB776_223:
	s_or_b64 exec, exec, s[24:25]
.LBB776_224:
	s_or_b64 exec, exec, s[14:15]
	s_mov_b32 s11, 0xffffff
	v_cmp_lt_u32_e64 s[12:13], s11, v26
	v_mov_b32_e32 v31, 0
	v_mov_b32_e32 v36, 0
	s_and_saveexec_b64 s[14:15], s[12:13]
	s_cbranch_execz .LBB776_230
; %bb.225:
	v_lshrrev_b32_e32 v30, 24, v26
	s_movk_i32 s11, 0x80
	v_cmp_ne_u32_e64 s[12:13], s11, v30
	v_mov_b32_e32 v36, 0xffff8000
	s_and_saveexec_b64 s[24:25], s[12:13]
	s_cbranch_execz .LBB776_229
; %bb.226:
	v_bfe_u32 v32, v26, 24, 7
	s_movk_i32 s11, 0x7f
	v_cmp_ne_u32_e64 s[12:13], s11, v32
	v_mov_b32_e32 v36, 0x7f80
	s_and_saveexec_b64 s[26:27], s[12:13]
	s_cbranch_execz .LBB776_228
; %bb.227:
	v_and_b32_e32 v38, 7, v30
	v_ffbh_u32_e32 v36, v38
	v_min_u32_e32 v40, 32, v36
	v_subrev_u32_e32 v36, 28, v40
	v_lshlrev_b64 v[36:37], v36, v[30:31]
	v_lshrrev_b32_e32 v39, 3, v32
	v_sub_u32_e32 v37, 29, v40
	v_and_b32_e32 v36, 7, v36
	v_cmp_gt_u32_e64 s[12:13], 8, v32
	v_cndmask_b32_e64 v32, v39, v37, s[12:13]
	v_cndmask_b32_e64 v36, v38, v36, s[12:13]
	v_lshlrev_b32_e32 v30, 24, v30
	v_bfrev_b32_e32 v37, 60
	v_lshlrev_b32_e32 v36, 20, v36
	v_and_b32_e32 v30, 0x80000000, v30
	v_lshl_add_u32 v32, v32, 23, v37
	v_or3_b32 v30, v30, v32, v36
	v_lshrrev_b32_e32 v36, 16, v30
.LBB776_228:
	s_or_b64 exec, exec, s[26:27]
.LBB776_229:
	s_or_b64 exec, exec, s[24:25]
.LBB776_230:
	s_or_b64 exec, exec, s[14:15]
	v_mov_b32_e32 v30, v27
	v_cmp_ne_u16_sdwa s[12:13], v27, v31 src0_sel:BYTE_0 src1_sel:DWORD
	s_and_saveexec_b64 s[14:15], s[12:13]
	s_cbranch_execz .LBB776_236
; %bb.231:
	s_movk_i32 s11, 0x80
	v_cmp_ne_u16_sdwa s[12:13], v27, s11 src0_sel:BYTE_0 src1_sel:DWORD
	v_mov_b32_e32 v32, 0xffff8000
	s_and_saveexec_b64 s[24:25], s[12:13]
	s_cbranch_execz .LBB776_235
; %bb.232:
	s_movk_i32 s11, 0x7f
	v_and_b32_e32 v37, 0x7f, v27
	v_cmp_ne_u32_e64 s[12:13], s11, v37
	v_mov_b32_e32 v32, 0x7f80
	s_and_saveexec_b64 s[26:27], s[12:13]
	s_cbranch_execz .LBB776_234
; %bb.233:
	v_and_b32_e32 v32, 7, v27
	v_ffbh_u32_e32 v32, v32
	v_min_u32_e32 v32, 32, v32
	v_subrev_u32_e32 v39, 28, v32
	v_cmp_gt_u32_e64 s[12:13], 8, v37
	v_lshrrev_b32_e32 v38, 3, v37
	v_sub_u32_e32 v32, 29, v32
	v_cndmask_b32_e64 v37, 0, v39, s[12:13]
	v_cndmask_b32_e64 v32, v38, v32, s[12:13]
	v_lshlrev_b64 v[38:39], v37, v[30:31]
	v_lshlrev_b32_e32 v31, 20, v38
	v_lshlrev_b32_e32 v37, 24, v30
	v_bfrev_b32_e32 v38, 60
	v_and_b32_e32 v31, 0x700000, v31
	v_and_b32_e32 v37, 0x80000000, v37
	v_lshl_add_u32 v32, v32, 23, v38
	v_or3_b32 v31, v37, v32, v31
	v_lshrrev_b32_e32 v32, 16, v31
.LBB776_234:
	s_or_b64 exec, exec, s[26:27]
.LBB776_235:
	s_or_b64 exec, exec, s[24:25]
	v_mov_b32_e32 v31, v32
.LBB776_236:
	s_or_b64 exec, exec, s[14:15]
	v_lshrrev_b16_e32 v32, 8, v30
	v_cmp_ne_u16_e64 s[12:13], 0, v32
	v_mov_b32_e32 v38, 0
	v_mov_b32_e32 v37, 0
	s_and_saveexec_b64 s[14:15], s[12:13]
	s_cbranch_execz .LBB776_242
; %bb.237:
	s_movk_i32 s11, 0x80
	v_cmp_ne_u16_e64 s[12:13], s11, v32
	v_mov_b32_e32 v37, 0xffff8000
	s_and_saveexec_b64 s[24:25], s[12:13]
	s_cbranch_execz .LBB776_241
; %bb.238:
	s_movk_i32 s11, 0x7f
	v_and_b32_e32 v39, 0x7f, v32
	v_cmp_ne_u32_e64 s[12:13], s11, v39
	v_mov_b32_e32 v37, 0x7f80
	s_and_saveexec_b64 s[26:27], s[12:13]
	s_cbranch_execz .LBB776_240
; %bb.239:
	v_and_b32_e32 v37, 7, v32
	v_ffbh_u32_e32 v40, v37
	v_min_u32_e32 v46, 32, v40
	v_subrev_u32_e32 v40, 28, v46
	v_lshlrev_b64 v[40:41], v40, v[32:33]
	v_lshrrev_b32_e32 v45, 3, v39
	v_sub_u32_e32 v32, 29, v46
	v_and_b32_e32 v40, 7, v40
	v_cmp_gt_u32_e64 s[12:13], 8, v39
	v_cndmask_b32_e64 v32, v45, v32, s[12:13]
	v_cndmask_b32_e64 v37, v37, v40, s[12:13]
	v_lshlrev_b32_e32 v30, 16, v30
	v_bfrev_b32_e32 v39, 60
	v_lshlrev_b32_e32 v37, 20, v37
	v_and_b32_e32 v30, 0x80000000, v30
	v_lshl_add_u32 v32, v32, 23, v39
	v_or3_b32 v30, v30, v32, v37
	v_lshrrev_b32_e32 v37, 16, v30
.LBB776_240:
	s_or_b64 exec, exec, s[26:27]
.LBB776_241:
	s_or_b64 exec, exec, s[24:25]
.LBB776_242:
	s_or_b64 exec, exec, s[14:15]
	s_movk_i32 s11, 0xff
	v_and_b32_sdwa v32, v27, s11 dst_sel:DWORD dst_unused:UNUSED_PAD src0_sel:WORD_1 src1_sel:DWORD
	v_lshrrev_b32_e32 v30, 16, v27
	v_cmp_ne_u16_e64 s[12:13], 0, v32
	s_and_saveexec_b64 s[14:15], s[12:13]
	s_cbranch_execz .LBB776_248
; %bb.243:
	s_movk_i32 s11, 0x80
	v_cmp_ne_u16_e64 s[12:13], s11, v32
	v_mov_b32_e32 v38, 0xffff8000
	s_and_saveexec_b64 s[24:25], s[12:13]
	s_cbranch_execz .LBB776_247
; %bb.244:
	v_bfe_u32 v32, v27, 16, 7
	s_movk_i32 s11, 0x7f
	v_cmp_ne_u32_e64 s[12:13], s11, v32
	v_mov_b32_e32 v38, 0x7f80
	s_and_saveexec_b64 s[26:27], s[12:13]
	s_cbranch_execz .LBB776_246
; %bb.245:
	v_and_b32_e32 v40, 7, v30
	v_ffbh_u32_e32 v38, v40
	v_min_u32_e32 v45, 32, v38
	v_subrev_u32_e32 v38, 28, v45
	v_lshlrev_b64 v[38:39], v38, v[30:31]
	v_and_b32_e32 v38, 7, v38
	v_cmp_gt_u32_e64 s[12:13], 8, v32
	v_lshrrev_b32_e32 v41, 3, v32
	v_sub_u32_e32 v30, 29, v45
	v_cndmask_b32_e64 v32, v40, v38, s[12:13]
	v_mov_b32_e32 v38, 24
	v_cndmask_b32_e64 v30, v41, v30, s[12:13]
	v_lshlrev_b32_sdwa v38, v38, v27 dst_sel:DWORD dst_unused:UNUSED_PAD src0_sel:DWORD src1_sel:WORD_1
	v_bfrev_b32_e32 v39, 60
	v_lshlrev_b32_e32 v32, 20, v32
	v_and_b32_e32 v38, 0x80000000, v38
	v_lshl_add_u32 v30, v30, 23, v39
	v_or3_b32 v30, v38, v30, v32
	v_lshrrev_b32_e32 v38, 16, v30
.LBB776_246:
	s_or_b64 exec, exec, s[26:27]
.LBB776_247:
	s_or_b64 exec, exec, s[24:25]
.LBB776_248:
	s_or_b64 exec, exec, s[14:15]
	s_mov_b32 s12, -1
	s_mov_b32 s13, 0xffffff
	v_cmp_lt_u64_e64 s[12:13], s[12:13], v[26:27]
	v_mov_b32_e32 v32, 0
	v_mov_b32_e32 v30, 0
	s_and_saveexec_b64 s[14:15], s[12:13]
	s_cbranch_execz .LBB776_254
; %bb.249:
	v_lshrrev_b32_e32 v26, 24, v27
	s_movk_i32 s11, 0x80
	v_cmp_ne_u32_e64 s[12:13], s11, v26
	v_mov_b32_e32 v30, 0xffff8000
	s_and_saveexec_b64 s[24:25], s[12:13]
	s_cbranch_execz .LBB776_253
; %bb.250:
	v_bfe_u32 v27, v27, 24, 7
	s_movk_i32 s11, 0x7f
	v_cmp_ne_u32_e64 s[12:13], s11, v27
	v_mov_b32_e32 v30, 0x7f80
	s_and_saveexec_b64 s[26:27], s[12:13]
	s_cbranch_execz .LBB776_252
; %bb.251:
	v_and_b32_e32 v30, 7, v26
	v_ffbh_u32_e32 v40, v30
	v_min_u32_e32 v45, 32, v40
	v_subrev_u32_e32 v40, 28, v45
	v_lshlrev_b64 v[40:41], v40, v[26:27]
	v_lshrrev_b32_e32 v39, 3, v27
	v_sub_u32_e32 v41, 29, v45
	v_and_b32_e32 v40, 7, v40
	v_cmp_gt_u32_e64 s[12:13], 8, v27
	v_cndmask_b32_e64 v27, v39, v41, s[12:13]
	v_cndmask_b32_e64 v30, v30, v40, s[12:13]
	v_lshlrev_b32_e32 v26, 24, v26
	v_bfrev_b32_e32 v39, 60
	v_lshlrev_b32_e32 v30, 20, v30
	v_and_b32_e32 v26, 0x80000000, v26
	v_lshl_add_u32 v27, v27, 23, v39
	v_or3_b32 v26, v26, v27, v30
	v_lshrrev_b32_e32 v30, 16, v26
.LBB776_252:
	s_or_b64 exec, exec, s[26:27]
.LBB776_253:
	s_or_b64 exec, exec, s[24:25]
.LBB776_254:
	s_or_b64 exec, exec, s[14:15]
	s_mov_b32 s11, 0x5040100
	v_perm_b32 v27, v36, v35, s11
	v_perm_b32 v26, v33, v34, s11
	;; [unrolled: 1-line block ×4, first 2 shown]
	v_mfma_f32_4x4x4bf16_1k a[0:3], v[2:3], v[26:27], a[0:3] cbsz:4 abid:4
	v_cmp_ne_u16_sdwa s[12:13], v28, v32 src0_sel:BYTE_0 src1_sel:DWORD
	v_mfma_f32_4x4x4bf16_1k a[0:3], v[4:5], v[34:35], a[0:3] cbsz:4 abid:4
	s_and_saveexec_b64 s[14:15], s[12:13]
	s_cbranch_execz .LBB776_260
; %bb.255:
	s_movk_i32 s11, 0x80
	v_cmp_ne_u16_sdwa s[12:13], v28, s11 src0_sel:BYTE_0 src1_sel:DWORD
	v_mov_b32_e32 v32, 0xffff8000
	s_and_saveexec_b64 s[24:25], s[12:13]
	s_cbranch_execz .LBB776_259
; %bb.256:
	s_movk_i32 s11, 0x7f
	v_and_b32_e32 v26, 0x7f, v28
	v_cmp_ne_u32_e64 s[12:13], s11, v26
	v_mov_b32_e32 v32, 0x7f80
	s_and_saveexec_b64 s[26:27], s[12:13]
	s_cbranch_execz .LBB776_258
; %bb.257:
	v_and_b32_e32 v27, 7, v28
	v_ffbh_u32_e32 v27, v27
	v_min_u32_e32 v27, 32, v27
	v_subrev_u32_e32 v31, 28, v27
	v_cmp_gt_u32_e64 s[12:13], 8, v26
	v_lshrrev_b32_e32 v30, 3, v26
	v_sub_u32_e32 v27, 29, v27
	v_cndmask_b32_e64 v26, 0, v31, s[12:13]
	v_cndmask_b32_e64 v30, v30, v27, s[12:13]
	v_lshlrev_b64 v[26:27], v26, v[28:29]
	v_lshlrev_b32_e32 v26, 20, v26
	v_lshlrev_b32_e32 v27, 24, v28
	v_bfrev_b32_e32 v31, 60
	v_and_b32_e32 v26, 0x700000, v26
	v_and_b32_e32 v27, 0x80000000, v27
	v_lshl_add_u32 v30, v30, 23, v31
	v_or3_b32 v26, v27, v30, v26
	v_lshrrev_b32_e32 v32, 16, v26
.LBB776_258:
	s_or_b64 exec, exec, s[26:27]
.LBB776_259:
	s_or_b64 exec, exec, s[24:25]
.LBB776_260:
	s_or_b64 exec, exec, s[14:15]
	v_lshrrev_b16_e32 v26, 8, v28
	v_cmp_ne_u16_e64 s[12:13], 0, v26
	v_mov_b32_e32 v33, 0
	v_mov_b32_e32 v31, 0
	s_and_saveexec_b64 s[14:15], s[12:13]
	s_cbranch_execz .LBB776_266
; %bb.261:
	s_movk_i32 s11, 0x80
	v_cmp_ne_u16_e64 s[12:13], s11, v26
	v_mov_b32_e32 v31, 0xffff8000
	s_and_saveexec_b64 s[24:25], s[12:13]
	s_cbranch_execz .LBB776_265
; %bb.262:
	s_movk_i32 s11, 0x7f
	v_and_b32_e32 v27, 0x7f, v26
	v_cmp_ne_u32_e64 s[12:13], s11, v27
	v_mov_b32_e32 v31, 0x7f80
	s_and_saveexec_b64 s[26:27], s[12:13]
	s_cbranch_execz .LBB776_264
; %bb.263:
	v_and_b32_e32 v34, 7, v26
	v_ffbh_u32_e32 v30, v34
	v_min_u32_e32 v36, 32, v30
	v_subrev_u32_e32 v30, 28, v36
	v_lshlrev_b64 v[30:31], v30, v[26:27]
	v_lshrrev_b32_e32 v35, 3, v27
	v_sub_u32_e32 v26, 29, v36
	v_and_b32_e32 v30, 7, v30
	v_cmp_gt_u32_e64 s[12:13], 8, v27
	v_cndmask_b32_e64 v26, v35, v26, s[12:13]
	v_cndmask_b32_e64 v27, v34, v30, s[12:13]
	v_lshlrev_b32_e32 v30, 16, v28
	v_bfrev_b32_e32 v31, 60
	v_lshlrev_b32_e32 v27, 20, v27
	v_and_b32_e32 v30, 0x80000000, v30
	v_lshl_add_u32 v26, v26, 23, v31
	v_or3_b32 v26, v30, v26, v27
	v_lshrrev_b32_e32 v31, 16, v26
.LBB776_264:
	s_or_b64 exec, exec, s[26:27]
.LBB776_265:
	s_or_b64 exec, exec, s[24:25]
.LBB776_266:
	s_or_b64 exec, exec, s[14:15]
	s_movk_i32 s11, 0xff
	v_and_b32_sdwa v27, v28, s11 dst_sel:DWORD dst_unused:UNUSED_PAD src0_sel:WORD_1 src1_sel:DWORD
	v_lshrrev_b32_e32 v26, 16, v28
	v_cmp_ne_u16_e64 s[12:13], 0, v27
	s_and_saveexec_b64 s[14:15], s[12:13]
	s_cbranch_execz .LBB776_272
; %bb.267:
	s_movk_i32 s11, 0x80
	v_cmp_ne_u16_e64 s[12:13], s11, v27
	v_mov_b32_e32 v33, 0xffff8000
	s_and_saveexec_b64 s[24:25], s[12:13]
	s_cbranch_execz .LBB776_271
; %bb.268:
	v_bfe_u32 v27, v28, 16, 7
	s_movk_i32 s11, 0x7f
	v_cmp_ne_u32_e64 s[12:13], s11, v27
	v_mov_b32_e32 v33, 0x7f80
	s_and_saveexec_b64 s[26:27], s[12:13]
	s_cbranch_execz .LBB776_270
; %bb.269:
	v_and_b32_e32 v30, 7, v26
	v_ffbh_u32_e32 v34, v30
	v_min_u32_e32 v36, 32, v34
	v_subrev_u32_e32 v34, 28, v36
	v_lshlrev_b64 v[34:35], v34, v[26:27]
	v_and_b32_e32 v34, 7, v34
	v_cmp_gt_u32_e64 s[12:13], 8, v27
	v_lshrrev_b32_e32 v33, 3, v27
	v_sub_u32_e32 v26, 29, v36
	v_cndmask_b32_e64 v27, v30, v34, s[12:13]
	v_mov_b32_e32 v30, 24
	v_cndmask_b32_e64 v26, v33, v26, s[12:13]
	v_lshlrev_b32_sdwa v30, v30, v28 dst_sel:DWORD dst_unused:UNUSED_PAD src0_sel:DWORD src1_sel:WORD_1
	v_bfrev_b32_e32 v33, 60
	v_lshlrev_b32_e32 v27, 20, v27
	v_and_b32_e32 v30, 0x80000000, v30
	v_lshl_add_u32 v26, v26, 23, v33
	v_or3_b32 v26, v30, v26, v27
	v_lshrrev_b32_e32 v33, 16, v26
.LBB776_270:
	s_or_b64 exec, exec, s[26:27]
.LBB776_271:
	s_or_b64 exec, exec, s[24:25]
.LBB776_272:
	s_or_b64 exec, exec, s[14:15]
	s_mov_b32 s11, 0xffffff
	v_cmp_lt_u32_e64 s[12:13], s11, v28
	v_mov_b32_e32 v27, 0
	v_mov_b32_e32 v34, 0
	s_and_saveexec_b64 s[14:15], s[12:13]
	s_cbranch_execz .LBB776_278
; %bb.273:
	v_lshrrev_b32_e32 v26, 24, v28
	s_movk_i32 s11, 0x80
	v_cmp_ne_u32_e64 s[12:13], s11, v26
	v_mov_b32_e32 v34, 0xffff8000
	s_and_saveexec_b64 s[24:25], s[12:13]
	s_cbranch_execz .LBB776_277
; %bb.274:
	v_bfe_u32 v30, v28, 24, 7
	s_movk_i32 s11, 0x7f
	v_cmp_ne_u32_e64 s[12:13], s11, v30
	v_mov_b32_e32 v34, 0x7f80
	s_and_saveexec_b64 s[26:27], s[12:13]
	s_cbranch_execz .LBB776_276
; %bb.275:
	v_and_b32_e32 v36, 7, v26
	v_ffbh_u32_e32 v34, v36
	v_min_u32_e32 v38, 32, v34
	v_subrev_u32_e32 v34, 28, v38
	v_lshlrev_b64 v[34:35], v34, v[26:27]
	v_lshrrev_b32_e32 v37, 3, v30
	v_sub_u32_e32 v35, 29, v38
	v_and_b32_e32 v34, 7, v34
	v_cmp_gt_u32_e64 s[12:13], 8, v30
	v_cndmask_b32_e64 v30, v37, v35, s[12:13]
	v_cndmask_b32_e64 v34, v36, v34, s[12:13]
	v_lshlrev_b32_e32 v26, 24, v26
	v_bfrev_b32_e32 v35, 60
	v_lshlrev_b32_e32 v34, 20, v34
	v_and_b32_e32 v26, 0x80000000, v26
	v_lshl_add_u32 v30, v30, 23, v35
	v_or3_b32 v26, v26, v30, v34
	v_lshrrev_b32_e32 v34, 16, v26
.LBB776_276:
	s_or_b64 exec, exec, s[26:27]
.LBB776_277:
	s_or_b64 exec, exec, s[24:25]
.LBB776_278:
	s_or_b64 exec, exec, s[14:15]
	v_mov_b32_e32 v26, v29
	v_cmp_ne_u16_sdwa s[12:13], v29, v27 src0_sel:BYTE_0 src1_sel:DWORD
	s_and_saveexec_b64 s[14:15], s[12:13]
	s_cbranch_execz .LBB776_284
; %bb.279:
	s_movk_i32 s11, 0x80
	v_cmp_ne_u16_sdwa s[12:13], v29, s11 src0_sel:BYTE_0 src1_sel:DWORD
	v_mov_b32_e32 v30, 0xffff8000
	s_and_saveexec_b64 s[24:25], s[12:13]
	s_cbranch_execz .LBB776_283
; %bb.280:
	s_movk_i32 s11, 0x7f
	v_and_b32_e32 v35, 0x7f, v29
	v_cmp_ne_u32_e64 s[12:13], s11, v35
	v_mov_b32_e32 v30, 0x7f80
	s_and_saveexec_b64 s[26:27], s[12:13]
	s_cbranch_execz .LBB776_282
; %bb.281:
	v_and_b32_e32 v30, 7, v29
	v_ffbh_u32_e32 v30, v30
	v_min_u32_e32 v30, 32, v30
	v_subrev_u32_e32 v37, 28, v30
	v_cmp_gt_u32_e64 s[12:13], 8, v35
	v_lshrrev_b32_e32 v36, 3, v35
	v_sub_u32_e32 v30, 29, v30
	v_cndmask_b32_e64 v35, 0, v37, s[12:13]
	v_cndmask_b32_e64 v30, v36, v30, s[12:13]
	v_lshlrev_b64 v[36:37], v35, v[26:27]
	v_lshlrev_b32_e32 v27, 20, v36
	v_lshlrev_b32_e32 v35, 24, v26
	v_bfrev_b32_e32 v36, 60
	v_and_b32_e32 v27, 0x700000, v27
	v_and_b32_e32 v35, 0x80000000, v35
	v_lshl_add_u32 v30, v30, 23, v36
	v_or3_b32 v27, v35, v30, v27
	v_lshrrev_b32_e32 v30, 16, v27
.LBB776_282:
	s_or_b64 exec, exec, s[26:27]
.LBB776_283:
	s_or_b64 exec, exec, s[24:25]
	v_mov_b32_e32 v27, v30
.LBB776_284:
	s_or_b64 exec, exec, s[14:15]
	v_lshrrev_b16_e32 v30, 8, v26
	v_cmp_ne_u16_e64 s[12:13], 0, v30
	v_mov_b32_e32 v36, 0
	v_mov_b32_e32 v35, 0
	s_and_saveexec_b64 s[14:15], s[12:13]
	s_cbranch_execz .LBB776_290
; %bb.285:
	s_movk_i32 s11, 0x80
	v_cmp_ne_u16_e64 s[12:13], s11, v30
	v_mov_b32_e32 v35, 0xffff8000
	s_and_saveexec_b64 s[24:25], s[12:13]
	s_cbranch_execz .LBB776_289
; %bb.286:
	s_movk_i32 s11, 0x7f
	v_and_b32_e32 v37, 0x7f, v30
	v_cmp_ne_u32_e64 s[12:13], s11, v37
	v_mov_b32_e32 v35, 0x7f80
	s_and_saveexec_b64 s[26:27], s[12:13]
	s_cbranch_execz .LBB776_288
; %bb.287:
	v_and_b32_e32 v35, 7, v30
	v_ffbh_u32_e32 v38, v35
	v_min_u32_e32 v41, 32, v38
	v_subrev_u32_e32 v38, 28, v41
	v_lshlrev_b64 v[38:39], v38, v[30:31]
	v_lshrrev_b32_e32 v40, 3, v37
	v_sub_u32_e32 v30, 29, v41
	v_and_b32_e32 v38, 7, v38
	v_cmp_gt_u32_e64 s[12:13], 8, v37
	v_cndmask_b32_e64 v30, v40, v30, s[12:13]
	v_cndmask_b32_e64 v35, v35, v38, s[12:13]
	v_lshlrev_b32_e32 v26, 16, v26
	v_bfrev_b32_e32 v37, 60
	v_lshlrev_b32_e32 v35, 20, v35
	v_and_b32_e32 v26, 0x80000000, v26
	v_lshl_add_u32 v30, v30, 23, v37
	v_or3_b32 v26, v26, v30, v35
	v_lshrrev_b32_e32 v35, 16, v26
.LBB776_288:
	s_or_b64 exec, exec, s[26:27]
.LBB776_289:
	s_or_b64 exec, exec, s[24:25]
.LBB776_290:
	s_or_b64 exec, exec, s[14:15]
	s_movk_i32 s11, 0xff
	v_and_b32_sdwa v30, v29, s11 dst_sel:DWORD dst_unused:UNUSED_PAD src0_sel:WORD_1 src1_sel:DWORD
	v_lshrrev_b32_e32 v26, 16, v29
	v_cmp_ne_u16_e64 s[12:13], 0, v30
	s_and_saveexec_b64 s[14:15], s[12:13]
	s_cbranch_execz .LBB776_296
; %bb.291:
	s_movk_i32 s11, 0x80
	v_cmp_ne_u16_e64 s[12:13], s11, v30
	v_mov_b32_e32 v36, 0xffff8000
	s_and_saveexec_b64 s[24:25], s[12:13]
	s_cbranch_execz .LBB776_295
; %bb.292:
	v_bfe_u32 v30, v29, 16, 7
	s_movk_i32 s11, 0x7f
	v_cmp_ne_u32_e64 s[12:13], s11, v30
	v_mov_b32_e32 v36, 0x7f80
	s_and_saveexec_b64 s[26:27], s[12:13]
	s_cbranch_execz .LBB776_294
; %bb.293:
	v_and_b32_e32 v38, 7, v26
	v_ffbh_u32_e32 v36, v38
	v_min_u32_e32 v40, 32, v36
	v_subrev_u32_e32 v36, 28, v40
	v_lshlrev_b64 v[36:37], v36, v[26:27]
	v_and_b32_e32 v36, 7, v36
	v_cmp_gt_u32_e64 s[12:13], 8, v30
	v_lshrrev_b32_e32 v39, 3, v30
	v_sub_u32_e32 v26, 29, v40
	v_cndmask_b32_e64 v30, v38, v36, s[12:13]
	v_mov_b32_e32 v36, 24
	v_cndmask_b32_e64 v26, v39, v26, s[12:13]
	v_lshlrev_b32_sdwa v36, v36, v29 dst_sel:DWORD dst_unused:UNUSED_PAD src0_sel:DWORD src1_sel:WORD_1
	v_bfrev_b32_e32 v37, 60
	v_lshlrev_b32_e32 v30, 20, v30
	v_and_b32_e32 v36, 0x80000000, v36
	v_lshl_add_u32 v26, v26, 23, v37
	v_or3_b32 v26, v36, v26, v30
	v_lshrrev_b32_e32 v36, 16, v26
.LBB776_294:
	s_or_b64 exec, exec, s[26:27]
.LBB776_295:
	s_or_b64 exec, exec, s[24:25]
.LBB776_296:
	s_or_b64 exec, exec, s[14:15]
	s_mov_b32 s12, -1
	s_mov_b32 s13, 0xffffff
	v_cmp_lt_u64_e64 s[12:13], s[12:13], v[28:29]
	v_mov_b32_e32 v30, 0
	v_mov_b32_e32 v28, 0
	s_and_saveexec_b64 s[14:15], s[12:13]
	s_cbranch_execz .LBB776_302
; %bb.297:
	v_lshrrev_b32_e32 v26, 24, v29
	s_movk_i32 s11, 0x80
	v_cmp_ne_u32_e64 s[12:13], s11, v26
	v_mov_b32_e32 v28, 0xffff8000
	s_and_saveexec_b64 s[24:25], s[12:13]
	s_cbranch_execz .LBB776_301
; %bb.298:
	v_bfe_u32 v29, v29, 24, 7
	s_movk_i32 s11, 0x7f
	v_cmp_ne_u32_e64 s[12:13], s11, v29
	v_mov_b32_e32 v28, 0x7f80
	s_and_saveexec_b64 s[26:27], s[12:13]
	s_cbranch_execz .LBB776_300
; %bb.299:
	v_and_b32_e32 v28, 7, v26
	v_ffbh_u32_e32 v38, v28
	v_min_u32_e32 v40, 32, v38
	v_subrev_u32_e32 v38, 28, v40
	v_lshlrev_b64 v[38:39], v38, v[26:27]
	v_lshrrev_b32_e32 v37, 3, v29
	v_sub_u32_e32 v39, 29, v40
	v_and_b32_e32 v38, 7, v38
	v_cmp_gt_u32_e64 s[12:13], 8, v29
	v_cndmask_b32_e64 v29, v37, v39, s[12:13]
	v_cndmask_b32_e64 v28, v28, v38, s[12:13]
	v_lshlrev_b32_e32 v26, 24, v26
	v_bfrev_b32_e32 v37, 60
	v_lshlrev_b32_e32 v28, 20, v28
	v_and_b32_e32 v26, 0x80000000, v26
	v_lshl_add_u32 v29, v29, 23, v37
	v_or3_b32 v26, v26, v29, v28
	v_lshrrev_b32_e32 v28, 16, v26
.LBB776_300:
	s_or_b64 exec, exec, s[26:27]
.LBB776_301:
	s_or_b64 exec, exec, s[24:25]
.LBB776_302:
	s_or_b64 exec, exec, s[14:15]
	s_mov_b32 s11, 0x5040100
	v_perm_b32 v33, v34, v33, s11
	v_perm_b32 v32, v31, v32, s11
	;; [unrolled: 1-line block ×4, first 2 shown]
	v_mfma_f32_4x4x4bf16_1k a[0:3], v[2:3], v[32:33], a[0:3] cbsz:4 abid:5
	v_cmp_ne_u16_sdwa s[12:13], v22, v30 src0_sel:BYTE_0 src1_sel:DWORD
	v_mfma_f32_4x4x4bf16_1k a[0:3], v[4:5], v[28:29], a[0:3] cbsz:4 abid:5
	s_and_saveexec_b64 s[14:15], s[12:13]
	s_cbranch_execz .LBB776_308
; %bb.303:
	s_movk_i32 s11, 0x80
	v_cmp_ne_u16_sdwa s[12:13], v22, s11 src0_sel:BYTE_0 src1_sel:DWORD
	v_mov_b32_e32 v30, 0xffff8000
	s_and_saveexec_b64 s[24:25], s[12:13]
	s_cbranch_execz .LBB776_307
; %bb.304:
	s_movk_i32 s11, 0x7f
	v_and_b32_e32 v26, 0x7f, v22
	v_cmp_ne_u32_e64 s[12:13], s11, v26
	v_mov_b32_e32 v30, 0x7f80
	s_and_saveexec_b64 s[26:27], s[12:13]
	s_cbranch_execz .LBB776_306
; %bb.305:
	v_and_b32_e32 v27, 7, v22
	v_ffbh_u32_e32 v27, v27
	v_min_u32_e32 v27, 32, v27
	v_subrev_u32_e32 v29, 28, v27
	v_cmp_gt_u32_e64 s[12:13], 8, v26
	v_lshrrev_b32_e32 v28, 3, v26
	v_sub_u32_e32 v27, 29, v27
	v_cndmask_b32_e64 v26, 0, v29, s[12:13]
	v_cndmask_b32_e64 v28, v28, v27, s[12:13]
	v_lshlrev_b64 v[26:27], v26, v[22:23]
	v_lshlrev_b32_e32 v26, 20, v26
	v_lshlrev_b32_e32 v27, 24, v22
	v_bfrev_b32_e32 v29, 60
	v_and_b32_e32 v26, 0x700000, v26
	v_and_b32_e32 v27, 0x80000000, v27
	v_lshl_add_u32 v28, v28, 23, v29
	v_or3_b32 v26, v27, v28, v26
	v_lshrrev_b32_e32 v30, 16, v26
.LBB776_306:
	s_or_b64 exec, exec, s[26:27]
.LBB776_307:
	s_or_b64 exec, exec, s[24:25]
.LBB776_308:
	s_or_b64 exec, exec, s[14:15]
	v_lshrrev_b16_e32 v26, 8, v22
	v_cmp_ne_u16_e64 s[12:13], 0, v26
	v_mov_b32_e32 v31, 0
	v_mov_b32_e32 v29, 0
	s_and_saveexec_b64 s[14:15], s[12:13]
	s_cbranch_execz .LBB776_314
; %bb.309:
	s_movk_i32 s11, 0x80
	v_cmp_ne_u16_e64 s[12:13], s11, v26
	v_mov_b32_e32 v29, 0xffff8000
	s_and_saveexec_b64 s[24:25], s[12:13]
	s_cbranch_execz .LBB776_313
; %bb.310:
	s_movk_i32 s11, 0x7f
	v_and_b32_e32 v27, 0x7f, v26
	v_cmp_ne_u32_e64 s[12:13], s11, v27
	v_mov_b32_e32 v29, 0x7f80
	s_and_saveexec_b64 s[26:27], s[12:13]
	s_cbranch_execz .LBB776_312
; %bb.311:
	v_and_b32_e32 v32, 7, v26
	v_ffbh_u32_e32 v28, v32
	v_min_u32_e32 v34, 32, v28
	v_subrev_u32_e32 v28, 28, v34
	v_lshlrev_b64 v[28:29], v28, v[26:27]
	v_lshrrev_b32_e32 v33, 3, v27
	v_sub_u32_e32 v26, 29, v34
	v_and_b32_e32 v28, 7, v28
	v_cmp_gt_u32_e64 s[12:13], 8, v27
	v_cndmask_b32_e64 v26, v33, v26, s[12:13]
	v_cndmask_b32_e64 v27, v32, v28, s[12:13]
	v_lshlrev_b32_e32 v28, 16, v22
	v_bfrev_b32_e32 v29, 60
	v_lshlrev_b32_e32 v27, 20, v27
	v_and_b32_e32 v28, 0x80000000, v28
	v_lshl_add_u32 v26, v26, 23, v29
	v_or3_b32 v26, v28, v26, v27
	v_lshrrev_b32_e32 v29, 16, v26
.LBB776_312:
	s_or_b64 exec, exec, s[26:27]
.LBB776_313:
	s_or_b64 exec, exec, s[24:25]
.LBB776_314:
	s_or_b64 exec, exec, s[14:15]
	s_movk_i32 s11, 0xff
	v_and_b32_sdwa v27, v22, s11 dst_sel:DWORD dst_unused:UNUSED_PAD src0_sel:WORD_1 src1_sel:DWORD
	v_lshrrev_b32_e32 v26, 16, v22
	v_cmp_ne_u16_e64 s[12:13], 0, v27
	s_and_saveexec_b64 s[14:15], s[12:13]
	s_cbranch_execz .LBB776_320
; %bb.315:
	s_movk_i32 s11, 0x80
	v_cmp_ne_u16_e64 s[12:13], s11, v27
	v_mov_b32_e32 v31, 0xffff8000
	s_and_saveexec_b64 s[24:25], s[12:13]
	s_cbranch_execz .LBB776_319
; %bb.316:
	v_bfe_u32 v27, v22, 16, 7
	s_movk_i32 s11, 0x7f
	v_cmp_ne_u32_e64 s[12:13], s11, v27
	v_mov_b32_e32 v31, 0x7f80
	s_and_saveexec_b64 s[26:27], s[12:13]
	s_cbranch_execz .LBB776_318
; %bb.317:
	v_and_b32_e32 v28, 7, v26
	v_ffbh_u32_e32 v32, v28
	v_min_u32_e32 v34, 32, v32
	v_subrev_u32_e32 v32, 28, v34
	v_lshlrev_b64 v[32:33], v32, v[26:27]
	v_and_b32_e32 v32, 7, v32
	v_cmp_gt_u32_e64 s[12:13], 8, v27
	v_lshrrev_b32_e32 v31, 3, v27
	v_sub_u32_e32 v26, 29, v34
	v_cndmask_b32_e64 v27, v28, v32, s[12:13]
	v_mov_b32_e32 v28, 24
	v_cndmask_b32_e64 v26, v31, v26, s[12:13]
	v_lshlrev_b32_sdwa v28, v28, v22 dst_sel:DWORD dst_unused:UNUSED_PAD src0_sel:DWORD src1_sel:WORD_1
	v_bfrev_b32_e32 v31, 60
	v_lshlrev_b32_e32 v27, 20, v27
	v_and_b32_e32 v28, 0x80000000, v28
	v_lshl_add_u32 v26, v26, 23, v31
	v_or3_b32 v26, v28, v26, v27
	v_lshrrev_b32_e32 v31, 16, v26
.LBB776_318:
	s_or_b64 exec, exec, s[26:27]
.LBB776_319:
	s_or_b64 exec, exec, s[24:25]
.LBB776_320:
	s_or_b64 exec, exec, s[14:15]
	s_mov_b32 s11, 0xffffff
	v_cmp_lt_u32_e64 s[12:13], s11, v22
	v_mov_b32_e32 v27, 0
	v_mov_b32_e32 v32, 0
	s_and_saveexec_b64 s[14:15], s[12:13]
	s_cbranch_execz .LBB776_326
; %bb.321:
	v_lshrrev_b32_e32 v26, 24, v22
	s_movk_i32 s11, 0x80
	v_cmp_ne_u32_e64 s[12:13], s11, v26
	v_mov_b32_e32 v32, 0xffff8000
	s_and_saveexec_b64 s[24:25], s[12:13]
	s_cbranch_execz .LBB776_325
; %bb.322:
	v_bfe_u32 v28, v22, 24, 7
	s_movk_i32 s11, 0x7f
	v_cmp_ne_u32_e64 s[12:13], s11, v28
	v_mov_b32_e32 v32, 0x7f80
	s_and_saveexec_b64 s[26:27], s[12:13]
	s_cbranch_execz .LBB776_324
; %bb.323:
	v_and_b32_e32 v34, 7, v26
	v_ffbh_u32_e32 v32, v34
	v_min_u32_e32 v36, 32, v32
	v_subrev_u32_e32 v32, 28, v36
	v_lshlrev_b64 v[32:33], v32, v[26:27]
	v_lshrrev_b32_e32 v35, 3, v28
	v_sub_u32_e32 v33, 29, v36
	v_and_b32_e32 v32, 7, v32
	v_cmp_gt_u32_e64 s[12:13], 8, v28
	v_cndmask_b32_e64 v28, v35, v33, s[12:13]
	v_cndmask_b32_e64 v32, v34, v32, s[12:13]
	v_lshlrev_b32_e32 v26, 24, v26
	v_bfrev_b32_e32 v33, 60
	v_lshlrev_b32_e32 v32, 20, v32
	v_and_b32_e32 v26, 0x80000000, v26
	v_lshl_add_u32 v28, v28, 23, v33
	v_or3_b32 v26, v26, v28, v32
	v_lshrrev_b32_e32 v32, 16, v26
.LBB776_324:
	s_or_b64 exec, exec, s[26:27]
.LBB776_325:
	s_or_b64 exec, exec, s[24:25]
.LBB776_326:
	s_or_b64 exec, exec, s[14:15]
	v_mov_b32_e32 v26, v23
	v_cmp_ne_u16_sdwa s[12:13], v23, v27 src0_sel:BYTE_0 src1_sel:DWORD
	s_and_saveexec_b64 s[14:15], s[12:13]
	s_cbranch_execz .LBB776_332
; %bb.327:
	s_movk_i32 s11, 0x80
	v_cmp_ne_u16_sdwa s[12:13], v23, s11 src0_sel:BYTE_0 src1_sel:DWORD
	v_mov_b32_e32 v28, 0xffff8000
	s_and_saveexec_b64 s[24:25], s[12:13]
	s_cbranch_execz .LBB776_331
; %bb.328:
	s_movk_i32 s11, 0x7f
	v_and_b32_e32 v33, 0x7f, v23
	v_cmp_ne_u32_e64 s[12:13], s11, v33
	v_mov_b32_e32 v28, 0x7f80
	s_and_saveexec_b64 s[26:27], s[12:13]
	s_cbranch_execz .LBB776_330
; %bb.329:
	v_and_b32_e32 v28, 7, v23
	v_ffbh_u32_e32 v28, v28
	v_min_u32_e32 v28, 32, v28
	v_subrev_u32_e32 v35, 28, v28
	v_cmp_gt_u32_e64 s[12:13], 8, v33
	v_lshrrev_b32_e32 v34, 3, v33
	v_sub_u32_e32 v28, 29, v28
	v_cndmask_b32_e64 v33, 0, v35, s[12:13]
	v_cndmask_b32_e64 v28, v34, v28, s[12:13]
	v_lshlrev_b64 v[34:35], v33, v[26:27]
	v_lshlrev_b32_e32 v27, 20, v34
	v_lshlrev_b32_e32 v33, 24, v26
	v_bfrev_b32_e32 v34, 60
	v_and_b32_e32 v27, 0x700000, v27
	v_and_b32_e32 v33, 0x80000000, v33
	v_lshl_add_u32 v28, v28, 23, v34
	v_or3_b32 v27, v33, v28, v27
	v_lshrrev_b32_e32 v28, 16, v27
.LBB776_330:
	s_or_b64 exec, exec, s[26:27]
.LBB776_331:
	s_or_b64 exec, exec, s[24:25]
	v_mov_b32_e32 v27, v28
.LBB776_332:
	s_or_b64 exec, exec, s[14:15]
	v_lshrrev_b16_e32 v28, 8, v26
	v_cmp_ne_u16_e64 s[12:13], 0, v28
	v_mov_b32_e32 v34, 0
	v_mov_b32_e32 v33, 0
	s_and_saveexec_b64 s[14:15], s[12:13]
	s_cbranch_execz .LBB776_338
; %bb.333:
	s_movk_i32 s11, 0x80
	v_cmp_ne_u16_e64 s[12:13], s11, v28
	v_mov_b32_e32 v33, 0xffff8000
	s_and_saveexec_b64 s[24:25], s[12:13]
	s_cbranch_execz .LBB776_337
; %bb.334:
	s_movk_i32 s11, 0x7f
	v_and_b32_e32 v35, 0x7f, v28
	v_cmp_ne_u32_e64 s[12:13], s11, v35
	v_mov_b32_e32 v33, 0x7f80
	s_and_saveexec_b64 s[26:27], s[12:13]
	s_cbranch_execz .LBB776_336
; %bb.335:
	v_and_b32_e32 v33, 7, v28
	v_ffbh_u32_e32 v36, v33
	v_min_u32_e32 v39, 32, v36
	v_subrev_u32_e32 v36, 28, v39
	v_lshlrev_b64 v[36:37], v36, v[28:29]
	v_lshrrev_b32_e32 v38, 3, v35
	v_sub_u32_e32 v28, 29, v39
	v_and_b32_e32 v36, 7, v36
	v_cmp_gt_u32_e64 s[12:13], 8, v35
	v_cndmask_b32_e64 v28, v38, v28, s[12:13]
	v_cndmask_b32_e64 v33, v33, v36, s[12:13]
	v_lshlrev_b32_e32 v26, 16, v26
	v_bfrev_b32_e32 v35, 60
	v_lshlrev_b32_e32 v33, 20, v33
	v_and_b32_e32 v26, 0x80000000, v26
	v_lshl_add_u32 v28, v28, 23, v35
	v_or3_b32 v26, v26, v28, v33
	v_lshrrev_b32_e32 v33, 16, v26
.LBB776_336:
	s_or_b64 exec, exec, s[26:27]
.LBB776_337:
	s_or_b64 exec, exec, s[24:25]
.LBB776_338:
	s_or_b64 exec, exec, s[14:15]
	s_movk_i32 s11, 0xff
	v_and_b32_sdwa v28, v23, s11 dst_sel:DWORD dst_unused:UNUSED_PAD src0_sel:WORD_1 src1_sel:DWORD
	v_lshrrev_b32_e32 v26, 16, v23
	v_cmp_ne_u16_e64 s[12:13], 0, v28
	s_and_saveexec_b64 s[14:15], s[12:13]
	s_cbranch_execz .LBB776_344
; %bb.339:
	s_movk_i32 s11, 0x80
	v_cmp_ne_u16_e64 s[12:13], s11, v28
	v_mov_b32_e32 v34, 0xffff8000
	s_and_saveexec_b64 s[24:25], s[12:13]
	s_cbranch_execz .LBB776_343
; %bb.340:
	v_bfe_u32 v28, v23, 16, 7
	s_movk_i32 s11, 0x7f
	v_cmp_ne_u32_e64 s[12:13], s11, v28
	v_mov_b32_e32 v34, 0x7f80
	s_and_saveexec_b64 s[26:27], s[12:13]
	s_cbranch_execz .LBB776_342
; %bb.341:
	v_and_b32_e32 v36, 7, v26
	v_ffbh_u32_e32 v34, v36
	v_min_u32_e32 v38, 32, v34
	v_subrev_u32_e32 v34, 28, v38
	v_lshlrev_b64 v[34:35], v34, v[26:27]
	v_and_b32_e32 v34, 7, v34
	v_cmp_gt_u32_e64 s[12:13], 8, v28
	v_lshrrev_b32_e32 v37, 3, v28
	v_sub_u32_e32 v26, 29, v38
	v_cndmask_b32_e64 v28, v36, v34, s[12:13]
	v_mov_b32_e32 v34, 24
	v_cndmask_b32_e64 v26, v37, v26, s[12:13]
	v_lshlrev_b32_sdwa v34, v34, v23 dst_sel:DWORD dst_unused:UNUSED_PAD src0_sel:DWORD src1_sel:WORD_1
	v_bfrev_b32_e32 v35, 60
	v_lshlrev_b32_e32 v28, 20, v28
	v_and_b32_e32 v34, 0x80000000, v34
	v_lshl_add_u32 v26, v26, 23, v35
	v_or3_b32 v26, v34, v26, v28
	v_lshrrev_b32_e32 v34, 16, v26
.LBB776_342:
	s_or_b64 exec, exec, s[26:27]
.LBB776_343:
	s_or_b64 exec, exec, s[24:25]
.LBB776_344:
	s_or_b64 exec, exec, s[14:15]
	s_mov_b32 s12, -1
	s_mov_b32 s13, 0xffffff
	v_cmp_lt_u64_e64 s[12:13], s[12:13], v[22:23]
	v_mov_b32_e32 v28, 0
	v_mov_b32_e32 v26, 0
	s_and_saveexec_b64 s[14:15], s[12:13]
	s_cbranch_execz .LBB776_350
; %bb.345:
	v_lshrrev_b32_e32 v22, 24, v23
	s_movk_i32 s11, 0x80
	v_cmp_ne_u32_e64 s[12:13], s11, v22
	v_mov_b32_e32 v26, 0xffff8000
	s_and_saveexec_b64 s[24:25], s[12:13]
	s_cbranch_execz .LBB776_349
; %bb.346:
	v_bfe_u32 v23, v23, 24, 7
	s_movk_i32 s11, 0x7f
	v_cmp_ne_u32_e64 s[12:13], s11, v23
	v_mov_b32_e32 v26, 0x7f80
	s_and_saveexec_b64 s[26:27], s[12:13]
	s_cbranch_execz .LBB776_348
; %bb.347:
	v_and_b32_e32 v26, 7, v22
	v_ffbh_u32_e32 v36, v26
	v_min_u32_e32 v38, 32, v36
	v_subrev_u32_e32 v36, 28, v38
	v_lshlrev_b64 v[36:37], v36, v[22:23]
	v_lshrrev_b32_e32 v35, 3, v23
	v_sub_u32_e32 v37, 29, v38
	v_and_b32_e32 v36, 7, v36
	v_cmp_gt_u32_e64 s[12:13], 8, v23
	v_cndmask_b32_e64 v23, v35, v37, s[12:13]
	v_cndmask_b32_e64 v26, v26, v36, s[12:13]
	v_lshlrev_b32_e32 v22, 24, v22
	v_bfrev_b32_e32 v35, 60
	v_lshlrev_b32_e32 v26, 20, v26
	v_and_b32_e32 v22, 0x80000000, v22
	v_lshl_add_u32 v23, v23, 23, v35
	v_or3_b32 v22, v22, v23, v26
	v_lshrrev_b32_e32 v26, 16, v22
.LBB776_348:
	s_or_b64 exec, exec, s[26:27]
.LBB776_349:
	s_or_b64 exec, exec, s[24:25]
.LBB776_350:
	s_or_b64 exec, exec, s[14:15]
	s_mov_b32 s11, 0x5040100
	v_perm_b32 v23, v32, v31, s11
	v_perm_b32 v22, v29, v30, s11
	;; [unrolled: 1-line block ×4, first 2 shown]
	v_mfma_f32_4x4x4bf16_1k a[0:3], v[2:3], v[22:23], a[0:3] cbsz:4 abid:6
	v_cmp_ne_u16_sdwa s[12:13], v24, v28 src0_sel:BYTE_0 src1_sel:DWORD
	v_mfma_f32_4x4x4bf16_1k a[0:3], v[4:5], v[30:31], a[0:3] cbsz:4 abid:6
	s_and_saveexec_b64 s[14:15], s[12:13]
	s_cbranch_execz .LBB776_356
; %bb.351:
	s_movk_i32 s11, 0x80
	v_cmp_ne_u16_sdwa s[12:13], v24, s11 src0_sel:BYTE_0 src1_sel:DWORD
	v_mov_b32_e32 v28, 0xffff8000
	s_and_saveexec_b64 s[24:25], s[12:13]
	s_cbranch_execz .LBB776_355
; %bb.352:
	s_movk_i32 s11, 0x7f
	v_and_b32_e32 v22, 0x7f, v24
	v_cmp_ne_u32_e64 s[12:13], s11, v22
	v_mov_b32_e32 v28, 0x7f80
	s_and_saveexec_b64 s[26:27], s[12:13]
	s_cbranch_execz .LBB776_354
; %bb.353:
	v_and_b32_e32 v23, 7, v24
	v_ffbh_u32_e32 v23, v23
	v_min_u32_e32 v23, 32, v23
	v_subrev_u32_e32 v27, 28, v23
	v_cmp_gt_u32_e64 s[12:13], 8, v22
	v_lshrrev_b32_e32 v26, 3, v22
	v_sub_u32_e32 v23, 29, v23
	v_cndmask_b32_e64 v22, 0, v27, s[12:13]
	v_cndmask_b32_e64 v26, v26, v23, s[12:13]
	v_lshlrev_b64 v[22:23], v22, v[24:25]
	v_lshlrev_b32_e32 v22, 20, v22
	v_lshlrev_b32_e32 v23, 24, v24
	v_bfrev_b32_e32 v27, 60
	v_and_b32_e32 v22, 0x700000, v22
	v_and_b32_e32 v23, 0x80000000, v23
	v_lshl_add_u32 v26, v26, 23, v27
	v_or3_b32 v22, v23, v26, v22
	v_lshrrev_b32_e32 v28, 16, v22
.LBB776_354:
	s_or_b64 exec, exec, s[26:27]
.LBB776_355:
	s_or_b64 exec, exec, s[24:25]
.LBB776_356:
	s_or_b64 exec, exec, s[14:15]
	v_lshrrev_b16_e32 v22, 8, v24
	v_cmp_ne_u16_e64 s[12:13], 0, v22
	v_mov_b32_e32 v29, 0
	v_mov_b32_e32 v27, 0
	s_and_saveexec_b64 s[14:15], s[12:13]
	s_cbranch_execz .LBB776_362
; %bb.357:
	s_movk_i32 s11, 0x80
	v_cmp_ne_u16_e64 s[12:13], s11, v22
	v_mov_b32_e32 v27, 0xffff8000
	s_and_saveexec_b64 s[24:25], s[12:13]
	s_cbranch_execz .LBB776_361
; %bb.358:
	s_movk_i32 s11, 0x7f
	v_and_b32_e32 v23, 0x7f, v22
	v_cmp_ne_u32_e64 s[12:13], s11, v23
	v_mov_b32_e32 v27, 0x7f80
	s_and_saveexec_b64 s[26:27], s[12:13]
	s_cbranch_execz .LBB776_360
; %bb.359:
	v_and_b32_e32 v30, 7, v22
	v_ffbh_u32_e32 v26, v30
	v_min_u32_e32 v32, 32, v26
	v_subrev_u32_e32 v26, 28, v32
	v_lshlrev_b64 v[26:27], v26, v[22:23]
	v_lshrrev_b32_e32 v31, 3, v23
	v_sub_u32_e32 v22, 29, v32
	v_and_b32_e32 v26, 7, v26
	v_cmp_gt_u32_e64 s[12:13], 8, v23
	v_cndmask_b32_e64 v22, v31, v22, s[12:13]
	v_cndmask_b32_e64 v23, v30, v26, s[12:13]
	v_lshlrev_b32_e32 v26, 16, v24
	v_bfrev_b32_e32 v27, 60
	v_lshlrev_b32_e32 v23, 20, v23
	v_and_b32_e32 v26, 0x80000000, v26
	v_lshl_add_u32 v22, v22, 23, v27
	v_or3_b32 v22, v26, v22, v23
	v_lshrrev_b32_e32 v27, 16, v22
.LBB776_360:
	s_or_b64 exec, exec, s[26:27]
.LBB776_361:
	s_or_b64 exec, exec, s[24:25]
.LBB776_362:
	s_or_b64 exec, exec, s[14:15]
	s_movk_i32 s11, 0xff
	v_and_b32_sdwa v23, v24, s11 dst_sel:DWORD dst_unused:UNUSED_PAD src0_sel:WORD_1 src1_sel:DWORD
	v_lshrrev_b32_e32 v22, 16, v24
	v_cmp_ne_u16_e64 s[12:13], 0, v23
	s_and_saveexec_b64 s[14:15], s[12:13]
	s_cbranch_execz .LBB776_368
; %bb.363:
	s_movk_i32 s11, 0x80
	v_cmp_ne_u16_e64 s[12:13], s11, v23
	v_mov_b32_e32 v29, 0xffff8000
	s_and_saveexec_b64 s[24:25], s[12:13]
	s_cbranch_execz .LBB776_367
; %bb.364:
	v_bfe_u32 v23, v24, 16, 7
	s_movk_i32 s11, 0x7f
	v_cmp_ne_u32_e64 s[12:13], s11, v23
	v_mov_b32_e32 v29, 0x7f80
	s_and_saveexec_b64 s[26:27], s[12:13]
	s_cbranch_execz .LBB776_366
; %bb.365:
	v_and_b32_e32 v26, 7, v22
	v_ffbh_u32_e32 v30, v26
	v_min_u32_e32 v32, 32, v30
	v_subrev_u32_e32 v30, 28, v32
	v_lshlrev_b64 v[30:31], v30, v[22:23]
	v_and_b32_e32 v30, 7, v30
	v_cmp_gt_u32_e64 s[12:13], 8, v23
	v_lshrrev_b32_e32 v29, 3, v23
	v_sub_u32_e32 v22, 29, v32
	v_cndmask_b32_e64 v23, v26, v30, s[12:13]
	v_mov_b32_e32 v26, 24
	v_cndmask_b32_e64 v22, v29, v22, s[12:13]
	v_lshlrev_b32_sdwa v26, v26, v24 dst_sel:DWORD dst_unused:UNUSED_PAD src0_sel:DWORD src1_sel:WORD_1
	v_bfrev_b32_e32 v29, 60
	v_lshlrev_b32_e32 v23, 20, v23
	v_and_b32_e32 v26, 0x80000000, v26
	v_lshl_add_u32 v22, v22, 23, v29
	v_or3_b32 v22, v26, v22, v23
	v_lshrrev_b32_e32 v29, 16, v22
.LBB776_366:
	s_or_b64 exec, exec, s[26:27]
.LBB776_367:
	s_or_b64 exec, exec, s[24:25]
.LBB776_368:
	s_or_b64 exec, exec, s[14:15]
	s_mov_b32 s11, 0xffffff
	v_cmp_lt_u32_e64 s[12:13], s11, v24
	v_mov_b32_e32 v23, 0
	v_mov_b32_e32 v30, 0
	s_and_saveexec_b64 s[14:15], s[12:13]
	s_cbranch_execz .LBB776_374
; %bb.369:
	v_lshrrev_b32_e32 v22, 24, v24
	s_movk_i32 s11, 0x80
	v_cmp_ne_u32_e64 s[12:13], s11, v22
	v_mov_b32_e32 v30, 0xffff8000
	s_and_saveexec_b64 s[24:25], s[12:13]
	s_cbranch_execz .LBB776_373
; %bb.370:
	v_bfe_u32 v26, v24, 24, 7
	s_movk_i32 s11, 0x7f
	v_cmp_ne_u32_e64 s[12:13], s11, v26
	v_mov_b32_e32 v30, 0x7f80
	s_and_saveexec_b64 s[26:27], s[12:13]
	s_cbranch_execz .LBB776_372
; %bb.371:
	v_and_b32_e32 v32, 7, v22
	v_ffbh_u32_e32 v30, v32
	v_min_u32_e32 v34, 32, v30
	v_subrev_u32_e32 v30, 28, v34
	v_lshlrev_b64 v[30:31], v30, v[22:23]
	v_lshrrev_b32_e32 v33, 3, v26
	v_sub_u32_e32 v31, 29, v34
	v_and_b32_e32 v30, 7, v30
	v_cmp_gt_u32_e64 s[12:13], 8, v26
	v_cndmask_b32_e64 v26, v33, v31, s[12:13]
	v_cndmask_b32_e64 v30, v32, v30, s[12:13]
	v_lshlrev_b32_e32 v22, 24, v22
	v_bfrev_b32_e32 v31, 60
	v_lshlrev_b32_e32 v30, 20, v30
	v_and_b32_e32 v22, 0x80000000, v22
	v_lshl_add_u32 v26, v26, 23, v31
	v_or3_b32 v22, v22, v26, v30
	v_lshrrev_b32_e32 v30, 16, v22
.LBB776_372:
	s_or_b64 exec, exec, s[26:27]
.LBB776_373:
	s_or_b64 exec, exec, s[24:25]
.LBB776_374:
	s_or_b64 exec, exec, s[14:15]
	v_mov_b32_e32 v22, v25
	v_cmp_ne_u16_sdwa s[12:13], v25, v23 src0_sel:BYTE_0 src1_sel:DWORD
	s_and_saveexec_b64 s[14:15], s[12:13]
	s_cbranch_execz .LBB776_380
; %bb.375:
	s_movk_i32 s11, 0x80
	v_cmp_ne_u16_sdwa s[12:13], v25, s11 src0_sel:BYTE_0 src1_sel:DWORD
	v_mov_b32_e32 v26, 0xffff8000
	s_and_saveexec_b64 s[24:25], s[12:13]
	s_cbranch_execz .LBB776_379
; %bb.376:
	s_movk_i32 s11, 0x7f
	v_and_b32_e32 v31, 0x7f, v25
	v_cmp_ne_u32_e64 s[12:13], s11, v31
	v_mov_b32_e32 v26, 0x7f80
	s_and_saveexec_b64 s[26:27], s[12:13]
	s_cbranch_execz .LBB776_378
; %bb.377:
	v_and_b32_e32 v26, 7, v25
	v_ffbh_u32_e32 v26, v26
	v_min_u32_e32 v26, 32, v26
	v_subrev_u32_e32 v33, 28, v26
	v_cmp_gt_u32_e64 s[12:13], 8, v31
	v_lshrrev_b32_e32 v32, 3, v31
	v_sub_u32_e32 v26, 29, v26
	v_cndmask_b32_e64 v31, 0, v33, s[12:13]
	v_cndmask_b32_e64 v26, v32, v26, s[12:13]
	v_lshlrev_b64 v[32:33], v31, v[22:23]
	v_lshlrev_b32_e32 v23, 20, v32
	v_lshlrev_b32_e32 v31, 24, v22
	v_bfrev_b32_e32 v32, 60
	v_and_b32_e32 v23, 0x700000, v23
	v_and_b32_e32 v31, 0x80000000, v31
	v_lshl_add_u32 v26, v26, 23, v32
	v_or3_b32 v23, v31, v26, v23
	v_lshrrev_b32_e32 v26, 16, v23
.LBB776_378:
	s_or_b64 exec, exec, s[26:27]
.LBB776_379:
	s_or_b64 exec, exec, s[24:25]
	v_mov_b32_e32 v23, v26
.LBB776_380:
	s_or_b64 exec, exec, s[14:15]
	v_lshrrev_b16_e32 v26, 8, v22
	v_cmp_ne_u16_e64 s[12:13], 0, v26
	v_mov_b32_e32 v32, 0
	v_mov_b32_e32 v31, 0
	s_and_saveexec_b64 s[14:15], s[12:13]
	s_cbranch_execz .LBB776_386
; %bb.381:
	s_movk_i32 s11, 0x80
	v_cmp_ne_u16_e64 s[12:13], s11, v26
	v_mov_b32_e32 v31, 0xffff8000
	s_and_saveexec_b64 s[24:25], s[12:13]
	s_cbranch_execz .LBB776_385
; %bb.382:
	s_movk_i32 s11, 0x7f
	v_and_b32_e32 v33, 0x7f, v26
	v_cmp_ne_u32_e64 s[12:13], s11, v33
	v_mov_b32_e32 v31, 0x7f80
	s_and_saveexec_b64 s[26:27], s[12:13]
	s_cbranch_execz .LBB776_384
; %bb.383:
	v_and_b32_e32 v31, 7, v26
	v_ffbh_u32_e32 v34, v31
	v_min_u32_e32 v37, 32, v34
	v_subrev_u32_e32 v34, 28, v37
	v_lshlrev_b64 v[34:35], v34, v[26:27]
	v_lshrrev_b32_e32 v36, 3, v33
	v_sub_u32_e32 v26, 29, v37
	v_and_b32_e32 v34, 7, v34
	v_cmp_gt_u32_e64 s[12:13], 8, v33
	v_cndmask_b32_e64 v26, v36, v26, s[12:13]
	v_cndmask_b32_e64 v31, v31, v34, s[12:13]
	v_lshlrev_b32_e32 v22, 16, v22
	v_bfrev_b32_e32 v33, 60
	v_lshlrev_b32_e32 v31, 20, v31
	v_and_b32_e32 v22, 0x80000000, v22
	v_lshl_add_u32 v26, v26, 23, v33
	v_or3_b32 v22, v22, v26, v31
	v_lshrrev_b32_e32 v31, 16, v22
.LBB776_384:
	s_or_b64 exec, exec, s[26:27]
.LBB776_385:
	s_or_b64 exec, exec, s[24:25]
.LBB776_386:
	s_or_b64 exec, exec, s[14:15]
	s_movk_i32 s11, 0xff
	v_and_b32_sdwa v26, v25, s11 dst_sel:DWORD dst_unused:UNUSED_PAD src0_sel:WORD_1 src1_sel:DWORD
	v_lshrrev_b32_e32 v22, 16, v25
	v_cmp_ne_u16_e64 s[12:13], 0, v26
	s_and_saveexec_b64 s[14:15], s[12:13]
	s_cbranch_execz .LBB776_392
; %bb.387:
	s_movk_i32 s11, 0x80
	v_cmp_ne_u16_e64 s[12:13], s11, v26
	v_mov_b32_e32 v32, 0xffff8000
	s_and_saveexec_b64 s[24:25], s[12:13]
	s_cbranch_execz .LBB776_391
; %bb.388:
	v_bfe_u32 v26, v25, 16, 7
	s_movk_i32 s11, 0x7f
	v_cmp_ne_u32_e64 s[12:13], s11, v26
	v_mov_b32_e32 v32, 0x7f80
	s_and_saveexec_b64 s[26:27], s[12:13]
	s_cbranch_execz .LBB776_390
; %bb.389:
	v_and_b32_e32 v34, 7, v22
	v_ffbh_u32_e32 v32, v34
	v_min_u32_e32 v36, 32, v32
	v_subrev_u32_e32 v32, 28, v36
	v_lshlrev_b64 v[32:33], v32, v[22:23]
	v_and_b32_e32 v32, 7, v32
	v_cmp_gt_u32_e64 s[12:13], 8, v26
	v_lshrrev_b32_e32 v35, 3, v26
	v_sub_u32_e32 v22, 29, v36
	v_cndmask_b32_e64 v26, v34, v32, s[12:13]
	v_mov_b32_e32 v32, 24
	v_cndmask_b32_e64 v22, v35, v22, s[12:13]
	v_lshlrev_b32_sdwa v32, v32, v25 dst_sel:DWORD dst_unused:UNUSED_PAD src0_sel:DWORD src1_sel:WORD_1
	v_bfrev_b32_e32 v33, 60
	v_lshlrev_b32_e32 v26, 20, v26
	v_and_b32_e32 v32, 0x80000000, v32
	v_lshl_add_u32 v22, v22, 23, v33
	v_or3_b32 v22, v32, v22, v26
	v_lshrrev_b32_e32 v32, 16, v22
.LBB776_390:
	s_or_b64 exec, exec, s[26:27]
.LBB776_391:
	s_or_b64 exec, exec, s[24:25]
.LBB776_392:
	s_or_b64 exec, exec, s[14:15]
	s_mov_b32 s12, -1
	s_mov_b32 s13, 0xffffff
	v_cmp_lt_u64_e64 s[12:13], s[12:13], v[24:25]
	v_mov_b32_e32 v26, 0
	v_mov_b32_e32 v24, 0
	s_and_saveexec_b64 s[14:15], s[12:13]
	s_cbranch_execz .LBB776_398
; %bb.393:
	v_lshrrev_b32_e32 v22, 24, v25
	s_movk_i32 s11, 0x80
	v_cmp_ne_u32_e64 s[12:13], s11, v22
	v_mov_b32_e32 v24, 0xffff8000
	s_and_saveexec_b64 s[24:25], s[12:13]
	s_cbranch_execz .LBB776_397
; %bb.394:
	v_bfe_u32 v25, v25, 24, 7
	s_movk_i32 s11, 0x7f
	v_cmp_ne_u32_e64 s[12:13], s11, v25
	v_mov_b32_e32 v24, 0x7f80
	s_and_saveexec_b64 s[26:27], s[12:13]
	s_cbranch_execz .LBB776_396
; %bb.395:
	v_and_b32_e32 v24, 7, v22
	v_ffbh_u32_e32 v34, v24
	v_min_u32_e32 v36, 32, v34
	v_subrev_u32_e32 v34, 28, v36
	v_lshlrev_b64 v[34:35], v34, v[22:23]
	v_lshrrev_b32_e32 v33, 3, v25
	v_sub_u32_e32 v35, 29, v36
	v_and_b32_e32 v34, 7, v34
	v_cmp_gt_u32_e64 s[12:13], 8, v25
	v_cndmask_b32_e64 v25, v33, v35, s[12:13]
	v_cndmask_b32_e64 v24, v24, v34, s[12:13]
	v_lshlrev_b32_e32 v22, 24, v22
	v_bfrev_b32_e32 v33, 60
	v_lshlrev_b32_e32 v24, 20, v24
	v_and_b32_e32 v22, 0x80000000, v22
	v_lshl_add_u32 v25, v25, 23, v33
	v_or3_b32 v22, v22, v25, v24
	v_lshrrev_b32_e32 v24, 16, v22
.LBB776_396:
	s_or_b64 exec, exec, s[26:27]
.LBB776_397:
	s_or_b64 exec, exec, s[24:25]
.LBB776_398:
	s_or_b64 exec, exec, s[14:15]
	s_mov_b32 s11, 0x5040100
	v_perm_b32 v29, v30, v29, s11
	v_perm_b32 v28, v27, v28, s11
	;; [unrolled: 1-line block ×4, first 2 shown]
	v_mfma_f32_4x4x4bf16_1k a[0:3], v[2:3], v[28:29], a[0:3] cbsz:4 abid:7
	v_cmp_ne_u16_sdwa s[12:13], v18, v26 src0_sel:BYTE_0 src1_sel:DWORD
	v_mfma_f32_4x4x4bf16_1k a[0:3], v[4:5], v[24:25], a[0:3] cbsz:4 abid:7
	s_and_saveexec_b64 s[14:15], s[12:13]
	s_cbranch_execz .LBB776_404
; %bb.399:
	s_movk_i32 s11, 0x80
	v_cmp_ne_u16_sdwa s[12:13], v18, s11 src0_sel:BYTE_0 src1_sel:DWORD
	v_mov_b32_e32 v26, 0xffff8000
	s_and_saveexec_b64 s[24:25], s[12:13]
	s_cbranch_execz .LBB776_403
; %bb.400:
	s_movk_i32 s11, 0x7f
	v_and_b32_e32 v22, 0x7f, v18
	v_cmp_ne_u32_e64 s[12:13], s11, v22
	v_mov_b32_e32 v26, 0x7f80
	s_and_saveexec_b64 s[26:27], s[12:13]
	s_cbranch_execz .LBB776_402
; %bb.401:
	v_and_b32_e32 v23, 7, v18
	v_ffbh_u32_e32 v23, v23
	v_min_u32_e32 v23, 32, v23
	v_subrev_u32_e32 v25, 28, v23
	v_cmp_gt_u32_e64 s[12:13], 8, v22
	v_lshrrev_b32_e32 v24, 3, v22
	v_sub_u32_e32 v23, 29, v23
	v_cndmask_b32_e64 v22, 0, v25, s[12:13]
	v_cndmask_b32_e64 v24, v24, v23, s[12:13]
	v_lshlrev_b64 v[22:23], v22, v[18:19]
	v_lshlrev_b32_e32 v22, 20, v22
	v_lshlrev_b32_e32 v23, 24, v18
	v_bfrev_b32_e32 v25, 60
	v_and_b32_e32 v22, 0x700000, v22
	v_and_b32_e32 v23, 0x80000000, v23
	v_lshl_add_u32 v24, v24, 23, v25
	v_or3_b32 v22, v23, v24, v22
	v_lshrrev_b32_e32 v26, 16, v22
.LBB776_402:
	s_or_b64 exec, exec, s[26:27]
.LBB776_403:
	s_or_b64 exec, exec, s[24:25]
.LBB776_404:
	s_or_b64 exec, exec, s[14:15]
	v_lshrrev_b16_e32 v22, 8, v18
	v_cmp_ne_u16_e64 s[12:13], 0, v22
	v_mov_b32_e32 v27, 0
	v_mov_b32_e32 v25, 0
	s_and_saveexec_b64 s[14:15], s[12:13]
	s_cbranch_execz .LBB776_410
; %bb.405:
	s_movk_i32 s11, 0x80
	v_cmp_ne_u16_e64 s[12:13], s11, v22
	v_mov_b32_e32 v25, 0xffff8000
	s_and_saveexec_b64 s[24:25], s[12:13]
	s_cbranch_execz .LBB776_409
; %bb.406:
	s_movk_i32 s11, 0x7f
	v_and_b32_e32 v23, 0x7f, v22
	v_cmp_ne_u32_e64 s[12:13], s11, v23
	v_mov_b32_e32 v25, 0x7f80
	s_and_saveexec_b64 s[26:27], s[12:13]
	s_cbranch_execz .LBB776_408
; %bb.407:
	v_and_b32_e32 v28, 7, v22
	v_ffbh_u32_e32 v24, v28
	v_min_u32_e32 v30, 32, v24
	v_subrev_u32_e32 v24, 28, v30
	v_lshlrev_b64 v[24:25], v24, v[22:23]
	v_lshrrev_b32_e32 v29, 3, v23
	v_sub_u32_e32 v22, 29, v30
	v_and_b32_e32 v24, 7, v24
	v_cmp_gt_u32_e64 s[12:13], 8, v23
	v_cndmask_b32_e64 v22, v29, v22, s[12:13]
	v_cndmask_b32_e64 v23, v28, v24, s[12:13]
	v_lshlrev_b32_e32 v24, 16, v18
	v_bfrev_b32_e32 v25, 60
	v_lshlrev_b32_e32 v23, 20, v23
	v_and_b32_e32 v24, 0x80000000, v24
	v_lshl_add_u32 v22, v22, 23, v25
	v_or3_b32 v22, v24, v22, v23
	v_lshrrev_b32_e32 v25, 16, v22
.LBB776_408:
	s_or_b64 exec, exec, s[26:27]
.LBB776_409:
	s_or_b64 exec, exec, s[24:25]
.LBB776_410:
	s_or_b64 exec, exec, s[14:15]
	s_movk_i32 s11, 0xff
	v_and_b32_sdwa v23, v18, s11 dst_sel:DWORD dst_unused:UNUSED_PAD src0_sel:WORD_1 src1_sel:DWORD
	v_lshrrev_b32_e32 v22, 16, v18
	v_cmp_ne_u16_e64 s[12:13], 0, v23
	s_and_saveexec_b64 s[14:15], s[12:13]
	s_cbranch_execz .LBB776_416
; %bb.411:
	s_movk_i32 s11, 0x80
	v_cmp_ne_u16_e64 s[12:13], s11, v23
	v_mov_b32_e32 v27, 0xffff8000
	s_and_saveexec_b64 s[24:25], s[12:13]
	s_cbranch_execz .LBB776_415
; %bb.412:
	v_bfe_u32 v23, v18, 16, 7
	s_movk_i32 s11, 0x7f
	v_cmp_ne_u32_e64 s[12:13], s11, v23
	v_mov_b32_e32 v27, 0x7f80
	s_and_saveexec_b64 s[26:27], s[12:13]
	s_cbranch_execz .LBB776_414
; %bb.413:
	v_and_b32_e32 v24, 7, v22
	v_ffbh_u32_e32 v28, v24
	v_min_u32_e32 v30, 32, v28
	v_subrev_u32_e32 v28, 28, v30
	v_lshlrev_b64 v[28:29], v28, v[22:23]
	v_and_b32_e32 v28, 7, v28
	v_cmp_gt_u32_e64 s[12:13], 8, v23
	v_lshrrev_b32_e32 v27, 3, v23
	v_sub_u32_e32 v22, 29, v30
	v_cndmask_b32_e64 v23, v24, v28, s[12:13]
	v_mov_b32_e32 v24, 24
	v_cndmask_b32_e64 v22, v27, v22, s[12:13]
	v_lshlrev_b32_sdwa v24, v24, v18 dst_sel:DWORD dst_unused:UNUSED_PAD src0_sel:DWORD src1_sel:WORD_1
	v_bfrev_b32_e32 v27, 60
	v_lshlrev_b32_e32 v23, 20, v23
	v_and_b32_e32 v24, 0x80000000, v24
	v_lshl_add_u32 v22, v22, 23, v27
	v_or3_b32 v22, v24, v22, v23
	v_lshrrev_b32_e32 v27, 16, v22
.LBB776_414:
	s_or_b64 exec, exec, s[26:27]
.LBB776_415:
	s_or_b64 exec, exec, s[24:25]
.LBB776_416:
	s_or_b64 exec, exec, s[14:15]
	s_mov_b32 s11, 0xffffff
	v_cmp_lt_u32_e64 s[12:13], s11, v18
	v_mov_b32_e32 v23, 0
	v_mov_b32_e32 v28, 0
	s_and_saveexec_b64 s[14:15], s[12:13]
	s_cbranch_execz .LBB776_422
; %bb.417:
	v_lshrrev_b32_e32 v22, 24, v18
	s_movk_i32 s11, 0x80
	v_cmp_ne_u32_e64 s[12:13], s11, v22
	v_mov_b32_e32 v28, 0xffff8000
	s_and_saveexec_b64 s[24:25], s[12:13]
	s_cbranch_execz .LBB776_421
; %bb.418:
	v_bfe_u32 v24, v18, 24, 7
	s_movk_i32 s11, 0x7f
	v_cmp_ne_u32_e64 s[12:13], s11, v24
	v_mov_b32_e32 v28, 0x7f80
	s_and_saveexec_b64 s[26:27], s[12:13]
	s_cbranch_execz .LBB776_420
; %bb.419:
	v_and_b32_e32 v30, 7, v22
	v_ffbh_u32_e32 v28, v30
	v_min_u32_e32 v32, 32, v28
	v_subrev_u32_e32 v28, 28, v32
	v_lshlrev_b64 v[28:29], v28, v[22:23]
	v_lshrrev_b32_e32 v31, 3, v24
	v_sub_u32_e32 v29, 29, v32
	v_and_b32_e32 v28, 7, v28
	v_cmp_gt_u32_e64 s[12:13], 8, v24
	v_cndmask_b32_e64 v24, v31, v29, s[12:13]
	v_cndmask_b32_e64 v28, v30, v28, s[12:13]
	v_lshlrev_b32_e32 v22, 24, v22
	v_bfrev_b32_e32 v29, 60
	v_lshlrev_b32_e32 v28, 20, v28
	v_and_b32_e32 v22, 0x80000000, v22
	v_lshl_add_u32 v24, v24, 23, v29
	v_or3_b32 v22, v22, v24, v28
	v_lshrrev_b32_e32 v28, 16, v22
.LBB776_420:
	s_or_b64 exec, exec, s[26:27]
.LBB776_421:
	s_or_b64 exec, exec, s[24:25]
.LBB776_422:
	s_or_b64 exec, exec, s[14:15]
	v_mov_b32_e32 v22, v19
	v_cmp_ne_u16_sdwa s[12:13], v19, v23 src0_sel:BYTE_0 src1_sel:DWORD
	s_and_saveexec_b64 s[14:15], s[12:13]
	s_cbranch_execz .LBB776_428
; %bb.423:
	s_movk_i32 s11, 0x80
	v_cmp_ne_u16_sdwa s[12:13], v19, s11 src0_sel:BYTE_0 src1_sel:DWORD
	v_mov_b32_e32 v24, 0xffff8000
	s_and_saveexec_b64 s[24:25], s[12:13]
	s_cbranch_execz .LBB776_427
; %bb.424:
	s_movk_i32 s11, 0x7f
	v_and_b32_e32 v29, 0x7f, v19
	v_cmp_ne_u32_e64 s[12:13], s11, v29
	v_mov_b32_e32 v24, 0x7f80
	s_and_saveexec_b64 s[26:27], s[12:13]
	s_cbranch_execz .LBB776_426
; %bb.425:
	v_and_b32_e32 v24, 7, v19
	v_ffbh_u32_e32 v24, v24
	v_min_u32_e32 v24, 32, v24
	v_subrev_u32_e32 v31, 28, v24
	v_cmp_gt_u32_e64 s[12:13], 8, v29
	v_lshrrev_b32_e32 v30, 3, v29
	v_sub_u32_e32 v24, 29, v24
	v_cndmask_b32_e64 v29, 0, v31, s[12:13]
	v_cndmask_b32_e64 v24, v30, v24, s[12:13]
	v_lshlrev_b64 v[30:31], v29, v[22:23]
	v_lshlrev_b32_e32 v23, 20, v30
	v_lshlrev_b32_e32 v29, 24, v22
	v_bfrev_b32_e32 v30, 60
	v_and_b32_e32 v23, 0x700000, v23
	v_and_b32_e32 v29, 0x80000000, v29
	v_lshl_add_u32 v24, v24, 23, v30
	v_or3_b32 v23, v29, v24, v23
	v_lshrrev_b32_e32 v24, 16, v23
.LBB776_426:
	s_or_b64 exec, exec, s[26:27]
.LBB776_427:
	s_or_b64 exec, exec, s[24:25]
	v_mov_b32_e32 v23, v24
.LBB776_428:
	s_or_b64 exec, exec, s[14:15]
	v_lshrrev_b16_e32 v24, 8, v22
	v_cmp_ne_u16_e64 s[12:13], 0, v24
	v_mov_b32_e32 v30, 0
	v_mov_b32_e32 v29, 0
	s_and_saveexec_b64 s[14:15], s[12:13]
	s_cbranch_execz .LBB776_434
; %bb.429:
	s_movk_i32 s11, 0x80
	v_cmp_ne_u16_e64 s[12:13], s11, v24
	v_mov_b32_e32 v29, 0xffff8000
	s_and_saveexec_b64 s[24:25], s[12:13]
	s_cbranch_execz .LBB776_433
; %bb.430:
	s_movk_i32 s11, 0x7f
	v_and_b32_e32 v31, 0x7f, v24
	v_cmp_ne_u32_e64 s[12:13], s11, v31
	v_mov_b32_e32 v29, 0x7f80
	s_and_saveexec_b64 s[26:27], s[12:13]
	s_cbranch_execz .LBB776_432
; %bb.431:
	v_and_b32_e32 v29, 7, v24
	v_ffbh_u32_e32 v32, v29
	v_min_u32_e32 v35, 32, v32
	v_subrev_u32_e32 v32, 28, v35
	v_lshlrev_b64 v[32:33], v32, v[24:25]
	v_lshrrev_b32_e32 v34, 3, v31
	v_sub_u32_e32 v24, 29, v35
	v_and_b32_e32 v32, 7, v32
	v_cmp_gt_u32_e64 s[12:13], 8, v31
	v_cndmask_b32_e64 v24, v34, v24, s[12:13]
	v_cndmask_b32_e64 v29, v29, v32, s[12:13]
	v_lshlrev_b32_e32 v22, 16, v22
	v_bfrev_b32_e32 v31, 60
	v_lshlrev_b32_e32 v29, 20, v29
	v_and_b32_e32 v22, 0x80000000, v22
	v_lshl_add_u32 v24, v24, 23, v31
	v_or3_b32 v22, v22, v24, v29
	v_lshrrev_b32_e32 v29, 16, v22
.LBB776_432:
	s_or_b64 exec, exec, s[26:27]
.LBB776_433:
	s_or_b64 exec, exec, s[24:25]
.LBB776_434:
	s_or_b64 exec, exec, s[14:15]
	s_movk_i32 s11, 0xff
	v_and_b32_sdwa v24, v19, s11 dst_sel:DWORD dst_unused:UNUSED_PAD src0_sel:WORD_1 src1_sel:DWORD
	v_lshrrev_b32_e32 v22, 16, v19
	v_cmp_ne_u16_e64 s[12:13], 0, v24
	s_and_saveexec_b64 s[14:15], s[12:13]
	s_cbranch_execz .LBB776_440
; %bb.435:
	s_movk_i32 s11, 0x80
	v_cmp_ne_u16_e64 s[12:13], s11, v24
	v_mov_b32_e32 v30, 0xffff8000
	s_and_saveexec_b64 s[24:25], s[12:13]
	s_cbranch_execz .LBB776_439
; %bb.436:
	v_bfe_u32 v24, v19, 16, 7
	s_movk_i32 s11, 0x7f
	v_cmp_ne_u32_e64 s[12:13], s11, v24
	v_mov_b32_e32 v30, 0x7f80
	s_and_saveexec_b64 s[26:27], s[12:13]
	s_cbranch_execz .LBB776_438
; %bb.437:
	v_and_b32_e32 v32, 7, v22
	v_ffbh_u32_e32 v30, v32
	v_min_u32_e32 v34, 32, v30
	v_subrev_u32_e32 v30, 28, v34
	v_lshlrev_b64 v[30:31], v30, v[22:23]
	v_and_b32_e32 v30, 7, v30
	v_cmp_gt_u32_e64 s[12:13], 8, v24
	v_lshrrev_b32_e32 v33, 3, v24
	v_sub_u32_e32 v22, 29, v34
	v_cndmask_b32_e64 v24, v32, v30, s[12:13]
	v_mov_b32_e32 v30, 24
	v_cndmask_b32_e64 v22, v33, v22, s[12:13]
	v_lshlrev_b32_sdwa v30, v30, v19 dst_sel:DWORD dst_unused:UNUSED_PAD src0_sel:DWORD src1_sel:WORD_1
	v_bfrev_b32_e32 v31, 60
	v_lshlrev_b32_e32 v24, 20, v24
	v_and_b32_e32 v30, 0x80000000, v30
	v_lshl_add_u32 v22, v22, 23, v31
	v_or3_b32 v22, v30, v22, v24
	v_lshrrev_b32_e32 v30, 16, v22
.LBB776_438:
	s_or_b64 exec, exec, s[26:27]
.LBB776_439:
	s_or_b64 exec, exec, s[24:25]
.LBB776_440:
	s_or_b64 exec, exec, s[14:15]
	s_mov_b32 s12, -1
	s_mov_b32 s13, 0xffffff
	v_cmp_lt_u64_e64 s[12:13], s[12:13], v[18:19]
	v_mov_b32_e32 v24, 0
	v_mov_b32_e32 v22, 0
	s_and_saveexec_b64 s[14:15], s[12:13]
	s_cbranch_execz .LBB776_446
; %bb.441:
	v_lshrrev_b32_e32 v18, 24, v19
	s_movk_i32 s11, 0x80
	v_cmp_ne_u32_e64 s[12:13], s11, v18
	v_mov_b32_e32 v22, 0xffff8000
	s_and_saveexec_b64 s[24:25], s[12:13]
	s_cbranch_execz .LBB776_445
; %bb.442:
	v_bfe_u32 v19, v19, 24, 7
	s_movk_i32 s11, 0x7f
	v_cmp_ne_u32_e64 s[12:13], s11, v19
	v_mov_b32_e32 v22, 0x7f80
	s_and_saveexec_b64 s[26:27], s[12:13]
	s_cbranch_execz .LBB776_444
; %bb.443:
	v_and_b32_e32 v22, 7, v18
	v_ffbh_u32_e32 v32, v22
	v_min_u32_e32 v34, 32, v32
	v_subrev_u32_e32 v32, 28, v34
	v_lshlrev_b64 v[32:33], v32, v[18:19]
	v_lshrrev_b32_e32 v31, 3, v19
	v_sub_u32_e32 v33, 29, v34
	v_and_b32_e32 v32, 7, v32
	v_cmp_gt_u32_e64 s[12:13], 8, v19
	v_cndmask_b32_e64 v19, v31, v33, s[12:13]
	v_cndmask_b32_e64 v22, v22, v32, s[12:13]
	v_lshlrev_b32_e32 v18, 24, v18
	v_bfrev_b32_e32 v31, 60
	v_lshlrev_b32_e32 v22, 20, v22
	v_and_b32_e32 v18, 0x80000000, v18
	v_lshl_add_u32 v19, v19, 23, v31
	v_or3_b32 v18, v18, v19, v22
	v_lshrrev_b32_e32 v22, 16, v18
.LBB776_444:
	s_or_b64 exec, exec, s[26:27]
.LBB776_445:
	s_or_b64 exec, exec, s[24:25]
.LBB776_446:
	s_or_b64 exec, exec, s[14:15]
	s_mov_b32 s11, 0x5040100
	v_perm_b32 v19, v28, v27, s11
	v_perm_b32 v18, v25, v26, s11
	;; [unrolled: 1-line block ×4, first 2 shown]
	v_mfma_f32_4x4x4bf16_1k a[0:3], v[2:3], v[18:19], a[0:3] cbsz:4 abid:8
	v_cmp_ne_u16_sdwa s[12:13], v20, v24 src0_sel:BYTE_0 src1_sel:DWORD
	v_mfma_f32_4x4x4bf16_1k a[0:3], v[4:5], v[26:27], a[0:3] cbsz:4 abid:8
	s_and_saveexec_b64 s[14:15], s[12:13]
	s_cbranch_execz .LBB776_452
; %bb.447:
	s_movk_i32 s11, 0x80
	v_cmp_ne_u16_sdwa s[12:13], v20, s11 src0_sel:BYTE_0 src1_sel:DWORD
	v_mov_b32_e32 v24, 0xffff8000
	s_and_saveexec_b64 s[24:25], s[12:13]
	s_cbranch_execz .LBB776_451
; %bb.448:
	s_movk_i32 s11, 0x7f
	v_and_b32_e32 v18, 0x7f, v20
	v_cmp_ne_u32_e64 s[12:13], s11, v18
	v_mov_b32_e32 v24, 0x7f80
	s_and_saveexec_b64 s[26:27], s[12:13]
	s_cbranch_execz .LBB776_450
; %bb.449:
	v_and_b32_e32 v19, 7, v20
	v_ffbh_u32_e32 v19, v19
	v_min_u32_e32 v19, 32, v19
	v_subrev_u32_e32 v23, 28, v19
	v_cmp_gt_u32_e64 s[12:13], 8, v18
	v_lshrrev_b32_e32 v22, 3, v18
	v_sub_u32_e32 v19, 29, v19
	v_cndmask_b32_e64 v18, 0, v23, s[12:13]
	v_cndmask_b32_e64 v22, v22, v19, s[12:13]
	v_lshlrev_b64 v[18:19], v18, v[20:21]
	v_lshlrev_b32_e32 v18, 20, v18
	v_lshlrev_b32_e32 v19, 24, v20
	v_bfrev_b32_e32 v23, 60
	v_and_b32_e32 v18, 0x700000, v18
	v_and_b32_e32 v19, 0x80000000, v19
	v_lshl_add_u32 v22, v22, 23, v23
	v_or3_b32 v18, v19, v22, v18
	v_lshrrev_b32_e32 v24, 16, v18
.LBB776_450:
	s_or_b64 exec, exec, s[26:27]
.LBB776_451:
	s_or_b64 exec, exec, s[24:25]
.LBB776_452:
	s_or_b64 exec, exec, s[14:15]
	v_lshrrev_b16_e32 v18, 8, v20
	v_cmp_ne_u16_e64 s[12:13], 0, v18
	v_mov_b32_e32 v25, 0
	v_mov_b32_e32 v23, 0
	s_and_saveexec_b64 s[14:15], s[12:13]
	s_cbranch_execz .LBB776_458
; %bb.453:
	s_movk_i32 s11, 0x80
	v_cmp_ne_u16_e64 s[12:13], s11, v18
	v_mov_b32_e32 v23, 0xffff8000
	s_and_saveexec_b64 s[24:25], s[12:13]
	s_cbranch_execz .LBB776_457
; %bb.454:
	s_movk_i32 s11, 0x7f
	v_and_b32_e32 v19, 0x7f, v18
	v_cmp_ne_u32_e64 s[12:13], s11, v19
	v_mov_b32_e32 v23, 0x7f80
	s_and_saveexec_b64 s[26:27], s[12:13]
	s_cbranch_execz .LBB776_456
; %bb.455:
	v_and_b32_e32 v26, 7, v18
	v_ffbh_u32_e32 v22, v26
	v_min_u32_e32 v28, 32, v22
	v_subrev_u32_e32 v22, 28, v28
	v_lshlrev_b64 v[22:23], v22, v[18:19]
	v_lshrrev_b32_e32 v27, 3, v19
	v_sub_u32_e32 v18, 29, v28
	v_and_b32_e32 v22, 7, v22
	v_cmp_gt_u32_e64 s[12:13], 8, v19
	v_cndmask_b32_e64 v18, v27, v18, s[12:13]
	v_cndmask_b32_e64 v19, v26, v22, s[12:13]
	v_lshlrev_b32_e32 v22, 16, v20
	v_bfrev_b32_e32 v23, 60
	v_lshlrev_b32_e32 v19, 20, v19
	v_and_b32_e32 v22, 0x80000000, v22
	v_lshl_add_u32 v18, v18, 23, v23
	v_or3_b32 v18, v22, v18, v19
	v_lshrrev_b32_e32 v23, 16, v18
.LBB776_456:
	s_or_b64 exec, exec, s[26:27]
.LBB776_457:
	s_or_b64 exec, exec, s[24:25]
.LBB776_458:
	s_or_b64 exec, exec, s[14:15]
	s_movk_i32 s11, 0xff
	v_and_b32_sdwa v19, v20, s11 dst_sel:DWORD dst_unused:UNUSED_PAD src0_sel:WORD_1 src1_sel:DWORD
	v_lshrrev_b32_e32 v18, 16, v20
	v_cmp_ne_u16_e64 s[12:13], 0, v19
	s_and_saveexec_b64 s[14:15], s[12:13]
	s_cbranch_execz .LBB776_464
; %bb.459:
	s_movk_i32 s11, 0x80
	v_cmp_ne_u16_e64 s[12:13], s11, v19
	v_mov_b32_e32 v25, 0xffff8000
	s_and_saveexec_b64 s[24:25], s[12:13]
	s_cbranch_execz .LBB776_463
; %bb.460:
	v_bfe_u32 v19, v20, 16, 7
	s_movk_i32 s11, 0x7f
	v_cmp_ne_u32_e64 s[12:13], s11, v19
	v_mov_b32_e32 v25, 0x7f80
	s_and_saveexec_b64 s[26:27], s[12:13]
	s_cbranch_execz .LBB776_462
; %bb.461:
	v_and_b32_e32 v22, 7, v18
	v_ffbh_u32_e32 v26, v22
	v_min_u32_e32 v28, 32, v26
	v_subrev_u32_e32 v26, 28, v28
	v_lshlrev_b64 v[26:27], v26, v[18:19]
	v_and_b32_e32 v26, 7, v26
	v_cmp_gt_u32_e64 s[12:13], 8, v19
	v_lshrrev_b32_e32 v25, 3, v19
	v_sub_u32_e32 v18, 29, v28
	v_cndmask_b32_e64 v19, v22, v26, s[12:13]
	v_mov_b32_e32 v22, 24
	v_cndmask_b32_e64 v18, v25, v18, s[12:13]
	v_lshlrev_b32_sdwa v22, v22, v20 dst_sel:DWORD dst_unused:UNUSED_PAD src0_sel:DWORD src1_sel:WORD_1
	v_bfrev_b32_e32 v25, 60
	v_lshlrev_b32_e32 v19, 20, v19
	v_and_b32_e32 v22, 0x80000000, v22
	v_lshl_add_u32 v18, v18, 23, v25
	v_or3_b32 v18, v22, v18, v19
	v_lshrrev_b32_e32 v25, 16, v18
.LBB776_462:
	s_or_b64 exec, exec, s[26:27]
.LBB776_463:
	s_or_b64 exec, exec, s[24:25]
.LBB776_464:
	s_or_b64 exec, exec, s[14:15]
	s_mov_b32 s11, 0xffffff
	v_cmp_lt_u32_e64 s[12:13], s11, v20
	v_mov_b32_e32 v19, 0
	v_mov_b32_e32 v26, 0
	s_and_saveexec_b64 s[14:15], s[12:13]
	s_cbranch_execz .LBB776_470
; %bb.465:
	v_lshrrev_b32_e32 v18, 24, v20
	s_movk_i32 s11, 0x80
	v_cmp_ne_u32_e64 s[12:13], s11, v18
	v_mov_b32_e32 v26, 0xffff8000
	s_and_saveexec_b64 s[24:25], s[12:13]
	s_cbranch_execz .LBB776_469
; %bb.466:
	v_bfe_u32 v22, v20, 24, 7
	s_movk_i32 s11, 0x7f
	v_cmp_ne_u32_e64 s[12:13], s11, v22
	v_mov_b32_e32 v26, 0x7f80
	s_and_saveexec_b64 s[26:27], s[12:13]
	s_cbranch_execz .LBB776_468
; %bb.467:
	v_and_b32_e32 v28, 7, v18
	v_ffbh_u32_e32 v26, v28
	v_min_u32_e32 v30, 32, v26
	v_subrev_u32_e32 v26, 28, v30
	v_lshlrev_b64 v[26:27], v26, v[18:19]
	v_lshrrev_b32_e32 v29, 3, v22
	v_sub_u32_e32 v27, 29, v30
	v_and_b32_e32 v26, 7, v26
	v_cmp_gt_u32_e64 s[12:13], 8, v22
	v_cndmask_b32_e64 v22, v29, v27, s[12:13]
	v_cndmask_b32_e64 v26, v28, v26, s[12:13]
	v_lshlrev_b32_e32 v18, 24, v18
	v_bfrev_b32_e32 v27, 60
	v_lshlrev_b32_e32 v26, 20, v26
	v_and_b32_e32 v18, 0x80000000, v18
	v_lshl_add_u32 v22, v22, 23, v27
	v_or3_b32 v18, v18, v22, v26
	v_lshrrev_b32_e32 v26, 16, v18
.LBB776_468:
	s_or_b64 exec, exec, s[26:27]
.LBB776_469:
	s_or_b64 exec, exec, s[24:25]
.LBB776_470:
	s_or_b64 exec, exec, s[14:15]
	v_mov_b32_e32 v18, v21
	v_cmp_ne_u16_sdwa s[12:13], v21, v19 src0_sel:BYTE_0 src1_sel:DWORD
	s_and_saveexec_b64 s[14:15], s[12:13]
	s_cbranch_execz .LBB776_476
; %bb.471:
	s_movk_i32 s11, 0x80
	v_cmp_ne_u16_sdwa s[12:13], v21, s11 src0_sel:BYTE_0 src1_sel:DWORD
	v_mov_b32_e32 v22, 0xffff8000
	s_and_saveexec_b64 s[24:25], s[12:13]
	s_cbranch_execz .LBB776_475
; %bb.472:
	s_movk_i32 s11, 0x7f
	v_and_b32_e32 v27, 0x7f, v21
	v_cmp_ne_u32_e64 s[12:13], s11, v27
	v_mov_b32_e32 v22, 0x7f80
	s_and_saveexec_b64 s[26:27], s[12:13]
	s_cbranch_execz .LBB776_474
; %bb.473:
	v_and_b32_e32 v22, 7, v21
	v_ffbh_u32_e32 v22, v22
	v_min_u32_e32 v22, 32, v22
	v_subrev_u32_e32 v29, 28, v22
	v_cmp_gt_u32_e64 s[12:13], 8, v27
	v_lshrrev_b32_e32 v28, 3, v27
	v_sub_u32_e32 v22, 29, v22
	v_cndmask_b32_e64 v27, 0, v29, s[12:13]
	v_cndmask_b32_e64 v22, v28, v22, s[12:13]
	v_lshlrev_b64 v[28:29], v27, v[18:19]
	v_lshlrev_b32_e32 v19, 20, v28
	v_lshlrev_b32_e32 v27, 24, v18
	v_bfrev_b32_e32 v28, 60
	v_and_b32_e32 v19, 0x700000, v19
	v_and_b32_e32 v27, 0x80000000, v27
	v_lshl_add_u32 v22, v22, 23, v28
	v_or3_b32 v19, v27, v22, v19
	v_lshrrev_b32_e32 v22, 16, v19
.LBB776_474:
	s_or_b64 exec, exec, s[26:27]
.LBB776_475:
	s_or_b64 exec, exec, s[24:25]
	v_mov_b32_e32 v19, v22
.LBB776_476:
	s_or_b64 exec, exec, s[14:15]
	v_lshrrev_b16_e32 v22, 8, v18
	v_cmp_ne_u16_e64 s[12:13], 0, v22
	v_mov_b32_e32 v28, 0
	v_mov_b32_e32 v27, 0
	s_and_saveexec_b64 s[14:15], s[12:13]
	s_cbranch_execz .LBB776_482
; %bb.477:
	s_movk_i32 s11, 0x80
	v_cmp_ne_u16_e64 s[12:13], s11, v22
	v_mov_b32_e32 v27, 0xffff8000
	s_and_saveexec_b64 s[24:25], s[12:13]
	s_cbranch_execz .LBB776_481
; %bb.478:
	s_movk_i32 s11, 0x7f
	v_and_b32_e32 v29, 0x7f, v22
	v_cmp_ne_u32_e64 s[12:13], s11, v29
	v_mov_b32_e32 v27, 0x7f80
	s_and_saveexec_b64 s[26:27], s[12:13]
	s_cbranch_execz .LBB776_480
; %bb.479:
	v_and_b32_e32 v27, 7, v22
	v_ffbh_u32_e32 v30, v27
	v_min_u32_e32 v33, 32, v30
	v_subrev_u32_e32 v30, 28, v33
	v_lshlrev_b64 v[30:31], v30, v[22:23]
	v_lshrrev_b32_e32 v32, 3, v29
	v_sub_u32_e32 v22, 29, v33
	v_and_b32_e32 v30, 7, v30
	v_cmp_gt_u32_e64 s[12:13], 8, v29
	v_cndmask_b32_e64 v22, v32, v22, s[12:13]
	v_cndmask_b32_e64 v27, v27, v30, s[12:13]
	v_lshlrev_b32_e32 v18, 16, v18
	v_bfrev_b32_e32 v29, 60
	v_lshlrev_b32_e32 v27, 20, v27
	v_and_b32_e32 v18, 0x80000000, v18
	v_lshl_add_u32 v22, v22, 23, v29
	v_or3_b32 v18, v18, v22, v27
	v_lshrrev_b32_e32 v27, 16, v18
.LBB776_480:
	s_or_b64 exec, exec, s[26:27]
.LBB776_481:
	s_or_b64 exec, exec, s[24:25]
.LBB776_482:
	s_or_b64 exec, exec, s[14:15]
	s_movk_i32 s11, 0xff
	v_and_b32_sdwa v22, v21, s11 dst_sel:DWORD dst_unused:UNUSED_PAD src0_sel:WORD_1 src1_sel:DWORD
	v_lshrrev_b32_e32 v18, 16, v21
	v_cmp_ne_u16_e64 s[12:13], 0, v22
	s_and_saveexec_b64 s[14:15], s[12:13]
	s_cbranch_execz .LBB776_488
; %bb.483:
	s_movk_i32 s11, 0x80
	v_cmp_ne_u16_e64 s[12:13], s11, v22
	v_mov_b32_e32 v28, 0xffff8000
	s_and_saveexec_b64 s[24:25], s[12:13]
	s_cbranch_execz .LBB776_487
; %bb.484:
	v_bfe_u32 v22, v21, 16, 7
	s_movk_i32 s11, 0x7f
	v_cmp_ne_u32_e64 s[12:13], s11, v22
	v_mov_b32_e32 v28, 0x7f80
	s_and_saveexec_b64 s[26:27], s[12:13]
	s_cbranch_execz .LBB776_486
; %bb.485:
	v_and_b32_e32 v30, 7, v18
	v_ffbh_u32_e32 v28, v30
	v_min_u32_e32 v32, 32, v28
	v_subrev_u32_e32 v28, 28, v32
	v_lshlrev_b64 v[28:29], v28, v[18:19]
	v_and_b32_e32 v28, 7, v28
	v_cmp_gt_u32_e64 s[12:13], 8, v22
	v_lshrrev_b32_e32 v31, 3, v22
	v_sub_u32_e32 v18, 29, v32
	v_cndmask_b32_e64 v22, v30, v28, s[12:13]
	v_mov_b32_e32 v28, 24
	v_cndmask_b32_e64 v18, v31, v18, s[12:13]
	v_lshlrev_b32_sdwa v28, v28, v21 dst_sel:DWORD dst_unused:UNUSED_PAD src0_sel:DWORD src1_sel:WORD_1
	v_bfrev_b32_e32 v29, 60
	v_lshlrev_b32_e32 v22, 20, v22
	v_and_b32_e32 v28, 0x80000000, v28
	v_lshl_add_u32 v18, v18, 23, v29
	v_or3_b32 v18, v28, v18, v22
	v_lshrrev_b32_e32 v28, 16, v18
.LBB776_486:
	s_or_b64 exec, exec, s[26:27]
.LBB776_487:
	s_or_b64 exec, exec, s[24:25]
.LBB776_488:
	s_or_b64 exec, exec, s[14:15]
	s_mov_b32 s12, -1
	s_mov_b32 s13, 0xffffff
	v_cmp_lt_u64_e64 s[12:13], s[12:13], v[20:21]
	v_mov_b32_e32 v22, 0
	v_mov_b32_e32 v20, 0
	s_and_saveexec_b64 s[14:15], s[12:13]
	s_cbranch_execz .LBB776_494
; %bb.489:
	v_lshrrev_b32_e32 v18, 24, v21
	s_movk_i32 s11, 0x80
	v_cmp_ne_u32_e64 s[12:13], s11, v18
	v_mov_b32_e32 v20, 0xffff8000
	s_and_saveexec_b64 s[24:25], s[12:13]
	s_cbranch_execz .LBB776_493
; %bb.490:
	v_bfe_u32 v21, v21, 24, 7
	s_movk_i32 s11, 0x7f
	v_cmp_ne_u32_e64 s[12:13], s11, v21
	v_mov_b32_e32 v20, 0x7f80
	s_and_saveexec_b64 s[26:27], s[12:13]
	s_cbranch_execz .LBB776_492
; %bb.491:
	v_and_b32_e32 v20, 7, v18
	v_ffbh_u32_e32 v30, v20
	v_min_u32_e32 v32, 32, v30
	v_subrev_u32_e32 v30, 28, v32
	v_lshlrev_b64 v[30:31], v30, v[18:19]
	v_lshrrev_b32_e32 v29, 3, v21
	v_sub_u32_e32 v31, 29, v32
	v_and_b32_e32 v30, 7, v30
	v_cmp_gt_u32_e64 s[12:13], 8, v21
	v_cndmask_b32_e64 v21, v29, v31, s[12:13]
	v_cndmask_b32_e64 v20, v20, v30, s[12:13]
	v_lshlrev_b32_e32 v18, 24, v18
	v_bfrev_b32_e32 v29, 60
	v_lshlrev_b32_e32 v20, 20, v20
	v_and_b32_e32 v18, 0x80000000, v18
	v_lshl_add_u32 v21, v21, 23, v29
	v_or3_b32 v18, v18, v21, v20
	v_lshrrev_b32_e32 v20, 16, v18
.LBB776_492:
	s_or_b64 exec, exec, s[26:27]
.LBB776_493:
	s_or_b64 exec, exec, s[24:25]
.LBB776_494:
	s_or_b64 exec, exec, s[14:15]
	s_mov_b32 s11, 0x5040100
	v_perm_b32 v25, v26, v25, s11
	v_perm_b32 v24, v23, v24, s11
	;; [unrolled: 1-line block ×4, first 2 shown]
	v_mfma_f32_4x4x4bf16_1k a[0:3], v[2:3], v[24:25], a[0:3] cbsz:4 abid:9
	v_cmp_ne_u16_sdwa s[12:13], v14, v22 src0_sel:BYTE_0 src1_sel:DWORD
	v_mfma_f32_4x4x4bf16_1k a[0:3], v[4:5], v[20:21], a[0:3] cbsz:4 abid:9
	s_and_saveexec_b64 s[14:15], s[12:13]
	s_cbranch_execz .LBB776_500
; %bb.495:
	s_movk_i32 s11, 0x80
	v_cmp_ne_u16_sdwa s[12:13], v14, s11 src0_sel:BYTE_0 src1_sel:DWORD
	v_mov_b32_e32 v22, 0xffff8000
	s_and_saveexec_b64 s[24:25], s[12:13]
	s_cbranch_execz .LBB776_499
; %bb.496:
	s_movk_i32 s11, 0x7f
	v_and_b32_e32 v18, 0x7f, v14
	v_cmp_ne_u32_e64 s[12:13], s11, v18
	v_mov_b32_e32 v22, 0x7f80
	s_and_saveexec_b64 s[26:27], s[12:13]
	s_cbranch_execz .LBB776_498
; %bb.497:
	v_and_b32_e32 v19, 7, v14
	v_ffbh_u32_e32 v19, v19
	v_min_u32_e32 v19, 32, v19
	v_subrev_u32_e32 v21, 28, v19
	v_cmp_gt_u32_e64 s[12:13], 8, v18
	v_lshrrev_b32_e32 v20, 3, v18
	v_sub_u32_e32 v19, 29, v19
	v_cndmask_b32_e64 v18, 0, v21, s[12:13]
	v_cndmask_b32_e64 v20, v20, v19, s[12:13]
	v_lshlrev_b64 v[18:19], v18, v[14:15]
	v_lshlrev_b32_e32 v18, 20, v18
	v_lshlrev_b32_e32 v19, 24, v14
	v_bfrev_b32_e32 v21, 60
	v_and_b32_e32 v18, 0x700000, v18
	v_and_b32_e32 v19, 0x80000000, v19
	v_lshl_add_u32 v20, v20, 23, v21
	v_or3_b32 v18, v19, v20, v18
	v_lshrrev_b32_e32 v22, 16, v18
.LBB776_498:
	s_or_b64 exec, exec, s[26:27]
.LBB776_499:
	s_or_b64 exec, exec, s[24:25]
.LBB776_500:
	s_or_b64 exec, exec, s[14:15]
	v_lshrrev_b16_e32 v18, 8, v14
	v_cmp_ne_u16_e64 s[12:13], 0, v18
	v_mov_b32_e32 v23, 0
	v_mov_b32_e32 v21, 0
	s_and_saveexec_b64 s[14:15], s[12:13]
	s_cbranch_execz .LBB776_506
; %bb.501:
	s_movk_i32 s11, 0x80
	v_cmp_ne_u16_e64 s[12:13], s11, v18
	v_mov_b32_e32 v21, 0xffff8000
	s_and_saveexec_b64 s[24:25], s[12:13]
	s_cbranch_execz .LBB776_505
; %bb.502:
	s_movk_i32 s11, 0x7f
	v_and_b32_e32 v19, 0x7f, v18
	v_cmp_ne_u32_e64 s[12:13], s11, v19
	v_mov_b32_e32 v21, 0x7f80
	s_and_saveexec_b64 s[26:27], s[12:13]
	s_cbranch_execz .LBB776_504
; %bb.503:
	v_and_b32_e32 v24, 7, v18
	v_ffbh_u32_e32 v20, v24
	v_min_u32_e32 v26, 32, v20
	v_subrev_u32_e32 v20, 28, v26
	v_lshlrev_b64 v[20:21], v20, v[18:19]
	v_lshrrev_b32_e32 v25, 3, v19
	v_sub_u32_e32 v18, 29, v26
	v_and_b32_e32 v20, 7, v20
	v_cmp_gt_u32_e64 s[12:13], 8, v19
	v_cndmask_b32_e64 v18, v25, v18, s[12:13]
	v_cndmask_b32_e64 v19, v24, v20, s[12:13]
	v_lshlrev_b32_e32 v20, 16, v14
	v_bfrev_b32_e32 v21, 60
	v_lshlrev_b32_e32 v19, 20, v19
	v_and_b32_e32 v20, 0x80000000, v20
	v_lshl_add_u32 v18, v18, 23, v21
	v_or3_b32 v18, v20, v18, v19
	v_lshrrev_b32_e32 v21, 16, v18
.LBB776_504:
	s_or_b64 exec, exec, s[26:27]
.LBB776_505:
	s_or_b64 exec, exec, s[24:25]
.LBB776_506:
	s_or_b64 exec, exec, s[14:15]
	s_movk_i32 s11, 0xff
	v_and_b32_sdwa v19, v14, s11 dst_sel:DWORD dst_unused:UNUSED_PAD src0_sel:WORD_1 src1_sel:DWORD
	v_lshrrev_b32_e32 v18, 16, v14
	v_cmp_ne_u16_e64 s[12:13], 0, v19
	s_and_saveexec_b64 s[14:15], s[12:13]
	s_cbranch_execz .LBB776_512
; %bb.507:
	s_movk_i32 s11, 0x80
	v_cmp_ne_u16_e64 s[12:13], s11, v19
	v_mov_b32_e32 v23, 0xffff8000
	s_and_saveexec_b64 s[24:25], s[12:13]
	s_cbranch_execz .LBB776_511
; %bb.508:
	v_bfe_u32 v19, v14, 16, 7
	s_movk_i32 s11, 0x7f
	v_cmp_ne_u32_e64 s[12:13], s11, v19
	v_mov_b32_e32 v23, 0x7f80
	s_and_saveexec_b64 s[26:27], s[12:13]
	s_cbranch_execz .LBB776_510
; %bb.509:
	v_and_b32_e32 v20, 7, v18
	v_ffbh_u32_e32 v24, v20
	v_min_u32_e32 v26, 32, v24
	v_subrev_u32_e32 v24, 28, v26
	v_lshlrev_b64 v[24:25], v24, v[18:19]
	v_and_b32_e32 v24, 7, v24
	v_cmp_gt_u32_e64 s[12:13], 8, v19
	v_lshrrev_b32_e32 v23, 3, v19
	v_sub_u32_e32 v18, 29, v26
	v_cndmask_b32_e64 v19, v20, v24, s[12:13]
	v_mov_b32_e32 v20, 24
	v_cndmask_b32_e64 v18, v23, v18, s[12:13]
	v_lshlrev_b32_sdwa v20, v20, v14 dst_sel:DWORD dst_unused:UNUSED_PAD src0_sel:DWORD src1_sel:WORD_1
	v_bfrev_b32_e32 v23, 60
	v_lshlrev_b32_e32 v19, 20, v19
	v_and_b32_e32 v20, 0x80000000, v20
	v_lshl_add_u32 v18, v18, 23, v23
	v_or3_b32 v18, v20, v18, v19
	v_lshrrev_b32_e32 v23, 16, v18
.LBB776_510:
	s_or_b64 exec, exec, s[26:27]
.LBB776_511:
	s_or_b64 exec, exec, s[24:25]
.LBB776_512:
	s_or_b64 exec, exec, s[14:15]
	s_mov_b32 s11, 0xffffff
	v_cmp_lt_u32_e64 s[12:13], s11, v14
	v_mov_b32_e32 v19, 0
	v_mov_b32_e32 v24, 0
	s_and_saveexec_b64 s[14:15], s[12:13]
	s_cbranch_execz .LBB776_518
; %bb.513:
	v_lshrrev_b32_e32 v18, 24, v14
	s_movk_i32 s11, 0x80
	v_cmp_ne_u32_e64 s[12:13], s11, v18
	v_mov_b32_e32 v24, 0xffff8000
	s_and_saveexec_b64 s[24:25], s[12:13]
	s_cbranch_execz .LBB776_517
; %bb.514:
	v_bfe_u32 v20, v14, 24, 7
	s_movk_i32 s11, 0x7f
	v_cmp_ne_u32_e64 s[12:13], s11, v20
	v_mov_b32_e32 v24, 0x7f80
	s_and_saveexec_b64 s[26:27], s[12:13]
	s_cbranch_execz .LBB776_516
; %bb.515:
	v_and_b32_e32 v26, 7, v18
	v_ffbh_u32_e32 v24, v26
	v_min_u32_e32 v28, 32, v24
	v_subrev_u32_e32 v24, 28, v28
	v_lshlrev_b64 v[24:25], v24, v[18:19]
	v_lshrrev_b32_e32 v27, 3, v20
	v_sub_u32_e32 v25, 29, v28
	v_and_b32_e32 v24, 7, v24
	v_cmp_gt_u32_e64 s[12:13], 8, v20
	v_cndmask_b32_e64 v20, v27, v25, s[12:13]
	v_cndmask_b32_e64 v24, v26, v24, s[12:13]
	v_lshlrev_b32_e32 v18, 24, v18
	v_bfrev_b32_e32 v25, 60
	v_lshlrev_b32_e32 v24, 20, v24
	v_and_b32_e32 v18, 0x80000000, v18
	v_lshl_add_u32 v20, v20, 23, v25
	v_or3_b32 v18, v18, v20, v24
	v_lshrrev_b32_e32 v24, 16, v18
.LBB776_516:
	s_or_b64 exec, exec, s[26:27]
.LBB776_517:
	s_or_b64 exec, exec, s[24:25]
.LBB776_518:
	s_or_b64 exec, exec, s[14:15]
	v_mov_b32_e32 v18, v15
	v_cmp_ne_u16_sdwa s[12:13], v15, v19 src0_sel:BYTE_0 src1_sel:DWORD
	s_and_saveexec_b64 s[14:15], s[12:13]
	s_cbranch_execz .LBB776_524
; %bb.519:
	s_movk_i32 s11, 0x80
	v_cmp_ne_u16_sdwa s[12:13], v15, s11 src0_sel:BYTE_0 src1_sel:DWORD
	v_mov_b32_e32 v20, 0xffff8000
	s_and_saveexec_b64 s[24:25], s[12:13]
	s_cbranch_execz .LBB776_523
; %bb.520:
	s_movk_i32 s11, 0x7f
	v_and_b32_e32 v25, 0x7f, v15
	v_cmp_ne_u32_e64 s[12:13], s11, v25
	v_mov_b32_e32 v20, 0x7f80
	s_and_saveexec_b64 s[26:27], s[12:13]
	s_cbranch_execz .LBB776_522
; %bb.521:
	v_and_b32_e32 v20, 7, v15
	v_ffbh_u32_e32 v20, v20
	v_min_u32_e32 v20, 32, v20
	v_subrev_u32_e32 v27, 28, v20
	v_cmp_gt_u32_e64 s[12:13], 8, v25
	v_lshrrev_b32_e32 v26, 3, v25
	v_sub_u32_e32 v20, 29, v20
	v_cndmask_b32_e64 v25, 0, v27, s[12:13]
	v_cndmask_b32_e64 v20, v26, v20, s[12:13]
	v_lshlrev_b64 v[26:27], v25, v[18:19]
	v_lshlrev_b32_e32 v19, 20, v26
	v_lshlrev_b32_e32 v25, 24, v18
	v_bfrev_b32_e32 v26, 60
	v_and_b32_e32 v19, 0x700000, v19
	v_and_b32_e32 v25, 0x80000000, v25
	v_lshl_add_u32 v20, v20, 23, v26
	v_or3_b32 v19, v25, v20, v19
	v_lshrrev_b32_e32 v20, 16, v19
.LBB776_522:
	s_or_b64 exec, exec, s[26:27]
.LBB776_523:
	s_or_b64 exec, exec, s[24:25]
	v_mov_b32_e32 v19, v20
.LBB776_524:
	s_or_b64 exec, exec, s[14:15]
	v_lshrrev_b16_e32 v20, 8, v18
	v_cmp_ne_u16_e64 s[12:13], 0, v20
	v_mov_b32_e32 v26, 0
	v_mov_b32_e32 v25, 0
	s_and_saveexec_b64 s[14:15], s[12:13]
	s_cbranch_execz .LBB776_530
; %bb.525:
	s_movk_i32 s11, 0x80
	v_cmp_ne_u16_e64 s[12:13], s11, v20
	v_mov_b32_e32 v25, 0xffff8000
	s_and_saveexec_b64 s[24:25], s[12:13]
	s_cbranch_execz .LBB776_529
; %bb.526:
	s_movk_i32 s11, 0x7f
	v_and_b32_e32 v27, 0x7f, v20
	v_cmp_ne_u32_e64 s[12:13], s11, v27
	v_mov_b32_e32 v25, 0x7f80
	s_and_saveexec_b64 s[26:27], s[12:13]
	s_cbranch_execz .LBB776_528
; %bb.527:
	v_and_b32_e32 v25, 7, v20
	v_ffbh_u32_e32 v28, v25
	v_min_u32_e32 v31, 32, v28
	v_subrev_u32_e32 v28, 28, v31
	v_lshlrev_b64 v[28:29], v28, v[20:21]
	v_lshrrev_b32_e32 v30, 3, v27
	v_sub_u32_e32 v20, 29, v31
	v_and_b32_e32 v28, 7, v28
	v_cmp_gt_u32_e64 s[12:13], 8, v27
	v_cndmask_b32_e64 v20, v30, v20, s[12:13]
	v_cndmask_b32_e64 v25, v25, v28, s[12:13]
	v_lshlrev_b32_e32 v18, 16, v18
	v_bfrev_b32_e32 v27, 60
	v_lshlrev_b32_e32 v25, 20, v25
	v_and_b32_e32 v18, 0x80000000, v18
	v_lshl_add_u32 v20, v20, 23, v27
	v_or3_b32 v18, v18, v20, v25
	v_lshrrev_b32_e32 v25, 16, v18
.LBB776_528:
	s_or_b64 exec, exec, s[26:27]
.LBB776_529:
	s_or_b64 exec, exec, s[24:25]
.LBB776_530:
	s_or_b64 exec, exec, s[14:15]
	s_movk_i32 s11, 0xff
	v_and_b32_sdwa v20, v15, s11 dst_sel:DWORD dst_unused:UNUSED_PAD src0_sel:WORD_1 src1_sel:DWORD
	v_lshrrev_b32_e32 v18, 16, v15
	v_cmp_ne_u16_e64 s[12:13], 0, v20
	s_and_saveexec_b64 s[14:15], s[12:13]
	s_cbranch_execz .LBB776_536
; %bb.531:
	s_movk_i32 s11, 0x80
	v_cmp_ne_u16_e64 s[12:13], s11, v20
	v_mov_b32_e32 v26, 0xffff8000
	s_and_saveexec_b64 s[24:25], s[12:13]
	s_cbranch_execz .LBB776_535
; %bb.532:
	v_bfe_u32 v20, v15, 16, 7
	s_movk_i32 s11, 0x7f
	v_cmp_ne_u32_e64 s[12:13], s11, v20
	v_mov_b32_e32 v26, 0x7f80
	s_and_saveexec_b64 s[26:27], s[12:13]
	s_cbranch_execz .LBB776_534
; %bb.533:
	v_and_b32_e32 v28, 7, v18
	v_ffbh_u32_e32 v26, v28
	v_min_u32_e32 v30, 32, v26
	v_subrev_u32_e32 v26, 28, v30
	v_lshlrev_b64 v[26:27], v26, v[18:19]
	v_and_b32_e32 v26, 7, v26
	v_cmp_gt_u32_e64 s[12:13], 8, v20
	v_lshrrev_b32_e32 v29, 3, v20
	v_sub_u32_e32 v18, 29, v30
	v_cndmask_b32_e64 v20, v28, v26, s[12:13]
	v_mov_b32_e32 v26, 24
	v_cndmask_b32_e64 v18, v29, v18, s[12:13]
	v_lshlrev_b32_sdwa v26, v26, v15 dst_sel:DWORD dst_unused:UNUSED_PAD src0_sel:DWORD src1_sel:WORD_1
	v_bfrev_b32_e32 v27, 60
	v_lshlrev_b32_e32 v20, 20, v20
	v_and_b32_e32 v26, 0x80000000, v26
	v_lshl_add_u32 v18, v18, 23, v27
	v_or3_b32 v18, v26, v18, v20
	v_lshrrev_b32_e32 v26, 16, v18
.LBB776_534:
	s_or_b64 exec, exec, s[26:27]
.LBB776_535:
	s_or_b64 exec, exec, s[24:25]
.LBB776_536:
	s_or_b64 exec, exec, s[14:15]
	s_mov_b32 s12, -1
	s_mov_b32 s13, 0xffffff
	v_cmp_lt_u64_e64 s[12:13], s[12:13], v[14:15]
	v_mov_b32_e32 v20, 0
	v_mov_b32_e32 v18, 0
	s_and_saveexec_b64 s[14:15], s[12:13]
	s_cbranch_execz .LBB776_542
; %bb.537:
	v_lshrrev_b32_e32 v14, 24, v15
	s_movk_i32 s11, 0x80
	v_cmp_ne_u32_e64 s[12:13], s11, v14
	v_mov_b32_e32 v18, 0xffff8000
	s_and_saveexec_b64 s[24:25], s[12:13]
	s_cbranch_execz .LBB776_541
; %bb.538:
	v_bfe_u32 v15, v15, 24, 7
	s_movk_i32 s11, 0x7f
	v_cmp_ne_u32_e64 s[12:13], s11, v15
	v_mov_b32_e32 v18, 0x7f80
	s_and_saveexec_b64 s[26:27], s[12:13]
	s_cbranch_execz .LBB776_540
; %bb.539:
	v_and_b32_e32 v18, 7, v14
	v_ffbh_u32_e32 v28, v18
	v_min_u32_e32 v30, 32, v28
	v_subrev_u32_e32 v28, 28, v30
	v_lshlrev_b64 v[28:29], v28, v[14:15]
	v_lshrrev_b32_e32 v27, 3, v15
	v_sub_u32_e32 v29, 29, v30
	v_and_b32_e32 v28, 7, v28
	v_cmp_gt_u32_e64 s[12:13], 8, v15
	v_cndmask_b32_e64 v15, v27, v29, s[12:13]
	v_cndmask_b32_e64 v18, v18, v28, s[12:13]
	v_lshlrev_b32_e32 v14, 24, v14
	v_bfrev_b32_e32 v27, 60
	v_lshlrev_b32_e32 v18, 20, v18
	v_and_b32_e32 v14, 0x80000000, v14
	v_lshl_add_u32 v15, v15, 23, v27
	v_or3_b32 v14, v14, v15, v18
	v_lshrrev_b32_e32 v18, 16, v14
.LBB776_540:
	s_or_b64 exec, exec, s[26:27]
.LBB776_541:
	s_or_b64 exec, exec, s[24:25]
.LBB776_542:
	s_or_b64 exec, exec, s[14:15]
	s_mov_b32 s11, 0x5040100
	v_perm_b32 v15, v24, v23, s11
	v_perm_b32 v14, v21, v22, s11
	;; [unrolled: 1-line block ×4, first 2 shown]
	v_mfma_f32_4x4x4bf16_1k a[0:3], v[2:3], v[14:15], a[0:3] cbsz:4 abid:10
	v_cmp_ne_u16_sdwa s[12:13], v16, v20 src0_sel:BYTE_0 src1_sel:DWORD
	v_mfma_f32_4x4x4bf16_1k a[0:3], v[4:5], v[22:23], a[0:3] cbsz:4 abid:10
	s_and_saveexec_b64 s[14:15], s[12:13]
	s_cbranch_execz .LBB776_548
; %bb.543:
	s_movk_i32 s11, 0x80
	v_cmp_ne_u16_sdwa s[12:13], v16, s11 src0_sel:BYTE_0 src1_sel:DWORD
	v_mov_b32_e32 v20, 0xffff8000
	s_and_saveexec_b64 s[24:25], s[12:13]
	s_cbranch_execz .LBB776_547
; %bb.544:
	s_movk_i32 s11, 0x7f
	v_and_b32_e32 v14, 0x7f, v16
	v_cmp_ne_u32_e64 s[12:13], s11, v14
	v_mov_b32_e32 v20, 0x7f80
	s_and_saveexec_b64 s[26:27], s[12:13]
	s_cbranch_execz .LBB776_546
; %bb.545:
	v_and_b32_e32 v15, 7, v16
	v_ffbh_u32_e32 v15, v15
	v_min_u32_e32 v15, 32, v15
	v_subrev_u32_e32 v19, 28, v15
	v_cmp_gt_u32_e64 s[12:13], 8, v14
	v_lshrrev_b32_e32 v18, 3, v14
	v_sub_u32_e32 v15, 29, v15
	v_cndmask_b32_e64 v14, 0, v19, s[12:13]
	v_cndmask_b32_e64 v18, v18, v15, s[12:13]
	v_lshlrev_b64 v[14:15], v14, v[16:17]
	v_lshlrev_b32_e32 v14, 20, v14
	v_lshlrev_b32_e32 v15, 24, v16
	v_bfrev_b32_e32 v19, 60
	v_and_b32_e32 v14, 0x700000, v14
	v_and_b32_e32 v15, 0x80000000, v15
	v_lshl_add_u32 v18, v18, 23, v19
	v_or3_b32 v14, v15, v18, v14
	v_lshrrev_b32_e32 v20, 16, v14
.LBB776_546:
	s_or_b64 exec, exec, s[26:27]
.LBB776_547:
	s_or_b64 exec, exec, s[24:25]
.LBB776_548:
	s_or_b64 exec, exec, s[14:15]
	v_lshrrev_b16_e32 v14, 8, v16
	v_cmp_ne_u16_e64 s[12:13], 0, v14
	v_mov_b32_e32 v21, 0
	v_mov_b32_e32 v19, 0
	s_and_saveexec_b64 s[14:15], s[12:13]
	s_cbranch_execz .LBB776_554
; %bb.549:
	s_movk_i32 s11, 0x80
	v_cmp_ne_u16_e64 s[12:13], s11, v14
	v_mov_b32_e32 v19, 0xffff8000
	s_and_saveexec_b64 s[24:25], s[12:13]
	s_cbranch_execz .LBB776_553
; %bb.550:
	s_movk_i32 s11, 0x7f
	v_and_b32_e32 v15, 0x7f, v14
	v_cmp_ne_u32_e64 s[12:13], s11, v15
	v_mov_b32_e32 v19, 0x7f80
	s_and_saveexec_b64 s[26:27], s[12:13]
	s_cbranch_execz .LBB776_552
; %bb.551:
	v_and_b32_e32 v22, 7, v14
	v_ffbh_u32_e32 v18, v22
	v_min_u32_e32 v24, 32, v18
	v_subrev_u32_e32 v18, 28, v24
	v_lshlrev_b64 v[18:19], v18, v[14:15]
	v_lshrrev_b32_e32 v23, 3, v15
	v_sub_u32_e32 v14, 29, v24
	v_and_b32_e32 v18, 7, v18
	v_cmp_gt_u32_e64 s[12:13], 8, v15
	v_cndmask_b32_e64 v14, v23, v14, s[12:13]
	v_cndmask_b32_e64 v15, v22, v18, s[12:13]
	v_lshlrev_b32_e32 v18, 16, v16
	v_bfrev_b32_e32 v19, 60
	v_lshlrev_b32_e32 v15, 20, v15
	v_and_b32_e32 v18, 0x80000000, v18
	v_lshl_add_u32 v14, v14, 23, v19
	v_or3_b32 v14, v18, v14, v15
	v_lshrrev_b32_e32 v19, 16, v14
.LBB776_552:
	s_or_b64 exec, exec, s[26:27]
.LBB776_553:
	s_or_b64 exec, exec, s[24:25]
.LBB776_554:
	s_or_b64 exec, exec, s[14:15]
	s_movk_i32 s11, 0xff
	v_and_b32_sdwa v15, v16, s11 dst_sel:DWORD dst_unused:UNUSED_PAD src0_sel:WORD_1 src1_sel:DWORD
	v_lshrrev_b32_e32 v14, 16, v16
	v_cmp_ne_u16_e64 s[12:13], 0, v15
	s_and_saveexec_b64 s[14:15], s[12:13]
	s_cbranch_execz .LBB776_560
; %bb.555:
	s_movk_i32 s11, 0x80
	v_cmp_ne_u16_e64 s[12:13], s11, v15
	v_mov_b32_e32 v21, 0xffff8000
	s_and_saveexec_b64 s[24:25], s[12:13]
	s_cbranch_execz .LBB776_559
; %bb.556:
	v_bfe_u32 v15, v16, 16, 7
	s_movk_i32 s11, 0x7f
	v_cmp_ne_u32_e64 s[12:13], s11, v15
	v_mov_b32_e32 v21, 0x7f80
	s_and_saveexec_b64 s[26:27], s[12:13]
	s_cbranch_execz .LBB776_558
; %bb.557:
	v_and_b32_e32 v18, 7, v14
	v_ffbh_u32_e32 v22, v18
	v_min_u32_e32 v24, 32, v22
	v_subrev_u32_e32 v22, 28, v24
	v_lshlrev_b64 v[22:23], v22, v[14:15]
	v_and_b32_e32 v22, 7, v22
	v_cmp_gt_u32_e64 s[12:13], 8, v15
	v_lshrrev_b32_e32 v21, 3, v15
	v_sub_u32_e32 v14, 29, v24
	v_cndmask_b32_e64 v15, v18, v22, s[12:13]
	v_mov_b32_e32 v18, 24
	v_cndmask_b32_e64 v14, v21, v14, s[12:13]
	v_lshlrev_b32_sdwa v18, v18, v16 dst_sel:DWORD dst_unused:UNUSED_PAD src0_sel:DWORD src1_sel:WORD_1
	v_bfrev_b32_e32 v21, 60
	v_lshlrev_b32_e32 v15, 20, v15
	v_and_b32_e32 v18, 0x80000000, v18
	v_lshl_add_u32 v14, v14, 23, v21
	v_or3_b32 v14, v18, v14, v15
	v_lshrrev_b32_e32 v21, 16, v14
.LBB776_558:
	s_or_b64 exec, exec, s[26:27]
.LBB776_559:
	s_or_b64 exec, exec, s[24:25]
.LBB776_560:
	s_or_b64 exec, exec, s[14:15]
	s_mov_b32 s11, 0xffffff
	v_cmp_lt_u32_e64 s[12:13], s11, v16
	v_mov_b32_e32 v15, 0
	v_mov_b32_e32 v22, 0
	s_and_saveexec_b64 s[14:15], s[12:13]
	s_cbranch_execz .LBB776_566
; %bb.561:
	v_lshrrev_b32_e32 v14, 24, v16
	s_movk_i32 s11, 0x80
	v_cmp_ne_u32_e64 s[12:13], s11, v14
	v_mov_b32_e32 v22, 0xffff8000
	s_and_saveexec_b64 s[24:25], s[12:13]
	s_cbranch_execz .LBB776_565
; %bb.562:
	v_bfe_u32 v18, v16, 24, 7
	s_movk_i32 s11, 0x7f
	v_cmp_ne_u32_e64 s[12:13], s11, v18
	v_mov_b32_e32 v22, 0x7f80
	s_and_saveexec_b64 s[26:27], s[12:13]
	s_cbranch_execz .LBB776_564
; %bb.563:
	v_and_b32_e32 v24, 7, v14
	v_ffbh_u32_e32 v22, v24
	v_min_u32_e32 v26, 32, v22
	v_subrev_u32_e32 v22, 28, v26
	v_lshlrev_b64 v[22:23], v22, v[14:15]
	v_lshrrev_b32_e32 v25, 3, v18
	v_sub_u32_e32 v23, 29, v26
	v_and_b32_e32 v22, 7, v22
	v_cmp_gt_u32_e64 s[12:13], 8, v18
	v_cndmask_b32_e64 v18, v25, v23, s[12:13]
	v_cndmask_b32_e64 v22, v24, v22, s[12:13]
	v_lshlrev_b32_e32 v14, 24, v14
	v_bfrev_b32_e32 v23, 60
	v_lshlrev_b32_e32 v22, 20, v22
	v_and_b32_e32 v14, 0x80000000, v14
	v_lshl_add_u32 v18, v18, 23, v23
	v_or3_b32 v14, v14, v18, v22
	v_lshrrev_b32_e32 v22, 16, v14
.LBB776_564:
	s_or_b64 exec, exec, s[26:27]
.LBB776_565:
	s_or_b64 exec, exec, s[24:25]
.LBB776_566:
	s_or_b64 exec, exec, s[14:15]
	v_mov_b32_e32 v14, v17
	v_cmp_ne_u16_sdwa s[12:13], v17, v15 src0_sel:BYTE_0 src1_sel:DWORD
	s_and_saveexec_b64 s[14:15], s[12:13]
	s_cbranch_execz .LBB776_572
; %bb.567:
	s_movk_i32 s11, 0x80
	v_cmp_ne_u16_sdwa s[12:13], v17, s11 src0_sel:BYTE_0 src1_sel:DWORD
	v_mov_b32_e32 v18, 0xffff8000
	s_and_saveexec_b64 s[24:25], s[12:13]
	s_cbranch_execz .LBB776_571
; %bb.568:
	s_movk_i32 s11, 0x7f
	v_and_b32_e32 v23, 0x7f, v17
	v_cmp_ne_u32_e64 s[12:13], s11, v23
	v_mov_b32_e32 v18, 0x7f80
	s_and_saveexec_b64 s[26:27], s[12:13]
	s_cbranch_execz .LBB776_570
; %bb.569:
	v_and_b32_e32 v18, 7, v17
	v_ffbh_u32_e32 v18, v18
	v_min_u32_e32 v18, 32, v18
	v_subrev_u32_e32 v25, 28, v18
	v_cmp_gt_u32_e64 s[12:13], 8, v23
	v_lshrrev_b32_e32 v24, 3, v23
	v_sub_u32_e32 v18, 29, v18
	v_cndmask_b32_e64 v23, 0, v25, s[12:13]
	v_cndmask_b32_e64 v18, v24, v18, s[12:13]
	v_lshlrev_b64 v[24:25], v23, v[14:15]
	v_lshlrev_b32_e32 v15, 20, v24
	v_lshlrev_b32_e32 v23, 24, v14
	v_bfrev_b32_e32 v24, 60
	v_and_b32_e32 v15, 0x700000, v15
	v_and_b32_e32 v23, 0x80000000, v23
	v_lshl_add_u32 v18, v18, 23, v24
	v_or3_b32 v15, v23, v18, v15
	v_lshrrev_b32_e32 v18, 16, v15
.LBB776_570:
	s_or_b64 exec, exec, s[26:27]
.LBB776_571:
	s_or_b64 exec, exec, s[24:25]
	v_mov_b32_e32 v15, v18
.LBB776_572:
	s_or_b64 exec, exec, s[14:15]
	v_lshrrev_b16_e32 v18, 8, v14
	v_cmp_ne_u16_e64 s[12:13], 0, v18
	v_mov_b32_e32 v24, 0
	v_mov_b32_e32 v23, 0
	s_and_saveexec_b64 s[14:15], s[12:13]
	s_cbranch_execz .LBB776_578
; %bb.573:
	s_movk_i32 s11, 0x80
	v_cmp_ne_u16_e64 s[12:13], s11, v18
	v_mov_b32_e32 v23, 0xffff8000
	s_and_saveexec_b64 s[24:25], s[12:13]
	s_cbranch_execz .LBB776_577
; %bb.574:
	s_movk_i32 s11, 0x7f
	v_and_b32_e32 v25, 0x7f, v18
	v_cmp_ne_u32_e64 s[12:13], s11, v25
	v_mov_b32_e32 v23, 0x7f80
	s_and_saveexec_b64 s[26:27], s[12:13]
	s_cbranch_execz .LBB776_576
; %bb.575:
	v_and_b32_e32 v23, 7, v18
	v_ffbh_u32_e32 v26, v23
	v_min_u32_e32 v29, 32, v26
	v_subrev_u32_e32 v26, 28, v29
	v_lshlrev_b64 v[26:27], v26, v[18:19]
	v_lshrrev_b32_e32 v28, 3, v25
	v_sub_u32_e32 v18, 29, v29
	v_and_b32_e32 v26, 7, v26
	v_cmp_gt_u32_e64 s[12:13], 8, v25
	v_cndmask_b32_e64 v18, v28, v18, s[12:13]
	v_cndmask_b32_e64 v23, v23, v26, s[12:13]
	v_lshlrev_b32_e32 v14, 16, v14
	v_bfrev_b32_e32 v25, 60
	v_lshlrev_b32_e32 v23, 20, v23
	v_and_b32_e32 v14, 0x80000000, v14
	v_lshl_add_u32 v18, v18, 23, v25
	v_or3_b32 v14, v14, v18, v23
	v_lshrrev_b32_e32 v23, 16, v14
.LBB776_576:
	s_or_b64 exec, exec, s[26:27]
.LBB776_577:
	s_or_b64 exec, exec, s[24:25]
.LBB776_578:
	s_or_b64 exec, exec, s[14:15]
	s_movk_i32 s11, 0xff
	v_and_b32_sdwa v18, v17, s11 dst_sel:DWORD dst_unused:UNUSED_PAD src0_sel:WORD_1 src1_sel:DWORD
	v_lshrrev_b32_e32 v14, 16, v17
	v_cmp_ne_u16_e64 s[12:13], 0, v18
	s_and_saveexec_b64 s[14:15], s[12:13]
	s_cbranch_execz .LBB776_584
; %bb.579:
	s_movk_i32 s11, 0x80
	v_cmp_ne_u16_e64 s[12:13], s11, v18
	v_mov_b32_e32 v24, 0xffff8000
	s_and_saveexec_b64 s[24:25], s[12:13]
	s_cbranch_execz .LBB776_583
; %bb.580:
	v_bfe_u32 v18, v17, 16, 7
	s_movk_i32 s11, 0x7f
	v_cmp_ne_u32_e64 s[12:13], s11, v18
	v_mov_b32_e32 v24, 0x7f80
	s_and_saveexec_b64 s[26:27], s[12:13]
	s_cbranch_execz .LBB776_582
; %bb.581:
	v_and_b32_e32 v26, 7, v14
	v_ffbh_u32_e32 v24, v26
	v_min_u32_e32 v28, 32, v24
	v_subrev_u32_e32 v24, 28, v28
	v_lshlrev_b64 v[24:25], v24, v[14:15]
	v_and_b32_e32 v24, 7, v24
	v_cmp_gt_u32_e64 s[12:13], 8, v18
	v_lshrrev_b32_e32 v27, 3, v18
	v_sub_u32_e32 v14, 29, v28
	v_cndmask_b32_e64 v18, v26, v24, s[12:13]
	v_mov_b32_e32 v24, 24
	v_cndmask_b32_e64 v14, v27, v14, s[12:13]
	v_lshlrev_b32_sdwa v24, v24, v17 dst_sel:DWORD dst_unused:UNUSED_PAD src0_sel:DWORD src1_sel:WORD_1
	v_bfrev_b32_e32 v25, 60
	v_lshlrev_b32_e32 v18, 20, v18
	v_and_b32_e32 v24, 0x80000000, v24
	v_lshl_add_u32 v14, v14, 23, v25
	v_or3_b32 v14, v24, v14, v18
	v_lshrrev_b32_e32 v24, 16, v14
.LBB776_582:
	s_or_b64 exec, exec, s[26:27]
.LBB776_583:
	s_or_b64 exec, exec, s[24:25]
.LBB776_584:
	s_or_b64 exec, exec, s[14:15]
	s_mov_b32 s12, -1
	s_mov_b32 s13, 0xffffff
	v_cmp_lt_u64_e64 s[12:13], s[12:13], v[16:17]
	v_mov_b32_e32 v18, 0
	v_mov_b32_e32 v16, 0
	s_and_saveexec_b64 s[14:15], s[12:13]
	s_cbranch_execz .LBB776_590
; %bb.585:
	v_lshrrev_b32_e32 v14, 24, v17
	s_movk_i32 s11, 0x80
	v_cmp_ne_u32_e64 s[12:13], s11, v14
	v_mov_b32_e32 v16, 0xffff8000
	s_and_saveexec_b64 s[24:25], s[12:13]
	s_cbranch_execz .LBB776_589
; %bb.586:
	v_bfe_u32 v17, v17, 24, 7
	s_movk_i32 s11, 0x7f
	v_cmp_ne_u32_e64 s[12:13], s11, v17
	v_mov_b32_e32 v16, 0x7f80
	s_and_saveexec_b64 s[26:27], s[12:13]
	s_cbranch_execz .LBB776_588
; %bb.587:
	v_and_b32_e32 v16, 7, v14
	v_ffbh_u32_e32 v26, v16
	v_min_u32_e32 v28, 32, v26
	v_subrev_u32_e32 v26, 28, v28
	v_lshlrev_b64 v[26:27], v26, v[14:15]
	v_lshrrev_b32_e32 v25, 3, v17
	v_sub_u32_e32 v27, 29, v28
	v_and_b32_e32 v26, 7, v26
	v_cmp_gt_u32_e64 s[12:13], 8, v17
	v_cndmask_b32_e64 v17, v25, v27, s[12:13]
	v_cndmask_b32_e64 v16, v16, v26, s[12:13]
	v_lshlrev_b32_e32 v14, 24, v14
	v_bfrev_b32_e32 v25, 60
	v_lshlrev_b32_e32 v16, 20, v16
	v_and_b32_e32 v14, 0x80000000, v14
	v_lshl_add_u32 v17, v17, 23, v25
	v_or3_b32 v14, v14, v17, v16
	v_lshrrev_b32_e32 v16, 16, v14
.LBB776_588:
	s_or_b64 exec, exec, s[26:27]
.LBB776_589:
	s_or_b64 exec, exec, s[24:25]
.LBB776_590:
	s_or_b64 exec, exec, s[14:15]
	s_mov_b32 s11, 0x5040100
	v_perm_b32 v21, v22, v21, s11
	v_perm_b32 v20, v19, v20, s11
	;; [unrolled: 1-line block ×4, first 2 shown]
	v_mfma_f32_4x4x4bf16_1k a[0:3], v[2:3], v[20:21], a[0:3] cbsz:4 abid:11
	s_waitcnt vmcnt(17)
	v_cmp_ne_u16_sdwa s[12:13], v10, v18 src0_sel:BYTE_0 src1_sel:DWORD
	v_mfma_f32_4x4x4bf16_1k a[0:3], v[4:5], v[16:17], a[0:3] cbsz:4 abid:11
	s_and_saveexec_b64 s[14:15], s[12:13]
	s_cbranch_execz .LBB776_596
; %bb.591:
	s_movk_i32 s11, 0x80
	v_cmp_ne_u16_sdwa s[12:13], v10, s11 src0_sel:BYTE_0 src1_sel:DWORD
	v_mov_b32_e32 v18, 0xffff8000
	s_and_saveexec_b64 s[24:25], s[12:13]
	s_cbranch_execz .LBB776_595
; %bb.592:
	s_movk_i32 s11, 0x7f
	v_and_b32_e32 v14, 0x7f, v10
	v_cmp_ne_u32_e64 s[12:13], s11, v14
	v_mov_b32_e32 v18, 0x7f80
	s_and_saveexec_b64 s[26:27], s[12:13]
	s_cbranch_execz .LBB776_594
; %bb.593:
	v_and_b32_e32 v15, 7, v10
	v_ffbh_u32_e32 v15, v15
	v_min_u32_e32 v15, 32, v15
	v_subrev_u32_e32 v17, 28, v15
	v_cmp_gt_u32_e64 s[12:13], 8, v14
	v_lshrrev_b32_e32 v16, 3, v14
	v_sub_u32_e32 v15, 29, v15
	v_cndmask_b32_e64 v14, 0, v17, s[12:13]
	v_cndmask_b32_e64 v16, v16, v15, s[12:13]
	v_lshlrev_b64 v[14:15], v14, v[10:11]
	v_lshlrev_b32_e32 v14, 20, v14
	v_lshlrev_b32_e32 v15, 24, v10
	v_bfrev_b32_e32 v17, 60
	v_and_b32_e32 v14, 0x700000, v14
	v_and_b32_e32 v15, 0x80000000, v15
	v_lshl_add_u32 v16, v16, 23, v17
	v_or3_b32 v14, v15, v16, v14
	v_lshrrev_b32_e32 v18, 16, v14
.LBB776_594:
	s_or_b64 exec, exec, s[26:27]
.LBB776_595:
	s_or_b64 exec, exec, s[24:25]
.LBB776_596:
	s_or_b64 exec, exec, s[14:15]
	v_lshrrev_b16_e32 v14, 8, v10
	v_cmp_ne_u16_e64 s[12:13], 0, v14
	v_mov_b32_e32 v19, 0
	v_mov_b32_e32 v17, 0
	s_and_saveexec_b64 s[14:15], s[12:13]
	s_cbranch_execz .LBB776_602
; %bb.597:
	s_movk_i32 s11, 0x80
	v_cmp_ne_u16_e64 s[12:13], s11, v14
	v_mov_b32_e32 v17, 0xffff8000
	s_and_saveexec_b64 s[24:25], s[12:13]
	s_cbranch_execz .LBB776_601
; %bb.598:
	s_movk_i32 s11, 0x7f
	v_and_b32_e32 v15, 0x7f, v14
	v_cmp_ne_u32_e64 s[12:13], s11, v15
	v_mov_b32_e32 v17, 0x7f80
	s_and_saveexec_b64 s[26:27], s[12:13]
	s_cbranch_execz .LBB776_600
; %bb.599:
	v_and_b32_e32 v20, 7, v14
	v_ffbh_u32_e32 v16, v20
	v_min_u32_e32 v22, 32, v16
	v_subrev_u32_e32 v16, 28, v22
	v_lshlrev_b64 v[16:17], v16, v[14:15]
	v_lshrrev_b32_e32 v21, 3, v15
	v_sub_u32_e32 v14, 29, v22
	v_and_b32_e32 v16, 7, v16
	v_cmp_gt_u32_e64 s[12:13], 8, v15
	v_cndmask_b32_e64 v14, v21, v14, s[12:13]
	v_cndmask_b32_e64 v15, v20, v16, s[12:13]
	v_lshlrev_b32_e32 v16, 16, v10
	v_bfrev_b32_e32 v17, 60
	v_lshlrev_b32_e32 v15, 20, v15
	v_and_b32_e32 v16, 0x80000000, v16
	v_lshl_add_u32 v14, v14, 23, v17
	v_or3_b32 v14, v16, v14, v15
	v_lshrrev_b32_e32 v17, 16, v14
.LBB776_600:
	s_or_b64 exec, exec, s[26:27]
.LBB776_601:
	s_or_b64 exec, exec, s[24:25]
.LBB776_602:
	s_or_b64 exec, exec, s[14:15]
	s_movk_i32 s11, 0xff
	v_and_b32_sdwa v15, v10, s11 dst_sel:DWORD dst_unused:UNUSED_PAD src0_sel:WORD_1 src1_sel:DWORD
	v_lshrrev_b32_e32 v14, 16, v10
	v_cmp_ne_u16_e64 s[12:13], 0, v15
	s_and_saveexec_b64 s[14:15], s[12:13]
	s_cbranch_execz .LBB776_608
; %bb.603:
	s_movk_i32 s11, 0x80
	v_cmp_ne_u16_e64 s[12:13], s11, v15
	v_mov_b32_e32 v19, 0xffff8000
	s_and_saveexec_b64 s[24:25], s[12:13]
	s_cbranch_execz .LBB776_607
; %bb.604:
	v_bfe_u32 v15, v10, 16, 7
	s_movk_i32 s11, 0x7f
	v_cmp_ne_u32_e64 s[12:13], s11, v15
	v_mov_b32_e32 v19, 0x7f80
	s_and_saveexec_b64 s[26:27], s[12:13]
	s_cbranch_execz .LBB776_606
; %bb.605:
	v_and_b32_e32 v16, 7, v14
	v_ffbh_u32_e32 v20, v16
	v_min_u32_e32 v22, 32, v20
	v_subrev_u32_e32 v20, 28, v22
	v_lshlrev_b64 v[20:21], v20, v[14:15]
	v_and_b32_e32 v20, 7, v20
	v_cmp_gt_u32_e64 s[12:13], 8, v15
	v_lshrrev_b32_e32 v19, 3, v15
	v_sub_u32_e32 v14, 29, v22
	v_cndmask_b32_e64 v15, v16, v20, s[12:13]
	v_mov_b32_e32 v16, 24
	v_cndmask_b32_e64 v14, v19, v14, s[12:13]
	v_lshlrev_b32_sdwa v16, v16, v10 dst_sel:DWORD dst_unused:UNUSED_PAD src0_sel:DWORD src1_sel:WORD_1
	v_bfrev_b32_e32 v19, 60
	v_lshlrev_b32_e32 v15, 20, v15
	v_and_b32_e32 v16, 0x80000000, v16
	v_lshl_add_u32 v14, v14, 23, v19
	v_or3_b32 v14, v16, v14, v15
	v_lshrrev_b32_e32 v19, 16, v14
.LBB776_606:
	s_or_b64 exec, exec, s[26:27]
.LBB776_607:
	s_or_b64 exec, exec, s[24:25]
.LBB776_608:
	s_or_b64 exec, exec, s[14:15]
	s_mov_b32 s11, 0xffffff
	v_cmp_lt_u32_e64 s[12:13], s11, v10
	v_mov_b32_e32 v15, 0
	v_mov_b32_e32 v20, 0
	s_and_saveexec_b64 s[14:15], s[12:13]
	s_cbranch_execz .LBB776_614
; %bb.609:
	v_lshrrev_b32_e32 v14, 24, v10
	s_movk_i32 s11, 0x80
	v_cmp_ne_u32_e64 s[12:13], s11, v14
	v_mov_b32_e32 v20, 0xffff8000
	s_and_saveexec_b64 s[24:25], s[12:13]
	s_cbranch_execz .LBB776_613
; %bb.610:
	v_bfe_u32 v16, v10, 24, 7
	s_movk_i32 s11, 0x7f
	v_cmp_ne_u32_e64 s[12:13], s11, v16
	v_mov_b32_e32 v20, 0x7f80
	s_and_saveexec_b64 s[26:27], s[12:13]
	s_cbranch_execz .LBB776_612
; %bb.611:
	v_and_b32_e32 v22, 7, v14
	v_ffbh_u32_e32 v20, v22
	v_min_u32_e32 v24, 32, v20
	v_subrev_u32_e32 v20, 28, v24
	v_lshlrev_b64 v[20:21], v20, v[14:15]
	v_lshrrev_b32_e32 v23, 3, v16
	v_sub_u32_e32 v21, 29, v24
	v_and_b32_e32 v20, 7, v20
	v_cmp_gt_u32_e64 s[12:13], 8, v16
	v_cndmask_b32_e64 v16, v23, v21, s[12:13]
	v_cndmask_b32_e64 v20, v22, v20, s[12:13]
	v_lshlrev_b32_e32 v14, 24, v14
	v_bfrev_b32_e32 v21, 60
	v_lshlrev_b32_e32 v20, 20, v20
	v_and_b32_e32 v14, 0x80000000, v14
	v_lshl_add_u32 v16, v16, 23, v21
	v_or3_b32 v14, v14, v16, v20
	v_lshrrev_b32_e32 v20, 16, v14
.LBB776_612:
	s_or_b64 exec, exec, s[26:27]
.LBB776_613:
	s_or_b64 exec, exec, s[24:25]
.LBB776_614:
	s_or_b64 exec, exec, s[14:15]
	v_mov_b32_e32 v14, v11
	v_cmp_ne_u16_sdwa s[12:13], v11, v15 src0_sel:BYTE_0 src1_sel:DWORD
	s_and_saveexec_b64 s[14:15], s[12:13]
	s_cbranch_execz .LBB776_620
; %bb.615:
	s_movk_i32 s11, 0x80
	v_cmp_ne_u16_sdwa s[12:13], v11, s11 src0_sel:BYTE_0 src1_sel:DWORD
	v_mov_b32_e32 v16, 0xffff8000
	s_and_saveexec_b64 s[24:25], s[12:13]
	s_cbranch_execz .LBB776_619
; %bb.616:
	s_movk_i32 s11, 0x7f
	v_and_b32_e32 v21, 0x7f, v11
	v_cmp_ne_u32_e64 s[12:13], s11, v21
	v_mov_b32_e32 v16, 0x7f80
	s_and_saveexec_b64 s[26:27], s[12:13]
	s_cbranch_execz .LBB776_618
; %bb.617:
	v_and_b32_e32 v16, 7, v11
	v_ffbh_u32_e32 v16, v16
	v_min_u32_e32 v16, 32, v16
	v_subrev_u32_e32 v23, 28, v16
	v_cmp_gt_u32_e64 s[12:13], 8, v21
	v_lshrrev_b32_e32 v22, 3, v21
	v_sub_u32_e32 v16, 29, v16
	v_cndmask_b32_e64 v21, 0, v23, s[12:13]
	v_cndmask_b32_e64 v16, v22, v16, s[12:13]
	v_lshlrev_b64 v[22:23], v21, v[14:15]
	v_lshlrev_b32_e32 v15, 20, v22
	v_lshlrev_b32_e32 v21, 24, v14
	v_bfrev_b32_e32 v22, 60
	v_and_b32_e32 v15, 0x700000, v15
	v_and_b32_e32 v21, 0x80000000, v21
	v_lshl_add_u32 v16, v16, 23, v22
	v_or3_b32 v15, v21, v16, v15
	v_lshrrev_b32_e32 v16, 16, v15
.LBB776_618:
	s_or_b64 exec, exec, s[26:27]
.LBB776_619:
	s_or_b64 exec, exec, s[24:25]
	v_mov_b32_e32 v15, v16
.LBB776_620:
	s_or_b64 exec, exec, s[14:15]
	v_lshrrev_b16_e32 v16, 8, v14
	v_cmp_ne_u16_e64 s[12:13], 0, v16
	v_mov_b32_e32 v22, 0
	v_mov_b32_e32 v21, 0
	s_and_saveexec_b64 s[14:15], s[12:13]
	s_cbranch_execz .LBB776_626
; %bb.621:
	s_movk_i32 s11, 0x80
	v_cmp_ne_u16_e64 s[12:13], s11, v16
	v_mov_b32_e32 v21, 0xffff8000
	s_and_saveexec_b64 s[24:25], s[12:13]
	s_cbranch_execz .LBB776_625
; %bb.622:
	s_movk_i32 s11, 0x7f
	v_and_b32_e32 v23, 0x7f, v16
	v_cmp_ne_u32_e64 s[12:13], s11, v23
	v_mov_b32_e32 v21, 0x7f80
	s_and_saveexec_b64 s[26:27], s[12:13]
	s_cbranch_execz .LBB776_624
; %bb.623:
	v_and_b32_e32 v21, 7, v16
	v_ffbh_u32_e32 v24, v21
	v_min_u32_e32 v27, 32, v24
	v_subrev_u32_e32 v24, 28, v27
	v_lshlrev_b64 v[24:25], v24, v[16:17]
	v_lshrrev_b32_e32 v26, 3, v23
	v_sub_u32_e32 v16, 29, v27
	v_and_b32_e32 v24, 7, v24
	v_cmp_gt_u32_e64 s[12:13], 8, v23
	v_cndmask_b32_e64 v16, v26, v16, s[12:13]
	v_cndmask_b32_e64 v21, v21, v24, s[12:13]
	v_lshlrev_b32_e32 v14, 16, v14
	v_bfrev_b32_e32 v23, 60
	v_lshlrev_b32_e32 v21, 20, v21
	v_and_b32_e32 v14, 0x80000000, v14
	v_lshl_add_u32 v16, v16, 23, v23
	v_or3_b32 v14, v14, v16, v21
	v_lshrrev_b32_e32 v21, 16, v14
.LBB776_624:
	s_or_b64 exec, exec, s[26:27]
.LBB776_625:
	s_or_b64 exec, exec, s[24:25]
.LBB776_626:
	s_or_b64 exec, exec, s[14:15]
	s_movk_i32 s11, 0xff
	v_and_b32_sdwa v16, v11, s11 dst_sel:DWORD dst_unused:UNUSED_PAD src0_sel:WORD_1 src1_sel:DWORD
	v_lshrrev_b32_e32 v14, 16, v11
	v_cmp_ne_u16_e64 s[12:13], 0, v16
	s_and_saveexec_b64 s[14:15], s[12:13]
	s_cbranch_execz .LBB776_632
; %bb.627:
	s_movk_i32 s11, 0x80
	v_cmp_ne_u16_e64 s[12:13], s11, v16
	v_mov_b32_e32 v22, 0xffff8000
	s_and_saveexec_b64 s[24:25], s[12:13]
	s_cbranch_execz .LBB776_631
; %bb.628:
	v_bfe_u32 v16, v11, 16, 7
	s_movk_i32 s11, 0x7f
	v_cmp_ne_u32_e64 s[12:13], s11, v16
	v_mov_b32_e32 v22, 0x7f80
	s_and_saveexec_b64 s[26:27], s[12:13]
	s_cbranch_execz .LBB776_630
; %bb.629:
	v_and_b32_e32 v24, 7, v14
	v_ffbh_u32_e32 v22, v24
	v_min_u32_e32 v26, 32, v22
	v_subrev_u32_e32 v22, 28, v26
	v_lshlrev_b64 v[22:23], v22, v[14:15]
	v_and_b32_e32 v22, 7, v22
	v_cmp_gt_u32_e64 s[12:13], 8, v16
	v_lshrrev_b32_e32 v25, 3, v16
	v_sub_u32_e32 v14, 29, v26
	v_cndmask_b32_e64 v16, v24, v22, s[12:13]
	v_mov_b32_e32 v22, 24
	v_cndmask_b32_e64 v14, v25, v14, s[12:13]
	v_lshlrev_b32_sdwa v22, v22, v11 dst_sel:DWORD dst_unused:UNUSED_PAD src0_sel:DWORD src1_sel:WORD_1
	v_bfrev_b32_e32 v23, 60
	v_lshlrev_b32_e32 v16, 20, v16
	v_and_b32_e32 v22, 0x80000000, v22
	v_lshl_add_u32 v14, v14, 23, v23
	v_or3_b32 v14, v22, v14, v16
	v_lshrrev_b32_e32 v22, 16, v14
.LBB776_630:
	s_or_b64 exec, exec, s[26:27]
.LBB776_631:
	s_or_b64 exec, exec, s[24:25]
.LBB776_632:
	s_or_b64 exec, exec, s[14:15]
	s_mov_b32 s12, -1
	s_mov_b32 s13, 0xffffff
	v_cmp_lt_u64_e64 s[12:13], s[12:13], v[10:11]
	v_mov_b32_e32 v16, 0
	v_mov_b32_e32 v14, 0
	s_and_saveexec_b64 s[14:15], s[12:13]
	s_cbranch_execz .LBB776_638
; %bb.633:
	v_lshrrev_b32_e32 v10, 24, v11
	s_movk_i32 s11, 0x80
	v_cmp_ne_u32_e64 s[12:13], s11, v10
	v_mov_b32_e32 v14, 0xffff8000
	s_and_saveexec_b64 s[24:25], s[12:13]
	s_cbranch_execz .LBB776_637
; %bb.634:
	v_bfe_u32 v11, v11, 24, 7
	s_movk_i32 s11, 0x7f
	v_cmp_ne_u32_e64 s[12:13], s11, v11
	v_mov_b32_e32 v14, 0x7f80
	s_and_saveexec_b64 s[26:27], s[12:13]
	s_cbranch_execz .LBB776_636
; %bb.635:
	v_and_b32_e32 v14, 7, v10
	v_ffbh_u32_e32 v24, v14
	v_min_u32_e32 v26, 32, v24
	v_subrev_u32_e32 v24, 28, v26
	v_lshlrev_b64 v[24:25], v24, v[10:11]
	v_lshrrev_b32_e32 v23, 3, v11
	v_sub_u32_e32 v25, 29, v26
	v_and_b32_e32 v24, 7, v24
	v_cmp_gt_u32_e64 s[12:13], 8, v11
	v_cndmask_b32_e64 v11, v23, v25, s[12:13]
	v_cndmask_b32_e64 v14, v14, v24, s[12:13]
	v_lshlrev_b32_e32 v10, 24, v10
	v_bfrev_b32_e32 v23, 60
	v_lshlrev_b32_e32 v14, 20, v14
	v_and_b32_e32 v10, 0x80000000, v10
	v_lshl_add_u32 v11, v11, 23, v23
	v_or3_b32 v10, v10, v11, v14
	v_lshrrev_b32_e32 v14, 16, v10
.LBB776_636:
	s_or_b64 exec, exec, s[26:27]
.LBB776_637:
	s_or_b64 exec, exec, s[24:25]
.LBB776_638:
	s_or_b64 exec, exec, s[14:15]
	s_mov_b32 s11, 0x5040100
	v_perm_b32 v11, v20, v19, s11
	v_perm_b32 v10, v17, v18, s11
	;; [unrolled: 1-line block ×4, first 2 shown]
	v_mfma_f32_4x4x4bf16_1k a[0:3], v[2:3], v[10:11], a[0:3] cbsz:4 abid:12
	v_cmp_ne_u16_sdwa s[12:13], v12, v16 src0_sel:BYTE_0 src1_sel:DWORD
	v_mfma_f32_4x4x4bf16_1k a[0:3], v[4:5], v[18:19], a[0:3] cbsz:4 abid:12
	s_and_saveexec_b64 s[14:15], s[12:13]
	s_cbranch_execz .LBB776_644
; %bb.639:
	s_movk_i32 s11, 0x80
	v_cmp_ne_u16_sdwa s[12:13], v12, s11 src0_sel:BYTE_0 src1_sel:DWORD
	v_mov_b32_e32 v16, 0xffff8000
	s_and_saveexec_b64 s[24:25], s[12:13]
	s_cbranch_execz .LBB776_643
; %bb.640:
	s_movk_i32 s11, 0x7f
	v_and_b32_e32 v10, 0x7f, v12
	v_cmp_ne_u32_e64 s[12:13], s11, v10
	v_mov_b32_e32 v16, 0x7f80
	s_and_saveexec_b64 s[26:27], s[12:13]
	s_cbranch_execz .LBB776_642
; %bb.641:
	v_and_b32_e32 v11, 7, v12
	v_ffbh_u32_e32 v11, v11
	v_min_u32_e32 v11, 32, v11
	v_subrev_u32_e32 v15, 28, v11
	v_cmp_gt_u32_e64 s[12:13], 8, v10
	v_lshrrev_b32_e32 v14, 3, v10
	v_sub_u32_e32 v11, 29, v11
	v_cndmask_b32_e64 v10, 0, v15, s[12:13]
	v_cndmask_b32_e64 v14, v14, v11, s[12:13]
	v_lshlrev_b64 v[10:11], v10, v[12:13]
	v_lshlrev_b32_e32 v10, 20, v10
	v_lshlrev_b32_e32 v11, 24, v12
	v_bfrev_b32_e32 v15, 60
	v_and_b32_e32 v10, 0x700000, v10
	v_and_b32_e32 v11, 0x80000000, v11
	v_lshl_add_u32 v14, v14, 23, v15
	v_or3_b32 v10, v11, v14, v10
	v_lshrrev_b32_e32 v16, 16, v10
.LBB776_642:
	s_or_b64 exec, exec, s[26:27]
.LBB776_643:
	s_or_b64 exec, exec, s[24:25]
.LBB776_644:
	s_or_b64 exec, exec, s[14:15]
	v_lshrrev_b16_e32 v10, 8, v12
	v_cmp_ne_u16_e64 s[12:13], 0, v10
	v_mov_b32_e32 v17, 0
	v_mov_b32_e32 v15, 0
	s_and_saveexec_b64 s[14:15], s[12:13]
	s_cbranch_execz .LBB776_650
; %bb.645:
	s_movk_i32 s11, 0x80
	v_cmp_ne_u16_e64 s[12:13], s11, v10
	v_mov_b32_e32 v15, 0xffff8000
	s_and_saveexec_b64 s[24:25], s[12:13]
	s_cbranch_execz .LBB776_649
; %bb.646:
	s_movk_i32 s11, 0x7f
	v_and_b32_e32 v11, 0x7f, v10
	v_cmp_ne_u32_e64 s[12:13], s11, v11
	v_mov_b32_e32 v15, 0x7f80
	s_and_saveexec_b64 s[26:27], s[12:13]
	s_cbranch_execz .LBB776_648
; %bb.647:
	v_and_b32_e32 v18, 7, v10
	v_ffbh_u32_e32 v14, v18
	v_min_u32_e32 v20, 32, v14
	v_subrev_u32_e32 v14, 28, v20
	v_lshlrev_b64 v[14:15], v14, v[10:11]
	v_lshrrev_b32_e32 v19, 3, v11
	v_sub_u32_e32 v10, 29, v20
	v_and_b32_e32 v14, 7, v14
	v_cmp_gt_u32_e64 s[12:13], 8, v11
	v_cndmask_b32_e64 v10, v19, v10, s[12:13]
	v_cndmask_b32_e64 v11, v18, v14, s[12:13]
	v_lshlrev_b32_e32 v14, 16, v12
	v_bfrev_b32_e32 v15, 60
	v_lshlrev_b32_e32 v11, 20, v11
	v_and_b32_e32 v14, 0x80000000, v14
	v_lshl_add_u32 v10, v10, 23, v15
	v_or3_b32 v10, v14, v10, v11
	v_lshrrev_b32_e32 v15, 16, v10
.LBB776_648:
	s_or_b64 exec, exec, s[26:27]
.LBB776_649:
	s_or_b64 exec, exec, s[24:25]
.LBB776_650:
	s_or_b64 exec, exec, s[14:15]
	s_movk_i32 s11, 0xff
	v_and_b32_sdwa v11, v12, s11 dst_sel:DWORD dst_unused:UNUSED_PAD src0_sel:WORD_1 src1_sel:DWORD
	v_lshrrev_b32_e32 v10, 16, v12
	v_cmp_ne_u16_e64 s[12:13], 0, v11
	s_and_saveexec_b64 s[14:15], s[12:13]
	s_cbranch_execz .LBB776_656
; %bb.651:
	s_movk_i32 s11, 0x80
	v_cmp_ne_u16_e64 s[12:13], s11, v11
	v_mov_b32_e32 v17, 0xffff8000
	s_and_saveexec_b64 s[24:25], s[12:13]
	s_cbranch_execz .LBB776_655
; %bb.652:
	v_bfe_u32 v11, v12, 16, 7
	s_movk_i32 s11, 0x7f
	v_cmp_ne_u32_e64 s[12:13], s11, v11
	v_mov_b32_e32 v17, 0x7f80
	s_and_saveexec_b64 s[26:27], s[12:13]
	s_cbranch_execz .LBB776_654
; %bb.653:
	v_and_b32_e32 v14, 7, v10
	v_ffbh_u32_e32 v18, v14
	v_min_u32_e32 v20, 32, v18
	v_subrev_u32_e32 v18, 28, v20
	v_lshlrev_b64 v[18:19], v18, v[10:11]
	v_and_b32_e32 v18, 7, v18
	v_cmp_gt_u32_e64 s[12:13], 8, v11
	v_lshrrev_b32_e32 v17, 3, v11
	v_sub_u32_e32 v10, 29, v20
	v_cndmask_b32_e64 v11, v14, v18, s[12:13]
	v_mov_b32_e32 v14, 24
	v_cndmask_b32_e64 v10, v17, v10, s[12:13]
	v_lshlrev_b32_sdwa v14, v14, v12 dst_sel:DWORD dst_unused:UNUSED_PAD src0_sel:DWORD src1_sel:WORD_1
	v_bfrev_b32_e32 v17, 60
	v_lshlrev_b32_e32 v11, 20, v11
	v_and_b32_e32 v14, 0x80000000, v14
	v_lshl_add_u32 v10, v10, 23, v17
	v_or3_b32 v10, v14, v10, v11
	v_lshrrev_b32_e32 v17, 16, v10
.LBB776_654:
	s_or_b64 exec, exec, s[26:27]
.LBB776_655:
	s_or_b64 exec, exec, s[24:25]
.LBB776_656:
	s_or_b64 exec, exec, s[14:15]
	s_mov_b32 s11, 0xffffff
	v_cmp_lt_u32_e64 s[12:13], s11, v12
	v_mov_b32_e32 v11, 0
	v_mov_b32_e32 v18, 0
	s_and_saveexec_b64 s[14:15], s[12:13]
	s_cbranch_execz .LBB776_662
; %bb.657:
	v_lshrrev_b32_e32 v10, 24, v12
	s_movk_i32 s11, 0x80
	v_cmp_ne_u32_e64 s[12:13], s11, v10
	v_mov_b32_e32 v18, 0xffff8000
	s_and_saveexec_b64 s[24:25], s[12:13]
	s_cbranch_execz .LBB776_661
; %bb.658:
	v_bfe_u32 v14, v12, 24, 7
	s_movk_i32 s11, 0x7f
	v_cmp_ne_u32_e64 s[12:13], s11, v14
	v_mov_b32_e32 v18, 0x7f80
	s_and_saveexec_b64 s[26:27], s[12:13]
	s_cbranch_execz .LBB776_660
; %bb.659:
	v_and_b32_e32 v20, 7, v10
	v_ffbh_u32_e32 v18, v20
	v_min_u32_e32 v22, 32, v18
	v_subrev_u32_e32 v18, 28, v22
	v_lshlrev_b64 v[18:19], v18, v[10:11]
	v_lshrrev_b32_e32 v21, 3, v14
	v_sub_u32_e32 v19, 29, v22
	v_and_b32_e32 v18, 7, v18
	v_cmp_gt_u32_e64 s[12:13], 8, v14
	v_cndmask_b32_e64 v14, v21, v19, s[12:13]
	v_cndmask_b32_e64 v18, v20, v18, s[12:13]
	v_lshlrev_b32_e32 v10, 24, v10
	v_bfrev_b32_e32 v19, 60
	v_lshlrev_b32_e32 v18, 20, v18
	v_and_b32_e32 v10, 0x80000000, v10
	v_lshl_add_u32 v14, v14, 23, v19
	v_or3_b32 v10, v10, v14, v18
	v_lshrrev_b32_e32 v18, 16, v10
.LBB776_660:
	s_or_b64 exec, exec, s[26:27]
.LBB776_661:
	s_or_b64 exec, exec, s[24:25]
.LBB776_662:
	s_or_b64 exec, exec, s[14:15]
	v_mov_b32_e32 v10, v13
	v_cmp_ne_u16_sdwa s[12:13], v13, v11 src0_sel:BYTE_0 src1_sel:DWORD
	s_and_saveexec_b64 s[14:15], s[12:13]
	s_cbranch_execz .LBB776_668
; %bb.663:
	s_movk_i32 s11, 0x80
	v_cmp_ne_u16_sdwa s[12:13], v13, s11 src0_sel:BYTE_0 src1_sel:DWORD
	v_mov_b32_e32 v14, 0xffff8000
	s_and_saveexec_b64 s[24:25], s[12:13]
	s_cbranch_execz .LBB776_667
; %bb.664:
	s_movk_i32 s11, 0x7f
	v_and_b32_e32 v19, 0x7f, v13
	v_cmp_ne_u32_e64 s[12:13], s11, v19
	v_mov_b32_e32 v14, 0x7f80
	s_and_saveexec_b64 s[26:27], s[12:13]
	s_cbranch_execz .LBB776_666
; %bb.665:
	v_and_b32_e32 v14, 7, v13
	v_ffbh_u32_e32 v14, v14
	v_min_u32_e32 v14, 32, v14
	v_subrev_u32_e32 v21, 28, v14
	v_cmp_gt_u32_e64 s[12:13], 8, v19
	v_lshrrev_b32_e32 v20, 3, v19
	v_sub_u32_e32 v14, 29, v14
	v_cndmask_b32_e64 v19, 0, v21, s[12:13]
	v_cndmask_b32_e64 v14, v20, v14, s[12:13]
	v_lshlrev_b64 v[20:21], v19, v[10:11]
	v_lshlrev_b32_e32 v11, 20, v20
	v_lshlrev_b32_e32 v19, 24, v10
	v_bfrev_b32_e32 v20, 60
	v_and_b32_e32 v11, 0x700000, v11
	v_and_b32_e32 v19, 0x80000000, v19
	v_lshl_add_u32 v14, v14, 23, v20
	v_or3_b32 v11, v19, v14, v11
	v_lshrrev_b32_e32 v14, 16, v11
.LBB776_666:
	s_or_b64 exec, exec, s[26:27]
.LBB776_667:
	s_or_b64 exec, exec, s[24:25]
	v_mov_b32_e32 v11, v14
.LBB776_668:
	s_or_b64 exec, exec, s[14:15]
	v_lshrrev_b16_e32 v14, 8, v10
	v_cmp_ne_u16_e64 s[12:13], 0, v14
	v_mov_b32_e32 v20, 0
	v_mov_b32_e32 v19, 0
	s_and_saveexec_b64 s[14:15], s[12:13]
	s_cbranch_execz .LBB776_674
; %bb.669:
	s_movk_i32 s11, 0x80
	v_cmp_ne_u16_e64 s[12:13], s11, v14
	v_mov_b32_e32 v19, 0xffff8000
	s_and_saveexec_b64 s[24:25], s[12:13]
	s_cbranch_execz .LBB776_673
; %bb.670:
	s_movk_i32 s11, 0x7f
	v_and_b32_e32 v21, 0x7f, v14
	v_cmp_ne_u32_e64 s[12:13], s11, v21
	v_mov_b32_e32 v19, 0x7f80
	s_and_saveexec_b64 s[26:27], s[12:13]
	s_cbranch_execz .LBB776_672
; %bb.671:
	v_and_b32_e32 v19, 7, v14
	v_ffbh_u32_e32 v22, v19
	v_min_u32_e32 v25, 32, v22
	v_subrev_u32_e32 v22, 28, v25
	v_lshlrev_b64 v[22:23], v22, v[14:15]
	v_lshrrev_b32_e32 v24, 3, v21
	v_sub_u32_e32 v14, 29, v25
	v_and_b32_e32 v22, 7, v22
	v_cmp_gt_u32_e64 s[12:13], 8, v21
	v_cndmask_b32_e64 v14, v24, v14, s[12:13]
	v_cndmask_b32_e64 v19, v19, v22, s[12:13]
	v_lshlrev_b32_e32 v10, 16, v10
	v_bfrev_b32_e32 v21, 60
	v_lshlrev_b32_e32 v19, 20, v19
	v_and_b32_e32 v10, 0x80000000, v10
	v_lshl_add_u32 v14, v14, 23, v21
	v_or3_b32 v10, v10, v14, v19
	v_lshrrev_b32_e32 v19, 16, v10
.LBB776_672:
	s_or_b64 exec, exec, s[26:27]
.LBB776_673:
	s_or_b64 exec, exec, s[24:25]
.LBB776_674:
	s_or_b64 exec, exec, s[14:15]
	s_movk_i32 s11, 0xff
	v_and_b32_sdwa v14, v13, s11 dst_sel:DWORD dst_unused:UNUSED_PAD src0_sel:WORD_1 src1_sel:DWORD
	v_lshrrev_b32_e32 v10, 16, v13
	v_cmp_ne_u16_e64 s[12:13], 0, v14
	s_and_saveexec_b64 s[14:15], s[12:13]
	s_cbranch_execz .LBB776_680
; %bb.675:
	s_movk_i32 s11, 0x80
	v_cmp_ne_u16_e64 s[12:13], s11, v14
	v_mov_b32_e32 v20, 0xffff8000
	s_and_saveexec_b64 s[24:25], s[12:13]
	s_cbranch_execz .LBB776_679
; %bb.676:
	v_bfe_u32 v14, v13, 16, 7
	s_movk_i32 s11, 0x7f
	v_cmp_ne_u32_e64 s[12:13], s11, v14
	v_mov_b32_e32 v20, 0x7f80
	s_and_saveexec_b64 s[26:27], s[12:13]
	s_cbranch_execz .LBB776_678
; %bb.677:
	v_and_b32_e32 v22, 7, v10
	v_ffbh_u32_e32 v20, v22
	v_min_u32_e32 v24, 32, v20
	v_subrev_u32_e32 v20, 28, v24
	v_lshlrev_b64 v[20:21], v20, v[10:11]
	v_and_b32_e32 v20, 7, v20
	v_cmp_gt_u32_e64 s[12:13], 8, v14
	v_lshrrev_b32_e32 v23, 3, v14
	v_sub_u32_e32 v10, 29, v24
	v_cndmask_b32_e64 v14, v22, v20, s[12:13]
	v_mov_b32_e32 v20, 24
	v_cndmask_b32_e64 v10, v23, v10, s[12:13]
	v_lshlrev_b32_sdwa v20, v20, v13 dst_sel:DWORD dst_unused:UNUSED_PAD src0_sel:DWORD src1_sel:WORD_1
	v_bfrev_b32_e32 v21, 60
	v_lshlrev_b32_e32 v14, 20, v14
	v_and_b32_e32 v20, 0x80000000, v20
	v_lshl_add_u32 v10, v10, 23, v21
	v_or3_b32 v10, v20, v10, v14
	v_lshrrev_b32_e32 v20, 16, v10
.LBB776_678:
	s_or_b64 exec, exec, s[26:27]
.LBB776_679:
	s_or_b64 exec, exec, s[24:25]
.LBB776_680:
	s_or_b64 exec, exec, s[14:15]
	s_mov_b32 s12, -1
	s_mov_b32 s13, 0xffffff
	v_cmp_lt_u64_e64 s[12:13], s[12:13], v[12:13]
	v_mov_b32_e32 v14, 0
	v_mov_b32_e32 v12, 0
	s_and_saveexec_b64 s[14:15], s[12:13]
	s_cbranch_execz .LBB776_686
; %bb.681:
	v_lshrrev_b32_e32 v10, 24, v13
	s_movk_i32 s11, 0x80
	v_cmp_ne_u32_e64 s[12:13], s11, v10
	v_mov_b32_e32 v12, 0xffff8000
	s_and_saveexec_b64 s[24:25], s[12:13]
	s_cbranch_execz .LBB776_685
; %bb.682:
	v_bfe_u32 v13, v13, 24, 7
	s_movk_i32 s11, 0x7f
	v_cmp_ne_u32_e64 s[12:13], s11, v13
	v_mov_b32_e32 v12, 0x7f80
	s_and_saveexec_b64 s[26:27], s[12:13]
	s_cbranch_execz .LBB776_684
; %bb.683:
	v_and_b32_e32 v12, 7, v10
	v_ffbh_u32_e32 v22, v12
	v_min_u32_e32 v24, 32, v22
	v_subrev_u32_e32 v22, 28, v24
	v_lshlrev_b64 v[22:23], v22, v[10:11]
	v_lshrrev_b32_e32 v21, 3, v13
	v_sub_u32_e32 v23, 29, v24
	v_and_b32_e32 v22, 7, v22
	v_cmp_gt_u32_e64 s[12:13], 8, v13
	v_cndmask_b32_e64 v13, v21, v23, s[12:13]
	v_cndmask_b32_e64 v12, v12, v22, s[12:13]
	v_lshlrev_b32_e32 v10, 24, v10
	v_bfrev_b32_e32 v21, 60
	v_lshlrev_b32_e32 v12, 20, v12
	v_and_b32_e32 v10, 0x80000000, v10
	v_lshl_add_u32 v13, v13, 23, v21
	v_or3_b32 v10, v10, v13, v12
	v_lshrrev_b32_e32 v12, 16, v10
.LBB776_684:
	s_or_b64 exec, exec, s[26:27]
.LBB776_685:
	s_or_b64 exec, exec, s[24:25]
.LBB776_686:
	s_or_b64 exec, exec, s[14:15]
	s_mov_b32 s11, 0x5040100
	v_perm_b32 v17, v18, v17, s11
	v_perm_b32 v16, v15, v16, s11
	;; [unrolled: 1-line block ×4, first 2 shown]
	v_mfma_f32_4x4x4bf16_1k a[0:3], v[2:3], v[16:17], a[0:3] cbsz:4 abid:13
	s_waitcnt vmcnt(16)
	v_cmp_ne_u16_sdwa s[12:13], v6, v14 src0_sel:BYTE_0 src1_sel:DWORD
	v_mfma_f32_4x4x4bf16_1k a[0:3], v[4:5], v[12:13], a[0:3] cbsz:4 abid:13
	s_and_saveexec_b64 s[14:15], s[12:13]
	s_cbranch_execz .LBB776_692
; %bb.687:
	s_movk_i32 s11, 0x80
	v_cmp_ne_u16_sdwa s[12:13], v6, s11 src0_sel:BYTE_0 src1_sel:DWORD
	v_mov_b32_e32 v14, 0xffff8000
	s_and_saveexec_b64 s[24:25], s[12:13]
	s_cbranch_execz .LBB776_691
; %bb.688:
	s_movk_i32 s11, 0x7f
	v_and_b32_e32 v10, 0x7f, v6
	v_cmp_ne_u32_e64 s[12:13], s11, v10
	v_mov_b32_e32 v14, 0x7f80
	s_and_saveexec_b64 s[26:27], s[12:13]
	s_cbranch_execz .LBB776_690
; %bb.689:
	v_and_b32_e32 v11, 7, v6
	v_ffbh_u32_e32 v11, v11
	v_min_u32_e32 v11, 32, v11
	v_subrev_u32_e32 v13, 28, v11
	v_cmp_gt_u32_e64 s[12:13], 8, v10
	v_lshrrev_b32_e32 v12, 3, v10
	v_sub_u32_e32 v11, 29, v11
	v_cndmask_b32_e64 v10, 0, v13, s[12:13]
	v_cndmask_b32_e64 v12, v12, v11, s[12:13]
	v_lshlrev_b64 v[10:11], v10, v[6:7]
	v_lshlrev_b32_e32 v10, 20, v10
	v_lshlrev_b32_e32 v11, 24, v6
	v_bfrev_b32_e32 v13, 60
	v_and_b32_e32 v10, 0x700000, v10
	v_and_b32_e32 v11, 0x80000000, v11
	v_lshl_add_u32 v12, v12, 23, v13
	v_or3_b32 v10, v11, v12, v10
	v_lshrrev_b32_e32 v14, 16, v10
.LBB776_690:
	s_or_b64 exec, exec, s[26:27]
.LBB776_691:
	s_or_b64 exec, exec, s[24:25]
.LBB776_692:
	s_or_b64 exec, exec, s[14:15]
	v_lshrrev_b16_e32 v10, 8, v6
	v_cmp_ne_u16_e64 s[12:13], 0, v10
	v_mov_b32_e32 v15, 0
	v_mov_b32_e32 v13, 0
	s_and_saveexec_b64 s[14:15], s[12:13]
	s_cbranch_execz .LBB776_698
; %bb.693:
	s_movk_i32 s11, 0x80
	v_cmp_ne_u16_e64 s[12:13], s11, v10
	v_mov_b32_e32 v13, 0xffff8000
	s_and_saveexec_b64 s[24:25], s[12:13]
	s_cbranch_execz .LBB776_697
; %bb.694:
	s_movk_i32 s11, 0x7f
	v_and_b32_e32 v11, 0x7f, v10
	v_cmp_ne_u32_e64 s[12:13], s11, v11
	v_mov_b32_e32 v13, 0x7f80
	s_and_saveexec_b64 s[26:27], s[12:13]
	s_cbranch_execz .LBB776_696
; %bb.695:
	v_and_b32_e32 v16, 7, v10
	v_ffbh_u32_e32 v12, v16
	v_min_u32_e32 v18, 32, v12
	v_subrev_u32_e32 v12, 28, v18
	v_lshlrev_b64 v[12:13], v12, v[10:11]
	v_lshrrev_b32_e32 v17, 3, v11
	v_sub_u32_e32 v10, 29, v18
	v_and_b32_e32 v12, 7, v12
	v_cmp_gt_u32_e64 s[12:13], 8, v11
	v_cndmask_b32_e64 v10, v17, v10, s[12:13]
	v_cndmask_b32_e64 v11, v16, v12, s[12:13]
	v_lshlrev_b32_e32 v12, 16, v6
	v_bfrev_b32_e32 v13, 60
	v_lshlrev_b32_e32 v11, 20, v11
	v_and_b32_e32 v12, 0x80000000, v12
	v_lshl_add_u32 v10, v10, 23, v13
	v_or3_b32 v10, v12, v10, v11
	v_lshrrev_b32_e32 v13, 16, v10
.LBB776_696:
	s_or_b64 exec, exec, s[26:27]
.LBB776_697:
	s_or_b64 exec, exec, s[24:25]
.LBB776_698:
	s_or_b64 exec, exec, s[14:15]
	s_movk_i32 s11, 0xff
	v_and_b32_sdwa v11, v6, s11 dst_sel:DWORD dst_unused:UNUSED_PAD src0_sel:WORD_1 src1_sel:DWORD
	v_lshrrev_b32_e32 v10, 16, v6
	v_cmp_ne_u16_e64 s[12:13], 0, v11
	s_and_saveexec_b64 s[14:15], s[12:13]
	s_cbranch_execz .LBB776_704
; %bb.699:
	s_movk_i32 s11, 0x80
	v_cmp_ne_u16_e64 s[12:13], s11, v11
	v_mov_b32_e32 v15, 0xffff8000
	s_and_saveexec_b64 s[24:25], s[12:13]
	s_cbranch_execz .LBB776_703
; %bb.700:
	v_bfe_u32 v11, v6, 16, 7
	s_movk_i32 s11, 0x7f
	v_cmp_ne_u32_e64 s[12:13], s11, v11
	v_mov_b32_e32 v15, 0x7f80
	s_and_saveexec_b64 s[26:27], s[12:13]
	s_cbranch_execz .LBB776_702
; %bb.701:
	v_and_b32_e32 v12, 7, v10
	v_ffbh_u32_e32 v16, v12
	v_min_u32_e32 v18, 32, v16
	v_subrev_u32_e32 v16, 28, v18
	v_lshlrev_b64 v[16:17], v16, v[10:11]
	v_and_b32_e32 v16, 7, v16
	v_cmp_gt_u32_e64 s[12:13], 8, v11
	v_lshrrev_b32_e32 v15, 3, v11
	v_sub_u32_e32 v10, 29, v18
	v_cndmask_b32_e64 v11, v12, v16, s[12:13]
	v_mov_b32_e32 v12, 24
	v_cndmask_b32_e64 v10, v15, v10, s[12:13]
	v_lshlrev_b32_sdwa v12, v12, v6 dst_sel:DWORD dst_unused:UNUSED_PAD src0_sel:DWORD src1_sel:WORD_1
	v_bfrev_b32_e32 v15, 60
	v_lshlrev_b32_e32 v11, 20, v11
	v_and_b32_e32 v12, 0x80000000, v12
	v_lshl_add_u32 v10, v10, 23, v15
	v_or3_b32 v10, v12, v10, v11
	v_lshrrev_b32_e32 v15, 16, v10
.LBB776_702:
	s_or_b64 exec, exec, s[26:27]
.LBB776_703:
	s_or_b64 exec, exec, s[24:25]
.LBB776_704:
	s_or_b64 exec, exec, s[14:15]
	s_mov_b32 s11, 0xffffff
	v_cmp_lt_u32_e64 s[12:13], s11, v6
	v_mov_b32_e32 v11, 0
	v_mov_b32_e32 v16, 0
	s_and_saveexec_b64 s[14:15], s[12:13]
	s_cbranch_execz .LBB776_710
; %bb.705:
	v_lshrrev_b32_e32 v10, 24, v6
	s_movk_i32 s11, 0x80
	v_cmp_ne_u32_e64 s[12:13], s11, v10
	v_mov_b32_e32 v16, 0xffff8000
	s_and_saveexec_b64 s[24:25], s[12:13]
	s_cbranch_execz .LBB776_709
; %bb.706:
	v_bfe_u32 v12, v6, 24, 7
	s_movk_i32 s11, 0x7f
	v_cmp_ne_u32_e64 s[12:13], s11, v12
	v_mov_b32_e32 v16, 0x7f80
	s_and_saveexec_b64 s[26:27], s[12:13]
	s_cbranch_execz .LBB776_708
; %bb.707:
	v_and_b32_e32 v18, 7, v10
	v_ffbh_u32_e32 v16, v18
	v_min_u32_e32 v20, 32, v16
	v_subrev_u32_e32 v16, 28, v20
	v_lshlrev_b64 v[16:17], v16, v[10:11]
	v_lshrrev_b32_e32 v19, 3, v12
	v_sub_u32_e32 v17, 29, v20
	v_and_b32_e32 v16, 7, v16
	v_cmp_gt_u32_e64 s[12:13], 8, v12
	v_cndmask_b32_e64 v12, v19, v17, s[12:13]
	v_cndmask_b32_e64 v16, v18, v16, s[12:13]
	v_lshlrev_b32_e32 v10, 24, v10
	v_bfrev_b32_e32 v17, 60
	v_lshlrev_b32_e32 v16, 20, v16
	v_and_b32_e32 v10, 0x80000000, v10
	v_lshl_add_u32 v12, v12, 23, v17
	v_or3_b32 v10, v10, v12, v16
	v_lshrrev_b32_e32 v16, 16, v10
.LBB776_708:
	s_or_b64 exec, exec, s[26:27]
.LBB776_709:
	s_or_b64 exec, exec, s[24:25]
.LBB776_710:
	s_or_b64 exec, exec, s[14:15]
	v_mov_b32_e32 v10, v7
	v_cmp_ne_u16_sdwa s[12:13], v7, v11 src0_sel:BYTE_0 src1_sel:DWORD
	s_and_saveexec_b64 s[14:15], s[12:13]
	s_cbranch_execz .LBB776_716
; %bb.711:
	s_movk_i32 s11, 0x80
	v_cmp_ne_u16_sdwa s[12:13], v7, s11 src0_sel:BYTE_0 src1_sel:DWORD
	v_mov_b32_e32 v12, 0xffff8000
	s_and_saveexec_b64 s[24:25], s[12:13]
	s_cbranch_execz .LBB776_715
; %bb.712:
	s_movk_i32 s11, 0x7f
	v_and_b32_e32 v17, 0x7f, v7
	v_cmp_ne_u32_e64 s[12:13], s11, v17
	v_mov_b32_e32 v12, 0x7f80
	s_and_saveexec_b64 s[26:27], s[12:13]
	s_cbranch_execz .LBB776_714
; %bb.713:
	v_and_b32_e32 v12, 7, v7
	v_ffbh_u32_e32 v12, v12
	v_min_u32_e32 v12, 32, v12
	v_subrev_u32_e32 v19, 28, v12
	v_cmp_gt_u32_e64 s[12:13], 8, v17
	v_lshrrev_b32_e32 v18, 3, v17
	v_sub_u32_e32 v12, 29, v12
	v_cndmask_b32_e64 v17, 0, v19, s[12:13]
	v_cndmask_b32_e64 v12, v18, v12, s[12:13]
	v_lshlrev_b64 v[18:19], v17, v[10:11]
	v_lshlrev_b32_e32 v11, 20, v18
	v_lshlrev_b32_e32 v17, 24, v10
	v_bfrev_b32_e32 v18, 60
	v_and_b32_e32 v11, 0x700000, v11
	v_and_b32_e32 v17, 0x80000000, v17
	v_lshl_add_u32 v12, v12, 23, v18
	v_or3_b32 v11, v17, v12, v11
	v_lshrrev_b32_e32 v12, 16, v11
.LBB776_714:
	s_or_b64 exec, exec, s[26:27]
.LBB776_715:
	s_or_b64 exec, exec, s[24:25]
	v_mov_b32_e32 v11, v12
.LBB776_716:
	s_or_b64 exec, exec, s[14:15]
	v_lshrrev_b16_e32 v12, 8, v10
	v_cmp_ne_u16_e64 s[12:13], 0, v12
	v_mov_b32_e32 v18, 0
	v_mov_b32_e32 v17, 0
	s_and_saveexec_b64 s[14:15], s[12:13]
	s_cbranch_execz .LBB776_722
; %bb.717:
	s_movk_i32 s11, 0x80
	v_cmp_ne_u16_e64 s[12:13], s11, v12
	v_mov_b32_e32 v17, 0xffff8000
	s_and_saveexec_b64 s[24:25], s[12:13]
	s_cbranch_execz .LBB776_721
; %bb.718:
	s_movk_i32 s11, 0x7f
	v_and_b32_e32 v19, 0x7f, v12
	v_cmp_ne_u32_e64 s[12:13], s11, v19
	v_mov_b32_e32 v17, 0x7f80
	s_and_saveexec_b64 s[26:27], s[12:13]
	s_cbranch_execz .LBB776_720
; %bb.719:
	v_and_b32_e32 v17, 7, v12
	v_ffbh_u32_e32 v20, v17
	v_min_u32_e32 v23, 32, v20
	v_subrev_u32_e32 v20, 28, v23
	v_lshlrev_b64 v[20:21], v20, v[12:13]
	v_lshrrev_b32_e32 v22, 3, v19
	v_sub_u32_e32 v12, 29, v23
	v_and_b32_e32 v20, 7, v20
	v_cmp_gt_u32_e64 s[12:13], 8, v19
	v_cndmask_b32_e64 v12, v22, v12, s[12:13]
	v_cndmask_b32_e64 v17, v17, v20, s[12:13]
	v_lshlrev_b32_e32 v10, 16, v10
	v_bfrev_b32_e32 v19, 60
	v_lshlrev_b32_e32 v17, 20, v17
	v_and_b32_e32 v10, 0x80000000, v10
	v_lshl_add_u32 v12, v12, 23, v19
	v_or3_b32 v10, v10, v12, v17
	v_lshrrev_b32_e32 v17, 16, v10
.LBB776_720:
	s_or_b64 exec, exec, s[26:27]
.LBB776_721:
	s_or_b64 exec, exec, s[24:25]
.LBB776_722:
	s_or_b64 exec, exec, s[14:15]
	s_movk_i32 s11, 0xff
	v_and_b32_sdwa v12, v7, s11 dst_sel:DWORD dst_unused:UNUSED_PAD src0_sel:WORD_1 src1_sel:DWORD
	v_lshrrev_b32_e32 v10, 16, v7
	v_cmp_ne_u16_e64 s[12:13], 0, v12
	s_and_saveexec_b64 s[14:15], s[12:13]
	s_cbranch_execz .LBB776_728
; %bb.723:
	s_movk_i32 s11, 0x80
	v_cmp_ne_u16_e64 s[12:13], s11, v12
	v_mov_b32_e32 v18, 0xffff8000
	s_and_saveexec_b64 s[24:25], s[12:13]
	s_cbranch_execz .LBB776_727
; %bb.724:
	v_bfe_u32 v12, v7, 16, 7
	s_movk_i32 s11, 0x7f
	v_cmp_ne_u32_e64 s[12:13], s11, v12
	v_mov_b32_e32 v18, 0x7f80
	s_and_saveexec_b64 s[26:27], s[12:13]
	s_cbranch_execz .LBB776_726
; %bb.725:
	v_and_b32_e32 v20, 7, v10
	v_ffbh_u32_e32 v18, v20
	v_min_u32_e32 v22, 32, v18
	v_subrev_u32_e32 v18, 28, v22
	v_lshlrev_b64 v[18:19], v18, v[10:11]
	v_and_b32_e32 v18, 7, v18
	v_cmp_gt_u32_e64 s[12:13], 8, v12
	v_lshrrev_b32_e32 v21, 3, v12
	v_sub_u32_e32 v10, 29, v22
	v_cndmask_b32_e64 v12, v20, v18, s[12:13]
	v_mov_b32_e32 v18, 24
	v_cndmask_b32_e64 v10, v21, v10, s[12:13]
	v_lshlrev_b32_sdwa v18, v18, v7 dst_sel:DWORD dst_unused:UNUSED_PAD src0_sel:DWORD src1_sel:WORD_1
	v_bfrev_b32_e32 v19, 60
	v_lshlrev_b32_e32 v12, 20, v12
	v_and_b32_e32 v18, 0x80000000, v18
	v_lshl_add_u32 v10, v10, 23, v19
	v_or3_b32 v10, v18, v10, v12
	v_lshrrev_b32_e32 v18, 16, v10
.LBB776_726:
	s_or_b64 exec, exec, s[26:27]
.LBB776_727:
	s_or_b64 exec, exec, s[24:25]
.LBB776_728:
	s_or_b64 exec, exec, s[14:15]
	s_mov_b32 s12, -1
	s_mov_b32 s13, 0xffffff
	v_cmp_lt_u64_e64 s[12:13], s[12:13], v[6:7]
	v_mov_b32_e32 v12, 0
	v_mov_b32_e32 v10, 0
	s_and_saveexec_b64 s[14:15], s[12:13]
	s_cbranch_execz .LBB776_734
; %bb.729:
	v_lshrrev_b32_e32 v6, 24, v7
	s_movk_i32 s11, 0x80
	v_cmp_ne_u32_e64 s[12:13], s11, v6
	v_mov_b32_e32 v10, 0xffff8000
	s_and_saveexec_b64 s[24:25], s[12:13]
	s_cbranch_execz .LBB776_733
; %bb.730:
	v_bfe_u32 v7, v7, 24, 7
	s_movk_i32 s11, 0x7f
	v_cmp_ne_u32_e64 s[12:13], s11, v7
	v_mov_b32_e32 v10, 0x7f80
	s_and_saveexec_b64 s[26:27], s[12:13]
	s_cbranch_execz .LBB776_732
; %bb.731:
	v_and_b32_e32 v10, 7, v6
	v_ffbh_u32_e32 v20, v10
	v_min_u32_e32 v22, 32, v20
	v_subrev_u32_e32 v20, 28, v22
	v_lshlrev_b64 v[20:21], v20, v[6:7]
	v_lshrrev_b32_e32 v19, 3, v7
	v_sub_u32_e32 v21, 29, v22
	v_and_b32_e32 v20, 7, v20
	v_cmp_gt_u32_e64 s[12:13], 8, v7
	v_cndmask_b32_e64 v7, v19, v21, s[12:13]
	v_cndmask_b32_e64 v10, v10, v20, s[12:13]
	v_lshlrev_b32_e32 v6, 24, v6
	v_bfrev_b32_e32 v19, 60
	v_lshlrev_b32_e32 v10, 20, v10
	v_and_b32_e32 v6, 0x80000000, v6
	v_lshl_add_u32 v7, v7, 23, v19
	v_or3_b32 v6, v6, v7, v10
	v_lshrrev_b32_e32 v10, 16, v6
.LBB776_732:
	s_or_b64 exec, exec, s[26:27]
.LBB776_733:
	s_or_b64 exec, exec, s[24:25]
.LBB776_734:
	s_or_b64 exec, exec, s[14:15]
	s_mov_b32 s11, 0x5040100
	v_perm_b32 v7, v16, v15, s11
	v_perm_b32 v6, v13, v14, s11
	;; [unrolled: 1-line block ×4, first 2 shown]
	v_mfma_f32_4x4x4bf16_1k a[0:3], v[2:3], v[6:7], a[0:3] cbsz:4 abid:14
	v_cmp_ne_u16_sdwa s[12:13], v8, v12 src0_sel:BYTE_0 src1_sel:DWORD
	v_mfma_f32_4x4x4bf16_1k a[0:3], v[4:5], v[14:15], a[0:3] cbsz:4 abid:14
	s_and_saveexec_b64 s[14:15], s[12:13]
	s_cbranch_execz .LBB776_740
; %bb.735:
	s_movk_i32 s11, 0x80
	v_cmp_ne_u16_sdwa s[12:13], v8, s11 src0_sel:BYTE_0 src1_sel:DWORD
	v_mov_b32_e32 v12, 0xffff8000
	s_and_saveexec_b64 s[24:25], s[12:13]
	s_cbranch_execz .LBB776_739
; %bb.736:
	s_movk_i32 s11, 0x7f
	v_and_b32_e32 v6, 0x7f, v8
	v_cmp_ne_u32_e64 s[12:13], s11, v6
	v_mov_b32_e32 v12, 0x7f80
	s_and_saveexec_b64 s[26:27], s[12:13]
	s_cbranch_execz .LBB776_738
; %bb.737:
	v_and_b32_e32 v7, 7, v8
	v_ffbh_u32_e32 v7, v7
	v_min_u32_e32 v7, 32, v7
	v_subrev_u32_e32 v11, 28, v7
	v_cmp_gt_u32_e64 s[12:13], 8, v6
	v_lshrrev_b32_e32 v10, 3, v6
	v_sub_u32_e32 v7, 29, v7
	v_cndmask_b32_e64 v6, 0, v11, s[12:13]
	v_cndmask_b32_e64 v10, v10, v7, s[12:13]
	v_lshlrev_b64 v[6:7], v6, v[8:9]
	v_lshlrev_b32_e32 v6, 20, v6
	v_lshlrev_b32_e32 v7, 24, v8
	v_bfrev_b32_e32 v11, 60
	v_and_b32_e32 v6, 0x700000, v6
	v_and_b32_e32 v7, 0x80000000, v7
	v_lshl_add_u32 v10, v10, 23, v11
	v_or3_b32 v6, v7, v10, v6
	v_lshrrev_b32_e32 v12, 16, v6
.LBB776_738:
	s_or_b64 exec, exec, s[26:27]
.LBB776_739:
	s_or_b64 exec, exec, s[24:25]
.LBB776_740:
	s_or_b64 exec, exec, s[14:15]
	v_lshrrev_b16_e32 v6, 8, v8
	v_cmp_ne_u16_e64 s[12:13], 0, v6
	v_mov_b32_e32 v13, 0
	v_mov_b32_e32 v11, 0
	s_and_saveexec_b64 s[14:15], s[12:13]
	s_cbranch_execz .LBB776_746
; %bb.741:
	s_movk_i32 s11, 0x80
	v_cmp_ne_u16_e64 s[12:13], s11, v6
	v_mov_b32_e32 v11, 0xffff8000
	s_and_saveexec_b64 s[24:25], s[12:13]
	s_cbranch_execz .LBB776_745
; %bb.742:
	s_movk_i32 s11, 0x7f
	v_and_b32_e32 v7, 0x7f, v6
	v_cmp_ne_u32_e64 s[12:13], s11, v7
	v_mov_b32_e32 v11, 0x7f80
	s_and_saveexec_b64 s[26:27], s[12:13]
	s_cbranch_execz .LBB776_744
; %bb.743:
	v_and_b32_e32 v14, 7, v6
	v_ffbh_u32_e32 v10, v14
	v_min_u32_e32 v16, 32, v10
	v_subrev_u32_e32 v10, 28, v16
	v_lshlrev_b64 v[10:11], v10, v[6:7]
	v_lshrrev_b32_e32 v15, 3, v7
	v_sub_u32_e32 v6, 29, v16
	v_and_b32_e32 v10, 7, v10
	v_cmp_gt_u32_e64 s[12:13], 8, v7
	v_cndmask_b32_e64 v6, v15, v6, s[12:13]
	v_cndmask_b32_e64 v7, v14, v10, s[12:13]
	v_lshlrev_b32_e32 v10, 16, v8
	v_bfrev_b32_e32 v11, 60
	v_lshlrev_b32_e32 v7, 20, v7
	v_and_b32_e32 v10, 0x80000000, v10
	v_lshl_add_u32 v6, v6, 23, v11
	v_or3_b32 v6, v10, v6, v7
	v_lshrrev_b32_e32 v11, 16, v6
.LBB776_744:
	s_or_b64 exec, exec, s[26:27]
.LBB776_745:
	s_or_b64 exec, exec, s[24:25]
.LBB776_746:
	s_or_b64 exec, exec, s[14:15]
	s_movk_i32 s11, 0xff
	v_and_b32_sdwa v7, v8, s11 dst_sel:DWORD dst_unused:UNUSED_PAD src0_sel:WORD_1 src1_sel:DWORD
	v_lshrrev_b32_e32 v6, 16, v8
	v_cmp_ne_u16_e64 s[12:13], 0, v7
	s_and_saveexec_b64 s[14:15], s[12:13]
	s_cbranch_execz .LBB776_752
; %bb.747:
	s_movk_i32 s11, 0x80
	v_cmp_ne_u16_e64 s[12:13], s11, v7
	v_mov_b32_e32 v13, 0xffff8000
	s_and_saveexec_b64 s[24:25], s[12:13]
	s_cbranch_execz .LBB776_751
; %bb.748:
	v_bfe_u32 v7, v8, 16, 7
	s_movk_i32 s11, 0x7f
	v_cmp_ne_u32_e64 s[12:13], s11, v7
	v_mov_b32_e32 v13, 0x7f80
	s_and_saveexec_b64 s[26:27], s[12:13]
	s_cbranch_execz .LBB776_750
; %bb.749:
	v_and_b32_e32 v10, 7, v6
	v_ffbh_u32_e32 v14, v10
	v_min_u32_e32 v16, 32, v14
	v_subrev_u32_e32 v14, 28, v16
	v_lshlrev_b64 v[14:15], v14, v[6:7]
	v_and_b32_e32 v14, 7, v14
	v_cmp_gt_u32_e64 s[12:13], 8, v7
	v_lshrrev_b32_e32 v13, 3, v7
	v_sub_u32_e32 v6, 29, v16
	v_cndmask_b32_e64 v7, v10, v14, s[12:13]
	v_mov_b32_e32 v10, 24
	v_cndmask_b32_e64 v6, v13, v6, s[12:13]
	v_lshlrev_b32_sdwa v10, v10, v8 dst_sel:DWORD dst_unused:UNUSED_PAD src0_sel:DWORD src1_sel:WORD_1
	v_bfrev_b32_e32 v13, 60
	v_lshlrev_b32_e32 v7, 20, v7
	v_and_b32_e32 v10, 0x80000000, v10
	v_lshl_add_u32 v6, v6, 23, v13
	v_or3_b32 v6, v10, v6, v7
	v_lshrrev_b32_e32 v13, 16, v6
.LBB776_750:
	s_or_b64 exec, exec, s[26:27]
.LBB776_751:
	s_or_b64 exec, exec, s[24:25]
.LBB776_752:
	s_or_b64 exec, exec, s[14:15]
	s_mov_b32 s11, 0xffffff
	v_cmp_lt_u32_e64 s[12:13], s11, v8
	v_mov_b32_e32 v7, 0
	v_mov_b32_e32 v14, 0
	s_and_saveexec_b64 s[14:15], s[12:13]
	s_cbranch_execz .LBB776_758
; %bb.753:
	v_lshrrev_b32_e32 v6, 24, v8
	s_movk_i32 s11, 0x80
	v_cmp_ne_u32_e64 s[12:13], s11, v6
	v_mov_b32_e32 v14, 0xffff8000
	s_and_saveexec_b64 s[24:25], s[12:13]
	s_cbranch_execz .LBB776_757
; %bb.754:
	v_bfe_u32 v10, v8, 24, 7
	s_movk_i32 s11, 0x7f
	v_cmp_ne_u32_e64 s[12:13], s11, v10
	v_mov_b32_e32 v14, 0x7f80
	s_and_saveexec_b64 s[26:27], s[12:13]
	s_cbranch_execz .LBB776_756
; %bb.755:
	v_and_b32_e32 v16, 7, v6
	v_ffbh_u32_e32 v14, v16
	v_min_u32_e32 v18, 32, v14
	v_subrev_u32_e32 v14, 28, v18
	v_lshlrev_b64 v[14:15], v14, v[6:7]
	v_lshrrev_b32_e32 v17, 3, v10
	v_sub_u32_e32 v15, 29, v18
	v_and_b32_e32 v14, 7, v14
	v_cmp_gt_u32_e64 s[12:13], 8, v10
	v_cndmask_b32_e64 v10, v17, v15, s[12:13]
	v_cndmask_b32_e64 v14, v16, v14, s[12:13]
	v_lshlrev_b32_e32 v6, 24, v6
	v_bfrev_b32_e32 v15, 60
	v_lshlrev_b32_e32 v14, 20, v14
	v_and_b32_e32 v6, 0x80000000, v6
	v_lshl_add_u32 v10, v10, 23, v15
	v_or3_b32 v6, v6, v10, v14
	v_lshrrev_b32_e32 v14, 16, v6
.LBB776_756:
	s_or_b64 exec, exec, s[26:27]
.LBB776_757:
	s_or_b64 exec, exec, s[24:25]
.LBB776_758:
	s_or_b64 exec, exec, s[14:15]
	v_mov_b32_e32 v6, v9
	v_cmp_ne_u16_sdwa s[12:13], v9, v7 src0_sel:BYTE_0 src1_sel:DWORD
	s_and_saveexec_b64 s[14:15], s[12:13]
	s_cbranch_execz .LBB776_764
; %bb.759:
	s_movk_i32 s11, 0x80
	v_cmp_ne_u16_sdwa s[12:13], v9, s11 src0_sel:BYTE_0 src1_sel:DWORD
	v_mov_b32_e32 v10, 0xffff8000
	s_and_saveexec_b64 s[24:25], s[12:13]
	s_cbranch_execz .LBB776_763
; %bb.760:
	s_movk_i32 s11, 0x7f
	v_and_b32_e32 v15, 0x7f, v9
	v_cmp_ne_u32_e64 s[12:13], s11, v15
	v_mov_b32_e32 v10, 0x7f80
	s_and_saveexec_b64 s[26:27], s[12:13]
	s_cbranch_execz .LBB776_762
; %bb.761:
	v_and_b32_e32 v10, 7, v9
	v_ffbh_u32_e32 v10, v10
	v_min_u32_e32 v10, 32, v10
	v_subrev_u32_e32 v17, 28, v10
	v_cmp_gt_u32_e64 s[12:13], 8, v15
	v_lshrrev_b32_e32 v16, 3, v15
	v_sub_u32_e32 v10, 29, v10
	v_cndmask_b32_e64 v15, 0, v17, s[12:13]
	v_cndmask_b32_e64 v10, v16, v10, s[12:13]
	v_lshlrev_b64 v[16:17], v15, v[6:7]
	v_lshlrev_b32_e32 v7, 20, v16
	v_lshlrev_b32_e32 v15, 24, v6
	v_bfrev_b32_e32 v16, 60
	v_and_b32_e32 v7, 0x700000, v7
	v_and_b32_e32 v15, 0x80000000, v15
	v_lshl_add_u32 v10, v10, 23, v16
	v_or3_b32 v7, v15, v10, v7
	v_lshrrev_b32_e32 v10, 16, v7
.LBB776_762:
	s_or_b64 exec, exec, s[26:27]
.LBB776_763:
	s_or_b64 exec, exec, s[24:25]
	v_mov_b32_e32 v7, v10
.LBB776_764:
	s_or_b64 exec, exec, s[14:15]
	v_lshrrev_b16_e32 v10, 8, v6
	v_cmp_ne_u16_e64 s[12:13], 0, v10
	v_mov_b32_e32 v16, 0
	v_mov_b32_e32 v15, 0
	s_and_saveexec_b64 s[14:15], s[12:13]
	s_cbranch_execz .LBB776_770
; %bb.765:
	s_movk_i32 s11, 0x80
	v_cmp_ne_u16_e64 s[12:13], s11, v10
	v_mov_b32_e32 v15, 0xffff8000
	s_and_saveexec_b64 s[24:25], s[12:13]
	s_cbranch_execz .LBB776_769
; %bb.766:
	s_movk_i32 s11, 0x7f
	v_and_b32_e32 v17, 0x7f, v10
	v_cmp_ne_u32_e64 s[12:13], s11, v17
	v_mov_b32_e32 v15, 0x7f80
	s_and_saveexec_b64 s[26:27], s[12:13]
	s_cbranch_execz .LBB776_768
; %bb.767:
	v_and_b32_e32 v15, 7, v10
	v_ffbh_u32_e32 v18, v15
	v_min_u32_e32 v21, 32, v18
	v_subrev_u32_e32 v18, 28, v21
	v_lshlrev_b64 v[18:19], v18, v[10:11]
	v_lshrrev_b32_e32 v20, 3, v17
	v_sub_u32_e32 v10, 29, v21
	v_and_b32_e32 v18, 7, v18
	v_cmp_gt_u32_e64 s[12:13], 8, v17
	v_cndmask_b32_e64 v10, v20, v10, s[12:13]
	v_cndmask_b32_e64 v15, v15, v18, s[12:13]
	v_lshlrev_b32_e32 v6, 16, v6
	v_bfrev_b32_e32 v17, 60
	v_lshlrev_b32_e32 v15, 20, v15
	v_and_b32_e32 v6, 0x80000000, v6
	v_lshl_add_u32 v10, v10, 23, v17
	v_or3_b32 v6, v6, v10, v15
	v_lshrrev_b32_e32 v15, 16, v6
.LBB776_768:
	s_or_b64 exec, exec, s[26:27]
.LBB776_769:
	s_or_b64 exec, exec, s[24:25]
.LBB776_770:
	s_or_b64 exec, exec, s[14:15]
	s_movk_i32 s11, 0xff
	v_and_b32_sdwa v10, v9, s11 dst_sel:DWORD dst_unused:UNUSED_PAD src0_sel:WORD_1 src1_sel:DWORD
	v_lshrrev_b32_e32 v6, 16, v9
	v_cmp_ne_u16_e64 s[12:13], 0, v10
	s_and_saveexec_b64 s[14:15], s[12:13]
	s_cbranch_execz .LBB776_776
; %bb.771:
	s_movk_i32 s11, 0x80
	v_cmp_ne_u16_e64 s[12:13], s11, v10
	v_mov_b32_e32 v16, 0xffff8000
	s_and_saveexec_b64 s[24:25], s[12:13]
	s_cbranch_execz .LBB776_775
; %bb.772:
	v_bfe_u32 v10, v9, 16, 7
	s_movk_i32 s11, 0x7f
	v_cmp_ne_u32_e64 s[12:13], s11, v10
	v_mov_b32_e32 v16, 0x7f80
	s_and_saveexec_b64 s[26:27], s[12:13]
	s_cbranch_execz .LBB776_774
; %bb.773:
	v_and_b32_e32 v18, 7, v6
	v_ffbh_u32_e32 v16, v18
	v_min_u32_e32 v20, 32, v16
	v_subrev_u32_e32 v16, 28, v20
	v_lshlrev_b64 v[16:17], v16, v[6:7]
	v_and_b32_e32 v16, 7, v16
	v_cmp_gt_u32_e64 s[12:13], 8, v10
	v_lshrrev_b32_e32 v19, 3, v10
	v_sub_u32_e32 v6, 29, v20
	v_cndmask_b32_e64 v10, v18, v16, s[12:13]
	v_mov_b32_e32 v16, 24
	v_cndmask_b32_e64 v6, v19, v6, s[12:13]
	v_lshlrev_b32_sdwa v16, v16, v9 dst_sel:DWORD dst_unused:UNUSED_PAD src0_sel:DWORD src1_sel:WORD_1
	v_bfrev_b32_e32 v17, 60
	v_lshlrev_b32_e32 v10, 20, v10
	v_and_b32_e32 v16, 0x80000000, v16
	v_lshl_add_u32 v6, v6, 23, v17
	v_or3_b32 v6, v16, v6, v10
	v_lshrrev_b32_e32 v16, 16, v6
.LBB776_774:
	s_or_b64 exec, exec, s[26:27]
.LBB776_775:
	s_or_b64 exec, exec, s[24:25]
.LBB776_776:
	s_or_b64 exec, exec, s[14:15]
	s_mov_b32 s12, -1
	s_mov_b32 s13, 0xffffff
	v_cmp_lt_u64_e64 s[12:13], s[12:13], v[8:9]
	v_mov_b32_e32 v8, 0
	s_and_saveexec_b64 s[14:15], s[12:13]
	s_cbranch_execz .LBB776_782
; %bb.777:
	v_lshrrev_b32_e32 v6, 24, v9
	s_movk_i32 s11, 0x80
	v_cmp_ne_u32_e64 s[12:13], s11, v6
	v_mov_b32_e32 v8, 0xffff8000
	s_and_saveexec_b64 s[24:25], s[12:13]
	s_cbranch_execz .LBB776_781
; %bb.778:
	v_bfe_u32 v9, v9, 24, 7
	s_movk_i32 s11, 0x7f
	v_cmp_ne_u32_e64 s[12:13], s11, v9
	v_mov_b32_e32 v8, 0x7f80
	s_and_saveexec_b64 s[26:27], s[12:13]
	s_cbranch_execz .LBB776_780
; %bb.779:
	v_and_b32_e32 v8, 7, v6
	v_ffbh_u32_e32 v17, v8
	v_min_u32_e32 v17, 32, v17
	v_subrev_u32_e32 v18, 28, v17
	v_lshlrev_b64 v[18:19], v18, v[6:7]
	v_lshrrev_b32_e32 v10, 3, v9
	v_sub_u32_e32 v17, 29, v17
	v_and_b32_e32 v18, 7, v18
	v_cmp_gt_u32_e64 s[12:13], 8, v9
	v_cndmask_b32_e64 v9, v10, v17, s[12:13]
	v_cndmask_b32_e64 v8, v8, v18, s[12:13]
	v_lshlrev_b32_e32 v6, 24, v6
	v_bfrev_b32_e32 v10, 60
	v_lshlrev_b32_e32 v8, 20, v8
	v_and_b32_e32 v6, 0x80000000, v6
	v_lshl_add_u32 v9, v9, 23, v10
	v_or3_b32 v6, v6, v9, v8
	v_lshrrev_b32_e32 v8, 16, v6
.LBB776_780:
	s_or_b64 exec, exec, s[26:27]
.LBB776_781:
	s_or_b64 exec, exec, s[24:25]
.LBB776_782:
	s_or_b64 exec, exec, s[14:15]
	s_load_dword s4, s[4:5], 0x1c
	s_mov_b32 s5, 0x5040100
	v_perm_b32 v13, v14, v13, s5
	v_perm_b32 v12, v11, v12, s5
	;; [unrolled: 1-line block ×4, first 2 shown]
	v_mfma_f32_4x4x4bf16_1k a[0:3], v[2:3], v[12:13], a[0:3] cbsz:4 abid:15
	s_load_dword s5, s[16:17], 0x0
	v_mfma_f32_4x4x4bf16_1k a[0:3], v[4:5], v[8:9], a[0:3] cbsz:4 abid:15
	s_waitcnt lgkmcnt(0)
	v_mov_b32_e32 v2, s4
	v_mul_f32_e32 v4, s5, v2
	v_cmp_eq_u32_e64 s[4:5], 0, v43
	s_nop 0
	v_accvgpr_read_b32 v7, a1
	v_accvgpr_read_b32 v6, a0
	v_pk_mul_f32 v[6:7], v[6:7], v[4:5] op_sel_hi:[1,0]
	v_accvgpr_read_b32 v3, a3
	v_accvgpr_read_b32 v2, a2
	v_pk_mul_f32 v[2:3], v[2:3], v[4:5] op_sel_hi:[1,0]
	v_cndmask_b32_e64 v4, 0, 1.0, s[4:5]
	v_cmp_eq_u32_e64 s[4:5], 1, v43
	s_nop 0
	v_mfma_f32_4x4x1f32 a[0:3], v6, v4, 0
	v_cndmask_b32_e64 v4, 0, 1.0, s[4:5]
	v_cmp_eq_u32_e64 s[4:5], 2, v43
	v_mov_b32_e32 v6, 0xff7fffff
	v_mfma_f32_4x4x1f32 a[0:3], v7, v4, a[0:3]
	v_cndmask_b32_e64 v4, 0, 1.0, s[4:5]
	s_nop 1
	v_mfma_f32_4x4x1f32 a[0:3], v2, v4, a[0:3]
	v_cndmask_b32_e64 v2, 0, 1.0, vcc
	s_nop 1
	v_mfma_f32_4x4x1f32 a[0:3], v3, v2, a[0:3]
	v_and_b32_e32 v2, -4, v44
	v_cmp_gt_i32_e32 vcc, s9, v2
	v_lshlrev_b32_e32 v3, 2, v0
	v_and_or_b32 v3, v3, 48, v43
	v_lshlrev_b32_e32 v10, 2, v3
	v_accvgpr_read_b32 v4, a0
	v_max_f32_e32 v5, v4, v4
	v_max_f32_e32 v5, 0xff7fffff, v5
	v_accvgpr_read_b32 v7, a1
	v_cndmask_b32_e32 v5, v6, v5, vcc
	v_or_b32_e32 v6, 1, v2
	v_max_f32_e32 v8, v7, v7
	v_max_f32_e32 v8, v5, v8
	v_cmp_gt_i32_e64 s[4:5], s9, v6
	v_cndmask_b32_e64 v5, v5, v8, s[4:5]
	v_accvgpr_read_b32 v8, a2
	v_or_b32_e32 v2, 2, v2
	v_max_f32_e32 v6, v8, v8
	v_max_f32_e32 v6, v5, v6
	v_cmp_gt_i32_e64 s[12:13], s9, v2
	v_accvgpr_read_b32 v9, a3
	v_cndmask_b32_e64 v2, v5, v6, s[12:13]
	v_or_b32_e32 v5, 3, v44
	v_max_f32_e32 v6, v9, v9
	v_max_f32_e32 v6, v2, v6
	v_cmp_gt_i32_e64 s[14:15], s9, v5
	v_cndmask_b32_e64 v2, v2, v6, s[14:15]
	;;#ASMSTART
	v_nop
 v_nop
 v_max_f32_dpp v2, v2, v2 row_ror:4
	;;#ASMEND
	;;#ASMSTART
	v_nop
 v_nop
 v_max_f32_dpp v2, v2, v2 row_ror:8
	;;#ASMEND
	ds_bpermute_b32 v2, v10, v2
	s_waitcnt lgkmcnt(0)
	;;#ASMSTART
	v_nop
 v_nop
 v_max_f32_dpp v2, v2, v2 row_ror:4
	;;#ASMEND
	;;#ASMSTART
	v_nop
 v_nop
 v_max_f32_dpp v6, v2, v2 row_ror:8
	;;#ASMEND
	v_sub_f32_e32 v2, v4, v6
	v_mul_f32_e32 v2, 0x3fb8aa3b, v2
	v_sub_f32_e32 v3, v7, v6
	v_exp_f32_e32 v2, v2
	v_mul_f32_e32 v3, 0x3fb8aa3b, v3
	v_sub_f32_e32 v5, v8, v6
	v_exp_f32_e32 v3, v3
	;; [unrolled: 3-line block ×3, first 2 shown]
	v_mul_f32_e32 v7, 0x3fb8aa3b, v7
	v_exp_f32_e32 v7, v7
	v_cndmask_b32_e32 v2, 0, v2, vcc
	v_add_f32_e32 v4, 0, v2
	v_cndmask_b32_e64 v3, 0, v3, s[4:5]
	v_add_f32_e32 v8, v4, v3
	v_cndmask_b32_e64 v4, 0, v5, s[12:13]
	;; [unrolled: 2-line block ×3, first 2 shown]
	v_add_f32_e32 v7, v8, v5
	;;#ASMSTART
	v_nop
 v_nop
 v_add_f32_dpp v7, v7, v7 row_ror:4
	;;#ASMEND
	;;#ASMSTART
	v_nop
 v_nop
 v_add_f32_dpp v7, v7, v7 row_ror:8
	;;#ASMEND
	ds_bpermute_b32 v7, v10, v7
	s_waitcnt lgkmcnt(0)
	;;#ASMSTART
	v_nop
 v_nop
 v_add_f32_dpp v7, v7, v7 row_ror:4
	;;#ASMEND
	v_cmp_gt_u32_e32 vcc, 4, v1
	;;#ASMSTART
	v_nop
 v_nop
 v_add_f32_dpp v7, v7, v7 row_ror:8
	;;#ASMEND
	s_and_saveexec_b64 s[4:5], vcc
	s_cbranch_execz .LBB776_784
; %bb.783:
	v_mul_u32_u24_e32 v8, 20, v42
	v_lshl_add_u32 v8, v43, 2, v8
	v_add_u32_e32 v8, 0x1400, v8
	ds_write2_b32 v8, v6, v7 offset1:20
.LBB776_784:
	s_or_b64 exec, exec, s[4:5]
.LBB776_785:
	s_or_b64 exec, exec, s[40:41]
	s_waitcnt lgkmcnt(0)
	s_barrier
	s_load_dword s4, s[38:39], 0x8
	v_lshlrev_b32_e32 v7, 2, v43
	v_add_u32_e32 v7, 0x1400, v7
	ds_read2_b32 v[10:11], v7 offset1:5
	ds_read2_b32 v[12:13], v7 offset0:10 offset1:15
	s_mul_i32 s5, s8, s33
	s_waitcnt lgkmcnt(0)
	s_mul_i32 s4, s5, s4
	s_mov_b32 s5, 0xff7fffff
	v_max3_f32 v8, v10, s5, v11
	v_max3_f32 v8, v8, v12, v13
	v_sub_f32_e32 v9, v10, v8
	v_sub_f32_e32 v10, v11, v8
	ds_read2_b32 v[14:15], v7 offset0:20 offset1:25
	v_mul_f32_e32 v9, 0x3fb8aa3b, v9
	v_mul_f32_e32 v10, 0x3fb8aa3b, v10
	v_exp_f32_e32 v9, v9
	v_exp_f32_e32 v16, v10
	ds_read2_b32 v[10:11], v7 offset0:30 offset1:35
	v_sub_f32_e32 v7, v12, v8
	v_mul_f32_e32 v7, 0x3fb8aa3b, v7
	v_sub_f32_e32 v12, v13, v8
	v_exp_f32_e32 v7, v7
	v_mul_f32_e32 v12, 0x3fb8aa3b, v12
	v_exp_f32_e32 v12, v12
	s_waitcnt lgkmcnt(1)
	v_fma_f32 v9, v9, v14, 0
	v_fmac_f32_e32 v9, v16, v15
	s_waitcnt lgkmcnt(0)
	v_fmac_f32_e32 v9, v7, v10
	s_mul_i32 s24, s10, 3
	s_mul_i32 s4, s4, 3
	v_fmac_f32_e32 v9, v12, v11
	v_cmp_ne_u32_e32 vcc, 3, v43
	s_and_saveexec_b64 s[8:9], vcc
	s_cbranch_execz .LBB776_787
; %bb.786:
	s_mov_b32 s5, 0
	s_lshl_b64 s[10:11], s[4:5], 2
	s_add_u32 s14, s20, s10
	s_mov_b32 s35, s5
	s_addc_u32 s15, s21, s11
	s_lshl_b64 s[12:13], s[34:35], 2
	s_add_u32 s5, s14, s12
	s_addc_u32 s14, s15, s13
	v_add_u32_e32 v7, s24, v43
	s_add_u32 s10, s22, s10
	v_mul_lo_u32 v10, s33, v7
	v_mov_b32_e32 v11, 0
	s_addc_u32 s11, s23, s11
	v_lshlrev_b64 v[10:11], 2, v[10:11]
	s_add_u32 s10, s10, s12
	v_mov_b32_e32 v7, s14
	v_add_co_u32_e32 v12, vcc, s5, v10
	s_addc_u32 s11, s11, s13
	v_addc_co_u32_e32 v13, vcc, v7, v11, vcc
	v_mov_b32_e32 v7, s11
	v_add_co_u32_e32 v10, vcc, s10, v10
	v_addc_co_u32_e32 v11, vcc, v7, v11, vcc
	global_store_dword v[10:11], v8, off
	global_store_dword v[12:13], v9, off
.LBB776_787:
	s_or_b64 exec, exec, s[8:9]
	v_lshlrev_b32_e32 v7, 3, v42
	s_and_saveexec_b64 s[8:9], s[6:7]
	s_xor_b64 s[6:7], exec, s[8:9]
	s_cbranch_execz .LBB776_789
; %bb.788:
	s_mov_b32 s8, 0
	s_mov_b32 s9, s8
	v_mad_u32_u24 v4, v1, 40, v7
	v_pk_mov_b32 v[2:3], s[8:9], s[8:9] op_sel:[0,1]
	ds_write2st64_b64 v4, v[2:3], v[2:3] offset1:5
                                        ; implicit-def: $vgpr7
                                        ; implicit-def: $vgpr9
                                        ; implicit-def: $vgpr6
                                        ; implicit-def: $vgpr8
                                        ; implicit-def: $vgpr4
                                        ; implicit-def: $vgpr2
.LBB776_789:
	s_andn2_saveexec_b64 s[6:7], s[6:7]
	s_cbranch_execz .LBB776_1176
; %bb.790:
	v_add_f32_e32 v9, 0x358637bd, v9
	v_div_scale_f32 v10, s[8:9], v9, v9, 1.0
	v_rcp_f32_e32 v11, v10
	v_div_scale_f32 v12, vcc, 1.0, v9, 1.0
	v_sub_f32_e32 v6, v6, v8
	v_fma_f32 v13, -v10, v11, 1.0
	v_fmac_f32_e32 v11, v13, v11
	v_mul_f32_e32 v13, v12, v11
	v_fma_f32 v14, -v10, v13, v12
	v_mul_f32_e32 v6, 0x3fb8aa3b, v6
	v_fmac_f32_e32 v13, v14, v11
	v_exp_f32_e32 v6, v6
	v_fma_f32 v10, -v10, v13, v12
	v_div_fmas_f32 v8, v10, v11, v13
	v_div_fixup_f32 v8, v8, v9, 1.0
	v_mul_f32_e32 v6, v6, v8
	v_pk_mul_f32 v[2:3], v[2:3], v[6:7] op_sel_hi:[1,0]
	s_load_dword s8, s[18:19], 0x0
	v_pk_mul_f32 v[4:5], v[4:5], v[6:7] op_sel_hi:[1,0]
	v_bfe_u32 v6, v3, 16, 1
	v_bfe_u32 v8, v2, 16, 1
	s_movk_i32 s5, 0x7fff
	v_add3_u32 v2, v2, v8, s5
	v_add3_u32 v3, v3, v6, s5
	s_mov_b32 s20, 0x7060302
	v_perm_b32 v2, v3, v2, s20
	v_bfe_u32 v3, v5, 16, 1
	v_bfe_u32 v6, v4, 16, 1
	v_add3_u32 v4, v4, v6, s5
	v_add3_u32 v3, v5, v3, s5
	v_mov_b32_e32 v11, 0
	v_perm_b32 v3, v3, v4, s20
	v_add_u32_e32 v5, 64, v11
	s_waitcnt lgkmcnt(0)
	s_mov_b32 s9, s8
	s_mov_b32 s10, s8
	;; [unrolled: 1-line block ×4, first 2 shown]
	s_mov_b64 s[12:13], -1
	s_movk_i32 s21, 0x80
	s_movk_i32 s23, 0x7f
	s_mov_b32 s25, 0xffffff
	s_mov_b32 s26, 0x5040100
	v_mov_b32_e32 v9, 0
	v_bfrev_b32_e32 v10, 60
	s_branch .LBB776_794
.LBB776_791:                            ;   in Loop: Header=BB776_794 Depth=1
	s_or_b64 exec, exec, s[18:19]
.LBB776_792:                            ;   in Loop: Header=BB776_794 Depth=1
	s_or_b64 exec, exec, s[16:17]
.LBB776_793:                            ;   in Loop: Header=BB776_794 Depth=1
	s_or_b64 exec, exec, s[14:15]
	v_perm_b32 v19, v15, v12, s26
	v_perm_b32 v18, v11, v13, s26
	;; [unrolled: 1-line block ×4, first 2 shown]
	v_mfma_f32_4x4x4bf16_1k a[0:3], v[2:3], v[18:19], a[0:3] cbsz:4 abid:14
	s_mul_i32 s14, s22, 0xa00
	v_mfma_f32_4x4x4bf16_1k a[0:3], v[2:3], v[12:13], a[0:3] cbsz:4 abid:15
	s_mov_b32 s22, 1
	v_mov_b32_e32 v11, v5
	s_nop 2
	v_accvgpr_read_b32 v15, a1
	v_accvgpr_read_b32 v14, a0
	v_pk_mul_f32 v[14:15], v[14:15], s[8:9]
	v_accvgpr_read_b32 v13, a3
	v_accvgpr_read_b32 v12, a2
	v_bfe_u32 v4, v15, 16, 1
	v_bfe_u32 v6, v14, 16, 1
	v_pk_mul_f32 v[12:13], v[12:13], s[10:11]
	v_add3_u32 v6, v14, v6, s5
	v_add3_u32 v4, v15, v4, s5
	v_perm_b32 v14, v4, v6, s20
	v_bfe_u32 v4, v13, 16, 1
	v_bfe_u32 v6, v12, 16, 1
	v_add3_u32 v6, v12, v6, s5
	v_add3_u32 v4, v13, v4, s5
	v_perm_b32 v15, v4, v6, s20
	v_mul_u32_u24_e32 v4, 40, v1
	v_add3_u32 v4, s14, v4, v7
	s_xor_b64 s[14:15], s[12:13], -1
	s_mov_b64 s[12:13], 0
	s_andn2_b64 vcc, exec, s[14:15]
	ds_write_b64 v4, v[14:15]
	s_cbranch_vccz .LBB776_1176
.LBB776_794:                            ; =>This Inner Loop Header: Depth=1
	buffer_load_dword v6, v11, s[0:3], 0 offen
	buffer_load_dword v4, v11, s[0:3], 0 offen offset:4
	v_mov_b32_e32 v13, 0
	s_waitcnt vmcnt(1)
	v_cmp_ne_u16_sdwa s[16:17], v6, v9 src0_sel:BYTE_0 src1_sel:DWORD
	s_and_saveexec_b64 s[14:15], s[16:17]
	s_cbranch_execz .LBB776_800
; %bb.795:                              ;   in Loop: Header=BB776_794 Depth=1
	v_cmp_ne_u16_sdwa s[18:19], v6, s21 src0_sel:BYTE_0 src1_sel:DWORD
	v_mov_b32_e32 v13, 0xffff8000
	s_and_saveexec_b64 s[16:17], s[18:19]
	s_cbranch_execz .LBB776_799
; %bb.796:                              ;   in Loop: Header=BB776_794 Depth=1
	v_and_b32_e32 v8, 0x7f, v6
	v_cmp_ne_u32_e32 vcc, s23, v8
	v_mov_b32_e32 v13, 0x7f80
	s_and_saveexec_b64 s[18:19], vcc
	s_cbranch_execz .LBB776_798
; %bb.797:                              ;   in Loop: Header=BB776_794 Depth=1
	v_and_b32_e32 v14, 7, v6
	v_ffbh_u32_e32 v12, v14
	v_min_u32_e32 v16, 32, v12
	v_subrev_u32_e32 v12, 28, v16
	v_lshlrev_b64 v[12:13], v12, v[6:7]
	v_lshrrev_b32_e32 v15, 3, v8
	v_sub_u32_e32 v13, 29, v16
	v_and_b32_e32 v12, 7, v12
	v_cmp_gt_u32_e32 vcc, 8, v8
	v_cndmask_b32_e32 v8, v15, v13, vcc
	v_cndmask_b32_e32 v12, v14, v12, vcc
	v_lshlrev_b32_e32 v13, 24, v6
	v_lshlrev_b32_e32 v12, 20, v12
	v_and_b32_e32 v13, 0x80000000, v13
	v_lshl_add_u32 v8, v8, 23, v10
	v_or3_b32 v8, v13, v8, v12
	v_lshrrev_b32_e32 v13, 16, v8
.LBB776_798:                            ;   in Loop: Header=BB776_794 Depth=1
	s_or_b64 exec, exec, s[18:19]
.LBB776_799:                            ;   in Loop: Header=BB776_794 Depth=1
	s_or_b64 exec, exec, s[16:17]
.LBB776_800:                            ;   in Loop: Header=BB776_794 Depth=1
	s_or_b64 exec, exec, s[14:15]
	v_lshrrev_b16_e32 v8, 8, v6
	v_cmp_ne_u16_e32 vcc, 0, v8
	v_mov_b32_e32 v15, 0
	v_mov_b32_e32 v14, 0
	s_and_saveexec_b64 s[14:15], vcc
	s_cbranch_execz .LBB776_806
; %bb.801:                              ;   in Loop: Header=BB776_794 Depth=1
	v_cmp_ne_u16_e32 vcc, s21, v8
	v_mov_b32_e32 v14, 0xffff8000
	s_and_saveexec_b64 s[16:17], vcc
	s_cbranch_execz .LBB776_805
; %bb.802:                              ;   in Loop: Header=BB776_794 Depth=1
	v_and_b32_e32 v12, 0x7f, v8
	v_cmp_ne_u32_e32 vcc, s23, v12
	v_mov_b32_e32 v14, 0x7f80
	s_and_saveexec_b64 s[18:19], vcc
	s_cbranch_execz .LBB776_804
; %bb.803:                              ;   in Loop: Header=BB776_794 Depth=1
	v_and_b32_e32 v14, 7, v8
	v_ffbh_u32_e32 v16, v14
	v_min_u32_e32 v19, 32, v16
	v_subrev_u32_e32 v16, 28, v19
	v_lshlrev_b64 v[16:17], v16, v[8:9]
	v_lshrrev_b32_e32 v18, 3, v12
	v_sub_u32_e32 v8, 29, v19
	v_and_b32_e32 v16, 7, v16
	v_cmp_gt_u32_e32 vcc, 8, v12
	v_cndmask_b32_e32 v8, v18, v8, vcc
	v_cndmask_b32_e32 v12, v14, v16, vcc
	v_lshlrev_b32_e32 v14, 16, v6
	v_lshlrev_b32_e32 v12, 20, v12
	v_and_b32_e32 v14, 0x80000000, v14
	v_lshl_add_u32 v8, v8, 23, v10
	v_or3_b32 v8, v14, v8, v12
	v_lshrrev_b32_e32 v14, 16, v8
.LBB776_804:                            ;   in Loop: Header=BB776_794 Depth=1
	s_or_b64 exec, exec, s[18:19]
.LBB776_805:                            ;   in Loop: Header=BB776_794 Depth=1
	s_or_b64 exec, exec, s[16:17]
.LBB776_806:                            ;   in Loop: Header=BB776_794 Depth=1
	s_or_b64 exec, exec, s[14:15]
	v_lshrrev_b32_e32 v8, 16, v6
	v_cmp_ne_u16_sdwa s[16:17], v8, v9 src0_sel:BYTE_0 src1_sel:DWORD
	s_and_saveexec_b64 s[14:15], s[16:17]
	s_cbranch_execz .LBB776_812
; %bb.807:                              ;   in Loop: Header=BB776_794 Depth=1
	v_cmp_ne_u16_sdwa s[18:19], v8, s21 src0_sel:BYTE_0 src1_sel:DWORD
	v_mov_b32_e32 v15, 0xffff8000
	s_and_saveexec_b64 s[16:17], s[18:19]
	s_cbranch_execz .LBB776_811
; %bb.808:                              ;   in Loop: Header=BB776_794 Depth=1
	v_bfe_u32 v12, v6, 16, 7
	v_cmp_ne_u32_e32 vcc, s23, v12
	v_mov_b32_e32 v15, 0x7f80
	s_and_saveexec_b64 s[18:19], vcc
	s_cbranch_execz .LBB776_810
; %bb.809:                              ;   in Loop: Header=BB776_794 Depth=1
	v_and_b32_e32 v15, 7, v8
	v_ffbh_u32_e32 v16, v15
	v_min_u32_e32 v19, 32, v16
	v_subrev_u32_e32 v16, 28, v19
	v_lshlrev_b64 v[16:17], v16, v[8:9]
	v_lshrrev_b32_e32 v18, 3, v12
	v_sub_u32_e32 v17, 29, v19
	v_and_b32_e32 v16, 7, v16
	v_cmp_gt_u32_e32 vcc, 8, v12
	v_cndmask_b32_e32 v12, v18, v17, vcc
	v_cndmask_b32_e32 v15, v15, v16, vcc
	v_lshlrev_b32_e32 v8, 24, v8
	v_lshlrev_b32_e32 v15, 20, v15
	v_and_b32_e32 v8, 0x80000000, v8
	v_lshl_add_u32 v12, v12, 23, v10
	v_or3_b32 v8, v8, v12, v15
	v_lshrrev_b32_e32 v15, 16, v8
.LBB776_810:                            ;   in Loop: Header=BB776_794 Depth=1
	s_or_b64 exec, exec, s[18:19]
.LBB776_811:                            ;   in Loop: Header=BB776_794 Depth=1
	s_or_b64 exec, exec, s[16:17]
.LBB776_812:                            ;   in Loop: Header=BB776_794 Depth=1
	s_or_b64 exec, exec, s[14:15]
	v_cmp_lt_u32_e32 vcc, s25, v6
	v_mov_b32_e32 v16, 0
	v_mov_b32_e32 v17, 0
	s_and_saveexec_b64 s[14:15], vcc
	s_cbranch_execz .LBB776_818
; %bb.813:                              ;   in Loop: Header=BB776_794 Depth=1
	v_lshrrev_b32_e32 v8, 24, v6
	v_cmp_ne_u32_e32 vcc, s21, v8
	v_mov_b32_e32 v17, 0xffff8000
	s_and_saveexec_b64 s[16:17], vcc
	s_cbranch_execz .LBB776_817
; %bb.814:                              ;   in Loop: Header=BB776_794 Depth=1
	v_bfe_u32 v6, v6, 24, 7
	v_cmp_ne_u32_e32 vcc, s23, v6
	v_mov_b32_e32 v17, 0x7f80
	s_and_saveexec_b64 s[18:19], vcc
	s_cbranch_execz .LBB776_816
; %bb.815:                              ;   in Loop: Header=BB776_794 Depth=1
	v_and_b32_e32 v12, 7, v8
	v_ffbh_u32_e32 v18, v12
	v_min_u32_e32 v20, 32, v18
	v_subrev_u32_e32 v18, 28, v20
	v_lshlrev_b64 v[18:19], v18, v[8:9]
	v_lshrrev_b32_e32 v17, 3, v6
	v_sub_u32_e32 v19, 29, v20
	v_and_b32_e32 v18, 7, v18
	v_cmp_gt_u32_e32 vcc, 8, v6
	v_cndmask_b32_e32 v6, v17, v19, vcc
	v_cndmask_b32_e32 v12, v12, v18, vcc
	v_lshlrev_b32_e32 v8, 24, v8
	v_lshlrev_b32_e32 v12, 20, v12
	v_and_b32_e32 v8, 0x80000000, v8
	v_lshl_add_u32 v6, v6, 23, v10
	v_or3_b32 v6, v8, v6, v12
	v_lshrrev_b32_e32 v17, 16, v6
.LBB776_816:                            ;   in Loop: Header=BB776_794 Depth=1
	s_or_b64 exec, exec, s[18:19]
.LBB776_817:                            ;   in Loop: Header=BB776_794 Depth=1
	s_or_b64 exec, exec, s[16:17]
.LBB776_818:                            ;   in Loop: Header=BB776_794 Depth=1
	s_or_b64 exec, exec, s[14:15]
	s_waitcnt vmcnt(0)
	v_cmp_ne_u16_sdwa s[16:17], v4, v9 src0_sel:BYTE_0 src1_sel:DWORD
	s_and_saveexec_b64 s[14:15], s[16:17]
	s_cbranch_execz .LBB776_824
; %bb.819:                              ;   in Loop: Header=BB776_794 Depth=1
	v_cmp_ne_u16_sdwa s[18:19], v4, s21 src0_sel:BYTE_0 src1_sel:DWORD
	v_mov_b32_e32 v16, 0xffff8000
	s_and_saveexec_b64 s[16:17], s[18:19]
	s_cbranch_execz .LBB776_823
; %bb.820:                              ;   in Loop: Header=BB776_794 Depth=1
	v_and_b32_e32 v6, 0x7f, v4
	v_cmp_ne_u32_e32 vcc, s23, v6
	v_mov_b32_e32 v16, 0x7f80
	s_and_saveexec_b64 s[18:19], vcc
	s_cbranch_execz .LBB776_822
; %bb.821:                              ;   in Loop: Header=BB776_794 Depth=1
	v_and_b32_e32 v8, 7, v4
	v_ffbh_u32_e32 v16, v8
	v_min_u32_e32 v16, 32, v16
	v_subrev_u32_e32 v18, 28, v16
	v_lshlrev_b64 v[18:19], v18, v[4:5]
	v_lshrrev_b32_e32 v12, 3, v6
	v_sub_u32_e32 v16, 29, v16
	v_and_b32_e32 v18, 7, v18
	v_cmp_gt_u32_e32 vcc, 8, v6
	v_cndmask_b32_e32 v6, v12, v16, vcc
	v_cndmask_b32_e32 v8, v8, v18, vcc
	v_lshlrev_b32_e32 v12, 24, v4
	v_lshlrev_b32_e32 v8, 20, v8
	v_and_b32_e32 v12, 0x80000000, v12
	v_lshl_add_u32 v6, v6, 23, v10
	v_or3_b32 v6, v12, v6, v8
	v_lshrrev_b32_e32 v16, 16, v6
.LBB776_822:                            ;   in Loop: Header=BB776_794 Depth=1
	s_or_b64 exec, exec, s[18:19]
.LBB776_823:                            ;   in Loop: Header=BB776_794 Depth=1
	s_or_b64 exec, exec, s[16:17]
.LBB776_824:                            ;   in Loop: Header=BB776_794 Depth=1
	s_or_b64 exec, exec, s[14:15]
	v_lshrrev_b16_e32 v6, 8, v4
	v_cmp_ne_u16_e32 vcc, 0, v6
	v_mov_b32_e32 v18, 0
	v_mov_b32_e32 v8, 0
	s_and_saveexec_b64 s[14:15], vcc
	s_cbranch_execz .LBB776_830
; %bb.825:                              ;   in Loop: Header=BB776_794 Depth=1
	v_cmp_ne_u16_e32 vcc, s21, v6
	v_mov_b32_e32 v8, 0xffff8000
	s_and_saveexec_b64 s[16:17], vcc
	s_cbranch_execz .LBB776_829
; %bb.826:                              ;   in Loop: Header=BB776_794 Depth=1
	v_and_b32_e32 v12, 0x7f, v6
	v_cmp_ne_u32_e32 vcc, s23, v12
	v_mov_b32_e32 v8, 0x7f80
	s_and_saveexec_b64 s[18:19], vcc
	s_cbranch_execz .LBB776_828
; %bb.827:                              ;   in Loop: Header=BB776_794 Depth=1
	v_and_b32_e32 v8, 7, v6
	v_ffbh_u32_e32 v20, v8
	v_min_u32_e32 v22, 32, v20
	v_subrev_u32_e32 v20, 28, v22
	v_lshlrev_b64 v[20:21], v20, v[6:7]
	v_lshrrev_b32_e32 v19, 3, v12
	v_sub_u32_e32 v6, 29, v22
	v_and_b32_e32 v20, 7, v20
	v_cmp_gt_u32_e32 vcc, 8, v12
	v_cndmask_b32_e32 v6, v19, v6, vcc
	v_cndmask_b32_e32 v8, v8, v20, vcc
	v_lshlrev_b32_e32 v12, 16, v4
	v_lshlrev_b32_e32 v8, 20, v8
	v_and_b32_e32 v12, 0x80000000, v12
	v_lshl_add_u32 v6, v6, 23, v10
	v_or3_b32 v6, v12, v6, v8
	v_lshrrev_b32_e32 v8, 16, v6
.LBB776_828:                            ;   in Loop: Header=BB776_794 Depth=1
	s_or_b64 exec, exec, s[18:19]
.LBB776_829:                            ;   in Loop: Header=BB776_794 Depth=1
	s_or_b64 exec, exec, s[16:17]
.LBB776_830:                            ;   in Loop: Header=BB776_794 Depth=1
	s_or_b64 exec, exec, s[14:15]
	v_lshrrev_b32_e32 v6, 16, v4
	v_cmp_ne_u16_sdwa s[16:17], v6, v9 src0_sel:BYTE_0 src1_sel:DWORD
	s_and_saveexec_b64 s[14:15], s[16:17]
	s_cbranch_execz .LBB776_836
; %bb.831:                              ;   in Loop: Header=BB776_794 Depth=1
	v_cmp_ne_u16_sdwa s[18:19], v6, s21 src0_sel:BYTE_0 src1_sel:DWORD
	v_mov_b32_e32 v18, 0xffff8000
	s_and_saveexec_b64 s[16:17], s[18:19]
	s_cbranch_execz .LBB776_835
; %bb.832:                              ;   in Loop: Header=BB776_794 Depth=1
	v_bfe_u32 v12, v4, 16, 7
	v_cmp_ne_u32_e32 vcc, s23, v12
	v_mov_b32_e32 v18, 0x7f80
	s_and_saveexec_b64 s[18:19], vcc
	s_cbranch_execz .LBB776_834
; %bb.833:                              ;   in Loop: Header=BB776_794 Depth=1
	v_and_b32_e32 v20, 7, v6
	v_ffbh_u32_e32 v18, v20
	v_min_u32_e32 v22, 32, v18
	v_subrev_u32_e32 v18, 28, v22
	v_lshlrev_b64 v[18:19], v18, v[6:7]
	v_lshrrev_b32_e32 v21, 3, v12
	v_sub_u32_e32 v19, 29, v22
	v_and_b32_e32 v18, 7, v18
	v_cmp_gt_u32_e32 vcc, 8, v12
	v_cndmask_b32_e32 v12, v21, v19, vcc
	v_cndmask_b32_e32 v18, v20, v18, vcc
	v_lshlrev_b32_e32 v6, 24, v6
	v_lshlrev_b32_e32 v18, 20, v18
	v_and_b32_e32 v6, 0x80000000, v6
	v_lshl_add_u32 v12, v12, 23, v10
	v_or3_b32 v6, v6, v12, v18
	v_lshrrev_b32_e32 v18, 16, v6
.LBB776_834:                            ;   in Loop: Header=BB776_794 Depth=1
	s_or_b64 exec, exec, s[18:19]
.LBB776_835:                            ;   in Loop: Header=BB776_794 Depth=1
	s_or_b64 exec, exec, s[16:17]
.LBB776_836:                            ;   in Loop: Header=BB776_794 Depth=1
	s_or_b64 exec, exec, s[14:15]
	v_cmp_lt_u32_e32 vcc, s25, v4
	v_mov_b32_e32 v12, 0
	v_mov_b32_e32 v19, 0
	s_and_saveexec_b64 s[14:15], vcc
	s_cbranch_execz .LBB776_842
; %bb.837:                              ;   in Loop: Header=BB776_794 Depth=1
	v_lshrrev_b32_e32 v6, 24, v4
	v_cmp_ne_u32_e32 vcc, s21, v6
	v_mov_b32_e32 v19, 0xffff8000
	s_and_saveexec_b64 s[16:17], vcc
	s_cbranch_execz .LBB776_841
; %bb.838:                              ;   in Loop: Header=BB776_794 Depth=1
	v_bfe_u32 v4, v4, 24, 7
	v_cmp_ne_u32_e32 vcc, s23, v4
	v_mov_b32_e32 v19, 0x7f80
	s_and_saveexec_b64 s[18:19], vcc
	s_cbranch_execz .LBB776_840
; %bb.839:                              ;   in Loop: Header=BB776_794 Depth=1
	v_and_b32_e32 v19, 7, v6
	v_ffbh_u32_e32 v20, v19
	v_min_u32_e32 v23, 32, v20
	v_subrev_u32_e32 v20, 28, v23
	v_lshlrev_b64 v[20:21], v20, v[6:7]
	v_lshrrev_b32_e32 v22, 3, v4
	v_sub_u32_e32 v21, 29, v23
	v_and_b32_e32 v20, 7, v20
	v_cmp_gt_u32_e32 vcc, 8, v4
	v_cndmask_b32_e32 v4, v22, v21, vcc
	v_cndmask_b32_e32 v19, v19, v20, vcc
	v_lshlrev_b32_e32 v6, 24, v6
	v_lshlrev_b32_e32 v19, 20, v19
	v_and_b32_e32 v6, 0x80000000, v6
	v_lshl_add_u32 v4, v4, 23, v10
	v_or3_b32 v4, v6, v4, v19
	v_lshrrev_b32_e32 v19, 16, v4
.LBB776_840:                            ;   in Loop: Header=BB776_794 Depth=1
	s_or_b64 exec, exec, s[18:19]
.LBB776_841:                            ;   in Loop: Header=BB776_794 Depth=1
	s_or_b64 exec, exec, s[16:17]
.LBB776_842:                            ;   in Loop: Header=BB776_794 Depth=1
	s_or_b64 exec, exec, s[14:15]
	buffer_load_dword v6, v11, s[0:3], 0 offen offset:8
	buffer_load_dword v4, v11, s[0:3], 0 offen offset:12
	v_perm_b32 v15, v17, v15, s26
	v_perm_b32 v14, v14, v13, s26
	;; [unrolled: 1-line block ×4, first 2 shown]
	v_mfma_f32_4x4x4bf16_1k a[0:3], v[2:3], v[14:15], 0 cbsz:4
	s_waitcnt vmcnt(1)
	v_cmp_ne_u16_sdwa s[16:17], v6, v9 src0_sel:BYTE_0 src1_sel:DWORD
	v_mfma_f32_4x4x4bf16_1k a[0:3], v[2:3], v[16:17], a[0:3] cbsz:4 abid:1
	s_and_saveexec_b64 s[14:15], s[16:17]
	s_cbranch_execz .LBB776_848
; %bb.843:                              ;   in Loop: Header=BB776_794 Depth=1
	v_cmp_ne_u16_sdwa s[18:19], v6, s21 src0_sel:BYTE_0 src1_sel:DWORD
	v_mov_b32_e32 v12, 0xffff8000
	s_and_saveexec_b64 s[16:17], s[18:19]
	s_cbranch_execz .LBB776_847
; %bb.844:                              ;   in Loop: Header=BB776_794 Depth=1
	v_and_b32_e32 v8, 0x7f, v6
	v_cmp_ne_u32_e32 vcc, s23, v8
	v_mov_b32_e32 v12, 0x7f80
	s_and_saveexec_b64 s[18:19], vcc
	s_cbranch_execz .LBB776_846
; %bb.845:                              ;   in Loop: Header=BB776_794 Depth=1
	v_and_b32_e32 v14, 7, v6
	v_ffbh_u32_e32 v12, v14
	v_min_u32_e32 v16, 32, v12
	v_subrev_u32_e32 v12, 28, v16
	v_lshlrev_b64 v[12:13], v12, v[6:7]
	v_lshrrev_b32_e32 v15, 3, v8
	v_sub_u32_e32 v13, 29, v16
	v_and_b32_e32 v12, 7, v12
	v_cmp_gt_u32_e32 vcc, 8, v8
	v_cndmask_b32_e32 v8, v15, v13, vcc
	v_cndmask_b32_e32 v12, v14, v12, vcc
	v_lshlrev_b32_e32 v13, 24, v6
	v_lshlrev_b32_e32 v12, 20, v12
	v_and_b32_e32 v13, 0x80000000, v13
	v_lshl_add_u32 v8, v8, 23, v10
	v_or3_b32 v8, v13, v8, v12
	v_lshrrev_b32_e32 v12, 16, v8
.LBB776_846:                            ;   in Loop: Header=BB776_794 Depth=1
	s_or_b64 exec, exec, s[18:19]
.LBB776_847:                            ;   in Loop: Header=BB776_794 Depth=1
	s_or_b64 exec, exec, s[16:17]
.LBB776_848:                            ;   in Loop: Header=BB776_794 Depth=1
	s_or_b64 exec, exec, s[14:15]
	v_lshrrev_b16_e32 v8, 8, v6
	v_cmp_ne_u16_e32 vcc, 0, v8
	v_mov_b32_e32 v15, 0
	v_mov_b32_e32 v14, 0
	s_and_saveexec_b64 s[14:15], vcc
	s_cbranch_execz .LBB776_854
; %bb.849:                              ;   in Loop: Header=BB776_794 Depth=1
	v_cmp_ne_u16_e32 vcc, s21, v8
	v_mov_b32_e32 v14, 0xffff8000
	s_and_saveexec_b64 s[16:17], vcc
	s_cbranch_execz .LBB776_853
; %bb.850:                              ;   in Loop: Header=BB776_794 Depth=1
	v_and_b32_e32 v13, 0x7f, v8
	v_cmp_ne_u32_e32 vcc, s23, v13
	v_mov_b32_e32 v14, 0x7f80
	s_and_saveexec_b64 s[18:19], vcc
	s_cbranch_execz .LBB776_852
; %bb.851:                              ;   in Loop: Header=BB776_794 Depth=1
	v_and_b32_e32 v14, 7, v8
	v_ffbh_u32_e32 v16, v14
	v_min_u32_e32 v19, 32, v16
	v_subrev_u32_e32 v16, 28, v19
	v_lshlrev_b64 v[16:17], v16, v[8:9]
	v_lshrrev_b32_e32 v18, 3, v13
	v_sub_u32_e32 v8, 29, v19
	v_and_b32_e32 v16, 7, v16
	v_cmp_gt_u32_e32 vcc, 8, v13
	v_cndmask_b32_e32 v8, v18, v8, vcc
	v_cndmask_b32_e32 v13, v14, v16, vcc
	v_lshlrev_b32_e32 v14, 16, v6
	v_lshlrev_b32_e32 v13, 20, v13
	v_and_b32_e32 v14, 0x80000000, v14
	v_lshl_add_u32 v8, v8, 23, v10
	v_or3_b32 v8, v14, v8, v13
	v_lshrrev_b32_e32 v14, 16, v8
.LBB776_852:                            ;   in Loop: Header=BB776_794 Depth=1
	s_or_b64 exec, exec, s[18:19]
.LBB776_853:                            ;   in Loop: Header=BB776_794 Depth=1
	s_or_b64 exec, exec, s[16:17]
.LBB776_854:                            ;   in Loop: Header=BB776_794 Depth=1
	s_or_b64 exec, exec, s[14:15]
	v_lshrrev_b32_e32 v8, 16, v6
	v_cmp_ne_u16_sdwa s[16:17], v8, v9 src0_sel:BYTE_0 src1_sel:DWORD
	s_and_saveexec_b64 s[14:15], s[16:17]
	s_cbranch_execz .LBB776_860
; %bb.855:                              ;   in Loop: Header=BB776_794 Depth=1
	v_cmp_ne_u16_sdwa s[18:19], v8, s21 src0_sel:BYTE_0 src1_sel:DWORD
	v_mov_b32_e32 v15, 0xffff8000
	s_and_saveexec_b64 s[16:17], s[18:19]
	s_cbranch_execz .LBB776_859
; %bb.856:                              ;   in Loop: Header=BB776_794 Depth=1
	v_bfe_u32 v13, v6, 16, 7
	v_cmp_ne_u32_e32 vcc, s23, v13
	v_mov_b32_e32 v15, 0x7f80
	s_and_saveexec_b64 s[18:19], vcc
	s_cbranch_execz .LBB776_858
; %bb.857:                              ;   in Loop: Header=BB776_794 Depth=1
	v_and_b32_e32 v15, 7, v8
	v_ffbh_u32_e32 v16, v15
	v_min_u32_e32 v19, 32, v16
	v_subrev_u32_e32 v16, 28, v19
	v_lshlrev_b64 v[16:17], v16, v[8:9]
	v_lshrrev_b32_e32 v18, 3, v13
	v_sub_u32_e32 v17, 29, v19
	v_and_b32_e32 v16, 7, v16
	v_cmp_gt_u32_e32 vcc, 8, v13
	v_cndmask_b32_e32 v13, v18, v17, vcc
	v_cndmask_b32_e32 v15, v15, v16, vcc
	v_lshlrev_b32_e32 v8, 24, v8
	v_lshlrev_b32_e32 v15, 20, v15
	v_and_b32_e32 v8, 0x80000000, v8
	v_lshl_add_u32 v13, v13, 23, v10
	v_or3_b32 v8, v8, v13, v15
	v_lshrrev_b32_e32 v15, 16, v8
.LBB776_858:                            ;   in Loop: Header=BB776_794 Depth=1
	s_or_b64 exec, exec, s[18:19]
.LBB776_859:                            ;   in Loop: Header=BB776_794 Depth=1
	s_or_b64 exec, exec, s[16:17]
.LBB776_860:                            ;   in Loop: Header=BB776_794 Depth=1
	s_or_b64 exec, exec, s[14:15]
	v_cmp_lt_u32_e32 vcc, s25, v6
	v_mov_b32_e32 v16, 0
	v_mov_b32_e32 v17, 0
	s_and_saveexec_b64 s[14:15], vcc
	s_cbranch_execz .LBB776_866
; %bb.861:                              ;   in Loop: Header=BB776_794 Depth=1
	v_lshrrev_b32_e32 v8, 24, v6
	v_cmp_ne_u32_e32 vcc, s21, v8
	v_mov_b32_e32 v17, 0xffff8000
	s_and_saveexec_b64 s[16:17], vcc
	s_cbranch_execz .LBB776_865
; %bb.862:                              ;   in Loop: Header=BB776_794 Depth=1
	v_bfe_u32 v6, v6, 24, 7
	v_cmp_ne_u32_e32 vcc, s23, v6
	v_mov_b32_e32 v17, 0x7f80
	s_and_saveexec_b64 s[18:19], vcc
	s_cbranch_execz .LBB776_864
; %bb.863:                              ;   in Loop: Header=BB776_794 Depth=1
	v_and_b32_e32 v13, 7, v8
	v_ffbh_u32_e32 v18, v13
	v_min_u32_e32 v20, 32, v18
	v_subrev_u32_e32 v18, 28, v20
	v_lshlrev_b64 v[18:19], v18, v[8:9]
	v_lshrrev_b32_e32 v17, 3, v6
	v_sub_u32_e32 v19, 29, v20
	v_and_b32_e32 v18, 7, v18
	v_cmp_gt_u32_e32 vcc, 8, v6
	v_cndmask_b32_e32 v6, v17, v19, vcc
	v_cndmask_b32_e32 v13, v13, v18, vcc
	v_lshlrev_b32_e32 v8, 24, v8
	v_lshlrev_b32_e32 v13, 20, v13
	v_and_b32_e32 v8, 0x80000000, v8
	v_lshl_add_u32 v6, v6, 23, v10
	v_or3_b32 v6, v8, v6, v13
	v_lshrrev_b32_e32 v17, 16, v6
.LBB776_864:                            ;   in Loop: Header=BB776_794 Depth=1
	s_or_b64 exec, exec, s[18:19]
.LBB776_865:                            ;   in Loop: Header=BB776_794 Depth=1
	s_or_b64 exec, exec, s[16:17]
.LBB776_866:                            ;   in Loop: Header=BB776_794 Depth=1
	s_or_b64 exec, exec, s[14:15]
	s_waitcnt vmcnt(0)
	v_cmp_ne_u16_sdwa s[16:17], v4, v9 src0_sel:BYTE_0 src1_sel:DWORD
	s_and_saveexec_b64 s[14:15], s[16:17]
	s_cbranch_execz .LBB776_872
; %bb.867:                              ;   in Loop: Header=BB776_794 Depth=1
	v_cmp_ne_u16_sdwa s[18:19], v4, s21 src0_sel:BYTE_0 src1_sel:DWORD
	v_mov_b32_e32 v16, 0xffff8000
	s_and_saveexec_b64 s[16:17], s[18:19]
	s_cbranch_execz .LBB776_871
; %bb.868:                              ;   in Loop: Header=BB776_794 Depth=1
	v_and_b32_e32 v6, 0x7f, v4
	v_cmp_ne_u32_e32 vcc, s23, v6
	v_mov_b32_e32 v16, 0x7f80
	s_and_saveexec_b64 s[18:19], vcc
	s_cbranch_execz .LBB776_870
; %bb.869:                              ;   in Loop: Header=BB776_794 Depth=1
	v_and_b32_e32 v8, 7, v4
	v_ffbh_u32_e32 v16, v8
	v_min_u32_e32 v16, 32, v16
	v_subrev_u32_e32 v18, 28, v16
	v_lshlrev_b64 v[18:19], v18, v[4:5]
	v_lshrrev_b32_e32 v13, 3, v6
	v_sub_u32_e32 v16, 29, v16
	v_and_b32_e32 v18, 7, v18
	v_cmp_gt_u32_e32 vcc, 8, v6
	v_cndmask_b32_e32 v6, v13, v16, vcc
	v_cndmask_b32_e32 v8, v8, v18, vcc
	v_lshlrev_b32_e32 v13, 24, v4
	v_lshlrev_b32_e32 v8, 20, v8
	v_and_b32_e32 v13, 0x80000000, v13
	v_lshl_add_u32 v6, v6, 23, v10
	v_or3_b32 v6, v13, v6, v8
	v_lshrrev_b32_e32 v16, 16, v6
.LBB776_870:                            ;   in Loop: Header=BB776_794 Depth=1
	s_or_b64 exec, exec, s[18:19]
.LBB776_871:                            ;   in Loop: Header=BB776_794 Depth=1
	s_or_b64 exec, exec, s[16:17]
.LBB776_872:                            ;   in Loop: Header=BB776_794 Depth=1
	s_or_b64 exec, exec, s[14:15]
	v_lshrrev_b16_e32 v6, 8, v4
	v_cmp_ne_u16_e32 vcc, 0, v6
	v_mov_b32_e32 v18, 0
	v_mov_b32_e32 v8, 0
	s_and_saveexec_b64 s[14:15], vcc
	s_cbranch_execz .LBB776_878
; %bb.873:                              ;   in Loop: Header=BB776_794 Depth=1
	v_cmp_ne_u16_e32 vcc, s21, v6
	v_mov_b32_e32 v8, 0xffff8000
	s_and_saveexec_b64 s[16:17], vcc
	s_cbranch_execz .LBB776_877
; %bb.874:                              ;   in Loop: Header=BB776_794 Depth=1
	v_and_b32_e32 v13, 0x7f, v6
	v_cmp_ne_u32_e32 vcc, s23, v13
	v_mov_b32_e32 v8, 0x7f80
	s_and_saveexec_b64 s[18:19], vcc
	s_cbranch_execz .LBB776_876
; %bb.875:                              ;   in Loop: Header=BB776_794 Depth=1
	v_and_b32_e32 v8, 7, v6
	v_ffbh_u32_e32 v20, v8
	v_min_u32_e32 v22, 32, v20
	v_subrev_u32_e32 v20, 28, v22
	v_lshlrev_b64 v[20:21], v20, v[6:7]
	v_lshrrev_b32_e32 v19, 3, v13
	v_sub_u32_e32 v6, 29, v22
	v_and_b32_e32 v20, 7, v20
	v_cmp_gt_u32_e32 vcc, 8, v13
	v_cndmask_b32_e32 v6, v19, v6, vcc
	v_cndmask_b32_e32 v8, v8, v20, vcc
	v_lshlrev_b32_e32 v13, 16, v4
	v_lshlrev_b32_e32 v8, 20, v8
	v_and_b32_e32 v13, 0x80000000, v13
	v_lshl_add_u32 v6, v6, 23, v10
	v_or3_b32 v6, v13, v6, v8
	v_lshrrev_b32_e32 v8, 16, v6
.LBB776_876:                            ;   in Loop: Header=BB776_794 Depth=1
	s_or_b64 exec, exec, s[18:19]
.LBB776_877:                            ;   in Loop: Header=BB776_794 Depth=1
	s_or_b64 exec, exec, s[16:17]
.LBB776_878:                            ;   in Loop: Header=BB776_794 Depth=1
	s_or_b64 exec, exec, s[14:15]
	v_lshrrev_b32_e32 v6, 16, v4
	v_cmp_ne_u16_sdwa s[16:17], v6, v9 src0_sel:BYTE_0 src1_sel:DWORD
	s_and_saveexec_b64 s[14:15], s[16:17]
	s_cbranch_execz .LBB776_884
; %bb.879:                              ;   in Loop: Header=BB776_794 Depth=1
	v_cmp_ne_u16_sdwa s[18:19], v6, s21 src0_sel:BYTE_0 src1_sel:DWORD
	v_mov_b32_e32 v18, 0xffff8000
	s_and_saveexec_b64 s[16:17], s[18:19]
	s_cbranch_execz .LBB776_883
; %bb.880:                              ;   in Loop: Header=BB776_794 Depth=1
	v_bfe_u32 v13, v4, 16, 7
	v_cmp_ne_u32_e32 vcc, s23, v13
	v_mov_b32_e32 v18, 0x7f80
	s_and_saveexec_b64 s[18:19], vcc
	s_cbranch_execz .LBB776_882
; %bb.881:                              ;   in Loop: Header=BB776_794 Depth=1
	v_and_b32_e32 v20, 7, v6
	v_ffbh_u32_e32 v18, v20
	v_min_u32_e32 v22, 32, v18
	v_subrev_u32_e32 v18, 28, v22
	v_lshlrev_b64 v[18:19], v18, v[6:7]
	v_lshrrev_b32_e32 v21, 3, v13
	v_sub_u32_e32 v19, 29, v22
	v_and_b32_e32 v18, 7, v18
	v_cmp_gt_u32_e32 vcc, 8, v13
	v_cndmask_b32_e32 v13, v21, v19, vcc
	v_cndmask_b32_e32 v18, v20, v18, vcc
	v_lshlrev_b32_e32 v6, 24, v6
	v_lshlrev_b32_e32 v18, 20, v18
	v_and_b32_e32 v6, 0x80000000, v6
	v_lshl_add_u32 v13, v13, 23, v10
	v_or3_b32 v6, v6, v13, v18
	v_lshrrev_b32_e32 v18, 16, v6
.LBB776_882:                            ;   in Loop: Header=BB776_794 Depth=1
	s_or_b64 exec, exec, s[18:19]
.LBB776_883:                            ;   in Loop: Header=BB776_794 Depth=1
	s_or_b64 exec, exec, s[16:17]
.LBB776_884:                            ;   in Loop: Header=BB776_794 Depth=1
	s_or_b64 exec, exec, s[14:15]
	v_cmp_lt_u32_e32 vcc, s25, v4
	v_mov_b32_e32 v13, 0
	v_mov_b32_e32 v19, 0
	s_and_saveexec_b64 s[14:15], vcc
	s_cbranch_execz .LBB776_890
; %bb.885:                              ;   in Loop: Header=BB776_794 Depth=1
	v_lshrrev_b32_e32 v6, 24, v4
	v_cmp_ne_u32_e32 vcc, s21, v6
	v_mov_b32_e32 v19, 0xffff8000
	s_and_saveexec_b64 s[16:17], vcc
	s_cbranch_execz .LBB776_889
; %bb.886:                              ;   in Loop: Header=BB776_794 Depth=1
	v_bfe_u32 v4, v4, 24, 7
	v_cmp_ne_u32_e32 vcc, s23, v4
	v_mov_b32_e32 v19, 0x7f80
	s_and_saveexec_b64 s[18:19], vcc
	s_cbranch_execz .LBB776_888
; %bb.887:                              ;   in Loop: Header=BB776_794 Depth=1
	v_and_b32_e32 v19, 7, v6
	v_ffbh_u32_e32 v20, v19
	v_min_u32_e32 v23, 32, v20
	v_subrev_u32_e32 v20, 28, v23
	v_lshlrev_b64 v[20:21], v20, v[6:7]
	v_lshrrev_b32_e32 v22, 3, v4
	v_sub_u32_e32 v21, 29, v23
	v_and_b32_e32 v20, 7, v20
	v_cmp_gt_u32_e32 vcc, 8, v4
	v_cndmask_b32_e32 v4, v22, v21, vcc
	v_cndmask_b32_e32 v19, v19, v20, vcc
	v_lshlrev_b32_e32 v6, 24, v6
	v_lshlrev_b32_e32 v19, 20, v19
	v_and_b32_e32 v6, 0x80000000, v6
	v_lshl_add_u32 v4, v4, 23, v10
	v_or3_b32 v4, v6, v4, v19
	v_lshrrev_b32_e32 v19, 16, v4
.LBB776_888:                            ;   in Loop: Header=BB776_794 Depth=1
	s_or_b64 exec, exec, s[18:19]
.LBB776_889:                            ;   in Loop: Header=BB776_794 Depth=1
	s_or_b64 exec, exec, s[16:17]
.LBB776_890:                            ;   in Loop: Header=BB776_794 Depth=1
	s_or_b64 exec, exec, s[14:15]
	buffer_load_dword v6, v11, s[0:3], 0 offen offset:16
	buffer_load_dword v4, v11, s[0:3], 0 offen offset:20
	v_perm_b32 v15, v17, v15, s26
	v_perm_b32 v14, v14, v12, s26
	;; [unrolled: 1-line block ×4, first 2 shown]
	v_mfma_f32_4x4x4bf16_1k a[0:3], v[2:3], v[14:15], a[0:3] cbsz:4 abid:2
	s_waitcnt vmcnt(1)
	v_cmp_ne_u16_sdwa s[16:17], v6, v9 src0_sel:BYTE_0 src1_sel:DWORD
	v_mfma_f32_4x4x4bf16_1k a[0:3], v[2:3], v[16:17], a[0:3] cbsz:4 abid:3
	s_and_saveexec_b64 s[14:15], s[16:17]
	s_cbranch_execz .LBB776_896
; %bb.891:                              ;   in Loop: Header=BB776_794 Depth=1
	v_cmp_ne_u16_sdwa s[18:19], v6, s21 src0_sel:BYTE_0 src1_sel:DWORD
	v_mov_b32_e32 v13, 0xffff8000
	s_and_saveexec_b64 s[16:17], s[18:19]
	s_cbranch_execz .LBB776_895
; %bb.892:                              ;   in Loop: Header=BB776_794 Depth=1
	v_and_b32_e32 v8, 0x7f, v6
	v_cmp_ne_u32_e32 vcc, s23, v8
	v_mov_b32_e32 v13, 0x7f80
	s_and_saveexec_b64 s[18:19], vcc
	s_cbranch_execz .LBB776_894
; %bb.893:                              ;   in Loop: Header=BB776_794 Depth=1
	v_and_b32_e32 v14, 7, v6
	v_ffbh_u32_e32 v12, v14
	v_min_u32_e32 v16, 32, v12
	v_subrev_u32_e32 v12, 28, v16
	v_lshlrev_b64 v[12:13], v12, v[6:7]
	v_lshrrev_b32_e32 v15, 3, v8
	v_sub_u32_e32 v13, 29, v16
	v_and_b32_e32 v12, 7, v12
	v_cmp_gt_u32_e32 vcc, 8, v8
	v_cndmask_b32_e32 v8, v15, v13, vcc
	v_cndmask_b32_e32 v12, v14, v12, vcc
	v_lshlrev_b32_e32 v13, 24, v6
	v_lshlrev_b32_e32 v12, 20, v12
	v_and_b32_e32 v13, 0x80000000, v13
	v_lshl_add_u32 v8, v8, 23, v10
	v_or3_b32 v8, v13, v8, v12
	v_lshrrev_b32_e32 v13, 16, v8
.LBB776_894:                            ;   in Loop: Header=BB776_794 Depth=1
	s_or_b64 exec, exec, s[18:19]
.LBB776_895:                            ;   in Loop: Header=BB776_794 Depth=1
	s_or_b64 exec, exec, s[16:17]
.LBB776_896:                            ;   in Loop: Header=BB776_794 Depth=1
	s_or_b64 exec, exec, s[14:15]
	v_lshrrev_b16_e32 v8, 8, v6
	v_cmp_ne_u16_e32 vcc, 0, v8
	v_mov_b32_e32 v15, 0
	v_mov_b32_e32 v14, 0
	s_and_saveexec_b64 s[14:15], vcc
	s_cbranch_execz .LBB776_902
; %bb.897:                              ;   in Loop: Header=BB776_794 Depth=1
	v_cmp_ne_u16_e32 vcc, s21, v8
	v_mov_b32_e32 v14, 0xffff8000
	s_and_saveexec_b64 s[16:17], vcc
	s_cbranch_execz .LBB776_901
; %bb.898:                              ;   in Loop: Header=BB776_794 Depth=1
	v_and_b32_e32 v12, 0x7f, v8
	v_cmp_ne_u32_e32 vcc, s23, v12
	v_mov_b32_e32 v14, 0x7f80
	s_and_saveexec_b64 s[18:19], vcc
	s_cbranch_execz .LBB776_900
; %bb.899:                              ;   in Loop: Header=BB776_794 Depth=1
	v_and_b32_e32 v14, 7, v8
	v_ffbh_u32_e32 v16, v14
	v_min_u32_e32 v19, 32, v16
	v_subrev_u32_e32 v16, 28, v19
	v_lshlrev_b64 v[16:17], v16, v[8:9]
	v_lshrrev_b32_e32 v18, 3, v12
	v_sub_u32_e32 v8, 29, v19
	v_and_b32_e32 v16, 7, v16
	v_cmp_gt_u32_e32 vcc, 8, v12
	v_cndmask_b32_e32 v8, v18, v8, vcc
	v_cndmask_b32_e32 v12, v14, v16, vcc
	v_lshlrev_b32_e32 v14, 16, v6
	v_lshlrev_b32_e32 v12, 20, v12
	v_and_b32_e32 v14, 0x80000000, v14
	v_lshl_add_u32 v8, v8, 23, v10
	v_or3_b32 v8, v14, v8, v12
	v_lshrrev_b32_e32 v14, 16, v8
.LBB776_900:                            ;   in Loop: Header=BB776_794 Depth=1
	s_or_b64 exec, exec, s[18:19]
.LBB776_901:                            ;   in Loop: Header=BB776_794 Depth=1
	s_or_b64 exec, exec, s[16:17]
.LBB776_902:                            ;   in Loop: Header=BB776_794 Depth=1
	s_or_b64 exec, exec, s[14:15]
	v_lshrrev_b32_e32 v8, 16, v6
	v_cmp_ne_u16_sdwa s[16:17], v8, v9 src0_sel:BYTE_0 src1_sel:DWORD
	s_and_saveexec_b64 s[14:15], s[16:17]
	s_cbranch_execz .LBB776_908
; %bb.903:                              ;   in Loop: Header=BB776_794 Depth=1
	v_cmp_ne_u16_sdwa s[18:19], v8, s21 src0_sel:BYTE_0 src1_sel:DWORD
	v_mov_b32_e32 v15, 0xffff8000
	s_and_saveexec_b64 s[16:17], s[18:19]
	s_cbranch_execz .LBB776_907
; %bb.904:                              ;   in Loop: Header=BB776_794 Depth=1
	v_bfe_u32 v12, v6, 16, 7
	v_cmp_ne_u32_e32 vcc, s23, v12
	v_mov_b32_e32 v15, 0x7f80
	s_and_saveexec_b64 s[18:19], vcc
	s_cbranch_execz .LBB776_906
; %bb.905:                              ;   in Loop: Header=BB776_794 Depth=1
	v_and_b32_e32 v15, 7, v8
	v_ffbh_u32_e32 v16, v15
	v_min_u32_e32 v19, 32, v16
	v_subrev_u32_e32 v16, 28, v19
	v_lshlrev_b64 v[16:17], v16, v[8:9]
	v_lshrrev_b32_e32 v18, 3, v12
	v_sub_u32_e32 v17, 29, v19
	v_and_b32_e32 v16, 7, v16
	v_cmp_gt_u32_e32 vcc, 8, v12
	v_cndmask_b32_e32 v12, v18, v17, vcc
	v_cndmask_b32_e32 v15, v15, v16, vcc
	v_lshlrev_b32_e32 v8, 24, v8
	v_lshlrev_b32_e32 v15, 20, v15
	v_and_b32_e32 v8, 0x80000000, v8
	v_lshl_add_u32 v12, v12, 23, v10
	v_or3_b32 v8, v8, v12, v15
	v_lshrrev_b32_e32 v15, 16, v8
.LBB776_906:                            ;   in Loop: Header=BB776_794 Depth=1
	s_or_b64 exec, exec, s[18:19]
.LBB776_907:                            ;   in Loop: Header=BB776_794 Depth=1
	s_or_b64 exec, exec, s[16:17]
.LBB776_908:                            ;   in Loop: Header=BB776_794 Depth=1
	s_or_b64 exec, exec, s[14:15]
	v_cmp_lt_u32_e32 vcc, s25, v6
	v_mov_b32_e32 v16, 0
	v_mov_b32_e32 v17, 0
	s_and_saveexec_b64 s[14:15], vcc
	s_cbranch_execz .LBB776_914
; %bb.909:                              ;   in Loop: Header=BB776_794 Depth=1
	v_lshrrev_b32_e32 v8, 24, v6
	v_cmp_ne_u32_e32 vcc, s21, v8
	v_mov_b32_e32 v17, 0xffff8000
	s_and_saveexec_b64 s[16:17], vcc
	s_cbranch_execz .LBB776_913
; %bb.910:                              ;   in Loop: Header=BB776_794 Depth=1
	v_bfe_u32 v6, v6, 24, 7
	v_cmp_ne_u32_e32 vcc, s23, v6
	v_mov_b32_e32 v17, 0x7f80
	s_and_saveexec_b64 s[18:19], vcc
	s_cbranch_execz .LBB776_912
; %bb.911:                              ;   in Loop: Header=BB776_794 Depth=1
	v_and_b32_e32 v12, 7, v8
	v_ffbh_u32_e32 v18, v12
	v_min_u32_e32 v20, 32, v18
	v_subrev_u32_e32 v18, 28, v20
	v_lshlrev_b64 v[18:19], v18, v[8:9]
	v_lshrrev_b32_e32 v17, 3, v6
	v_sub_u32_e32 v19, 29, v20
	v_and_b32_e32 v18, 7, v18
	v_cmp_gt_u32_e32 vcc, 8, v6
	v_cndmask_b32_e32 v6, v17, v19, vcc
	v_cndmask_b32_e32 v12, v12, v18, vcc
	v_lshlrev_b32_e32 v8, 24, v8
	v_lshlrev_b32_e32 v12, 20, v12
	v_and_b32_e32 v8, 0x80000000, v8
	v_lshl_add_u32 v6, v6, 23, v10
	v_or3_b32 v6, v8, v6, v12
	v_lshrrev_b32_e32 v17, 16, v6
.LBB776_912:                            ;   in Loop: Header=BB776_794 Depth=1
	s_or_b64 exec, exec, s[18:19]
.LBB776_913:                            ;   in Loop: Header=BB776_794 Depth=1
	s_or_b64 exec, exec, s[16:17]
.LBB776_914:                            ;   in Loop: Header=BB776_794 Depth=1
	s_or_b64 exec, exec, s[14:15]
	s_waitcnt vmcnt(0)
	v_cmp_ne_u16_sdwa s[16:17], v4, v9 src0_sel:BYTE_0 src1_sel:DWORD
	s_and_saveexec_b64 s[14:15], s[16:17]
	s_cbranch_execz .LBB776_920
; %bb.915:                              ;   in Loop: Header=BB776_794 Depth=1
	v_cmp_ne_u16_sdwa s[18:19], v4, s21 src0_sel:BYTE_0 src1_sel:DWORD
	v_mov_b32_e32 v16, 0xffff8000
	s_and_saveexec_b64 s[16:17], s[18:19]
	s_cbranch_execz .LBB776_919
; %bb.916:                              ;   in Loop: Header=BB776_794 Depth=1
	v_and_b32_e32 v6, 0x7f, v4
	v_cmp_ne_u32_e32 vcc, s23, v6
	v_mov_b32_e32 v16, 0x7f80
	s_and_saveexec_b64 s[18:19], vcc
	s_cbranch_execz .LBB776_918
; %bb.917:                              ;   in Loop: Header=BB776_794 Depth=1
	v_and_b32_e32 v8, 7, v4
	v_ffbh_u32_e32 v16, v8
	v_min_u32_e32 v16, 32, v16
	v_subrev_u32_e32 v18, 28, v16
	v_lshlrev_b64 v[18:19], v18, v[4:5]
	v_lshrrev_b32_e32 v12, 3, v6
	v_sub_u32_e32 v16, 29, v16
	v_and_b32_e32 v18, 7, v18
	v_cmp_gt_u32_e32 vcc, 8, v6
	v_cndmask_b32_e32 v6, v12, v16, vcc
	v_cndmask_b32_e32 v8, v8, v18, vcc
	v_lshlrev_b32_e32 v12, 24, v4
	v_lshlrev_b32_e32 v8, 20, v8
	v_and_b32_e32 v12, 0x80000000, v12
	v_lshl_add_u32 v6, v6, 23, v10
	v_or3_b32 v6, v12, v6, v8
	v_lshrrev_b32_e32 v16, 16, v6
.LBB776_918:                            ;   in Loop: Header=BB776_794 Depth=1
	s_or_b64 exec, exec, s[18:19]
.LBB776_919:                            ;   in Loop: Header=BB776_794 Depth=1
	s_or_b64 exec, exec, s[16:17]
.LBB776_920:                            ;   in Loop: Header=BB776_794 Depth=1
	s_or_b64 exec, exec, s[14:15]
	v_lshrrev_b16_e32 v6, 8, v4
	v_cmp_ne_u16_e32 vcc, 0, v6
	v_mov_b32_e32 v18, 0
	v_mov_b32_e32 v8, 0
	s_and_saveexec_b64 s[14:15], vcc
	s_cbranch_execz .LBB776_926
; %bb.921:                              ;   in Loop: Header=BB776_794 Depth=1
	v_cmp_ne_u16_e32 vcc, s21, v6
	v_mov_b32_e32 v8, 0xffff8000
	s_and_saveexec_b64 s[16:17], vcc
	s_cbranch_execz .LBB776_925
; %bb.922:                              ;   in Loop: Header=BB776_794 Depth=1
	v_and_b32_e32 v12, 0x7f, v6
	v_cmp_ne_u32_e32 vcc, s23, v12
	v_mov_b32_e32 v8, 0x7f80
	s_and_saveexec_b64 s[18:19], vcc
	s_cbranch_execz .LBB776_924
; %bb.923:                              ;   in Loop: Header=BB776_794 Depth=1
	v_and_b32_e32 v8, 7, v6
	v_ffbh_u32_e32 v20, v8
	v_min_u32_e32 v22, 32, v20
	v_subrev_u32_e32 v20, 28, v22
	v_lshlrev_b64 v[20:21], v20, v[6:7]
	v_lshrrev_b32_e32 v19, 3, v12
	v_sub_u32_e32 v6, 29, v22
	v_and_b32_e32 v20, 7, v20
	v_cmp_gt_u32_e32 vcc, 8, v12
	v_cndmask_b32_e32 v6, v19, v6, vcc
	v_cndmask_b32_e32 v8, v8, v20, vcc
	v_lshlrev_b32_e32 v12, 16, v4
	v_lshlrev_b32_e32 v8, 20, v8
	v_and_b32_e32 v12, 0x80000000, v12
	v_lshl_add_u32 v6, v6, 23, v10
	v_or3_b32 v6, v12, v6, v8
	v_lshrrev_b32_e32 v8, 16, v6
.LBB776_924:                            ;   in Loop: Header=BB776_794 Depth=1
	s_or_b64 exec, exec, s[18:19]
.LBB776_925:                            ;   in Loop: Header=BB776_794 Depth=1
	s_or_b64 exec, exec, s[16:17]
.LBB776_926:                            ;   in Loop: Header=BB776_794 Depth=1
	s_or_b64 exec, exec, s[14:15]
	v_lshrrev_b32_e32 v6, 16, v4
	v_cmp_ne_u16_sdwa s[16:17], v6, v9 src0_sel:BYTE_0 src1_sel:DWORD
	s_and_saveexec_b64 s[14:15], s[16:17]
	s_cbranch_execz .LBB776_932
; %bb.927:                              ;   in Loop: Header=BB776_794 Depth=1
	v_cmp_ne_u16_sdwa s[18:19], v6, s21 src0_sel:BYTE_0 src1_sel:DWORD
	v_mov_b32_e32 v18, 0xffff8000
	s_and_saveexec_b64 s[16:17], s[18:19]
	s_cbranch_execz .LBB776_931
; %bb.928:                              ;   in Loop: Header=BB776_794 Depth=1
	v_bfe_u32 v12, v4, 16, 7
	v_cmp_ne_u32_e32 vcc, s23, v12
	v_mov_b32_e32 v18, 0x7f80
	s_and_saveexec_b64 s[18:19], vcc
	s_cbranch_execz .LBB776_930
; %bb.929:                              ;   in Loop: Header=BB776_794 Depth=1
	v_and_b32_e32 v20, 7, v6
	v_ffbh_u32_e32 v18, v20
	v_min_u32_e32 v22, 32, v18
	v_subrev_u32_e32 v18, 28, v22
	v_lshlrev_b64 v[18:19], v18, v[6:7]
	v_lshrrev_b32_e32 v21, 3, v12
	v_sub_u32_e32 v19, 29, v22
	v_and_b32_e32 v18, 7, v18
	v_cmp_gt_u32_e32 vcc, 8, v12
	v_cndmask_b32_e32 v12, v21, v19, vcc
	v_cndmask_b32_e32 v18, v20, v18, vcc
	v_lshlrev_b32_e32 v6, 24, v6
	v_lshlrev_b32_e32 v18, 20, v18
	v_and_b32_e32 v6, 0x80000000, v6
	v_lshl_add_u32 v12, v12, 23, v10
	v_or3_b32 v6, v6, v12, v18
	v_lshrrev_b32_e32 v18, 16, v6
.LBB776_930:                            ;   in Loop: Header=BB776_794 Depth=1
	s_or_b64 exec, exec, s[18:19]
.LBB776_931:                            ;   in Loop: Header=BB776_794 Depth=1
	s_or_b64 exec, exec, s[16:17]
.LBB776_932:                            ;   in Loop: Header=BB776_794 Depth=1
	s_or_b64 exec, exec, s[14:15]
	v_cmp_lt_u32_e32 vcc, s25, v4
	v_mov_b32_e32 v12, 0
	v_mov_b32_e32 v19, 0
	s_and_saveexec_b64 s[14:15], vcc
	s_cbranch_execz .LBB776_938
; %bb.933:                              ;   in Loop: Header=BB776_794 Depth=1
	v_lshrrev_b32_e32 v6, 24, v4
	v_cmp_ne_u32_e32 vcc, s21, v6
	v_mov_b32_e32 v19, 0xffff8000
	s_and_saveexec_b64 s[16:17], vcc
	s_cbranch_execz .LBB776_937
; %bb.934:                              ;   in Loop: Header=BB776_794 Depth=1
	v_bfe_u32 v4, v4, 24, 7
	v_cmp_ne_u32_e32 vcc, s23, v4
	v_mov_b32_e32 v19, 0x7f80
	s_and_saveexec_b64 s[18:19], vcc
	s_cbranch_execz .LBB776_936
; %bb.935:                              ;   in Loop: Header=BB776_794 Depth=1
	v_and_b32_e32 v19, 7, v6
	v_ffbh_u32_e32 v20, v19
	v_min_u32_e32 v23, 32, v20
	v_subrev_u32_e32 v20, 28, v23
	v_lshlrev_b64 v[20:21], v20, v[6:7]
	v_lshrrev_b32_e32 v22, 3, v4
	v_sub_u32_e32 v21, 29, v23
	v_and_b32_e32 v20, 7, v20
	v_cmp_gt_u32_e32 vcc, 8, v4
	v_cndmask_b32_e32 v4, v22, v21, vcc
	v_cndmask_b32_e32 v19, v19, v20, vcc
	v_lshlrev_b32_e32 v6, 24, v6
	v_lshlrev_b32_e32 v19, 20, v19
	v_and_b32_e32 v6, 0x80000000, v6
	v_lshl_add_u32 v4, v4, 23, v10
	v_or3_b32 v4, v6, v4, v19
	v_lshrrev_b32_e32 v19, 16, v4
.LBB776_936:                            ;   in Loop: Header=BB776_794 Depth=1
	s_or_b64 exec, exec, s[18:19]
.LBB776_937:                            ;   in Loop: Header=BB776_794 Depth=1
	s_or_b64 exec, exec, s[16:17]
.LBB776_938:                            ;   in Loop: Header=BB776_794 Depth=1
	s_or_b64 exec, exec, s[14:15]
	buffer_load_dword v6, v11, s[0:3], 0 offen offset:24
	buffer_load_dword v4, v11, s[0:3], 0 offen offset:28
	v_perm_b32 v15, v17, v15, s26
	v_perm_b32 v14, v14, v13, s26
	;; [unrolled: 1-line block ×4, first 2 shown]
	v_mfma_f32_4x4x4bf16_1k a[0:3], v[2:3], v[14:15], a[0:3] cbsz:4 abid:4
	s_waitcnt vmcnt(1)
	v_cmp_ne_u16_sdwa s[16:17], v6, v9 src0_sel:BYTE_0 src1_sel:DWORD
	v_mfma_f32_4x4x4bf16_1k a[0:3], v[2:3], v[16:17], a[0:3] cbsz:4 abid:5
	s_and_saveexec_b64 s[14:15], s[16:17]
	s_cbranch_execz .LBB776_944
; %bb.939:                              ;   in Loop: Header=BB776_794 Depth=1
	v_cmp_ne_u16_sdwa s[18:19], v6, s21 src0_sel:BYTE_0 src1_sel:DWORD
	v_mov_b32_e32 v12, 0xffff8000
	s_and_saveexec_b64 s[16:17], s[18:19]
	s_cbranch_execz .LBB776_943
; %bb.940:                              ;   in Loop: Header=BB776_794 Depth=1
	v_and_b32_e32 v8, 0x7f, v6
	v_cmp_ne_u32_e32 vcc, s23, v8
	v_mov_b32_e32 v12, 0x7f80
	s_and_saveexec_b64 s[18:19], vcc
	s_cbranch_execz .LBB776_942
; %bb.941:                              ;   in Loop: Header=BB776_794 Depth=1
	v_and_b32_e32 v14, 7, v6
	v_ffbh_u32_e32 v12, v14
	v_min_u32_e32 v16, 32, v12
	v_subrev_u32_e32 v12, 28, v16
	v_lshlrev_b64 v[12:13], v12, v[6:7]
	v_lshrrev_b32_e32 v15, 3, v8
	v_sub_u32_e32 v13, 29, v16
	v_and_b32_e32 v12, 7, v12
	v_cmp_gt_u32_e32 vcc, 8, v8
	v_cndmask_b32_e32 v8, v15, v13, vcc
	v_cndmask_b32_e32 v12, v14, v12, vcc
	v_lshlrev_b32_e32 v13, 24, v6
	v_lshlrev_b32_e32 v12, 20, v12
	v_and_b32_e32 v13, 0x80000000, v13
	v_lshl_add_u32 v8, v8, 23, v10
	v_or3_b32 v8, v13, v8, v12
	v_lshrrev_b32_e32 v12, 16, v8
.LBB776_942:                            ;   in Loop: Header=BB776_794 Depth=1
	s_or_b64 exec, exec, s[18:19]
.LBB776_943:                            ;   in Loop: Header=BB776_794 Depth=1
	s_or_b64 exec, exec, s[16:17]
.LBB776_944:                            ;   in Loop: Header=BB776_794 Depth=1
	s_or_b64 exec, exec, s[14:15]
	v_lshrrev_b16_e32 v8, 8, v6
	v_cmp_ne_u16_e32 vcc, 0, v8
	v_mov_b32_e32 v15, 0
	v_mov_b32_e32 v14, 0
	s_and_saveexec_b64 s[14:15], vcc
	s_cbranch_execz .LBB776_950
; %bb.945:                              ;   in Loop: Header=BB776_794 Depth=1
	v_cmp_ne_u16_e32 vcc, s21, v8
	v_mov_b32_e32 v14, 0xffff8000
	s_and_saveexec_b64 s[16:17], vcc
	s_cbranch_execz .LBB776_949
; %bb.946:                              ;   in Loop: Header=BB776_794 Depth=1
	v_and_b32_e32 v13, 0x7f, v8
	v_cmp_ne_u32_e32 vcc, s23, v13
	v_mov_b32_e32 v14, 0x7f80
	s_and_saveexec_b64 s[18:19], vcc
	s_cbranch_execz .LBB776_948
; %bb.947:                              ;   in Loop: Header=BB776_794 Depth=1
	v_and_b32_e32 v14, 7, v8
	v_ffbh_u32_e32 v16, v14
	v_min_u32_e32 v19, 32, v16
	v_subrev_u32_e32 v16, 28, v19
	v_lshlrev_b64 v[16:17], v16, v[8:9]
	v_lshrrev_b32_e32 v18, 3, v13
	v_sub_u32_e32 v8, 29, v19
	v_and_b32_e32 v16, 7, v16
	v_cmp_gt_u32_e32 vcc, 8, v13
	v_cndmask_b32_e32 v8, v18, v8, vcc
	v_cndmask_b32_e32 v13, v14, v16, vcc
	v_lshlrev_b32_e32 v14, 16, v6
	v_lshlrev_b32_e32 v13, 20, v13
	v_and_b32_e32 v14, 0x80000000, v14
	v_lshl_add_u32 v8, v8, 23, v10
	v_or3_b32 v8, v14, v8, v13
	v_lshrrev_b32_e32 v14, 16, v8
.LBB776_948:                            ;   in Loop: Header=BB776_794 Depth=1
	s_or_b64 exec, exec, s[18:19]
.LBB776_949:                            ;   in Loop: Header=BB776_794 Depth=1
	s_or_b64 exec, exec, s[16:17]
.LBB776_950:                            ;   in Loop: Header=BB776_794 Depth=1
	s_or_b64 exec, exec, s[14:15]
	v_lshrrev_b32_e32 v8, 16, v6
	v_cmp_ne_u16_sdwa s[16:17], v8, v9 src0_sel:BYTE_0 src1_sel:DWORD
	s_and_saveexec_b64 s[14:15], s[16:17]
	s_cbranch_execz .LBB776_956
; %bb.951:                              ;   in Loop: Header=BB776_794 Depth=1
	v_cmp_ne_u16_sdwa s[18:19], v8, s21 src0_sel:BYTE_0 src1_sel:DWORD
	v_mov_b32_e32 v15, 0xffff8000
	s_and_saveexec_b64 s[16:17], s[18:19]
	s_cbranch_execz .LBB776_955
; %bb.952:                              ;   in Loop: Header=BB776_794 Depth=1
	v_bfe_u32 v13, v6, 16, 7
	v_cmp_ne_u32_e32 vcc, s23, v13
	v_mov_b32_e32 v15, 0x7f80
	s_and_saveexec_b64 s[18:19], vcc
	s_cbranch_execz .LBB776_954
; %bb.953:                              ;   in Loop: Header=BB776_794 Depth=1
	v_and_b32_e32 v15, 7, v8
	v_ffbh_u32_e32 v16, v15
	v_min_u32_e32 v19, 32, v16
	v_subrev_u32_e32 v16, 28, v19
	v_lshlrev_b64 v[16:17], v16, v[8:9]
	v_lshrrev_b32_e32 v18, 3, v13
	v_sub_u32_e32 v17, 29, v19
	v_and_b32_e32 v16, 7, v16
	v_cmp_gt_u32_e32 vcc, 8, v13
	v_cndmask_b32_e32 v13, v18, v17, vcc
	v_cndmask_b32_e32 v15, v15, v16, vcc
	v_lshlrev_b32_e32 v8, 24, v8
	v_lshlrev_b32_e32 v15, 20, v15
	v_and_b32_e32 v8, 0x80000000, v8
	v_lshl_add_u32 v13, v13, 23, v10
	v_or3_b32 v8, v8, v13, v15
	v_lshrrev_b32_e32 v15, 16, v8
.LBB776_954:                            ;   in Loop: Header=BB776_794 Depth=1
	s_or_b64 exec, exec, s[18:19]
.LBB776_955:                            ;   in Loop: Header=BB776_794 Depth=1
	s_or_b64 exec, exec, s[16:17]
.LBB776_956:                            ;   in Loop: Header=BB776_794 Depth=1
	s_or_b64 exec, exec, s[14:15]
	v_cmp_lt_u32_e32 vcc, s25, v6
	v_mov_b32_e32 v16, 0
	v_mov_b32_e32 v17, 0
	s_and_saveexec_b64 s[14:15], vcc
	s_cbranch_execz .LBB776_962
; %bb.957:                              ;   in Loop: Header=BB776_794 Depth=1
	v_lshrrev_b32_e32 v8, 24, v6
	v_cmp_ne_u32_e32 vcc, s21, v8
	v_mov_b32_e32 v17, 0xffff8000
	s_and_saveexec_b64 s[16:17], vcc
	s_cbranch_execz .LBB776_961
; %bb.958:                              ;   in Loop: Header=BB776_794 Depth=1
	v_bfe_u32 v6, v6, 24, 7
	v_cmp_ne_u32_e32 vcc, s23, v6
	v_mov_b32_e32 v17, 0x7f80
	s_and_saveexec_b64 s[18:19], vcc
	s_cbranch_execz .LBB776_960
; %bb.959:                              ;   in Loop: Header=BB776_794 Depth=1
	v_and_b32_e32 v13, 7, v8
	v_ffbh_u32_e32 v18, v13
	v_min_u32_e32 v20, 32, v18
	v_subrev_u32_e32 v18, 28, v20
	v_lshlrev_b64 v[18:19], v18, v[8:9]
	v_lshrrev_b32_e32 v17, 3, v6
	v_sub_u32_e32 v19, 29, v20
	v_and_b32_e32 v18, 7, v18
	v_cmp_gt_u32_e32 vcc, 8, v6
	v_cndmask_b32_e32 v6, v17, v19, vcc
	v_cndmask_b32_e32 v13, v13, v18, vcc
	v_lshlrev_b32_e32 v8, 24, v8
	v_lshlrev_b32_e32 v13, 20, v13
	v_and_b32_e32 v8, 0x80000000, v8
	v_lshl_add_u32 v6, v6, 23, v10
	v_or3_b32 v6, v8, v6, v13
	v_lshrrev_b32_e32 v17, 16, v6
.LBB776_960:                            ;   in Loop: Header=BB776_794 Depth=1
	s_or_b64 exec, exec, s[18:19]
.LBB776_961:                            ;   in Loop: Header=BB776_794 Depth=1
	s_or_b64 exec, exec, s[16:17]
.LBB776_962:                            ;   in Loop: Header=BB776_794 Depth=1
	s_or_b64 exec, exec, s[14:15]
	s_waitcnt vmcnt(0)
	v_cmp_ne_u16_sdwa s[16:17], v4, v9 src0_sel:BYTE_0 src1_sel:DWORD
	s_and_saveexec_b64 s[14:15], s[16:17]
	s_cbranch_execz .LBB776_968
; %bb.963:                              ;   in Loop: Header=BB776_794 Depth=1
	v_cmp_ne_u16_sdwa s[18:19], v4, s21 src0_sel:BYTE_0 src1_sel:DWORD
	v_mov_b32_e32 v16, 0xffff8000
	s_and_saveexec_b64 s[16:17], s[18:19]
	s_cbranch_execz .LBB776_967
; %bb.964:                              ;   in Loop: Header=BB776_794 Depth=1
	v_and_b32_e32 v6, 0x7f, v4
	v_cmp_ne_u32_e32 vcc, s23, v6
	v_mov_b32_e32 v16, 0x7f80
	s_and_saveexec_b64 s[18:19], vcc
	s_cbranch_execz .LBB776_966
; %bb.965:                              ;   in Loop: Header=BB776_794 Depth=1
	v_and_b32_e32 v8, 7, v4
	v_ffbh_u32_e32 v16, v8
	v_min_u32_e32 v16, 32, v16
	v_subrev_u32_e32 v18, 28, v16
	v_lshlrev_b64 v[18:19], v18, v[4:5]
	v_lshrrev_b32_e32 v13, 3, v6
	v_sub_u32_e32 v16, 29, v16
	v_and_b32_e32 v18, 7, v18
	v_cmp_gt_u32_e32 vcc, 8, v6
	v_cndmask_b32_e32 v6, v13, v16, vcc
	v_cndmask_b32_e32 v8, v8, v18, vcc
	v_lshlrev_b32_e32 v13, 24, v4
	v_lshlrev_b32_e32 v8, 20, v8
	v_and_b32_e32 v13, 0x80000000, v13
	v_lshl_add_u32 v6, v6, 23, v10
	v_or3_b32 v6, v13, v6, v8
	v_lshrrev_b32_e32 v16, 16, v6
.LBB776_966:                            ;   in Loop: Header=BB776_794 Depth=1
	s_or_b64 exec, exec, s[18:19]
.LBB776_967:                            ;   in Loop: Header=BB776_794 Depth=1
	s_or_b64 exec, exec, s[16:17]
.LBB776_968:                            ;   in Loop: Header=BB776_794 Depth=1
	s_or_b64 exec, exec, s[14:15]
	v_lshrrev_b16_e32 v6, 8, v4
	v_cmp_ne_u16_e32 vcc, 0, v6
	v_mov_b32_e32 v18, 0
	v_mov_b32_e32 v8, 0
	s_and_saveexec_b64 s[14:15], vcc
	s_cbranch_execz .LBB776_974
; %bb.969:                              ;   in Loop: Header=BB776_794 Depth=1
	v_cmp_ne_u16_e32 vcc, s21, v6
	v_mov_b32_e32 v8, 0xffff8000
	s_and_saveexec_b64 s[16:17], vcc
	s_cbranch_execz .LBB776_973
; %bb.970:                              ;   in Loop: Header=BB776_794 Depth=1
	v_and_b32_e32 v13, 0x7f, v6
	v_cmp_ne_u32_e32 vcc, s23, v13
	v_mov_b32_e32 v8, 0x7f80
	s_and_saveexec_b64 s[18:19], vcc
	s_cbranch_execz .LBB776_972
; %bb.971:                              ;   in Loop: Header=BB776_794 Depth=1
	v_and_b32_e32 v8, 7, v6
	v_ffbh_u32_e32 v20, v8
	v_min_u32_e32 v22, 32, v20
	v_subrev_u32_e32 v20, 28, v22
	v_lshlrev_b64 v[20:21], v20, v[6:7]
	v_lshrrev_b32_e32 v19, 3, v13
	v_sub_u32_e32 v6, 29, v22
	v_and_b32_e32 v20, 7, v20
	v_cmp_gt_u32_e32 vcc, 8, v13
	v_cndmask_b32_e32 v6, v19, v6, vcc
	v_cndmask_b32_e32 v8, v8, v20, vcc
	v_lshlrev_b32_e32 v13, 16, v4
	v_lshlrev_b32_e32 v8, 20, v8
	v_and_b32_e32 v13, 0x80000000, v13
	v_lshl_add_u32 v6, v6, 23, v10
	v_or3_b32 v6, v13, v6, v8
	v_lshrrev_b32_e32 v8, 16, v6
.LBB776_972:                            ;   in Loop: Header=BB776_794 Depth=1
	s_or_b64 exec, exec, s[18:19]
.LBB776_973:                            ;   in Loop: Header=BB776_794 Depth=1
	s_or_b64 exec, exec, s[16:17]
.LBB776_974:                            ;   in Loop: Header=BB776_794 Depth=1
	s_or_b64 exec, exec, s[14:15]
	v_lshrrev_b32_e32 v6, 16, v4
	v_cmp_ne_u16_sdwa s[16:17], v6, v9 src0_sel:BYTE_0 src1_sel:DWORD
	s_and_saveexec_b64 s[14:15], s[16:17]
	s_cbranch_execz .LBB776_980
; %bb.975:                              ;   in Loop: Header=BB776_794 Depth=1
	v_cmp_ne_u16_sdwa s[18:19], v6, s21 src0_sel:BYTE_0 src1_sel:DWORD
	v_mov_b32_e32 v18, 0xffff8000
	s_and_saveexec_b64 s[16:17], s[18:19]
	s_cbranch_execz .LBB776_979
; %bb.976:                              ;   in Loop: Header=BB776_794 Depth=1
	v_bfe_u32 v13, v4, 16, 7
	v_cmp_ne_u32_e32 vcc, s23, v13
	v_mov_b32_e32 v18, 0x7f80
	s_and_saveexec_b64 s[18:19], vcc
	s_cbranch_execz .LBB776_978
; %bb.977:                              ;   in Loop: Header=BB776_794 Depth=1
	v_and_b32_e32 v20, 7, v6
	v_ffbh_u32_e32 v18, v20
	v_min_u32_e32 v22, 32, v18
	v_subrev_u32_e32 v18, 28, v22
	v_lshlrev_b64 v[18:19], v18, v[6:7]
	v_lshrrev_b32_e32 v21, 3, v13
	v_sub_u32_e32 v19, 29, v22
	v_and_b32_e32 v18, 7, v18
	v_cmp_gt_u32_e32 vcc, 8, v13
	v_cndmask_b32_e32 v13, v21, v19, vcc
	v_cndmask_b32_e32 v18, v20, v18, vcc
	v_lshlrev_b32_e32 v6, 24, v6
	v_lshlrev_b32_e32 v18, 20, v18
	v_and_b32_e32 v6, 0x80000000, v6
	v_lshl_add_u32 v13, v13, 23, v10
	v_or3_b32 v6, v6, v13, v18
	v_lshrrev_b32_e32 v18, 16, v6
.LBB776_978:                            ;   in Loop: Header=BB776_794 Depth=1
	s_or_b64 exec, exec, s[18:19]
.LBB776_979:                            ;   in Loop: Header=BB776_794 Depth=1
	s_or_b64 exec, exec, s[16:17]
.LBB776_980:                            ;   in Loop: Header=BB776_794 Depth=1
	s_or_b64 exec, exec, s[14:15]
	v_cmp_lt_u32_e32 vcc, s25, v4
	v_mov_b32_e32 v13, 0
	v_mov_b32_e32 v19, 0
	s_and_saveexec_b64 s[14:15], vcc
	s_cbranch_execz .LBB776_986
; %bb.981:                              ;   in Loop: Header=BB776_794 Depth=1
	v_lshrrev_b32_e32 v6, 24, v4
	v_cmp_ne_u32_e32 vcc, s21, v6
	v_mov_b32_e32 v19, 0xffff8000
	s_and_saveexec_b64 s[16:17], vcc
	s_cbranch_execz .LBB776_985
; %bb.982:                              ;   in Loop: Header=BB776_794 Depth=1
	v_bfe_u32 v4, v4, 24, 7
	v_cmp_ne_u32_e32 vcc, s23, v4
	v_mov_b32_e32 v19, 0x7f80
	s_and_saveexec_b64 s[18:19], vcc
	s_cbranch_execz .LBB776_984
; %bb.983:                              ;   in Loop: Header=BB776_794 Depth=1
	v_and_b32_e32 v19, 7, v6
	v_ffbh_u32_e32 v20, v19
	v_min_u32_e32 v23, 32, v20
	v_subrev_u32_e32 v20, 28, v23
	v_lshlrev_b64 v[20:21], v20, v[6:7]
	v_lshrrev_b32_e32 v22, 3, v4
	v_sub_u32_e32 v21, 29, v23
	v_and_b32_e32 v20, 7, v20
	v_cmp_gt_u32_e32 vcc, 8, v4
	v_cndmask_b32_e32 v4, v22, v21, vcc
	v_cndmask_b32_e32 v19, v19, v20, vcc
	v_lshlrev_b32_e32 v6, 24, v6
	v_lshlrev_b32_e32 v19, 20, v19
	v_and_b32_e32 v6, 0x80000000, v6
	v_lshl_add_u32 v4, v4, 23, v10
	v_or3_b32 v4, v6, v4, v19
	v_lshrrev_b32_e32 v19, 16, v4
.LBB776_984:                            ;   in Loop: Header=BB776_794 Depth=1
	s_or_b64 exec, exec, s[18:19]
.LBB776_985:                            ;   in Loop: Header=BB776_794 Depth=1
	s_or_b64 exec, exec, s[16:17]
.LBB776_986:                            ;   in Loop: Header=BB776_794 Depth=1
	s_or_b64 exec, exec, s[14:15]
	buffer_load_dword v6, v11, s[0:3], 0 offen offset:32
	buffer_load_dword v4, v11, s[0:3], 0 offen offset:36
	v_perm_b32 v15, v17, v15, s26
	v_perm_b32 v14, v14, v12, s26
	;; [unrolled: 1-line block ×4, first 2 shown]
	v_mfma_f32_4x4x4bf16_1k a[0:3], v[2:3], v[14:15], a[0:3] cbsz:4 abid:6
	s_waitcnt vmcnt(1)
	v_cmp_ne_u16_sdwa s[16:17], v6, v9 src0_sel:BYTE_0 src1_sel:DWORD
	v_mfma_f32_4x4x4bf16_1k a[0:3], v[2:3], v[16:17], a[0:3] cbsz:4 abid:7
	s_and_saveexec_b64 s[14:15], s[16:17]
	s_cbranch_execz .LBB776_992
; %bb.987:                              ;   in Loop: Header=BB776_794 Depth=1
	v_cmp_ne_u16_sdwa s[18:19], v6, s21 src0_sel:BYTE_0 src1_sel:DWORD
	v_mov_b32_e32 v13, 0xffff8000
	s_and_saveexec_b64 s[16:17], s[18:19]
	s_cbranch_execz .LBB776_991
; %bb.988:                              ;   in Loop: Header=BB776_794 Depth=1
	v_and_b32_e32 v8, 0x7f, v6
	v_cmp_ne_u32_e32 vcc, s23, v8
	v_mov_b32_e32 v13, 0x7f80
	s_and_saveexec_b64 s[18:19], vcc
	s_cbranch_execz .LBB776_990
; %bb.989:                              ;   in Loop: Header=BB776_794 Depth=1
	v_and_b32_e32 v14, 7, v6
	v_ffbh_u32_e32 v12, v14
	v_min_u32_e32 v16, 32, v12
	v_subrev_u32_e32 v12, 28, v16
	v_lshlrev_b64 v[12:13], v12, v[6:7]
	v_lshrrev_b32_e32 v15, 3, v8
	v_sub_u32_e32 v13, 29, v16
	v_and_b32_e32 v12, 7, v12
	v_cmp_gt_u32_e32 vcc, 8, v8
	v_cndmask_b32_e32 v8, v15, v13, vcc
	v_cndmask_b32_e32 v12, v14, v12, vcc
	v_lshlrev_b32_e32 v13, 24, v6
	v_lshlrev_b32_e32 v12, 20, v12
	v_and_b32_e32 v13, 0x80000000, v13
	v_lshl_add_u32 v8, v8, 23, v10
	v_or3_b32 v8, v13, v8, v12
	v_lshrrev_b32_e32 v13, 16, v8
.LBB776_990:                            ;   in Loop: Header=BB776_794 Depth=1
	s_or_b64 exec, exec, s[18:19]
.LBB776_991:                            ;   in Loop: Header=BB776_794 Depth=1
	s_or_b64 exec, exec, s[16:17]
.LBB776_992:                            ;   in Loop: Header=BB776_794 Depth=1
	s_or_b64 exec, exec, s[14:15]
	v_lshrrev_b16_e32 v8, 8, v6
	v_cmp_ne_u16_e32 vcc, 0, v8
	v_mov_b32_e32 v15, 0
	v_mov_b32_e32 v12, 0
	s_and_saveexec_b64 s[14:15], vcc
	s_cbranch_execz .LBB776_998
; %bb.993:                              ;   in Loop: Header=BB776_794 Depth=1
	v_cmp_ne_u16_e32 vcc, s21, v8
	v_mov_b32_e32 v12, 0xffff8000
	s_and_saveexec_b64 s[16:17], vcc
	s_cbranch_execz .LBB776_997
; %bb.994:                              ;   in Loop: Header=BB776_794 Depth=1
	v_and_b32_e32 v14, 0x7f, v8
	v_cmp_ne_u32_e32 vcc, s23, v14
	v_mov_b32_e32 v12, 0x7f80
	s_and_saveexec_b64 s[18:19], vcc
	s_cbranch_execz .LBB776_996
; %bb.995:                              ;   in Loop: Header=BB776_794 Depth=1
	v_and_b32_e32 v12, 7, v8
	v_ffbh_u32_e32 v16, v12
	v_min_u32_e32 v19, 32, v16
	v_subrev_u32_e32 v16, 28, v19
	v_lshlrev_b64 v[16:17], v16, v[8:9]
	v_lshrrev_b32_e32 v18, 3, v14
	v_sub_u32_e32 v8, 29, v19
	v_and_b32_e32 v16, 7, v16
	v_cmp_gt_u32_e32 vcc, 8, v14
	v_cndmask_b32_e32 v8, v18, v8, vcc
	v_cndmask_b32_e32 v12, v12, v16, vcc
	v_lshlrev_b32_e32 v14, 16, v6
	v_lshlrev_b32_e32 v12, 20, v12
	v_and_b32_e32 v14, 0x80000000, v14
	v_lshl_add_u32 v8, v8, 23, v10
	v_or3_b32 v8, v14, v8, v12
	v_lshrrev_b32_e32 v12, 16, v8
.LBB776_996:                            ;   in Loop: Header=BB776_794 Depth=1
	s_or_b64 exec, exec, s[18:19]
.LBB776_997:                            ;   in Loop: Header=BB776_794 Depth=1
	s_or_b64 exec, exec, s[16:17]
.LBB776_998:                            ;   in Loop: Header=BB776_794 Depth=1
	s_or_b64 exec, exec, s[14:15]
	v_lshrrev_b32_e32 v8, 16, v6
	v_cmp_ne_u16_sdwa s[16:17], v8, v9 src0_sel:BYTE_0 src1_sel:DWORD
	s_and_saveexec_b64 s[14:15], s[16:17]
	s_cbranch_execz .LBB776_1004
; %bb.999:                              ;   in Loop: Header=BB776_794 Depth=1
	v_cmp_ne_u16_sdwa s[18:19], v8, s21 src0_sel:BYTE_0 src1_sel:DWORD
	v_mov_b32_e32 v15, 0xffff8000
	s_and_saveexec_b64 s[16:17], s[18:19]
	s_cbranch_execz .LBB776_1003
; %bb.1000:                             ;   in Loop: Header=BB776_794 Depth=1
	v_bfe_u32 v14, v6, 16, 7
	v_cmp_ne_u32_e32 vcc, s23, v14
	v_mov_b32_e32 v15, 0x7f80
	s_and_saveexec_b64 s[18:19], vcc
	s_cbranch_execz .LBB776_1002
; %bb.1001:                             ;   in Loop: Header=BB776_794 Depth=1
	v_and_b32_e32 v15, 7, v8
	v_ffbh_u32_e32 v16, v15
	v_min_u32_e32 v19, 32, v16
	v_subrev_u32_e32 v16, 28, v19
	v_lshlrev_b64 v[16:17], v16, v[8:9]
	v_lshrrev_b32_e32 v18, 3, v14
	v_sub_u32_e32 v17, 29, v19
	v_and_b32_e32 v16, 7, v16
	v_cmp_gt_u32_e32 vcc, 8, v14
	v_cndmask_b32_e32 v14, v18, v17, vcc
	v_cndmask_b32_e32 v15, v15, v16, vcc
	v_lshlrev_b32_e32 v8, 24, v8
	v_lshlrev_b32_e32 v15, 20, v15
	v_and_b32_e32 v8, 0x80000000, v8
	v_lshl_add_u32 v14, v14, 23, v10
	v_or3_b32 v8, v8, v14, v15
	v_lshrrev_b32_e32 v15, 16, v8
.LBB776_1002:                           ;   in Loop: Header=BB776_794 Depth=1
	s_or_b64 exec, exec, s[18:19]
.LBB776_1003:                           ;   in Loop: Header=BB776_794 Depth=1
	s_or_b64 exec, exec, s[16:17]
.LBB776_1004:                           ;   in Loop: Header=BB776_794 Depth=1
	s_or_b64 exec, exec, s[14:15]
	v_cmp_lt_u32_e32 vcc, s25, v6
	v_mov_b32_e32 v16, 0
	v_mov_b32_e32 v17, 0
	s_and_saveexec_b64 s[14:15], vcc
	s_cbranch_execz .LBB776_1010
; %bb.1005:                             ;   in Loop: Header=BB776_794 Depth=1
	v_lshrrev_b32_e32 v8, 24, v6
	v_cmp_ne_u32_e32 vcc, s21, v8
	v_mov_b32_e32 v17, 0xffff8000
	s_and_saveexec_b64 s[16:17], vcc
	s_cbranch_execz .LBB776_1009
; %bb.1006:                             ;   in Loop: Header=BB776_794 Depth=1
	v_bfe_u32 v6, v6, 24, 7
	v_cmp_ne_u32_e32 vcc, s23, v6
	v_mov_b32_e32 v17, 0x7f80
	s_and_saveexec_b64 s[18:19], vcc
	s_cbranch_execz .LBB776_1008
; %bb.1007:                             ;   in Loop: Header=BB776_794 Depth=1
	v_and_b32_e32 v14, 7, v8
	v_ffbh_u32_e32 v18, v14
	v_min_u32_e32 v20, 32, v18
	v_subrev_u32_e32 v18, 28, v20
	v_lshlrev_b64 v[18:19], v18, v[8:9]
	v_lshrrev_b32_e32 v17, 3, v6
	v_sub_u32_e32 v19, 29, v20
	v_and_b32_e32 v18, 7, v18
	v_cmp_gt_u32_e32 vcc, 8, v6
	v_cndmask_b32_e32 v6, v17, v19, vcc
	v_cndmask_b32_e32 v14, v14, v18, vcc
	v_lshlrev_b32_e32 v8, 24, v8
	v_lshlrev_b32_e32 v14, 20, v14
	v_and_b32_e32 v8, 0x80000000, v8
	v_lshl_add_u32 v6, v6, 23, v10
	v_or3_b32 v6, v8, v6, v14
	v_lshrrev_b32_e32 v17, 16, v6
.LBB776_1008:                           ;   in Loop: Header=BB776_794 Depth=1
	s_or_b64 exec, exec, s[18:19]
.LBB776_1009:                           ;   in Loop: Header=BB776_794 Depth=1
	s_or_b64 exec, exec, s[16:17]
.LBB776_1010:                           ;   in Loop: Header=BB776_794 Depth=1
	s_or_b64 exec, exec, s[14:15]
	s_waitcnt vmcnt(0)
	v_cmp_ne_u16_sdwa s[16:17], v4, v9 src0_sel:BYTE_0 src1_sel:DWORD
	s_and_saveexec_b64 s[14:15], s[16:17]
	s_cbranch_execz .LBB776_1016
; %bb.1011:                             ;   in Loop: Header=BB776_794 Depth=1
	v_cmp_ne_u16_sdwa s[18:19], v4, s21 src0_sel:BYTE_0 src1_sel:DWORD
	v_mov_b32_e32 v16, 0xffff8000
	s_and_saveexec_b64 s[16:17], s[18:19]
	s_cbranch_execz .LBB776_1015
; %bb.1012:                             ;   in Loop: Header=BB776_794 Depth=1
	v_and_b32_e32 v6, 0x7f, v4
	v_cmp_ne_u32_e32 vcc, s23, v6
	v_mov_b32_e32 v16, 0x7f80
	s_and_saveexec_b64 s[18:19], vcc
	s_cbranch_execz .LBB776_1014
; %bb.1013:                             ;   in Loop: Header=BB776_794 Depth=1
	v_and_b32_e32 v8, 7, v4
	v_ffbh_u32_e32 v16, v8
	v_min_u32_e32 v16, 32, v16
	v_subrev_u32_e32 v18, 28, v16
	v_lshlrev_b64 v[18:19], v18, v[4:5]
	v_lshrrev_b32_e32 v14, 3, v6
	v_sub_u32_e32 v16, 29, v16
	v_and_b32_e32 v18, 7, v18
	v_cmp_gt_u32_e32 vcc, 8, v6
	v_cndmask_b32_e32 v6, v14, v16, vcc
	v_cndmask_b32_e32 v8, v8, v18, vcc
	v_lshlrev_b32_e32 v14, 24, v4
	v_lshlrev_b32_e32 v8, 20, v8
	v_and_b32_e32 v14, 0x80000000, v14
	v_lshl_add_u32 v6, v6, 23, v10
	v_or3_b32 v6, v14, v6, v8
	v_lshrrev_b32_e32 v16, 16, v6
.LBB776_1014:                           ;   in Loop: Header=BB776_794 Depth=1
	s_or_b64 exec, exec, s[18:19]
.LBB776_1015:                           ;   in Loop: Header=BB776_794 Depth=1
	s_or_b64 exec, exec, s[16:17]
.LBB776_1016:                           ;   in Loop: Header=BB776_794 Depth=1
	s_or_b64 exec, exec, s[14:15]
	v_lshrrev_b16_e32 v6, 8, v4
	v_cmp_ne_u16_e32 vcc, 0, v6
	v_mov_b32_e32 v18, 0
	v_mov_b32_e32 v8, 0
	s_and_saveexec_b64 s[14:15], vcc
	s_cbranch_execz .LBB776_1022
; %bb.1017:                             ;   in Loop: Header=BB776_794 Depth=1
	v_cmp_ne_u16_e32 vcc, s21, v6
	v_mov_b32_e32 v8, 0xffff8000
	s_and_saveexec_b64 s[16:17], vcc
	s_cbranch_execz .LBB776_1021
; %bb.1018:                             ;   in Loop: Header=BB776_794 Depth=1
	v_and_b32_e32 v14, 0x7f, v6
	v_cmp_ne_u32_e32 vcc, s23, v14
	v_mov_b32_e32 v8, 0x7f80
	s_and_saveexec_b64 s[18:19], vcc
	s_cbranch_execz .LBB776_1020
; %bb.1019:                             ;   in Loop: Header=BB776_794 Depth=1
	v_and_b32_e32 v8, 7, v6
	v_ffbh_u32_e32 v20, v8
	v_min_u32_e32 v22, 32, v20
	v_subrev_u32_e32 v20, 28, v22
	v_lshlrev_b64 v[20:21], v20, v[6:7]
	v_lshrrev_b32_e32 v19, 3, v14
	v_sub_u32_e32 v6, 29, v22
	v_and_b32_e32 v20, 7, v20
	v_cmp_gt_u32_e32 vcc, 8, v14
	v_cndmask_b32_e32 v6, v19, v6, vcc
	v_cndmask_b32_e32 v8, v8, v20, vcc
	v_lshlrev_b32_e32 v14, 16, v4
	v_lshlrev_b32_e32 v8, 20, v8
	v_and_b32_e32 v14, 0x80000000, v14
	v_lshl_add_u32 v6, v6, 23, v10
	v_or3_b32 v6, v14, v6, v8
	v_lshrrev_b32_e32 v8, 16, v6
.LBB776_1020:                           ;   in Loop: Header=BB776_794 Depth=1
	s_or_b64 exec, exec, s[18:19]
.LBB776_1021:                           ;   in Loop: Header=BB776_794 Depth=1
	s_or_b64 exec, exec, s[16:17]
.LBB776_1022:                           ;   in Loop: Header=BB776_794 Depth=1
	s_or_b64 exec, exec, s[14:15]
	v_lshrrev_b32_e32 v6, 16, v4
	v_cmp_ne_u16_sdwa s[16:17], v6, v9 src0_sel:BYTE_0 src1_sel:DWORD
	s_and_saveexec_b64 s[14:15], s[16:17]
	s_cbranch_execz .LBB776_1028
; %bb.1023:                             ;   in Loop: Header=BB776_794 Depth=1
	v_cmp_ne_u16_sdwa s[18:19], v6, s21 src0_sel:BYTE_0 src1_sel:DWORD
	v_mov_b32_e32 v18, 0xffff8000
	s_and_saveexec_b64 s[16:17], s[18:19]
	s_cbranch_execz .LBB776_1027
; %bb.1024:                             ;   in Loop: Header=BB776_794 Depth=1
	v_bfe_u32 v14, v4, 16, 7
	v_cmp_ne_u32_e32 vcc, s23, v14
	v_mov_b32_e32 v18, 0x7f80
	s_and_saveexec_b64 s[18:19], vcc
	s_cbranch_execz .LBB776_1026
; %bb.1025:                             ;   in Loop: Header=BB776_794 Depth=1
	v_and_b32_e32 v20, 7, v6
	v_ffbh_u32_e32 v18, v20
	v_min_u32_e32 v22, 32, v18
	v_subrev_u32_e32 v18, 28, v22
	v_lshlrev_b64 v[18:19], v18, v[6:7]
	v_lshrrev_b32_e32 v21, 3, v14
	v_sub_u32_e32 v19, 29, v22
	v_and_b32_e32 v18, 7, v18
	v_cmp_gt_u32_e32 vcc, 8, v14
	v_cndmask_b32_e32 v14, v21, v19, vcc
	v_cndmask_b32_e32 v18, v20, v18, vcc
	v_lshlrev_b32_e32 v6, 24, v6
	v_lshlrev_b32_e32 v18, 20, v18
	v_and_b32_e32 v6, 0x80000000, v6
	v_lshl_add_u32 v14, v14, 23, v10
	v_or3_b32 v6, v6, v14, v18
	v_lshrrev_b32_e32 v18, 16, v6
.LBB776_1026:                           ;   in Loop: Header=BB776_794 Depth=1
	s_or_b64 exec, exec, s[18:19]
.LBB776_1027:                           ;   in Loop: Header=BB776_794 Depth=1
	s_or_b64 exec, exec, s[16:17]
.LBB776_1028:                           ;   in Loop: Header=BB776_794 Depth=1
	s_or_b64 exec, exec, s[14:15]
	v_cmp_lt_u32_e32 vcc, s25, v4
	v_mov_b32_e32 v14, 0
	v_mov_b32_e32 v19, 0
	s_and_saveexec_b64 s[14:15], vcc
	s_cbranch_execz .LBB776_1034
; %bb.1029:                             ;   in Loop: Header=BB776_794 Depth=1
	v_lshrrev_b32_e32 v6, 24, v4
	v_cmp_ne_u32_e32 vcc, s21, v6
	v_mov_b32_e32 v19, 0xffff8000
	s_and_saveexec_b64 s[16:17], vcc
	s_cbranch_execz .LBB776_1033
; %bb.1030:                             ;   in Loop: Header=BB776_794 Depth=1
	v_bfe_u32 v4, v4, 24, 7
	v_cmp_ne_u32_e32 vcc, s23, v4
	v_mov_b32_e32 v19, 0x7f80
	s_and_saveexec_b64 s[18:19], vcc
	s_cbranch_execz .LBB776_1032
; %bb.1031:                             ;   in Loop: Header=BB776_794 Depth=1
	v_and_b32_e32 v19, 7, v6
	v_ffbh_u32_e32 v20, v19
	v_min_u32_e32 v23, 32, v20
	v_subrev_u32_e32 v20, 28, v23
	v_lshlrev_b64 v[20:21], v20, v[6:7]
	v_lshrrev_b32_e32 v22, 3, v4
	v_sub_u32_e32 v21, 29, v23
	v_and_b32_e32 v20, 7, v20
	v_cmp_gt_u32_e32 vcc, 8, v4
	v_cndmask_b32_e32 v4, v22, v21, vcc
	v_cndmask_b32_e32 v19, v19, v20, vcc
	v_lshlrev_b32_e32 v6, 24, v6
	v_lshlrev_b32_e32 v19, 20, v19
	v_and_b32_e32 v6, 0x80000000, v6
	v_lshl_add_u32 v4, v4, 23, v10
	v_or3_b32 v4, v6, v4, v19
	v_lshrrev_b32_e32 v19, 16, v4
.LBB776_1032:                           ;   in Loop: Header=BB776_794 Depth=1
	s_or_b64 exec, exec, s[18:19]
.LBB776_1033:                           ;   in Loop: Header=BB776_794 Depth=1
	s_or_b64 exec, exec, s[16:17]
.LBB776_1034:                           ;   in Loop: Header=BB776_794 Depth=1
	s_or_b64 exec, exec, s[14:15]
	buffer_load_dword v6, v11, s[0:3], 0 offen offset:40
	buffer_load_dword v4, v11, s[0:3], 0 offen offset:44
	v_perm_b32 v21, v17, v15, s26
	v_perm_b32 v20, v12, v13, s26
	v_perm_b32 v13, v19, v18, s26
	v_perm_b32 v12, v8, v16, s26
	v_mfma_f32_4x4x4bf16_1k a[0:3], v[2:3], v[20:21], a[0:3] cbsz:4 abid:8
	s_waitcnt vmcnt(1)
	v_cmp_ne_u16_sdwa s[16:17], v6, v9 src0_sel:BYTE_0 src1_sel:DWORD
	v_mfma_f32_4x4x4bf16_1k a[0:3], v[2:3], v[12:13], a[0:3] cbsz:4 abid:9
	s_and_saveexec_b64 s[14:15], s[16:17]
	s_cbranch_execz .LBB776_1040
; %bb.1035:                             ;   in Loop: Header=BB776_794 Depth=1
	v_cmp_ne_u16_sdwa s[18:19], v6, s21 src0_sel:BYTE_0 src1_sel:DWORD
	v_mov_b32_e32 v14, 0xffff8000
	s_and_saveexec_b64 s[16:17], s[18:19]
	s_cbranch_execz .LBB776_1039
; %bb.1036:                             ;   in Loop: Header=BB776_794 Depth=1
	v_and_b32_e32 v8, 0x7f, v6
	v_cmp_ne_u32_e32 vcc, s23, v8
	v_mov_b32_e32 v14, 0x7f80
	s_and_saveexec_b64 s[18:19], vcc
	s_cbranch_execz .LBB776_1038
; %bb.1037:                             ;   in Loop: Header=BB776_794 Depth=1
	v_and_b32_e32 v14, 7, v6
	v_ffbh_u32_e32 v12, v14
	v_min_u32_e32 v16, 32, v12
	v_subrev_u32_e32 v12, 28, v16
	v_lshlrev_b64 v[12:13], v12, v[6:7]
	v_lshrrev_b32_e32 v15, 3, v8
	v_sub_u32_e32 v13, 29, v16
	v_and_b32_e32 v12, 7, v12
	v_cmp_gt_u32_e32 vcc, 8, v8
	v_cndmask_b32_e32 v8, v15, v13, vcc
	v_cndmask_b32_e32 v12, v14, v12, vcc
	v_lshlrev_b32_e32 v13, 24, v6
	v_lshlrev_b32_e32 v12, 20, v12
	v_and_b32_e32 v13, 0x80000000, v13
	v_lshl_add_u32 v8, v8, 23, v10
	v_or3_b32 v8, v13, v8, v12
	v_lshrrev_b32_e32 v14, 16, v8
.LBB776_1038:                           ;   in Loop: Header=BB776_794 Depth=1
	s_or_b64 exec, exec, s[18:19]
.LBB776_1039:                           ;   in Loop: Header=BB776_794 Depth=1
	s_or_b64 exec, exec, s[16:17]
.LBB776_1040:                           ;   in Loop: Header=BB776_794 Depth=1
	s_or_b64 exec, exec, s[14:15]
	v_lshrrev_b16_e32 v8, 8, v6
	v_cmp_ne_u16_e32 vcc, 0, v8
	v_mov_b32_e32 v15, 0
	v_mov_b32_e32 v13, 0
	s_and_saveexec_b64 s[14:15], vcc
	s_cbranch_execz .LBB776_1046
; %bb.1041:                             ;   in Loop: Header=BB776_794 Depth=1
	v_cmp_ne_u16_e32 vcc, s21, v8
	v_mov_b32_e32 v13, 0xffff8000
	s_and_saveexec_b64 s[16:17], vcc
	s_cbranch_execz .LBB776_1045
; %bb.1042:                             ;   in Loop: Header=BB776_794 Depth=1
	v_and_b32_e32 v12, 0x7f, v8
	v_cmp_ne_u32_e32 vcc, s23, v12
	v_mov_b32_e32 v13, 0x7f80
	s_and_saveexec_b64 s[18:19], vcc
	s_cbranch_execz .LBB776_1044
; %bb.1043:                             ;   in Loop: Header=BB776_794 Depth=1
	v_and_b32_e32 v13, 7, v8
	v_ffbh_u32_e32 v16, v13
	v_min_u32_e32 v19, 32, v16
	v_subrev_u32_e32 v16, 28, v19
	v_lshlrev_b64 v[16:17], v16, v[8:9]
	v_lshrrev_b32_e32 v18, 3, v12
	v_sub_u32_e32 v8, 29, v19
	v_and_b32_e32 v16, 7, v16
	v_cmp_gt_u32_e32 vcc, 8, v12
	v_cndmask_b32_e32 v8, v18, v8, vcc
	v_cndmask_b32_e32 v12, v13, v16, vcc
	v_lshlrev_b32_e32 v13, 16, v6
	v_lshlrev_b32_e32 v12, 20, v12
	v_and_b32_e32 v13, 0x80000000, v13
	v_lshl_add_u32 v8, v8, 23, v10
	v_or3_b32 v8, v13, v8, v12
	v_lshrrev_b32_e32 v13, 16, v8
.LBB776_1044:                           ;   in Loop: Header=BB776_794 Depth=1
	s_or_b64 exec, exec, s[18:19]
.LBB776_1045:                           ;   in Loop: Header=BB776_794 Depth=1
	s_or_b64 exec, exec, s[16:17]
.LBB776_1046:                           ;   in Loop: Header=BB776_794 Depth=1
	s_or_b64 exec, exec, s[14:15]
	v_lshrrev_b32_e32 v8, 16, v6
	v_cmp_ne_u16_sdwa s[16:17], v8, v9 src0_sel:BYTE_0 src1_sel:DWORD
	s_and_saveexec_b64 s[14:15], s[16:17]
	s_cbranch_execz .LBB776_1052
; %bb.1047:                             ;   in Loop: Header=BB776_794 Depth=1
	v_cmp_ne_u16_sdwa s[18:19], v8, s21 src0_sel:BYTE_0 src1_sel:DWORD
	v_mov_b32_e32 v15, 0xffff8000
	s_and_saveexec_b64 s[16:17], s[18:19]
	s_cbranch_execz .LBB776_1051
; %bb.1048:                             ;   in Loop: Header=BB776_794 Depth=1
	v_bfe_u32 v12, v6, 16, 7
	v_cmp_ne_u32_e32 vcc, s23, v12
	v_mov_b32_e32 v15, 0x7f80
	s_and_saveexec_b64 s[18:19], vcc
	s_cbranch_execz .LBB776_1050
; %bb.1049:                             ;   in Loop: Header=BB776_794 Depth=1
	v_and_b32_e32 v15, 7, v8
	v_ffbh_u32_e32 v16, v15
	v_min_u32_e32 v19, 32, v16
	v_subrev_u32_e32 v16, 28, v19
	v_lshlrev_b64 v[16:17], v16, v[8:9]
	v_lshrrev_b32_e32 v18, 3, v12
	v_sub_u32_e32 v17, 29, v19
	v_and_b32_e32 v16, 7, v16
	v_cmp_gt_u32_e32 vcc, 8, v12
	v_cndmask_b32_e32 v12, v18, v17, vcc
	v_cndmask_b32_e32 v15, v15, v16, vcc
	v_lshlrev_b32_e32 v8, 24, v8
	v_lshlrev_b32_e32 v15, 20, v15
	v_and_b32_e32 v8, 0x80000000, v8
	v_lshl_add_u32 v12, v12, 23, v10
	v_or3_b32 v8, v8, v12, v15
	v_lshrrev_b32_e32 v15, 16, v8
.LBB776_1050:                           ;   in Loop: Header=BB776_794 Depth=1
	s_or_b64 exec, exec, s[18:19]
.LBB776_1051:                           ;   in Loop: Header=BB776_794 Depth=1
	s_or_b64 exec, exec, s[16:17]
.LBB776_1052:                           ;   in Loop: Header=BB776_794 Depth=1
	s_or_b64 exec, exec, s[14:15]
	v_cmp_lt_u32_e32 vcc, s25, v6
	v_mov_b32_e32 v16, 0
	v_mov_b32_e32 v17, 0
	s_and_saveexec_b64 s[14:15], vcc
	s_cbranch_execz .LBB776_1058
; %bb.1053:                             ;   in Loop: Header=BB776_794 Depth=1
	v_lshrrev_b32_e32 v8, 24, v6
	v_cmp_ne_u32_e32 vcc, s21, v8
	v_mov_b32_e32 v17, 0xffff8000
	s_and_saveexec_b64 s[16:17], vcc
	s_cbranch_execz .LBB776_1057
; %bb.1054:                             ;   in Loop: Header=BB776_794 Depth=1
	v_bfe_u32 v6, v6, 24, 7
	v_cmp_ne_u32_e32 vcc, s23, v6
	v_mov_b32_e32 v17, 0x7f80
	s_and_saveexec_b64 s[18:19], vcc
	s_cbranch_execz .LBB776_1056
; %bb.1055:                             ;   in Loop: Header=BB776_794 Depth=1
	v_and_b32_e32 v12, 7, v8
	v_ffbh_u32_e32 v18, v12
	v_min_u32_e32 v20, 32, v18
	v_subrev_u32_e32 v18, 28, v20
	v_lshlrev_b64 v[18:19], v18, v[8:9]
	v_lshrrev_b32_e32 v17, 3, v6
	v_sub_u32_e32 v19, 29, v20
	v_and_b32_e32 v18, 7, v18
	v_cmp_gt_u32_e32 vcc, 8, v6
	v_cndmask_b32_e32 v6, v17, v19, vcc
	v_cndmask_b32_e32 v12, v12, v18, vcc
	v_lshlrev_b32_e32 v8, 24, v8
	v_lshlrev_b32_e32 v12, 20, v12
	v_and_b32_e32 v8, 0x80000000, v8
	v_lshl_add_u32 v6, v6, 23, v10
	v_or3_b32 v6, v8, v6, v12
	v_lshrrev_b32_e32 v17, 16, v6
.LBB776_1056:                           ;   in Loop: Header=BB776_794 Depth=1
	s_or_b64 exec, exec, s[18:19]
.LBB776_1057:                           ;   in Loop: Header=BB776_794 Depth=1
	s_or_b64 exec, exec, s[16:17]
.LBB776_1058:                           ;   in Loop: Header=BB776_794 Depth=1
	s_or_b64 exec, exec, s[14:15]
	s_waitcnt vmcnt(0)
	v_cmp_ne_u16_sdwa s[16:17], v4, v9 src0_sel:BYTE_0 src1_sel:DWORD
	s_and_saveexec_b64 s[14:15], s[16:17]
	s_cbranch_execz .LBB776_1064
; %bb.1059:                             ;   in Loop: Header=BB776_794 Depth=1
	v_cmp_ne_u16_sdwa s[18:19], v4, s21 src0_sel:BYTE_0 src1_sel:DWORD
	v_mov_b32_e32 v16, 0xffff8000
	s_and_saveexec_b64 s[16:17], s[18:19]
	s_cbranch_execz .LBB776_1063
; %bb.1060:                             ;   in Loop: Header=BB776_794 Depth=1
	v_and_b32_e32 v6, 0x7f, v4
	v_cmp_ne_u32_e32 vcc, s23, v6
	v_mov_b32_e32 v16, 0x7f80
	s_and_saveexec_b64 s[18:19], vcc
	s_cbranch_execz .LBB776_1062
; %bb.1061:                             ;   in Loop: Header=BB776_794 Depth=1
	v_and_b32_e32 v8, 7, v4
	v_ffbh_u32_e32 v16, v8
	v_min_u32_e32 v16, 32, v16
	v_subrev_u32_e32 v18, 28, v16
	v_lshlrev_b64 v[18:19], v18, v[4:5]
	v_lshrrev_b32_e32 v12, 3, v6
	v_sub_u32_e32 v16, 29, v16
	v_and_b32_e32 v18, 7, v18
	v_cmp_gt_u32_e32 vcc, 8, v6
	v_cndmask_b32_e32 v6, v12, v16, vcc
	v_cndmask_b32_e32 v8, v8, v18, vcc
	v_lshlrev_b32_e32 v12, 24, v4
	v_lshlrev_b32_e32 v8, 20, v8
	v_and_b32_e32 v12, 0x80000000, v12
	v_lshl_add_u32 v6, v6, 23, v10
	v_or3_b32 v6, v12, v6, v8
	v_lshrrev_b32_e32 v16, 16, v6
.LBB776_1062:                           ;   in Loop: Header=BB776_794 Depth=1
	s_or_b64 exec, exec, s[18:19]
.LBB776_1063:                           ;   in Loop: Header=BB776_794 Depth=1
	s_or_b64 exec, exec, s[16:17]
.LBB776_1064:                           ;   in Loop: Header=BB776_794 Depth=1
	s_or_b64 exec, exec, s[14:15]
	v_lshrrev_b16_e32 v6, 8, v4
	v_cmp_ne_u16_e32 vcc, 0, v6
	v_mov_b32_e32 v18, 0
	v_mov_b32_e32 v8, 0
	s_and_saveexec_b64 s[14:15], vcc
	s_cbranch_execz .LBB776_1070
; %bb.1065:                             ;   in Loop: Header=BB776_794 Depth=1
	v_cmp_ne_u16_e32 vcc, s21, v6
	v_mov_b32_e32 v8, 0xffff8000
	s_and_saveexec_b64 s[16:17], vcc
	s_cbranch_execz .LBB776_1069
; %bb.1066:                             ;   in Loop: Header=BB776_794 Depth=1
	v_and_b32_e32 v12, 0x7f, v6
	v_cmp_ne_u32_e32 vcc, s23, v12
	v_mov_b32_e32 v8, 0x7f80
	s_and_saveexec_b64 s[18:19], vcc
	s_cbranch_execz .LBB776_1068
; %bb.1067:                             ;   in Loop: Header=BB776_794 Depth=1
	v_and_b32_e32 v8, 7, v6
	v_ffbh_u32_e32 v20, v8
	v_min_u32_e32 v22, 32, v20
	v_subrev_u32_e32 v20, 28, v22
	v_lshlrev_b64 v[20:21], v20, v[6:7]
	v_lshrrev_b32_e32 v19, 3, v12
	v_sub_u32_e32 v6, 29, v22
	v_and_b32_e32 v20, 7, v20
	v_cmp_gt_u32_e32 vcc, 8, v12
	v_cndmask_b32_e32 v6, v19, v6, vcc
	v_cndmask_b32_e32 v8, v8, v20, vcc
	v_lshlrev_b32_e32 v12, 16, v4
	v_lshlrev_b32_e32 v8, 20, v8
	v_and_b32_e32 v12, 0x80000000, v12
	v_lshl_add_u32 v6, v6, 23, v10
	v_or3_b32 v6, v12, v6, v8
	v_lshrrev_b32_e32 v8, 16, v6
.LBB776_1068:                           ;   in Loop: Header=BB776_794 Depth=1
	s_or_b64 exec, exec, s[18:19]
.LBB776_1069:                           ;   in Loop: Header=BB776_794 Depth=1
	s_or_b64 exec, exec, s[16:17]
.LBB776_1070:                           ;   in Loop: Header=BB776_794 Depth=1
	s_or_b64 exec, exec, s[14:15]
	v_lshrrev_b32_e32 v6, 16, v4
	v_cmp_ne_u16_sdwa s[16:17], v6, v9 src0_sel:BYTE_0 src1_sel:DWORD
	s_and_saveexec_b64 s[14:15], s[16:17]
	s_cbranch_execz .LBB776_1076
; %bb.1071:                             ;   in Loop: Header=BB776_794 Depth=1
	v_cmp_ne_u16_sdwa s[18:19], v6, s21 src0_sel:BYTE_0 src1_sel:DWORD
	v_mov_b32_e32 v18, 0xffff8000
	s_and_saveexec_b64 s[16:17], s[18:19]
	s_cbranch_execz .LBB776_1075
; %bb.1072:                             ;   in Loop: Header=BB776_794 Depth=1
	v_bfe_u32 v12, v4, 16, 7
	v_cmp_ne_u32_e32 vcc, s23, v12
	v_mov_b32_e32 v18, 0x7f80
	s_and_saveexec_b64 s[18:19], vcc
	s_cbranch_execz .LBB776_1074
; %bb.1073:                             ;   in Loop: Header=BB776_794 Depth=1
	v_and_b32_e32 v20, 7, v6
	v_ffbh_u32_e32 v18, v20
	v_min_u32_e32 v22, 32, v18
	v_subrev_u32_e32 v18, 28, v22
	v_lshlrev_b64 v[18:19], v18, v[6:7]
	v_lshrrev_b32_e32 v21, 3, v12
	v_sub_u32_e32 v19, 29, v22
	v_and_b32_e32 v18, 7, v18
	v_cmp_gt_u32_e32 vcc, 8, v12
	v_cndmask_b32_e32 v12, v21, v19, vcc
	v_cndmask_b32_e32 v18, v20, v18, vcc
	v_lshlrev_b32_e32 v6, 24, v6
	v_lshlrev_b32_e32 v18, 20, v18
	v_and_b32_e32 v6, 0x80000000, v6
	v_lshl_add_u32 v12, v12, 23, v10
	v_or3_b32 v6, v6, v12, v18
	v_lshrrev_b32_e32 v18, 16, v6
.LBB776_1074:                           ;   in Loop: Header=BB776_794 Depth=1
	s_or_b64 exec, exec, s[18:19]
.LBB776_1075:                           ;   in Loop: Header=BB776_794 Depth=1
	s_or_b64 exec, exec, s[16:17]
.LBB776_1076:                           ;   in Loop: Header=BB776_794 Depth=1
	s_or_b64 exec, exec, s[14:15]
	v_cmp_lt_u32_e32 vcc, s25, v4
	v_mov_b32_e32 v12, 0
	v_mov_b32_e32 v19, 0
	s_and_saveexec_b64 s[14:15], vcc
	s_cbranch_execz .LBB776_1082
; %bb.1077:                             ;   in Loop: Header=BB776_794 Depth=1
	v_lshrrev_b32_e32 v6, 24, v4
	v_cmp_ne_u32_e32 vcc, s21, v6
	v_mov_b32_e32 v19, 0xffff8000
	s_and_saveexec_b64 s[16:17], vcc
	s_cbranch_execz .LBB776_1081
; %bb.1078:                             ;   in Loop: Header=BB776_794 Depth=1
	v_bfe_u32 v4, v4, 24, 7
	v_cmp_ne_u32_e32 vcc, s23, v4
	v_mov_b32_e32 v19, 0x7f80
	s_and_saveexec_b64 s[18:19], vcc
	s_cbranch_execz .LBB776_1080
; %bb.1079:                             ;   in Loop: Header=BB776_794 Depth=1
	v_and_b32_e32 v19, 7, v6
	v_ffbh_u32_e32 v20, v19
	v_min_u32_e32 v23, 32, v20
	v_subrev_u32_e32 v20, 28, v23
	v_lshlrev_b64 v[20:21], v20, v[6:7]
	v_lshrrev_b32_e32 v22, 3, v4
	v_sub_u32_e32 v21, 29, v23
	v_and_b32_e32 v20, 7, v20
	v_cmp_gt_u32_e32 vcc, 8, v4
	v_cndmask_b32_e32 v4, v22, v21, vcc
	v_cndmask_b32_e32 v19, v19, v20, vcc
	v_lshlrev_b32_e32 v6, 24, v6
	v_lshlrev_b32_e32 v19, 20, v19
	v_and_b32_e32 v6, 0x80000000, v6
	v_lshl_add_u32 v4, v4, 23, v10
	v_or3_b32 v4, v6, v4, v19
	v_lshrrev_b32_e32 v19, 16, v4
.LBB776_1080:                           ;   in Loop: Header=BB776_794 Depth=1
	s_or_b64 exec, exec, s[18:19]
.LBB776_1081:                           ;   in Loop: Header=BB776_794 Depth=1
	s_or_b64 exec, exec, s[16:17]
.LBB776_1082:                           ;   in Loop: Header=BB776_794 Depth=1
	s_or_b64 exec, exec, s[14:15]
	buffer_load_dword v6, v11, s[0:3], 0 offen offset:48
	buffer_load_dword v4, v11, s[0:3], 0 offen offset:52
	v_perm_b32 v15, v17, v15, s26
	v_perm_b32 v14, v13, v14, s26
	;; [unrolled: 1-line block ×4, first 2 shown]
	v_mfma_f32_4x4x4bf16_1k a[0:3], v[2:3], v[14:15], a[0:3] cbsz:4 abid:10
	s_waitcnt vmcnt(1)
	v_cmp_ne_u16_sdwa s[16:17], v6, v9 src0_sel:BYTE_0 src1_sel:DWORD
	v_mfma_f32_4x4x4bf16_1k a[0:3], v[2:3], v[16:17], a[0:3] cbsz:4 abid:11
	s_and_saveexec_b64 s[14:15], s[16:17]
	s_cbranch_execz .LBB776_1088
; %bb.1083:                             ;   in Loop: Header=BB776_794 Depth=1
	v_cmp_ne_u16_sdwa s[18:19], v6, s21 src0_sel:BYTE_0 src1_sel:DWORD
	v_mov_b32_e32 v12, 0xffff8000
	s_and_saveexec_b64 s[16:17], s[18:19]
	s_cbranch_execz .LBB776_1087
; %bb.1084:                             ;   in Loop: Header=BB776_794 Depth=1
	v_and_b32_e32 v8, 0x7f, v6
	v_cmp_ne_u32_e32 vcc, s23, v8
	v_mov_b32_e32 v12, 0x7f80
	s_and_saveexec_b64 s[18:19], vcc
	s_cbranch_execz .LBB776_1086
; %bb.1085:                             ;   in Loop: Header=BB776_794 Depth=1
	v_and_b32_e32 v14, 7, v6
	v_ffbh_u32_e32 v12, v14
	v_min_u32_e32 v16, 32, v12
	v_subrev_u32_e32 v12, 28, v16
	v_lshlrev_b64 v[12:13], v12, v[6:7]
	v_lshrrev_b32_e32 v15, 3, v8
	v_sub_u32_e32 v13, 29, v16
	v_and_b32_e32 v12, 7, v12
	v_cmp_gt_u32_e32 vcc, 8, v8
	v_cndmask_b32_e32 v8, v15, v13, vcc
	v_cndmask_b32_e32 v12, v14, v12, vcc
	v_lshlrev_b32_e32 v13, 24, v6
	v_lshlrev_b32_e32 v12, 20, v12
	v_and_b32_e32 v13, 0x80000000, v13
	v_lshl_add_u32 v8, v8, 23, v10
	v_or3_b32 v8, v13, v8, v12
	v_lshrrev_b32_e32 v12, 16, v8
.LBB776_1086:                           ;   in Loop: Header=BB776_794 Depth=1
	s_or_b64 exec, exec, s[18:19]
.LBB776_1087:                           ;   in Loop: Header=BB776_794 Depth=1
	s_or_b64 exec, exec, s[16:17]
.LBB776_1088:                           ;   in Loop: Header=BB776_794 Depth=1
	s_or_b64 exec, exec, s[14:15]
	v_lshrrev_b16_e32 v8, 8, v6
	v_cmp_ne_u16_e32 vcc, 0, v8
	v_mov_b32_e32 v15, 0
	v_mov_b32_e32 v14, 0
	s_and_saveexec_b64 s[14:15], vcc
	s_cbranch_execz .LBB776_1094
; %bb.1089:                             ;   in Loop: Header=BB776_794 Depth=1
	v_cmp_ne_u16_e32 vcc, s21, v8
	v_mov_b32_e32 v14, 0xffff8000
	s_and_saveexec_b64 s[16:17], vcc
	s_cbranch_execz .LBB776_1093
; %bb.1090:                             ;   in Loop: Header=BB776_794 Depth=1
	v_and_b32_e32 v13, 0x7f, v8
	v_cmp_ne_u32_e32 vcc, s23, v13
	v_mov_b32_e32 v14, 0x7f80
	s_and_saveexec_b64 s[18:19], vcc
	s_cbranch_execz .LBB776_1092
; %bb.1091:                             ;   in Loop: Header=BB776_794 Depth=1
	v_and_b32_e32 v14, 7, v8
	v_ffbh_u32_e32 v16, v14
	v_min_u32_e32 v19, 32, v16
	v_subrev_u32_e32 v16, 28, v19
	v_lshlrev_b64 v[16:17], v16, v[8:9]
	v_lshrrev_b32_e32 v18, 3, v13
	v_sub_u32_e32 v8, 29, v19
	v_and_b32_e32 v16, 7, v16
	v_cmp_gt_u32_e32 vcc, 8, v13
	v_cndmask_b32_e32 v8, v18, v8, vcc
	v_cndmask_b32_e32 v13, v14, v16, vcc
	v_lshlrev_b32_e32 v14, 16, v6
	v_lshlrev_b32_e32 v13, 20, v13
	v_and_b32_e32 v14, 0x80000000, v14
	v_lshl_add_u32 v8, v8, 23, v10
	v_or3_b32 v8, v14, v8, v13
	v_lshrrev_b32_e32 v14, 16, v8
.LBB776_1092:                           ;   in Loop: Header=BB776_794 Depth=1
	s_or_b64 exec, exec, s[18:19]
.LBB776_1093:                           ;   in Loop: Header=BB776_794 Depth=1
	s_or_b64 exec, exec, s[16:17]
.LBB776_1094:                           ;   in Loop: Header=BB776_794 Depth=1
	s_or_b64 exec, exec, s[14:15]
	v_lshrrev_b32_e32 v8, 16, v6
	v_cmp_ne_u16_sdwa s[16:17], v8, v9 src0_sel:BYTE_0 src1_sel:DWORD
	s_and_saveexec_b64 s[14:15], s[16:17]
	s_cbranch_execz .LBB776_1100
; %bb.1095:                             ;   in Loop: Header=BB776_794 Depth=1
	v_cmp_ne_u16_sdwa s[18:19], v8, s21 src0_sel:BYTE_0 src1_sel:DWORD
	v_mov_b32_e32 v15, 0xffff8000
	s_and_saveexec_b64 s[16:17], s[18:19]
	s_cbranch_execz .LBB776_1099
; %bb.1096:                             ;   in Loop: Header=BB776_794 Depth=1
	v_bfe_u32 v13, v6, 16, 7
	v_cmp_ne_u32_e32 vcc, s23, v13
	v_mov_b32_e32 v15, 0x7f80
	s_and_saveexec_b64 s[18:19], vcc
	s_cbranch_execz .LBB776_1098
; %bb.1097:                             ;   in Loop: Header=BB776_794 Depth=1
	v_and_b32_e32 v15, 7, v8
	v_ffbh_u32_e32 v16, v15
	v_min_u32_e32 v19, 32, v16
	v_subrev_u32_e32 v16, 28, v19
	v_lshlrev_b64 v[16:17], v16, v[8:9]
	v_lshrrev_b32_e32 v18, 3, v13
	v_sub_u32_e32 v17, 29, v19
	v_and_b32_e32 v16, 7, v16
	v_cmp_gt_u32_e32 vcc, 8, v13
	v_cndmask_b32_e32 v13, v18, v17, vcc
	v_cndmask_b32_e32 v15, v15, v16, vcc
	v_lshlrev_b32_e32 v8, 24, v8
	v_lshlrev_b32_e32 v15, 20, v15
	v_and_b32_e32 v8, 0x80000000, v8
	v_lshl_add_u32 v13, v13, 23, v10
	v_or3_b32 v8, v8, v13, v15
	v_lshrrev_b32_e32 v15, 16, v8
.LBB776_1098:                           ;   in Loop: Header=BB776_794 Depth=1
	s_or_b64 exec, exec, s[18:19]
.LBB776_1099:                           ;   in Loop: Header=BB776_794 Depth=1
	s_or_b64 exec, exec, s[16:17]
.LBB776_1100:                           ;   in Loop: Header=BB776_794 Depth=1
	s_or_b64 exec, exec, s[14:15]
	v_cmp_lt_u32_e32 vcc, s25, v6
	v_mov_b32_e32 v16, 0
	v_mov_b32_e32 v17, 0
	s_and_saveexec_b64 s[14:15], vcc
	s_cbranch_execz .LBB776_1106
; %bb.1101:                             ;   in Loop: Header=BB776_794 Depth=1
	v_lshrrev_b32_e32 v8, 24, v6
	v_cmp_ne_u32_e32 vcc, s21, v8
	v_mov_b32_e32 v17, 0xffff8000
	s_and_saveexec_b64 s[16:17], vcc
	s_cbranch_execz .LBB776_1105
; %bb.1102:                             ;   in Loop: Header=BB776_794 Depth=1
	v_bfe_u32 v6, v6, 24, 7
	v_cmp_ne_u32_e32 vcc, s23, v6
	v_mov_b32_e32 v17, 0x7f80
	s_and_saveexec_b64 s[18:19], vcc
	s_cbranch_execz .LBB776_1104
; %bb.1103:                             ;   in Loop: Header=BB776_794 Depth=1
	v_and_b32_e32 v13, 7, v8
	v_ffbh_u32_e32 v18, v13
	v_min_u32_e32 v20, 32, v18
	v_subrev_u32_e32 v18, 28, v20
	v_lshlrev_b64 v[18:19], v18, v[8:9]
	v_lshrrev_b32_e32 v17, 3, v6
	v_sub_u32_e32 v19, 29, v20
	v_and_b32_e32 v18, 7, v18
	v_cmp_gt_u32_e32 vcc, 8, v6
	v_cndmask_b32_e32 v6, v17, v19, vcc
	v_cndmask_b32_e32 v13, v13, v18, vcc
	v_lshlrev_b32_e32 v8, 24, v8
	v_lshlrev_b32_e32 v13, 20, v13
	v_and_b32_e32 v8, 0x80000000, v8
	v_lshl_add_u32 v6, v6, 23, v10
	v_or3_b32 v6, v8, v6, v13
	v_lshrrev_b32_e32 v17, 16, v6
.LBB776_1104:                           ;   in Loop: Header=BB776_794 Depth=1
	s_or_b64 exec, exec, s[18:19]
.LBB776_1105:                           ;   in Loop: Header=BB776_794 Depth=1
	s_or_b64 exec, exec, s[16:17]
.LBB776_1106:                           ;   in Loop: Header=BB776_794 Depth=1
	s_or_b64 exec, exec, s[14:15]
	s_waitcnt vmcnt(0)
	v_cmp_ne_u16_sdwa s[16:17], v4, v9 src0_sel:BYTE_0 src1_sel:DWORD
	s_and_saveexec_b64 s[14:15], s[16:17]
	s_cbranch_execz .LBB776_1112
; %bb.1107:                             ;   in Loop: Header=BB776_794 Depth=1
	v_cmp_ne_u16_sdwa s[18:19], v4, s21 src0_sel:BYTE_0 src1_sel:DWORD
	v_mov_b32_e32 v16, 0xffff8000
	s_and_saveexec_b64 s[16:17], s[18:19]
	s_cbranch_execz .LBB776_1111
; %bb.1108:                             ;   in Loop: Header=BB776_794 Depth=1
	v_and_b32_e32 v6, 0x7f, v4
	v_cmp_ne_u32_e32 vcc, s23, v6
	v_mov_b32_e32 v16, 0x7f80
	s_and_saveexec_b64 s[18:19], vcc
	s_cbranch_execz .LBB776_1110
; %bb.1109:                             ;   in Loop: Header=BB776_794 Depth=1
	v_and_b32_e32 v8, 7, v4
	v_ffbh_u32_e32 v16, v8
	v_min_u32_e32 v16, 32, v16
	v_subrev_u32_e32 v18, 28, v16
	v_lshlrev_b64 v[18:19], v18, v[4:5]
	v_lshrrev_b32_e32 v13, 3, v6
	v_sub_u32_e32 v16, 29, v16
	v_and_b32_e32 v18, 7, v18
	v_cmp_gt_u32_e32 vcc, 8, v6
	v_cndmask_b32_e32 v6, v13, v16, vcc
	v_cndmask_b32_e32 v8, v8, v18, vcc
	v_lshlrev_b32_e32 v13, 24, v4
	v_lshlrev_b32_e32 v8, 20, v8
	v_and_b32_e32 v13, 0x80000000, v13
	v_lshl_add_u32 v6, v6, 23, v10
	v_or3_b32 v6, v13, v6, v8
	v_lshrrev_b32_e32 v16, 16, v6
.LBB776_1110:                           ;   in Loop: Header=BB776_794 Depth=1
	s_or_b64 exec, exec, s[18:19]
.LBB776_1111:                           ;   in Loop: Header=BB776_794 Depth=1
	s_or_b64 exec, exec, s[16:17]
.LBB776_1112:                           ;   in Loop: Header=BB776_794 Depth=1
	s_or_b64 exec, exec, s[14:15]
	v_lshrrev_b16_e32 v6, 8, v4
	v_cmp_ne_u16_e32 vcc, 0, v6
	v_mov_b32_e32 v18, 0
	v_mov_b32_e32 v8, 0
	s_and_saveexec_b64 s[14:15], vcc
	s_cbranch_execz .LBB776_1118
; %bb.1113:                             ;   in Loop: Header=BB776_794 Depth=1
	v_cmp_ne_u16_e32 vcc, s21, v6
	v_mov_b32_e32 v8, 0xffff8000
	s_and_saveexec_b64 s[16:17], vcc
	s_cbranch_execz .LBB776_1117
; %bb.1114:                             ;   in Loop: Header=BB776_794 Depth=1
	v_and_b32_e32 v13, 0x7f, v6
	v_cmp_ne_u32_e32 vcc, s23, v13
	v_mov_b32_e32 v8, 0x7f80
	s_and_saveexec_b64 s[18:19], vcc
	s_cbranch_execz .LBB776_1116
; %bb.1115:                             ;   in Loop: Header=BB776_794 Depth=1
	v_and_b32_e32 v8, 7, v6
	v_ffbh_u32_e32 v20, v8
	v_min_u32_e32 v22, 32, v20
	v_subrev_u32_e32 v20, 28, v22
	v_lshlrev_b64 v[20:21], v20, v[6:7]
	v_lshrrev_b32_e32 v19, 3, v13
	v_sub_u32_e32 v6, 29, v22
	v_and_b32_e32 v20, 7, v20
	v_cmp_gt_u32_e32 vcc, 8, v13
	v_cndmask_b32_e32 v6, v19, v6, vcc
	v_cndmask_b32_e32 v8, v8, v20, vcc
	v_lshlrev_b32_e32 v13, 16, v4
	v_lshlrev_b32_e32 v8, 20, v8
	v_and_b32_e32 v13, 0x80000000, v13
	v_lshl_add_u32 v6, v6, 23, v10
	v_or3_b32 v6, v13, v6, v8
	v_lshrrev_b32_e32 v8, 16, v6
.LBB776_1116:                           ;   in Loop: Header=BB776_794 Depth=1
	s_or_b64 exec, exec, s[18:19]
.LBB776_1117:                           ;   in Loop: Header=BB776_794 Depth=1
	s_or_b64 exec, exec, s[16:17]
.LBB776_1118:                           ;   in Loop: Header=BB776_794 Depth=1
	s_or_b64 exec, exec, s[14:15]
	v_lshrrev_b32_e32 v6, 16, v4
	v_cmp_ne_u16_sdwa s[16:17], v6, v9 src0_sel:BYTE_0 src1_sel:DWORD
	s_and_saveexec_b64 s[14:15], s[16:17]
	s_cbranch_execz .LBB776_1124
; %bb.1119:                             ;   in Loop: Header=BB776_794 Depth=1
	v_cmp_ne_u16_sdwa s[18:19], v6, s21 src0_sel:BYTE_0 src1_sel:DWORD
	v_mov_b32_e32 v18, 0xffff8000
	s_and_saveexec_b64 s[16:17], s[18:19]
	s_cbranch_execz .LBB776_1123
; %bb.1120:                             ;   in Loop: Header=BB776_794 Depth=1
	v_bfe_u32 v13, v4, 16, 7
	v_cmp_ne_u32_e32 vcc, s23, v13
	v_mov_b32_e32 v18, 0x7f80
	s_and_saveexec_b64 s[18:19], vcc
	s_cbranch_execz .LBB776_1122
; %bb.1121:                             ;   in Loop: Header=BB776_794 Depth=1
	v_and_b32_e32 v20, 7, v6
	v_ffbh_u32_e32 v18, v20
	v_min_u32_e32 v22, 32, v18
	v_subrev_u32_e32 v18, 28, v22
	v_lshlrev_b64 v[18:19], v18, v[6:7]
	v_lshrrev_b32_e32 v21, 3, v13
	v_sub_u32_e32 v19, 29, v22
	v_and_b32_e32 v18, 7, v18
	v_cmp_gt_u32_e32 vcc, 8, v13
	v_cndmask_b32_e32 v13, v21, v19, vcc
	v_cndmask_b32_e32 v18, v20, v18, vcc
	v_lshlrev_b32_e32 v6, 24, v6
	v_lshlrev_b32_e32 v18, 20, v18
	v_and_b32_e32 v6, 0x80000000, v6
	v_lshl_add_u32 v13, v13, 23, v10
	v_or3_b32 v6, v6, v13, v18
	v_lshrrev_b32_e32 v18, 16, v6
.LBB776_1122:                           ;   in Loop: Header=BB776_794 Depth=1
	s_or_b64 exec, exec, s[18:19]
.LBB776_1123:                           ;   in Loop: Header=BB776_794 Depth=1
	s_or_b64 exec, exec, s[16:17]
.LBB776_1124:                           ;   in Loop: Header=BB776_794 Depth=1
	s_or_b64 exec, exec, s[14:15]
	v_cmp_lt_u32_e32 vcc, s25, v4
	v_mov_b32_e32 v13, 0
	v_mov_b32_e32 v19, 0
	s_and_saveexec_b64 s[14:15], vcc
	s_cbranch_execz .LBB776_1130
; %bb.1125:                             ;   in Loop: Header=BB776_794 Depth=1
	v_lshrrev_b32_e32 v6, 24, v4
	v_cmp_ne_u32_e32 vcc, s21, v6
	v_mov_b32_e32 v19, 0xffff8000
	s_and_saveexec_b64 s[16:17], vcc
	s_cbranch_execz .LBB776_1129
; %bb.1126:                             ;   in Loop: Header=BB776_794 Depth=1
	v_bfe_u32 v4, v4, 24, 7
	v_cmp_ne_u32_e32 vcc, s23, v4
	v_mov_b32_e32 v19, 0x7f80
	s_and_saveexec_b64 s[18:19], vcc
	s_cbranch_execz .LBB776_1128
; %bb.1127:                             ;   in Loop: Header=BB776_794 Depth=1
	v_and_b32_e32 v19, 7, v6
	v_ffbh_u32_e32 v20, v19
	v_min_u32_e32 v23, 32, v20
	v_subrev_u32_e32 v20, 28, v23
	v_lshlrev_b64 v[20:21], v20, v[6:7]
	v_lshrrev_b32_e32 v22, 3, v4
	v_sub_u32_e32 v21, 29, v23
	v_and_b32_e32 v20, 7, v20
	v_cmp_gt_u32_e32 vcc, 8, v4
	v_cndmask_b32_e32 v4, v22, v21, vcc
	v_cndmask_b32_e32 v19, v19, v20, vcc
	v_lshlrev_b32_e32 v6, 24, v6
	v_lshlrev_b32_e32 v19, 20, v19
	v_and_b32_e32 v6, 0x80000000, v6
	v_lshl_add_u32 v4, v4, 23, v10
	v_or3_b32 v4, v6, v4, v19
	v_lshrrev_b32_e32 v19, 16, v4
.LBB776_1128:                           ;   in Loop: Header=BB776_794 Depth=1
	s_or_b64 exec, exec, s[18:19]
.LBB776_1129:                           ;   in Loop: Header=BB776_794 Depth=1
	s_or_b64 exec, exec, s[16:17]
.LBB776_1130:                           ;   in Loop: Header=BB776_794 Depth=1
	s_or_b64 exec, exec, s[14:15]
	buffer_load_dword v6, v11, s[0:3], 0 offen offset:56
	buffer_load_dword v4, v11, s[0:3], 0 offen offset:60
	v_perm_b32 v15, v17, v15, s26
	v_perm_b32 v14, v14, v12, s26
	;; [unrolled: 1-line block ×4, first 2 shown]
	v_mfma_f32_4x4x4bf16_1k a[0:3], v[2:3], v[14:15], a[0:3] cbsz:4 abid:12
	s_waitcnt vmcnt(1)
	v_cmp_ne_u16_sdwa s[16:17], v6, v9 src0_sel:BYTE_0 src1_sel:DWORD
	v_mfma_f32_4x4x4bf16_1k a[0:3], v[2:3], v[16:17], a[0:3] cbsz:4 abid:13
	s_and_saveexec_b64 s[14:15], s[16:17]
	s_cbranch_execz .LBB776_1136
; %bb.1131:                             ;   in Loop: Header=BB776_794 Depth=1
	v_cmp_ne_u16_sdwa s[18:19], v6, s21 src0_sel:BYTE_0 src1_sel:DWORD
	v_mov_b32_e32 v13, 0xffff8000
	s_and_saveexec_b64 s[16:17], s[18:19]
	s_cbranch_execz .LBB776_1135
; %bb.1132:                             ;   in Loop: Header=BB776_794 Depth=1
	v_and_b32_e32 v8, 0x7f, v6
	v_cmp_ne_u32_e32 vcc, s23, v8
	v_mov_b32_e32 v13, 0x7f80
	s_and_saveexec_b64 s[18:19], vcc
	s_cbranch_execz .LBB776_1134
; %bb.1133:                             ;   in Loop: Header=BB776_794 Depth=1
	v_and_b32_e32 v11, 7, v6
	v_ffbh_u32_e32 v12, v11
	v_min_u32_e32 v15, 32, v12
	v_subrev_u32_e32 v12, 28, v15
	v_lshlrev_b64 v[12:13], v12, v[6:7]
	v_lshrrev_b32_e32 v14, 3, v8
	v_sub_u32_e32 v13, 29, v15
	v_and_b32_e32 v12, 7, v12
	v_cmp_gt_u32_e32 vcc, 8, v8
	v_cndmask_b32_e32 v8, v14, v13, vcc
	v_cndmask_b32_e32 v11, v11, v12, vcc
	v_lshlrev_b32_e32 v12, 24, v6
	v_lshlrev_b32_e32 v11, 20, v11
	v_and_b32_e32 v12, 0x80000000, v12
	v_lshl_add_u32 v8, v8, 23, v10
	v_or3_b32 v8, v12, v8, v11
	v_lshrrev_b32_e32 v13, 16, v8
.LBB776_1134:                           ;   in Loop: Header=BB776_794 Depth=1
	s_or_b64 exec, exec, s[18:19]
.LBB776_1135:                           ;   in Loop: Header=BB776_794 Depth=1
	s_or_b64 exec, exec, s[16:17]
.LBB776_1136:                           ;   in Loop: Header=BB776_794 Depth=1
	s_or_b64 exec, exec, s[14:15]
	v_lshrrev_b16_e32 v8, 8, v6
	v_cmp_ne_u16_e32 vcc, 0, v8
	v_mov_b32_e32 v12, 0
	v_mov_b32_e32 v11, 0
	s_and_saveexec_b64 s[14:15], vcc
	s_cbranch_execz .LBB776_1142
; %bb.1137:                             ;   in Loop: Header=BB776_794 Depth=1
	v_cmp_ne_u16_e32 vcc, s21, v8
	v_mov_b32_e32 v11, 0xffff8000
	s_and_saveexec_b64 s[16:17], vcc
	s_cbranch_execz .LBB776_1141
; %bb.1138:                             ;   in Loop: Header=BB776_794 Depth=1
	v_and_b32_e32 v14, 0x7f, v8
	v_cmp_ne_u32_e32 vcc, s23, v14
	v_mov_b32_e32 v11, 0x7f80
	s_and_saveexec_b64 s[18:19], vcc
	s_cbranch_execz .LBB776_1140
; %bb.1139:                             ;   in Loop: Header=BB776_794 Depth=1
	v_and_b32_e32 v11, 7, v8
	v_ffbh_u32_e32 v16, v11
	v_min_u32_e32 v18, 32, v16
	v_subrev_u32_e32 v16, 28, v18
	v_lshlrev_b64 v[16:17], v16, v[8:9]
	v_lshrrev_b32_e32 v15, 3, v14
	v_sub_u32_e32 v8, 29, v18
	v_and_b32_e32 v16, 7, v16
	v_cmp_gt_u32_e32 vcc, 8, v14
	v_cndmask_b32_e32 v8, v15, v8, vcc
	v_cndmask_b32_e32 v11, v11, v16, vcc
	v_lshlrev_b32_e32 v14, 16, v6
	v_lshlrev_b32_e32 v11, 20, v11
	v_and_b32_e32 v14, 0x80000000, v14
	v_lshl_add_u32 v8, v8, 23, v10
	v_or3_b32 v8, v14, v8, v11
	v_lshrrev_b32_e32 v11, 16, v8
.LBB776_1140:                           ;   in Loop: Header=BB776_794 Depth=1
	s_or_b64 exec, exec, s[18:19]
.LBB776_1141:                           ;   in Loop: Header=BB776_794 Depth=1
	s_or_b64 exec, exec, s[16:17]
.LBB776_1142:                           ;   in Loop: Header=BB776_794 Depth=1
	s_or_b64 exec, exec, s[14:15]
	v_lshrrev_b32_e32 v8, 16, v6
	v_cmp_ne_u16_sdwa s[16:17], v8, v9 src0_sel:BYTE_0 src1_sel:DWORD
	s_and_saveexec_b64 s[14:15], s[16:17]
	s_cbranch_execz .LBB776_1148
; %bb.1143:                             ;   in Loop: Header=BB776_794 Depth=1
	v_cmp_ne_u16_sdwa s[18:19], v8, s21 src0_sel:BYTE_0 src1_sel:DWORD
	v_mov_b32_e32 v12, 0xffff8000
	s_and_saveexec_b64 s[16:17], s[18:19]
	s_cbranch_execz .LBB776_1147
; %bb.1144:                             ;   in Loop: Header=BB776_794 Depth=1
	v_bfe_u32 v14, v6, 16, 7
	v_cmp_ne_u32_e32 vcc, s23, v14
	v_mov_b32_e32 v12, 0x7f80
	s_and_saveexec_b64 s[18:19], vcc
	s_cbranch_execz .LBB776_1146
; %bb.1145:                             ;   in Loop: Header=BB776_794 Depth=1
	v_and_b32_e32 v12, 7, v8
	v_ffbh_u32_e32 v16, v12
	v_min_u32_e32 v18, 32, v16
	v_subrev_u32_e32 v16, 28, v18
	v_lshlrev_b64 v[16:17], v16, v[8:9]
	v_lshrrev_b32_e32 v15, 3, v14
	v_sub_u32_e32 v17, 29, v18
	v_and_b32_e32 v16, 7, v16
	v_cmp_gt_u32_e32 vcc, 8, v14
	v_cndmask_b32_e32 v14, v15, v17, vcc
	v_cndmask_b32_e32 v12, v12, v16, vcc
	v_lshlrev_b32_e32 v8, 24, v8
	v_lshlrev_b32_e32 v12, 20, v12
	v_and_b32_e32 v8, 0x80000000, v8
	v_lshl_add_u32 v14, v14, 23, v10
	v_or3_b32 v8, v8, v14, v12
	v_lshrrev_b32_e32 v12, 16, v8
.LBB776_1146:                           ;   in Loop: Header=BB776_794 Depth=1
	s_or_b64 exec, exec, s[18:19]
.LBB776_1147:                           ;   in Loop: Header=BB776_794 Depth=1
	s_or_b64 exec, exec, s[16:17]
.LBB776_1148:                           ;   in Loop: Header=BB776_794 Depth=1
	s_or_b64 exec, exec, s[14:15]
	v_cmp_lt_u32_e32 vcc, s25, v6
	v_mov_b32_e32 v14, 0
	v_mov_b32_e32 v15, 0
	s_and_saveexec_b64 s[14:15], vcc
	s_cbranch_execz .LBB776_1154
; %bb.1149:                             ;   in Loop: Header=BB776_794 Depth=1
	v_lshrrev_b32_e32 v8, 24, v6
	v_cmp_ne_u32_e32 vcc, s21, v8
	v_mov_b32_e32 v15, 0xffff8000
	s_and_saveexec_b64 s[16:17], vcc
	s_cbranch_execz .LBB776_1153
; %bb.1150:                             ;   in Loop: Header=BB776_794 Depth=1
	v_bfe_u32 v6, v6, 24, 7
	v_cmp_ne_u32_e32 vcc, s23, v6
	v_mov_b32_e32 v15, 0x7f80
	s_and_saveexec_b64 s[18:19], vcc
	s_cbranch_execz .LBB776_1152
; %bb.1151:                             ;   in Loop: Header=BB776_794 Depth=1
	v_and_b32_e32 v15, 7, v8
	v_ffbh_u32_e32 v16, v15
	v_min_u32_e32 v19, 32, v16
	v_subrev_u32_e32 v16, 28, v19
	v_lshlrev_b64 v[16:17], v16, v[8:9]
	v_lshrrev_b32_e32 v18, 3, v6
	v_sub_u32_e32 v17, 29, v19
	v_and_b32_e32 v16, 7, v16
	v_cmp_gt_u32_e32 vcc, 8, v6
	v_cndmask_b32_e32 v6, v18, v17, vcc
	v_cndmask_b32_e32 v15, v15, v16, vcc
	v_lshlrev_b32_e32 v8, 24, v8
	v_lshlrev_b32_e32 v15, 20, v15
	v_and_b32_e32 v8, 0x80000000, v8
	v_lshl_add_u32 v6, v6, 23, v10
	v_or3_b32 v6, v8, v6, v15
	v_lshrrev_b32_e32 v15, 16, v6
.LBB776_1152:                           ;   in Loop: Header=BB776_794 Depth=1
	s_or_b64 exec, exec, s[18:19]
.LBB776_1153:                           ;   in Loop: Header=BB776_794 Depth=1
	s_or_b64 exec, exec, s[16:17]
.LBB776_1154:                           ;   in Loop: Header=BB776_794 Depth=1
	s_or_b64 exec, exec, s[14:15]
	s_waitcnt vmcnt(0)
	v_cmp_ne_u16_sdwa s[16:17], v4, v9 src0_sel:BYTE_0 src1_sel:DWORD
	s_and_saveexec_b64 s[14:15], s[16:17]
	s_cbranch_execz .LBB776_1160
; %bb.1155:                             ;   in Loop: Header=BB776_794 Depth=1
	v_cmp_ne_u16_sdwa s[18:19], v4, s21 src0_sel:BYTE_0 src1_sel:DWORD
	v_mov_b32_e32 v14, 0xffff8000
	s_and_saveexec_b64 s[16:17], s[18:19]
	s_cbranch_execz .LBB776_1159
; %bb.1156:                             ;   in Loop: Header=BB776_794 Depth=1
	v_and_b32_e32 v6, 0x7f, v4
	v_cmp_ne_u32_e32 vcc, s23, v6
	v_mov_b32_e32 v14, 0x7f80
	s_and_saveexec_b64 s[18:19], vcc
	s_cbranch_execz .LBB776_1158
; %bb.1157:                             ;   in Loop: Header=BB776_794 Depth=1
	v_and_b32_e32 v8, 7, v4
	v_ffbh_u32_e32 v16, v8
	v_min_u32_e32 v18, 32, v16
	v_subrev_u32_e32 v16, 28, v18
	v_lshlrev_b64 v[16:17], v16, v[4:5]
	v_lshrrev_b32_e32 v14, 3, v6
	v_sub_u32_e32 v17, 29, v18
	v_and_b32_e32 v16, 7, v16
	v_cmp_gt_u32_e32 vcc, 8, v6
	v_cndmask_b32_e32 v6, v14, v17, vcc
	v_cndmask_b32_e32 v8, v8, v16, vcc
	v_lshlrev_b32_e32 v14, 24, v4
	v_lshlrev_b32_e32 v8, 20, v8
	v_and_b32_e32 v14, 0x80000000, v14
	v_lshl_add_u32 v6, v6, 23, v10
	v_or3_b32 v6, v14, v6, v8
	v_lshrrev_b32_e32 v14, 16, v6
.LBB776_1158:                           ;   in Loop: Header=BB776_794 Depth=1
	s_or_b64 exec, exec, s[18:19]
.LBB776_1159:                           ;   in Loop: Header=BB776_794 Depth=1
	s_or_b64 exec, exec, s[16:17]
.LBB776_1160:                           ;   in Loop: Header=BB776_794 Depth=1
	s_or_b64 exec, exec, s[14:15]
	v_lshrrev_b16_e32 v6, 8, v4
	v_cmp_ne_u16_e32 vcc, 0, v6
	v_mov_b32_e32 v16, 0
	v_mov_b32_e32 v8, 0
	s_and_saveexec_b64 s[14:15], vcc
	s_cbranch_execz .LBB776_1166
; %bb.1161:                             ;   in Loop: Header=BB776_794 Depth=1
	v_cmp_ne_u16_e32 vcc, s21, v6
	v_mov_b32_e32 v8, 0xffff8000
	s_and_saveexec_b64 s[16:17], vcc
	s_cbranch_execz .LBB776_1165
; %bb.1162:                             ;   in Loop: Header=BB776_794 Depth=1
	v_and_b32_e32 v17, 0x7f, v6
	v_cmp_ne_u32_e32 vcc, s23, v17
	v_mov_b32_e32 v8, 0x7f80
	s_and_saveexec_b64 s[18:19], vcc
	s_cbranch_execz .LBB776_1164
; %bb.1163:                             ;   in Loop: Header=BB776_794 Depth=1
	v_and_b32_e32 v8, 7, v6
	v_ffbh_u32_e32 v18, v8
	v_min_u32_e32 v21, 32, v18
	v_subrev_u32_e32 v18, 28, v21
	v_lshlrev_b64 v[18:19], v18, v[6:7]
	v_lshrrev_b32_e32 v20, 3, v17
	v_sub_u32_e32 v6, 29, v21
	v_and_b32_e32 v18, 7, v18
	v_cmp_gt_u32_e32 vcc, 8, v17
	v_cndmask_b32_e32 v6, v20, v6, vcc
	v_cndmask_b32_e32 v8, v8, v18, vcc
	v_lshlrev_b32_e32 v17, 16, v4
	v_lshlrev_b32_e32 v8, 20, v8
	v_and_b32_e32 v17, 0x80000000, v17
	v_lshl_add_u32 v6, v6, 23, v10
	v_or3_b32 v6, v17, v6, v8
	v_lshrrev_b32_e32 v8, 16, v6
.LBB776_1164:                           ;   in Loop: Header=BB776_794 Depth=1
	s_or_b64 exec, exec, s[18:19]
.LBB776_1165:                           ;   in Loop: Header=BB776_794 Depth=1
	s_or_b64 exec, exec, s[16:17]
.LBB776_1166:                           ;   in Loop: Header=BB776_794 Depth=1
	s_or_b64 exec, exec, s[14:15]
	v_lshrrev_b32_e32 v6, 16, v4
	v_cmp_ne_u16_sdwa s[16:17], v6, v9 src0_sel:BYTE_0 src1_sel:DWORD
	s_and_saveexec_b64 s[14:15], s[16:17]
	s_cbranch_execz .LBB776_1172
; %bb.1167:                             ;   in Loop: Header=BB776_794 Depth=1
	v_cmp_ne_u16_sdwa s[18:19], v6, s21 src0_sel:BYTE_0 src1_sel:DWORD
	v_mov_b32_e32 v16, 0xffff8000
	s_and_saveexec_b64 s[16:17], s[18:19]
	s_cbranch_execz .LBB776_1171
; %bb.1168:                             ;   in Loop: Header=BB776_794 Depth=1
	v_bfe_u32 v17, v4, 16, 7
	v_cmp_ne_u32_e32 vcc, s23, v17
	v_mov_b32_e32 v16, 0x7f80
	s_and_saveexec_b64 s[18:19], vcc
	s_cbranch_execz .LBB776_1170
; %bb.1169:                             ;   in Loop: Header=BB776_794 Depth=1
	v_and_b32_e32 v16, 7, v6
	v_ffbh_u32_e32 v18, v16
	v_min_u32_e32 v21, 32, v18
	v_subrev_u32_e32 v18, 28, v21
	v_lshlrev_b64 v[18:19], v18, v[6:7]
	v_lshrrev_b32_e32 v20, 3, v17
	v_sub_u32_e32 v19, 29, v21
	v_and_b32_e32 v18, 7, v18
	v_cmp_gt_u32_e32 vcc, 8, v17
	v_cndmask_b32_e32 v17, v20, v19, vcc
	v_cndmask_b32_e32 v16, v16, v18, vcc
	v_lshlrev_b32_e32 v6, 24, v6
	v_lshlrev_b32_e32 v16, 20, v16
	v_and_b32_e32 v6, 0x80000000, v6
	v_lshl_add_u32 v17, v17, 23, v10
	v_or3_b32 v6, v6, v17, v16
	v_lshrrev_b32_e32 v16, 16, v6
.LBB776_1170:                           ;   in Loop: Header=BB776_794 Depth=1
	s_or_b64 exec, exec, s[18:19]
.LBB776_1171:                           ;   in Loop: Header=BB776_794 Depth=1
	s_or_b64 exec, exec, s[16:17]
.LBB776_1172:                           ;   in Loop: Header=BB776_794 Depth=1
	s_or_b64 exec, exec, s[14:15]
	v_cmp_lt_u32_e32 vcc, s25, v4
	v_mov_b32_e32 v17, 0
	s_and_saveexec_b64 s[14:15], vcc
	s_cbranch_execz .LBB776_793
; %bb.1173:                             ;   in Loop: Header=BB776_794 Depth=1
	v_lshrrev_b32_e32 v6, 24, v4
	v_cmp_ne_u32_e32 vcc, s21, v6
	v_mov_b32_e32 v17, 0xffff8000
	s_and_saveexec_b64 s[16:17], vcc
	s_cbranch_execz .LBB776_792
; %bb.1174:                             ;   in Loop: Header=BB776_794 Depth=1
	v_bfe_u32 v4, v4, 24, 7
	v_cmp_ne_u32_e32 vcc, s23, v4
	v_mov_b32_e32 v17, 0x7f80
	s_and_saveexec_b64 s[18:19], vcc
	s_cbranch_execz .LBB776_791
; %bb.1175:                             ;   in Loop: Header=BB776_794 Depth=1
	v_and_b32_e32 v17, 7, v6
	v_ffbh_u32_e32 v18, v17
	v_min_u32_e32 v21, 32, v18
	v_subrev_u32_e32 v18, 28, v21
	v_lshlrev_b64 v[18:19], v18, v[6:7]
	v_lshrrev_b32_e32 v20, 3, v4
	v_sub_u32_e32 v19, 29, v21
	v_and_b32_e32 v18, 7, v18
	v_cmp_gt_u32_e32 vcc, 8, v4
	v_cndmask_b32_e32 v4, v20, v19, vcc
	v_cndmask_b32_e32 v17, v17, v18, vcc
	v_lshlrev_b32_e32 v6, 24, v6
	v_lshlrev_b32_e32 v17, 20, v17
	v_and_b32_e32 v6, 0x80000000, v6
	v_lshl_add_u32 v4, v4, 23, v10
	v_or3_b32 v4, v6, v4, v17
	v_lshrrev_b32_e32 v17, 16, v4
	s_branch .LBB776_791
.LBB776_1176:
	s_or_b64 exec, exec, s[6:7]
	v_cmp_gt_u32_e32 vcc, 64, v0
	s_waitcnt lgkmcnt(0)
	s_barrier
	s_and_saveexec_b64 s[6:7], vcc
	s_cbranch_execz .LBB776_1178
; %bb.1177:
	v_mul_u32_u24_e32 v6, 40, v1
	ds_read2_b64 v[2:5], v6 offset1:1
	ds_read2_b64 v[6:9], v6 offset0:2 offset1:3
	s_mov_b32 s5, 0
	s_lshl_b32 s4, s4, 7
	s_lshl_b64 s[6:7], s[4:5], 1
	s_waitcnt lgkmcnt(1)
	v_and_b32_e32 v10, 0xffff0000, v2
	v_lshlrev_b32_e32 v3, 16, v3
	v_add_f32_e32 v10, 0, v10
	v_add_f32_e32 v3, 0, v3
	v_and_b32_e32 v10, 0xffff0000, v10
	v_and_b32_e32 v11, 0xffff0000, v4
	;; [unrolled: 1-line block ×3, first 2 shown]
	v_add_f32_e32 v10, v10, v11
	v_lshlrev_b32_e32 v5, 16, v5
	v_and_b32_e32 v10, 0xffff0000, v10
	v_add_f32_e32 v3, v3, v5
	s_waitcnt lgkmcnt(0)
	v_and_b32_e32 v5, 0xffff0000, v6
	v_and_b32_e32 v3, 0xffff0000, v3
	v_add_f32_e32 v5, v10, v5
	v_lshlrev_b32_e32 v7, 16, v7
	v_and_b32_e32 v5, 0xffff0000, v5
	v_add_f32_e32 v3, v3, v7
	v_and_b32_e32 v7, 0xffff0000, v8
	v_add_f32_e32 v18, v5, v7
	v_mov_b32_e32 v7, 0xa00
	v_mad_u32_u24 v7, v1, 40, v7
	ds_read2_b64 v[10:13], v7 offset1:1
	v_and_b32_e32 v3, 0xffff0000, v3
	v_lshlrev_b32_e32 v5, 16, v9
	v_add_f32_e32 v9, v3, v5
	v_mov_b32_e32 v3, 0xa10
	v_mad_u32_u24 v1, v1, 40, v3
	ds_read2_b64 v[14:17], v1 offset1:1
	s_waitcnt lgkmcnt(1)
	v_lshlrev_b32_e32 v1, 16, v10
	v_add_f32_e32 v1, 0, v1
	v_and_b32_e32 v3, 0xffff0000, v10
	v_and_b32_e32 v1, 0xffff0000, v1
	v_add_f32_e32 v3, 0, v3
	v_lshlrev_b32_e32 v5, 16, v11
	v_lshlrev_b32_e32 v7, 16, v12
	v_and_b32_e32 v3, 0xffff0000, v3
	v_add_f32_e32 v5, 0, v5
	v_add_f32_e32 v1, v1, v7
	v_and_b32_e32 v7, 0xffff0000, v12
	v_and_b32_e32 v5, 0xffff0000, v5
	v_add_f32_e32 v3, v3, v7
	v_lshlrev_b32_e32 v7, 16, v13
	v_and_b32_e32 v1, 0xffff0000, v1
	v_add_f32_e32 v5, v5, v7
	s_waitcnt lgkmcnt(0)
	v_lshlrev_b32_e32 v7, 16, v14
	v_and_b32_e32 v3, 0xffff0000, v3
	v_add_f32_e32 v1, v1, v7
	v_and_b32_e32 v7, 0xffff0000, v14
	v_and_b32_e32 v5, 0xffff0000, v5
	v_add_f32_e32 v3, v3, v7
	v_lshlrev_b32_e32 v7, 16, v15
	v_and_b32_e32 v1, 0xffff0000, v1
	v_add_f32_e32 v5, v5, v7
	v_lshlrev_b32_e32 v7, 16, v16
	v_and_b32_e32 v3, 0xffff0000, v3
	v_add_f32_e32 v10, v1, v7
	v_and_b32_e32 v1, 0xffff0000, v16
	v_and_b32_e32 v5, 0xffff0000, v5
	v_add_f32_e32 v11, v3, v1
	v_lshlrev_b32_e32 v1, 16, v17
	v_add_f32_e32 v12, v5, v1
	v_lshlrev_b32_e32 v1, 16, v2
	s_add_u32 s6, s36, s6
	v_add_f32_e32 v1, 0, v1
	s_addc_u32 s7, s37, s7
	s_lshl_b32 s4, s34, 7
	v_and_b32_e32 v1, 0xffff0000, v1
	v_lshlrev_b32_e32 v2, 16, v4
	s_lshl_b64 s[4:5], s[4:5], 1
	v_add_f32_e32 v1, v1, v2
	s_add_u32 s4, s6, s4
	v_and_b32_e32 v1, 0xffff0000, v1
	v_lshlrev_b32_e32 v2, 16, v6
	s_addc_u32 s5, s7, s5
	s_lshl_b32 s6, s33, 7
	v_add_f32_e32 v1, v1, v2
	v_and_b32_e32 v1, 0xffff0000, v1
	v_lshlrev_b32_e32 v2, 16, v8
	s_mul_i32 s7, s6, s24
	v_add_f32_e32 v1, v1, v2
	v_or_b32_e32 v2, s7, v0
	v_mov_b32_e32 v3, 0
	v_lshlrev_b64 v[4:5], 1, v[2:3]
	v_mov_b32_e32 v2, s5
	v_add_co_u32_e32 v4, vcc, s4, v4
	s_add_i32 s7, s7, s6
	v_addc_co_u32_e32 v5, vcc, v2, v5, vcc
	v_or_b32_e32 v2, s7, v0
	v_lshlrev_b64 v[6:7], 1, v[2:3]
	s_add_i32 s7, s7, s6
	global_store_short_d16_hi v[4:5], v1, off
	v_mov_b32_e32 v1, s5
	v_add_co_u32_e32 v6, vcc, s4, v6
	v_or_b32_e32 v2, s7, v0
	v_addc_co_u32_e32 v7, vcc, v1, v7, vcc
	v_lshlrev_b64 v[0:1], 1, v[2:3]
	v_mov_b32_e32 v2, s5
	v_add_co_u32_e32 v0, vcc, s4, v0
	v_addc_co_u32_e32 v1, vcc, v2, v1, vcc
	global_store_short_d16_hi v[6:7], v18, off
	global_store_short_d16_hi v[0:1], v9, off
	global_store_short_d16_hi v[4:5], v10, off offset:128
	global_store_short_d16_hi v[6:7], v11, off offset:128
	;; [unrolled: 1-line block ×3, first 2 shown]
.LBB776_1178:
	s_endpgm
	.section	.rodata,"a",@progbits
	.p2align	6, 0x0
	.amdhsa_kernel _Z38paged_attention_ll4mi_QKV_mfma4_kernelI14__hip_bfloat16hLN4vllm18Fp8KVCacheDataTypeE1ES0_Li16ELi128ELi256ELb0ELi3EEvPKT_PKT0_S8_ifPKiSA_SA_iPKfiiiPfSD_PS3_PT2_iSC_SC_
		.amdhsa_group_segment_fixed_size 5280
		.amdhsa_private_segment_fixed_size 144
		.amdhsa_kernarg_size 400
		.amdhsa_user_sgpr_count 8
		.amdhsa_user_sgpr_private_segment_buffer 1
		.amdhsa_user_sgpr_dispatch_ptr 0
		.amdhsa_user_sgpr_queue_ptr 0
		.amdhsa_user_sgpr_kernarg_segment_ptr 1
		.amdhsa_user_sgpr_dispatch_id 0
		.amdhsa_user_sgpr_flat_scratch_init 1
		.amdhsa_user_sgpr_kernarg_preload_length 0
		.amdhsa_user_sgpr_kernarg_preload_offset 0
		.amdhsa_user_sgpr_private_segment_size 0
		.amdhsa_uses_dynamic_stack 0
		.amdhsa_system_sgpr_private_segment_wavefront_offset 1
		.amdhsa_system_sgpr_workgroup_id_x 1
		.amdhsa_system_sgpr_workgroup_id_y 1
		.amdhsa_system_sgpr_workgroup_id_z 1
		.amdhsa_system_sgpr_workgroup_info 0
		.amdhsa_system_vgpr_workitem_id 0
		.amdhsa_next_free_vgpr 72
		.amdhsa_next_free_sgpr 46
		.amdhsa_accum_offset 68
		.amdhsa_reserve_vcc 1
		.amdhsa_reserve_flat_scratch 0
		.amdhsa_float_round_mode_32 0
		.amdhsa_float_round_mode_16_64 0
		.amdhsa_float_denorm_mode_32 3
		.amdhsa_float_denorm_mode_16_64 3
		.amdhsa_dx10_clamp 1
		.amdhsa_ieee_mode 1
		.amdhsa_fp16_overflow 0
		.amdhsa_tg_split 0
		.amdhsa_exception_fp_ieee_invalid_op 0
		.amdhsa_exception_fp_denorm_src 0
		.amdhsa_exception_fp_ieee_div_zero 0
		.amdhsa_exception_fp_ieee_overflow 0
		.amdhsa_exception_fp_ieee_underflow 0
		.amdhsa_exception_fp_ieee_inexact 0
		.amdhsa_exception_int_div_zero 0
	.end_amdhsa_kernel
	.section	.text._Z38paged_attention_ll4mi_QKV_mfma4_kernelI14__hip_bfloat16hLN4vllm18Fp8KVCacheDataTypeE1ES0_Li16ELi128ELi256ELb0ELi3EEvPKT_PKT0_S8_ifPKiSA_SA_iPKfiiiPfSD_PS3_PT2_iSC_SC_,"axG",@progbits,_Z38paged_attention_ll4mi_QKV_mfma4_kernelI14__hip_bfloat16hLN4vllm18Fp8KVCacheDataTypeE1ES0_Li16ELi128ELi256ELb0ELi3EEvPKT_PKT0_S8_ifPKiSA_SA_iPKfiiiPfSD_PS3_PT2_iSC_SC_,comdat
.Lfunc_end776:
	.size	_Z38paged_attention_ll4mi_QKV_mfma4_kernelI14__hip_bfloat16hLN4vllm18Fp8KVCacheDataTypeE1ES0_Li16ELi128ELi256ELb0ELi3EEvPKT_PKT0_S8_ifPKiSA_SA_iPKfiiiPfSD_PS3_PT2_iSC_SC_, .Lfunc_end776-_Z38paged_attention_ll4mi_QKV_mfma4_kernelI14__hip_bfloat16hLN4vllm18Fp8KVCacheDataTypeE1ES0_Li16ELi128ELi256ELb0ELi3EEvPKT_PKT0_S8_ifPKiSA_SA_iPKfiiiPfSD_PS3_PT2_iSC_SC_
                                        ; -- End function
	.section	.AMDGPU.csdata,"",@progbits
; Kernel info:
; codeLenInByte = 42764
; NumSgprs: 50
; NumVgprs: 66
; NumAgprs: 4
; TotalNumVgprs: 72
; ScratchSize: 144
; MemoryBound: 0
; FloatMode: 240
; IeeeMode: 1
; LDSByteSize: 5280 bytes/workgroup (compile time only)
; SGPRBlocks: 6
; VGPRBlocks: 8
; NumSGPRsForWavesPerEU: 50
; NumVGPRsForWavesPerEU: 72
; AccumOffset: 68
; Occupancy: 7
; WaveLimiterHint : 1
; COMPUTE_PGM_RSRC2:SCRATCH_EN: 1
; COMPUTE_PGM_RSRC2:USER_SGPR: 8
; COMPUTE_PGM_RSRC2:TRAP_HANDLER: 0
; COMPUTE_PGM_RSRC2:TGID_X_EN: 1
; COMPUTE_PGM_RSRC2:TGID_Y_EN: 1
; COMPUTE_PGM_RSRC2:TGID_Z_EN: 1
; COMPUTE_PGM_RSRC2:TIDIG_COMP_CNT: 0
; COMPUTE_PGM_RSRC3_GFX90A:ACCUM_OFFSET: 16
; COMPUTE_PGM_RSRC3_GFX90A:TG_SPLIT: 0
	.section	.text._Z38paged_attention_ll4mi_QKV_mfma4_kernelI14__hip_bfloat16hLN4vllm18Fp8KVCacheDataTypeE1ES0_Li16ELi128ELi256ELb0ELi4EEvPKT_PKT0_S8_ifPKiSA_SA_iPKfiiiPfSD_PS3_PT2_iSC_SC_,"axG",@progbits,_Z38paged_attention_ll4mi_QKV_mfma4_kernelI14__hip_bfloat16hLN4vllm18Fp8KVCacheDataTypeE1ES0_Li16ELi128ELi256ELb0ELi4EEvPKT_PKT0_S8_ifPKiSA_SA_iPKfiiiPfSD_PS3_PT2_iSC_SC_,comdat
	.protected	_Z38paged_attention_ll4mi_QKV_mfma4_kernelI14__hip_bfloat16hLN4vllm18Fp8KVCacheDataTypeE1ES0_Li16ELi128ELi256ELb0ELi4EEvPKT_PKT0_S8_ifPKiSA_SA_iPKfiiiPfSD_PS3_PT2_iSC_SC_ ; -- Begin function _Z38paged_attention_ll4mi_QKV_mfma4_kernelI14__hip_bfloat16hLN4vllm18Fp8KVCacheDataTypeE1ES0_Li16ELi128ELi256ELb0ELi4EEvPKT_PKT0_S8_ifPKiSA_SA_iPKfiiiPfSD_PS3_PT2_iSC_SC_
	.globl	_Z38paged_attention_ll4mi_QKV_mfma4_kernelI14__hip_bfloat16hLN4vllm18Fp8KVCacheDataTypeE1ES0_Li16ELi128ELi256ELb0ELi4EEvPKT_PKT0_S8_ifPKiSA_SA_iPKfiiiPfSD_PS3_PT2_iSC_SC_
	.p2align	8
	.type	_Z38paged_attention_ll4mi_QKV_mfma4_kernelI14__hip_bfloat16hLN4vllm18Fp8KVCacheDataTypeE1ES0_Li16ELi128ELi256ELb0ELi4EEvPKT_PKT0_S8_ifPKiSA_SA_iPKfiiiPfSD_PS3_PT2_iSC_SC_,@function
_Z38paged_attention_ll4mi_QKV_mfma4_kernelI14__hip_bfloat16hLN4vllm18Fp8KVCacheDataTypeE1ES0_Li16ELi128ELi256ELb0ELi4EEvPKT_PKT0_S8_ifPKiSA_SA_iPKfiiiPfSD_PS3_PT2_iSC_SC_: ; @_Z38paged_attention_ll4mi_QKV_mfma4_kernelI14__hip_bfloat16hLN4vllm18Fp8KVCacheDataTypeE1ES0_Li16ELi128ELi256ELb0ELi4EEvPKT_PKT0_S8_ifPKiSA_SA_iPKfiiiPfSD_PS3_PT2_iSC_SC_
; %bb.0:
	s_load_dwordx2 s[12:13], s[4:5], 0x30
	s_add_u32 s0, s0, s11
	s_addc_u32 s1, s1, 0
	s_mov_b32 s28, s9
	s_mov_b64 s[6:7], 0
	s_waitcnt lgkmcnt(0)
	s_cmp_lg_u64 s[12:13], 0
	s_cselect_b64 s[14:15], -1, 0
	s_and_b64 vcc, exec, s[14:15]
	s_cbranch_vccz .LBB777_1170
; %bb.1:
	s_add_i32 s16, s8, 1
	s_mov_b32 s17, 0
	s_lshl_b64 s[18:19], s[16:17], 2
	s_add_u32 s18, s12, s18
	s_mov_b32 s9, s17
	s_addc_u32 s19, s13, s19
	s_lshl_b64 s[16:17], s[8:9], 2
	s_add_u32 s16, s12, s16
	s_addc_u32 s17, s13, s17
	s_load_dword s11, s[18:19], 0x0
	s_load_dword s20, s[16:17], 0x0
	s_mov_b64 s[38:39], s[8:9]
	s_waitcnt lgkmcnt(0)
	s_sub_i32 s11, s11, s20
	s_cmp_eq_u32 s11, 1
	s_cselect_b64 s[16:17], -1, 0
	s_andn2_b64 vcc, exec, s[6:7]
	s_cbranch_vccnz .LBB777_3
.LBB777_2:
	s_mov_b32 s9, 0
	s_mov_b64 s[16:17], -1
	s_mov_b64 s[38:39], s[8:9]
.LBB777_3:
	s_andn2_b64 vcc, exec, s[16:17]
	s_cbranch_vccnz .LBB777_1173
; %bb.4:
	s_load_dword s9, s[4:5], 0x9c
	s_load_dwordx2 s[6:7], s[4:5], 0x28
	s_add_u32 s34, s4, 0x90
	s_addc_u32 s35, s5, 0
	s_lshl_b64 s[40:41], s[38:39], 2
	s_waitcnt lgkmcnt(0)
	s_and_b32 s11, s9, 0xffff
	s_add_u32 s6, s6, s40
	s_addc_u32 s7, s7, s41
	s_load_dword s9, s[6:7], 0x0
	s_mul_i32 s11, s28, s11
	s_waitcnt lgkmcnt(0)
	s_cmp_ge_i32 s11, s9
	s_cbranch_scc1 .LBB777_1173
; %bb.5:
	v_and_b32_e32 v1, 0xc0, v0
	v_add_u32_e32 v7, s11, v1
	v_lshrrev_b32_e32 v42, 6, v0
	v_cmp_le_i32_e64 s[6:7], s9, v7
                                        ; implicit-def: $sgpr19
                                        ; implicit-def: $sgpr18
	s_and_saveexec_b64 s[16:17], s[6:7]
	s_xor_b64 s[16:17], exec, s[16:17]
	s_cbranch_execz .LBB777_7
; %bb.6:
	v_mul_u32_u24_e32 v1, 20, v42
	v_or_b32_e32 v1, 0x1400, v1
	v_mov_b32_e32 v2, 0x1450
	v_mov_b32_e32 v3, 0xff7fffff
	v_mad_u32_u24 v2, v42, 20, v2
	ds_write2_b32 v1, v3, v3 offset1:1
	v_mov_b32_e32 v1, 0
	ds_write2_b32 v2, v1, v1 offset1:1
	v_mov_b32_e32 v2, 0x1408
	s_mov_b32 s18, 0xff7fffff
	s_mov_b32 s19, 0
	v_mad_u32_u24 v2, v42, 20, v2
	v_mov_b32_e32 v4, 0x1458
	v_mad_u32_u24 v4, v42, 20, v4
	ds_write2_b32 v2, v3, v3 offset1:1
	ds_write2_b32 v4, v1, v1 offset1:1
                                        ; implicit-def: $vgpr7
.LBB777_7:
	s_or_saveexec_b64 s[36:37], s[16:17]
	s_load_dwordx2 s[30:31], s[4:5], 0x68
	s_load_dwordx4 s[24:27], s[4:5], 0x58
	s_load_dword s33, s[34:35], 0x4
	s_load_dwordx4 s[20:23], s[4:5], 0x80
	v_and_b32_e32 v1, 63, v0
	v_and_b32_e32 v43, 3, v0
	v_mov_b32_e32 v5, s19
	v_mov_b32_e32 v6, s18
	v_mov_b32_e32 v4, s19
	v_mov_b32_e32 v3, s19
	v_mov_b32_e32 v2, s19
	s_xor_b64 exec, exec, s[36:37]
	s_cbranch_execz .LBB777_781
; %bb.8:
	s_add_i32 s19, s9, 15
	s_ashr_i32 s29, s19, 31
	s_load_dwordx2 s[16:17], s[4:5], 0x20
	s_load_dword s18, s[4:5], 0x38
	s_lshr_b32 s29, s29, 28
	v_add_u32_e32 v44, s11, v0
	s_add_i32 s19, s19, s29
	v_ashrrev_i32_e32 v2, 31, v44
	s_ashr_i32 s19, s19, 4
	v_lshrrev_b32_e32 v2, 28, v2
	s_add_i32 s29, s19, -1
	v_add_u32_e32 v2, v44, v2
	v_ashrrev_i32_e32 v2, 4, v2
	v_mov_b32_e32 v3, s29
	v_cmp_gt_i32_e32 vcc, s9, v44
	s_waitcnt lgkmcnt(0)
	s_mul_i32 s42, s8, s18
	s_mov_b32 s43, 0
	v_cndmask_b32_e32 v2, v3, v2, vcc
	s_lshl_b64 s[18:19], s[42:43], 2
	v_ashrrev_i32_e32 v3, 31, v2
	s_add_u32 s16, s16, s18
	v_lshlrev_b64 v[2:3], 2, v[2:3]
	v_add_co_u32_e32 v8, vcc, s16, v2
	v_ashrrev_i32_e32 v2, 31, v7
	s_addc_u32 s17, s17, s19
	v_lshrrev_b32_e32 v2, 28, v2
	v_mov_b32_e32 v4, s17
	v_add_u32_e32 v2, v7, v2
	v_addc_co_u32_e32 v9, vcc, v4, v3, vcc
	v_ashrrev_i32_e32 v4, 4, v2
	v_min_i32_e32 v2, s29, v4
	v_ashrrev_i32_e32 v3, 31, v2
	v_lshlrev_b64 v[2:3], 2, v[2:3]
	v_add_co_u32_e32 v10, vcc, s16, v2
	v_add_u32_e32 v2, 1, v4
	v_mov_b32_e32 v5, s17
	v_min_i32_e32 v2, s29, v2
	v_addc_co_u32_e32 v11, vcc, v5, v3, vcc
	v_ashrrev_i32_e32 v3, 31, v2
	v_lshlrev_b64 v[2:3], 2, v[2:3]
	v_add_co_u32_e32 v12, vcc, s16, v2
	v_add_u32_e32 v2, 2, v4
	v_min_i32_e32 v2, s29, v2
	v_addc_co_u32_e32 v13, vcc, v5, v3, vcc
	v_ashrrev_i32_e32 v3, 31, v2
	v_lshlrev_b64 v[2:3], 2, v[2:3]
	v_add_co_u32_e32 v14, vcc, s16, v2
	v_add_u32_e32 v2, 3, v4
	v_min_i32_e32 v2, s29, v2
	v_addc_co_u32_e32 v15, vcc, v5, v3, vcc
	v_ashrrev_i32_e32 v3, 31, v2
	v_lshlrev_b64 v[2:3], 2, v[2:3]
	v_mov_b32_e32 v4, s17
	v_add_co_u32_e32 v16, vcc, s16, v2
	v_addc_co_u32_e32 v17, vcc, v4, v3, vcc
	global_load_dword v6, v[8:9], off
	global_load_dword v5, v[10:11], off
	;; [unrolled: 1-line block ×5, first 2 shown]
	s_load_dwordx4 s[16:19], s[4:5], 0x0
	s_load_dwordx2 s[44:45], s[4:5], 0x10
	s_andn2_b64 vcc, exec, s[14:15]
	s_cbranch_vccnz .LBB777_10
; %bb.9:
	s_add_u32 s12, s12, s40
	s_addc_u32 s13, s13, s41
	s_load_dword s42, s[12:13], 0x0
	s_waitcnt lgkmcnt(0)
	s_mov_b64 s[38:39], s[42:43]
.LBB777_10:
	s_load_dwordx4 s[12:15], s[4:5], 0x48
	v_mov_b32_e32 v39, 0
	v_lshlrev_b32_e32 v45, 4, v1
	s_waitcnt lgkmcnt(0)
	s_ashr_i32 s11, s12, 31
	s_mul_hi_u32 s15, s38, s12
	s_mul_i32 s11, s38, s11
	s_mul_i32 s29, s39, s12
	s_add_i32 s11, s15, s11
	s_mul_i32 s40, s38, s12
	s_add_i32 s41, s11, s29
	s_lshl_b64 s[38:39], s[40:41], 1
	s_add_u32 s11, s16, s38
	s_addc_u32 s12, s17, s39
	s_lshl_b32 s42, s10, 9
	s_lshl_b64 s[16:17], s[42:43], 1
	s_add_u32 s16, s11, s16
	s_addc_u32 s17, s12, s17
	s_mul_i32 s11, s10, s14
	s_waitcnt vmcnt(3)
	v_mul_hi_i32 v7, v5, s13
	s_add_u32 s14, s11, s18
	v_ashrrev_i32_e32 v7, 31, v7
	s_addc_u32 s15, 0, s19
	v_lshrrev_b32_e32 v38, 29, v7
	s_add_u32 s11, s44, s11
	v_mad_i64_i32 v[8:9], s[18:19], v5, s13, v[38:39]
	s_addc_u32 s29, s45, 0
	v_and_b32_e32 v5, -8, v8
	v_mov_b32_e32 v7, s29
	v_add_co_u32_e32 v5, vcc, s11, v5
	v_addc_co_u32_e32 v7, vcc, v7, v9, vcc
	v_add_co_u32_e32 v12, vcc, v5, v45
	s_waitcnt vmcnt(2)
	v_mul_hi_i32 v5, v4, s13
	v_ashrrev_i32_e32 v5, 31, v5
	v_lshrrev_b32_e32 v38, 29, v5
	v_mad_i64_i32 v[4:5], s[18:19], v4, s13, v[38:39]
	v_addc_co_u32_e32 v13, vcc, 0, v7, vcc
	v_and_b32_e32 v4, -8, v4
	v_mov_b32_e32 v7, s29
	v_add_co_u32_e32 v4, vcc, s11, v4
	global_load_dwordx4 v[8:11], v[12:13], off
	global_load_dwordx4 v[46:49], v[12:13], off offset:1024
	v_addc_co_u32_e32 v5, vcc, v7, v5, vcc
	v_add_co_u32_e32 v4, vcc, v4, v45
	v_addc_co_u32_e32 v5, vcc, 0, v5, vcc
	global_load_dwordx4 v[50:53], v[4:5], off
	global_load_dwordx4 v[54:57], v[4:5], off offset:1024
	v_lshlrev_b32_e32 v5, 4, v0
	v_and_b32_e32 v16, 0xf0, v5
	s_waitcnt vmcnt(5)
	v_mul_hi_i32 v5, v2, s13
	s_waitcnt vmcnt(4)
	v_mul_hi_i32 v7, v3, s13
	v_ashrrev_i32_e32 v5, 31, v5
	v_ashrrev_i32_e32 v7, 31, v7
	v_lshrrev_b32_e32 v38, 29, v5
	v_lshlrev_b32_e32 v4, 2, v1
	v_mad_i64_i32 v[12:13], s[18:19], v2, s13, v[38:39]
	v_lshrrev_b32_e32 v38, 29, v7
	v_pk_mov_b32 v[14:15], s[14:15], s[14:15] op_sel:[0,1]
	v_and_b32_e32 v4, 0xf0, v4
	v_and_b32_e32 v12, -8, v12
	v_mad_i64_i32 v[40:41], s[18:19], v3, s13, v[38:39]
	v_mad_i64_i32 v[6:7], s[12:13], v6, s13, v[14:15]
	v_lshl_or_b32 v4, v43, 8, v4
	v_and_b32_e32 v17, -8, v40
	v_add_co_u32_e32 v12, vcc, s11, v12
	v_add_co_u32_e64 v66, s[14:15], v6, v16
	v_mov_b32_e32 v14, s29
	global_load_dwordx4 v[2:5], v4, s[16:17]
	v_add_co_u32_e64 v38, s[12:13], s11, v17
	v_add_co_u32_e64 v6, s[16:17], v12, v45
	v_mov_b32_e32 v12, s29
	v_addc_co_u32_e64 v67, s[14:15], 0, v7, s[14:15]
	v_addc_co_u32_e32 v7, vcc, v14, v13, vcc
	global_load_dwordx4 v[34:37], v[66:67], off
	global_load_dwordx4 v[30:33], v[66:67], off offset:256
	global_load_dwordx4 v[26:29], v[66:67], off offset:512
	;; [unrolled: 1-line block ×4, first 2 shown]
	v_addc_co_u32_e64 v7, vcc, 0, v7, s[16:17]
	s_waitcnt vmcnt(9)
	buffer_store_dword v9, off, s[0:3], 0 offset:4
	buffer_store_dword v8, off, s[0:3], 0
	buffer_store_dword v11, off, s[0:3], 0 offset:12
	buffer_store_dword v10, off, s[0:3], 0 offset:8
	v_addc_co_u32_e64 v9, vcc, v12, v41, s[12:13]
	v_add_co_u32_e32 v8, vcc, v38, v45
	global_load_dwordx4 v[14:17], v[66:67], off offset:1280
	global_load_dwordx4 v[58:61], v[6:7], off
	global_load_dwordx4 v[62:65], v[6:7], off offset:1024
	v_addc_co_u32_e32 v9, vcc, 0, v9, vcc
	s_waitcnt vmcnt(15)
	buffer_store_dword v47, off, s[0:3], 0 offset:68
	buffer_store_dword v46, off, s[0:3], 0 offset:64
	;; [unrolled: 1-line block ×4, first 2 shown]
	global_load_dwordx4 v[46:49], v[8:9], off
	s_waitcnt vmcnt(19)
	buffer_store_dword v51, off, s[0:3], 0 offset:20
	buffer_store_dword v50, off, s[0:3], 0 offset:16
	;; [unrolled: 1-line block ×4, first 2 shown]
	global_load_dwordx4 v[50:53], v[8:9], off offset:1024
	s_waitcnt vmcnt(23)
	buffer_store_dword v55, off, s[0:3], 0 offset:84
	buffer_store_dword v54, off, s[0:3], 0 offset:80
	;; [unrolled: 1-line block ×4, first 2 shown]
	global_load_dwordx4 v[10:13], v[66:67], off offset:1536
	global_load_dwordx4 v[6:9], v[66:67], off offset:1792
	v_mov_b32_e32 v45, 0
	s_waitcnt vmcnt(17)
	buffer_store_dword v59, off, s[0:3], 0 offset:36
	buffer_store_dword v58, off, s[0:3], 0 offset:32
	buffer_store_dword v61, off, s[0:3], 0 offset:44
	buffer_store_dword v60, off, s[0:3], 0 offset:40
	s_waitcnt vmcnt(20)
	buffer_store_dword v63, off, s[0:3], 0 offset:100
	buffer_store_dword v62, off, s[0:3], 0 offset:96
	buffer_store_dword v65, off, s[0:3], 0 offset:108
	buffer_store_dword v64, off, s[0:3], 0 offset:104
	;; [unrolled: 5-line block ×4, first 2 shown]
	v_cmp_ne_u16_sdwa s[14:15], v34, v39 src0_sel:BYTE_0 src1_sel:DWORD
	s_and_saveexec_b64 s[12:13], s[14:15]
	s_cbranch_execz .LBB777_16
; %bb.11:
	s_movk_i32 s11, 0x80
	v_cmp_ne_u16_sdwa s[16:17], v34, s11 src0_sel:BYTE_0 src1_sel:DWORD
	v_mov_b32_e32 v45, 0xffff8000
	s_and_saveexec_b64 s[14:15], s[16:17]
	s_cbranch_execz .LBB777_15
; %bb.12:
	s_movk_i32 s11, 0x7f
	v_and_b32_e32 v38, 0x7f, v34
	v_cmp_ne_u32_e32 vcc, s11, v38
	v_mov_b32_e32 v45, 0x7f80
	s_and_saveexec_b64 s[16:17], vcc
	s_cbranch_execz .LBB777_14
; %bb.13:
	v_and_b32_e32 v40, 7, v34
	v_ffbh_u32_e32 v40, v40
	v_min_u32_e32 v40, 32, v40
	v_lshrrev_b32_e32 v41, 3, v38
	v_subrev_u32_e32 v45, 28, v40
	v_sub_u32_e32 v40, 29, v40
	v_cmp_gt_u32_e32 vcc, 8, v38
	v_cndmask_b32_e32 v38, v41, v40, vcc
	v_cndmask_b32_e32 v40, 0, v45, vcc
	v_lshlrev_b64 v[40:41], v40, v[34:35]
	v_lshlrev_b32_e32 v40, 20, v40
	v_lshlrev_b32_e32 v41, 24, v34
	v_bfrev_b32_e32 v45, 60
	v_and_b32_e32 v40, 0x700000, v40
	v_and_b32_e32 v41, 0x80000000, v41
	v_lshl_add_u32 v38, v38, 23, v45
	v_or3_b32 v38, v41, v38, v40
	v_lshrrev_b32_e32 v45, 16, v38
.LBB777_14:
	s_or_b64 exec, exec, s[16:17]
.LBB777_15:
	s_or_b64 exec, exec, s[14:15]
.LBB777_16:
	s_or_b64 exec, exec, s[12:13]
	v_lshrrev_b16_e32 v38, 8, v34
	v_cmp_ne_u16_e32 vcc, 0, v38
	s_and_saveexec_b64 s[12:13], vcc
	s_cbranch_execz .LBB777_22
; %bb.17:
	s_movk_i32 s11, 0x80
	v_cmp_ne_u16_sdwa s[16:17], v34, s11 src0_sel:BYTE_1 src1_sel:DWORD
	v_mov_b32_e32 v39, 0xffff8000
	s_and_saveexec_b64 s[14:15], s[16:17]
	s_cbranch_execz .LBB777_21
; %bb.18:
	s_movk_i32 s11, 0x7f
	v_and_b32_e32 v40, 0x7f, v38
	v_cmp_ne_u32_e32 vcc, s11, v40
	v_mov_b32_e32 v39, 0x7f80
	s_and_saveexec_b64 s[16:17], vcc
	s_cbranch_execz .LBB777_20
; %bb.19:
	v_and_b32_e32 v41, 7, v38
	v_ffbh_u32_e32 v39, v41
	v_min_u32_e32 v47, 32, v39
	v_subrev_u32_e32 v39, 28, v47
	v_lshlrev_b64 v[38:39], v39, v[38:39]
	v_lshrrev_b32_e32 v46, 3, v40
	v_sub_u32_e32 v39, 29, v47
	v_and_b32_e32 v38, 7, v38
	v_cmp_gt_u32_e32 vcc, 8, v40
	v_cndmask_b32_e32 v39, v46, v39, vcc
	v_cndmask_b32_e32 v38, v41, v38, vcc
	v_lshlrev_b32_e32 v40, 16, v34
	v_bfrev_b32_e32 v41, 60
	v_lshlrev_b32_e32 v38, 20, v38
	v_and_b32_e32 v40, 0x80000000, v40
	v_lshl_add_u32 v39, v39, 23, v41
	v_or3_b32 v38, v40, v39, v38
	v_lshrrev_b32_e32 v39, 16, v38
.LBB777_20:
	s_or_b64 exec, exec, s[16:17]
.LBB777_21:
	s_or_b64 exec, exec, s[14:15]
.LBB777_22:
	s_or_b64 exec, exec, s[12:13]
	s_movk_i32 s11, 0xff
	v_and_b32_sdwa v40, v34, s11 dst_sel:DWORD dst_unused:UNUSED_PAD src0_sel:WORD_1 src1_sel:DWORD
	v_lshrrev_b32_e32 v38, 16, v34
	v_cmp_ne_u16_e32 vcc, 0, v40
	v_mov_b32_e32 v41, 0
	v_mov_b32_e32 v46, 0
	s_and_saveexec_b64 s[12:13], vcc
	s_cbranch_execz .LBB777_28
; %bb.23:
	s_movk_i32 s11, 0x80
	v_cmp_ne_u16_e32 vcc, s11, v40
	v_mov_b32_e32 v46, 0xffff8000
	s_and_saveexec_b64 s[14:15], vcc
	s_cbranch_execz .LBB777_27
; %bb.24:
	v_bfe_u32 v40, v34, 16, 7
	s_movk_i32 s11, 0x7f
	v_cmp_ne_u32_e32 vcc, s11, v40
	v_mov_b32_e32 v46, 0x7f80
	s_and_saveexec_b64 s[16:17], vcc
	s_cbranch_execz .LBB777_26
; %bb.25:
	v_and_b32_e32 v48, 7, v38
	v_ffbh_u32_e32 v46, v48
	v_min_u32_e32 v50, 32, v46
	v_subrev_u32_e32 v46, 28, v50
	v_lshlrev_b64 v[46:47], v46, v[38:39]
	v_and_b32_e32 v46, 7, v46
	v_cmp_gt_u32_e32 vcc, 8, v40
	v_lshrrev_b32_e32 v49, 3, v40
	v_sub_u32_e32 v38, 29, v50
	v_cndmask_b32_e32 v40, v48, v46, vcc
	v_mov_b32_e32 v46, 24
	v_cndmask_b32_e32 v38, v49, v38, vcc
	v_lshlrev_b32_sdwa v46, v46, v34 dst_sel:DWORD dst_unused:UNUSED_PAD src0_sel:DWORD src1_sel:WORD_1
	v_bfrev_b32_e32 v47, 60
	v_lshlrev_b32_e32 v40, 20, v40
	v_and_b32_e32 v46, 0x80000000, v46
	v_lshl_add_u32 v38, v38, 23, v47
	v_or3_b32 v38, v46, v38, v40
	v_lshrrev_b32_e32 v46, 16, v38
.LBB777_26:
	s_or_b64 exec, exec, s[16:17]
.LBB777_27:
	s_or_b64 exec, exec, s[14:15]
.LBB777_28:
	s_or_b64 exec, exec, s[12:13]
	s_mov_b32 s11, 0xffffff
	v_cmp_lt_u32_e32 vcc, s11, v34
	v_mov_b32_e32 v47, 0
	s_and_saveexec_b64 s[12:13], vcc
	s_cbranch_execz .LBB777_34
; %bb.29:
	v_lshrrev_b32_e32 v38, 24, v34
	s_movk_i32 s11, 0x80
	v_cmp_ne_u32_e32 vcc, s11, v38
	v_mov_b32_e32 v47, 0xffff8000
	s_and_saveexec_b64 s[14:15], vcc
	s_cbranch_execz .LBB777_33
; %bb.30:
	v_bfe_u32 v40, v34, 24, 7
	s_movk_i32 s11, 0x7f
	v_cmp_ne_u32_e32 vcc, s11, v40
	v_mov_b32_e32 v47, 0x7f80
	s_and_saveexec_b64 s[16:17], vcc
	s_cbranch_execz .LBB777_32
; %bb.31:
	v_and_b32_e32 v47, 7, v38
	v_ffbh_u32_e32 v48, v47
	v_min_u32_e32 v51, 32, v48
	v_subrev_u32_e32 v48, 28, v51
	v_lshlrev_b64 v[48:49], v48, v[38:39]
	v_lshrrev_b32_e32 v50, 3, v40
	v_sub_u32_e32 v49, 29, v51
	v_and_b32_e32 v48, 7, v48
	v_cmp_gt_u32_e32 vcc, 8, v40
	v_cndmask_b32_e32 v40, v50, v49, vcc
	v_cndmask_b32_e32 v47, v47, v48, vcc
	v_lshlrev_b32_e32 v38, 24, v38
	v_bfrev_b32_e32 v48, 60
	v_lshlrev_b32_e32 v47, 20, v47
	v_and_b32_e32 v38, 0x80000000, v38
	v_lshl_add_u32 v40, v40, 23, v48
	v_or3_b32 v38, v38, v40, v47
	v_lshrrev_b32_e32 v47, 16, v38
.LBB777_32:
	s_or_b64 exec, exec, s[16:17]
.LBB777_33:
	s_or_b64 exec, exec, s[14:15]
.LBB777_34:
	s_or_b64 exec, exec, s[12:13]
	v_mov_b32_e32 v48, 0
	v_mov_b32_e32 v40, v35
	v_cmp_ne_u16_sdwa s[14:15], v35, v48 src0_sel:BYTE_0 src1_sel:DWORD
	v_mov_b32_e32 v49, 0
	s_and_saveexec_b64 s[12:13], s[14:15]
	s_cbranch_execz .LBB777_40
; %bb.35:
	s_movk_i32 s11, 0x80
	v_cmp_ne_u16_sdwa s[16:17], v35, s11 src0_sel:BYTE_0 src1_sel:DWORD
	v_mov_b32_e32 v49, 0xffff8000
	s_and_saveexec_b64 s[14:15], s[16:17]
	s_cbranch_execz .LBB777_39
; %bb.36:
	s_movk_i32 s11, 0x7f
	v_and_b32_e32 v38, 0x7f, v35
	v_cmp_ne_u32_e32 vcc, s11, v38
	v_mov_b32_e32 v49, 0x7f80
	s_and_saveexec_b64 s[16:17], vcc
	s_cbranch_execz .LBB777_38
; %bb.37:
	v_and_b32_e32 v49, 7, v35
	v_ffbh_u32_e32 v49, v49
	v_min_u32_e32 v49, 32, v49
	v_lshrrev_b32_e32 v50, 3, v38
	v_subrev_u32_e32 v51, 28, v49
	v_sub_u32_e32 v49, 29, v49
	v_cmp_gt_u32_e32 vcc, 8, v38
	v_cndmask_b32_e32 v38, v50, v49, vcc
	v_cndmask_b32_e32 v49, 0, v51, vcc
	v_lshlrev_b64 v[50:51], v49, v[40:41]
	v_lshlrev_b32_e32 v41, 20, v50
	v_lshlrev_b32_e32 v49, 24, v40
	v_bfrev_b32_e32 v50, 60
	v_and_b32_e32 v41, 0x700000, v41
	v_and_b32_e32 v49, 0x80000000, v49
	v_lshl_add_u32 v38, v38, 23, v50
	v_or3_b32 v38, v49, v38, v41
	v_lshrrev_b32_e32 v49, 16, v38
.LBB777_38:
	s_or_b64 exec, exec, s[16:17]
.LBB777_39:
	s_or_b64 exec, exec, s[14:15]
.LBB777_40:
	s_or_b64 exec, exec, s[12:13]
	v_lshrrev_b16_e32 v38, 8, v40
	v_cmp_ne_u16_e32 vcc, 0, v38
	s_and_saveexec_b64 s[12:13], vcc
	s_cbranch_execz .LBB777_46
; %bb.41:
	s_movk_i32 s11, 0x80
	v_cmp_ne_u16_e32 vcc, s11, v38
	v_mov_b32_e32 v48, 0xffff8000
	s_and_saveexec_b64 s[14:15], vcc
	s_cbranch_execz .LBB777_45
; %bb.42:
	s_movk_i32 s11, 0x7f
	v_and_b32_e32 v41, 0x7f, v38
	v_cmp_ne_u32_e32 vcc, s11, v41
	v_mov_b32_e32 v48, 0x7f80
	s_and_saveexec_b64 s[16:17], vcc
	s_cbranch_execz .LBB777_44
; %bb.43:
	v_and_b32_e32 v48, 7, v38
	v_ffbh_u32_e32 v50, v48
	v_min_u32_e32 v53, 32, v50
	v_subrev_u32_e32 v50, 28, v53
	v_lshlrev_b64 v[50:51], v50, v[38:39]
	v_lshrrev_b32_e32 v52, 3, v41
	v_sub_u32_e32 v38, 29, v53
	v_and_b32_e32 v50, 7, v50
	v_cmp_gt_u32_e32 vcc, 8, v41
	v_cndmask_b32_e32 v38, v52, v38, vcc
	v_cndmask_b32_e32 v41, v48, v50, vcc
	v_lshlrev_b32_e32 v40, 16, v40
	v_bfrev_b32_e32 v48, 60
	v_lshlrev_b32_e32 v41, 20, v41
	v_and_b32_e32 v40, 0x80000000, v40
	v_lshl_add_u32 v38, v38, 23, v48
	v_or3_b32 v38, v40, v38, v41
	v_lshrrev_b32_e32 v48, 16, v38
.LBB777_44:
	s_or_b64 exec, exec, s[16:17]
.LBB777_45:
	s_or_b64 exec, exec, s[14:15]
.LBB777_46:
	s_or_b64 exec, exec, s[12:13]
	s_movk_i32 s11, 0xff
	v_and_b32_sdwa v50, v35, s11 dst_sel:DWORD dst_unused:UNUSED_PAD src0_sel:WORD_1 src1_sel:DWORD
	v_lshrrev_b32_e32 v38, 16, v35
	v_cmp_ne_u16_e32 vcc, 0, v50
	v_mov_b32_e32 v40, 0
	v_mov_b32_e32 v41, 0
	s_and_saveexec_b64 s[12:13], vcc
	s_cbranch_execz .LBB777_52
; %bb.47:
	s_movk_i32 s11, 0x80
	v_cmp_ne_u16_e32 vcc, s11, v50
	v_mov_b32_e32 v41, 0xffff8000
	s_and_saveexec_b64 s[14:15], vcc
	s_cbranch_execz .LBB777_51
; %bb.48:
	v_bfe_u32 v50, v35, 16, 7
	s_movk_i32 s11, 0x7f
	v_cmp_ne_u32_e32 vcc, s11, v50
	v_mov_b32_e32 v41, 0x7f80
	s_and_saveexec_b64 s[16:17], vcc
	s_cbranch_execz .LBB777_50
; %bb.49:
	v_and_b32_e32 v41, 7, v38
	v_ffbh_u32_e32 v52, v41
	v_min_u32_e32 v54, 32, v52
	v_subrev_u32_e32 v52, 28, v54
	v_lshlrev_b64 v[52:53], v52, v[38:39]
	v_lshrrev_b32_e32 v51, 3, v50
	v_sub_u32_e32 v38, 29, v54
	v_and_b32_e32 v52, 7, v52
	v_cmp_gt_u32_e32 vcc, 8, v50
	v_mov_b32_e32 v50, 24
	v_cndmask_b32_e32 v38, v51, v38, vcc
	v_cndmask_b32_e32 v41, v41, v52, vcc
	v_lshlrev_b32_sdwa v50, v50, v35 dst_sel:DWORD dst_unused:UNUSED_PAD src0_sel:DWORD src1_sel:WORD_1
	v_bfrev_b32_e32 v51, 60
	v_lshlrev_b32_e32 v41, 20, v41
	v_and_b32_e32 v50, 0x80000000, v50
	v_lshl_add_u32 v38, v38, 23, v51
	v_or3_b32 v38, v50, v38, v41
	v_lshrrev_b32_e32 v41, 16, v38
.LBB777_50:
	s_or_b64 exec, exec, s[16:17]
.LBB777_51:
	s_or_b64 exec, exec, s[14:15]
.LBB777_52:
	s_or_b64 exec, exec, s[12:13]
	s_mov_b32 s12, -1
	s_mov_b32 s13, 0xffffff
	v_cmp_lt_u64_e32 vcc, s[12:13], v[34:35]
	s_and_saveexec_b64 s[12:13], vcc
	s_cbranch_execz .LBB777_58
; %bb.53:
	v_lshrrev_b32_e32 v34, 24, v35
	s_movk_i32 s11, 0x80
	v_cmp_ne_u32_e32 vcc, s11, v34
	v_mov_b32_e32 v40, 0xffff8000
	s_and_saveexec_b64 s[14:15], vcc
	s_cbranch_execz .LBB777_57
; %bb.54:
	v_bfe_u32 v35, v35, 24, 7
	s_movk_i32 s11, 0x7f
	v_cmp_ne_u32_e32 vcc, s11, v35
	v_mov_b32_e32 v40, 0x7f80
	s_and_saveexec_b64 s[16:17], vcc
	s_cbranch_execz .LBB777_56
; %bb.55:
	v_and_b32_e32 v38, 7, v34
	v_ffbh_u32_e32 v50, v38
	v_min_u32_e32 v52, 32, v50
	v_subrev_u32_e32 v50, 28, v52
	v_lshlrev_b64 v[50:51], v50, v[34:35]
	v_lshrrev_b32_e32 v40, 3, v35
	v_sub_u32_e32 v51, 29, v52
	v_and_b32_e32 v50, 7, v50
	v_cmp_gt_u32_e32 vcc, 8, v35
	v_cndmask_b32_e32 v35, v40, v51, vcc
	v_cndmask_b32_e32 v38, v38, v50, vcc
	v_lshlrev_b32_e32 v34, 24, v34
	v_bfrev_b32_e32 v40, 60
	v_lshlrev_b32_e32 v38, 20, v38
	v_and_b32_e32 v34, 0x80000000, v34
	v_lshl_add_u32 v35, v35, 23, v40
	v_or3_b32 v34, v34, v35, v38
	v_lshrrev_b32_e32 v40, 16, v34
.LBB777_56:
	s_or_b64 exec, exec, s[16:17]
.LBB777_57:
	s_or_b64 exec, exec, s[14:15]
.LBB777_58:
	s_or_b64 exec, exec, s[12:13]
	s_mov_b32 s11, 0x5040100
	v_perm_b32 v35, v47, v46, s11
	v_perm_b32 v34, v39, v45, s11
	v_perm_b32 v41, v40, v41, s11
	v_perm_b32 v40, v48, v49, s11
	v_mfma_f32_4x4x4bf16_1k a[0:3], v[2:3], v[34:35], 0 cbsz:4
	v_mov_b32_e32 v39, 0
	v_mfma_f32_4x4x4bf16_1k a[0:3], v[4:5], v[40:41], a[0:3] cbsz:4
	v_mov_b32_e32 v40, 0
	v_cmp_ne_u16_sdwa s[14:15], v36, v40 src0_sel:BYTE_0 src1_sel:DWORD
	s_and_saveexec_b64 s[12:13], s[14:15]
	s_cbranch_execz .LBB777_64
; %bb.59:
	s_movk_i32 s11, 0x80
	v_cmp_ne_u16_sdwa s[16:17], v36, s11 src0_sel:BYTE_0 src1_sel:DWORD
	v_mov_b32_e32 v39, 0xffff8000
	s_and_saveexec_b64 s[14:15], s[16:17]
	s_cbranch_execz .LBB777_63
; %bb.60:
	s_movk_i32 s11, 0x7f
	v_and_b32_e32 v34, 0x7f, v36
	v_cmp_ne_u32_e32 vcc, s11, v34
	v_mov_b32_e32 v39, 0x7f80
	s_and_saveexec_b64 s[16:17], vcc
	s_cbranch_execz .LBB777_62
; %bb.61:
	v_and_b32_e32 v35, 7, v36
	v_ffbh_u32_e32 v35, v35
	v_min_u32_e32 v35, 32, v35
	v_subrev_u32_e32 v39, 28, v35
	v_cmp_gt_u32_e32 vcc, 8, v34
	v_lshrrev_b32_e32 v38, 3, v34
	v_sub_u32_e32 v35, 29, v35
	v_cndmask_b32_e32 v34, 0, v39, vcc
	v_cndmask_b32_e32 v38, v38, v35, vcc
	v_lshlrev_b64 v[34:35], v34, v[36:37]
	v_lshlrev_b32_e32 v34, 20, v34
	v_lshlrev_b32_e32 v35, 24, v36
	v_bfrev_b32_e32 v39, 60
	v_and_b32_e32 v34, 0x700000, v34
	v_and_b32_e32 v35, 0x80000000, v35
	v_lshl_add_u32 v38, v38, 23, v39
	v_or3_b32 v34, v35, v38, v34
	v_lshrrev_b32_e32 v39, 16, v34
.LBB777_62:
	s_or_b64 exec, exec, s[16:17]
.LBB777_63:
	s_or_b64 exec, exec, s[14:15]
.LBB777_64:
	s_or_b64 exec, exec, s[12:13]
	v_lshrrev_b16_e32 v34, 8, v36
	v_cmp_ne_u16_e32 vcc, 0, v34
	s_and_saveexec_b64 s[12:13], vcc
	s_cbranch_execz .LBB777_70
; %bb.65:
	s_movk_i32 s11, 0x80
	v_cmp_ne_u16_e32 vcc, s11, v34
	v_mov_b32_e32 v40, 0xffff8000
	s_and_saveexec_b64 s[14:15], vcc
	s_cbranch_execz .LBB777_69
; %bb.66:
	s_movk_i32 s11, 0x7f
	v_and_b32_e32 v35, 0x7f, v34
	v_cmp_ne_u32_e32 vcc, s11, v35
	v_mov_b32_e32 v40, 0x7f80
	s_and_saveexec_b64 s[16:17], vcc
	s_cbranch_execz .LBB777_68
; %bb.67:
	v_and_b32_e32 v38, 7, v34
	v_ffbh_u32_e32 v40, v38
	v_min_u32_e32 v46, 32, v40
	v_subrev_u32_e32 v40, 28, v46
	v_lshlrev_b64 v[40:41], v40, v[34:35]
	v_lshrrev_b32_e32 v45, 3, v35
	v_sub_u32_e32 v34, 29, v46
	v_and_b32_e32 v40, 7, v40
	v_cmp_gt_u32_e32 vcc, 8, v35
	v_cndmask_b32_e32 v34, v45, v34, vcc
	v_cndmask_b32_e32 v35, v38, v40, vcc
	v_lshlrev_b32_e32 v38, 16, v36
	v_bfrev_b32_e32 v40, 60
	v_lshlrev_b32_e32 v35, 20, v35
	v_and_b32_e32 v38, 0x80000000, v38
	v_lshl_add_u32 v34, v34, 23, v40
	v_or3_b32 v34, v38, v34, v35
	v_lshrrev_b32_e32 v40, 16, v34
.LBB777_68:
	s_or_b64 exec, exec, s[16:17]
.LBB777_69:
	s_or_b64 exec, exec, s[14:15]
.LBB777_70:
	s_or_b64 exec, exec, s[12:13]
	s_movk_i32 s11, 0xff
	v_and_b32_sdwa v38, v36, s11 dst_sel:DWORD dst_unused:UNUSED_PAD src0_sel:WORD_1 src1_sel:DWORD
	v_lshrrev_b32_e32 v34, 16, v36
	v_cmp_ne_u16_e32 vcc, 0, v38
	v_mov_b32_e32 v35, 0
	v_mov_b32_e32 v41, 0
	s_and_saveexec_b64 s[12:13], vcc
	s_cbranch_execz .LBB777_76
; %bb.71:
	s_movk_i32 s11, 0x80
	v_cmp_ne_u16_e32 vcc, s11, v38
	v_mov_b32_e32 v41, 0xffff8000
	s_and_saveexec_b64 s[14:15], vcc
	s_cbranch_execz .LBB777_75
; %bb.72:
	v_bfe_u32 v38, v36, 16, 7
	s_movk_i32 s11, 0x7f
	v_cmp_ne_u32_e32 vcc, s11, v38
	v_mov_b32_e32 v41, 0x7f80
	s_and_saveexec_b64 s[16:17], vcc
	s_cbranch_execz .LBB777_74
; %bb.73:
	v_and_b32_e32 v41, 7, v34
	v_ffbh_u32_e32 v46, v41
	v_min_u32_e32 v48, 32, v46
	v_subrev_u32_e32 v46, 28, v48
	v_lshlrev_b64 v[46:47], v46, v[34:35]
	v_and_b32_e32 v46, 7, v46
	v_cmp_gt_u32_e32 vcc, 8, v38
	v_lshrrev_b32_e32 v45, 3, v38
	v_sub_u32_e32 v34, 29, v48
	v_cndmask_b32_e32 v38, v41, v46, vcc
	v_mov_b32_e32 v41, 24
	v_cndmask_b32_e32 v34, v45, v34, vcc
	v_lshlrev_b32_sdwa v41, v41, v36 dst_sel:DWORD dst_unused:UNUSED_PAD src0_sel:DWORD src1_sel:WORD_1
	v_bfrev_b32_e32 v45, 60
	v_lshlrev_b32_e32 v38, 20, v38
	v_and_b32_e32 v41, 0x80000000, v41
	v_lshl_add_u32 v34, v34, 23, v45
	v_or3_b32 v34, v41, v34, v38
	v_lshrrev_b32_e32 v41, 16, v34
.LBB777_74:
	s_or_b64 exec, exec, s[16:17]
.LBB777_75:
	s_or_b64 exec, exec, s[14:15]
.LBB777_76:
	s_or_b64 exec, exec, s[12:13]
	s_mov_b32 s11, 0xffffff
	v_cmp_lt_u32_e32 vcc, s11, v36
	v_mov_b32_e32 v45, 0
	s_and_saveexec_b64 s[12:13], vcc
	s_cbranch_execz .LBB777_82
; %bb.77:
	v_lshrrev_b32_e32 v34, 24, v36
	s_movk_i32 s11, 0x80
	v_cmp_ne_u32_e32 vcc, s11, v34
	v_mov_b32_e32 v45, 0xffff8000
	s_and_saveexec_b64 s[14:15], vcc
	s_cbranch_execz .LBB777_81
; %bb.78:
	v_bfe_u32 v38, v36, 24, 7
	s_movk_i32 s11, 0x7f
	v_cmp_ne_u32_e32 vcc, s11, v38
	v_mov_b32_e32 v45, 0x7f80
	s_and_saveexec_b64 s[16:17], vcc
	s_cbranch_execz .LBB777_80
; %bb.79:
	v_and_b32_e32 v45, 7, v34
	v_ffbh_u32_e32 v46, v45
	v_min_u32_e32 v49, 32, v46
	v_subrev_u32_e32 v46, 28, v49
	v_lshlrev_b64 v[46:47], v46, v[34:35]
	v_lshrrev_b32_e32 v48, 3, v38
	v_sub_u32_e32 v47, 29, v49
	v_and_b32_e32 v46, 7, v46
	v_cmp_gt_u32_e32 vcc, 8, v38
	v_cndmask_b32_e32 v38, v48, v47, vcc
	v_cndmask_b32_e32 v45, v45, v46, vcc
	v_lshlrev_b32_e32 v34, 24, v34
	v_bfrev_b32_e32 v46, 60
	v_lshlrev_b32_e32 v45, 20, v45
	v_and_b32_e32 v34, 0x80000000, v34
	v_lshl_add_u32 v38, v38, 23, v46
	v_or3_b32 v34, v34, v38, v45
	v_lshrrev_b32_e32 v45, 16, v34
.LBB777_80:
	s_or_b64 exec, exec, s[16:17]
.LBB777_81:
	s_or_b64 exec, exec, s[14:15]
.LBB777_82:
	s_or_b64 exec, exec, s[12:13]
	v_mov_b32_e32 v46, 0
	v_mov_b32_e32 v34, v37
	v_cmp_ne_u16_sdwa s[14:15], v37, v46 src0_sel:BYTE_0 src1_sel:DWORD
	v_mov_b32_e32 v47, 0
	s_and_saveexec_b64 s[12:13], s[14:15]
	s_cbranch_execz .LBB777_88
; %bb.83:
	s_movk_i32 s11, 0x80
	v_cmp_ne_u16_sdwa s[16:17], v37, s11 src0_sel:BYTE_0 src1_sel:DWORD
	v_mov_b32_e32 v47, 0xffff8000
	s_and_saveexec_b64 s[14:15], s[16:17]
	s_cbranch_execz .LBB777_87
; %bb.84:
	s_movk_i32 s11, 0x7f
	v_and_b32_e32 v38, 0x7f, v37
	v_cmp_ne_u32_e32 vcc, s11, v38
	v_mov_b32_e32 v47, 0x7f80
	s_and_saveexec_b64 s[16:17], vcc
	s_cbranch_execz .LBB777_86
; %bb.85:
	v_and_b32_e32 v47, 7, v37
	v_ffbh_u32_e32 v47, v47
	v_min_u32_e32 v47, 32, v47
	v_lshrrev_b32_e32 v48, 3, v38
	v_subrev_u32_e32 v49, 28, v47
	v_sub_u32_e32 v47, 29, v47
	v_cmp_gt_u32_e32 vcc, 8, v38
	v_cndmask_b32_e32 v38, v48, v47, vcc
	v_cndmask_b32_e32 v47, 0, v49, vcc
	v_lshlrev_b64 v[48:49], v47, v[34:35]
	v_lshlrev_b32_e32 v35, 20, v48
	v_lshlrev_b32_e32 v47, 24, v34
	v_bfrev_b32_e32 v48, 60
	v_and_b32_e32 v35, 0x700000, v35
	v_and_b32_e32 v47, 0x80000000, v47
	v_lshl_add_u32 v38, v38, 23, v48
	v_or3_b32 v35, v47, v38, v35
	v_lshrrev_b32_e32 v47, 16, v35
.LBB777_86:
	s_or_b64 exec, exec, s[16:17]
.LBB777_87:
	s_or_b64 exec, exec, s[14:15]
.LBB777_88:
	s_or_b64 exec, exec, s[12:13]
	v_lshrrev_b16_e32 v38, 8, v34
	v_cmp_ne_u16_e32 vcc, 0, v38
	s_and_saveexec_b64 s[12:13], vcc
	s_cbranch_execz .LBB777_94
; %bb.89:
	s_movk_i32 s11, 0x80
	v_cmp_ne_u16_e32 vcc, s11, v38
	v_mov_b32_e32 v46, 0xffff8000
	s_and_saveexec_b64 s[14:15], vcc
	s_cbranch_execz .LBB777_93
; %bb.90:
	s_movk_i32 s11, 0x7f
	v_and_b32_e32 v35, 0x7f, v38
	v_cmp_ne_u32_e32 vcc, s11, v35
	v_mov_b32_e32 v46, 0x7f80
	s_and_saveexec_b64 s[16:17], vcc
	s_cbranch_execz .LBB777_92
; %bb.91:
	v_and_b32_e32 v46, 7, v38
	v_ffbh_u32_e32 v48, v46
	v_min_u32_e32 v51, 32, v48
	v_subrev_u32_e32 v48, 28, v51
	v_lshlrev_b64 v[48:49], v48, v[38:39]
	v_lshrrev_b32_e32 v50, 3, v35
	v_sub_u32_e32 v38, 29, v51
	v_and_b32_e32 v48, 7, v48
	v_cmp_gt_u32_e32 vcc, 8, v35
	v_cndmask_b32_e32 v35, v50, v38, vcc
	v_cndmask_b32_e32 v38, v46, v48, vcc
	v_lshlrev_b32_e32 v34, 16, v34
	v_bfrev_b32_e32 v46, 60
	v_lshlrev_b32_e32 v38, 20, v38
	v_and_b32_e32 v34, 0x80000000, v34
	v_lshl_add_u32 v35, v35, 23, v46
	v_or3_b32 v34, v34, v35, v38
	v_lshrrev_b32_e32 v46, 16, v34
.LBB777_92:
	s_or_b64 exec, exec, s[16:17]
.LBB777_93:
	s_or_b64 exec, exec, s[14:15]
.LBB777_94:
	s_or_b64 exec, exec, s[12:13]
	s_movk_i32 s11, 0xff
	v_and_b32_sdwa v48, v37, s11 dst_sel:DWORD dst_unused:UNUSED_PAD src0_sel:WORD_1 src1_sel:DWORD
	v_lshrrev_b32_e32 v34, 16, v37
	v_cmp_ne_u16_e32 vcc, 0, v48
	v_mov_b32_e32 v35, 0
	v_mov_b32_e32 v38, 0
	s_and_saveexec_b64 s[12:13], vcc
	s_cbranch_execz .LBB777_100
; %bb.95:
	s_movk_i32 s11, 0x80
	v_cmp_ne_u16_e32 vcc, s11, v48
	v_mov_b32_e32 v38, 0xffff8000
	s_and_saveexec_b64 s[14:15], vcc
	s_cbranch_execz .LBB777_99
; %bb.96:
	v_bfe_u32 v48, v37, 16, 7
	s_movk_i32 s11, 0x7f
	v_cmp_ne_u32_e32 vcc, s11, v48
	v_mov_b32_e32 v38, 0x7f80
	s_and_saveexec_b64 s[16:17], vcc
	s_cbranch_execz .LBB777_98
; %bb.97:
	v_and_b32_e32 v38, 7, v34
	v_ffbh_u32_e32 v50, v38
	v_min_u32_e32 v52, 32, v50
	v_subrev_u32_e32 v50, 28, v52
	v_lshlrev_b64 v[50:51], v50, v[34:35]
	v_lshrrev_b32_e32 v49, 3, v48
	v_sub_u32_e32 v34, 29, v52
	v_and_b32_e32 v50, 7, v50
	v_cmp_gt_u32_e32 vcc, 8, v48
	v_mov_b32_e32 v48, 24
	v_cndmask_b32_e32 v34, v49, v34, vcc
	v_cndmask_b32_e32 v38, v38, v50, vcc
	v_lshlrev_b32_sdwa v48, v48, v37 dst_sel:DWORD dst_unused:UNUSED_PAD src0_sel:DWORD src1_sel:WORD_1
	v_bfrev_b32_e32 v49, 60
	v_lshlrev_b32_e32 v38, 20, v38
	v_and_b32_e32 v48, 0x80000000, v48
	v_lshl_add_u32 v34, v34, 23, v49
	v_or3_b32 v34, v48, v34, v38
	v_lshrrev_b32_e32 v38, 16, v34
.LBB777_98:
	s_or_b64 exec, exec, s[16:17]
.LBB777_99:
	s_or_b64 exec, exec, s[14:15]
.LBB777_100:
	s_or_b64 exec, exec, s[12:13]
	s_mov_b32 s12, -1
	s_mov_b32 s13, 0xffffff
	v_cmp_lt_u64_e32 vcc, s[12:13], v[36:37]
	s_and_saveexec_b64 s[12:13], vcc
	s_cbranch_execz .LBB777_106
; %bb.101:
	v_lshrrev_b32_e32 v34, 24, v37
	s_movk_i32 s11, 0x80
	v_cmp_ne_u32_e32 vcc, s11, v34
	v_mov_b32_e32 v35, 0xffff8000
	s_and_saveexec_b64 s[14:15], vcc
	s_cbranch_execz .LBB777_105
; %bb.102:
	v_bfe_u32 v36, v37, 24, 7
	s_movk_i32 s11, 0x7f
	v_cmp_ne_u32_e32 vcc, s11, v36
	v_mov_b32_e32 v35, 0x7f80
	s_and_saveexec_b64 s[16:17], vcc
	s_cbranch_execz .LBB777_104
; %bb.103:
	v_and_b32_e32 v35, 7, v34
	v_ffbh_u32_e32 v48, v35
	v_min_u32_e32 v50, 32, v48
	v_subrev_u32_e32 v48, 28, v50
	v_lshlrev_b64 v[48:49], v48, v[34:35]
	v_lshrrev_b32_e32 v37, 3, v36
	v_sub_u32_e32 v49, 29, v50
	v_and_b32_e32 v48, 7, v48
	v_cmp_gt_u32_e32 vcc, 8, v36
	v_cndmask_b32_e32 v36, v37, v49, vcc
	v_cndmask_b32_e32 v35, v35, v48, vcc
	v_lshlrev_b32_e32 v34, 24, v34
	v_bfrev_b32_e32 v37, 60
	v_lshlrev_b32_e32 v35, 20, v35
	v_and_b32_e32 v34, 0x80000000, v34
	v_lshl_add_u32 v36, v36, 23, v37
	v_or3_b32 v34, v34, v36, v35
	v_lshrrev_b32_e32 v35, 16, v34
.LBB777_104:
	s_or_b64 exec, exec, s[16:17]
.LBB777_105:
	s_or_b64 exec, exec, s[14:15]
.LBB777_106:
	s_or_b64 exec, exec, s[12:13]
	s_mov_b32 s11, 0x5040100
	v_perm_b32 v37, v45, v41, s11
	v_perm_b32 v36, v40, v39, s11
	;; [unrolled: 1-line block ×4, first 2 shown]
	v_mfma_f32_4x4x4bf16_1k a[0:3], v[2:3], v[36:37], a[0:3] cbsz:4 abid:1
	v_mov_b32_e32 v37, 0
	v_mfma_f32_4x4x4bf16_1k a[0:3], v[4:5], v[34:35], a[0:3] cbsz:4 abid:1
	v_cmp_ne_u16_sdwa s[14:15], v30, v37 src0_sel:BYTE_0 src1_sel:DWORD
	v_mov_b32_e32 v38, 0
	s_and_saveexec_b64 s[12:13], s[14:15]
	s_cbranch_execz .LBB777_112
; %bb.107:
	s_movk_i32 s11, 0x80
	v_cmp_ne_u16_sdwa s[16:17], v30, s11 src0_sel:BYTE_0 src1_sel:DWORD
	v_mov_b32_e32 v38, 0xffff8000
	s_and_saveexec_b64 s[14:15], s[16:17]
	s_cbranch_execz .LBB777_111
; %bb.108:
	s_movk_i32 s11, 0x7f
	v_and_b32_e32 v34, 0x7f, v30
	v_cmp_ne_u32_e32 vcc, s11, v34
	v_mov_b32_e32 v38, 0x7f80
	s_and_saveexec_b64 s[16:17], vcc
	s_cbranch_execz .LBB777_110
; %bb.109:
	v_and_b32_e32 v35, 7, v30
	v_ffbh_u32_e32 v35, v35
	v_min_u32_e32 v35, 32, v35
	v_subrev_u32_e32 v38, 28, v35
	v_cmp_gt_u32_e32 vcc, 8, v34
	v_lshrrev_b32_e32 v36, 3, v34
	v_sub_u32_e32 v35, 29, v35
	v_cndmask_b32_e32 v34, 0, v38, vcc
	v_cndmask_b32_e32 v36, v36, v35, vcc
	v_lshlrev_b64 v[34:35], v34, v[30:31]
	v_lshlrev_b32_e32 v34, 20, v34
	v_lshlrev_b32_e32 v35, 24, v30
	v_bfrev_b32_e32 v38, 60
	v_and_b32_e32 v34, 0x700000, v34
	v_and_b32_e32 v35, 0x80000000, v35
	v_lshl_add_u32 v36, v36, 23, v38
	v_or3_b32 v34, v35, v36, v34
	v_lshrrev_b32_e32 v38, 16, v34
.LBB777_110:
	s_or_b64 exec, exec, s[16:17]
.LBB777_111:
	s_or_b64 exec, exec, s[14:15]
.LBB777_112:
	s_or_b64 exec, exec, s[12:13]
	v_lshrrev_b16_e32 v34, 8, v30
	v_cmp_ne_u16_e32 vcc, 0, v34
	s_and_saveexec_b64 s[12:13], vcc
	s_cbranch_execz .LBB777_118
; %bb.113:
	s_movk_i32 s11, 0x80
	v_cmp_ne_u16_e32 vcc, s11, v34
	v_mov_b32_e32 v37, 0xffff8000
	s_and_saveexec_b64 s[14:15], vcc
	s_cbranch_execz .LBB777_117
; %bb.114:
	s_movk_i32 s11, 0x7f
	v_and_b32_e32 v35, 0x7f, v34
	v_cmp_ne_u32_e32 vcc, s11, v35
	v_mov_b32_e32 v37, 0x7f80
	s_and_saveexec_b64 s[16:17], vcc
	s_cbranch_execz .LBB777_116
; %bb.115:
	v_and_b32_e32 v39, 7, v34
	v_ffbh_u32_e32 v36, v39
	v_min_u32_e32 v41, 32, v36
	v_subrev_u32_e32 v36, 28, v41
	v_lshlrev_b64 v[36:37], v36, v[34:35]
	v_lshrrev_b32_e32 v40, 3, v35
	v_sub_u32_e32 v34, 29, v41
	v_and_b32_e32 v36, 7, v36
	v_cmp_gt_u32_e32 vcc, 8, v35
	v_cndmask_b32_e32 v34, v40, v34, vcc
	v_cndmask_b32_e32 v35, v39, v36, vcc
	v_lshlrev_b32_e32 v36, 16, v30
	v_bfrev_b32_e32 v37, 60
	v_lshlrev_b32_e32 v35, 20, v35
	v_and_b32_e32 v36, 0x80000000, v36
	v_lshl_add_u32 v34, v34, 23, v37
	v_or3_b32 v34, v36, v34, v35
	v_lshrrev_b32_e32 v37, 16, v34
.LBB777_116:
	s_or_b64 exec, exec, s[16:17]
.LBB777_117:
	s_or_b64 exec, exec, s[14:15]
.LBB777_118:
	s_or_b64 exec, exec, s[12:13]
	s_movk_i32 s11, 0xff
	v_and_b32_sdwa v36, v30, s11 dst_sel:DWORD dst_unused:UNUSED_PAD src0_sel:WORD_1 src1_sel:DWORD
	v_lshrrev_b32_e32 v34, 16, v30
	v_cmp_ne_u16_e32 vcc, 0, v36
	v_mov_b32_e32 v35, 0
	v_mov_b32_e32 v39, 0
	s_and_saveexec_b64 s[12:13], vcc
	s_cbranch_execz .LBB777_124
; %bb.119:
	s_movk_i32 s11, 0x80
	v_cmp_ne_u16_e32 vcc, s11, v36
	v_mov_b32_e32 v39, 0xffff8000
	s_and_saveexec_b64 s[14:15], vcc
	s_cbranch_execz .LBB777_123
; %bb.120:
	v_bfe_u32 v36, v30, 16, 7
	s_movk_i32 s11, 0x7f
	v_cmp_ne_u32_e32 vcc, s11, v36
	v_mov_b32_e32 v39, 0x7f80
	s_and_saveexec_b64 s[16:17], vcc
	s_cbranch_execz .LBB777_122
; %bb.121:
	v_and_b32_e32 v39, 7, v34
	v_ffbh_u32_e32 v40, v39
	v_min_u32_e32 v46, 32, v40
	v_subrev_u32_e32 v40, 28, v46
	v_lshlrev_b64 v[40:41], v40, v[34:35]
	v_and_b32_e32 v40, 7, v40
	v_cmp_gt_u32_e32 vcc, 8, v36
	v_lshrrev_b32_e32 v45, 3, v36
	v_sub_u32_e32 v34, 29, v46
	v_cndmask_b32_e32 v36, v39, v40, vcc
	v_mov_b32_e32 v39, 24
	v_cndmask_b32_e32 v34, v45, v34, vcc
	v_lshlrev_b32_sdwa v39, v39, v30 dst_sel:DWORD dst_unused:UNUSED_PAD src0_sel:DWORD src1_sel:WORD_1
	v_bfrev_b32_e32 v40, 60
	v_lshlrev_b32_e32 v36, 20, v36
	v_and_b32_e32 v39, 0x80000000, v39
	v_lshl_add_u32 v34, v34, 23, v40
	v_or3_b32 v34, v39, v34, v36
	v_lshrrev_b32_e32 v39, 16, v34
.LBB777_122:
	s_or_b64 exec, exec, s[16:17]
.LBB777_123:
	s_or_b64 exec, exec, s[14:15]
.LBB777_124:
	s_or_b64 exec, exec, s[12:13]
	s_mov_b32 s11, 0xffffff
	v_cmp_lt_u32_e32 vcc, s11, v30
	v_mov_b32_e32 v40, 0
	s_and_saveexec_b64 s[12:13], vcc
	s_cbranch_execz .LBB777_130
; %bb.125:
	v_lshrrev_b32_e32 v34, 24, v30
	s_movk_i32 s11, 0x80
	v_cmp_ne_u32_e32 vcc, s11, v34
	v_mov_b32_e32 v40, 0xffff8000
	s_and_saveexec_b64 s[14:15], vcc
	s_cbranch_execz .LBB777_129
; %bb.126:
	v_bfe_u32 v36, v30, 24, 7
	s_movk_i32 s11, 0x7f
	v_cmp_ne_u32_e32 vcc, s11, v36
	v_mov_b32_e32 v40, 0x7f80
	s_and_saveexec_b64 s[16:17], vcc
	s_cbranch_execz .LBB777_128
; %bb.127:
	v_and_b32_e32 v45, 7, v34
	v_ffbh_u32_e32 v40, v45
	v_min_u32_e32 v47, 32, v40
	v_subrev_u32_e32 v40, 28, v47
	v_lshlrev_b64 v[40:41], v40, v[34:35]
	v_lshrrev_b32_e32 v46, 3, v36
	v_sub_u32_e32 v41, 29, v47
	v_and_b32_e32 v40, 7, v40
	v_cmp_gt_u32_e32 vcc, 8, v36
	v_cndmask_b32_e32 v36, v46, v41, vcc
	v_cndmask_b32_e32 v40, v45, v40, vcc
	v_lshlrev_b32_e32 v34, 24, v34
	v_bfrev_b32_e32 v41, 60
	v_lshlrev_b32_e32 v40, 20, v40
	v_and_b32_e32 v34, 0x80000000, v34
	v_lshl_add_u32 v36, v36, 23, v41
	v_or3_b32 v34, v34, v36, v40
	v_lshrrev_b32_e32 v40, 16, v34
.LBB777_128:
	s_or_b64 exec, exec, s[16:17]
.LBB777_129:
	s_or_b64 exec, exec, s[14:15]
.LBB777_130:
	s_or_b64 exec, exec, s[12:13]
	v_mov_b32_e32 v41, 0
	v_mov_b32_e32 v34, v31
	v_cmp_ne_u16_sdwa s[14:15], v31, v41 src0_sel:BYTE_0 src1_sel:DWORD
	v_mov_b32_e32 v45, 0
	s_and_saveexec_b64 s[12:13], s[14:15]
	s_cbranch_execz .LBB777_136
; %bb.131:
	s_movk_i32 s11, 0x80
	v_cmp_ne_u16_sdwa s[16:17], v31, s11 src0_sel:BYTE_0 src1_sel:DWORD
	v_mov_b32_e32 v45, 0xffff8000
	s_and_saveexec_b64 s[14:15], s[16:17]
	s_cbranch_execz .LBB777_135
; %bb.132:
	s_movk_i32 s11, 0x7f
	v_and_b32_e32 v36, 0x7f, v31
	v_cmp_ne_u32_e32 vcc, s11, v36
	v_mov_b32_e32 v45, 0x7f80
	s_and_saveexec_b64 s[16:17], vcc
	s_cbranch_execz .LBB777_134
; %bb.133:
	v_and_b32_e32 v45, 7, v31
	v_ffbh_u32_e32 v45, v45
	v_min_u32_e32 v45, 32, v45
	v_lshrrev_b32_e32 v46, 3, v36
	v_subrev_u32_e32 v47, 28, v45
	v_sub_u32_e32 v45, 29, v45
	v_cmp_gt_u32_e32 vcc, 8, v36
	v_cndmask_b32_e32 v36, v46, v45, vcc
	v_cndmask_b32_e32 v45, 0, v47, vcc
	v_lshlrev_b64 v[46:47], v45, v[34:35]
	v_lshlrev_b32_e32 v35, 20, v46
	v_lshlrev_b32_e32 v45, 24, v34
	v_bfrev_b32_e32 v46, 60
	v_and_b32_e32 v35, 0x700000, v35
	v_and_b32_e32 v45, 0x80000000, v45
	v_lshl_add_u32 v36, v36, 23, v46
	v_or3_b32 v35, v45, v36, v35
	v_lshrrev_b32_e32 v45, 16, v35
.LBB777_134:
	s_or_b64 exec, exec, s[16:17]
.LBB777_135:
	s_or_b64 exec, exec, s[14:15]
.LBB777_136:
	s_or_b64 exec, exec, s[12:13]
	v_lshrrev_b16_e32 v36, 8, v34
	v_cmp_ne_u16_e32 vcc, 0, v36
	s_and_saveexec_b64 s[12:13], vcc
	s_cbranch_execz .LBB777_142
; %bb.137:
	s_movk_i32 s11, 0x80
	v_cmp_ne_u16_e32 vcc, s11, v36
	v_mov_b32_e32 v41, 0xffff8000
	s_and_saveexec_b64 s[14:15], vcc
	s_cbranch_execz .LBB777_141
; %bb.138:
	s_movk_i32 s11, 0x7f
	v_and_b32_e32 v35, 0x7f, v36
	v_cmp_ne_u32_e32 vcc, s11, v35
	v_mov_b32_e32 v41, 0x7f80
	s_and_saveexec_b64 s[16:17], vcc
	s_cbranch_execz .LBB777_140
; %bb.139:
	v_and_b32_e32 v41, 7, v36
	v_ffbh_u32_e32 v46, v41
	v_min_u32_e32 v49, 32, v46
	v_subrev_u32_e32 v46, 28, v49
	v_lshlrev_b64 v[46:47], v46, v[36:37]
	v_lshrrev_b32_e32 v48, 3, v35
	v_sub_u32_e32 v36, 29, v49
	v_and_b32_e32 v46, 7, v46
	v_cmp_gt_u32_e32 vcc, 8, v35
	v_cndmask_b32_e32 v35, v48, v36, vcc
	v_cndmask_b32_e32 v36, v41, v46, vcc
	v_lshlrev_b32_e32 v34, 16, v34
	v_bfrev_b32_e32 v41, 60
	v_lshlrev_b32_e32 v36, 20, v36
	v_and_b32_e32 v34, 0x80000000, v34
	v_lshl_add_u32 v35, v35, 23, v41
	v_or3_b32 v34, v34, v35, v36
	v_lshrrev_b32_e32 v41, 16, v34
.LBB777_140:
	s_or_b64 exec, exec, s[16:17]
.LBB777_141:
	s_or_b64 exec, exec, s[14:15]
.LBB777_142:
	s_or_b64 exec, exec, s[12:13]
	s_movk_i32 s11, 0xff
	v_and_b32_sdwa v46, v31, s11 dst_sel:DWORD dst_unused:UNUSED_PAD src0_sel:WORD_1 src1_sel:DWORD
	v_lshrrev_b32_e32 v34, 16, v31
	v_cmp_ne_u16_e32 vcc, 0, v46
	v_mov_b32_e32 v35, 0
	v_mov_b32_e32 v36, 0
	s_and_saveexec_b64 s[12:13], vcc
	s_cbranch_execz .LBB777_148
; %bb.143:
	s_movk_i32 s11, 0x80
	v_cmp_ne_u16_e32 vcc, s11, v46
	v_mov_b32_e32 v36, 0xffff8000
	s_and_saveexec_b64 s[14:15], vcc
	s_cbranch_execz .LBB777_147
; %bb.144:
	v_bfe_u32 v46, v31, 16, 7
	s_movk_i32 s11, 0x7f
	v_cmp_ne_u32_e32 vcc, s11, v46
	v_mov_b32_e32 v36, 0x7f80
	s_and_saveexec_b64 s[16:17], vcc
	s_cbranch_execz .LBB777_146
; %bb.145:
	v_and_b32_e32 v36, 7, v34
	v_ffbh_u32_e32 v48, v36
	v_min_u32_e32 v50, 32, v48
	v_subrev_u32_e32 v48, 28, v50
	v_lshlrev_b64 v[48:49], v48, v[34:35]
	v_lshrrev_b32_e32 v47, 3, v46
	v_sub_u32_e32 v34, 29, v50
	v_and_b32_e32 v48, 7, v48
	v_cmp_gt_u32_e32 vcc, 8, v46
	v_mov_b32_e32 v46, 24
	v_cndmask_b32_e32 v34, v47, v34, vcc
	v_cndmask_b32_e32 v36, v36, v48, vcc
	v_lshlrev_b32_sdwa v46, v46, v31 dst_sel:DWORD dst_unused:UNUSED_PAD src0_sel:DWORD src1_sel:WORD_1
	v_bfrev_b32_e32 v47, 60
	v_lshlrev_b32_e32 v36, 20, v36
	v_and_b32_e32 v46, 0x80000000, v46
	v_lshl_add_u32 v34, v34, 23, v47
	v_or3_b32 v34, v46, v34, v36
	v_lshrrev_b32_e32 v36, 16, v34
.LBB777_146:
	s_or_b64 exec, exec, s[16:17]
.LBB777_147:
	s_or_b64 exec, exec, s[14:15]
.LBB777_148:
	s_or_b64 exec, exec, s[12:13]
	s_mov_b32 s12, -1
	s_mov_b32 s13, 0xffffff
	v_cmp_lt_u64_e32 vcc, s[12:13], v[30:31]
	s_and_saveexec_b64 s[12:13], vcc
	s_cbranch_execz .LBB777_154
; %bb.149:
	v_lshrrev_b32_e32 v30, 24, v31
	s_movk_i32 s11, 0x80
	v_cmp_ne_u32_e32 vcc, s11, v30
	v_mov_b32_e32 v35, 0xffff8000
	s_and_saveexec_b64 s[14:15], vcc
	s_cbranch_execz .LBB777_153
; %bb.150:
	v_bfe_u32 v31, v31, 24, 7
	s_movk_i32 s11, 0x7f
	v_cmp_ne_u32_e32 vcc, s11, v31
	v_mov_b32_e32 v35, 0x7f80
	s_and_saveexec_b64 s[16:17], vcc
	s_cbranch_execz .LBB777_152
; %bb.151:
	v_and_b32_e32 v46, 7, v30
	v_ffbh_u32_e32 v34, v46
	v_min_u32_e32 v48, 32, v34
	v_subrev_u32_e32 v34, 28, v48
	v_lshlrev_b64 v[34:35], v34, v[30:31]
	v_lshrrev_b32_e32 v47, 3, v31
	v_sub_u32_e32 v35, 29, v48
	v_and_b32_e32 v34, 7, v34
	v_cmp_gt_u32_e32 vcc, 8, v31
	v_cndmask_b32_e32 v31, v47, v35, vcc
	v_cndmask_b32_e32 v34, v46, v34, vcc
	v_lshlrev_b32_e32 v30, 24, v30
	v_bfrev_b32_e32 v35, 60
	v_lshlrev_b32_e32 v34, 20, v34
	v_and_b32_e32 v30, 0x80000000, v30
	v_lshl_add_u32 v31, v31, 23, v35
	v_or3_b32 v30, v30, v31, v34
	v_lshrrev_b32_e32 v35, 16, v30
.LBB777_152:
	s_or_b64 exec, exec, s[16:17]
.LBB777_153:
	s_or_b64 exec, exec, s[14:15]
.LBB777_154:
	s_or_b64 exec, exec, s[12:13]
	s_mov_b32 s11, 0x5040100
	v_perm_b32 v31, v40, v39, s11
	v_perm_b32 v30, v37, v38, s11
	;; [unrolled: 1-line block ×4, first 2 shown]
	v_mfma_f32_4x4x4bf16_1k a[0:3], v[2:3], v[30:31], a[0:3] cbsz:4 abid:2
	v_mov_b32_e32 v36, 0
	v_mfma_f32_4x4x4bf16_1k a[0:3], v[4:5], v[34:35], a[0:3] cbsz:4 abid:2
	v_mov_b32_e32 v35, 0
	v_cmp_ne_u16_sdwa s[14:15], v32, v35 src0_sel:BYTE_0 src1_sel:DWORD
	s_and_saveexec_b64 s[12:13], s[14:15]
	s_cbranch_execz .LBB777_160
; %bb.155:
	s_movk_i32 s11, 0x80
	v_cmp_ne_u16_sdwa s[16:17], v32, s11 src0_sel:BYTE_0 src1_sel:DWORD
	v_mov_b32_e32 v36, 0xffff8000
	s_and_saveexec_b64 s[14:15], s[16:17]
	s_cbranch_execz .LBB777_159
; %bb.156:
	s_movk_i32 s11, 0x7f
	v_and_b32_e32 v30, 0x7f, v32
	v_cmp_ne_u32_e32 vcc, s11, v30
	v_mov_b32_e32 v36, 0x7f80
	s_and_saveexec_b64 s[16:17], vcc
	s_cbranch_execz .LBB777_158
; %bb.157:
	v_and_b32_e32 v31, 7, v32
	v_ffbh_u32_e32 v31, v31
	v_min_u32_e32 v31, 32, v31
	v_subrev_u32_e32 v36, 28, v31
	v_cmp_gt_u32_e32 vcc, 8, v30
	v_lshrrev_b32_e32 v34, 3, v30
	v_sub_u32_e32 v31, 29, v31
	v_cndmask_b32_e32 v30, 0, v36, vcc
	v_cndmask_b32_e32 v34, v34, v31, vcc
	v_lshlrev_b64 v[30:31], v30, v[32:33]
	v_lshlrev_b32_e32 v30, 20, v30
	v_lshlrev_b32_e32 v31, 24, v32
	v_bfrev_b32_e32 v36, 60
	v_and_b32_e32 v30, 0x700000, v30
	v_and_b32_e32 v31, 0x80000000, v31
	v_lshl_add_u32 v34, v34, 23, v36
	v_or3_b32 v30, v31, v34, v30
	v_lshrrev_b32_e32 v36, 16, v30
.LBB777_158:
	s_or_b64 exec, exec, s[16:17]
.LBB777_159:
	s_or_b64 exec, exec, s[14:15]
.LBB777_160:
	s_or_b64 exec, exec, s[12:13]
	v_lshrrev_b16_e32 v30, 8, v32
	v_cmp_ne_u16_e32 vcc, 0, v30
	s_and_saveexec_b64 s[12:13], vcc
	s_cbranch_execz .LBB777_166
; %bb.161:
	s_movk_i32 s11, 0x80
	v_cmp_ne_u16_e32 vcc, s11, v30
	v_mov_b32_e32 v35, 0xffff8000
	s_and_saveexec_b64 s[14:15], vcc
	s_cbranch_execz .LBB777_165
; %bb.162:
	s_movk_i32 s11, 0x7f
	v_and_b32_e32 v31, 0x7f, v30
	v_cmp_ne_u32_e32 vcc, s11, v31
	v_mov_b32_e32 v35, 0x7f80
	s_and_saveexec_b64 s[16:17], vcc
	s_cbranch_execz .LBB777_164
; %bb.163:
	v_and_b32_e32 v37, 7, v30
	v_ffbh_u32_e32 v34, v37
	v_min_u32_e32 v39, 32, v34
	v_subrev_u32_e32 v34, 28, v39
	v_lshlrev_b64 v[34:35], v34, v[30:31]
	v_lshrrev_b32_e32 v38, 3, v31
	v_sub_u32_e32 v30, 29, v39
	v_and_b32_e32 v34, 7, v34
	v_cmp_gt_u32_e32 vcc, 8, v31
	v_cndmask_b32_e32 v30, v38, v30, vcc
	v_cndmask_b32_e32 v31, v37, v34, vcc
	v_lshlrev_b32_e32 v34, 16, v32
	v_bfrev_b32_e32 v35, 60
	v_lshlrev_b32_e32 v31, 20, v31
	v_and_b32_e32 v34, 0x80000000, v34
	v_lshl_add_u32 v30, v30, 23, v35
	v_or3_b32 v30, v34, v30, v31
	v_lshrrev_b32_e32 v35, 16, v30
.LBB777_164:
	s_or_b64 exec, exec, s[16:17]
.LBB777_165:
	s_or_b64 exec, exec, s[14:15]
.LBB777_166:
	s_or_b64 exec, exec, s[12:13]
	s_movk_i32 s11, 0xff
	v_and_b32_sdwa v34, v32, s11 dst_sel:DWORD dst_unused:UNUSED_PAD src0_sel:WORD_1 src1_sel:DWORD
	v_lshrrev_b32_e32 v30, 16, v32
	v_cmp_ne_u16_e32 vcc, 0, v34
	v_mov_b32_e32 v31, 0
	v_mov_b32_e32 v37, 0
	s_and_saveexec_b64 s[12:13], vcc
	s_cbranch_execz .LBB777_172
; %bb.167:
	s_movk_i32 s11, 0x80
	v_cmp_ne_u16_e32 vcc, s11, v34
	v_mov_b32_e32 v37, 0xffff8000
	s_and_saveexec_b64 s[14:15], vcc
	s_cbranch_execz .LBB777_171
; %bb.168:
	v_bfe_u32 v34, v32, 16, 7
	s_movk_i32 s11, 0x7f
	v_cmp_ne_u32_e32 vcc, s11, v34
	v_mov_b32_e32 v37, 0x7f80
	s_and_saveexec_b64 s[16:17], vcc
	s_cbranch_execz .LBB777_170
; %bb.169:
	v_and_b32_e32 v37, 7, v30
	v_ffbh_u32_e32 v38, v37
	v_min_u32_e32 v41, 32, v38
	v_subrev_u32_e32 v38, 28, v41
	v_lshlrev_b64 v[38:39], v38, v[30:31]
	v_and_b32_e32 v38, 7, v38
	v_cmp_gt_u32_e32 vcc, 8, v34
	v_lshrrev_b32_e32 v40, 3, v34
	v_sub_u32_e32 v30, 29, v41
	v_cndmask_b32_e32 v34, v37, v38, vcc
	v_mov_b32_e32 v37, 24
	v_cndmask_b32_e32 v30, v40, v30, vcc
	v_lshlrev_b32_sdwa v37, v37, v32 dst_sel:DWORD dst_unused:UNUSED_PAD src0_sel:DWORD src1_sel:WORD_1
	v_bfrev_b32_e32 v38, 60
	v_lshlrev_b32_e32 v34, 20, v34
	v_and_b32_e32 v37, 0x80000000, v37
	v_lshl_add_u32 v30, v30, 23, v38
	v_or3_b32 v30, v37, v30, v34
	v_lshrrev_b32_e32 v37, 16, v30
.LBB777_170:
	s_or_b64 exec, exec, s[16:17]
.LBB777_171:
	s_or_b64 exec, exec, s[14:15]
.LBB777_172:
	s_or_b64 exec, exec, s[12:13]
	s_mov_b32 s11, 0xffffff
	v_cmp_lt_u32_e32 vcc, s11, v32
	v_mov_b32_e32 v38, 0
	s_and_saveexec_b64 s[12:13], vcc
	s_cbranch_execz .LBB777_178
; %bb.173:
	v_lshrrev_b32_e32 v30, 24, v32
	s_movk_i32 s11, 0x80
	v_cmp_ne_u32_e32 vcc, s11, v30
	v_mov_b32_e32 v38, 0xffff8000
	s_and_saveexec_b64 s[14:15], vcc
	s_cbranch_execz .LBB777_177
; %bb.174:
	v_bfe_u32 v34, v32, 24, 7
	s_movk_i32 s11, 0x7f
	v_cmp_ne_u32_e32 vcc, s11, v34
	v_mov_b32_e32 v38, 0x7f80
	s_and_saveexec_b64 s[16:17], vcc
	s_cbranch_execz .LBB777_176
; %bb.175:
	v_and_b32_e32 v40, 7, v30
	v_ffbh_u32_e32 v38, v40
	v_min_u32_e32 v45, 32, v38
	v_subrev_u32_e32 v38, 28, v45
	v_lshlrev_b64 v[38:39], v38, v[30:31]
	v_lshrrev_b32_e32 v41, 3, v34
	v_sub_u32_e32 v39, 29, v45
	v_and_b32_e32 v38, 7, v38
	v_cmp_gt_u32_e32 vcc, 8, v34
	v_cndmask_b32_e32 v34, v41, v39, vcc
	v_cndmask_b32_e32 v38, v40, v38, vcc
	v_lshlrev_b32_e32 v30, 24, v30
	v_bfrev_b32_e32 v39, 60
	v_lshlrev_b32_e32 v38, 20, v38
	v_and_b32_e32 v30, 0x80000000, v30
	v_lshl_add_u32 v34, v34, 23, v39
	v_or3_b32 v30, v30, v34, v38
	v_lshrrev_b32_e32 v38, 16, v30
.LBB777_176:
	s_or_b64 exec, exec, s[16:17]
.LBB777_177:
	s_or_b64 exec, exec, s[14:15]
.LBB777_178:
	s_or_b64 exec, exec, s[12:13]
	v_mov_b32_e32 v39, 0
	v_mov_b32_e32 v30, v33
	v_cmp_ne_u16_sdwa s[14:15], v33, v39 src0_sel:BYTE_0 src1_sel:DWORD
	v_mov_b32_e32 v40, 0
	s_and_saveexec_b64 s[12:13], s[14:15]
	s_cbranch_execz .LBB777_184
; %bb.179:
	s_movk_i32 s11, 0x80
	v_cmp_ne_u16_sdwa s[16:17], v33, s11 src0_sel:BYTE_0 src1_sel:DWORD
	v_mov_b32_e32 v40, 0xffff8000
	s_and_saveexec_b64 s[14:15], s[16:17]
	s_cbranch_execz .LBB777_183
; %bb.180:
	s_movk_i32 s11, 0x7f
	v_and_b32_e32 v34, 0x7f, v33
	v_cmp_ne_u32_e32 vcc, s11, v34
	v_mov_b32_e32 v40, 0x7f80
	s_and_saveexec_b64 s[16:17], vcc
	s_cbranch_execz .LBB777_182
; %bb.181:
	v_and_b32_e32 v40, 7, v33
	v_ffbh_u32_e32 v40, v40
	v_min_u32_e32 v40, 32, v40
	v_lshrrev_b32_e32 v41, 3, v34
	v_subrev_u32_e32 v45, 28, v40
	v_sub_u32_e32 v40, 29, v40
	v_cmp_gt_u32_e32 vcc, 8, v34
	v_cndmask_b32_e32 v34, v41, v40, vcc
	v_cndmask_b32_e32 v40, 0, v45, vcc
	v_lshlrev_b64 v[40:41], v40, v[30:31]
	v_lshlrev_b32_e32 v31, 20, v40
	v_lshlrev_b32_e32 v40, 24, v30
	v_bfrev_b32_e32 v41, 60
	v_and_b32_e32 v31, 0x700000, v31
	v_and_b32_e32 v40, 0x80000000, v40
	v_lshl_add_u32 v34, v34, 23, v41
	v_or3_b32 v31, v40, v34, v31
	v_lshrrev_b32_e32 v40, 16, v31
.LBB777_182:
	s_or_b64 exec, exec, s[16:17]
.LBB777_183:
	s_or_b64 exec, exec, s[14:15]
.LBB777_184:
	s_or_b64 exec, exec, s[12:13]
	v_lshrrev_b16_e32 v34, 8, v30
	v_cmp_ne_u16_e32 vcc, 0, v34
	s_and_saveexec_b64 s[12:13], vcc
	s_cbranch_execz .LBB777_190
; %bb.185:
	s_movk_i32 s11, 0x80
	v_cmp_ne_u16_e32 vcc, s11, v34
	v_mov_b32_e32 v39, 0xffff8000
	s_and_saveexec_b64 s[14:15], vcc
	s_cbranch_execz .LBB777_189
; %bb.186:
	s_movk_i32 s11, 0x7f
	v_and_b32_e32 v31, 0x7f, v34
	v_cmp_ne_u32_e32 vcc, s11, v31
	v_mov_b32_e32 v39, 0x7f80
	s_and_saveexec_b64 s[16:17], vcc
	s_cbranch_execz .LBB777_188
; %bb.187:
	v_and_b32_e32 v39, 7, v34
	v_ffbh_u32_e32 v45, v39
	v_min_u32_e32 v45, 32, v45
	v_subrev_u32_e32 v46, 28, v45
	v_lshlrev_b64 v[46:47], v46, v[34:35]
	v_lshrrev_b32_e32 v41, 3, v31
	v_sub_u32_e32 v34, 29, v45
	v_and_b32_e32 v45, 7, v46
	v_cmp_gt_u32_e32 vcc, 8, v31
	v_cndmask_b32_e32 v31, v41, v34, vcc
	v_cndmask_b32_e32 v34, v39, v45, vcc
	v_lshlrev_b32_e32 v30, 16, v30
	v_bfrev_b32_e32 v39, 60
	v_lshlrev_b32_e32 v34, 20, v34
	v_and_b32_e32 v30, 0x80000000, v30
	v_lshl_add_u32 v31, v31, 23, v39
	v_or3_b32 v30, v30, v31, v34
	v_lshrrev_b32_e32 v39, 16, v30
.LBB777_188:
	s_or_b64 exec, exec, s[16:17]
.LBB777_189:
	s_or_b64 exec, exec, s[14:15]
.LBB777_190:
	s_or_b64 exec, exec, s[12:13]
	s_movk_i32 s11, 0xff
	v_and_b32_sdwa v41, v33, s11 dst_sel:DWORD dst_unused:UNUSED_PAD src0_sel:WORD_1 src1_sel:DWORD
	v_lshrrev_b32_e32 v30, 16, v33
	v_cmp_ne_u16_e32 vcc, 0, v41
	v_mov_b32_e32 v31, 0
	v_mov_b32_e32 v34, 0
	s_and_saveexec_b64 s[12:13], vcc
	s_cbranch_execz .LBB777_196
; %bb.191:
	s_movk_i32 s11, 0x80
	v_cmp_ne_u16_e32 vcc, s11, v41
	v_mov_b32_e32 v34, 0xffff8000
	s_and_saveexec_b64 s[14:15], vcc
	s_cbranch_execz .LBB777_195
; %bb.192:
	v_bfe_u32 v41, v33, 16, 7
	s_movk_i32 s11, 0x7f
	v_cmp_ne_u32_e32 vcc, s11, v41
	v_mov_b32_e32 v34, 0x7f80
	s_and_saveexec_b64 s[16:17], vcc
	s_cbranch_execz .LBB777_194
; %bb.193:
	v_and_b32_e32 v34, 7, v30
	v_ffbh_u32_e32 v46, v34
	v_min_u32_e32 v48, 32, v46
	v_subrev_u32_e32 v46, 28, v48
	v_lshlrev_b64 v[46:47], v46, v[30:31]
	v_lshrrev_b32_e32 v45, 3, v41
	v_sub_u32_e32 v30, 29, v48
	v_and_b32_e32 v46, 7, v46
	v_cmp_gt_u32_e32 vcc, 8, v41
	v_mov_b32_e32 v41, 24
	v_cndmask_b32_e32 v30, v45, v30, vcc
	v_cndmask_b32_e32 v34, v34, v46, vcc
	v_lshlrev_b32_sdwa v41, v41, v33 dst_sel:DWORD dst_unused:UNUSED_PAD src0_sel:DWORD src1_sel:WORD_1
	v_bfrev_b32_e32 v45, 60
	v_lshlrev_b32_e32 v34, 20, v34
	v_and_b32_e32 v41, 0x80000000, v41
	v_lshl_add_u32 v30, v30, 23, v45
	v_or3_b32 v30, v41, v30, v34
	v_lshrrev_b32_e32 v34, 16, v30
.LBB777_194:
	s_or_b64 exec, exec, s[16:17]
.LBB777_195:
	s_or_b64 exec, exec, s[14:15]
.LBB777_196:
	s_or_b64 exec, exec, s[12:13]
	s_mov_b32 s12, -1
	s_mov_b32 s13, 0xffffff
	v_cmp_lt_u64_e32 vcc, s[12:13], v[32:33]
	s_and_saveexec_b64 s[12:13], vcc
	s_cbranch_execz .LBB777_202
; %bb.197:
	v_lshrrev_b32_e32 v30, 24, v33
	s_movk_i32 s11, 0x80
	v_cmp_ne_u32_e32 vcc, s11, v30
	v_mov_b32_e32 v31, 0xffff8000
	s_and_saveexec_b64 s[14:15], vcc
	s_cbranch_execz .LBB777_201
; %bb.198:
	v_bfe_u32 v32, v33, 24, 7
	s_movk_i32 s11, 0x7f
	v_cmp_ne_u32_e32 vcc, s11, v32
	v_mov_b32_e32 v31, 0x7f80
	s_and_saveexec_b64 s[16:17], vcc
	s_cbranch_execz .LBB777_200
; %bb.199:
	v_and_b32_e32 v31, 7, v30
	v_ffbh_u32_e32 v41, v31
	v_min_u32_e32 v41, 32, v41
	v_subrev_u32_e32 v45, 28, v41
	v_lshlrev_b64 v[46:47], v45, v[30:31]
	v_lshrrev_b32_e32 v33, 3, v32
	v_sub_u32_e32 v41, 29, v41
	v_and_b32_e32 v45, 7, v46
	v_cmp_gt_u32_e32 vcc, 8, v32
	v_cndmask_b32_e32 v32, v33, v41, vcc
	v_cndmask_b32_e32 v31, v31, v45, vcc
	v_lshlrev_b32_e32 v30, 24, v30
	v_bfrev_b32_e32 v33, 60
	v_lshlrev_b32_e32 v31, 20, v31
	v_and_b32_e32 v30, 0x80000000, v30
	v_lshl_add_u32 v32, v32, 23, v33
	v_or3_b32 v30, v30, v32, v31
	v_lshrrev_b32_e32 v31, 16, v30
.LBB777_200:
	s_or_b64 exec, exec, s[16:17]
.LBB777_201:
	s_or_b64 exec, exec, s[14:15]
.LBB777_202:
	s_or_b64 exec, exec, s[12:13]
	s_mov_b32 s11, 0x5040100
	v_perm_b32 v33, v38, v37, s11
	v_perm_b32 v32, v35, v36, s11
	;; [unrolled: 1-line block ×4, first 2 shown]
	v_mfma_f32_4x4x4bf16_1k a[0:3], v[2:3], v[32:33], a[0:3] cbsz:4 abid:3
	v_mov_b32_e32 v33, 0
	v_mfma_f32_4x4x4bf16_1k a[0:3], v[4:5], v[30:31], a[0:3] cbsz:4 abid:3
	v_cmp_ne_u16_sdwa s[14:15], v26, v33 src0_sel:BYTE_0 src1_sel:DWORD
	v_mov_b32_e32 v34, 0
	s_and_saveexec_b64 s[12:13], s[14:15]
	s_cbranch_execz .LBB777_208
; %bb.203:
	s_movk_i32 s11, 0x80
	v_cmp_ne_u16_sdwa s[16:17], v26, s11 src0_sel:BYTE_0 src1_sel:DWORD
	v_mov_b32_e32 v34, 0xffff8000
	s_and_saveexec_b64 s[14:15], s[16:17]
	s_cbranch_execz .LBB777_207
; %bb.204:
	s_movk_i32 s11, 0x7f
	v_and_b32_e32 v30, 0x7f, v26
	v_cmp_ne_u32_e32 vcc, s11, v30
	v_mov_b32_e32 v34, 0x7f80
	s_and_saveexec_b64 s[16:17], vcc
	s_cbranch_execz .LBB777_206
; %bb.205:
	v_and_b32_e32 v31, 7, v26
	v_ffbh_u32_e32 v31, v31
	v_min_u32_e32 v31, 32, v31
	v_subrev_u32_e32 v34, 28, v31
	v_cmp_gt_u32_e32 vcc, 8, v30
	v_lshrrev_b32_e32 v32, 3, v30
	v_sub_u32_e32 v31, 29, v31
	v_cndmask_b32_e32 v30, 0, v34, vcc
	v_cndmask_b32_e32 v32, v32, v31, vcc
	v_lshlrev_b64 v[30:31], v30, v[26:27]
	v_lshlrev_b32_e32 v30, 20, v30
	v_lshlrev_b32_e32 v31, 24, v26
	v_bfrev_b32_e32 v34, 60
	v_and_b32_e32 v30, 0x700000, v30
	v_and_b32_e32 v31, 0x80000000, v31
	v_lshl_add_u32 v32, v32, 23, v34
	v_or3_b32 v30, v31, v32, v30
	v_lshrrev_b32_e32 v34, 16, v30
.LBB777_206:
	s_or_b64 exec, exec, s[16:17]
.LBB777_207:
	s_or_b64 exec, exec, s[14:15]
.LBB777_208:
	s_or_b64 exec, exec, s[12:13]
	v_lshrrev_b16_e32 v30, 8, v26
	v_cmp_ne_u16_e32 vcc, 0, v30
	s_and_saveexec_b64 s[12:13], vcc
	s_cbranch_execz .LBB777_214
; %bb.209:
	s_movk_i32 s11, 0x80
	v_cmp_ne_u16_e32 vcc, s11, v30
	v_mov_b32_e32 v33, 0xffff8000
	s_and_saveexec_b64 s[14:15], vcc
	s_cbranch_execz .LBB777_213
; %bb.210:
	s_movk_i32 s11, 0x7f
	v_and_b32_e32 v31, 0x7f, v30
	v_cmp_ne_u32_e32 vcc, s11, v31
	v_mov_b32_e32 v33, 0x7f80
	s_and_saveexec_b64 s[16:17], vcc
	s_cbranch_execz .LBB777_212
; %bb.211:
	v_and_b32_e32 v35, 7, v30
	v_ffbh_u32_e32 v32, v35
	v_min_u32_e32 v37, 32, v32
	v_subrev_u32_e32 v32, 28, v37
	v_lshlrev_b64 v[32:33], v32, v[30:31]
	v_lshrrev_b32_e32 v36, 3, v31
	v_sub_u32_e32 v30, 29, v37
	v_and_b32_e32 v32, 7, v32
	v_cmp_gt_u32_e32 vcc, 8, v31
	v_cndmask_b32_e32 v30, v36, v30, vcc
	v_cndmask_b32_e32 v31, v35, v32, vcc
	v_lshlrev_b32_e32 v32, 16, v26
	v_bfrev_b32_e32 v33, 60
	v_lshlrev_b32_e32 v31, 20, v31
	v_and_b32_e32 v32, 0x80000000, v32
	v_lshl_add_u32 v30, v30, 23, v33
	v_or3_b32 v30, v32, v30, v31
	v_lshrrev_b32_e32 v33, 16, v30
.LBB777_212:
	s_or_b64 exec, exec, s[16:17]
.LBB777_213:
	s_or_b64 exec, exec, s[14:15]
.LBB777_214:
	s_or_b64 exec, exec, s[12:13]
	s_movk_i32 s11, 0xff
	v_and_b32_sdwa v32, v26, s11 dst_sel:DWORD dst_unused:UNUSED_PAD src0_sel:WORD_1 src1_sel:DWORD
	v_lshrrev_b32_e32 v30, 16, v26
	v_cmp_ne_u16_e32 vcc, 0, v32
	v_mov_b32_e32 v31, 0
	v_mov_b32_e32 v35, 0
	s_and_saveexec_b64 s[12:13], vcc
	s_cbranch_execz .LBB777_220
; %bb.215:
	s_movk_i32 s11, 0x80
	v_cmp_ne_u16_e32 vcc, s11, v32
	v_mov_b32_e32 v35, 0xffff8000
	s_and_saveexec_b64 s[14:15], vcc
	s_cbranch_execz .LBB777_219
; %bb.216:
	v_bfe_u32 v32, v26, 16, 7
	s_movk_i32 s11, 0x7f
	v_cmp_ne_u32_e32 vcc, s11, v32
	v_mov_b32_e32 v35, 0x7f80
	s_and_saveexec_b64 s[16:17], vcc
	s_cbranch_execz .LBB777_218
; %bb.217:
	v_and_b32_e32 v35, 7, v30
	v_ffbh_u32_e32 v36, v35
	v_min_u32_e32 v39, 32, v36
	v_subrev_u32_e32 v36, 28, v39
	v_lshlrev_b64 v[36:37], v36, v[30:31]
	v_and_b32_e32 v36, 7, v36
	v_cmp_gt_u32_e32 vcc, 8, v32
	v_lshrrev_b32_e32 v38, 3, v32
	v_sub_u32_e32 v30, 29, v39
	v_cndmask_b32_e32 v32, v35, v36, vcc
	v_mov_b32_e32 v35, 24
	v_cndmask_b32_e32 v30, v38, v30, vcc
	v_lshlrev_b32_sdwa v35, v35, v26 dst_sel:DWORD dst_unused:UNUSED_PAD src0_sel:DWORD src1_sel:WORD_1
	v_bfrev_b32_e32 v36, 60
	v_lshlrev_b32_e32 v32, 20, v32
	v_and_b32_e32 v35, 0x80000000, v35
	v_lshl_add_u32 v30, v30, 23, v36
	v_or3_b32 v30, v35, v30, v32
	v_lshrrev_b32_e32 v35, 16, v30
.LBB777_218:
	s_or_b64 exec, exec, s[16:17]
.LBB777_219:
	s_or_b64 exec, exec, s[14:15]
.LBB777_220:
	s_or_b64 exec, exec, s[12:13]
	s_mov_b32 s11, 0xffffff
	v_cmp_lt_u32_e32 vcc, s11, v26
	v_mov_b32_e32 v36, 0
	s_and_saveexec_b64 s[12:13], vcc
	s_cbranch_execz .LBB777_226
; %bb.221:
	v_lshrrev_b32_e32 v30, 24, v26
	s_movk_i32 s11, 0x80
	v_cmp_ne_u32_e32 vcc, s11, v30
	v_mov_b32_e32 v36, 0xffff8000
	s_and_saveexec_b64 s[14:15], vcc
	s_cbranch_execz .LBB777_225
; %bb.222:
	v_bfe_u32 v32, v26, 24, 7
	s_movk_i32 s11, 0x7f
	v_cmp_ne_u32_e32 vcc, s11, v32
	v_mov_b32_e32 v36, 0x7f80
	s_and_saveexec_b64 s[16:17], vcc
	s_cbranch_execz .LBB777_224
; %bb.223:
	v_and_b32_e32 v38, 7, v30
	v_ffbh_u32_e32 v36, v38
	v_min_u32_e32 v40, 32, v36
	v_subrev_u32_e32 v36, 28, v40
	v_lshlrev_b64 v[36:37], v36, v[30:31]
	v_lshrrev_b32_e32 v39, 3, v32
	v_sub_u32_e32 v37, 29, v40
	v_and_b32_e32 v36, 7, v36
	v_cmp_gt_u32_e32 vcc, 8, v32
	v_cndmask_b32_e32 v32, v39, v37, vcc
	v_cndmask_b32_e32 v36, v38, v36, vcc
	v_lshlrev_b32_e32 v30, 24, v30
	v_bfrev_b32_e32 v37, 60
	v_lshlrev_b32_e32 v36, 20, v36
	v_and_b32_e32 v30, 0x80000000, v30
	v_lshl_add_u32 v32, v32, 23, v37
	v_or3_b32 v30, v30, v32, v36
	v_lshrrev_b32_e32 v36, 16, v30
.LBB777_224:
	s_or_b64 exec, exec, s[16:17]
.LBB777_225:
	s_or_b64 exec, exec, s[14:15]
.LBB777_226:
	s_or_b64 exec, exec, s[12:13]
	v_mov_b32_e32 v37, 0
	v_mov_b32_e32 v30, v27
	v_cmp_ne_u16_sdwa s[14:15], v27, v37 src0_sel:BYTE_0 src1_sel:DWORD
	v_mov_b32_e32 v38, 0
	s_and_saveexec_b64 s[12:13], s[14:15]
	s_cbranch_execz .LBB777_232
; %bb.227:
	s_movk_i32 s11, 0x80
	v_cmp_ne_u16_sdwa s[16:17], v27, s11 src0_sel:BYTE_0 src1_sel:DWORD
	v_mov_b32_e32 v38, 0xffff8000
	s_and_saveexec_b64 s[14:15], s[16:17]
	s_cbranch_execz .LBB777_231
; %bb.228:
	s_movk_i32 s11, 0x7f
	v_and_b32_e32 v32, 0x7f, v27
	v_cmp_ne_u32_e32 vcc, s11, v32
	v_mov_b32_e32 v38, 0x7f80
	s_and_saveexec_b64 s[16:17], vcc
	s_cbranch_execz .LBB777_230
; %bb.229:
	v_and_b32_e32 v38, 7, v27
	v_ffbh_u32_e32 v38, v38
	v_min_u32_e32 v38, 32, v38
	v_lshrrev_b32_e32 v39, 3, v32
	v_subrev_u32_e32 v40, 28, v38
	v_sub_u32_e32 v38, 29, v38
	v_cmp_gt_u32_e32 vcc, 8, v32
	v_cndmask_b32_e32 v32, v39, v38, vcc
	v_cndmask_b32_e32 v38, 0, v40, vcc
	v_lshlrev_b64 v[38:39], v38, v[30:31]
	v_lshlrev_b32_e32 v31, 20, v38
	v_lshlrev_b32_e32 v38, 24, v30
	v_bfrev_b32_e32 v39, 60
	v_and_b32_e32 v31, 0x700000, v31
	v_and_b32_e32 v38, 0x80000000, v38
	v_lshl_add_u32 v32, v32, 23, v39
	v_or3_b32 v31, v38, v32, v31
	v_lshrrev_b32_e32 v38, 16, v31
.LBB777_230:
	s_or_b64 exec, exec, s[16:17]
.LBB777_231:
	s_or_b64 exec, exec, s[14:15]
.LBB777_232:
	s_or_b64 exec, exec, s[12:13]
	v_lshrrev_b16_e32 v32, 8, v30
	v_cmp_ne_u16_e32 vcc, 0, v32
	s_and_saveexec_b64 s[12:13], vcc
	s_cbranch_execz .LBB777_238
; %bb.233:
	s_movk_i32 s11, 0x80
	v_cmp_ne_u16_e32 vcc, s11, v32
	v_mov_b32_e32 v37, 0xffff8000
	s_and_saveexec_b64 s[14:15], vcc
	s_cbranch_execz .LBB777_237
; %bb.234:
	s_movk_i32 s11, 0x7f
	v_and_b32_e32 v31, 0x7f, v32
	v_cmp_ne_u32_e32 vcc, s11, v31
	v_mov_b32_e32 v37, 0x7f80
	s_and_saveexec_b64 s[16:17], vcc
	s_cbranch_execz .LBB777_236
; %bb.235:
	v_and_b32_e32 v37, 7, v32
	v_ffbh_u32_e32 v40, v37
	v_min_u32_e32 v45, 32, v40
	v_subrev_u32_e32 v40, 28, v45
	v_lshlrev_b64 v[40:41], v40, v[32:33]
	v_lshrrev_b32_e32 v39, 3, v31
	v_sub_u32_e32 v32, 29, v45
	v_and_b32_e32 v40, 7, v40
	v_cmp_gt_u32_e32 vcc, 8, v31
	v_cndmask_b32_e32 v31, v39, v32, vcc
	v_cndmask_b32_e32 v32, v37, v40, vcc
	v_lshlrev_b32_e32 v30, 16, v30
	v_bfrev_b32_e32 v37, 60
	v_lshlrev_b32_e32 v32, 20, v32
	v_and_b32_e32 v30, 0x80000000, v30
	v_lshl_add_u32 v31, v31, 23, v37
	v_or3_b32 v30, v30, v31, v32
	v_lshrrev_b32_e32 v37, 16, v30
.LBB777_236:
	s_or_b64 exec, exec, s[16:17]
.LBB777_237:
	s_or_b64 exec, exec, s[14:15]
.LBB777_238:
	s_or_b64 exec, exec, s[12:13]
	s_movk_i32 s11, 0xff
	v_and_b32_sdwa v39, v27, s11 dst_sel:DWORD dst_unused:UNUSED_PAD src0_sel:WORD_1 src1_sel:DWORD
	v_lshrrev_b32_e32 v30, 16, v27
	v_cmp_ne_u16_e32 vcc, 0, v39
	v_mov_b32_e32 v31, 0
	v_mov_b32_e32 v32, 0
	s_and_saveexec_b64 s[12:13], vcc
	s_cbranch_execz .LBB777_244
; %bb.239:
	s_movk_i32 s11, 0x80
	v_cmp_ne_u16_e32 vcc, s11, v39
	v_mov_b32_e32 v32, 0xffff8000
	s_and_saveexec_b64 s[14:15], vcc
	s_cbranch_execz .LBB777_243
; %bb.240:
	v_bfe_u32 v39, v27, 16, 7
	s_movk_i32 s11, 0x7f
	v_cmp_ne_u32_e32 vcc, s11, v39
	v_mov_b32_e32 v32, 0x7f80
	s_and_saveexec_b64 s[16:17], vcc
	s_cbranch_execz .LBB777_242
; %bb.241:
	v_and_b32_e32 v32, 7, v30
	v_ffbh_u32_e32 v40, v32
	v_min_u32_e32 v46, 32, v40
	v_subrev_u32_e32 v40, 28, v46
	v_lshlrev_b64 v[40:41], v40, v[30:31]
	v_lshrrev_b32_e32 v45, 3, v39
	v_sub_u32_e32 v30, 29, v46
	v_and_b32_e32 v40, 7, v40
	v_cmp_gt_u32_e32 vcc, 8, v39
	v_mov_b32_e32 v39, 24
	v_cndmask_b32_e32 v30, v45, v30, vcc
	v_cndmask_b32_e32 v32, v32, v40, vcc
	v_lshlrev_b32_sdwa v39, v39, v27 dst_sel:DWORD dst_unused:UNUSED_PAD src0_sel:DWORD src1_sel:WORD_1
	v_bfrev_b32_e32 v40, 60
	v_lshlrev_b32_e32 v32, 20, v32
	v_and_b32_e32 v39, 0x80000000, v39
	v_lshl_add_u32 v30, v30, 23, v40
	v_or3_b32 v30, v39, v30, v32
	v_lshrrev_b32_e32 v32, 16, v30
.LBB777_242:
	s_or_b64 exec, exec, s[16:17]
.LBB777_243:
	s_or_b64 exec, exec, s[14:15]
.LBB777_244:
	s_or_b64 exec, exec, s[12:13]
	s_mov_b32 s12, -1
	s_mov_b32 s13, 0xffffff
	v_cmp_lt_u64_e32 vcc, s[12:13], v[26:27]
	s_and_saveexec_b64 s[12:13], vcc
	s_cbranch_execz .LBB777_250
; %bb.245:
	v_lshrrev_b32_e32 v26, 24, v27
	s_movk_i32 s11, 0x80
	v_cmp_ne_u32_e32 vcc, s11, v26
	v_mov_b32_e32 v31, 0xffff8000
	s_and_saveexec_b64 s[14:15], vcc
	s_cbranch_execz .LBB777_249
; %bb.246:
	v_bfe_u32 v27, v27, 24, 7
	s_movk_i32 s11, 0x7f
	v_cmp_ne_u32_e32 vcc, s11, v27
	v_mov_b32_e32 v31, 0x7f80
	s_and_saveexec_b64 s[16:17], vcc
	s_cbranch_execz .LBB777_248
; %bb.247:
	v_and_b32_e32 v39, 7, v26
	v_ffbh_u32_e32 v30, v39
	v_min_u32_e32 v41, 32, v30
	v_subrev_u32_e32 v30, 28, v41
	v_lshlrev_b64 v[30:31], v30, v[26:27]
	v_lshrrev_b32_e32 v40, 3, v27
	v_sub_u32_e32 v31, 29, v41
	v_and_b32_e32 v30, 7, v30
	v_cmp_gt_u32_e32 vcc, 8, v27
	v_cndmask_b32_e32 v27, v40, v31, vcc
	v_cndmask_b32_e32 v30, v39, v30, vcc
	v_lshlrev_b32_e32 v26, 24, v26
	v_bfrev_b32_e32 v31, 60
	v_lshlrev_b32_e32 v30, 20, v30
	v_and_b32_e32 v26, 0x80000000, v26
	v_lshl_add_u32 v27, v27, 23, v31
	v_or3_b32 v26, v26, v27, v30
	v_lshrrev_b32_e32 v31, 16, v26
.LBB777_248:
	s_or_b64 exec, exec, s[16:17]
.LBB777_249:
	s_or_b64 exec, exec, s[14:15]
.LBB777_250:
	s_or_b64 exec, exec, s[12:13]
	s_mov_b32 s11, 0x5040100
	v_perm_b32 v27, v36, v35, s11
	v_perm_b32 v26, v33, v34, s11
	;; [unrolled: 1-line block ×4, first 2 shown]
	v_mfma_f32_4x4x4bf16_1k a[0:3], v[2:3], v[26:27], a[0:3] cbsz:4 abid:4
	v_mov_b32_e32 v32, 0
	v_mfma_f32_4x4x4bf16_1k a[0:3], v[4:5], v[30:31], a[0:3] cbsz:4 abid:4
	v_mov_b32_e32 v31, 0
	v_cmp_ne_u16_sdwa s[14:15], v28, v31 src0_sel:BYTE_0 src1_sel:DWORD
	s_and_saveexec_b64 s[12:13], s[14:15]
	s_cbranch_execz .LBB777_256
; %bb.251:
	s_movk_i32 s11, 0x80
	v_cmp_ne_u16_sdwa s[16:17], v28, s11 src0_sel:BYTE_0 src1_sel:DWORD
	v_mov_b32_e32 v32, 0xffff8000
	s_and_saveexec_b64 s[14:15], s[16:17]
	s_cbranch_execz .LBB777_255
; %bb.252:
	s_movk_i32 s11, 0x7f
	v_and_b32_e32 v26, 0x7f, v28
	v_cmp_ne_u32_e32 vcc, s11, v26
	v_mov_b32_e32 v32, 0x7f80
	s_and_saveexec_b64 s[16:17], vcc
	s_cbranch_execz .LBB777_254
; %bb.253:
	v_and_b32_e32 v27, 7, v28
	v_ffbh_u32_e32 v27, v27
	v_min_u32_e32 v27, 32, v27
	v_subrev_u32_e32 v32, 28, v27
	v_cmp_gt_u32_e32 vcc, 8, v26
	v_lshrrev_b32_e32 v30, 3, v26
	v_sub_u32_e32 v27, 29, v27
	v_cndmask_b32_e32 v26, 0, v32, vcc
	v_cndmask_b32_e32 v30, v30, v27, vcc
	v_lshlrev_b64 v[26:27], v26, v[28:29]
	v_lshlrev_b32_e32 v26, 20, v26
	v_lshlrev_b32_e32 v27, 24, v28
	v_bfrev_b32_e32 v32, 60
	v_and_b32_e32 v26, 0x700000, v26
	v_and_b32_e32 v27, 0x80000000, v27
	v_lshl_add_u32 v30, v30, 23, v32
	v_or3_b32 v26, v27, v30, v26
	v_lshrrev_b32_e32 v32, 16, v26
.LBB777_254:
	s_or_b64 exec, exec, s[16:17]
.LBB777_255:
	s_or_b64 exec, exec, s[14:15]
.LBB777_256:
	s_or_b64 exec, exec, s[12:13]
	v_lshrrev_b16_e32 v26, 8, v28
	v_cmp_ne_u16_e32 vcc, 0, v26
	s_and_saveexec_b64 s[12:13], vcc
	s_cbranch_execz .LBB777_262
; %bb.257:
	s_movk_i32 s11, 0x80
	v_cmp_ne_u16_e32 vcc, s11, v26
	v_mov_b32_e32 v31, 0xffff8000
	s_and_saveexec_b64 s[14:15], vcc
	s_cbranch_execz .LBB777_261
; %bb.258:
	s_movk_i32 s11, 0x7f
	v_and_b32_e32 v27, 0x7f, v26
	v_cmp_ne_u32_e32 vcc, s11, v27
	v_mov_b32_e32 v31, 0x7f80
	s_and_saveexec_b64 s[16:17], vcc
	s_cbranch_execz .LBB777_260
; %bb.259:
	v_and_b32_e32 v33, 7, v26
	v_ffbh_u32_e32 v30, v33
	v_min_u32_e32 v35, 32, v30
	v_subrev_u32_e32 v30, 28, v35
	v_lshlrev_b64 v[30:31], v30, v[26:27]
	v_lshrrev_b32_e32 v34, 3, v27
	v_sub_u32_e32 v26, 29, v35
	v_and_b32_e32 v30, 7, v30
	v_cmp_gt_u32_e32 vcc, 8, v27
	v_cndmask_b32_e32 v26, v34, v26, vcc
	v_cndmask_b32_e32 v27, v33, v30, vcc
	v_lshlrev_b32_e32 v30, 16, v28
	v_bfrev_b32_e32 v31, 60
	v_lshlrev_b32_e32 v27, 20, v27
	v_and_b32_e32 v30, 0x80000000, v30
	v_lshl_add_u32 v26, v26, 23, v31
	v_or3_b32 v26, v30, v26, v27
	v_lshrrev_b32_e32 v31, 16, v26
.LBB777_260:
	s_or_b64 exec, exec, s[16:17]
.LBB777_261:
	s_or_b64 exec, exec, s[14:15]
.LBB777_262:
	s_or_b64 exec, exec, s[12:13]
	s_movk_i32 s11, 0xff
	v_and_b32_sdwa v30, v28, s11 dst_sel:DWORD dst_unused:UNUSED_PAD src0_sel:WORD_1 src1_sel:DWORD
	v_lshrrev_b32_e32 v26, 16, v28
	v_cmp_ne_u16_e32 vcc, 0, v30
	v_mov_b32_e32 v27, 0
	v_mov_b32_e32 v33, 0
	s_and_saveexec_b64 s[12:13], vcc
	s_cbranch_execz .LBB777_268
; %bb.263:
	s_movk_i32 s11, 0x80
	v_cmp_ne_u16_e32 vcc, s11, v30
	v_mov_b32_e32 v33, 0xffff8000
	s_and_saveexec_b64 s[14:15], vcc
	s_cbranch_execz .LBB777_267
; %bb.264:
	v_bfe_u32 v30, v28, 16, 7
	s_movk_i32 s11, 0x7f
	v_cmp_ne_u32_e32 vcc, s11, v30
	v_mov_b32_e32 v33, 0x7f80
	s_and_saveexec_b64 s[16:17], vcc
	s_cbranch_execz .LBB777_266
; %bb.265:
	v_and_b32_e32 v33, 7, v26
	v_ffbh_u32_e32 v34, v33
	v_min_u32_e32 v37, 32, v34
	v_subrev_u32_e32 v34, 28, v37
	v_lshlrev_b64 v[34:35], v34, v[26:27]
	v_and_b32_e32 v34, 7, v34
	v_cmp_gt_u32_e32 vcc, 8, v30
	v_lshrrev_b32_e32 v36, 3, v30
	v_sub_u32_e32 v26, 29, v37
	v_cndmask_b32_e32 v30, v33, v34, vcc
	v_mov_b32_e32 v33, 24
	v_cndmask_b32_e32 v26, v36, v26, vcc
	v_lshlrev_b32_sdwa v33, v33, v28 dst_sel:DWORD dst_unused:UNUSED_PAD src0_sel:DWORD src1_sel:WORD_1
	v_bfrev_b32_e32 v34, 60
	v_lshlrev_b32_e32 v30, 20, v30
	v_and_b32_e32 v33, 0x80000000, v33
	v_lshl_add_u32 v26, v26, 23, v34
	v_or3_b32 v26, v33, v26, v30
	v_lshrrev_b32_e32 v33, 16, v26
.LBB777_266:
	s_or_b64 exec, exec, s[16:17]
.LBB777_267:
	s_or_b64 exec, exec, s[14:15]
.LBB777_268:
	s_or_b64 exec, exec, s[12:13]
	s_mov_b32 s11, 0xffffff
	v_cmp_lt_u32_e32 vcc, s11, v28
	v_mov_b32_e32 v34, 0
	s_and_saveexec_b64 s[12:13], vcc
	s_cbranch_execz .LBB777_274
; %bb.269:
	v_lshrrev_b32_e32 v26, 24, v28
	s_movk_i32 s11, 0x80
	v_cmp_ne_u32_e32 vcc, s11, v26
	v_mov_b32_e32 v34, 0xffff8000
	s_and_saveexec_b64 s[14:15], vcc
	s_cbranch_execz .LBB777_273
; %bb.270:
	v_bfe_u32 v30, v28, 24, 7
	s_movk_i32 s11, 0x7f
	v_cmp_ne_u32_e32 vcc, s11, v30
	v_mov_b32_e32 v34, 0x7f80
	s_and_saveexec_b64 s[16:17], vcc
	s_cbranch_execz .LBB777_272
; %bb.271:
	v_and_b32_e32 v36, 7, v26
	v_ffbh_u32_e32 v34, v36
	v_min_u32_e32 v38, 32, v34
	v_subrev_u32_e32 v34, 28, v38
	v_lshlrev_b64 v[34:35], v34, v[26:27]
	v_lshrrev_b32_e32 v37, 3, v30
	v_sub_u32_e32 v35, 29, v38
	v_and_b32_e32 v34, 7, v34
	v_cmp_gt_u32_e32 vcc, 8, v30
	v_cndmask_b32_e32 v30, v37, v35, vcc
	v_cndmask_b32_e32 v34, v36, v34, vcc
	v_lshlrev_b32_e32 v26, 24, v26
	v_bfrev_b32_e32 v35, 60
	v_lshlrev_b32_e32 v34, 20, v34
	v_and_b32_e32 v26, 0x80000000, v26
	v_lshl_add_u32 v30, v30, 23, v35
	v_or3_b32 v26, v26, v30, v34
	v_lshrrev_b32_e32 v34, 16, v26
.LBB777_272:
	s_or_b64 exec, exec, s[16:17]
.LBB777_273:
	s_or_b64 exec, exec, s[14:15]
.LBB777_274:
	s_or_b64 exec, exec, s[12:13]
	v_mov_b32_e32 v35, 0
	v_mov_b32_e32 v26, v29
	v_cmp_ne_u16_sdwa s[14:15], v29, v35 src0_sel:BYTE_0 src1_sel:DWORD
	v_mov_b32_e32 v36, 0
	s_and_saveexec_b64 s[12:13], s[14:15]
	s_cbranch_execz .LBB777_280
; %bb.275:
	s_movk_i32 s11, 0x80
	v_cmp_ne_u16_sdwa s[16:17], v29, s11 src0_sel:BYTE_0 src1_sel:DWORD
	v_mov_b32_e32 v36, 0xffff8000
	s_and_saveexec_b64 s[14:15], s[16:17]
	s_cbranch_execz .LBB777_279
; %bb.276:
	s_movk_i32 s11, 0x7f
	v_and_b32_e32 v30, 0x7f, v29
	v_cmp_ne_u32_e32 vcc, s11, v30
	v_mov_b32_e32 v36, 0x7f80
	s_and_saveexec_b64 s[16:17], vcc
	s_cbranch_execz .LBB777_278
; %bb.277:
	v_and_b32_e32 v36, 7, v29
	v_ffbh_u32_e32 v36, v36
	v_min_u32_e32 v36, 32, v36
	v_lshrrev_b32_e32 v37, 3, v30
	v_subrev_u32_e32 v38, 28, v36
	v_sub_u32_e32 v36, 29, v36
	v_cmp_gt_u32_e32 vcc, 8, v30
	v_cndmask_b32_e32 v30, v37, v36, vcc
	v_cndmask_b32_e32 v36, 0, v38, vcc
	v_lshlrev_b64 v[36:37], v36, v[26:27]
	v_lshlrev_b32_e32 v27, 20, v36
	v_lshlrev_b32_e32 v36, 24, v26
	v_bfrev_b32_e32 v37, 60
	v_and_b32_e32 v27, 0x700000, v27
	v_and_b32_e32 v36, 0x80000000, v36
	v_lshl_add_u32 v30, v30, 23, v37
	v_or3_b32 v27, v36, v30, v27
	v_lshrrev_b32_e32 v36, 16, v27
.LBB777_278:
	s_or_b64 exec, exec, s[16:17]
.LBB777_279:
	s_or_b64 exec, exec, s[14:15]
.LBB777_280:
	s_or_b64 exec, exec, s[12:13]
	v_lshrrev_b16_e32 v30, 8, v26
	v_cmp_ne_u16_e32 vcc, 0, v30
	s_and_saveexec_b64 s[12:13], vcc
	s_cbranch_execz .LBB777_286
; %bb.281:
	s_movk_i32 s11, 0x80
	v_cmp_ne_u16_e32 vcc, s11, v30
	v_mov_b32_e32 v35, 0xffff8000
	s_and_saveexec_b64 s[14:15], vcc
	s_cbranch_execz .LBB777_285
; %bb.282:
	s_movk_i32 s11, 0x7f
	v_and_b32_e32 v27, 0x7f, v30
	v_cmp_ne_u32_e32 vcc, s11, v27
	v_mov_b32_e32 v35, 0x7f80
	s_and_saveexec_b64 s[16:17], vcc
	s_cbranch_execz .LBB777_284
; %bb.283:
	v_and_b32_e32 v35, 7, v30
	v_ffbh_u32_e32 v38, v35
	v_min_u32_e32 v40, 32, v38
	v_subrev_u32_e32 v38, 28, v40
	v_lshlrev_b64 v[38:39], v38, v[30:31]
	v_lshrrev_b32_e32 v37, 3, v27
	v_sub_u32_e32 v30, 29, v40
	v_and_b32_e32 v38, 7, v38
	v_cmp_gt_u32_e32 vcc, 8, v27
	v_cndmask_b32_e32 v27, v37, v30, vcc
	v_cndmask_b32_e32 v30, v35, v38, vcc
	v_lshlrev_b32_e32 v26, 16, v26
	v_bfrev_b32_e32 v35, 60
	v_lshlrev_b32_e32 v30, 20, v30
	v_and_b32_e32 v26, 0x80000000, v26
	v_lshl_add_u32 v27, v27, 23, v35
	v_or3_b32 v26, v26, v27, v30
	v_lshrrev_b32_e32 v35, 16, v26
.LBB777_284:
	s_or_b64 exec, exec, s[16:17]
.LBB777_285:
	s_or_b64 exec, exec, s[14:15]
.LBB777_286:
	s_or_b64 exec, exec, s[12:13]
	s_movk_i32 s11, 0xff
	v_and_b32_sdwa v37, v29, s11 dst_sel:DWORD dst_unused:UNUSED_PAD src0_sel:WORD_1 src1_sel:DWORD
	v_lshrrev_b32_e32 v26, 16, v29
	v_cmp_ne_u16_e32 vcc, 0, v37
	v_mov_b32_e32 v27, 0
	v_mov_b32_e32 v30, 0
	s_and_saveexec_b64 s[12:13], vcc
	s_cbranch_execz .LBB777_292
; %bb.287:
	s_movk_i32 s11, 0x80
	v_cmp_ne_u16_e32 vcc, s11, v37
	v_mov_b32_e32 v30, 0xffff8000
	s_and_saveexec_b64 s[14:15], vcc
	s_cbranch_execz .LBB777_291
; %bb.288:
	v_bfe_u32 v37, v29, 16, 7
	s_movk_i32 s11, 0x7f
	v_cmp_ne_u32_e32 vcc, s11, v37
	v_mov_b32_e32 v30, 0x7f80
	s_and_saveexec_b64 s[16:17], vcc
	s_cbranch_execz .LBB777_290
; %bb.289:
	v_and_b32_e32 v30, 7, v26
	v_ffbh_u32_e32 v38, v30
	v_min_u32_e32 v41, 32, v38
	v_subrev_u32_e32 v38, 28, v41
	v_lshlrev_b64 v[38:39], v38, v[26:27]
	v_lshrrev_b32_e32 v40, 3, v37
	v_sub_u32_e32 v26, 29, v41
	v_and_b32_e32 v38, 7, v38
	v_cmp_gt_u32_e32 vcc, 8, v37
	v_mov_b32_e32 v37, 24
	v_cndmask_b32_e32 v26, v40, v26, vcc
	v_cndmask_b32_e32 v30, v30, v38, vcc
	v_lshlrev_b32_sdwa v37, v37, v29 dst_sel:DWORD dst_unused:UNUSED_PAD src0_sel:DWORD src1_sel:WORD_1
	v_bfrev_b32_e32 v38, 60
	v_lshlrev_b32_e32 v30, 20, v30
	v_and_b32_e32 v37, 0x80000000, v37
	v_lshl_add_u32 v26, v26, 23, v38
	v_or3_b32 v26, v37, v26, v30
	v_lshrrev_b32_e32 v30, 16, v26
.LBB777_290:
	s_or_b64 exec, exec, s[16:17]
.LBB777_291:
	s_or_b64 exec, exec, s[14:15]
.LBB777_292:
	s_or_b64 exec, exec, s[12:13]
	s_mov_b32 s12, -1
	s_mov_b32 s13, 0xffffff
	v_cmp_lt_u64_e32 vcc, s[12:13], v[28:29]
	s_and_saveexec_b64 s[12:13], vcc
	s_cbranch_execz .LBB777_298
; %bb.293:
	v_lshrrev_b32_e32 v26, 24, v29
	s_movk_i32 s11, 0x80
	v_cmp_ne_u32_e32 vcc, s11, v26
	v_mov_b32_e32 v27, 0xffff8000
	s_and_saveexec_b64 s[14:15], vcc
	s_cbranch_execz .LBB777_297
; %bb.294:
	v_bfe_u32 v28, v29, 24, 7
	s_movk_i32 s11, 0x7f
	v_cmp_ne_u32_e32 vcc, s11, v28
	v_mov_b32_e32 v27, 0x7f80
	s_and_saveexec_b64 s[16:17], vcc
	s_cbranch_execz .LBB777_296
; %bb.295:
	v_and_b32_e32 v27, 7, v26
	v_ffbh_u32_e32 v37, v27
	v_min_u32_e32 v37, 32, v37
	v_subrev_u32_e32 v38, 28, v37
	v_lshlrev_b64 v[38:39], v38, v[26:27]
	v_lshrrev_b32_e32 v29, 3, v28
	v_sub_u32_e32 v37, 29, v37
	v_and_b32_e32 v38, 7, v38
	v_cmp_gt_u32_e32 vcc, 8, v28
	v_cndmask_b32_e32 v28, v29, v37, vcc
	v_cndmask_b32_e32 v27, v27, v38, vcc
	v_lshlrev_b32_e32 v26, 24, v26
	v_bfrev_b32_e32 v29, 60
	v_lshlrev_b32_e32 v27, 20, v27
	v_and_b32_e32 v26, 0x80000000, v26
	v_lshl_add_u32 v28, v28, 23, v29
	v_or3_b32 v26, v26, v28, v27
	v_lshrrev_b32_e32 v27, 16, v26
.LBB777_296:
	s_or_b64 exec, exec, s[16:17]
.LBB777_297:
	s_or_b64 exec, exec, s[14:15]
.LBB777_298:
	s_or_b64 exec, exec, s[12:13]
	s_mov_b32 s11, 0x5040100
	v_perm_b32 v29, v34, v33, s11
	v_perm_b32 v28, v31, v32, s11
	;; [unrolled: 1-line block ×4, first 2 shown]
	v_mfma_f32_4x4x4bf16_1k a[0:3], v[2:3], v[28:29], a[0:3] cbsz:4 abid:5
	v_mov_b32_e32 v29, 0
	v_mfma_f32_4x4x4bf16_1k a[0:3], v[4:5], v[26:27], a[0:3] cbsz:4 abid:5
	v_cmp_ne_u16_sdwa s[14:15], v22, v29 src0_sel:BYTE_0 src1_sel:DWORD
	v_mov_b32_e32 v30, 0
	s_and_saveexec_b64 s[12:13], s[14:15]
	s_cbranch_execz .LBB777_304
; %bb.299:
	s_movk_i32 s11, 0x80
	v_cmp_ne_u16_sdwa s[16:17], v22, s11 src0_sel:BYTE_0 src1_sel:DWORD
	v_mov_b32_e32 v30, 0xffff8000
	s_and_saveexec_b64 s[14:15], s[16:17]
	s_cbranch_execz .LBB777_303
; %bb.300:
	s_movk_i32 s11, 0x7f
	v_and_b32_e32 v26, 0x7f, v22
	v_cmp_ne_u32_e32 vcc, s11, v26
	v_mov_b32_e32 v30, 0x7f80
	s_and_saveexec_b64 s[16:17], vcc
	s_cbranch_execz .LBB777_302
; %bb.301:
	v_and_b32_e32 v27, 7, v22
	v_ffbh_u32_e32 v27, v27
	v_min_u32_e32 v27, 32, v27
	v_subrev_u32_e32 v30, 28, v27
	v_cmp_gt_u32_e32 vcc, 8, v26
	v_lshrrev_b32_e32 v28, 3, v26
	v_sub_u32_e32 v27, 29, v27
	v_cndmask_b32_e32 v26, 0, v30, vcc
	v_cndmask_b32_e32 v28, v28, v27, vcc
	v_lshlrev_b64 v[26:27], v26, v[22:23]
	v_lshlrev_b32_e32 v26, 20, v26
	v_lshlrev_b32_e32 v27, 24, v22
	v_bfrev_b32_e32 v30, 60
	v_and_b32_e32 v26, 0x700000, v26
	v_and_b32_e32 v27, 0x80000000, v27
	v_lshl_add_u32 v28, v28, 23, v30
	v_or3_b32 v26, v27, v28, v26
	v_lshrrev_b32_e32 v30, 16, v26
.LBB777_302:
	s_or_b64 exec, exec, s[16:17]
.LBB777_303:
	s_or_b64 exec, exec, s[14:15]
.LBB777_304:
	s_or_b64 exec, exec, s[12:13]
	v_lshrrev_b16_e32 v26, 8, v22
	v_cmp_ne_u16_e32 vcc, 0, v26
	s_and_saveexec_b64 s[12:13], vcc
	s_cbranch_execz .LBB777_310
; %bb.305:
	s_movk_i32 s11, 0x80
	v_cmp_ne_u16_e32 vcc, s11, v26
	v_mov_b32_e32 v29, 0xffff8000
	s_and_saveexec_b64 s[14:15], vcc
	s_cbranch_execz .LBB777_309
; %bb.306:
	s_movk_i32 s11, 0x7f
	v_and_b32_e32 v27, 0x7f, v26
	v_cmp_ne_u32_e32 vcc, s11, v27
	v_mov_b32_e32 v29, 0x7f80
	s_and_saveexec_b64 s[16:17], vcc
	s_cbranch_execz .LBB777_308
; %bb.307:
	v_and_b32_e32 v31, 7, v26
	v_ffbh_u32_e32 v28, v31
	v_min_u32_e32 v33, 32, v28
	v_subrev_u32_e32 v28, 28, v33
	v_lshlrev_b64 v[28:29], v28, v[26:27]
	v_lshrrev_b32_e32 v32, 3, v27
	v_sub_u32_e32 v26, 29, v33
	v_and_b32_e32 v28, 7, v28
	v_cmp_gt_u32_e32 vcc, 8, v27
	v_cndmask_b32_e32 v26, v32, v26, vcc
	v_cndmask_b32_e32 v27, v31, v28, vcc
	v_lshlrev_b32_e32 v28, 16, v22
	v_bfrev_b32_e32 v29, 60
	v_lshlrev_b32_e32 v27, 20, v27
	v_and_b32_e32 v28, 0x80000000, v28
	v_lshl_add_u32 v26, v26, 23, v29
	v_or3_b32 v26, v28, v26, v27
	v_lshrrev_b32_e32 v29, 16, v26
.LBB777_308:
	s_or_b64 exec, exec, s[16:17]
.LBB777_309:
	s_or_b64 exec, exec, s[14:15]
.LBB777_310:
	s_or_b64 exec, exec, s[12:13]
	s_movk_i32 s11, 0xff
	v_and_b32_sdwa v28, v22, s11 dst_sel:DWORD dst_unused:UNUSED_PAD src0_sel:WORD_1 src1_sel:DWORD
	v_lshrrev_b32_e32 v26, 16, v22
	v_cmp_ne_u16_e32 vcc, 0, v28
	v_mov_b32_e32 v27, 0
	v_mov_b32_e32 v31, 0
	s_and_saveexec_b64 s[12:13], vcc
	s_cbranch_execz .LBB777_316
; %bb.311:
	s_movk_i32 s11, 0x80
	v_cmp_ne_u16_e32 vcc, s11, v28
	v_mov_b32_e32 v31, 0xffff8000
	s_and_saveexec_b64 s[14:15], vcc
	s_cbranch_execz .LBB777_315
; %bb.312:
	v_bfe_u32 v28, v22, 16, 7
	s_movk_i32 s11, 0x7f
	v_cmp_ne_u32_e32 vcc, s11, v28
	v_mov_b32_e32 v31, 0x7f80
	s_and_saveexec_b64 s[16:17], vcc
	s_cbranch_execz .LBB777_314
; %bb.313:
	v_and_b32_e32 v31, 7, v26
	v_ffbh_u32_e32 v32, v31
	v_min_u32_e32 v35, 32, v32
	v_subrev_u32_e32 v32, 28, v35
	v_lshlrev_b64 v[32:33], v32, v[26:27]
	v_and_b32_e32 v32, 7, v32
	v_cmp_gt_u32_e32 vcc, 8, v28
	v_lshrrev_b32_e32 v34, 3, v28
	v_sub_u32_e32 v26, 29, v35
	v_cndmask_b32_e32 v28, v31, v32, vcc
	v_mov_b32_e32 v31, 24
	v_cndmask_b32_e32 v26, v34, v26, vcc
	v_lshlrev_b32_sdwa v31, v31, v22 dst_sel:DWORD dst_unused:UNUSED_PAD src0_sel:DWORD src1_sel:WORD_1
	v_bfrev_b32_e32 v32, 60
	v_lshlrev_b32_e32 v28, 20, v28
	v_and_b32_e32 v31, 0x80000000, v31
	v_lshl_add_u32 v26, v26, 23, v32
	v_or3_b32 v26, v31, v26, v28
	v_lshrrev_b32_e32 v31, 16, v26
.LBB777_314:
	s_or_b64 exec, exec, s[16:17]
.LBB777_315:
	s_or_b64 exec, exec, s[14:15]
.LBB777_316:
	s_or_b64 exec, exec, s[12:13]
	s_mov_b32 s11, 0xffffff
	v_cmp_lt_u32_e32 vcc, s11, v22
	v_mov_b32_e32 v32, 0
	s_and_saveexec_b64 s[12:13], vcc
	s_cbranch_execz .LBB777_322
; %bb.317:
	v_lshrrev_b32_e32 v26, 24, v22
	s_movk_i32 s11, 0x80
	v_cmp_ne_u32_e32 vcc, s11, v26
	v_mov_b32_e32 v32, 0xffff8000
	s_and_saveexec_b64 s[14:15], vcc
	s_cbranch_execz .LBB777_321
; %bb.318:
	v_bfe_u32 v28, v22, 24, 7
	s_movk_i32 s11, 0x7f
	v_cmp_ne_u32_e32 vcc, s11, v28
	v_mov_b32_e32 v32, 0x7f80
	s_and_saveexec_b64 s[16:17], vcc
	s_cbranch_execz .LBB777_320
; %bb.319:
	v_and_b32_e32 v34, 7, v26
	v_ffbh_u32_e32 v32, v34
	v_min_u32_e32 v36, 32, v32
	v_subrev_u32_e32 v32, 28, v36
	v_lshlrev_b64 v[32:33], v32, v[26:27]
	v_lshrrev_b32_e32 v35, 3, v28
	v_sub_u32_e32 v33, 29, v36
	v_and_b32_e32 v32, 7, v32
	v_cmp_gt_u32_e32 vcc, 8, v28
	v_cndmask_b32_e32 v28, v35, v33, vcc
	v_cndmask_b32_e32 v32, v34, v32, vcc
	v_lshlrev_b32_e32 v26, 24, v26
	v_bfrev_b32_e32 v33, 60
	v_lshlrev_b32_e32 v32, 20, v32
	v_and_b32_e32 v26, 0x80000000, v26
	v_lshl_add_u32 v28, v28, 23, v33
	v_or3_b32 v26, v26, v28, v32
	v_lshrrev_b32_e32 v32, 16, v26
.LBB777_320:
	s_or_b64 exec, exec, s[16:17]
.LBB777_321:
	s_or_b64 exec, exec, s[14:15]
.LBB777_322:
	s_or_b64 exec, exec, s[12:13]
	v_mov_b32_e32 v33, 0
	v_mov_b32_e32 v26, v23
	v_cmp_ne_u16_sdwa s[14:15], v23, v33 src0_sel:BYTE_0 src1_sel:DWORD
	v_mov_b32_e32 v34, 0
	s_and_saveexec_b64 s[12:13], s[14:15]
	s_cbranch_execz .LBB777_328
; %bb.323:
	s_movk_i32 s11, 0x80
	v_cmp_ne_u16_sdwa s[16:17], v23, s11 src0_sel:BYTE_0 src1_sel:DWORD
	v_mov_b32_e32 v34, 0xffff8000
	s_and_saveexec_b64 s[14:15], s[16:17]
	s_cbranch_execz .LBB777_327
; %bb.324:
	s_movk_i32 s11, 0x7f
	v_and_b32_e32 v28, 0x7f, v23
	v_cmp_ne_u32_e32 vcc, s11, v28
	v_mov_b32_e32 v34, 0x7f80
	s_and_saveexec_b64 s[16:17], vcc
	s_cbranch_execz .LBB777_326
; %bb.325:
	v_and_b32_e32 v34, 7, v23
	v_ffbh_u32_e32 v34, v34
	v_min_u32_e32 v34, 32, v34
	v_lshrrev_b32_e32 v35, 3, v28
	v_subrev_u32_e32 v36, 28, v34
	v_sub_u32_e32 v34, 29, v34
	v_cmp_gt_u32_e32 vcc, 8, v28
	v_cndmask_b32_e32 v28, v35, v34, vcc
	v_cndmask_b32_e32 v34, 0, v36, vcc
	v_lshlrev_b64 v[34:35], v34, v[26:27]
	v_lshlrev_b32_e32 v27, 20, v34
	v_lshlrev_b32_e32 v34, 24, v26
	v_bfrev_b32_e32 v35, 60
	v_and_b32_e32 v27, 0x700000, v27
	v_and_b32_e32 v34, 0x80000000, v34
	v_lshl_add_u32 v28, v28, 23, v35
	v_or3_b32 v27, v34, v28, v27
	v_lshrrev_b32_e32 v34, 16, v27
.LBB777_326:
	s_or_b64 exec, exec, s[16:17]
.LBB777_327:
	s_or_b64 exec, exec, s[14:15]
.LBB777_328:
	s_or_b64 exec, exec, s[12:13]
	v_lshrrev_b16_e32 v28, 8, v26
	v_cmp_ne_u16_e32 vcc, 0, v28
	s_and_saveexec_b64 s[12:13], vcc
	s_cbranch_execz .LBB777_334
; %bb.329:
	s_movk_i32 s11, 0x80
	v_cmp_ne_u16_e32 vcc, s11, v28
	v_mov_b32_e32 v33, 0xffff8000
	s_and_saveexec_b64 s[14:15], vcc
	s_cbranch_execz .LBB777_333
; %bb.330:
	s_movk_i32 s11, 0x7f
	v_and_b32_e32 v27, 0x7f, v28
	v_cmp_ne_u32_e32 vcc, s11, v27
	v_mov_b32_e32 v33, 0x7f80
	s_and_saveexec_b64 s[16:17], vcc
	s_cbranch_execz .LBB777_332
; %bb.331:
	v_and_b32_e32 v33, 7, v28
	v_ffbh_u32_e32 v36, v33
	v_min_u32_e32 v38, 32, v36
	v_subrev_u32_e32 v36, 28, v38
	v_lshlrev_b64 v[36:37], v36, v[28:29]
	v_lshrrev_b32_e32 v35, 3, v27
	v_sub_u32_e32 v28, 29, v38
	v_and_b32_e32 v36, 7, v36
	v_cmp_gt_u32_e32 vcc, 8, v27
	v_cndmask_b32_e32 v27, v35, v28, vcc
	v_cndmask_b32_e32 v28, v33, v36, vcc
	v_lshlrev_b32_e32 v26, 16, v26
	v_bfrev_b32_e32 v33, 60
	v_lshlrev_b32_e32 v28, 20, v28
	v_and_b32_e32 v26, 0x80000000, v26
	v_lshl_add_u32 v27, v27, 23, v33
	v_or3_b32 v26, v26, v27, v28
	v_lshrrev_b32_e32 v33, 16, v26
.LBB777_332:
	s_or_b64 exec, exec, s[16:17]
.LBB777_333:
	s_or_b64 exec, exec, s[14:15]
.LBB777_334:
	s_or_b64 exec, exec, s[12:13]
	s_movk_i32 s11, 0xff
	v_and_b32_sdwa v35, v23, s11 dst_sel:DWORD dst_unused:UNUSED_PAD src0_sel:WORD_1 src1_sel:DWORD
	v_lshrrev_b32_e32 v26, 16, v23
	v_cmp_ne_u16_e32 vcc, 0, v35
	v_mov_b32_e32 v27, 0
	v_mov_b32_e32 v28, 0
	s_and_saveexec_b64 s[12:13], vcc
	s_cbranch_execz .LBB777_340
; %bb.335:
	s_movk_i32 s11, 0x80
	v_cmp_ne_u16_e32 vcc, s11, v35
	v_mov_b32_e32 v28, 0xffff8000
	s_and_saveexec_b64 s[14:15], vcc
	s_cbranch_execz .LBB777_339
; %bb.336:
	v_bfe_u32 v35, v23, 16, 7
	s_movk_i32 s11, 0x7f
	v_cmp_ne_u32_e32 vcc, s11, v35
	v_mov_b32_e32 v28, 0x7f80
	s_and_saveexec_b64 s[16:17], vcc
	s_cbranch_execz .LBB777_338
; %bb.337:
	v_and_b32_e32 v28, 7, v26
	v_ffbh_u32_e32 v36, v28
	v_min_u32_e32 v39, 32, v36
	v_subrev_u32_e32 v36, 28, v39
	v_lshlrev_b64 v[36:37], v36, v[26:27]
	v_lshrrev_b32_e32 v38, 3, v35
	v_sub_u32_e32 v26, 29, v39
	v_and_b32_e32 v36, 7, v36
	v_cmp_gt_u32_e32 vcc, 8, v35
	v_mov_b32_e32 v35, 24
	v_cndmask_b32_e32 v26, v38, v26, vcc
	v_cndmask_b32_e32 v28, v28, v36, vcc
	v_lshlrev_b32_sdwa v35, v35, v23 dst_sel:DWORD dst_unused:UNUSED_PAD src0_sel:DWORD src1_sel:WORD_1
	v_bfrev_b32_e32 v36, 60
	v_lshlrev_b32_e32 v28, 20, v28
	v_and_b32_e32 v35, 0x80000000, v35
	v_lshl_add_u32 v26, v26, 23, v36
	v_or3_b32 v26, v35, v26, v28
	v_lshrrev_b32_e32 v28, 16, v26
.LBB777_338:
	s_or_b64 exec, exec, s[16:17]
.LBB777_339:
	s_or_b64 exec, exec, s[14:15]
.LBB777_340:
	s_or_b64 exec, exec, s[12:13]
	s_mov_b32 s12, -1
	s_mov_b32 s13, 0xffffff
	v_cmp_lt_u64_e32 vcc, s[12:13], v[22:23]
	s_and_saveexec_b64 s[12:13], vcc
	s_cbranch_execz .LBB777_346
; %bb.341:
	v_lshrrev_b32_e32 v22, 24, v23
	s_movk_i32 s11, 0x80
	v_cmp_ne_u32_e32 vcc, s11, v22
	v_mov_b32_e32 v27, 0xffff8000
	s_and_saveexec_b64 s[14:15], vcc
	s_cbranch_execz .LBB777_345
; %bb.342:
	v_bfe_u32 v23, v23, 24, 7
	s_movk_i32 s11, 0x7f
	v_cmp_ne_u32_e32 vcc, s11, v23
	v_mov_b32_e32 v27, 0x7f80
	s_and_saveexec_b64 s[16:17], vcc
	s_cbranch_execz .LBB777_344
; %bb.343:
	v_and_b32_e32 v35, 7, v22
	v_ffbh_u32_e32 v26, v35
	v_min_u32_e32 v37, 32, v26
	v_subrev_u32_e32 v26, 28, v37
	v_lshlrev_b64 v[26:27], v26, v[22:23]
	v_lshrrev_b32_e32 v36, 3, v23
	v_sub_u32_e32 v27, 29, v37
	v_and_b32_e32 v26, 7, v26
	v_cmp_gt_u32_e32 vcc, 8, v23
	v_cndmask_b32_e32 v23, v36, v27, vcc
	v_cndmask_b32_e32 v26, v35, v26, vcc
	v_lshlrev_b32_e32 v22, 24, v22
	v_bfrev_b32_e32 v27, 60
	v_lshlrev_b32_e32 v26, 20, v26
	v_and_b32_e32 v22, 0x80000000, v22
	v_lshl_add_u32 v23, v23, 23, v27
	v_or3_b32 v22, v22, v23, v26
	v_lshrrev_b32_e32 v27, 16, v22
.LBB777_344:
	s_or_b64 exec, exec, s[16:17]
.LBB777_345:
	s_or_b64 exec, exec, s[14:15]
.LBB777_346:
	s_or_b64 exec, exec, s[12:13]
	s_mov_b32 s11, 0x5040100
	v_perm_b32 v23, v32, v31, s11
	v_perm_b32 v22, v29, v30, s11
	;; [unrolled: 1-line block ×4, first 2 shown]
	v_mfma_f32_4x4x4bf16_1k a[0:3], v[2:3], v[22:23], a[0:3] cbsz:4 abid:6
	v_mov_b32_e32 v28, 0
	v_mfma_f32_4x4x4bf16_1k a[0:3], v[4:5], v[26:27], a[0:3] cbsz:4 abid:6
	v_mov_b32_e32 v27, 0
	v_cmp_ne_u16_sdwa s[14:15], v24, v27 src0_sel:BYTE_0 src1_sel:DWORD
	s_and_saveexec_b64 s[12:13], s[14:15]
	s_cbranch_execz .LBB777_352
; %bb.347:
	s_movk_i32 s11, 0x80
	v_cmp_ne_u16_sdwa s[16:17], v24, s11 src0_sel:BYTE_0 src1_sel:DWORD
	v_mov_b32_e32 v28, 0xffff8000
	s_and_saveexec_b64 s[14:15], s[16:17]
	s_cbranch_execz .LBB777_351
; %bb.348:
	s_movk_i32 s11, 0x7f
	v_and_b32_e32 v22, 0x7f, v24
	v_cmp_ne_u32_e32 vcc, s11, v22
	v_mov_b32_e32 v28, 0x7f80
	s_and_saveexec_b64 s[16:17], vcc
	s_cbranch_execz .LBB777_350
; %bb.349:
	v_and_b32_e32 v23, 7, v24
	v_ffbh_u32_e32 v23, v23
	v_min_u32_e32 v23, 32, v23
	v_subrev_u32_e32 v28, 28, v23
	v_cmp_gt_u32_e32 vcc, 8, v22
	v_lshrrev_b32_e32 v26, 3, v22
	v_sub_u32_e32 v23, 29, v23
	v_cndmask_b32_e32 v22, 0, v28, vcc
	v_cndmask_b32_e32 v26, v26, v23, vcc
	v_lshlrev_b64 v[22:23], v22, v[24:25]
	v_lshlrev_b32_e32 v22, 20, v22
	v_lshlrev_b32_e32 v23, 24, v24
	v_bfrev_b32_e32 v28, 60
	v_and_b32_e32 v22, 0x700000, v22
	v_and_b32_e32 v23, 0x80000000, v23
	v_lshl_add_u32 v26, v26, 23, v28
	v_or3_b32 v22, v23, v26, v22
	v_lshrrev_b32_e32 v28, 16, v22
.LBB777_350:
	s_or_b64 exec, exec, s[16:17]
.LBB777_351:
	s_or_b64 exec, exec, s[14:15]
.LBB777_352:
	s_or_b64 exec, exec, s[12:13]
	v_lshrrev_b16_e32 v22, 8, v24
	v_cmp_ne_u16_e32 vcc, 0, v22
	s_and_saveexec_b64 s[12:13], vcc
	s_cbranch_execz .LBB777_358
; %bb.353:
	s_movk_i32 s11, 0x80
	v_cmp_ne_u16_e32 vcc, s11, v22
	v_mov_b32_e32 v27, 0xffff8000
	s_and_saveexec_b64 s[14:15], vcc
	s_cbranch_execz .LBB777_357
; %bb.354:
	s_movk_i32 s11, 0x7f
	v_and_b32_e32 v23, 0x7f, v22
	v_cmp_ne_u32_e32 vcc, s11, v23
	v_mov_b32_e32 v27, 0x7f80
	s_and_saveexec_b64 s[16:17], vcc
	s_cbranch_execz .LBB777_356
; %bb.355:
	v_and_b32_e32 v29, 7, v22
	v_ffbh_u32_e32 v26, v29
	v_min_u32_e32 v31, 32, v26
	v_subrev_u32_e32 v26, 28, v31
	v_lshlrev_b64 v[26:27], v26, v[22:23]
	v_lshrrev_b32_e32 v30, 3, v23
	v_sub_u32_e32 v22, 29, v31
	v_and_b32_e32 v26, 7, v26
	v_cmp_gt_u32_e32 vcc, 8, v23
	v_cndmask_b32_e32 v22, v30, v22, vcc
	v_cndmask_b32_e32 v23, v29, v26, vcc
	v_lshlrev_b32_e32 v26, 16, v24
	v_bfrev_b32_e32 v27, 60
	v_lshlrev_b32_e32 v23, 20, v23
	v_and_b32_e32 v26, 0x80000000, v26
	v_lshl_add_u32 v22, v22, 23, v27
	v_or3_b32 v22, v26, v22, v23
	v_lshrrev_b32_e32 v27, 16, v22
.LBB777_356:
	s_or_b64 exec, exec, s[16:17]
.LBB777_357:
	s_or_b64 exec, exec, s[14:15]
.LBB777_358:
	s_or_b64 exec, exec, s[12:13]
	s_movk_i32 s11, 0xff
	v_and_b32_sdwa v26, v24, s11 dst_sel:DWORD dst_unused:UNUSED_PAD src0_sel:WORD_1 src1_sel:DWORD
	v_lshrrev_b32_e32 v22, 16, v24
	v_cmp_ne_u16_e32 vcc, 0, v26
	v_mov_b32_e32 v23, 0
	v_mov_b32_e32 v29, 0
	s_and_saveexec_b64 s[12:13], vcc
	s_cbranch_execz .LBB777_364
; %bb.359:
	s_movk_i32 s11, 0x80
	v_cmp_ne_u16_e32 vcc, s11, v26
	v_mov_b32_e32 v29, 0xffff8000
	s_and_saveexec_b64 s[14:15], vcc
	s_cbranch_execz .LBB777_363
; %bb.360:
	v_bfe_u32 v26, v24, 16, 7
	s_movk_i32 s11, 0x7f
	v_cmp_ne_u32_e32 vcc, s11, v26
	v_mov_b32_e32 v29, 0x7f80
	s_and_saveexec_b64 s[16:17], vcc
	s_cbranch_execz .LBB777_362
; %bb.361:
	v_and_b32_e32 v29, 7, v22
	v_ffbh_u32_e32 v30, v29
	v_min_u32_e32 v33, 32, v30
	v_subrev_u32_e32 v30, 28, v33
	v_lshlrev_b64 v[30:31], v30, v[22:23]
	v_and_b32_e32 v30, 7, v30
	v_cmp_gt_u32_e32 vcc, 8, v26
	v_lshrrev_b32_e32 v32, 3, v26
	v_sub_u32_e32 v22, 29, v33
	v_cndmask_b32_e32 v26, v29, v30, vcc
	v_mov_b32_e32 v29, 24
	v_cndmask_b32_e32 v22, v32, v22, vcc
	v_lshlrev_b32_sdwa v29, v29, v24 dst_sel:DWORD dst_unused:UNUSED_PAD src0_sel:DWORD src1_sel:WORD_1
	v_bfrev_b32_e32 v30, 60
	v_lshlrev_b32_e32 v26, 20, v26
	v_and_b32_e32 v29, 0x80000000, v29
	v_lshl_add_u32 v22, v22, 23, v30
	v_or3_b32 v22, v29, v22, v26
	v_lshrrev_b32_e32 v29, 16, v22
.LBB777_362:
	s_or_b64 exec, exec, s[16:17]
.LBB777_363:
	s_or_b64 exec, exec, s[14:15]
.LBB777_364:
	s_or_b64 exec, exec, s[12:13]
	s_mov_b32 s11, 0xffffff
	v_cmp_lt_u32_e32 vcc, s11, v24
	v_mov_b32_e32 v30, 0
	s_and_saveexec_b64 s[12:13], vcc
	s_cbranch_execz .LBB777_370
; %bb.365:
	v_lshrrev_b32_e32 v22, 24, v24
	s_movk_i32 s11, 0x80
	v_cmp_ne_u32_e32 vcc, s11, v22
	v_mov_b32_e32 v30, 0xffff8000
	s_and_saveexec_b64 s[14:15], vcc
	s_cbranch_execz .LBB777_369
; %bb.366:
	v_bfe_u32 v26, v24, 24, 7
	s_movk_i32 s11, 0x7f
	v_cmp_ne_u32_e32 vcc, s11, v26
	v_mov_b32_e32 v30, 0x7f80
	s_and_saveexec_b64 s[16:17], vcc
	s_cbranch_execz .LBB777_368
; %bb.367:
	v_and_b32_e32 v32, 7, v22
	v_ffbh_u32_e32 v30, v32
	v_min_u32_e32 v34, 32, v30
	v_subrev_u32_e32 v30, 28, v34
	v_lshlrev_b64 v[30:31], v30, v[22:23]
	v_lshrrev_b32_e32 v33, 3, v26
	v_sub_u32_e32 v31, 29, v34
	v_and_b32_e32 v30, 7, v30
	v_cmp_gt_u32_e32 vcc, 8, v26
	v_cndmask_b32_e32 v26, v33, v31, vcc
	v_cndmask_b32_e32 v30, v32, v30, vcc
	v_lshlrev_b32_e32 v22, 24, v22
	v_bfrev_b32_e32 v31, 60
	v_lshlrev_b32_e32 v30, 20, v30
	v_and_b32_e32 v22, 0x80000000, v22
	v_lshl_add_u32 v26, v26, 23, v31
	v_or3_b32 v22, v22, v26, v30
	v_lshrrev_b32_e32 v30, 16, v22
.LBB777_368:
	s_or_b64 exec, exec, s[16:17]
.LBB777_369:
	s_or_b64 exec, exec, s[14:15]
.LBB777_370:
	s_or_b64 exec, exec, s[12:13]
	v_mov_b32_e32 v31, 0
	v_mov_b32_e32 v22, v25
	v_cmp_ne_u16_sdwa s[14:15], v25, v31 src0_sel:BYTE_0 src1_sel:DWORD
	v_mov_b32_e32 v32, 0
	s_and_saveexec_b64 s[12:13], s[14:15]
	s_cbranch_execz .LBB777_376
; %bb.371:
	s_movk_i32 s11, 0x80
	v_cmp_ne_u16_sdwa s[16:17], v25, s11 src0_sel:BYTE_0 src1_sel:DWORD
	v_mov_b32_e32 v32, 0xffff8000
	s_and_saveexec_b64 s[14:15], s[16:17]
	s_cbranch_execz .LBB777_375
; %bb.372:
	s_movk_i32 s11, 0x7f
	v_and_b32_e32 v26, 0x7f, v25
	v_cmp_ne_u32_e32 vcc, s11, v26
	v_mov_b32_e32 v32, 0x7f80
	s_and_saveexec_b64 s[16:17], vcc
	s_cbranch_execz .LBB777_374
; %bb.373:
	v_and_b32_e32 v32, 7, v25
	v_ffbh_u32_e32 v32, v32
	v_min_u32_e32 v32, 32, v32
	v_lshrrev_b32_e32 v33, 3, v26
	v_subrev_u32_e32 v34, 28, v32
	v_sub_u32_e32 v32, 29, v32
	v_cmp_gt_u32_e32 vcc, 8, v26
	v_cndmask_b32_e32 v26, v33, v32, vcc
	v_cndmask_b32_e32 v32, 0, v34, vcc
	v_lshlrev_b64 v[32:33], v32, v[22:23]
	v_lshlrev_b32_e32 v23, 20, v32
	v_lshlrev_b32_e32 v32, 24, v22
	v_bfrev_b32_e32 v33, 60
	v_and_b32_e32 v23, 0x700000, v23
	v_and_b32_e32 v32, 0x80000000, v32
	v_lshl_add_u32 v26, v26, 23, v33
	v_or3_b32 v23, v32, v26, v23
	v_lshrrev_b32_e32 v32, 16, v23
.LBB777_374:
	s_or_b64 exec, exec, s[16:17]
.LBB777_375:
	s_or_b64 exec, exec, s[14:15]
.LBB777_376:
	s_or_b64 exec, exec, s[12:13]
	v_lshrrev_b16_e32 v26, 8, v22
	v_cmp_ne_u16_e32 vcc, 0, v26
	s_and_saveexec_b64 s[12:13], vcc
	s_cbranch_execz .LBB777_382
; %bb.377:
	s_movk_i32 s11, 0x80
	v_cmp_ne_u16_e32 vcc, s11, v26
	v_mov_b32_e32 v31, 0xffff8000
	s_and_saveexec_b64 s[14:15], vcc
	s_cbranch_execz .LBB777_381
; %bb.378:
	s_movk_i32 s11, 0x7f
	v_and_b32_e32 v23, 0x7f, v26
	v_cmp_ne_u32_e32 vcc, s11, v23
	v_mov_b32_e32 v31, 0x7f80
	s_and_saveexec_b64 s[16:17], vcc
	s_cbranch_execz .LBB777_380
; %bb.379:
	v_and_b32_e32 v31, 7, v26
	v_ffbh_u32_e32 v34, v31
	v_min_u32_e32 v36, 32, v34
	v_subrev_u32_e32 v34, 28, v36
	v_lshlrev_b64 v[34:35], v34, v[26:27]
	v_lshrrev_b32_e32 v33, 3, v23
	v_sub_u32_e32 v26, 29, v36
	v_and_b32_e32 v34, 7, v34
	v_cmp_gt_u32_e32 vcc, 8, v23
	v_cndmask_b32_e32 v23, v33, v26, vcc
	v_cndmask_b32_e32 v26, v31, v34, vcc
	v_lshlrev_b32_e32 v22, 16, v22
	v_bfrev_b32_e32 v31, 60
	v_lshlrev_b32_e32 v26, 20, v26
	v_and_b32_e32 v22, 0x80000000, v22
	v_lshl_add_u32 v23, v23, 23, v31
	v_or3_b32 v22, v22, v23, v26
	v_lshrrev_b32_e32 v31, 16, v22
.LBB777_380:
	s_or_b64 exec, exec, s[16:17]
.LBB777_381:
	s_or_b64 exec, exec, s[14:15]
.LBB777_382:
	s_or_b64 exec, exec, s[12:13]
	s_movk_i32 s11, 0xff
	v_and_b32_sdwa v33, v25, s11 dst_sel:DWORD dst_unused:UNUSED_PAD src0_sel:WORD_1 src1_sel:DWORD
	v_lshrrev_b32_e32 v22, 16, v25
	v_cmp_ne_u16_e32 vcc, 0, v33
	v_mov_b32_e32 v23, 0
	v_mov_b32_e32 v26, 0
	s_and_saveexec_b64 s[12:13], vcc
	s_cbranch_execz .LBB777_388
; %bb.383:
	s_movk_i32 s11, 0x80
	v_cmp_ne_u16_e32 vcc, s11, v33
	v_mov_b32_e32 v26, 0xffff8000
	s_and_saveexec_b64 s[14:15], vcc
	s_cbranch_execz .LBB777_387
; %bb.384:
	v_bfe_u32 v33, v25, 16, 7
	s_movk_i32 s11, 0x7f
	v_cmp_ne_u32_e32 vcc, s11, v33
	v_mov_b32_e32 v26, 0x7f80
	s_and_saveexec_b64 s[16:17], vcc
	s_cbranch_execz .LBB777_386
; %bb.385:
	v_and_b32_e32 v26, 7, v22
	v_ffbh_u32_e32 v34, v26
	v_min_u32_e32 v37, 32, v34
	v_subrev_u32_e32 v34, 28, v37
	v_lshlrev_b64 v[34:35], v34, v[22:23]
	v_lshrrev_b32_e32 v36, 3, v33
	v_sub_u32_e32 v22, 29, v37
	v_and_b32_e32 v34, 7, v34
	v_cmp_gt_u32_e32 vcc, 8, v33
	v_mov_b32_e32 v33, 24
	v_cndmask_b32_e32 v22, v36, v22, vcc
	v_cndmask_b32_e32 v26, v26, v34, vcc
	v_lshlrev_b32_sdwa v33, v33, v25 dst_sel:DWORD dst_unused:UNUSED_PAD src0_sel:DWORD src1_sel:WORD_1
	v_bfrev_b32_e32 v34, 60
	v_lshlrev_b32_e32 v26, 20, v26
	v_and_b32_e32 v33, 0x80000000, v33
	v_lshl_add_u32 v22, v22, 23, v34
	v_or3_b32 v22, v33, v22, v26
	v_lshrrev_b32_e32 v26, 16, v22
.LBB777_386:
	s_or_b64 exec, exec, s[16:17]
.LBB777_387:
	s_or_b64 exec, exec, s[14:15]
.LBB777_388:
	s_or_b64 exec, exec, s[12:13]
	s_mov_b32 s12, -1
	s_mov_b32 s13, 0xffffff
	v_cmp_lt_u64_e32 vcc, s[12:13], v[24:25]
	s_and_saveexec_b64 s[12:13], vcc
	s_cbranch_execz .LBB777_394
; %bb.389:
	v_lshrrev_b32_e32 v22, 24, v25
	s_movk_i32 s11, 0x80
	v_cmp_ne_u32_e32 vcc, s11, v22
	v_mov_b32_e32 v23, 0xffff8000
	s_and_saveexec_b64 s[14:15], vcc
	s_cbranch_execz .LBB777_393
; %bb.390:
	v_bfe_u32 v24, v25, 24, 7
	s_movk_i32 s11, 0x7f
	v_cmp_ne_u32_e32 vcc, s11, v24
	v_mov_b32_e32 v23, 0x7f80
	s_and_saveexec_b64 s[16:17], vcc
	s_cbranch_execz .LBB777_392
; %bb.391:
	v_and_b32_e32 v23, 7, v22
	v_ffbh_u32_e32 v33, v23
	v_min_u32_e32 v33, 32, v33
	v_subrev_u32_e32 v34, 28, v33
	v_lshlrev_b64 v[34:35], v34, v[22:23]
	v_lshrrev_b32_e32 v25, 3, v24
	v_sub_u32_e32 v33, 29, v33
	v_and_b32_e32 v34, 7, v34
	v_cmp_gt_u32_e32 vcc, 8, v24
	v_cndmask_b32_e32 v24, v25, v33, vcc
	v_cndmask_b32_e32 v23, v23, v34, vcc
	v_lshlrev_b32_e32 v22, 24, v22
	v_bfrev_b32_e32 v25, 60
	v_lshlrev_b32_e32 v23, 20, v23
	v_and_b32_e32 v22, 0x80000000, v22
	v_lshl_add_u32 v24, v24, 23, v25
	v_or3_b32 v22, v22, v24, v23
	v_lshrrev_b32_e32 v23, 16, v22
.LBB777_392:
	s_or_b64 exec, exec, s[16:17]
.LBB777_393:
	s_or_b64 exec, exec, s[14:15]
.LBB777_394:
	s_or_b64 exec, exec, s[12:13]
	s_mov_b32 s11, 0x5040100
	v_perm_b32 v25, v30, v29, s11
	v_perm_b32 v24, v27, v28, s11
	;; [unrolled: 1-line block ×4, first 2 shown]
	v_mfma_f32_4x4x4bf16_1k a[0:3], v[2:3], v[24:25], a[0:3] cbsz:4 abid:7
	v_mov_b32_e32 v25, 0
	v_mfma_f32_4x4x4bf16_1k a[0:3], v[4:5], v[22:23], a[0:3] cbsz:4 abid:7
	v_cmp_ne_u16_sdwa s[14:15], v18, v25 src0_sel:BYTE_0 src1_sel:DWORD
	v_mov_b32_e32 v26, 0
	s_and_saveexec_b64 s[12:13], s[14:15]
	s_cbranch_execz .LBB777_400
; %bb.395:
	s_movk_i32 s11, 0x80
	v_cmp_ne_u16_sdwa s[16:17], v18, s11 src0_sel:BYTE_0 src1_sel:DWORD
	v_mov_b32_e32 v26, 0xffff8000
	s_and_saveexec_b64 s[14:15], s[16:17]
	s_cbranch_execz .LBB777_399
; %bb.396:
	s_movk_i32 s11, 0x7f
	v_and_b32_e32 v22, 0x7f, v18
	v_cmp_ne_u32_e32 vcc, s11, v22
	v_mov_b32_e32 v26, 0x7f80
	s_and_saveexec_b64 s[16:17], vcc
	s_cbranch_execz .LBB777_398
; %bb.397:
	v_and_b32_e32 v23, 7, v18
	v_ffbh_u32_e32 v23, v23
	v_min_u32_e32 v23, 32, v23
	v_subrev_u32_e32 v26, 28, v23
	v_cmp_gt_u32_e32 vcc, 8, v22
	v_lshrrev_b32_e32 v24, 3, v22
	v_sub_u32_e32 v23, 29, v23
	v_cndmask_b32_e32 v22, 0, v26, vcc
	v_cndmask_b32_e32 v24, v24, v23, vcc
	v_lshlrev_b64 v[22:23], v22, v[18:19]
	v_lshlrev_b32_e32 v22, 20, v22
	v_lshlrev_b32_e32 v23, 24, v18
	v_bfrev_b32_e32 v26, 60
	v_and_b32_e32 v22, 0x700000, v22
	v_and_b32_e32 v23, 0x80000000, v23
	v_lshl_add_u32 v24, v24, 23, v26
	v_or3_b32 v22, v23, v24, v22
	v_lshrrev_b32_e32 v26, 16, v22
.LBB777_398:
	s_or_b64 exec, exec, s[16:17]
.LBB777_399:
	s_or_b64 exec, exec, s[14:15]
.LBB777_400:
	s_or_b64 exec, exec, s[12:13]
	v_lshrrev_b16_e32 v22, 8, v18
	v_cmp_ne_u16_e32 vcc, 0, v22
	s_and_saveexec_b64 s[12:13], vcc
	s_cbranch_execz .LBB777_406
; %bb.401:
	s_movk_i32 s11, 0x80
	v_cmp_ne_u16_e32 vcc, s11, v22
	v_mov_b32_e32 v25, 0xffff8000
	s_and_saveexec_b64 s[14:15], vcc
	s_cbranch_execz .LBB777_405
; %bb.402:
	s_movk_i32 s11, 0x7f
	v_and_b32_e32 v23, 0x7f, v22
	v_cmp_ne_u32_e32 vcc, s11, v23
	v_mov_b32_e32 v25, 0x7f80
	s_and_saveexec_b64 s[16:17], vcc
	s_cbranch_execz .LBB777_404
; %bb.403:
	v_and_b32_e32 v27, 7, v22
	v_ffbh_u32_e32 v24, v27
	v_min_u32_e32 v29, 32, v24
	v_subrev_u32_e32 v24, 28, v29
	v_lshlrev_b64 v[24:25], v24, v[22:23]
	v_lshrrev_b32_e32 v28, 3, v23
	v_sub_u32_e32 v22, 29, v29
	v_and_b32_e32 v24, 7, v24
	v_cmp_gt_u32_e32 vcc, 8, v23
	v_cndmask_b32_e32 v22, v28, v22, vcc
	v_cndmask_b32_e32 v23, v27, v24, vcc
	v_lshlrev_b32_e32 v24, 16, v18
	v_bfrev_b32_e32 v25, 60
	v_lshlrev_b32_e32 v23, 20, v23
	v_and_b32_e32 v24, 0x80000000, v24
	v_lshl_add_u32 v22, v22, 23, v25
	v_or3_b32 v22, v24, v22, v23
	v_lshrrev_b32_e32 v25, 16, v22
.LBB777_404:
	s_or_b64 exec, exec, s[16:17]
.LBB777_405:
	s_or_b64 exec, exec, s[14:15]
.LBB777_406:
	s_or_b64 exec, exec, s[12:13]
	s_movk_i32 s11, 0xff
	v_and_b32_sdwa v24, v18, s11 dst_sel:DWORD dst_unused:UNUSED_PAD src0_sel:WORD_1 src1_sel:DWORD
	v_lshrrev_b32_e32 v22, 16, v18
	v_cmp_ne_u16_e32 vcc, 0, v24
	v_mov_b32_e32 v23, 0
	v_mov_b32_e32 v27, 0
	s_and_saveexec_b64 s[12:13], vcc
	s_cbranch_execz .LBB777_412
; %bb.407:
	s_movk_i32 s11, 0x80
	v_cmp_ne_u16_e32 vcc, s11, v24
	v_mov_b32_e32 v27, 0xffff8000
	s_and_saveexec_b64 s[14:15], vcc
	s_cbranch_execz .LBB777_411
; %bb.408:
	v_bfe_u32 v24, v18, 16, 7
	s_movk_i32 s11, 0x7f
	v_cmp_ne_u32_e32 vcc, s11, v24
	v_mov_b32_e32 v27, 0x7f80
	s_and_saveexec_b64 s[16:17], vcc
	s_cbranch_execz .LBB777_410
; %bb.409:
	v_and_b32_e32 v27, 7, v22
	v_ffbh_u32_e32 v28, v27
	v_min_u32_e32 v31, 32, v28
	v_subrev_u32_e32 v28, 28, v31
	v_lshlrev_b64 v[28:29], v28, v[22:23]
	v_and_b32_e32 v28, 7, v28
	v_cmp_gt_u32_e32 vcc, 8, v24
	v_lshrrev_b32_e32 v30, 3, v24
	v_sub_u32_e32 v22, 29, v31
	v_cndmask_b32_e32 v24, v27, v28, vcc
	v_mov_b32_e32 v27, 24
	v_cndmask_b32_e32 v22, v30, v22, vcc
	v_lshlrev_b32_sdwa v27, v27, v18 dst_sel:DWORD dst_unused:UNUSED_PAD src0_sel:DWORD src1_sel:WORD_1
	v_bfrev_b32_e32 v28, 60
	v_lshlrev_b32_e32 v24, 20, v24
	v_and_b32_e32 v27, 0x80000000, v27
	v_lshl_add_u32 v22, v22, 23, v28
	v_or3_b32 v22, v27, v22, v24
	v_lshrrev_b32_e32 v27, 16, v22
.LBB777_410:
	s_or_b64 exec, exec, s[16:17]
.LBB777_411:
	s_or_b64 exec, exec, s[14:15]
.LBB777_412:
	s_or_b64 exec, exec, s[12:13]
	s_mov_b32 s11, 0xffffff
	v_cmp_lt_u32_e32 vcc, s11, v18
	v_mov_b32_e32 v28, 0
	s_and_saveexec_b64 s[12:13], vcc
	s_cbranch_execz .LBB777_418
; %bb.413:
	v_lshrrev_b32_e32 v22, 24, v18
	s_movk_i32 s11, 0x80
	v_cmp_ne_u32_e32 vcc, s11, v22
	v_mov_b32_e32 v28, 0xffff8000
	s_and_saveexec_b64 s[14:15], vcc
	s_cbranch_execz .LBB777_417
; %bb.414:
	v_bfe_u32 v24, v18, 24, 7
	s_movk_i32 s11, 0x7f
	v_cmp_ne_u32_e32 vcc, s11, v24
	v_mov_b32_e32 v28, 0x7f80
	s_and_saveexec_b64 s[16:17], vcc
	s_cbranch_execz .LBB777_416
; %bb.415:
	v_and_b32_e32 v30, 7, v22
	v_ffbh_u32_e32 v28, v30
	v_min_u32_e32 v32, 32, v28
	v_subrev_u32_e32 v28, 28, v32
	v_lshlrev_b64 v[28:29], v28, v[22:23]
	v_lshrrev_b32_e32 v31, 3, v24
	v_sub_u32_e32 v29, 29, v32
	v_and_b32_e32 v28, 7, v28
	v_cmp_gt_u32_e32 vcc, 8, v24
	v_cndmask_b32_e32 v24, v31, v29, vcc
	v_cndmask_b32_e32 v28, v30, v28, vcc
	v_lshlrev_b32_e32 v22, 24, v22
	v_bfrev_b32_e32 v29, 60
	v_lshlrev_b32_e32 v28, 20, v28
	v_and_b32_e32 v22, 0x80000000, v22
	v_lshl_add_u32 v24, v24, 23, v29
	v_or3_b32 v22, v22, v24, v28
	v_lshrrev_b32_e32 v28, 16, v22
.LBB777_416:
	s_or_b64 exec, exec, s[16:17]
.LBB777_417:
	s_or_b64 exec, exec, s[14:15]
.LBB777_418:
	s_or_b64 exec, exec, s[12:13]
	v_mov_b32_e32 v29, 0
	v_mov_b32_e32 v22, v19
	v_cmp_ne_u16_sdwa s[14:15], v19, v29 src0_sel:BYTE_0 src1_sel:DWORD
	v_mov_b32_e32 v30, 0
	s_and_saveexec_b64 s[12:13], s[14:15]
	s_cbranch_execz .LBB777_424
; %bb.419:
	s_movk_i32 s11, 0x80
	v_cmp_ne_u16_sdwa s[16:17], v19, s11 src0_sel:BYTE_0 src1_sel:DWORD
	v_mov_b32_e32 v30, 0xffff8000
	s_and_saveexec_b64 s[14:15], s[16:17]
	s_cbranch_execz .LBB777_423
; %bb.420:
	s_movk_i32 s11, 0x7f
	v_and_b32_e32 v24, 0x7f, v19
	v_cmp_ne_u32_e32 vcc, s11, v24
	v_mov_b32_e32 v30, 0x7f80
	s_and_saveexec_b64 s[16:17], vcc
	s_cbranch_execz .LBB777_422
; %bb.421:
	v_and_b32_e32 v30, 7, v19
	v_ffbh_u32_e32 v30, v30
	v_min_u32_e32 v30, 32, v30
	v_lshrrev_b32_e32 v31, 3, v24
	v_subrev_u32_e32 v32, 28, v30
	v_sub_u32_e32 v30, 29, v30
	v_cmp_gt_u32_e32 vcc, 8, v24
	v_cndmask_b32_e32 v24, v31, v30, vcc
	v_cndmask_b32_e32 v30, 0, v32, vcc
	v_lshlrev_b64 v[30:31], v30, v[22:23]
	v_lshlrev_b32_e32 v23, 20, v30
	v_lshlrev_b32_e32 v30, 24, v22
	v_bfrev_b32_e32 v31, 60
	v_and_b32_e32 v23, 0x700000, v23
	v_and_b32_e32 v30, 0x80000000, v30
	v_lshl_add_u32 v24, v24, 23, v31
	v_or3_b32 v23, v30, v24, v23
	v_lshrrev_b32_e32 v30, 16, v23
.LBB777_422:
	s_or_b64 exec, exec, s[16:17]
.LBB777_423:
	s_or_b64 exec, exec, s[14:15]
.LBB777_424:
	s_or_b64 exec, exec, s[12:13]
	v_lshrrev_b16_e32 v24, 8, v22
	v_cmp_ne_u16_e32 vcc, 0, v24
	s_and_saveexec_b64 s[12:13], vcc
	s_cbranch_execz .LBB777_430
; %bb.425:
	s_movk_i32 s11, 0x80
	v_cmp_ne_u16_e32 vcc, s11, v24
	v_mov_b32_e32 v29, 0xffff8000
	s_and_saveexec_b64 s[14:15], vcc
	s_cbranch_execz .LBB777_429
; %bb.426:
	s_movk_i32 s11, 0x7f
	v_and_b32_e32 v23, 0x7f, v24
	v_cmp_ne_u32_e32 vcc, s11, v23
	v_mov_b32_e32 v29, 0x7f80
	s_and_saveexec_b64 s[16:17], vcc
	s_cbranch_execz .LBB777_428
; %bb.427:
	v_and_b32_e32 v29, 7, v24
	v_ffbh_u32_e32 v32, v29
	v_min_u32_e32 v34, 32, v32
	v_subrev_u32_e32 v32, 28, v34
	v_lshlrev_b64 v[32:33], v32, v[24:25]
	v_lshrrev_b32_e32 v31, 3, v23
	v_sub_u32_e32 v24, 29, v34
	v_and_b32_e32 v32, 7, v32
	v_cmp_gt_u32_e32 vcc, 8, v23
	v_cndmask_b32_e32 v23, v31, v24, vcc
	v_cndmask_b32_e32 v24, v29, v32, vcc
	v_lshlrev_b32_e32 v22, 16, v22
	v_bfrev_b32_e32 v29, 60
	v_lshlrev_b32_e32 v24, 20, v24
	v_and_b32_e32 v22, 0x80000000, v22
	v_lshl_add_u32 v23, v23, 23, v29
	v_or3_b32 v22, v22, v23, v24
	v_lshrrev_b32_e32 v29, 16, v22
.LBB777_428:
	s_or_b64 exec, exec, s[16:17]
.LBB777_429:
	s_or_b64 exec, exec, s[14:15]
.LBB777_430:
	s_or_b64 exec, exec, s[12:13]
	s_movk_i32 s11, 0xff
	v_and_b32_sdwa v31, v19, s11 dst_sel:DWORD dst_unused:UNUSED_PAD src0_sel:WORD_1 src1_sel:DWORD
	v_lshrrev_b32_e32 v22, 16, v19
	v_cmp_ne_u16_e32 vcc, 0, v31
	v_mov_b32_e32 v23, 0
	v_mov_b32_e32 v24, 0
	s_and_saveexec_b64 s[12:13], vcc
	s_cbranch_execz .LBB777_436
; %bb.431:
	s_movk_i32 s11, 0x80
	v_cmp_ne_u16_e32 vcc, s11, v31
	v_mov_b32_e32 v24, 0xffff8000
	s_and_saveexec_b64 s[14:15], vcc
	s_cbranch_execz .LBB777_435
; %bb.432:
	v_bfe_u32 v31, v19, 16, 7
	s_movk_i32 s11, 0x7f
	v_cmp_ne_u32_e32 vcc, s11, v31
	v_mov_b32_e32 v24, 0x7f80
	s_and_saveexec_b64 s[16:17], vcc
	s_cbranch_execz .LBB777_434
; %bb.433:
	v_and_b32_e32 v24, 7, v22
	v_ffbh_u32_e32 v32, v24
	v_min_u32_e32 v35, 32, v32
	v_subrev_u32_e32 v32, 28, v35
	v_lshlrev_b64 v[32:33], v32, v[22:23]
	v_lshrrev_b32_e32 v34, 3, v31
	v_sub_u32_e32 v22, 29, v35
	v_and_b32_e32 v32, 7, v32
	v_cmp_gt_u32_e32 vcc, 8, v31
	v_mov_b32_e32 v31, 24
	v_cndmask_b32_e32 v22, v34, v22, vcc
	v_cndmask_b32_e32 v24, v24, v32, vcc
	v_lshlrev_b32_sdwa v31, v31, v19 dst_sel:DWORD dst_unused:UNUSED_PAD src0_sel:DWORD src1_sel:WORD_1
	v_bfrev_b32_e32 v32, 60
	v_lshlrev_b32_e32 v24, 20, v24
	v_and_b32_e32 v31, 0x80000000, v31
	v_lshl_add_u32 v22, v22, 23, v32
	v_or3_b32 v22, v31, v22, v24
	v_lshrrev_b32_e32 v24, 16, v22
.LBB777_434:
	s_or_b64 exec, exec, s[16:17]
.LBB777_435:
	s_or_b64 exec, exec, s[14:15]
.LBB777_436:
	s_or_b64 exec, exec, s[12:13]
	s_mov_b32 s12, -1
	s_mov_b32 s13, 0xffffff
	v_cmp_lt_u64_e32 vcc, s[12:13], v[18:19]
	s_and_saveexec_b64 s[12:13], vcc
	s_cbranch_execz .LBB777_442
; %bb.437:
	v_lshrrev_b32_e32 v18, 24, v19
	s_movk_i32 s11, 0x80
	v_cmp_ne_u32_e32 vcc, s11, v18
	v_mov_b32_e32 v23, 0xffff8000
	s_and_saveexec_b64 s[14:15], vcc
	s_cbranch_execz .LBB777_441
; %bb.438:
	v_bfe_u32 v19, v19, 24, 7
	s_movk_i32 s11, 0x7f
	v_cmp_ne_u32_e32 vcc, s11, v19
	v_mov_b32_e32 v23, 0x7f80
	s_and_saveexec_b64 s[16:17], vcc
	s_cbranch_execz .LBB777_440
; %bb.439:
	v_and_b32_e32 v31, 7, v18
	v_ffbh_u32_e32 v22, v31
	v_min_u32_e32 v33, 32, v22
	v_subrev_u32_e32 v22, 28, v33
	v_lshlrev_b64 v[22:23], v22, v[18:19]
	v_lshrrev_b32_e32 v32, 3, v19
	v_sub_u32_e32 v23, 29, v33
	v_and_b32_e32 v22, 7, v22
	v_cmp_gt_u32_e32 vcc, 8, v19
	v_cndmask_b32_e32 v19, v32, v23, vcc
	v_cndmask_b32_e32 v22, v31, v22, vcc
	v_lshlrev_b32_e32 v18, 24, v18
	v_bfrev_b32_e32 v23, 60
	v_lshlrev_b32_e32 v22, 20, v22
	v_and_b32_e32 v18, 0x80000000, v18
	v_lshl_add_u32 v19, v19, 23, v23
	v_or3_b32 v18, v18, v19, v22
	v_lshrrev_b32_e32 v23, 16, v18
.LBB777_440:
	s_or_b64 exec, exec, s[16:17]
.LBB777_441:
	s_or_b64 exec, exec, s[14:15]
.LBB777_442:
	s_or_b64 exec, exec, s[12:13]
	s_mov_b32 s11, 0x5040100
	v_perm_b32 v19, v28, v27, s11
	v_perm_b32 v18, v25, v26, s11
	;; [unrolled: 1-line block ×4, first 2 shown]
	v_mfma_f32_4x4x4bf16_1k a[0:3], v[2:3], v[18:19], a[0:3] cbsz:4 abid:8
	v_mov_b32_e32 v24, 0
	v_mfma_f32_4x4x4bf16_1k a[0:3], v[4:5], v[22:23], a[0:3] cbsz:4 abid:8
	v_mov_b32_e32 v23, 0
	v_cmp_ne_u16_sdwa s[14:15], v20, v23 src0_sel:BYTE_0 src1_sel:DWORD
	s_and_saveexec_b64 s[12:13], s[14:15]
	s_cbranch_execz .LBB777_448
; %bb.443:
	s_movk_i32 s11, 0x80
	v_cmp_ne_u16_sdwa s[16:17], v20, s11 src0_sel:BYTE_0 src1_sel:DWORD
	v_mov_b32_e32 v24, 0xffff8000
	s_and_saveexec_b64 s[14:15], s[16:17]
	s_cbranch_execz .LBB777_447
; %bb.444:
	s_movk_i32 s11, 0x7f
	v_and_b32_e32 v18, 0x7f, v20
	v_cmp_ne_u32_e32 vcc, s11, v18
	v_mov_b32_e32 v24, 0x7f80
	s_and_saveexec_b64 s[16:17], vcc
	s_cbranch_execz .LBB777_446
; %bb.445:
	v_and_b32_e32 v19, 7, v20
	v_ffbh_u32_e32 v19, v19
	v_min_u32_e32 v19, 32, v19
	v_subrev_u32_e32 v24, 28, v19
	v_cmp_gt_u32_e32 vcc, 8, v18
	v_lshrrev_b32_e32 v22, 3, v18
	v_sub_u32_e32 v19, 29, v19
	v_cndmask_b32_e32 v18, 0, v24, vcc
	v_cndmask_b32_e32 v22, v22, v19, vcc
	v_lshlrev_b64 v[18:19], v18, v[20:21]
	v_lshlrev_b32_e32 v18, 20, v18
	v_lshlrev_b32_e32 v19, 24, v20
	v_bfrev_b32_e32 v24, 60
	v_and_b32_e32 v18, 0x700000, v18
	v_and_b32_e32 v19, 0x80000000, v19
	v_lshl_add_u32 v22, v22, 23, v24
	v_or3_b32 v18, v19, v22, v18
	v_lshrrev_b32_e32 v24, 16, v18
.LBB777_446:
	s_or_b64 exec, exec, s[16:17]
.LBB777_447:
	s_or_b64 exec, exec, s[14:15]
.LBB777_448:
	s_or_b64 exec, exec, s[12:13]
	v_lshrrev_b16_e32 v18, 8, v20
	v_cmp_ne_u16_e32 vcc, 0, v18
	s_and_saveexec_b64 s[12:13], vcc
	s_cbranch_execz .LBB777_454
; %bb.449:
	s_movk_i32 s11, 0x80
	v_cmp_ne_u16_e32 vcc, s11, v18
	v_mov_b32_e32 v23, 0xffff8000
	s_and_saveexec_b64 s[14:15], vcc
	s_cbranch_execz .LBB777_453
; %bb.450:
	s_movk_i32 s11, 0x7f
	v_and_b32_e32 v19, 0x7f, v18
	v_cmp_ne_u32_e32 vcc, s11, v19
	v_mov_b32_e32 v23, 0x7f80
	s_and_saveexec_b64 s[16:17], vcc
	s_cbranch_execz .LBB777_452
; %bb.451:
	v_and_b32_e32 v25, 7, v18
	v_ffbh_u32_e32 v22, v25
	v_min_u32_e32 v27, 32, v22
	v_subrev_u32_e32 v22, 28, v27
	v_lshlrev_b64 v[22:23], v22, v[18:19]
	v_lshrrev_b32_e32 v26, 3, v19
	v_sub_u32_e32 v18, 29, v27
	v_and_b32_e32 v22, 7, v22
	v_cmp_gt_u32_e32 vcc, 8, v19
	v_cndmask_b32_e32 v18, v26, v18, vcc
	v_cndmask_b32_e32 v19, v25, v22, vcc
	v_lshlrev_b32_e32 v22, 16, v20
	v_bfrev_b32_e32 v23, 60
	v_lshlrev_b32_e32 v19, 20, v19
	v_and_b32_e32 v22, 0x80000000, v22
	v_lshl_add_u32 v18, v18, 23, v23
	v_or3_b32 v18, v22, v18, v19
	v_lshrrev_b32_e32 v23, 16, v18
.LBB777_452:
	s_or_b64 exec, exec, s[16:17]
.LBB777_453:
	s_or_b64 exec, exec, s[14:15]
.LBB777_454:
	s_or_b64 exec, exec, s[12:13]
	s_movk_i32 s11, 0xff
	v_and_b32_sdwa v22, v20, s11 dst_sel:DWORD dst_unused:UNUSED_PAD src0_sel:WORD_1 src1_sel:DWORD
	v_lshrrev_b32_e32 v18, 16, v20
	v_cmp_ne_u16_e32 vcc, 0, v22
	v_mov_b32_e32 v19, 0
	v_mov_b32_e32 v25, 0
	s_and_saveexec_b64 s[12:13], vcc
	s_cbranch_execz .LBB777_460
; %bb.455:
	s_movk_i32 s11, 0x80
	v_cmp_ne_u16_e32 vcc, s11, v22
	v_mov_b32_e32 v25, 0xffff8000
	s_and_saveexec_b64 s[14:15], vcc
	s_cbranch_execz .LBB777_459
; %bb.456:
	v_bfe_u32 v22, v20, 16, 7
	s_movk_i32 s11, 0x7f
	v_cmp_ne_u32_e32 vcc, s11, v22
	v_mov_b32_e32 v25, 0x7f80
	s_and_saveexec_b64 s[16:17], vcc
	s_cbranch_execz .LBB777_458
; %bb.457:
	v_and_b32_e32 v25, 7, v18
	v_ffbh_u32_e32 v26, v25
	v_min_u32_e32 v29, 32, v26
	v_subrev_u32_e32 v26, 28, v29
	v_lshlrev_b64 v[26:27], v26, v[18:19]
	v_and_b32_e32 v26, 7, v26
	v_cmp_gt_u32_e32 vcc, 8, v22
	v_lshrrev_b32_e32 v28, 3, v22
	v_sub_u32_e32 v18, 29, v29
	v_cndmask_b32_e32 v22, v25, v26, vcc
	v_mov_b32_e32 v25, 24
	v_cndmask_b32_e32 v18, v28, v18, vcc
	v_lshlrev_b32_sdwa v25, v25, v20 dst_sel:DWORD dst_unused:UNUSED_PAD src0_sel:DWORD src1_sel:WORD_1
	v_bfrev_b32_e32 v26, 60
	v_lshlrev_b32_e32 v22, 20, v22
	v_and_b32_e32 v25, 0x80000000, v25
	v_lshl_add_u32 v18, v18, 23, v26
	v_or3_b32 v18, v25, v18, v22
	v_lshrrev_b32_e32 v25, 16, v18
.LBB777_458:
	s_or_b64 exec, exec, s[16:17]
.LBB777_459:
	s_or_b64 exec, exec, s[14:15]
.LBB777_460:
	s_or_b64 exec, exec, s[12:13]
	s_mov_b32 s11, 0xffffff
	v_cmp_lt_u32_e32 vcc, s11, v20
	v_mov_b32_e32 v26, 0
	s_and_saveexec_b64 s[12:13], vcc
	s_cbranch_execz .LBB777_466
; %bb.461:
	v_lshrrev_b32_e32 v18, 24, v20
	s_movk_i32 s11, 0x80
	v_cmp_ne_u32_e32 vcc, s11, v18
	v_mov_b32_e32 v26, 0xffff8000
	s_and_saveexec_b64 s[14:15], vcc
	s_cbranch_execz .LBB777_465
; %bb.462:
	v_bfe_u32 v22, v20, 24, 7
	s_movk_i32 s11, 0x7f
	v_cmp_ne_u32_e32 vcc, s11, v22
	v_mov_b32_e32 v26, 0x7f80
	s_and_saveexec_b64 s[16:17], vcc
	s_cbranch_execz .LBB777_464
; %bb.463:
	v_and_b32_e32 v28, 7, v18
	v_ffbh_u32_e32 v26, v28
	v_min_u32_e32 v30, 32, v26
	v_subrev_u32_e32 v26, 28, v30
	v_lshlrev_b64 v[26:27], v26, v[18:19]
	v_lshrrev_b32_e32 v29, 3, v22
	v_sub_u32_e32 v27, 29, v30
	v_and_b32_e32 v26, 7, v26
	v_cmp_gt_u32_e32 vcc, 8, v22
	v_cndmask_b32_e32 v22, v29, v27, vcc
	v_cndmask_b32_e32 v26, v28, v26, vcc
	v_lshlrev_b32_e32 v18, 24, v18
	v_bfrev_b32_e32 v27, 60
	v_lshlrev_b32_e32 v26, 20, v26
	v_and_b32_e32 v18, 0x80000000, v18
	v_lshl_add_u32 v22, v22, 23, v27
	v_or3_b32 v18, v18, v22, v26
	v_lshrrev_b32_e32 v26, 16, v18
.LBB777_464:
	s_or_b64 exec, exec, s[16:17]
.LBB777_465:
	s_or_b64 exec, exec, s[14:15]
.LBB777_466:
	s_or_b64 exec, exec, s[12:13]
	v_mov_b32_e32 v27, 0
	v_mov_b32_e32 v18, v21
	v_cmp_ne_u16_sdwa s[14:15], v21, v27 src0_sel:BYTE_0 src1_sel:DWORD
	v_mov_b32_e32 v28, 0
	s_and_saveexec_b64 s[12:13], s[14:15]
	s_cbranch_execz .LBB777_472
; %bb.467:
	s_movk_i32 s11, 0x80
	v_cmp_ne_u16_sdwa s[16:17], v21, s11 src0_sel:BYTE_0 src1_sel:DWORD
	v_mov_b32_e32 v28, 0xffff8000
	s_and_saveexec_b64 s[14:15], s[16:17]
	s_cbranch_execz .LBB777_471
; %bb.468:
	s_movk_i32 s11, 0x7f
	v_and_b32_e32 v22, 0x7f, v21
	v_cmp_ne_u32_e32 vcc, s11, v22
	v_mov_b32_e32 v28, 0x7f80
	s_and_saveexec_b64 s[16:17], vcc
	s_cbranch_execz .LBB777_470
; %bb.469:
	v_and_b32_e32 v28, 7, v21
	v_ffbh_u32_e32 v28, v28
	v_min_u32_e32 v28, 32, v28
	v_lshrrev_b32_e32 v29, 3, v22
	v_subrev_u32_e32 v30, 28, v28
	v_sub_u32_e32 v28, 29, v28
	v_cmp_gt_u32_e32 vcc, 8, v22
	v_cndmask_b32_e32 v22, v29, v28, vcc
	v_cndmask_b32_e32 v28, 0, v30, vcc
	v_lshlrev_b64 v[28:29], v28, v[18:19]
	v_lshlrev_b32_e32 v19, 20, v28
	v_lshlrev_b32_e32 v28, 24, v18
	v_bfrev_b32_e32 v29, 60
	v_and_b32_e32 v19, 0x700000, v19
	v_and_b32_e32 v28, 0x80000000, v28
	v_lshl_add_u32 v22, v22, 23, v29
	v_or3_b32 v19, v28, v22, v19
	v_lshrrev_b32_e32 v28, 16, v19
.LBB777_470:
	s_or_b64 exec, exec, s[16:17]
.LBB777_471:
	s_or_b64 exec, exec, s[14:15]
.LBB777_472:
	s_or_b64 exec, exec, s[12:13]
	v_lshrrev_b16_e32 v22, 8, v18
	v_cmp_ne_u16_e32 vcc, 0, v22
	s_and_saveexec_b64 s[12:13], vcc
	s_cbranch_execz .LBB777_478
; %bb.473:
	s_movk_i32 s11, 0x80
	v_cmp_ne_u16_e32 vcc, s11, v22
	v_mov_b32_e32 v27, 0xffff8000
	s_and_saveexec_b64 s[14:15], vcc
	s_cbranch_execz .LBB777_477
; %bb.474:
	s_movk_i32 s11, 0x7f
	v_and_b32_e32 v19, 0x7f, v22
	v_cmp_ne_u32_e32 vcc, s11, v19
	v_mov_b32_e32 v27, 0x7f80
	s_and_saveexec_b64 s[16:17], vcc
	s_cbranch_execz .LBB777_476
; %bb.475:
	v_and_b32_e32 v27, 7, v22
	v_ffbh_u32_e32 v30, v27
	v_min_u32_e32 v32, 32, v30
	v_subrev_u32_e32 v30, 28, v32
	v_lshlrev_b64 v[30:31], v30, v[22:23]
	v_lshrrev_b32_e32 v29, 3, v19
	v_sub_u32_e32 v22, 29, v32
	v_and_b32_e32 v30, 7, v30
	v_cmp_gt_u32_e32 vcc, 8, v19
	v_cndmask_b32_e32 v19, v29, v22, vcc
	v_cndmask_b32_e32 v22, v27, v30, vcc
	v_lshlrev_b32_e32 v18, 16, v18
	v_bfrev_b32_e32 v27, 60
	v_lshlrev_b32_e32 v22, 20, v22
	v_and_b32_e32 v18, 0x80000000, v18
	v_lshl_add_u32 v19, v19, 23, v27
	v_or3_b32 v18, v18, v19, v22
	v_lshrrev_b32_e32 v27, 16, v18
.LBB777_476:
	s_or_b64 exec, exec, s[16:17]
.LBB777_477:
	s_or_b64 exec, exec, s[14:15]
.LBB777_478:
	s_or_b64 exec, exec, s[12:13]
	s_movk_i32 s11, 0xff
	v_and_b32_sdwa v29, v21, s11 dst_sel:DWORD dst_unused:UNUSED_PAD src0_sel:WORD_1 src1_sel:DWORD
	v_lshrrev_b32_e32 v18, 16, v21
	v_cmp_ne_u16_e32 vcc, 0, v29
	v_mov_b32_e32 v19, 0
	v_mov_b32_e32 v22, 0
	s_and_saveexec_b64 s[12:13], vcc
	s_cbranch_execz .LBB777_484
; %bb.479:
	s_movk_i32 s11, 0x80
	v_cmp_ne_u16_e32 vcc, s11, v29
	v_mov_b32_e32 v22, 0xffff8000
	s_and_saveexec_b64 s[14:15], vcc
	s_cbranch_execz .LBB777_483
; %bb.480:
	v_bfe_u32 v29, v21, 16, 7
	s_movk_i32 s11, 0x7f
	v_cmp_ne_u32_e32 vcc, s11, v29
	v_mov_b32_e32 v22, 0x7f80
	s_and_saveexec_b64 s[16:17], vcc
	s_cbranch_execz .LBB777_482
; %bb.481:
	v_and_b32_e32 v22, 7, v18
	v_ffbh_u32_e32 v30, v22
	v_min_u32_e32 v33, 32, v30
	v_subrev_u32_e32 v30, 28, v33
	v_lshlrev_b64 v[30:31], v30, v[18:19]
	v_lshrrev_b32_e32 v32, 3, v29
	v_sub_u32_e32 v18, 29, v33
	v_and_b32_e32 v30, 7, v30
	v_cmp_gt_u32_e32 vcc, 8, v29
	v_mov_b32_e32 v29, 24
	v_cndmask_b32_e32 v18, v32, v18, vcc
	v_cndmask_b32_e32 v22, v22, v30, vcc
	v_lshlrev_b32_sdwa v29, v29, v21 dst_sel:DWORD dst_unused:UNUSED_PAD src0_sel:DWORD src1_sel:WORD_1
	v_bfrev_b32_e32 v30, 60
	v_lshlrev_b32_e32 v22, 20, v22
	v_and_b32_e32 v29, 0x80000000, v29
	v_lshl_add_u32 v18, v18, 23, v30
	v_or3_b32 v18, v29, v18, v22
	v_lshrrev_b32_e32 v22, 16, v18
.LBB777_482:
	s_or_b64 exec, exec, s[16:17]
.LBB777_483:
	s_or_b64 exec, exec, s[14:15]
.LBB777_484:
	s_or_b64 exec, exec, s[12:13]
	s_mov_b32 s12, -1
	s_mov_b32 s13, 0xffffff
	v_cmp_lt_u64_e32 vcc, s[12:13], v[20:21]
	s_and_saveexec_b64 s[12:13], vcc
	s_cbranch_execz .LBB777_490
; %bb.485:
	v_lshrrev_b32_e32 v18, 24, v21
	s_movk_i32 s11, 0x80
	v_cmp_ne_u32_e32 vcc, s11, v18
	v_mov_b32_e32 v19, 0xffff8000
	s_and_saveexec_b64 s[14:15], vcc
	s_cbranch_execz .LBB777_489
; %bb.486:
	v_bfe_u32 v20, v21, 24, 7
	s_movk_i32 s11, 0x7f
	v_cmp_ne_u32_e32 vcc, s11, v20
	v_mov_b32_e32 v19, 0x7f80
	s_and_saveexec_b64 s[16:17], vcc
	s_cbranch_execz .LBB777_488
; %bb.487:
	v_and_b32_e32 v19, 7, v18
	v_ffbh_u32_e32 v29, v19
	v_min_u32_e32 v29, 32, v29
	v_subrev_u32_e32 v30, 28, v29
	v_lshlrev_b64 v[30:31], v30, v[18:19]
	v_lshrrev_b32_e32 v21, 3, v20
	v_sub_u32_e32 v29, 29, v29
	v_and_b32_e32 v30, 7, v30
	v_cmp_gt_u32_e32 vcc, 8, v20
	v_cndmask_b32_e32 v20, v21, v29, vcc
	v_cndmask_b32_e32 v19, v19, v30, vcc
	v_lshlrev_b32_e32 v18, 24, v18
	v_bfrev_b32_e32 v21, 60
	v_lshlrev_b32_e32 v19, 20, v19
	v_and_b32_e32 v18, 0x80000000, v18
	v_lshl_add_u32 v20, v20, 23, v21
	v_or3_b32 v18, v18, v20, v19
	v_lshrrev_b32_e32 v19, 16, v18
.LBB777_488:
	s_or_b64 exec, exec, s[16:17]
.LBB777_489:
	s_or_b64 exec, exec, s[14:15]
.LBB777_490:
	s_or_b64 exec, exec, s[12:13]
	s_mov_b32 s11, 0x5040100
	v_perm_b32 v21, v26, v25, s11
	v_perm_b32 v20, v23, v24, s11
	;; [unrolled: 1-line block ×4, first 2 shown]
	v_mfma_f32_4x4x4bf16_1k a[0:3], v[2:3], v[20:21], a[0:3] cbsz:4 abid:9
	v_mov_b32_e32 v21, 0
	v_mfma_f32_4x4x4bf16_1k a[0:3], v[4:5], v[18:19], a[0:3] cbsz:4 abid:9
	v_cmp_ne_u16_sdwa s[14:15], v14, v21 src0_sel:BYTE_0 src1_sel:DWORD
	v_mov_b32_e32 v22, 0
	s_and_saveexec_b64 s[12:13], s[14:15]
	s_cbranch_execz .LBB777_496
; %bb.491:
	s_movk_i32 s11, 0x80
	v_cmp_ne_u16_sdwa s[16:17], v14, s11 src0_sel:BYTE_0 src1_sel:DWORD
	v_mov_b32_e32 v22, 0xffff8000
	s_and_saveexec_b64 s[14:15], s[16:17]
	s_cbranch_execz .LBB777_495
; %bb.492:
	s_movk_i32 s11, 0x7f
	v_and_b32_e32 v18, 0x7f, v14
	v_cmp_ne_u32_e32 vcc, s11, v18
	v_mov_b32_e32 v22, 0x7f80
	s_and_saveexec_b64 s[16:17], vcc
	s_cbranch_execz .LBB777_494
; %bb.493:
	v_and_b32_e32 v19, 7, v14
	v_ffbh_u32_e32 v19, v19
	v_min_u32_e32 v19, 32, v19
	v_subrev_u32_e32 v22, 28, v19
	v_cmp_gt_u32_e32 vcc, 8, v18
	v_lshrrev_b32_e32 v20, 3, v18
	v_sub_u32_e32 v19, 29, v19
	v_cndmask_b32_e32 v18, 0, v22, vcc
	v_cndmask_b32_e32 v20, v20, v19, vcc
	v_lshlrev_b64 v[18:19], v18, v[14:15]
	v_lshlrev_b32_e32 v18, 20, v18
	v_lshlrev_b32_e32 v19, 24, v14
	v_bfrev_b32_e32 v22, 60
	v_and_b32_e32 v18, 0x700000, v18
	v_and_b32_e32 v19, 0x80000000, v19
	v_lshl_add_u32 v20, v20, 23, v22
	v_or3_b32 v18, v19, v20, v18
	v_lshrrev_b32_e32 v22, 16, v18
.LBB777_494:
	s_or_b64 exec, exec, s[16:17]
.LBB777_495:
	s_or_b64 exec, exec, s[14:15]
.LBB777_496:
	s_or_b64 exec, exec, s[12:13]
	v_lshrrev_b16_e32 v18, 8, v14
	v_cmp_ne_u16_e32 vcc, 0, v18
	s_and_saveexec_b64 s[12:13], vcc
	s_cbranch_execz .LBB777_502
; %bb.497:
	s_movk_i32 s11, 0x80
	v_cmp_ne_u16_e32 vcc, s11, v18
	v_mov_b32_e32 v21, 0xffff8000
	s_and_saveexec_b64 s[14:15], vcc
	s_cbranch_execz .LBB777_501
; %bb.498:
	s_movk_i32 s11, 0x7f
	v_and_b32_e32 v19, 0x7f, v18
	v_cmp_ne_u32_e32 vcc, s11, v19
	v_mov_b32_e32 v21, 0x7f80
	s_and_saveexec_b64 s[16:17], vcc
	s_cbranch_execz .LBB777_500
; %bb.499:
	v_and_b32_e32 v23, 7, v18
	v_ffbh_u32_e32 v20, v23
	v_min_u32_e32 v25, 32, v20
	v_subrev_u32_e32 v20, 28, v25
	v_lshlrev_b64 v[20:21], v20, v[18:19]
	v_lshrrev_b32_e32 v24, 3, v19
	v_sub_u32_e32 v18, 29, v25
	v_and_b32_e32 v20, 7, v20
	v_cmp_gt_u32_e32 vcc, 8, v19
	v_cndmask_b32_e32 v18, v24, v18, vcc
	v_cndmask_b32_e32 v19, v23, v20, vcc
	v_lshlrev_b32_e32 v20, 16, v14
	v_bfrev_b32_e32 v21, 60
	v_lshlrev_b32_e32 v19, 20, v19
	v_and_b32_e32 v20, 0x80000000, v20
	v_lshl_add_u32 v18, v18, 23, v21
	v_or3_b32 v18, v20, v18, v19
	v_lshrrev_b32_e32 v21, 16, v18
.LBB777_500:
	s_or_b64 exec, exec, s[16:17]
.LBB777_501:
	s_or_b64 exec, exec, s[14:15]
.LBB777_502:
	s_or_b64 exec, exec, s[12:13]
	s_movk_i32 s11, 0xff
	v_and_b32_sdwa v20, v14, s11 dst_sel:DWORD dst_unused:UNUSED_PAD src0_sel:WORD_1 src1_sel:DWORD
	v_lshrrev_b32_e32 v18, 16, v14
	v_cmp_ne_u16_e32 vcc, 0, v20
	v_mov_b32_e32 v19, 0
	v_mov_b32_e32 v23, 0
	s_and_saveexec_b64 s[12:13], vcc
	s_cbranch_execz .LBB777_508
; %bb.503:
	s_movk_i32 s11, 0x80
	v_cmp_ne_u16_e32 vcc, s11, v20
	v_mov_b32_e32 v23, 0xffff8000
	s_and_saveexec_b64 s[14:15], vcc
	s_cbranch_execz .LBB777_507
; %bb.504:
	v_bfe_u32 v20, v14, 16, 7
	s_movk_i32 s11, 0x7f
	v_cmp_ne_u32_e32 vcc, s11, v20
	v_mov_b32_e32 v23, 0x7f80
	s_and_saveexec_b64 s[16:17], vcc
	s_cbranch_execz .LBB777_506
; %bb.505:
	v_and_b32_e32 v23, 7, v18
	v_ffbh_u32_e32 v24, v23
	v_min_u32_e32 v27, 32, v24
	v_subrev_u32_e32 v24, 28, v27
	v_lshlrev_b64 v[24:25], v24, v[18:19]
	v_and_b32_e32 v24, 7, v24
	v_cmp_gt_u32_e32 vcc, 8, v20
	v_lshrrev_b32_e32 v26, 3, v20
	v_sub_u32_e32 v18, 29, v27
	v_cndmask_b32_e32 v20, v23, v24, vcc
	v_mov_b32_e32 v23, 24
	v_cndmask_b32_e32 v18, v26, v18, vcc
	v_lshlrev_b32_sdwa v23, v23, v14 dst_sel:DWORD dst_unused:UNUSED_PAD src0_sel:DWORD src1_sel:WORD_1
	v_bfrev_b32_e32 v24, 60
	v_lshlrev_b32_e32 v20, 20, v20
	v_and_b32_e32 v23, 0x80000000, v23
	v_lshl_add_u32 v18, v18, 23, v24
	v_or3_b32 v18, v23, v18, v20
	v_lshrrev_b32_e32 v23, 16, v18
.LBB777_506:
	s_or_b64 exec, exec, s[16:17]
.LBB777_507:
	s_or_b64 exec, exec, s[14:15]
.LBB777_508:
	s_or_b64 exec, exec, s[12:13]
	s_mov_b32 s11, 0xffffff
	v_cmp_lt_u32_e32 vcc, s11, v14
	v_mov_b32_e32 v24, 0
	s_and_saveexec_b64 s[12:13], vcc
	s_cbranch_execz .LBB777_514
; %bb.509:
	v_lshrrev_b32_e32 v18, 24, v14
	s_movk_i32 s11, 0x80
	v_cmp_ne_u32_e32 vcc, s11, v18
	v_mov_b32_e32 v24, 0xffff8000
	s_and_saveexec_b64 s[14:15], vcc
	s_cbranch_execz .LBB777_513
; %bb.510:
	v_bfe_u32 v20, v14, 24, 7
	s_movk_i32 s11, 0x7f
	v_cmp_ne_u32_e32 vcc, s11, v20
	v_mov_b32_e32 v24, 0x7f80
	s_and_saveexec_b64 s[16:17], vcc
	s_cbranch_execz .LBB777_512
; %bb.511:
	v_and_b32_e32 v26, 7, v18
	v_ffbh_u32_e32 v24, v26
	v_min_u32_e32 v28, 32, v24
	v_subrev_u32_e32 v24, 28, v28
	v_lshlrev_b64 v[24:25], v24, v[18:19]
	v_lshrrev_b32_e32 v27, 3, v20
	v_sub_u32_e32 v25, 29, v28
	v_and_b32_e32 v24, 7, v24
	v_cmp_gt_u32_e32 vcc, 8, v20
	v_cndmask_b32_e32 v20, v27, v25, vcc
	v_cndmask_b32_e32 v24, v26, v24, vcc
	v_lshlrev_b32_e32 v18, 24, v18
	v_bfrev_b32_e32 v25, 60
	v_lshlrev_b32_e32 v24, 20, v24
	v_and_b32_e32 v18, 0x80000000, v18
	v_lshl_add_u32 v20, v20, 23, v25
	v_or3_b32 v18, v18, v20, v24
	v_lshrrev_b32_e32 v24, 16, v18
.LBB777_512:
	s_or_b64 exec, exec, s[16:17]
.LBB777_513:
	s_or_b64 exec, exec, s[14:15]
.LBB777_514:
	s_or_b64 exec, exec, s[12:13]
	v_mov_b32_e32 v25, 0
	v_mov_b32_e32 v18, v15
	v_cmp_ne_u16_sdwa s[14:15], v15, v25 src0_sel:BYTE_0 src1_sel:DWORD
	v_mov_b32_e32 v26, 0
	s_and_saveexec_b64 s[12:13], s[14:15]
	s_cbranch_execz .LBB777_520
; %bb.515:
	s_movk_i32 s11, 0x80
	v_cmp_ne_u16_sdwa s[16:17], v15, s11 src0_sel:BYTE_0 src1_sel:DWORD
	v_mov_b32_e32 v26, 0xffff8000
	s_and_saveexec_b64 s[14:15], s[16:17]
	s_cbranch_execz .LBB777_519
; %bb.516:
	s_movk_i32 s11, 0x7f
	v_and_b32_e32 v20, 0x7f, v15
	v_cmp_ne_u32_e32 vcc, s11, v20
	v_mov_b32_e32 v26, 0x7f80
	s_and_saveexec_b64 s[16:17], vcc
	s_cbranch_execz .LBB777_518
; %bb.517:
	v_and_b32_e32 v26, 7, v15
	v_ffbh_u32_e32 v26, v26
	v_min_u32_e32 v26, 32, v26
	v_lshrrev_b32_e32 v27, 3, v20
	v_subrev_u32_e32 v28, 28, v26
	v_sub_u32_e32 v26, 29, v26
	v_cmp_gt_u32_e32 vcc, 8, v20
	v_cndmask_b32_e32 v20, v27, v26, vcc
	v_cndmask_b32_e32 v26, 0, v28, vcc
	v_lshlrev_b64 v[26:27], v26, v[18:19]
	v_lshlrev_b32_e32 v19, 20, v26
	v_lshlrev_b32_e32 v26, 24, v18
	v_bfrev_b32_e32 v27, 60
	v_and_b32_e32 v19, 0x700000, v19
	v_and_b32_e32 v26, 0x80000000, v26
	v_lshl_add_u32 v20, v20, 23, v27
	v_or3_b32 v19, v26, v20, v19
	v_lshrrev_b32_e32 v26, 16, v19
.LBB777_518:
	s_or_b64 exec, exec, s[16:17]
.LBB777_519:
	s_or_b64 exec, exec, s[14:15]
.LBB777_520:
	s_or_b64 exec, exec, s[12:13]
	v_lshrrev_b16_e32 v20, 8, v18
	v_cmp_ne_u16_e32 vcc, 0, v20
	s_and_saveexec_b64 s[12:13], vcc
	s_cbranch_execz .LBB777_526
; %bb.521:
	s_movk_i32 s11, 0x80
	v_cmp_ne_u16_e32 vcc, s11, v20
	v_mov_b32_e32 v25, 0xffff8000
	s_and_saveexec_b64 s[14:15], vcc
	s_cbranch_execz .LBB777_525
; %bb.522:
	s_movk_i32 s11, 0x7f
	v_and_b32_e32 v19, 0x7f, v20
	v_cmp_ne_u32_e32 vcc, s11, v19
	v_mov_b32_e32 v25, 0x7f80
	s_and_saveexec_b64 s[16:17], vcc
	s_cbranch_execz .LBB777_524
; %bb.523:
	v_and_b32_e32 v25, 7, v20
	v_ffbh_u32_e32 v28, v25
	v_min_u32_e32 v30, 32, v28
	v_subrev_u32_e32 v28, 28, v30
	v_lshlrev_b64 v[28:29], v28, v[20:21]
	v_lshrrev_b32_e32 v27, 3, v19
	v_sub_u32_e32 v20, 29, v30
	v_and_b32_e32 v28, 7, v28
	v_cmp_gt_u32_e32 vcc, 8, v19
	v_cndmask_b32_e32 v19, v27, v20, vcc
	v_cndmask_b32_e32 v20, v25, v28, vcc
	v_lshlrev_b32_e32 v18, 16, v18
	v_bfrev_b32_e32 v25, 60
	v_lshlrev_b32_e32 v20, 20, v20
	v_and_b32_e32 v18, 0x80000000, v18
	v_lshl_add_u32 v19, v19, 23, v25
	v_or3_b32 v18, v18, v19, v20
	v_lshrrev_b32_e32 v25, 16, v18
.LBB777_524:
	s_or_b64 exec, exec, s[16:17]
.LBB777_525:
	s_or_b64 exec, exec, s[14:15]
.LBB777_526:
	s_or_b64 exec, exec, s[12:13]
	s_movk_i32 s11, 0xff
	v_and_b32_sdwa v27, v15, s11 dst_sel:DWORD dst_unused:UNUSED_PAD src0_sel:WORD_1 src1_sel:DWORD
	v_lshrrev_b32_e32 v18, 16, v15
	v_cmp_ne_u16_e32 vcc, 0, v27
	v_mov_b32_e32 v19, 0
	v_mov_b32_e32 v20, 0
	s_and_saveexec_b64 s[12:13], vcc
	s_cbranch_execz .LBB777_532
; %bb.527:
	s_movk_i32 s11, 0x80
	v_cmp_ne_u16_e32 vcc, s11, v27
	v_mov_b32_e32 v20, 0xffff8000
	s_and_saveexec_b64 s[14:15], vcc
	s_cbranch_execz .LBB777_531
; %bb.528:
	v_bfe_u32 v27, v15, 16, 7
	s_movk_i32 s11, 0x7f
	v_cmp_ne_u32_e32 vcc, s11, v27
	v_mov_b32_e32 v20, 0x7f80
	s_and_saveexec_b64 s[16:17], vcc
	s_cbranch_execz .LBB777_530
; %bb.529:
	v_and_b32_e32 v20, 7, v18
	v_ffbh_u32_e32 v28, v20
	v_min_u32_e32 v31, 32, v28
	v_subrev_u32_e32 v28, 28, v31
	v_lshlrev_b64 v[28:29], v28, v[18:19]
	v_lshrrev_b32_e32 v30, 3, v27
	v_sub_u32_e32 v18, 29, v31
	v_and_b32_e32 v28, 7, v28
	v_cmp_gt_u32_e32 vcc, 8, v27
	v_mov_b32_e32 v27, 24
	v_cndmask_b32_e32 v18, v30, v18, vcc
	v_cndmask_b32_e32 v20, v20, v28, vcc
	v_lshlrev_b32_sdwa v27, v27, v15 dst_sel:DWORD dst_unused:UNUSED_PAD src0_sel:DWORD src1_sel:WORD_1
	v_bfrev_b32_e32 v28, 60
	v_lshlrev_b32_e32 v20, 20, v20
	v_and_b32_e32 v27, 0x80000000, v27
	v_lshl_add_u32 v18, v18, 23, v28
	v_or3_b32 v18, v27, v18, v20
	v_lshrrev_b32_e32 v20, 16, v18
.LBB777_530:
	s_or_b64 exec, exec, s[16:17]
.LBB777_531:
	s_or_b64 exec, exec, s[14:15]
.LBB777_532:
	s_or_b64 exec, exec, s[12:13]
	s_mov_b32 s12, -1
	s_mov_b32 s13, 0xffffff
	v_cmp_lt_u64_e32 vcc, s[12:13], v[14:15]
	s_and_saveexec_b64 s[12:13], vcc
	s_cbranch_execz .LBB777_538
; %bb.533:
	v_lshrrev_b32_e32 v14, 24, v15
	s_movk_i32 s11, 0x80
	v_cmp_ne_u32_e32 vcc, s11, v14
	v_mov_b32_e32 v19, 0xffff8000
	s_and_saveexec_b64 s[14:15], vcc
	s_cbranch_execz .LBB777_537
; %bb.534:
	v_bfe_u32 v15, v15, 24, 7
	s_movk_i32 s11, 0x7f
	v_cmp_ne_u32_e32 vcc, s11, v15
	v_mov_b32_e32 v19, 0x7f80
	s_and_saveexec_b64 s[16:17], vcc
	s_cbranch_execz .LBB777_536
; %bb.535:
	v_and_b32_e32 v27, 7, v14
	v_ffbh_u32_e32 v18, v27
	v_min_u32_e32 v29, 32, v18
	v_subrev_u32_e32 v18, 28, v29
	v_lshlrev_b64 v[18:19], v18, v[14:15]
	v_lshrrev_b32_e32 v28, 3, v15
	v_sub_u32_e32 v19, 29, v29
	v_and_b32_e32 v18, 7, v18
	v_cmp_gt_u32_e32 vcc, 8, v15
	v_cndmask_b32_e32 v15, v28, v19, vcc
	v_cndmask_b32_e32 v18, v27, v18, vcc
	v_lshlrev_b32_e32 v14, 24, v14
	v_bfrev_b32_e32 v19, 60
	v_lshlrev_b32_e32 v18, 20, v18
	v_and_b32_e32 v14, 0x80000000, v14
	v_lshl_add_u32 v15, v15, 23, v19
	v_or3_b32 v14, v14, v15, v18
	v_lshrrev_b32_e32 v19, 16, v14
.LBB777_536:
	s_or_b64 exec, exec, s[16:17]
.LBB777_537:
	s_or_b64 exec, exec, s[14:15]
.LBB777_538:
	s_or_b64 exec, exec, s[12:13]
	s_mov_b32 s11, 0x5040100
	v_perm_b32 v15, v24, v23, s11
	v_perm_b32 v14, v21, v22, s11
	;; [unrolled: 1-line block ×4, first 2 shown]
	v_mfma_f32_4x4x4bf16_1k a[0:3], v[2:3], v[14:15], a[0:3] cbsz:4 abid:10
	v_mov_b32_e32 v20, 0
	v_mfma_f32_4x4x4bf16_1k a[0:3], v[4:5], v[18:19], a[0:3] cbsz:4 abid:10
	v_mov_b32_e32 v19, 0
	v_cmp_ne_u16_sdwa s[14:15], v16, v19 src0_sel:BYTE_0 src1_sel:DWORD
	s_and_saveexec_b64 s[12:13], s[14:15]
	s_cbranch_execz .LBB777_544
; %bb.539:
	s_movk_i32 s11, 0x80
	v_cmp_ne_u16_sdwa s[16:17], v16, s11 src0_sel:BYTE_0 src1_sel:DWORD
	v_mov_b32_e32 v20, 0xffff8000
	s_and_saveexec_b64 s[14:15], s[16:17]
	s_cbranch_execz .LBB777_543
; %bb.540:
	s_movk_i32 s11, 0x7f
	v_and_b32_e32 v14, 0x7f, v16
	v_cmp_ne_u32_e32 vcc, s11, v14
	v_mov_b32_e32 v20, 0x7f80
	s_and_saveexec_b64 s[16:17], vcc
	s_cbranch_execz .LBB777_542
; %bb.541:
	v_and_b32_e32 v15, 7, v16
	v_ffbh_u32_e32 v15, v15
	v_min_u32_e32 v15, 32, v15
	v_subrev_u32_e32 v20, 28, v15
	v_cmp_gt_u32_e32 vcc, 8, v14
	v_lshrrev_b32_e32 v18, 3, v14
	v_sub_u32_e32 v15, 29, v15
	v_cndmask_b32_e32 v14, 0, v20, vcc
	v_cndmask_b32_e32 v18, v18, v15, vcc
	v_lshlrev_b64 v[14:15], v14, v[16:17]
	v_lshlrev_b32_e32 v14, 20, v14
	v_lshlrev_b32_e32 v15, 24, v16
	v_bfrev_b32_e32 v20, 60
	v_and_b32_e32 v14, 0x700000, v14
	v_and_b32_e32 v15, 0x80000000, v15
	v_lshl_add_u32 v18, v18, 23, v20
	v_or3_b32 v14, v15, v18, v14
	v_lshrrev_b32_e32 v20, 16, v14
.LBB777_542:
	s_or_b64 exec, exec, s[16:17]
.LBB777_543:
	s_or_b64 exec, exec, s[14:15]
.LBB777_544:
	s_or_b64 exec, exec, s[12:13]
	v_lshrrev_b16_e32 v14, 8, v16
	v_cmp_ne_u16_e32 vcc, 0, v14
	s_and_saveexec_b64 s[12:13], vcc
	s_cbranch_execz .LBB777_550
; %bb.545:
	s_movk_i32 s11, 0x80
	v_cmp_ne_u16_e32 vcc, s11, v14
	v_mov_b32_e32 v19, 0xffff8000
	s_and_saveexec_b64 s[14:15], vcc
	s_cbranch_execz .LBB777_549
; %bb.546:
	s_movk_i32 s11, 0x7f
	v_and_b32_e32 v15, 0x7f, v14
	v_cmp_ne_u32_e32 vcc, s11, v15
	v_mov_b32_e32 v19, 0x7f80
	s_and_saveexec_b64 s[16:17], vcc
	s_cbranch_execz .LBB777_548
; %bb.547:
	v_and_b32_e32 v21, 7, v14
	v_ffbh_u32_e32 v18, v21
	v_min_u32_e32 v23, 32, v18
	v_subrev_u32_e32 v18, 28, v23
	v_lshlrev_b64 v[18:19], v18, v[14:15]
	v_lshrrev_b32_e32 v22, 3, v15
	v_sub_u32_e32 v14, 29, v23
	v_and_b32_e32 v18, 7, v18
	v_cmp_gt_u32_e32 vcc, 8, v15
	v_cndmask_b32_e32 v14, v22, v14, vcc
	v_cndmask_b32_e32 v15, v21, v18, vcc
	v_lshlrev_b32_e32 v18, 16, v16
	v_bfrev_b32_e32 v19, 60
	v_lshlrev_b32_e32 v15, 20, v15
	v_and_b32_e32 v18, 0x80000000, v18
	v_lshl_add_u32 v14, v14, 23, v19
	v_or3_b32 v14, v18, v14, v15
	v_lshrrev_b32_e32 v19, 16, v14
.LBB777_548:
	s_or_b64 exec, exec, s[16:17]
.LBB777_549:
	s_or_b64 exec, exec, s[14:15]
.LBB777_550:
	s_or_b64 exec, exec, s[12:13]
	s_movk_i32 s11, 0xff
	v_and_b32_sdwa v18, v16, s11 dst_sel:DWORD dst_unused:UNUSED_PAD src0_sel:WORD_1 src1_sel:DWORD
	v_lshrrev_b32_e32 v14, 16, v16
	v_cmp_ne_u16_e32 vcc, 0, v18
	v_mov_b32_e32 v15, 0
	v_mov_b32_e32 v21, 0
	s_and_saveexec_b64 s[12:13], vcc
	s_cbranch_execz .LBB777_556
; %bb.551:
	s_movk_i32 s11, 0x80
	v_cmp_ne_u16_e32 vcc, s11, v18
	v_mov_b32_e32 v21, 0xffff8000
	s_and_saveexec_b64 s[14:15], vcc
	s_cbranch_execz .LBB777_555
; %bb.552:
	v_bfe_u32 v18, v16, 16, 7
	s_movk_i32 s11, 0x7f
	v_cmp_ne_u32_e32 vcc, s11, v18
	v_mov_b32_e32 v21, 0x7f80
	s_and_saveexec_b64 s[16:17], vcc
	s_cbranch_execz .LBB777_554
; %bb.553:
	v_and_b32_e32 v21, 7, v14
	v_ffbh_u32_e32 v22, v21
	v_min_u32_e32 v25, 32, v22
	v_subrev_u32_e32 v22, 28, v25
	v_lshlrev_b64 v[22:23], v22, v[14:15]
	v_and_b32_e32 v22, 7, v22
	v_cmp_gt_u32_e32 vcc, 8, v18
	v_lshrrev_b32_e32 v24, 3, v18
	v_sub_u32_e32 v14, 29, v25
	v_cndmask_b32_e32 v18, v21, v22, vcc
	v_mov_b32_e32 v21, 24
	v_cndmask_b32_e32 v14, v24, v14, vcc
	v_lshlrev_b32_sdwa v21, v21, v16 dst_sel:DWORD dst_unused:UNUSED_PAD src0_sel:DWORD src1_sel:WORD_1
	v_bfrev_b32_e32 v22, 60
	v_lshlrev_b32_e32 v18, 20, v18
	v_and_b32_e32 v21, 0x80000000, v21
	v_lshl_add_u32 v14, v14, 23, v22
	v_or3_b32 v14, v21, v14, v18
	v_lshrrev_b32_e32 v21, 16, v14
.LBB777_554:
	s_or_b64 exec, exec, s[16:17]
.LBB777_555:
	s_or_b64 exec, exec, s[14:15]
.LBB777_556:
	s_or_b64 exec, exec, s[12:13]
	s_mov_b32 s11, 0xffffff
	v_cmp_lt_u32_e32 vcc, s11, v16
	v_mov_b32_e32 v22, 0
	s_and_saveexec_b64 s[12:13], vcc
	s_cbranch_execz .LBB777_562
; %bb.557:
	v_lshrrev_b32_e32 v14, 24, v16
	s_movk_i32 s11, 0x80
	v_cmp_ne_u32_e32 vcc, s11, v14
	v_mov_b32_e32 v22, 0xffff8000
	s_and_saveexec_b64 s[14:15], vcc
	s_cbranch_execz .LBB777_561
; %bb.558:
	v_bfe_u32 v18, v16, 24, 7
	s_movk_i32 s11, 0x7f
	v_cmp_ne_u32_e32 vcc, s11, v18
	v_mov_b32_e32 v22, 0x7f80
	s_and_saveexec_b64 s[16:17], vcc
	s_cbranch_execz .LBB777_560
; %bb.559:
	v_and_b32_e32 v24, 7, v14
	v_ffbh_u32_e32 v22, v24
	v_min_u32_e32 v26, 32, v22
	v_subrev_u32_e32 v22, 28, v26
	v_lshlrev_b64 v[22:23], v22, v[14:15]
	v_lshrrev_b32_e32 v25, 3, v18
	v_sub_u32_e32 v23, 29, v26
	v_and_b32_e32 v22, 7, v22
	v_cmp_gt_u32_e32 vcc, 8, v18
	v_cndmask_b32_e32 v18, v25, v23, vcc
	v_cndmask_b32_e32 v22, v24, v22, vcc
	v_lshlrev_b32_e32 v14, 24, v14
	v_bfrev_b32_e32 v23, 60
	v_lshlrev_b32_e32 v22, 20, v22
	v_and_b32_e32 v14, 0x80000000, v14
	v_lshl_add_u32 v18, v18, 23, v23
	v_or3_b32 v14, v14, v18, v22
	v_lshrrev_b32_e32 v22, 16, v14
.LBB777_560:
	s_or_b64 exec, exec, s[16:17]
.LBB777_561:
	s_or_b64 exec, exec, s[14:15]
.LBB777_562:
	s_or_b64 exec, exec, s[12:13]
	v_mov_b32_e32 v23, 0
	v_mov_b32_e32 v14, v17
	v_cmp_ne_u16_sdwa s[14:15], v17, v23 src0_sel:BYTE_0 src1_sel:DWORD
	v_mov_b32_e32 v24, 0
	s_and_saveexec_b64 s[12:13], s[14:15]
	s_cbranch_execz .LBB777_568
; %bb.563:
	s_movk_i32 s11, 0x80
	v_cmp_ne_u16_sdwa s[16:17], v17, s11 src0_sel:BYTE_0 src1_sel:DWORD
	v_mov_b32_e32 v24, 0xffff8000
	s_and_saveexec_b64 s[14:15], s[16:17]
	s_cbranch_execz .LBB777_567
; %bb.564:
	s_movk_i32 s11, 0x7f
	v_and_b32_e32 v18, 0x7f, v17
	v_cmp_ne_u32_e32 vcc, s11, v18
	v_mov_b32_e32 v24, 0x7f80
	s_and_saveexec_b64 s[16:17], vcc
	s_cbranch_execz .LBB777_566
; %bb.565:
	v_and_b32_e32 v24, 7, v17
	v_ffbh_u32_e32 v24, v24
	v_min_u32_e32 v24, 32, v24
	v_lshrrev_b32_e32 v25, 3, v18
	v_subrev_u32_e32 v26, 28, v24
	v_sub_u32_e32 v24, 29, v24
	v_cmp_gt_u32_e32 vcc, 8, v18
	v_cndmask_b32_e32 v18, v25, v24, vcc
	v_cndmask_b32_e32 v24, 0, v26, vcc
	v_lshlrev_b64 v[24:25], v24, v[14:15]
	v_lshlrev_b32_e32 v15, 20, v24
	v_lshlrev_b32_e32 v24, 24, v14
	v_bfrev_b32_e32 v25, 60
	v_and_b32_e32 v15, 0x700000, v15
	v_and_b32_e32 v24, 0x80000000, v24
	v_lshl_add_u32 v18, v18, 23, v25
	v_or3_b32 v15, v24, v18, v15
	v_lshrrev_b32_e32 v24, 16, v15
.LBB777_566:
	s_or_b64 exec, exec, s[16:17]
.LBB777_567:
	s_or_b64 exec, exec, s[14:15]
.LBB777_568:
	s_or_b64 exec, exec, s[12:13]
	v_lshrrev_b16_e32 v18, 8, v14
	v_cmp_ne_u16_e32 vcc, 0, v18
	s_and_saveexec_b64 s[12:13], vcc
	s_cbranch_execz .LBB777_574
; %bb.569:
	s_movk_i32 s11, 0x80
	v_cmp_ne_u16_e32 vcc, s11, v18
	v_mov_b32_e32 v23, 0xffff8000
	s_and_saveexec_b64 s[14:15], vcc
	s_cbranch_execz .LBB777_573
; %bb.570:
	s_movk_i32 s11, 0x7f
	v_and_b32_e32 v15, 0x7f, v18
	v_cmp_ne_u32_e32 vcc, s11, v15
	v_mov_b32_e32 v23, 0x7f80
	s_and_saveexec_b64 s[16:17], vcc
	s_cbranch_execz .LBB777_572
; %bb.571:
	v_and_b32_e32 v23, 7, v18
	v_ffbh_u32_e32 v26, v23
	v_min_u32_e32 v28, 32, v26
	v_subrev_u32_e32 v26, 28, v28
	v_lshlrev_b64 v[26:27], v26, v[18:19]
	v_lshrrev_b32_e32 v25, 3, v15
	v_sub_u32_e32 v18, 29, v28
	v_and_b32_e32 v26, 7, v26
	v_cmp_gt_u32_e32 vcc, 8, v15
	v_cndmask_b32_e32 v15, v25, v18, vcc
	v_cndmask_b32_e32 v18, v23, v26, vcc
	v_lshlrev_b32_e32 v14, 16, v14
	v_bfrev_b32_e32 v23, 60
	v_lshlrev_b32_e32 v18, 20, v18
	v_and_b32_e32 v14, 0x80000000, v14
	v_lshl_add_u32 v15, v15, 23, v23
	v_or3_b32 v14, v14, v15, v18
	v_lshrrev_b32_e32 v23, 16, v14
.LBB777_572:
	s_or_b64 exec, exec, s[16:17]
.LBB777_573:
	s_or_b64 exec, exec, s[14:15]
.LBB777_574:
	s_or_b64 exec, exec, s[12:13]
	s_movk_i32 s11, 0xff
	v_and_b32_sdwa v25, v17, s11 dst_sel:DWORD dst_unused:UNUSED_PAD src0_sel:WORD_1 src1_sel:DWORD
	v_lshrrev_b32_e32 v14, 16, v17
	v_cmp_ne_u16_e32 vcc, 0, v25
	v_mov_b32_e32 v15, 0
	v_mov_b32_e32 v18, 0
	s_and_saveexec_b64 s[12:13], vcc
	s_cbranch_execz .LBB777_580
; %bb.575:
	s_movk_i32 s11, 0x80
	v_cmp_ne_u16_e32 vcc, s11, v25
	v_mov_b32_e32 v18, 0xffff8000
	s_and_saveexec_b64 s[14:15], vcc
	s_cbranch_execz .LBB777_579
; %bb.576:
	v_bfe_u32 v25, v17, 16, 7
	s_movk_i32 s11, 0x7f
	v_cmp_ne_u32_e32 vcc, s11, v25
	v_mov_b32_e32 v18, 0x7f80
	s_and_saveexec_b64 s[16:17], vcc
	s_cbranch_execz .LBB777_578
; %bb.577:
	v_and_b32_e32 v18, 7, v14
	v_ffbh_u32_e32 v26, v18
	v_min_u32_e32 v29, 32, v26
	v_subrev_u32_e32 v26, 28, v29
	v_lshlrev_b64 v[26:27], v26, v[14:15]
	v_lshrrev_b32_e32 v28, 3, v25
	v_sub_u32_e32 v14, 29, v29
	v_and_b32_e32 v26, 7, v26
	v_cmp_gt_u32_e32 vcc, 8, v25
	v_mov_b32_e32 v25, 24
	v_cndmask_b32_e32 v14, v28, v14, vcc
	v_cndmask_b32_e32 v18, v18, v26, vcc
	v_lshlrev_b32_sdwa v25, v25, v17 dst_sel:DWORD dst_unused:UNUSED_PAD src0_sel:DWORD src1_sel:WORD_1
	v_bfrev_b32_e32 v26, 60
	v_lshlrev_b32_e32 v18, 20, v18
	v_and_b32_e32 v25, 0x80000000, v25
	v_lshl_add_u32 v14, v14, 23, v26
	v_or3_b32 v14, v25, v14, v18
	v_lshrrev_b32_e32 v18, 16, v14
.LBB777_578:
	s_or_b64 exec, exec, s[16:17]
.LBB777_579:
	s_or_b64 exec, exec, s[14:15]
.LBB777_580:
	s_or_b64 exec, exec, s[12:13]
	s_mov_b32 s12, -1
	s_mov_b32 s13, 0xffffff
	v_cmp_lt_u64_e32 vcc, s[12:13], v[16:17]
	s_and_saveexec_b64 s[12:13], vcc
	s_cbranch_execz .LBB777_586
; %bb.581:
	v_lshrrev_b32_e32 v14, 24, v17
	s_movk_i32 s11, 0x80
	v_cmp_ne_u32_e32 vcc, s11, v14
	v_mov_b32_e32 v15, 0xffff8000
	s_and_saveexec_b64 s[14:15], vcc
	s_cbranch_execz .LBB777_585
; %bb.582:
	v_bfe_u32 v16, v17, 24, 7
	s_movk_i32 s11, 0x7f
	v_cmp_ne_u32_e32 vcc, s11, v16
	v_mov_b32_e32 v15, 0x7f80
	s_and_saveexec_b64 s[16:17], vcc
	s_cbranch_execz .LBB777_584
; %bb.583:
	v_and_b32_e32 v15, 7, v14
	v_ffbh_u32_e32 v25, v15
	v_min_u32_e32 v25, 32, v25
	v_subrev_u32_e32 v26, 28, v25
	v_lshlrev_b64 v[26:27], v26, v[14:15]
	v_lshrrev_b32_e32 v17, 3, v16
	v_sub_u32_e32 v25, 29, v25
	v_and_b32_e32 v26, 7, v26
	v_cmp_gt_u32_e32 vcc, 8, v16
	v_cndmask_b32_e32 v16, v17, v25, vcc
	v_cndmask_b32_e32 v15, v15, v26, vcc
	v_lshlrev_b32_e32 v14, 24, v14
	v_bfrev_b32_e32 v17, 60
	v_lshlrev_b32_e32 v15, 20, v15
	v_and_b32_e32 v14, 0x80000000, v14
	v_lshl_add_u32 v16, v16, 23, v17
	v_or3_b32 v14, v14, v16, v15
	v_lshrrev_b32_e32 v15, 16, v14
.LBB777_584:
	s_or_b64 exec, exec, s[16:17]
.LBB777_585:
	s_or_b64 exec, exec, s[14:15]
.LBB777_586:
	s_or_b64 exec, exec, s[12:13]
	s_mov_b32 s11, 0x5040100
	v_perm_b32 v17, v22, v21, s11
	v_perm_b32 v16, v19, v20, s11
	;; [unrolled: 1-line block ×4, first 2 shown]
	v_mfma_f32_4x4x4bf16_1k a[0:3], v[2:3], v[16:17], a[0:3] cbsz:4 abid:11
	v_mov_b32_e32 v17, 0
	v_mfma_f32_4x4x4bf16_1k a[0:3], v[4:5], v[14:15], a[0:3] cbsz:4 abid:11
	s_waitcnt vmcnt(17)
	v_cmp_ne_u16_sdwa s[14:15], v10, v17 src0_sel:BYTE_0 src1_sel:DWORD
	v_mov_b32_e32 v18, 0
	s_and_saveexec_b64 s[12:13], s[14:15]
	s_cbranch_execz .LBB777_592
; %bb.587:
	s_movk_i32 s11, 0x80
	v_cmp_ne_u16_sdwa s[16:17], v10, s11 src0_sel:BYTE_0 src1_sel:DWORD
	v_mov_b32_e32 v18, 0xffff8000
	s_and_saveexec_b64 s[14:15], s[16:17]
	s_cbranch_execz .LBB777_591
; %bb.588:
	s_movk_i32 s11, 0x7f
	v_and_b32_e32 v14, 0x7f, v10
	v_cmp_ne_u32_e32 vcc, s11, v14
	v_mov_b32_e32 v18, 0x7f80
	s_and_saveexec_b64 s[16:17], vcc
	s_cbranch_execz .LBB777_590
; %bb.589:
	v_and_b32_e32 v15, 7, v10
	v_ffbh_u32_e32 v15, v15
	v_min_u32_e32 v15, 32, v15
	v_subrev_u32_e32 v18, 28, v15
	v_cmp_gt_u32_e32 vcc, 8, v14
	v_lshrrev_b32_e32 v16, 3, v14
	v_sub_u32_e32 v15, 29, v15
	v_cndmask_b32_e32 v14, 0, v18, vcc
	v_cndmask_b32_e32 v16, v16, v15, vcc
	v_lshlrev_b64 v[14:15], v14, v[10:11]
	v_lshlrev_b32_e32 v14, 20, v14
	v_lshlrev_b32_e32 v15, 24, v10
	v_bfrev_b32_e32 v18, 60
	v_and_b32_e32 v14, 0x700000, v14
	v_and_b32_e32 v15, 0x80000000, v15
	v_lshl_add_u32 v16, v16, 23, v18
	v_or3_b32 v14, v15, v16, v14
	v_lshrrev_b32_e32 v18, 16, v14
.LBB777_590:
	s_or_b64 exec, exec, s[16:17]
.LBB777_591:
	s_or_b64 exec, exec, s[14:15]
.LBB777_592:
	s_or_b64 exec, exec, s[12:13]
	v_lshrrev_b16_e32 v14, 8, v10
	v_cmp_ne_u16_e32 vcc, 0, v14
	s_and_saveexec_b64 s[12:13], vcc
	s_cbranch_execz .LBB777_598
; %bb.593:
	s_movk_i32 s11, 0x80
	v_cmp_ne_u16_e32 vcc, s11, v14
	v_mov_b32_e32 v17, 0xffff8000
	s_and_saveexec_b64 s[14:15], vcc
	s_cbranch_execz .LBB777_597
; %bb.594:
	s_movk_i32 s11, 0x7f
	v_and_b32_e32 v15, 0x7f, v14
	v_cmp_ne_u32_e32 vcc, s11, v15
	v_mov_b32_e32 v17, 0x7f80
	s_and_saveexec_b64 s[16:17], vcc
	s_cbranch_execz .LBB777_596
; %bb.595:
	v_and_b32_e32 v19, 7, v14
	v_ffbh_u32_e32 v16, v19
	v_min_u32_e32 v21, 32, v16
	v_subrev_u32_e32 v16, 28, v21
	v_lshlrev_b64 v[16:17], v16, v[14:15]
	v_lshrrev_b32_e32 v20, 3, v15
	v_sub_u32_e32 v14, 29, v21
	v_and_b32_e32 v16, 7, v16
	v_cmp_gt_u32_e32 vcc, 8, v15
	v_cndmask_b32_e32 v14, v20, v14, vcc
	v_cndmask_b32_e32 v15, v19, v16, vcc
	v_lshlrev_b32_e32 v16, 16, v10
	v_bfrev_b32_e32 v17, 60
	v_lshlrev_b32_e32 v15, 20, v15
	v_and_b32_e32 v16, 0x80000000, v16
	v_lshl_add_u32 v14, v14, 23, v17
	v_or3_b32 v14, v16, v14, v15
	v_lshrrev_b32_e32 v17, 16, v14
.LBB777_596:
	s_or_b64 exec, exec, s[16:17]
.LBB777_597:
	s_or_b64 exec, exec, s[14:15]
.LBB777_598:
	s_or_b64 exec, exec, s[12:13]
	s_movk_i32 s11, 0xff
	v_and_b32_sdwa v16, v10, s11 dst_sel:DWORD dst_unused:UNUSED_PAD src0_sel:WORD_1 src1_sel:DWORD
	v_lshrrev_b32_e32 v14, 16, v10
	v_cmp_ne_u16_e32 vcc, 0, v16
	v_mov_b32_e32 v15, 0
	v_mov_b32_e32 v19, 0
	s_and_saveexec_b64 s[12:13], vcc
	s_cbranch_execz .LBB777_604
; %bb.599:
	s_movk_i32 s11, 0x80
	v_cmp_ne_u16_e32 vcc, s11, v16
	v_mov_b32_e32 v19, 0xffff8000
	s_and_saveexec_b64 s[14:15], vcc
	s_cbranch_execz .LBB777_603
; %bb.600:
	v_bfe_u32 v16, v10, 16, 7
	s_movk_i32 s11, 0x7f
	v_cmp_ne_u32_e32 vcc, s11, v16
	v_mov_b32_e32 v19, 0x7f80
	s_and_saveexec_b64 s[16:17], vcc
	s_cbranch_execz .LBB777_602
; %bb.601:
	v_and_b32_e32 v19, 7, v14
	v_ffbh_u32_e32 v20, v19
	v_min_u32_e32 v23, 32, v20
	v_subrev_u32_e32 v20, 28, v23
	v_lshlrev_b64 v[20:21], v20, v[14:15]
	v_and_b32_e32 v20, 7, v20
	v_cmp_gt_u32_e32 vcc, 8, v16
	v_lshrrev_b32_e32 v22, 3, v16
	v_sub_u32_e32 v14, 29, v23
	v_cndmask_b32_e32 v16, v19, v20, vcc
	v_mov_b32_e32 v19, 24
	v_cndmask_b32_e32 v14, v22, v14, vcc
	v_lshlrev_b32_sdwa v19, v19, v10 dst_sel:DWORD dst_unused:UNUSED_PAD src0_sel:DWORD src1_sel:WORD_1
	v_bfrev_b32_e32 v20, 60
	v_lshlrev_b32_e32 v16, 20, v16
	v_and_b32_e32 v19, 0x80000000, v19
	v_lshl_add_u32 v14, v14, 23, v20
	v_or3_b32 v14, v19, v14, v16
	v_lshrrev_b32_e32 v19, 16, v14
.LBB777_602:
	s_or_b64 exec, exec, s[16:17]
.LBB777_603:
	s_or_b64 exec, exec, s[14:15]
.LBB777_604:
	s_or_b64 exec, exec, s[12:13]
	s_mov_b32 s11, 0xffffff
	v_cmp_lt_u32_e32 vcc, s11, v10
	v_mov_b32_e32 v20, 0
	s_and_saveexec_b64 s[12:13], vcc
	s_cbranch_execz .LBB777_610
; %bb.605:
	v_lshrrev_b32_e32 v14, 24, v10
	s_movk_i32 s11, 0x80
	v_cmp_ne_u32_e32 vcc, s11, v14
	v_mov_b32_e32 v20, 0xffff8000
	s_and_saveexec_b64 s[14:15], vcc
	s_cbranch_execz .LBB777_609
; %bb.606:
	v_bfe_u32 v16, v10, 24, 7
	s_movk_i32 s11, 0x7f
	v_cmp_ne_u32_e32 vcc, s11, v16
	v_mov_b32_e32 v20, 0x7f80
	s_and_saveexec_b64 s[16:17], vcc
	s_cbranch_execz .LBB777_608
; %bb.607:
	v_and_b32_e32 v22, 7, v14
	v_ffbh_u32_e32 v20, v22
	v_min_u32_e32 v24, 32, v20
	v_subrev_u32_e32 v20, 28, v24
	v_lshlrev_b64 v[20:21], v20, v[14:15]
	v_lshrrev_b32_e32 v23, 3, v16
	v_sub_u32_e32 v21, 29, v24
	v_and_b32_e32 v20, 7, v20
	v_cmp_gt_u32_e32 vcc, 8, v16
	v_cndmask_b32_e32 v16, v23, v21, vcc
	v_cndmask_b32_e32 v20, v22, v20, vcc
	v_lshlrev_b32_e32 v14, 24, v14
	v_bfrev_b32_e32 v21, 60
	v_lshlrev_b32_e32 v20, 20, v20
	v_and_b32_e32 v14, 0x80000000, v14
	v_lshl_add_u32 v16, v16, 23, v21
	v_or3_b32 v14, v14, v16, v20
	v_lshrrev_b32_e32 v20, 16, v14
.LBB777_608:
	s_or_b64 exec, exec, s[16:17]
.LBB777_609:
	s_or_b64 exec, exec, s[14:15]
.LBB777_610:
	s_or_b64 exec, exec, s[12:13]
	v_mov_b32_e32 v21, 0
	v_mov_b32_e32 v14, v11
	v_cmp_ne_u16_sdwa s[14:15], v11, v21 src0_sel:BYTE_0 src1_sel:DWORD
	v_mov_b32_e32 v22, 0
	s_and_saveexec_b64 s[12:13], s[14:15]
	s_cbranch_execz .LBB777_616
; %bb.611:
	s_movk_i32 s11, 0x80
	v_cmp_ne_u16_sdwa s[16:17], v11, s11 src0_sel:BYTE_0 src1_sel:DWORD
	v_mov_b32_e32 v22, 0xffff8000
	s_and_saveexec_b64 s[14:15], s[16:17]
	s_cbranch_execz .LBB777_615
; %bb.612:
	s_movk_i32 s11, 0x7f
	v_and_b32_e32 v16, 0x7f, v11
	v_cmp_ne_u32_e32 vcc, s11, v16
	v_mov_b32_e32 v22, 0x7f80
	s_and_saveexec_b64 s[16:17], vcc
	s_cbranch_execz .LBB777_614
; %bb.613:
	v_and_b32_e32 v22, 7, v11
	v_ffbh_u32_e32 v22, v22
	v_min_u32_e32 v22, 32, v22
	v_lshrrev_b32_e32 v23, 3, v16
	v_subrev_u32_e32 v24, 28, v22
	v_sub_u32_e32 v22, 29, v22
	v_cmp_gt_u32_e32 vcc, 8, v16
	v_cndmask_b32_e32 v16, v23, v22, vcc
	v_cndmask_b32_e32 v22, 0, v24, vcc
	v_lshlrev_b64 v[22:23], v22, v[14:15]
	v_lshlrev_b32_e32 v15, 20, v22
	v_lshlrev_b32_e32 v22, 24, v14
	v_bfrev_b32_e32 v23, 60
	v_and_b32_e32 v15, 0x700000, v15
	v_and_b32_e32 v22, 0x80000000, v22
	v_lshl_add_u32 v16, v16, 23, v23
	v_or3_b32 v15, v22, v16, v15
	v_lshrrev_b32_e32 v22, 16, v15
.LBB777_614:
	s_or_b64 exec, exec, s[16:17]
.LBB777_615:
	s_or_b64 exec, exec, s[14:15]
.LBB777_616:
	s_or_b64 exec, exec, s[12:13]
	v_lshrrev_b16_e32 v16, 8, v14
	v_cmp_ne_u16_e32 vcc, 0, v16
	s_and_saveexec_b64 s[12:13], vcc
	s_cbranch_execz .LBB777_622
; %bb.617:
	s_movk_i32 s11, 0x80
	v_cmp_ne_u16_e32 vcc, s11, v16
	v_mov_b32_e32 v21, 0xffff8000
	s_and_saveexec_b64 s[14:15], vcc
	s_cbranch_execz .LBB777_621
; %bb.618:
	s_movk_i32 s11, 0x7f
	v_and_b32_e32 v15, 0x7f, v16
	v_cmp_ne_u32_e32 vcc, s11, v15
	v_mov_b32_e32 v21, 0x7f80
	s_and_saveexec_b64 s[16:17], vcc
	s_cbranch_execz .LBB777_620
; %bb.619:
	v_and_b32_e32 v21, 7, v16
	v_ffbh_u32_e32 v24, v21
	v_min_u32_e32 v26, 32, v24
	v_subrev_u32_e32 v24, 28, v26
	v_lshlrev_b64 v[24:25], v24, v[16:17]
	v_lshrrev_b32_e32 v23, 3, v15
	v_sub_u32_e32 v16, 29, v26
	v_and_b32_e32 v24, 7, v24
	v_cmp_gt_u32_e32 vcc, 8, v15
	v_cndmask_b32_e32 v15, v23, v16, vcc
	v_cndmask_b32_e32 v16, v21, v24, vcc
	v_lshlrev_b32_e32 v14, 16, v14
	v_bfrev_b32_e32 v21, 60
	v_lshlrev_b32_e32 v16, 20, v16
	v_and_b32_e32 v14, 0x80000000, v14
	v_lshl_add_u32 v15, v15, 23, v21
	v_or3_b32 v14, v14, v15, v16
	v_lshrrev_b32_e32 v21, 16, v14
.LBB777_620:
	s_or_b64 exec, exec, s[16:17]
.LBB777_621:
	s_or_b64 exec, exec, s[14:15]
.LBB777_622:
	s_or_b64 exec, exec, s[12:13]
	s_movk_i32 s11, 0xff
	v_and_b32_sdwa v23, v11, s11 dst_sel:DWORD dst_unused:UNUSED_PAD src0_sel:WORD_1 src1_sel:DWORD
	v_lshrrev_b32_e32 v14, 16, v11
	v_cmp_ne_u16_e32 vcc, 0, v23
	v_mov_b32_e32 v15, 0
	v_mov_b32_e32 v16, 0
	s_and_saveexec_b64 s[12:13], vcc
	s_cbranch_execz .LBB777_628
; %bb.623:
	s_movk_i32 s11, 0x80
	v_cmp_ne_u16_e32 vcc, s11, v23
	v_mov_b32_e32 v16, 0xffff8000
	s_and_saveexec_b64 s[14:15], vcc
	s_cbranch_execz .LBB777_627
; %bb.624:
	v_bfe_u32 v23, v11, 16, 7
	s_movk_i32 s11, 0x7f
	v_cmp_ne_u32_e32 vcc, s11, v23
	v_mov_b32_e32 v16, 0x7f80
	s_and_saveexec_b64 s[16:17], vcc
	s_cbranch_execz .LBB777_626
; %bb.625:
	v_and_b32_e32 v16, 7, v14
	v_ffbh_u32_e32 v24, v16
	v_min_u32_e32 v27, 32, v24
	v_subrev_u32_e32 v24, 28, v27
	v_lshlrev_b64 v[24:25], v24, v[14:15]
	v_lshrrev_b32_e32 v26, 3, v23
	v_sub_u32_e32 v14, 29, v27
	v_and_b32_e32 v24, 7, v24
	v_cmp_gt_u32_e32 vcc, 8, v23
	v_mov_b32_e32 v23, 24
	v_cndmask_b32_e32 v14, v26, v14, vcc
	v_cndmask_b32_e32 v16, v16, v24, vcc
	v_lshlrev_b32_sdwa v23, v23, v11 dst_sel:DWORD dst_unused:UNUSED_PAD src0_sel:DWORD src1_sel:WORD_1
	v_bfrev_b32_e32 v24, 60
	v_lshlrev_b32_e32 v16, 20, v16
	v_and_b32_e32 v23, 0x80000000, v23
	v_lshl_add_u32 v14, v14, 23, v24
	v_or3_b32 v14, v23, v14, v16
	v_lshrrev_b32_e32 v16, 16, v14
.LBB777_626:
	s_or_b64 exec, exec, s[16:17]
.LBB777_627:
	s_or_b64 exec, exec, s[14:15]
.LBB777_628:
	s_or_b64 exec, exec, s[12:13]
	s_mov_b32 s12, -1
	s_mov_b32 s13, 0xffffff
	v_cmp_lt_u64_e32 vcc, s[12:13], v[10:11]
	s_and_saveexec_b64 s[12:13], vcc
	s_cbranch_execz .LBB777_634
; %bb.629:
	v_lshrrev_b32_e32 v10, 24, v11
	s_movk_i32 s11, 0x80
	v_cmp_ne_u32_e32 vcc, s11, v10
	v_mov_b32_e32 v15, 0xffff8000
	s_and_saveexec_b64 s[14:15], vcc
	s_cbranch_execz .LBB777_633
; %bb.630:
	v_bfe_u32 v11, v11, 24, 7
	s_movk_i32 s11, 0x7f
	v_cmp_ne_u32_e32 vcc, s11, v11
	v_mov_b32_e32 v15, 0x7f80
	s_and_saveexec_b64 s[16:17], vcc
	s_cbranch_execz .LBB777_632
; %bb.631:
	v_and_b32_e32 v23, 7, v10
	v_ffbh_u32_e32 v14, v23
	v_min_u32_e32 v25, 32, v14
	v_subrev_u32_e32 v14, 28, v25
	v_lshlrev_b64 v[14:15], v14, v[10:11]
	v_lshrrev_b32_e32 v24, 3, v11
	v_sub_u32_e32 v15, 29, v25
	v_and_b32_e32 v14, 7, v14
	v_cmp_gt_u32_e32 vcc, 8, v11
	v_cndmask_b32_e32 v11, v24, v15, vcc
	v_cndmask_b32_e32 v14, v23, v14, vcc
	v_lshlrev_b32_e32 v10, 24, v10
	v_bfrev_b32_e32 v15, 60
	v_lshlrev_b32_e32 v14, 20, v14
	v_and_b32_e32 v10, 0x80000000, v10
	v_lshl_add_u32 v11, v11, 23, v15
	v_or3_b32 v10, v10, v11, v14
	v_lshrrev_b32_e32 v15, 16, v10
.LBB777_632:
	s_or_b64 exec, exec, s[16:17]
.LBB777_633:
	s_or_b64 exec, exec, s[14:15]
.LBB777_634:
	s_or_b64 exec, exec, s[12:13]
	s_mov_b32 s11, 0x5040100
	v_perm_b32 v11, v20, v19, s11
	v_perm_b32 v10, v17, v18, s11
	;; [unrolled: 1-line block ×4, first 2 shown]
	v_mfma_f32_4x4x4bf16_1k a[0:3], v[2:3], v[10:11], a[0:3] cbsz:4 abid:12
	v_mov_b32_e32 v16, 0
	v_mfma_f32_4x4x4bf16_1k a[0:3], v[4:5], v[14:15], a[0:3] cbsz:4 abid:12
	v_mov_b32_e32 v15, 0
	v_cmp_ne_u16_sdwa s[14:15], v12, v15 src0_sel:BYTE_0 src1_sel:DWORD
	s_and_saveexec_b64 s[12:13], s[14:15]
	s_cbranch_execz .LBB777_640
; %bb.635:
	s_movk_i32 s11, 0x80
	v_cmp_ne_u16_sdwa s[16:17], v12, s11 src0_sel:BYTE_0 src1_sel:DWORD
	v_mov_b32_e32 v16, 0xffff8000
	s_and_saveexec_b64 s[14:15], s[16:17]
	s_cbranch_execz .LBB777_639
; %bb.636:
	s_movk_i32 s11, 0x7f
	v_and_b32_e32 v10, 0x7f, v12
	v_cmp_ne_u32_e32 vcc, s11, v10
	v_mov_b32_e32 v16, 0x7f80
	s_and_saveexec_b64 s[16:17], vcc
	s_cbranch_execz .LBB777_638
; %bb.637:
	v_and_b32_e32 v11, 7, v12
	v_ffbh_u32_e32 v11, v11
	v_min_u32_e32 v11, 32, v11
	v_subrev_u32_e32 v16, 28, v11
	v_cmp_gt_u32_e32 vcc, 8, v10
	v_lshrrev_b32_e32 v14, 3, v10
	v_sub_u32_e32 v11, 29, v11
	v_cndmask_b32_e32 v10, 0, v16, vcc
	v_cndmask_b32_e32 v14, v14, v11, vcc
	v_lshlrev_b64 v[10:11], v10, v[12:13]
	v_lshlrev_b32_e32 v10, 20, v10
	v_lshlrev_b32_e32 v11, 24, v12
	v_bfrev_b32_e32 v16, 60
	v_and_b32_e32 v10, 0x700000, v10
	v_and_b32_e32 v11, 0x80000000, v11
	v_lshl_add_u32 v14, v14, 23, v16
	v_or3_b32 v10, v11, v14, v10
	v_lshrrev_b32_e32 v16, 16, v10
.LBB777_638:
	s_or_b64 exec, exec, s[16:17]
.LBB777_639:
	s_or_b64 exec, exec, s[14:15]
.LBB777_640:
	s_or_b64 exec, exec, s[12:13]
	v_lshrrev_b16_e32 v10, 8, v12
	v_cmp_ne_u16_e32 vcc, 0, v10
	s_and_saveexec_b64 s[12:13], vcc
	s_cbranch_execz .LBB777_646
; %bb.641:
	s_movk_i32 s11, 0x80
	v_cmp_ne_u16_e32 vcc, s11, v10
	v_mov_b32_e32 v15, 0xffff8000
	s_and_saveexec_b64 s[14:15], vcc
	s_cbranch_execz .LBB777_645
; %bb.642:
	s_movk_i32 s11, 0x7f
	v_and_b32_e32 v11, 0x7f, v10
	v_cmp_ne_u32_e32 vcc, s11, v11
	v_mov_b32_e32 v15, 0x7f80
	s_and_saveexec_b64 s[16:17], vcc
	s_cbranch_execz .LBB777_644
; %bb.643:
	v_and_b32_e32 v17, 7, v10
	v_ffbh_u32_e32 v14, v17
	v_min_u32_e32 v19, 32, v14
	v_subrev_u32_e32 v14, 28, v19
	v_lshlrev_b64 v[14:15], v14, v[10:11]
	v_lshrrev_b32_e32 v18, 3, v11
	v_sub_u32_e32 v10, 29, v19
	v_and_b32_e32 v14, 7, v14
	v_cmp_gt_u32_e32 vcc, 8, v11
	v_cndmask_b32_e32 v10, v18, v10, vcc
	v_cndmask_b32_e32 v11, v17, v14, vcc
	v_lshlrev_b32_e32 v14, 16, v12
	v_bfrev_b32_e32 v15, 60
	v_lshlrev_b32_e32 v11, 20, v11
	v_and_b32_e32 v14, 0x80000000, v14
	v_lshl_add_u32 v10, v10, 23, v15
	v_or3_b32 v10, v14, v10, v11
	v_lshrrev_b32_e32 v15, 16, v10
.LBB777_644:
	s_or_b64 exec, exec, s[16:17]
.LBB777_645:
	s_or_b64 exec, exec, s[14:15]
.LBB777_646:
	s_or_b64 exec, exec, s[12:13]
	s_movk_i32 s11, 0xff
	v_and_b32_sdwa v14, v12, s11 dst_sel:DWORD dst_unused:UNUSED_PAD src0_sel:WORD_1 src1_sel:DWORD
	v_lshrrev_b32_e32 v10, 16, v12
	v_cmp_ne_u16_e32 vcc, 0, v14
	v_mov_b32_e32 v11, 0
	v_mov_b32_e32 v17, 0
	s_and_saveexec_b64 s[12:13], vcc
	s_cbranch_execz .LBB777_652
; %bb.647:
	s_movk_i32 s11, 0x80
	v_cmp_ne_u16_e32 vcc, s11, v14
	v_mov_b32_e32 v17, 0xffff8000
	s_and_saveexec_b64 s[14:15], vcc
	s_cbranch_execz .LBB777_651
; %bb.648:
	v_bfe_u32 v14, v12, 16, 7
	s_movk_i32 s11, 0x7f
	v_cmp_ne_u32_e32 vcc, s11, v14
	v_mov_b32_e32 v17, 0x7f80
	s_and_saveexec_b64 s[16:17], vcc
	s_cbranch_execz .LBB777_650
; %bb.649:
	v_and_b32_e32 v17, 7, v10
	v_ffbh_u32_e32 v18, v17
	v_min_u32_e32 v21, 32, v18
	v_subrev_u32_e32 v18, 28, v21
	v_lshlrev_b64 v[18:19], v18, v[10:11]
	v_and_b32_e32 v18, 7, v18
	v_cmp_gt_u32_e32 vcc, 8, v14
	v_lshrrev_b32_e32 v20, 3, v14
	v_sub_u32_e32 v10, 29, v21
	v_cndmask_b32_e32 v14, v17, v18, vcc
	v_mov_b32_e32 v17, 24
	v_cndmask_b32_e32 v10, v20, v10, vcc
	v_lshlrev_b32_sdwa v17, v17, v12 dst_sel:DWORD dst_unused:UNUSED_PAD src0_sel:DWORD src1_sel:WORD_1
	v_bfrev_b32_e32 v18, 60
	v_lshlrev_b32_e32 v14, 20, v14
	v_and_b32_e32 v17, 0x80000000, v17
	v_lshl_add_u32 v10, v10, 23, v18
	v_or3_b32 v10, v17, v10, v14
	v_lshrrev_b32_e32 v17, 16, v10
.LBB777_650:
	s_or_b64 exec, exec, s[16:17]
.LBB777_651:
	s_or_b64 exec, exec, s[14:15]
.LBB777_652:
	s_or_b64 exec, exec, s[12:13]
	s_mov_b32 s11, 0xffffff
	v_cmp_lt_u32_e32 vcc, s11, v12
	v_mov_b32_e32 v18, 0
	s_and_saveexec_b64 s[12:13], vcc
	s_cbranch_execz .LBB777_658
; %bb.653:
	v_lshrrev_b32_e32 v10, 24, v12
	s_movk_i32 s11, 0x80
	v_cmp_ne_u32_e32 vcc, s11, v10
	v_mov_b32_e32 v18, 0xffff8000
	s_and_saveexec_b64 s[14:15], vcc
	s_cbranch_execz .LBB777_657
; %bb.654:
	v_bfe_u32 v14, v12, 24, 7
	s_movk_i32 s11, 0x7f
	v_cmp_ne_u32_e32 vcc, s11, v14
	v_mov_b32_e32 v18, 0x7f80
	s_and_saveexec_b64 s[16:17], vcc
	s_cbranch_execz .LBB777_656
; %bb.655:
	v_and_b32_e32 v20, 7, v10
	v_ffbh_u32_e32 v18, v20
	v_min_u32_e32 v22, 32, v18
	v_subrev_u32_e32 v18, 28, v22
	v_lshlrev_b64 v[18:19], v18, v[10:11]
	v_lshrrev_b32_e32 v21, 3, v14
	v_sub_u32_e32 v19, 29, v22
	v_and_b32_e32 v18, 7, v18
	v_cmp_gt_u32_e32 vcc, 8, v14
	v_cndmask_b32_e32 v14, v21, v19, vcc
	v_cndmask_b32_e32 v18, v20, v18, vcc
	v_lshlrev_b32_e32 v10, 24, v10
	v_bfrev_b32_e32 v19, 60
	v_lshlrev_b32_e32 v18, 20, v18
	v_and_b32_e32 v10, 0x80000000, v10
	v_lshl_add_u32 v14, v14, 23, v19
	v_or3_b32 v10, v10, v14, v18
	v_lshrrev_b32_e32 v18, 16, v10
.LBB777_656:
	s_or_b64 exec, exec, s[16:17]
.LBB777_657:
	s_or_b64 exec, exec, s[14:15]
.LBB777_658:
	s_or_b64 exec, exec, s[12:13]
	v_mov_b32_e32 v19, 0
	v_mov_b32_e32 v10, v13
	v_cmp_ne_u16_sdwa s[14:15], v13, v19 src0_sel:BYTE_0 src1_sel:DWORD
	v_mov_b32_e32 v20, 0
	s_and_saveexec_b64 s[12:13], s[14:15]
	s_cbranch_execz .LBB777_664
; %bb.659:
	s_movk_i32 s11, 0x80
	v_cmp_ne_u16_sdwa s[16:17], v13, s11 src0_sel:BYTE_0 src1_sel:DWORD
	v_mov_b32_e32 v20, 0xffff8000
	s_and_saveexec_b64 s[14:15], s[16:17]
	s_cbranch_execz .LBB777_663
; %bb.660:
	s_movk_i32 s11, 0x7f
	v_and_b32_e32 v14, 0x7f, v13
	v_cmp_ne_u32_e32 vcc, s11, v14
	v_mov_b32_e32 v20, 0x7f80
	s_and_saveexec_b64 s[16:17], vcc
	s_cbranch_execz .LBB777_662
; %bb.661:
	v_and_b32_e32 v20, 7, v13
	v_ffbh_u32_e32 v20, v20
	v_min_u32_e32 v20, 32, v20
	v_lshrrev_b32_e32 v21, 3, v14
	v_subrev_u32_e32 v22, 28, v20
	v_sub_u32_e32 v20, 29, v20
	v_cmp_gt_u32_e32 vcc, 8, v14
	v_cndmask_b32_e32 v14, v21, v20, vcc
	v_cndmask_b32_e32 v20, 0, v22, vcc
	v_lshlrev_b64 v[20:21], v20, v[10:11]
	v_lshlrev_b32_e32 v11, 20, v20
	v_lshlrev_b32_e32 v20, 24, v10
	v_bfrev_b32_e32 v21, 60
	v_and_b32_e32 v11, 0x700000, v11
	v_and_b32_e32 v20, 0x80000000, v20
	v_lshl_add_u32 v14, v14, 23, v21
	v_or3_b32 v11, v20, v14, v11
	v_lshrrev_b32_e32 v20, 16, v11
.LBB777_662:
	s_or_b64 exec, exec, s[16:17]
.LBB777_663:
	s_or_b64 exec, exec, s[14:15]
.LBB777_664:
	s_or_b64 exec, exec, s[12:13]
	v_lshrrev_b16_e32 v14, 8, v10
	v_cmp_ne_u16_e32 vcc, 0, v14
	s_and_saveexec_b64 s[12:13], vcc
	s_cbranch_execz .LBB777_670
; %bb.665:
	s_movk_i32 s11, 0x80
	v_cmp_ne_u16_e32 vcc, s11, v14
	v_mov_b32_e32 v19, 0xffff8000
	s_and_saveexec_b64 s[14:15], vcc
	s_cbranch_execz .LBB777_669
; %bb.666:
	s_movk_i32 s11, 0x7f
	v_and_b32_e32 v11, 0x7f, v14
	v_cmp_ne_u32_e32 vcc, s11, v11
	v_mov_b32_e32 v19, 0x7f80
	s_and_saveexec_b64 s[16:17], vcc
	s_cbranch_execz .LBB777_668
; %bb.667:
	v_and_b32_e32 v19, 7, v14
	v_ffbh_u32_e32 v22, v19
	v_min_u32_e32 v24, 32, v22
	v_subrev_u32_e32 v22, 28, v24
	v_lshlrev_b64 v[22:23], v22, v[14:15]
	v_lshrrev_b32_e32 v21, 3, v11
	v_sub_u32_e32 v14, 29, v24
	v_and_b32_e32 v22, 7, v22
	v_cmp_gt_u32_e32 vcc, 8, v11
	v_cndmask_b32_e32 v11, v21, v14, vcc
	v_cndmask_b32_e32 v14, v19, v22, vcc
	v_lshlrev_b32_e32 v10, 16, v10
	v_bfrev_b32_e32 v19, 60
	v_lshlrev_b32_e32 v14, 20, v14
	v_and_b32_e32 v10, 0x80000000, v10
	v_lshl_add_u32 v11, v11, 23, v19
	v_or3_b32 v10, v10, v11, v14
	v_lshrrev_b32_e32 v19, 16, v10
.LBB777_668:
	s_or_b64 exec, exec, s[16:17]
.LBB777_669:
	s_or_b64 exec, exec, s[14:15]
.LBB777_670:
	s_or_b64 exec, exec, s[12:13]
	s_movk_i32 s11, 0xff
	v_and_b32_sdwa v21, v13, s11 dst_sel:DWORD dst_unused:UNUSED_PAD src0_sel:WORD_1 src1_sel:DWORD
	v_lshrrev_b32_e32 v10, 16, v13
	v_cmp_ne_u16_e32 vcc, 0, v21
	v_mov_b32_e32 v11, 0
	v_mov_b32_e32 v14, 0
	s_and_saveexec_b64 s[12:13], vcc
	s_cbranch_execz .LBB777_676
; %bb.671:
	s_movk_i32 s11, 0x80
	v_cmp_ne_u16_e32 vcc, s11, v21
	v_mov_b32_e32 v14, 0xffff8000
	s_and_saveexec_b64 s[14:15], vcc
	s_cbranch_execz .LBB777_675
; %bb.672:
	v_bfe_u32 v21, v13, 16, 7
	s_movk_i32 s11, 0x7f
	v_cmp_ne_u32_e32 vcc, s11, v21
	v_mov_b32_e32 v14, 0x7f80
	s_and_saveexec_b64 s[16:17], vcc
	s_cbranch_execz .LBB777_674
; %bb.673:
	v_and_b32_e32 v14, 7, v10
	v_ffbh_u32_e32 v22, v14
	v_min_u32_e32 v25, 32, v22
	v_subrev_u32_e32 v22, 28, v25
	v_lshlrev_b64 v[22:23], v22, v[10:11]
	v_lshrrev_b32_e32 v24, 3, v21
	v_sub_u32_e32 v10, 29, v25
	v_and_b32_e32 v22, 7, v22
	v_cmp_gt_u32_e32 vcc, 8, v21
	v_mov_b32_e32 v21, 24
	v_cndmask_b32_e32 v10, v24, v10, vcc
	v_cndmask_b32_e32 v14, v14, v22, vcc
	v_lshlrev_b32_sdwa v21, v21, v13 dst_sel:DWORD dst_unused:UNUSED_PAD src0_sel:DWORD src1_sel:WORD_1
	v_bfrev_b32_e32 v22, 60
	v_lshlrev_b32_e32 v14, 20, v14
	v_and_b32_e32 v21, 0x80000000, v21
	v_lshl_add_u32 v10, v10, 23, v22
	v_or3_b32 v10, v21, v10, v14
	v_lshrrev_b32_e32 v14, 16, v10
.LBB777_674:
	s_or_b64 exec, exec, s[16:17]
.LBB777_675:
	s_or_b64 exec, exec, s[14:15]
.LBB777_676:
	s_or_b64 exec, exec, s[12:13]
	s_mov_b32 s12, -1
	s_mov_b32 s13, 0xffffff
	v_cmp_lt_u64_e32 vcc, s[12:13], v[12:13]
	s_and_saveexec_b64 s[12:13], vcc
	s_cbranch_execz .LBB777_682
; %bb.677:
	v_lshrrev_b32_e32 v10, 24, v13
	s_movk_i32 s11, 0x80
	v_cmp_ne_u32_e32 vcc, s11, v10
	v_mov_b32_e32 v11, 0xffff8000
	s_and_saveexec_b64 s[14:15], vcc
	s_cbranch_execz .LBB777_681
; %bb.678:
	v_bfe_u32 v12, v13, 24, 7
	s_movk_i32 s11, 0x7f
	v_cmp_ne_u32_e32 vcc, s11, v12
	v_mov_b32_e32 v11, 0x7f80
	s_and_saveexec_b64 s[16:17], vcc
	s_cbranch_execz .LBB777_680
; %bb.679:
	v_and_b32_e32 v11, 7, v10
	v_ffbh_u32_e32 v21, v11
	v_min_u32_e32 v21, 32, v21
	v_subrev_u32_e32 v22, 28, v21
	v_lshlrev_b64 v[22:23], v22, v[10:11]
	v_lshrrev_b32_e32 v13, 3, v12
	v_sub_u32_e32 v21, 29, v21
	v_and_b32_e32 v22, 7, v22
	v_cmp_gt_u32_e32 vcc, 8, v12
	v_cndmask_b32_e32 v12, v13, v21, vcc
	v_cndmask_b32_e32 v11, v11, v22, vcc
	v_lshlrev_b32_e32 v10, 24, v10
	v_bfrev_b32_e32 v13, 60
	v_lshlrev_b32_e32 v11, 20, v11
	v_and_b32_e32 v10, 0x80000000, v10
	v_lshl_add_u32 v12, v12, 23, v13
	v_or3_b32 v10, v10, v12, v11
	v_lshrrev_b32_e32 v11, 16, v10
.LBB777_680:
	s_or_b64 exec, exec, s[16:17]
.LBB777_681:
	s_or_b64 exec, exec, s[14:15]
.LBB777_682:
	s_or_b64 exec, exec, s[12:13]
	s_mov_b32 s11, 0x5040100
	v_perm_b32 v13, v18, v17, s11
	v_perm_b32 v12, v15, v16, s11
	;; [unrolled: 1-line block ×4, first 2 shown]
	v_mfma_f32_4x4x4bf16_1k a[0:3], v[2:3], v[12:13], a[0:3] cbsz:4 abid:13
	v_mov_b32_e32 v13, 0
	v_mfma_f32_4x4x4bf16_1k a[0:3], v[4:5], v[10:11], a[0:3] cbsz:4 abid:13
	s_waitcnt vmcnt(16)
	v_cmp_ne_u16_sdwa s[14:15], v6, v13 src0_sel:BYTE_0 src1_sel:DWORD
	v_mov_b32_e32 v14, 0
	s_and_saveexec_b64 s[12:13], s[14:15]
	s_cbranch_execz .LBB777_688
; %bb.683:
	s_movk_i32 s11, 0x80
	v_cmp_ne_u16_sdwa s[16:17], v6, s11 src0_sel:BYTE_0 src1_sel:DWORD
	v_mov_b32_e32 v14, 0xffff8000
	s_and_saveexec_b64 s[14:15], s[16:17]
	s_cbranch_execz .LBB777_687
; %bb.684:
	s_movk_i32 s11, 0x7f
	v_and_b32_e32 v10, 0x7f, v6
	v_cmp_ne_u32_e32 vcc, s11, v10
	v_mov_b32_e32 v14, 0x7f80
	s_and_saveexec_b64 s[16:17], vcc
	s_cbranch_execz .LBB777_686
; %bb.685:
	v_and_b32_e32 v11, 7, v6
	v_ffbh_u32_e32 v11, v11
	v_min_u32_e32 v11, 32, v11
	v_subrev_u32_e32 v14, 28, v11
	v_cmp_gt_u32_e32 vcc, 8, v10
	v_lshrrev_b32_e32 v12, 3, v10
	v_sub_u32_e32 v11, 29, v11
	v_cndmask_b32_e32 v10, 0, v14, vcc
	v_cndmask_b32_e32 v12, v12, v11, vcc
	v_lshlrev_b64 v[10:11], v10, v[6:7]
	v_lshlrev_b32_e32 v10, 20, v10
	v_lshlrev_b32_e32 v11, 24, v6
	v_bfrev_b32_e32 v14, 60
	v_and_b32_e32 v10, 0x700000, v10
	v_and_b32_e32 v11, 0x80000000, v11
	v_lshl_add_u32 v12, v12, 23, v14
	v_or3_b32 v10, v11, v12, v10
	v_lshrrev_b32_e32 v14, 16, v10
.LBB777_686:
	s_or_b64 exec, exec, s[16:17]
.LBB777_687:
	s_or_b64 exec, exec, s[14:15]
.LBB777_688:
	s_or_b64 exec, exec, s[12:13]
	v_lshrrev_b16_e32 v10, 8, v6
	v_cmp_ne_u16_e32 vcc, 0, v10
	s_and_saveexec_b64 s[12:13], vcc
	s_cbranch_execz .LBB777_694
; %bb.689:
	s_movk_i32 s11, 0x80
	v_cmp_ne_u16_e32 vcc, s11, v10
	v_mov_b32_e32 v13, 0xffff8000
	s_and_saveexec_b64 s[14:15], vcc
	s_cbranch_execz .LBB777_693
; %bb.690:
	s_movk_i32 s11, 0x7f
	v_and_b32_e32 v11, 0x7f, v10
	v_cmp_ne_u32_e32 vcc, s11, v11
	v_mov_b32_e32 v13, 0x7f80
	s_and_saveexec_b64 s[16:17], vcc
	s_cbranch_execz .LBB777_692
; %bb.691:
	v_and_b32_e32 v15, 7, v10
	v_ffbh_u32_e32 v12, v15
	v_min_u32_e32 v17, 32, v12
	v_subrev_u32_e32 v12, 28, v17
	v_lshlrev_b64 v[12:13], v12, v[10:11]
	v_lshrrev_b32_e32 v16, 3, v11
	v_sub_u32_e32 v10, 29, v17
	v_and_b32_e32 v12, 7, v12
	v_cmp_gt_u32_e32 vcc, 8, v11
	v_cndmask_b32_e32 v10, v16, v10, vcc
	v_cndmask_b32_e32 v11, v15, v12, vcc
	v_lshlrev_b32_e32 v12, 16, v6
	v_bfrev_b32_e32 v13, 60
	v_lshlrev_b32_e32 v11, 20, v11
	v_and_b32_e32 v12, 0x80000000, v12
	v_lshl_add_u32 v10, v10, 23, v13
	v_or3_b32 v10, v12, v10, v11
	v_lshrrev_b32_e32 v13, 16, v10
.LBB777_692:
	s_or_b64 exec, exec, s[16:17]
.LBB777_693:
	s_or_b64 exec, exec, s[14:15]
.LBB777_694:
	s_or_b64 exec, exec, s[12:13]
	s_movk_i32 s11, 0xff
	v_and_b32_sdwa v12, v6, s11 dst_sel:DWORD dst_unused:UNUSED_PAD src0_sel:WORD_1 src1_sel:DWORD
	v_lshrrev_b32_e32 v10, 16, v6
	v_cmp_ne_u16_e32 vcc, 0, v12
	v_mov_b32_e32 v11, 0
	v_mov_b32_e32 v15, 0
	s_and_saveexec_b64 s[12:13], vcc
	s_cbranch_execz .LBB777_700
; %bb.695:
	s_movk_i32 s11, 0x80
	v_cmp_ne_u16_e32 vcc, s11, v12
	v_mov_b32_e32 v15, 0xffff8000
	s_and_saveexec_b64 s[14:15], vcc
	s_cbranch_execz .LBB777_699
; %bb.696:
	v_bfe_u32 v12, v6, 16, 7
	s_movk_i32 s11, 0x7f
	v_cmp_ne_u32_e32 vcc, s11, v12
	v_mov_b32_e32 v15, 0x7f80
	s_and_saveexec_b64 s[16:17], vcc
	s_cbranch_execz .LBB777_698
; %bb.697:
	v_and_b32_e32 v15, 7, v10
	v_ffbh_u32_e32 v16, v15
	v_min_u32_e32 v19, 32, v16
	v_subrev_u32_e32 v16, 28, v19
	v_lshlrev_b64 v[16:17], v16, v[10:11]
	v_and_b32_e32 v16, 7, v16
	v_cmp_gt_u32_e32 vcc, 8, v12
	v_lshrrev_b32_e32 v18, 3, v12
	v_sub_u32_e32 v10, 29, v19
	v_cndmask_b32_e32 v12, v15, v16, vcc
	v_mov_b32_e32 v15, 24
	v_cndmask_b32_e32 v10, v18, v10, vcc
	v_lshlrev_b32_sdwa v15, v15, v6 dst_sel:DWORD dst_unused:UNUSED_PAD src0_sel:DWORD src1_sel:WORD_1
	v_bfrev_b32_e32 v16, 60
	v_lshlrev_b32_e32 v12, 20, v12
	v_and_b32_e32 v15, 0x80000000, v15
	v_lshl_add_u32 v10, v10, 23, v16
	v_or3_b32 v10, v15, v10, v12
	v_lshrrev_b32_e32 v15, 16, v10
.LBB777_698:
	s_or_b64 exec, exec, s[16:17]
.LBB777_699:
	s_or_b64 exec, exec, s[14:15]
.LBB777_700:
	s_or_b64 exec, exec, s[12:13]
	s_mov_b32 s11, 0xffffff
	v_cmp_lt_u32_e32 vcc, s11, v6
	v_mov_b32_e32 v16, 0
	s_and_saveexec_b64 s[12:13], vcc
	s_cbranch_execz .LBB777_706
; %bb.701:
	v_lshrrev_b32_e32 v10, 24, v6
	s_movk_i32 s11, 0x80
	v_cmp_ne_u32_e32 vcc, s11, v10
	v_mov_b32_e32 v16, 0xffff8000
	s_and_saveexec_b64 s[14:15], vcc
	s_cbranch_execz .LBB777_705
; %bb.702:
	v_bfe_u32 v12, v6, 24, 7
	s_movk_i32 s11, 0x7f
	v_cmp_ne_u32_e32 vcc, s11, v12
	v_mov_b32_e32 v16, 0x7f80
	s_and_saveexec_b64 s[16:17], vcc
	s_cbranch_execz .LBB777_704
; %bb.703:
	v_and_b32_e32 v18, 7, v10
	v_ffbh_u32_e32 v16, v18
	v_min_u32_e32 v20, 32, v16
	v_subrev_u32_e32 v16, 28, v20
	v_lshlrev_b64 v[16:17], v16, v[10:11]
	v_lshrrev_b32_e32 v19, 3, v12
	v_sub_u32_e32 v17, 29, v20
	v_and_b32_e32 v16, 7, v16
	v_cmp_gt_u32_e32 vcc, 8, v12
	v_cndmask_b32_e32 v12, v19, v17, vcc
	v_cndmask_b32_e32 v16, v18, v16, vcc
	v_lshlrev_b32_e32 v10, 24, v10
	v_bfrev_b32_e32 v17, 60
	v_lshlrev_b32_e32 v16, 20, v16
	v_and_b32_e32 v10, 0x80000000, v10
	v_lshl_add_u32 v12, v12, 23, v17
	v_or3_b32 v10, v10, v12, v16
	v_lshrrev_b32_e32 v16, 16, v10
.LBB777_704:
	s_or_b64 exec, exec, s[16:17]
.LBB777_705:
	s_or_b64 exec, exec, s[14:15]
.LBB777_706:
	s_or_b64 exec, exec, s[12:13]
	v_mov_b32_e32 v17, 0
	v_mov_b32_e32 v10, v7
	v_cmp_ne_u16_sdwa s[14:15], v7, v17 src0_sel:BYTE_0 src1_sel:DWORD
	v_mov_b32_e32 v18, 0
	s_and_saveexec_b64 s[12:13], s[14:15]
	s_cbranch_execz .LBB777_712
; %bb.707:
	s_movk_i32 s11, 0x80
	v_cmp_ne_u16_sdwa s[16:17], v7, s11 src0_sel:BYTE_0 src1_sel:DWORD
	v_mov_b32_e32 v18, 0xffff8000
	s_and_saveexec_b64 s[14:15], s[16:17]
	s_cbranch_execz .LBB777_711
; %bb.708:
	s_movk_i32 s11, 0x7f
	v_and_b32_e32 v12, 0x7f, v7
	v_cmp_ne_u32_e32 vcc, s11, v12
	v_mov_b32_e32 v18, 0x7f80
	s_and_saveexec_b64 s[16:17], vcc
	s_cbranch_execz .LBB777_710
; %bb.709:
	v_and_b32_e32 v18, 7, v7
	v_ffbh_u32_e32 v18, v18
	v_min_u32_e32 v18, 32, v18
	v_lshrrev_b32_e32 v19, 3, v12
	v_subrev_u32_e32 v20, 28, v18
	v_sub_u32_e32 v18, 29, v18
	v_cmp_gt_u32_e32 vcc, 8, v12
	v_cndmask_b32_e32 v12, v19, v18, vcc
	v_cndmask_b32_e32 v18, 0, v20, vcc
	v_lshlrev_b64 v[18:19], v18, v[10:11]
	v_lshlrev_b32_e32 v11, 20, v18
	v_lshlrev_b32_e32 v18, 24, v10
	v_bfrev_b32_e32 v19, 60
	v_and_b32_e32 v11, 0x700000, v11
	v_and_b32_e32 v18, 0x80000000, v18
	v_lshl_add_u32 v12, v12, 23, v19
	v_or3_b32 v11, v18, v12, v11
	v_lshrrev_b32_e32 v18, 16, v11
.LBB777_710:
	s_or_b64 exec, exec, s[16:17]
.LBB777_711:
	s_or_b64 exec, exec, s[14:15]
.LBB777_712:
	s_or_b64 exec, exec, s[12:13]
	v_lshrrev_b16_e32 v12, 8, v10
	v_cmp_ne_u16_e32 vcc, 0, v12
	s_and_saveexec_b64 s[12:13], vcc
	s_cbranch_execz .LBB777_718
; %bb.713:
	s_movk_i32 s11, 0x80
	v_cmp_ne_u16_e32 vcc, s11, v12
	v_mov_b32_e32 v17, 0xffff8000
	s_and_saveexec_b64 s[14:15], vcc
	s_cbranch_execz .LBB777_717
; %bb.714:
	s_movk_i32 s11, 0x7f
	v_and_b32_e32 v11, 0x7f, v12
	v_cmp_ne_u32_e32 vcc, s11, v11
	v_mov_b32_e32 v17, 0x7f80
	s_and_saveexec_b64 s[16:17], vcc
	s_cbranch_execz .LBB777_716
; %bb.715:
	v_and_b32_e32 v17, 7, v12
	v_ffbh_u32_e32 v20, v17
	v_min_u32_e32 v22, 32, v20
	v_subrev_u32_e32 v20, 28, v22
	v_lshlrev_b64 v[20:21], v20, v[12:13]
	v_lshrrev_b32_e32 v19, 3, v11
	v_sub_u32_e32 v12, 29, v22
	v_and_b32_e32 v20, 7, v20
	v_cmp_gt_u32_e32 vcc, 8, v11
	v_cndmask_b32_e32 v11, v19, v12, vcc
	v_cndmask_b32_e32 v12, v17, v20, vcc
	v_lshlrev_b32_e32 v10, 16, v10
	v_bfrev_b32_e32 v17, 60
	v_lshlrev_b32_e32 v12, 20, v12
	v_and_b32_e32 v10, 0x80000000, v10
	v_lshl_add_u32 v11, v11, 23, v17
	v_or3_b32 v10, v10, v11, v12
	v_lshrrev_b32_e32 v17, 16, v10
.LBB777_716:
	s_or_b64 exec, exec, s[16:17]
.LBB777_717:
	s_or_b64 exec, exec, s[14:15]
.LBB777_718:
	s_or_b64 exec, exec, s[12:13]
	s_movk_i32 s11, 0xff
	v_and_b32_sdwa v19, v7, s11 dst_sel:DWORD dst_unused:UNUSED_PAD src0_sel:WORD_1 src1_sel:DWORD
	v_lshrrev_b32_e32 v10, 16, v7
	v_cmp_ne_u16_e32 vcc, 0, v19
	v_mov_b32_e32 v11, 0
	v_mov_b32_e32 v12, 0
	s_and_saveexec_b64 s[12:13], vcc
	s_cbranch_execz .LBB777_724
; %bb.719:
	s_movk_i32 s11, 0x80
	v_cmp_ne_u16_e32 vcc, s11, v19
	v_mov_b32_e32 v12, 0xffff8000
	s_and_saveexec_b64 s[14:15], vcc
	s_cbranch_execz .LBB777_723
; %bb.720:
	v_bfe_u32 v19, v7, 16, 7
	s_movk_i32 s11, 0x7f
	v_cmp_ne_u32_e32 vcc, s11, v19
	v_mov_b32_e32 v12, 0x7f80
	s_and_saveexec_b64 s[16:17], vcc
	s_cbranch_execz .LBB777_722
; %bb.721:
	v_and_b32_e32 v12, 7, v10
	v_ffbh_u32_e32 v20, v12
	v_min_u32_e32 v23, 32, v20
	v_subrev_u32_e32 v20, 28, v23
	v_lshlrev_b64 v[20:21], v20, v[10:11]
	v_lshrrev_b32_e32 v22, 3, v19
	v_sub_u32_e32 v10, 29, v23
	v_and_b32_e32 v20, 7, v20
	v_cmp_gt_u32_e32 vcc, 8, v19
	v_mov_b32_e32 v19, 24
	v_cndmask_b32_e32 v10, v22, v10, vcc
	v_cndmask_b32_e32 v12, v12, v20, vcc
	v_lshlrev_b32_sdwa v19, v19, v7 dst_sel:DWORD dst_unused:UNUSED_PAD src0_sel:DWORD src1_sel:WORD_1
	v_bfrev_b32_e32 v20, 60
	v_lshlrev_b32_e32 v12, 20, v12
	v_and_b32_e32 v19, 0x80000000, v19
	v_lshl_add_u32 v10, v10, 23, v20
	v_or3_b32 v10, v19, v10, v12
	v_lshrrev_b32_e32 v12, 16, v10
.LBB777_722:
	s_or_b64 exec, exec, s[16:17]
.LBB777_723:
	s_or_b64 exec, exec, s[14:15]
.LBB777_724:
	s_or_b64 exec, exec, s[12:13]
	s_mov_b32 s12, -1
	s_mov_b32 s13, 0xffffff
	v_cmp_lt_u64_e32 vcc, s[12:13], v[6:7]
	s_and_saveexec_b64 s[12:13], vcc
	s_cbranch_execz .LBB777_730
; %bb.725:
	v_lshrrev_b32_e32 v6, 24, v7
	s_movk_i32 s11, 0x80
	v_cmp_ne_u32_e32 vcc, s11, v6
	v_mov_b32_e32 v11, 0xffff8000
	s_and_saveexec_b64 s[14:15], vcc
	s_cbranch_execz .LBB777_729
; %bb.726:
	v_bfe_u32 v7, v7, 24, 7
	s_movk_i32 s11, 0x7f
	v_cmp_ne_u32_e32 vcc, s11, v7
	v_mov_b32_e32 v11, 0x7f80
	s_and_saveexec_b64 s[16:17], vcc
	s_cbranch_execz .LBB777_728
; %bb.727:
	v_and_b32_e32 v19, 7, v6
	v_ffbh_u32_e32 v10, v19
	v_min_u32_e32 v21, 32, v10
	v_subrev_u32_e32 v10, 28, v21
	v_lshlrev_b64 v[10:11], v10, v[6:7]
	v_lshrrev_b32_e32 v20, 3, v7
	v_sub_u32_e32 v11, 29, v21
	v_and_b32_e32 v10, 7, v10
	v_cmp_gt_u32_e32 vcc, 8, v7
	v_cndmask_b32_e32 v7, v20, v11, vcc
	v_cndmask_b32_e32 v10, v19, v10, vcc
	v_lshlrev_b32_e32 v6, 24, v6
	v_bfrev_b32_e32 v11, 60
	v_lshlrev_b32_e32 v10, 20, v10
	v_and_b32_e32 v6, 0x80000000, v6
	v_lshl_add_u32 v7, v7, 23, v11
	v_or3_b32 v6, v6, v7, v10
	v_lshrrev_b32_e32 v11, 16, v6
.LBB777_728:
	s_or_b64 exec, exec, s[16:17]
.LBB777_729:
	s_or_b64 exec, exec, s[14:15]
.LBB777_730:
	s_or_b64 exec, exec, s[12:13]
	s_mov_b32 s11, 0x5040100
	v_perm_b32 v7, v16, v15, s11
	v_perm_b32 v6, v13, v14, s11
	;; [unrolled: 1-line block ×4, first 2 shown]
	v_mfma_f32_4x4x4bf16_1k a[0:3], v[2:3], v[6:7], a[0:3] cbsz:4 abid:14
	v_mov_b32_e32 v12, 0
	v_mfma_f32_4x4x4bf16_1k a[0:3], v[4:5], v[10:11], a[0:3] cbsz:4 abid:14
	v_mov_b32_e32 v11, 0
	v_cmp_ne_u16_sdwa s[14:15], v8, v11 src0_sel:BYTE_0 src1_sel:DWORD
	s_and_saveexec_b64 s[12:13], s[14:15]
	s_cbranch_execz .LBB777_736
; %bb.731:
	s_movk_i32 s11, 0x80
	v_cmp_ne_u16_sdwa s[16:17], v8, s11 src0_sel:BYTE_0 src1_sel:DWORD
	v_mov_b32_e32 v12, 0xffff8000
	s_and_saveexec_b64 s[14:15], s[16:17]
	s_cbranch_execz .LBB777_735
; %bb.732:
	s_movk_i32 s11, 0x7f
	v_and_b32_e32 v6, 0x7f, v8
	v_cmp_ne_u32_e32 vcc, s11, v6
	v_mov_b32_e32 v12, 0x7f80
	s_and_saveexec_b64 s[16:17], vcc
	s_cbranch_execz .LBB777_734
; %bb.733:
	v_and_b32_e32 v7, 7, v8
	v_ffbh_u32_e32 v7, v7
	v_min_u32_e32 v7, 32, v7
	v_subrev_u32_e32 v12, 28, v7
	v_cmp_gt_u32_e32 vcc, 8, v6
	v_lshrrev_b32_e32 v10, 3, v6
	v_sub_u32_e32 v7, 29, v7
	v_cndmask_b32_e32 v6, 0, v12, vcc
	v_cndmask_b32_e32 v10, v10, v7, vcc
	v_lshlrev_b64 v[6:7], v6, v[8:9]
	v_lshlrev_b32_e32 v6, 20, v6
	v_lshlrev_b32_e32 v7, 24, v8
	v_bfrev_b32_e32 v12, 60
	v_and_b32_e32 v6, 0x700000, v6
	v_and_b32_e32 v7, 0x80000000, v7
	v_lshl_add_u32 v10, v10, 23, v12
	v_or3_b32 v6, v7, v10, v6
	v_lshrrev_b32_e32 v12, 16, v6
.LBB777_734:
	s_or_b64 exec, exec, s[16:17]
.LBB777_735:
	s_or_b64 exec, exec, s[14:15]
.LBB777_736:
	s_or_b64 exec, exec, s[12:13]
	v_lshrrev_b16_e32 v6, 8, v8
	v_cmp_ne_u16_e32 vcc, 0, v6
	s_and_saveexec_b64 s[12:13], vcc
	s_cbranch_execz .LBB777_742
; %bb.737:
	s_movk_i32 s11, 0x80
	v_cmp_ne_u16_e32 vcc, s11, v6
	v_mov_b32_e32 v11, 0xffff8000
	s_and_saveexec_b64 s[14:15], vcc
	s_cbranch_execz .LBB777_741
; %bb.738:
	s_movk_i32 s11, 0x7f
	v_and_b32_e32 v7, 0x7f, v6
	v_cmp_ne_u32_e32 vcc, s11, v7
	v_mov_b32_e32 v11, 0x7f80
	s_and_saveexec_b64 s[16:17], vcc
	s_cbranch_execz .LBB777_740
; %bb.739:
	v_and_b32_e32 v13, 7, v6
	v_ffbh_u32_e32 v10, v13
	v_min_u32_e32 v15, 32, v10
	v_subrev_u32_e32 v10, 28, v15
	v_lshlrev_b64 v[10:11], v10, v[6:7]
	v_lshrrev_b32_e32 v14, 3, v7
	v_sub_u32_e32 v6, 29, v15
	v_and_b32_e32 v10, 7, v10
	v_cmp_gt_u32_e32 vcc, 8, v7
	v_cndmask_b32_e32 v6, v14, v6, vcc
	v_cndmask_b32_e32 v7, v13, v10, vcc
	v_lshlrev_b32_e32 v10, 16, v8
	v_bfrev_b32_e32 v11, 60
	v_lshlrev_b32_e32 v7, 20, v7
	v_and_b32_e32 v10, 0x80000000, v10
	v_lshl_add_u32 v6, v6, 23, v11
	v_or3_b32 v6, v10, v6, v7
	v_lshrrev_b32_e32 v11, 16, v6
.LBB777_740:
	s_or_b64 exec, exec, s[16:17]
.LBB777_741:
	s_or_b64 exec, exec, s[14:15]
.LBB777_742:
	s_or_b64 exec, exec, s[12:13]
	s_movk_i32 s11, 0xff
	v_and_b32_sdwa v10, v8, s11 dst_sel:DWORD dst_unused:UNUSED_PAD src0_sel:WORD_1 src1_sel:DWORD
	v_lshrrev_b32_e32 v6, 16, v8
	v_cmp_ne_u16_e32 vcc, 0, v10
	v_mov_b32_e32 v7, 0
	v_mov_b32_e32 v13, 0
	s_and_saveexec_b64 s[12:13], vcc
	s_cbranch_execz .LBB777_748
; %bb.743:
	s_movk_i32 s11, 0x80
	v_cmp_ne_u16_e32 vcc, s11, v10
	v_mov_b32_e32 v13, 0xffff8000
	s_and_saveexec_b64 s[14:15], vcc
	s_cbranch_execz .LBB777_747
; %bb.744:
	v_bfe_u32 v10, v8, 16, 7
	s_movk_i32 s11, 0x7f
	v_cmp_ne_u32_e32 vcc, s11, v10
	v_mov_b32_e32 v13, 0x7f80
	s_and_saveexec_b64 s[16:17], vcc
	s_cbranch_execz .LBB777_746
; %bb.745:
	v_and_b32_e32 v13, 7, v6
	v_ffbh_u32_e32 v14, v13
	v_min_u32_e32 v17, 32, v14
	v_subrev_u32_e32 v14, 28, v17
	v_lshlrev_b64 v[14:15], v14, v[6:7]
	v_and_b32_e32 v14, 7, v14
	v_cmp_gt_u32_e32 vcc, 8, v10
	v_lshrrev_b32_e32 v16, 3, v10
	v_sub_u32_e32 v6, 29, v17
	v_cndmask_b32_e32 v10, v13, v14, vcc
	v_mov_b32_e32 v13, 24
	v_cndmask_b32_e32 v6, v16, v6, vcc
	v_lshlrev_b32_sdwa v13, v13, v8 dst_sel:DWORD dst_unused:UNUSED_PAD src0_sel:DWORD src1_sel:WORD_1
	v_bfrev_b32_e32 v14, 60
	v_lshlrev_b32_e32 v10, 20, v10
	v_and_b32_e32 v13, 0x80000000, v13
	v_lshl_add_u32 v6, v6, 23, v14
	v_or3_b32 v6, v13, v6, v10
	v_lshrrev_b32_e32 v13, 16, v6
.LBB777_746:
	s_or_b64 exec, exec, s[16:17]
.LBB777_747:
	s_or_b64 exec, exec, s[14:15]
.LBB777_748:
	s_or_b64 exec, exec, s[12:13]
	s_mov_b32 s11, 0xffffff
	v_cmp_lt_u32_e32 vcc, s11, v8
	v_mov_b32_e32 v14, 0
	s_and_saveexec_b64 s[12:13], vcc
	s_cbranch_execz .LBB777_754
; %bb.749:
	v_lshrrev_b32_e32 v6, 24, v8
	s_movk_i32 s11, 0x80
	v_cmp_ne_u32_e32 vcc, s11, v6
	v_mov_b32_e32 v14, 0xffff8000
	s_and_saveexec_b64 s[14:15], vcc
	s_cbranch_execz .LBB777_753
; %bb.750:
	v_bfe_u32 v10, v8, 24, 7
	s_movk_i32 s11, 0x7f
	v_cmp_ne_u32_e32 vcc, s11, v10
	v_mov_b32_e32 v14, 0x7f80
	s_and_saveexec_b64 s[16:17], vcc
	s_cbranch_execz .LBB777_752
; %bb.751:
	v_and_b32_e32 v16, 7, v6
	v_ffbh_u32_e32 v14, v16
	v_min_u32_e32 v18, 32, v14
	v_subrev_u32_e32 v14, 28, v18
	v_lshlrev_b64 v[14:15], v14, v[6:7]
	v_lshrrev_b32_e32 v17, 3, v10
	v_sub_u32_e32 v15, 29, v18
	v_and_b32_e32 v14, 7, v14
	v_cmp_gt_u32_e32 vcc, 8, v10
	v_cndmask_b32_e32 v10, v17, v15, vcc
	v_cndmask_b32_e32 v14, v16, v14, vcc
	v_lshlrev_b32_e32 v6, 24, v6
	v_bfrev_b32_e32 v15, 60
	v_lshlrev_b32_e32 v14, 20, v14
	v_and_b32_e32 v6, 0x80000000, v6
	v_lshl_add_u32 v10, v10, 23, v15
	v_or3_b32 v6, v6, v10, v14
	v_lshrrev_b32_e32 v14, 16, v6
.LBB777_752:
	s_or_b64 exec, exec, s[16:17]
.LBB777_753:
	s_or_b64 exec, exec, s[14:15]
.LBB777_754:
	s_or_b64 exec, exec, s[12:13]
	v_mov_b32_e32 v15, 0
	v_mov_b32_e32 v6, v9
	v_cmp_ne_u16_sdwa s[14:15], v9, v15 src0_sel:BYTE_0 src1_sel:DWORD
	v_mov_b32_e32 v16, 0
	s_and_saveexec_b64 s[12:13], s[14:15]
	s_cbranch_execz .LBB777_760
; %bb.755:
	s_movk_i32 s11, 0x80
	v_cmp_ne_u16_sdwa s[16:17], v9, s11 src0_sel:BYTE_0 src1_sel:DWORD
	v_mov_b32_e32 v16, 0xffff8000
	s_and_saveexec_b64 s[14:15], s[16:17]
	s_cbranch_execz .LBB777_759
; %bb.756:
	s_movk_i32 s11, 0x7f
	v_and_b32_e32 v10, 0x7f, v9
	v_cmp_ne_u32_e32 vcc, s11, v10
	v_mov_b32_e32 v16, 0x7f80
	s_and_saveexec_b64 s[16:17], vcc
	s_cbranch_execz .LBB777_758
; %bb.757:
	v_and_b32_e32 v16, 7, v9
	v_ffbh_u32_e32 v16, v16
	v_min_u32_e32 v16, 32, v16
	v_lshrrev_b32_e32 v17, 3, v10
	v_subrev_u32_e32 v18, 28, v16
	v_sub_u32_e32 v16, 29, v16
	v_cmp_gt_u32_e32 vcc, 8, v10
	v_cndmask_b32_e32 v10, v17, v16, vcc
	v_cndmask_b32_e32 v16, 0, v18, vcc
	v_lshlrev_b64 v[16:17], v16, v[6:7]
	v_lshlrev_b32_e32 v7, 20, v16
	v_lshlrev_b32_e32 v16, 24, v6
	v_bfrev_b32_e32 v17, 60
	v_and_b32_e32 v7, 0x700000, v7
	v_and_b32_e32 v16, 0x80000000, v16
	v_lshl_add_u32 v10, v10, 23, v17
	v_or3_b32 v7, v16, v10, v7
	v_lshrrev_b32_e32 v16, 16, v7
.LBB777_758:
	s_or_b64 exec, exec, s[16:17]
.LBB777_759:
	s_or_b64 exec, exec, s[14:15]
.LBB777_760:
	s_or_b64 exec, exec, s[12:13]
	v_lshrrev_b16_e32 v10, 8, v6
	v_cmp_ne_u16_e32 vcc, 0, v10
	s_and_saveexec_b64 s[12:13], vcc
	s_cbranch_execz .LBB777_766
; %bb.761:
	s_movk_i32 s11, 0x80
	v_cmp_ne_u16_e32 vcc, s11, v10
	v_mov_b32_e32 v15, 0xffff8000
	s_and_saveexec_b64 s[14:15], vcc
	s_cbranch_execz .LBB777_765
; %bb.762:
	s_movk_i32 s11, 0x7f
	v_and_b32_e32 v7, 0x7f, v10
	v_cmp_ne_u32_e32 vcc, s11, v7
	v_mov_b32_e32 v15, 0x7f80
	s_and_saveexec_b64 s[16:17], vcc
	s_cbranch_execz .LBB777_764
; %bb.763:
	v_and_b32_e32 v15, 7, v10
	v_ffbh_u32_e32 v18, v15
	v_min_u32_e32 v20, 32, v18
	v_subrev_u32_e32 v18, 28, v20
	v_lshlrev_b64 v[18:19], v18, v[10:11]
	v_lshrrev_b32_e32 v17, 3, v7
	v_sub_u32_e32 v10, 29, v20
	v_and_b32_e32 v18, 7, v18
	v_cmp_gt_u32_e32 vcc, 8, v7
	v_cndmask_b32_e32 v7, v17, v10, vcc
	v_cndmask_b32_e32 v10, v15, v18, vcc
	v_lshlrev_b32_e32 v6, 16, v6
	v_bfrev_b32_e32 v15, 60
	v_lshlrev_b32_e32 v10, 20, v10
	v_and_b32_e32 v6, 0x80000000, v6
	v_lshl_add_u32 v7, v7, 23, v15
	v_or3_b32 v6, v6, v7, v10
	v_lshrrev_b32_e32 v15, 16, v6
.LBB777_764:
	s_or_b64 exec, exec, s[16:17]
.LBB777_765:
	s_or_b64 exec, exec, s[14:15]
.LBB777_766:
	s_or_b64 exec, exec, s[12:13]
	s_movk_i32 s11, 0xff
	v_and_b32_sdwa v17, v9, s11 dst_sel:DWORD dst_unused:UNUSED_PAD src0_sel:WORD_1 src1_sel:DWORD
	v_lshrrev_b32_e32 v6, 16, v9
	v_cmp_ne_u16_e32 vcc, 0, v17
	v_mov_b32_e32 v7, 0
	v_mov_b32_e32 v10, 0
	s_and_saveexec_b64 s[12:13], vcc
	s_cbranch_execz .LBB777_772
; %bb.767:
	s_movk_i32 s11, 0x80
	v_cmp_ne_u16_e32 vcc, s11, v17
	v_mov_b32_e32 v10, 0xffff8000
	s_and_saveexec_b64 s[14:15], vcc
	s_cbranch_execz .LBB777_771
; %bb.768:
	v_bfe_u32 v17, v9, 16, 7
	s_movk_i32 s11, 0x7f
	v_cmp_ne_u32_e32 vcc, s11, v17
	v_mov_b32_e32 v10, 0x7f80
	s_and_saveexec_b64 s[16:17], vcc
	s_cbranch_execz .LBB777_770
; %bb.769:
	v_and_b32_e32 v10, 7, v6
	v_ffbh_u32_e32 v18, v10
	v_min_u32_e32 v21, 32, v18
	v_subrev_u32_e32 v18, 28, v21
	v_lshlrev_b64 v[18:19], v18, v[6:7]
	v_lshrrev_b32_e32 v20, 3, v17
	v_sub_u32_e32 v6, 29, v21
	v_and_b32_e32 v18, 7, v18
	v_cmp_gt_u32_e32 vcc, 8, v17
	v_mov_b32_e32 v17, 24
	v_cndmask_b32_e32 v6, v20, v6, vcc
	v_cndmask_b32_e32 v10, v10, v18, vcc
	v_lshlrev_b32_sdwa v17, v17, v9 dst_sel:DWORD dst_unused:UNUSED_PAD src0_sel:DWORD src1_sel:WORD_1
	v_bfrev_b32_e32 v18, 60
	v_lshlrev_b32_e32 v10, 20, v10
	v_and_b32_e32 v17, 0x80000000, v17
	v_lshl_add_u32 v6, v6, 23, v18
	v_or3_b32 v6, v17, v6, v10
	v_lshrrev_b32_e32 v10, 16, v6
.LBB777_770:
	s_or_b64 exec, exec, s[16:17]
.LBB777_771:
	s_or_b64 exec, exec, s[14:15]
.LBB777_772:
	s_or_b64 exec, exec, s[12:13]
	s_mov_b32 s12, -1
	s_mov_b32 s13, 0xffffff
	v_cmp_lt_u64_e32 vcc, s[12:13], v[8:9]
	s_and_saveexec_b64 s[12:13], vcc
	s_cbranch_execz .LBB777_778
; %bb.773:
	v_lshrrev_b32_e32 v6, 24, v9
	s_movk_i32 s11, 0x80
	v_cmp_ne_u32_e32 vcc, s11, v6
	v_mov_b32_e32 v7, 0xffff8000
	s_and_saveexec_b64 s[14:15], vcc
	s_cbranch_execz .LBB777_777
; %bb.774:
	v_bfe_u32 v8, v9, 24, 7
	s_movk_i32 s11, 0x7f
	v_cmp_ne_u32_e32 vcc, s11, v8
	v_mov_b32_e32 v7, 0x7f80
	s_and_saveexec_b64 s[16:17], vcc
	s_cbranch_execz .LBB777_776
; %bb.775:
	v_and_b32_e32 v7, 7, v6
	v_ffbh_u32_e32 v17, v7
	v_min_u32_e32 v17, 32, v17
	v_subrev_u32_e32 v18, 28, v17
	v_lshlrev_b64 v[18:19], v18, v[6:7]
	v_lshrrev_b32_e32 v9, 3, v8
	v_sub_u32_e32 v17, 29, v17
	v_and_b32_e32 v18, 7, v18
	v_cmp_gt_u32_e32 vcc, 8, v8
	v_cndmask_b32_e32 v8, v9, v17, vcc
	v_cndmask_b32_e32 v7, v7, v18, vcc
	v_lshlrev_b32_e32 v6, 24, v6
	v_bfrev_b32_e32 v9, 60
	v_lshlrev_b32_e32 v7, 20, v7
	v_and_b32_e32 v6, 0x80000000, v6
	v_lshl_add_u32 v8, v8, 23, v9
	v_or3_b32 v6, v6, v8, v7
	v_lshrrev_b32_e32 v7, 16, v6
.LBB777_776:
	s_or_b64 exec, exec, s[16:17]
.LBB777_777:
	s_or_b64 exec, exec, s[14:15]
.LBB777_778:
	s_or_b64 exec, exec, s[12:13]
	s_load_dword s4, s[4:5], 0x1c
	s_mov_b32 s5, 0x5040100
	v_perm_b32 v9, v14, v13, s5
	v_perm_b32 v8, v11, v12, s5
	;; [unrolled: 1-line block ×4, first 2 shown]
	v_mfma_f32_4x4x4bf16_1k a[0:3], v[2:3], v[8:9], a[0:3] cbsz:4 abid:15
	s_load_dword s5, s[20:21], 0x0
	v_mfma_f32_4x4x4bf16_1k a[0:3], v[4:5], v[6:7], a[0:3] cbsz:4 abid:15
	s_waitcnt lgkmcnt(0)
	v_mov_b32_e32 v2, s4
	v_cmp_eq_u32_e32 vcc, 0, v43
	v_mul_f32_e32 v4, s5, v2
	s_nop 0
	v_accvgpr_read_b32 v7, a1
	v_accvgpr_read_b32 v6, a0
	v_pk_mul_f32 v[6:7], v[6:7], v[4:5] op_sel_hi:[1,0]
	v_accvgpr_read_b32 v3, a3
	v_accvgpr_read_b32 v2, a2
	v_pk_mul_f32 v[2:3], v[2:3], v[4:5] op_sel_hi:[1,0]
	v_cndmask_b32_e64 v4, 0, 1.0, vcc
	v_cmp_eq_u32_e32 vcc, 1, v43
	s_nop 0
	v_mfma_f32_4x4x1f32 a[0:3], v6, v4, 0
	v_cndmask_b32_e64 v4, 0, 1.0, vcc
	v_cmp_eq_u32_e32 vcc, 2, v43
	v_mov_b32_e32 v6, 0xff7fffff
	v_mfma_f32_4x4x1f32 a[0:3], v7, v4, a[0:3]
	v_cndmask_b32_e64 v4, 0, 1.0, vcc
	v_cmp_eq_u32_e32 vcc, 3, v43
	s_nop 0
	v_mfma_f32_4x4x1f32 a[0:3], v2, v4, a[0:3]
	v_cndmask_b32_e64 v2, 0, 1.0, vcc
	s_nop 1
	v_mfma_f32_4x4x1f32 a[0:3], v3, v2, a[0:3]
	v_and_b32_e32 v2, -4, v44
	v_cmp_gt_i32_e32 vcc, s9, v2
	v_lshlrev_b32_e32 v3, 2, v0
	v_and_or_b32 v3, v3, 48, v43
	v_lshlrev_b32_e32 v10, 2, v3
	v_accvgpr_read_b32 v4, a0
	v_max_f32_e32 v5, v4, v4
	v_max_f32_e32 v5, 0xff7fffff, v5
	v_accvgpr_read_b32 v7, a1
	v_cndmask_b32_e32 v5, v6, v5, vcc
	v_or_b32_e32 v6, 1, v2
	v_max_f32_e32 v8, v7, v7
	v_max_f32_e32 v8, v5, v8
	v_cmp_gt_i32_e64 s[4:5], s9, v6
	v_cndmask_b32_e64 v5, v5, v8, s[4:5]
	v_accvgpr_read_b32 v8, a2
	v_or_b32_e32 v2, 2, v2
	v_max_f32_e32 v6, v8, v8
	v_max_f32_e32 v6, v5, v6
	v_cmp_gt_i32_e64 s[12:13], s9, v2
	v_accvgpr_read_b32 v9, a3
	v_cndmask_b32_e64 v2, v5, v6, s[12:13]
	v_or_b32_e32 v5, 3, v44
	v_max_f32_e32 v6, v9, v9
	v_max_f32_e32 v6, v2, v6
	v_cmp_gt_i32_e64 s[14:15], s9, v5
	v_cndmask_b32_e64 v2, v2, v6, s[14:15]
	;;#ASMSTART
	v_nop
 v_nop
 v_max_f32_dpp v2, v2, v2 row_ror:4
	;;#ASMEND
	;;#ASMSTART
	v_nop
 v_nop
 v_max_f32_dpp v2, v2, v2 row_ror:8
	;;#ASMEND
	ds_bpermute_b32 v2, v10, v2
	s_waitcnt lgkmcnt(0)
	;;#ASMSTART
	v_nop
 v_nop
 v_max_f32_dpp v2, v2, v2 row_ror:4
	;;#ASMEND
	;;#ASMSTART
	v_nop
 v_nop
 v_max_f32_dpp v6, v2, v2 row_ror:8
	;;#ASMEND
	v_sub_f32_e32 v2, v4, v6
	v_mul_f32_e32 v2, 0x3fb8aa3b, v2
	v_sub_f32_e32 v3, v7, v6
	v_exp_f32_e32 v2, v2
	v_mul_f32_e32 v3, 0x3fb8aa3b, v3
	v_sub_f32_e32 v5, v8, v6
	v_exp_f32_e32 v3, v3
	;; [unrolled: 3-line block ×3, first 2 shown]
	v_mul_f32_e32 v7, 0x3fb8aa3b, v7
	v_exp_f32_e32 v7, v7
	v_cndmask_b32_e32 v2, 0, v2, vcc
	v_add_f32_e32 v4, 0, v2
	v_cndmask_b32_e64 v3, 0, v3, s[4:5]
	v_add_f32_e32 v8, v4, v3
	v_cndmask_b32_e64 v4, 0, v5, s[12:13]
	;; [unrolled: 2-line block ×3, first 2 shown]
	v_add_f32_e32 v7, v8, v5
	;;#ASMSTART
	v_nop
 v_nop
 v_add_f32_dpp v7, v7, v7 row_ror:4
	;;#ASMEND
	;;#ASMSTART
	v_nop
 v_nop
 v_add_f32_dpp v7, v7, v7 row_ror:8
	;;#ASMEND
	ds_bpermute_b32 v7, v10, v7
	s_waitcnt lgkmcnt(0)
	;;#ASMSTART
	v_nop
 v_nop
 v_add_f32_dpp v7, v7, v7 row_ror:4
	;;#ASMEND
	v_cmp_gt_u32_e32 vcc, 4, v1
	;;#ASMSTART
	v_nop
 v_nop
 v_add_f32_dpp v7, v7, v7 row_ror:8
	;;#ASMEND
	s_and_saveexec_b64 s[4:5], vcc
	s_cbranch_execz .LBB777_780
; %bb.779:
	v_mul_u32_u24_e32 v8, 20, v42
	v_lshl_add_u32 v8, v43, 2, v8
	v_add_u32_e32 v8, 0x1400, v8
	ds_write2_b32 v8, v6, v7 offset1:20
.LBB777_780:
	s_or_b64 exec, exec, s[4:5]
.LBB777_781:
	s_or_b64 exec, exec, s[36:37]
	v_lshlrev_b32_e32 v7, 2, v43
	v_add_u32_e32 v7, 0x1400, v7
	s_waitcnt lgkmcnt(0)
	s_barrier
	s_load_dword s4, s[34:35], 0x8
	ds_read2_b32 v[10:11], v7 offset1:5
	ds_read2_b32 v[12:13], v7 offset0:10 offset1:15
	s_mov_b32 s12, 0xff7fffff
	s_mul_i32 s5, s8, s33
	ds_read2_b32 v[14:15], v7 offset0:20 offset1:25
	s_waitcnt lgkmcnt(0)
	v_max3_f32 v8, v10, s12, v11
	v_max3_f32 v8, v8, v12, v13
	v_sub_f32_e32 v9, v10, v8
	v_sub_f32_e32 v10, v11, v8
	v_mul_f32_e32 v9, 0x3fb8aa3b, v9
	v_mul_f32_e32 v10, 0x3fb8aa3b, v10
	s_mul_i32 s5, s5, s4
	v_exp_f32_e32 v9, v9
	v_exp_f32_e32 v16, v10
	ds_read2_b32 v[10:11], v7 offset0:30 offset1:35
	v_sub_f32_e32 v7, v12, v8
	s_lshl_b32 s4, s5, 2
	s_mov_b32 s5, 0
	v_mul_f32_e32 v7, 0x3fb8aa3b, v7
	v_sub_f32_e32 v12, v13, v8
	s_lshl_b32 s20, s10, 2
	s_lshl_b64 s[8:9], s[4:5], 2
	v_exp_f32_e32 v7, v7
	v_mul_f32_e32 v12, 0x3fb8aa3b, v12
	s_add_u32 s10, s24, s8
	v_exp_f32_e32 v12, v12
	s_addc_u32 s11, s25, s9
	v_fma_f32 v9, v9, v14, 0
	s_mov_b32 s29, s5
	s_add_u32 s12, s26, s8
	v_fmac_f32_e32 v9, v16, v15
	s_addc_u32 s13, s27, s9
	s_lshl_b64 s[8:9], s[28:29], 2
	s_waitcnt lgkmcnt(0)
	v_fmac_f32_e32 v9, v7, v10
	v_or_b32_e32 v7, s20, v43
	s_add_u32 s12, s12, s8
	v_fmac_f32_e32 v9, v12, v11
	v_mul_lo_u32 v10, s33, v7
	v_mov_b32_e32 v11, 0
	s_addc_u32 s13, s13, s9
	v_lshlrev_b64 v[10:11], 2, v[10:11]
	s_add_u32 s8, s10, s8
	v_mov_b32_e32 v7, s13
	v_add_co_u32_e32 v12, vcc, s12, v10
	s_addc_u32 s9, s11, s9
	v_addc_co_u32_e32 v13, vcc, v7, v11, vcc
	v_mov_b32_e32 v7, s9
	v_add_co_u32_e32 v10, vcc, s8, v10
	v_addc_co_u32_e32 v11, vcc, v7, v11, vcc
	v_lshlrev_b32_e32 v7, 3, v42
	global_store_dword v[12:13], v8, off
	global_store_dword v[10:11], v9, off
	s_and_saveexec_b64 s[8:9], s[6:7]
	s_xor_b64 s[6:7], exec, s[8:9]
	s_cbranch_execz .LBB777_783
; %bb.782:
	s_mov_b32 s8, s5
	s_mov_b32 s9, s5
	v_mad_u32_u24 v4, v1, 40, v7
	v_pk_mov_b32 v[2:3], s[8:9], s[8:9] op_sel:[0,1]
	ds_write2st64_b64 v4, v[2:3], v[2:3] offset1:5
                                        ; implicit-def: $vgpr7
                                        ; implicit-def: $vgpr9
                                        ; implicit-def: $vgpr6
                                        ; implicit-def: $vgpr8
                                        ; implicit-def: $vgpr4
                                        ; implicit-def: $vgpr2
.LBB777_783:
	s_andn2_saveexec_b64 s[6:7], s[6:7]
	s_cbranch_execz .LBB777_1171
; %bb.784:
	v_add_f32_e32 v9, 0x358637bd, v9
	v_div_scale_f32 v10, s[8:9], v9, v9, 1.0
	v_rcp_f32_e32 v11, v10
	v_div_scale_f32 v12, vcc, 1.0, v9, 1.0
	v_sub_f32_e32 v6, v6, v8
	v_fma_f32 v13, -v10, v11, 1.0
	v_fmac_f32_e32 v11, v13, v11
	v_mul_f32_e32 v13, v12, v11
	v_fma_f32 v14, -v10, v13, v12
	v_mul_f32_e32 v6, 0x3fb8aa3b, v6
	v_fmac_f32_e32 v13, v14, v11
	v_exp_f32_e32 v6, v6
	v_fma_f32 v10, -v10, v13, v12
	v_div_fmas_f32 v8, v10, v11, v13
	v_div_fixup_f32 v8, v8, v9, 1.0
	v_mul_f32_e32 v6, v6, v8
	v_pk_mul_f32 v[2:3], v[2:3], v[6:7] op_sel_hi:[1,0]
	s_load_dword s8, s[22:23], 0x0
	v_pk_mul_f32 v[4:5], v[4:5], v[6:7] op_sel_hi:[1,0]
	v_bfe_u32 v6, v3, 16, 1
	v_bfe_u32 v8, v2, 16, 1
	s_movk_i32 s5, 0x7fff
	v_add3_u32 v2, v2, v8, s5
	v_add3_u32 v3, v3, v6, s5
	s_mov_b32 s21, 0x7060302
	v_perm_b32 v2, v3, v2, s21
	v_bfe_u32 v3, v5, 16, 1
	v_bfe_u32 v6, v4, 16, 1
	v_add3_u32 v4, v4, v6, s5
	v_add3_u32 v3, v5, v3, s5
	v_mov_b32_e32 v11, 0
	v_perm_b32 v3, v3, v4, s21
	v_add_u32_e32 v5, 64, v11
	s_waitcnt lgkmcnt(0)
	s_mov_b32 s9, s8
	s_mov_b32 s10, s8
	;; [unrolled: 1-line block ×4, first 2 shown]
	s_mov_b64 s[12:13], -1
	s_movk_i32 s22, 0x80
	s_movk_i32 s24, 0x7f
	s_mov_b32 s25, 0xffffff
	s_mov_b32 s26, 0x5040100
	v_mov_b32_e32 v9, 0
	v_bfrev_b32_e32 v10, 60
	s_branch .LBB777_788
.LBB777_785:                            ;   in Loop: Header=BB777_788 Depth=1
	s_or_b64 exec, exec, s[18:19]
.LBB777_786:                            ;   in Loop: Header=BB777_788 Depth=1
	s_or_b64 exec, exec, s[16:17]
.LBB777_787:                            ;   in Loop: Header=BB777_788 Depth=1
	s_or_b64 exec, exec, s[14:15]
	v_perm_b32 v19, v15, v12, s26
	v_perm_b32 v18, v11, v13, s26
	;; [unrolled: 1-line block ×4, first 2 shown]
	v_mfma_f32_4x4x4bf16_1k a[0:3], v[2:3], v[18:19], a[0:3] cbsz:4 abid:14
	s_mul_i32 s14, s23, 0xa00
	v_mfma_f32_4x4x4bf16_1k a[0:3], v[2:3], v[12:13], a[0:3] cbsz:4 abid:15
	s_mov_b32 s23, 1
	v_mov_b32_e32 v11, v5
	s_nop 2
	v_accvgpr_read_b32 v15, a1
	v_accvgpr_read_b32 v14, a0
	v_pk_mul_f32 v[14:15], v[14:15], s[8:9]
	v_accvgpr_read_b32 v13, a3
	v_accvgpr_read_b32 v12, a2
	v_bfe_u32 v4, v15, 16, 1
	v_bfe_u32 v6, v14, 16, 1
	v_pk_mul_f32 v[12:13], v[12:13], s[10:11]
	v_add3_u32 v6, v14, v6, s5
	v_add3_u32 v4, v15, v4, s5
	v_perm_b32 v14, v4, v6, s21
	v_bfe_u32 v4, v13, 16, 1
	v_bfe_u32 v6, v12, 16, 1
	v_add3_u32 v6, v12, v6, s5
	v_add3_u32 v4, v13, v4, s5
	v_perm_b32 v15, v4, v6, s21
	v_mul_u32_u24_e32 v4, 40, v1
	v_add3_u32 v4, s14, v4, v7
	s_xor_b64 s[14:15], s[12:13], -1
	s_mov_b64 s[12:13], 0
	s_andn2_b64 vcc, exec, s[14:15]
	ds_write_b64 v4, v[14:15]
	s_cbranch_vccz .LBB777_1171
.LBB777_788:                            ; =>This Inner Loop Header: Depth=1
	buffer_load_dword v6, v11, s[0:3], 0 offen
	buffer_load_dword v4, v11, s[0:3], 0 offen offset:4
	v_mov_b32_e32 v13, 0
	s_waitcnt vmcnt(1)
	v_cmp_ne_u16_sdwa s[16:17], v6, v9 src0_sel:BYTE_0 src1_sel:DWORD
	s_and_saveexec_b64 s[14:15], s[16:17]
	s_cbranch_execz .LBB777_794
; %bb.789:                              ;   in Loop: Header=BB777_788 Depth=1
	v_cmp_ne_u16_sdwa s[18:19], v6, s22 src0_sel:BYTE_0 src1_sel:DWORD
	v_mov_b32_e32 v13, 0xffff8000
	s_and_saveexec_b64 s[16:17], s[18:19]
	s_cbranch_execz .LBB777_793
; %bb.790:                              ;   in Loop: Header=BB777_788 Depth=1
	v_and_b32_e32 v8, 0x7f, v6
	v_cmp_ne_u32_e32 vcc, s24, v8
	v_mov_b32_e32 v13, 0x7f80
	s_and_saveexec_b64 s[18:19], vcc
	s_cbranch_execz .LBB777_792
; %bb.791:                              ;   in Loop: Header=BB777_788 Depth=1
	v_and_b32_e32 v14, 7, v6
	v_ffbh_u32_e32 v12, v14
	v_min_u32_e32 v16, 32, v12
	v_subrev_u32_e32 v12, 28, v16
	v_lshlrev_b64 v[12:13], v12, v[6:7]
	v_lshrrev_b32_e32 v15, 3, v8
	v_sub_u32_e32 v13, 29, v16
	v_and_b32_e32 v12, 7, v12
	v_cmp_gt_u32_e32 vcc, 8, v8
	v_cndmask_b32_e32 v8, v15, v13, vcc
	v_cndmask_b32_e32 v12, v14, v12, vcc
	v_lshlrev_b32_e32 v13, 24, v6
	v_lshlrev_b32_e32 v12, 20, v12
	v_and_b32_e32 v13, 0x80000000, v13
	v_lshl_add_u32 v8, v8, 23, v10
	v_or3_b32 v8, v13, v8, v12
	v_lshrrev_b32_e32 v13, 16, v8
.LBB777_792:                            ;   in Loop: Header=BB777_788 Depth=1
	s_or_b64 exec, exec, s[18:19]
.LBB777_793:                            ;   in Loop: Header=BB777_788 Depth=1
	s_or_b64 exec, exec, s[16:17]
.LBB777_794:                            ;   in Loop: Header=BB777_788 Depth=1
	s_or_b64 exec, exec, s[14:15]
	v_lshrrev_b16_e32 v8, 8, v6
	v_cmp_ne_u16_e32 vcc, 0, v8
	v_mov_b32_e32 v15, 0
	v_mov_b32_e32 v14, 0
	s_and_saveexec_b64 s[14:15], vcc
	s_cbranch_execz .LBB777_800
; %bb.795:                              ;   in Loop: Header=BB777_788 Depth=1
	v_cmp_ne_u16_e32 vcc, s22, v8
	v_mov_b32_e32 v14, 0xffff8000
	s_and_saveexec_b64 s[16:17], vcc
	s_cbranch_execz .LBB777_799
; %bb.796:                              ;   in Loop: Header=BB777_788 Depth=1
	v_and_b32_e32 v12, 0x7f, v8
	v_cmp_ne_u32_e32 vcc, s24, v12
	v_mov_b32_e32 v14, 0x7f80
	s_and_saveexec_b64 s[18:19], vcc
	s_cbranch_execz .LBB777_798
; %bb.797:                              ;   in Loop: Header=BB777_788 Depth=1
	v_and_b32_e32 v14, 7, v8
	v_ffbh_u32_e32 v16, v14
	v_min_u32_e32 v19, 32, v16
	v_subrev_u32_e32 v16, 28, v19
	v_lshlrev_b64 v[16:17], v16, v[8:9]
	v_lshrrev_b32_e32 v18, 3, v12
	v_sub_u32_e32 v8, 29, v19
	v_and_b32_e32 v16, 7, v16
	v_cmp_gt_u32_e32 vcc, 8, v12
	v_cndmask_b32_e32 v8, v18, v8, vcc
	v_cndmask_b32_e32 v12, v14, v16, vcc
	v_lshlrev_b32_e32 v14, 16, v6
	v_lshlrev_b32_e32 v12, 20, v12
	v_and_b32_e32 v14, 0x80000000, v14
	v_lshl_add_u32 v8, v8, 23, v10
	v_or3_b32 v8, v14, v8, v12
	v_lshrrev_b32_e32 v14, 16, v8
.LBB777_798:                            ;   in Loop: Header=BB777_788 Depth=1
	s_or_b64 exec, exec, s[18:19]
.LBB777_799:                            ;   in Loop: Header=BB777_788 Depth=1
	s_or_b64 exec, exec, s[16:17]
.LBB777_800:                            ;   in Loop: Header=BB777_788 Depth=1
	s_or_b64 exec, exec, s[14:15]
	v_lshrrev_b32_e32 v8, 16, v6
	v_cmp_ne_u16_sdwa s[16:17], v8, v9 src0_sel:BYTE_0 src1_sel:DWORD
	s_and_saveexec_b64 s[14:15], s[16:17]
	s_cbranch_execz .LBB777_806
; %bb.801:                              ;   in Loop: Header=BB777_788 Depth=1
	v_cmp_ne_u16_sdwa s[18:19], v8, s22 src0_sel:BYTE_0 src1_sel:DWORD
	v_mov_b32_e32 v15, 0xffff8000
	s_and_saveexec_b64 s[16:17], s[18:19]
	s_cbranch_execz .LBB777_805
; %bb.802:                              ;   in Loop: Header=BB777_788 Depth=1
	v_bfe_u32 v12, v6, 16, 7
	v_cmp_ne_u32_e32 vcc, s24, v12
	v_mov_b32_e32 v15, 0x7f80
	s_and_saveexec_b64 s[18:19], vcc
	s_cbranch_execz .LBB777_804
; %bb.803:                              ;   in Loop: Header=BB777_788 Depth=1
	v_and_b32_e32 v15, 7, v8
	v_ffbh_u32_e32 v16, v15
	v_min_u32_e32 v19, 32, v16
	v_subrev_u32_e32 v16, 28, v19
	v_lshlrev_b64 v[16:17], v16, v[8:9]
	v_lshrrev_b32_e32 v18, 3, v12
	v_sub_u32_e32 v17, 29, v19
	v_and_b32_e32 v16, 7, v16
	v_cmp_gt_u32_e32 vcc, 8, v12
	v_cndmask_b32_e32 v12, v18, v17, vcc
	v_cndmask_b32_e32 v15, v15, v16, vcc
	v_lshlrev_b32_e32 v8, 24, v8
	v_lshlrev_b32_e32 v15, 20, v15
	v_and_b32_e32 v8, 0x80000000, v8
	v_lshl_add_u32 v12, v12, 23, v10
	v_or3_b32 v8, v8, v12, v15
	v_lshrrev_b32_e32 v15, 16, v8
.LBB777_804:                            ;   in Loop: Header=BB777_788 Depth=1
	s_or_b64 exec, exec, s[18:19]
.LBB777_805:                            ;   in Loop: Header=BB777_788 Depth=1
	s_or_b64 exec, exec, s[16:17]
.LBB777_806:                            ;   in Loop: Header=BB777_788 Depth=1
	s_or_b64 exec, exec, s[14:15]
	v_cmp_lt_u32_e32 vcc, s25, v6
	v_mov_b32_e32 v16, 0
	v_mov_b32_e32 v17, 0
	s_and_saveexec_b64 s[14:15], vcc
	s_cbranch_execz .LBB777_812
; %bb.807:                              ;   in Loop: Header=BB777_788 Depth=1
	v_lshrrev_b32_e32 v8, 24, v6
	v_cmp_ne_u32_e32 vcc, s22, v8
	v_mov_b32_e32 v17, 0xffff8000
	s_and_saveexec_b64 s[16:17], vcc
	s_cbranch_execz .LBB777_811
; %bb.808:                              ;   in Loop: Header=BB777_788 Depth=1
	v_bfe_u32 v6, v6, 24, 7
	v_cmp_ne_u32_e32 vcc, s24, v6
	v_mov_b32_e32 v17, 0x7f80
	s_and_saveexec_b64 s[18:19], vcc
	s_cbranch_execz .LBB777_810
; %bb.809:                              ;   in Loop: Header=BB777_788 Depth=1
	v_and_b32_e32 v12, 7, v8
	v_ffbh_u32_e32 v18, v12
	v_min_u32_e32 v20, 32, v18
	v_subrev_u32_e32 v18, 28, v20
	v_lshlrev_b64 v[18:19], v18, v[8:9]
	v_lshrrev_b32_e32 v17, 3, v6
	v_sub_u32_e32 v19, 29, v20
	v_and_b32_e32 v18, 7, v18
	v_cmp_gt_u32_e32 vcc, 8, v6
	v_cndmask_b32_e32 v6, v17, v19, vcc
	v_cndmask_b32_e32 v12, v12, v18, vcc
	v_lshlrev_b32_e32 v8, 24, v8
	v_lshlrev_b32_e32 v12, 20, v12
	v_and_b32_e32 v8, 0x80000000, v8
	v_lshl_add_u32 v6, v6, 23, v10
	v_or3_b32 v6, v8, v6, v12
	v_lshrrev_b32_e32 v17, 16, v6
.LBB777_810:                            ;   in Loop: Header=BB777_788 Depth=1
	s_or_b64 exec, exec, s[18:19]
.LBB777_811:                            ;   in Loop: Header=BB777_788 Depth=1
	s_or_b64 exec, exec, s[16:17]
.LBB777_812:                            ;   in Loop: Header=BB777_788 Depth=1
	s_or_b64 exec, exec, s[14:15]
	s_waitcnt vmcnt(0)
	v_cmp_ne_u16_sdwa s[16:17], v4, v9 src0_sel:BYTE_0 src1_sel:DWORD
	s_and_saveexec_b64 s[14:15], s[16:17]
	s_cbranch_execz .LBB777_818
; %bb.813:                              ;   in Loop: Header=BB777_788 Depth=1
	v_cmp_ne_u16_sdwa s[18:19], v4, s22 src0_sel:BYTE_0 src1_sel:DWORD
	v_mov_b32_e32 v16, 0xffff8000
	s_and_saveexec_b64 s[16:17], s[18:19]
	s_cbranch_execz .LBB777_817
; %bb.814:                              ;   in Loop: Header=BB777_788 Depth=1
	v_and_b32_e32 v6, 0x7f, v4
	v_cmp_ne_u32_e32 vcc, s24, v6
	v_mov_b32_e32 v16, 0x7f80
	s_and_saveexec_b64 s[18:19], vcc
	s_cbranch_execz .LBB777_816
; %bb.815:                              ;   in Loop: Header=BB777_788 Depth=1
	v_and_b32_e32 v8, 7, v4
	v_ffbh_u32_e32 v16, v8
	v_min_u32_e32 v16, 32, v16
	v_subrev_u32_e32 v18, 28, v16
	v_lshlrev_b64 v[18:19], v18, v[4:5]
	v_lshrrev_b32_e32 v12, 3, v6
	v_sub_u32_e32 v16, 29, v16
	v_and_b32_e32 v18, 7, v18
	v_cmp_gt_u32_e32 vcc, 8, v6
	v_cndmask_b32_e32 v6, v12, v16, vcc
	v_cndmask_b32_e32 v8, v8, v18, vcc
	v_lshlrev_b32_e32 v12, 24, v4
	v_lshlrev_b32_e32 v8, 20, v8
	v_and_b32_e32 v12, 0x80000000, v12
	v_lshl_add_u32 v6, v6, 23, v10
	v_or3_b32 v6, v12, v6, v8
	v_lshrrev_b32_e32 v16, 16, v6
.LBB777_816:                            ;   in Loop: Header=BB777_788 Depth=1
	s_or_b64 exec, exec, s[18:19]
.LBB777_817:                            ;   in Loop: Header=BB777_788 Depth=1
	s_or_b64 exec, exec, s[16:17]
.LBB777_818:                            ;   in Loop: Header=BB777_788 Depth=1
	s_or_b64 exec, exec, s[14:15]
	v_lshrrev_b16_e32 v6, 8, v4
	v_cmp_ne_u16_e32 vcc, 0, v6
	v_mov_b32_e32 v18, 0
	v_mov_b32_e32 v8, 0
	s_and_saveexec_b64 s[14:15], vcc
	s_cbranch_execz .LBB777_824
; %bb.819:                              ;   in Loop: Header=BB777_788 Depth=1
	v_cmp_ne_u16_e32 vcc, s22, v6
	v_mov_b32_e32 v8, 0xffff8000
	s_and_saveexec_b64 s[16:17], vcc
	s_cbranch_execz .LBB777_823
; %bb.820:                              ;   in Loop: Header=BB777_788 Depth=1
	v_and_b32_e32 v12, 0x7f, v6
	v_cmp_ne_u32_e32 vcc, s24, v12
	v_mov_b32_e32 v8, 0x7f80
	s_and_saveexec_b64 s[18:19], vcc
	s_cbranch_execz .LBB777_822
; %bb.821:                              ;   in Loop: Header=BB777_788 Depth=1
	v_and_b32_e32 v8, 7, v6
	v_ffbh_u32_e32 v20, v8
	v_min_u32_e32 v22, 32, v20
	v_subrev_u32_e32 v20, 28, v22
	v_lshlrev_b64 v[20:21], v20, v[6:7]
	v_lshrrev_b32_e32 v19, 3, v12
	v_sub_u32_e32 v6, 29, v22
	v_and_b32_e32 v20, 7, v20
	v_cmp_gt_u32_e32 vcc, 8, v12
	v_cndmask_b32_e32 v6, v19, v6, vcc
	v_cndmask_b32_e32 v8, v8, v20, vcc
	v_lshlrev_b32_e32 v12, 16, v4
	v_lshlrev_b32_e32 v8, 20, v8
	v_and_b32_e32 v12, 0x80000000, v12
	v_lshl_add_u32 v6, v6, 23, v10
	v_or3_b32 v6, v12, v6, v8
	v_lshrrev_b32_e32 v8, 16, v6
.LBB777_822:                            ;   in Loop: Header=BB777_788 Depth=1
	s_or_b64 exec, exec, s[18:19]
.LBB777_823:                            ;   in Loop: Header=BB777_788 Depth=1
	s_or_b64 exec, exec, s[16:17]
.LBB777_824:                            ;   in Loop: Header=BB777_788 Depth=1
	s_or_b64 exec, exec, s[14:15]
	v_lshrrev_b32_e32 v6, 16, v4
	v_cmp_ne_u16_sdwa s[16:17], v6, v9 src0_sel:BYTE_0 src1_sel:DWORD
	s_and_saveexec_b64 s[14:15], s[16:17]
	s_cbranch_execz .LBB777_830
; %bb.825:                              ;   in Loop: Header=BB777_788 Depth=1
	v_cmp_ne_u16_sdwa s[18:19], v6, s22 src0_sel:BYTE_0 src1_sel:DWORD
	v_mov_b32_e32 v18, 0xffff8000
	s_and_saveexec_b64 s[16:17], s[18:19]
	s_cbranch_execz .LBB777_829
; %bb.826:                              ;   in Loop: Header=BB777_788 Depth=1
	v_bfe_u32 v12, v4, 16, 7
	v_cmp_ne_u32_e32 vcc, s24, v12
	v_mov_b32_e32 v18, 0x7f80
	s_and_saveexec_b64 s[18:19], vcc
	s_cbranch_execz .LBB777_828
; %bb.827:                              ;   in Loop: Header=BB777_788 Depth=1
	v_and_b32_e32 v20, 7, v6
	v_ffbh_u32_e32 v18, v20
	v_min_u32_e32 v22, 32, v18
	v_subrev_u32_e32 v18, 28, v22
	v_lshlrev_b64 v[18:19], v18, v[6:7]
	v_lshrrev_b32_e32 v21, 3, v12
	v_sub_u32_e32 v19, 29, v22
	v_and_b32_e32 v18, 7, v18
	v_cmp_gt_u32_e32 vcc, 8, v12
	v_cndmask_b32_e32 v12, v21, v19, vcc
	v_cndmask_b32_e32 v18, v20, v18, vcc
	v_lshlrev_b32_e32 v6, 24, v6
	v_lshlrev_b32_e32 v18, 20, v18
	v_and_b32_e32 v6, 0x80000000, v6
	v_lshl_add_u32 v12, v12, 23, v10
	v_or3_b32 v6, v6, v12, v18
	v_lshrrev_b32_e32 v18, 16, v6
.LBB777_828:                            ;   in Loop: Header=BB777_788 Depth=1
	s_or_b64 exec, exec, s[18:19]
.LBB777_829:                            ;   in Loop: Header=BB777_788 Depth=1
	s_or_b64 exec, exec, s[16:17]
.LBB777_830:                            ;   in Loop: Header=BB777_788 Depth=1
	s_or_b64 exec, exec, s[14:15]
	v_cmp_lt_u32_e32 vcc, s25, v4
	v_mov_b32_e32 v12, 0
	v_mov_b32_e32 v19, 0
	s_and_saveexec_b64 s[14:15], vcc
	s_cbranch_execz .LBB777_836
; %bb.831:                              ;   in Loop: Header=BB777_788 Depth=1
	v_lshrrev_b32_e32 v6, 24, v4
	v_cmp_ne_u32_e32 vcc, s22, v6
	v_mov_b32_e32 v19, 0xffff8000
	s_and_saveexec_b64 s[16:17], vcc
	s_cbranch_execz .LBB777_835
; %bb.832:                              ;   in Loop: Header=BB777_788 Depth=1
	v_bfe_u32 v4, v4, 24, 7
	v_cmp_ne_u32_e32 vcc, s24, v4
	v_mov_b32_e32 v19, 0x7f80
	s_and_saveexec_b64 s[18:19], vcc
	s_cbranch_execz .LBB777_834
; %bb.833:                              ;   in Loop: Header=BB777_788 Depth=1
	v_and_b32_e32 v19, 7, v6
	v_ffbh_u32_e32 v20, v19
	v_min_u32_e32 v23, 32, v20
	v_subrev_u32_e32 v20, 28, v23
	v_lshlrev_b64 v[20:21], v20, v[6:7]
	v_lshrrev_b32_e32 v22, 3, v4
	v_sub_u32_e32 v21, 29, v23
	v_and_b32_e32 v20, 7, v20
	v_cmp_gt_u32_e32 vcc, 8, v4
	v_cndmask_b32_e32 v4, v22, v21, vcc
	v_cndmask_b32_e32 v19, v19, v20, vcc
	v_lshlrev_b32_e32 v6, 24, v6
	v_lshlrev_b32_e32 v19, 20, v19
	v_and_b32_e32 v6, 0x80000000, v6
	v_lshl_add_u32 v4, v4, 23, v10
	v_or3_b32 v4, v6, v4, v19
	v_lshrrev_b32_e32 v19, 16, v4
.LBB777_834:                            ;   in Loop: Header=BB777_788 Depth=1
	s_or_b64 exec, exec, s[18:19]
.LBB777_835:                            ;   in Loop: Header=BB777_788 Depth=1
	s_or_b64 exec, exec, s[16:17]
.LBB777_836:                            ;   in Loop: Header=BB777_788 Depth=1
	s_or_b64 exec, exec, s[14:15]
	buffer_load_dword v6, v11, s[0:3], 0 offen offset:8
	buffer_load_dword v4, v11, s[0:3], 0 offen offset:12
	v_perm_b32 v15, v17, v15, s26
	v_perm_b32 v14, v14, v13, s26
	;; [unrolled: 1-line block ×4, first 2 shown]
	v_mfma_f32_4x4x4bf16_1k a[0:3], v[2:3], v[14:15], 0 cbsz:4
	s_waitcnt vmcnt(1)
	v_cmp_ne_u16_sdwa s[16:17], v6, v9 src0_sel:BYTE_0 src1_sel:DWORD
	v_mfma_f32_4x4x4bf16_1k a[0:3], v[2:3], v[16:17], a[0:3] cbsz:4 abid:1
	s_and_saveexec_b64 s[14:15], s[16:17]
	s_cbranch_execz .LBB777_842
; %bb.837:                              ;   in Loop: Header=BB777_788 Depth=1
	v_cmp_ne_u16_sdwa s[18:19], v6, s22 src0_sel:BYTE_0 src1_sel:DWORD
	v_mov_b32_e32 v12, 0xffff8000
	s_and_saveexec_b64 s[16:17], s[18:19]
	s_cbranch_execz .LBB777_841
; %bb.838:                              ;   in Loop: Header=BB777_788 Depth=1
	v_and_b32_e32 v8, 0x7f, v6
	v_cmp_ne_u32_e32 vcc, s24, v8
	v_mov_b32_e32 v12, 0x7f80
	s_and_saveexec_b64 s[18:19], vcc
	s_cbranch_execz .LBB777_840
; %bb.839:                              ;   in Loop: Header=BB777_788 Depth=1
	v_and_b32_e32 v14, 7, v6
	v_ffbh_u32_e32 v12, v14
	v_min_u32_e32 v16, 32, v12
	v_subrev_u32_e32 v12, 28, v16
	v_lshlrev_b64 v[12:13], v12, v[6:7]
	v_lshrrev_b32_e32 v15, 3, v8
	v_sub_u32_e32 v13, 29, v16
	v_and_b32_e32 v12, 7, v12
	v_cmp_gt_u32_e32 vcc, 8, v8
	v_cndmask_b32_e32 v8, v15, v13, vcc
	v_cndmask_b32_e32 v12, v14, v12, vcc
	v_lshlrev_b32_e32 v13, 24, v6
	v_lshlrev_b32_e32 v12, 20, v12
	v_and_b32_e32 v13, 0x80000000, v13
	v_lshl_add_u32 v8, v8, 23, v10
	v_or3_b32 v8, v13, v8, v12
	v_lshrrev_b32_e32 v12, 16, v8
.LBB777_840:                            ;   in Loop: Header=BB777_788 Depth=1
	s_or_b64 exec, exec, s[18:19]
.LBB777_841:                            ;   in Loop: Header=BB777_788 Depth=1
	s_or_b64 exec, exec, s[16:17]
.LBB777_842:                            ;   in Loop: Header=BB777_788 Depth=1
	s_or_b64 exec, exec, s[14:15]
	v_lshrrev_b16_e32 v8, 8, v6
	v_cmp_ne_u16_e32 vcc, 0, v8
	v_mov_b32_e32 v15, 0
	v_mov_b32_e32 v14, 0
	s_and_saveexec_b64 s[14:15], vcc
	s_cbranch_execz .LBB777_848
; %bb.843:                              ;   in Loop: Header=BB777_788 Depth=1
	v_cmp_ne_u16_e32 vcc, s22, v8
	v_mov_b32_e32 v14, 0xffff8000
	s_and_saveexec_b64 s[16:17], vcc
	s_cbranch_execz .LBB777_847
; %bb.844:                              ;   in Loop: Header=BB777_788 Depth=1
	v_and_b32_e32 v13, 0x7f, v8
	v_cmp_ne_u32_e32 vcc, s24, v13
	v_mov_b32_e32 v14, 0x7f80
	s_and_saveexec_b64 s[18:19], vcc
	s_cbranch_execz .LBB777_846
; %bb.845:                              ;   in Loop: Header=BB777_788 Depth=1
	v_and_b32_e32 v14, 7, v8
	v_ffbh_u32_e32 v16, v14
	v_min_u32_e32 v19, 32, v16
	v_subrev_u32_e32 v16, 28, v19
	v_lshlrev_b64 v[16:17], v16, v[8:9]
	v_lshrrev_b32_e32 v18, 3, v13
	v_sub_u32_e32 v8, 29, v19
	v_and_b32_e32 v16, 7, v16
	v_cmp_gt_u32_e32 vcc, 8, v13
	v_cndmask_b32_e32 v8, v18, v8, vcc
	v_cndmask_b32_e32 v13, v14, v16, vcc
	v_lshlrev_b32_e32 v14, 16, v6
	v_lshlrev_b32_e32 v13, 20, v13
	v_and_b32_e32 v14, 0x80000000, v14
	v_lshl_add_u32 v8, v8, 23, v10
	v_or3_b32 v8, v14, v8, v13
	v_lshrrev_b32_e32 v14, 16, v8
.LBB777_846:                            ;   in Loop: Header=BB777_788 Depth=1
	s_or_b64 exec, exec, s[18:19]
.LBB777_847:                            ;   in Loop: Header=BB777_788 Depth=1
	s_or_b64 exec, exec, s[16:17]
.LBB777_848:                            ;   in Loop: Header=BB777_788 Depth=1
	s_or_b64 exec, exec, s[14:15]
	v_lshrrev_b32_e32 v8, 16, v6
	v_cmp_ne_u16_sdwa s[16:17], v8, v9 src0_sel:BYTE_0 src1_sel:DWORD
	s_and_saveexec_b64 s[14:15], s[16:17]
	s_cbranch_execz .LBB777_854
; %bb.849:                              ;   in Loop: Header=BB777_788 Depth=1
	v_cmp_ne_u16_sdwa s[18:19], v8, s22 src0_sel:BYTE_0 src1_sel:DWORD
	v_mov_b32_e32 v15, 0xffff8000
	s_and_saveexec_b64 s[16:17], s[18:19]
	s_cbranch_execz .LBB777_853
; %bb.850:                              ;   in Loop: Header=BB777_788 Depth=1
	v_bfe_u32 v13, v6, 16, 7
	v_cmp_ne_u32_e32 vcc, s24, v13
	v_mov_b32_e32 v15, 0x7f80
	s_and_saveexec_b64 s[18:19], vcc
	s_cbranch_execz .LBB777_852
; %bb.851:                              ;   in Loop: Header=BB777_788 Depth=1
	v_and_b32_e32 v15, 7, v8
	v_ffbh_u32_e32 v16, v15
	v_min_u32_e32 v19, 32, v16
	v_subrev_u32_e32 v16, 28, v19
	v_lshlrev_b64 v[16:17], v16, v[8:9]
	v_lshrrev_b32_e32 v18, 3, v13
	v_sub_u32_e32 v17, 29, v19
	v_and_b32_e32 v16, 7, v16
	v_cmp_gt_u32_e32 vcc, 8, v13
	v_cndmask_b32_e32 v13, v18, v17, vcc
	v_cndmask_b32_e32 v15, v15, v16, vcc
	v_lshlrev_b32_e32 v8, 24, v8
	v_lshlrev_b32_e32 v15, 20, v15
	v_and_b32_e32 v8, 0x80000000, v8
	v_lshl_add_u32 v13, v13, 23, v10
	v_or3_b32 v8, v8, v13, v15
	v_lshrrev_b32_e32 v15, 16, v8
.LBB777_852:                            ;   in Loop: Header=BB777_788 Depth=1
	s_or_b64 exec, exec, s[18:19]
.LBB777_853:                            ;   in Loop: Header=BB777_788 Depth=1
	s_or_b64 exec, exec, s[16:17]
.LBB777_854:                            ;   in Loop: Header=BB777_788 Depth=1
	s_or_b64 exec, exec, s[14:15]
	v_cmp_lt_u32_e32 vcc, s25, v6
	v_mov_b32_e32 v16, 0
	v_mov_b32_e32 v17, 0
	s_and_saveexec_b64 s[14:15], vcc
	s_cbranch_execz .LBB777_860
; %bb.855:                              ;   in Loop: Header=BB777_788 Depth=1
	v_lshrrev_b32_e32 v8, 24, v6
	v_cmp_ne_u32_e32 vcc, s22, v8
	v_mov_b32_e32 v17, 0xffff8000
	s_and_saveexec_b64 s[16:17], vcc
	s_cbranch_execz .LBB777_859
; %bb.856:                              ;   in Loop: Header=BB777_788 Depth=1
	v_bfe_u32 v6, v6, 24, 7
	v_cmp_ne_u32_e32 vcc, s24, v6
	v_mov_b32_e32 v17, 0x7f80
	s_and_saveexec_b64 s[18:19], vcc
	s_cbranch_execz .LBB777_858
; %bb.857:                              ;   in Loop: Header=BB777_788 Depth=1
	v_and_b32_e32 v13, 7, v8
	v_ffbh_u32_e32 v18, v13
	v_min_u32_e32 v20, 32, v18
	v_subrev_u32_e32 v18, 28, v20
	v_lshlrev_b64 v[18:19], v18, v[8:9]
	v_lshrrev_b32_e32 v17, 3, v6
	v_sub_u32_e32 v19, 29, v20
	v_and_b32_e32 v18, 7, v18
	v_cmp_gt_u32_e32 vcc, 8, v6
	v_cndmask_b32_e32 v6, v17, v19, vcc
	v_cndmask_b32_e32 v13, v13, v18, vcc
	v_lshlrev_b32_e32 v8, 24, v8
	v_lshlrev_b32_e32 v13, 20, v13
	v_and_b32_e32 v8, 0x80000000, v8
	v_lshl_add_u32 v6, v6, 23, v10
	v_or3_b32 v6, v8, v6, v13
	v_lshrrev_b32_e32 v17, 16, v6
.LBB777_858:                            ;   in Loop: Header=BB777_788 Depth=1
	s_or_b64 exec, exec, s[18:19]
.LBB777_859:                            ;   in Loop: Header=BB777_788 Depth=1
	s_or_b64 exec, exec, s[16:17]
.LBB777_860:                            ;   in Loop: Header=BB777_788 Depth=1
	s_or_b64 exec, exec, s[14:15]
	s_waitcnt vmcnt(0)
	v_cmp_ne_u16_sdwa s[16:17], v4, v9 src0_sel:BYTE_0 src1_sel:DWORD
	s_and_saveexec_b64 s[14:15], s[16:17]
	s_cbranch_execz .LBB777_866
; %bb.861:                              ;   in Loop: Header=BB777_788 Depth=1
	v_cmp_ne_u16_sdwa s[18:19], v4, s22 src0_sel:BYTE_0 src1_sel:DWORD
	v_mov_b32_e32 v16, 0xffff8000
	s_and_saveexec_b64 s[16:17], s[18:19]
	s_cbranch_execz .LBB777_865
; %bb.862:                              ;   in Loop: Header=BB777_788 Depth=1
	v_and_b32_e32 v6, 0x7f, v4
	v_cmp_ne_u32_e32 vcc, s24, v6
	v_mov_b32_e32 v16, 0x7f80
	s_and_saveexec_b64 s[18:19], vcc
	s_cbranch_execz .LBB777_864
; %bb.863:                              ;   in Loop: Header=BB777_788 Depth=1
	v_and_b32_e32 v8, 7, v4
	v_ffbh_u32_e32 v16, v8
	v_min_u32_e32 v16, 32, v16
	v_subrev_u32_e32 v18, 28, v16
	v_lshlrev_b64 v[18:19], v18, v[4:5]
	v_lshrrev_b32_e32 v13, 3, v6
	v_sub_u32_e32 v16, 29, v16
	v_and_b32_e32 v18, 7, v18
	v_cmp_gt_u32_e32 vcc, 8, v6
	v_cndmask_b32_e32 v6, v13, v16, vcc
	v_cndmask_b32_e32 v8, v8, v18, vcc
	v_lshlrev_b32_e32 v13, 24, v4
	v_lshlrev_b32_e32 v8, 20, v8
	v_and_b32_e32 v13, 0x80000000, v13
	v_lshl_add_u32 v6, v6, 23, v10
	v_or3_b32 v6, v13, v6, v8
	v_lshrrev_b32_e32 v16, 16, v6
.LBB777_864:                            ;   in Loop: Header=BB777_788 Depth=1
	s_or_b64 exec, exec, s[18:19]
.LBB777_865:                            ;   in Loop: Header=BB777_788 Depth=1
	s_or_b64 exec, exec, s[16:17]
.LBB777_866:                            ;   in Loop: Header=BB777_788 Depth=1
	s_or_b64 exec, exec, s[14:15]
	v_lshrrev_b16_e32 v6, 8, v4
	v_cmp_ne_u16_e32 vcc, 0, v6
	v_mov_b32_e32 v18, 0
	v_mov_b32_e32 v8, 0
	s_and_saveexec_b64 s[14:15], vcc
	s_cbranch_execz .LBB777_872
; %bb.867:                              ;   in Loop: Header=BB777_788 Depth=1
	v_cmp_ne_u16_e32 vcc, s22, v6
	v_mov_b32_e32 v8, 0xffff8000
	s_and_saveexec_b64 s[16:17], vcc
	s_cbranch_execz .LBB777_871
; %bb.868:                              ;   in Loop: Header=BB777_788 Depth=1
	v_and_b32_e32 v13, 0x7f, v6
	v_cmp_ne_u32_e32 vcc, s24, v13
	v_mov_b32_e32 v8, 0x7f80
	s_and_saveexec_b64 s[18:19], vcc
	s_cbranch_execz .LBB777_870
; %bb.869:                              ;   in Loop: Header=BB777_788 Depth=1
	v_and_b32_e32 v8, 7, v6
	v_ffbh_u32_e32 v20, v8
	v_min_u32_e32 v22, 32, v20
	v_subrev_u32_e32 v20, 28, v22
	v_lshlrev_b64 v[20:21], v20, v[6:7]
	v_lshrrev_b32_e32 v19, 3, v13
	v_sub_u32_e32 v6, 29, v22
	v_and_b32_e32 v20, 7, v20
	v_cmp_gt_u32_e32 vcc, 8, v13
	v_cndmask_b32_e32 v6, v19, v6, vcc
	v_cndmask_b32_e32 v8, v8, v20, vcc
	v_lshlrev_b32_e32 v13, 16, v4
	v_lshlrev_b32_e32 v8, 20, v8
	v_and_b32_e32 v13, 0x80000000, v13
	v_lshl_add_u32 v6, v6, 23, v10
	v_or3_b32 v6, v13, v6, v8
	v_lshrrev_b32_e32 v8, 16, v6
.LBB777_870:                            ;   in Loop: Header=BB777_788 Depth=1
	s_or_b64 exec, exec, s[18:19]
.LBB777_871:                            ;   in Loop: Header=BB777_788 Depth=1
	s_or_b64 exec, exec, s[16:17]
.LBB777_872:                            ;   in Loop: Header=BB777_788 Depth=1
	s_or_b64 exec, exec, s[14:15]
	v_lshrrev_b32_e32 v6, 16, v4
	v_cmp_ne_u16_sdwa s[16:17], v6, v9 src0_sel:BYTE_0 src1_sel:DWORD
	s_and_saveexec_b64 s[14:15], s[16:17]
	s_cbranch_execz .LBB777_878
; %bb.873:                              ;   in Loop: Header=BB777_788 Depth=1
	v_cmp_ne_u16_sdwa s[18:19], v6, s22 src0_sel:BYTE_0 src1_sel:DWORD
	v_mov_b32_e32 v18, 0xffff8000
	s_and_saveexec_b64 s[16:17], s[18:19]
	s_cbranch_execz .LBB777_877
; %bb.874:                              ;   in Loop: Header=BB777_788 Depth=1
	v_bfe_u32 v13, v4, 16, 7
	v_cmp_ne_u32_e32 vcc, s24, v13
	v_mov_b32_e32 v18, 0x7f80
	s_and_saveexec_b64 s[18:19], vcc
	s_cbranch_execz .LBB777_876
; %bb.875:                              ;   in Loop: Header=BB777_788 Depth=1
	v_and_b32_e32 v20, 7, v6
	v_ffbh_u32_e32 v18, v20
	v_min_u32_e32 v22, 32, v18
	v_subrev_u32_e32 v18, 28, v22
	v_lshlrev_b64 v[18:19], v18, v[6:7]
	v_lshrrev_b32_e32 v21, 3, v13
	v_sub_u32_e32 v19, 29, v22
	v_and_b32_e32 v18, 7, v18
	v_cmp_gt_u32_e32 vcc, 8, v13
	v_cndmask_b32_e32 v13, v21, v19, vcc
	v_cndmask_b32_e32 v18, v20, v18, vcc
	v_lshlrev_b32_e32 v6, 24, v6
	v_lshlrev_b32_e32 v18, 20, v18
	v_and_b32_e32 v6, 0x80000000, v6
	v_lshl_add_u32 v13, v13, 23, v10
	v_or3_b32 v6, v6, v13, v18
	v_lshrrev_b32_e32 v18, 16, v6
.LBB777_876:                            ;   in Loop: Header=BB777_788 Depth=1
	s_or_b64 exec, exec, s[18:19]
.LBB777_877:                            ;   in Loop: Header=BB777_788 Depth=1
	s_or_b64 exec, exec, s[16:17]
.LBB777_878:                            ;   in Loop: Header=BB777_788 Depth=1
	s_or_b64 exec, exec, s[14:15]
	v_cmp_lt_u32_e32 vcc, s25, v4
	v_mov_b32_e32 v13, 0
	v_mov_b32_e32 v19, 0
	s_and_saveexec_b64 s[14:15], vcc
	s_cbranch_execz .LBB777_884
; %bb.879:                              ;   in Loop: Header=BB777_788 Depth=1
	v_lshrrev_b32_e32 v6, 24, v4
	v_cmp_ne_u32_e32 vcc, s22, v6
	v_mov_b32_e32 v19, 0xffff8000
	s_and_saveexec_b64 s[16:17], vcc
	s_cbranch_execz .LBB777_883
; %bb.880:                              ;   in Loop: Header=BB777_788 Depth=1
	v_bfe_u32 v4, v4, 24, 7
	v_cmp_ne_u32_e32 vcc, s24, v4
	v_mov_b32_e32 v19, 0x7f80
	s_and_saveexec_b64 s[18:19], vcc
	s_cbranch_execz .LBB777_882
; %bb.881:                              ;   in Loop: Header=BB777_788 Depth=1
	v_and_b32_e32 v19, 7, v6
	v_ffbh_u32_e32 v20, v19
	v_min_u32_e32 v23, 32, v20
	v_subrev_u32_e32 v20, 28, v23
	v_lshlrev_b64 v[20:21], v20, v[6:7]
	v_lshrrev_b32_e32 v22, 3, v4
	v_sub_u32_e32 v21, 29, v23
	v_and_b32_e32 v20, 7, v20
	v_cmp_gt_u32_e32 vcc, 8, v4
	v_cndmask_b32_e32 v4, v22, v21, vcc
	v_cndmask_b32_e32 v19, v19, v20, vcc
	v_lshlrev_b32_e32 v6, 24, v6
	v_lshlrev_b32_e32 v19, 20, v19
	v_and_b32_e32 v6, 0x80000000, v6
	v_lshl_add_u32 v4, v4, 23, v10
	v_or3_b32 v4, v6, v4, v19
	v_lshrrev_b32_e32 v19, 16, v4
.LBB777_882:                            ;   in Loop: Header=BB777_788 Depth=1
	s_or_b64 exec, exec, s[18:19]
.LBB777_883:                            ;   in Loop: Header=BB777_788 Depth=1
	s_or_b64 exec, exec, s[16:17]
.LBB777_884:                            ;   in Loop: Header=BB777_788 Depth=1
	s_or_b64 exec, exec, s[14:15]
	buffer_load_dword v6, v11, s[0:3], 0 offen offset:16
	buffer_load_dword v4, v11, s[0:3], 0 offen offset:20
	v_perm_b32 v15, v17, v15, s26
	v_perm_b32 v14, v14, v12, s26
	;; [unrolled: 1-line block ×4, first 2 shown]
	v_mfma_f32_4x4x4bf16_1k a[0:3], v[2:3], v[14:15], a[0:3] cbsz:4 abid:2
	s_waitcnt vmcnt(1)
	v_cmp_ne_u16_sdwa s[16:17], v6, v9 src0_sel:BYTE_0 src1_sel:DWORD
	v_mfma_f32_4x4x4bf16_1k a[0:3], v[2:3], v[16:17], a[0:3] cbsz:4 abid:3
	s_and_saveexec_b64 s[14:15], s[16:17]
	s_cbranch_execz .LBB777_890
; %bb.885:                              ;   in Loop: Header=BB777_788 Depth=1
	v_cmp_ne_u16_sdwa s[18:19], v6, s22 src0_sel:BYTE_0 src1_sel:DWORD
	v_mov_b32_e32 v13, 0xffff8000
	s_and_saveexec_b64 s[16:17], s[18:19]
	s_cbranch_execz .LBB777_889
; %bb.886:                              ;   in Loop: Header=BB777_788 Depth=1
	v_and_b32_e32 v8, 0x7f, v6
	v_cmp_ne_u32_e32 vcc, s24, v8
	v_mov_b32_e32 v13, 0x7f80
	s_and_saveexec_b64 s[18:19], vcc
	s_cbranch_execz .LBB777_888
; %bb.887:                              ;   in Loop: Header=BB777_788 Depth=1
	v_and_b32_e32 v14, 7, v6
	v_ffbh_u32_e32 v12, v14
	v_min_u32_e32 v16, 32, v12
	v_subrev_u32_e32 v12, 28, v16
	v_lshlrev_b64 v[12:13], v12, v[6:7]
	v_lshrrev_b32_e32 v15, 3, v8
	v_sub_u32_e32 v13, 29, v16
	v_and_b32_e32 v12, 7, v12
	v_cmp_gt_u32_e32 vcc, 8, v8
	v_cndmask_b32_e32 v8, v15, v13, vcc
	v_cndmask_b32_e32 v12, v14, v12, vcc
	v_lshlrev_b32_e32 v13, 24, v6
	v_lshlrev_b32_e32 v12, 20, v12
	v_and_b32_e32 v13, 0x80000000, v13
	v_lshl_add_u32 v8, v8, 23, v10
	v_or3_b32 v8, v13, v8, v12
	v_lshrrev_b32_e32 v13, 16, v8
.LBB777_888:                            ;   in Loop: Header=BB777_788 Depth=1
	s_or_b64 exec, exec, s[18:19]
.LBB777_889:                            ;   in Loop: Header=BB777_788 Depth=1
	s_or_b64 exec, exec, s[16:17]
.LBB777_890:                            ;   in Loop: Header=BB777_788 Depth=1
	s_or_b64 exec, exec, s[14:15]
	v_lshrrev_b16_e32 v8, 8, v6
	v_cmp_ne_u16_e32 vcc, 0, v8
	v_mov_b32_e32 v15, 0
	v_mov_b32_e32 v14, 0
	s_and_saveexec_b64 s[14:15], vcc
	s_cbranch_execz .LBB777_896
; %bb.891:                              ;   in Loop: Header=BB777_788 Depth=1
	v_cmp_ne_u16_e32 vcc, s22, v8
	v_mov_b32_e32 v14, 0xffff8000
	s_and_saveexec_b64 s[16:17], vcc
	s_cbranch_execz .LBB777_895
; %bb.892:                              ;   in Loop: Header=BB777_788 Depth=1
	v_and_b32_e32 v12, 0x7f, v8
	v_cmp_ne_u32_e32 vcc, s24, v12
	v_mov_b32_e32 v14, 0x7f80
	s_and_saveexec_b64 s[18:19], vcc
	s_cbranch_execz .LBB777_894
; %bb.893:                              ;   in Loop: Header=BB777_788 Depth=1
	v_and_b32_e32 v14, 7, v8
	v_ffbh_u32_e32 v16, v14
	v_min_u32_e32 v19, 32, v16
	v_subrev_u32_e32 v16, 28, v19
	v_lshlrev_b64 v[16:17], v16, v[8:9]
	v_lshrrev_b32_e32 v18, 3, v12
	v_sub_u32_e32 v8, 29, v19
	v_and_b32_e32 v16, 7, v16
	v_cmp_gt_u32_e32 vcc, 8, v12
	v_cndmask_b32_e32 v8, v18, v8, vcc
	v_cndmask_b32_e32 v12, v14, v16, vcc
	v_lshlrev_b32_e32 v14, 16, v6
	v_lshlrev_b32_e32 v12, 20, v12
	v_and_b32_e32 v14, 0x80000000, v14
	v_lshl_add_u32 v8, v8, 23, v10
	v_or3_b32 v8, v14, v8, v12
	v_lshrrev_b32_e32 v14, 16, v8
.LBB777_894:                            ;   in Loop: Header=BB777_788 Depth=1
	s_or_b64 exec, exec, s[18:19]
.LBB777_895:                            ;   in Loop: Header=BB777_788 Depth=1
	s_or_b64 exec, exec, s[16:17]
.LBB777_896:                            ;   in Loop: Header=BB777_788 Depth=1
	s_or_b64 exec, exec, s[14:15]
	v_lshrrev_b32_e32 v8, 16, v6
	v_cmp_ne_u16_sdwa s[16:17], v8, v9 src0_sel:BYTE_0 src1_sel:DWORD
	s_and_saveexec_b64 s[14:15], s[16:17]
	s_cbranch_execz .LBB777_902
; %bb.897:                              ;   in Loop: Header=BB777_788 Depth=1
	v_cmp_ne_u16_sdwa s[18:19], v8, s22 src0_sel:BYTE_0 src1_sel:DWORD
	v_mov_b32_e32 v15, 0xffff8000
	s_and_saveexec_b64 s[16:17], s[18:19]
	s_cbranch_execz .LBB777_901
; %bb.898:                              ;   in Loop: Header=BB777_788 Depth=1
	v_bfe_u32 v12, v6, 16, 7
	v_cmp_ne_u32_e32 vcc, s24, v12
	v_mov_b32_e32 v15, 0x7f80
	s_and_saveexec_b64 s[18:19], vcc
	s_cbranch_execz .LBB777_900
; %bb.899:                              ;   in Loop: Header=BB777_788 Depth=1
	v_and_b32_e32 v15, 7, v8
	v_ffbh_u32_e32 v16, v15
	v_min_u32_e32 v19, 32, v16
	v_subrev_u32_e32 v16, 28, v19
	v_lshlrev_b64 v[16:17], v16, v[8:9]
	v_lshrrev_b32_e32 v18, 3, v12
	v_sub_u32_e32 v17, 29, v19
	v_and_b32_e32 v16, 7, v16
	v_cmp_gt_u32_e32 vcc, 8, v12
	v_cndmask_b32_e32 v12, v18, v17, vcc
	v_cndmask_b32_e32 v15, v15, v16, vcc
	v_lshlrev_b32_e32 v8, 24, v8
	v_lshlrev_b32_e32 v15, 20, v15
	v_and_b32_e32 v8, 0x80000000, v8
	v_lshl_add_u32 v12, v12, 23, v10
	v_or3_b32 v8, v8, v12, v15
	v_lshrrev_b32_e32 v15, 16, v8
.LBB777_900:                            ;   in Loop: Header=BB777_788 Depth=1
	s_or_b64 exec, exec, s[18:19]
.LBB777_901:                            ;   in Loop: Header=BB777_788 Depth=1
	s_or_b64 exec, exec, s[16:17]
.LBB777_902:                            ;   in Loop: Header=BB777_788 Depth=1
	s_or_b64 exec, exec, s[14:15]
	v_cmp_lt_u32_e32 vcc, s25, v6
	v_mov_b32_e32 v16, 0
	v_mov_b32_e32 v17, 0
	s_and_saveexec_b64 s[14:15], vcc
	s_cbranch_execz .LBB777_908
; %bb.903:                              ;   in Loop: Header=BB777_788 Depth=1
	v_lshrrev_b32_e32 v8, 24, v6
	v_cmp_ne_u32_e32 vcc, s22, v8
	v_mov_b32_e32 v17, 0xffff8000
	s_and_saveexec_b64 s[16:17], vcc
	s_cbranch_execz .LBB777_907
; %bb.904:                              ;   in Loop: Header=BB777_788 Depth=1
	v_bfe_u32 v6, v6, 24, 7
	v_cmp_ne_u32_e32 vcc, s24, v6
	v_mov_b32_e32 v17, 0x7f80
	s_and_saveexec_b64 s[18:19], vcc
	s_cbranch_execz .LBB777_906
; %bb.905:                              ;   in Loop: Header=BB777_788 Depth=1
	v_and_b32_e32 v12, 7, v8
	v_ffbh_u32_e32 v18, v12
	v_min_u32_e32 v20, 32, v18
	v_subrev_u32_e32 v18, 28, v20
	v_lshlrev_b64 v[18:19], v18, v[8:9]
	v_lshrrev_b32_e32 v17, 3, v6
	v_sub_u32_e32 v19, 29, v20
	v_and_b32_e32 v18, 7, v18
	v_cmp_gt_u32_e32 vcc, 8, v6
	v_cndmask_b32_e32 v6, v17, v19, vcc
	v_cndmask_b32_e32 v12, v12, v18, vcc
	v_lshlrev_b32_e32 v8, 24, v8
	v_lshlrev_b32_e32 v12, 20, v12
	v_and_b32_e32 v8, 0x80000000, v8
	v_lshl_add_u32 v6, v6, 23, v10
	v_or3_b32 v6, v8, v6, v12
	v_lshrrev_b32_e32 v17, 16, v6
.LBB777_906:                            ;   in Loop: Header=BB777_788 Depth=1
	s_or_b64 exec, exec, s[18:19]
.LBB777_907:                            ;   in Loop: Header=BB777_788 Depth=1
	s_or_b64 exec, exec, s[16:17]
.LBB777_908:                            ;   in Loop: Header=BB777_788 Depth=1
	s_or_b64 exec, exec, s[14:15]
	s_waitcnt vmcnt(0)
	v_cmp_ne_u16_sdwa s[16:17], v4, v9 src0_sel:BYTE_0 src1_sel:DWORD
	s_and_saveexec_b64 s[14:15], s[16:17]
	s_cbranch_execz .LBB777_914
; %bb.909:                              ;   in Loop: Header=BB777_788 Depth=1
	v_cmp_ne_u16_sdwa s[18:19], v4, s22 src0_sel:BYTE_0 src1_sel:DWORD
	v_mov_b32_e32 v16, 0xffff8000
	s_and_saveexec_b64 s[16:17], s[18:19]
	s_cbranch_execz .LBB777_913
; %bb.910:                              ;   in Loop: Header=BB777_788 Depth=1
	v_and_b32_e32 v6, 0x7f, v4
	v_cmp_ne_u32_e32 vcc, s24, v6
	v_mov_b32_e32 v16, 0x7f80
	s_and_saveexec_b64 s[18:19], vcc
	s_cbranch_execz .LBB777_912
; %bb.911:                              ;   in Loop: Header=BB777_788 Depth=1
	v_and_b32_e32 v8, 7, v4
	v_ffbh_u32_e32 v16, v8
	v_min_u32_e32 v16, 32, v16
	v_subrev_u32_e32 v18, 28, v16
	v_lshlrev_b64 v[18:19], v18, v[4:5]
	v_lshrrev_b32_e32 v12, 3, v6
	v_sub_u32_e32 v16, 29, v16
	v_and_b32_e32 v18, 7, v18
	v_cmp_gt_u32_e32 vcc, 8, v6
	v_cndmask_b32_e32 v6, v12, v16, vcc
	v_cndmask_b32_e32 v8, v8, v18, vcc
	v_lshlrev_b32_e32 v12, 24, v4
	v_lshlrev_b32_e32 v8, 20, v8
	v_and_b32_e32 v12, 0x80000000, v12
	v_lshl_add_u32 v6, v6, 23, v10
	v_or3_b32 v6, v12, v6, v8
	v_lshrrev_b32_e32 v16, 16, v6
.LBB777_912:                            ;   in Loop: Header=BB777_788 Depth=1
	s_or_b64 exec, exec, s[18:19]
.LBB777_913:                            ;   in Loop: Header=BB777_788 Depth=1
	s_or_b64 exec, exec, s[16:17]
.LBB777_914:                            ;   in Loop: Header=BB777_788 Depth=1
	s_or_b64 exec, exec, s[14:15]
	v_lshrrev_b16_e32 v6, 8, v4
	v_cmp_ne_u16_e32 vcc, 0, v6
	v_mov_b32_e32 v18, 0
	v_mov_b32_e32 v8, 0
	s_and_saveexec_b64 s[14:15], vcc
	s_cbranch_execz .LBB777_920
; %bb.915:                              ;   in Loop: Header=BB777_788 Depth=1
	v_cmp_ne_u16_e32 vcc, s22, v6
	v_mov_b32_e32 v8, 0xffff8000
	s_and_saveexec_b64 s[16:17], vcc
	s_cbranch_execz .LBB777_919
; %bb.916:                              ;   in Loop: Header=BB777_788 Depth=1
	v_and_b32_e32 v12, 0x7f, v6
	v_cmp_ne_u32_e32 vcc, s24, v12
	v_mov_b32_e32 v8, 0x7f80
	s_and_saveexec_b64 s[18:19], vcc
	s_cbranch_execz .LBB777_918
; %bb.917:                              ;   in Loop: Header=BB777_788 Depth=1
	v_and_b32_e32 v8, 7, v6
	v_ffbh_u32_e32 v20, v8
	v_min_u32_e32 v22, 32, v20
	v_subrev_u32_e32 v20, 28, v22
	v_lshlrev_b64 v[20:21], v20, v[6:7]
	v_lshrrev_b32_e32 v19, 3, v12
	v_sub_u32_e32 v6, 29, v22
	v_and_b32_e32 v20, 7, v20
	v_cmp_gt_u32_e32 vcc, 8, v12
	v_cndmask_b32_e32 v6, v19, v6, vcc
	v_cndmask_b32_e32 v8, v8, v20, vcc
	v_lshlrev_b32_e32 v12, 16, v4
	v_lshlrev_b32_e32 v8, 20, v8
	v_and_b32_e32 v12, 0x80000000, v12
	v_lshl_add_u32 v6, v6, 23, v10
	v_or3_b32 v6, v12, v6, v8
	v_lshrrev_b32_e32 v8, 16, v6
.LBB777_918:                            ;   in Loop: Header=BB777_788 Depth=1
	s_or_b64 exec, exec, s[18:19]
.LBB777_919:                            ;   in Loop: Header=BB777_788 Depth=1
	s_or_b64 exec, exec, s[16:17]
.LBB777_920:                            ;   in Loop: Header=BB777_788 Depth=1
	s_or_b64 exec, exec, s[14:15]
	v_lshrrev_b32_e32 v6, 16, v4
	v_cmp_ne_u16_sdwa s[16:17], v6, v9 src0_sel:BYTE_0 src1_sel:DWORD
	s_and_saveexec_b64 s[14:15], s[16:17]
	s_cbranch_execz .LBB777_926
; %bb.921:                              ;   in Loop: Header=BB777_788 Depth=1
	v_cmp_ne_u16_sdwa s[18:19], v6, s22 src0_sel:BYTE_0 src1_sel:DWORD
	v_mov_b32_e32 v18, 0xffff8000
	s_and_saveexec_b64 s[16:17], s[18:19]
	s_cbranch_execz .LBB777_925
; %bb.922:                              ;   in Loop: Header=BB777_788 Depth=1
	v_bfe_u32 v12, v4, 16, 7
	v_cmp_ne_u32_e32 vcc, s24, v12
	v_mov_b32_e32 v18, 0x7f80
	s_and_saveexec_b64 s[18:19], vcc
	s_cbranch_execz .LBB777_924
; %bb.923:                              ;   in Loop: Header=BB777_788 Depth=1
	v_and_b32_e32 v20, 7, v6
	v_ffbh_u32_e32 v18, v20
	v_min_u32_e32 v22, 32, v18
	v_subrev_u32_e32 v18, 28, v22
	v_lshlrev_b64 v[18:19], v18, v[6:7]
	v_lshrrev_b32_e32 v21, 3, v12
	v_sub_u32_e32 v19, 29, v22
	v_and_b32_e32 v18, 7, v18
	v_cmp_gt_u32_e32 vcc, 8, v12
	v_cndmask_b32_e32 v12, v21, v19, vcc
	v_cndmask_b32_e32 v18, v20, v18, vcc
	v_lshlrev_b32_e32 v6, 24, v6
	v_lshlrev_b32_e32 v18, 20, v18
	v_and_b32_e32 v6, 0x80000000, v6
	v_lshl_add_u32 v12, v12, 23, v10
	v_or3_b32 v6, v6, v12, v18
	v_lshrrev_b32_e32 v18, 16, v6
.LBB777_924:                            ;   in Loop: Header=BB777_788 Depth=1
	s_or_b64 exec, exec, s[18:19]
.LBB777_925:                            ;   in Loop: Header=BB777_788 Depth=1
	s_or_b64 exec, exec, s[16:17]
.LBB777_926:                            ;   in Loop: Header=BB777_788 Depth=1
	s_or_b64 exec, exec, s[14:15]
	v_cmp_lt_u32_e32 vcc, s25, v4
	v_mov_b32_e32 v12, 0
	v_mov_b32_e32 v19, 0
	s_and_saveexec_b64 s[14:15], vcc
	s_cbranch_execz .LBB777_932
; %bb.927:                              ;   in Loop: Header=BB777_788 Depth=1
	v_lshrrev_b32_e32 v6, 24, v4
	v_cmp_ne_u32_e32 vcc, s22, v6
	v_mov_b32_e32 v19, 0xffff8000
	s_and_saveexec_b64 s[16:17], vcc
	s_cbranch_execz .LBB777_931
; %bb.928:                              ;   in Loop: Header=BB777_788 Depth=1
	v_bfe_u32 v4, v4, 24, 7
	v_cmp_ne_u32_e32 vcc, s24, v4
	v_mov_b32_e32 v19, 0x7f80
	s_and_saveexec_b64 s[18:19], vcc
	s_cbranch_execz .LBB777_930
; %bb.929:                              ;   in Loop: Header=BB777_788 Depth=1
	v_and_b32_e32 v19, 7, v6
	v_ffbh_u32_e32 v20, v19
	v_min_u32_e32 v23, 32, v20
	v_subrev_u32_e32 v20, 28, v23
	v_lshlrev_b64 v[20:21], v20, v[6:7]
	v_lshrrev_b32_e32 v22, 3, v4
	v_sub_u32_e32 v21, 29, v23
	v_and_b32_e32 v20, 7, v20
	v_cmp_gt_u32_e32 vcc, 8, v4
	v_cndmask_b32_e32 v4, v22, v21, vcc
	v_cndmask_b32_e32 v19, v19, v20, vcc
	v_lshlrev_b32_e32 v6, 24, v6
	v_lshlrev_b32_e32 v19, 20, v19
	v_and_b32_e32 v6, 0x80000000, v6
	v_lshl_add_u32 v4, v4, 23, v10
	v_or3_b32 v4, v6, v4, v19
	v_lshrrev_b32_e32 v19, 16, v4
.LBB777_930:                            ;   in Loop: Header=BB777_788 Depth=1
	s_or_b64 exec, exec, s[18:19]
.LBB777_931:                            ;   in Loop: Header=BB777_788 Depth=1
	s_or_b64 exec, exec, s[16:17]
.LBB777_932:                            ;   in Loop: Header=BB777_788 Depth=1
	s_or_b64 exec, exec, s[14:15]
	buffer_load_dword v6, v11, s[0:3], 0 offen offset:24
	buffer_load_dword v4, v11, s[0:3], 0 offen offset:28
	v_perm_b32 v15, v17, v15, s26
	v_perm_b32 v14, v14, v13, s26
	;; [unrolled: 1-line block ×4, first 2 shown]
	v_mfma_f32_4x4x4bf16_1k a[0:3], v[2:3], v[14:15], a[0:3] cbsz:4 abid:4
	s_waitcnt vmcnt(1)
	v_cmp_ne_u16_sdwa s[16:17], v6, v9 src0_sel:BYTE_0 src1_sel:DWORD
	v_mfma_f32_4x4x4bf16_1k a[0:3], v[2:3], v[16:17], a[0:3] cbsz:4 abid:5
	s_and_saveexec_b64 s[14:15], s[16:17]
	s_cbranch_execz .LBB777_938
; %bb.933:                              ;   in Loop: Header=BB777_788 Depth=1
	v_cmp_ne_u16_sdwa s[18:19], v6, s22 src0_sel:BYTE_0 src1_sel:DWORD
	v_mov_b32_e32 v12, 0xffff8000
	s_and_saveexec_b64 s[16:17], s[18:19]
	s_cbranch_execz .LBB777_937
; %bb.934:                              ;   in Loop: Header=BB777_788 Depth=1
	v_and_b32_e32 v8, 0x7f, v6
	v_cmp_ne_u32_e32 vcc, s24, v8
	v_mov_b32_e32 v12, 0x7f80
	s_and_saveexec_b64 s[18:19], vcc
	s_cbranch_execz .LBB777_936
; %bb.935:                              ;   in Loop: Header=BB777_788 Depth=1
	v_and_b32_e32 v14, 7, v6
	v_ffbh_u32_e32 v12, v14
	v_min_u32_e32 v16, 32, v12
	v_subrev_u32_e32 v12, 28, v16
	v_lshlrev_b64 v[12:13], v12, v[6:7]
	v_lshrrev_b32_e32 v15, 3, v8
	v_sub_u32_e32 v13, 29, v16
	v_and_b32_e32 v12, 7, v12
	v_cmp_gt_u32_e32 vcc, 8, v8
	v_cndmask_b32_e32 v8, v15, v13, vcc
	v_cndmask_b32_e32 v12, v14, v12, vcc
	v_lshlrev_b32_e32 v13, 24, v6
	v_lshlrev_b32_e32 v12, 20, v12
	v_and_b32_e32 v13, 0x80000000, v13
	v_lshl_add_u32 v8, v8, 23, v10
	v_or3_b32 v8, v13, v8, v12
	v_lshrrev_b32_e32 v12, 16, v8
.LBB777_936:                            ;   in Loop: Header=BB777_788 Depth=1
	s_or_b64 exec, exec, s[18:19]
.LBB777_937:                            ;   in Loop: Header=BB777_788 Depth=1
	s_or_b64 exec, exec, s[16:17]
.LBB777_938:                            ;   in Loop: Header=BB777_788 Depth=1
	s_or_b64 exec, exec, s[14:15]
	v_lshrrev_b16_e32 v8, 8, v6
	v_cmp_ne_u16_e32 vcc, 0, v8
	v_mov_b32_e32 v15, 0
	v_mov_b32_e32 v14, 0
	s_and_saveexec_b64 s[14:15], vcc
	s_cbranch_execz .LBB777_944
; %bb.939:                              ;   in Loop: Header=BB777_788 Depth=1
	v_cmp_ne_u16_e32 vcc, s22, v8
	v_mov_b32_e32 v14, 0xffff8000
	s_and_saveexec_b64 s[16:17], vcc
	s_cbranch_execz .LBB777_943
; %bb.940:                              ;   in Loop: Header=BB777_788 Depth=1
	v_and_b32_e32 v13, 0x7f, v8
	v_cmp_ne_u32_e32 vcc, s24, v13
	v_mov_b32_e32 v14, 0x7f80
	s_and_saveexec_b64 s[18:19], vcc
	s_cbranch_execz .LBB777_942
; %bb.941:                              ;   in Loop: Header=BB777_788 Depth=1
	v_and_b32_e32 v14, 7, v8
	v_ffbh_u32_e32 v16, v14
	v_min_u32_e32 v19, 32, v16
	v_subrev_u32_e32 v16, 28, v19
	v_lshlrev_b64 v[16:17], v16, v[8:9]
	v_lshrrev_b32_e32 v18, 3, v13
	v_sub_u32_e32 v8, 29, v19
	v_and_b32_e32 v16, 7, v16
	v_cmp_gt_u32_e32 vcc, 8, v13
	v_cndmask_b32_e32 v8, v18, v8, vcc
	v_cndmask_b32_e32 v13, v14, v16, vcc
	v_lshlrev_b32_e32 v14, 16, v6
	v_lshlrev_b32_e32 v13, 20, v13
	v_and_b32_e32 v14, 0x80000000, v14
	v_lshl_add_u32 v8, v8, 23, v10
	v_or3_b32 v8, v14, v8, v13
	v_lshrrev_b32_e32 v14, 16, v8
.LBB777_942:                            ;   in Loop: Header=BB777_788 Depth=1
	s_or_b64 exec, exec, s[18:19]
.LBB777_943:                            ;   in Loop: Header=BB777_788 Depth=1
	s_or_b64 exec, exec, s[16:17]
.LBB777_944:                            ;   in Loop: Header=BB777_788 Depth=1
	s_or_b64 exec, exec, s[14:15]
	v_lshrrev_b32_e32 v8, 16, v6
	v_cmp_ne_u16_sdwa s[16:17], v8, v9 src0_sel:BYTE_0 src1_sel:DWORD
	s_and_saveexec_b64 s[14:15], s[16:17]
	s_cbranch_execz .LBB777_950
; %bb.945:                              ;   in Loop: Header=BB777_788 Depth=1
	v_cmp_ne_u16_sdwa s[18:19], v8, s22 src0_sel:BYTE_0 src1_sel:DWORD
	v_mov_b32_e32 v15, 0xffff8000
	s_and_saveexec_b64 s[16:17], s[18:19]
	s_cbranch_execz .LBB777_949
; %bb.946:                              ;   in Loop: Header=BB777_788 Depth=1
	v_bfe_u32 v13, v6, 16, 7
	v_cmp_ne_u32_e32 vcc, s24, v13
	v_mov_b32_e32 v15, 0x7f80
	s_and_saveexec_b64 s[18:19], vcc
	s_cbranch_execz .LBB777_948
; %bb.947:                              ;   in Loop: Header=BB777_788 Depth=1
	v_and_b32_e32 v15, 7, v8
	v_ffbh_u32_e32 v16, v15
	v_min_u32_e32 v19, 32, v16
	v_subrev_u32_e32 v16, 28, v19
	v_lshlrev_b64 v[16:17], v16, v[8:9]
	v_lshrrev_b32_e32 v18, 3, v13
	v_sub_u32_e32 v17, 29, v19
	v_and_b32_e32 v16, 7, v16
	v_cmp_gt_u32_e32 vcc, 8, v13
	v_cndmask_b32_e32 v13, v18, v17, vcc
	v_cndmask_b32_e32 v15, v15, v16, vcc
	v_lshlrev_b32_e32 v8, 24, v8
	v_lshlrev_b32_e32 v15, 20, v15
	v_and_b32_e32 v8, 0x80000000, v8
	v_lshl_add_u32 v13, v13, 23, v10
	v_or3_b32 v8, v8, v13, v15
	v_lshrrev_b32_e32 v15, 16, v8
.LBB777_948:                            ;   in Loop: Header=BB777_788 Depth=1
	s_or_b64 exec, exec, s[18:19]
.LBB777_949:                            ;   in Loop: Header=BB777_788 Depth=1
	s_or_b64 exec, exec, s[16:17]
.LBB777_950:                            ;   in Loop: Header=BB777_788 Depth=1
	s_or_b64 exec, exec, s[14:15]
	v_cmp_lt_u32_e32 vcc, s25, v6
	v_mov_b32_e32 v16, 0
	v_mov_b32_e32 v17, 0
	s_and_saveexec_b64 s[14:15], vcc
	s_cbranch_execz .LBB777_956
; %bb.951:                              ;   in Loop: Header=BB777_788 Depth=1
	v_lshrrev_b32_e32 v8, 24, v6
	v_cmp_ne_u32_e32 vcc, s22, v8
	v_mov_b32_e32 v17, 0xffff8000
	s_and_saveexec_b64 s[16:17], vcc
	s_cbranch_execz .LBB777_955
; %bb.952:                              ;   in Loop: Header=BB777_788 Depth=1
	v_bfe_u32 v6, v6, 24, 7
	v_cmp_ne_u32_e32 vcc, s24, v6
	v_mov_b32_e32 v17, 0x7f80
	s_and_saveexec_b64 s[18:19], vcc
	s_cbranch_execz .LBB777_954
; %bb.953:                              ;   in Loop: Header=BB777_788 Depth=1
	v_and_b32_e32 v13, 7, v8
	v_ffbh_u32_e32 v18, v13
	v_min_u32_e32 v20, 32, v18
	v_subrev_u32_e32 v18, 28, v20
	v_lshlrev_b64 v[18:19], v18, v[8:9]
	v_lshrrev_b32_e32 v17, 3, v6
	v_sub_u32_e32 v19, 29, v20
	v_and_b32_e32 v18, 7, v18
	v_cmp_gt_u32_e32 vcc, 8, v6
	v_cndmask_b32_e32 v6, v17, v19, vcc
	v_cndmask_b32_e32 v13, v13, v18, vcc
	v_lshlrev_b32_e32 v8, 24, v8
	v_lshlrev_b32_e32 v13, 20, v13
	v_and_b32_e32 v8, 0x80000000, v8
	v_lshl_add_u32 v6, v6, 23, v10
	v_or3_b32 v6, v8, v6, v13
	v_lshrrev_b32_e32 v17, 16, v6
.LBB777_954:                            ;   in Loop: Header=BB777_788 Depth=1
	s_or_b64 exec, exec, s[18:19]
.LBB777_955:                            ;   in Loop: Header=BB777_788 Depth=1
	s_or_b64 exec, exec, s[16:17]
.LBB777_956:                            ;   in Loop: Header=BB777_788 Depth=1
	s_or_b64 exec, exec, s[14:15]
	s_waitcnt vmcnt(0)
	v_cmp_ne_u16_sdwa s[16:17], v4, v9 src0_sel:BYTE_0 src1_sel:DWORD
	s_and_saveexec_b64 s[14:15], s[16:17]
	s_cbranch_execz .LBB777_962
; %bb.957:                              ;   in Loop: Header=BB777_788 Depth=1
	v_cmp_ne_u16_sdwa s[18:19], v4, s22 src0_sel:BYTE_0 src1_sel:DWORD
	v_mov_b32_e32 v16, 0xffff8000
	s_and_saveexec_b64 s[16:17], s[18:19]
	s_cbranch_execz .LBB777_961
; %bb.958:                              ;   in Loop: Header=BB777_788 Depth=1
	v_and_b32_e32 v6, 0x7f, v4
	v_cmp_ne_u32_e32 vcc, s24, v6
	v_mov_b32_e32 v16, 0x7f80
	s_and_saveexec_b64 s[18:19], vcc
	s_cbranch_execz .LBB777_960
; %bb.959:                              ;   in Loop: Header=BB777_788 Depth=1
	v_and_b32_e32 v8, 7, v4
	v_ffbh_u32_e32 v16, v8
	v_min_u32_e32 v16, 32, v16
	v_subrev_u32_e32 v18, 28, v16
	v_lshlrev_b64 v[18:19], v18, v[4:5]
	v_lshrrev_b32_e32 v13, 3, v6
	v_sub_u32_e32 v16, 29, v16
	v_and_b32_e32 v18, 7, v18
	v_cmp_gt_u32_e32 vcc, 8, v6
	v_cndmask_b32_e32 v6, v13, v16, vcc
	v_cndmask_b32_e32 v8, v8, v18, vcc
	v_lshlrev_b32_e32 v13, 24, v4
	v_lshlrev_b32_e32 v8, 20, v8
	v_and_b32_e32 v13, 0x80000000, v13
	v_lshl_add_u32 v6, v6, 23, v10
	v_or3_b32 v6, v13, v6, v8
	v_lshrrev_b32_e32 v16, 16, v6
.LBB777_960:                            ;   in Loop: Header=BB777_788 Depth=1
	s_or_b64 exec, exec, s[18:19]
.LBB777_961:                            ;   in Loop: Header=BB777_788 Depth=1
	s_or_b64 exec, exec, s[16:17]
.LBB777_962:                            ;   in Loop: Header=BB777_788 Depth=1
	s_or_b64 exec, exec, s[14:15]
	v_lshrrev_b16_e32 v6, 8, v4
	v_cmp_ne_u16_e32 vcc, 0, v6
	v_mov_b32_e32 v18, 0
	v_mov_b32_e32 v8, 0
	s_and_saveexec_b64 s[14:15], vcc
	s_cbranch_execz .LBB777_968
; %bb.963:                              ;   in Loop: Header=BB777_788 Depth=1
	v_cmp_ne_u16_e32 vcc, s22, v6
	v_mov_b32_e32 v8, 0xffff8000
	s_and_saveexec_b64 s[16:17], vcc
	s_cbranch_execz .LBB777_967
; %bb.964:                              ;   in Loop: Header=BB777_788 Depth=1
	v_and_b32_e32 v13, 0x7f, v6
	v_cmp_ne_u32_e32 vcc, s24, v13
	v_mov_b32_e32 v8, 0x7f80
	s_and_saveexec_b64 s[18:19], vcc
	s_cbranch_execz .LBB777_966
; %bb.965:                              ;   in Loop: Header=BB777_788 Depth=1
	v_and_b32_e32 v8, 7, v6
	v_ffbh_u32_e32 v20, v8
	v_min_u32_e32 v22, 32, v20
	v_subrev_u32_e32 v20, 28, v22
	v_lshlrev_b64 v[20:21], v20, v[6:7]
	v_lshrrev_b32_e32 v19, 3, v13
	v_sub_u32_e32 v6, 29, v22
	v_and_b32_e32 v20, 7, v20
	v_cmp_gt_u32_e32 vcc, 8, v13
	v_cndmask_b32_e32 v6, v19, v6, vcc
	v_cndmask_b32_e32 v8, v8, v20, vcc
	v_lshlrev_b32_e32 v13, 16, v4
	v_lshlrev_b32_e32 v8, 20, v8
	v_and_b32_e32 v13, 0x80000000, v13
	v_lshl_add_u32 v6, v6, 23, v10
	v_or3_b32 v6, v13, v6, v8
	v_lshrrev_b32_e32 v8, 16, v6
.LBB777_966:                            ;   in Loop: Header=BB777_788 Depth=1
	s_or_b64 exec, exec, s[18:19]
.LBB777_967:                            ;   in Loop: Header=BB777_788 Depth=1
	s_or_b64 exec, exec, s[16:17]
.LBB777_968:                            ;   in Loop: Header=BB777_788 Depth=1
	s_or_b64 exec, exec, s[14:15]
	v_lshrrev_b32_e32 v6, 16, v4
	v_cmp_ne_u16_sdwa s[16:17], v6, v9 src0_sel:BYTE_0 src1_sel:DWORD
	s_and_saveexec_b64 s[14:15], s[16:17]
	s_cbranch_execz .LBB777_974
; %bb.969:                              ;   in Loop: Header=BB777_788 Depth=1
	v_cmp_ne_u16_sdwa s[18:19], v6, s22 src0_sel:BYTE_0 src1_sel:DWORD
	v_mov_b32_e32 v18, 0xffff8000
	s_and_saveexec_b64 s[16:17], s[18:19]
	s_cbranch_execz .LBB777_973
; %bb.970:                              ;   in Loop: Header=BB777_788 Depth=1
	v_bfe_u32 v13, v4, 16, 7
	v_cmp_ne_u32_e32 vcc, s24, v13
	v_mov_b32_e32 v18, 0x7f80
	s_and_saveexec_b64 s[18:19], vcc
	s_cbranch_execz .LBB777_972
; %bb.971:                              ;   in Loop: Header=BB777_788 Depth=1
	v_and_b32_e32 v20, 7, v6
	v_ffbh_u32_e32 v18, v20
	v_min_u32_e32 v22, 32, v18
	v_subrev_u32_e32 v18, 28, v22
	v_lshlrev_b64 v[18:19], v18, v[6:7]
	v_lshrrev_b32_e32 v21, 3, v13
	v_sub_u32_e32 v19, 29, v22
	v_and_b32_e32 v18, 7, v18
	v_cmp_gt_u32_e32 vcc, 8, v13
	v_cndmask_b32_e32 v13, v21, v19, vcc
	v_cndmask_b32_e32 v18, v20, v18, vcc
	v_lshlrev_b32_e32 v6, 24, v6
	v_lshlrev_b32_e32 v18, 20, v18
	v_and_b32_e32 v6, 0x80000000, v6
	v_lshl_add_u32 v13, v13, 23, v10
	v_or3_b32 v6, v6, v13, v18
	v_lshrrev_b32_e32 v18, 16, v6
.LBB777_972:                            ;   in Loop: Header=BB777_788 Depth=1
	s_or_b64 exec, exec, s[18:19]
.LBB777_973:                            ;   in Loop: Header=BB777_788 Depth=1
	s_or_b64 exec, exec, s[16:17]
.LBB777_974:                            ;   in Loop: Header=BB777_788 Depth=1
	s_or_b64 exec, exec, s[14:15]
	v_cmp_lt_u32_e32 vcc, s25, v4
	v_mov_b32_e32 v13, 0
	v_mov_b32_e32 v19, 0
	s_and_saveexec_b64 s[14:15], vcc
	s_cbranch_execz .LBB777_980
; %bb.975:                              ;   in Loop: Header=BB777_788 Depth=1
	v_lshrrev_b32_e32 v6, 24, v4
	v_cmp_ne_u32_e32 vcc, s22, v6
	v_mov_b32_e32 v19, 0xffff8000
	s_and_saveexec_b64 s[16:17], vcc
	s_cbranch_execz .LBB777_979
; %bb.976:                              ;   in Loop: Header=BB777_788 Depth=1
	v_bfe_u32 v4, v4, 24, 7
	v_cmp_ne_u32_e32 vcc, s24, v4
	v_mov_b32_e32 v19, 0x7f80
	s_and_saveexec_b64 s[18:19], vcc
	s_cbranch_execz .LBB777_978
; %bb.977:                              ;   in Loop: Header=BB777_788 Depth=1
	v_and_b32_e32 v19, 7, v6
	v_ffbh_u32_e32 v20, v19
	v_min_u32_e32 v23, 32, v20
	v_subrev_u32_e32 v20, 28, v23
	v_lshlrev_b64 v[20:21], v20, v[6:7]
	v_lshrrev_b32_e32 v22, 3, v4
	v_sub_u32_e32 v21, 29, v23
	v_and_b32_e32 v20, 7, v20
	v_cmp_gt_u32_e32 vcc, 8, v4
	v_cndmask_b32_e32 v4, v22, v21, vcc
	v_cndmask_b32_e32 v19, v19, v20, vcc
	v_lshlrev_b32_e32 v6, 24, v6
	v_lshlrev_b32_e32 v19, 20, v19
	v_and_b32_e32 v6, 0x80000000, v6
	v_lshl_add_u32 v4, v4, 23, v10
	v_or3_b32 v4, v6, v4, v19
	v_lshrrev_b32_e32 v19, 16, v4
.LBB777_978:                            ;   in Loop: Header=BB777_788 Depth=1
	s_or_b64 exec, exec, s[18:19]
.LBB777_979:                            ;   in Loop: Header=BB777_788 Depth=1
	s_or_b64 exec, exec, s[16:17]
.LBB777_980:                            ;   in Loop: Header=BB777_788 Depth=1
	s_or_b64 exec, exec, s[14:15]
	buffer_load_dword v6, v11, s[0:3], 0 offen offset:32
	buffer_load_dword v4, v11, s[0:3], 0 offen offset:36
	v_perm_b32 v15, v17, v15, s26
	v_perm_b32 v14, v14, v12, s26
	;; [unrolled: 1-line block ×4, first 2 shown]
	v_mfma_f32_4x4x4bf16_1k a[0:3], v[2:3], v[14:15], a[0:3] cbsz:4 abid:6
	s_waitcnt vmcnt(1)
	v_cmp_ne_u16_sdwa s[16:17], v6, v9 src0_sel:BYTE_0 src1_sel:DWORD
	v_mfma_f32_4x4x4bf16_1k a[0:3], v[2:3], v[16:17], a[0:3] cbsz:4 abid:7
	s_and_saveexec_b64 s[14:15], s[16:17]
	s_cbranch_execz .LBB777_986
; %bb.981:                              ;   in Loop: Header=BB777_788 Depth=1
	v_cmp_ne_u16_sdwa s[18:19], v6, s22 src0_sel:BYTE_0 src1_sel:DWORD
	v_mov_b32_e32 v13, 0xffff8000
	s_and_saveexec_b64 s[16:17], s[18:19]
	s_cbranch_execz .LBB777_985
; %bb.982:                              ;   in Loop: Header=BB777_788 Depth=1
	v_and_b32_e32 v8, 0x7f, v6
	v_cmp_ne_u32_e32 vcc, s24, v8
	v_mov_b32_e32 v13, 0x7f80
	s_and_saveexec_b64 s[18:19], vcc
	s_cbranch_execz .LBB777_984
; %bb.983:                              ;   in Loop: Header=BB777_788 Depth=1
	v_and_b32_e32 v14, 7, v6
	v_ffbh_u32_e32 v12, v14
	v_min_u32_e32 v16, 32, v12
	v_subrev_u32_e32 v12, 28, v16
	v_lshlrev_b64 v[12:13], v12, v[6:7]
	v_lshrrev_b32_e32 v15, 3, v8
	v_sub_u32_e32 v13, 29, v16
	v_and_b32_e32 v12, 7, v12
	v_cmp_gt_u32_e32 vcc, 8, v8
	v_cndmask_b32_e32 v8, v15, v13, vcc
	v_cndmask_b32_e32 v12, v14, v12, vcc
	v_lshlrev_b32_e32 v13, 24, v6
	v_lshlrev_b32_e32 v12, 20, v12
	v_and_b32_e32 v13, 0x80000000, v13
	v_lshl_add_u32 v8, v8, 23, v10
	v_or3_b32 v8, v13, v8, v12
	v_lshrrev_b32_e32 v13, 16, v8
.LBB777_984:                            ;   in Loop: Header=BB777_788 Depth=1
	s_or_b64 exec, exec, s[18:19]
.LBB777_985:                            ;   in Loop: Header=BB777_788 Depth=1
	s_or_b64 exec, exec, s[16:17]
.LBB777_986:                            ;   in Loop: Header=BB777_788 Depth=1
	s_or_b64 exec, exec, s[14:15]
	v_lshrrev_b16_e32 v8, 8, v6
	v_cmp_ne_u16_e32 vcc, 0, v8
	v_mov_b32_e32 v15, 0
	v_mov_b32_e32 v12, 0
	s_and_saveexec_b64 s[14:15], vcc
	s_cbranch_execz .LBB777_992
; %bb.987:                              ;   in Loop: Header=BB777_788 Depth=1
	v_cmp_ne_u16_e32 vcc, s22, v8
	v_mov_b32_e32 v12, 0xffff8000
	s_and_saveexec_b64 s[16:17], vcc
	s_cbranch_execz .LBB777_991
; %bb.988:                              ;   in Loop: Header=BB777_788 Depth=1
	v_and_b32_e32 v14, 0x7f, v8
	v_cmp_ne_u32_e32 vcc, s24, v14
	v_mov_b32_e32 v12, 0x7f80
	s_and_saveexec_b64 s[18:19], vcc
	s_cbranch_execz .LBB777_990
; %bb.989:                              ;   in Loop: Header=BB777_788 Depth=1
	v_and_b32_e32 v12, 7, v8
	v_ffbh_u32_e32 v16, v12
	v_min_u32_e32 v19, 32, v16
	v_subrev_u32_e32 v16, 28, v19
	v_lshlrev_b64 v[16:17], v16, v[8:9]
	v_lshrrev_b32_e32 v18, 3, v14
	v_sub_u32_e32 v8, 29, v19
	v_and_b32_e32 v16, 7, v16
	v_cmp_gt_u32_e32 vcc, 8, v14
	v_cndmask_b32_e32 v8, v18, v8, vcc
	v_cndmask_b32_e32 v12, v12, v16, vcc
	v_lshlrev_b32_e32 v14, 16, v6
	v_lshlrev_b32_e32 v12, 20, v12
	v_and_b32_e32 v14, 0x80000000, v14
	v_lshl_add_u32 v8, v8, 23, v10
	v_or3_b32 v8, v14, v8, v12
	v_lshrrev_b32_e32 v12, 16, v8
.LBB777_990:                            ;   in Loop: Header=BB777_788 Depth=1
	s_or_b64 exec, exec, s[18:19]
.LBB777_991:                            ;   in Loop: Header=BB777_788 Depth=1
	s_or_b64 exec, exec, s[16:17]
.LBB777_992:                            ;   in Loop: Header=BB777_788 Depth=1
	s_or_b64 exec, exec, s[14:15]
	v_lshrrev_b32_e32 v8, 16, v6
	v_cmp_ne_u16_sdwa s[16:17], v8, v9 src0_sel:BYTE_0 src1_sel:DWORD
	s_and_saveexec_b64 s[14:15], s[16:17]
	s_cbranch_execz .LBB777_998
; %bb.993:                              ;   in Loop: Header=BB777_788 Depth=1
	v_cmp_ne_u16_sdwa s[18:19], v8, s22 src0_sel:BYTE_0 src1_sel:DWORD
	v_mov_b32_e32 v15, 0xffff8000
	s_and_saveexec_b64 s[16:17], s[18:19]
	s_cbranch_execz .LBB777_997
; %bb.994:                              ;   in Loop: Header=BB777_788 Depth=1
	v_bfe_u32 v14, v6, 16, 7
	v_cmp_ne_u32_e32 vcc, s24, v14
	v_mov_b32_e32 v15, 0x7f80
	s_and_saveexec_b64 s[18:19], vcc
	s_cbranch_execz .LBB777_996
; %bb.995:                              ;   in Loop: Header=BB777_788 Depth=1
	v_and_b32_e32 v15, 7, v8
	v_ffbh_u32_e32 v16, v15
	v_min_u32_e32 v19, 32, v16
	v_subrev_u32_e32 v16, 28, v19
	v_lshlrev_b64 v[16:17], v16, v[8:9]
	v_lshrrev_b32_e32 v18, 3, v14
	v_sub_u32_e32 v17, 29, v19
	v_and_b32_e32 v16, 7, v16
	v_cmp_gt_u32_e32 vcc, 8, v14
	v_cndmask_b32_e32 v14, v18, v17, vcc
	v_cndmask_b32_e32 v15, v15, v16, vcc
	v_lshlrev_b32_e32 v8, 24, v8
	v_lshlrev_b32_e32 v15, 20, v15
	v_and_b32_e32 v8, 0x80000000, v8
	v_lshl_add_u32 v14, v14, 23, v10
	v_or3_b32 v8, v8, v14, v15
	v_lshrrev_b32_e32 v15, 16, v8
.LBB777_996:                            ;   in Loop: Header=BB777_788 Depth=1
	s_or_b64 exec, exec, s[18:19]
.LBB777_997:                            ;   in Loop: Header=BB777_788 Depth=1
	s_or_b64 exec, exec, s[16:17]
.LBB777_998:                            ;   in Loop: Header=BB777_788 Depth=1
	s_or_b64 exec, exec, s[14:15]
	v_cmp_lt_u32_e32 vcc, s25, v6
	v_mov_b32_e32 v16, 0
	v_mov_b32_e32 v17, 0
	s_and_saveexec_b64 s[14:15], vcc
	s_cbranch_execz .LBB777_1004
; %bb.999:                              ;   in Loop: Header=BB777_788 Depth=1
	v_lshrrev_b32_e32 v8, 24, v6
	v_cmp_ne_u32_e32 vcc, s22, v8
	v_mov_b32_e32 v17, 0xffff8000
	s_and_saveexec_b64 s[16:17], vcc
	s_cbranch_execz .LBB777_1003
; %bb.1000:                             ;   in Loop: Header=BB777_788 Depth=1
	v_bfe_u32 v6, v6, 24, 7
	v_cmp_ne_u32_e32 vcc, s24, v6
	v_mov_b32_e32 v17, 0x7f80
	s_and_saveexec_b64 s[18:19], vcc
	s_cbranch_execz .LBB777_1002
; %bb.1001:                             ;   in Loop: Header=BB777_788 Depth=1
	v_and_b32_e32 v14, 7, v8
	v_ffbh_u32_e32 v18, v14
	v_min_u32_e32 v20, 32, v18
	v_subrev_u32_e32 v18, 28, v20
	v_lshlrev_b64 v[18:19], v18, v[8:9]
	v_lshrrev_b32_e32 v17, 3, v6
	v_sub_u32_e32 v19, 29, v20
	v_and_b32_e32 v18, 7, v18
	v_cmp_gt_u32_e32 vcc, 8, v6
	v_cndmask_b32_e32 v6, v17, v19, vcc
	v_cndmask_b32_e32 v14, v14, v18, vcc
	v_lshlrev_b32_e32 v8, 24, v8
	v_lshlrev_b32_e32 v14, 20, v14
	v_and_b32_e32 v8, 0x80000000, v8
	v_lshl_add_u32 v6, v6, 23, v10
	v_or3_b32 v6, v8, v6, v14
	v_lshrrev_b32_e32 v17, 16, v6
.LBB777_1002:                           ;   in Loop: Header=BB777_788 Depth=1
	s_or_b64 exec, exec, s[18:19]
.LBB777_1003:                           ;   in Loop: Header=BB777_788 Depth=1
	s_or_b64 exec, exec, s[16:17]
.LBB777_1004:                           ;   in Loop: Header=BB777_788 Depth=1
	s_or_b64 exec, exec, s[14:15]
	s_waitcnt vmcnt(0)
	v_cmp_ne_u16_sdwa s[16:17], v4, v9 src0_sel:BYTE_0 src1_sel:DWORD
	s_and_saveexec_b64 s[14:15], s[16:17]
	s_cbranch_execz .LBB777_1010
; %bb.1005:                             ;   in Loop: Header=BB777_788 Depth=1
	v_cmp_ne_u16_sdwa s[18:19], v4, s22 src0_sel:BYTE_0 src1_sel:DWORD
	v_mov_b32_e32 v16, 0xffff8000
	s_and_saveexec_b64 s[16:17], s[18:19]
	s_cbranch_execz .LBB777_1009
; %bb.1006:                             ;   in Loop: Header=BB777_788 Depth=1
	v_and_b32_e32 v6, 0x7f, v4
	v_cmp_ne_u32_e32 vcc, s24, v6
	v_mov_b32_e32 v16, 0x7f80
	s_and_saveexec_b64 s[18:19], vcc
	s_cbranch_execz .LBB777_1008
; %bb.1007:                             ;   in Loop: Header=BB777_788 Depth=1
	v_and_b32_e32 v8, 7, v4
	v_ffbh_u32_e32 v16, v8
	v_min_u32_e32 v16, 32, v16
	v_subrev_u32_e32 v18, 28, v16
	v_lshlrev_b64 v[18:19], v18, v[4:5]
	v_lshrrev_b32_e32 v14, 3, v6
	v_sub_u32_e32 v16, 29, v16
	v_and_b32_e32 v18, 7, v18
	v_cmp_gt_u32_e32 vcc, 8, v6
	v_cndmask_b32_e32 v6, v14, v16, vcc
	v_cndmask_b32_e32 v8, v8, v18, vcc
	v_lshlrev_b32_e32 v14, 24, v4
	v_lshlrev_b32_e32 v8, 20, v8
	v_and_b32_e32 v14, 0x80000000, v14
	v_lshl_add_u32 v6, v6, 23, v10
	v_or3_b32 v6, v14, v6, v8
	v_lshrrev_b32_e32 v16, 16, v6
.LBB777_1008:                           ;   in Loop: Header=BB777_788 Depth=1
	s_or_b64 exec, exec, s[18:19]
.LBB777_1009:                           ;   in Loop: Header=BB777_788 Depth=1
	s_or_b64 exec, exec, s[16:17]
.LBB777_1010:                           ;   in Loop: Header=BB777_788 Depth=1
	s_or_b64 exec, exec, s[14:15]
	v_lshrrev_b16_e32 v6, 8, v4
	v_cmp_ne_u16_e32 vcc, 0, v6
	v_mov_b32_e32 v18, 0
	v_mov_b32_e32 v8, 0
	s_and_saveexec_b64 s[14:15], vcc
	s_cbranch_execz .LBB777_1016
; %bb.1011:                             ;   in Loop: Header=BB777_788 Depth=1
	v_cmp_ne_u16_e32 vcc, s22, v6
	v_mov_b32_e32 v8, 0xffff8000
	s_and_saveexec_b64 s[16:17], vcc
	s_cbranch_execz .LBB777_1015
; %bb.1012:                             ;   in Loop: Header=BB777_788 Depth=1
	v_and_b32_e32 v14, 0x7f, v6
	v_cmp_ne_u32_e32 vcc, s24, v14
	v_mov_b32_e32 v8, 0x7f80
	s_and_saveexec_b64 s[18:19], vcc
	s_cbranch_execz .LBB777_1014
; %bb.1013:                             ;   in Loop: Header=BB777_788 Depth=1
	v_and_b32_e32 v8, 7, v6
	v_ffbh_u32_e32 v20, v8
	v_min_u32_e32 v22, 32, v20
	v_subrev_u32_e32 v20, 28, v22
	v_lshlrev_b64 v[20:21], v20, v[6:7]
	v_lshrrev_b32_e32 v19, 3, v14
	v_sub_u32_e32 v6, 29, v22
	v_and_b32_e32 v20, 7, v20
	v_cmp_gt_u32_e32 vcc, 8, v14
	v_cndmask_b32_e32 v6, v19, v6, vcc
	v_cndmask_b32_e32 v8, v8, v20, vcc
	v_lshlrev_b32_e32 v14, 16, v4
	v_lshlrev_b32_e32 v8, 20, v8
	v_and_b32_e32 v14, 0x80000000, v14
	v_lshl_add_u32 v6, v6, 23, v10
	v_or3_b32 v6, v14, v6, v8
	v_lshrrev_b32_e32 v8, 16, v6
.LBB777_1014:                           ;   in Loop: Header=BB777_788 Depth=1
	s_or_b64 exec, exec, s[18:19]
.LBB777_1015:                           ;   in Loop: Header=BB777_788 Depth=1
	s_or_b64 exec, exec, s[16:17]
.LBB777_1016:                           ;   in Loop: Header=BB777_788 Depth=1
	s_or_b64 exec, exec, s[14:15]
	v_lshrrev_b32_e32 v6, 16, v4
	v_cmp_ne_u16_sdwa s[16:17], v6, v9 src0_sel:BYTE_0 src1_sel:DWORD
	s_and_saveexec_b64 s[14:15], s[16:17]
	s_cbranch_execz .LBB777_1022
; %bb.1017:                             ;   in Loop: Header=BB777_788 Depth=1
	v_cmp_ne_u16_sdwa s[18:19], v6, s22 src0_sel:BYTE_0 src1_sel:DWORD
	v_mov_b32_e32 v18, 0xffff8000
	s_and_saveexec_b64 s[16:17], s[18:19]
	s_cbranch_execz .LBB777_1021
; %bb.1018:                             ;   in Loop: Header=BB777_788 Depth=1
	v_bfe_u32 v14, v4, 16, 7
	v_cmp_ne_u32_e32 vcc, s24, v14
	v_mov_b32_e32 v18, 0x7f80
	s_and_saveexec_b64 s[18:19], vcc
	s_cbranch_execz .LBB777_1020
; %bb.1019:                             ;   in Loop: Header=BB777_788 Depth=1
	v_and_b32_e32 v20, 7, v6
	v_ffbh_u32_e32 v18, v20
	v_min_u32_e32 v22, 32, v18
	v_subrev_u32_e32 v18, 28, v22
	v_lshlrev_b64 v[18:19], v18, v[6:7]
	v_lshrrev_b32_e32 v21, 3, v14
	v_sub_u32_e32 v19, 29, v22
	v_and_b32_e32 v18, 7, v18
	v_cmp_gt_u32_e32 vcc, 8, v14
	v_cndmask_b32_e32 v14, v21, v19, vcc
	v_cndmask_b32_e32 v18, v20, v18, vcc
	v_lshlrev_b32_e32 v6, 24, v6
	v_lshlrev_b32_e32 v18, 20, v18
	v_and_b32_e32 v6, 0x80000000, v6
	v_lshl_add_u32 v14, v14, 23, v10
	v_or3_b32 v6, v6, v14, v18
	v_lshrrev_b32_e32 v18, 16, v6
.LBB777_1020:                           ;   in Loop: Header=BB777_788 Depth=1
	s_or_b64 exec, exec, s[18:19]
.LBB777_1021:                           ;   in Loop: Header=BB777_788 Depth=1
	s_or_b64 exec, exec, s[16:17]
.LBB777_1022:                           ;   in Loop: Header=BB777_788 Depth=1
	s_or_b64 exec, exec, s[14:15]
	v_cmp_lt_u32_e32 vcc, s25, v4
	v_mov_b32_e32 v14, 0
	v_mov_b32_e32 v19, 0
	s_and_saveexec_b64 s[14:15], vcc
	s_cbranch_execz .LBB777_1028
; %bb.1023:                             ;   in Loop: Header=BB777_788 Depth=1
	v_lshrrev_b32_e32 v6, 24, v4
	v_cmp_ne_u32_e32 vcc, s22, v6
	v_mov_b32_e32 v19, 0xffff8000
	s_and_saveexec_b64 s[16:17], vcc
	s_cbranch_execz .LBB777_1027
; %bb.1024:                             ;   in Loop: Header=BB777_788 Depth=1
	v_bfe_u32 v4, v4, 24, 7
	v_cmp_ne_u32_e32 vcc, s24, v4
	v_mov_b32_e32 v19, 0x7f80
	s_and_saveexec_b64 s[18:19], vcc
	s_cbranch_execz .LBB777_1026
; %bb.1025:                             ;   in Loop: Header=BB777_788 Depth=1
	v_and_b32_e32 v19, 7, v6
	v_ffbh_u32_e32 v20, v19
	v_min_u32_e32 v23, 32, v20
	v_subrev_u32_e32 v20, 28, v23
	v_lshlrev_b64 v[20:21], v20, v[6:7]
	v_lshrrev_b32_e32 v22, 3, v4
	v_sub_u32_e32 v21, 29, v23
	v_and_b32_e32 v20, 7, v20
	v_cmp_gt_u32_e32 vcc, 8, v4
	v_cndmask_b32_e32 v4, v22, v21, vcc
	v_cndmask_b32_e32 v19, v19, v20, vcc
	v_lshlrev_b32_e32 v6, 24, v6
	v_lshlrev_b32_e32 v19, 20, v19
	v_and_b32_e32 v6, 0x80000000, v6
	v_lshl_add_u32 v4, v4, 23, v10
	v_or3_b32 v4, v6, v4, v19
	v_lshrrev_b32_e32 v19, 16, v4
.LBB777_1026:                           ;   in Loop: Header=BB777_788 Depth=1
	s_or_b64 exec, exec, s[18:19]
.LBB777_1027:                           ;   in Loop: Header=BB777_788 Depth=1
	s_or_b64 exec, exec, s[16:17]
.LBB777_1028:                           ;   in Loop: Header=BB777_788 Depth=1
	s_or_b64 exec, exec, s[14:15]
	buffer_load_dword v6, v11, s[0:3], 0 offen offset:40
	buffer_load_dword v4, v11, s[0:3], 0 offen offset:44
	v_perm_b32 v21, v17, v15, s26
	v_perm_b32 v20, v12, v13, s26
	;; [unrolled: 1-line block ×4, first 2 shown]
	v_mfma_f32_4x4x4bf16_1k a[0:3], v[2:3], v[20:21], a[0:3] cbsz:4 abid:8
	s_waitcnt vmcnt(1)
	v_cmp_ne_u16_sdwa s[16:17], v6, v9 src0_sel:BYTE_0 src1_sel:DWORD
	v_mfma_f32_4x4x4bf16_1k a[0:3], v[2:3], v[12:13], a[0:3] cbsz:4 abid:9
	s_and_saveexec_b64 s[14:15], s[16:17]
	s_cbranch_execz .LBB777_1034
; %bb.1029:                             ;   in Loop: Header=BB777_788 Depth=1
	v_cmp_ne_u16_sdwa s[18:19], v6, s22 src0_sel:BYTE_0 src1_sel:DWORD
	v_mov_b32_e32 v14, 0xffff8000
	s_and_saveexec_b64 s[16:17], s[18:19]
	s_cbranch_execz .LBB777_1033
; %bb.1030:                             ;   in Loop: Header=BB777_788 Depth=1
	v_and_b32_e32 v8, 0x7f, v6
	v_cmp_ne_u32_e32 vcc, s24, v8
	v_mov_b32_e32 v14, 0x7f80
	s_and_saveexec_b64 s[18:19], vcc
	s_cbranch_execz .LBB777_1032
; %bb.1031:                             ;   in Loop: Header=BB777_788 Depth=1
	v_and_b32_e32 v14, 7, v6
	v_ffbh_u32_e32 v12, v14
	v_min_u32_e32 v16, 32, v12
	v_subrev_u32_e32 v12, 28, v16
	v_lshlrev_b64 v[12:13], v12, v[6:7]
	v_lshrrev_b32_e32 v15, 3, v8
	v_sub_u32_e32 v13, 29, v16
	v_and_b32_e32 v12, 7, v12
	v_cmp_gt_u32_e32 vcc, 8, v8
	v_cndmask_b32_e32 v8, v15, v13, vcc
	v_cndmask_b32_e32 v12, v14, v12, vcc
	v_lshlrev_b32_e32 v13, 24, v6
	v_lshlrev_b32_e32 v12, 20, v12
	v_and_b32_e32 v13, 0x80000000, v13
	v_lshl_add_u32 v8, v8, 23, v10
	v_or3_b32 v8, v13, v8, v12
	v_lshrrev_b32_e32 v14, 16, v8
.LBB777_1032:                           ;   in Loop: Header=BB777_788 Depth=1
	s_or_b64 exec, exec, s[18:19]
.LBB777_1033:                           ;   in Loop: Header=BB777_788 Depth=1
	s_or_b64 exec, exec, s[16:17]
.LBB777_1034:                           ;   in Loop: Header=BB777_788 Depth=1
	s_or_b64 exec, exec, s[14:15]
	v_lshrrev_b16_e32 v8, 8, v6
	v_cmp_ne_u16_e32 vcc, 0, v8
	v_mov_b32_e32 v15, 0
	v_mov_b32_e32 v13, 0
	s_and_saveexec_b64 s[14:15], vcc
	s_cbranch_execz .LBB777_1040
; %bb.1035:                             ;   in Loop: Header=BB777_788 Depth=1
	v_cmp_ne_u16_e32 vcc, s22, v8
	v_mov_b32_e32 v13, 0xffff8000
	s_and_saveexec_b64 s[16:17], vcc
	s_cbranch_execz .LBB777_1039
; %bb.1036:                             ;   in Loop: Header=BB777_788 Depth=1
	v_and_b32_e32 v12, 0x7f, v8
	v_cmp_ne_u32_e32 vcc, s24, v12
	v_mov_b32_e32 v13, 0x7f80
	s_and_saveexec_b64 s[18:19], vcc
	s_cbranch_execz .LBB777_1038
; %bb.1037:                             ;   in Loop: Header=BB777_788 Depth=1
	v_and_b32_e32 v13, 7, v8
	v_ffbh_u32_e32 v16, v13
	v_min_u32_e32 v19, 32, v16
	v_subrev_u32_e32 v16, 28, v19
	v_lshlrev_b64 v[16:17], v16, v[8:9]
	v_lshrrev_b32_e32 v18, 3, v12
	v_sub_u32_e32 v8, 29, v19
	v_and_b32_e32 v16, 7, v16
	v_cmp_gt_u32_e32 vcc, 8, v12
	v_cndmask_b32_e32 v8, v18, v8, vcc
	v_cndmask_b32_e32 v12, v13, v16, vcc
	v_lshlrev_b32_e32 v13, 16, v6
	v_lshlrev_b32_e32 v12, 20, v12
	v_and_b32_e32 v13, 0x80000000, v13
	v_lshl_add_u32 v8, v8, 23, v10
	v_or3_b32 v8, v13, v8, v12
	v_lshrrev_b32_e32 v13, 16, v8
.LBB777_1038:                           ;   in Loop: Header=BB777_788 Depth=1
	s_or_b64 exec, exec, s[18:19]
.LBB777_1039:                           ;   in Loop: Header=BB777_788 Depth=1
	s_or_b64 exec, exec, s[16:17]
.LBB777_1040:                           ;   in Loop: Header=BB777_788 Depth=1
	s_or_b64 exec, exec, s[14:15]
	v_lshrrev_b32_e32 v8, 16, v6
	v_cmp_ne_u16_sdwa s[16:17], v8, v9 src0_sel:BYTE_0 src1_sel:DWORD
	s_and_saveexec_b64 s[14:15], s[16:17]
	s_cbranch_execz .LBB777_1046
; %bb.1041:                             ;   in Loop: Header=BB777_788 Depth=1
	v_cmp_ne_u16_sdwa s[18:19], v8, s22 src0_sel:BYTE_0 src1_sel:DWORD
	v_mov_b32_e32 v15, 0xffff8000
	s_and_saveexec_b64 s[16:17], s[18:19]
	s_cbranch_execz .LBB777_1045
; %bb.1042:                             ;   in Loop: Header=BB777_788 Depth=1
	v_bfe_u32 v12, v6, 16, 7
	v_cmp_ne_u32_e32 vcc, s24, v12
	v_mov_b32_e32 v15, 0x7f80
	s_and_saveexec_b64 s[18:19], vcc
	s_cbranch_execz .LBB777_1044
; %bb.1043:                             ;   in Loop: Header=BB777_788 Depth=1
	v_and_b32_e32 v15, 7, v8
	v_ffbh_u32_e32 v16, v15
	v_min_u32_e32 v19, 32, v16
	v_subrev_u32_e32 v16, 28, v19
	v_lshlrev_b64 v[16:17], v16, v[8:9]
	v_lshrrev_b32_e32 v18, 3, v12
	v_sub_u32_e32 v17, 29, v19
	v_and_b32_e32 v16, 7, v16
	v_cmp_gt_u32_e32 vcc, 8, v12
	v_cndmask_b32_e32 v12, v18, v17, vcc
	v_cndmask_b32_e32 v15, v15, v16, vcc
	v_lshlrev_b32_e32 v8, 24, v8
	v_lshlrev_b32_e32 v15, 20, v15
	v_and_b32_e32 v8, 0x80000000, v8
	v_lshl_add_u32 v12, v12, 23, v10
	v_or3_b32 v8, v8, v12, v15
	v_lshrrev_b32_e32 v15, 16, v8
.LBB777_1044:                           ;   in Loop: Header=BB777_788 Depth=1
	s_or_b64 exec, exec, s[18:19]
.LBB777_1045:                           ;   in Loop: Header=BB777_788 Depth=1
	s_or_b64 exec, exec, s[16:17]
.LBB777_1046:                           ;   in Loop: Header=BB777_788 Depth=1
	s_or_b64 exec, exec, s[14:15]
	v_cmp_lt_u32_e32 vcc, s25, v6
	v_mov_b32_e32 v16, 0
	v_mov_b32_e32 v17, 0
	s_and_saveexec_b64 s[14:15], vcc
	s_cbranch_execz .LBB777_1052
; %bb.1047:                             ;   in Loop: Header=BB777_788 Depth=1
	v_lshrrev_b32_e32 v8, 24, v6
	v_cmp_ne_u32_e32 vcc, s22, v8
	v_mov_b32_e32 v17, 0xffff8000
	s_and_saveexec_b64 s[16:17], vcc
	s_cbranch_execz .LBB777_1051
; %bb.1048:                             ;   in Loop: Header=BB777_788 Depth=1
	v_bfe_u32 v6, v6, 24, 7
	v_cmp_ne_u32_e32 vcc, s24, v6
	v_mov_b32_e32 v17, 0x7f80
	s_and_saveexec_b64 s[18:19], vcc
	s_cbranch_execz .LBB777_1050
; %bb.1049:                             ;   in Loop: Header=BB777_788 Depth=1
	v_and_b32_e32 v12, 7, v8
	v_ffbh_u32_e32 v18, v12
	v_min_u32_e32 v20, 32, v18
	v_subrev_u32_e32 v18, 28, v20
	v_lshlrev_b64 v[18:19], v18, v[8:9]
	v_lshrrev_b32_e32 v17, 3, v6
	v_sub_u32_e32 v19, 29, v20
	v_and_b32_e32 v18, 7, v18
	v_cmp_gt_u32_e32 vcc, 8, v6
	v_cndmask_b32_e32 v6, v17, v19, vcc
	v_cndmask_b32_e32 v12, v12, v18, vcc
	v_lshlrev_b32_e32 v8, 24, v8
	v_lshlrev_b32_e32 v12, 20, v12
	v_and_b32_e32 v8, 0x80000000, v8
	v_lshl_add_u32 v6, v6, 23, v10
	v_or3_b32 v6, v8, v6, v12
	v_lshrrev_b32_e32 v17, 16, v6
.LBB777_1050:                           ;   in Loop: Header=BB777_788 Depth=1
	s_or_b64 exec, exec, s[18:19]
.LBB777_1051:                           ;   in Loop: Header=BB777_788 Depth=1
	s_or_b64 exec, exec, s[16:17]
.LBB777_1052:                           ;   in Loop: Header=BB777_788 Depth=1
	s_or_b64 exec, exec, s[14:15]
	s_waitcnt vmcnt(0)
	v_cmp_ne_u16_sdwa s[16:17], v4, v9 src0_sel:BYTE_0 src1_sel:DWORD
	s_and_saveexec_b64 s[14:15], s[16:17]
	s_cbranch_execz .LBB777_1058
; %bb.1053:                             ;   in Loop: Header=BB777_788 Depth=1
	v_cmp_ne_u16_sdwa s[18:19], v4, s22 src0_sel:BYTE_0 src1_sel:DWORD
	v_mov_b32_e32 v16, 0xffff8000
	s_and_saveexec_b64 s[16:17], s[18:19]
	s_cbranch_execz .LBB777_1057
; %bb.1054:                             ;   in Loop: Header=BB777_788 Depth=1
	v_and_b32_e32 v6, 0x7f, v4
	v_cmp_ne_u32_e32 vcc, s24, v6
	v_mov_b32_e32 v16, 0x7f80
	s_and_saveexec_b64 s[18:19], vcc
	s_cbranch_execz .LBB777_1056
; %bb.1055:                             ;   in Loop: Header=BB777_788 Depth=1
	v_and_b32_e32 v8, 7, v4
	v_ffbh_u32_e32 v16, v8
	v_min_u32_e32 v16, 32, v16
	v_subrev_u32_e32 v18, 28, v16
	v_lshlrev_b64 v[18:19], v18, v[4:5]
	v_lshrrev_b32_e32 v12, 3, v6
	v_sub_u32_e32 v16, 29, v16
	v_and_b32_e32 v18, 7, v18
	v_cmp_gt_u32_e32 vcc, 8, v6
	v_cndmask_b32_e32 v6, v12, v16, vcc
	v_cndmask_b32_e32 v8, v8, v18, vcc
	v_lshlrev_b32_e32 v12, 24, v4
	v_lshlrev_b32_e32 v8, 20, v8
	v_and_b32_e32 v12, 0x80000000, v12
	v_lshl_add_u32 v6, v6, 23, v10
	v_or3_b32 v6, v12, v6, v8
	v_lshrrev_b32_e32 v16, 16, v6
.LBB777_1056:                           ;   in Loop: Header=BB777_788 Depth=1
	s_or_b64 exec, exec, s[18:19]
.LBB777_1057:                           ;   in Loop: Header=BB777_788 Depth=1
	s_or_b64 exec, exec, s[16:17]
.LBB777_1058:                           ;   in Loop: Header=BB777_788 Depth=1
	s_or_b64 exec, exec, s[14:15]
	v_lshrrev_b16_e32 v6, 8, v4
	v_cmp_ne_u16_e32 vcc, 0, v6
	v_mov_b32_e32 v18, 0
	v_mov_b32_e32 v8, 0
	s_and_saveexec_b64 s[14:15], vcc
	s_cbranch_execz .LBB777_1064
; %bb.1059:                             ;   in Loop: Header=BB777_788 Depth=1
	v_cmp_ne_u16_e32 vcc, s22, v6
	v_mov_b32_e32 v8, 0xffff8000
	s_and_saveexec_b64 s[16:17], vcc
	s_cbranch_execz .LBB777_1063
; %bb.1060:                             ;   in Loop: Header=BB777_788 Depth=1
	v_and_b32_e32 v12, 0x7f, v6
	v_cmp_ne_u32_e32 vcc, s24, v12
	v_mov_b32_e32 v8, 0x7f80
	s_and_saveexec_b64 s[18:19], vcc
	s_cbranch_execz .LBB777_1062
; %bb.1061:                             ;   in Loop: Header=BB777_788 Depth=1
	v_and_b32_e32 v8, 7, v6
	v_ffbh_u32_e32 v20, v8
	v_min_u32_e32 v22, 32, v20
	v_subrev_u32_e32 v20, 28, v22
	v_lshlrev_b64 v[20:21], v20, v[6:7]
	v_lshrrev_b32_e32 v19, 3, v12
	v_sub_u32_e32 v6, 29, v22
	v_and_b32_e32 v20, 7, v20
	v_cmp_gt_u32_e32 vcc, 8, v12
	v_cndmask_b32_e32 v6, v19, v6, vcc
	v_cndmask_b32_e32 v8, v8, v20, vcc
	v_lshlrev_b32_e32 v12, 16, v4
	v_lshlrev_b32_e32 v8, 20, v8
	v_and_b32_e32 v12, 0x80000000, v12
	v_lshl_add_u32 v6, v6, 23, v10
	v_or3_b32 v6, v12, v6, v8
	v_lshrrev_b32_e32 v8, 16, v6
.LBB777_1062:                           ;   in Loop: Header=BB777_788 Depth=1
	s_or_b64 exec, exec, s[18:19]
.LBB777_1063:                           ;   in Loop: Header=BB777_788 Depth=1
	s_or_b64 exec, exec, s[16:17]
.LBB777_1064:                           ;   in Loop: Header=BB777_788 Depth=1
	s_or_b64 exec, exec, s[14:15]
	v_lshrrev_b32_e32 v6, 16, v4
	v_cmp_ne_u16_sdwa s[16:17], v6, v9 src0_sel:BYTE_0 src1_sel:DWORD
	s_and_saveexec_b64 s[14:15], s[16:17]
	s_cbranch_execz .LBB777_1070
; %bb.1065:                             ;   in Loop: Header=BB777_788 Depth=1
	v_cmp_ne_u16_sdwa s[18:19], v6, s22 src0_sel:BYTE_0 src1_sel:DWORD
	v_mov_b32_e32 v18, 0xffff8000
	s_and_saveexec_b64 s[16:17], s[18:19]
	s_cbranch_execz .LBB777_1069
; %bb.1066:                             ;   in Loop: Header=BB777_788 Depth=1
	v_bfe_u32 v12, v4, 16, 7
	v_cmp_ne_u32_e32 vcc, s24, v12
	v_mov_b32_e32 v18, 0x7f80
	s_and_saveexec_b64 s[18:19], vcc
	s_cbranch_execz .LBB777_1068
; %bb.1067:                             ;   in Loop: Header=BB777_788 Depth=1
	v_and_b32_e32 v20, 7, v6
	v_ffbh_u32_e32 v18, v20
	v_min_u32_e32 v22, 32, v18
	v_subrev_u32_e32 v18, 28, v22
	v_lshlrev_b64 v[18:19], v18, v[6:7]
	v_lshrrev_b32_e32 v21, 3, v12
	v_sub_u32_e32 v19, 29, v22
	v_and_b32_e32 v18, 7, v18
	v_cmp_gt_u32_e32 vcc, 8, v12
	v_cndmask_b32_e32 v12, v21, v19, vcc
	v_cndmask_b32_e32 v18, v20, v18, vcc
	v_lshlrev_b32_e32 v6, 24, v6
	v_lshlrev_b32_e32 v18, 20, v18
	v_and_b32_e32 v6, 0x80000000, v6
	v_lshl_add_u32 v12, v12, 23, v10
	v_or3_b32 v6, v6, v12, v18
	v_lshrrev_b32_e32 v18, 16, v6
.LBB777_1068:                           ;   in Loop: Header=BB777_788 Depth=1
	s_or_b64 exec, exec, s[18:19]
.LBB777_1069:                           ;   in Loop: Header=BB777_788 Depth=1
	s_or_b64 exec, exec, s[16:17]
.LBB777_1070:                           ;   in Loop: Header=BB777_788 Depth=1
	s_or_b64 exec, exec, s[14:15]
	v_cmp_lt_u32_e32 vcc, s25, v4
	v_mov_b32_e32 v12, 0
	v_mov_b32_e32 v19, 0
	s_and_saveexec_b64 s[14:15], vcc
	s_cbranch_execz .LBB777_1076
; %bb.1071:                             ;   in Loop: Header=BB777_788 Depth=1
	v_lshrrev_b32_e32 v6, 24, v4
	v_cmp_ne_u32_e32 vcc, s22, v6
	v_mov_b32_e32 v19, 0xffff8000
	s_and_saveexec_b64 s[16:17], vcc
	s_cbranch_execz .LBB777_1075
; %bb.1072:                             ;   in Loop: Header=BB777_788 Depth=1
	v_bfe_u32 v4, v4, 24, 7
	v_cmp_ne_u32_e32 vcc, s24, v4
	v_mov_b32_e32 v19, 0x7f80
	s_and_saveexec_b64 s[18:19], vcc
	s_cbranch_execz .LBB777_1074
; %bb.1073:                             ;   in Loop: Header=BB777_788 Depth=1
	v_and_b32_e32 v19, 7, v6
	v_ffbh_u32_e32 v20, v19
	v_min_u32_e32 v23, 32, v20
	v_subrev_u32_e32 v20, 28, v23
	v_lshlrev_b64 v[20:21], v20, v[6:7]
	v_lshrrev_b32_e32 v22, 3, v4
	v_sub_u32_e32 v21, 29, v23
	v_and_b32_e32 v20, 7, v20
	v_cmp_gt_u32_e32 vcc, 8, v4
	v_cndmask_b32_e32 v4, v22, v21, vcc
	v_cndmask_b32_e32 v19, v19, v20, vcc
	v_lshlrev_b32_e32 v6, 24, v6
	v_lshlrev_b32_e32 v19, 20, v19
	v_and_b32_e32 v6, 0x80000000, v6
	v_lshl_add_u32 v4, v4, 23, v10
	v_or3_b32 v4, v6, v4, v19
	v_lshrrev_b32_e32 v19, 16, v4
.LBB777_1074:                           ;   in Loop: Header=BB777_788 Depth=1
	s_or_b64 exec, exec, s[18:19]
.LBB777_1075:                           ;   in Loop: Header=BB777_788 Depth=1
	s_or_b64 exec, exec, s[16:17]
.LBB777_1076:                           ;   in Loop: Header=BB777_788 Depth=1
	s_or_b64 exec, exec, s[14:15]
	buffer_load_dword v6, v11, s[0:3], 0 offen offset:48
	buffer_load_dword v4, v11, s[0:3], 0 offen offset:52
	v_perm_b32 v15, v17, v15, s26
	v_perm_b32 v14, v13, v14, s26
	;; [unrolled: 1-line block ×4, first 2 shown]
	v_mfma_f32_4x4x4bf16_1k a[0:3], v[2:3], v[14:15], a[0:3] cbsz:4 abid:10
	s_waitcnt vmcnt(1)
	v_cmp_ne_u16_sdwa s[16:17], v6, v9 src0_sel:BYTE_0 src1_sel:DWORD
	v_mfma_f32_4x4x4bf16_1k a[0:3], v[2:3], v[16:17], a[0:3] cbsz:4 abid:11
	s_and_saveexec_b64 s[14:15], s[16:17]
	s_cbranch_execz .LBB777_1082
; %bb.1077:                             ;   in Loop: Header=BB777_788 Depth=1
	v_cmp_ne_u16_sdwa s[18:19], v6, s22 src0_sel:BYTE_0 src1_sel:DWORD
	v_mov_b32_e32 v12, 0xffff8000
	s_and_saveexec_b64 s[16:17], s[18:19]
	s_cbranch_execz .LBB777_1081
; %bb.1078:                             ;   in Loop: Header=BB777_788 Depth=1
	v_and_b32_e32 v8, 0x7f, v6
	v_cmp_ne_u32_e32 vcc, s24, v8
	v_mov_b32_e32 v12, 0x7f80
	s_and_saveexec_b64 s[18:19], vcc
	s_cbranch_execz .LBB777_1080
; %bb.1079:                             ;   in Loop: Header=BB777_788 Depth=1
	v_and_b32_e32 v14, 7, v6
	v_ffbh_u32_e32 v12, v14
	v_min_u32_e32 v16, 32, v12
	v_subrev_u32_e32 v12, 28, v16
	v_lshlrev_b64 v[12:13], v12, v[6:7]
	v_lshrrev_b32_e32 v15, 3, v8
	v_sub_u32_e32 v13, 29, v16
	v_and_b32_e32 v12, 7, v12
	v_cmp_gt_u32_e32 vcc, 8, v8
	v_cndmask_b32_e32 v8, v15, v13, vcc
	v_cndmask_b32_e32 v12, v14, v12, vcc
	v_lshlrev_b32_e32 v13, 24, v6
	v_lshlrev_b32_e32 v12, 20, v12
	v_and_b32_e32 v13, 0x80000000, v13
	v_lshl_add_u32 v8, v8, 23, v10
	v_or3_b32 v8, v13, v8, v12
	v_lshrrev_b32_e32 v12, 16, v8
.LBB777_1080:                           ;   in Loop: Header=BB777_788 Depth=1
	s_or_b64 exec, exec, s[18:19]
.LBB777_1081:                           ;   in Loop: Header=BB777_788 Depth=1
	s_or_b64 exec, exec, s[16:17]
.LBB777_1082:                           ;   in Loop: Header=BB777_788 Depth=1
	s_or_b64 exec, exec, s[14:15]
	v_lshrrev_b16_e32 v8, 8, v6
	v_cmp_ne_u16_e32 vcc, 0, v8
	v_mov_b32_e32 v15, 0
	v_mov_b32_e32 v14, 0
	s_and_saveexec_b64 s[14:15], vcc
	s_cbranch_execz .LBB777_1088
; %bb.1083:                             ;   in Loop: Header=BB777_788 Depth=1
	v_cmp_ne_u16_e32 vcc, s22, v8
	v_mov_b32_e32 v14, 0xffff8000
	s_and_saveexec_b64 s[16:17], vcc
	s_cbranch_execz .LBB777_1087
; %bb.1084:                             ;   in Loop: Header=BB777_788 Depth=1
	v_and_b32_e32 v13, 0x7f, v8
	v_cmp_ne_u32_e32 vcc, s24, v13
	v_mov_b32_e32 v14, 0x7f80
	s_and_saveexec_b64 s[18:19], vcc
	s_cbranch_execz .LBB777_1086
; %bb.1085:                             ;   in Loop: Header=BB777_788 Depth=1
	v_and_b32_e32 v14, 7, v8
	v_ffbh_u32_e32 v16, v14
	v_min_u32_e32 v19, 32, v16
	v_subrev_u32_e32 v16, 28, v19
	v_lshlrev_b64 v[16:17], v16, v[8:9]
	v_lshrrev_b32_e32 v18, 3, v13
	v_sub_u32_e32 v8, 29, v19
	v_and_b32_e32 v16, 7, v16
	v_cmp_gt_u32_e32 vcc, 8, v13
	v_cndmask_b32_e32 v8, v18, v8, vcc
	v_cndmask_b32_e32 v13, v14, v16, vcc
	v_lshlrev_b32_e32 v14, 16, v6
	v_lshlrev_b32_e32 v13, 20, v13
	v_and_b32_e32 v14, 0x80000000, v14
	v_lshl_add_u32 v8, v8, 23, v10
	v_or3_b32 v8, v14, v8, v13
	v_lshrrev_b32_e32 v14, 16, v8
.LBB777_1086:                           ;   in Loop: Header=BB777_788 Depth=1
	s_or_b64 exec, exec, s[18:19]
.LBB777_1087:                           ;   in Loop: Header=BB777_788 Depth=1
	s_or_b64 exec, exec, s[16:17]
.LBB777_1088:                           ;   in Loop: Header=BB777_788 Depth=1
	s_or_b64 exec, exec, s[14:15]
	v_lshrrev_b32_e32 v8, 16, v6
	v_cmp_ne_u16_sdwa s[16:17], v8, v9 src0_sel:BYTE_0 src1_sel:DWORD
	s_and_saveexec_b64 s[14:15], s[16:17]
	s_cbranch_execz .LBB777_1094
; %bb.1089:                             ;   in Loop: Header=BB777_788 Depth=1
	v_cmp_ne_u16_sdwa s[18:19], v8, s22 src0_sel:BYTE_0 src1_sel:DWORD
	v_mov_b32_e32 v15, 0xffff8000
	s_and_saveexec_b64 s[16:17], s[18:19]
	s_cbranch_execz .LBB777_1093
; %bb.1090:                             ;   in Loop: Header=BB777_788 Depth=1
	v_bfe_u32 v13, v6, 16, 7
	v_cmp_ne_u32_e32 vcc, s24, v13
	v_mov_b32_e32 v15, 0x7f80
	s_and_saveexec_b64 s[18:19], vcc
	s_cbranch_execz .LBB777_1092
; %bb.1091:                             ;   in Loop: Header=BB777_788 Depth=1
	v_and_b32_e32 v15, 7, v8
	v_ffbh_u32_e32 v16, v15
	v_min_u32_e32 v19, 32, v16
	v_subrev_u32_e32 v16, 28, v19
	v_lshlrev_b64 v[16:17], v16, v[8:9]
	v_lshrrev_b32_e32 v18, 3, v13
	v_sub_u32_e32 v17, 29, v19
	v_and_b32_e32 v16, 7, v16
	v_cmp_gt_u32_e32 vcc, 8, v13
	v_cndmask_b32_e32 v13, v18, v17, vcc
	v_cndmask_b32_e32 v15, v15, v16, vcc
	v_lshlrev_b32_e32 v8, 24, v8
	v_lshlrev_b32_e32 v15, 20, v15
	v_and_b32_e32 v8, 0x80000000, v8
	v_lshl_add_u32 v13, v13, 23, v10
	v_or3_b32 v8, v8, v13, v15
	v_lshrrev_b32_e32 v15, 16, v8
.LBB777_1092:                           ;   in Loop: Header=BB777_788 Depth=1
	s_or_b64 exec, exec, s[18:19]
.LBB777_1093:                           ;   in Loop: Header=BB777_788 Depth=1
	s_or_b64 exec, exec, s[16:17]
.LBB777_1094:                           ;   in Loop: Header=BB777_788 Depth=1
	s_or_b64 exec, exec, s[14:15]
	v_cmp_lt_u32_e32 vcc, s25, v6
	v_mov_b32_e32 v16, 0
	v_mov_b32_e32 v17, 0
	s_and_saveexec_b64 s[14:15], vcc
	s_cbranch_execz .LBB777_1100
; %bb.1095:                             ;   in Loop: Header=BB777_788 Depth=1
	v_lshrrev_b32_e32 v8, 24, v6
	v_cmp_ne_u32_e32 vcc, s22, v8
	v_mov_b32_e32 v17, 0xffff8000
	s_and_saveexec_b64 s[16:17], vcc
	s_cbranch_execz .LBB777_1099
; %bb.1096:                             ;   in Loop: Header=BB777_788 Depth=1
	v_bfe_u32 v6, v6, 24, 7
	v_cmp_ne_u32_e32 vcc, s24, v6
	v_mov_b32_e32 v17, 0x7f80
	s_and_saveexec_b64 s[18:19], vcc
	s_cbranch_execz .LBB777_1098
; %bb.1097:                             ;   in Loop: Header=BB777_788 Depth=1
	v_and_b32_e32 v13, 7, v8
	v_ffbh_u32_e32 v18, v13
	v_min_u32_e32 v20, 32, v18
	v_subrev_u32_e32 v18, 28, v20
	v_lshlrev_b64 v[18:19], v18, v[8:9]
	v_lshrrev_b32_e32 v17, 3, v6
	v_sub_u32_e32 v19, 29, v20
	v_and_b32_e32 v18, 7, v18
	v_cmp_gt_u32_e32 vcc, 8, v6
	v_cndmask_b32_e32 v6, v17, v19, vcc
	v_cndmask_b32_e32 v13, v13, v18, vcc
	v_lshlrev_b32_e32 v8, 24, v8
	v_lshlrev_b32_e32 v13, 20, v13
	v_and_b32_e32 v8, 0x80000000, v8
	v_lshl_add_u32 v6, v6, 23, v10
	v_or3_b32 v6, v8, v6, v13
	v_lshrrev_b32_e32 v17, 16, v6
.LBB777_1098:                           ;   in Loop: Header=BB777_788 Depth=1
	s_or_b64 exec, exec, s[18:19]
.LBB777_1099:                           ;   in Loop: Header=BB777_788 Depth=1
	s_or_b64 exec, exec, s[16:17]
.LBB777_1100:                           ;   in Loop: Header=BB777_788 Depth=1
	s_or_b64 exec, exec, s[14:15]
	s_waitcnt vmcnt(0)
	v_cmp_ne_u16_sdwa s[16:17], v4, v9 src0_sel:BYTE_0 src1_sel:DWORD
	s_and_saveexec_b64 s[14:15], s[16:17]
	s_cbranch_execz .LBB777_1106
; %bb.1101:                             ;   in Loop: Header=BB777_788 Depth=1
	v_cmp_ne_u16_sdwa s[18:19], v4, s22 src0_sel:BYTE_0 src1_sel:DWORD
	v_mov_b32_e32 v16, 0xffff8000
	s_and_saveexec_b64 s[16:17], s[18:19]
	s_cbranch_execz .LBB777_1105
; %bb.1102:                             ;   in Loop: Header=BB777_788 Depth=1
	v_and_b32_e32 v6, 0x7f, v4
	v_cmp_ne_u32_e32 vcc, s24, v6
	v_mov_b32_e32 v16, 0x7f80
	s_and_saveexec_b64 s[18:19], vcc
	s_cbranch_execz .LBB777_1104
; %bb.1103:                             ;   in Loop: Header=BB777_788 Depth=1
	v_and_b32_e32 v8, 7, v4
	v_ffbh_u32_e32 v16, v8
	v_min_u32_e32 v16, 32, v16
	v_subrev_u32_e32 v18, 28, v16
	v_lshlrev_b64 v[18:19], v18, v[4:5]
	v_lshrrev_b32_e32 v13, 3, v6
	v_sub_u32_e32 v16, 29, v16
	v_and_b32_e32 v18, 7, v18
	v_cmp_gt_u32_e32 vcc, 8, v6
	v_cndmask_b32_e32 v6, v13, v16, vcc
	v_cndmask_b32_e32 v8, v8, v18, vcc
	v_lshlrev_b32_e32 v13, 24, v4
	v_lshlrev_b32_e32 v8, 20, v8
	v_and_b32_e32 v13, 0x80000000, v13
	v_lshl_add_u32 v6, v6, 23, v10
	v_or3_b32 v6, v13, v6, v8
	v_lshrrev_b32_e32 v16, 16, v6
.LBB777_1104:                           ;   in Loop: Header=BB777_788 Depth=1
	s_or_b64 exec, exec, s[18:19]
.LBB777_1105:                           ;   in Loop: Header=BB777_788 Depth=1
	s_or_b64 exec, exec, s[16:17]
.LBB777_1106:                           ;   in Loop: Header=BB777_788 Depth=1
	s_or_b64 exec, exec, s[14:15]
	v_lshrrev_b16_e32 v6, 8, v4
	v_cmp_ne_u16_e32 vcc, 0, v6
	v_mov_b32_e32 v18, 0
	v_mov_b32_e32 v8, 0
	s_and_saveexec_b64 s[14:15], vcc
	s_cbranch_execz .LBB777_1112
; %bb.1107:                             ;   in Loop: Header=BB777_788 Depth=1
	v_cmp_ne_u16_e32 vcc, s22, v6
	v_mov_b32_e32 v8, 0xffff8000
	s_and_saveexec_b64 s[16:17], vcc
	s_cbranch_execz .LBB777_1111
; %bb.1108:                             ;   in Loop: Header=BB777_788 Depth=1
	v_and_b32_e32 v13, 0x7f, v6
	v_cmp_ne_u32_e32 vcc, s24, v13
	v_mov_b32_e32 v8, 0x7f80
	s_and_saveexec_b64 s[18:19], vcc
	s_cbranch_execz .LBB777_1110
; %bb.1109:                             ;   in Loop: Header=BB777_788 Depth=1
	v_and_b32_e32 v8, 7, v6
	v_ffbh_u32_e32 v20, v8
	v_min_u32_e32 v22, 32, v20
	v_subrev_u32_e32 v20, 28, v22
	v_lshlrev_b64 v[20:21], v20, v[6:7]
	v_lshrrev_b32_e32 v19, 3, v13
	v_sub_u32_e32 v6, 29, v22
	v_and_b32_e32 v20, 7, v20
	v_cmp_gt_u32_e32 vcc, 8, v13
	v_cndmask_b32_e32 v6, v19, v6, vcc
	v_cndmask_b32_e32 v8, v8, v20, vcc
	v_lshlrev_b32_e32 v13, 16, v4
	v_lshlrev_b32_e32 v8, 20, v8
	v_and_b32_e32 v13, 0x80000000, v13
	v_lshl_add_u32 v6, v6, 23, v10
	v_or3_b32 v6, v13, v6, v8
	v_lshrrev_b32_e32 v8, 16, v6
.LBB777_1110:                           ;   in Loop: Header=BB777_788 Depth=1
	s_or_b64 exec, exec, s[18:19]
.LBB777_1111:                           ;   in Loop: Header=BB777_788 Depth=1
	s_or_b64 exec, exec, s[16:17]
.LBB777_1112:                           ;   in Loop: Header=BB777_788 Depth=1
	s_or_b64 exec, exec, s[14:15]
	v_lshrrev_b32_e32 v6, 16, v4
	v_cmp_ne_u16_sdwa s[16:17], v6, v9 src0_sel:BYTE_0 src1_sel:DWORD
	s_and_saveexec_b64 s[14:15], s[16:17]
	s_cbranch_execz .LBB777_1118
; %bb.1113:                             ;   in Loop: Header=BB777_788 Depth=1
	v_cmp_ne_u16_sdwa s[18:19], v6, s22 src0_sel:BYTE_0 src1_sel:DWORD
	v_mov_b32_e32 v18, 0xffff8000
	s_and_saveexec_b64 s[16:17], s[18:19]
	s_cbranch_execz .LBB777_1117
; %bb.1114:                             ;   in Loop: Header=BB777_788 Depth=1
	v_bfe_u32 v13, v4, 16, 7
	v_cmp_ne_u32_e32 vcc, s24, v13
	v_mov_b32_e32 v18, 0x7f80
	s_and_saveexec_b64 s[18:19], vcc
	s_cbranch_execz .LBB777_1116
; %bb.1115:                             ;   in Loop: Header=BB777_788 Depth=1
	v_and_b32_e32 v20, 7, v6
	v_ffbh_u32_e32 v18, v20
	v_min_u32_e32 v22, 32, v18
	v_subrev_u32_e32 v18, 28, v22
	v_lshlrev_b64 v[18:19], v18, v[6:7]
	v_lshrrev_b32_e32 v21, 3, v13
	v_sub_u32_e32 v19, 29, v22
	v_and_b32_e32 v18, 7, v18
	v_cmp_gt_u32_e32 vcc, 8, v13
	v_cndmask_b32_e32 v13, v21, v19, vcc
	v_cndmask_b32_e32 v18, v20, v18, vcc
	v_lshlrev_b32_e32 v6, 24, v6
	v_lshlrev_b32_e32 v18, 20, v18
	v_and_b32_e32 v6, 0x80000000, v6
	v_lshl_add_u32 v13, v13, 23, v10
	v_or3_b32 v6, v6, v13, v18
	v_lshrrev_b32_e32 v18, 16, v6
.LBB777_1116:                           ;   in Loop: Header=BB777_788 Depth=1
	s_or_b64 exec, exec, s[18:19]
.LBB777_1117:                           ;   in Loop: Header=BB777_788 Depth=1
	s_or_b64 exec, exec, s[16:17]
.LBB777_1118:                           ;   in Loop: Header=BB777_788 Depth=1
	s_or_b64 exec, exec, s[14:15]
	v_cmp_lt_u32_e32 vcc, s25, v4
	v_mov_b32_e32 v13, 0
	v_mov_b32_e32 v19, 0
	s_and_saveexec_b64 s[14:15], vcc
	s_cbranch_execz .LBB777_1124
; %bb.1119:                             ;   in Loop: Header=BB777_788 Depth=1
	v_lshrrev_b32_e32 v6, 24, v4
	v_cmp_ne_u32_e32 vcc, s22, v6
	v_mov_b32_e32 v19, 0xffff8000
	s_and_saveexec_b64 s[16:17], vcc
	s_cbranch_execz .LBB777_1123
; %bb.1120:                             ;   in Loop: Header=BB777_788 Depth=1
	v_bfe_u32 v4, v4, 24, 7
	v_cmp_ne_u32_e32 vcc, s24, v4
	v_mov_b32_e32 v19, 0x7f80
	s_and_saveexec_b64 s[18:19], vcc
	s_cbranch_execz .LBB777_1122
; %bb.1121:                             ;   in Loop: Header=BB777_788 Depth=1
	v_and_b32_e32 v19, 7, v6
	v_ffbh_u32_e32 v20, v19
	v_min_u32_e32 v23, 32, v20
	v_subrev_u32_e32 v20, 28, v23
	v_lshlrev_b64 v[20:21], v20, v[6:7]
	v_lshrrev_b32_e32 v22, 3, v4
	v_sub_u32_e32 v21, 29, v23
	v_and_b32_e32 v20, 7, v20
	v_cmp_gt_u32_e32 vcc, 8, v4
	v_cndmask_b32_e32 v4, v22, v21, vcc
	v_cndmask_b32_e32 v19, v19, v20, vcc
	v_lshlrev_b32_e32 v6, 24, v6
	v_lshlrev_b32_e32 v19, 20, v19
	v_and_b32_e32 v6, 0x80000000, v6
	v_lshl_add_u32 v4, v4, 23, v10
	v_or3_b32 v4, v6, v4, v19
	v_lshrrev_b32_e32 v19, 16, v4
.LBB777_1122:                           ;   in Loop: Header=BB777_788 Depth=1
	s_or_b64 exec, exec, s[18:19]
.LBB777_1123:                           ;   in Loop: Header=BB777_788 Depth=1
	s_or_b64 exec, exec, s[16:17]
.LBB777_1124:                           ;   in Loop: Header=BB777_788 Depth=1
	s_or_b64 exec, exec, s[14:15]
	buffer_load_dword v6, v11, s[0:3], 0 offen offset:56
	buffer_load_dword v4, v11, s[0:3], 0 offen offset:60
	v_perm_b32 v15, v17, v15, s26
	v_perm_b32 v14, v14, v12, s26
	;; [unrolled: 1-line block ×4, first 2 shown]
	v_mfma_f32_4x4x4bf16_1k a[0:3], v[2:3], v[14:15], a[0:3] cbsz:4 abid:12
	s_waitcnt vmcnt(1)
	v_cmp_ne_u16_sdwa s[16:17], v6, v9 src0_sel:BYTE_0 src1_sel:DWORD
	v_mfma_f32_4x4x4bf16_1k a[0:3], v[2:3], v[16:17], a[0:3] cbsz:4 abid:13
	s_and_saveexec_b64 s[14:15], s[16:17]
	s_cbranch_execz .LBB777_1130
; %bb.1125:                             ;   in Loop: Header=BB777_788 Depth=1
	v_cmp_ne_u16_sdwa s[18:19], v6, s22 src0_sel:BYTE_0 src1_sel:DWORD
	v_mov_b32_e32 v13, 0xffff8000
	s_and_saveexec_b64 s[16:17], s[18:19]
	s_cbranch_execz .LBB777_1129
; %bb.1126:                             ;   in Loop: Header=BB777_788 Depth=1
	v_and_b32_e32 v8, 0x7f, v6
	v_cmp_ne_u32_e32 vcc, s24, v8
	v_mov_b32_e32 v13, 0x7f80
	s_and_saveexec_b64 s[18:19], vcc
	s_cbranch_execz .LBB777_1128
; %bb.1127:                             ;   in Loop: Header=BB777_788 Depth=1
	v_and_b32_e32 v11, 7, v6
	v_ffbh_u32_e32 v12, v11
	v_min_u32_e32 v15, 32, v12
	v_subrev_u32_e32 v12, 28, v15
	v_lshlrev_b64 v[12:13], v12, v[6:7]
	v_lshrrev_b32_e32 v14, 3, v8
	v_sub_u32_e32 v13, 29, v15
	v_and_b32_e32 v12, 7, v12
	v_cmp_gt_u32_e32 vcc, 8, v8
	v_cndmask_b32_e32 v8, v14, v13, vcc
	v_cndmask_b32_e32 v11, v11, v12, vcc
	v_lshlrev_b32_e32 v12, 24, v6
	v_lshlrev_b32_e32 v11, 20, v11
	v_and_b32_e32 v12, 0x80000000, v12
	v_lshl_add_u32 v8, v8, 23, v10
	v_or3_b32 v8, v12, v8, v11
	v_lshrrev_b32_e32 v13, 16, v8
.LBB777_1128:                           ;   in Loop: Header=BB777_788 Depth=1
	s_or_b64 exec, exec, s[18:19]
.LBB777_1129:                           ;   in Loop: Header=BB777_788 Depth=1
	s_or_b64 exec, exec, s[16:17]
.LBB777_1130:                           ;   in Loop: Header=BB777_788 Depth=1
	s_or_b64 exec, exec, s[14:15]
	v_lshrrev_b16_e32 v8, 8, v6
	v_cmp_ne_u16_e32 vcc, 0, v8
	v_mov_b32_e32 v12, 0
	v_mov_b32_e32 v11, 0
	s_and_saveexec_b64 s[14:15], vcc
	s_cbranch_execz .LBB777_1136
; %bb.1131:                             ;   in Loop: Header=BB777_788 Depth=1
	v_cmp_ne_u16_e32 vcc, s22, v8
	v_mov_b32_e32 v11, 0xffff8000
	s_and_saveexec_b64 s[16:17], vcc
	s_cbranch_execz .LBB777_1135
; %bb.1132:                             ;   in Loop: Header=BB777_788 Depth=1
	v_and_b32_e32 v14, 0x7f, v8
	v_cmp_ne_u32_e32 vcc, s24, v14
	v_mov_b32_e32 v11, 0x7f80
	s_and_saveexec_b64 s[18:19], vcc
	s_cbranch_execz .LBB777_1134
; %bb.1133:                             ;   in Loop: Header=BB777_788 Depth=1
	v_and_b32_e32 v11, 7, v8
	v_ffbh_u32_e32 v16, v11
	v_min_u32_e32 v18, 32, v16
	v_subrev_u32_e32 v16, 28, v18
	v_lshlrev_b64 v[16:17], v16, v[8:9]
	v_lshrrev_b32_e32 v15, 3, v14
	v_sub_u32_e32 v8, 29, v18
	v_and_b32_e32 v16, 7, v16
	v_cmp_gt_u32_e32 vcc, 8, v14
	v_cndmask_b32_e32 v8, v15, v8, vcc
	v_cndmask_b32_e32 v11, v11, v16, vcc
	v_lshlrev_b32_e32 v14, 16, v6
	v_lshlrev_b32_e32 v11, 20, v11
	v_and_b32_e32 v14, 0x80000000, v14
	v_lshl_add_u32 v8, v8, 23, v10
	v_or3_b32 v8, v14, v8, v11
	v_lshrrev_b32_e32 v11, 16, v8
.LBB777_1134:                           ;   in Loop: Header=BB777_788 Depth=1
	s_or_b64 exec, exec, s[18:19]
.LBB777_1135:                           ;   in Loop: Header=BB777_788 Depth=1
	s_or_b64 exec, exec, s[16:17]
.LBB777_1136:                           ;   in Loop: Header=BB777_788 Depth=1
	s_or_b64 exec, exec, s[14:15]
	v_lshrrev_b32_e32 v8, 16, v6
	v_cmp_ne_u16_sdwa s[16:17], v8, v9 src0_sel:BYTE_0 src1_sel:DWORD
	s_and_saveexec_b64 s[14:15], s[16:17]
	s_cbranch_execz .LBB777_1142
; %bb.1137:                             ;   in Loop: Header=BB777_788 Depth=1
	v_cmp_ne_u16_sdwa s[18:19], v8, s22 src0_sel:BYTE_0 src1_sel:DWORD
	v_mov_b32_e32 v12, 0xffff8000
	s_and_saveexec_b64 s[16:17], s[18:19]
	s_cbranch_execz .LBB777_1141
; %bb.1138:                             ;   in Loop: Header=BB777_788 Depth=1
	v_bfe_u32 v14, v6, 16, 7
	v_cmp_ne_u32_e32 vcc, s24, v14
	v_mov_b32_e32 v12, 0x7f80
	s_and_saveexec_b64 s[18:19], vcc
	s_cbranch_execz .LBB777_1140
; %bb.1139:                             ;   in Loop: Header=BB777_788 Depth=1
	v_and_b32_e32 v12, 7, v8
	v_ffbh_u32_e32 v16, v12
	v_min_u32_e32 v18, 32, v16
	v_subrev_u32_e32 v16, 28, v18
	v_lshlrev_b64 v[16:17], v16, v[8:9]
	v_lshrrev_b32_e32 v15, 3, v14
	v_sub_u32_e32 v17, 29, v18
	v_and_b32_e32 v16, 7, v16
	v_cmp_gt_u32_e32 vcc, 8, v14
	v_cndmask_b32_e32 v14, v15, v17, vcc
	v_cndmask_b32_e32 v12, v12, v16, vcc
	v_lshlrev_b32_e32 v8, 24, v8
	v_lshlrev_b32_e32 v12, 20, v12
	v_and_b32_e32 v8, 0x80000000, v8
	v_lshl_add_u32 v14, v14, 23, v10
	v_or3_b32 v8, v8, v14, v12
	v_lshrrev_b32_e32 v12, 16, v8
.LBB777_1140:                           ;   in Loop: Header=BB777_788 Depth=1
	s_or_b64 exec, exec, s[18:19]
.LBB777_1141:                           ;   in Loop: Header=BB777_788 Depth=1
	s_or_b64 exec, exec, s[16:17]
.LBB777_1142:                           ;   in Loop: Header=BB777_788 Depth=1
	s_or_b64 exec, exec, s[14:15]
	v_cmp_lt_u32_e32 vcc, s25, v6
	v_mov_b32_e32 v14, 0
	v_mov_b32_e32 v15, 0
	s_and_saveexec_b64 s[14:15], vcc
	s_cbranch_execz .LBB777_1148
; %bb.1143:                             ;   in Loop: Header=BB777_788 Depth=1
	v_lshrrev_b32_e32 v8, 24, v6
	v_cmp_ne_u32_e32 vcc, s22, v8
	v_mov_b32_e32 v15, 0xffff8000
	s_and_saveexec_b64 s[16:17], vcc
	s_cbranch_execz .LBB777_1147
; %bb.1144:                             ;   in Loop: Header=BB777_788 Depth=1
	v_bfe_u32 v6, v6, 24, 7
	v_cmp_ne_u32_e32 vcc, s24, v6
	v_mov_b32_e32 v15, 0x7f80
	s_and_saveexec_b64 s[18:19], vcc
	s_cbranch_execz .LBB777_1146
; %bb.1145:                             ;   in Loop: Header=BB777_788 Depth=1
	v_and_b32_e32 v15, 7, v8
	v_ffbh_u32_e32 v16, v15
	v_min_u32_e32 v19, 32, v16
	v_subrev_u32_e32 v16, 28, v19
	v_lshlrev_b64 v[16:17], v16, v[8:9]
	v_lshrrev_b32_e32 v18, 3, v6
	v_sub_u32_e32 v17, 29, v19
	v_and_b32_e32 v16, 7, v16
	v_cmp_gt_u32_e32 vcc, 8, v6
	v_cndmask_b32_e32 v6, v18, v17, vcc
	v_cndmask_b32_e32 v15, v15, v16, vcc
	v_lshlrev_b32_e32 v8, 24, v8
	v_lshlrev_b32_e32 v15, 20, v15
	v_and_b32_e32 v8, 0x80000000, v8
	v_lshl_add_u32 v6, v6, 23, v10
	v_or3_b32 v6, v8, v6, v15
	v_lshrrev_b32_e32 v15, 16, v6
.LBB777_1146:                           ;   in Loop: Header=BB777_788 Depth=1
	s_or_b64 exec, exec, s[18:19]
.LBB777_1147:                           ;   in Loop: Header=BB777_788 Depth=1
	s_or_b64 exec, exec, s[16:17]
.LBB777_1148:                           ;   in Loop: Header=BB777_788 Depth=1
	s_or_b64 exec, exec, s[14:15]
	s_waitcnt vmcnt(0)
	v_cmp_ne_u16_sdwa s[16:17], v4, v9 src0_sel:BYTE_0 src1_sel:DWORD
	s_and_saveexec_b64 s[14:15], s[16:17]
	s_cbranch_execz .LBB777_1154
; %bb.1149:                             ;   in Loop: Header=BB777_788 Depth=1
	v_cmp_ne_u16_sdwa s[18:19], v4, s22 src0_sel:BYTE_0 src1_sel:DWORD
	v_mov_b32_e32 v14, 0xffff8000
	s_and_saveexec_b64 s[16:17], s[18:19]
	s_cbranch_execz .LBB777_1153
; %bb.1150:                             ;   in Loop: Header=BB777_788 Depth=1
	v_and_b32_e32 v6, 0x7f, v4
	v_cmp_ne_u32_e32 vcc, s24, v6
	v_mov_b32_e32 v14, 0x7f80
	s_and_saveexec_b64 s[18:19], vcc
	s_cbranch_execz .LBB777_1152
; %bb.1151:                             ;   in Loop: Header=BB777_788 Depth=1
	v_and_b32_e32 v8, 7, v4
	v_ffbh_u32_e32 v16, v8
	v_min_u32_e32 v18, 32, v16
	v_subrev_u32_e32 v16, 28, v18
	v_lshlrev_b64 v[16:17], v16, v[4:5]
	v_lshrrev_b32_e32 v14, 3, v6
	v_sub_u32_e32 v17, 29, v18
	v_and_b32_e32 v16, 7, v16
	v_cmp_gt_u32_e32 vcc, 8, v6
	v_cndmask_b32_e32 v6, v14, v17, vcc
	v_cndmask_b32_e32 v8, v8, v16, vcc
	v_lshlrev_b32_e32 v14, 24, v4
	v_lshlrev_b32_e32 v8, 20, v8
	v_and_b32_e32 v14, 0x80000000, v14
	v_lshl_add_u32 v6, v6, 23, v10
	v_or3_b32 v6, v14, v6, v8
	v_lshrrev_b32_e32 v14, 16, v6
.LBB777_1152:                           ;   in Loop: Header=BB777_788 Depth=1
	s_or_b64 exec, exec, s[18:19]
.LBB777_1153:                           ;   in Loop: Header=BB777_788 Depth=1
	s_or_b64 exec, exec, s[16:17]
.LBB777_1154:                           ;   in Loop: Header=BB777_788 Depth=1
	s_or_b64 exec, exec, s[14:15]
	v_lshrrev_b16_e32 v6, 8, v4
	v_cmp_ne_u16_e32 vcc, 0, v6
	v_mov_b32_e32 v16, 0
	v_mov_b32_e32 v8, 0
	s_and_saveexec_b64 s[14:15], vcc
	s_cbranch_execz .LBB777_1160
; %bb.1155:                             ;   in Loop: Header=BB777_788 Depth=1
	v_cmp_ne_u16_e32 vcc, s22, v6
	v_mov_b32_e32 v8, 0xffff8000
	s_and_saveexec_b64 s[16:17], vcc
	s_cbranch_execz .LBB777_1159
; %bb.1156:                             ;   in Loop: Header=BB777_788 Depth=1
	v_and_b32_e32 v17, 0x7f, v6
	v_cmp_ne_u32_e32 vcc, s24, v17
	v_mov_b32_e32 v8, 0x7f80
	s_and_saveexec_b64 s[18:19], vcc
	s_cbranch_execz .LBB777_1158
; %bb.1157:                             ;   in Loop: Header=BB777_788 Depth=1
	v_and_b32_e32 v8, 7, v6
	v_ffbh_u32_e32 v18, v8
	v_min_u32_e32 v21, 32, v18
	v_subrev_u32_e32 v18, 28, v21
	v_lshlrev_b64 v[18:19], v18, v[6:7]
	v_lshrrev_b32_e32 v20, 3, v17
	v_sub_u32_e32 v6, 29, v21
	v_and_b32_e32 v18, 7, v18
	v_cmp_gt_u32_e32 vcc, 8, v17
	v_cndmask_b32_e32 v6, v20, v6, vcc
	v_cndmask_b32_e32 v8, v8, v18, vcc
	v_lshlrev_b32_e32 v17, 16, v4
	v_lshlrev_b32_e32 v8, 20, v8
	v_and_b32_e32 v17, 0x80000000, v17
	v_lshl_add_u32 v6, v6, 23, v10
	v_or3_b32 v6, v17, v6, v8
	v_lshrrev_b32_e32 v8, 16, v6
.LBB777_1158:                           ;   in Loop: Header=BB777_788 Depth=1
	s_or_b64 exec, exec, s[18:19]
.LBB777_1159:                           ;   in Loop: Header=BB777_788 Depth=1
	s_or_b64 exec, exec, s[16:17]
.LBB777_1160:                           ;   in Loop: Header=BB777_788 Depth=1
	s_or_b64 exec, exec, s[14:15]
	v_lshrrev_b32_e32 v6, 16, v4
	v_cmp_ne_u16_sdwa s[16:17], v6, v9 src0_sel:BYTE_0 src1_sel:DWORD
	s_and_saveexec_b64 s[14:15], s[16:17]
	s_cbranch_execz .LBB777_1166
; %bb.1161:                             ;   in Loop: Header=BB777_788 Depth=1
	v_cmp_ne_u16_sdwa s[18:19], v6, s22 src0_sel:BYTE_0 src1_sel:DWORD
	v_mov_b32_e32 v16, 0xffff8000
	s_and_saveexec_b64 s[16:17], s[18:19]
	s_cbranch_execz .LBB777_1165
; %bb.1162:                             ;   in Loop: Header=BB777_788 Depth=1
	v_bfe_u32 v17, v4, 16, 7
	v_cmp_ne_u32_e32 vcc, s24, v17
	v_mov_b32_e32 v16, 0x7f80
	s_and_saveexec_b64 s[18:19], vcc
	s_cbranch_execz .LBB777_1164
; %bb.1163:                             ;   in Loop: Header=BB777_788 Depth=1
	v_and_b32_e32 v16, 7, v6
	v_ffbh_u32_e32 v18, v16
	v_min_u32_e32 v21, 32, v18
	v_subrev_u32_e32 v18, 28, v21
	v_lshlrev_b64 v[18:19], v18, v[6:7]
	v_lshrrev_b32_e32 v20, 3, v17
	v_sub_u32_e32 v19, 29, v21
	v_and_b32_e32 v18, 7, v18
	v_cmp_gt_u32_e32 vcc, 8, v17
	v_cndmask_b32_e32 v17, v20, v19, vcc
	v_cndmask_b32_e32 v16, v16, v18, vcc
	v_lshlrev_b32_e32 v6, 24, v6
	v_lshlrev_b32_e32 v16, 20, v16
	v_and_b32_e32 v6, 0x80000000, v6
	v_lshl_add_u32 v17, v17, 23, v10
	v_or3_b32 v6, v6, v17, v16
	v_lshrrev_b32_e32 v16, 16, v6
.LBB777_1164:                           ;   in Loop: Header=BB777_788 Depth=1
	s_or_b64 exec, exec, s[18:19]
.LBB777_1165:                           ;   in Loop: Header=BB777_788 Depth=1
	s_or_b64 exec, exec, s[16:17]
.LBB777_1166:                           ;   in Loop: Header=BB777_788 Depth=1
	s_or_b64 exec, exec, s[14:15]
	v_cmp_lt_u32_e32 vcc, s25, v4
	v_mov_b32_e32 v17, 0
	s_and_saveexec_b64 s[14:15], vcc
	s_cbranch_execz .LBB777_787
; %bb.1167:                             ;   in Loop: Header=BB777_788 Depth=1
	v_lshrrev_b32_e32 v6, 24, v4
	v_cmp_ne_u32_e32 vcc, s22, v6
	v_mov_b32_e32 v17, 0xffff8000
	s_and_saveexec_b64 s[16:17], vcc
	s_cbranch_execz .LBB777_786
; %bb.1168:                             ;   in Loop: Header=BB777_788 Depth=1
	v_bfe_u32 v4, v4, 24, 7
	v_cmp_ne_u32_e32 vcc, s24, v4
	v_mov_b32_e32 v17, 0x7f80
	s_and_saveexec_b64 s[18:19], vcc
	s_cbranch_execz .LBB777_785
; %bb.1169:                             ;   in Loop: Header=BB777_788 Depth=1
	v_and_b32_e32 v17, 7, v6
	v_ffbh_u32_e32 v18, v17
	v_min_u32_e32 v21, 32, v18
	v_subrev_u32_e32 v18, 28, v21
	v_lshlrev_b64 v[18:19], v18, v[6:7]
	v_lshrrev_b32_e32 v20, 3, v4
	v_sub_u32_e32 v19, 29, v21
	v_and_b32_e32 v18, 7, v18
	v_cmp_gt_u32_e32 vcc, 8, v4
	v_cndmask_b32_e32 v4, v20, v19, vcc
	v_cndmask_b32_e32 v17, v17, v18, vcc
	v_lshlrev_b32_e32 v6, 24, v6
	v_lshlrev_b32_e32 v17, 20, v17
	v_and_b32_e32 v6, 0x80000000, v6
	v_lshl_add_u32 v4, v4, 23, v10
	v_or3_b32 v4, v6, v4, v17
	v_lshrrev_b32_e32 v17, 16, v4
	s_branch .LBB777_785
.LBB777_1170:
	s_mov_b64 s[16:17], 0
                                        ; implicit-def: $sgpr38_sgpr39
	s_branch .LBB777_2
.LBB777_1171:
	s_or_b64 exec, exec, s[6:7]
	v_cmp_gt_u32_e32 vcc, 64, v0
	s_waitcnt lgkmcnt(0)
	s_barrier
	s_and_saveexec_b64 s[6:7], vcc
	s_cbranch_execz .LBB777_1173
; %bb.1172:
	v_mul_u32_u24_e32 v6, 40, v1
	ds_read2_b64 v[2:5], v6 offset1:1
	ds_read2_b64 v[6:9], v6 offset0:2 offset1:3
	s_mov_b32 s5, 0
	s_lshl_b32 s4, s4, 7
	s_lshl_b64 s[6:7], s[4:5], 1
	s_waitcnt lgkmcnt(1)
	v_lshlrev_b32_e32 v10, 16, v2
	v_and_b32_e32 v2, 0xffff0000, v2
	v_add_f32_e32 v2, 0, v2
	v_lshlrev_b32_e32 v11, 16, v3
	v_and_b32_e32 v3, 0xffff0000, v3
	v_and_b32_e32 v2, 0xffff0000, v2
	v_add_f32_e32 v11, 0, v11
	v_add_f32_e32 v3, 0, v3
	v_lshlrev_b32_e32 v12, 16, v4
	v_and_b32_e32 v4, 0xffff0000, v4
	v_add_f32_e32 v10, 0, v10
	v_and_b32_e32 v11, 0xffff0000, v11
	v_and_b32_e32 v3, 0xffff0000, v3
	v_add_f32_e32 v2, v2, v4
	v_lshlrev_b32_e32 v4, 16, v5
	v_and_b32_e32 v5, 0xffff0000, v5
	v_and_b32_e32 v10, 0xffff0000, v10
	v_and_b32_e32 v2, 0xffff0000, v2
	v_add_f32_e32 v4, v11, v4
	v_add_f32_e32 v3, v3, v5
	s_waitcnt lgkmcnt(0)
	v_lshlrev_b32_e32 v5, 16, v6
	v_and_b32_e32 v6, 0xffff0000, v6
	v_add_f32_e32 v10, v10, v12
	v_and_b32_e32 v4, 0xffff0000, v4
	v_add_f32_e32 v2, v2, v6
	v_lshlrev_b32_e32 v6, 16, v7
	v_and_b32_e32 v10, 0xffff0000, v10
	v_and_b32_e32 v3, 0xffff0000, v3
	v_add_f32_e32 v4, v4, v6
	v_and_b32_e32 v6, 0xffff0000, v7
	v_add_f32_e32 v5, v10, v5
	v_add_f32_e32 v3, v3, v6
	v_and_b32_e32 v5, 0xffff0000, v5
	v_and_b32_e32 v6, 0xffff0000, v3
	v_lshlrev_b32_e32 v3, 16, v8
	v_and_b32_e32 v2, 0xffff0000, v2
	v_add_f32_e32 v10, v5, v3
	v_and_b32_e32 v3, 0xffff0000, v8
	v_and_b32_e32 v4, 0xffff0000, v4
	v_add_f32_e32 v11, v2, v3
	v_lshlrev_b32_e32 v2, 16, v9
	v_add_f32_e32 v12, v4, v2
	v_mov_b32_e32 v2, 0xa00
	v_mad_u32_u24 v2, v1, 40, v2
	ds_read2_b64 v[2:5], v2 offset1:1
	v_and_b32_e32 v7, 0xffff0000, v9
	v_add_f32_e32 v13, v6, v7
	v_mov_b32_e32 v6, 0xa10
	v_mad_u32_u24 v1, v1, 40, v6
	ds_read2_b64 v[6:9], v1 offset1:1
	s_waitcnt lgkmcnt(1)
	v_lshlrev_b32_e32 v1, 16, v2
	v_and_b32_e32 v2, 0xffff0000, v2
	v_add_f32_e32 v1, 0, v1
	v_add_f32_e32 v2, 0, v2
	v_lshlrev_b32_e32 v14, 16, v3
	v_and_b32_e32 v3, 0xffff0000, v3
	v_and_b32_e32 v1, 0xffff0000, v1
	;; [unrolled: 1-line block ×3, first 2 shown]
	v_add_f32_e32 v3, 0, v3
	v_lshlrev_b32_e32 v15, 16, v4
	v_and_b32_e32 v4, 0xffff0000, v4
	v_add_f32_e32 v14, 0, v14
	v_and_b32_e32 v3, 0xffff0000, v3
	v_add_f32_e32 v1, v1, v15
	v_add_f32_e32 v2, v2, v4
	v_lshlrev_b32_e32 v4, 16, v5
	v_and_b32_e32 v5, 0xffff0000, v5
	v_and_b32_e32 v14, 0xffff0000, v14
	;; [unrolled: 1-line block ×3, first 2 shown]
	v_add_f32_e32 v3, v3, v5
	s_waitcnt lgkmcnt(0)
	v_lshlrev_b32_e32 v5, 16, v6
	v_and_b32_e32 v2, 0xffff0000, v2
	v_add_f32_e32 v4, v14, v4
	v_add_f32_e32 v1, v1, v5
	v_and_b32_e32 v5, 0xffff0000, v6
	v_and_b32_e32 v4, 0xffff0000, v4
	v_add_f32_e32 v2, v2, v5
	v_lshlrev_b32_e32 v5, 16, v7
	s_add_u32 s6, s30, s6
	v_and_b32_e32 v3, 0xffff0000, v3
	v_add_f32_e32 v4, v4, v5
	v_and_b32_e32 v5, 0xffff0000, v7
	s_addc_u32 s7, s31, s7
	s_lshl_b32 s4, s28, 7
	v_and_b32_e32 v1, 0xffff0000, v1
	v_add_f32_e32 v3, v3, v5
	v_lshlrev_b32_e32 v5, 16, v8
	s_lshl_b64 s[4:5], s[4:5], 1
	v_and_b32_e32 v2, 0xffff0000, v2
	v_add_f32_e32 v14, v1, v5
	v_and_b32_e32 v1, 0xffff0000, v8
	s_add_u32 s4, s6, s4
	v_and_b32_e32 v4, 0xffff0000, v4
	v_add_f32_e32 v15, v2, v1
	v_lshlrev_b32_e32 v1, 16, v9
	s_addc_u32 s5, s7, s5
	s_lshl_b32 s6, s33, 7
	v_and_b32_e32 v3, 0xffff0000, v3
	v_add_f32_e32 v16, v4, v1
	v_and_b32_e32 v1, 0xffff0000, v9
	s_mul_i32 s7, s6, s20
	v_add_f32_e32 v17, v3, v1
	v_or_b32_e32 v2, s7, v0
	v_mov_b32_e32 v3, 0
	v_lshlrev_b64 v[4:5], 1, v[2:3]
	s_add_i32 s7, s7, s6
	v_mov_b32_e32 v1, s5
	v_add_co_u32_e32 v4, vcc, s4, v4
	v_or_b32_e32 v2, s7, v0
	v_addc_co_u32_e32 v5, vcc, v1, v5, vcc
	v_lshlrev_b64 v[6:7], 1, v[2:3]
	s_add_i32 s7, s7, s6
	v_add_co_u32_e32 v6, vcc, s4, v6
	v_or_b32_e32 v2, s7, v0
	v_addc_co_u32_e32 v7, vcc, v1, v7, vcc
	v_lshlrev_b64 v[8:9], 1, v[2:3]
	s_add_i32 s7, s7, s6
	v_add_co_u32_e32 v8, vcc, s4, v8
	v_or_b32_e32 v2, s7, v0
	v_addc_co_u32_e32 v9, vcc, v1, v9, vcc
	v_lshlrev_b64 v[0:1], 1, v[2:3]
	v_mov_b32_e32 v2, s5
	v_add_co_u32_e32 v0, vcc, s4, v0
	v_addc_co_u32_e32 v1, vcc, v2, v1, vcc
	global_store_short_d16_hi v[4:5], v10, off
	global_store_short_d16_hi v[6:7], v11, off
	;; [unrolled: 1-line block ×4, first 2 shown]
	global_store_short_d16_hi v[4:5], v14, off offset:128
	global_store_short_d16_hi v[6:7], v15, off offset:128
	;; [unrolled: 1-line block ×4, first 2 shown]
.LBB777_1173:
	s_endpgm
	.section	.rodata,"a",@progbits
	.p2align	6, 0x0
	.amdhsa_kernel _Z38paged_attention_ll4mi_QKV_mfma4_kernelI14__hip_bfloat16hLN4vllm18Fp8KVCacheDataTypeE1ES0_Li16ELi128ELi256ELb0ELi4EEvPKT_PKT0_S8_ifPKiSA_SA_iPKfiiiPfSD_PS3_PT2_iSC_SC_
		.amdhsa_group_segment_fixed_size 5280
		.amdhsa_private_segment_fixed_size 144
		.amdhsa_kernarg_size 400
		.amdhsa_user_sgpr_count 8
		.amdhsa_user_sgpr_private_segment_buffer 1
		.amdhsa_user_sgpr_dispatch_ptr 0
		.amdhsa_user_sgpr_queue_ptr 0
		.amdhsa_user_sgpr_kernarg_segment_ptr 1
		.amdhsa_user_sgpr_dispatch_id 0
		.amdhsa_user_sgpr_flat_scratch_init 1
		.amdhsa_user_sgpr_kernarg_preload_length 0
		.amdhsa_user_sgpr_kernarg_preload_offset 0
		.amdhsa_user_sgpr_private_segment_size 0
		.amdhsa_uses_dynamic_stack 0
		.amdhsa_system_sgpr_private_segment_wavefront_offset 1
		.amdhsa_system_sgpr_workgroup_id_x 1
		.amdhsa_system_sgpr_workgroup_id_y 1
		.amdhsa_system_sgpr_workgroup_id_z 1
		.amdhsa_system_sgpr_workgroup_info 0
		.amdhsa_system_vgpr_workitem_id 0
		.amdhsa_next_free_vgpr 72
		.amdhsa_next_free_sgpr 46
		.amdhsa_accum_offset 68
		.amdhsa_reserve_vcc 1
		.amdhsa_reserve_flat_scratch 0
		.amdhsa_float_round_mode_32 0
		.amdhsa_float_round_mode_16_64 0
		.amdhsa_float_denorm_mode_32 3
		.amdhsa_float_denorm_mode_16_64 3
		.amdhsa_dx10_clamp 1
		.amdhsa_ieee_mode 1
		.amdhsa_fp16_overflow 0
		.amdhsa_tg_split 0
		.amdhsa_exception_fp_ieee_invalid_op 0
		.amdhsa_exception_fp_denorm_src 0
		.amdhsa_exception_fp_ieee_div_zero 0
		.amdhsa_exception_fp_ieee_overflow 0
		.amdhsa_exception_fp_ieee_underflow 0
		.amdhsa_exception_fp_ieee_inexact 0
		.amdhsa_exception_int_div_zero 0
	.end_amdhsa_kernel
	.section	.text._Z38paged_attention_ll4mi_QKV_mfma4_kernelI14__hip_bfloat16hLN4vllm18Fp8KVCacheDataTypeE1ES0_Li16ELi128ELi256ELb0ELi4EEvPKT_PKT0_S8_ifPKiSA_SA_iPKfiiiPfSD_PS3_PT2_iSC_SC_,"axG",@progbits,_Z38paged_attention_ll4mi_QKV_mfma4_kernelI14__hip_bfloat16hLN4vllm18Fp8KVCacheDataTypeE1ES0_Li16ELi128ELi256ELb0ELi4EEvPKT_PKT0_S8_ifPKiSA_SA_iPKfiiiPfSD_PS3_PT2_iSC_SC_,comdat
.Lfunc_end777:
	.size	_Z38paged_attention_ll4mi_QKV_mfma4_kernelI14__hip_bfloat16hLN4vllm18Fp8KVCacheDataTypeE1ES0_Li16ELi128ELi256ELb0ELi4EEvPKT_PKT0_S8_ifPKiSA_SA_iPKfiiiPfSD_PS3_PT2_iSC_SC_, .Lfunc_end777-_Z38paged_attention_ll4mi_QKV_mfma4_kernelI14__hip_bfloat16hLN4vllm18Fp8KVCacheDataTypeE1ES0_Li16ELi128ELi256ELb0ELi4EEvPKT_PKT0_S8_ifPKiSA_SA_iPKfiiiPfSD_PS3_PT2_iSC_SC_
                                        ; -- End function
	.section	.AMDGPU.csdata,"",@progbits
; Kernel info:
; codeLenInByte = 40016
; NumSgprs: 50
; NumVgprs: 68
; NumAgprs: 4
; TotalNumVgprs: 72
; ScratchSize: 144
; MemoryBound: 0
; FloatMode: 240
; IeeeMode: 1
; LDSByteSize: 5280 bytes/workgroup (compile time only)
; SGPRBlocks: 6
; VGPRBlocks: 8
; NumSGPRsForWavesPerEU: 50
; NumVGPRsForWavesPerEU: 72
; AccumOffset: 68
; Occupancy: 7
; WaveLimiterHint : 1
; COMPUTE_PGM_RSRC2:SCRATCH_EN: 1
; COMPUTE_PGM_RSRC2:USER_SGPR: 8
; COMPUTE_PGM_RSRC2:TRAP_HANDLER: 0
; COMPUTE_PGM_RSRC2:TGID_X_EN: 1
; COMPUTE_PGM_RSRC2:TGID_Y_EN: 1
; COMPUTE_PGM_RSRC2:TGID_Z_EN: 1
; COMPUTE_PGM_RSRC2:TIDIG_COMP_CNT: 0
; COMPUTE_PGM_RSRC3_GFX90A:ACCUM_OFFSET: 16
; COMPUTE_PGM_RSRC3_GFX90A:TG_SPLIT: 0
	.section	.text._Z39paged_attention_ll4mi_QKV_mfma16_kernelI14__hip_bfloat16hLN4vllm18Fp8KVCacheDataTypeE1ES0_Li16ELi128ELi256ELb0ELi5EL8MFMAType1EEvPKT_PKT0_S9_ifPKiSB_SB_iPKfiiiPfSE_PS4_PT2_iSD_SD_,"axG",@progbits,_Z39paged_attention_ll4mi_QKV_mfma16_kernelI14__hip_bfloat16hLN4vllm18Fp8KVCacheDataTypeE1ES0_Li16ELi128ELi256ELb0ELi5EL8MFMAType1EEvPKT_PKT0_S9_ifPKiSB_SB_iPKfiiiPfSE_PS4_PT2_iSD_SD_,comdat
	.protected	_Z39paged_attention_ll4mi_QKV_mfma16_kernelI14__hip_bfloat16hLN4vllm18Fp8KVCacheDataTypeE1ES0_Li16ELi128ELi256ELb0ELi5EL8MFMAType1EEvPKT_PKT0_S9_ifPKiSB_SB_iPKfiiiPfSE_PS4_PT2_iSD_SD_ ; -- Begin function _Z39paged_attention_ll4mi_QKV_mfma16_kernelI14__hip_bfloat16hLN4vllm18Fp8KVCacheDataTypeE1ES0_Li16ELi128ELi256ELb0ELi5EL8MFMAType1EEvPKT_PKT0_S9_ifPKiSB_SB_iPKfiiiPfSE_PS4_PT2_iSD_SD_
	.globl	_Z39paged_attention_ll4mi_QKV_mfma16_kernelI14__hip_bfloat16hLN4vllm18Fp8KVCacheDataTypeE1ES0_Li16ELi128ELi256ELb0ELi5EL8MFMAType1EEvPKT_PKT0_S9_ifPKiSB_SB_iPKfiiiPfSE_PS4_PT2_iSD_SD_
	.p2align	8
	.type	_Z39paged_attention_ll4mi_QKV_mfma16_kernelI14__hip_bfloat16hLN4vllm18Fp8KVCacheDataTypeE1ES0_Li16ELi128ELi256ELb0ELi5EL8MFMAType1EEvPKT_PKT0_S9_ifPKiSB_SB_iPKfiiiPfSE_PS4_PT2_iSD_SD_,@function
_Z39paged_attention_ll4mi_QKV_mfma16_kernelI14__hip_bfloat16hLN4vllm18Fp8KVCacheDataTypeE1ES0_Li16ELi128ELi256ELb0ELi5EL8MFMAType1EEvPKT_PKT0_S9_ifPKiSB_SB_iPKfiiiPfSE_PS4_PT2_iSD_SD_: ; @_Z39paged_attention_ll4mi_QKV_mfma16_kernelI14__hip_bfloat16hLN4vllm18Fp8KVCacheDataTypeE1ES0_Li16ELi128ELi256ELb0ELi5EL8MFMAType1EEvPKT_PKT0_S9_ifPKiSB_SB_iPKfiiiPfSE_PS4_PT2_iSD_SD_
; %bb.0:
	s_load_dwordx2 s[12:13], s[4:5], 0x30
	s_add_u32 flat_scratch_lo, s6, s11
	s_addc_u32 flat_scratch_hi, s7, 0
	s_add_u32 s0, s0, s11
	s_addc_u32 s1, s1, 0
	s_waitcnt lgkmcnt(0)
	s_cmp_lg_u64 s[12:13], 0
	s_cselect_b64 s[14:15], -1, 0
	s_mov_b32 s6, s9
	s_mov_b64 s[16:17], 0
	s_and_b64 vcc, exec, s[14:15]
	s_mov_b32 s32, 0
	s_cbranch_vccz .LBB778_11
; %bb.1:
	s_add_i32 s18, s8, 1
	s_mov_b32 s19, 0
	s_lshl_b64 s[20:21], s[18:19], 2
	s_add_u32 s20, s12, s20
	s_mov_b32 s9, s19
	s_addc_u32 s21, s13, s21
	s_lshl_b64 s[18:19], s[8:9], 2
	s_add_u32 s18, s12, s18
	s_addc_u32 s19, s13, s19
	s_load_dword s7, s[20:21], 0x0
	s_load_dword s11, s[18:19], 0x0
	s_waitcnt lgkmcnt(0)
	s_sub_i32 s7, s7, s11
	s_cmp_eq_u32 s7, 1
	s_cselect_b64 s[18:19], -1, 0
	s_andn2_b64 vcc, exec, s[16:17]
	s_cbranch_vccnz .LBB778_3
.LBB778_2:
	s_mov_b32 s9, 0
	s_mov_b64 s[18:19], -1
.LBB778_3:
	s_andn2_b64 vcc, exec, s[18:19]
	s_cbranch_vccnz .LBB778_10
; %bb.4:
	s_load_dwordx2 s[18:19], s[4:5], 0x28
	s_lshl_b64 s[16:17], s[8:9], 2
	s_waitcnt lgkmcnt(0)
	s_add_u32 s18, s18, s16
	s_addc_u32 s19, s19, s17
	s_load_dword s7, s[18:19], 0x0
	s_lshl_b32 s6, s6, 8
	s_waitcnt lgkmcnt(0)
	s_cmp_ge_i32 s6, s7
	s_cbranch_scc1 .LBB778_10
; %bb.5:
	s_andn2_b64 vcc, exec, s[14:15]
	s_cbranch_vccnz .LBB778_7
; %bb.6:
	s_add_u32 s6, s12, s16
	s_addc_u32 s7, s13, s17
	s_load_dword s8, s[6:7], 0x0
.LBB778_7:
	s_movk_i32 s6, 0x50
	v_cmp_gt_u32_e32 vcc, s6, v0
	s_and_saveexec_b64 s[6:7], vcc
	s_cbranch_execz .LBB778_9
; %bb.8:
	s_load_dword s11, s[4:5], 0x48
	s_load_dwordx2 s[12:13], s[4:5], 0x0
	v_lshrrev_b32_e32 v1, 4, v0
	s_mul_i32 s10, s10, 5
	v_add_lshl_u32 v2, v1, s10, 7
	s_waitcnt lgkmcnt(0)
	s_ashr_i32 s9, s11, 31
	s_mul_hi_u32 s14, s8, s11
	s_mul_i32 s9, s8, s9
	s_add_i32 s9, s14, s9
	s_mul_i32 s8, s8, s11
	s_lshl_b64 s[8:9], s[8:9], 1
	s_add_u32 s8, s12, s8
	v_ashrrev_i32_e32 v3, 31, v2
	s_addc_u32 s9, s13, s9
	v_lshlrev_b64 v[2:3], 1, v[2:3]
	v_and_b32_e32 v4, 15, v0
	v_mov_b32_e32 v5, s9
	v_add_co_u32_e32 v2, vcc, s8, v2
	v_addc_co_u32_e32 v3, vcc, v5, v3, vcc
	v_lshlrev_b32_e32 v4, 4, v4
	v_add_co_u32_e32 v2, vcc, v2, v4
	v_addc_co_u32_e32 v3, vcc, 0, v3, vcc
	global_load_dwordx4 v[2:5], v[2:3], off
	v_lshlrev_b32_e32 v6, 4, v0
	v_lshlrev_b32_e32 v0, 8, v0
	v_and_b32_e32 v6, 16, v6
	v_lshlrev_b32_e32 v1, 5, v1
	v_and_b32_e32 v0, 0xe00, v0
	v_or3_b32 v0, v0, v1, v6
	s_waitcnt vmcnt(0)
	ds_write_b128 v0, v[2:5]
.LBB778_9:
	s_or_b64 exec, exec, s[6:7]
	s_waitcnt lgkmcnt(0)
	s_add_u32 s8, s4, 0x90
	s_addc_u32 s9, s5, 0
	s_getpc_b64 s[4:5]
	s_add_u32 s4, s4, __PRETTY_FUNCTION__._Z39paged_attention_ll4mi_QKV_mfma16_kernelI14__hip_bfloat16hLN4vllm18Fp8KVCacheDataTypeE1ES0_Li16ELi128ELi256ELb0ELi5EL8MFMAType1EEvPKT_PKT0_S9_ifPKiSB_SB_iPKfiiiPfSE_PS4_PT2_iSD_SD_@rel32@lo+4
	s_addc_u32 s5, s5, __PRETTY_FUNCTION__._Z39paged_attention_ll4mi_QKV_mfma16_kernelI14__hip_bfloat16hLN4vllm18Fp8KVCacheDataTypeE1ES0_Li16ELi128ELi256ELb0ELi5EL8MFMAType1EEvPKT_PKT0_S9_ifPKiSB_SB_iPKfiiiPfSE_PS4_PT2_iSD_SD_@rel32@hi+12
	v_mov_b32_e32 v0, 0x288
	v_mov_b32_e32 v1, s4
	;; [unrolled: 1-line block ×3, first 2 shown]
	s_barrier
	s_getpc_b64 s[6:7]
	s_add_u32 s6, s6, __assert_fail@rel32@lo+4
	s_addc_u32 s7, s7, __assert_fail@rel32@hi+12
	s_swappc_b64 s[30:31], s[6:7]
	; divergent unreachable
.LBB778_10:
	s_endpgm
.LBB778_11:
	s_mov_b64 s[18:19], 0
	s_branch .LBB778_2
	.section	.rodata,"a",@progbits
	.p2align	6, 0x0
	.amdhsa_kernel _Z39paged_attention_ll4mi_QKV_mfma16_kernelI14__hip_bfloat16hLN4vllm18Fp8KVCacheDataTypeE1ES0_Li16ELi128ELi256ELb0ELi5EL8MFMAType1EEvPKT_PKT0_S9_ifPKiSB_SB_iPKfiiiPfSE_PS4_PT2_iSD_SD_
		.amdhsa_group_segment_fixed_size 8192
		.amdhsa_private_segment_fixed_size 64
		.amdhsa_kernarg_size 400
		.amdhsa_user_sgpr_count 8
		.amdhsa_user_sgpr_private_segment_buffer 1
		.amdhsa_user_sgpr_dispatch_ptr 0
		.amdhsa_user_sgpr_queue_ptr 0
		.amdhsa_user_sgpr_kernarg_segment_ptr 1
		.amdhsa_user_sgpr_dispatch_id 0
		.amdhsa_user_sgpr_flat_scratch_init 1
		.amdhsa_user_sgpr_kernarg_preload_length 0
		.amdhsa_user_sgpr_kernarg_preload_offset 0
		.amdhsa_user_sgpr_private_segment_size 0
		.amdhsa_uses_dynamic_stack 0
		.amdhsa_system_sgpr_private_segment_wavefront_offset 1
		.amdhsa_system_sgpr_workgroup_id_x 1
		.amdhsa_system_sgpr_workgroup_id_y 1
		.amdhsa_system_sgpr_workgroup_id_z 1
		.amdhsa_system_sgpr_workgroup_info 0
		.amdhsa_system_vgpr_workitem_id 0
		.amdhsa_next_free_vgpr 45
		.amdhsa_next_free_sgpr 34
		.amdhsa_accum_offset 44
		.amdhsa_reserve_vcc 1
		.amdhsa_reserve_flat_scratch 1
		.amdhsa_float_round_mode_32 0
		.amdhsa_float_round_mode_16_64 0
		.amdhsa_float_denorm_mode_32 3
		.amdhsa_float_denorm_mode_16_64 3
		.amdhsa_dx10_clamp 1
		.amdhsa_ieee_mode 1
		.amdhsa_fp16_overflow 0
		.amdhsa_tg_split 0
		.amdhsa_exception_fp_ieee_invalid_op 0
		.amdhsa_exception_fp_denorm_src 0
		.amdhsa_exception_fp_ieee_div_zero 0
		.amdhsa_exception_fp_ieee_overflow 0
		.amdhsa_exception_fp_ieee_underflow 0
		.amdhsa_exception_fp_ieee_inexact 0
		.amdhsa_exception_int_div_zero 0
	.end_amdhsa_kernel
	.section	.text._Z39paged_attention_ll4mi_QKV_mfma16_kernelI14__hip_bfloat16hLN4vllm18Fp8KVCacheDataTypeE1ES0_Li16ELi128ELi256ELb0ELi5EL8MFMAType1EEvPKT_PKT0_S9_ifPKiSB_SB_iPKfiiiPfSE_PS4_PT2_iSD_SD_,"axG",@progbits,_Z39paged_attention_ll4mi_QKV_mfma16_kernelI14__hip_bfloat16hLN4vllm18Fp8KVCacheDataTypeE1ES0_Li16ELi128ELi256ELb0ELi5EL8MFMAType1EEvPKT_PKT0_S9_ifPKiSB_SB_iPKfiiiPfSE_PS4_PT2_iSD_SD_,comdat
.Lfunc_end778:
	.size	_Z39paged_attention_ll4mi_QKV_mfma16_kernelI14__hip_bfloat16hLN4vllm18Fp8KVCacheDataTypeE1ES0_Li16ELi128ELi256ELb0ELi5EL8MFMAType1EEvPKT_PKT0_S9_ifPKiSB_SB_iPKfiiiPfSE_PS4_PT2_iSD_SD_, .Lfunc_end778-_Z39paged_attention_ll4mi_QKV_mfma16_kernelI14__hip_bfloat16hLN4vllm18Fp8KVCacheDataTypeE1ES0_Li16ELi128ELi256ELb0ELi5EL8MFMAType1EEvPKT_PKT0_S9_ifPKiSB_SB_iPKfiiiPfSE_PS4_PT2_iSD_SD_
                                        ; -- End function
	.section	.AMDGPU.csdata,"",@progbits
; Kernel info:
; codeLenInByte = 492
; NumSgprs: 40
; NumVgprs: 42
; NumAgprs: 1
; TotalNumVgprs: 45
; ScratchSize: 64
; MemoryBound: 0
; FloatMode: 240
; IeeeMode: 1
; LDSByteSize: 8192 bytes/workgroup (compile time only)
; SGPRBlocks: 4
; VGPRBlocks: 5
; NumSGPRsForWavesPerEU: 40
; NumVGPRsForWavesPerEU: 45
; AccumOffset: 44
; Occupancy: 8
; WaveLimiterHint : 1
; COMPUTE_PGM_RSRC2:SCRATCH_EN: 1
; COMPUTE_PGM_RSRC2:USER_SGPR: 8
; COMPUTE_PGM_RSRC2:TRAP_HANDLER: 0
; COMPUTE_PGM_RSRC2:TGID_X_EN: 1
; COMPUTE_PGM_RSRC2:TGID_Y_EN: 1
; COMPUTE_PGM_RSRC2:TGID_Z_EN: 1
; COMPUTE_PGM_RSRC2:TIDIG_COMP_CNT: 0
; COMPUTE_PGM_RSRC3_GFX90A:ACCUM_OFFSET: 10
; COMPUTE_PGM_RSRC3_GFX90A:TG_SPLIT: 0
	.section	.text._Z39paged_attention_ll4mi_QKV_mfma16_kernelI14__hip_bfloat16hLN4vllm18Fp8KVCacheDataTypeE1ES0_Li16ELi128ELi256ELb0ELi6EL8MFMAType1EEvPKT_PKT0_S9_ifPKiSB_SB_iPKfiiiPfSE_PS4_PT2_iSD_SD_,"axG",@progbits,_Z39paged_attention_ll4mi_QKV_mfma16_kernelI14__hip_bfloat16hLN4vllm18Fp8KVCacheDataTypeE1ES0_Li16ELi128ELi256ELb0ELi6EL8MFMAType1EEvPKT_PKT0_S9_ifPKiSB_SB_iPKfiiiPfSE_PS4_PT2_iSD_SD_,comdat
	.protected	_Z39paged_attention_ll4mi_QKV_mfma16_kernelI14__hip_bfloat16hLN4vllm18Fp8KVCacheDataTypeE1ES0_Li16ELi128ELi256ELb0ELi6EL8MFMAType1EEvPKT_PKT0_S9_ifPKiSB_SB_iPKfiiiPfSE_PS4_PT2_iSD_SD_ ; -- Begin function _Z39paged_attention_ll4mi_QKV_mfma16_kernelI14__hip_bfloat16hLN4vllm18Fp8KVCacheDataTypeE1ES0_Li16ELi128ELi256ELb0ELi6EL8MFMAType1EEvPKT_PKT0_S9_ifPKiSB_SB_iPKfiiiPfSE_PS4_PT2_iSD_SD_
	.globl	_Z39paged_attention_ll4mi_QKV_mfma16_kernelI14__hip_bfloat16hLN4vllm18Fp8KVCacheDataTypeE1ES0_Li16ELi128ELi256ELb0ELi6EL8MFMAType1EEvPKT_PKT0_S9_ifPKiSB_SB_iPKfiiiPfSE_PS4_PT2_iSD_SD_
	.p2align	8
	.type	_Z39paged_attention_ll4mi_QKV_mfma16_kernelI14__hip_bfloat16hLN4vllm18Fp8KVCacheDataTypeE1ES0_Li16ELi128ELi256ELb0ELi6EL8MFMAType1EEvPKT_PKT0_S9_ifPKiSB_SB_iPKfiiiPfSE_PS4_PT2_iSD_SD_,@function
_Z39paged_attention_ll4mi_QKV_mfma16_kernelI14__hip_bfloat16hLN4vllm18Fp8KVCacheDataTypeE1ES0_Li16ELi128ELi256ELb0ELi6EL8MFMAType1EEvPKT_PKT0_S9_ifPKiSB_SB_iPKfiiiPfSE_PS4_PT2_iSD_SD_: ; @_Z39paged_attention_ll4mi_QKV_mfma16_kernelI14__hip_bfloat16hLN4vllm18Fp8KVCacheDataTypeE1ES0_Li16ELi128ELi256ELb0ELi6EL8MFMAType1EEvPKT_PKT0_S9_ifPKiSB_SB_iPKfiiiPfSE_PS4_PT2_iSD_SD_
; %bb.0:
	s_load_dwordx2 s[12:13], s[4:5], 0x30
	s_add_u32 flat_scratch_lo, s6, s11
	s_addc_u32 flat_scratch_hi, s7, 0
	s_add_u32 s0, s0, s11
	s_addc_u32 s1, s1, 0
	s_waitcnt lgkmcnt(0)
	s_cmp_lg_u64 s[12:13], 0
	s_cselect_b64 s[14:15], -1, 0
	s_mov_b32 s6, s9
	s_mov_b64 s[16:17], 0
	s_and_b64 vcc, exec, s[14:15]
	s_mov_b32 s32, 0
	s_cbranch_vccz .LBB779_11
; %bb.1:
	s_add_i32 s18, s8, 1
	s_mov_b32 s19, 0
	s_lshl_b64 s[20:21], s[18:19], 2
	s_add_u32 s20, s12, s20
	s_mov_b32 s9, s19
	s_addc_u32 s21, s13, s21
	s_lshl_b64 s[18:19], s[8:9], 2
	s_add_u32 s18, s12, s18
	s_addc_u32 s19, s13, s19
	s_load_dword s7, s[20:21], 0x0
	s_load_dword s11, s[18:19], 0x0
	s_waitcnt lgkmcnt(0)
	s_sub_i32 s7, s7, s11
	s_cmp_eq_u32 s7, 1
	s_cselect_b64 s[18:19], -1, 0
	s_andn2_b64 vcc, exec, s[16:17]
	s_cbranch_vccnz .LBB779_3
.LBB779_2:
	s_mov_b32 s9, 0
	s_mov_b64 s[18:19], -1
.LBB779_3:
	s_andn2_b64 vcc, exec, s[18:19]
	s_cbranch_vccnz .LBB779_10
; %bb.4:
	s_load_dwordx2 s[18:19], s[4:5], 0x28
	s_lshl_b64 s[16:17], s[8:9], 2
	s_waitcnt lgkmcnt(0)
	s_add_u32 s18, s18, s16
	s_addc_u32 s19, s19, s17
	s_load_dword s7, s[18:19], 0x0
	s_lshl_b32 s6, s6, 8
	s_waitcnt lgkmcnt(0)
	s_cmp_ge_i32 s6, s7
	s_cbranch_scc1 .LBB779_10
; %bb.5:
	s_andn2_b64 vcc, exec, s[14:15]
	s_cbranch_vccnz .LBB779_7
; %bb.6:
	s_add_u32 s6, s12, s16
	s_addc_u32 s7, s13, s17
	s_load_dword s8, s[6:7], 0x0
.LBB779_7:
	s_movk_i32 s6, 0x60
	v_cmp_gt_u32_e32 vcc, s6, v0
	s_and_saveexec_b64 s[6:7], vcc
	s_cbranch_execz .LBB779_9
; %bb.8:
	s_load_dword s11, s[4:5], 0x48
	s_load_dwordx2 s[12:13], s[4:5], 0x0
	v_lshrrev_b32_e32 v1, 4, v0
	s_mul_i32 s10, s10, 6
	v_add_lshl_u32 v2, v1, s10, 7
	s_waitcnt lgkmcnt(0)
	s_ashr_i32 s9, s11, 31
	s_mul_hi_u32 s14, s8, s11
	s_mul_i32 s9, s8, s9
	s_add_i32 s9, s14, s9
	s_mul_i32 s8, s8, s11
	s_lshl_b64 s[8:9], s[8:9], 1
	s_add_u32 s8, s12, s8
	v_ashrrev_i32_e32 v3, 31, v2
	s_addc_u32 s9, s13, s9
	v_lshlrev_b64 v[2:3], 1, v[2:3]
	v_and_b32_e32 v4, 15, v0
	v_mov_b32_e32 v5, s9
	v_add_co_u32_e32 v2, vcc, s8, v2
	v_addc_co_u32_e32 v3, vcc, v5, v3, vcc
	v_lshlrev_b32_e32 v4, 4, v4
	v_add_co_u32_e32 v2, vcc, v2, v4
	v_addc_co_u32_e32 v3, vcc, 0, v3, vcc
	global_load_dwordx4 v[2:5], v[2:3], off
	v_lshlrev_b32_e32 v6, 4, v0
	v_lshlrev_b32_e32 v0, 8, v0
	v_and_b32_e32 v6, 16, v6
	v_lshlrev_b32_e32 v1, 5, v1
	v_and_b32_e32 v0, 0xe00, v0
	v_or3_b32 v0, v0, v1, v6
	s_waitcnt vmcnt(0)
	ds_write_b128 v0, v[2:5]
.LBB779_9:
	s_or_b64 exec, exec, s[6:7]
	s_waitcnt lgkmcnt(0)
	s_add_u32 s8, s4, 0x90
	s_addc_u32 s9, s5, 0
	s_getpc_b64 s[4:5]
	s_add_u32 s4, s4, __PRETTY_FUNCTION__._Z39paged_attention_ll4mi_QKV_mfma16_kernelI14__hip_bfloat16hLN4vllm18Fp8KVCacheDataTypeE1ES0_Li16ELi128ELi256ELb0ELi6EL8MFMAType1EEvPKT_PKT0_S9_ifPKiSB_SB_iPKfiiiPfSE_PS4_PT2_iSD_SD_@rel32@lo+4
	s_addc_u32 s5, s5, __PRETTY_FUNCTION__._Z39paged_attention_ll4mi_QKV_mfma16_kernelI14__hip_bfloat16hLN4vllm18Fp8KVCacheDataTypeE1ES0_Li16ELi128ELi256ELb0ELi6EL8MFMAType1EEvPKT_PKT0_S9_ifPKiSB_SB_iPKfiiiPfSE_PS4_PT2_iSD_SD_@rel32@hi+12
	v_mov_b32_e32 v0, 0x288
	v_mov_b32_e32 v1, s4
	;; [unrolled: 1-line block ×3, first 2 shown]
	s_barrier
	s_getpc_b64 s[6:7]
	s_add_u32 s6, s6, __assert_fail@rel32@lo+4
	s_addc_u32 s7, s7, __assert_fail@rel32@hi+12
	s_swappc_b64 s[30:31], s[6:7]
	; divergent unreachable
.LBB779_10:
	s_endpgm
.LBB779_11:
	s_mov_b64 s[18:19], 0
	s_branch .LBB779_2
	.section	.rodata,"a",@progbits
	.p2align	6, 0x0
	.amdhsa_kernel _Z39paged_attention_ll4mi_QKV_mfma16_kernelI14__hip_bfloat16hLN4vllm18Fp8KVCacheDataTypeE1ES0_Li16ELi128ELi256ELb0ELi6EL8MFMAType1EEvPKT_PKT0_S9_ifPKiSB_SB_iPKfiiiPfSE_PS4_PT2_iSD_SD_
		.amdhsa_group_segment_fixed_size 8192
		.amdhsa_private_segment_fixed_size 64
		.amdhsa_kernarg_size 400
		.amdhsa_user_sgpr_count 8
		.amdhsa_user_sgpr_private_segment_buffer 1
		.amdhsa_user_sgpr_dispatch_ptr 0
		.amdhsa_user_sgpr_queue_ptr 0
		.amdhsa_user_sgpr_kernarg_segment_ptr 1
		.amdhsa_user_sgpr_dispatch_id 0
		.amdhsa_user_sgpr_flat_scratch_init 1
		.amdhsa_user_sgpr_kernarg_preload_length 0
		.amdhsa_user_sgpr_kernarg_preload_offset 0
		.amdhsa_user_sgpr_private_segment_size 0
		.amdhsa_uses_dynamic_stack 0
		.amdhsa_system_sgpr_private_segment_wavefront_offset 1
		.amdhsa_system_sgpr_workgroup_id_x 1
		.amdhsa_system_sgpr_workgroup_id_y 1
		.amdhsa_system_sgpr_workgroup_id_z 1
		.amdhsa_system_sgpr_workgroup_info 0
		.amdhsa_system_vgpr_workitem_id 0
		.amdhsa_next_free_vgpr 45
		.amdhsa_next_free_sgpr 34
		.amdhsa_accum_offset 44
		.amdhsa_reserve_vcc 1
		.amdhsa_reserve_flat_scratch 1
		.amdhsa_float_round_mode_32 0
		.amdhsa_float_round_mode_16_64 0
		.amdhsa_float_denorm_mode_32 3
		.amdhsa_float_denorm_mode_16_64 3
		.amdhsa_dx10_clamp 1
		.amdhsa_ieee_mode 1
		.amdhsa_fp16_overflow 0
		.amdhsa_tg_split 0
		.amdhsa_exception_fp_ieee_invalid_op 0
		.amdhsa_exception_fp_denorm_src 0
		.amdhsa_exception_fp_ieee_div_zero 0
		.amdhsa_exception_fp_ieee_overflow 0
		.amdhsa_exception_fp_ieee_underflow 0
		.amdhsa_exception_fp_ieee_inexact 0
		.amdhsa_exception_int_div_zero 0
	.end_amdhsa_kernel
	.section	.text._Z39paged_attention_ll4mi_QKV_mfma16_kernelI14__hip_bfloat16hLN4vllm18Fp8KVCacheDataTypeE1ES0_Li16ELi128ELi256ELb0ELi6EL8MFMAType1EEvPKT_PKT0_S9_ifPKiSB_SB_iPKfiiiPfSE_PS4_PT2_iSD_SD_,"axG",@progbits,_Z39paged_attention_ll4mi_QKV_mfma16_kernelI14__hip_bfloat16hLN4vllm18Fp8KVCacheDataTypeE1ES0_Li16ELi128ELi256ELb0ELi6EL8MFMAType1EEvPKT_PKT0_S9_ifPKiSB_SB_iPKfiiiPfSE_PS4_PT2_iSD_SD_,comdat
.Lfunc_end779:
	.size	_Z39paged_attention_ll4mi_QKV_mfma16_kernelI14__hip_bfloat16hLN4vllm18Fp8KVCacheDataTypeE1ES0_Li16ELi128ELi256ELb0ELi6EL8MFMAType1EEvPKT_PKT0_S9_ifPKiSB_SB_iPKfiiiPfSE_PS4_PT2_iSD_SD_, .Lfunc_end779-_Z39paged_attention_ll4mi_QKV_mfma16_kernelI14__hip_bfloat16hLN4vllm18Fp8KVCacheDataTypeE1ES0_Li16ELi128ELi256ELb0ELi6EL8MFMAType1EEvPKT_PKT0_S9_ifPKiSB_SB_iPKfiiiPfSE_PS4_PT2_iSD_SD_
                                        ; -- End function
	.section	.AMDGPU.csdata,"",@progbits
; Kernel info:
; codeLenInByte = 492
; NumSgprs: 40
; NumVgprs: 42
; NumAgprs: 1
; TotalNumVgprs: 45
; ScratchSize: 64
; MemoryBound: 0
; FloatMode: 240
; IeeeMode: 1
; LDSByteSize: 8192 bytes/workgroup (compile time only)
; SGPRBlocks: 4
; VGPRBlocks: 5
; NumSGPRsForWavesPerEU: 40
; NumVGPRsForWavesPerEU: 45
; AccumOffset: 44
; Occupancy: 8
; WaveLimiterHint : 1
; COMPUTE_PGM_RSRC2:SCRATCH_EN: 1
; COMPUTE_PGM_RSRC2:USER_SGPR: 8
; COMPUTE_PGM_RSRC2:TRAP_HANDLER: 0
; COMPUTE_PGM_RSRC2:TGID_X_EN: 1
; COMPUTE_PGM_RSRC2:TGID_Y_EN: 1
; COMPUTE_PGM_RSRC2:TGID_Z_EN: 1
; COMPUTE_PGM_RSRC2:TIDIG_COMP_CNT: 0
; COMPUTE_PGM_RSRC3_GFX90A:ACCUM_OFFSET: 10
; COMPUTE_PGM_RSRC3_GFX90A:TG_SPLIT: 0
	.section	.text._Z39paged_attention_ll4mi_QKV_mfma16_kernelI14__hip_bfloat16hLN4vllm18Fp8KVCacheDataTypeE1ES0_Li16ELi128ELi256ELb0ELi7EL8MFMAType1EEvPKT_PKT0_S9_ifPKiSB_SB_iPKfiiiPfSE_PS4_PT2_iSD_SD_,"axG",@progbits,_Z39paged_attention_ll4mi_QKV_mfma16_kernelI14__hip_bfloat16hLN4vllm18Fp8KVCacheDataTypeE1ES0_Li16ELi128ELi256ELb0ELi7EL8MFMAType1EEvPKT_PKT0_S9_ifPKiSB_SB_iPKfiiiPfSE_PS4_PT2_iSD_SD_,comdat
	.protected	_Z39paged_attention_ll4mi_QKV_mfma16_kernelI14__hip_bfloat16hLN4vllm18Fp8KVCacheDataTypeE1ES0_Li16ELi128ELi256ELb0ELi7EL8MFMAType1EEvPKT_PKT0_S9_ifPKiSB_SB_iPKfiiiPfSE_PS4_PT2_iSD_SD_ ; -- Begin function _Z39paged_attention_ll4mi_QKV_mfma16_kernelI14__hip_bfloat16hLN4vllm18Fp8KVCacheDataTypeE1ES0_Li16ELi128ELi256ELb0ELi7EL8MFMAType1EEvPKT_PKT0_S9_ifPKiSB_SB_iPKfiiiPfSE_PS4_PT2_iSD_SD_
	.globl	_Z39paged_attention_ll4mi_QKV_mfma16_kernelI14__hip_bfloat16hLN4vllm18Fp8KVCacheDataTypeE1ES0_Li16ELi128ELi256ELb0ELi7EL8MFMAType1EEvPKT_PKT0_S9_ifPKiSB_SB_iPKfiiiPfSE_PS4_PT2_iSD_SD_
	.p2align	8
	.type	_Z39paged_attention_ll4mi_QKV_mfma16_kernelI14__hip_bfloat16hLN4vllm18Fp8KVCacheDataTypeE1ES0_Li16ELi128ELi256ELb0ELi7EL8MFMAType1EEvPKT_PKT0_S9_ifPKiSB_SB_iPKfiiiPfSE_PS4_PT2_iSD_SD_,@function
_Z39paged_attention_ll4mi_QKV_mfma16_kernelI14__hip_bfloat16hLN4vllm18Fp8KVCacheDataTypeE1ES0_Li16ELi128ELi256ELb0ELi7EL8MFMAType1EEvPKT_PKT0_S9_ifPKiSB_SB_iPKfiiiPfSE_PS4_PT2_iSD_SD_: ; @_Z39paged_attention_ll4mi_QKV_mfma16_kernelI14__hip_bfloat16hLN4vllm18Fp8KVCacheDataTypeE1ES0_Li16ELi128ELi256ELb0ELi7EL8MFMAType1EEvPKT_PKT0_S9_ifPKiSB_SB_iPKfiiiPfSE_PS4_PT2_iSD_SD_
; %bb.0:
	s_load_dwordx2 s[12:13], s[4:5], 0x30
	s_add_u32 flat_scratch_lo, s6, s11
	s_addc_u32 flat_scratch_hi, s7, 0
	s_add_u32 s0, s0, s11
	s_addc_u32 s1, s1, 0
	s_waitcnt lgkmcnt(0)
	s_cmp_lg_u64 s[12:13], 0
	s_cselect_b64 s[14:15], -1, 0
	s_mov_b32 s6, s9
	s_mov_b64 s[16:17], 0
	s_and_b64 vcc, exec, s[14:15]
	s_mov_b32 s32, 0
	s_cbranch_vccz .LBB780_11
; %bb.1:
	s_add_i32 s18, s8, 1
	s_mov_b32 s19, 0
	s_lshl_b64 s[20:21], s[18:19], 2
	s_add_u32 s20, s12, s20
	s_mov_b32 s9, s19
	s_addc_u32 s21, s13, s21
	s_lshl_b64 s[18:19], s[8:9], 2
	s_add_u32 s18, s12, s18
	s_addc_u32 s19, s13, s19
	s_load_dword s7, s[20:21], 0x0
	s_load_dword s11, s[18:19], 0x0
	s_waitcnt lgkmcnt(0)
	s_sub_i32 s7, s7, s11
	s_cmp_eq_u32 s7, 1
	s_cselect_b64 s[18:19], -1, 0
	s_andn2_b64 vcc, exec, s[16:17]
	s_cbranch_vccnz .LBB780_3
.LBB780_2:
	s_mov_b32 s9, 0
	s_mov_b64 s[18:19], -1
.LBB780_3:
	s_andn2_b64 vcc, exec, s[18:19]
	s_cbranch_vccnz .LBB780_10
; %bb.4:
	s_load_dwordx2 s[18:19], s[4:5], 0x28
	s_lshl_b64 s[16:17], s[8:9], 2
	s_waitcnt lgkmcnt(0)
	s_add_u32 s18, s18, s16
	s_addc_u32 s19, s19, s17
	s_load_dword s7, s[18:19], 0x0
	s_lshl_b32 s6, s6, 8
	s_waitcnt lgkmcnt(0)
	s_cmp_ge_i32 s6, s7
	s_cbranch_scc1 .LBB780_10
; %bb.5:
	s_andn2_b64 vcc, exec, s[14:15]
	s_cbranch_vccnz .LBB780_7
; %bb.6:
	s_add_u32 s6, s12, s16
	s_addc_u32 s7, s13, s17
	s_load_dword s8, s[6:7], 0x0
.LBB780_7:
	s_movk_i32 s6, 0x70
	v_cmp_gt_u32_e32 vcc, s6, v0
	s_and_saveexec_b64 s[6:7], vcc
	s_cbranch_execz .LBB780_9
; %bb.8:
	s_load_dword s11, s[4:5], 0x48
	s_load_dwordx2 s[12:13], s[4:5], 0x0
	v_lshrrev_b32_e32 v1, 4, v0
	s_mul_i32 s10, s10, 7
	v_add_lshl_u32 v2, v1, s10, 7
	s_waitcnt lgkmcnt(0)
	s_ashr_i32 s9, s11, 31
	s_mul_hi_u32 s14, s8, s11
	s_mul_i32 s9, s8, s9
	s_add_i32 s9, s14, s9
	s_mul_i32 s8, s8, s11
	s_lshl_b64 s[8:9], s[8:9], 1
	s_add_u32 s8, s12, s8
	v_ashrrev_i32_e32 v3, 31, v2
	s_addc_u32 s9, s13, s9
	v_lshlrev_b64 v[2:3], 1, v[2:3]
	v_and_b32_e32 v4, 15, v0
	v_mov_b32_e32 v5, s9
	v_add_co_u32_e32 v2, vcc, s8, v2
	v_addc_co_u32_e32 v3, vcc, v5, v3, vcc
	v_lshlrev_b32_e32 v4, 4, v4
	v_add_co_u32_e32 v2, vcc, v2, v4
	v_addc_co_u32_e32 v3, vcc, 0, v3, vcc
	global_load_dwordx4 v[2:5], v[2:3], off
	v_lshlrev_b32_e32 v6, 4, v0
	v_lshlrev_b32_e32 v0, 8, v0
	v_and_b32_e32 v6, 16, v6
	v_lshlrev_b32_e32 v1, 5, v1
	v_and_b32_e32 v0, 0xe00, v0
	v_or3_b32 v0, v0, v1, v6
	s_waitcnt vmcnt(0)
	ds_write_b128 v0, v[2:5]
.LBB780_9:
	s_or_b64 exec, exec, s[6:7]
	s_waitcnt lgkmcnt(0)
	s_add_u32 s8, s4, 0x90
	s_addc_u32 s9, s5, 0
	s_getpc_b64 s[4:5]
	s_add_u32 s4, s4, __PRETTY_FUNCTION__._Z39paged_attention_ll4mi_QKV_mfma16_kernelI14__hip_bfloat16hLN4vllm18Fp8KVCacheDataTypeE1ES0_Li16ELi128ELi256ELb0ELi7EL8MFMAType1EEvPKT_PKT0_S9_ifPKiSB_SB_iPKfiiiPfSE_PS4_PT2_iSD_SD_@rel32@lo+4
	s_addc_u32 s5, s5, __PRETTY_FUNCTION__._Z39paged_attention_ll4mi_QKV_mfma16_kernelI14__hip_bfloat16hLN4vllm18Fp8KVCacheDataTypeE1ES0_Li16ELi128ELi256ELb0ELi7EL8MFMAType1EEvPKT_PKT0_S9_ifPKiSB_SB_iPKfiiiPfSE_PS4_PT2_iSD_SD_@rel32@hi+12
	v_mov_b32_e32 v0, 0x288
	v_mov_b32_e32 v1, s4
	;; [unrolled: 1-line block ×3, first 2 shown]
	s_barrier
	s_getpc_b64 s[6:7]
	s_add_u32 s6, s6, __assert_fail@rel32@lo+4
	s_addc_u32 s7, s7, __assert_fail@rel32@hi+12
	s_swappc_b64 s[30:31], s[6:7]
	; divergent unreachable
.LBB780_10:
	s_endpgm
.LBB780_11:
	s_mov_b64 s[18:19], 0
	s_branch .LBB780_2
	.section	.rodata,"a",@progbits
	.p2align	6, 0x0
	.amdhsa_kernel _Z39paged_attention_ll4mi_QKV_mfma16_kernelI14__hip_bfloat16hLN4vllm18Fp8KVCacheDataTypeE1ES0_Li16ELi128ELi256ELb0ELi7EL8MFMAType1EEvPKT_PKT0_S9_ifPKiSB_SB_iPKfiiiPfSE_PS4_PT2_iSD_SD_
		.amdhsa_group_segment_fixed_size 8192
		.amdhsa_private_segment_fixed_size 64
		.amdhsa_kernarg_size 400
		.amdhsa_user_sgpr_count 8
		.amdhsa_user_sgpr_private_segment_buffer 1
		.amdhsa_user_sgpr_dispatch_ptr 0
		.amdhsa_user_sgpr_queue_ptr 0
		.amdhsa_user_sgpr_kernarg_segment_ptr 1
		.amdhsa_user_sgpr_dispatch_id 0
		.amdhsa_user_sgpr_flat_scratch_init 1
		.amdhsa_user_sgpr_kernarg_preload_length 0
		.amdhsa_user_sgpr_kernarg_preload_offset 0
		.amdhsa_user_sgpr_private_segment_size 0
		.amdhsa_uses_dynamic_stack 0
		.amdhsa_system_sgpr_private_segment_wavefront_offset 1
		.amdhsa_system_sgpr_workgroup_id_x 1
		.amdhsa_system_sgpr_workgroup_id_y 1
		.amdhsa_system_sgpr_workgroup_id_z 1
		.amdhsa_system_sgpr_workgroup_info 0
		.amdhsa_system_vgpr_workitem_id 0
		.amdhsa_next_free_vgpr 45
		.amdhsa_next_free_sgpr 34
		.amdhsa_accum_offset 44
		.amdhsa_reserve_vcc 1
		.amdhsa_reserve_flat_scratch 1
		.amdhsa_float_round_mode_32 0
		.amdhsa_float_round_mode_16_64 0
		.amdhsa_float_denorm_mode_32 3
		.amdhsa_float_denorm_mode_16_64 3
		.amdhsa_dx10_clamp 1
		.amdhsa_ieee_mode 1
		.amdhsa_fp16_overflow 0
		.amdhsa_tg_split 0
		.amdhsa_exception_fp_ieee_invalid_op 0
		.amdhsa_exception_fp_denorm_src 0
		.amdhsa_exception_fp_ieee_div_zero 0
		.amdhsa_exception_fp_ieee_overflow 0
		.amdhsa_exception_fp_ieee_underflow 0
		.amdhsa_exception_fp_ieee_inexact 0
		.amdhsa_exception_int_div_zero 0
	.end_amdhsa_kernel
	.section	.text._Z39paged_attention_ll4mi_QKV_mfma16_kernelI14__hip_bfloat16hLN4vllm18Fp8KVCacheDataTypeE1ES0_Li16ELi128ELi256ELb0ELi7EL8MFMAType1EEvPKT_PKT0_S9_ifPKiSB_SB_iPKfiiiPfSE_PS4_PT2_iSD_SD_,"axG",@progbits,_Z39paged_attention_ll4mi_QKV_mfma16_kernelI14__hip_bfloat16hLN4vllm18Fp8KVCacheDataTypeE1ES0_Li16ELi128ELi256ELb0ELi7EL8MFMAType1EEvPKT_PKT0_S9_ifPKiSB_SB_iPKfiiiPfSE_PS4_PT2_iSD_SD_,comdat
.Lfunc_end780:
	.size	_Z39paged_attention_ll4mi_QKV_mfma16_kernelI14__hip_bfloat16hLN4vllm18Fp8KVCacheDataTypeE1ES0_Li16ELi128ELi256ELb0ELi7EL8MFMAType1EEvPKT_PKT0_S9_ifPKiSB_SB_iPKfiiiPfSE_PS4_PT2_iSD_SD_, .Lfunc_end780-_Z39paged_attention_ll4mi_QKV_mfma16_kernelI14__hip_bfloat16hLN4vllm18Fp8KVCacheDataTypeE1ES0_Li16ELi128ELi256ELb0ELi7EL8MFMAType1EEvPKT_PKT0_S9_ifPKiSB_SB_iPKfiiiPfSE_PS4_PT2_iSD_SD_
                                        ; -- End function
	.section	.AMDGPU.csdata,"",@progbits
; Kernel info:
; codeLenInByte = 492
; NumSgprs: 40
; NumVgprs: 42
; NumAgprs: 1
; TotalNumVgprs: 45
; ScratchSize: 64
; MemoryBound: 0
; FloatMode: 240
; IeeeMode: 1
; LDSByteSize: 8192 bytes/workgroup (compile time only)
; SGPRBlocks: 4
; VGPRBlocks: 5
; NumSGPRsForWavesPerEU: 40
; NumVGPRsForWavesPerEU: 45
; AccumOffset: 44
; Occupancy: 8
; WaveLimiterHint : 1
; COMPUTE_PGM_RSRC2:SCRATCH_EN: 1
; COMPUTE_PGM_RSRC2:USER_SGPR: 8
; COMPUTE_PGM_RSRC2:TRAP_HANDLER: 0
; COMPUTE_PGM_RSRC2:TGID_X_EN: 1
; COMPUTE_PGM_RSRC2:TGID_Y_EN: 1
; COMPUTE_PGM_RSRC2:TGID_Z_EN: 1
; COMPUTE_PGM_RSRC2:TIDIG_COMP_CNT: 0
; COMPUTE_PGM_RSRC3_GFX90A:ACCUM_OFFSET: 10
; COMPUTE_PGM_RSRC3_GFX90A:TG_SPLIT: 0
	.section	.text._Z39paged_attention_ll4mi_QKV_mfma16_kernelI14__hip_bfloat16hLN4vllm18Fp8KVCacheDataTypeE1ES0_Li16ELi128ELi256ELb0ELi8EL8MFMAType1EEvPKT_PKT0_S9_ifPKiSB_SB_iPKfiiiPfSE_PS4_PT2_iSD_SD_,"axG",@progbits,_Z39paged_attention_ll4mi_QKV_mfma16_kernelI14__hip_bfloat16hLN4vllm18Fp8KVCacheDataTypeE1ES0_Li16ELi128ELi256ELb0ELi8EL8MFMAType1EEvPKT_PKT0_S9_ifPKiSB_SB_iPKfiiiPfSE_PS4_PT2_iSD_SD_,comdat
	.protected	_Z39paged_attention_ll4mi_QKV_mfma16_kernelI14__hip_bfloat16hLN4vllm18Fp8KVCacheDataTypeE1ES0_Li16ELi128ELi256ELb0ELi8EL8MFMAType1EEvPKT_PKT0_S9_ifPKiSB_SB_iPKfiiiPfSE_PS4_PT2_iSD_SD_ ; -- Begin function _Z39paged_attention_ll4mi_QKV_mfma16_kernelI14__hip_bfloat16hLN4vllm18Fp8KVCacheDataTypeE1ES0_Li16ELi128ELi256ELb0ELi8EL8MFMAType1EEvPKT_PKT0_S9_ifPKiSB_SB_iPKfiiiPfSE_PS4_PT2_iSD_SD_
	.globl	_Z39paged_attention_ll4mi_QKV_mfma16_kernelI14__hip_bfloat16hLN4vllm18Fp8KVCacheDataTypeE1ES0_Li16ELi128ELi256ELb0ELi8EL8MFMAType1EEvPKT_PKT0_S9_ifPKiSB_SB_iPKfiiiPfSE_PS4_PT2_iSD_SD_
	.p2align	8
	.type	_Z39paged_attention_ll4mi_QKV_mfma16_kernelI14__hip_bfloat16hLN4vllm18Fp8KVCacheDataTypeE1ES0_Li16ELi128ELi256ELb0ELi8EL8MFMAType1EEvPKT_PKT0_S9_ifPKiSB_SB_iPKfiiiPfSE_PS4_PT2_iSD_SD_,@function
_Z39paged_attention_ll4mi_QKV_mfma16_kernelI14__hip_bfloat16hLN4vllm18Fp8KVCacheDataTypeE1ES0_Li16ELi128ELi256ELb0ELi8EL8MFMAType1EEvPKT_PKT0_S9_ifPKiSB_SB_iPKfiiiPfSE_PS4_PT2_iSD_SD_: ; @_Z39paged_attention_ll4mi_QKV_mfma16_kernelI14__hip_bfloat16hLN4vllm18Fp8KVCacheDataTypeE1ES0_Li16ELi128ELi256ELb0ELi8EL8MFMAType1EEvPKT_PKT0_S9_ifPKiSB_SB_iPKfiiiPfSE_PS4_PT2_iSD_SD_
; %bb.0:
	s_load_dwordx2 s[12:13], s[4:5], 0x30
	s_add_u32 flat_scratch_lo, s6, s11
	s_addc_u32 flat_scratch_hi, s7, 0
	s_add_u32 s0, s0, s11
	s_addc_u32 s1, s1, 0
	s_waitcnt lgkmcnt(0)
	s_cmp_lg_u64 s[12:13], 0
	s_cselect_b64 s[14:15], -1, 0
	s_mov_b32 s6, s9
	s_mov_b64 s[16:17], 0
	s_and_b64 vcc, exec, s[14:15]
	s_mov_b32 s32, 0
	s_cbranch_vccz .LBB781_11
; %bb.1:
	s_add_i32 s18, s8, 1
	s_mov_b32 s19, 0
	s_lshl_b64 s[20:21], s[18:19], 2
	s_add_u32 s20, s12, s20
	s_mov_b32 s9, s19
	s_addc_u32 s21, s13, s21
	s_lshl_b64 s[18:19], s[8:9], 2
	s_add_u32 s18, s12, s18
	s_addc_u32 s19, s13, s19
	s_load_dword s7, s[20:21], 0x0
	s_load_dword s11, s[18:19], 0x0
	s_waitcnt lgkmcnt(0)
	s_sub_i32 s7, s7, s11
	s_cmp_eq_u32 s7, 1
	s_cselect_b64 s[18:19], -1, 0
	s_andn2_b64 vcc, exec, s[16:17]
	s_cbranch_vccnz .LBB781_3
.LBB781_2:
	s_mov_b32 s9, 0
	s_mov_b64 s[18:19], -1
.LBB781_3:
	s_andn2_b64 vcc, exec, s[18:19]
	s_cbranch_vccnz .LBB781_10
; %bb.4:
	s_load_dwordx2 s[18:19], s[4:5], 0x28
	s_lshl_b64 s[16:17], s[8:9], 2
	s_waitcnt lgkmcnt(0)
	s_add_u32 s18, s18, s16
	s_addc_u32 s19, s19, s17
	s_load_dword s7, s[18:19], 0x0
	s_lshl_b32 s6, s6, 8
	s_waitcnt lgkmcnt(0)
	s_cmp_ge_i32 s6, s7
	s_cbranch_scc1 .LBB781_10
; %bb.5:
	s_andn2_b64 vcc, exec, s[14:15]
	s_cbranch_vccnz .LBB781_7
; %bb.6:
	s_add_u32 s6, s12, s16
	s_addc_u32 s7, s13, s17
	s_load_dword s8, s[6:7], 0x0
.LBB781_7:
	s_movk_i32 s6, 0x80
	v_cmp_gt_u32_e32 vcc, s6, v0
	s_and_saveexec_b64 s[6:7], vcc
	s_cbranch_execz .LBB781_9
; %bb.8:
	s_load_dword s11, s[4:5], 0x48
	s_load_dwordx2 s[12:13], s[4:5], 0x0
	v_lshrrev_b32_e32 v6, 4, v0
	v_and_b32_e32 v1, 15, v0
	v_lshlrev_b32_e32 v1, 4, v1
	s_waitcnt lgkmcnt(0)
	s_ashr_i32 s9, s11, 31
	s_mul_hi_u32 s14, s8, s11
	s_mul_i32 s9, s8, s9
	s_add_i32 s9, s14, s9
	s_mul_i32 s8, s8, s11
	s_lshl_b64 s[8:9], s[8:9], 1
	s_add_u32 s8, s12, s8
	s_addc_u32 s9, s13, s9
	s_lshl_b32 s10, s10, 10
	v_lshl_or_b32 v2, v6, 7, s10
	v_ashrrev_i32_e32 v3, 31, v2
	v_lshlrev_b64 v[2:3], 1, v[2:3]
	v_mov_b32_e32 v4, s9
	v_add_co_u32_e32 v2, vcc, s8, v2
	v_addc_co_u32_e32 v3, vcc, v4, v3, vcc
	v_add_co_u32_e32 v2, vcc, v2, v1
	v_addc_co_u32_e32 v3, vcc, 0, v3, vcc
	global_load_dwordx4 v[2:5], v[2:3], off
	v_lshlrev_b32_e32 v1, 4, v0
	v_lshlrev_b32_e32 v0, 8, v0
	v_and_b32_e32 v1, 16, v1
	v_lshlrev_b32_e32 v6, 5, v6
	v_and_b32_e32 v0, 0xe00, v0
	v_or3_b32 v0, v0, v6, v1
	s_waitcnt vmcnt(0)
	ds_write_b128 v0, v[2:5]
.LBB781_9:
	s_or_b64 exec, exec, s[6:7]
	s_waitcnt lgkmcnt(0)
	s_add_u32 s8, s4, 0x90
	s_addc_u32 s9, s5, 0
	s_getpc_b64 s[4:5]
	s_add_u32 s4, s4, __PRETTY_FUNCTION__._Z39paged_attention_ll4mi_QKV_mfma16_kernelI14__hip_bfloat16hLN4vllm18Fp8KVCacheDataTypeE1ES0_Li16ELi128ELi256ELb0ELi8EL8MFMAType1EEvPKT_PKT0_S9_ifPKiSB_SB_iPKfiiiPfSE_PS4_PT2_iSD_SD_@rel32@lo+4
	s_addc_u32 s5, s5, __PRETTY_FUNCTION__._Z39paged_attention_ll4mi_QKV_mfma16_kernelI14__hip_bfloat16hLN4vllm18Fp8KVCacheDataTypeE1ES0_Li16ELi128ELi256ELb0ELi8EL8MFMAType1EEvPKT_PKT0_S9_ifPKiSB_SB_iPKfiiiPfSE_PS4_PT2_iSD_SD_@rel32@hi+12
	v_mov_b32_e32 v0, 0x288
	v_mov_b32_e32 v1, s4
	;; [unrolled: 1-line block ×3, first 2 shown]
	s_barrier
	s_getpc_b64 s[6:7]
	s_add_u32 s6, s6, __assert_fail@rel32@lo+4
	s_addc_u32 s7, s7, __assert_fail@rel32@hi+12
	s_swappc_b64 s[30:31], s[6:7]
	; divergent unreachable
.LBB781_10:
	s_endpgm
.LBB781_11:
	s_mov_b64 s[18:19], 0
	s_branch .LBB781_2
	.section	.rodata,"a",@progbits
	.p2align	6, 0x0
	.amdhsa_kernel _Z39paged_attention_ll4mi_QKV_mfma16_kernelI14__hip_bfloat16hLN4vllm18Fp8KVCacheDataTypeE1ES0_Li16ELi128ELi256ELb0ELi8EL8MFMAType1EEvPKT_PKT0_S9_ifPKiSB_SB_iPKfiiiPfSE_PS4_PT2_iSD_SD_
		.amdhsa_group_segment_fixed_size 8192
		.amdhsa_private_segment_fixed_size 64
		.amdhsa_kernarg_size 400
		.amdhsa_user_sgpr_count 8
		.amdhsa_user_sgpr_private_segment_buffer 1
		.amdhsa_user_sgpr_dispatch_ptr 0
		.amdhsa_user_sgpr_queue_ptr 0
		.amdhsa_user_sgpr_kernarg_segment_ptr 1
		.amdhsa_user_sgpr_dispatch_id 0
		.amdhsa_user_sgpr_flat_scratch_init 1
		.amdhsa_user_sgpr_kernarg_preload_length 0
		.amdhsa_user_sgpr_kernarg_preload_offset 0
		.amdhsa_user_sgpr_private_segment_size 0
		.amdhsa_uses_dynamic_stack 0
		.amdhsa_system_sgpr_private_segment_wavefront_offset 1
		.amdhsa_system_sgpr_workgroup_id_x 1
		.amdhsa_system_sgpr_workgroup_id_y 1
		.amdhsa_system_sgpr_workgroup_id_z 1
		.amdhsa_system_sgpr_workgroup_info 0
		.amdhsa_system_vgpr_workitem_id 0
		.amdhsa_next_free_vgpr 45
		.amdhsa_next_free_sgpr 34
		.amdhsa_accum_offset 44
		.amdhsa_reserve_vcc 1
		.amdhsa_reserve_flat_scratch 1
		.amdhsa_float_round_mode_32 0
		.amdhsa_float_round_mode_16_64 0
		.amdhsa_float_denorm_mode_32 3
		.amdhsa_float_denorm_mode_16_64 3
		.amdhsa_dx10_clamp 1
		.amdhsa_ieee_mode 1
		.amdhsa_fp16_overflow 0
		.amdhsa_tg_split 0
		.amdhsa_exception_fp_ieee_invalid_op 0
		.amdhsa_exception_fp_denorm_src 0
		.amdhsa_exception_fp_ieee_div_zero 0
		.amdhsa_exception_fp_ieee_overflow 0
		.amdhsa_exception_fp_ieee_underflow 0
		.amdhsa_exception_fp_ieee_inexact 0
		.amdhsa_exception_int_div_zero 0
	.end_amdhsa_kernel
	.section	.text._Z39paged_attention_ll4mi_QKV_mfma16_kernelI14__hip_bfloat16hLN4vllm18Fp8KVCacheDataTypeE1ES0_Li16ELi128ELi256ELb0ELi8EL8MFMAType1EEvPKT_PKT0_S9_ifPKiSB_SB_iPKfiiiPfSE_PS4_PT2_iSD_SD_,"axG",@progbits,_Z39paged_attention_ll4mi_QKV_mfma16_kernelI14__hip_bfloat16hLN4vllm18Fp8KVCacheDataTypeE1ES0_Li16ELi128ELi256ELb0ELi8EL8MFMAType1EEvPKT_PKT0_S9_ifPKiSB_SB_iPKfiiiPfSE_PS4_PT2_iSD_SD_,comdat
.Lfunc_end781:
	.size	_Z39paged_attention_ll4mi_QKV_mfma16_kernelI14__hip_bfloat16hLN4vllm18Fp8KVCacheDataTypeE1ES0_Li16ELi128ELi256ELb0ELi8EL8MFMAType1EEvPKT_PKT0_S9_ifPKiSB_SB_iPKfiiiPfSE_PS4_PT2_iSD_SD_, .Lfunc_end781-_Z39paged_attention_ll4mi_QKV_mfma16_kernelI14__hip_bfloat16hLN4vllm18Fp8KVCacheDataTypeE1ES0_Li16ELi128ELi256ELb0ELi8EL8MFMAType1EEvPKT_PKT0_S9_ifPKiSB_SB_iPKfiiiPfSE_PS4_PT2_iSD_SD_
                                        ; -- End function
	.section	.AMDGPU.csdata,"",@progbits
; Kernel info:
; codeLenInByte = 492
; NumSgprs: 40
; NumVgprs: 42
; NumAgprs: 1
; TotalNumVgprs: 45
; ScratchSize: 64
; MemoryBound: 0
; FloatMode: 240
; IeeeMode: 1
; LDSByteSize: 8192 bytes/workgroup (compile time only)
; SGPRBlocks: 4
; VGPRBlocks: 5
; NumSGPRsForWavesPerEU: 40
; NumVGPRsForWavesPerEU: 45
; AccumOffset: 44
; Occupancy: 8
; WaveLimiterHint : 1
; COMPUTE_PGM_RSRC2:SCRATCH_EN: 1
; COMPUTE_PGM_RSRC2:USER_SGPR: 8
; COMPUTE_PGM_RSRC2:TRAP_HANDLER: 0
; COMPUTE_PGM_RSRC2:TGID_X_EN: 1
; COMPUTE_PGM_RSRC2:TGID_Y_EN: 1
; COMPUTE_PGM_RSRC2:TGID_Z_EN: 1
; COMPUTE_PGM_RSRC2:TIDIG_COMP_CNT: 0
; COMPUTE_PGM_RSRC3_GFX90A:ACCUM_OFFSET: 10
; COMPUTE_PGM_RSRC3_GFX90A:TG_SPLIT: 0
	.section	.text._Z39paged_attention_ll4mi_QKV_mfma16_kernelI14__hip_bfloat16hLN4vllm18Fp8KVCacheDataTypeE1ES0_Li16ELi128ELi256ELb0ELi9EL8MFMAType1EEvPKT_PKT0_S9_ifPKiSB_SB_iPKfiiiPfSE_PS4_PT2_iSD_SD_,"axG",@progbits,_Z39paged_attention_ll4mi_QKV_mfma16_kernelI14__hip_bfloat16hLN4vllm18Fp8KVCacheDataTypeE1ES0_Li16ELi128ELi256ELb0ELi9EL8MFMAType1EEvPKT_PKT0_S9_ifPKiSB_SB_iPKfiiiPfSE_PS4_PT2_iSD_SD_,comdat
	.protected	_Z39paged_attention_ll4mi_QKV_mfma16_kernelI14__hip_bfloat16hLN4vllm18Fp8KVCacheDataTypeE1ES0_Li16ELi128ELi256ELb0ELi9EL8MFMAType1EEvPKT_PKT0_S9_ifPKiSB_SB_iPKfiiiPfSE_PS4_PT2_iSD_SD_ ; -- Begin function _Z39paged_attention_ll4mi_QKV_mfma16_kernelI14__hip_bfloat16hLN4vllm18Fp8KVCacheDataTypeE1ES0_Li16ELi128ELi256ELb0ELi9EL8MFMAType1EEvPKT_PKT0_S9_ifPKiSB_SB_iPKfiiiPfSE_PS4_PT2_iSD_SD_
	.globl	_Z39paged_attention_ll4mi_QKV_mfma16_kernelI14__hip_bfloat16hLN4vllm18Fp8KVCacheDataTypeE1ES0_Li16ELi128ELi256ELb0ELi9EL8MFMAType1EEvPKT_PKT0_S9_ifPKiSB_SB_iPKfiiiPfSE_PS4_PT2_iSD_SD_
	.p2align	8
	.type	_Z39paged_attention_ll4mi_QKV_mfma16_kernelI14__hip_bfloat16hLN4vllm18Fp8KVCacheDataTypeE1ES0_Li16ELi128ELi256ELb0ELi9EL8MFMAType1EEvPKT_PKT0_S9_ifPKiSB_SB_iPKfiiiPfSE_PS4_PT2_iSD_SD_,@function
_Z39paged_attention_ll4mi_QKV_mfma16_kernelI14__hip_bfloat16hLN4vllm18Fp8KVCacheDataTypeE1ES0_Li16ELi128ELi256ELb0ELi9EL8MFMAType1EEvPKT_PKT0_S9_ifPKiSB_SB_iPKfiiiPfSE_PS4_PT2_iSD_SD_: ; @_Z39paged_attention_ll4mi_QKV_mfma16_kernelI14__hip_bfloat16hLN4vllm18Fp8KVCacheDataTypeE1ES0_Li16ELi128ELi256ELb0ELi9EL8MFMAType1EEvPKT_PKT0_S9_ifPKiSB_SB_iPKfiiiPfSE_PS4_PT2_iSD_SD_
; %bb.0:
	s_load_dwordx2 s[12:13], s[4:5], 0x30
	s_add_u32 flat_scratch_lo, s6, s11
	s_addc_u32 flat_scratch_hi, s7, 0
	s_add_u32 s0, s0, s11
	s_addc_u32 s1, s1, 0
	s_waitcnt lgkmcnt(0)
	s_cmp_lg_u64 s[12:13], 0
	s_cselect_b64 s[14:15], -1, 0
	s_mov_b32 s6, s9
	s_mov_b64 s[16:17], 0
	s_and_b64 vcc, exec, s[14:15]
	s_mov_b32 s32, 0
	s_cbranch_vccz .LBB782_11
; %bb.1:
	s_add_i32 s18, s8, 1
	s_mov_b32 s19, 0
	s_lshl_b64 s[20:21], s[18:19], 2
	s_add_u32 s20, s12, s20
	s_mov_b32 s9, s19
	s_addc_u32 s21, s13, s21
	s_lshl_b64 s[18:19], s[8:9], 2
	s_add_u32 s18, s12, s18
	s_addc_u32 s19, s13, s19
	s_load_dword s7, s[20:21], 0x0
	s_load_dword s11, s[18:19], 0x0
	s_waitcnt lgkmcnt(0)
	s_sub_i32 s7, s7, s11
	s_cmp_eq_u32 s7, 1
	s_cselect_b64 s[18:19], -1, 0
	s_andn2_b64 vcc, exec, s[16:17]
	s_cbranch_vccnz .LBB782_3
.LBB782_2:
	s_mov_b32 s9, 0
	s_mov_b64 s[18:19], -1
.LBB782_3:
	s_andn2_b64 vcc, exec, s[18:19]
	s_cbranch_vccnz .LBB782_10
; %bb.4:
	s_load_dwordx2 s[18:19], s[4:5], 0x28
	s_lshl_b64 s[16:17], s[8:9], 2
	s_waitcnt lgkmcnt(0)
	s_add_u32 s18, s18, s16
	s_addc_u32 s19, s19, s17
	s_load_dword s7, s[18:19], 0x0
	s_lshl_b32 s6, s6, 8
	s_waitcnt lgkmcnt(0)
	s_cmp_ge_i32 s6, s7
	s_cbranch_scc1 .LBB782_10
; %bb.5:
	s_andn2_b64 vcc, exec, s[14:15]
	s_cbranch_vccnz .LBB782_7
; %bb.6:
	s_add_u32 s6, s12, s16
	s_addc_u32 s7, s13, s17
	s_load_dword s8, s[6:7], 0x0
.LBB782_7:
	s_movk_i32 s6, 0x90
	v_cmp_gt_u32_e32 vcc, s6, v0
	s_and_saveexec_b64 s[6:7], vcc
	s_cbranch_execz .LBB782_9
; %bb.8:
	s_load_dword s11, s[4:5], 0x48
	s_load_dwordx2 s[12:13], s[4:5], 0x0
	v_lshrrev_b32_e32 v1, 4, v0
	s_mul_i32 s10, s10, 9
	v_add_lshl_u32 v2, v1, s10, 7
	s_waitcnt lgkmcnt(0)
	s_ashr_i32 s9, s11, 31
	s_mul_hi_u32 s14, s8, s11
	s_mul_i32 s9, s8, s9
	s_add_i32 s9, s14, s9
	s_mul_i32 s8, s8, s11
	s_lshl_b64 s[8:9], s[8:9], 1
	s_add_u32 s8, s12, s8
	v_ashrrev_i32_e32 v3, 31, v2
	s_addc_u32 s9, s13, s9
	v_lshlrev_b64 v[2:3], 1, v[2:3]
	v_and_b32_e32 v4, 15, v0
	v_mov_b32_e32 v5, s9
	v_add_co_u32_e32 v2, vcc, s8, v2
	v_addc_co_u32_e32 v3, vcc, v5, v3, vcc
	v_lshlrev_b32_e32 v4, 4, v4
	v_add_co_u32_e32 v2, vcc, v2, v4
	v_addc_co_u32_e32 v3, vcc, 0, v3, vcc
	global_load_dwordx4 v[2:5], v[2:3], off
	v_lshlrev_b32_e32 v6, 4, v0
	v_lshlrev_b32_e32 v0, 8, v0
	v_and_b32_e32 v6, 16, v6
	v_lshlrev_b32_e32 v1, 5, v1
	v_and_b32_e32 v0, 0xe00, v0
	v_or3_b32 v0, v0, v1, v6
	s_waitcnt vmcnt(0)
	ds_write_b128 v0, v[2:5]
.LBB782_9:
	s_or_b64 exec, exec, s[6:7]
	s_waitcnt lgkmcnt(0)
	s_add_u32 s8, s4, 0x90
	s_addc_u32 s9, s5, 0
	s_getpc_b64 s[4:5]
	s_add_u32 s4, s4, __PRETTY_FUNCTION__._Z39paged_attention_ll4mi_QKV_mfma16_kernelI14__hip_bfloat16hLN4vllm18Fp8KVCacheDataTypeE1ES0_Li16ELi128ELi256ELb0ELi9EL8MFMAType1EEvPKT_PKT0_S9_ifPKiSB_SB_iPKfiiiPfSE_PS4_PT2_iSD_SD_@rel32@lo+4
	s_addc_u32 s5, s5, __PRETTY_FUNCTION__._Z39paged_attention_ll4mi_QKV_mfma16_kernelI14__hip_bfloat16hLN4vllm18Fp8KVCacheDataTypeE1ES0_Li16ELi128ELi256ELb0ELi9EL8MFMAType1EEvPKT_PKT0_S9_ifPKiSB_SB_iPKfiiiPfSE_PS4_PT2_iSD_SD_@rel32@hi+12
	v_mov_b32_e32 v0, 0x288
	v_mov_b32_e32 v1, s4
	;; [unrolled: 1-line block ×3, first 2 shown]
	s_barrier
	s_getpc_b64 s[6:7]
	s_add_u32 s6, s6, __assert_fail@rel32@lo+4
	s_addc_u32 s7, s7, __assert_fail@rel32@hi+12
	s_swappc_b64 s[30:31], s[6:7]
	; divergent unreachable
.LBB782_10:
	s_endpgm
.LBB782_11:
	s_mov_b64 s[18:19], 0
	s_branch .LBB782_2
	.section	.rodata,"a",@progbits
	.p2align	6, 0x0
	.amdhsa_kernel _Z39paged_attention_ll4mi_QKV_mfma16_kernelI14__hip_bfloat16hLN4vllm18Fp8KVCacheDataTypeE1ES0_Li16ELi128ELi256ELb0ELi9EL8MFMAType1EEvPKT_PKT0_S9_ifPKiSB_SB_iPKfiiiPfSE_PS4_PT2_iSD_SD_
		.amdhsa_group_segment_fixed_size 8192
		.amdhsa_private_segment_fixed_size 64
		.amdhsa_kernarg_size 400
		.amdhsa_user_sgpr_count 8
		.amdhsa_user_sgpr_private_segment_buffer 1
		.amdhsa_user_sgpr_dispatch_ptr 0
		.amdhsa_user_sgpr_queue_ptr 0
		.amdhsa_user_sgpr_kernarg_segment_ptr 1
		.amdhsa_user_sgpr_dispatch_id 0
		.amdhsa_user_sgpr_flat_scratch_init 1
		.amdhsa_user_sgpr_kernarg_preload_length 0
		.amdhsa_user_sgpr_kernarg_preload_offset 0
		.amdhsa_user_sgpr_private_segment_size 0
		.amdhsa_uses_dynamic_stack 0
		.amdhsa_system_sgpr_private_segment_wavefront_offset 1
		.amdhsa_system_sgpr_workgroup_id_x 1
		.amdhsa_system_sgpr_workgroup_id_y 1
		.amdhsa_system_sgpr_workgroup_id_z 1
		.amdhsa_system_sgpr_workgroup_info 0
		.amdhsa_system_vgpr_workitem_id 0
		.amdhsa_next_free_vgpr 45
		.amdhsa_next_free_sgpr 34
		.amdhsa_accum_offset 44
		.amdhsa_reserve_vcc 1
		.amdhsa_reserve_flat_scratch 1
		.amdhsa_float_round_mode_32 0
		.amdhsa_float_round_mode_16_64 0
		.amdhsa_float_denorm_mode_32 3
		.amdhsa_float_denorm_mode_16_64 3
		.amdhsa_dx10_clamp 1
		.amdhsa_ieee_mode 1
		.amdhsa_fp16_overflow 0
		.amdhsa_tg_split 0
		.amdhsa_exception_fp_ieee_invalid_op 0
		.amdhsa_exception_fp_denorm_src 0
		.amdhsa_exception_fp_ieee_div_zero 0
		.amdhsa_exception_fp_ieee_overflow 0
		.amdhsa_exception_fp_ieee_underflow 0
		.amdhsa_exception_fp_ieee_inexact 0
		.amdhsa_exception_int_div_zero 0
	.end_amdhsa_kernel
	.section	.text._Z39paged_attention_ll4mi_QKV_mfma16_kernelI14__hip_bfloat16hLN4vllm18Fp8KVCacheDataTypeE1ES0_Li16ELi128ELi256ELb0ELi9EL8MFMAType1EEvPKT_PKT0_S9_ifPKiSB_SB_iPKfiiiPfSE_PS4_PT2_iSD_SD_,"axG",@progbits,_Z39paged_attention_ll4mi_QKV_mfma16_kernelI14__hip_bfloat16hLN4vllm18Fp8KVCacheDataTypeE1ES0_Li16ELi128ELi256ELb0ELi9EL8MFMAType1EEvPKT_PKT0_S9_ifPKiSB_SB_iPKfiiiPfSE_PS4_PT2_iSD_SD_,comdat
.Lfunc_end782:
	.size	_Z39paged_attention_ll4mi_QKV_mfma16_kernelI14__hip_bfloat16hLN4vllm18Fp8KVCacheDataTypeE1ES0_Li16ELi128ELi256ELb0ELi9EL8MFMAType1EEvPKT_PKT0_S9_ifPKiSB_SB_iPKfiiiPfSE_PS4_PT2_iSD_SD_, .Lfunc_end782-_Z39paged_attention_ll4mi_QKV_mfma16_kernelI14__hip_bfloat16hLN4vllm18Fp8KVCacheDataTypeE1ES0_Li16ELi128ELi256ELb0ELi9EL8MFMAType1EEvPKT_PKT0_S9_ifPKiSB_SB_iPKfiiiPfSE_PS4_PT2_iSD_SD_
                                        ; -- End function
	.section	.AMDGPU.csdata,"",@progbits
; Kernel info:
; codeLenInByte = 492
; NumSgprs: 40
; NumVgprs: 42
; NumAgprs: 1
; TotalNumVgprs: 45
; ScratchSize: 64
; MemoryBound: 0
; FloatMode: 240
; IeeeMode: 1
; LDSByteSize: 8192 bytes/workgroup (compile time only)
; SGPRBlocks: 4
; VGPRBlocks: 5
; NumSGPRsForWavesPerEU: 40
; NumVGPRsForWavesPerEU: 45
; AccumOffset: 44
; Occupancy: 8
; WaveLimiterHint : 1
; COMPUTE_PGM_RSRC2:SCRATCH_EN: 1
; COMPUTE_PGM_RSRC2:USER_SGPR: 8
; COMPUTE_PGM_RSRC2:TRAP_HANDLER: 0
; COMPUTE_PGM_RSRC2:TGID_X_EN: 1
; COMPUTE_PGM_RSRC2:TGID_Y_EN: 1
; COMPUTE_PGM_RSRC2:TGID_Z_EN: 1
; COMPUTE_PGM_RSRC2:TIDIG_COMP_CNT: 0
; COMPUTE_PGM_RSRC3_GFX90A:ACCUM_OFFSET: 10
; COMPUTE_PGM_RSRC3_GFX90A:TG_SPLIT: 0
	.section	.text._Z39paged_attention_ll4mi_QKV_mfma16_kernelI14__hip_bfloat16hLN4vllm18Fp8KVCacheDataTypeE1ES0_Li16ELi128ELi256ELb0ELi10EL8MFMAType1EEvPKT_PKT0_S9_ifPKiSB_SB_iPKfiiiPfSE_PS4_PT2_iSD_SD_,"axG",@progbits,_Z39paged_attention_ll4mi_QKV_mfma16_kernelI14__hip_bfloat16hLN4vllm18Fp8KVCacheDataTypeE1ES0_Li16ELi128ELi256ELb0ELi10EL8MFMAType1EEvPKT_PKT0_S9_ifPKiSB_SB_iPKfiiiPfSE_PS4_PT2_iSD_SD_,comdat
	.protected	_Z39paged_attention_ll4mi_QKV_mfma16_kernelI14__hip_bfloat16hLN4vllm18Fp8KVCacheDataTypeE1ES0_Li16ELi128ELi256ELb0ELi10EL8MFMAType1EEvPKT_PKT0_S9_ifPKiSB_SB_iPKfiiiPfSE_PS4_PT2_iSD_SD_ ; -- Begin function _Z39paged_attention_ll4mi_QKV_mfma16_kernelI14__hip_bfloat16hLN4vllm18Fp8KVCacheDataTypeE1ES0_Li16ELi128ELi256ELb0ELi10EL8MFMAType1EEvPKT_PKT0_S9_ifPKiSB_SB_iPKfiiiPfSE_PS4_PT2_iSD_SD_
	.globl	_Z39paged_attention_ll4mi_QKV_mfma16_kernelI14__hip_bfloat16hLN4vllm18Fp8KVCacheDataTypeE1ES0_Li16ELi128ELi256ELb0ELi10EL8MFMAType1EEvPKT_PKT0_S9_ifPKiSB_SB_iPKfiiiPfSE_PS4_PT2_iSD_SD_
	.p2align	8
	.type	_Z39paged_attention_ll4mi_QKV_mfma16_kernelI14__hip_bfloat16hLN4vllm18Fp8KVCacheDataTypeE1ES0_Li16ELi128ELi256ELb0ELi10EL8MFMAType1EEvPKT_PKT0_S9_ifPKiSB_SB_iPKfiiiPfSE_PS4_PT2_iSD_SD_,@function
_Z39paged_attention_ll4mi_QKV_mfma16_kernelI14__hip_bfloat16hLN4vllm18Fp8KVCacheDataTypeE1ES0_Li16ELi128ELi256ELb0ELi10EL8MFMAType1EEvPKT_PKT0_S9_ifPKiSB_SB_iPKfiiiPfSE_PS4_PT2_iSD_SD_: ; @_Z39paged_attention_ll4mi_QKV_mfma16_kernelI14__hip_bfloat16hLN4vllm18Fp8KVCacheDataTypeE1ES0_Li16ELi128ELi256ELb0ELi10EL8MFMAType1EEvPKT_PKT0_S9_ifPKiSB_SB_iPKfiiiPfSE_PS4_PT2_iSD_SD_
; %bb.0:
	s_load_dwordx2 s[12:13], s[4:5], 0x30
	s_add_u32 flat_scratch_lo, s6, s11
	s_addc_u32 flat_scratch_hi, s7, 0
	s_add_u32 s0, s0, s11
	s_addc_u32 s1, s1, 0
	s_waitcnt lgkmcnt(0)
	s_cmp_lg_u64 s[12:13], 0
	s_cselect_b64 s[14:15], -1, 0
	s_mov_b32 s6, s9
	s_mov_b64 s[16:17], 0
	s_and_b64 vcc, exec, s[14:15]
	s_mov_b32 s32, 0
	s_cbranch_vccz .LBB783_11
; %bb.1:
	s_add_i32 s18, s8, 1
	s_mov_b32 s19, 0
	s_lshl_b64 s[20:21], s[18:19], 2
	s_add_u32 s20, s12, s20
	s_mov_b32 s9, s19
	s_addc_u32 s21, s13, s21
	s_lshl_b64 s[18:19], s[8:9], 2
	s_add_u32 s18, s12, s18
	s_addc_u32 s19, s13, s19
	s_load_dword s7, s[20:21], 0x0
	s_load_dword s11, s[18:19], 0x0
	s_waitcnt lgkmcnt(0)
	s_sub_i32 s7, s7, s11
	s_cmp_eq_u32 s7, 1
	s_cselect_b64 s[18:19], -1, 0
	s_andn2_b64 vcc, exec, s[16:17]
	s_cbranch_vccnz .LBB783_3
.LBB783_2:
	s_mov_b32 s9, 0
	s_mov_b64 s[18:19], -1
.LBB783_3:
	s_andn2_b64 vcc, exec, s[18:19]
	s_cbranch_vccnz .LBB783_10
; %bb.4:
	s_load_dwordx2 s[18:19], s[4:5], 0x28
	s_lshl_b64 s[16:17], s[8:9], 2
	s_waitcnt lgkmcnt(0)
	s_add_u32 s18, s18, s16
	s_addc_u32 s19, s19, s17
	s_load_dword s7, s[18:19], 0x0
	s_lshl_b32 s6, s6, 8
	s_waitcnt lgkmcnt(0)
	s_cmp_ge_i32 s6, s7
	s_cbranch_scc1 .LBB783_10
; %bb.5:
	s_andn2_b64 vcc, exec, s[14:15]
	s_cbranch_vccnz .LBB783_7
; %bb.6:
	s_add_u32 s6, s12, s16
	s_addc_u32 s7, s13, s17
	s_load_dword s8, s[6:7], 0x0
.LBB783_7:
	s_movk_i32 s6, 0xa0
	v_cmp_gt_u32_e32 vcc, s6, v0
	s_and_saveexec_b64 s[6:7], vcc
	s_cbranch_execz .LBB783_9
; %bb.8:
	s_load_dword s11, s[4:5], 0x48
	s_load_dwordx2 s[12:13], s[4:5], 0x0
	v_lshrrev_b32_e32 v1, 4, v0
	s_mul_i32 s10, s10, 10
	v_add_lshl_u32 v2, v1, s10, 7
	s_waitcnt lgkmcnt(0)
	s_ashr_i32 s9, s11, 31
	s_mul_hi_u32 s14, s8, s11
	s_mul_i32 s9, s8, s9
	s_add_i32 s9, s14, s9
	s_mul_i32 s8, s8, s11
	s_lshl_b64 s[8:9], s[8:9], 1
	s_add_u32 s8, s12, s8
	v_ashrrev_i32_e32 v3, 31, v2
	s_addc_u32 s9, s13, s9
	v_lshlrev_b64 v[2:3], 1, v[2:3]
	v_and_b32_e32 v4, 15, v0
	v_mov_b32_e32 v5, s9
	v_add_co_u32_e32 v2, vcc, s8, v2
	v_addc_co_u32_e32 v3, vcc, v5, v3, vcc
	v_lshlrev_b32_e32 v4, 4, v4
	v_add_co_u32_e32 v2, vcc, v2, v4
	v_addc_co_u32_e32 v3, vcc, 0, v3, vcc
	global_load_dwordx4 v[2:5], v[2:3], off
	v_lshlrev_b32_e32 v6, 4, v0
	v_lshlrev_b32_e32 v0, 8, v0
	v_and_b32_e32 v6, 16, v6
	v_lshlrev_b32_e32 v1, 5, v1
	v_and_b32_e32 v0, 0xe00, v0
	v_or3_b32 v0, v0, v1, v6
	s_waitcnt vmcnt(0)
	ds_write_b128 v0, v[2:5]
.LBB783_9:
	s_or_b64 exec, exec, s[6:7]
	s_waitcnt lgkmcnt(0)
	s_add_u32 s8, s4, 0x90
	s_addc_u32 s9, s5, 0
	s_getpc_b64 s[4:5]
	s_add_u32 s4, s4, __PRETTY_FUNCTION__._Z39paged_attention_ll4mi_QKV_mfma16_kernelI14__hip_bfloat16hLN4vllm18Fp8KVCacheDataTypeE1ES0_Li16ELi128ELi256ELb0ELi10EL8MFMAType1EEvPKT_PKT0_S9_ifPKiSB_SB_iPKfiiiPfSE_PS4_PT2_iSD_SD_@rel32@lo+4
	s_addc_u32 s5, s5, __PRETTY_FUNCTION__._Z39paged_attention_ll4mi_QKV_mfma16_kernelI14__hip_bfloat16hLN4vllm18Fp8KVCacheDataTypeE1ES0_Li16ELi128ELi256ELb0ELi10EL8MFMAType1EEvPKT_PKT0_S9_ifPKiSB_SB_iPKfiiiPfSE_PS4_PT2_iSD_SD_@rel32@hi+12
	v_mov_b32_e32 v0, 0x288
	v_mov_b32_e32 v1, s4
	;; [unrolled: 1-line block ×3, first 2 shown]
	s_barrier
	s_getpc_b64 s[6:7]
	s_add_u32 s6, s6, __assert_fail@rel32@lo+4
	s_addc_u32 s7, s7, __assert_fail@rel32@hi+12
	s_swappc_b64 s[30:31], s[6:7]
	; divergent unreachable
.LBB783_10:
	s_endpgm
.LBB783_11:
	s_mov_b64 s[18:19], 0
	s_branch .LBB783_2
	.section	.rodata,"a",@progbits
	.p2align	6, 0x0
	.amdhsa_kernel _Z39paged_attention_ll4mi_QKV_mfma16_kernelI14__hip_bfloat16hLN4vllm18Fp8KVCacheDataTypeE1ES0_Li16ELi128ELi256ELb0ELi10EL8MFMAType1EEvPKT_PKT0_S9_ifPKiSB_SB_iPKfiiiPfSE_PS4_PT2_iSD_SD_
		.amdhsa_group_segment_fixed_size 8192
		.amdhsa_private_segment_fixed_size 64
		.amdhsa_kernarg_size 400
		.amdhsa_user_sgpr_count 8
		.amdhsa_user_sgpr_private_segment_buffer 1
		.amdhsa_user_sgpr_dispatch_ptr 0
		.amdhsa_user_sgpr_queue_ptr 0
		.amdhsa_user_sgpr_kernarg_segment_ptr 1
		.amdhsa_user_sgpr_dispatch_id 0
		.amdhsa_user_sgpr_flat_scratch_init 1
		.amdhsa_user_sgpr_kernarg_preload_length 0
		.amdhsa_user_sgpr_kernarg_preload_offset 0
		.amdhsa_user_sgpr_private_segment_size 0
		.amdhsa_uses_dynamic_stack 0
		.amdhsa_system_sgpr_private_segment_wavefront_offset 1
		.amdhsa_system_sgpr_workgroup_id_x 1
		.amdhsa_system_sgpr_workgroup_id_y 1
		.amdhsa_system_sgpr_workgroup_id_z 1
		.amdhsa_system_sgpr_workgroup_info 0
		.amdhsa_system_vgpr_workitem_id 0
		.amdhsa_next_free_vgpr 45
		.amdhsa_next_free_sgpr 34
		.amdhsa_accum_offset 44
		.amdhsa_reserve_vcc 1
		.amdhsa_reserve_flat_scratch 1
		.amdhsa_float_round_mode_32 0
		.amdhsa_float_round_mode_16_64 0
		.amdhsa_float_denorm_mode_32 3
		.amdhsa_float_denorm_mode_16_64 3
		.amdhsa_dx10_clamp 1
		.amdhsa_ieee_mode 1
		.amdhsa_fp16_overflow 0
		.amdhsa_tg_split 0
		.amdhsa_exception_fp_ieee_invalid_op 0
		.amdhsa_exception_fp_denorm_src 0
		.amdhsa_exception_fp_ieee_div_zero 0
		.amdhsa_exception_fp_ieee_overflow 0
		.amdhsa_exception_fp_ieee_underflow 0
		.amdhsa_exception_fp_ieee_inexact 0
		.amdhsa_exception_int_div_zero 0
	.end_amdhsa_kernel
	.section	.text._Z39paged_attention_ll4mi_QKV_mfma16_kernelI14__hip_bfloat16hLN4vllm18Fp8KVCacheDataTypeE1ES0_Li16ELi128ELi256ELb0ELi10EL8MFMAType1EEvPKT_PKT0_S9_ifPKiSB_SB_iPKfiiiPfSE_PS4_PT2_iSD_SD_,"axG",@progbits,_Z39paged_attention_ll4mi_QKV_mfma16_kernelI14__hip_bfloat16hLN4vllm18Fp8KVCacheDataTypeE1ES0_Li16ELi128ELi256ELb0ELi10EL8MFMAType1EEvPKT_PKT0_S9_ifPKiSB_SB_iPKfiiiPfSE_PS4_PT2_iSD_SD_,comdat
.Lfunc_end783:
	.size	_Z39paged_attention_ll4mi_QKV_mfma16_kernelI14__hip_bfloat16hLN4vllm18Fp8KVCacheDataTypeE1ES0_Li16ELi128ELi256ELb0ELi10EL8MFMAType1EEvPKT_PKT0_S9_ifPKiSB_SB_iPKfiiiPfSE_PS4_PT2_iSD_SD_, .Lfunc_end783-_Z39paged_attention_ll4mi_QKV_mfma16_kernelI14__hip_bfloat16hLN4vllm18Fp8KVCacheDataTypeE1ES0_Li16ELi128ELi256ELb0ELi10EL8MFMAType1EEvPKT_PKT0_S9_ifPKiSB_SB_iPKfiiiPfSE_PS4_PT2_iSD_SD_
                                        ; -- End function
	.section	.AMDGPU.csdata,"",@progbits
; Kernel info:
; codeLenInByte = 492
; NumSgprs: 40
; NumVgprs: 42
; NumAgprs: 1
; TotalNumVgprs: 45
; ScratchSize: 64
; MemoryBound: 0
; FloatMode: 240
; IeeeMode: 1
; LDSByteSize: 8192 bytes/workgroup (compile time only)
; SGPRBlocks: 4
; VGPRBlocks: 5
; NumSGPRsForWavesPerEU: 40
; NumVGPRsForWavesPerEU: 45
; AccumOffset: 44
; Occupancy: 8
; WaveLimiterHint : 1
; COMPUTE_PGM_RSRC2:SCRATCH_EN: 1
; COMPUTE_PGM_RSRC2:USER_SGPR: 8
; COMPUTE_PGM_RSRC2:TRAP_HANDLER: 0
; COMPUTE_PGM_RSRC2:TGID_X_EN: 1
; COMPUTE_PGM_RSRC2:TGID_Y_EN: 1
; COMPUTE_PGM_RSRC2:TGID_Z_EN: 1
; COMPUTE_PGM_RSRC2:TIDIG_COMP_CNT: 0
; COMPUTE_PGM_RSRC3_GFX90A:ACCUM_OFFSET: 10
; COMPUTE_PGM_RSRC3_GFX90A:TG_SPLIT: 0
	.section	.text._Z39paged_attention_ll4mi_QKV_mfma16_kernelI14__hip_bfloat16hLN4vllm18Fp8KVCacheDataTypeE1ES0_Li16ELi128ELi256ELb0ELi11EL8MFMAType1EEvPKT_PKT0_S9_ifPKiSB_SB_iPKfiiiPfSE_PS4_PT2_iSD_SD_,"axG",@progbits,_Z39paged_attention_ll4mi_QKV_mfma16_kernelI14__hip_bfloat16hLN4vllm18Fp8KVCacheDataTypeE1ES0_Li16ELi128ELi256ELb0ELi11EL8MFMAType1EEvPKT_PKT0_S9_ifPKiSB_SB_iPKfiiiPfSE_PS4_PT2_iSD_SD_,comdat
	.protected	_Z39paged_attention_ll4mi_QKV_mfma16_kernelI14__hip_bfloat16hLN4vllm18Fp8KVCacheDataTypeE1ES0_Li16ELi128ELi256ELb0ELi11EL8MFMAType1EEvPKT_PKT0_S9_ifPKiSB_SB_iPKfiiiPfSE_PS4_PT2_iSD_SD_ ; -- Begin function _Z39paged_attention_ll4mi_QKV_mfma16_kernelI14__hip_bfloat16hLN4vllm18Fp8KVCacheDataTypeE1ES0_Li16ELi128ELi256ELb0ELi11EL8MFMAType1EEvPKT_PKT0_S9_ifPKiSB_SB_iPKfiiiPfSE_PS4_PT2_iSD_SD_
	.globl	_Z39paged_attention_ll4mi_QKV_mfma16_kernelI14__hip_bfloat16hLN4vllm18Fp8KVCacheDataTypeE1ES0_Li16ELi128ELi256ELb0ELi11EL8MFMAType1EEvPKT_PKT0_S9_ifPKiSB_SB_iPKfiiiPfSE_PS4_PT2_iSD_SD_
	.p2align	8
	.type	_Z39paged_attention_ll4mi_QKV_mfma16_kernelI14__hip_bfloat16hLN4vllm18Fp8KVCacheDataTypeE1ES0_Li16ELi128ELi256ELb0ELi11EL8MFMAType1EEvPKT_PKT0_S9_ifPKiSB_SB_iPKfiiiPfSE_PS4_PT2_iSD_SD_,@function
_Z39paged_attention_ll4mi_QKV_mfma16_kernelI14__hip_bfloat16hLN4vllm18Fp8KVCacheDataTypeE1ES0_Li16ELi128ELi256ELb0ELi11EL8MFMAType1EEvPKT_PKT0_S9_ifPKiSB_SB_iPKfiiiPfSE_PS4_PT2_iSD_SD_: ; @_Z39paged_attention_ll4mi_QKV_mfma16_kernelI14__hip_bfloat16hLN4vllm18Fp8KVCacheDataTypeE1ES0_Li16ELi128ELi256ELb0ELi11EL8MFMAType1EEvPKT_PKT0_S9_ifPKiSB_SB_iPKfiiiPfSE_PS4_PT2_iSD_SD_
; %bb.0:
	s_load_dwordx2 s[12:13], s[4:5], 0x30
	s_add_u32 flat_scratch_lo, s6, s11
	s_addc_u32 flat_scratch_hi, s7, 0
	s_add_u32 s0, s0, s11
	s_addc_u32 s1, s1, 0
	s_waitcnt lgkmcnt(0)
	s_cmp_lg_u64 s[12:13], 0
	s_cselect_b64 s[14:15], -1, 0
	s_mov_b32 s6, s9
	s_mov_b64 s[16:17], 0
	s_and_b64 vcc, exec, s[14:15]
	s_mov_b32 s32, 0
	s_cbranch_vccz .LBB784_11
; %bb.1:
	s_add_i32 s18, s8, 1
	s_mov_b32 s19, 0
	s_lshl_b64 s[20:21], s[18:19], 2
	s_add_u32 s20, s12, s20
	s_mov_b32 s9, s19
	s_addc_u32 s21, s13, s21
	s_lshl_b64 s[18:19], s[8:9], 2
	s_add_u32 s18, s12, s18
	s_addc_u32 s19, s13, s19
	s_load_dword s7, s[20:21], 0x0
	s_load_dword s11, s[18:19], 0x0
	s_waitcnt lgkmcnt(0)
	s_sub_i32 s7, s7, s11
	s_cmp_eq_u32 s7, 1
	s_cselect_b64 s[18:19], -1, 0
	s_andn2_b64 vcc, exec, s[16:17]
	s_cbranch_vccnz .LBB784_3
.LBB784_2:
	s_mov_b32 s9, 0
	s_mov_b64 s[18:19], -1
.LBB784_3:
	s_andn2_b64 vcc, exec, s[18:19]
	s_cbranch_vccnz .LBB784_10
; %bb.4:
	s_load_dwordx2 s[18:19], s[4:5], 0x28
	s_lshl_b64 s[16:17], s[8:9], 2
	s_waitcnt lgkmcnt(0)
	s_add_u32 s18, s18, s16
	s_addc_u32 s19, s19, s17
	s_load_dword s7, s[18:19], 0x0
	s_lshl_b32 s6, s6, 8
	s_waitcnt lgkmcnt(0)
	s_cmp_ge_i32 s6, s7
	s_cbranch_scc1 .LBB784_10
; %bb.5:
	s_andn2_b64 vcc, exec, s[14:15]
	s_cbranch_vccnz .LBB784_7
; %bb.6:
	s_add_u32 s6, s12, s16
	s_addc_u32 s7, s13, s17
	s_load_dword s8, s[6:7], 0x0
.LBB784_7:
	s_movk_i32 s6, 0xb0
	v_cmp_gt_u32_e32 vcc, s6, v0
	s_and_saveexec_b64 s[6:7], vcc
	s_cbranch_execz .LBB784_9
; %bb.8:
	s_load_dword s11, s[4:5], 0x48
	s_load_dwordx2 s[12:13], s[4:5], 0x0
	v_lshrrev_b32_e32 v1, 4, v0
	s_mul_i32 s10, s10, 11
	v_add_lshl_u32 v2, v1, s10, 7
	s_waitcnt lgkmcnt(0)
	s_ashr_i32 s9, s11, 31
	s_mul_hi_u32 s14, s8, s11
	s_mul_i32 s9, s8, s9
	s_add_i32 s9, s14, s9
	s_mul_i32 s8, s8, s11
	s_lshl_b64 s[8:9], s[8:9], 1
	s_add_u32 s8, s12, s8
	v_ashrrev_i32_e32 v3, 31, v2
	s_addc_u32 s9, s13, s9
	v_lshlrev_b64 v[2:3], 1, v[2:3]
	v_and_b32_e32 v4, 15, v0
	v_mov_b32_e32 v5, s9
	v_add_co_u32_e32 v2, vcc, s8, v2
	v_addc_co_u32_e32 v3, vcc, v5, v3, vcc
	v_lshlrev_b32_e32 v4, 4, v4
	v_add_co_u32_e32 v2, vcc, v2, v4
	v_addc_co_u32_e32 v3, vcc, 0, v3, vcc
	global_load_dwordx4 v[2:5], v[2:3], off
	v_lshlrev_b32_e32 v6, 4, v0
	v_lshlrev_b32_e32 v0, 8, v0
	v_and_b32_e32 v6, 16, v6
	v_lshlrev_b32_e32 v1, 5, v1
	v_and_b32_e32 v0, 0xe00, v0
	v_or3_b32 v0, v0, v1, v6
	s_waitcnt vmcnt(0)
	ds_write_b128 v0, v[2:5]
.LBB784_9:
	s_or_b64 exec, exec, s[6:7]
	s_waitcnt lgkmcnt(0)
	s_add_u32 s8, s4, 0x90
	s_addc_u32 s9, s5, 0
	s_getpc_b64 s[4:5]
	s_add_u32 s4, s4, __PRETTY_FUNCTION__._Z39paged_attention_ll4mi_QKV_mfma16_kernelI14__hip_bfloat16hLN4vllm18Fp8KVCacheDataTypeE1ES0_Li16ELi128ELi256ELb0ELi11EL8MFMAType1EEvPKT_PKT0_S9_ifPKiSB_SB_iPKfiiiPfSE_PS4_PT2_iSD_SD_@rel32@lo+4
	s_addc_u32 s5, s5, __PRETTY_FUNCTION__._Z39paged_attention_ll4mi_QKV_mfma16_kernelI14__hip_bfloat16hLN4vllm18Fp8KVCacheDataTypeE1ES0_Li16ELi128ELi256ELb0ELi11EL8MFMAType1EEvPKT_PKT0_S9_ifPKiSB_SB_iPKfiiiPfSE_PS4_PT2_iSD_SD_@rel32@hi+12
	v_mov_b32_e32 v0, 0x288
	v_mov_b32_e32 v1, s4
	v_mov_b32_e32 v2, s5
	s_barrier
	s_getpc_b64 s[6:7]
	s_add_u32 s6, s6, __assert_fail@rel32@lo+4
	s_addc_u32 s7, s7, __assert_fail@rel32@hi+12
	s_swappc_b64 s[30:31], s[6:7]
	; divergent unreachable
.LBB784_10:
	s_endpgm
.LBB784_11:
	s_mov_b64 s[18:19], 0
	s_branch .LBB784_2
	.section	.rodata,"a",@progbits
	.p2align	6, 0x0
	.amdhsa_kernel _Z39paged_attention_ll4mi_QKV_mfma16_kernelI14__hip_bfloat16hLN4vllm18Fp8KVCacheDataTypeE1ES0_Li16ELi128ELi256ELb0ELi11EL8MFMAType1EEvPKT_PKT0_S9_ifPKiSB_SB_iPKfiiiPfSE_PS4_PT2_iSD_SD_
		.amdhsa_group_segment_fixed_size 8192
		.amdhsa_private_segment_fixed_size 64
		.amdhsa_kernarg_size 400
		.amdhsa_user_sgpr_count 8
		.amdhsa_user_sgpr_private_segment_buffer 1
		.amdhsa_user_sgpr_dispatch_ptr 0
		.amdhsa_user_sgpr_queue_ptr 0
		.amdhsa_user_sgpr_kernarg_segment_ptr 1
		.amdhsa_user_sgpr_dispatch_id 0
		.amdhsa_user_sgpr_flat_scratch_init 1
		.amdhsa_user_sgpr_kernarg_preload_length 0
		.amdhsa_user_sgpr_kernarg_preload_offset 0
		.amdhsa_user_sgpr_private_segment_size 0
		.amdhsa_uses_dynamic_stack 0
		.amdhsa_system_sgpr_private_segment_wavefront_offset 1
		.amdhsa_system_sgpr_workgroup_id_x 1
		.amdhsa_system_sgpr_workgroup_id_y 1
		.amdhsa_system_sgpr_workgroup_id_z 1
		.amdhsa_system_sgpr_workgroup_info 0
		.amdhsa_system_vgpr_workitem_id 0
		.amdhsa_next_free_vgpr 45
		.amdhsa_next_free_sgpr 34
		.amdhsa_accum_offset 44
		.amdhsa_reserve_vcc 1
		.amdhsa_reserve_flat_scratch 1
		.amdhsa_float_round_mode_32 0
		.amdhsa_float_round_mode_16_64 0
		.amdhsa_float_denorm_mode_32 3
		.amdhsa_float_denorm_mode_16_64 3
		.amdhsa_dx10_clamp 1
		.amdhsa_ieee_mode 1
		.amdhsa_fp16_overflow 0
		.amdhsa_tg_split 0
		.amdhsa_exception_fp_ieee_invalid_op 0
		.amdhsa_exception_fp_denorm_src 0
		.amdhsa_exception_fp_ieee_div_zero 0
		.amdhsa_exception_fp_ieee_overflow 0
		.amdhsa_exception_fp_ieee_underflow 0
		.amdhsa_exception_fp_ieee_inexact 0
		.amdhsa_exception_int_div_zero 0
	.end_amdhsa_kernel
	.section	.text._Z39paged_attention_ll4mi_QKV_mfma16_kernelI14__hip_bfloat16hLN4vllm18Fp8KVCacheDataTypeE1ES0_Li16ELi128ELi256ELb0ELi11EL8MFMAType1EEvPKT_PKT0_S9_ifPKiSB_SB_iPKfiiiPfSE_PS4_PT2_iSD_SD_,"axG",@progbits,_Z39paged_attention_ll4mi_QKV_mfma16_kernelI14__hip_bfloat16hLN4vllm18Fp8KVCacheDataTypeE1ES0_Li16ELi128ELi256ELb0ELi11EL8MFMAType1EEvPKT_PKT0_S9_ifPKiSB_SB_iPKfiiiPfSE_PS4_PT2_iSD_SD_,comdat
.Lfunc_end784:
	.size	_Z39paged_attention_ll4mi_QKV_mfma16_kernelI14__hip_bfloat16hLN4vllm18Fp8KVCacheDataTypeE1ES0_Li16ELi128ELi256ELb0ELi11EL8MFMAType1EEvPKT_PKT0_S9_ifPKiSB_SB_iPKfiiiPfSE_PS4_PT2_iSD_SD_, .Lfunc_end784-_Z39paged_attention_ll4mi_QKV_mfma16_kernelI14__hip_bfloat16hLN4vllm18Fp8KVCacheDataTypeE1ES0_Li16ELi128ELi256ELb0ELi11EL8MFMAType1EEvPKT_PKT0_S9_ifPKiSB_SB_iPKfiiiPfSE_PS4_PT2_iSD_SD_
                                        ; -- End function
	.section	.AMDGPU.csdata,"",@progbits
; Kernel info:
; codeLenInByte = 492
; NumSgprs: 40
; NumVgprs: 42
; NumAgprs: 1
; TotalNumVgprs: 45
; ScratchSize: 64
; MemoryBound: 0
; FloatMode: 240
; IeeeMode: 1
; LDSByteSize: 8192 bytes/workgroup (compile time only)
; SGPRBlocks: 4
; VGPRBlocks: 5
; NumSGPRsForWavesPerEU: 40
; NumVGPRsForWavesPerEU: 45
; AccumOffset: 44
; Occupancy: 8
; WaveLimiterHint : 1
; COMPUTE_PGM_RSRC2:SCRATCH_EN: 1
; COMPUTE_PGM_RSRC2:USER_SGPR: 8
; COMPUTE_PGM_RSRC2:TRAP_HANDLER: 0
; COMPUTE_PGM_RSRC2:TGID_X_EN: 1
; COMPUTE_PGM_RSRC2:TGID_Y_EN: 1
; COMPUTE_PGM_RSRC2:TGID_Z_EN: 1
; COMPUTE_PGM_RSRC2:TIDIG_COMP_CNT: 0
; COMPUTE_PGM_RSRC3_GFX90A:ACCUM_OFFSET: 10
; COMPUTE_PGM_RSRC3_GFX90A:TG_SPLIT: 0
	.section	.text._Z39paged_attention_ll4mi_QKV_mfma16_kernelI14__hip_bfloat16hLN4vllm18Fp8KVCacheDataTypeE1ES0_Li16ELi128ELi256ELb0ELi12EL8MFMAType1EEvPKT_PKT0_S9_ifPKiSB_SB_iPKfiiiPfSE_PS4_PT2_iSD_SD_,"axG",@progbits,_Z39paged_attention_ll4mi_QKV_mfma16_kernelI14__hip_bfloat16hLN4vllm18Fp8KVCacheDataTypeE1ES0_Li16ELi128ELi256ELb0ELi12EL8MFMAType1EEvPKT_PKT0_S9_ifPKiSB_SB_iPKfiiiPfSE_PS4_PT2_iSD_SD_,comdat
	.protected	_Z39paged_attention_ll4mi_QKV_mfma16_kernelI14__hip_bfloat16hLN4vllm18Fp8KVCacheDataTypeE1ES0_Li16ELi128ELi256ELb0ELi12EL8MFMAType1EEvPKT_PKT0_S9_ifPKiSB_SB_iPKfiiiPfSE_PS4_PT2_iSD_SD_ ; -- Begin function _Z39paged_attention_ll4mi_QKV_mfma16_kernelI14__hip_bfloat16hLN4vllm18Fp8KVCacheDataTypeE1ES0_Li16ELi128ELi256ELb0ELi12EL8MFMAType1EEvPKT_PKT0_S9_ifPKiSB_SB_iPKfiiiPfSE_PS4_PT2_iSD_SD_
	.globl	_Z39paged_attention_ll4mi_QKV_mfma16_kernelI14__hip_bfloat16hLN4vllm18Fp8KVCacheDataTypeE1ES0_Li16ELi128ELi256ELb0ELi12EL8MFMAType1EEvPKT_PKT0_S9_ifPKiSB_SB_iPKfiiiPfSE_PS4_PT2_iSD_SD_
	.p2align	8
	.type	_Z39paged_attention_ll4mi_QKV_mfma16_kernelI14__hip_bfloat16hLN4vllm18Fp8KVCacheDataTypeE1ES0_Li16ELi128ELi256ELb0ELi12EL8MFMAType1EEvPKT_PKT0_S9_ifPKiSB_SB_iPKfiiiPfSE_PS4_PT2_iSD_SD_,@function
_Z39paged_attention_ll4mi_QKV_mfma16_kernelI14__hip_bfloat16hLN4vllm18Fp8KVCacheDataTypeE1ES0_Li16ELi128ELi256ELb0ELi12EL8MFMAType1EEvPKT_PKT0_S9_ifPKiSB_SB_iPKfiiiPfSE_PS4_PT2_iSD_SD_: ; @_Z39paged_attention_ll4mi_QKV_mfma16_kernelI14__hip_bfloat16hLN4vllm18Fp8KVCacheDataTypeE1ES0_Li16ELi128ELi256ELb0ELi12EL8MFMAType1EEvPKT_PKT0_S9_ifPKiSB_SB_iPKfiiiPfSE_PS4_PT2_iSD_SD_
; %bb.0:
	s_load_dwordx2 s[12:13], s[4:5], 0x30
	s_add_u32 flat_scratch_lo, s6, s11
	s_addc_u32 flat_scratch_hi, s7, 0
	s_add_u32 s0, s0, s11
	s_addc_u32 s1, s1, 0
	s_waitcnt lgkmcnt(0)
	s_cmp_lg_u64 s[12:13], 0
	s_cselect_b64 s[14:15], -1, 0
	s_mov_b32 s6, s9
	s_mov_b64 s[16:17], 0
	s_and_b64 vcc, exec, s[14:15]
	s_mov_b32 s32, 0
	s_cbranch_vccz .LBB785_11
; %bb.1:
	s_add_i32 s18, s8, 1
	s_mov_b32 s19, 0
	s_lshl_b64 s[20:21], s[18:19], 2
	s_add_u32 s20, s12, s20
	s_mov_b32 s9, s19
	s_addc_u32 s21, s13, s21
	s_lshl_b64 s[18:19], s[8:9], 2
	s_add_u32 s18, s12, s18
	s_addc_u32 s19, s13, s19
	s_load_dword s7, s[20:21], 0x0
	s_load_dword s11, s[18:19], 0x0
	s_waitcnt lgkmcnt(0)
	s_sub_i32 s7, s7, s11
	s_cmp_eq_u32 s7, 1
	s_cselect_b64 s[18:19], -1, 0
	s_andn2_b64 vcc, exec, s[16:17]
	s_cbranch_vccnz .LBB785_3
.LBB785_2:
	s_mov_b32 s9, 0
	s_mov_b64 s[18:19], -1
.LBB785_3:
	s_andn2_b64 vcc, exec, s[18:19]
	s_cbranch_vccnz .LBB785_10
; %bb.4:
	s_load_dwordx2 s[18:19], s[4:5], 0x28
	s_lshl_b64 s[16:17], s[8:9], 2
	s_waitcnt lgkmcnt(0)
	s_add_u32 s18, s18, s16
	s_addc_u32 s19, s19, s17
	s_load_dword s7, s[18:19], 0x0
	s_lshl_b32 s6, s6, 8
	s_waitcnt lgkmcnt(0)
	s_cmp_ge_i32 s6, s7
	s_cbranch_scc1 .LBB785_10
; %bb.5:
	s_andn2_b64 vcc, exec, s[14:15]
	s_cbranch_vccnz .LBB785_7
; %bb.6:
	s_add_u32 s6, s12, s16
	s_addc_u32 s7, s13, s17
	s_load_dword s8, s[6:7], 0x0
.LBB785_7:
	s_movk_i32 s6, 0xc0
	v_cmp_gt_u32_e32 vcc, s6, v0
	s_and_saveexec_b64 s[6:7], vcc
	s_cbranch_execz .LBB785_9
; %bb.8:
	s_load_dword s11, s[4:5], 0x48
	s_load_dwordx2 s[12:13], s[4:5], 0x0
	v_lshrrev_b32_e32 v1, 4, v0
	s_mul_i32 s10, s10, 12
	v_add_lshl_u32 v2, v1, s10, 7
	s_waitcnt lgkmcnt(0)
	s_ashr_i32 s9, s11, 31
	s_mul_hi_u32 s14, s8, s11
	s_mul_i32 s9, s8, s9
	s_add_i32 s9, s14, s9
	s_mul_i32 s8, s8, s11
	s_lshl_b64 s[8:9], s[8:9], 1
	s_add_u32 s8, s12, s8
	v_ashrrev_i32_e32 v3, 31, v2
	s_addc_u32 s9, s13, s9
	v_lshlrev_b64 v[2:3], 1, v[2:3]
	v_and_b32_e32 v4, 15, v0
	v_mov_b32_e32 v5, s9
	v_add_co_u32_e32 v2, vcc, s8, v2
	v_addc_co_u32_e32 v3, vcc, v5, v3, vcc
	v_lshlrev_b32_e32 v4, 4, v4
	v_add_co_u32_e32 v2, vcc, v2, v4
	v_addc_co_u32_e32 v3, vcc, 0, v3, vcc
	global_load_dwordx4 v[2:5], v[2:3], off
	v_lshlrev_b32_e32 v6, 4, v0
	v_lshlrev_b32_e32 v0, 8, v0
	v_and_b32_e32 v6, 16, v6
	v_lshlrev_b32_e32 v1, 5, v1
	v_and_b32_e32 v0, 0xe00, v0
	v_or3_b32 v0, v0, v1, v6
	s_waitcnt vmcnt(0)
	ds_write_b128 v0, v[2:5]
.LBB785_9:
	s_or_b64 exec, exec, s[6:7]
	s_waitcnt lgkmcnt(0)
	s_add_u32 s8, s4, 0x90
	s_addc_u32 s9, s5, 0
	s_getpc_b64 s[4:5]
	s_add_u32 s4, s4, __PRETTY_FUNCTION__._Z39paged_attention_ll4mi_QKV_mfma16_kernelI14__hip_bfloat16hLN4vllm18Fp8KVCacheDataTypeE1ES0_Li16ELi128ELi256ELb0ELi12EL8MFMAType1EEvPKT_PKT0_S9_ifPKiSB_SB_iPKfiiiPfSE_PS4_PT2_iSD_SD_@rel32@lo+4
	s_addc_u32 s5, s5, __PRETTY_FUNCTION__._Z39paged_attention_ll4mi_QKV_mfma16_kernelI14__hip_bfloat16hLN4vllm18Fp8KVCacheDataTypeE1ES0_Li16ELi128ELi256ELb0ELi12EL8MFMAType1EEvPKT_PKT0_S9_ifPKiSB_SB_iPKfiiiPfSE_PS4_PT2_iSD_SD_@rel32@hi+12
	v_mov_b32_e32 v0, 0x288
	v_mov_b32_e32 v1, s4
	;; [unrolled: 1-line block ×3, first 2 shown]
	s_barrier
	s_getpc_b64 s[6:7]
	s_add_u32 s6, s6, __assert_fail@rel32@lo+4
	s_addc_u32 s7, s7, __assert_fail@rel32@hi+12
	s_swappc_b64 s[30:31], s[6:7]
	; divergent unreachable
.LBB785_10:
	s_endpgm
.LBB785_11:
	s_mov_b64 s[18:19], 0
	s_branch .LBB785_2
	.section	.rodata,"a",@progbits
	.p2align	6, 0x0
	.amdhsa_kernel _Z39paged_attention_ll4mi_QKV_mfma16_kernelI14__hip_bfloat16hLN4vllm18Fp8KVCacheDataTypeE1ES0_Li16ELi128ELi256ELb0ELi12EL8MFMAType1EEvPKT_PKT0_S9_ifPKiSB_SB_iPKfiiiPfSE_PS4_PT2_iSD_SD_
		.amdhsa_group_segment_fixed_size 8192
		.amdhsa_private_segment_fixed_size 64
		.amdhsa_kernarg_size 400
		.amdhsa_user_sgpr_count 8
		.amdhsa_user_sgpr_private_segment_buffer 1
		.amdhsa_user_sgpr_dispatch_ptr 0
		.amdhsa_user_sgpr_queue_ptr 0
		.amdhsa_user_sgpr_kernarg_segment_ptr 1
		.amdhsa_user_sgpr_dispatch_id 0
		.amdhsa_user_sgpr_flat_scratch_init 1
		.amdhsa_user_sgpr_kernarg_preload_length 0
		.amdhsa_user_sgpr_kernarg_preload_offset 0
		.amdhsa_user_sgpr_private_segment_size 0
		.amdhsa_uses_dynamic_stack 0
		.amdhsa_system_sgpr_private_segment_wavefront_offset 1
		.amdhsa_system_sgpr_workgroup_id_x 1
		.amdhsa_system_sgpr_workgroup_id_y 1
		.amdhsa_system_sgpr_workgroup_id_z 1
		.amdhsa_system_sgpr_workgroup_info 0
		.amdhsa_system_vgpr_workitem_id 0
		.amdhsa_next_free_vgpr 45
		.amdhsa_next_free_sgpr 34
		.amdhsa_accum_offset 44
		.amdhsa_reserve_vcc 1
		.amdhsa_reserve_flat_scratch 1
		.amdhsa_float_round_mode_32 0
		.amdhsa_float_round_mode_16_64 0
		.amdhsa_float_denorm_mode_32 3
		.amdhsa_float_denorm_mode_16_64 3
		.amdhsa_dx10_clamp 1
		.amdhsa_ieee_mode 1
		.amdhsa_fp16_overflow 0
		.amdhsa_tg_split 0
		.amdhsa_exception_fp_ieee_invalid_op 0
		.amdhsa_exception_fp_denorm_src 0
		.amdhsa_exception_fp_ieee_div_zero 0
		.amdhsa_exception_fp_ieee_overflow 0
		.amdhsa_exception_fp_ieee_underflow 0
		.amdhsa_exception_fp_ieee_inexact 0
		.amdhsa_exception_int_div_zero 0
	.end_amdhsa_kernel
	.section	.text._Z39paged_attention_ll4mi_QKV_mfma16_kernelI14__hip_bfloat16hLN4vllm18Fp8KVCacheDataTypeE1ES0_Li16ELi128ELi256ELb0ELi12EL8MFMAType1EEvPKT_PKT0_S9_ifPKiSB_SB_iPKfiiiPfSE_PS4_PT2_iSD_SD_,"axG",@progbits,_Z39paged_attention_ll4mi_QKV_mfma16_kernelI14__hip_bfloat16hLN4vllm18Fp8KVCacheDataTypeE1ES0_Li16ELi128ELi256ELb0ELi12EL8MFMAType1EEvPKT_PKT0_S9_ifPKiSB_SB_iPKfiiiPfSE_PS4_PT2_iSD_SD_,comdat
.Lfunc_end785:
	.size	_Z39paged_attention_ll4mi_QKV_mfma16_kernelI14__hip_bfloat16hLN4vllm18Fp8KVCacheDataTypeE1ES0_Li16ELi128ELi256ELb0ELi12EL8MFMAType1EEvPKT_PKT0_S9_ifPKiSB_SB_iPKfiiiPfSE_PS4_PT2_iSD_SD_, .Lfunc_end785-_Z39paged_attention_ll4mi_QKV_mfma16_kernelI14__hip_bfloat16hLN4vllm18Fp8KVCacheDataTypeE1ES0_Li16ELi128ELi256ELb0ELi12EL8MFMAType1EEvPKT_PKT0_S9_ifPKiSB_SB_iPKfiiiPfSE_PS4_PT2_iSD_SD_
                                        ; -- End function
	.section	.AMDGPU.csdata,"",@progbits
; Kernel info:
; codeLenInByte = 492
; NumSgprs: 40
; NumVgprs: 42
; NumAgprs: 1
; TotalNumVgprs: 45
; ScratchSize: 64
; MemoryBound: 0
; FloatMode: 240
; IeeeMode: 1
; LDSByteSize: 8192 bytes/workgroup (compile time only)
; SGPRBlocks: 4
; VGPRBlocks: 5
; NumSGPRsForWavesPerEU: 40
; NumVGPRsForWavesPerEU: 45
; AccumOffset: 44
; Occupancy: 8
; WaveLimiterHint : 1
; COMPUTE_PGM_RSRC2:SCRATCH_EN: 1
; COMPUTE_PGM_RSRC2:USER_SGPR: 8
; COMPUTE_PGM_RSRC2:TRAP_HANDLER: 0
; COMPUTE_PGM_RSRC2:TGID_X_EN: 1
; COMPUTE_PGM_RSRC2:TGID_Y_EN: 1
; COMPUTE_PGM_RSRC2:TGID_Z_EN: 1
; COMPUTE_PGM_RSRC2:TIDIG_COMP_CNT: 0
; COMPUTE_PGM_RSRC3_GFX90A:ACCUM_OFFSET: 10
; COMPUTE_PGM_RSRC3_GFX90A:TG_SPLIT: 0
	.section	.text._Z39paged_attention_ll4mi_QKV_mfma16_kernelI14__hip_bfloat16hLN4vllm18Fp8KVCacheDataTypeE1ES0_Li16ELi128ELi256ELb0ELi13EL8MFMAType1EEvPKT_PKT0_S9_ifPKiSB_SB_iPKfiiiPfSE_PS4_PT2_iSD_SD_,"axG",@progbits,_Z39paged_attention_ll4mi_QKV_mfma16_kernelI14__hip_bfloat16hLN4vllm18Fp8KVCacheDataTypeE1ES0_Li16ELi128ELi256ELb0ELi13EL8MFMAType1EEvPKT_PKT0_S9_ifPKiSB_SB_iPKfiiiPfSE_PS4_PT2_iSD_SD_,comdat
	.protected	_Z39paged_attention_ll4mi_QKV_mfma16_kernelI14__hip_bfloat16hLN4vllm18Fp8KVCacheDataTypeE1ES0_Li16ELi128ELi256ELb0ELi13EL8MFMAType1EEvPKT_PKT0_S9_ifPKiSB_SB_iPKfiiiPfSE_PS4_PT2_iSD_SD_ ; -- Begin function _Z39paged_attention_ll4mi_QKV_mfma16_kernelI14__hip_bfloat16hLN4vllm18Fp8KVCacheDataTypeE1ES0_Li16ELi128ELi256ELb0ELi13EL8MFMAType1EEvPKT_PKT0_S9_ifPKiSB_SB_iPKfiiiPfSE_PS4_PT2_iSD_SD_
	.globl	_Z39paged_attention_ll4mi_QKV_mfma16_kernelI14__hip_bfloat16hLN4vllm18Fp8KVCacheDataTypeE1ES0_Li16ELi128ELi256ELb0ELi13EL8MFMAType1EEvPKT_PKT0_S9_ifPKiSB_SB_iPKfiiiPfSE_PS4_PT2_iSD_SD_
	.p2align	8
	.type	_Z39paged_attention_ll4mi_QKV_mfma16_kernelI14__hip_bfloat16hLN4vllm18Fp8KVCacheDataTypeE1ES0_Li16ELi128ELi256ELb0ELi13EL8MFMAType1EEvPKT_PKT0_S9_ifPKiSB_SB_iPKfiiiPfSE_PS4_PT2_iSD_SD_,@function
_Z39paged_attention_ll4mi_QKV_mfma16_kernelI14__hip_bfloat16hLN4vllm18Fp8KVCacheDataTypeE1ES0_Li16ELi128ELi256ELb0ELi13EL8MFMAType1EEvPKT_PKT0_S9_ifPKiSB_SB_iPKfiiiPfSE_PS4_PT2_iSD_SD_: ; @_Z39paged_attention_ll4mi_QKV_mfma16_kernelI14__hip_bfloat16hLN4vllm18Fp8KVCacheDataTypeE1ES0_Li16ELi128ELi256ELb0ELi13EL8MFMAType1EEvPKT_PKT0_S9_ifPKiSB_SB_iPKfiiiPfSE_PS4_PT2_iSD_SD_
; %bb.0:
	s_load_dwordx2 s[12:13], s[4:5], 0x30
	s_add_u32 flat_scratch_lo, s6, s11
	s_addc_u32 flat_scratch_hi, s7, 0
	s_add_u32 s0, s0, s11
	s_addc_u32 s1, s1, 0
	s_waitcnt lgkmcnt(0)
	s_cmp_lg_u64 s[12:13], 0
	s_cselect_b64 s[14:15], -1, 0
	s_mov_b32 s6, s9
	s_mov_b64 s[16:17], 0
	s_and_b64 vcc, exec, s[14:15]
	s_mov_b32 s32, 0
	s_cbranch_vccz .LBB786_11
; %bb.1:
	s_add_i32 s18, s8, 1
	s_mov_b32 s19, 0
	s_lshl_b64 s[20:21], s[18:19], 2
	s_add_u32 s20, s12, s20
	s_mov_b32 s9, s19
	s_addc_u32 s21, s13, s21
	s_lshl_b64 s[18:19], s[8:9], 2
	s_add_u32 s18, s12, s18
	s_addc_u32 s19, s13, s19
	s_load_dword s7, s[20:21], 0x0
	s_load_dword s11, s[18:19], 0x0
	s_waitcnt lgkmcnt(0)
	s_sub_i32 s7, s7, s11
	s_cmp_eq_u32 s7, 1
	s_cselect_b64 s[18:19], -1, 0
	s_andn2_b64 vcc, exec, s[16:17]
	s_cbranch_vccnz .LBB786_3
.LBB786_2:
	s_mov_b32 s9, 0
	s_mov_b64 s[18:19], -1
.LBB786_3:
	s_andn2_b64 vcc, exec, s[18:19]
	s_cbranch_vccnz .LBB786_10
; %bb.4:
	s_load_dwordx2 s[18:19], s[4:5], 0x28
	s_lshl_b64 s[16:17], s[8:9], 2
	s_waitcnt lgkmcnt(0)
	s_add_u32 s18, s18, s16
	s_addc_u32 s19, s19, s17
	s_load_dword s7, s[18:19], 0x0
	s_lshl_b32 s6, s6, 8
	s_waitcnt lgkmcnt(0)
	s_cmp_ge_i32 s6, s7
	s_cbranch_scc1 .LBB786_10
; %bb.5:
	s_andn2_b64 vcc, exec, s[14:15]
	s_cbranch_vccnz .LBB786_7
; %bb.6:
	s_add_u32 s6, s12, s16
	s_addc_u32 s7, s13, s17
	s_load_dword s8, s[6:7], 0x0
.LBB786_7:
	s_movk_i32 s6, 0xd0
	v_cmp_gt_u32_e32 vcc, s6, v0
	s_and_saveexec_b64 s[6:7], vcc
	s_cbranch_execz .LBB786_9
; %bb.8:
	s_load_dword s11, s[4:5], 0x48
	s_load_dwordx2 s[12:13], s[4:5], 0x0
	v_lshrrev_b32_e32 v1, 4, v0
	s_mul_i32 s10, s10, 13
	v_add_lshl_u32 v2, v1, s10, 7
	s_waitcnt lgkmcnt(0)
	s_ashr_i32 s9, s11, 31
	s_mul_hi_u32 s14, s8, s11
	s_mul_i32 s9, s8, s9
	s_add_i32 s9, s14, s9
	s_mul_i32 s8, s8, s11
	s_lshl_b64 s[8:9], s[8:9], 1
	s_add_u32 s8, s12, s8
	v_ashrrev_i32_e32 v3, 31, v2
	s_addc_u32 s9, s13, s9
	v_lshlrev_b64 v[2:3], 1, v[2:3]
	v_and_b32_e32 v4, 15, v0
	v_mov_b32_e32 v5, s9
	v_add_co_u32_e32 v2, vcc, s8, v2
	v_addc_co_u32_e32 v3, vcc, v5, v3, vcc
	v_lshlrev_b32_e32 v4, 4, v4
	v_add_co_u32_e32 v2, vcc, v2, v4
	v_addc_co_u32_e32 v3, vcc, 0, v3, vcc
	global_load_dwordx4 v[2:5], v[2:3], off
	v_lshlrev_b32_e32 v6, 4, v0
	v_lshlrev_b32_e32 v0, 8, v0
	v_and_b32_e32 v6, 16, v6
	v_lshlrev_b32_e32 v1, 5, v1
	v_and_b32_e32 v0, 0xe00, v0
	v_or3_b32 v0, v0, v1, v6
	s_waitcnt vmcnt(0)
	ds_write_b128 v0, v[2:5]
.LBB786_9:
	s_or_b64 exec, exec, s[6:7]
	s_waitcnt lgkmcnt(0)
	s_add_u32 s8, s4, 0x90
	s_addc_u32 s9, s5, 0
	s_getpc_b64 s[4:5]
	s_add_u32 s4, s4, __PRETTY_FUNCTION__._Z39paged_attention_ll4mi_QKV_mfma16_kernelI14__hip_bfloat16hLN4vllm18Fp8KVCacheDataTypeE1ES0_Li16ELi128ELi256ELb0ELi13EL8MFMAType1EEvPKT_PKT0_S9_ifPKiSB_SB_iPKfiiiPfSE_PS4_PT2_iSD_SD_@rel32@lo+4
	s_addc_u32 s5, s5, __PRETTY_FUNCTION__._Z39paged_attention_ll4mi_QKV_mfma16_kernelI14__hip_bfloat16hLN4vllm18Fp8KVCacheDataTypeE1ES0_Li16ELi128ELi256ELb0ELi13EL8MFMAType1EEvPKT_PKT0_S9_ifPKiSB_SB_iPKfiiiPfSE_PS4_PT2_iSD_SD_@rel32@hi+12
	v_mov_b32_e32 v0, 0x288
	v_mov_b32_e32 v1, s4
	v_mov_b32_e32 v2, s5
	s_barrier
	s_getpc_b64 s[6:7]
	s_add_u32 s6, s6, __assert_fail@rel32@lo+4
	s_addc_u32 s7, s7, __assert_fail@rel32@hi+12
	s_swappc_b64 s[30:31], s[6:7]
	; divergent unreachable
.LBB786_10:
	s_endpgm
.LBB786_11:
	s_mov_b64 s[18:19], 0
	s_branch .LBB786_2
	.section	.rodata,"a",@progbits
	.p2align	6, 0x0
	.amdhsa_kernel _Z39paged_attention_ll4mi_QKV_mfma16_kernelI14__hip_bfloat16hLN4vllm18Fp8KVCacheDataTypeE1ES0_Li16ELi128ELi256ELb0ELi13EL8MFMAType1EEvPKT_PKT0_S9_ifPKiSB_SB_iPKfiiiPfSE_PS4_PT2_iSD_SD_
		.amdhsa_group_segment_fixed_size 8192
		.amdhsa_private_segment_fixed_size 64
		.amdhsa_kernarg_size 400
		.amdhsa_user_sgpr_count 8
		.amdhsa_user_sgpr_private_segment_buffer 1
		.amdhsa_user_sgpr_dispatch_ptr 0
		.amdhsa_user_sgpr_queue_ptr 0
		.amdhsa_user_sgpr_kernarg_segment_ptr 1
		.amdhsa_user_sgpr_dispatch_id 0
		.amdhsa_user_sgpr_flat_scratch_init 1
		.amdhsa_user_sgpr_kernarg_preload_length 0
		.amdhsa_user_sgpr_kernarg_preload_offset 0
		.amdhsa_user_sgpr_private_segment_size 0
		.amdhsa_uses_dynamic_stack 0
		.amdhsa_system_sgpr_private_segment_wavefront_offset 1
		.amdhsa_system_sgpr_workgroup_id_x 1
		.amdhsa_system_sgpr_workgroup_id_y 1
		.amdhsa_system_sgpr_workgroup_id_z 1
		.amdhsa_system_sgpr_workgroup_info 0
		.amdhsa_system_vgpr_workitem_id 0
		.amdhsa_next_free_vgpr 45
		.amdhsa_next_free_sgpr 34
		.amdhsa_accum_offset 44
		.amdhsa_reserve_vcc 1
		.amdhsa_reserve_flat_scratch 1
		.amdhsa_float_round_mode_32 0
		.amdhsa_float_round_mode_16_64 0
		.amdhsa_float_denorm_mode_32 3
		.amdhsa_float_denorm_mode_16_64 3
		.amdhsa_dx10_clamp 1
		.amdhsa_ieee_mode 1
		.amdhsa_fp16_overflow 0
		.amdhsa_tg_split 0
		.amdhsa_exception_fp_ieee_invalid_op 0
		.amdhsa_exception_fp_denorm_src 0
		.amdhsa_exception_fp_ieee_div_zero 0
		.amdhsa_exception_fp_ieee_overflow 0
		.amdhsa_exception_fp_ieee_underflow 0
		.amdhsa_exception_fp_ieee_inexact 0
		.amdhsa_exception_int_div_zero 0
	.end_amdhsa_kernel
	.section	.text._Z39paged_attention_ll4mi_QKV_mfma16_kernelI14__hip_bfloat16hLN4vllm18Fp8KVCacheDataTypeE1ES0_Li16ELi128ELi256ELb0ELi13EL8MFMAType1EEvPKT_PKT0_S9_ifPKiSB_SB_iPKfiiiPfSE_PS4_PT2_iSD_SD_,"axG",@progbits,_Z39paged_attention_ll4mi_QKV_mfma16_kernelI14__hip_bfloat16hLN4vllm18Fp8KVCacheDataTypeE1ES0_Li16ELi128ELi256ELb0ELi13EL8MFMAType1EEvPKT_PKT0_S9_ifPKiSB_SB_iPKfiiiPfSE_PS4_PT2_iSD_SD_,comdat
.Lfunc_end786:
	.size	_Z39paged_attention_ll4mi_QKV_mfma16_kernelI14__hip_bfloat16hLN4vllm18Fp8KVCacheDataTypeE1ES0_Li16ELi128ELi256ELb0ELi13EL8MFMAType1EEvPKT_PKT0_S9_ifPKiSB_SB_iPKfiiiPfSE_PS4_PT2_iSD_SD_, .Lfunc_end786-_Z39paged_attention_ll4mi_QKV_mfma16_kernelI14__hip_bfloat16hLN4vllm18Fp8KVCacheDataTypeE1ES0_Li16ELi128ELi256ELb0ELi13EL8MFMAType1EEvPKT_PKT0_S9_ifPKiSB_SB_iPKfiiiPfSE_PS4_PT2_iSD_SD_
                                        ; -- End function
	.section	.AMDGPU.csdata,"",@progbits
; Kernel info:
; codeLenInByte = 492
; NumSgprs: 40
; NumVgprs: 42
; NumAgprs: 1
; TotalNumVgprs: 45
; ScratchSize: 64
; MemoryBound: 0
; FloatMode: 240
; IeeeMode: 1
; LDSByteSize: 8192 bytes/workgroup (compile time only)
; SGPRBlocks: 4
; VGPRBlocks: 5
; NumSGPRsForWavesPerEU: 40
; NumVGPRsForWavesPerEU: 45
; AccumOffset: 44
; Occupancy: 8
; WaveLimiterHint : 1
; COMPUTE_PGM_RSRC2:SCRATCH_EN: 1
; COMPUTE_PGM_RSRC2:USER_SGPR: 8
; COMPUTE_PGM_RSRC2:TRAP_HANDLER: 0
; COMPUTE_PGM_RSRC2:TGID_X_EN: 1
; COMPUTE_PGM_RSRC2:TGID_Y_EN: 1
; COMPUTE_PGM_RSRC2:TGID_Z_EN: 1
; COMPUTE_PGM_RSRC2:TIDIG_COMP_CNT: 0
; COMPUTE_PGM_RSRC3_GFX90A:ACCUM_OFFSET: 10
; COMPUTE_PGM_RSRC3_GFX90A:TG_SPLIT: 0
	.section	.text._Z39paged_attention_ll4mi_QKV_mfma16_kernelI14__hip_bfloat16hLN4vllm18Fp8KVCacheDataTypeE1ES0_Li16ELi128ELi256ELb0ELi14EL8MFMAType1EEvPKT_PKT0_S9_ifPKiSB_SB_iPKfiiiPfSE_PS4_PT2_iSD_SD_,"axG",@progbits,_Z39paged_attention_ll4mi_QKV_mfma16_kernelI14__hip_bfloat16hLN4vllm18Fp8KVCacheDataTypeE1ES0_Li16ELi128ELi256ELb0ELi14EL8MFMAType1EEvPKT_PKT0_S9_ifPKiSB_SB_iPKfiiiPfSE_PS4_PT2_iSD_SD_,comdat
	.protected	_Z39paged_attention_ll4mi_QKV_mfma16_kernelI14__hip_bfloat16hLN4vllm18Fp8KVCacheDataTypeE1ES0_Li16ELi128ELi256ELb0ELi14EL8MFMAType1EEvPKT_PKT0_S9_ifPKiSB_SB_iPKfiiiPfSE_PS4_PT2_iSD_SD_ ; -- Begin function _Z39paged_attention_ll4mi_QKV_mfma16_kernelI14__hip_bfloat16hLN4vllm18Fp8KVCacheDataTypeE1ES0_Li16ELi128ELi256ELb0ELi14EL8MFMAType1EEvPKT_PKT0_S9_ifPKiSB_SB_iPKfiiiPfSE_PS4_PT2_iSD_SD_
	.globl	_Z39paged_attention_ll4mi_QKV_mfma16_kernelI14__hip_bfloat16hLN4vllm18Fp8KVCacheDataTypeE1ES0_Li16ELi128ELi256ELb0ELi14EL8MFMAType1EEvPKT_PKT0_S9_ifPKiSB_SB_iPKfiiiPfSE_PS4_PT2_iSD_SD_
	.p2align	8
	.type	_Z39paged_attention_ll4mi_QKV_mfma16_kernelI14__hip_bfloat16hLN4vllm18Fp8KVCacheDataTypeE1ES0_Li16ELi128ELi256ELb0ELi14EL8MFMAType1EEvPKT_PKT0_S9_ifPKiSB_SB_iPKfiiiPfSE_PS4_PT2_iSD_SD_,@function
_Z39paged_attention_ll4mi_QKV_mfma16_kernelI14__hip_bfloat16hLN4vllm18Fp8KVCacheDataTypeE1ES0_Li16ELi128ELi256ELb0ELi14EL8MFMAType1EEvPKT_PKT0_S9_ifPKiSB_SB_iPKfiiiPfSE_PS4_PT2_iSD_SD_: ; @_Z39paged_attention_ll4mi_QKV_mfma16_kernelI14__hip_bfloat16hLN4vllm18Fp8KVCacheDataTypeE1ES0_Li16ELi128ELi256ELb0ELi14EL8MFMAType1EEvPKT_PKT0_S9_ifPKiSB_SB_iPKfiiiPfSE_PS4_PT2_iSD_SD_
; %bb.0:
	s_load_dwordx2 s[12:13], s[4:5], 0x30
	s_add_u32 flat_scratch_lo, s6, s11
	s_addc_u32 flat_scratch_hi, s7, 0
	s_add_u32 s0, s0, s11
	s_addc_u32 s1, s1, 0
	s_waitcnt lgkmcnt(0)
	s_cmp_lg_u64 s[12:13], 0
	s_cselect_b64 s[14:15], -1, 0
	s_mov_b32 s6, s9
	s_mov_b64 s[16:17], 0
	s_and_b64 vcc, exec, s[14:15]
	s_mov_b32 s32, 0
	s_cbranch_vccz .LBB787_11
; %bb.1:
	s_add_i32 s18, s8, 1
	s_mov_b32 s19, 0
	s_lshl_b64 s[20:21], s[18:19], 2
	s_add_u32 s20, s12, s20
	s_mov_b32 s9, s19
	s_addc_u32 s21, s13, s21
	s_lshl_b64 s[18:19], s[8:9], 2
	s_add_u32 s18, s12, s18
	s_addc_u32 s19, s13, s19
	s_load_dword s7, s[20:21], 0x0
	s_load_dword s11, s[18:19], 0x0
	s_waitcnt lgkmcnt(0)
	s_sub_i32 s7, s7, s11
	s_cmp_eq_u32 s7, 1
	s_cselect_b64 s[18:19], -1, 0
	s_andn2_b64 vcc, exec, s[16:17]
	s_cbranch_vccnz .LBB787_3
.LBB787_2:
	s_mov_b32 s9, 0
	s_mov_b64 s[18:19], -1
.LBB787_3:
	s_andn2_b64 vcc, exec, s[18:19]
	s_cbranch_vccnz .LBB787_10
; %bb.4:
	s_load_dwordx2 s[18:19], s[4:5], 0x28
	s_lshl_b64 s[16:17], s[8:9], 2
	s_waitcnt lgkmcnt(0)
	s_add_u32 s18, s18, s16
	s_addc_u32 s19, s19, s17
	s_load_dword s7, s[18:19], 0x0
	s_lshl_b32 s6, s6, 8
	s_waitcnt lgkmcnt(0)
	s_cmp_ge_i32 s6, s7
	s_cbranch_scc1 .LBB787_10
; %bb.5:
	s_andn2_b64 vcc, exec, s[14:15]
	s_cbranch_vccnz .LBB787_7
; %bb.6:
	s_add_u32 s6, s12, s16
	s_addc_u32 s7, s13, s17
	s_load_dword s8, s[6:7], 0x0
.LBB787_7:
	s_movk_i32 s6, 0xe0
	v_cmp_gt_u32_e32 vcc, s6, v0
	s_and_saveexec_b64 s[6:7], vcc
	s_cbranch_execz .LBB787_9
; %bb.8:
	s_load_dword s11, s[4:5], 0x48
	s_load_dwordx2 s[12:13], s[4:5], 0x0
	v_lshrrev_b32_e32 v1, 4, v0
	s_mul_i32 s10, s10, 14
	v_add_lshl_u32 v2, v1, s10, 7
	s_waitcnt lgkmcnt(0)
	s_ashr_i32 s9, s11, 31
	s_mul_hi_u32 s14, s8, s11
	s_mul_i32 s9, s8, s9
	s_add_i32 s9, s14, s9
	s_mul_i32 s8, s8, s11
	s_lshl_b64 s[8:9], s[8:9], 1
	s_add_u32 s8, s12, s8
	v_ashrrev_i32_e32 v3, 31, v2
	s_addc_u32 s9, s13, s9
	v_lshlrev_b64 v[2:3], 1, v[2:3]
	v_and_b32_e32 v4, 15, v0
	v_mov_b32_e32 v5, s9
	v_add_co_u32_e32 v2, vcc, s8, v2
	v_addc_co_u32_e32 v3, vcc, v5, v3, vcc
	v_lshlrev_b32_e32 v4, 4, v4
	v_add_co_u32_e32 v2, vcc, v2, v4
	v_addc_co_u32_e32 v3, vcc, 0, v3, vcc
	global_load_dwordx4 v[2:5], v[2:3], off
	v_lshlrev_b32_e32 v6, 4, v0
	v_lshlrev_b32_e32 v0, 8, v0
	v_and_b32_e32 v6, 16, v6
	v_lshlrev_b32_e32 v1, 5, v1
	v_and_b32_e32 v0, 0xe00, v0
	v_or3_b32 v0, v0, v1, v6
	s_waitcnt vmcnt(0)
	ds_write_b128 v0, v[2:5]
.LBB787_9:
	s_or_b64 exec, exec, s[6:7]
	s_waitcnt lgkmcnt(0)
	s_add_u32 s8, s4, 0x90
	s_addc_u32 s9, s5, 0
	s_getpc_b64 s[4:5]
	s_add_u32 s4, s4, __PRETTY_FUNCTION__._Z39paged_attention_ll4mi_QKV_mfma16_kernelI14__hip_bfloat16hLN4vllm18Fp8KVCacheDataTypeE1ES0_Li16ELi128ELi256ELb0ELi14EL8MFMAType1EEvPKT_PKT0_S9_ifPKiSB_SB_iPKfiiiPfSE_PS4_PT2_iSD_SD_@rel32@lo+4
	s_addc_u32 s5, s5, __PRETTY_FUNCTION__._Z39paged_attention_ll4mi_QKV_mfma16_kernelI14__hip_bfloat16hLN4vllm18Fp8KVCacheDataTypeE1ES0_Li16ELi128ELi256ELb0ELi14EL8MFMAType1EEvPKT_PKT0_S9_ifPKiSB_SB_iPKfiiiPfSE_PS4_PT2_iSD_SD_@rel32@hi+12
	v_mov_b32_e32 v0, 0x288
	v_mov_b32_e32 v1, s4
	;; [unrolled: 1-line block ×3, first 2 shown]
	s_barrier
	s_getpc_b64 s[6:7]
	s_add_u32 s6, s6, __assert_fail@rel32@lo+4
	s_addc_u32 s7, s7, __assert_fail@rel32@hi+12
	s_swappc_b64 s[30:31], s[6:7]
	; divergent unreachable
.LBB787_10:
	s_endpgm
.LBB787_11:
	s_mov_b64 s[18:19], 0
	s_branch .LBB787_2
	.section	.rodata,"a",@progbits
	.p2align	6, 0x0
	.amdhsa_kernel _Z39paged_attention_ll4mi_QKV_mfma16_kernelI14__hip_bfloat16hLN4vllm18Fp8KVCacheDataTypeE1ES0_Li16ELi128ELi256ELb0ELi14EL8MFMAType1EEvPKT_PKT0_S9_ifPKiSB_SB_iPKfiiiPfSE_PS4_PT2_iSD_SD_
		.amdhsa_group_segment_fixed_size 8192
		.amdhsa_private_segment_fixed_size 64
		.amdhsa_kernarg_size 400
		.amdhsa_user_sgpr_count 8
		.amdhsa_user_sgpr_private_segment_buffer 1
		.amdhsa_user_sgpr_dispatch_ptr 0
		.amdhsa_user_sgpr_queue_ptr 0
		.amdhsa_user_sgpr_kernarg_segment_ptr 1
		.amdhsa_user_sgpr_dispatch_id 0
		.amdhsa_user_sgpr_flat_scratch_init 1
		.amdhsa_user_sgpr_kernarg_preload_length 0
		.amdhsa_user_sgpr_kernarg_preload_offset 0
		.amdhsa_user_sgpr_private_segment_size 0
		.amdhsa_uses_dynamic_stack 0
		.amdhsa_system_sgpr_private_segment_wavefront_offset 1
		.amdhsa_system_sgpr_workgroup_id_x 1
		.amdhsa_system_sgpr_workgroup_id_y 1
		.amdhsa_system_sgpr_workgroup_id_z 1
		.amdhsa_system_sgpr_workgroup_info 0
		.amdhsa_system_vgpr_workitem_id 0
		.amdhsa_next_free_vgpr 45
		.amdhsa_next_free_sgpr 34
		.amdhsa_accum_offset 44
		.amdhsa_reserve_vcc 1
		.amdhsa_reserve_flat_scratch 1
		.amdhsa_float_round_mode_32 0
		.amdhsa_float_round_mode_16_64 0
		.amdhsa_float_denorm_mode_32 3
		.amdhsa_float_denorm_mode_16_64 3
		.amdhsa_dx10_clamp 1
		.amdhsa_ieee_mode 1
		.amdhsa_fp16_overflow 0
		.amdhsa_tg_split 0
		.amdhsa_exception_fp_ieee_invalid_op 0
		.amdhsa_exception_fp_denorm_src 0
		.amdhsa_exception_fp_ieee_div_zero 0
		.amdhsa_exception_fp_ieee_overflow 0
		.amdhsa_exception_fp_ieee_underflow 0
		.amdhsa_exception_fp_ieee_inexact 0
		.amdhsa_exception_int_div_zero 0
	.end_amdhsa_kernel
	.section	.text._Z39paged_attention_ll4mi_QKV_mfma16_kernelI14__hip_bfloat16hLN4vllm18Fp8KVCacheDataTypeE1ES0_Li16ELi128ELi256ELb0ELi14EL8MFMAType1EEvPKT_PKT0_S9_ifPKiSB_SB_iPKfiiiPfSE_PS4_PT2_iSD_SD_,"axG",@progbits,_Z39paged_attention_ll4mi_QKV_mfma16_kernelI14__hip_bfloat16hLN4vllm18Fp8KVCacheDataTypeE1ES0_Li16ELi128ELi256ELb0ELi14EL8MFMAType1EEvPKT_PKT0_S9_ifPKiSB_SB_iPKfiiiPfSE_PS4_PT2_iSD_SD_,comdat
.Lfunc_end787:
	.size	_Z39paged_attention_ll4mi_QKV_mfma16_kernelI14__hip_bfloat16hLN4vllm18Fp8KVCacheDataTypeE1ES0_Li16ELi128ELi256ELb0ELi14EL8MFMAType1EEvPKT_PKT0_S9_ifPKiSB_SB_iPKfiiiPfSE_PS4_PT2_iSD_SD_, .Lfunc_end787-_Z39paged_attention_ll4mi_QKV_mfma16_kernelI14__hip_bfloat16hLN4vllm18Fp8KVCacheDataTypeE1ES0_Li16ELi128ELi256ELb0ELi14EL8MFMAType1EEvPKT_PKT0_S9_ifPKiSB_SB_iPKfiiiPfSE_PS4_PT2_iSD_SD_
                                        ; -- End function
	.section	.AMDGPU.csdata,"",@progbits
; Kernel info:
; codeLenInByte = 492
; NumSgprs: 40
; NumVgprs: 42
; NumAgprs: 1
; TotalNumVgprs: 45
; ScratchSize: 64
; MemoryBound: 0
; FloatMode: 240
; IeeeMode: 1
; LDSByteSize: 8192 bytes/workgroup (compile time only)
; SGPRBlocks: 4
; VGPRBlocks: 5
; NumSGPRsForWavesPerEU: 40
; NumVGPRsForWavesPerEU: 45
; AccumOffset: 44
; Occupancy: 8
; WaveLimiterHint : 1
; COMPUTE_PGM_RSRC2:SCRATCH_EN: 1
; COMPUTE_PGM_RSRC2:USER_SGPR: 8
; COMPUTE_PGM_RSRC2:TRAP_HANDLER: 0
; COMPUTE_PGM_RSRC2:TGID_X_EN: 1
; COMPUTE_PGM_RSRC2:TGID_Y_EN: 1
; COMPUTE_PGM_RSRC2:TGID_Z_EN: 1
; COMPUTE_PGM_RSRC2:TIDIG_COMP_CNT: 0
; COMPUTE_PGM_RSRC3_GFX90A:ACCUM_OFFSET: 10
; COMPUTE_PGM_RSRC3_GFX90A:TG_SPLIT: 0
	.section	.text._Z39paged_attention_ll4mi_QKV_mfma16_kernelI14__hip_bfloat16hLN4vllm18Fp8KVCacheDataTypeE1ES0_Li16ELi128ELi256ELb0ELi15EL8MFMAType1EEvPKT_PKT0_S9_ifPKiSB_SB_iPKfiiiPfSE_PS4_PT2_iSD_SD_,"axG",@progbits,_Z39paged_attention_ll4mi_QKV_mfma16_kernelI14__hip_bfloat16hLN4vllm18Fp8KVCacheDataTypeE1ES0_Li16ELi128ELi256ELb0ELi15EL8MFMAType1EEvPKT_PKT0_S9_ifPKiSB_SB_iPKfiiiPfSE_PS4_PT2_iSD_SD_,comdat
	.protected	_Z39paged_attention_ll4mi_QKV_mfma16_kernelI14__hip_bfloat16hLN4vllm18Fp8KVCacheDataTypeE1ES0_Li16ELi128ELi256ELb0ELi15EL8MFMAType1EEvPKT_PKT0_S9_ifPKiSB_SB_iPKfiiiPfSE_PS4_PT2_iSD_SD_ ; -- Begin function _Z39paged_attention_ll4mi_QKV_mfma16_kernelI14__hip_bfloat16hLN4vllm18Fp8KVCacheDataTypeE1ES0_Li16ELi128ELi256ELb0ELi15EL8MFMAType1EEvPKT_PKT0_S9_ifPKiSB_SB_iPKfiiiPfSE_PS4_PT2_iSD_SD_
	.globl	_Z39paged_attention_ll4mi_QKV_mfma16_kernelI14__hip_bfloat16hLN4vllm18Fp8KVCacheDataTypeE1ES0_Li16ELi128ELi256ELb0ELi15EL8MFMAType1EEvPKT_PKT0_S9_ifPKiSB_SB_iPKfiiiPfSE_PS4_PT2_iSD_SD_
	.p2align	8
	.type	_Z39paged_attention_ll4mi_QKV_mfma16_kernelI14__hip_bfloat16hLN4vllm18Fp8KVCacheDataTypeE1ES0_Li16ELi128ELi256ELb0ELi15EL8MFMAType1EEvPKT_PKT0_S9_ifPKiSB_SB_iPKfiiiPfSE_PS4_PT2_iSD_SD_,@function
_Z39paged_attention_ll4mi_QKV_mfma16_kernelI14__hip_bfloat16hLN4vllm18Fp8KVCacheDataTypeE1ES0_Li16ELi128ELi256ELb0ELi15EL8MFMAType1EEvPKT_PKT0_S9_ifPKiSB_SB_iPKfiiiPfSE_PS4_PT2_iSD_SD_: ; @_Z39paged_attention_ll4mi_QKV_mfma16_kernelI14__hip_bfloat16hLN4vllm18Fp8KVCacheDataTypeE1ES0_Li16ELi128ELi256ELb0ELi15EL8MFMAType1EEvPKT_PKT0_S9_ifPKiSB_SB_iPKfiiiPfSE_PS4_PT2_iSD_SD_
; %bb.0:
	s_load_dwordx2 s[12:13], s[4:5], 0x30
	s_add_u32 flat_scratch_lo, s6, s11
	s_addc_u32 flat_scratch_hi, s7, 0
	s_add_u32 s0, s0, s11
	s_addc_u32 s1, s1, 0
	s_waitcnt lgkmcnt(0)
	s_cmp_lg_u64 s[12:13], 0
	s_cselect_b64 s[14:15], -1, 0
	s_mov_b32 s6, s9
	s_mov_b64 s[16:17], 0
	s_and_b64 vcc, exec, s[14:15]
	s_mov_b32 s32, 0
	s_cbranch_vccz .LBB788_11
; %bb.1:
	s_add_i32 s18, s8, 1
	s_mov_b32 s19, 0
	s_lshl_b64 s[20:21], s[18:19], 2
	s_add_u32 s20, s12, s20
	s_mov_b32 s9, s19
	s_addc_u32 s21, s13, s21
	s_lshl_b64 s[18:19], s[8:9], 2
	s_add_u32 s18, s12, s18
	s_addc_u32 s19, s13, s19
	s_load_dword s7, s[20:21], 0x0
	s_load_dword s11, s[18:19], 0x0
	s_waitcnt lgkmcnt(0)
	s_sub_i32 s7, s7, s11
	s_cmp_eq_u32 s7, 1
	s_cselect_b64 s[18:19], -1, 0
	s_andn2_b64 vcc, exec, s[16:17]
	s_cbranch_vccnz .LBB788_3
.LBB788_2:
	s_mov_b32 s9, 0
	s_mov_b64 s[18:19], -1
.LBB788_3:
	s_andn2_b64 vcc, exec, s[18:19]
	s_cbranch_vccnz .LBB788_10
; %bb.4:
	s_load_dwordx2 s[18:19], s[4:5], 0x28
	s_lshl_b64 s[16:17], s[8:9], 2
	s_waitcnt lgkmcnt(0)
	s_add_u32 s18, s18, s16
	s_addc_u32 s19, s19, s17
	s_load_dword s7, s[18:19], 0x0
	s_lshl_b32 s6, s6, 8
	s_waitcnt lgkmcnt(0)
	s_cmp_ge_i32 s6, s7
	s_cbranch_scc1 .LBB788_10
; %bb.5:
	s_andn2_b64 vcc, exec, s[14:15]
	s_cbranch_vccnz .LBB788_7
; %bb.6:
	s_add_u32 s6, s12, s16
	s_addc_u32 s7, s13, s17
	s_load_dword s8, s[6:7], 0x0
.LBB788_7:
	s_movk_i32 s6, 0xf0
	v_cmp_gt_u32_e32 vcc, s6, v0
	s_and_saveexec_b64 s[6:7], vcc
	s_cbranch_execz .LBB788_9
; %bb.8:
	s_load_dword s11, s[4:5], 0x48
	s_load_dwordx2 s[12:13], s[4:5], 0x0
	v_lshrrev_b32_e32 v1, 4, v0
	s_mul_i32 s10, s10, 15
	v_add_lshl_u32 v2, v1, s10, 7
	s_waitcnt lgkmcnt(0)
	s_ashr_i32 s9, s11, 31
	s_mul_hi_u32 s14, s8, s11
	s_mul_i32 s9, s8, s9
	s_add_i32 s9, s14, s9
	s_mul_i32 s8, s8, s11
	s_lshl_b64 s[8:9], s[8:9], 1
	s_add_u32 s8, s12, s8
	v_ashrrev_i32_e32 v3, 31, v2
	s_addc_u32 s9, s13, s9
	v_lshlrev_b64 v[2:3], 1, v[2:3]
	v_and_b32_e32 v4, 15, v0
	v_mov_b32_e32 v5, s9
	v_add_co_u32_e32 v2, vcc, s8, v2
	v_addc_co_u32_e32 v3, vcc, v5, v3, vcc
	v_lshlrev_b32_e32 v4, 4, v4
	v_add_co_u32_e32 v2, vcc, v2, v4
	v_addc_co_u32_e32 v3, vcc, 0, v3, vcc
	global_load_dwordx4 v[2:5], v[2:3], off
	v_lshlrev_b32_e32 v6, 4, v0
	v_lshlrev_b32_e32 v0, 8, v0
	v_and_b32_e32 v6, 16, v6
	v_lshlrev_b32_e32 v1, 5, v1
	v_and_b32_e32 v0, 0xe00, v0
	v_or3_b32 v0, v0, v1, v6
	s_waitcnt vmcnt(0)
	ds_write_b128 v0, v[2:5]
.LBB788_9:
	s_or_b64 exec, exec, s[6:7]
	s_waitcnt lgkmcnt(0)
	s_add_u32 s8, s4, 0x90
	s_addc_u32 s9, s5, 0
	s_getpc_b64 s[4:5]
	s_add_u32 s4, s4, __PRETTY_FUNCTION__._Z39paged_attention_ll4mi_QKV_mfma16_kernelI14__hip_bfloat16hLN4vllm18Fp8KVCacheDataTypeE1ES0_Li16ELi128ELi256ELb0ELi15EL8MFMAType1EEvPKT_PKT0_S9_ifPKiSB_SB_iPKfiiiPfSE_PS4_PT2_iSD_SD_@rel32@lo+4
	s_addc_u32 s5, s5, __PRETTY_FUNCTION__._Z39paged_attention_ll4mi_QKV_mfma16_kernelI14__hip_bfloat16hLN4vllm18Fp8KVCacheDataTypeE1ES0_Li16ELi128ELi256ELb0ELi15EL8MFMAType1EEvPKT_PKT0_S9_ifPKiSB_SB_iPKfiiiPfSE_PS4_PT2_iSD_SD_@rel32@hi+12
	v_mov_b32_e32 v0, 0x288
	v_mov_b32_e32 v1, s4
	;; [unrolled: 1-line block ×3, first 2 shown]
	s_barrier
	s_getpc_b64 s[6:7]
	s_add_u32 s6, s6, __assert_fail@rel32@lo+4
	s_addc_u32 s7, s7, __assert_fail@rel32@hi+12
	s_swappc_b64 s[30:31], s[6:7]
	; divergent unreachable
.LBB788_10:
	s_endpgm
.LBB788_11:
	s_mov_b64 s[18:19], 0
	s_branch .LBB788_2
	.section	.rodata,"a",@progbits
	.p2align	6, 0x0
	.amdhsa_kernel _Z39paged_attention_ll4mi_QKV_mfma16_kernelI14__hip_bfloat16hLN4vllm18Fp8KVCacheDataTypeE1ES0_Li16ELi128ELi256ELb0ELi15EL8MFMAType1EEvPKT_PKT0_S9_ifPKiSB_SB_iPKfiiiPfSE_PS4_PT2_iSD_SD_
		.amdhsa_group_segment_fixed_size 8192
		.amdhsa_private_segment_fixed_size 64
		.amdhsa_kernarg_size 400
		.amdhsa_user_sgpr_count 8
		.amdhsa_user_sgpr_private_segment_buffer 1
		.amdhsa_user_sgpr_dispatch_ptr 0
		.amdhsa_user_sgpr_queue_ptr 0
		.amdhsa_user_sgpr_kernarg_segment_ptr 1
		.amdhsa_user_sgpr_dispatch_id 0
		.amdhsa_user_sgpr_flat_scratch_init 1
		.amdhsa_user_sgpr_kernarg_preload_length 0
		.amdhsa_user_sgpr_kernarg_preload_offset 0
		.amdhsa_user_sgpr_private_segment_size 0
		.amdhsa_uses_dynamic_stack 0
		.amdhsa_system_sgpr_private_segment_wavefront_offset 1
		.amdhsa_system_sgpr_workgroup_id_x 1
		.amdhsa_system_sgpr_workgroup_id_y 1
		.amdhsa_system_sgpr_workgroup_id_z 1
		.amdhsa_system_sgpr_workgroup_info 0
		.amdhsa_system_vgpr_workitem_id 0
		.amdhsa_next_free_vgpr 45
		.amdhsa_next_free_sgpr 34
		.amdhsa_accum_offset 44
		.amdhsa_reserve_vcc 1
		.amdhsa_reserve_flat_scratch 1
		.amdhsa_float_round_mode_32 0
		.amdhsa_float_round_mode_16_64 0
		.amdhsa_float_denorm_mode_32 3
		.amdhsa_float_denorm_mode_16_64 3
		.amdhsa_dx10_clamp 1
		.amdhsa_ieee_mode 1
		.amdhsa_fp16_overflow 0
		.amdhsa_tg_split 0
		.amdhsa_exception_fp_ieee_invalid_op 0
		.amdhsa_exception_fp_denorm_src 0
		.amdhsa_exception_fp_ieee_div_zero 0
		.amdhsa_exception_fp_ieee_overflow 0
		.amdhsa_exception_fp_ieee_underflow 0
		.amdhsa_exception_fp_ieee_inexact 0
		.amdhsa_exception_int_div_zero 0
	.end_amdhsa_kernel
	.section	.text._Z39paged_attention_ll4mi_QKV_mfma16_kernelI14__hip_bfloat16hLN4vllm18Fp8KVCacheDataTypeE1ES0_Li16ELi128ELi256ELb0ELi15EL8MFMAType1EEvPKT_PKT0_S9_ifPKiSB_SB_iPKfiiiPfSE_PS4_PT2_iSD_SD_,"axG",@progbits,_Z39paged_attention_ll4mi_QKV_mfma16_kernelI14__hip_bfloat16hLN4vllm18Fp8KVCacheDataTypeE1ES0_Li16ELi128ELi256ELb0ELi15EL8MFMAType1EEvPKT_PKT0_S9_ifPKiSB_SB_iPKfiiiPfSE_PS4_PT2_iSD_SD_,comdat
.Lfunc_end788:
	.size	_Z39paged_attention_ll4mi_QKV_mfma16_kernelI14__hip_bfloat16hLN4vllm18Fp8KVCacheDataTypeE1ES0_Li16ELi128ELi256ELb0ELi15EL8MFMAType1EEvPKT_PKT0_S9_ifPKiSB_SB_iPKfiiiPfSE_PS4_PT2_iSD_SD_, .Lfunc_end788-_Z39paged_attention_ll4mi_QKV_mfma16_kernelI14__hip_bfloat16hLN4vllm18Fp8KVCacheDataTypeE1ES0_Li16ELi128ELi256ELb0ELi15EL8MFMAType1EEvPKT_PKT0_S9_ifPKiSB_SB_iPKfiiiPfSE_PS4_PT2_iSD_SD_
                                        ; -- End function
	.section	.AMDGPU.csdata,"",@progbits
; Kernel info:
; codeLenInByte = 492
; NumSgprs: 40
; NumVgprs: 42
; NumAgprs: 1
; TotalNumVgprs: 45
; ScratchSize: 64
; MemoryBound: 0
; FloatMode: 240
; IeeeMode: 1
; LDSByteSize: 8192 bytes/workgroup (compile time only)
; SGPRBlocks: 4
; VGPRBlocks: 5
; NumSGPRsForWavesPerEU: 40
; NumVGPRsForWavesPerEU: 45
; AccumOffset: 44
; Occupancy: 8
; WaveLimiterHint : 1
; COMPUTE_PGM_RSRC2:SCRATCH_EN: 1
; COMPUTE_PGM_RSRC2:USER_SGPR: 8
; COMPUTE_PGM_RSRC2:TRAP_HANDLER: 0
; COMPUTE_PGM_RSRC2:TGID_X_EN: 1
; COMPUTE_PGM_RSRC2:TGID_Y_EN: 1
; COMPUTE_PGM_RSRC2:TGID_Z_EN: 1
; COMPUTE_PGM_RSRC2:TIDIG_COMP_CNT: 0
; COMPUTE_PGM_RSRC3_GFX90A:ACCUM_OFFSET: 10
; COMPUTE_PGM_RSRC3_GFX90A:TG_SPLIT: 0
	.section	.text._Z39paged_attention_ll4mi_QKV_mfma16_kernelI14__hip_bfloat16hLN4vllm18Fp8KVCacheDataTypeE1ES0_Li16ELi128ELi256ELb0ELi16EL8MFMAType1EEvPKT_PKT0_S9_ifPKiSB_SB_iPKfiiiPfSE_PS4_PT2_iSD_SD_,"axG",@progbits,_Z39paged_attention_ll4mi_QKV_mfma16_kernelI14__hip_bfloat16hLN4vllm18Fp8KVCacheDataTypeE1ES0_Li16ELi128ELi256ELb0ELi16EL8MFMAType1EEvPKT_PKT0_S9_ifPKiSB_SB_iPKfiiiPfSE_PS4_PT2_iSD_SD_,comdat
	.protected	_Z39paged_attention_ll4mi_QKV_mfma16_kernelI14__hip_bfloat16hLN4vllm18Fp8KVCacheDataTypeE1ES0_Li16ELi128ELi256ELb0ELi16EL8MFMAType1EEvPKT_PKT0_S9_ifPKiSB_SB_iPKfiiiPfSE_PS4_PT2_iSD_SD_ ; -- Begin function _Z39paged_attention_ll4mi_QKV_mfma16_kernelI14__hip_bfloat16hLN4vllm18Fp8KVCacheDataTypeE1ES0_Li16ELi128ELi256ELb0ELi16EL8MFMAType1EEvPKT_PKT0_S9_ifPKiSB_SB_iPKfiiiPfSE_PS4_PT2_iSD_SD_
	.globl	_Z39paged_attention_ll4mi_QKV_mfma16_kernelI14__hip_bfloat16hLN4vllm18Fp8KVCacheDataTypeE1ES0_Li16ELi128ELi256ELb0ELi16EL8MFMAType1EEvPKT_PKT0_S9_ifPKiSB_SB_iPKfiiiPfSE_PS4_PT2_iSD_SD_
	.p2align	8
	.type	_Z39paged_attention_ll4mi_QKV_mfma16_kernelI14__hip_bfloat16hLN4vllm18Fp8KVCacheDataTypeE1ES0_Li16ELi128ELi256ELb0ELi16EL8MFMAType1EEvPKT_PKT0_S9_ifPKiSB_SB_iPKfiiiPfSE_PS4_PT2_iSD_SD_,@function
_Z39paged_attention_ll4mi_QKV_mfma16_kernelI14__hip_bfloat16hLN4vllm18Fp8KVCacheDataTypeE1ES0_Li16ELi128ELi256ELb0ELi16EL8MFMAType1EEvPKT_PKT0_S9_ifPKiSB_SB_iPKfiiiPfSE_PS4_PT2_iSD_SD_: ; @_Z39paged_attention_ll4mi_QKV_mfma16_kernelI14__hip_bfloat16hLN4vllm18Fp8KVCacheDataTypeE1ES0_Li16ELi128ELi256ELb0ELi16EL8MFMAType1EEvPKT_PKT0_S9_ifPKiSB_SB_iPKfiiiPfSE_PS4_PT2_iSD_SD_
; %bb.0:
	s_load_dwordx2 s[12:13], s[4:5], 0x30
	s_add_u32 flat_scratch_lo, s6, s11
	s_addc_u32 flat_scratch_hi, s7, 0
	s_add_u32 s0, s0, s11
	s_addc_u32 s1, s1, 0
	s_waitcnt lgkmcnt(0)
	s_cmp_lg_u64 s[12:13], 0
	s_cselect_b64 s[14:15], -1, 0
	s_mov_b32 s6, s9
	s_mov_b64 s[16:17], 0
	s_and_b64 vcc, exec, s[14:15]
	s_mov_b32 s32, 0
	s_cbranch_vccz .LBB789_11
; %bb.1:
	s_add_i32 s18, s8, 1
	s_mov_b32 s19, 0
	s_lshl_b64 s[20:21], s[18:19], 2
	s_add_u32 s20, s12, s20
	s_mov_b32 s9, s19
	s_addc_u32 s21, s13, s21
	s_lshl_b64 s[18:19], s[8:9], 2
	s_add_u32 s18, s12, s18
	s_addc_u32 s19, s13, s19
	s_load_dword s7, s[20:21], 0x0
	s_load_dword s11, s[18:19], 0x0
	s_waitcnt lgkmcnt(0)
	s_sub_i32 s7, s7, s11
	s_cmp_eq_u32 s7, 1
	s_cselect_b64 s[18:19], -1, 0
	s_andn2_b64 vcc, exec, s[16:17]
	s_cbranch_vccnz .LBB789_3
.LBB789_2:
	s_mov_b32 s9, 0
	s_mov_b64 s[18:19], -1
.LBB789_3:
	s_andn2_b64 vcc, exec, s[18:19]
	s_cbranch_vccnz .LBB789_10
; %bb.4:
	s_load_dwordx2 s[18:19], s[4:5], 0x28
	s_lshl_b64 s[16:17], s[8:9], 2
	s_waitcnt lgkmcnt(0)
	s_add_u32 s18, s18, s16
	s_addc_u32 s19, s19, s17
	s_load_dword s7, s[18:19], 0x0
	s_lshl_b32 s6, s6, 8
	s_waitcnt lgkmcnt(0)
	s_cmp_ge_i32 s6, s7
	s_cbranch_scc1 .LBB789_10
; %bb.5:
	s_andn2_b64 vcc, exec, s[14:15]
	s_cbranch_vccnz .LBB789_7
; %bb.6:
	s_add_u32 s6, s12, s16
	s_addc_u32 s7, s13, s17
	s_load_dword s8, s[6:7], 0x0
.LBB789_7:
	s_movk_i32 s6, 0x100
	v_cmp_gt_u32_e32 vcc, s6, v0
	s_and_saveexec_b64 s[6:7], vcc
	s_cbranch_execz .LBB789_9
; %bb.8:
	s_load_dword s11, s[4:5], 0x48
	s_load_dwordx2 s[12:13], s[4:5], 0x0
	v_lshrrev_b32_e32 v6, 4, v0
	v_and_b32_e32 v1, 15, v0
	v_lshlrev_b32_e32 v1, 4, v1
	s_waitcnt lgkmcnt(0)
	s_ashr_i32 s9, s11, 31
	s_mul_hi_u32 s14, s8, s11
	s_mul_i32 s9, s8, s9
	s_add_i32 s9, s14, s9
	s_mul_i32 s8, s8, s11
	s_lshl_b64 s[8:9], s[8:9], 1
	s_add_u32 s8, s12, s8
	s_addc_u32 s9, s13, s9
	s_lshl_b32 s10, s10, 11
	v_lshl_or_b32 v2, v6, 7, s10
	v_ashrrev_i32_e32 v3, 31, v2
	v_lshlrev_b64 v[2:3], 1, v[2:3]
	v_mov_b32_e32 v4, s9
	v_add_co_u32_e32 v2, vcc, s8, v2
	v_addc_co_u32_e32 v3, vcc, v4, v3, vcc
	v_add_co_u32_e32 v2, vcc, v2, v1
	v_addc_co_u32_e32 v3, vcc, 0, v3, vcc
	global_load_dwordx4 v[2:5], v[2:3], off
	v_lshlrev_b32_e32 v1, 4, v0
	v_lshlrev_b32_e32 v0, 8, v0
	v_and_b32_e32 v1, 16, v1
	v_lshlrev_b32_e32 v6, 5, v6
	v_and_b32_e32 v0, 0xe00, v0
	v_or3_b32 v0, v0, v6, v1
	s_waitcnt vmcnt(0)
	ds_write_b128 v0, v[2:5]
.LBB789_9:
	s_or_b64 exec, exec, s[6:7]
	s_waitcnt lgkmcnt(0)
	s_add_u32 s8, s4, 0x90
	s_addc_u32 s9, s5, 0
	s_getpc_b64 s[4:5]
	s_add_u32 s4, s4, __PRETTY_FUNCTION__._Z39paged_attention_ll4mi_QKV_mfma16_kernelI14__hip_bfloat16hLN4vllm18Fp8KVCacheDataTypeE1ES0_Li16ELi128ELi256ELb0ELi16EL8MFMAType1EEvPKT_PKT0_S9_ifPKiSB_SB_iPKfiiiPfSE_PS4_PT2_iSD_SD_@rel32@lo+4
	s_addc_u32 s5, s5, __PRETTY_FUNCTION__._Z39paged_attention_ll4mi_QKV_mfma16_kernelI14__hip_bfloat16hLN4vllm18Fp8KVCacheDataTypeE1ES0_Li16ELi128ELi256ELb0ELi16EL8MFMAType1EEvPKT_PKT0_S9_ifPKiSB_SB_iPKfiiiPfSE_PS4_PT2_iSD_SD_@rel32@hi+12
	v_mov_b32_e32 v0, 0x288
	v_mov_b32_e32 v1, s4
	;; [unrolled: 1-line block ×3, first 2 shown]
	s_barrier
	s_getpc_b64 s[6:7]
	s_add_u32 s6, s6, __assert_fail@rel32@lo+4
	s_addc_u32 s7, s7, __assert_fail@rel32@hi+12
	s_swappc_b64 s[30:31], s[6:7]
	; divergent unreachable
.LBB789_10:
	s_endpgm
.LBB789_11:
	s_mov_b64 s[18:19], 0
	s_branch .LBB789_2
	.section	.rodata,"a",@progbits
	.p2align	6, 0x0
	.amdhsa_kernel _Z39paged_attention_ll4mi_QKV_mfma16_kernelI14__hip_bfloat16hLN4vllm18Fp8KVCacheDataTypeE1ES0_Li16ELi128ELi256ELb0ELi16EL8MFMAType1EEvPKT_PKT0_S9_ifPKiSB_SB_iPKfiiiPfSE_PS4_PT2_iSD_SD_
		.amdhsa_group_segment_fixed_size 8192
		.amdhsa_private_segment_fixed_size 64
		.amdhsa_kernarg_size 400
		.amdhsa_user_sgpr_count 8
		.amdhsa_user_sgpr_private_segment_buffer 1
		.amdhsa_user_sgpr_dispatch_ptr 0
		.amdhsa_user_sgpr_queue_ptr 0
		.amdhsa_user_sgpr_kernarg_segment_ptr 1
		.amdhsa_user_sgpr_dispatch_id 0
		.amdhsa_user_sgpr_flat_scratch_init 1
		.amdhsa_user_sgpr_kernarg_preload_length 0
		.amdhsa_user_sgpr_kernarg_preload_offset 0
		.amdhsa_user_sgpr_private_segment_size 0
		.amdhsa_uses_dynamic_stack 0
		.amdhsa_system_sgpr_private_segment_wavefront_offset 1
		.amdhsa_system_sgpr_workgroup_id_x 1
		.amdhsa_system_sgpr_workgroup_id_y 1
		.amdhsa_system_sgpr_workgroup_id_z 1
		.amdhsa_system_sgpr_workgroup_info 0
		.amdhsa_system_vgpr_workitem_id 0
		.amdhsa_next_free_vgpr 45
		.amdhsa_next_free_sgpr 34
		.amdhsa_accum_offset 44
		.amdhsa_reserve_vcc 1
		.amdhsa_reserve_flat_scratch 1
		.amdhsa_float_round_mode_32 0
		.amdhsa_float_round_mode_16_64 0
		.amdhsa_float_denorm_mode_32 3
		.amdhsa_float_denorm_mode_16_64 3
		.amdhsa_dx10_clamp 1
		.amdhsa_ieee_mode 1
		.amdhsa_fp16_overflow 0
		.amdhsa_tg_split 0
		.amdhsa_exception_fp_ieee_invalid_op 0
		.amdhsa_exception_fp_denorm_src 0
		.amdhsa_exception_fp_ieee_div_zero 0
		.amdhsa_exception_fp_ieee_overflow 0
		.amdhsa_exception_fp_ieee_underflow 0
		.amdhsa_exception_fp_ieee_inexact 0
		.amdhsa_exception_int_div_zero 0
	.end_amdhsa_kernel
	.section	.text._Z39paged_attention_ll4mi_QKV_mfma16_kernelI14__hip_bfloat16hLN4vllm18Fp8KVCacheDataTypeE1ES0_Li16ELi128ELi256ELb0ELi16EL8MFMAType1EEvPKT_PKT0_S9_ifPKiSB_SB_iPKfiiiPfSE_PS4_PT2_iSD_SD_,"axG",@progbits,_Z39paged_attention_ll4mi_QKV_mfma16_kernelI14__hip_bfloat16hLN4vllm18Fp8KVCacheDataTypeE1ES0_Li16ELi128ELi256ELb0ELi16EL8MFMAType1EEvPKT_PKT0_S9_ifPKiSB_SB_iPKfiiiPfSE_PS4_PT2_iSD_SD_,comdat
.Lfunc_end789:
	.size	_Z39paged_attention_ll4mi_QKV_mfma16_kernelI14__hip_bfloat16hLN4vllm18Fp8KVCacheDataTypeE1ES0_Li16ELi128ELi256ELb0ELi16EL8MFMAType1EEvPKT_PKT0_S9_ifPKiSB_SB_iPKfiiiPfSE_PS4_PT2_iSD_SD_, .Lfunc_end789-_Z39paged_attention_ll4mi_QKV_mfma16_kernelI14__hip_bfloat16hLN4vllm18Fp8KVCacheDataTypeE1ES0_Li16ELi128ELi256ELb0ELi16EL8MFMAType1EEvPKT_PKT0_S9_ifPKiSB_SB_iPKfiiiPfSE_PS4_PT2_iSD_SD_
                                        ; -- End function
	.section	.AMDGPU.csdata,"",@progbits
; Kernel info:
; codeLenInByte = 492
; NumSgprs: 40
; NumVgprs: 42
; NumAgprs: 1
; TotalNumVgprs: 45
; ScratchSize: 64
; MemoryBound: 0
; FloatMode: 240
; IeeeMode: 1
; LDSByteSize: 8192 bytes/workgroup (compile time only)
; SGPRBlocks: 4
; VGPRBlocks: 5
; NumSGPRsForWavesPerEU: 40
; NumVGPRsForWavesPerEU: 45
; AccumOffset: 44
; Occupancy: 8
; WaveLimiterHint : 1
; COMPUTE_PGM_RSRC2:SCRATCH_EN: 1
; COMPUTE_PGM_RSRC2:USER_SGPR: 8
; COMPUTE_PGM_RSRC2:TRAP_HANDLER: 0
; COMPUTE_PGM_RSRC2:TGID_X_EN: 1
; COMPUTE_PGM_RSRC2:TGID_Y_EN: 1
; COMPUTE_PGM_RSRC2:TGID_Z_EN: 1
; COMPUTE_PGM_RSRC2:TIDIG_COMP_CNT: 0
; COMPUTE_PGM_RSRC3_GFX90A:ACCUM_OFFSET: 10
; COMPUTE_PGM_RSRC3_GFX90A:TG_SPLIT: 0
	.section	.text._Z39paged_attention_ll4mi_QKV_mfma16_kernelI14__hip_bfloat16hLN4vllm18Fp8KVCacheDataTypeE1ES0_Li16ELi128ELi256ELb0ELi1EL8MFMAType1EEvPKT_PKT0_S9_ifPKiSB_SB_iPKfiiiPfSE_PS4_PT2_iSD_SD_,"axG",@progbits,_Z39paged_attention_ll4mi_QKV_mfma16_kernelI14__hip_bfloat16hLN4vllm18Fp8KVCacheDataTypeE1ES0_Li16ELi128ELi256ELb0ELi1EL8MFMAType1EEvPKT_PKT0_S9_ifPKiSB_SB_iPKfiiiPfSE_PS4_PT2_iSD_SD_,comdat
	.protected	_Z39paged_attention_ll4mi_QKV_mfma16_kernelI14__hip_bfloat16hLN4vllm18Fp8KVCacheDataTypeE1ES0_Li16ELi128ELi256ELb0ELi1EL8MFMAType1EEvPKT_PKT0_S9_ifPKiSB_SB_iPKfiiiPfSE_PS4_PT2_iSD_SD_ ; -- Begin function _Z39paged_attention_ll4mi_QKV_mfma16_kernelI14__hip_bfloat16hLN4vllm18Fp8KVCacheDataTypeE1ES0_Li16ELi128ELi256ELb0ELi1EL8MFMAType1EEvPKT_PKT0_S9_ifPKiSB_SB_iPKfiiiPfSE_PS4_PT2_iSD_SD_
	.globl	_Z39paged_attention_ll4mi_QKV_mfma16_kernelI14__hip_bfloat16hLN4vllm18Fp8KVCacheDataTypeE1ES0_Li16ELi128ELi256ELb0ELi1EL8MFMAType1EEvPKT_PKT0_S9_ifPKiSB_SB_iPKfiiiPfSE_PS4_PT2_iSD_SD_
	.p2align	8
	.type	_Z39paged_attention_ll4mi_QKV_mfma16_kernelI14__hip_bfloat16hLN4vllm18Fp8KVCacheDataTypeE1ES0_Li16ELi128ELi256ELb0ELi1EL8MFMAType1EEvPKT_PKT0_S9_ifPKiSB_SB_iPKfiiiPfSE_PS4_PT2_iSD_SD_,@function
_Z39paged_attention_ll4mi_QKV_mfma16_kernelI14__hip_bfloat16hLN4vllm18Fp8KVCacheDataTypeE1ES0_Li16ELi128ELi256ELb0ELi1EL8MFMAType1EEvPKT_PKT0_S9_ifPKiSB_SB_iPKfiiiPfSE_PS4_PT2_iSD_SD_: ; @_Z39paged_attention_ll4mi_QKV_mfma16_kernelI14__hip_bfloat16hLN4vllm18Fp8KVCacheDataTypeE1ES0_Li16ELi128ELi256ELb0ELi1EL8MFMAType1EEvPKT_PKT0_S9_ifPKiSB_SB_iPKfiiiPfSE_PS4_PT2_iSD_SD_
; %bb.0:
	s_load_dwordx2 s[12:13], s[4:5], 0x30
	s_add_u32 flat_scratch_lo, s6, s11
	s_addc_u32 flat_scratch_hi, s7, 0
	s_add_u32 s0, s0, s11
	s_addc_u32 s1, s1, 0
	s_waitcnt lgkmcnt(0)
	s_cmp_lg_u64 s[12:13], 0
	s_cselect_b64 s[14:15], -1, 0
	s_mov_b32 s6, s9
	s_mov_b64 s[16:17], 0
	s_and_b64 vcc, exec, s[14:15]
	s_mov_b32 s32, 0
	s_cbranch_vccz .LBB790_11
; %bb.1:
	s_add_i32 s18, s8, 1
	s_mov_b32 s19, 0
	s_lshl_b64 s[20:21], s[18:19], 2
	s_add_u32 s20, s12, s20
	s_mov_b32 s9, s19
	s_addc_u32 s21, s13, s21
	s_lshl_b64 s[18:19], s[8:9], 2
	s_add_u32 s18, s12, s18
	s_addc_u32 s19, s13, s19
	s_load_dword s7, s[20:21], 0x0
	s_load_dword s11, s[18:19], 0x0
	s_waitcnt lgkmcnt(0)
	s_sub_i32 s7, s7, s11
	s_cmp_eq_u32 s7, 1
	s_cselect_b64 s[18:19], -1, 0
	s_andn2_b64 vcc, exec, s[16:17]
	s_cbranch_vccnz .LBB790_3
.LBB790_2:
	s_mov_b32 s9, 0
	s_mov_b64 s[18:19], -1
.LBB790_3:
	s_andn2_b64 vcc, exec, s[18:19]
	s_cbranch_vccnz .LBB790_10
; %bb.4:
	s_load_dwordx2 s[18:19], s[4:5], 0x28
	s_lshl_b64 s[16:17], s[8:9], 2
	s_waitcnt lgkmcnt(0)
	s_add_u32 s18, s18, s16
	s_addc_u32 s19, s19, s17
	s_load_dword s7, s[18:19], 0x0
	s_lshl_b32 s6, s6, 8
	s_waitcnt lgkmcnt(0)
	s_cmp_ge_i32 s6, s7
	s_cbranch_scc1 .LBB790_10
; %bb.5:
	s_andn2_b64 vcc, exec, s[14:15]
	s_cbranch_vccnz .LBB790_7
; %bb.6:
	s_add_u32 s6, s12, s16
	s_addc_u32 s7, s13, s17
	s_load_dword s8, s[6:7], 0x0
.LBB790_7:
	v_cmp_gt_u32_e32 vcc, 16, v0
	s_and_saveexec_b64 s[6:7], vcc
	s_cbranch_execz .LBB790_9
; %bb.8:
	s_load_dword s9, s[4:5], 0x48
	s_load_dwordx2 s[12:13], s[4:5], 0x0
	v_lshlrev_b32_e32 v1, 4, v0
	v_lshlrev_b32_e32 v0, 8, v0
	s_waitcnt lgkmcnt(0)
	s_ashr_i32 s11, s9, 31
	s_mul_hi_u32 s15, s8, s9
	s_mul_i32 s14, s8, s9
	s_mul_i32 s8, s8, s11
	s_add_i32 s15, s15, s8
	s_lshl_b64 s[8:9], s[14:15], 1
	s_add_u32 s11, s12, s8
	s_addc_u32 s12, s13, s9
	s_lshl_b32 s8, s10, 7
	s_ashr_i32 s9, s8, 31
	s_lshl_b64 s[8:9], s[8:9], 1
	s_add_u32 s8, s11, s8
	s_addc_u32 s9, s12, s9
	global_load_dwordx4 v[2:5], v1, s[8:9]
	v_and_b32_e32 v1, 16, v1
	s_mov_b32 s8, 0xfe00
	v_and_or_b32 v0, v0, s8, v1
	s_waitcnt vmcnt(0)
	ds_write_b128 v0, v[2:5]
.LBB790_9:
	s_or_b64 exec, exec, s[6:7]
	s_waitcnt lgkmcnt(0)
	s_add_u32 s8, s4, 0x90
	s_addc_u32 s9, s5, 0
	s_getpc_b64 s[4:5]
	s_add_u32 s4, s4, __PRETTY_FUNCTION__._Z39paged_attention_ll4mi_QKV_mfma16_kernelI14__hip_bfloat16hLN4vllm18Fp8KVCacheDataTypeE1ES0_Li16ELi128ELi256ELb0ELi1EL8MFMAType1EEvPKT_PKT0_S9_ifPKiSB_SB_iPKfiiiPfSE_PS4_PT2_iSD_SD_@rel32@lo+4
	s_addc_u32 s5, s5, __PRETTY_FUNCTION__._Z39paged_attention_ll4mi_QKV_mfma16_kernelI14__hip_bfloat16hLN4vllm18Fp8KVCacheDataTypeE1ES0_Li16ELi128ELi256ELb0ELi1EL8MFMAType1EEvPKT_PKT0_S9_ifPKiSB_SB_iPKfiiiPfSE_PS4_PT2_iSD_SD_@rel32@hi+12
	v_mov_b32_e32 v0, 0x288
	v_mov_b32_e32 v1, s4
	;; [unrolled: 1-line block ×3, first 2 shown]
	s_barrier
	s_getpc_b64 s[6:7]
	s_add_u32 s6, s6, __assert_fail@rel32@lo+4
	s_addc_u32 s7, s7, __assert_fail@rel32@hi+12
	s_swappc_b64 s[30:31], s[6:7]
	; divergent unreachable
.LBB790_10:
	s_endpgm
.LBB790_11:
	s_mov_b64 s[18:19], 0
	s_branch .LBB790_2
	.section	.rodata,"a",@progbits
	.p2align	6, 0x0
	.amdhsa_kernel _Z39paged_attention_ll4mi_QKV_mfma16_kernelI14__hip_bfloat16hLN4vllm18Fp8KVCacheDataTypeE1ES0_Li16ELi128ELi256ELb0ELi1EL8MFMAType1EEvPKT_PKT0_S9_ifPKiSB_SB_iPKfiiiPfSE_PS4_PT2_iSD_SD_
		.amdhsa_group_segment_fixed_size 8192
		.amdhsa_private_segment_fixed_size 64
		.amdhsa_kernarg_size 400
		.amdhsa_user_sgpr_count 8
		.amdhsa_user_sgpr_private_segment_buffer 1
		.amdhsa_user_sgpr_dispatch_ptr 0
		.amdhsa_user_sgpr_queue_ptr 0
		.amdhsa_user_sgpr_kernarg_segment_ptr 1
		.amdhsa_user_sgpr_dispatch_id 0
		.amdhsa_user_sgpr_flat_scratch_init 1
		.amdhsa_user_sgpr_kernarg_preload_length 0
		.amdhsa_user_sgpr_kernarg_preload_offset 0
		.amdhsa_user_sgpr_private_segment_size 0
		.amdhsa_uses_dynamic_stack 0
		.amdhsa_system_sgpr_private_segment_wavefront_offset 1
		.amdhsa_system_sgpr_workgroup_id_x 1
		.amdhsa_system_sgpr_workgroup_id_y 1
		.amdhsa_system_sgpr_workgroup_id_z 1
		.amdhsa_system_sgpr_workgroup_info 0
		.amdhsa_system_vgpr_workitem_id 0
		.amdhsa_next_free_vgpr 45
		.amdhsa_next_free_sgpr 34
		.amdhsa_accum_offset 44
		.amdhsa_reserve_vcc 1
		.amdhsa_reserve_flat_scratch 1
		.amdhsa_float_round_mode_32 0
		.amdhsa_float_round_mode_16_64 0
		.amdhsa_float_denorm_mode_32 3
		.amdhsa_float_denorm_mode_16_64 3
		.amdhsa_dx10_clamp 1
		.amdhsa_ieee_mode 1
		.amdhsa_fp16_overflow 0
		.amdhsa_tg_split 0
		.amdhsa_exception_fp_ieee_invalid_op 0
		.amdhsa_exception_fp_denorm_src 0
		.amdhsa_exception_fp_ieee_div_zero 0
		.amdhsa_exception_fp_ieee_overflow 0
		.amdhsa_exception_fp_ieee_underflow 0
		.amdhsa_exception_fp_ieee_inexact 0
		.amdhsa_exception_int_div_zero 0
	.end_amdhsa_kernel
	.section	.text._Z39paged_attention_ll4mi_QKV_mfma16_kernelI14__hip_bfloat16hLN4vllm18Fp8KVCacheDataTypeE1ES0_Li16ELi128ELi256ELb0ELi1EL8MFMAType1EEvPKT_PKT0_S9_ifPKiSB_SB_iPKfiiiPfSE_PS4_PT2_iSD_SD_,"axG",@progbits,_Z39paged_attention_ll4mi_QKV_mfma16_kernelI14__hip_bfloat16hLN4vllm18Fp8KVCacheDataTypeE1ES0_Li16ELi128ELi256ELb0ELi1EL8MFMAType1EEvPKT_PKT0_S9_ifPKiSB_SB_iPKfiiiPfSE_PS4_PT2_iSD_SD_,comdat
.Lfunc_end790:
	.size	_Z39paged_attention_ll4mi_QKV_mfma16_kernelI14__hip_bfloat16hLN4vllm18Fp8KVCacheDataTypeE1ES0_Li16ELi128ELi256ELb0ELi1EL8MFMAType1EEvPKT_PKT0_S9_ifPKiSB_SB_iPKfiiiPfSE_PS4_PT2_iSD_SD_, .Lfunc_end790-_Z39paged_attention_ll4mi_QKV_mfma16_kernelI14__hip_bfloat16hLN4vllm18Fp8KVCacheDataTypeE1ES0_Li16ELi128ELi256ELb0ELi1EL8MFMAType1EEvPKT_PKT0_S9_ifPKiSB_SB_iPKfiiiPfSE_PS4_PT2_iSD_SD_
                                        ; -- End function
	.section	.AMDGPU.csdata,"",@progbits
; Kernel info:
; codeLenInByte = 448
; NumSgprs: 40
; NumVgprs: 42
; NumAgprs: 1
; TotalNumVgprs: 45
; ScratchSize: 64
; MemoryBound: 0
; FloatMode: 240
; IeeeMode: 1
; LDSByteSize: 8192 bytes/workgroup (compile time only)
; SGPRBlocks: 4
; VGPRBlocks: 5
; NumSGPRsForWavesPerEU: 40
; NumVGPRsForWavesPerEU: 45
; AccumOffset: 44
; Occupancy: 8
; WaveLimiterHint : 1
; COMPUTE_PGM_RSRC2:SCRATCH_EN: 1
; COMPUTE_PGM_RSRC2:USER_SGPR: 8
; COMPUTE_PGM_RSRC2:TRAP_HANDLER: 0
; COMPUTE_PGM_RSRC2:TGID_X_EN: 1
; COMPUTE_PGM_RSRC2:TGID_Y_EN: 1
; COMPUTE_PGM_RSRC2:TGID_Z_EN: 1
; COMPUTE_PGM_RSRC2:TIDIG_COMP_CNT: 0
; COMPUTE_PGM_RSRC3_GFX90A:ACCUM_OFFSET: 10
; COMPUTE_PGM_RSRC3_GFX90A:TG_SPLIT: 0
	.section	.text._Z39paged_attention_ll4mi_QKV_mfma16_kernelI14__hip_bfloat16hLN4vllm18Fp8KVCacheDataTypeE1ES0_Li16ELi128ELi256ELb0ELi2EL8MFMAType1EEvPKT_PKT0_S9_ifPKiSB_SB_iPKfiiiPfSE_PS4_PT2_iSD_SD_,"axG",@progbits,_Z39paged_attention_ll4mi_QKV_mfma16_kernelI14__hip_bfloat16hLN4vllm18Fp8KVCacheDataTypeE1ES0_Li16ELi128ELi256ELb0ELi2EL8MFMAType1EEvPKT_PKT0_S9_ifPKiSB_SB_iPKfiiiPfSE_PS4_PT2_iSD_SD_,comdat
	.protected	_Z39paged_attention_ll4mi_QKV_mfma16_kernelI14__hip_bfloat16hLN4vllm18Fp8KVCacheDataTypeE1ES0_Li16ELi128ELi256ELb0ELi2EL8MFMAType1EEvPKT_PKT0_S9_ifPKiSB_SB_iPKfiiiPfSE_PS4_PT2_iSD_SD_ ; -- Begin function _Z39paged_attention_ll4mi_QKV_mfma16_kernelI14__hip_bfloat16hLN4vllm18Fp8KVCacheDataTypeE1ES0_Li16ELi128ELi256ELb0ELi2EL8MFMAType1EEvPKT_PKT0_S9_ifPKiSB_SB_iPKfiiiPfSE_PS4_PT2_iSD_SD_
	.globl	_Z39paged_attention_ll4mi_QKV_mfma16_kernelI14__hip_bfloat16hLN4vllm18Fp8KVCacheDataTypeE1ES0_Li16ELi128ELi256ELb0ELi2EL8MFMAType1EEvPKT_PKT0_S9_ifPKiSB_SB_iPKfiiiPfSE_PS4_PT2_iSD_SD_
	.p2align	8
	.type	_Z39paged_attention_ll4mi_QKV_mfma16_kernelI14__hip_bfloat16hLN4vllm18Fp8KVCacheDataTypeE1ES0_Li16ELi128ELi256ELb0ELi2EL8MFMAType1EEvPKT_PKT0_S9_ifPKiSB_SB_iPKfiiiPfSE_PS4_PT2_iSD_SD_,@function
_Z39paged_attention_ll4mi_QKV_mfma16_kernelI14__hip_bfloat16hLN4vllm18Fp8KVCacheDataTypeE1ES0_Li16ELi128ELi256ELb0ELi2EL8MFMAType1EEvPKT_PKT0_S9_ifPKiSB_SB_iPKfiiiPfSE_PS4_PT2_iSD_SD_: ; @_Z39paged_attention_ll4mi_QKV_mfma16_kernelI14__hip_bfloat16hLN4vllm18Fp8KVCacheDataTypeE1ES0_Li16ELi128ELi256ELb0ELi2EL8MFMAType1EEvPKT_PKT0_S9_ifPKiSB_SB_iPKfiiiPfSE_PS4_PT2_iSD_SD_
; %bb.0:
	s_load_dwordx2 s[12:13], s[4:5], 0x30
	s_add_u32 flat_scratch_lo, s6, s11
	s_addc_u32 flat_scratch_hi, s7, 0
	s_add_u32 s0, s0, s11
	s_addc_u32 s1, s1, 0
	s_waitcnt lgkmcnt(0)
	s_cmp_lg_u64 s[12:13], 0
	s_cselect_b64 s[14:15], -1, 0
	s_mov_b32 s6, s9
	s_mov_b64 s[16:17], 0
	s_and_b64 vcc, exec, s[14:15]
	s_mov_b32 s32, 0
	s_cbranch_vccz .LBB791_11
; %bb.1:
	s_add_i32 s18, s8, 1
	s_mov_b32 s19, 0
	s_lshl_b64 s[20:21], s[18:19], 2
	s_add_u32 s20, s12, s20
	s_mov_b32 s9, s19
	s_addc_u32 s21, s13, s21
	s_lshl_b64 s[18:19], s[8:9], 2
	s_add_u32 s18, s12, s18
	s_addc_u32 s19, s13, s19
	s_load_dword s7, s[20:21], 0x0
	s_load_dword s11, s[18:19], 0x0
	s_waitcnt lgkmcnt(0)
	s_sub_i32 s7, s7, s11
	s_cmp_eq_u32 s7, 1
	s_cselect_b64 s[18:19], -1, 0
	s_andn2_b64 vcc, exec, s[16:17]
	s_cbranch_vccnz .LBB791_3
.LBB791_2:
	s_mov_b32 s9, 0
	s_mov_b64 s[18:19], -1
.LBB791_3:
	s_andn2_b64 vcc, exec, s[18:19]
	s_cbranch_vccnz .LBB791_10
; %bb.4:
	s_load_dwordx2 s[18:19], s[4:5], 0x28
	s_lshl_b64 s[16:17], s[8:9], 2
	s_waitcnt lgkmcnt(0)
	s_add_u32 s18, s18, s16
	s_addc_u32 s19, s19, s17
	s_load_dword s7, s[18:19], 0x0
	s_lshl_b32 s6, s6, 8
	s_waitcnt lgkmcnt(0)
	s_cmp_ge_i32 s6, s7
	s_cbranch_scc1 .LBB791_10
; %bb.5:
	s_andn2_b64 vcc, exec, s[14:15]
	s_cbranch_vccnz .LBB791_7
; %bb.6:
	s_add_u32 s6, s12, s16
	s_addc_u32 s7, s13, s17
	s_load_dword s8, s[6:7], 0x0
.LBB791_7:
	v_cmp_gt_u32_e32 vcc, 32, v0
	s_and_saveexec_b64 s[6:7], vcc
	s_cbranch_execz .LBB791_9
; %bb.8:
	s_load_dword s11, s[4:5], 0x48
	s_load_dwordx2 s[12:13], s[4:5], 0x0
	v_lshrrev_b32_e32 v6, 4, v0
	v_and_b32_e32 v1, 15, v0
	v_lshlrev_b32_e32 v1, 4, v1
	s_waitcnt lgkmcnt(0)
	s_ashr_i32 s9, s11, 31
	s_mul_hi_u32 s14, s8, s11
	s_mul_i32 s9, s8, s9
	s_add_i32 s9, s14, s9
	s_mul_i32 s8, s8, s11
	s_lshl_b64 s[8:9], s[8:9], 1
	s_add_u32 s8, s12, s8
	s_addc_u32 s9, s13, s9
	s_lshl_b32 s10, s10, 8
	v_lshl_or_b32 v2, v6, 7, s10
	v_ashrrev_i32_e32 v3, 31, v2
	v_lshlrev_b64 v[2:3], 1, v[2:3]
	v_mov_b32_e32 v4, s9
	v_add_co_u32_e32 v2, vcc, s8, v2
	v_addc_co_u32_e32 v3, vcc, v4, v3, vcc
	v_add_co_u32_e32 v2, vcc, v2, v1
	v_addc_co_u32_e32 v3, vcc, 0, v3, vcc
	global_load_dwordx4 v[2:5], v[2:3], off
	v_lshlrev_b32_e32 v1, 4, v0
	v_lshlrev_b32_e32 v0, 8, v0
	v_and_b32_e32 v1, 16, v1
	v_lshlrev_b32_e32 v6, 5, v6
	v_and_b32_e32 v0, 0xe00, v0
	v_or3_b32 v0, v0, v6, v1
	s_waitcnt vmcnt(0)
	ds_write_b128 v0, v[2:5]
.LBB791_9:
	s_or_b64 exec, exec, s[6:7]
	s_waitcnt lgkmcnt(0)
	s_add_u32 s8, s4, 0x90
	s_addc_u32 s9, s5, 0
	s_getpc_b64 s[4:5]
	s_add_u32 s4, s4, __PRETTY_FUNCTION__._Z39paged_attention_ll4mi_QKV_mfma16_kernelI14__hip_bfloat16hLN4vllm18Fp8KVCacheDataTypeE1ES0_Li16ELi128ELi256ELb0ELi2EL8MFMAType1EEvPKT_PKT0_S9_ifPKiSB_SB_iPKfiiiPfSE_PS4_PT2_iSD_SD_@rel32@lo+4
	s_addc_u32 s5, s5, __PRETTY_FUNCTION__._Z39paged_attention_ll4mi_QKV_mfma16_kernelI14__hip_bfloat16hLN4vllm18Fp8KVCacheDataTypeE1ES0_Li16ELi128ELi256ELb0ELi2EL8MFMAType1EEvPKT_PKT0_S9_ifPKiSB_SB_iPKfiiiPfSE_PS4_PT2_iSD_SD_@rel32@hi+12
	v_mov_b32_e32 v0, 0x288
	v_mov_b32_e32 v1, s4
	;; [unrolled: 1-line block ×3, first 2 shown]
	s_barrier
	s_getpc_b64 s[6:7]
	s_add_u32 s6, s6, __assert_fail@rel32@lo+4
	s_addc_u32 s7, s7, __assert_fail@rel32@hi+12
	s_swappc_b64 s[30:31], s[6:7]
	; divergent unreachable
.LBB791_10:
	s_endpgm
.LBB791_11:
	s_mov_b64 s[18:19], 0
	s_branch .LBB791_2
	.section	.rodata,"a",@progbits
	.p2align	6, 0x0
	.amdhsa_kernel _Z39paged_attention_ll4mi_QKV_mfma16_kernelI14__hip_bfloat16hLN4vllm18Fp8KVCacheDataTypeE1ES0_Li16ELi128ELi256ELb0ELi2EL8MFMAType1EEvPKT_PKT0_S9_ifPKiSB_SB_iPKfiiiPfSE_PS4_PT2_iSD_SD_
		.amdhsa_group_segment_fixed_size 8192
		.amdhsa_private_segment_fixed_size 64
		.amdhsa_kernarg_size 400
		.amdhsa_user_sgpr_count 8
		.amdhsa_user_sgpr_private_segment_buffer 1
		.amdhsa_user_sgpr_dispatch_ptr 0
		.amdhsa_user_sgpr_queue_ptr 0
		.amdhsa_user_sgpr_kernarg_segment_ptr 1
		.amdhsa_user_sgpr_dispatch_id 0
		.amdhsa_user_sgpr_flat_scratch_init 1
		.amdhsa_user_sgpr_kernarg_preload_length 0
		.amdhsa_user_sgpr_kernarg_preload_offset 0
		.amdhsa_user_sgpr_private_segment_size 0
		.amdhsa_uses_dynamic_stack 0
		.amdhsa_system_sgpr_private_segment_wavefront_offset 1
		.amdhsa_system_sgpr_workgroup_id_x 1
		.amdhsa_system_sgpr_workgroup_id_y 1
		.amdhsa_system_sgpr_workgroup_id_z 1
		.amdhsa_system_sgpr_workgroup_info 0
		.amdhsa_system_vgpr_workitem_id 0
		.amdhsa_next_free_vgpr 45
		.amdhsa_next_free_sgpr 34
		.amdhsa_accum_offset 44
		.amdhsa_reserve_vcc 1
		.amdhsa_reserve_flat_scratch 1
		.amdhsa_float_round_mode_32 0
		.amdhsa_float_round_mode_16_64 0
		.amdhsa_float_denorm_mode_32 3
		.amdhsa_float_denorm_mode_16_64 3
		.amdhsa_dx10_clamp 1
		.amdhsa_ieee_mode 1
		.amdhsa_fp16_overflow 0
		.amdhsa_tg_split 0
		.amdhsa_exception_fp_ieee_invalid_op 0
		.amdhsa_exception_fp_denorm_src 0
		.amdhsa_exception_fp_ieee_div_zero 0
		.amdhsa_exception_fp_ieee_overflow 0
		.amdhsa_exception_fp_ieee_underflow 0
		.amdhsa_exception_fp_ieee_inexact 0
		.amdhsa_exception_int_div_zero 0
	.end_amdhsa_kernel
	.section	.text._Z39paged_attention_ll4mi_QKV_mfma16_kernelI14__hip_bfloat16hLN4vllm18Fp8KVCacheDataTypeE1ES0_Li16ELi128ELi256ELb0ELi2EL8MFMAType1EEvPKT_PKT0_S9_ifPKiSB_SB_iPKfiiiPfSE_PS4_PT2_iSD_SD_,"axG",@progbits,_Z39paged_attention_ll4mi_QKV_mfma16_kernelI14__hip_bfloat16hLN4vllm18Fp8KVCacheDataTypeE1ES0_Li16ELi128ELi256ELb0ELi2EL8MFMAType1EEvPKT_PKT0_S9_ifPKiSB_SB_iPKfiiiPfSE_PS4_PT2_iSD_SD_,comdat
.Lfunc_end791:
	.size	_Z39paged_attention_ll4mi_QKV_mfma16_kernelI14__hip_bfloat16hLN4vllm18Fp8KVCacheDataTypeE1ES0_Li16ELi128ELi256ELb0ELi2EL8MFMAType1EEvPKT_PKT0_S9_ifPKiSB_SB_iPKfiiiPfSE_PS4_PT2_iSD_SD_, .Lfunc_end791-_Z39paged_attention_ll4mi_QKV_mfma16_kernelI14__hip_bfloat16hLN4vllm18Fp8KVCacheDataTypeE1ES0_Li16ELi128ELi256ELb0ELi2EL8MFMAType1EEvPKT_PKT0_S9_ifPKiSB_SB_iPKfiiiPfSE_PS4_PT2_iSD_SD_
                                        ; -- End function
	.section	.AMDGPU.csdata,"",@progbits
; Kernel info:
; codeLenInByte = 488
; NumSgprs: 40
; NumVgprs: 42
; NumAgprs: 1
; TotalNumVgprs: 45
; ScratchSize: 64
; MemoryBound: 0
; FloatMode: 240
; IeeeMode: 1
; LDSByteSize: 8192 bytes/workgroup (compile time only)
; SGPRBlocks: 4
; VGPRBlocks: 5
; NumSGPRsForWavesPerEU: 40
; NumVGPRsForWavesPerEU: 45
; AccumOffset: 44
; Occupancy: 8
; WaveLimiterHint : 1
; COMPUTE_PGM_RSRC2:SCRATCH_EN: 1
; COMPUTE_PGM_RSRC2:USER_SGPR: 8
; COMPUTE_PGM_RSRC2:TRAP_HANDLER: 0
; COMPUTE_PGM_RSRC2:TGID_X_EN: 1
; COMPUTE_PGM_RSRC2:TGID_Y_EN: 1
; COMPUTE_PGM_RSRC2:TGID_Z_EN: 1
; COMPUTE_PGM_RSRC2:TIDIG_COMP_CNT: 0
; COMPUTE_PGM_RSRC3_GFX90A:ACCUM_OFFSET: 10
; COMPUTE_PGM_RSRC3_GFX90A:TG_SPLIT: 0
	.section	.text._Z39paged_attention_ll4mi_QKV_mfma16_kernelI14__hip_bfloat16hLN4vllm18Fp8KVCacheDataTypeE1ES0_Li16ELi128ELi256ELb0ELi3EL8MFMAType1EEvPKT_PKT0_S9_ifPKiSB_SB_iPKfiiiPfSE_PS4_PT2_iSD_SD_,"axG",@progbits,_Z39paged_attention_ll4mi_QKV_mfma16_kernelI14__hip_bfloat16hLN4vllm18Fp8KVCacheDataTypeE1ES0_Li16ELi128ELi256ELb0ELi3EL8MFMAType1EEvPKT_PKT0_S9_ifPKiSB_SB_iPKfiiiPfSE_PS4_PT2_iSD_SD_,comdat
	.protected	_Z39paged_attention_ll4mi_QKV_mfma16_kernelI14__hip_bfloat16hLN4vllm18Fp8KVCacheDataTypeE1ES0_Li16ELi128ELi256ELb0ELi3EL8MFMAType1EEvPKT_PKT0_S9_ifPKiSB_SB_iPKfiiiPfSE_PS4_PT2_iSD_SD_ ; -- Begin function _Z39paged_attention_ll4mi_QKV_mfma16_kernelI14__hip_bfloat16hLN4vllm18Fp8KVCacheDataTypeE1ES0_Li16ELi128ELi256ELb0ELi3EL8MFMAType1EEvPKT_PKT0_S9_ifPKiSB_SB_iPKfiiiPfSE_PS4_PT2_iSD_SD_
	.globl	_Z39paged_attention_ll4mi_QKV_mfma16_kernelI14__hip_bfloat16hLN4vllm18Fp8KVCacheDataTypeE1ES0_Li16ELi128ELi256ELb0ELi3EL8MFMAType1EEvPKT_PKT0_S9_ifPKiSB_SB_iPKfiiiPfSE_PS4_PT2_iSD_SD_
	.p2align	8
	.type	_Z39paged_attention_ll4mi_QKV_mfma16_kernelI14__hip_bfloat16hLN4vllm18Fp8KVCacheDataTypeE1ES0_Li16ELi128ELi256ELb0ELi3EL8MFMAType1EEvPKT_PKT0_S9_ifPKiSB_SB_iPKfiiiPfSE_PS4_PT2_iSD_SD_,@function
_Z39paged_attention_ll4mi_QKV_mfma16_kernelI14__hip_bfloat16hLN4vllm18Fp8KVCacheDataTypeE1ES0_Li16ELi128ELi256ELb0ELi3EL8MFMAType1EEvPKT_PKT0_S9_ifPKiSB_SB_iPKfiiiPfSE_PS4_PT2_iSD_SD_: ; @_Z39paged_attention_ll4mi_QKV_mfma16_kernelI14__hip_bfloat16hLN4vllm18Fp8KVCacheDataTypeE1ES0_Li16ELi128ELi256ELb0ELi3EL8MFMAType1EEvPKT_PKT0_S9_ifPKiSB_SB_iPKfiiiPfSE_PS4_PT2_iSD_SD_
; %bb.0:
	s_load_dwordx2 s[12:13], s[4:5], 0x30
	s_add_u32 flat_scratch_lo, s6, s11
	s_addc_u32 flat_scratch_hi, s7, 0
	s_add_u32 s0, s0, s11
	s_addc_u32 s1, s1, 0
	s_waitcnt lgkmcnt(0)
	s_cmp_lg_u64 s[12:13], 0
	s_cselect_b64 s[14:15], -1, 0
	s_mov_b32 s6, s9
	s_mov_b64 s[16:17], 0
	s_and_b64 vcc, exec, s[14:15]
	s_mov_b32 s32, 0
	s_cbranch_vccz .LBB792_11
; %bb.1:
	s_add_i32 s18, s8, 1
	s_mov_b32 s19, 0
	s_lshl_b64 s[20:21], s[18:19], 2
	s_add_u32 s20, s12, s20
	s_mov_b32 s9, s19
	s_addc_u32 s21, s13, s21
	s_lshl_b64 s[18:19], s[8:9], 2
	s_add_u32 s18, s12, s18
	s_addc_u32 s19, s13, s19
	s_load_dword s7, s[20:21], 0x0
	s_load_dword s11, s[18:19], 0x0
	s_waitcnt lgkmcnt(0)
	s_sub_i32 s7, s7, s11
	s_cmp_eq_u32 s7, 1
	s_cselect_b64 s[18:19], -1, 0
	s_andn2_b64 vcc, exec, s[16:17]
	s_cbranch_vccnz .LBB792_3
.LBB792_2:
	s_mov_b32 s9, 0
	s_mov_b64 s[18:19], -1
.LBB792_3:
	s_andn2_b64 vcc, exec, s[18:19]
	s_cbranch_vccnz .LBB792_10
; %bb.4:
	s_load_dwordx2 s[18:19], s[4:5], 0x28
	s_lshl_b64 s[16:17], s[8:9], 2
	s_waitcnt lgkmcnt(0)
	s_add_u32 s18, s18, s16
	s_addc_u32 s19, s19, s17
	s_load_dword s7, s[18:19], 0x0
	s_lshl_b32 s6, s6, 8
	s_waitcnt lgkmcnt(0)
	s_cmp_ge_i32 s6, s7
	s_cbranch_scc1 .LBB792_10
; %bb.5:
	s_andn2_b64 vcc, exec, s[14:15]
	s_cbranch_vccnz .LBB792_7
; %bb.6:
	s_add_u32 s6, s12, s16
	s_addc_u32 s7, s13, s17
	s_load_dword s8, s[6:7], 0x0
.LBB792_7:
	v_cmp_gt_u32_e32 vcc, 48, v0
	s_and_saveexec_b64 s[6:7], vcc
	s_cbranch_execz .LBB792_9
; %bb.8:
	s_load_dword s11, s[4:5], 0x48
	s_load_dwordx2 s[12:13], s[4:5], 0x0
	v_lshrrev_b32_e32 v1, 4, v0
	s_mul_i32 s10, s10, 3
	v_add_lshl_u32 v2, v1, s10, 7
	s_waitcnt lgkmcnt(0)
	s_ashr_i32 s9, s11, 31
	s_mul_hi_u32 s14, s8, s11
	s_mul_i32 s9, s8, s9
	s_add_i32 s9, s14, s9
	s_mul_i32 s8, s8, s11
	s_lshl_b64 s[8:9], s[8:9], 1
	s_add_u32 s8, s12, s8
	v_ashrrev_i32_e32 v3, 31, v2
	s_addc_u32 s9, s13, s9
	v_lshlrev_b64 v[2:3], 1, v[2:3]
	v_and_b32_e32 v4, 15, v0
	v_mov_b32_e32 v5, s9
	v_add_co_u32_e32 v2, vcc, s8, v2
	v_addc_co_u32_e32 v3, vcc, v5, v3, vcc
	v_lshlrev_b32_e32 v4, 4, v4
	v_add_co_u32_e32 v2, vcc, v2, v4
	v_addc_co_u32_e32 v3, vcc, 0, v3, vcc
	global_load_dwordx4 v[2:5], v[2:3], off
	v_lshlrev_b32_e32 v6, 4, v0
	v_lshlrev_b32_e32 v0, 8, v0
	v_and_b32_e32 v6, 16, v6
	v_lshlrev_b32_e32 v1, 5, v1
	v_and_b32_e32 v0, 0xe00, v0
	v_or3_b32 v0, v0, v1, v6
	s_waitcnt vmcnt(0)
	ds_write_b128 v0, v[2:5]
.LBB792_9:
	s_or_b64 exec, exec, s[6:7]
	s_waitcnt lgkmcnt(0)
	s_add_u32 s8, s4, 0x90
	s_addc_u32 s9, s5, 0
	s_getpc_b64 s[4:5]
	s_add_u32 s4, s4, __PRETTY_FUNCTION__._Z39paged_attention_ll4mi_QKV_mfma16_kernelI14__hip_bfloat16hLN4vllm18Fp8KVCacheDataTypeE1ES0_Li16ELi128ELi256ELb0ELi3EL8MFMAType1EEvPKT_PKT0_S9_ifPKiSB_SB_iPKfiiiPfSE_PS4_PT2_iSD_SD_@rel32@lo+4
	s_addc_u32 s5, s5, __PRETTY_FUNCTION__._Z39paged_attention_ll4mi_QKV_mfma16_kernelI14__hip_bfloat16hLN4vllm18Fp8KVCacheDataTypeE1ES0_Li16ELi128ELi256ELb0ELi3EL8MFMAType1EEvPKT_PKT0_S9_ifPKiSB_SB_iPKfiiiPfSE_PS4_PT2_iSD_SD_@rel32@hi+12
	v_mov_b32_e32 v0, 0x288
	v_mov_b32_e32 v1, s4
	;; [unrolled: 1-line block ×3, first 2 shown]
	s_barrier
	s_getpc_b64 s[6:7]
	s_add_u32 s6, s6, __assert_fail@rel32@lo+4
	s_addc_u32 s7, s7, __assert_fail@rel32@hi+12
	s_swappc_b64 s[30:31], s[6:7]
	; divergent unreachable
.LBB792_10:
	s_endpgm
.LBB792_11:
	s_mov_b64 s[18:19], 0
	s_branch .LBB792_2
	.section	.rodata,"a",@progbits
	.p2align	6, 0x0
	.amdhsa_kernel _Z39paged_attention_ll4mi_QKV_mfma16_kernelI14__hip_bfloat16hLN4vllm18Fp8KVCacheDataTypeE1ES0_Li16ELi128ELi256ELb0ELi3EL8MFMAType1EEvPKT_PKT0_S9_ifPKiSB_SB_iPKfiiiPfSE_PS4_PT2_iSD_SD_
		.amdhsa_group_segment_fixed_size 8192
		.amdhsa_private_segment_fixed_size 64
		.amdhsa_kernarg_size 400
		.amdhsa_user_sgpr_count 8
		.amdhsa_user_sgpr_private_segment_buffer 1
		.amdhsa_user_sgpr_dispatch_ptr 0
		.amdhsa_user_sgpr_queue_ptr 0
		.amdhsa_user_sgpr_kernarg_segment_ptr 1
		.amdhsa_user_sgpr_dispatch_id 0
		.amdhsa_user_sgpr_flat_scratch_init 1
		.amdhsa_user_sgpr_kernarg_preload_length 0
		.amdhsa_user_sgpr_kernarg_preload_offset 0
		.amdhsa_user_sgpr_private_segment_size 0
		.amdhsa_uses_dynamic_stack 0
		.amdhsa_system_sgpr_private_segment_wavefront_offset 1
		.amdhsa_system_sgpr_workgroup_id_x 1
		.amdhsa_system_sgpr_workgroup_id_y 1
		.amdhsa_system_sgpr_workgroup_id_z 1
		.amdhsa_system_sgpr_workgroup_info 0
		.amdhsa_system_vgpr_workitem_id 0
		.amdhsa_next_free_vgpr 45
		.amdhsa_next_free_sgpr 34
		.amdhsa_accum_offset 44
		.amdhsa_reserve_vcc 1
		.amdhsa_reserve_flat_scratch 1
		.amdhsa_float_round_mode_32 0
		.amdhsa_float_round_mode_16_64 0
		.amdhsa_float_denorm_mode_32 3
		.amdhsa_float_denorm_mode_16_64 3
		.amdhsa_dx10_clamp 1
		.amdhsa_ieee_mode 1
		.amdhsa_fp16_overflow 0
		.amdhsa_tg_split 0
		.amdhsa_exception_fp_ieee_invalid_op 0
		.amdhsa_exception_fp_denorm_src 0
		.amdhsa_exception_fp_ieee_div_zero 0
		.amdhsa_exception_fp_ieee_overflow 0
		.amdhsa_exception_fp_ieee_underflow 0
		.amdhsa_exception_fp_ieee_inexact 0
		.amdhsa_exception_int_div_zero 0
	.end_amdhsa_kernel
	.section	.text._Z39paged_attention_ll4mi_QKV_mfma16_kernelI14__hip_bfloat16hLN4vllm18Fp8KVCacheDataTypeE1ES0_Li16ELi128ELi256ELb0ELi3EL8MFMAType1EEvPKT_PKT0_S9_ifPKiSB_SB_iPKfiiiPfSE_PS4_PT2_iSD_SD_,"axG",@progbits,_Z39paged_attention_ll4mi_QKV_mfma16_kernelI14__hip_bfloat16hLN4vllm18Fp8KVCacheDataTypeE1ES0_Li16ELi128ELi256ELb0ELi3EL8MFMAType1EEvPKT_PKT0_S9_ifPKiSB_SB_iPKfiiiPfSE_PS4_PT2_iSD_SD_,comdat
.Lfunc_end792:
	.size	_Z39paged_attention_ll4mi_QKV_mfma16_kernelI14__hip_bfloat16hLN4vllm18Fp8KVCacheDataTypeE1ES0_Li16ELi128ELi256ELb0ELi3EL8MFMAType1EEvPKT_PKT0_S9_ifPKiSB_SB_iPKfiiiPfSE_PS4_PT2_iSD_SD_, .Lfunc_end792-_Z39paged_attention_ll4mi_QKV_mfma16_kernelI14__hip_bfloat16hLN4vllm18Fp8KVCacheDataTypeE1ES0_Li16ELi128ELi256ELb0ELi3EL8MFMAType1EEvPKT_PKT0_S9_ifPKiSB_SB_iPKfiiiPfSE_PS4_PT2_iSD_SD_
                                        ; -- End function
	.section	.AMDGPU.csdata,"",@progbits
; Kernel info:
; codeLenInByte = 488
; NumSgprs: 40
; NumVgprs: 42
; NumAgprs: 1
; TotalNumVgprs: 45
; ScratchSize: 64
; MemoryBound: 0
; FloatMode: 240
; IeeeMode: 1
; LDSByteSize: 8192 bytes/workgroup (compile time only)
; SGPRBlocks: 4
; VGPRBlocks: 5
; NumSGPRsForWavesPerEU: 40
; NumVGPRsForWavesPerEU: 45
; AccumOffset: 44
; Occupancy: 8
; WaveLimiterHint : 1
; COMPUTE_PGM_RSRC2:SCRATCH_EN: 1
; COMPUTE_PGM_RSRC2:USER_SGPR: 8
; COMPUTE_PGM_RSRC2:TRAP_HANDLER: 0
; COMPUTE_PGM_RSRC2:TGID_X_EN: 1
; COMPUTE_PGM_RSRC2:TGID_Y_EN: 1
; COMPUTE_PGM_RSRC2:TGID_Z_EN: 1
; COMPUTE_PGM_RSRC2:TIDIG_COMP_CNT: 0
; COMPUTE_PGM_RSRC3_GFX90A:ACCUM_OFFSET: 10
; COMPUTE_PGM_RSRC3_GFX90A:TG_SPLIT: 0
	.section	.text._Z39paged_attention_ll4mi_QKV_mfma16_kernelI14__hip_bfloat16hLN4vllm18Fp8KVCacheDataTypeE1ES0_Li16ELi128ELi256ELb0ELi4EL8MFMAType1EEvPKT_PKT0_S9_ifPKiSB_SB_iPKfiiiPfSE_PS4_PT2_iSD_SD_,"axG",@progbits,_Z39paged_attention_ll4mi_QKV_mfma16_kernelI14__hip_bfloat16hLN4vllm18Fp8KVCacheDataTypeE1ES0_Li16ELi128ELi256ELb0ELi4EL8MFMAType1EEvPKT_PKT0_S9_ifPKiSB_SB_iPKfiiiPfSE_PS4_PT2_iSD_SD_,comdat
	.protected	_Z39paged_attention_ll4mi_QKV_mfma16_kernelI14__hip_bfloat16hLN4vllm18Fp8KVCacheDataTypeE1ES0_Li16ELi128ELi256ELb0ELi4EL8MFMAType1EEvPKT_PKT0_S9_ifPKiSB_SB_iPKfiiiPfSE_PS4_PT2_iSD_SD_ ; -- Begin function _Z39paged_attention_ll4mi_QKV_mfma16_kernelI14__hip_bfloat16hLN4vllm18Fp8KVCacheDataTypeE1ES0_Li16ELi128ELi256ELb0ELi4EL8MFMAType1EEvPKT_PKT0_S9_ifPKiSB_SB_iPKfiiiPfSE_PS4_PT2_iSD_SD_
	.globl	_Z39paged_attention_ll4mi_QKV_mfma16_kernelI14__hip_bfloat16hLN4vllm18Fp8KVCacheDataTypeE1ES0_Li16ELi128ELi256ELb0ELi4EL8MFMAType1EEvPKT_PKT0_S9_ifPKiSB_SB_iPKfiiiPfSE_PS4_PT2_iSD_SD_
	.p2align	8
	.type	_Z39paged_attention_ll4mi_QKV_mfma16_kernelI14__hip_bfloat16hLN4vllm18Fp8KVCacheDataTypeE1ES0_Li16ELi128ELi256ELb0ELi4EL8MFMAType1EEvPKT_PKT0_S9_ifPKiSB_SB_iPKfiiiPfSE_PS4_PT2_iSD_SD_,@function
_Z39paged_attention_ll4mi_QKV_mfma16_kernelI14__hip_bfloat16hLN4vllm18Fp8KVCacheDataTypeE1ES0_Li16ELi128ELi256ELb0ELi4EL8MFMAType1EEvPKT_PKT0_S9_ifPKiSB_SB_iPKfiiiPfSE_PS4_PT2_iSD_SD_: ; @_Z39paged_attention_ll4mi_QKV_mfma16_kernelI14__hip_bfloat16hLN4vllm18Fp8KVCacheDataTypeE1ES0_Li16ELi128ELi256ELb0ELi4EL8MFMAType1EEvPKT_PKT0_S9_ifPKiSB_SB_iPKfiiiPfSE_PS4_PT2_iSD_SD_
; %bb.0:
	s_load_dwordx2 s[12:13], s[4:5], 0x30
	s_add_u32 flat_scratch_lo, s6, s11
	s_addc_u32 flat_scratch_hi, s7, 0
	s_add_u32 s0, s0, s11
	s_addc_u32 s1, s1, 0
	s_waitcnt lgkmcnt(0)
	s_cmp_lg_u64 s[12:13], 0
	s_cselect_b64 s[14:15], -1, 0
	s_mov_b32 s6, s9
	s_mov_b64 s[16:17], 0
	s_and_b64 vcc, exec, s[14:15]
	s_mov_b32 s32, 0
	s_cbranch_vccz .LBB793_11
; %bb.1:
	s_add_i32 s18, s8, 1
	s_mov_b32 s19, 0
	s_lshl_b64 s[20:21], s[18:19], 2
	s_add_u32 s20, s12, s20
	s_mov_b32 s9, s19
	s_addc_u32 s21, s13, s21
	s_lshl_b64 s[18:19], s[8:9], 2
	s_add_u32 s18, s12, s18
	s_addc_u32 s19, s13, s19
	s_load_dword s7, s[20:21], 0x0
	s_load_dword s11, s[18:19], 0x0
	s_waitcnt lgkmcnt(0)
	s_sub_i32 s7, s7, s11
	s_cmp_eq_u32 s7, 1
	s_cselect_b64 s[18:19], -1, 0
	s_andn2_b64 vcc, exec, s[16:17]
	s_cbranch_vccnz .LBB793_3
.LBB793_2:
	s_mov_b32 s9, 0
	s_mov_b64 s[18:19], -1
.LBB793_3:
	s_andn2_b64 vcc, exec, s[18:19]
	s_cbranch_vccnz .LBB793_10
; %bb.4:
	s_load_dwordx2 s[18:19], s[4:5], 0x28
	s_lshl_b64 s[16:17], s[8:9], 2
	s_waitcnt lgkmcnt(0)
	s_add_u32 s18, s18, s16
	s_addc_u32 s19, s19, s17
	s_load_dword s7, s[18:19], 0x0
	s_lshl_b32 s6, s6, 8
	s_waitcnt lgkmcnt(0)
	s_cmp_ge_i32 s6, s7
	s_cbranch_scc1 .LBB793_10
; %bb.5:
	s_andn2_b64 vcc, exec, s[14:15]
	s_cbranch_vccnz .LBB793_7
; %bb.6:
	s_add_u32 s6, s12, s16
	s_addc_u32 s7, s13, s17
	s_load_dword s8, s[6:7], 0x0
.LBB793_7:
	v_cmp_gt_u32_e32 vcc, 64, v0
	s_and_saveexec_b64 s[6:7], vcc
	s_cbranch_execz .LBB793_9
; %bb.8:
	s_load_dword s11, s[4:5], 0x48
	s_load_dwordx2 s[12:13], s[4:5], 0x0
	v_lshrrev_b32_e32 v6, 4, v0
	v_and_b32_e32 v1, 15, v0
	v_lshlrev_b32_e32 v1, 4, v1
	s_waitcnt lgkmcnt(0)
	s_ashr_i32 s9, s11, 31
	s_mul_hi_u32 s14, s8, s11
	s_mul_i32 s9, s8, s9
	s_add_i32 s9, s14, s9
	s_mul_i32 s8, s8, s11
	s_lshl_b64 s[8:9], s[8:9], 1
	s_add_u32 s8, s12, s8
	s_addc_u32 s9, s13, s9
	s_lshl_b32 s10, s10, 9
	v_lshl_or_b32 v2, v6, 7, s10
	v_ashrrev_i32_e32 v3, 31, v2
	v_lshlrev_b64 v[2:3], 1, v[2:3]
	v_mov_b32_e32 v4, s9
	v_add_co_u32_e32 v2, vcc, s8, v2
	v_addc_co_u32_e32 v3, vcc, v4, v3, vcc
	v_add_co_u32_e32 v2, vcc, v2, v1
	v_addc_co_u32_e32 v3, vcc, 0, v3, vcc
	global_load_dwordx4 v[2:5], v[2:3], off
	v_lshlrev_b32_e32 v1, 4, v0
	v_lshlrev_b32_e32 v0, 8, v0
	v_and_b32_e32 v1, 16, v1
	v_lshlrev_b32_e32 v6, 5, v6
	v_and_b32_e32 v0, 0xe00, v0
	v_or3_b32 v0, v0, v6, v1
	s_waitcnt vmcnt(0)
	ds_write_b128 v0, v[2:5]
.LBB793_9:
	s_or_b64 exec, exec, s[6:7]
	s_waitcnt lgkmcnt(0)
	s_add_u32 s8, s4, 0x90
	s_addc_u32 s9, s5, 0
	s_getpc_b64 s[4:5]
	s_add_u32 s4, s4, __PRETTY_FUNCTION__._Z39paged_attention_ll4mi_QKV_mfma16_kernelI14__hip_bfloat16hLN4vllm18Fp8KVCacheDataTypeE1ES0_Li16ELi128ELi256ELb0ELi4EL8MFMAType1EEvPKT_PKT0_S9_ifPKiSB_SB_iPKfiiiPfSE_PS4_PT2_iSD_SD_@rel32@lo+4
	s_addc_u32 s5, s5, __PRETTY_FUNCTION__._Z39paged_attention_ll4mi_QKV_mfma16_kernelI14__hip_bfloat16hLN4vllm18Fp8KVCacheDataTypeE1ES0_Li16ELi128ELi256ELb0ELi4EL8MFMAType1EEvPKT_PKT0_S9_ifPKiSB_SB_iPKfiiiPfSE_PS4_PT2_iSD_SD_@rel32@hi+12
	v_mov_b32_e32 v0, 0x288
	v_mov_b32_e32 v1, s4
	;; [unrolled: 1-line block ×3, first 2 shown]
	s_barrier
	s_getpc_b64 s[6:7]
	s_add_u32 s6, s6, __assert_fail@rel32@lo+4
	s_addc_u32 s7, s7, __assert_fail@rel32@hi+12
	s_swappc_b64 s[30:31], s[6:7]
	; divergent unreachable
.LBB793_10:
	s_endpgm
.LBB793_11:
	s_mov_b64 s[18:19], 0
	s_branch .LBB793_2
	.section	.rodata,"a",@progbits
	.p2align	6, 0x0
	.amdhsa_kernel _Z39paged_attention_ll4mi_QKV_mfma16_kernelI14__hip_bfloat16hLN4vllm18Fp8KVCacheDataTypeE1ES0_Li16ELi128ELi256ELb0ELi4EL8MFMAType1EEvPKT_PKT0_S9_ifPKiSB_SB_iPKfiiiPfSE_PS4_PT2_iSD_SD_
		.amdhsa_group_segment_fixed_size 8192
		.amdhsa_private_segment_fixed_size 64
		.amdhsa_kernarg_size 400
		.amdhsa_user_sgpr_count 8
		.amdhsa_user_sgpr_private_segment_buffer 1
		.amdhsa_user_sgpr_dispatch_ptr 0
		.amdhsa_user_sgpr_queue_ptr 0
		.amdhsa_user_sgpr_kernarg_segment_ptr 1
		.amdhsa_user_sgpr_dispatch_id 0
		.amdhsa_user_sgpr_flat_scratch_init 1
		.amdhsa_user_sgpr_kernarg_preload_length 0
		.amdhsa_user_sgpr_kernarg_preload_offset 0
		.amdhsa_user_sgpr_private_segment_size 0
		.amdhsa_uses_dynamic_stack 0
		.amdhsa_system_sgpr_private_segment_wavefront_offset 1
		.amdhsa_system_sgpr_workgroup_id_x 1
		.amdhsa_system_sgpr_workgroup_id_y 1
		.amdhsa_system_sgpr_workgroup_id_z 1
		.amdhsa_system_sgpr_workgroup_info 0
		.amdhsa_system_vgpr_workitem_id 0
		.amdhsa_next_free_vgpr 45
		.amdhsa_next_free_sgpr 34
		.amdhsa_accum_offset 44
		.amdhsa_reserve_vcc 1
		.amdhsa_reserve_flat_scratch 1
		.amdhsa_float_round_mode_32 0
		.amdhsa_float_round_mode_16_64 0
		.amdhsa_float_denorm_mode_32 3
		.amdhsa_float_denorm_mode_16_64 3
		.amdhsa_dx10_clamp 1
		.amdhsa_ieee_mode 1
		.amdhsa_fp16_overflow 0
		.amdhsa_tg_split 0
		.amdhsa_exception_fp_ieee_invalid_op 0
		.amdhsa_exception_fp_denorm_src 0
		.amdhsa_exception_fp_ieee_div_zero 0
		.amdhsa_exception_fp_ieee_overflow 0
		.amdhsa_exception_fp_ieee_underflow 0
		.amdhsa_exception_fp_ieee_inexact 0
		.amdhsa_exception_int_div_zero 0
	.end_amdhsa_kernel
	.section	.text._Z39paged_attention_ll4mi_QKV_mfma16_kernelI14__hip_bfloat16hLN4vllm18Fp8KVCacheDataTypeE1ES0_Li16ELi128ELi256ELb0ELi4EL8MFMAType1EEvPKT_PKT0_S9_ifPKiSB_SB_iPKfiiiPfSE_PS4_PT2_iSD_SD_,"axG",@progbits,_Z39paged_attention_ll4mi_QKV_mfma16_kernelI14__hip_bfloat16hLN4vllm18Fp8KVCacheDataTypeE1ES0_Li16ELi128ELi256ELb0ELi4EL8MFMAType1EEvPKT_PKT0_S9_ifPKiSB_SB_iPKfiiiPfSE_PS4_PT2_iSD_SD_,comdat
.Lfunc_end793:
	.size	_Z39paged_attention_ll4mi_QKV_mfma16_kernelI14__hip_bfloat16hLN4vllm18Fp8KVCacheDataTypeE1ES0_Li16ELi128ELi256ELb0ELi4EL8MFMAType1EEvPKT_PKT0_S9_ifPKiSB_SB_iPKfiiiPfSE_PS4_PT2_iSD_SD_, .Lfunc_end793-_Z39paged_attention_ll4mi_QKV_mfma16_kernelI14__hip_bfloat16hLN4vllm18Fp8KVCacheDataTypeE1ES0_Li16ELi128ELi256ELb0ELi4EL8MFMAType1EEvPKT_PKT0_S9_ifPKiSB_SB_iPKfiiiPfSE_PS4_PT2_iSD_SD_
                                        ; -- End function
	.section	.AMDGPU.csdata,"",@progbits
; Kernel info:
; codeLenInByte = 488
; NumSgprs: 40
; NumVgprs: 42
; NumAgprs: 1
; TotalNumVgprs: 45
; ScratchSize: 64
; MemoryBound: 0
; FloatMode: 240
; IeeeMode: 1
; LDSByteSize: 8192 bytes/workgroup (compile time only)
; SGPRBlocks: 4
; VGPRBlocks: 5
; NumSGPRsForWavesPerEU: 40
; NumVGPRsForWavesPerEU: 45
; AccumOffset: 44
; Occupancy: 8
; WaveLimiterHint : 1
; COMPUTE_PGM_RSRC2:SCRATCH_EN: 1
; COMPUTE_PGM_RSRC2:USER_SGPR: 8
; COMPUTE_PGM_RSRC2:TRAP_HANDLER: 0
; COMPUTE_PGM_RSRC2:TGID_X_EN: 1
; COMPUTE_PGM_RSRC2:TGID_Y_EN: 1
; COMPUTE_PGM_RSRC2:TGID_Z_EN: 1
; COMPUTE_PGM_RSRC2:TIDIG_COMP_CNT: 0
; COMPUTE_PGM_RSRC3_GFX90A:ACCUM_OFFSET: 10
; COMPUTE_PGM_RSRC3_GFX90A:TG_SPLIT: 0
	.section	.text._Z38paged_attention_ll4mi_QKV_mfma4_kernelI14__hip_bfloat16hLN4vllm18Fp8KVCacheDataTypeE1ES0_Li32ELi128ELi256ELb1ELi1EEvPKT_PKT0_S8_ifPKiSA_SA_iPKfiiiPfSD_PS3_PT2_iSC_SC_,"axG",@progbits,_Z38paged_attention_ll4mi_QKV_mfma4_kernelI14__hip_bfloat16hLN4vllm18Fp8KVCacheDataTypeE1ES0_Li32ELi128ELi256ELb1ELi1EEvPKT_PKT0_S8_ifPKiSA_SA_iPKfiiiPfSD_PS3_PT2_iSC_SC_,comdat
	.protected	_Z38paged_attention_ll4mi_QKV_mfma4_kernelI14__hip_bfloat16hLN4vllm18Fp8KVCacheDataTypeE1ES0_Li32ELi128ELi256ELb1ELi1EEvPKT_PKT0_S8_ifPKiSA_SA_iPKfiiiPfSD_PS3_PT2_iSC_SC_ ; -- Begin function _Z38paged_attention_ll4mi_QKV_mfma4_kernelI14__hip_bfloat16hLN4vllm18Fp8KVCacheDataTypeE1ES0_Li32ELi128ELi256ELb1ELi1EEvPKT_PKT0_S8_ifPKiSA_SA_iPKfiiiPfSD_PS3_PT2_iSC_SC_
	.globl	_Z38paged_attention_ll4mi_QKV_mfma4_kernelI14__hip_bfloat16hLN4vllm18Fp8KVCacheDataTypeE1ES0_Li32ELi128ELi256ELb1ELi1EEvPKT_PKT0_S8_ifPKiSA_SA_iPKfiiiPfSD_PS3_PT2_iSC_SC_
	.p2align	8
	.type	_Z38paged_attention_ll4mi_QKV_mfma4_kernelI14__hip_bfloat16hLN4vllm18Fp8KVCacheDataTypeE1ES0_Li32ELi128ELi256ELb1ELi1EEvPKT_PKT0_S8_ifPKiSA_SA_iPKfiiiPfSD_PS3_PT2_iSC_SC_,@function
_Z38paged_attention_ll4mi_QKV_mfma4_kernelI14__hip_bfloat16hLN4vllm18Fp8KVCacheDataTypeE1ES0_Li32ELi128ELi256ELb1ELi1EEvPKT_PKT0_S8_ifPKiSA_SA_iPKfiiiPfSD_PS3_PT2_iSC_SC_: ; @_Z38paged_attention_ll4mi_QKV_mfma4_kernelI14__hip_bfloat16hLN4vllm18Fp8KVCacheDataTypeE1ES0_Li32ELi128ELi256ELb1ELi1EEvPKT_PKT0_S8_ifPKiSA_SA_iPKfiiiPfSD_PS3_PT2_iSC_SC_
; %bb.0:
	s_load_dwordx2 s[12:13], s[4:5], 0x30
	s_add_u32 s0, s0, s11
	s_addc_u32 s1, s1, 0
	s_mov_b32 s28, s9
	s_mov_b64 s[6:7], 0
	s_waitcnt lgkmcnt(0)
	s_cmp_lg_u64 s[12:13], 0
	s_cselect_b64 s[14:15], -1, 0
	s_and_b64 vcc, exec, s[14:15]
	s_cbranch_vccz .LBB794_10
; %bb.1:
	s_add_i32 s16, s8, 1
	s_mov_b32 s17, 0
	s_lshl_b64 s[18:19], s[16:17], 2
	s_add_u32 s18, s12, s18
	s_mov_b32 s9, s17
	s_addc_u32 s19, s13, s19
	s_lshl_b64 s[16:17], s[8:9], 2
	s_add_u32 s16, s12, s16
	s_addc_u32 s17, s13, s17
	s_load_dword s11, s[18:19], 0x0
	s_load_dword s20, s[16:17], 0x0
	s_waitcnt lgkmcnt(0)
	s_sub_i32 s11, s11, s20
	s_cmp_eq_u32 s11, 1
	s_cselect_b64 s[16:17], -1, 0
	s_andn2_b64 vcc, exec, s[6:7]
	s_cbranch_vccnz .LBB794_3
.LBB794_2:
	s_mov_b32 s9, 0
	s_mov_b64 s[16:17], -1
.LBB794_3:
	s_andn2_b64 vcc, exec, s[16:17]
	s_cbranch_vccnz .LBB794_1180
; %bb.4:
	s_load_dword s11, s[4:5], 0x9c
	s_load_dwordx2 s[6:7], s[4:5], 0x28
	s_add_u32 s34, s4, 0x90
	s_addc_u32 s35, s5, 0
	s_lshl_b64 s[24:25], s[8:9], 2
	s_waitcnt lgkmcnt(0)
	s_and_b32 s11, s11, 0xffff
	s_add_u32 s6, s6, s24
	s_addc_u32 s7, s7, s25
	s_load_dword s9, s[6:7], 0x0
	s_mul_i32 s11, s28, s11
	s_waitcnt lgkmcnt(0)
	s_cmp_ge_i32 s11, s9
	s_cbranch_scc1 .LBB794_1180
; %bb.5:
	v_and_b32_e32 v1, 0xc0, v0
	v_add_u32_e32 v7, s11, v1
	v_lshrrev_b32_e32 v42, 6, v0
	v_cmp_le_i32_e64 s[6:7], s9, v7
                                        ; implicit-def: $sgpr27
                                        ; implicit-def: $sgpr26
	s_and_saveexec_b64 s[16:17], s[6:7]
	s_xor_b64 s[16:17], exec, s[16:17]
	s_cbranch_execz .LBB794_7
; %bb.6:
	v_mul_u32_u24_e32 v1, 20, v42
	v_or_b32_e32 v1, 0x1400, v1
	v_mov_b32_e32 v2, 0x1450
	v_mov_b32_e32 v3, 0xff7fffff
	v_mad_u32_u24 v2, v42, 20, v2
	ds_write2_b32 v1, v3, v3 offset1:1
	v_mov_b32_e32 v1, 0
	ds_write2_b32 v2, v1, v1 offset1:1
	v_mov_b32_e32 v2, 0x1408
	s_mov_b32 s26, 0xff7fffff
	s_mov_b32 s27, 0
	v_mad_u32_u24 v2, v42, 20, v2
	v_mov_b32_e32 v4, 0x1458
	v_mad_u32_u24 v4, v42, 20, v4
	ds_write2_b32 v2, v3, v3 offset1:1
	ds_write2_b32 v4, v1, v1 offset1:1
                                        ; implicit-def: $vgpr7
.LBB794_7:
	s_or_saveexec_b64 s[36:37], s[16:17]
	s_load_dwordx2 s[30:31], s[4:5], 0x68
	s_load_dwordx4 s[20:23], s[4:5], 0x58
	s_load_dword s33, s[34:35], 0x4
	s_load_dwordx4 s[16:19], s[4:5], 0x80
	v_and_b32_e32 v1, 63, v0
	v_and_b32_e32 v43, 3, v0
	v_mov_b32_e32 v5, s27
	v_mov_b32_e32 v6, s26
	;; [unrolled: 1-line block ×5, first 2 shown]
	s_xor_b64 exec, exec, s[36:37]
	s_cbranch_execz .LBB794_787
; %bb.8:
	s_add_i32 s38, s9, 31
	s_load_dwordx2 s[26:27], s[4:5], 0x20
	s_load_dword s29, s[4:5], 0x38
	s_ashr_i32 s39, s38, 31
	s_lshr_b32 s39, s39, 27
	v_add_u32_e32 v44, s11, v0
	s_add_i32 s38, s38, s39
	v_ashrrev_i32_e32 v2, 31, v44
	s_ashr_i32 s38, s38, 5
	v_lshrrev_b32_e32 v2, 27, v2
	s_add_i32 s40, s38, -1
	v_add_u32_e32 v2, v44, v2
	s_waitcnt lgkmcnt(0)
	s_mul_i32 s38, s8, s29
	s_mov_b32 s39, 0
	v_ashrrev_i32_e32 v2, 5, v2
	v_mov_b32_e32 v3, s40
	v_cmp_gt_i32_e32 vcc, s9, v44
	s_lshl_b64 s[38:39], s[38:39], 2
	v_cndmask_b32_e32 v2, v3, v2, vcc
	s_add_u32 s26, s26, s38
	v_ashrrev_i32_e32 v3, 31, v2
	s_addc_u32 s27, s27, s39
	v_lshlrev_b64 v[2:3], 2, v[2:3]
	v_mov_b32_e32 v4, s27
	v_add_co_u32_e32 v2, vcc, s26, v2
	v_addc_co_u32_e32 v3, vcc, v4, v3, vcc
	v_ashrrev_i32_e32 v4, 31, v7
	v_lshrrev_b32_e32 v4, 27, v4
	v_add_u32_e32 v4, v7, v4
	v_ashrrev_i32_e32 v6, 5, v4
	v_min_i32_e32 v4, s40, v6
	v_ashrrev_i32_e32 v5, 31, v4
	v_lshlrev_b64 v[4:5], 2, v[4:5]
	v_add_u32_e32 v6, 1, v6
	v_mov_b32_e32 v7, s27
	v_add_co_u32_e32 v4, vcc, s26, v4
	v_min_i32_e32 v6, s40, v6
	v_addc_co_u32_e32 v5, vcc, v7, v5, vcc
	v_ashrrev_i32_e32 v7, 31, v6
	v_lshlrev_b64 v[6:7], 2, v[6:7]
	v_mov_b32_e32 v9, s27
	v_add_co_u32_e32 v8, vcc, s26, v6
	v_addc_co_u32_e32 v9, vcc, v9, v7, vcc
	global_load_dword v6, v[2:3], off
	global_load_dword v41, v[4:5], off
	;; [unrolled: 1-line block ×3, first 2 shown]
	s_load_dwordx2 s[38:39], s[4:5], 0x8
	s_andn2_b64 vcc, exec, s[14:15]
	s_cbranch_vccnz .LBB794_11
; %bb.9:
	s_add_u32 s12, s12, s24
	s_addc_u32 s13, s13, s25
	s_load_dword s11, s[12:13], 0x0
	s_branch .LBB794_12
.LBB794_10:
	s_mov_b64 s[16:17], 0
	s_branch .LBB794_2
.LBB794_11:
	s_mov_b32 s11, s8
.LBB794_12:
	s_load_dwordx2 s[14:15], s[4:5], 0x10
	s_load_dwordx4 s[24:27], s[4:5], 0x48
	v_cmp_eq_u32_e32 vcc, 0, v43
	s_mov_b32 s41, 0
	v_mov_b32_e32 v45, 0
	v_mov_b32_e32 v2, 0
	;; [unrolled: 1-line block ×5, first 2 shown]
	s_and_saveexec_b64 s[12:13], vcc
	s_cbranch_execz .LBB794_14
; %bb.13:
	s_load_dwordx2 s[42:43], s[4:5], 0x0
	s_waitcnt lgkmcnt(0)
	s_ashr_i32 s27, s24, 31
	s_mul_hi_u32 s29, s11, s24
	s_mul_i32 s27, s11, s27
	s_add_i32 s45, s29, s27
	s_mul_i32 s44, s11, s24
	s_lshl_b64 s[44:45], s[44:45], 1
	s_add_u32 s11, s42, s44
	s_addc_u32 s24, s43, s45
	s_lshl_b32 s40, s10, 7
	s_lshl_b64 s[40:41], s[40:41], 1
	s_add_u32 s40, s11, s40
	s_addc_u32 s41, s24, s41
	v_lshlrev_b32_e32 v2, 2, v1
	global_load_dwordx4 v[2:5], v2, s[40:41]
.LBB794_14:
	s_or_b64 exec, exec, s[12:13]
	s_waitcnt lgkmcnt(0)
	s_mul_i32 s24, s10, s26
	s_add_u32 s12, s24, s38
	s_addc_u32 s13, 0, s39
	v_pk_mov_b32 v[8:9], s[12:13], s[12:13] op_sel:[0,1]
	s_waitcnt vmcnt(2)
	v_mad_i64_i32 v[6:7], s[12:13], v6, s25, v[8:9]
	v_lshlrev_b32_e32 v8, 4, v0
	v_and_b32_e32 v8, 0x1f0, v8
	v_add_co_u32_e64 v38, s[12:13], v6, v8
	v_addc_co_u32_e64 v39, s[12:13], 0, v7, s[12:13]
	global_load_dwordx4 v[34:37], v[38:39], off
	global_load_dwordx4 v[30:33], v[38:39], off offset:512
	global_load_dwordx4 v[26:29], v[38:39], off offset:1024
	;; [unrolled: 1-line block ×7, first 2 shown]
	s_and_saveexec_b64 s[12:13], vcc
	s_cbranch_execz .LBB794_16
; %bb.15:
	s_load_dwordx2 s[26:27], s[4:5], 0x40
	s_mov_b32 s11, 0
	s_lshl_b64 s[38:39], s[10:11], 2
	s_waitcnt lgkmcnt(0)
	s_add_u32 s26, s26, s38
	s_addc_u32 s27, s27, s39
	s_load_dword s11, s[26:27], 0x0
	s_waitcnt lgkmcnt(0)
	v_mov_b32_e32 v45, s11
.LBB794_16:
	s_or_b64 exec, exec, s[12:13]
	s_waitcnt vmcnt(9)
	v_mul_hi_i32 v38, v41, s25
	v_ashrrev_i32_e32 v38, 31, v38
	v_lshrrev_b32_e32 v38, 29, v38
	v_mov_b32_e32 v39, 0
	s_add_u32 s11, s14, s24
	v_mad_i64_i32 v[46:47], s[12:13], v41, s25, v[38:39]
	s_addc_u32 s14, s15, 0
	v_and_b32_e32 v38, -8, v46
	v_mov_b32_e32 v41, s14
	v_add_co_u32_e64 v38, s[12:13], s11, v38
	v_addc_co_u32_e64 v41, s[12:13], v41, v47, s[12:13]
	v_lshlrev_b32_e32 v64, 5, v1
	v_add_co_u32_e64 v62, s[12:13], v38, v64
	s_waitcnt vmcnt(8)
	v_mul_hi_i32 v38, v40, s25
	v_ashrrev_i32_e32 v38, 31, v38
	v_lshrrev_b32_e32 v38, 29, v38
	v_addc_co_u32_e64 v63, s[12:13], 0, v41, s[12:13]
	v_mad_i64_i32 v[40:41], s[12:13], v40, s25, v[38:39]
	v_and_b32_e32 v38, -8, v40
	v_mov_b32_e32 v40, s14
	v_add_co_u32_e64 v38, s[12:13], s11, v38
	v_addc_co_u32_e64 v41, s[12:13], v40, v41, s[12:13]
	v_add_co_u32_e64 v40, s[12:13], v38, v64
	v_addc_co_u32_e64 v41, s[12:13], 0, v41, s[12:13]
	global_load_dwordx4 v[46:49], v[62:63], off offset:16
	global_load_dwordx4 v[50:53], v[62:63], off
	global_load_dwordx4 v[54:57], v[62:63], off offset:2064
	global_load_dwordx4 v[58:61], v[62:63], off offset:2048
	s_nop 0
	global_load_dwordx4 v[62:65], v[40:41], off
	global_load_dwordx4 v[66:69], v[40:41], off offset:16
	global_load_dwordx4 v[70:73], v[40:41], off offset:2048
	;; [unrolled: 1-line block ×3, first 2 shown]
	s_waitcnt vmcnt(15)
	v_cmp_ne_u16_sdwa s[12:13], v34, v39 src0_sel:BYTE_0 src1_sel:DWORD
	s_waitcnt vmcnt(6)
	buffer_store_dword v51, off, s[0:3], 0 offset:4
	buffer_store_dword v50, off, s[0:3], 0
	buffer_store_dword v53, off, s[0:3], 0 offset:12
	buffer_store_dword v52, off, s[0:3], 0 offset:8
	buffer_store_dword v47, off, s[0:3], 0 offset:20
	buffer_store_dword v46, off, s[0:3], 0 offset:16
	buffer_store_dword v49, off, s[0:3], 0 offset:28
	buffer_store_dword v48, off, s[0:3], 0 offset:24
	s_waitcnt vmcnt(12)
	buffer_store_dword v59, off, s[0:3], 0 offset:68
	buffer_store_dword v58, off, s[0:3], 0 offset:64
	;; [unrolled: 1-line block ×8, first 2 shown]
	s_waitcnt vmcnt(19)
	buffer_store_dword v63, off, s[0:3], 0 offset:36
	buffer_store_dword v62, off, s[0:3], 0 offset:32
	buffer_store_dword v65, off, s[0:3], 0 offset:44
	buffer_store_dword v64, off, s[0:3], 0 offset:40
	s_waitcnt vmcnt(22)
	buffer_store_dword v67, off, s[0:3], 0 offset:52
	buffer_store_dword v66, off, s[0:3], 0 offset:48
	buffer_store_dword v69, off, s[0:3], 0 offset:60
	buffer_store_dword v68, off, s[0:3], 0 offset:56
	;; [unrolled: 5-line block ×4, first 2 shown]
	v_mov_b32_e32 v46, 0
	s_and_saveexec_b64 s[14:15], s[12:13]
	s_cbranch_execz .LBB794_22
; %bb.17:
	s_movk_i32 s11, 0x80
	v_cmp_ne_u16_sdwa s[12:13], v34, s11 src0_sel:BYTE_0 src1_sel:DWORD
	v_mov_b32_e32 v46, 0xffff8000
	s_and_saveexec_b64 s[24:25], s[12:13]
	s_cbranch_execz .LBB794_21
; %bb.18:
	s_movk_i32 s11, 0x7f
	v_and_b32_e32 v38, 0x7f, v34
	v_cmp_ne_u32_e64 s[12:13], s11, v38
	v_mov_b32_e32 v46, 0x7f80
	s_and_saveexec_b64 s[26:27], s[12:13]
	s_cbranch_execz .LBB794_20
; %bb.19:
	v_and_b32_e32 v40, 7, v34
	v_ffbh_u32_e32 v40, v40
	v_min_u32_e32 v40, 32, v40
	v_lshrrev_b32_e32 v41, 3, v38
	v_subrev_u32_e32 v46, 28, v40
	v_sub_u32_e32 v40, 29, v40
	v_cmp_gt_u32_e64 s[12:13], 8, v38
	v_cndmask_b32_e64 v38, v41, v40, s[12:13]
	v_cndmask_b32_e64 v40, 0, v46, s[12:13]
	v_lshlrev_b64 v[40:41], v40, v[34:35]
	v_lshlrev_b32_e32 v40, 20, v40
	v_lshlrev_b32_e32 v41, 24, v34
	v_bfrev_b32_e32 v46, 60
	v_and_b32_e32 v40, 0x700000, v40
	v_and_b32_e32 v41, 0x80000000, v41
	v_lshl_add_u32 v38, v38, 23, v46
	v_or3_b32 v38, v41, v38, v40
	v_lshrrev_b32_e32 v46, 16, v38
.LBB794_20:
	s_or_b64 exec, exec, s[26:27]
.LBB794_21:
	s_or_b64 exec, exec, s[24:25]
.LBB794_22:
	s_or_b64 exec, exec, s[14:15]
	v_lshrrev_b16_e32 v38, 8, v34
	v_cmp_ne_u16_e64 s[12:13], 0, v38
	s_and_saveexec_b64 s[14:15], s[12:13]
	s_cbranch_execz .LBB794_28
; %bb.23:
	s_movk_i32 s11, 0x80
	v_cmp_ne_u16_e64 s[12:13], s11, v38
	v_mov_b32_e32 v39, 0xffff8000
	s_and_saveexec_b64 s[24:25], s[12:13]
	s_cbranch_execz .LBB794_27
; %bb.24:
	s_movk_i32 s11, 0x7f
	v_and_b32_e32 v40, 0x7f, v38
	v_cmp_ne_u32_e64 s[12:13], s11, v40
	v_mov_b32_e32 v39, 0x7f80
	s_and_saveexec_b64 s[26:27], s[12:13]
	s_cbranch_execz .LBB794_26
; %bb.25:
	v_and_b32_e32 v41, 7, v38
	v_ffbh_u32_e32 v39, v41
	v_min_u32_e32 v48, 32, v39
	v_subrev_u32_e32 v39, 28, v48
	v_lshlrev_b64 v[38:39], v39, v[38:39]
	v_lshrrev_b32_e32 v47, 3, v40
	v_sub_u32_e32 v39, 29, v48
	v_and_b32_e32 v38, 7, v38
	v_cmp_gt_u32_e64 s[12:13], 8, v40
	v_cndmask_b32_e64 v39, v47, v39, s[12:13]
	v_cndmask_b32_e64 v38, v41, v38, s[12:13]
	v_lshlrev_b32_e32 v40, 16, v34
	v_bfrev_b32_e32 v41, 60
	v_lshlrev_b32_e32 v38, 20, v38
	v_and_b32_e32 v40, 0x80000000, v40
	v_lshl_add_u32 v39, v39, 23, v41
	v_or3_b32 v38, v40, v39, v38
	v_lshrrev_b32_e32 v39, 16, v38
.LBB794_26:
	s_or_b64 exec, exec, s[26:27]
.LBB794_27:
	s_or_b64 exec, exec, s[24:25]
.LBB794_28:
	s_or_b64 exec, exec, s[14:15]
	s_movk_i32 s11, 0xff
	v_and_b32_sdwa v40, v34, s11 dst_sel:DWORD dst_unused:UNUSED_PAD src0_sel:WORD_1 src1_sel:DWORD
	v_lshrrev_b32_e32 v38, 16, v34
	v_cmp_ne_u16_e64 s[12:13], 0, v40
	v_mov_b32_e32 v41, 0
	v_mov_b32_e32 v47, 0
	s_and_saveexec_b64 s[14:15], s[12:13]
	s_cbranch_execz .LBB794_34
; %bb.29:
	s_movk_i32 s11, 0x80
	v_cmp_ne_u16_e64 s[12:13], s11, v40
	v_mov_b32_e32 v47, 0xffff8000
	s_and_saveexec_b64 s[24:25], s[12:13]
	s_cbranch_execz .LBB794_33
; %bb.30:
	v_bfe_u32 v40, v34, 16, 7
	s_movk_i32 s11, 0x7f
	v_cmp_ne_u32_e64 s[12:13], s11, v40
	v_mov_b32_e32 v47, 0x7f80
	s_and_saveexec_b64 s[26:27], s[12:13]
	s_cbranch_execz .LBB794_32
; %bb.31:
	v_and_b32_e32 v47, 7, v38
	v_ffbh_u32_e32 v48, v47
	v_min_u32_e32 v51, 32, v48
	v_subrev_u32_e32 v48, 28, v51
	v_lshlrev_b64 v[48:49], v48, v[38:39]
	v_and_b32_e32 v48, 7, v48
	v_cmp_gt_u32_e64 s[12:13], 8, v40
	v_lshrrev_b32_e32 v50, 3, v40
	v_sub_u32_e32 v38, 29, v51
	v_cndmask_b32_e64 v40, v47, v48, s[12:13]
	v_mov_b32_e32 v47, 24
	v_cndmask_b32_e64 v38, v50, v38, s[12:13]
	v_lshlrev_b32_sdwa v47, v47, v34 dst_sel:DWORD dst_unused:UNUSED_PAD src0_sel:DWORD src1_sel:WORD_1
	v_bfrev_b32_e32 v48, 60
	v_lshlrev_b32_e32 v40, 20, v40
	v_and_b32_e32 v47, 0x80000000, v47
	v_lshl_add_u32 v38, v38, 23, v48
	v_or3_b32 v38, v47, v38, v40
	v_lshrrev_b32_e32 v47, 16, v38
.LBB794_32:
	s_or_b64 exec, exec, s[26:27]
.LBB794_33:
	s_or_b64 exec, exec, s[24:25]
.LBB794_34:
	s_or_b64 exec, exec, s[14:15]
	s_mov_b32 s11, 0xffffff
	v_cmp_lt_u32_e64 s[12:13], s11, v34
	v_mov_b32_e32 v48, 0
	s_and_saveexec_b64 s[14:15], s[12:13]
	s_cbranch_execz .LBB794_40
; %bb.35:
	v_lshrrev_b32_e32 v38, 24, v34
	s_movk_i32 s11, 0x80
	v_cmp_ne_u32_e64 s[12:13], s11, v38
	v_mov_b32_e32 v48, 0xffff8000
	s_and_saveexec_b64 s[24:25], s[12:13]
	s_cbranch_execz .LBB794_39
; %bb.36:
	v_bfe_u32 v40, v34, 24, 7
	s_movk_i32 s11, 0x7f
	v_cmp_ne_u32_e64 s[12:13], s11, v40
	v_mov_b32_e32 v48, 0x7f80
	s_and_saveexec_b64 s[26:27], s[12:13]
	s_cbranch_execz .LBB794_38
; %bb.37:
	v_and_b32_e32 v50, 7, v38
	v_ffbh_u32_e32 v48, v50
	v_min_u32_e32 v52, 32, v48
	v_subrev_u32_e32 v48, 28, v52
	v_lshlrev_b64 v[48:49], v48, v[38:39]
	v_lshrrev_b32_e32 v51, 3, v40
	v_sub_u32_e32 v49, 29, v52
	v_and_b32_e32 v48, 7, v48
	v_cmp_gt_u32_e64 s[12:13], 8, v40
	v_cndmask_b32_e64 v40, v51, v49, s[12:13]
	v_cndmask_b32_e64 v48, v50, v48, s[12:13]
	v_lshlrev_b32_e32 v38, 24, v38
	v_bfrev_b32_e32 v49, 60
	v_lshlrev_b32_e32 v48, 20, v48
	v_and_b32_e32 v38, 0x80000000, v38
	v_lshl_add_u32 v40, v40, 23, v49
	v_or3_b32 v38, v38, v40, v48
	v_lshrrev_b32_e32 v48, 16, v38
.LBB794_38:
	s_or_b64 exec, exec, s[26:27]
.LBB794_39:
	s_or_b64 exec, exec, s[24:25]
.LBB794_40:
	s_or_b64 exec, exec, s[14:15]
	v_mov_b32_e32 v49, 0
	v_mov_b32_e32 v40, v35
	v_cmp_ne_u16_sdwa s[12:13], v35, v49 src0_sel:BYTE_0 src1_sel:DWORD
	v_mov_b32_e32 v50, 0
	s_and_saveexec_b64 s[14:15], s[12:13]
	s_cbranch_execz .LBB794_46
; %bb.41:
	s_movk_i32 s11, 0x80
	v_cmp_ne_u16_sdwa s[12:13], v35, s11 src0_sel:BYTE_0 src1_sel:DWORD
	v_mov_b32_e32 v50, 0xffff8000
	s_and_saveexec_b64 s[24:25], s[12:13]
	s_cbranch_execz .LBB794_45
; %bb.42:
	s_movk_i32 s11, 0x7f
	v_and_b32_e32 v38, 0x7f, v35
	v_cmp_ne_u32_e64 s[12:13], s11, v38
	v_mov_b32_e32 v50, 0x7f80
	s_and_saveexec_b64 s[26:27], s[12:13]
	s_cbranch_execz .LBB794_44
; %bb.43:
	v_and_b32_e32 v50, 7, v35
	v_ffbh_u32_e32 v50, v50
	v_min_u32_e32 v50, 32, v50
	v_lshrrev_b32_e32 v51, 3, v38
	v_subrev_u32_e32 v52, 28, v50
	v_sub_u32_e32 v50, 29, v50
	v_cmp_gt_u32_e64 s[12:13], 8, v38
	v_cndmask_b32_e64 v38, v51, v50, s[12:13]
	v_cndmask_b32_e64 v50, 0, v52, s[12:13]
	v_lshlrev_b64 v[50:51], v50, v[40:41]
	v_lshlrev_b32_e32 v41, 20, v50
	v_lshlrev_b32_e32 v50, 24, v40
	v_bfrev_b32_e32 v51, 60
	v_and_b32_e32 v41, 0x700000, v41
	v_and_b32_e32 v50, 0x80000000, v50
	v_lshl_add_u32 v38, v38, 23, v51
	v_or3_b32 v38, v50, v38, v41
	v_lshrrev_b32_e32 v50, 16, v38
.LBB794_44:
	s_or_b64 exec, exec, s[26:27]
.LBB794_45:
	s_or_b64 exec, exec, s[24:25]
.LBB794_46:
	s_or_b64 exec, exec, s[14:15]
	v_lshrrev_b16_e32 v38, 8, v40
	v_cmp_ne_u16_e64 s[12:13], 0, v38
	s_and_saveexec_b64 s[14:15], s[12:13]
	s_cbranch_execz .LBB794_52
; %bb.47:
	s_movk_i32 s11, 0x80
	v_cmp_ne_u16_e64 s[12:13], s11, v38
	v_mov_b32_e32 v49, 0xffff8000
	s_and_saveexec_b64 s[24:25], s[12:13]
	s_cbranch_execz .LBB794_51
; %bb.48:
	s_movk_i32 s11, 0x7f
	v_and_b32_e32 v41, 0x7f, v38
	v_cmp_ne_u32_e64 s[12:13], s11, v41
	v_mov_b32_e32 v49, 0x7f80
	s_and_saveexec_b64 s[26:27], s[12:13]
	s_cbranch_execz .LBB794_50
; %bb.49:
	v_and_b32_e32 v49, 7, v38
	v_ffbh_u32_e32 v52, v49
	v_min_u32_e32 v54, 32, v52
	v_subrev_u32_e32 v52, 28, v54
	v_lshlrev_b64 v[52:53], v52, v[38:39]
	v_lshrrev_b32_e32 v51, 3, v41
	v_sub_u32_e32 v38, 29, v54
	v_and_b32_e32 v52, 7, v52
	v_cmp_gt_u32_e64 s[12:13], 8, v41
	v_cndmask_b32_e64 v38, v51, v38, s[12:13]
	v_cndmask_b32_e64 v41, v49, v52, s[12:13]
	v_lshlrev_b32_e32 v40, 16, v40
	v_bfrev_b32_e32 v49, 60
	v_lshlrev_b32_e32 v41, 20, v41
	v_and_b32_e32 v40, 0x80000000, v40
	v_lshl_add_u32 v38, v38, 23, v49
	v_or3_b32 v38, v40, v38, v41
	v_lshrrev_b32_e32 v49, 16, v38
.LBB794_50:
	s_or_b64 exec, exec, s[26:27]
.LBB794_51:
	s_or_b64 exec, exec, s[24:25]
.LBB794_52:
	s_or_b64 exec, exec, s[14:15]
	s_movk_i32 s11, 0xff
	v_and_b32_sdwa v51, v35, s11 dst_sel:DWORD dst_unused:UNUSED_PAD src0_sel:WORD_1 src1_sel:DWORD
	v_lshrrev_b32_e32 v38, 16, v35
	v_cmp_ne_u16_e64 s[12:13], 0, v51
	v_mov_b32_e32 v40, 0
	v_mov_b32_e32 v41, 0
	s_and_saveexec_b64 s[14:15], s[12:13]
	s_cbranch_execz .LBB794_58
; %bb.53:
	s_movk_i32 s11, 0x80
	v_cmp_ne_u16_e64 s[12:13], s11, v51
	v_mov_b32_e32 v41, 0xffff8000
	s_and_saveexec_b64 s[24:25], s[12:13]
	s_cbranch_execz .LBB794_57
; %bb.54:
	v_bfe_u32 v51, v35, 16, 7
	s_movk_i32 s11, 0x7f
	v_cmp_ne_u32_e64 s[12:13], s11, v51
	v_mov_b32_e32 v41, 0x7f80
	s_and_saveexec_b64 s[26:27], s[12:13]
	s_cbranch_execz .LBB794_56
; %bb.55:
	v_and_b32_e32 v41, 7, v38
	v_ffbh_u32_e32 v52, v41
	v_min_u32_e32 v55, 32, v52
	v_subrev_u32_e32 v52, 28, v55
	v_lshlrev_b64 v[52:53], v52, v[38:39]
	v_lshrrev_b32_e32 v54, 3, v51
	v_sub_u32_e32 v38, 29, v55
	v_and_b32_e32 v52, 7, v52
	v_cmp_gt_u32_e64 s[12:13], 8, v51
	v_mov_b32_e32 v51, 24
	v_cndmask_b32_e64 v38, v54, v38, s[12:13]
	v_cndmask_b32_e64 v41, v41, v52, s[12:13]
	v_lshlrev_b32_sdwa v51, v51, v35 dst_sel:DWORD dst_unused:UNUSED_PAD src0_sel:DWORD src1_sel:WORD_1
	v_bfrev_b32_e32 v52, 60
	v_lshlrev_b32_e32 v41, 20, v41
	v_and_b32_e32 v51, 0x80000000, v51
	v_lshl_add_u32 v38, v38, 23, v52
	v_or3_b32 v38, v51, v38, v41
	v_lshrrev_b32_e32 v41, 16, v38
.LBB794_56:
	s_or_b64 exec, exec, s[26:27]
.LBB794_57:
	s_or_b64 exec, exec, s[24:25]
.LBB794_58:
	s_or_b64 exec, exec, s[14:15]
	s_mov_b32 s12, -1
	s_mov_b32 s13, 0xffffff
	v_cmp_lt_u64_e64 s[12:13], s[12:13], v[34:35]
	s_and_saveexec_b64 s[14:15], s[12:13]
	s_cbranch_execz .LBB794_64
; %bb.59:
	v_lshrrev_b32_e32 v34, 24, v35
	s_movk_i32 s11, 0x80
	v_cmp_ne_u32_e64 s[12:13], s11, v34
	v_mov_b32_e32 v40, 0xffff8000
	s_and_saveexec_b64 s[24:25], s[12:13]
	s_cbranch_execz .LBB794_63
; %bb.60:
	v_bfe_u32 v35, v35, 24, 7
	s_movk_i32 s11, 0x7f
	v_cmp_ne_u32_e64 s[12:13], s11, v35
	v_mov_b32_e32 v40, 0x7f80
	s_and_saveexec_b64 s[26:27], s[12:13]
	s_cbranch_execz .LBB794_62
; %bb.61:
	v_and_b32_e32 v38, 7, v34
	v_ffbh_u32_e32 v51, v38
	v_min_u32_e32 v51, 32, v51
	v_subrev_u32_e32 v52, 28, v51
	v_lshlrev_b64 v[52:53], v52, v[34:35]
	v_lshrrev_b32_e32 v40, 3, v35
	v_sub_u32_e32 v51, 29, v51
	v_and_b32_e32 v52, 7, v52
	v_cmp_gt_u32_e64 s[12:13], 8, v35
	v_cndmask_b32_e64 v35, v40, v51, s[12:13]
	v_cndmask_b32_e64 v38, v38, v52, s[12:13]
	v_lshlrev_b32_e32 v34, 24, v34
	v_bfrev_b32_e32 v40, 60
	v_lshlrev_b32_e32 v38, 20, v38
	v_and_b32_e32 v34, 0x80000000, v34
	v_lshl_add_u32 v35, v35, 23, v40
	v_or3_b32 v34, v34, v35, v38
	v_lshrrev_b32_e32 v40, 16, v34
.LBB794_62:
	s_or_b64 exec, exec, s[26:27]
.LBB794_63:
	s_or_b64 exec, exec, s[24:25]
.LBB794_64:
	s_or_b64 exec, exec, s[14:15]
	s_mov_b32 s11, 0x5040100
	v_perm_b32 v35, v48, v47, s11
	v_perm_b32 v34, v39, v46, s11
	;; [unrolled: 1-line block ×4, first 2 shown]
	v_mfma_f32_4x4x4bf16_1k a[0:3], v[2:3], v[34:35], 0 cbsz:4
	v_mov_b32_e32 v39, 0
	v_mfma_f32_4x4x4bf16_1k a[0:3], v[4:5], v[40:41], a[0:3] cbsz:4
	v_mov_b32_e32 v40, 0
	v_cmp_ne_u16_sdwa s[12:13], v36, v40 src0_sel:BYTE_0 src1_sel:DWORD
	s_and_saveexec_b64 s[14:15], s[12:13]
	s_cbranch_execz .LBB794_70
; %bb.65:
	s_movk_i32 s11, 0x80
	v_cmp_ne_u16_sdwa s[12:13], v36, s11 src0_sel:BYTE_0 src1_sel:DWORD
	v_mov_b32_e32 v39, 0xffff8000
	s_and_saveexec_b64 s[24:25], s[12:13]
	s_cbranch_execz .LBB794_69
; %bb.66:
	s_movk_i32 s11, 0x7f
	v_and_b32_e32 v34, 0x7f, v36
	v_cmp_ne_u32_e64 s[12:13], s11, v34
	v_mov_b32_e32 v39, 0x7f80
	s_and_saveexec_b64 s[26:27], s[12:13]
	s_cbranch_execz .LBB794_68
; %bb.67:
	v_and_b32_e32 v35, 7, v36
	v_ffbh_u32_e32 v35, v35
	v_min_u32_e32 v35, 32, v35
	v_subrev_u32_e32 v39, 28, v35
	v_cmp_gt_u32_e64 s[12:13], 8, v34
	v_lshrrev_b32_e32 v38, 3, v34
	v_sub_u32_e32 v35, 29, v35
	v_cndmask_b32_e64 v34, 0, v39, s[12:13]
	v_cndmask_b32_e64 v38, v38, v35, s[12:13]
	v_lshlrev_b64 v[34:35], v34, v[36:37]
	v_lshlrev_b32_e32 v34, 20, v34
	v_lshlrev_b32_e32 v35, 24, v36
	v_bfrev_b32_e32 v39, 60
	v_and_b32_e32 v34, 0x700000, v34
	v_and_b32_e32 v35, 0x80000000, v35
	v_lshl_add_u32 v38, v38, 23, v39
	v_or3_b32 v34, v35, v38, v34
	v_lshrrev_b32_e32 v39, 16, v34
.LBB794_68:
	s_or_b64 exec, exec, s[26:27]
.LBB794_69:
	s_or_b64 exec, exec, s[24:25]
.LBB794_70:
	s_or_b64 exec, exec, s[14:15]
	v_lshrrev_b16_e32 v34, 8, v36
	v_cmp_ne_u16_e64 s[12:13], 0, v34
	s_and_saveexec_b64 s[14:15], s[12:13]
	s_cbranch_execz .LBB794_76
; %bb.71:
	s_movk_i32 s11, 0x80
	v_cmp_ne_u16_e64 s[12:13], s11, v34
	v_mov_b32_e32 v40, 0xffff8000
	s_and_saveexec_b64 s[24:25], s[12:13]
	s_cbranch_execz .LBB794_75
; %bb.72:
	s_movk_i32 s11, 0x7f
	v_and_b32_e32 v35, 0x7f, v34
	v_cmp_ne_u32_e64 s[12:13], s11, v35
	v_mov_b32_e32 v40, 0x7f80
	s_and_saveexec_b64 s[26:27], s[12:13]
	s_cbranch_execz .LBB794_74
; %bb.73:
	v_and_b32_e32 v38, 7, v34
	v_ffbh_u32_e32 v40, v38
	v_min_u32_e32 v47, 32, v40
	v_subrev_u32_e32 v40, 28, v47
	v_lshlrev_b64 v[40:41], v40, v[34:35]
	v_lshrrev_b32_e32 v46, 3, v35
	v_sub_u32_e32 v34, 29, v47
	v_and_b32_e32 v40, 7, v40
	v_cmp_gt_u32_e64 s[12:13], 8, v35
	v_cndmask_b32_e64 v34, v46, v34, s[12:13]
	v_cndmask_b32_e64 v35, v38, v40, s[12:13]
	v_lshlrev_b32_e32 v38, 16, v36
	v_bfrev_b32_e32 v40, 60
	v_lshlrev_b32_e32 v35, 20, v35
	v_and_b32_e32 v38, 0x80000000, v38
	v_lshl_add_u32 v34, v34, 23, v40
	v_or3_b32 v34, v38, v34, v35
	v_lshrrev_b32_e32 v40, 16, v34
.LBB794_74:
	s_or_b64 exec, exec, s[26:27]
.LBB794_75:
	s_or_b64 exec, exec, s[24:25]
.LBB794_76:
	s_or_b64 exec, exec, s[14:15]
	s_movk_i32 s11, 0xff
	v_and_b32_sdwa v38, v36, s11 dst_sel:DWORD dst_unused:UNUSED_PAD src0_sel:WORD_1 src1_sel:DWORD
	v_lshrrev_b32_e32 v34, 16, v36
	v_cmp_ne_u16_e64 s[12:13], 0, v38
	v_mov_b32_e32 v35, 0
	v_mov_b32_e32 v41, 0
	s_and_saveexec_b64 s[14:15], s[12:13]
	s_cbranch_execz .LBB794_82
; %bb.77:
	s_movk_i32 s11, 0x80
	v_cmp_ne_u16_e64 s[12:13], s11, v38
	v_mov_b32_e32 v41, 0xffff8000
	s_and_saveexec_b64 s[24:25], s[12:13]
	s_cbranch_execz .LBB794_81
; %bb.78:
	v_bfe_u32 v38, v36, 16, 7
	s_movk_i32 s11, 0x7f
	v_cmp_ne_u32_e64 s[12:13], s11, v38
	v_mov_b32_e32 v41, 0x7f80
	s_and_saveexec_b64 s[26:27], s[12:13]
	s_cbranch_execz .LBB794_80
; %bb.79:
	v_and_b32_e32 v41, 7, v34
	v_ffbh_u32_e32 v46, v41
	v_min_u32_e32 v49, 32, v46
	v_subrev_u32_e32 v46, 28, v49
	v_lshlrev_b64 v[46:47], v46, v[34:35]
	v_and_b32_e32 v46, 7, v46
	v_cmp_gt_u32_e64 s[12:13], 8, v38
	v_lshrrev_b32_e32 v48, 3, v38
	v_sub_u32_e32 v34, 29, v49
	v_cndmask_b32_e64 v38, v41, v46, s[12:13]
	v_mov_b32_e32 v41, 24
	v_cndmask_b32_e64 v34, v48, v34, s[12:13]
	v_lshlrev_b32_sdwa v41, v41, v36 dst_sel:DWORD dst_unused:UNUSED_PAD src0_sel:DWORD src1_sel:WORD_1
	v_bfrev_b32_e32 v46, 60
	v_lshlrev_b32_e32 v38, 20, v38
	v_and_b32_e32 v41, 0x80000000, v41
	v_lshl_add_u32 v34, v34, 23, v46
	v_or3_b32 v34, v41, v34, v38
	v_lshrrev_b32_e32 v41, 16, v34
.LBB794_80:
	s_or_b64 exec, exec, s[26:27]
.LBB794_81:
	s_or_b64 exec, exec, s[24:25]
.LBB794_82:
	s_or_b64 exec, exec, s[14:15]
	s_mov_b32 s11, 0xffffff
	v_cmp_lt_u32_e64 s[12:13], s11, v36
	v_mov_b32_e32 v46, 0
	s_and_saveexec_b64 s[14:15], s[12:13]
	s_cbranch_execz .LBB794_88
; %bb.83:
	v_lshrrev_b32_e32 v34, 24, v36
	s_movk_i32 s11, 0x80
	v_cmp_ne_u32_e64 s[12:13], s11, v34
	v_mov_b32_e32 v46, 0xffff8000
	s_and_saveexec_b64 s[24:25], s[12:13]
	s_cbranch_execz .LBB794_87
; %bb.84:
	v_bfe_u32 v38, v36, 24, 7
	s_movk_i32 s11, 0x7f
	v_cmp_ne_u32_e64 s[12:13], s11, v38
	v_mov_b32_e32 v46, 0x7f80
	s_and_saveexec_b64 s[26:27], s[12:13]
	s_cbranch_execz .LBB794_86
; %bb.85:
	v_and_b32_e32 v48, 7, v34
	v_ffbh_u32_e32 v46, v48
	v_min_u32_e32 v50, 32, v46
	v_subrev_u32_e32 v46, 28, v50
	v_lshlrev_b64 v[46:47], v46, v[34:35]
	v_lshrrev_b32_e32 v49, 3, v38
	v_sub_u32_e32 v47, 29, v50
	v_and_b32_e32 v46, 7, v46
	v_cmp_gt_u32_e64 s[12:13], 8, v38
	v_cndmask_b32_e64 v38, v49, v47, s[12:13]
	v_cndmask_b32_e64 v46, v48, v46, s[12:13]
	v_lshlrev_b32_e32 v34, 24, v34
	v_bfrev_b32_e32 v47, 60
	v_lshlrev_b32_e32 v46, 20, v46
	v_and_b32_e32 v34, 0x80000000, v34
	v_lshl_add_u32 v38, v38, 23, v47
	v_or3_b32 v34, v34, v38, v46
	v_lshrrev_b32_e32 v46, 16, v34
.LBB794_86:
	s_or_b64 exec, exec, s[26:27]
.LBB794_87:
	s_or_b64 exec, exec, s[24:25]
.LBB794_88:
	s_or_b64 exec, exec, s[14:15]
	v_mov_b32_e32 v47, 0
	v_mov_b32_e32 v34, v37
	v_cmp_ne_u16_sdwa s[12:13], v37, v47 src0_sel:BYTE_0 src1_sel:DWORD
	v_mov_b32_e32 v48, 0
	s_and_saveexec_b64 s[14:15], s[12:13]
	s_cbranch_execz .LBB794_94
; %bb.89:
	s_movk_i32 s11, 0x80
	v_cmp_ne_u16_sdwa s[12:13], v37, s11 src0_sel:BYTE_0 src1_sel:DWORD
	v_mov_b32_e32 v48, 0xffff8000
	s_and_saveexec_b64 s[24:25], s[12:13]
	s_cbranch_execz .LBB794_93
; %bb.90:
	s_movk_i32 s11, 0x7f
	v_and_b32_e32 v38, 0x7f, v37
	v_cmp_ne_u32_e64 s[12:13], s11, v38
	v_mov_b32_e32 v48, 0x7f80
	s_and_saveexec_b64 s[26:27], s[12:13]
	s_cbranch_execz .LBB794_92
; %bb.91:
	v_and_b32_e32 v48, 7, v37
	v_ffbh_u32_e32 v48, v48
	v_min_u32_e32 v48, 32, v48
	v_lshrrev_b32_e32 v49, 3, v38
	v_subrev_u32_e32 v50, 28, v48
	v_sub_u32_e32 v48, 29, v48
	v_cmp_gt_u32_e64 s[12:13], 8, v38
	v_cndmask_b32_e64 v38, v49, v48, s[12:13]
	v_cndmask_b32_e64 v48, 0, v50, s[12:13]
	v_lshlrev_b64 v[48:49], v48, v[34:35]
	v_lshlrev_b32_e32 v35, 20, v48
	v_lshlrev_b32_e32 v48, 24, v34
	v_bfrev_b32_e32 v49, 60
	v_and_b32_e32 v35, 0x700000, v35
	v_and_b32_e32 v48, 0x80000000, v48
	v_lshl_add_u32 v38, v38, 23, v49
	v_or3_b32 v35, v48, v38, v35
	v_lshrrev_b32_e32 v48, 16, v35
.LBB794_92:
	s_or_b64 exec, exec, s[26:27]
.LBB794_93:
	s_or_b64 exec, exec, s[24:25]
.LBB794_94:
	s_or_b64 exec, exec, s[14:15]
	v_lshrrev_b16_e32 v38, 8, v34
	v_cmp_ne_u16_e64 s[12:13], 0, v38
	s_and_saveexec_b64 s[14:15], s[12:13]
	s_cbranch_execz .LBB794_100
; %bb.95:
	s_movk_i32 s11, 0x80
	v_cmp_ne_u16_e64 s[12:13], s11, v38
	v_mov_b32_e32 v47, 0xffff8000
	s_and_saveexec_b64 s[24:25], s[12:13]
	s_cbranch_execz .LBB794_99
; %bb.96:
	s_movk_i32 s11, 0x7f
	v_and_b32_e32 v35, 0x7f, v38
	v_cmp_ne_u32_e64 s[12:13], s11, v35
	v_mov_b32_e32 v47, 0x7f80
	s_and_saveexec_b64 s[26:27], s[12:13]
	s_cbranch_execz .LBB794_98
; %bb.97:
	v_and_b32_e32 v47, 7, v38
	v_ffbh_u32_e32 v50, v47
	v_min_u32_e32 v52, 32, v50
	v_subrev_u32_e32 v50, 28, v52
	v_lshlrev_b64 v[50:51], v50, v[38:39]
	v_lshrrev_b32_e32 v49, 3, v35
	v_sub_u32_e32 v38, 29, v52
	v_and_b32_e32 v50, 7, v50
	v_cmp_gt_u32_e64 s[12:13], 8, v35
	v_cndmask_b32_e64 v35, v49, v38, s[12:13]
	v_cndmask_b32_e64 v38, v47, v50, s[12:13]
	v_lshlrev_b32_e32 v34, 16, v34
	v_bfrev_b32_e32 v47, 60
	v_lshlrev_b32_e32 v38, 20, v38
	v_and_b32_e32 v34, 0x80000000, v34
	v_lshl_add_u32 v35, v35, 23, v47
	v_or3_b32 v34, v34, v35, v38
	v_lshrrev_b32_e32 v47, 16, v34
.LBB794_98:
	s_or_b64 exec, exec, s[26:27]
.LBB794_99:
	s_or_b64 exec, exec, s[24:25]
.LBB794_100:
	s_or_b64 exec, exec, s[14:15]
	s_movk_i32 s11, 0xff
	v_and_b32_sdwa v49, v37, s11 dst_sel:DWORD dst_unused:UNUSED_PAD src0_sel:WORD_1 src1_sel:DWORD
	v_lshrrev_b32_e32 v34, 16, v37
	v_cmp_ne_u16_e64 s[12:13], 0, v49
	v_mov_b32_e32 v35, 0
	v_mov_b32_e32 v38, 0
	s_and_saveexec_b64 s[14:15], s[12:13]
	s_cbranch_execz .LBB794_106
; %bb.101:
	s_movk_i32 s11, 0x80
	v_cmp_ne_u16_e64 s[12:13], s11, v49
	v_mov_b32_e32 v38, 0xffff8000
	s_and_saveexec_b64 s[24:25], s[12:13]
	s_cbranch_execz .LBB794_105
; %bb.102:
	v_bfe_u32 v49, v37, 16, 7
	s_movk_i32 s11, 0x7f
	v_cmp_ne_u32_e64 s[12:13], s11, v49
	v_mov_b32_e32 v38, 0x7f80
	s_and_saveexec_b64 s[26:27], s[12:13]
	s_cbranch_execz .LBB794_104
; %bb.103:
	v_and_b32_e32 v38, 7, v34
	v_ffbh_u32_e32 v50, v38
	v_min_u32_e32 v53, 32, v50
	v_subrev_u32_e32 v50, 28, v53
	v_lshlrev_b64 v[50:51], v50, v[34:35]
	v_lshrrev_b32_e32 v52, 3, v49
	v_sub_u32_e32 v34, 29, v53
	v_and_b32_e32 v50, 7, v50
	v_cmp_gt_u32_e64 s[12:13], 8, v49
	v_mov_b32_e32 v49, 24
	v_cndmask_b32_e64 v34, v52, v34, s[12:13]
	v_cndmask_b32_e64 v38, v38, v50, s[12:13]
	v_lshlrev_b32_sdwa v49, v49, v37 dst_sel:DWORD dst_unused:UNUSED_PAD src0_sel:DWORD src1_sel:WORD_1
	v_bfrev_b32_e32 v50, 60
	v_lshlrev_b32_e32 v38, 20, v38
	v_and_b32_e32 v49, 0x80000000, v49
	v_lshl_add_u32 v34, v34, 23, v50
	v_or3_b32 v34, v49, v34, v38
	v_lshrrev_b32_e32 v38, 16, v34
.LBB794_104:
	s_or_b64 exec, exec, s[26:27]
.LBB794_105:
	s_or_b64 exec, exec, s[24:25]
.LBB794_106:
	s_or_b64 exec, exec, s[14:15]
	s_mov_b32 s12, -1
	s_mov_b32 s13, 0xffffff
	v_cmp_lt_u64_e64 s[12:13], s[12:13], v[36:37]
	s_and_saveexec_b64 s[14:15], s[12:13]
	s_cbranch_execz .LBB794_112
; %bb.107:
	v_lshrrev_b32_e32 v34, 24, v37
	s_movk_i32 s11, 0x80
	v_cmp_ne_u32_e64 s[12:13], s11, v34
	v_mov_b32_e32 v35, 0xffff8000
	s_and_saveexec_b64 s[24:25], s[12:13]
	s_cbranch_execz .LBB794_111
; %bb.108:
	v_bfe_u32 v36, v37, 24, 7
	s_movk_i32 s11, 0x7f
	v_cmp_ne_u32_e64 s[12:13], s11, v36
	v_mov_b32_e32 v35, 0x7f80
	s_and_saveexec_b64 s[26:27], s[12:13]
	s_cbranch_execz .LBB794_110
; %bb.109:
	v_and_b32_e32 v35, 7, v34
	v_ffbh_u32_e32 v49, v35
	v_min_u32_e32 v49, 32, v49
	v_subrev_u32_e32 v50, 28, v49
	v_lshlrev_b64 v[50:51], v50, v[34:35]
	v_lshrrev_b32_e32 v37, 3, v36
	v_sub_u32_e32 v49, 29, v49
	v_and_b32_e32 v50, 7, v50
	v_cmp_gt_u32_e64 s[12:13], 8, v36
	v_cndmask_b32_e64 v36, v37, v49, s[12:13]
	v_cndmask_b32_e64 v35, v35, v50, s[12:13]
	v_lshlrev_b32_e32 v34, 24, v34
	v_bfrev_b32_e32 v37, 60
	v_lshlrev_b32_e32 v35, 20, v35
	v_and_b32_e32 v34, 0x80000000, v34
	v_lshl_add_u32 v36, v36, 23, v37
	v_or3_b32 v34, v34, v36, v35
	v_lshrrev_b32_e32 v35, 16, v34
.LBB794_110:
	s_or_b64 exec, exec, s[26:27]
.LBB794_111:
	s_or_b64 exec, exec, s[24:25]
.LBB794_112:
	s_or_b64 exec, exec, s[14:15]
	s_mov_b32 s11, 0x5040100
	v_perm_b32 v37, v46, v41, s11
	v_perm_b32 v36, v40, v39, s11
	;; [unrolled: 1-line block ×4, first 2 shown]
	v_mfma_f32_4x4x4bf16_1k a[0:3], v[2:3], v[36:37], a[0:3] cbsz:4 abid:1
	v_mov_b32_e32 v37, 0
	v_mfma_f32_4x4x4bf16_1k a[0:3], v[4:5], v[34:35], a[0:3] cbsz:4 abid:1
	v_cmp_ne_u16_sdwa s[12:13], v30, v37 src0_sel:BYTE_0 src1_sel:DWORD
	v_mov_b32_e32 v38, 0
	s_and_saveexec_b64 s[14:15], s[12:13]
	s_cbranch_execz .LBB794_118
; %bb.113:
	s_movk_i32 s11, 0x80
	v_cmp_ne_u16_sdwa s[12:13], v30, s11 src0_sel:BYTE_0 src1_sel:DWORD
	v_mov_b32_e32 v38, 0xffff8000
	s_and_saveexec_b64 s[24:25], s[12:13]
	s_cbranch_execz .LBB794_117
; %bb.114:
	s_movk_i32 s11, 0x7f
	v_and_b32_e32 v34, 0x7f, v30
	v_cmp_ne_u32_e64 s[12:13], s11, v34
	v_mov_b32_e32 v38, 0x7f80
	s_and_saveexec_b64 s[26:27], s[12:13]
	s_cbranch_execz .LBB794_116
; %bb.115:
	v_and_b32_e32 v35, 7, v30
	v_ffbh_u32_e32 v35, v35
	v_min_u32_e32 v35, 32, v35
	v_subrev_u32_e32 v38, 28, v35
	v_cmp_gt_u32_e64 s[12:13], 8, v34
	v_lshrrev_b32_e32 v36, 3, v34
	v_sub_u32_e32 v35, 29, v35
	v_cndmask_b32_e64 v34, 0, v38, s[12:13]
	v_cndmask_b32_e64 v36, v36, v35, s[12:13]
	v_lshlrev_b64 v[34:35], v34, v[30:31]
	v_lshlrev_b32_e32 v34, 20, v34
	v_lshlrev_b32_e32 v35, 24, v30
	v_bfrev_b32_e32 v38, 60
	v_and_b32_e32 v34, 0x700000, v34
	v_and_b32_e32 v35, 0x80000000, v35
	v_lshl_add_u32 v36, v36, 23, v38
	v_or3_b32 v34, v35, v36, v34
	v_lshrrev_b32_e32 v38, 16, v34
.LBB794_116:
	s_or_b64 exec, exec, s[26:27]
.LBB794_117:
	s_or_b64 exec, exec, s[24:25]
.LBB794_118:
	s_or_b64 exec, exec, s[14:15]
	v_lshrrev_b16_e32 v34, 8, v30
	v_cmp_ne_u16_e64 s[12:13], 0, v34
	s_and_saveexec_b64 s[14:15], s[12:13]
	s_cbranch_execz .LBB794_124
; %bb.119:
	s_movk_i32 s11, 0x80
	v_cmp_ne_u16_e64 s[12:13], s11, v34
	v_mov_b32_e32 v37, 0xffff8000
	s_and_saveexec_b64 s[24:25], s[12:13]
	s_cbranch_execz .LBB794_123
; %bb.120:
	s_movk_i32 s11, 0x7f
	v_and_b32_e32 v35, 0x7f, v34
	v_cmp_ne_u32_e64 s[12:13], s11, v35
	v_mov_b32_e32 v37, 0x7f80
	s_and_saveexec_b64 s[26:27], s[12:13]
	s_cbranch_execz .LBB794_122
; %bb.121:
	v_and_b32_e32 v39, 7, v34
	v_ffbh_u32_e32 v36, v39
	v_min_u32_e32 v41, 32, v36
	v_subrev_u32_e32 v36, 28, v41
	v_lshlrev_b64 v[36:37], v36, v[34:35]
	v_lshrrev_b32_e32 v40, 3, v35
	v_sub_u32_e32 v34, 29, v41
	v_and_b32_e32 v36, 7, v36
	v_cmp_gt_u32_e64 s[12:13], 8, v35
	v_cndmask_b32_e64 v34, v40, v34, s[12:13]
	v_cndmask_b32_e64 v35, v39, v36, s[12:13]
	v_lshlrev_b32_e32 v36, 16, v30
	v_bfrev_b32_e32 v37, 60
	v_lshlrev_b32_e32 v35, 20, v35
	v_and_b32_e32 v36, 0x80000000, v36
	v_lshl_add_u32 v34, v34, 23, v37
	v_or3_b32 v34, v36, v34, v35
	v_lshrrev_b32_e32 v37, 16, v34
.LBB794_122:
	s_or_b64 exec, exec, s[26:27]
.LBB794_123:
	s_or_b64 exec, exec, s[24:25]
.LBB794_124:
	s_or_b64 exec, exec, s[14:15]
	s_movk_i32 s11, 0xff
	v_and_b32_sdwa v36, v30, s11 dst_sel:DWORD dst_unused:UNUSED_PAD src0_sel:WORD_1 src1_sel:DWORD
	v_lshrrev_b32_e32 v34, 16, v30
	v_cmp_ne_u16_e64 s[12:13], 0, v36
	v_mov_b32_e32 v35, 0
	v_mov_b32_e32 v39, 0
	s_and_saveexec_b64 s[14:15], s[12:13]
	s_cbranch_execz .LBB794_130
; %bb.125:
	s_movk_i32 s11, 0x80
	v_cmp_ne_u16_e64 s[12:13], s11, v36
	v_mov_b32_e32 v39, 0xffff8000
	s_and_saveexec_b64 s[24:25], s[12:13]
	s_cbranch_execz .LBB794_129
; %bb.126:
	v_bfe_u32 v36, v30, 16, 7
	s_movk_i32 s11, 0x7f
	v_cmp_ne_u32_e64 s[12:13], s11, v36
	v_mov_b32_e32 v39, 0x7f80
	s_and_saveexec_b64 s[26:27], s[12:13]
	s_cbranch_execz .LBB794_128
; %bb.127:
	v_and_b32_e32 v39, 7, v34
	v_ffbh_u32_e32 v40, v39
	v_min_u32_e32 v47, 32, v40
	v_subrev_u32_e32 v40, 28, v47
	v_lshlrev_b64 v[40:41], v40, v[34:35]
	v_and_b32_e32 v40, 7, v40
	v_cmp_gt_u32_e64 s[12:13], 8, v36
	v_lshrrev_b32_e32 v46, 3, v36
	v_sub_u32_e32 v34, 29, v47
	v_cndmask_b32_e64 v36, v39, v40, s[12:13]
	v_mov_b32_e32 v39, 24
	v_cndmask_b32_e64 v34, v46, v34, s[12:13]
	v_lshlrev_b32_sdwa v39, v39, v30 dst_sel:DWORD dst_unused:UNUSED_PAD src0_sel:DWORD src1_sel:WORD_1
	v_bfrev_b32_e32 v40, 60
	v_lshlrev_b32_e32 v36, 20, v36
	v_and_b32_e32 v39, 0x80000000, v39
	v_lshl_add_u32 v34, v34, 23, v40
	v_or3_b32 v34, v39, v34, v36
	v_lshrrev_b32_e32 v39, 16, v34
.LBB794_128:
	s_or_b64 exec, exec, s[26:27]
.LBB794_129:
	s_or_b64 exec, exec, s[24:25]
.LBB794_130:
	s_or_b64 exec, exec, s[14:15]
	s_mov_b32 s11, 0xffffff
	v_cmp_lt_u32_e64 s[12:13], s11, v30
	v_mov_b32_e32 v40, 0
	s_and_saveexec_b64 s[14:15], s[12:13]
	s_cbranch_execz .LBB794_136
; %bb.131:
	v_lshrrev_b32_e32 v34, 24, v30
	s_movk_i32 s11, 0x80
	v_cmp_ne_u32_e64 s[12:13], s11, v34
	v_mov_b32_e32 v40, 0xffff8000
	s_and_saveexec_b64 s[24:25], s[12:13]
	s_cbranch_execz .LBB794_135
; %bb.132:
	v_bfe_u32 v36, v30, 24, 7
	s_movk_i32 s11, 0x7f
	v_cmp_ne_u32_e64 s[12:13], s11, v36
	v_mov_b32_e32 v40, 0x7f80
	s_and_saveexec_b64 s[26:27], s[12:13]
	s_cbranch_execz .LBB794_134
; %bb.133:
	v_and_b32_e32 v46, 7, v34
	v_ffbh_u32_e32 v40, v46
	v_min_u32_e32 v48, 32, v40
	v_subrev_u32_e32 v40, 28, v48
	v_lshlrev_b64 v[40:41], v40, v[34:35]
	v_lshrrev_b32_e32 v47, 3, v36
	v_sub_u32_e32 v41, 29, v48
	v_and_b32_e32 v40, 7, v40
	v_cmp_gt_u32_e64 s[12:13], 8, v36
	v_cndmask_b32_e64 v36, v47, v41, s[12:13]
	v_cndmask_b32_e64 v40, v46, v40, s[12:13]
	v_lshlrev_b32_e32 v34, 24, v34
	v_bfrev_b32_e32 v41, 60
	v_lshlrev_b32_e32 v40, 20, v40
	v_and_b32_e32 v34, 0x80000000, v34
	v_lshl_add_u32 v36, v36, 23, v41
	v_or3_b32 v34, v34, v36, v40
	v_lshrrev_b32_e32 v40, 16, v34
.LBB794_134:
	s_or_b64 exec, exec, s[26:27]
.LBB794_135:
	s_or_b64 exec, exec, s[24:25]
.LBB794_136:
	s_or_b64 exec, exec, s[14:15]
	v_mov_b32_e32 v41, 0
	v_mov_b32_e32 v34, v31
	v_cmp_ne_u16_sdwa s[12:13], v31, v41 src0_sel:BYTE_0 src1_sel:DWORD
	v_mov_b32_e32 v46, 0
	s_and_saveexec_b64 s[14:15], s[12:13]
	s_cbranch_execz .LBB794_142
; %bb.137:
	s_movk_i32 s11, 0x80
	v_cmp_ne_u16_sdwa s[12:13], v31, s11 src0_sel:BYTE_0 src1_sel:DWORD
	v_mov_b32_e32 v46, 0xffff8000
	s_and_saveexec_b64 s[24:25], s[12:13]
	s_cbranch_execz .LBB794_141
; %bb.138:
	s_movk_i32 s11, 0x7f
	v_and_b32_e32 v36, 0x7f, v31
	v_cmp_ne_u32_e64 s[12:13], s11, v36
	v_mov_b32_e32 v46, 0x7f80
	s_and_saveexec_b64 s[26:27], s[12:13]
	s_cbranch_execz .LBB794_140
; %bb.139:
	v_and_b32_e32 v46, 7, v31
	v_ffbh_u32_e32 v46, v46
	v_min_u32_e32 v46, 32, v46
	v_lshrrev_b32_e32 v47, 3, v36
	v_subrev_u32_e32 v48, 28, v46
	v_sub_u32_e32 v46, 29, v46
	v_cmp_gt_u32_e64 s[12:13], 8, v36
	v_cndmask_b32_e64 v36, v47, v46, s[12:13]
	v_cndmask_b32_e64 v46, 0, v48, s[12:13]
	v_lshlrev_b64 v[46:47], v46, v[34:35]
	v_lshlrev_b32_e32 v35, 20, v46
	v_lshlrev_b32_e32 v46, 24, v34
	v_bfrev_b32_e32 v47, 60
	v_and_b32_e32 v35, 0x700000, v35
	v_and_b32_e32 v46, 0x80000000, v46
	v_lshl_add_u32 v36, v36, 23, v47
	v_or3_b32 v35, v46, v36, v35
	v_lshrrev_b32_e32 v46, 16, v35
.LBB794_140:
	s_or_b64 exec, exec, s[26:27]
.LBB794_141:
	s_or_b64 exec, exec, s[24:25]
.LBB794_142:
	s_or_b64 exec, exec, s[14:15]
	v_lshrrev_b16_e32 v36, 8, v34
	v_cmp_ne_u16_e64 s[12:13], 0, v36
	s_and_saveexec_b64 s[14:15], s[12:13]
	s_cbranch_execz .LBB794_148
; %bb.143:
	s_movk_i32 s11, 0x80
	v_cmp_ne_u16_e64 s[12:13], s11, v36
	v_mov_b32_e32 v41, 0xffff8000
	s_and_saveexec_b64 s[24:25], s[12:13]
	s_cbranch_execz .LBB794_147
; %bb.144:
	s_movk_i32 s11, 0x7f
	v_and_b32_e32 v35, 0x7f, v36
	v_cmp_ne_u32_e64 s[12:13], s11, v35
	v_mov_b32_e32 v41, 0x7f80
	s_and_saveexec_b64 s[26:27], s[12:13]
	s_cbranch_execz .LBB794_146
; %bb.145:
	v_and_b32_e32 v41, 7, v36
	v_ffbh_u32_e32 v48, v41
	v_min_u32_e32 v50, 32, v48
	v_subrev_u32_e32 v48, 28, v50
	v_lshlrev_b64 v[48:49], v48, v[36:37]
	v_lshrrev_b32_e32 v47, 3, v35
	v_sub_u32_e32 v36, 29, v50
	v_and_b32_e32 v48, 7, v48
	v_cmp_gt_u32_e64 s[12:13], 8, v35
	v_cndmask_b32_e64 v35, v47, v36, s[12:13]
	v_cndmask_b32_e64 v36, v41, v48, s[12:13]
	v_lshlrev_b32_e32 v34, 16, v34
	v_bfrev_b32_e32 v41, 60
	v_lshlrev_b32_e32 v36, 20, v36
	v_and_b32_e32 v34, 0x80000000, v34
	v_lshl_add_u32 v35, v35, 23, v41
	v_or3_b32 v34, v34, v35, v36
	v_lshrrev_b32_e32 v41, 16, v34
.LBB794_146:
	s_or_b64 exec, exec, s[26:27]
.LBB794_147:
	s_or_b64 exec, exec, s[24:25]
.LBB794_148:
	s_or_b64 exec, exec, s[14:15]
	s_movk_i32 s11, 0xff
	v_and_b32_sdwa v47, v31, s11 dst_sel:DWORD dst_unused:UNUSED_PAD src0_sel:WORD_1 src1_sel:DWORD
	v_lshrrev_b32_e32 v34, 16, v31
	v_cmp_ne_u16_e64 s[12:13], 0, v47
	v_mov_b32_e32 v35, 0
	v_mov_b32_e32 v36, 0
	s_and_saveexec_b64 s[14:15], s[12:13]
	s_cbranch_execz .LBB794_154
; %bb.149:
	s_movk_i32 s11, 0x80
	v_cmp_ne_u16_e64 s[12:13], s11, v47
	v_mov_b32_e32 v36, 0xffff8000
	s_and_saveexec_b64 s[24:25], s[12:13]
	s_cbranch_execz .LBB794_153
; %bb.150:
	v_bfe_u32 v47, v31, 16, 7
	s_movk_i32 s11, 0x7f
	v_cmp_ne_u32_e64 s[12:13], s11, v47
	v_mov_b32_e32 v36, 0x7f80
	s_and_saveexec_b64 s[26:27], s[12:13]
	s_cbranch_execz .LBB794_152
; %bb.151:
	v_and_b32_e32 v36, 7, v34
	v_ffbh_u32_e32 v48, v36
	v_min_u32_e32 v51, 32, v48
	v_subrev_u32_e32 v48, 28, v51
	v_lshlrev_b64 v[48:49], v48, v[34:35]
	v_lshrrev_b32_e32 v50, 3, v47
	v_sub_u32_e32 v34, 29, v51
	v_and_b32_e32 v48, 7, v48
	v_cmp_gt_u32_e64 s[12:13], 8, v47
	v_mov_b32_e32 v47, 24
	v_cndmask_b32_e64 v34, v50, v34, s[12:13]
	v_cndmask_b32_e64 v36, v36, v48, s[12:13]
	v_lshlrev_b32_sdwa v47, v47, v31 dst_sel:DWORD dst_unused:UNUSED_PAD src0_sel:DWORD src1_sel:WORD_1
	v_bfrev_b32_e32 v48, 60
	v_lshlrev_b32_e32 v36, 20, v36
	v_and_b32_e32 v47, 0x80000000, v47
	v_lshl_add_u32 v34, v34, 23, v48
	v_or3_b32 v34, v47, v34, v36
	v_lshrrev_b32_e32 v36, 16, v34
.LBB794_152:
	s_or_b64 exec, exec, s[26:27]
.LBB794_153:
	s_or_b64 exec, exec, s[24:25]
.LBB794_154:
	s_or_b64 exec, exec, s[14:15]
	s_mov_b32 s12, -1
	s_mov_b32 s13, 0xffffff
	v_cmp_lt_u64_e64 s[12:13], s[12:13], v[30:31]
	s_and_saveexec_b64 s[14:15], s[12:13]
	s_cbranch_execz .LBB794_160
; %bb.155:
	v_lshrrev_b32_e32 v30, 24, v31
	s_movk_i32 s11, 0x80
	v_cmp_ne_u32_e64 s[12:13], s11, v30
	v_mov_b32_e32 v35, 0xffff8000
	s_and_saveexec_b64 s[24:25], s[12:13]
	s_cbranch_execz .LBB794_159
; %bb.156:
	v_bfe_u32 v31, v31, 24, 7
	s_movk_i32 s11, 0x7f
	v_cmp_ne_u32_e64 s[12:13], s11, v31
	v_mov_b32_e32 v35, 0x7f80
	s_and_saveexec_b64 s[26:27], s[12:13]
	s_cbranch_execz .LBB794_158
; %bb.157:
	v_and_b32_e32 v47, 7, v30
	v_ffbh_u32_e32 v34, v47
	v_min_u32_e32 v49, 32, v34
	v_subrev_u32_e32 v34, 28, v49
	v_lshlrev_b64 v[34:35], v34, v[30:31]
	v_lshrrev_b32_e32 v48, 3, v31
	v_sub_u32_e32 v35, 29, v49
	v_and_b32_e32 v34, 7, v34
	v_cmp_gt_u32_e64 s[12:13], 8, v31
	v_cndmask_b32_e64 v31, v48, v35, s[12:13]
	v_cndmask_b32_e64 v34, v47, v34, s[12:13]
	v_lshlrev_b32_e32 v30, 24, v30
	v_bfrev_b32_e32 v35, 60
	v_lshlrev_b32_e32 v34, 20, v34
	v_and_b32_e32 v30, 0x80000000, v30
	v_lshl_add_u32 v31, v31, 23, v35
	v_or3_b32 v30, v30, v31, v34
	v_lshrrev_b32_e32 v35, 16, v30
.LBB794_158:
	s_or_b64 exec, exec, s[26:27]
.LBB794_159:
	s_or_b64 exec, exec, s[24:25]
.LBB794_160:
	s_or_b64 exec, exec, s[14:15]
	s_mov_b32 s11, 0x5040100
	v_perm_b32 v31, v40, v39, s11
	v_perm_b32 v30, v37, v38, s11
	;; [unrolled: 1-line block ×4, first 2 shown]
	v_mfma_f32_4x4x4bf16_1k a[0:3], v[2:3], v[30:31], a[0:3] cbsz:4 abid:2
	v_mov_b32_e32 v36, 0
	v_mfma_f32_4x4x4bf16_1k a[0:3], v[4:5], v[34:35], a[0:3] cbsz:4 abid:2
	v_mov_b32_e32 v35, 0
	v_cmp_ne_u16_sdwa s[12:13], v32, v35 src0_sel:BYTE_0 src1_sel:DWORD
	s_and_saveexec_b64 s[14:15], s[12:13]
	s_cbranch_execz .LBB794_166
; %bb.161:
	s_movk_i32 s11, 0x80
	v_cmp_ne_u16_sdwa s[12:13], v32, s11 src0_sel:BYTE_0 src1_sel:DWORD
	v_mov_b32_e32 v36, 0xffff8000
	s_and_saveexec_b64 s[24:25], s[12:13]
	s_cbranch_execz .LBB794_165
; %bb.162:
	s_movk_i32 s11, 0x7f
	v_and_b32_e32 v30, 0x7f, v32
	v_cmp_ne_u32_e64 s[12:13], s11, v30
	v_mov_b32_e32 v36, 0x7f80
	s_and_saveexec_b64 s[26:27], s[12:13]
	s_cbranch_execz .LBB794_164
; %bb.163:
	v_and_b32_e32 v31, 7, v32
	v_ffbh_u32_e32 v31, v31
	v_min_u32_e32 v31, 32, v31
	v_subrev_u32_e32 v36, 28, v31
	v_cmp_gt_u32_e64 s[12:13], 8, v30
	v_lshrrev_b32_e32 v34, 3, v30
	v_sub_u32_e32 v31, 29, v31
	v_cndmask_b32_e64 v30, 0, v36, s[12:13]
	v_cndmask_b32_e64 v34, v34, v31, s[12:13]
	v_lshlrev_b64 v[30:31], v30, v[32:33]
	v_lshlrev_b32_e32 v30, 20, v30
	v_lshlrev_b32_e32 v31, 24, v32
	v_bfrev_b32_e32 v36, 60
	v_and_b32_e32 v30, 0x700000, v30
	v_and_b32_e32 v31, 0x80000000, v31
	v_lshl_add_u32 v34, v34, 23, v36
	v_or3_b32 v30, v31, v34, v30
	v_lshrrev_b32_e32 v36, 16, v30
.LBB794_164:
	s_or_b64 exec, exec, s[26:27]
.LBB794_165:
	s_or_b64 exec, exec, s[24:25]
.LBB794_166:
	s_or_b64 exec, exec, s[14:15]
	v_lshrrev_b16_e32 v30, 8, v32
	v_cmp_ne_u16_e64 s[12:13], 0, v30
	s_and_saveexec_b64 s[14:15], s[12:13]
	s_cbranch_execz .LBB794_172
; %bb.167:
	s_movk_i32 s11, 0x80
	v_cmp_ne_u16_e64 s[12:13], s11, v30
	v_mov_b32_e32 v35, 0xffff8000
	s_and_saveexec_b64 s[24:25], s[12:13]
	s_cbranch_execz .LBB794_171
; %bb.168:
	s_movk_i32 s11, 0x7f
	v_and_b32_e32 v31, 0x7f, v30
	v_cmp_ne_u32_e64 s[12:13], s11, v31
	v_mov_b32_e32 v35, 0x7f80
	s_and_saveexec_b64 s[26:27], s[12:13]
	s_cbranch_execz .LBB794_170
; %bb.169:
	v_and_b32_e32 v37, 7, v30
	v_ffbh_u32_e32 v34, v37
	v_min_u32_e32 v39, 32, v34
	v_subrev_u32_e32 v34, 28, v39
	v_lshlrev_b64 v[34:35], v34, v[30:31]
	v_lshrrev_b32_e32 v38, 3, v31
	v_sub_u32_e32 v30, 29, v39
	v_and_b32_e32 v34, 7, v34
	v_cmp_gt_u32_e64 s[12:13], 8, v31
	v_cndmask_b32_e64 v30, v38, v30, s[12:13]
	v_cndmask_b32_e64 v31, v37, v34, s[12:13]
	v_lshlrev_b32_e32 v34, 16, v32
	v_bfrev_b32_e32 v35, 60
	v_lshlrev_b32_e32 v31, 20, v31
	v_and_b32_e32 v34, 0x80000000, v34
	v_lshl_add_u32 v30, v30, 23, v35
	v_or3_b32 v30, v34, v30, v31
	v_lshrrev_b32_e32 v35, 16, v30
.LBB794_170:
	s_or_b64 exec, exec, s[26:27]
.LBB794_171:
	s_or_b64 exec, exec, s[24:25]
.LBB794_172:
	s_or_b64 exec, exec, s[14:15]
	s_movk_i32 s11, 0xff
	v_and_b32_sdwa v34, v32, s11 dst_sel:DWORD dst_unused:UNUSED_PAD src0_sel:WORD_1 src1_sel:DWORD
	v_lshrrev_b32_e32 v30, 16, v32
	v_cmp_ne_u16_e64 s[12:13], 0, v34
	v_mov_b32_e32 v31, 0
	v_mov_b32_e32 v37, 0
	s_and_saveexec_b64 s[14:15], s[12:13]
	s_cbranch_execz .LBB794_178
; %bb.173:
	s_movk_i32 s11, 0x80
	v_cmp_ne_u16_e64 s[12:13], s11, v34
	v_mov_b32_e32 v37, 0xffff8000
	s_and_saveexec_b64 s[24:25], s[12:13]
	s_cbranch_execz .LBB794_177
; %bb.174:
	v_bfe_u32 v34, v32, 16, 7
	s_movk_i32 s11, 0x7f
	v_cmp_ne_u32_e64 s[12:13], s11, v34
	v_mov_b32_e32 v37, 0x7f80
	s_and_saveexec_b64 s[26:27], s[12:13]
	s_cbranch_execz .LBB794_176
; %bb.175:
	v_and_b32_e32 v37, 7, v30
	v_ffbh_u32_e32 v38, v37
	v_min_u32_e32 v41, 32, v38
	v_subrev_u32_e32 v38, 28, v41
	v_lshlrev_b64 v[38:39], v38, v[30:31]
	v_and_b32_e32 v38, 7, v38
	v_cmp_gt_u32_e64 s[12:13], 8, v34
	v_lshrrev_b32_e32 v40, 3, v34
	v_sub_u32_e32 v30, 29, v41
	v_cndmask_b32_e64 v34, v37, v38, s[12:13]
	v_mov_b32_e32 v37, 24
	v_cndmask_b32_e64 v30, v40, v30, s[12:13]
	v_lshlrev_b32_sdwa v37, v37, v32 dst_sel:DWORD dst_unused:UNUSED_PAD src0_sel:DWORD src1_sel:WORD_1
	v_bfrev_b32_e32 v38, 60
	v_lshlrev_b32_e32 v34, 20, v34
	v_and_b32_e32 v37, 0x80000000, v37
	v_lshl_add_u32 v30, v30, 23, v38
	v_or3_b32 v30, v37, v30, v34
	v_lshrrev_b32_e32 v37, 16, v30
.LBB794_176:
	s_or_b64 exec, exec, s[26:27]
.LBB794_177:
	s_or_b64 exec, exec, s[24:25]
.LBB794_178:
	s_or_b64 exec, exec, s[14:15]
	s_mov_b32 s11, 0xffffff
	v_cmp_lt_u32_e64 s[12:13], s11, v32
	v_mov_b32_e32 v38, 0
	s_and_saveexec_b64 s[14:15], s[12:13]
	s_cbranch_execz .LBB794_184
; %bb.179:
	v_lshrrev_b32_e32 v30, 24, v32
	s_movk_i32 s11, 0x80
	v_cmp_ne_u32_e64 s[12:13], s11, v30
	v_mov_b32_e32 v38, 0xffff8000
	s_and_saveexec_b64 s[24:25], s[12:13]
	s_cbranch_execz .LBB794_183
; %bb.180:
	v_bfe_u32 v34, v32, 24, 7
	s_movk_i32 s11, 0x7f
	v_cmp_ne_u32_e64 s[12:13], s11, v34
	v_mov_b32_e32 v38, 0x7f80
	s_and_saveexec_b64 s[26:27], s[12:13]
	s_cbranch_execz .LBB794_182
; %bb.181:
	v_and_b32_e32 v40, 7, v30
	v_ffbh_u32_e32 v38, v40
	v_min_u32_e32 v46, 32, v38
	v_subrev_u32_e32 v38, 28, v46
	v_lshlrev_b64 v[38:39], v38, v[30:31]
	v_lshrrev_b32_e32 v41, 3, v34
	v_sub_u32_e32 v39, 29, v46
	v_and_b32_e32 v38, 7, v38
	v_cmp_gt_u32_e64 s[12:13], 8, v34
	v_cndmask_b32_e64 v34, v41, v39, s[12:13]
	v_cndmask_b32_e64 v38, v40, v38, s[12:13]
	v_lshlrev_b32_e32 v30, 24, v30
	v_bfrev_b32_e32 v39, 60
	v_lshlrev_b32_e32 v38, 20, v38
	v_and_b32_e32 v30, 0x80000000, v30
	v_lshl_add_u32 v34, v34, 23, v39
	v_or3_b32 v30, v30, v34, v38
	v_lshrrev_b32_e32 v38, 16, v30
.LBB794_182:
	s_or_b64 exec, exec, s[26:27]
.LBB794_183:
	s_or_b64 exec, exec, s[24:25]
.LBB794_184:
	s_or_b64 exec, exec, s[14:15]
	v_mov_b32_e32 v39, 0
	v_mov_b32_e32 v30, v33
	v_cmp_ne_u16_sdwa s[12:13], v33, v39 src0_sel:BYTE_0 src1_sel:DWORD
	v_mov_b32_e32 v40, 0
	s_and_saveexec_b64 s[14:15], s[12:13]
	s_cbranch_execz .LBB794_190
; %bb.185:
	s_movk_i32 s11, 0x80
	v_cmp_ne_u16_sdwa s[12:13], v33, s11 src0_sel:BYTE_0 src1_sel:DWORD
	v_mov_b32_e32 v40, 0xffff8000
	s_and_saveexec_b64 s[24:25], s[12:13]
	s_cbranch_execz .LBB794_189
; %bb.186:
	s_movk_i32 s11, 0x7f
	v_and_b32_e32 v34, 0x7f, v33
	v_cmp_ne_u32_e64 s[12:13], s11, v34
	v_mov_b32_e32 v40, 0x7f80
	s_and_saveexec_b64 s[26:27], s[12:13]
	s_cbranch_execz .LBB794_188
; %bb.187:
	v_and_b32_e32 v40, 7, v33
	v_ffbh_u32_e32 v40, v40
	v_min_u32_e32 v40, 32, v40
	v_lshrrev_b32_e32 v41, 3, v34
	v_subrev_u32_e32 v46, 28, v40
	v_sub_u32_e32 v40, 29, v40
	v_cmp_gt_u32_e64 s[12:13], 8, v34
	v_cndmask_b32_e64 v34, v41, v40, s[12:13]
	v_cndmask_b32_e64 v40, 0, v46, s[12:13]
	v_lshlrev_b64 v[40:41], v40, v[30:31]
	v_lshlrev_b32_e32 v31, 20, v40
	v_lshlrev_b32_e32 v40, 24, v30
	v_bfrev_b32_e32 v41, 60
	v_and_b32_e32 v31, 0x700000, v31
	v_and_b32_e32 v40, 0x80000000, v40
	v_lshl_add_u32 v34, v34, 23, v41
	v_or3_b32 v31, v40, v34, v31
	v_lshrrev_b32_e32 v40, 16, v31
.LBB794_188:
	s_or_b64 exec, exec, s[26:27]
.LBB794_189:
	s_or_b64 exec, exec, s[24:25]
.LBB794_190:
	s_or_b64 exec, exec, s[14:15]
	v_lshrrev_b16_e32 v34, 8, v30
	v_cmp_ne_u16_e64 s[12:13], 0, v34
	s_and_saveexec_b64 s[14:15], s[12:13]
	s_cbranch_execz .LBB794_196
; %bb.191:
	s_movk_i32 s11, 0x80
	v_cmp_ne_u16_e64 s[12:13], s11, v34
	v_mov_b32_e32 v39, 0xffff8000
	s_and_saveexec_b64 s[24:25], s[12:13]
	s_cbranch_execz .LBB794_195
; %bb.192:
	s_movk_i32 s11, 0x7f
	v_and_b32_e32 v31, 0x7f, v34
	v_cmp_ne_u32_e64 s[12:13], s11, v31
	v_mov_b32_e32 v39, 0x7f80
	s_and_saveexec_b64 s[26:27], s[12:13]
	s_cbranch_execz .LBB794_194
; %bb.193:
	v_and_b32_e32 v39, 7, v34
	v_ffbh_u32_e32 v46, v39
	v_min_u32_e32 v48, 32, v46
	v_subrev_u32_e32 v46, 28, v48
	v_lshlrev_b64 v[46:47], v46, v[34:35]
	v_lshrrev_b32_e32 v41, 3, v31
	v_sub_u32_e32 v34, 29, v48
	v_and_b32_e32 v46, 7, v46
	v_cmp_gt_u32_e64 s[12:13], 8, v31
	v_cndmask_b32_e64 v31, v41, v34, s[12:13]
	v_cndmask_b32_e64 v34, v39, v46, s[12:13]
	v_lshlrev_b32_e32 v30, 16, v30
	v_bfrev_b32_e32 v39, 60
	v_lshlrev_b32_e32 v34, 20, v34
	v_and_b32_e32 v30, 0x80000000, v30
	v_lshl_add_u32 v31, v31, 23, v39
	v_or3_b32 v30, v30, v31, v34
	v_lshrrev_b32_e32 v39, 16, v30
.LBB794_194:
	s_or_b64 exec, exec, s[26:27]
.LBB794_195:
	s_or_b64 exec, exec, s[24:25]
.LBB794_196:
	s_or_b64 exec, exec, s[14:15]
	s_movk_i32 s11, 0xff
	v_and_b32_sdwa v41, v33, s11 dst_sel:DWORD dst_unused:UNUSED_PAD src0_sel:WORD_1 src1_sel:DWORD
	v_lshrrev_b32_e32 v30, 16, v33
	v_cmp_ne_u16_e64 s[12:13], 0, v41
	v_mov_b32_e32 v31, 0
	v_mov_b32_e32 v34, 0
	s_and_saveexec_b64 s[14:15], s[12:13]
	s_cbranch_execz .LBB794_202
; %bb.197:
	s_movk_i32 s11, 0x80
	v_cmp_ne_u16_e64 s[12:13], s11, v41
	v_mov_b32_e32 v34, 0xffff8000
	s_and_saveexec_b64 s[24:25], s[12:13]
	s_cbranch_execz .LBB794_201
; %bb.198:
	v_bfe_u32 v41, v33, 16, 7
	s_movk_i32 s11, 0x7f
	v_cmp_ne_u32_e64 s[12:13], s11, v41
	v_mov_b32_e32 v34, 0x7f80
	s_and_saveexec_b64 s[26:27], s[12:13]
	s_cbranch_execz .LBB794_200
; %bb.199:
	v_and_b32_e32 v34, 7, v30
	v_ffbh_u32_e32 v46, v34
	v_min_u32_e32 v49, 32, v46
	v_subrev_u32_e32 v46, 28, v49
	v_lshlrev_b64 v[46:47], v46, v[30:31]
	v_lshrrev_b32_e32 v48, 3, v41
	v_sub_u32_e32 v30, 29, v49
	v_and_b32_e32 v46, 7, v46
	v_cmp_gt_u32_e64 s[12:13], 8, v41
	v_mov_b32_e32 v41, 24
	v_cndmask_b32_e64 v30, v48, v30, s[12:13]
	v_cndmask_b32_e64 v34, v34, v46, s[12:13]
	v_lshlrev_b32_sdwa v41, v41, v33 dst_sel:DWORD dst_unused:UNUSED_PAD src0_sel:DWORD src1_sel:WORD_1
	v_bfrev_b32_e32 v46, 60
	v_lshlrev_b32_e32 v34, 20, v34
	v_and_b32_e32 v41, 0x80000000, v41
	v_lshl_add_u32 v30, v30, 23, v46
	v_or3_b32 v30, v41, v30, v34
	v_lshrrev_b32_e32 v34, 16, v30
.LBB794_200:
	s_or_b64 exec, exec, s[26:27]
.LBB794_201:
	s_or_b64 exec, exec, s[24:25]
.LBB794_202:
	s_or_b64 exec, exec, s[14:15]
	s_mov_b32 s12, -1
	s_mov_b32 s13, 0xffffff
	v_cmp_lt_u64_e64 s[12:13], s[12:13], v[32:33]
	s_and_saveexec_b64 s[14:15], s[12:13]
	s_cbranch_execz .LBB794_208
; %bb.203:
	v_lshrrev_b32_e32 v30, 24, v33
	s_movk_i32 s11, 0x80
	v_cmp_ne_u32_e64 s[12:13], s11, v30
	v_mov_b32_e32 v31, 0xffff8000
	s_and_saveexec_b64 s[24:25], s[12:13]
	s_cbranch_execz .LBB794_207
; %bb.204:
	v_bfe_u32 v32, v33, 24, 7
	s_movk_i32 s11, 0x7f
	v_cmp_ne_u32_e64 s[12:13], s11, v32
	v_mov_b32_e32 v31, 0x7f80
	s_and_saveexec_b64 s[26:27], s[12:13]
	s_cbranch_execz .LBB794_206
; %bb.205:
	v_and_b32_e32 v31, 7, v30
	v_ffbh_u32_e32 v41, v31
	v_min_u32_e32 v41, 32, v41
	v_subrev_u32_e32 v46, 28, v41
	v_lshlrev_b64 v[46:47], v46, v[30:31]
	v_lshrrev_b32_e32 v33, 3, v32
	v_sub_u32_e32 v41, 29, v41
	v_and_b32_e32 v46, 7, v46
	v_cmp_gt_u32_e64 s[12:13], 8, v32
	v_cndmask_b32_e64 v32, v33, v41, s[12:13]
	v_cndmask_b32_e64 v31, v31, v46, s[12:13]
	v_lshlrev_b32_e32 v30, 24, v30
	v_bfrev_b32_e32 v33, 60
	v_lshlrev_b32_e32 v31, 20, v31
	v_and_b32_e32 v30, 0x80000000, v30
	v_lshl_add_u32 v32, v32, 23, v33
	v_or3_b32 v30, v30, v32, v31
	v_lshrrev_b32_e32 v31, 16, v30
.LBB794_206:
	s_or_b64 exec, exec, s[26:27]
.LBB794_207:
	s_or_b64 exec, exec, s[24:25]
.LBB794_208:
	s_or_b64 exec, exec, s[14:15]
	s_mov_b32 s11, 0x5040100
	v_perm_b32 v33, v38, v37, s11
	v_perm_b32 v32, v35, v36, s11
	;; [unrolled: 1-line block ×4, first 2 shown]
	v_mfma_f32_4x4x4bf16_1k a[0:3], v[2:3], v[32:33], a[0:3] cbsz:4 abid:3
	v_mov_b32_e32 v33, 0
	v_mfma_f32_4x4x4bf16_1k a[0:3], v[4:5], v[30:31], a[0:3] cbsz:4 abid:3
	v_cmp_ne_u16_sdwa s[12:13], v26, v33 src0_sel:BYTE_0 src1_sel:DWORD
	v_mov_b32_e32 v34, 0
	s_and_saveexec_b64 s[14:15], s[12:13]
	s_cbranch_execz .LBB794_214
; %bb.209:
	s_movk_i32 s11, 0x80
	v_cmp_ne_u16_sdwa s[12:13], v26, s11 src0_sel:BYTE_0 src1_sel:DWORD
	v_mov_b32_e32 v34, 0xffff8000
	s_and_saveexec_b64 s[24:25], s[12:13]
	s_cbranch_execz .LBB794_213
; %bb.210:
	s_movk_i32 s11, 0x7f
	v_and_b32_e32 v30, 0x7f, v26
	v_cmp_ne_u32_e64 s[12:13], s11, v30
	v_mov_b32_e32 v34, 0x7f80
	s_and_saveexec_b64 s[26:27], s[12:13]
	s_cbranch_execz .LBB794_212
; %bb.211:
	v_and_b32_e32 v31, 7, v26
	v_ffbh_u32_e32 v31, v31
	v_min_u32_e32 v31, 32, v31
	v_subrev_u32_e32 v34, 28, v31
	v_cmp_gt_u32_e64 s[12:13], 8, v30
	v_lshrrev_b32_e32 v32, 3, v30
	v_sub_u32_e32 v31, 29, v31
	v_cndmask_b32_e64 v30, 0, v34, s[12:13]
	v_cndmask_b32_e64 v32, v32, v31, s[12:13]
	v_lshlrev_b64 v[30:31], v30, v[26:27]
	v_lshlrev_b32_e32 v30, 20, v30
	v_lshlrev_b32_e32 v31, 24, v26
	v_bfrev_b32_e32 v34, 60
	v_and_b32_e32 v30, 0x700000, v30
	v_and_b32_e32 v31, 0x80000000, v31
	v_lshl_add_u32 v32, v32, 23, v34
	v_or3_b32 v30, v31, v32, v30
	v_lshrrev_b32_e32 v34, 16, v30
.LBB794_212:
	s_or_b64 exec, exec, s[26:27]
.LBB794_213:
	s_or_b64 exec, exec, s[24:25]
.LBB794_214:
	s_or_b64 exec, exec, s[14:15]
	v_lshrrev_b16_e32 v30, 8, v26
	v_cmp_ne_u16_e64 s[12:13], 0, v30
	s_and_saveexec_b64 s[14:15], s[12:13]
	s_cbranch_execz .LBB794_220
; %bb.215:
	s_movk_i32 s11, 0x80
	v_cmp_ne_u16_e64 s[12:13], s11, v30
	v_mov_b32_e32 v33, 0xffff8000
	s_and_saveexec_b64 s[24:25], s[12:13]
	s_cbranch_execz .LBB794_219
; %bb.216:
	s_movk_i32 s11, 0x7f
	v_and_b32_e32 v31, 0x7f, v30
	v_cmp_ne_u32_e64 s[12:13], s11, v31
	v_mov_b32_e32 v33, 0x7f80
	s_and_saveexec_b64 s[26:27], s[12:13]
	s_cbranch_execz .LBB794_218
; %bb.217:
	v_and_b32_e32 v35, 7, v30
	v_ffbh_u32_e32 v32, v35
	v_min_u32_e32 v37, 32, v32
	v_subrev_u32_e32 v32, 28, v37
	v_lshlrev_b64 v[32:33], v32, v[30:31]
	v_lshrrev_b32_e32 v36, 3, v31
	v_sub_u32_e32 v30, 29, v37
	v_and_b32_e32 v32, 7, v32
	v_cmp_gt_u32_e64 s[12:13], 8, v31
	v_cndmask_b32_e64 v30, v36, v30, s[12:13]
	v_cndmask_b32_e64 v31, v35, v32, s[12:13]
	v_lshlrev_b32_e32 v32, 16, v26
	v_bfrev_b32_e32 v33, 60
	v_lshlrev_b32_e32 v31, 20, v31
	v_and_b32_e32 v32, 0x80000000, v32
	v_lshl_add_u32 v30, v30, 23, v33
	v_or3_b32 v30, v32, v30, v31
	v_lshrrev_b32_e32 v33, 16, v30
.LBB794_218:
	s_or_b64 exec, exec, s[26:27]
.LBB794_219:
	s_or_b64 exec, exec, s[24:25]
.LBB794_220:
	s_or_b64 exec, exec, s[14:15]
	s_movk_i32 s11, 0xff
	v_and_b32_sdwa v32, v26, s11 dst_sel:DWORD dst_unused:UNUSED_PAD src0_sel:WORD_1 src1_sel:DWORD
	v_lshrrev_b32_e32 v30, 16, v26
	v_cmp_ne_u16_e64 s[12:13], 0, v32
	v_mov_b32_e32 v31, 0
	v_mov_b32_e32 v35, 0
	s_and_saveexec_b64 s[14:15], s[12:13]
	s_cbranch_execz .LBB794_226
; %bb.221:
	s_movk_i32 s11, 0x80
	v_cmp_ne_u16_e64 s[12:13], s11, v32
	v_mov_b32_e32 v35, 0xffff8000
	s_and_saveexec_b64 s[24:25], s[12:13]
	s_cbranch_execz .LBB794_225
; %bb.222:
	v_bfe_u32 v32, v26, 16, 7
	s_movk_i32 s11, 0x7f
	v_cmp_ne_u32_e64 s[12:13], s11, v32
	v_mov_b32_e32 v35, 0x7f80
	s_and_saveexec_b64 s[26:27], s[12:13]
	s_cbranch_execz .LBB794_224
; %bb.223:
	v_and_b32_e32 v35, 7, v30
	v_ffbh_u32_e32 v36, v35
	v_min_u32_e32 v39, 32, v36
	v_subrev_u32_e32 v36, 28, v39
	v_lshlrev_b64 v[36:37], v36, v[30:31]
	v_and_b32_e32 v36, 7, v36
	v_cmp_gt_u32_e64 s[12:13], 8, v32
	v_lshrrev_b32_e32 v38, 3, v32
	v_sub_u32_e32 v30, 29, v39
	v_cndmask_b32_e64 v32, v35, v36, s[12:13]
	v_mov_b32_e32 v35, 24
	v_cndmask_b32_e64 v30, v38, v30, s[12:13]
	v_lshlrev_b32_sdwa v35, v35, v26 dst_sel:DWORD dst_unused:UNUSED_PAD src0_sel:DWORD src1_sel:WORD_1
	v_bfrev_b32_e32 v36, 60
	v_lshlrev_b32_e32 v32, 20, v32
	v_and_b32_e32 v35, 0x80000000, v35
	v_lshl_add_u32 v30, v30, 23, v36
	v_or3_b32 v30, v35, v30, v32
	v_lshrrev_b32_e32 v35, 16, v30
.LBB794_224:
	s_or_b64 exec, exec, s[26:27]
.LBB794_225:
	s_or_b64 exec, exec, s[24:25]
.LBB794_226:
	s_or_b64 exec, exec, s[14:15]
	s_mov_b32 s11, 0xffffff
	v_cmp_lt_u32_e64 s[12:13], s11, v26
	v_mov_b32_e32 v36, 0
	s_and_saveexec_b64 s[14:15], s[12:13]
	s_cbranch_execz .LBB794_232
; %bb.227:
	v_lshrrev_b32_e32 v30, 24, v26
	s_movk_i32 s11, 0x80
	v_cmp_ne_u32_e64 s[12:13], s11, v30
	v_mov_b32_e32 v36, 0xffff8000
	s_and_saveexec_b64 s[24:25], s[12:13]
	s_cbranch_execz .LBB794_231
; %bb.228:
	v_bfe_u32 v32, v26, 24, 7
	s_movk_i32 s11, 0x7f
	v_cmp_ne_u32_e64 s[12:13], s11, v32
	v_mov_b32_e32 v36, 0x7f80
	s_and_saveexec_b64 s[26:27], s[12:13]
	s_cbranch_execz .LBB794_230
; %bb.229:
	v_and_b32_e32 v38, 7, v30
	v_ffbh_u32_e32 v36, v38
	v_min_u32_e32 v40, 32, v36
	v_subrev_u32_e32 v36, 28, v40
	v_lshlrev_b64 v[36:37], v36, v[30:31]
	v_lshrrev_b32_e32 v39, 3, v32
	v_sub_u32_e32 v37, 29, v40
	v_and_b32_e32 v36, 7, v36
	v_cmp_gt_u32_e64 s[12:13], 8, v32
	v_cndmask_b32_e64 v32, v39, v37, s[12:13]
	v_cndmask_b32_e64 v36, v38, v36, s[12:13]
	v_lshlrev_b32_e32 v30, 24, v30
	v_bfrev_b32_e32 v37, 60
	v_lshlrev_b32_e32 v36, 20, v36
	v_and_b32_e32 v30, 0x80000000, v30
	v_lshl_add_u32 v32, v32, 23, v37
	v_or3_b32 v30, v30, v32, v36
	v_lshrrev_b32_e32 v36, 16, v30
.LBB794_230:
	s_or_b64 exec, exec, s[26:27]
.LBB794_231:
	s_or_b64 exec, exec, s[24:25]
.LBB794_232:
	s_or_b64 exec, exec, s[14:15]
	v_mov_b32_e32 v37, 0
	v_mov_b32_e32 v30, v27
	v_cmp_ne_u16_sdwa s[12:13], v27, v37 src0_sel:BYTE_0 src1_sel:DWORD
	v_mov_b32_e32 v38, 0
	s_and_saveexec_b64 s[14:15], s[12:13]
	s_cbranch_execz .LBB794_238
; %bb.233:
	s_movk_i32 s11, 0x80
	v_cmp_ne_u16_sdwa s[12:13], v27, s11 src0_sel:BYTE_0 src1_sel:DWORD
	v_mov_b32_e32 v38, 0xffff8000
	s_and_saveexec_b64 s[24:25], s[12:13]
	s_cbranch_execz .LBB794_237
; %bb.234:
	s_movk_i32 s11, 0x7f
	v_and_b32_e32 v32, 0x7f, v27
	v_cmp_ne_u32_e64 s[12:13], s11, v32
	v_mov_b32_e32 v38, 0x7f80
	s_and_saveexec_b64 s[26:27], s[12:13]
	s_cbranch_execz .LBB794_236
; %bb.235:
	v_and_b32_e32 v38, 7, v27
	v_ffbh_u32_e32 v38, v38
	v_min_u32_e32 v38, 32, v38
	v_lshrrev_b32_e32 v39, 3, v32
	v_subrev_u32_e32 v40, 28, v38
	v_sub_u32_e32 v38, 29, v38
	v_cmp_gt_u32_e64 s[12:13], 8, v32
	v_cndmask_b32_e64 v32, v39, v38, s[12:13]
	v_cndmask_b32_e64 v38, 0, v40, s[12:13]
	v_lshlrev_b64 v[38:39], v38, v[30:31]
	v_lshlrev_b32_e32 v31, 20, v38
	v_lshlrev_b32_e32 v38, 24, v30
	v_bfrev_b32_e32 v39, 60
	v_and_b32_e32 v31, 0x700000, v31
	v_and_b32_e32 v38, 0x80000000, v38
	v_lshl_add_u32 v32, v32, 23, v39
	v_or3_b32 v31, v38, v32, v31
	v_lshrrev_b32_e32 v38, 16, v31
.LBB794_236:
	s_or_b64 exec, exec, s[26:27]
.LBB794_237:
	s_or_b64 exec, exec, s[24:25]
.LBB794_238:
	s_or_b64 exec, exec, s[14:15]
	v_lshrrev_b16_e32 v32, 8, v30
	v_cmp_ne_u16_e64 s[12:13], 0, v32
	s_and_saveexec_b64 s[14:15], s[12:13]
	s_cbranch_execz .LBB794_244
; %bb.239:
	s_movk_i32 s11, 0x80
	v_cmp_ne_u16_e64 s[12:13], s11, v32
	v_mov_b32_e32 v37, 0xffff8000
	s_and_saveexec_b64 s[24:25], s[12:13]
	s_cbranch_execz .LBB794_243
; %bb.240:
	s_movk_i32 s11, 0x7f
	v_and_b32_e32 v31, 0x7f, v32
	v_cmp_ne_u32_e64 s[12:13], s11, v31
	v_mov_b32_e32 v37, 0x7f80
	s_and_saveexec_b64 s[26:27], s[12:13]
	s_cbranch_execz .LBB794_242
; %bb.241:
	v_and_b32_e32 v37, 7, v32
	v_ffbh_u32_e32 v40, v37
	v_min_u32_e32 v46, 32, v40
	v_subrev_u32_e32 v40, 28, v46
	v_lshlrev_b64 v[40:41], v40, v[32:33]
	v_lshrrev_b32_e32 v39, 3, v31
	v_sub_u32_e32 v32, 29, v46
	v_and_b32_e32 v40, 7, v40
	v_cmp_gt_u32_e64 s[12:13], 8, v31
	v_cndmask_b32_e64 v31, v39, v32, s[12:13]
	v_cndmask_b32_e64 v32, v37, v40, s[12:13]
	v_lshlrev_b32_e32 v30, 16, v30
	v_bfrev_b32_e32 v37, 60
	v_lshlrev_b32_e32 v32, 20, v32
	v_and_b32_e32 v30, 0x80000000, v30
	v_lshl_add_u32 v31, v31, 23, v37
	v_or3_b32 v30, v30, v31, v32
	v_lshrrev_b32_e32 v37, 16, v30
.LBB794_242:
	s_or_b64 exec, exec, s[26:27]
.LBB794_243:
	s_or_b64 exec, exec, s[24:25]
.LBB794_244:
	s_or_b64 exec, exec, s[14:15]
	s_movk_i32 s11, 0xff
	v_and_b32_sdwa v39, v27, s11 dst_sel:DWORD dst_unused:UNUSED_PAD src0_sel:WORD_1 src1_sel:DWORD
	v_lshrrev_b32_e32 v30, 16, v27
	v_cmp_ne_u16_e64 s[12:13], 0, v39
	v_mov_b32_e32 v31, 0
	v_mov_b32_e32 v32, 0
	s_and_saveexec_b64 s[14:15], s[12:13]
	s_cbranch_execz .LBB794_250
; %bb.245:
	s_movk_i32 s11, 0x80
	v_cmp_ne_u16_e64 s[12:13], s11, v39
	v_mov_b32_e32 v32, 0xffff8000
	s_and_saveexec_b64 s[24:25], s[12:13]
	s_cbranch_execz .LBB794_249
; %bb.246:
	v_bfe_u32 v39, v27, 16, 7
	s_movk_i32 s11, 0x7f
	v_cmp_ne_u32_e64 s[12:13], s11, v39
	v_mov_b32_e32 v32, 0x7f80
	s_and_saveexec_b64 s[26:27], s[12:13]
	s_cbranch_execz .LBB794_248
; %bb.247:
	v_and_b32_e32 v32, 7, v30
	v_ffbh_u32_e32 v40, v32
	v_min_u32_e32 v47, 32, v40
	v_subrev_u32_e32 v40, 28, v47
	v_lshlrev_b64 v[40:41], v40, v[30:31]
	v_lshrrev_b32_e32 v46, 3, v39
	v_sub_u32_e32 v30, 29, v47
	v_and_b32_e32 v40, 7, v40
	v_cmp_gt_u32_e64 s[12:13], 8, v39
	v_mov_b32_e32 v39, 24
	v_cndmask_b32_e64 v30, v46, v30, s[12:13]
	v_cndmask_b32_e64 v32, v32, v40, s[12:13]
	v_lshlrev_b32_sdwa v39, v39, v27 dst_sel:DWORD dst_unused:UNUSED_PAD src0_sel:DWORD src1_sel:WORD_1
	v_bfrev_b32_e32 v40, 60
	v_lshlrev_b32_e32 v32, 20, v32
	v_and_b32_e32 v39, 0x80000000, v39
	v_lshl_add_u32 v30, v30, 23, v40
	v_or3_b32 v30, v39, v30, v32
	v_lshrrev_b32_e32 v32, 16, v30
.LBB794_248:
	s_or_b64 exec, exec, s[26:27]
.LBB794_249:
	s_or_b64 exec, exec, s[24:25]
.LBB794_250:
	s_or_b64 exec, exec, s[14:15]
	s_mov_b32 s12, -1
	s_mov_b32 s13, 0xffffff
	v_cmp_lt_u64_e64 s[12:13], s[12:13], v[26:27]
	s_and_saveexec_b64 s[14:15], s[12:13]
	s_cbranch_execz .LBB794_256
; %bb.251:
	v_lshrrev_b32_e32 v26, 24, v27
	s_movk_i32 s11, 0x80
	v_cmp_ne_u32_e64 s[12:13], s11, v26
	v_mov_b32_e32 v31, 0xffff8000
	s_and_saveexec_b64 s[24:25], s[12:13]
	s_cbranch_execz .LBB794_255
; %bb.252:
	v_bfe_u32 v27, v27, 24, 7
	s_movk_i32 s11, 0x7f
	v_cmp_ne_u32_e64 s[12:13], s11, v27
	v_mov_b32_e32 v31, 0x7f80
	s_and_saveexec_b64 s[26:27], s[12:13]
	s_cbranch_execz .LBB794_254
; %bb.253:
	v_and_b32_e32 v39, 7, v26
	v_ffbh_u32_e32 v30, v39
	v_min_u32_e32 v41, 32, v30
	v_subrev_u32_e32 v30, 28, v41
	v_lshlrev_b64 v[30:31], v30, v[26:27]
	v_lshrrev_b32_e32 v40, 3, v27
	v_sub_u32_e32 v31, 29, v41
	v_and_b32_e32 v30, 7, v30
	v_cmp_gt_u32_e64 s[12:13], 8, v27
	v_cndmask_b32_e64 v27, v40, v31, s[12:13]
	v_cndmask_b32_e64 v30, v39, v30, s[12:13]
	v_lshlrev_b32_e32 v26, 24, v26
	v_bfrev_b32_e32 v31, 60
	v_lshlrev_b32_e32 v30, 20, v30
	v_and_b32_e32 v26, 0x80000000, v26
	v_lshl_add_u32 v27, v27, 23, v31
	v_or3_b32 v26, v26, v27, v30
	v_lshrrev_b32_e32 v31, 16, v26
.LBB794_254:
	s_or_b64 exec, exec, s[26:27]
.LBB794_255:
	s_or_b64 exec, exec, s[24:25]
.LBB794_256:
	s_or_b64 exec, exec, s[14:15]
	s_mov_b32 s11, 0x5040100
	v_perm_b32 v27, v36, v35, s11
	v_perm_b32 v26, v33, v34, s11
	;; [unrolled: 1-line block ×4, first 2 shown]
	v_mfma_f32_4x4x4bf16_1k a[0:3], v[2:3], v[26:27], a[0:3] cbsz:4 abid:4
	v_mov_b32_e32 v32, 0
	v_mfma_f32_4x4x4bf16_1k a[0:3], v[4:5], v[30:31], a[0:3] cbsz:4 abid:4
	v_mov_b32_e32 v31, 0
	v_cmp_ne_u16_sdwa s[12:13], v28, v31 src0_sel:BYTE_0 src1_sel:DWORD
	s_and_saveexec_b64 s[14:15], s[12:13]
	s_cbranch_execz .LBB794_262
; %bb.257:
	s_movk_i32 s11, 0x80
	v_cmp_ne_u16_sdwa s[12:13], v28, s11 src0_sel:BYTE_0 src1_sel:DWORD
	v_mov_b32_e32 v32, 0xffff8000
	s_and_saveexec_b64 s[24:25], s[12:13]
	s_cbranch_execz .LBB794_261
; %bb.258:
	s_movk_i32 s11, 0x7f
	v_and_b32_e32 v26, 0x7f, v28
	v_cmp_ne_u32_e64 s[12:13], s11, v26
	v_mov_b32_e32 v32, 0x7f80
	s_and_saveexec_b64 s[26:27], s[12:13]
	s_cbranch_execz .LBB794_260
; %bb.259:
	v_and_b32_e32 v27, 7, v28
	v_ffbh_u32_e32 v27, v27
	v_min_u32_e32 v27, 32, v27
	v_subrev_u32_e32 v32, 28, v27
	v_cmp_gt_u32_e64 s[12:13], 8, v26
	v_lshrrev_b32_e32 v30, 3, v26
	v_sub_u32_e32 v27, 29, v27
	v_cndmask_b32_e64 v26, 0, v32, s[12:13]
	v_cndmask_b32_e64 v30, v30, v27, s[12:13]
	v_lshlrev_b64 v[26:27], v26, v[28:29]
	v_lshlrev_b32_e32 v26, 20, v26
	v_lshlrev_b32_e32 v27, 24, v28
	v_bfrev_b32_e32 v32, 60
	v_and_b32_e32 v26, 0x700000, v26
	v_and_b32_e32 v27, 0x80000000, v27
	v_lshl_add_u32 v30, v30, 23, v32
	v_or3_b32 v26, v27, v30, v26
	v_lshrrev_b32_e32 v32, 16, v26
.LBB794_260:
	s_or_b64 exec, exec, s[26:27]
.LBB794_261:
	s_or_b64 exec, exec, s[24:25]
.LBB794_262:
	s_or_b64 exec, exec, s[14:15]
	v_lshrrev_b16_e32 v26, 8, v28
	v_cmp_ne_u16_e64 s[12:13], 0, v26
	s_and_saveexec_b64 s[14:15], s[12:13]
	s_cbranch_execz .LBB794_268
; %bb.263:
	s_movk_i32 s11, 0x80
	v_cmp_ne_u16_e64 s[12:13], s11, v26
	v_mov_b32_e32 v31, 0xffff8000
	s_and_saveexec_b64 s[24:25], s[12:13]
	s_cbranch_execz .LBB794_267
; %bb.264:
	s_movk_i32 s11, 0x7f
	v_and_b32_e32 v27, 0x7f, v26
	v_cmp_ne_u32_e64 s[12:13], s11, v27
	v_mov_b32_e32 v31, 0x7f80
	s_and_saveexec_b64 s[26:27], s[12:13]
	s_cbranch_execz .LBB794_266
; %bb.265:
	v_and_b32_e32 v33, 7, v26
	v_ffbh_u32_e32 v30, v33
	v_min_u32_e32 v35, 32, v30
	v_subrev_u32_e32 v30, 28, v35
	v_lshlrev_b64 v[30:31], v30, v[26:27]
	v_lshrrev_b32_e32 v34, 3, v27
	v_sub_u32_e32 v26, 29, v35
	v_and_b32_e32 v30, 7, v30
	v_cmp_gt_u32_e64 s[12:13], 8, v27
	v_cndmask_b32_e64 v26, v34, v26, s[12:13]
	v_cndmask_b32_e64 v27, v33, v30, s[12:13]
	v_lshlrev_b32_e32 v30, 16, v28
	v_bfrev_b32_e32 v31, 60
	v_lshlrev_b32_e32 v27, 20, v27
	v_and_b32_e32 v30, 0x80000000, v30
	v_lshl_add_u32 v26, v26, 23, v31
	v_or3_b32 v26, v30, v26, v27
	v_lshrrev_b32_e32 v31, 16, v26
.LBB794_266:
	s_or_b64 exec, exec, s[26:27]
.LBB794_267:
	s_or_b64 exec, exec, s[24:25]
.LBB794_268:
	s_or_b64 exec, exec, s[14:15]
	s_movk_i32 s11, 0xff
	v_and_b32_sdwa v30, v28, s11 dst_sel:DWORD dst_unused:UNUSED_PAD src0_sel:WORD_1 src1_sel:DWORD
	v_lshrrev_b32_e32 v26, 16, v28
	v_cmp_ne_u16_e64 s[12:13], 0, v30
	v_mov_b32_e32 v27, 0
	v_mov_b32_e32 v33, 0
	s_and_saveexec_b64 s[14:15], s[12:13]
	s_cbranch_execz .LBB794_274
; %bb.269:
	s_movk_i32 s11, 0x80
	v_cmp_ne_u16_e64 s[12:13], s11, v30
	v_mov_b32_e32 v33, 0xffff8000
	s_and_saveexec_b64 s[24:25], s[12:13]
	s_cbranch_execz .LBB794_273
; %bb.270:
	v_bfe_u32 v30, v28, 16, 7
	s_movk_i32 s11, 0x7f
	v_cmp_ne_u32_e64 s[12:13], s11, v30
	v_mov_b32_e32 v33, 0x7f80
	s_and_saveexec_b64 s[26:27], s[12:13]
	s_cbranch_execz .LBB794_272
; %bb.271:
	v_and_b32_e32 v33, 7, v26
	v_ffbh_u32_e32 v34, v33
	v_min_u32_e32 v37, 32, v34
	v_subrev_u32_e32 v34, 28, v37
	v_lshlrev_b64 v[34:35], v34, v[26:27]
	v_and_b32_e32 v34, 7, v34
	v_cmp_gt_u32_e64 s[12:13], 8, v30
	v_lshrrev_b32_e32 v36, 3, v30
	v_sub_u32_e32 v26, 29, v37
	v_cndmask_b32_e64 v30, v33, v34, s[12:13]
	v_mov_b32_e32 v33, 24
	v_cndmask_b32_e64 v26, v36, v26, s[12:13]
	v_lshlrev_b32_sdwa v33, v33, v28 dst_sel:DWORD dst_unused:UNUSED_PAD src0_sel:DWORD src1_sel:WORD_1
	v_bfrev_b32_e32 v34, 60
	v_lshlrev_b32_e32 v30, 20, v30
	v_and_b32_e32 v33, 0x80000000, v33
	v_lshl_add_u32 v26, v26, 23, v34
	v_or3_b32 v26, v33, v26, v30
	v_lshrrev_b32_e32 v33, 16, v26
.LBB794_272:
	s_or_b64 exec, exec, s[26:27]
.LBB794_273:
	s_or_b64 exec, exec, s[24:25]
.LBB794_274:
	s_or_b64 exec, exec, s[14:15]
	s_mov_b32 s11, 0xffffff
	v_cmp_lt_u32_e64 s[12:13], s11, v28
	v_mov_b32_e32 v34, 0
	s_and_saveexec_b64 s[14:15], s[12:13]
	s_cbranch_execz .LBB794_280
; %bb.275:
	v_lshrrev_b32_e32 v26, 24, v28
	s_movk_i32 s11, 0x80
	v_cmp_ne_u32_e64 s[12:13], s11, v26
	v_mov_b32_e32 v34, 0xffff8000
	s_and_saveexec_b64 s[24:25], s[12:13]
	s_cbranch_execz .LBB794_279
; %bb.276:
	v_bfe_u32 v30, v28, 24, 7
	s_movk_i32 s11, 0x7f
	v_cmp_ne_u32_e64 s[12:13], s11, v30
	v_mov_b32_e32 v34, 0x7f80
	s_and_saveexec_b64 s[26:27], s[12:13]
	s_cbranch_execz .LBB794_278
; %bb.277:
	v_and_b32_e32 v36, 7, v26
	v_ffbh_u32_e32 v34, v36
	v_min_u32_e32 v38, 32, v34
	v_subrev_u32_e32 v34, 28, v38
	v_lshlrev_b64 v[34:35], v34, v[26:27]
	v_lshrrev_b32_e32 v37, 3, v30
	v_sub_u32_e32 v35, 29, v38
	v_and_b32_e32 v34, 7, v34
	v_cmp_gt_u32_e64 s[12:13], 8, v30
	v_cndmask_b32_e64 v30, v37, v35, s[12:13]
	v_cndmask_b32_e64 v34, v36, v34, s[12:13]
	v_lshlrev_b32_e32 v26, 24, v26
	v_bfrev_b32_e32 v35, 60
	v_lshlrev_b32_e32 v34, 20, v34
	v_and_b32_e32 v26, 0x80000000, v26
	v_lshl_add_u32 v30, v30, 23, v35
	v_or3_b32 v26, v26, v30, v34
	v_lshrrev_b32_e32 v34, 16, v26
.LBB794_278:
	s_or_b64 exec, exec, s[26:27]
.LBB794_279:
	s_or_b64 exec, exec, s[24:25]
.LBB794_280:
	s_or_b64 exec, exec, s[14:15]
	v_mov_b32_e32 v35, 0
	v_mov_b32_e32 v26, v29
	v_cmp_ne_u16_sdwa s[12:13], v29, v35 src0_sel:BYTE_0 src1_sel:DWORD
	v_mov_b32_e32 v36, 0
	s_and_saveexec_b64 s[14:15], s[12:13]
	s_cbranch_execz .LBB794_286
; %bb.281:
	s_movk_i32 s11, 0x80
	v_cmp_ne_u16_sdwa s[12:13], v29, s11 src0_sel:BYTE_0 src1_sel:DWORD
	v_mov_b32_e32 v36, 0xffff8000
	s_and_saveexec_b64 s[24:25], s[12:13]
	s_cbranch_execz .LBB794_285
; %bb.282:
	s_movk_i32 s11, 0x7f
	v_and_b32_e32 v30, 0x7f, v29
	v_cmp_ne_u32_e64 s[12:13], s11, v30
	v_mov_b32_e32 v36, 0x7f80
	s_and_saveexec_b64 s[26:27], s[12:13]
	s_cbranch_execz .LBB794_284
; %bb.283:
	v_and_b32_e32 v36, 7, v29
	v_ffbh_u32_e32 v36, v36
	v_min_u32_e32 v36, 32, v36
	v_lshrrev_b32_e32 v37, 3, v30
	v_subrev_u32_e32 v38, 28, v36
	v_sub_u32_e32 v36, 29, v36
	v_cmp_gt_u32_e64 s[12:13], 8, v30
	v_cndmask_b32_e64 v30, v37, v36, s[12:13]
	v_cndmask_b32_e64 v36, 0, v38, s[12:13]
	v_lshlrev_b64 v[36:37], v36, v[26:27]
	v_lshlrev_b32_e32 v27, 20, v36
	v_lshlrev_b32_e32 v36, 24, v26
	v_bfrev_b32_e32 v37, 60
	v_and_b32_e32 v27, 0x700000, v27
	v_and_b32_e32 v36, 0x80000000, v36
	v_lshl_add_u32 v30, v30, 23, v37
	v_or3_b32 v27, v36, v30, v27
	v_lshrrev_b32_e32 v36, 16, v27
.LBB794_284:
	s_or_b64 exec, exec, s[26:27]
.LBB794_285:
	s_or_b64 exec, exec, s[24:25]
.LBB794_286:
	s_or_b64 exec, exec, s[14:15]
	v_lshrrev_b16_e32 v30, 8, v26
	v_cmp_ne_u16_e64 s[12:13], 0, v30
	s_and_saveexec_b64 s[14:15], s[12:13]
	s_cbranch_execz .LBB794_292
; %bb.287:
	s_movk_i32 s11, 0x80
	v_cmp_ne_u16_e64 s[12:13], s11, v30
	v_mov_b32_e32 v35, 0xffff8000
	s_and_saveexec_b64 s[24:25], s[12:13]
	s_cbranch_execz .LBB794_291
; %bb.288:
	s_movk_i32 s11, 0x7f
	v_and_b32_e32 v27, 0x7f, v30
	v_cmp_ne_u32_e64 s[12:13], s11, v27
	v_mov_b32_e32 v35, 0x7f80
	s_and_saveexec_b64 s[26:27], s[12:13]
	s_cbranch_execz .LBB794_290
; %bb.289:
	v_and_b32_e32 v35, 7, v30
	v_ffbh_u32_e32 v38, v35
	v_min_u32_e32 v40, 32, v38
	v_subrev_u32_e32 v38, 28, v40
	v_lshlrev_b64 v[38:39], v38, v[30:31]
	v_lshrrev_b32_e32 v37, 3, v27
	v_sub_u32_e32 v30, 29, v40
	v_and_b32_e32 v38, 7, v38
	v_cmp_gt_u32_e64 s[12:13], 8, v27
	v_cndmask_b32_e64 v27, v37, v30, s[12:13]
	v_cndmask_b32_e64 v30, v35, v38, s[12:13]
	v_lshlrev_b32_e32 v26, 16, v26
	v_bfrev_b32_e32 v35, 60
	v_lshlrev_b32_e32 v30, 20, v30
	v_and_b32_e32 v26, 0x80000000, v26
	v_lshl_add_u32 v27, v27, 23, v35
	v_or3_b32 v26, v26, v27, v30
	v_lshrrev_b32_e32 v35, 16, v26
.LBB794_290:
	s_or_b64 exec, exec, s[26:27]
.LBB794_291:
	s_or_b64 exec, exec, s[24:25]
.LBB794_292:
	s_or_b64 exec, exec, s[14:15]
	s_movk_i32 s11, 0xff
	v_and_b32_sdwa v37, v29, s11 dst_sel:DWORD dst_unused:UNUSED_PAD src0_sel:WORD_1 src1_sel:DWORD
	v_lshrrev_b32_e32 v26, 16, v29
	v_cmp_ne_u16_e64 s[12:13], 0, v37
	v_mov_b32_e32 v27, 0
	v_mov_b32_e32 v30, 0
	s_and_saveexec_b64 s[14:15], s[12:13]
	s_cbranch_execz .LBB794_298
; %bb.293:
	s_movk_i32 s11, 0x80
	v_cmp_ne_u16_e64 s[12:13], s11, v37
	v_mov_b32_e32 v30, 0xffff8000
	s_and_saveexec_b64 s[24:25], s[12:13]
	s_cbranch_execz .LBB794_297
; %bb.294:
	v_bfe_u32 v37, v29, 16, 7
	s_movk_i32 s11, 0x7f
	v_cmp_ne_u32_e64 s[12:13], s11, v37
	v_mov_b32_e32 v30, 0x7f80
	s_and_saveexec_b64 s[26:27], s[12:13]
	s_cbranch_execz .LBB794_296
; %bb.295:
	v_and_b32_e32 v30, 7, v26
	v_ffbh_u32_e32 v38, v30
	v_min_u32_e32 v41, 32, v38
	v_subrev_u32_e32 v38, 28, v41
	v_lshlrev_b64 v[38:39], v38, v[26:27]
	v_lshrrev_b32_e32 v40, 3, v37
	v_sub_u32_e32 v26, 29, v41
	v_and_b32_e32 v38, 7, v38
	v_cmp_gt_u32_e64 s[12:13], 8, v37
	v_mov_b32_e32 v37, 24
	v_cndmask_b32_e64 v26, v40, v26, s[12:13]
	v_cndmask_b32_e64 v30, v30, v38, s[12:13]
	v_lshlrev_b32_sdwa v37, v37, v29 dst_sel:DWORD dst_unused:UNUSED_PAD src0_sel:DWORD src1_sel:WORD_1
	v_bfrev_b32_e32 v38, 60
	v_lshlrev_b32_e32 v30, 20, v30
	v_and_b32_e32 v37, 0x80000000, v37
	v_lshl_add_u32 v26, v26, 23, v38
	v_or3_b32 v26, v37, v26, v30
	v_lshrrev_b32_e32 v30, 16, v26
.LBB794_296:
	s_or_b64 exec, exec, s[26:27]
.LBB794_297:
	s_or_b64 exec, exec, s[24:25]
.LBB794_298:
	s_or_b64 exec, exec, s[14:15]
	s_mov_b32 s12, -1
	s_mov_b32 s13, 0xffffff
	v_cmp_lt_u64_e64 s[12:13], s[12:13], v[28:29]
	s_and_saveexec_b64 s[14:15], s[12:13]
	s_cbranch_execz .LBB794_304
; %bb.299:
	v_lshrrev_b32_e32 v26, 24, v29
	s_movk_i32 s11, 0x80
	v_cmp_ne_u32_e64 s[12:13], s11, v26
	v_mov_b32_e32 v27, 0xffff8000
	s_and_saveexec_b64 s[24:25], s[12:13]
	s_cbranch_execz .LBB794_303
; %bb.300:
	v_bfe_u32 v28, v29, 24, 7
	s_movk_i32 s11, 0x7f
	v_cmp_ne_u32_e64 s[12:13], s11, v28
	v_mov_b32_e32 v27, 0x7f80
	s_and_saveexec_b64 s[26:27], s[12:13]
	s_cbranch_execz .LBB794_302
; %bb.301:
	v_and_b32_e32 v27, 7, v26
	v_ffbh_u32_e32 v37, v27
	v_min_u32_e32 v37, 32, v37
	v_subrev_u32_e32 v38, 28, v37
	v_lshlrev_b64 v[38:39], v38, v[26:27]
	v_lshrrev_b32_e32 v29, 3, v28
	v_sub_u32_e32 v37, 29, v37
	v_and_b32_e32 v38, 7, v38
	v_cmp_gt_u32_e64 s[12:13], 8, v28
	v_cndmask_b32_e64 v28, v29, v37, s[12:13]
	v_cndmask_b32_e64 v27, v27, v38, s[12:13]
	v_lshlrev_b32_e32 v26, 24, v26
	v_bfrev_b32_e32 v29, 60
	v_lshlrev_b32_e32 v27, 20, v27
	v_and_b32_e32 v26, 0x80000000, v26
	v_lshl_add_u32 v28, v28, 23, v29
	v_or3_b32 v26, v26, v28, v27
	v_lshrrev_b32_e32 v27, 16, v26
.LBB794_302:
	s_or_b64 exec, exec, s[26:27]
.LBB794_303:
	s_or_b64 exec, exec, s[24:25]
.LBB794_304:
	s_or_b64 exec, exec, s[14:15]
	s_mov_b32 s11, 0x5040100
	v_perm_b32 v29, v34, v33, s11
	v_perm_b32 v28, v31, v32, s11
	;; [unrolled: 1-line block ×4, first 2 shown]
	v_mfma_f32_4x4x4bf16_1k a[0:3], v[2:3], v[28:29], a[0:3] cbsz:4 abid:5
	v_mov_b32_e32 v29, 0
	v_mfma_f32_4x4x4bf16_1k a[0:3], v[4:5], v[26:27], a[0:3] cbsz:4 abid:5
	v_cmp_ne_u16_sdwa s[12:13], v22, v29 src0_sel:BYTE_0 src1_sel:DWORD
	v_mov_b32_e32 v30, 0
	s_and_saveexec_b64 s[14:15], s[12:13]
	s_cbranch_execz .LBB794_310
; %bb.305:
	s_movk_i32 s11, 0x80
	v_cmp_ne_u16_sdwa s[12:13], v22, s11 src0_sel:BYTE_0 src1_sel:DWORD
	v_mov_b32_e32 v30, 0xffff8000
	s_and_saveexec_b64 s[24:25], s[12:13]
	s_cbranch_execz .LBB794_309
; %bb.306:
	s_movk_i32 s11, 0x7f
	v_and_b32_e32 v26, 0x7f, v22
	v_cmp_ne_u32_e64 s[12:13], s11, v26
	v_mov_b32_e32 v30, 0x7f80
	s_and_saveexec_b64 s[26:27], s[12:13]
	s_cbranch_execz .LBB794_308
; %bb.307:
	v_and_b32_e32 v27, 7, v22
	v_ffbh_u32_e32 v27, v27
	v_min_u32_e32 v27, 32, v27
	v_subrev_u32_e32 v30, 28, v27
	v_cmp_gt_u32_e64 s[12:13], 8, v26
	v_lshrrev_b32_e32 v28, 3, v26
	v_sub_u32_e32 v27, 29, v27
	v_cndmask_b32_e64 v26, 0, v30, s[12:13]
	v_cndmask_b32_e64 v28, v28, v27, s[12:13]
	v_lshlrev_b64 v[26:27], v26, v[22:23]
	v_lshlrev_b32_e32 v26, 20, v26
	v_lshlrev_b32_e32 v27, 24, v22
	v_bfrev_b32_e32 v30, 60
	v_and_b32_e32 v26, 0x700000, v26
	v_and_b32_e32 v27, 0x80000000, v27
	v_lshl_add_u32 v28, v28, 23, v30
	v_or3_b32 v26, v27, v28, v26
	v_lshrrev_b32_e32 v30, 16, v26
.LBB794_308:
	s_or_b64 exec, exec, s[26:27]
.LBB794_309:
	s_or_b64 exec, exec, s[24:25]
.LBB794_310:
	s_or_b64 exec, exec, s[14:15]
	v_lshrrev_b16_e32 v26, 8, v22
	v_cmp_ne_u16_e64 s[12:13], 0, v26
	s_and_saveexec_b64 s[14:15], s[12:13]
	s_cbranch_execz .LBB794_316
; %bb.311:
	s_movk_i32 s11, 0x80
	v_cmp_ne_u16_e64 s[12:13], s11, v26
	v_mov_b32_e32 v29, 0xffff8000
	s_and_saveexec_b64 s[24:25], s[12:13]
	s_cbranch_execz .LBB794_315
; %bb.312:
	s_movk_i32 s11, 0x7f
	v_and_b32_e32 v27, 0x7f, v26
	v_cmp_ne_u32_e64 s[12:13], s11, v27
	v_mov_b32_e32 v29, 0x7f80
	s_and_saveexec_b64 s[26:27], s[12:13]
	s_cbranch_execz .LBB794_314
; %bb.313:
	v_and_b32_e32 v31, 7, v26
	v_ffbh_u32_e32 v28, v31
	v_min_u32_e32 v33, 32, v28
	v_subrev_u32_e32 v28, 28, v33
	v_lshlrev_b64 v[28:29], v28, v[26:27]
	v_lshrrev_b32_e32 v32, 3, v27
	v_sub_u32_e32 v26, 29, v33
	v_and_b32_e32 v28, 7, v28
	v_cmp_gt_u32_e64 s[12:13], 8, v27
	v_cndmask_b32_e64 v26, v32, v26, s[12:13]
	v_cndmask_b32_e64 v27, v31, v28, s[12:13]
	v_lshlrev_b32_e32 v28, 16, v22
	v_bfrev_b32_e32 v29, 60
	v_lshlrev_b32_e32 v27, 20, v27
	v_and_b32_e32 v28, 0x80000000, v28
	v_lshl_add_u32 v26, v26, 23, v29
	v_or3_b32 v26, v28, v26, v27
	v_lshrrev_b32_e32 v29, 16, v26
.LBB794_314:
	s_or_b64 exec, exec, s[26:27]
.LBB794_315:
	s_or_b64 exec, exec, s[24:25]
.LBB794_316:
	s_or_b64 exec, exec, s[14:15]
	s_movk_i32 s11, 0xff
	v_and_b32_sdwa v28, v22, s11 dst_sel:DWORD dst_unused:UNUSED_PAD src0_sel:WORD_1 src1_sel:DWORD
	v_lshrrev_b32_e32 v26, 16, v22
	v_cmp_ne_u16_e64 s[12:13], 0, v28
	v_mov_b32_e32 v27, 0
	v_mov_b32_e32 v31, 0
	s_and_saveexec_b64 s[14:15], s[12:13]
	s_cbranch_execz .LBB794_322
; %bb.317:
	s_movk_i32 s11, 0x80
	v_cmp_ne_u16_e64 s[12:13], s11, v28
	v_mov_b32_e32 v31, 0xffff8000
	s_and_saveexec_b64 s[24:25], s[12:13]
	s_cbranch_execz .LBB794_321
; %bb.318:
	v_bfe_u32 v28, v22, 16, 7
	s_movk_i32 s11, 0x7f
	v_cmp_ne_u32_e64 s[12:13], s11, v28
	v_mov_b32_e32 v31, 0x7f80
	s_and_saveexec_b64 s[26:27], s[12:13]
	s_cbranch_execz .LBB794_320
; %bb.319:
	v_and_b32_e32 v31, 7, v26
	v_ffbh_u32_e32 v32, v31
	v_min_u32_e32 v35, 32, v32
	v_subrev_u32_e32 v32, 28, v35
	v_lshlrev_b64 v[32:33], v32, v[26:27]
	v_and_b32_e32 v32, 7, v32
	v_cmp_gt_u32_e64 s[12:13], 8, v28
	v_lshrrev_b32_e32 v34, 3, v28
	v_sub_u32_e32 v26, 29, v35
	v_cndmask_b32_e64 v28, v31, v32, s[12:13]
	v_mov_b32_e32 v31, 24
	v_cndmask_b32_e64 v26, v34, v26, s[12:13]
	v_lshlrev_b32_sdwa v31, v31, v22 dst_sel:DWORD dst_unused:UNUSED_PAD src0_sel:DWORD src1_sel:WORD_1
	v_bfrev_b32_e32 v32, 60
	v_lshlrev_b32_e32 v28, 20, v28
	v_and_b32_e32 v31, 0x80000000, v31
	v_lshl_add_u32 v26, v26, 23, v32
	v_or3_b32 v26, v31, v26, v28
	v_lshrrev_b32_e32 v31, 16, v26
.LBB794_320:
	s_or_b64 exec, exec, s[26:27]
.LBB794_321:
	s_or_b64 exec, exec, s[24:25]
.LBB794_322:
	s_or_b64 exec, exec, s[14:15]
	s_mov_b32 s11, 0xffffff
	v_cmp_lt_u32_e64 s[12:13], s11, v22
	v_mov_b32_e32 v32, 0
	s_and_saveexec_b64 s[14:15], s[12:13]
	s_cbranch_execz .LBB794_328
; %bb.323:
	v_lshrrev_b32_e32 v26, 24, v22
	s_movk_i32 s11, 0x80
	v_cmp_ne_u32_e64 s[12:13], s11, v26
	v_mov_b32_e32 v32, 0xffff8000
	s_and_saveexec_b64 s[24:25], s[12:13]
	s_cbranch_execz .LBB794_327
; %bb.324:
	v_bfe_u32 v28, v22, 24, 7
	s_movk_i32 s11, 0x7f
	v_cmp_ne_u32_e64 s[12:13], s11, v28
	v_mov_b32_e32 v32, 0x7f80
	s_and_saveexec_b64 s[26:27], s[12:13]
	s_cbranch_execz .LBB794_326
; %bb.325:
	v_and_b32_e32 v34, 7, v26
	v_ffbh_u32_e32 v32, v34
	v_min_u32_e32 v36, 32, v32
	v_subrev_u32_e32 v32, 28, v36
	v_lshlrev_b64 v[32:33], v32, v[26:27]
	v_lshrrev_b32_e32 v35, 3, v28
	v_sub_u32_e32 v33, 29, v36
	v_and_b32_e32 v32, 7, v32
	v_cmp_gt_u32_e64 s[12:13], 8, v28
	v_cndmask_b32_e64 v28, v35, v33, s[12:13]
	v_cndmask_b32_e64 v32, v34, v32, s[12:13]
	v_lshlrev_b32_e32 v26, 24, v26
	v_bfrev_b32_e32 v33, 60
	v_lshlrev_b32_e32 v32, 20, v32
	v_and_b32_e32 v26, 0x80000000, v26
	v_lshl_add_u32 v28, v28, 23, v33
	v_or3_b32 v26, v26, v28, v32
	v_lshrrev_b32_e32 v32, 16, v26
.LBB794_326:
	s_or_b64 exec, exec, s[26:27]
.LBB794_327:
	s_or_b64 exec, exec, s[24:25]
.LBB794_328:
	s_or_b64 exec, exec, s[14:15]
	v_mov_b32_e32 v33, 0
	v_mov_b32_e32 v26, v23
	v_cmp_ne_u16_sdwa s[12:13], v23, v33 src0_sel:BYTE_0 src1_sel:DWORD
	v_mov_b32_e32 v34, 0
	s_and_saveexec_b64 s[14:15], s[12:13]
	s_cbranch_execz .LBB794_334
; %bb.329:
	s_movk_i32 s11, 0x80
	v_cmp_ne_u16_sdwa s[12:13], v23, s11 src0_sel:BYTE_0 src1_sel:DWORD
	v_mov_b32_e32 v34, 0xffff8000
	s_and_saveexec_b64 s[24:25], s[12:13]
	s_cbranch_execz .LBB794_333
; %bb.330:
	s_movk_i32 s11, 0x7f
	v_and_b32_e32 v28, 0x7f, v23
	v_cmp_ne_u32_e64 s[12:13], s11, v28
	v_mov_b32_e32 v34, 0x7f80
	s_and_saveexec_b64 s[26:27], s[12:13]
	s_cbranch_execz .LBB794_332
; %bb.331:
	v_and_b32_e32 v34, 7, v23
	v_ffbh_u32_e32 v34, v34
	v_min_u32_e32 v34, 32, v34
	v_lshrrev_b32_e32 v35, 3, v28
	v_subrev_u32_e32 v36, 28, v34
	v_sub_u32_e32 v34, 29, v34
	v_cmp_gt_u32_e64 s[12:13], 8, v28
	v_cndmask_b32_e64 v28, v35, v34, s[12:13]
	v_cndmask_b32_e64 v34, 0, v36, s[12:13]
	v_lshlrev_b64 v[34:35], v34, v[26:27]
	v_lshlrev_b32_e32 v27, 20, v34
	v_lshlrev_b32_e32 v34, 24, v26
	v_bfrev_b32_e32 v35, 60
	v_and_b32_e32 v27, 0x700000, v27
	v_and_b32_e32 v34, 0x80000000, v34
	v_lshl_add_u32 v28, v28, 23, v35
	v_or3_b32 v27, v34, v28, v27
	v_lshrrev_b32_e32 v34, 16, v27
.LBB794_332:
	s_or_b64 exec, exec, s[26:27]
.LBB794_333:
	s_or_b64 exec, exec, s[24:25]
.LBB794_334:
	s_or_b64 exec, exec, s[14:15]
	v_lshrrev_b16_e32 v28, 8, v26
	v_cmp_ne_u16_e64 s[12:13], 0, v28
	s_and_saveexec_b64 s[14:15], s[12:13]
	s_cbranch_execz .LBB794_340
; %bb.335:
	s_movk_i32 s11, 0x80
	v_cmp_ne_u16_e64 s[12:13], s11, v28
	v_mov_b32_e32 v33, 0xffff8000
	s_and_saveexec_b64 s[24:25], s[12:13]
	s_cbranch_execz .LBB794_339
; %bb.336:
	s_movk_i32 s11, 0x7f
	v_and_b32_e32 v27, 0x7f, v28
	v_cmp_ne_u32_e64 s[12:13], s11, v27
	v_mov_b32_e32 v33, 0x7f80
	s_and_saveexec_b64 s[26:27], s[12:13]
	s_cbranch_execz .LBB794_338
; %bb.337:
	v_and_b32_e32 v33, 7, v28
	v_ffbh_u32_e32 v36, v33
	v_min_u32_e32 v38, 32, v36
	v_subrev_u32_e32 v36, 28, v38
	v_lshlrev_b64 v[36:37], v36, v[28:29]
	v_lshrrev_b32_e32 v35, 3, v27
	v_sub_u32_e32 v28, 29, v38
	v_and_b32_e32 v36, 7, v36
	v_cmp_gt_u32_e64 s[12:13], 8, v27
	v_cndmask_b32_e64 v27, v35, v28, s[12:13]
	v_cndmask_b32_e64 v28, v33, v36, s[12:13]
	v_lshlrev_b32_e32 v26, 16, v26
	v_bfrev_b32_e32 v33, 60
	v_lshlrev_b32_e32 v28, 20, v28
	v_and_b32_e32 v26, 0x80000000, v26
	v_lshl_add_u32 v27, v27, 23, v33
	v_or3_b32 v26, v26, v27, v28
	v_lshrrev_b32_e32 v33, 16, v26
.LBB794_338:
	s_or_b64 exec, exec, s[26:27]
.LBB794_339:
	s_or_b64 exec, exec, s[24:25]
.LBB794_340:
	s_or_b64 exec, exec, s[14:15]
	s_movk_i32 s11, 0xff
	v_and_b32_sdwa v35, v23, s11 dst_sel:DWORD dst_unused:UNUSED_PAD src0_sel:WORD_1 src1_sel:DWORD
	v_lshrrev_b32_e32 v26, 16, v23
	v_cmp_ne_u16_e64 s[12:13], 0, v35
	v_mov_b32_e32 v27, 0
	v_mov_b32_e32 v28, 0
	s_and_saveexec_b64 s[14:15], s[12:13]
	s_cbranch_execz .LBB794_346
; %bb.341:
	s_movk_i32 s11, 0x80
	v_cmp_ne_u16_e64 s[12:13], s11, v35
	v_mov_b32_e32 v28, 0xffff8000
	s_and_saveexec_b64 s[24:25], s[12:13]
	s_cbranch_execz .LBB794_345
; %bb.342:
	v_bfe_u32 v35, v23, 16, 7
	s_movk_i32 s11, 0x7f
	v_cmp_ne_u32_e64 s[12:13], s11, v35
	v_mov_b32_e32 v28, 0x7f80
	s_and_saveexec_b64 s[26:27], s[12:13]
	s_cbranch_execz .LBB794_344
; %bb.343:
	v_and_b32_e32 v28, 7, v26
	v_ffbh_u32_e32 v36, v28
	v_min_u32_e32 v39, 32, v36
	v_subrev_u32_e32 v36, 28, v39
	v_lshlrev_b64 v[36:37], v36, v[26:27]
	v_lshrrev_b32_e32 v38, 3, v35
	v_sub_u32_e32 v26, 29, v39
	v_and_b32_e32 v36, 7, v36
	v_cmp_gt_u32_e64 s[12:13], 8, v35
	v_mov_b32_e32 v35, 24
	v_cndmask_b32_e64 v26, v38, v26, s[12:13]
	v_cndmask_b32_e64 v28, v28, v36, s[12:13]
	v_lshlrev_b32_sdwa v35, v35, v23 dst_sel:DWORD dst_unused:UNUSED_PAD src0_sel:DWORD src1_sel:WORD_1
	v_bfrev_b32_e32 v36, 60
	v_lshlrev_b32_e32 v28, 20, v28
	v_and_b32_e32 v35, 0x80000000, v35
	v_lshl_add_u32 v26, v26, 23, v36
	v_or3_b32 v26, v35, v26, v28
	v_lshrrev_b32_e32 v28, 16, v26
.LBB794_344:
	s_or_b64 exec, exec, s[26:27]
.LBB794_345:
	s_or_b64 exec, exec, s[24:25]
.LBB794_346:
	s_or_b64 exec, exec, s[14:15]
	s_mov_b32 s12, -1
	s_mov_b32 s13, 0xffffff
	v_cmp_lt_u64_e64 s[12:13], s[12:13], v[22:23]
	s_and_saveexec_b64 s[14:15], s[12:13]
	s_cbranch_execz .LBB794_352
; %bb.347:
	v_lshrrev_b32_e32 v22, 24, v23
	s_movk_i32 s11, 0x80
	v_cmp_ne_u32_e64 s[12:13], s11, v22
	v_mov_b32_e32 v27, 0xffff8000
	s_and_saveexec_b64 s[24:25], s[12:13]
	s_cbranch_execz .LBB794_351
; %bb.348:
	v_bfe_u32 v23, v23, 24, 7
	s_movk_i32 s11, 0x7f
	v_cmp_ne_u32_e64 s[12:13], s11, v23
	v_mov_b32_e32 v27, 0x7f80
	s_and_saveexec_b64 s[26:27], s[12:13]
	s_cbranch_execz .LBB794_350
; %bb.349:
	v_and_b32_e32 v35, 7, v22
	v_ffbh_u32_e32 v26, v35
	v_min_u32_e32 v37, 32, v26
	v_subrev_u32_e32 v26, 28, v37
	v_lshlrev_b64 v[26:27], v26, v[22:23]
	v_lshrrev_b32_e32 v36, 3, v23
	v_sub_u32_e32 v27, 29, v37
	v_and_b32_e32 v26, 7, v26
	v_cmp_gt_u32_e64 s[12:13], 8, v23
	v_cndmask_b32_e64 v23, v36, v27, s[12:13]
	v_cndmask_b32_e64 v26, v35, v26, s[12:13]
	v_lshlrev_b32_e32 v22, 24, v22
	v_bfrev_b32_e32 v27, 60
	v_lshlrev_b32_e32 v26, 20, v26
	v_and_b32_e32 v22, 0x80000000, v22
	v_lshl_add_u32 v23, v23, 23, v27
	v_or3_b32 v22, v22, v23, v26
	v_lshrrev_b32_e32 v27, 16, v22
.LBB794_350:
	s_or_b64 exec, exec, s[26:27]
.LBB794_351:
	s_or_b64 exec, exec, s[24:25]
.LBB794_352:
	s_or_b64 exec, exec, s[14:15]
	s_mov_b32 s11, 0x5040100
	v_perm_b32 v23, v32, v31, s11
	v_perm_b32 v22, v29, v30, s11
	;; [unrolled: 1-line block ×4, first 2 shown]
	v_mfma_f32_4x4x4bf16_1k a[0:3], v[2:3], v[22:23], a[0:3] cbsz:4 abid:6
	v_mov_b32_e32 v28, 0
	v_mfma_f32_4x4x4bf16_1k a[0:3], v[4:5], v[26:27], a[0:3] cbsz:4 abid:6
	v_mov_b32_e32 v27, 0
	v_cmp_ne_u16_sdwa s[12:13], v24, v27 src0_sel:BYTE_0 src1_sel:DWORD
	s_and_saveexec_b64 s[14:15], s[12:13]
	s_cbranch_execz .LBB794_358
; %bb.353:
	s_movk_i32 s11, 0x80
	v_cmp_ne_u16_sdwa s[12:13], v24, s11 src0_sel:BYTE_0 src1_sel:DWORD
	v_mov_b32_e32 v28, 0xffff8000
	s_and_saveexec_b64 s[24:25], s[12:13]
	s_cbranch_execz .LBB794_357
; %bb.354:
	s_movk_i32 s11, 0x7f
	v_and_b32_e32 v22, 0x7f, v24
	v_cmp_ne_u32_e64 s[12:13], s11, v22
	v_mov_b32_e32 v28, 0x7f80
	s_and_saveexec_b64 s[26:27], s[12:13]
	s_cbranch_execz .LBB794_356
; %bb.355:
	v_and_b32_e32 v23, 7, v24
	v_ffbh_u32_e32 v23, v23
	v_min_u32_e32 v23, 32, v23
	v_subrev_u32_e32 v28, 28, v23
	v_cmp_gt_u32_e64 s[12:13], 8, v22
	v_lshrrev_b32_e32 v26, 3, v22
	v_sub_u32_e32 v23, 29, v23
	v_cndmask_b32_e64 v22, 0, v28, s[12:13]
	v_cndmask_b32_e64 v26, v26, v23, s[12:13]
	v_lshlrev_b64 v[22:23], v22, v[24:25]
	v_lshlrev_b32_e32 v22, 20, v22
	v_lshlrev_b32_e32 v23, 24, v24
	v_bfrev_b32_e32 v28, 60
	v_and_b32_e32 v22, 0x700000, v22
	v_and_b32_e32 v23, 0x80000000, v23
	v_lshl_add_u32 v26, v26, 23, v28
	v_or3_b32 v22, v23, v26, v22
	v_lshrrev_b32_e32 v28, 16, v22
.LBB794_356:
	s_or_b64 exec, exec, s[26:27]
.LBB794_357:
	s_or_b64 exec, exec, s[24:25]
.LBB794_358:
	s_or_b64 exec, exec, s[14:15]
	v_lshrrev_b16_e32 v22, 8, v24
	v_cmp_ne_u16_e64 s[12:13], 0, v22
	s_and_saveexec_b64 s[14:15], s[12:13]
	s_cbranch_execz .LBB794_364
; %bb.359:
	s_movk_i32 s11, 0x80
	v_cmp_ne_u16_e64 s[12:13], s11, v22
	v_mov_b32_e32 v27, 0xffff8000
	s_and_saveexec_b64 s[24:25], s[12:13]
	s_cbranch_execz .LBB794_363
; %bb.360:
	s_movk_i32 s11, 0x7f
	v_and_b32_e32 v23, 0x7f, v22
	v_cmp_ne_u32_e64 s[12:13], s11, v23
	v_mov_b32_e32 v27, 0x7f80
	s_and_saveexec_b64 s[26:27], s[12:13]
	s_cbranch_execz .LBB794_362
; %bb.361:
	v_and_b32_e32 v29, 7, v22
	v_ffbh_u32_e32 v26, v29
	v_min_u32_e32 v31, 32, v26
	v_subrev_u32_e32 v26, 28, v31
	v_lshlrev_b64 v[26:27], v26, v[22:23]
	v_lshrrev_b32_e32 v30, 3, v23
	v_sub_u32_e32 v22, 29, v31
	v_and_b32_e32 v26, 7, v26
	v_cmp_gt_u32_e64 s[12:13], 8, v23
	v_cndmask_b32_e64 v22, v30, v22, s[12:13]
	v_cndmask_b32_e64 v23, v29, v26, s[12:13]
	v_lshlrev_b32_e32 v26, 16, v24
	v_bfrev_b32_e32 v27, 60
	v_lshlrev_b32_e32 v23, 20, v23
	v_and_b32_e32 v26, 0x80000000, v26
	v_lshl_add_u32 v22, v22, 23, v27
	v_or3_b32 v22, v26, v22, v23
	v_lshrrev_b32_e32 v27, 16, v22
.LBB794_362:
	s_or_b64 exec, exec, s[26:27]
.LBB794_363:
	s_or_b64 exec, exec, s[24:25]
.LBB794_364:
	s_or_b64 exec, exec, s[14:15]
	s_movk_i32 s11, 0xff
	v_and_b32_sdwa v26, v24, s11 dst_sel:DWORD dst_unused:UNUSED_PAD src0_sel:WORD_1 src1_sel:DWORD
	v_lshrrev_b32_e32 v22, 16, v24
	v_cmp_ne_u16_e64 s[12:13], 0, v26
	v_mov_b32_e32 v23, 0
	v_mov_b32_e32 v29, 0
	s_and_saveexec_b64 s[14:15], s[12:13]
	s_cbranch_execz .LBB794_370
; %bb.365:
	s_movk_i32 s11, 0x80
	v_cmp_ne_u16_e64 s[12:13], s11, v26
	v_mov_b32_e32 v29, 0xffff8000
	s_and_saveexec_b64 s[24:25], s[12:13]
	s_cbranch_execz .LBB794_369
; %bb.366:
	v_bfe_u32 v26, v24, 16, 7
	s_movk_i32 s11, 0x7f
	v_cmp_ne_u32_e64 s[12:13], s11, v26
	v_mov_b32_e32 v29, 0x7f80
	s_and_saveexec_b64 s[26:27], s[12:13]
	s_cbranch_execz .LBB794_368
; %bb.367:
	v_and_b32_e32 v29, 7, v22
	v_ffbh_u32_e32 v30, v29
	v_min_u32_e32 v33, 32, v30
	v_subrev_u32_e32 v30, 28, v33
	v_lshlrev_b64 v[30:31], v30, v[22:23]
	v_and_b32_e32 v30, 7, v30
	v_cmp_gt_u32_e64 s[12:13], 8, v26
	v_lshrrev_b32_e32 v32, 3, v26
	v_sub_u32_e32 v22, 29, v33
	v_cndmask_b32_e64 v26, v29, v30, s[12:13]
	v_mov_b32_e32 v29, 24
	v_cndmask_b32_e64 v22, v32, v22, s[12:13]
	v_lshlrev_b32_sdwa v29, v29, v24 dst_sel:DWORD dst_unused:UNUSED_PAD src0_sel:DWORD src1_sel:WORD_1
	v_bfrev_b32_e32 v30, 60
	v_lshlrev_b32_e32 v26, 20, v26
	v_and_b32_e32 v29, 0x80000000, v29
	v_lshl_add_u32 v22, v22, 23, v30
	v_or3_b32 v22, v29, v22, v26
	v_lshrrev_b32_e32 v29, 16, v22
.LBB794_368:
	s_or_b64 exec, exec, s[26:27]
.LBB794_369:
	s_or_b64 exec, exec, s[24:25]
.LBB794_370:
	s_or_b64 exec, exec, s[14:15]
	s_mov_b32 s11, 0xffffff
	v_cmp_lt_u32_e64 s[12:13], s11, v24
	v_mov_b32_e32 v30, 0
	s_and_saveexec_b64 s[14:15], s[12:13]
	s_cbranch_execz .LBB794_376
; %bb.371:
	v_lshrrev_b32_e32 v22, 24, v24
	s_movk_i32 s11, 0x80
	v_cmp_ne_u32_e64 s[12:13], s11, v22
	v_mov_b32_e32 v30, 0xffff8000
	s_and_saveexec_b64 s[24:25], s[12:13]
	s_cbranch_execz .LBB794_375
; %bb.372:
	v_bfe_u32 v26, v24, 24, 7
	s_movk_i32 s11, 0x7f
	v_cmp_ne_u32_e64 s[12:13], s11, v26
	v_mov_b32_e32 v30, 0x7f80
	s_and_saveexec_b64 s[26:27], s[12:13]
	s_cbranch_execz .LBB794_374
; %bb.373:
	v_and_b32_e32 v32, 7, v22
	v_ffbh_u32_e32 v30, v32
	v_min_u32_e32 v34, 32, v30
	v_subrev_u32_e32 v30, 28, v34
	v_lshlrev_b64 v[30:31], v30, v[22:23]
	v_lshrrev_b32_e32 v33, 3, v26
	v_sub_u32_e32 v31, 29, v34
	v_and_b32_e32 v30, 7, v30
	v_cmp_gt_u32_e64 s[12:13], 8, v26
	v_cndmask_b32_e64 v26, v33, v31, s[12:13]
	v_cndmask_b32_e64 v30, v32, v30, s[12:13]
	v_lshlrev_b32_e32 v22, 24, v22
	v_bfrev_b32_e32 v31, 60
	v_lshlrev_b32_e32 v30, 20, v30
	v_and_b32_e32 v22, 0x80000000, v22
	v_lshl_add_u32 v26, v26, 23, v31
	v_or3_b32 v22, v22, v26, v30
	v_lshrrev_b32_e32 v30, 16, v22
.LBB794_374:
	s_or_b64 exec, exec, s[26:27]
.LBB794_375:
	s_or_b64 exec, exec, s[24:25]
.LBB794_376:
	s_or_b64 exec, exec, s[14:15]
	v_mov_b32_e32 v31, 0
	v_mov_b32_e32 v22, v25
	v_cmp_ne_u16_sdwa s[12:13], v25, v31 src0_sel:BYTE_0 src1_sel:DWORD
	v_mov_b32_e32 v32, 0
	s_and_saveexec_b64 s[14:15], s[12:13]
	s_cbranch_execz .LBB794_382
; %bb.377:
	s_movk_i32 s11, 0x80
	v_cmp_ne_u16_sdwa s[12:13], v25, s11 src0_sel:BYTE_0 src1_sel:DWORD
	v_mov_b32_e32 v32, 0xffff8000
	s_and_saveexec_b64 s[24:25], s[12:13]
	s_cbranch_execz .LBB794_381
; %bb.378:
	s_movk_i32 s11, 0x7f
	v_and_b32_e32 v26, 0x7f, v25
	v_cmp_ne_u32_e64 s[12:13], s11, v26
	v_mov_b32_e32 v32, 0x7f80
	s_and_saveexec_b64 s[26:27], s[12:13]
	s_cbranch_execz .LBB794_380
; %bb.379:
	v_and_b32_e32 v32, 7, v25
	v_ffbh_u32_e32 v32, v32
	v_min_u32_e32 v32, 32, v32
	v_lshrrev_b32_e32 v33, 3, v26
	v_subrev_u32_e32 v34, 28, v32
	v_sub_u32_e32 v32, 29, v32
	v_cmp_gt_u32_e64 s[12:13], 8, v26
	v_cndmask_b32_e64 v26, v33, v32, s[12:13]
	v_cndmask_b32_e64 v32, 0, v34, s[12:13]
	v_lshlrev_b64 v[32:33], v32, v[22:23]
	v_lshlrev_b32_e32 v23, 20, v32
	v_lshlrev_b32_e32 v32, 24, v22
	v_bfrev_b32_e32 v33, 60
	v_and_b32_e32 v23, 0x700000, v23
	v_and_b32_e32 v32, 0x80000000, v32
	v_lshl_add_u32 v26, v26, 23, v33
	v_or3_b32 v23, v32, v26, v23
	v_lshrrev_b32_e32 v32, 16, v23
.LBB794_380:
	s_or_b64 exec, exec, s[26:27]
.LBB794_381:
	s_or_b64 exec, exec, s[24:25]
.LBB794_382:
	s_or_b64 exec, exec, s[14:15]
	v_lshrrev_b16_e32 v26, 8, v22
	v_cmp_ne_u16_e64 s[12:13], 0, v26
	s_and_saveexec_b64 s[14:15], s[12:13]
	s_cbranch_execz .LBB794_388
; %bb.383:
	s_movk_i32 s11, 0x80
	v_cmp_ne_u16_e64 s[12:13], s11, v26
	v_mov_b32_e32 v31, 0xffff8000
	s_and_saveexec_b64 s[24:25], s[12:13]
	s_cbranch_execz .LBB794_387
; %bb.384:
	s_movk_i32 s11, 0x7f
	v_and_b32_e32 v23, 0x7f, v26
	v_cmp_ne_u32_e64 s[12:13], s11, v23
	v_mov_b32_e32 v31, 0x7f80
	s_and_saveexec_b64 s[26:27], s[12:13]
	s_cbranch_execz .LBB794_386
; %bb.385:
	v_and_b32_e32 v31, 7, v26
	v_ffbh_u32_e32 v34, v31
	v_min_u32_e32 v36, 32, v34
	v_subrev_u32_e32 v34, 28, v36
	v_lshlrev_b64 v[34:35], v34, v[26:27]
	v_lshrrev_b32_e32 v33, 3, v23
	v_sub_u32_e32 v26, 29, v36
	v_and_b32_e32 v34, 7, v34
	v_cmp_gt_u32_e64 s[12:13], 8, v23
	v_cndmask_b32_e64 v23, v33, v26, s[12:13]
	v_cndmask_b32_e64 v26, v31, v34, s[12:13]
	v_lshlrev_b32_e32 v22, 16, v22
	v_bfrev_b32_e32 v31, 60
	v_lshlrev_b32_e32 v26, 20, v26
	v_and_b32_e32 v22, 0x80000000, v22
	v_lshl_add_u32 v23, v23, 23, v31
	v_or3_b32 v22, v22, v23, v26
	v_lshrrev_b32_e32 v31, 16, v22
.LBB794_386:
	s_or_b64 exec, exec, s[26:27]
.LBB794_387:
	s_or_b64 exec, exec, s[24:25]
.LBB794_388:
	s_or_b64 exec, exec, s[14:15]
	s_movk_i32 s11, 0xff
	v_and_b32_sdwa v33, v25, s11 dst_sel:DWORD dst_unused:UNUSED_PAD src0_sel:WORD_1 src1_sel:DWORD
	v_lshrrev_b32_e32 v22, 16, v25
	v_cmp_ne_u16_e64 s[12:13], 0, v33
	v_mov_b32_e32 v23, 0
	v_mov_b32_e32 v26, 0
	s_and_saveexec_b64 s[14:15], s[12:13]
	s_cbranch_execz .LBB794_394
; %bb.389:
	s_movk_i32 s11, 0x80
	v_cmp_ne_u16_e64 s[12:13], s11, v33
	v_mov_b32_e32 v26, 0xffff8000
	s_and_saveexec_b64 s[24:25], s[12:13]
	s_cbranch_execz .LBB794_393
; %bb.390:
	v_bfe_u32 v33, v25, 16, 7
	s_movk_i32 s11, 0x7f
	v_cmp_ne_u32_e64 s[12:13], s11, v33
	v_mov_b32_e32 v26, 0x7f80
	s_and_saveexec_b64 s[26:27], s[12:13]
	s_cbranch_execz .LBB794_392
; %bb.391:
	v_and_b32_e32 v26, 7, v22
	v_ffbh_u32_e32 v34, v26
	v_min_u32_e32 v37, 32, v34
	v_subrev_u32_e32 v34, 28, v37
	v_lshlrev_b64 v[34:35], v34, v[22:23]
	v_lshrrev_b32_e32 v36, 3, v33
	v_sub_u32_e32 v22, 29, v37
	v_and_b32_e32 v34, 7, v34
	v_cmp_gt_u32_e64 s[12:13], 8, v33
	v_mov_b32_e32 v33, 24
	v_cndmask_b32_e64 v22, v36, v22, s[12:13]
	v_cndmask_b32_e64 v26, v26, v34, s[12:13]
	v_lshlrev_b32_sdwa v33, v33, v25 dst_sel:DWORD dst_unused:UNUSED_PAD src0_sel:DWORD src1_sel:WORD_1
	v_bfrev_b32_e32 v34, 60
	v_lshlrev_b32_e32 v26, 20, v26
	v_and_b32_e32 v33, 0x80000000, v33
	v_lshl_add_u32 v22, v22, 23, v34
	v_or3_b32 v22, v33, v22, v26
	v_lshrrev_b32_e32 v26, 16, v22
.LBB794_392:
	s_or_b64 exec, exec, s[26:27]
.LBB794_393:
	s_or_b64 exec, exec, s[24:25]
.LBB794_394:
	s_or_b64 exec, exec, s[14:15]
	s_mov_b32 s12, -1
	s_mov_b32 s13, 0xffffff
	v_cmp_lt_u64_e64 s[12:13], s[12:13], v[24:25]
	s_and_saveexec_b64 s[14:15], s[12:13]
	s_cbranch_execz .LBB794_400
; %bb.395:
	v_lshrrev_b32_e32 v22, 24, v25
	s_movk_i32 s11, 0x80
	v_cmp_ne_u32_e64 s[12:13], s11, v22
	v_mov_b32_e32 v23, 0xffff8000
	s_and_saveexec_b64 s[24:25], s[12:13]
	s_cbranch_execz .LBB794_399
; %bb.396:
	v_bfe_u32 v24, v25, 24, 7
	s_movk_i32 s11, 0x7f
	v_cmp_ne_u32_e64 s[12:13], s11, v24
	v_mov_b32_e32 v23, 0x7f80
	s_and_saveexec_b64 s[26:27], s[12:13]
	s_cbranch_execz .LBB794_398
; %bb.397:
	v_and_b32_e32 v23, 7, v22
	v_ffbh_u32_e32 v33, v23
	v_min_u32_e32 v33, 32, v33
	v_subrev_u32_e32 v34, 28, v33
	v_lshlrev_b64 v[34:35], v34, v[22:23]
	v_lshrrev_b32_e32 v25, 3, v24
	v_sub_u32_e32 v33, 29, v33
	v_and_b32_e32 v34, 7, v34
	v_cmp_gt_u32_e64 s[12:13], 8, v24
	v_cndmask_b32_e64 v24, v25, v33, s[12:13]
	v_cndmask_b32_e64 v23, v23, v34, s[12:13]
	v_lshlrev_b32_e32 v22, 24, v22
	v_bfrev_b32_e32 v25, 60
	v_lshlrev_b32_e32 v23, 20, v23
	v_and_b32_e32 v22, 0x80000000, v22
	v_lshl_add_u32 v24, v24, 23, v25
	v_or3_b32 v22, v22, v24, v23
	v_lshrrev_b32_e32 v23, 16, v22
.LBB794_398:
	s_or_b64 exec, exec, s[26:27]
.LBB794_399:
	s_or_b64 exec, exec, s[24:25]
.LBB794_400:
	s_or_b64 exec, exec, s[14:15]
	s_mov_b32 s11, 0x5040100
	v_perm_b32 v25, v30, v29, s11
	v_perm_b32 v24, v27, v28, s11
	;; [unrolled: 1-line block ×4, first 2 shown]
	v_mfma_f32_4x4x4bf16_1k a[0:3], v[2:3], v[24:25], a[0:3] cbsz:4 abid:7
	v_mov_b32_e32 v25, 0
	v_mfma_f32_4x4x4bf16_1k a[0:3], v[4:5], v[22:23], a[0:3] cbsz:4 abid:7
	v_cmp_ne_u16_sdwa s[12:13], v18, v25 src0_sel:BYTE_0 src1_sel:DWORD
	v_mov_b32_e32 v26, 0
	s_and_saveexec_b64 s[14:15], s[12:13]
	s_cbranch_execz .LBB794_406
; %bb.401:
	s_movk_i32 s11, 0x80
	v_cmp_ne_u16_sdwa s[12:13], v18, s11 src0_sel:BYTE_0 src1_sel:DWORD
	v_mov_b32_e32 v26, 0xffff8000
	s_and_saveexec_b64 s[24:25], s[12:13]
	s_cbranch_execz .LBB794_405
; %bb.402:
	s_movk_i32 s11, 0x7f
	v_and_b32_e32 v22, 0x7f, v18
	v_cmp_ne_u32_e64 s[12:13], s11, v22
	v_mov_b32_e32 v26, 0x7f80
	s_and_saveexec_b64 s[26:27], s[12:13]
	s_cbranch_execz .LBB794_404
; %bb.403:
	v_and_b32_e32 v23, 7, v18
	v_ffbh_u32_e32 v23, v23
	v_min_u32_e32 v23, 32, v23
	v_subrev_u32_e32 v26, 28, v23
	v_cmp_gt_u32_e64 s[12:13], 8, v22
	v_lshrrev_b32_e32 v24, 3, v22
	v_sub_u32_e32 v23, 29, v23
	v_cndmask_b32_e64 v22, 0, v26, s[12:13]
	v_cndmask_b32_e64 v24, v24, v23, s[12:13]
	v_lshlrev_b64 v[22:23], v22, v[18:19]
	v_lshlrev_b32_e32 v22, 20, v22
	v_lshlrev_b32_e32 v23, 24, v18
	v_bfrev_b32_e32 v26, 60
	v_and_b32_e32 v22, 0x700000, v22
	v_and_b32_e32 v23, 0x80000000, v23
	v_lshl_add_u32 v24, v24, 23, v26
	v_or3_b32 v22, v23, v24, v22
	v_lshrrev_b32_e32 v26, 16, v22
.LBB794_404:
	s_or_b64 exec, exec, s[26:27]
.LBB794_405:
	s_or_b64 exec, exec, s[24:25]
.LBB794_406:
	s_or_b64 exec, exec, s[14:15]
	v_lshrrev_b16_e32 v22, 8, v18
	v_cmp_ne_u16_e64 s[12:13], 0, v22
	s_and_saveexec_b64 s[14:15], s[12:13]
	s_cbranch_execz .LBB794_412
; %bb.407:
	s_movk_i32 s11, 0x80
	v_cmp_ne_u16_e64 s[12:13], s11, v22
	v_mov_b32_e32 v25, 0xffff8000
	s_and_saveexec_b64 s[24:25], s[12:13]
	s_cbranch_execz .LBB794_411
; %bb.408:
	s_movk_i32 s11, 0x7f
	v_and_b32_e32 v23, 0x7f, v22
	v_cmp_ne_u32_e64 s[12:13], s11, v23
	v_mov_b32_e32 v25, 0x7f80
	s_and_saveexec_b64 s[26:27], s[12:13]
	s_cbranch_execz .LBB794_410
; %bb.409:
	v_and_b32_e32 v27, 7, v22
	v_ffbh_u32_e32 v24, v27
	v_min_u32_e32 v29, 32, v24
	v_subrev_u32_e32 v24, 28, v29
	v_lshlrev_b64 v[24:25], v24, v[22:23]
	v_lshrrev_b32_e32 v28, 3, v23
	v_sub_u32_e32 v22, 29, v29
	v_and_b32_e32 v24, 7, v24
	v_cmp_gt_u32_e64 s[12:13], 8, v23
	v_cndmask_b32_e64 v22, v28, v22, s[12:13]
	v_cndmask_b32_e64 v23, v27, v24, s[12:13]
	v_lshlrev_b32_e32 v24, 16, v18
	v_bfrev_b32_e32 v25, 60
	v_lshlrev_b32_e32 v23, 20, v23
	v_and_b32_e32 v24, 0x80000000, v24
	v_lshl_add_u32 v22, v22, 23, v25
	v_or3_b32 v22, v24, v22, v23
	v_lshrrev_b32_e32 v25, 16, v22
.LBB794_410:
	s_or_b64 exec, exec, s[26:27]
.LBB794_411:
	s_or_b64 exec, exec, s[24:25]
.LBB794_412:
	s_or_b64 exec, exec, s[14:15]
	s_movk_i32 s11, 0xff
	v_and_b32_sdwa v24, v18, s11 dst_sel:DWORD dst_unused:UNUSED_PAD src0_sel:WORD_1 src1_sel:DWORD
	v_lshrrev_b32_e32 v22, 16, v18
	v_cmp_ne_u16_e64 s[12:13], 0, v24
	v_mov_b32_e32 v23, 0
	v_mov_b32_e32 v27, 0
	s_and_saveexec_b64 s[14:15], s[12:13]
	s_cbranch_execz .LBB794_418
; %bb.413:
	s_movk_i32 s11, 0x80
	v_cmp_ne_u16_e64 s[12:13], s11, v24
	v_mov_b32_e32 v27, 0xffff8000
	s_and_saveexec_b64 s[24:25], s[12:13]
	s_cbranch_execz .LBB794_417
; %bb.414:
	v_bfe_u32 v24, v18, 16, 7
	s_movk_i32 s11, 0x7f
	v_cmp_ne_u32_e64 s[12:13], s11, v24
	v_mov_b32_e32 v27, 0x7f80
	s_and_saveexec_b64 s[26:27], s[12:13]
	s_cbranch_execz .LBB794_416
; %bb.415:
	v_and_b32_e32 v27, 7, v22
	v_ffbh_u32_e32 v28, v27
	v_min_u32_e32 v31, 32, v28
	v_subrev_u32_e32 v28, 28, v31
	v_lshlrev_b64 v[28:29], v28, v[22:23]
	v_and_b32_e32 v28, 7, v28
	v_cmp_gt_u32_e64 s[12:13], 8, v24
	v_lshrrev_b32_e32 v30, 3, v24
	v_sub_u32_e32 v22, 29, v31
	v_cndmask_b32_e64 v24, v27, v28, s[12:13]
	v_mov_b32_e32 v27, 24
	v_cndmask_b32_e64 v22, v30, v22, s[12:13]
	v_lshlrev_b32_sdwa v27, v27, v18 dst_sel:DWORD dst_unused:UNUSED_PAD src0_sel:DWORD src1_sel:WORD_1
	v_bfrev_b32_e32 v28, 60
	v_lshlrev_b32_e32 v24, 20, v24
	v_and_b32_e32 v27, 0x80000000, v27
	v_lshl_add_u32 v22, v22, 23, v28
	v_or3_b32 v22, v27, v22, v24
	v_lshrrev_b32_e32 v27, 16, v22
.LBB794_416:
	s_or_b64 exec, exec, s[26:27]
.LBB794_417:
	s_or_b64 exec, exec, s[24:25]
.LBB794_418:
	s_or_b64 exec, exec, s[14:15]
	s_mov_b32 s11, 0xffffff
	v_cmp_lt_u32_e64 s[12:13], s11, v18
	v_mov_b32_e32 v28, 0
	s_and_saveexec_b64 s[14:15], s[12:13]
	s_cbranch_execz .LBB794_424
; %bb.419:
	v_lshrrev_b32_e32 v22, 24, v18
	s_movk_i32 s11, 0x80
	v_cmp_ne_u32_e64 s[12:13], s11, v22
	v_mov_b32_e32 v28, 0xffff8000
	s_and_saveexec_b64 s[24:25], s[12:13]
	s_cbranch_execz .LBB794_423
; %bb.420:
	v_bfe_u32 v24, v18, 24, 7
	s_movk_i32 s11, 0x7f
	v_cmp_ne_u32_e64 s[12:13], s11, v24
	v_mov_b32_e32 v28, 0x7f80
	s_and_saveexec_b64 s[26:27], s[12:13]
	s_cbranch_execz .LBB794_422
; %bb.421:
	v_and_b32_e32 v30, 7, v22
	v_ffbh_u32_e32 v28, v30
	v_min_u32_e32 v32, 32, v28
	v_subrev_u32_e32 v28, 28, v32
	v_lshlrev_b64 v[28:29], v28, v[22:23]
	v_lshrrev_b32_e32 v31, 3, v24
	v_sub_u32_e32 v29, 29, v32
	v_and_b32_e32 v28, 7, v28
	v_cmp_gt_u32_e64 s[12:13], 8, v24
	v_cndmask_b32_e64 v24, v31, v29, s[12:13]
	v_cndmask_b32_e64 v28, v30, v28, s[12:13]
	v_lshlrev_b32_e32 v22, 24, v22
	v_bfrev_b32_e32 v29, 60
	v_lshlrev_b32_e32 v28, 20, v28
	v_and_b32_e32 v22, 0x80000000, v22
	v_lshl_add_u32 v24, v24, 23, v29
	v_or3_b32 v22, v22, v24, v28
	v_lshrrev_b32_e32 v28, 16, v22
.LBB794_422:
	s_or_b64 exec, exec, s[26:27]
.LBB794_423:
	s_or_b64 exec, exec, s[24:25]
.LBB794_424:
	s_or_b64 exec, exec, s[14:15]
	v_mov_b32_e32 v29, 0
	v_mov_b32_e32 v22, v19
	v_cmp_ne_u16_sdwa s[12:13], v19, v29 src0_sel:BYTE_0 src1_sel:DWORD
	v_mov_b32_e32 v30, 0
	s_and_saveexec_b64 s[14:15], s[12:13]
	s_cbranch_execz .LBB794_430
; %bb.425:
	s_movk_i32 s11, 0x80
	v_cmp_ne_u16_sdwa s[12:13], v19, s11 src0_sel:BYTE_0 src1_sel:DWORD
	v_mov_b32_e32 v30, 0xffff8000
	s_and_saveexec_b64 s[24:25], s[12:13]
	s_cbranch_execz .LBB794_429
; %bb.426:
	s_movk_i32 s11, 0x7f
	v_and_b32_e32 v24, 0x7f, v19
	v_cmp_ne_u32_e64 s[12:13], s11, v24
	v_mov_b32_e32 v30, 0x7f80
	s_and_saveexec_b64 s[26:27], s[12:13]
	s_cbranch_execz .LBB794_428
; %bb.427:
	v_and_b32_e32 v30, 7, v19
	v_ffbh_u32_e32 v30, v30
	v_min_u32_e32 v30, 32, v30
	v_lshrrev_b32_e32 v31, 3, v24
	v_subrev_u32_e32 v32, 28, v30
	v_sub_u32_e32 v30, 29, v30
	v_cmp_gt_u32_e64 s[12:13], 8, v24
	v_cndmask_b32_e64 v24, v31, v30, s[12:13]
	v_cndmask_b32_e64 v30, 0, v32, s[12:13]
	v_lshlrev_b64 v[30:31], v30, v[22:23]
	v_lshlrev_b32_e32 v23, 20, v30
	v_lshlrev_b32_e32 v30, 24, v22
	v_bfrev_b32_e32 v31, 60
	v_and_b32_e32 v23, 0x700000, v23
	v_and_b32_e32 v30, 0x80000000, v30
	v_lshl_add_u32 v24, v24, 23, v31
	v_or3_b32 v23, v30, v24, v23
	v_lshrrev_b32_e32 v30, 16, v23
.LBB794_428:
	s_or_b64 exec, exec, s[26:27]
.LBB794_429:
	s_or_b64 exec, exec, s[24:25]
.LBB794_430:
	s_or_b64 exec, exec, s[14:15]
	v_lshrrev_b16_e32 v24, 8, v22
	v_cmp_ne_u16_e64 s[12:13], 0, v24
	s_and_saveexec_b64 s[14:15], s[12:13]
	s_cbranch_execz .LBB794_436
; %bb.431:
	s_movk_i32 s11, 0x80
	v_cmp_ne_u16_e64 s[12:13], s11, v24
	v_mov_b32_e32 v29, 0xffff8000
	s_and_saveexec_b64 s[24:25], s[12:13]
	s_cbranch_execz .LBB794_435
; %bb.432:
	s_movk_i32 s11, 0x7f
	v_and_b32_e32 v23, 0x7f, v24
	v_cmp_ne_u32_e64 s[12:13], s11, v23
	v_mov_b32_e32 v29, 0x7f80
	s_and_saveexec_b64 s[26:27], s[12:13]
	s_cbranch_execz .LBB794_434
; %bb.433:
	v_and_b32_e32 v29, 7, v24
	v_ffbh_u32_e32 v32, v29
	v_min_u32_e32 v34, 32, v32
	v_subrev_u32_e32 v32, 28, v34
	v_lshlrev_b64 v[32:33], v32, v[24:25]
	v_lshrrev_b32_e32 v31, 3, v23
	v_sub_u32_e32 v24, 29, v34
	v_and_b32_e32 v32, 7, v32
	v_cmp_gt_u32_e64 s[12:13], 8, v23
	v_cndmask_b32_e64 v23, v31, v24, s[12:13]
	v_cndmask_b32_e64 v24, v29, v32, s[12:13]
	v_lshlrev_b32_e32 v22, 16, v22
	v_bfrev_b32_e32 v29, 60
	v_lshlrev_b32_e32 v24, 20, v24
	v_and_b32_e32 v22, 0x80000000, v22
	v_lshl_add_u32 v23, v23, 23, v29
	v_or3_b32 v22, v22, v23, v24
	v_lshrrev_b32_e32 v29, 16, v22
.LBB794_434:
	s_or_b64 exec, exec, s[26:27]
.LBB794_435:
	s_or_b64 exec, exec, s[24:25]
.LBB794_436:
	s_or_b64 exec, exec, s[14:15]
	s_movk_i32 s11, 0xff
	v_and_b32_sdwa v31, v19, s11 dst_sel:DWORD dst_unused:UNUSED_PAD src0_sel:WORD_1 src1_sel:DWORD
	v_lshrrev_b32_e32 v22, 16, v19
	v_cmp_ne_u16_e64 s[12:13], 0, v31
	v_mov_b32_e32 v23, 0
	v_mov_b32_e32 v24, 0
	s_and_saveexec_b64 s[14:15], s[12:13]
	s_cbranch_execz .LBB794_442
; %bb.437:
	s_movk_i32 s11, 0x80
	v_cmp_ne_u16_e64 s[12:13], s11, v31
	v_mov_b32_e32 v24, 0xffff8000
	s_and_saveexec_b64 s[24:25], s[12:13]
	s_cbranch_execz .LBB794_441
; %bb.438:
	v_bfe_u32 v31, v19, 16, 7
	s_movk_i32 s11, 0x7f
	v_cmp_ne_u32_e64 s[12:13], s11, v31
	v_mov_b32_e32 v24, 0x7f80
	s_and_saveexec_b64 s[26:27], s[12:13]
	s_cbranch_execz .LBB794_440
; %bb.439:
	v_and_b32_e32 v24, 7, v22
	v_ffbh_u32_e32 v32, v24
	v_min_u32_e32 v35, 32, v32
	v_subrev_u32_e32 v32, 28, v35
	v_lshlrev_b64 v[32:33], v32, v[22:23]
	v_lshrrev_b32_e32 v34, 3, v31
	v_sub_u32_e32 v22, 29, v35
	v_and_b32_e32 v32, 7, v32
	v_cmp_gt_u32_e64 s[12:13], 8, v31
	v_mov_b32_e32 v31, 24
	v_cndmask_b32_e64 v22, v34, v22, s[12:13]
	v_cndmask_b32_e64 v24, v24, v32, s[12:13]
	v_lshlrev_b32_sdwa v31, v31, v19 dst_sel:DWORD dst_unused:UNUSED_PAD src0_sel:DWORD src1_sel:WORD_1
	v_bfrev_b32_e32 v32, 60
	v_lshlrev_b32_e32 v24, 20, v24
	v_and_b32_e32 v31, 0x80000000, v31
	v_lshl_add_u32 v22, v22, 23, v32
	v_or3_b32 v22, v31, v22, v24
	v_lshrrev_b32_e32 v24, 16, v22
.LBB794_440:
	s_or_b64 exec, exec, s[26:27]
.LBB794_441:
	s_or_b64 exec, exec, s[24:25]
.LBB794_442:
	s_or_b64 exec, exec, s[14:15]
	s_mov_b32 s12, -1
	s_mov_b32 s13, 0xffffff
	v_cmp_lt_u64_e64 s[12:13], s[12:13], v[18:19]
	s_and_saveexec_b64 s[14:15], s[12:13]
	s_cbranch_execz .LBB794_448
; %bb.443:
	v_lshrrev_b32_e32 v18, 24, v19
	s_movk_i32 s11, 0x80
	v_cmp_ne_u32_e64 s[12:13], s11, v18
	v_mov_b32_e32 v23, 0xffff8000
	s_and_saveexec_b64 s[24:25], s[12:13]
	s_cbranch_execz .LBB794_447
; %bb.444:
	v_bfe_u32 v19, v19, 24, 7
	s_movk_i32 s11, 0x7f
	v_cmp_ne_u32_e64 s[12:13], s11, v19
	v_mov_b32_e32 v23, 0x7f80
	s_and_saveexec_b64 s[26:27], s[12:13]
	s_cbranch_execz .LBB794_446
; %bb.445:
	v_and_b32_e32 v31, 7, v18
	v_ffbh_u32_e32 v22, v31
	v_min_u32_e32 v33, 32, v22
	v_subrev_u32_e32 v22, 28, v33
	v_lshlrev_b64 v[22:23], v22, v[18:19]
	v_lshrrev_b32_e32 v32, 3, v19
	v_sub_u32_e32 v23, 29, v33
	v_and_b32_e32 v22, 7, v22
	v_cmp_gt_u32_e64 s[12:13], 8, v19
	v_cndmask_b32_e64 v19, v32, v23, s[12:13]
	v_cndmask_b32_e64 v22, v31, v22, s[12:13]
	v_lshlrev_b32_e32 v18, 24, v18
	v_bfrev_b32_e32 v23, 60
	v_lshlrev_b32_e32 v22, 20, v22
	v_and_b32_e32 v18, 0x80000000, v18
	v_lshl_add_u32 v19, v19, 23, v23
	v_or3_b32 v18, v18, v19, v22
	v_lshrrev_b32_e32 v23, 16, v18
.LBB794_446:
	s_or_b64 exec, exec, s[26:27]
.LBB794_447:
	s_or_b64 exec, exec, s[24:25]
.LBB794_448:
	s_or_b64 exec, exec, s[14:15]
	s_mov_b32 s11, 0x5040100
	v_perm_b32 v19, v28, v27, s11
	v_perm_b32 v18, v25, v26, s11
	;; [unrolled: 1-line block ×4, first 2 shown]
	v_mfma_f32_4x4x4bf16_1k a[0:3], v[2:3], v[18:19], a[0:3] cbsz:4 abid:8
	v_mov_b32_e32 v24, 0
	v_mfma_f32_4x4x4bf16_1k a[0:3], v[4:5], v[22:23], a[0:3] cbsz:4 abid:8
	v_mov_b32_e32 v23, 0
	v_cmp_ne_u16_sdwa s[12:13], v20, v23 src0_sel:BYTE_0 src1_sel:DWORD
	s_and_saveexec_b64 s[14:15], s[12:13]
	s_cbranch_execz .LBB794_454
; %bb.449:
	s_movk_i32 s11, 0x80
	v_cmp_ne_u16_sdwa s[12:13], v20, s11 src0_sel:BYTE_0 src1_sel:DWORD
	v_mov_b32_e32 v24, 0xffff8000
	s_and_saveexec_b64 s[24:25], s[12:13]
	s_cbranch_execz .LBB794_453
; %bb.450:
	s_movk_i32 s11, 0x7f
	v_and_b32_e32 v18, 0x7f, v20
	v_cmp_ne_u32_e64 s[12:13], s11, v18
	v_mov_b32_e32 v24, 0x7f80
	s_and_saveexec_b64 s[26:27], s[12:13]
	s_cbranch_execz .LBB794_452
; %bb.451:
	v_and_b32_e32 v19, 7, v20
	v_ffbh_u32_e32 v19, v19
	v_min_u32_e32 v19, 32, v19
	v_subrev_u32_e32 v24, 28, v19
	v_cmp_gt_u32_e64 s[12:13], 8, v18
	v_lshrrev_b32_e32 v22, 3, v18
	v_sub_u32_e32 v19, 29, v19
	v_cndmask_b32_e64 v18, 0, v24, s[12:13]
	v_cndmask_b32_e64 v22, v22, v19, s[12:13]
	v_lshlrev_b64 v[18:19], v18, v[20:21]
	v_lshlrev_b32_e32 v18, 20, v18
	v_lshlrev_b32_e32 v19, 24, v20
	v_bfrev_b32_e32 v24, 60
	v_and_b32_e32 v18, 0x700000, v18
	v_and_b32_e32 v19, 0x80000000, v19
	v_lshl_add_u32 v22, v22, 23, v24
	v_or3_b32 v18, v19, v22, v18
	v_lshrrev_b32_e32 v24, 16, v18
.LBB794_452:
	s_or_b64 exec, exec, s[26:27]
.LBB794_453:
	s_or_b64 exec, exec, s[24:25]
.LBB794_454:
	s_or_b64 exec, exec, s[14:15]
	v_lshrrev_b16_e32 v18, 8, v20
	v_cmp_ne_u16_e64 s[12:13], 0, v18
	s_and_saveexec_b64 s[14:15], s[12:13]
	s_cbranch_execz .LBB794_460
; %bb.455:
	s_movk_i32 s11, 0x80
	v_cmp_ne_u16_e64 s[12:13], s11, v18
	v_mov_b32_e32 v23, 0xffff8000
	s_and_saveexec_b64 s[24:25], s[12:13]
	s_cbranch_execz .LBB794_459
; %bb.456:
	s_movk_i32 s11, 0x7f
	v_and_b32_e32 v19, 0x7f, v18
	v_cmp_ne_u32_e64 s[12:13], s11, v19
	v_mov_b32_e32 v23, 0x7f80
	s_and_saveexec_b64 s[26:27], s[12:13]
	s_cbranch_execz .LBB794_458
; %bb.457:
	v_and_b32_e32 v25, 7, v18
	v_ffbh_u32_e32 v22, v25
	v_min_u32_e32 v27, 32, v22
	v_subrev_u32_e32 v22, 28, v27
	v_lshlrev_b64 v[22:23], v22, v[18:19]
	v_lshrrev_b32_e32 v26, 3, v19
	v_sub_u32_e32 v18, 29, v27
	v_and_b32_e32 v22, 7, v22
	v_cmp_gt_u32_e64 s[12:13], 8, v19
	v_cndmask_b32_e64 v18, v26, v18, s[12:13]
	v_cndmask_b32_e64 v19, v25, v22, s[12:13]
	v_lshlrev_b32_e32 v22, 16, v20
	v_bfrev_b32_e32 v23, 60
	v_lshlrev_b32_e32 v19, 20, v19
	v_and_b32_e32 v22, 0x80000000, v22
	v_lshl_add_u32 v18, v18, 23, v23
	v_or3_b32 v18, v22, v18, v19
	v_lshrrev_b32_e32 v23, 16, v18
.LBB794_458:
	s_or_b64 exec, exec, s[26:27]
.LBB794_459:
	s_or_b64 exec, exec, s[24:25]
.LBB794_460:
	s_or_b64 exec, exec, s[14:15]
	s_movk_i32 s11, 0xff
	v_and_b32_sdwa v22, v20, s11 dst_sel:DWORD dst_unused:UNUSED_PAD src0_sel:WORD_1 src1_sel:DWORD
	v_lshrrev_b32_e32 v18, 16, v20
	v_cmp_ne_u16_e64 s[12:13], 0, v22
	v_mov_b32_e32 v19, 0
	v_mov_b32_e32 v25, 0
	s_and_saveexec_b64 s[14:15], s[12:13]
	s_cbranch_execz .LBB794_466
; %bb.461:
	s_movk_i32 s11, 0x80
	v_cmp_ne_u16_e64 s[12:13], s11, v22
	v_mov_b32_e32 v25, 0xffff8000
	s_and_saveexec_b64 s[24:25], s[12:13]
	s_cbranch_execz .LBB794_465
; %bb.462:
	v_bfe_u32 v22, v20, 16, 7
	s_movk_i32 s11, 0x7f
	v_cmp_ne_u32_e64 s[12:13], s11, v22
	v_mov_b32_e32 v25, 0x7f80
	s_and_saveexec_b64 s[26:27], s[12:13]
	s_cbranch_execz .LBB794_464
; %bb.463:
	v_and_b32_e32 v25, 7, v18
	v_ffbh_u32_e32 v26, v25
	v_min_u32_e32 v29, 32, v26
	v_subrev_u32_e32 v26, 28, v29
	v_lshlrev_b64 v[26:27], v26, v[18:19]
	v_and_b32_e32 v26, 7, v26
	v_cmp_gt_u32_e64 s[12:13], 8, v22
	v_lshrrev_b32_e32 v28, 3, v22
	v_sub_u32_e32 v18, 29, v29
	v_cndmask_b32_e64 v22, v25, v26, s[12:13]
	v_mov_b32_e32 v25, 24
	v_cndmask_b32_e64 v18, v28, v18, s[12:13]
	v_lshlrev_b32_sdwa v25, v25, v20 dst_sel:DWORD dst_unused:UNUSED_PAD src0_sel:DWORD src1_sel:WORD_1
	v_bfrev_b32_e32 v26, 60
	v_lshlrev_b32_e32 v22, 20, v22
	v_and_b32_e32 v25, 0x80000000, v25
	v_lshl_add_u32 v18, v18, 23, v26
	v_or3_b32 v18, v25, v18, v22
	v_lshrrev_b32_e32 v25, 16, v18
.LBB794_464:
	s_or_b64 exec, exec, s[26:27]
.LBB794_465:
	s_or_b64 exec, exec, s[24:25]
.LBB794_466:
	s_or_b64 exec, exec, s[14:15]
	s_mov_b32 s11, 0xffffff
	v_cmp_lt_u32_e64 s[12:13], s11, v20
	v_mov_b32_e32 v26, 0
	s_and_saveexec_b64 s[14:15], s[12:13]
	s_cbranch_execz .LBB794_472
; %bb.467:
	v_lshrrev_b32_e32 v18, 24, v20
	s_movk_i32 s11, 0x80
	v_cmp_ne_u32_e64 s[12:13], s11, v18
	v_mov_b32_e32 v26, 0xffff8000
	s_and_saveexec_b64 s[24:25], s[12:13]
	s_cbranch_execz .LBB794_471
; %bb.468:
	v_bfe_u32 v22, v20, 24, 7
	s_movk_i32 s11, 0x7f
	v_cmp_ne_u32_e64 s[12:13], s11, v22
	v_mov_b32_e32 v26, 0x7f80
	s_and_saveexec_b64 s[26:27], s[12:13]
	s_cbranch_execz .LBB794_470
; %bb.469:
	v_and_b32_e32 v28, 7, v18
	v_ffbh_u32_e32 v26, v28
	v_min_u32_e32 v30, 32, v26
	v_subrev_u32_e32 v26, 28, v30
	v_lshlrev_b64 v[26:27], v26, v[18:19]
	v_lshrrev_b32_e32 v29, 3, v22
	v_sub_u32_e32 v27, 29, v30
	v_and_b32_e32 v26, 7, v26
	v_cmp_gt_u32_e64 s[12:13], 8, v22
	v_cndmask_b32_e64 v22, v29, v27, s[12:13]
	v_cndmask_b32_e64 v26, v28, v26, s[12:13]
	v_lshlrev_b32_e32 v18, 24, v18
	v_bfrev_b32_e32 v27, 60
	v_lshlrev_b32_e32 v26, 20, v26
	v_and_b32_e32 v18, 0x80000000, v18
	v_lshl_add_u32 v22, v22, 23, v27
	v_or3_b32 v18, v18, v22, v26
	v_lshrrev_b32_e32 v26, 16, v18
.LBB794_470:
	s_or_b64 exec, exec, s[26:27]
.LBB794_471:
	s_or_b64 exec, exec, s[24:25]
.LBB794_472:
	s_or_b64 exec, exec, s[14:15]
	v_mov_b32_e32 v27, 0
	v_mov_b32_e32 v18, v21
	v_cmp_ne_u16_sdwa s[12:13], v21, v27 src0_sel:BYTE_0 src1_sel:DWORD
	v_mov_b32_e32 v28, 0
	s_and_saveexec_b64 s[14:15], s[12:13]
	s_cbranch_execz .LBB794_478
; %bb.473:
	s_movk_i32 s11, 0x80
	v_cmp_ne_u16_sdwa s[12:13], v21, s11 src0_sel:BYTE_0 src1_sel:DWORD
	v_mov_b32_e32 v28, 0xffff8000
	s_and_saveexec_b64 s[24:25], s[12:13]
	s_cbranch_execz .LBB794_477
; %bb.474:
	s_movk_i32 s11, 0x7f
	v_and_b32_e32 v22, 0x7f, v21
	v_cmp_ne_u32_e64 s[12:13], s11, v22
	v_mov_b32_e32 v28, 0x7f80
	s_and_saveexec_b64 s[26:27], s[12:13]
	s_cbranch_execz .LBB794_476
; %bb.475:
	v_and_b32_e32 v28, 7, v21
	v_ffbh_u32_e32 v28, v28
	v_min_u32_e32 v28, 32, v28
	v_lshrrev_b32_e32 v29, 3, v22
	v_subrev_u32_e32 v30, 28, v28
	v_sub_u32_e32 v28, 29, v28
	v_cmp_gt_u32_e64 s[12:13], 8, v22
	v_cndmask_b32_e64 v22, v29, v28, s[12:13]
	v_cndmask_b32_e64 v28, 0, v30, s[12:13]
	v_lshlrev_b64 v[28:29], v28, v[18:19]
	v_lshlrev_b32_e32 v19, 20, v28
	v_lshlrev_b32_e32 v28, 24, v18
	v_bfrev_b32_e32 v29, 60
	v_and_b32_e32 v19, 0x700000, v19
	v_and_b32_e32 v28, 0x80000000, v28
	v_lshl_add_u32 v22, v22, 23, v29
	v_or3_b32 v19, v28, v22, v19
	v_lshrrev_b32_e32 v28, 16, v19
.LBB794_476:
	s_or_b64 exec, exec, s[26:27]
.LBB794_477:
	s_or_b64 exec, exec, s[24:25]
.LBB794_478:
	s_or_b64 exec, exec, s[14:15]
	v_lshrrev_b16_e32 v22, 8, v18
	v_cmp_ne_u16_e64 s[12:13], 0, v22
	s_and_saveexec_b64 s[14:15], s[12:13]
	s_cbranch_execz .LBB794_484
; %bb.479:
	s_movk_i32 s11, 0x80
	v_cmp_ne_u16_e64 s[12:13], s11, v22
	v_mov_b32_e32 v27, 0xffff8000
	s_and_saveexec_b64 s[24:25], s[12:13]
	s_cbranch_execz .LBB794_483
; %bb.480:
	s_movk_i32 s11, 0x7f
	v_and_b32_e32 v19, 0x7f, v22
	v_cmp_ne_u32_e64 s[12:13], s11, v19
	v_mov_b32_e32 v27, 0x7f80
	s_and_saveexec_b64 s[26:27], s[12:13]
	s_cbranch_execz .LBB794_482
; %bb.481:
	v_and_b32_e32 v27, 7, v22
	v_ffbh_u32_e32 v30, v27
	v_min_u32_e32 v32, 32, v30
	v_subrev_u32_e32 v30, 28, v32
	v_lshlrev_b64 v[30:31], v30, v[22:23]
	v_lshrrev_b32_e32 v29, 3, v19
	v_sub_u32_e32 v22, 29, v32
	v_and_b32_e32 v30, 7, v30
	v_cmp_gt_u32_e64 s[12:13], 8, v19
	v_cndmask_b32_e64 v19, v29, v22, s[12:13]
	v_cndmask_b32_e64 v22, v27, v30, s[12:13]
	v_lshlrev_b32_e32 v18, 16, v18
	v_bfrev_b32_e32 v27, 60
	v_lshlrev_b32_e32 v22, 20, v22
	v_and_b32_e32 v18, 0x80000000, v18
	v_lshl_add_u32 v19, v19, 23, v27
	v_or3_b32 v18, v18, v19, v22
	v_lshrrev_b32_e32 v27, 16, v18
.LBB794_482:
	s_or_b64 exec, exec, s[26:27]
.LBB794_483:
	s_or_b64 exec, exec, s[24:25]
.LBB794_484:
	s_or_b64 exec, exec, s[14:15]
	s_movk_i32 s11, 0xff
	v_and_b32_sdwa v29, v21, s11 dst_sel:DWORD dst_unused:UNUSED_PAD src0_sel:WORD_1 src1_sel:DWORD
	v_lshrrev_b32_e32 v18, 16, v21
	v_cmp_ne_u16_e64 s[12:13], 0, v29
	v_mov_b32_e32 v19, 0
	v_mov_b32_e32 v22, 0
	s_and_saveexec_b64 s[14:15], s[12:13]
	s_cbranch_execz .LBB794_490
; %bb.485:
	s_movk_i32 s11, 0x80
	v_cmp_ne_u16_e64 s[12:13], s11, v29
	v_mov_b32_e32 v22, 0xffff8000
	s_and_saveexec_b64 s[24:25], s[12:13]
	s_cbranch_execz .LBB794_489
; %bb.486:
	v_bfe_u32 v29, v21, 16, 7
	s_movk_i32 s11, 0x7f
	v_cmp_ne_u32_e64 s[12:13], s11, v29
	v_mov_b32_e32 v22, 0x7f80
	s_and_saveexec_b64 s[26:27], s[12:13]
	s_cbranch_execz .LBB794_488
; %bb.487:
	v_and_b32_e32 v22, 7, v18
	v_ffbh_u32_e32 v30, v22
	v_min_u32_e32 v33, 32, v30
	v_subrev_u32_e32 v30, 28, v33
	v_lshlrev_b64 v[30:31], v30, v[18:19]
	v_lshrrev_b32_e32 v32, 3, v29
	v_sub_u32_e32 v18, 29, v33
	v_and_b32_e32 v30, 7, v30
	v_cmp_gt_u32_e64 s[12:13], 8, v29
	v_mov_b32_e32 v29, 24
	v_cndmask_b32_e64 v18, v32, v18, s[12:13]
	v_cndmask_b32_e64 v22, v22, v30, s[12:13]
	v_lshlrev_b32_sdwa v29, v29, v21 dst_sel:DWORD dst_unused:UNUSED_PAD src0_sel:DWORD src1_sel:WORD_1
	v_bfrev_b32_e32 v30, 60
	v_lshlrev_b32_e32 v22, 20, v22
	v_and_b32_e32 v29, 0x80000000, v29
	v_lshl_add_u32 v18, v18, 23, v30
	v_or3_b32 v18, v29, v18, v22
	v_lshrrev_b32_e32 v22, 16, v18
.LBB794_488:
	s_or_b64 exec, exec, s[26:27]
.LBB794_489:
	s_or_b64 exec, exec, s[24:25]
.LBB794_490:
	s_or_b64 exec, exec, s[14:15]
	s_mov_b32 s12, -1
	s_mov_b32 s13, 0xffffff
	v_cmp_lt_u64_e64 s[12:13], s[12:13], v[20:21]
	s_and_saveexec_b64 s[14:15], s[12:13]
	s_cbranch_execz .LBB794_496
; %bb.491:
	v_lshrrev_b32_e32 v18, 24, v21
	s_movk_i32 s11, 0x80
	v_cmp_ne_u32_e64 s[12:13], s11, v18
	v_mov_b32_e32 v19, 0xffff8000
	s_and_saveexec_b64 s[24:25], s[12:13]
	s_cbranch_execz .LBB794_495
; %bb.492:
	v_bfe_u32 v20, v21, 24, 7
	s_movk_i32 s11, 0x7f
	v_cmp_ne_u32_e64 s[12:13], s11, v20
	v_mov_b32_e32 v19, 0x7f80
	s_and_saveexec_b64 s[26:27], s[12:13]
	s_cbranch_execz .LBB794_494
; %bb.493:
	v_and_b32_e32 v19, 7, v18
	v_ffbh_u32_e32 v29, v19
	v_min_u32_e32 v29, 32, v29
	v_subrev_u32_e32 v30, 28, v29
	v_lshlrev_b64 v[30:31], v30, v[18:19]
	v_lshrrev_b32_e32 v21, 3, v20
	v_sub_u32_e32 v29, 29, v29
	v_and_b32_e32 v30, 7, v30
	v_cmp_gt_u32_e64 s[12:13], 8, v20
	v_cndmask_b32_e64 v20, v21, v29, s[12:13]
	v_cndmask_b32_e64 v19, v19, v30, s[12:13]
	v_lshlrev_b32_e32 v18, 24, v18
	v_bfrev_b32_e32 v21, 60
	v_lshlrev_b32_e32 v19, 20, v19
	v_and_b32_e32 v18, 0x80000000, v18
	v_lshl_add_u32 v20, v20, 23, v21
	v_or3_b32 v18, v18, v20, v19
	v_lshrrev_b32_e32 v19, 16, v18
.LBB794_494:
	s_or_b64 exec, exec, s[26:27]
.LBB794_495:
	s_or_b64 exec, exec, s[24:25]
.LBB794_496:
	s_or_b64 exec, exec, s[14:15]
	s_mov_b32 s11, 0x5040100
	v_perm_b32 v21, v26, v25, s11
	v_perm_b32 v20, v23, v24, s11
	;; [unrolled: 1-line block ×4, first 2 shown]
	v_mfma_f32_4x4x4bf16_1k a[0:3], v[2:3], v[20:21], a[0:3] cbsz:4 abid:9
	v_mov_b32_e32 v21, 0
	v_mfma_f32_4x4x4bf16_1k a[0:3], v[4:5], v[18:19], a[0:3] cbsz:4 abid:9
	v_cmp_ne_u16_sdwa s[12:13], v14, v21 src0_sel:BYTE_0 src1_sel:DWORD
	v_mov_b32_e32 v22, 0
	s_and_saveexec_b64 s[14:15], s[12:13]
	s_cbranch_execz .LBB794_502
; %bb.497:
	s_movk_i32 s11, 0x80
	v_cmp_ne_u16_sdwa s[12:13], v14, s11 src0_sel:BYTE_0 src1_sel:DWORD
	v_mov_b32_e32 v22, 0xffff8000
	s_and_saveexec_b64 s[24:25], s[12:13]
	s_cbranch_execz .LBB794_501
; %bb.498:
	s_movk_i32 s11, 0x7f
	v_and_b32_e32 v18, 0x7f, v14
	v_cmp_ne_u32_e64 s[12:13], s11, v18
	v_mov_b32_e32 v22, 0x7f80
	s_and_saveexec_b64 s[26:27], s[12:13]
	s_cbranch_execz .LBB794_500
; %bb.499:
	v_and_b32_e32 v19, 7, v14
	v_ffbh_u32_e32 v19, v19
	v_min_u32_e32 v19, 32, v19
	v_subrev_u32_e32 v22, 28, v19
	v_cmp_gt_u32_e64 s[12:13], 8, v18
	v_lshrrev_b32_e32 v20, 3, v18
	v_sub_u32_e32 v19, 29, v19
	v_cndmask_b32_e64 v18, 0, v22, s[12:13]
	v_cndmask_b32_e64 v20, v20, v19, s[12:13]
	v_lshlrev_b64 v[18:19], v18, v[14:15]
	v_lshlrev_b32_e32 v18, 20, v18
	v_lshlrev_b32_e32 v19, 24, v14
	v_bfrev_b32_e32 v22, 60
	v_and_b32_e32 v18, 0x700000, v18
	v_and_b32_e32 v19, 0x80000000, v19
	v_lshl_add_u32 v20, v20, 23, v22
	v_or3_b32 v18, v19, v20, v18
	v_lshrrev_b32_e32 v22, 16, v18
.LBB794_500:
	s_or_b64 exec, exec, s[26:27]
.LBB794_501:
	s_or_b64 exec, exec, s[24:25]
.LBB794_502:
	s_or_b64 exec, exec, s[14:15]
	v_lshrrev_b16_e32 v18, 8, v14
	v_cmp_ne_u16_e64 s[12:13], 0, v18
	s_and_saveexec_b64 s[14:15], s[12:13]
	s_cbranch_execz .LBB794_508
; %bb.503:
	s_movk_i32 s11, 0x80
	v_cmp_ne_u16_e64 s[12:13], s11, v18
	v_mov_b32_e32 v21, 0xffff8000
	s_and_saveexec_b64 s[24:25], s[12:13]
	s_cbranch_execz .LBB794_507
; %bb.504:
	s_movk_i32 s11, 0x7f
	v_and_b32_e32 v19, 0x7f, v18
	v_cmp_ne_u32_e64 s[12:13], s11, v19
	v_mov_b32_e32 v21, 0x7f80
	s_and_saveexec_b64 s[26:27], s[12:13]
	s_cbranch_execz .LBB794_506
; %bb.505:
	v_and_b32_e32 v23, 7, v18
	v_ffbh_u32_e32 v20, v23
	v_min_u32_e32 v25, 32, v20
	v_subrev_u32_e32 v20, 28, v25
	v_lshlrev_b64 v[20:21], v20, v[18:19]
	v_lshrrev_b32_e32 v24, 3, v19
	v_sub_u32_e32 v18, 29, v25
	v_and_b32_e32 v20, 7, v20
	v_cmp_gt_u32_e64 s[12:13], 8, v19
	v_cndmask_b32_e64 v18, v24, v18, s[12:13]
	v_cndmask_b32_e64 v19, v23, v20, s[12:13]
	v_lshlrev_b32_e32 v20, 16, v14
	v_bfrev_b32_e32 v21, 60
	v_lshlrev_b32_e32 v19, 20, v19
	v_and_b32_e32 v20, 0x80000000, v20
	v_lshl_add_u32 v18, v18, 23, v21
	v_or3_b32 v18, v20, v18, v19
	v_lshrrev_b32_e32 v21, 16, v18
.LBB794_506:
	s_or_b64 exec, exec, s[26:27]
.LBB794_507:
	s_or_b64 exec, exec, s[24:25]
.LBB794_508:
	s_or_b64 exec, exec, s[14:15]
	s_movk_i32 s11, 0xff
	v_and_b32_sdwa v20, v14, s11 dst_sel:DWORD dst_unused:UNUSED_PAD src0_sel:WORD_1 src1_sel:DWORD
	v_lshrrev_b32_e32 v18, 16, v14
	v_cmp_ne_u16_e64 s[12:13], 0, v20
	v_mov_b32_e32 v19, 0
	v_mov_b32_e32 v23, 0
	s_and_saveexec_b64 s[14:15], s[12:13]
	s_cbranch_execz .LBB794_514
; %bb.509:
	s_movk_i32 s11, 0x80
	v_cmp_ne_u16_e64 s[12:13], s11, v20
	v_mov_b32_e32 v23, 0xffff8000
	s_and_saveexec_b64 s[24:25], s[12:13]
	s_cbranch_execz .LBB794_513
; %bb.510:
	v_bfe_u32 v20, v14, 16, 7
	s_movk_i32 s11, 0x7f
	v_cmp_ne_u32_e64 s[12:13], s11, v20
	v_mov_b32_e32 v23, 0x7f80
	s_and_saveexec_b64 s[26:27], s[12:13]
	s_cbranch_execz .LBB794_512
; %bb.511:
	v_and_b32_e32 v23, 7, v18
	v_ffbh_u32_e32 v24, v23
	v_min_u32_e32 v27, 32, v24
	v_subrev_u32_e32 v24, 28, v27
	v_lshlrev_b64 v[24:25], v24, v[18:19]
	v_and_b32_e32 v24, 7, v24
	v_cmp_gt_u32_e64 s[12:13], 8, v20
	v_lshrrev_b32_e32 v26, 3, v20
	v_sub_u32_e32 v18, 29, v27
	v_cndmask_b32_e64 v20, v23, v24, s[12:13]
	v_mov_b32_e32 v23, 24
	v_cndmask_b32_e64 v18, v26, v18, s[12:13]
	v_lshlrev_b32_sdwa v23, v23, v14 dst_sel:DWORD dst_unused:UNUSED_PAD src0_sel:DWORD src1_sel:WORD_1
	v_bfrev_b32_e32 v24, 60
	v_lshlrev_b32_e32 v20, 20, v20
	v_and_b32_e32 v23, 0x80000000, v23
	v_lshl_add_u32 v18, v18, 23, v24
	v_or3_b32 v18, v23, v18, v20
	v_lshrrev_b32_e32 v23, 16, v18
.LBB794_512:
	s_or_b64 exec, exec, s[26:27]
.LBB794_513:
	s_or_b64 exec, exec, s[24:25]
.LBB794_514:
	s_or_b64 exec, exec, s[14:15]
	s_mov_b32 s11, 0xffffff
	v_cmp_lt_u32_e64 s[12:13], s11, v14
	v_mov_b32_e32 v24, 0
	s_and_saveexec_b64 s[14:15], s[12:13]
	s_cbranch_execz .LBB794_520
; %bb.515:
	v_lshrrev_b32_e32 v18, 24, v14
	s_movk_i32 s11, 0x80
	v_cmp_ne_u32_e64 s[12:13], s11, v18
	v_mov_b32_e32 v24, 0xffff8000
	s_and_saveexec_b64 s[24:25], s[12:13]
	s_cbranch_execz .LBB794_519
; %bb.516:
	v_bfe_u32 v20, v14, 24, 7
	s_movk_i32 s11, 0x7f
	v_cmp_ne_u32_e64 s[12:13], s11, v20
	v_mov_b32_e32 v24, 0x7f80
	s_and_saveexec_b64 s[26:27], s[12:13]
	s_cbranch_execz .LBB794_518
; %bb.517:
	v_and_b32_e32 v26, 7, v18
	v_ffbh_u32_e32 v24, v26
	v_min_u32_e32 v28, 32, v24
	v_subrev_u32_e32 v24, 28, v28
	v_lshlrev_b64 v[24:25], v24, v[18:19]
	v_lshrrev_b32_e32 v27, 3, v20
	v_sub_u32_e32 v25, 29, v28
	v_and_b32_e32 v24, 7, v24
	v_cmp_gt_u32_e64 s[12:13], 8, v20
	v_cndmask_b32_e64 v20, v27, v25, s[12:13]
	v_cndmask_b32_e64 v24, v26, v24, s[12:13]
	v_lshlrev_b32_e32 v18, 24, v18
	v_bfrev_b32_e32 v25, 60
	v_lshlrev_b32_e32 v24, 20, v24
	v_and_b32_e32 v18, 0x80000000, v18
	v_lshl_add_u32 v20, v20, 23, v25
	v_or3_b32 v18, v18, v20, v24
	v_lshrrev_b32_e32 v24, 16, v18
.LBB794_518:
	s_or_b64 exec, exec, s[26:27]
.LBB794_519:
	s_or_b64 exec, exec, s[24:25]
.LBB794_520:
	s_or_b64 exec, exec, s[14:15]
	v_mov_b32_e32 v25, 0
	v_mov_b32_e32 v18, v15
	v_cmp_ne_u16_sdwa s[12:13], v15, v25 src0_sel:BYTE_0 src1_sel:DWORD
	v_mov_b32_e32 v26, 0
	s_and_saveexec_b64 s[14:15], s[12:13]
	s_cbranch_execz .LBB794_526
; %bb.521:
	s_movk_i32 s11, 0x80
	v_cmp_ne_u16_sdwa s[12:13], v15, s11 src0_sel:BYTE_0 src1_sel:DWORD
	v_mov_b32_e32 v26, 0xffff8000
	s_and_saveexec_b64 s[24:25], s[12:13]
	s_cbranch_execz .LBB794_525
; %bb.522:
	s_movk_i32 s11, 0x7f
	v_and_b32_e32 v20, 0x7f, v15
	v_cmp_ne_u32_e64 s[12:13], s11, v20
	v_mov_b32_e32 v26, 0x7f80
	s_and_saveexec_b64 s[26:27], s[12:13]
	s_cbranch_execz .LBB794_524
; %bb.523:
	v_and_b32_e32 v26, 7, v15
	v_ffbh_u32_e32 v26, v26
	v_min_u32_e32 v26, 32, v26
	v_lshrrev_b32_e32 v27, 3, v20
	v_subrev_u32_e32 v28, 28, v26
	v_sub_u32_e32 v26, 29, v26
	v_cmp_gt_u32_e64 s[12:13], 8, v20
	v_cndmask_b32_e64 v20, v27, v26, s[12:13]
	v_cndmask_b32_e64 v26, 0, v28, s[12:13]
	v_lshlrev_b64 v[26:27], v26, v[18:19]
	v_lshlrev_b32_e32 v19, 20, v26
	v_lshlrev_b32_e32 v26, 24, v18
	v_bfrev_b32_e32 v27, 60
	v_and_b32_e32 v19, 0x700000, v19
	v_and_b32_e32 v26, 0x80000000, v26
	v_lshl_add_u32 v20, v20, 23, v27
	v_or3_b32 v19, v26, v20, v19
	v_lshrrev_b32_e32 v26, 16, v19
.LBB794_524:
	s_or_b64 exec, exec, s[26:27]
.LBB794_525:
	s_or_b64 exec, exec, s[24:25]
.LBB794_526:
	s_or_b64 exec, exec, s[14:15]
	v_lshrrev_b16_e32 v20, 8, v18
	v_cmp_ne_u16_e64 s[12:13], 0, v20
	s_and_saveexec_b64 s[14:15], s[12:13]
	s_cbranch_execz .LBB794_532
; %bb.527:
	s_movk_i32 s11, 0x80
	v_cmp_ne_u16_e64 s[12:13], s11, v20
	v_mov_b32_e32 v25, 0xffff8000
	s_and_saveexec_b64 s[24:25], s[12:13]
	s_cbranch_execz .LBB794_531
; %bb.528:
	s_movk_i32 s11, 0x7f
	v_and_b32_e32 v19, 0x7f, v20
	v_cmp_ne_u32_e64 s[12:13], s11, v19
	v_mov_b32_e32 v25, 0x7f80
	s_and_saveexec_b64 s[26:27], s[12:13]
	s_cbranch_execz .LBB794_530
; %bb.529:
	v_and_b32_e32 v25, 7, v20
	v_ffbh_u32_e32 v28, v25
	v_min_u32_e32 v30, 32, v28
	v_subrev_u32_e32 v28, 28, v30
	v_lshlrev_b64 v[28:29], v28, v[20:21]
	v_lshrrev_b32_e32 v27, 3, v19
	v_sub_u32_e32 v20, 29, v30
	v_and_b32_e32 v28, 7, v28
	v_cmp_gt_u32_e64 s[12:13], 8, v19
	v_cndmask_b32_e64 v19, v27, v20, s[12:13]
	v_cndmask_b32_e64 v20, v25, v28, s[12:13]
	v_lshlrev_b32_e32 v18, 16, v18
	v_bfrev_b32_e32 v25, 60
	v_lshlrev_b32_e32 v20, 20, v20
	v_and_b32_e32 v18, 0x80000000, v18
	v_lshl_add_u32 v19, v19, 23, v25
	v_or3_b32 v18, v18, v19, v20
	v_lshrrev_b32_e32 v25, 16, v18
.LBB794_530:
	s_or_b64 exec, exec, s[26:27]
.LBB794_531:
	s_or_b64 exec, exec, s[24:25]
.LBB794_532:
	s_or_b64 exec, exec, s[14:15]
	s_movk_i32 s11, 0xff
	v_and_b32_sdwa v27, v15, s11 dst_sel:DWORD dst_unused:UNUSED_PAD src0_sel:WORD_1 src1_sel:DWORD
	v_lshrrev_b32_e32 v18, 16, v15
	v_cmp_ne_u16_e64 s[12:13], 0, v27
	v_mov_b32_e32 v19, 0
	v_mov_b32_e32 v20, 0
	s_and_saveexec_b64 s[14:15], s[12:13]
	s_cbranch_execz .LBB794_538
; %bb.533:
	s_movk_i32 s11, 0x80
	v_cmp_ne_u16_e64 s[12:13], s11, v27
	v_mov_b32_e32 v20, 0xffff8000
	s_and_saveexec_b64 s[24:25], s[12:13]
	s_cbranch_execz .LBB794_537
; %bb.534:
	v_bfe_u32 v27, v15, 16, 7
	s_movk_i32 s11, 0x7f
	v_cmp_ne_u32_e64 s[12:13], s11, v27
	v_mov_b32_e32 v20, 0x7f80
	s_and_saveexec_b64 s[26:27], s[12:13]
	s_cbranch_execz .LBB794_536
; %bb.535:
	v_and_b32_e32 v20, 7, v18
	v_ffbh_u32_e32 v28, v20
	v_min_u32_e32 v31, 32, v28
	v_subrev_u32_e32 v28, 28, v31
	v_lshlrev_b64 v[28:29], v28, v[18:19]
	v_lshrrev_b32_e32 v30, 3, v27
	v_sub_u32_e32 v18, 29, v31
	v_and_b32_e32 v28, 7, v28
	v_cmp_gt_u32_e64 s[12:13], 8, v27
	v_mov_b32_e32 v27, 24
	v_cndmask_b32_e64 v18, v30, v18, s[12:13]
	v_cndmask_b32_e64 v20, v20, v28, s[12:13]
	v_lshlrev_b32_sdwa v27, v27, v15 dst_sel:DWORD dst_unused:UNUSED_PAD src0_sel:DWORD src1_sel:WORD_1
	v_bfrev_b32_e32 v28, 60
	v_lshlrev_b32_e32 v20, 20, v20
	v_and_b32_e32 v27, 0x80000000, v27
	v_lshl_add_u32 v18, v18, 23, v28
	v_or3_b32 v18, v27, v18, v20
	v_lshrrev_b32_e32 v20, 16, v18
.LBB794_536:
	s_or_b64 exec, exec, s[26:27]
.LBB794_537:
	s_or_b64 exec, exec, s[24:25]
.LBB794_538:
	s_or_b64 exec, exec, s[14:15]
	s_mov_b32 s12, -1
	s_mov_b32 s13, 0xffffff
	v_cmp_lt_u64_e64 s[12:13], s[12:13], v[14:15]
	s_and_saveexec_b64 s[14:15], s[12:13]
	s_cbranch_execz .LBB794_544
; %bb.539:
	v_lshrrev_b32_e32 v14, 24, v15
	s_movk_i32 s11, 0x80
	v_cmp_ne_u32_e64 s[12:13], s11, v14
	v_mov_b32_e32 v19, 0xffff8000
	s_and_saveexec_b64 s[24:25], s[12:13]
	s_cbranch_execz .LBB794_543
; %bb.540:
	v_bfe_u32 v15, v15, 24, 7
	s_movk_i32 s11, 0x7f
	v_cmp_ne_u32_e64 s[12:13], s11, v15
	v_mov_b32_e32 v19, 0x7f80
	s_and_saveexec_b64 s[26:27], s[12:13]
	s_cbranch_execz .LBB794_542
; %bb.541:
	v_and_b32_e32 v27, 7, v14
	v_ffbh_u32_e32 v18, v27
	v_min_u32_e32 v29, 32, v18
	v_subrev_u32_e32 v18, 28, v29
	v_lshlrev_b64 v[18:19], v18, v[14:15]
	v_lshrrev_b32_e32 v28, 3, v15
	v_sub_u32_e32 v19, 29, v29
	v_and_b32_e32 v18, 7, v18
	v_cmp_gt_u32_e64 s[12:13], 8, v15
	v_cndmask_b32_e64 v15, v28, v19, s[12:13]
	v_cndmask_b32_e64 v18, v27, v18, s[12:13]
	v_lshlrev_b32_e32 v14, 24, v14
	v_bfrev_b32_e32 v19, 60
	v_lshlrev_b32_e32 v18, 20, v18
	v_and_b32_e32 v14, 0x80000000, v14
	v_lshl_add_u32 v15, v15, 23, v19
	v_or3_b32 v14, v14, v15, v18
	v_lshrrev_b32_e32 v19, 16, v14
.LBB794_542:
	s_or_b64 exec, exec, s[26:27]
.LBB794_543:
	s_or_b64 exec, exec, s[24:25]
.LBB794_544:
	s_or_b64 exec, exec, s[14:15]
	s_mov_b32 s11, 0x5040100
	v_perm_b32 v15, v24, v23, s11
	v_perm_b32 v14, v21, v22, s11
	;; [unrolled: 1-line block ×4, first 2 shown]
	v_mfma_f32_4x4x4bf16_1k a[0:3], v[2:3], v[14:15], a[0:3] cbsz:4 abid:10
	v_mov_b32_e32 v20, 0
	v_mfma_f32_4x4x4bf16_1k a[0:3], v[4:5], v[18:19], a[0:3] cbsz:4 abid:10
	v_mov_b32_e32 v19, 0
	v_cmp_ne_u16_sdwa s[12:13], v16, v19 src0_sel:BYTE_0 src1_sel:DWORD
	s_and_saveexec_b64 s[14:15], s[12:13]
	s_cbranch_execz .LBB794_550
; %bb.545:
	s_movk_i32 s11, 0x80
	v_cmp_ne_u16_sdwa s[12:13], v16, s11 src0_sel:BYTE_0 src1_sel:DWORD
	v_mov_b32_e32 v20, 0xffff8000
	s_and_saveexec_b64 s[24:25], s[12:13]
	s_cbranch_execz .LBB794_549
; %bb.546:
	s_movk_i32 s11, 0x7f
	v_and_b32_e32 v14, 0x7f, v16
	v_cmp_ne_u32_e64 s[12:13], s11, v14
	v_mov_b32_e32 v20, 0x7f80
	s_and_saveexec_b64 s[26:27], s[12:13]
	s_cbranch_execz .LBB794_548
; %bb.547:
	v_and_b32_e32 v15, 7, v16
	v_ffbh_u32_e32 v15, v15
	v_min_u32_e32 v15, 32, v15
	v_subrev_u32_e32 v20, 28, v15
	v_cmp_gt_u32_e64 s[12:13], 8, v14
	v_lshrrev_b32_e32 v18, 3, v14
	v_sub_u32_e32 v15, 29, v15
	v_cndmask_b32_e64 v14, 0, v20, s[12:13]
	v_cndmask_b32_e64 v18, v18, v15, s[12:13]
	v_lshlrev_b64 v[14:15], v14, v[16:17]
	v_lshlrev_b32_e32 v14, 20, v14
	v_lshlrev_b32_e32 v15, 24, v16
	v_bfrev_b32_e32 v20, 60
	v_and_b32_e32 v14, 0x700000, v14
	v_and_b32_e32 v15, 0x80000000, v15
	v_lshl_add_u32 v18, v18, 23, v20
	v_or3_b32 v14, v15, v18, v14
	v_lshrrev_b32_e32 v20, 16, v14
.LBB794_548:
	s_or_b64 exec, exec, s[26:27]
.LBB794_549:
	s_or_b64 exec, exec, s[24:25]
.LBB794_550:
	s_or_b64 exec, exec, s[14:15]
	v_lshrrev_b16_e32 v14, 8, v16
	v_cmp_ne_u16_e64 s[12:13], 0, v14
	s_and_saveexec_b64 s[14:15], s[12:13]
	s_cbranch_execz .LBB794_556
; %bb.551:
	s_movk_i32 s11, 0x80
	v_cmp_ne_u16_e64 s[12:13], s11, v14
	v_mov_b32_e32 v19, 0xffff8000
	s_and_saveexec_b64 s[24:25], s[12:13]
	s_cbranch_execz .LBB794_555
; %bb.552:
	s_movk_i32 s11, 0x7f
	v_and_b32_e32 v15, 0x7f, v14
	v_cmp_ne_u32_e64 s[12:13], s11, v15
	v_mov_b32_e32 v19, 0x7f80
	s_and_saveexec_b64 s[26:27], s[12:13]
	s_cbranch_execz .LBB794_554
; %bb.553:
	v_and_b32_e32 v21, 7, v14
	v_ffbh_u32_e32 v18, v21
	v_min_u32_e32 v23, 32, v18
	v_subrev_u32_e32 v18, 28, v23
	v_lshlrev_b64 v[18:19], v18, v[14:15]
	v_lshrrev_b32_e32 v22, 3, v15
	v_sub_u32_e32 v14, 29, v23
	v_and_b32_e32 v18, 7, v18
	v_cmp_gt_u32_e64 s[12:13], 8, v15
	v_cndmask_b32_e64 v14, v22, v14, s[12:13]
	v_cndmask_b32_e64 v15, v21, v18, s[12:13]
	v_lshlrev_b32_e32 v18, 16, v16
	v_bfrev_b32_e32 v19, 60
	v_lshlrev_b32_e32 v15, 20, v15
	v_and_b32_e32 v18, 0x80000000, v18
	v_lshl_add_u32 v14, v14, 23, v19
	v_or3_b32 v14, v18, v14, v15
	v_lshrrev_b32_e32 v19, 16, v14
.LBB794_554:
	s_or_b64 exec, exec, s[26:27]
.LBB794_555:
	s_or_b64 exec, exec, s[24:25]
.LBB794_556:
	s_or_b64 exec, exec, s[14:15]
	s_movk_i32 s11, 0xff
	v_and_b32_sdwa v18, v16, s11 dst_sel:DWORD dst_unused:UNUSED_PAD src0_sel:WORD_1 src1_sel:DWORD
	v_lshrrev_b32_e32 v14, 16, v16
	v_cmp_ne_u16_e64 s[12:13], 0, v18
	v_mov_b32_e32 v15, 0
	v_mov_b32_e32 v21, 0
	s_and_saveexec_b64 s[14:15], s[12:13]
	s_cbranch_execz .LBB794_562
; %bb.557:
	s_movk_i32 s11, 0x80
	v_cmp_ne_u16_e64 s[12:13], s11, v18
	v_mov_b32_e32 v21, 0xffff8000
	s_and_saveexec_b64 s[24:25], s[12:13]
	s_cbranch_execz .LBB794_561
; %bb.558:
	v_bfe_u32 v18, v16, 16, 7
	s_movk_i32 s11, 0x7f
	v_cmp_ne_u32_e64 s[12:13], s11, v18
	v_mov_b32_e32 v21, 0x7f80
	s_and_saveexec_b64 s[26:27], s[12:13]
	s_cbranch_execz .LBB794_560
; %bb.559:
	v_and_b32_e32 v21, 7, v14
	v_ffbh_u32_e32 v22, v21
	v_min_u32_e32 v25, 32, v22
	v_subrev_u32_e32 v22, 28, v25
	v_lshlrev_b64 v[22:23], v22, v[14:15]
	v_and_b32_e32 v22, 7, v22
	v_cmp_gt_u32_e64 s[12:13], 8, v18
	v_lshrrev_b32_e32 v24, 3, v18
	v_sub_u32_e32 v14, 29, v25
	v_cndmask_b32_e64 v18, v21, v22, s[12:13]
	v_mov_b32_e32 v21, 24
	v_cndmask_b32_e64 v14, v24, v14, s[12:13]
	v_lshlrev_b32_sdwa v21, v21, v16 dst_sel:DWORD dst_unused:UNUSED_PAD src0_sel:DWORD src1_sel:WORD_1
	v_bfrev_b32_e32 v22, 60
	v_lshlrev_b32_e32 v18, 20, v18
	v_and_b32_e32 v21, 0x80000000, v21
	v_lshl_add_u32 v14, v14, 23, v22
	v_or3_b32 v14, v21, v14, v18
	v_lshrrev_b32_e32 v21, 16, v14
.LBB794_560:
	s_or_b64 exec, exec, s[26:27]
.LBB794_561:
	s_or_b64 exec, exec, s[24:25]
.LBB794_562:
	s_or_b64 exec, exec, s[14:15]
	s_mov_b32 s11, 0xffffff
	v_cmp_lt_u32_e64 s[12:13], s11, v16
	v_mov_b32_e32 v22, 0
	s_and_saveexec_b64 s[14:15], s[12:13]
	s_cbranch_execz .LBB794_568
; %bb.563:
	v_lshrrev_b32_e32 v14, 24, v16
	s_movk_i32 s11, 0x80
	v_cmp_ne_u32_e64 s[12:13], s11, v14
	v_mov_b32_e32 v22, 0xffff8000
	s_and_saveexec_b64 s[24:25], s[12:13]
	s_cbranch_execz .LBB794_567
; %bb.564:
	v_bfe_u32 v18, v16, 24, 7
	s_movk_i32 s11, 0x7f
	v_cmp_ne_u32_e64 s[12:13], s11, v18
	v_mov_b32_e32 v22, 0x7f80
	s_and_saveexec_b64 s[26:27], s[12:13]
	s_cbranch_execz .LBB794_566
; %bb.565:
	v_and_b32_e32 v24, 7, v14
	v_ffbh_u32_e32 v22, v24
	v_min_u32_e32 v26, 32, v22
	v_subrev_u32_e32 v22, 28, v26
	v_lshlrev_b64 v[22:23], v22, v[14:15]
	v_lshrrev_b32_e32 v25, 3, v18
	v_sub_u32_e32 v23, 29, v26
	v_and_b32_e32 v22, 7, v22
	v_cmp_gt_u32_e64 s[12:13], 8, v18
	v_cndmask_b32_e64 v18, v25, v23, s[12:13]
	v_cndmask_b32_e64 v22, v24, v22, s[12:13]
	v_lshlrev_b32_e32 v14, 24, v14
	v_bfrev_b32_e32 v23, 60
	v_lshlrev_b32_e32 v22, 20, v22
	v_and_b32_e32 v14, 0x80000000, v14
	v_lshl_add_u32 v18, v18, 23, v23
	v_or3_b32 v14, v14, v18, v22
	v_lshrrev_b32_e32 v22, 16, v14
.LBB794_566:
	s_or_b64 exec, exec, s[26:27]
.LBB794_567:
	s_or_b64 exec, exec, s[24:25]
.LBB794_568:
	s_or_b64 exec, exec, s[14:15]
	v_mov_b32_e32 v23, 0
	v_mov_b32_e32 v14, v17
	v_cmp_ne_u16_sdwa s[12:13], v17, v23 src0_sel:BYTE_0 src1_sel:DWORD
	v_mov_b32_e32 v24, 0
	s_and_saveexec_b64 s[14:15], s[12:13]
	s_cbranch_execz .LBB794_574
; %bb.569:
	s_movk_i32 s11, 0x80
	v_cmp_ne_u16_sdwa s[12:13], v17, s11 src0_sel:BYTE_0 src1_sel:DWORD
	v_mov_b32_e32 v24, 0xffff8000
	s_and_saveexec_b64 s[24:25], s[12:13]
	s_cbranch_execz .LBB794_573
; %bb.570:
	s_movk_i32 s11, 0x7f
	v_and_b32_e32 v18, 0x7f, v17
	v_cmp_ne_u32_e64 s[12:13], s11, v18
	v_mov_b32_e32 v24, 0x7f80
	s_and_saveexec_b64 s[26:27], s[12:13]
	s_cbranch_execz .LBB794_572
; %bb.571:
	v_and_b32_e32 v24, 7, v17
	v_ffbh_u32_e32 v24, v24
	v_min_u32_e32 v24, 32, v24
	v_lshrrev_b32_e32 v25, 3, v18
	v_subrev_u32_e32 v26, 28, v24
	v_sub_u32_e32 v24, 29, v24
	v_cmp_gt_u32_e64 s[12:13], 8, v18
	v_cndmask_b32_e64 v18, v25, v24, s[12:13]
	v_cndmask_b32_e64 v24, 0, v26, s[12:13]
	v_lshlrev_b64 v[24:25], v24, v[14:15]
	v_lshlrev_b32_e32 v15, 20, v24
	v_lshlrev_b32_e32 v24, 24, v14
	v_bfrev_b32_e32 v25, 60
	v_and_b32_e32 v15, 0x700000, v15
	v_and_b32_e32 v24, 0x80000000, v24
	v_lshl_add_u32 v18, v18, 23, v25
	v_or3_b32 v15, v24, v18, v15
	v_lshrrev_b32_e32 v24, 16, v15
.LBB794_572:
	s_or_b64 exec, exec, s[26:27]
.LBB794_573:
	s_or_b64 exec, exec, s[24:25]
.LBB794_574:
	s_or_b64 exec, exec, s[14:15]
	v_lshrrev_b16_e32 v18, 8, v14
	v_cmp_ne_u16_e64 s[12:13], 0, v18
	s_and_saveexec_b64 s[14:15], s[12:13]
	s_cbranch_execz .LBB794_580
; %bb.575:
	s_movk_i32 s11, 0x80
	v_cmp_ne_u16_e64 s[12:13], s11, v18
	v_mov_b32_e32 v23, 0xffff8000
	s_and_saveexec_b64 s[24:25], s[12:13]
	s_cbranch_execz .LBB794_579
; %bb.576:
	s_movk_i32 s11, 0x7f
	v_and_b32_e32 v15, 0x7f, v18
	v_cmp_ne_u32_e64 s[12:13], s11, v15
	v_mov_b32_e32 v23, 0x7f80
	s_and_saveexec_b64 s[26:27], s[12:13]
	s_cbranch_execz .LBB794_578
; %bb.577:
	v_and_b32_e32 v23, 7, v18
	v_ffbh_u32_e32 v26, v23
	v_min_u32_e32 v28, 32, v26
	v_subrev_u32_e32 v26, 28, v28
	v_lshlrev_b64 v[26:27], v26, v[18:19]
	v_lshrrev_b32_e32 v25, 3, v15
	v_sub_u32_e32 v18, 29, v28
	v_and_b32_e32 v26, 7, v26
	v_cmp_gt_u32_e64 s[12:13], 8, v15
	v_cndmask_b32_e64 v15, v25, v18, s[12:13]
	v_cndmask_b32_e64 v18, v23, v26, s[12:13]
	v_lshlrev_b32_e32 v14, 16, v14
	v_bfrev_b32_e32 v23, 60
	v_lshlrev_b32_e32 v18, 20, v18
	v_and_b32_e32 v14, 0x80000000, v14
	v_lshl_add_u32 v15, v15, 23, v23
	v_or3_b32 v14, v14, v15, v18
	v_lshrrev_b32_e32 v23, 16, v14
.LBB794_578:
	s_or_b64 exec, exec, s[26:27]
.LBB794_579:
	s_or_b64 exec, exec, s[24:25]
.LBB794_580:
	s_or_b64 exec, exec, s[14:15]
	s_movk_i32 s11, 0xff
	v_and_b32_sdwa v25, v17, s11 dst_sel:DWORD dst_unused:UNUSED_PAD src0_sel:WORD_1 src1_sel:DWORD
	v_lshrrev_b32_e32 v14, 16, v17
	v_cmp_ne_u16_e64 s[12:13], 0, v25
	v_mov_b32_e32 v15, 0
	v_mov_b32_e32 v18, 0
	s_and_saveexec_b64 s[14:15], s[12:13]
	s_cbranch_execz .LBB794_586
; %bb.581:
	s_movk_i32 s11, 0x80
	v_cmp_ne_u16_e64 s[12:13], s11, v25
	v_mov_b32_e32 v18, 0xffff8000
	s_and_saveexec_b64 s[24:25], s[12:13]
	s_cbranch_execz .LBB794_585
; %bb.582:
	v_bfe_u32 v25, v17, 16, 7
	s_movk_i32 s11, 0x7f
	v_cmp_ne_u32_e64 s[12:13], s11, v25
	v_mov_b32_e32 v18, 0x7f80
	s_and_saveexec_b64 s[26:27], s[12:13]
	s_cbranch_execz .LBB794_584
; %bb.583:
	v_and_b32_e32 v18, 7, v14
	v_ffbh_u32_e32 v26, v18
	v_min_u32_e32 v29, 32, v26
	v_subrev_u32_e32 v26, 28, v29
	v_lshlrev_b64 v[26:27], v26, v[14:15]
	v_lshrrev_b32_e32 v28, 3, v25
	v_sub_u32_e32 v14, 29, v29
	v_and_b32_e32 v26, 7, v26
	v_cmp_gt_u32_e64 s[12:13], 8, v25
	v_mov_b32_e32 v25, 24
	v_cndmask_b32_e64 v14, v28, v14, s[12:13]
	v_cndmask_b32_e64 v18, v18, v26, s[12:13]
	v_lshlrev_b32_sdwa v25, v25, v17 dst_sel:DWORD dst_unused:UNUSED_PAD src0_sel:DWORD src1_sel:WORD_1
	v_bfrev_b32_e32 v26, 60
	v_lshlrev_b32_e32 v18, 20, v18
	v_and_b32_e32 v25, 0x80000000, v25
	v_lshl_add_u32 v14, v14, 23, v26
	v_or3_b32 v14, v25, v14, v18
	v_lshrrev_b32_e32 v18, 16, v14
.LBB794_584:
	s_or_b64 exec, exec, s[26:27]
.LBB794_585:
	s_or_b64 exec, exec, s[24:25]
.LBB794_586:
	s_or_b64 exec, exec, s[14:15]
	s_mov_b32 s12, -1
	s_mov_b32 s13, 0xffffff
	v_cmp_lt_u64_e64 s[12:13], s[12:13], v[16:17]
	s_and_saveexec_b64 s[14:15], s[12:13]
	s_cbranch_execz .LBB794_592
; %bb.587:
	v_lshrrev_b32_e32 v14, 24, v17
	s_movk_i32 s11, 0x80
	v_cmp_ne_u32_e64 s[12:13], s11, v14
	v_mov_b32_e32 v15, 0xffff8000
	s_and_saveexec_b64 s[24:25], s[12:13]
	s_cbranch_execz .LBB794_591
; %bb.588:
	v_bfe_u32 v16, v17, 24, 7
	s_movk_i32 s11, 0x7f
	v_cmp_ne_u32_e64 s[12:13], s11, v16
	v_mov_b32_e32 v15, 0x7f80
	s_and_saveexec_b64 s[26:27], s[12:13]
	s_cbranch_execz .LBB794_590
; %bb.589:
	v_and_b32_e32 v15, 7, v14
	v_ffbh_u32_e32 v25, v15
	v_min_u32_e32 v25, 32, v25
	v_subrev_u32_e32 v26, 28, v25
	v_lshlrev_b64 v[26:27], v26, v[14:15]
	v_lshrrev_b32_e32 v17, 3, v16
	v_sub_u32_e32 v25, 29, v25
	v_and_b32_e32 v26, 7, v26
	v_cmp_gt_u32_e64 s[12:13], 8, v16
	v_cndmask_b32_e64 v16, v17, v25, s[12:13]
	v_cndmask_b32_e64 v15, v15, v26, s[12:13]
	v_lshlrev_b32_e32 v14, 24, v14
	v_bfrev_b32_e32 v17, 60
	v_lshlrev_b32_e32 v15, 20, v15
	v_and_b32_e32 v14, 0x80000000, v14
	v_lshl_add_u32 v16, v16, 23, v17
	v_or3_b32 v14, v14, v16, v15
	v_lshrrev_b32_e32 v15, 16, v14
.LBB794_590:
	s_or_b64 exec, exec, s[26:27]
.LBB794_591:
	s_or_b64 exec, exec, s[24:25]
.LBB794_592:
	s_or_b64 exec, exec, s[14:15]
	s_mov_b32 s11, 0x5040100
	v_perm_b32 v17, v22, v21, s11
	v_perm_b32 v16, v19, v20, s11
	;; [unrolled: 1-line block ×4, first 2 shown]
	v_mfma_f32_4x4x4bf16_1k a[0:3], v[2:3], v[16:17], a[0:3] cbsz:4 abid:11
	v_mov_b32_e32 v17, 0
	v_mfma_f32_4x4x4bf16_1k a[0:3], v[4:5], v[14:15], a[0:3] cbsz:4 abid:11
	v_cmp_ne_u16_sdwa s[12:13], v10, v17 src0_sel:BYTE_0 src1_sel:DWORD
	v_mov_b32_e32 v18, 0
	s_and_saveexec_b64 s[14:15], s[12:13]
	s_cbranch_execz .LBB794_598
; %bb.593:
	s_movk_i32 s11, 0x80
	v_cmp_ne_u16_sdwa s[12:13], v10, s11 src0_sel:BYTE_0 src1_sel:DWORD
	v_mov_b32_e32 v18, 0xffff8000
	s_and_saveexec_b64 s[24:25], s[12:13]
	s_cbranch_execz .LBB794_597
; %bb.594:
	s_movk_i32 s11, 0x7f
	v_and_b32_e32 v14, 0x7f, v10
	v_cmp_ne_u32_e64 s[12:13], s11, v14
	v_mov_b32_e32 v18, 0x7f80
	s_and_saveexec_b64 s[26:27], s[12:13]
	s_cbranch_execz .LBB794_596
; %bb.595:
	v_and_b32_e32 v15, 7, v10
	v_ffbh_u32_e32 v15, v15
	v_min_u32_e32 v15, 32, v15
	v_subrev_u32_e32 v18, 28, v15
	v_cmp_gt_u32_e64 s[12:13], 8, v14
	v_lshrrev_b32_e32 v16, 3, v14
	v_sub_u32_e32 v15, 29, v15
	v_cndmask_b32_e64 v14, 0, v18, s[12:13]
	v_cndmask_b32_e64 v16, v16, v15, s[12:13]
	v_lshlrev_b64 v[14:15], v14, v[10:11]
	v_lshlrev_b32_e32 v14, 20, v14
	v_lshlrev_b32_e32 v15, 24, v10
	v_bfrev_b32_e32 v18, 60
	v_and_b32_e32 v14, 0x700000, v14
	v_and_b32_e32 v15, 0x80000000, v15
	v_lshl_add_u32 v16, v16, 23, v18
	v_or3_b32 v14, v15, v16, v14
	v_lshrrev_b32_e32 v18, 16, v14
.LBB794_596:
	s_or_b64 exec, exec, s[26:27]
.LBB794_597:
	s_or_b64 exec, exec, s[24:25]
.LBB794_598:
	s_or_b64 exec, exec, s[14:15]
	v_lshrrev_b16_e32 v14, 8, v10
	v_cmp_ne_u16_e64 s[12:13], 0, v14
	s_and_saveexec_b64 s[14:15], s[12:13]
	s_cbranch_execz .LBB794_604
; %bb.599:
	s_movk_i32 s11, 0x80
	v_cmp_ne_u16_e64 s[12:13], s11, v14
	v_mov_b32_e32 v17, 0xffff8000
	s_and_saveexec_b64 s[24:25], s[12:13]
	s_cbranch_execz .LBB794_603
; %bb.600:
	s_movk_i32 s11, 0x7f
	v_and_b32_e32 v15, 0x7f, v14
	v_cmp_ne_u32_e64 s[12:13], s11, v15
	v_mov_b32_e32 v17, 0x7f80
	s_and_saveexec_b64 s[26:27], s[12:13]
	s_cbranch_execz .LBB794_602
; %bb.601:
	v_and_b32_e32 v19, 7, v14
	v_ffbh_u32_e32 v16, v19
	v_min_u32_e32 v21, 32, v16
	v_subrev_u32_e32 v16, 28, v21
	v_lshlrev_b64 v[16:17], v16, v[14:15]
	v_lshrrev_b32_e32 v20, 3, v15
	v_sub_u32_e32 v14, 29, v21
	v_and_b32_e32 v16, 7, v16
	v_cmp_gt_u32_e64 s[12:13], 8, v15
	v_cndmask_b32_e64 v14, v20, v14, s[12:13]
	v_cndmask_b32_e64 v15, v19, v16, s[12:13]
	v_lshlrev_b32_e32 v16, 16, v10
	v_bfrev_b32_e32 v17, 60
	v_lshlrev_b32_e32 v15, 20, v15
	v_and_b32_e32 v16, 0x80000000, v16
	v_lshl_add_u32 v14, v14, 23, v17
	v_or3_b32 v14, v16, v14, v15
	v_lshrrev_b32_e32 v17, 16, v14
.LBB794_602:
	s_or_b64 exec, exec, s[26:27]
.LBB794_603:
	s_or_b64 exec, exec, s[24:25]
.LBB794_604:
	s_or_b64 exec, exec, s[14:15]
	s_movk_i32 s11, 0xff
	v_and_b32_sdwa v16, v10, s11 dst_sel:DWORD dst_unused:UNUSED_PAD src0_sel:WORD_1 src1_sel:DWORD
	v_lshrrev_b32_e32 v14, 16, v10
	v_cmp_ne_u16_e64 s[12:13], 0, v16
	v_mov_b32_e32 v15, 0
	v_mov_b32_e32 v19, 0
	s_and_saveexec_b64 s[14:15], s[12:13]
	s_cbranch_execz .LBB794_610
; %bb.605:
	s_movk_i32 s11, 0x80
	v_cmp_ne_u16_e64 s[12:13], s11, v16
	v_mov_b32_e32 v19, 0xffff8000
	s_and_saveexec_b64 s[24:25], s[12:13]
	s_cbranch_execz .LBB794_609
; %bb.606:
	v_bfe_u32 v16, v10, 16, 7
	s_movk_i32 s11, 0x7f
	v_cmp_ne_u32_e64 s[12:13], s11, v16
	v_mov_b32_e32 v19, 0x7f80
	s_and_saveexec_b64 s[26:27], s[12:13]
	s_cbranch_execz .LBB794_608
; %bb.607:
	v_and_b32_e32 v19, 7, v14
	v_ffbh_u32_e32 v20, v19
	v_min_u32_e32 v23, 32, v20
	v_subrev_u32_e32 v20, 28, v23
	v_lshlrev_b64 v[20:21], v20, v[14:15]
	v_and_b32_e32 v20, 7, v20
	v_cmp_gt_u32_e64 s[12:13], 8, v16
	v_lshrrev_b32_e32 v22, 3, v16
	v_sub_u32_e32 v14, 29, v23
	v_cndmask_b32_e64 v16, v19, v20, s[12:13]
	v_mov_b32_e32 v19, 24
	v_cndmask_b32_e64 v14, v22, v14, s[12:13]
	v_lshlrev_b32_sdwa v19, v19, v10 dst_sel:DWORD dst_unused:UNUSED_PAD src0_sel:DWORD src1_sel:WORD_1
	v_bfrev_b32_e32 v20, 60
	v_lshlrev_b32_e32 v16, 20, v16
	v_and_b32_e32 v19, 0x80000000, v19
	v_lshl_add_u32 v14, v14, 23, v20
	v_or3_b32 v14, v19, v14, v16
	v_lshrrev_b32_e32 v19, 16, v14
.LBB794_608:
	s_or_b64 exec, exec, s[26:27]
.LBB794_609:
	s_or_b64 exec, exec, s[24:25]
.LBB794_610:
	s_or_b64 exec, exec, s[14:15]
	s_mov_b32 s11, 0xffffff
	v_cmp_lt_u32_e64 s[12:13], s11, v10
	v_mov_b32_e32 v20, 0
	s_and_saveexec_b64 s[14:15], s[12:13]
	s_cbranch_execz .LBB794_616
; %bb.611:
	v_lshrrev_b32_e32 v14, 24, v10
	s_movk_i32 s11, 0x80
	v_cmp_ne_u32_e64 s[12:13], s11, v14
	v_mov_b32_e32 v20, 0xffff8000
	s_and_saveexec_b64 s[24:25], s[12:13]
	s_cbranch_execz .LBB794_615
; %bb.612:
	v_bfe_u32 v16, v10, 24, 7
	s_movk_i32 s11, 0x7f
	v_cmp_ne_u32_e64 s[12:13], s11, v16
	v_mov_b32_e32 v20, 0x7f80
	s_and_saveexec_b64 s[26:27], s[12:13]
	s_cbranch_execz .LBB794_614
; %bb.613:
	v_and_b32_e32 v22, 7, v14
	v_ffbh_u32_e32 v20, v22
	v_min_u32_e32 v24, 32, v20
	v_subrev_u32_e32 v20, 28, v24
	v_lshlrev_b64 v[20:21], v20, v[14:15]
	v_lshrrev_b32_e32 v23, 3, v16
	v_sub_u32_e32 v21, 29, v24
	v_and_b32_e32 v20, 7, v20
	v_cmp_gt_u32_e64 s[12:13], 8, v16
	v_cndmask_b32_e64 v16, v23, v21, s[12:13]
	v_cndmask_b32_e64 v20, v22, v20, s[12:13]
	v_lshlrev_b32_e32 v14, 24, v14
	v_bfrev_b32_e32 v21, 60
	v_lshlrev_b32_e32 v20, 20, v20
	v_and_b32_e32 v14, 0x80000000, v14
	v_lshl_add_u32 v16, v16, 23, v21
	v_or3_b32 v14, v14, v16, v20
	v_lshrrev_b32_e32 v20, 16, v14
.LBB794_614:
	s_or_b64 exec, exec, s[26:27]
.LBB794_615:
	s_or_b64 exec, exec, s[24:25]
.LBB794_616:
	s_or_b64 exec, exec, s[14:15]
	v_mov_b32_e32 v21, 0
	v_mov_b32_e32 v14, v11
	v_cmp_ne_u16_sdwa s[12:13], v11, v21 src0_sel:BYTE_0 src1_sel:DWORD
	v_mov_b32_e32 v22, 0
	s_and_saveexec_b64 s[14:15], s[12:13]
	s_cbranch_execz .LBB794_622
; %bb.617:
	s_movk_i32 s11, 0x80
	v_cmp_ne_u16_sdwa s[12:13], v11, s11 src0_sel:BYTE_0 src1_sel:DWORD
	v_mov_b32_e32 v22, 0xffff8000
	s_and_saveexec_b64 s[24:25], s[12:13]
	s_cbranch_execz .LBB794_621
; %bb.618:
	s_movk_i32 s11, 0x7f
	v_and_b32_e32 v16, 0x7f, v11
	v_cmp_ne_u32_e64 s[12:13], s11, v16
	v_mov_b32_e32 v22, 0x7f80
	s_and_saveexec_b64 s[26:27], s[12:13]
	s_cbranch_execz .LBB794_620
; %bb.619:
	v_and_b32_e32 v22, 7, v11
	v_ffbh_u32_e32 v22, v22
	v_min_u32_e32 v22, 32, v22
	v_lshrrev_b32_e32 v23, 3, v16
	v_subrev_u32_e32 v24, 28, v22
	v_sub_u32_e32 v22, 29, v22
	v_cmp_gt_u32_e64 s[12:13], 8, v16
	v_cndmask_b32_e64 v16, v23, v22, s[12:13]
	v_cndmask_b32_e64 v22, 0, v24, s[12:13]
	v_lshlrev_b64 v[22:23], v22, v[14:15]
	v_lshlrev_b32_e32 v15, 20, v22
	v_lshlrev_b32_e32 v22, 24, v14
	v_bfrev_b32_e32 v23, 60
	v_and_b32_e32 v15, 0x700000, v15
	v_and_b32_e32 v22, 0x80000000, v22
	v_lshl_add_u32 v16, v16, 23, v23
	v_or3_b32 v15, v22, v16, v15
	v_lshrrev_b32_e32 v22, 16, v15
.LBB794_620:
	s_or_b64 exec, exec, s[26:27]
.LBB794_621:
	s_or_b64 exec, exec, s[24:25]
.LBB794_622:
	s_or_b64 exec, exec, s[14:15]
	v_lshrrev_b16_e32 v16, 8, v14
	v_cmp_ne_u16_e64 s[12:13], 0, v16
	s_and_saveexec_b64 s[14:15], s[12:13]
	s_cbranch_execz .LBB794_628
; %bb.623:
	s_movk_i32 s11, 0x80
	v_cmp_ne_u16_e64 s[12:13], s11, v16
	v_mov_b32_e32 v21, 0xffff8000
	s_and_saveexec_b64 s[24:25], s[12:13]
	s_cbranch_execz .LBB794_627
; %bb.624:
	s_movk_i32 s11, 0x7f
	v_and_b32_e32 v15, 0x7f, v16
	v_cmp_ne_u32_e64 s[12:13], s11, v15
	v_mov_b32_e32 v21, 0x7f80
	s_and_saveexec_b64 s[26:27], s[12:13]
	s_cbranch_execz .LBB794_626
; %bb.625:
	v_and_b32_e32 v21, 7, v16
	v_ffbh_u32_e32 v24, v21
	v_min_u32_e32 v26, 32, v24
	v_subrev_u32_e32 v24, 28, v26
	v_lshlrev_b64 v[24:25], v24, v[16:17]
	v_lshrrev_b32_e32 v23, 3, v15
	v_sub_u32_e32 v16, 29, v26
	v_and_b32_e32 v24, 7, v24
	v_cmp_gt_u32_e64 s[12:13], 8, v15
	v_cndmask_b32_e64 v15, v23, v16, s[12:13]
	v_cndmask_b32_e64 v16, v21, v24, s[12:13]
	v_lshlrev_b32_e32 v14, 16, v14
	v_bfrev_b32_e32 v21, 60
	v_lshlrev_b32_e32 v16, 20, v16
	v_and_b32_e32 v14, 0x80000000, v14
	v_lshl_add_u32 v15, v15, 23, v21
	v_or3_b32 v14, v14, v15, v16
	v_lshrrev_b32_e32 v21, 16, v14
.LBB794_626:
	s_or_b64 exec, exec, s[26:27]
.LBB794_627:
	s_or_b64 exec, exec, s[24:25]
.LBB794_628:
	s_or_b64 exec, exec, s[14:15]
	s_movk_i32 s11, 0xff
	v_and_b32_sdwa v23, v11, s11 dst_sel:DWORD dst_unused:UNUSED_PAD src0_sel:WORD_1 src1_sel:DWORD
	v_lshrrev_b32_e32 v14, 16, v11
	v_cmp_ne_u16_e64 s[12:13], 0, v23
	v_mov_b32_e32 v15, 0
	v_mov_b32_e32 v16, 0
	s_and_saveexec_b64 s[14:15], s[12:13]
	s_cbranch_execz .LBB794_634
; %bb.629:
	s_movk_i32 s11, 0x80
	v_cmp_ne_u16_e64 s[12:13], s11, v23
	v_mov_b32_e32 v16, 0xffff8000
	s_and_saveexec_b64 s[24:25], s[12:13]
	s_cbranch_execz .LBB794_633
; %bb.630:
	v_bfe_u32 v23, v11, 16, 7
	s_movk_i32 s11, 0x7f
	v_cmp_ne_u32_e64 s[12:13], s11, v23
	v_mov_b32_e32 v16, 0x7f80
	s_and_saveexec_b64 s[26:27], s[12:13]
	s_cbranch_execz .LBB794_632
; %bb.631:
	v_and_b32_e32 v16, 7, v14
	v_ffbh_u32_e32 v24, v16
	v_min_u32_e32 v27, 32, v24
	v_subrev_u32_e32 v24, 28, v27
	v_lshlrev_b64 v[24:25], v24, v[14:15]
	v_lshrrev_b32_e32 v26, 3, v23
	v_sub_u32_e32 v14, 29, v27
	v_and_b32_e32 v24, 7, v24
	v_cmp_gt_u32_e64 s[12:13], 8, v23
	v_mov_b32_e32 v23, 24
	v_cndmask_b32_e64 v14, v26, v14, s[12:13]
	v_cndmask_b32_e64 v16, v16, v24, s[12:13]
	v_lshlrev_b32_sdwa v23, v23, v11 dst_sel:DWORD dst_unused:UNUSED_PAD src0_sel:DWORD src1_sel:WORD_1
	v_bfrev_b32_e32 v24, 60
	v_lshlrev_b32_e32 v16, 20, v16
	v_and_b32_e32 v23, 0x80000000, v23
	v_lshl_add_u32 v14, v14, 23, v24
	v_or3_b32 v14, v23, v14, v16
	v_lshrrev_b32_e32 v16, 16, v14
.LBB794_632:
	s_or_b64 exec, exec, s[26:27]
.LBB794_633:
	s_or_b64 exec, exec, s[24:25]
.LBB794_634:
	s_or_b64 exec, exec, s[14:15]
	s_mov_b32 s12, -1
	s_mov_b32 s13, 0xffffff
	v_cmp_lt_u64_e64 s[12:13], s[12:13], v[10:11]
	s_and_saveexec_b64 s[14:15], s[12:13]
	s_cbranch_execz .LBB794_640
; %bb.635:
	v_lshrrev_b32_e32 v10, 24, v11
	s_movk_i32 s11, 0x80
	v_cmp_ne_u32_e64 s[12:13], s11, v10
	v_mov_b32_e32 v15, 0xffff8000
	s_and_saveexec_b64 s[24:25], s[12:13]
	s_cbranch_execz .LBB794_639
; %bb.636:
	v_bfe_u32 v11, v11, 24, 7
	s_movk_i32 s11, 0x7f
	v_cmp_ne_u32_e64 s[12:13], s11, v11
	v_mov_b32_e32 v15, 0x7f80
	s_and_saveexec_b64 s[26:27], s[12:13]
	s_cbranch_execz .LBB794_638
; %bb.637:
	v_and_b32_e32 v23, 7, v10
	v_ffbh_u32_e32 v14, v23
	v_min_u32_e32 v25, 32, v14
	v_subrev_u32_e32 v14, 28, v25
	v_lshlrev_b64 v[14:15], v14, v[10:11]
	v_lshrrev_b32_e32 v24, 3, v11
	v_sub_u32_e32 v15, 29, v25
	v_and_b32_e32 v14, 7, v14
	v_cmp_gt_u32_e64 s[12:13], 8, v11
	v_cndmask_b32_e64 v11, v24, v15, s[12:13]
	v_cndmask_b32_e64 v14, v23, v14, s[12:13]
	v_lshlrev_b32_e32 v10, 24, v10
	v_bfrev_b32_e32 v15, 60
	v_lshlrev_b32_e32 v14, 20, v14
	v_and_b32_e32 v10, 0x80000000, v10
	v_lshl_add_u32 v11, v11, 23, v15
	v_or3_b32 v10, v10, v11, v14
	v_lshrrev_b32_e32 v15, 16, v10
.LBB794_638:
	s_or_b64 exec, exec, s[26:27]
.LBB794_639:
	s_or_b64 exec, exec, s[24:25]
.LBB794_640:
	s_or_b64 exec, exec, s[14:15]
	s_mov_b32 s11, 0x5040100
	v_perm_b32 v11, v20, v19, s11
	v_perm_b32 v10, v17, v18, s11
	;; [unrolled: 1-line block ×4, first 2 shown]
	v_mfma_f32_4x4x4bf16_1k a[0:3], v[2:3], v[10:11], a[0:3] cbsz:4 abid:12
	v_mov_b32_e32 v16, 0
	v_mfma_f32_4x4x4bf16_1k a[0:3], v[4:5], v[14:15], a[0:3] cbsz:4 abid:12
	v_mov_b32_e32 v15, 0
	v_cmp_ne_u16_sdwa s[12:13], v12, v15 src0_sel:BYTE_0 src1_sel:DWORD
	s_and_saveexec_b64 s[14:15], s[12:13]
	s_cbranch_execz .LBB794_646
; %bb.641:
	s_movk_i32 s11, 0x80
	v_cmp_ne_u16_sdwa s[12:13], v12, s11 src0_sel:BYTE_0 src1_sel:DWORD
	v_mov_b32_e32 v16, 0xffff8000
	s_and_saveexec_b64 s[24:25], s[12:13]
	s_cbranch_execz .LBB794_645
; %bb.642:
	s_movk_i32 s11, 0x7f
	v_and_b32_e32 v10, 0x7f, v12
	v_cmp_ne_u32_e64 s[12:13], s11, v10
	v_mov_b32_e32 v16, 0x7f80
	s_and_saveexec_b64 s[26:27], s[12:13]
	s_cbranch_execz .LBB794_644
; %bb.643:
	v_and_b32_e32 v11, 7, v12
	v_ffbh_u32_e32 v11, v11
	v_min_u32_e32 v11, 32, v11
	v_subrev_u32_e32 v16, 28, v11
	v_cmp_gt_u32_e64 s[12:13], 8, v10
	v_lshrrev_b32_e32 v14, 3, v10
	v_sub_u32_e32 v11, 29, v11
	v_cndmask_b32_e64 v10, 0, v16, s[12:13]
	v_cndmask_b32_e64 v14, v14, v11, s[12:13]
	v_lshlrev_b64 v[10:11], v10, v[12:13]
	v_lshlrev_b32_e32 v10, 20, v10
	v_lshlrev_b32_e32 v11, 24, v12
	v_bfrev_b32_e32 v16, 60
	v_and_b32_e32 v10, 0x700000, v10
	v_and_b32_e32 v11, 0x80000000, v11
	v_lshl_add_u32 v14, v14, 23, v16
	v_or3_b32 v10, v11, v14, v10
	v_lshrrev_b32_e32 v16, 16, v10
.LBB794_644:
	s_or_b64 exec, exec, s[26:27]
.LBB794_645:
	s_or_b64 exec, exec, s[24:25]
.LBB794_646:
	s_or_b64 exec, exec, s[14:15]
	v_lshrrev_b16_e32 v10, 8, v12
	v_cmp_ne_u16_e64 s[12:13], 0, v10
	s_and_saveexec_b64 s[14:15], s[12:13]
	s_cbranch_execz .LBB794_652
; %bb.647:
	s_movk_i32 s11, 0x80
	v_cmp_ne_u16_e64 s[12:13], s11, v10
	v_mov_b32_e32 v15, 0xffff8000
	s_and_saveexec_b64 s[24:25], s[12:13]
	s_cbranch_execz .LBB794_651
; %bb.648:
	s_movk_i32 s11, 0x7f
	v_and_b32_e32 v11, 0x7f, v10
	v_cmp_ne_u32_e64 s[12:13], s11, v11
	v_mov_b32_e32 v15, 0x7f80
	s_and_saveexec_b64 s[26:27], s[12:13]
	s_cbranch_execz .LBB794_650
; %bb.649:
	v_and_b32_e32 v17, 7, v10
	v_ffbh_u32_e32 v14, v17
	v_min_u32_e32 v19, 32, v14
	v_subrev_u32_e32 v14, 28, v19
	v_lshlrev_b64 v[14:15], v14, v[10:11]
	v_lshrrev_b32_e32 v18, 3, v11
	v_sub_u32_e32 v10, 29, v19
	v_and_b32_e32 v14, 7, v14
	v_cmp_gt_u32_e64 s[12:13], 8, v11
	v_cndmask_b32_e64 v10, v18, v10, s[12:13]
	v_cndmask_b32_e64 v11, v17, v14, s[12:13]
	v_lshlrev_b32_e32 v14, 16, v12
	v_bfrev_b32_e32 v15, 60
	v_lshlrev_b32_e32 v11, 20, v11
	v_and_b32_e32 v14, 0x80000000, v14
	v_lshl_add_u32 v10, v10, 23, v15
	v_or3_b32 v10, v14, v10, v11
	v_lshrrev_b32_e32 v15, 16, v10
.LBB794_650:
	s_or_b64 exec, exec, s[26:27]
.LBB794_651:
	s_or_b64 exec, exec, s[24:25]
.LBB794_652:
	s_or_b64 exec, exec, s[14:15]
	s_movk_i32 s11, 0xff
	v_and_b32_sdwa v14, v12, s11 dst_sel:DWORD dst_unused:UNUSED_PAD src0_sel:WORD_1 src1_sel:DWORD
	v_lshrrev_b32_e32 v10, 16, v12
	v_cmp_ne_u16_e64 s[12:13], 0, v14
	v_mov_b32_e32 v11, 0
	v_mov_b32_e32 v17, 0
	s_and_saveexec_b64 s[14:15], s[12:13]
	s_cbranch_execz .LBB794_658
; %bb.653:
	s_movk_i32 s11, 0x80
	v_cmp_ne_u16_e64 s[12:13], s11, v14
	v_mov_b32_e32 v17, 0xffff8000
	s_and_saveexec_b64 s[24:25], s[12:13]
	s_cbranch_execz .LBB794_657
; %bb.654:
	v_bfe_u32 v14, v12, 16, 7
	s_movk_i32 s11, 0x7f
	v_cmp_ne_u32_e64 s[12:13], s11, v14
	v_mov_b32_e32 v17, 0x7f80
	s_and_saveexec_b64 s[26:27], s[12:13]
	s_cbranch_execz .LBB794_656
; %bb.655:
	v_and_b32_e32 v17, 7, v10
	v_ffbh_u32_e32 v18, v17
	v_min_u32_e32 v21, 32, v18
	v_subrev_u32_e32 v18, 28, v21
	v_lshlrev_b64 v[18:19], v18, v[10:11]
	v_and_b32_e32 v18, 7, v18
	v_cmp_gt_u32_e64 s[12:13], 8, v14
	v_lshrrev_b32_e32 v20, 3, v14
	v_sub_u32_e32 v10, 29, v21
	v_cndmask_b32_e64 v14, v17, v18, s[12:13]
	v_mov_b32_e32 v17, 24
	v_cndmask_b32_e64 v10, v20, v10, s[12:13]
	v_lshlrev_b32_sdwa v17, v17, v12 dst_sel:DWORD dst_unused:UNUSED_PAD src0_sel:DWORD src1_sel:WORD_1
	v_bfrev_b32_e32 v18, 60
	v_lshlrev_b32_e32 v14, 20, v14
	v_and_b32_e32 v17, 0x80000000, v17
	v_lshl_add_u32 v10, v10, 23, v18
	v_or3_b32 v10, v17, v10, v14
	v_lshrrev_b32_e32 v17, 16, v10
.LBB794_656:
	s_or_b64 exec, exec, s[26:27]
.LBB794_657:
	s_or_b64 exec, exec, s[24:25]
.LBB794_658:
	s_or_b64 exec, exec, s[14:15]
	s_mov_b32 s11, 0xffffff
	v_cmp_lt_u32_e64 s[12:13], s11, v12
	v_mov_b32_e32 v18, 0
	s_and_saveexec_b64 s[14:15], s[12:13]
	s_cbranch_execz .LBB794_664
; %bb.659:
	v_lshrrev_b32_e32 v10, 24, v12
	s_movk_i32 s11, 0x80
	v_cmp_ne_u32_e64 s[12:13], s11, v10
	v_mov_b32_e32 v18, 0xffff8000
	s_and_saveexec_b64 s[24:25], s[12:13]
	s_cbranch_execz .LBB794_663
; %bb.660:
	v_bfe_u32 v14, v12, 24, 7
	s_movk_i32 s11, 0x7f
	v_cmp_ne_u32_e64 s[12:13], s11, v14
	v_mov_b32_e32 v18, 0x7f80
	s_and_saveexec_b64 s[26:27], s[12:13]
	s_cbranch_execz .LBB794_662
; %bb.661:
	v_and_b32_e32 v20, 7, v10
	v_ffbh_u32_e32 v18, v20
	v_min_u32_e32 v22, 32, v18
	v_subrev_u32_e32 v18, 28, v22
	v_lshlrev_b64 v[18:19], v18, v[10:11]
	v_lshrrev_b32_e32 v21, 3, v14
	v_sub_u32_e32 v19, 29, v22
	v_and_b32_e32 v18, 7, v18
	v_cmp_gt_u32_e64 s[12:13], 8, v14
	v_cndmask_b32_e64 v14, v21, v19, s[12:13]
	v_cndmask_b32_e64 v18, v20, v18, s[12:13]
	v_lshlrev_b32_e32 v10, 24, v10
	v_bfrev_b32_e32 v19, 60
	v_lshlrev_b32_e32 v18, 20, v18
	v_and_b32_e32 v10, 0x80000000, v10
	v_lshl_add_u32 v14, v14, 23, v19
	v_or3_b32 v10, v10, v14, v18
	v_lshrrev_b32_e32 v18, 16, v10
.LBB794_662:
	s_or_b64 exec, exec, s[26:27]
.LBB794_663:
	s_or_b64 exec, exec, s[24:25]
.LBB794_664:
	s_or_b64 exec, exec, s[14:15]
	v_mov_b32_e32 v19, 0
	v_mov_b32_e32 v10, v13
	v_cmp_ne_u16_sdwa s[12:13], v13, v19 src0_sel:BYTE_0 src1_sel:DWORD
	v_mov_b32_e32 v20, 0
	s_and_saveexec_b64 s[14:15], s[12:13]
	s_cbranch_execz .LBB794_670
; %bb.665:
	s_movk_i32 s11, 0x80
	v_cmp_ne_u16_sdwa s[12:13], v13, s11 src0_sel:BYTE_0 src1_sel:DWORD
	v_mov_b32_e32 v20, 0xffff8000
	s_and_saveexec_b64 s[24:25], s[12:13]
	s_cbranch_execz .LBB794_669
; %bb.666:
	s_movk_i32 s11, 0x7f
	v_and_b32_e32 v14, 0x7f, v13
	v_cmp_ne_u32_e64 s[12:13], s11, v14
	v_mov_b32_e32 v20, 0x7f80
	s_and_saveexec_b64 s[26:27], s[12:13]
	s_cbranch_execz .LBB794_668
; %bb.667:
	v_and_b32_e32 v20, 7, v13
	v_ffbh_u32_e32 v20, v20
	v_min_u32_e32 v20, 32, v20
	v_lshrrev_b32_e32 v21, 3, v14
	v_subrev_u32_e32 v22, 28, v20
	v_sub_u32_e32 v20, 29, v20
	v_cmp_gt_u32_e64 s[12:13], 8, v14
	v_cndmask_b32_e64 v14, v21, v20, s[12:13]
	v_cndmask_b32_e64 v20, 0, v22, s[12:13]
	v_lshlrev_b64 v[20:21], v20, v[10:11]
	v_lshlrev_b32_e32 v11, 20, v20
	v_lshlrev_b32_e32 v20, 24, v10
	v_bfrev_b32_e32 v21, 60
	v_and_b32_e32 v11, 0x700000, v11
	v_and_b32_e32 v20, 0x80000000, v20
	v_lshl_add_u32 v14, v14, 23, v21
	v_or3_b32 v11, v20, v14, v11
	v_lshrrev_b32_e32 v20, 16, v11
.LBB794_668:
	s_or_b64 exec, exec, s[26:27]
.LBB794_669:
	s_or_b64 exec, exec, s[24:25]
.LBB794_670:
	s_or_b64 exec, exec, s[14:15]
	v_lshrrev_b16_e32 v14, 8, v10
	v_cmp_ne_u16_e64 s[12:13], 0, v14
	s_and_saveexec_b64 s[14:15], s[12:13]
	s_cbranch_execz .LBB794_676
; %bb.671:
	s_movk_i32 s11, 0x80
	v_cmp_ne_u16_e64 s[12:13], s11, v14
	v_mov_b32_e32 v19, 0xffff8000
	s_and_saveexec_b64 s[24:25], s[12:13]
	s_cbranch_execz .LBB794_675
; %bb.672:
	s_movk_i32 s11, 0x7f
	v_and_b32_e32 v11, 0x7f, v14
	v_cmp_ne_u32_e64 s[12:13], s11, v11
	v_mov_b32_e32 v19, 0x7f80
	s_and_saveexec_b64 s[26:27], s[12:13]
	s_cbranch_execz .LBB794_674
; %bb.673:
	v_and_b32_e32 v19, 7, v14
	v_ffbh_u32_e32 v22, v19
	v_min_u32_e32 v24, 32, v22
	v_subrev_u32_e32 v22, 28, v24
	v_lshlrev_b64 v[22:23], v22, v[14:15]
	v_lshrrev_b32_e32 v21, 3, v11
	v_sub_u32_e32 v14, 29, v24
	v_and_b32_e32 v22, 7, v22
	v_cmp_gt_u32_e64 s[12:13], 8, v11
	v_cndmask_b32_e64 v11, v21, v14, s[12:13]
	v_cndmask_b32_e64 v14, v19, v22, s[12:13]
	v_lshlrev_b32_e32 v10, 16, v10
	v_bfrev_b32_e32 v19, 60
	v_lshlrev_b32_e32 v14, 20, v14
	v_and_b32_e32 v10, 0x80000000, v10
	v_lshl_add_u32 v11, v11, 23, v19
	v_or3_b32 v10, v10, v11, v14
	v_lshrrev_b32_e32 v19, 16, v10
.LBB794_674:
	s_or_b64 exec, exec, s[26:27]
.LBB794_675:
	s_or_b64 exec, exec, s[24:25]
.LBB794_676:
	s_or_b64 exec, exec, s[14:15]
	s_movk_i32 s11, 0xff
	v_and_b32_sdwa v21, v13, s11 dst_sel:DWORD dst_unused:UNUSED_PAD src0_sel:WORD_1 src1_sel:DWORD
	v_lshrrev_b32_e32 v10, 16, v13
	v_cmp_ne_u16_e64 s[12:13], 0, v21
	v_mov_b32_e32 v11, 0
	v_mov_b32_e32 v14, 0
	s_and_saveexec_b64 s[14:15], s[12:13]
	s_cbranch_execz .LBB794_682
; %bb.677:
	s_movk_i32 s11, 0x80
	v_cmp_ne_u16_e64 s[12:13], s11, v21
	v_mov_b32_e32 v14, 0xffff8000
	s_and_saveexec_b64 s[24:25], s[12:13]
	s_cbranch_execz .LBB794_681
; %bb.678:
	v_bfe_u32 v21, v13, 16, 7
	s_movk_i32 s11, 0x7f
	v_cmp_ne_u32_e64 s[12:13], s11, v21
	v_mov_b32_e32 v14, 0x7f80
	s_and_saveexec_b64 s[26:27], s[12:13]
	s_cbranch_execz .LBB794_680
; %bb.679:
	v_and_b32_e32 v14, 7, v10
	v_ffbh_u32_e32 v22, v14
	v_min_u32_e32 v25, 32, v22
	v_subrev_u32_e32 v22, 28, v25
	v_lshlrev_b64 v[22:23], v22, v[10:11]
	v_lshrrev_b32_e32 v24, 3, v21
	v_sub_u32_e32 v10, 29, v25
	v_and_b32_e32 v22, 7, v22
	v_cmp_gt_u32_e64 s[12:13], 8, v21
	v_mov_b32_e32 v21, 24
	v_cndmask_b32_e64 v10, v24, v10, s[12:13]
	v_cndmask_b32_e64 v14, v14, v22, s[12:13]
	v_lshlrev_b32_sdwa v21, v21, v13 dst_sel:DWORD dst_unused:UNUSED_PAD src0_sel:DWORD src1_sel:WORD_1
	v_bfrev_b32_e32 v22, 60
	v_lshlrev_b32_e32 v14, 20, v14
	v_and_b32_e32 v21, 0x80000000, v21
	v_lshl_add_u32 v10, v10, 23, v22
	v_or3_b32 v10, v21, v10, v14
	v_lshrrev_b32_e32 v14, 16, v10
.LBB794_680:
	s_or_b64 exec, exec, s[26:27]
.LBB794_681:
	s_or_b64 exec, exec, s[24:25]
.LBB794_682:
	s_or_b64 exec, exec, s[14:15]
	s_mov_b32 s12, -1
	s_mov_b32 s13, 0xffffff
	v_cmp_lt_u64_e64 s[12:13], s[12:13], v[12:13]
	s_and_saveexec_b64 s[14:15], s[12:13]
	s_cbranch_execz .LBB794_688
; %bb.683:
	v_lshrrev_b32_e32 v10, 24, v13
	s_movk_i32 s11, 0x80
	v_cmp_ne_u32_e64 s[12:13], s11, v10
	v_mov_b32_e32 v11, 0xffff8000
	s_and_saveexec_b64 s[24:25], s[12:13]
	s_cbranch_execz .LBB794_687
; %bb.684:
	v_bfe_u32 v12, v13, 24, 7
	s_movk_i32 s11, 0x7f
	v_cmp_ne_u32_e64 s[12:13], s11, v12
	v_mov_b32_e32 v11, 0x7f80
	s_and_saveexec_b64 s[26:27], s[12:13]
	s_cbranch_execz .LBB794_686
; %bb.685:
	v_and_b32_e32 v11, 7, v10
	v_ffbh_u32_e32 v21, v11
	v_min_u32_e32 v21, 32, v21
	v_subrev_u32_e32 v22, 28, v21
	v_lshlrev_b64 v[22:23], v22, v[10:11]
	v_lshrrev_b32_e32 v13, 3, v12
	v_sub_u32_e32 v21, 29, v21
	v_and_b32_e32 v22, 7, v22
	v_cmp_gt_u32_e64 s[12:13], 8, v12
	v_cndmask_b32_e64 v12, v13, v21, s[12:13]
	v_cndmask_b32_e64 v11, v11, v22, s[12:13]
	v_lshlrev_b32_e32 v10, 24, v10
	v_bfrev_b32_e32 v13, 60
	v_lshlrev_b32_e32 v11, 20, v11
	v_and_b32_e32 v10, 0x80000000, v10
	v_lshl_add_u32 v12, v12, 23, v13
	v_or3_b32 v10, v10, v12, v11
	v_lshrrev_b32_e32 v11, 16, v10
.LBB794_686:
	s_or_b64 exec, exec, s[26:27]
.LBB794_687:
	s_or_b64 exec, exec, s[24:25]
.LBB794_688:
	s_or_b64 exec, exec, s[14:15]
	s_mov_b32 s11, 0x5040100
	v_perm_b32 v13, v18, v17, s11
	v_perm_b32 v12, v15, v16, s11
	;; [unrolled: 1-line block ×4, first 2 shown]
	v_mfma_f32_4x4x4bf16_1k a[0:3], v[2:3], v[12:13], a[0:3] cbsz:4 abid:13
	v_mov_b32_e32 v13, 0
	v_mfma_f32_4x4x4bf16_1k a[0:3], v[4:5], v[10:11], a[0:3] cbsz:4 abid:13
	v_cmp_ne_u16_sdwa s[12:13], v6, v13 src0_sel:BYTE_0 src1_sel:DWORD
	v_mov_b32_e32 v14, 0
	s_and_saveexec_b64 s[14:15], s[12:13]
	s_cbranch_execz .LBB794_694
; %bb.689:
	s_movk_i32 s11, 0x80
	v_cmp_ne_u16_sdwa s[12:13], v6, s11 src0_sel:BYTE_0 src1_sel:DWORD
	v_mov_b32_e32 v14, 0xffff8000
	s_and_saveexec_b64 s[24:25], s[12:13]
	s_cbranch_execz .LBB794_693
; %bb.690:
	s_movk_i32 s11, 0x7f
	v_and_b32_e32 v10, 0x7f, v6
	v_cmp_ne_u32_e64 s[12:13], s11, v10
	v_mov_b32_e32 v14, 0x7f80
	s_and_saveexec_b64 s[26:27], s[12:13]
	s_cbranch_execz .LBB794_692
; %bb.691:
	v_and_b32_e32 v11, 7, v6
	v_ffbh_u32_e32 v11, v11
	v_min_u32_e32 v11, 32, v11
	v_subrev_u32_e32 v14, 28, v11
	v_cmp_gt_u32_e64 s[12:13], 8, v10
	v_lshrrev_b32_e32 v12, 3, v10
	v_sub_u32_e32 v11, 29, v11
	v_cndmask_b32_e64 v10, 0, v14, s[12:13]
	v_cndmask_b32_e64 v12, v12, v11, s[12:13]
	v_lshlrev_b64 v[10:11], v10, v[6:7]
	v_lshlrev_b32_e32 v10, 20, v10
	v_lshlrev_b32_e32 v11, 24, v6
	v_bfrev_b32_e32 v14, 60
	v_and_b32_e32 v10, 0x700000, v10
	v_and_b32_e32 v11, 0x80000000, v11
	v_lshl_add_u32 v12, v12, 23, v14
	v_or3_b32 v10, v11, v12, v10
	v_lshrrev_b32_e32 v14, 16, v10
.LBB794_692:
	s_or_b64 exec, exec, s[26:27]
.LBB794_693:
	s_or_b64 exec, exec, s[24:25]
.LBB794_694:
	s_or_b64 exec, exec, s[14:15]
	v_lshrrev_b16_e32 v10, 8, v6
	v_cmp_ne_u16_e64 s[12:13], 0, v10
	s_and_saveexec_b64 s[14:15], s[12:13]
	s_cbranch_execz .LBB794_700
; %bb.695:
	s_movk_i32 s11, 0x80
	v_cmp_ne_u16_e64 s[12:13], s11, v10
	v_mov_b32_e32 v13, 0xffff8000
	s_and_saveexec_b64 s[24:25], s[12:13]
	s_cbranch_execz .LBB794_699
; %bb.696:
	s_movk_i32 s11, 0x7f
	v_and_b32_e32 v11, 0x7f, v10
	v_cmp_ne_u32_e64 s[12:13], s11, v11
	v_mov_b32_e32 v13, 0x7f80
	s_and_saveexec_b64 s[26:27], s[12:13]
	s_cbranch_execz .LBB794_698
; %bb.697:
	v_and_b32_e32 v15, 7, v10
	v_ffbh_u32_e32 v12, v15
	v_min_u32_e32 v17, 32, v12
	v_subrev_u32_e32 v12, 28, v17
	v_lshlrev_b64 v[12:13], v12, v[10:11]
	v_lshrrev_b32_e32 v16, 3, v11
	v_sub_u32_e32 v10, 29, v17
	v_and_b32_e32 v12, 7, v12
	v_cmp_gt_u32_e64 s[12:13], 8, v11
	v_cndmask_b32_e64 v10, v16, v10, s[12:13]
	v_cndmask_b32_e64 v11, v15, v12, s[12:13]
	v_lshlrev_b32_e32 v12, 16, v6
	v_bfrev_b32_e32 v13, 60
	v_lshlrev_b32_e32 v11, 20, v11
	v_and_b32_e32 v12, 0x80000000, v12
	v_lshl_add_u32 v10, v10, 23, v13
	v_or3_b32 v10, v12, v10, v11
	v_lshrrev_b32_e32 v13, 16, v10
.LBB794_698:
	s_or_b64 exec, exec, s[26:27]
.LBB794_699:
	s_or_b64 exec, exec, s[24:25]
.LBB794_700:
	s_or_b64 exec, exec, s[14:15]
	s_movk_i32 s11, 0xff
	v_and_b32_sdwa v12, v6, s11 dst_sel:DWORD dst_unused:UNUSED_PAD src0_sel:WORD_1 src1_sel:DWORD
	v_lshrrev_b32_e32 v10, 16, v6
	v_cmp_ne_u16_e64 s[12:13], 0, v12
	v_mov_b32_e32 v11, 0
	v_mov_b32_e32 v15, 0
	s_and_saveexec_b64 s[14:15], s[12:13]
	s_cbranch_execz .LBB794_706
; %bb.701:
	s_movk_i32 s11, 0x80
	v_cmp_ne_u16_e64 s[12:13], s11, v12
	v_mov_b32_e32 v15, 0xffff8000
	s_and_saveexec_b64 s[24:25], s[12:13]
	s_cbranch_execz .LBB794_705
; %bb.702:
	v_bfe_u32 v12, v6, 16, 7
	s_movk_i32 s11, 0x7f
	v_cmp_ne_u32_e64 s[12:13], s11, v12
	v_mov_b32_e32 v15, 0x7f80
	s_and_saveexec_b64 s[26:27], s[12:13]
	s_cbranch_execz .LBB794_704
; %bb.703:
	v_and_b32_e32 v15, 7, v10
	v_ffbh_u32_e32 v16, v15
	v_min_u32_e32 v19, 32, v16
	v_subrev_u32_e32 v16, 28, v19
	v_lshlrev_b64 v[16:17], v16, v[10:11]
	v_and_b32_e32 v16, 7, v16
	v_cmp_gt_u32_e64 s[12:13], 8, v12
	v_lshrrev_b32_e32 v18, 3, v12
	v_sub_u32_e32 v10, 29, v19
	v_cndmask_b32_e64 v12, v15, v16, s[12:13]
	v_mov_b32_e32 v15, 24
	v_cndmask_b32_e64 v10, v18, v10, s[12:13]
	v_lshlrev_b32_sdwa v15, v15, v6 dst_sel:DWORD dst_unused:UNUSED_PAD src0_sel:DWORD src1_sel:WORD_1
	v_bfrev_b32_e32 v16, 60
	v_lshlrev_b32_e32 v12, 20, v12
	v_and_b32_e32 v15, 0x80000000, v15
	v_lshl_add_u32 v10, v10, 23, v16
	v_or3_b32 v10, v15, v10, v12
	v_lshrrev_b32_e32 v15, 16, v10
.LBB794_704:
	s_or_b64 exec, exec, s[26:27]
.LBB794_705:
	s_or_b64 exec, exec, s[24:25]
.LBB794_706:
	s_or_b64 exec, exec, s[14:15]
	s_mov_b32 s11, 0xffffff
	v_cmp_lt_u32_e64 s[12:13], s11, v6
	v_mov_b32_e32 v16, 0
	s_and_saveexec_b64 s[14:15], s[12:13]
	s_cbranch_execz .LBB794_712
; %bb.707:
	v_lshrrev_b32_e32 v10, 24, v6
	s_movk_i32 s11, 0x80
	v_cmp_ne_u32_e64 s[12:13], s11, v10
	v_mov_b32_e32 v16, 0xffff8000
	s_and_saveexec_b64 s[24:25], s[12:13]
	s_cbranch_execz .LBB794_711
; %bb.708:
	v_bfe_u32 v12, v6, 24, 7
	s_movk_i32 s11, 0x7f
	v_cmp_ne_u32_e64 s[12:13], s11, v12
	v_mov_b32_e32 v16, 0x7f80
	s_and_saveexec_b64 s[26:27], s[12:13]
	s_cbranch_execz .LBB794_710
; %bb.709:
	v_and_b32_e32 v18, 7, v10
	v_ffbh_u32_e32 v16, v18
	v_min_u32_e32 v20, 32, v16
	v_subrev_u32_e32 v16, 28, v20
	v_lshlrev_b64 v[16:17], v16, v[10:11]
	v_lshrrev_b32_e32 v19, 3, v12
	v_sub_u32_e32 v17, 29, v20
	v_and_b32_e32 v16, 7, v16
	v_cmp_gt_u32_e64 s[12:13], 8, v12
	v_cndmask_b32_e64 v12, v19, v17, s[12:13]
	v_cndmask_b32_e64 v16, v18, v16, s[12:13]
	v_lshlrev_b32_e32 v10, 24, v10
	v_bfrev_b32_e32 v17, 60
	v_lshlrev_b32_e32 v16, 20, v16
	v_and_b32_e32 v10, 0x80000000, v10
	v_lshl_add_u32 v12, v12, 23, v17
	v_or3_b32 v10, v10, v12, v16
	v_lshrrev_b32_e32 v16, 16, v10
.LBB794_710:
	s_or_b64 exec, exec, s[26:27]
.LBB794_711:
	s_or_b64 exec, exec, s[24:25]
.LBB794_712:
	s_or_b64 exec, exec, s[14:15]
	v_mov_b32_e32 v17, 0
	v_mov_b32_e32 v10, v7
	v_cmp_ne_u16_sdwa s[12:13], v7, v17 src0_sel:BYTE_0 src1_sel:DWORD
	v_mov_b32_e32 v18, 0
	s_and_saveexec_b64 s[14:15], s[12:13]
	s_cbranch_execz .LBB794_718
; %bb.713:
	s_movk_i32 s11, 0x80
	v_cmp_ne_u16_sdwa s[12:13], v7, s11 src0_sel:BYTE_0 src1_sel:DWORD
	v_mov_b32_e32 v18, 0xffff8000
	s_and_saveexec_b64 s[24:25], s[12:13]
	s_cbranch_execz .LBB794_717
; %bb.714:
	s_movk_i32 s11, 0x7f
	v_and_b32_e32 v12, 0x7f, v7
	v_cmp_ne_u32_e64 s[12:13], s11, v12
	v_mov_b32_e32 v18, 0x7f80
	s_and_saveexec_b64 s[26:27], s[12:13]
	s_cbranch_execz .LBB794_716
; %bb.715:
	v_and_b32_e32 v18, 7, v7
	v_ffbh_u32_e32 v18, v18
	v_min_u32_e32 v18, 32, v18
	v_lshrrev_b32_e32 v19, 3, v12
	v_subrev_u32_e32 v20, 28, v18
	v_sub_u32_e32 v18, 29, v18
	v_cmp_gt_u32_e64 s[12:13], 8, v12
	v_cndmask_b32_e64 v12, v19, v18, s[12:13]
	v_cndmask_b32_e64 v18, 0, v20, s[12:13]
	v_lshlrev_b64 v[18:19], v18, v[10:11]
	v_lshlrev_b32_e32 v11, 20, v18
	v_lshlrev_b32_e32 v18, 24, v10
	v_bfrev_b32_e32 v19, 60
	v_and_b32_e32 v11, 0x700000, v11
	v_and_b32_e32 v18, 0x80000000, v18
	v_lshl_add_u32 v12, v12, 23, v19
	v_or3_b32 v11, v18, v12, v11
	v_lshrrev_b32_e32 v18, 16, v11
.LBB794_716:
	s_or_b64 exec, exec, s[26:27]
.LBB794_717:
	s_or_b64 exec, exec, s[24:25]
.LBB794_718:
	s_or_b64 exec, exec, s[14:15]
	v_lshrrev_b16_e32 v12, 8, v10
	v_cmp_ne_u16_e64 s[12:13], 0, v12
	s_and_saveexec_b64 s[14:15], s[12:13]
	s_cbranch_execz .LBB794_724
; %bb.719:
	s_movk_i32 s11, 0x80
	v_cmp_ne_u16_e64 s[12:13], s11, v12
	v_mov_b32_e32 v17, 0xffff8000
	s_and_saveexec_b64 s[24:25], s[12:13]
	s_cbranch_execz .LBB794_723
; %bb.720:
	s_movk_i32 s11, 0x7f
	v_and_b32_e32 v11, 0x7f, v12
	v_cmp_ne_u32_e64 s[12:13], s11, v11
	v_mov_b32_e32 v17, 0x7f80
	s_and_saveexec_b64 s[26:27], s[12:13]
	s_cbranch_execz .LBB794_722
; %bb.721:
	v_and_b32_e32 v17, 7, v12
	v_ffbh_u32_e32 v20, v17
	v_min_u32_e32 v22, 32, v20
	v_subrev_u32_e32 v20, 28, v22
	v_lshlrev_b64 v[20:21], v20, v[12:13]
	v_lshrrev_b32_e32 v19, 3, v11
	v_sub_u32_e32 v12, 29, v22
	v_and_b32_e32 v20, 7, v20
	v_cmp_gt_u32_e64 s[12:13], 8, v11
	v_cndmask_b32_e64 v11, v19, v12, s[12:13]
	v_cndmask_b32_e64 v12, v17, v20, s[12:13]
	v_lshlrev_b32_e32 v10, 16, v10
	v_bfrev_b32_e32 v17, 60
	v_lshlrev_b32_e32 v12, 20, v12
	v_and_b32_e32 v10, 0x80000000, v10
	v_lshl_add_u32 v11, v11, 23, v17
	v_or3_b32 v10, v10, v11, v12
	v_lshrrev_b32_e32 v17, 16, v10
.LBB794_722:
	s_or_b64 exec, exec, s[26:27]
.LBB794_723:
	s_or_b64 exec, exec, s[24:25]
.LBB794_724:
	s_or_b64 exec, exec, s[14:15]
	s_movk_i32 s11, 0xff
	v_and_b32_sdwa v19, v7, s11 dst_sel:DWORD dst_unused:UNUSED_PAD src0_sel:WORD_1 src1_sel:DWORD
	v_lshrrev_b32_e32 v10, 16, v7
	v_cmp_ne_u16_e64 s[12:13], 0, v19
	v_mov_b32_e32 v11, 0
	v_mov_b32_e32 v12, 0
	s_and_saveexec_b64 s[14:15], s[12:13]
	s_cbranch_execz .LBB794_730
; %bb.725:
	s_movk_i32 s11, 0x80
	v_cmp_ne_u16_e64 s[12:13], s11, v19
	v_mov_b32_e32 v12, 0xffff8000
	s_and_saveexec_b64 s[24:25], s[12:13]
	s_cbranch_execz .LBB794_729
; %bb.726:
	v_bfe_u32 v19, v7, 16, 7
	s_movk_i32 s11, 0x7f
	v_cmp_ne_u32_e64 s[12:13], s11, v19
	v_mov_b32_e32 v12, 0x7f80
	s_and_saveexec_b64 s[26:27], s[12:13]
	s_cbranch_execz .LBB794_728
; %bb.727:
	v_and_b32_e32 v12, 7, v10
	v_ffbh_u32_e32 v20, v12
	v_min_u32_e32 v23, 32, v20
	v_subrev_u32_e32 v20, 28, v23
	v_lshlrev_b64 v[20:21], v20, v[10:11]
	v_lshrrev_b32_e32 v22, 3, v19
	v_sub_u32_e32 v10, 29, v23
	v_and_b32_e32 v20, 7, v20
	v_cmp_gt_u32_e64 s[12:13], 8, v19
	v_mov_b32_e32 v19, 24
	v_cndmask_b32_e64 v10, v22, v10, s[12:13]
	v_cndmask_b32_e64 v12, v12, v20, s[12:13]
	v_lshlrev_b32_sdwa v19, v19, v7 dst_sel:DWORD dst_unused:UNUSED_PAD src0_sel:DWORD src1_sel:WORD_1
	v_bfrev_b32_e32 v20, 60
	v_lshlrev_b32_e32 v12, 20, v12
	v_and_b32_e32 v19, 0x80000000, v19
	v_lshl_add_u32 v10, v10, 23, v20
	v_or3_b32 v10, v19, v10, v12
	v_lshrrev_b32_e32 v12, 16, v10
.LBB794_728:
	s_or_b64 exec, exec, s[26:27]
.LBB794_729:
	s_or_b64 exec, exec, s[24:25]
.LBB794_730:
	s_or_b64 exec, exec, s[14:15]
	s_mov_b32 s12, -1
	s_mov_b32 s13, 0xffffff
	v_cmp_lt_u64_e64 s[12:13], s[12:13], v[6:7]
	s_and_saveexec_b64 s[14:15], s[12:13]
	s_cbranch_execz .LBB794_736
; %bb.731:
	v_lshrrev_b32_e32 v6, 24, v7
	s_movk_i32 s11, 0x80
	v_cmp_ne_u32_e64 s[12:13], s11, v6
	v_mov_b32_e32 v11, 0xffff8000
	s_and_saveexec_b64 s[24:25], s[12:13]
	s_cbranch_execz .LBB794_735
; %bb.732:
	v_bfe_u32 v7, v7, 24, 7
	s_movk_i32 s11, 0x7f
	v_cmp_ne_u32_e64 s[12:13], s11, v7
	v_mov_b32_e32 v11, 0x7f80
	s_and_saveexec_b64 s[26:27], s[12:13]
	s_cbranch_execz .LBB794_734
; %bb.733:
	v_and_b32_e32 v19, 7, v6
	v_ffbh_u32_e32 v10, v19
	v_min_u32_e32 v21, 32, v10
	v_subrev_u32_e32 v10, 28, v21
	v_lshlrev_b64 v[10:11], v10, v[6:7]
	v_lshrrev_b32_e32 v20, 3, v7
	v_sub_u32_e32 v11, 29, v21
	v_and_b32_e32 v10, 7, v10
	v_cmp_gt_u32_e64 s[12:13], 8, v7
	v_cndmask_b32_e64 v7, v20, v11, s[12:13]
	v_cndmask_b32_e64 v10, v19, v10, s[12:13]
	v_lshlrev_b32_e32 v6, 24, v6
	v_bfrev_b32_e32 v11, 60
	v_lshlrev_b32_e32 v10, 20, v10
	v_and_b32_e32 v6, 0x80000000, v6
	v_lshl_add_u32 v7, v7, 23, v11
	v_or3_b32 v6, v6, v7, v10
	v_lshrrev_b32_e32 v11, 16, v6
.LBB794_734:
	s_or_b64 exec, exec, s[26:27]
.LBB794_735:
	s_or_b64 exec, exec, s[24:25]
.LBB794_736:
	s_or_b64 exec, exec, s[14:15]
	s_mov_b32 s11, 0x5040100
	v_perm_b32 v7, v16, v15, s11
	v_perm_b32 v6, v13, v14, s11
	;; [unrolled: 1-line block ×4, first 2 shown]
	v_mfma_f32_4x4x4bf16_1k a[0:3], v[2:3], v[6:7], a[0:3] cbsz:4 abid:14
	v_mov_b32_e32 v12, 0
	v_mfma_f32_4x4x4bf16_1k a[0:3], v[4:5], v[10:11], a[0:3] cbsz:4 abid:14
	v_mov_b32_e32 v11, 0
	v_cmp_ne_u16_sdwa s[12:13], v8, v11 src0_sel:BYTE_0 src1_sel:DWORD
	s_and_saveexec_b64 s[14:15], s[12:13]
	s_cbranch_execz .LBB794_742
; %bb.737:
	s_movk_i32 s11, 0x80
	v_cmp_ne_u16_sdwa s[12:13], v8, s11 src0_sel:BYTE_0 src1_sel:DWORD
	v_mov_b32_e32 v12, 0xffff8000
	s_and_saveexec_b64 s[24:25], s[12:13]
	s_cbranch_execz .LBB794_741
; %bb.738:
	s_movk_i32 s11, 0x7f
	v_and_b32_e32 v6, 0x7f, v8
	v_cmp_ne_u32_e64 s[12:13], s11, v6
	v_mov_b32_e32 v12, 0x7f80
	s_and_saveexec_b64 s[26:27], s[12:13]
	s_cbranch_execz .LBB794_740
; %bb.739:
	v_and_b32_e32 v7, 7, v8
	v_ffbh_u32_e32 v7, v7
	v_min_u32_e32 v7, 32, v7
	v_subrev_u32_e32 v12, 28, v7
	v_cmp_gt_u32_e64 s[12:13], 8, v6
	v_lshrrev_b32_e32 v10, 3, v6
	v_sub_u32_e32 v7, 29, v7
	v_cndmask_b32_e64 v6, 0, v12, s[12:13]
	v_cndmask_b32_e64 v10, v10, v7, s[12:13]
	v_lshlrev_b64 v[6:7], v6, v[8:9]
	v_lshlrev_b32_e32 v6, 20, v6
	v_lshlrev_b32_e32 v7, 24, v8
	v_bfrev_b32_e32 v12, 60
	v_and_b32_e32 v6, 0x700000, v6
	v_and_b32_e32 v7, 0x80000000, v7
	v_lshl_add_u32 v10, v10, 23, v12
	v_or3_b32 v6, v7, v10, v6
	v_lshrrev_b32_e32 v12, 16, v6
.LBB794_740:
	s_or_b64 exec, exec, s[26:27]
.LBB794_741:
	s_or_b64 exec, exec, s[24:25]
.LBB794_742:
	s_or_b64 exec, exec, s[14:15]
	v_lshrrev_b16_e32 v6, 8, v8
	v_cmp_ne_u16_e64 s[12:13], 0, v6
	s_and_saveexec_b64 s[14:15], s[12:13]
	s_cbranch_execz .LBB794_748
; %bb.743:
	s_movk_i32 s11, 0x80
	v_cmp_ne_u16_e64 s[12:13], s11, v6
	v_mov_b32_e32 v11, 0xffff8000
	s_and_saveexec_b64 s[24:25], s[12:13]
	s_cbranch_execz .LBB794_747
; %bb.744:
	s_movk_i32 s11, 0x7f
	v_and_b32_e32 v7, 0x7f, v6
	v_cmp_ne_u32_e64 s[12:13], s11, v7
	v_mov_b32_e32 v11, 0x7f80
	s_and_saveexec_b64 s[26:27], s[12:13]
	s_cbranch_execz .LBB794_746
; %bb.745:
	v_and_b32_e32 v13, 7, v6
	v_ffbh_u32_e32 v10, v13
	v_min_u32_e32 v15, 32, v10
	v_subrev_u32_e32 v10, 28, v15
	v_lshlrev_b64 v[10:11], v10, v[6:7]
	v_lshrrev_b32_e32 v14, 3, v7
	v_sub_u32_e32 v6, 29, v15
	v_and_b32_e32 v10, 7, v10
	v_cmp_gt_u32_e64 s[12:13], 8, v7
	v_cndmask_b32_e64 v6, v14, v6, s[12:13]
	v_cndmask_b32_e64 v7, v13, v10, s[12:13]
	v_lshlrev_b32_e32 v10, 16, v8
	v_bfrev_b32_e32 v11, 60
	v_lshlrev_b32_e32 v7, 20, v7
	v_and_b32_e32 v10, 0x80000000, v10
	v_lshl_add_u32 v6, v6, 23, v11
	v_or3_b32 v6, v10, v6, v7
	v_lshrrev_b32_e32 v11, 16, v6
.LBB794_746:
	s_or_b64 exec, exec, s[26:27]
.LBB794_747:
	s_or_b64 exec, exec, s[24:25]
.LBB794_748:
	s_or_b64 exec, exec, s[14:15]
	s_movk_i32 s11, 0xff
	v_and_b32_sdwa v10, v8, s11 dst_sel:DWORD dst_unused:UNUSED_PAD src0_sel:WORD_1 src1_sel:DWORD
	v_lshrrev_b32_e32 v6, 16, v8
	v_cmp_ne_u16_e64 s[12:13], 0, v10
	v_mov_b32_e32 v7, 0
	v_mov_b32_e32 v13, 0
	s_and_saveexec_b64 s[14:15], s[12:13]
	s_cbranch_execz .LBB794_754
; %bb.749:
	s_movk_i32 s11, 0x80
	v_cmp_ne_u16_e64 s[12:13], s11, v10
	v_mov_b32_e32 v13, 0xffff8000
	s_and_saveexec_b64 s[24:25], s[12:13]
	s_cbranch_execz .LBB794_753
; %bb.750:
	v_bfe_u32 v10, v8, 16, 7
	s_movk_i32 s11, 0x7f
	v_cmp_ne_u32_e64 s[12:13], s11, v10
	v_mov_b32_e32 v13, 0x7f80
	s_and_saveexec_b64 s[26:27], s[12:13]
	s_cbranch_execz .LBB794_752
; %bb.751:
	v_and_b32_e32 v13, 7, v6
	v_ffbh_u32_e32 v14, v13
	v_min_u32_e32 v17, 32, v14
	v_subrev_u32_e32 v14, 28, v17
	v_lshlrev_b64 v[14:15], v14, v[6:7]
	v_and_b32_e32 v14, 7, v14
	v_cmp_gt_u32_e64 s[12:13], 8, v10
	v_lshrrev_b32_e32 v16, 3, v10
	v_sub_u32_e32 v6, 29, v17
	v_cndmask_b32_e64 v10, v13, v14, s[12:13]
	v_mov_b32_e32 v13, 24
	v_cndmask_b32_e64 v6, v16, v6, s[12:13]
	v_lshlrev_b32_sdwa v13, v13, v8 dst_sel:DWORD dst_unused:UNUSED_PAD src0_sel:DWORD src1_sel:WORD_1
	v_bfrev_b32_e32 v14, 60
	v_lshlrev_b32_e32 v10, 20, v10
	v_and_b32_e32 v13, 0x80000000, v13
	v_lshl_add_u32 v6, v6, 23, v14
	v_or3_b32 v6, v13, v6, v10
	v_lshrrev_b32_e32 v13, 16, v6
.LBB794_752:
	s_or_b64 exec, exec, s[26:27]
.LBB794_753:
	s_or_b64 exec, exec, s[24:25]
.LBB794_754:
	s_or_b64 exec, exec, s[14:15]
	s_mov_b32 s11, 0xffffff
	v_cmp_lt_u32_e64 s[12:13], s11, v8
	v_mov_b32_e32 v14, 0
	s_and_saveexec_b64 s[14:15], s[12:13]
	s_cbranch_execz .LBB794_760
; %bb.755:
	v_lshrrev_b32_e32 v6, 24, v8
	s_movk_i32 s11, 0x80
	v_cmp_ne_u32_e64 s[12:13], s11, v6
	v_mov_b32_e32 v14, 0xffff8000
	s_and_saveexec_b64 s[24:25], s[12:13]
	s_cbranch_execz .LBB794_759
; %bb.756:
	v_bfe_u32 v10, v8, 24, 7
	s_movk_i32 s11, 0x7f
	v_cmp_ne_u32_e64 s[12:13], s11, v10
	v_mov_b32_e32 v14, 0x7f80
	s_and_saveexec_b64 s[26:27], s[12:13]
	s_cbranch_execz .LBB794_758
; %bb.757:
	v_and_b32_e32 v16, 7, v6
	v_ffbh_u32_e32 v14, v16
	v_min_u32_e32 v18, 32, v14
	v_subrev_u32_e32 v14, 28, v18
	v_lshlrev_b64 v[14:15], v14, v[6:7]
	v_lshrrev_b32_e32 v17, 3, v10
	v_sub_u32_e32 v15, 29, v18
	v_and_b32_e32 v14, 7, v14
	v_cmp_gt_u32_e64 s[12:13], 8, v10
	v_cndmask_b32_e64 v10, v17, v15, s[12:13]
	v_cndmask_b32_e64 v14, v16, v14, s[12:13]
	v_lshlrev_b32_e32 v6, 24, v6
	v_bfrev_b32_e32 v15, 60
	v_lshlrev_b32_e32 v14, 20, v14
	v_and_b32_e32 v6, 0x80000000, v6
	v_lshl_add_u32 v10, v10, 23, v15
	v_or3_b32 v6, v6, v10, v14
	v_lshrrev_b32_e32 v14, 16, v6
.LBB794_758:
	s_or_b64 exec, exec, s[26:27]
.LBB794_759:
	s_or_b64 exec, exec, s[24:25]
.LBB794_760:
	s_or_b64 exec, exec, s[14:15]
	v_mov_b32_e32 v15, 0
	v_mov_b32_e32 v6, v9
	v_cmp_ne_u16_sdwa s[12:13], v9, v15 src0_sel:BYTE_0 src1_sel:DWORD
	v_mov_b32_e32 v16, 0
	s_and_saveexec_b64 s[14:15], s[12:13]
	s_cbranch_execz .LBB794_766
; %bb.761:
	s_movk_i32 s11, 0x80
	v_cmp_ne_u16_sdwa s[12:13], v9, s11 src0_sel:BYTE_0 src1_sel:DWORD
	v_mov_b32_e32 v16, 0xffff8000
	s_and_saveexec_b64 s[24:25], s[12:13]
	s_cbranch_execz .LBB794_765
; %bb.762:
	s_movk_i32 s11, 0x7f
	v_and_b32_e32 v10, 0x7f, v9
	v_cmp_ne_u32_e64 s[12:13], s11, v10
	v_mov_b32_e32 v16, 0x7f80
	s_and_saveexec_b64 s[26:27], s[12:13]
	s_cbranch_execz .LBB794_764
; %bb.763:
	v_and_b32_e32 v16, 7, v9
	v_ffbh_u32_e32 v16, v16
	v_min_u32_e32 v16, 32, v16
	v_lshrrev_b32_e32 v17, 3, v10
	v_subrev_u32_e32 v18, 28, v16
	v_sub_u32_e32 v16, 29, v16
	v_cmp_gt_u32_e64 s[12:13], 8, v10
	v_cndmask_b32_e64 v10, v17, v16, s[12:13]
	v_cndmask_b32_e64 v16, 0, v18, s[12:13]
	v_lshlrev_b64 v[16:17], v16, v[6:7]
	v_lshlrev_b32_e32 v7, 20, v16
	v_lshlrev_b32_e32 v16, 24, v6
	v_bfrev_b32_e32 v17, 60
	v_and_b32_e32 v7, 0x700000, v7
	v_and_b32_e32 v16, 0x80000000, v16
	v_lshl_add_u32 v10, v10, 23, v17
	v_or3_b32 v7, v16, v10, v7
	v_lshrrev_b32_e32 v16, 16, v7
.LBB794_764:
	s_or_b64 exec, exec, s[26:27]
.LBB794_765:
	s_or_b64 exec, exec, s[24:25]
.LBB794_766:
	s_or_b64 exec, exec, s[14:15]
	v_lshrrev_b16_e32 v10, 8, v6
	v_cmp_ne_u16_e64 s[12:13], 0, v10
	s_and_saveexec_b64 s[14:15], s[12:13]
	s_cbranch_execz .LBB794_772
; %bb.767:
	s_movk_i32 s11, 0x80
	v_cmp_ne_u16_e64 s[12:13], s11, v10
	v_mov_b32_e32 v15, 0xffff8000
	s_and_saveexec_b64 s[24:25], s[12:13]
	s_cbranch_execz .LBB794_771
; %bb.768:
	s_movk_i32 s11, 0x7f
	v_and_b32_e32 v7, 0x7f, v10
	v_cmp_ne_u32_e64 s[12:13], s11, v7
	v_mov_b32_e32 v15, 0x7f80
	s_and_saveexec_b64 s[26:27], s[12:13]
	s_cbranch_execz .LBB794_770
; %bb.769:
	v_and_b32_e32 v15, 7, v10
	v_ffbh_u32_e32 v18, v15
	v_min_u32_e32 v20, 32, v18
	v_subrev_u32_e32 v18, 28, v20
	v_lshlrev_b64 v[18:19], v18, v[10:11]
	v_lshrrev_b32_e32 v17, 3, v7
	v_sub_u32_e32 v10, 29, v20
	v_and_b32_e32 v18, 7, v18
	v_cmp_gt_u32_e64 s[12:13], 8, v7
	v_cndmask_b32_e64 v7, v17, v10, s[12:13]
	v_cndmask_b32_e64 v10, v15, v18, s[12:13]
	v_lshlrev_b32_e32 v6, 16, v6
	v_bfrev_b32_e32 v15, 60
	v_lshlrev_b32_e32 v10, 20, v10
	v_and_b32_e32 v6, 0x80000000, v6
	v_lshl_add_u32 v7, v7, 23, v15
	v_or3_b32 v6, v6, v7, v10
	v_lshrrev_b32_e32 v15, 16, v6
.LBB794_770:
	s_or_b64 exec, exec, s[26:27]
.LBB794_771:
	s_or_b64 exec, exec, s[24:25]
.LBB794_772:
	s_or_b64 exec, exec, s[14:15]
	s_movk_i32 s11, 0xff
	v_and_b32_sdwa v17, v9, s11 dst_sel:DWORD dst_unused:UNUSED_PAD src0_sel:WORD_1 src1_sel:DWORD
	v_lshrrev_b32_e32 v6, 16, v9
	v_cmp_ne_u16_e64 s[12:13], 0, v17
	v_mov_b32_e32 v7, 0
	v_mov_b32_e32 v10, 0
	s_and_saveexec_b64 s[14:15], s[12:13]
	s_cbranch_execz .LBB794_778
; %bb.773:
	s_movk_i32 s11, 0x80
	v_cmp_ne_u16_e64 s[12:13], s11, v17
	v_mov_b32_e32 v10, 0xffff8000
	s_and_saveexec_b64 s[24:25], s[12:13]
	s_cbranch_execz .LBB794_777
; %bb.774:
	v_bfe_u32 v17, v9, 16, 7
	s_movk_i32 s11, 0x7f
	v_cmp_ne_u32_e64 s[12:13], s11, v17
	v_mov_b32_e32 v10, 0x7f80
	s_and_saveexec_b64 s[26:27], s[12:13]
	s_cbranch_execz .LBB794_776
; %bb.775:
	v_and_b32_e32 v10, 7, v6
	v_ffbh_u32_e32 v18, v10
	v_min_u32_e32 v21, 32, v18
	v_subrev_u32_e32 v18, 28, v21
	v_lshlrev_b64 v[18:19], v18, v[6:7]
	v_lshrrev_b32_e32 v20, 3, v17
	v_sub_u32_e32 v6, 29, v21
	v_and_b32_e32 v18, 7, v18
	v_cmp_gt_u32_e64 s[12:13], 8, v17
	v_mov_b32_e32 v17, 24
	v_cndmask_b32_e64 v6, v20, v6, s[12:13]
	v_cndmask_b32_e64 v10, v10, v18, s[12:13]
	v_lshlrev_b32_sdwa v17, v17, v9 dst_sel:DWORD dst_unused:UNUSED_PAD src0_sel:DWORD src1_sel:WORD_1
	v_bfrev_b32_e32 v18, 60
	v_lshlrev_b32_e32 v10, 20, v10
	v_and_b32_e32 v17, 0x80000000, v17
	v_lshl_add_u32 v6, v6, 23, v18
	v_or3_b32 v6, v17, v6, v10
	v_lshrrev_b32_e32 v10, 16, v6
.LBB794_776:
	s_or_b64 exec, exec, s[26:27]
.LBB794_777:
	s_or_b64 exec, exec, s[24:25]
.LBB794_778:
	s_or_b64 exec, exec, s[14:15]
	s_mov_b32 s12, -1
	s_mov_b32 s13, 0xffffff
	v_cmp_lt_u64_e64 s[12:13], s[12:13], v[8:9]
	s_and_saveexec_b64 s[14:15], s[12:13]
	s_cbranch_execz .LBB794_784
; %bb.779:
	v_lshrrev_b32_e32 v6, 24, v9
	s_movk_i32 s11, 0x80
	v_cmp_ne_u32_e64 s[12:13], s11, v6
	v_mov_b32_e32 v7, 0xffff8000
	s_and_saveexec_b64 s[24:25], s[12:13]
	s_cbranch_execz .LBB794_783
; %bb.780:
	v_bfe_u32 v8, v9, 24, 7
	s_movk_i32 s11, 0x7f
	v_cmp_ne_u32_e64 s[12:13], s11, v8
	v_mov_b32_e32 v7, 0x7f80
	s_and_saveexec_b64 s[26:27], s[12:13]
	s_cbranch_execz .LBB794_782
; %bb.781:
	v_and_b32_e32 v7, 7, v6
	v_ffbh_u32_e32 v17, v7
	v_min_u32_e32 v17, 32, v17
	v_subrev_u32_e32 v18, 28, v17
	v_lshlrev_b64 v[18:19], v18, v[6:7]
	v_lshrrev_b32_e32 v9, 3, v8
	v_sub_u32_e32 v17, 29, v17
	v_and_b32_e32 v18, 7, v18
	v_cmp_gt_u32_e64 s[12:13], 8, v8
	v_cndmask_b32_e64 v8, v9, v17, s[12:13]
	v_cndmask_b32_e64 v7, v7, v18, s[12:13]
	v_lshlrev_b32_e32 v6, 24, v6
	v_bfrev_b32_e32 v9, 60
	v_lshlrev_b32_e32 v7, 20, v7
	v_and_b32_e32 v6, 0x80000000, v6
	v_lshl_add_u32 v8, v8, 23, v9
	v_or3_b32 v6, v6, v8, v7
	v_lshrrev_b32_e32 v7, 16, v6
.LBB794_782:
	s_or_b64 exec, exec, s[26:27]
.LBB794_783:
	s_or_b64 exec, exec, s[24:25]
.LBB794_784:
	s_or_b64 exec, exec, s[14:15]
	s_load_dword s4, s[4:5], 0x1c
	s_mov_b32 s5, 0x5040100
	v_perm_b32 v9, v14, v13, s5
	v_perm_b32 v8, v11, v12, s5
	s_load_dword s11, s[16:17], 0x0
	v_perm_b32 v7, v7, v10, s5
	v_mfma_f32_4x4x4bf16_1k a[0:3], v[2:3], v[8:9], a[0:3] cbsz:4 abid:15
	v_perm_b32 v6, v15, v16, s5
	s_waitcnt lgkmcnt(0)
	v_mov_b32_e32 v2, s4
	v_mul_f32_e32 v2, s11, v2
	v_mfma_f32_4x4x4bf16_1k a[0:3], v[4:5], v[6:7], a[0:3] cbsz:4 abid:15
	v_mov_b32_e32 v9, 0xff7fffff
	s_nop 3
	v_accvgpr_read_b32 v5, a1
	v_accvgpr_read_b32 v4, a0
	v_pk_mul_f32 v[4:5], v[4:5], v[2:3] op_sel_hi:[1,0]
	v_accvgpr_read_b32 v7, a3
	v_accvgpr_read_b32 v6, a2
	v_pk_mul_f32 v[2:3], v[6:7], v[2:3] op_sel_hi:[1,0]
	v_cndmask_b32_e64 v6, 0, 1.0, vcc
	v_cmp_eq_u32_e32 vcc, 1, v43
	s_nop 0
	v_mfma_f32_4x4x1f32 a[0:3], v4, v6, 0
	v_cndmask_b32_e64 v4, 0, 1.0, vcc
	v_cmp_eq_u32_e32 vcc, 2, v43
	s_nop 0
	v_mfma_f32_4x4x1f32 a[0:3], v5, v4, a[0:3]
	;; [unrolled: 4-line block ×3, first 2 shown]
	v_cndmask_b32_e64 v2, 0, 1.0, vcc
	s_nop 1
	v_mfma_f32_4x4x1f32 a[0:3], v3, v2, a[0:3]
	v_and_b32_e32 v2, -4, v44
	v_subrev_u32_e32 v3, s9, v2
	v_add_u32_e32 v4, 1, v3
	v_cvt_f32_i32_e32 v4, v4
	v_add_u32_e32 v5, 2, v3
	v_cvt_f32_i32_e32 v5, v5
	v_accvgpr_read_b32 v6, a0
	v_fma_f32 v4, v45, v4, v6
	v_accvgpr_read_b32 v6, a1
	v_fma_f32 v5, v45, v5, v6
	v_add_u32_e32 v6, 3, v3
	v_cvt_f32_i32_e32 v6, v6
	v_accvgpr_read_b32 v7, a2
	v_add_u32_e32 v3, 4, v3
	v_cmp_gt_i32_e32 vcc, s9, v2
	v_fma_f32 v7, v45, v6, v7
	v_max_f32_e32 v6, 0xff7fffff, v4
	v_cvt_f32_i32_e32 v3, v3
	v_cndmask_b32_e32 v6, v9, v6, vcc
	v_or_b32_e32 v9, 1, v2
	v_max_f32_e32 v10, v6, v5
	v_cmp_gt_i32_e64 s[4:5], s9, v9
	v_cndmask_b32_e64 v6, v6, v10, s[4:5]
	v_or_b32_e32 v2, 2, v2
	v_accvgpr_read_b32 v8, a3
	v_max_f32_e32 v9, v6, v7
	v_cmp_gt_i32_e64 s[12:13], s9, v2
	v_fmac_f32_e32 v8, v45, v3
	v_cndmask_b32_e64 v2, v6, v9, s[12:13]
	v_or_b32_e32 v6, 3, v44
	v_max_f32_e32 v9, v2, v8
	v_cmp_gt_i32_e64 s[14:15], s9, v6
	v_lshlrev_b32_e32 v3, 2, v0
	v_cndmask_b32_e64 v2, v2, v9, s[14:15]
	v_and_or_b32 v3, v3, 48, v43
	;;#ASMSTART
	v_nop
 v_nop
 v_max_f32_dpp v2, v2, v2 row_ror:4
	;;#ASMEND
	v_lshlrev_b32_e32 v9, 2, v3
	;;#ASMSTART
	v_nop
 v_nop
 v_max_f32_dpp v2, v2, v2 row_ror:8
	;;#ASMEND
	ds_bpermute_b32 v2, v9, v2
	s_waitcnt lgkmcnt(0)
	;;#ASMSTART
	v_nop
 v_nop
 v_max_f32_dpp v2, v2, v2 row_ror:4
	;;#ASMEND
	;;#ASMSTART
	v_nop
 v_nop
 v_max_f32_dpp v6, v2, v2 row_ror:8
	;;#ASMEND
	v_sub_f32_e32 v2, v4, v6
	v_mul_f32_e32 v2, 0x3fb8aa3b, v2
	v_sub_f32_e32 v3, v5, v6
	v_exp_f32_e32 v2, v2
	v_mul_f32_e32 v3, 0x3fb8aa3b, v3
	v_sub_f32_e32 v5, v7, v6
	v_exp_f32_e32 v3, v3
	;; [unrolled: 3-line block ×3, first 2 shown]
	v_mul_f32_e32 v7, 0x3fb8aa3b, v7
	v_exp_f32_e32 v7, v7
	v_cndmask_b32_e32 v2, 0, v2, vcc
	v_add_f32_e32 v4, 0, v2
	v_cndmask_b32_e64 v3, 0, v3, s[4:5]
	v_add_f32_e32 v8, v4, v3
	v_cndmask_b32_e64 v4, 0, v5, s[12:13]
	;; [unrolled: 2-line block ×3, first 2 shown]
	v_add_f32_e32 v7, v8, v5
	;;#ASMSTART
	v_nop
 v_nop
 v_add_f32_dpp v7, v7, v7 row_ror:4
	;;#ASMEND
	;;#ASMSTART
	v_nop
 v_nop
 v_add_f32_dpp v7, v7, v7 row_ror:8
	;;#ASMEND
	ds_bpermute_b32 v7, v9, v7
	s_waitcnt lgkmcnt(0)
	;;#ASMSTART
	v_nop
 v_nop
 v_add_f32_dpp v7, v7, v7 row_ror:4
	;;#ASMEND
	v_cmp_gt_u32_e32 vcc, 4, v1
	;;#ASMSTART
	v_nop
 v_nop
 v_add_f32_dpp v7, v7, v7 row_ror:8
	;;#ASMEND
	s_and_saveexec_b64 s[4:5], vcc
	s_cbranch_execz .LBB794_786
; %bb.785:
	v_mul_u32_u24_e32 v8, 20, v42
	v_lshl_add_u32 v8, v43, 2, v8
	v_add_u32_e32 v8, 0x1400, v8
	ds_write2_b32 v8, v6, v7 offset1:20
.LBB794_786:
	s_or_b64 exec, exec, s[4:5]
.LBB794_787:
	s_or_b64 exec, exec, s[36:37]
	s_waitcnt lgkmcnt(0)
	s_barrier
	s_load_dword s4, s[34:35], 0x8
	v_lshlrev_b32_e32 v7, 2, v43
	v_add_u32_e32 v9, 0x1400, v7
	ds_read2_b32 v[10:11], v9 offset1:5
	ds_read2_b32 v[12:13], v9 offset0:10 offset1:15
	s_mul_i32 s5, s33, s8
	s_waitcnt lgkmcnt(0)
	s_mul_i32 s4, s5, s4
	s_mov_b32 s5, 0xff7fffff
	v_max3_f32 v7, v10, s5, v11
	v_max3_f32 v8, v7, v12, v13
	v_sub_f32_e32 v7, v10, v8
	v_sub_f32_e32 v10, v11, v8
	v_mul_f32_e32 v10, 0x3fb8aa3b, v10
	ds_read2_b32 v[14:15], v9 offset0:20 offset1:25
	v_mul_f32_e32 v7, 0x3fb8aa3b, v7
	v_exp_f32_e32 v17, v10
	ds_read2_b32 v[10:11], v9 offset0:30 offset1:35
	v_sub_f32_e32 v9, v12, v8
	v_exp_f32_e32 v16, v7
	v_mul_f32_e32 v9, 0x3fb8aa3b, v9
	v_exp_f32_e32 v12, v9
	v_sub_f32_e32 v9, v13, v8
	v_mul_f32_e32 v9, 0x3fb8aa3b, v9
	v_exp_f32_e32 v13, v9
	s_waitcnt lgkmcnt(1)
	v_fma_f32 v9, v16, v14, 0
	v_fmac_f32_e32 v9, v17, v15
	s_waitcnt lgkmcnt(0)
	v_fmac_f32_e32 v9, v12, v10
	v_mov_b32_e32 v7, 0
	v_fmac_f32_e32 v9, v13, v11
	s_mov_b32 s5, 0
	v_cmp_eq_u32_e32 vcc, 0, v43
	s_and_saveexec_b64 s[8:9], vcc
	s_cbranch_execz .LBB794_789
; %bb.788:
	s_lshl_b64 s[12:13], s[4:5], 2
	s_add_u32 s11, s20, s12
	s_mov_b32 s29, s5
	s_addc_u32 s16, s21, s13
	s_lshl_b64 s[14:15], s[28:29], 2
	s_add_u32 s11, s11, s14
	s_addc_u32 s16, s16, s15
	s_add_u32 s12, s22, s12
	s_addc_u32 s13, s23, s13
	;; [unrolled: 2-line block ×3, first 2 shown]
	s_mul_i32 s12, s33, s10
	s_mov_b32 s13, s5
	s_lshl_b64 s[12:13], s[12:13], 2
	s_add_u32 s14, s11, s12
	s_addc_u32 s15, s16, s13
	s_add_u32 s12, s17, s12
	s_addc_u32 s13, s20, s13
	global_store_dword v7, v8, s[12:13]
	global_store_dword v7, v9, s[14:15]
.LBB794_789:
	s_or_b64 exec, exec, s[8:9]
	v_lshlrev_b32_e32 v7, 3, v42
	s_and_saveexec_b64 s[8:9], s[6:7]
	s_xor_b64 s[6:7], exec, s[8:9]
	s_cbranch_execz .LBB794_791
; %bb.790:
	s_mov_b32 s8, 0
	s_mov_b32 s9, s8
	v_mad_u32_u24 v4, v1, 40, v7
	v_pk_mov_b32 v[2:3], s[8:9], s[8:9] op_sel:[0,1]
	ds_write2st64_b64 v4, v[2:3], v[2:3] offset1:5
                                        ; implicit-def: $vgpr7
                                        ; implicit-def: $vgpr9
                                        ; implicit-def: $vgpr6
                                        ; implicit-def: $vgpr8
                                        ; implicit-def: $vgpr4
                                        ; implicit-def: $vgpr2
.LBB794_791:
	s_andn2_saveexec_b64 s[6:7], s[6:7]
	s_cbranch_execz .LBB794_1178
; %bb.792:
	v_add_f32_e32 v9, 0x358637bd, v9
	v_div_scale_f32 v10, s[8:9], v9, v9, 1.0
	v_rcp_f32_e32 v11, v10
	v_div_scale_f32 v12, vcc, 1.0, v9, 1.0
	v_sub_f32_e32 v6, v6, v8
	v_fma_f32 v13, -v10, v11, 1.0
	v_fmac_f32_e32 v11, v13, v11
	v_mul_f32_e32 v13, v12, v11
	v_fma_f32 v14, -v10, v13, v12
	v_mul_f32_e32 v6, 0x3fb8aa3b, v6
	v_fmac_f32_e32 v13, v14, v11
	v_exp_f32_e32 v6, v6
	v_fma_f32 v10, -v10, v13, v12
	v_div_fmas_f32 v8, v10, v11, v13
	v_div_fixup_f32 v8, v8, v9, 1.0
	v_mul_f32_e32 v6, v6, v8
	v_pk_mul_f32 v[2:3], v[2:3], v[6:7] op_sel_hi:[1,0]
	s_load_dword s8, s[18:19], 0x0
	v_pk_mul_f32 v[4:5], v[4:5], v[6:7] op_sel_hi:[1,0]
	v_bfe_u32 v6, v3, 16, 1
	v_bfe_u32 v8, v2, 16, 1
	s_movk_i32 s5, 0x7fff
	v_add3_u32 v2, v2, v8, s5
	v_add3_u32 v3, v3, v6, s5
	s_mov_b32 s11, 0x7060302
	v_perm_b32 v2, v3, v2, s11
	v_bfe_u32 v3, v5, 16, 1
	v_bfe_u32 v6, v4, 16, 1
	v_add3_u32 v4, v4, v6, s5
	v_add3_u32 v3, v5, v3, s5
	v_mov_b32_e32 v11, 0
	v_perm_b32 v3, v3, v4, s11
	v_add_u32_e32 v5, 64, v11
	s_waitcnt lgkmcnt(0)
	s_mov_b32 s9, s8
	s_mov_b32 s12, s8
	;; [unrolled: 1-line block ×4, first 2 shown]
	s_mov_b64 s[14:15], -1
	s_movk_i32 s22, 0x80
	s_movk_i32 s24, 0x7f
	s_mov_b32 s25, 0xffffff
	s_mov_b32 s26, 0x5040100
	v_mov_b32_e32 v9, 0
	v_bfrev_b32_e32 v10, 60
	s_branch .LBB794_796
.LBB794_793:                            ;   in Loop: Header=BB794_796 Depth=1
	s_or_b64 exec, exec, s[20:21]
.LBB794_794:                            ;   in Loop: Header=BB794_796 Depth=1
	s_or_b64 exec, exec, s[18:19]
.LBB794_795:                            ;   in Loop: Header=BB794_796 Depth=1
	s_or_b64 exec, exec, s[16:17]
	v_perm_b32 v19, v15, v12, s26
	v_perm_b32 v18, v11, v13, s26
	;; [unrolled: 1-line block ×4, first 2 shown]
	v_mfma_f32_4x4x4bf16_1k a[0:3], v[2:3], v[18:19], a[0:3] cbsz:4 abid:14
	s_mul_i32 s16, s23, 0xa00
	v_mfma_f32_4x4x4bf16_1k a[0:3], v[2:3], v[12:13], a[0:3] cbsz:4 abid:15
	s_mov_b32 s23, 1
	v_mov_b32_e32 v11, v5
	s_nop 2
	v_accvgpr_read_b32 v15, a1
	v_accvgpr_read_b32 v14, a0
	v_pk_mul_f32 v[14:15], v[14:15], s[8:9]
	v_accvgpr_read_b32 v13, a3
	v_accvgpr_read_b32 v12, a2
	v_bfe_u32 v4, v15, 16, 1
	v_bfe_u32 v6, v14, 16, 1
	v_pk_mul_f32 v[12:13], v[12:13], s[12:13]
	v_add3_u32 v6, v14, v6, s5
	v_add3_u32 v4, v15, v4, s5
	v_perm_b32 v14, v4, v6, s11
	v_bfe_u32 v4, v13, 16, 1
	v_bfe_u32 v6, v12, 16, 1
	v_add3_u32 v6, v12, v6, s5
	v_add3_u32 v4, v13, v4, s5
	v_perm_b32 v15, v4, v6, s11
	v_mul_u32_u24_e32 v4, 40, v1
	v_add3_u32 v4, s16, v4, v7
	s_xor_b64 s[16:17], s[14:15], -1
	s_mov_b64 s[14:15], 0
	s_andn2_b64 vcc, exec, s[16:17]
	ds_write_b64 v4, v[14:15]
	s_cbranch_vccz .LBB794_1178
.LBB794_796:                            ; =>This Inner Loop Header: Depth=1
	buffer_load_dword v6, v11, s[0:3], 0 offen
	buffer_load_dword v4, v11, s[0:3], 0 offen offset:4
	v_mov_b32_e32 v13, 0
	s_waitcnt vmcnt(1)
	v_cmp_ne_u16_sdwa s[18:19], v6, v9 src0_sel:BYTE_0 src1_sel:DWORD
	s_and_saveexec_b64 s[16:17], s[18:19]
	s_cbranch_execz .LBB794_802
; %bb.797:                              ;   in Loop: Header=BB794_796 Depth=1
	v_cmp_ne_u16_sdwa s[20:21], v6, s22 src0_sel:BYTE_0 src1_sel:DWORD
	v_mov_b32_e32 v13, 0xffff8000
	s_and_saveexec_b64 s[18:19], s[20:21]
	s_cbranch_execz .LBB794_801
; %bb.798:                              ;   in Loop: Header=BB794_796 Depth=1
	v_and_b32_e32 v8, 0x7f, v6
	v_cmp_ne_u32_e32 vcc, s24, v8
	v_mov_b32_e32 v13, 0x7f80
	s_and_saveexec_b64 s[20:21], vcc
	s_cbranch_execz .LBB794_800
; %bb.799:                              ;   in Loop: Header=BB794_796 Depth=1
	v_and_b32_e32 v14, 7, v6
	v_ffbh_u32_e32 v12, v14
	v_min_u32_e32 v16, 32, v12
	v_subrev_u32_e32 v12, 28, v16
	v_lshlrev_b64 v[12:13], v12, v[6:7]
	v_lshrrev_b32_e32 v15, 3, v8
	v_sub_u32_e32 v13, 29, v16
	v_and_b32_e32 v12, 7, v12
	v_cmp_gt_u32_e32 vcc, 8, v8
	v_cndmask_b32_e32 v8, v15, v13, vcc
	v_cndmask_b32_e32 v12, v14, v12, vcc
	v_lshlrev_b32_e32 v13, 24, v6
	v_lshlrev_b32_e32 v12, 20, v12
	v_and_b32_e32 v13, 0x80000000, v13
	v_lshl_add_u32 v8, v8, 23, v10
	v_or3_b32 v8, v13, v8, v12
	v_lshrrev_b32_e32 v13, 16, v8
.LBB794_800:                            ;   in Loop: Header=BB794_796 Depth=1
	s_or_b64 exec, exec, s[20:21]
.LBB794_801:                            ;   in Loop: Header=BB794_796 Depth=1
	s_or_b64 exec, exec, s[18:19]
.LBB794_802:                            ;   in Loop: Header=BB794_796 Depth=1
	s_or_b64 exec, exec, s[16:17]
	v_lshrrev_b16_e32 v8, 8, v6
	v_cmp_ne_u16_e32 vcc, 0, v8
	v_mov_b32_e32 v15, 0
	v_mov_b32_e32 v14, 0
	s_and_saveexec_b64 s[16:17], vcc
	s_cbranch_execz .LBB794_808
; %bb.803:                              ;   in Loop: Header=BB794_796 Depth=1
	v_cmp_ne_u16_e32 vcc, s22, v8
	v_mov_b32_e32 v14, 0xffff8000
	s_and_saveexec_b64 s[18:19], vcc
	s_cbranch_execz .LBB794_807
; %bb.804:                              ;   in Loop: Header=BB794_796 Depth=1
	v_and_b32_e32 v12, 0x7f, v8
	v_cmp_ne_u32_e32 vcc, s24, v12
	v_mov_b32_e32 v14, 0x7f80
	s_and_saveexec_b64 s[20:21], vcc
	s_cbranch_execz .LBB794_806
; %bb.805:                              ;   in Loop: Header=BB794_796 Depth=1
	v_and_b32_e32 v14, 7, v8
	v_ffbh_u32_e32 v16, v14
	v_min_u32_e32 v19, 32, v16
	v_subrev_u32_e32 v16, 28, v19
	v_lshlrev_b64 v[16:17], v16, v[8:9]
	v_lshrrev_b32_e32 v18, 3, v12
	v_sub_u32_e32 v8, 29, v19
	v_and_b32_e32 v16, 7, v16
	v_cmp_gt_u32_e32 vcc, 8, v12
	v_cndmask_b32_e32 v8, v18, v8, vcc
	v_cndmask_b32_e32 v12, v14, v16, vcc
	v_lshlrev_b32_e32 v14, 16, v6
	v_lshlrev_b32_e32 v12, 20, v12
	v_and_b32_e32 v14, 0x80000000, v14
	v_lshl_add_u32 v8, v8, 23, v10
	v_or3_b32 v8, v14, v8, v12
	v_lshrrev_b32_e32 v14, 16, v8
.LBB794_806:                            ;   in Loop: Header=BB794_796 Depth=1
	s_or_b64 exec, exec, s[20:21]
.LBB794_807:                            ;   in Loop: Header=BB794_796 Depth=1
	s_or_b64 exec, exec, s[18:19]
.LBB794_808:                            ;   in Loop: Header=BB794_796 Depth=1
	s_or_b64 exec, exec, s[16:17]
	v_lshrrev_b32_e32 v8, 16, v6
	v_cmp_ne_u16_sdwa s[18:19], v8, v9 src0_sel:BYTE_0 src1_sel:DWORD
	s_and_saveexec_b64 s[16:17], s[18:19]
	s_cbranch_execz .LBB794_814
; %bb.809:                              ;   in Loop: Header=BB794_796 Depth=1
	v_cmp_ne_u16_sdwa s[20:21], v8, s22 src0_sel:BYTE_0 src1_sel:DWORD
	v_mov_b32_e32 v15, 0xffff8000
	s_and_saveexec_b64 s[18:19], s[20:21]
	s_cbranch_execz .LBB794_813
; %bb.810:                              ;   in Loop: Header=BB794_796 Depth=1
	v_bfe_u32 v12, v6, 16, 7
	v_cmp_ne_u32_e32 vcc, s24, v12
	v_mov_b32_e32 v15, 0x7f80
	s_and_saveexec_b64 s[20:21], vcc
	s_cbranch_execz .LBB794_812
; %bb.811:                              ;   in Loop: Header=BB794_796 Depth=1
	v_and_b32_e32 v15, 7, v8
	v_ffbh_u32_e32 v16, v15
	v_min_u32_e32 v19, 32, v16
	v_subrev_u32_e32 v16, 28, v19
	v_lshlrev_b64 v[16:17], v16, v[8:9]
	v_lshrrev_b32_e32 v18, 3, v12
	v_sub_u32_e32 v17, 29, v19
	v_and_b32_e32 v16, 7, v16
	v_cmp_gt_u32_e32 vcc, 8, v12
	v_cndmask_b32_e32 v12, v18, v17, vcc
	v_cndmask_b32_e32 v15, v15, v16, vcc
	v_lshlrev_b32_e32 v8, 24, v8
	v_lshlrev_b32_e32 v15, 20, v15
	v_and_b32_e32 v8, 0x80000000, v8
	v_lshl_add_u32 v12, v12, 23, v10
	v_or3_b32 v8, v8, v12, v15
	v_lshrrev_b32_e32 v15, 16, v8
.LBB794_812:                            ;   in Loop: Header=BB794_796 Depth=1
	s_or_b64 exec, exec, s[20:21]
.LBB794_813:                            ;   in Loop: Header=BB794_796 Depth=1
	s_or_b64 exec, exec, s[18:19]
.LBB794_814:                            ;   in Loop: Header=BB794_796 Depth=1
	s_or_b64 exec, exec, s[16:17]
	v_cmp_lt_u32_e32 vcc, s25, v6
	v_mov_b32_e32 v16, 0
	v_mov_b32_e32 v17, 0
	s_and_saveexec_b64 s[16:17], vcc
	s_cbranch_execz .LBB794_820
; %bb.815:                              ;   in Loop: Header=BB794_796 Depth=1
	v_lshrrev_b32_e32 v8, 24, v6
	v_cmp_ne_u32_e32 vcc, s22, v8
	v_mov_b32_e32 v17, 0xffff8000
	s_and_saveexec_b64 s[18:19], vcc
	s_cbranch_execz .LBB794_819
; %bb.816:                              ;   in Loop: Header=BB794_796 Depth=1
	v_bfe_u32 v6, v6, 24, 7
	v_cmp_ne_u32_e32 vcc, s24, v6
	v_mov_b32_e32 v17, 0x7f80
	s_and_saveexec_b64 s[20:21], vcc
	s_cbranch_execz .LBB794_818
; %bb.817:                              ;   in Loop: Header=BB794_796 Depth=1
	v_and_b32_e32 v12, 7, v8
	v_ffbh_u32_e32 v18, v12
	v_min_u32_e32 v20, 32, v18
	v_subrev_u32_e32 v18, 28, v20
	v_lshlrev_b64 v[18:19], v18, v[8:9]
	v_lshrrev_b32_e32 v17, 3, v6
	v_sub_u32_e32 v19, 29, v20
	v_and_b32_e32 v18, 7, v18
	v_cmp_gt_u32_e32 vcc, 8, v6
	v_cndmask_b32_e32 v6, v17, v19, vcc
	v_cndmask_b32_e32 v12, v12, v18, vcc
	v_lshlrev_b32_e32 v8, 24, v8
	v_lshlrev_b32_e32 v12, 20, v12
	v_and_b32_e32 v8, 0x80000000, v8
	v_lshl_add_u32 v6, v6, 23, v10
	v_or3_b32 v6, v8, v6, v12
	v_lshrrev_b32_e32 v17, 16, v6
.LBB794_818:                            ;   in Loop: Header=BB794_796 Depth=1
	s_or_b64 exec, exec, s[20:21]
.LBB794_819:                            ;   in Loop: Header=BB794_796 Depth=1
	s_or_b64 exec, exec, s[18:19]
.LBB794_820:                            ;   in Loop: Header=BB794_796 Depth=1
	s_or_b64 exec, exec, s[16:17]
	s_waitcnt vmcnt(0)
	v_cmp_ne_u16_sdwa s[18:19], v4, v9 src0_sel:BYTE_0 src1_sel:DWORD
	s_and_saveexec_b64 s[16:17], s[18:19]
	s_cbranch_execz .LBB794_826
; %bb.821:                              ;   in Loop: Header=BB794_796 Depth=1
	v_cmp_ne_u16_sdwa s[20:21], v4, s22 src0_sel:BYTE_0 src1_sel:DWORD
	v_mov_b32_e32 v16, 0xffff8000
	s_and_saveexec_b64 s[18:19], s[20:21]
	s_cbranch_execz .LBB794_825
; %bb.822:                              ;   in Loop: Header=BB794_796 Depth=1
	v_and_b32_e32 v6, 0x7f, v4
	v_cmp_ne_u32_e32 vcc, s24, v6
	v_mov_b32_e32 v16, 0x7f80
	s_and_saveexec_b64 s[20:21], vcc
	s_cbranch_execz .LBB794_824
; %bb.823:                              ;   in Loop: Header=BB794_796 Depth=1
	v_and_b32_e32 v8, 7, v4
	v_ffbh_u32_e32 v16, v8
	v_min_u32_e32 v16, 32, v16
	v_subrev_u32_e32 v18, 28, v16
	v_lshlrev_b64 v[18:19], v18, v[4:5]
	v_lshrrev_b32_e32 v12, 3, v6
	v_sub_u32_e32 v16, 29, v16
	v_and_b32_e32 v18, 7, v18
	v_cmp_gt_u32_e32 vcc, 8, v6
	v_cndmask_b32_e32 v6, v12, v16, vcc
	v_cndmask_b32_e32 v8, v8, v18, vcc
	v_lshlrev_b32_e32 v12, 24, v4
	v_lshlrev_b32_e32 v8, 20, v8
	v_and_b32_e32 v12, 0x80000000, v12
	v_lshl_add_u32 v6, v6, 23, v10
	v_or3_b32 v6, v12, v6, v8
	v_lshrrev_b32_e32 v16, 16, v6
.LBB794_824:                            ;   in Loop: Header=BB794_796 Depth=1
	s_or_b64 exec, exec, s[20:21]
.LBB794_825:                            ;   in Loop: Header=BB794_796 Depth=1
	s_or_b64 exec, exec, s[18:19]
.LBB794_826:                            ;   in Loop: Header=BB794_796 Depth=1
	s_or_b64 exec, exec, s[16:17]
	v_lshrrev_b16_e32 v6, 8, v4
	v_cmp_ne_u16_e32 vcc, 0, v6
	v_mov_b32_e32 v18, 0
	v_mov_b32_e32 v8, 0
	s_and_saveexec_b64 s[16:17], vcc
	s_cbranch_execz .LBB794_832
; %bb.827:                              ;   in Loop: Header=BB794_796 Depth=1
	v_cmp_ne_u16_e32 vcc, s22, v6
	v_mov_b32_e32 v8, 0xffff8000
	s_and_saveexec_b64 s[18:19], vcc
	s_cbranch_execz .LBB794_831
; %bb.828:                              ;   in Loop: Header=BB794_796 Depth=1
	v_and_b32_e32 v12, 0x7f, v6
	v_cmp_ne_u32_e32 vcc, s24, v12
	v_mov_b32_e32 v8, 0x7f80
	s_and_saveexec_b64 s[20:21], vcc
	s_cbranch_execz .LBB794_830
; %bb.829:                              ;   in Loop: Header=BB794_796 Depth=1
	v_and_b32_e32 v8, 7, v6
	v_ffbh_u32_e32 v20, v8
	v_min_u32_e32 v22, 32, v20
	v_subrev_u32_e32 v20, 28, v22
	v_lshlrev_b64 v[20:21], v20, v[6:7]
	v_lshrrev_b32_e32 v19, 3, v12
	v_sub_u32_e32 v6, 29, v22
	v_and_b32_e32 v20, 7, v20
	v_cmp_gt_u32_e32 vcc, 8, v12
	v_cndmask_b32_e32 v6, v19, v6, vcc
	v_cndmask_b32_e32 v8, v8, v20, vcc
	v_lshlrev_b32_e32 v12, 16, v4
	v_lshlrev_b32_e32 v8, 20, v8
	v_and_b32_e32 v12, 0x80000000, v12
	v_lshl_add_u32 v6, v6, 23, v10
	v_or3_b32 v6, v12, v6, v8
	v_lshrrev_b32_e32 v8, 16, v6
.LBB794_830:                            ;   in Loop: Header=BB794_796 Depth=1
	s_or_b64 exec, exec, s[20:21]
.LBB794_831:                            ;   in Loop: Header=BB794_796 Depth=1
	s_or_b64 exec, exec, s[18:19]
.LBB794_832:                            ;   in Loop: Header=BB794_796 Depth=1
	s_or_b64 exec, exec, s[16:17]
	v_lshrrev_b32_e32 v6, 16, v4
	v_cmp_ne_u16_sdwa s[18:19], v6, v9 src0_sel:BYTE_0 src1_sel:DWORD
	s_and_saveexec_b64 s[16:17], s[18:19]
	s_cbranch_execz .LBB794_838
; %bb.833:                              ;   in Loop: Header=BB794_796 Depth=1
	v_cmp_ne_u16_sdwa s[20:21], v6, s22 src0_sel:BYTE_0 src1_sel:DWORD
	v_mov_b32_e32 v18, 0xffff8000
	s_and_saveexec_b64 s[18:19], s[20:21]
	s_cbranch_execz .LBB794_837
; %bb.834:                              ;   in Loop: Header=BB794_796 Depth=1
	v_bfe_u32 v12, v4, 16, 7
	v_cmp_ne_u32_e32 vcc, s24, v12
	v_mov_b32_e32 v18, 0x7f80
	s_and_saveexec_b64 s[20:21], vcc
	s_cbranch_execz .LBB794_836
; %bb.835:                              ;   in Loop: Header=BB794_796 Depth=1
	v_and_b32_e32 v20, 7, v6
	v_ffbh_u32_e32 v18, v20
	v_min_u32_e32 v22, 32, v18
	v_subrev_u32_e32 v18, 28, v22
	v_lshlrev_b64 v[18:19], v18, v[6:7]
	v_lshrrev_b32_e32 v21, 3, v12
	v_sub_u32_e32 v19, 29, v22
	v_and_b32_e32 v18, 7, v18
	v_cmp_gt_u32_e32 vcc, 8, v12
	v_cndmask_b32_e32 v12, v21, v19, vcc
	v_cndmask_b32_e32 v18, v20, v18, vcc
	v_lshlrev_b32_e32 v6, 24, v6
	v_lshlrev_b32_e32 v18, 20, v18
	v_and_b32_e32 v6, 0x80000000, v6
	v_lshl_add_u32 v12, v12, 23, v10
	v_or3_b32 v6, v6, v12, v18
	v_lshrrev_b32_e32 v18, 16, v6
.LBB794_836:                            ;   in Loop: Header=BB794_796 Depth=1
	s_or_b64 exec, exec, s[20:21]
.LBB794_837:                            ;   in Loop: Header=BB794_796 Depth=1
	s_or_b64 exec, exec, s[18:19]
.LBB794_838:                            ;   in Loop: Header=BB794_796 Depth=1
	s_or_b64 exec, exec, s[16:17]
	v_cmp_lt_u32_e32 vcc, s25, v4
	v_mov_b32_e32 v12, 0
	v_mov_b32_e32 v19, 0
	s_and_saveexec_b64 s[16:17], vcc
	s_cbranch_execz .LBB794_844
; %bb.839:                              ;   in Loop: Header=BB794_796 Depth=1
	v_lshrrev_b32_e32 v6, 24, v4
	v_cmp_ne_u32_e32 vcc, s22, v6
	v_mov_b32_e32 v19, 0xffff8000
	s_and_saveexec_b64 s[18:19], vcc
	s_cbranch_execz .LBB794_843
; %bb.840:                              ;   in Loop: Header=BB794_796 Depth=1
	v_bfe_u32 v4, v4, 24, 7
	v_cmp_ne_u32_e32 vcc, s24, v4
	v_mov_b32_e32 v19, 0x7f80
	s_and_saveexec_b64 s[20:21], vcc
	s_cbranch_execz .LBB794_842
; %bb.841:                              ;   in Loop: Header=BB794_796 Depth=1
	v_and_b32_e32 v19, 7, v6
	v_ffbh_u32_e32 v20, v19
	v_min_u32_e32 v23, 32, v20
	v_subrev_u32_e32 v20, 28, v23
	v_lshlrev_b64 v[20:21], v20, v[6:7]
	v_lshrrev_b32_e32 v22, 3, v4
	v_sub_u32_e32 v21, 29, v23
	v_and_b32_e32 v20, 7, v20
	v_cmp_gt_u32_e32 vcc, 8, v4
	v_cndmask_b32_e32 v4, v22, v21, vcc
	v_cndmask_b32_e32 v19, v19, v20, vcc
	v_lshlrev_b32_e32 v6, 24, v6
	v_lshlrev_b32_e32 v19, 20, v19
	v_and_b32_e32 v6, 0x80000000, v6
	v_lshl_add_u32 v4, v4, 23, v10
	v_or3_b32 v4, v6, v4, v19
	v_lshrrev_b32_e32 v19, 16, v4
.LBB794_842:                            ;   in Loop: Header=BB794_796 Depth=1
	s_or_b64 exec, exec, s[20:21]
.LBB794_843:                            ;   in Loop: Header=BB794_796 Depth=1
	s_or_b64 exec, exec, s[18:19]
.LBB794_844:                            ;   in Loop: Header=BB794_796 Depth=1
	s_or_b64 exec, exec, s[16:17]
	buffer_load_dword v6, v11, s[0:3], 0 offen offset:8
	buffer_load_dword v4, v11, s[0:3], 0 offen offset:12
	v_perm_b32 v15, v17, v15, s26
	v_perm_b32 v14, v14, v13, s26
	;; [unrolled: 1-line block ×4, first 2 shown]
	v_mfma_f32_4x4x4bf16_1k a[0:3], v[2:3], v[14:15], 0 cbsz:4
	s_waitcnt vmcnt(1)
	v_cmp_ne_u16_sdwa s[18:19], v6, v9 src0_sel:BYTE_0 src1_sel:DWORD
	v_mfma_f32_4x4x4bf16_1k a[0:3], v[2:3], v[16:17], a[0:3] cbsz:4 abid:1
	s_and_saveexec_b64 s[16:17], s[18:19]
	s_cbranch_execz .LBB794_850
; %bb.845:                              ;   in Loop: Header=BB794_796 Depth=1
	v_cmp_ne_u16_sdwa s[20:21], v6, s22 src0_sel:BYTE_0 src1_sel:DWORD
	v_mov_b32_e32 v12, 0xffff8000
	s_and_saveexec_b64 s[18:19], s[20:21]
	s_cbranch_execz .LBB794_849
; %bb.846:                              ;   in Loop: Header=BB794_796 Depth=1
	v_and_b32_e32 v8, 0x7f, v6
	v_cmp_ne_u32_e32 vcc, s24, v8
	v_mov_b32_e32 v12, 0x7f80
	s_and_saveexec_b64 s[20:21], vcc
	s_cbranch_execz .LBB794_848
; %bb.847:                              ;   in Loop: Header=BB794_796 Depth=1
	v_and_b32_e32 v14, 7, v6
	v_ffbh_u32_e32 v12, v14
	v_min_u32_e32 v16, 32, v12
	v_subrev_u32_e32 v12, 28, v16
	v_lshlrev_b64 v[12:13], v12, v[6:7]
	v_lshrrev_b32_e32 v15, 3, v8
	v_sub_u32_e32 v13, 29, v16
	v_and_b32_e32 v12, 7, v12
	v_cmp_gt_u32_e32 vcc, 8, v8
	v_cndmask_b32_e32 v8, v15, v13, vcc
	v_cndmask_b32_e32 v12, v14, v12, vcc
	v_lshlrev_b32_e32 v13, 24, v6
	v_lshlrev_b32_e32 v12, 20, v12
	v_and_b32_e32 v13, 0x80000000, v13
	v_lshl_add_u32 v8, v8, 23, v10
	v_or3_b32 v8, v13, v8, v12
	v_lshrrev_b32_e32 v12, 16, v8
.LBB794_848:                            ;   in Loop: Header=BB794_796 Depth=1
	s_or_b64 exec, exec, s[20:21]
.LBB794_849:                            ;   in Loop: Header=BB794_796 Depth=1
	s_or_b64 exec, exec, s[18:19]
.LBB794_850:                            ;   in Loop: Header=BB794_796 Depth=1
	s_or_b64 exec, exec, s[16:17]
	v_lshrrev_b16_e32 v8, 8, v6
	v_cmp_ne_u16_e32 vcc, 0, v8
	v_mov_b32_e32 v15, 0
	v_mov_b32_e32 v14, 0
	s_and_saveexec_b64 s[16:17], vcc
	s_cbranch_execz .LBB794_856
; %bb.851:                              ;   in Loop: Header=BB794_796 Depth=1
	v_cmp_ne_u16_e32 vcc, s22, v8
	v_mov_b32_e32 v14, 0xffff8000
	s_and_saveexec_b64 s[18:19], vcc
	s_cbranch_execz .LBB794_855
; %bb.852:                              ;   in Loop: Header=BB794_796 Depth=1
	v_and_b32_e32 v13, 0x7f, v8
	v_cmp_ne_u32_e32 vcc, s24, v13
	v_mov_b32_e32 v14, 0x7f80
	s_and_saveexec_b64 s[20:21], vcc
	s_cbranch_execz .LBB794_854
; %bb.853:                              ;   in Loop: Header=BB794_796 Depth=1
	v_and_b32_e32 v14, 7, v8
	v_ffbh_u32_e32 v16, v14
	v_min_u32_e32 v19, 32, v16
	v_subrev_u32_e32 v16, 28, v19
	v_lshlrev_b64 v[16:17], v16, v[8:9]
	v_lshrrev_b32_e32 v18, 3, v13
	v_sub_u32_e32 v8, 29, v19
	v_and_b32_e32 v16, 7, v16
	v_cmp_gt_u32_e32 vcc, 8, v13
	v_cndmask_b32_e32 v8, v18, v8, vcc
	v_cndmask_b32_e32 v13, v14, v16, vcc
	v_lshlrev_b32_e32 v14, 16, v6
	v_lshlrev_b32_e32 v13, 20, v13
	v_and_b32_e32 v14, 0x80000000, v14
	v_lshl_add_u32 v8, v8, 23, v10
	v_or3_b32 v8, v14, v8, v13
	v_lshrrev_b32_e32 v14, 16, v8
.LBB794_854:                            ;   in Loop: Header=BB794_796 Depth=1
	s_or_b64 exec, exec, s[20:21]
.LBB794_855:                            ;   in Loop: Header=BB794_796 Depth=1
	s_or_b64 exec, exec, s[18:19]
.LBB794_856:                            ;   in Loop: Header=BB794_796 Depth=1
	s_or_b64 exec, exec, s[16:17]
	v_lshrrev_b32_e32 v8, 16, v6
	v_cmp_ne_u16_sdwa s[18:19], v8, v9 src0_sel:BYTE_0 src1_sel:DWORD
	s_and_saveexec_b64 s[16:17], s[18:19]
	s_cbranch_execz .LBB794_862
; %bb.857:                              ;   in Loop: Header=BB794_796 Depth=1
	v_cmp_ne_u16_sdwa s[20:21], v8, s22 src0_sel:BYTE_0 src1_sel:DWORD
	v_mov_b32_e32 v15, 0xffff8000
	s_and_saveexec_b64 s[18:19], s[20:21]
	s_cbranch_execz .LBB794_861
; %bb.858:                              ;   in Loop: Header=BB794_796 Depth=1
	v_bfe_u32 v13, v6, 16, 7
	v_cmp_ne_u32_e32 vcc, s24, v13
	v_mov_b32_e32 v15, 0x7f80
	s_and_saveexec_b64 s[20:21], vcc
	s_cbranch_execz .LBB794_860
; %bb.859:                              ;   in Loop: Header=BB794_796 Depth=1
	v_and_b32_e32 v15, 7, v8
	v_ffbh_u32_e32 v16, v15
	v_min_u32_e32 v19, 32, v16
	v_subrev_u32_e32 v16, 28, v19
	v_lshlrev_b64 v[16:17], v16, v[8:9]
	v_lshrrev_b32_e32 v18, 3, v13
	v_sub_u32_e32 v17, 29, v19
	v_and_b32_e32 v16, 7, v16
	v_cmp_gt_u32_e32 vcc, 8, v13
	v_cndmask_b32_e32 v13, v18, v17, vcc
	v_cndmask_b32_e32 v15, v15, v16, vcc
	v_lshlrev_b32_e32 v8, 24, v8
	v_lshlrev_b32_e32 v15, 20, v15
	v_and_b32_e32 v8, 0x80000000, v8
	v_lshl_add_u32 v13, v13, 23, v10
	v_or3_b32 v8, v8, v13, v15
	v_lshrrev_b32_e32 v15, 16, v8
.LBB794_860:                            ;   in Loop: Header=BB794_796 Depth=1
	s_or_b64 exec, exec, s[20:21]
.LBB794_861:                            ;   in Loop: Header=BB794_796 Depth=1
	s_or_b64 exec, exec, s[18:19]
.LBB794_862:                            ;   in Loop: Header=BB794_796 Depth=1
	s_or_b64 exec, exec, s[16:17]
	v_cmp_lt_u32_e32 vcc, s25, v6
	v_mov_b32_e32 v16, 0
	v_mov_b32_e32 v17, 0
	s_and_saveexec_b64 s[16:17], vcc
	s_cbranch_execz .LBB794_868
; %bb.863:                              ;   in Loop: Header=BB794_796 Depth=1
	v_lshrrev_b32_e32 v8, 24, v6
	v_cmp_ne_u32_e32 vcc, s22, v8
	v_mov_b32_e32 v17, 0xffff8000
	s_and_saveexec_b64 s[18:19], vcc
	s_cbranch_execz .LBB794_867
; %bb.864:                              ;   in Loop: Header=BB794_796 Depth=1
	v_bfe_u32 v6, v6, 24, 7
	v_cmp_ne_u32_e32 vcc, s24, v6
	v_mov_b32_e32 v17, 0x7f80
	s_and_saveexec_b64 s[20:21], vcc
	s_cbranch_execz .LBB794_866
; %bb.865:                              ;   in Loop: Header=BB794_796 Depth=1
	v_and_b32_e32 v13, 7, v8
	v_ffbh_u32_e32 v18, v13
	v_min_u32_e32 v20, 32, v18
	v_subrev_u32_e32 v18, 28, v20
	v_lshlrev_b64 v[18:19], v18, v[8:9]
	v_lshrrev_b32_e32 v17, 3, v6
	v_sub_u32_e32 v19, 29, v20
	v_and_b32_e32 v18, 7, v18
	v_cmp_gt_u32_e32 vcc, 8, v6
	v_cndmask_b32_e32 v6, v17, v19, vcc
	v_cndmask_b32_e32 v13, v13, v18, vcc
	v_lshlrev_b32_e32 v8, 24, v8
	v_lshlrev_b32_e32 v13, 20, v13
	v_and_b32_e32 v8, 0x80000000, v8
	v_lshl_add_u32 v6, v6, 23, v10
	v_or3_b32 v6, v8, v6, v13
	v_lshrrev_b32_e32 v17, 16, v6
.LBB794_866:                            ;   in Loop: Header=BB794_796 Depth=1
	s_or_b64 exec, exec, s[20:21]
.LBB794_867:                            ;   in Loop: Header=BB794_796 Depth=1
	s_or_b64 exec, exec, s[18:19]
.LBB794_868:                            ;   in Loop: Header=BB794_796 Depth=1
	s_or_b64 exec, exec, s[16:17]
	s_waitcnt vmcnt(0)
	v_cmp_ne_u16_sdwa s[18:19], v4, v9 src0_sel:BYTE_0 src1_sel:DWORD
	s_and_saveexec_b64 s[16:17], s[18:19]
	s_cbranch_execz .LBB794_874
; %bb.869:                              ;   in Loop: Header=BB794_796 Depth=1
	v_cmp_ne_u16_sdwa s[20:21], v4, s22 src0_sel:BYTE_0 src1_sel:DWORD
	v_mov_b32_e32 v16, 0xffff8000
	s_and_saveexec_b64 s[18:19], s[20:21]
	s_cbranch_execz .LBB794_873
; %bb.870:                              ;   in Loop: Header=BB794_796 Depth=1
	v_and_b32_e32 v6, 0x7f, v4
	v_cmp_ne_u32_e32 vcc, s24, v6
	v_mov_b32_e32 v16, 0x7f80
	s_and_saveexec_b64 s[20:21], vcc
	s_cbranch_execz .LBB794_872
; %bb.871:                              ;   in Loop: Header=BB794_796 Depth=1
	v_and_b32_e32 v8, 7, v4
	v_ffbh_u32_e32 v16, v8
	v_min_u32_e32 v16, 32, v16
	v_subrev_u32_e32 v18, 28, v16
	v_lshlrev_b64 v[18:19], v18, v[4:5]
	v_lshrrev_b32_e32 v13, 3, v6
	v_sub_u32_e32 v16, 29, v16
	v_and_b32_e32 v18, 7, v18
	v_cmp_gt_u32_e32 vcc, 8, v6
	v_cndmask_b32_e32 v6, v13, v16, vcc
	v_cndmask_b32_e32 v8, v8, v18, vcc
	v_lshlrev_b32_e32 v13, 24, v4
	v_lshlrev_b32_e32 v8, 20, v8
	v_and_b32_e32 v13, 0x80000000, v13
	v_lshl_add_u32 v6, v6, 23, v10
	v_or3_b32 v6, v13, v6, v8
	v_lshrrev_b32_e32 v16, 16, v6
.LBB794_872:                            ;   in Loop: Header=BB794_796 Depth=1
	s_or_b64 exec, exec, s[20:21]
.LBB794_873:                            ;   in Loop: Header=BB794_796 Depth=1
	s_or_b64 exec, exec, s[18:19]
.LBB794_874:                            ;   in Loop: Header=BB794_796 Depth=1
	s_or_b64 exec, exec, s[16:17]
	v_lshrrev_b16_e32 v6, 8, v4
	v_cmp_ne_u16_e32 vcc, 0, v6
	v_mov_b32_e32 v18, 0
	v_mov_b32_e32 v8, 0
	s_and_saveexec_b64 s[16:17], vcc
	s_cbranch_execz .LBB794_880
; %bb.875:                              ;   in Loop: Header=BB794_796 Depth=1
	v_cmp_ne_u16_e32 vcc, s22, v6
	v_mov_b32_e32 v8, 0xffff8000
	s_and_saveexec_b64 s[18:19], vcc
	s_cbranch_execz .LBB794_879
; %bb.876:                              ;   in Loop: Header=BB794_796 Depth=1
	v_and_b32_e32 v13, 0x7f, v6
	v_cmp_ne_u32_e32 vcc, s24, v13
	v_mov_b32_e32 v8, 0x7f80
	s_and_saveexec_b64 s[20:21], vcc
	s_cbranch_execz .LBB794_878
; %bb.877:                              ;   in Loop: Header=BB794_796 Depth=1
	v_and_b32_e32 v8, 7, v6
	v_ffbh_u32_e32 v20, v8
	v_min_u32_e32 v22, 32, v20
	v_subrev_u32_e32 v20, 28, v22
	v_lshlrev_b64 v[20:21], v20, v[6:7]
	v_lshrrev_b32_e32 v19, 3, v13
	v_sub_u32_e32 v6, 29, v22
	v_and_b32_e32 v20, 7, v20
	v_cmp_gt_u32_e32 vcc, 8, v13
	v_cndmask_b32_e32 v6, v19, v6, vcc
	v_cndmask_b32_e32 v8, v8, v20, vcc
	v_lshlrev_b32_e32 v13, 16, v4
	v_lshlrev_b32_e32 v8, 20, v8
	v_and_b32_e32 v13, 0x80000000, v13
	v_lshl_add_u32 v6, v6, 23, v10
	v_or3_b32 v6, v13, v6, v8
	v_lshrrev_b32_e32 v8, 16, v6
.LBB794_878:                            ;   in Loop: Header=BB794_796 Depth=1
	s_or_b64 exec, exec, s[20:21]
.LBB794_879:                            ;   in Loop: Header=BB794_796 Depth=1
	s_or_b64 exec, exec, s[18:19]
.LBB794_880:                            ;   in Loop: Header=BB794_796 Depth=1
	s_or_b64 exec, exec, s[16:17]
	v_lshrrev_b32_e32 v6, 16, v4
	v_cmp_ne_u16_sdwa s[18:19], v6, v9 src0_sel:BYTE_0 src1_sel:DWORD
	s_and_saveexec_b64 s[16:17], s[18:19]
	s_cbranch_execz .LBB794_886
; %bb.881:                              ;   in Loop: Header=BB794_796 Depth=1
	v_cmp_ne_u16_sdwa s[20:21], v6, s22 src0_sel:BYTE_0 src1_sel:DWORD
	v_mov_b32_e32 v18, 0xffff8000
	s_and_saveexec_b64 s[18:19], s[20:21]
	s_cbranch_execz .LBB794_885
; %bb.882:                              ;   in Loop: Header=BB794_796 Depth=1
	v_bfe_u32 v13, v4, 16, 7
	v_cmp_ne_u32_e32 vcc, s24, v13
	v_mov_b32_e32 v18, 0x7f80
	s_and_saveexec_b64 s[20:21], vcc
	s_cbranch_execz .LBB794_884
; %bb.883:                              ;   in Loop: Header=BB794_796 Depth=1
	v_and_b32_e32 v20, 7, v6
	v_ffbh_u32_e32 v18, v20
	v_min_u32_e32 v22, 32, v18
	v_subrev_u32_e32 v18, 28, v22
	v_lshlrev_b64 v[18:19], v18, v[6:7]
	v_lshrrev_b32_e32 v21, 3, v13
	v_sub_u32_e32 v19, 29, v22
	v_and_b32_e32 v18, 7, v18
	v_cmp_gt_u32_e32 vcc, 8, v13
	v_cndmask_b32_e32 v13, v21, v19, vcc
	v_cndmask_b32_e32 v18, v20, v18, vcc
	v_lshlrev_b32_e32 v6, 24, v6
	v_lshlrev_b32_e32 v18, 20, v18
	v_and_b32_e32 v6, 0x80000000, v6
	v_lshl_add_u32 v13, v13, 23, v10
	v_or3_b32 v6, v6, v13, v18
	v_lshrrev_b32_e32 v18, 16, v6
.LBB794_884:                            ;   in Loop: Header=BB794_796 Depth=1
	s_or_b64 exec, exec, s[20:21]
.LBB794_885:                            ;   in Loop: Header=BB794_796 Depth=1
	s_or_b64 exec, exec, s[18:19]
.LBB794_886:                            ;   in Loop: Header=BB794_796 Depth=1
	s_or_b64 exec, exec, s[16:17]
	v_cmp_lt_u32_e32 vcc, s25, v4
	v_mov_b32_e32 v13, 0
	v_mov_b32_e32 v19, 0
	s_and_saveexec_b64 s[16:17], vcc
	s_cbranch_execz .LBB794_892
; %bb.887:                              ;   in Loop: Header=BB794_796 Depth=1
	v_lshrrev_b32_e32 v6, 24, v4
	v_cmp_ne_u32_e32 vcc, s22, v6
	v_mov_b32_e32 v19, 0xffff8000
	s_and_saveexec_b64 s[18:19], vcc
	s_cbranch_execz .LBB794_891
; %bb.888:                              ;   in Loop: Header=BB794_796 Depth=1
	v_bfe_u32 v4, v4, 24, 7
	v_cmp_ne_u32_e32 vcc, s24, v4
	v_mov_b32_e32 v19, 0x7f80
	s_and_saveexec_b64 s[20:21], vcc
	s_cbranch_execz .LBB794_890
; %bb.889:                              ;   in Loop: Header=BB794_796 Depth=1
	v_and_b32_e32 v19, 7, v6
	v_ffbh_u32_e32 v20, v19
	v_min_u32_e32 v23, 32, v20
	v_subrev_u32_e32 v20, 28, v23
	v_lshlrev_b64 v[20:21], v20, v[6:7]
	v_lshrrev_b32_e32 v22, 3, v4
	v_sub_u32_e32 v21, 29, v23
	v_and_b32_e32 v20, 7, v20
	v_cmp_gt_u32_e32 vcc, 8, v4
	v_cndmask_b32_e32 v4, v22, v21, vcc
	v_cndmask_b32_e32 v19, v19, v20, vcc
	v_lshlrev_b32_e32 v6, 24, v6
	v_lshlrev_b32_e32 v19, 20, v19
	v_and_b32_e32 v6, 0x80000000, v6
	v_lshl_add_u32 v4, v4, 23, v10
	v_or3_b32 v4, v6, v4, v19
	v_lshrrev_b32_e32 v19, 16, v4
.LBB794_890:                            ;   in Loop: Header=BB794_796 Depth=1
	s_or_b64 exec, exec, s[20:21]
.LBB794_891:                            ;   in Loop: Header=BB794_796 Depth=1
	s_or_b64 exec, exec, s[18:19]
.LBB794_892:                            ;   in Loop: Header=BB794_796 Depth=1
	s_or_b64 exec, exec, s[16:17]
	buffer_load_dword v6, v11, s[0:3], 0 offen offset:16
	buffer_load_dword v4, v11, s[0:3], 0 offen offset:20
	v_perm_b32 v15, v17, v15, s26
	v_perm_b32 v14, v14, v12, s26
	;; [unrolled: 1-line block ×4, first 2 shown]
	v_mfma_f32_4x4x4bf16_1k a[0:3], v[2:3], v[14:15], a[0:3] cbsz:4 abid:2
	s_waitcnt vmcnt(1)
	v_cmp_ne_u16_sdwa s[18:19], v6, v9 src0_sel:BYTE_0 src1_sel:DWORD
	v_mfma_f32_4x4x4bf16_1k a[0:3], v[2:3], v[16:17], a[0:3] cbsz:4 abid:3
	s_and_saveexec_b64 s[16:17], s[18:19]
	s_cbranch_execz .LBB794_898
; %bb.893:                              ;   in Loop: Header=BB794_796 Depth=1
	v_cmp_ne_u16_sdwa s[20:21], v6, s22 src0_sel:BYTE_0 src1_sel:DWORD
	v_mov_b32_e32 v13, 0xffff8000
	s_and_saveexec_b64 s[18:19], s[20:21]
	s_cbranch_execz .LBB794_897
; %bb.894:                              ;   in Loop: Header=BB794_796 Depth=1
	v_and_b32_e32 v8, 0x7f, v6
	v_cmp_ne_u32_e32 vcc, s24, v8
	v_mov_b32_e32 v13, 0x7f80
	s_and_saveexec_b64 s[20:21], vcc
	s_cbranch_execz .LBB794_896
; %bb.895:                              ;   in Loop: Header=BB794_796 Depth=1
	v_and_b32_e32 v14, 7, v6
	v_ffbh_u32_e32 v12, v14
	v_min_u32_e32 v16, 32, v12
	v_subrev_u32_e32 v12, 28, v16
	v_lshlrev_b64 v[12:13], v12, v[6:7]
	v_lshrrev_b32_e32 v15, 3, v8
	v_sub_u32_e32 v13, 29, v16
	v_and_b32_e32 v12, 7, v12
	v_cmp_gt_u32_e32 vcc, 8, v8
	v_cndmask_b32_e32 v8, v15, v13, vcc
	v_cndmask_b32_e32 v12, v14, v12, vcc
	v_lshlrev_b32_e32 v13, 24, v6
	v_lshlrev_b32_e32 v12, 20, v12
	v_and_b32_e32 v13, 0x80000000, v13
	v_lshl_add_u32 v8, v8, 23, v10
	v_or3_b32 v8, v13, v8, v12
	v_lshrrev_b32_e32 v13, 16, v8
.LBB794_896:                            ;   in Loop: Header=BB794_796 Depth=1
	s_or_b64 exec, exec, s[20:21]
.LBB794_897:                            ;   in Loop: Header=BB794_796 Depth=1
	s_or_b64 exec, exec, s[18:19]
.LBB794_898:                            ;   in Loop: Header=BB794_796 Depth=1
	s_or_b64 exec, exec, s[16:17]
	v_lshrrev_b16_e32 v8, 8, v6
	v_cmp_ne_u16_e32 vcc, 0, v8
	v_mov_b32_e32 v15, 0
	v_mov_b32_e32 v14, 0
	s_and_saveexec_b64 s[16:17], vcc
	s_cbranch_execz .LBB794_904
; %bb.899:                              ;   in Loop: Header=BB794_796 Depth=1
	v_cmp_ne_u16_e32 vcc, s22, v8
	v_mov_b32_e32 v14, 0xffff8000
	s_and_saveexec_b64 s[18:19], vcc
	s_cbranch_execz .LBB794_903
; %bb.900:                              ;   in Loop: Header=BB794_796 Depth=1
	v_and_b32_e32 v12, 0x7f, v8
	v_cmp_ne_u32_e32 vcc, s24, v12
	v_mov_b32_e32 v14, 0x7f80
	s_and_saveexec_b64 s[20:21], vcc
	s_cbranch_execz .LBB794_902
; %bb.901:                              ;   in Loop: Header=BB794_796 Depth=1
	v_and_b32_e32 v14, 7, v8
	v_ffbh_u32_e32 v16, v14
	v_min_u32_e32 v19, 32, v16
	v_subrev_u32_e32 v16, 28, v19
	v_lshlrev_b64 v[16:17], v16, v[8:9]
	v_lshrrev_b32_e32 v18, 3, v12
	v_sub_u32_e32 v8, 29, v19
	v_and_b32_e32 v16, 7, v16
	v_cmp_gt_u32_e32 vcc, 8, v12
	v_cndmask_b32_e32 v8, v18, v8, vcc
	v_cndmask_b32_e32 v12, v14, v16, vcc
	v_lshlrev_b32_e32 v14, 16, v6
	v_lshlrev_b32_e32 v12, 20, v12
	v_and_b32_e32 v14, 0x80000000, v14
	v_lshl_add_u32 v8, v8, 23, v10
	v_or3_b32 v8, v14, v8, v12
	v_lshrrev_b32_e32 v14, 16, v8
.LBB794_902:                            ;   in Loop: Header=BB794_796 Depth=1
	s_or_b64 exec, exec, s[20:21]
.LBB794_903:                            ;   in Loop: Header=BB794_796 Depth=1
	s_or_b64 exec, exec, s[18:19]
.LBB794_904:                            ;   in Loop: Header=BB794_796 Depth=1
	s_or_b64 exec, exec, s[16:17]
	v_lshrrev_b32_e32 v8, 16, v6
	v_cmp_ne_u16_sdwa s[18:19], v8, v9 src0_sel:BYTE_0 src1_sel:DWORD
	s_and_saveexec_b64 s[16:17], s[18:19]
	s_cbranch_execz .LBB794_910
; %bb.905:                              ;   in Loop: Header=BB794_796 Depth=1
	v_cmp_ne_u16_sdwa s[20:21], v8, s22 src0_sel:BYTE_0 src1_sel:DWORD
	v_mov_b32_e32 v15, 0xffff8000
	s_and_saveexec_b64 s[18:19], s[20:21]
	s_cbranch_execz .LBB794_909
; %bb.906:                              ;   in Loop: Header=BB794_796 Depth=1
	v_bfe_u32 v12, v6, 16, 7
	v_cmp_ne_u32_e32 vcc, s24, v12
	v_mov_b32_e32 v15, 0x7f80
	s_and_saveexec_b64 s[20:21], vcc
	s_cbranch_execz .LBB794_908
; %bb.907:                              ;   in Loop: Header=BB794_796 Depth=1
	v_and_b32_e32 v15, 7, v8
	v_ffbh_u32_e32 v16, v15
	v_min_u32_e32 v19, 32, v16
	v_subrev_u32_e32 v16, 28, v19
	v_lshlrev_b64 v[16:17], v16, v[8:9]
	v_lshrrev_b32_e32 v18, 3, v12
	v_sub_u32_e32 v17, 29, v19
	v_and_b32_e32 v16, 7, v16
	v_cmp_gt_u32_e32 vcc, 8, v12
	v_cndmask_b32_e32 v12, v18, v17, vcc
	v_cndmask_b32_e32 v15, v15, v16, vcc
	v_lshlrev_b32_e32 v8, 24, v8
	v_lshlrev_b32_e32 v15, 20, v15
	v_and_b32_e32 v8, 0x80000000, v8
	v_lshl_add_u32 v12, v12, 23, v10
	v_or3_b32 v8, v8, v12, v15
	v_lshrrev_b32_e32 v15, 16, v8
.LBB794_908:                            ;   in Loop: Header=BB794_796 Depth=1
	s_or_b64 exec, exec, s[20:21]
.LBB794_909:                            ;   in Loop: Header=BB794_796 Depth=1
	s_or_b64 exec, exec, s[18:19]
.LBB794_910:                            ;   in Loop: Header=BB794_796 Depth=1
	s_or_b64 exec, exec, s[16:17]
	v_cmp_lt_u32_e32 vcc, s25, v6
	v_mov_b32_e32 v16, 0
	v_mov_b32_e32 v17, 0
	s_and_saveexec_b64 s[16:17], vcc
	s_cbranch_execz .LBB794_916
; %bb.911:                              ;   in Loop: Header=BB794_796 Depth=1
	v_lshrrev_b32_e32 v8, 24, v6
	v_cmp_ne_u32_e32 vcc, s22, v8
	v_mov_b32_e32 v17, 0xffff8000
	s_and_saveexec_b64 s[18:19], vcc
	s_cbranch_execz .LBB794_915
; %bb.912:                              ;   in Loop: Header=BB794_796 Depth=1
	v_bfe_u32 v6, v6, 24, 7
	v_cmp_ne_u32_e32 vcc, s24, v6
	v_mov_b32_e32 v17, 0x7f80
	s_and_saveexec_b64 s[20:21], vcc
	s_cbranch_execz .LBB794_914
; %bb.913:                              ;   in Loop: Header=BB794_796 Depth=1
	v_and_b32_e32 v12, 7, v8
	v_ffbh_u32_e32 v18, v12
	v_min_u32_e32 v20, 32, v18
	v_subrev_u32_e32 v18, 28, v20
	v_lshlrev_b64 v[18:19], v18, v[8:9]
	v_lshrrev_b32_e32 v17, 3, v6
	v_sub_u32_e32 v19, 29, v20
	v_and_b32_e32 v18, 7, v18
	v_cmp_gt_u32_e32 vcc, 8, v6
	v_cndmask_b32_e32 v6, v17, v19, vcc
	v_cndmask_b32_e32 v12, v12, v18, vcc
	v_lshlrev_b32_e32 v8, 24, v8
	v_lshlrev_b32_e32 v12, 20, v12
	v_and_b32_e32 v8, 0x80000000, v8
	v_lshl_add_u32 v6, v6, 23, v10
	v_or3_b32 v6, v8, v6, v12
	v_lshrrev_b32_e32 v17, 16, v6
.LBB794_914:                            ;   in Loop: Header=BB794_796 Depth=1
	s_or_b64 exec, exec, s[20:21]
.LBB794_915:                            ;   in Loop: Header=BB794_796 Depth=1
	s_or_b64 exec, exec, s[18:19]
.LBB794_916:                            ;   in Loop: Header=BB794_796 Depth=1
	s_or_b64 exec, exec, s[16:17]
	s_waitcnt vmcnt(0)
	v_cmp_ne_u16_sdwa s[18:19], v4, v9 src0_sel:BYTE_0 src1_sel:DWORD
	s_and_saveexec_b64 s[16:17], s[18:19]
	s_cbranch_execz .LBB794_922
; %bb.917:                              ;   in Loop: Header=BB794_796 Depth=1
	v_cmp_ne_u16_sdwa s[20:21], v4, s22 src0_sel:BYTE_0 src1_sel:DWORD
	v_mov_b32_e32 v16, 0xffff8000
	s_and_saveexec_b64 s[18:19], s[20:21]
	s_cbranch_execz .LBB794_921
; %bb.918:                              ;   in Loop: Header=BB794_796 Depth=1
	v_and_b32_e32 v6, 0x7f, v4
	v_cmp_ne_u32_e32 vcc, s24, v6
	v_mov_b32_e32 v16, 0x7f80
	s_and_saveexec_b64 s[20:21], vcc
	s_cbranch_execz .LBB794_920
; %bb.919:                              ;   in Loop: Header=BB794_796 Depth=1
	v_and_b32_e32 v8, 7, v4
	v_ffbh_u32_e32 v16, v8
	v_min_u32_e32 v16, 32, v16
	v_subrev_u32_e32 v18, 28, v16
	v_lshlrev_b64 v[18:19], v18, v[4:5]
	v_lshrrev_b32_e32 v12, 3, v6
	v_sub_u32_e32 v16, 29, v16
	v_and_b32_e32 v18, 7, v18
	v_cmp_gt_u32_e32 vcc, 8, v6
	v_cndmask_b32_e32 v6, v12, v16, vcc
	v_cndmask_b32_e32 v8, v8, v18, vcc
	v_lshlrev_b32_e32 v12, 24, v4
	v_lshlrev_b32_e32 v8, 20, v8
	v_and_b32_e32 v12, 0x80000000, v12
	v_lshl_add_u32 v6, v6, 23, v10
	v_or3_b32 v6, v12, v6, v8
	v_lshrrev_b32_e32 v16, 16, v6
.LBB794_920:                            ;   in Loop: Header=BB794_796 Depth=1
	s_or_b64 exec, exec, s[20:21]
.LBB794_921:                            ;   in Loop: Header=BB794_796 Depth=1
	s_or_b64 exec, exec, s[18:19]
.LBB794_922:                            ;   in Loop: Header=BB794_796 Depth=1
	s_or_b64 exec, exec, s[16:17]
	v_lshrrev_b16_e32 v6, 8, v4
	v_cmp_ne_u16_e32 vcc, 0, v6
	v_mov_b32_e32 v18, 0
	v_mov_b32_e32 v8, 0
	s_and_saveexec_b64 s[16:17], vcc
	s_cbranch_execz .LBB794_928
; %bb.923:                              ;   in Loop: Header=BB794_796 Depth=1
	v_cmp_ne_u16_e32 vcc, s22, v6
	v_mov_b32_e32 v8, 0xffff8000
	s_and_saveexec_b64 s[18:19], vcc
	s_cbranch_execz .LBB794_927
; %bb.924:                              ;   in Loop: Header=BB794_796 Depth=1
	v_and_b32_e32 v12, 0x7f, v6
	v_cmp_ne_u32_e32 vcc, s24, v12
	v_mov_b32_e32 v8, 0x7f80
	s_and_saveexec_b64 s[20:21], vcc
	s_cbranch_execz .LBB794_926
; %bb.925:                              ;   in Loop: Header=BB794_796 Depth=1
	v_and_b32_e32 v8, 7, v6
	v_ffbh_u32_e32 v20, v8
	v_min_u32_e32 v22, 32, v20
	v_subrev_u32_e32 v20, 28, v22
	v_lshlrev_b64 v[20:21], v20, v[6:7]
	v_lshrrev_b32_e32 v19, 3, v12
	v_sub_u32_e32 v6, 29, v22
	v_and_b32_e32 v20, 7, v20
	v_cmp_gt_u32_e32 vcc, 8, v12
	v_cndmask_b32_e32 v6, v19, v6, vcc
	v_cndmask_b32_e32 v8, v8, v20, vcc
	v_lshlrev_b32_e32 v12, 16, v4
	v_lshlrev_b32_e32 v8, 20, v8
	v_and_b32_e32 v12, 0x80000000, v12
	v_lshl_add_u32 v6, v6, 23, v10
	v_or3_b32 v6, v12, v6, v8
	v_lshrrev_b32_e32 v8, 16, v6
.LBB794_926:                            ;   in Loop: Header=BB794_796 Depth=1
	s_or_b64 exec, exec, s[20:21]
.LBB794_927:                            ;   in Loop: Header=BB794_796 Depth=1
	s_or_b64 exec, exec, s[18:19]
.LBB794_928:                            ;   in Loop: Header=BB794_796 Depth=1
	s_or_b64 exec, exec, s[16:17]
	v_lshrrev_b32_e32 v6, 16, v4
	v_cmp_ne_u16_sdwa s[18:19], v6, v9 src0_sel:BYTE_0 src1_sel:DWORD
	s_and_saveexec_b64 s[16:17], s[18:19]
	s_cbranch_execz .LBB794_934
; %bb.929:                              ;   in Loop: Header=BB794_796 Depth=1
	v_cmp_ne_u16_sdwa s[20:21], v6, s22 src0_sel:BYTE_0 src1_sel:DWORD
	v_mov_b32_e32 v18, 0xffff8000
	s_and_saveexec_b64 s[18:19], s[20:21]
	s_cbranch_execz .LBB794_933
; %bb.930:                              ;   in Loop: Header=BB794_796 Depth=1
	v_bfe_u32 v12, v4, 16, 7
	v_cmp_ne_u32_e32 vcc, s24, v12
	v_mov_b32_e32 v18, 0x7f80
	s_and_saveexec_b64 s[20:21], vcc
	s_cbranch_execz .LBB794_932
; %bb.931:                              ;   in Loop: Header=BB794_796 Depth=1
	v_and_b32_e32 v20, 7, v6
	v_ffbh_u32_e32 v18, v20
	v_min_u32_e32 v22, 32, v18
	v_subrev_u32_e32 v18, 28, v22
	v_lshlrev_b64 v[18:19], v18, v[6:7]
	v_lshrrev_b32_e32 v21, 3, v12
	v_sub_u32_e32 v19, 29, v22
	v_and_b32_e32 v18, 7, v18
	v_cmp_gt_u32_e32 vcc, 8, v12
	v_cndmask_b32_e32 v12, v21, v19, vcc
	v_cndmask_b32_e32 v18, v20, v18, vcc
	v_lshlrev_b32_e32 v6, 24, v6
	v_lshlrev_b32_e32 v18, 20, v18
	v_and_b32_e32 v6, 0x80000000, v6
	v_lshl_add_u32 v12, v12, 23, v10
	v_or3_b32 v6, v6, v12, v18
	v_lshrrev_b32_e32 v18, 16, v6
.LBB794_932:                            ;   in Loop: Header=BB794_796 Depth=1
	s_or_b64 exec, exec, s[20:21]
.LBB794_933:                            ;   in Loop: Header=BB794_796 Depth=1
	s_or_b64 exec, exec, s[18:19]
.LBB794_934:                            ;   in Loop: Header=BB794_796 Depth=1
	s_or_b64 exec, exec, s[16:17]
	v_cmp_lt_u32_e32 vcc, s25, v4
	v_mov_b32_e32 v12, 0
	v_mov_b32_e32 v19, 0
	s_and_saveexec_b64 s[16:17], vcc
	s_cbranch_execz .LBB794_940
; %bb.935:                              ;   in Loop: Header=BB794_796 Depth=1
	v_lshrrev_b32_e32 v6, 24, v4
	v_cmp_ne_u32_e32 vcc, s22, v6
	v_mov_b32_e32 v19, 0xffff8000
	s_and_saveexec_b64 s[18:19], vcc
	s_cbranch_execz .LBB794_939
; %bb.936:                              ;   in Loop: Header=BB794_796 Depth=1
	v_bfe_u32 v4, v4, 24, 7
	v_cmp_ne_u32_e32 vcc, s24, v4
	v_mov_b32_e32 v19, 0x7f80
	s_and_saveexec_b64 s[20:21], vcc
	s_cbranch_execz .LBB794_938
; %bb.937:                              ;   in Loop: Header=BB794_796 Depth=1
	v_and_b32_e32 v19, 7, v6
	v_ffbh_u32_e32 v20, v19
	v_min_u32_e32 v23, 32, v20
	v_subrev_u32_e32 v20, 28, v23
	v_lshlrev_b64 v[20:21], v20, v[6:7]
	v_lshrrev_b32_e32 v22, 3, v4
	v_sub_u32_e32 v21, 29, v23
	v_and_b32_e32 v20, 7, v20
	v_cmp_gt_u32_e32 vcc, 8, v4
	v_cndmask_b32_e32 v4, v22, v21, vcc
	v_cndmask_b32_e32 v19, v19, v20, vcc
	v_lshlrev_b32_e32 v6, 24, v6
	v_lshlrev_b32_e32 v19, 20, v19
	v_and_b32_e32 v6, 0x80000000, v6
	v_lshl_add_u32 v4, v4, 23, v10
	v_or3_b32 v4, v6, v4, v19
	v_lshrrev_b32_e32 v19, 16, v4
.LBB794_938:                            ;   in Loop: Header=BB794_796 Depth=1
	s_or_b64 exec, exec, s[20:21]
.LBB794_939:                            ;   in Loop: Header=BB794_796 Depth=1
	s_or_b64 exec, exec, s[18:19]
.LBB794_940:                            ;   in Loop: Header=BB794_796 Depth=1
	s_or_b64 exec, exec, s[16:17]
	buffer_load_dword v6, v11, s[0:3], 0 offen offset:24
	buffer_load_dword v4, v11, s[0:3], 0 offen offset:28
	v_perm_b32 v15, v17, v15, s26
	v_perm_b32 v14, v14, v13, s26
	;; [unrolled: 1-line block ×4, first 2 shown]
	v_mfma_f32_4x4x4bf16_1k a[0:3], v[2:3], v[14:15], a[0:3] cbsz:4 abid:4
	s_waitcnt vmcnt(1)
	v_cmp_ne_u16_sdwa s[18:19], v6, v9 src0_sel:BYTE_0 src1_sel:DWORD
	v_mfma_f32_4x4x4bf16_1k a[0:3], v[2:3], v[16:17], a[0:3] cbsz:4 abid:5
	s_and_saveexec_b64 s[16:17], s[18:19]
	s_cbranch_execz .LBB794_946
; %bb.941:                              ;   in Loop: Header=BB794_796 Depth=1
	v_cmp_ne_u16_sdwa s[20:21], v6, s22 src0_sel:BYTE_0 src1_sel:DWORD
	v_mov_b32_e32 v12, 0xffff8000
	s_and_saveexec_b64 s[18:19], s[20:21]
	s_cbranch_execz .LBB794_945
; %bb.942:                              ;   in Loop: Header=BB794_796 Depth=1
	v_and_b32_e32 v8, 0x7f, v6
	v_cmp_ne_u32_e32 vcc, s24, v8
	v_mov_b32_e32 v12, 0x7f80
	s_and_saveexec_b64 s[20:21], vcc
	s_cbranch_execz .LBB794_944
; %bb.943:                              ;   in Loop: Header=BB794_796 Depth=1
	v_and_b32_e32 v14, 7, v6
	v_ffbh_u32_e32 v12, v14
	v_min_u32_e32 v16, 32, v12
	v_subrev_u32_e32 v12, 28, v16
	v_lshlrev_b64 v[12:13], v12, v[6:7]
	v_lshrrev_b32_e32 v15, 3, v8
	v_sub_u32_e32 v13, 29, v16
	v_and_b32_e32 v12, 7, v12
	v_cmp_gt_u32_e32 vcc, 8, v8
	v_cndmask_b32_e32 v8, v15, v13, vcc
	v_cndmask_b32_e32 v12, v14, v12, vcc
	v_lshlrev_b32_e32 v13, 24, v6
	v_lshlrev_b32_e32 v12, 20, v12
	v_and_b32_e32 v13, 0x80000000, v13
	v_lshl_add_u32 v8, v8, 23, v10
	v_or3_b32 v8, v13, v8, v12
	v_lshrrev_b32_e32 v12, 16, v8
.LBB794_944:                            ;   in Loop: Header=BB794_796 Depth=1
	s_or_b64 exec, exec, s[20:21]
.LBB794_945:                            ;   in Loop: Header=BB794_796 Depth=1
	s_or_b64 exec, exec, s[18:19]
.LBB794_946:                            ;   in Loop: Header=BB794_796 Depth=1
	s_or_b64 exec, exec, s[16:17]
	v_lshrrev_b16_e32 v8, 8, v6
	v_cmp_ne_u16_e32 vcc, 0, v8
	v_mov_b32_e32 v15, 0
	v_mov_b32_e32 v14, 0
	s_and_saveexec_b64 s[16:17], vcc
	s_cbranch_execz .LBB794_952
; %bb.947:                              ;   in Loop: Header=BB794_796 Depth=1
	v_cmp_ne_u16_e32 vcc, s22, v8
	v_mov_b32_e32 v14, 0xffff8000
	s_and_saveexec_b64 s[18:19], vcc
	s_cbranch_execz .LBB794_951
; %bb.948:                              ;   in Loop: Header=BB794_796 Depth=1
	v_and_b32_e32 v13, 0x7f, v8
	v_cmp_ne_u32_e32 vcc, s24, v13
	v_mov_b32_e32 v14, 0x7f80
	s_and_saveexec_b64 s[20:21], vcc
	s_cbranch_execz .LBB794_950
; %bb.949:                              ;   in Loop: Header=BB794_796 Depth=1
	v_and_b32_e32 v14, 7, v8
	v_ffbh_u32_e32 v16, v14
	v_min_u32_e32 v19, 32, v16
	v_subrev_u32_e32 v16, 28, v19
	v_lshlrev_b64 v[16:17], v16, v[8:9]
	v_lshrrev_b32_e32 v18, 3, v13
	v_sub_u32_e32 v8, 29, v19
	v_and_b32_e32 v16, 7, v16
	v_cmp_gt_u32_e32 vcc, 8, v13
	v_cndmask_b32_e32 v8, v18, v8, vcc
	v_cndmask_b32_e32 v13, v14, v16, vcc
	v_lshlrev_b32_e32 v14, 16, v6
	v_lshlrev_b32_e32 v13, 20, v13
	v_and_b32_e32 v14, 0x80000000, v14
	v_lshl_add_u32 v8, v8, 23, v10
	v_or3_b32 v8, v14, v8, v13
	v_lshrrev_b32_e32 v14, 16, v8
.LBB794_950:                            ;   in Loop: Header=BB794_796 Depth=1
	s_or_b64 exec, exec, s[20:21]
.LBB794_951:                            ;   in Loop: Header=BB794_796 Depth=1
	s_or_b64 exec, exec, s[18:19]
.LBB794_952:                            ;   in Loop: Header=BB794_796 Depth=1
	s_or_b64 exec, exec, s[16:17]
	v_lshrrev_b32_e32 v8, 16, v6
	v_cmp_ne_u16_sdwa s[18:19], v8, v9 src0_sel:BYTE_0 src1_sel:DWORD
	s_and_saveexec_b64 s[16:17], s[18:19]
	s_cbranch_execz .LBB794_958
; %bb.953:                              ;   in Loop: Header=BB794_796 Depth=1
	v_cmp_ne_u16_sdwa s[20:21], v8, s22 src0_sel:BYTE_0 src1_sel:DWORD
	v_mov_b32_e32 v15, 0xffff8000
	s_and_saveexec_b64 s[18:19], s[20:21]
	s_cbranch_execz .LBB794_957
; %bb.954:                              ;   in Loop: Header=BB794_796 Depth=1
	v_bfe_u32 v13, v6, 16, 7
	v_cmp_ne_u32_e32 vcc, s24, v13
	v_mov_b32_e32 v15, 0x7f80
	s_and_saveexec_b64 s[20:21], vcc
	s_cbranch_execz .LBB794_956
; %bb.955:                              ;   in Loop: Header=BB794_796 Depth=1
	v_and_b32_e32 v15, 7, v8
	v_ffbh_u32_e32 v16, v15
	v_min_u32_e32 v19, 32, v16
	v_subrev_u32_e32 v16, 28, v19
	v_lshlrev_b64 v[16:17], v16, v[8:9]
	v_lshrrev_b32_e32 v18, 3, v13
	v_sub_u32_e32 v17, 29, v19
	v_and_b32_e32 v16, 7, v16
	v_cmp_gt_u32_e32 vcc, 8, v13
	v_cndmask_b32_e32 v13, v18, v17, vcc
	v_cndmask_b32_e32 v15, v15, v16, vcc
	v_lshlrev_b32_e32 v8, 24, v8
	v_lshlrev_b32_e32 v15, 20, v15
	v_and_b32_e32 v8, 0x80000000, v8
	v_lshl_add_u32 v13, v13, 23, v10
	v_or3_b32 v8, v8, v13, v15
	v_lshrrev_b32_e32 v15, 16, v8
.LBB794_956:                            ;   in Loop: Header=BB794_796 Depth=1
	s_or_b64 exec, exec, s[20:21]
.LBB794_957:                            ;   in Loop: Header=BB794_796 Depth=1
	s_or_b64 exec, exec, s[18:19]
.LBB794_958:                            ;   in Loop: Header=BB794_796 Depth=1
	s_or_b64 exec, exec, s[16:17]
	v_cmp_lt_u32_e32 vcc, s25, v6
	v_mov_b32_e32 v16, 0
	v_mov_b32_e32 v17, 0
	s_and_saveexec_b64 s[16:17], vcc
	s_cbranch_execz .LBB794_964
; %bb.959:                              ;   in Loop: Header=BB794_796 Depth=1
	v_lshrrev_b32_e32 v8, 24, v6
	v_cmp_ne_u32_e32 vcc, s22, v8
	v_mov_b32_e32 v17, 0xffff8000
	s_and_saveexec_b64 s[18:19], vcc
	s_cbranch_execz .LBB794_963
; %bb.960:                              ;   in Loop: Header=BB794_796 Depth=1
	v_bfe_u32 v6, v6, 24, 7
	v_cmp_ne_u32_e32 vcc, s24, v6
	v_mov_b32_e32 v17, 0x7f80
	s_and_saveexec_b64 s[20:21], vcc
	s_cbranch_execz .LBB794_962
; %bb.961:                              ;   in Loop: Header=BB794_796 Depth=1
	v_and_b32_e32 v13, 7, v8
	v_ffbh_u32_e32 v18, v13
	v_min_u32_e32 v20, 32, v18
	v_subrev_u32_e32 v18, 28, v20
	v_lshlrev_b64 v[18:19], v18, v[8:9]
	v_lshrrev_b32_e32 v17, 3, v6
	v_sub_u32_e32 v19, 29, v20
	v_and_b32_e32 v18, 7, v18
	v_cmp_gt_u32_e32 vcc, 8, v6
	v_cndmask_b32_e32 v6, v17, v19, vcc
	v_cndmask_b32_e32 v13, v13, v18, vcc
	v_lshlrev_b32_e32 v8, 24, v8
	v_lshlrev_b32_e32 v13, 20, v13
	v_and_b32_e32 v8, 0x80000000, v8
	v_lshl_add_u32 v6, v6, 23, v10
	v_or3_b32 v6, v8, v6, v13
	v_lshrrev_b32_e32 v17, 16, v6
.LBB794_962:                            ;   in Loop: Header=BB794_796 Depth=1
	s_or_b64 exec, exec, s[20:21]
.LBB794_963:                            ;   in Loop: Header=BB794_796 Depth=1
	s_or_b64 exec, exec, s[18:19]
.LBB794_964:                            ;   in Loop: Header=BB794_796 Depth=1
	s_or_b64 exec, exec, s[16:17]
	s_waitcnt vmcnt(0)
	v_cmp_ne_u16_sdwa s[18:19], v4, v9 src0_sel:BYTE_0 src1_sel:DWORD
	s_and_saveexec_b64 s[16:17], s[18:19]
	s_cbranch_execz .LBB794_970
; %bb.965:                              ;   in Loop: Header=BB794_796 Depth=1
	v_cmp_ne_u16_sdwa s[20:21], v4, s22 src0_sel:BYTE_0 src1_sel:DWORD
	v_mov_b32_e32 v16, 0xffff8000
	s_and_saveexec_b64 s[18:19], s[20:21]
	s_cbranch_execz .LBB794_969
; %bb.966:                              ;   in Loop: Header=BB794_796 Depth=1
	v_and_b32_e32 v6, 0x7f, v4
	v_cmp_ne_u32_e32 vcc, s24, v6
	v_mov_b32_e32 v16, 0x7f80
	s_and_saveexec_b64 s[20:21], vcc
	s_cbranch_execz .LBB794_968
; %bb.967:                              ;   in Loop: Header=BB794_796 Depth=1
	v_and_b32_e32 v8, 7, v4
	v_ffbh_u32_e32 v16, v8
	v_min_u32_e32 v16, 32, v16
	v_subrev_u32_e32 v18, 28, v16
	v_lshlrev_b64 v[18:19], v18, v[4:5]
	v_lshrrev_b32_e32 v13, 3, v6
	v_sub_u32_e32 v16, 29, v16
	v_and_b32_e32 v18, 7, v18
	v_cmp_gt_u32_e32 vcc, 8, v6
	v_cndmask_b32_e32 v6, v13, v16, vcc
	v_cndmask_b32_e32 v8, v8, v18, vcc
	v_lshlrev_b32_e32 v13, 24, v4
	v_lshlrev_b32_e32 v8, 20, v8
	v_and_b32_e32 v13, 0x80000000, v13
	v_lshl_add_u32 v6, v6, 23, v10
	v_or3_b32 v6, v13, v6, v8
	v_lshrrev_b32_e32 v16, 16, v6
.LBB794_968:                            ;   in Loop: Header=BB794_796 Depth=1
	s_or_b64 exec, exec, s[20:21]
.LBB794_969:                            ;   in Loop: Header=BB794_796 Depth=1
	s_or_b64 exec, exec, s[18:19]
.LBB794_970:                            ;   in Loop: Header=BB794_796 Depth=1
	s_or_b64 exec, exec, s[16:17]
	v_lshrrev_b16_e32 v6, 8, v4
	v_cmp_ne_u16_e32 vcc, 0, v6
	v_mov_b32_e32 v18, 0
	v_mov_b32_e32 v8, 0
	s_and_saveexec_b64 s[16:17], vcc
	s_cbranch_execz .LBB794_976
; %bb.971:                              ;   in Loop: Header=BB794_796 Depth=1
	v_cmp_ne_u16_e32 vcc, s22, v6
	v_mov_b32_e32 v8, 0xffff8000
	s_and_saveexec_b64 s[18:19], vcc
	s_cbranch_execz .LBB794_975
; %bb.972:                              ;   in Loop: Header=BB794_796 Depth=1
	v_and_b32_e32 v13, 0x7f, v6
	v_cmp_ne_u32_e32 vcc, s24, v13
	v_mov_b32_e32 v8, 0x7f80
	s_and_saveexec_b64 s[20:21], vcc
	s_cbranch_execz .LBB794_974
; %bb.973:                              ;   in Loop: Header=BB794_796 Depth=1
	v_and_b32_e32 v8, 7, v6
	v_ffbh_u32_e32 v20, v8
	v_min_u32_e32 v22, 32, v20
	v_subrev_u32_e32 v20, 28, v22
	v_lshlrev_b64 v[20:21], v20, v[6:7]
	v_lshrrev_b32_e32 v19, 3, v13
	v_sub_u32_e32 v6, 29, v22
	v_and_b32_e32 v20, 7, v20
	v_cmp_gt_u32_e32 vcc, 8, v13
	v_cndmask_b32_e32 v6, v19, v6, vcc
	v_cndmask_b32_e32 v8, v8, v20, vcc
	v_lshlrev_b32_e32 v13, 16, v4
	v_lshlrev_b32_e32 v8, 20, v8
	v_and_b32_e32 v13, 0x80000000, v13
	v_lshl_add_u32 v6, v6, 23, v10
	v_or3_b32 v6, v13, v6, v8
	v_lshrrev_b32_e32 v8, 16, v6
.LBB794_974:                            ;   in Loop: Header=BB794_796 Depth=1
	s_or_b64 exec, exec, s[20:21]
.LBB794_975:                            ;   in Loop: Header=BB794_796 Depth=1
	s_or_b64 exec, exec, s[18:19]
.LBB794_976:                            ;   in Loop: Header=BB794_796 Depth=1
	s_or_b64 exec, exec, s[16:17]
	v_lshrrev_b32_e32 v6, 16, v4
	v_cmp_ne_u16_sdwa s[18:19], v6, v9 src0_sel:BYTE_0 src1_sel:DWORD
	s_and_saveexec_b64 s[16:17], s[18:19]
	s_cbranch_execz .LBB794_982
; %bb.977:                              ;   in Loop: Header=BB794_796 Depth=1
	v_cmp_ne_u16_sdwa s[20:21], v6, s22 src0_sel:BYTE_0 src1_sel:DWORD
	v_mov_b32_e32 v18, 0xffff8000
	s_and_saveexec_b64 s[18:19], s[20:21]
	s_cbranch_execz .LBB794_981
; %bb.978:                              ;   in Loop: Header=BB794_796 Depth=1
	v_bfe_u32 v13, v4, 16, 7
	v_cmp_ne_u32_e32 vcc, s24, v13
	v_mov_b32_e32 v18, 0x7f80
	s_and_saveexec_b64 s[20:21], vcc
	s_cbranch_execz .LBB794_980
; %bb.979:                              ;   in Loop: Header=BB794_796 Depth=1
	v_and_b32_e32 v20, 7, v6
	v_ffbh_u32_e32 v18, v20
	v_min_u32_e32 v22, 32, v18
	v_subrev_u32_e32 v18, 28, v22
	v_lshlrev_b64 v[18:19], v18, v[6:7]
	v_lshrrev_b32_e32 v21, 3, v13
	v_sub_u32_e32 v19, 29, v22
	v_and_b32_e32 v18, 7, v18
	v_cmp_gt_u32_e32 vcc, 8, v13
	v_cndmask_b32_e32 v13, v21, v19, vcc
	v_cndmask_b32_e32 v18, v20, v18, vcc
	v_lshlrev_b32_e32 v6, 24, v6
	v_lshlrev_b32_e32 v18, 20, v18
	v_and_b32_e32 v6, 0x80000000, v6
	v_lshl_add_u32 v13, v13, 23, v10
	v_or3_b32 v6, v6, v13, v18
	v_lshrrev_b32_e32 v18, 16, v6
.LBB794_980:                            ;   in Loop: Header=BB794_796 Depth=1
	s_or_b64 exec, exec, s[20:21]
.LBB794_981:                            ;   in Loop: Header=BB794_796 Depth=1
	s_or_b64 exec, exec, s[18:19]
.LBB794_982:                            ;   in Loop: Header=BB794_796 Depth=1
	s_or_b64 exec, exec, s[16:17]
	v_cmp_lt_u32_e32 vcc, s25, v4
	v_mov_b32_e32 v13, 0
	v_mov_b32_e32 v19, 0
	s_and_saveexec_b64 s[16:17], vcc
	s_cbranch_execz .LBB794_988
; %bb.983:                              ;   in Loop: Header=BB794_796 Depth=1
	v_lshrrev_b32_e32 v6, 24, v4
	v_cmp_ne_u32_e32 vcc, s22, v6
	v_mov_b32_e32 v19, 0xffff8000
	s_and_saveexec_b64 s[18:19], vcc
	s_cbranch_execz .LBB794_987
; %bb.984:                              ;   in Loop: Header=BB794_796 Depth=1
	v_bfe_u32 v4, v4, 24, 7
	v_cmp_ne_u32_e32 vcc, s24, v4
	v_mov_b32_e32 v19, 0x7f80
	s_and_saveexec_b64 s[20:21], vcc
	s_cbranch_execz .LBB794_986
; %bb.985:                              ;   in Loop: Header=BB794_796 Depth=1
	v_and_b32_e32 v19, 7, v6
	v_ffbh_u32_e32 v20, v19
	v_min_u32_e32 v23, 32, v20
	v_subrev_u32_e32 v20, 28, v23
	v_lshlrev_b64 v[20:21], v20, v[6:7]
	v_lshrrev_b32_e32 v22, 3, v4
	v_sub_u32_e32 v21, 29, v23
	v_and_b32_e32 v20, 7, v20
	v_cmp_gt_u32_e32 vcc, 8, v4
	v_cndmask_b32_e32 v4, v22, v21, vcc
	v_cndmask_b32_e32 v19, v19, v20, vcc
	v_lshlrev_b32_e32 v6, 24, v6
	v_lshlrev_b32_e32 v19, 20, v19
	v_and_b32_e32 v6, 0x80000000, v6
	v_lshl_add_u32 v4, v4, 23, v10
	v_or3_b32 v4, v6, v4, v19
	v_lshrrev_b32_e32 v19, 16, v4
.LBB794_986:                            ;   in Loop: Header=BB794_796 Depth=1
	s_or_b64 exec, exec, s[20:21]
.LBB794_987:                            ;   in Loop: Header=BB794_796 Depth=1
	s_or_b64 exec, exec, s[18:19]
.LBB794_988:                            ;   in Loop: Header=BB794_796 Depth=1
	s_or_b64 exec, exec, s[16:17]
	buffer_load_dword v6, v11, s[0:3], 0 offen offset:32
	buffer_load_dword v4, v11, s[0:3], 0 offen offset:36
	v_perm_b32 v15, v17, v15, s26
	v_perm_b32 v14, v14, v12, s26
	;; [unrolled: 1-line block ×4, first 2 shown]
	v_mfma_f32_4x4x4bf16_1k a[0:3], v[2:3], v[14:15], a[0:3] cbsz:4 abid:6
	s_waitcnt vmcnt(1)
	v_cmp_ne_u16_sdwa s[18:19], v6, v9 src0_sel:BYTE_0 src1_sel:DWORD
	v_mfma_f32_4x4x4bf16_1k a[0:3], v[2:3], v[16:17], a[0:3] cbsz:4 abid:7
	s_and_saveexec_b64 s[16:17], s[18:19]
	s_cbranch_execz .LBB794_994
; %bb.989:                              ;   in Loop: Header=BB794_796 Depth=1
	v_cmp_ne_u16_sdwa s[20:21], v6, s22 src0_sel:BYTE_0 src1_sel:DWORD
	v_mov_b32_e32 v13, 0xffff8000
	s_and_saveexec_b64 s[18:19], s[20:21]
	s_cbranch_execz .LBB794_993
; %bb.990:                              ;   in Loop: Header=BB794_796 Depth=1
	v_and_b32_e32 v8, 0x7f, v6
	v_cmp_ne_u32_e32 vcc, s24, v8
	v_mov_b32_e32 v13, 0x7f80
	s_and_saveexec_b64 s[20:21], vcc
	s_cbranch_execz .LBB794_992
; %bb.991:                              ;   in Loop: Header=BB794_796 Depth=1
	v_and_b32_e32 v14, 7, v6
	v_ffbh_u32_e32 v12, v14
	v_min_u32_e32 v16, 32, v12
	v_subrev_u32_e32 v12, 28, v16
	v_lshlrev_b64 v[12:13], v12, v[6:7]
	v_lshrrev_b32_e32 v15, 3, v8
	v_sub_u32_e32 v13, 29, v16
	v_and_b32_e32 v12, 7, v12
	v_cmp_gt_u32_e32 vcc, 8, v8
	v_cndmask_b32_e32 v8, v15, v13, vcc
	v_cndmask_b32_e32 v12, v14, v12, vcc
	v_lshlrev_b32_e32 v13, 24, v6
	v_lshlrev_b32_e32 v12, 20, v12
	v_and_b32_e32 v13, 0x80000000, v13
	v_lshl_add_u32 v8, v8, 23, v10
	v_or3_b32 v8, v13, v8, v12
	v_lshrrev_b32_e32 v13, 16, v8
.LBB794_992:                            ;   in Loop: Header=BB794_796 Depth=1
	s_or_b64 exec, exec, s[20:21]
.LBB794_993:                            ;   in Loop: Header=BB794_796 Depth=1
	s_or_b64 exec, exec, s[18:19]
.LBB794_994:                            ;   in Loop: Header=BB794_796 Depth=1
	s_or_b64 exec, exec, s[16:17]
	v_lshrrev_b16_e32 v8, 8, v6
	v_cmp_ne_u16_e32 vcc, 0, v8
	v_mov_b32_e32 v15, 0
	v_mov_b32_e32 v12, 0
	s_and_saveexec_b64 s[16:17], vcc
	s_cbranch_execz .LBB794_1000
; %bb.995:                              ;   in Loop: Header=BB794_796 Depth=1
	v_cmp_ne_u16_e32 vcc, s22, v8
	v_mov_b32_e32 v12, 0xffff8000
	s_and_saveexec_b64 s[18:19], vcc
	s_cbranch_execz .LBB794_999
; %bb.996:                              ;   in Loop: Header=BB794_796 Depth=1
	v_and_b32_e32 v14, 0x7f, v8
	v_cmp_ne_u32_e32 vcc, s24, v14
	v_mov_b32_e32 v12, 0x7f80
	s_and_saveexec_b64 s[20:21], vcc
	s_cbranch_execz .LBB794_998
; %bb.997:                              ;   in Loop: Header=BB794_796 Depth=1
	v_and_b32_e32 v12, 7, v8
	v_ffbh_u32_e32 v16, v12
	v_min_u32_e32 v19, 32, v16
	v_subrev_u32_e32 v16, 28, v19
	v_lshlrev_b64 v[16:17], v16, v[8:9]
	v_lshrrev_b32_e32 v18, 3, v14
	v_sub_u32_e32 v8, 29, v19
	v_and_b32_e32 v16, 7, v16
	v_cmp_gt_u32_e32 vcc, 8, v14
	v_cndmask_b32_e32 v8, v18, v8, vcc
	v_cndmask_b32_e32 v12, v12, v16, vcc
	v_lshlrev_b32_e32 v14, 16, v6
	v_lshlrev_b32_e32 v12, 20, v12
	v_and_b32_e32 v14, 0x80000000, v14
	v_lshl_add_u32 v8, v8, 23, v10
	v_or3_b32 v8, v14, v8, v12
	v_lshrrev_b32_e32 v12, 16, v8
.LBB794_998:                            ;   in Loop: Header=BB794_796 Depth=1
	s_or_b64 exec, exec, s[20:21]
.LBB794_999:                            ;   in Loop: Header=BB794_796 Depth=1
	s_or_b64 exec, exec, s[18:19]
.LBB794_1000:                           ;   in Loop: Header=BB794_796 Depth=1
	s_or_b64 exec, exec, s[16:17]
	v_lshrrev_b32_e32 v8, 16, v6
	v_cmp_ne_u16_sdwa s[18:19], v8, v9 src0_sel:BYTE_0 src1_sel:DWORD
	s_and_saveexec_b64 s[16:17], s[18:19]
	s_cbranch_execz .LBB794_1006
; %bb.1001:                             ;   in Loop: Header=BB794_796 Depth=1
	v_cmp_ne_u16_sdwa s[20:21], v8, s22 src0_sel:BYTE_0 src1_sel:DWORD
	v_mov_b32_e32 v15, 0xffff8000
	s_and_saveexec_b64 s[18:19], s[20:21]
	s_cbranch_execz .LBB794_1005
; %bb.1002:                             ;   in Loop: Header=BB794_796 Depth=1
	v_bfe_u32 v14, v6, 16, 7
	v_cmp_ne_u32_e32 vcc, s24, v14
	v_mov_b32_e32 v15, 0x7f80
	s_and_saveexec_b64 s[20:21], vcc
	s_cbranch_execz .LBB794_1004
; %bb.1003:                             ;   in Loop: Header=BB794_796 Depth=1
	v_and_b32_e32 v15, 7, v8
	v_ffbh_u32_e32 v16, v15
	v_min_u32_e32 v19, 32, v16
	v_subrev_u32_e32 v16, 28, v19
	v_lshlrev_b64 v[16:17], v16, v[8:9]
	v_lshrrev_b32_e32 v18, 3, v14
	v_sub_u32_e32 v17, 29, v19
	v_and_b32_e32 v16, 7, v16
	v_cmp_gt_u32_e32 vcc, 8, v14
	v_cndmask_b32_e32 v14, v18, v17, vcc
	v_cndmask_b32_e32 v15, v15, v16, vcc
	v_lshlrev_b32_e32 v8, 24, v8
	v_lshlrev_b32_e32 v15, 20, v15
	v_and_b32_e32 v8, 0x80000000, v8
	v_lshl_add_u32 v14, v14, 23, v10
	v_or3_b32 v8, v8, v14, v15
	v_lshrrev_b32_e32 v15, 16, v8
.LBB794_1004:                           ;   in Loop: Header=BB794_796 Depth=1
	s_or_b64 exec, exec, s[20:21]
.LBB794_1005:                           ;   in Loop: Header=BB794_796 Depth=1
	s_or_b64 exec, exec, s[18:19]
.LBB794_1006:                           ;   in Loop: Header=BB794_796 Depth=1
	s_or_b64 exec, exec, s[16:17]
	v_cmp_lt_u32_e32 vcc, s25, v6
	v_mov_b32_e32 v16, 0
	v_mov_b32_e32 v17, 0
	s_and_saveexec_b64 s[16:17], vcc
	s_cbranch_execz .LBB794_1012
; %bb.1007:                             ;   in Loop: Header=BB794_796 Depth=1
	v_lshrrev_b32_e32 v8, 24, v6
	v_cmp_ne_u32_e32 vcc, s22, v8
	v_mov_b32_e32 v17, 0xffff8000
	s_and_saveexec_b64 s[18:19], vcc
	s_cbranch_execz .LBB794_1011
; %bb.1008:                             ;   in Loop: Header=BB794_796 Depth=1
	v_bfe_u32 v6, v6, 24, 7
	v_cmp_ne_u32_e32 vcc, s24, v6
	v_mov_b32_e32 v17, 0x7f80
	s_and_saveexec_b64 s[20:21], vcc
	s_cbranch_execz .LBB794_1010
; %bb.1009:                             ;   in Loop: Header=BB794_796 Depth=1
	v_and_b32_e32 v14, 7, v8
	v_ffbh_u32_e32 v18, v14
	v_min_u32_e32 v20, 32, v18
	v_subrev_u32_e32 v18, 28, v20
	v_lshlrev_b64 v[18:19], v18, v[8:9]
	v_lshrrev_b32_e32 v17, 3, v6
	v_sub_u32_e32 v19, 29, v20
	v_and_b32_e32 v18, 7, v18
	v_cmp_gt_u32_e32 vcc, 8, v6
	v_cndmask_b32_e32 v6, v17, v19, vcc
	v_cndmask_b32_e32 v14, v14, v18, vcc
	v_lshlrev_b32_e32 v8, 24, v8
	v_lshlrev_b32_e32 v14, 20, v14
	v_and_b32_e32 v8, 0x80000000, v8
	v_lshl_add_u32 v6, v6, 23, v10
	v_or3_b32 v6, v8, v6, v14
	v_lshrrev_b32_e32 v17, 16, v6
.LBB794_1010:                           ;   in Loop: Header=BB794_796 Depth=1
	s_or_b64 exec, exec, s[20:21]
.LBB794_1011:                           ;   in Loop: Header=BB794_796 Depth=1
	s_or_b64 exec, exec, s[18:19]
.LBB794_1012:                           ;   in Loop: Header=BB794_796 Depth=1
	s_or_b64 exec, exec, s[16:17]
	s_waitcnt vmcnt(0)
	v_cmp_ne_u16_sdwa s[18:19], v4, v9 src0_sel:BYTE_0 src1_sel:DWORD
	s_and_saveexec_b64 s[16:17], s[18:19]
	s_cbranch_execz .LBB794_1018
; %bb.1013:                             ;   in Loop: Header=BB794_796 Depth=1
	v_cmp_ne_u16_sdwa s[20:21], v4, s22 src0_sel:BYTE_0 src1_sel:DWORD
	v_mov_b32_e32 v16, 0xffff8000
	s_and_saveexec_b64 s[18:19], s[20:21]
	s_cbranch_execz .LBB794_1017
; %bb.1014:                             ;   in Loop: Header=BB794_796 Depth=1
	v_and_b32_e32 v6, 0x7f, v4
	v_cmp_ne_u32_e32 vcc, s24, v6
	v_mov_b32_e32 v16, 0x7f80
	s_and_saveexec_b64 s[20:21], vcc
	s_cbranch_execz .LBB794_1016
; %bb.1015:                             ;   in Loop: Header=BB794_796 Depth=1
	v_and_b32_e32 v8, 7, v4
	v_ffbh_u32_e32 v16, v8
	v_min_u32_e32 v16, 32, v16
	v_subrev_u32_e32 v18, 28, v16
	v_lshlrev_b64 v[18:19], v18, v[4:5]
	v_lshrrev_b32_e32 v14, 3, v6
	v_sub_u32_e32 v16, 29, v16
	v_and_b32_e32 v18, 7, v18
	v_cmp_gt_u32_e32 vcc, 8, v6
	v_cndmask_b32_e32 v6, v14, v16, vcc
	v_cndmask_b32_e32 v8, v8, v18, vcc
	v_lshlrev_b32_e32 v14, 24, v4
	v_lshlrev_b32_e32 v8, 20, v8
	v_and_b32_e32 v14, 0x80000000, v14
	v_lshl_add_u32 v6, v6, 23, v10
	v_or3_b32 v6, v14, v6, v8
	v_lshrrev_b32_e32 v16, 16, v6
.LBB794_1016:                           ;   in Loop: Header=BB794_796 Depth=1
	s_or_b64 exec, exec, s[20:21]
.LBB794_1017:                           ;   in Loop: Header=BB794_796 Depth=1
	s_or_b64 exec, exec, s[18:19]
.LBB794_1018:                           ;   in Loop: Header=BB794_796 Depth=1
	s_or_b64 exec, exec, s[16:17]
	v_lshrrev_b16_e32 v6, 8, v4
	v_cmp_ne_u16_e32 vcc, 0, v6
	v_mov_b32_e32 v18, 0
	v_mov_b32_e32 v8, 0
	s_and_saveexec_b64 s[16:17], vcc
	s_cbranch_execz .LBB794_1024
; %bb.1019:                             ;   in Loop: Header=BB794_796 Depth=1
	v_cmp_ne_u16_e32 vcc, s22, v6
	v_mov_b32_e32 v8, 0xffff8000
	s_and_saveexec_b64 s[18:19], vcc
	s_cbranch_execz .LBB794_1023
; %bb.1020:                             ;   in Loop: Header=BB794_796 Depth=1
	v_and_b32_e32 v14, 0x7f, v6
	v_cmp_ne_u32_e32 vcc, s24, v14
	v_mov_b32_e32 v8, 0x7f80
	s_and_saveexec_b64 s[20:21], vcc
	s_cbranch_execz .LBB794_1022
; %bb.1021:                             ;   in Loop: Header=BB794_796 Depth=1
	v_and_b32_e32 v8, 7, v6
	v_ffbh_u32_e32 v20, v8
	v_min_u32_e32 v22, 32, v20
	v_subrev_u32_e32 v20, 28, v22
	v_lshlrev_b64 v[20:21], v20, v[6:7]
	v_lshrrev_b32_e32 v19, 3, v14
	v_sub_u32_e32 v6, 29, v22
	v_and_b32_e32 v20, 7, v20
	v_cmp_gt_u32_e32 vcc, 8, v14
	v_cndmask_b32_e32 v6, v19, v6, vcc
	v_cndmask_b32_e32 v8, v8, v20, vcc
	v_lshlrev_b32_e32 v14, 16, v4
	v_lshlrev_b32_e32 v8, 20, v8
	v_and_b32_e32 v14, 0x80000000, v14
	v_lshl_add_u32 v6, v6, 23, v10
	v_or3_b32 v6, v14, v6, v8
	v_lshrrev_b32_e32 v8, 16, v6
.LBB794_1022:                           ;   in Loop: Header=BB794_796 Depth=1
	s_or_b64 exec, exec, s[20:21]
.LBB794_1023:                           ;   in Loop: Header=BB794_796 Depth=1
	s_or_b64 exec, exec, s[18:19]
.LBB794_1024:                           ;   in Loop: Header=BB794_796 Depth=1
	s_or_b64 exec, exec, s[16:17]
	v_lshrrev_b32_e32 v6, 16, v4
	v_cmp_ne_u16_sdwa s[18:19], v6, v9 src0_sel:BYTE_0 src1_sel:DWORD
	s_and_saveexec_b64 s[16:17], s[18:19]
	s_cbranch_execz .LBB794_1030
; %bb.1025:                             ;   in Loop: Header=BB794_796 Depth=1
	v_cmp_ne_u16_sdwa s[20:21], v6, s22 src0_sel:BYTE_0 src1_sel:DWORD
	v_mov_b32_e32 v18, 0xffff8000
	s_and_saveexec_b64 s[18:19], s[20:21]
	s_cbranch_execz .LBB794_1029
; %bb.1026:                             ;   in Loop: Header=BB794_796 Depth=1
	v_bfe_u32 v14, v4, 16, 7
	v_cmp_ne_u32_e32 vcc, s24, v14
	v_mov_b32_e32 v18, 0x7f80
	s_and_saveexec_b64 s[20:21], vcc
	s_cbranch_execz .LBB794_1028
; %bb.1027:                             ;   in Loop: Header=BB794_796 Depth=1
	v_and_b32_e32 v20, 7, v6
	v_ffbh_u32_e32 v18, v20
	v_min_u32_e32 v22, 32, v18
	v_subrev_u32_e32 v18, 28, v22
	v_lshlrev_b64 v[18:19], v18, v[6:7]
	v_lshrrev_b32_e32 v21, 3, v14
	v_sub_u32_e32 v19, 29, v22
	v_and_b32_e32 v18, 7, v18
	v_cmp_gt_u32_e32 vcc, 8, v14
	v_cndmask_b32_e32 v14, v21, v19, vcc
	v_cndmask_b32_e32 v18, v20, v18, vcc
	v_lshlrev_b32_e32 v6, 24, v6
	v_lshlrev_b32_e32 v18, 20, v18
	v_and_b32_e32 v6, 0x80000000, v6
	v_lshl_add_u32 v14, v14, 23, v10
	v_or3_b32 v6, v6, v14, v18
	v_lshrrev_b32_e32 v18, 16, v6
.LBB794_1028:                           ;   in Loop: Header=BB794_796 Depth=1
	s_or_b64 exec, exec, s[20:21]
.LBB794_1029:                           ;   in Loop: Header=BB794_796 Depth=1
	s_or_b64 exec, exec, s[18:19]
.LBB794_1030:                           ;   in Loop: Header=BB794_796 Depth=1
	s_or_b64 exec, exec, s[16:17]
	v_cmp_lt_u32_e32 vcc, s25, v4
	v_mov_b32_e32 v14, 0
	v_mov_b32_e32 v19, 0
	s_and_saveexec_b64 s[16:17], vcc
	s_cbranch_execz .LBB794_1036
; %bb.1031:                             ;   in Loop: Header=BB794_796 Depth=1
	v_lshrrev_b32_e32 v6, 24, v4
	v_cmp_ne_u32_e32 vcc, s22, v6
	v_mov_b32_e32 v19, 0xffff8000
	s_and_saveexec_b64 s[18:19], vcc
	s_cbranch_execz .LBB794_1035
; %bb.1032:                             ;   in Loop: Header=BB794_796 Depth=1
	v_bfe_u32 v4, v4, 24, 7
	v_cmp_ne_u32_e32 vcc, s24, v4
	v_mov_b32_e32 v19, 0x7f80
	s_and_saveexec_b64 s[20:21], vcc
	s_cbranch_execz .LBB794_1034
; %bb.1033:                             ;   in Loop: Header=BB794_796 Depth=1
	v_and_b32_e32 v19, 7, v6
	v_ffbh_u32_e32 v20, v19
	v_min_u32_e32 v23, 32, v20
	v_subrev_u32_e32 v20, 28, v23
	v_lshlrev_b64 v[20:21], v20, v[6:7]
	v_lshrrev_b32_e32 v22, 3, v4
	v_sub_u32_e32 v21, 29, v23
	v_and_b32_e32 v20, 7, v20
	v_cmp_gt_u32_e32 vcc, 8, v4
	v_cndmask_b32_e32 v4, v22, v21, vcc
	v_cndmask_b32_e32 v19, v19, v20, vcc
	v_lshlrev_b32_e32 v6, 24, v6
	v_lshlrev_b32_e32 v19, 20, v19
	v_and_b32_e32 v6, 0x80000000, v6
	v_lshl_add_u32 v4, v4, 23, v10
	v_or3_b32 v4, v6, v4, v19
	v_lshrrev_b32_e32 v19, 16, v4
.LBB794_1034:                           ;   in Loop: Header=BB794_796 Depth=1
	s_or_b64 exec, exec, s[20:21]
.LBB794_1035:                           ;   in Loop: Header=BB794_796 Depth=1
	s_or_b64 exec, exec, s[18:19]
.LBB794_1036:                           ;   in Loop: Header=BB794_796 Depth=1
	s_or_b64 exec, exec, s[16:17]
	buffer_load_dword v6, v11, s[0:3], 0 offen offset:40
	buffer_load_dword v4, v11, s[0:3], 0 offen offset:44
	v_perm_b32 v21, v17, v15, s26
	v_perm_b32 v20, v12, v13, s26
	;; [unrolled: 1-line block ×4, first 2 shown]
	v_mfma_f32_4x4x4bf16_1k a[0:3], v[2:3], v[20:21], a[0:3] cbsz:4 abid:8
	s_waitcnt vmcnt(1)
	v_cmp_ne_u16_sdwa s[18:19], v6, v9 src0_sel:BYTE_0 src1_sel:DWORD
	v_mfma_f32_4x4x4bf16_1k a[0:3], v[2:3], v[12:13], a[0:3] cbsz:4 abid:9
	s_and_saveexec_b64 s[16:17], s[18:19]
	s_cbranch_execz .LBB794_1042
; %bb.1037:                             ;   in Loop: Header=BB794_796 Depth=1
	v_cmp_ne_u16_sdwa s[20:21], v6, s22 src0_sel:BYTE_0 src1_sel:DWORD
	v_mov_b32_e32 v14, 0xffff8000
	s_and_saveexec_b64 s[18:19], s[20:21]
	s_cbranch_execz .LBB794_1041
; %bb.1038:                             ;   in Loop: Header=BB794_796 Depth=1
	v_and_b32_e32 v8, 0x7f, v6
	v_cmp_ne_u32_e32 vcc, s24, v8
	v_mov_b32_e32 v14, 0x7f80
	s_and_saveexec_b64 s[20:21], vcc
	s_cbranch_execz .LBB794_1040
; %bb.1039:                             ;   in Loop: Header=BB794_796 Depth=1
	v_and_b32_e32 v14, 7, v6
	v_ffbh_u32_e32 v12, v14
	v_min_u32_e32 v16, 32, v12
	v_subrev_u32_e32 v12, 28, v16
	v_lshlrev_b64 v[12:13], v12, v[6:7]
	v_lshrrev_b32_e32 v15, 3, v8
	v_sub_u32_e32 v13, 29, v16
	v_and_b32_e32 v12, 7, v12
	v_cmp_gt_u32_e32 vcc, 8, v8
	v_cndmask_b32_e32 v8, v15, v13, vcc
	v_cndmask_b32_e32 v12, v14, v12, vcc
	v_lshlrev_b32_e32 v13, 24, v6
	v_lshlrev_b32_e32 v12, 20, v12
	v_and_b32_e32 v13, 0x80000000, v13
	v_lshl_add_u32 v8, v8, 23, v10
	v_or3_b32 v8, v13, v8, v12
	v_lshrrev_b32_e32 v14, 16, v8
.LBB794_1040:                           ;   in Loop: Header=BB794_796 Depth=1
	s_or_b64 exec, exec, s[20:21]
.LBB794_1041:                           ;   in Loop: Header=BB794_796 Depth=1
	s_or_b64 exec, exec, s[18:19]
.LBB794_1042:                           ;   in Loop: Header=BB794_796 Depth=1
	s_or_b64 exec, exec, s[16:17]
	v_lshrrev_b16_e32 v8, 8, v6
	v_cmp_ne_u16_e32 vcc, 0, v8
	v_mov_b32_e32 v15, 0
	v_mov_b32_e32 v13, 0
	s_and_saveexec_b64 s[16:17], vcc
	s_cbranch_execz .LBB794_1048
; %bb.1043:                             ;   in Loop: Header=BB794_796 Depth=1
	v_cmp_ne_u16_e32 vcc, s22, v8
	v_mov_b32_e32 v13, 0xffff8000
	s_and_saveexec_b64 s[18:19], vcc
	s_cbranch_execz .LBB794_1047
; %bb.1044:                             ;   in Loop: Header=BB794_796 Depth=1
	v_and_b32_e32 v12, 0x7f, v8
	v_cmp_ne_u32_e32 vcc, s24, v12
	v_mov_b32_e32 v13, 0x7f80
	s_and_saveexec_b64 s[20:21], vcc
	s_cbranch_execz .LBB794_1046
; %bb.1045:                             ;   in Loop: Header=BB794_796 Depth=1
	v_and_b32_e32 v13, 7, v8
	v_ffbh_u32_e32 v16, v13
	v_min_u32_e32 v19, 32, v16
	v_subrev_u32_e32 v16, 28, v19
	v_lshlrev_b64 v[16:17], v16, v[8:9]
	v_lshrrev_b32_e32 v18, 3, v12
	v_sub_u32_e32 v8, 29, v19
	v_and_b32_e32 v16, 7, v16
	v_cmp_gt_u32_e32 vcc, 8, v12
	v_cndmask_b32_e32 v8, v18, v8, vcc
	v_cndmask_b32_e32 v12, v13, v16, vcc
	v_lshlrev_b32_e32 v13, 16, v6
	v_lshlrev_b32_e32 v12, 20, v12
	v_and_b32_e32 v13, 0x80000000, v13
	v_lshl_add_u32 v8, v8, 23, v10
	v_or3_b32 v8, v13, v8, v12
	v_lshrrev_b32_e32 v13, 16, v8
.LBB794_1046:                           ;   in Loop: Header=BB794_796 Depth=1
	s_or_b64 exec, exec, s[20:21]
.LBB794_1047:                           ;   in Loop: Header=BB794_796 Depth=1
	s_or_b64 exec, exec, s[18:19]
.LBB794_1048:                           ;   in Loop: Header=BB794_796 Depth=1
	s_or_b64 exec, exec, s[16:17]
	v_lshrrev_b32_e32 v8, 16, v6
	v_cmp_ne_u16_sdwa s[18:19], v8, v9 src0_sel:BYTE_0 src1_sel:DWORD
	s_and_saveexec_b64 s[16:17], s[18:19]
	s_cbranch_execz .LBB794_1054
; %bb.1049:                             ;   in Loop: Header=BB794_796 Depth=1
	v_cmp_ne_u16_sdwa s[20:21], v8, s22 src0_sel:BYTE_0 src1_sel:DWORD
	v_mov_b32_e32 v15, 0xffff8000
	s_and_saveexec_b64 s[18:19], s[20:21]
	s_cbranch_execz .LBB794_1053
; %bb.1050:                             ;   in Loop: Header=BB794_796 Depth=1
	v_bfe_u32 v12, v6, 16, 7
	v_cmp_ne_u32_e32 vcc, s24, v12
	v_mov_b32_e32 v15, 0x7f80
	s_and_saveexec_b64 s[20:21], vcc
	s_cbranch_execz .LBB794_1052
; %bb.1051:                             ;   in Loop: Header=BB794_796 Depth=1
	v_and_b32_e32 v15, 7, v8
	v_ffbh_u32_e32 v16, v15
	v_min_u32_e32 v19, 32, v16
	v_subrev_u32_e32 v16, 28, v19
	v_lshlrev_b64 v[16:17], v16, v[8:9]
	v_lshrrev_b32_e32 v18, 3, v12
	v_sub_u32_e32 v17, 29, v19
	v_and_b32_e32 v16, 7, v16
	v_cmp_gt_u32_e32 vcc, 8, v12
	v_cndmask_b32_e32 v12, v18, v17, vcc
	v_cndmask_b32_e32 v15, v15, v16, vcc
	v_lshlrev_b32_e32 v8, 24, v8
	v_lshlrev_b32_e32 v15, 20, v15
	v_and_b32_e32 v8, 0x80000000, v8
	v_lshl_add_u32 v12, v12, 23, v10
	v_or3_b32 v8, v8, v12, v15
	v_lshrrev_b32_e32 v15, 16, v8
.LBB794_1052:                           ;   in Loop: Header=BB794_796 Depth=1
	s_or_b64 exec, exec, s[20:21]
.LBB794_1053:                           ;   in Loop: Header=BB794_796 Depth=1
	s_or_b64 exec, exec, s[18:19]
.LBB794_1054:                           ;   in Loop: Header=BB794_796 Depth=1
	s_or_b64 exec, exec, s[16:17]
	v_cmp_lt_u32_e32 vcc, s25, v6
	v_mov_b32_e32 v16, 0
	v_mov_b32_e32 v17, 0
	s_and_saveexec_b64 s[16:17], vcc
	s_cbranch_execz .LBB794_1060
; %bb.1055:                             ;   in Loop: Header=BB794_796 Depth=1
	v_lshrrev_b32_e32 v8, 24, v6
	v_cmp_ne_u32_e32 vcc, s22, v8
	v_mov_b32_e32 v17, 0xffff8000
	s_and_saveexec_b64 s[18:19], vcc
	s_cbranch_execz .LBB794_1059
; %bb.1056:                             ;   in Loop: Header=BB794_796 Depth=1
	v_bfe_u32 v6, v6, 24, 7
	v_cmp_ne_u32_e32 vcc, s24, v6
	v_mov_b32_e32 v17, 0x7f80
	s_and_saveexec_b64 s[20:21], vcc
	s_cbranch_execz .LBB794_1058
; %bb.1057:                             ;   in Loop: Header=BB794_796 Depth=1
	v_and_b32_e32 v12, 7, v8
	v_ffbh_u32_e32 v18, v12
	v_min_u32_e32 v20, 32, v18
	v_subrev_u32_e32 v18, 28, v20
	v_lshlrev_b64 v[18:19], v18, v[8:9]
	v_lshrrev_b32_e32 v17, 3, v6
	v_sub_u32_e32 v19, 29, v20
	v_and_b32_e32 v18, 7, v18
	v_cmp_gt_u32_e32 vcc, 8, v6
	v_cndmask_b32_e32 v6, v17, v19, vcc
	v_cndmask_b32_e32 v12, v12, v18, vcc
	v_lshlrev_b32_e32 v8, 24, v8
	v_lshlrev_b32_e32 v12, 20, v12
	v_and_b32_e32 v8, 0x80000000, v8
	v_lshl_add_u32 v6, v6, 23, v10
	v_or3_b32 v6, v8, v6, v12
	v_lshrrev_b32_e32 v17, 16, v6
.LBB794_1058:                           ;   in Loop: Header=BB794_796 Depth=1
	s_or_b64 exec, exec, s[20:21]
.LBB794_1059:                           ;   in Loop: Header=BB794_796 Depth=1
	s_or_b64 exec, exec, s[18:19]
.LBB794_1060:                           ;   in Loop: Header=BB794_796 Depth=1
	s_or_b64 exec, exec, s[16:17]
	s_waitcnt vmcnt(0)
	v_cmp_ne_u16_sdwa s[18:19], v4, v9 src0_sel:BYTE_0 src1_sel:DWORD
	s_and_saveexec_b64 s[16:17], s[18:19]
	s_cbranch_execz .LBB794_1066
; %bb.1061:                             ;   in Loop: Header=BB794_796 Depth=1
	v_cmp_ne_u16_sdwa s[20:21], v4, s22 src0_sel:BYTE_0 src1_sel:DWORD
	v_mov_b32_e32 v16, 0xffff8000
	s_and_saveexec_b64 s[18:19], s[20:21]
	s_cbranch_execz .LBB794_1065
; %bb.1062:                             ;   in Loop: Header=BB794_796 Depth=1
	v_and_b32_e32 v6, 0x7f, v4
	v_cmp_ne_u32_e32 vcc, s24, v6
	v_mov_b32_e32 v16, 0x7f80
	s_and_saveexec_b64 s[20:21], vcc
	s_cbranch_execz .LBB794_1064
; %bb.1063:                             ;   in Loop: Header=BB794_796 Depth=1
	v_and_b32_e32 v8, 7, v4
	v_ffbh_u32_e32 v16, v8
	v_min_u32_e32 v16, 32, v16
	v_subrev_u32_e32 v18, 28, v16
	v_lshlrev_b64 v[18:19], v18, v[4:5]
	v_lshrrev_b32_e32 v12, 3, v6
	v_sub_u32_e32 v16, 29, v16
	v_and_b32_e32 v18, 7, v18
	v_cmp_gt_u32_e32 vcc, 8, v6
	v_cndmask_b32_e32 v6, v12, v16, vcc
	v_cndmask_b32_e32 v8, v8, v18, vcc
	v_lshlrev_b32_e32 v12, 24, v4
	v_lshlrev_b32_e32 v8, 20, v8
	v_and_b32_e32 v12, 0x80000000, v12
	v_lshl_add_u32 v6, v6, 23, v10
	v_or3_b32 v6, v12, v6, v8
	v_lshrrev_b32_e32 v16, 16, v6
.LBB794_1064:                           ;   in Loop: Header=BB794_796 Depth=1
	s_or_b64 exec, exec, s[20:21]
.LBB794_1065:                           ;   in Loop: Header=BB794_796 Depth=1
	s_or_b64 exec, exec, s[18:19]
.LBB794_1066:                           ;   in Loop: Header=BB794_796 Depth=1
	s_or_b64 exec, exec, s[16:17]
	v_lshrrev_b16_e32 v6, 8, v4
	v_cmp_ne_u16_e32 vcc, 0, v6
	v_mov_b32_e32 v18, 0
	v_mov_b32_e32 v8, 0
	s_and_saveexec_b64 s[16:17], vcc
	s_cbranch_execz .LBB794_1072
; %bb.1067:                             ;   in Loop: Header=BB794_796 Depth=1
	v_cmp_ne_u16_e32 vcc, s22, v6
	v_mov_b32_e32 v8, 0xffff8000
	s_and_saveexec_b64 s[18:19], vcc
	s_cbranch_execz .LBB794_1071
; %bb.1068:                             ;   in Loop: Header=BB794_796 Depth=1
	v_and_b32_e32 v12, 0x7f, v6
	v_cmp_ne_u32_e32 vcc, s24, v12
	v_mov_b32_e32 v8, 0x7f80
	s_and_saveexec_b64 s[20:21], vcc
	s_cbranch_execz .LBB794_1070
; %bb.1069:                             ;   in Loop: Header=BB794_796 Depth=1
	v_and_b32_e32 v8, 7, v6
	v_ffbh_u32_e32 v20, v8
	v_min_u32_e32 v22, 32, v20
	v_subrev_u32_e32 v20, 28, v22
	v_lshlrev_b64 v[20:21], v20, v[6:7]
	v_lshrrev_b32_e32 v19, 3, v12
	v_sub_u32_e32 v6, 29, v22
	v_and_b32_e32 v20, 7, v20
	v_cmp_gt_u32_e32 vcc, 8, v12
	v_cndmask_b32_e32 v6, v19, v6, vcc
	v_cndmask_b32_e32 v8, v8, v20, vcc
	v_lshlrev_b32_e32 v12, 16, v4
	v_lshlrev_b32_e32 v8, 20, v8
	v_and_b32_e32 v12, 0x80000000, v12
	v_lshl_add_u32 v6, v6, 23, v10
	v_or3_b32 v6, v12, v6, v8
	v_lshrrev_b32_e32 v8, 16, v6
.LBB794_1070:                           ;   in Loop: Header=BB794_796 Depth=1
	s_or_b64 exec, exec, s[20:21]
.LBB794_1071:                           ;   in Loop: Header=BB794_796 Depth=1
	s_or_b64 exec, exec, s[18:19]
.LBB794_1072:                           ;   in Loop: Header=BB794_796 Depth=1
	s_or_b64 exec, exec, s[16:17]
	v_lshrrev_b32_e32 v6, 16, v4
	v_cmp_ne_u16_sdwa s[18:19], v6, v9 src0_sel:BYTE_0 src1_sel:DWORD
	s_and_saveexec_b64 s[16:17], s[18:19]
	s_cbranch_execz .LBB794_1078
; %bb.1073:                             ;   in Loop: Header=BB794_796 Depth=1
	v_cmp_ne_u16_sdwa s[20:21], v6, s22 src0_sel:BYTE_0 src1_sel:DWORD
	v_mov_b32_e32 v18, 0xffff8000
	s_and_saveexec_b64 s[18:19], s[20:21]
	s_cbranch_execz .LBB794_1077
; %bb.1074:                             ;   in Loop: Header=BB794_796 Depth=1
	v_bfe_u32 v12, v4, 16, 7
	v_cmp_ne_u32_e32 vcc, s24, v12
	v_mov_b32_e32 v18, 0x7f80
	s_and_saveexec_b64 s[20:21], vcc
	s_cbranch_execz .LBB794_1076
; %bb.1075:                             ;   in Loop: Header=BB794_796 Depth=1
	v_and_b32_e32 v20, 7, v6
	v_ffbh_u32_e32 v18, v20
	v_min_u32_e32 v22, 32, v18
	v_subrev_u32_e32 v18, 28, v22
	v_lshlrev_b64 v[18:19], v18, v[6:7]
	v_lshrrev_b32_e32 v21, 3, v12
	v_sub_u32_e32 v19, 29, v22
	v_and_b32_e32 v18, 7, v18
	v_cmp_gt_u32_e32 vcc, 8, v12
	v_cndmask_b32_e32 v12, v21, v19, vcc
	v_cndmask_b32_e32 v18, v20, v18, vcc
	v_lshlrev_b32_e32 v6, 24, v6
	v_lshlrev_b32_e32 v18, 20, v18
	v_and_b32_e32 v6, 0x80000000, v6
	v_lshl_add_u32 v12, v12, 23, v10
	v_or3_b32 v6, v6, v12, v18
	v_lshrrev_b32_e32 v18, 16, v6
.LBB794_1076:                           ;   in Loop: Header=BB794_796 Depth=1
	s_or_b64 exec, exec, s[20:21]
.LBB794_1077:                           ;   in Loop: Header=BB794_796 Depth=1
	s_or_b64 exec, exec, s[18:19]
.LBB794_1078:                           ;   in Loop: Header=BB794_796 Depth=1
	s_or_b64 exec, exec, s[16:17]
	v_cmp_lt_u32_e32 vcc, s25, v4
	v_mov_b32_e32 v12, 0
	v_mov_b32_e32 v19, 0
	s_and_saveexec_b64 s[16:17], vcc
	s_cbranch_execz .LBB794_1084
; %bb.1079:                             ;   in Loop: Header=BB794_796 Depth=1
	v_lshrrev_b32_e32 v6, 24, v4
	v_cmp_ne_u32_e32 vcc, s22, v6
	v_mov_b32_e32 v19, 0xffff8000
	s_and_saveexec_b64 s[18:19], vcc
	s_cbranch_execz .LBB794_1083
; %bb.1080:                             ;   in Loop: Header=BB794_796 Depth=1
	v_bfe_u32 v4, v4, 24, 7
	v_cmp_ne_u32_e32 vcc, s24, v4
	v_mov_b32_e32 v19, 0x7f80
	s_and_saveexec_b64 s[20:21], vcc
	s_cbranch_execz .LBB794_1082
; %bb.1081:                             ;   in Loop: Header=BB794_796 Depth=1
	v_and_b32_e32 v19, 7, v6
	v_ffbh_u32_e32 v20, v19
	v_min_u32_e32 v23, 32, v20
	v_subrev_u32_e32 v20, 28, v23
	v_lshlrev_b64 v[20:21], v20, v[6:7]
	v_lshrrev_b32_e32 v22, 3, v4
	v_sub_u32_e32 v21, 29, v23
	v_and_b32_e32 v20, 7, v20
	v_cmp_gt_u32_e32 vcc, 8, v4
	v_cndmask_b32_e32 v4, v22, v21, vcc
	v_cndmask_b32_e32 v19, v19, v20, vcc
	v_lshlrev_b32_e32 v6, 24, v6
	v_lshlrev_b32_e32 v19, 20, v19
	v_and_b32_e32 v6, 0x80000000, v6
	v_lshl_add_u32 v4, v4, 23, v10
	v_or3_b32 v4, v6, v4, v19
	v_lshrrev_b32_e32 v19, 16, v4
.LBB794_1082:                           ;   in Loop: Header=BB794_796 Depth=1
	s_or_b64 exec, exec, s[20:21]
.LBB794_1083:                           ;   in Loop: Header=BB794_796 Depth=1
	s_or_b64 exec, exec, s[18:19]
.LBB794_1084:                           ;   in Loop: Header=BB794_796 Depth=1
	s_or_b64 exec, exec, s[16:17]
	buffer_load_dword v6, v11, s[0:3], 0 offen offset:48
	buffer_load_dword v4, v11, s[0:3], 0 offen offset:52
	v_perm_b32 v15, v17, v15, s26
	v_perm_b32 v14, v13, v14, s26
	;; [unrolled: 1-line block ×4, first 2 shown]
	v_mfma_f32_4x4x4bf16_1k a[0:3], v[2:3], v[14:15], a[0:3] cbsz:4 abid:10
	s_waitcnt vmcnt(1)
	v_cmp_ne_u16_sdwa s[18:19], v6, v9 src0_sel:BYTE_0 src1_sel:DWORD
	v_mfma_f32_4x4x4bf16_1k a[0:3], v[2:3], v[16:17], a[0:3] cbsz:4 abid:11
	s_and_saveexec_b64 s[16:17], s[18:19]
	s_cbranch_execz .LBB794_1090
; %bb.1085:                             ;   in Loop: Header=BB794_796 Depth=1
	v_cmp_ne_u16_sdwa s[20:21], v6, s22 src0_sel:BYTE_0 src1_sel:DWORD
	v_mov_b32_e32 v12, 0xffff8000
	s_and_saveexec_b64 s[18:19], s[20:21]
	s_cbranch_execz .LBB794_1089
; %bb.1086:                             ;   in Loop: Header=BB794_796 Depth=1
	v_and_b32_e32 v8, 0x7f, v6
	v_cmp_ne_u32_e32 vcc, s24, v8
	v_mov_b32_e32 v12, 0x7f80
	s_and_saveexec_b64 s[20:21], vcc
	s_cbranch_execz .LBB794_1088
; %bb.1087:                             ;   in Loop: Header=BB794_796 Depth=1
	v_and_b32_e32 v14, 7, v6
	v_ffbh_u32_e32 v12, v14
	v_min_u32_e32 v16, 32, v12
	v_subrev_u32_e32 v12, 28, v16
	v_lshlrev_b64 v[12:13], v12, v[6:7]
	v_lshrrev_b32_e32 v15, 3, v8
	v_sub_u32_e32 v13, 29, v16
	v_and_b32_e32 v12, 7, v12
	v_cmp_gt_u32_e32 vcc, 8, v8
	v_cndmask_b32_e32 v8, v15, v13, vcc
	v_cndmask_b32_e32 v12, v14, v12, vcc
	v_lshlrev_b32_e32 v13, 24, v6
	v_lshlrev_b32_e32 v12, 20, v12
	v_and_b32_e32 v13, 0x80000000, v13
	v_lshl_add_u32 v8, v8, 23, v10
	v_or3_b32 v8, v13, v8, v12
	v_lshrrev_b32_e32 v12, 16, v8
.LBB794_1088:                           ;   in Loop: Header=BB794_796 Depth=1
	s_or_b64 exec, exec, s[20:21]
.LBB794_1089:                           ;   in Loop: Header=BB794_796 Depth=1
	s_or_b64 exec, exec, s[18:19]
.LBB794_1090:                           ;   in Loop: Header=BB794_796 Depth=1
	s_or_b64 exec, exec, s[16:17]
	v_lshrrev_b16_e32 v8, 8, v6
	v_cmp_ne_u16_e32 vcc, 0, v8
	v_mov_b32_e32 v15, 0
	v_mov_b32_e32 v14, 0
	s_and_saveexec_b64 s[16:17], vcc
	s_cbranch_execz .LBB794_1096
; %bb.1091:                             ;   in Loop: Header=BB794_796 Depth=1
	v_cmp_ne_u16_e32 vcc, s22, v8
	v_mov_b32_e32 v14, 0xffff8000
	s_and_saveexec_b64 s[18:19], vcc
	s_cbranch_execz .LBB794_1095
; %bb.1092:                             ;   in Loop: Header=BB794_796 Depth=1
	v_and_b32_e32 v13, 0x7f, v8
	v_cmp_ne_u32_e32 vcc, s24, v13
	v_mov_b32_e32 v14, 0x7f80
	s_and_saveexec_b64 s[20:21], vcc
	s_cbranch_execz .LBB794_1094
; %bb.1093:                             ;   in Loop: Header=BB794_796 Depth=1
	v_and_b32_e32 v14, 7, v8
	v_ffbh_u32_e32 v16, v14
	v_min_u32_e32 v19, 32, v16
	v_subrev_u32_e32 v16, 28, v19
	v_lshlrev_b64 v[16:17], v16, v[8:9]
	v_lshrrev_b32_e32 v18, 3, v13
	v_sub_u32_e32 v8, 29, v19
	v_and_b32_e32 v16, 7, v16
	v_cmp_gt_u32_e32 vcc, 8, v13
	v_cndmask_b32_e32 v8, v18, v8, vcc
	v_cndmask_b32_e32 v13, v14, v16, vcc
	v_lshlrev_b32_e32 v14, 16, v6
	v_lshlrev_b32_e32 v13, 20, v13
	v_and_b32_e32 v14, 0x80000000, v14
	v_lshl_add_u32 v8, v8, 23, v10
	v_or3_b32 v8, v14, v8, v13
	v_lshrrev_b32_e32 v14, 16, v8
.LBB794_1094:                           ;   in Loop: Header=BB794_796 Depth=1
	s_or_b64 exec, exec, s[20:21]
.LBB794_1095:                           ;   in Loop: Header=BB794_796 Depth=1
	s_or_b64 exec, exec, s[18:19]
.LBB794_1096:                           ;   in Loop: Header=BB794_796 Depth=1
	s_or_b64 exec, exec, s[16:17]
	v_lshrrev_b32_e32 v8, 16, v6
	v_cmp_ne_u16_sdwa s[18:19], v8, v9 src0_sel:BYTE_0 src1_sel:DWORD
	s_and_saveexec_b64 s[16:17], s[18:19]
	s_cbranch_execz .LBB794_1102
; %bb.1097:                             ;   in Loop: Header=BB794_796 Depth=1
	v_cmp_ne_u16_sdwa s[20:21], v8, s22 src0_sel:BYTE_0 src1_sel:DWORD
	v_mov_b32_e32 v15, 0xffff8000
	s_and_saveexec_b64 s[18:19], s[20:21]
	s_cbranch_execz .LBB794_1101
; %bb.1098:                             ;   in Loop: Header=BB794_796 Depth=1
	v_bfe_u32 v13, v6, 16, 7
	v_cmp_ne_u32_e32 vcc, s24, v13
	v_mov_b32_e32 v15, 0x7f80
	s_and_saveexec_b64 s[20:21], vcc
	s_cbranch_execz .LBB794_1100
; %bb.1099:                             ;   in Loop: Header=BB794_796 Depth=1
	v_and_b32_e32 v15, 7, v8
	v_ffbh_u32_e32 v16, v15
	v_min_u32_e32 v19, 32, v16
	v_subrev_u32_e32 v16, 28, v19
	v_lshlrev_b64 v[16:17], v16, v[8:9]
	v_lshrrev_b32_e32 v18, 3, v13
	v_sub_u32_e32 v17, 29, v19
	v_and_b32_e32 v16, 7, v16
	v_cmp_gt_u32_e32 vcc, 8, v13
	v_cndmask_b32_e32 v13, v18, v17, vcc
	v_cndmask_b32_e32 v15, v15, v16, vcc
	v_lshlrev_b32_e32 v8, 24, v8
	v_lshlrev_b32_e32 v15, 20, v15
	v_and_b32_e32 v8, 0x80000000, v8
	v_lshl_add_u32 v13, v13, 23, v10
	v_or3_b32 v8, v8, v13, v15
	v_lshrrev_b32_e32 v15, 16, v8
.LBB794_1100:                           ;   in Loop: Header=BB794_796 Depth=1
	s_or_b64 exec, exec, s[20:21]
.LBB794_1101:                           ;   in Loop: Header=BB794_796 Depth=1
	s_or_b64 exec, exec, s[18:19]
.LBB794_1102:                           ;   in Loop: Header=BB794_796 Depth=1
	s_or_b64 exec, exec, s[16:17]
	v_cmp_lt_u32_e32 vcc, s25, v6
	v_mov_b32_e32 v16, 0
	v_mov_b32_e32 v17, 0
	s_and_saveexec_b64 s[16:17], vcc
	s_cbranch_execz .LBB794_1108
; %bb.1103:                             ;   in Loop: Header=BB794_796 Depth=1
	v_lshrrev_b32_e32 v8, 24, v6
	v_cmp_ne_u32_e32 vcc, s22, v8
	v_mov_b32_e32 v17, 0xffff8000
	s_and_saveexec_b64 s[18:19], vcc
	s_cbranch_execz .LBB794_1107
; %bb.1104:                             ;   in Loop: Header=BB794_796 Depth=1
	v_bfe_u32 v6, v6, 24, 7
	v_cmp_ne_u32_e32 vcc, s24, v6
	v_mov_b32_e32 v17, 0x7f80
	s_and_saveexec_b64 s[20:21], vcc
	s_cbranch_execz .LBB794_1106
; %bb.1105:                             ;   in Loop: Header=BB794_796 Depth=1
	v_and_b32_e32 v13, 7, v8
	v_ffbh_u32_e32 v18, v13
	v_min_u32_e32 v20, 32, v18
	v_subrev_u32_e32 v18, 28, v20
	v_lshlrev_b64 v[18:19], v18, v[8:9]
	v_lshrrev_b32_e32 v17, 3, v6
	v_sub_u32_e32 v19, 29, v20
	v_and_b32_e32 v18, 7, v18
	v_cmp_gt_u32_e32 vcc, 8, v6
	v_cndmask_b32_e32 v6, v17, v19, vcc
	v_cndmask_b32_e32 v13, v13, v18, vcc
	v_lshlrev_b32_e32 v8, 24, v8
	v_lshlrev_b32_e32 v13, 20, v13
	v_and_b32_e32 v8, 0x80000000, v8
	v_lshl_add_u32 v6, v6, 23, v10
	v_or3_b32 v6, v8, v6, v13
	v_lshrrev_b32_e32 v17, 16, v6
.LBB794_1106:                           ;   in Loop: Header=BB794_796 Depth=1
	s_or_b64 exec, exec, s[20:21]
.LBB794_1107:                           ;   in Loop: Header=BB794_796 Depth=1
	s_or_b64 exec, exec, s[18:19]
.LBB794_1108:                           ;   in Loop: Header=BB794_796 Depth=1
	s_or_b64 exec, exec, s[16:17]
	s_waitcnt vmcnt(0)
	v_cmp_ne_u16_sdwa s[18:19], v4, v9 src0_sel:BYTE_0 src1_sel:DWORD
	s_and_saveexec_b64 s[16:17], s[18:19]
	s_cbranch_execz .LBB794_1114
; %bb.1109:                             ;   in Loop: Header=BB794_796 Depth=1
	v_cmp_ne_u16_sdwa s[20:21], v4, s22 src0_sel:BYTE_0 src1_sel:DWORD
	v_mov_b32_e32 v16, 0xffff8000
	s_and_saveexec_b64 s[18:19], s[20:21]
	s_cbranch_execz .LBB794_1113
; %bb.1110:                             ;   in Loop: Header=BB794_796 Depth=1
	v_and_b32_e32 v6, 0x7f, v4
	v_cmp_ne_u32_e32 vcc, s24, v6
	v_mov_b32_e32 v16, 0x7f80
	s_and_saveexec_b64 s[20:21], vcc
	s_cbranch_execz .LBB794_1112
; %bb.1111:                             ;   in Loop: Header=BB794_796 Depth=1
	v_and_b32_e32 v8, 7, v4
	v_ffbh_u32_e32 v16, v8
	v_min_u32_e32 v16, 32, v16
	v_subrev_u32_e32 v18, 28, v16
	v_lshlrev_b64 v[18:19], v18, v[4:5]
	v_lshrrev_b32_e32 v13, 3, v6
	v_sub_u32_e32 v16, 29, v16
	v_and_b32_e32 v18, 7, v18
	v_cmp_gt_u32_e32 vcc, 8, v6
	v_cndmask_b32_e32 v6, v13, v16, vcc
	v_cndmask_b32_e32 v8, v8, v18, vcc
	v_lshlrev_b32_e32 v13, 24, v4
	v_lshlrev_b32_e32 v8, 20, v8
	v_and_b32_e32 v13, 0x80000000, v13
	v_lshl_add_u32 v6, v6, 23, v10
	v_or3_b32 v6, v13, v6, v8
	v_lshrrev_b32_e32 v16, 16, v6
.LBB794_1112:                           ;   in Loop: Header=BB794_796 Depth=1
	s_or_b64 exec, exec, s[20:21]
.LBB794_1113:                           ;   in Loop: Header=BB794_796 Depth=1
	s_or_b64 exec, exec, s[18:19]
.LBB794_1114:                           ;   in Loop: Header=BB794_796 Depth=1
	s_or_b64 exec, exec, s[16:17]
	v_lshrrev_b16_e32 v6, 8, v4
	v_cmp_ne_u16_e32 vcc, 0, v6
	v_mov_b32_e32 v18, 0
	v_mov_b32_e32 v8, 0
	s_and_saveexec_b64 s[16:17], vcc
	s_cbranch_execz .LBB794_1120
; %bb.1115:                             ;   in Loop: Header=BB794_796 Depth=1
	v_cmp_ne_u16_e32 vcc, s22, v6
	v_mov_b32_e32 v8, 0xffff8000
	s_and_saveexec_b64 s[18:19], vcc
	s_cbranch_execz .LBB794_1119
; %bb.1116:                             ;   in Loop: Header=BB794_796 Depth=1
	v_and_b32_e32 v13, 0x7f, v6
	v_cmp_ne_u32_e32 vcc, s24, v13
	v_mov_b32_e32 v8, 0x7f80
	s_and_saveexec_b64 s[20:21], vcc
	s_cbranch_execz .LBB794_1118
; %bb.1117:                             ;   in Loop: Header=BB794_796 Depth=1
	v_and_b32_e32 v8, 7, v6
	v_ffbh_u32_e32 v20, v8
	v_min_u32_e32 v22, 32, v20
	v_subrev_u32_e32 v20, 28, v22
	v_lshlrev_b64 v[20:21], v20, v[6:7]
	v_lshrrev_b32_e32 v19, 3, v13
	v_sub_u32_e32 v6, 29, v22
	v_and_b32_e32 v20, 7, v20
	v_cmp_gt_u32_e32 vcc, 8, v13
	v_cndmask_b32_e32 v6, v19, v6, vcc
	v_cndmask_b32_e32 v8, v8, v20, vcc
	v_lshlrev_b32_e32 v13, 16, v4
	v_lshlrev_b32_e32 v8, 20, v8
	v_and_b32_e32 v13, 0x80000000, v13
	v_lshl_add_u32 v6, v6, 23, v10
	v_or3_b32 v6, v13, v6, v8
	v_lshrrev_b32_e32 v8, 16, v6
.LBB794_1118:                           ;   in Loop: Header=BB794_796 Depth=1
	s_or_b64 exec, exec, s[20:21]
.LBB794_1119:                           ;   in Loop: Header=BB794_796 Depth=1
	s_or_b64 exec, exec, s[18:19]
.LBB794_1120:                           ;   in Loop: Header=BB794_796 Depth=1
	s_or_b64 exec, exec, s[16:17]
	v_lshrrev_b32_e32 v6, 16, v4
	v_cmp_ne_u16_sdwa s[18:19], v6, v9 src0_sel:BYTE_0 src1_sel:DWORD
	s_and_saveexec_b64 s[16:17], s[18:19]
	s_cbranch_execz .LBB794_1126
; %bb.1121:                             ;   in Loop: Header=BB794_796 Depth=1
	v_cmp_ne_u16_sdwa s[20:21], v6, s22 src0_sel:BYTE_0 src1_sel:DWORD
	v_mov_b32_e32 v18, 0xffff8000
	s_and_saveexec_b64 s[18:19], s[20:21]
	s_cbranch_execz .LBB794_1125
; %bb.1122:                             ;   in Loop: Header=BB794_796 Depth=1
	v_bfe_u32 v13, v4, 16, 7
	v_cmp_ne_u32_e32 vcc, s24, v13
	v_mov_b32_e32 v18, 0x7f80
	s_and_saveexec_b64 s[20:21], vcc
	s_cbranch_execz .LBB794_1124
; %bb.1123:                             ;   in Loop: Header=BB794_796 Depth=1
	v_and_b32_e32 v20, 7, v6
	v_ffbh_u32_e32 v18, v20
	v_min_u32_e32 v22, 32, v18
	v_subrev_u32_e32 v18, 28, v22
	v_lshlrev_b64 v[18:19], v18, v[6:7]
	v_lshrrev_b32_e32 v21, 3, v13
	v_sub_u32_e32 v19, 29, v22
	v_and_b32_e32 v18, 7, v18
	v_cmp_gt_u32_e32 vcc, 8, v13
	v_cndmask_b32_e32 v13, v21, v19, vcc
	v_cndmask_b32_e32 v18, v20, v18, vcc
	v_lshlrev_b32_e32 v6, 24, v6
	v_lshlrev_b32_e32 v18, 20, v18
	v_and_b32_e32 v6, 0x80000000, v6
	v_lshl_add_u32 v13, v13, 23, v10
	v_or3_b32 v6, v6, v13, v18
	v_lshrrev_b32_e32 v18, 16, v6
.LBB794_1124:                           ;   in Loop: Header=BB794_796 Depth=1
	s_or_b64 exec, exec, s[20:21]
.LBB794_1125:                           ;   in Loop: Header=BB794_796 Depth=1
	s_or_b64 exec, exec, s[18:19]
.LBB794_1126:                           ;   in Loop: Header=BB794_796 Depth=1
	s_or_b64 exec, exec, s[16:17]
	v_cmp_lt_u32_e32 vcc, s25, v4
	v_mov_b32_e32 v13, 0
	v_mov_b32_e32 v19, 0
	s_and_saveexec_b64 s[16:17], vcc
	s_cbranch_execz .LBB794_1132
; %bb.1127:                             ;   in Loop: Header=BB794_796 Depth=1
	v_lshrrev_b32_e32 v6, 24, v4
	v_cmp_ne_u32_e32 vcc, s22, v6
	v_mov_b32_e32 v19, 0xffff8000
	s_and_saveexec_b64 s[18:19], vcc
	s_cbranch_execz .LBB794_1131
; %bb.1128:                             ;   in Loop: Header=BB794_796 Depth=1
	v_bfe_u32 v4, v4, 24, 7
	v_cmp_ne_u32_e32 vcc, s24, v4
	v_mov_b32_e32 v19, 0x7f80
	s_and_saveexec_b64 s[20:21], vcc
	s_cbranch_execz .LBB794_1130
; %bb.1129:                             ;   in Loop: Header=BB794_796 Depth=1
	v_and_b32_e32 v19, 7, v6
	v_ffbh_u32_e32 v20, v19
	v_min_u32_e32 v23, 32, v20
	v_subrev_u32_e32 v20, 28, v23
	v_lshlrev_b64 v[20:21], v20, v[6:7]
	v_lshrrev_b32_e32 v22, 3, v4
	v_sub_u32_e32 v21, 29, v23
	v_and_b32_e32 v20, 7, v20
	v_cmp_gt_u32_e32 vcc, 8, v4
	v_cndmask_b32_e32 v4, v22, v21, vcc
	v_cndmask_b32_e32 v19, v19, v20, vcc
	v_lshlrev_b32_e32 v6, 24, v6
	v_lshlrev_b32_e32 v19, 20, v19
	v_and_b32_e32 v6, 0x80000000, v6
	v_lshl_add_u32 v4, v4, 23, v10
	v_or3_b32 v4, v6, v4, v19
	v_lshrrev_b32_e32 v19, 16, v4
.LBB794_1130:                           ;   in Loop: Header=BB794_796 Depth=1
	s_or_b64 exec, exec, s[20:21]
.LBB794_1131:                           ;   in Loop: Header=BB794_796 Depth=1
	s_or_b64 exec, exec, s[18:19]
.LBB794_1132:                           ;   in Loop: Header=BB794_796 Depth=1
	s_or_b64 exec, exec, s[16:17]
	buffer_load_dword v6, v11, s[0:3], 0 offen offset:56
	buffer_load_dword v4, v11, s[0:3], 0 offen offset:60
	v_perm_b32 v15, v17, v15, s26
	v_perm_b32 v14, v14, v12, s26
	;; [unrolled: 1-line block ×4, first 2 shown]
	v_mfma_f32_4x4x4bf16_1k a[0:3], v[2:3], v[14:15], a[0:3] cbsz:4 abid:12
	s_waitcnt vmcnt(1)
	v_cmp_ne_u16_sdwa s[18:19], v6, v9 src0_sel:BYTE_0 src1_sel:DWORD
	v_mfma_f32_4x4x4bf16_1k a[0:3], v[2:3], v[16:17], a[0:3] cbsz:4 abid:13
	s_and_saveexec_b64 s[16:17], s[18:19]
	s_cbranch_execz .LBB794_1138
; %bb.1133:                             ;   in Loop: Header=BB794_796 Depth=1
	v_cmp_ne_u16_sdwa s[20:21], v6, s22 src0_sel:BYTE_0 src1_sel:DWORD
	v_mov_b32_e32 v13, 0xffff8000
	s_and_saveexec_b64 s[18:19], s[20:21]
	s_cbranch_execz .LBB794_1137
; %bb.1134:                             ;   in Loop: Header=BB794_796 Depth=1
	v_and_b32_e32 v8, 0x7f, v6
	v_cmp_ne_u32_e32 vcc, s24, v8
	v_mov_b32_e32 v13, 0x7f80
	s_and_saveexec_b64 s[20:21], vcc
	s_cbranch_execz .LBB794_1136
; %bb.1135:                             ;   in Loop: Header=BB794_796 Depth=1
	v_and_b32_e32 v11, 7, v6
	v_ffbh_u32_e32 v12, v11
	v_min_u32_e32 v15, 32, v12
	v_subrev_u32_e32 v12, 28, v15
	v_lshlrev_b64 v[12:13], v12, v[6:7]
	v_lshrrev_b32_e32 v14, 3, v8
	v_sub_u32_e32 v13, 29, v15
	v_and_b32_e32 v12, 7, v12
	v_cmp_gt_u32_e32 vcc, 8, v8
	v_cndmask_b32_e32 v8, v14, v13, vcc
	v_cndmask_b32_e32 v11, v11, v12, vcc
	v_lshlrev_b32_e32 v12, 24, v6
	v_lshlrev_b32_e32 v11, 20, v11
	v_and_b32_e32 v12, 0x80000000, v12
	v_lshl_add_u32 v8, v8, 23, v10
	v_or3_b32 v8, v12, v8, v11
	v_lshrrev_b32_e32 v13, 16, v8
.LBB794_1136:                           ;   in Loop: Header=BB794_796 Depth=1
	s_or_b64 exec, exec, s[20:21]
.LBB794_1137:                           ;   in Loop: Header=BB794_796 Depth=1
	s_or_b64 exec, exec, s[18:19]
.LBB794_1138:                           ;   in Loop: Header=BB794_796 Depth=1
	s_or_b64 exec, exec, s[16:17]
	v_lshrrev_b16_e32 v8, 8, v6
	v_cmp_ne_u16_e32 vcc, 0, v8
	v_mov_b32_e32 v12, 0
	v_mov_b32_e32 v11, 0
	s_and_saveexec_b64 s[16:17], vcc
	s_cbranch_execz .LBB794_1144
; %bb.1139:                             ;   in Loop: Header=BB794_796 Depth=1
	v_cmp_ne_u16_e32 vcc, s22, v8
	v_mov_b32_e32 v11, 0xffff8000
	s_and_saveexec_b64 s[18:19], vcc
	s_cbranch_execz .LBB794_1143
; %bb.1140:                             ;   in Loop: Header=BB794_796 Depth=1
	v_and_b32_e32 v14, 0x7f, v8
	v_cmp_ne_u32_e32 vcc, s24, v14
	v_mov_b32_e32 v11, 0x7f80
	s_and_saveexec_b64 s[20:21], vcc
	s_cbranch_execz .LBB794_1142
; %bb.1141:                             ;   in Loop: Header=BB794_796 Depth=1
	v_and_b32_e32 v11, 7, v8
	v_ffbh_u32_e32 v16, v11
	v_min_u32_e32 v18, 32, v16
	v_subrev_u32_e32 v16, 28, v18
	v_lshlrev_b64 v[16:17], v16, v[8:9]
	v_lshrrev_b32_e32 v15, 3, v14
	v_sub_u32_e32 v8, 29, v18
	v_and_b32_e32 v16, 7, v16
	v_cmp_gt_u32_e32 vcc, 8, v14
	v_cndmask_b32_e32 v8, v15, v8, vcc
	v_cndmask_b32_e32 v11, v11, v16, vcc
	v_lshlrev_b32_e32 v14, 16, v6
	v_lshlrev_b32_e32 v11, 20, v11
	v_and_b32_e32 v14, 0x80000000, v14
	v_lshl_add_u32 v8, v8, 23, v10
	v_or3_b32 v8, v14, v8, v11
	v_lshrrev_b32_e32 v11, 16, v8
.LBB794_1142:                           ;   in Loop: Header=BB794_796 Depth=1
	s_or_b64 exec, exec, s[20:21]
.LBB794_1143:                           ;   in Loop: Header=BB794_796 Depth=1
	s_or_b64 exec, exec, s[18:19]
.LBB794_1144:                           ;   in Loop: Header=BB794_796 Depth=1
	s_or_b64 exec, exec, s[16:17]
	v_lshrrev_b32_e32 v8, 16, v6
	v_cmp_ne_u16_sdwa s[18:19], v8, v9 src0_sel:BYTE_0 src1_sel:DWORD
	s_and_saveexec_b64 s[16:17], s[18:19]
	s_cbranch_execz .LBB794_1150
; %bb.1145:                             ;   in Loop: Header=BB794_796 Depth=1
	v_cmp_ne_u16_sdwa s[20:21], v8, s22 src0_sel:BYTE_0 src1_sel:DWORD
	v_mov_b32_e32 v12, 0xffff8000
	s_and_saveexec_b64 s[18:19], s[20:21]
	s_cbranch_execz .LBB794_1149
; %bb.1146:                             ;   in Loop: Header=BB794_796 Depth=1
	v_bfe_u32 v14, v6, 16, 7
	v_cmp_ne_u32_e32 vcc, s24, v14
	v_mov_b32_e32 v12, 0x7f80
	s_and_saveexec_b64 s[20:21], vcc
	s_cbranch_execz .LBB794_1148
; %bb.1147:                             ;   in Loop: Header=BB794_796 Depth=1
	v_and_b32_e32 v12, 7, v8
	v_ffbh_u32_e32 v16, v12
	v_min_u32_e32 v18, 32, v16
	v_subrev_u32_e32 v16, 28, v18
	v_lshlrev_b64 v[16:17], v16, v[8:9]
	v_lshrrev_b32_e32 v15, 3, v14
	v_sub_u32_e32 v17, 29, v18
	v_and_b32_e32 v16, 7, v16
	v_cmp_gt_u32_e32 vcc, 8, v14
	v_cndmask_b32_e32 v14, v15, v17, vcc
	v_cndmask_b32_e32 v12, v12, v16, vcc
	v_lshlrev_b32_e32 v8, 24, v8
	v_lshlrev_b32_e32 v12, 20, v12
	v_and_b32_e32 v8, 0x80000000, v8
	v_lshl_add_u32 v14, v14, 23, v10
	v_or3_b32 v8, v8, v14, v12
	v_lshrrev_b32_e32 v12, 16, v8
.LBB794_1148:                           ;   in Loop: Header=BB794_796 Depth=1
	s_or_b64 exec, exec, s[20:21]
.LBB794_1149:                           ;   in Loop: Header=BB794_796 Depth=1
	s_or_b64 exec, exec, s[18:19]
.LBB794_1150:                           ;   in Loop: Header=BB794_796 Depth=1
	s_or_b64 exec, exec, s[16:17]
	v_cmp_lt_u32_e32 vcc, s25, v6
	v_mov_b32_e32 v14, 0
	v_mov_b32_e32 v15, 0
	s_and_saveexec_b64 s[16:17], vcc
	s_cbranch_execz .LBB794_1156
; %bb.1151:                             ;   in Loop: Header=BB794_796 Depth=1
	v_lshrrev_b32_e32 v8, 24, v6
	v_cmp_ne_u32_e32 vcc, s22, v8
	v_mov_b32_e32 v15, 0xffff8000
	s_and_saveexec_b64 s[18:19], vcc
	s_cbranch_execz .LBB794_1155
; %bb.1152:                             ;   in Loop: Header=BB794_796 Depth=1
	v_bfe_u32 v6, v6, 24, 7
	v_cmp_ne_u32_e32 vcc, s24, v6
	v_mov_b32_e32 v15, 0x7f80
	s_and_saveexec_b64 s[20:21], vcc
	s_cbranch_execz .LBB794_1154
; %bb.1153:                             ;   in Loop: Header=BB794_796 Depth=1
	v_and_b32_e32 v15, 7, v8
	v_ffbh_u32_e32 v16, v15
	v_min_u32_e32 v19, 32, v16
	v_subrev_u32_e32 v16, 28, v19
	v_lshlrev_b64 v[16:17], v16, v[8:9]
	v_lshrrev_b32_e32 v18, 3, v6
	v_sub_u32_e32 v17, 29, v19
	v_and_b32_e32 v16, 7, v16
	v_cmp_gt_u32_e32 vcc, 8, v6
	v_cndmask_b32_e32 v6, v18, v17, vcc
	v_cndmask_b32_e32 v15, v15, v16, vcc
	v_lshlrev_b32_e32 v8, 24, v8
	v_lshlrev_b32_e32 v15, 20, v15
	v_and_b32_e32 v8, 0x80000000, v8
	v_lshl_add_u32 v6, v6, 23, v10
	v_or3_b32 v6, v8, v6, v15
	v_lshrrev_b32_e32 v15, 16, v6
.LBB794_1154:                           ;   in Loop: Header=BB794_796 Depth=1
	s_or_b64 exec, exec, s[20:21]
.LBB794_1155:                           ;   in Loop: Header=BB794_796 Depth=1
	s_or_b64 exec, exec, s[18:19]
.LBB794_1156:                           ;   in Loop: Header=BB794_796 Depth=1
	s_or_b64 exec, exec, s[16:17]
	s_waitcnt vmcnt(0)
	v_cmp_ne_u16_sdwa s[18:19], v4, v9 src0_sel:BYTE_0 src1_sel:DWORD
	s_and_saveexec_b64 s[16:17], s[18:19]
	s_cbranch_execz .LBB794_1162
; %bb.1157:                             ;   in Loop: Header=BB794_796 Depth=1
	v_cmp_ne_u16_sdwa s[20:21], v4, s22 src0_sel:BYTE_0 src1_sel:DWORD
	v_mov_b32_e32 v14, 0xffff8000
	s_and_saveexec_b64 s[18:19], s[20:21]
	s_cbranch_execz .LBB794_1161
; %bb.1158:                             ;   in Loop: Header=BB794_796 Depth=1
	v_and_b32_e32 v6, 0x7f, v4
	v_cmp_ne_u32_e32 vcc, s24, v6
	v_mov_b32_e32 v14, 0x7f80
	s_and_saveexec_b64 s[20:21], vcc
	s_cbranch_execz .LBB794_1160
; %bb.1159:                             ;   in Loop: Header=BB794_796 Depth=1
	v_and_b32_e32 v8, 7, v4
	v_ffbh_u32_e32 v16, v8
	v_min_u32_e32 v18, 32, v16
	v_subrev_u32_e32 v16, 28, v18
	v_lshlrev_b64 v[16:17], v16, v[4:5]
	v_lshrrev_b32_e32 v14, 3, v6
	v_sub_u32_e32 v17, 29, v18
	v_and_b32_e32 v16, 7, v16
	v_cmp_gt_u32_e32 vcc, 8, v6
	v_cndmask_b32_e32 v6, v14, v17, vcc
	v_cndmask_b32_e32 v8, v8, v16, vcc
	v_lshlrev_b32_e32 v14, 24, v4
	v_lshlrev_b32_e32 v8, 20, v8
	v_and_b32_e32 v14, 0x80000000, v14
	v_lshl_add_u32 v6, v6, 23, v10
	v_or3_b32 v6, v14, v6, v8
	v_lshrrev_b32_e32 v14, 16, v6
.LBB794_1160:                           ;   in Loop: Header=BB794_796 Depth=1
	s_or_b64 exec, exec, s[20:21]
.LBB794_1161:                           ;   in Loop: Header=BB794_796 Depth=1
	s_or_b64 exec, exec, s[18:19]
.LBB794_1162:                           ;   in Loop: Header=BB794_796 Depth=1
	s_or_b64 exec, exec, s[16:17]
	v_lshrrev_b16_e32 v6, 8, v4
	v_cmp_ne_u16_e32 vcc, 0, v6
	v_mov_b32_e32 v16, 0
	v_mov_b32_e32 v8, 0
	s_and_saveexec_b64 s[16:17], vcc
	s_cbranch_execz .LBB794_1168
; %bb.1163:                             ;   in Loop: Header=BB794_796 Depth=1
	v_cmp_ne_u16_e32 vcc, s22, v6
	v_mov_b32_e32 v8, 0xffff8000
	s_and_saveexec_b64 s[18:19], vcc
	s_cbranch_execz .LBB794_1167
; %bb.1164:                             ;   in Loop: Header=BB794_796 Depth=1
	v_and_b32_e32 v17, 0x7f, v6
	v_cmp_ne_u32_e32 vcc, s24, v17
	v_mov_b32_e32 v8, 0x7f80
	s_and_saveexec_b64 s[20:21], vcc
	s_cbranch_execz .LBB794_1166
; %bb.1165:                             ;   in Loop: Header=BB794_796 Depth=1
	v_and_b32_e32 v8, 7, v6
	v_ffbh_u32_e32 v18, v8
	v_min_u32_e32 v21, 32, v18
	v_subrev_u32_e32 v18, 28, v21
	v_lshlrev_b64 v[18:19], v18, v[6:7]
	v_lshrrev_b32_e32 v20, 3, v17
	v_sub_u32_e32 v6, 29, v21
	v_and_b32_e32 v18, 7, v18
	v_cmp_gt_u32_e32 vcc, 8, v17
	v_cndmask_b32_e32 v6, v20, v6, vcc
	v_cndmask_b32_e32 v8, v8, v18, vcc
	v_lshlrev_b32_e32 v17, 16, v4
	v_lshlrev_b32_e32 v8, 20, v8
	v_and_b32_e32 v17, 0x80000000, v17
	v_lshl_add_u32 v6, v6, 23, v10
	v_or3_b32 v6, v17, v6, v8
	v_lshrrev_b32_e32 v8, 16, v6
.LBB794_1166:                           ;   in Loop: Header=BB794_796 Depth=1
	s_or_b64 exec, exec, s[20:21]
.LBB794_1167:                           ;   in Loop: Header=BB794_796 Depth=1
	s_or_b64 exec, exec, s[18:19]
.LBB794_1168:                           ;   in Loop: Header=BB794_796 Depth=1
	s_or_b64 exec, exec, s[16:17]
	v_lshrrev_b32_e32 v6, 16, v4
	v_cmp_ne_u16_sdwa s[18:19], v6, v9 src0_sel:BYTE_0 src1_sel:DWORD
	s_and_saveexec_b64 s[16:17], s[18:19]
	s_cbranch_execz .LBB794_1174
; %bb.1169:                             ;   in Loop: Header=BB794_796 Depth=1
	v_cmp_ne_u16_sdwa s[20:21], v6, s22 src0_sel:BYTE_0 src1_sel:DWORD
	v_mov_b32_e32 v16, 0xffff8000
	s_and_saveexec_b64 s[18:19], s[20:21]
	s_cbranch_execz .LBB794_1173
; %bb.1170:                             ;   in Loop: Header=BB794_796 Depth=1
	v_bfe_u32 v17, v4, 16, 7
	v_cmp_ne_u32_e32 vcc, s24, v17
	v_mov_b32_e32 v16, 0x7f80
	s_and_saveexec_b64 s[20:21], vcc
	s_cbranch_execz .LBB794_1172
; %bb.1171:                             ;   in Loop: Header=BB794_796 Depth=1
	v_and_b32_e32 v16, 7, v6
	v_ffbh_u32_e32 v18, v16
	v_min_u32_e32 v21, 32, v18
	v_subrev_u32_e32 v18, 28, v21
	v_lshlrev_b64 v[18:19], v18, v[6:7]
	v_lshrrev_b32_e32 v20, 3, v17
	v_sub_u32_e32 v19, 29, v21
	v_and_b32_e32 v18, 7, v18
	v_cmp_gt_u32_e32 vcc, 8, v17
	v_cndmask_b32_e32 v17, v20, v19, vcc
	v_cndmask_b32_e32 v16, v16, v18, vcc
	v_lshlrev_b32_e32 v6, 24, v6
	v_lshlrev_b32_e32 v16, 20, v16
	v_and_b32_e32 v6, 0x80000000, v6
	v_lshl_add_u32 v17, v17, 23, v10
	v_or3_b32 v6, v6, v17, v16
	v_lshrrev_b32_e32 v16, 16, v6
.LBB794_1172:                           ;   in Loop: Header=BB794_796 Depth=1
	s_or_b64 exec, exec, s[20:21]
.LBB794_1173:                           ;   in Loop: Header=BB794_796 Depth=1
	s_or_b64 exec, exec, s[18:19]
.LBB794_1174:                           ;   in Loop: Header=BB794_796 Depth=1
	s_or_b64 exec, exec, s[16:17]
	v_cmp_lt_u32_e32 vcc, s25, v4
	v_mov_b32_e32 v17, 0
	s_and_saveexec_b64 s[16:17], vcc
	s_cbranch_execz .LBB794_795
; %bb.1175:                             ;   in Loop: Header=BB794_796 Depth=1
	v_lshrrev_b32_e32 v6, 24, v4
	v_cmp_ne_u32_e32 vcc, s22, v6
	v_mov_b32_e32 v17, 0xffff8000
	s_and_saveexec_b64 s[18:19], vcc
	s_cbranch_execz .LBB794_794
; %bb.1176:                             ;   in Loop: Header=BB794_796 Depth=1
	v_bfe_u32 v4, v4, 24, 7
	v_cmp_ne_u32_e32 vcc, s24, v4
	v_mov_b32_e32 v17, 0x7f80
	s_and_saveexec_b64 s[20:21], vcc
	s_cbranch_execz .LBB794_793
; %bb.1177:                             ;   in Loop: Header=BB794_796 Depth=1
	v_and_b32_e32 v17, 7, v6
	v_ffbh_u32_e32 v18, v17
	v_min_u32_e32 v21, 32, v18
	v_subrev_u32_e32 v18, 28, v21
	v_lshlrev_b64 v[18:19], v18, v[6:7]
	v_lshrrev_b32_e32 v20, 3, v4
	v_sub_u32_e32 v19, 29, v21
	v_and_b32_e32 v18, 7, v18
	v_cmp_gt_u32_e32 vcc, 8, v4
	v_cndmask_b32_e32 v4, v20, v19, vcc
	v_cndmask_b32_e32 v17, v17, v18, vcc
	v_lshlrev_b32_e32 v6, 24, v6
	v_lshlrev_b32_e32 v17, 20, v17
	v_and_b32_e32 v6, 0x80000000, v6
	v_lshl_add_u32 v4, v4, 23, v10
	v_or3_b32 v4, v6, v4, v17
	v_lshrrev_b32_e32 v17, 16, v4
	s_branch .LBB794_793
.LBB794_1178:
	s_or_b64 exec, exec, s[6:7]
	v_cmp_gt_u32_e32 vcc, 64, v0
	s_waitcnt lgkmcnt(0)
	s_barrier
	s_and_saveexec_b64 s[6:7], vcc
	s_cbranch_execz .LBB794_1180
; %bb.1179:
	v_mov_b32_e32 v2, 0xa00
	v_mad_u32_u24 v2, v1, 40, v2
	ds_read2_b64 v[2:5], v2 offset1:1
	s_waitcnt lgkmcnt(0)
	v_mov_b32_e32 v3, 0xa10
	v_mul_u32_u24_e32 v10, 40, v1
	v_mad_u32_u24 v1, v1, 40, v3
	ds_read2_b64 v[6:9], v1 offset1:1
	v_lshlrev_b32_e32 v1, 16, v2
	s_mov_b32 s5, 0
	v_add_f32_e32 v1, 0, v1
	s_lshl_b32 s4, s4, 7
	v_and_b32_e32 v1, 0xffff0000, v1
	v_lshlrev_b32_e32 v2, 16, v4
	s_lshl_b64 s[6:7], s[4:5], 1
	v_add_f32_e32 v1, v1, v2
	s_add_u32 s6, s30, s6
	v_and_b32_e32 v1, 0xffff0000, v1
	s_waitcnt lgkmcnt(0)
	v_lshlrev_b32_e32 v2, 16, v6
	s_addc_u32 s7, s31, s7
	s_lshl_b32 s4, s28, 7
	v_add_f32_e32 v1, v1, v2
	s_lshl_b64 s[4:5], s[4:5], 1
	v_and_b32_e32 v1, 0xffff0000, v1
	v_lshlrev_b32_e32 v2, 16, v8
	s_add_u32 s4, s6, s4
	s_mul_i32 s6, s10, s33
	v_add_f32_e32 v11, v1, v2
	v_lshl_or_b32 v0, s6, 7, v0
	v_mov_b32_e32 v1, 0
	v_lshlrev_b64 v[4:5], 1, v[0:1]
	ds_read2_b64 v[0:3], v10 offset1:1
	s_addc_u32 s5, s7, s5
	v_mov_b32_e32 v6, s5
	v_add_co_u32_e32 v8, vcc, s4, v4
	v_addc_co_u32_e32 v9, vcc, v6, v5, vcc
	ds_read2_b64 v[4:7], v10 offset0:2 offset1:3
	s_waitcnt lgkmcnt(1)
	v_lshlrev_b32_e32 v0, 16, v0
	v_add_f32_e32 v0, 0, v0
	v_and_b32_e32 v0, 0xffff0000, v0
	v_lshlrev_b32_e32 v1, 16, v2
	v_add_f32_e32 v0, v0, v1
	v_and_b32_e32 v0, 0xffff0000, v0
	s_waitcnt lgkmcnt(0)
	v_lshlrev_b32_e32 v1, 16, v4
	v_add_f32_e32 v0, v0, v1
	v_and_b32_e32 v0, 0xffff0000, v0
	v_lshlrev_b32_e32 v1, 16, v6
	v_add_f32_e32 v0, v0, v1
	global_store_short_d16_hi v[8:9], v0, off
	global_store_short_d16_hi v[8:9], v11, off offset:128
.LBB794_1180:
	s_endpgm
	.section	.rodata,"a",@progbits
	.p2align	6, 0x0
	.amdhsa_kernel _Z38paged_attention_ll4mi_QKV_mfma4_kernelI14__hip_bfloat16hLN4vllm18Fp8KVCacheDataTypeE1ES0_Li32ELi128ELi256ELb1ELi1EEvPKT_PKT0_S8_ifPKiSA_SA_iPKfiiiPfSD_PS3_PT2_iSC_SC_
		.amdhsa_group_segment_fixed_size 5280
		.amdhsa_private_segment_fixed_size 144
		.amdhsa_kernarg_size 400
		.amdhsa_user_sgpr_count 8
		.amdhsa_user_sgpr_private_segment_buffer 1
		.amdhsa_user_sgpr_dispatch_ptr 0
		.amdhsa_user_sgpr_queue_ptr 0
		.amdhsa_user_sgpr_kernarg_segment_ptr 1
		.amdhsa_user_sgpr_dispatch_id 0
		.amdhsa_user_sgpr_flat_scratch_init 1
		.amdhsa_user_sgpr_kernarg_preload_length 0
		.amdhsa_user_sgpr_kernarg_preload_offset 0
		.amdhsa_user_sgpr_private_segment_size 0
		.amdhsa_uses_dynamic_stack 0
		.amdhsa_system_sgpr_private_segment_wavefront_offset 1
		.amdhsa_system_sgpr_workgroup_id_x 1
		.amdhsa_system_sgpr_workgroup_id_y 1
		.amdhsa_system_sgpr_workgroup_id_z 1
		.amdhsa_system_sgpr_workgroup_info 0
		.amdhsa_system_vgpr_workitem_id 0
		.amdhsa_next_free_vgpr 84
		.amdhsa_next_free_sgpr 46
		.amdhsa_accum_offset 80
		.amdhsa_reserve_vcc 1
		.amdhsa_reserve_flat_scratch 0
		.amdhsa_float_round_mode_32 0
		.amdhsa_float_round_mode_16_64 0
		.amdhsa_float_denorm_mode_32 3
		.amdhsa_float_denorm_mode_16_64 3
		.amdhsa_dx10_clamp 1
		.amdhsa_ieee_mode 1
		.amdhsa_fp16_overflow 0
		.amdhsa_tg_split 0
		.amdhsa_exception_fp_ieee_invalid_op 0
		.amdhsa_exception_fp_denorm_src 0
		.amdhsa_exception_fp_ieee_div_zero 0
		.amdhsa_exception_fp_ieee_overflow 0
		.amdhsa_exception_fp_ieee_underflow 0
		.amdhsa_exception_fp_ieee_inexact 0
		.amdhsa_exception_int_div_zero 0
	.end_amdhsa_kernel
	.section	.text._Z38paged_attention_ll4mi_QKV_mfma4_kernelI14__hip_bfloat16hLN4vllm18Fp8KVCacheDataTypeE1ES0_Li32ELi128ELi256ELb1ELi1EEvPKT_PKT0_S8_ifPKiSA_SA_iPKfiiiPfSD_PS3_PT2_iSC_SC_,"axG",@progbits,_Z38paged_attention_ll4mi_QKV_mfma4_kernelI14__hip_bfloat16hLN4vllm18Fp8KVCacheDataTypeE1ES0_Li32ELi128ELi256ELb1ELi1EEvPKT_PKT0_S8_ifPKiSA_SA_iPKfiiiPfSD_PS3_PT2_iSC_SC_,comdat
.Lfunc_end794:
	.size	_Z38paged_attention_ll4mi_QKV_mfma4_kernelI14__hip_bfloat16hLN4vllm18Fp8KVCacheDataTypeE1ES0_Li32ELi128ELi256ELb1ELi1EEvPKT_PKT0_S8_ifPKiSA_SA_iPKfiiiPfSD_PS3_PT2_iSC_SC_, .Lfunc_end794-_Z38paged_attention_ll4mi_QKV_mfma4_kernelI14__hip_bfloat16hLN4vllm18Fp8KVCacheDataTypeE1ES0_Li32ELi128ELi256ELb1ELi1EEvPKT_PKT0_S8_ifPKiSA_SA_iPKfiiiPfSD_PS3_PT2_iSC_SC_
                                        ; -- End function
	.section	.AMDGPU.csdata,"",@progbits
; Kernel info:
; codeLenInByte = 42260
; NumSgprs: 50
; NumVgprs: 78
; NumAgprs: 4
; TotalNumVgprs: 84
; ScratchSize: 144
; MemoryBound: 0
; FloatMode: 240
; IeeeMode: 1
; LDSByteSize: 5280 bytes/workgroup (compile time only)
; SGPRBlocks: 6
; VGPRBlocks: 10
; NumSGPRsForWavesPerEU: 50
; NumVGPRsForWavesPerEU: 84
; AccumOffset: 80
; Occupancy: 5
; WaveLimiterHint : 1
; COMPUTE_PGM_RSRC2:SCRATCH_EN: 1
; COMPUTE_PGM_RSRC2:USER_SGPR: 8
; COMPUTE_PGM_RSRC2:TRAP_HANDLER: 0
; COMPUTE_PGM_RSRC2:TGID_X_EN: 1
; COMPUTE_PGM_RSRC2:TGID_Y_EN: 1
; COMPUTE_PGM_RSRC2:TGID_Z_EN: 1
; COMPUTE_PGM_RSRC2:TIDIG_COMP_CNT: 0
; COMPUTE_PGM_RSRC3_GFX90A:ACCUM_OFFSET: 19
; COMPUTE_PGM_RSRC3_GFX90A:TG_SPLIT: 0
	.section	.text._Z38paged_attention_ll4mi_QKV_mfma4_kernelI14__hip_bfloat16hLN4vllm18Fp8KVCacheDataTypeE1ES0_Li32ELi128ELi256ELb1ELi2EEvPKT_PKT0_S8_ifPKiSA_SA_iPKfiiiPfSD_PS3_PT2_iSC_SC_,"axG",@progbits,_Z38paged_attention_ll4mi_QKV_mfma4_kernelI14__hip_bfloat16hLN4vllm18Fp8KVCacheDataTypeE1ES0_Li32ELi128ELi256ELb1ELi2EEvPKT_PKT0_S8_ifPKiSA_SA_iPKfiiiPfSD_PS3_PT2_iSC_SC_,comdat
	.protected	_Z38paged_attention_ll4mi_QKV_mfma4_kernelI14__hip_bfloat16hLN4vllm18Fp8KVCacheDataTypeE1ES0_Li32ELi128ELi256ELb1ELi2EEvPKT_PKT0_S8_ifPKiSA_SA_iPKfiiiPfSD_PS3_PT2_iSC_SC_ ; -- Begin function _Z38paged_attention_ll4mi_QKV_mfma4_kernelI14__hip_bfloat16hLN4vllm18Fp8KVCacheDataTypeE1ES0_Li32ELi128ELi256ELb1ELi2EEvPKT_PKT0_S8_ifPKiSA_SA_iPKfiiiPfSD_PS3_PT2_iSC_SC_
	.globl	_Z38paged_attention_ll4mi_QKV_mfma4_kernelI14__hip_bfloat16hLN4vllm18Fp8KVCacheDataTypeE1ES0_Li32ELi128ELi256ELb1ELi2EEvPKT_PKT0_S8_ifPKiSA_SA_iPKfiiiPfSD_PS3_PT2_iSC_SC_
	.p2align	8
	.type	_Z38paged_attention_ll4mi_QKV_mfma4_kernelI14__hip_bfloat16hLN4vllm18Fp8KVCacheDataTypeE1ES0_Li32ELi128ELi256ELb1ELi2EEvPKT_PKT0_S8_ifPKiSA_SA_iPKfiiiPfSD_PS3_PT2_iSC_SC_,@function
_Z38paged_attention_ll4mi_QKV_mfma4_kernelI14__hip_bfloat16hLN4vllm18Fp8KVCacheDataTypeE1ES0_Li32ELi128ELi256ELb1ELi2EEvPKT_PKT0_S8_ifPKiSA_SA_iPKfiiiPfSD_PS3_PT2_iSC_SC_: ; @_Z38paged_attention_ll4mi_QKV_mfma4_kernelI14__hip_bfloat16hLN4vllm18Fp8KVCacheDataTypeE1ES0_Li32ELi128ELi256ELb1ELi2EEvPKT_PKT0_S8_ifPKiSA_SA_iPKfiiiPfSD_PS3_PT2_iSC_SC_
; %bb.0:
	s_load_dwordx2 s[20:21], s[4:5], 0x30
	s_add_u32 s0, s0, s11
	s_addc_u32 s1, s1, 0
	s_mov_b32 s24, s9
	s_mov_b64 s[6:7], 0
	s_waitcnt lgkmcnt(0)
	s_cmp_lg_u64 s[20:21], 0
	s_cselect_b64 s[22:23], -1, 0
	s_and_b64 vcc, exec, s[22:23]
	s_cbranch_vccz .LBB795_10
; %bb.1:
	s_add_i32 s12, s8, 1
	s_mov_b32 s13, 0
	s_lshl_b64 s[14:15], s[12:13], 2
	s_add_u32 s14, s20, s14
	s_mov_b32 s9, s13
	s_addc_u32 s15, s21, s15
	s_lshl_b64 s[12:13], s[8:9], 2
	s_add_u32 s12, s20, s12
	s_addc_u32 s13, s21, s13
	s_load_dword s11, s[14:15], 0x0
	s_load_dword s16, s[12:13], 0x0
	s_waitcnt lgkmcnt(0)
	s_sub_i32 s11, s11, s16
	s_cmp_eq_u32 s11, 1
	s_cselect_b64 s[12:13], -1, 0
	s_andn2_b64 vcc, exec, s[6:7]
	s_cbranch_vccnz .LBB795_3
.LBB795_2:
	s_mov_b32 s9, 0
	s_mov_b64 s[12:13], -1
.LBB795_3:
	s_andn2_b64 vcc, exec, s[12:13]
	s_cbranch_vccnz .LBB795_1180
; %bb.4:
	s_load_dword s11, s[4:5], 0x9c
	s_load_dwordx2 s[6:7], s[4:5], 0x28
	s_add_u32 s28, s4, 0x90
	s_addc_u32 s29, s5, 0
	s_lshl_b64 s[34:35], s[8:9], 2
	s_waitcnt lgkmcnt(0)
	s_and_b32 s11, s11, 0xffff
	s_add_u32 s6, s6, s34
	s_addc_u32 s7, s7, s35
	s_load_dword s9, s[6:7], 0x0
	s_mul_i32 s11, s24, s11
	s_waitcnt lgkmcnt(0)
	s_cmp_ge_i32 s11, s9
	s_cbranch_scc1 .LBB795_1180
; %bb.5:
	v_and_b32_e32 v1, 0xc0, v0
	v_add_u32_e32 v7, s11, v1
	v_lshrrev_b32_e32 v42, 6, v0
	v_cmp_le_i32_e64 s[6:7], s9, v7
                                        ; implicit-def: $sgpr36
                                        ; implicit-def: $sgpr25
	s_and_saveexec_b64 s[12:13], s[6:7]
	s_xor_b64 s[12:13], exec, s[12:13]
	s_cbranch_execz .LBB795_7
; %bb.6:
	v_mul_u32_u24_e32 v1, 20, v42
	v_or_b32_e32 v1, 0x1400, v1
	v_mov_b32_e32 v2, 0x1450
	v_mov_b32_e32 v3, 0xff7fffff
	v_mad_u32_u24 v2, v42, 20, v2
	ds_write2_b32 v1, v3, v3 offset1:1
	v_mov_b32_e32 v1, 0
	ds_write2_b32 v2, v1, v1 offset1:1
	v_mov_b32_e32 v2, 0x1408
	s_mov_b32 s25, 0xff7fffff
	s_mov_b32 s36, 0
	v_mad_u32_u24 v2, v42, 20, v2
	v_mov_b32_e32 v4, 0x1458
	v_mad_u32_u24 v4, v42, 20, v4
	ds_write2_b32 v2, v3, v3 offset1:1
	ds_write2_b32 v4, v1, v1 offset1:1
                                        ; implicit-def: $vgpr7
.LBB795_7:
	s_or_saveexec_b64 s[30:31], s[12:13]
	s_load_dwordx2 s[26:27], s[4:5], 0x68
	s_load_dwordx4 s[16:19], s[4:5], 0x58
	s_load_dword s42, s[28:29], 0x4
	s_load_dwordx4 s[12:15], s[4:5], 0x80
	v_and_b32_e32 v1, 63, v0
	v_and_b32_e32 v43, 3, v0
	s_lshl_b32 s33, s10, 1
	v_mov_b32_e32 v5, s36
	v_mov_b32_e32 v6, s25
	;; [unrolled: 1-line block ×5, first 2 shown]
	s_xor_b64 exec, exec, s[30:31]
	s_cbranch_execz .LBB795_787
; %bb.8:
	s_add_i32 s38, s9, 31
	s_load_dwordx2 s[36:37], s[4:5], 0x20
	s_load_dword s25, s[4:5], 0x38
	s_ashr_i32 s39, s38, 31
	s_lshr_b32 s39, s39, 27
	v_add_u32_e32 v44, s11, v0
	s_add_i32 s38, s38, s39
	v_ashrrev_i32_e32 v2, 31, v44
	s_ashr_i32 s38, s38, 5
	v_lshrrev_b32_e32 v2, 27, v2
	s_add_i32 s40, s38, -1
	v_add_u32_e32 v2, v44, v2
	s_waitcnt lgkmcnt(0)
	s_mul_i32 s38, s8, s25
	s_mov_b32 s39, 0
	v_ashrrev_i32_e32 v2, 5, v2
	v_mov_b32_e32 v3, s40
	v_cmp_gt_i32_e32 vcc, s9, v44
	s_lshl_b64 s[38:39], s[38:39], 2
	v_cndmask_b32_e32 v2, v3, v2, vcc
	s_add_u32 s25, s36, s38
	v_ashrrev_i32_e32 v3, 31, v2
	s_addc_u32 s36, s37, s39
	v_lshlrev_b64 v[2:3], 2, v[2:3]
	v_mov_b32_e32 v4, s36
	v_add_co_u32_e32 v2, vcc, s25, v2
	v_addc_co_u32_e32 v3, vcc, v4, v3, vcc
	v_ashrrev_i32_e32 v4, 31, v7
	v_lshrrev_b32_e32 v4, 27, v4
	v_add_u32_e32 v4, v7, v4
	v_ashrrev_i32_e32 v6, 5, v4
	v_min_i32_e32 v4, s40, v6
	v_ashrrev_i32_e32 v5, 31, v4
	v_lshlrev_b64 v[4:5], 2, v[4:5]
	v_add_u32_e32 v6, 1, v6
	v_mov_b32_e32 v7, s36
	v_add_co_u32_e32 v4, vcc, s25, v4
	v_min_i32_e32 v6, s40, v6
	v_addc_co_u32_e32 v5, vcc, v7, v5, vcc
	v_ashrrev_i32_e32 v7, 31, v6
	v_lshlrev_b64 v[6:7], 2, v[6:7]
	v_mov_b32_e32 v9, s36
	v_add_co_u32_e32 v8, vcc, s25, v6
	v_addc_co_u32_e32 v9, vcc, v9, v7, vcc
	global_load_dword v6, v[2:3], off
	global_load_dword v41, v[4:5], off
	;; [unrolled: 1-line block ×3, first 2 shown]
	s_load_dwordx2 s[36:37], s[4:5], 0x8
	s_andn2_b64 vcc, exec, s[22:23]
	s_cbranch_vccnz .LBB795_11
; %bb.9:
	s_add_u32 s20, s20, s34
	s_addc_u32 s21, s21, s35
	s_load_dword s11, s[20:21], 0x0
	s_branch .LBB795_12
.LBB795_10:
	s_mov_b64 s[12:13], 0
	s_branch .LBB795_2
.LBB795_11:
	s_mov_b32 s11, s8
.LBB795_12:
	s_load_dwordx2 s[34:35], s[4:5], 0x10
	s_load_dwordx4 s[20:23], s[4:5], 0x48
	v_cmp_gt_u32_e32 vcc, 2, v43
	s_mov_b32 s41, 0
	v_mov_b32_e32 v45, 0
	v_mov_b32_e32 v2, 0
	;; [unrolled: 1-line block ×5, first 2 shown]
	s_and_saveexec_b64 s[38:39], vcc
	s_cbranch_execz .LBB795_14
; %bb.13:
	s_load_dwordx2 s[44:45], s[4:5], 0x0
	s_waitcnt lgkmcnt(0)
	s_ashr_i32 s23, s20, 31
	s_mul_hi_u32 s25, s11, s20
	s_mul_i32 s23, s11, s23
	s_add_i32 s47, s25, s23
	s_mul_i32 s46, s11, s20
	s_lshl_b64 s[46:47], s[46:47], 1
	s_add_u32 s11, s44, s46
	s_addc_u32 s20, s45, s47
	s_lshl_b32 s40, s10, 8
	s_lshl_b64 s[40:41], s[40:41], 1
	v_lshlrev_b32_e32 v2, 2, v1
	s_add_u32 s40, s11, s40
	v_and_b32_e32 v2, 0xf0, v2
	s_addc_u32 s41, s20, s41
	v_lshl_or_b32 v2, v43, 8, v2
	global_load_dwordx4 v[2:5], v2, s[40:41]
.LBB795_14:
	s_or_b64 exec, exec, s[38:39]
	s_waitcnt lgkmcnt(0)
	s_mul_i32 s20, s10, s22
	s_add_u32 s10, s20, s36
	s_addc_u32 s11, 0, s37
	v_pk_mov_b32 v[8:9], s[10:11], s[10:11] op_sel:[0,1]
	s_waitcnt vmcnt(2)
	v_mad_i64_i32 v[6:7], s[10:11], v6, s21, v[8:9]
	v_lshlrev_b32_e32 v8, 4, v0
	v_and_b32_e32 v8, 0x1f0, v8
	v_add_co_u32_e64 v38, s[10:11], v6, v8
	v_addc_co_u32_e64 v39, s[10:11], 0, v7, s[10:11]
	global_load_dwordx4 v[34:37], v[38:39], off
	global_load_dwordx4 v[30:33], v[38:39], off offset:512
	global_load_dwordx4 v[26:29], v[38:39], off offset:1024
	global_load_dwordx4 v[22:25], v[38:39], off offset:1536
	global_load_dwordx4 v[18:21], v[38:39], off offset:2048
	global_load_dwordx4 v[14:17], v[38:39], off offset:2560
	global_load_dwordx4 v[10:13], v[38:39], off offset:3072
	global_load_dwordx4 v[6:9], v[38:39], off offset:3584
	s_and_saveexec_b64 s[10:11], vcc
	s_cbranch_execz .LBB795_16
; %bb.15:
	s_load_dwordx2 s[22:23], s[4:5], 0x40
	v_or_b32_e32 v38, s33, v43
	v_mov_b32_e32 v39, 0
	v_lshlrev_b64 v[38:39], 2, v[38:39]
	s_waitcnt lgkmcnt(0)
	v_mov_b32_e32 v45, s23
	v_add_co_u32_e32 v38, vcc, s22, v38
	v_addc_co_u32_e32 v39, vcc, v45, v39, vcc
	global_load_dword v45, v[38:39], off
.LBB795_16:
	s_or_b64 exec, exec, s[10:11]
	s_waitcnt vmcnt(9)
	v_mul_hi_i32 v38, v41, s21
	v_ashrrev_i32_e32 v38, 31, v38
	v_lshrrev_b32_e32 v38, 29, v38
	v_mov_b32_e32 v39, 0
	s_add_u32 s20, s34, s20
	v_mad_i64_i32 v[46:47], s[10:11], v41, s21, v[38:39]
	s_addc_u32 s22, s35, 0
	v_and_b32_e32 v38, -8, v46
	v_mov_b32_e32 v41, s22
	v_add_co_u32_e32 v38, vcc, s20, v38
	v_addc_co_u32_e32 v41, vcc, v41, v47, vcc
	v_lshlrev_b32_e32 v64, 5, v1
	v_add_co_u32_e32 v62, vcc, v38, v64
	s_waitcnt vmcnt(8)
	v_mul_hi_i32 v38, v40, s21
	v_ashrrev_i32_e32 v38, 31, v38
	v_lshrrev_b32_e32 v38, 29, v38
	v_addc_co_u32_e32 v63, vcc, 0, v41, vcc
	v_mad_i64_i32 v[40:41], s[10:11], v40, s21, v[38:39]
	v_and_b32_e32 v38, -8, v40
	v_mov_b32_e32 v40, s22
	v_add_co_u32_e32 v38, vcc, s20, v38
	v_addc_co_u32_e32 v41, vcc, v40, v41, vcc
	v_add_co_u32_e32 v40, vcc, v38, v64
	v_addc_co_u32_e32 v41, vcc, 0, v41, vcc
	global_load_dwordx4 v[46:49], v[62:63], off offset:16
	global_load_dwordx4 v[50:53], v[62:63], off
	global_load_dwordx4 v[54:57], v[62:63], off offset:2064
	global_load_dwordx4 v[58:61], v[62:63], off offset:2048
	s_nop 0
	global_load_dwordx4 v[62:65], v[40:41], off
	global_load_dwordx4 v[66:69], v[40:41], off offset:16
	global_load_dwordx4 v[70:73], v[40:41], off offset:2048
	global_load_dwordx4 v[74:77], v[40:41], off offset:2064
	s_waitcnt vmcnt(15)
	v_cmp_ne_u16_sdwa s[20:21], v34, v39 src0_sel:BYTE_0 src1_sel:DWORD
	s_waitcnt vmcnt(6)
	buffer_store_dword v51, off, s[0:3], 0 offset:4
	buffer_store_dword v50, off, s[0:3], 0
	buffer_store_dword v53, off, s[0:3], 0 offset:12
	buffer_store_dword v52, off, s[0:3], 0 offset:8
	;; [unrolled: 1-line block ×6, first 2 shown]
	s_waitcnt vmcnt(12)
	buffer_store_dword v59, off, s[0:3], 0 offset:68
	buffer_store_dword v58, off, s[0:3], 0 offset:64
	;; [unrolled: 1-line block ×8, first 2 shown]
	s_waitcnt vmcnt(19)
	buffer_store_dword v63, off, s[0:3], 0 offset:36
	buffer_store_dword v62, off, s[0:3], 0 offset:32
	buffer_store_dword v65, off, s[0:3], 0 offset:44
	buffer_store_dword v64, off, s[0:3], 0 offset:40
	s_waitcnt vmcnt(22)
	buffer_store_dword v67, off, s[0:3], 0 offset:52
	buffer_store_dword v66, off, s[0:3], 0 offset:48
	buffer_store_dword v69, off, s[0:3], 0 offset:60
	buffer_store_dword v68, off, s[0:3], 0 offset:56
	;; [unrolled: 5-line block ×4, first 2 shown]
	v_mov_b32_e32 v46, 0
	s_and_saveexec_b64 s[10:11], s[20:21]
	s_cbranch_execz .LBB795_22
; %bb.17:
	s_movk_i32 s20, 0x80
	v_cmp_ne_u16_sdwa s[22:23], v34, s20 src0_sel:BYTE_0 src1_sel:DWORD
	v_mov_b32_e32 v46, 0xffff8000
	s_and_saveexec_b64 s[20:21], s[22:23]
	s_cbranch_execz .LBB795_21
; %bb.18:
	s_movk_i32 s22, 0x7f
	v_and_b32_e32 v38, 0x7f, v34
	v_cmp_ne_u32_e32 vcc, s22, v38
	v_mov_b32_e32 v46, 0x7f80
	s_and_saveexec_b64 s[22:23], vcc
	s_cbranch_execz .LBB795_20
; %bb.19:
	v_and_b32_e32 v40, 7, v34
	v_ffbh_u32_e32 v40, v40
	v_min_u32_e32 v40, 32, v40
	v_lshrrev_b32_e32 v41, 3, v38
	v_subrev_u32_e32 v46, 28, v40
	v_sub_u32_e32 v40, 29, v40
	v_cmp_gt_u32_e32 vcc, 8, v38
	v_cndmask_b32_e32 v38, v41, v40, vcc
	v_cndmask_b32_e32 v40, 0, v46, vcc
	v_lshlrev_b64 v[40:41], v40, v[34:35]
	v_lshlrev_b32_e32 v40, 20, v40
	v_lshlrev_b32_e32 v41, 24, v34
	v_bfrev_b32_e32 v46, 60
	v_and_b32_e32 v40, 0x700000, v40
	v_and_b32_e32 v41, 0x80000000, v41
	v_lshl_add_u32 v38, v38, 23, v46
	v_or3_b32 v38, v41, v38, v40
	v_lshrrev_b32_e32 v46, 16, v38
.LBB795_20:
	s_or_b64 exec, exec, s[22:23]
.LBB795_21:
	s_or_b64 exec, exec, s[20:21]
.LBB795_22:
	s_or_b64 exec, exec, s[10:11]
	v_lshrrev_b16_e32 v38, 8, v34
	v_cmp_ne_u16_e32 vcc, 0, v38
	s_and_saveexec_b64 s[10:11], vcc
	s_cbranch_execz .LBB795_28
; %bb.23:
	s_movk_i32 s20, 0x80
	v_cmp_ne_u16_e32 vcc, s20, v38
	v_mov_b32_e32 v39, 0xffff8000
	s_and_saveexec_b64 s[20:21], vcc
	s_cbranch_execz .LBB795_27
; %bb.24:
	s_movk_i32 s22, 0x7f
	v_and_b32_e32 v40, 0x7f, v38
	v_cmp_ne_u32_e32 vcc, s22, v40
	v_mov_b32_e32 v39, 0x7f80
	s_and_saveexec_b64 s[22:23], vcc
	s_cbranch_execz .LBB795_26
; %bb.25:
	v_and_b32_e32 v41, 7, v38
	v_ffbh_u32_e32 v39, v41
	v_min_u32_e32 v48, 32, v39
	v_subrev_u32_e32 v39, 28, v48
	v_lshlrev_b64 v[38:39], v39, v[38:39]
	v_lshrrev_b32_e32 v47, 3, v40
	v_sub_u32_e32 v39, 29, v48
	v_and_b32_e32 v38, 7, v38
	v_cmp_gt_u32_e32 vcc, 8, v40
	v_cndmask_b32_e32 v39, v47, v39, vcc
	v_cndmask_b32_e32 v38, v41, v38, vcc
	v_lshlrev_b32_e32 v40, 16, v34
	v_bfrev_b32_e32 v41, 60
	v_lshlrev_b32_e32 v38, 20, v38
	v_and_b32_e32 v40, 0x80000000, v40
	v_lshl_add_u32 v39, v39, 23, v41
	v_or3_b32 v38, v40, v39, v38
	v_lshrrev_b32_e32 v39, 16, v38
.LBB795_26:
	s_or_b64 exec, exec, s[22:23]
.LBB795_27:
	s_or_b64 exec, exec, s[20:21]
.LBB795_28:
	s_or_b64 exec, exec, s[10:11]
	s_movk_i32 s10, 0xff
	v_and_b32_sdwa v40, v34, s10 dst_sel:DWORD dst_unused:UNUSED_PAD src0_sel:WORD_1 src1_sel:DWORD
	v_lshrrev_b32_e32 v38, 16, v34
	v_cmp_ne_u16_e32 vcc, 0, v40
	v_mov_b32_e32 v41, 0
	v_mov_b32_e32 v47, 0
	s_and_saveexec_b64 s[10:11], vcc
	s_cbranch_execz .LBB795_34
; %bb.29:
	s_movk_i32 s20, 0x80
	v_cmp_ne_u16_e32 vcc, s20, v40
	v_mov_b32_e32 v47, 0xffff8000
	s_and_saveexec_b64 s[20:21], vcc
	s_cbranch_execz .LBB795_33
; %bb.30:
	v_bfe_u32 v40, v34, 16, 7
	s_movk_i32 s22, 0x7f
	v_cmp_ne_u32_e32 vcc, s22, v40
	v_mov_b32_e32 v47, 0x7f80
	s_and_saveexec_b64 s[22:23], vcc
	s_cbranch_execz .LBB795_32
; %bb.31:
	v_and_b32_e32 v47, 7, v38
	v_ffbh_u32_e32 v48, v47
	v_min_u32_e32 v51, 32, v48
	v_subrev_u32_e32 v48, 28, v51
	v_lshlrev_b64 v[48:49], v48, v[38:39]
	v_and_b32_e32 v48, 7, v48
	v_cmp_gt_u32_e32 vcc, 8, v40
	v_lshrrev_b32_e32 v50, 3, v40
	v_sub_u32_e32 v38, 29, v51
	v_cndmask_b32_e32 v40, v47, v48, vcc
	v_mov_b32_e32 v47, 24
	v_cndmask_b32_e32 v38, v50, v38, vcc
	v_lshlrev_b32_sdwa v47, v47, v34 dst_sel:DWORD dst_unused:UNUSED_PAD src0_sel:DWORD src1_sel:WORD_1
	v_bfrev_b32_e32 v48, 60
	v_lshlrev_b32_e32 v40, 20, v40
	v_and_b32_e32 v47, 0x80000000, v47
	v_lshl_add_u32 v38, v38, 23, v48
	v_or3_b32 v38, v47, v38, v40
	v_lshrrev_b32_e32 v47, 16, v38
.LBB795_32:
	s_or_b64 exec, exec, s[22:23]
.LBB795_33:
	s_or_b64 exec, exec, s[20:21]
.LBB795_34:
	s_or_b64 exec, exec, s[10:11]
	s_mov_b32 s10, 0xffffff
	v_cmp_lt_u32_e32 vcc, s10, v34
	v_mov_b32_e32 v48, 0
	s_and_saveexec_b64 s[10:11], vcc
	s_cbranch_execz .LBB795_40
; %bb.35:
	v_lshrrev_b32_e32 v38, 24, v34
	s_movk_i32 s20, 0x80
	v_cmp_ne_u32_e32 vcc, s20, v38
	v_mov_b32_e32 v48, 0xffff8000
	s_and_saveexec_b64 s[20:21], vcc
	s_cbranch_execz .LBB795_39
; %bb.36:
	v_bfe_u32 v40, v34, 24, 7
	s_movk_i32 s22, 0x7f
	v_cmp_ne_u32_e32 vcc, s22, v40
	v_mov_b32_e32 v48, 0x7f80
	s_and_saveexec_b64 s[22:23], vcc
	s_cbranch_execz .LBB795_38
; %bb.37:
	v_and_b32_e32 v50, 7, v38
	v_ffbh_u32_e32 v48, v50
	v_min_u32_e32 v52, 32, v48
	v_subrev_u32_e32 v48, 28, v52
	v_lshlrev_b64 v[48:49], v48, v[38:39]
	v_lshrrev_b32_e32 v51, 3, v40
	v_sub_u32_e32 v49, 29, v52
	v_and_b32_e32 v48, 7, v48
	v_cmp_gt_u32_e32 vcc, 8, v40
	v_cndmask_b32_e32 v40, v51, v49, vcc
	v_cndmask_b32_e32 v48, v50, v48, vcc
	v_lshlrev_b32_e32 v38, 24, v38
	v_bfrev_b32_e32 v49, 60
	v_lshlrev_b32_e32 v48, 20, v48
	v_and_b32_e32 v38, 0x80000000, v38
	v_lshl_add_u32 v40, v40, 23, v49
	v_or3_b32 v38, v38, v40, v48
	v_lshrrev_b32_e32 v48, 16, v38
.LBB795_38:
	s_or_b64 exec, exec, s[22:23]
.LBB795_39:
	s_or_b64 exec, exec, s[20:21]
.LBB795_40:
	s_or_b64 exec, exec, s[10:11]
	v_mov_b32_e32 v49, 0
	v_mov_b32_e32 v40, v35
	v_cmp_ne_u16_sdwa s[20:21], v35, v49 src0_sel:BYTE_0 src1_sel:DWORD
	v_mov_b32_e32 v50, 0
	s_and_saveexec_b64 s[10:11], s[20:21]
	s_cbranch_execz .LBB795_46
; %bb.41:
	s_movk_i32 s20, 0x80
	v_cmp_ne_u16_sdwa s[22:23], v35, s20 src0_sel:BYTE_0 src1_sel:DWORD
	v_mov_b32_e32 v50, 0xffff8000
	s_and_saveexec_b64 s[20:21], s[22:23]
	s_cbranch_execz .LBB795_45
; %bb.42:
	s_movk_i32 s22, 0x7f
	v_and_b32_e32 v38, 0x7f, v35
	v_cmp_ne_u32_e32 vcc, s22, v38
	v_mov_b32_e32 v50, 0x7f80
	s_and_saveexec_b64 s[22:23], vcc
	s_cbranch_execz .LBB795_44
; %bb.43:
	v_and_b32_e32 v50, 7, v35
	v_ffbh_u32_e32 v50, v50
	v_min_u32_e32 v50, 32, v50
	v_lshrrev_b32_e32 v51, 3, v38
	v_subrev_u32_e32 v52, 28, v50
	v_sub_u32_e32 v50, 29, v50
	v_cmp_gt_u32_e32 vcc, 8, v38
	v_cndmask_b32_e32 v38, v51, v50, vcc
	v_cndmask_b32_e32 v50, 0, v52, vcc
	v_lshlrev_b64 v[50:51], v50, v[40:41]
	v_lshlrev_b32_e32 v41, 20, v50
	v_lshlrev_b32_e32 v50, 24, v40
	v_bfrev_b32_e32 v51, 60
	v_and_b32_e32 v41, 0x700000, v41
	v_and_b32_e32 v50, 0x80000000, v50
	v_lshl_add_u32 v38, v38, 23, v51
	v_or3_b32 v38, v50, v38, v41
	v_lshrrev_b32_e32 v50, 16, v38
.LBB795_44:
	s_or_b64 exec, exec, s[22:23]
.LBB795_45:
	s_or_b64 exec, exec, s[20:21]
.LBB795_46:
	s_or_b64 exec, exec, s[10:11]
	v_lshrrev_b16_e32 v38, 8, v40
	v_cmp_ne_u16_e32 vcc, 0, v38
	s_and_saveexec_b64 s[10:11], vcc
	s_cbranch_execz .LBB795_52
; %bb.47:
	s_movk_i32 s20, 0x80
	v_cmp_ne_u16_e32 vcc, s20, v38
	v_mov_b32_e32 v49, 0xffff8000
	s_and_saveexec_b64 s[20:21], vcc
	s_cbranch_execz .LBB795_51
; %bb.48:
	s_movk_i32 s22, 0x7f
	v_and_b32_e32 v41, 0x7f, v38
	v_cmp_ne_u32_e32 vcc, s22, v41
	v_mov_b32_e32 v49, 0x7f80
	s_and_saveexec_b64 s[22:23], vcc
	s_cbranch_execz .LBB795_50
; %bb.49:
	v_and_b32_e32 v49, 7, v38
	v_ffbh_u32_e32 v52, v49
	v_min_u32_e32 v54, 32, v52
	v_subrev_u32_e32 v52, 28, v54
	v_lshlrev_b64 v[52:53], v52, v[38:39]
	v_lshrrev_b32_e32 v51, 3, v41
	v_sub_u32_e32 v38, 29, v54
	v_and_b32_e32 v52, 7, v52
	v_cmp_gt_u32_e32 vcc, 8, v41
	v_cndmask_b32_e32 v38, v51, v38, vcc
	v_cndmask_b32_e32 v41, v49, v52, vcc
	v_lshlrev_b32_e32 v40, 16, v40
	v_bfrev_b32_e32 v49, 60
	v_lshlrev_b32_e32 v41, 20, v41
	v_and_b32_e32 v40, 0x80000000, v40
	v_lshl_add_u32 v38, v38, 23, v49
	v_or3_b32 v38, v40, v38, v41
	v_lshrrev_b32_e32 v49, 16, v38
.LBB795_50:
	s_or_b64 exec, exec, s[22:23]
.LBB795_51:
	s_or_b64 exec, exec, s[20:21]
.LBB795_52:
	s_or_b64 exec, exec, s[10:11]
	s_movk_i32 s10, 0xff
	v_and_b32_sdwa v51, v35, s10 dst_sel:DWORD dst_unused:UNUSED_PAD src0_sel:WORD_1 src1_sel:DWORD
	v_lshrrev_b32_e32 v38, 16, v35
	v_cmp_ne_u16_e32 vcc, 0, v51
	v_mov_b32_e32 v40, 0
	v_mov_b32_e32 v41, 0
	s_and_saveexec_b64 s[10:11], vcc
	s_cbranch_execz .LBB795_58
; %bb.53:
	s_movk_i32 s20, 0x80
	v_cmp_ne_u16_e32 vcc, s20, v51
	v_mov_b32_e32 v41, 0xffff8000
	s_and_saveexec_b64 s[20:21], vcc
	s_cbranch_execz .LBB795_57
; %bb.54:
	v_bfe_u32 v51, v35, 16, 7
	s_movk_i32 s22, 0x7f
	v_cmp_ne_u32_e32 vcc, s22, v51
	v_mov_b32_e32 v41, 0x7f80
	s_and_saveexec_b64 s[22:23], vcc
	s_cbranch_execz .LBB795_56
; %bb.55:
	v_and_b32_e32 v41, 7, v38
	v_ffbh_u32_e32 v52, v41
	v_min_u32_e32 v55, 32, v52
	v_subrev_u32_e32 v52, 28, v55
	v_lshlrev_b64 v[52:53], v52, v[38:39]
	v_lshrrev_b32_e32 v54, 3, v51
	v_sub_u32_e32 v38, 29, v55
	v_and_b32_e32 v52, 7, v52
	v_cmp_gt_u32_e32 vcc, 8, v51
	v_mov_b32_e32 v51, 24
	v_cndmask_b32_e32 v38, v54, v38, vcc
	v_cndmask_b32_e32 v41, v41, v52, vcc
	v_lshlrev_b32_sdwa v51, v51, v35 dst_sel:DWORD dst_unused:UNUSED_PAD src0_sel:DWORD src1_sel:WORD_1
	v_bfrev_b32_e32 v52, 60
	v_lshlrev_b32_e32 v41, 20, v41
	v_and_b32_e32 v51, 0x80000000, v51
	v_lshl_add_u32 v38, v38, 23, v52
	v_or3_b32 v38, v51, v38, v41
	v_lshrrev_b32_e32 v41, 16, v38
.LBB795_56:
	s_or_b64 exec, exec, s[22:23]
.LBB795_57:
	s_or_b64 exec, exec, s[20:21]
.LBB795_58:
	s_or_b64 exec, exec, s[10:11]
	s_mov_b32 s10, -1
	s_mov_b32 s11, 0xffffff
	v_cmp_lt_u64_e32 vcc, s[10:11], v[34:35]
	s_and_saveexec_b64 s[10:11], vcc
	s_cbranch_execz .LBB795_64
; %bb.59:
	v_lshrrev_b32_e32 v34, 24, v35
	s_movk_i32 s20, 0x80
	v_cmp_ne_u32_e32 vcc, s20, v34
	v_mov_b32_e32 v40, 0xffff8000
	s_and_saveexec_b64 s[20:21], vcc
	s_cbranch_execz .LBB795_63
; %bb.60:
	v_bfe_u32 v35, v35, 24, 7
	s_movk_i32 s22, 0x7f
	v_cmp_ne_u32_e32 vcc, s22, v35
	v_mov_b32_e32 v40, 0x7f80
	s_and_saveexec_b64 s[22:23], vcc
	s_cbranch_execz .LBB795_62
; %bb.61:
	v_and_b32_e32 v38, 7, v34
	v_ffbh_u32_e32 v51, v38
	v_min_u32_e32 v51, 32, v51
	v_subrev_u32_e32 v52, 28, v51
	v_lshlrev_b64 v[52:53], v52, v[34:35]
	v_lshrrev_b32_e32 v40, 3, v35
	v_sub_u32_e32 v51, 29, v51
	v_and_b32_e32 v52, 7, v52
	v_cmp_gt_u32_e32 vcc, 8, v35
	v_cndmask_b32_e32 v35, v40, v51, vcc
	v_cndmask_b32_e32 v38, v38, v52, vcc
	v_lshlrev_b32_e32 v34, 24, v34
	v_bfrev_b32_e32 v40, 60
	v_lshlrev_b32_e32 v38, 20, v38
	v_and_b32_e32 v34, 0x80000000, v34
	v_lshl_add_u32 v35, v35, 23, v40
	v_or3_b32 v34, v34, v35, v38
	v_lshrrev_b32_e32 v40, 16, v34
.LBB795_62:
	s_or_b64 exec, exec, s[22:23]
.LBB795_63:
	s_or_b64 exec, exec, s[20:21]
.LBB795_64:
	s_or_b64 exec, exec, s[10:11]
	s_mov_b32 s10, 0x5040100
	v_perm_b32 v35, v48, v47, s10
	v_perm_b32 v34, v39, v46, s10
	;; [unrolled: 1-line block ×4, first 2 shown]
	v_mfma_f32_4x4x4bf16_1k a[0:3], v[2:3], v[34:35], 0 cbsz:4
	v_mov_b32_e32 v39, 0
	v_mfma_f32_4x4x4bf16_1k a[0:3], v[4:5], v[40:41], a[0:3] cbsz:4
	v_mov_b32_e32 v40, 0
	v_cmp_ne_u16_sdwa s[20:21], v36, v40 src0_sel:BYTE_0 src1_sel:DWORD
	s_and_saveexec_b64 s[10:11], s[20:21]
	s_cbranch_execz .LBB795_70
; %bb.65:
	s_movk_i32 s20, 0x80
	v_cmp_ne_u16_sdwa s[22:23], v36, s20 src0_sel:BYTE_0 src1_sel:DWORD
	v_mov_b32_e32 v39, 0xffff8000
	s_and_saveexec_b64 s[20:21], s[22:23]
	s_cbranch_execz .LBB795_69
; %bb.66:
	s_movk_i32 s22, 0x7f
	v_and_b32_e32 v34, 0x7f, v36
	v_cmp_ne_u32_e32 vcc, s22, v34
	v_mov_b32_e32 v39, 0x7f80
	s_and_saveexec_b64 s[22:23], vcc
	s_cbranch_execz .LBB795_68
; %bb.67:
	v_and_b32_e32 v35, 7, v36
	v_ffbh_u32_e32 v35, v35
	v_min_u32_e32 v35, 32, v35
	v_subrev_u32_e32 v39, 28, v35
	v_cmp_gt_u32_e32 vcc, 8, v34
	v_lshrrev_b32_e32 v38, 3, v34
	v_sub_u32_e32 v35, 29, v35
	v_cndmask_b32_e32 v34, 0, v39, vcc
	v_cndmask_b32_e32 v38, v38, v35, vcc
	v_lshlrev_b64 v[34:35], v34, v[36:37]
	v_lshlrev_b32_e32 v34, 20, v34
	v_lshlrev_b32_e32 v35, 24, v36
	v_bfrev_b32_e32 v39, 60
	v_and_b32_e32 v34, 0x700000, v34
	v_and_b32_e32 v35, 0x80000000, v35
	v_lshl_add_u32 v38, v38, 23, v39
	v_or3_b32 v34, v35, v38, v34
	v_lshrrev_b32_e32 v39, 16, v34
.LBB795_68:
	s_or_b64 exec, exec, s[22:23]
.LBB795_69:
	s_or_b64 exec, exec, s[20:21]
.LBB795_70:
	s_or_b64 exec, exec, s[10:11]
	v_lshrrev_b16_e32 v34, 8, v36
	v_cmp_ne_u16_e32 vcc, 0, v34
	s_and_saveexec_b64 s[10:11], vcc
	s_cbranch_execz .LBB795_76
; %bb.71:
	s_movk_i32 s20, 0x80
	v_cmp_ne_u16_e32 vcc, s20, v34
	v_mov_b32_e32 v40, 0xffff8000
	s_and_saveexec_b64 s[20:21], vcc
	s_cbranch_execz .LBB795_75
; %bb.72:
	s_movk_i32 s22, 0x7f
	v_and_b32_e32 v35, 0x7f, v34
	v_cmp_ne_u32_e32 vcc, s22, v35
	v_mov_b32_e32 v40, 0x7f80
	s_and_saveexec_b64 s[22:23], vcc
	s_cbranch_execz .LBB795_74
; %bb.73:
	v_and_b32_e32 v38, 7, v34
	v_ffbh_u32_e32 v40, v38
	v_min_u32_e32 v47, 32, v40
	v_subrev_u32_e32 v40, 28, v47
	v_lshlrev_b64 v[40:41], v40, v[34:35]
	v_lshrrev_b32_e32 v46, 3, v35
	v_sub_u32_e32 v34, 29, v47
	v_and_b32_e32 v40, 7, v40
	v_cmp_gt_u32_e32 vcc, 8, v35
	v_cndmask_b32_e32 v34, v46, v34, vcc
	v_cndmask_b32_e32 v35, v38, v40, vcc
	v_lshlrev_b32_e32 v38, 16, v36
	v_bfrev_b32_e32 v40, 60
	v_lshlrev_b32_e32 v35, 20, v35
	v_and_b32_e32 v38, 0x80000000, v38
	v_lshl_add_u32 v34, v34, 23, v40
	v_or3_b32 v34, v38, v34, v35
	v_lshrrev_b32_e32 v40, 16, v34
.LBB795_74:
	s_or_b64 exec, exec, s[22:23]
.LBB795_75:
	s_or_b64 exec, exec, s[20:21]
.LBB795_76:
	s_or_b64 exec, exec, s[10:11]
	s_movk_i32 s10, 0xff
	v_and_b32_sdwa v38, v36, s10 dst_sel:DWORD dst_unused:UNUSED_PAD src0_sel:WORD_1 src1_sel:DWORD
	v_lshrrev_b32_e32 v34, 16, v36
	v_cmp_ne_u16_e32 vcc, 0, v38
	v_mov_b32_e32 v35, 0
	v_mov_b32_e32 v41, 0
	s_and_saveexec_b64 s[10:11], vcc
	s_cbranch_execz .LBB795_82
; %bb.77:
	s_movk_i32 s20, 0x80
	v_cmp_ne_u16_e32 vcc, s20, v38
	v_mov_b32_e32 v41, 0xffff8000
	s_and_saveexec_b64 s[20:21], vcc
	s_cbranch_execz .LBB795_81
; %bb.78:
	v_bfe_u32 v38, v36, 16, 7
	s_movk_i32 s22, 0x7f
	v_cmp_ne_u32_e32 vcc, s22, v38
	v_mov_b32_e32 v41, 0x7f80
	s_and_saveexec_b64 s[22:23], vcc
	s_cbranch_execz .LBB795_80
; %bb.79:
	v_and_b32_e32 v41, 7, v34
	v_ffbh_u32_e32 v46, v41
	v_min_u32_e32 v49, 32, v46
	v_subrev_u32_e32 v46, 28, v49
	v_lshlrev_b64 v[46:47], v46, v[34:35]
	v_and_b32_e32 v46, 7, v46
	v_cmp_gt_u32_e32 vcc, 8, v38
	v_lshrrev_b32_e32 v48, 3, v38
	v_sub_u32_e32 v34, 29, v49
	v_cndmask_b32_e32 v38, v41, v46, vcc
	v_mov_b32_e32 v41, 24
	v_cndmask_b32_e32 v34, v48, v34, vcc
	v_lshlrev_b32_sdwa v41, v41, v36 dst_sel:DWORD dst_unused:UNUSED_PAD src0_sel:DWORD src1_sel:WORD_1
	v_bfrev_b32_e32 v46, 60
	v_lshlrev_b32_e32 v38, 20, v38
	v_and_b32_e32 v41, 0x80000000, v41
	v_lshl_add_u32 v34, v34, 23, v46
	v_or3_b32 v34, v41, v34, v38
	v_lshrrev_b32_e32 v41, 16, v34
.LBB795_80:
	s_or_b64 exec, exec, s[22:23]
.LBB795_81:
	s_or_b64 exec, exec, s[20:21]
.LBB795_82:
	s_or_b64 exec, exec, s[10:11]
	s_mov_b32 s10, 0xffffff
	v_cmp_lt_u32_e32 vcc, s10, v36
	v_mov_b32_e32 v46, 0
	s_and_saveexec_b64 s[10:11], vcc
	s_cbranch_execz .LBB795_88
; %bb.83:
	v_lshrrev_b32_e32 v34, 24, v36
	s_movk_i32 s20, 0x80
	v_cmp_ne_u32_e32 vcc, s20, v34
	v_mov_b32_e32 v46, 0xffff8000
	s_and_saveexec_b64 s[20:21], vcc
	s_cbranch_execz .LBB795_87
; %bb.84:
	v_bfe_u32 v38, v36, 24, 7
	s_movk_i32 s22, 0x7f
	v_cmp_ne_u32_e32 vcc, s22, v38
	v_mov_b32_e32 v46, 0x7f80
	s_and_saveexec_b64 s[22:23], vcc
	s_cbranch_execz .LBB795_86
; %bb.85:
	v_and_b32_e32 v48, 7, v34
	v_ffbh_u32_e32 v46, v48
	v_min_u32_e32 v50, 32, v46
	v_subrev_u32_e32 v46, 28, v50
	v_lshlrev_b64 v[46:47], v46, v[34:35]
	v_lshrrev_b32_e32 v49, 3, v38
	v_sub_u32_e32 v47, 29, v50
	v_and_b32_e32 v46, 7, v46
	v_cmp_gt_u32_e32 vcc, 8, v38
	v_cndmask_b32_e32 v38, v49, v47, vcc
	v_cndmask_b32_e32 v46, v48, v46, vcc
	v_lshlrev_b32_e32 v34, 24, v34
	v_bfrev_b32_e32 v47, 60
	v_lshlrev_b32_e32 v46, 20, v46
	v_and_b32_e32 v34, 0x80000000, v34
	v_lshl_add_u32 v38, v38, 23, v47
	v_or3_b32 v34, v34, v38, v46
	v_lshrrev_b32_e32 v46, 16, v34
.LBB795_86:
	s_or_b64 exec, exec, s[22:23]
.LBB795_87:
	s_or_b64 exec, exec, s[20:21]
.LBB795_88:
	s_or_b64 exec, exec, s[10:11]
	v_mov_b32_e32 v47, 0
	v_mov_b32_e32 v34, v37
	v_cmp_ne_u16_sdwa s[20:21], v37, v47 src0_sel:BYTE_0 src1_sel:DWORD
	v_mov_b32_e32 v48, 0
	s_and_saveexec_b64 s[10:11], s[20:21]
	s_cbranch_execz .LBB795_94
; %bb.89:
	s_movk_i32 s20, 0x80
	v_cmp_ne_u16_sdwa s[22:23], v37, s20 src0_sel:BYTE_0 src1_sel:DWORD
	v_mov_b32_e32 v48, 0xffff8000
	s_and_saveexec_b64 s[20:21], s[22:23]
	s_cbranch_execz .LBB795_93
; %bb.90:
	s_movk_i32 s22, 0x7f
	v_and_b32_e32 v38, 0x7f, v37
	v_cmp_ne_u32_e32 vcc, s22, v38
	v_mov_b32_e32 v48, 0x7f80
	s_and_saveexec_b64 s[22:23], vcc
	s_cbranch_execz .LBB795_92
; %bb.91:
	v_and_b32_e32 v48, 7, v37
	v_ffbh_u32_e32 v48, v48
	v_min_u32_e32 v48, 32, v48
	v_lshrrev_b32_e32 v49, 3, v38
	v_subrev_u32_e32 v50, 28, v48
	v_sub_u32_e32 v48, 29, v48
	v_cmp_gt_u32_e32 vcc, 8, v38
	v_cndmask_b32_e32 v38, v49, v48, vcc
	v_cndmask_b32_e32 v48, 0, v50, vcc
	v_lshlrev_b64 v[48:49], v48, v[34:35]
	v_lshlrev_b32_e32 v35, 20, v48
	v_lshlrev_b32_e32 v48, 24, v34
	v_bfrev_b32_e32 v49, 60
	v_and_b32_e32 v35, 0x700000, v35
	v_and_b32_e32 v48, 0x80000000, v48
	v_lshl_add_u32 v38, v38, 23, v49
	v_or3_b32 v35, v48, v38, v35
	v_lshrrev_b32_e32 v48, 16, v35
.LBB795_92:
	s_or_b64 exec, exec, s[22:23]
.LBB795_93:
	s_or_b64 exec, exec, s[20:21]
.LBB795_94:
	s_or_b64 exec, exec, s[10:11]
	v_lshrrev_b16_e32 v38, 8, v34
	v_cmp_ne_u16_e32 vcc, 0, v38
	s_and_saveexec_b64 s[10:11], vcc
	s_cbranch_execz .LBB795_100
; %bb.95:
	s_movk_i32 s20, 0x80
	v_cmp_ne_u16_e32 vcc, s20, v38
	v_mov_b32_e32 v47, 0xffff8000
	s_and_saveexec_b64 s[20:21], vcc
	s_cbranch_execz .LBB795_99
; %bb.96:
	s_movk_i32 s22, 0x7f
	v_and_b32_e32 v35, 0x7f, v38
	v_cmp_ne_u32_e32 vcc, s22, v35
	v_mov_b32_e32 v47, 0x7f80
	s_and_saveexec_b64 s[22:23], vcc
	s_cbranch_execz .LBB795_98
; %bb.97:
	v_and_b32_e32 v47, 7, v38
	v_ffbh_u32_e32 v50, v47
	v_min_u32_e32 v52, 32, v50
	v_subrev_u32_e32 v50, 28, v52
	v_lshlrev_b64 v[50:51], v50, v[38:39]
	v_lshrrev_b32_e32 v49, 3, v35
	v_sub_u32_e32 v38, 29, v52
	v_and_b32_e32 v50, 7, v50
	v_cmp_gt_u32_e32 vcc, 8, v35
	v_cndmask_b32_e32 v35, v49, v38, vcc
	v_cndmask_b32_e32 v38, v47, v50, vcc
	v_lshlrev_b32_e32 v34, 16, v34
	v_bfrev_b32_e32 v47, 60
	v_lshlrev_b32_e32 v38, 20, v38
	v_and_b32_e32 v34, 0x80000000, v34
	v_lshl_add_u32 v35, v35, 23, v47
	v_or3_b32 v34, v34, v35, v38
	v_lshrrev_b32_e32 v47, 16, v34
.LBB795_98:
	s_or_b64 exec, exec, s[22:23]
.LBB795_99:
	s_or_b64 exec, exec, s[20:21]
.LBB795_100:
	s_or_b64 exec, exec, s[10:11]
	s_movk_i32 s10, 0xff
	v_and_b32_sdwa v49, v37, s10 dst_sel:DWORD dst_unused:UNUSED_PAD src0_sel:WORD_1 src1_sel:DWORD
	v_lshrrev_b32_e32 v34, 16, v37
	v_cmp_ne_u16_e32 vcc, 0, v49
	v_mov_b32_e32 v35, 0
	v_mov_b32_e32 v38, 0
	s_and_saveexec_b64 s[10:11], vcc
	s_cbranch_execz .LBB795_106
; %bb.101:
	s_movk_i32 s20, 0x80
	v_cmp_ne_u16_e32 vcc, s20, v49
	v_mov_b32_e32 v38, 0xffff8000
	s_and_saveexec_b64 s[20:21], vcc
	s_cbranch_execz .LBB795_105
; %bb.102:
	v_bfe_u32 v49, v37, 16, 7
	s_movk_i32 s22, 0x7f
	v_cmp_ne_u32_e32 vcc, s22, v49
	v_mov_b32_e32 v38, 0x7f80
	s_and_saveexec_b64 s[22:23], vcc
	s_cbranch_execz .LBB795_104
; %bb.103:
	v_and_b32_e32 v38, 7, v34
	v_ffbh_u32_e32 v50, v38
	v_min_u32_e32 v53, 32, v50
	v_subrev_u32_e32 v50, 28, v53
	v_lshlrev_b64 v[50:51], v50, v[34:35]
	v_lshrrev_b32_e32 v52, 3, v49
	v_sub_u32_e32 v34, 29, v53
	v_and_b32_e32 v50, 7, v50
	v_cmp_gt_u32_e32 vcc, 8, v49
	v_mov_b32_e32 v49, 24
	v_cndmask_b32_e32 v34, v52, v34, vcc
	v_cndmask_b32_e32 v38, v38, v50, vcc
	v_lshlrev_b32_sdwa v49, v49, v37 dst_sel:DWORD dst_unused:UNUSED_PAD src0_sel:DWORD src1_sel:WORD_1
	v_bfrev_b32_e32 v50, 60
	v_lshlrev_b32_e32 v38, 20, v38
	v_and_b32_e32 v49, 0x80000000, v49
	v_lshl_add_u32 v34, v34, 23, v50
	v_or3_b32 v34, v49, v34, v38
	v_lshrrev_b32_e32 v38, 16, v34
.LBB795_104:
	s_or_b64 exec, exec, s[22:23]
.LBB795_105:
	s_or_b64 exec, exec, s[20:21]
.LBB795_106:
	s_or_b64 exec, exec, s[10:11]
	s_mov_b32 s10, -1
	s_mov_b32 s11, 0xffffff
	v_cmp_lt_u64_e32 vcc, s[10:11], v[36:37]
	s_and_saveexec_b64 s[10:11], vcc
	s_cbranch_execz .LBB795_112
; %bb.107:
	v_lshrrev_b32_e32 v34, 24, v37
	s_movk_i32 s20, 0x80
	v_cmp_ne_u32_e32 vcc, s20, v34
	v_mov_b32_e32 v35, 0xffff8000
	s_and_saveexec_b64 s[20:21], vcc
	s_cbranch_execz .LBB795_111
; %bb.108:
	v_bfe_u32 v36, v37, 24, 7
	s_movk_i32 s22, 0x7f
	v_cmp_ne_u32_e32 vcc, s22, v36
	v_mov_b32_e32 v35, 0x7f80
	s_and_saveexec_b64 s[22:23], vcc
	s_cbranch_execz .LBB795_110
; %bb.109:
	v_and_b32_e32 v35, 7, v34
	v_ffbh_u32_e32 v49, v35
	v_min_u32_e32 v49, 32, v49
	v_subrev_u32_e32 v50, 28, v49
	v_lshlrev_b64 v[50:51], v50, v[34:35]
	v_lshrrev_b32_e32 v37, 3, v36
	v_sub_u32_e32 v49, 29, v49
	v_and_b32_e32 v50, 7, v50
	v_cmp_gt_u32_e32 vcc, 8, v36
	v_cndmask_b32_e32 v36, v37, v49, vcc
	v_cndmask_b32_e32 v35, v35, v50, vcc
	v_lshlrev_b32_e32 v34, 24, v34
	v_bfrev_b32_e32 v37, 60
	v_lshlrev_b32_e32 v35, 20, v35
	v_and_b32_e32 v34, 0x80000000, v34
	v_lshl_add_u32 v36, v36, 23, v37
	v_or3_b32 v34, v34, v36, v35
	v_lshrrev_b32_e32 v35, 16, v34
.LBB795_110:
	s_or_b64 exec, exec, s[22:23]
.LBB795_111:
	s_or_b64 exec, exec, s[20:21]
.LBB795_112:
	s_or_b64 exec, exec, s[10:11]
	s_mov_b32 s10, 0x5040100
	v_perm_b32 v37, v46, v41, s10
	v_perm_b32 v36, v40, v39, s10
	;; [unrolled: 1-line block ×4, first 2 shown]
	v_mfma_f32_4x4x4bf16_1k a[0:3], v[2:3], v[36:37], a[0:3] cbsz:4 abid:1
	v_mov_b32_e32 v37, 0
	v_mfma_f32_4x4x4bf16_1k a[0:3], v[4:5], v[34:35], a[0:3] cbsz:4 abid:1
	v_cmp_ne_u16_sdwa s[20:21], v30, v37 src0_sel:BYTE_0 src1_sel:DWORD
	v_mov_b32_e32 v38, 0
	s_and_saveexec_b64 s[10:11], s[20:21]
	s_cbranch_execz .LBB795_118
; %bb.113:
	s_movk_i32 s20, 0x80
	v_cmp_ne_u16_sdwa s[22:23], v30, s20 src0_sel:BYTE_0 src1_sel:DWORD
	v_mov_b32_e32 v38, 0xffff8000
	s_and_saveexec_b64 s[20:21], s[22:23]
	s_cbranch_execz .LBB795_117
; %bb.114:
	s_movk_i32 s22, 0x7f
	v_and_b32_e32 v34, 0x7f, v30
	v_cmp_ne_u32_e32 vcc, s22, v34
	v_mov_b32_e32 v38, 0x7f80
	s_and_saveexec_b64 s[22:23], vcc
	s_cbranch_execz .LBB795_116
; %bb.115:
	v_and_b32_e32 v35, 7, v30
	v_ffbh_u32_e32 v35, v35
	v_min_u32_e32 v35, 32, v35
	v_subrev_u32_e32 v38, 28, v35
	v_cmp_gt_u32_e32 vcc, 8, v34
	v_lshrrev_b32_e32 v36, 3, v34
	v_sub_u32_e32 v35, 29, v35
	v_cndmask_b32_e32 v34, 0, v38, vcc
	v_cndmask_b32_e32 v36, v36, v35, vcc
	v_lshlrev_b64 v[34:35], v34, v[30:31]
	v_lshlrev_b32_e32 v34, 20, v34
	v_lshlrev_b32_e32 v35, 24, v30
	v_bfrev_b32_e32 v38, 60
	v_and_b32_e32 v34, 0x700000, v34
	v_and_b32_e32 v35, 0x80000000, v35
	v_lshl_add_u32 v36, v36, 23, v38
	v_or3_b32 v34, v35, v36, v34
	v_lshrrev_b32_e32 v38, 16, v34
.LBB795_116:
	s_or_b64 exec, exec, s[22:23]
.LBB795_117:
	s_or_b64 exec, exec, s[20:21]
.LBB795_118:
	s_or_b64 exec, exec, s[10:11]
	v_lshrrev_b16_e32 v34, 8, v30
	v_cmp_ne_u16_e32 vcc, 0, v34
	s_and_saveexec_b64 s[10:11], vcc
	s_cbranch_execz .LBB795_124
; %bb.119:
	s_movk_i32 s20, 0x80
	v_cmp_ne_u16_e32 vcc, s20, v34
	v_mov_b32_e32 v37, 0xffff8000
	s_and_saveexec_b64 s[20:21], vcc
	s_cbranch_execz .LBB795_123
; %bb.120:
	s_movk_i32 s22, 0x7f
	v_and_b32_e32 v35, 0x7f, v34
	v_cmp_ne_u32_e32 vcc, s22, v35
	v_mov_b32_e32 v37, 0x7f80
	s_and_saveexec_b64 s[22:23], vcc
	s_cbranch_execz .LBB795_122
; %bb.121:
	v_and_b32_e32 v39, 7, v34
	v_ffbh_u32_e32 v36, v39
	v_min_u32_e32 v41, 32, v36
	v_subrev_u32_e32 v36, 28, v41
	v_lshlrev_b64 v[36:37], v36, v[34:35]
	v_lshrrev_b32_e32 v40, 3, v35
	v_sub_u32_e32 v34, 29, v41
	v_and_b32_e32 v36, 7, v36
	v_cmp_gt_u32_e32 vcc, 8, v35
	v_cndmask_b32_e32 v34, v40, v34, vcc
	v_cndmask_b32_e32 v35, v39, v36, vcc
	v_lshlrev_b32_e32 v36, 16, v30
	v_bfrev_b32_e32 v37, 60
	v_lshlrev_b32_e32 v35, 20, v35
	v_and_b32_e32 v36, 0x80000000, v36
	v_lshl_add_u32 v34, v34, 23, v37
	v_or3_b32 v34, v36, v34, v35
	v_lshrrev_b32_e32 v37, 16, v34
.LBB795_122:
	s_or_b64 exec, exec, s[22:23]
.LBB795_123:
	s_or_b64 exec, exec, s[20:21]
.LBB795_124:
	s_or_b64 exec, exec, s[10:11]
	s_movk_i32 s10, 0xff
	v_and_b32_sdwa v36, v30, s10 dst_sel:DWORD dst_unused:UNUSED_PAD src0_sel:WORD_1 src1_sel:DWORD
	v_lshrrev_b32_e32 v34, 16, v30
	v_cmp_ne_u16_e32 vcc, 0, v36
	v_mov_b32_e32 v35, 0
	v_mov_b32_e32 v39, 0
	s_and_saveexec_b64 s[10:11], vcc
	s_cbranch_execz .LBB795_130
; %bb.125:
	s_movk_i32 s20, 0x80
	v_cmp_ne_u16_e32 vcc, s20, v36
	v_mov_b32_e32 v39, 0xffff8000
	s_and_saveexec_b64 s[20:21], vcc
	s_cbranch_execz .LBB795_129
; %bb.126:
	v_bfe_u32 v36, v30, 16, 7
	s_movk_i32 s22, 0x7f
	v_cmp_ne_u32_e32 vcc, s22, v36
	v_mov_b32_e32 v39, 0x7f80
	s_and_saveexec_b64 s[22:23], vcc
	s_cbranch_execz .LBB795_128
; %bb.127:
	v_and_b32_e32 v39, 7, v34
	v_ffbh_u32_e32 v40, v39
	v_min_u32_e32 v47, 32, v40
	v_subrev_u32_e32 v40, 28, v47
	v_lshlrev_b64 v[40:41], v40, v[34:35]
	v_and_b32_e32 v40, 7, v40
	v_cmp_gt_u32_e32 vcc, 8, v36
	v_lshrrev_b32_e32 v46, 3, v36
	v_sub_u32_e32 v34, 29, v47
	v_cndmask_b32_e32 v36, v39, v40, vcc
	v_mov_b32_e32 v39, 24
	v_cndmask_b32_e32 v34, v46, v34, vcc
	v_lshlrev_b32_sdwa v39, v39, v30 dst_sel:DWORD dst_unused:UNUSED_PAD src0_sel:DWORD src1_sel:WORD_1
	v_bfrev_b32_e32 v40, 60
	v_lshlrev_b32_e32 v36, 20, v36
	v_and_b32_e32 v39, 0x80000000, v39
	v_lshl_add_u32 v34, v34, 23, v40
	v_or3_b32 v34, v39, v34, v36
	v_lshrrev_b32_e32 v39, 16, v34
.LBB795_128:
	s_or_b64 exec, exec, s[22:23]
.LBB795_129:
	s_or_b64 exec, exec, s[20:21]
.LBB795_130:
	s_or_b64 exec, exec, s[10:11]
	s_mov_b32 s10, 0xffffff
	v_cmp_lt_u32_e32 vcc, s10, v30
	v_mov_b32_e32 v40, 0
	s_and_saveexec_b64 s[10:11], vcc
	s_cbranch_execz .LBB795_136
; %bb.131:
	v_lshrrev_b32_e32 v34, 24, v30
	s_movk_i32 s20, 0x80
	v_cmp_ne_u32_e32 vcc, s20, v34
	v_mov_b32_e32 v40, 0xffff8000
	s_and_saveexec_b64 s[20:21], vcc
	s_cbranch_execz .LBB795_135
; %bb.132:
	v_bfe_u32 v36, v30, 24, 7
	s_movk_i32 s22, 0x7f
	v_cmp_ne_u32_e32 vcc, s22, v36
	v_mov_b32_e32 v40, 0x7f80
	s_and_saveexec_b64 s[22:23], vcc
	s_cbranch_execz .LBB795_134
; %bb.133:
	v_and_b32_e32 v46, 7, v34
	v_ffbh_u32_e32 v40, v46
	v_min_u32_e32 v48, 32, v40
	v_subrev_u32_e32 v40, 28, v48
	v_lshlrev_b64 v[40:41], v40, v[34:35]
	v_lshrrev_b32_e32 v47, 3, v36
	v_sub_u32_e32 v41, 29, v48
	v_and_b32_e32 v40, 7, v40
	v_cmp_gt_u32_e32 vcc, 8, v36
	v_cndmask_b32_e32 v36, v47, v41, vcc
	v_cndmask_b32_e32 v40, v46, v40, vcc
	v_lshlrev_b32_e32 v34, 24, v34
	v_bfrev_b32_e32 v41, 60
	v_lshlrev_b32_e32 v40, 20, v40
	v_and_b32_e32 v34, 0x80000000, v34
	v_lshl_add_u32 v36, v36, 23, v41
	v_or3_b32 v34, v34, v36, v40
	v_lshrrev_b32_e32 v40, 16, v34
.LBB795_134:
	s_or_b64 exec, exec, s[22:23]
.LBB795_135:
	s_or_b64 exec, exec, s[20:21]
.LBB795_136:
	s_or_b64 exec, exec, s[10:11]
	v_mov_b32_e32 v41, 0
	v_mov_b32_e32 v34, v31
	v_cmp_ne_u16_sdwa s[20:21], v31, v41 src0_sel:BYTE_0 src1_sel:DWORD
	v_mov_b32_e32 v46, 0
	s_and_saveexec_b64 s[10:11], s[20:21]
	s_cbranch_execz .LBB795_142
; %bb.137:
	s_movk_i32 s20, 0x80
	v_cmp_ne_u16_sdwa s[22:23], v31, s20 src0_sel:BYTE_0 src1_sel:DWORD
	v_mov_b32_e32 v46, 0xffff8000
	s_and_saveexec_b64 s[20:21], s[22:23]
	s_cbranch_execz .LBB795_141
; %bb.138:
	s_movk_i32 s22, 0x7f
	v_and_b32_e32 v36, 0x7f, v31
	v_cmp_ne_u32_e32 vcc, s22, v36
	v_mov_b32_e32 v46, 0x7f80
	s_and_saveexec_b64 s[22:23], vcc
	s_cbranch_execz .LBB795_140
; %bb.139:
	v_and_b32_e32 v46, 7, v31
	v_ffbh_u32_e32 v46, v46
	v_min_u32_e32 v46, 32, v46
	v_lshrrev_b32_e32 v47, 3, v36
	v_subrev_u32_e32 v48, 28, v46
	v_sub_u32_e32 v46, 29, v46
	v_cmp_gt_u32_e32 vcc, 8, v36
	v_cndmask_b32_e32 v36, v47, v46, vcc
	v_cndmask_b32_e32 v46, 0, v48, vcc
	v_lshlrev_b64 v[46:47], v46, v[34:35]
	v_lshlrev_b32_e32 v35, 20, v46
	v_lshlrev_b32_e32 v46, 24, v34
	v_bfrev_b32_e32 v47, 60
	v_and_b32_e32 v35, 0x700000, v35
	v_and_b32_e32 v46, 0x80000000, v46
	v_lshl_add_u32 v36, v36, 23, v47
	v_or3_b32 v35, v46, v36, v35
	v_lshrrev_b32_e32 v46, 16, v35
.LBB795_140:
	s_or_b64 exec, exec, s[22:23]
.LBB795_141:
	s_or_b64 exec, exec, s[20:21]
.LBB795_142:
	s_or_b64 exec, exec, s[10:11]
	v_lshrrev_b16_e32 v36, 8, v34
	v_cmp_ne_u16_e32 vcc, 0, v36
	s_and_saveexec_b64 s[10:11], vcc
	s_cbranch_execz .LBB795_148
; %bb.143:
	s_movk_i32 s20, 0x80
	v_cmp_ne_u16_e32 vcc, s20, v36
	v_mov_b32_e32 v41, 0xffff8000
	s_and_saveexec_b64 s[20:21], vcc
	s_cbranch_execz .LBB795_147
; %bb.144:
	s_movk_i32 s22, 0x7f
	v_and_b32_e32 v35, 0x7f, v36
	v_cmp_ne_u32_e32 vcc, s22, v35
	v_mov_b32_e32 v41, 0x7f80
	s_and_saveexec_b64 s[22:23], vcc
	s_cbranch_execz .LBB795_146
; %bb.145:
	v_and_b32_e32 v41, 7, v36
	v_ffbh_u32_e32 v48, v41
	v_min_u32_e32 v50, 32, v48
	v_subrev_u32_e32 v48, 28, v50
	v_lshlrev_b64 v[48:49], v48, v[36:37]
	v_lshrrev_b32_e32 v47, 3, v35
	v_sub_u32_e32 v36, 29, v50
	v_and_b32_e32 v48, 7, v48
	v_cmp_gt_u32_e32 vcc, 8, v35
	v_cndmask_b32_e32 v35, v47, v36, vcc
	v_cndmask_b32_e32 v36, v41, v48, vcc
	v_lshlrev_b32_e32 v34, 16, v34
	v_bfrev_b32_e32 v41, 60
	v_lshlrev_b32_e32 v36, 20, v36
	v_and_b32_e32 v34, 0x80000000, v34
	v_lshl_add_u32 v35, v35, 23, v41
	v_or3_b32 v34, v34, v35, v36
	v_lshrrev_b32_e32 v41, 16, v34
.LBB795_146:
	s_or_b64 exec, exec, s[22:23]
.LBB795_147:
	s_or_b64 exec, exec, s[20:21]
.LBB795_148:
	s_or_b64 exec, exec, s[10:11]
	s_movk_i32 s10, 0xff
	v_and_b32_sdwa v47, v31, s10 dst_sel:DWORD dst_unused:UNUSED_PAD src0_sel:WORD_1 src1_sel:DWORD
	v_lshrrev_b32_e32 v34, 16, v31
	v_cmp_ne_u16_e32 vcc, 0, v47
	v_mov_b32_e32 v35, 0
	v_mov_b32_e32 v36, 0
	s_and_saveexec_b64 s[10:11], vcc
	s_cbranch_execz .LBB795_154
; %bb.149:
	s_movk_i32 s20, 0x80
	v_cmp_ne_u16_e32 vcc, s20, v47
	v_mov_b32_e32 v36, 0xffff8000
	s_and_saveexec_b64 s[20:21], vcc
	s_cbranch_execz .LBB795_153
; %bb.150:
	v_bfe_u32 v47, v31, 16, 7
	s_movk_i32 s22, 0x7f
	v_cmp_ne_u32_e32 vcc, s22, v47
	v_mov_b32_e32 v36, 0x7f80
	s_and_saveexec_b64 s[22:23], vcc
	s_cbranch_execz .LBB795_152
; %bb.151:
	v_and_b32_e32 v36, 7, v34
	v_ffbh_u32_e32 v48, v36
	v_min_u32_e32 v51, 32, v48
	v_subrev_u32_e32 v48, 28, v51
	v_lshlrev_b64 v[48:49], v48, v[34:35]
	v_lshrrev_b32_e32 v50, 3, v47
	v_sub_u32_e32 v34, 29, v51
	v_and_b32_e32 v48, 7, v48
	v_cmp_gt_u32_e32 vcc, 8, v47
	v_mov_b32_e32 v47, 24
	v_cndmask_b32_e32 v34, v50, v34, vcc
	v_cndmask_b32_e32 v36, v36, v48, vcc
	v_lshlrev_b32_sdwa v47, v47, v31 dst_sel:DWORD dst_unused:UNUSED_PAD src0_sel:DWORD src1_sel:WORD_1
	v_bfrev_b32_e32 v48, 60
	v_lshlrev_b32_e32 v36, 20, v36
	v_and_b32_e32 v47, 0x80000000, v47
	v_lshl_add_u32 v34, v34, 23, v48
	v_or3_b32 v34, v47, v34, v36
	v_lshrrev_b32_e32 v36, 16, v34
.LBB795_152:
	s_or_b64 exec, exec, s[22:23]
.LBB795_153:
	s_or_b64 exec, exec, s[20:21]
.LBB795_154:
	s_or_b64 exec, exec, s[10:11]
	s_mov_b32 s10, -1
	s_mov_b32 s11, 0xffffff
	v_cmp_lt_u64_e32 vcc, s[10:11], v[30:31]
	s_and_saveexec_b64 s[10:11], vcc
	s_cbranch_execz .LBB795_160
; %bb.155:
	v_lshrrev_b32_e32 v30, 24, v31
	s_movk_i32 s20, 0x80
	v_cmp_ne_u32_e32 vcc, s20, v30
	v_mov_b32_e32 v35, 0xffff8000
	s_and_saveexec_b64 s[20:21], vcc
	s_cbranch_execz .LBB795_159
; %bb.156:
	v_bfe_u32 v31, v31, 24, 7
	s_movk_i32 s22, 0x7f
	v_cmp_ne_u32_e32 vcc, s22, v31
	v_mov_b32_e32 v35, 0x7f80
	s_and_saveexec_b64 s[22:23], vcc
	s_cbranch_execz .LBB795_158
; %bb.157:
	v_and_b32_e32 v47, 7, v30
	v_ffbh_u32_e32 v34, v47
	v_min_u32_e32 v49, 32, v34
	v_subrev_u32_e32 v34, 28, v49
	v_lshlrev_b64 v[34:35], v34, v[30:31]
	v_lshrrev_b32_e32 v48, 3, v31
	v_sub_u32_e32 v35, 29, v49
	v_and_b32_e32 v34, 7, v34
	v_cmp_gt_u32_e32 vcc, 8, v31
	v_cndmask_b32_e32 v31, v48, v35, vcc
	v_cndmask_b32_e32 v34, v47, v34, vcc
	v_lshlrev_b32_e32 v30, 24, v30
	v_bfrev_b32_e32 v35, 60
	v_lshlrev_b32_e32 v34, 20, v34
	v_and_b32_e32 v30, 0x80000000, v30
	v_lshl_add_u32 v31, v31, 23, v35
	v_or3_b32 v30, v30, v31, v34
	v_lshrrev_b32_e32 v35, 16, v30
.LBB795_158:
	s_or_b64 exec, exec, s[22:23]
.LBB795_159:
	s_or_b64 exec, exec, s[20:21]
.LBB795_160:
	s_or_b64 exec, exec, s[10:11]
	s_mov_b32 s10, 0x5040100
	v_perm_b32 v31, v40, v39, s10
	v_perm_b32 v30, v37, v38, s10
	;; [unrolled: 1-line block ×4, first 2 shown]
	v_mfma_f32_4x4x4bf16_1k a[0:3], v[2:3], v[30:31], a[0:3] cbsz:4 abid:2
	v_mov_b32_e32 v36, 0
	v_mfma_f32_4x4x4bf16_1k a[0:3], v[4:5], v[34:35], a[0:3] cbsz:4 abid:2
	v_mov_b32_e32 v35, 0
	v_cmp_ne_u16_sdwa s[20:21], v32, v35 src0_sel:BYTE_0 src1_sel:DWORD
	s_and_saveexec_b64 s[10:11], s[20:21]
	s_cbranch_execz .LBB795_166
; %bb.161:
	s_movk_i32 s20, 0x80
	v_cmp_ne_u16_sdwa s[22:23], v32, s20 src0_sel:BYTE_0 src1_sel:DWORD
	v_mov_b32_e32 v36, 0xffff8000
	s_and_saveexec_b64 s[20:21], s[22:23]
	s_cbranch_execz .LBB795_165
; %bb.162:
	s_movk_i32 s22, 0x7f
	v_and_b32_e32 v30, 0x7f, v32
	v_cmp_ne_u32_e32 vcc, s22, v30
	v_mov_b32_e32 v36, 0x7f80
	s_and_saveexec_b64 s[22:23], vcc
	s_cbranch_execz .LBB795_164
; %bb.163:
	v_and_b32_e32 v31, 7, v32
	v_ffbh_u32_e32 v31, v31
	v_min_u32_e32 v31, 32, v31
	v_subrev_u32_e32 v36, 28, v31
	v_cmp_gt_u32_e32 vcc, 8, v30
	v_lshrrev_b32_e32 v34, 3, v30
	v_sub_u32_e32 v31, 29, v31
	v_cndmask_b32_e32 v30, 0, v36, vcc
	v_cndmask_b32_e32 v34, v34, v31, vcc
	v_lshlrev_b64 v[30:31], v30, v[32:33]
	v_lshlrev_b32_e32 v30, 20, v30
	v_lshlrev_b32_e32 v31, 24, v32
	v_bfrev_b32_e32 v36, 60
	v_and_b32_e32 v30, 0x700000, v30
	v_and_b32_e32 v31, 0x80000000, v31
	v_lshl_add_u32 v34, v34, 23, v36
	v_or3_b32 v30, v31, v34, v30
	v_lshrrev_b32_e32 v36, 16, v30
.LBB795_164:
	s_or_b64 exec, exec, s[22:23]
.LBB795_165:
	s_or_b64 exec, exec, s[20:21]
.LBB795_166:
	s_or_b64 exec, exec, s[10:11]
	v_lshrrev_b16_e32 v30, 8, v32
	v_cmp_ne_u16_e32 vcc, 0, v30
	s_and_saveexec_b64 s[10:11], vcc
	s_cbranch_execz .LBB795_172
; %bb.167:
	s_movk_i32 s20, 0x80
	v_cmp_ne_u16_e32 vcc, s20, v30
	v_mov_b32_e32 v35, 0xffff8000
	s_and_saveexec_b64 s[20:21], vcc
	s_cbranch_execz .LBB795_171
; %bb.168:
	s_movk_i32 s22, 0x7f
	v_and_b32_e32 v31, 0x7f, v30
	v_cmp_ne_u32_e32 vcc, s22, v31
	v_mov_b32_e32 v35, 0x7f80
	s_and_saveexec_b64 s[22:23], vcc
	s_cbranch_execz .LBB795_170
; %bb.169:
	v_and_b32_e32 v37, 7, v30
	v_ffbh_u32_e32 v34, v37
	v_min_u32_e32 v39, 32, v34
	v_subrev_u32_e32 v34, 28, v39
	v_lshlrev_b64 v[34:35], v34, v[30:31]
	v_lshrrev_b32_e32 v38, 3, v31
	v_sub_u32_e32 v30, 29, v39
	v_and_b32_e32 v34, 7, v34
	v_cmp_gt_u32_e32 vcc, 8, v31
	v_cndmask_b32_e32 v30, v38, v30, vcc
	v_cndmask_b32_e32 v31, v37, v34, vcc
	v_lshlrev_b32_e32 v34, 16, v32
	v_bfrev_b32_e32 v35, 60
	v_lshlrev_b32_e32 v31, 20, v31
	v_and_b32_e32 v34, 0x80000000, v34
	v_lshl_add_u32 v30, v30, 23, v35
	v_or3_b32 v30, v34, v30, v31
	v_lshrrev_b32_e32 v35, 16, v30
.LBB795_170:
	s_or_b64 exec, exec, s[22:23]
.LBB795_171:
	s_or_b64 exec, exec, s[20:21]
.LBB795_172:
	s_or_b64 exec, exec, s[10:11]
	s_movk_i32 s10, 0xff
	v_and_b32_sdwa v34, v32, s10 dst_sel:DWORD dst_unused:UNUSED_PAD src0_sel:WORD_1 src1_sel:DWORD
	v_lshrrev_b32_e32 v30, 16, v32
	v_cmp_ne_u16_e32 vcc, 0, v34
	v_mov_b32_e32 v31, 0
	v_mov_b32_e32 v37, 0
	s_and_saveexec_b64 s[10:11], vcc
	s_cbranch_execz .LBB795_178
; %bb.173:
	s_movk_i32 s20, 0x80
	v_cmp_ne_u16_e32 vcc, s20, v34
	v_mov_b32_e32 v37, 0xffff8000
	s_and_saveexec_b64 s[20:21], vcc
	s_cbranch_execz .LBB795_177
; %bb.174:
	v_bfe_u32 v34, v32, 16, 7
	s_movk_i32 s22, 0x7f
	v_cmp_ne_u32_e32 vcc, s22, v34
	v_mov_b32_e32 v37, 0x7f80
	s_and_saveexec_b64 s[22:23], vcc
	s_cbranch_execz .LBB795_176
; %bb.175:
	v_and_b32_e32 v37, 7, v30
	v_ffbh_u32_e32 v38, v37
	v_min_u32_e32 v41, 32, v38
	v_subrev_u32_e32 v38, 28, v41
	v_lshlrev_b64 v[38:39], v38, v[30:31]
	v_and_b32_e32 v38, 7, v38
	v_cmp_gt_u32_e32 vcc, 8, v34
	v_lshrrev_b32_e32 v40, 3, v34
	v_sub_u32_e32 v30, 29, v41
	v_cndmask_b32_e32 v34, v37, v38, vcc
	v_mov_b32_e32 v37, 24
	v_cndmask_b32_e32 v30, v40, v30, vcc
	v_lshlrev_b32_sdwa v37, v37, v32 dst_sel:DWORD dst_unused:UNUSED_PAD src0_sel:DWORD src1_sel:WORD_1
	v_bfrev_b32_e32 v38, 60
	v_lshlrev_b32_e32 v34, 20, v34
	v_and_b32_e32 v37, 0x80000000, v37
	v_lshl_add_u32 v30, v30, 23, v38
	v_or3_b32 v30, v37, v30, v34
	v_lshrrev_b32_e32 v37, 16, v30
.LBB795_176:
	s_or_b64 exec, exec, s[22:23]
.LBB795_177:
	s_or_b64 exec, exec, s[20:21]
.LBB795_178:
	s_or_b64 exec, exec, s[10:11]
	s_mov_b32 s10, 0xffffff
	v_cmp_lt_u32_e32 vcc, s10, v32
	v_mov_b32_e32 v38, 0
	s_and_saveexec_b64 s[10:11], vcc
	s_cbranch_execz .LBB795_184
; %bb.179:
	v_lshrrev_b32_e32 v30, 24, v32
	s_movk_i32 s20, 0x80
	v_cmp_ne_u32_e32 vcc, s20, v30
	v_mov_b32_e32 v38, 0xffff8000
	s_and_saveexec_b64 s[20:21], vcc
	s_cbranch_execz .LBB795_183
; %bb.180:
	v_bfe_u32 v34, v32, 24, 7
	s_movk_i32 s22, 0x7f
	v_cmp_ne_u32_e32 vcc, s22, v34
	v_mov_b32_e32 v38, 0x7f80
	s_and_saveexec_b64 s[22:23], vcc
	s_cbranch_execz .LBB795_182
; %bb.181:
	v_and_b32_e32 v40, 7, v30
	v_ffbh_u32_e32 v38, v40
	v_min_u32_e32 v46, 32, v38
	v_subrev_u32_e32 v38, 28, v46
	v_lshlrev_b64 v[38:39], v38, v[30:31]
	v_lshrrev_b32_e32 v41, 3, v34
	v_sub_u32_e32 v39, 29, v46
	v_and_b32_e32 v38, 7, v38
	v_cmp_gt_u32_e32 vcc, 8, v34
	v_cndmask_b32_e32 v34, v41, v39, vcc
	v_cndmask_b32_e32 v38, v40, v38, vcc
	v_lshlrev_b32_e32 v30, 24, v30
	v_bfrev_b32_e32 v39, 60
	v_lshlrev_b32_e32 v38, 20, v38
	v_and_b32_e32 v30, 0x80000000, v30
	v_lshl_add_u32 v34, v34, 23, v39
	v_or3_b32 v30, v30, v34, v38
	v_lshrrev_b32_e32 v38, 16, v30
.LBB795_182:
	s_or_b64 exec, exec, s[22:23]
.LBB795_183:
	s_or_b64 exec, exec, s[20:21]
.LBB795_184:
	s_or_b64 exec, exec, s[10:11]
	v_mov_b32_e32 v39, 0
	v_mov_b32_e32 v30, v33
	v_cmp_ne_u16_sdwa s[20:21], v33, v39 src0_sel:BYTE_0 src1_sel:DWORD
	v_mov_b32_e32 v40, 0
	s_and_saveexec_b64 s[10:11], s[20:21]
	s_cbranch_execz .LBB795_190
; %bb.185:
	s_movk_i32 s20, 0x80
	v_cmp_ne_u16_sdwa s[22:23], v33, s20 src0_sel:BYTE_0 src1_sel:DWORD
	v_mov_b32_e32 v40, 0xffff8000
	s_and_saveexec_b64 s[20:21], s[22:23]
	s_cbranch_execz .LBB795_189
; %bb.186:
	s_movk_i32 s22, 0x7f
	v_and_b32_e32 v34, 0x7f, v33
	v_cmp_ne_u32_e32 vcc, s22, v34
	v_mov_b32_e32 v40, 0x7f80
	s_and_saveexec_b64 s[22:23], vcc
	s_cbranch_execz .LBB795_188
; %bb.187:
	v_and_b32_e32 v40, 7, v33
	v_ffbh_u32_e32 v40, v40
	v_min_u32_e32 v40, 32, v40
	v_lshrrev_b32_e32 v41, 3, v34
	v_subrev_u32_e32 v46, 28, v40
	v_sub_u32_e32 v40, 29, v40
	v_cmp_gt_u32_e32 vcc, 8, v34
	v_cndmask_b32_e32 v34, v41, v40, vcc
	v_cndmask_b32_e32 v40, 0, v46, vcc
	v_lshlrev_b64 v[40:41], v40, v[30:31]
	v_lshlrev_b32_e32 v31, 20, v40
	v_lshlrev_b32_e32 v40, 24, v30
	v_bfrev_b32_e32 v41, 60
	v_and_b32_e32 v31, 0x700000, v31
	v_and_b32_e32 v40, 0x80000000, v40
	v_lshl_add_u32 v34, v34, 23, v41
	v_or3_b32 v31, v40, v34, v31
	v_lshrrev_b32_e32 v40, 16, v31
.LBB795_188:
	s_or_b64 exec, exec, s[22:23]
.LBB795_189:
	s_or_b64 exec, exec, s[20:21]
.LBB795_190:
	s_or_b64 exec, exec, s[10:11]
	v_lshrrev_b16_e32 v34, 8, v30
	v_cmp_ne_u16_e32 vcc, 0, v34
	s_and_saveexec_b64 s[10:11], vcc
	s_cbranch_execz .LBB795_196
; %bb.191:
	s_movk_i32 s20, 0x80
	v_cmp_ne_u16_e32 vcc, s20, v34
	v_mov_b32_e32 v39, 0xffff8000
	s_and_saveexec_b64 s[20:21], vcc
	s_cbranch_execz .LBB795_195
; %bb.192:
	s_movk_i32 s22, 0x7f
	v_and_b32_e32 v31, 0x7f, v34
	v_cmp_ne_u32_e32 vcc, s22, v31
	v_mov_b32_e32 v39, 0x7f80
	s_and_saveexec_b64 s[22:23], vcc
	s_cbranch_execz .LBB795_194
; %bb.193:
	v_and_b32_e32 v39, 7, v34
	v_ffbh_u32_e32 v46, v39
	v_min_u32_e32 v48, 32, v46
	v_subrev_u32_e32 v46, 28, v48
	v_lshlrev_b64 v[46:47], v46, v[34:35]
	v_lshrrev_b32_e32 v41, 3, v31
	v_sub_u32_e32 v34, 29, v48
	v_and_b32_e32 v46, 7, v46
	v_cmp_gt_u32_e32 vcc, 8, v31
	v_cndmask_b32_e32 v31, v41, v34, vcc
	v_cndmask_b32_e32 v34, v39, v46, vcc
	v_lshlrev_b32_e32 v30, 16, v30
	v_bfrev_b32_e32 v39, 60
	v_lshlrev_b32_e32 v34, 20, v34
	v_and_b32_e32 v30, 0x80000000, v30
	v_lshl_add_u32 v31, v31, 23, v39
	v_or3_b32 v30, v30, v31, v34
	v_lshrrev_b32_e32 v39, 16, v30
.LBB795_194:
	s_or_b64 exec, exec, s[22:23]
.LBB795_195:
	s_or_b64 exec, exec, s[20:21]
.LBB795_196:
	s_or_b64 exec, exec, s[10:11]
	s_movk_i32 s10, 0xff
	v_and_b32_sdwa v41, v33, s10 dst_sel:DWORD dst_unused:UNUSED_PAD src0_sel:WORD_1 src1_sel:DWORD
	v_lshrrev_b32_e32 v30, 16, v33
	v_cmp_ne_u16_e32 vcc, 0, v41
	v_mov_b32_e32 v31, 0
	v_mov_b32_e32 v34, 0
	s_and_saveexec_b64 s[10:11], vcc
	s_cbranch_execz .LBB795_202
; %bb.197:
	s_movk_i32 s20, 0x80
	v_cmp_ne_u16_e32 vcc, s20, v41
	v_mov_b32_e32 v34, 0xffff8000
	s_and_saveexec_b64 s[20:21], vcc
	s_cbranch_execz .LBB795_201
; %bb.198:
	v_bfe_u32 v41, v33, 16, 7
	s_movk_i32 s22, 0x7f
	v_cmp_ne_u32_e32 vcc, s22, v41
	v_mov_b32_e32 v34, 0x7f80
	s_and_saveexec_b64 s[22:23], vcc
	s_cbranch_execz .LBB795_200
; %bb.199:
	v_and_b32_e32 v34, 7, v30
	v_ffbh_u32_e32 v46, v34
	v_min_u32_e32 v49, 32, v46
	v_subrev_u32_e32 v46, 28, v49
	v_lshlrev_b64 v[46:47], v46, v[30:31]
	v_lshrrev_b32_e32 v48, 3, v41
	v_sub_u32_e32 v30, 29, v49
	v_and_b32_e32 v46, 7, v46
	v_cmp_gt_u32_e32 vcc, 8, v41
	v_mov_b32_e32 v41, 24
	v_cndmask_b32_e32 v30, v48, v30, vcc
	v_cndmask_b32_e32 v34, v34, v46, vcc
	v_lshlrev_b32_sdwa v41, v41, v33 dst_sel:DWORD dst_unused:UNUSED_PAD src0_sel:DWORD src1_sel:WORD_1
	v_bfrev_b32_e32 v46, 60
	v_lshlrev_b32_e32 v34, 20, v34
	v_and_b32_e32 v41, 0x80000000, v41
	v_lshl_add_u32 v30, v30, 23, v46
	v_or3_b32 v30, v41, v30, v34
	v_lshrrev_b32_e32 v34, 16, v30
.LBB795_200:
	s_or_b64 exec, exec, s[22:23]
.LBB795_201:
	s_or_b64 exec, exec, s[20:21]
.LBB795_202:
	s_or_b64 exec, exec, s[10:11]
	s_mov_b32 s10, -1
	s_mov_b32 s11, 0xffffff
	v_cmp_lt_u64_e32 vcc, s[10:11], v[32:33]
	s_and_saveexec_b64 s[10:11], vcc
	s_cbranch_execz .LBB795_208
; %bb.203:
	v_lshrrev_b32_e32 v30, 24, v33
	s_movk_i32 s20, 0x80
	v_cmp_ne_u32_e32 vcc, s20, v30
	v_mov_b32_e32 v31, 0xffff8000
	s_and_saveexec_b64 s[20:21], vcc
	s_cbranch_execz .LBB795_207
; %bb.204:
	v_bfe_u32 v32, v33, 24, 7
	s_movk_i32 s22, 0x7f
	v_cmp_ne_u32_e32 vcc, s22, v32
	v_mov_b32_e32 v31, 0x7f80
	s_and_saveexec_b64 s[22:23], vcc
	s_cbranch_execz .LBB795_206
; %bb.205:
	v_and_b32_e32 v31, 7, v30
	v_ffbh_u32_e32 v41, v31
	v_min_u32_e32 v41, 32, v41
	v_subrev_u32_e32 v46, 28, v41
	v_lshlrev_b64 v[46:47], v46, v[30:31]
	v_lshrrev_b32_e32 v33, 3, v32
	v_sub_u32_e32 v41, 29, v41
	v_and_b32_e32 v46, 7, v46
	v_cmp_gt_u32_e32 vcc, 8, v32
	v_cndmask_b32_e32 v32, v33, v41, vcc
	v_cndmask_b32_e32 v31, v31, v46, vcc
	v_lshlrev_b32_e32 v30, 24, v30
	v_bfrev_b32_e32 v33, 60
	v_lshlrev_b32_e32 v31, 20, v31
	v_and_b32_e32 v30, 0x80000000, v30
	v_lshl_add_u32 v32, v32, 23, v33
	v_or3_b32 v30, v30, v32, v31
	v_lshrrev_b32_e32 v31, 16, v30
.LBB795_206:
	s_or_b64 exec, exec, s[22:23]
.LBB795_207:
	s_or_b64 exec, exec, s[20:21]
.LBB795_208:
	s_or_b64 exec, exec, s[10:11]
	s_mov_b32 s10, 0x5040100
	v_perm_b32 v33, v38, v37, s10
	v_perm_b32 v32, v35, v36, s10
	;; [unrolled: 1-line block ×4, first 2 shown]
	v_mfma_f32_4x4x4bf16_1k a[0:3], v[2:3], v[32:33], a[0:3] cbsz:4 abid:3
	v_mov_b32_e32 v33, 0
	v_mfma_f32_4x4x4bf16_1k a[0:3], v[4:5], v[30:31], a[0:3] cbsz:4 abid:3
	v_cmp_ne_u16_sdwa s[20:21], v26, v33 src0_sel:BYTE_0 src1_sel:DWORD
	v_mov_b32_e32 v34, 0
	s_and_saveexec_b64 s[10:11], s[20:21]
	s_cbranch_execz .LBB795_214
; %bb.209:
	s_movk_i32 s20, 0x80
	v_cmp_ne_u16_sdwa s[22:23], v26, s20 src0_sel:BYTE_0 src1_sel:DWORD
	v_mov_b32_e32 v34, 0xffff8000
	s_and_saveexec_b64 s[20:21], s[22:23]
	s_cbranch_execz .LBB795_213
; %bb.210:
	s_movk_i32 s22, 0x7f
	v_and_b32_e32 v30, 0x7f, v26
	v_cmp_ne_u32_e32 vcc, s22, v30
	v_mov_b32_e32 v34, 0x7f80
	s_and_saveexec_b64 s[22:23], vcc
	s_cbranch_execz .LBB795_212
; %bb.211:
	v_and_b32_e32 v31, 7, v26
	v_ffbh_u32_e32 v31, v31
	v_min_u32_e32 v31, 32, v31
	v_subrev_u32_e32 v34, 28, v31
	v_cmp_gt_u32_e32 vcc, 8, v30
	v_lshrrev_b32_e32 v32, 3, v30
	v_sub_u32_e32 v31, 29, v31
	v_cndmask_b32_e32 v30, 0, v34, vcc
	v_cndmask_b32_e32 v32, v32, v31, vcc
	v_lshlrev_b64 v[30:31], v30, v[26:27]
	v_lshlrev_b32_e32 v30, 20, v30
	v_lshlrev_b32_e32 v31, 24, v26
	v_bfrev_b32_e32 v34, 60
	v_and_b32_e32 v30, 0x700000, v30
	v_and_b32_e32 v31, 0x80000000, v31
	v_lshl_add_u32 v32, v32, 23, v34
	v_or3_b32 v30, v31, v32, v30
	v_lshrrev_b32_e32 v34, 16, v30
.LBB795_212:
	s_or_b64 exec, exec, s[22:23]
.LBB795_213:
	s_or_b64 exec, exec, s[20:21]
.LBB795_214:
	s_or_b64 exec, exec, s[10:11]
	v_lshrrev_b16_e32 v30, 8, v26
	v_cmp_ne_u16_e32 vcc, 0, v30
	s_and_saveexec_b64 s[10:11], vcc
	s_cbranch_execz .LBB795_220
; %bb.215:
	s_movk_i32 s20, 0x80
	v_cmp_ne_u16_e32 vcc, s20, v30
	v_mov_b32_e32 v33, 0xffff8000
	s_and_saveexec_b64 s[20:21], vcc
	s_cbranch_execz .LBB795_219
; %bb.216:
	s_movk_i32 s22, 0x7f
	v_and_b32_e32 v31, 0x7f, v30
	v_cmp_ne_u32_e32 vcc, s22, v31
	v_mov_b32_e32 v33, 0x7f80
	s_and_saveexec_b64 s[22:23], vcc
	s_cbranch_execz .LBB795_218
; %bb.217:
	v_and_b32_e32 v35, 7, v30
	v_ffbh_u32_e32 v32, v35
	v_min_u32_e32 v37, 32, v32
	v_subrev_u32_e32 v32, 28, v37
	v_lshlrev_b64 v[32:33], v32, v[30:31]
	v_lshrrev_b32_e32 v36, 3, v31
	v_sub_u32_e32 v30, 29, v37
	v_and_b32_e32 v32, 7, v32
	v_cmp_gt_u32_e32 vcc, 8, v31
	v_cndmask_b32_e32 v30, v36, v30, vcc
	v_cndmask_b32_e32 v31, v35, v32, vcc
	v_lshlrev_b32_e32 v32, 16, v26
	v_bfrev_b32_e32 v33, 60
	v_lshlrev_b32_e32 v31, 20, v31
	v_and_b32_e32 v32, 0x80000000, v32
	v_lshl_add_u32 v30, v30, 23, v33
	v_or3_b32 v30, v32, v30, v31
	v_lshrrev_b32_e32 v33, 16, v30
.LBB795_218:
	s_or_b64 exec, exec, s[22:23]
.LBB795_219:
	s_or_b64 exec, exec, s[20:21]
.LBB795_220:
	s_or_b64 exec, exec, s[10:11]
	s_movk_i32 s10, 0xff
	v_and_b32_sdwa v32, v26, s10 dst_sel:DWORD dst_unused:UNUSED_PAD src0_sel:WORD_1 src1_sel:DWORD
	v_lshrrev_b32_e32 v30, 16, v26
	v_cmp_ne_u16_e32 vcc, 0, v32
	v_mov_b32_e32 v31, 0
	v_mov_b32_e32 v35, 0
	s_and_saveexec_b64 s[10:11], vcc
	s_cbranch_execz .LBB795_226
; %bb.221:
	s_movk_i32 s20, 0x80
	v_cmp_ne_u16_e32 vcc, s20, v32
	v_mov_b32_e32 v35, 0xffff8000
	s_and_saveexec_b64 s[20:21], vcc
	s_cbranch_execz .LBB795_225
; %bb.222:
	v_bfe_u32 v32, v26, 16, 7
	s_movk_i32 s22, 0x7f
	v_cmp_ne_u32_e32 vcc, s22, v32
	v_mov_b32_e32 v35, 0x7f80
	s_and_saveexec_b64 s[22:23], vcc
	s_cbranch_execz .LBB795_224
; %bb.223:
	v_and_b32_e32 v35, 7, v30
	v_ffbh_u32_e32 v36, v35
	v_min_u32_e32 v39, 32, v36
	v_subrev_u32_e32 v36, 28, v39
	v_lshlrev_b64 v[36:37], v36, v[30:31]
	v_and_b32_e32 v36, 7, v36
	v_cmp_gt_u32_e32 vcc, 8, v32
	v_lshrrev_b32_e32 v38, 3, v32
	v_sub_u32_e32 v30, 29, v39
	v_cndmask_b32_e32 v32, v35, v36, vcc
	v_mov_b32_e32 v35, 24
	v_cndmask_b32_e32 v30, v38, v30, vcc
	v_lshlrev_b32_sdwa v35, v35, v26 dst_sel:DWORD dst_unused:UNUSED_PAD src0_sel:DWORD src1_sel:WORD_1
	v_bfrev_b32_e32 v36, 60
	v_lshlrev_b32_e32 v32, 20, v32
	v_and_b32_e32 v35, 0x80000000, v35
	v_lshl_add_u32 v30, v30, 23, v36
	v_or3_b32 v30, v35, v30, v32
	v_lshrrev_b32_e32 v35, 16, v30
.LBB795_224:
	s_or_b64 exec, exec, s[22:23]
.LBB795_225:
	s_or_b64 exec, exec, s[20:21]
.LBB795_226:
	s_or_b64 exec, exec, s[10:11]
	s_mov_b32 s10, 0xffffff
	v_cmp_lt_u32_e32 vcc, s10, v26
	v_mov_b32_e32 v36, 0
	s_and_saveexec_b64 s[10:11], vcc
	s_cbranch_execz .LBB795_232
; %bb.227:
	v_lshrrev_b32_e32 v30, 24, v26
	s_movk_i32 s20, 0x80
	v_cmp_ne_u32_e32 vcc, s20, v30
	v_mov_b32_e32 v36, 0xffff8000
	s_and_saveexec_b64 s[20:21], vcc
	s_cbranch_execz .LBB795_231
; %bb.228:
	v_bfe_u32 v32, v26, 24, 7
	s_movk_i32 s22, 0x7f
	v_cmp_ne_u32_e32 vcc, s22, v32
	v_mov_b32_e32 v36, 0x7f80
	s_and_saveexec_b64 s[22:23], vcc
	s_cbranch_execz .LBB795_230
; %bb.229:
	v_and_b32_e32 v38, 7, v30
	v_ffbh_u32_e32 v36, v38
	v_min_u32_e32 v40, 32, v36
	v_subrev_u32_e32 v36, 28, v40
	v_lshlrev_b64 v[36:37], v36, v[30:31]
	v_lshrrev_b32_e32 v39, 3, v32
	v_sub_u32_e32 v37, 29, v40
	v_and_b32_e32 v36, 7, v36
	v_cmp_gt_u32_e32 vcc, 8, v32
	v_cndmask_b32_e32 v32, v39, v37, vcc
	v_cndmask_b32_e32 v36, v38, v36, vcc
	v_lshlrev_b32_e32 v30, 24, v30
	v_bfrev_b32_e32 v37, 60
	v_lshlrev_b32_e32 v36, 20, v36
	v_and_b32_e32 v30, 0x80000000, v30
	v_lshl_add_u32 v32, v32, 23, v37
	v_or3_b32 v30, v30, v32, v36
	v_lshrrev_b32_e32 v36, 16, v30
.LBB795_230:
	s_or_b64 exec, exec, s[22:23]
.LBB795_231:
	s_or_b64 exec, exec, s[20:21]
.LBB795_232:
	s_or_b64 exec, exec, s[10:11]
	v_mov_b32_e32 v37, 0
	v_mov_b32_e32 v30, v27
	v_cmp_ne_u16_sdwa s[20:21], v27, v37 src0_sel:BYTE_0 src1_sel:DWORD
	v_mov_b32_e32 v38, 0
	s_and_saveexec_b64 s[10:11], s[20:21]
	s_cbranch_execz .LBB795_238
; %bb.233:
	s_movk_i32 s20, 0x80
	v_cmp_ne_u16_sdwa s[22:23], v27, s20 src0_sel:BYTE_0 src1_sel:DWORD
	v_mov_b32_e32 v38, 0xffff8000
	s_and_saveexec_b64 s[20:21], s[22:23]
	s_cbranch_execz .LBB795_237
; %bb.234:
	s_movk_i32 s22, 0x7f
	v_and_b32_e32 v32, 0x7f, v27
	v_cmp_ne_u32_e32 vcc, s22, v32
	v_mov_b32_e32 v38, 0x7f80
	s_and_saveexec_b64 s[22:23], vcc
	s_cbranch_execz .LBB795_236
; %bb.235:
	v_and_b32_e32 v38, 7, v27
	v_ffbh_u32_e32 v38, v38
	v_min_u32_e32 v38, 32, v38
	v_lshrrev_b32_e32 v39, 3, v32
	v_subrev_u32_e32 v40, 28, v38
	v_sub_u32_e32 v38, 29, v38
	v_cmp_gt_u32_e32 vcc, 8, v32
	v_cndmask_b32_e32 v32, v39, v38, vcc
	v_cndmask_b32_e32 v38, 0, v40, vcc
	v_lshlrev_b64 v[38:39], v38, v[30:31]
	v_lshlrev_b32_e32 v31, 20, v38
	v_lshlrev_b32_e32 v38, 24, v30
	v_bfrev_b32_e32 v39, 60
	v_and_b32_e32 v31, 0x700000, v31
	v_and_b32_e32 v38, 0x80000000, v38
	v_lshl_add_u32 v32, v32, 23, v39
	v_or3_b32 v31, v38, v32, v31
	v_lshrrev_b32_e32 v38, 16, v31
.LBB795_236:
	s_or_b64 exec, exec, s[22:23]
.LBB795_237:
	s_or_b64 exec, exec, s[20:21]
.LBB795_238:
	s_or_b64 exec, exec, s[10:11]
	v_lshrrev_b16_e32 v32, 8, v30
	v_cmp_ne_u16_e32 vcc, 0, v32
	s_and_saveexec_b64 s[10:11], vcc
	s_cbranch_execz .LBB795_244
; %bb.239:
	s_movk_i32 s20, 0x80
	v_cmp_ne_u16_e32 vcc, s20, v32
	v_mov_b32_e32 v37, 0xffff8000
	s_and_saveexec_b64 s[20:21], vcc
	s_cbranch_execz .LBB795_243
; %bb.240:
	s_movk_i32 s22, 0x7f
	v_and_b32_e32 v31, 0x7f, v32
	v_cmp_ne_u32_e32 vcc, s22, v31
	v_mov_b32_e32 v37, 0x7f80
	s_and_saveexec_b64 s[22:23], vcc
	s_cbranch_execz .LBB795_242
; %bb.241:
	v_and_b32_e32 v37, 7, v32
	v_ffbh_u32_e32 v40, v37
	v_min_u32_e32 v46, 32, v40
	v_subrev_u32_e32 v40, 28, v46
	v_lshlrev_b64 v[40:41], v40, v[32:33]
	v_lshrrev_b32_e32 v39, 3, v31
	v_sub_u32_e32 v32, 29, v46
	v_and_b32_e32 v40, 7, v40
	v_cmp_gt_u32_e32 vcc, 8, v31
	v_cndmask_b32_e32 v31, v39, v32, vcc
	v_cndmask_b32_e32 v32, v37, v40, vcc
	v_lshlrev_b32_e32 v30, 16, v30
	v_bfrev_b32_e32 v37, 60
	v_lshlrev_b32_e32 v32, 20, v32
	v_and_b32_e32 v30, 0x80000000, v30
	v_lshl_add_u32 v31, v31, 23, v37
	v_or3_b32 v30, v30, v31, v32
	v_lshrrev_b32_e32 v37, 16, v30
.LBB795_242:
	s_or_b64 exec, exec, s[22:23]
.LBB795_243:
	s_or_b64 exec, exec, s[20:21]
.LBB795_244:
	s_or_b64 exec, exec, s[10:11]
	s_movk_i32 s10, 0xff
	v_and_b32_sdwa v39, v27, s10 dst_sel:DWORD dst_unused:UNUSED_PAD src0_sel:WORD_1 src1_sel:DWORD
	v_lshrrev_b32_e32 v30, 16, v27
	v_cmp_ne_u16_e32 vcc, 0, v39
	v_mov_b32_e32 v31, 0
	v_mov_b32_e32 v32, 0
	s_and_saveexec_b64 s[10:11], vcc
	s_cbranch_execz .LBB795_250
; %bb.245:
	s_movk_i32 s20, 0x80
	v_cmp_ne_u16_e32 vcc, s20, v39
	v_mov_b32_e32 v32, 0xffff8000
	s_and_saveexec_b64 s[20:21], vcc
	s_cbranch_execz .LBB795_249
; %bb.246:
	v_bfe_u32 v39, v27, 16, 7
	s_movk_i32 s22, 0x7f
	v_cmp_ne_u32_e32 vcc, s22, v39
	v_mov_b32_e32 v32, 0x7f80
	s_and_saveexec_b64 s[22:23], vcc
	s_cbranch_execz .LBB795_248
; %bb.247:
	v_and_b32_e32 v32, 7, v30
	v_ffbh_u32_e32 v40, v32
	v_min_u32_e32 v47, 32, v40
	v_subrev_u32_e32 v40, 28, v47
	v_lshlrev_b64 v[40:41], v40, v[30:31]
	v_lshrrev_b32_e32 v46, 3, v39
	v_sub_u32_e32 v30, 29, v47
	v_and_b32_e32 v40, 7, v40
	v_cmp_gt_u32_e32 vcc, 8, v39
	v_mov_b32_e32 v39, 24
	v_cndmask_b32_e32 v30, v46, v30, vcc
	v_cndmask_b32_e32 v32, v32, v40, vcc
	v_lshlrev_b32_sdwa v39, v39, v27 dst_sel:DWORD dst_unused:UNUSED_PAD src0_sel:DWORD src1_sel:WORD_1
	v_bfrev_b32_e32 v40, 60
	v_lshlrev_b32_e32 v32, 20, v32
	v_and_b32_e32 v39, 0x80000000, v39
	v_lshl_add_u32 v30, v30, 23, v40
	v_or3_b32 v30, v39, v30, v32
	v_lshrrev_b32_e32 v32, 16, v30
.LBB795_248:
	s_or_b64 exec, exec, s[22:23]
.LBB795_249:
	s_or_b64 exec, exec, s[20:21]
.LBB795_250:
	s_or_b64 exec, exec, s[10:11]
	s_mov_b32 s10, -1
	s_mov_b32 s11, 0xffffff
	v_cmp_lt_u64_e32 vcc, s[10:11], v[26:27]
	s_and_saveexec_b64 s[10:11], vcc
	s_cbranch_execz .LBB795_256
; %bb.251:
	v_lshrrev_b32_e32 v26, 24, v27
	s_movk_i32 s20, 0x80
	v_cmp_ne_u32_e32 vcc, s20, v26
	v_mov_b32_e32 v31, 0xffff8000
	s_and_saveexec_b64 s[20:21], vcc
	s_cbranch_execz .LBB795_255
; %bb.252:
	v_bfe_u32 v27, v27, 24, 7
	s_movk_i32 s22, 0x7f
	v_cmp_ne_u32_e32 vcc, s22, v27
	v_mov_b32_e32 v31, 0x7f80
	s_and_saveexec_b64 s[22:23], vcc
	s_cbranch_execz .LBB795_254
; %bb.253:
	v_and_b32_e32 v39, 7, v26
	v_ffbh_u32_e32 v30, v39
	v_min_u32_e32 v41, 32, v30
	v_subrev_u32_e32 v30, 28, v41
	v_lshlrev_b64 v[30:31], v30, v[26:27]
	v_lshrrev_b32_e32 v40, 3, v27
	v_sub_u32_e32 v31, 29, v41
	v_and_b32_e32 v30, 7, v30
	v_cmp_gt_u32_e32 vcc, 8, v27
	v_cndmask_b32_e32 v27, v40, v31, vcc
	v_cndmask_b32_e32 v30, v39, v30, vcc
	v_lshlrev_b32_e32 v26, 24, v26
	v_bfrev_b32_e32 v31, 60
	v_lshlrev_b32_e32 v30, 20, v30
	v_and_b32_e32 v26, 0x80000000, v26
	v_lshl_add_u32 v27, v27, 23, v31
	v_or3_b32 v26, v26, v27, v30
	v_lshrrev_b32_e32 v31, 16, v26
.LBB795_254:
	s_or_b64 exec, exec, s[22:23]
.LBB795_255:
	s_or_b64 exec, exec, s[20:21]
.LBB795_256:
	s_or_b64 exec, exec, s[10:11]
	s_mov_b32 s10, 0x5040100
	v_perm_b32 v27, v36, v35, s10
	v_perm_b32 v26, v33, v34, s10
	v_perm_b32 v31, v31, v32, s10
	v_perm_b32 v30, v37, v38, s10
	v_mfma_f32_4x4x4bf16_1k a[0:3], v[2:3], v[26:27], a[0:3] cbsz:4 abid:4
	v_mov_b32_e32 v32, 0
	v_mfma_f32_4x4x4bf16_1k a[0:3], v[4:5], v[30:31], a[0:3] cbsz:4 abid:4
	v_mov_b32_e32 v31, 0
	v_cmp_ne_u16_sdwa s[20:21], v28, v31 src0_sel:BYTE_0 src1_sel:DWORD
	s_and_saveexec_b64 s[10:11], s[20:21]
	s_cbranch_execz .LBB795_262
; %bb.257:
	s_movk_i32 s20, 0x80
	v_cmp_ne_u16_sdwa s[22:23], v28, s20 src0_sel:BYTE_0 src1_sel:DWORD
	v_mov_b32_e32 v32, 0xffff8000
	s_and_saveexec_b64 s[20:21], s[22:23]
	s_cbranch_execz .LBB795_261
; %bb.258:
	s_movk_i32 s22, 0x7f
	v_and_b32_e32 v26, 0x7f, v28
	v_cmp_ne_u32_e32 vcc, s22, v26
	v_mov_b32_e32 v32, 0x7f80
	s_and_saveexec_b64 s[22:23], vcc
	s_cbranch_execz .LBB795_260
; %bb.259:
	v_and_b32_e32 v27, 7, v28
	v_ffbh_u32_e32 v27, v27
	v_min_u32_e32 v27, 32, v27
	v_subrev_u32_e32 v32, 28, v27
	v_cmp_gt_u32_e32 vcc, 8, v26
	v_lshrrev_b32_e32 v30, 3, v26
	v_sub_u32_e32 v27, 29, v27
	v_cndmask_b32_e32 v26, 0, v32, vcc
	v_cndmask_b32_e32 v30, v30, v27, vcc
	v_lshlrev_b64 v[26:27], v26, v[28:29]
	v_lshlrev_b32_e32 v26, 20, v26
	v_lshlrev_b32_e32 v27, 24, v28
	v_bfrev_b32_e32 v32, 60
	v_and_b32_e32 v26, 0x700000, v26
	v_and_b32_e32 v27, 0x80000000, v27
	v_lshl_add_u32 v30, v30, 23, v32
	v_or3_b32 v26, v27, v30, v26
	v_lshrrev_b32_e32 v32, 16, v26
.LBB795_260:
	s_or_b64 exec, exec, s[22:23]
.LBB795_261:
	s_or_b64 exec, exec, s[20:21]
.LBB795_262:
	s_or_b64 exec, exec, s[10:11]
	v_lshrrev_b16_e32 v26, 8, v28
	v_cmp_ne_u16_e32 vcc, 0, v26
	s_and_saveexec_b64 s[10:11], vcc
	s_cbranch_execz .LBB795_268
; %bb.263:
	s_movk_i32 s20, 0x80
	v_cmp_ne_u16_e32 vcc, s20, v26
	v_mov_b32_e32 v31, 0xffff8000
	s_and_saveexec_b64 s[20:21], vcc
	s_cbranch_execz .LBB795_267
; %bb.264:
	s_movk_i32 s22, 0x7f
	v_and_b32_e32 v27, 0x7f, v26
	v_cmp_ne_u32_e32 vcc, s22, v27
	v_mov_b32_e32 v31, 0x7f80
	s_and_saveexec_b64 s[22:23], vcc
	s_cbranch_execz .LBB795_266
; %bb.265:
	v_and_b32_e32 v33, 7, v26
	v_ffbh_u32_e32 v30, v33
	v_min_u32_e32 v35, 32, v30
	v_subrev_u32_e32 v30, 28, v35
	v_lshlrev_b64 v[30:31], v30, v[26:27]
	v_lshrrev_b32_e32 v34, 3, v27
	v_sub_u32_e32 v26, 29, v35
	v_and_b32_e32 v30, 7, v30
	v_cmp_gt_u32_e32 vcc, 8, v27
	v_cndmask_b32_e32 v26, v34, v26, vcc
	v_cndmask_b32_e32 v27, v33, v30, vcc
	v_lshlrev_b32_e32 v30, 16, v28
	v_bfrev_b32_e32 v31, 60
	v_lshlrev_b32_e32 v27, 20, v27
	v_and_b32_e32 v30, 0x80000000, v30
	v_lshl_add_u32 v26, v26, 23, v31
	v_or3_b32 v26, v30, v26, v27
	v_lshrrev_b32_e32 v31, 16, v26
.LBB795_266:
	s_or_b64 exec, exec, s[22:23]
.LBB795_267:
	s_or_b64 exec, exec, s[20:21]
.LBB795_268:
	s_or_b64 exec, exec, s[10:11]
	s_movk_i32 s10, 0xff
	v_and_b32_sdwa v30, v28, s10 dst_sel:DWORD dst_unused:UNUSED_PAD src0_sel:WORD_1 src1_sel:DWORD
	v_lshrrev_b32_e32 v26, 16, v28
	v_cmp_ne_u16_e32 vcc, 0, v30
	v_mov_b32_e32 v27, 0
	v_mov_b32_e32 v33, 0
	s_and_saveexec_b64 s[10:11], vcc
	s_cbranch_execz .LBB795_274
; %bb.269:
	s_movk_i32 s20, 0x80
	v_cmp_ne_u16_e32 vcc, s20, v30
	v_mov_b32_e32 v33, 0xffff8000
	s_and_saveexec_b64 s[20:21], vcc
	s_cbranch_execz .LBB795_273
; %bb.270:
	v_bfe_u32 v30, v28, 16, 7
	s_movk_i32 s22, 0x7f
	v_cmp_ne_u32_e32 vcc, s22, v30
	v_mov_b32_e32 v33, 0x7f80
	s_and_saveexec_b64 s[22:23], vcc
	s_cbranch_execz .LBB795_272
; %bb.271:
	v_and_b32_e32 v33, 7, v26
	v_ffbh_u32_e32 v34, v33
	v_min_u32_e32 v37, 32, v34
	v_subrev_u32_e32 v34, 28, v37
	v_lshlrev_b64 v[34:35], v34, v[26:27]
	v_and_b32_e32 v34, 7, v34
	v_cmp_gt_u32_e32 vcc, 8, v30
	v_lshrrev_b32_e32 v36, 3, v30
	v_sub_u32_e32 v26, 29, v37
	v_cndmask_b32_e32 v30, v33, v34, vcc
	v_mov_b32_e32 v33, 24
	v_cndmask_b32_e32 v26, v36, v26, vcc
	v_lshlrev_b32_sdwa v33, v33, v28 dst_sel:DWORD dst_unused:UNUSED_PAD src0_sel:DWORD src1_sel:WORD_1
	v_bfrev_b32_e32 v34, 60
	v_lshlrev_b32_e32 v30, 20, v30
	v_and_b32_e32 v33, 0x80000000, v33
	v_lshl_add_u32 v26, v26, 23, v34
	v_or3_b32 v26, v33, v26, v30
	v_lshrrev_b32_e32 v33, 16, v26
.LBB795_272:
	s_or_b64 exec, exec, s[22:23]
.LBB795_273:
	s_or_b64 exec, exec, s[20:21]
.LBB795_274:
	s_or_b64 exec, exec, s[10:11]
	s_mov_b32 s10, 0xffffff
	v_cmp_lt_u32_e32 vcc, s10, v28
	v_mov_b32_e32 v34, 0
	s_and_saveexec_b64 s[10:11], vcc
	s_cbranch_execz .LBB795_280
; %bb.275:
	v_lshrrev_b32_e32 v26, 24, v28
	s_movk_i32 s20, 0x80
	v_cmp_ne_u32_e32 vcc, s20, v26
	v_mov_b32_e32 v34, 0xffff8000
	s_and_saveexec_b64 s[20:21], vcc
	s_cbranch_execz .LBB795_279
; %bb.276:
	v_bfe_u32 v30, v28, 24, 7
	s_movk_i32 s22, 0x7f
	v_cmp_ne_u32_e32 vcc, s22, v30
	v_mov_b32_e32 v34, 0x7f80
	s_and_saveexec_b64 s[22:23], vcc
	s_cbranch_execz .LBB795_278
; %bb.277:
	v_and_b32_e32 v36, 7, v26
	v_ffbh_u32_e32 v34, v36
	v_min_u32_e32 v38, 32, v34
	v_subrev_u32_e32 v34, 28, v38
	v_lshlrev_b64 v[34:35], v34, v[26:27]
	v_lshrrev_b32_e32 v37, 3, v30
	v_sub_u32_e32 v35, 29, v38
	v_and_b32_e32 v34, 7, v34
	v_cmp_gt_u32_e32 vcc, 8, v30
	v_cndmask_b32_e32 v30, v37, v35, vcc
	v_cndmask_b32_e32 v34, v36, v34, vcc
	v_lshlrev_b32_e32 v26, 24, v26
	v_bfrev_b32_e32 v35, 60
	v_lshlrev_b32_e32 v34, 20, v34
	v_and_b32_e32 v26, 0x80000000, v26
	v_lshl_add_u32 v30, v30, 23, v35
	v_or3_b32 v26, v26, v30, v34
	v_lshrrev_b32_e32 v34, 16, v26
.LBB795_278:
	s_or_b64 exec, exec, s[22:23]
.LBB795_279:
	s_or_b64 exec, exec, s[20:21]
.LBB795_280:
	s_or_b64 exec, exec, s[10:11]
	v_mov_b32_e32 v35, 0
	v_mov_b32_e32 v26, v29
	v_cmp_ne_u16_sdwa s[20:21], v29, v35 src0_sel:BYTE_0 src1_sel:DWORD
	v_mov_b32_e32 v36, 0
	s_and_saveexec_b64 s[10:11], s[20:21]
	s_cbranch_execz .LBB795_286
; %bb.281:
	s_movk_i32 s20, 0x80
	v_cmp_ne_u16_sdwa s[22:23], v29, s20 src0_sel:BYTE_0 src1_sel:DWORD
	v_mov_b32_e32 v36, 0xffff8000
	s_and_saveexec_b64 s[20:21], s[22:23]
	s_cbranch_execz .LBB795_285
; %bb.282:
	s_movk_i32 s22, 0x7f
	v_and_b32_e32 v30, 0x7f, v29
	v_cmp_ne_u32_e32 vcc, s22, v30
	v_mov_b32_e32 v36, 0x7f80
	s_and_saveexec_b64 s[22:23], vcc
	s_cbranch_execz .LBB795_284
; %bb.283:
	v_and_b32_e32 v36, 7, v29
	v_ffbh_u32_e32 v36, v36
	v_min_u32_e32 v36, 32, v36
	v_lshrrev_b32_e32 v37, 3, v30
	v_subrev_u32_e32 v38, 28, v36
	v_sub_u32_e32 v36, 29, v36
	v_cmp_gt_u32_e32 vcc, 8, v30
	v_cndmask_b32_e32 v30, v37, v36, vcc
	v_cndmask_b32_e32 v36, 0, v38, vcc
	v_lshlrev_b64 v[36:37], v36, v[26:27]
	v_lshlrev_b32_e32 v27, 20, v36
	v_lshlrev_b32_e32 v36, 24, v26
	v_bfrev_b32_e32 v37, 60
	v_and_b32_e32 v27, 0x700000, v27
	v_and_b32_e32 v36, 0x80000000, v36
	v_lshl_add_u32 v30, v30, 23, v37
	v_or3_b32 v27, v36, v30, v27
	v_lshrrev_b32_e32 v36, 16, v27
.LBB795_284:
	s_or_b64 exec, exec, s[22:23]
.LBB795_285:
	s_or_b64 exec, exec, s[20:21]
.LBB795_286:
	s_or_b64 exec, exec, s[10:11]
	v_lshrrev_b16_e32 v30, 8, v26
	v_cmp_ne_u16_e32 vcc, 0, v30
	s_and_saveexec_b64 s[10:11], vcc
	s_cbranch_execz .LBB795_292
; %bb.287:
	s_movk_i32 s20, 0x80
	v_cmp_ne_u16_e32 vcc, s20, v30
	v_mov_b32_e32 v35, 0xffff8000
	s_and_saveexec_b64 s[20:21], vcc
	s_cbranch_execz .LBB795_291
; %bb.288:
	s_movk_i32 s22, 0x7f
	v_and_b32_e32 v27, 0x7f, v30
	v_cmp_ne_u32_e32 vcc, s22, v27
	v_mov_b32_e32 v35, 0x7f80
	s_and_saveexec_b64 s[22:23], vcc
	s_cbranch_execz .LBB795_290
; %bb.289:
	v_and_b32_e32 v35, 7, v30
	v_ffbh_u32_e32 v38, v35
	v_min_u32_e32 v40, 32, v38
	v_subrev_u32_e32 v38, 28, v40
	v_lshlrev_b64 v[38:39], v38, v[30:31]
	v_lshrrev_b32_e32 v37, 3, v27
	v_sub_u32_e32 v30, 29, v40
	v_and_b32_e32 v38, 7, v38
	v_cmp_gt_u32_e32 vcc, 8, v27
	v_cndmask_b32_e32 v27, v37, v30, vcc
	v_cndmask_b32_e32 v30, v35, v38, vcc
	v_lshlrev_b32_e32 v26, 16, v26
	v_bfrev_b32_e32 v35, 60
	v_lshlrev_b32_e32 v30, 20, v30
	v_and_b32_e32 v26, 0x80000000, v26
	v_lshl_add_u32 v27, v27, 23, v35
	v_or3_b32 v26, v26, v27, v30
	v_lshrrev_b32_e32 v35, 16, v26
.LBB795_290:
	s_or_b64 exec, exec, s[22:23]
.LBB795_291:
	s_or_b64 exec, exec, s[20:21]
.LBB795_292:
	s_or_b64 exec, exec, s[10:11]
	s_movk_i32 s10, 0xff
	v_and_b32_sdwa v37, v29, s10 dst_sel:DWORD dst_unused:UNUSED_PAD src0_sel:WORD_1 src1_sel:DWORD
	v_lshrrev_b32_e32 v26, 16, v29
	v_cmp_ne_u16_e32 vcc, 0, v37
	v_mov_b32_e32 v27, 0
	v_mov_b32_e32 v30, 0
	s_and_saveexec_b64 s[10:11], vcc
	s_cbranch_execz .LBB795_298
; %bb.293:
	s_movk_i32 s20, 0x80
	v_cmp_ne_u16_e32 vcc, s20, v37
	v_mov_b32_e32 v30, 0xffff8000
	s_and_saveexec_b64 s[20:21], vcc
	s_cbranch_execz .LBB795_297
; %bb.294:
	v_bfe_u32 v37, v29, 16, 7
	s_movk_i32 s22, 0x7f
	v_cmp_ne_u32_e32 vcc, s22, v37
	v_mov_b32_e32 v30, 0x7f80
	s_and_saveexec_b64 s[22:23], vcc
	s_cbranch_execz .LBB795_296
; %bb.295:
	v_and_b32_e32 v30, 7, v26
	v_ffbh_u32_e32 v38, v30
	v_min_u32_e32 v41, 32, v38
	v_subrev_u32_e32 v38, 28, v41
	v_lshlrev_b64 v[38:39], v38, v[26:27]
	v_lshrrev_b32_e32 v40, 3, v37
	v_sub_u32_e32 v26, 29, v41
	v_and_b32_e32 v38, 7, v38
	v_cmp_gt_u32_e32 vcc, 8, v37
	v_mov_b32_e32 v37, 24
	v_cndmask_b32_e32 v26, v40, v26, vcc
	v_cndmask_b32_e32 v30, v30, v38, vcc
	v_lshlrev_b32_sdwa v37, v37, v29 dst_sel:DWORD dst_unused:UNUSED_PAD src0_sel:DWORD src1_sel:WORD_1
	v_bfrev_b32_e32 v38, 60
	v_lshlrev_b32_e32 v30, 20, v30
	v_and_b32_e32 v37, 0x80000000, v37
	v_lshl_add_u32 v26, v26, 23, v38
	v_or3_b32 v26, v37, v26, v30
	v_lshrrev_b32_e32 v30, 16, v26
.LBB795_296:
	s_or_b64 exec, exec, s[22:23]
.LBB795_297:
	s_or_b64 exec, exec, s[20:21]
.LBB795_298:
	s_or_b64 exec, exec, s[10:11]
	s_mov_b32 s10, -1
	s_mov_b32 s11, 0xffffff
	v_cmp_lt_u64_e32 vcc, s[10:11], v[28:29]
	s_and_saveexec_b64 s[10:11], vcc
	s_cbranch_execz .LBB795_304
; %bb.299:
	v_lshrrev_b32_e32 v26, 24, v29
	s_movk_i32 s20, 0x80
	v_cmp_ne_u32_e32 vcc, s20, v26
	v_mov_b32_e32 v27, 0xffff8000
	s_and_saveexec_b64 s[20:21], vcc
	s_cbranch_execz .LBB795_303
; %bb.300:
	v_bfe_u32 v28, v29, 24, 7
	s_movk_i32 s22, 0x7f
	v_cmp_ne_u32_e32 vcc, s22, v28
	v_mov_b32_e32 v27, 0x7f80
	s_and_saveexec_b64 s[22:23], vcc
	s_cbranch_execz .LBB795_302
; %bb.301:
	v_and_b32_e32 v27, 7, v26
	v_ffbh_u32_e32 v37, v27
	v_min_u32_e32 v37, 32, v37
	v_subrev_u32_e32 v38, 28, v37
	v_lshlrev_b64 v[38:39], v38, v[26:27]
	v_lshrrev_b32_e32 v29, 3, v28
	v_sub_u32_e32 v37, 29, v37
	v_and_b32_e32 v38, 7, v38
	v_cmp_gt_u32_e32 vcc, 8, v28
	v_cndmask_b32_e32 v28, v29, v37, vcc
	v_cndmask_b32_e32 v27, v27, v38, vcc
	v_lshlrev_b32_e32 v26, 24, v26
	v_bfrev_b32_e32 v29, 60
	v_lshlrev_b32_e32 v27, 20, v27
	v_and_b32_e32 v26, 0x80000000, v26
	v_lshl_add_u32 v28, v28, 23, v29
	v_or3_b32 v26, v26, v28, v27
	v_lshrrev_b32_e32 v27, 16, v26
.LBB795_302:
	s_or_b64 exec, exec, s[22:23]
.LBB795_303:
	s_or_b64 exec, exec, s[20:21]
.LBB795_304:
	s_or_b64 exec, exec, s[10:11]
	s_mov_b32 s10, 0x5040100
	v_perm_b32 v29, v34, v33, s10
	v_perm_b32 v28, v31, v32, s10
	;; [unrolled: 1-line block ×4, first 2 shown]
	v_mfma_f32_4x4x4bf16_1k a[0:3], v[2:3], v[28:29], a[0:3] cbsz:4 abid:5
	v_mov_b32_e32 v29, 0
	v_mfma_f32_4x4x4bf16_1k a[0:3], v[4:5], v[26:27], a[0:3] cbsz:4 abid:5
	v_cmp_ne_u16_sdwa s[20:21], v22, v29 src0_sel:BYTE_0 src1_sel:DWORD
	v_mov_b32_e32 v30, 0
	s_and_saveexec_b64 s[10:11], s[20:21]
	s_cbranch_execz .LBB795_310
; %bb.305:
	s_movk_i32 s20, 0x80
	v_cmp_ne_u16_sdwa s[22:23], v22, s20 src0_sel:BYTE_0 src1_sel:DWORD
	v_mov_b32_e32 v30, 0xffff8000
	s_and_saveexec_b64 s[20:21], s[22:23]
	s_cbranch_execz .LBB795_309
; %bb.306:
	s_movk_i32 s22, 0x7f
	v_and_b32_e32 v26, 0x7f, v22
	v_cmp_ne_u32_e32 vcc, s22, v26
	v_mov_b32_e32 v30, 0x7f80
	s_and_saveexec_b64 s[22:23], vcc
	s_cbranch_execz .LBB795_308
; %bb.307:
	v_and_b32_e32 v27, 7, v22
	v_ffbh_u32_e32 v27, v27
	v_min_u32_e32 v27, 32, v27
	v_subrev_u32_e32 v30, 28, v27
	v_cmp_gt_u32_e32 vcc, 8, v26
	v_lshrrev_b32_e32 v28, 3, v26
	v_sub_u32_e32 v27, 29, v27
	v_cndmask_b32_e32 v26, 0, v30, vcc
	v_cndmask_b32_e32 v28, v28, v27, vcc
	v_lshlrev_b64 v[26:27], v26, v[22:23]
	v_lshlrev_b32_e32 v26, 20, v26
	v_lshlrev_b32_e32 v27, 24, v22
	v_bfrev_b32_e32 v30, 60
	v_and_b32_e32 v26, 0x700000, v26
	v_and_b32_e32 v27, 0x80000000, v27
	v_lshl_add_u32 v28, v28, 23, v30
	v_or3_b32 v26, v27, v28, v26
	v_lshrrev_b32_e32 v30, 16, v26
.LBB795_308:
	s_or_b64 exec, exec, s[22:23]
.LBB795_309:
	s_or_b64 exec, exec, s[20:21]
.LBB795_310:
	s_or_b64 exec, exec, s[10:11]
	v_lshrrev_b16_e32 v26, 8, v22
	v_cmp_ne_u16_e32 vcc, 0, v26
	s_and_saveexec_b64 s[10:11], vcc
	s_cbranch_execz .LBB795_316
; %bb.311:
	s_movk_i32 s20, 0x80
	v_cmp_ne_u16_e32 vcc, s20, v26
	v_mov_b32_e32 v29, 0xffff8000
	s_and_saveexec_b64 s[20:21], vcc
	s_cbranch_execz .LBB795_315
; %bb.312:
	s_movk_i32 s22, 0x7f
	v_and_b32_e32 v27, 0x7f, v26
	v_cmp_ne_u32_e32 vcc, s22, v27
	v_mov_b32_e32 v29, 0x7f80
	s_and_saveexec_b64 s[22:23], vcc
	s_cbranch_execz .LBB795_314
; %bb.313:
	v_and_b32_e32 v31, 7, v26
	v_ffbh_u32_e32 v28, v31
	v_min_u32_e32 v33, 32, v28
	v_subrev_u32_e32 v28, 28, v33
	v_lshlrev_b64 v[28:29], v28, v[26:27]
	v_lshrrev_b32_e32 v32, 3, v27
	v_sub_u32_e32 v26, 29, v33
	v_and_b32_e32 v28, 7, v28
	v_cmp_gt_u32_e32 vcc, 8, v27
	v_cndmask_b32_e32 v26, v32, v26, vcc
	v_cndmask_b32_e32 v27, v31, v28, vcc
	v_lshlrev_b32_e32 v28, 16, v22
	v_bfrev_b32_e32 v29, 60
	v_lshlrev_b32_e32 v27, 20, v27
	v_and_b32_e32 v28, 0x80000000, v28
	v_lshl_add_u32 v26, v26, 23, v29
	v_or3_b32 v26, v28, v26, v27
	v_lshrrev_b32_e32 v29, 16, v26
.LBB795_314:
	s_or_b64 exec, exec, s[22:23]
.LBB795_315:
	s_or_b64 exec, exec, s[20:21]
.LBB795_316:
	s_or_b64 exec, exec, s[10:11]
	s_movk_i32 s10, 0xff
	v_and_b32_sdwa v28, v22, s10 dst_sel:DWORD dst_unused:UNUSED_PAD src0_sel:WORD_1 src1_sel:DWORD
	v_lshrrev_b32_e32 v26, 16, v22
	v_cmp_ne_u16_e32 vcc, 0, v28
	v_mov_b32_e32 v27, 0
	v_mov_b32_e32 v31, 0
	s_and_saveexec_b64 s[10:11], vcc
	s_cbranch_execz .LBB795_322
; %bb.317:
	s_movk_i32 s20, 0x80
	v_cmp_ne_u16_e32 vcc, s20, v28
	v_mov_b32_e32 v31, 0xffff8000
	s_and_saveexec_b64 s[20:21], vcc
	s_cbranch_execz .LBB795_321
; %bb.318:
	v_bfe_u32 v28, v22, 16, 7
	s_movk_i32 s22, 0x7f
	v_cmp_ne_u32_e32 vcc, s22, v28
	v_mov_b32_e32 v31, 0x7f80
	s_and_saveexec_b64 s[22:23], vcc
	s_cbranch_execz .LBB795_320
; %bb.319:
	v_and_b32_e32 v31, 7, v26
	v_ffbh_u32_e32 v32, v31
	v_min_u32_e32 v35, 32, v32
	v_subrev_u32_e32 v32, 28, v35
	v_lshlrev_b64 v[32:33], v32, v[26:27]
	v_and_b32_e32 v32, 7, v32
	v_cmp_gt_u32_e32 vcc, 8, v28
	v_lshrrev_b32_e32 v34, 3, v28
	v_sub_u32_e32 v26, 29, v35
	v_cndmask_b32_e32 v28, v31, v32, vcc
	v_mov_b32_e32 v31, 24
	v_cndmask_b32_e32 v26, v34, v26, vcc
	v_lshlrev_b32_sdwa v31, v31, v22 dst_sel:DWORD dst_unused:UNUSED_PAD src0_sel:DWORD src1_sel:WORD_1
	v_bfrev_b32_e32 v32, 60
	v_lshlrev_b32_e32 v28, 20, v28
	v_and_b32_e32 v31, 0x80000000, v31
	v_lshl_add_u32 v26, v26, 23, v32
	v_or3_b32 v26, v31, v26, v28
	v_lshrrev_b32_e32 v31, 16, v26
.LBB795_320:
	s_or_b64 exec, exec, s[22:23]
.LBB795_321:
	s_or_b64 exec, exec, s[20:21]
.LBB795_322:
	s_or_b64 exec, exec, s[10:11]
	s_mov_b32 s10, 0xffffff
	v_cmp_lt_u32_e32 vcc, s10, v22
	v_mov_b32_e32 v32, 0
	s_and_saveexec_b64 s[10:11], vcc
	s_cbranch_execz .LBB795_328
; %bb.323:
	v_lshrrev_b32_e32 v26, 24, v22
	s_movk_i32 s20, 0x80
	v_cmp_ne_u32_e32 vcc, s20, v26
	v_mov_b32_e32 v32, 0xffff8000
	s_and_saveexec_b64 s[20:21], vcc
	s_cbranch_execz .LBB795_327
; %bb.324:
	v_bfe_u32 v28, v22, 24, 7
	s_movk_i32 s22, 0x7f
	v_cmp_ne_u32_e32 vcc, s22, v28
	v_mov_b32_e32 v32, 0x7f80
	s_and_saveexec_b64 s[22:23], vcc
	s_cbranch_execz .LBB795_326
; %bb.325:
	v_and_b32_e32 v34, 7, v26
	v_ffbh_u32_e32 v32, v34
	v_min_u32_e32 v36, 32, v32
	v_subrev_u32_e32 v32, 28, v36
	v_lshlrev_b64 v[32:33], v32, v[26:27]
	v_lshrrev_b32_e32 v35, 3, v28
	v_sub_u32_e32 v33, 29, v36
	v_and_b32_e32 v32, 7, v32
	v_cmp_gt_u32_e32 vcc, 8, v28
	v_cndmask_b32_e32 v28, v35, v33, vcc
	v_cndmask_b32_e32 v32, v34, v32, vcc
	v_lshlrev_b32_e32 v26, 24, v26
	v_bfrev_b32_e32 v33, 60
	v_lshlrev_b32_e32 v32, 20, v32
	v_and_b32_e32 v26, 0x80000000, v26
	v_lshl_add_u32 v28, v28, 23, v33
	v_or3_b32 v26, v26, v28, v32
	v_lshrrev_b32_e32 v32, 16, v26
.LBB795_326:
	s_or_b64 exec, exec, s[22:23]
.LBB795_327:
	s_or_b64 exec, exec, s[20:21]
.LBB795_328:
	s_or_b64 exec, exec, s[10:11]
	v_mov_b32_e32 v33, 0
	v_mov_b32_e32 v26, v23
	v_cmp_ne_u16_sdwa s[20:21], v23, v33 src0_sel:BYTE_0 src1_sel:DWORD
	v_mov_b32_e32 v34, 0
	s_and_saveexec_b64 s[10:11], s[20:21]
	s_cbranch_execz .LBB795_334
; %bb.329:
	s_movk_i32 s20, 0x80
	v_cmp_ne_u16_sdwa s[22:23], v23, s20 src0_sel:BYTE_0 src1_sel:DWORD
	v_mov_b32_e32 v34, 0xffff8000
	s_and_saveexec_b64 s[20:21], s[22:23]
	s_cbranch_execz .LBB795_333
; %bb.330:
	s_movk_i32 s22, 0x7f
	v_and_b32_e32 v28, 0x7f, v23
	v_cmp_ne_u32_e32 vcc, s22, v28
	v_mov_b32_e32 v34, 0x7f80
	s_and_saveexec_b64 s[22:23], vcc
	s_cbranch_execz .LBB795_332
; %bb.331:
	v_and_b32_e32 v34, 7, v23
	v_ffbh_u32_e32 v34, v34
	v_min_u32_e32 v34, 32, v34
	v_lshrrev_b32_e32 v35, 3, v28
	v_subrev_u32_e32 v36, 28, v34
	v_sub_u32_e32 v34, 29, v34
	v_cmp_gt_u32_e32 vcc, 8, v28
	v_cndmask_b32_e32 v28, v35, v34, vcc
	v_cndmask_b32_e32 v34, 0, v36, vcc
	v_lshlrev_b64 v[34:35], v34, v[26:27]
	v_lshlrev_b32_e32 v27, 20, v34
	v_lshlrev_b32_e32 v34, 24, v26
	v_bfrev_b32_e32 v35, 60
	v_and_b32_e32 v27, 0x700000, v27
	v_and_b32_e32 v34, 0x80000000, v34
	v_lshl_add_u32 v28, v28, 23, v35
	v_or3_b32 v27, v34, v28, v27
	v_lshrrev_b32_e32 v34, 16, v27
.LBB795_332:
	s_or_b64 exec, exec, s[22:23]
.LBB795_333:
	s_or_b64 exec, exec, s[20:21]
.LBB795_334:
	s_or_b64 exec, exec, s[10:11]
	v_lshrrev_b16_e32 v28, 8, v26
	v_cmp_ne_u16_e32 vcc, 0, v28
	s_and_saveexec_b64 s[10:11], vcc
	s_cbranch_execz .LBB795_340
; %bb.335:
	s_movk_i32 s20, 0x80
	v_cmp_ne_u16_e32 vcc, s20, v28
	v_mov_b32_e32 v33, 0xffff8000
	s_and_saveexec_b64 s[20:21], vcc
	s_cbranch_execz .LBB795_339
; %bb.336:
	s_movk_i32 s22, 0x7f
	v_and_b32_e32 v27, 0x7f, v28
	v_cmp_ne_u32_e32 vcc, s22, v27
	v_mov_b32_e32 v33, 0x7f80
	s_and_saveexec_b64 s[22:23], vcc
	s_cbranch_execz .LBB795_338
; %bb.337:
	v_and_b32_e32 v33, 7, v28
	v_ffbh_u32_e32 v36, v33
	v_min_u32_e32 v38, 32, v36
	v_subrev_u32_e32 v36, 28, v38
	v_lshlrev_b64 v[36:37], v36, v[28:29]
	v_lshrrev_b32_e32 v35, 3, v27
	v_sub_u32_e32 v28, 29, v38
	v_and_b32_e32 v36, 7, v36
	v_cmp_gt_u32_e32 vcc, 8, v27
	v_cndmask_b32_e32 v27, v35, v28, vcc
	v_cndmask_b32_e32 v28, v33, v36, vcc
	v_lshlrev_b32_e32 v26, 16, v26
	v_bfrev_b32_e32 v33, 60
	v_lshlrev_b32_e32 v28, 20, v28
	v_and_b32_e32 v26, 0x80000000, v26
	v_lshl_add_u32 v27, v27, 23, v33
	v_or3_b32 v26, v26, v27, v28
	v_lshrrev_b32_e32 v33, 16, v26
.LBB795_338:
	s_or_b64 exec, exec, s[22:23]
.LBB795_339:
	s_or_b64 exec, exec, s[20:21]
.LBB795_340:
	s_or_b64 exec, exec, s[10:11]
	s_movk_i32 s10, 0xff
	v_and_b32_sdwa v35, v23, s10 dst_sel:DWORD dst_unused:UNUSED_PAD src0_sel:WORD_1 src1_sel:DWORD
	v_lshrrev_b32_e32 v26, 16, v23
	v_cmp_ne_u16_e32 vcc, 0, v35
	v_mov_b32_e32 v27, 0
	v_mov_b32_e32 v28, 0
	s_and_saveexec_b64 s[10:11], vcc
	s_cbranch_execz .LBB795_346
; %bb.341:
	s_movk_i32 s20, 0x80
	v_cmp_ne_u16_e32 vcc, s20, v35
	v_mov_b32_e32 v28, 0xffff8000
	s_and_saveexec_b64 s[20:21], vcc
	s_cbranch_execz .LBB795_345
; %bb.342:
	v_bfe_u32 v35, v23, 16, 7
	s_movk_i32 s22, 0x7f
	v_cmp_ne_u32_e32 vcc, s22, v35
	v_mov_b32_e32 v28, 0x7f80
	s_and_saveexec_b64 s[22:23], vcc
	s_cbranch_execz .LBB795_344
; %bb.343:
	v_and_b32_e32 v28, 7, v26
	v_ffbh_u32_e32 v36, v28
	v_min_u32_e32 v39, 32, v36
	v_subrev_u32_e32 v36, 28, v39
	v_lshlrev_b64 v[36:37], v36, v[26:27]
	v_lshrrev_b32_e32 v38, 3, v35
	v_sub_u32_e32 v26, 29, v39
	v_and_b32_e32 v36, 7, v36
	v_cmp_gt_u32_e32 vcc, 8, v35
	v_mov_b32_e32 v35, 24
	v_cndmask_b32_e32 v26, v38, v26, vcc
	v_cndmask_b32_e32 v28, v28, v36, vcc
	v_lshlrev_b32_sdwa v35, v35, v23 dst_sel:DWORD dst_unused:UNUSED_PAD src0_sel:DWORD src1_sel:WORD_1
	v_bfrev_b32_e32 v36, 60
	v_lshlrev_b32_e32 v28, 20, v28
	v_and_b32_e32 v35, 0x80000000, v35
	v_lshl_add_u32 v26, v26, 23, v36
	v_or3_b32 v26, v35, v26, v28
	v_lshrrev_b32_e32 v28, 16, v26
.LBB795_344:
	s_or_b64 exec, exec, s[22:23]
.LBB795_345:
	s_or_b64 exec, exec, s[20:21]
.LBB795_346:
	s_or_b64 exec, exec, s[10:11]
	s_mov_b32 s10, -1
	s_mov_b32 s11, 0xffffff
	v_cmp_lt_u64_e32 vcc, s[10:11], v[22:23]
	s_and_saveexec_b64 s[10:11], vcc
	s_cbranch_execz .LBB795_352
; %bb.347:
	v_lshrrev_b32_e32 v22, 24, v23
	s_movk_i32 s20, 0x80
	v_cmp_ne_u32_e32 vcc, s20, v22
	v_mov_b32_e32 v27, 0xffff8000
	s_and_saveexec_b64 s[20:21], vcc
	s_cbranch_execz .LBB795_351
; %bb.348:
	v_bfe_u32 v23, v23, 24, 7
	s_movk_i32 s22, 0x7f
	v_cmp_ne_u32_e32 vcc, s22, v23
	v_mov_b32_e32 v27, 0x7f80
	s_and_saveexec_b64 s[22:23], vcc
	s_cbranch_execz .LBB795_350
; %bb.349:
	v_and_b32_e32 v35, 7, v22
	v_ffbh_u32_e32 v26, v35
	v_min_u32_e32 v37, 32, v26
	v_subrev_u32_e32 v26, 28, v37
	v_lshlrev_b64 v[26:27], v26, v[22:23]
	v_lshrrev_b32_e32 v36, 3, v23
	v_sub_u32_e32 v27, 29, v37
	v_and_b32_e32 v26, 7, v26
	v_cmp_gt_u32_e32 vcc, 8, v23
	v_cndmask_b32_e32 v23, v36, v27, vcc
	v_cndmask_b32_e32 v26, v35, v26, vcc
	v_lshlrev_b32_e32 v22, 24, v22
	v_bfrev_b32_e32 v27, 60
	v_lshlrev_b32_e32 v26, 20, v26
	v_and_b32_e32 v22, 0x80000000, v22
	v_lshl_add_u32 v23, v23, 23, v27
	v_or3_b32 v22, v22, v23, v26
	v_lshrrev_b32_e32 v27, 16, v22
.LBB795_350:
	s_or_b64 exec, exec, s[22:23]
.LBB795_351:
	s_or_b64 exec, exec, s[20:21]
.LBB795_352:
	s_or_b64 exec, exec, s[10:11]
	s_mov_b32 s10, 0x5040100
	v_perm_b32 v23, v32, v31, s10
	v_perm_b32 v22, v29, v30, s10
	;; [unrolled: 1-line block ×4, first 2 shown]
	v_mfma_f32_4x4x4bf16_1k a[0:3], v[2:3], v[22:23], a[0:3] cbsz:4 abid:6
	v_mov_b32_e32 v28, 0
	v_mfma_f32_4x4x4bf16_1k a[0:3], v[4:5], v[26:27], a[0:3] cbsz:4 abid:6
	v_mov_b32_e32 v27, 0
	v_cmp_ne_u16_sdwa s[20:21], v24, v27 src0_sel:BYTE_0 src1_sel:DWORD
	s_and_saveexec_b64 s[10:11], s[20:21]
	s_cbranch_execz .LBB795_358
; %bb.353:
	s_movk_i32 s20, 0x80
	v_cmp_ne_u16_sdwa s[22:23], v24, s20 src0_sel:BYTE_0 src1_sel:DWORD
	v_mov_b32_e32 v28, 0xffff8000
	s_and_saveexec_b64 s[20:21], s[22:23]
	s_cbranch_execz .LBB795_357
; %bb.354:
	s_movk_i32 s22, 0x7f
	v_and_b32_e32 v22, 0x7f, v24
	v_cmp_ne_u32_e32 vcc, s22, v22
	v_mov_b32_e32 v28, 0x7f80
	s_and_saveexec_b64 s[22:23], vcc
	s_cbranch_execz .LBB795_356
; %bb.355:
	v_and_b32_e32 v23, 7, v24
	v_ffbh_u32_e32 v23, v23
	v_min_u32_e32 v23, 32, v23
	v_subrev_u32_e32 v28, 28, v23
	v_cmp_gt_u32_e32 vcc, 8, v22
	v_lshrrev_b32_e32 v26, 3, v22
	v_sub_u32_e32 v23, 29, v23
	v_cndmask_b32_e32 v22, 0, v28, vcc
	v_cndmask_b32_e32 v26, v26, v23, vcc
	v_lshlrev_b64 v[22:23], v22, v[24:25]
	v_lshlrev_b32_e32 v22, 20, v22
	v_lshlrev_b32_e32 v23, 24, v24
	v_bfrev_b32_e32 v28, 60
	v_and_b32_e32 v22, 0x700000, v22
	v_and_b32_e32 v23, 0x80000000, v23
	v_lshl_add_u32 v26, v26, 23, v28
	v_or3_b32 v22, v23, v26, v22
	v_lshrrev_b32_e32 v28, 16, v22
.LBB795_356:
	s_or_b64 exec, exec, s[22:23]
.LBB795_357:
	s_or_b64 exec, exec, s[20:21]
.LBB795_358:
	s_or_b64 exec, exec, s[10:11]
	v_lshrrev_b16_e32 v22, 8, v24
	v_cmp_ne_u16_e32 vcc, 0, v22
	s_and_saveexec_b64 s[10:11], vcc
	s_cbranch_execz .LBB795_364
; %bb.359:
	s_movk_i32 s20, 0x80
	v_cmp_ne_u16_e32 vcc, s20, v22
	v_mov_b32_e32 v27, 0xffff8000
	s_and_saveexec_b64 s[20:21], vcc
	s_cbranch_execz .LBB795_363
; %bb.360:
	s_movk_i32 s22, 0x7f
	v_and_b32_e32 v23, 0x7f, v22
	v_cmp_ne_u32_e32 vcc, s22, v23
	v_mov_b32_e32 v27, 0x7f80
	s_and_saveexec_b64 s[22:23], vcc
	s_cbranch_execz .LBB795_362
; %bb.361:
	v_and_b32_e32 v29, 7, v22
	v_ffbh_u32_e32 v26, v29
	v_min_u32_e32 v31, 32, v26
	v_subrev_u32_e32 v26, 28, v31
	v_lshlrev_b64 v[26:27], v26, v[22:23]
	v_lshrrev_b32_e32 v30, 3, v23
	v_sub_u32_e32 v22, 29, v31
	v_and_b32_e32 v26, 7, v26
	v_cmp_gt_u32_e32 vcc, 8, v23
	v_cndmask_b32_e32 v22, v30, v22, vcc
	v_cndmask_b32_e32 v23, v29, v26, vcc
	v_lshlrev_b32_e32 v26, 16, v24
	v_bfrev_b32_e32 v27, 60
	v_lshlrev_b32_e32 v23, 20, v23
	v_and_b32_e32 v26, 0x80000000, v26
	v_lshl_add_u32 v22, v22, 23, v27
	v_or3_b32 v22, v26, v22, v23
	v_lshrrev_b32_e32 v27, 16, v22
.LBB795_362:
	s_or_b64 exec, exec, s[22:23]
.LBB795_363:
	s_or_b64 exec, exec, s[20:21]
.LBB795_364:
	s_or_b64 exec, exec, s[10:11]
	s_movk_i32 s10, 0xff
	v_and_b32_sdwa v26, v24, s10 dst_sel:DWORD dst_unused:UNUSED_PAD src0_sel:WORD_1 src1_sel:DWORD
	v_lshrrev_b32_e32 v22, 16, v24
	v_cmp_ne_u16_e32 vcc, 0, v26
	v_mov_b32_e32 v23, 0
	v_mov_b32_e32 v29, 0
	s_and_saveexec_b64 s[10:11], vcc
	s_cbranch_execz .LBB795_370
; %bb.365:
	s_movk_i32 s20, 0x80
	v_cmp_ne_u16_e32 vcc, s20, v26
	v_mov_b32_e32 v29, 0xffff8000
	s_and_saveexec_b64 s[20:21], vcc
	s_cbranch_execz .LBB795_369
; %bb.366:
	v_bfe_u32 v26, v24, 16, 7
	s_movk_i32 s22, 0x7f
	v_cmp_ne_u32_e32 vcc, s22, v26
	v_mov_b32_e32 v29, 0x7f80
	s_and_saveexec_b64 s[22:23], vcc
	s_cbranch_execz .LBB795_368
; %bb.367:
	v_and_b32_e32 v29, 7, v22
	v_ffbh_u32_e32 v30, v29
	v_min_u32_e32 v33, 32, v30
	v_subrev_u32_e32 v30, 28, v33
	v_lshlrev_b64 v[30:31], v30, v[22:23]
	v_and_b32_e32 v30, 7, v30
	v_cmp_gt_u32_e32 vcc, 8, v26
	v_lshrrev_b32_e32 v32, 3, v26
	v_sub_u32_e32 v22, 29, v33
	v_cndmask_b32_e32 v26, v29, v30, vcc
	v_mov_b32_e32 v29, 24
	v_cndmask_b32_e32 v22, v32, v22, vcc
	v_lshlrev_b32_sdwa v29, v29, v24 dst_sel:DWORD dst_unused:UNUSED_PAD src0_sel:DWORD src1_sel:WORD_1
	v_bfrev_b32_e32 v30, 60
	v_lshlrev_b32_e32 v26, 20, v26
	v_and_b32_e32 v29, 0x80000000, v29
	v_lshl_add_u32 v22, v22, 23, v30
	v_or3_b32 v22, v29, v22, v26
	v_lshrrev_b32_e32 v29, 16, v22
.LBB795_368:
	s_or_b64 exec, exec, s[22:23]
.LBB795_369:
	s_or_b64 exec, exec, s[20:21]
.LBB795_370:
	s_or_b64 exec, exec, s[10:11]
	s_mov_b32 s10, 0xffffff
	v_cmp_lt_u32_e32 vcc, s10, v24
	v_mov_b32_e32 v30, 0
	s_and_saveexec_b64 s[10:11], vcc
	s_cbranch_execz .LBB795_376
; %bb.371:
	v_lshrrev_b32_e32 v22, 24, v24
	s_movk_i32 s20, 0x80
	v_cmp_ne_u32_e32 vcc, s20, v22
	v_mov_b32_e32 v30, 0xffff8000
	s_and_saveexec_b64 s[20:21], vcc
	s_cbranch_execz .LBB795_375
; %bb.372:
	v_bfe_u32 v26, v24, 24, 7
	s_movk_i32 s22, 0x7f
	v_cmp_ne_u32_e32 vcc, s22, v26
	v_mov_b32_e32 v30, 0x7f80
	s_and_saveexec_b64 s[22:23], vcc
	s_cbranch_execz .LBB795_374
; %bb.373:
	v_and_b32_e32 v32, 7, v22
	v_ffbh_u32_e32 v30, v32
	v_min_u32_e32 v34, 32, v30
	v_subrev_u32_e32 v30, 28, v34
	v_lshlrev_b64 v[30:31], v30, v[22:23]
	v_lshrrev_b32_e32 v33, 3, v26
	v_sub_u32_e32 v31, 29, v34
	v_and_b32_e32 v30, 7, v30
	v_cmp_gt_u32_e32 vcc, 8, v26
	v_cndmask_b32_e32 v26, v33, v31, vcc
	v_cndmask_b32_e32 v30, v32, v30, vcc
	v_lshlrev_b32_e32 v22, 24, v22
	v_bfrev_b32_e32 v31, 60
	v_lshlrev_b32_e32 v30, 20, v30
	v_and_b32_e32 v22, 0x80000000, v22
	v_lshl_add_u32 v26, v26, 23, v31
	v_or3_b32 v22, v22, v26, v30
	v_lshrrev_b32_e32 v30, 16, v22
.LBB795_374:
	s_or_b64 exec, exec, s[22:23]
.LBB795_375:
	s_or_b64 exec, exec, s[20:21]
.LBB795_376:
	s_or_b64 exec, exec, s[10:11]
	v_mov_b32_e32 v31, 0
	v_mov_b32_e32 v22, v25
	v_cmp_ne_u16_sdwa s[20:21], v25, v31 src0_sel:BYTE_0 src1_sel:DWORD
	v_mov_b32_e32 v32, 0
	s_and_saveexec_b64 s[10:11], s[20:21]
	s_cbranch_execz .LBB795_382
; %bb.377:
	s_movk_i32 s20, 0x80
	v_cmp_ne_u16_sdwa s[22:23], v25, s20 src0_sel:BYTE_0 src1_sel:DWORD
	v_mov_b32_e32 v32, 0xffff8000
	s_and_saveexec_b64 s[20:21], s[22:23]
	s_cbranch_execz .LBB795_381
; %bb.378:
	s_movk_i32 s22, 0x7f
	v_and_b32_e32 v26, 0x7f, v25
	v_cmp_ne_u32_e32 vcc, s22, v26
	v_mov_b32_e32 v32, 0x7f80
	s_and_saveexec_b64 s[22:23], vcc
	s_cbranch_execz .LBB795_380
; %bb.379:
	v_and_b32_e32 v32, 7, v25
	v_ffbh_u32_e32 v32, v32
	v_min_u32_e32 v32, 32, v32
	v_lshrrev_b32_e32 v33, 3, v26
	v_subrev_u32_e32 v34, 28, v32
	v_sub_u32_e32 v32, 29, v32
	v_cmp_gt_u32_e32 vcc, 8, v26
	v_cndmask_b32_e32 v26, v33, v32, vcc
	v_cndmask_b32_e32 v32, 0, v34, vcc
	v_lshlrev_b64 v[32:33], v32, v[22:23]
	v_lshlrev_b32_e32 v23, 20, v32
	v_lshlrev_b32_e32 v32, 24, v22
	v_bfrev_b32_e32 v33, 60
	v_and_b32_e32 v23, 0x700000, v23
	v_and_b32_e32 v32, 0x80000000, v32
	v_lshl_add_u32 v26, v26, 23, v33
	v_or3_b32 v23, v32, v26, v23
	v_lshrrev_b32_e32 v32, 16, v23
.LBB795_380:
	s_or_b64 exec, exec, s[22:23]
.LBB795_381:
	s_or_b64 exec, exec, s[20:21]
.LBB795_382:
	s_or_b64 exec, exec, s[10:11]
	v_lshrrev_b16_e32 v26, 8, v22
	v_cmp_ne_u16_e32 vcc, 0, v26
	s_and_saveexec_b64 s[10:11], vcc
	s_cbranch_execz .LBB795_388
; %bb.383:
	s_movk_i32 s20, 0x80
	v_cmp_ne_u16_e32 vcc, s20, v26
	v_mov_b32_e32 v31, 0xffff8000
	s_and_saveexec_b64 s[20:21], vcc
	s_cbranch_execz .LBB795_387
; %bb.384:
	s_movk_i32 s22, 0x7f
	v_and_b32_e32 v23, 0x7f, v26
	v_cmp_ne_u32_e32 vcc, s22, v23
	v_mov_b32_e32 v31, 0x7f80
	s_and_saveexec_b64 s[22:23], vcc
	s_cbranch_execz .LBB795_386
; %bb.385:
	v_and_b32_e32 v31, 7, v26
	v_ffbh_u32_e32 v34, v31
	v_min_u32_e32 v36, 32, v34
	v_subrev_u32_e32 v34, 28, v36
	v_lshlrev_b64 v[34:35], v34, v[26:27]
	v_lshrrev_b32_e32 v33, 3, v23
	v_sub_u32_e32 v26, 29, v36
	v_and_b32_e32 v34, 7, v34
	v_cmp_gt_u32_e32 vcc, 8, v23
	v_cndmask_b32_e32 v23, v33, v26, vcc
	v_cndmask_b32_e32 v26, v31, v34, vcc
	v_lshlrev_b32_e32 v22, 16, v22
	v_bfrev_b32_e32 v31, 60
	v_lshlrev_b32_e32 v26, 20, v26
	v_and_b32_e32 v22, 0x80000000, v22
	v_lshl_add_u32 v23, v23, 23, v31
	v_or3_b32 v22, v22, v23, v26
	v_lshrrev_b32_e32 v31, 16, v22
.LBB795_386:
	s_or_b64 exec, exec, s[22:23]
.LBB795_387:
	s_or_b64 exec, exec, s[20:21]
.LBB795_388:
	s_or_b64 exec, exec, s[10:11]
	s_movk_i32 s10, 0xff
	v_and_b32_sdwa v33, v25, s10 dst_sel:DWORD dst_unused:UNUSED_PAD src0_sel:WORD_1 src1_sel:DWORD
	v_lshrrev_b32_e32 v22, 16, v25
	v_cmp_ne_u16_e32 vcc, 0, v33
	v_mov_b32_e32 v23, 0
	v_mov_b32_e32 v26, 0
	s_and_saveexec_b64 s[10:11], vcc
	s_cbranch_execz .LBB795_394
; %bb.389:
	s_movk_i32 s20, 0x80
	v_cmp_ne_u16_e32 vcc, s20, v33
	v_mov_b32_e32 v26, 0xffff8000
	s_and_saveexec_b64 s[20:21], vcc
	s_cbranch_execz .LBB795_393
; %bb.390:
	v_bfe_u32 v33, v25, 16, 7
	s_movk_i32 s22, 0x7f
	v_cmp_ne_u32_e32 vcc, s22, v33
	v_mov_b32_e32 v26, 0x7f80
	s_and_saveexec_b64 s[22:23], vcc
	s_cbranch_execz .LBB795_392
; %bb.391:
	v_and_b32_e32 v26, 7, v22
	v_ffbh_u32_e32 v34, v26
	v_min_u32_e32 v37, 32, v34
	v_subrev_u32_e32 v34, 28, v37
	v_lshlrev_b64 v[34:35], v34, v[22:23]
	v_lshrrev_b32_e32 v36, 3, v33
	v_sub_u32_e32 v22, 29, v37
	v_and_b32_e32 v34, 7, v34
	v_cmp_gt_u32_e32 vcc, 8, v33
	v_mov_b32_e32 v33, 24
	v_cndmask_b32_e32 v22, v36, v22, vcc
	v_cndmask_b32_e32 v26, v26, v34, vcc
	v_lshlrev_b32_sdwa v33, v33, v25 dst_sel:DWORD dst_unused:UNUSED_PAD src0_sel:DWORD src1_sel:WORD_1
	v_bfrev_b32_e32 v34, 60
	v_lshlrev_b32_e32 v26, 20, v26
	v_and_b32_e32 v33, 0x80000000, v33
	v_lshl_add_u32 v22, v22, 23, v34
	v_or3_b32 v22, v33, v22, v26
	v_lshrrev_b32_e32 v26, 16, v22
.LBB795_392:
	s_or_b64 exec, exec, s[22:23]
.LBB795_393:
	s_or_b64 exec, exec, s[20:21]
.LBB795_394:
	s_or_b64 exec, exec, s[10:11]
	s_mov_b32 s10, -1
	s_mov_b32 s11, 0xffffff
	v_cmp_lt_u64_e32 vcc, s[10:11], v[24:25]
	s_and_saveexec_b64 s[10:11], vcc
	s_cbranch_execz .LBB795_400
; %bb.395:
	v_lshrrev_b32_e32 v22, 24, v25
	s_movk_i32 s20, 0x80
	v_cmp_ne_u32_e32 vcc, s20, v22
	v_mov_b32_e32 v23, 0xffff8000
	s_and_saveexec_b64 s[20:21], vcc
	s_cbranch_execz .LBB795_399
; %bb.396:
	v_bfe_u32 v24, v25, 24, 7
	s_movk_i32 s22, 0x7f
	v_cmp_ne_u32_e32 vcc, s22, v24
	v_mov_b32_e32 v23, 0x7f80
	s_and_saveexec_b64 s[22:23], vcc
	s_cbranch_execz .LBB795_398
; %bb.397:
	v_and_b32_e32 v23, 7, v22
	v_ffbh_u32_e32 v33, v23
	v_min_u32_e32 v33, 32, v33
	v_subrev_u32_e32 v34, 28, v33
	v_lshlrev_b64 v[34:35], v34, v[22:23]
	v_lshrrev_b32_e32 v25, 3, v24
	v_sub_u32_e32 v33, 29, v33
	v_and_b32_e32 v34, 7, v34
	v_cmp_gt_u32_e32 vcc, 8, v24
	v_cndmask_b32_e32 v24, v25, v33, vcc
	v_cndmask_b32_e32 v23, v23, v34, vcc
	v_lshlrev_b32_e32 v22, 24, v22
	v_bfrev_b32_e32 v25, 60
	v_lshlrev_b32_e32 v23, 20, v23
	v_and_b32_e32 v22, 0x80000000, v22
	v_lshl_add_u32 v24, v24, 23, v25
	v_or3_b32 v22, v22, v24, v23
	v_lshrrev_b32_e32 v23, 16, v22
.LBB795_398:
	s_or_b64 exec, exec, s[22:23]
.LBB795_399:
	s_or_b64 exec, exec, s[20:21]
.LBB795_400:
	s_or_b64 exec, exec, s[10:11]
	s_mov_b32 s10, 0x5040100
	v_perm_b32 v25, v30, v29, s10
	v_perm_b32 v24, v27, v28, s10
	v_perm_b32 v23, v23, v26, s10
	v_perm_b32 v22, v31, v32, s10
	v_mfma_f32_4x4x4bf16_1k a[0:3], v[2:3], v[24:25], a[0:3] cbsz:4 abid:7
	v_mov_b32_e32 v25, 0
	v_mfma_f32_4x4x4bf16_1k a[0:3], v[4:5], v[22:23], a[0:3] cbsz:4 abid:7
	v_cmp_ne_u16_sdwa s[20:21], v18, v25 src0_sel:BYTE_0 src1_sel:DWORD
	v_mov_b32_e32 v26, 0
	s_and_saveexec_b64 s[10:11], s[20:21]
	s_cbranch_execz .LBB795_406
; %bb.401:
	s_movk_i32 s20, 0x80
	v_cmp_ne_u16_sdwa s[22:23], v18, s20 src0_sel:BYTE_0 src1_sel:DWORD
	v_mov_b32_e32 v26, 0xffff8000
	s_and_saveexec_b64 s[20:21], s[22:23]
	s_cbranch_execz .LBB795_405
; %bb.402:
	s_movk_i32 s22, 0x7f
	v_and_b32_e32 v22, 0x7f, v18
	v_cmp_ne_u32_e32 vcc, s22, v22
	v_mov_b32_e32 v26, 0x7f80
	s_and_saveexec_b64 s[22:23], vcc
	s_cbranch_execz .LBB795_404
; %bb.403:
	v_and_b32_e32 v23, 7, v18
	v_ffbh_u32_e32 v23, v23
	v_min_u32_e32 v23, 32, v23
	v_subrev_u32_e32 v26, 28, v23
	v_cmp_gt_u32_e32 vcc, 8, v22
	v_lshrrev_b32_e32 v24, 3, v22
	v_sub_u32_e32 v23, 29, v23
	v_cndmask_b32_e32 v22, 0, v26, vcc
	v_cndmask_b32_e32 v24, v24, v23, vcc
	v_lshlrev_b64 v[22:23], v22, v[18:19]
	v_lshlrev_b32_e32 v22, 20, v22
	v_lshlrev_b32_e32 v23, 24, v18
	v_bfrev_b32_e32 v26, 60
	v_and_b32_e32 v22, 0x700000, v22
	v_and_b32_e32 v23, 0x80000000, v23
	v_lshl_add_u32 v24, v24, 23, v26
	v_or3_b32 v22, v23, v24, v22
	v_lshrrev_b32_e32 v26, 16, v22
.LBB795_404:
	s_or_b64 exec, exec, s[22:23]
.LBB795_405:
	s_or_b64 exec, exec, s[20:21]
.LBB795_406:
	s_or_b64 exec, exec, s[10:11]
	v_lshrrev_b16_e32 v22, 8, v18
	v_cmp_ne_u16_e32 vcc, 0, v22
	s_and_saveexec_b64 s[10:11], vcc
	s_cbranch_execz .LBB795_412
; %bb.407:
	s_movk_i32 s20, 0x80
	v_cmp_ne_u16_e32 vcc, s20, v22
	v_mov_b32_e32 v25, 0xffff8000
	s_and_saveexec_b64 s[20:21], vcc
	s_cbranch_execz .LBB795_411
; %bb.408:
	s_movk_i32 s22, 0x7f
	v_and_b32_e32 v23, 0x7f, v22
	v_cmp_ne_u32_e32 vcc, s22, v23
	v_mov_b32_e32 v25, 0x7f80
	s_and_saveexec_b64 s[22:23], vcc
	s_cbranch_execz .LBB795_410
; %bb.409:
	v_and_b32_e32 v27, 7, v22
	v_ffbh_u32_e32 v24, v27
	v_min_u32_e32 v29, 32, v24
	v_subrev_u32_e32 v24, 28, v29
	v_lshlrev_b64 v[24:25], v24, v[22:23]
	v_lshrrev_b32_e32 v28, 3, v23
	v_sub_u32_e32 v22, 29, v29
	v_and_b32_e32 v24, 7, v24
	v_cmp_gt_u32_e32 vcc, 8, v23
	v_cndmask_b32_e32 v22, v28, v22, vcc
	v_cndmask_b32_e32 v23, v27, v24, vcc
	v_lshlrev_b32_e32 v24, 16, v18
	v_bfrev_b32_e32 v25, 60
	v_lshlrev_b32_e32 v23, 20, v23
	v_and_b32_e32 v24, 0x80000000, v24
	v_lshl_add_u32 v22, v22, 23, v25
	v_or3_b32 v22, v24, v22, v23
	v_lshrrev_b32_e32 v25, 16, v22
.LBB795_410:
	s_or_b64 exec, exec, s[22:23]
.LBB795_411:
	s_or_b64 exec, exec, s[20:21]
.LBB795_412:
	s_or_b64 exec, exec, s[10:11]
	s_movk_i32 s10, 0xff
	v_and_b32_sdwa v24, v18, s10 dst_sel:DWORD dst_unused:UNUSED_PAD src0_sel:WORD_1 src1_sel:DWORD
	v_lshrrev_b32_e32 v22, 16, v18
	v_cmp_ne_u16_e32 vcc, 0, v24
	v_mov_b32_e32 v23, 0
	v_mov_b32_e32 v27, 0
	s_and_saveexec_b64 s[10:11], vcc
	s_cbranch_execz .LBB795_418
; %bb.413:
	s_movk_i32 s20, 0x80
	v_cmp_ne_u16_e32 vcc, s20, v24
	v_mov_b32_e32 v27, 0xffff8000
	s_and_saveexec_b64 s[20:21], vcc
	s_cbranch_execz .LBB795_417
; %bb.414:
	v_bfe_u32 v24, v18, 16, 7
	s_movk_i32 s22, 0x7f
	v_cmp_ne_u32_e32 vcc, s22, v24
	v_mov_b32_e32 v27, 0x7f80
	s_and_saveexec_b64 s[22:23], vcc
	s_cbranch_execz .LBB795_416
; %bb.415:
	v_and_b32_e32 v27, 7, v22
	v_ffbh_u32_e32 v28, v27
	v_min_u32_e32 v31, 32, v28
	v_subrev_u32_e32 v28, 28, v31
	v_lshlrev_b64 v[28:29], v28, v[22:23]
	v_and_b32_e32 v28, 7, v28
	v_cmp_gt_u32_e32 vcc, 8, v24
	v_lshrrev_b32_e32 v30, 3, v24
	v_sub_u32_e32 v22, 29, v31
	v_cndmask_b32_e32 v24, v27, v28, vcc
	v_mov_b32_e32 v27, 24
	v_cndmask_b32_e32 v22, v30, v22, vcc
	v_lshlrev_b32_sdwa v27, v27, v18 dst_sel:DWORD dst_unused:UNUSED_PAD src0_sel:DWORD src1_sel:WORD_1
	v_bfrev_b32_e32 v28, 60
	v_lshlrev_b32_e32 v24, 20, v24
	v_and_b32_e32 v27, 0x80000000, v27
	v_lshl_add_u32 v22, v22, 23, v28
	v_or3_b32 v22, v27, v22, v24
	v_lshrrev_b32_e32 v27, 16, v22
.LBB795_416:
	s_or_b64 exec, exec, s[22:23]
.LBB795_417:
	s_or_b64 exec, exec, s[20:21]
.LBB795_418:
	s_or_b64 exec, exec, s[10:11]
	s_mov_b32 s10, 0xffffff
	v_cmp_lt_u32_e32 vcc, s10, v18
	v_mov_b32_e32 v28, 0
	s_and_saveexec_b64 s[10:11], vcc
	s_cbranch_execz .LBB795_424
; %bb.419:
	v_lshrrev_b32_e32 v22, 24, v18
	s_movk_i32 s20, 0x80
	v_cmp_ne_u32_e32 vcc, s20, v22
	v_mov_b32_e32 v28, 0xffff8000
	s_and_saveexec_b64 s[20:21], vcc
	s_cbranch_execz .LBB795_423
; %bb.420:
	v_bfe_u32 v24, v18, 24, 7
	s_movk_i32 s22, 0x7f
	v_cmp_ne_u32_e32 vcc, s22, v24
	v_mov_b32_e32 v28, 0x7f80
	s_and_saveexec_b64 s[22:23], vcc
	s_cbranch_execz .LBB795_422
; %bb.421:
	v_and_b32_e32 v30, 7, v22
	v_ffbh_u32_e32 v28, v30
	v_min_u32_e32 v32, 32, v28
	v_subrev_u32_e32 v28, 28, v32
	v_lshlrev_b64 v[28:29], v28, v[22:23]
	v_lshrrev_b32_e32 v31, 3, v24
	v_sub_u32_e32 v29, 29, v32
	v_and_b32_e32 v28, 7, v28
	v_cmp_gt_u32_e32 vcc, 8, v24
	v_cndmask_b32_e32 v24, v31, v29, vcc
	v_cndmask_b32_e32 v28, v30, v28, vcc
	v_lshlrev_b32_e32 v22, 24, v22
	v_bfrev_b32_e32 v29, 60
	v_lshlrev_b32_e32 v28, 20, v28
	v_and_b32_e32 v22, 0x80000000, v22
	v_lshl_add_u32 v24, v24, 23, v29
	v_or3_b32 v22, v22, v24, v28
	v_lshrrev_b32_e32 v28, 16, v22
.LBB795_422:
	s_or_b64 exec, exec, s[22:23]
.LBB795_423:
	s_or_b64 exec, exec, s[20:21]
.LBB795_424:
	s_or_b64 exec, exec, s[10:11]
	v_mov_b32_e32 v29, 0
	v_mov_b32_e32 v22, v19
	v_cmp_ne_u16_sdwa s[20:21], v19, v29 src0_sel:BYTE_0 src1_sel:DWORD
	v_mov_b32_e32 v30, 0
	s_and_saveexec_b64 s[10:11], s[20:21]
	s_cbranch_execz .LBB795_430
; %bb.425:
	s_movk_i32 s20, 0x80
	v_cmp_ne_u16_sdwa s[22:23], v19, s20 src0_sel:BYTE_0 src1_sel:DWORD
	v_mov_b32_e32 v30, 0xffff8000
	s_and_saveexec_b64 s[20:21], s[22:23]
	s_cbranch_execz .LBB795_429
; %bb.426:
	s_movk_i32 s22, 0x7f
	v_and_b32_e32 v24, 0x7f, v19
	v_cmp_ne_u32_e32 vcc, s22, v24
	v_mov_b32_e32 v30, 0x7f80
	s_and_saveexec_b64 s[22:23], vcc
	s_cbranch_execz .LBB795_428
; %bb.427:
	v_and_b32_e32 v30, 7, v19
	v_ffbh_u32_e32 v30, v30
	v_min_u32_e32 v30, 32, v30
	v_lshrrev_b32_e32 v31, 3, v24
	v_subrev_u32_e32 v32, 28, v30
	v_sub_u32_e32 v30, 29, v30
	v_cmp_gt_u32_e32 vcc, 8, v24
	v_cndmask_b32_e32 v24, v31, v30, vcc
	v_cndmask_b32_e32 v30, 0, v32, vcc
	v_lshlrev_b64 v[30:31], v30, v[22:23]
	v_lshlrev_b32_e32 v23, 20, v30
	v_lshlrev_b32_e32 v30, 24, v22
	v_bfrev_b32_e32 v31, 60
	v_and_b32_e32 v23, 0x700000, v23
	v_and_b32_e32 v30, 0x80000000, v30
	v_lshl_add_u32 v24, v24, 23, v31
	v_or3_b32 v23, v30, v24, v23
	v_lshrrev_b32_e32 v30, 16, v23
.LBB795_428:
	s_or_b64 exec, exec, s[22:23]
.LBB795_429:
	s_or_b64 exec, exec, s[20:21]
.LBB795_430:
	s_or_b64 exec, exec, s[10:11]
	v_lshrrev_b16_e32 v24, 8, v22
	v_cmp_ne_u16_e32 vcc, 0, v24
	s_and_saveexec_b64 s[10:11], vcc
	s_cbranch_execz .LBB795_436
; %bb.431:
	s_movk_i32 s20, 0x80
	v_cmp_ne_u16_e32 vcc, s20, v24
	v_mov_b32_e32 v29, 0xffff8000
	s_and_saveexec_b64 s[20:21], vcc
	s_cbranch_execz .LBB795_435
; %bb.432:
	s_movk_i32 s22, 0x7f
	v_and_b32_e32 v23, 0x7f, v24
	v_cmp_ne_u32_e32 vcc, s22, v23
	v_mov_b32_e32 v29, 0x7f80
	s_and_saveexec_b64 s[22:23], vcc
	s_cbranch_execz .LBB795_434
; %bb.433:
	v_and_b32_e32 v29, 7, v24
	v_ffbh_u32_e32 v32, v29
	v_min_u32_e32 v34, 32, v32
	v_subrev_u32_e32 v32, 28, v34
	v_lshlrev_b64 v[32:33], v32, v[24:25]
	v_lshrrev_b32_e32 v31, 3, v23
	v_sub_u32_e32 v24, 29, v34
	v_and_b32_e32 v32, 7, v32
	v_cmp_gt_u32_e32 vcc, 8, v23
	v_cndmask_b32_e32 v23, v31, v24, vcc
	v_cndmask_b32_e32 v24, v29, v32, vcc
	v_lshlrev_b32_e32 v22, 16, v22
	v_bfrev_b32_e32 v29, 60
	v_lshlrev_b32_e32 v24, 20, v24
	v_and_b32_e32 v22, 0x80000000, v22
	v_lshl_add_u32 v23, v23, 23, v29
	v_or3_b32 v22, v22, v23, v24
	v_lshrrev_b32_e32 v29, 16, v22
.LBB795_434:
	s_or_b64 exec, exec, s[22:23]
.LBB795_435:
	s_or_b64 exec, exec, s[20:21]
.LBB795_436:
	s_or_b64 exec, exec, s[10:11]
	s_movk_i32 s10, 0xff
	v_and_b32_sdwa v31, v19, s10 dst_sel:DWORD dst_unused:UNUSED_PAD src0_sel:WORD_1 src1_sel:DWORD
	v_lshrrev_b32_e32 v22, 16, v19
	v_cmp_ne_u16_e32 vcc, 0, v31
	v_mov_b32_e32 v23, 0
	v_mov_b32_e32 v24, 0
	s_and_saveexec_b64 s[10:11], vcc
	s_cbranch_execz .LBB795_442
; %bb.437:
	s_movk_i32 s20, 0x80
	v_cmp_ne_u16_e32 vcc, s20, v31
	v_mov_b32_e32 v24, 0xffff8000
	s_and_saveexec_b64 s[20:21], vcc
	s_cbranch_execz .LBB795_441
; %bb.438:
	v_bfe_u32 v31, v19, 16, 7
	s_movk_i32 s22, 0x7f
	v_cmp_ne_u32_e32 vcc, s22, v31
	v_mov_b32_e32 v24, 0x7f80
	s_and_saveexec_b64 s[22:23], vcc
	s_cbranch_execz .LBB795_440
; %bb.439:
	v_and_b32_e32 v24, 7, v22
	v_ffbh_u32_e32 v32, v24
	v_min_u32_e32 v35, 32, v32
	v_subrev_u32_e32 v32, 28, v35
	v_lshlrev_b64 v[32:33], v32, v[22:23]
	v_lshrrev_b32_e32 v34, 3, v31
	v_sub_u32_e32 v22, 29, v35
	v_and_b32_e32 v32, 7, v32
	v_cmp_gt_u32_e32 vcc, 8, v31
	v_mov_b32_e32 v31, 24
	v_cndmask_b32_e32 v22, v34, v22, vcc
	v_cndmask_b32_e32 v24, v24, v32, vcc
	v_lshlrev_b32_sdwa v31, v31, v19 dst_sel:DWORD dst_unused:UNUSED_PAD src0_sel:DWORD src1_sel:WORD_1
	v_bfrev_b32_e32 v32, 60
	v_lshlrev_b32_e32 v24, 20, v24
	v_and_b32_e32 v31, 0x80000000, v31
	v_lshl_add_u32 v22, v22, 23, v32
	v_or3_b32 v22, v31, v22, v24
	v_lshrrev_b32_e32 v24, 16, v22
.LBB795_440:
	s_or_b64 exec, exec, s[22:23]
.LBB795_441:
	s_or_b64 exec, exec, s[20:21]
.LBB795_442:
	s_or_b64 exec, exec, s[10:11]
	s_mov_b32 s10, -1
	s_mov_b32 s11, 0xffffff
	v_cmp_lt_u64_e32 vcc, s[10:11], v[18:19]
	s_and_saveexec_b64 s[10:11], vcc
	s_cbranch_execz .LBB795_448
; %bb.443:
	v_lshrrev_b32_e32 v18, 24, v19
	s_movk_i32 s20, 0x80
	v_cmp_ne_u32_e32 vcc, s20, v18
	v_mov_b32_e32 v23, 0xffff8000
	s_and_saveexec_b64 s[20:21], vcc
	s_cbranch_execz .LBB795_447
; %bb.444:
	v_bfe_u32 v19, v19, 24, 7
	s_movk_i32 s22, 0x7f
	v_cmp_ne_u32_e32 vcc, s22, v19
	v_mov_b32_e32 v23, 0x7f80
	s_and_saveexec_b64 s[22:23], vcc
	s_cbranch_execz .LBB795_446
; %bb.445:
	v_and_b32_e32 v31, 7, v18
	v_ffbh_u32_e32 v22, v31
	v_min_u32_e32 v33, 32, v22
	v_subrev_u32_e32 v22, 28, v33
	v_lshlrev_b64 v[22:23], v22, v[18:19]
	v_lshrrev_b32_e32 v32, 3, v19
	v_sub_u32_e32 v23, 29, v33
	v_and_b32_e32 v22, 7, v22
	v_cmp_gt_u32_e32 vcc, 8, v19
	v_cndmask_b32_e32 v19, v32, v23, vcc
	v_cndmask_b32_e32 v22, v31, v22, vcc
	v_lshlrev_b32_e32 v18, 24, v18
	v_bfrev_b32_e32 v23, 60
	v_lshlrev_b32_e32 v22, 20, v22
	v_and_b32_e32 v18, 0x80000000, v18
	v_lshl_add_u32 v19, v19, 23, v23
	v_or3_b32 v18, v18, v19, v22
	v_lshrrev_b32_e32 v23, 16, v18
.LBB795_446:
	s_or_b64 exec, exec, s[22:23]
.LBB795_447:
	s_or_b64 exec, exec, s[20:21]
.LBB795_448:
	s_or_b64 exec, exec, s[10:11]
	s_mov_b32 s10, 0x5040100
	v_perm_b32 v19, v28, v27, s10
	v_perm_b32 v18, v25, v26, s10
	;; [unrolled: 1-line block ×4, first 2 shown]
	v_mfma_f32_4x4x4bf16_1k a[0:3], v[2:3], v[18:19], a[0:3] cbsz:4 abid:8
	v_mov_b32_e32 v24, 0
	v_mfma_f32_4x4x4bf16_1k a[0:3], v[4:5], v[22:23], a[0:3] cbsz:4 abid:8
	v_mov_b32_e32 v23, 0
	v_cmp_ne_u16_sdwa s[20:21], v20, v23 src0_sel:BYTE_0 src1_sel:DWORD
	s_and_saveexec_b64 s[10:11], s[20:21]
	s_cbranch_execz .LBB795_454
; %bb.449:
	s_movk_i32 s20, 0x80
	v_cmp_ne_u16_sdwa s[22:23], v20, s20 src0_sel:BYTE_0 src1_sel:DWORD
	v_mov_b32_e32 v24, 0xffff8000
	s_and_saveexec_b64 s[20:21], s[22:23]
	s_cbranch_execz .LBB795_453
; %bb.450:
	s_movk_i32 s22, 0x7f
	v_and_b32_e32 v18, 0x7f, v20
	v_cmp_ne_u32_e32 vcc, s22, v18
	v_mov_b32_e32 v24, 0x7f80
	s_and_saveexec_b64 s[22:23], vcc
	s_cbranch_execz .LBB795_452
; %bb.451:
	v_and_b32_e32 v19, 7, v20
	v_ffbh_u32_e32 v19, v19
	v_min_u32_e32 v19, 32, v19
	v_subrev_u32_e32 v24, 28, v19
	v_cmp_gt_u32_e32 vcc, 8, v18
	v_lshrrev_b32_e32 v22, 3, v18
	v_sub_u32_e32 v19, 29, v19
	v_cndmask_b32_e32 v18, 0, v24, vcc
	v_cndmask_b32_e32 v22, v22, v19, vcc
	v_lshlrev_b64 v[18:19], v18, v[20:21]
	v_lshlrev_b32_e32 v18, 20, v18
	v_lshlrev_b32_e32 v19, 24, v20
	v_bfrev_b32_e32 v24, 60
	v_and_b32_e32 v18, 0x700000, v18
	v_and_b32_e32 v19, 0x80000000, v19
	v_lshl_add_u32 v22, v22, 23, v24
	v_or3_b32 v18, v19, v22, v18
	v_lshrrev_b32_e32 v24, 16, v18
.LBB795_452:
	s_or_b64 exec, exec, s[22:23]
.LBB795_453:
	s_or_b64 exec, exec, s[20:21]
.LBB795_454:
	s_or_b64 exec, exec, s[10:11]
	v_lshrrev_b16_e32 v18, 8, v20
	v_cmp_ne_u16_e32 vcc, 0, v18
	s_and_saveexec_b64 s[10:11], vcc
	s_cbranch_execz .LBB795_460
; %bb.455:
	s_movk_i32 s20, 0x80
	v_cmp_ne_u16_e32 vcc, s20, v18
	v_mov_b32_e32 v23, 0xffff8000
	s_and_saveexec_b64 s[20:21], vcc
	s_cbranch_execz .LBB795_459
; %bb.456:
	s_movk_i32 s22, 0x7f
	v_and_b32_e32 v19, 0x7f, v18
	v_cmp_ne_u32_e32 vcc, s22, v19
	v_mov_b32_e32 v23, 0x7f80
	s_and_saveexec_b64 s[22:23], vcc
	s_cbranch_execz .LBB795_458
; %bb.457:
	v_and_b32_e32 v25, 7, v18
	v_ffbh_u32_e32 v22, v25
	v_min_u32_e32 v27, 32, v22
	v_subrev_u32_e32 v22, 28, v27
	v_lshlrev_b64 v[22:23], v22, v[18:19]
	v_lshrrev_b32_e32 v26, 3, v19
	v_sub_u32_e32 v18, 29, v27
	v_and_b32_e32 v22, 7, v22
	v_cmp_gt_u32_e32 vcc, 8, v19
	v_cndmask_b32_e32 v18, v26, v18, vcc
	v_cndmask_b32_e32 v19, v25, v22, vcc
	v_lshlrev_b32_e32 v22, 16, v20
	v_bfrev_b32_e32 v23, 60
	v_lshlrev_b32_e32 v19, 20, v19
	v_and_b32_e32 v22, 0x80000000, v22
	v_lshl_add_u32 v18, v18, 23, v23
	v_or3_b32 v18, v22, v18, v19
	v_lshrrev_b32_e32 v23, 16, v18
.LBB795_458:
	s_or_b64 exec, exec, s[22:23]
.LBB795_459:
	s_or_b64 exec, exec, s[20:21]
.LBB795_460:
	s_or_b64 exec, exec, s[10:11]
	s_movk_i32 s10, 0xff
	v_and_b32_sdwa v22, v20, s10 dst_sel:DWORD dst_unused:UNUSED_PAD src0_sel:WORD_1 src1_sel:DWORD
	v_lshrrev_b32_e32 v18, 16, v20
	v_cmp_ne_u16_e32 vcc, 0, v22
	v_mov_b32_e32 v19, 0
	v_mov_b32_e32 v25, 0
	s_and_saveexec_b64 s[10:11], vcc
	s_cbranch_execz .LBB795_466
; %bb.461:
	s_movk_i32 s20, 0x80
	v_cmp_ne_u16_e32 vcc, s20, v22
	v_mov_b32_e32 v25, 0xffff8000
	s_and_saveexec_b64 s[20:21], vcc
	s_cbranch_execz .LBB795_465
; %bb.462:
	v_bfe_u32 v22, v20, 16, 7
	s_movk_i32 s22, 0x7f
	v_cmp_ne_u32_e32 vcc, s22, v22
	v_mov_b32_e32 v25, 0x7f80
	s_and_saveexec_b64 s[22:23], vcc
	s_cbranch_execz .LBB795_464
; %bb.463:
	v_and_b32_e32 v25, 7, v18
	v_ffbh_u32_e32 v26, v25
	v_min_u32_e32 v29, 32, v26
	v_subrev_u32_e32 v26, 28, v29
	v_lshlrev_b64 v[26:27], v26, v[18:19]
	v_and_b32_e32 v26, 7, v26
	v_cmp_gt_u32_e32 vcc, 8, v22
	v_lshrrev_b32_e32 v28, 3, v22
	v_sub_u32_e32 v18, 29, v29
	v_cndmask_b32_e32 v22, v25, v26, vcc
	v_mov_b32_e32 v25, 24
	v_cndmask_b32_e32 v18, v28, v18, vcc
	v_lshlrev_b32_sdwa v25, v25, v20 dst_sel:DWORD dst_unused:UNUSED_PAD src0_sel:DWORD src1_sel:WORD_1
	v_bfrev_b32_e32 v26, 60
	v_lshlrev_b32_e32 v22, 20, v22
	v_and_b32_e32 v25, 0x80000000, v25
	v_lshl_add_u32 v18, v18, 23, v26
	v_or3_b32 v18, v25, v18, v22
	v_lshrrev_b32_e32 v25, 16, v18
.LBB795_464:
	s_or_b64 exec, exec, s[22:23]
.LBB795_465:
	s_or_b64 exec, exec, s[20:21]
.LBB795_466:
	s_or_b64 exec, exec, s[10:11]
	s_mov_b32 s10, 0xffffff
	v_cmp_lt_u32_e32 vcc, s10, v20
	v_mov_b32_e32 v26, 0
	s_and_saveexec_b64 s[10:11], vcc
	s_cbranch_execz .LBB795_472
; %bb.467:
	v_lshrrev_b32_e32 v18, 24, v20
	s_movk_i32 s20, 0x80
	v_cmp_ne_u32_e32 vcc, s20, v18
	v_mov_b32_e32 v26, 0xffff8000
	s_and_saveexec_b64 s[20:21], vcc
	s_cbranch_execz .LBB795_471
; %bb.468:
	v_bfe_u32 v22, v20, 24, 7
	s_movk_i32 s22, 0x7f
	v_cmp_ne_u32_e32 vcc, s22, v22
	v_mov_b32_e32 v26, 0x7f80
	s_and_saveexec_b64 s[22:23], vcc
	s_cbranch_execz .LBB795_470
; %bb.469:
	v_and_b32_e32 v28, 7, v18
	v_ffbh_u32_e32 v26, v28
	v_min_u32_e32 v30, 32, v26
	v_subrev_u32_e32 v26, 28, v30
	v_lshlrev_b64 v[26:27], v26, v[18:19]
	v_lshrrev_b32_e32 v29, 3, v22
	v_sub_u32_e32 v27, 29, v30
	v_and_b32_e32 v26, 7, v26
	v_cmp_gt_u32_e32 vcc, 8, v22
	v_cndmask_b32_e32 v22, v29, v27, vcc
	v_cndmask_b32_e32 v26, v28, v26, vcc
	v_lshlrev_b32_e32 v18, 24, v18
	v_bfrev_b32_e32 v27, 60
	v_lshlrev_b32_e32 v26, 20, v26
	v_and_b32_e32 v18, 0x80000000, v18
	v_lshl_add_u32 v22, v22, 23, v27
	v_or3_b32 v18, v18, v22, v26
	v_lshrrev_b32_e32 v26, 16, v18
.LBB795_470:
	s_or_b64 exec, exec, s[22:23]
.LBB795_471:
	s_or_b64 exec, exec, s[20:21]
.LBB795_472:
	s_or_b64 exec, exec, s[10:11]
	v_mov_b32_e32 v27, 0
	v_mov_b32_e32 v18, v21
	v_cmp_ne_u16_sdwa s[20:21], v21, v27 src0_sel:BYTE_0 src1_sel:DWORD
	v_mov_b32_e32 v28, 0
	s_and_saveexec_b64 s[10:11], s[20:21]
	s_cbranch_execz .LBB795_478
; %bb.473:
	s_movk_i32 s20, 0x80
	v_cmp_ne_u16_sdwa s[22:23], v21, s20 src0_sel:BYTE_0 src1_sel:DWORD
	v_mov_b32_e32 v28, 0xffff8000
	s_and_saveexec_b64 s[20:21], s[22:23]
	s_cbranch_execz .LBB795_477
; %bb.474:
	s_movk_i32 s22, 0x7f
	v_and_b32_e32 v22, 0x7f, v21
	v_cmp_ne_u32_e32 vcc, s22, v22
	v_mov_b32_e32 v28, 0x7f80
	s_and_saveexec_b64 s[22:23], vcc
	s_cbranch_execz .LBB795_476
; %bb.475:
	v_and_b32_e32 v28, 7, v21
	v_ffbh_u32_e32 v28, v28
	v_min_u32_e32 v28, 32, v28
	v_lshrrev_b32_e32 v29, 3, v22
	v_subrev_u32_e32 v30, 28, v28
	v_sub_u32_e32 v28, 29, v28
	v_cmp_gt_u32_e32 vcc, 8, v22
	v_cndmask_b32_e32 v22, v29, v28, vcc
	v_cndmask_b32_e32 v28, 0, v30, vcc
	v_lshlrev_b64 v[28:29], v28, v[18:19]
	v_lshlrev_b32_e32 v19, 20, v28
	v_lshlrev_b32_e32 v28, 24, v18
	v_bfrev_b32_e32 v29, 60
	v_and_b32_e32 v19, 0x700000, v19
	v_and_b32_e32 v28, 0x80000000, v28
	v_lshl_add_u32 v22, v22, 23, v29
	v_or3_b32 v19, v28, v22, v19
	v_lshrrev_b32_e32 v28, 16, v19
.LBB795_476:
	s_or_b64 exec, exec, s[22:23]
.LBB795_477:
	s_or_b64 exec, exec, s[20:21]
.LBB795_478:
	s_or_b64 exec, exec, s[10:11]
	v_lshrrev_b16_e32 v22, 8, v18
	v_cmp_ne_u16_e32 vcc, 0, v22
	s_and_saveexec_b64 s[10:11], vcc
	s_cbranch_execz .LBB795_484
; %bb.479:
	s_movk_i32 s20, 0x80
	v_cmp_ne_u16_e32 vcc, s20, v22
	v_mov_b32_e32 v27, 0xffff8000
	s_and_saveexec_b64 s[20:21], vcc
	s_cbranch_execz .LBB795_483
; %bb.480:
	s_movk_i32 s22, 0x7f
	v_and_b32_e32 v19, 0x7f, v22
	v_cmp_ne_u32_e32 vcc, s22, v19
	v_mov_b32_e32 v27, 0x7f80
	s_and_saveexec_b64 s[22:23], vcc
	s_cbranch_execz .LBB795_482
; %bb.481:
	v_and_b32_e32 v27, 7, v22
	v_ffbh_u32_e32 v30, v27
	v_min_u32_e32 v32, 32, v30
	v_subrev_u32_e32 v30, 28, v32
	v_lshlrev_b64 v[30:31], v30, v[22:23]
	v_lshrrev_b32_e32 v29, 3, v19
	v_sub_u32_e32 v22, 29, v32
	v_and_b32_e32 v30, 7, v30
	v_cmp_gt_u32_e32 vcc, 8, v19
	v_cndmask_b32_e32 v19, v29, v22, vcc
	v_cndmask_b32_e32 v22, v27, v30, vcc
	v_lshlrev_b32_e32 v18, 16, v18
	v_bfrev_b32_e32 v27, 60
	v_lshlrev_b32_e32 v22, 20, v22
	v_and_b32_e32 v18, 0x80000000, v18
	v_lshl_add_u32 v19, v19, 23, v27
	v_or3_b32 v18, v18, v19, v22
	v_lshrrev_b32_e32 v27, 16, v18
.LBB795_482:
	s_or_b64 exec, exec, s[22:23]
.LBB795_483:
	s_or_b64 exec, exec, s[20:21]
.LBB795_484:
	s_or_b64 exec, exec, s[10:11]
	s_movk_i32 s10, 0xff
	v_and_b32_sdwa v29, v21, s10 dst_sel:DWORD dst_unused:UNUSED_PAD src0_sel:WORD_1 src1_sel:DWORD
	v_lshrrev_b32_e32 v18, 16, v21
	v_cmp_ne_u16_e32 vcc, 0, v29
	v_mov_b32_e32 v19, 0
	v_mov_b32_e32 v22, 0
	s_and_saveexec_b64 s[10:11], vcc
	s_cbranch_execz .LBB795_490
; %bb.485:
	s_movk_i32 s20, 0x80
	v_cmp_ne_u16_e32 vcc, s20, v29
	v_mov_b32_e32 v22, 0xffff8000
	s_and_saveexec_b64 s[20:21], vcc
	s_cbranch_execz .LBB795_489
; %bb.486:
	v_bfe_u32 v29, v21, 16, 7
	s_movk_i32 s22, 0x7f
	v_cmp_ne_u32_e32 vcc, s22, v29
	v_mov_b32_e32 v22, 0x7f80
	s_and_saveexec_b64 s[22:23], vcc
	s_cbranch_execz .LBB795_488
; %bb.487:
	v_and_b32_e32 v22, 7, v18
	v_ffbh_u32_e32 v30, v22
	v_min_u32_e32 v33, 32, v30
	v_subrev_u32_e32 v30, 28, v33
	v_lshlrev_b64 v[30:31], v30, v[18:19]
	v_lshrrev_b32_e32 v32, 3, v29
	v_sub_u32_e32 v18, 29, v33
	v_and_b32_e32 v30, 7, v30
	v_cmp_gt_u32_e32 vcc, 8, v29
	v_mov_b32_e32 v29, 24
	v_cndmask_b32_e32 v18, v32, v18, vcc
	v_cndmask_b32_e32 v22, v22, v30, vcc
	v_lshlrev_b32_sdwa v29, v29, v21 dst_sel:DWORD dst_unused:UNUSED_PAD src0_sel:DWORD src1_sel:WORD_1
	v_bfrev_b32_e32 v30, 60
	v_lshlrev_b32_e32 v22, 20, v22
	v_and_b32_e32 v29, 0x80000000, v29
	v_lshl_add_u32 v18, v18, 23, v30
	v_or3_b32 v18, v29, v18, v22
	v_lshrrev_b32_e32 v22, 16, v18
.LBB795_488:
	s_or_b64 exec, exec, s[22:23]
.LBB795_489:
	s_or_b64 exec, exec, s[20:21]
.LBB795_490:
	s_or_b64 exec, exec, s[10:11]
	s_mov_b32 s10, -1
	s_mov_b32 s11, 0xffffff
	v_cmp_lt_u64_e32 vcc, s[10:11], v[20:21]
	s_and_saveexec_b64 s[10:11], vcc
	s_cbranch_execz .LBB795_496
; %bb.491:
	v_lshrrev_b32_e32 v18, 24, v21
	s_movk_i32 s20, 0x80
	v_cmp_ne_u32_e32 vcc, s20, v18
	v_mov_b32_e32 v19, 0xffff8000
	s_and_saveexec_b64 s[20:21], vcc
	s_cbranch_execz .LBB795_495
; %bb.492:
	v_bfe_u32 v20, v21, 24, 7
	s_movk_i32 s22, 0x7f
	v_cmp_ne_u32_e32 vcc, s22, v20
	v_mov_b32_e32 v19, 0x7f80
	s_and_saveexec_b64 s[22:23], vcc
	s_cbranch_execz .LBB795_494
; %bb.493:
	v_and_b32_e32 v19, 7, v18
	v_ffbh_u32_e32 v29, v19
	v_min_u32_e32 v29, 32, v29
	v_subrev_u32_e32 v30, 28, v29
	v_lshlrev_b64 v[30:31], v30, v[18:19]
	v_lshrrev_b32_e32 v21, 3, v20
	v_sub_u32_e32 v29, 29, v29
	v_and_b32_e32 v30, 7, v30
	v_cmp_gt_u32_e32 vcc, 8, v20
	v_cndmask_b32_e32 v20, v21, v29, vcc
	v_cndmask_b32_e32 v19, v19, v30, vcc
	v_lshlrev_b32_e32 v18, 24, v18
	v_bfrev_b32_e32 v21, 60
	v_lshlrev_b32_e32 v19, 20, v19
	v_and_b32_e32 v18, 0x80000000, v18
	v_lshl_add_u32 v20, v20, 23, v21
	v_or3_b32 v18, v18, v20, v19
	v_lshrrev_b32_e32 v19, 16, v18
.LBB795_494:
	s_or_b64 exec, exec, s[22:23]
.LBB795_495:
	s_or_b64 exec, exec, s[20:21]
.LBB795_496:
	s_or_b64 exec, exec, s[10:11]
	s_mov_b32 s10, 0x5040100
	v_perm_b32 v21, v26, v25, s10
	v_perm_b32 v20, v23, v24, s10
	;; [unrolled: 1-line block ×4, first 2 shown]
	v_mfma_f32_4x4x4bf16_1k a[0:3], v[2:3], v[20:21], a[0:3] cbsz:4 abid:9
	v_mov_b32_e32 v21, 0
	v_mfma_f32_4x4x4bf16_1k a[0:3], v[4:5], v[18:19], a[0:3] cbsz:4 abid:9
	v_cmp_ne_u16_sdwa s[20:21], v14, v21 src0_sel:BYTE_0 src1_sel:DWORD
	v_mov_b32_e32 v22, 0
	s_and_saveexec_b64 s[10:11], s[20:21]
	s_cbranch_execz .LBB795_502
; %bb.497:
	s_movk_i32 s20, 0x80
	v_cmp_ne_u16_sdwa s[22:23], v14, s20 src0_sel:BYTE_0 src1_sel:DWORD
	v_mov_b32_e32 v22, 0xffff8000
	s_and_saveexec_b64 s[20:21], s[22:23]
	s_cbranch_execz .LBB795_501
; %bb.498:
	s_movk_i32 s22, 0x7f
	v_and_b32_e32 v18, 0x7f, v14
	v_cmp_ne_u32_e32 vcc, s22, v18
	v_mov_b32_e32 v22, 0x7f80
	s_and_saveexec_b64 s[22:23], vcc
	s_cbranch_execz .LBB795_500
; %bb.499:
	v_and_b32_e32 v19, 7, v14
	v_ffbh_u32_e32 v19, v19
	v_min_u32_e32 v19, 32, v19
	v_subrev_u32_e32 v22, 28, v19
	v_cmp_gt_u32_e32 vcc, 8, v18
	v_lshrrev_b32_e32 v20, 3, v18
	v_sub_u32_e32 v19, 29, v19
	v_cndmask_b32_e32 v18, 0, v22, vcc
	v_cndmask_b32_e32 v20, v20, v19, vcc
	v_lshlrev_b64 v[18:19], v18, v[14:15]
	v_lshlrev_b32_e32 v18, 20, v18
	v_lshlrev_b32_e32 v19, 24, v14
	v_bfrev_b32_e32 v22, 60
	v_and_b32_e32 v18, 0x700000, v18
	v_and_b32_e32 v19, 0x80000000, v19
	v_lshl_add_u32 v20, v20, 23, v22
	v_or3_b32 v18, v19, v20, v18
	v_lshrrev_b32_e32 v22, 16, v18
.LBB795_500:
	s_or_b64 exec, exec, s[22:23]
.LBB795_501:
	s_or_b64 exec, exec, s[20:21]
.LBB795_502:
	s_or_b64 exec, exec, s[10:11]
	v_lshrrev_b16_e32 v18, 8, v14
	v_cmp_ne_u16_e32 vcc, 0, v18
	s_and_saveexec_b64 s[10:11], vcc
	s_cbranch_execz .LBB795_508
; %bb.503:
	s_movk_i32 s20, 0x80
	v_cmp_ne_u16_e32 vcc, s20, v18
	v_mov_b32_e32 v21, 0xffff8000
	s_and_saveexec_b64 s[20:21], vcc
	s_cbranch_execz .LBB795_507
; %bb.504:
	s_movk_i32 s22, 0x7f
	v_and_b32_e32 v19, 0x7f, v18
	v_cmp_ne_u32_e32 vcc, s22, v19
	v_mov_b32_e32 v21, 0x7f80
	s_and_saveexec_b64 s[22:23], vcc
	s_cbranch_execz .LBB795_506
; %bb.505:
	v_and_b32_e32 v23, 7, v18
	v_ffbh_u32_e32 v20, v23
	v_min_u32_e32 v25, 32, v20
	v_subrev_u32_e32 v20, 28, v25
	v_lshlrev_b64 v[20:21], v20, v[18:19]
	v_lshrrev_b32_e32 v24, 3, v19
	v_sub_u32_e32 v18, 29, v25
	v_and_b32_e32 v20, 7, v20
	v_cmp_gt_u32_e32 vcc, 8, v19
	v_cndmask_b32_e32 v18, v24, v18, vcc
	v_cndmask_b32_e32 v19, v23, v20, vcc
	v_lshlrev_b32_e32 v20, 16, v14
	v_bfrev_b32_e32 v21, 60
	v_lshlrev_b32_e32 v19, 20, v19
	v_and_b32_e32 v20, 0x80000000, v20
	v_lshl_add_u32 v18, v18, 23, v21
	v_or3_b32 v18, v20, v18, v19
	v_lshrrev_b32_e32 v21, 16, v18
.LBB795_506:
	s_or_b64 exec, exec, s[22:23]
.LBB795_507:
	s_or_b64 exec, exec, s[20:21]
.LBB795_508:
	s_or_b64 exec, exec, s[10:11]
	s_movk_i32 s10, 0xff
	v_and_b32_sdwa v20, v14, s10 dst_sel:DWORD dst_unused:UNUSED_PAD src0_sel:WORD_1 src1_sel:DWORD
	v_lshrrev_b32_e32 v18, 16, v14
	v_cmp_ne_u16_e32 vcc, 0, v20
	v_mov_b32_e32 v19, 0
	v_mov_b32_e32 v23, 0
	s_and_saveexec_b64 s[10:11], vcc
	s_cbranch_execz .LBB795_514
; %bb.509:
	s_movk_i32 s20, 0x80
	v_cmp_ne_u16_e32 vcc, s20, v20
	v_mov_b32_e32 v23, 0xffff8000
	s_and_saveexec_b64 s[20:21], vcc
	s_cbranch_execz .LBB795_513
; %bb.510:
	v_bfe_u32 v20, v14, 16, 7
	s_movk_i32 s22, 0x7f
	v_cmp_ne_u32_e32 vcc, s22, v20
	v_mov_b32_e32 v23, 0x7f80
	s_and_saveexec_b64 s[22:23], vcc
	s_cbranch_execz .LBB795_512
; %bb.511:
	v_and_b32_e32 v23, 7, v18
	v_ffbh_u32_e32 v24, v23
	v_min_u32_e32 v27, 32, v24
	v_subrev_u32_e32 v24, 28, v27
	v_lshlrev_b64 v[24:25], v24, v[18:19]
	v_and_b32_e32 v24, 7, v24
	v_cmp_gt_u32_e32 vcc, 8, v20
	v_lshrrev_b32_e32 v26, 3, v20
	v_sub_u32_e32 v18, 29, v27
	v_cndmask_b32_e32 v20, v23, v24, vcc
	v_mov_b32_e32 v23, 24
	v_cndmask_b32_e32 v18, v26, v18, vcc
	v_lshlrev_b32_sdwa v23, v23, v14 dst_sel:DWORD dst_unused:UNUSED_PAD src0_sel:DWORD src1_sel:WORD_1
	v_bfrev_b32_e32 v24, 60
	v_lshlrev_b32_e32 v20, 20, v20
	v_and_b32_e32 v23, 0x80000000, v23
	v_lshl_add_u32 v18, v18, 23, v24
	v_or3_b32 v18, v23, v18, v20
	v_lshrrev_b32_e32 v23, 16, v18
.LBB795_512:
	s_or_b64 exec, exec, s[22:23]
.LBB795_513:
	s_or_b64 exec, exec, s[20:21]
.LBB795_514:
	s_or_b64 exec, exec, s[10:11]
	s_mov_b32 s10, 0xffffff
	v_cmp_lt_u32_e32 vcc, s10, v14
	v_mov_b32_e32 v24, 0
	s_and_saveexec_b64 s[10:11], vcc
	s_cbranch_execz .LBB795_520
; %bb.515:
	v_lshrrev_b32_e32 v18, 24, v14
	s_movk_i32 s20, 0x80
	v_cmp_ne_u32_e32 vcc, s20, v18
	v_mov_b32_e32 v24, 0xffff8000
	s_and_saveexec_b64 s[20:21], vcc
	s_cbranch_execz .LBB795_519
; %bb.516:
	v_bfe_u32 v20, v14, 24, 7
	s_movk_i32 s22, 0x7f
	v_cmp_ne_u32_e32 vcc, s22, v20
	v_mov_b32_e32 v24, 0x7f80
	s_and_saveexec_b64 s[22:23], vcc
	s_cbranch_execz .LBB795_518
; %bb.517:
	v_and_b32_e32 v26, 7, v18
	v_ffbh_u32_e32 v24, v26
	v_min_u32_e32 v28, 32, v24
	v_subrev_u32_e32 v24, 28, v28
	v_lshlrev_b64 v[24:25], v24, v[18:19]
	v_lshrrev_b32_e32 v27, 3, v20
	v_sub_u32_e32 v25, 29, v28
	v_and_b32_e32 v24, 7, v24
	v_cmp_gt_u32_e32 vcc, 8, v20
	v_cndmask_b32_e32 v20, v27, v25, vcc
	v_cndmask_b32_e32 v24, v26, v24, vcc
	v_lshlrev_b32_e32 v18, 24, v18
	v_bfrev_b32_e32 v25, 60
	v_lshlrev_b32_e32 v24, 20, v24
	v_and_b32_e32 v18, 0x80000000, v18
	v_lshl_add_u32 v20, v20, 23, v25
	v_or3_b32 v18, v18, v20, v24
	v_lshrrev_b32_e32 v24, 16, v18
.LBB795_518:
	s_or_b64 exec, exec, s[22:23]
.LBB795_519:
	s_or_b64 exec, exec, s[20:21]
.LBB795_520:
	s_or_b64 exec, exec, s[10:11]
	v_mov_b32_e32 v25, 0
	v_mov_b32_e32 v18, v15
	v_cmp_ne_u16_sdwa s[20:21], v15, v25 src0_sel:BYTE_0 src1_sel:DWORD
	v_mov_b32_e32 v26, 0
	s_and_saveexec_b64 s[10:11], s[20:21]
	s_cbranch_execz .LBB795_526
; %bb.521:
	s_movk_i32 s20, 0x80
	v_cmp_ne_u16_sdwa s[22:23], v15, s20 src0_sel:BYTE_0 src1_sel:DWORD
	v_mov_b32_e32 v26, 0xffff8000
	s_and_saveexec_b64 s[20:21], s[22:23]
	s_cbranch_execz .LBB795_525
; %bb.522:
	s_movk_i32 s22, 0x7f
	v_and_b32_e32 v20, 0x7f, v15
	v_cmp_ne_u32_e32 vcc, s22, v20
	v_mov_b32_e32 v26, 0x7f80
	s_and_saveexec_b64 s[22:23], vcc
	s_cbranch_execz .LBB795_524
; %bb.523:
	v_and_b32_e32 v26, 7, v15
	v_ffbh_u32_e32 v26, v26
	v_min_u32_e32 v26, 32, v26
	v_lshrrev_b32_e32 v27, 3, v20
	v_subrev_u32_e32 v28, 28, v26
	v_sub_u32_e32 v26, 29, v26
	v_cmp_gt_u32_e32 vcc, 8, v20
	v_cndmask_b32_e32 v20, v27, v26, vcc
	v_cndmask_b32_e32 v26, 0, v28, vcc
	v_lshlrev_b64 v[26:27], v26, v[18:19]
	v_lshlrev_b32_e32 v19, 20, v26
	v_lshlrev_b32_e32 v26, 24, v18
	v_bfrev_b32_e32 v27, 60
	v_and_b32_e32 v19, 0x700000, v19
	v_and_b32_e32 v26, 0x80000000, v26
	v_lshl_add_u32 v20, v20, 23, v27
	v_or3_b32 v19, v26, v20, v19
	v_lshrrev_b32_e32 v26, 16, v19
.LBB795_524:
	s_or_b64 exec, exec, s[22:23]
.LBB795_525:
	s_or_b64 exec, exec, s[20:21]
.LBB795_526:
	s_or_b64 exec, exec, s[10:11]
	v_lshrrev_b16_e32 v20, 8, v18
	v_cmp_ne_u16_e32 vcc, 0, v20
	s_and_saveexec_b64 s[10:11], vcc
	s_cbranch_execz .LBB795_532
; %bb.527:
	s_movk_i32 s20, 0x80
	v_cmp_ne_u16_e32 vcc, s20, v20
	v_mov_b32_e32 v25, 0xffff8000
	s_and_saveexec_b64 s[20:21], vcc
	s_cbranch_execz .LBB795_531
; %bb.528:
	s_movk_i32 s22, 0x7f
	v_and_b32_e32 v19, 0x7f, v20
	v_cmp_ne_u32_e32 vcc, s22, v19
	v_mov_b32_e32 v25, 0x7f80
	s_and_saveexec_b64 s[22:23], vcc
	s_cbranch_execz .LBB795_530
; %bb.529:
	v_and_b32_e32 v25, 7, v20
	v_ffbh_u32_e32 v28, v25
	v_min_u32_e32 v30, 32, v28
	v_subrev_u32_e32 v28, 28, v30
	v_lshlrev_b64 v[28:29], v28, v[20:21]
	v_lshrrev_b32_e32 v27, 3, v19
	v_sub_u32_e32 v20, 29, v30
	v_and_b32_e32 v28, 7, v28
	v_cmp_gt_u32_e32 vcc, 8, v19
	v_cndmask_b32_e32 v19, v27, v20, vcc
	v_cndmask_b32_e32 v20, v25, v28, vcc
	v_lshlrev_b32_e32 v18, 16, v18
	v_bfrev_b32_e32 v25, 60
	v_lshlrev_b32_e32 v20, 20, v20
	v_and_b32_e32 v18, 0x80000000, v18
	v_lshl_add_u32 v19, v19, 23, v25
	v_or3_b32 v18, v18, v19, v20
	v_lshrrev_b32_e32 v25, 16, v18
.LBB795_530:
	s_or_b64 exec, exec, s[22:23]
.LBB795_531:
	s_or_b64 exec, exec, s[20:21]
.LBB795_532:
	s_or_b64 exec, exec, s[10:11]
	s_movk_i32 s10, 0xff
	v_and_b32_sdwa v27, v15, s10 dst_sel:DWORD dst_unused:UNUSED_PAD src0_sel:WORD_1 src1_sel:DWORD
	v_lshrrev_b32_e32 v18, 16, v15
	v_cmp_ne_u16_e32 vcc, 0, v27
	v_mov_b32_e32 v19, 0
	v_mov_b32_e32 v20, 0
	s_and_saveexec_b64 s[10:11], vcc
	s_cbranch_execz .LBB795_538
; %bb.533:
	s_movk_i32 s20, 0x80
	v_cmp_ne_u16_e32 vcc, s20, v27
	v_mov_b32_e32 v20, 0xffff8000
	s_and_saveexec_b64 s[20:21], vcc
	s_cbranch_execz .LBB795_537
; %bb.534:
	v_bfe_u32 v27, v15, 16, 7
	s_movk_i32 s22, 0x7f
	v_cmp_ne_u32_e32 vcc, s22, v27
	v_mov_b32_e32 v20, 0x7f80
	s_and_saveexec_b64 s[22:23], vcc
	s_cbranch_execz .LBB795_536
; %bb.535:
	v_and_b32_e32 v20, 7, v18
	v_ffbh_u32_e32 v28, v20
	v_min_u32_e32 v31, 32, v28
	v_subrev_u32_e32 v28, 28, v31
	v_lshlrev_b64 v[28:29], v28, v[18:19]
	v_lshrrev_b32_e32 v30, 3, v27
	v_sub_u32_e32 v18, 29, v31
	v_and_b32_e32 v28, 7, v28
	v_cmp_gt_u32_e32 vcc, 8, v27
	v_mov_b32_e32 v27, 24
	v_cndmask_b32_e32 v18, v30, v18, vcc
	v_cndmask_b32_e32 v20, v20, v28, vcc
	v_lshlrev_b32_sdwa v27, v27, v15 dst_sel:DWORD dst_unused:UNUSED_PAD src0_sel:DWORD src1_sel:WORD_1
	v_bfrev_b32_e32 v28, 60
	v_lshlrev_b32_e32 v20, 20, v20
	v_and_b32_e32 v27, 0x80000000, v27
	v_lshl_add_u32 v18, v18, 23, v28
	v_or3_b32 v18, v27, v18, v20
	v_lshrrev_b32_e32 v20, 16, v18
.LBB795_536:
	s_or_b64 exec, exec, s[22:23]
.LBB795_537:
	s_or_b64 exec, exec, s[20:21]
.LBB795_538:
	s_or_b64 exec, exec, s[10:11]
	s_mov_b32 s10, -1
	s_mov_b32 s11, 0xffffff
	v_cmp_lt_u64_e32 vcc, s[10:11], v[14:15]
	s_and_saveexec_b64 s[10:11], vcc
	s_cbranch_execz .LBB795_544
; %bb.539:
	v_lshrrev_b32_e32 v14, 24, v15
	s_movk_i32 s20, 0x80
	v_cmp_ne_u32_e32 vcc, s20, v14
	v_mov_b32_e32 v19, 0xffff8000
	s_and_saveexec_b64 s[20:21], vcc
	s_cbranch_execz .LBB795_543
; %bb.540:
	v_bfe_u32 v15, v15, 24, 7
	s_movk_i32 s22, 0x7f
	v_cmp_ne_u32_e32 vcc, s22, v15
	v_mov_b32_e32 v19, 0x7f80
	s_and_saveexec_b64 s[22:23], vcc
	s_cbranch_execz .LBB795_542
; %bb.541:
	v_and_b32_e32 v27, 7, v14
	v_ffbh_u32_e32 v18, v27
	v_min_u32_e32 v29, 32, v18
	v_subrev_u32_e32 v18, 28, v29
	v_lshlrev_b64 v[18:19], v18, v[14:15]
	v_lshrrev_b32_e32 v28, 3, v15
	v_sub_u32_e32 v19, 29, v29
	v_and_b32_e32 v18, 7, v18
	v_cmp_gt_u32_e32 vcc, 8, v15
	v_cndmask_b32_e32 v15, v28, v19, vcc
	v_cndmask_b32_e32 v18, v27, v18, vcc
	v_lshlrev_b32_e32 v14, 24, v14
	v_bfrev_b32_e32 v19, 60
	v_lshlrev_b32_e32 v18, 20, v18
	v_and_b32_e32 v14, 0x80000000, v14
	v_lshl_add_u32 v15, v15, 23, v19
	v_or3_b32 v14, v14, v15, v18
	v_lshrrev_b32_e32 v19, 16, v14
.LBB795_542:
	s_or_b64 exec, exec, s[22:23]
.LBB795_543:
	s_or_b64 exec, exec, s[20:21]
.LBB795_544:
	s_or_b64 exec, exec, s[10:11]
	s_mov_b32 s10, 0x5040100
	v_perm_b32 v15, v24, v23, s10
	v_perm_b32 v14, v21, v22, s10
	;; [unrolled: 1-line block ×4, first 2 shown]
	v_mfma_f32_4x4x4bf16_1k a[0:3], v[2:3], v[14:15], a[0:3] cbsz:4 abid:10
	v_mov_b32_e32 v20, 0
	v_mfma_f32_4x4x4bf16_1k a[0:3], v[4:5], v[18:19], a[0:3] cbsz:4 abid:10
	v_mov_b32_e32 v19, 0
	v_cmp_ne_u16_sdwa s[20:21], v16, v19 src0_sel:BYTE_0 src1_sel:DWORD
	s_and_saveexec_b64 s[10:11], s[20:21]
	s_cbranch_execz .LBB795_550
; %bb.545:
	s_movk_i32 s20, 0x80
	v_cmp_ne_u16_sdwa s[22:23], v16, s20 src0_sel:BYTE_0 src1_sel:DWORD
	v_mov_b32_e32 v20, 0xffff8000
	s_and_saveexec_b64 s[20:21], s[22:23]
	s_cbranch_execz .LBB795_549
; %bb.546:
	s_movk_i32 s22, 0x7f
	v_and_b32_e32 v14, 0x7f, v16
	v_cmp_ne_u32_e32 vcc, s22, v14
	v_mov_b32_e32 v20, 0x7f80
	s_and_saveexec_b64 s[22:23], vcc
	s_cbranch_execz .LBB795_548
; %bb.547:
	v_and_b32_e32 v15, 7, v16
	v_ffbh_u32_e32 v15, v15
	v_min_u32_e32 v15, 32, v15
	v_subrev_u32_e32 v20, 28, v15
	v_cmp_gt_u32_e32 vcc, 8, v14
	v_lshrrev_b32_e32 v18, 3, v14
	v_sub_u32_e32 v15, 29, v15
	v_cndmask_b32_e32 v14, 0, v20, vcc
	v_cndmask_b32_e32 v18, v18, v15, vcc
	v_lshlrev_b64 v[14:15], v14, v[16:17]
	v_lshlrev_b32_e32 v14, 20, v14
	v_lshlrev_b32_e32 v15, 24, v16
	v_bfrev_b32_e32 v20, 60
	v_and_b32_e32 v14, 0x700000, v14
	v_and_b32_e32 v15, 0x80000000, v15
	v_lshl_add_u32 v18, v18, 23, v20
	v_or3_b32 v14, v15, v18, v14
	v_lshrrev_b32_e32 v20, 16, v14
.LBB795_548:
	s_or_b64 exec, exec, s[22:23]
.LBB795_549:
	s_or_b64 exec, exec, s[20:21]
.LBB795_550:
	s_or_b64 exec, exec, s[10:11]
	v_lshrrev_b16_e32 v14, 8, v16
	v_cmp_ne_u16_e32 vcc, 0, v14
	s_and_saveexec_b64 s[10:11], vcc
	s_cbranch_execz .LBB795_556
; %bb.551:
	s_movk_i32 s20, 0x80
	v_cmp_ne_u16_e32 vcc, s20, v14
	v_mov_b32_e32 v19, 0xffff8000
	s_and_saveexec_b64 s[20:21], vcc
	s_cbranch_execz .LBB795_555
; %bb.552:
	s_movk_i32 s22, 0x7f
	v_and_b32_e32 v15, 0x7f, v14
	v_cmp_ne_u32_e32 vcc, s22, v15
	v_mov_b32_e32 v19, 0x7f80
	s_and_saveexec_b64 s[22:23], vcc
	s_cbranch_execz .LBB795_554
; %bb.553:
	v_and_b32_e32 v21, 7, v14
	v_ffbh_u32_e32 v18, v21
	v_min_u32_e32 v23, 32, v18
	v_subrev_u32_e32 v18, 28, v23
	v_lshlrev_b64 v[18:19], v18, v[14:15]
	v_lshrrev_b32_e32 v22, 3, v15
	v_sub_u32_e32 v14, 29, v23
	v_and_b32_e32 v18, 7, v18
	v_cmp_gt_u32_e32 vcc, 8, v15
	v_cndmask_b32_e32 v14, v22, v14, vcc
	v_cndmask_b32_e32 v15, v21, v18, vcc
	v_lshlrev_b32_e32 v18, 16, v16
	v_bfrev_b32_e32 v19, 60
	v_lshlrev_b32_e32 v15, 20, v15
	v_and_b32_e32 v18, 0x80000000, v18
	v_lshl_add_u32 v14, v14, 23, v19
	v_or3_b32 v14, v18, v14, v15
	v_lshrrev_b32_e32 v19, 16, v14
.LBB795_554:
	s_or_b64 exec, exec, s[22:23]
.LBB795_555:
	s_or_b64 exec, exec, s[20:21]
.LBB795_556:
	s_or_b64 exec, exec, s[10:11]
	s_movk_i32 s10, 0xff
	v_and_b32_sdwa v18, v16, s10 dst_sel:DWORD dst_unused:UNUSED_PAD src0_sel:WORD_1 src1_sel:DWORD
	v_lshrrev_b32_e32 v14, 16, v16
	v_cmp_ne_u16_e32 vcc, 0, v18
	v_mov_b32_e32 v15, 0
	v_mov_b32_e32 v21, 0
	s_and_saveexec_b64 s[10:11], vcc
	s_cbranch_execz .LBB795_562
; %bb.557:
	s_movk_i32 s20, 0x80
	v_cmp_ne_u16_e32 vcc, s20, v18
	v_mov_b32_e32 v21, 0xffff8000
	s_and_saveexec_b64 s[20:21], vcc
	s_cbranch_execz .LBB795_561
; %bb.558:
	v_bfe_u32 v18, v16, 16, 7
	s_movk_i32 s22, 0x7f
	v_cmp_ne_u32_e32 vcc, s22, v18
	v_mov_b32_e32 v21, 0x7f80
	s_and_saveexec_b64 s[22:23], vcc
	s_cbranch_execz .LBB795_560
; %bb.559:
	v_and_b32_e32 v21, 7, v14
	v_ffbh_u32_e32 v22, v21
	v_min_u32_e32 v25, 32, v22
	v_subrev_u32_e32 v22, 28, v25
	v_lshlrev_b64 v[22:23], v22, v[14:15]
	v_and_b32_e32 v22, 7, v22
	v_cmp_gt_u32_e32 vcc, 8, v18
	v_lshrrev_b32_e32 v24, 3, v18
	v_sub_u32_e32 v14, 29, v25
	v_cndmask_b32_e32 v18, v21, v22, vcc
	v_mov_b32_e32 v21, 24
	v_cndmask_b32_e32 v14, v24, v14, vcc
	v_lshlrev_b32_sdwa v21, v21, v16 dst_sel:DWORD dst_unused:UNUSED_PAD src0_sel:DWORD src1_sel:WORD_1
	v_bfrev_b32_e32 v22, 60
	v_lshlrev_b32_e32 v18, 20, v18
	v_and_b32_e32 v21, 0x80000000, v21
	v_lshl_add_u32 v14, v14, 23, v22
	v_or3_b32 v14, v21, v14, v18
	v_lshrrev_b32_e32 v21, 16, v14
.LBB795_560:
	s_or_b64 exec, exec, s[22:23]
.LBB795_561:
	s_or_b64 exec, exec, s[20:21]
.LBB795_562:
	s_or_b64 exec, exec, s[10:11]
	s_mov_b32 s10, 0xffffff
	v_cmp_lt_u32_e32 vcc, s10, v16
	v_mov_b32_e32 v22, 0
	s_and_saveexec_b64 s[10:11], vcc
	s_cbranch_execz .LBB795_568
; %bb.563:
	v_lshrrev_b32_e32 v14, 24, v16
	s_movk_i32 s20, 0x80
	v_cmp_ne_u32_e32 vcc, s20, v14
	v_mov_b32_e32 v22, 0xffff8000
	s_and_saveexec_b64 s[20:21], vcc
	s_cbranch_execz .LBB795_567
; %bb.564:
	v_bfe_u32 v18, v16, 24, 7
	s_movk_i32 s22, 0x7f
	v_cmp_ne_u32_e32 vcc, s22, v18
	v_mov_b32_e32 v22, 0x7f80
	s_and_saveexec_b64 s[22:23], vcc
	s_cbranch_execz .LBB795_566
; %bb.565:
	v_and_b32_e32 v24, 7, v14
	v_ffbh_u32_e32 v22, v24
	v_min_u32_e32 v26, 32, v22
	v_subrev_u32_e32 v22, 28, v26
	v_lshlrev_b64 v[22:23], v22, v[14:15]
	v_lshrrev_b32_e32 v25, 3, v18
	v_sub_u32_e32 v23, 29, v26
	v_and_b32_e32 v22, 7, v22
	v_cmp_gt_u32_e32 vcc, 8, v18
	v_cndmask_b32_e32 v18, v25, v23, vcc
	v_cndmask_b32_e32 v22, v24, v22, vcc
	v_lshlrev_b32_e32 v14, 24, v14
	v_bfrev_b32_e32 v23, 60
	v_lshlrev_b32_e32 v22, 20, v22
	v_and_b32_e32 v14, 0x80000000, v14
	v_lshl_add_u32 v18, v18, 23, v23
	v_or3_b32 v14, v14, v18, v22
	v_lshrrev_b32_e32 v22, 16, v14
.LBB795_566:
	s_or_b64 exec, exec, s[22:23]
.LBB795_567:
	s_or_b64 exec, exec, s[20:21]
.LBB795_568:
	s_or_b64 exec, exec, s[10:11]
	v_mov_b32_e32 v23, 0
	v_mov_b32_e32 v14, v17
	v_cmp_ne_u16_sdwa s[20:21], v17, v23 src0_sel:BYTE_0 src1_sel:DWORD
	v_mov_b32_e32 v24, 0
	s_and_saveexec_b64 s[10:11], s[20:21]
	s_cbranch_execz .LBB795_574
; %bb.569:
	s_movk_i32 s20, 0x80
	v_cmp_ne_u16_sdwa s[22:23], v17, s20 src0_sel:BYTE_0 src1_sel:DWORD
	v_mov_b32_e32 v24, 0xffff8000
	s_and_saveexec_b64 s[20:21], s[22:23]
	s_cbranch_execz .LBB795_573
; %bb.570:
	s_movk_i32 s22, 0x7f
	v_and_b32_e32 v18, 0x7f, v17
	v_cmp_ne_u32_e32 vcc, s22, v18
	v_mov_b32_e32 v24, 0x7f80
	s_and_saveexec_b64 s[22:23], vcc
	s_cbranch_execz .LBB795_572
; %bb.571:
	v_and_b32_e32 v24, 7, v17
	v_ffbh_u32_e32 v24, v24
	v_min_u32_e32 v24, 32, v24
	v_lshrrev_b32_e32 v25, 3, v18
	v_subrev_u32_e32 v26, 28, v24
	v_sub_u32_e32 v24, 29, v24
	v_cmp_gt_u32_e32 vcc, 8, v18
	v_cndmask_b32_e32 v18, v25, v24, vcc
	v_cndmask_b32_e32 v24, 0, v26, vcc
	v_lshlrev_b64 v[24:25], v24, v[14:15]
	v_lshlrev_b32_e32 v15, 20, v24
	v_lshlrev_b32_e32 v24, 24, v14
	v_bfrev_b32_e32 v25, 60
	v_and_b32_e32 v15, 0x700000, v15
	v_and_b32_e32 v24, 0x80000000, v24
	v_lshl_add_u32 v18, v18, 23, v25
	v_or3_b32 v15, v24, v18, v15
	v_lshrrev_b32_e32 v24, 16, v15
.LBB795_572:
	s_or_b64 exec, exec, s[22:23]
.LBB795_573:
	s_or_b64 exec, exec, s[20:21]
.LBB795_574:
	s_or_b64 exec, exec, s[10:11]
	v_lshrrev_b16_e32 v18, 8, v14
	v_cmp_ne_u16_e32 vcc, 0, v18
	s_and_saveexec_b64 s[10:11], vcc
	s_cbranch_execz .LBB795_580
; %bb.575:
	s_movk_i32 s20, 0x80
	v_cmp_ne_u16_e32 vcc, s20, v18
	v_mov_b32_e32 v23, 0xffff8000
	s_and_saveexec_b64 s[20:21], vcc
	s_cbranch_execz .LBB795_579
; %bb.576:
	s_movk_i32 s22, 0x7f
	v_and_b32_e32 v15, 0x7f, v18
	v_cmp_ne_u32_e32 vcc, s22, v15
	v_mov_b32_e32 v23, 0x7f80
	s_and_saveexec_b64 s[22:23], vcc
	s_cbranch_execz .LBB795_578
; %bb.577:
	v_and_b32_e32 v23, 7, v18
	v_ffbh_u32_e32 v26, v23
	v_min_u32_e32 v28, 32, v26
	v_subrev_u32_e32 v26, 28, v28
	v_lshlrev_b64 v[26:27], v26, v[18:19]
	v_lshrrev_b32_e32 v25, 3, v15
	v_sub_u32_e32 v18, 29, v28
	v_and_b32_e32 v26, 7, v26
	v_cmp_gt_u32_e32 vcc, 8, v15
	v_cndmask_b32_e32 v15, v25, v18, vcc
	v_cndmask_b32_e32 v18, v23, v26, vcc
	v_lshlrev_b32_e32 v14, 16, v14
	v_bfrev_b32_e32 v23, 60
	v_lshlrev_b32_e32 v18, 20, v18
	v_and_b32_e32 v14, 0x80000000, v14
	v_lshl_add_u32 v15, v15, 23, v23
	v_or3_b32 v14, v14, v15, v18
	v_lshrrev_b32_e32 v23, 16, v14
.LBB795_578:
	s_or_b64 exec, exec, s[22:23]
.LBB795_579:
	s_or_b64 exec, exec, s[20:21]
.LBB795_580:
	s_or_b64 exec, exec, s[10:11]
	s_movk_i32 s10, 0xff
	v_and_b32_sdwa v25, v17, s10 dst_sel:DWORD dst_unused:UNUSED_PAD src0_sel:WORD_1 src1_sel:DWORD
	v_lshrrev_b32_e32 v14, 16, v17
	v_cmp_ne_u16_e32 vcc, 0, v25
	v_mov_b32_e32 v15, 0
	v_mov_b32_e32 v18, 0
	s_and_saveexec_b64 s[10:11], vcc
	s_cbranch_execz .LBB795_586
; %bb.581:
	s_movk_i32 s20, 0x80
	v_cmp_ne_u16_e32 vcc, s20, v25
	v_mov_b32_e32 v18, 0xffff8000
	s_and_saveexec_b64 s[20:21], vcc
	s_cbranch_execz .LBB795_585
; %bb.582:
	v_bfe_u32 v25, v17, 16, 7
	s_movk_i32 s22, 0x7f
	v_cmp_ne_u32_e32 vcc, s22, v25
	v_mov_b32_e32 v18, 0x7f80
	s_and_saveexec_b64 s[22:23], vcc
	s_cbranch_execz .LBB795_584
; %bb.583:
	v_and_b32_e32 v18, 7, v14
	v_ffbh_u32_e32 v26, v18
	v_min_u32_e32 v29, 32, v26
	v_subrev_u32_e32 v26, 28, v29
	v_lshlrev_b64 v[26:27], v26, v[14:15]
	v_lshrrev_b32_e32 v28, 3, v25
	v_sub_u32_e32 v14, 29, v29
	v_and_b32_e32 v26, 7, v26
	v_cmp_gt_u32_e32 vcc, 8, v25
	v_mov_b32_e32 v25, 24
	v_cndmask_b32_e32 v14, v28, v14, vcc
	v_cndmask_b32_e32 v18, v18, v26, vcc
	v_lshlrev_b32_sdwa v25, v25, v17 dst_sel:DWORD dst_unused:UNUSED_PAD src0_sel:DWORD src1_sel:WORD_1
	v_bfrev_b32_e32 v26, 60
	v_lshlrev_b32_e32 v18, 20, v18
	v_and_b32_e32 v25, 0x80000000, v25
	v_lshl_add_u32 v14, v14, 23, v26
	v_or3_b32 v14, v25, v14, v18
	v_lshrrev_b32_e32 v18, 16, v14
.LBB795_584:
	s_or_b64 exec, exec, s[22:23]
.LBB795_585:
	s_or_b64 exec, exec, s[20:21]
.LBB795_586:
	s_or_b64 exec, exec, s[10:11]
	s_mov_b32 s10, -1
	s_mov_b32 s11, 0xffffff
	v_cmp_lt_u64_e32 vcc, s[10:11], v[16:17]
	s_and_saveexec_b64 s[10:11], vcc
	s_cbranch_execz .LBB795_592
; %bb.587:
	v_lshrrev_b32_e32 v14, 24, v17
	s_movk_i32 s20, 0x80
	v_cmp_ne_u32_e32 vcc, s20, v14
	v_mov_b32_e32 v15, 0xffff8000
	s_and_saveexec_b64 s[20:21], vcc
	s_cbranch_execz .LBB795_591
; %bb.588:
	v_bfe_u32 v16, v17, 24, 7
	s_movk_i32 s22, 0x7f
	v_cmp_ne_u32_e32 vcc, s22, v16
	v_mov_b32_e32 v15, 0x7f80
	s_and_saveexec_b64 s[22:23], vcc
	s_cbranch_execz .LBB795_590
; %bb.589:
	v_and_b32_e32 v15, 7, v14
	v_ffbh_u32_e32 v25, v15
	v_min_u32_e32 v25, 32, v25
	v_subrev_u32_e32 v26, 28, v25
	v_lshlrev_b64 v[26:27], v26, v[14:15]
	v_lshrrev_b32_e32 v17, 3, v16
	v_sub_u32_e32 v25, 29, v25
	v_and_b32_e32 v26, 7, v26
	v_cmp_gt_u32_e32 vcc, 8, v16
	v_cndmask_b32_e32 v16, v17, v25, vcc
	v_cndmask_b32_e32 v15, v15, v26, vcc
	v_lshlrev_b32_e32 v14, 24, v14
	v_bfrev_b32_e32 v17, 60
	v_lshlrev_b32_e32 v15, 20, v15
	v_and_b32_e32 v14, 0x80000000, v14
	v_lshl_add_u32 v16, v16, 23, v17
	v_or3_b32 v14, v14, v16, v15
	v_lshrrev_b32_e32 v15, 16, v14
.LBB795_590:
	s_or_b64 exec, exec, s[22:23]
.LBB795_591:
	s_or_b64 exec, exec, s[20:21]
.LBB795_592:
	s_or_b64 exec, exec, s[10:11]
	s_mov_b32 s10, 0x5040100
	v_perm_b32 v17, v22, v21, s10
	v_perm_b32 v16, v19, v20, s10
	;; [unrolled: 1-line block ×4, first 2 shown]
	v_mfma_f32_4x4x4bf16_1k a[0:3], v[2:3], v[16:17], a[0:3] cbsz:4 abid:11
	v_mov_b32_e32 v17, 0
	v_mfma_f32_4x4x4bf16_1k a[0:3], v[4:5], v[14:15], a[0:3] cbsz:4 abid:11
	v_cmp_ne_u16_sdwa s[20:21], v10, v17 src0_sel:BYTE_0 src1_sel:DWORD
	v_mov_b32_e32 v18, 0
	s_and_saveexec_b64 s[10:11], s[20:21]
	s_cbranch_execz .LBB795_598
; %bb.593:
	s_movk_i32 s20, 0x80
	v_cmp_ne_u16_sdwa s[22:23], v10, s20 src0_sel:BYTE_0 src1_sel:DWORD
	v_mov_b32_e32 v18, 0xffff8000
	s_and_saveexec_b64 s[20:21], s[22:23]
	s_cbranch_execz .LBB795_597
; %bb.594:
	s_movk_i32 s22, 0x7f
	v_and_b32_e32 v14, 0x7f, v10
	v_cmp_ne_u32_e32 vcc, s22, v14
	v_mov_b32_e32 v18, 0x7f80
	s_and_saveexec_b64 s[22:23], vcc
	s_cbranch_execz .LBB795_596
; %bb.595:
	v_and_b32_e32 v15, 7, v10
	v_ffbh_u32_e32 v15, v15
	v_min_u32_e32 v15, 32, v15
	v_subrev_u32_e32 v18, 28, v15
	v_cmp_gt_u32_e32 vcc, 8, v14
	v_lshrrev_b32_e32 v16, 3, v14
	v_sub_u32_e32 v15, 29, v15
	v_cndmask_b32_e32 v14, 0, v18, vcc
	v_cndmask_b32_e32 v16, v16, v15, vcc
	v_lshlrev_b64 v[14:15], v14, v[10:11]
	v_lshlrev_b32_e32 v14, 20, v14
	v_lshlrev_b32_e32 v15, 24, v10
	v_bfrev_b32_e32 v18, 60
	v_and_b32_e32 v14, 0x700000, v14
	v_and_b32_e32 v15, 0x80000000, v15
	v_lshl_add_u32 v16, v16, 23, v18
	v_or3_b32 v14, v15, v16, v14
	v_lshrrev_b32_e32 v18, 16, v14
.LBB795_596:
	s_or_b64 exec, exec, s[22:23]
.LBB795_597:
	s_or_b64 exec, exec, s[20:21]
.LBB795_598:
	s_or_b64 exec, exec, s[10:11]
	v_lshrrev_b16_e32 v14, 8, v10
	v_cmp_ne_u16_e32 vcc, 0, v14
	s_and_saveexec_b64 s[10:11], vcc
	s_cbranch_execz .LBB795_604
; %bb.599:
	s_movk_i32 s20, 0x80
	v_cmp_ne_u16_e32 vcc, s20, v14
	v_mov_b32_e32 v17, 0xffff8000
	s_and_saveexec_b64 s[20:21], vcc
	s_cbranch_execz .LBB795_603
; %bb.600:
	s_movk_i32 s22, 0x7f
	v_and_b32_e32 v15, 0x7f, v14
	v_cmp_ne_u32_e32 vcc, s22, v15
	v_mov_b32_e32 v17, 0x7f80
	s_and_saveexec_b64 s[22:23], vcc
	s_cbranch_execz .LBB795_602
; %bb.601:
	v_and_b32_e32 v19, 7, v14
	v_ffbh_u32_e32 v16, v19
	v_min_u32_e32 v21, 32, v16
	v_subrev_u32_e32 v16, 28, v21
	v_lshlrev_b64 v[16:17], v16, v[14:15]
	v_lshrrev_b32_e32 v20, 3, v15
	v_sub_u32_e32 v14, 29, v21
	v_and_b32_e32 v16, 7, v16
	v_cmp_gt_u32_e32 vcc, 8, v15
	v_cndmask_b32_e32 v14, v20, v14, vcc
	v_cndmask_b32_e32 v15, v19, v16, vcc
	v_lshlrev_b32_e32 v16, 16, v10
	v_bfrev_b32_e32 v17, 60
	v_lshlrev_b32_e32 v15, 20, v15
	v_and_b32_e32 v16, 0x80000000, v16
	v_lshl_add_u32 v14, v14, 23, v17
	v_or3_b32 v14, v16, v14, v15
	v_lshrrev_b32_e32 v17, 16, v14
.LBB795_602:
	s_or_b64 exec, exec, s[22:23]
.LBB795_603:
	s_or_b64 exec, exec, s[20:21]
.LBB795_604:
	s_or_b64 exec, exec, s[10:11]
	s_movk_i32 s10, 0xff
	v_and_b32_sdwa v16, v10, s10 dst_sel:DWORD dst_unused:UNUSED_PAD src0_sel:WORD_1 src1_sel:DWORD
	v_lshrrev_b32_e32 v14, 16, v10
	v_cmp_ne_u16_e32 vcc, 0, v16
	v_mov_b32_e32 v15, 0
	v_mov_b32_e32 v19, 0
	s_and_saveexec_b64 s[10:11], vcc
	s_cbranch_execz .LBB795_610
; %bb.605:
	s_movk_i32 s20, 0x80
	v_cmp_ne_u16_e32 vcc, s20, v16
	v_mov_b32_e32 v19, 0xffff8000
	s_and_saveexec_b64 s[20:21], vcc
	s_cbranch_execz .LBB795_609
; %bb.606:
	v_bfe_u32 v16, v10, 16, 7
	s_movk_i32 s22, 0x7f
	v_cmp_ne_u32_e32 vcc, s22, v16
	v_mov_b32_e32 v19, 0x7f80
	s_and_saveexec_b64 s[22:23], vcc
	s_cbranch_execz .LBB795_608
; %bb.607:
	v_and_b32_e32 v19, 7, v14
	v_ffbh_u32_e32 v20, v19
	v_min_u32_e32 v23, 32, v20
	v_subrev_u32_e32 v20, 28, v23
	v_lshlrev_b64 v[20:21], v20, v[14:15]
	v_and_b32_e32 v20, 7, v20
	v_cmp_gt_u32_e32 vcc, 8, v16
	v_lshrrev_b32_e32 v22, 3, v16
	v_sub_u32_e32 v14, 29, v23
	v_cndmask_b32_e32 v16, v19, v20, vcc
	v_mov_b32_e32 v19, 24
	v_cndmask_b32_e32 v14, v22, v14, vcc
	v_lshlrev_b32_sdwa v19, v19, v10 dst_sel:DWORD dst_unused:UNUSED_PAD src0_sel:DWORD src1_sel:WORD_1
	v_bfrev_b32_e32 v20, 60
	v_lshlrev_b32_e32 v16, 20, v16
	v_and_b32_e32 v19, 0x80000000, v19
	v_lshl_add_u32 v14, v14, 23, v20
	v_or3_b32 v14, v19, v14, v16
	v_lshrrev_b32_e32 v19, 16, v14
.LBB795_608:
	s_or_b64 exec, exec, s[22:23]
.LBB795_609:
	s_or_b64 exec, exec, s[20:21]
.LBB795_610:
	s_or_b64 exec, exec, s[10:11]
	s_mov_b32 s10, 0xffffff
	v_cmp_lt_u32_e32 vcc, s10, v10
	v_mov_b32_e32 v20, 0
	s_and_saveexec_b64 s[10:11], vcc
	s_cbranch_execz .LBB795_616
; %bb.611:
	v_lshrrev_b32_e32 v14, 24, v10
	s_movk_i32 s20, 0x80
	v_cmp_ne_u32_e32 vcc, s20, v14
	v_mov_b32_e32 v20, 0xffff8000
	s_and_saveexec_b64 s[20:21], vcc
	s_cbranch_execz .LBB795_615
; %bb.612:
	v_bfe_u32 v16, v10, 24, 7
	s_movk_i32 s22, 0x7f
	v_cmp_ne_u32_e32 vcc, s22, v16
	v_mov_b32_e32 v20, 0x7f80
	s_and_saveexec_b64 s[22:23], vcc
	s_cbranch_execz .LBB795_614
; %bb.613:
	v_and_b32_e32 v22, 7, v14
	v_ffbh_u32_e32 v20, v22
	v_min_u32_e32 v24, 32, v20
	v_subrev_u32_e32 v20, 28, v24
	v_lshlrev_b64 v[20:21], v20, v[14:15]
	v_lshrrev_b32_e32 v23, 3, v16
	v_sub_u32_e32 v21, 29, v24
	v_and_b32_e32 v20, 7, v20
	v_cmp_gt_u32_e32 vcc, 8, v16
	v_cndmask_b32_e32 v16, v23, v21, vcc
	v_cndmask_b32_e32 v20, v22, v20, vcc
	v_lshlrev_b32_e32 v14, 24, v14
	v_bfrev_b32_e32 v21, 60
	v_lshlrev_b32_e32 v20, 20, v20
	v_and_b32_e32 v14, 0x80000000, v14
	v_lshl_add_u32 v16, v16, 23, v21
	v_or3_b32 v14, v14, v16, v20
	v_lshrrev_b32_e32 v20, 16, v14
.LBB795_614:
	s_or_b64 exec, exec, s[22:23]
.LBB795_615:
	s_or_b64 exec, exec, s[20:21]
.LBB795_616:
	s_or_b64 exec, exec, s[10:11]
	v_mov_b32_e32 v21, 0
	v_mov_b32_e32 v14, v11
	v_cmp_ne_u16_sdwa s[20:21], v11, v21 src0_sel:BYTE_0 src1_sel:DWORD
	v_mov_b32_e32 v22, 0
	s_and_saveexec_b64 s[10:11], s[20:21]
	s_cbranch_execz .LBB795_622
; %bb.617:
	s_movk_i32 s20, 0x80
	v_cmp_ne_u16_sdwa s[22:23], v11, s20 src0_sel:BYTE_0 src1_sel:DWORD
	v_mov_b32_e32 v22, 0xffff8000
	s_and_saveexec_b64 s[20:21], s[22:23]
	s_cbranch_execz .LBB795_621
; %bb.618:
	s_movk_i32 s22, 0x7f
	v_and_b32_e32 v16, 0x7f, v11
	v_cmp_ne_u32_e32 vcc, s22, v16
	v_mov_b32_e32 v22, 0x7f80
	s_and_saveexec_b64 s[22:23], vcc
	s_cbranch_execz .LBB795_620
; %bb.619:
	v_and_b32_e32 v22, 7, v11
	v_ffbh_u32_e32 v22, v22
	v_min_u32_e32 v22, 32, v22
	v_lshrrev_b32_e32 v23, 3, v16
	v_subrev_u32_e32 v24, 28, v22
	v_sub_u32_e32 v22, 29, v22
	v_cmp_gt_u32_e32 vcc, 8, v16
	v_cndmask_b32_e32 v16, v23, v22, vcc
	v_cndmask_b32_e32 v22, 0, v24, vcc
	v_lshlrev_b64 v[22:23], v22, v[14:15]
	v_lshlrev_b32_e32 v15, 20, v22
	v_lshlrev_b32_e32 v22, 24, v14
	v_bfrev_b32_e32 v23, 60
	v_and_b32_e32 v15, 0x700000, v15
	v_and_b32_e32 v22, 0x80000000, v22
	v_lshl_add_u32 v16, v16, 23, v23
	v_or3_b32 v15, v22, v16, v15
	v_lshrrev_b32_e32 v22, 16, v15
.LBB795_620:
	s_or_b64 exec, exec, s[22:23]
.LBB795_621:
	s_or_b64 exec, exec, s[20:21]
.LBB795_622:
	s_or_b64 exec, exec, s[10:11]
	v_lshrrev_b16_e32 v16, 8, v14
	v_cmp_ne_u16_e32 vcc, 0, v16
	s_and_saveexec_b64 s[10:11], vcc
	s_cbranch_execz .LBB795_628
; %bb.623:
	s_movk_i32 s20, 0x80
	v_cmp_ne_u16_e32 vcc, s20, v16
	v_mov_b32_e32 v21, 0xffff8000
	s_and_saveexec_b64 s[20:21], vcc
	s_cbranch_execz .LBB795_627
; %bb.624:
	s_movk_i32 s22, 0x7f
	v_and_b32_e32 v15, 0x7f, v16
	v_cmp_ne_u32_e32 vcc, s22, v15
	v_mov_b32_e32 v21, 0x7f80
	s_and_saveexec_b64 s[22:23], vcc
	s_cbranch_execz .LBB795_626
; %bb.625:
	v_and_b32_e32 v21, 7, v16
	v_ffbh_u32_e32 v24, v21
	v_min_u32_e32 v26, 32, v24
	v_subrev_u32_e32 v24, 28, v26
	v_lshlrev_b64 v[24:25], v24, v[16:17]
	v_lshrrev_b32_e32 v23, 3, v15
	v_sub_u32_e32 v16, 29, v26
	v_and_b32_e32 v24, 7, v24
	v_cmp_gt_u32_e32 vcc, 8, v15
	v_cndmask_b32_e32 v15, v23, v16, vcc
	v_cndmask_b32_e32 v16, v21, v24, vcc
	v_lshlrev_b32_e32 v14, 16, v14
	v_bfrev_b32_e32 v21, 60
	v_lshlrev_b32_e32 v16, 20, v16
	v_and_b32_e32 v14, 0x80000000, v14
	v_lshl_add_u32 v15, v15, 23, v21
	v_or3_b32 v14, v14, v15, v16
	v_lshrrev_b32_e32 v21, 16, v14
.LBB795_626:
	s_or_b64 exec, exec, s[22:23]
.LBB795_627:
	s_or_b64 exec, exec, s[20:21]
.LBB795_628:
	s_or_b64 exec, exec, s[10:11]
	s_movk_i32 s10, 0xff
	v_and_b32_sdwa v23, v11, s10 dst_sel:DWORD dst_unused:UNUSED_PAD src0_sel:WORD_1 src1_sel:DWORD
	v_lshrrev_b32_e32 v14, 16, v11
	v_cmp_ne_u16_e32 vcc, 0, v23
	v_mov_b32_e32 v15, 0
	v_mov_b32_e32 v16, 0
	s_and_saveexec_b64 s[10:11], vcc
	s_cbranch_execz .LBB795_634
; %bb.629:
	s_movk_i32 s20, 0x80
	v_cmp_ne_u16_e32 vcc, s20, v23
	v_mov_b32_e32 v16, 0xffff8000
	s_and_saveexec_b64 s[20:21], vcc
	s_cbranch_execz .LBB795_633
; %bb.630:
	v_bfe_u32 v23, v11, 16, 7
	s_movk_i32 s22, 0x7f
	v_cmp_ne_u32_e32 vcc, s22, v23
	v_mov_b32_e32 v16, 0x7f80
	s_and_saveexec_b64 s[22:23], vcc
	s_cbranch_execz .LBB795_632
; %bb.631:
	v_and_b32_e32 v16, 7, v14
	v_ffbh_u32_e32 v24, v16
	v_min_u32_e32 v27, 32, v24
	v_subrev_u32_e32 v24, 28, v27
	v_lshlrev_b64 v[24:25], v24, v[14:15]
	v_lshrrev_b32_e32 v26, 3, v23
	v_sub_u32_e32 v14, 29, v27
	v_and_b32_e32 v24, 7, v24
	v_cmp_gt_u32_e32 vcc, 8, v23
	v_mov_b32_e32 v23, 24
	v_cndmask_b32_e32 v14, v26, v14, vcc
	v_cndmask_b32_e32 v16, v16, v24, vcc
	v_lshlrev_b32_sdwa v23, v23, v11 dst_sel:DWORD dst_unused:UNUSED_PAD src0_sel:DWORD src1_sel:WORD_1
	v_bfrev_b32_e32 v24, 60
	v_lshlrev_b32_e32 v16, 20, v16
	v_and_b32_e32 v23, 0x80000000, v23
	v_lshl_add_u32 v14, v14, 23, v24
	v_or3_b32 v14, v23, v14, v16
	v_lshrrev_b32_e32 v16, 16, v14
.LBB795_632:
	s_or_b64 exec, exec, s[22:23]
.LBB795_633:
	s_or_b64 exec, exec, s[20:21]
.LBB795_634:
	s_or_b64 exec, exec, s[10:11]
	s_mov_b32 s10, -1
	s_mov_b32 s11, 0xffffff
	v_cmp_lt_u64_e32 vcc, s[10:11], v[10:11]
	s_and_saveexec_b64 s[10:11], vcc
	s_cbranch_execz .LBB795_640
; %bb.635:
	v_lshrrev_b32_e32 v10, 24, v11
	s_movk_i32 s20, 0x80
	v_cmp_ne_u32_e32 vcc, s20, v10
	v_mov_b32_e32 v15, 0xffff8000
	s_and_saveexec_b64 s[20:21], vcc
	s_cbranch_execz .LBB795_639
; %bb.636:
	v_bfe_u32 v11, v11, 24, 7
	s_movk_i32 s22, 0x7f
	v_cmp_ne_u32_e32 vcc, s22, v11
	v_mov_b32_e32 v15, 0x7f80
	s_and_saveexec_b64 s[22:23], vcc
	s_cbranch_execz .LBB795_638
; %bb.637:
	v_and_b32_e32 v23, 7, v10
	v_ffbh_u32_e32 v14, v23
	v_min_u32_e32 v25, 32, v14
	v_subrev_u32_e32 v14, 28, v25
	v_lshlrev_b64 v[14:15], v14, v[10:11]
	v_lshrrev_b32_e32 v24, 3, v11
	v_sub_u32_e32 v15, 29, v25
	v_and_b32_e32 v14, 7, v14
	v_cmp_gt_u32_e32 vcc, 8, v11
	v_cndmask_b32_e32 v11, v24, v15, vcc
	v_cndmask_b32_e32 v14, v23, v14, vcc
	v_lshlrev_b32_e32 v10, 24, v10
	v_bfrev_b32_e32 v15, 60
	v_lshlrev_b32_e32 v14, 20, v14
	v_and_b32_e32 v10, 0x80000000, v10
	v_lshl_add_u32 v11, v11, 23, v15
	v_or3_b32 v10, v10, v11, v14
	v_lshrrev_b32_e32 v15, 16, v10
.LBB795_638:
	s_or_b64 exec, exec, s[22:23]
.LBB795_639:
	s_or_b64 exec, exec, s[20:21]
.LBB795_640:
	s_or_b64 exec, exec, s[10:11]
	s_mov_b32 s10, 0x5040100
	v_perm_b32 v11, v20, v19, s10
	v_perm_b32 v10, v17, v18, s10
	;; [unrolled: 1-line block ×4, first 2 shown]
	v_mfma_f32_4x4x4bf16_1k a[0:3], v[2:3], v[10:11], a[0:3] cbsz:4 abid:12
	v_mov_b32_e32 v16, 0
	v_mfma_f32_4x4x4bf16_1k a[0:3], v[4:5], v[14:15], a[0:3] cbsz:4 abid:12
	v_mov_b32_e32 v15, 0
	v_cmp_ne_u16_sdwa s[20:21], v12, v15 src0_sel:BYTE_0 src1_sel:DWORD
	s_and_saveexec_b64 s[10:11], s[20:21]
	s_cbranch_execz .LBB795_646
; %bb.641:
	s_movk_i32 s20, 0x80
	v_cmp_ne_u16_sdwa s[22:23], v12, s20 src0_sel:BYTE_0 src1_sel:DWORD
	v_mov_b32_e32 v16, 0xffff8000
	s_and_saveexec_b64 s[20:21], s[22:23]
	s_cbranch_execz .LBB795_645
; %bb.642:
	s_movk_i32 s22, 0x7f
	v_and_b32_e32 v10, 0x7f, v12
	v_cmp_ne_u32_e32 vcc, s22, v10
	v_mov_b32_e32 v16, 0x7f80
	s_and_saveexec_b64 s[22:23], vcc
	s_cbranch_execz .LBB795_644
; %bb.643:
	v_and_b32_e32 v11, 7, v12
	v_ffbh_u32_e32 v11, v11
	v_min_u32_e32 v11, 32, v11
	v_subrev_u32_e32 v16, 28, v11
	v_cmp_gt_u32_e32 vcc, 8, v10
	v_lshrrev_b32_e32 v14, 3, v10
	v_sub_u32_e32 v11, 29, v11
	v_cndmask_b32_e32 v10, 0, v16, vcc
	v_cndmask_b32_e32 v14, v14, v11, vcc
	v_lshlrev_b64 v[10:11], v10, v[12:13]
	v_lshlrev_b32_e32 v10, 20, v10
	v_lshlrev_b32_e32 v11, 24, v12
	v_bfrev_b32_e32 v16, 60
	v_and_b32_e32 v10, 0x700000, v10
	v_and_b32_e32 v11, 0x80000000, v11
	v_lshl_add_u32 v14, v14, 23, v16
	v_or3_b32 v10, v11, v14, v10
	v_lshrrev_b32_e32 v16, 16, v10
.LBB795_644:
	s_or_b64 exec, exec, s[22:23]
.LBB795_645:
	s_or_b64 exec, exec, s[20:21]
.LBB795_646:
	s_or_b64 exec, exec, s[10:11]
	v_lshrrev_b16_e32 v10, 8, v12
	v_cmp_ne_u16_e32 vcc, 0, v10
	s_and_saveexec_b64 s[10:11], vcc
	s_cbranch_execz .LBB795_652
; %bb.647:
	s_movk_i32 s20, 0x80
	v_cmp_ne_u16_e32 vcc, s20, v10
	v_mov_b32_e32 v15, 0xffff8000
	s_and_saveexec_b64 s[20:21], vcc
	s_cbranch_execz .LBB795_651
; %bb.648:
	s_movk_i32 s22, 0x7f
	v_and_b32_e32 v11, 0x7f, v10
	v_cmp_ne_u32_e32 vcc, s22, v11
	v_mov_b32_e32 v15, 0x7f80
	s_and_saveexec_b64 s[22:23], vcc
	s_cbranch_execz .LBB795_650
; %bb.649:
	v_and_b32_e32 v17, 7, v10
	v_ffbh_u32_e32 v14, v17
	v_min_u32_e32 v19, 32, v14
	v_subrev_u32_e32 v14, 28, v19
	v_lshlrev_b64 v[14:15], v14, v[10:11]
	v_lshrrev_b32_e32 v18, 3, v11
	v_sub_u32_e32 v10, 29, v19
	v_and_b32_e32 v14, 7, v14
	v_cmp_gt_u32_e32 vcc, 8, v11
	v_cndmask_b32_e32 v10, v18, v10, vcc
	v_cndmask_b32_e32 v11, v17, v14, vcc
	v_lshlrev_b32_e32 v14, 16, v12
	v_bfrev_b32_e32 v15, 60
	v_lshlrev_b32_e32 v11, 20, v11
	v_and_b32_e32 v14, 0x80000000, v14
	v_lshl_add_u32 v10, v10, 23, v15
	v_or3_b32 v10, v14, v10, v11
	v_lshrrev_b32_e32 v15, 16, v10
.LBB795_650:
	s_or_b64 exec, exec, s[22:23]
.LBB795_651:
	s_or_b64 exec, exec, s[20:21]
.LBB795_652:
	s_or_b64 exec, exec, s[10:11]
	s_movk_i32 s10, 0xff
	v_and_b32_sdwa v14, v12, s10 dst_sel:DWORD dst_unused:UNUSED_PAD src0_sel:WORD_1 src1_sel:DWORD
	v_lshrrev_b32_e32 v10, 16, v12
	v_cmp_ne_u16_e32 vcc, 0, v14
	v_mov_b32_e32 v11, 0
	v_mov_b32_e32 v17, 0
	s_and_saveexec_b64 s[10:11], vcc
	s_cbranch_execz .LBB795_658
; %bb.653:
	s_movk_i32 s20, 0x80
	v_cmp_ne_u16_e32 vcc, s20, v14
	v_mov_b32_e32 v17, 0xffff8000
	s_and_saveexec_b64 s[20:21], vcc
	s_cbranch_execz .LBB795_657
; %bb.654:
	v_bfe_u32 v14, v12, 16, 7
	s_movk_i32 s22, 0x7f
	v_cmp_ne_u32_e32 vcc, s22, v14
	v_mov_b32_e32 v17, 0x7f80
	s_and_saveexec_b64 s[22:23], vcc
	s_cbranch_execz .LBB795_656
; %bb.655:
	v_and_b32_e32 v17, 7, v10
	v_ffbh_u32_e32 v18, v17
	v_min_u32_e32 v21, 32, v18
	v_subrev_u32_e32 v18, 28, v21
	v_lshlrev_b64 v[18:19], v18, v[10:11]
	v_and_b32_e32 v18, 7, v18
	v_cmp_gt_u32_e32 vcc, 8, v14
	v_lshrrev_b32_e32 v20, 3, v14
	v_sub_u32_e32 v10, 29, v21
	v_cndmask_b32_e32 v14, v17, v18, vcc
	v_mov_b32_e32 v17, 24
	v_cndmask_b32_e32 v10, v20, v10, vcc
	v_lshlrev_b32_sdwa v17, v17, v12 dst_sel:DWORD dst_unused:UNUSED_PAD src0_sel:DWORD src1_sel:WORD_1
	v_bfrev_b32_e32 v18, 60
	v_lshlrev_b32_e32 v14, 20, v14
	v_and_b32_e32 v17, 0x80000000, v17
	v_lshl_add_u32 v10, v10, 23, v18
	v_or3_b32 v10, v17, v10, v14
	v_lshrrev_b32_e32 v17, 16, v10
.LBB795_656:
	s_or_b64 exec, exec, s[22:23]
.LBB795_657:
	s_or_b64 exec, exec, s[20:21]
.LBB795_658:
	s_or_b64 exec, exec, s[10:11]
	s_mov_b32 s10, 0xffffff
	v_cmp_lt_u32_e32 vcc, s10, v12
	v_mov_b32_e32 v18, 0
	s_and_saveexec_b64 s[10:11], vcc
	s_cbranch_execz .LBB795_664
; %bb.659:
	v_lshrrev_b32_e32 v10, 24, v12
	s_movk_i32 s20, 0x80
	v_cmp_ne_u32_e32 vcc, s20, v10
	v_mov_b32_e32 v18, 0xffff8000
	s_and_saveexec_b64 s[20:21], vcc
	s_cbranch_execz .LBB795_663
; %bb.660:
	v_bfe_u32 v14, v12, 24, 7
	s_movk_i32 s22, 0x7f
	v_cmp_ne_u32_e32 vcc, s22, v14
	v_mov_b32_e32 v18, 0x7f80
	s_and_saveexec_b64 s[22:23], vcc
	s_cbranch_execz .LBB795_662
; %bb.661:
	v_and_b32_e32 v20, 7, v10
	v_ffbh_u32_e32 v18, v20
	v_min_u32_e32 v22, 32, v18
	v_subrev_u32_e32 v18, 28, v22
	v_lshlrev_b64 v[18:19], v18, v[10:11]
	v_lshrrev_b32_e32 v21, 3, v14
	v_sub_u32_e32 v19, 29, v22
	v_and_b32_e32 v18, 7, v18
	v_cmp_gt_u32_e32 vcc, 8, v14
	v_cndmask_b32_e32 v14, v21, v19, vcc
	v_cndmask_b32_e32 v18, v20, v18, vcc
	v_lshlrev_b32_e32 v10, 24, v10
	v_bfrev_b32_e32 v19, 60
	v_lshlrev_b32_e32 v18, 20, v18
	v_and_b32_e32 v10, 0x80000000, v10
	v_lshl_add_u32 v14, v14, 23, v19
	v_or3_b32 v10, v10, v14, v18
	v_lshrrev_b32_e32 v18, 16, v10
.LBB795_662:
	s_or_b64 exec, exec, s[22:23]
.LBB795_663:
	s_or_b64 exec, exec, s[20:21]
.LBB795_664:
	s_or_b64 exec, exec, s[10:11]
	v_mov_b32_e32 v19, 0
	v_mov_b32_e32 v10, v13
	v_cmp_ne_u16_sdwa s[20:21], v13, v19 src0_sel:BYTE_0 src1_sel:DWORD
	v_mov_b32_e32 v20, 0
	s_and_saveexec_b64 s[10:11], s[20:21]
	s_cbranch_execz .LBB795_670
; %bb.665:
	s_movk_i32 s20, 0x80
	v_cmp_ne_u16_sdwa s[22:23], v13, s20 src0_sel:BYTE_0 src1_sel:DWORD
	v_mov_b32_e32 v20, 0xffff8000
	s_and_saveexec_b64 s[20:21], s[22:23]
	s_cbranch_execz .LBB795_669
; %bb.666:
	s_movk_i32 s22, 0x7f
	v_and_b32_e32 v14, 0x7f, v13
	v_cmp_ne_u32_e32 vcc, s22, v14
	v_mov_b32_e32 v20, 0x7f80
	s_and_saveexec_b64 s[22:23], vcc
	s_cbranch_execz .LBB795_668
; %bb.667:
	v_and_b32_e32 v20, 7, v13
	v_ffbh_u32_e32 v20, v20
	v_min_u32_e32 v20, 32, v20
	v_lshrrev_b32_e32 v21, 3, v14
	v_subrev_u32_e32 v22, 28, v20
	v_sub_u32_e32 v20, 29, v20
	v_cmp_gt_u32_e32 vcc, 8, v14
	v_cndmask_b32_e32 v14, v21, v20, vcc
	v_cndmask_b32_e32 v20, 0, v22, vcc
	v_lshlrev_b64 v[20:21], v20, v[10:11]
	v_lshlrev_b32_e32 v11, 20, v20
	v_lshlrev_b32_e32 v20, 24, v10
	v_bfrev_b32_e32 v21, 60
	v_and_b32_e32 v11, 0x700000, v11
	v_and_b32_e32 v20, 0x80000000, v20
	v_lshl_add_u32 v14, v14, 23, v21
	v_or3_b32 v11, v20, v14, v11
	v_lshrrev_b32_e32 v20, 16, v11
.LBB795_668:
	s_or_b64 exec, exec, s[22:23]
.LBB795_669:
	s_or_b64 exec, exec, s[20:21]
.LBB795_670:
	s_or_b64 exec, exec, s[10:11]
	v_lshrrev_b16_e32 v14, 8, v10
	v_cmp_ne_u16_e32 vcc, 0, v14
	s_and_saveexec_b64 s[10:11], vcc
	s_cbranch_execz .LBB795_676
; %bb.671:
	s_movk_i32 s20, 0x80
	v_cmp_ne_u16_e32 vcc, s20, v14
	v_mov_b32_e32 v19, 0xffff8000
	s_and_saveexec_b64 s[20:21], vcc
	s_cbranch_execz .LBB795_675
; %bb.672:
	s_movk_i32 s22, 0x7f
	v_and_b32_e32 v11, 0x7f, v14
	v_cmp_ne_u32_e32 vcc, s22, v11
	v_mov_b32_e32 v19, 0x7f80
	s_and_saveexec_b64 s[22:23], vcc
	s_cbranch_execz .LBB795_674
; %bb.673:
	v_and_b32_e32 v19, 7, v14
	v_ffbh_u32_e32 v22, v19
	v_min_u32_e32 v24, 32, v22
	v_subrev_u32_e32 v22, 28, v24
	v_lshlrev_b64 v[22:23], v22, v[14:15]
	v_lshrrev_b32_e32 v21, 3, v11
	v_sub_u32_e32 v14, 29, v24
	v_and_b32_e32 v22, 7, v22
	v_cmp_gt_u32_e32 vcc, 8, v11
	v_cndmask_b32_e32 v11, v21, v14, vcc
	v_cndmask_b32_e32 v14, v19, v22, vcc
	v_lshlrev_b32_e32 v10, 16, v10
	v_bfrev_b32_e32 v19, 60
	v_lshlrev_b32_e32 v14, 20, v14
	v_and_b32_e32 v10, 0x80000000, v10
	v_lshl_add_u32 v11, v11, 23, v19
	v_or3_b32 v10, v10, v11, v14
	v_lshrrev_b32_e32 v19, 16, v10
.LBB795_674:
	s_or_b64 exec, exec, s[22:23]
.LBB795_675:
	s_or_b64 exec, exec, s[20:21]
.LBB795_676:
	s_or_b64 exec, exec, s[10:11]
	s_movk_i32 s10, 0xff
	v_and_b32_sdwa v21, v13, s10 dst_sel:DWORD dst_unused:UNUSED_PAD src0_sel:WORD_1 src1_sel:DWORD
	v_lshrrev_b32_e32 v10, 16, v13
	v_cmp_ne_u16_e32 vcc, 0, v21
	v_mov_b32_e32 v11, 0
	v_mov_b32_e32 v14, 0
	s_and_saveexec_b64 s[10:11], vcc
	s_cbranch_execz .LBB795_682
; %bb.677:
	s_movk_i32 s20, 0x80
	v_cmp_ne_u16_e32 vcc, s20, v21
	v_mov_b32_e32 v14, 0xffff8000
	s_and_saveexec_b64 s[20:21], vcc
	s_cbranch_execz .LBB795_681
; %bb.678:
	v_bfe_u32 v21, v13, 16, 7
	s_movk_i32 s22, 0x7f
	v_cmp_ne_u32_e32 vcc, s22, v21
	v_mov_b32_e32 v14, 0x7f80
	s_and_saveexec_b64 s[22:23], vcc
	s_cbranch_execz .LBB795_680
; %bb.679:
	v_and_b32_e32 v14, 7, v10
	v_ffbh_u32_e32 v22, v14
	v_min_u32_e32 v25, 32, v22
	v_subrev_u32_e32 v22, 28, v25
	v_lshlrev_b64 v[22:23], v22, v[10:11]
	v_lshrrev_b32_e32 v24, 3, v21
	v_sub_u32_e32 v10, 29, v25
	v_and_b32_e32 v22, 7, v22
	v_cmp_gt_u32_e32 vcc, 8, v21
	v_mov_b32_e32 v21, 24
	v_cndmask_b32_e32 v10, v24, v10, vcc
	v_cndmask_b32_e32 v14, v14, v22, vcc
	v_lshlrev_b32_sdwa v21, v21, v13 dst_sel:DWORD dst_unused:UNUSED_PAD src0_sel:DWORD src1_sel:WORD_1
	v_bfrev_b32_e32 v22, 60
	v_lshlrev_b32_e32 v14, 20, v14
	v_and_b32_e32 v21, 0x80000000, v21
	v_lshl_add_u32 v10, v10, 23, v22
	v_or3_b32 v10, v21, v10, v14
	v_lshrrev_b32_e32 v14, 16, v10
.LBB795_680:
	s_or_b64 exec, exec, s[22:23]
.LBB795_681:
	s_or_b64 exec, exec, s[20:21]
.LBB795_682:
	s_or_b64 exec, exec, s[10:11]
	s_mov_b32 s10, -1
	s_mov_b32 s11, 0xffffff
	v_cmp_lt_u64_e32 vcc, s[10:11], v[12:13]
	s_and_saveexec_b64 s[10:11], vcc
	s_cbranch_execz .LBB795_688
; %bb.683:
	v_lshrrev_b32_e32 v10, 24, v13
	s_movk_i32 s20, 0x80
	v_cmp_ne_u32_e32 vcc, s20, v10
	v_mov_b32_e32 v11, 0xffff8000
	s_and_saveexec_b64 s[20:21], vcc
	s_cbranch_execz .LBB795_687
; %bb.684:
	v_bfe_u32 v12, v13, 24, 7
	s_movk_i32 s22, 0x7f
	v_cmp_ne_u32_e32 vcc, s22, v12
	v_mov_b32_e32 v11, 0x7f80
	s_and_saveexec_b64 s[22:23], vcc
	s_cbranch_execz .LBB795_686
; %bb.685:
	v_and_b32_e32 v11, 7, v10
	v_ffbh_u32_e32 v21, v11
	v_min_u32_e32 v21, 32, v21
	v_subrev_u32_e32 v22, 28, v21
	v_lshlrev_b64 v[22:23], v22, v[10:11]
	v_lshrrev_b32_e32 v13, 3, v12
	v_sub_u32_e32 v21, 29, v21
	v_and_b32_e32 v22, 7, v22
	v_cmp_gt_u32_e32 vcc, 8, v12
	v_cndmask_b32_e32 v12, v13, v21, vcc
	v_cndmask_b32_e32 v11, v11, v22, vcc
	v_lshlrev_b32_e32 v10, 24, v10
	v_bfrev_b32_e32 v13, 60
	v_lshlrev_b32_e32 v11, 20, v11
	v_and_b32_e32 v10, 0x80000000, v10
	v_lshl_add_u32 v12, v12, 23, v13
	v_or3_b32 v10, v10, v12, v11
	v_lshrrev_b32_e32 v11, 16, v10
.LBB795_686:
	s_or_b64 exec, exec, s[22:23]
.LBB795_687:
	s_or_b64 exec, exec, s[20:21]
.LBB795_688:
	s_or_b64 exec, exec, s[10:11]
	s_mov_b32 s10, 0x5040100
	v_perm_b32 v13, v18, v17, s10
	v_perm_b32 v12, v15, v16, s10
	;; [unrolled: 1-line block ×4, first 2 shown]
	v_mfma_f32_4x4x4bf16_1k a[0:3], v[2:3], v[12:13], a[0:3] cbsz:4 abid:13
	v_mov_b32_e32 v13, 0
	v_mfma_f32_4x4x4bf16_1k a[0:3], v[4:5], v[10:11], a[0:3] cbsz:4 abid:13
	v_cmp_ne_u16_sdwa s[20:21], v6, v13 src0_sel:BYTE_0 src1_sel:DWORD
	v_mov_b32_e32 v14, 0
	s_and_saveexec_b64 s[10:11], s[20:21]
	s_cbranch_execz .LBB795_694
; %bb.689:
	s_movk_i32 s20, 0x80
	v_cmp_ne_u16_sdwa s[22:23], v6, s20 src0_sel:BYTE_0 src1_sel:DWORD
	v_mov_b32_e32 v14, 0xffff8000
	s_and_saveexec_b64 s[20:21], s[22:23]
	s_cbranch_execz .LBB795_693
; %bb.690:
	s_movk_i32 s22, 0x7f
	v_and_b32_e32 v10, 0x7f, v6
	v_cmp_ne_u32_e32 vcc, s22, v10
	v_mov_b32_e32 v14, 0x7f80
	s_and_saveexec_b64 s[22:23], vcc
	s_cbranch_execz .LBB795_692
; %bb.691:
	v_and_b32_e32 v11, 7, v6
	v_ffbh_u32_e32 v11, v11
	v_min_u32_e32 v11, 32, v11
	v_subrev_u32_e32 v14, 28, v11
	v_cmp_gt_u32_e32 vcc, 8, v10
	v_lshrrev_b32_e32 v12, 3, v10
	v_sub_u32_e32 v11, 29, v11
	v_cndmask_b32_e32 v10, 0, v14, vcc
	v_cndmask_b32_e32 v12, v12, v11, vcc
	v_lshlrev_b64 v[10:11], v10, v[6:7]
	v_lshlrev_b32_e32 v10, 20, v10
	v_lshlrev_b32_e32 v11, 24, v6
	v_bfrev_b32_e32 v14, 60
	v_and_b32_e32 v10, 0x700000, v10
	v_and_b32_e32 v11, 0x80000000, v11
	v_lshl_add_u32 v12, v12, 23, v14
	v_or3_b32 v10, v11, v12, v10
	v_lshrrev_b32_e32 v14, 16, v10
.LBB795_692:
	s_or_b64 exec, exec, s[22:23]
.LBB795_693:
	s_or_b64 exec, exec, s[20:21]
.LBB795_694:
	s_or_b64 exec, exec, s[10:11]
	v_lshrrev_b16_e32 v10, 8, v6
	v_cmp_ne_u16_e32 vcc, 0, v10
	s_and_saveexec_b64 s[10:11], vcc
	s_cbranch_execz .LBB795_700
; %bb.695:
	s_movk_i32 s20, 0x80
	v_cmp_ne_u16_e32 vcc, s20, v10
	v_mov_b32_e32 v13, 0xffff8000
	s_and_saveexec_b64 s[20:21], vcc
	s_cbranch_execz .LBB795_699
; %bb.696:
	s_movk_i32 s22, 0x7f
	v_and_b32_e32 v11, 0x7f, v10
	v_cmp_ne_u32_e32 vcc, s22, v11
	v_mov_b32_e32 v13, 0x7f80
	s_and_saveexec_b64 s[22:23], vcc
	s_cbranch_execz .LBB795_698
; %bb.697:
	v_and_b32_e32 v15, 7, v10
	v_ffbh_u32_e32 v12, v15
	v_min_u32_e32 v17, 32, v12
	v_subrev_u32_e32 v12, 28, v17
	v_lshlrev_b64 v[12:13], v12, v[10:11]
	v_lshrrev_b32_e32 v16, 3, v11
	v_sub_u32_e32 v10, 29, v17
	v_and_b32_e32 v12, 7, v12
	v_cmp_gt_u32_e32 vcc, 8, v11
	v_cndmask_b32_e32 v10, v16, v10, vcc
	v_cndmask_b32_e32 v11, v15, v12, vcc
	v_lshlrev_b32_e32 v12, 16, v6
	v_bfrev_b32_e32 v13, 60
	v_lshlrev_b32_e32 v11, 20, v11
	v_and_b32_e32 v12, 0x80000000, v12
	v_lshl_add_u32 v10, v10, 23, v13
	v_or3_b32 v10, v12, v10, v11
	v_lshrrev_b32_e32 v13, 16, v10
.LBB795_698:
	s_or_b64 exec, exec, s[22:23]
.LBB795_699:
	s_or_b64 exec, exec, s[20:21]
.LBB795_700:
	s_or_b64 exec, exec, s[10:11]
	s_movk_i32 s10, 0xff
	v_and_b32_sdwa v12, v6, s10 dst_sel:DWORD dst_unused:UNUSED_PAD src0_sel:WORD_1 src1_sel:DWORD
	v_lshrrev_b32_e32 v10, 16, v6
	v_cmp_ne_u16_e32 vcc, 0, v12
	v_mov_b32_e32 v11, 0
	v_mov_b32_e32 v15, 0
	s_and_saveexec_b64 s[10:11], vcc
	s_cbranch_execz .LBB795_706
; %bb.701:
	s_movk_i32 s20, 0x80
	v_cmp_ne_u16_e32 vcc, s20, v12
	v_mov_b32_e32 v15, 0xffff8000
	s_and_saveexec_b64 s[20:21], vcc
	s_cbranch_execz .LBB795_705
; %bb.702:
	v_bfe_u32 v12, v6, 16, 7
	s_movk_i32 s22, 0x7f
	v_cmp_ne_u32_e32 vcc, s22, v12
	v_mov_b32_e32 v15, 0x7f80
	s_and_saveexec_b64 s[22:23], vcc
	s_cbranch_execz .LBB795_704
; %bb.703:
	v_and_b32_e32 v15, 7, v10
	v_ffbh_u32_e32 v16, v15
	v_min_u32_e32 v19, 32, v16
	v_subrev_u32_e32 v16, 28, v19
	v_lshlrev_b64 v[16:17], v16, v[10:11]
	v_and_b32_e32 v16, 7, v16
	v_cmp_gt_u32_e32 vcc, 8, v12
	v_lshrrev_b32_e32 v18, 3, v12
	v_sub_u32_e32 v10, 29, v19
	v_cndmask_b32_e32 v12, v15, v16, vcc
	v_mov_b32_e32 v15, 24
	v_cndmask_b32_e32 v10, v18, v10, vcc
	v_lshlrev_b32_sdwa v15, v15, v6 dst_sel:DWORD dst_unused:UNUSED_PAD src0_sel:DWORD src1_sel:WORD_1
	v_bfrev_b32_e32 v16, 60
	v_lshlrev_b32_e32 v12, 20, v12
	v_and_b32_e32 v15, 0x80000000, v15
	v_lshl_add_u32 v10, v10, 23, v16
	v_or3_b32 v10, v15, v10, v12
	v_lshrrev_b32_e32 v15, 16, v10
.LBB795_704:
	s_or_b64 exec, exec, s[22:23]
.LBB795_705:
	s_or_b64 exec, exec, s[20:21]
.LBB795_706:
	s_or_b64 exec, exec, s[10:11]
	s_mov_b32 s10, 0xffffff
	v_cmp_lt_u32_e32 vcc, s10, v6
	v_mov_b32_e32 v16, 0
	s_and_saveexec_b64 s[10:11], vcc
	s_cbranch_execz .LBB795_712
; %bb.707:
	v_lshrrev_b32_e32 v10, 24, v6
	s_movk_i32 s20, 0x80
	v_cmp_ne_u32_e32 vcc, s20, v10
	v_mov_b32_e32 v16, 0xffff8000
	s_and_saveexec_b64 s[20:21], vcc
	s_cbranch_execz .LBB795_711
; %bb.708:
	v_bfe_u32 v12, v6, 24, 7
	s_movk_i32 s22, 0x7f
	v_cmp_ne_u32_e32 vcc, s22, v12
	v_mov_b32_e32 v16, 0x7f80
	s_and_saveexec_b64 s[22:23], vcc
	s_cbranch_execz .LBB795_710
; %bb.709:
	v_and_b32_e32 v18, 7, v10
	v_ffbh_u32_e32 v16, v18
	v_min_u32_e32 v20, 32, v16
	v_subrev_u32_e32 v16, 28, v20
	v_lshlrev_b64 v[16:17], v16, v[10:11]
	v_lshrrev_b32_e32 v19, 3, v12
	v_sub_u32_e32 v17, 29, v20
	v_and_b32_e32 v16, 7, v16
	v_cmp_gt_u32_e32 vcc, 8, v12
	v_cndmask_b32_e32 v12, v19, v17, vcc
	v_cndmask_b32_e32 v16, v18, v16, vcc
	v_lshlrev_b32_e32 v10, 24, v10
	v_bfrev_b32_e32 v17, 60
	v_lshlrev_b32_e32 v16, 20, v16
	v_and_b32_e32 v10, 0x80000000, v10
	v_lshl_add_u32 v12, v12, 23, v17
	v_or3_b32 v10, v10, v12, v16
	v_lshrrev_b32_e32 v16, 16, v10
.LBB795_710:
	s_or_b64 exec, exec, s[22:23]
.LBB795_711:
	s_or_b64 exec, exec, s[20:21]
.LBB795_712:
	s_or_b64 exec, exec, s[10:11]
	v_mov_b32_e32 v17, 0
	v_mov_b32_e32 v10, v7
	v_cmp_ne_u16_sdwa s[20:21], v7, v17 src0_sel:BYTE_0 src1_sel:DWORD
	v_mov_b32_e32 v18, 0
	s_and_saveexec_b64 s[10:11], s[20:21]
	s_cbranch_execz .LBB795_718
; %bb.713:
	s_movk_i32 s20, 0x80
	v_cmp_ne_u16_sdwa s[22:23], v7, s20 src0_sel:BYTE_0 src1_sel:DWORD
	v_mov_b32_e32 v18, 0xffff8000
	s_and_saveexec_b64 s[20:21], s[22:23]
	s_cbranch_execz .LBB795_717
; %bb.714:
	s_movk_i32 s22, 0x7f
	v_and_b32_e32 v12, 0x7f, v7
	v_cmp_ne_u32_e32 vcc, s22, v12
	v_mov_b32_e32 v18, 0x7f80
	s_and_saveexec_b64 s[22:23], vcc
	s_cbranch_execz .LBB795_716
; %bb.715:
	v_and_b32_e32 v18, 7, v7
	v_ffbh_u32_e32 v18, v18
	v_min_u32_e32 v18, 32, v18
	v_lshrrev_b32_e32 v19, 3, v12
	v_subrev_u32_e32 v20, 28, v18
	v_sub_u32_e32 v18, 29, v18
	v_cmp_gt_u32_e32 vcc, 8, v12
	v_cndmask_b32_e32 v12, v19, v18, vcc
	v_cndmask_b32_e32 v18, 0, v20, vcc
	v_lshlrev_b64 v[18:19], v18, v[10:11]
	v_lshlrev_b32_e32 v11, 20, v18
	v_lshlrev_b32_e32 v18, 24, v10
	v_bfrev_b32_e32 v19, 60
	v_and_b32_e32 v11, 0x700000, v11
	v_and_b32_e32 v18, 0x80000000, v18
	v_lshl_add_u32 v12, v12, 23, v19
	v_or3_b32 v11, v18, v12, v11
	v_lshrrev_b32_e32 v18, 16, v11
.LBB795_716:
	s_or_b64 exec, exec, s[22:23]
.LBB795_717:
	s_or_b64 exec, exec, s[20:21]
.LBB795_718:
	s_or_b64 exec, exec, s[10:11]
	v_lshrrev_b16_e32 v12, 8, v10
	v_cmp_ne_u16_e32 vcc, 0, v12
	s_and_saveexec_b64 s[10:11], vcc
	s_cbranch_execz .LBB795_724
; %bb.719:
	s_movk_i32 s20, 0x80
	v_cmp_ne_u16_e32 vcc, s20, v12
	v_mov_b32_e32 v17, 0xffff8000
	s_and_saveexec_b64 s[20:21], vcc
	s_cbranch_execz .LBB795_723
; %bb.720:
	s_movk_i32 s22, 0x7f
	v_and_b32_e32 v11, 0x7f, v12
	v_cmp_ne_u32_e32 vcc, s22, v11
	v_mov_b32_e32 v17, 0x7f80
	s_and_saveexec_b64 s[22:23], vcc
	s_cbranch_execz .LBB795_722
; %bb.721:
	v_and_b32_e32 v17, 7, v12
	v_ffbh_u32_e32 v20, v17
	v_min_u32_e32 v22, 32, v20
	v_subrev_u32_e32 v20, 28, v22
	v_lshlrev_b64 v[20:21], v20, v[12:13]
	v_lshrrev_b32_e32 v19, 3, v11
	v_sub_u32_e32 v12, 29, v22
	v_and_b32_e32 v20, 7, v20
	v_cmp_gt_u32_e32 vcc, 8, v11
	v_cndmask_b32_e32 v11, v19, v12, vcc
	v_cndmask_b32_e32 v12, v17, v20, vcc
	v_lshlrev_b32_e32 v10, 16, v10
	v_bfrev_b32_e32 v17, 60
	v_lshlrev_b32_e32 v12, 20, v12
	v_and_b32_e32 v10, 0x80000000, v10
	v_lshl_add_u32 v11, v11, 23, v17
	v_or3_b32 v10, v10, v11, v12
	v_lshrrev_b32_e32 v17, 16, v10
.LBB795_722:
	s_or_b64 exec, exec, s[22:23]
.LBB795_723:
	s_or_b64 exec, exec, s[20:21]
.LBB795_724:
	s_or_b64 exec, exec, s[10:11]
	s_movk_i32 s10, 0xff
	v_and_b32_sdwa v19, v7, s10 dst_sel:DWORD dst_unused:UNUSED_PAD src0_sel:WORD_1 src1_sel:DWORD
	v_lshrrev_b32_e32 v10, 16, v7
	v_cmp_ne_u16_e32 vcc, 0, v19
	v_mov_b32_e32 v11, 0
	v_mov_b32_e32 v12, 0
	s_and_saveexec_b64 s[10:11], vcc
	s_cbranch_execz .LBB795_730
; %bb.725:
	s_movk_i32 s20, 0x80
	v_cmp_ne_u16_e32 vcc, s20, v19
	v_mov_b32_e32 v12, 0xffff8000
	s_and_saveexec_b64 s[20:21], vcc
	s_cbranch_execz .LBB795_729
; %bb.726:
	v_bfe_u32 v19, v7, 16, 7
	s_movk_i32 s22, 0x7f
	v_cmp_ne_u32_e32 vcc, s22, v19
	v_mov_b32_e32 v12, 0x7f80
	s_and_saveexec_b64 s[22:23], vcc
	s_cbranch_execz .LBB795_728
; %bb.727:
	v_and_b32_e32 v12, 7, v10
	v_ffbh_u32_e32 v20, v12
	v_min_u32_e32 v23, 32, v20
	v_subrev_u32_e32 v20, 28, v23
	v_lshlrev_b64 v[20:21], v20, v[10:11]
	v_lshrrev_b32_e32 v22, 3, v19
	v_sub_u32_e32 v10, 29, v23
	v_and_b32_e32 v20, 7, v20
	v_cmp_gt_u32_e32 vcc, 8, v19
	v_mov_b32_e32 v19, 24
	v_cndmask_b32_e32 v10, v22, v10, vcc
	v_cndmask_b32_e32 v12, v12, v20, vcc
	v_lshlrev_b32_sdwa v19, v19, v7 dst_sel:DWORD dst_unused:UNUSED_PAD src0_sel:DWORD src1_sel:WORD_1
	v_bfrev_b32_e32 v20, 60
	v_lshlrev_b32_e32 v12, 20, v12
	v_and_b32_e32 v19, 0x80000000, v19
	v_lshl_add_u32 v10, v10, 23, v20
	v_or3_b32 v10, v19, v10, v12
	v_lshrrev_b32_e32 v12, 16, v10
.LBB795_728:
	s_or_b64 exec, exec, s[22:23]
.LBB795_729:
	s_or_b64 exec, exec, s[20:21]
.LBB795_730:
	s_or_b64 exec, exec, s[10:11]
	s_mov_b32 s10, -1
	s_mov_b32 s11, 0xffffff
	v_cmp_lt_u64_e32 vcc, s[10:11], v[6:7]
	s_and_saveexec_b64 s[10:11], vcc
	s_cbranch_execz .LBB795_736
; %bb.731:
	v_lshrrev_b32_e32 v6, 24, v7
	s_movk_i32 s20, 0x80
	v_cmp_ne_u32_e32 vcc, s20, v6
	v_mov_b32_e32 v11, 0xffff8000
	s_and_saveexec_b64 s[20:21], vcc
	s_cbranch_execz .LBB795_735
; %bb.732:
	v_bfe_u32 v7, v7, 24, 7
	s_movk_i32 s22, 0x7f
	v_cmp_ne_u32_e32 vcc, s22, v7
	v_mov_b32_e32 v11, 0x7f80
	s_and_saveexec_b64 s[22:23], vcc
	s_cbranch_execz .LBB795_734
; %bb.733:
	v_and_b32_e32 v19, 7, v6
	v_ffbh_u32_e32 v10, v19
	v_min_u32_e32 v21, 32, v10
	v_subrev_u32_e32 v10, 28, v21
	v_lshlrev_b64 v[10:11], v10, v[6:7]
	v_lshrrev_b32_e32 v20, 3, v7
	v_sub_u32_e32 v11, 29, v21
	v_and_b32_e32 v10, 7, v10
	v_cmp_gt_u32_e32 vcc, 8, v7
	v_cndmask_b32_e32 v7, v20, v11, vcc
	v_cndmask_b32_e32 v10, v19, v10, vcc
	v_lshlrev_b32_e32 v6, 24, v6
	v_bfrev_b32_e32 v11, 60
	v_lshlrev_b32_e32 v10, 20, v10
	v_and_b32_e32 v6, 0x80000000, v6
	v_lshl_add_u32 v7, v7, 23, v11
	v_or3_b32 v6, v6, v7, v10
	v_lshrrev_b32_e32 v11, 16, v6
.LBB795_734:
	s_or_b64 exec, exec, s[22:23]
.LBB795_735:
	s_or_b64 exec, exec, s[20:21]
.LBB795_736:
	s_or_b64 exec, exec, s[10:11]
	s_mov_b32 s10, 0x5040100
	v_perm_b32 v7, v16, v15, s10
	v_perm_b32 v6, v13, v14, s10
	v_perm_b32 v11, v11, v12, s10
	v_perm_b32 v10, v17, v18, s10
	v_mfma_f32_4x4x4bf16_1k a[0:3], v[2:3], v[6:7], a[0:3] cbsz:4 abid:14
	v_mov_b32_e32 v12, 0
	v_mfma_f32_4x4x4bf16_1k a[0:3], v[4:5], v[10:11], a[0:3] cbsz:4 abid:14
	v_mov_b32_e32 v11, 0
	v_cmp_ne_u16_sdwa s[20:21], v8, v11 src0_sel:BYTE_0 src1_sel:DWORD
	s_and_saveexec_b64 s[10:11], s[20:21]
	s_cbranch_execz .LBB795_742
; %bb.737:
	s_movk_i32 s20, 0x80
	v_cmp_ne_u16_sdwa s[22:23], v8, s20 src0_sel:BYTE_0 src1_sel:DWORD
	v_mov_b32_e32 v12, 0xffff8000
	s_and_saveexec_b64 s[20:21], s[22:23]
	s_cbranch_execz .LBB795_741
; %bb.738:
	s_movk_i32 s22, 0x7f
	v_and_b32_e32 v6, 0x7f, v8
	v_cmp_ne_u32_e32 vcc, s22, v6
	v_mov_b32_e32 v12, 0x7f80
	s_and_saveexec_b64 s[22:23], vcc
	s_cbranch_execz .LBB795_740
; %bb.739:
	v_and_b32_e32 v7, 7, v8
	v_ffbh_u32_e32 v7, v7
	v_min_u32_e32 v7, 32, v7
	v_subrev_u32_e32 v12, 28, v7
	v_cmp_gt_u32_e32 vcc, 8, v6
	v_lshrrev_b32_e32 v10, 3, v6
	v_sub_u32_e32 v7, 29, v7
	v_cndmask_b32_e32 v6, 0, v12, vcc
	v_cndmask_b32_e32 v10, v10, v7, vcc
	v_lshlrev_b64 v[6:7], v6, v[8:9]
	v_lshlrev_b32_e32 v6, 20, v6
	v_lshlrev_b32_e32 v7, 24, v8
	v_bfrev_b32_e32 v12, 60
	v_and_b32_e32 v6, 0x700000, v6
	v_and_b32_e32 v7, 0x80000000, v7
	v_lshl_add_u32 v10, v10, 23, v12
	v_or3_b32 v6, v7, v10, v6
	v_lshrrev_b32_e32 v12, 16, v6
.LBB795_740:
	s_or_b64 exec, exec, s[22:23]
.LBB795_741:
	s_or_b64 exec, exec, s[20:21]
.LBB795_742:
	s_or_b64 exec, exec, s[10:11]
	v_lshrrev_b16_e32 v6, 8, v8
	v_cmp_ne_u16_e32 vcc, 0, v6
	s_and_saveexec_b64 s[10:11], vcc
	s_cbranch_execz .LBB795_748
; %bb.743:
	s_movk_i32 s20, 0x80
	v_cmp_ne_u16_e32 vcc, s20, v6
	v_mov_b32_e32 v11, 0xffff8000
	s_and_saveexec_b64 s[20:21], vcc
	s_cbranch_execz .LBB795_747
; %bb.744:
	s_movk_i32 s22, 0x7f
	v_and_b32_e32 v7, 0x7f, v6
	v_cmp_ne_u32_e32 vcc, s22, v7
	v_mov_b32_e32 v11, 0x7f80
	s_and_saveexec_b64 s[22:23], vcc
	s_cbranch_execz .LBB795_746
; %bb.745:
	v_and_b32_e32 v13, 7, v6
	v_ffbh_u32_e32 v10, v13
	v_min_u32_e32 v15, 32, v10
	v_subrev_u32_e32 v10, 28, v15
	v_lshlrev_b64 v[10:11], v10, v[6:7]
	v_lshrrev_b32_e32 v14, 3, v7
	v_sub_u32_e32 v6, 29, v15
	v_and_b32_e32 v10, 7, v10
	v_cmp_gt_u32_e32 vcc, 8, v7
	v_cndmask_b32_e32 v6, v14, v6, vcc
	v_cndmask_b32_e32 v7, v13, v10, vcc
	v_lshlrev_b32_e32 v10, 16, v8
	v_bfrev_b32_e32 v11, 60
	v_lshlrev_b32_e32 v7, 20, v7
	v_and_b32_e32 v10, 0x80000000, v10
	v_lshl_add_u32 v6, v6, 23, v11
	v_or3_b32 v6, v10, v6, v7
	v_lshrrev_b32_e32 v11, 16, v6
.LBB795_746:
	s_or_b64 exec, exec, s[22:23]
.LBB795_747:
	s_or_b64 exec, exec, s[20:21]
.LBB795_748:
	s_or_b64 exec, exec, s[10:11]
	s_movk_i32 s10, 0xff
	v_and_b32_sdwa v10, v8, s10 dst_sel:DWORD dst_unused:UNUSED_PAD src0_sel:WORD_1 src1_sel:DWORD
	v_lshrrev_b32_e32 v6, 16, v8
	v_cmp_ne_u16_e32 vcc, 0, v10
	v_mov_b32_e32 v7, 0
	v_mov_b32_e32 v13, 0
	s_and_saveexec_b64 s[10:11], vcc
	s_cbranch_execz .LBB795_754
; %bb.749:
	s_movk_i32 s20, 0x80
	v_cmp_ne_u16_e32 vcc, s20, v10
	v_mov_b32_e32 v13, 0xffff8000
	s_and_saveexec_b64 s[20:21], vcc
	s_cbranch_execz .LBB795_753
; %bb.750:
	v_bfe_u32 v10, v8, 16, 7
	s_movk_i32 s22, 0x7f
	v_cmp_ne_u32_e32 vcc, s22, v10
	v_mov_b32_e32 v13, 0x7f80
	s_and_saveexec_b64 s[22:23], vcc
	s_cbranch_execz .LBB795_752
; %bb.751:
	v_and_b32_e32 v13, 7, v6
	v_ffbh_u32_e32 v14, v13
	v_min_u32_e32 v17, 32, v14
	v_subrev_u32_e32 v14, 28, v17
	v_lshlrev_b64 v[14:15], v14, v[6:7]
	v_and_b32_e32 v14, 7, v14
	v_cmp_gt_u32_e32 vcc, 8, v10
	v_lshrrev_b32_e32 v16, 3, v10
	v_sub_u32_e32 v6, 29, v17
	v_cndmask_b32_e32 v10, v13, v14, vcc
	v_mov_b32_e32 v13, 24
	v_cndmask_b32_e32 v6, v16, v6, vcc
	v_lshlrev_b32_sdwa v13, v13, v8 dst_sel:DWORD dst_unused:UNUSED_PAD src0_sel:DWORD src1_sel:WORD_1
	v_bfrev_b32_e32 v14, 60
	v_lshlrev_b32_e32 v10, 20, v10
	v_and_b32_e32 v13, 0x80000000, v13
	v_lshl_add_u32 v6, v6, 23, v14
	v_or3_b32 v6, v13, v6, v10
	v_lshrrev_b32_e32 v13, 16, v6
.LBB795_752:
	s_or_b64 exec, exec, s[22:23]
.LBB795_753:
	s_or_b64 exec, exec, s[20:21]
.LBB795_754:
	s_or_b64 exec, exec, s[10:11]
	s_mov_b32 s10, 0xffffff
	v_cmp_lt_u32_e32 vcc, s10, v8
	v_mov_b32_e32 v14, 0
	s_and_saveexec_b64 s[10:11], vcc
	s_cbranch_execz .LBB795_760
; %bb.755:
	v_lshrrev_b32_e32 v6, 24, v8
	s_movk_i32 s20, 0x80
	v_cmp_ne_u32_e32 vcc, s20, v6
	v_mov_b32_e32 v14, 0xffff8000
	s_and_saveexec_b64 s[20:21], vcc
	s_cbranch_execz .LBB795_759
; %bb.756:
	v_bfe_u32 v10, v8, 24, 7
	s_movk_i32 s22, 0x7f
	v_cmp_ne_u32_e32 vcc, s22, v10
	v_mov_b32_e32 v14, 0x7f80
	s_and_saveexec_b64 s[22:23], vcc
	s_cbranch_execz .LBB795_758
; %bb.757:
	v_and_b32_e32 v16, 7, v6
	v_ffbh_u32_e32 v14, v16
	v_min_u32_e32 v18, 32, v14
	v_subrev_u32_e32 v14, 28, v18
	v_lshlrev_b64 v[14:15], v14, v[6:7]
	v_lshrrev_b32_e32 v17, 3, v10
	v_sub_u32_e32 v15, 29, v18
	v_and_b32_e32 v14, 7, v14
	v_cmp_gt_u32_e32 vcc, 8, v10
	v_cndmask_b32_e32 v10, v17, v15, vcc
	v_cndmask_b32_e32 v14, v16, v14, vcc
	v_lshlrev_b32_e32 v6, 24, v6
	v_bfrev_b32_e32 v15, 60
	v_lshlrev_b32_e32 v14, 20, v14
	v_and_b32_e32 v6, 0x80000000, v6
	v_lshl_add_u32 v10, v10, 23, v15
	v_or3_b32 v6, v6, v10, v14
	v_lshrrev_b32_e32 v14, 16, v6
.LBB795_758:
	s_or_b64 exec, exec, s[22:23]
.LBB795_759:
	s_or_b64 exec, exec, s[20:21]
.LBB795_760:
	s_or_b64 exec, exec, s[10:11]
	v_mov_b32_e32 v15, 0
	v_mov_b32_e32 v6, v9
	v_cmp_ne_u16_sdwa s[20:21], v9, v15 src0_sel:BYTE_0 src1_sel:DWORD
	v_mov_b32_e32 v16, 0
	s_and_saveexec_b64 s[10:11], s[20:21]
	s_cbranch_execz .LBB795_766
; %bb.761:
	s_movk_i32 s20, 0x80
	v_cmp_ne_u16_sdwa s[22:23], v9, s20 src0_sel:BYTE_0 src1_sel:DWORD
	v_mov_b32_e32 v16, 0xffff8000
	s_and_saveexec_b64 s[20:21], s[22:23]
	s_cbranch_execz .LBB795_765
; %bb.762:
	s_movk_i32 s22, 0x7f
	v_and_b32_e32 v10, 0x7f, v9
	v_cmp_ne_u32_e32 vcc, s22, v10
	v_mov_b32_e32 v16, 0x7f80
	s_and_saveexec_b64 s[22:23], vcc
	s_cbranch_execz .LBB795_764
; %bb.763:
	v_and_b32_e32 v16, 7, v9
	v_ffbh_u32_e32 v16, v16
	v_min_u32_e32 v16, 32, v16
	v_lshrrev_b32_e32 v17, 3, v10
	v_subrev_u32_e32 v18, 28, v16
	v_sub_u32_e32 v16, 29, v16
	v_cmp_gt_u32_e32 vcc, 8, v10
	v_cndmask_b32_e32 v10, v17, v16, vcc
	v_cndmask_b32_e32 v16, 0, v18, vcc
	v_lshlrev_b64 v[16:17], v16, v[6:7]
	v_lshlrev_b32_e32 v7, 20, v16
	v_lshlrev_b32_e32 v16, 24, v6
	v_bfrev_b32_e32 v17, 60
	v_and_b32_e32 v7, 0x700000, v7
	v_and_b32_e32 v16, 0x80000000, v16
	v_lshl_add_u32 v10, v10, 23, v17
	v_or3_b32 v7, v16, v10, v7
	v_lshrrev_b32_e32 v16, 16, v7
.LBB795_764:
	s_or_b64 exec, exec, s[22:23]
.LBB795_765:
	s_or_b64 exec, exec, s[20:21]
.LBB795_766:
	s_or_b64 exec, exec, s[10:11]
	v_lshrrev_b16_e32 v10, 8, v6
	v_cmp_ne_u16_e32 vcc, 0, v10
	s_and_saveexec_b64 s[10:11], vcc
	s_cbranch_execz .LBB795_772
; %bb.767:
	s_movk_i32 s20, 0x80
	v_cmp_ne_u16_e32 vcc, s20, v10
	v_mov_b32_e32 v15, 0xffff8000
	s_and_saveexec_b64 s[20:21], vcc
	s_cbranch_execz .LBB795_771
; %bb.768:
	s_movk_i32 s22, 0x7f
	v_and_b32_e32 v7, 0x7f, v10
	v_cmp_ne_u32_e32 vcc, s22, v7
	v_mov_b32_e32 v15, 0x7f80
	s_and_saveexec_b64 s[22:23], vcc
	s_cbranch_execz .LBB795_770
; %bb.769:
	v_and_b32_e32 v15, 7, v10
	v_ffbh_u32_e32 v18, v15
	v_min_u32_e32 v20, 32, v18
	v_subrev_u32_e32 v18, 28, v20
	v_lshlrev_b64 v[18:19], v18, v[10:11]
	v_lshrrev_b32_e32 v17, 3, v7
	v_sub_u32_e32 v10, 29, v20
	v_and_b32_e32 v18, 7, v18
	v_cmp_gt_u32_e32 vcc, 8, v7
	v_cndmask_b32_e32 v7, v17, v10, vcc
	v_cndmask_b32_e32 v10, v15, v18, vcc
	v_lshlrev_b32_e32 v6, 16, v6
	v_bfrev_b32_e32 v15, 60
	v_lshlrev_b32_e32 v10, 20, v10
	v_and_b32_e32 v6, 0x80000000, v6
	v_lshl_add_u32 v7, v7, 23, v15
	v_or3_b32 v6, v6, v7, v10
	v_lshrrev_b32_e32 v15, 16, v6
.LBB795_770:
	s_or_b64 exec, exec, s[22:23]
.LBB795_771:
	s_or_b64 exec, exec, s[20:21]
.LBB795_772:
	s_or_b64 exec, exec, s[10:11]
	s_movk_i32 s10, 0xff
	v_and_b32_sdwa v17, v9, s10 dst_sel:DWORD dst_unused:UNUSED_PAD src0_sel:WORD_1 src1_sel:DWORD
	v_lshrrev_b32_e32 v6, 16, v9
	v_cmp_ne_u16_e32 vcc, 0, v17
	v_mov_b32_e32 v7, 0
	v_mov_b32_e32 v10, 0
	s_and_saveexec_b64 s[10:11], vcc
	s_cbranch_execz .LBB795_778
; %bb.773:
	s_movk_i32 s20, 0x80
	v_cmp_ne_u16_e32 vcc, s20, v17
	v_mov_b32_e32 v10, 0xffff8000
	s_and_saveexec_b64 s[20:21], vcc
	s_cbranch_execz .LBB795_777
; %bb.774:
	v_bfe_u32 v17, v9, 16, 7
	s_movk_i32 s22, 0x7f
	v_cmp_ne_u32_e32 vcc, s22, v17
	v_mov_b32_e32 v10, 0x7f80
	s_and_saveexec_b64 s[22:23], vcc
	s_cbranch_execz .LBB795_776
; %bb.775:
	v_and_b32_e32 v10, 7, v6
	v_ffbh_u32_e32 v18, v10
	v_min_u32_e32 v21, 32, v18
	v_subrev_u32_e32 v18, 28, v21
	v_lshlrev_b64 v[18:19], v18, v[6:7]
	v_lshrrev_b32_e32 v20, 3, v17
	v_sub_u32_e32 v6, 29, v21
	v_and_b32_e32 v18, 7, v18
	v_cmp_gt_u32_e32 vcc, 8, v17
	v_mov_b32_e32 v17, 24
	v_cndmask_b32_e32 v6, v20, v6, vcc
	v_cndmask_b32_e32 v10, v10, v18, vcc
	v_lshlrev_b32_sdwa v17, v17, v9 dst_sel:DWORD dst_unused:UNUSED_PAD src0_sel:DWORD src1_sel:WORD_1
	v_bfrev_b32_e32 v18, 60
	v_lshlrev_b32_e32 v10, 20, v10
	v_and_b32_e32 v17, 0x80000000, v17
	v_lshl_add_u32 v6, v6, 23, v18
	v_or3_b32 v6, v17, v6, v10
	v_lshrrev_b32_e32 v10, 16, v6
.LBB795_776:
	s_or_b64 exec, exec, s[22:23]
.LBB795_777:
	s_or_b64 exec, exec, s[20:21]
.LBB795_778:
	s_or_b64 exec, exec, s[10:11]
	s_mov_b32 s10, -1
	s_mov_b32 s11, 0xffffff
	v_cmp_lt_u64_e32 vcc, s[10:11], v[8:9]
	s_and_saveexec_b64 s[10:11], vcc
	s_cbranch_execz .LBB795_784
; %bb.779:
	v_lshrrev_b32_e32 v6, 24, v9
	s_movk_i32 s20, 0x80
	v_cmp_ne_u32_e32 vcc, s20, v6
	v_mov_b32_e32 v7, 0xffff8000
	s_and_saveexec_b64 s[20:21], vcc
	s_cbranch_execz .LBB795_783
; %bb.780:
	v_bfe_u32 v8, v9, 24, 7
	s_movk_i32 s22, 0x7f
	v_cmp_ne_u32_e32 vcc, s22, v8
	v_mov_b32_e32 v7, 0x7f80
	s_and_saveexec_b64 s[22:23], vcc
	s_cbranch_execz .LBB795_782
; %bb.781:
	v_and_b32_e32 v7, 7, v6
	v_ffbh_u32_e32 v17, v7
	v_min_u32_e32 v17, 32, v17
	v_subrev_u32_e32 v18, 28, v17
	v_lshlrev_b64 v[18:19], v18, v[6:7]
	v_lshrrev_b32_e32 v9, 3, v8
	v_sub_u32_e32 v17, 29, v17
	v_and_b32_e32 v18, 7, v18
	v_cmp_gt_u32_e32 vcc, 8, v8
	v_cndmask_b32_e32 v8, v9, v17, vcc
	v_cndmask_b32_e32 v7, v7, v18, vcc
	v_lshlrev_b32_e32 v6, 24, v6
	v_bfrev_b32_e32 v9, 60
	v_lshlrev_b32_e32 v7, 20, v7
	v_and_b32_e32 v6, 0x80000000, v6
	v_lshl_add_u32 v8, v8, 23, v9
	v_or3_b32 v6, v6, v8, v7
	v_lshrrev_b32_e32 v7, 16, v6
.LBB795_782:
	s_or_b64 exec, exec, s[22:23]
.LBB795_783:
	s_or_b64 exec, exec, s[20:21]
.LBB795_784:
	s_or_b64 exec, exec, s[10:11]
	s_load_dword s4, s[4:5], 0x1c
	s_mov_b32 s5, 0x5040100
	v_perm_b32 v9, v14, v13, s5
	v_perm_b32 v8, v11, v12, s5
	;; [unrolled: 1-line block ×4, first 2 shown]
	v_mfma_f32_4x4x4bf16_1k a[0:3], v[2:3], v[8:9], a[0:3] cbsz:4 abid:15
	s_load_dword s5, s[12:13], 0x0
	v_mfma_f32_4x4x4bf16_1k a[0:3], v[4:5], v[6:7], a[0:3] cbsz:4 abid:15
	s_waitcnt lgkmcnt(0)
	v_mov_b32_e32 v2, s4
	v_cmp_eq_u32_e32 vcc, 0, v43
	v_mov_b32_e32 v9, 0xff7fffff
	v_mul_f32_e32 v4, s5, v2
	v_accvgpr_read_b32 v7, a1
	v_accvgpr_read_b32 v6, a0
	v_pk_mul_f32 v[6:7], v[6:7], v[4:5] op_sel_hi:[1,0]
	v_accvgpr_read_b32 v3, a3
	v_accvgpr_read_b32 v2, a2
	v_pk_mul_f32 v[2:3], v[2:3], v[4:5] op_sel_hi:[1,0]
	v_cndmask_b32_e64 v4, 0, 1.0, vcc
	v_cmp_eq_u32_e32 vcc, 1, v43
	s_nop 0
	v_mfma_f32_4x4x1f32 a[0:3], v6, v4, 0
	v_cndmask_b32_e64 v4, 0, 1.0, vcc
	v_cmp_eq_u32_e32 vcc, 2, v43
	s_nop 0
	v_mfma_f32_4x4x1f32 a[0:3], v7, v4, a[0:3]
	;; [unrolled: 4-line block ×3, first 2 shown]
	v_cndmask_b32_e64 v2, 0, 1.0, vcc
	s_nop 1
	v_mfma_f32_4x4x1f32 a[0:3], v3, v2, a[0:3]
	v_and_b32_e32 v2, -4, v44
	v_subrev_u32_e32 v3, s9, v2
	v_add_u32_e32 v4, 1, v3
	v_cvt_f32_i32_e32 v4, v4
	v_add_u32_e32 v5, 2, v3
	v_cvt_f32_i32_e32 v5, v5
	v_accvgpr_read_b32 v6, a0
	v_fma_f32 v4, v45, v4, v6
	v_accvgpr_read_b32 v6, a1
	v_fma_f32 v5, v45, v5, v6
	v_add_u32_e32 v6, 3, v3
	v_cvt_f32_i32_e32 v6, v6
	v_accvgpr_read_b32 v7, a2
	v_add_u32_e32 v3, 4, v3
	v_cmp_gt_i32_e32 vcc, s9, v2
	v_fma_f32 v7, v45, v6, v7
	v_max_f32_e32 v6, 0xff7fffff, v4
	v_cvt_f32_i32_e32 v3, v3
	v_cndmask_b32_e32 v6, v9, v6, vcc
	v_or_b32_e32 v9, 1, v2
	v_max_f32_e32 v10, v6, v5
	v_cmp_gt_i32_e64 s[4:5], s9, v9
	v_cndmask_b32_e64 v6, v6, v10, s[4:5]
	v_or_b32_e32 v2, 2, v2
	v_accvgpr_read_b32 v8, a3
	v_max_f32_e32 v9, v6, v7
	v_cmp_gt_i32_e64 s[10:11], s9, v2
	v_fmac_f32_e32 v8, v45, v3
	v_cndmask_b32_e64 v2, v6, v9, s[10:11]
	v_or_b32_e32 v6, 3, v44
	v_max_f32_e32 v9, v2, v8
	v_cmp_gt_i32_e64 s[12:13], s9, v6
	v_lshlrev_b32_e32 v3, 2, v0
	v_cndmask_b32_e64 v2, v2, v9, s[12:13]
	v_and_or_b32 v3, v3, 48, v43
	;;#ASMSTART
	v_nop
 v_nop
 v_max_f32_dpp v2, v2, v2 row_ror:4
	;;#ASMEND
	v_lshlrev_b32_e32 v9, 2, v3
	;;#ASMSTART
	v_nop
 v_nop
 v_max_f32_dpp v2, v2, v2 row_ror:8
	;;#ASMEND
	ds_bpermute_b32 v2, v9, v2
	s_waitcnt lgkmcnt(0)
	;;#ASMSTART
	v_nop
 v_nop
 v_max_f32_dpp v2, v2, v2 row_ror:4
	;;#ASMEND
	;;#ASMSTART
	v_nop
 v_nop
 v_max_f32_dpp v6, v2, v2 row_ror:8
	;;#ASMEND
	v_sub_f32_e32 v2, v4, v6
	v_mul_f32_e32 v2, 0x3fb8aa3b, v2
	v_sub_f32_e32 v3, v5, v6
	v_exp_f32_e32 v2, v2
	v_mul_f32_e32 v3, 0x3fb8aa3b, v3
	v_sub_f32_e32 v5, v7, v6
	v_exp_f32_e32 v3, v3
	;; [unrolled: 3-line block ×3, first 2 shown]
	v_mul_f32_e32 v7, 0x3fb8aa3b, v7
	v_exp_f32_e32 v7, v7
	v_cndmask_b32_e32 v2, 0, v2, vcc
	v_add_f32_e32 v4, 0, v2
	v_cndmask_b32_e64 v3, 0, v3, s[4:5]
	v_add_f32_e32 v8, v4, v3
	v_cndmask_b32_e64 v4, 0, v5, s[10:11]
	;; [unrolled: 2-line block ×3, first 2 shown]
	v_add_f32_e32 v7, v8, v5
	;;#ASMSTART
	v_nop
 v_nop
 v_add_f32_dpp v7, v7, v7 row_ror:4
	;;#ASMEND
	;;#ASMSTART
	v_nop
 v_nop
 v_add_f32_dpp v7, v7, v7 row_ror:8
	;;#ASMEND
	ds_bpermute_b32 v7, v9, v7
	s_waitcnt lgkmcnt(0)
	;;#ASMSTART
	v_nop
 v_nop
 v_add_f32_dpp v7, v7, v7 row_ror:4
	;;#ASMEND
	v_cmp_gt_u32_e32 vcc, 4, v1
	;;#ASMSTART
	v_nop
 v_nop
 v_add_f32_dpp v7, v7, v7 row_ror:8
	;;#ASMEND
	s_and_saveexec_b64 s[4:5], vcc
	s_cbranch_execz .LBB795_786
; %bb.785:
	v_mul_u32_u24_e32 v8, 20, v42
	v_lshl_add_u32 v8, v43, 2, v8
	v_add_u32_e32 v8, 0x1400, v8
	ds_write2_b32 v8, v6, v7 offset1:20
.LBB795_786:
	s_or_b64 exec, exec, s[4:5]
.LBB795_787:
	s_or_b64 exec, exec, s[30:31]
	s_waitcnt lgkmcnt(0)
	s_barrier
	s_load_dword s4, s[28:29], 0x8
	v_lshlrev_b32_e32 v7, 2, v43
	v_add_u32_e32 v7, 0x1400, v7
	ds_read2_b32 v[10:11], v7 offset1:5
	ds_read2_b32 v[12:13], v7 offset0:10 offset1:15
	s_mul_i32 s5, s8, s42
	s_waitcnt lgkmcnt(0)
	s_mul_i32 s5, s5, s4
	s_lshl_b32 s4, s5, 1
	s_mov_b32 s5, 0xff7fffff
	v_max3_f32 v8, v10, s5, v11
	v_max3_f32 v8, v8, v12, v13
	v_sub_f32_e32 v9, v10, v8
	v_sub_f32_e32 v10, v11, v8
	ds_read2_b32 v[14:15], v7 offset0:20 offset1:25
	v_mul_f32_e32 v9, 0x3fb8aa3b, v9
	v_mul_f32_e32 v10, 0x3fb8aa3b, v10
	v_exp_f32_e32 v9, v9
	v_exp_f32_e32 v16, v10
	ds_read2_b32 v[10:11], v7 offset0:30 offset1:35
	v_sub_f32_e32 v7, v12, v8
	v_mul_f32_e32 v7, 0x3fb8aa3b, v7
	v_sub_f32_e32 v12, v13, v8
	v_exp_f32_e32 v7, v7
	v_mul_f32_e32 v12, 0x3fb8aa3b, v12
	v_exp_f32_e32 v12, v12
	s_waitcnt lgkmcnt(1)
	v_fma_f32 v9, v9, v14, 0
	v_fmac_f32_e32 v9, v16, v15
	s_waitcnt lgkmcnt(0)
	v_fmac_f32_e32 v9, v7, v10
	v_fmac_f32_e32 v9, v12, v11
	v_cmp_gt_u32_e32 vcc, 2, v43
	s_and_saveexec_b64 s[8:9], vcc
	s_cbranch_execz .LBB795_789
; %bb.788:
	s_mov_b32 s5, 0
	s_lshl_b64 s[10:11], s[4:5], 2
	s_add_u32 s16, s16, s10
	s_mov_b32 s25, s5
	s_addc_u32 s17, s17, s11
	s_lshl_b64 s[12:13], s[24:25], 2
	s_add_u32 s5, s16, s12
	s_addc_u32 s16, s17, s13
	v_or_b32_e32 v7, s33, v43
	s_add_u32 s10, s18, s10
	v_mul_lo_u32 v10, s42, v7
	v_mov_b32_e32 v11, 0
	s_addc_u32 s11, s19, s11
	v_lshlrev_b64 v[10:11], 2, v[10:11]
	s_add_u32 s10, s10, s12
	v_mov_b32_e32 v7, s16
	v_add_co_u32_e32 v12, vcc, s5, v10
	s_addc_u32 s11, s11, s13
	v_addc_co_u32_e32 v13, vcc, v7, v11, vcc
	v_mov_b32_e32 v7, s11
	v_add_co_u32_e32 v10, vcc, s10, v10
	v_addc_co_u32_e32 v11, vcc, v7, v11, vcc
	global_store_dword v[10:11], v8, off
	global_store_dword v[12:13], v9, off
.LBB795_789:
	s_or_b64 exec, exec, s[8:9]
	v_lshlrev_b32_e32 v7, 3, v42
	s_and_saveexec_b64 s[8:9], s[6:7]
	s_xor_b64 s[6:7], exec, s[8:9]
	s_cbranch_execz .LBB795_791
; %bb.790:
	s_mov_b32 s8, 0
	s_mov_b32 s9, s8
	v_mad_u32_u24 v4, v1, 40, v7
	v_pk_mov_b32 v[2:3], s[8:9], s[8:9] op_sel:[0,1]
	ds_write2st64_b64 v4, v[2:3], v[2:3] offset1:5
                                        ; implicit-def: $vgpr7
                                        ; implicit-def: $vgpr9
                                        ; implicit-def: $vgpr6
                                        ; implicit-def: $vgpr8
                                        ; implicit-def: $vgpr4
                                        ; implicit-def: $vgpr2
.LBB795_791:
	s_andn2_saveexec_b64 s[6:7], s[6:7]
	s_cbranch_execz .LBB795_1178
; %bb.792:
	v_add_f32_e32 v9, 0x358637bd, v9
	v_div_scale_f32 v10, s[8:9], v9, v9, 1.0
	v_rcp_f32_e32 v11, v10
	v_div_scale_f32 v12, vcc, 1.0, v9, 1.0
	v_sub_f32_e32 v6, v6, v8
	v_fma_f32 v13, -v10, v11, 1.0
	v_fmac_f32_e32 v11, v13, v11
	v_mul_f32_e32 v13, v12, v11
	v_fma_f32 v14, -v10, v13, v12
	v_mul_f32_e32 v6, 0x3fb8aa3b, v6
	v_fmac_f32_e32 v13, v14, v11
	v_exp_f32_e32 v6, v6
	v_fma_f32 v10, -v10, v13, v12
	v_div_fmas_f32 v8, v10, v11, v13
	v_div_fixup_f32 v8, v8, v9, 1.0
	v_mul_f32_e32 v6, v6, v8
	v_pk_mul_f32 v[2:3], v[2:3], v[6:7] op_sel_hi:[1,0]
	s_load_dword s8, s[14:15], 0x0
	v_pk_mul_f32 v[4:5], v[4:5], v[6:7] op_sel_hi:[1,0]
	v_bfe_u32 v6, v3, 16, 1
	v_bfe_u32 v8, v2, 16, 1
	s_movk_i32 s5, 0x7fff
	v_add3_u32 v2, v2, v8, s5
	v_add3_u32 v3, v3, v6, s5
	s_mov_b32 s20, 0x7060302
	v_perm_b32 v2, v3, v2, s20
	v_bfe_u32 v3, v5, 16, 1
	v_bfe_u32 v6, v4, 16, 1
	v_add3_u32 v4, v4, v6, s5
	v_add3_u32 v3, v5, v3, s5
	v_mov_b32_e32 v11, 0
	v_perm_b32 v3, v3, v4, s20
	v_add_u32_e32 v5, 64, v11
	s_waitcnt lgkmcnt(0)
	s_mov_b32 s9, s8
	s_mov_b32 s10, s8
	s_mov_b32 s11, s8
	s_mov_b32 s22, 0
	s_mov_b64 s[12:13], -1
	s_movk_i32 s21, 0x80
	s_movk_i32 s23, 0x7f
	s_mov_b32 s25, 0xffffff
	s_mov_b32 s28, 0x5040100
	v_mov_b32_e32 v9, 0
	v_bfrev_b32_e32 v10, 60
	s_branch .LBB795_796
.LBB795_793:                            ;   in Loop: Header=BB795_796 Depth=1
	s_or_b64 exec, exec, s[18:19]
.LBB795_794:                            ;   in Loop: Header=BB795_796 Depth=1
	s_or_b64 exec, exec, s[16:17]
.LBB795_795:                            ;   in Loop: Header=BB795_796 Depth=1
	s_or_b64 exec, exec, s[14:15]
	v_perm_b32 v19, v15, v12, s28
	v_perm_b32 v18, v11, v13, s28
	;; [unrolled: 1-line block ×4, first 2 shown]
	v_mfma_f32_4x4x4bf16_1k a[0:3], v[2:3], v[18:19], a[0:3] cbsz:4 abid:14
	s_mul_i32 s14, s22, 0xa00
	v_mfma_f32_4x4x4bf16_1k a[0:3], v[2:3], v[12:13], a[0:3] cbsz:4 abid:15
	s_mov_b32 s22, 1
	v_mov_b32_e32 v11, v5
	s_nop 2
	v_accvgpr_read_b32 v15, a1
	v_accvgpr_read_b32 v14, a0
	v_pk_mul_f32 v[14:15], v[14:15], s[8:9]
	v_accvgpr_read_b32 v13, a3
	v_accvgpr_read_b32 v12, a2
	v_bfe_u32 v4, v15, 16, 1
	v_bfe_u32 v6, v14, 16, 1
	v_pk_mul_f32 v[12:13], v[12:13], s[10:11]
	v_add3_u32 v6, v14, v6, s5
	v_add3_u32 v4, v15, v4, s5
	v_perm_b32 v14, v4, v6, s20
	v_bfe_u32 v4, v13, 16, 1
	v_bfe_u32 v6, v12, 16, 1
	v_add3_u32 v6, v12, v6, s5
	v_add3_u32 v4, v13, v4, s5
	v_perm_b32 v15, v4, v6, s20
	v_mul_u32_u24_e32 v4, 40, v1
	v_add3_u32 v4, s14, v4, v7
	s_xor_b64 s[14:15], s[12:13], -1
	s_mov_b64 s[12:13], 0
	s_andn2_b64 vcc, exec, s[14:15]
	ds_write_b64 v4, v[14:15]
	s_cbranch_vccz .LBB795_1178
.LBB795_796:                            ; =>This Inner Loop Header: Depth=1
	buffer_load_dword v6, v11, s[0:3], 0 offen
	buffer_load_dword v4, v11, s[0:3], 0 offen offset:4
	v_mov_b32_e32 v13, 0
	s_waitcnt vmcnt(1)
	v_cmp_ne_u16_sdwa s[16:17], v6, v9 src0_sel:BYTE_0 src1_sel:DWORD
	s_and_saveexec_b64 s[14:15], s[16:17]
	s_cbranch_execz .LBB795_802
; %bb.797:                              ;   in Loop: Header=BB795_796 Depth=1
	v_cmp_ne_u16_sdwa s[18:19], v6, s21 src0_sel:BYTE_0 src1_sel:DWORD
	v_mov_b32_e32 v13, 0xffff8000
	s_and_saveexec_b64 s[16:17], s[18:19]
	s_cbranch_execz .LBB795_801
; %bb.798:                              ;   in Loop: Header=BB795_796 Depth=1
	v_and_b32_e32 v8, 0x7f, v6
	v_cmp_ne_u32_e32 vcc, s23, v8
	v_mov_b32_e32 v13, 0x7f80
	s_and_saveexec_b64 s[18:19], vcc
	s_cbranch_execz .LBB795_800
; %bb.799:                              ;   in Loop: Header=BB795_796 Depth=1
	v_and_b32_e32 v14, 7, v6
	v_ffbh_u32_e32 v12, v14
	v_min_u32_e32 v16, 32, v12
	v_subrev_u32_e32 v12, 28, v16
	v_lshlrev_b64 v[12:13], v12, v[6:7]
	v_lshrrev_b32_e32 v15, 3, v8
	v_sub_u32_e32 v13, 29, v16
	v_and_b32_e32 v12, 7, v12
	v_cmp_gt_u32_e32 vcc, 8, v8
	v_cndmask_b32_e32 v8, v15, v13, vcc
	v_cndmask_b32_e32 v12, v14, v12, vcc
	v_lshlrev_b32_e32 v13, 24, v6
	v_lshlrev_b32_e32 v12, 20, v12
	v_and_b32_e32 v13, 0x80000000, v13
	v_lshl_add_u32 v8, v8, 23, v10
	v_or3_b32 v8, v13, v8, v12
	v_lshrrev_b32_e32 v13, 16, v8
.LBB795_800:                            ;   in Loop: Header=BB795_796 Depth=1
	s_or_b64 exec, exec, s[18:19]
.LBB795_801:                            ;   in Loop: Header=BB795_796 Depth=1
	s_or_b64 exec, exec, s[16:17]
.LBB795_802:                            ;   in Loop: Header=BB795_796 Depth=1
	s_or_b64 exec, exec, s[14:15]
	v_lshrrev_b16_e32 v8, 8, v6
	v_cmp_ne_u16_e32 vcc, 0, v8
	v_mov_b32_e32 v15, 0
	v_mov_b32_e32 v14, 0
	s_and_saveexec_b64 s[14:15], vcc
	s_cbranch_execz .LBB795_808
; %bb.803:                              ;   in Loop: Header=BB795_796 Depth=1
	v_cmp_ne_u16_e32 vcc, s21, v8
	v_mov_b32_e32 v14, 0xffff8000
	s_and_saveexec_b64 s[16:17], vcc
	s_cbranch_execz .LBB795_807
; %bb.804:                              ;   in Loop: Header=BB795_796 Depth=1
	v_and_b32_e32 v12, 0x7f, v8
	v_cmp_ne_u32_e32 vcc, s23, v12
	v_mov_b32_e32 v14, 0x7f80
	s_and_saveexec_b64 s[18:19], vcc
	s_cbranch_execz .LBB795_806
; %bb.805:                              ;   in Loop: Header=BB795_796 Depth=1
	v_and_b32_e32 v14, 7, v8
	v_ffbh_u32_e32 v16, v14
	v_min_u32_e32 v19, 32, v16
	v_subrev_u32_e32 v16, 28, v19
	v_lshlrev_b64 v[16:17], v16, v[8:9]
	v_lshrrev_b32_e32 v18, 3, v12
	v_sub_u32_e32 v8, 29, v19
	v_and_b32_e32 v16, 7, v16
	v_cmp_gt_u32_e32 vcc, 8, v12
	v_cndmask_b32_e32 v8, v18, v8, vcc
	v_cndmask_b32_e32 v12, v14, v16, vcc
	v_lshlrev_b32_e32 v14, 16, v6
	v_lshlrev_b32_e32 v12, 20, v12
	v_and_b32_e32 v14, 0x80000000, v14
	v_lshl_add_u32 v8, v8, 23, v10
	v_or3_b32 v8, v14, v8, v12
	v_lshrrev_b32_e32 v14, 16, v8
.LBB795_806:                            ;   in Loop: Header=BB795_796 Depth=1
	s_or_b64 exec, exec, s[18:19]
.LBB795_807:                            ;   in Loop: Header=BB795_796 Depth=1
	s_or_b64 exec, exec, s[16:17]
.LBB795_808:                            ;   in Loop: Header=BB795_796 Depth=1
	s_or_b64 exec, exec, s[14:15]
	v_lshrrev_b32_e32 v8, 16, v6
	v_cmp_ne_u16_sdwa s[16:17], v8, v9 src0_sel:BYTE_0 src1_sel:DWORD
	s_and_saveexec_b64 s[14:15], s[16:17]
	s_cbranch_execz .LBB795_814
; %bb.809:                              ;   in Loop: Header=BB795_796 Depth=1
	v_cmp_ne_u16_sdwa s[18:19], v8, s21 src0_sel:BYTE_0 src1_sel:DWORD
	v_mov_b32_e32 v15, 0xffff8000
	s_and_saveexec_b64 s[16:17], s[18:19]
	s_cbranch_execz .LBB795_813
; %bb.810:                              ;   in Loop: Header=BB795_796 Depth=1
	v_bfe_u32 v12, v6, 16, 7
	v_cmp_ne_u32_e32 vcc, s23, v12
	v_mov_b32_e32 v15, 0x7f80
	s_and_saveexec_b64 s[18:19], vcc
	s_cbranch_execz .LBB795_812
; %bb.811:                              ;   in Loop: Header=BB795_796 Depth=1
	v_and_b32_e32 v15, 7, v8
	v_ffbh_u32_e32 v16, v15
	v_min_u32_e32 v19, 32, v16
	v_subrev_u32_e32 v16, 28, v19
	v_lshlrev_b64 v[16:17], v16, v[8:9]
	v_lshrrev_b32_e32 v18, 3, v12
	v_sub_u32_e32 v17, 29, v19
	v_and_b32_e32 v16, 7, v16
	v_cmp_gt_u32_e32 vcc, 8, v12
	v_cndmask_b32_e32 v12, v18, v17, vcc
	v_cndmask_b32_e32 v15, v15, v16, vcc
	v_lshlrev_b32_e32 v8, 24, v8
	v_lshlrev_b32_e32 v15, 20, v15
	v_and_b32_e32 v8, 0x80000000, v8
	v_lshl_add_u32 v12, v12, 23, v10
	v_or3_b32 v8, v8, v12, v15
	v_lshrrev_b32_e32 v15, 16, v8
.LBB795_812:                            ;   in Loop: Header=BB795_796 Depth=1
	s_or_b64 exec, exec, s[18:19]
.LBB795_813:                            ;   in Loop: Header=BB795_796 Depth=1
	s_or_b64 exec, exec, s[16:17]
.LBB795_814:                            ;   in Loop: Header=BB795_796 Depth=1
	s_or_b64 exec, exec, s[14:15]
	v_cmp_lt_u32_e32 vcc, s25, v6
	v_mov_b32_e32 v16, 0
	v_mov_b32_e32 v17, 0
	s_and_saveexec_b64 s[14:15], vcc
	s_cbranch_execz .LBB795_820
; %bb.815:                              ;   in Loop: Header=BB795_796 Depth=1
	v_lshrrev_b32_e32 v8, 24, v6
	v_cmp_ne_u32_e32 vcc, s21, v8
	v_mov_b32_e32 v17, 0xffff8000
	s_and_saveexec_b64 s[16:17], vcc
	s_cbranch_execz .LBB795_819
; %bb.816:                              ;   in Loop: Header=BB795_796 Depth=1
	v_bfe_u32 v6, v6, 24, 7
	v_cmp_ne_u32_e32 vcc, s23, v6
	v_mov_b32_e32 v17, 0x7f80
	s_and_saveexec_b64 s[18:19], vcc
	s_cbranch_execz .LBB795_818
; %bb.817:                              ;   in Loop: Header=BB795_796 Depth=1
	v_and_b32_e32 v12, 7, v8
	v_ffbh_u32_e32 v18, v12
	v_min_u32_e32 v20, 32, v18
	v_subrev_u32_e32 v18, 28, v20
	v_lshlrev_b64 v[18:19], v18, v[8:9]
	v_lshrrev_b32_e32 v17, 3, v6
	v_sub_u32_e32 v19, 29, v20
	v_and_b32_e32 v18, 7, v18
	v_cmp_gt_u32_e32 vcc, 8, v6
	v_cndmask_b32_e32 v6, v17, v19, vcc
	v_cndmask_b32_e32 v12, v12, v18, vcc
	v_lshlrev_b32_e32 v8, 24, v8
	v_lshlrev_b32_e32 v12, 20, v12
	v_and_b32_e32 v8, 0x80000000, v8
	v_lshl_add_u32 v6, v6, 23, v10
	v_or3_b32 v6, v8, v6, v12
	v_lshrrev_b32_e32 v17, 16, v6
.LBB795_818:                            ;   in Loop: Header=BB795_796 Depth=1
	s_or_b64 exec, exec, s[18:19]
.LBB795_819:                            ;   in Loop: Header=BB795_796 Depth=1
	s_or_b64 exec, exec, s[16:17]
.LBB795_820:                            ;   in Loop: Header=BB795_796 Depth=1
	s_or_b64 exec, exec, s[14:15]
	s_waitcnt vmcnt(0)
	v_cmp_ne_u16_sdwa s[16:17], v4, v9 src0_sel:BYTE_0 src1_sel:DWORD
	s_and_saveexec_b64 s[14:15], s[16:17]
	s_cbranch_execz .LBB795_826
; %bb.821:                              ;   in Loop: Header=BB795_796 Depth=1
	v_cmp_ne_u16_sdwa s[18:19], v4, s21 src0_sel:BYTE_0 src1_sel:DWORD
	v_mov_b32_e32 v16, 0xffff8000
	s_and_saveexec_b64 s[16:17], s[18:19]
	s_cbranch_execz .LBB795_825
; %bb.822:                              ;   in Loop: Header=BB795_796 Depth=1
	v_and_b32_e32 v6, 0x7f, v4
	v_cmp_ne_u32_e32 vcc, s23, v6
	v_mov_b32_e32 v16, 0x7f80
	s_and_saveexec_b64 s[18:19], vcc
	s_cbranch_execz .LBB795_824
; %bb.823:                              ;   in Loop: Header=BB795_796 Depth=1
	v_and_b32_e32 v8, 7, v4
	v_ffbh_u32_e32 v16, v8
	v_min_u32_e32 v16, 32, v16
	v_subrev_u32_e32 v18, 28, v16
	v_lshlrev_b64 v[18:19], v18, v[4:5]
	v_lshrrev_b32_e32 v12, 3, v6
	v_sub_u32_e32 v16, 29, v16
	v_and_b32_e32 v18, 7, v18
	v_cmp_gt_u32_e32 vcc, 8, v6
	v_cndmask_b32_e32 v6, v12, v16, vcc
	v_cndmask_b32_e32 v8, v8, v18, vcc
	v_lshlrev_b32_e32 v12, 24, v4
	v_lshlrev_b32_e32 v8, 20, v8
	v_and_b32_e32 v12, 0x80000000, v12
	v_lshl_add_u32 v6, v6, 23, v10
	v_or3_b32 v6, v12, v6, v8
	v_lshrrev_b32_e32 v16, 16, v6
.LBB795_824:                            ;   in Loop: Header=BB795_796 Depth=1
	s_or_b64 exec, exec, s[18:19]
.LBB795_825:                            ;   in Loop: Header=BB795_796 Depth=1
	s_or_b64 exec, exec, s[16:17]
.LBB795_826:                            ;   in Loop: Header=BB795_796 Depth=1
	s_or_b64 exec, exec, s[14:15]
	v_lshrrev_b16_e32 v6, 8, v4
	v_cmp_ne_u16_e32 vcc, 0, v6
	v_mov_b32_e32 v18, 0
	v_mov_b32_e32 v8, 0
	s_and_saveexec_b64 s[14:15], vcc
	s_cbranch_execz .LBB795_832
; %bb.827:                              ;   in Loop: Header=BB795_796 Depth=1
	v_cmp_ne_u16_e32 vcc, s21, v6
	v_mov_b32_e32 v8, 0xffff8000
	s_and_saveexec_b64 s[16:17], vcc
	s_cbranch_execz .LBB795_831
; %bb.828:                              ;   in Loop: Header=BB795_796 Depth=1
	v_and_b32_e32 v12, 0x7f, v6
	v_cmp_ne_u32_e32 vcc, s23, v12
	v_mov_b32_e32 v8, 0x7f80
	s_and_saveexec_b64 s[18:19], vcc
	s_cbranch_execz .LBB795_830
; %bb.829:                              ;   in Loop: Header=BB795_796 Depth=1
	v_and_b32_e32 v8, 7, v6
	v_ffbh_u32_e32 v20, v8
	v_min_u32_e32 v22, 32, v20
	v_subrev_u32_e32 v20, 28, v22
	v_lshlrev_b64 v[20:21], v20, v[6:7]
	v_lshrrev_b32_e32 v19, 3, v12
	v_sub_u32_e32 v6, 29, v22
	v_and_b32_e32 v20, 7, v20
	v_cmp_gt_u32_e32 vcc, 8, v12
	v_cndmask_b32_e32 v6, v19, v6, vcc
	v_cndmask_b32_e32 v8, v8, v20, vcc
	v_lshlrev_b32_e32 v12, 16, v4
	v_lshlrev_b32_e32 v8, 20, v8
	v_and_b32_e32 v12, 0x80000000, v12
	v_lshl_add_u32 v6, v6, 23, v10
	v_or3_b32 v6, v12, v6, v8
	v_lshrrev_b32_e32 v8, 16, v6
.LBB795_830:                            ;   in Loop: Header=BB795_796 Depth=1
	s_or_b64 exec, exec, s[18:19]
.LBB795_831:                            ;   in Loop: Header=BB795_796 Depth=1
	s_or_b64 exec, exec, s[16:17]
.LBB795_832:                            ;   in Loop: Header=BB795_796 Depth=1
	s_or_b64 exec, exec, s[14:15]
	v_lshrrev_b32_e32 v6, 16, v4
	v_cmp_ne_u16_sdwa s[16:17], v6, v9 src0_sel:BYTE_0 src1_sel:DWORD
	s_and_saveexec_b64 s[14:15], s[16:17]
	s_cbranch_execz .LBB795_838
; %bb.833:                              ;   in Loop: Header=BB795_796 Depth=1
	v_cmp_ne_u16_sdwa s[18:19], v6, s21 src0_sel:BYTE_0 src1_sel:DWORD
	v_mov_b32_e32 v18, 0xffff8000
	s_and_saveexec_b64 s[16:17], s[18:19]
	s_cbranch_execz .LBB795_837
; %bb.834:                              ;   in Loop: Header=BB795_796 Depth=1
	v_bfe_u32 v12, v4, 16, 7
	v_cmp_ne_u32_e32 vcc, s23, v12
	v_mov_b32_e32 v18, 0x7f80
	s_and_saveexec_b64 s[18:19], vcc
	s_cbranch_execz .LBB795_836
; %bb.835:                              ;   in Loop: Header=BB795_796 Depth=1
	v_and_b32_e32 v20, 7, v6
	v_ffbh_u32_e32 v18, v20
	v_min_u32_e32 v22, 32, v18
	v_subrev_u32_e32 v18, 28, v22
	v_lshlrev_b64 v[18:19], v18, v[6:7]
	v_lshrrev_b32_e32 v21, 3, v12
	v_sub_u32_e32 v19, 29, v22
	v_and_b32_e32 v18, 7, v18
	v_cmp_gt_u32_e32 vcc, 8, v12
	v_cndmask_b32_e32 v12, v21, v19, vcc
	v_cndmask_b32_e32 v18, v20, v18, vcc
	v_lshlrev_b32_e32 v6, 24, v6
	v_lshlrev_b32_e32 v18, 20, v18
	v_and_b32_e32 v6, 0x80000000, v6
	v_lshl_add_u32 v12, v12, 23, v10
	v_or3_b32 v6, v6, v12, v18
	v_lshrrev_b32_e32 v18, 16, v6
.LBB795_836:                            ;   in Loop: Header=BB795_796 Depth=1
	s_or_b64 exec, exec, s[18:19]
.LBB795_837:                            ;   in Loop: Header=BB795_796 Depth=1
	s_or_b64 exec, exec, s[16:17]
.LBB795_838:                            ;   in Loop: Header=BB795_796 Depth=1
	s_or_b64 exec, exec, s[14:15]
	v_cmp_lt_u32_e32 vcc, s25, v4
	v_mov_b32_e32 v12, 0
	v_mov_b32_e32 v19, 0
	s_and_saveexec_b64 s[14:15], vcc
	s_cbranch_execz .LBB795_844
; %bb.839:                              ;   in Loop: Header=BB795_796 Depth=1
	v_lshrrev_b32_e32 v6, 24, v4
	v_cmp_ne_u32_e32 vcc, s21, v6
	v_mov_b32_e32 v19, 0xffff8000
	s_and_saveexec_b64 s[16:17], vcc
	s_cbranch_execz .LBB795_843
; %bb.840:                              ;   in Loop: Header=BB795_796 Depth=1
	v_bfe_u32 v4, v4, 24, 7
	v_cmp_ne_u32_e32 vcc, s23, v4
	v_mov_b32_e32 v19, 0x7f80
	s_and_saveexec_b64 s[18:19], vcc
	s_cbranch_execz .LBB795_842
; %bb.841:                              ;   in Loop: Header=BB795_796 Depth=1
	v_and_b32_e32 v19, 7, v6
	v_ffbh_u32_e32 v20, v19
	v_min_u32_e32 v23, 32, v20
	v_subrev_u32_e32 v20, 28, v23
	v_lshlrev_b64 v[20:21], v20, v[6:7]
	v_lshrrev_b32_e32 v22, 3, v4
	v_sub_u32_e32 v21, 29, v23
	v_and_b32_e32 v20, 7, v20
	v_cmp_gt_u32_e32 vcc, 8, v4
	v_cndmask_b32_e32 v4, v22, v21, vcc
	v_cndmask_b32_e32 v19, v19, v20, vcc
	v_lshlrev_b32_e32 v6, 24, v6
	v_lshlrev_b32_e32 v19, 20, v19
	v_and_b32_e32 v6, 0x80000000, v6
	v_lshl_add_u32 v4, v4, 23, v10
	v_or3_b32 v4, v6, v4, v19
	v_lshrrev_b32_e32 v19, 16, v4
.LBB795_842:                            ;   in Loop: Header=BB795_796 Depth=1
	s_or_b64 exec, exec, s[18:19]
.LBB795_843:                            ;   in Loop: Header=BB795_796 Depth=1
	s_or_b64 exec, exec, s[16:17]
.LBB795_844:                            ;   in Loop: Header=BB795_796 Depth=1
	s_or_b64 exec, exec, s[14:15]
	buffer_load_dword v6, v11, s[0:3], 0 offen offset:8
	buffer_load_dword v4, v11, s[0:3], 0 offen offset:12
	v_perm_b32 v15, v17, v15, s28
	v_perm_b32 v14, v14, v13, s28
	;; [unrolled: 1-line block ×4, first 2 shown]
	v_mfma_f32_4x4x4bf16_1k a[0:3], v[2:3], v[14:15], 0 cbsz:4
	s_waitcnt vmcnt(1)
	v_cmp_ne_u16_sdwa s[16:17], v6, v9 src0_sel:BYTE_0 src1_sel:DWORD
	v_mfma_f32_4x4x4bf16_1k a[0:3], v[2:3], v[16:17], a[0:3] cbsz:4 abid:1
	s_and_saveexec_b64 s[14:15], s[16:17]
	s_cbranch_execz .LBB795_850
; %bb.845:                              ;   in Loop: Header=BB795_796 Depth=1
	v_cmp_ne_u16_sdwa s[18:19], v6, s21 src0_sel:BYTE_0 src1_sel:DWORD
	v_mov_b32_e32 v12, 0xffff8000
	s_and_saveexec_b64 s[16:17], s[18:19]
	s_cbranch_execz .LBB795_849
; %bb.846:                              ;   in Loop: Header=BB795_796 Depth=1
	v_and_b32_e32 v8, 0x7f, v6
	v_cmp_ne_u32_e32 vcc, s23, v8
	v_mov_b32_e32 v12, 0x7f80
	s_and_saveexec_b64 s[18:19], vcc
	s_cbranch_execz .LBB795_848
; %bb.847:                              ;   in Loop: Header=BB795_796 Depth=1
	v_and_b32_e32 v14, 7, v6
	v_ffbh_u32_e32 v12, v14
	v_min_u32_e32 v16, 32, v12
	v_subrev_u32_e32 v12, 28, v16
	v_lshlrev_b64 v[12:13], v12, v[6:7]
	v_lshrrev_b32_e32 v15, 3, v8
	v_sub_u32_e32 v13, 29, v16
	v_and_b32_e32 v12, 7, v12
	v_cmp_gt_u32_e32 vcc, 8, v8
	v_cndmask_b32_e32 v8, v15, v13, vcc
	v_cndmask_b32_e32 v12, v14, v12, vcc
	v_lshlrev_b32_e32 v13, 24, v6
	v_lshlrev_b32_e32 v12, 20, v12
	v_and_b32_e32 v13, 0x80000000, v13
	v_lshl_add_u32 v8, v8, 23, v10
	v_or3_b32 v8, v13, v8, v12
	v_lshrrev_b32_e32 v12, 16, v8
.LBB795_848:                            ;   in Loop: Header=BB795_796 Depth=1
	s_or_b64 exec, exec, s[18:19]
.LBB795_849:                            ;   in Loop: Header=BB795_796 Depth=1
	s_or_b64 exec, exec, s[16:17]
.LBB795_850:                            ;   in Loop: Header=BB795_796 Depth=1
	s_or_b64 exec, exec, s[14:15]
	v_lshrrev_b16_e32 v8, 8, v6
	v_cmp_ne_u16_e32 vcc, 0, v8
	v_mov_b32_e32 v15, 0
	v_mov_b32_e32 v14, 0
	s_and_saveexec_b64 s[14:15], vcc
	s_cbranch_execz .LBB795_856
; %bb.851:                              ;   in Loop: Header=BB795_796 Depth=1
	v_cmp_ne_u16_e32 vcc, s21, v8
	v_mov_b32_e32 v14, 0xffff8000
	s_and_saveexec_b64 s[16:17], vcc
	s_cbranch_execz .LBB795_855
; %bb.852:                              ;   in Loop: Header=BB795_796 Depth=1
	v_and_b32_e32 v13, 0x7f, v8
	v_cmp_ne_u32_e32 vcc, s23, v13
	v_mov_b32_e32 v14, 0x7f80
	s_and_saveexec_b64 s[18:19], vcc
	s_cbranch_execz .LBB795_854
; %bb.853:                              ;   in Loop: Header=BB795_796 Depth=1
	v_and_b32_e32 v14, 7, v8
	v_ffbh_u32_e32 v16, v14
	v_min_u32_e32 v19, 32, v16
	v_subrev_u32_e32 v16, 28, v19
	v_lshlrev_b64 v[16:17], v16, v[8:9]
	v_lshrrev_b32_e32 v18, 3, v13
	v_sub_u32_e32 v8, 29, v19
	v_and_b32_e32 v16, 7, v16
	v_cmp_gt_u32_e32 vcc, 8, v13
	v_cndmask_b32_e32 v8, v18, v8, vcc
	v_cndmask_b32_e32 v13, v14, v16, vcc
	v_lshlrev_b32_e32 v14, 16, v6
	v_lshlrev_b32_e32 v13, 20, v13
	v_and_b32_e32 v14, 0x80000000, v14
	v_lshl_add_u32 v8, v8, 23, v10
	v_or3_b32 v8, v14, v8, v13
	v_lshrrev_b32_e32 v14, 16, v8
.LBB795_854:                            ;   in Loop: Header=BB795_796 Depth=1
	s_or_b64 exec, exec, s[18:19]
.LBB795_855:                            ;   in Loop: Header=BB795_796 Depth=1
	s_or_b64 exec, exec, s[16:17]
.LBB795_856:                            ;   in Loop: Header=BB795_796 Depth=1
	s_or_b64 exec, exec, s[14:15]
	v_lshrrev_b32_e32 v8, 16, v6
	v_cmp_ne_u16_sdwa s[16:17], v8, v9 src0_sel:BYTE_0 src1_sel:DWORD
	s_and_saveexec_b64 s[14:15], s[16:17]
	s_cbranch_execz .LBB795_862
; %bb.857:                              ;   in Loop: Header=BB795_796 Depth=1
	v_cmp_ne_u16_sdwa s[18:19], v8, s21 src0_sel:BYTE_0 src1_sel:DWORD
	v_mov_b32_e32 v15, 0xffff8000
	s_and_saveexec_b64 s[16:17], s[18:19]
	s_cbranch_execz .LBB795_861
; %bb.858:                              ;   in Loop: Header=BB795_796 Depth=1
	v_bfe_u32 v13, v6, 16, 7
	v_cmp_ne_u32_e32 vcc, s23, v13
	v_mov_b32_e32 v15, 0x7f80
	s_and_saveexec_b64 s[18:19], vcc
	s_cbranch_execz .LBB795_860
; %bb.859:                              ;   in Loop: Header=BB795_796 Depth=1
	v_and_b32_e32 v15, 7, v8
	v_ffbh_u32_e32 v16, v15
	v_min_u32_e32 v19, 32, v16
	v_subrev_u32_e32 v16, 28, v19
	v_lshlrev_b64 v[16:17], v16, v[8:9]
	v_lshrrev_b32_e32 v18, 3, v13
	v_sub_u32_e32 v17, 29, v19
	v_and_b32_e32 v16, 7, v16
	v_cmp_gt_u32_e32 vcc, 8, v13
	v_cndmask_b32_e32 v13, v18, v17, vcc
	v_cndmask_b32_e32 v15, v15, v16, vcc
	v_lshlrev_b32_e32 v8, 24, v8
	v_lshlrev_b32_e32 v15, 20, v15
	v_and_b32_e32 v8, 0x80000000, v8
	v_lshl_add_u32 v13, v13, 23, v10
	v_or3_b32 v8, v8, v13, v15
	v_lshrrev_b32_e32 v15, 16, v8
.LBB795_860:                            ;   in Loop: Header=BB795_796 Depth=1
	s_or_b64 exec, exec, s[18:19]
.LBB795_861:                            ;   in Loop: Header=BB795_796 Depth=1
	s_or_b64 exec, exec, s[16:17]
.LBB795_862:                            ;   in Loop: Header=BB795_796 Depth=1
	s_or_b64 exec, exec, s[14:15]
	v_cmp_lt_u32_e32 vcc, s25, v6
	v_mov_b32_e32 v16, 0
	v_mov_b32_e32 v17, 0
	s_and_saveexec_b64 s[14:15], vcc
	s_cbranch_execz .LBB795_868
; %bb.863:                              ;   in Loop: Header=BB795_796 Depth=1
	v_lshrrev_b32_e32 v8, 24, v6
	v_cmp_ne_u32_e32 vcc, s21, v8
	v_mov_b32_e32 v17, 0xffff8000
	s_and_saveexec_b64 s[16:17], vcc
	s_cbranch_execz .LBB795_867
; %bb.864:                              ;   in Loop: Header=BB795_796 Depth=1
	v_bfe_u32 v6, v6, 24, 7
	v_cmp_ne_u32_e32 vcc, s23, v6
	v_mov_b32_e32 v17, 0x7f80
	s_and_saveexec_b64 s[18:19], vcc
	s_cbranch_execz .LBB795_866
; %bb.865:                              ;   in Loop: Header=BB795_796 Depth=1
	v_and_b32_e32 v13, 7, v8
	v_ffbh_u32_e32 v18, v13
	v_min_u32_e32 v20, 32, v18
	v_subrev_u32_e32 v18, 28, v20
	v_lshlrev_b64 v[18:19], v18, v[8:9]
	v_lshrrev_b32_e32 v17, 3, v6
	v_sub_u32_e32 v19, 29, v20
	v_and_b32_e32 v18, 7, v18
	v_cmp_gt_u32_e32 vcc, 8, v6
	v_cndmask_b32_e32 v6, v17, v19, vcc
	v_cndmask_b32_e32 v13, v13, v18, vcc
	v_lshlrev_b32_e32 v8, 24, v8
	v_lshlrev_b32_e32 v13, 20, v13
	v_and_b32_e32 v8, 0x80000000, v8
	v_lshl_add_u32 v6, v6, 23, v10
	v_or3_b32 v6, v8, v6, v13
	v_lshrrev_b32_e32 v17, 16, v6
.LBB795_866:                            ;   in Loop: Header=BB795_796 Depth=1
	s_or_b64 exec, exec, s[18:19]
.LBB795_867:                            ;   in Loop: Header=BB795_796 Depth=1
	s_or_b64 exec, exec, s[16:17]
.LBB795_868:                            ;   in Loop: Header=BB795_796 Depth=1
	s_or_b64 exec, exec, s[14:15]
	s_waitcnt vmcnt(0)
	v_cmp_ne_u16_sdwa s[16:17], v4, v9 src0_sel:BYTE_0 src1_sel:DWORD
	s_and_saveexec_b64 s[14:15], s[16:17]
	s_cbranch_execz .LBB795_874
; %bb.869:                              ;   in Loop: Header=BB795_796 Depth=1
	v_cmp_ne_u16_sdwa s[18:19], v4, s21 src0_sel:BYTE_0 src1_sel:DWORD
	v_mov_b32_e32 v16, 0xffff8000
	s_and_saveexec_b64 s[16:17], s[18:19]
	s_cbranch_execz .LBB795_873
; %bb.870:                              ;   in Loop: Header=BB795_796 Depth=1
	v_and_b32_e32 v6, 0x7f, v4
	v_cmp_ne_u32_e32 vcc, s23, v6
	v_mov_b32_e32 v16, 0x7f80
	s_and_saveexec_b64 s[18:19], vcc
	s_cbranch_execz .LBB795_872
; %bb.871:                              ;   in Loop: Header=BB795_796 Depth=1
	v_and_b32_e32 v8, 7, v4
	v_ffbh_u32_e32 v16, v8
	v_min_u32_e32 v16, 32, v16
	v_subrev_u32_e32 v18, 28, v16
	v_lshlrev_b64 v[18:19], v18, v[4:5]
	v_lshrrev_b32_e32 v13, 3, v6
	v_sub_u32_e32 v16, 29, v16
	v_and_b32_e32 v18, 7, v18
	v_cmp_gt_u32_e32 vcc, 8, v6
	v_cndmask_b32_e32 v6, v13, v16, vcc
	v_cndmask_b32_e32 v8, v8, v18, vcc
	v_lshlrev_b32_e32 v13, 24, v4
	v_lshlrev_b32_e32 v8, 20, v8
	v_and_b32_e32 v13, 0x80000000, v13
	v_lshl_add_u32 v6, v6, 23, v10
	v_or3_b32 v6, v13, v6, v8
	v_lshrrev_b32_e32 v16, 16, v6
.LBB795_872:                            ;   in Loop: Header=BB795_796 Depth=1
	s_or_b64 exec, exec, s[18:19]
.LBB795_873:                            ;   in Loop: Header=BB795_796 Depth=1
	s_or_b64 exec, exec, s[16:17]
.LBB795_874:                            ;   in Loop: Header=BB795_796 Depth=1
	s_or_b64 exec, exec, s[14:15]
	v_lshrrev_b16_e32 v6, 8, v4
	v_cmp_ne_u16_e32 vcc, 0, v6
	v_mov_b32_e32 v18, 0
	v_mov_b32_e32 v8, 0
	s_and_saveexec_b64 s[14:15], vcc
	s_cbranch_execz .LBB795_880
; %bb.875:                              ;   in Loop: Header=BB795_796 Depth=1
	v_cmp_ne_u16_e32 vcc, s21, v6
	v_mov_b32_e32 v8, 0xffff8000
	s_and_saveexec_b64 s[16:17], vcc
	s_cbranch_execz .LBB795_879
; %bb.876:                              ;   in Loop: Header=BB795_796 Depth=1
	v_and_b32_e32 v13, 0x7f, v6
	v_cmp_ne_u32_e32 vcc, s23, v13
	v_mov_b32_e32 v8, 0x7f80
	s_and_saveexec_b64 s[18:19], vcc
	s_cbranch_execz .LBB795_878
; %bb.877:                              ;   in Loop: Header=BB795_796 Depth=1
	v_and_b32_e32 v8, 7, v6
	v_ffbh_u32_e32 v20, v8
	v_min_u32_e32 v22, 32, v20
	v_subrev_u32_e32 v20, 28, v22
	v_lshlrev_b64 v[20:21], v20, v[6:7]
	v_lshrrev_b32_e32 v19, 3, v13
	v_sub_u32_e32 v6, 29, v22
	v_and_b32_e32 v20, 7, v20
	v_cmp_gt_u32_e32 vcc, 8, v13
	v_cndmask_b32_e32 v6, v19, v6, vcc
	v_cndmask_b32_e32 v8, v8, v20, vcc
	v_lshlrev_b32_e32 v13, 16, v4
	v_lshlrev_b32_e32 v8, 20, v8
	v_and_b32_e32 v13, 0x80000000, v13
	v_lshl_add_u32 v6, v6, 23, v10
	v_or3_b32 v6, v13, v6, v8
	v_lshrrev_b32_e32 v8, 16, v6
.LBB795_878:                            ;   in Loop: Header=BB795_796 Depth=1
	s_or_b64 exec, exec, s[18:19]
.LBB795_879:                            ;   in Loop: Header=BB795_796 Depth=1
	s_or_b64 exec, exec, s[16:17]
.LBB795_880:                            ;   in Loop: Header=BB795_796 Depth=1
	s_or_b64 exec, exec, s[14:15]
	v_lshrrev_b32_e32 v6, 16, v4
	v_cmp_ne_u16_sdwa s[16:17], v6, v9 src0_sel:BYTE_0 src1_sel:DWORD
	s_and_saveexec_b64 s[14:15], s[16:17]
	s_cbranch_execz .LBB795_886
; %bb.881:                              ;   in Loop: Header=BB795_796 Depth=1
	v_cmp_ne_u16_sdwa s[18:19], v6, s21 src0_sel:BYTE_0 src1_sel:DWORD
	v_mov_b32_e32 v18, 0xffff8000
	s_and_saveexec_b64 s[16:17], s[18:19]
	s_cbranch_execz .LBB795_885
; %bb.882:                              ;   in Loop: Header=BB795_796 Depth=1
	v_bfe_u32 v13, v4, 16, 7
	v_cmp_ne_u32_e32 vcc, s23, v13
	v_mov_b32_e32 v18, 0x7f80
	s_and_saveexec_b64 s[18:19], vcc
	s_cbranch_execz .LBB795_884
; %bb.883:                              ;   in Loop: Header=BB795_796 Depth=1
	v_and_b32_e32 v20, 7, v6
	v_ffbh_u32_e32 v18, v20
	v_min_u32_e32 v22, 32, v18
	v_subrev_u32_e32 v18, 28, v22
	v_lshlrev_b64 v[18:19], v18, v[6:7]
	v_lshrrev_b32_e32 v21, 3, v13
	v_sub_u32_e32 v19, 29, v22
	v_and_b32_e32 v18, 7, v18
	v_cmp_gt_u32_e32 vcc, 8, v13
	v_cndmask_b32_e32 v13, v21, v19, vcc
	v_cndmask_b32_e32 v18, v20, v18, vcc
	v_lshlrev_b32_e32 v6, 24, v6
	v_lshlrev_b32_e32 v18, 20, v18
	v_and_b32_e32 v6, 0x80000000, v6
	v_lshl_add_u32 v13, v13, 23, v10
	v_or3_b32 v6, v6, v13, v18
	v_lshrrev_b32_e32 v18, 16, v6
.LBB795_884:                            ;   in Loop: Header=BB795_796 Depth=1
	s_or_b64 exec, exec, s[18:19]
.LBB795_885:                            ;   in Loop: Header=BB795_796 Depth=1
	s_or_b64 exec, exec, s[16:17]
.LBB795_886:                            ;   in Loop: Header=BB795_796 Depth=1
	s_or_b64 exec, exec, s[14:15]
	v_cmp_lt_u32_e32 vcc, s25, v4
	v_mov_b32_e32 v13, 0
	v_mov_b32_e32 v19, 0
	s_and_saveexec_b64 s[14:15], vcc
	s_cbranch_execz .LBB795_892
; %bb.887:                              ;   in Loop: Header=BB795_796 Depth=1
	v_lshrrev_b32_e32 v6, 24, v4
	v_cmp_ne_u32_e32 vcc, s21, v6
	v_mov_b32_e32 v19, 0xffff8000
	s_and_saveexec_b64 s[16:17], vcc
	s_cbranch_execz .LBB795_891
; %bb.888:                              ;   in Loop: Header=BB795_796 Depth=1
	v_bfe_u32 v4, v4, 24, 7
	v_cmp_ne_u32_e32 vcc, s23, v4
	v_mov_b32_e32 v19, 0x7f80
	s_and_saveexec_b64 s[18:19], vcc
	s_cbranch_execz .LBB795_890
; %bb.889:                              ;   in Loop: Header=BB795_796 Depth=1
	v_and_b32_e32 v19, 7, v6
	v_ffbh_u32_e32 v20, v19
	v_min_u32_e32 v23, 32, v20
	v_subrev_u32_e32 v20, 28, v23
	v_lshlrev_b64 v[20:21], v20, v[6:7]
	v_lshrrev_b32_e32 v22, 3, v4
	v_sub_u32_e32 v21, 29, v23
	v_and_b32_e32 v20, 7, v20
	v_cmp_gt_u32_e32 vcc, 8, v4
	v_cndmask_b32_e32 v4, v22, v21, vcc
	v_cndmask_b32_e32 v19, v19, v20, vcc
	v_lshlrev_b32_e32 v6, 24, v6
	v_lshlrev_b32_e32 v19, 20, v19
	v_and_b32_e32 v6, 0x80000000, v6
	v_lshl_add_u32 v4, v4, 23, v10
	v_or3_b32 v4, v6, v4, v19
	v_lshrrev_b32_e32 v19, 16, v4
.LBB795_890:                            ;   in Loop: Header=BB795_796 Depth=1
	s_or_b64 exec, exec, s[18:19]
.LBB795_891:                            ;   in Loop: Header=BB795_796 Depth=1
	s_or_b64 exec, exec, s[16:17]
.LBB795_892:                            ;   in Loop: Header=BB795_796 Depth=1
	s_or_b64 exec, exec, s[14:15]
	buffer_load_dword v6, v11, s[0:3], 0 offen offset:16
	buffer_load_dword v4, v11, s[0:3], 0 offen offset:20
	v_perm_b32 v15, v17, v15, s28
	v_perm_b32 v14, v14, v12, s28
	;; [unrolled: 1-line block ×4, first 2 shown]
	v_mfma_f32_4x4x4bf16_1k a[0:3], v[2:3], v[14:15], a[0:3] cbsz:4 abid:2
	s_waitcnt vmcnt(1)
	v_cmp_ne_u16_sdwa s[16:17], v6, v9 src0_sel:BYTE_0 src1_sel:DWORD
	v_mfma_f32_4x4x4bf16_1k a[0:3], v[2:3], v[16:17], a[0:3] cbsz:4 abid:3
	s_and_saveexec_b64 s[14:15], s[16:17]
	s_cbranch_execz .LBB795_898
; %bb.893:                              ;   in Loop: Header=BB795_796 Depth=1
	v_cmp_ne_u16_sdwa s[18:19], v6, s21 src0_sel:BYTE_0 src1_sel:DWORD
	v_mov_b32_e32 v13, 0xffff8000
	s_and_saveexec_b64 s[16:17], s[18:19]
	s_cbranch_execz .LBB795_897
; %bb.894:                              ;   in Loop: Header=BB795_796 Depth=1
	v_and_b32_e32 v8, 0x7f, v6
	v_cmp_ne_u32_e32 vcc, s23, v8
	v_mov_b32_e32 v13, 0x7f80
	s_and_saveexec_b64 s[18:19], vcc
	s_cbranch_execz .LBB795_896
; %bb.895:                              ;   in Loop: Header=BB795_796 Depth=1
	v_and_b32_e32 v14, 7, v6
	v_ffbh_u32_e32 v12, v14
	v_min_u32_e32 v16, 32, v12
	v_subrev_u32_e32 v12, 28, v16
	v_lshlrev_b64 v[12:13], v12, v[6:7]
	v_lshrrev_b32_e32 v15, 3, v8
	v_sub_u32_e32 v13, 29, v16
	v_and_b32_e32 v12, 7, v12
	v_cmp_gt_u32_e32 vcc, 8, v8
	v_cndmask_b32_e32 v8, v15, v13, vcc
	v_cndmask_b32_e32 v12, v14, v12, vcc
	v_lshlrev_b32_e32 v13, 24, v6
	v_lshlrev_b32_e32 v12, 20, v12
	v_and_b32_e32 v13, 0x80000000, v13
	v_lshl_add_u32 v8, v8, 23, v10
	v_or3_b32 v8, v13, v8, v12
	v_lshrrev_b32_e32 v13, 16, v8
.LBB795_896:                            ;   in Loop: Header=BB795_796 Depth=1
	s_or_b64 exec, exec, s[18:19]
.LBB795_897:                            ;   in Loop: Header=BB795_796 Depth=1
	s_or_b64 exec, exec, s[16:17]
.LBB795_898:                            ;   in Loop: Header=BB795_796 Depth=1
	s_or_b64 exec, exec, s[14:15]
	v_lshrrev_b16_e32 v8, 8, v6
	v_cmp_ne_u16_e32 vcc, 0, v8
	v_mov_b32_e32 v15, 0
	v_mov_b32_e32 v14, 0
	s_and_saveexec_b64 s[14:15], vcc
	s_cbranch_execz .LBB795_904
; %bb.899:                              ;   in Loop: Header=BB795_796 Depth=1
	v_cmp_ne_u16_e32 vcc, s21, v8
	v_mov_b32_e32 v14, 0xffff8000
	s_and_saveexec_b64 s[16:17], vcc
	s_cbranch_execz .LBB795_903
; %bb.900:                              ;   in Loop: Header=BB795_796 Depth=1
	v_and_b32_e32 v12, 0x7f, v8
	v_cmp_ne_u32_e32 vcc, s23, v12
	v_mov_b32_e32 v14, 0x7f80
	s_and_saveexec_b64 s[18:19], vcc
	s_cbranch_execz .LBB795_902
; %bb.901:                              ;   in Loop: Header=BB795_796 Depth=1
	v_and_b32_e32 v14, 7, v8
	v_ffbh_u32_e32 v16, v14
	v_min_u32_e32 v19, 32, v16
	v_subrev_u32_e32 v16, 28, v19
	v_lshlrev_b64 v[16:17], v16, v[8:9]
	v_lshrrev_b32_e32 v18, 3, v12
	v_sub_u32_e32 v8, 29, v19
	v_and_b32_e32 v16, 7, v16
	v_cmp_gt_u32_e32 vcc, 8, v12
	v_cndmask_b32_e32 v8, v18, v8, vcc
	v_cndmask_b32_e32 v12, v14, v16, vcc
	v_lshlrev_b32_e32 v14, 16, v6
	v_lshlrev_b32_e32 v12, 20, v12
	v_and_b32_e32 v14, 0x80000000, v14
	v_lshl_add_u32 v8, v8, 23, v10
	v_or3_b32 v8, v14, v8, v12
	v_lshrrev_b32_e32 v14, 16, v8
.LBB795_902:                            ;   in Loop: Header=BB795_796 Depth=1
	s_or_b64 exec, exec, s[18:19]
.LBB795_903:                            ;   in Loop: Header=BB795_796 Depth=1
	s_or_b64 exec, exec, s[16:17]
.LBB795_904:                            ;   in Loop: Header=BB795_796 Depth=1
	s_or_b64 exec, exec, s[14:15]
	v_lshrrev_b32_e32 v8, 16, v6
	v_cmp_ne_u16_sdwa s[16:17], v8, v9 src0_sel:BYTE_0 src1_sel:DWORD
	s_and_saveexec_b64 s[14:15], s[16:17]
	s_cbranch_execz .LBB795_910
; %bb.905:                              ;   in Loop: Header=BB795_796 Depth=1
	v_cmp_ne_u16_sdwa s[18:19], v8, s21 src0_sel:BYTE_0 src1_sel:DWORD
	v_mov_b32_e32 v15, 0xffff8000
	s_and_saveexec_b64 s[16:17], s[18:19]
	s_cbranch_execz .LBB795_909
; %bb.906:                              ;   in Loop: Header=BB795_796 Depth=1
	v_bfe_u32 v12, v6, 16, 7
	v_cmp_ne_u32_e32 vcc, s23, v12
	v_mov_b32_e32 v15, 0x7f80
	s_and_saveexec_b64 s[18:19], vcc
	s_cbranch_execz .LBB795_908
; %bb.907:                              ;   in Loop: Header=BB795_796 Depth=1
	v_and_b32_e32 v15, 7, v8
	v_ffbh_u32_e32 v16, v15
	v_min_u32_e32 v19, 32, v16
	v_subrev_u32_e32 v16, 28, v19
	v_lshlrev_b64 v[16:17], v16, v[8:9]
	v_lshrrev_b32_e32 v18, 3, v12
	v_sub_u32_e32 v17, 29, v19
	v_and_b32_e32 v16, 7, v16
	v_cmp_gt_u32_e32 vcc, 8, v12
	v_cndmask_b32_e32 v12, v18, v17, vcc
	v_cndmask_b32_e32 v15, v15, v16, vcc
	v_lshlrev_b32_e32 v8, 24, v8
	v_lshlrev_b32_e32 v15, 20, v15
	v_and_b32_e32 v8, 0x80000000, v8
	v_lshl_add_u32 v12, v12, 23, v10
	v_or3_b32 v8, v8, v12, v15
	v_lshrrev_b32_e32 v15, 16, v8
.LBB795_908:                            ;   in Loop: Header=BB795_796 Depth=1
	s_or_b64 exec, exec, s[18:19]
.LBB795_909:                            ;   in Loop: Header=BB795_796 Depth=1
	s_or_b64 exec, exec, s[16:17]
.LBB795_910:                            ;   in Loop: Header=BB795_796 Depth=1
	s_or_b64 exec, exec, s[14:15]
	v_cmp_lt_u32_e32 vcc, s25, v6
	v_mov_b32_e32 v16, 0
	v_mov_b32_e32 v17, 0
	s_and_saveexec_b64 s[14:15], vcc
	s_cbranch_execz .LBB795_916
; %bb.911:                              ;   in Loop: Header=BB795_796 Depth=1
	v_lshrrev_b32_e32 v8, 24, v6
	v_cmp_ne_u32_e32 vcc, s21, v8
	v_mov_b32_e32 v17, 0xffff8000
	s_and_saveexec_b64 s[16:17], vcc
	s_cbranch_execz .LBB795_915
; %bb.912:                              ;   in Loop: Header=BB795_796 Depth=1
	v_bfe_u32 v6, v6, 24, 7
	v_cmp_ne_u32_e32 vcc, s23, v6
	v_mov_b32_e32 v17, 0x7f80
	s_and_saveexec_b64 s[18:19], vcc
	s_cbranch_execz .LBB795_914
; %bb.913:                              ;   in Loop: Header=BB795_796 Depth=1
	v_and_b32_e32 v12, 7, v8
	v_ffbh_u32_e32 v18, v12
	v_min_u32_e32 v20, 32, v18
	v_subrev_u32_e32 v18, 28, v20
	v_lshlrev_b64 v[18:19], v18, v[8:9]
	v_lshrrev_b32_e32 v17, 3, v6
	v_sub_u32_e32 v19, 29, v20
	v_and_b32_e32 v18, 7, v18
	v_cmp_gt_u32_e32 vcc, 8, v6
	v_cndmask_b32_e32 v6, v17, v19, vcc
	v_cndmask_b32_e32 v12, v12, v18, vcc
	v_lshlrev_b32_e32 v8, 24, v8
	v_lshlrev_b32_e32 v12, 20, v12
	v_and_b32_e32 v8, 0x80000000, v8
	v_lshl_add_u32 v6, v6, 23, v10
	v_or3_b32 v6, v8, v6, v12
	v_lshrrev_b32_e32 v17, 16, v6
.LBB795_914:                            ;   in Loop: Header=BB795_796 Depth=1
	s_or_b64 exec, exec, s[18:19]
.LBB795_915:                            ;   in Loop: Header=BB795_796 Depth=1
	s_or_b64 exec, exec, s[16:17]
.LBB795_916:                            ;   in Loop: Header=BB795_796 Depth=1
	s_or_b64 exec, exec, s[14:15]
	s_waitcnt vmcnt(0)
	v_cmp_ne_u16_sdwa s[16:17], v4, v9 src0_sel:BYTE_0 src1_sel:DWORD
	s_and_saveexec_b64 s[14:15], s[16:17]
	s_cbranch_execz .LBB795_922
; %bb.917:                              ;   in Loop: Header=BB795_796 Depth=1
	v_cmp_ne_u16_sdwa s[18:19], v4, s21 src0_sel:BYTE_0 src1_sel:DWORD
	v_mov_b32_e32 v16, 0xffff8000
	s_and_saveexec_b64 s[16:17], s[18:19]
	s_cbranch_execz .LBB795_921
; %bb.918:                              ;   in Loop: Header=BB795_796 Depth=1
	v_and_b32_e32 v6, 0x7f, v4
	v_cmp_ne_u32_e32 vcc, s23, v6
	v_mov_b32_e32 v16, 0x7f80
	s_and_saveexec_b64 s[18:19], vcc
	s_cbranch_execz .LBB795_920
; %bb.919:                              ;   in Loop: Header=BB795_796 Depth=1
	v_and_b32_e32 v8, 7, v4
	v_ffbh_u32_e32 v16, v8
	v_min_u32_e32 v16, 32, v16
	v_subrev_u32_e32 v18, 28, v16
	v_lshlrev_b64 v[18:19], v18, v[4:5]
	v_lshrrev_b32_e32 v12, 3, v6
	v_sub_u32_e32 v16, 29, v16
	v_and_b32_e32 v18, 7, v18
	v_cmp_gt_u32_e32 vcc, 8, v6
	v_cndmask_b32_e32 v6, v12, v16, vcc
	v_cndmask_b32_e32 v8, v8, v18, vcc
	v_lshlrev_b32_e32 v12, 24, v4
	v_lshlrev_b32_e32 v8, 20, v8
	v_and_b32_e32 v12, 0x80000000, v12
	v_lshl_add_u32 v6, v6, 23, v10
	v_or3_b32 v6, v12, v6, v8
	v_lshrrev_b32_e32 v16, 16, v6
.LBB795_920:                            ;   in Loop: Header=BB795_796 Depth=1
	s_or_b64 exec, exec, s[18:19]
.LBB795_921:                            ;   in Loop: Header=BB795_796 Depth=1
	s_or_b64 exec, exec, s[16:17]
.LBB795_922:                            ;   in Loop: Header=BB795_796 Depth=1
	s_or_b64 exec, exec, s[14:15]
	v_lshrrev_b16_e32 v6, 8, v4
	v_cmp_ne_u16_e32 vcc, 0, v6
	v_mov_b32_e32 v18, 0
	v_mov_b32_e32 v8, 0
	s_and_saveexec_b64 s[14:15], vcc
	s_cbranch_execz .LBB795_928
; %bb.923:                              ;   in Loop: Header=BB795_796 Depth=1
	v_cmp_ne_u16_e32 vcc, s21, v6
	v_mov_b32_e32 v8, 0xffff8000
	s_and_saveexec_b64 s[16:17], vcc
	s_cbranch_execz .LBB795_927
; %bb.924:                              ;   in Loop: Header=BB795_796 Depth=1
	v_and_b32_e32 v12, 0x7f, v6
	v_cmp_ne_u32_e32 vcc, s23, v12
	v_mov_b32_e32 v8, 0x7f80
	s_and_saveexec_b64 s[18:19], vcc
	s_cbranch_execz .LBB795_926
; %bb.925:                              ;   in Loop: Header=BB795_796 Depth=1
	v_and_b32_e32 v8, 7, v6
	v_ffbh_u32_e32 v20, v8
	v_min_u32_e32 v22, 32, v20
	v_subrev_u32_e32 v20, 28, v22
	v_lshlrev_b64 v[20:21], v20, v[6:7]
	v_lshrrev_b32_e32 v19, 3, v12
	v_sub_u32_e32 v6, 29, v22
	v_and_b32_e32 v20, 7, v20
	v_cmp_gt_u32_e32 vcc, 8, v12
	v_cndmask_b32_e32 v6, v19, v6, vcc
	v_cndmask_b32_e32 v8, v8, v20, vcc
	v_lshlrev_b32_e32 v12, 16, v4
	v_lshlrev_b32_e32 v8, 20, v8
	v_and_b32_e32 v12, 0x80000000, v12
	v_lshl_add_u32 v6, v6, 23, v10
	v_or3_b32 v6, v12, v6, v8
	v_lshrrev_b32_e32 v8, 16, v6
.LBB795_926:                            ;   in Loop: Header=BB795_796 Depth=1
	s_or_b64 exec, exec, s[18:19]
.LBB795_927:                            ;   in Loop: Header=BB795_796 Depth=1
	s_or_b64 exec, exec, s[16:17]
.LBB795_928:                            ;   in Loop: Header=BB795_796 Depth=1
	s_or_b64 exec, exec, s[14:15]
	v_lshrrev_b32_e32 v6, 16, v4
	v_cmp_ne_u16_sdwa s[16:17], v6, v9 src0_sel:BYTE_0 src1_sel:DWORD
	s_and_saveexec_b64 s[14:15], s[16:17]
	s_cbranch_execz .LBB795_934
; %bb.929:                              ;   in Loop: Header=BB795_796 Depth=1
	v_cmp_ne_u16_sdwa s[18:19], v6, s21 src0_sel:BYTE_0 src1_sel:DWORD
	v_mov_b32_e32 v18, 0xffff8000
	s_and_saveexec_b64 s[16:17], s[18:19]
	s_cbranch_execz .LBB795_933
; %bb.930:                              ;   in Loop: Header=BB795_796 Depth=1
	v_bfe_u32 v12, v4, 16, 7
	v_cmp_ne_u32_e32 vcc, s23, v12
	v_mov_b32_e32 v18, 0x7f80
	s_and_saveexec_b64 s[18:19], vcc
	s_cbranch_execz .LBB795_932
; %bb.931:                              ;   in Loop: Header=BB795_796 Depth=1
	v_and_b32_e32 v20, 7, v6
	v_ffbh_u32_e32 v18, v20
	v_min_u32_e32 v22, 32, v18
	v_subrev_u32_e32 v18, 28, v22
	v_lshlrev_b64 v[18:19], v18, v[6:7]
	v_lshrrev_b32_e32 v21, 3, v12
	v_sub_u32_e32 v19, 29, v22
	v_and_b32_e32 v18, 7, v18
	v_cmp_gt_u32_e32 vcc, 8, v12
	v_cndmask_b32_e32 v12, v21, v19, vcc
	v_cndmask_b32_e32 v18, v20, v18, vcc
	v_lshlrev_b32_e32 v6, 24, v6
	v_lshlrev_b32_e32 v18, 20, v18
	v_and_b32_e32 v6, 0x80000000, v6
	v_lshl_add_u32 v12, v12, 23, v10
	v_or3_b32 v6, v6, v12, v18
	v_lshrrev_b32_e32 v18, 16, v6
.LBB795_932:                            ;   in Loop: Header=BB795_796 Depth=1
	s_or_b64 exec, exec, s[18:19]
.LBB795_933:                            ;   in Loop: Header=BB795_796 Depth=1
	s_or_b64 exec, exec, s[16:17]
.LBB795_934:                            ;   in Loop: Header=BB795_796 Depth=1
	s_or_b64 exec, exec, s[14:15]
	v_cmp_lt_u32_e32 vcc, s25, v4
	v_mov_b32_e32 v12, 0
	v_mov_b32_e32 v19, 0
	s_and_saveexec_b64 s[14:15], vcc
	s_cbranch_execz .LBB795_940
; %bb.935:                              ;   in Loop: Header=BB795_796 Depth=1
	v_lshrrev_b32_e32 v6, 24, v4
	v_cmp_ne_u32_e32 vcc, s21, v6
	v_mov_b32_e32 v19, 0xffff8000
	s_and_saveexec_b64 s[16:17], vcc
	s_cbranch_execz .LBB795_939
; %bb.936:                              ;   in Loop: Header=BB795_796 Depth=1
	v_bfe_u32 v4, v4, 24, 7
	v_cmp_ne_u32_e32 vcc, s23, v4
	v_mov_b32_e32 v19, 0x7f80
	s_and_saveexec_b64 s[18:19], vcc
	s_cbranch_execz .LBB795_938
; %bb.937:                              ;   in Loop: Header=BB795_796 Depth=1
	v_and_b32_e32 v19, 7, v6
	v_ffbh_u32_e32 v20, v19
	v_min_u32_e32 v23, 32, v20
	v_subrev_u32_e32 v20, 28, v23
	v_lshlrev_b64 v[20:21], v20, v[6:7]
	v_lshrrev_b32_e32 v22, 3, v4
	v_sub_u32_e32 v21, 29, v23
	v_and_b32_e32 v20, 7, v20
	v_cmp_gt_u32_e32 vcc, 8, v4
	v_cndmask_b32_e32 v4, v22, v21, vcc
	v_cndmask_b32_e32 v19, v19, v20, vcc
	v_lshlrev_b32_e32 v6, 24, v6
	v_lshlrev_b32_e32 v19, 20, v19
	v_and_b32_e32 v6, 0x80000000, v6
	v_lshl_add_u32 v4, v4, 23, v10
	v_or3_b32 v4, v6, v4, v19
	v_lshrrev_b32_e32 v19, 16, v4
.LBB795_938:                            ;   in Loop: Header=BB795_796 Depth=1
	s_or_b64 exec, exec, s[18:19]
.LBB795_939:                            ;   in Loop: Header=BB795_796 Depth=1
	s_or_b64 exec, exec, s[16:17]
.LBB795_940:                            ;   in Loop: Header=BB795_796 Depth=1
	s_or_b64 exec, exec, s[14:15]
	buffer_load_dword v6, v11, s[0:3], 0 offen offset:24
	buffer_load_dword v4, v11, s[0:3], 0 offen offset:28
	v_perm_b32 v15, v17, v15, s28
	v_perm_b32 v14, v14, v13, s28
	;; [unrolled: 1-line block ×4, first 2 shown]
	v_mfma_f32_4x4x4bf16_1k a[0:3], v[2:3], v[14:15], a[0:3] cbsz:4 abid:4
	s_waitcnt vmcnt(1)
	v_cmp_ne_u16_sdwa s[16:17], v6, v9 src0_sel:BYTE_0 src1_sel:DWORD
	v_mfma_f32_4x4x4bf16_1k a[0:3], v[2:3], v[16:17], a[0:3] cbsz:4 abid:5
	s_and_saveexec_b64 s[14:15], s[16:17]
	s_cbranch_execz .LBB795_946
; %bb.941:                              ;   in Loop: Header=BB795_796 Depth=1
	v_cmp_ne_u16_sdwa s[18:19], v6, s21 src0_sel:BYTE_0 src1_sel:DWORD
	v_mov_b32_e32 v12, 0xffff8000
	s_and_saveexec_b64 s[16:17], s[18:19]
	s_cbranch_execz .LBB795_945
; %bb.942:                              ;   in Loop: Header=BB795_796 Depth=1
	v_and_b32_e32 v8, 0x7f, v6
	v_cmp_ne_u32_e32 vcc, s23, v8
	v_mov_b32_e32 v12, 0x7f80
	s_and_saveexec_b64 s[18:19], vcc
	s_cbranch_execz .LBB795_944
; %bb.943:                              ;   in Loop: Header=BB795_796 Depth=1
	v_and_b32_e32 v14, 7, v6
	v_ffbh_u32_e32 v12, v14
	v_min_u32_e32 v16, 32, v12
	v_subrev_u32_e32 v12, 28, v16
	v_lshlrev_b64 v[12:13], v12, v[6:7]
	v_lshrrev_b32_e32 v15, 3, v8
	v_sub_u32_e32 v13, 29, v16
	v_and_b32_e32 v12, 7, v12
	v_cmp_gt_u32_e32 vcc, 8, v8
	v_cndmask_b32_e32 v8, v15, v13, vcc
	v_cndmask_b32_e32 v12, v14, v12, vcc
	v_lshlrev_b32_e32 v13, 24, v6
	v_lshlrev_b32_e32 v12, 20, v12
	v_and_b32_e32 v13, 0x80000000, v13
	v_lshl_add_u32 v8, v8, 23, v10
	v_or3_b32 v8, v13, v8, v12
	v_lshrrev_b32_e32 v12, 16, v8
.LBB795_944:                            ;   in Loop: Header=BB795_796 Depth=1
	s_or_b64 exec, exec, s[18:19]
.LBB795_945:                            ;   in Loop: Header=BB795_796 Depth=1
	s_or_b64 exec, exec, s[16:17]
.LBB795_946:                            ;   in Loop: Header=BB795_796 Depth=1
	s_or_b64 exec, exec, s[14:15]
	v_lshrrev_b16_e32 v8, 8, v6
	v_cmp_ne_u16_e32 vcc, 0, v8
	v_mov_b32_e32 v15, 0
	v_mov_b32_e32 v14, 0
	s_and_saveexec_b64 s[14:15], vcc
	s_cbranch_execz .LBB795_952
; %bb.947:                              ;   in Loop: Header=BB795_796 Depth=1
	v_cmp_ne_u16_e32 vcc, s21, v8
	v_mov_b32_e32 v14, 0xffff8000
	s_and_saveexec_b64 s[16:17], vcc
	s_cbranch_execz .LBB795_951
; %bb.948:                              ;   in Loop: Header=BB795_796 Depth=1
	v_and_b32_e32 v13, 0x7f, v8
	v_cmp_ne_u32_e32 vcc, s23, v13
	v_mov_b32_e32 v14, 0x7f80
	s_and_saveexec_b64 s[18:19], vcc
	s_cbranch_execz .LBB795_950
; %bb.949:                              ;   in Loop: Header=BB795_796 Depth=1
	v_and_b32_e32 v14, 7, v8
	v_ffbh_u32_e32 v16, v14
	v_min_u32_e32 v19, 32, v16
	v_subrev_u32_e32 v16, 28, v19
	v_lshlrev_b64 v[16:17], v16, v[8:9]
	v_lshrrev_b32_e32 v18, 3, v13
	v_sub_u32_e32 v8, 29, v19
	v_and_b32_e32 v16, 7, v16
	v_cmp_gt_u32_e32 vcc, 8, v13
	v_cndmask_b32_e32 v8, v18, v8, vcc
	v_cndmask_b32_e32 v13, v14, v16, vcc
	v_lshlrev_b32_e32 v14, 16, v6
	v_lshlrev_b32_e32 v13, 20, v13
	v_and_b32_e32 v14, 0x80000000, v14
	v_lshl_add_u32 v8, v8, 23, v10
	v_or3_b32 v8, v14, v8, v13
	v_lshrrev_b32_e32 v14, 16, v8
.LBB795_950:                            ;   in Loop: Header=BB795_796 Depth=1
	s_or_b64 exec, exec, s[18:19]
.LBB795_951:                            ;   in Loop: Header=BB795_796 Depth=1
	s_or_b64 exec, exec, s[16:17]
.LBB795_952:                            ;   in Loop: Header=BB795_796 Depth=1
	s_or_b64 exec, exec, s[14:15]
	v_lshrrev_b32_e32 v8, 16, v6
	v_cmp_ne_u16_sdwa s[16:17], v8, v9 src0_sel:BYTE_0 src1_sel:DWORD
	s_and_saveexec_b64 s[14:15], s[16:17]
	s_cbranch_execz .LBB795_958
; %bb.953:                              ;   in Loop: Header=BB795_796 Depth=1
	v_cmp_ne_u16_sdwa s[18:19], v8, s21 src0_sel:BYTE_0 src1_sel:DWORD
	v_mov_b32_e32 v15, 0xffff8000
	s_and_saveexec_b64 s[16:17], s[18:19]
	s_cbranch_execz .LBB795_957
; %bb.954:                              ;   in Loop: Header=BB795_796 Depth=1
	v_bfe_u32 v13, v6, 16, 7
	v_cmp_ne_u32_e32 vcc, s23, v13
	v_mov_b32_e32 v15, 0x7f80
	s_and_saveexec_b64 s[18:19], vcc
	s_cbranch_execz .LBB795_956
; %bb.955:                              ;   in Loop: Header=BB795_796 Depth=1
	v_and_b32_e32 v15, 7, v8
	v_ffbh_u32_e32 v16, v15
	v_min_u32_e32 v19, 32, v16
	v_subrev_u32_e32 v16, 28, v19
	v_lshlrev_b64 v[16:17], v16, v[8:9]
	v_lshrrev_b32_e32 v18, 3, v13
	v_sub_u32_e32 v17, 29, v19
	v_and_b32_e32 v16, 7, v16
	v_cmp_gt_u32_e32 vcc, 8, v13
	v_cndmask_b32_e32 v13, v18, v17, vcc
	v_cndmask_b32_e32 v15, v15, v16, vcc
	v_lshlrev_b32_e32 v8, 24, v8
	v_lshlrev_b32_e32 v15, 20, v15
	v_and_b32_e32 v8, 0x80000000, v8
	v_lshl_add_u32 v13, v13, 23, v10
	v_or3_b32 v8, v8, v13, v15
	v_lshrrev_b32_e32 v15, 16, v8
.LBB795_956:                            ;   in Loop: Header=BB795_796 Depth=1
	s_or_b64 exec, exec, s[18:19]
.LBB795_957:                            ;   in Loop: Header=BB795_796 Depth=1
	s_or_b64 exec, exec, s[16:17]
.LBB795_958:                            ;   in Loop: Header=BB795_796 Depth=1
	s_or_b64 exec, exec, s[14:15]
	v_cmp_lt_u32_e32 vcc, s25, v6
	v_mov_b32_e32 v16, 0
	v_mov_b32_e32 v17, 0
	s_and_saveexec_b64 s[14:15], vcc
	s_cbranch_execz .LBB795_964
; %bb.959:                              ;   in Loop: Header=BB795_796 Depth=1
	v_lshrrev_b32_e32 v8, 24, v6
	v_cmp_ne_u32_e32 vcc, s21, v8
	v_mov_b32_e32 v17, 0xffff8000
	s_and_saveexec_b64 s[16:17], vcc
	s_cbranch_execz .LBB795_963
; %bb.960:                              ;   in Loop: Header=BB795_796 Depth=1
	v_bfe_u32 v6, v6, 24, 7
	v_cmp_ne_u32_e32 vcc, s23, v6
	v_mov_b32_e32 v17, 0x7f80
	s_and_saveexec_b64 s[18:19], vcc
	s_cbranch_execz .LBB795_962
; %bb.961:                              ;   in Loop: Header=BB795_796 Depth=1
	v_and_b32_e32 v13, 7, v8
	v_ffbh_u32_e32 v18, v13
	v_min_u32_e32 v20, 32, v18
	v_subrev_u32_e32 v18, 28, v20
	v_lshlrev_b64 v[18:19], v18, v[8:9]
	v_lshrrev_b32_e32 v17, 3, v6
	v_sub_u32_e32 v19, 29, v20
	v_and_b32_e32 v18, 7, v18
	v_cmp_gt_u32_e32 vcc, 8, v6
	v_cndmask_b32_e32 v6, v17, v19, vcc
	v_cndmask_b32_e32 v13, v13, v18, vcc
	v_lshlrev_b32_e32 v8, 24, v8
	v_lshlrev_b32_e32 v13, 20, v13
	v_and_b32_e32 v8, 0x80000000, v8
	v_lshl_add_u32 v6, v6, 23, v10
	v_or3_b32 v6, v8, v6, v13
	v_lshrrev_b32_e32 v17, 16, v6
.LBB795_962:                            ;   in Loop: Header=BB795_796 Depth=1
	s_or_b64 exec, exec, s[18:19]
.LBB795_963:                            ;   in Loop: Header=BB795_796 Depth=1
	s_or_b64 exec, exec, s[16:17]
.LBB795_964:                            ;   in Loop: Header=BB795_796 Depth=1
	s_or_b64 exec, exec, s[14:15]
	s_waitcnt vmcnt(0)
	v_cmp_ne_u16_sdwa s[16:17], v4, v9 src0_sel:BYTE_0 src1_sel:DWORD
	s_and_saveexec_b64 s[14:15], s[16:17]
	s_cbranch_execz .LBB795_970
; %bb.965:                              ;   in Loop: Header=BB795_796 Depth=1
	v_cmp_ne_u16_sdwa s[18:19], v4, s21 src0_sel:BYTE_0 src1_sel:DWORD
	v_mov_b32_e32 v16, 0xffff8000
	s_and_saveexec_b64 s[16:17], s[18:19]
	s_cbranch_execz .LBB795_969
; %bb.966:                              ;   in Loop: Header=BB795_796 Depth=1
	v_and_b32_e32 v6, 0x7f, v4
	v_cmp_ne_u32_e32 vcc, s23, v6
	v_mov_b32_e32 v16, 0x7f80
	s_and_saveexec_b64 s[18:19], vcc
	s_cbranch_execz .LBB795_968
; %bb.967:                              ;   in Loop: Header=BB795_796 Depth=1
	v_and_b32_e32 v8, 7, v4
	v_ffbh_u32_e32 v16, v8
	v_min_u32_e32 v16, 32, v16
	v_subrev_u32_e32 v18, 28, v16
	v_lshlrev_b64 v[18:19], v18, v[4:5]
	v_lshrrev_b32_e32 v13, 3, v6
	v_sub_u32_e32 v16, 29, v16
	v_and_b32_e32 v18, 7, v18
	v_cmp_gt_u32_e32 vcc, 8, v6
	v_cndmask_b32_e32 v6, v13, v16, vcc
	v_cndmask_b32_e32 v8, v8, v18, vcc
	v_lshlrev_b32_e32 v13, 24, v4
	v_lshlrev_b32_e32 v8, 20, v8
	v_and_b32_e32 v13, 0x80000000, v13
	v_lshl_add_u32 v6, v6, 23, v10
	v_or3_b32 v6, v13, v6, v8
	v_lshrrev_b32_e32 v16, 16, v6
.LBB795_968:                            ;   in Loop: Header=BB795_796 Depth=1
	s_or_b64 exec, exec, s[18:19]
.LBB795_969:                            ;   in Loop: Header=BB795_796 Depth=1
	s_or_b64 exec, exec, s[16:17]
.LBB795_970:                            ;   in Loop: Header=BB795_796 Depth=1
	s_or_b64 exec, exec, s[14:15]
	v_lshrrev_b16_e32 v6, 8, v4
	v_cmp_ne_u16_e32 vcc, 0, v6
	v_mov_b32_e32 v18, 0
	v_mov_b32_e32 v8, 0
	s_and_saveexec_b64 s[14:15], vcc
	s_cbranch_execz .LBB795_976
; %bb.971:                              ;   in Loop: Header=BB795_796 Depth=1
	v_cmp_ne_u16_e32 vcc, s21, v6
	v_mov_b32_e32 v8, 0xffff8000
	s_and_saveexec_b64 s[16:17], vcc
	s_cbranch_execz .LBB795_975
; %bb.972:                              ;   in Loop: Header=BB795_796 Depth=1
	v_and_b32_e32 v13, 0x7f, v6
	v_cmp_ne_u32_e32 vcc, s23, v13
	v_mov_b32_e32 v8, 0x7f80
	s_and_saveexec_b64 s[18:19], vcc
	s_cbranch_execz .LBB795_974
; %bb.973:                              ;   in Loop: Header=BB795_796 Depth=1
	v_and_b32_e32 v8, 7, v6
	v_ffbh_u32_e32 v20, v8
	v_min_u32_e32 v22, 32, v20
	v_subrev_u32_e32 v20, 28, v22
	v_lshlrev_b64 v[20:21], v20, v[6:7]
	v_lshrrev_b32_e32 v19, 3, v13
	v_sub_u32_e32 v6, 29, v22
	v_and_b32_e32 v20, 7, v20
	v_cmp_gt_u32_e32 vcc, 8, v13
	v_cndmask_b32_e32 v6, v19, v6, vcc
	v_cndmask_b32_e32 v8, v8, v20, vcc
	v_lshlrev_b32_e32 v13, 16, v4
	v_lshlrev_b32_e32 v8, 20, v8
	v_and_b32_e32 v13, 0x80000000, v13
	v_lshl_add_u32 v6, v6, 23, v10
	v_or3_b32 v6, v13, v6, v8
	v_lshrrev_b32_e32 v8, 16, v6
.LBB795_974:                            ;   in Loop: Header=BB795_796 Depth=1
	s_or_b64 exec, exec, s[18:19]
.LBB795_975:                            ;   in Loop: Header=BB795_796 Depth=1
	s_or_b64 exec, exec, s[16:17]
.LBB795_976:                            ;   in Loop: Header=BB795_796 Depth=1
	s_or_b64 exec, exec, s[14:15]
	v_lshrrev_b32_e32 v6, 16, v4
	v_cmp_ne_u16_sdwa s[16:17], v6, v9 src0_sel:BYTE_0 src1_sel:DWORD
	s_and_saveexec_b64 s[14:15], s[16:17]
	s_cbranch_execz .LBB795_982
; %bb.977:                              ;   in Loop: Header=BB795_796 Depth=1
	v_cmp_ne_u16_sdwa s[18:19], v6, s21 src0_sel:BYTE_0 src1_sel:DWORD
	v_mov_b32_e32 v18, 0xffff8000
	s_and_saveexec_b64 s[16:17], s[18:19]
	s_cbranch_execz .LBB795_981
; %bb.978:                              ;   in Loop: Header=BB795_796 Depth=1
	v_bfe_u32 v13, v4, 16, 7
	v_cmp_ne_u32_e32 vcc, s23, v13
	v_mov_b32_e32 v18, 0x7f80
	s_and_saveexec_b64 s[18:19], vcc
	s_cbranch_execz .LBB795_980
; %bb.979:                              ;   in Loop: Header=BB795_796 Depth=1
	v_and_b32_e32 v20, 7, v6
	v_ffbh_u32_e32 v18, v20
	v_min_u32_e32 v22, 32, v18
	v_subrev_u32_e32 v18, 28, v22
	v_lshlrev_b64 v[18:19], v18, v[6:7]
	v_lshrrev_b32_e32 v21, 3, v13
	v_sub_u32_e32 v19, 29, v22
	v_and_b32_e32 v18, 7, v18
	v_cmp_gt_u32_e32 vcc, 8, v13
	v_cndmask_b32_e32 v13, v21, v19, vcc
	v_cndmask_b32_e32 v18, v20, v18, vcc
	v_lshlrev_b32_e32 v6, 24, v6
	v_lshlrev_b32_e32 v18, 20, v18
	v_and_b32_e32 v6, 0x80000000, v6
	v_lshl_add_u32 v13, v13, 23, v10
	v_or3_b32 v6, v6, v13, v18
	v_lshrrev_b32_e32 v18, 16, v6
.LBB795_980:                            ;   in Loop: Header=BB795_796 Depth=1
	s_or_b64 exec, exec, s[18:19]
.LBB795_981:                            ;   in Loop: Header=BB795_796 Depth=1
	s_or_b64 exec, exec, s[16:17]
.LBB795_982:                            ;   in Loop: Header=BB795_796 Depth=1
	s_or_b64 exec, exec, s[14:15]
	v_cmp_lt_u32_e32 vcc, s25, v4
	v_mov_b32_e32 v13, 0
	v_mov_b32_e32 v19, 0
	s_and_saveexec_b64 s[14:15], vcc
	s_cbranch_execz .LBB795_988
; %bb.983:                              ;   in Loop: Header=BB795_796 Depth=1
	v_lshrrev_b32_e32 v6, 24, v4
	v_cmp_ne_u32_e32 vcc, s21, v6
	v_mov_b32_e32 v19, 0xffff8000
	s_and_saveexec_b64 s[16:17], vcc
	s_cbranch_execz .LBB795_987
; %bb.984:                              ;   in Loop: Header=BB795_796 Depth=1
	v_bfe_u32 v4, v4, 24, 7
	v_cmp_ne_u32_e32 vcc, s23, v4
	v_mov_b32_e32 v19, 0x7f80
	s_and_saveexec_b64 s[18:19], vcc
	s_cbranch_execz .LBB795_986
; %bb.985:                              ;   in Loop: Header=BB795_796 Depth=1
	v_and_b32_e32 v19, 7, v6
	v_ffbh_u32_e32 v20, v19
	v_min_u32_e32 v23, 32, v20
	v_subrev_u32_e32 v20, 28, v23
	v_lshlrev_b64 v[20:21], v20, v[6:7]
	v_lshrrev_b32_e32 v22, 3, v4
	v_sub_u32_e32 v21, 29, v23
	v_and_b32_e32 v20, 7, v20
	v_cmp_gt_u32_e32 vcc, 8, v4
	v_cndmask_b32_e32 v4, v22, v21, vcc
	v_cndmask_b32_e32 v19, v19, v20, vcc
	v_lshlrev_b32_e32 v6, 24, v6
	v_lshlrev_b32_e32 v19, 20, v19
	v_and_b32_e32 v6, 0x80000000, v6
	v_lshl_add_u32 v4, v4, 23, v10
	v_or3_b32 v4, v6, v4, v19
	v_lshrrev_b32_e32 v19, 16, v4
.LBB795_986:                            ;   in Loop: Header=BB795_796 Depth=1
	s_or_b64 exec, exec, s[18:19]
.LBB795_987:                            ;   in Loop: Header=BB795_796 Depth=1
	s_or_b64 exec, exec, s[16:17]
.LBB795_988:                            ;   in Loop: Header=BB795_796 Depth=1
	s_or_b64 exec, exec, s[14:15]
	buffer_load_dword v6, v11, s[0:3], 0 offen offset:32
	buffer_load_dword v4, v11, s[0:3], 0 offen offset:36
	v_perm_b32 v15, v17, v15, s28
	v_perm_b32 v14, v14, v12, s28
	;; [unrolled: 1-line block ×4, first 2 shown]
	v_mfma_f32_4x4x4bf16_1k a[0:3], v[2:3], v[14:15], a[0:3] cbsz:4 abid:6
	s_waitcnt vmcnt(1)
	v_cmp_ne_u16_sdwa s[16:17], v6, v9 src0_sel:BYTE_0 src1_sel:DWORD
	v_mfma_f32_4x4x4bf16_1k a[0:3], v[2:3], v[16:17], a[0:3] cbsz:4 abid:7
	s_and_saveexec_b64 s[14:15], s[16:17]
	s_cbranch_execz .LBB795_994
; %bb.989:                              ;   in Loop: Header=BB795_796 Depth=1
	v_cmp_ne_u16_sdwa s[18:19], v6, s21 src0_sel:BYTE_0 src1_sel:DWORD
	v_mov_b32_e32 v13, 0xffff8000
	s_and_saveexec_b64 s[16:17], s[18:19]
	s_cbranch_execz .LBB795_993
; %bb.990:                              ;   in Loop: Header=BB795_796 Depth=1
	v_and_b32_e32 v8, 0x7f, v6
	v_cmp_ne_u32_e32 vcc, s23, v8
	v_mov_b32_e32 v13, 0x7f80
	s_and_saveexec_b64 s[18:19], vcc
	s_cbranch_execz .LBB795_992
; %bb.991:                              ;   in Loop: Header=BB795_796 Depth=1
	v_and_b32_e32 v14, 7, v6
	v_ffbh_u32_e32 v12, v14
	v_min_u32_e32 v16, 32, v12
	v_subrev_u32_e32 v12, 28, v16
	v_lshlrev_b64 v[12:13], v12, v[6:7]
	v_lshrrev_b32_e32 v15, 3, v8
	v_sub_u32_e32 v13, 29, v16
	v_and_b32_e32 v12, 7, v12
	v_cmp_gt_u32_e32 vcc, 8, v8
	v_cndmask_b32_e32 v8, v15, v13, vcc
	v_cndmask_b32_e32 v12, v14, v12, vcc
	v_lshlrev_b32_e32 v13, 24, v6
	v_lshlrev_b32_e32 v12, 20, v12
	v_and_b32_e32 v13, 0x80000000, v13
	v_lshl_add_u32 v8, v8, 23, v10
	v_or3_b32 v8, v13, v8, v12
	v_lshrrev_b32_e32 v13, 16, v8
.LBB795_992:                            ;   in Loop: Header=BB795_796 Depth=1
	s_or_b64 exec, exec, s[18:19]
.LBB795_993:                            ;   in Loop: Header=BB795_796 Depth=1
	s_or_b64 exec, exec, s[16:17]
.LBB795_994:                            ;   in Loop: Header=BB795_796 Depth=1
	s_or_b64 exec, exec, s[14:15]
	v_lshrrev_b16_e32 v8, 8, v6
	v_cmp_ne_u16_e32 vcc, 0, v8
	v_mov_b32_e32 v15, 0
	v_mov_b32_e32 v12, 0
	s_and_saveexec_b64 s[14:15], vcc
	s_cbranch_execz .LBB795_1000
; %bb.995:                              ;   in Loop: Header=BB795_796 Depth=1
	v_cmp_ne_u16_e32 vcc, s21, v8
	v_mov_b32_e32 v12, 0xffff8000
	s_and_saveexec_b64 s[16:17], vcc
	s_cbranch_execz .LBB795_999
; %bb.996:                              ;   in Loop: Header=BB795_796 Depth=1
	v_and_b32_e32 v14, 0x7f, v8
	v_cmp_ne_u32_e32 vcc, s23, v14
	v_mov_b32_e32 v12, 0x7f80
	s_and_saveexec_b64 s[18:19], vcc
	s_cbranch_execz .LBB795_998
; %bb.997:                              ;   in Loop: Header=BB795_796 Depth=1
	v_and_b32_e32 v12, 7, v8
	v_ffbh_u32_e32 v16, v12
	v_min_u32_e32 v19, 32, v16
	v_subrev_u32_e32 v16, 28, v19
	v_lshlrev_b64 v[16:17], v16, v[8:9]
	v_lshrrev_b32_e32 v18, 3, v14
	v_sub_u32_e32 v8, 29, v19
	v_and_b32_e32 v16, 7, v16
	v_cmp_gt_u32_e32 vcc, 8, v14
	v_cndmask_b32_e32 v8, v18, v8, vcc
	v_cndmask_b32_e32 v12, v12, v16, vcc
	v_lshlrev_b32_e32 v14, 16, v6
	v_lshlrev_b32_e32 v12, 20, v12
	v_and_b32_e32 v14, 0x80000000, v14
	v_lshl_add_u32 v8, v8, 23, v10
	v_or3_b32 v8, v14, v8, v12
	v_lshrrev_b32_e32 v12, 16, v8
.LBB795_998:                            ;   in Loop: Header=BB795_796 Depth=1
	s_or_b64 exec, exec, s[18:19]
.LBB795_999:                            ;   in Loop: Header=BB795_796 Depth=1
	s_or_b64 exec, exec, s[16:17]
.LBB795_1000:                           ;   in Loop: Header=BB795_796 Depth=1
	s_or_b64 exec, exec, s[14:15]
	v_lshrrev_b32_e32 v8, 16, v6
	v_cmp_ne_u16_sdwa s[16:17], v8, v9 src0_sel:BYTE_0 src1_sel:DWORD
	s_and_saveexec_b64 s[14:15], s[16:17]
	s_cbranch_execz .LBB795_1006
; %bb.1001:                             ;   in Loop: Header=BB795_796 Depth=1
	v_cmp_ne_u16_sdwa s[18:19], v8, s21 src0_sel:BYTE_0 src1_sel:DWORD
	v_mov_b32_e32 v15, 0xffff8000
	s_and_saveexec_b64 s[16:17], s[18:19]
	s_cbranch_execz .LBB795_1005
; %bb.1002:                             ;   in Loop: Header=BB795_796 Depth=1
	v_bfe_u32 v14, v6, 16, 7
	v_cmp_ne_u32_e32 vcc, s23, v14
	v_mov_b32_e32 v15, 0x7f80
	s_and_saveexec_b64 s[18:19], vcc
	s_cbranch_execz .LBB795_1004
; %bb.1003:                             ;   in Loop: Header=BB795_796 Depth=1
	v_and_b32_e32 v15, 7, v8
	v_ffbh_u32_e32 v16, v15
	v_min_u32_e32 v19, 32, v16
	v_subrev_u32_e32 v16, 28, v19
	v_lshlrev_b64 v[16:17], v16, v[8:9]
	v_lshrrev_b32_e32 v18, 3, v14
	v_sub_u32_e32 v17, 29, v19
	v_and_b32_e32 v16, 7, v16
	v_cmp_gt_u32_e32 vcc, 8, v14
	v_cndmask_b32_e32 v14, v18, v17, vcc
	v_cndmask_b32_e32 v15, v15, v16, vcc
	v_lshlrev_b32_e32 v8, 24, v8
	v_lshlrev_b32_e32 v15, 20, v15
	v_and_b32_e32 v8, 0x80000000, v8
	v_lshl_add_u32 v14, v14, 23, v10
	v_or3_b32 v8, v8, v14, v15
	v_lshrrev_b32_e32 v15, 16, v8
.LBB795_1004:                           ;   in Loop: Header=BB795_796 Depth=1
	s_or_b64 exec, exec, s[18:19]
.LBB795_1005:                           ;   in Loop: Header=BB795_796 Depth=1
	s_or_b64 exec, exec, s[16:17]
.LBB795_1006:                           ;   in Loop: Header=BB795_796 Depth=1
	s_or_b64 exec, exec, s[14:15]
	v_cmp_lt_u32_e32 vcc, s25, v6
	v_mov_b32_e32 v16, 0
	v_mov_b32_e32 v17, 0
	s_and_saveexec_b64 s[14:15], vcc
	s_cbranch_execz .LBB795_1012
; %bb.1007:                             ;   in Loop: Header=BB795_796 Depth=1
	v_lshrrev_b32_e32 v8, 24, v6
	v_cmp_ne_u32_e32 vcc, s21, v8
	v_mov_b32_e32 v17, 0xffff8000
	s_and_saveexec_b64 s[16:17], vcc
	s_cbranch_execz .LBB795_1011
; %bb.1008:                             ;   in Loop: Header=BB795_796 Depth=1
	v_bfe_u32 v6, v6, 24, 7
	v_cmp_ne_u32_e32 vcc, s23, v6
	v_mov_b32_e32 v17, 0x7f80
	s_and_saveexec_b64 s[18:19], vcc
	s_cbranch_execz .LBB795_1010
; %bb.1009:                             ;   in Loop: Header=BB795_796 Depth=1
	v_and_b32_e32 v14, 7, v8
	v_ffbh_u32_e32 v18, v14
	v_min_u32_e32 v20, 32, v18
	v_subrev_u32_e32 v18, 28, v20
	v_lshlrev_b64 v[18:19], v18, v[8:9]
	v_lshrrev_b32_e32 v17, 3, v6
	v_sub_u32_e32 v19, 29, v20
	v_and_b32_e32 v18, 7, v18
	v_cmp_gt_u32_e32 vcc, 8, v6
	v_cndmask_b32_e32 v6, v17, v19, vcc
	v_cndmask_b32_e32 v14, v14, v18, vcc
	v_lshlrev_b32_e32 v8, 24, v8
	v_lshlrev_b32_e32 v14, 20, v14
	v_and_b32_e32 v8, 0x80000000, v8
	v_lshl_add_u32 v6, v6, 23, v10
	v_or3_b32 v6, v8, v6, v14
	v_lshrrev_b32_e32 v17, 16, v6
.LBB795_1010:                           ;   in Loop: Header=BB795_796 Depth=1
	s_or_b64 exec, exec, s[18:19]
.LBB795_1011:                           ;   in Loop: Header=BB795_796 Depth=1
	s_or_b64 exec, exec, s[16:17]
.LBB795_1012:                           ;   in Loop: Header=BB795_796 Depth=1
	s_or_b64 exec, exec, s[14:15]
	s_waitcnt vmcnt(0)
	v_cmp_ne_u16_sdwa s[16:17], v4, v9 src0_sel:BYTE_0 src1_sel:DWORD
	s_and_saveexec_b64 s[14:15], s[16:17]
	s_cbranch_execz .LBB795_1018
; %bb.1013:                             ;   in Loop: Header=BB795_796 Depth=1
	v_cmp_ne_u16_sdwa s[18:19], v4, s21 src0_sel:BYTE_0 src1_sel:DWORD
	v_mov_b32_e32 v16, 0xffff8000
	s_and_saveexec_b64 s[16:17], s[18:19]
	s_cbranch_execz .LBB795_1017
; %bb.1014:                             ;   in Loop: Header=BB795_796 Depth=1
	v_and_b32_e32 v6, 0x7f, v4
	v_cmp_ne_u32_e32 vcc, s23, v6
	v_mov_b32_e32 v16, 0x7f80
	s_and_saveexec_b64 s[18:19], vcc
	s_cbranch_execz .LBB795_1016
; %bb.1015:                             ;   in Loop: Header=BB795_796 Depth=1
	v_and_b32_e32 v8, 7, v4
	v_ffbh_u32_e32 v16, v8
	v_min_u32_e32 v16, 32, v16
	v_subrev_u32_e32 v18, 28, v16
	v_lshlrev_b64 v[18:19], v18, v[4:5]
	v_lshrrev_b32_e32 v14, 3, v6
	v_sub_u32_e32 v16, 29, v16
	v_and_b32_e32 v18, 7, v18
	v_cmp_gt_u32_e32 vcc, 8, v6
	v_cndmask_b32_e32 v6, v14, v16, vcc
	v_cndmask_b32_e32 v8, v8, v18, vcc
	v_lshlrev_b32_e32 v14, 24, v4
	v_lshlrev_b32_e32 v8, 20, v8
	v_and_b32_e32 v14, 0x80000000, v14
	v_lshl_add_u32 v6, v6, 23, v10
	v_or3_b32 v6, v14, v6, v8
	v_lshrrev_b32_e32 v16, 16, v6
.LBB795_1016:                           ;   in Loop: Header=BB795_796 Depth=1
	s_or_b64 exec, exec, s[18:19]
.LBB795_1017:                           ;   in Loop: Header=BB795_796 Depth=1
	s_or_b64 exec, exec, s[16:17]
.LBB795_1018:                           ;   in Loop: Header=BB795_796 Depth=1
	s_or_b64 exec, exec, s[14:15]
	v_lshrrev_b16_e32 v6, 8, v4
	v_cmp_ne_u16_e32 vcc, 0, v6
	v_mov_b32_e32 v18, 0
	v_mov_b32_e32 v8, 0
	s_and_saveexec_b64 s[14:15], vcc
	s_cbranch_execz .LBB795_1024
; %bb.1019:                             ;   in Loop: Header=BB795_796 Depth=1
	v_cmp_ne_u16_e32 vcc, s21, v6
	v_mov_b32_e32 v8, 0xffff8000
	s_and_saveexec_b64 s[16:17], vcc
	s_cbranch_execz .LBB795_1023
; %bb.1020:                             ;   in Loop: Header=BB795_796 Depth=1
	v_and_b32_e32 v14, 0x7f, v6
	v_cmp_ne_u32_e32 vcc, s23, v14
	v_mov_b32_e32 v8, 0x7f80
	s_and_saveexec_b64 s[18:19], vcc
	s_cbranch_execz .LBB795_1022
; %bb.1021:                             ;   in Loop: Header=BB795_796 Depth=1
	v_and_b32_e32 v8, 7, v6
	v_ffbh_u32_e32 v20, v8
	v_min_u32_e32 v22, 32, v20
	v_subrev_u32_e32 v20, 28, v22
	v_lshlrev_b64 v[20:21], v20, v[6:7]
	v_lshrrev_b32_e32 v19, 3, v14
	v_sub_u32_e32 v6, 29, v22
	v_and_b32_e32 v20, 7, v20
	v_cmp_gt_u32_e32 vcc, 8, v14
	v_cndmask_b32_e32 v6, v19, v6, vcc
	v_cndmask_b32_e32 v8, v8, v20, vcc
	v_lshlrev_b32_e32 v14, 16, v4
	v_lshlrev_b32_e32 v8, 20, v8
	v_and_b32_e32 v14, 0x80000000, v14
	v_lshl_add_u32 v6, v6, 23, v10
	v_or3_b32 v6, v14, v6, v8
	v_lshrrev_b32_e32 v8, 16, v6
.LBB795_1022:                           ;   in Loop: Header=BB795_796 Depth=1
	s_or_b64 exec, exec, s[18:19]
.LBB795_1023:                           ;   in Loop: Header=BB795_796 Depth=1
	s_or_b64 exec, exec, s[16:17]
.LBB795_1024:                           ;   in Loop: Header=BB795_796 Depth=1
	s_or_b64 exec, exec, s[14:15]
	v_lshrrev_b32_e32 v6, 16, v4
	v_cmp_ne_u16_sdwa s[16:17], v6, v9 src0_sel:BYTE_0 src1_sel:DWORD
	s_and_saveexec_b64 s[14:15], s[16:17]
	s_cbranch_execz .LBB795_1030
; %bb.1025:                             ;   in Loop: Header=BB795_796 Depth=1
	v_cmp_ne_u16_sdwa s[18:19], v6, s21 src0_sel:BYTE_0 src1_sel:DWORD
	v_mov_b32_e32 v18, 0xffff8000
	s_and_saveexec_b64 s[16:17], s[18:19]
	s_cbranch_execz .LBB795_1029
; %bb.1026:                             ;   in Loop: Header=BB795_796 Depth=1
	v_bfe_u32 v14, v4, 16, 7
	v_cmp_ne_u32_e32 vcc, s23, v14
	v_mov_b32_e32 v18, 0x7f80
	s_and_saveexec_b64 s[18:19], vcc
	s_cbranch_execz .LBB795_1028
; %bb.1027:                             ;   in Loop: Header=BB795_796 Depth=1
	v_and_b32_e32 v20, 7, v6
	v_ffbh_u32_e32 v18, v20
	v_min_u32_e32 v22, 32, v18
	v_subrev_u32_e32 v18, 28, v22
	v_lshlrev_b64 v[18:19], v18, v[6:7]
	v_lshrrev_b32_e32 v21, 3, v14
	v_sub_u32_e32 v19, 29, v22
	v_and_b32_e32 v18, 7, v18
	v_cmp_gt_u32_e32 vcc, 8, v14
	v_cndmask_b32_e32 v14, v21, v19, vcc
	v_cndmask_b32_e32 v18, v20, v18, vcc
	v_lshlrev_b32_e32 v6, 24, v6
	v_lshlrev_b32_e32 v18, 20, v18
	v_and_b32_e32 v6, 0x80000000, v6
	v_lshl_add_u32 v14, v14, 23, v10
	v_or3_b32 v6, v6, v14, v18
	v_lshrrev_b32_e32 v18, 16, v6
.LBB795_1028:                           ;   in Loop: Header=BB795_796 Depth=1
	s_or_b64 exec, exec, s[18:19]
.LBB795_1029:                           ;   in Loop: Header=BB795_796 Depth=1
	s_or_b64 exec, exec, s[16:17]
.LBB795_1030:                           ;   in Loop: Header=BB795_796 Depth=1
	s_or_b64 exec, exec, s[14:15]
	v_cmp_lt_u32_e32 vcc, s25, v4
	v_mov_b32_e32 v14, 0
	v_mov_b32_e32 v19, 0
	s_and_saveexec_b64 s[14:15], vcc
	s_cbranch_execz .LBB795_1036
; %bb.1031:                             ;   in Loop: Header=BB795_796 Depth=1
	v_lshrrev_b32_e32 v6, 24, v4
	v_cmp_ne_u32_e32 vcc, s21, v6
	v_mov_b32_e32 v19, 0xffff8000
	s_and_saveexec_b64 s[16:17], vcc
	s_cbranch_execz .LBB795_1035
; %bb.1032:                             ;   in Loop: Header=BB795_796 Depth=1
	v_bfe_u32 v4, v4, 24, 7
	v_cmp_ne_u32_e32 vcc, s23, v4
	v_mov_b32_e32 v19, 0x7f80
	s_and_saveexec_b64 s[18:19], vcc
	s_cbranch_execz .LBB795_1034
; %bb.1033:                             ;   in Loop: Header=BB795_796 Depth=1
	v_and_b32_e32 v19, 7, v6
	v_ffbh_u32_e32 v20, v19
	v_min_u32_e32 v23, 32, v20
	v_subrev_u32_e32 v20, 28, v23
	v_lshlrev_b64 v[20:21], v20, v[6:7]
	v_lshrrev_b32_e32 v22, 3, v4
	v_sub_u32_e32 v21, 29, v23
	v_and_b32_e32 v20, 7, v20
	v_cmp_gt_u32_e32 vcc, 8, v4
	v_cndmask_b32_e32 v4, v22, v21, vcc
	v_cndmask_b32_e32 v19, v19, v20, vcc
	v_lshlrev_b32_e32 v6, 24, v6
	v_lshlrev_b32_e32 v19, 20, v19
	v_and_b32_e32 v6, 0x80000000, v6
	v_lshl_add_u32 v4, v4, 23, v10
	v_or3_b32 v4, v6, v4, v19
	v_lshrrev_b32_e32 v19, 16, v4
.LBB795_1034:                           ;   in Loop: Header=BB795_796 Depth=1
	s_or_b64 exec, exec, s[18:19]
.LBB795_1035:                           ;   in Loop: Header=BB795_796 Depth=1
	s_or_b64 exec, exec, s[16:17]
.LBB795_1036:                           ;   in Loop: Header=BB795_796 Depth=1
	s_or_b64 exec, exec, s[14:15]
	buffer_load_dword v6, v11, s[0:3], 0 offen offset:40
	buffer_load_dword v4, v11, s[0:3], 0 offen offset:44
	v_perm_b32 v21, v17, v15, s28
	v_perm_b32 v20, v12, v13, s28
	;; [unrolled: 1-line block ×4, first 2 shown]
	v_mfma_f32_4x4x4bf16_1k a[0:3], v[2:3], v[20:21], a[0:3] cbsz:4 abid:8
	s_waitcnt vmcnt(1)
	v_cmp_ne_u16_sdwa s[16:17], v6, v9 src0_sel:BYTE_0 src1_sel:DWORD
	v_mfma_f32_4x4x4bf16_1k a[0:3], v[2:3], v[12:13], a[0:3] cbsz:4 abid:9
	s_and_saveexec_b64 s[14:15], s[16:17]
	s_cbranch_execz .LBB795_1042
; %bb.1037:                             ;   in Loop: Header=BB795_796 Depth=1
	v_cmp_ne_u16_sdwa s[18:19], v6, s21 src0_sel:BYTE_0 src1_sel:DWORD
	v_mov_b32_e32 v14, 0xffff8000
	s_and_saveexec_b64 s[16:17], s[18:19]
	s_cbranch_execz .LBB795_1041
; %bb.1038:                             ;   in Loop: Header=BB795_796 Depth=1
	v_and_b32_e32 v8, 0x7f, v6
	v_cmp_ne_u32_e32 vcc, s23, v8
	v_mov_b32_e32 v14, 0x7f80
	s_and_saveexec_b64 s[18:19], vcc
	s_cbranch_execz .LBB795_1040
; %bb.1039:                             ;   in Loop: Header=BB795_796 Depth=1
	v_and_b32_e32 v14, 7, v6
	v_ffbh_u32_e32 v12, v14
	v_min_u32_e32 v16, 32, v12
	v_subrev_u32_e32 v12, 28, v16
	v_lshlrev_b64 v[12:13], v12, v[6:7]
	v_lshrrev_b32_e32 v15, 3, v8
	v_sub_u32_e32 v13, 29, v16
	v_and_b32_e32 v12, 7, v12
	v_cmp_gt_u32_e32 vcc, 8, v8
	v_cndmask_b32_e32 v8, v15, v13, vcc
	v_cndmask_b32_e32 v12, v14, v12, vcc
	v_lshlrev_b32_e32 v13, 24, v6
	v_lshlrev_b32_e32 v12, 20, v12
	v_and_b32_e32 v13, 0x80000000, v13
	v_lshl_add_u32 v8, v8, 23, v10
	v_or3_b32 v8, v13, v8, v12
	v_lshrrev_b32_e32 v14, 16, v8
.LBB795_1040:                           ;   in Loop: Header=BB795_796 Depth=1
	s_or_b64 exec, exec, s[18:19]
.LBB795_1041:                           ;   in Loop: Header=BB795_796 Depth=1
	s_or_b64 exec, exec, s[16:17]
.LBB795_1042:                           ;   in Loop: Header=BB795_796 Depth=1
	s_or_b64 exec, exec, s[14:15]
	v_lshrrev_b16_e32 v8, 8, v6
	v_cmp_ne_u16_e32 vcc, 0, v8
	v_mov_b32_e32 v15, 0
	v_mov_b32_e32 v13, 0
	s_and_saveexec_b64 s[14:15], vcc
	s_cbranch_execz .LBB795_1048
; %bb.1043:                             ;   in Loop: Header=BB795_796 Depth=1
	v_cmp_ne_u16_e32 vcc, s21, v8
	v_mov_b32_e32 v13, 0xffff8000
	s_and_saveexec_b64 s[16:17], vcc
	s_cbranch_execz .LBB795_1047
; %bb.1044:                             ;   in Loop: Header=BB795_796 Depth=1
	v_and_b32_e32 v12, 0x7f, v8
	v_cmp_ne_u32_e32 vcc, s23, v12
	v_mov_b32_e32 v13, 0x7f80
	s_and_saveexec_b64 s[18:19], vcc
	s_cbranch_execz .LBB795_1046
; %bb.1045:                             ;   in Loop: Header=BB795_796 Depth=1
	v_and_b32_e32 v13, 7, v8
	v_ffbh_u32_e32 v16, v13
	v_min_u32_e32 v19, 32, v16
	v_subrev_u32_e32 v16, 28, v19
	v_lshlrev_b64 v[16:17], v16, v[8:9]
	v_lshrrev_b32_e32 v18, 3, v12
	v_sub_u32_e32 v8, 29, v19
	v_and_b32_e32 v16, 7, v16
	v_cmp_gt_u32_e32 vcc, 8, v12
	v_cndmask_b32_e32 v8, v18, v8, vcc
	v_cndmask_b32_e32 v12, v13, v16, vcc
	v_lshlrev_b32_e32 v13, 16, v6
	v_lshlrev_b32_e32 v12, 20, v12
	v_and_b32_e32 v13, 0x80000000, v13
	v_lshl_add_u32 v8, v8, 23, v10
	v_or3_b32 v8, v13, v8, v12
	v_lshrrev_b32_e32 v13, 16, v8
.LBB795_1046:                           ;   in Loop: Header=BB795_796 Depth=1
	s_or_b64 exec, exec, s[18:19]
.LBB795_1047:                           ;   in Loop: Header=BB795_796 Depth=1
	s_or_b64 exec, exec, s[16:17]
.LBB795_1048:                           ;   in Loop: Header=BB795_796 Depth=1
	s_or_b64 exec, exec, s[14:15]
	v_lshrrev_b32_e32 v8, 16, v6
	v_cmp_ne_u16_sdwa s[16:17], v8, v9 src0_sel:BYTE_0 src1_sel:DWORD
	s_and_saveexec_b64 s[14:15], s[16:17]
	s_cbranch_execz .LBB795_1054
; %bb.1049:                             ;   in Loop: Header=BB795_796 Depth=1
	v_cmp_ne_u16_sdwa s[18:19], v8, s21 src0_sel:BYTE_0 src1_sel:DWORD
	v_mov_b32_e32 v15, 0xffff8000
	s_and_saveexec_b64 s[16:17], s[18:19]
	s_cbranch_execz .LBB795_1053
; %bb.1050:                             ;   in Loop: Header=BB795_796 Depth=1
	v_bfe_u32 v12, v6, 16, 7
	v_cmp_ne_u32_e32 vcc, s23, v12
	v_mov_b32_e32 v15, 0x7f80
	s_and_saveexec_b64 s[18:19], vcc
	s_cbranch_execz .LBB795_1052
; %bb.1051:                             ;   in Loop: Header=BB795_796 Depth=1
	v_and_b32_e32 v15, 7, v8
	v_ffbh_u32_e32 v16, v15
	v_min_u32_e32 v19, 32, v16
	v_subrev_u32_e32 v16, 28, v19
	v_lshlrev_b64 v[16:17], v16, v[8:9]
	v_lshrrev_b32_e32 v18, 3, v12
	v_sub_u32_e32 v17, 29, v19
	v_and_b32_e32 v16, 7, v16
	v_cmp_gt_u32_e32 vcc, 8, v12
	v_cndmask_b32_e32 v12, v18, v17, vcc
	v_cndmask_b32_e32 v15, v15, v16, vcc
	v_lshlrev_b32_e32 v8, 24, v8
	v_lshlrev_b32_e32 v15, 20, v15
	v_and_b32_e32 v8, 0x80000000, v8
	v_lshl_add_u32 v12, v12, 23, v10
	v_or3_b32 v8, v8, v12, v15
	v_lshrrev_b32_e32 v15, 16, v8
.LBB795_1052:                           ;   in Loop: Header=BB795_796 Depth=1
	s_or_b64 exec, exec, s[18:19]
.LBB795_1053:                           ;   in Loop: Header=BB795_796 Depth=1
	s_or_b64 exec, exec, s[16:17]
.LBB795_1054:                           ;   in Loop: Header=BB795_796 Depth=1
	s_or_b64 exec, exec, s[14:15]
	v_cmp_lt_u32_e32 vcc, s25, v6
	v_mov_b32_e32 v16, 0
	v_mov_b32_e32 v17, 0
	s_and_saveexec_b64 s[14:15], vcc
	s_cbranch_execz .LBB795_1060
; %bb.1055:                             ;   in Loop: Header=BB795_796 Depth=1
	v_lshrrev_b32_e32 v8, 24, v6
	v_cmp_ne_u32_e32 vcc, s21, v8
	v_mov_b32_e32 v17, 0xffff8000
	s_and_saveexec_b64 s[16:17], vcc
	s_cbranch_execz .LBB795_1059
; %bb.1056:                             ;   in Loop: Header=BB795_796 Depth=1
	v_bfe_u32 v6, v6, 24, 7
	v_cmp_ne_u32_e32 vcc, s23, v6
	v_mov_b32_e32 v17, 0x7f80
	s_and_saveexec_b64 s[18:19], vcc
	s_cbranch_execz .LBB795_1058
; %bb.1057:                             ;   in Loop: Header=BB795_796 Depth=1
	v_and_b32_e32 v12, 7, v8
	v_ffbh_u32_e32 v18, v12
	v_min_u32_e32 v20, 32, v18
	v_subrev_u32_e32 v18, 28, v20
	v_lshlrev_b64 v[18:19], v18, v[8:9]
	v_lshrrev_b32_e32 v17, 3, v6
	v_sub_u32_e32 v19, 29, v20
	v_and_b32_e32 v18, 7, v18
	v_cmp_gt_u32_e32 vcc, 8, v6
	v_cndmask_b32_e32 v6, v17, v19, vcc
	v_cndmask_b32_e32 v12, v12, v18, vcc
	v_lshlrev_b32_e32 v8, 24, v8
	v_lshlrev_b32_e32 v12, 20, v12
	v_and_b32_e32 v8, 0x80000000, v8
	v_lshl_add_u32 v6, v6, 23, v10
	v_or3_b32 v6, v8, v6, v12
	v_lshrrev_b32_e32 v17, 16, v6
.LBB795_1058:                           ;   in Loop: Header=BB795_796 Depth=1
	s_or_b64 exec, exec, s[18:19]
.LBB795_1059:                           ;   in Loop: Header=BB795_796 Depth=1
	s_or_b64 exec, exec, s[16:17]
.LBB795_1060:                           ;   in Loop: Header=BB795_796 Depth=1
	s_or_b64 exec, exec, s[14:15]
	s_waitcnt vmcnt(0)
	v_cmp_ne_u16_sdwa s[16:17], v4, v9 src0_sel:BYTE_0 src1_sel:DWORD
	s_and_saveexec_b64 s[14:15], s[16:17]
	s_cbranch_execz .LBB795_1066
; %bb.1061:                             ;   in Loop: Header=BB795_796 Depth=1
	v_cmp_ne_u16_sdwa s[18:19], v4, s21 src0_sel:BYTE_0 src1_sel:DWORD
	v_mov_b32_e32 v16, 0xffff8000
	s_and_saveexec_b64 s[16:17], s[18:19]
	s_cbranch_execz .LBB795_1065
; %bb.1062:                             ;   in Loop: Header=BB795_796 Depth=1
	v_and_b32_e32 v6, 0x7f, v4
	v_cmp_ne_u32_e32 vcc, s23, v6
	v_mov_b32_e32 v16, 0x7f80
	s_and_saveexec_b64 s[18:19], vcc
	s_cbranch_execz .LBB795_1064
; %bb.1063:                             ;   in Loop: Header=BB795_796 Depth=1
	v_and_b32_e32 v8, 7, v4
	v_ffbh_u32_e32 v16, v8
	v_min_u32_e32 v16, 32, v16
	v_subrev_u32_e32 v18, 28, v16
	v_lshlrev_b64 v[18:19], v18, v[4:5]
	v_lshrrev_b32_e32 v12, 3, v6
	v_sub_u32_e32 v16, 29, v16
	v_and_b32_e32 v18, 7, v18
	v_cmp_gt_u32_e32 vcc, 8, v6
	v_cndmask_b32_e32 v6, v12, v16, vcc
	v_cndmask_b32_e32 v8, v8, v18, vcc
	v_lshlrev_b32_e32 v12, 24, v4
	v_lshlrev_b32_e32 v8, 20, v8
	v_and_b32_e32 v12, 0x80000000, v12
	v_lshl_add_u32 v6, v6, 23, v10
	v_or3_b32 v6, v12, v6, v8
	v_lshrrev_b32_e32 v16, 16, v6
.LBB795_1064:                           ;   in Loop: Header=BB795_796 Depth=1
	s_or_b64 exec, exec, s[18:19]
.LBB795_1065:                           ;   in Loop: Header=BB795_796 Depth=1
	s_or_b64 exec, exec, s[16:17]
.LBB795_1066:                           ;   in Loop: Header=BB795_796 Depth=1
	s_or_b64 exec, exec, s[14:15]
	v_lshrrev_b16_e32 v6, 8, v4
	v_cmp_ne_u16_e32 vcc, 0, v6
	v_mov_b32_e32 v18, 0
	v_mov_b32_e32 v8, 0
	s_and_saveexec_b64 s[14:15], vcc
	s_cbranch_execz .LBB795_1072
; %bb.1067:                             ;   in Loop: Header=BB795_796 Depth=1
	v_cmp_ne_u16_e32 vcc, s21, v6
	v_mov_b32_e32 v8, 0xffff8000
	s_and_saveexec_b64 s[16:17], vcc
	s_cbranch_execz .LBB795_1071
; %bb.1068:                             ;   in Loop: Header=BB795_796 Depth=1
	v_and_b32_e32 v12, 0x7f, v6
	v_cmp_ne_u32_e32 vcc, s23, v12
	v_mov_b32_e32 v8, 0x7f80
	s_and_saveexec_b64 s[18:19], vcc
	s_cbranch_execz .LBB795_1070
; %bb.1069:                             ;   in Loop: Header=BB795_796 Depth=1
	v_and_b32_e32 v8, 7, v6
	v_ffbh_u32_e32 v20, v8
	v_min_u32_e32 v22, 32, v20
	v_subrev_u32_e32 v20, 28, v22
	v_lshlrev_b64 v[20:21], v20, v[6:7]
	v_lshrrev_b32_e32 v19, 3, v12
	v_sub_u32_e32 v6, 29, v22
	v_and_b32_e32 v20, 7, v20
	v_cmp_gt_u32_e32 vcc, 8, v12
	v_cndmask_b32_e32 v6, v19, v6, vcc
	v_cndmask_b32_e32 v8, v8, v20, vcc
	v_lshlrev_b32_e32 v12, 16, v4
	v_lshlrev_b32_e32 v8, 20, v8
	v_and_b32_e32 v12, 0x80000000, v12
	v_lshl_add_u32 v6, v6, 23, v10
	v_or3_b32 v6, v12, v6, v8
	v_lshrrev_b32_e32 v8, 16, v6
.LBB795_1070:                           ;   in Loop: Header=BB795_796 Depth=1
	s_or_b64 exec, exec, s[18:19]
.LBB795_1071:                           ;   in Loop: Header=BB795_796 Depth=1
	s_or_b64 exec, exec, s[16:17]
.LBB795_1072:                           ;   in Loop: Header=BB795_796 Depth=1
	s_or_b64 exec, exec, s[14:15]
	v_lshrrev_b32_e32 v6, 16, v4
	v_cmp_ne_u16_sdwa s[16:17], v6, v9 src0_sel:BYTE_0 src1_sel:DWORD
	s_and_saveexec_b64 s[14:15], s[16:17]
	s_cbranch_execz .LBB795_1078
; %bb.1073:                             ;   in Loop: Header=BB795_796 Depth=1
	v_cmp_ne_u16_sdwa s[18:19], v6, s21 src0_sel:BYTE_0 src1_sel:DWORD
	v_mov_b32_e32 v18, 0xffff8000
	s_and_saveexec_b64 s[16:17], s[18:19]
	s_cbranch_execz .LBB795_1077
; %bb.1074:                             ;   in Loop: Header=BB795_796 Depth=1
	v_bfe_u32 v12, v4, 16, 7
	v_cmp_ne_u32_e32 vcc, s23, v12
	v_mov_b32_e32 v18, 0x7f80
	s_and_saveexec_b64 s[18:19], vcc
	s_cbranch_execz .LBB795_1076
; %bb.1075:                             ;   in Loop: Header=BB795_796 Depth=1
	v_and_b32_e32 v20, 7, v6
	v_ffbh_u32_e32 v18, v20
	v_min_u32_e32 v22, 32, v18
	v_subrev_u32_e32 v18, 28, v22
	v_lshlrev_b64 v[18:19], v18, v[6:7]
	v_lshrrev_b32_e32 v21, 3, v12
	v_sub_u32_e32 v19, 29, v22
	v_and_b32_e32 v18, 7, v18
	v_cmp_gt_u32_e32 vcc, 8, v12
	v_cndmask_b32_e32 v12, v21, v19, vcc
	v_cndmask_b32_e32 v18, v20, v18, vcc
	v_lshlrev_b32_e32 v6, 24, v6
	v_lshlrev_b32_e32 v18, 20, v18
	v_and_b32_e32 v6, 0x80000000, v6
	v_lshl_add_u32 v12, v12, 23, v10
	v_or3_b32 v6, v6, v12, v18
	v_lshrrev_b32_e32 v18, 16, v6
.LBB795_1076:                           ;   in Loop: Header=BB795_796 Depth=1
	s_or_b64 exec, exec, s[18:19]
.LBB795_1077:                           ;   in Loop: Header=BB795_796 Depth=1
	s_or_b64 exec, exec, s[16:17]
.LBB795_1078:                           ;   in Loop: Header=BB795_796 Depth=1
	s_or_b64 exec, exec, s[14:15]
	v_cmp_lt_u32_e32 vcc, s25, v4
	v_mov_b32_e32 v12, 0
	v_mov_b32_e32 v19, 0
	s_and_saveexec_b64 s[14:15], vcc
	s_cbranch_execz .LBB795_1084
; %bb.1079:                             ;   in Loop: Header=BB795_796 Depth=1
	v_lshrrev_b32_e32 v6, 24, v4
	v_cmp_ne_u32_e32 vcc, s21, v6
	v_mov_b32_e32 v19, 0xffff8000
	s_and_saveexec_b64 s[16:17], vcc
	s_cbranch_execz .LBB795_1083
; %bb.1080:                             ;   in Loop: Header=BB795_796 Depth=1
	v_bfe_u32 v4, v4, 24, 7
	v_cmp_ne_u32_e32 vcc, s23, v4
	v_mov_b32_e32 v19, 0x7f80
	s_and_saveexec_b64 s[18:19], vcc
	s_cbranch_execz .LBB795_1082
; %bb.1081:                             ;   in Loop: Header=BB795_796 Depth=1
	v_and_b32_e32 v19, 7, v6
	v_ffbh_u32_e32 v20, v19
	v_min_u32_e32 v23, 32, v20
	v_subrev_u32_e32 v20, 28, v23
	v_lshlrev_b64 v[20:21], v20, v[6:7]
	v_lshrrev_b32_e32 v22, 3, v4
	v_sub_u32_e32 v21, 29, v23
	v_and_b32_e32 v20, 7, v20
	v_cmp_gt_u32_e32 vcc, 8, v4
	v_cndmask_b32_e32 v4, v22, v21, vcc
	v_cndmask_b32_e32 v19, v19, v20, vcc
	v_lshlrev_b32_e32 v6, 24, v6
	v_lshlrev_b32_e32 v19, 20, v19
	v_and_b32_e32 v6, 0x80000000, v6
	v_lshl_add_u32 v4, v4, 23, v10
	v_or3_b32 v4, v6, v4, v19
	v_lshrrev_b32_e32 v19, 16, v4
.LBB795_1082:                           ;   in Loop: Header=BB795_796 Depth=1
	s_or_b64 exec, exec, s[18:19]
.LBB795_1083:                           ;   in Loop: Header=BB795_796 Depth=1
	s_or_b64 exec, exec, s[16:17]
.LBB795_1084:                           ;   in Loop: Header=BB795_796 Depth=1
	s_or_b64 exec, exec, s[14:15]
	buffer_load_dword v6, v11, s[0:3], 0 offen offset:48
	buffer_load_dword v4, v11, s[0:3], 0 offen offset:52
	v_perm_b32 v15, v17, v15, s28
	v_perm_b32 v14, v13, v14, s28
	;; [unrolled: 1-line block ×4, first 2 shown]
	v_mfma_f32_4x4x4bf16_1k a[0:3], v[2:3], v[14:15], a[0:3] cbsz:4 abid:10
	s_waitcnt vmcnt(1)
	v_cmp_ne_u16_sdwa s[16:17], v6, v9 src0_sel:BYTE_0 src1_sel:DWORD
	v_mfma_f32_4x4x4bf16_1k a[0:3], v[2:3], v[16:17], a[0:3] cbsz:4 abid:11
	s_and_saveexec_b64 s[14:15], s[16:17]
	s_cbranch_execz .LBB795_1090
; %bb.1085:                             ;   in Loop: Header=BB795_796 Depth=1
	v_cmp_ne_u16_sdwa s[18:19], v6, s21 src0_sel:BYTE_0 src1_sel:DWORD
	v_mov_b32_e32 v12, 0xffff8000
	s_and_saveexec_b64 s[16:17], s[18:19]
	s_cbranch_execz .LBB795_1089
; %bb.1086:                             ;   in Loop: Header=BB795_796 Depth=1
	v_and_b32_e32 v8, 0x7f, v6
	v_cmp_ne_u32_e32 vcc, s23, v8
	v_mov_b32_e32 v12, 0x7f80
	s_and_saveexec_b64 s[18:19], vcc
	s_cbranch_execz .LBB795_1088
; %bb.1087:                             ;   in Loop: Header=BB795_796 Depth=1
	v_and_b32_e32 v14, 7, v6
	v_ffbh_u32_e32 v12, v14
	v_min_u32_e32 v16, 32, v12
	v_subrev_u32_e32 v12, 28, v16
	v_lshlrev_b64 v[12:13], v12, v[6:7]
	v_lshrrev_b32_e32 v15, 3, v8
	v_sub_u32_e32 v13, 29, v16
	v_and_b32_e32 v12, 7, v12
	v_cmp_gt_u32_e32 vcc, 8, v8
	v_cndmask_b32_e32 v8, v15, v13, vcc
	v_cndmask_b32_e32 v12, v14, v12, vcc
	v_lshlrev_b32_e32 v13, 24, v6
	v_lshlrev_b32_e32 v12, 20, v12
	v_and_b32_e32 v13, 0x80000000, v13
	v_lshl_add_u32 v8, v8, 23, v10
	v_or3_b32 v8, v13, v8, v12
	v_lshrrev_b32_e32 v12, 16, v8
.LBB795_1088:                           ;   in Loop: Header=BB795_796 Depth=1
	s_or_b64 exec, exec, s[18:19]
.LBB795_1089:                           ;   in Loop: Header=BB795_796 Depth=1
	s_or_b64 exec, exec, s[16:17]
.LBB795_1090:                           ;   in Loop: Header=BB795_796 Depth=1
	s_or_b64 exec, exec, s[14:15]
	v_lshrrev_b16_e32 v8, 8, v6
	v_cmp_ne_u16_e32 vcc, 0, v8
	v_mov_b32_e32 v15, 0
	v_mov_b32_e32 v14, 0
	s_and_saveexec_b64 s[14:15], vcc
	s_cbranch_execz .LBB795_1096
; %bb.1091:                             ;   in Loop: Header=BB795_796 Depth=1
	v_cmp_ne_u16_e32 vcc, s21, v8
	v_mov_b32_e32 v14, 0xffff8000
	s_and_saveexec_b64 s[16:17], vcc
	s_cbranch_execz .LBB795_1095
; %bb.1092:                             ;   in Loop: Header=BB795_796 Depth=1
	v_and_b32_e32 v13, 0x7f, v8
	v_cmp_ne_u32_e32 vcc, s23, v13
	v_mov_b32_e32 v14, 0x7f80
	s_and_saveexec_b64 s[18:19], vcc
	s_cbranch_execz .LBB795_1094
; %bb.1093:                             ;   in Loop: Header=BB795_796 Depth=1
	v_and_b32_e32 v14, 7, v8
	v_ffbh_u32_e32 v16, v14
	v_min_u32_e32 v19, 32, v16
	v_subrev_u32_e32 v16, 28, v19
	v_lshlrev_b64 v[16:17], v16, v[8:9]
	v_lshrrev_b32_e32 v18, 3, v13
	v_sub_u32_e32 v8, 29, v19
	v_and_b32_e32 v16, 7, v16
	v_cmp_gt_u32_e32 vcc, 8, v13
	v_cndmask_b32_e32 v8, v18, v8, vcc
	v_cndmask_b32_e32 v13, v14, v16, vcc
	v_lshlrev_b32_e32 v14, 16, v6
	v_lshlrev_b32_e32 v13, 20, v13
	v_and_b32_e32 v14, 0x80000000, v14
	v_lshl_add_u32 v8, v8, 23, v10
	v_or3_b32 v8, v14, v8, v13
	v_lshrrev_b32_e32 v14, 16, v8
.LBB795_1094:                           ;   in Loop: Header=BB795_796 Depth=1
	s_or_b64 exec, exec, s[18:19]
.LBB795_1095:                           ;   in Loop: Header=BB795_796 Depth=1
	s_or_b64 exec, exec, s[16:17]
.LBB795_1096:                           ;   in Loop: Header=BB795_796 Depth=1
	s_or_b64 exec, exec, s[14:15]
	v_lshrrev_b32_e32 v8, 16, v6
	v_cmp_ne_u16_sdwa s[16:17], v8, v9 src0_sel:BYTE_0 src1_sel:DWORD
	s_and_saveexec_b64 s[14:15], s[16:17]
	s_cbranch_execz .LBB795_1102
; %bb.1097:                             ;   in Loop: Header=BB795_796 Depth=1
	v_cmp_ne_u16_sdwa s[18:19], v8, s21 src0_sel:BYTE_0 src1_sel:DWORD
	v_mov_b32_e32 v15, 0xffff8000
	s_and_saveexec_b64 s[16:17], s[18:19]
	s_cbranch_execz .LBB795_1101
; %bb.1098:                             ;   in Loop: Header=BB795_796 Depth=1
	v_bfe_u32 v13, v6, 16, 7
	v_cmp_ne_u32_e32 vcc, s23, v13
	v_mov_b32_e32 v15, 0x7f80
	s_and_saveexec_b64 s[18:19], vcc
	s_cbranch_execz .LBB795_1100
; %bb.1099:                             ;   in Loop: Header=BB795_796 Depth=1
	v_and_b32_e32 v15, 7, v8
	v_ffbh_u32_e32 v16, v15
	v_min_u32_e32 v19, 32, v16
	v_subrev_u32_e32 v16, 28, v19
	v_lshlrev_b64 v[16:17], v16, v[8:9]
	v_lshrrev_b32_e32 v18, 3, v13
	v_sub_u32_e32 v17, 29, v19
	v_and_b32_e32 v16, 7, v16
	v_cmp_gt_u32_e32 vcc, 8, v13
	v_cndmask_b32_e32 v13, v18, v17, vcc
	v_cndmask_b32_e32 v15, v15, v16, vcc
	v_lshlrev_b32_e32 v8, 24, v8
	v_lshlrev_b32_e32 v15, 20, v15
	v_and_b32_e32 v8, 0x80000000, v8
	v_lshl_add_u32 v13, v13, 23, v10
	v_or3_b32 v8, v8, v13, v15
	v_lshrrev_b32_e32 v15, 16, v8
.LBB795_1100:                           ;   in Loop: Header=BB795_796 Depth=1
	s_or_b64 exec, exec, s[18:19]
.LBB795_1101:                           ;   in Loop: Header=BB795_796 Depth=1
	s_or_b64 exec, exec, s[16:17]
.LBB795_1102:                           ;   in Loop: Header=BB795_796 Depth=1
	s_or_b64 exec, exec, s[14:15]
	v_cmp_lt_u32_e32 vcc, s25, v6
	v_mov_b32_e32 v16, 0
	v_mov_b32_e32 v17, 0
	s_and_saveexec_b64 s[14:15], vcc
	s_cbranch_execz .LBB795_1108
; %bb.1103:                             ;   in Loop: Header=BB795_796 Depth=1
	v_lshrrev_b32_e32 v8, 24, v6
	v_cmp_ne_u32_e32 vcc, s21, v8
	v_mov_b32_e32 v17, 0xffff8000
	s_and_saveexec_b64 s[16:17], vcc
	s_cbranch_execz .LBB795_1107
; %bb.1104:                             ;   in Loop: Header=BB795_796 Depth=1
	v_bfe_u32 v6, v6, 24, 7
	v_cmp_ne_u32_e32 vcc, s23, v6
	v_mov_b32_e32 v17, 0x7f80
	s_and_saveexec_b64 s[18:19], vcc
	s_cbranch_execz .LBB795_1106
; %bb.1105:                             ;   in Loop: Header=BB795_796 Depth=1
	v_and_b32_e32 v13, 7, v8
	v_ffbh_u32_e32 v18, v13
	v_min_u32_e32 v20, 32, v18
	v_subrev_u32_e32 v18, 28, v20
	v_lshlrev_b64 v[18:19], v18, v[8:9]
	v_lshrrev_b32_e32 v17, 3, v6
	v_sub_u32_e32 v19, 29, v20
	v_and_b32_e32 v18, 7, v18
	v_cmp_gt_u32_e32 vcc, 8, v6
	v_cndmask_b32_e32 v6, v17, v19, vcc
	v_cndmask_b32_e32 v13, v13, v18, vcc
	v_lshlrev_b32_e32 v8, 24, v8
	v_lshlrev_b32_e32 v13, 20, v13
	v_and_b32_e32 v8, 0x80000000, v8
	v_lshl_add_u32 v6, v6, 23, v10
	v_or3_b32 v6, v8, v6, v13
	v_lshrrev_b32_e32 v17, 16, v6
.LBB795_1106:                           ;   in Loop: Header=BB795_796 Depth=1
	s_or_b64 exec, exec, s[18:19]
.LBB795_1107:                           ;   in Loop: Header=BB795_796 Depth=1
	s_or_b64 exec, exec, s[16:17]
.LBB795_1108:                           ;   in Loop: Header=BB795_796 Depth=1
	s_or_b64 exec, exec, s[14:15]
	s_waitcnt vmcnt(0)
	v_cmp_ne_u16_sdwa s[16:17], v4, v9 src0_sel:BYTE_0 src1_sel:DWORD
	s_and_saveexec_b64 s[14:15], s[16:17]
	s_cbranch_execz .LBB795_1114
; %bb.1109:                             ;   in Loop: Header=BB795_796 Depth=1
	v_cmp_ne_u16_sdwa s[18:19], v4, s21 src0_sel:BYTE_0 src1_sel:DWORD
	v_mov_b32_e32 v16, 0xffff8000
	s_and_saveexec_b64 s[16:17], s[18:19]
	s_cbranch_execz .LBB795_1113
; %bb.1110:                             ;   in Loop: Header=BB795_796 Depth=1
	v_and_b32_e32 v6, 0x7f, v4
	v_cmp_ne_u32_e32 vcc, s23, v6
	v_mov_b32_e32 v16, 0x7f80
	s_and_saveexec_b64 s[18:19], vcc
	s_cbranch_execz .LBB795_1112
; %bb.1111:                             ;   in Loop: Header=BB795_796 Depth=1
	v_and_b32_e32 v8, 7, v4
	v_ffbh_u32_e32 v16, v8
	v_min_u32_e32 v16, 32, v16
	v_subrev_u32_e32 v18, 28, v16
	v_lshlrev_b64 v[18:19], v18, v[4:5]
	v_lshrrev_b32_e32 v13, 3, v6
	v_sub_u32_e32 v16, 29, v16
	v_and_b32_e32 v18, 7, v18
	v_cmp_gt_u32_e32 vcc, 8, v6
	v_cndmask_b32_e32 v6, v13, v16, vcc
	v_cndmask_b32_e32 v8, v8, v18, vcc
	v_lshlrev_b32_e32 v13, 24, v4
	v_lshlrev_b32_e32 v8, 20, v8
	v_and_b32_e32 v13, 0x80000000, v13
	v_lshl_add_u32 v6, v6, 23, v10
	v_or3_b32 v6, v13, v6, v8
	v_lshrrev_b32_e32 v16, 16, v6
.LBB795_1112:                           ;   in Loop: Header=BB795_796 Depth=1
	s_or_b64 exec, exec, s[18:19]
.LBB795_1113:                           ;   in Loop: Header=BB795_796 Depth=1
	s_or_b64 exec, exec, s[16:17]
.LBB795_1114:                           ;   in Loop: Header=BB795_796 Depth=1
	s_or_b64 exec, exec, s[14:15]
	v_lshrrev_b16_e32 v6, 8, v4
	v_cmp_ne_u16_e32 vcc, 0, v6
	v_mov_b32_e32 v18, 0
	v_mov_b32_e32 v8, 0
	s_and_saveexec_b64 s[14:15], vcc
	s_cbranch_execz .LBB795_1120
; %bb.1115:                             ;   in Loop: Header=BB795_796 Depth=1
	v_cmp_ne_u16_e32 vcc, s21, v6
	v_mov_b32_e32 v8, 0xffff8000
	s_and_saveexec_b64 s[16:17], vcc
	s_cbranch_execz .LBB795_1119
; %bb.1116:                             ;   in Loop: Header=BB795_796 Depth=1
	v_and_b32_e32 v13, 0x7f, v6
	v_cmp_ne_u32_e32 vcc, s23, v13
	v_mov_b32_e32 v8, 0x7f80
	s_and_saveexec_b64 s[18:19], vcc
	s_cbranch_execz .LBB795_1118
; %bb.1117:                             ;   in Loop: Header=BB795_796 Depth=1
	v_and_b32_e32 v8, 7, v6
	v_ffbh_u32_e32 v20, v8
	v_min_u32_e32 v22, 32, v20
	v_subrev_u32_e32 v20, 28, v22
	v_lshlrev_b64 v[20:21], v20, v[6:7]
	v_lshrrev_b32_e32 v19, 3, v13
	v_sub_u32_e32 v6, 29, v22
	v_and_b32_e32 v20, 7, v20
	v_cmp_gt_u32_e32 vcc, 8, v13
	v_cndmask_b32_e32 v6, v19, v6, vcc
	v_cndmask_b32_e32 v8, v8, v20, vcc
	v_lshlrev_b32_e32 v13, 16, v4
	v_lshlrev_b32_e32 v8, 20, v8
	v_and_b32_e32 v13, 0x80000000, v13
	v_lshl_add_u32 v6, v6, 23, v10
	v_or3_b32 v6, v13, v6, v8
	v_lshrrev_b32_e32 v8, 16, v6
.LBB795_1118:                           ;   in Loop: Header=BB795_796 Depth=1
	s_or_b64 exec, exec, s[18:19]
.LBB795_1119:                           ;   in Loop: Header=BB795_796 Depth=1
	s_or_b64 exec, exec, s[16:17]
.LBB795_1120:                           ;   in Loop: Header=BB795_796 Depth=1
	s_or_b64 exec, exec, s[14:15]
	v_lshrrev_b32_e32 v6, 16, v4
	v_cmp_ne_u16_sdwa s[16:17], v6, v9 src0_sel:BYTE_0 src1_sel:DWORD
	s_and_saveexec_b64 s[14:15], s[16:17]
	s_cbranch_execz .LBB795_1126
; %bb.1121:                             ;   in Loop: Header=BB795_796 Depth=1
	v_cmp_ne_u16_sdwa s[18:19], v6, s21 src0_sel:BYTE_0 src1_sel:DWORD
	v_mov_b32_e32 v18, 0xffff8000
	s_and_saveexec_b64 s[16:17], s[18:19]
	s_cbranch_execz .LBB795_1125
; %bb.1122:                             ;   in Loop: Header=BB795_796 Depth=1
	v_bfe_u32 v13, v4, 16, 7
	v_cmp_ne_u32_e32 vcc, s23, v13
	v_mov_b32_e32 v18, 0x7f80
	s_and_saveexec_b64 s[18:19], vcc
	s_cbranch_execz .LBB795_1124
; %bb.1123:                             ;   in Loop: Header=BB795_796 Depth=1
	v_and_b32_e32 v20, 7, v6
	v_ffbh_u32_e32 v18, v20
	v_min_u32_e32 v22, 32, v18
	v_subrev_u32_e32 v18, 28, v22
	v_lshlrev_b64 v[18:19], v18, v[6:7]
	v_lshrrev_b32_e32 v21, 3, v13
	v_sub_u32_e32 v19, 29, v22
	v_and_b32_e32 v18, 7, v18
	v_cmp_gt_u32_e32 vcc, 8, v13
	v_cndmask_b32_e32 v13, v21, v19, vcc
	v_cndmask_b32_e32 v18, v20, v18, vcc
	v_lshlrev_b32_e32 v6, 24, v6
	v_lshlrev_b32_e32 v18, 20, v18
	v_and_b32_e32 v6, 0x80000000, v6
	v_lshl_add_u32 v13, v13, 23, v10
	v_or3_b32 v6, v6, v13, v18
	v_lshrrev_b32_e32 v18, 16, v6
.LBB795_1124:                           ;   in Loop: Header=BB795_796 Depth=1
	s_or_b64 exec, exec, s[18:19]
.LBB795_1125:                           ;   in Loop: Header=BB795_796 Depth=1
	s_or_b64 exec, exec, s[16:17]
.LBB795_1126:                           ;   in Loop: Header=BB795_796 Depth=1
	s_or_b64 exec, exec, s[14:15]
	v_cmp_lt_u32_e32 vcc, s25, v4
	v_mov_b32_e32 v13, 0
	v_mov_b32_e32 v19, 0
	s_and_saveexec_b64 s[14:15], vcc
	s_cbranch_execz .LBB795_1132
; %bb.1127:                             ;   in Loop: Header=BB795_796 Depth=1
	v_lshrrev_b32_e32 v6, 24, v4
	v_cmp_ne_u32_e32 vcc, s21, v6
	v_mov_b32_e32 v19, 0xffff8000
	s_and_saveexec_b64 s[16:17], vcc
	s_cbranch_execz .LBB795_1131
; %bb.1128:                             ;   in Loop: Header=BB795_796 Depth=1
	v_bfe_u32 v4, v4, 24, 7
	v_cmp_ne_u32_e32 vcc, s23, v4
	v_mov_b32_e32 v19, 0x7f80
	s_and_saveexec_b64 s[18:19], vcc
	s_cbranch_execz .LBB795_1130
; %bb.1129:                             ;   in Loop: Header=BB795_796 Depth=1
	v_and_b32_e32 v19, 7, v6
	v_ffbh_u32_e32 v20, v19
	v_min_u32_e32 v23, 32, v20
	v_subrev_u32_e32 v20, 28, v23
	v_lshlrev_b64 v[20:21], v20, v[6:7]
	v_lshrrev_b32_e32 v22, 3, v4
	v_sub_u32_e32 v21, 29, v23
	v_and_b32_e32 v20, 7, v20
	v_cmp_gt_u32_e32 vcc, 8, v4
	v_cndmask_b32_e32 v4, v22, v21, vcc
	v_cndmask_b32_e32 v19, v19, v20, vcc
	v_lshlrev_b32_e32 v6, 24, v6
	v_lshlrev_b32_e32 v19, 20, v19
	v_and_b32_e32 v6, 0x80000000, v6
	v_lshl_add_u32 v4, v4, 23, v10
	v_or3_b32 v4, v6, v4, v19
	v_lshrrev_b32_e32 v19, 16, v4
.LBB795_1130:                           ;   in Loop: Header=BB795_796 Depth=1
	s_or_b64 exec, exec, s[18:19]
.LBB795_1131:                           ;   in Loop: Header=BB795_796 Depth=1
	s_or_b64 exec, exec, s[16:17]
.LBB795_1132:                           ;   in Loop: Header=BB795_796 Depth=1
	s_or_b64 exec, exec, s[14:15]
	buffer_load_dword v6, v11, s[0:3], 0 offen offset:56
	buffer_load_dword v4, v11, s[0:3], 0 offen offset:60
	v_perm_b32 v15, v17, v15, s28
	v_perm_b32 v14, v14, v12, s28
	;; [unrolled: 1-line block ×4, first 2 shown]
	v_mfma_f32_4x4x4bf16_1k a[0:3], v[2:3], v[14:15], a[0:3] cbsz:4 abid:12
	s_waitcnt vmcnt(1)
	v_cmp_ne_u16_sdwa s[16:17], v6, v9 src0_sel:BYTE_0 src1_sel:DWORD
	v_mfma_f32_4x4x4bf16_1k a[0:3], v[2:3], v[16:17], a[0:3] cbsz:4 abid:13
	s_and_saveexec_b64 s[14:15], s[16:17]
	s_cbranch_execz .LBB795_1138
; %bb.1133:                             ;   in Loop: Header=BB795_796 Depth=1
	v_cmp_ne_u16_sdwa s[18:19], v6, s21 src0_sel:BYTE_0 src1_sel:DWORD
	v_mov_b32_e32 v13, 0xffff8000
	s_and_saveexec_b64 s[16:17], s[18:19]
	s_cbranch_execz .LBB795_1137
; %bb.1134:                             ;   in Loop: Header=BB795_796 Depth=1
	v_and_b32_e32 v8, 0x7f, v6
	v_cmp_ne_u32_e32 vcc, s23, v8
	v_mov_b32_e32 v13, 0x7f80
	s_and_saveexec_b64 s[18:19], vcc
	s_cbranch_execz .LBB795_1136
; %bb.1135:                             ;   in Loop: Header=BB795_796 Depth=1
	v_and_b32_e32 v11, 7, v6
	v_ffbh_u32_e32 v12, v11
	v_min_u32_e32 v15, 32, v12
	v_subrev_u32_e32 v12, 28, v15
	v_lshlrev_b64 v[12:13], v12, v[6:7]
	v_lshrrev_b32_e32 v14, 3, v8
	v_sub_u32_e32 v13, 29, v15
	v_and_b32_e32 v12, 7, v12
	v_cmp_gt_u32_e32 vcc, 8, v8
	v_cndmask_b32_e32 v8, v14, v13, vcc
	v_cndmask_b32_e32 v11, v11, v12, vcc
	v_lshlrev_b32_e32 v12, 24, v6
	v_lshlrev_b32_e32 v11, 20, v11
	v_and_b32_e32 v12, 0x80000000, v12
	v_lshl_add_u32 v8, v8, 23, v10
	v_or3_b32 v8, v12, v8, v11
	v_lshrrev_b32_e32 v13, 16, v8
.LBB795_1136:                           ;   in Loop: Header=BB795_796 Depth=1
	s_or_b64 exec, exec, s[18:19]
.LBB795_1137:                           ;   in Loop: Header=BB795_796 Depth=1
	s_or_b64 exec, exec, s[16:17]
.LBB795_1138:                           ;   in Loop: Header=BB795_796 Depth=1
	s_or_b64 exec, exec, s[14:15]
	v_lshrrev_b16_e32 v8, 8, v6
	v_cmp_ne_u16_e32 vcc, 0, v8
	v_mov_b32_e32 v12, 0
	v_mov_b32_e32 v11, 0
	s_and_saveexec_b64 s[14:15], vcc
	s_cbranch_execz .LBB795_1144
; %bb.1139:                             ;   in Loop: Header=BB795_796 Depth=1
	v_cmp_ne_u16_e32 vcc, s21, v8
	v_mov_b32_e32 v11, 0xffff8000
	s_and_saveexec_b64 s[16:17], vcc
	s_cbranch_execz .LBB795_1143
; %bb.1140:                             ;   in Loop: Header=BB795_796 Depth=1
	v_and_b32_e32 v14, 0x7f, v8
	v_cmp_ne_u32_e32 vcc, s23, v14
	v_mov_b32_e32 v11, 0x7f80
	s_and_saveexec_b64 s[18:19], vcc
	s_cbranch_execz .LBB795_1142
; %bb.1141:                             ;   in Loop: Header=BB795_796 Depth=1
	v_and_b32_e32 v11, 7, v8
	v_ffbh_u32_e32 v16, v11
	v_min_u32_e32 v18, 32, v16
	v_subrev_u32_e32 v16, 28, v18
	v_lshlrev_b64 v[16:17], v16, v[8:9]
	v_lshrrev_b32_e32 v15, 3, v14
	v_sub_u32_e32 v8, 29, v18
	v_and_b32_e32 v16, 7, v16
	v_cmp_gt_u32_e32 vcc, 8, v14
	v_cndmask_b32_e32 v8, v15, v8, vcc
	v_cndmask_b32_e32 v11, v11, v16, vcc
	v_lshlrev_b32_e32 v14, 16, v6
	v_lshlrev_b32_e32 v11, 20, v11
	v_and_b32_e32 v14, 0x80000000, v14
	v_lshl_add_u32 v8, v8, 23, v10
	v_or3_b32 v8, v14, v8, v11
	v_lshrrev_b32_e32 v11, 16, v8
.LBB795_1142:                           ;   in Loop: Header=BB795_796 Depth=1
	s_or_b64 exec, exec, s[18:19]
.LBB795_1143:                           ;   in Loop: Header=BB795_796 Depth=1
	s_or_b64 exec, exec, s[16:17]
.LBB795_1144:                           ;   in Loop: Header=BB795_796 Depth=1
	s_or_b64 exec, exec, s[14:15]
	v_lshrrev_b32_e32 v8, 16, v6
	v_cmp_ne_u16_sdwa s[16:17], v8, v9 src0_sel:BYTE_0 src1_sel:DWORD
	s_and_saveexec_b64 s[14:15], s[16:17]
	s_cbranch_execz .LBB795_1150
; %bb.1145:                             ;   in Loop: Header=BB795_796 Depth=1
	v_cmp_ne_u16_sdwa s[18:19], v8, s21 src0_sel:BYTE_0 src1_sel:DWORD
	v_mov_b32_e32 v12, 0xffff8000
	s_and_saveexec_b64 s[16:17], s[18:19]
	s_cbranch_execz .LBB795_1149
; %bb.1146:                             ;   in Loop: Header=BB795_796 Depth=1
	v_bfe_u32 v14, v6, 16, 7
	v_cmp_ne_u32_e32 vcc, s23, v14
	v_mov_b32_e32 v12, 0x7f80
	s_and_saveexec_b64 s[18:19], vcc
	s_cbranch_execz .LBB795_1148
; %bb.1147:                             ;   in Loop: Header=BB795_796 Depth=1
	v_and_b32_e32 v12, 7, v8
	v_ffbh_u32_e32 v16, v12
	v_min_u32_e32 v18, 32, v16
	v_subrev_u32_e32 v16, 28, v18
	v_lshlrev_b64 v[16:17], v16, v[8:9]
	v_lshrrev_b32_e32 v15, 3, v14
	v_sub_u32_e32 v17, 29, v18
	v_and_b32_e32 v16, 7, v16
	v_cmp_gt_u32_e32 vcc, 8, v14
	v_cndmask_b32_e32 v14, v15, v17, vcc
	v_cndmask_b32_e32 v12, v12, v16, vcc
	v_lshlrev_b32_e32 v8, 24, v8
	v_lshlrev_b32_e32 v12, 20, v12
	v_and_b32_e32 v8, 0x80000000, v8
	v_lshl_add_u32 v14, v14, 23, v10
	v_or3_b32 v8, v8, v14, v12
	v_lshrrev_b32_e32 v12, 16, v8
.LBB795_1148:                           ;   in Loop: Header=BB795_796 Depth=1
	s_or_b64 exec, exec, s[18:19]
.LBB795_1149:                           ;   in Loop: Header=BB795_796 Depth=1
	s_or_b64 exec, exec, s[16:17]
.LBB795_1150:                           ;   in Loop: Header=BB795_796 Depth=1
	s_or_b64 exec, exec, s[14:15]
	v_cmp_lt_u32_e32 vcc, s25, v6
	v_mov_b32_e32 v14, 0
	v_mov_b32_e32 v15, 0
	s_and_saveexec_b64 s[14:15], vcc
	s_cbranch_execz .LBB795_1156
; %bb.1151:                             ;   in Loop: Header=BB795_796 Depth=1
	v_lshrrev_b32_e32 v8, 24, v6
	v_cmp_ne_u32_e32 vcc, s21, v8
	v_mov_b32_e32 v15, 0xffff8000
	s_and_saveexec_b64 s[16:17], vcc
	s_cbranch_execz .LBB795_1155
; %bb.1152:                             ;   in Loop: Header=BB795_796 Depth=1
	v_bfe_u32 v6, v6, 24, 7
	v_cmp_ne_u32_e32 vcc, s23, v6
	v_mov_b32_e32 v15, 0x7f80
	s_and_saveexec_b64 s[18:19], vcc
	s_cbranch_execz .LBB795_1154
; %bb.1153:                             ;   in Loop: Header=BB795_796 Depth=1
	v_and_b32_e32 v15, 7, v8
	v_ffbh_u32_e32 v16, v15
	v_min_u32_e32 v19, 32, v16
	v_subrev_u32_e32 v16, 28, v19
	v_lshlrev_b64 v[16:17], v16, v[8:9]
	v_lshrrev_b32_e32 v18, 3, v6
	v_sub_u32_e32 v17, 29, v19
	v_and_b32_e32 v16, 7, v16
	v_cmp_gt_u32_e32 vcc, 8, v6
	v_cndmask_b32_e32 v6, v18, v17, vcc
	v_cndmask_b32_e32 v15, v15, v16, vcc
	v_lshlrev_b32_e32 v8, 24, v8
	v_lshlrev_b32_e32 v15, 20, v15
	v_and_b32_e32 v8, 0x80000000, v8
	v_lshl_add_u32 v6, v6, 23, v10
	v_or3_b32 v6, v8, v6, v15
	v_lshrrev_b32_e32 v15, 16, v6
.LBB795_1154:                           ;   in Loop: Header=BB795_796 Depth=1
	s_or_b64 exec, exec, s[18:19]
.LBB795_1155:                           ;   in Loop: Header=BB795_796 Depth=1
	s_or_b64 exec, exec, s[16:17]
.LBB795_1156:                           ;   in Loop: Header=BB795_796 Depth=1
	s_or_b64 exec, exec, s[14:15]
	s_waitcnt vmcnt(0)
	v_cmp_ne_u16_sdwa s[16:17], v4, v9 src0_sel:BYTE_0 src1_sel:DWORD
	s_and_saveexec_b64 s[14:15], s[16:17]
	s_cbranch_execz .LBB795_1162
; %bb.1157:                             ;   in Loop: Header=BB795_796 Depth=1
	v_cmp_ne_u16_sdwa s[18:19], v4, s21 src0_sel:BYTE_0 src1_sel:DWORD
	v_mov_b32_e32 v14, 0xffff8000
	s_and_saveexec_b64 s[16:17], s[18:19]
	s_cbranch_execz .LBB795_1161
; %bb.1158:                             ;   in Loop: Header=BB795_796 Depth=1
	v_and_b32_e32 v6, 0x7f, v4
	v_cmp_ne_u32_e32 vcc, s23, v6
	v_mov_b32_e32 v14, 0x7f80
	s_and_saveexec_b64 s[18:19], vcc
	s_cbranch_execz .LBB795_1160
; %bb.1159:                             ;   in Loop: Header=BB795_796 Depth=1
	v_and_b32_e32 v8, 7, v4
	v_ffbh_u32_e32 v16, v8
	v_min_u32_e32 v18, 32, v16
	v_subrev_u32_e32 v16, 28, v18
	v_lshlrev_b64 v[16:17], v16, v[4:5]
	v_lshrrev_b32_e32 v14, 3, v6
	v_sub_u32_e32 v17, 29, v18
	v_and_b32_e32 v16, 7, v16
	v_cmp_gt_u32_e32 vcc, 8, v6
	v_cndmask_b32_e32 v6, v14, v17, vcc
	v_cndmask_b32_e32 v8, v8, v16, vcc
	v_lshlrev_b32_e32 v14, 24, v4
	v_lshlrev_b32_e32 v8, 20, v8
	v_and_b32_e32 v14, 0x80000000, v14
	v_lshl_add_u32 v6, v6, 23, v10
	v_or3_b32 v6, v14, v6, v8
	v_lshrrev_b32_e32 v14, 16, v6
.LBB795_1160:                           ;   in Loop: Header=BB795_796 Depth=1
	s_or_b64 exec, exec, s[18:19]
.LBB795_1161:                           ;   in Loop: Header=BB795_796 Depth=1
	s_or_b64 exec, exec, s[16:17]
.LBB795_1162:                           ;   in Loop: Header=BB795_796 Depth=1
	s_or_b64 exec, exec, s[14:15]
	v_lshrrev_b16_e32 v6, 8, v4
	v_cmp_ne_u16_e32 vcc, 0, v6
	v_mov_b32_e32 v16, 0
	v_mov_b32_e32 v8, 0
	s_and_saveexec_b64 s[14:15], vcc
	s_cbranch_execz .LBB795_1168
; %bb.1163:                             ;   in Loop: Header=BB795_796 Depth=1
	v_cmp_ne_u16_e32 vcc, s21, v6
	v_mov_b32_e32 v8, 0xffff8000
	s_and_saveexec_b64 s[16:17], vcc
	s_cbranch_execz .LBB795_1167
; %bb.1164:                             ;   in Loop: Header=BB795_796 Depth=1
	v_and_b32_e32 v17, 0x7f, v6
	v_cmp_ne_u32_e32 vcc, s23, v17
	v_mov_b32_e32 v8, 0x7f80
	s_and_saveexec_b64 s[18:19], vcc
	s_cbranch_execz .LBB795_1166
; %bb.1165:                             ;   in Loop: Header=BB795_796 Depth=1
	v_and_b32_e32 v8, 7, v6
	v_ffbh_u32_e32 v18, v8
	v_min_u32_e32 v21, 32, v18
	v_subrev_u32_e32 v18, 28, v21
	v_lshlrev_b64 v[18:19], v18, v[6:7]
	v_lshrrev_b32_e32 v20, 3, v17
	v_sub_u32_e32 v6, 29, v21
	v_and_b32_e32 v18, 7, v18
	v_cmp_gt_u32_e32 vcc, 8, v17
	v_cndmask_b32_e32 v6, v20, v6, vcc
	v_cndmask_b32_e32 v8, v8, v18, vcc
	v_lshlrev_b32_e32 v17, 16, v4
	v_lshlrev_b32_e32 v8, 20, v8
	v_and_b32_e32 v17, 0x80000000, v17
	v_lshl_add_u32 v6, v6, 23, v10
	v_or3_b32 v6, v17, v6, v8
	v_lshrrev_b32_e32 v8, 16, v6
.LBB795_1166:                           ;   in Loop: Header=BB795_796 Depth=1
	s_or_b64 exec, exec, s[18:19]
.LBB795_1167:                           ;   in Loop: Header=BB795_796 Depth=1
	s_or_b64 exec, exec, s[16:17]
.LBB795_1168:                           ;   in Loop: Header=BB795_796 Depth=1
	s_or_b64 exec, exec, s[14:15]
	v_lshrrev_b32_e32 v6, 16, v4
	v_cmp_ne_u16_sdwa s[16:17], v6, v9 src0_sel:BYTE_0 src1_sel:DWORD
	s_and_saveexec_b64 s[14:15], s[16:17]
	s_cbranch_execz .LBB795_1174
; %bb.1169:                             ;   in Loop: Header=BB795_796 Depth=1
	v_cmp_ne_u16_sdwa s[18:19], v6, s21 src0_sel:BYTE_0 src1_sel:DWORD
	v_mov_b32_e32 v16, 0xffff8000
	s_and_saveexec_b64 s[16:17], s[18:19]
	s_cbranch_execz .LBB795_1173
; %bb.1170:                             ;   in Loop: Header=BB795_796 Depth=1
	v_bfe_u32 v17, v4, 16, 7
	v_cmp_ne_u32_e32 vcc, s23, v17
	v_mov_b32_e32 v16, 0x7f80
	s_and_saveexec_b64 s[18:19], vcc
	s_cbranch_execz .LBB795_1172
; %bb.1171:                             ;   in Loop: Header=BB795_796 Depth=1
	v_and_b32_e32 v16, 7, v6
	v_ffbh_u32_e32 v18, v16
	v_min_u32_e32 v21, 32, v18
	v_subrev_u32_e32 v18, 28, v21
	v_lshlrev_b64 v[18:19], v18, v[6:7]
	v_lshrrev_b32_e32 v20, 3, v17
	v_sub_u32_e32 v19, 29, v21
	v_and_b32_e32 v18, 7, v18
	v_cmp_gt_u32_e32 vcc, 8, v17
	v_cndmask_b32_e32 v17, v20, v19, vcc
	v_cndmask_b32_e32 v16, v16, v18, vcc
	v_lshlrev_b32_e32 v6, 24, v6
	v_lshlrev_b32_e32 v16, 20, v16
	v_and_b32_e32 v6, 0x80000000, v6
	v_lshl_add_u32 v17, v17, 23, v10
	v_or3_b32 v6, v6, v17, v16
	v_lshrrev_b32_e32 v16, 16, v6
.LBB795_1172:                           ;   in Loop: Header=BB795_796 Depth=1
	s_or_b64 exec, exec, s[18:19]
.LBB795_1173:                           ;   in Loop: Header=BB795_796 Depth=1
	s_or_b64 exec, exec, s[16:17]
.LBB795_1174:                           ;   in Loop: Header=BB795_796 Depth=1
	s_or_b64 exec, exec, s[14:15]
	v_cmp_lt_u32_e32 vcc, s25, v4
	v_mov_b32_e32 v17, 0
	s_and_saveexec_b64 s[14:15], vcc
	s_cbranch_execz .LBB795_795
; %bb.1175:                             ;   in Loop: Header=BB795_796 Depth=1
	v_lshrrev_b32_e32 v6, 24, v4
	v_cmp_ne_u32_e32 vcc, s21, v6
	v_mov_b32_e32 v17, 0xffff8000
	s_and_saveexec_b64 s[16:17], vcc
	s_cbranch_execz .LBB795_794
; %bb.1176:                             ;   in Loop: Header=BB795_796 Depth=1
	v_bfe_u32 v4, v4, 24, 7
	v_cmp_ne_u32_e32 vcc, s23, v4
	v_mov_b32_e32 v17, 0x7f80
	s_and_saveexec_b64 s[18:19], vcc
	s_cbranch_execz .LBB795_793
; %bb.1177:                             ;   in Loop: Header=BB795_796 Depth=1
	v_and_b32_e32 v17, 7, v6
	v_ffbh_u32_e32 v18, v17
	v_min_u32_e32 v21, 32, v18
	v_subrev_u32_e32 v18, 28, v21
	v_lshlrev_b64 v[18:19], v18, v[6:7]
	v_lshrrev_b32_e32 v20, 3, v4
	v_sub_u32_e32 v19, 29, v21
	v_and_b32_e32 v18, 7, v18
	v_cmp_gt_u32_e32 vcc, 8, v4
	v_cndmask_b32_e32 v4, v20, v19, vcc
	v_cndmask_b32_e32 v17, v17, v18, vcc
	v_lshlrev_b32_e32 v6, 24, v6
	v_lshlrev_b32_e32 v17, 20, v17
	v_and_b32_e32 v6, 0x80000000, v6
	v_lshl_add_u32 v4, v4, 23, v10
	v_or3_b32 v4, v6, v4, v17
	v_lshrrev_b32_e32 v17, 16, v4
	s_branch .LBB795_793
.LBB795_1178:
	s_or_b64 exec, exec, s[6:7]
	v_cmp_gt_u32_e32 vcc, 64, v0
	s_waitcnt lgkmcnt(0)
	s_barrier
	s_and_saveexec_b64 s[6:7], vcc
	s_cbranch_execz .LBB795_1180
; %bb.1179:
	v_mul_u32_u24_e32 v6, 40, v1
	ds_read2_b64 v[2:5], v6 offset1:1
	ds_read2_b64 v[6:9], v6 offset0:2 offset1:3
	s_mov_b32 s5, 0
	s_lshl_b32 s4, s4, 7
	s_lshl_b64 s[6:7], s[4:5], 1
	s_waitcnt lgkmcnt(1)
	v_and_b32_e32 v3, 0xffff0000, v2
	v_add_f32_e32 v3, 0, v3
	v_and_b32_e32 v5, 0xffff0000, v4
	v_and_b32_e32 v3, 0xffff0000, v3
	v_add_f32_e32 v3, v3, v5
	s_waitcnt lgkmcnt(0)
	v_and_b32_e32 v7, 0xffff0000, v6
	v_and_b32_e32 v3, 0xffff0000, v3
	v_add_f32_e32 v3, v3, v7
	v_mov_b32_e32 v7, 0xa00
	v_mad_u32_u24 v7, v1, 40, v7
	ds_read2_b64 v[10:13], v7 offset1:1
	v_and_b32_e32 v3, 0xffff0000, v3
	v_and_b32_e32 v5, 0xffff0000, v8
	v_add_f32_e32 v7, v3, v5
	v_mov_b32_e32 v3, 0xa10
	v_mad_u32_u24 v1, v1, 40, v3
	ds_read2_b64 v[14:17], v1 offset1:1
	s_waitcnt lgkmcnt(1)
	v_lshlrev_b32_e32 v1, 16, v10
	v_add_f32_e32 v1, 0, v1
	v_and_b32_e32 v3, 0xffff0000, v10
	v_and_b32_e32 v1, 0xffff0000, v1
	v_add_f32_e32 v3, 0, v3
	v_lshlrev_b32_e32 v5, 16, v12
	v_and_b32_e32 v3, 0xffff0000, v3
	v_add_f32_e32 v1, v1, v5
	v_and_b32_e32 v5, 0xffff0000, v12
	v_and_b32_e32 v1, 0xffff0000, v1
	v_add_f32_e32 v3, v3, v5
	s_waitcnt lgkmcnt(0)
	v_lshlrev_b32_e32 v5, 16, v14
	v_and_b32_e32 v3, 0xffff0000, v3
	v_add_f32_e32 v1, v1, v5
	v_and_b32_e32 v5, 0xffff0000, v14
	v_and_b32_e32 v1, 0xffff0000, v1
	v_add_f32_e32 v3, v3, v5
	v_lshlrev_b32_e32 v5, 16, v16
	v_and_b32_e32 v3, 0xffff0000, v3
	v_add_f32_e32 v9, v1, v5
	v_and_b32_e32 v1, 0xffff0000, v16
	v_add_f32_e32 v10, v3, v1
	v_lshlrev_b32_e32 v1, 16, v2
	s_add_u32 s6, s26, s6
	v_add_f32_e32 v1, 0, v1
	s_addc_u32 s7, s27, s7
	s_lshl_b32 s4, s24, 7
	v_and_b32_e32 v1, 0xffff0000, v1
	v_lshlrev_b32_e32 v2, 16, v4
	s_lshl_b64 s[4:5], s[4:5], 1
	v_add_f32_e32 v1, v1, v2
	s_add_u32 s4, s6, s4
	v_and_b32_e32 v1, 0xffff0000, v1
	v_lshlrev_b32_e32 v2, 16, v6
	s_addc_u32 s5, s7, s5
	s_lshl_b32 s6, s42, 7
	v_add_f32_e32 v1, v1, v2
	v_and_b32_e32 v1, 0xffff0000, v1
	v_lshlrev_b32_e32 v2, 16, v8
	s_mul_i32 s7, s6, s33
	v_add_f32_e32 v1, v1, v2
	v_or_b32_e32 v2, s7, v0
	v_mov_b32_e32 v3, 0
	v_lshlrev_b64 v[4:5], 1, v[2:3]
	v_mov_b32_e32 v2, s5
	v_add_co_u32_e32 v4, vcc, s4, v4
	s_add_i32 s7, s7, s6
	v_addc_co_u32_e32 v5, vcc, v2, v5, vcc
	v_or_b32_e32 v2, s7, v0
	global_store_short_d16_hi v[4:5], v1, off
	v_lshlrev_b64 v[0:1], 1, v[2:3]
	v_mov_b32_e32 v2, s5
	v_add_co_u32_e32 v0, vcc, s4, v0
	v_addc_co_u32_e32 v1, vcc, v2, v1, vcc
	global_store_short_d16_hi v[0:1], v7, off
	global_store_short_d16_hi v[4:5], v9, off offset:128
	global_store_short_d16_hi v[0:1], v10, off offset:128
.LBB795_1180:
	s_endpgm
	.section	.rodata,"a",@progbits
	.p2align	6, 0x0
	.amdhsa_kernel _Z38paged_attention_ll4mi_QKV_mfma4_kernelI14__hip_bfloat16hLN4vllm18Fp8KVCacheDataTypeE1ES0_Li32ELi128ELi256ELb1ELi2EEvPKT_PKT0_S8_ifPKiSA_SA_iPKfiiiPfSD_PS3_PT2_iSC_SC_
		.amdhsa_group_segment_fixed_size 5280
		.amdhsa_private_segment_fixed_size 144
		.amdhsa_kernarg_size 400
		.amdhsa_user_sgpr_count 8
		.amdhsa_user_sgpr_private_segment_buffer 1
		.amdhsa_user_sgpr_dispatch_ptr 0
		.amdhsa_user_sgpr_queue_ptr 0
		.amdhsa_user_sgpr_kernarg_segment_ptr 1
		.amdhsa_user_sgpr_dispatch_id 0
		.amdhsa_user_sgpr_flat_scratch_init 1
		.amdhsa_user_sgpr_kernarg_preload_length 0
		.amdhsa_user_sgpr_kernarg_preload_offset 0
		.amdhsa_user_sgpr_private_segment_size 0
		.amdhsa_uses_dynamic_stack 0
		.amdhsa_system_sgpr_private_segment_wavefront_offset 1
		.amdhsa_system_sgpr_workgroup_id_x 1
		.amdhsa_system_sgpr_workgroup_id_y 1
		.amdhsa_system_sgpr_workgroup_id_z 1
		.amdhsa_system_sgpr_workgroup_info 0
		.amdhsa_system_vgpr_workitem_id 0
		.amdhsa_next_free_vgpr 84
		.amdhsa_next_free_sgpr 48
		.amdhsa_accum_offset 80
		.amdhsa_reserve_vcc 1
		.amdhsa_reserve_flat_scratch 0
		.amdhsa_float_round_mode_32 0
		.amdhsa_float_round_mode_16_64 0
		.amdhsa_float_denorm_mode_32 3
		.amdhsa_float_denorm_mode_16_64 3
		.amdhsa_dx10_clamp 1
		.amdhsa_ieee_mode 1
		.amdhsa_fp16_overflow 0
		.amdhsa_tg_split 0
		.amdhsa_exception_fp_ieee_invalid_op 0
		.amdhsa_exception_fp_denorm_src 0
		.amdhsa_exception_fp_ieee_div_zero 0
		.amdhsa_exception_fp_ieee_overflow 0
		.amdhsa_exception_fp_ieee_underflow 0
		.amdhsa_exception_fp_ieee_inexact 0
		.amdhsa_exception_int_div_zero 0
	.end_amdhsa_kernel
	.section	.text._Z38paged_attention_ll4mi_QKV_mfma4_kernelI14__hip_bfloat16hLN4vllm18Fp8KVCacheDataTypeE1ES0_Li32ELi128ELi256ELb1ELi2EEvPKT_PKT0_S8_ifPKiSA_SA_iPKfiiiPfSD_PS3_PT2_iSC_SC_,"axG",@progbits,_Z38paged_attention_ll4mi_QKV_mfma4_kernelI14__hip_bfloat16hLN4vllm18Fp8KVCacheDataTypeE1ES0_Li32ELi128ELi256ELb1ELi2EEvPKT_PKT0_S8_ifPKiSA_SA_iPKfiiiPfSD_PS3_PT2_iSC_SC_,comdat
.Lfunc_end795:
	.size	_Z38paged_attention_ll4mi_QKV_mfma4_kernelI14__hip_bfloat16hLN4vllm18Fp8KVCacheDataTypeE1ES0_Li32ELi128ELi256ELb1ELi2EEvPKT_PKT0_S8_ifPKiSA_SA_iPKfiiiPfSD_PS3_PT2_iSC_SC_, .Lfunc_end795-_Z38paged_attention_ll4mi_QKV_mfma4_kernelI14__hip_bfloat16hLN4vllm18Fp8KVCacheDataTypeE1ES0_Li32ELi128ELi256ELb1ELi2EEvPKT_PKT0_S8_ifPKiSA_SA_iPKfiiiPfSD_PS3_PT2_iSC_SC_
                                        ; -- End function
	.section	.AMDGPU.csdata,"",@progbits
; Kernel info:
; codeLenInByte = 39644
; NumSgprs: 52
; NumVgprs: 78
; NumAgprs: 4
; TotalNumVgprs: 84
; ScratchSize: 144
; MemoryBound: 0
; FloatMode: 240
; IeeeMode: 1
; LDSByteSize: 5280 bytes/workgroup (compile time only)
; SGPRBlocks: 6
; VGPRBlocks: 10
; NumSGPRsForWavesPerEU: 52
; NumVGPRsForWavesPerEU: 84
; AccumOffset: 80
; Occupancy: 5
; WaveLimiterHint : 1
; COMPUTE_PGM_RSRC2:SCRATCH_EN: 1
; COMPUTE_PGM_RSRC2:USER_SGPR: 8
; COMPUTE_PGM_RSRC2:TRAP_HANDLER: 0
; COMPUTE_PGM_RSRC2:TGID_X_EN: 1
; COMPUTE_PGM_RSRC2:TGID_Y_EN: 1
; COMPUTE_PGM_RSRC2:TGID_Z_EN: 1
; COMPUTE_PGM_RSRC2:TIDIG_COMP_CNT: 0
; COMPUTE_PGM_RSRC3_GFX90A:ACCUM_OFFSET: 19
; COMPUTE_PGM_RSRC3_GFX90A:TG_SPLIT: 0
	.section	.text._Z38paged_attention_ll4mi_QKV_mfma4_kernelI14__hip_bfloat16hLN4vllm18Fp8KVCacheDataTypeE1ES0_Li32ELi128ELi256ELb1ELi3EEvPKT_PKT0_S8_ifPKiSA_SA_iPKfiiiPfSD_PS3_PT2_iSC_SC_,"axG",@progbits,_Z38paged_attention_ll4mi_QKV_mfma4_kernelI14__hip_bfloat16hLN4vllm18Fp8KVCacheDataTypeE1ES0_Li32ELi128ELi256ELb1ELi3EEvPKT_PKT0_S8_ifPKiSA_SA_iPKfiiiPfSD_PS3_PT2_iSC_SC_,comdat
	.protected	_Z38paged_attention_ll4mi_QKV_mfma4_kernelI14__hip_bfloat16hLN4vllm18Fp8KVCacheDataTypeE1ES0_Li32ELi128ELi256ELb1ELi3EEvPKT_PKT0_S8_ifPKiSA_SA_iPKfiiiPfSD_PS3_PT2_iSC_SC_ ; -- Begin function _Z38paged_attention_ll4mi_QKV_mfma4_kernelI14__hip_bfloat16hLN4vllm18Fp8KVCacheDataTypeE1ES0_Li32ELi128ELi256ELb1ELi3EEvPKT_PKT0_S8_ifPKiSA_SA_iPKfiiiPfSD_PS3_PT2_iSC_SC_
	.globl	_Z38paged_attention_ll4mi_QKV_mfma4_kernelI14__hip_bfloat16hLN4vllm18Fp8KVCacheDataTypeE1ES0_Li32ELi128ELi256ELb1ELi3EEvPKT_PKT0_S8_ifPKiSA_SA_iPKfiiiPfSD_PS3_PT2_iSC_SC_
	.p2align	8
	.type	_Z38paged_attention_ll4mi_QKV_mfma4_kernelI14__hip_bfloat16hLN4vllm18Fp8KVCacheDataTypeE1ES0_Li32ELi128ELi256ELb1ELi3EEvPKT_PKT0_S8_ifPKiSA_SA_iPKfiiiPfSD_PS3_PT2_iSC_SC_,@function
_Z38paged_attention_ll4mi_QKV_mfma4_kernelI14__hip_bfloat16hLN4vllm18Fp8KVCacheDataTypeE1ES0_Li32ELi128ELi256ELb1ELi3EEvPKT_PKT0_S8_ifPKiSA_SA_iPKfiiiPfSD_PS3_PT2_iSC_SC_: ; @_Z38paged_attention_ll4mi_QKV_mfma4_kernelI14__hip_bfloat16hLN4vllm18Fp8KVCacheDataTypeE1ES0_Li32ELi128ELi256ELb1ELi3EEvPKT_PKT0_S8_ifPKiSA_SA_iPKfiiiPfSD_PS3_PT2_iSC_SC_
; %bb.0:
	s_load_dwordx2 s[12:13], s[4:5], 0x30
	s_add_u32 s0, s0, s11
	s_addc_u32 s1, s1, 0
	s_mov_b32 s14, s9
	s_mov_b64 s[6:7], 0
	s_waitcnt lgkmcnt(0)
	s_cmp_lg_u64 s[12:13], 0
	s_cselect_b64 s[24:25], -1, 0
	s_and_b64 vcc, exec, s[24:25]
	s_cbranch_vccz .LBB796_10
; %bb.1:
	s_add_i32 s16, s8, 1
	s_mov_b32 s17, 0
	s_lshl_b64 s[18:19], s[16:17], 2
	s_add_u32 s18, s12, s18
	s_mov_b32 s9, s17
	s_addc_u32 s19, s13, s19
	s_lshl_b64 s[16:17], s[8:9], 2
	s_add_u32 s16, s12, s16
	s_addc_u32 s17, s13, s17
	s_load_dword s11, s[18:19], 0x0
	s_load_dword s15, s[16:17], 0x0
	s_waitcnt lgkmcnt(0)
	s_sub_i32 s11, s11, s15
	s_cmp_eq_u32 s11, 1
	s_cselect_b64 s[16:17], -1, 0
	s_andn2_b64 vcc, exec, s[6:7]
	s_cbranch_vccnz .LBB796_3
.LBB796_2:
	s_mov_b32 s9, 0
	s_mov_b64 s[16:17], -1
.LBB796_3:
	s_andn2_b64 vcc, exec, s[16:17]
	s_cbranch_vccnz .LBB796_1180
; %bb.4:
	s_load_dword s11, s[4:5], 0x9c
	s_load_dwordx2 s[6:7], s[4:5], 0x28
	s_add_u32 s30, s4, 0x90
	s_addc_u32 s31, s5, 0
	s_lshl_b64 s[26:27], s[8:9], 2
	s_waitcnt lgkmcnt(0)
	s_and_b32 s11, s11, 0xffff
	s_add_u32 s6, s6, s26
	s_addc_u32 s7, s7, s27
	s_load_dword s9, s[6:7], 0x0
	s_mul_i32 s11, s14, s11
	s_waitcnt lgkmcnt(0)
	s_cmp_ge_i32 s11, s9
	s_cbranch_scc1 .LBB796_1180
; %bb.5:
	v_and_b32_e32 v1, 0xc0, v0
	v_add_u32_e32 v7, s11, v1
	v_lshrrev_b32_e32 v42, 6, v0
	v_cmp_le_i32_e64 s[6:7], s9, v7
                                        ; implicit-def: $sgpr36
                                        ; implicit-def: $sgpr15
	s_and_saveexec_b64 s[16:17], s[6:7]
	s_xor_b64 s[16:17], exec, s[16:17]
	s_cbranch_execz .LBB796_7
; %bb.6:
	v_mul_u32_u24_e32 v1, 20, v42
	v_or_b32_e32 v1, 0x1400, v1
	v_mov_b32_e32 v2, 0x1450
	v_mov_b32_e32 v3, 0xff7fffff
	v_mad_u32_u24 v2, v42, 20, v2
	ds_write2_b32 v1, v3, v3 offset1:1
	v_mov_b32_e32 v1, 0
	ds_write2_b32 v2, v1, v1 offset1:1
	v_mov_b32_e32 v2, 0x1408
	s_mov_b32 s15, 0xff7fffff
	s_mov_b32 s36, 0
	v_mad_u32_u24 v2, v42, 20, v2
	v_mov_b32_e32 v4, 0x1458
	v_mad_u32_u24 v4, v42, 20, v4
	ds_write2_b32 v2, v3, v3 offset1:1
	ds_write2_b32 v4, v1, v1 offset1:1
                                        ; implicit-def: $vgpr7
.LBB796_7:
	s_or_saveexec_b64 s[34:35], s[16:17]
	s_load_dwordx2 s[28:29], s[4:5], 0x68
	s_load_dwordx4 s[20:23], s[4:5], 0x58
	s_load_dword s44, s[30:31], 0x4
	s_load_dwordx4 s[16:19], s[4:5], 0x80
	v_and_b32_e32 v1, 63, v0
	v_and_b32_e32 v43, 3, v0
	s_mul_i32 s33, s10, 3
	v_mov_b32_e32 v5, s36
	v_mov_b32_e32 v6, s15
	;; [unrolled: 1-line block ×5, first 2 shown]
	s_xor_b64 exec, exec, s[34:35]
	s_cbranch_execz .LBB796_787
; %bb.8:
	s_add_i32 s38, s9, 31
	s_load_dwordx2 s[36:37], s[4:5], 0x20
	s_load_dword s15, s[4:5], 0x38
	s_ashr_i32 s39, s38, 31
	s_lshr_b32 s39, s39, 27
	v_add_u32_e32 v44, s11, v0
	s_add_i32 s38, s38, s39
	v_ashrrev_i32_e32 v2, 31, v44
	s_ashr_i32 s38, s38, 5
	v_lshrrev_b32_e32 v2, 27, v2
	s_add_i32 s40, s38, -1
	v_add_u32_e32 v2, v44, v2
	s_waitcnt lgkmcnt(0)
	s_mul_i32 s38, s8, s15
	s_mov_b32 s39, 0
	v_ashrrev_i32_e32 v2, 5, v2
	v_mov_b32_e32 v3, s40
	v_cmp_gt_i32_e32 vcc, s9, v44
	s_lshl_b64 s[38:39], s[38:39], 2
	v_cndmask_b32_e32 v2, v3, v2, vcc
	s_add_u32 s15, s36, s38
	v_ashrrev_i32_e32 v3, 31, v2
	s_addc_u32 s36, s37, s39
	v_lshlrev_b64 v[2:3], 2, v[2:3]
	v_mov_b32_e32 v4, s36
	v_add_co_u32_e32 v2, vcc, s15, v2
	v_addc_co_u32_e32 v3, vcc, v4, v3, vcc
	v_ashrrev_i32_e32 v4, 31, v7
	v_lshrrev_b32_e32 v4, 27, v4
	v_add_u32_e32 v4, v7, v4
	v_ashrrev_i32_e32 v6, 5, v4
	v_min_i32_e32 v4, s40, v6
	v_ashrrev_i32_e32 v5, 31, v4
	v_lshlrev_b64 v[4:5], 2, v[4:5]
	v_add_u32_e32 v6, 1, v6
	v_mov_b32_e32 v7, s36
	v_add_co_u32_e32 v4, vcc, s15, v4
	v_min_i32_e32 v6, s40, v6
	v_addc_co_u32_e32 v5, vcc, v7, v5, vcc
	v_ashrrev_i32_e32 v7, 31, v6
	v_lshlrev_b64 v[6:7], 2, v[6:7]
	v_mov_b32_e32 v9, s36
	v_add_co_u32_e32 v8, vcc, s15, v6
	v_addc_co_u32_e32 v9, vcc, v9, v7, vcc
	global_load_dword v6, v[2:3], off
	global_load_dword v41, v[4:5], off
	global_load_dword v40, v[8:9], off
	s_load_dwordx2 s[38:39], s[4:5], 0x8
	s_andn2_b64 vcc, exec, s[24:25]
	s_cbranch_vccnz .LBB796_11
; %bb.9:
	s_add_u32 s12, s12, s26
	s_addc_u32 s13, s13, s27
	s_load_dword s11, s[12:13], 0x0
	s_branch .LBB796_12
.LBB796_10:
	s_mov_b64 s[16:17], 0
	s_branch .LBB796_2
.LBB796_11:
	s_mov_b32 s11, s8
.LBB796_12:
	s_load_dwordx2 s[36:37], s[4:5], 0x10
	s_load_dwordx4 s[24:27], s[4:5], 0x48
	v_cmp_eq_u32_e32 vcc, 3, v43
	v_cmp_ne_u32_e64 s[12:13], 3, v43
	s_mov_b32 s43, 0
	v_mov_b32_e32 v45, 0
	v_mov_b32_e32 v2, 0
	;; [unrolled: 1-line block ×5, first 2 shown]
	s_and_saveexec_b64 s[40:41], s[12:13]
	s_cbranch_execz .LBB796_14
; %bb.13:
	s_load_dwordx2 s[46:47], s[4:5], 0x0
	s_waitcnt lgkmcnt(0)
	s_ashr_i32 s15, s24, 31
	s_mul_hi_u32 s27, s11, s24
	s_mul_i32 s15, s11, s15
	s_add_i32 s49, s27, s15
	s_mul_i32 s48, s11, s24
	s_lshl_b64 s[48:49], s[48:49], 1
	s_add_u32 s11, s46, s48
	s_mul_i32 s42, s10, 0x180
	s_addc_u32 s15, s47, s49
	s_lshl_b64 s[42:43], s[42:43], 1
	v_lshlrev_b32_e32 v2, 2, v1
	s_add_u32 s42, s11, s42
	v_and_b32_e32 v2, 0xf0, v2
	s_addc_u32 s43, s15, s43
	v_lshl_or_b32 v2, v43, 8, v2
	global_load_dwordx4 v[2:5], v2, s[42:43]
.LBB796_14:
	s_or_b64 exec, exec, s[40:41]
	s_waitcnt lgkmcnt(0)
	s_mul_i32 s15, s10, s26
	s_add_u32 s10, s15, s38
	s_addc_u32 s11, 0, s39
	v_pk_mov_b32 v[8:9], s[10:11], s[10:11] op_sel:[0,1]
	s_waitcnt vmcnt(2)
	v_mad_i64_i32 v[6:7], s[10:11], v6, s25, v[8:9]
	v_lshlrev_b32_e32 v8, 4, v0
	v_and_b32_e32 v8, 0x1f0, v8
	v_add_co_u32_e64 v38, s[10:11], v6, v8
	v_addc_co_u32_e64 v39, s[10:11], 0, v7, s[10:11]
	global_load_dwordx4 v[34:37], v[38:39], off
	global_load_dwordx4 v[30:33], v[38:39], off offset:512
	global_load_dwordx4 v[26:29], v[38:39], off offset:1024
	;; [unrolled: 1-line block ×7, first 2 shown]
	s_and_saveexec_b64 s[26:27], s[12:13]
	s_cbranch_execz .LBB796_16
; %bb.15:
	s_load_dwordx2 s[10:11], s[4:5], 0x40
	v_add_u32_e32 v38, s33, v43
	v_mov_b32_e32 v39, 0
	v_lshlrev_b64 v[38:39], 2, v[38:39]
	s_waitcnt lgkmcnt(0)
	v_mov_b32_e32 v45, s11
	v_add_co_u32_e64 v38, s[10:11], s10, v38
	v_addc_co_u32_e64 v39, s[10:11], v45, v39, s[10:11]
	global_load_dword v45, v[38:39], off
.LBB796_16:
	s_or_b64 exec, exec, s[26:27]
	s_waitcnt vmcnt(9)
	v_mul_hi_i32 v38, v41, s25
	v_ashrrev_i32_e32 v38, 31, v38
	v_lshrrev_b32_e32 v38, 29, v38
	v_mov_b32_e32 v39, 0
	s_add_u32 s12, s36, s15
	v_mad_i64_i32 v[46:47], s[10:11], v41, s25, v[38:39]
	s_addc_u32 s13, s37, 0
	v_and_b32_e32 v38, -8, v46
	v_mov_b32_e32 v41, s13
	v_add_co_u32_e64 v38, s[10:11], s12, v38
	v_addc_co_u32_e64 v41, s[10:11], v41, v47, s[10:11]
	v_lshlrev_b32_e32 v64, 5, v1
	v_add_co_u32_e64 v62, s[10:11], v38, v64
	s_waitcnt vmcnt(8)
	v_mul_hi_i32 v38, v40, s25
	v_ashrrev_i32_e32 v38, 31, v38
	v_lshrrev_b32_e32 v38, 29, v38
	v_addc_co_u32_e64 v63, s[10:11], 0, v41, s[10:11]
	v_mad_i64_i32 v[40:41], s[10:11], v40, s25, v[38:39]
	v_and_b32_e32 v38, -8, v40
	v_mov_b32_e32 v40, s13
	v_add_co_u32_e64 v38, s[10:11], s12, v38
	v_addc_co_u32_e64 v41, s[10:11], v40, v41, s[10:11]
	v_add_co_u32_e64 v40, s[10:11], v38, v64
	v_addc_co_u32_e64 v41, s[10:11], 0, v41, s[10:11]
	global_load_dwordx4 v[46:49], v[62:63], off offset:16
	global_load_dwordx4 v[50:53], v[62:63], off
	global_load_dwordx4 v[54:57], v[62:63], off offset:2064
	global_load_dwordx4 v[58:61], v[62:63], off offset:2048
	s_nop 0
	global_load_dwordx4 v[62:65], v[40:41], off
	global_load_dwordx4 v[66:69], v[40:41], off offset:16
	global_load_dwordx4 v[70:73], v[40:41], off offset:2048
	;; [unrolled: 1-line block ×3, first 2 shown]
	s_waitcnt vmcnt(15)
	v_cmp_ne_u16_sdwa s[10:11], v34, v39 src0_sel:BYTE_0 src1_sel:DWORD
	s_waitcnt vmcnt(6)
	buffer_store_dword v51, off, s[0:3], 0 offset:4
	buffer_store_dword v50, off, s[0:3], 0
	buffer_store_dword v53, off, s[0:3], 0 offset:12
	buffer_store_dword v52, off, s[0:3], 0 offset:8
	buffer_store_dword v47, off, s[0:3], 0 offset:20
	buffer_store_dword v46, off, s[0:3], 0 offset:16
	buffer_store_dword v49, off, s[0:3], 0 offset:28
	buffer_store_dword v48, off, s[0:3], 0 offset:24
	s_waitcnt vmcnt(12)
	buffer_store_dword v59, off, s[0:3], 0 offset:68
	buffer_store_dword v58, off, s[0:3], 0 offset:64
	;; [unrolled: 1-line block ×8, first 2 shown]
	s_waitcnt vmcnt(19)
	buffer_store_dword v63, off, s[0:3], 0 offset:36
	buffer_store_dword v62, off, s[0:3], 0 offset:32
	buffer_store_dword v65, off, s[0:3], 0 offset:44
	buffer_store_dword v64, off, s[0:3], 0 offset:40
	s_waitcnt vmcnt(22)
	buffer_store_dword v67, off, s[0:3], 0 offset:52
	buffer_store_dword v66, off, s[0:3], 0 offset:48
	buffer_store_dword v69, off, s[0:3], 0 offset:60
	buffer_store_dword v68, off, s[0:3], 0 offset:56
	;; [unrolled: 5-line block ×4, first 2 shown]
	v_mov_b32_e32 v46, 0
	s_and_saveexec_b64 s[12:13], s[10:11]
	s_cbranch_execz .LBB796_22
; %bb.17:
	s_movk_i32 s10, 0x80
	v_cmp_ne_u16_sdwa s[10:11], v34, s10 src0_sel:BYTE_0 src1_sel:DWORD
	v_mov_b32_e32 v46, 0xffff8000
	s_and_saveexec_b64 s[24:25], s[10:11]
	s_cbranch_execz .LBB796_21
; %bb.18:
	s_movk_i32 s10, 0x7f
	v_and_b32_e32 v38, 0x7f, v34
	v_cmp_ne_u32_e64 s[10:11], s10, v38
	v_mov_b32_e32 v46, 0x7f80
	s_and_saveexec_b64 s[26:27], s[10:11]
	s_cbranch_execz .LBB796_20
; %bb.19:
	v_and_b32_e32 v40, 7, v34
	v_ffbh_u32_e32 v40, v40
	v_min_u32_e32 v40, 32, v40
	v_lshrrev_b32_e32 v41, 3, v38
	v_subrev_u32_e32 v46, 28, v40
	v_sub_u32_e32 v40, 29, v40
	v_cmp_gt_u32_e64 s[10:11], 8, v38
	v_cndmask_b32_e64 v38, v41, v40, s[10:11]
	v_cndmask_b32_e64 v40, 0, v46, s[10:11]
	v_lshlrev_b64 v[40:41], v40, v[34:35]
	v_lshlrev_b32_e32 v40, 20, v40
	v_lshlrev_b32_e32 v41, 24, v34
	v_bfrev_b32_e32 v46, 60
	v_and_b32_e32 v40, 0x700000, v40
	v_and_b32_e32 v41, 0x80000000, v41
	v_lshl_add_u32 v38, v38, 23, v46
	v_or3_b32 v38, v41, v38, v40
	v_lshrrev_b32_e32 v46, 16, v38
.LBB796_20:
	s_or_b64 exec, exec, s[26:27]
.LBB796_21:
	s_or_b64 exec, exec, s[24:25]
.LBB796_22:
	s_or_b64 exec, exec, s[12:13]
	v_lshrrev_b16_e32 v38, 8, v34
	v_cmp_ne_u16_e64 s[10:11], 0, v38
	s_and_saveexec_b64 s[12:13], s[10:11]
	s_cbranch_execz .LBB796_28
; %bb.23:
	s_movk_i32 s10, 0x80
	v_cmp_ne_u16_e64 s[10:11], s10, v38
	v_mov_b32_e32 v39, 0xffff8000
	s_and_saveexec_b64 s[24:25], s[10:11]
	s_cbranch_execz .LBB796_27
; %bb.24:
	s_movk_i32 s10, 0x7f
	v_and_b32_e32 v40, 0x7f, v38
	v_cmp_ne_u32_e64 s[10:11], s10, v40
	v_mov_b32_e32 v39, 0x7f80
	s_and_saveexec_b64 s[26:27], s[10:11]
	s_cbranch_execz .LBB796_26
; %bb.25:
	v_and_b32_e32 v41, 7, v38
	v_ffbh_u32_e32 v39, v41
	v_min_u32_e32 v48, 32, v39
	v_subrev_u32_e32 v39, 28, v48
	v_lshlrev_b64 v[38:39], v39, v[38:39]
	v_lshrrev_b32_e32 v47, 3, v40
	v_sub_u32_e32 v39, 29, v48
	v_and_b32_e32 v38, 7, v38
	v_cmp_gt_u32_e64 s[10:11], 8, v40
	v_cndmask_b32_e64 v39, v47, v39, s[10:11]
	v_cndmask_b32_e64 v38, v41, v38, s[10:11]
	v_lshlrev_b32_e32 v40, 16, v34
	v_bfrev_b32_e32 v41, 60
	v_lshlrev_b32_e32 v38, 20, v38
	v_and_b32_e32 v40, 0x80000000, v40
	v_lshl_add_u32 v39, v39, 23, v41
	v_or3_b32 v38, v40, v39, v38
	v_lshrrev_b32_e32 v39, 16, v38
.LBB796_26:
	s_or_b64 exec, exec, s[26:27]
.LBB796_27:
	s_or_b64 exec, exec, s[24:25]
.LBB796_28:
	s_or_b64 exec, exec, s[12:13]
	s_movk_i32 s10, 0xff
	v_and_b32_sdwa v40, v34, s10 dst_sel:DWORD dst_unused:UNUSED_PAD src0_sel:WORD_1 src1_sel:DWORD
	v_lshrrev_b32_e32 v38, 16, v34
	v_cmp_ne_u16_e64 s[10:11], 0, v40
	v_mov_b32_e32 v41, 0
	v_mov_b32_e32 v47, 0
	s_and_saveexec_b64 s[12:13], s[10:11]
	s_cbranch_execz .LBB796_34
; %bb.29:
	s_movk_i32 s10, 0x80
	v_cmp_ne_u16_e64 s[10:11], s10, v40
	v_mov_b32_e32 v47, 0xffff8000
	s_and_saveexec_b64 s[24:25], s[10:11]
	s_cbranch_execz .LBB796_33
; %bb.30:
	v_bfe_u32 v40, v34, 16, 7
	s_movk_i32 s10, 0x7f
	v_cmp_ne_u32_e64 s[10:11], s10, v40
	v_mov_b32_e32 v47, 0x7f80
	s_and_saveexec_b64 s[26:27], s[10:11]
	s_cbranch_execz .LBB796_32
; %bb.31:
	v_and_b32_e32 v47, 7, v38
	v_ffbh_u32_e32 v48, v47
	v_min_u32_e32 v51, 32, v48
	v_subrev_u32_e32 v48, 28, v51
	v_lshlrev_b64 v[48:49], v48, v[38:39]
	v_and_b32_e32 v48, 7, v48
	v_cmp_gt_u32_e64 s[10:11], 8, v40
	v_lshrrev_b32_e32 v50, 3, v40
	v_sub_u32_e32 v38, 29, v51
	v_cndmask_b32_e64 v40, v47, v48, s[10:11]
	v_mov_b32_e32 v47, 24
	v_cndmask_b32_e64 v38, v50, v38, s[10:11]
	v_lshlrev_b32_sdwa v47, v47, v34 dst_sel:DWORD dst_unused:UNUSED_PAD src0_sel:DWORD src1_sel:WORD_1
	v_bfrev_b32_e32 v48, 60
	v_lshlrev_b32_e32 v40, 20, v40
	v_and_b32_e32 v47, 0x80000000, v47
	v_lshl_add_u32 v38, v38, 23, v48
	v_or3_b32 v38, v47, v38, v40
	v_lshrrev_b32_e32 v47, 16, v38
.LBB796_32:
	s_or_b64 exec, exec, s[26:27]
.LBB796_33:
	s_or_b64 exec, exec, s[24:25]
.LBB796_34:
	s_or_b64 exec, exec, s[12:13]
	s_mov_b32 s10, 0xffffff
	v_cmp_lt_u32_e64 s[10:11], s10, v34
	v_mov_b32_e32 v48, 0
	s_and_saveexec_b64 s[12:13], s[10:11]
	s_cbranch_execz .LBB796_40
; %bb.35:
	v_lshrrev_b32_e32 v38, 24, v34
	s_movk_i32 s10, 0x80
	v_cmp_ne_u32_e64 s[10:11], s10, v38
	v_mov_b32_e32 v48, 0xffff8000
	s_and_saveexec_b64 s[24:25], s[10:11]
	s_cbranch_execz .LBB796_39
; %bb.36:
	v_bfe_u32 v40, v34, 24, 7
	s_movk_i32 s10, 0x7f
	v_cmp_ne_u32_e64 s[10:11], s10, v40
	v_mov_b32_e32 v48, 0x7f80
	s_and_saveexec_b64 s[26:27], s[10:11]
	s_cbranch_execz .LBB796_38
; %bb.37:
	v_and_b32_e32 v50, 7, v38
	v_ffbh_u32_e32 v48, v50
	v_min_u32_e32 v52, 32, v48
	v_subrev_u32_e32 v48, 28, v52
	v_lshlrev_b64 v[48:49], v48, v[38:39]
	v_lshrrev_b32_e32 v51, 3, v40
	v_sub_u32_e32 v49, 29, v52
	v_and_b32_e32 v48, 7, v48
	v_cmp_gt_u32_e64 s[10:11], 8, v40
	v_cndmask_b32_e64 v40, v51, v49, s[10:11]
	v_cndmask_b32_e64 v48, v50, v48, s[10:11]
	v_lshlrev_b32_e32 v38, 24, v38
	v_bfrev_b32_e32 v49, 60
	v_lshlrev_b32_e32 v48, 20, v48
	v_and_b32_e32 v38, 0x80000000, v38
	v_lshl_add_u32 v40, v40, 23, v49
	v_or3_b32 v38, v38, v40, v48
	v_lshrrev_b32_e32 v48, 16, v38
.LBB796_38:
	s_or_b64 exec, exec, s[26:27]
.LBB796_39:
	s_or_b64 exec, exec, s[24:25]
.LBB796_40:
	s_or_b64 exec, exec, s[12:13]
	v_mov_b32_e32 v49, 0
	v_mov_b32_e32 v40, v35
	v_cmp_ne_u16_sdwa s[10:11], v35, v49 src0_sel:BYTE_0 src1_sel:DWORD
	v_mov_b32_e32 v50, 0
	s_and_saveexec_b64 s[12:13], s[10:11]
	s_cbranch_execz .LBB796_46
; %bb.41:
	s_movk_i32 s10, 0x80
	v_cmp_ne_u16_sdwa s[10:11], v35, s10 src0_sel:BYTE_0 src1_sel:DWORD
	v_mov_b32_e32 v50, 0xffff8000
	s_and_saveexec_b64 s[24:25], s[10:11]
	s_cbranch_execz .LBB796_45
; %bb.42:
	s_movk_i32 s10, 0x7f
	v_and_b32_e32 v38, 0x7f, v35
	v_cmp_ne_u32_e64 s[10:11], s10, v38
	v_mov_b32_e32 v50, 0x7f80
	s_and_saveexec_b64 s[26:27], s[10:11]
	s_cbranch_execz .LBB796_44
; %bb.43:
	v_and_b32_e32 v50, 7, v35
	v_ffbh_u32_e32 v50, v50
	v_min_u32_e32 v50, 32, v50
	v_lshrrev_b32_e32 v51, 3, v38
	v_subrev_u32_e32 v52, 28, v50
	v_sub_u32_e32 v50, 29, v50
	v_cmp_gt_u32_e64 s[10:11], 8, v38
	v_cndmask_b32_e64 v38, v51, v50, s[10:11]
	v_cndmask_b32_e64 v50, 0, v52, s[10:11]
	v_lshlrev_b64 v[50:51], v50, v[40:41]
	v_lshlrev_b32_e32 v41, 20, v50
	v_lshlrev_b32_e32 v50, 24, v40
	v_bfrev_b32_e32 v51, 60
	v_and_b32_e32 v41, 0x700000, v41
	v_and_b32_e32 v50, 0x80000000, v50
	v_lshl_add_u32 v38, v38, 23, v51
	v_or3_b32 v38, v50, v38, v41
	v_lshrrev_b32_e32 v50, 16, v38
.LBB796_44:
	s_or_b64 exec, exec, s[26:27]
.LBB796_45:
	s_or_b64 exec, exec, s[24:25]
.LBB796_46:
	s_or_b64 exec, exec, s[12:13]
	v_lshrrev_b16_e32 v38, 8, v40
	v_cmp_ne_u16_e64 s[10:11], 0, v38
	s_and_saveexec_b64 s[12:13], s[10:11]
	s_cbranch_execz .LBB796_52
; %bb.47:
	s_movk_i32 s10, 0x80
	v_cmp_ne_u16_e64 s[10:11], s10, v38
	v_mov_b32_e32 v49, 0xffff8000
	s_and_saveexec_b64 s[24:25], s[10:11]
	s_cbranch_execz .LBB796_51
; %bb.48:
	s_movk_i32 s10, 0x7f
	v_and_b32_e32 v41, 0x7f, v38
	v_cmp_ne_u32_e64 s[10:11], s10, v41
	v_mov_b32_e32 v49, 0x7f80
	s_and_saveexec_b64 s[26:27], s[10:11]
	s_cbranch_execz .LBB796_50
; %bb.49:
	v_and_b32_e32 v49, 7, v38
	v_ffbh_u32_e32 v52, v49
	v_min_u32_e32 v54, 32, v52
	v_subrev_u32_e32 v52, 28, v54
	v_lshlrev_b64 v[52:53], v52, v[38:39]
	v_lshrrev_b32_e32 v51, 3, v41
	v_sub_u32_e32 v38, 29, v54
	v_and_b32_e32 v52, 7, v52
	v_cmp_gt_u32_e64 s[10:11], 8, v41
	v_cndmask_b32_e64 v38, v51, v38, s[10:11]
	v_cndmask_b32_e64 v41, v49, v52, s[10:11]
	v_lshlrev_b32_e32 v40, 16, v40
	v_bfrev_b32_e32 v49, 60
	v_lshlrev_b32_e32 v41, 20, v41
	v_and_b32_e32 v40, 0x80000000, v40
	v_lshl_add_u32 v38, v38, 23, v49
	v_or3_b32 v38, v40, v38, v41
	v_lshrrev_b32_e32 v49, 16, v38
.LBB796_50:
	s_or_b64 exec, exec, s[26:27]
.LBB796_51:
	s_or_b64 exec, exec, s[24:25]
.LBB796_52:
	s_or_b64 exec, exec, s[12:13]
	s_movk_i32 s10, 0xff
	v_and_b32_sdwa v51, v35, s10 dst_sel:DWORD dst_unused:UNUSED_PAD src0_sel:WORD_1 src1_sel:DWORD
	v_lshrrev_b32_e32 v38, 16, v35
	v_cmp_ne_u16_e64 s[10:11], 0, v51
	v_mov_b32_e32 v40, 0
	v_mov_b32_e32 v41, 0
	s_and_saveexec_b64 s[12:13], s[10:11]
	s_cbranch_execz .LBB796_58
; %bb.53:
	s_movk_i32 s10, 0x80
	v_cmp_ne_u16_e64 s[10:11], s10, v51
	v_mov_b32_e32 v41, 0xffff8000
	s_and_saveexec_b64 s[24:25], s[10:11]
	s_cbranch_execz .LBB796_57
; %bb.54:
	v_bfe_u32 v51, v35, 16, 7
	s_movk_i32 s10, 0x7f
	v_cmp_ne_u32_e64 s[10:11], s10, v51
	v_mov_b32_e32 v41, 0x7f80
	s_and_saveexec_b64 s[26:27], s[10:11]
	s_cbranch_execz .LBB796_56
; %bb.55:
	v_and_b32_e32 v41, 7, v38
	v_ffbh_u32_e32 v52, v41
	v_min_u32_e32 v55, 32, v52
	v_subrev_u32_e32 v52, 28, v55
	v_lshlrev_b64 v[52:53], v52, v[38:39]
	v_lshrrev_b32_e32 v54, 3, v51
	v_sub_u32_e32 v38, 29, v55
	v_and_b32_e32 v52, 7, v52
	v_cmp_gt_u32_e64 s[10:11], 8, v51
	v_mov_b32_e32 v51, 24
	v_cndmask_b32_e64 v38, v54, v38, s[10:11]
	v_cndmask_b32_e64 v41, v41, v52, s[10:11]
	v_lshlrev_b32_sdwa v51, v51, v35 dst_sel:DWORD dst_unused:UNUSED_PAD src0_sel:DWORD src1_sel:WORD_1
	v_bfrev_b32_e32 v52, 60
	v_lshlrev_b32_e32 v41, 20, v41
	v_and_b32_e32 v51, 0x80000000, v51
	v_lshl_add_u32 v38, v38, 23, v52
	v_or3_b32 v38, v51, v38, v41
	v_lshrrev_b32_e32 v41, 16, v38
.LBB796_56:
	s_or_b64 exec, exec, s[26:27]
.LBB796_57:
	s_or_b64 exec, exec, s[24:25]
.LBB796_58:
	s_or_b64 exec, exec, s[12:13]
	s_mov_b32 s10, -1
	s_mov_b32 s11, 0xffffff
	v_cmp_lt_u64_e64 s[10:11], s[10:11], v[34:35]
	s_and_saveexec_b64 s[12:13], s[10:11]
	s_cbranch_execz .LBB796_64
; %bb.59:
	v_lshrrev_b32_e32 v34, 24, v35
	s_movk_i32 s10, 0x80
	v_cmp_ne_u32_e64 s[10:11], s10, v34
	v_mov_b32_e32 v40, 0xffff8000
	s_and_saveexec_b64 s[24:25], s[10:11]
	s_cbranch_execz .LBB796_63
; %bb.60:
	v_bfe_u32 v35, v35, 24, 7
	s_movk_i32 s10, 0x7f
	v_cmp_ne_u32_e64 s[10:11], s10, v35
	v_mov_b32_e32 v40, 0x7f80
	s_and_saveexec_b64 s[26:27], s[10:11]
	s_cbranch_execz .LBB796_62
; %bb.61:
	v_and_b32_e32 v38, 7, v34
	v_ffbh_u32_e32 v51, v38
	v_min_u32_e32 v51, 32, v51
	v_subrev_u32_e32 v52, 28, v51
	v_lshlrev_b64 v[52:53], v52, v[34:35]
	v_lshrrev_b32_e32 v40, 3, v35
	v_sub_u32_e32 v51, 29, v51
	v_and_b32_e32 v52, 7, v52
	v_cmp_gt_u32_e64 s[10:11], 8, v35
	v_cndmask_b32_e64 v35, v40, v51, s[10:11]
	v_cndmask_b32_e64 v38, v38, v52, s[10:11]
	v_lshlrev_b32_e32 v34, 24, v34
	v_bfrev_b32_e32 v40, 60
	v_lshlrev_b32_e32 v38, 20, v38
	v_and_b32_e32 v34, 0x80000000, v34
	v_lshl_add_u32 v35, v35, 23, v40
	v_or3_b32 v34, v34, v35, v38
	v_lshrrev_b32_e32 v40, 16, v34
.LBB796_62:
	s_or_b64 exec, exec, s[26:27]
.LBB796_63:
	s_or_b64 exec, exec, s[24:25]
.LBB796_64:
	s_or_b64 exec, exec, s[12:13]
	s_mov_b32 s10, 0x5040100
	v_perm_b32 v35, v48, v47, s10
	v_perm_b32 v34, v39, v46, s10
	;; [unrolled: 1-line block ×4, first 2 shown]
	v_mfma_f32_4x4x4bf16_1k a[0:3], v[2:3], v[34:35], 0 cbsz:4
	v_mov_b32_e32 v39, 0
	v_mfma_f32_4x4x4bf16_1k a[0:3], v[4:5], v[40:41], a[0:3] cbsz:4
	v_mov_b32_e32 v40, 0
	v_cmp_ne_u16_sdwa s[10:11], v36, v40 src0_sel:BYTE_0 src1_sel:DWORD
	s_and_saveexec_b64 s[12:13], s[10:11]
	s_cbranch_execz .LBB796_70
; %bb.65:
	s_movk_i32 s10, 0x80
	v_cmp_ne_u16_sdwa s[10:11], v36, s10 src0_sel:BYTE_0 src1_sel:DWORD
	v_mov_b32_e32 v39, 0xffff8000
	s_and_saveexec_b64 s[24:25], s[10:11]
	s_cbranch_execz .LBB796_69
; %bb.66:
	s_movk_i32 s10, 0x7f
	v_and_b32_e32 v34, 0x7f, v36
	v_cmp_ne_u32_e64 s[10:11], s10, v34
	v_mov_b32_e32 v39, 0x7f80
	s_and_saveexec_b64 s[26:27], s[10:11]
	s_cbranch_execz .LBB796_68
; %bb.67:
	v_and_b32_e32 v35, 7, v36
	v_ffbh_u32_e32 v35, v35
	v_min_u32_e32 v35, 32, v35
	v_subrev_u32_e32 v39, 28, v35
	v_cmp_gt_u32_e64 s[10:11], 8, v34
	v_lshrrev_b32_e32 v38, 3, v34
	v_sub_u32_e32 v35, 29, v35
	v_cndmask_b32_e64 v34, 0, v39, s[10:11]
	v_cndmask_b32_e64 v38, v38, v35, s[10:11]
	v_lshlrev_b64 v[34:35], v34, v[36:37]
	v_lshlrev_b32_e32 v34, 20, v34
	v_lshlrev_b32_e32 v35, 24, v36
	v_bfrev_b32_e32 v39, 60
	v_and_b32_e32 v34, 0x700000, v34
	v_and_b32_e32 v35, 0x80000000, v35
	v_lshl_add_u32 v38, v38, 23, v39
	v_or3_b32 v34, v35, v38, v34
	v_lshrrev_b32_e32 v39, 16, v34
.LBB796_68:
	s_or_b64 exec, exec, s[26:27]
.LBB796_69:
	s_or_b64 exec, exec, s[24:25]
.LBB796_70:
	s_or_b64 exec, exec, s[12:13]
	v_lshrrev_b16_e32 v34, 8, v36
	v_cmp_ne_u16_e64 s[10:11], 0, v34
	s_and_saveexec_b64 s[12:13], s[10:11]
	s_cbranch_execz .LBB796_76
; %bb.71:
	s_movk_i32 s10, 0x80
	v_cmp_ne_u16_e64 s[10:11], s10, v34
	v_mov_b32_e32 v40, 0xffff8000
	s_and_saveexec_b64 s[24:25], s[10:11]
	s_cbranch_execz .LBB796_75
; %bb.72:
	s_movk_i32 s10, 0x7f
	v_and_b32_e32 v35, 0x7f, v34
	v_cmp_ne_u32_e64 s[10:11], s10, v35
	v_mov_b32_e32 v40, 0x7f80
	s_and_saveexec_b64 s[26:27], s[10:11]
	s_cbranch_execz .LBB796_74
; %bb.73:
	v_and_b32_e32 v38, 7, v34
	v_ffbh_u32_e32 v40, v38
	v_min_u32_e32 v47, 32, v40
	v_subrev_u32_e32 v40, 28, v47
	v_lshlrev_b64 v[40:41], v40, v[34:35]
	v_lshrrev_b32_e32 v46, 3, v35
	v_sub_u32_e32 v34, 29, v47
	v_and_b32_e32 v40, 7, v40
	v_cmp_gt_u32_e64 s[10:11], 8, v35
	v_cndmask_b32_e64 v34, v46, v34, s[10:11]
	v_cndmask_b32_e64 v35, v38, v40, s[10:11]
	v_lshlrev_b32_e32 v38, 16, v36
	v_bfrev_b32_e32 v40, 60
	v_lshlrev_b32_e32 v35, 20, v35
	v_and_b32_e32 v38, 0x80000000, v38
	v_lshl_add_u32 v34, v34, 23, v40
	v_or3_b32 v34, v38, v34, v35
	v_lshrrev_b32_e32 v40, 16, v34
.LBB796_74:
	s_or_b64 exec, exec, s[26:27]
.LBB796_75:
	s_or_b64 exec, exec, s[24:25]
.LBB796_76:
	s_or_b64 exec, exec, s[12:13]
	s_movk_i32 s10, 0xff
	v_and_b32_sdwa v38, v36, s10 dst_sel:DWORD dst_unused:UNUSED_PAD src0_sel:WORD_1 src1_sel:DWORD
	v_lshrrev_b32_e32 v34, 16, v36
	v_cmp_ne_u16_e64 s[10:11], 0, v38
	v_mov_b32_e32 v35, 0
	v_mov_b32_e32 v41, 0
	s_and_saveexec_b64 s[12:13], s[10:11]
	s_cbranch_execz .LBB796_82
; %bb.77:
	s_movk_i32 s10, 0x80
	v_cmp_ne_u16_e64 s[10:11], s10, v38
	v_mov_b32_e32 v41, 0xffff8000
	s_and_saveexec_b64 s[24:25], s[10:11]
	s_cbranch_execz .LBB796_81
; %bb.78:
	v_bfe_u32 v38, v36, 16, 7
	s_movk_i32 s10, 0x7f
	v_cmp_ne_u32_e64 s[10:11], s10, v38
	v_mov_b32_e32 v41, 0x7f80
	s_and_saveexec_b64 s[26:27], s[10:11]
	s_cbranch_execz .LBB796_80
; %bb.79:
	v_and_b32_e32 v41, 7, v34
	v_ffbh_u32_e32 v46, v41
	v_min_u32_e32 v49, 32, v46
	v_subrev_u32_e32 v46, 28, v49
	v_lshlrev_b64 v[46:47], v46, v[34:35]
	v_and_b32_e32 v46, 7, v46
	v_cmp_gt_u32_e64 s[10:11], 8, v38
	v_lshrrev_b32_e32 v48, 3, v38
	v_sub_u32_e32 v34, 29, v49
	v_cndmask_b32_e64 v38, v41, v46, s[10:11]
	v_mov_b32_e32 v41, 24
	v_cndmask_b32_e64 v34, v48, v34, s[10:11]
	v_lshlrev_b32_sdwa v41, v41, v36 dst_sel:DWORD dst_unused:UNUSED_PAD src0_sel:DWORD src1_sel:WORD_1
	v_bfrev_b32_e32 v46, 60
	v_lshlrev_b32_e32 v38, 20, v38
	v_and_b32_e32 v41, 0x80000000, v41
	v_lshl_add_u32 v34, v34, 23, v46
	v_or3_b32 v34, v41, v34, v38
	v_lshrrev_b32_e32 v41, 16, v34
.LBB796_80:
	s_or_b64 exec, exec, s[26:27]
.LBB796_81:
	s_or_b64 exec, exec, s[24:25]
.LBB796_82:
	s_or_b64 exec, exec, s[12:13]
	s_mov_b32 s10, 0xffffff
	v_cmp_lt_u32_e64 s[10:11], s10, v36
	v_mov_b32_e32 v46, 0
	s_and_saveexec_b64 s[12:13], s[10:11]
	s_cbranch_execz .LBB796_88
; %bb.83:
	v_lshrrev_b32_e32 v34, 24, v36
	s_movk_i32 s10, 0x80
	v_cmp_ne_u32_e64 s[10:11], s10, v34
	v_mov_b32_e32 v46, 0xffff8000
	s_and_saveexec_b64 s[24:25], s[10:11]
	s_cbranch_execz .LBB796_87
; %bb.84:
	v_bfe_u32 v38, v36, 24, 7
	s_movk_i32 s10, 0x7f
	v_cmp_ne_u32_e64 s[10:11], s10, v38
	v_mov_b32_e32 v46, 0x7f80
	s_and_saveexec_b64 s[26:27], s[10:11]
	s_cbranch_execz .LBB796_86
; %bb.85:
	v_and_b32_e32 v48, 7, v34
	v_ffbh_u32_e32 v46, v48
	v_min_u32_e32 v50, 32, v46
	v_subrev_u32_e32 v46, 28, v50
	v_lshlrev_b64 v[46:47], v46, v[34:35]
	v_lshrrev_b32_e32 v49, 3, v38
	v_sub_u32_e32 v47, 29, v50
	v_and_b32_e32 v46, 7, v46
	v_cmp_gt_u32_e64 s[10:11], 8, v38
	v_cndmask_b32_e64 v38, v49, v47, s[10:11]
	v_cndmask_b32_e64 v46, v48, v46, s[10:11]
	v_lshlrev_b32_e32 v34, 24, v34
	v_bfrev_b32_e32 v47, 60
	v_lshlrev_b32_e32 v46, 20, v46
	v_and_b32_e32 v34, 0x80000000, v34
	v_lshl_add_u32 v38, v38, 23, v47
	v_or3_b32 v34, v34, v38, v46
	v_lshrrev_b32_e32 v46, 16, v34
.LBB796_86:
	s_or_b64 exec, exec, s[26:27]
.LBB796_87:
	s_or_b64 exec, exec, s[24:25]
.LBB796_88:
	s_or_b64 exec, exec, s[12:13]
	v_mov_b32_e32 v47, 0
	v_mov_b32_e32 v34, v37
	v_cmp_ne_u16_sdwa s[10:11], v37, v47 src0_sel:BYTE_0 src1_sel:DWORD
	v_mov_b32_e32 v48, 0
	s_and_saveexec_b64 s[12:13], s[10:11]
	s_cbranch_execz .LBB796_94
; %bb.89:
	s_movk_i32 s10, 0x80
	v_cmp_ne_u16_sdwa s[10:11], v37, s10 src0_sel:BYTE_0 src1_sel:DWORD
	v_mov_b32_e32 v48, 0xffff8000
	s_and_saveexec_b64 s[24:25], s[10:11]
	s_cbranch_execz .LBB796_93
; %bb.90:
	s_movk_i32 s10, 0x7f
	v_and_b32_e32 v38, 0x7f, v37
	v_cmp_ne_u32_e64 s[10:11], s10, v38
	v_mov_b32_e32 v48, 0x7f80
	s_and_saveexec_b64 s[26:27], s[10:11]
	s_cbranch_execz .LBB796_92
; %bb.91:
	v_and_b32_e32 v48, 7, v37
	v_ffbh_u32_e32 v48, v48
	v_min_u32_e32 v48, 32, v48
	v_lshrrev_b32_e32 v49, 3, v38
	v_subrev_u32_e32 v50, 28, v48
	v_sub_u32_e32 v48, 29, v48
	v_cmp_gt_u32_e64 s[10:11], 8, v38
	v_cndmask_b32_e64 v38, v49, v48, s[10:11]
	v_cndmask_b32_e64 v48, 0, v50, s[10:11]
	v_lshlrev_b64 v[48:49], v48, v[34:35]
	v_lshlrev_b32_e32 v35, 20, v48
	v_lshlrev_b32_e32 v48, 24, v34
	v_bfrev_b32_e32 v49, 60
	v_and_b32_e32 v35, 0x700000, v35
	v_and_b32_e32 v48, 0x80000000, v48
	v_lshl_add_u32 v38, v38, 23, v49
	v_or3_b32 v35, v48, v38, v35
	v_lshrrev_b32_e32 v48, 16, v35
.LBB796_92:
	s_or_b64 exec, exec, s[26:27]
.LBB796_93:
	s_or_b64 exec, exec, s[24:25]
.LBB796_94:
	s_or_b64 exec, exec, s[12:13]
	v_lshrrev_b16_e32 v38, 8, v34
	v_cmp_ne_u16_e64 s[10:11], 0, v38
	s_and_saveexec_b64 s[12:13], s[10:11]
	s_cbranch_execz .LBB796_100
; %bb.95:
	s_movk_i32 s10, 0x80
	v_cmp_ne_u16_e64 s[10:11], s10, v38
	v_mov_b32_e32 v47, 0xffff8000
	s_and_saveexec_b64 s[24:25], s[10:11]
	s_cbranch_execz .LBB796_99
; %bb.96:
	s_movk_i32 s10, 0x7f
	v_and_b32_e32 v35, 0x7f, v38
	v_cmp_ne_u32_e64 s[10:11], s10, v35
	v_mov_b32_e32 v47, 0x7f80
	s_and_saveexec_b64 s[26:27], s[10:11]
	s_cbranch_execz .LBB796_98
; %bb.97:
	v_and_b32_e32 v47, 7, v38
	v_ffbh_u32_e32 v50, v47
	v_min_u32_e32 v52, 32, v50
	v_subrev_u32_e32 v50, 28, v52
	v_lshlrev_b64 v[50:51], v50, v[38:39]
	v_lshrrev_b32_e32 v49, 3, v35
	v_sub_u32_e32 v38, 29, v52
	v_and_b32_e32 v50, 7, v50
	v_cmp_gt_u32_e64 s[10:11], 8, v35
	v_cndmask_b32_e64 v35, v49, v38, s[10:11]
	v_cndmask_b32_e64 v38, v47, v50, s[10:11]
	v_lshlrev_b32_e32 v34, 16, v34
	v_bfrev_b32_e32 v47, 60
	v_lshlrev_b32_e32 v38, 20, v38
	v_and_b32_e32 v34, 0x80000000, v34
	v_lshl_add_u32 v35, v35, 23, v47
	v_or3_b32 v34, v34, v35, v38
	v_lshrrev_b32_e32 v47, 16, v34
.LBB796_98:
	s_or_b64 exec, exec, s[26:27]
.LBB796_99:
	s_or_b64 exec, exec, s[24:25]
.LBB796_100:
	s_or_b64 exec, exec, s[12:13]
	s_movk_i32 s10, 0xff
	v_and_b32_sdwa v49, v37, s10 dst_sel:DWORD dst_unused:UNUSED_PAD src0_sel:WORD_1 src1_sel:DWORD
	v_lshrrev_b32_e32 v34, 16, v37
	v_cmp_ne_u16_e64 s[10:11], 0, v49
	v_mov_b32_e32 v35, 0
	v_mov_b32_e32 v38, 0
	s_and_saveexec_b64 s[12:13], s[10:11]
	s_cbranch_execz .LBB796_106
; %bb.101:
	s_movk_i32 s10, 0x80
	v_cmp_ne_u16_e64 s[10:11], s10, v49
	v_mov_b32_e32 v38, 0xffff8000
	s_and_saveexec_b64 s[24:25], s[10:11]
	s_cbranch_execz .LBB796_105
; %bb.102:
	v_bfe_u32 v49, v37, 16, 7
	s_movk_i32 s10, 0x7f
	v_cmp_ne_u32_e64 s[10:11], s10, v49
	v_mov_b32_e32 v38, 0x7f80
	s_and_saveexec_b64 s[26:27], s[10:11]
	s_cbranch_execz .LBB796_104
; %bb.103:
	v_and_b32_e32 v38, 7, v34
	v_ffbh_u32_e32 v50, v38
	v_min_u32_e32 v53, 32, v50
	v_subrev_u32_e32 v50, 28, v53
	v_lshlrev_b64 v[50:51], v50, v[34:35]
	v_lshrrev_b32_e32 v52, 3, v49
	v_sub_u32_e32 v34, 29, v53
	v_and_b32_e32 v50, 7, v50
	v_cmp_gt_u32_e64 s[10:11], 8, v49
	v_mov_b32_e32 v49, 24
	v_cndmask_b32_e64 v34, v52, v34, s[10:11]
	v_cndmask_b32_e64 v38, v38, v50, s[10:11]
	v_lshlrev_b32_sdwa v49, v49, v37 dst_sel:DWORD dst_unused:UNUSED_PAD src0_sel:DWORD src1_sel:WORD_1
	v_bfrev_b32_e32 v50, 60
	v_lshlrev_b32_e32 v38, 20, v38
	v_and_b32_e32 v49, 0x80000000, v49
	v_lshl_add_u32 v34, v34, 23, v50
	v_or3_b32 v34, v49, v34, v38
	v_lshrrev_b32_e32 v38, 16, v34
.LBB796_104:
	s_or_b64 exec, exec, s[26:27]
.LBB796_105:
	s_or_b64 exec, exec, s[24:25]
.LBB796_106:
	s_or_b64 exec, exec, s[12:13]
	s_mov_b32 s10, -1
	s_mov_b32 s11, 0xffffff
	v_cmp_lt_u64_e64 s[10:11], s[10:11], v[36:37]
	s_and_saveexec_b64 s[12:13], s[10:11]
	s_cbranch_execz .LBB796_112
; %bb.107:
	v_lshrrev_b32_e32 v34, 24, v37
	s_movk_i32 s10, 0x80
	v_cmp_ne_u32_e64 s[10:11], s10, v34
	v_mov_b32_e32 v35, 0xffff8000
	s_and_saveexec_b64 s[24:25], s[10:11]
	s_cbranch_execz .LBB796_111
; %bb.108:
	v_bfe_u32 v36, v37, 24, 7
	s_movk_i32 s10, 0x7f
	v_cmp_ne_u32_e64 s[10:11], s10, v36
	v_mov_b32_e32 v35, 0x7f80
	s_and_saveexec_b64 s[26:27], s[10:11]
	s_cbranch_execz .LBB796_110
; %bb.109:
	v_and_b32_e32 v35, 7, v34
	v_ffbh_u32_e32 v49, v35
	v_min_u32_e32 v49, 32, v49
	v_subrev_u32_e32 v50, 28, v49
	v_lshlrev_b64 v[50:51], v50, v[34:35]
	v_lshrrev_b32_e32 v37, 3, v36
	v_sub_u32_e32 v49, 29, v49
	v_and_b32_e32 v50, 7, v50
	v_cmp_gt_u32_e64 s[10:11], 8, v36
	v_cndmask_b32_e64 v36, v37, v49, s[10:11]
	v_cndmask_b32_e64 v35, v35, v50, s[10:11]
	v_lshlrev_b32_e32 v34, 24, v34
	v_bfrev_b32_e32 v37, 60
	v_lshlrev_b32_e32 v35, 20, v35
	v_and_b32_e32 v34, 0x80000000, v34
	v_lshl_add_u32 v36, v36, 23, v37
	v_or3_b32 v34, v34, v36, v35
	v_lshrrev_b32_e32 v35, 16, v34
.LBB796_110:
	s_or_b64 exec, exec, s[26:27]
.LBB796_111:
	s_or_b64 exec, exec, s[24:25]
.LBB796_112:
	s_or_b64 exec, exec, s[12:13]
	s_mov_b32 s10, 0x5040100
	v_perm_b32 v37, v46, v41, s10
	v_perm_b32 v36, v40, v39, s10
	;; [unrolled: 1-line block ×4, first 2 shown]
	v_mfma_f32_4x4x4bf16_1k a[0:3], v[2:3], v[36:37], a[0:3] cbsz:4 abid:1
	v_mov_b32_e32 v37, 0
	v_mfma_f32_4x4x4bf16_1k a[0:3], v[4:5], v[34:35], a[0:3] cbsz:4 abid:1
	v_cmp_ne_u16_sdwa s[10:11], v30, v37 src0_sel:BYTE_0 src1_sel:DWORD
	v_mov_b32_e32 v38, 0
	s_and_saveexec_b64 s[12:13], s[10:11]
	s_cbranch_execz .LBB796_118
; %bb.113:
	s_movk_i32 s10, 0x80
	v_cmp_ne_u16_sdwa s[10:11], v30, s10 src0_sel:BYTE_0 src1_sel:DWORD
	v_mov_b32_e32 v38, 0xffff8000
	s_and_saveexec_b64 s[24:25], s[10:11]
	s_cbranch_execz .LBB796_117
; %bb.114:
	s_movk_i32 s10, 0x7f
	v_and_b32_e32 v34, 0x7f, v30
	v_cmp_ne_u32_e64 s[10:11], s10, v34
	v_mov_b32_e32 v38, 0x7f80
	s_and_saveexec_b64 s[26:27], s[10:11]
	s_cbranch_execz .LBB796_116
; %bb.115:
	v_and_b32_e32 v35, 7, v30
	v_ffbh_u32_e32 v35, v35
	v_min_u32_e32 v35, 32, v35
	v_subrev_u32_e32 v38, 28, v35
	v_cmp_gt_u32_e64 s[10:11], 8, v34
	v_lshrrev_b32_e32 v36, 3, v34
	v_sub_u32_e32 v35, 29, v35
	v_cndmask_b32_e64 v34, 0, v38, s[10:11]
	v_cndmask_b32_e64 v36, v36, v35, s[10:11]
	v_lshlrev_b64 v[34:35], v34, v[30:31]
	v_lshlrev_b32_e32 v34, 20, v34
	v_lshlrev_b32_e32 v35, 24, v30
	v_bfrev_b32_e32 v38, 60
	v_and_b32_e32 v34, 0x700000, v34
	v_and_b32_e32 v35, 0x80000000, v35
	v_lshl_add_u32 v36, v36, 23, v38
	v_or3_b32 v34, v35, v36, v34
	v_lshrrev_b32_e32 v38, 16, v34
.LBB796_116:
	s_or_b64 exec, exec, s[26:27]
.LBB796_117:
	s_or_b64 exec, exec, s[24:25]
.LBB796_118:
	s_or_b64 exec, exec, s[12:13]
	v_lshrrev_b16_e32 v34, 8, v30
	v_cmp_ne_u16_e64 s[10:11], 0, v34
	s_and_saveexec_b64 s[12:13], s[10:11]
	s_cbranch_execz .LBB796_124
; %bb.119:
	s_movk_i32 s10, 0x80
	v_cmp_ne_u16_e64 s[10:11], s10, v34
	v_mov_b32_e32 v37, 0xffff8000
	s_and_saveexec_b64 s[24:25], s[10:11]
	s_cbranch_execz .LBB796_123
; %bb.120:
	s_movk_i32 s10, 0x7f
	v_and_b32_e32 v35, 0x7f, v34
	v_cmp_ne_u32_e64 s[10:11], s10, v35
	v_mov_b32_e32 v37, 0x7f80
	s_and_saveexec_b64 s[26:27], s[10:11]
	s_cbranch_execz .LBB796_122
; %bb.121:
	v_and_b32_e32 v39, 7, v34
	v_ffbh_u32_e32 v36, v39
	v_min_u32_e32 v41, 32, v36
	v_subrev_u32_e32 v36, 28, v41
	v_lshlrev_b64 v[36:37], v36, v[34:35]
	v_lshrrev_b32_e32 v40, 3, v35
	v_sub_u32_e32 v34, 29, v41
	v_and_b32_e32 v36, 7, v36
	v_cmp_gt_u32_e64 s[10:11], 8, v35
	v_cndmask_b32_e64 v34, v40, v34, s[10:11]
	v_cndmask_b32_e64 v35, v39, v36, s[10:11]
	v_lshlrev_b32_e32 v36, 16, v30
	v_bfrev_b32_e32 v37, 60
	v_lshlrev_b32_e32 v35, 20, v35
	v_and_b32_e32 v36, 0x80000000, v36
	v_lshl_add_u32 v34, v34, 23, v37
	v_or3_b32 v34, v36, v34, v35
	v_lshrrev_b32_e32 v37, 16, v34
.LBB796_122:
	s_or_b64 exec, exec, s[26:27]
.LBB796_123:
	s_or_b64 exec, exec, s[24:25]
.LBB796_124:
	s_or_b64 exec, exec, s[12:13]
	s_movk_i32 s10, 0xff
	v_and_b32_sdwa v36, v30, s10 dst_sel:DWORD dst_unused:UNUSED_PAD src0_sel:WORD_1 src1_sel:DWORD
	v_lshrrev_b32_e32 v34, 16, v30
	v_cmp_ne_u16_e64 s[10:11], 0, v36
	v_mov_b32_e32 v35, 0
	v_mov_b32_e32 v39, 0
	s_and_saveexec_b64 s[12:13], s[10:11]
	s_cbranch_execz .LBB796_130
; %bb.125:
	s_movk_i32 s10, 0x80
	v_cmp_ne_u16_e64 s[10:11], s10, v36
	v_mov_b32_e32 v39, 0xffff8000
	s_and_saveexec_b64 s[24:25], s[10:11]
	s_cbranch_execz .LBB796_129
; %bb.126:
	v_bfe_u32 v36, v30, 16, 7
	s_movk_i32 s10, 0x7f
	v_cmp_ne_u32_e64 s[10:11], s10, v36
	v_mov_b32_e32 v39, 0x7f80
	s_and_saveexec_b64 s[26:27], s[10:11]
	s_cbranch_execz .LBB796_128
; %bb.127:
	v_and_b32_e32 v39, 7, v34
	v_ffbh_u32_e32 v40, v39
	v_min_u32_e32 v47, 32, v40
	v_subrev_u32_e32 v40, 28, v47
	v_lshlrev_b64 v[40:41], v40, v[34:35]
	v_and_b32_e32 v40, 7, v40
	v_cmp_gt_u32_e64 s[10:11], 8, v36
	v_lshrrev_b32_e32 v46, 3, v36
	v_sub_u32_e32 v34, 29, v47
	v_cndmask_b32_e64 v36, v39, v40, s[10:11]
	v_mov_b32_e32 v39, 24
	v_cndmask_b32_e64 v34, v46, v34, s[10:11]
	v_lshlrev_b32_sdwa v39, v39, v30 dst_sel:DWORD dst_unused:UNUSED_PAD src0_sel:DWORD src1_sel:WORD_1
	v_bfrev_b32_e32 v40, 60
	v_lshlrev_b32_e32 v36, 20, v36
	v_and_b32_e32 v39, 0x80000000, v39
	v_lshl_add_u32 v34, v34, 23, v40
	v_or3_b32 v34, v39, v34, v36
	v_lshrrev_b32_e32 v39, 16, v34
.LBB796_128:
	s_or_b64 exec, exec, s[26:27]
.LBB796_129:
	s_or_b64 exec, exec, s[24:25]
.LBB796_130:
	s_or_b64 exec, exec, s[12:13]
	s_mov_b32 s10, 0xffffff
	v_cmp_lt_u32_e64 s[10:11], s10, v30
	v_mov_b32_e32 v40, 0
	s_and_saveexec_b64 s[12:13], s[10:11]
	s_cbranch_execz .LBB796_136
; %bb.131:
	v_lshrrev_b32_e32 v34, 24, v30
	s_movk_i32 s10, 0x80
	v_cmp_ne_u32_e64 s[10:11], s10, v34
	v_mov_b32_e32 v40, 0xffff8000
	s_and_saveexec_b64 s[24:25], s[10:11]
	s_cbranch_execz .LBB796_135
; %bb.132:
	v_bfe_u32 v36, v30, 24, 7
	s_movk_i32 s10, 0x7f
	v_cmp_ne_u32_e64 s[10:11], s10, v36
	v_mov_b32_e32 v40, 0x7f80
	s_and_saveexec_b64 s[26:27], s[10:11]
	s_cbranch_execz .LBB796_134
; %bb.133:
	v_and_b32_e32 v46, 7, v34
	v_ffbh_u32_e32 v40, v46
	v_min_u32_e32 v48, 32, v40
	v_subrev_u32_e32 v40, 28, v48
	v_lshlrev_b64 v[40:41], v40, v[34:35]
	v_lshrrev_b32_e32 v47, 3, v36
	v_sub_u32_e32 v41, 29, v48
	v_and_b32_e32 v40, 7, v40
	v_cmp_gt_u32_e64 s[10:11], 8, v36
	v_cndmask_b32_e64 v36, v47, v41, s[10:11]
	v_cndmask_b32_e64 v40, v46, v40, s[10:11]
	v_lshlrev_b32_e32 v34, 24, v34
	v_bfrev_b32_e32 v41, 60
	v_lshlrev_b32_e32 v40, 20, v40
	v_and_b32_e32 v34, 0x80000000, v34
	v_lshl_add_u32 v36, v36, 23, v41
	v_or3_b32 v34, v34, v36, v40
	v_lshrrev_b32_e32 v40, 16, v34
.LBB796_134:
	s_or_b64 exec, exec, s[26:27]
.LBB796_135:
	s_or_b64 exec, exec, s[24:25]
.LBB796_136:
	s_or_b64 exec, exec, s[12:13]
	v_mov_b32_e32 v41, 0
	v_mov_b32_e32 v34, v31
	v_cmp_ne_u16_sdwa s[10:11], v31, v41 src0_sel:BYTE_0 src1_sel:DWORD
	v_mov_b32_e32 v46, 0
	s_and_saveexec_b64 s[12:13], s[10:11]
	s_cbranch_execz .LBB796_142
; %bb.137:
	s_movk_i32 s10, 0x80
	v_cmp_ne_u16_sdwa s[10:11], v31, s10 src0_sel:BYTE_0 src1_sel:DWORD
	v_mov_b32_e32 v46, 0xffff8000
	s_and_saveexec_b64 s[24:25], s[10:11]
	s_cbranch_execz .LBB796_141
; %bb.138:
	s_movk_i32 s10, 0x7f
	v_and_b32_e32 v36, 0x7f, v31
	v_cmp_ne_u32_e64 s[10:11], s10, v36
	v_mov_b32_e32 v46, 0x7f80
	s_and_saveexec_b64 s[26:27], s[10:11]
	s_cbranch_execz .LBB796_140
; %bb.139:
	v_and_b32_e32 v46, 7, v31
	v_ffbh_u32_e32 v46, v46
	v_min_u32_e32 v46, 32, v46
	v_lshrrev_b32_e32 v47, 3, v36
	v_subrev_u32_e32 v48, 28, v46
	v_sub_u32_e32 v46, 29, v46
	v_cmp_gt_u32_e64 s[10:11], 8, v36
	v_cndmask_b32_e64 v36, v47, v46, s[10:11]
	v_cndmask_b32_e64 v46, 0, v48, s[10:11]
	v_lshlrev_b64 v[46:47], v46, v[34:35]
	v_lshlrev_b32_e32 v35, 20, v46
	v_lshlrev_b32_e32 v46, 24, v34
	v_bfrev_b32_e32 v47, 60
	v_and_b32_e32 v35, 0x700000, v35
	v_and_b32_e32 v46, 0x80000000, v46
	v_lshl_add_u32 v36, v36, 23, v47
	v_or3_b32 v35, v46, v36, v35
	v_lshrrev_b32_e32 v46, 16, v35
.LBB796_140:
	s_or_b64 exec, exec, s[26:27]
.LBB796_141:
	s_or_b64 exec, exec, s[24:25]
.LBB796_142:
	s_or_b64 exec, exec, s[12:13]
	v_lshrrev_b16_e32 v36, 8, v34
	v_cmp_ne_u16_e64 s[10:11], 0, v36
	s_and_saveexec_b64 s[12:13], s[10:11]
	s_cbranch_execz .LBB796_148
; %bb.143:
	s_movk_i32 s10, 0x80
	v_cmp_ne_u16_e64 s[10:11], s10, v36
	v_mov_b32_e32 v41, 0xffff8000
	s_and_saveexec_b64 s[24:25], s[10:11]
	s_cbranch_execz .LBB796_147
; %bb.144:
	s_movk_i32 s10, 0x7f
	v_and_b32_e32 v35, 0x7f, v36
	v_cmp_ne_u32_e64 s[10:11], s10, v35
	v_mov_b32_e32 v41, 0x7f80
	s_and_saveexec_b64 s[26:27], s[10:11]
	s_cbranch_execz .LBB796_146
; %bb.145:
	v_and_b32_e32 v41, 7, v36
	v_ffbh_u32_e32 v48, v41
	v_min_u32_e32 v50, 32, v48
	v_subrev_u32_e32 v48, 28, v50
	v_lshlrev_b64 v[48:49], v48, v[36:37]
	v_lshrrev_b32_e32 v47, 3, v35
	v_sub_u32_e32 v36, 29, v50
	v_and_b32_e32 v48, 7, v48
	v_cmp_gt_u32_e64 s[10:11], 8, v35
	v_cndmask_b32_e64 v35, v47, v36, s[10:11]
	v_cndmask_b32_e64 v36, v41, v48, s[10:11]
	v_lshlrev_b32_e32 v34, 16, v34
	v_bfrev_b32_e32 v41, 60
	v_lshlrev_b32_e32 v36, 20, v36
	v_and_b32_e32 v34, 0x80000000, v34
	v_lshl_add_u32 v35, v35, 23, v41
	v_or3_b32 v34, v34, v35, v36
	v_lshrrev_b32_e32 v41, 16, v34
.LBB796_146:
	s_or_b64 exec, exec, s[26:27]
.LBB796_147:
	s_or_b64 exec, exec, s[24:25]
.LBB796_148:
	s_or_b64 exec, exec, s[12:13]
	s_movk_i32 s10, 0xff
	v_and_b32_sdwa v47, v31, s10 dst_sel:DWORD dst_unused:UNUSED_PAD src0_sel:WORD_1 src1_sel:DWORD
	v_lshrrev_b32_e32 v34, 16, v31
	v_cmp_ne_u16_e64 s[10:11], 0, v47
	v_mov_b32_e32 v35, 0
	v_mov_b32_e32 v36, 0
	s_and_saveexec_b64 s[12:13], s[10:11]
	s_cbranch_execz .LBB796_154
; %bb.149:
	s_movk_i32 s10, 0x80
	v_cmp_ne_u16_e64 s[10:11], s10, v47
	v_mov_b32_e32 v36, 0xffff8000
	s_and_saveexec_b64 s[24:25], s[10:11]
	s_cbranch_execz .LBB796_153
; %bb.150:
	v_bfe_u32 v47, v31, 16, 7
	s_movk_i32 s10, 0x7f
	v_cmp_ne_u32_e64 s[10:11], s10, v47
	v_mov_b32_e32 v36, 0x7f80
	s_and_saveexec_b64 s[26:27], s[10:11]
	s_cbranch_execz .LBB796_152
; %bb.151:
	v_and_b32_e32 v36, 7, v34
	v_ffbh_u32_e32 v48, v36
	v_min_u32_e32 v51, 32, v48
	v_subrev_u32_e32 v48, 28, v51
	v_lshlrev_b64 v[48:49], v48, v[34:35]
	v_lshrrev_b32_e32 v50, 3, v47
	v_sub_u32_e32 v34, 29, v51
	v_and_b32_e32 v48, 7, v48
	v_cmp_gt_u32_e64 s[10:11], 8, v47
	v_mov_b32_e32 v47, 24
	v_cndmask_b32_e64 v34, v50, v34, s[10:11]
	v_cndmask_b32_e64 v36, v36, v48, s[10:11]
	v_lshlrev_b32_sdwa v47, v47, v31 dst_sel:DWORD dst_unused:UNUSED_PAD src0_sel:DWORD src1_sel:WORD_1
	v_bfrev_b32_e32 v48, 60
	v_lshlrev_b32_e32 v36, 20, v36
	v_and_b32_e32 v47, 0x80000000, v47
	v_lshl_add_u32 v34, v34, 23, v48
	v_or3_b32 v34, v47, v34, v36
	v_lshrrev_b32_e32 v36, 16, v34
.LBB796_152:
	s_or_b64 exec, exec, s[26:27]
.LBB796_153:
	s_or_b64 exec, exec, s[24:25]
.LBB796_154:
	s_or_b64 exec, exec, s[12:13]
	s_mov_b32 s10, -1
	s_mov_b32 s11, 0xffffff
	v_cmp_lt_u64_e64 s[10:11], s[10:11], v[30:31]
	s_and_saveexec_b64 s[12:13], s[10:11]
	s_cbranch_execz .LBB796_160
; %bb.155:
	v_lshrrev_b32_e32 v30, 24, v31
	s_movk_i32 s10, 0x80
	v_cmp_ne_u32_e64 s[10:11], s10, v30
	v_mov_b32_e32 v35, 0xffff8000
	s_and_saveexec_b64 s[24:25], s[10:11]
	s_cbranch_execz .LBB796_159
; %bb.156:
	v_bfe_u32 v31, v31, 24, 7
	s_movk_i32 s10, 0x7f
	v_cmp_ne_u32_e64 s[10:11], s10, v31
	v_mov_b32_e32 v35, 0x7f80
	s_and_saveexec_b64 s[26:27], s[10:11]
	s_cbranch_execz .LBB796_158
; %bb.157:
	v_and_b32_e32 v47, 7, v30
	v_ffbh_u32_e32 v34, v47
	v_min_u32_e32 v49, 32, v34
	v_subrev_u32_e32 v34, 28, v49
	v_lshlrev_b64 v[34:35], v34, v[30:31]
	v_lshrrev_b32_e32 v48, 3, v31
	v_sub_u32_e32 v35, 29, v49
	v_and_b32_e32 v34, 7, v34
	v_cmp_gt_u32_e64 s[10:11], 8, v31
	v_cndmask_b32_e64 v31, v48, v35, s[10:11]
	v_cndmask_b32_e64 v34, v47, v34, s[10:11]
	v_lshlrev_b32_e32 v30, 24, v30
	v_bfrev_b32_e32 v35, 60
	v_lshlrev_b32_e32 v34, 20, v34
	v_and_b32_e32 v30, 0x80000000, v30
	v_lshl_add_u32 v31, v31, 23, v35
	v_or3_b32 v30, v30, v31, v34
	v_lshrrev_b32_e32 v35, 16, v30
.LBB796_158:
	s_or_b64 exec, exec, s[26:27]
.LBB796_159:
	s_or_b64 exec, exec, s[24:25]
.LBB796_160:
	s_or_b64 exec, exec, s[12:13]
	s_mov_b32 s10, 0x5040100
	v_perm_b32 v31, v40, v39, s10
	v_perm_b32 v30, v37, v38, s10
	v_perm_b32 v35, v35, v36, s10
	v_perm_b32 v34, v41, v46, s10
	v_mfma_f32_4x4x4bf16_1k a[0:3], v[2:3], v[30:31], a[0:3] cbsz:4 abid:2
	v_mov_b32_e32 v36, 0
	v_mfma_f32_4x4x4bf16_1k a[0:3], v[4:5], v[34:35], a[0:3] cbsz:4 abid:2
	v_mov_b32_e32 v35, 0
	v_cmp_ne_u16_sdwa s[10:11], v32, v35 src0_sel:BYTE_0 src1_sel:DWORD
	s_and_saveexec_b64 s[12:13], s[10:11]
	s_cbranch_execz .LBB796_166
; %bb.161:
	s_movk_i32 s10, 0x80
	v_cmp_ne_u16_sdwa s[10:11], v32, s10 src0_sel:BYTE_0 src1_sel:DWORD
	v_mov_b32_e32 v36, 0xffff8000
	s_and_saveexec_b64 s[24:25], s[10:11]
	s_cbranch_execz .LBB796_165
; %bb.162:
	s_movk_i32 s10, 0x7f
	v_and_b32_e32 v30, 0x7f, v32
	v_cmp_ne_u32_e64 s[10:11], s10, v30
	v_mov_b32_e32 v36, 0x7f80
	s_and_saveexec_b64 s[26:27], s[10:11]
	s_cbranch_execz .LBB796_164
; %bb.163:
	v_and_b32_e32 v31, 7, v32
	v_ffbh_u32_e32 v31, v31
	v_min_u32_e32 v31, 32, v31
	v_subrev_u32_e32 v36, 28, v31
	v_cmp_gt_u32_e64 s[10:11], 8, v30
	v_lshrrev_b32_e32 v34, 3, v30
	v_sub_u32_e32 v31, 29, v31
	v_cndmask_b32_e64 v30, 0, v36, s[10:11]
	v_cndmask_b32_e64 v34, v34, v31, s[10:11]
	v_lshlrev_b64 v[30:31], v30, v[32:33]
	v_lshlrev_b32_e32 v30, 20, v30
	v_lshlrev_b32_e32 v31, 24, v32
	v_bfrev_b32_e32 v36, 60
	v_and_b32_e32 v30, 0x700000, v30
	v_and_b32_e32 v31, 0x80000000, v31
	v_lshl_add_u32 v34, v34, 23, v36
	v_or3_b32 v30, v31, v34, v30
	v_lshrrev_b32_e32 v36, 16, v30
.LBB796_164:
	s_or_b64 exec, exec, s[26:27]
.LBB796_165:
	s_or_b64 exec, exec, s[24:25]
.LBB796_166:
	s_or_b64 exec, exec, s[12:13]
	v_lshrrev_b16_e32 v30, 8, v32
	v_cmp_ne_u16_e64 s[10:11], 0, v30
	s_and_saveexec_b64 s[12:13], s[10:11]
	s_cbranch_execz .LBB796_172
; %bb.167:
	s_movk_i32 s10, 0x80
	v_cmp_ne_u16_e64 s[10:11], s10, v30
	v_mov_b32_e32 v35, 0xffff8000
	s_and_saveexec_b64 s[24:25], s[10:11]
	s_cbranch_execz .LBB796_171
; %bb.168:
	s_movk_i32 s10, 0x7f
	v_and_b32_e32 v31, 0x7f, v30
	v_cmp_ne_u32_e64 s[10:11], s10, v31
	v_mov_b32_e32 v35, 0x7f80
	s_and_saveexec_b64 s[26:27], s[10:11]
	s_cbranch_execz .LBB796_170
; %bb.169:
	v_and_b32_e32 v37, 7, v30
	v_ffbh_u32_e32 v34, v37
	v_min_u32_e32 v39, 32, v34
	v_subrev_u32_e32 v34, 28, v39
	v_lshlrev_b64 v[34:35], v34, v[30:31]
	v_lshrrev_b32_e32 v38, 3, v31
	v_sub_u32_e32 v30, 29, v39
	v_and_b32_e32 v34, 7, v34
	v_cmp_gt_u32_e64 s[10:11], 8, v31
	v_cndmask_b32_e64 v30, v38, v30, s[10:11]
	v_cndmask_b32_e64 v31, v37, v34, s[10:11]
	v_lshlrev_b32_e32 v34, 16, v32
	v_bfrev_b32_e32 v35, 60
	v_lshlrev_b32_e32 v31, 20, v31
	v_and_b32_e32 v34, 0x80000000, v34
	v_lshl_add_u32 v30, v30, 23, v35
	v_or3_b32 v30, v34, v30, v31
	v_lshrrev_b32_e32 v35, 16, v30
.LBB796_170:
	s_or_b64 exec, exec, s[26:27]
.LBB796_171:
	s_or_b64 exec, exec, s[24:25]
.LBB796_172:
	s_or_b64 exec, exec, s[12:13]
	s_movk_i32 s10, 0xff
	v_and_b32_sdwa v34, v32, s10 dst_sel:DWORD dst_unused:UNUSED_PAD src0_sel:WORD_1 src1_sel:DWORD
	v_lshrrev_b32_e32 v30, 16, v32
	v_cmp_ne_u16_e64 s[10:11], 0, v34
	v_mov_b32_e32 v31, 0
	v_mov_b32_e32 v37, 0
	s_and_saveexec_b64 s[12:13], s[10:11]
	s_cbranch_execz .LBB796_178
; %bb.173:
	s_movk_i32 s10, 0x80
	v_cmp_ne_u16_e64 s[10:11], s10, v34
	v_mov_b32_e32 v37, 0xffff8000
	s_and_saveexec_b64 s[24:25], s[10:11]
	s_cbranch_execz .LBB796_177
; %bb.174:
	v_bfe_u32 v34, v32, 16, 7
	s_movk_i32 s10, 0x7f
	v_cmp_ne_u32_e64 s[10:11], s10, v34
	v_mov_b32_e32 v37, 0x7f80
	s_and_saveexec_b64 s[26:27], s[10:11]
	s_cbranch_execz .LBB796_176
; %bb.175:
	v_and_b32_e32 v37, 7, v30
	v_ffbh_u32_e32 v38, v37
	v_min_u32_e32 v41, 32, v38
	v_subrev_u32_e32 v38, 28, v41
	v_lshlrev_b64 v[38:39], v38, v[30:31]
	v_and_b32_e32 v38, 7, v38
	v_cmp_gt_u32_e64 s[10:11], 8, v34
	v_lshrrev_b32_e32 v40, 3, v34
	v_sub_u32_e32 v30, 29, v41
	v_cndmask_b32_e64 v34, v37, v38, s[10:11]
	v_mov_b32_e32 v37, 24
	v_cndmask_b32_e64 v30, v40, v30, s[10:11]
	v_lshlrev_b32_sdwa v37, v37, v32 dst_sel:DWORD dst_unused:UNUSED_PAD src0_sel:DWORD src1_sel:WORD_1
	v_bfrev_b32_e32 v38, 60
	v_lshlrev_b32_e32 v34, 20, v34
	v_and_b32_e32 v37, 0x80000000, v37
	v_lshl_add_u32 v30, v30, 23, v38
	v_or3_b32 v30, v37, v30, v34
	v_lshrrev_b32_e32 v37, 16, v30
.LBB796_176:
	s_or_b64 exec, exec, s[26:27]
.LBB796_177:
	s_or_b64 exec, exec, s[24:25]
.LBB796_178:
	s_or_b64 exec, exec, s[12:13]
	s_mov_b32 s10, 0xffffff
	v_cmp_lt_u32_e64 s[10:11], s10, v32
	v_mov_b32_e32 v38, 0
	s_and_saveexec_b64 s[12:13], s[10:11]
	s_cbranch_execz .LBB796_184
; %bb.179:
	v_lshrrev_b32_e32 v30, 24, v32
	s_movk_i32 s10, 0x80
	v_cmp_ne_u32_e64 s[10:11], s10, v30
	v_mov_b32_e32 v38, 0xffff8000
	s_and_saveexec_b64 s[24:25], s[10:11]
	s_cbranch_execz .LBB796_183
; %bb.180:
	v_bfe_u32 v34, v32, 24, 7
	s_movk_i32 s10, 0x7f
	v_cmp_ne_u32_e64 s[10:11], s10, v34
	v_mov_b32_e32 v38, 0x7f80
	s_and_saveexec_b64 s[26:27], s[10:11]
	s_cbranch_execz .LBB796_182
; %bb.181:
	v_and_b32_e32 v40, 7, v30
	v_ffbh_u32_e32 v38, v40
	v_min_u32_e32 v46, 32, v38
	v_subrev_u32_e32 v38, 28, v46
	v_lshlrev_b64 v[38:39], v38, v[30:31]
	v_lshrrev_b32_e32 v41, 3, v34
	v_sub_u32_e32 v39, 29, v46
	v_and_b32_e32 v38, 7, v38
	v_cmp_gt_u32_e64 s[10:11], 8, v34
	v_cndmask_b32_e64 v34, v41, v39, s[10:11]
	v_cndmask_b32_e64 v38, v40, v38, s[10:11]
	v_lshlrev_b32_e32 v30, 24, v30
	v_bfrev_b32_e32 v39, 60
	v_lshlrev_b32_e32 v38, 20, v38
	v_and_b32_e32 v30, 0x80000000, v30
	v_lshl_add_u32 v34, v34, 23, v39
	v_or3_b32 v30, v30, v34, v38
	v_lshrrev_b32_e32 v38, 16, v30
.LBB796_182:
	s_or_b64 exec, exec, s[26:27]
.LBB796_183:
	s_or_b64 exec, exec, s[24:25]
.LBB796_184:
	s_or_b64 exec, exec, s[12:13]
	v_mov_b32_e32 v39, 0
	v_mov_b32_e32 v30, v33
	v_cmp_ne_u16_sdwa s[10:11], v33, v39 src0_sel:BYTE_0 src1_sel:DWORD
	v_mov_b32_e32 v40, 0
	s_and_saveexec_b64 s[12:13], s[10:11]
	s_cbranch_execz .LBB796_190
; %bb.185:
	s_movk_i32 s10, 0x80
	v_cmp_ne_u16_sdwa s[10:11], v33, s10 src0_sel:BYTE_0 src1_sel:DWORD
	v_mov_b32_e32 v40, 0xffff8000
	s_and_saveexec_b64 s[24:25], s[10:11]
	s_cbranch_execz .LBB796_189
; %bb.186:
	s_movk_i32 s10, 0x7f
	v_and_b32_e32 v34, 0x7f, v33
	v_cmp_ne_u32_e64 s[10:11], s10, v34
	v_mov_b32_e32 v40, 0x7f80
	s_and_saveexec_b64 s[26:27], s[10:11]
	s_cbranch_execz .LBB796_188
; %bb.187:
	v_and_b32_e32 v40, 7, v33
	v_ffbh_u32_e32 v40, v40
	v_min_u32_e32 v40, 32, v40
	v_lshrrev_b32_e32 v41, 3, v34
	v_subrev_u32_e32 v46, 28, v40
	v_sub_u32_e32 v40, 29, v40
	v_cmp_gt_u32_e64 s[10:11], 8, v34
	v_cndmask_b32_e64 v34, v41, v40, s[10:11]
	v_cndmask_b32_e64 v40, 0, v46, s[10:11]
	v_lshlrev_b64 v[40:41], v40, v[30:31]
	v_lshlrev_b32_e32 v31, 20, v40
	v_lshlrev_b32_e32 v40, 24, v30
	v_bfrev_b32_e32 v41, 60
	v_and_b32_e32 v31, 0x700000, v31
	v_and_b32_e32 v40, 0x80000000, v40
	v_lshl_add_u32 v34, v34, 23, v41
	v_or3_b32 v31, v40, v34, v31
	v_lshrrev_b32_e32 v40, 16, v31
.LBB796_188:
	s_or_b64 exec, exec, s[26:27]
.LBB796_189:
	s_or_b64 exec, exec, s[24:25]
.LBB796_190:
	s_or_b64 exec, exec, s[12:13]
	v_lshrrev_b16_e32 v34, 8, v30
	v_cmp_ne_u16_e64 s[10:11], 0, v34
	s_and_saveexec_b64 s[12:13], s[10:11]
	s_cbranch_execz .LBB796_196
; %bb.191:
	s_movk_i32 s10, 0x80
	v_cmp_ne_u16_e64 s[10:11], s10, v34
	v_mov_b32_e32 v39, 0xffff8000
	s_and_saveexec_b64 s[24:25], s[10:11]
	s_cbranch_execz .LBB796_195
; %bb.192:
	s_movk_i32 s10, 0x7f
	v_and_b32_e32 v31, 0x7f, v34
	v_cmp_ne_u32_e64 s[10:11], s10, v31
	v_mov_b32_e32 v39, 0x7f80
	s_and_saveexec_b64 s[26:27], s[10:11]
	s_cbranch_execz .LBB796_194
; %bb.193:
	v_and_b32_e32 v39, 7, v34
	v_ffbh_u32_e32 v46, v39
	v_min_u32_e32 v48, 32, v46
	v_subrev_u32_e32 v46, 28, v48
	v_lshlrev_b64 v[46:47], v46, v[34:35]
	v_lshrrev_b32_e32 v41, 3, v31
	v_sub_u32_e32 v34, 29, v48
	v_and_b32_e32 v46, 7, v46
	v_cmp_gt_u32_e64 s[10:11], 8, v31
	v_cndmask_b32_e64 v31, v41, v34, s[10:11]
	v_cndmask_b32_e64 v34, v39, v46, s[10:11]
	v_lshlrev_b32_e32 v30, 16, v30
	v_bfrev_b32_e32 v39, 60
	v_lshlrev_b32_e32 v34, 20, v34
	v_and_b32_e32 v30, 0x80000000, v30
	v_lshl_add_u32 v31, v31, 23, v39
	v_or3_b32 v30, v30, v31, v34
	v_lshrrev_b32_e32 v39, 16, v30
.LBB796_194:
	s_or_b64 exec, exec, s[26:27]
.LBB796_195:
	s_or_b64 exec, exec, s[24:25]
.LBB796_196:
	s_or_b64 exec, exec, s[12:13]
	s_movk_i32 s10, 0xff
	v_and_b32_sdwa v41, v33, s10 dst_sel:DWORD dst_unused:UNUSED_PAD src0_sel:WORD_1 src1_sel:DWORD
	v_lshrrev_b32_e32 v30, 16, v33
	v_cmp_ne_u16_e64 s[10:11], 0, v41
	v_mov_b32_e32 v31, 0
	v_mov_b32_e32 v34, 0
	s_and_saveexec_b64 s[12:13], s[10:11]
	s_cbranch_execz .LBB796_202
; %bb.197:
	s_movk_i32 s10, 0x80
	v_cmp_ne_u16_e64 s[10:11], s10, v41
	v_mov_b32_e32 v34, 0xffff8000
	s_and_saveexec_b64 s[24:25], s[10:11]
	s_cbranch_execz .LBB796_201
; %bb.198:
	v_bfe_u32 v41, v33, 16, 7
	s_movk_i32 s10, 0x7f
	v_cmp_ne_u32_e64 s[10:11], s10, v41
	v_mov_b32_e32 v34, 0x7f80
	s_and_saveexec_b64 s[26:27], s[10:11]
	s_cbranch_execz .LBB796_200
; %bb.199:
	v_and_b32_e32 v34, 7, v30
	v_ffbh_u32_e32 v46, v34
	v_min_u32_e32 v49, 32, v46
	v_subrev_u32_e32 v46, 28, v49
	v_lshlrev_b64 v[46:47], v46, v[30:31]
	v_lshrrev_b32_e32 v48, 3, v41
	v_sub_u32_e32 v30, 29, v49
	v_and_b32_e32 v46, 7, v46
	v_cmp_gt_u32_e64 s[10:11], 8, v41
	v_mov_b32_e32 v41, 24
	v_cndmask_b32_e64 v30, v48, v30, s[10:11]
	v_cndmask_b32_e64 v34, v34, v46, s[10:11]
	v_lshlrev_b32_sdwa v41, v41, v33 dst_sel:DWORD dst_unused:UNUSED_PAD src0_sel:DWORD src1_sel:WORD_1
	v_bfrev_b32_e32 v46, 60
	v_lshlrev_b32_e32 v34, 20, v34
	v_and_b32_e32 v41, 0x80000000, v41
	v_lshl_add_u32 v30, v30, 23, v46
	v_or3_b32 v30, v41, v30, v34
	v_lshrrev_b32_e32 v34, 16, v30
.LBB796_200:
	s_or_b64 exec, exec, s[26:27]
.LBB796_201:
	s_or_b64 exec, exec, s[24:25]
.LBB796_202:
	s_or_b64 exec, exec, s[12:13]
	s_mov_b32 s10, -1
	s_mov_b32 s11, 0xffffff
	v_cmp_lt_u64_e64 s[10:11], s[10:11], v[32:33]
	s_and_saveexec_b64 s[12:13], s[10:11]
	s_cbranch_execz .LBB796_208
; %bb.203:
	v_lshrrev_b32_e32 v30, 24, v33
	s_movk_i32 s10, 0x80
	v_cmp_ne_u32_e64 s[10:11], s10, v30
	v_mov_b32_e32 v31, 0xffff8000
	s_and_saveexec_b64 s[24:25], s[10:11]
	s_cbranch_execz .LBB796_207
; %bb.204:
	v_bfe_u32 v32, v33, 24, 7
	s_movk_i32 s10, 0x7f
	v_cmp_ne_u32_e64 s[10:11], s10, v32
	v_mov_b32_e32 v31, 0x7f80
	s_and_saveexec_b64 s[26:27], s[10:11]
	s_cbranch_execz .LBB796_206
; %bb.205:
	v_and_b32_e32 v31, 7, v30
	v_ffbh_u32_e32 v41, v31
	v_min_u32_e32 v41, 32, v41
	v_subrev_u32_e32 v46, 28, v41
	v_lshlrev_b64 v[46:47], v46, v[30:31]
	v_lshrrev_b32_e32 v33, 3, v32
	v_sub_u32_e32 v41, 29, v41
	v_and_b32_e32 v46, 7, v46
	v_cmp_gt_u32_e64 s[10:11], 8, v32
	v_cndmask_b32_e64 v32, v33, v41, s[10:11]
	v_cndmask_b32_e64 v31, v31, v46, s[10:11]
	v_lshlrev_b32_e32 v30, 24, v30
	v_bfrev_b32_e32 v33, 60
	v_lshlrev_b32_e32 v31, 20, v31
	v_and_b32_e32 v30, 0x80000000, v30
	v_lshl_add_u32 v32, v32, 23, v33
	v_or3_b32 v30, v30, v32, v31
	v_lshrrev_b32_e32 v31, 16, v30
.LBB796_206:
	s_or_b64 exec, exec, s[26:27]
.LBB796_207:
	s_or_b64 exec, exec, s[24:25]
.LBB796_208:
	s_or_b64 exec, exec, s[12:13]
	s_mov_b32 s10, 0x5040100
	v_perm_b32 v33, v38, v37, s10
	v_perm_b32 v32, v35, v36, s10
	;; [unrolled: 1-line block ×4, first 2 shown]
	v_mfma_f32_4x4x4bf16_1k a[0:3], v[2:3], v[32:33], a[0:3] cbsz:4 abid:3
	v_mov_b32_e32 v33, 0
	v_mfma_f32_4x4x4bf16_1k a[0:3], v[4:5], v[30:31], a[0:3] cbsz:4 abid:3
	v_cmp_ne_u16_sdwa s[10:11], v26, v33 src0_sel:BYTE_0 src1_sel:DWORD
	v_mov_b32_e32 v34, 0
	s_and_saveexec_b64 s[12:13], s[10:11]
	s_cbranch_execz .LBB796_214
; %bb.209:
	s_movk_i32 s10, 0x80
	v_cmp_ne_u16_sdwa s[10:11], v26, s10 src0_sel:BYTE_0 src1_sel:DWORD
	v_mov_b32_e32 v34, 0xffff8000
	s_and_saveexec_b64 s[24:25], s[10:11]
	s_cbranch_execz .LBB796_213
; %bb.210:
	s_movk_i32 s10, 0x7f
	v_and_b32_e32 v30, 0x7f, v26
	v_cmp_ne_u32_e64 s[10:11], s10, v30
	v_mov_b32_e32 v34, 0x7f80
	s_and_saveexec_b64 s[26:27], s[10:11]
	s_cbranch_execz .LBB796_212
; %bb.211:
	v_and_b32_e32 v31, 7, v26
	v_ffbh_u32_e32 v31, v31
	v_min_u32_e32 v31, 32, v31
	v_subrev_u32_e32 v34, 28, v31
	v_cmp_gt_u32_e64 s[10:11], 8, v30
	v_lshrrev_b32_e32 v32, 3, v30
	v_sub_u32_e32 v31, 29, v31
	v_cndmask_b32_e64 v30, 0, v34, s[10:11]
	v_cndmask_b32_e64 v32, v32, v31, s[10:11]
	v_lshlrev_b64 v[30:31], v30, v[26:27]
	v_lshlrev_b32_e32 v30, 20, v30
	v_lshlrev_b32_e32 v31, 24, v26
	v_bfrev_b32_e32 v34, 60
	v_and_b32_e32 v30, 0x700000, v30
	v_and_b32_e32 v31, 0x80000000, v31
	v_lshl_add_u32 v32, v32, 23, v34
	v_or3_b32 v30, v31, v32, v30
	v_lshrrev_b32_e32 v34, 16, v30
.LBB796_212:
	s_or_b64 exec, exec, s[26:27]
.LBB796_213:
	s_or_b64 exec, exec, s[24:25]
.LBB796_214:
	s_or_b64 exec, exec, s[12:13]
	v_lshrrev_b16_e32 v30, 8, v26
	v_cmp_ne_u16_e64 s[10:11], 0, v30
	s_and_saveexec_b64 s[12:13], s[10:11]
	s_cbranch_execz .LBB796_220
; %bb.215:
	s_movk_i32 s10, 0x80
	v_cmp_ne_u16_e64 s[10:11], s10, v30
	v_mov_b32_e32 v33, 0xffff8000
	s_and_saveexec_b64 s[24:25], s[10:11]
	s_cbranch_execz .LBB796_219
; %bb.216:
	s_movk_i32 s10, 0x7f
	v_and_b32_e32 v31, 0x7f, v30
	v_cmp_ne_u32_e64 s[10:11], s10, v31
	v_mov_b32_e32 v33, 0x7f80
	s_and_saveexec_b64 s[26:27], s[10:11]
	s_cbranch_execz .LBB796_218
; %bb.217:
	v_and_b32_e32 v35, 7, v30
	v_ffbh_u32_e32 v32, v35
	v_min_u32_e32 v37, 32, v32
	v_subrev_u32_e32 v32, 28, v37
	v_lshlrev_b64 v[32:33], v32, v[30:31]
	v_lshrrev_b32_e32 v36, 3, v31
	v_sub_u32_e32 v30, 29, v37
	v_and_b32_e32 v32, 7, v32
	v_cmp_gt_u32_e64 s[10:11], 8, v31
	v_cndmask_b32_e64 v30, v36, v30, s[10:11]
	v_cndmask_b32_e64 v31, v35, v32, s[10:11]
	v_lshlrev_b32_e32 v32, 16, v26
	v_bfrev_b32_e32 v33, 60
	v_lshlrev_b32_e32 v31, 20, v31
	v_and_b32_e32 v32, 0x80000000, v32
	v_lshl_add_u32 v30, v30, 23, v33
	v_or3_b32 v30, v32, v30, v31
	v_lshrrev_b32_e32 v33, 16, v30
.LBB796_218:
	s_or_b64 exec, exec, s[26:27]
.LBB796_219:
	s_or_b64 exec, exec, s[24:25]
.LBB796_220:
	s_or_b64 exec, exec, s[12:13]
	s_movk_i32 s10, 0xff
	v_and_b32_sdwa v32, v26, s10 dst_sel:DWORD dst_unused:UNUSED_PAD src0_sel:WORD_1 src1_sel:DWORD
	v_lshrrev_b32_e32 v30, 16, v26
	v_cmp_ne_u16_e64 s[10:11], 0, v32
	v_mov_b32_e32 v31, 0
	v_mov_b32_e32 v35, 0
	s_and_saveexec_b64 s[12:13], s[10:11]
	s_cbranch_execz .LBB796_226
; %bb.221:
	s_movk_i32 s10, 0x80
	v_cmp_ne_u16_e64 s[10:11], s10, v32
	v_mov_b32_e32 v35, 0xffff8000
	s_and_saveexec_b64 s[24:25], s[10:11]
	s_cbranch_execz .LBB796_225
; %bb.222:
	v_bfe_u32 v32, v26, 16, 7
	s_movk_i32 s10, 0x7f
	v_cmp_ne_u32_e64 s[10:11], s10, v32
	v_mov_b32_e32 v35, 0x7f80
	s_and_saveexec_b64 s[26:27], s[10:11]
	s_cbranch_execz .LBB796_224
; %bb.223:
	v_and_b32_e32 v35, 7, v30
	v_ffbh_u32_e32 v36, v35
	v_min_u32_e32 v39, 32, v36
	v_subrev_u32_e32 v36, 28, v39
	v_lshlrev_b64 v[36:37], v36, v[30:31]
	v_and_b32_e32 v36, 7, v36
	v_cmp_gt_u32_e64 s[10:11], 8, v32
	v_lshrrev_b32_e32 v38, 3, v32
	v_sub_u32_e32 v30, 29, v39
	v_cndmask_b32_e64 v32, v35, v36, s[10:11]
	v_mov_b32_e32 v35, 24
	v_cndmask_b32_e64 v30, v38, v30, s[10:11]
	v_lshlrev_b32_sdwa v35, v35, v26 dst_sel:DWORD dst_unused:UNUSED_PAD src0_sel:DWORD src1_sel:WORD_1
	v_bfrev_b32_e32 v36, 60
	v_lshlrev_b32_e32 v32, 20, v32
	v_and_b32_e32 v35, 0x80000000, v35
	v_lshl_add_u32 v30, v30, 23, v36
	v_or3_b32 v30, v35, v30, v32
	v_lshrrev_b32_e32 v35, 16, v30
.LBB796_224:
	s_or_b64 exec, exec, s[26:27]
.LBB796_225:
	s_or_b64 exec, exec, s[24:25]
.LBB796_226:
	s_or_b64 exec, exec, s[12:13]
	s_mov_b32 s10, 0xffffff
	v_cmp_lt_u32_e64 s[10:11], s10, v26
	v_mov_b32_e32 v36, 0
	s_and_saveexec_b64 s[12:13], s[10:11]
	s_cbranch_execz .LBB796_232
; %bb.227:
	v_lshrrev_b32_e32 v30, 24, v26
	s_movk_i32 s10, 0x80
	v_cmp_ne_u32_e64 s[10:11], s10, v30
	v_mov_b32_e32 v36, 0xffff8000
	s_and_saveexec_b64 s[24:25], s[10:11]
	s_cbranch_execz .LBB796_231
; %bb.228:
	v_bfe_u32 v32, v26, 24, 7
	s_movk_i32 s10, 0x7f
	v_cmp_ne_u32_e64 s[10:11], s10, v32
	v_mov_b32_e32 v36, 0x7f80
	s_and_saveexec_b64 s[26:27], s[10:11]
	s_cbranch_execz .LBB796_230
; %bb.229:
	v_and_b32_e32 v38, 7, v30
	v_ffbh_u32_e32 v36, v38
	v_min_u32_e32 v40, 32, v36
	v_subrev_u32_e32 v36, 28, v40
	v_lshlrev_b64 v[36:37], v36, v[30:31]
	v_lshrrev_b32_e32 v39, 3, v32
	v_sub_u32_e32 v37, 29, v40
	v_and_b32_e32 v36, 7, v36
	v_cmp_gt_u32_e64 s[10:11], 8, v32
	v_cndmask_b32_e64 v32, v39, v37, s[10:11]
	v_cndmask_b32_e64 v36, v38, v36, s[10:11]
	v_lshlrev_b32_e32 v30, 24, v30
	v_bfrev_b32_e32 v37, 60
	v_lshlrev_b32_e32 v36, 20, v36
	v_and_b32_e32 v30, 0x80000000, v30
	v_lshl_add_u32 v32, v32, 23, v37
	v_or3_b32 v30, v30, v32, v36
	v_lshrrev_b32_e32 v36, 16, v30
.LBB796_230:
	s_or_b64 exec, exec, s[26:27]
.LBB796_231:
	s_or_b64 exec, exec, s[24:25]
.LBB796_232:
	s_or_b64 exec, exec, s[12:13]
	v_mov_b32_e32 v37, 0
	v_mov_b32_e32 v30, v27
	v_cmp_ne_u16_sdwa s[10:11], v27, v37 src0_sel:BYTE_0 src1_sel:DWORD
	v_mov_b32_e32 v38, 0
	s_and_saveexec_b64 s[12:13], s[10:11]
	s_cbranch_execz .LBB796_238
; %bb.233:
	s_movk_i32 s10, 0x80
	v_cmp_ne_u16_sdwa s[10:11], v27, s10 src0_sel:BYTE_0 src1_sel:DWORD
	v_mov_b32_e32 v38, 0xffff8000
	s_and_saveexec_b64 s[24:25], s[10:11]
	s_cbranch_execz .LBB796_237
; %bb.234:
	s_movk_i32 s10, 0x7f
	v_and_b32_e32 v32, 0x7f, v27
	v_cmp_ne_u32_e64 s[10:11], s10, v32
	v_mov_b32_e32 v38, 0x7f80
	s_and_saveexec_b64 s[26:27], s[10:11]
	s_cbranch_execz .LBB796_236
; %bb.235:
	v_and_b32_e32 v38, 7, v27
	v_ffbh_u32_e32 v38, v38
	v_min_u32_e32 v38, 32, v38
	v_lshrrev_b32_e32 v39, 3, v32
	v_subrev_u32_e32 v40, 28, v38
	v_sub_u32_e32 v38, 29, v38
	v_cmp_gt_u32_e64 s[10:11], 8, v32
	v_cndmask_b32_e64 v32, v39, v38, s[10:11]
	v_cndmask_b32_e64 v38, 0, v40, s[10:11]
	v_lshlrev_b64 v[38:39], v38, v[30:31]
	v_lshlrev_b32_e32 v31, 20, v38
	v_lshlrev_b32_e32 v38, 24, v30
	v_bfrev_b32_e32 v39, 60
	v_and_b32_e32 v31, 0x700000, v31
	v_and_b32_e32 v38, 0x80000000, v38
	v_lshl_add_u32 v32, v32, 23, v39
	v_or3_b32 v31, v38, v32, v31
	v_lshrrev_b32_e32 v38, 16, v31
.LBB796_236:
	s_or_b64 exec, exec, s[26:27]
.LBB796_237:
	s_or_b64 exec, exec, s[24:25]
.LBB796_238:
	s_or_b64 exec, exec, s[12:13]
	v_lshrrev_b16_e32 v32, 8, v30
	v_cmp_ne_u16_e64 s[10:11], 0, v32
	s_and_saveexec_b64 s[12:13], s[10:11]
	s_cbranch_execz .LBB796_244
; %bb.239:
	s_movk_i32 s10, 0x80
	v_cmp_ne_u16_e64 s[10:11], s10, v32
	v_mov_b32_e32 v37, 0xffff8000
	s_and_saveexec_b64 s[24:25], s[10:11]
	s_cbranch_execz .LBB796_243
; %bb.240:
	s_movk_i32 s10, 0x7f
	v_and_b32_e32 v31, 0x7f, v32
	v_cmp_ne_u32_e64 s[10:11], s10, v31
	v_mov_b32_e32 v37, 0x7f80
	s_and_saveexec_b64 s[26:27], s[10:11]
	s_cbranch_execz .LBB796_242
; %bb.241:
	v_and_b32_e32 v37, 7, v32
	v_ffbh_u32_e32 v40, v37
	v_min_u32_e32 v46, 32, v40
	v_subrev_u32_e32 v40, 28, v46
	v_lshlrev_b64 v[40:41], v40, v[32:33]
	v_lshrrev_b32_e32 v39, 3, v31
	v_sub_u32_e32 v32, 29, v46
	v_and_b32_e32 v40, 7, v40
	v_cmp_gt_u32_e64 s[10:11], 8, v31
	v_cndmask_b32_e64 v31, v39, v32, s[10:11]
	v_cndmask_b32_e64 v32, v37, v40, s[10:11]
	v_lshlrev_b32_e32 v30, 16, v30
	v_bfrev_b32_e32 v37, 60
	v_lshlrev_b32_e32 v32, 20, v32
	v_and_b32_e32 v30, 0x80000000, v30
	v_lshl_add_u32 v31, v31, 23, v37
	v_or3_b32 v30, v30, v31, v32
	v_lshrrev_b32_e32 v37, 16, v30
.LBB796_242:
	s_or_b64 exec, exec, s[26:27]
.LBB796_243:
	s_or_b64 exec, exec, s[24:25]
.LBB796_244:
	s_or_b64 exec, exec, s[12:13]
	s_movk_i32 s10, 0xff
	v_and_b32_sdwa v39, v27, s10 dst_sel:DWORD dst_unused:UNUSED_PAD src0_sel:WORD_1 src1_sel:DWORD
	v_lshrrev_b32_e32 v30, 16, v27
	v_cmp_ne_u16_e64 s[10:11], 0, v39
	v_mov_b32_e32 v31, 0
	v_mov_b32_e32 v32, 0
	s_and_saveexec_b64 s[12:13], s[10:11]
	s_cbranch_execz .LBB796_250
; %bb.245:
	s_movk_i32 s10, 0x80
	v_cmp_ne_u16_e64 s[10:11], s10, v39
	v_mov_b32_e32 v32, 0xffff8000
	s_and_saveexec_b64 s[24:25], s[10:11]
	s_cbranch_execz .LBB796_249
; %bb.246:
	v_bfe_u32 v39, v27, 16, 7
	s_movk_i32 s10, 0x7f
	v_cmp_ne_u32_e64 s[10:11], s10, v39
	v_mov_b32_e32 v32, 0x7f80
	s_and_saveexec_b64 s[26:27], s[10:11]
	s_cbranch_execz .LBB796_248
; %bb.247:
	v_and_b32_e32 v32, 7, v30
	v_ffbh_u32_e32 v40, v32
	v_min_u32_e32 v47, 32, v40
	v_subrev_u32_e32 v40, 28, v47
	v_lshlrev_b64 v[40:41], v40, v[30:31]
	v_lshrrev_b32_e32 v46, 3, v39
	v_sub_u32_e32 v30, 29, v47
	v_and_b32_e32 v40, 7, v40
	v_cmp_gt_u32_e64 s[10:11], 8, v39
	v_mov_b32_e32 v39, 24
	v_cndmask_b32_e64 v30, v46, v30, s[10:11]
	v_cndmask_b32_e64 v32, v32, v40, s[10:11]
	v_lshlrev_b32_sdwa v39, v39, v27 dst_sel:DWORD dst_unused:UNUSED_PAD src0_sel:DWORD src1_sel:WORD_1
	v_bfrev_b32_e32 v40, 60
	v_lshlrev_b32_e32 v32, 20, v32
	v_and_b32_e32 v39, 0x80000000, v39
	v_lshl_add_u32 v30, v30, 23, v40
	v_or3_b32 v30, v39, v30, v32
	v_lshrrev_b32_e32 v32, 16, v30
.LBB796_248:
	s_or_b64 exec, exec, s[26:27]
.LBB796_249:
	s_or_b64 exec, exec, s[24:25]
.LBB796_250:
	s_or_b64 exec, exec, s[12:13]
	s_mov_b32 s10, -1
	s_mov_b32 s11, 0xffffff
	v_cmp_lt_u64_e64 s[10:11], s[10:11], v[26:27]
	s_and_saveexec_b64 s[12:13], s[10:11]
	s_cbranch_execz .LBB796_256
; %bb.251:
	v_lshrrev_b32_e32 v26, 24, v27
	s_movk_i32 s10, 0x80
	v_cmp_ne_u32_e64 s[10:11], s10, v26
	v_mov_b32_e32 v31, 0xffff8000
	s_and_saveexec_b64 s[24:25], s[10:11]
	s_cbranch_execz .LBB796_255
; %bb.252:
	v_bfe_u32 v27, v27, 24, 7
	s_movk_i32 s10, 0x7f
	v_cmp_ne_u32_e64 s[10:11], s10, v27
	v_mov_b32_e32 v31, 0x7f80
	s_and_saveexec_b64 s[26:27], s[10:11]
	s_cbranch_execz .LBB796_254
; %bb.253:
	v_and_b32_e32 v39, 7, v26
	v_ffbh_u32_e32 v30, v39
	v_min_u32_e32 v41, 32, v30
	v_subrev_u32_e32 v30, 28, v41
	v_lshlrev_b64 v[30:31], v30, v[26:27]
	v_lshrrev_b32_e32 v40, 3, v27
	v_sub_u32_e32 v31, 29, v41
	v_and_b32_e32 v30, 7, v30
	v_cmp_gt_u32_e64 s[10:11], 8, v27
	v_cndmask_b32_e64 v27, v40, v31, s[10:11]
	v_cndmask_b32_e64 v30, v39, v30, s[10:11]
	v_lshlrev_b32_e32 v26, 24, v26
	v_bfrev_b32_e32 v31, 60
	v_lshlrev_b32_e32 v30, 20, v30
	v_and_b32_e32 v26, 0x80000000, v26
	v_lshl_add_u32 v27, v27, 23, v31
	v_or3_b32 v26, v26, v27, v30
	v_lshrrev_b32_e32 v31, 16, v26
.LBB796_254:
	s_or_b64 exec, exec, s[26:27]
.LBB796_255:
	s_or_b64 exec, exec, s[24:25]
.LBB796_256:
	s_or_b64 exec, exec, s[12:13]
	s_mov_b32 s10, 0x5040100
	v_perm_b32 v27, v36, v35, s10
	v_perm_b32 v26, v33, v34, s10
	;; [unrolled: 1-line block ×4, first 2 shown]
	v_mfma_f32_4x4x4bf16_1k a[0:3], v[2:3], v[26:27], a[0:3] cbsz:4 abid:4
	v_mov_b32_e32 v32, 0
	v_mfma_f32_4x4x4bf16_1k a[0:3], v[4:5], v[30:31], a[0:3] cbsz:4 abid:4
	v_mov_b32_e32 v31, 0
	v_cmp_ne_u16_sdwa s[10:11], v28, v31 src0_sel:BYTE_0 src1_sel:DWORD
	s_and_saveexec_b64 s[12:13], s[10:11]
	s_cbranch_execz .LBB796_262
; %bb.257:
	s_movk_i32 s10, 0x80
	v_cmp_ne_u16_sdwa s[10:11], v28, s10 src0_sel:BYTE_0 src1_sel:DWORD
	v_mov_b32_e32 v32, 0xffff8000
	s_and_saveexec_b64 s[24:25], s[10:11]
	s_cbranch_execz .LBB796_261
; %bb.258:
	s_movk_i32 s10, 0x7f
	v_and_b32_e32 v26, 0x7f, v28
	v_cmp_ne_u32_e64 s[10:11], s10, v26
	v_mov_b32_e32 v32, 0x7f80
	s_and_saveexec_b64 s[26:27], s[10:11]
	s_cbranch_execz .LBB796_260
; %bb.259:
	v_and_b32_e32 v27, 7, v28
	v_ffbh_u32_e32 v27, v27
	v_min_u32_e32 v27, 32, v27
	v_subrev_u32_e32 v32, 28, v27
	v_cmp_gt_u32_e64 s[10:11], 8, v26
	v_lshrrev_b32_e32 v30, 3, v26
	v_sub_u32_e32 v27, 29, v27
	v_cndmask_b32_e64 v26, 0, v32, s[10:11]
	v_cndmask_b32_e64 v30, v30, v27, s[10:11]
	v_lshlrev_b64 v[26:27], v26, v[28:29]
	v_lshlrev_b32_e32 v26, 20, v26
	v_lshlrev_b32_e32 v27, 24, v28
	v_bfrev_b32_e32 v32, 60
	v_and_b32_e32 v26, 0x700000, v26
	v_and_b32_e32 v27, 0x80000000, v27
	v_lshl_add_u32 v30, v30, 23, v32
	v_or3_b32 v26, v27, v30, v26
	v_lshrrev_b32_e32 v32, 16, v26
.LBB796_260:
	s_or_b64 exec, exec, s[26:27]
.LBB796_261:
	s_or_b64 exec, exec, s[24:25]
.LBB796_262:
	s_or_b64 exec, exec, s[12:13]
	v_lshrrev_b16_e32 v26, 8, v28
	v_cmp_ne_u16_e64 s[10:11], 0, v26
	s_and_saveexec_b64 s[12:13], s[10:11]
	s_cbranch_execz .LBB796_268
; %bb.263:
	s_movk_i32 s10, 0x80
	v_cmp_ne_u16_e64 s[10:11], s10, v26
	v_mov_b32_e32 v31, 0xffff8000
	s_and_saveexec_b64 s[24:25], s[10:11]
	s_cbranch_execz .LBB796_267
; %bb.264:
	s_movk_i32 s10, 0x7f
	v_and_b32_e32 v27, 0x7f, v26
	v_cmp_ne_u32_e64 s[10:11], s10, v27
	v_mov_b32_e32 v31, 0x7f80
	s_and_saveexec_b64 s[26:27], s[10:11]
	s_cbranch_execz .LBB796_266
; %bb.265:
	v_and_b32_e32 v33, 7, v26
	v_ffbh_u32_e32 v30, v33
	v_min_u32_e32 v35, 32, v30
	v_subrev_u32_e32 v30, 28, v35
	v_lshlrev_b64 v[30:31], v30, v[26:27]
	v_lshrrev_b32_e32 v34, 3, v27
	v_sub_u32_e32 v26, 29, v35
	v_and_b32_e32 v30, 7, v30
	v_cmp_gt_u32_e64 s[10:11], 8, v27
	v_cndmask_b32_e64 v26, v34, v26, s[10:11]
	v_cndmask_b32_e64 v27, v33, v30, s[10:11]
	v_lshlrev_b32_e32 v30, 16, v28
	v_bfrev_b32_e32 v31, 60
	v_lshlrev_b32_e32 v27, 20, v27
	v_and_b32_e32 v30, 0x80000000, v30
	v_lshl_add_u32 v26, v26, 23, v31
	v_or3_b32 v26, v30, v26, v27
	v_lshrrev_b32_e32 v31, 16, v26
.LBB796_266:
	s_or_b64 exec, exec, s[26:27]
.LBB796_267:
	s_or_b64 exec, exec, s[24:25]
.LBB796_268:
	s_or_b64 exec, exec, s[12:13]
	s_movk_i32 s10, 0xff
	v_and_b32_sdwa v30, v28, s10 dst_sel:DWORD dst_unused:UNUSED_PAD src0_sel:WORD_1 src1_sel:DWORD
	v_lshrrev_b32_e32 v26, 16, v28
	v_cmp_ne_u16_e64 s[10:11], 0, v30
	v_mov_b32_e32 v27, 0
	v_mov_b32_e32 v33, 0
	s_and_saveexec_b64 s[12:13], s[10:11]
	s_cbranch_execz .LBB796_274
; %bb.269:
	s_movk_i32 s10, 0x80
	v_cmp_ne_u16_e64 s[10:11], s10, v30
	v_mov_b32_e32 v33, 0xffff8000
	s_and_saveexec_b64 s[24:25], s[10:11]
	s_cbranch_execz .LBB796_273
; %bb.270:
	v_bfe_u32 v30, v28, 16, 7
	s_movk_i32 s10, 0x7f
	v_cmp_ne_u32_e64 s[10:11], s10, v30
	v_mov_b32_e32 v33, 0x7f80
	s_and_saveexec_b64 s[26:27], s[10:11]
	s_cbranch_execz .LBB796_272
; %bb.271:
	v_and_b32_e32 v33, 7, v26
	v_ffbh_u32_e32 v34, v33
	v_min_u32_e32 v37, 32, v34
	v_subrev_u32_e32 v34, 28, v37
	v_lshlrev_b64 v[34:35], v34, v[26:27]
	v_and_b32_e32 v34, 7, v34
	v_cmp_gt_u32_e64 s[10:11], 8, v30
	v_lshrrev_b32_e32 v36, 3, v30
	v_sub_u32_e32 v26, 29, v37
	v_cndmask_b32_e64 v30, v33, v34, s[10:11]
	v_mov_b32_e32 v33, 24
	v_cndmask_b32_e64 v26, v36, v26, s[10:11]
	v_lshlrev_b32_sdwa v33, v33, v28 dst_sel:DWORD dst_unused:UNUSED_PAD src0_sel:DWORD src1_sel:WORD_1
	v_bfrev_b32_e32 v34, 60
	v_lshlrev_b32_e32 v30, 20, v30
	v_and_b32_e32 v33, 0x80000000, v33
	v_lshl_add_u32 v26, v26, 23, v34
	v_or3_b32 v26, v33, v26, v30
	v_lshrrev_b32_e32 v33, 16, v26
.LBB796_272:
	s_or_b64 exec, exec, s[26:27]
.LBB796_273:
	s_or_b64 exec, exec, s[24:25]
.LBB796_274:
	s_or_b64 exec, exec, s[12:13]
	s_mov_b32 s10, 0xffffff
	v_cmp_lt_u32_e64 s[10:11], s10, v28
	v_mov_b32_e32 v34, 0
	s_and_saveexec_b64 s[12:13], s[10:11]
	s_cbranch_execz .LBB796_280
; %bb.275:
	v_lshrrev_b32_e32 v26, 24, v28
	s_movk_i32 s10, 0x80
	v_cmp_ne_u32_e64 s[10:11], s10, v26
	v_mov_b32_e32 v34, 0xffff8000
	s_and_saveexec_b64 s[24:25], s[10:11]
	s_cbranch_execz .LBB796_279
; %bb.276:
	v_bfe_u32 v30, v28, 24, 7
	s_movk_i32 s10, 0x7f
	v_cmp_ne_u32_e64 s[10:11], s10, v30
	v_mov_b32_e32 v34, 0x7f80
	s_and_saveexec_b64 s[26:27], s[10:11]
	s_cbranch_execz .LBB796_278
; %bb.277:
	v_and_b32_e32 v36, 7, v26
	v_ffbh_u32_e32 v34, v36
	v_min_u32_e32 v38, 32, v34
	v_subrev_u32_e32 v34, 28, v38
	v_lshlrev_b64 v[34:35], v34, v[26:27]
	v_lshrrev_b32_e32 v37, 3, v30
	v_sub_u32_e32 v35, 29, v38
	v_and_b32_e32 v34, 7, v34
	v_cmp_gt_u32_e64 s[10:11], 8, v30
	v_cndmask_b32_e64 v30, v37, v35, s[10:11]
	v_cndmask_b32_e64 v34, v36, v34, s[10:11]
	v_lshlrev_b32_e32 v26, 24, v26
	v_bfrev_b32_e32 v35, 60
	v_lshlrev_b32_e32 v34, 20, v34
	v_and_b32_e32 v26, 0x80000000, v26
	v_lshl_add_u32 v30, v30, 23, v35
	v_or3_b32 v26, v26, v30, v34
	v_lshrrev_b32_e32 v34, 16, v26
.LBB796_278:
	s_or_b64 exec, exec, s[26:27]
.LBB796_279:
	s_or_b64 exec, exec, s[24:25]
.LBB796_280:
	s_or_b64 exec, exec, s[12:13]
	v_mov_b32_e32 v35, 0
	v_mov_b32_e32 v26, v29
	v_cmp_ne_u16_sdwa s[10:11], v29, v35 src0_sel:BYTE_0 src1_sel:DWORD
	v_mov_b32_e32 v36, 0
	s_and_saveexec_b64 s[12:13], s[10:11]
	s_cbranch_execz .LBB796_286
; %bb.281:
	s_movk_i32 s10, 0x80
	v_cmp_ne_u16_sdwa s[10:11], v29, s10 src0_sel:BYTE_0 src1_sel:DWORD
	v_mov_b32_e32 v36, 0xffff8000
	s_and_saveexec_b64 s[24:25], s[10:11]
	s_cbranch_execz .LBB796_285
; %bb.282:
	s_movk_i32 s10, 0x7f
	v_and_b32_e32 v30, 0x7f, v29
	v_cmp_ne_u32_e64 s[10:11], s10, v30
	v_mov_b32_e32 v36, 0x7f80
	s_and_saveexec_b64 s[26:27], s[10:11]
	s_cbranch_execz .LBB796_284
; %bb.283:
	v_and_b32_e32 v36, 7, v29
	v_ffbh_u32_e32 v36, v36
	v_min_u32_e32 v36, 32, v36
	v_lshrrev_b32_e32 v37, 3, v30
	v_subrev_u32_e32 v38, 28, v36
	v_sub_u32_e32 v36, 29, v36
	v_cmp_gt_u32_e64 s[10:11], 8, v30
	v_cndmask_b32_e64 v30, v37, v36, s[10:11]
	v_cndmask_b32_e64 v36, 0, v38, s[10:11]
	v_lshlrev_b64 v[36:37], v36, v[26:27]
	v_lshlrev_b32_e32 v27, 20, v36
	v_lshlrev_b32_e32 v36, 24, v26
	v_bfrev_b32_e32 v37, 60
	v_and_b32_e32 v27, 0x700000, v27
	v_and_b32_e32 v36, 0x80000000, v36
	v_lshl_add_u32 v30, v30, 23, v37
	v_or3_b32 v27, v36, v30, v27
	v_lshrrev_b32_e32 v36, 16, v27
.LBB796_284:
	s_or_b64 exec, exec, s[26:27]
.LBB796_285:
	s_or_b64 exec, exec, s[24:25]
.LBB796_286:
	s_or_b64 exec, exec, s[12:13]
	v_lshrrev_b16_e32 v30, 8, v26
	v_cmp_ne_u16_e64 s[10:11], 0, v30
	s_and_saveexec_b64 s[12:13], s[10:11]
	s_cbranch_execz .LBB796_292
; %bb.287:
	s_movk_i32 s10, 0x80
	v_cmp_ne_u16_e64 s[10:11], s10, v30
	v_mov_b32_e32 v35, 0xffff8000
	s_and_saveexec_b64 s[24:25], s[10:11]
	s_cbranch_execz .LBB796_291
; %bb.288:
	s_movk_i32 s10, 0x7f
	v_and_b32_e32 v27, 0x7f, v30
	v_cmp_ne_u32_e64 s[10:11], s10, v27
	v_mov_b32_e32 v35, 0x7f80
	s_and_saveexec_b64 s[26:27], s[10:11]
	s_cbranch_execz .LBB796_290
; %bb.289:
	v_and_b32_e32 v35, 7, v30
	v_ffbh_u32_e32 v38, v35
	v_min_u32_e32 v40, 32, v38
	v_subrev_u32_e32 v38, 28, v40
	v_lshlrev_b64 v[38:39], v38, v[30:31]
	v_lshrrev_b32_e32 v37, 3, v27
	v_sub_u32_e32 v30, 29, v40
	v_and_b32_e32 v38, 7, v38
	v_cmp_gt_u32_e64 s[10:11], 8, v27
	v_cndmask_b32_e64 v27, v37, v30, s[10:11]
	v_cndmask_b32_e64 v30, v35, v38, s[10:11]
	v_lshlrev_b32_e32 v26, 16, v26
	v_bfrev_b32_e32 v35, 60
	v_lshlrev_b32_e32 v30, 20, v30
	v_and_b32_e32 v26, 0x80000000, v26
	v_lshl_add_u32 v27, v27, 23, v35
	v_or3_b32 v26, v26, v27, v30
	v_lshrrev_b32_e32 v35, 16, v26
.LBB796_290:
	s_or_b64 exec, exec, s[26:27]
.LBB796_291:
	s_or_b64 exec, exec, s[24:25]
.LBB796_292:
	s_or_b64 exec, exec, s[12:13]
	s_movk_i32 s10, 0xff
	v_and_b32_sdwa v37, v29, s10 dst_sel:DWORD dst_unused:UNUSED_PAD src0_sel:WORD_1 src1_sel:DWORD
	v_lshrrev_b32_e32 v26, 16, v29
	v_cmp_ne_u16_e64 s[10:11], 0, v37
	v_mov_b32_e32 v27, 0
	v_mov_b32_e32 v30, 0
	s_and_saveexec_b64 s[12:13], s[10:11]
	s_cbranch_execz .LBB796_298
; %bb.293:
	s_movk_i32 s10, 0x80
	v_cmp_ne_u16_e64 s[10:11], s10, v37
	v_mov_b32_e32 v30, 0xffff8000
	s_and_saveexec_b64 s[24:25], s[10:11]
	s_cbranch_execz .LBB796_297
; %bb.294:
	v_bfe_u32 v37, v29, 16, 7
	s_movk_i32 s10, 0x7f
	v_cmp_ne_u32_e64 s[10:11], s10, v37
	v_mov_b32_e32 v30, 0x7f80
	s_and_saveexec_b64 s[26:27], s[10:11]
	s_cbranch_execz .LBB796_296
; %bb.295:
	v_and_b32_e32 v30, 7, v26
	v_ffbh_u32_e32 v38, v30
	v_min_u32_e32 v41, 32, v38
	v_subrev_u32_e32 v38, 28, v41
	v_lshlrev_b64 v[38:39], v38, v[26:27]
	v_lshrrev_b32_e32 v40, 3, v37
	v_sub_u32_e32 v26, 29, v41
	v_and_b32_e32 v38, 7, v38
	v_cmp_gt_u32_e64 s[10:11], 8, v37
	v_mov_b32_e32 v37, 24
	v_cndmask_b32_e64 v26, v40, v26, s[10:11]
	v_cndmask_b32_e64 v30, v30, v38, s[10:11]
	v_lshlrev_b32_sdwa v37, v37, v29 dst_sel:DWORD dst_unused:UNUSED_PAD src0_sel:DWORD src1_sel:WORD_1
	v_bfrev_b32_e32 v38, 60
	v_lshlrev_b32_e32 v30, 20, v30
	v_and_b32_e32 v37, 0x80000000, v37
	v_lshl_add_u32 v26, v26, 23, v38
	v_or3_b32 v26, v37, v26, v30
	v_lshrrev_b32_e32 v30, 16, v26
.LBB796_296:
	s_or_b64 exec, exec, s[26:27]
.LBB796_297:
	s_or_b64 exec, exec, s[24:25]
.LBB796_298:
	s_or_b64 exec, exec, s[12:13]
	s_mov_b32 s10, -1
	s_mov_b32 s11, 0xffffff
	v_cmp_lt_u64_e64 s[10:11], s[10:11], v[28:29]
	s_and_saveexec_b64 s[12:13], s[10:11]
	s_cbranch_execz .LBB796_304
; %bb.299:
	v_lshrrev_b32_e32 v26, 24, v29
	s_movk_i32 s10, 0x80
	v_cmp_ne_u32_e64 s[10:11], s10, v26
	v_mov_b32_e32 v27, 0xffff8000
	s_and_saveexec_b64 s[24:25], s[10:11]
	s_cbranch_execz .LBB796_303
; %bb.300:
	v_bfe_u32 v28, v29, 24, 7
	s_movk_i32 s10, 0x7f
	v_cmp_ne_u32_e64 s[10:11], s10, v28
	v_mov_b32_e32 v27, 0x7f80
	s_and_saveexec_b64 s[26:27], s[10:11]
	s_cbranch_execz .LBB796_302
; %bb.301:
	v_and_b32_e32 v27, 7, v26
	v_ffbh_u32_e32 v37, v27
	v_min_u32_e32 v37, 32, v37
	v_subrev_u32_e32 v38, 28, v37
	v_lshlrev_b64 v[38:39], v38, v[26:27]
	v_lshrrev_b32_e32 v29, 3, v28
	v_sub_u32_e32 v37, 29, v37
	v_and_b32_e32 v38, 7, v38
	v_cmp_gt_u32_e64 s[10:11], 8, v28
	v_cndmask_b32_e64 v28, v29, v37, s[10:11]
	v_cndmask_b32_e64 v27, v27, v38, s[10:11]
	v_lshlrev_b32_e32 v26, 24, v26
	v_bfrev_b32_e32 v29, 60
	v_lshlrev_b32_e32 v27, 20, v27
	v_and_b32_e32 v26, 0x80000000, v26
	v_lshl_add_u32 v28, v28, 23, v29
	v_or3_b32 v26, v26, v28, v27
	v_lshrrev_b32_e32 v27, 16, v26
.LBB796_302:
	s_or_b64 exec, exec, s[26:27]
.LBB796_303:
	s_or_b64 exec, exec, s[24:25]
.LBB796_304:
	s_or_b64 exec, exec, s[12:13]
	s_mov_b32 s10, 0x5040100
	v_perm_b32 v29, v34, v33, s10
	v_perm_b32 v28, v31, v32, s10
	v_perm_b32 v27, v27, v30, s10
	v_perm_b32 v26, v35, v36, s10
	v_mfma_f32_4x4x4bf16_1k a[0:3], v[2:3], v[28:29], a[0:3] cbsz:4 abid:5
	v_mov_b32_e32 v29, 0
	v_mfma_f32_4x4x4bf16_1k a[0:3], v[4:5], v[26:27], a[0:3] cbsz:4 abid:5
	v_cmp_ne_u16_sdwa s[10:11], v22, v29 src0_sel:BYTE_0 src1_sel:DWORD
	v_mov_b32_e32 v30, 0
	s_and_saveexec_b64 s[12:13], s[10:11]
	s_cbranch_execz .LBB796_310
; %bb.305:
	s_movk_i32 s10, 0x80
	v_cmp_ne_u16_sdwa s[10:11], v22, s10 src0_sel:BYTE_0 src1_sel:DWORD
	v_mov_b32_e32 v30, 0xffff8000
	s_and_saveexec_b64 s[24:25], s[10:11]
	s_cbranch_execz .LBB796_309
; %bb.306:
	s_movk_i32 s10, 0x7f
	v_and_b32_e32 v26, 0x7f, v22
	v_cmp_ne_u32_e64 s[10:11], s10, v26
	v_mov_b32_e32 v30, 0x7f80
	s_and_saveexec_b64 s[26:27], s[10:11]
	s_cbranch_execz .LBB796_308
; %bb.307:
	v_and_b32_e32 v27, 7, v22
	v_ffbh_u32_e32 v27, v27
	v_min_u32_e32 v27, 32, v27
	v_subrev_u32_e32 v30, 28, v27
	v_cmp_gt_u32_e64 s[10:11], 8, v26
	v_lshrrev_b32_e32 v28, 3, v26
	v_sub_u32_e32 v27, 29, v27
	v_cndmask_b32_e64 v26, 0, v30, s[10:11]
	v_cndmask_b32_e64 v28, v28, v27, s[10:11]
	v_lshlrev_b64 v[26:27], v26, v[22:23]
	v_lshlrev_b32_e32 v26, 20, v26
	v_lshlrev_b32_e32 v27, 24, v22
	v_bfrev_b32_e32 v30, 60
	v_and_b32_e32 v26, 0x700000, v26
	v_and_b32_e32 v27, 0x80000000, v27
	v_lshl_add_u32 v28, v28, 23, v30
	v_or3_b32 v26, v27, v28, v26
	v_lshrrev_b32_e32 v30, 16, v26
.LBB796_308:
	s_or_b64 exec, exec, s[26:27]
.LBB796_309:
	s_or_b64 exec, exec, s[24:25]
.LBB796_310:
	s_or_b64 exec, exec, s[12:13]
	v_lshrrev_b16_e32 v26, 8, v22
	v_cmp_ne_u16_e64 s[10:11], 0, v26
	s_and_saveexec_b64 s[12:13], s[10:11]
	s_cbranch_execz .LBB796_316
; %bb.311:
	s_movk_i32 s10, 0x80
	v_cmp_ne_u16_e64 s[10:11], s10, v26
	v_mov_b32_e32 v29, 0xffff8000
	s_and_saveexec_b64 s[24:25], s[10:11]
	s_cbranch_execz .LBB796_315
; %bb.312:
	s_movk_i32 s10, 0x7f
	v_and_b32_e32 v27, 0x7f, v26
	v_cmp_ne_u32_e64 s[10:11], s10, v27
	v_mov_b32_e32 v29, 0x7f80
	s_and_saveexec_b64 s[26:27], s[10:11]
	s_cbranch_execz .LBB796_314
; %bb.313:
	v_and_b32_e32 v31, 7, v26
	v_ffbh_u32_e32 v28, v31
	v_min_u32_e32 v33, 32, v28
	v_subrev_u32_e32 v28, 28, v33
	v_lshlrev_b64 v[28:29], v28, v[26:27]
	v_lshrrev_b32_e32 v32, 3, v27
	v_sub_u32_e32 v26, 29, v33
	v_and_b32_e32 v28, 7, v28
	v_cmp_gt_u32_e64 s[10:11], 8, v27
	v_cndmask_b32_e64 v26, v32, v26, s[10:11]
	v_cndmask_b32_e64 v27, v31, v28, s[10:11]
	v_lshlrev_b32_e32 v28, 16, v22
	v_bfrev_b32_e32 v29, 60
	v_lshlrev_b32_e32 v27, 20, v27
	v_and_b32_e32 v28, 0x80000000, v28
	v_lshl_add_u32 v26, v26, 23, v29
	v_or3_b32 v26, v28, v26, v27
	v_lshrrev_b32_e32 v29, 16, v26
.LBB796_314:
	s_or_b64 exec, exec, s[26:27]
.LBB796_315:
	s_or_b64 exec, exec, s[24:25]
.LBB796_316:
	s_or_b64 exec, exec, s[12:13]
	s_movk_i32 s10, 0xff
	v_and_b32_sdwa v28, v22, s10 dst_sel:DWORD dst_unused:UNUSED_PAD src0_sel:WORD_1 src1_sel:DWORD
	v_lshrrev_b32_e32 v26, 16, v22
	v_cmp_ne_u16_e64 s[10:11], 0, v28
	v_mov_b32_e32 v27, 0
	v_mov_b32_e32 v31, 0
	s_and_saveexec_b64 s[12:13], s[10:11]
	s_cbranch_execz .LBB796_322
; %bb.317:
	s_movk_i32 s10, 0x80
	v_cmp_ne_u16_e64 s[10:11], s10, v28
	v_mov_b32_e32 v31, 0xffff8000
	s_and_saveexec_b64 s[24:25], s[10:11]
	s_cbranch_execz .LBB796_321
; %bb.318:
	v_bfe_u32 v28, v22, 16, 7
	s_movk_i32 s10, 0x7f
	v_cmp_ne_u32_e64 s[10:11], s10, v28
	v_mov_b32_e32 v31, 0x7f80
	s_and_saveexec_b64 s[26:27], s[10:11]
	s_cbranch_execz .LBB796_320
; %bb.319:
	v_and_b32_e32 v31, 7, v26
	v_ffbh_u32_e32 v32, v31
	v_min_u32_e32 v35, 32, v32
	v_subrev_u32_e32 v32, 28, v35
	v_lshlrev_b64 v[32:33], v32, v[26:27]
	v_and_b32_e32 v32, 7, v32
	v_cmp_gt_u32_e64 s[10:11], 8, v28
	v_lshrrev_b32_e32 v34, 3, v28
	v_sub_u32_e32 v26, 29, v35
	v_cndmask_b32_e64 v28, v31, v32, s[10:11]
	v_mov_b32_e32 v31, 24
	v_cndmask_b32_e64 v26, v34, v26, s[10:11]
	v_lshlrev_b32_sdwa v31, v31, v22 dst_sel:DWORD dst_unused:UNUSED_PAD src0_sel:DWORD src1_sel:WORD_1
	v_bfrev_b32_e32 v32, 60
	v_lshlrev_b32_e32 v28, 20, v28
	v_and_b32_e32 v31, 0x80000000, v31
	v_lshl_add_u32 v26, v26, 23, v32
	v_or3_b32 v26, v31, v26, v28
	v_lshrrev_b32_e32 v31, 16, v26
.LBB796_320:
	s_or_b64 exec, exec, s[26:27]
.LBB796_321:
	s_or_b64 exec, exec, s[24:25]
.LBB796_322:
	s_or_b64 exec, exec, s[12:13]
	s_mov_b32 s10, 0xffffff
	v_cmp_lt_u32_e64 s[10:11], s10, v22
	v_mov_b32_e32 v32, 0
	s_and_saveexec_b64 s[12:13], s[10:11]
	s_cbranch_execz .LBB796_328
; %bb.323:
	v_lshrrev_b32_e32 v26, 24, v22
	s_movk_i32 s10, 0x80
	v_cmp_ne_u32_e64 s[10:11], s10, v26
	v_mov_b32_e32 v32, 0xffff8000
	s_and_saveexec_b64 s[24:25], s[10:11]
	s_cbranch_execz .LBB796_327
; %bb.324:
	v_bfe_u32 v28, v22, 24, 7
	s_movk_i32 s10, 0x7f
	v_cmp_ne_u32_e64 s[10:11], s10, v28
	v_mov_b32_e32 v32, 0x7f80
	s_and_saveexec_b64 s[26:27], s[10:11]
	s_cbranch_execz .LBB796_326
; %bb.325:
	v_and_b32_e32 v34, 7, v26
	v_ffbh_u32_e32 v32, v34
	v_min_u32_e32 v36, 32, v32
	v_subrev_u32_e32 v32, 28, v36
	v_lshlrev_b64 v[32:33], v32, v[26:27]
	v_lshrrev_b32_e32 v35, 3, v28
	v_sub_u32_e32 v33, 29, v36
	v_and_b32_e32 v32, 7, v32
	v_cmp_gt_u32_e64 s[10:11], 8, v28
	v_cndmask_b32_e64 v28, v35, v33, s[10:11]
	v_cndmask_b32_e64 v32, v34, v32, s[10:11]
	v_lshlrev_b32_e32 v26, 24, v26
	v_bfrev_b32_e32 v33, 60
	v_lshlrev_b32_e32 v32, 20, v32
	v_and_b32_e32 v26, 0x80000000, v26
	v_lshl_add_u32 v28, v28, 23, v33
	v_or3_b32 v26, v26, v28, v32
	v_lshrrev_b32_e32 v32, 16, v26
.LBB796_326:
	s_or_b64 exec, exec, s[26:27]
.LBB796_327:
	s_or_b64 exec, exec, s[24:25]
.LBB796_328:
	s_or_b64 exec, exec, s[12:13]
	v_mov_b32_e32 v33, 0
	v_mov_b32_e32 v26, v23
	v_cmp_ne_u16_sdwa s[10:11], v23, v33 src0_sel:BYTE_0 src1_sel:DWORD
	v_mov_b32_e32 v34, 0
	s_and_saveexec_b64 s[12:13], s[10:11]
	s_cbranch_execz .LBB796_334
; %bb.329:
	s_movk_i32 s10, 0x80
	v_cmp_ne_u16_sdwa s[10:11], v23, s10 src0_sel:BYTE_0 src1_sel:DWORD
	v_mov_b32_e32 v34, 0xffff8000
	s_and_saveexec_b64 s[24:25], s[10:11]
	s_cbranch_execz .LBB796_333
; %bb.330:
	s_movk_i32 s10, 0x7f
	v_and_b32_e32 v28, 0x7f, v23
	v_cmp_ne_u32_e64 s[10:11], s10, v28
	v_mov_b32_e32 v34, 0x7f80
	s_and_saveexec_b64 s[26:27], s[10:11]
	s_cbranch_execz .LBB796_332
; %bb.331:
	v_and_b32_e32 v34, 7, v23
	v_ffbh_u32_e32 v34, v34
	v_min_u32_e32 v34, 32, v34
	v_lshrrev_b32_e32 v35, 3, v28
	v_subrev_u32_e32 v36, 28, v34
	v_sub_u32_e32 v34, 29, v34
	v_cmp_gt_u32_e64 s[10:11], 8, v28
	v_cndmask_b32_e64 v28, v35, v34, s[10:11]
	v_cndmask_b32_e64 v34, 0, v36, s[10:11]
	v_lshlrev_b64 v[34:35], v34, v[26:27]
	v_lshlrev_b32_e32 v27, 20, v34
	v_lshlrev_b32_e32 v34, 24, v26
	v_bfrev_b32_e32 v35, 60
	v_and_b32_e32 v27, 0x700000, v27
	v_and_b32_e32 v34, 0x80000000, v34
	v_lshl_add_u32 v28, v28, 23, v35
	v_or3_b32 v27, v34, v28, v27
	v_lshrrev_b32_e32 v34, 16, v27
.LBB796_332:
	s_or_b64 exec, exec, s[26:27]
.LBB796_333:
	s_or_b64 exec, exec, s[24:25]
.LBB796_334:
	s_or_b64 exec, exec, s[12:13]
	v_lshrrev_b16_e32 v28, 8, v26
	v_cmp_ne_u16_e64 s[10:11], 0, v28
	s_and_saveexec_b64 s[12:13], s[10:11]
	s_cbranch_execz .LBB796_340
; %bb.335:
	s_movk_i32 s10, 0x80
	v_cmp_ne_u16_e64 s[10:11], s10, v28
	v_mov_b32_e32 v33, 0xffff8000
	s_and_saveexec_b64 s[24:25], s[10:11]
	s_cbranch_execz .LBB796_339
; %bb.336:
	s_movk_i32 s10, 0x7f
	v_and_b32_e32 v27, 0x7f, v28
	v_cmp_ne_u32_e64 s[10:11], s10, v27
	v_mov_b32_e32 v33, 0x7f80
	s_and_saveexec_b64 s[26:27], s[10:11]
	s_cbranch_execz .LBB796_338
; %bb.337:
	v_and_b32_e32 v33, 7, v28
	v_ffbh_u32_e32 v36, v33
	v_min_u32_e32 v38, 32, v36
	v_subrev_u32_e32 v36, 28, v38
	v_lshlrev_b64 v[36:37], v36, v[28:29]
	v_lshrrev_b32_e32 v35, 3, v27
	v_sub_u32_e32 v28, 29, v38
	v_and_b32_e32 v36, 7, v36
	v_cmp_gt_u32_e64 s[10:11], 8, v27
	v_cndmask_b32_e64 v27, v35, v28, s[10:11]
	v_cndmask_b32_e64 v28, v33, v36, s[10:11]
	v_lshlrev_b32_e32 v26, 16, v26
	v_bfrev_b32_e32 v33, 60
	v_lshlrev_b32_e32 v28, 20, v28
	v_and_b32_e32 v26, 0x80000000, v26
	v_lshl_add_u32 v27, v27, 23, v33
	v_or3_b32 v26, v26, v27, v28
	v_lshrrev_b32_e32 v33, 16, v26
.LBB796_338:
	s_or_b64 exec, exec, s[26:27]
.LBB796_339:
	s_or_b64 exec, exec, s[24:25]
.LBB796_340:
	s_or_b64 exec, exec, s[12:13]
	s_movk_i32 s10, 0xff
	v_and_b32_sdwa v35, v23, s10 dst_sel:DWORD dst_unused:UNUSED_PAD src0_sel:WORD_1 src1_sel:DWORD
	v_lshrrev_b32_e32 v26, 16, v23
	v_cmp_ne_u16_e64 s[10:11], 0, v35
	v_mov_b32_e32 v27, 0
	v_mov_b32_e32 v28, 0
	s_and_saveexec_b64 s[12:13], s[10:11]
	s_cbranch_execz .LBB796_346
; %bb.341:
	s_movk_i32 s10, 0x80
	v_cmp_ne_u16_e64 s[10:11], s10, v35
	v_mov_b32_e32 v28, 0xffff8000
	s_and_saveexec_b64 s[24:25], s[10:11]
	s_cbranch_execz .LBB796_345
; %bb.342:
	v_bfe_u32 v35, v23, 16, 7
	s_movk_i32 s10, 0x7f
	v_cmp_ne_u32_e64 s[10:11], s10, v35
	v_mov_b32_e32 v28, 0x7f80
	s_and_saveexec_b64 s[26:27], s[10:11]
	s_cbranch_execz .LBB796_344
; %bb.343:
	v_and_b32_e32 v28, 7, v26
	v_ffbh_u32_e32 v36, v28
	v_min_u32_e32 v39, 32, v36
	v_subrev_u32_e32 v36, 28, v39
	v_lshlrev_b64 v[36:37], v36, v[26:27]
	v_lshrrev_b32_e32 v38, 3, v35
	v_sub_u32_e32 v26, 29, v39
	v_and_b32_e32 v36, 7, v36
	v_cmp_gt_u32_e64 s[10:11], 8, v35
	v_mov_b32_e32 v35, 24
	v_cndmask_b32_e64 v26, v38, v26, s[10:11]
	v_cndmask_b32_e64 v28, v28, v36, s[10:11]
	v_lshlrev_b32_sdwa v35, v35, v23 dst_sel:DWORD dst_unused:UNUSED_PAD src0_sel:DWORD src1_sel:WORD_1
	v_bfrev_b32_e32 v36, 60
	v_lshlrev_b32_e32 v28, 20, v28
	v_and_b32_e32 v35, 0x80000000, v35
	v_lshl_add_u32 v26, v26, 23, v36
	v_or3_b32 v26, v35, v26, v28
	v_lshrrev_b32_e32 v28, 16, v26
.LBB796_344:
	s_or_b64 exec, exec, s[26:27]
.LBB796_345:
	s_or_b64 exec, exec, s[24:25]
.LBB796_346:
	s_or_b64 exec, exec, s[12:13]
	s_mov_b32 s10, -1
	s_mov_b32 s11, 0xffffff
	v_cmp_lt_u64_e64 s[10:11], s[10:11], v[22:23]
	s_and_saveexec_b64 s[12:13], s[10:11]
	s_cbranch_execz .LBB796_352
; %bb.347:
	v_lshrrev_b32_e32 v22, 24, v23
	s_movk_i32 s10, 0x80
	v_cmp_ne_u32_e64 s[10:11], s10, v22
	v_mov_b32_e32 v27, 0xffff8000
	s_and_saveexec_b64 s[24:25], s[10:11]
	s_cbranch_execz .LBB796_351
; %bb.348:
	v_bfe_u32 v23, v23, 24, 7
	s_movk_i32 s10, 0x7f
	v_cmp_ne_u32_e64 s[10:11], s10, v23
	v_mov_b32_e32 v27, 0x7f80
	s_and_saveexec_b64 s[26:27], s[10:11]
	s_cbranch_execz .LBB796_350
; %bb.349:
	v_and_b32_e32 v35, 7, v22
	v_ffbh_u32_e32 v26, v35
	v_min_u32_e32 v37, 32, v26
	v_subrev_u32_e32 v26, 28, v37
	v_lshlrev_b64 v[26:27], v26, v[22:23]
	v_lshrrev_b32_e32 v36, 3, v23
	v_sub_u32_e32 v27, 29, v37
	v_and_b32_e32 v26, 7, v26
	v_cmp_gt_u32_e64 s[10:11], 8, v23
	v_cndmask_b32_e64 v23, v36, v27, s[10:11]
	v_cndmask_b32_e64 v26, v35, v26, s[10:11]
	v_lshlrev_b32_e32 v22, 24, v22
	v_bfrev_b32_e32 v27, 60
	v_lshlrev_b32_e32 v26, 20, v26
	v_and_b32_e32 v22, 0x80000000, v22
	v_lshl_add_u32 v23, v23, 23, v27
	v_or3_b32 v22, v22, v23, v26
	v_lshrrev_b32_e32 v27, 16, v22
.LBB796_350:
	s_or_b64 exec, exec, s[26:27]
.LBB796_351:
	s_or_b64 exec, exec, s[24:25]
.LBB796_352:
	s_or_b64 exec, exec, s[12:13]
	s_mov_b32 s10, 0x5040100
	v_perm_b32 v23, v32, v31, s10
	v_perm_b32 v22, v29, v30, s10
	v_perm_b32 v27, v27, v28, s10
	v_perm_b32 v26, v33, v34, s10
	v_mfma_f32_4x4x4bf16_1k a[0:3], v[2:3], v[22:23], a[0:3] cbsz:4 abid:6
	v_mov_b32_e32 v28, 0
	v_mfma_f32_4x4x4bf16_1k a[0:3], v[4:5], v[26:27], a[0:3] cbsz:4 abid:6
	v_mov_b32_e32 v27, 0
	v_cmp_ne_u16_sdwa s[10:11], v24, v27 src0_sel:BYTE_0 src1_sel:DWORD
	s_and_saveexec_b64 s[12:13], s[10:11]
	s_cbranch_execz .LBB796_358
; %bb.353:
	s_movk_i32 s10, 0x80
	v_cmp_ne_u16_sdwa s[10:11], v24, s10 src0_sel:BYTE_0 src1_sel:DWORD
	v_mov_b32_e32 v28, 0xffff8000
	s_and_saveexec_b64 s[24:25], s[10:11]
	s_cbranch_execz .LBB796_357
; %bb.354:
	s_movk_i32 s10, 0x7f
	v_and_b32_e32 v22, 0x7f, v24
	v_cmp_ne_u32_e64 s[10:11], s10, v22
	v_mov_b32_e32 v28, 0x7f80
	s_and_saveexec_b64 s[26:27], s[10:11]
	s_cbranch_execz .LBB796_356
; %bb.355:
	v_and_b32_e32 v23, 7, v24
	v_ffbh_u32_e32 v23, v23
	v_min_u32_e32 v23, 32, v23
	v_subrev_u32_e32 v28, 28, v23
	v_cmp_gt_u32_e64 s[10:11], 8, v22
	v_lshrrev_b32_e32 v26, 3, v22
	v_sub_u32_e32 v23, 29, v23
	v_cndmask_b32_e64 v22, 0, v28, s[10:11]
	v_cndmask_b32_e64 v26, v26, v23, s[10:11]
	v_lshlrev_b64 v[22:23], v22, v[24:25]
	v_lshlrev_b32_e32 v22, 20, v22
	v_lshlrev_b32_e32 v23, 24, v24
	v_bfrev_b32_e32 v28, 60
	v_and_b32_e32 v22, 0x700000, v22
	v_and_b32_e32 v23, 0x80000000, v23
	v_lshl_add_u32 v26, v26, 23, v28
	v_or3_b32 v22, v23, v26, v22
	v_lshrrev_b32_e32 v28, 16, v22
.LBB796_356:
	s_or_b64 exec, exec, s[26:27]
.LBB796_357:
	s_or_b64 exec, exec, s[24:25]
.LBB796_358:
	s_or_b64 exec, exec, s[12:13]
	v_lshrrev_b16_e32 v22, 8, v24
	v_cmp_ne_u16_e64 s[10:11], 0, v22
	s_and_saveexec_b64 s[12:13], s[10:11]
	s_cbranch_execz .LBB796_364
; %bb.359:
	s_movk_i32 s10, 0x80
	v_cmp_ne_u16_e64 s[10:11], s10, v22
	v_mov_b32_e32 v27, 0xffff8000
	s_and_saveexec_b64 s[24:25], s[10:11]
	s_cbranch_execz .LBB796_363
; %bb.360:
	s_movk_i32 s10, 0x7f
	v_and_b32_e32 v23, 0x7f, v22
	v_cmp_ne_u32_e64 s[10:11], s10, v23
	v_mov_b32_e32 v27, 0x7f80
	s_and_saveexec_b64 s[26:27], s[10:11]
	s_cbranch_execz .LBB796_362
; %bb.361:
	v_and_b32_e32 v29, 7, v22
	v_ffbh_u32_e32 v26, v29
	v_min_u32_e32 v31, 32, v26
	v_subrev_u32_e32 v26, 28, v31
	v_lshlrev_b64 v[26:27], v26, v[22:23]
	v_lshrrev_b32_e32 v30, 3, v23
	v_sub_u32_e32 v22, 29, v31
	v_and_b32_e32 v26, 7, v26
	v_cmp_gt_u32_e64 s[10:11], 8, v23
	v_cndmask_b32_e64 v22, v30, v22, s[10:11]
	v_cndmask_b32_e64 v23, v29, v26, s[10:11]
	v_lshlrev_b32_e32 v26, 16, v24
	v_bfrev_b32_e32 v27, 60
	v_lshlrev_b32_e32 v23, 20, v23
	v_and_b32_e32 v26, 0x80000000, v26
	v_lshl_add_u32 v22, v22, 23, v27
	v_or3_b32 v22, v26, v22, v23
	v_lshrrev_b32_e32 v27, 16, v22
.LBB796_362:
	s_or_b64 exec, exec, s[26:27]
.LBB796_363:
	s_or_b64 exec, exec, s[24:25]
.LBB796_364:
	s_or_b64 exec, exec, s[12:13]
	s_movk_i32 s10, 0xff
	v_and_b32_sdwa v26, v24, s10 dst_sel:DWORD dst_unused:UNUSED_PAD src0_sel:WORD_1 src1_sel:DWORD
	v_lshrrev_b32_e32 v22, 16, v24
	v_cmp_ne_u16_e64 s[10:11], 0, v26
	v_mov_b32_e32 v23, 0
	v_mov_b32_e32 v29, 0
	s_and_saveexec_b64 s[12:13], s[10:11]
	s_cbranch_execz .LBB796_370
; %bb.365:
	s_movk_i32 s10, 0x80
	v_cmp_ne_u16_e64 s[10:11], s10, v26
	v_mov_b32_e32 v29, 0xffff8000
	s_and_saveexec_b64 s[24:25], s[10:11]
	s_cbranch_execz .LBB796_369
; %bb.366:
	v_bfe_u32 v26, v24, 16, 7
	s_movk_i32 s10, 0x7f
	v_cmp_ne_u32_e64 s[10:11], s10, v26
	v_mov_b32_e32 v29, 0x7f80
	s_and_saveexec_b64 s[26:27], s[10:11]
	s_cbranch_execz .LBB796_368
; %bb.367:
	v_and_b32_e32 v29, 7, v22
	v_ffbh_u32_e32 v30, v29
	v_min_u32_e32 v33, 32, v30
	v_subrev_u32_e32 v30, 28, v33
	v_lshlrev_b64 v[30:31], v30, v[22:23]
	v_and_b32_e32 v30, 7, v30
	v_cmp_gt_u32_e64 s[10:11], 8, v26
	v_lshrrev_b32_e32 v32, 3, v26
	v_sub_u32_e32 v22, 29, v33
	v_cndmask_b32_e64 v26, v29, v30, s[10:11]
	v_mov_b32_e32 v29, 24
	v_cndmask_b32_e64 v22, v32, v22, s[10:11]
	v_lshlrev_b32_sdwa v29, v29, v24 dst_sel:DWORD dst_unused:UNUSED_PAD src0_sel:DWORD src1_sel:WORD_1
	v_bfrev_b32_e32 v30, 60
	v_lshlrev_b32_e32 v26, 20, v26
	v_and_b32_e32 v29, 0x80000000, v29
	v_lshl_add_u32 v22, v22, 23, v30
	v_or3_b32 v22, v29, v22, v26
	v_lshrrev_b32_e32 v29, 16, v22
.LBB796_368:
	s_or_b64 exec, exec, s[26:27]
.LBB796_369:
	s_or_b64 exec, exec, s[24:25]
.LBB796_370:
	s_or_b64 exec, exec, s[12:13]
	s_mov_b32 s10, 0xffffff
	v_cmp_lt_u32_e64 s[10:11], s10, v24
	v_mov_b32_e32 v30, 0
	s_and_saveexec_b64 s[12:13], s[10:11]
	s_cbranch_execz .LBB796_376
; %bb.371:
	v_lshrrev_b32_e32 v22, 24, v24
	s_movk_i32 s10, 0x80
	v_cmp_ne_u32_e64 s[10:11], s10, v22
	v_mov_b32_e32 v30, 0xffff8000
	s_and_saveexec_b64 s[24:25], s[10:11]
	s_cbranch_execz .LBB796_375
; %bb.372:
	v_bfe_u32 v26, v24, 24, 7
	s_movk_i32 s10, 0x7f
	v_cmp_ne_u32_e64 s[10:11], s10, v26
	v_mov_b32_e32 v30, 0x7f80
	s_and_saveexec_b64 s[26:27], s[10:11]
	s_cbranch_execz .LBB796_374
; %bb.373:
	v_and_b32_e32 v32, 7, v22
	v_ffbh_u32_e32 v30, v32
	v_min_u32_e32 v34, 32, v30
	v_subrev_u32_e32 v30, 28, v34
	v_lshlrev_b64 v[30:31], v30, v[22:23]
	v_lshrrev_b32_e32 v33, 3, v26
	v_sub_u32_e32 v31, 29, v34
	v_and_b32_e32 v30, 7, v30
	v_cmp_gt_u32_e64 s[10:11], 8, v26
	v_cndmask_b32_e64 v26, v33, v31, s[10:11]
	v_cndmask_b32_e64 v30, v32, v30, s[10:11]
	v_lshlrev_b32_e32 v22, 24, v22
	v_bfrev_b32_e32 v31, 60
	v_lshlrev_b32_e32 v30, 20, v30
	v_and_b32_e32 v22, 0x80000000, v22
	v_lshl_add_u32 v26, v26, 23, v31
	v_or3_b32 v22, v22, v26, v30
	v_lshrrev_b32_e32 v30, 16, v22
.LBB796_374:
	s_or_b64 exec, exec, s[26:27]
.LBB796_375:
	s_or_b64 exec, exec, s[24:25]
.LBB796_376:
	s_or_b64 exec, exec, s[12:13]
	v_mov_b32_e32 v31, 0
	v_mov_b32_e32 v22, v25
	v_cmp_ne_u16_sdwa s[10:11], v25, v31 src0_sel:BYTE_0 src1_sel:DWORD
	v_mov_b32_e32 v32, 0
	s_and_saveexec_b64 s[12:13], s[10:11]
	s_cbranch_execz .LBB796_382
; %bb.377:
	s_movk_i32 s10, 0x80
	v_cmp_ne_u16_sdwa s[10:11], v25, s10 src0_sel:BYTE_0 src1_sel:DWORD
	v_mov_b32_e32 v32, 0xffff8000
	s_and_saveexec_b64 s[24:25], s[10:11]
	s_cbranch_execz .LBB796_381
; %bb.378:
	s_movk_i32 s10, 0x7f
	v_and_b32_e32 v26, 0x7f, v25
	v_cmp_ne_u32_e64 s[10:11], s10, v26
	v_mov_b32_e32 v32, 0x7f80
	s_and_saveexec_b64 s[26:27], s[10:11]
	s_cbranch_execz .LBB796_380
; %bb.379:
	v_and_b32_e32 v32, 7, v25
	v_ffbh_u32_e32 v32, v32
	v_min_u32_e32 v32, 32, v32
	v_lshrrev_b32_e32 v33, 3, v26
	v_subrev_u32_e32 v34, 28, v32
	v_sub_u32_e32 v32, 29, v32
	v_cmp_gt_u32_e64 s[10:11], 8, v26
	v_cndmask_b32_e64 v26, v33, v32, s[10:11]
	v_cndmask_b32_e64 v32, 0, v34, s[10:11]
	v_lshlrev_b64 v[32:33], v32, v[22:23]
	v_lshlrev_b32_e32 v23, 20, v32
	v_lshlrev_b32_e32 v32, 24, v22
	v_bfrev_b32_e32 v33, 60
	v_and_b32_e32 v23, 0x700000, v23
	v_and_b32_e32 v32, 0x80000000, v32
	v_lshl_add_u32 v26, v26, 23, v33
	v_or3_b32 v23, v32, v26, v23
	v_lshrrev_b32_e32 v32, 16, v23
.LBB796_380:
	s_or_b64 exec, exec, s[26:27]
.LBB796_381:
	s_or_b64 exec, exec, s[24:25]
.LBB796_382:
	s_or_b64 exec, exec, s[12:13]
	v_lshrrev_b16_e32 v26, 8, v22
	v_cmp_ne_u16_e64 s[10:11], 0, v26
	s_and_saveexec_b64 s[12:13], s[10:11]
	s_cbranch_execz .LBB796_388
; %bb.383:
	s_movk_i32 s10, 0x80
	v_cmp_ne_u16_e64 s[10:11], s10, v26
	v_mov_b32_e32 v31, 0xffff8000
	s_and_saveexec_b64 s[24:25], s[10:11]
	s_cbranch_execz .LBB796_387
; %bb.384:
	s_movk_i32 s10, 0x7f
	v_and_b32_e32 v23, 0x7f, v26
	v_cmp_ne_u32_e64 s[10:11], s10, v23
	v_mov_b32_e32 v31, 0x7f80
	s_and_saveexec_b64 s[26:27], s[10:11]
	s_cbranch_execz .LBB796_386
; %bb.385:
	v_and_b32_e32 v31, 7, v26
	v_ffbh_u32_e32 v34, v31
	v_min_u32_e32 v36, 32, v34
	v_subrev_u32_e32 v34, 28, v36
	v_lshlrev_b64 v[34:35], v34, v[26:27]
	v_lshrrev_b32_e32 v33, 3, v23
	v_sub_u32_e32 v26, 29, v36
	v_and_b32_e32 v34, 7, v34
	v_cmp_gt_u32_e64 s[10:11], 8, v23
	v_cndmask_b32_e64 v23, v33, v26, s[10:11]
	v_cndmask_b32_e64 v26, v31, v34, s[10:11]
	v_lshlrev_b32_e32 v22, 16, v22
	v_bfrev_b32_e32 v31, 60
	v_lshlrev_b32_e32 v26, 20, v26
	v_and_b32_e32 v22, 0x80000000, v22
	v_lshl_add_u32 v23, v23, 23, v31
	v_or3_b32 v22, v22, v23, v26
	v_lshrrev_b32_e32 v31, 16, v22
.LBB796_386:
	s_or_b64 exec, exec, s[26:27]
.LBB796_387:
	s_or_b64 exec, exec, s[24:25]
.LBB796_388:
	s_or_b64 exec, exec, s[12:13]
	s_movk_i32 s10, 0xff
	v_and_b32_sdwa v33, v25, s10 dst_sel:DWORD dst_unused:UNUSED_PAD src0_sel:WORD_1 src1_sel:DWORD
	v_lshrrev_b32_e32 v22, 16, v25
	v_cmp_ne_u16_e64 s[10:11], 0, v33
	v_mov_b32_e32 v23, 0
	v_mov_b32_e32 v26, 0
	s_and_saveexec_b64 s[12:13], s[10:11]
	s_cbranch_execz .LBB796_394
; %bb.389:
	s_movk_i32 s10, 0x80
	v_cmp_ne_u16_e64 s[10:11], s10, v33
	v_mov_b32_e32 v26, 0xffff8000
	s_and_saveexec_b64 s[24:25], s[10:11]
	s_cbranch_execz .LBB796_393
; %bb.390:
	v_bfe_u32 v33, v25, 16, 7
	s_movk_i32 s10, 0x7f
	v_cmp_ne_u32_e64 s[10:11], s10, v33
	v_mov_b32_e32 v26, 0x7f80
	s_and_saveexec_b64 s[26:27], s[10:11]
	s_cbranch_execz .LBB796_392
; %bb.391:
	v_and_b32_e32 v26, 7, v22
	v_ffbh_u32_e32 v34, v26
	v_min_u32_e32 v37, 32, v34
	v_subrev_u32_e32 v34, 28, v37
	v_lshlrev_b64 v[34:35], v34, v[22:23]
	v_lshrrev_b32_e32 v36, 3, v33
	v_sub_u32_e32 v22, 29, v37
	v_and_b32_e32 v34, 7, v34
	v_cmp_gt_u32_e64 s[10:11], 8, v33
	v_mov_b32_e32 v33, 24
	v_cndmask_b32_e64 v22, v36, v22, s[10:11]
	v_cndmask_b32_e64 v26, v26, v34, s[10:11]
	v_lshlrev_b32_sdwa v33, v33, v25 dst_sel:DWORD dst_unused:UNUSED_PAD src0_sel:DWORD src1_sel:WORD_1
	v_bfrev_b32_e32 v34, 60
	v_lshlrev_b32_e32 v26, 20, v26
	v_and_b32_e32 v33, 0x80000000, v33
	v_lshl_add_u32 v22, v22, 23, v34
	v_or3_b32 v22, v33, v22, v26
	v_lshrrev_b32_e32 v26, 16, v22
.LBB796_392:
	s_or_b64 exec, exec, s[26:27]
.LBB796_393:
	s_or_b64 exec, exec, s[24:25]
.LBB796_394:
	s_or_b64 exec, exec, s[12:13]
	s_mov_b32 s10, -1
	s_mov_b32 s11, 0xffffff
	v_cmp_lt_u64_e64 s[10:11], s[10:11], v[24:25]
	s_and_saveexec_b64 s[12:13], s[10:11]
	s_cbranch_execz .LBB796_400
; %bb.395:
	v_lshrrev_b32_e32 v22, 24, v25
	s_movk_i32 s10, 0x80
	v_cmp_ne_u32_e64 s[10:11], s10, v22
	v_mov_b32_e32 v23, 0xffff8000
	s_and_saveexec_b64 s[24:25], s[10:11]
	s_cbranch_execz .LBB796_399
; %bb.396:
	v_bfe_u32 v24, v25, 24, 7
	s_movk_i32 s10, 0x7f
	v_cmp_ne_u32_e64 s[10:11], s10, v24
	v_mov_b32_e32 v23, 0x7f80
	s_and_saveexec_b64 s[26:27], s[10:11]
	s_cbranch_execz .LBB796_398
; %bb.397:
	v_and_b32_e32 v23, 7, v22
	v_ffbh_u32_e32 v33, v23
	v_min_u32_e32 v33, 32, v33
	v_subrev_u32_e32 v34, 28, v33
	v_lshlrev_b64 v[34:35], v34, v[22:23]
	v_lshrrev_b32_e32 v25, 3, v24
	v_sub_u32_e32 v33, 29, v33
	v_and_b32_e32 v34, 7, v34
	v_cmp_gt_u32_e64 s[10:11], 8, v24
	v_cndmask_b32_e64 v24, v25, v33, s[10:11]
	v_cndmask_b32_e64 v23, v23, v34, s[10:11]
	v_lshlrev_b32_e32 v22, 24, v22
	v_bfrev_b32_e32 v25, 60
	v_lshlrev_b32_e32 v23, 20, v23
	v_and_b32_e32 v22, 0x80000000, v22
	v_lshl_add_u32 v24, v24, 23, v25
	v_or3_b32 v22, v22, v24, v23
	v_lshrrev_b32_e32 v23, 16, v22
.LBB796_398:
	s_or_b64 exec, exec, s[26:27]
.LBB796_399:
	s_or_b64 exec, exec, s[24:25]
.LBB796_400:
	s_or_b64 exec, exec, s[12:13]
	s_mov_b32 s10, 0x5040100
	v_perm_b32 v25, v30, v29, s10
	v_perm_b32 v24, v27, v28, s10
	;; [unrolled: 1-line block ×4, first 2 shown]
	v_mfma_f32_4x4x4bf16_1k a[0:3], v[2:3], v[24:25], a[0:3] cbsz:4 abid:7
	v_mov_b32_e32 v25, 0
	v_mfma_f32_4x4x4bf16_1k a[0:3], v[4:5], v[22:23], a[0:3] cbsz:4 abid:7
	v_cmp_ne_u16_sdwa s[10:11], v18, v25 src0_sel:BYTE_0 src1_sel:DWORD
	v_mov_b32_e32 v26, 0
	s_and_saveexec_b64 s[12:13], s[10:11]
	s_cbranch_execz .LBB796_406
; %bb.401:
	s_movk_i32 s10, 0x80
	v_cmp_ne_u16_sdwa s[10:11], v18, s10 src0_sel:BYTE_0 src1_sel:DWORD
	v_mov_b32_e32 v26, 0xffff8000
	s_and_saveexec_b64 s[24:25], s[10:11]
	s_cbranch_execz .LBB796_405
; %bb.402:
	s_movk_i32 s10, 0x7f
	v_and_b32_e32 v22, 0x7f, v18
	v_cmp_ne_u32_e64 s[10:11], s10, v22
	v_mov_b32_e32 v26, 0x7f80
	s_and_saveexec_b64 s[26:27], s[10:11]
	s_cbranch_execz .LBB796_404
; %bb.403:
	v_and_b32_e32 v23, 7, v18
	v_ffbh_u32_e32 v23, v23
	v_min_u32_e32 v23, 32, v23
	v_subrev_u32_e32 v26, 28, v23
	v_cmp_gt_u32_e64 s[10:11], 8, v22
	v_lshrrev_b32_e32 v24, 3, v22
	v_sub_u32_e32 v23, 29, v23
	v_cndmask_b32_e64 v22, 0, v26, s[10:11]
	v_cndmask_b32_e64 v24, v24, v23, s[10:11]
	v_lshlrev_b64 v[22:23], v22, v[18:19]
	v_lshlrev_b32_e32 v22, 20, v22
	v_lshlrev_b32_e32 v23, 24, v18
	v_bfrev_b32_e32 v26, 60
	v_and_b32_e32 v22, 0x700000, v22
	v_and_b32_e32 v23, 0x80000000, v23
	v_lshl_add_u32 v24, v24, 23, v26
	v_or3_b32 v22, v23, v24, v22
	v_lshrrev_b32_e32 v26, 16, v22
.LBB796_404:
	s_or_b64 exec, exec, s[26:27]
.LBB796_405:
	s_or_b64 exec, exec, s[24:25]
.LBB796_406:
	s_or_b64 exec, exec, s[12:13]
	v_lshrrev_b16_e32 v22, 8, v18
	v_cmp_ne_u16_e64 s[10:11], 0, v22
	s_and_saveexec_b64 s[12:13], s[10:11]
	s_cbranch_execz .LBB796_412
; %bb.407:
	s_movk_i32 s10, 0x80
	v_cmp_ne_u16_e64 s[10:11], s10, v22
	v_mov_b32_e32 v25, 0xffff8000
	s_and_saveexec_b64 s[24:25], s[10:11]
	s_cbranch_execz .LBB796_411
; %bb.408:
	s_movk_i32 s10, 0x7f
	v_and_b32_e32 v23, 0x7f, v22
	v_cmp_ne_u32_e64 s[10:11], s10, v23
	v_mov_b32_e32 v25, 0x7f80
	s_and_saveexec_b64 s[26:27], s[10:11]
	s_cbranch_execz .LBB796_410
; %bb.409:
	v_and_b32_e32 v27, 7, v22
	v_ffbh_u32_e32 v24, v27
	v_min_u32_e32 v29, 32, v24
	v_subrev_u32_e32 v24, 28, v29
	v_lshlrev_b64 v[24:25], v24, v[22:23]
	v_lshrrev_b32_e32 v28, 3, v23
	v_sub_u32_e32 v22, 29, v29
	v_and_b32_e32 v24, 7, v24
	v_cmp_gt_u32_e64 s[10:11], 8, v23
	v_cndmask_b32_e64 v22, v28, v22, s[10:11]
	v_cndmask_b32_e64 v23, v27, v24, s[10:11]
	v_lshlrev_b32_e32 v24, 16, v18
	v_bfrev_b32_e32 v25, 60
	v_lshlrev_b32_e32 v23, 20, v23
	v_and_b32_e32 v24, 0x80000000, v24
	v_lshl_add_u32 v22, v22, 23, v25
	v_or3_b32 v22, v24, v22, v23
	v_lshrrev_b32_e32 v25, 16, v22
.LBB796_410:
	s_or_b64 exec, exec, s[26:27]
.LBB796_411:
	s_or_b64 exec, exec, s[24:25]
.LBB796_412:
	s_or_b64 exec, exec, s[12:13]
	s_movk_i32 s10, 0xff
	v_and_b32_sdwa v24, v18, s10 dst_sel:DWORD dst_unused:UNUSED_PAD src0_sel:WORD_1 src1_sel:DWORD
	v_lshrrev_b32_e32 v22, 16, v18
	v_cmp_ne_u16_e64 s[10:11], 0, v24
	v_mov_b32_e32 v23, 0
	v_mov_b32_e32 v27, 0
	s_and_saveexec_b64 s[12:13], s[10:11]
	s_cbranch_execz .LBB796_418
; %bb.413:
	s_movk_i32 s10, 0x80
	v_cmp_ne_u16_e64 s[10:11], s10, v24
	v_mov_b32_e32 v27, 0xffff8000
	s_and_saveexec_b64 s[24:25], s[10:11]
	s_cbranch_execz .LBB796_417
; %bb.414:
	v_bfe_u32 v24, v18, 16, 7
	s_movk_i32 s10, 0x7f
	v_cmp_ne_u32_e64 s[10:11], s10, v24
	v_mov_b32_e32 v27, 0x7f80
	s_and_saveexec_b64 s[26:27], s[10:11]
	s_cbranch_execz .LBB796_416
; %bb.415:
	v_and_b32_e32 v27, 7, v22
	v_ffbh_u32_e32 v28, v27
	v_min_u32_e32 v31, 32, v28
	v_subrev_u32_e32 v28, 28, v31
	v_lshlrev_b64 v[28:29], v28, v[22:23]
	v_and_b32_e32 v28, 7, v28
	v_cmp_gt_u32_e64 s[10:11], 8, v24
	v_lshrrev_b32_e32 v30, 3, v24
	v_sub_u32_e32 v22, 29, v31
	v_cndmask_b32_e64 v24, v27, v28, s[10:11]
	v_mov_b32_e32 v27, 24
	v_cndmask_b32_e64 v22, v30, v22, s[10:11]
	v_lshlrev_b32_sdwa v27, v27, v18 dst_sel:DWORD dst_unused:UNUSED_PAD src0_sel:DWORD src1_sel:WORD_1
	v_bfrev_b32_e32 v28, 60
	v_lshlrev_b32_e32 v24, 20, v24
	v_and_b32_e32 v27, 0x80000000, v27
	v_lshl_add_u32 v22, v22, 23, v28
	v_or3_b32 v22, v27, v22, v24
	v_lshrrev_b32_e32 v27, 16, v22
.LBB796_416:
	s_or_b64 exec, exec, s[26:27]
.LBB796_417:
	s_or_b64 exec, exec, s[24:25]
.LBB796_418:
	s_or_b64 exec, exec, s[12:13]
	s_mov_b32 s10, 0xffffff
	v_cmp_lt_u32_e64 s[10:11], s10, v18
	v_mov_b32_e32 v28, 0
	s_and_saveexec_b64 s[12:13], s[10:11]
	s_cbranch_execz .LBB796_424
; %bb.419:
	v_lshrrev_b32_e32 v22, 24, v18
	s_movk_i32 s10, 0x80
	v_cmp_ne_u32_e64 s[10:11], s10, v22
	v_mov_b32_e32 v28, 0xffff8000
	s_and_saveexec_b64 s[24:25], s[10:11]
	s_cbranch_execz .LBB796_423
; %bb.420:
	v_bfe_u32 v24, v18, 24, 7
	s_movk_i32 s10, 0x7f
	v_cmp_ne_u32_e64 s[10:11], s10, v24
	v_mov_b32_e32 v28, 0x7f80
	s_and_saveexec_b64 s[26:27], s[10:11]
	s_cbranch_execz .LBB796_422
; %bb.421:
	v_and_b32_e32 v30, 7, v22
	v_ffbh_u32_e32 v28, v30
	v_min_u32_e32 v32, 32, v28
	v_subrev_u32_e32 v28, 28, v32
	v_lshlrev_b64 v[28:29], v28, v[22:23]
	v_lshrrev_b32_e32 v31, 3, v24
	v_sub_u32_e32 v29, 29, v32
	v_and_b32_e32 v28, 7, v28
	v_cmp_gt_u32_e64 s[10:11], 8, v24
	v_cndmask_b32_e64 v24, v31, v29, s[10:11]
	v_cndmask_b32_e64 v28, v30, v28, s[10:11]
	v_lshlrev_b32_e32 v22, 24, v22
	v_bfrev_b32_e32 v29, 60
	v_lshlrev_b32_e32 v28, 20, v28
	v_and_b32_e32 v22, 0x80000000, v22
	v_lshl_add_u32 v24, v24, 23, v29
	v_or3_b32 v22, v22, v24, v28
	v_lshrrev_b32_e32 v28, 16, v22
.LBB796_422:
	s_or_b64 exec, exec, s[26:27]
.LBB796_423:
	s_or_b64 exec, exec, s[24:25]
.LBB796_424:
	s_or_b64 exec, exec, s[12:13]
	v_mov_b32_e32 v29, 0
	v_mov_b32_e32 v22, v19
	v_cmp_ne_u16_sdwa s[10:11], v19, v29 src0_sel:BYTE_0 src1_sel:DWORD
	v_mov_b32_e32 v30, 0
	s_and_saveexec_b64 s[12:13], s[10:11]
	s_cbranch_execz .LBB796_430
; %bb.425:
	s_movk_i32 s10, 0x80
	v_cmp_ne_u16_sdwa s[10:11], v19, s10 src0_sel:BYTE_0 src1_sel:DWORD
	v_mov_b32_e32 v30, 0xffff8000
	s_and_saveexec_b64 s[24:25], s[10:11]
	s_cbranch_execz .LBB796_429
; %bb.426:
	s_movk_i32 s10, 0x7f
	v_and_b32_e32 v24, 0x7f, v19
	v_cmp_ne_u32_e64 s[10:11], s10, v24
	v_mov_b32_e32 v30, 0x7f80
	s_and_saveexec_b64 s[26:27], s[10:11]
	s_cbranch_execz .LBB796_428
; %bb.427:
	v_and_b32_e32 v30, 7, v19
	v_ffbh_u32_e32 v30, v30
	v_min_u32_e32 v30, 32, v30
	v_lshrrev_b32_e32 v31, 3, v24
	v_subrev_u32_e32 v32, 28, v30
	v_sub_u32_e32 v30, 29, v30
	v_cmp_gt_u32_e64 s[10:11], 8, v24
	v_cndmask_b32_e64 v24, v31, v30, s[10:11]
	v_cndmask_b32_e64 v30, 0, v32, s[10:11]
	v_lshlrev_b64 v[30:31], v30, v[22:23]
	v_lshlrev_b32_e32 v23, 20, v30
	v_lshlrev_b32_e32 v30, 24, v22
	v_bfrev_b32_e32 v31, 60
	v_and_b32_e32 v23, 0x700000, v23
	v_and_b32_e32 v30, 0x80000000, v30
	v_lshl_add_u32 v24, v24, 23, v31
	v_or3_b32 v23, v30, v24, v23
	v_lshrrev_b32_e32 v30, 16, v23
.LBB796_428:
	s_or_b64 exec, exec, s[26:27]
.LBB796_429:
	s_or_b64 exec, exec, s[24:25]
.LBB796_430:
	s_or_b64 exec, exec, s[12:13]
	v_lshrrev_b16_e32 v24, 8, v22
	v_cmp_ne_u16_e64 s[10:11], 0, v24
	s_and_saveexec_b64 s[12:13], s[10:11]
	s_cbranch_execz .LBB796_436
; %bb.431:
	s_movk_i32 s10, 0x80
	v_cmp_ne_u16_e64 s[10:11], s10, v24
	v_mov_b32_e32 v29, 0xffff8000
	s_and_saveexec_b64 s[24:25], s[10:11]
	s_cbranch_execz .LBB796_435
; %bb.432:
	s_movk_i32 s10, 0x7f
	v_and_b32_e32 v23, 0x7f, v24
	v_cmp_ne_u32_e64 s[10:11], s10, v23
	v_mov_b32_e32 v29, 0x7f80
	s_and_saveexec_b64 s[26:27], s[10:11]
	s_cbranch_execz .LBB796_434
; %bb.433:
	v_and_b32_e32 v29, 7, v24
	v_ffbh_u32_e32 v32, v29
	v_min_u32_e32 v34, 32, v32
	v_subrev_u32_e32 v32, 28, v34
	v_lshlrev_b64 v[32:33], v32, v[24:25]
	v_lshrrev_b32_e32 v31, 3, v23
	v_sub_u32_e32 v24, 29, v34
	v_and_b32_e32 v32, 7, v32
	v_cmp_gt_u32_e64 s[10:11], 8, v23
	v_cndmask_b32_e64 v23, v31, v24, s[10:11]
	v_cndmask_b32_e64 v24, v29, v32, s[10:11]
	v_lshlrev_b32_e32 v22, 16, v22
	v_bfrev_b32_e32 v29, 60
	v_lshlrev_b32_e32 v24, 20, v24
	v_and_b32_e32 v22, 0x80000000, v22
	v_lshl_add_u32 v23, v23, 23, v29
	v_or3_b32 v22, v22, v23, v24
	v_lshrrev_b32_e32 v29, 16, v22
.LBB796_434:
	s_or_b64 exec, exec, s[26:27]
.LBB796_435:
	s_or_b64 exec, exec, s[24:25]
.LBB796_436:
	s_or_b64 exec, exec, s[12:13]
	s_movk_i32 s10, 0xff
	v_and_b32_sdwa v31, v19, s10 dst_sel:DWORD dst_unused:UNUSED_PAD src0_sel:WORD_1 src1_sel:DWORD
	v_lshrrev_b32_e32 v22, 16, v19
	v_cmp_ne_u16_e64 s[10:11], 0, v31
	v_mov_b32_e32 v23, 0
	v_mov_b32_e32 v24, 0
	s_and_saveexec_b64 s[12:13], s[10:11]
	s_cbranch_execz .LBB796_442
; %bb.437:
	s_movk_i32 s10, 0x80
	v_cmp_ne_u16_e64 s[10:11], s10, v31
	v_mov_b32_e32 v24, 0xffff8000
	s_and_saveexec_b64 s[24:25], s[10:11]
	s_cbranch_execz .LBB796_441
; %bb.438:
	v_bfe_u32 v31, v19, 16, 7
	s_movk_i32 s10, 0x7f
	v_cmp_ne_u32_e64 s[10:11], s10, v31
	v_mov_b32_e32 v24, 0x7f80
	s_and_saveexec_b64 s[26:27], s[10:11]
	s_cbranch_execz .LBB796_440
; %bb.439:
	v_and_b32_e32 v24, 7, v22
	v_ffbh_u32_e32 v32, v24
	v_min_u32_e32 v35, 32, v32
	v_subrev_u32_e32 v32, 28, v35
	v_lshlrev_b64 v[32:33], v32, v[22:23]
	v_lshrrev_b32_e32 v34, 3, v31
	v_sub_u32_e32 v22, 29, v35
	v_and_b32_e32 v32, 7, v32
	v_cmp_gt_u32_e64 s[10:11], 8, v31
	v_mov_b32_e32 v31, 24
	v_cndmask_b32_e64 v22, v34, v22, s[10:11]
	v_cndmask_b32_e64 v24, v24, v32, s[10:11]
	v_lshlrev_b32_sdwa v31, v31, v19 dst_sel:DWORD dst_unused:UNUSED_PAD src0_sel:DWORD src1_sel:WORD_1
	v_bfrev_b32_e32 v32, 60
	v_lshlrev_b32_e32 v24, 20, v24
	v_and_b32_e32 v31, 0x80000000, v31
	v_lshl_add_u32 v22, v22, 23, v32
	v_or3_b32 v22, v31, v22, v24
	v_lshrrev_b32_e32 v24, 16, v22
.LBB796_440:
	s_or_b64 exec, exec, s[26:27]
.LBB796_441:
	s_or_b64 exec, exec, s[24:25]
.LBB796_442:
	s_or_b64 exec, exec, s[12:13]
	s_mov_b32 s10, -1
	s_mov_b32 s11, 0xffffff
	v_cmp_lt_u64_e64 s[10:11], s[10:11], v[18:19]
	s_and_saveexec_b64 s[12:13], s[10:11]
	s_cbranch_execz .LBB796_448
; %bb.443:
	v_lshrrev_b32_e32 v18, 24, v19
	s_movk_i32 s10, 0x80
	v_cmp_ne_u32_e64 s[10:11], s10, v18
	v_mov_b32_e32 v23, 0xffff8000
	s_and_saveexec_b64 s[24:25], s[10:11]
	s_cbranch_execz .LBB796_447
; %bb.444:
	v_bfe_u32 v19, v19, 24, 7
	s_movk_i32 s10, 0x7f
	v_cmp_ne_u32_e64 s[10:11], s10, v19
	v_mov_b32_e32 v23, 0x7f80
	s_and_saveexec_b64 s[26:27], s[10:11]
	s_cbranch_execz .LBB796_446
; %bb.445:
	v_and_b32_e32 v31, 7, v18
	v_ffbh_u32_e32 v22, v31
	v_min_u32_e32 v33, 32, v22
	v_subrev_u32_e32 v22, 28, v33
	v_lshlrev_b64 v[22:23], v22, v[18:19]
	v_lshrrev_b32_e32 v32, 3, v19
	v_sub_u32_e32 v23, 29, v33
	v_and_b32_e32 v22, 7, v22
	v_cmp_gt_u32_e64 s[10:11], 8, v19
	v_cndmask_b32_e64 v19, v32, v23, s[10:11]
	v_cndmask_b32_e64 v22, v31, v22, s[10:11]
	v_lshlrev_b32_e32 v18, 24, v18
	v_bfrev_b32_e32 v23, 60
	v_lshlrev_b32_e32 v22, 20, v22
	v_and_b32_e32 v18, 0x80000000, v18
	v_lshl_add_u32 v19, v19, 23, v23
	v_or3_b32 v18, v18, v19, v22
	v_lshrrev_b32_e32 v23, 16, v18
.LBB796_446:
	s_or_b64 exec, exec, s[26:27]
.LBB796_447:
	s_or_b64 exec, exec, s[24:25]
.LBB796_448:
	s_or_b64 exec, exec, s[12:13]
	s_mov_b32 s10, 0x5040100
	v_perm_b32 v19, v28, v27, s10
	v_perm_b32 v18, v25, v26, s10
	;; [unrolled: 1-line block ×4, first 2 shown]
	v_mfma_f32_4x4x4bf16_1k a[0:3], v[2:3], v[18:19], a[0:3] cbsz:4 abid:8
	v_mov_b32_e32 v24, 0
	v_mfma_f32_4x4x4bf16_1k a[0:3], v[4:5], v[22:23], a[0:3] cbsz:4 abid:8
	v_mov_b32_e32 v23, 0
	v_cmp_ne_u16_sdwa s[10:11], v20, v23 src0_sel:BYTE_0 src1_sel:DWORD
	s_and_saveexec_b64 s[12:13], s[10:11]
	s_cbranch_execz .LBB796_454
; %bb.449:
	s_movk_i32 s10, 0x80
	v_cmp_ne_u16_sdwa s[10:11], v20, s10 src0_sel:BYTE_0 src1_sel:DWORD
	v_mov_b32_e32 v24, 0xffff8000
	s_and_saveexec_b64 s[24:25], s[10:11]
	s_cbranch_execz .LBB796_453
; %bb.450:
	s_movk_i32 s10, 0x7f
	v_and_b32_e32 v18, 0x7f, v20
	v_cmp_ne_u32_e64 s[10:11], s10, v18
	v_mov_b32_e32 v24, 0x7f80
	s_and_saveexec_b64 s[26:27], s[10:11]
	s_cbranch_execz .LBB796_452
; %bb.451:
	v_and_b32_e32 v19, 7, v20
	v_ffbh_u32_e32 v19, v19
	v_min_u32_e32 v19, 32, v19
	v_subrev_u32_e32 v24, 28, v19
	v_cmp_gt_u32_e64 s[10:11], 8, v18
	v_lshrrev_b32_e32 v22, 3, v18
	v_sub_u32_e32 v19, 29, v19
	v_cndmask_b32_e64 v18, 0, v24, s[10:11]
	v_cndmask_b32_e64 v22, v22, v19, s[10:11]
	v_lshlrev_b64 v[18:19], v18, v[20:21]
	v_lshlrev_b32_e32 v18, 20, v18
	v_lshlrev_b32_e32 v19, 24, v20
	v_bfrev_b32_e32 v24, 60
	v_and_b32_e32 v18, 0x700000, v18
	v_and_b32_e32 v19, 0x80000000, v19
	v_lshl_add_u32 v22, v22, 23, v24
	v_or3_b32 v18, v19, v22, v18
	v_lshrrev_b32_e32 v24, 16, v18
.LBB796_452:
	s_or_b64 exec, exec, s[26:27]
.LBB796_453:
	s_or_b64 exec, exec, s[24:25]
.LBB796_454:
	s_or_b64 exec, exec, s[12:13]
	v_lshrrev_b16_e32 v18, 8, v20
	v_cmp_ne_u16_e64 s[10:11], 0, v18
	s_and_saveexec_b64 s[12:13], s[10:11]
	s_cbranch_execz .LBB796_460
; %bb.455:
	s_movk_i32 s10, 0x80
	v_cmp_ne_u16_e64 s[10:11], s10, v18
	v_mov_b32_e32 v23, 0xffff8000
	s_and_saveexec_b64 s[24:25], s[10:11]
	s_cbranch_execz .LBB796_459
; %bb.456:
	s_movk_i32 s10, 0x7f
	v_and_b32_e32 v19, 0x7f, v18
	v_cmp_ne_u32_e64 s[10:11], s10, v19
	v_mov_b32_e32 v23, 0x7f80
	s_and_saveexec_b64 s[26:27], s[10:11]
	s_cbranch_execz .LBB796_458
; %bb.457:
	v_and_b32_e32 v25, 7, v18
	v_ffbh_u32_e32 v22, v25
	v_min_u32_e32 v27, 32, v22
	v_subrev_u32_e32 v22, 28, v27
	v_lshlrev_b64 v[22:23], v22, v[18:19]
	v_lshrrev_b32_e32 v26, 3, v19
	v_sub_u32_e32 v18, 29, v27
	v_and_b32_e32 v22, 7, v22
	v_cmp_gt_u32_e64 s[10:11], 8, v19
	v_cndmask_b32_e64 v18, v26, v18, s[10:11]
	v_cndmask_b32_e64 v19, v25, v22, s[10:11]
	v_lshlrev_b32_e32 v22, 16, v20
	v_bfrev_b32_e32 v23, 60
	v_lshlrev_b32_e32 v19, 20, v19
	v_and_b32_e32 v22, 0x80000000, v22
	v_lshl_add_u32 v18, v18, 23, v23
	v_or3_b32 v18, v22, v18, v19
	v_lshrrev_b32_e32 v23, 16, v18
.LBB796_458:
	s_or_b64 exec, exec, s[26:27]
.LBB796_459:
	s_or_b64 exec, exec, s[24:25]
.LBB796_460:
	s_or_b64 exec, exec, s[12:13]
	s_movk_i32 s10, 0xff
	v_and_b32_sdwa v22, v20, s10 dst_sel:DWORD dst_unused:UNUSED_PAD src0_sel:WORD_1 src1_sel:DWORD
	v_lshrrev_b32_e32 v18, 16, v20
	v_cmp_ne_u16_e64 s[10:11], 0, v22
	v_mov_b32_e32 v19, 0
	v_mov_b32_e32 v25, 0
	s_and_saveexec_b64 s[12:13], s[10:11]
	s_cbranch_execz .LBB796_466
; %bb.461:
	s_movk_i32 s10, 0x80
	v_cmp_ne_u16_e64 s[10:11], s10, v22
	v_mov_b32_e32 v25, 0xffff8000
	s_and_saveexec_b64 s[24:25], s[10:11]
	s_cbranch_execz .LBB796_465
; %bb.462:
	v_bfe_u32 v22, v20, 16, 7
	s_movk_i32 s10, 0x7f
	v_cmp_ne_u32_e64 s[10:11], s10, v22
	v_mov_b32_e32 v25, 0x7f80
	s_and_saveexec_b64 s[26:27], s[10:11]
	s_cbranch_execz .LBB796_464
; %bb.463:
	v_and_b32_e32 v25, 7, v18
	v_ffbh_u32_e32 v26, v25
	v_min_u32_e32 v29, 32, v26
	v_subrev_u32_e32 v26, 28, v29
	v_lshlrev_b64 v[26:27], v26, v[18:19]
	v_and_b32_e32 v26, 7, v26
	v_cmp_gt_u32_e64 s[10:11], 8, v22
	v_lshrrev_b32_e32 v28, 3, v22
	v_sub_u32_e32 v18, 29, v29
	v_cndmask_b32_e64 v22, v25, v26, s[10:11]
	v_mov_b32_e32 v25, 24
	v_cndmask_b32_e64 v18, v28, v18, s[10:11]
	v_lshlrev_b32_sdwa v25, v25, v20 dst_sel:DWORD dst_unused:UNUSED_PAD src0_sel:DWORD src1_sel:WORD_1
	v_bfrev_b32_e32 v26, 60
	v_lshlrev_b32_e32 v22, 20, v22
	v_and_b32_e32 v25, 0x80000000, v25
	v_lshl_add_u32 v18, v18, 23, v26
	v_or3_b32 v18, v25, v18, v22
	v_lshrrev_b32_e32 v25, 16, v18
.LBB796_464:
	s_or_b64 exec, exec, s[26:27]
.LBB796_465:
	s_or_b64 exec, exec, s[24:25]
.LBB796_466:
	s_or_b64 exec, exec, s[12:13]
	s_mov_b32 s10, 0xffffff
	v_cmp_lt_u32_e64 s[10:11], s10, v20
	v_mov_b32_e32 v26, 0
	s_and_saveexec_b64 s[12:13], s[10:11]
	s_cbranch_execz .LBB796_472
; %bb.467:
	v_lshrrev_b32_e32 v18, 24, v20
	s_movk_i32 s10, 0x80
	v_cmp_ne_u32_e64 s[10:11], s10, v18
	v_mov_b32_e32 v26, 0xffff8000
	s_and_saveexec_b64 s[24:25], s[10:11]
	s_cbranch_execz .LBB796_471
; %bb.468:
	v_bfe_u32 v22, v20, 24, 7
	s_movk_i32 s10, 0x7f
	v_cmp_ne_u32_e64 s[10:11], s10, v22
	v_mov_b32_e32 v26, 0x7f80
	s_and_saveexec_b64 s[26:27], s[10:11]
	s_cbranch_execz .LBB796_470
; %bb.469:
	v_and_b32_e32 v28, 7, v18
	v_ffbh_u32_e32 v26, v28
	v_min_u32_e32 v30, 32, v26
	v_subrev_u32_e32 v26, 28, v30
	v_lshlrev_b64 v[26:27], v26, v[18:19]
	v_lshrrev_b32_e32 v29, 3, v22
	v_sub_u32_e32 v27, 29, v30
	v_and_b32_e32 v26, 7, v26
	v_cmp_gt_u32_e64 s[10:11], 8, v22
	v_cndmask_b32_e64 v22, v29, v27, s[10:11]
	v_cndmask_b32_e64 v26, v28, v26, s[10:11]
	v_lshlrev_b32_e32 v18, 24, v18
	v_bfrev_b32_e32 v27, 60
	v_lshlrev_b32_e32 v26, 20, v26
	v_and_b32_e32 v18, 0x80000000, v18
	v_lshl_add_u32 v22, v22, 23, v27
	v_or3_b32 v18, v18, v22, v26
	v_lshrrev_b32_e32 v26, 16, v18
.LBB796_470:
	s_or_b64 exec, exec, s[26:27]
.LBB796_471:
	s_or_b64 exec, exec, s[24:25]
.LBB796_472:
	s_or_b64 exec, exec, s[12:13]
	v_mov_b32_e32 v27, 0
	v_mov_b32_e32 v18, v21
	v_cmp_ne_u16_sdwa s[10:11], v21, v27 src0_sel:BYTE_0 src1_sel:DWORD
	v_mov_b32_e32 v28, 0
	s_and_saveexec_b64 s[12:13], s[10:11]
	s_cbranch_execz .LBB796_478
; %bb.473:
	s_movk_i32 s10, 0x80
	v_cmp_ne_u16_sdwa s[10:11], v21, s10 src0_sel:BYTE_0 src1_sel:DWORD
	v_mov_b32_e32 v28, 0xffff8000
	s_and_saveexec_b64 s[24:25], s[10:11]
	s_cbranch_execz .LBB796_477
; %bb.474:
	s_movk_i32 s10, 0x7f
	v_and_b32_e32 v22, 0x7f, v21
	v_cmp_ne_u32_e64 s[10:11], s10, v22
	v_mov_b32_e32 v28, 0x7f80
	s_and_saveexec_b64 s[26:27], s[10:11]
	s_cbranch_execz .LBB796_476
; %bb.475:
	v_and_b32_e32 v28, 7, v21
	v_ffbh_u32_e32 v28, v28
	v_min_u32_e32 v28, 32, v28
	v_lshrrev_b32_e32 v29, 3, v22
	v_subrev_u32_e32 v30, 28, v28
	v_sub_u32_e32 v28, 29, v28
	v_cmp_gt_u32_e64 s[10:11], 8, v22
	v_cndmask_b32_e64 v22, v29, v28, s[10:11]
	v_cndmask_b32_e64 v28, 0, v30, s[10:11]
	v_lshlrev_b64 v[28:29], v28, v[18:19]
	v_lshlrev_b32_e32 v19, 20, v28
	v_lshlrev_b32_e32 v28, 24, v18
	v_bfrev_b32_e32 v29, 60
	v_and_b32_e32 v19, 0x700000, v19
	v_and_b32_e32 v28, 0x80000000, v28
	v_lshl_add_u32 v22, v22, 23, v29
	v_or3_b32 v19, v28, v22, v19
	v_lshrrev_b32_e32 v28, 16, v19
.LBB796_476:
	s_or_b64 exec, exec, s[26:27]
.LBB796_477:
	s_or_b64 exec, exec, s[24:25]
.LBB796_478:
	s_or_b64 exec, exec, s[12:13]
	v_lshrrev_b16_e32 v22, 8, v18
	v_cmp_ne_u16_e64 s[10:11], 0, v22
	s_and_saveexec_b64 s[12:13], s[10:11]
	s_cbranch_execz .LBB796_484
; %bb.479:
	s_movk_i32 s10, 0x80
	v_cmp_ne_u16_e64 s[10:11], s10, v22
	v_mov_b32_e32 v27, 0xffff8000
	s_and_saveexec_b64 s[24:25], s[10:11]
	s_cbranch_execz .LBB796_483
; %bb.480:
	s_movk_i32 s10, 0x7f
	v_and_b32_e32 v19, 0x7f, v22
	v_cmp_ne_u32_e64 s[10:11], s10, v19
	v_mov_b32_e32 v27, 0x7f80
	s_and_saveexec_b64 s[26:27], s[10:11]
	s_cbranch_execz .LBB796_482
; %bb.481:
	v_and_b32_e32 v27, 7, v22
	v_ffbh_u32_e32 v30, v27
	v_min_u32_e32 v32, 32, v30
	v_subrev_u32_e32 v30, 28, v32
	v_lshlrev_b64 v[30:31], v30, v[22:23]
	v_lshrrev_b32_e32 v29, 3, v19
	v_sub_u32_e32 v22, 29, v32
	v_and_b32_e32 v30, 7, v30
	v_cmp_gt_u32_e64 s[10:11], 8, v19
	v_cndmask_b32_e64 v19, v29, v22, s[10:11]
	v_cndmask_b32_e64 v22, v27, v30, s[10:11]
	v_lshlrev_b32_e32 v18, 16, v18
	v_bfrev_b32_e32 v27, 60
	v_lshlrev_b32_e32 v22, 20, v22
	v_and_b32_e32 v18, 0x80000000, v18
	v_lshl_add_u32 v19, v19, 23, v27
	v_or3_b32 v18, v18, v19, v22
	v_lshrrev_b32_e32 v27, 16, v18
.LBB796_482:
	s_or_b64 exec, exec, s[26:27]
.LBB796_483:
	s_or_b64 exec, exec, s[24:25]
.LBB796_484:
	s_or_b64 exec, exec, s[12:13]
	s_movk_i32 s10, 0xff
	v_and_b32_sdwa v29, v21, s10 dst_sel:DWORD dst_unused:UNUSED_PAD src0_sel:WORD_1 src1_sel:DWORD
	v_lshrrev_b32_e32 v18, 16, v21
	v_cmp_ne_u16_e64 s[10:11], 0, v29
	v_mov_b32_e32 v19, 0
	v_mov_b32_e32 v22, 0
	s_and_saveexec_b64 s[12:13], s[10:11]
	s_cbranch_execz .LBB796_490
; %bb.485:
	s_movk_i32 s10, 0x80
	v_cmp_ne_u16_e64 s[10:11], s10, v29
	v_mov_b32_e32 v22, 0xffff8000
	s_and_saveexec_b64 s[24:25], s[10:11]
	s_cbranch_execz .LBB796_489
; %bb.486:
	v_bfe_u32 v29, v21, 16, 7
	s_movk_i32 s10, 0x7f
	v_cmp_ne_u32_e64 s[10:11], s10, v29
	v_mov_b32_e32 v22, 0x7f80
	s_and_saveexec_b64 s[26:27], s[10:11]
	s_cbranch_execz .LBB796_488
; %bb.487:
	v_and_b32_e32 v22, 7, v18
	v_ffbh_u32_e32 v30, v22
	v_min_u32_e32 v33, 32, v30
	v_subrev_u32_e32 v30, 28, v33
	v_lshlrev_b64 v[30:31], v30, v[18:19]
	v_lshrrev_b32_e32 v32, 3, v29
	v_sub_u32_e32 v18, 29, v33
	v_and_b32_e32 v30, 7, v30
	v_cmp_gt_u32_e64 s[10:11], 8, v29
	v_mov_b32_e32 v29, 24
	v_cndmask_b32_e64 v18, v32, v18, s[10:11]
	v_cndmask_b32_e64 v22, v22, v30, s[10:11]
	v_lshlrev_b32_sdwa v29, v29, v21 dst_sel:DWORD dst_unused:UNUSED_PAD src0_sel:DWORD src1_sel:WORD_1
	v_bfrev_b32_e32 v30, 60
	v_lshlrev_b32_e32 v22, 20, v22
	v_and_b32_e32 v29, 0x80000000, v29
	v_lshl_add_u32 v18, v18, 23, v30
	v_or3_b32 v18, v29, v18, v22
	v_lshrrev_b32_e32 v22, 16, v18
.LBB796_488:
	s_or_b64 exec, exec, s[26:27]
.LBB796_489:
	s_or_b64 exec, exec, s[24:25]
.LBB796_490:
	s_or_b64 exec, exec, s[12:13]
	s_mov_b32 s10, -1
	s_mov_b32 s11, 0xffffff
	v_cmp_lt_u64_e64 s[10:11], s[10:11], v[20:21]
	s_and_saveexec_b64 s[12:13], s[10:11]
	s_cbranch_execz .LBB796_496
; %bb.491:
	v_lshrrev_b32_e32 v18, 24, v21
	s_movk_i32 s10, 0x80
	v_cmp_ne_u32_e64 s[10:11], s10, v18
	v_mov_b32_e32 v19, 0xffff8000
	s_and_saveexec_b64 s[24:25], s[10:11]
	s_cbranch_execz .LBB796_495
; %bb.492:
	v_bfe_u32 v20, v21, 24, 7
	s_movk_i32 s10, 0x7f
	v_cmp_ne_u32_e64 s[10:11], s10, v20
	v_mov_b32_e32 v19, 0x7f80
	s_and_saveexec_b64 s[26:27], s[10:11]
	s_cbranch_execz .LBB796_494
; %bb.493:
	v_and_b32_e32 v19, 7, v18
	v_ffbh_u32_e32 v29, v19
	v_min_u32_e32 v29, 32, v29
	v_subrev_u32_e32 v30, 28, v29
	v_lshlrev_b64 v[30:31], v30, v[18:19]
	v_lshrrev_b32_e32 v21, 3, v20
	v_sub_u32_e32 v29, 29, v29
	v_and_b32_e32 v30, 7, v30
	v_cmp_gt_u32_e64 s[10:11], 8, v20
	v_cndmask_b32_e64 v20, v21, v29, s[10:11]
	v_cndmask_b32_e64 v19, v19, v30, s[10:11]
	v_lshlrev_b32_e32 v18, 24, v18
	v_bfrev_b32_e32 v21, 60
	v_lshlrev_b32_e32 v19, 20, v19
	v_and_b32_e32 v18, 0x80000000, v18
	v_lshl_add_u32 v20, v20, 23, v21
	v_or3_b32 v18, v18, v20, v19
	v_lshrrev_b32_e32 v19, 16, v18
.LBB796_494:
	s_or_b64 exec, exec, s[26:27]
.LBB796_495:
	s_or_b64 exec, exec, s[24:25]
.LBB796_496:
	s_or_b64 exec, exec, s[12:13]
	s_mov_b32 s10, 0x5040100
	v_perm_b32 v21, v26, v25, s10
	v_perm_b32 v20, v23, v24, s10
	;; [unrolled: 1-line block ×4, first 2 shown]
	v_mfma_f32_4x4x4bf16_1k a[0:3], v[2:3], v[20:21], a[0:3] cbsz:4 abid:9
	v_mov_b32_e32 v21, 0
	v_mfma_f32_4x4x4bf16_1k a[0:3], v[4:5], v[18:19], a[0:3] cbsz:4 abid:9
	v_cmp_ne_u16_sdwa s[10:11], v14, v21 src0_sel:BYTE_0 src1_sel:DWORD
	v_mov_b32_e32 v22, 0
	s_and_saveexec_b64 s[12:13], s[10:11]
	s_cbranch_execz .LBB796_502
; %bb.497:
	s_movk_i32 s10, 0x80
	v_cmp_ne_u16_sdwa s[10:11], v14, s10 src0_sel:BYTE_0 src1_sel:DWORD
	v_mov_b32_e32 v22, 0xffff8000
	s_and_saveexec_b64 s[24:25], s[10:11]
	s_cbranch_execz .LBB796_501
; %bb.498:
	s_movk_i32 s10, 0x7f
	v_and_b32_e32 v18, 0x7f, v14
	v_cmp_ne_u32_e64 s[10:11], s10, v18
	v_mov_b32_e32 v22, 0x7f80
	s_and_saveexec_b64 s[26:27], s[10:11]
	s_cbranch_execz .LBB796_500
; %bb.499:
	v_and_b32_e32 v19, 7, v14
	v_ffbh_u32_e32 v19, v19
	v_min_u32_e32 v19, 32, v19
	v_subrev_u32_e32 v22, 28, v19
	v_cmp_gt_u32_e64 s[10:11], 8, v18
	v_lshrrev_b32_e32 v20, 3, v18
	v_sub_u32_e32 v19, 29, v19
	v_cndmask_b32_e64 v18, 0, v22, s[10:11]
	v_cndmask_b32_e64 v20, v20, v19, s[10:11]
	v_lshlrev_b64 v[18:19], v18, v[14:15]
	v_lshlrev_b32_e32 v18, 20, v18
	v_lshlrev_b32_e32 v19, 24, v14
	v_bfrev_b32_e32 v22, 60
	v_and_b32_e32 v18, 0x700000, v18
	v_and_b32_e32 v19, 0x80000000, v19
	v_lshl_add_u32 v20, v20, 23, v22
	v_or3_b32 v18, v19, v20, v18
	v_lshrrev_b32_e32 v22, 16, v18
.LBB796_500:
	s_or_b64 exec, exec, s[26:27]
.LBB796_501:
	s_or_b64 exec, exec, s[24:25]
.LBB796_502:
	s_or_b64 exec, exec, s[12:13]
	v_lshrrev_b16_e32 v18, 8, v14
	v_cmp_ne_u16_e64 s[10:11], 0, v18
	s_and_saveexec_b64 s[12:13], s[10:11]
	s_cbranch_execz .LBB796_508
; %bb.503:
	s_movk_i32 s10, 0x80
	v_cmp_ne_u16_e64 s[10:11], s10, v18
	v_mov_b32_e32 v21, 0xffff8000
	s_and_saveexec_b64 s[24:25], s[10:11]
	s_cbranch_execz .LBB796_507
; %bb.504:
	s_movk_i32 s10, 0x7f
	v_and_b32_e32 v19, 0x7f, v18
	v_cmp_ne_u32_e64 s[10:11], s10, v19
	v_mov_b32_e32 v21, 0x7f80
	s_and_saveexec_b64 s[26:27], s[10:11]
	s_cbranch_execz .LBB796_506
; %bb.505:
	v_and_b32_e32 v23, 7, v18
	v_ffbh_u32_e32 v20, v23
	v_min_u32_e32 v25, 32, v20
	v_subrev_u32_e32 v20, 28, v25
	v_lshlrev_b64 v[20:21], v20, v[18:19]
	v_lshrrev_b32_e32 v24, 3, v19
	v_sub_u32_e32 v18, 29, v25
	v_and_b32_e32 v20, 7, v20
	v_cmp_gt_u32_e64 s[10:11], 8, v19
	v_cndmask_b32_e64 v18, v24, v18, s[10:11]
	v_cndmask_b32_e64 v19, v23, v20, s[10:11]
	v_lshlrev_b32_e32 v20, 16, v14
	v_bfrev_b32_e32 v21, 60
	v_lshlrev_b32_e32 v19, 20, v19
	v_and_b32_e32 v20, 0x80000000, v20
	v_lshl_add_u32 v18, v18, 23, v21
	v_or3_b32 v18, v20, v18, v19
	v_lshrrev_b32_e32 v21, 16, v18
.LBB796_506:
	s_or_b64 exec, exec, s[26:27]
.LBB796_507:
	s_or_b64 exec, exec, s[24:25]
.LBB796_508:
	s_or_b64 exec, exec, s[12:13]
	s_movk_i32 s10, 0xff
	v_and_b32_sdwa v20, v14, s10 dst_sel:DWORD dst_unused:UNUSED_PAD src0_sel:WORD_1 src1_sel:DWORD
	v_lshrrev_b32_e32 v18, 16, v14
	v_cmp_ne_u16_e64 s[10:11], 0, v20
	v_mov_b32_e32 v19, 0
	v_mov_b32_e32 v23, 0
	s_and_saveexec_b64 s[12:13], s[10:11]
	s_cbranch_execz .LBB796_514
; %bb.509:
	s_movk_i32 s10, 0x80
	v_cmp_ne_u16_e64 s[10:11], s10, v20
	v_mov_b32_e32 v23, 0xffff8000
	s_and_saveexec_b64 s[24:25], s[10:11]
	s_cbranch_execz .LBB796_513
; %bb.510:
	v_bfe_u32 v20, v14, 16, 7
	s_movk_i32 s10, 0x7f
	v_cmp_ne_u32_e64 s[10:11], s10, v20
	v_mov_b32_e32 v23, 0x7f80
	s_and_saveexec_b64 s[26:27], s[10:11]
	s_cbranch_execz .LBB796_512
; %bb.511:
	v_and_b32_e32 v23, 7, v18
	v_ffbh_u32_e32 v24, v23
	v_min_u32_e32 v27, 32, v24
	v_subrev_u32_e32 v24, 28, v27
	v_lshlrev_b64 v[24:25], v24, v[18:19]
	v_and_b32_e32 v24, 7, v24
	v_cmp_gt_u32_e64 s[10:11], 8, v20
	v_lshrrev_b32_e32 v26, 3, v20
	v_sub_u32_e32 v18, 29, v27
	v_cndmask_b32_e64 v20, v23, v24, s[10:11]
	v_mov_b32_e32 v23, 24
	v_cndmask_b32_e64 v18, v26, v18, s[10:11]
	v_lshlrev_b32_sdwa v23, v23, v14 dst_sel:DWORD dst_unused:UNUSED_PAD src0_sel:DWORD src1_sel:WORD_1
	v_bfrev_b32_e32 v24, 60
	v_lshlrev_b32_e32 v20, 20, v20
	v_and_b32_e32 v23, 0x80000000, v23
	v_lshl_add_u32 v18, v18, 23, v24
	v_or3_b32 v18, v23, v18, v20
	v_lshrrev_b32_e32 v23, 16, v18
.LBB796_512:
	s_or_b64 exec, exec, s[26:27]
.LBB796_513:
	s_or_b64 exec, exec, s[24:25]
.LBB796_514:
	s_or_b64 exec, exec, s[12:13]
	s_mov_b32 s10, 0xffffff
	v_cmp_lt_u32_e64 s[10:11], s10, v14
	v_mov_b32_e32 v24, 0
	s_and_saveexec_b64 s[12:13], s[10:11]
	s_cbranch_execz .LBB796_520
; %bb.515:
	v_lshrrev_b32_e32 v18, 24, v14
	s_movk_i32 s10, 0x80
	v_cmp_ne_u32_e64 s[10:11], s10, v18
	v_mov_b32_e32 v24, 0xffff8000
	s_and_saveexec_b64 s[24:25], s[10:11]
	s_cbranch_execz .LBB796_519
; %bb.516:
	v_bfe_u32 v20, v14, 24, 7
	s_movk_i32 s10, 0x7f
	v_cmp_ne_u32_e64 s[10:11], s10, v20
	v_mov_b32_e32 v24, 0x7f80
	s_and_saveexec_b64 s[26:27], s[10:11]
	s_cbranch_execz .LBB796_518
; %bb.517:
	v_and_b32_e32 v26, 7, v18
	v_ffbh_u32_e32 v24, v26
	v_min_u32_e32 v28, 32, v24
	v_subrev_u32_e32 v24, 28, v28
	v_lshlrev_b64 v[24:25], v24, v[18:19]
	v_lshrrev_b32_e32 v27, 3, v20
	v_sub_u32_e32 v25, 29, v28
	v_and_b32_e32 v24, 7, v24
	v_cmp_gt_u32_e64 s[10:11], 8, v20
	v_cndmask_b32_e64 v20, v27, v25, s[10:11]
	v_cndmask_b32_e64 v24, v26, v24, s[10:11]
	v_lshlrev_b32_e32 v18, 24, v18
	v_bfrev_b32_e32 v25, 60
	v_lshlrev_b32_e32 v24, 20, v24
	v_and_b32_e32 v18, 0x80000000, v18
	v_lshl_add_u32 v20, v20, 23, v25
	v_or3_b32 v18, v18, v20, v24
	v_lshrrev_b32_e32 v24, 16, v18
.LBB796_518:
	s_or_b64 exec, exec, s[26:27]
.LBB796_519:
	s_or_b64 exec, exec, s[24:25]
.LBB796_520:
	s_or_b64 exec, exec, s[12:13]
	v_mov_b32_e32 v25, 0
	v_mov_b32_e32 v18, v15
	v_cmp_ne_u16_sdwa s[10:11], v15, v25 src0_sel:BYTE_0 src1_sel:DWORD
	v_mov_b32_e32 v26, 0
	s_and_saveexec_b64 s[12:13], s[10:11]
	s_cbranch_execz .LBB796_526
; %bb.521:
	s_movk_i32 s10, 0x80
	v_cmp_ne_u16_sdwa s[10:11], v15, s10 src0_sel:BYTE_0 src1_sel:DWORD
	v_mov_b32_e32 v26, 0xffff8000
	s_and_saveexec_b64 s[24:25], s[10:11]
	s_cbranch_execz .LBB796_525
; %bb.522:
	s_movk_i32 s10, 0x7f
	v_and_b32_e32 v20, 0x7f, v15
	v_cmp_ne_u32_e64 s[10:11], s10, v20
	v_mov_b32_e32 v26, 0x7f80
	s_and_saveexec_b64 s[26:27], s[10:11]
	s_cbranch_execz .LBB796_524
; %bb.523:
	v_and_b32_e32 v26, 7, v15
	v_ffbh_u32_e32 v26, v26
	v_min_u32_e32 v26, 32, v26
	v_lshrrev_b32_e32 v27, 3, v20
	v_subrev_u32_e32 v28, 28, v26
	v_sub_u32_e32 v26, 29, v26
	v_cmp_gt_u32_e64 s[10:11], 8, v20
	v_cndmask_b32_e64 v20, v27, v26, s[10:11]
	v_cndmask_b32_e64 v26, 0, v28, s[10:11]
	v_lshlrev_b64 v[26:27], v26, v[18:19]
	v_lshlrev_b32_e32 v19, 20, v26
	v_lshlrev_b32_e32 v26, 24, v18
	v_bfrev_b32_e32 v27, 60
	v_and_b32_e32 v19, 0x700000, v19
	v_and_b32_e32 v26, 0x80000000, v26
	v_lshl_add_u32 v20, v20, 23, v27
	v_or3_b32 v19, v26, v20, v19
	v_lshrrev_b32_e32 v26, 16, v19
.LBB796_524:
	s_or_b64 exec, exec, s[26:27]
.LBB796_525:
	s_or_b64 exec, exec, s[24:25]
.LBB796_526:
	s_or_b64 exec, exec, s[12:13]
	v_lshrrev_b16_e32 v20, 8, v18
	v_cmp_ne_u16_e64 s[10:11], 0, v20
	s_and_saveexec_b64 s[12:13], s[10:11]
	s_cbranch_execz .LBB796_532
; %bb.527:
	s_movk_i32 s10, 0x80
	v_cmp_ne_u16_e64 s[10:11], s10, v20
	v_mov_b32_e32 v25, 0xffff8000
	s_and_saveexec_b64 s[24:25], s[10:11]
	s_cbranch_execz .LBB796_531
; %bb.528:
	s_movk_i32 s10, 0x7f
	v_and_b32_e32 v19, 0x7f, v20
	v_cmp_ne_u32_e64 s[10:11], s10, v19
	v_mov_b32_e32 v25, 0x7f80
	s_and_saveexec_b64 s[26:27], s[10:11]
	s_cbranch_execz .LBB796_530
; %bb.529:
	v_and_b32_e32 v25, 7, v20
	v_ffbh_u32_e32 v28, v25
	v_min_u32_e32 v30, 32, v28
	v_subrev_u32_e32 v28, 28, v30
	v_lshlrev_b64 v[28:29], v28, v[20:21]
	v_lshrrev_b32_e32 v27, 3, v19
	v_sub_u32_e32 v20, 29, v30
	v_and_b32_e32 v28, 7, v28
	v_cmp_gt_u32_e64 s[10:11], 8, v19
	v_cndmask_b32_e64 v19, v27, v20, s[10:11]
	v_cndmask_b32_e64 v20, v25, v28, s[10:11]
	v_lshlrev_b32_e32 v18, 16, v18
	v_bfrev_b32_e32 v25, 60
	v_lshlrev_b32_e32 v20, 20, v20
	v_and_b32_e32 v18, 0x80000000, v18
	v_lshl_add_u32 v19, v19, 23, v25
	v_or3_b32 v18, v18, v19, v20
	v_lshrrev_b32_e32 v25, 16, v18
.LBB796_530:
	s_or_b64 exec, exec, s[26:27]
.LBB796_531:
	s_or_b64 exec, exec, s[24:25]
.LBB796_532:
	s_or_b64 exec, exec, s[12:13]
	s_movk_i32 s10, 0xff
	v_and_b32_sdwa v27, v15, s10 dst_sel:DWORD dst_unused:UNUSED_PAD src0_sel:WORD_1 src1_sel:DWORD
	v_lshrrev_b32_e32 v18, 16, v15
	v_cmp_ne_u16_e64 s[10:11], 0, v27
	v_mov_b32_e32 v19, 0
	v_mov_b32_e32 v20, 0
	s_and_saveexec_b64 s[12:13], s[10:11]
	s_cbranch_execz .LBB796_538
; %bb.533:
	s_movk_i32 s10, 0x80
	v_cmp_ne_u16_e64 s[10:11], s10, v27
	v_mov_b32_e32 v20, 0xffff8000
	s_and_saveexec_b64 s[24:25], s[10:11]
	s_cbranch_execz .LBB796_537
; %bb.534:
	v_bfe_u32 v27, v15, 16, 7
	s_movk_i32 s10, 0x7f
	v_cmp_ne_u32_e64 s[10:11], s10, v27
	v_mov_b32_e32 v20, 0x7f80
	s_and_saveexec_b64 s[26:27], s[10:11]
	s_cbranch_execz .LBB796_536
; %bb.535:
	v_and_b32_e32 v20, 7, v18
	v_ffbh_u32_e32 v28, v20
	v_min_u32_e32 v31, 32, v28
	v_subrev_u32_e32 v28, 28, v31
	v_lshlrev_b64 v[28:29], v28, v[18:19]
	v_lshrrev_b32_e32 v30, 3, v27
	v_sub_u32_e32 v18, 29, v31
	v_and_b32_e32 v28, 7, v28
	v_cmp_gt_u32_e64 s[10:11], 8, v27
	v_mov_b32_e32 v27, 24
	v_cndmask_b32_e64 v18, v30, v18, s[10:11]
	v_cndmask_b32_e64 v20, v20, v28, s[10:11]
	v_lshlrev_b32_sdwa v27, v27, v15 dst_sel:DWORD dst_unused:UNUSED_PAD src0_sel:DWORD src1_sel:WORD_1
	v_bfrev_b32_e32 v28, 60
	v_lshlrev_b32_e32 v20, 20, v20
	v_and_b32_e32 v27, 0x80000000, v27
	v_lshl_add_u32 v18, v18, 23, v28
	v_or3_b32 v18, v27, v18, v20
	v_lshrrev_b32_e32 v20, 16, v18
.LBB796_536:
	s_or_b64 exec, exec, s[26:27]
.LBB796_537:
	s_or_b64 exec, exec, s[24:25]
.LBB796_538:
	s_or_b64 exec, exec, s[12:13]
	s_mov_b32 s10, -1
	s_mov_b32 s11, 0xffffff
	v_cmp_lt_u64_e64 s[10:11], s[10:11], v[14:15]
	s_and_saveexec_b64 s[12:13], s[10:11]
	s_cbranch_execz .LBB796_544
; %bb.539:
	v_lshrrev_b32_e32 v14, 24, v15
	s_movk_i32 s10, 0x80
	v_cmp_ne_u32_e64 s[10:11], s10, v14
	v_mov_b32_e32 v19, 0xffff8000
	s_and_saveexec_b64 s[24:25], s[10:11]
	s_cbranch_execz .LBB796_543
; %bb.540:
	v_bfe_u32 v15, v15, 24, 7
	s_movk_i32 s10, 0x7f
	v_cmp_ne_u32_e64 s[10:11], s10, v15
	v_mov_b32_e32 v19, 0x7f80
	s_and_saveexec_b64 s[26:27], s[10:11]
	s_cbranch_execz .LBB796_542
; %bb.541:
	v_and_b32_e32 v27, 7, v14
	v_ffbh_u32_e32 v18, v27
	v_min_u32_e32 v29, 32, v18
	v_subrev_u32_e32 v18, 28, v29
	v_lshlrev_b64 v[18:19], v18, v[14:15]
	v_lshrrev_b32_e32 v28, 3, v15
	v_sub_u32_e32 v19, 29, v29
	v_and_b32_e32 v18, 7, v18
	v_cmp_gt_u32_e64 s[10:11], 8, v15
	v_cndmask_b32_e64 v15, v28, v19, s[10:11]
	v_cndmask_b32_e64 v18, v27, v18, s[10:11]
	v_lshlrev_b32_e32 v14, 24, v14
	v_bfrev_b32_e32 v19, 60
	v_lshlrev_b32_e32 v18, 20, v18
	v_and_b32_e32 v14, 0x80000000, v14
	v_lshl_add_u32 v15, v15, 23, v19
	v_or3_b32 v14, v14, v15, v18
	v_lshrrev_b32_e32 v19, 16, v14
.LBB796_542:
	s_or_b64 exec, exec, s[26:27]
.LBB796_543:
	s_or_b64 exec, exec, s[24:25]
.LBB796_544:
	s_or_b64 exec, exec, s[12:13]
	s_mov_b32 s10, 0x5040100
	v_perm_b32 v15, v24, v23, s10
	v_perm_b32 v14, v21, v22, s10
	;; [unrolled: 1-line block ×4, first 2 shown]
	v_mfma_f32_4x4x4bf16_1k a[0:3], v[2:3], v[14:15], a[0:3] cbsz:4 abid:10
	v_mov_b32_e32 v20, 0
	v_mfma_f32_4x4x4bf16_1k a[0:3], v[4:5], v[18:19], a[0:3] cbsz:4 abid:10
	v_mov_b32_e32 v19, 0
	v_cmp_ne_u16_sdwa s[10:11], v16, v19 src0_sel:BYTE_0 src1_sel:DWORD
	s_and_saveexec_b64 s[12:13], s[10:11]
	s_cbranch_execz .LBB796_550
; %bb.545:
	s_movk_i32 s10, 0x80
	v_cmp_ne_u16_sdwa s[10:11], v16, s10 src0_sel:BYTE_0 src1_sel:DWORD
	v_mov_b32_e32 v20, 0xffff8000
	s_and_saveexec_b64 s[24:25], s[10:11]
	s_cbranch_execz .LBB796_549
; %bb.546:
	s_movk_i32 s10, 0x7f
	v_and_b32_e32 v14, 0x7f, v16
	v_cmp_ne_u32_e64 s[10:11], s10, v14
	v_mov_b32_e32 v20, 0x7f80
	s_and_saveexec_b64 s[26:27], s[10:11]
	s_cbranch_execz .LBB796_548
; %bb.547:
	v_and_b32_e32 v15, 7, v16
	v_ffbh_u32_e32 v15, v15
	v_min_u32_e32 v15, 32, v15
	v_subrev_u32_e32 v20, 28, v15
	v_cmp_gt_u32_e64 s[10:11], 8, v14
	v_lshrrev_b32_e32 v18, 3, v14
	v_sub_u32_e32 v15, 29, v15
	v_cndmask_b32_e64 v14, 0, v20, s[10:11]
	v_cndmask_b32_e64 v18, v18, v15, s[10:11]
	v_lshlrev_b64 v[14:15], v14, v[16:17]
	v_lshlrev_b32_e32 v14, 20, v14
	v_lshlrev_b32_e32 v15, 24, v16
	v_bfrev_b32_e32 v20, 60
	v_and_b32_e32 v14, 0x700000, v14
	v_and_b32_e32 v15, 0x80000000, v15
	v_lshl_add_u32 v18, v18, 23, v20
	v_or3_b32 v14, v15, v18, v14
	v_lshrrev_b32_e32 v20, 16, v14
.LBB796_548:
	s_or_b64 exec, exec, s[26:27]
.LBB796_549:
	s_or_b64 exec, exec, s[24:25]
.LBB796_550:
	s_or_b64 exec, exec, s[12:13]
	v_lshrrev_b16_e32 v14, 8, v16
	v_cmp_ne_u16_e64 s[10:11], 0, v14
	s_and_saveexec_b64 s[12:13], s[10:11]
	s_cbranch_execz .LBB796_556
; %bb.551:
	s_movk_i32 s10, 0x80
	v_cmp_ne_u16_e64 s[10:11], s10, v14
	v_mov_b32_e32 v19, 0xffff8000
	s_and_saveexec_b64 s[24:25], s[10:11]
	s_cbranch_execz .LBB796_555
; %bb.552:
	s_movk_i32 s10, 0x7f
	v_and_b32_e32 v15, 0x7f, v14
	v_cmp_ne_u32_e64 s[10:11], s10, v15
	v_mov_b32_e32 v19, 0x7f80
	s_and_saveexec_b64 s[26:27], s[10:11]
	s_cbranch_execz .LBB796_554
; %bb.553:
	v_and_b32_e32 v21, 7, v14
	v_ffbh_u32_e32 v18, v21
	v_min_u32_e32 v23, 32, v18
	v_subrev_u32_e32 v18, 28, v23
	v_lshlrev_b64 v[18:19], v18, v[14:15]
	v_lshrrev_b32_e32 v22, 3, v15
	v_sub_u32_e32 v14, 29, v23
	v_and_b32_e32 v18, 7, v18
	v_cmp_gt_u32_e64 s[10:11], 8, v15
	v_cndmask_b32_e64 v14, v22, v14, s[10:11]
	v_cndmask_b32_e64 v15, v21, v18, s[10:11]
	v_lshlrev_b32_e32 v18, 16, v16
	v_bfrev_b32_e32 v19, 60
	v_lshlrev_b32_e32 v15, 20, v15
	v_and_b32_e32 v18, 0x80000000, v18
	v_lshl_add_u32 v14, v14, 23, v19
	v_or3_b32 v14, v18, v14, v15
	v_lshrrev_b32_e32 v19, 16, v14
.LBB796_554:
	s_or_b64 exec, exec, s[26:27]
.LBB796_555:
	s_or_b64 exec, exec, s[24:25]
.LBB796_556:
	s_or_b64 exec, exec, s[12:13]
	s_movk_i32 s10, 0xff
	v_and_b32_sdwa v18, v16, s10 dst_sel:DWORD dst_unused:UNUSED_PAD src0_sel:WORD_1 src1_sel:DWORD
	v_lshrrev_b32_e32 v14, 16, v16
	v_cmp_ne_u16_e64 s[10:11], 0, v18
	v_mov_b32_e32 v15, 0
	v_mov_b32_e32 v21, 0
	s_and_saveexec_b64 s[12:13], s[10:11]
	s_cbranch_execz .LBB796_562
; %bb.557:
	s_movk_i32 s10, 0x80
	v_cmp_ne_u16_e64 s[10:11], s10, v18
	v_mov_b32_e32 v21, 0xffff8000
	s_and_saveexec_b64 s[24:25], s[10:11]
	s_cbranch_execz .LBB796_561
; %bb.558:
	v_bfe_u32 v18, v16, 16, 7
	s_movk_i32 s10, 0x7f
	v_cmp_ne_u32_e64 s[10:11], s10, v18
	v_mov_b32_e32 v21, 0x7f80
	s_and_saveexec_b64 s[26:27], s[10:11]
	s_cbranch_execz .LBB796_560
; %bb.559:
	v_and_b32_e32 v21, 7, v14
	v_ffbh_u32_e32 v22, v21
	v_min_u32_e32 v25, 32, v22
	v_subrev_u32_e32 v22, 28, v25
	v_lshlrev_b64 v[22:23], v22, v[14:15]
	v_and_b32_e32 v22, 7, v22
	v_cmp_gt_u32_e64 s[10:11], 8, v18
	v_lshrrev_b32_e32 v24, 3, v18
	v_sub_u32_e32 v14, 29, v25
	v_cndmask_b32_e64 v18, v21, v22, s[10:11]
	v_mov_b32_e32 v21, 24
	v_cndmask_b32_e64 v14, v24, v14, s[10:11]
	v_lshlrev_b32_sdwa v21, v21, v16 dst_sel:DWORD dst_unused:UNUSED_PAD src0_sel:DWORD src1_sel:WORD_1
	v_bfrev_b32_e32 v22, 60
	v_lshlrev_b32_e32 v18, 20, v18
	v_and_b32_e32 v21, 0x80000000, v21
	v_lshl_add_u32 v14, v14, 23, v22
	v_or3_b32 v14, v21, v14, v18
	v_lshrrev_b32_e32 v21, 16, v14
.LBB796_560:
	s_or_b64 exec, exec, s[26:27]
.LBB796_561:
	s_or_b64 exec, exec, s[24:25]
.LBB796_562:
	s_or_b64 exec, exec, s[12:13]
	s_mov_b32 s10, 0xffffff
	v_cmp_lt_u32_e64 s[10:11], s10, v16
	v_mov_b32_e32 v22, 0
	s_and_saveexec_b64 s[12:13], s[10:11]
	s_cbranch_execz .LBB796_568
; %bb.563:
	v_lshrrev_b32_e32 v14, 24, v16
	s_movk_i32 s10, 0x80
	v_cmp_ne_u32_e64 s[10:11], s10, v14
	v_mov_b32_e32 v22, 0xffff8000
	s_and_saveexec_b64 s[24:25], s[10:11]
	s_cbranch_execz .LBB796_567
; %bb.564:
	v_bfe_u32 v18, v16, 24, 7
	s_movk_i32 s10, 0x7f
	v_cmp_ne_u32_e64 s[10:11], s10, v18
	v_mov_b32_e32 v22, 0x7f80
	s_and_saveexec_b64 s[26:27], s[10:11]
	s_cbranch_execz .LBB796_566
; %bb.565:
	v_and_b32_e32 v24, 7, v14
	v_ffbh_u32_e32 v22, v24
	v_min_u32_e32 v26, 32, v22
	v_subrev_u32_e32 v22, 28, v26
	v_lshlrev_b64 v[22:23], v22, v[14:15]
	v_lshrrev_b32_e32 v25, 3, v18
	v_sub_u32_e32 v23, 29, v26
	v_and_b32_e32 v22, 7, v22
	v_cmp_gt_u32_e64 s[10:11], 8, v18
	v_cndmask_b32_e64 v18, v25, v23, s[10:11]
	v_cndmask_b32_e64 v22, v24, v22, s[10:11]
	v_lshlrev_b32_e32 v14, 24, v14
	v_bfrev_b32_e32 v23, 60
	v_lshlrev_b32_e32 v22, 20, v22
	v_and_b32_e32 v14, 0x80000000, v14
	v_lshl_add_u32 v18, v18, 23, v23
	v_or3_b32 v14, v14, v18, v22
	v_lshrrev_b32_e32 v22, 16, v14
.LBB796_566:
	s_or_b64 exec, exec, s[26:27]
.LBB796_567:
	s_or_b64 exec, exec, s[24:25]
.LBB796_568:
	s_or_b64 exec, exec, s[12:13]
	v_mov_b32_e32 v23, 0
	v_mov_b32_e32 v14, v17
	v_cmp_ne_u16_sdwa s[10:11], v17, v23 src0_sel:BYTE_0 src1_sel:DWORD
	v_mov_b32_e32 v24, 0
	s_and_saveexec_b64 s[12:13], s[10:11]
	s_cbranch_execz .LBB796_574
; %bb.569:
	s_movk_i32 s10, 0x80
	v_cmp_ne_u16_sdwa s[10:11], v17, s10 src0_sel:BYTE_0 src1_sel:DWORD
	v_mov_b32_e32 v24, 0xffff8000
	s_and_saveexec_b64 s[24:25], s[10:11]
	s_cbranch_execz .LBB796_573
; %bb.570:
	s_movk_i32 s10, 0x7f
	v_and_b32_e32 v18, 0x7f, v17
	v_cmp_ne_u32_e64 s[10:11], s10, v18
	v_mov_b32_e32 v24, 0x7f80
	s_and_saveexec_b64 s[26:27], s[10:11]
	s_cbranch_execz .LBB796_572
; %bb.571:
	v_and_b32_e32 v24, 7, v17
	v_ffbh_u32_e32 v24, v24
	v_min_u32_e32 v24, 32, v24
	v_lshrrev_b32_e32 v25, 3, v18
	v_subrev_u32_e32 v26, 28, v24
	v_sub_u32_e32 v24, 29, v24
	v_cmp_gt_u32_e64 s[10:11], 8, v18
	v_cndmask_b32_e64 v18, v25, v24, s[10:11]
	v_cndmask_b32_e64 v24, 0, v26, s[10:11]
	v_lshlrev_b64 v[24:25], v24, v[14:15]
	v_lshlrev_b32_e32 v15, 20, v24
	v_lshlrev_b32_e32 v24, 24, v14
	v_bfrev_b32_e32 v25, 60
	v_and_b32_e32 v15, 0x700000, v15
	v_and_b32_e32 v24, 0x80000000, v24
	v_lshl_add_u32 v18, v18, 23, v25
	v_or3_b32 v15, v24, v18, v15
	v_lshrrev_b32_e32 v24, 16, v15
.LBB796_572:
	s_or_b64 exec, exec, s[26:27]
.LBB796_573:
	s_or_b64 exec, exec, s[24:25]
.LBB796_574:
	s_or_b64 exec, exec, s[12:13]
	v_lshrrev_b16_e32 v18, 8, v14
	v_cmp_ne_u16_e64 s[10:11], 0, v18
	s_and_saveexec_b64 s[12:13], s[10:11]
	s_cbranch_execz .LBB796_580
; %bb.575:
	s_movk_i32 s10, 0x80
	v_cmp_ne_u16_e64 s[10:11], s10, v18
	v_mov_b32_e32 v23, 0xffff8000
	s_and_saveexec_b64 s[24:25], s[10:11]
	s_cbranch_execz .LBB796_579
; %bb.576:
	s_movk_i32 s10, 0x7f
	v_and_b32_e32 v15, 0x7f, v18
	v_cmp_ne_u32_e64 s[10:11], s10, v15
	v_mov_b32_e32 v23, 0x7f80
	s_and_saveexec_b64 s[26:27], s[10:11]
	s_cbranch_execz .LBB796_578
; %bb.577:
	v_and_b32_e32 v23, 7, v18
	v_ffbh_u32_e32 v26, v23
	v_min_u32_e32 v28, 32, v26
	v_subrev_u32_e32 v26, 28, v28
	v_lshlrev_b64 v[26:27], v26, v[18:19]
	v_lshrrev_b32_e32 v25, 3, v15
	v_sub_u32_e32 v18, 29, v28
	v_and_b32_e32 v26, 7, v26
	v_cmp_gt_u32_e64 s[10:11], 8, v15
	v_cndmask_b32_e64 v15, v25, v18, s[10:11]
	v_cndmask_b32_e64 v18, v23, v26, s[10:11]
	v_lshlrev_b32_e32 v14, 16, v14
	v_bfrev_b32_e32 v23, 60
	v_lshlrev_b32_e32 v18, 20, v18
	v_and_b32_e32 v14, 0x80000000, v14
	v_lshl_add_u32 v15, v15, 23, v23
	v_or3_b32 v14, v14, v15, v18
	v_lshrrev_b32_e32 v23, 16, v14
.LBB796_578:
	s_or_b64 exec, exec, s[26:27]
.LBB796_579:
	s_or_b64 exec, exec, s[24:25]
.LBB796_580:
	s_or_b64 exec, exec, s[12:13]
	s_movk_i32 s10, 0xff
	v_and_b32_sdwa v25, v17, s10 dst_sel:DWORD dst_unused:UNUSED_PAD src0_sel:WORD_1 src1_sel:DWORD
	v_lshrrev_b32_e32 v14, 16, v17
	v_cmp_ne_u16_e64 s[10:11], 0, v25
	v_mov_b32_e32 v15, 0
	v_mov_b32_e32 v18, 0
	s_and_saveexec_b64 s[12:13], s[10:11]
	s_cbranch_execz .LBB796_586
; %bb.581:
	s_movk_i32 s10, 0x80
	v_cmp_ne_u16_e64 s[10:11], s10, v25
	v_mov_b32_e32 v18, 0xffff8000
	s_and_saveexec_b64 s[24:25], s[10:11]
	s_cbranch_execz .LBB796_585
; %bb.582:
	v_bfe_u32 v25, v17, 16, 7
	s_movk_i32 s10, 0x7f
	v_cmp_ne_u32_e64 s[10:11], s10, v25
	v_mov_b32_e32 v18, 0x7f80
	s_and_saveexec_b64 s[26:27], s[10:11]
	s_cbranch_execz .LBB796_584
; %bb.583:
	v_and_b32_e32 v18, 7, v14
	v_ffbh_u32_e32 v26, v18
	v_min_u32_e32 v29, 32, v26
	v_subrev_u32_e32 v26, 28, v29
	v_lshlrev_b64 v[26:27], v26, v[14:15]
	v_lshrrev_b32_e32 v28, 3, v25
	v_sub_u32_e32 v14, 29, v29
	v_and_b32_e32 v26, 7, v26
	v_cmp_gt_u32_e64 s[10:11], 8, v25
	v_mov_b32_e32 v25, 24
	v_cndmask_b32_e64 v14, v28, v14, s[10:11]
	v_cndmask_b32_e64 v18, v18, v26, s[10:11]
	v_lshlrev_b32_sdwa v25, v25, v17 dst_sel:DWORD dst_unused:UNUSED_PAD src0_sel:DWORD src1_sel:WORD_1
	v_bfrev_b32_e32 v26, 60
	v_lshlrev_b32_e32 v18, 20, v18
	v_and_b32_e32 v25, 0x80000000, v25
	v_lshl_add_u32 v14, v14, 23, v26
	v_or3_b32 v14, v25, v14, v18
	v_lshrrev_b32_e32 v18, 16, v14
.LBB796_584:
	s_or_b64 exec, exec, s[26:27]
.LBB796_585:
	s_or_b64 exec, exec, s[24:25]
.LBB796_586:
	s_or_b64 exec, exec, s[12:13]
	s_mov_b32 s10, -1
	s_mov_b32 s11, 0xffffff
	v_cmp_lt_u64_e64 s[10:11], s[10:11], v[16:17]
	s_and_saveexec_b64 s[12:13], s[10:11]
	s_cbranch_execz .LBB796_592
; %bb.587:
	v_lshrrev_b32_e32 v14, 24, v17
	s_movk_i32 s10, 0x80
	v_cmp_ne_u32_e64 s[10:11], s10, v14
	v_mov_b32_e32 v15, 0xffff8000
	s_and_saveexec_b64 s[24:25], s[10:11]
	s_cbranch_execz .LBB796_591
; %bb.588:
	v_bfe_u32 v16, v17, 24, 7
	s_movk_i32 s10, 0x7f
	v_cmp_ne_u32_e64 s[10:11], s10, v16
	v_mov_b32_e32 v15, 0x7f80
	s_and_saveexec_b64 s[26:27], s[10:11]
	s_cbranch_execz .LBB796_590
; %bb.589:
	v_and_b32_e32 v15, 7, v14
	v_ffbh_u32_e32 v25, v15
	v_min_u32_e32 v25, 32, v25
	v_subrev_u32_e32 v26, 28, v25
	v_lshlrev_b64 v[26:27], v26, v[14:15]
	v_lshrrev_b32_e32 v17, 3, v16
	v_sub_u32_e32 v25, 29, v25
	v_and_b32_e32 v26, 7, v26
	v_cmp_gt_u32_e64 s[10:11], 8, v16
	v_cndmask_b32_e64 v16, v17, v25, s[10:11]
	v_cndmask_b32_e64 v15, v15, v26, s[10:11]
	v_lshlrev_b32_e32 v14, 24, v14
	v_bfrev_b32_e32 v17, 60
	v_lshlrev_b32_e32 v15, 20, v15
	v_and_b32_e32 v14, 0x80000000, v14
	v_lshl_add_u32 v16, v16, 23, v17
	v_or3_b32 v14, v14, v16, v15
	v_lshrrev_b32_e32 v15, 16, v14
.LBB796_590:
	s_or_b64 exec, exec, s[26:27]
.LBB796_591:
	s_or_b64 exec, exec, s[24:25]
.LBB796_592:
	s_or_b64 exec, exec, s[12:13]
	s_mov_b32 s10, 0x5040100
	v_perm_b32 v17, v22, v21, s10
	v_perm_b32 v16, v19, v20, s10
	;; [unrolled: 1-line block ×4, first 2 shown]
	v_mfma_f32_4x4x4bf16_1k a[0:3], v[2:3], v[16:17], a[0:3] cbsz:4 abid:11
	v_mov_b32_e32 v17, 0
	v_mfma_f32_4x4x4bf16_1k a[0:3], v[4:5], v[14:15], a[0:3] cbsz:4 abid:11
	v_cmp_ne_u16_sdwa s[10:11], v10, v17 src0_sel:BYTE_0 src1_sel:DWORD
	v_mov_b32_e32 v18, 0
	s_and_saveexec_b64 s[12:13], s[10:11]
	s_cbranch_execz .LBB796_598
; %bb.593:
	s_movk_i32 s10, 0x80
	v_cmp_ne_u16_sdwa s[10:11], v10, s10 src0_sel:BYTE_0 src1_sel:DWORD
	v_mov_b32_e32 v18, 0xffff8000
	s_and_saveexec_b64 s[24:25], s[10:11]
	s_cbranch_execz .LBB796_597
; %bb.594:
	s_movk_i32 s10, 0x7f
	v_and_b32_e32 v14, 0x7f, v10
	v_cmp_ne_u32_e64 s[10:11], s10, v14
	v_mov_b32_e32 v18, 0x7f80
	s_and_saveexec_b64 s[26:27], s[10:11]
	s_cbranch_execz .LBB796_596
; %bb.595:
	v_and_b32_e32 v15, 7, v10
	v_ffbh_u32_e32 v15, v15
	v_min_u32_e32 v15, 32, v15
	v_subrev_u32_e32 v18, 28, v15
	v_cmp_gt_u32_e64 s[10:11], 8, v14
	v_lshrrev_b32_e32 v16, 3, v14
	v_sub_u32_e32 v15, 29, v15
	v_cndmask_b32_e64 v14, 0, v18, s[10:11]
	v_cndmask_b32_e64 v16, v16, v15, s[10:11]
	v_lshlrev_b64 v[14:15], v14, v[10:11]
	v_lshlrev_b32_e32 v14, 20, v14
	v_lshlrev_b32_e32 v15, 24, v10
	v_bfrev_b32_e32 v18, 60
	v_and_b32_e32 v14, 0x700000, v14
	v_and_b32_e32 v15, 0x80000000, v15
	v_lshl_add_u32 v16, v16, 23, v18
	v_or3_b32 v14, v15, v16, v14
	v_lshrrev_b32_e32 v18, 16, v14
.LBB796_596:
	s_or_b64 exec, exec, s[26:27]
.LBB796_597:
	s_or_b64 exec, exec, s[24:25]
.LBB796_598:
	s_or_b64 exec, exec, s[12:13]
	v_lshrrev_b16_e32 v14, 8, v10
	v_cmp_ne_u16_e64 s[10:11], 0, v14
	s_and_saveexec_b64 s[12:13], s[10:11]
	s_cbranch_execz .LBB796_604
; %bb.599:
	s_movk_i32 s10, 0x80
	v_cmp_ne_u16_e64 s[10:11], s10, v14
	v_mov_b32_e32 v17, 0xffff8000
	s_and_saveexec_b64 s[24:25], s[10:11]
	s_cbranch_execz .LBB796_603
; %bb.600:
	s_movk_i32 s10, 0x7f
	v_and_b32_e32 v15, 0x7f, v14
	v_cmp_ne_u32_e64 s[10:11], s10, v15
	v_mov_b32_e32 v17, 0x7f80
	s_and_saveexec_b64 s[26:27], s[10:11]
	s_cbranch_execz .LBB796_602
; %bb.601:
	v_and_b32_e32 v19, 7, v14
	v_ffbh_u32_e32 v16, v19
	v_min_u32_e32 v21, 32, v16
	v_subrev_u32_e32 v16, 28, v21
	v_lshlrev_b64 v[16:17], v16, v[14:15]
	v_lshrrev_b32_e32 v20, 3, v15
	v_sub_u32_e32 v14, 29, v21
	v_and_b32_e32 v16, 7, v16
	v_cmp_gt_u32_e64 s[10:11], 8, v15
	v_cndmask_b32_e64 v14, v20, v14, s[10:11]
	v_cndmask_b32_e64 v15, v19, v16, s[10:11]
	v_lshlrev_b32_e32 v16, 16, v10
	v_bfrev_b32_e32 v17, 60
	v_lshlrev_b32_e32 v15, 20, v15
	v_and_b32_e32 v16, 0x80000000, v16
	v_lshl_add_u32 v14, v14, 23, v17
	v_or3_b32 v14, v16, v14, v15
	v_lshrrev_b32_e32 v17, 16, v14
.LBB796_602:
	s_or_b64 exec, exec, s[26:27]
.LBB796_603:
	s_or_b64 exec, exec, s[24:25]
.LBB796_604:
	s_or_b64 exec, exec, s[12:13]
	s_movk_i32 s10, 0xff
	v_and_b32_sdwa v16, v10, s10 dst_sel:DWORD dst_unused:UNUSED_PAD src0_sel:WORD_1 src1_sel:DWORD
	v_lshrrev_b32_e32 v14, 16, v10
	v_cmp_ne_u16_e64 s[10:11], 0, v16
	v_mov_b32_e32 v15, 0
	v_mov_b32_e32 v19, 0
	s_and_saveexec_b64 s[12:13], s[10:11]
	s_cbranch_execz .LBB796_610
; %bb.605:
	s_movk_i32 s10, 0x80
	v_cmp_ne_u16_e64 s[10:11], s10, v16
	v_mov_b32_e32 v19, 0xffff8000
	s_and_saveexec_b64 s[24:25], s[10:11]
	s_cbranch_execz .LBB796_609
; %bb.606:
	v_bfe_u32 v16, v10, 16, 7
	s_movk_i32 s10, 0x7f
	v_cmp_ne_u32_e64 s[10:11], s10, v16
	v_mov_b32_e32 v19, 0x7f80
	s_and_saveexec_b64 s[26:27], s[10:11]
	s_cbranch_execz .LBB796_608
; %bb.607:
	v_and_b32_e32 v19, 7, v14
	v_ffbh_u32_e32 v20, v19
	v_min_u32_e32 v23, 32, v20
	v_subrev_u32_e32 v20, 28, v23
	v_lshlrev_b64 v[20:21], v20, v[14:15]
	v_and_b32_e32 v20, 7, v20
	v_cmp_gt_u32_e64 s[10:11], 8, v16
	v_lshrrev_b32_e32 v22, 3, v16
	v_sub_u32_e32 v14, 29, v23
	v_cndmask_b32_e64 v16, v19, v20, s[10:11]
	v_mov_b32_e32 v19, 24
	v_cndmask_b32_e64 v14, v22, v14, s[10:11]
	v_lshlrev_b32_sdwa v19, v19, v10 dst_sel:DWORD dst_unused:UNUSED_PAD src0_sel:DWORD src1_sel:WORD_1
	v_bfrev_b32_e32 v20, 60
	v_lshlrev_b32_e32 v16, 20, v16
	v_and_b32_e32 v19, 0x80000000, v19
	v_lshl_add_u32 v14, v14, 23, v20
	v_or3_b32 v14, v19, v14, v16
	v_lshrrev_b32_e32 v19, 16, v14
.LBB796_608:
	s_or_b64 exec, exec, s[26:27]
.LBB796_609:
	s_or_b64 exec, exec, s[24:25]
.LBB796_610:
	s_or_b64 exec, exec, s[12:13]
	s_mov_b32 s10, 0xffffff
	v_cmp_lt_u32_e64 s[10:11], s10, v10
	v_mov_b32_e32 v20, 0
	s_and_saveexec_b64 s[12:13], s[10:11]
	s_cbranch_execz .LBB796_616
; %bb.611:
	v_lshrrev_b32_e32 v14, 24, v10
	s_movk_i32 s10, 0x80
	v_cmp_ne_u32_e64 s[10:11], s10, v14
	v_mov_b32_e32 v20, 0xffff8000
	s_and_saveexec_b64 s[24:25], s[10:11]
	s_cbranch_execz .LBB796_615
; %bb.612:
	v_bfe_u32 v16, v10, 24, 7
	s_movk_i32 s10, 0x7f
	v_cmp_ne_u32_e64 s[10:11], s10, v16
	v_mov_b32_e32 v20, 0x7f80
	s_and_saveexec_b64 s[26:27], s[10:11]
	s_cbranch_execz .LBB796_614
; %bb.613:
	v_and_b32_e32 v22, 7, v14
	v_ffbh_u32_e32 v20, v22
	v_min_u32_e32 v24, 32, v20
	v_subrev_u32_e32 v20, 28, v24
	v_lshlrev_b64 v[20:21], v20, v[14:15]
	v_lshrrev_b32_e32 v23, 3, v16
	v_sub_u32_e32 v21, 29, v24
	v_and_b32_e32 v20, 7, v20
	v_cmp_gt_u32_e64 s[10:11], 8, v16
	v_cndmask_b32_e64 v16, v23, v21, s[10:11]
	v_cndmask_b32_e64 v20, v22, v20, s[10:11]
	v_lshlrev_b32_e32 v14, 24, v14
	v_bfrev_b32_e32 v21, 60
	v_lshlrev_b32_e32 v20, 20, v20
	v_and_b32_e32 v14, 0x80000000, v14
	v_lshl_add_u32 v16, v16, 23, v21
	v_or3_b32 v14, v14, v16, v20
	v_lshrrev_b32_e32 v20, 16, v14
.LBB796_614:
	s_or_b64 exec, exec, s[26:27]
.LBB796_615:
	s_or_b64 exec, exec, s[24:25]
.LBB796_616:
	s_or_b64 exec, exec, s[12:13]
	v_mov_b32_e32 v21, 0
	v_mov_b32_e32 v14, v11
	v_cmp_ne_u16_sdwa s[10:11], v11, v21 src0_sel:BYTE_0 src1_sel:DWORD
	v_mov_b32_e32 v22, 0
	s_and_saveexec_b64 s[12:13], s[10:11]
	s_cbranch_execz .LBB796_622
; %bb.617:
	s_movk_i32 s10, 0x80
	v_cmp_ne_u16_sdwa s[10:11], v11, s10 src0_sel:BYTE_0 src1_sel:DWORD
	v_mov_b32_e32 v22, 0xffff8000
	s_and_saveexec_b64 s[24:25], s[10:11]
	s_cbranch_execz .LBB796_621
; %bb.618:
	s_movk_i32 s10, 0x7f
	v_and_b32_e32 v16, 0x7f, v11
	v_cmp_ne_u32_e64 s[10:11], s10, v16
	v_mov_b32_e32 v22, 0x7f80
	s_and_saveexec_b64 s[26:27], s[10:11]
	s_cbranch_execz .LBB796_620
; %bb.619:
	v_and_b32_e32 v22, 7, v11
	v_ffbh_u32_e32 v22, v22
	v_min_u32_e32 v22, 32, v22
	v_lshrrev_b32_e32 v23, 3, v16
	v_subrev_u32_e32 v24, 28, v22
	v_sub_u32_e32 v22, 29, v22
	v_cmp_gt_u32_e64 s[10:11], 8, v16
	v_cndmask_b32_e64 v16, v23, v22, s[10:11]
	v_cndmask_b32_e64 v22, 0, v24, s[10:11]
	v_lshlrev_b64 v[22:23], v22, v[14:15]
	v_lshlrev_b32_e32 v15, 20, v22
	v_lshlrev_b32_e32 v22, 24, v14
	v_bfrev_b32_e32 v23, 60
	v_and_b32_e32 v15, 0x700000, v15
	v_and_b32_e32 v22, 0x80000000, v22
	v_lshl_add_u32 v16, v16, 23, v23
	v_or3_b32 v15, v22, v16, v15
	v_lshrrev_b32_e32 v22, 16, v15
.LBB796_620:
	s_or_b64 exec, exec, s[26:27]
.LBB796_621:
	s_or_b64 exec, exec, s[24:25]
.LBB796_622:
	s_or_b64 exec, exec, s[12:13]
	v_lshrrev_b16_e32 v16, 8, v14
	v_cmp_ne_u16_e64 s[10:11], 0, v16
	s_and_saveexec_b64 s[12:13], s[10:11]
	s_cbranch_execz .LBB796_628
; %bb.623:
	s_movk_i32 s10, 0x80
	v_cmp_ne_u16_e64 s[10:11], s10, v16
	v_mov_b32_e32 v21, 0xffff8000
	s_and_saveexec_b64 s[24:25], s[10:11]
	s_cbranch_execz .LBB796_627
; %bb.624:
	s_movk_i32 s10, 0x7f
	v_and_b32_e32 v15, 0x7f, v16
	v_cmp_ne_u32_e64 s[10:11], s10, v15
	v_mov_b32_e32 v21, 0x7f80
	s_and_saveexec_b64 s[26:27], s[10:11]
	s_cbranch_execz .LBB796_626
; %bb.625:
	v_and_b32_e32 v21, 7, v16
	v_ffbh_u32_e32 v24, v21
	v_min_u32_e32 v26, 32, v24
	v_subrev_u32_e32 v24, 28, v26
	v_lshlrev_b64 v[24:25], v24, v[16:17]
	v_lshrrev_b32_e32 v23, 3, v15
	v_sub_u32_e32 v16, 29, v26
	v_and_b32_e32 v24, 7, v24
	v_cmp_gt_u32_e64 s[10:11], 8, v15
	v_cndmask_b32_e64 v15, v23, v16, s[10:11]
	v_cndmask_b32_e64 v16, v21, v24, s[10:11]
	v_lshlrev_b32_e32 v14, 16, v14
	v_bfrev_b32_e32 v21, 60
	v_lshlrev_b32_e32 v16, 20, v16
	v_and_b32_e32 v14, 0x80000000, v14
	v_lshl_add_u32 v15, v15, 23, v21
	v_or3_b32 v14, v14, v15, v16
	v_lshrrev_b32_e32 v21, 16, v14
.LBB796_626:
	s_or_b64 exec, exec, s[26:27]
.LBB796_627:
	s_or_b64 exec, exec, s[24:25]
.LBB796_628:
	s_or_b64 exec, exec, s[12:13]
	s_movk_i32 s10, 0xff
	v_and_b32_sdwa v23, v11, s10 dst_sel:DWORD dst_unused:UNUSED_PAD src0_sel:WORD_1 src1_sel:DWORD
	v_lshrrev_b32_e32 v14, 16, v11
	v_cmp_ne_u16_e64 s[10:11], 0, v23
	v_mov_b32_e32 v15, 0
	v_mov_b32_e32 v16, 0
	s_and_saveexec_b64 s[12:13], s[10:11]
	s_cbranch_execz .LBB796_634
; %bb.629:
	s_movk_i32 s10, 0x80
	v_cmp_ne_u16_e64 s[10:11], s10, v23
	v_mov_b32_e32 v16, 0xffff8000
	s_and_saveexec_b64 s[24:25], s[10:11]
	s_cbranch_execz .LBB796_633
; %bb.630:
	v_bfe_u32 v23, v11, 16, 7
	s_movk_i32 s10, 0x7f
	v_cmp_ne_u32_e64 s[10:11], s10, v23
	v_mov_b32_e32 v16, 0x7f80
	s_and_saveexec_b64 s[26:27], s[10:11]
	s_cbranch_execz .LBB796_632
; %bb.631:
	v_and_b32_e32 v16, 7, v14
	v_ffbh_u32_e32 v24, v16
	v_min_u32_e32 v27, 32, v24
	v_subrev_u32_e32 v24, 28, v27
	v_lshlrev_b64 v[24:25], v24, v[14:15]
	v_lshrrev_b32_e32 v26, 3, v23
	v_sub_u32_e32 v14, 29, v27
	v_and_b32_e32 v24, 7, v24
	v_cmp_gt_u32_e64 s[10:11], 8, v23
	v_mov_b32_e32 v23, 24
	v_cndmask_b32_e64 v14, v26, v14, s[10:11]
	v_cndmask_b32_e64 v16, v16, v24, s[10:11]
	v_lshlrev_b32_sdwa v23, v23, v11 dst_sel:DWORD dst_unused:UNUSED_PAD src0_sel:DWORD src1_sel:WORD_1
	v_bfrev_b32_e32 v24, 60
	v_lshlrev_b32_e32 v16, 20, v16
	v_and_b32_e32 v23, 0x80000000, v23
	v_lshl_add_u32 v14, v14, 23, v24
	v_or3_b32 v14, v23, v14, v16
	v_lshrrev_b32_e32 v16, 16, v14
.LBB796_632:
	s_or_b64 exec, exec, s[26:27]
.LBB796_633:
	s_or_b64 exec, exec, s[24:25]
.LBB796_634:
	s_or_b64 exec, exec, s[12:13]
	s_mov_b32 s10, -1
	s_mov_b32 s11, 0xffffff
	v_cmp_lt_u64_e64 s[10:11], s[10:11], v[10:11]
	s_and_saveexec_b64 s[12:13], s[10:11]
	s_cbranch_execz .LBB796_640
; %bb.635:
	v_lshrrev_b32_e32 v10, 24, v11
	s_movk_i32 s10, 0x80
	v_cmp_ne_u32_e64 s[10:11], s10, v10
	v_mov_b32_e32 v15, 0xffff8000
	s_and_saveexec_b64 s[24:25], s[10:11]
	s_cbranch_execz .LBB796_639
; %bb.636:
	v_bfe_u32 v11, v11, 24, 7
	s_movk_i32 s10, 0x7f
	v_cmp_ne_u32_e64 s[10:11], s10, v11
	v_mov_b32_e32 v15, 0x7f80
	s_and_saveexec_b64 s[26:27], s[10:11]
	s_cbranch_execz .LBB796_638
; %bb.637:
	v_and_b32_e32 v23, 7, v10
	v_ffbh_u32_e32 v14, v23
	v_min_u32_e32 v25, 32, v14
	v_subrev_u32_e32 v14, 28, v25
	v_lshlrev_b64 v[14:15], v14, v[10:11]
	v_lshrrev_b32_e32 v24, 3, v11
	v_sub_u32_e32 v15, 29, v25
	v_and_b32_e32 v14, 7, v14
	v_cmp_gt_u32_e64 s[10:11], 8, v11
	v_cndmask_b32_e64 v11, v24, v15, s[10:11]
	v_cndmask_b32_e64 v14, v23, v14, s[10:11]
	v_lshlrev_b32_e32 v10, 24, v10
	v_bfrev_b32_e32 v15, 60
	v_lshlrev_b32_e32 v14, 20, v14
	v_and_b32_e32 v10, 0x80000000, v10
	v_lshl_add_u32 v11, v11, 23, v15
	v_or3_b32 v10, v10, v11, v14
	v_lshrrev_b32_e32 v15, 16, v10
.LBB796_638:
	s_or_b64 exec, exec, s[26:27]
.LBB796_639:
	s_or_b64 exec, exec, s[24:25]
.LBB796_640:
	s_or_b64 exec, exec, s[12:13]
	s_mov_b32 s10, 0x5040100
	v_perm_b32 v11, v20, v19, s10
	v_perm_b32 v10, v17, v18, s10
	;; [unrolled: 1-line block ×4, first 2 shown]
	v_mfma_f32_4x4x4bf16_1k a[0:3], v[2:3], v[10:11], a[0:3] cbsz:4 abid:12
	v_mov_b32_e32 v16, 0
	v_mfma_f32_4x4x4bf16_1k a[0:3], v[4:5], v[14:15], a[0:3] cbsz:4 abid:12
	v_mov_b32_e32 v15, 0
	v_cmp_ne_u16_sdwa s[10:11], v12, v15 src0_sel:BYTE_0 src1_sel:DWORD
	s_and_saveexec_b64 s[12:13], s[10:11]
	s_cbranch_execz .LBB796_646
; %bb.641:
	s_movk_i32 s10, 0x80
	v_cmp_ne_u16_sdwa s[10:11], v12, s10 src0_sel:BYTE_0 src1_sel:DWORD
	v_mov_b32_e32 v16, 0xffff8000
	s_and_saveexec_b64 s[24:25], s[10:11]
	s_cbranch_execz .LBB796_645
; %bb.642:
	s_movk_i32 s10, 0x7f
	v_and_b32_e32 v10, 0x7f, v12
	v_cmp_ne_u32_e64 s[10:11], s10, v10
	v_mov_b32_e32 v16, 0x7f80
	s_and_saveexec_b64 s[26:27], s[10:11]
	s_cbranch_execz .LBB796_644
; %bb.643:
	v_and_b32_e32 v11, 7, v12
	v_ffbh_u32_e32 v11, v11
	v_min_u32_e32 v11, 32, v11
	v_subrev_u32_e32 v16, 28, v11
	v_cmp_gt_u32_e64 s[10:11], 8, v10
	v_lshrrev_b32_e32 v14, 3, v10
	v_sub_u32_e32 v11, 29, v11
	v_cndmask_b32_e64 v10, 0, v16, s[10:11]
	v_cndmask_b32_e64 v14, v14, v11, s[10:11]
	v_lshlrev_b64 v[10:11], v10, v[12:13]
	v_lshlrev_b32_e32 v10, 20, v10
	v_lshlrev_b32_e32 v11, 24, v12
	v_bfrev_b32_e32 v16, 60
	v_and_b32_e32 v10, 0x700000, v10
	v_and_b32_e32 v11, 0x80000000, v11
	v_lshl_add_u32 v14, v14, 23, v16
	v_or3_b32 v10, v11, v14, v10
	v_lshrrev_b32_e32 v16, 16, v10
.LBB796_644:
	s_or_b64 exec, exec, s[26:27]
.LBB796_645:
	s_or_b64 exec, exec, s[24:25]
.LBB796_646:
	s_or_b64 exec, exec, s[12:13]
	v_lshrrev_b16_e32 v10, 8, v12
	v_cmp_ne_u16_e64 s[10:11], 0, v10
	s_and_saveexec_b64 s[12:13], s[10:11]
	s_cbranch_execz .LBB796_652
; %bb.647:
	s_movk_i32 s10, 0x80
	v_cmp_ne_u16_e64 s[10:11], s10, v10
	v_mov_b32_e32 v15, 0xffff8000
	s_and_saveexec_b64 s[24:25], s[10:11]
	s_cbranch_execz .LBB796_651
; %bb.648:
	s_movk_i32 s10, 0x7f
	v_and_b32_e32 v11, 0x7f, v10
	v_cmp_ne_u32_e64 s[10:11], s10, v11
	v_mov_b32_e32 v15, 0x7f80
	s_and_saveexec_b64 s[26:27], s[10:11]
	s_cbranch_execz .LBB796_650
; %bb.649:
	v_and_b32_e32 v17, 7, v10
	v_ffbh_u32_e32 v14, v17
	v_min_u32_e32 v19, 32, v14
	v_subrev_u32_e32 v14, 28, v19
	v_lshlrev_b64 v[14:15], v14, v[10:11]
	v_lshrrev_b32_e32 v18, 3, v11
	v_sub_u32_e32 v10, 29, v19
	v_and_b32_e32 v14, 7, v14
	v_cmp_gt_u32_e64 s[10:11], 8, v11
	v_cndmask_b32_e64 v10, v18, v10, s[10:11]
	v_cndmask_b32_e64 v11, v17, v14, s[10:11]
	v_lshlrev_b32_e32 v14, 16, v12
	v_bfrev_b32_e32 v15, 60
	v_lshlrev_b32_e32 v11, 20, v11
	v_and_b32_e32 v14, 0x80000000, v14
	v_lshl_add_u32 v10, v10, 23, v15
	v_or3_b32 v10, v14, v10, v11
	v_lshrrev_b32_e32 v15, 16, v10
.LBB796_650:
	s_or_b64 exec, exec, s[26:27]
.LBB796_651:
	s_or_b64 exec, exec, s[24:25]
.LBB796_652:
	s_or_b64 exec, exec, s[12:13]
	s_movk_i32 s10, 0xff
	v_and_b32_sdwa v14, v12, s10 dst_sel:DWORD dst_unused:UNUSED_PAD src0_sel:WORD_1 src1_sel:DWORD
	v_lshrrev_b32_e32 v10, 16, v12
	v_cmp_ne_u16_e64 s[10:11], 0, v14
	v_mov_b32_e32 v11, 0
	v_mov_b32_e32 v17, 0
	s_and_saveexec_b64 s[12:13], s[10:11]
	s_cbranch_execz .LBB796_658
; %bb.653:
	s_movk_i32 s10, 0x80
	v_cmp_ne_u16_e64 s[10:11], s10, v14
	v_mov_b32_e32 v17, 0xffff8000
	s_and_saveexec_b64 s[24:25], s[10:11]
	s_cbranch_execz .LBB796_657
; %bb.654:
	v_bfe_u32 v14, v12, 16, 7
	s_movk_i32 s10, 0x7f
	v_cmp_ne_u32_e64 s[10:11], s10, v14
	v_mov_b32_e32 v17, 0x7f80
	s_and_saveexec_b64 s[26:27], s[10:11]
	s_cbranch_execz .LBB796_656
; %bb.655:
	v_and_b32_e32 v17, 7, v10
	v_ffbh_u32_e32 v18, v17
	v_min_u32_e32 v21, 32, v18
	v_subrev_u32_e32 v18, 28, v21
	v_lshlrev_b64 v[18:19], v18, v[10:11]
	v_and_b32_e32 v18, 7, v18
	v_cmp_gt_u32_e64 s[10:11], 8, v14
	v_lshrrev_b32_e32 v20, 3, v14
	v_sub_u32_e32 v10, 29, v21
	v_cndmask_b32_e64 v14, v17, v18, s[10:11]
	v_mov_b32_e32 v17, 24
	v_cndmask_b32_e64 v10, v20, v10, s[10:11]
	v_lshlrev_b32_sdwa v17, v17, v12 dst_sel:DWORD dst_unused:UNUSED_PAD src0_sel:DWORD src1_sel:WORD_1
	v_bfrev_b32_e32 v18, 60
	v_lshlrev_b32_e32 v14, 20, v14
	v_and_b32_e32 v17, 0x80000000, v17
	v_lshl_add_u32 v10, v10, 23, v18
	v_or3_b32 v10, v17, v10, v14
	v_lshrrev_b32_e32 v17, 16, v10
.LBB796_656:
	s_or_b64 exec, exec, s[26:27]
.LBB796_657:
	s_or_b64 exec, exec, s[24:25]
.LBB796_658:
	s_or_b64 exec, exec, s[12:13]
	s_mov_b32 s10, 0xffffff
	v_cmp_lt_u32_e64 s[10:11], s10, v12
	v_mov_b32_e32 v18, 0
	s_and_saveexec_b64 s[12:13], s[10:11]
	s_cbranch_execz .LBB796_664
; %bb.659:
	v_lshrrev_b32_e32 v10, 24, v12
	s_movk_i32 s10, 0x80
	v_cmp_ne_u32_e64 s[10:11], s10, v10
	v_mov_b32_e32 v18, 0xffff8000
	s_and_saveexec_b64 s[24:25], s[10:11]
	s_cbranch_execz .LBB796_663
; %bb.660:
	v_bfe_u32 v14, v12, 24, 7
	s_movk_i32 s10, 0x7f
	v_cmp_ne_u32_e64 s[10:11], s10, v14
	v_mov_b32_e32 v18, 0x7f80
	s_and_saveexec_b64 s[26:27], s[10:11]
	s_cbranch_execz .LBB796_662
; %bb.661:
	v_and_b32_e32 v20, 7, v10
	v_ffbh_u32_e32 v18, v20
	v_min_u32_e32 v22, 32, v18
	v_subrev_u32_e32 v18, 28, v22
	v_lshlrev_b64 v[18:19], v18, v[10:11]
	v_lshrrev_b32_e32 v21, 3, v14
	v_sub_u32_e32 v19, 29, v22
	v_and_b32_e32 v18, 7, v18
	v_cmp_gt_u32_e64 s[10:11], 8, v14
	v_cndmask_b32_e64 v14, v21, v19, s[10:11]
	v_cndmask_b32_e64 v18, v20, v18, s[10:11]
	v_lshlrev_b32_e32 v10, 24, v10
	v_bfrev_b32_e32 v19, 60
	v_lshlrev_b32_e32 v18, 20, v18
	v_and_b32_e32 v10, 0x80000000, v10
	v_lshl_add_u32 v14, v14, 23, v19
	v_or3_b32 v10, v10, v14, v18
	v_lshrrev_b32_e32 v18, 16, v10
.LBB796_662:
	s_or_b64 exec, exec, s[26:27]
.LBB796_663:
	s_or_b64 exec, exec, s[24:25]
.LBB796_664:
	s_or_b64 exec, exec, s[12:13]
	v_mov_b32_e32 v19, 0
	v_mov_b32_e32 v10, v13
	v_cmp_ne_u16_sdwa s[10:11], v13, v19 src0_sel:BYTE_0 src1_sel:DWORD
	v_mov_b32_e32 v20, 0
	s_and_saveexec_b64 s[12:13], s[10:11]
	s_cbranch_execz .LBB796_670
; %bb.665:
	s_movk_i32 s10, 0x80
	v_cmp_ne_u16_sdwa s[10:11], v13, s10 src0_sel:BYTE_0 src1_sel:DWORD
	v_mov_b32_e32 v20, 0xffff8000
	s_and_saveexec_b64 s[24:25], s[10:11]
	s_cbranch_execz .LBB796_669
; %bb.666:
	s_movk_i32 s10, 0x7f
	v_and_b32_e32 v14, 0x7f, v13
	v_cmp_ne_u32_e64 s[10:11], s10, v14
	v_mov_b32_e32 v20, 0x7f80
	s_and_saveexec_b64 s[26:27], s[10:11]
	s_cbranch_execz .LBB796_668
; %bb.667:
	v_and_b32_e32 v20, 7, v13
	v_ffbh_u32_e32 v20, v20
	v_min_u32_e32 v20, 32, v20
	v_lshrrev_b32_e32 v21, 3, v14
	v_subrev_u32_e32 v22, 28, v20
	v_sub_u32_e32 v20, 29, v20
	v_cmp_gt_u32_e64 s[10:11], 8, v14
	v_cndmask_b32_e64 v14, v21, v20, s[10:11]
	v_cndmask_b32_e64 v20, 0, v22, s[10:11]
	v_lshlrev_b64 v[20:21], v20, v[10:11]
	v_lshlrev_b32_e32 v11, 20, v20
	v_lshlrev_b32_e32 v20, 24, v10
	v_bfrev_b32_e32 v21, 60
	v_and_b32_e32 v11, 0x700000, v11
	v_and_b32_e32 v20, 0x80000000, v20
	v_lshl_add_u32 v14, v14, 23, v21
	v_or3_b32 v11, v20, v14, v11
	v_lshrrev_b32_e32 v20, 16, v11
.LBB796_668:
	s_or_b64 exec, exec, s[26:27]
.LBB796_669:
	s_or_b64 exec, exec, s[24:25]
.LBB796_670:
	s_or_b64 exec, exec, s[12:13]
	v_lshrrev_b16_e32 v14, 8, v10
	v_cmp_ne_u16_e64 s[10:11], 0, v14
	s_and_saveexec_b64 s[12:13], s[10:11]
	s_cbranch_execz .LBB796_676
; %bb.671:
	s_movk_i32 s10, 0x80
	v_cmp_ne_u16_e64 s[10:11], s10, v14
	v_mov_b32_e32 v19, 0xffff8000
	s_and_saveexec_b64 s[24:25], s[10:11]
	s_cbranch_execz .LBB796_675
; %bb.672:
	s_movk_i32 s10, 0x7f
	v_and_b32_e32 v11, 0x7f, v14
	v_cmp_ne_u32_e64 s[10:11], s10, v11
	v_mov_b32_e32 v19, 0x7f80
	s_and_saveexec_b64 s[26:27], s[10:11]
	s_cbranch_execz .LBB796_674
; %bb.673:
	v_and_b32_e32 v19, 7, v14
	v_ffbh_u32_e32 v22, v19
	v_min_u32_e32 v24, 32, v22
	v_subrev_u32_e32 v22, 28, v24
	v_lshlrev_b64 v[22:23], v22, v[14:15]
	v_lshrrev_b32_e32 v21, 3, v11
	v_sub_u32_e32 v14, 29, v24
	v_and_b32_e32 v22, 7, v22
	v_cmp_gt_u32_e64 s[10:11], 8, v11
	v_cndmask_b32_e64 v11, v21, v14, s[10:11]
	v_cndmask_b32_e64 v14, v19, v22, s[10:11]
	v_lshlrev_b32_e32 v10, 16, v10
	v_bfrev_b32_e32 v19, 60
	v_lshlrev_b32_e32 v14, 20, v14
	v_and_b32_e32 v10, 0x80000000, v10
	v_lshl_add_u32 v11, v11, 23, v19
	v_or3_b32 v10, v10, v11, v14
	v_lshrrev_b32_e32 v19, 16, v10
.LBB796_674:
	s_or_b64 exec, exec, s[26:27]
.LBB796_675:
	s_or_b64 exec, exec, s[24:25]
.LBB796_676:
	s_or_b64 exec, exec, s[12:13]
	s_movk_i32 s10, 0xff
	v_and_b32_sdwa v21, v13, s10 dst_sel:DWORD dst_unused:UNUSED_PAD src0_sel:WORD_1 src1_sel:DWORD
	v_lshrrev_b32_e32 v10, 16, v13
	v_cmp_ne_u16_e64 s[10:11], 0, v21
	v_mov_b32_e32 v11, 0
	v_mov_b32_e32 v14, 0
	s_and_saveexec_b64 s[12:13], s[10:11]
	s_cbranch_execz .LBB796_682
; %bb.677:
	s_movk_i32 s10, 0x80
	v_cmp_ne_u16_e64 s[10:11], s10, v21
	v_mov_b32_e32 v14, 0xffff8000
	s_and_saveexec_b64 s[24:25], s[10:11]
	s_cbranch_execz .LBB796_681
; %bb.678:
	v_bfe_u32 v21, v13, 16, 7
	s_movk_i32 s10, 0x7f
	v_cmp_ne_u32_e64 s[10:11], s10, v21
	v_mov_b32_e32 v14, 0x7f80
	s_and_saveexec_b64 s[26:27], s[10:11]
	s_cbranch_execz .LBB796_680
; %bb.679:
	v_and_b32_e32 v14, 7, v10
	v_ffbh_u32_e32 v22, v14
	v_min_u32_e32 v25, 32, v22
	v_subrev_u32_e32 v22, 28, v25
	v_lshlrev_b64 v[22:23], v22, v[10:11]
	v_lshrrev_b32_e32 v24, 3, v21
	v_sub_u32_e32 v10, 29, v25
	v_and_b32_e32 v22, 7, v22
	v_cmp_gt_u32_e64 s[10:11], 8, v21
	v_mov_b32_e32 v21, 24
	v_cndmask_b32_e64 v10, v24, v10, s[10:11]
	v_cndmask_b32_e64 v14, v14, v22, s[10:11]
	v_lshlrev_b32_sdwa v21, v21, v13 dst_sel:DWORD dst_unused:UNUSED_PAD src0_sel:DWORD src1_sel:WORD_1
	v_bfrev_b32_e32 v22, 60
	v_lshlrev_b32_e32 v14, 20, v14
	v_and_b32_e32 v21, 0x80000000, v21
	v_lshl_add_u32 v10, v10, 23, v22
	v_or3_b32 v10, v21, v10, v14
	v_lshrrev_b32_e32 v14, 16, v10
.LBB796_680:
	s_or_b64 exec, exec, s[26:27]
.LBB796_681:
	s_or_b64 exec, exec, s[24:25]
.LBB796_682:
	s_or_b64 exec, exec, s[12:13]
	s_mov_b32 s10, -1
	s_mov_b32 s11, 0xffffff
	v_cmp_lt_u64_e64 s[10:11], s[10:11], v[12:13]
	s_and_saveexec_b64 s[12:13], s[10:11]
	s_cbranch_execz .LBB796_688
; %bb.683:
	v_lshrrev_b32_e32 v10, 24, v13
	s_movk_i32 s10, 0x80
	v_cmp_ne_u32_e64 s[10:11], s10, v10
	v_mov_b32_e32 v11, 0xffff8000
	s_and_saveexec_b64 s[24:25], s[10:11]
	s_cbranch_execz .LBB796_687
; %bb.684:
	v_bfe_u32 v12, v13, 24, 7
	s_movk_i32 s10, 0x7f
	v_cmp_ne_u32_e64 s[10:11], s10, v12
	v_mov_b32_e32 v11, 0x7f80
	s_and_saveexec_b64 s[26:27], s[10:11]
	s_cbranch_execz .LBB796_686
; %bb.685:
	v_and_b32_e32 v11, 7, v10
	v_ffbh_u32_e32 v21, v11
	v_min_u32_e32 v21, 32, v21
	v_subrev_u32_e32 v22, 28, v21
	v_lshlrev_b64 v[22:23], v22, v[10:11]
	v_lshrrev_b32_e32 v13, 3, v12
	v_sub_u32_e32 v21, 29, v21
	v_and_b32_e32 v22, 7, v22
	v_cmp_gt_u32_e64 s[10:11], 8, v12
	v_cndmask_b32_e64 v12, v13, v21, s[10:11]
	v_cndmask_b32_e64 v11, v11, v22, s[10:11]
	v_lshlrev_b32_e32 v10, 24, v10
	v_bfrev_b32_e32 v13, 60
	v_lshlrev_b32_e32 v11, 20, v11
	v_and_b32_e32 v10, 0x80000000, v10
	v_lshl_add_u32 v12, v12, 23, v13
	v_or3_b32 v10, v10, v12, v11
	v_lshrrev_b32_e32 v11, 16, v10
.LBB796_686:
	s_or_b64 exec, exec, s[26:27]
.LBB796_687:
	s_or_b64 exec, exec, s[24:25]
.LBB796_688:
	s_or_b64 exec, exec, s[12:13]
	s_mov_b32 s10, 0x5040100
	v_perm_b32 v13, v18, v17, s10
	v_perm_b32 v12, v15, v16, s10
	;; [unrolled: 1-line block ×4, first 2 shown]
	v_mfma_f32_4x4x4bf16_1k a[0:3], v[2:3], v[12:13], a[0:3] cbsz:4 abid:13
	v_mov_b32_e32 v13, 0
	v_mfma_f32_4x4x4bf16_1k a[0:3], v[4:5], v[10:11], a[0:3] cbsz:4 abid:13
	v_cmp_ne_u16_sdwa s[10:11], v6, v13 src0_sel:BYTE_0 src1_sel:DWORD
	v_mov_b32_e32 v14, 0
	s_and_saveexec_b64 s[12:13], s[10:11]
	s_cbranch_execz .LBB796_694
; %bb.689:
	s_movk_i32 s10, 0x80
	v_cmp_ne_u16_sdwa s[10:11], v6, s10 src0_sel:BYTE_0 src1_sel:DWORD
	v_mov_b32_e32 v14, 0xffff8000
	s_and_saveexec_b64 s[24:25], s[10:11]
	s_cbranch_execz .LBB796_693
; %bb.690:
	s_movk_i32 s10, 0x7f
	v_and_b32_e32 v10, 0x7f, v6
	v_cmp_ne_u32_e64 s[10:11], s10, v10
	v_mov_b32_e32 v14, 0x7f80
	s_and_saveexec_b64 s[26:27], s[10:11]
	s_cbranch_execz .LBB796_692
; %bb.691:
	v_and_b32_e32 v11, 7, v6
	v_ffbh_u32_e32 v11, v11
	v_min_u32_e32 v11, 32, v11
	v_subrev_u32_e32 v14, 28, v11
	v_cmp_gt_u32_e64 s[10:11], 8, v10
	v_lshrrev_b32_e32 v12, 3, v10
	v_sub_u32_e32 v11, 29, v11
	v_cndmask_b32_e64 v10, 0, v14, s[10:11]
	v_cndmask_b32_e64 v12, v12, v11, s[10:11]
	v_lshlrev_b64 v[10:11], v10, v[6:7]
	v_lshlrev_b32_e32 v10, 20, v10
	v_lshlrev_b32_e32 v11, 24, v6
	v_bfrev_b32_e32 v14, 60
	v_and_b32_e32 v10, 0x700000, v10
	v_and_b32_e32 v11, 0x80000000, v11
	v_lshl_add_u32 v12, v12, 23, v14
	v_or3_b32 v10, v11, v12, v10
	v_lshrrev_b32_e32 v14, 16, v10
.LBB796_692:
	s_or_b64 exec, exec, s[26:27]
.LBB796_693:
	s_or_b64 exec, exec, s[24:25]
.LBB796_694:
	s_or_b64 exec, exec, s[12:13]
	v_lshrrev_b16_e32 v10, 8, v6
	v_cmp_ne_u16_e64 s[10:11], 0, v10
	s_and_saveexec_b64 s[12:13], s[10:11]
	s_cbranch_execz .LBB796_700
; %bb.695:
	s_movk_i32 s10, 0x80
	v_cmp_ne_u16_e64 s[10:11], s10, v10
	v_mov_b32_e32 v13, 0xffff8000
	s_and_saveexec_b64 s[24:25], s[10:11]
	s_cbranch_execz .LBB796_699
; %bb.696:
	s_movk_i32 s10, 0x7f
	v_and_b32_e32 v11, 0x7f, v10
	v_cmp_ne_u32_e64 s[10:11], s10, v11
	v_mov_b32_e32 v13, 0x7f80
	s_and_saveexec_b64 s[26:27], s[10:11]
	s_cbranch_execz .LBB796_698
; %bb.697:
	v_and_b32_e32 v15, 7, v10
	v_ffbh_u32_e32 v12, v15
	v_min_u32_e32 v17, 32, v12
	v_subrev_u32_e32 v12, 28, v17
	v_lshlrev_b64 v[12:13], v12, v[10:11]
	v_lshrrev_b32_e32 v16, 3, v11
	v_sub_u32_e32 v10, 29, v17
	v_and_b32_e32 v12, 7, v12
	v_cmp_gt_u32_e64 s[10:11], 8, v11
	v_cndmask_b32_e64 v10, v16, v10, s[10:11]
	v_cndmask_b32_e64 v11, v15, v12, s[10:11]
	v_lshlrev_b32_e32 v12, 16, v6
	v_bfrev_b32_e32 v13, 60
	v_lshlrev_b32_e32 v11, 20, v11
	v_and_b32_e32 v12, 0x80000000, v12
	v_lshl_add_u32 v10, v10, 23, v13
	v_or3_b32 v10, v12, v10, v11
	v_lshrrev_b32_e32 v13, 16, v10
.LBB796_698:
	s_or_b64 exec, exec, s[26:27]
.LBB796_699:
	s_or_b64 exec, exec, s[24:25]
.LBB796_700:
	s_or_b64 exec, exec, s[12:13]
	s_movk_i32 s10, 0xff
	v_and_b32_sdwa v12, v6, s10 dst_sel:DWORD dst_unused:UNUSED_PAD src0_sel:WORD_1 src1_sel:DWORD
	v_lshrrev_b32_e32 v10, 16, v6
	v_cmp_ne_u16_e64 s[10:11], 0, v12
	v_mov_b32_e32 v11, 0
	v_mov_b32_e32 v15, 0
	s_and_saveexec_b64 s[12:13], s[10:11]
	s_cbranch_execz .LBB796_706
; %bb.701:
	s_movk_i32 s10, 0x80
	v_cmp_ne_u16_e64 s[10:11], s10, v12
	v_mov_b32_e32 v15, 0xffff8000
	s_and_saveexec_b64 s[24:25], s[10:11]
	s_cbranch_execz .LBB796_705
; %bb.702:
	v_bfe_u32 v12, v6, 16, 7
	s_movk_i32 s10, 0x7f
	v_cmp_ne_u32_e64 s[10:11], s10, v12
	v_mov_b32_e32 v15, 0x7f80
	s_and_saveexec_b64 s[26:27], s[10:11]
	s_cbranch_execz .LBB796_704
; %bb.703:
	v_and_b32_e32 v15, 7, v10
	v_ffbh_u32_e32 v16, v15
	v_min_u32_e32 v19, 32, v16
	v_subrev_u32_e32 v16, 28, v19
	v_lshlrev_b64 v[16:17], v16, v[10:11]
	v_and_b32_e32 v16, 7, v16
	v_cmp_gt_u32_e64 s[10:11], 8, v12
	v_lshrrev_b32_e32 v18, 3, v12
	v_sub_u32_e32 v10, 29, v19
	v_cndmask_b32_e64 v12, v15, v16, s[10:11]
	v_mov_b32_e32 v15, 24
	v_cndmask_b32_e64 v10, v18, v10, s[10:11]
	v_lshlrev_b32_sdwa v15, v15, v6 dst_sel:DWORD dst_unused:UNUSED_PAD src0_sel:DWORD src1_sel:WORD_1
	v_bfrev_b32_e32 v16, 60
	v_lshlrev_b32_e32 v12, 20, v12
	v_and_b32_e32 v15, 0x80000000, v15
	v_lshl_add_u32 v10, v10, 23, v16
	v_or3_b32 v10, v15, v10, v12
	v_lshrrev_b32_e32 v15, 16, v10
.LBB796_704:
	s_or_b64 exec, exec, s[26:27]
.LBB796_705:
	s_or_b64 exec, exec, s[24:25]
.LBB796_706:
	s_or_b64 exec, exec, s[12:13]
	s_mov_b32 s10, 0xffffff
	v_cmp_lt_u32_e64 s[10:11], s10, v6
	v_mov_b32_e32 v16, 0
	s_and_saveexec_b64 s[12:13], s[10:11]
	s_cbranch_execz .LBB796_712
; %bb.707:
	v_lshrrev_b32_e32 v10, 24, v6
	s_movk_i32 s10, 0x80
	v_cmp_ne_u32_e64 s[10:11], s10, v10
	v_mov_b32_e32 v16, 0xffff8000
	s_and_saveexec_b64 s[24:25], s[10:11]
	s_cbranch_execz .LBB796_711
; %bb.708:
	v_bfe_u32 v12, v6, 24, 7
	s_movk_i32 s10, 0x7f
	v_cmp_ne_u32_e64 s[10:11], s10, v12
	v_mov_b32_e32 v16, 0x7f80
	s_and_saveexec_b64 s[26:27], s[10:11]
	s_cbranch_execz .LBB796_710
; %bb.709:
	v_and_b32_e32 v18, 7, v10
	v_ffbh_u32_e32 v16, v18
	v_min_u32_e32 v20, 32, v16
	v_subrev_u32_e32 v16, 28, v20
	v_lshlrev_b64 v[16:17], v16, v[10:11]
	v_lshrrev_b32_e32 v19, 3, v12
	v_sub_u32_e32 v17, 29, v20
	v_and_b32_e32 v16, 7, v16
	v_cmp_gt_u32_e64 s[10:11], 8, v12
	v_cndmask_b32_e64 v12, v19, v17, s[10:11]
	v_cndmask_b32_e64 v16, v18, v16, s[10:11]
	v_lshlrev_b32_e32 v10, 24, v10
	v_bfrev_b32_e32 v17, 60
	v_lshlrev_b32_e32 v16, 20, v16
	v_and_b32_e32 v10, 0x80000000, v10
	v_lshl_add_u32 v12, v12, 23, v17
	v_or3_b32 v10, v10, v12, v16
	v_lshrrev_b32_e32 v16, 16, v10
.LBB796_710:
	s_or_b64 exec, exec, s[26:27]
.LBB796_711:
	s_or_b64 exec, exec, s[24:25]
.LBB796_712:
	s_or_b64 exec, exec, s[12:13]
	v_mov_b32_e32 v17, 0
	v_mov_b32_e32 v10, v7
	v_cmp_ne_u16_sdwa s[10:11], v7, v17 src0_sel:BYTE_0 src1_sel:DWORD
	v_mov_b32_e32 v18, 0
	s_and_saveexec_b64 s[12:13], s[10:11]
	s_cbranch_execz .LBB796_718
; %bb.713:
	s_movk_i32 s10, 0x80
	v_cmp_ne_u16_sdwa s[10:11], v7, s10 src0_sel:BYTE_0 src1_sel:DWORD
	v_mov_b32_e32 v18, 0xffff8000
	s_and_saveexec_b64 s[24:25], s[10:11]
	s_cbranch_execz .LBB796_717
; %bb.714:
	s_movk_i32 s10, 0x7f
	v_and_b32_e32 v12, 0x7f, v7
	v_cmp_ne_u32_e64 s[10:11], s10, v12
	v_mov_b32_e32 v18, 0x7f80
	s_and_saveexec_b64 s[26:27], s[10:11]
	s_cbranch_execz .LBB796_716
; %bb.715:
	v_and_b32_e32 v18, 7, v7
	v_ffbh_u32_e32 v18, v18
	v_min_u32_e32 v18, 32, v18
	v_lshrrev_b32_e32 v19, 3, v12
	v_subrev_u32_e32 v20, 28, v18
	v_sub_u32_e32 v18, 29, v18
	v_cmp_gt_u32_e64 s[10:11], 8, v12
	v_cndmask_b32_e64 v12, v19, v18, s[10:11]
	v_cndmask_b32_e64 v18, 0, v20, s[10:11]
	v_lshlrev_b64 v[18:19], v18, v[10:11]
	v_lshlrev_b32_e32 v11, 20, v18
	v_lshlrev_b32_e32 v18, 24, v10
	v_bfrev_b32_e32 v19, 60
	v_and_b32_e32 v11, 0x700000, v11
	v_and_b32_e32 v18, 0x80000000, v18
	v_lshl_add_u32 v12, v12, 23, v19
	v_or3_b32 v11, v18, v12, v11
	v_lshrrev_b32_e32 v18, 16, v11
.LBB796_716:
	s_or_b64 exec, exec, s[26:27]
.LBB796_717:
	s_or_b64 exec, exec, s[24:25]
.LBB796_718:
	s_or_b64 exec, exec, s[12:13]
	v_lshrrev_b16_e32 v12, 8, v10
	v_cmp_ne_u16_e64 s[10:11], 0, v12
	s_and_saveexec_b64 s[12:13], s[10:11]
	s_cbranch_execz .LBB796_724
; %bb.719:
	s_movk_i32 s10, 0x80
	v_cmp_ne_u16_e64 s[10:11], s10, v12
	v_mov_b32_e32 v17, 0xffff8000
	s_and_saveexec_b64 s[24:25], s[10:11]
	s_cbranch_execz .LBB796_723
; %bb.720:
	s_movk_i32 s10, 0x7f
	v_and_b32_e32 v11, 0x7f, v12
	v_cmp_ne_u32_e64 s[10:11], s10, v11
	v_mov_b32_e32 v17, 0x7f80
	s_and_saveexec_b64 s[26:27], s[10:11]
	s_cbranch_execz .LBB796_722
; %bb.721:
	v_and_b32_e32 v17, 7, v12
	v_ffbh_u32_e32 v20, v17
	v_min_u32_e32 v22, 32, v20
	v_subrev_u32_e32 v20, 28, v22
	v_lshlrev_b64 v[20:21], v20, v[12:13]
	v_lshrrev_b32_e32 v19, 3, v11
	v_sub_u32_e32 v12, 29, v22
	v_and_b32_e32 v20, 7, v20
	v_cmp_gt_u32_e64 s[10:11], 8, v11
	v_cndmask_b32_e64 v11, v19, v12, s[10:11]
	v_cndmask_b32_e64 v12, v17, v20, s[10:11]
	v_lshlrev_b32_e32 v10, 16, v10
	v_bfrev_b32_e32 v17, 60
	v_lshlrev_b32_e32 v12, 20, v12
	v_and_b32_e32 v10, 0x80000000, v10
	v_lshl_add_u32 v11, v11, 23, v17
	v_or3_b32 v10, v10, v11, v12
	v_lshrrev_b32_e32 v17, 16, v10
.LBB796_722:
	s_or_b64 exec, exec, s[26:27]
.LBB796_723:
	s_or_b64 exec, exec, s[24:25]
.LBB796_724:
	s_or_b64 exec, exec, s[12:13]
	s_movk_i32 s10, 0xff
	v_and_b32_sdwa v19, v7, s10 dst_sel:DWORD dst_unused:UNUSED_PAD src0_sel:WORD_1 src1_sel:DWORD
	v_lshrrev_b32_e32 v10, 16, v7
	v_cmp_ne_u16_e64 s[10:11], 0, v19
	v_mov_b32_e32 v11, 0
	v_mov_b32_e32 v12, 0
	s_and_saveexec_b64 s[12:13], s[10:11]
	s_cbranch_execz .LBB796_730
; %bb.725:
	s_movk_i32 s10, 0x80
	v_cmp_ne_u16_e64 s[10:11], s10, v19
	v_mov_b32_e32 v12, 0xffff8000
	s_and_saveexec_b64 s[24:25], s[10:11]
	s_cbranch_execz .LBB796_729
; %bb.726:
	v_bfe_u32 v19, v7, 16, 7
	s_movk_i32 s10, 0x7f
	v_cmp_ne_u32_e64 s[10:11], s10, v19
	v_mov_b32_e32 v12, 0x7f80
	s_and_saveexec_b64 s[26:27], s[10:11]
	s_cbranch_execz .LBB796_728
; %bb.727:
	v_and_b32_e32 v12, 7, v10
	v_ffbh_u32_e32 v20, v12
	v_min_u32_e32 v23, 32, v20
	v_subrev_u32_e32 v20, 28, v23
	v_lshlrev_b64 v[20:21], v20, v[10:11]
	v_lshrrev_b32_e32 v22, 3, v19
	v_sub_u32_e32 v10, 29, v23
	v_and_b32_e32 v20, 7, v20
	v_cmp_gt_u32_e64 s[10:11], 8, v19
	v_mov_b32_e32 v19, 24
	v_cndmask_b32_e64 v10, v22, v10, s[10:11]
	v_cndmask_b32_e64 v12, v12, v20, s[10:11]
	v_lshlrev_b32_sdwa v19, v19, v7 dst_sel:DWORD dst_unused:UNUSED_PAD src0_sel:DWORD src1_sel:WORD_1
	v_bfrev_b32_e32 v20, 60
	v_lshlrev_b32_e32 v12, 20, v12
	v_and_b32_e32 v19, 0x80000000, v19
	v_lshl_add_u32 v10, v10, 23, v20
	v_or3_b32 v10, v19, v10, v12
	v_lshrrev_b32_e32 v12, 16, v10
.LBB796_728:
	s_or_b64 exec, exec, s[26:27]
.LBB796_729:
	s_or_b64 exec, exec, s[24:25]
.LBB796_730:
	s_or_b64 exec, exec, s[12:13]
	s_mov_b32 s10, -1
	s_mov_b32 s11, 0xffffff
	v_cmp_lt_u64_e64 s[10:11], s[10:11], v[6:7]
	s_and_saveexec_b64 s[12:13], s[10:11]
	s_cbranch_execz .LBB796_736
; %bb.731:
	v_lshrrev_b32_e32 v6, 24, v7
	s_movk_i32 s10, 0x80
	v_cmp_ne_u32_e64 s[10:11], s10, v6
	v_mov_b32_e32 v11, 0xffff8000
	s_and_saveexec_b64 s[24:25], s[10:11]
	s_cbranch_execz .LBB796_735
; %bb.732:
	v_bfe_u32 v7, v7, 24, 7
	s_movk_i32 s10, 0x7f
	v_cmp_ne_u32_e64 s[10:11], s10, v7
	v_mov_b32_e32 v11, 0x7f80
	s_and_saveexec_b64 s[26:27], s[10:11]
	s_cbranch_execz .LBB796_734
; %bb.733:
	v_and_b32_e32 v19, 7, v6
	v_ffbh_u32_e32 v10, v19
	v_min_u32_e32 v21, 32, v10
	v_subrev_u32_e32 v10, 28, v21
	v_lshlrev_b64 v[10:11], v10, v[6:7]
	v_lshrrev_b32_e32 v20, 3, v7
	v_sub_u32_e32 v11, 29, v21
	v_and_b32_e32 v10, 7, v10
	v_cmp_gt_u32_e64 s[10:11], 8, v7
	v_cndmask_b32_e64 v7, v20, v11, s[10:11]
	v_cndmask_b32_e64 v10, v19, v10, s[10:11]
	v_lshlrev_b32_e32 v6, 24, v6
	v_bfrev_b32_e32 v11, 60
	v_lshlrev_b32_e32 v10, 20, v10
	v_and_b32_e32 v6, 0x80000000, v6
	v_lshl_add_u32 v7, v7, 23, v11
	v_or3_b32 v6, v6, v7, v10
	v_lshrrev_b32_e32 v11, 16, v6
.LBB796_734:
	s_or_b64 exec, exec, s[26:27]
.LBB796_735:
	s_or_b64 exec, exec, s[24:25]
.LBB796_736:
	s_or_b64 exec, exec, s[12:13]
	s_mov_b32 s10, 0x5040100
	v_perm_b32 v7, v16, v15, s10
	v_perm_b32 v6, v13, v14, s10
	;; [unrolled: 1-line block ×4, first 2 shown]
	v_mfma_f32_4x4x4bf16_1k a[0:3], v[2:3], v[6:7], a[0:3] cbsz:4 abid:14
	v_mov_b32_e32 v12, 0
	v_mfma_f32_4x4x4bf16_1k a[0:3], v[4:5], v[10:11], a[0:3] cbsz:4 abid:14
	v_mov_b32_e32 v11, 0
	v_cmp_ne_u16_sdwa s[10:11], v8, v11 src0_sel:BYTE_0 src1_sel:DWORD
	s_and_saveexec_b64 s[12:13], s[10:11]
	s_cbranch_execz .LBB796_742
; %bb.737:
	s_movk_i32 s10, 0x80
	v_cmp_ne_u16_sdwa s[10:11], v8, s10 src0_sel:BYTE_0 src1_sel:DWORD
	v_mov_b32_e32 v12, 0xffff8000
	s_and_saveexec_b64 s[24:25], s[10:11]
	s_cbranch_execz .LBB796_741
; %bb.738:
	s_movk_i32 s10, 0x7f
	v_and_b32_e32 v6, 0x7f, v8
	v_cmp_ne_u32_e64 s[10:11], s10, v6
	v_mov_b32_e32 v12, 0x7f80
	s_and_saveexec_b64 s[26:27], s[10:11]
	s_cbranch_execz .LBB796_740
; %bb.739:
	v_and_b32_e32 v7, 7, v8
	v_ffbh_u32_e32 v7, v7
	v_min_u32_e32 v7, 32, v7
	v_subrev_u32_e32 v12, 28, v7
	v_cmp_gt_u32_e64 s[10:11], 8, v6
	v_lshrrev_b32_e32 v10, 3, v6
	v_sub_u32_e32 v7, 29, v7
	v_cndmask_b32_e64 v6, 0, v12, s[10:11]
	v_cndmask_b32_e64 v10, v10, v7, s[10:11]
	v_lshlrev_b64 v[6:7], v6, v[8:9]
	v_lshlrev_b32_e32 v6, 20, v6
	v_lshlrev_b32_e32 v7, 24, v8
	v_bfrev_b32_e32 v12, 60
	v_and_b32_e32 v6, 0x700000, v6
	v_and_b32_e32 v7, 0x80000000, v7
	v_lshl_add_u32 v10, v10, 23, v12
	v_or3_b32 v6, v7, v10, v6
	v_lshrrev_b32_e32 v12, 16, v6
.LBB796_740:
	s_or_b64 exec, exec, s[26:27]
.LBB796_741:
	s_or_b64 exec, exec, s[24:25]
.LBB796_742:
	s_or_b64 exec, exec, s[12:13]
	v_lshrrev_b16_e32 v6, 8, v8
	v_cmp_ne_u16_e64 s[10:11], 0, v6
	s_and_saveexec_b64 s[12:13], s[10:11]
	s_cbranch_execz .LBB796_748
; %bb.743:
	s_movk_i32 s10, 0x80
	v_cmp_ne_u16_e64 s[10:11], s10, v6
	v_mov_b32_e32 v11, 0xffff8000
	s_and_saveexec_b64 s[24:25], s[10:11]
	s_cbranch_execz .LBB796_747
; %bb.744:
	s_movk_i32 s10, 0x7f
	v_and_b32_e32 v7, 0x7f, v6
	v_cmp_ne_u32_e64 s[10:11], s10, v7
	v_mov_b32_e32 v11, 0x7f80
	s_and_saveexec_b64 s[26:27], s[10:11]
	s_cbranch_execz .LBB796_746
; %bb.745:
	v_and_b32_e32 v13, 7, v6
	v_ffbh_u32_e32 v10, v13
	v_min_u32_e32 v15, 32, v10
	v_subrev_u32_e32 v10, 28, v15
	v_lshlrev_b64 v[10:11], v10, v[6:7]
	v_lshrrev_b32_e32 v14, 3, v7
	v_sub_u32_e32 v6, 29, v15
	v_and_b32_e32 v10, 7, v10
	v_cmp_gt_u32_e64 s[10:11], 8, v7
	v_cndmask_b32_e64 v6, v14, v6, s[10:11]
	v_cndmask_b32_e64 v7, v13, v10, s[10:11]
	v_lshlrev_b32_e32 v10, 16, v8
	v_bfrev_b32_e32 v11, 60
	v_lshlrev_b32_e32 v7, 20, v7
	v_and_b32_e32 v10, 0x80000000, v10
	v_lshl_add_u32 v6, v6, 23, v11
	v_or3_b32 v6, v10, v6, v7
	v_lshrrev_b32_e32 v11, 16, v6
.LBB796_746:
	s_or_b64 exec, exec, s[26:27]
.LBB796_747:
	s_or_b64 exec, exec, s[24:25]
.LBB796_748:
	s_or_b64 exec, exec, s[12:13]
	s_movk_i32 s10, 0xff
	v_and_b32_sdwa v10, v8, s10 dst_sel:DWORD dst_unused:UNUSED_PAD src0_sel:WORD_1 src1_sel:DWORD
	v_lshrrev_b32_e32 v6, 16, v8
	v_cmp_ne_u16_e64 s[10:11], 0, v10
	v_mov_b32_e32 v7, 0
	v_mov_b32_e32 v13, 0
	s_and_saveexec_b64 s[12:13], s[10:11]
	s_cbranch_execz .LBB796_754
; %bb.749:
	s_movk_i32 s10, 0x80
	v_cmp_ne_u16_e64 s[10:11], s10, v10
	v_mov_b32_e32 v13, 0xffff8000
	s_and_saveexec_b64 s[24:25], s[10:11]
	s_cbranch_execz .LBB796_753
; %bb.750:
	v_bfe_u32 v10, v8, 16, 7
	s_movk_i32 s10, 0x7f
	v_cmp_ne_u32_e64 s[10:11], s10, v10
	v_mov_b32_e32 v13, 0x7f80
	s_and_saveexec_b64 s[26:27], s[10:11]
	s_cbranch_execz .LBB796_752
; %bb.751:
	v_and_b32_e32 v13, 7, v6
	v_ffbh_u32_e32 v14, v13
	v_min_u32_e32 v17, 32, v14
	v_subrev_u32_e32 v14, 28, v17
	v_lshlrev_b64 v[14:15], v14, v[6:7]
	v_and_b32_e32 v14, 7, v14
	v_cmp_gt_u32_e64 s[10:11], 8, v10
	v_lshrrev_b32_e32 v16, 3, v10
	v_sub_u32_e32 v6, 29, v17
	v_cndmask_b32_e64 v10, v13, v14, s[10:11]
	v_mov_b32_e32 v13, 24
	v_cndmask_b32_e64 v6, v16, v6, s[10:11]
	v_lshlrev_b32_sdwa v13, v13, v8 dst_sel:DWORD dst_unused:UNUSED_PAD src0_sel:DWORD src1_sel:WORD_1
	v_bfrev_b32_e32 v14, 60
	v_lshlrev_b32_e32 v10, 20, v10
	v_and_b32_e32 v13, 0x80000000, v13
	v_lshl_add_u32 v6, v6, 23, v14
	v_or3_b32 v6, v13, v6, v10
	v_lshrrev_b32_e32 v13, 16, v6
.LBB796_752:
	s_or_b64 exec, exec, s[26:27]
.LBB796_753:
	s_or_b64 exec, exec, s[24:25]
.LBB796_754:
	s_or_b64 exec, exec, s[12:13]
	s_mov_b32 s10, 0xffffff
	v_cmp_lt_u32_e64 s[10:11], s10, v8
	v_mov_b32_e32 v14, 0
	s_and_saveexec_b64 s[12:13], s[10:11]
	s_cbranch_execz .LBB796_760
; %bb.755:
	v_lshrrev_b32_e32 v6, 24, v8
	s_movk_i32 s10, 0x80
	v_cmp_ne_u32_e64 s[10:11], s10, v6
	v_mov_b32_e32 v14, 0xffff8000
	s_and_saveexec_b64 s[24:25], s[10:11]
	s_cbranch_execz .LBB796_759
; %bb.756:
	v_bfe_u32 v10, v8, 24, 7
	s_movk_i32 s10, 0x7f
	v_cmp_ne_u32_e64 s[10:11], s10, v10
	v_mov_b32_e32 v14, 0x7f80
	s_and_saveexec_b64 s[26:27], s[10:11]
	s_cbranch_execz .LBB796_758
; %bb.757:
	v_and_b32_e32 v16, 7, v6
	v_ffbh_u32_e32 v14, v16
	v_min_u32_e32 v18, 32, v14
	v_subrev_u32_e32 v14, 28, v18
	v_lshlrev_b64 v[14:15], v14, v[6:7]
	v_lshrrev_b32_e32 v17, 3, v10
	v_sub_u32_e32 v15, 29, v18
	v_and_b32_e32 v14, 7, v14
	v_cmp_gt_u32_e64 s[10:11], 8, v10
	v_cndmask_b32_e64 v10, v17, v15, s[10:11]
	v_cndmask_b32_e64 v14, v16, v14, s[10:11]
	v_lshlrev_b32_e32 v6, 24, v6
	v_bfrev_b32_e32 v15, 60
	v_lshlrev_b32_e32 v14, 20, v14
	v_and_b32_e32 v6, 0x80000000, v6
	v_lshl_add_u32 v10, v10, 23, v15
	v_or3_b32 v6, v6, v10, v14
	v_lshrrev_b32_e32 v14, 16, v6
.LBB796_758:
	s_or_b64 exec, exec, s[26:27]
.LBB796_759:
	s_or_b64 exec, exec, s[24:25]
.LBB796_760:
	s_or_b64 exec, exec, s[12:13]
	v_mov_b32_e32 v15, 0
	v_mov_b32_e32 v6, v9
	v_cmp_ne_u16_sdwa s[10:11], v9, v15 src0_sel:BYTE_0 src1_sel:DWORD
	v_mov_b32_e32 v16, 0
	s_and_saveexec_b64 s[12:13], s[10:11]
	s_cbranch_execz .LBB796_766
; %bb.761:
	s_movk_i32 s10, 0x80
	v_cmp_ne_u16_sdwa s[10:11], v9, s10 src0_sel:BYTE_0 src1_sel:DWORD
	v_mov_b32_e32 v16, 0xffff8000
	s_and_saveexec_b64 s[24:25], s[10:11]
	s_cbranch_execz .LBB796_765
; %bb.762:
	s_movk_i32 s10, 0x7f
	v_and_b32_e32 v10, 0x7f, v9
	v_cmp_ne_u32_e64 s[10:11], s10, v10
	v_mov_b32_e32 v16, 0x7f80
	s_and_saveexec_b64 s[26:27], s[10:11]
	s_cbranch_execz .LBB796_764
; %bb.763:
	v_and_b32_e32 v16, 7, v9
	v_ffbh_u32_e32 v16, v16
	v_min_u32_e32 v16, 32, v16
	v_lshrrev_b32_e32 v17, 3, v10
	v_subrev_u32_e32 v18, 28, v16
	v_sub_u32_e32 v16, 29, v16
	v_cmp_gt_u32_e64 s[10:11], 8, v10
	v_cndmask_b32_e64 v10, v17, v16, s[10:11]
	v_cndmask_b32_e64 v16, 0, v18, s[10:11]
	v_lshlrev_b64 v[16:17], v16, v[6:7]
	v_lshlrev_b32_e32 v7, 20, v16
	v_lshlrev_b32_e32 v16, 24, v6
	v_bfrev_b32_e32 v17, 60
	v_and_b32_e32 v7, 0x700000, v7
	v_and_b32_e32 v16, 0x80000000, v16
	v_lshl_add_u32 v10, v10, 23, v17
	v_or3_b32 v7, v16, v10, v7
	v_lshrrev_b32_e32 v16, 16, v7
.LBB796_764:
	s_or_b64 exec, exec, s[26:27]
.LBB796_765:
	s_or_b64 exec, exec, s[24:25]
.LBB796_766:
	s_or_b64 exec, exec, s[12:13]
	v_lshrrev_b16_e32 v10, 8, v6
	v_cmp_ne_u16_e64 s[10:11], 0, v10
	s_and_saveexec_b64 s[12:13], s[10:11]
	s_cbranch_execz .LBB796_772
; %bb.767:
	s_movk_i32 s10, 0x80
	v_cmp_ne_u16_e64 s[10:11], s10, v10
	v_mov_b32_e32 v15, 0xffff8000
	s_and_saveexec_b64 s[24:25], s[10:11]
	s_cbranch_execz .LBB796_771
; %bb.768:
	s_movk_i32 s10, 0x7f
	v_and_b32_e32 v7, 0x7f, v10
	v_cmp_ne_u32_e64 s[10:11], s10, v7
	v_mov_b32_e32 v15, 0x7f80
	s_and_saveexec_b64 s[26:27], s[10:11]
	s_cbranch_execz .LBB796_770
; %bb.769:
	v_and_b32_e32 v15, 7, v10
	v_ffbh_u32_e32 v18, v15
	v_min_u32_e32 v20, 32, v18
	v_subrev_u32_e32 v18, 28, v20
	v_lshlrev_b64 v[18:19], v18, v[10:11]
	v_lshrrev_b32_e32 v17, 3, v7
	v_sub_u32_e32 v10, 29, v20
	v_and_b32_e32 v18, 7, v18
	v_cmp_gt_u32_e64 s[10:11], 8, v7
	v_cndmask_b32_e64 v7, v17, v10, s[10:11]
	v_cndmask_b32_e64 v10, v15, v18, s[10:11]
	v_lshlrev_b32_e32 v6, 16, v6
	v_bfrev_b32_e32 v15, 60
	v_lshlrev_b32_e32 v10, 20, v10
	v_and_b32_e32 v6, 0x80000000, v6
	v_lshl_add_u32 v7, v7, 23, v15
	v_or3_b32 v6, v6, v7, v10
	v_lshrrev_b32_e32 v15, 16, v6
.LBB796_770:
	s_or_b64 exec, exec, s[26:27]
.LBB796_771:
	s_or_b64 exec, exec, s[24:25]
.LBB796_772:
	s_or_b64 exec, exec, s[12:13]
	s_movk_i32 s10, 0xff
	v_and_b32_sdwa v17, v9, s10 dst_sel:DWORD dst_unused:UNUSED_PAD src0_sel:WORD_1 src1_sel:DWORD
	v_lshrrev_b32_e32 v6, 16, v9
	v_cmp_ne_u16_e64 s[10:11], 0, v17
	v_mov_b32_e32 v7, 0
	v_mov_b32_e32 v10, 0
	s_and_saveexec_b64 s[12:13], s[10:11]
	s_cbranch_execz .LBB796_778
; %bb.773:
	s_movk_i32 s10, 0x80
	v_cmp_ne_u16_e64 s[10:11], s10, v17
	v_mov_b32_e32 v10, 0xffff8000
	s_and_saveexec_b64 s[24:25], s[10:11]
	s_cbranch_execz .LBB796_777
; %bb.774:
	v_bfe_u32 v17, v9, 16, 7
	s_movk_i32 s10, 0x7f
	v_cmp_ne_u32_e64 s[10:11], s10, v17
	v_mov_b32_e32 v10, 0x7f80
	s_and_saveexec_b64 s[26:27], s[10:11]
	s_cbranch_execz .LBB796_776
; %bb.775:
	v_and_b32_e32 v10, 7, v6
	v_ffbh_u32_e32 v18, v10
	v_min_u32_e32 v21, 32, v18
	v_subrev_u32_e32 v18, 28, v21
	v_lshlrev_b64 v[18:19], v18, v[6:7]
	v_lshrrev_b32_e32 v20, 3, v17
	v_sub_u32_e32 v6, 29, v21
	v_and_b32_e32 v18, 7, v18
	v_cmp_gt_u32_e64 s[10:11], 8, v17
	v_mov_b32_e32 v17, 24
	v_cndmask_b32_e64 v6, v20, v6, s[10:11]
	v_cndmask_b32_e64 v10, v10, v18, s[10:11]
	v_lshlrev_b32_sdwa v17, v17, v9 dst_sel:DWORD dst_unused:UNUSED_PAD src0_sel:DWORD src1_sel:WORD_1
	v_bfrev_b32_e32 v18, 60
	v_lshlrev_b32_e32 v10, 20, v10
	v_and_b32_e32 v17, 0x80000000, v17
	v_lshl_add_u32 v6, v6, 23, v18
	v_or3_b32 v6, v17, v6, v10
	v_lshrrev_b32_e32 v10, 16, v6
.LBB796_776:
	s_or_b64 exec, exec, s[26:27]
.LBB796_777:
	s_or_b64 exec, exec, s[24:25]
.LBB796_778:
	s_or_b64 exec, exec, s[12:13]
	s_mov_b32 s10, -1
	s_mov_b32 s11, 0xffffff
	v_cmp_lt_u64_e64 s[10:11], s[10:11], v[8:9]
	s_and_saveexec_b64 s[12:13], s[10:11]
	s_cbranch_execz .LBB796_784
; %bb.779:
	v_lshrrev_b32_e32 v6, 24, v9
	s_movk_i32 s10, 0x80
	v_cmp_ne_u32_e64 s[10:11], s10, v6
	v_mov_b32_e32 v7, 0xffff8000
	s_and_saveexec_b64 s[24:25], s[10:11]
	s_cbranch_execz .LBB796_783
; %bb.780:
	v_bfe_u32 v8, v9, 24, 7
	s_movk_i32 s10, 0x7f
	v_cmp_ne_u32_e64 s[10:11], s10, v8
	v_mov_b32_e32 v7, 0x7f80
	s_and_saveexec_b64 s[26:27], s[10:11]
	s_cbranch_execz .LBB796_782
; %bb.781:
	v_and_b32_e32 v7, 7, v6
	v_ffbh_u32_e32 v17, v7
	v_min_u32_e32 v17, 32, v17
	v_subrev_u32_e32 v18, 28, v17
	v_lshlrev_b64 v[18:19], v18, v[6:7]
	v_lshrrev_b32_e32 v9, 3, v8
	v_sub_u32_e32 v17, 29, v17
	v_and_b32_e32 v18, 7, v18
	v_cmp_gt_u32_e64 s[10:11], 8, v8
	v_cndmask_b32_e64 v8, v9, v17, s[10:11]
	v_cndmask_b32_e64 v7, v7, v18, s[10:11]
	v_lshlrev_b32_e32 v6, 24, v6
	v_bfrev_b32_e32 v9, 60
	v_lshlrev_b32_e32 v7, 20, v7
	v_and_b32_e32 v6, 0x80000000, v6
	v_lshl_add_u32 v8, v8, 23, v9
	v_or3_b32 v6, v6, v8, v7
	v_lshrrev_b32_e32 v7, 16, v6
.LBB796_782:
	s_or_b64 exec, exec, s[26:27]
.LBB796_783:
	s_or_b64 exec, exec, s[24:25]
.LBB796_784:
	s_or_b64 exec, exec, s[12:13]
	s_load_dword s4, s[4:5], 0x1c
	s_mov_b32 s5, 0x5040100
	v_perm_b32 v9, v14, v13, s5
	v_perm_b32 v8, v11, v12, s5
	v_perm_b32 v7, v7, v10, s5
	v_perm_b32 v6, v15, v16, s5
	v_mfma_f32_4x4x4bf16_1k a[0:3], v[2:3], v[8:9], a[0:3] cbsz:4 abid:15
	s_load_dword s5, s[16:17], 0x0
	v_mfma_f32_4x4x4bf16_1k a[0:3], v[4:5], v[6:7], a[0:3] cbsz:4 abid:15
	s_waitcnt lgkmcnt(0)
	v_mov_b32_e32 v2, s4
	v_mov_b32_e32 v9, 0xff7fffff
	v_mul_f32_e32 v4, s5, v2
	v_cmp_eq_u32_e64 s[4:5], 0, v43
	v_accvgpr_read_b32 v7, a1
	v_accvgpr_read_b32 v6, a0
	v_pk_mul_f32 v[6:7], v[6:7], v[4:5] op_sel_hi:[1,0]
	v_accvgpr_read_b32 v3, a3
	v_accvgpr_read_b32 v2, a2
	v_pk_mul_f32 v[2:3], v[2:3], v[4:5] op_sel_hi:[1,0]
	v_cndmask_b32_e64 v4, 0, 1.0, s[4:5]
	v_cmp_eq_u32_e64 s[4:5], 1, v43
	s_nop 0
	v_mfma_f32_4x4x1f32 a[0:3], v6, v4, 0
	v_cndmask_b32_e64 v4, 0, 1.0, s[4:5]
	v_cmp_eq_u32_e64 s[4:5], 2, v43
	s_nop 0
	v_mfma_f32_4x4x1f32 a[0:3], v7, v4, a[0:3]
	v_cndmask_b32_e64 v4, 0, 1.0, s[4:5]
	s_nop 1
	v_mfma_f32_4x4x1f32 a[0:3], v2, v4, a[0:3]
	v_cndmask_b32_e64 v2, 0, 1.0, vcc
	s_nop 1
	v_mfma_f32_4x4x1f32 a[0:3], v3, v2, a[0:3]
	v_and_b32_e32 v2, -4, v44
	v_subrev_u32_e32 v3, s9, v2
	v_add_u32_e32 v4, 1, v3
	v_cvt_f32_i32_e32 v4, v4
	v_add_u32_e32 v5, 2, v3
	v_cvt_f32_i32_e32 v5, v5
	v_accvgpr_read_b32 v6, a0
	v_fma_f32 v4, v45, v4, v6
	v_accvgpr_read_b32 v6, a1
	v_fma_f32 v5, v45, v5, v6
	v_add_u32_e32 v6, 3, v3
	v_cvt_f32_i32_e32 v6, v6
	v_accvgpr_read_b32 v7, a2
	v_add_u32_e32 v3, 4, v3
	v_cmp_gt_i32_e32 vcc, s9, v2
	v_fma_f32 v7, v45, v6, v7
	v_max_f32_e32 v6, 0xff7fffff, v4
	v_cvt_f32_i32_e32 v3, v3
	v_cndmask_b32_e32 v6, v9, v6, vcc
	v_or_b32_e32 v9, 1, v2
	v_max_f32_e32 v10, v6, v5
	v_cmp_gt_i32_e64 s[4:5], s9, v9
	v_cndmask_b32_e64 v6, v6, v10, s[4:5]
	v_or_b32_e32 v2, 2, v2
	v_accvgpr_read_b32 v8, a3
	v_max_f32_e32 v9, v6, v7
	v_cmp_gt_i32_e64 s[10:11], s9, v2
	v_fmac_f32_e32 v8, v45, v3
	v_cndmask_b32_e64 v2, v6, v9, s[10:11]
	v_or_b32_e32 v6, 3, v44
	v_max_f32_e32 v9, v2, v8
	v_cmp_gt_i32_e64 s[12:13], s9, v6
	v_lshlrev_b32_e32 v3, 2, v0
	v_cndmask_b32_e64 v2, v2, v9, s[12:13]
	v_and_or_b32 v3, v3, 48, v43
	;;#ASMSTART
	v_nop
 v_nop
 v_max_f32_dpp v2, v2, v2 row_ror:4
	;;#ASMEND
	v_lshlrev_b32_e32 v9, 2, v3
	;;#ASMSTART
	v_nop
 v_nop
 v_max_f32_dpp v2, v2, v2 row_ror:8
	;;#ASMEND
	ds_bpermute_b32 v2, v9, v2
	s_waitcnt lgkmcnt(0)
	;;#ASMSTART
	v_nop
 v_nop
 v_max_f32_dpp v2, v2, v2 row_ror:4
	;;#ASMEND
	;;#ASMSTART
	v_nop
 v_nop
 v_max_f32_dpp v6, v2, v2 row_ror:8
	;;#ASMEND
	v_sub_f32_e32 v2, v4, v6
	v_mul_f32_e32 v2, 0x3fb8aa3b, v2
	v_sub_f32_e32 v3, v5, v6
	v_exp_f32_e32 v2, v2
	v_mul_f32_e32 v3, 0x3fb8aa3b, v3
	v_sub_f32_e32 v5, v7, v6
	v_exp_f32_e32 v3, v3
	;; [unrolled: 3-line block ×3, first 2 shown]
	v_mul_f32_e32 v7, 0x3fb8aa3b, v7
	v_exp_f32_e32 v7, v7
	v_cndmask_b32_e32 v2, 0, v2, vcc
	v_add_f32_e32 v4, 0, v2
	v_cndmask_b32_e64 v3, 0, v3, s[4:5]
	v_add_f32_e32 v8, v4, v3
	v_cndmask_b32_e64 v4, 0, v5, s[10:11]
	;; [unrolled: 2-line block ×3, first 2 shown]
	v_add_f32_e32 v7, v8, v5
	;;#ASMSTART
	v_nop
 v_nop
 v_add_f32_dpp v7, v7, v7 row_ror:4
	;;#ASMEND
	;;#ASMSTART
	v_nop
 v_nop
 v_add_f32_dpp v7, v7, v7 row_ror:8
	;;#ASMEND
	ds_bpermute_b32 v7, v9, v7
	s_waitcnt lgkmcnt(0)
	;;#ASMSTART
	v_nop
 v_nop
 v_add_f32_dpp v7, v7, v7 row_ror:4
	;;#ASMEND
	v_cmp_gt_u32_e32 vcc, 4, v1
	;;#ASMSTART
	v_nop
 v_nop
 v_add_f32_dpp v7, v7, v7 row_ror:8
	;;#ASMEND
	s_and_saveexec_b64 s[4:5], vcc
	s_cbranch_execz .LBB796_786
; %bb.785:
	v_mul_u32_u24_e32 v8, 20, v42
	v_lshl_add_u32 v8, v43, 2, v8
	v_add_u32_e32 v8, 0x1400, v8
	ds_write2_b32 v8, v6, v7 offset1:20
.LBB796_786:
	s_or_b64 exec, exec, s[4:5]
.LBB796_787:
	s_or_b64 exec, exec, s[34:35]
	s_waitcnt lgkmcnt(0)
	s_barrier
	s_load_dword s4, s[30:31], 0x8
	v_lshlrev_b32_e32 v7, 2, v43
	v_add_u32_e32 v7, 0x1400, v7
	ds_read2_b32 v[10:11], v7 offset1:5
	ds_read2_b32 v[12:13], v7 offset0:10 offset1:15
	s_mul_i32 s5, s8, s44
	s_waitcnt lgkmcnt(0)
	s_mul_i32 s4, s5, s4
	s_mov_b32 s5, 0xff7fffff
	v_max3_f32 v8, v10, s5, v11
	v_max3_f32 v8, v8, v12, v13
	v_sub_f32_e32 v9, v10, v8
	v_sub_f32_e32 v10, v11, v8
	ds_read2_b32 v[14:15], v7 offset0:20 offset1:25
	v_mul_f32_e32 v9, 0x3fb8aa3b, v9
	v_mul_f32_e32 v10, 0x3fb8aa3b, v10
	v_exp_f32_e32 v9, v9
	v_exp_f32_e32 v16, v10
	ds_read2_b32 v[10:11], v7 offset0:30 offset1:35
	v_sub_f32_e32 v7, v12, v8
	v_mul_f32_e32 v7, 0x3fb8aa3b, v7
	v_sub_f32_e32 v12, v13, v8
	v_exp_f32_e32 v7, v7
	v_mul_f32_e32 v12, 0x3fb8aa3b, v12
	v_exp_f32_e32 v12, v12
	s_waitcnt lgkmcnt(1)
	v_fma_f32 v9, v9, v14, 0
	v_fmac_f32_e32 v9, v16, v15
	s_waitcnt lgkmcnt(0)
	v_fmac_f32_e32 v9, v7, v10
	s_mul_i32 s4, s4, 3
	v_fmac_f32_e32 v9, v12, v11
	v_cmp_ne_u32_e32 vcc, 3, v43
	s_and_saveexec_b64 s[8:9], vcc
	s_cbranch_execz .LBB796_789
; %bb.788:
	s_mov_b32 s5, 0
	s_lshl_b64 s[10:11], s[4:5], 2
	s_add_u32 s16, s20, s10
	s_mov_b32 s15, s5
	s_addc_u32 s17, s21, s11
	s_lshl_b64 s[12:13], s[14:15], 2
	s_add_u32 s5, s16, s12
	s_addc_u32 s15, s17, s13
	v_add_u32_e32 v7, s33, v43
	s_add_u32 s10, s22, s10
	v_mul_lo_u32 v10, s44, v7
	v_mov_b32_e32 v11, 0
	s_addc_u32 s11, s23, s11
	v_lshlrev_b64 v[10:11], 2, v[10:11]
	s_add_u32 s10, s10, s12
	v_mov_b32_e32 v7, s15
	v_add_co_u32_e32 v12, vcc, s5, v10
	s_addc_u32 s11, s11, s13
	v_addc_co_u32_e32 v13, vcc, v7, v11, vcc
	v_mov_b32_e32 v7, s11
	v_add_co_u32_e32 v10, vcc, s10, v10
	v_addc_co_u32_e32 v11, vcc, v7, v11, vcc
	global_store_dword v[10:11], v8, off
	global_store_dword v[12:13], v9, off
.LBB796_789:
	s_or_b64 exec, exec, s[8:9]
	v_lshlrev_b32_e32 v7, 3, v42
	s_and_saveexec_b64 s[8:9], s[6:7]
	s_xor_b64 s[6:7], exec, s[8:9]
	s_cbranch_execz .LBB796_791
; %bb.790:
	s_mov_b32 s8, 0
	s_mov_b32 s9, s8
	v_mad_u32_u24 v4, v1, 40, v7
	v_pk_mov_b32 v[2:3], s[8:9], s[8:9] op_sel:[0,1]
	ds_write2st64_b64 v4, v[2:3], v[2:3] offset1:5
                                        ; implicit-def: $vgpr7
                                        ; implicit-def: $vgpr9
                                        ; implicit-def: $vgpr6
                                        ; implicit-def: $vgpr8
                                        ; implicit-def: $vgpr4
                                        ; implicit-def: $vgpr2
.LBB796_791:
	s_andn2_saveexec_b64 s[6:7], s[6:7]
	s_cbranch_execz .LBB796_1178
; %bb.792:
	v_add_f32_e32 v9, 0x358637bd, v9
	v_div_scale_f32 v10, s[8:9], v9, v9, 1.0
	v_rcp_f32_e32 v11, v10
	v_div_scale_f32 v12, vcc, 1.0, v9, 1.0
	v_sub_f32_e32 v6, v6, v8
	v_fma_f32 v13, -v10, v11, 1.0
	v_fmac_f32_e32 v11, v13, v11
	v_mul_f32_e32 v13, v12, v11
	v_fma_f32 v14, -v10, v13, v12
	v_mul_f32_e32 v6, 0x3fb8aa3b, v6
	v_fmac_f32_e32 v13, v14, v11
	v_exp_f32_e32 v6, v6
	v_fma_f32 v10, -v10, v13, v12
	v_div_fmas_f32 v8, v10, v11, v13
	v_div_fixup_f32 v8, v8, v9, 1.0
	v_mul_f32_e32 v6, v6, v8
	v_pk_mul_f32 v[2:3], v[2:3], v[6:7] op_sel_hi:[1,0]
	s_load_dword s8, s[18:19], 0x0
	v_pk_mul_f32 v[4:5], v[4:5], v[6:7] op_sel_hi:[1,0]
	v_bfe_u32 v6, v3, 16, 1
	v_bfe_u32 v8, v2, 16, 1
	s_movk_i32 s5, 0x7fff
	v_add3_u32 v2, v2, v8, s5
	v_add3_u32 v3, v3, v6, s5
	s_mov_b32 s15, 0x7060302
	v_perm_b32 v2, v3, v2, s15
	v_bfe_u32 v3, v5, 16, 1
	v_bfe_u32 v6, v4, 16, 1
	v_add3_u32 v4, v4, v6, s5
	v_add3_u32 v3, v5, v3, s5
	v_mov_b32_e32 v11, 0
	v_perm_b32 v3, v3, v4, s15
	v_add_u32_e32 v5, 64, v11
	s_waitcnt lgkmcnt(0)
	s_mov_b32 s9, s8
	s_mov_b32 s10, s8
	;; [unrolled: 1-line block ×4, first 2 shown]
	s_mov_b64 s[12:13], -1
	s_movk_i32 s22, 0x80
	s_movk_i32 s24, 0x7f
	s_mov_b32 s25, 0xffffff
	s_mov_b32 s26, 0x5040100
	v_mov_b32_e32 v9, 0
	v_bfrev_b32_e32 v10, 60
	s_branch .LBB796_796
.LBB796_793:                            ;   in Loop: Header=BB796_796 Depth=1
	s_or_b64 exec, exec, s[20:21]
.LBB796_794:                            ;   in Loop: Header=BB796_796 Depth=1
	s_or_b64 exec, exec, s[18:19]
.LBB796_795:                            ;   in Loop: Header=BB796_796 Depth=1
	s_or_b64 exec, exec, s[16:17]
	v_perm_b32 v19, v15, v12, s26
	v_perm_b32 v18, v11, v13, s26
	;; [unrolled: 1-line block ×4, first 2 shown]
	v_mfma_f32_4x4x4bf16_1k a[0:3], v[2:3], v[18:19], a[0:3] cbsz:4 abid:14
	s_mul_i32 s16, s23, 0xa00
	v_mfma_f32_4x4x4bf16_1k a[0:3], v[2:3], v[12:13], a[0:3] cbsz:4 abid:15
	s_mov_b32 s23, 1
	v_mov_b32_e32 v11, v5
	s_nop 2
	v_accvgpr_read_b32 v15, a1
	v_accvgpr_read_b32 v14, a0
	v_pk_mul_f32 v[14:15], v[14:15], s[8:9]
	v_accvgpr_read_b32 v13, a3
	v_accvgpr_read_b32 v12, a2
	v_bfe_u32 v4, v15, 16, 1
	v_bfe_u32 v6, v14, 16, 1
	v_pk_mul_f32 v[12:13], v[12:13], s[10:11]
	v_add3_u32 v6, v14, v6, s5
	v_add3_u32 v4, v15, v4, s5
	v_perm_b32 v14, v4, v6, s15
	v_bfe_u32 v4, v13, 16, 1
	v_bfe_u32 v6, v12, 16, 1
	v_add3_u32 v6, v12, v6, s5
	v_add3_u32 v4, v13, v4, s5
	v_perm_b32 v15, v4, v6, s15
	v_mul_u32_u24_e32 v4, 40, v1
	v_add3_u32 v4, s16, v4, v7
	s_xor_b64 s[16:17], s[12:13], -1
	s_mov_b64 s[12:13], 0
	s_andn2_b64 vcc, exec, s[16:17]
	ds_write_b64 v4, v[14:15]
	s_cbranch_vccz .LBB796_1178
.LBB796_796:                            ; =>This Inner Loop Header: Depth=1
	buffer_load_dword v6, v11, s[0:3], 0 offen
	buffer_load_dword v4, v11, s[0:3], 0 offen offset:4
	v_mov_b32_e32 v13, 0
	s_waitcnt vmcnt(1)
	v_cmp_ne_u16_sdwa s[18:19], v6, v9 src0_sel:BYTE_0 src1_sel:DWORD
	s_and_saveexec_b64 s[16:17], s[18:19]
	s_cbranch_execz .LBB796_802
; %bb.797:                              ;   in Loop: Header=BB796_796 Depth=1
	v_cmp_ne_u16_sdwa s[20:21], v6, s22 src0_sel:BYTE_0 src1_sel:DWORD
	v_mov_b32_e32 v13, 0xffff8000
	s_and_saveexec_b64 s[18:19], s[20:21]
	s_cbranch_execz .LBB796_801
; %bb.798:                              ;   in Loop: Header=BB796_796 Depth=1
	v_and_b32_e32 v8, 0x7f, v6
	v_cmp_ne_u32_e32 vcc, s24, v8
	v_mov_b32_e32 v13, 0x7f80
	s_and_saveexec_b64 s[20:21], vcc
	s_cbranch_execz .LBB796_800
; %bb.799:                              ;   in Loop: Header=BB796_796 Depth=1
	v_and_b32_e32 v14, 7, v6
	v_ffbh_u32_e32 v12, v14
	v_min_u32_e32 v16, 32, v12
	v_subrev_u32_e32 v12, 28, v16
	v_lshlrev_b64 v[12:13], v12, v[6:7]
	v_lshrrev_b32_e32 v15, 3, v8
	v_sub_u32_e32 v13, 29, v16
	v_and_b32_e32 v12, 7, v12
	v_cmp_gt_u32_e32 vcc, 8, v8
	v_cndmask_b32_e32 v8, v15, v13, vcc
	v_cndmask_b32_e32 v12, v14, v12, vcc
	v_lshlrev_b32_e32 v13, 24, v6
	v_lshlrev_b32_e32 v12, 20, v12
	v_and_b32_e32 v13, 0x80000000, v13
	v_lshl_add_u32 v8, v8, 23, v10
	v_or3_b32 v8, v13, v8, v12
	v_lshrrev_b32_e32 v13, 16, v8
.LBB796_800:                            ;   in Loop: Header=BB796_796 Depth=1
	s_or_b64 exec, exec, s[20:21]
.LBB796_801:                            ;   in Loop: Header=BB796_796 Depth=1
	s_or_b64 exec, exec, s[18:19]
.LBB796_802:                            ;   in Loop: Header=BB796_796 Depth=1
	s_or_b64 exec, exec, s[16:17]
	v_lshrrev_b16_e32 v8, 8, v6
	v_cmp_ne_u16_e32 vcc, 0, v8
	v_mov_b32_e32 v15, 0
	v_mov_b32_e32 v14, 0
	s_and_saveexec_b64 s[16:17], vcc
	s_cbranch_execz .LBB796_808
; %bb.803:                              ;   in Loop: Header=BB796_796 Depth=1
	v_cmp_ne_u16_e32 vcc, s22, v8
	v_mov_b32_e32 v14, 0xffff8000
	s_and_saveexec_b64 s[18:19], vcc
	s_cbranch_execz .LBB796_807
; %bb.804:                              ;   in Loop: Header=BB796_796 Depth=1
	v_and_b32_e32 v12, 0x7f, v8
	v_cmp_ne_u32_e32 vcc, s24, v12
	v_mov_b32_e32 v14, 0x7f80
	s_and_saveexec_b64 s[20:21], vcc
	s_cbranch_execz .LBB796_806
; %bb.805:                              ;   in Loop: Header=BB796_796 Depth=1
	v_and_b32_e32 v14, 7, v8
	v_ffbh_u32_e32 v16, v14
	v_min_u32_e32 v19, 32, v16
	v_subrev_u32_e32 v16, 28, v19
	v_lshlrev_b64 v[16:17], v16, v[8:9]
	v_lshrrev_b32_e32 v18, 3, v12
	v_sub_u32_e32 v8, 29, v19
	v_and_b32_e32 v16, 7, v16
	v_cmp_gt_u32_e32 vcc, 8, v12
	v_cndmask_b32_e32 v8, v18, v8, vcc
	v_cndmask_b32_e32 v12, v14, v16, vcc
	v_lshlrev_b32_e32 v14, 16, v6
	v_lshlrev_b32_e32 v12, 20, v12
	v_and_b32_e32 v14, 0x80000000, v14
	v_lshl_add_u32 v8, v8, 23, v10
	v_or3_b32 v8, v14, v8, v12
	v_lshrrev_b32_e32 v14, 16, v8
.LBB796_806:                            ;   in Loop: Header=BB796_796 Depth=1
	s_or_b64 exec, exec, s[20:21]
.LBB796_807:                            ;   in Loop: Header=BB796_796 Depth=1
	s_or_b64 exec, exec, s[18:19]
.LBB796_808:                            ;   in Loop: Header=BB796_796 Depth=1
	s_or_b64 exec, exec, s[16:17]
	v_lshrrev_b32_e32 v8, 16, v6
	v_cmp_ne_u16_sdwa s[18:19], v8, v9 src0_sel:BYTE_0 src1_sel:DWORD
	s_and_saveexec_b64 s[16:17], s[18:19]
	s_cbranch_execz .LBB796_814
; %bb.809:                              ;   in Loop: Header=BB796_796 Depth=1
	v_cmp_ne_u16_sdwa s[20:21], v8, s22 src0_sel:BYTE_0 src1_sel:DWORD
	v_mov_b32_e32 v15, 0xffff8000
	s_and_saveexec_b64 s[18:19], s[20:21]
	s_cbranch_execz .LBB796_813
; %bb.810:                              ;   in Loop: Header=BB796_796 Depth=1
	v_bfe_u32 v12, v6, 16, 7
	v_cmp_ne_u32_e32 vcc, s24, v12
	v_mov_b32_e32 v15, 0x7f80
	s_and_saveexec_b64 s[20:21], vcc
	s_cbranch_execz .LBB796_812
; %bb.811:                              ;   in Loop: Header=BB796_796 Depth=1
	v_and_b32_e32 v15, 7, v8
	v_ffbh_u32_e32 v16, v15
	v_min_u32_e32 v19, 32, v16
	v_subrev_u32_e32 v16, 28, v19
	v_lshlrev_b64 v[16:17], v16, v[8:9]
	v_lshrrev_b32_e32 v18, 3, v12
	v_sub_u32_e32 v17, 29, v19
	v_and_b32_e32 v16, 7, v16
	v_cmp_gt_u32_e32 vcc, 8, v12
	v_cndmask_b32_e32 v12, v18, v17, vcc
	v_cndmask_b32_e32 v15, v15, v16, vcc
	v_lshlrev_b32_e32 v8, 24, v8
	v_lshlrev_b32_e32 v15, 20, v15
	v_and_b32_e32 v8, 0x80000000, v8
	v_lshl_add_u32 v12, v12, 23, v10
	v_or3_b32 v8, v8, v12, v15
	v_lshrrev_b32_e32 v15, 16, v8
.LBB796_812:                            ;   in Loop: Header=BB796_796 Depth=1
	s_or_b64 exec, exec, s[20:21]
.LBB796_813:                            ;   in Loop: Header=BB796_796 Depth=1
	s_or_b64 exec, exec, s[18:19]
.LBB796_814:                            ;   in Loop: Header=BB796_796 Depth=1
	s_or_b64 exec, exec, s[16:17]
	v_cmp_lt_u32_e32 vcc, s25, v6
	v_mov_b32_e32 v16, 0
	v_mov_b32_e32 v17, 0
	s_and_saveexec_b64 s[16:17], vcc
	s_cbranch_execz .LBB796_820
; %bb.815:                              ;   in Loop: Header=BB796_796 Depth=1
	v_lshrrev_b32_e32 v8, 24, v6
	v_cmp_ne_u32_e32 vcc, s22, v8
	v_mov_b32_e32 v17, 0xffff8000
	s_and_saveexec_b64 s[18:19], vcc
	s_cbranch_execz .LBB796_819
; %bb.816:                              ;   in Loop: Header=BB796_796 Depth=1
	v_bfe_u32 v6, v6, 24, 7
	v_cmp_ne_u32_e32 vcc, s24, v6
	v_mov_b32_e32 v17, 0x7f80
	s_and_saveexec_b64 s[20:21], vcc
	s_cbranch_execz .LBB796_818
; %bb.817:                              ;   in Loop: Header=BB796_796 Depth=1
	v_and_b32_e32 v12, 7, v8
	v_ffbh_u32_e32 v18, v12
	v_min_u32_e32 v20, 32, v18
	v_subrev_u32_e32 v18, 28, v20
	v_lshlrev_b64 v[18:19], v18, v[8:9]
	v_lshrrev_b32_e32 v17, 3, v6
	v_sub_u32_e32 v19, 29, v20
	v_and_b32_e32 v18, 7, v18
	v_cmp_gt_u32_e32 vcc, 8, v6
	v_cndmask_b32_e32 v6, v17, v19, vcc
	v_cndmask_b32_e32 v12, v12, v18, vcc
	v_lshlrev_b32_e32 v8, 24, v8
	v_lshlrev_b32_e32 v12, 20, v12
	v_and_b32_e32 v8, 0x80000000, v8
	v_lshl_add_u32 v6, v6, 23, v10
	v_or3_b32 v6, v8, v6, v12
	v_lshrrev_b32_e32 v17, 16, v6
.LBB796_818:                            ;   in Loop: Header=BB796_796 Depth=1
	s_or_b64 exec, exec, s[20:21]
.LBB796_819:                            ;   in Loop: Header=BB796_796 Depth=1
	s_or_b64 exec, exec, s[18:19]
.LBB796_820:                            ;   in Loop: Header=BB796_796 Depth=1
	s_or_b64 exec, exec, s[16:17]
	s_waitcnt vmcnt(0)
	v_cmp_ne_u16_sdwa s[18:19], v4, v9 src0_sel:BYTE_0 src1_sel:DWORD
	s_and_saveexec_b64 s[16:17], s[18:19]
	s_cbranch_execz .LBB796_826
; %bb.821:                              ;   in Loop: Header=BB796_796 Depth=1
	v_cmp_ne_u16_sdwa s[20:21], v4, s22 src0_sel:BYTE_0 src1_sel:DWORD
	v_mov_b32_e32 v16, 0xffff8000
	s_and_saveexec_b64 s[18:19], s[20:21]
	s_cbranch_execz .LBB796_825
; %bb.822:                              ;   in Loop: Header=BB796_796 Depth=1
	v_and_b32_e32 v6, 0x7f, v4
	v_cmp_ne_u32_e32 vcc, s24, v6
	v_mov_b32_e32 v16, 0x7f80
	s_and_saveexec_b64 s[20:21], vcc
	s_cbranch_execz .LBB796_824
; %bb.823:                              ;   in Loop: Header=BB796_796 Depth=1
	v_and_b32_e32 v8, 7, v4
	v_ffbh_u32_e32 v16, v8
	v_min_u32_e32 v16, 32, v16
	v_subrev_u32_e32 v18, 28, v16
	v_lshlrev_b64 v[18:19], v18, v[4:5]
	v_lshrrev_b32_e32 v12, 3, v6
	v_sub_u32_e32 v16, 29, v16
	v_and_b32_e32 v18, 7, v18
	v_cmp_gt_u32_e32 vcc, 8, v6
	v_cndmask_b32_e32 v6, v12, v16, vcc
	v_cndmask_b32_e32 v8, v8, v18, vcc
	v_lshlrev_b32_e32 v12, 24, v4
	v_lshlrev_b32_e32 v8, 20, v8
	v_and_b32_e32 v12, 0x80000000, v12
	v_lshl_add_u32 v6, v6, 23, v10
	v_or3_b32 v6, v12, v6, v8
	v_lshrrev_b32_e32 v16, 16, v6
.LBB796_824:                            ;   in Loop: Header=BB796_796 Depth=1
	s_or_b64 exec, exec, s[20:21]
.LBB796_825:                            ;   in Loop: Header=BB796_796 Depth=1
	s_or_b64 exec, exec, s[18:19]
.LBB796_826:                            ;   in Loop: Header=BB796_796 Depth=1
	s_or_b64 exec, exec, s[16:17]
	v_lshrrev_b16_e32 v6, 8, v4
	v_cmp_ne_u16_e32 vcc, 0, v6
	v_mov_b32_e32 v18, 0
	v_mov_b32_e32 v8, 0
	s_and_saveexec_b64 s[16:17], vcc
	s_cbranch_execz .LBB796_832
; %bb.827:                              ;   in Loop: Header=BB796_796 Depth=1
	v_cmp_ne_u16_e32 vcc, s22, v6
	v_mov_b32_e32 v8, 0xffff8000
	s_and_saveexec_b64 s[18:19], vcc
	s_cbranch_execz .LBB796_831
; %bb.828:                              ;   in Loop: Header=BB796_796 Depth=1
	v_and_b32_e32 v12, 0x7f, v6
	v_cmp_ne_u32_e32 vcc, s24, v12
	v_mov_b32_e32 v8, 0x7f80
	s_and_saveexec_b64 s[20:21], vcc
	s_cbranch_execz .LBB796_830
; %bb.829:                              ;   in Loop: Header=BB796_796 Depth=1
	v_and_b32_e32 v8, 7, v6
	v_ffbh_u32_e32 v20, v8
	v_min_u32_e32 v22, 32, v20
	v_subrev_u32_e32 v20, 28, v22
	v_lshlrev_b64 v[20:21], v20, v[6:7]
	v_lshrrev_b32_e32 v19, 3, v12
	v_sub_u32_e32 v6, 29, v22
	v_and_b32_e32 v20, 7, v20
	v_cmp_gt_u32_e32 vcc, 8, v12
	v_cndmask_b32_e32 v6, v19, v6, vcc
	v_cndmask_b32_e32 v8, v8, v20, vcc
	v_lshlrev_b32_e32 v12, 16, v4
	v_lshlrev_b32_e32 v8, 20, v8
	v_and_b32_e32 v12, 0x80000000, v12
	v_lshl_add_u32 v6, v6, 23, v10
	v_or3_b32 v6, v12, v6, v8
	v_lshrrev_b32_e32 v8, 16, v6
.LBB796_830:                            ;   in Loop: Header=BB796_796 Depth=1
	s_or_b64 exec, exec, s[20:21]
.LBB796_831:                            ;   in Loop: Header=BB796_796 Depth=1
	s_or_b64 exec, exec, s[18:19]
.LBB796_832:                            ;   in Loop: Header=BB796_796 Depth=1
	s_or_b64 exec, exec, s[16:17]
	v_lshrrev_b32_e32 v6, 16, v4
	v_cmp_ne_u16_sdwa s[18:19], v6, v9 src0_sel:BYTE_0 src1_sel:DWORD
	s_and_saveexec_b64 s[16:17], s[18:19]
	s_cbranch_execz .LBB796_838
; %bb.833:                              ;   in Loop: Header=BB796_796 Depth=1
	v_cmp_ne_u16_sdwa s[20:21], v6, s22 src0_sel:BYTE_0 src1_sel:DWORD
	v_mov_b32_e32 v18, 0xffff8000
	s_and_saveexec_b64 s[18:19], s[20:21]
	s_cbranch_execz .LBB796_837
; %bb.834:                              ;   in Loop: Header=BB796_796 Depth=1
	v_bfe_u32 v12, v4, 16, 7
	v_cmp_ne_u32_e32 vcc, s24, v12
	v_mov_b32_e32 v18, 0x7f80
	s_and_saveexec_b64 s[20:21], vcc
	s_cbranch_execz .LBB796_836
; %bb.835:                              ;   in Loop: Header=BB796_796 Depth=1
	v_and_b32_e32 v20, 7, v6
	v_ffbh_u32_e32 v18, v20
	v_min_u32_e32 v22, 32, v18
	v_subrev_u32_e32 v18, 28, v22
	v_lshlrev_b64 v[18:19], v18, v[6:7]
	v_lshrrev_b32_e32 v21, 3, v12
	v_sub_u32_e32 v19, 29, v22
	v_and_b32_e32 v18, 7, v18
	v_cmp_gt_u32_e32 vcc, 8, v12
	v_cndmask_b32_e32 v12, v21, v19, vcc
	v_cndmask_b32_e32 v18, v20, v18, vcc
	v_lshlrev_b32_e32 v6, 24, v6
	v_lshlrev_b32_e32 v18, 20, v18
	v_and_b32_e32 v6, 0x80000000, v6
	v_lshl_add_u32 v12, v12, 23, v10
	v_or3_b32 v6, v6, v12, v18
	v_lshrrev_b32_e32 v18, 16, v6
.LBB796_836:                            ;   in Loop: Header=BB796_796 Depth=1
	s_or_b64 exec, exec, s[20:21]
.LBB796_837:                            ;   in Loop: Header=BB796_796 Depth=1
	s_or_b64 exec, exec, s[18:19]
.LBB796_838:                            ;   in Loop: Header=BB796_796 Depth=1
	s_or_b64 exec, exec, s[16:17]
	v_cmp_lt_u32_e32 vcc, s25, v4
	v_mov_b32_e32 v12, 0
	v_mov_b32_e32 v19, 0
	s_and_saveexec_b64 s[16:17], vcc
	s_cbranch_execz .LBB796_844
; %bb.839:                              ;   in Loop: Header=BB796_796 Depth=1
	v_lshrrev_b32_e32 v6, 24, v4
	v_cmp_ne_u32_e32 vcc, s22, v6
	v_mov_b32_e32 v19, 0xffff8000
	s_and_saveexec_b64 s[18:19], vcc
	s_cbranch_execz .LBB796_843
; %bb.840:                              ;   in Loop: Header=BB796_796 Depth=1
	v_bfe_u32 v4, v4, 24, 7
	v_cmp_ne_u32_e32 vcc, s24, v4
	v_mov_b32_e32 v19, 0x7f80
	s_and_saveexec_b64 s[20:21], vcc
	s_cbranch_execz .LBB796_842
; %bb.841:                              ;   in Loop: Header=BB796_796 Depth=1
	v_and_b32_e32 v19, 7, v6
	v_ffbh_u32_e32 v20, v19
	v_min_u32_e32 v23, 32, v20
	v_subrev_u32_e32 v20, 28, v23
	v_lshlrev_b64 v[20:21], v20, v[6:7]
	v_lshrrev_b32_e32 v22, 3, v4
	v_sub_u32_e32 v21, 29, v23
	v_and_b32_e32 v20, 7, v20
	v_cmp_gt_u32_e32 vcc, 8, v4
	v_cndmask_b32_e32 v4, v22, v21, vcc
	v_cndmask_b32_e32 v19, v19, v20, vcc
	v_lshlrev_b32_e32 v6, 24, v6
	v_lshlrev_b32_e32 v19, 20, v19
	v_and_b32_e32 v6, 0x80000000, v6
	v_lshl_add_u32 v4, v4, 23, v10
	v_or3_b32 v4, v6, v4, v19
	v_lshrrev_b32_e32 v19, 16, v4
.LBB796_842:                            ;   in Loop: Header=BB796_796 Depth=1
	s_or_b64 exec, exec, s[20:21]
.LBB796_843:                            ;   in Loop: Header=BB796_796 Depth=1
	s_or_b64 exec, exec, s[18:19]
.LBB796_844:                            ;   in Loop: Header=BB796_796 Depth=1
	s_or_b64 exec, exec, s[16:17]
	buffer_load_dword v6, v11, s[0:3], 0 offen offset:8
	buffer_load_dword v4, v11, s[0:3], 0 offen offset:12
	v_perm_b32 v15, v17, v15, s26
	v_perm_b32 v14, v14, v13, s26
	;; [unrolled: 1-line block ×4, first 2 shown]
	v_mfma_f32_4x4x4bf16_1k a[0:3], v[2:3], v[14:15], 0 cbsz:4
	s_waitcnt vmcnt(1)
	v_cmp_ne_u16_sdwa s[18:19], v6, v9 src0_sel:BYTE_0 src1_sel:DWORD
	v_mfma_f32_4x4x4bf16_1k a[0:3], v[2:3], v[16:17], a[0:3] cbsz:4 abid:1
	s_and_saveexec_b64 s[16:17], s[18:19]
	s_cbranch_execz .LBB796_850
; %bb.845:                              ;   in Loop: Header=BB796_796 Depth=1
	v_cmp_ne_u16_sdwa s[20:21], v6, s22 src0_sel:BYTE_0 src1_sel:DWORD
	v_mov_b32_e32 v12, 0xffff8000
	s_and_saveexec_b64 s[18:19], s[20:21]
	s_cbranch_execz .LBB796_849
; %bb.846:                              ;   in Loop: Header=BB796_796 Depth=1
	v_and_b32_e32 v8, 0x7f, v6
	v_cmp_ne_u32_e32 vcc, s24, v8
	v_mov_b32_e32 v12, 0x7f80
	s_and_saveexec_b64 s[20:21], vcc
	s_cbranch_execz .LBB796_848
; %bb.847:                              ;   in Loop: Header=BB796_796 Depth=1
	v_and_b32_e32 v14, 7, v6
	v_ffbh_u32_e32 v12, v14
	v_min_u32_e32 v16, 32, v12
	v_subrev_u32_e32 v12, 28, v16
	v_lshlrev_b64 v[12:13], v12, v[6:7]
	v_lshrrev_b32_e32 v15, 3, v8
	v_sub_u32_e32 v13, 29, v16
	v_and_b32_e32 v12, 7, v12
	v_cmp_gt_u32_e32 vcc, 8, v8
	v_cndmask_b32_e32 v8, v15, v13, vcc
	v_cndmask_b32_e32 v12, v14, v12, vcc
	v_lshlrev_b32_e32 v13, 24, v6
	v_lshlrev_b32_e32 v12, 20, v12
	v_and_b32_e32 v13, 0x80000000, v13
	v_lshl_add_u32 v8, v8, 23, v10
	v_or3_b32 v8, v13, v8, v12
	v_lshrrev_b32_e32 v12, 16, v8
.LBB796_848:                            ;   in Loop: Header=BB796_796 Depth=1
	s_or_b64 exec, exec, s[20:21]
.LBB796_849:                            ;   in Loop: Header=BB796_796 Depth=1
	s_or_b64 exec, exec, s[18:19]
.LBB796_850:                            ;   in Loop: Header=BB796_796 Depth=1
	s_or_b64 exec, exec, s[16:17]
	v_lshrrev_b16_e32 v8, 8, v6
	v_cmp_ne_u16_e32 vcc, 0, v8
	v_mov_b32_e32 v15, 0
	v_mov_b32_e32 v14, 0
	s_and_saveexec_b64 s[16:17], vcc
	s_cbranch_execz .LBB796_856
; %bb.851:                              ;   in Loop: Header=BB796_796 Depth=1
	v_cmp_ne_u16_e32 vcc, s22, v8
	v_mov_b32_e32 v14, 0xffff8000
	s_and_saveexec_b64 s[18:19], vcc
	s_cbranch_execz .LBB796_855
; %bb.852:                              ;   in Loop: Header=BB796_796 Depth=1
	v_and_b32_e32 v13, 0x7f, v8
	v_cmp_ne_u32_e32 vcc, s24, v13
	v_mov_b32_e32 v14, 0x7f80
	s_and_saveexec_b64 s[20:21], vcc
	s_cbranch_execz .LBB796_854
; %bb.853:                              ;   in Loop: Header=BB796_796 Depth=1
	v_and_b32_e32 v14, 7, v8
	v_ffbh_u32_e32 v16, v14
	v_min_u32_e32 v19, 32, v16
	v_subrev_u32_e32 v16, 28, v19
	v_lshlrev_b64 v[16:17], v16, v[8:9]
	v_lshrrev_b32_e32 v18, 3, v13
	v_sub_u32_e32 v8, 29, v19
	v_and_b32_e32 v16, 7, v16
	v_cmp_gt_u32_e32 vcc, 8, v13
	v_cndmask_b32_e32 v8, v18, v8, vcc
	v_cndmask_b32_e32 v13, v14, v16, vcc
	v_lshlrev_b32_e32 v14, 16, v6
	v_lshlrev_b32_e32 v13, 20, v13
	v_and_b32_e32 v14, 0x80000000, v14
	v_lshl_add_u32 v8, v8, 23, v10
	v_or3_b32 v8, v14, v8, v13
	v_lshrrev_b32_e32 v14, 16, v8
.LBB796_854:                            ;   in Loop: Header=BB796_796 Depth=1
	s_or_b64 exec, exec, s[20:21]
.LBB796_855:                            ;   in Loop: Header=BB796_796 Depth=1
	s_or_b64 exec, exec, s[18:19]
.LBB796_856:                            ;   in Loop: Header=BB796_796 Depth=1
	s_or_b64 exec, exec, s[16:17]
	v_lshrrev_b32_e32 v8, 16, v6
	v_cmp_ne_u16_sdwa s[18:19], v8, v9 src0_sel:BYTE_0 src1_sel:DWORD
	s_and_saveexec_b64 s[16:17], s[18:19]
	s_cbranch_execz .LBB796_862
; %bb.857:                              ;   in Loop: Header=BB796_796 Depth=1
	v_cmp_ne_u16_sdwa s[20:21], v8, s22 src0_sel:BYTE_0 src1_sel:DWORD
	v_mov_b32_e32 v15, 0xffff8000
	s_and_saveexec_b64 s[18:19], s[20:21]
	s_cbranch_execz .LBB796_861
; %bb.858:                              ;   in Loop: Header=BB796_796 Depth=1
	v_bfe_u32 v13, v6, 16, 7
	v_cmp_ne_u32_e32 vcc, s24, v13
	v_mov_b32_e32 v15, 0x7f80
	s_and_saveexec_b64 s[20:21], vcc
	s_cbranch_execz .LBB796_860
; %bb.859:                              ;   in Loop: Header=BB796_796 Depth=1
	v_and_b32_e32 v15, 7, v8
	v_ffbh_u32_e32 v16, v15
	v_min_u32_e32 v19, 32, v16
	v_subrev_u32_e32 v16, 28, v19
	v_lshlrev_b64 v[16:17], v16, v[8:9]
	v_lshrrev_b32_e32 v18, 3, v13
	v_sub_u32_e32 v17, 29, v19
	v_and_b32_e32 v16, 7, v16
	v_cmp_gt_u32_e32 vcc, 8, v13
	v_cndmask_b32_e32 v13, v18, v17, vcc
	v_cndmask_b32_e32 v15, v15, v16, vcc
	v_lshlrev_b32_e32 v8, 24, v8
	v_lshlrev_b32_e32 v15, 20, v15
	v_and_b32_e32 v8, 0x80000000, v8
	v_lshl_add_u32 v13, v13, 23, v10
	v_or3_b32 v8, v8, v13, v15
	v_lshrrev_b32_e32 v15, 16, v8
.LBB796_860:                            ;   in Loop: Header=BB796_796 Depth=1
	s_or_b64 exec, exec, s[20:21]
.LBB796_861:                            ;   in Loop: Header=BB796_796 Depth=1
	s_or_b64 exec, exec, s[18:19]
.LBB796_862:                            ;   in Loop: Header=BB796_796 Depth=1
	s_or_b64 exec, exec, s[16:17]
	v_cmp_lt_u32_e32 vcc, s25, v6
	v_mov_b32_e32 v16, 0
	v_mov_b32_e32 v17, 0
	s_and_saveexec_b64 s[16:17], vcc
	s_cbranch_execz .LBB796_868
; %bb.863:                              ;   in Loop: Header=BB796_796 Depth=1
	v_lshrrev_b32_e32 v8, 24, v6
	v_cmp_ne_u32_e32 vcc, s22, v8
	v_mov_b32_e32 v17, 0xffff8000
	s_and_saveexec_b64 s[18:19], vcc
	s_cbranch_execz .LBB796_867
; %bb.864:                              ;   in Loop: Header=BB796_796 Depth=1
	v_bfe_u32 v6, v6, 24, 7
	v_cmp_ne_u32_e32 vcc, s24, v6
	v_mov_b32_e32 v17, 0x7f80
	s_and_saveexec_b64 s[20:21], vcc
	s_cbranch_execz .LBB796_866
; %bb.865:                              ;   in Loop: Header=BB796_796 Depth=1
	v_and_b32_e32 v13, 7, v8
	v_ffbh_u32_e32 v18, v13
	v_min_u32_e32 v20, 32, v18
	v_subrev_u32_e32 v18, 28, v20
	v_lshlrev_b64 v[18:19], v18, v[8:9]
	v_lshrrev_b32_e32 v17, 3, v6
	v_sub_u32_e32 v19, 29, v20
	v_and_b32_e32 v18, 7, v18
	v_cmp_gt_u32_e32 vcc, 8, v6
	v_cndmask_b32_e32 v6, v17, v19, vcc
	v_cndmask_b32_e32 v13, v13, v18, vcc
	v_lshlrev_b32_e32 v8, 24, v8
	v_lshlrev_b32_e32 v13, 20, v13
	v_and_b32_e32 v8, 0x80000000, v8
	v_lshl_add_u32 v6, v6, 23, v10
	v_or3_b32 v6, v8, v6, v13
	v_lshrrev_b32_e32 v17, 16, v6
.LBB796_866:                            ;   in Loop: Header=BB796_796 Depth=1
	s_or_b64 exec, exec, s[20:21]
.LBB796_867:                            ;   in Loop: Header=BB796_796 Depth=1
	s_or_b64 exec, exec, s[18:19]
.LBB796_868:                            ;   in Loop: Header=BB796_796 Depth=1
	s_or_b64 exec, exec, s[16:17]
	s_waitcnt vmcnt(0)
	v_cmp_ne_u16_sdwa s[18:19], v4, v9 src0_sel:BYTE_0 src1_sel:DWORD
	s_and_saveexec_b64 s[16:17], s[18:19]
	s_cbranch_execz .LBB796_874
; %bb.869:                              ;   in Loop: Header=BB796_796 Depth=1
	v_cmp_ne_u16_sdwa s[20:21], v4, s22 src0_sel:BYTE_0 src1_sel:DWORD
	v_mov_b32_e32 v16, 0xffff8000
	s_and_saveexec_b64 s[18:19], s[20:21]
	s_cbranch_execz .LBB796_873
; %bb.870:                              ;   in Loop: Header=BB796_796 Depth=1
	v_and_b32_e32 v6, 0x7f, v4
	v_cmp_ne_u32_e32 vcc, s24, v6
	v_mov_b32_e32 v16, 0x7f80
	s_and_saveexec_b64 s[20:21], vcc
	s_cbranch_execz .LBB796_872
; %bb.871:                              ;   in Loop: Header=BB796_796 Depth=1
	v_and_b32_e32 v8, 7, v4
	v_ffbh_u32_e32 v16, v8
	v_min_u32_e32 v16, 32, v16
	v_subrev_u32_e32 v18, 28, v16
	v_lshlrev_b64 v[18:19], v18, v[4:5]
	v_lshrrev_b32_e32 v13, 3, v6
	v_sub_u32_e32 v16, 29, v16
	v_and_b32_e32 v18, 7, v18
	v_cmp_gt_u32_e32 vcc, 8, v6
	v_cndmask_b32_e32 v6, v13, v16, vcc
	v_cndmask_b32_e32 v8, v8, v18, vcc
	v_lshlrev_b32_e32 v13, 24, v4
	v_lshlrev_b32_e32 v8, 20, v8
	v_and_b32_e32 v13, 0x80000000, v13
	v_lshl_add_u32 v6, v6, 23, v10
	v_or3_b32 v6, v13, v6, v8
	v_lshrrev_b32_e32 v16, 16, v6
.LBB796_872:                            ;   in Loop: Header=BB796_796 Depth=1
	s_or_b64 exec, exec, s[20:21]
.LBB796_873:                            ;   in Loop: Header=BB796_796 Depth=1
	s_or_b64 exec, exec, s[18:19]
.LBB796_874:                            ;   in Loop: Header=BB796_796 Depth=1
	s_or_b64 exec, exec, s[16:17]
	v_lshrrev_b16_e32 v6, 8, v4
	v_cmp_ne_u16_e32 vcc, 0, v6
	v_mov_b32_e32 v18, 0
	v_mov_b32_e32 v8, 0
	s_and_saveexec_b64 s[16:17], vcc
	s_cbranch_execz .LBB796_880
; %bb.875:                              ;   in Loop: Header=BB796_796 Depth=1
	v_cmp_ne_u16_e32 vcc, s22, v6
	v_mov_b32_e32 v8, 0xffff8000
	s_and_saveexec_b64 s[18:19], vcc
	s_cbranch_execz .LBB796_879
; %bb.876:                              ;   in Loop: Header=BB796_796 Depth=1
	v_and_b32_e32 v13, 0x7f, v6
	v_cmp_ne_u32_e32 vcc, s24, v13
	v_mov_b32_e32 v8, 0x7f80
	s_and_saveexec_b64 s[20:21], vcc
	s_cbranch_execz .LBB796_878
; %bb.877:                              ;   in Loop: Header=BB796_796 Depth=1
	v_and_b32_e32 v8, 7, v6
	v_ffbh_u32_e32 v20, v8
	v_min_u32_e32 v22, 32, v20
	v_subrev_u32_e32 v20, 28, v22
	v_lshlrev_b64 v[20:21], v20, v[6:7]
	v_lshrrev_b32_e32 v19, 3, v13
	v_sub_u32_e32 v6, 29, v22
	v_and_b32_e32 v20, 7, v20
	v_cmp_gt_u32_e32 vcc, 8, v13
	v_cndmask_b32_e32 v6, v19, v6, vcc
	v_cndmask_b32_e32 v8, v8, v20, vcc
	v_lshlrev_b32_e32 v13, 16, v4
	v_lshlrev_b32_e32 v8, 20, v8
	v_and_b32_e32 v13, 0x80000000, v13
	v_lshl_add_u32 v6, v6, 23, v10
	v_or3_b32 v6, v13, v6, v8
	v_lshrrev_b32_e32 v8, 16, v6
.LBB796_878:                            ;   in Loop: Header=BB796_796 Depth=1
	s_or_b64 exec, exec, s[20:21]
.LBB796_879:                            ;   in Loop: Header=BB796_796 Depth=1
	s_or_b64 exec, exec, s[18:19]
.LBB796_880:                            ;   in Loop: Header=BB796_796 Depth=1
	s_or_b64 exec, exec, s[16:17]
	v_lshrrev_b32_e32 v6, 16, v4
	v_cmp_ne_u16_sdwa s[18:19], v6, v9 src0_sel:BYTE_0 src1_sel:DWORD
	s_and_saveexec_b64 s[16:17], s[18:19]
	s_cbranch_execz .LBB796_886
; %bb.881:                              ;   in Loop: Header=BB796_796 Depth=1
	v_cmp_ne_u16_sdwa s[20:21], v6, s22 src0_sel:BYTE_0 src1_sel:DWORD
	v_mov_b32_e32 v18, 0xffff8000
	s_and_saveexec_b64 s[18:19], s[20:21]
	s_cbranch_execz .LBB796_885
; %bb.882:                              ;   in Loop: Header=BB796_796 Depth=1
	v_bfe_u32 v13, v4, 16, 7
	v_cmp_ne_u32_e32 vcc, s24, v13
	v_mov_b32_e32 v18, 0x7f80
	s_and_saveexec_b64 s[20:21], vcc
	s_cbranch_execz .LBB796_884
; %bb.883:                              ;   in Loop: Header=BB796_796 Depth=1
	v_and_b32_e32 v20, 7, v6
	v_ffbh_u32_e32 v18, v20
	v_min_u32_e32 v22, 32, v18
	v_subrev_u32_e32 v18, 28, v22
	v_lshlrev_b64 v[18:19], v18, v[6:7]
	v_lshrrev_b32_e32 v21, 3, v13
	v_sub_u32_e32 v19, 29, v22
	v_and_b32_e32 v18, 7, v18
	v_cmp_gt_u32_e32 vcc, 8, v13
	v_cndmask_b32_e32 v13, v21, v19, vcc
	v_cndmask_b32_e32 v18, v20, v18, vcc
	v_lshlrev_b32_e32 v6, 24, v6
	v_lshlrev_b32_e32 v18, 20, v18
	v_and_b32_e32 v6, 0x80000000, v6
	v_lshl_add_u32 v13, v13, 23, v10
	v_or3_b32 v6, v6, v13, v18
	v_lshrrev_b32_e32 v18, 16, v6
.LBB796_884:                            ;   in Loop: Header=BB796_796 Depth=1
	s_or_b64 exec, exec, s[20:21]
.LBB796_885:                            ;   in Loop: Header=BB796_796 Depth=1
	s_or_b64 exec, exec, s[18:19]
.LBB796_886:                            ;   in Loop: Header=BB796_796 Depth=1
	s_or_b64 exec, exec, s[16:17]
	v_cmp_lt_u32_e32 vcc, s25, v4
	v_mov_b32_e32 v13, 0
	v_mov_b32_e32 v19, 0
	s_and_saveexec_b64 s[16:17], vcc
	s_cbranch_execz .LBB796_892
; %bb.887:                              ;   in Loop: Header=BB796_796 Depth=1
	v_lshrrev_b32_e32 v6, 24, v4
	v_cmp_ne_u32_e32 vcc, s22, v6
	v_mov_b32_e32 v19, 0xffff8000
	s_and_saveexec_b64 s[18:19], vcc
	s_cbranch_execz .LBB796_891
; %bb.888:                              ;   in Loop: Header=BB796_796 Depth=1
	v_bfe_u32 v4, v4, 24, 7
	v_cmp_ne_u32_e32 vcc, s24, v4
	v_mov_b32_e32 v19, 0x7f80
	s_and_saveexec_b64 s[20:21], vcc
	s_cbranch_execz .LBB796_890
; %bb.889:                              ;   in Loop: Header=BB796_796 Depth=1
	v_and_b32_e32 v19, 7, v6
	v_ffbh_u32_e32 v20, v19
	v_min_u32_e32 v23, 32, v20
	v_subrev_u32_e32 v20, 28, v23
	v_lshlrev_b64 v[20:21], v20, v[6:7]
	v_lshrrev_b32_e32 v22, 3, v4
	v_sub_u32_e32 v21, 29, v23
	v_and_b32_e32 v20, 7, v20
	v_cmp_gt_u32_e32 vcc, 8, v4
	v_cndmask_b32_e32 v4, v22, v21, vcc
	v_cndmask_b32_e32 v19, v19, v20, vcc
	v_lshlrev_b32_e32 v6, 24, v6
	v_lshlrev_b32_e32 v19, 20, v19
	v_and_b32_e32 v6, 0x80000000, v6
	v_lshl_add_u32 v4, v4, 23, v10
	v_or3_b32 v4, v6, v4, v19
	v_lshrrev_b32_e32 v19, 16, v4
.LBB796_890:                            ;   in Loop: Header=BB796_796 Depth=1
	s_or_b64 exec, exec, s[20:21]
.LBB796_891:                            ;   in Loop: Header=BB796_796 Depth=1
	s_or_b64 exec, exec, s[18:19]
.LBB796_892:                            ;   in Loop: Header=BB796_796 Depth=1
	s_or_b64 exec, exec, s[16:17]
	buffer_load_dword v6, v11, s[0:3], 0 offen offset:16
	buffer_load_dword v4, v11, s[0:3], 0 offen offset:20
	v_perm_b32 v15, v17, v15, s26
	v_perm_b32 v14, v14, v12, s26
	;; [unrolled: 1-line block ×4, first 2 shown]
	v_mfma_f32_4x4x4bf16_1k a[0:3], v[2:3], v[14:15], a[0:3] cbsz:4 abid:2
	s_waitcnt vmcnt(1)
	v_cmp_ne_u16_sdwa s[18:19], v6, v9 src0_sel:BYTE_0 src1_sel:DWORD
	v_mfma_f32_4x4x4bf16_1k a[0:3], v[2:3], v[16:17], a[0:3] cbsz:4 abid:3
	s_and_saveexec_b64 s[16:17], s[18:19]
	s_cbranch_execz .LBB796_898
; %bb.893:                              ;   in Loop: Header=BB796_796 Depth=1
	v_cmp_ne_u16_sdwa s[20:21], v6, s22 src0_sel:BYTE_0 src1_sel:DWORD
	v_mov_b32_e32 v13, 0xffff8000
	s_and_saveexec_b64 s[18:19], s[20:21]
	s_cbranch_execz .LBB796_897
; %bb.894:                              ;   in Loop: Header=BB796_796 Depth=1
	v_and_b32_e32 v8, 0x7f, v6
	v_cmp_ne_u32_e32 vcc, s24, v8
	v_mov_b32_e32 v13, 0x7f80
	s_and_saveexec_b64 s[20:21], vcc
	s_cbranch_execz .LBB796_896
; %bb.895:                              ;   in Loop: Header=BB796_796 Depth=1
	v_and_b32_e32 v14, 7, v6
	v_ffbh_u32_e32 v12, v14
	v_min_u32_e32 v16, 32, v12
	v_subrev_u32_e32 v12, 28, v16
	v_lshlrev_b64 v[12:13], v12, v[6:7]
	v_lshrrev_b32_e32 v15, 3, v8
	v_sub_u32_e32 v13, 29, v16
	v_and_b32_e32 v12, 7, v12
	v_cmp_gt_u32_e32 vcc, 8, v8
	v_cndmask_b32_e32 v8, v15, v13, vcc
	v_cndmask_b32_e32 v12, v14, v12, vcc
	v_lshlrev_b32_e32 v13, 24, v6
	v_lshlrev_b32_e32 v12, 20, v12
	v_and_b32_e32 v13, 0x80000000, v13
	v_lshl_add_u32 v8, v8, 23, v10
	v_or3_b32 v8, v13, v8, v12
	v_lshrrev_b32_e32 v13, 16, v8
.LBB796_896:                            ;   in Loop: Header=BB796_796 Depth=1
	s_or_b64 exec, exec, s[20:21]
.LBB796_897:                            ;   in Loop: Header=BB796_796 Depth=1
	s_or_b64 exec, exec, s[18:19]
.LBB796_898:                            ;   in Loop: Header=BB796_796 Depth=1
	s_or_b64 exec, exec, s[16:17]
	v_lshrrev_b16_e32 v8, 8, v6
	v_cmp_ne_u16_e32 vcc, 0, v8
	v_mov_b32_e32 v15, 0
	v_mov_b32_e32 v14, 0
	s_and_saveexec_b64 s[16:17], vcc
	s_cbranch_execz .LBB796_904
; %bb.899:                              ;   in Loop: Header=BB796_796 Depth=1
	v_cmp_ne_u16_e32 vcc, s22, v8
	v_mov_b32_e32 v14, 0xffff8000
	s_and_saveexec_b64 s[18:19], vcc
	s_cbranch_execz .LBB796_903
; %bb.900:                              ;   in Loop: Header=BB796_796 Depth=1
	v_and_b32_e32 v12, 0x7f, v8
	v_cmp_ne_u32_e32 vcc, s24, v12
	v_mov_b32_e32 v14, 0x7f80
	s_and_saveexec_b64 s[20:21], vcc
	s_cbranch_execz .LBB796_902
; %bb.901:                              ;   in Loop: Header=BB796_796 Depth=1
	v_and_b32_e32 v14, 7, v8
	v_ffbh_u32_e32 v16, v14
	v_min_u32_e32 v19, 32, v16
	v_subrev_u32_e32 v16, 28, v19
	v_lshlrev_b64 v[16:17], v16, v[8:9]
	v_lshrrev_b32_e32 v18, 3, v12
	v_sub_u32_e32 v8, 29, v19
	v_and_b32_e32 v16, 7, v16
	v_cmp_gt_u32_e32 vcc, 8, v12
	v_cndmask_b32_e32 v8, v18, v8, vcc
	v_cndmask_b32_e32 v12, v14, v16, vcc
	v_lshlrev_b32_e32 v14, 16, v6
	v_lshlrev_b32_e32 v12, 20, v12
	v_and_b32_e32 v14, 0x80000000, v14
	v_lshl_add_u32 v8, v8, 23, v10
	v_or3_b32 v8, v14, v8, v12
	v_lshrrev_b32_e32 v14, 16, v8
.LBB796_902:                            ;   in Loop: Header=BB796_796 Depth=1
	s_or_b64 exec, exec, s[20:21]
.LBB796_903:                            ;   in Loop: Header=BB796_796 Depth=1
	s_or_b64 exec, exec, s[18:19]
.LBB796_904:                            ;   in Loop: Header=BB796_796 Depth=1
	s_or_b64 exec, exec, s[16:17]
	v_lshrrev_b32_e32 v8, 16, v6
	v_cmp_ne_u16_sdwa s[18:19], v8, v9 src0_sel:BYTE_0 src1_sel:DWORD
	s_and_saveexec_b64 s[16:17], s[18:19]
	s_cbranch_execz .LBB796_910
; %bb.905:                              ;   in Loop: Header=BB796_796 Depth=1
	v_cmp_ne_u16_sdwa s[20:21], v8, s22 src0_sel:BYTE_0 src1_sel:DWORD
	v_mov_b32_e32 v15, 0xffff8000
	s_and_saveexec_b64 s[18:19], s[20:21]
	s_cbranch_execz .LBB796_909
; %bb.906:                              ;   in Loop: Header=BB796_796 Depth=1
	v_bfe_u32 v12, v6, 16, 7
	v_cmp_ne_u32_e32 vcc, s24, v12
	v_mov_b32_e32 v15, 0x7f80
	s_and_saveexec_b64 s[20:21], vcc
	s_cbranch_execz .LBB796_908
; %bb.907:                              ;   in Loop: Header=BB796_796 Depth=1
	v_and_b32_e32 v15, 7, v8
	v_ffbh_u32_e32 v16, v15
	v_min_u32_e32 v19, 32, v16
	v_subrev_u32_e32 v16, 28, v19
	v_lshlrev_b64 v[16:17], v16, v[8:9]
	v_lshrrev_b32_e32 v18, 3, v12
	v_sub_u32_e32 v17, 29, v19
	v_and_b32_e32 v16, 7, v16
	v_cmp_gt_u32_e32 vcc, 8, v12
	v_cndmask_b32_e32 v12, v18, v17, vcc
	v_cndmask_b32_e32 v15, v15, v16, vcc
	v_lshlrev_b32_e32 v8, 24, v8
	v_lshlrev_b32_e32 v15, 20, v15
	v_and_b32_e32 v8, 0x80000000, v8
	v_lshl_add_u32 v12, v12, 23, v10
	v_or3_b32 v8, v8, v12, v15
	v_lshrrev_b32_e32 v15, 16, v8
.LBB796_908:                            ;   in Loop: Header=BB796_796 Depth=1
	s_or_b64 exec, exec, s[20:21]
.LBB796_909:                            ;   in Loop: Header=BB796_796 Depth=1
	s_or_b64 exec, exec, s[18:19]
.LBB796_910:                            ;   in Loop: Header=BB796_796 Depth=1
	s_or_b64 exec, exec, s[16:17]
	v_cmp_lt_u32_e32 vcc, s25, v6
	v_mov_b32_e32 v16, 0
	v_mov_b32_e32 v17, 0
	s_and_saveexec_b64 s[16:17], vcc
	s_cbranch_execz .LBB796_916
; %bb.911:                              ;   in Loop: Header=BB796_796 Depth=1
	v_lshrrev_b32_e32 v8, 24, v6
	v_cmp_ne_u32_e32 vcc, s22, v8
	v_mov_b32_e32 v17, 0xffff8000
	s_and_saveexec_b64 s[18:19], vcc
	s_cbranch_execz .LBB796_915
; %bb.912:                              ;   in Loop: Header=BB796_796 Depth=1
	v_bfe_u32 v6, v6, 24, 7
	v_cmp_ne_u32_e32 vcc, s24, v6
	v_mov_b32_e32 v17, 0x7f80
	s_and_saveexec_b64 s[20:21], vcc
	s_cbranch_execz .LBB796_914
; %bb.913:                              ;   in Loop: Header=BB796_796 Depth=1
	v_and_b32_e32 v12, 7, v8
	v_ffbh_u32_e32 v18, v12
	v_min_u32_e32 v20, 32, v18
	v_subrev_u32_e32 v18, 28, v20
	v_lshlrev_b64 v[18:19], v18, v[8:9]
	v_lshrrev_b32_e32 v17, 3, v6
	v_sub_u32_e32 v19, 29, v20
	v_and_b32_e32 v18, 7, v18
	v_cmp_gt_u32_e32 vcc, 8, v6
	v_cndmask_b32_e32 v6, v17, v19, vcc
	v_cndmask_b32_e32 v12, v12, v18, vcc
	v_lshlrev_b32_e32 v8, 24, v8
	v_lshlrev_b32_e32 v12, 20, v12
	v_and_b32_e32 v8, 0x80000000, v8
	v_lshl_add_u32 v6, v6, 23, v10
	v_or3_b32 v6, v8, v6, v12
	v_lshrrev_b32_e32 v17, 16, v6
.LBB796_914:                            ;   in Loop: Header=BB796_796 Depth=1
	s_or_b64 exec, exec, s[20:21]
.LBB796_915:                            ;   in Loop: Header=BB796_796 Depth=1
	s_or_b64 exec, exec, s[18:19]
.LBB796_916:                            ;   in Loop: Header=BB796_796 Depth=1
	s_or_b64 exec, exec, s[16:17]
	s_waitcnt vmcnt(0)
	v_cmp_ne_u16_sdwa s[18:19], v4, v9 src0_sel:BYTE_0 src1_sel:DWORD
	s_and_saveexec_b64 s[16:17], s[18:19]
	s_cbranch_execz .LBB796_922
; %bb.917:                              ;   in Loop: Header=BB796_796 Depth=1
	v_cmp_ne_u16_sdwa s[20:21], v4, s22 src0_sel:BYTE_0 src1_sel:DWORD
	v_mov_b32_e32 v16, 0xffff8000
	s_and_saveexec_b64 s[18:19], s[20:21]
	s_cbranch_execz .LBB796_921
; %bb.918:                              ;   in Loop: Header=BB796_796 Depth=1
	v_and_b32_e32 v6, 0x7f, v4
	v_cmp_ne_u32_e32 vcc, s24, v6
	v_mov_b32_e32 v16, 0x7f80
	s_and_saveexec_b64 s[20:21], vcc
	s_cbranch_execz .LBB796_920
; %bb.919:                              ;   in Loop: Header=BB796_796 Depth=1
	v_and_b32_e32 v8, 7, v4
	v_ffbh_u32_e32 v16, v8
	v_min_u32_e32 v16, 32, v16
	v_subrev_u32_e32 v18, 28, v16
	v_lshlrev_b64 v[18:19], v18, v[4:5]
	v_lshrrev_b32_e32 v12, 3, v6
	v_sub_u32_e32 v16, 29, v16
	v_and_b32_e32 v18, 7, v18
	v_cmp_gt_u32_e32 vcc, 8, v6
	v_cndmask_b32_e32 v6, v12, v16, vcc
	v_cndmask_b32_e32 v8, v8, v18, vcc
	v_lshlrev_b32_e32 v12, 24, v4
	v_lshlrev_b32_e32 v8, 20, v8
	v_and_b32_e32 v12, 0x80000000, v12
	v_lshl_add_u32 v6, v6, 23, v10
	v_or3_b32 v6, v12, v6, v8
	v_lshrrev_b32_e32 v16, 16, v6
.LBB796_920:                            ;   in Loop: Header=BB796_796 Depth=1
	s_or_b64 exec, exec, s[20:21]
.LBB796_921:                            ;   in Loop: Header=BB796_796 Depth=1
	s_or_b64 exec, exec, s[18:19]
.LBB796_922:                            ;   in Loop: Header=BB796_796 Depth=1
	s_or_b64 exec, exec, s[16:17]
	v_lshrrev_b16_e32 v6, 8, v4
	v_cmp_ne_u16_e32 vcc, 0, v6
	v_mov_b32_e32 v18, 0
	v_mov_b32_e32 v8, 0
	s_and_saveexec_b64 s[16:17], vcc
	s_cbranch_execz .LBB796_928
; %bb.923:                              ;   in Loop: Header=BB796_796 Depth=1
	v_cmp_ne_u16_e32 vcc, s22, v6
	v_mov_b32_e32 v8, 0xffff8000
	s_and_saveexec_b64 s[18:19], vcc
	s_cbranch_execz .LBB796_927
; %bb.924:                              ;   in Loop: Header=BB796_796 Depth=1
	v_and_b32_e32 v12, 0x7f, v6
	v_cmp_ne_u32_e32 vcc, s24, v12
	v_mov_b32_e32 v8, 0x7f80
	s_and_saveexec_b64 s[20:21], vcc
	s_cbranch_execz .LBB796_926
; %bb.925:                              ;   in Loop: Header=BB796_796 Depth=1
	v_and_b32_e32 v8, 7, v6
	v_ffbh_u32_e32 v20, v8
	v_min_u32_e32 v22, 32, v20
	v_subrev_u32_e32 v20, 28, v22
	v_lshlrev_b64 v[20:21], v20, v[6:7]
	v_lshrrev_b32_e32 v19, 3, v12
	v_sub_u32_e32 v6, 29, v22
	v_and_b32_e32 v20, 7, v20
	v_cmp_gt_u32_e32 vcc, 8, v12
	v_cndmask_b32_e32 v6, v19, v6, vcc
	v_cndmask_b32_e32 v8, v8, v20, vcc
	v_lshlrev_b32_e32 v12, 16, v4
	v_lshlrev_b32_e32 v8, 20, v8
	v_and_b32_e32 v12, 0x80000000, v12
	v_lshl_add_u32 v6, v6, 23, v10
	v_or3_b32 v6, v12, v6, v8
	v_lshrrev_b32_e32 v8, 16, v6
.LBB796_926:                            ;   in Loop: Header=BB796_796 Depth=1
	s_or_b64 exec, exec, s[20:21]
.LBB796_927:                            ;   in Loop: Header=BB796_796 Depth=1
	s_or_b64 exec, exec, s[18:19]
.LBB796_928:                            ;   in Loop: Header=BB796_796 Depth=1
	s_or_b64 exec, exec, s[16:17]
	v_lshrrev_b32_e32 v6, 16, v4
	v_cmp_ne_u16_sdwa s[18:19], v6, v9 src0_sel:BYTE_0 src1_sel:DWORD
	s_and_saveexec_b64 s[16:17], s[18:19]
	s_cbranch_execz .LBB796_934
; %bb.929:                              ;   in Loop: Header=BB796_796 Depth=1
	v_cmp_ne_u16_sdwa s[20:21], v6, s22 src0_sel:BYTE_0 src1_sel:DWORD
	v_mov_b32_e32 v18, 0xffff8000
	s_and_saveexec_b64 s[18:19], s[20:21]
	s_cbranch_execz .LBB796_933
; %bb.930:                              ;   in Loop: Header=BB796_796 Depth=1
	v_bfe_u32 v12, v4, 16, 7
	v_cmp_ne_u32_e32 vcc, s24, v12
	v_mov_b32_e32 v18, 0x7f80
	s_and_saveexec_b64 s[20:21], vcc
	s_cbranch_execz .LBB796_932
; %bb.931:                              ;   in Loop: Header=BB796_796 Depth=1
	v_and_b32_e32 v20, 7, v6
	v_ffbh_u32_e32 v18, v20
	v_min_u32_e32 v22, 32, v18
	v_subrev_u32_e32 v18, 28, v22
	v_lshlrev_b64 v[18:19], v18, v[6:7]
	v_lshrrev_b32_e32 v21, 3, v12
	v_sub_u32_e32 v19, 29, v22
	v_and_b32_e32 v18, 7, v18
	v_cmp_gt_u32_e32 vcc, 8, v12
	v_cndmask_b32_e32 v12, v21, v19, vcc
	v_cndmask_b32_e32 v18, v20, v18, vcc
	v_lshlrev_b32_e32 v6, 24, v6
	v_lshlrev_b32_e32 v18, 20, v18
	v_and_b32_e32 v6, 0x80000000, v6
	v_lshl_add_u32 v12, v12, 23, v10
	v_or3_b32 v6, v6, v12, v18
	v_lshrrev_b32_e32 v18, 16, v6
.LBB796_932:                            ;   in Loop: Header=BB796_796 Depth=1
	s_or_b64 exec, exec, s[20:21]
.LBB796_933:                            ;   in Loop: Header=BB796_796 Depth=1
	s_or_b64 exec, exec, s[18:19]
.LBB796_934:                            ;   in Loop: Header=BB796_796 Depth=1
	s_or_b64 exec, exec, s[16:17]
	v_cmp_lt_u32_e32 vcc, s25, v4
	v_mov_b32_e32 v12, 0
	v_mov_b32_e32 v19, 0
	s_and_saveexec_b64 s[16:17], vcc
	s_cbranch_execz .LBB796_940
; %bb.935:                              ;   in Loop: Header=BB796_796 Depth=1
	v_lshrrev_b32_e32 v6, 24, v4
	v_cmp_ne_u32_e32 vcc, s22, v6
	v_mov_b32_e32 v19, 0xffff8000
	s_and_saveexec_b64 s[18:19], vcc
	s_cbranch_execz .LBB796_939
; %bb.936:                              ;   in Loop: Header=BB796_796 Depth=1
	v_bfe_u32 v4, v4, 24, 7
	v_cmp_ne_u32_e32 vcc, s24, v4
	v_mov_b32_e32 v19, 0x7f80
	s_and_saveexec_b64 s[20:21], vcc
	s_cbranch_execz .LBB796_938
; %bb.937:                              ;   in Loop: Header=BB796_796 Depth=1
	v_and_b32_e32 v19, 7, v6
	v_ffbh_u32_e32 v20, v19
	v_min_u32_e32 v23, 32, v20
	v_subrev_u32_e32 v20, 28, v23
	v_lshlrev_b64 v[20:21], v20, v[6:7]
	v_lshrrev_b32_e32 v22, 3, v4
	v_sub_u32_e32 v21, 29, v23
	v_and_b32_e32 v20, 7, v20
	v_cmp_gt_u32_e32 vcc, 8, v4
	v_cndmask_b32_e32 v4, v22, v21, vcc
	v_cndmask_b32_e32 v19, v19, v20, vcc
	v_lshlrev_b32_e32 v6, 24, v6
	v_lshlrev_b32_e32 v19, 20, v19
	v_and_b32_e32 v6, 0x80000000, v6
	v_lshl_add_u32 v4, v4, 23, v10
	v_or3_b32 v4, v6, v4, v19
	v_lshrrev_b32_e32 v19, 16, v4
.LBB796_938:                            ;   in Loop: Header=BB796_796 Depth=1
	s_or_b64 exec, exec, s[20:21]
.LBB796_939:                            ;   in Loop: Header=BB796_796 Depth=1
	s_or_b64 exec, exec, s[18:19]
.LBB796_940:                            ;   in Loop: Header=BB796_796 Depth=1
	s_or_b64 exec, exec, s[16:17]
	buffer_load_dword v6, v11, s[0:3], 0 offen offset:24
	buffer_load_dword v4, v11, s[0:3], 0 offen offset:28
	v_perm_b32 v15, v17, v15, s26
	v_perm_b32 v14, v14, v13, s26
	;; [unrolled: 1-line block ×4, first 2 shown]
	v_mfma_f32_4x4x4bf16_1k a[0:3], v[2:3], v[14:15], a[0:3] cbsz:4 abid:4
	s_waitcnt vmcnt(1)
	v_cmp_ne_u16_sdwa s[18:19], v6, v9 src0_sel:BYTE_0 src1_sel:DWORD
	v_mfma_f32_4x4x4bf16_1k a[0:3], v[2:3], v[16:17], a[0:3] cbsz:4 abid:5
	s_and_saveexec_b64 s[16:17], s[18:19]
	s_cbranch_execz .LBB796_946
; %bb.941:                              ;   in Loop: Header=BB796_796 Depth=1
	v_cmp_ne_u16_sdwa s[20:21], v6, s22 src0_sel:BYTE_0 src1_sel:DWORD
	v_mov_b32_e32 v12, 0xffff8000
	s_and_saveexec_b64 s[18:19], s[20:21]
	s_cbranch_execz .LBB796_945
; %bb.942:                              ;   in Loop: Header=BB796_796 Depth=1
	v_and_b32_e32 v8, 0x7f, v6
	v_cmp_ne_u32_e32 vcc, s24, v8
	v_mov_b32_e32 v12, 0x7f80
	s_and_saveexec_b64 s[20:21], vcc
	s_cbranch_execz .LBB796_944
; %bb.943:                              ;   in Loop: Header=BB796_796 Depth=1
	v_and_b32_e32 v14, 7, v6
	v_ffbh_u32_e32 v12, v14
	v_min_u32_e32 v16, 32, v12
	v_subrev_u32_e32 v12, 28, v16
	v_lshlrev_b64 v[12:13], v12, v[6:7]
	v_lshrrev_b32_e32 v15, 3, v8
	v_sub_u32_e32 v13, 29, v16
	v_and_b32_e32 v12, 7, v12
	v_cmp_gt_u32_e32 vcc, 8, v8
	v_cndmask_b32_e32 v8, v15, v13, vcc
	v_cndmask_b32_e32 v12, v14, v12, vcc
	v_lshlrev_b32_e32 v13, 24, v6
	v_lshlrev_b32_e32 v12, 20, v12
	v_and_b32_e32 v13, 0x80000000, v13
	v_lshl_add_u32 v8, v8, 23, v10
	v_or3_b32 v8, v13, v8, v12
	v_lshrrev_b32_e32 v12, 16, v8
.LBB796_944:                            ;   in Loop: Header=BB796_796 Depth=1
	s_or_b64 exec, exec, s[20:21]
.LBB796_945:                            ;   in Loop: Header=BB796_796 Depth=1
	s_or_b64 exec, exec, s[18:19]
.LBB796_946:                            ;   in Loop: Header=BB796_796 Depth=1
	s_or_b64 exec, exec, s[16:17]
	v_lshrrev_b16_e32 v8, 8, v6
	v_cmp_ne_u16_e32 vcc, 0, v8
	v_mov_b32_e32 v15, 0
	v_mov_b32_e32 v14, 0
	s_and_saveexec_b64 s[16:17], vcc
	s_cbranch_execz .LBB796_952
; %bb.947:                              ;   in Loop: Header=BB796_796 Depth=1
	v_cmp_ne_u16_e32 vcc, s22, v8
	v_mov_b32_e32 v14, 0xffff8000
	s_and_saveexec_b64 s[18:19], vcc
	s_cbranch_execz .LBB796_951
; %bb.948:                              ;   in Loop: Header=BB796_796 Depth=1
	v_and_b32_e32 v13, 0x7f, v8
	v_cmp_ne_u32_e32 vcc, s24, v13
	v_mov_b32_e32 v14, 0x7f80
	s_and_saveexec_b64 s[20:21], vcc
	s_cbranch_execz .LBB796_950
; %bb.949:                              ;   in Loop: Header=BB796_796 Depth=1
	v_and_b32_e32 v14, 7, v8
	v_ffbh_u32_e32 v16, v14
	v_min_u32_e32 v19, 32, v16
	v_subrev_u32_e32 v16, 28, v19
	v_lshlrev_b64 v[16:17], v16, v[8:9]
	v_lshrrev_b32_e32 v18, 3, v13
	v_sub_u32_e32 v8, 29, v19
	v_and_b32_e32 v16, 7, v16
	v_cmp_gt_u32_e32 vcc, 8, v13
	v_cndmask_b32_e32 v8, v18, v8, vcc
	v_cndmask_b32_e32 v13, v14, v16, vcc
	v_lshlrev_b32_e32 v14, 16, v6
	v_lshlrev_b32_e32 v13, 20, v13
	v_and_b32_e32 v14, 0x80000000, v14
	v_lshl_add_u32 v8, v8, 23, v10
	v_or3_b32 v8, v14, v8, v13
	v_lshrrev_b32_e32 v14, 16, v8
.LBB796_950:                            ;   in Loop: Header=BB796_796 Depth=1
	s_or_b64 exec, exec, s[20:21]
.LBB796_951:                            ;   in Loop: Header=BB796_796 Depth=1
	s_or_b64 exec, exec, s[18:19]
.LBB796_952:                            ;   in Loop: Header=BB796_796 Depth=1
	s_or_b64 exec, exec, s[16:17]
	v_lshrrev_b32_e32 v8, 16, v6
	v_cmp_ne_u16_sdwa s[18:19], v8, v9 src0_sel:BYTE_0 src1_sel:DWORD
	s_and_saveexec_b64 s[16:17], s[18:19]
	s_cbranch_execz .LBB796_958
; %bb.953:                              ;   in Loop: Header=BB796_796 Depth=1
	v_cmp_ne_u16_sdwa s[20:21], v8, s22 src0_sel:BYTE_0 src1_sel:DWORD
	v_mov_b32_e32 v15, 0xffff8000
	s_and_saveexec_b64 s[18:19], s[20:21]
	s_cbranch_execz .LBB796_957
; %bb.954:                              ;   in Loop: Header=BB796_796 Depth=1
	v_bfe_u32 v13, v6, 16, 7
	v_cmp_ne_u32_e32 vcc, s24, v13
	v_mov_b32_e32 v15, 0x7f80
	s_and_saveexec_b64 s[20:21], vcc
	s_cbranch_execz .LBB796_956
; %bb.955:                              ;   in Loop: Header=BB796_796 Depth=1
	v_and_b32_e32 v15, 7, v8
	v_ffbh_u32_e32 v16, v15
	v_min_u32_e32 v19, 32, v16
	v_subrev_u32_e32 v16, 28, v19
	v_lshlrev_b64 v[16:17], v16, v[8:9]
	v_lshrrev_b32_e32 v18, 3, v13
	v_sub_u32_e32 v17, 29, v19
	v_and_b32_e32 v16, 7, v16
	v_cmp_gt_u32_e32 vcc, 8, v13
	v_cndmask_b32_e32 v13, v18, v17, vcc
	v_cndmask_b32_e32 v15, v15, v16, vcc
	v_lshlrev_b32_e32 v8, 24, v8
	v_lshlrev_b32_e32 v15, 20, v15
	v_and_b32_e32 v8, 0x80000000, v8
	v_lshl_add_u32 v13, v13, 23, v10
	v_or3_b32 v8, v8, v13, v15
	v_lshrrev_b32_e32 v15, 16, v8
.LBB796_956:                            ;   in Loop: Header=BB796_796 Depth=1
	s_or_b64 exec, exec, s[20:21]
.LBB796_957:                            ;   in Loop: Header=BB796_796 Depth=1
	s_or_b64 exec, exec, s[18:19]
.LBB796_958:                            ;   in Loop: Header=BB796_796 Depth=1
	s_or_b64 exec, exec, s[16:17]
	v_cmp_lt_u32_e32 vcc, s25, v6
	v_mov_b32_e32 v16, 0
	v_mov_b32_e32 v17, 0
	s_and_saveexec_b64 s[16:17], vcc
	s_cbranch_execz .LBB796_964
; %bb.959:                              ;   in Loop: Header=BB796_796 Depth=1
	v_lshrrev_b32_e32 v8, 24, v6
	v_cmp_ne_u32_e32 vcc, s22, v8
	v_mov_b32_e32 v17, 0xffff8000
	s_and_saveexec_b64 s[18:19], vcc
	s_cbranch_execz .LBB796_963
; %bb.960:                              ;   in Loop: Header=BB796_796 Depth=1
	v_bfe_u32 v6, v6, 24, 7
	v_cmp_ne_u32_e32 vcc, s24, v6
	v_mov_b32_e32 v17, 0x7f80
	s_and_saveexec_b64 s[20:21], vcc
	s_cbranch_execz .LBB796_962
; %bb.961:                              ;   in Loop: Header=BB796_796 Depth=1
	v_and_b32_e32 v13, 7, v8
	v_ffbh_u32_e32 v18, v13
	v_min_u32_e32 v20, 32, v18
	v_subrev_u32_e32 v18, 28, v20
	v_lshlrev_b64 v[18:19], v18, v[8:9]
	v_lshrrev_b32_e32 v17, 3, v6
	v_sub_u32_e32 v19, 29, v20
	v_and_b32_e32 v18, 7, v18
	v_cmp_gt_u32_e32 vcc, 8, v6
	v_cndmask_b32_e32 v6, v17, v19, vcc
	v_cndmask_b32_e32 v13, v13, v18, vcc
	v_lshlrev_b32_e32 v8, 24, v8
	v_lshlrev_b32_e32 v13, 20, v13
	v_and_b32_e32 v8, 0x80000000, v8
	v_lshl_add_u32 v6, v6, 23, v10
	v_or3_b32 v6, v8, v6, v13
	v_lshrrev_b32_e32 v17, 16, v6
.LBB796_962:                            ;   in Loop: Header=BB796_796 Depth=1
	s_or_b64 exec, exec, s[20:21]
.LBB796_963:                            ;   in Loop: Header=BB796_796 Depth=1
	s_or_b64 exec, exec, s[18:19]
.LBB796_964:                            ;   in Loop: Header=BB796_796 Depth=1
	s_or_b64 exec, exec, s[16:17]
	s_waitcnt vmcnt(0)
	v_cmp_ne_u16_sdwa s[18:19], v4, v9 src0_sel:BYTE_0 src1_sel:DWORD
	s_and_saveexec_b64 s[16:17], s[18:19]
	s_cbranch_execz .LBB796_970
; %bb.965:                              ;   in Loop: Header=BB796_796 Depth=1
	v_cmp_ne_u16_sdwa s[20:21], v4, s22 src0_sel:BYTE_0 src1_sel:DWORD
	v_mov_b32_e32 v16, 0xffff8000
	s_and_saveexec_b64 s[18:19], s[20:21]
	s_cbranch_execz .LBB796_969
; %bb.966:                              ;   in Loop: Header=BB796_796 Depth=1
	v_and_b32_e32 v6, 0x7f, v4
	v_cmp_ne_u32_e32 vcc, s24, v6
	v_mov_b32_e32 v16, 0x7f80
	s_and_saveexec_b64 s[20:21], vcc
	s_cbranch_execz .LBB796_968
; %bb.967:                              ;   in Loop: Header=BB796_796 Depth=1
	v_and_b32_e32 v8, 7, v4
	v_ffbh_u32_e32 v16, v8
	v_min_u32_e32 v16, 32, v16
	v_subrev_u32_e32 v18, 28, v16
	v_lshlrev_b64 v[18:19], v18, v[4:5]
	v_lshrrev_b32_e32 v13, 3, v6
	v_sub_u32_e32 v16, 29, v16
	v_and_b32_e32 v18, 7, v18
	v_cmp_gt_u32_e32 vcc, 8, v6
	v_cndmask_b32_e32 v6, v13, v16, vcc
	v_cndmask_b32_e32 v8, v8, v18, vcc
	v_lshlrev_b32_e32 v13, 24, v4
	v_lshlrev_b32_e32 v8, 20, v8
	v_and_b32_e32 v13, 0x80000000, v13
	v_lshl_add_u32 v6, v6, 23, v10
	v_or3_b32 v6, v13, v6, v8
	v_lshrrev_b32_e32 v16, 16, v6
.LBB796_968:                            ;   in Loop: Header=BB796_796 Depth=1
	s_or_b64 exec, exec, s[20:21]
.LBB796_969:                            ;   in Loop: Header=BB796_796 Depth=1
	s_or_b64 exec, exec, s[18:19]
.LBB796_970:                            ;   in Loop: Header=BB796_796 Depth=1
	s_or_b64 exec, exec, s[16:17]
	v_lshrrev_b16_e32 v6, 8, v4
	v_cmp_ne_u16_e32 vcc, 0, v6
	v_mov_b32_e32 v18, 0
	v_mov_b32_e32 v8, 0
	s_and_saveexec_b64 s[16:17], vcc
	s_cbranch_execz .LBB796_976
; %bb.971:                              ;   in Loop: Header=BB796_796 Depth=1
	v_cmp_ne_u16_e32 vcc, s22, v6
	v_mov_b32_e32 v8, 0xffff8000
	s_and_saveexec_b64 s[18:19], vcc
	s_cbranch_execz .LBB796_975
; %bb.972:                              ;   in Loop: Header=BB796_796 Depth=1
	v_and_b32_e32 v13, 0x7f, v6
	v_cmp_ne_u32_e32 vcc, s24, v13
	v_mov_b32_e32 v8, 0x7f80
	s_and_saveexec_b64 s[20:21], vcc
	s_cbranch_execz .LBB796_974
; %bb.973:                              ;   in Loop: Header=BB796_796 Depth=1
	v_and_b32_e32 v8, 7, v6
	v_ffbh_u32_e32 v20, v8
	v_min_u32_e32 v22, 32, v20
	v_subrev_u32_e32 v20, 28, v22
	v_lshlrev_b64 v[20:21], v20, v[6:7]
	v_lshrrev_b32_e32 v19, 3, v13
	v_sub_u32_e32 v6, 29, v22
	v_and_b32_e32 v20, 7, v20
	v_cmp_gt_u32_e32 vcc, 8, v13
	v_cndmask_b32_e32 v6, v19, v6, vcc
	v_cndmask_b32_e32 v8, v8, v20, vcc
	v_lshlrev_b32_e32 v13, 16, v4
	v_lshlrev_b32_e32 v8, 20, v8
	v_and_b32_e32 v13, 0x80000000, v13
	v_lshl_add_u32 v6, v6, 23, v10
	v_or3_b32 v6, v13, v6, v8
	v_lshrrev_b32_e32 v8, 16, v6
.LBB796_974:                            ;   in Loop: Header=BB796_796 Depth=1
	s_or_b64 exec, exec, s[20:21]
.LBB796_975:                            ;   in Loop: Header=BB796_796 Depth=1
	s_or_b64 exec, exec, s[18:19]
.LBB796_976:                            ;   in Loop: Header=BB796_796 Depth=1
	s_or_b64 exec, exec, s[16:17]
	v_lshrrev_b32_e32 v6, 16, v4
	v_cmp_ne_u16_sdwa s[18:19], v6, v9 src0_sel:BYTE_0 src1_sel:DWORD
	s_and_saveexec_b64 s[16:17], s[18:19]
	s_cbranch_execz .LBB796_982
; %bb.977:                              ;   in Loop: Header=BB796_796 Depth=1
	v_cmp_ne_u16_sdwa s[20:21], v6, s22 src0_sel:BYTE_0 src1_sel:DWORD
	v_mov_b32_e32 v18, 0xffff8000
	s_and_saveexec_b64 s[18:19], s[20:21]
	s_cbranch_execz .LBB796_981
; %bb.978:                              ;   in Loop: Header=BB796_796 Depth=1
	v_bfe_u32 v13, v4, 16, 7
	v_cmp_ne_u32_e32 vcc, s24, v13
	v_mov_b32_e32 v18, 0x7f80
	s_and_saveexec_b64 s[20:21], vcc
	s_cbranch_execz .LBB796_980
; %bb.979:                              ;   in Loop: Header=BB796_796 Depth=1
	v_and_b32_e32 v20, 7, v6
	v_ffbh_u32_e32 v18, v20
	v_min_u32_e32 v22, 32, v18
	v_subrev_u32_e32 v18, 28, v22
	v_lshlrev_b64 v[18:19], v18, v[6:7]
	v_lshrrev_b32_e32 v21, 3, v13
	v_sub_u32_e32 v19, 29, v22
	v_and_b32_e32 v18, 7, v18
	v_cmp_gt_u32_e32 vcc, 8, v13
	v_cndmask_b32_e32 v13, v21, v19, vcc
	v_cndmask_b32_e32 v18, v20, v18, vcc
	v_lshlrev_b32_e32 v6, 24, v6
	v_lshlrev_b32_e32 v18, 20, v18
	v_and_b32_e32 v6, 0x80000000, v6
	v_lshl_add_u32 v13, v13, 23, v10
	v_or3_b32 v6, v6, v13, v18
	v_lshrrev_b32_e32 v18, 16, v6
.LBB796_980:                            ;   in Loop: Header=BB796_796 Depth=1
	s_or_b64 exec, exec, s[20:21]
.LBB796_981:                            ;   in Loop: Header=BB796_796 Depth=1
	s_or_b64 exec, exec, s[18:19]
.LBB796_982:                            ;   in Loop: Header=BB796_796 Depth=1
	s_or_b64 exec, exec, s[16:17]
	v_cmp_lt_u32_e32 vcc, s25, v4
	v_mov_b32_e32 v13, 0
	v_mov_b32_e32 v19, 0
	s_and_saveexec_b64 s[16:17], vcc
	s_cbranch_execz .LBB796_988
; %bb.983:                              ;   in Loop: Header=BB796_796 Depth=1
	v_lshrrev_b32_e32 v6, 24, v4
	v_cmp_ne_u32_e32 vcc, s22, v6
	v_mov_b32_e32 v19, 0xffff8000
	s_and_saveexec_b64 s[18:19], vcc
	s_cbranch_execz .LBB796_987
; %bb.984:                              ;   in Loop: Header=BB796_796 Depth=1
	v_bfe_u32 v4, v4, 24, 7
	v_cmp_ne_u32_e32 vcc, s24, v4
	v_mov_b32_e32 v19, 0x7f80
	s_and_saveexec_b64 s[20:21], vcc
	s_cbranch_execz .LBB796_986
; %bb.985:                              ;   in Loop: Header=BB796_796 Depth=1
	v_and_b32_e32 v19, 7, v6
	v_ffbh_u32_e32 v20, v19
	v_min_u32_e32 v23, 32, v20
	v_subrev_u32_e32 v20, 28, v23
	v_lshlrev_b64 v[20:21], v20, v[6:7]
	v_lshrrev_b32_e32 v22, 3, v4
	v_sub_u32_e32 v21, 29, v23
	v_and_b32_e32 v20, 7, v20
	v_cmp_gt_u32_e32 vcc, 8, v4
	v_cndmask_b32_e32 v4, v22, v21, vcc
	v_cndmask_b32_e32 v19, v19, v20, vcc
	v_lshlrev_b32_e32 v6, 24, v6
	v_lshlrev_b32_e32 v19, 20, v19
	v_and_b32_e32 v6, 0x80000000, v6
	v_lshl_add_u32 v4, v4, 23, v10
	v_or3_b32 v4, v6, v4, v19
	v_lshrrev_b32_e32 v19, 16, v4
.LBB796_986:                            ;   in Loop: Header=BB796_796 Depth=1
	s_or_b64 exec, exec, s[20:21]
.LBB796_987:                            ;   in Loop: Header=BB796_796 Depth=1
	s_or_b64 exec, exec, s[18:19]
.LBB796_988:                            ;   in Loop: Header=BB796_796 Depth=1
	s_or_b64 exec, exec, s[16:17]
	buffer_load_dword v6, v11, s[0:3], 0 offen offset:32
	buffer_load_dword v4, v11, s[0:3], 0 offen offset:36
	v_perm_b32 v15, v17, v15, s26
	v_perm_b32 v14, v14, v12, s26
	;; [unrolled: 1-line block ×4, first 2 shown]
	v_mfma_f32_4x4x4bf16_1k a[0:3], v[2:3], v[14:15], a[0:3] cbsz:4 abid:6
	s_waitcnt vmcnt(1)
	v_cmp_ne_u16_sdwa s[18:19], v6, v9 src0_sel:BYTE_0 src1_sel:DWORD
	v_mfma_f32_4x4x4bf16_1k a[0:3], v[2:3], v[16:17], a[0:3] cbsz:4 abid:7
	s_and_saveexec_b64 s[16:17], s[18:19]
	s_cbranch_execz .LBB796_994
; %bb.989:                              ;   in Loop: Header=BB796_796 Depth=1
	v_cmp_ne_u16_sdwa s[20:21], v6, s22 src0_sel:BYTE_0 src1_sel:DWORD
	v_mov_b32_e32 v13, 0xffff8000
	s_and_saveexec_b64 s[18:19], s[20:21]
	s_cbranch_execz .LBB796_993
; %bb.990:                              ;   in Loop: Header=BB796_796 Depth=1
	v_and_b32_e32 v8, 0x7f, v6
	v_cmp_ne_u32_e32 vcc, s24, v8
	v_mov_b32_e32 v13, 0x7f80
	s_and_saveexec_b64 s[20:21], vcc
	s_cbranch_execz .LBB796_992
; %bb.991:                              ;   in Loop: Header=BB796_796 Depth=1
	v_and_b32_e32 v14, 7, v6
	v_ffbh_u32_e32 v12, v14
	v_min_u32_e32 v16, 32, v12
	v_subrev_u32_e32 v12, 28, v16
	v_lshlrev_b64 v[12:13], v12, v[6:7]
	v_lshrrev_b32_e32 v15, 3, v8
	v_sub_u32_e32 v13, 29, v16
	v_and_b32_e32 v12, 7, v12
	v_cmp_gt_u32_e32 vcc, 8, v8
	v_cndmask_b32_e32 v8, v15, v13, vcc
	v_cndmask_b32_e32 v12, v14, v12, vcc
	v_lshlrev_b32_e32 v13, 24, v6
	v_lshlrev_b32_e32 v12, 20, v12
	v_and_b32_e32 v13, 0x80000000, v13
	v_lshl_add_u32 v8, v8, 23, v10
	v_or3_b32 v8, v13, v8, v12
	v_lshrrev_b32_e32 v13, 16, v8
.LBB796_992:                            ;   in Loop: Header=BB796_796 Depth=1
	s_or_b64 exec, exec, s[20:21]
.LBB796_993:                            ;   in Loop: Header=BB796_796 Depth=1
	s_or_b64 exec, exec, s[18:19]
.LBB796_994:                            ;   in Loop: Header=BB796_796 Depth=1
	s_or_b64 exec, exec, s[16:17]
	v_lshrrev_b16_e32 v8, 8, v6
	v_cmp_ne_u16_e32 vcc, 0, v8
	v_mov_b32_e32 v15, 0
	v_mov_b32_e32 v12, 0
	s_and_saveexec_b64 s[16:17], vcc
	s_cbranch_execz .LBB796_1000
; %bb.995:                              ;   in Loop: Header=BB796_796 Depth=1
	v_cmp_ne_u16_e32 vcc, s22, v8
	v_mov_b32_e32 v12, 0xffff8000
	s_and_saveexec_b64 s[18:19], vcc
	s_cbranch_execz .LBB796_999
; %bb.996:                              ;   in Loop: Header=BB796_796 Depth=1
	v_and_b32_e32 v14, 0x7f, v8
	v_cmp_ne_u32_e32 vcc, s24, v14
	v_mov_b32_e32 v12, 0x7f80
	s_and_saveexec_b64 s[20:21], vcc
	s_cbranch_execz .LBB796_998
; %bb.997:                              ;   in Loop: Header=BB796_796 Depth=1
	v_and_b32_e32 v12, 7, v8
	v_ffbh_u32_e32 v16, v12
	v_min_u32_e32 v19, 32, v16
	v_subrev_u32_e32 v16, 28, v19
	v_lshlrev_b64 v[16:17], v16, v[8:9]
	v_lshrrev_b32_e32 v18, 3, v14
	v_sub_u32_e32 v8, 29, v19
	v_and_b32_e32 v16, 7, v16
	v_cmp_gt_u32_e32 vcc, 8, v14
	v_cndmask_b32_e32 v8, v18, v8, vcc
	v_cndmask_b32_e32 v12, v12, v16, vcc
	v_lshlrev_b32_e32 v14, 16, v6
	v_lshlrev_b32_e32 v12, 20, v12
	v_and_b32_e32 v14, 0x80000000, v14
	v_lshl_add_u32 v8, v8, 23, v10
	v_or3_b32 v8, v14, v8, v12
	v_lshrrev_b32_e32 v12, 16, v8
.LBB796_998:                            ;   in Loop: Header=BB796_796 Depth=1
	s_or_b64 exec, exec, s[20:21]
.LBB796_999:                            ;   in Loop: Header=BB796_796 Depth=1
	s_or_b64 exec, exec, s[18:19]
.LBB796_1000:                           ;   in Loop: Header=BB796_796 Depth=1
	s_or_b64 exec, exec, s[16:17]
	v_lshrrev_b32_e32 v8, 16, v6
	v_cmp_ne_u16_sdwa s[18:19], v8, v9 src0_sel:BYTE_0 src1_sel:DWORD
	s_and_saveexec_b64 s[16:17], s[18:19]
	s_cbranch_execz .LBB796_1006
; %bb.1001:                             ;   in Loop: Header=BB796_796 Depth=1
	v_cmp_ne_u16_sdwa s[20:21], v8, s22 src0_sel:BYTE_0 src1_sel:DWORD
	v_mov_b32_e32 v15, 0xffff8000
	s_and_saveexec_b64 s[18:19], s[20:21]
	s_cbranch_execz .LBB796_1005
; %bb.1002:                             ;   in Loop: Header=BB796_796 Depth=1
	v_bfe_u32 v14, v6, 16, 7
	v_cmp_ne_u32_e32 vcc, s24, v14
	v_mov_b32_e32 v15, 0x7f80
	s_and_saveexec_b64 s[20:21], vcc
	s_cbranch_execz .LBB796_1004
; %bb.1003:                             ;   in Loop: Header=BB796_796 Depth=1
	v_and_b32_e32 v15, 7, v8
	v_ffbh_u32_e32 v16, v15
	v_min_u32_e32 v19, 32, v16
	v_subrev_u32_e32 v16, 28, v19
	v_lshlrev_b64 v[16:17], v16, v[8:9]
	v_lshrrev_b32_e32 v18, 3, v14
	v_sub_u32_e32 v17, 29, v19
	v_and_b32_e32 v16, 7, v16
	v_cmp_gt_u32_e32 vcc, 8, v14
	v_cndmask_b32_e32 v14, v18, v17, vcc
	v_cndmask_b32_e32 v15, v15, v16, vcc
	v_lshlrev_b32_e32 v8, 24, v8
	v_lshlrev_b32_e32 v15, 20, v15
	v_and_b32_e32 v8, 0x80000000, v8
	v_lshl_add_u32 v14, v14, 23, v10
	v_or3_b32 v8, v8, v14, v15
	v_lshrrev_b32_e32 v15, 16, v8
.LBB796_1004:                           ;   in Loop: Header=BB796_796 Depth=1
	s_or_b64 exec, exec, s[20:21]
.LBB796_1005:                           ;   in Loop: Header=BB796_796 Depth=1
	s_or_b64 exec, exec, s[18:19]
.LBB796_1006:                           ;   in Loop: Header=BB796_796 Depth=1
	s_or_b64 exec, exec, s[16:17]
	v_cmp_lt_u32_e32 vcc, s25, v6
	v_mov_b32_e32 v16, 0
	v_mov_b32_e32 v17, 0
	s_and_saveexec_b64 s[16:17], vcc
	s_cbranch_execz .LBB796_1012
; %bb.1007:                             ;   in Loop: Header=BB796_796 Depth=1
	v_lshrrev_b32_e32 v8, 24, v6
	v_cmp_ne_u32_e32 vcc, s22, v8
	v_mov_b32_e32 v17, 0xffff8000
	s_and_saveexec_b64 s[18:19], vcc
	s_cbranch_execz .LBB796_1011
; %bb.1008:                             ;   in Loop: Header=BB796_796 Depth=1
	v_bfe_u32 v6, v6, 24, 7
	v_cmp_ne_u32_e32 vcc, s24, v6
	v_mov_b32_e32 v17, 0x7f80
	s_and_saveexec_b64 s[20:21], vcc
	s_cbranch_execz .LBB796_1010
; %bb.1009:                             ;   in Loop: Header=BB796_796 Depth=1
	v_and_b32_e32 v14, 7, v8
	v_ffbh_u32_e32 v18, v14
	v_min_u32_e32 v20, 32, v18
	v_subrev_u32_e32 v18, 28, v20
	v_lshlrev_b64 v[18:19], v18, v[8:9]
	v_lshrrev_b32_e32 v17, 3, v6
	v_sub_u32_e32 v19, 29, v20
	v_and_b32_e32 v18, 7, v18
	v_cmp_gt_u32_e32 vcc, 8, v6
	v_cndmask_b32_e32 v6, v17, v19, vcc
	v_cndmask_b32_e32 v14, v14, v18, vcc
	v_lshlrev_b32_e32 v8, 24, v8
	v_lshlrev_b32_e32 v14, 20, v14
	v_and_b32_e32 v8, 0x80000000, v8
	v_lshl_add_u32 v6, v6, 23, v10
	v_or3_b32 v6, v8, v6, v14
	v_lshrrev_b32_e32 v17, 16, v6
.LBB796_1010:                           ;   in Loop: Header=BB796_796 Depth=1
	s_or_b64 exec, exec, s[20:21]
.LBB796_1011:                           ;   in Loop: Header=BB796_796 Depth=1
	s_or_b64 exec, exec, s[18:19]
.LBB796_1012:                           ;   in Loop: Header=BB796_796 Depth=1
	s_or_b64 exec, exec, s[16:17]
	s_waitcnt vmcnt(0)
	v_cmp_ne_u16_sdwa s[18:19], v4, v9 src0_sel:BYTE_0 src1_sel:DWORD
	s_and_saveexec_b64 s[16:17], s[18:19]
	s_cbranch_execz .LBB796_1018
; %bb.1013:                             ;   in Loop: Header=BB796_796 Depth=1
	v_cmp_ne_u16_sdwa s[20:21], v4, s22 src0_sel:BYTE_0 src1_sel:DWORD
	v_mov_b32_e32 v16, 0xffff8000
	s_and_saveexec_b64 s[18:19], s[20:21]
	s_cbranch_execz .LBB796_1017
; %bb.1014:                             ;   in Loop: Header=BB796_796 Depth=1
	v_and_b32_e32 v6, 0x7f, v4
	v_cmp_ne_u32_e32 vcc, s24, v6
	v_mov_b32_e32 v16, 0x7f80
	s_and_saveexec_b64 s[20:21], vcc
	s_cbranch_execz .LBB796_1016
; %bb.1015:                             ;   in Loop: Header=BB796_796 Depth=1
	v_and_b32_e32 v8, 7, v4
	v_ffbh_u32_e32 v16, v8
	v_min_u32_e32 v16, 32, v16
	v_subrev_u32_e32 v18, 28, v16
	v_lshlrev_b64 v[18:19], v18, v[4:5]
	v_lshrrev_b32_e32 v14, 3, v6
	v_sub_u32_e32 v16, 29, v16
	v_and_b32_e32 v18, 7, v18
	v_cmp_gt_u32_e32 vcc, 8, v6
	v_cndmask_b32_e32 v6, v14, v16, vcc
	v_cndmask_b32_e32 v8, v8, v18, vcc
	v_lshlrev_b32_e32 v14, 24, v4
	v_lshlrev_b32_e32 v8, 20, v8
	v_and_b32_e32 v14, 0x80000000, v14
	v_lshl_add_u32 v6, v6, 23, v10
	v_or3_b32 v6, v14, v6, v8
	v_lshrrev_b32_e32 v16, 16, v6
.LBB796_1016:                           ;   in Loop: Header=BB796_796 Depth=1
	s_or_b64 exec, exec, s[20:21]
.LBB796_1017:                           ;   in Loop: Header=BB796_796 Depth=1
	s_or_b64 exec, exec, s[18:19]
.LBB796_1018:                           ;   in Loop: Header=BB796_796 Depth=1
	s_or_b64 exec, exec, s[16:17]
	v_lshrrev_b16_e32 v6, 8, v4
	v_cmp_ne_u16_e32 vcc, 0, v6
	v_mov_b32_e32 v18, 0
	v_mov_b32_e32 v8, 0
	s_and_saveexec_b64 s[16:17], vcc
	s_cbranch_execz .LBB796_1024
; %bb.1019:                             ;   in Loop: Header=BB796_796 Depth=1
	v_cmp_ne_u16_e32 vcc, s22, v6
	v_mov_b32_e32 v8, 0xffff8000
	s_and_saveexec_b64 s[18:19], vcc
	s_cbranch_execz .LBB796_1023
; %bb.1020:                             ;   in Loop: Header=BB796_796 Depth=1
	v_and_b32_e32 v14, 0x7f, v6
	v_cmp_ne_u32_e32 vcc, s24, v14
	v_mov_b32_e32 v8, 0x7f80
	s_and_saveexec_b64 s[20:21], vcc
	s_cbranch_execz .LBB796_1022
; %bb.1021:                             ;   in Loop: Header=BB796_796 Depth=1
	v_and_b32_e32 v8, 7, v6
	v_ffbh_u32_e32 v20, v8
	v_min_u32_e32 v22, 32, v20
	v_subrev_u32_e32 v20, 28, v22
	v_lshlrev_b64 v[20:21], v20, v[6:7]
	v_lshrrev_b32_e32 v19, 3, v14
	v_sub_u32_e32 v6, 29, v22
	v_and_b32_e32 v20, 7, v20
	v_cmp_gt_u32_e32 vcc, 8, v14
	v_cndmask_b32_e32 v6, v19, v6, vcc
	v_cndmask_b32_e32 v8, v8, v20, vcc
	v_lshlrev_b32_e32 v14, 16, v4
	v_lshlrev_b32_e32 v8, 20, v8
	v_and_b32_e32 v14, 0x80000000, v14
	v_lshl_add_u32 v6, v6, 23, v10
	v_or3_b32 v6, v14, v6, v8
	v_lshrrev_b32_e32 v8, 16, v6
.LBB796_1022:                           ;   in Loop: Header=BB796_796 Depth=1
	s_or_b64 exec, exec, s[20:21]
.LBB796_1023:                           ;   in Loop: Header=BB796_796 Depth=1
	s_or_b64 exec, exec, s[18:19]
.LBB796_1024:                           ;   in Loop: Header=BB796_796 Depth=1
	s_or_b64 exec, exec, s[16:17]
	v_lshrrev_b32_e32 v6, 16, v4
	v_cmp_ne_u16_sdwa s[18:19], v6, v9 src0_sel:BYTE_0 src1_sel:DWORD
	s_and_saveexec_b64 s[16:17], s[18:19]
	s_cbranch_execz .LBB796_1030
; %bb.1025:                             ;   in Loop: Header=BB796_796 Depth=1
	v_cmp_ne_u16_sdwa s[20:21], v6, s22 src0_sel:BYTE_0 src1_sel:DWORD
	v_mov_b32_e32 v18, 0xffff8000
	s_and_saveexec_b64 s[18:19], s[20:21]
	s_cbranch_execz .LBB796_1029
; %bb.1026:                             ;   in Loop: Header=BB796_796 Depth=1
	v_bfe_u32 v14, v4, 16, 7
	v_cmp_ne_u32_e32 vcc, s24, v14
	v_mov_b32_e32 v18, 0x7f80
	s_and_saveexec_b64 s[20:21], vcc
	s_cbranch_execz .LBB796_1028
; %bb.1027:                             ;   in Loop: Header=BB796_796 Depth=1
	v_and_b32_e32 v20, 7, v6
	v_ffbh_u32_e32 v18, v20
	v_min_u32_e32 v22, 32, v18
	v_subrev_u32_e32 v18, 28, v22
	v_lshlrev_b64 v[18:19], v18, v[6:7]
	v_lshrrev_b32_e32 v21, 3, v14
	v_sub_u32_e32 v19, 29, v22
	v_and_b32_e32 v18, 7, v18
	v_cmp_gt_u32_e32 vcc, 8, v14
	v_cndmask_b32_e32 v14, v21, v19, vcc
	v_cndmask_b32_e32 v18, v20, v18, vcc
	v_lshlrev_b32_e32 v6, 24, v6
	v_lshlrev_b32_e32 v18, 20, v18
	v_and_b32_e32 v6, 0x80000000, v6
	v_lshl_add_u32 v14, v14, 23, v10
	v_or3_b32 v6, v6, v14, v18
	v_lshrrev_b32_e32 v18, 16, v6
.LBB796_1028:                           ;   in Loop: Header=BB796_796 Depth=1
	s_or_b64 exec, exec, s[20:21]
.LBB796_1029:                           ;   in Loop: Header=BB796_796 Depth=1
	s_or_b64 exec, exec, s[18:19]
.LBB796_1030:                           ;   in Loop: Header=BB796_796 Depth=1
	s_or_b64 exec, exec, s[16:17]
	v_cmp_lt_u32_e32 vcc, s25, v4
	v_mov_b32_e32 v14, 0
	v_mov_b32_e32 v19, 0
	s_and_saveexec_b64 s[16:17], vcc
	s_cbranch_execz .LBB796_1036
; %bb.1031:                             ;   in Loop: Header=BB796_796 Depth=1
	v_lshrrev_b32_e32 v6, 24, v4
	v_cmp_ne_u32_e32 vcc, s22, v6
	v_mov_b32_e32 v19, 0xffff8000
	s_and_saveexec_b64 s[18:19], vcc
	s_cbranch_execz .LBB796_1035
; %bb.1032:                             ;   in Loop: Header=BB796_796 Depth=1
	v_bfe_u32 v4, v4, 24, 7
	v_cmp_ne_u32_e32 vcc, s24, v4
	v_mov_b32_e32 v19, 0x7f80
	s_and_saveexec_b64 s[20:21], vcc
	s_cbranch_execz .LBB796_1034
; %bb.1033:                             ;   in Loop: Header=BB796_796 Depth=1
	v_and_b32_e32 v19, 7, v6
	v_ffbh_u32_e32 v20, v19
	v_min_u32_e32 v23, 32, v20
	v_subrev_u32_e32 v20, 28, v23
	v_lshlrev_b64 v[20:21], v20, v[6:7]
	v_lshrrev_b32_e32 v22, 3, v4
	v_sub_u32_e32 v21, 29, v23
	v_and_b32_e32 v20, 7, v20
	v_cmp_gt_u32_e32 vcc, 8, v4
	v_cndmask_b32_e32 v4, v22, v21, vcc
	v_cndmask_b32_e32 v19, v19, v20, vcc
	v_lshlrev_b32_e32 v6, 24, v6
	v_lshlrev_b32_e32 v19, 20, v19
	v_and_b32_e32 v6, 0x80000000, v6
	v_lshl_add_u32 v4, v4, 23, v10
	v_or3_b32 v4, v6, v4, v19
	v_lshrrev_b32_e32 v19, 16, v4
.LBB796_1034:                           ;   in Loop: Header=BB796_796 Depth=1
	s_or_b64 exec, exec, s[20:21]
.LBB796_1035:                           ;   in Loop: Header=BB796_796 Depth=1
	s_or_b64 exec, exec, s[18:19]
.LBB796_1036:                           ;   in Loop: Header=BB796_796 Depth=1
	s_or_b64 exec, exec, s[16:17]
	buffer_load_dword v6, v11, s[0:3], 0 offen offset:40
	buffer_load_dword v4, v11, s[0:3], 0 offen offset:44
	v_perm_b32 v21, v17, v15, s26
	v_perm_b32 v20, v12, v13, s26
	;; [unrolled: 1-line block ×4, first 2 shown]
	v_mfma_f32_4x4x4bf16_1k a[0:3], v[2:3], v[20:21], a[0:3] cbsz:4 abid:8
	s_waitcnt vmcnt(1)
	v_cmp_ne_u16_sdwa s[18:19], v6, v9 src0_sel:BYTE_0 src1_sel:DWORD
	v_mfma_f32_4x4x4bf16_1k a[0:3], v[2:3], v[12:13], a[0:3] cbsz:4 abid:9
	s_and_saveexec_b64 s[16:17], s[18:19]
	s_cbranch_execz .LBB796_1042
; %bb.1037:                             ;   in Loop: Header=BB796_796 Depth=1
	v_cmp_ne_u16_sdwa s[20:21], v6, s22 src0_sel:BYTE_0 src1_sel:DWORD
	v_mov_b32_e32 v14, 0xffff8000
	s_and_saveexec_b64 s[18:19], s[20:21]
	s_cbranch_execz .LBB796_1041
; %bb.1038:                             ;   in Loop: Header=BB796_796 Depth=1
	v_and_b32_e32 v8, 0x7f, v6
	v_cmp_ne_u32_e32 vcc, s24, v8
	v_mov_b32_e32 v14, 0x7f80
	s_and_saveexec_b64 s[20:21], vcc
	s_cbranch_execz .LBB796_1040
; %bb.1039:                             ;   in Loop: Header=BB796_796 Depth=1
	v_and_b32_e32 v14, 7, v6
	v_ffbh_u32_e32 v12, v14
	v_min_u32_e32 v16, 32, v12
	v_subrev_u32_e32 v12, 28, v16
	v_lshlrev_b64 v[12:13], v12, v[6:7]
	v_lshrrev_b32_e32 v15, 3, v8
	v_sub_u32_e32 v13, 29, v16
	v_and_b32_e32 v12, 7, v12
	v_cmp_gt_u32_e32 vcc, 8, v8
	v_cndmask_b32_e32 v8, v15, v13, vcc
	v_cndmask_b32_e32 v12, v14, v12, vcc
	v_lshlrev_b32_e32 v13, 24, v6
	v_lshlrev_b32_e32 v12, 20, v12
	v_and_b32_e32 v13, 0x80000000, v13
	v_lshl_add_u32 v8, v8, 23, v10
	v_or3_b32 v8, v13, v8, v12
	v_lshrrev_b32_e32 v14, 16, v8
.LBB796_1040:                           ;   in Loop: Header=BB796_796 Depth=1
	s_or_b64 exec, exec, s[20:21]
.LBB796_1041:                           ;   in Loop: Header=BB796_796 Depth=1
	s_or_b64 exec, exec, s[18:19]
.LBB796_1042:                           ;   in Loop: Header=BB796_796 Depth=1
	s_or_b64 exec, exec, s[16:17]
	v_lshrrev_b16_e32 v8, 8, v6
	v_cmp_ne_u16_e32 vcc, 0, v8
	v_mov_b32_e32 v15, 0
	v_mov_b32_e32 v13, 0
	s_and_saveexec_b64 s[16:17], vcc
	s_cbranch_execz .LBB796_1048
; %bb.1043:                             ;   in Loop: Header=BB796_796 Depth=1
	v_cmp_ne_u16_e32 vcc, s22, v8
	v_mov_b32_e32 v13, 0xffff8000
	s_and_saveexec_b64 s[18:19], vcc
	s_cbranch_execz .LBB796_1047
; %bb.1044:                             ;   in Loop: Header=BB796_796 Depth=1
	v_and_b32_e32 v12, 0x7f, v8
	v_cmp_ne_u32_e32 vcc, s24, v12
	v_mov_b32_e32 v13, 0x7f80
	s_and_saveexec_b64 s[20:21], vcc
	s_cbranch_execz .LBB796_1046
; %bb.1045:                             ;   in Loop: Header=BB796_796 Depth=1
	v_and_b32_e32 v13, 7, v8
	v_ffbh_u32_e32 v16, v13
	v_min_u32_e32 v19, 32, v16
	v_subrev_u32_e32 v16, 28, v19
	v_lshlrev_b64 v[16:17], v16, v[8:9]
	v_lshrrev_b32_e32 v18, 3, v12
	v_sub_u32_e32 v8, 29, v19
	v_and_b32_e32 v16, 7, v16
	v_cmp_gt_u32_e32 vcc, 8, v12
	v_cndmask_b32_e32 v8, v18, v8, vcc
	v_cndmask_b32_e32 v12, v13, v16, vcc
	v_lshlrev_b32_e32 v13, 16, v6
	v_lshlrev_b32_e32 v12, 20, v12
	v_and_b32_e32 v13, 0x80000000, v13
	v_lshl_add_u32 v8, v8, 23, v10
	v_or3_b32 v8, v13, v8, v12
	v_lshrrev_b32_e32 v13, 16, v8
.LBB796_1046:                           ;   in Loop: Header=BB796_796 Depth=1
	s_or_b64 exec, exec, s[20:21]
.LBB796_1047:                           ;   in Loop: Header=BB796_796 Depth=1
	s_or_b64 exec, exec, s[18:19]
.LBB796_1048:                           ;   in Loop: Header=BB796_796 Depth=1
	s_or_b64 exec, exec, s[16:17]
	v_lshrrev_b32_e32 v8, 16, v6
	v_cmp_ne_u16_sdwa s[18:19], v8, v9 src0_sel:BYTE_0 src1_sel:DWORD
	s_and_saveexec_b64 s[16:17], s[18:19]
	s_cbranch_execz .LBB796_1054
; %bb.1049:                             ;   in Loop: Header=BB796_796 Depth=1
	v_cmp_ne_u16_sdwa s[20:21], v8, s22 src0_sel:BYTE_0 src1_sel:DWORD
	v_mov_b32_e32 v15, 0xffff8000
	s_and_saveexec_b64 s[18:19], s[20:21]
	s_cbranch_execz .LBB796_1053
; %bb.1050:                             ;   in Loop: Header=BB796_796 Depth=1
	v_bfe_u32 v12, v6, 16, 7
	v_cmp_ne_u32_e32 vcc, s24, v12
	v_mov_b32_e32 v15, 0x7f80
	s_and_saveexec_b64 s[20:21], vcc
	s_cbranch_execz .LBB796_1052
; %bb.1051:                             ;   in Loop: Header=BB796_796 Depth=1
	v_and_b32_e32 v15, 7, v8
	v_ffbh_u32_e32 v16, v15
	v_min_u32_e32 v19, 32, v16
	v_subrev_u32_e32 v16, 28, v19
	v_lshlrev_b64 v[16:17], v16, v[8:9]
	v_lshrrev_b32_e32 v18, 3, v12
	v_sub_u32_e32 v17, 29, v19
	v_and_b32_e32 v16, 7, v16
	v_cmp_gt_u32_e32 vcc, 8, v12
	v_cndmask_b32_e32 v12, v18, v17, vcc
	v_cndmask_b32_e32 v15, v15, v16, vcc
	v_lshlrev_b32_e32 v8, 24, v8
	v_lshlrev_b32_e32 v15, 20, v15
	v_and_b32_e32 v8, 0x80000000, v8
	v_lshl_add_u32 v12, v12, 23, v10
	v_or3_b32 v8, v8, v12, v15
	v_lshrrev_b32_e32 v15, 16, v8
.LBB796_1052:                           ;   in Loop: Header=BB796_796 Depth=1
	s_or_b64 exec, exec, s[20:21]
.LBB796_1053:                           ;   in Loop: Header=BB796_796 Depth=1
	s_or_b64 exec, exec, s[18:19]
.LBB796_1054:                           ;   in Loop: Header=BB796_796 Depth=1
	s_or_b64 exec, exec, s[16:17]
	v_cmp_lt_u32_e32 vcc, s25, v6
	v_mov_b32_e32 v16, 0
	v_mov_b32_e32 v17, 0
	s_and_saveexec_b64 s[16:17], vcc
	s_cbranch_execz .LBB796_1060
; %bb.1055:                             ;   in Loop: Header=BB796_796 Depth=1
	v_lshrrev_b32_e32 v8, 24, v6
	v_cmp_ne_u32_e32 vcc, s22, v8
	v_mov_b32_e32 v17, 0xffff8000
	s_and_saveexec_b64 s[18:19], vcc
	s_cbranch_execz .LBB796_1059
; %bb.1056:                             ;   in Loop: Header=BB796_796 Depth=1
	v_bfe_u32 v6, v6, 24, 7
	v_cmp_ne_u32_e32 vcc, s24, v6
	v_mov_b32_e32 v17, 0x7f80
	s_and_saveexec_b64 s[20:21], vcc
	s_cbranch_execz .LBB796_1058
; %bb.1057:                             ;   in Loop: Header=BB796_796 Depth=1
	v_and_b32_e32 v12, 7, v8
	v_ffbh_u32_e32 v18, v12
	v_min_u32_e32 v20, 32, v18
	v_subrev_u32_e32 v18, 28, v20
	v_lshlrev_b64 v[18:19], v18, v[8:9]
	v_lshrrev_b32_e32 v17, 3, v6
	v_sub_u32_e32 v19, 29, v20
	v_and_b32_e32 v18, 7, v18
	v_cmp_gt_u32_e32 vcc, 8, v6
	v_cndmask_b32_e32 v6, v17, v19, vcc
	v_cndmask_b32_e32 v12, v12, v18, vcc
	v_lshlrev_b32_e32 v8, 24, v8
	v_lshlrev_b32_e32 v12, 20, v12
	v_and_b32_e32 v8, 0x80000000, v8
	v_lshl_add_u32 v6, v6, 23, v10
	v_or3_b32 v6, v8, v6, v12
	v_lshrrev_b32_e32 v17, 16, v6
.LBB796_1058:                           ;   in Loop: Header=BB796_796 Depth=1
	s_or_b64 exec, exec, s[20:21]
.LBB796_1059:                           ;   in Loop: Header=BB796_796 Depth=1
	s_or_b64 exec, exec, s[18:19]
.LBB796_1060:                           ;   in Loop: Header=BB796_796 Depth=1
	s_or_b64 exec, exec, s[16:17]
	s_waitcnt vmcnt(0)
	v_cmp_ne_u16_sdwa s[18:19], v4, v9 src0_sel:BYTE_0 src1_sel:DWORD
	s_and_saveexec_b64 s[16:17], s[18:19]
	s_cbranch_execz .LBB796_1066
; %bb.1061:                             ;   in Loop: Header=BB796_796 Depth=1
	v_cmp_ne_u16_sdwa s[20:21], v4, s22 src0_sel:BYTE_0 src1_sel:DWORD
	v_mov_b32_e32 v16, 0xffff8000
	s_and_saveexec_b64 s[18:19], s[20:21]
	s_cbranch_execz .LBB796_1065
; %bb.1062:                             ;   in Loop: Header=BB796_796 Depth=1
	v_and_b32_e32 v6, 0x7f, v4
	v_cmp_ne_u32_e32 vcc, s24, v6
	v_mov_b32_e32 v16, 0x7f80
	s_and_saveexec_b64 s[20:21], vcc
	s_cbranch_execz .LBB796_1064
; %bb.1063:                             ;   in Loop: Header=BB796_796 Depth=1
	v_and_b32_e32 v8, 7, v4
	v_ffbh_u32_e32 v16, v8
	v_min_u32_e32 v16, 32, v16
	v_subrev_u32_e32 v18, 28, v16
	v_lshlrev_b64 v[18:19], v18, v[4:5]
	v_lshrrev_b32_e32 v12, 3, v6
	v_sub_u32_e32 v16, 29, v16
	v_and_b32_e32 v18, 7, v18
	v_cmp_gt_u32_e32 vcc, 8, v6
	v_cndmask_b32_e32 v6, v12, v16, vcc
	v_cndmask_b32_e32 v8, v8, v18, vcc
	v_lshlrev_b32_e32 v12, 24, v4
	v_lshlrev_b32_e32 v8, 20, v8
	v_and_b32_e32 v12, 0x80000000, v12
	v_lshl_add_u32 v6, v6, 23, v10
	v_or3_b32 v6, v12, v6, v8
	v_lshrrev_b32_e32 v16, 16, v6
.LBB796_1064:                           ;   in Loop: Header=BB796_796 Depth=1
	s_or_b64 exec, exec, s[20:21]
.LBB796_1065:                           ;   in Loop: Header=BB796_796 Depth=1
	s_or_b64 exec, exec, s[18:19]
.LBB796_1066:                           ;   in Loop: Header=BB796_796 Depth=1
	s_or_b64 exec, exec, s[16:17]
	v_lshrrev_b16_e32 v6, 8, v4
	v_cmp_ne_u16_e32 vcc, 0, v6
	v_mov_b32_e32 v18, 0
	v_mov_b32_e32 v8, 0
	s_and_saveexec_b64 s[16:17], vcc
	s_cbranch_execz .LBB796_1072
; %bb.1067:                             ;   in Loop: Header=BB796_796 Depth=1
	v_cmp_ne_u16_e32 vcc, s22, v6
	v_mov_b32_e32 v8, 0xffff8000
	s_and_saveexec_b64 s[18:19], vcc
	s_cbranch_execz .LBB796_1071
; %bb.1068:                             ;   in Loop: Header=BB796_796 Depth=1
	v_and_b32_e32 v12, 0x7f, v6
	v_cmp_ne_u32_e32 vcc, s24, v12
	v_mov_b32_e32 v8, 0x7f80
	s_and_saveexec_b64 s[20:21], vcc
	s_cbranch_execz .LBB796_1070
; %bb.1069:                             ;   in Loop: Header=BB796_796 Depth=1
	v_and_b32_e32 v8, 7, v6
	v_ffbh_u32_e32 v20, v8
	v_min_u32_e32 v22, 32, v20
	v_subrev_u32_e32 v20, 28, v22
	v_lshlrev_b64 v[20:21], v20, v[6:7]
	v_lshrrev_b32_e32 v19, 3, v12
	v_sub_u32_e32 v6, 29, v22
	v_and_b32_e32 v20, 7, v20
	v_cmp_gt_u32_e32 vcc, 8, v12
	v_cndmask_b32_e32 v6, v19, v6, vcc
	v_cndmask_b32_e32 v8, v8, v20, vcc
	v_lshlrev_b32_e32 v12, 16, v4
	v_lshlrev_b32_e32 v8, 20, v8
	v_and_b32_e32 v12, 0x80000000, v12
	v_lshl_add_u32 v6, v6, 23, v10
	v_or3_b32 v6, v12, v6, v8
	v_lshrrev_b32_e32 v8, 16, v6
.LBB796_1070:                           ;   in Loop: Header=BB796_796 Depth=1
	s_or_b64 exec, exec, s[20:21]
.LBB796_1071:                           ;   in Loop: Header=BB796_796 Depth=1
	s_or_b64 exec, exec, s[18:19]
.LBB796_1072:                           ;   in Loop: Header=BB796_796 Depth=1
	s_or_b64 exec, exec, s[16:17]
	v_lshrrev_b32_e32 v6, 16, v4
	v_cmp_ne_u16_sdwa s[18:19], v6, v9 src0_sel:BYTE_0 src1_sel:DWORD
	s_and_saveexec_b64 s[16:17], s[18:19]
	s_cbranch_execz .LBB796_1078
; %bb.1073:                             ;   in Loop: Header=BB796_796 Depth=1
	v_cmp_ne_u16_sdwa s[20:21], v6, s22 src0_sel:BYTE_0 src1_sel:DWORD
	v_mov_b32_e32 v18, 0xffff8000
	s_and_saveexec_b64 s[18:19], s[20:21]
	s_cbranch_execz .LBB796_1077
; %bb.1074:                             ;   in Loop: Header=BB796_796 Depth=1
	v_bfe_u32 v12, v4, 16, 7
	v_cmp_ne_u32_e32 vcc, s24, v12
	v_mov_b32_e32 v18, 0x7f80
	s_and_saveexec_b64 s[20:21], vcc
	s_cbranch_execz .LBB796_1076
; %bb.1075:                             ;   in Loop: Header=BB796_796 Depth=1
	v_and_b32_e32 v20, 7, v6
	v_ffbh_u32_e32 v18, v20
	v_min_u32_e32 v22, 32, v18
	v_subrev_u32_e32 v18, 28, v22
	v_lshlrev_b64 v[18:19], v18, v[6:7]
	v_lshrrev_b32_e32 v21, 3, v12
	v_sub_u32_e32 v19, 29, v22
	v_and_b32_e32 v18, 7, v18
	v_cmp_gt_u32_e32 vcc, 8, v12
	v_cndmask_b32_e32 v12, v21, v19, vcc
	v_cndmask_b32_e32 v18, v20, v18, vcc
	v_lshlrev_b32_e32 v6, 24, v6
	v_lshlrev_b32_e32 v18, 20, v18
	v_and_b32_e32 v6, 0x80000000, v6
	v_lshl_add_u32 v12, v12, 23, v10
	v_or3_b32 v6, v6, v12, v18
	v_lshrrev_b32_e32 v18, 16, v6
.LBB796_1076:                           ;   in Loop: Header=BB796_796 Depth=1
	s_or_b64 exec, exec, s[20:21]
.LBB796_1077:                           ;   in Loop: Header=BB796_796 Depth=1
	s_or_b64 exec, exec, s[18:19]
.LBB796_1078:                           ;   in Loop: Header=BB796_796 Depth=1
	s_or_b64 exec, exec, s[16:17]
	v_cmp_lt_u32_e32 vcc, s25, v4
	v_mov_b32_e32 v12, 0
	v_mov_b32_e32 v19, 0
	s_and_saveexec_b64 s[16:17], vcc
	s_cbranch_execz .LBB796_1084
; %bb.1079:                             ;   in Loop: Header=BB796_796 Depth=1
	v_lshrrev_b32_e32 v6, 24, v4
	v_cmp_ne_u32_e32 vcc, s22, v6
	v_mov_b32_e32 v19, 0xffff8000
	s_and_saveexec_b64 s[18:19], vcc
	s_cbranch_execz .LBB796_1083
; %bb.1080:                             ;   in Loop: Header=BB796_796 Depth=1
	v_bfe_u32 v4, v4, 24, 7
	v_cmp_ne_u32_e32 vcc, s24, v4
	v_mov_b32_e32 v19, 0x7f80
	s_and_saveexec_b64 s[20:21], vcc
	s_cbranch_execz .LBB796_1082
; %bb.1081:                             ;   in Loop: Header=BB796_796 Depth=1
	v_and_b32_e32 v19, 7, v6
	v_ffbh_u32_e32 v20, v19
	v_min_u32_e32 v23, 32, v20
	v_subrev_u32_e32 v20, 28, v23
	v_lshlrev_b64 v[20:21], v20, v[6:7]
	v_lshrrev_b32_e32 v22, 3, v4
	v_sub_u32_e32 v21, 29, v23
	v_and_b32_e32 v20, 7, v20
	v_cmp_gt_u32_e32 vcc, 8, v4
	v_cndmask_b32_e32 v4, v22, v21, vcc
	v_cndmask_b32_e32 v19, v19, v20, vcc
	v_lshlrev_b32_e32 v6, 24, v6
	v_lshlrev_b32_e32 v19, 20, v19
	v_and_b32_e32 v6, 0x80000000, v6
	v_lshl_add_u32 v4, v4, 23, v10
	v_or3_b32 v4, v6, v4, v19
	v_lshrrev_b32_e32 v19, 16, v4
.LBB796_1082:                           ;   in Loop: Header=BB796_796 Depth=1
	s_or_b64 exec, exec, s[20:21]
.LBB796_1083:                           ;   in Loop: Header=BB796_796 Depth=1
	s_or_b64 exec, exec, s[18:19]
.LBB796_1084:                           ;   in Loop: Header=BB796_796 Depth=1
	s_or_b64 exec, exec, s[16:17]
	buffer_load_dword v6, v11, s[0:3], 0 offen offset:48
	buffer_load_dword v4, v11, s[0:3], 0 offen offset:52
	v_perm_b32 v15, v17, v15, s26
	v_perm_b32 v14, v13, v14, s26
	;; [unrolled: 1-line block ×4, first 2 shown]
	v_mfma_f32_4x4x4bf16_1k a[0:3], v[2:3], v[14:15], a[0:3] cbsz:4 abid:10
	s_waitcnt vmcnt(1)
	v_cmp_ne_u16_sdwa s[18:19], v6, v9 src0_sel:BYTE_0 src1_sel:DWORD
	v_mfma_f32_4x4x4bf16_1k a[0:3], v[2:3], v[16:17], a[0:3] cbsz:4 abid:11
	s_and_saveexec_b64 s[16:17], s[18:19]
	s_cbranch_execz .LBB796_1090
; %bb.1085:                             ;   in Loop: Header=BB796_796 Depth=1
	v_cmp_ne_u16_sdwa s[20:21], v6, s22 src0_sel:BYTE_0 src1_sel:DWORD
	v_mov_b32_e32 v12, 0xffff8000
	s_and_saveexec_b64 s[18:19], s[20:21]
	s_cbranch_execz .LBB796_1089
; %bb.1086:                             ;   in Loop: Header=BB796_796 Depth=1
	v_and_b32_e32 v8, 0x7f, v6
	v_cmp_ne_u32_e32 vcc, s24, v8
	v_mov_b32_e32 v12, 0x7f80
	s_and_saveexec_b64 s[20:21], vcc
	s_cbranch_execz .LBB796_1088
; %bb.1087:                             ;   in Loop: Header=BB796_796 Depth=1
	v_and_b32_e32 v14, 7, v6
	v_ffbh_u32_e32 v12, v14
	v_min_u32_e32 v16, 32, v12
	v_subrev_u32_e32 v12, 28, v16
	v_lshlrev_b64 v[12:13], v12, v[6:7]
	v_lshrrev_b32_e32 v15, 3, v8
	v_sub_u32_e32 v13, 29, v16
	v_and_b32_e32 v12, 7, v12
	v_cmp_gt_u32_e32 vcc, 8, v8
	v_cndmask_b32_e32 v8, v15, v13, vcc
	v_cndmask_b32_e32 v12, v14, v12, vcc
	v_lshlrev_b32_e32 v13, 24, v6
	v_lshlrev_b32_e32 v12, 20, v12
	v_and_b32_e32 v13, 0x80000000, v13
	v_lshl_add_u32 v8, v8, 23, v10
	v_or3_b32 v8, v13, v8, v12
	v_lshrrev_b32_e32 v12, 16, v8
.LBB796_1088:                           ;   in Loop: Header=BB796_796 Depth=1
	s_or_b64 exec, exec, s[20:21]
.LBB796_1089:                           ;   in Loop: Header=BB796_796 Depth=1
	s_or_b64 exec, exec, s[18:19]
.LBB796_1090:                           ;   in Loop: Header=BB796_796 Depth=1
	s_or_b64 exec, exec, s[16:17]
	v_lshrrev_b16_e32 v8, 8, v6
	v_cmp_ne_u16_e32 vcc, 0, v8
	v_mov_b32_e32 v15, 0
	v_mov_b32_e32 v14, 0
	s_and_saveexec_b64 s[16:17], vcc
	s_cbranch_execz .LBB796_1096
; %bb.1091:                             ;   in Loop: Header=BB796_796 Depth=1
	v_cmp_ne_u16_e32 vcc, s22, v8
	v_mov_b32_e32 v14, 0xffff8000
	s_and_saveexec_b64 s[18:19], vcc
	s_cbranch_execz .LBB796_1095
; %bb.1092:                             ;   in Loop: Header=BB796_796 Depth=1
	v_and_b32_e32 v13, 0x7f, v8
	v_cmp_ne_u32_e32 vcc, s24, v13
	v_mov_b32_e32 v14, 0x7f80
	s_and_saveexec_b64 s[20:21], vcc
	s_cbranch_execz .LBB796_1094
; %bb.1093:                             ;   in Loop: Header=BB796_796 Depth=1
	v_and_b32_e32 v14, 7, v8
	v_ffbh_u32_e32 v16, v14
	v_min_u32_e32 v19, 32, v16
	v_subrev_u32_e32 v16, 28, v19
	v_lshlrev_b64 v[16:17], v16, v[8:9]
	v_lshrrev_b32_e32 v18, 3, v13
	v_sub_u32_e32 v8, 29, v19
	v_and_b32_e32 v16, 7, v16
	v_cmp_gt_u32_e32 vcc, 8, v13
	v_cndmask_b32_e32 v8, v18, v8, vcc
	v_cndmask_b32_e32 v13, v14, v16, vcc
	v_lshlrev_b32_e32 v14, 16, v6
	v_lshlrev_b32_e32 v13, 20, v13
	v_and_b32_e32 v14, 0x80000000, v14
	v_lshl_add_u32 v8, v8, 23, v10
	v_or3_b32 v8, v14, v8, v13
	v_lshrrev_b32_e32 v14, 16, v8
.LBB796_1094:                           ;   in Loop: Header=BB796_796 Depth=1
	s_or_b64 exec, exec, s[20:21]
.LBB796_1095:                           ;   in Loop: Header=BB796_796 Depth=1
	s_or_b64 exec, exec, s[18:19]
.LBB796_1096:                           ;   in Loop: Header=BB796_796 Depth=1
	s_or_b64 exec, exec, s[16:17]
	v_lshrrev_b32_e32 v8, 16, v6
	v_cmp_ne_u16_sdwa s[18:19], v8, v9 src0_sel:BYTE_0 src1_sel:DWORD
	s_and_saveexec_b64 s[16:17], s[18:19]
	s_cbranch_execz .LBB796_1102
; %bb.1097:                             ;   in Loop: Header=BB796_796 Depth=1
	v_cmp_ne_u16_sdwa s[20:21], v8, s22 src0_sel:BYTE_0 src1_sel:DWORD
	v_mov_b32_e32 v15, 0xffff8000
	s_and_saveexec_b64 s[18:19], s[20:21]
	s_cbranch_execz .LBB796_1101
; %bb.1098:                             ;   in Loop: Header=BB796_796 Depth=1
	v_bfe_u32 v13, v6, 16, 7
	v_cmp_ne_u32_e32 vcc, s24, v13
	v_mov_b32_e32 v15, 0x7f80
	s_and_saveexec_b64 s[20:21], vcc
	s_cbranch_execz .LBB796_1100
; %bb.1099:                             ;   in Loop: Header=BB796_796 Depth=1
	v_and_b32_e32 v15, 7, v8
	v_ffbh_u32_e32 v16, v15
	v_min_u32_e32 v19, 32, v16
	v_subrev_u32_e32 v16, 28, v19
	v_lshlrev_b64 v[16:17], v16, v[8:9]
	v_lshrrev_b32_e32 v18, 3, v13
	v_sub_u32_e32 v17, 29, v19
	v_and_b32_e32 v16, 7, v16
	v_cmp_gt_u32_e32 vcc, 8, v13
	v_cndmask_b32_e32 v13, v18, v17, vcc
	v_cndmask_b32_e32 v15, v15, v16, vcc
	v_lshlrev_b32_e32 v8, 24, v8
	v_lshlrev_b32_e32 v15, 20, v15
	v_and_b32_e32 v8, 0x80000000, v8
	v_lshl_add_u32 v13, v13, 23, v10
	v_or3_b32 v8, v8, v13, v15
	v_lshrrev_b32_e32 v15, 16, v8
.LBB796_1100:                           ;   in Loop: Header=BB796_796 Depth=1
	s_or_b64 exec, exec, s[20:21]
.LBB796_1101:                           ;   in Loop: Header=BB796_796 Depth=1
	s_or_b64 exec, exec, s[18:19]
.LBB796_1102:                           ;   in Loop: Header=BB796_796 Depth=1
	s_or_b64 exec, exec, s[16:17]
	v_cmp_lt_u32_e32 vcc, s25, v6
	v_mov_b32_e32 v16, 0
	v_mov_b32_e32 v17, 0
	s_and_saveexec_b64 s[16:17], vcc
	s_cbranch_execz .LBB796_1108
; %bb.1103:                             ;   in Loop: Header=BB796_796 Depth=1
	v_lshrrev_b32_e32 v8, 24, v6
	v_cmp_ne_u32_e32 vcc, s22, v8
	v_mov_b32_e32 v17, 0xffff8000
	s_and_saveexec_b64 s[18:19], vcc
	s_cbranch_execz .LBB796_1107
; %bb.1104:                             ;   in Loop: Header=BB796_796 Depth=1
	v_bfe_u32 v6, v6, 24, 7
	v_cmp_ne_u32_e32 vcc, s24, v6
	v_mov_b32_e32 v17, 0x7f80
	s_and_saveexec_b64 s[20:21], vcc
	s_cbranch_execz .LBB796_1106
; %bb.1105:                             ;   in Loop: Header=BB796_796 Depth=1
	v_and_b32_e32 v13, 7, v8
	v_ffbh_u32_e32 v18, v13
	v_min_u32_e32 v20, 32, v18
	v_subrev_u32_e32 v18, 28, v20
	v_lshlrev_b64 v[18:19], v18, v[8:9]
	v_lshrrev_b32_e32 v17, 3, v6
	v_sub_u32_e32 v19, 29, v20
	v_and_b32_e32 v18, 7, v18
	v_cmp_gt_u32_e32 vcc, 8, v6
	v_cndmask_b32_e32 v6, v17, v19, vcc
	v_cndmask_b32_e32 v13, v13, v18, vcc
	v_lshlrev_b32_e32 v8, 24, v8
	v_lshlrev_b32_e32 v13, 20, v13
	v_and_b32_e32 v8, 0x80000000, v8
	v_lshl_add_u32 v6, v6, 23, v10
	v_or3_b32 v6, v8, v6, v13
	v_lshrrev_b32_e32 v17, 16, v6
.LBB796_1106:                           ;   in Loop: Header=BB796_796 Depth=1
	s_or_b64 exec, exec, s[20:21]
.LBB796_1107:                           ;   in Loop: Header=BB796_796 Depth=1
	s_or_b64 exec, exec, s[18:19]
.LBB796_1108:                           ;   in Loop: Header=BB796_796 Depth=1
	s_or_b64 exec, exec, s[16:17]
	s_waitcnt vmcnt(0)
	v_cmp_ne_u16_sdwa s[18:19], v4, v9 src0_sel:BYTE_0 src1_sel:DWORD
	s_and_saveexec_b64 s[16:17], s[18:19]
	s_cbranch_execz .LBB796_1114
; %bb.1109:                             ;   in Loop: Header=BB796_796 Depth=1
	v_cmp_ne_u16_sdwa s[20:21], v4, s22 src0_sel:BYTE_0 src1_sel:DWORD
	v_mov_b32_e32 v16, 0xffff8000
	s_and_saveexec_b64 s[18:19], s[20:21]
	s_cbranch_execz .LBB796_1113
; %bb.1110:                             ;   in Loop: Header=BB796_796 Depth=1
	v_and_b32_e32 v6, 0x7f, v4
	v_cmp_ne_u32_e32 vcc, s24, v6
	v_mov_b32_e32 v16, 0x7f80
	s_and_saveexec_b64 s[20:21], vcc
	s_cbranch_execz .LBB796_1112
; %bb.1111:                             ;   in Loop: Header=BB796_796 Depth=1
	v_and_b32_e32 v8, 7, v4
	v_ffbh_u32_e32 v16, v8
	v_min_u32_e32 v16, 32, v16
	v_subrev_u32_e32 v18, 28, v16
	v_lshlrev_b64 v[18:19], v18, v[4:5]
	v_lshrrev_b32_e32 v13, 3, v6
	v_sub_u32_e32 v16, 29, v16
	v_and_b32_e32 v18, 7, v18
	v_cmp_gt_u32_e32 vcc, 8, v6
	v_cndmask_b32_e32 v6, v13, v16, vcc
	v_cndmask_b32_e32 v8, v8, v18, vcc
	v_lshlrev_b32_e32 v13, 24, v4
	v_lshlrev_b32_e32 v8, 20, v8
	v_and_b32_e32 v13, 0x80000000, v13
	v_lshl_add_u32 v6, v6, 23, v10
	v_or3_b32 v6, v13, v6, v8
	v_lshrrev_b32_e32 v16, 16, v6
.LBB796_1112:                           ;   in Loop: Header=BB796_796 Depth=1
	s_or_b64 exec, exec, s[20:21]
.LBB796_1113:                           ;   in Loop: Header=BB796_796 Depth=1
	s_or_b64 exec, exec, s[18:19]
.LBB796_1114:                           ;   in Loop: Header=BB796_796 Depth=1
	s_or_b64 exec, exec, s[16:17]
	v_lshrrev_b16_e32 v6, 8, v4
	v_cmp_ne_u16_e32 vcc, 0, v6
	v_mov_b32_e32 v18, 0
	v_mov_b32_e32 v8, 0
	s_and_saveexec_b64 s[16:17], vcc
	s_cbranch_execz .LBB796_1120
; %bb.1115:                             ;   in Loop: Header=BB796_796 Depth=1
	v_cmp_ne_u16_e32 vcc, s22, v6
	v_mov_b32_e32 v8, 0xffff8000
	s_and_saveexec_b64 s[18:19], vcc
	s_cbranch_execz .LBB796_1119
; %bb.1116:                             ;   in Loop: Header=BB796_796 Depth=1
	v_and_b32_e32 v13, 0x7f, v6
	v_cmp_ne_u32_e32 vcc, s24, v13
	v_mov_b32_e32 v8, 0x7f80
	s_and_saveexec_b64 s[20:21], vcc
	s_cbranch_execz .LBB796_1118
; %bb.1117:                             ;   in Loop: Header=BB796_796 Depth=1
	v_and_b32_e32 v8, 7, v6
	v_ffbh_u32_e32 v20, v8
	v_min_u32_e32 v22, 32, v20
	v_subrev_u32_e32 v20, 28, v22
	v_lshlrev_b64 v[20:21], v20, v[6:7]
	v_lshrrev_b32_e32 v19, 3, v13
	v_sub_u32_e32 v6, 29, v22
	v_and_b32_e32 v20, 7, v20
	v_cmp_gt_u32_e32 vcc, 8, v13
	v_cndmask_b32_e32 v6, v19, v6, vcc
	v_cndmask_b32_e32 v8, v8, v20, vcc
	v_lshlrev_b32_e32 v13, 16, v4
	v_lshlrev_b32_e32 v8, 20, v8
	v_and_b32_e32 v13, 0x80000000, v13
	v_lshl_add_u32 v6, v6, 23, v10
	v_or3_b32 v6, v13, v6, v8
	v_lshrrev_b32_e32 v8, 16, v6
.LBB796_1118:                           ;   in Loop: Header=BB796_796 Depth=1
	s_or_b64 exec, exec, s[20:21]
.LBB796_1119:                           ;   in Loop: Header=BB796_796 Depth=1
	s_or_b64 exec, exec, s[18:19]
.LBB796_1120:                           ;   in Loop: Header=BB796_796 Depth=1
	s_or_b64 exec, exec, s[16:17]
	v_lshrrev_b32_e32 v6, 16, v4
	v_cmp_ne_u16_sdwa s[18:19], v6, v9 src0_sel:BYTE_0 src1_sel:DWORD
	s_and_saveexec_b64 s[16:17], s[18:19]
	s_cbranch_execz .LBB796_1126
; %bb.1121:                             ;   in Loop: Header=BB796_796 Depth=1
	v_cmp_ne_u16_sdwa s[20:21], v6, s22 src0_sel:BYTE_0 src1_sel:DWORD
	v_mov_b32_e32 v18, 0xffff8000
	s_and_saveexec_b64 s[18:19], s[20:21]
	s_cbranch_execz .LBB796_1125
; %bb.1122:                             ;   in Loop: Header=BB796_796 Depth=1
	v_bfe_u32 v13, v4, 16, 7
	v_cmp_ne_u32_e32 vcc, s24, v13
	v_mov_b32_e32 v18, 0x7f80
	s_and_saveexec_b64 s[20:21], vcc
	s_cbranch_execz .LBB796_1124
; %bb.1123:                             ;   in Loop: Header=BB796_796 Depth=1
	v_and_b32_e32 v20, 7, v6
	v_ffbh_u32_e32 v18, v20
	v_min_u32_e32 v22, 32, v18
	v_subrev_u32_e32 v18, 28, v22
	v_lshlrev_b64 v[18:19], v18, v[6:7]
	v_lshrrev_b32_e32 v21, 3, v13
	v_sub_u32_e32 v19, 29, v22
	v_and_b32_e32 v18, 7, v18
	v_cmp_gt_u32_e32 vcc, 8, v13
	v_cndmask_b32_e32 v13, v21, v19, vcc
	v_cndmask_b32_e32 v18, v20, v18, vcc
	v_lshlrev_b32_e32 v6, 24, v6
	v_lshlrev_b32_e32 v18, 20, v18
	v_and_b32_e32 v6, 0x80000000, v6
	v_lshl_add_u32 v13, v13, 23, v10
	v_or3_b32 v6, v6, v13, v18
	v_lshrrev_b32_e32 v18, 16, v6
.LBB796_1124:                           ;   in Loop: Header=BB796_796 Depth=1
	s_or_b64 exec, exec, s[20:21]
.LBB796_1125:                           ;   in Loop: Header=BB796_796 Depth=1
	s_or_b64 exec, exec, s[18:19]
.LBB796_1126:                           ;   in Loop: Header=BB796_796 Depth=1
	s_or_b64 exec, exec, s[16:17]
	v_cmp_lt_u32_e32 vcc, s25, v4
	v_mov_b32_e32 v13, 0
	v_mov_b32_e32 v19, 0
	s_and_saveexec_b64 s[16:17], vcc
	s_cbranch_execz .LBB796_1132
; %bb.1127:                             ;   in Loop: Header=BB796_796 Depth=1
	v_lshrrev_b32_e32 v6, 24, v4
	v_cmp_ne_u32_e32 vcc, s22, v6
	v_mov_b32_e32 v19, 0xffff8000
	s_and_saveexec_b64 s[18:19], vcc
	s_cbranch_execz .LBB796_1131
; %bb.1128:                             ;   in Loop: Header=BB796_796 Depth=1
	v_bfe_u32 v4, v4, 24, 7
	v_cmp_ne_u32_e32 vcc, s24, v4
	v_mov_b32_e32 v19, 0x7f80
	s_and_saveexec_b64 s[20:21], vcc
	s_cbranch_execz .LBB796_1130
; %bb.1129:                             ;   in Loop: Header=BB796_796 Depth=1
	v_and_b32_e32 v19, 7, v6
	v_ffbh_u32_e32 v20, v19
	v_min_u32_e32 v23, 32, v20
	v_subrev_u32_e32 v20, 28, v23
	v_lshlrev_b64 v[20:21], v20, v[6:7]
	v_lshrrev_b32_e32 v22, 3, v4
	v_sub_u32_e32 v21, 29, v23
	v_and_b32_e32 v20, 7, v20
	v_cmp_gt_u32_e32 vcc, 8, v4
	v_cndmask_b32_e32 v4, v22, v21, vcc
	v_cndmask_b32_e32 v19, v19, v20, vcc
	v_lshlrev_b32_e32 v6, 24, v6
	v_lshlrev_b32_e32 v19, 20, v19
	v_and_b32_e32 v6, 0x80000000, v6
	v_lshl_add_u32 v4, v4, 23, v10
	v_or3_b32 v4, v6, v4, v19
	v_lshrrev_b32_e32 v19, 16, v4
.LBB796_1130:                           ;   in Loop: Header=BB796_796 Depth=1
	s_or_b64 exec, exec, s[20:21]
.LBB796_1131:                           ;   in Loop: Header=BB796_796 Depth=1
	s_or_b64 exec, exec, s[18:19]
.LBB796_1132:                           ;   in Loop: Header=BB796_796 Depth=1
	s_or_b64 exec, exec, s[16:17]
	buffer_load_dword v6, v11, s[0:3], 0 offen offset:56
	buffer_load_dword v4, v11, s[0:3], 0 offen offset:60
	v_perm_b32 v15, v17, v15, s26
	v_perm_b32 v14, v14, v12, s26
	;; [unrolled: 1-line block ×4, first 2 shown]
	v_mfma_f32_4x4x4bf16_1k a[0:3], v[2:3], v[14:15], a[0:3] cbsz:4 abid:12
	s_waitcnt vmcnt(1)
	v_cmp_ne_u16_sdwa s[18:19], v6, v9 src0_sel:BYTE_0 src1_sel:DWORD
	v_mfma_f32_4x4x4bf16_1k a[0:3], v[2:3], v[16:17], a[0:3] cbsz:4 abid:13
	s_and_saveexec_b64 s[16:17], s[18:19]
	s_cbranch_execz .LBB796_1138
; %bb.1133:                             ;   in Loop: Header=BB796_796 Depth=1
	v_cmp_ne_u16_sdwa s[20:21], v6, s22 src0_sel:BYTE_0 src1_sel:DWORD
	v_mov_b32_e32 v13, 0xffff8000
	s_and_saveexec_b64 s[18:19], s[20:21]
	s_cbranch_execz .LBB796_1137
; %bb.1134:                             ;   in Loop: Header=BB796_796 Depth=1
	v_and_b32_e32 v8, 0x7f, v6
	v_cmp_ne_u32_e32 vcc, s24, v8
	v_mov_b32_e32 v13, 0x7f80
	s_and_saveexec_b64 s[20:21], vcc
	s_cbranch_execz .LBB796_1136
; %bb.1135:                             ;   in Loop: Header=BB796_796 Depth=1
	v_and_b32_e32 v11, 7, v6
	v_ffbh_u32_e32 v12, v11
	v_min_u32_e32 v15, 32, v12
	v_subrev_u32_e32 v12, 28, v15
	v_lshlrev_b64 v[12:13], v12, v[6:7]
	v_lshrrev_b32_e32 v14, 3, v8
	v_sub_u32_e32 v13, 29, v15
	v_and_b32_e32 v12, 7, v12
	v_cmp_gt_u32_e32 vcc, 8, v8
	v_cndmask_b32_e32 v8, v14, v13, vcc
	v_cndmask_b32_e32 v11, v11, v12, vcc
	v_lshlrev_b32_e32 v12, 24, v6
	v_lshlrev_b32_e32 v11, 20, v11
	v_and_b32_e32 v12, 0x80000000, v12
	v_lshl_add_u32 v8, v8, 23, v10
	v_or3_b32 v8, v12, v8, v11
	v_lshrrev_b32_e32 v13, 16, v8
.LBB796_1136:                           ;   in Loop: Header=BB796_796 Depth=1
	s_or_b64 exec, exec, s[20:21]
.LBB796_1137:                           ;   in Loop: Header=BB796_796 Depth=1
	s_or_b64 exec, exec, s[18:19]
.LBB796_1138:                           ;   in Loop: Header=BB796_796 Depth=1
	s_or_b64 exec, exec, s[16:17]
	v_lshrrev_b16_e32 v8, 8, v6
	v_cmp_ne_u16_e32 vcc, 0, v8
	v_mov_b32_e32 v12, 0
	v_mov_b32_e32 v11, 0
	s_and_saveexec_b64 s[16:17], vcc
	s_cbranch_execz .LBB796_1144
; %bb.1139:                             ;   in Loop: Header=BB796_796 Depth=1
	v_cmp_ne_u16_e32 vcc, s22, v8
	v_mov_b32_e32 v11, 0xffff8000
	s_and_saveexec_b64 s[18:19], vcc
	s_cbranch_execz .LBB796_1143
; %bb.1140:                             ;   in Loop: Header=BB796_796 Depth=1
	v_and_b32_e32 v14, 0x7f, v8
	v_cmp_ne_u32_e32 vcc, s24, v14
	v_mov_b32_e32 v11, 0x7f80
	s_and_saveexec_b64 s[20:21], vcc
	s_cbranch_execz .LBB796_1142
; %bb.1141:                             ;   in Loop: Header=BB796_796 Depth=1
	v_and_b32_e32 v11, 7, v8
	v_ffbh_u32_e32 v16, v11
	v_min_u32_e32 v18, 32, v16
	v_subrev_u32_e32 v16, 28, v18
	v_lshlrev_b64 v[16:17], v16, v[8:9]
	v_lshrrev_b32_e32 v15, 3, v14
	v_sub_u32_e32 v8, 29, v18
	v_and_b32_e32 v16, 7, v16
	v_cmp_gt_u32_e32 vcc, 8, v14
	v_cndmask_b32_e32 v8, v15, v8, vcc
	v_cndmask_b32_e32 v11, v11, v16, vcc
	v_lshlrev_b32_e32 v14, 16, v6
	v_lshlrev_b32_e32 v11, 20, v11
	v_and_b32_e32 v14, 0x80000000, v14
	v_lshl_add_u32 v8, v8, 23, v10
	v_or3_b32 v8, v14, v8, v11
	v_lshrrev_b32_e32 v11, 16, v8
.LBB796_1142:                           ;   in Loop: Header=BB796_796 Depth=1
	s_or_b64 exec, exec, s[20:21]
.LBB796_1143:                           ;   in Loop: Header=BB796_796 Depth=1
	s_or_b64 exec, exec, s[18:19]
.LBB796_1144:                           ;   in Loop: Header=BB796_796 Depth=1
	s_or_b64 exec, exec, s[16:17]
	v_lshrrev_b32_e32 v8, 16, v6
	v_cmp_ne_u16_sdwa s[18:19], v8, v9 src0_sel:BYTE_0 src1_sel:DWORD
	s_and_saveexec_b64 s[16:17], s[18:19]
	s_cbranch_execz .LBB796_1150
; %bb.1145:                             ;   in Loop: Header=BB796_796 Depth=1
	v_cmp_ne_u16_sdwa s[20:21], v8, s22 src0_sel:BYTE_0 src1_sel:DWORD
	v_mov_b32_e32 v12, 0xffff8000
	s_and_saveexec_b64 s[18:19], s[20:21]
	s_cbranch_execz .LBB796_1149
; %bb.1146:                             ;   in Loop: Header=BB796_796 Depth=1
	v_bfe_u32 v14, v6, 16, 7
	v_cmp_ne_u32_e32 vcc, s24, v14
	v_mov_b32_e32 v12, 0x7f80
	s_and_saveexec_b64 s[20:21], vcc
	s_cbranch_execz .LBB796_1148
; %bb.1147:                             ;   in Loop: Header=BB796_796 Depth=1
	v_and_b32_e32 v12, 7, v8
	v_ffbh_u32_e32 v16, v12
	v_min_u32_e32 v18, 32, v16
	v_subrev_u32_e32 v16, 28, v18
	v_lshlrev_b64 v[16:17], v16, v[8:9]
	v_lshrrev_b32_e32 v15, 3, v14
	v_sub_u32_e32 v17, 29, v18
	v_and_b32_e32 v16, 7, v16
	v_cmp_gt_u32_e32 vcc, 8, v14
	v_cndmask_b32_e32 v14, v15, v17, vcc
	v_cndmask_b32_e32 v12, v12, v16, vcc
	v_lshlrev_b32_e32 v8, 24, v8
	v_lshlrev_b32_e32 v12, 20, v12
	v_and_b32_e32 v8, 0x80000000, v8
	v_lshl_add_u32 v14, v14, 23, v10
	v_or3_b32 v8, v8, v14, v12
	v_lshrrev_b32_e32 v12, 16, v8
.LBB796_1148:                           ;   in Loop: Header=BB796_796 Depth=1
	s_or_b64 exec, exec, s[20:21]
.LBB796_1149:                           ;   in Loop: Header=BB796_796 Depth=1
	s_or_b64 exec, exec, s[18:19]
.LBB796_1150:                           ;   in Loop: Header=BB796_796 Depth=1
	s_or_b64 exec, exec, s[16:17]
	v_cmp_lt_u32_e32 vcc, s25, v6
	v_mov_b32_e32 v14, 0
	v_mov_b32_e32 v15, 0
	s_and_saveexec_b64 s[16:17], vcc
	s_cbranch_execz .LBB796_1156
; %bb.1151:                             ;   in Loop: Header=BB796_796 Depth=1
	v_lshrrev_b32_e32 v8, 24, v6
	v_cmp_ne_u32_e32 vcc, s22, v8
	v_mov_b32_e32 v15, 0xffff8000
	s_and_saveexec_b64 s[18:19], vcc
	s_cbranch_execz .LBB796_1155
; %bb.1152:                             ;   in Loop: Header=BB796_796 Depth=1
	v_bfe_u32 v6, v6, 24, 7
	v_cmp_ne_u32_e32 vcc, s24, v6
	v_mov_b32_e32 v15, 0x7f80
	s_and_saveexec_b64 s[20:21], vcc
	s_cbranch_execz .LBB796_1154
; %bb.1153:                             ;   in Loop: Header=BB796_796 Depth=1
	v_and_b32_e32 v15, 7, v8
	v_ffbh_u32_e32 v16, v15
	v_min_u32_e32 v19, 32, v16
	v_subrev_u32_e32 v16, 28, v19
	v_lshlrev_b64 v[16:17], v16, v[8:9]
	v_lshrrev_b32_e32 v18, 3, v6
	v_sub_u32_e32 v17, 29, v19
	v_and_b32_e32 v16, 7, v16
	v_cmp_gt_u32_e32 vcc, 8, v6
	v_cndmask_b32_e32 v6, v18, v17, vcc
	v_cndmask_b32_e32 v15, v15, v16, vcc
	v_lshlrev_b32_e32 v8, 24, v8
	v_lshlrev_b32_e32 v15, 20, v15
	v_and_b32_e32 v8, 0x80000000, v8
	v_lshl_add_u32 v6, v6, 23, v10
	v_or3_b32 v6, v8, v6, v15
	v_lshrrev_b32_e32 v15, 16, v6
.LBB796_1154:                           ;   in Loop: Header=BB796_796 Depth=1
	s_or_b64 exec, exec, s[20:21]
.LBB796_1155:                           ;   in Loop: Header=BB796_796 Depth=1
	s_or_b64 exec, exec, s[18:19]
.LBB796_1156:                           ;   in Loop: Header=BB796_796 Depth=1
	s_or_b64 exec, exec, s[16:17]
	s_waitcnt vmcnt(0)
	v_cmp_ne_u16_sdwa s[18:19], v4, v9 src0_sel:BYTE_0 src1_sel:DWORD
	s_and_saveexec_b64 s[16:17], s[18:19]
	s_cbranch_execz .LBB796_1162
; %bb.1157:                             ;   in Loop: Header=BB796_796 Depth=1
	v_cmp_ne_u16_sdwa s[20:21], v4, s22 src0_sel:BYTE_0 src1_sel:DWORD
	v_mov_b32_e32 v14, 0xffff8000
	s_and_saveexec_b64 s[18:19], s[20:21]
	s_cbranch_execz .LBB796_1161
; %bb.1158:                             ;   in Loop: Header=BB796_796 Depth=1
	v_and_b32_e32 v6, 0x7f, v4
	v_cmp_ne_u32_e32 vcc, s24, v6
	v_mov_b32_e32 v14, 0x7f80
	s_and_saveexec_b64 s[20:21], vcc
	s_cbranch_execz .LBB796_1160
; %bb.1159:                             ;   in Loop: Header=BB796_796 Depth=1
	v_and_b32_e32 v8, 7, v4
	v_ffbh_u32_e32 v16, v8
	v_min_u32_e32 v18, 32, v16
	v_subrev_u32_e32 v16, 28, v18
	v_lshlrev_b64 v[16:17], v16, v[4:5]
	v_lshrrev_b32_e32 v14, 3, v6
	v_sub_u32_e32 v17, 29, v18
	v_and_b32_e32 v16, 7, v16
	v_cmp_gt_u32_e32 vcc, 8, v6
	v_cndmask_b32_e32 v6, v14, v17, vcc
	v_cndmask_b32_e32 v8, v8, v16, vcc
	v_lshlrev_b32_e32 v14, 24, v4
	v_lshlrev_b32_e32 v8, 20, v8
	v_and_b32_e32 v14, 0x80000000, v14
	v_lshl_add_u32 v6, v6, 23, v10
	v_or3_b32 v6, v14, v6, v8
	v_lshrrev_b32_e32 v14, 16, v6
.LBB796_1160:                           ;   in Loop: Header=BB796_796 Depth=1
	s_or_b64 exec, exec, s[20:21]
.LBB796_1161:                           ;   in Loop: Header=BB796_796 Depth=1
	s_or_b64 exec, exec, s[18:19]
.LBB796_1162:                           ;   in Loop: Header=BB796_796 Depth=1
	s_or_b64 exec, exec, s[16:17]
	v_lshrrev_b16_e32 v6, 8, v4
	v_cmp_ne_u16_e32 vcc, 0, v6
	v_mov_b32_e32 v16, 0
	v_mov_b32_e32 v8, 0
	s_and_saveexec_b64 s[16:17], vcc
	s_cbranch_execz .LBB796_1168
; %bb.1163:                             ;   in Loop: Header=BB796_796 Depth=1
	v_cmp_ne_u16_e32 vcc, s22, v6
	v_mov_b32_e32 v8, 0xffff8000
	s_and_saveexec_b64 s[18:19], vcc
	s_cbranch_execz .LBB796_1167
; %bb.1164:                             ;   in Loop: Header=BB796_796 Depth=1
	v_and_b32_e32 v17, 0x7f, v6
	v_cmp_ne_u32_e32 vcc, s24, v17
	v_mov_b32_e32 v8, 0x7f80
	s_and_saveexec_b64 s[20:21], vcc
	s_cbranch_execz .LBB796_1166
; %bb.1165:                             ;   in Loop: Header=BB796_796 Depth=1
	v_and_b32_e32 v8, 7, v6
	v_ffbh_u32_e32 v18, v8
	v_min_u32_e32 v21, 32, v18
	v_subrev_u32_e32 v18, 28, v21
	v_lshlrev_b64 v[18:19], v18, v[6:7]
	v_lshrrev_b32_e32 v20, 3, v17
	v_sub_u32_e32 v6, 29, v21
	v_and_b32_e32 v18, 7, v18
	v_cmp_gt_u32_e32 vcc, 8, v17
	v_cndmask_b32_e32 v6, v20, v6, vcc
	v_cndmask_b32_e32 v8, v8, v18, vcc
	v_lshlrev_b32_e32 v17, 16, v4
	v_lshlrev_b32_e32 v8, 20, v8
	v_and_b32_e32 v17, 0x80000000, v17
	v_lshl_add_u32 v6, v6, 23, v10
	v_or3_b32 v6, v17, v6, v8
	v_lshrrev_b32_e32 v8, 16, v6
.LBB796_1166:                           ;   in Loop: Header=BB796_796 Depth=1
	s_or_b64 exec, exec, s[20:21]
.LBB796_1167:                           ;   in Loop: Header=BB796_796 Depth=1
	s_or_b64 exec, exec, s[18:19]
.LBB796_1168:                           ;   in Loop: Header=BB796_796 Depth=1
	s_or_b64 exec, exec, s[16:17]
	v_lshrrev_b32_e32 v6, 16, v4
	v_cmp_ne_u16_sdwa s[18:19], v6, v9 src0_sel:BYTE_0 src1_sel:DWORD
	s_and_saveexec_b64 s[16:17], s[18:19]
	s_cbranch_execz .LBB796_1174
; %bb.1169:                             ;   in Loop: Header=BB796_796 Depth=1
	v_cmp_ne_u16_sdwa s[20:21], v6, s22 src0_sel:BYTE_0 src1_sel:DWORD
	v_mov_b32_e32 v16, 0xffff8000
	s_and_saveexec_b64 s[18:19], s[20:21]
	s_cbranch_execz .LBB796_1173
; %bb.1170:                             ;   in Loop: Header=BB796_796 Depth=1
	v_bfe_u32 v17, v4, 16, 7
	v_cmp_ne_u32_e32 vcc, s24, v17
	v_mov_b32_e32 v16, 0x7f80
	s_and_saveexec_b64 s[20:21], vcc
	s_cbranch_execz .LBB796_1172
; %bb.1171:                             ;   in Loop: Header=BB796_796 Depth=1
	v_and_b32_e32 v16, 7, v6
	v_ffbh_u32_e32 v18, v16
	v_min_u32_e32 v21, 32, v18
	v_subrev_u32_e32 v18, 28, v21
	v_lshlrev_b64 v[18:19], v18, v[6:7]
	v_lshrrev_b32_e32 v20, 3, v17
	v_sub_u32_e32 v19, 29, v21
	v_and_b32_e32 v18, 7, v18
	v_cmp_gt_u32_e32 vcc, 8, v17
	v_cndmask_b32_e32 v17, v20, v19, vcc
	v_cndmask_b32_e32 v16, v16, v18, vcc
	v_lshlrev_b32_e32 v6, 24, v6
	v_lshlrev_b32_e32 v16, 20, v16
	v_and_b32_e32 v6, 0x80000000, v6
	v_lshl_add_u32 v17, v17, 23, v10
	v_or3_b32 v6, v6, v17, v16
	v_lshrrev_b32_e32 v16, 16, v6
.LBB796_1172:                           ;   in Loop: Header=BB796_796 Depth=1
	s_or_b64 exec, exec, s[20:21]
.LBB796_1173:                           ;   in Loop: Header=BB796_796 Depth=1
	s_or_b64 exec, exec, s[18:19]
.LBB796_1174:                           ;   in Loop: Header=BB796_796 Depth=1
	s_or_b64 exec, exec, s[16:17]
	v_cmp_lt_u32_e32 vcc, s25, v4
	v_mov_b32_e32 v17, 0
	s_and_saveexec_b64 s[16:17], vcc
	s_cbranch_execz .LBB796_795
; %bb.1175:                             ;   in Loop: Header=BB796_796 Depth=1
	v_lshrrev_b32_e32 v6, 24, v4
	v_cmp_ne_u32_e32 vcc, s22, v6
	v_mov_b32_e32 v17, 0xffff8000
	s_and_saveexec_b64 s[18:19], vcc
	s_cbranch_execz .LBB796_794
; %bb.1176:                             ;   in Loop: Header=BB796_796 Depth=1
	v_bfe_u32 v4, v4, 24, 7
	v_cmp_ne_u32_e32 vcc, s24, v4
	v_mov_b32_e32 v17, 0x7f80
	s_and_saveexec_b64 s[20:21], vcc
	s_cbranch_execz .LBB796_793
; %bb.1177:                             ;   in Loop: Header=BB796_796 Depth=1
	v_and_b32_e32 v17, 7, v6
	v_ffbh_u32_e32 v18, v17
	v_min_u32_e32 v21, 32, v18
	v_subrev_u32_e32 v18, 28, v21
	v_lshlrev_b64 v[18:19], v18, v[6:7]
	v_lshrrev_b32_e32 v20, 3, v4
	v_sub_u32_e32 v19, 29, v21
	v_and_b32_e32 v18, 7, v18
	v_cmp_gt_u32_e32 vcc, 8, v4
	v_cndmask_b32_e32 v4, v20, v19, vcc
	v_cndmask_b32_e32 v17, v17, v18, vcc
	v_lshlrev_b32_e32 v6, 24, v6
	v_lshlrev_b32_e32 v17, 20, v17
	v_and_b32_e32 v6, 0x80000000, v6
	v_lshl_add_u32 v4, v4, 23, v10
	v_or3_b32 v4, v6, v4, v17
	v_lshrrev_b32_e32 v17, 16, v4
	s_branch .LBB796_793
.LBB796_1178:
	s_or_b64 exec, exec, s[6:7]
	v_cmp_gt_u32_e32 vcc, 64, v0
	s_waitcnt lgkmcnt(0)
	s_barrier
	s_and_saveexec_b64 s[6:7], vcc
	s_cbranch_execz .LBB796_1180
; %bb.1179:
	v_mul_u32_u24_e32 v6, 40, v1
	ds_read2_b64 v[2:5], v6 offset1:1
	ds_read2_b64 v[6:9], v6 offset0:2 offset1:3
	s_mov_b32 s5, 0
	s_lshl_b32 s4, s4, 7
	s_lshl_b64 s[6:7], s[4:5], 1
	s_waitcnt lgkmcnt(1)
	v_and_b32_e32 v10, 0xffff0000, v2
	v_lshlrev_b32_e32 v3, 16, v3
	v_add_f32_e32 v10, 0, v10
	v_add_f32_e32 v3, 0, v3
	v_and_b32_e32 v10, 0xffff0000, v10
	v_and_b32_e32 v11, 0xffff0000, v4
	;; [unrolled: 1-line block ×3, first 2 shown]
	v_add_f32_e32 v10, v10, v11
	v_lshlrev_b32_e32 v5, 16, v5
	v_and_b32_e32 v10, 0xffff0000, v10
	v_add_f32_e32 v3, v3, v5
	s_waitcnt lgkmcnt(0)
	v_and_b32_e32 v5, 0xffff0000, v6
	v_and_b32_e32 v3, 0xffff0000, v3
	v_add_f32_e32 v5, v10, v5
	v_lshlrev_b32_e32 v7, 16, v7
	v_and_b32_e32 v5, 0xffff0000, v5
	v_add_f32_e32 v3, v3, v7
	v_and_b32_e32 v7, 0xffff0000, v8
	v_add_f32_e32 v18, v5, v7
	v_mov_b32_e32 v7, 0xa00
	v_mad_u32_u24 v7, v1, 40, v7
	ds_read2_b64 v[10:13], v7 offset1:1
	v_and_b32_e32 v3, 0xffff0000, v3
	v_lshlrev_b32_e32 v5, 16, v9
	v_add_f32_e32 v9, v3, v5
	v_mov_b32_e32 v3, 0xa10
	v_mad_u32_u24 v1, v1, 40, v3
	ds_read2_b64 v[14:17], v1 offset1:1
	s_waitcnt lgkmcnt(1)
	v_lshlrev_b32_e32 v1, 16, v10
	v_add_f32_e32 v1, 0, v1
	v_and_b32_e32 v3, 0xffff0000, v10
	v_and_b32_e32 v1, 0xffff0000, v1
	v_add_f32_e32 v3, 0, v3
	v_lshlrev_b32_e32 v5, 16, v11
	v_lshlrev_b32_e32 v7, 16, v12
	v_and_b32_e32 v3, 0xffff0000, v3
	v_add_f32_e32 v5, 0, v5
	v_add_f32_e32 v1, v1, v7
	v_and_b32_e32 v7, 0xffff0000, v12
	v_and_b32_e32 v5, 0xffff0000, v5
	v_add_f32_e32 v3, v3, v7
	v_lshlrev_b32_e32 v7, 16, v13
	v_and_b32_e32 v1, 0xffff0000, v1
	v_add_f32_e32 v5, v5, v7
	s_waitcnt lgkmcnt(0)
	v_lshlrev_b32_e32 v7, 16, v14
	v_and_b32_e32 v3, 0xffff0000, v3
	v_add_f32_e32 v1, v1, v7
	v_and_b32_e32 v7, 0xffff0000, v14
	v_and_b32_e32 v5, 0xffff0000, v5
	v_add_f32_e32 v3, v3, v7
	v_lshlrev_b32_e32 v7, 16, v15
	v_and_b32_e32 v1, 0xffff0000, v1
	v_add_f32_e32 v5, v5, v7
	v_lshlrev_b32_e32 v7, 16, v16
	v_and_b32_e32 v3, 0xffff0000, v3
	v_add_f32_e32 v10, v1, v7
	v_and_b32_e32 v1, 0xffff0000, v16
	v_and_b32_e32 v5, 0xffff0000, v5
	v_add_f32_e32 v11, v3, v1
	v_lshlrev_b32_e32 v1, 16, v17
	v_add_f32_e32 v12, v5, v1
	v_lshlrev_b32_e32 v1, 16, v2
	s_add_u32 s6, s28, s6
	v_add_f32_e32 v1, 0, v1
	s_addc_u32 s7, s29, s7
	s_lshl_b32 s4, s14, 7
	v_and_b32_e32 v1, 0xffff0000, v1
	v_lshlrev_b32_e32 v2, 16, v4
	s_lshl_b64 s[4:5], s[4:5], 1
	v_add_f32_e32 v1, v1, v2
	s_add_u32 s4, s6, s4
	v_and_b32_e32 v1, 0xffff0000, v1
	v_lshlrev_b32_e32 v2, 16, v6
	s_addc_u32 s5, s7, s5
	s_lshl_b32 s6, s44, 7
	v_add_f32_e32 v1, v1, v2
	v_and_b32_e32 v1, 0xffff0000, v1
	v_lshlrev_b32_e32 v2, 16, v8
	s_mul_i32 s7, s6, s33
	v_add_f32_e32 v1, v1, v2
	v_or_b32_e32 v2, s7, v0
	v_mov_b32_e32 v3, 0
	v_lshlrev_b64 v[4:5], 1, v[2:3]
	v_mov_b32_e32 v2, s5
	v_add_co_u32_e32 v4, vcc, s4, v4
	s_add_i32 s7, s7, s6
	v_addc_co_u32_e32 v5, vcc, v2, v5, vcc
	v_or_b32_e32 v2, s7, v0
	v_lshlrev_b64 v[6:7], 1, v[2:3]
	s_add_i32 s7, s7, s6
	global_store_short_d16_hi v[4:5], v1, off
	v_mov_b32_e32 v1, s5
	v_add_co_u32_e32 v6, vcc, s4, v6
	v_or_b32_e32 v2, s7, v0
	v_addc_co_u32_e32 v7, vcc, v1, v7, vcc
	v_lshlrev_b64 v[0:1], 1, v[2:3]
	v_mov_b32_e32 v2, s5
	v_add_co_u32_e32 v0, vcc, s4, v0
	v_addc_co_u32_e32 v1, vcc, v2, v1, vcc
	global_store_short_d16_hi v[6:7], v18, off
	global_store_short_d16_hi v[0:1], v9, off
	global_store_short_d16_hi v[4:5], v10, off offset:128
	global_store_short_d16_hi v[6:7], v11, off offset:128
	;; [unrolled: 1-line block ×3, first 2 shown]
.LBB796_1180:
	s_endpgm
	.section	.rodata,"a",@progbits
	.p2align	6, 0x0
	.amdhsa_kernel _Z38paged_attention_ll4mi_QKV_mfma4_kernelI14__hip_bfloat16hLN4vllm18Fp8KVCacheDataTypeE1ES0_Li32ELi128ELi256ELb1ELi3EEvPKT_PKT0_S8_ifPKiSA_SA_iPKfiiiPfSD_PS3_PT2_iSC_SC_
		.amdhsa_group_segment_fixed_size 5280
		.amdhsa_private_segment_fixed_size 144
		.amdhsa_kernarg_size 400
		.amdhsa_user_sgpr_count 8
		.amdhsa_user_sgpr_private_segment_buffer 1
		.amdhsa_user_sgpr_dispatch_ptr 0
		.amdhsa_user_sgpr_queue_ptr 0
		.amdhsa_user_sgpr_kernarg_segment_ptr 1
		.amdhsa_user_sgpr_dispatch_id 0
		.amdhsa_user_sgpr_flat_scratch_init 1
		.amdhsa_user_sgpr_kernarg_preload_length 0
		.amdhsa_user_sgpr_kernarg_preload_offset 0
		.amdhsa_user_sgpr_private_segment_size 0
		.amdhsa_uses_dynamic_stack 0
		.amdhsa_system_sgpr_private_segment_wavefront_offset 1
		.amdhsa_system_sgpr_workgroup_id_x 1
		.amdhsa_system_sgpr_workgroup_id_y 1
		.amdhsa_system_sgpr_workgroup_id_z 1
		.amdhsa_system_sgpr_workgroup_info 0
		.amdhsa_system_vgpr_workitem_id 0
		.amdhsa_next_free_vgpr 84
		.amdhsa_next_free_sgpr 50
		.amdhsa_accum_offset 80
		.amdhsa_reserve_vcc 1
		.amdhsa_reserve_flat_scratch 0
		.amdhsa_float_round_mode_32 0
		.amdhsa_float_round_mode_16_64 0
		.amdhsa_float_denorm_mode_32 3
		.amdhsa_float_denorm_mode_16_64 3
		.amdhsa_dx10_clamp 1
		.amdhsa_ieee_mode 1
		.amdhsa_fp16_overflow 0
		.amdhsa_tg_split 0
		.amdhsa_exception_fp_ieee_invalid_op 0
		.amdhsa_exception_fp_denorm_src 0
		.amdhsa_exception_fp_ieee_div_zero 0
		.amdhsa_exception_fp_ieee_overflow 0
		.amdhsa_exception_fp_ieee_underflow 0
		.amdhsa_exception_fp_ieee_inexact 0
		.amdhsa_exception_int_div_zero 0
	.end_amdhsa_kernel
	.section	.text._Z38paged_attention_ll4mi_QKV_mfma4_kernelI14__hip_bfloat16hLN4vllm18Fp8KVCacheDataTypeE1ES0_Li32ELi128ELi256ELb1ELi3EEvPKT_PKT0_S8_ifPKiSA_SA_iPKfiiiPfSD_PS3_PT2_iSC_SC_,"axG",@progbits,_Z38paged_attention_ll4mi_QKV_mfma4_kernelI14__hip_bfloat16hLN4vllm18Fp8KVCacheDataTypeE1ES0_Li32ELi128ELi256ELb1ELi3EEvPKT_PKT0_S8_ifPKiSA_SA_iPKfiiiPfSD_PS3_PT2_iSC_SC_,comdat
.Lfunc_end796:
	.size	_Z38paged_attention_ll4mi_QKV_mfma4_kernelI14__hip_bfloat16hLN4vllm18Fp8KVCacheDataTypeE1ES0_Li32ELi128ELi256ELb1ELi3EEvPKT_PKT0_S8_ifPKiSA_SA_iPKfiiiPfSD_PS3_PT2_iSC_SC_, .Lfunc_end796-_Z38paged_attention_ll4mi_QKV_mfma4_kernelI14__hip_bfloat16hLN4vllm18Fp8KVCacheDataTypeE1ES0_Li32ELi128ELi256ELb1ELi3EEvPKT_PKT0_S8_ifPKiSA_SA_iPKfiiiPfSD_PS3_PT2_iSC_SC_
                                        ; -- End function
	.section	.AMDGPU.csdata,"",@progbits
; Kernel info:
; codeLenInByte = 42676
; NumSgprs: 54
; NumVgprs: 78
; NumAgprs: 4
; TotalNumVgprs: 84
; ScratchSize: 144
; MemoryBound: 0
; FloatMode: 240
; IeeeMode: 1
; LDSByteSize: 5280 bytes/workgroup (compile time only)
; SGPRBlocks: 6
; VGPRBlocks: 10
; NumSGPRsForWavesPerEU: 54
; NumVGPRsForWavesPerEU: 84
; AccumOffset: 80
; Occupancy: 5
; WaveLimiterHint : 1
; COMPUTE_PGM_RSRC2:SCRATCH_EN: 1
; COMPUTE_PGM_RSRC2:USER_SGPR: 8
; COMPUTE_PGM_RSRC2:TRAP_HANDLER: 0
; COMPUTE_PGM_RSRC2:TGID_X_EN: 1
; COMPUTE_PGM_RSRC2:TGID_Y_EN: 1
; COMPUTE_PGM_RSRC2:TGID_Z_EN: 1
; COMPUTE_PGM_RSRC2:TIDIG_COMP_CNT: 0
; COMPUTE_PGM_RSRC3_GFX90A:ACCUM_OFFSET: 19
; COMPUTE_PGM_RSRC3_GFX90A:TG_SPLIT: 0
	.section	.text._Z38paged_attention_ll4mi_QKV_mfma4_kernelI14__hip_bfloat16hLN4vllm18Fp8KVCacheDataTypeE1ES0_Li32ELi128ELi256ELb1ELi4EEvPKT_PKT0_S8_ifPKiSA_SA_iPKfiiiPfSD_PS3_PT2_iSC_SC_,"axG",@progbits,_Z38paged_attention_ll4mi_QKV_mfma4_kernelI14__hip_bfloat16hLN4vllm18Fp8KVCacheDataTypeE1ES0_Li32ELi128ELi256ELb1ELi4EEvPKT_PKT0_S8_ifPKiSA_SA_iPKfiiiPfSD_PS3_PT2_iSC_SC_,comdat
	.protected	_Z38paged_attention_ll4mi_QKV_mfma4_kernelI14__hip_bfloat16hLN4vllm18Fp8KVCacheDataTypeE1ES0_Li32ELi128ELi256ELb1ELi4EEvPKT_PKT0_S8_ifPKiSA_SA_iPKfiiiPfSD_PS3_PT2_iSC_SC_ ; -- Begin function _Z38paged_attention_ll4mi_QKV_mfma4_kernelI14__hip_bfloat16hLN4vllm18Fp8KVCacheDataTypeE1ES0_Li32ELi128ELi256ELb1ELi4EEvPKT_PKT0_S8_ifPKiSA_SA_iPKfiiiPfSD_PS3_PT2_iSC_SC_
	.globl	_Z38paged_attention_ll4mi_QKV_mfma4_kernelI14__hip_bfloat16hLN4vllm18Fp8KVCacheDataTypeE1ES0_Li32ELi128ELi256ELb1ELi4EEvPKT_PKT0_S8_ifPKiSA_SA_iPKfiiiPfSD_PS3_PT2_iSC_SC_
	.p2align	8
	.type	_Z38paged_attention_ll4mi_QKV_mfma4_kernelI14__hip_bfloat16hLN4vllm18Fp8KVCacheDataTypeE1ES0_Li32ELi128ELi256ELb1ELi4EEvPKT_PKT0_S8_ifPKiSA_SA_iPKfiiiPfSD_PS3_PT2_iSC_SC_,@function
_Z38paged_attention_ll4mi_QKV_mfma4_kernelI14__hip_bfloat16hLN4vllm18Fp8KVCacheDataTypeE1ES0_Li32ELi128ELi256ELb1ELi4EEvPKT_PKT0_S8_ifPKiSA_SA_iPKfiiiPfSD_PS3_PT2_iSC_SC_: ; @_Z38paged_attention_ll4mi_QKV_mfma4_kernelI14__hip_bfloat16hLN4vllm18Fp8KVCacheDataTypeE1ES0_Li32ELi128ELi256ELb1ELi4EEvPKT_PKT0_S8_ifPKiSA_SA_iPKfiiiPfSD_PS3_PT2_iSC_SC_
; %bb.0:
	s_load_dwordx2 s[20:21], s[4:5], 0x30
	s_add_u32 s0, s0, s11
	s_addc_u32 s1, s1, 0
	s_mov_b32 s28, s9
	s_mov_b64 s[6:7], 0
	s_waitcnt lgkmcnt(0)
	s_cmp_lg_u64 s[20:21], 0
	s_cselect_b64 s[22:23], -1, 0
	s_and_b64 vcc, exec, s[22:23]
	s_cbranch_vccz .LBB797_1170
; %bb.1:
	s_add_i32 s12, s8, 1
	s_mov_b32 s13, 0
	s_lshl_b64 s[14:15], s[12:13], 2
	s_add_u32 s14, s20, s14
	s_mov_b32 s9, s13
	s_addc_u32 s15, s21, s15
	s_lshl_b64 s[12:13], s[8:9], 2
	s_add_u32 s12, s20, s12
	s_addc_u32 s13, s21, s13
	s_load_dword s11, s[14:15], 0x0
	s_load_dword s16, s[12:13], 0x0
	s_mov_b64 s[38:39], s[8:9]
	s_waitcnt lgkmcnt(0)
	s_sub_i32 s11, s11, s16
	s_cmp_eq_u32 s11, 1
	s_cselect_b64 s[12:13], -1, 0
	s_andn2_b64 vcc, exec, s[6:7]
	s_cbranch_vccnz .LBB797_3
.LBB797_2:
	s_mov_b32 s9, 0
	s_mov_b64 s[12:13], -1
	s_mov_b64 s[38:39], s[8:9]
.LBB797_3:
	s_andn2_b64 vcc, exec, s[12:13]
	s_cbranch_vccnz .LBB797_1173
; %bb.4:
	s_load_dword s9, s[4:5], 0x9c
	s_load_dwordx2 s[6:7], s[4:5], 0x28
	s_add_u32 s34, s4, 0x90
	s_addc_u32 s35, s5, 0
	s_lshl_b64 s[42:43], s[38:39], 2
	s_waitcnt lgkmcnt(0)
	s_and_b32 s11, s9, 0xffff
	s_add_u32 s6, s6, s42
	s_addc_u32 s7, s7, s43
	s_load_dword s9, s[6:7], 0x0
	s_mul_i32 s11, s28, s11
	s_waitcnt lgkmcnt(0)
	s_cmp_ge_i32 s11, s9
	s_cbranch_scc1 .LBB797_1173
; %bb.5:
	v_and_b32_e32 v1, 0xc0, v0
	v_and_b32_e32 v44, 3, v0
	s_lshl_b32 s33, s10, 2
	v_add_u32_e32 v7, s11, v1
	v_lshrrev_b32_e32 v43, 6, v0
	v_cmp_le_i32_e64 s[6:7], s9, v7
	v_or_b32_e32 v38, s33, v44
                                        ; implicit-def: $sgpr25
                                        ; implicit-def: $sgpr24
	s_and_saveexec_b64 s[12:13], s[6:7]
	s_xor_b64 s[12:13], exec, s[12:13]
	s_cbranch_execz .LBB797_7
; %bb.6:
	v_mul_u32_u24_e32 v1, 20, v43
	v_or_b32_e32 v1, 0x1400, v1
	v_mov_b32_e32 v2, 0x1450
	v_mov_b32_e32 v3, 0xff7fffff
	v_mad_u32_u24 v2, v43, 20, v2
	ds_write2_b32 v1, v3, v3 offset1:1
	v_mov_b32_e32 v1, 0
	ds_write2_b32 v2, v1, v1 offset1:1
	v_mov_b32_e32 v2, 0x1408
	s_mov_b32 s24, 0xff7fffff
	s_mov_b32 s25, 0
	v_mad_u32_u24 v2, v43, 20, v2
	v_mov_b32_e32 v4, 0x1458
	v_or_b32_e32 v38, s33, v44
	v_mad_u32_u24 v4, v43, 20, v4
	ds_write2_b32 v2, v3, v3 offset1:1
	ds_write2_b32 v4, v1, v1 offset1:1
                                        ; implicit-def: $vgpr7
.LBB797_7:
	s_or_saveexec_b64 s[36:37], s[12:13]
	s_load_dwordx2 s[30:31], s[4:5], 0x68
	s_load_dwordx4 s[16:19], s[4:5], 0x58
	s_load_dword s48, s[34:35], 0x4
	s_load_dwordx4 s[12:15], s[4:5], 0x80
	v_and_b32_e32 v1, 63, v0
	v_mov_b32_e32 v5, s25
	v_mov_b32_e32 v6, s24
	;; [unrolled: 1-line block ×5, first 2 shown]
	s_xor_b64 exec, exec, s[36:37]
	s_cbranch_execz .LBB797_781
; %bb.8:
	s_add_i32 s27, s9, 31
	s_ashr_i32 s29, s27, 31
	s_load_dwordx2 s[24:25], s[4:5], 0x20
	s_load_dword s26, s[4:5], 0x38
	s_lshr_b32 s29, s29, 27
	v_add_u32_e32 v45, s11, v0
	s_add_i32 s27, s27, s29
	v_ashrrev_i32_e32 v2, 31, v45
	s_ashr_i32 s27, s27, 5
	v_lshrrev_b32_e32 v2, 27, v2
	s_add_i32 s29, s27, -1
	v_add_u32_e32 v2, v45, v2
	v_ashrrev_i32_e32 v2, 5, v2
	v_mov_b32_e32 v3, s29
	v_cmp_gt_i32_e32 vcc, s9, v45
	s_waitcnt lgkmcnt(0)
	s_mul_i32 s44, s8, s26
	s_mov_b32 s45, 0
	v_cndmask_b32_e32 v2, v3, v2, vcc
	s_lshl_b64 s[26:27], s[44:45], 2
	v_ashrrev_i32_e32 v3, 31, v2
	s_add_u32 s24, s24, s26
	v_lshlrev_b64 v[2:3], 2, v[2:3]
	v_add_co_u32_e32 v4, vcc, s24, v2
	v_ashrrev_i32_e32 v2, 31, v7
	v_lshrrev_b32_e32 v2, 27, v2
	v_add_u32_e32 v2, v7, v2
	s_addc_u32 s25, s25, s27
	v_ashrrev_i32_e32 v6, 5, v2
	v_mov_b32_e32 v5, s25
	v_min_i32_e32 v2, s29, v6
	v_addc_co_u32_e32 v5, vcc, v5, v3, vcc
	v_ashrrev_i32_e32 v3, 31, v2
	v_lshlrev_b64 v[2:3], 2, v[2:3]
	v_add_co_u32_e32 v8, vcc, s24, v2
	v_add_u32_e32 v2, 1, v6
	v_mov_b32_e32 v7, s25
	v_min_i32_e32 v2, s29, v2
	v_addc_co_u32_e32 v9, vcc, v7, v3, vcc
	v_ashrrev_i32_e32 v3, 31, v2
	v_lshlrev_b64 v[2:3], 2, v[2:3]
	v_mov_b32_e32 v6, s25
	v_add_co_u32_e32 v10, vcc, s24, v2
	v_addc_co_u32_e32 v11, vcc, v6, v3, vcc
	global_load_dword v6, v[4:5], off
	global_load_dword v3, v[8:9], off
	global_load_dword v2, v[10:11], off
	s_load_dwordx2 s[40:41], s[4:5], 0x40
	s_load_dwordx4 s[24:27], s[4:5], 0x0
	s_load_dwordx2 s[46:47], s[4:5], 0x10
	s_andn2_b64 vcc, exec, s[22:23]
	s_cbranch_vccnz .LBB797_10
; %bb.9:
	s_add_u32 s20, s20, s42
	s_addc_u32 s21, s21, s43
	s_load_dword s44, s[20:21], 0x0
	s_waitcnt lgkmcnt(0)
	s_mov_b64 s[38:39], s[44:45]
.LBB797_10:
	s_load_dwordx4 s[20:23], s[4:5], 0x48
	v_mov_b32_e32 v39, 0
	v_mov_b32_e32 v5, v39
	v_lshlrev_b32_e32 v7, 5, v1
	v_mov_b32_e32 v47, 0
	s_waitcnt lgkmcnt(0)
	s_ashr_i32 s11, s20, 31
	s_mul_hi_u32 s23, s38, s20
	s_mul_i32 s11, s38, s11
	s_mul_i32 s29, s39, s20
	s_add_i32 s11, s23, s11
	s_mul_i32 s42, s38, s20
	s_add_i32 s43, s11, s29
	s_lshl_b64 s[38:39], s[42:43], 1
	s_add_u32 s11, s24, s38
	s_addc_u32 s20, s25, s39
	s_lshl_b32 s44, s10, 9
	s_lshl_b64 s[24:25], s[44:45], 1
	s_add_u32 s24, s11, s24
	s_addc_u32 s25, s20, s25
	s_mul_i32 s20, s10, s22
	s_waitcnt vmcnt(1)
	v_mul_hi_i32 v4, v3, s21
	s_add_u32 s10, s20, s26
	v_ashrrev_i32_e32 v4, 31, v4
	s_addc_u32 s11, 0, s27
	v_lshrrev_b32_e32 v4, 29, v4
	s_add_u32 s20, s46, s20
	v_mad_i64_i32 v[4:5], s[22:23], v3, s21, v[4:5]
	s_addc_u32 s26, s47, 0
	v_and_b32_e32 v3, -8, v4
	v_mov_b32_e32 v4, s26
	v_add_co_u32_e32 v3, vcc, s20, v3
	v_addc_co_u32_e32 v5, vcc, v4, v5, vcc
	v_add_co_u32_e32 v4, vcc, v3, v7
	s_waitcnt vmcnt(0)
	v_mul_hi_i32 v3, v2, s21
	v_addc_co_u32_e32 v5, vcc, 0, v5, vcc
	v_ashrrev_i32_e32 v3, 31, v3
	global_load_dwordx4 v[8:11], v[4:5], off
	global_load_dwordx4 v[48:51], v[4:5], off offset:16
	global_load_dwordx4 v[52:55], v[4:5], off offset:2048
	;; [unrolled: 1-line block ×3, first 2 shown]
	v_mov_b32_e32 v5, v39
	v_lshrrev_b32_e32 v4, 29, v3
	v_mad_i64_i32 v[2:3], s[22:23], v2, s21, v[4:5]
	v_and_b32_e32 v2, -8, v2
	v_mov_b32_e32 v4, s26
	v_add_co_u32_e32 v2, vcc, s20, v2
	v_addc_co_u32_e32 v3, vcc, v4, v3, vcc
	v_add_co_u32_e32 v12, vcc, v2, v7
	v_addc_co_u32_e32 v13, vcc, 0, v3, vcc
	global_load_dwordx4 v[60:63], v[12:13], off
	v_lshlrev_b32_e32 v2, 2, v1
	v_lshlrev_b32_e32 v3, 4, v0
	v_and_b32_e32 v5, 0xf0, v2
	v_and_b32_e32 v16, 0x1f0, v3
	v_lshlrev_b64 v[2:3], 2, v[38:39]
	v_mov_b32_e32 v4, s41
	v_add_co_u32_e32 v14, vcc, s40, v2
	v_addc_co_u32_e32 v15, vcc, v4, v3, vcc
	v_lshl_or_b32 v7, v44, 8, v5
	global_load_dword v46, v[14:15], off
	global_load_dwordx4 v[2:5], v7, s[24:25]
	v_pk_mov_b32 v[14:15], s[10:11], s[10:11] op_sel:[0,1]
	v_mad_i64_i32 v[6:7], s[10:11], v6, s21, v[14:15]
	v_add_co_u32_e32 v6, vcc, v6, v16
	v_addc_co_u32_e32 v7, vcc, 0, v7, vcc
	global_load_dwordx4 v[34:37], v[6:7], off
	global_load_dwordx4 v[30:33], v[6:7], off offset:512
	global_load_dwordx4 v[26:29], v[6:7], off offset:1024
	;; [unrolled: 1-line block ×4, first 2 shown]
	s_waitcnt vmcnt(11)
	buffer_store_dword v9, off, s[0:3], 0 offset:4
	buffer_store_dword v8, off, s[0:3], 0
	buffer_store_dword v11, off, s[0:3], 0 offset:12
	buffer_store_dword v10, off, s[0:3], 0 offset:8
	global_load_dwordx4 v[14:17], v[6:7], off offset:2560
	s_waitcnt vmcnt(15)
	buffer_store_dword v49, off, s[0:3], 0 offset:20
	buffer_store_dword v48, off, s[0:3], 0 offset:16
	buffer_store_dword v51, off, s[0:3], 0 offset:28
	buffer_store_dword v50, off, s[0:3], 0 offset:24
	global_load_dwordx4 v[48:51], v[12:13], off offset:16
	s_waitcnt vmcnt(19)
	buffer_store_dword v53, off, s[0:3], 0 offset:68
	buffer_store_dword v52, off, s[0:3], 0 offset:64
	;; [unrolled: 1-line block ×4, first 2 shown]
	global_load_dwordx4 v[52:55], v[12:13], off offset:2064
	s_nop 0
	global_load_dwordx4 v[64:67], v[12:13], off offset:2048
	s_waitcnt vmcnt(24)
	buffer_store_dword v57, off, s[0:3], 0 offset:84
	buffer_store_dword v56, off, s[0:3], 0 offset:80
	buffer_store_dword v59, off, s[0:3], 0 offset:92
	buffer_store_dword v58, off, s[0:3], 0 offset:88
	global_load_dwordx4 v[10:13], v[6:7], off offset:3072
	s_waitcnt vmcnt(28)
	buffer_store_dword v61, off, s[0:3], 0 offset:36
	buffer_store_dword v60, off, s[0:3], 0 offset:32
	buffer_store_dword v63, off, s[0:3], 0 offset:44
	buffer_store_dword v62, off, s[0:3], 0 offset:40
	;; [unrolled: 6-line block ×3, first 2 shown]
	s_waitcnt vmcnt(14)
	buffer_store_dword v65, off, s[0:3], 0 offset:100
	buffer_store_dword v64, off, s[0:3], 0 offset:96
	;; [unrolled: 1-line block ×8, first 2 shown]
	v_cmp_ne_u16_sdwa s[20:21], v34, v39 src0_sel:BYTE_0 src1_sel:DWORD
	s_and_saveexec_b64 s[10:11], s[20:21]
	s_cbranch_execz .LBB797_16
; %bb.11:
	s_movk_i32 s20, 0x80
	v_cmp_ne_u16_sdwa s[22:23], v34, s20 src0_sel:BYTE_0 src1_sel:DWORD
	v_mov_b32_e32 v47, 0xffff8000
	s_and_saveexec_b64 s[20:21], s[22:23]
	s_cbranch_execz .LBB797_15
; %bb.12:
	s_movk_i32 s22, 0x7f
	v_and_b32_e32 v40, 0x7f, v34
	v_cmp_ne_u32_e32 vcc, s22, v40
	v_mov_b32_e32 v47, 0x7f80
	s_and_saveexec_b64 s[22:23], vcc
	s_cbranch_execz .LBB797_14
; %bb.13:
	v_and_b32_e32 v41, 7, v34
	v_ffbh_u32_e32 v41, v41
	v_min_u32_e32 v41, 32, v41
	v_subrev_u32_e32 v47, 28, v41
	v_cmp_gt_u32_e32 vcc, 8, v40
	v_lshrrev_b32_e32 v42, 3, v40
	v_sub_u32_e32 v41, 29, v41
	v_cndmask_b32_e32 v40, 0, v47, vcc
	v_cndmask_b32_e32 v42, v42, v41, vcc
	v_lshlrev_b64 v[40:41], v40, v[34:35]
	v_lshlrev_b32_e32 v40, 20, v40
	v_lshlrev_b32_e32 v41, 24, v34
	v_bfrev_b32_e32 v47, 60
	v_and_b32_e32 v40, 0x700000, v40
	v_and_b32_e32 v41, 0x80000000, v41
	v_lshl_add_u32 v42, v42, 23, v47
	v_or3_b32 v40, v41, v42, v40
	v_lshrrev_b32_e32 v47, 16, v40
.LBB797_14:
	s_or_b64 exec, exec, s[22:23]
.LBB797_15:
	s_or_b64 exec, exec, s[20:21]
.LBB797_16:
	s_or_b64 exec, exec, s[10:11]
	v_lshrrev_b16_e32 v40, 8, v34
	v_cmp_ne_u16_e32 vcc, 0, v40
	s_and_saveexec_b64 s[10:11], vcc
	s_cbranch_execz .LBB797_22
; %bb.17:
	s_movk_i32 s20, 0x80
	v_cmp_ne_u16_sdwa s[22:23], v34, s20 src0_sel:BYTE_1 src1_sel:DWORD
	v_mov_b32_e32 v39, 0xffff8000
	s_and_saveexec_b64 s[20:21], s[22:23]
	s_cbranch_execz .LBB797_21
; %bb.18:
	s_movk_i32 s22, 0x7f
	v_and_b32_e32 v41, 0x7f, v40
	v_cmp_ne_u32_e32 vcc, s22, v41
	v_mov_b32_e32 v39, 0x7f80
	s_and_saveexec_b64 s[22:23], vcc
	s_cbranch_execz .LBB797_20
; %bb.19:
	v_and_b32_e32 v39, 7, v40
	v_ffbh_u32_e32 v48, v39
	v_min_u32_e32 v50, 32, v48
	v_subrev_u32_e32 v48, 28, v50
	v_lshlrev_b64 v[48:49], v48, v[40:41]
	v_lshrrev_b32_e32 v42, 3, v41
	v_sub_u32_e32 v40, 29, v50
	v_and_b32_e32 v48, 7, v48
	v_cmp_gt_u32_e32 vcc, 8, v41
	v_cndmask_b32_e32 v40, v42, v40, vcc
	v_cndmask_b32_e32 v39, v39, v48, vcc
	v_lshlrev_b32_e32 v41, 16, v34
	v_bfrev_b32_e32 v42, 60
	v_lshlrev_b32_e32 v39, 20, v39
	v_and_b32_e32 v41, 0x80000000, v41
	v_lshl_add_u32 v40, v40, 23, v42
	v_or3_b32 v39, v41, v40, v39
	v_lshrrev_b32_e32 v39, 16, v39
.LBB797_20:
	s_or_b64 exec, exec, s[22:23]
.LBB797_21:
	s_or_b64 exec, exec, s[20:21]
.LBB797_22:
	s_or_b64 exec, exec, s[10:11]
	s_movk_i32 s10, 0xff
	v_and_b32_sdwa v42, v34, s10 dst_sel:DWORD dst_unused:UNUSED_PAD src0_sel:WORD_1 src1_sel:DWORD
	v_lshrrev_b32_e32 v40, 16, v34
	v_cmp_ne_u16_e32 vcc, 0, v42
	v_mov_b32_e32 v41, 0
	v_mov_b32_e32 v48, 0
	s_and_saveexec_b64 s[10:11], vcc
	s_cbranch_execz .LBB797_28
; %bb.23:
	s_movk_i32 s20, 0x80
	v_cmp_ne_u16_e32 vcc, s20, v42
	v_mov_b32_e32 v48, 0xffff8000
	s_and_saveexec_b64 s[20:21], vcc
	s_cbranch_execz .LBB797_27
; %bb.24:
	v_bfe_u32 v42, v34, 16, 7
	s_movk_i32 s22, 0x7f
	v_cmp_ne_u32_e32 vcc, s22, v42
	v_mov_b32_e32 v48, 0x7f80
	s_and_saveexec_b64 s[22:23], vcc
	s_cbranch_execz .LBB797_26
; %bb.25:
	v_and_b32_e32 v50, 7, v40
	v_ffbh_u32_e32 v48, v50
	v_min_u32_e32 v52, 32, v48
	v_subrev_u32_e32 v48, 28, v52
	v_lshlrev_b64 v[48:49], v48, v[40:41]
	v_and_b32_e32 v48, 7, v48
	v_cmp_gt_u32_e32 vcc, 8, v42
	v_lshrrev_b32_e32 v51, 3, v42
	v_sub_u32_e32 v40, 29, v52
	v_cndmask_b32_e32 v42, v50, v48, vcc
	v_mov_b32_e32 v48, 24
	v_cndmask_b32_e32 v40, v51, v40, vcc
	v_lshlrev_b32_sdwa v48, v48, v34 dst_sel:DWORD dst_unused:UNUSED_PAD src0_sel:DWORD src1_sel:WORD_1
	v_bfrev_b32_e32 v49, 60
	v_lshlrev_b32_e32 v42, 20, v42
	v_and_b32_e32 v48, 0x80000000, v48
	v_lshl_add_u32 v40, v40, 23, v49
	v_or3_b32 v40, v48, v40, v42
	v_lshrrev_b32_e32 v48, 16, v40
.LBB797_26:
	s_or_b64 exec, exec, s[22:23]
.LBB797_27:
	s_or_b64 exec, exec, s[20:21]
.LBB797_28:
	s_or_b64 exec, exec, s[10:11]
	s_mov_b32 s10, 0xffffff
	v_cmp_lt_u32_e32 vcc, s10, v34
	v_mov_b32_e32 v49, 0
	s_and_saveexec_b64 s[10:11], vcc
	s_cbranch_execz .LBB797_34
; %bb.29:
	v_lshrrev_b32_e32 v40, 24, v34
	s_movk_i32 s20, 0x80
	v_cmp_ne_u32_e32 vcc, s20, v40
	v_mov_b32_e32 v49, 0xffff8000
	s_and_saveexec_b64 s[20:21], vcc
	s_cbranch_execz .LBB797_33
; %bb.30:
	v_bfe_u32 v42, v34, 24, 7
	s_movk_i32 s22, 0x7f
	v_cmp_ne_u32_e32 vcc, s22, v42
	v_mov_b32_e32 v49, 0x7f80
	s_and_saveexec_b64 s[22:23], vcc
	s_cbranch_execz .LBB797_32
; %bb.31:
	v_and_b32_e32 v49, 7, v40
	v_ffbh_u32_e32 v50, v49
	v_min_u32_e32 v53, 32, v50
	v_subrev_u32_e32 v50, 28, v53
	v_lshlrev_b64 v[50:51], v50, v[40:41]
	v_lshrrev_b32_e32 v52, 3, v42
	v_sub_u32_e32 v51, 29, v53
	v_and_b32_e32 v50, 7, v50
	v_cmp_gt_u32_e32 vcc, 8, v42
	v_cndmask_b32_e32 v42, v52, v51, vcc
	v_cndmask_b32_e32 v49, v49, v50, vcc
	v_lshlrev_b32_e32 v40, 24, v40
	v_bfrev_b32_e32 v50, 60
	v_lshlrev_b32_e32 v49, 20, v49
	v_and_b32_e32 v40, 0x80000000, v40
	v_lshl_add_u32 v42, v42, 23, v50
	v_or3_b32 v40, v40, v42, v49
	v_lshrrev_b32_e32 v49, 16, v40
.LBB797_32:
	s_or_b64 exec, exec, s[22:23]
.LBB797_33:
	s_or_b64 exec, exec, s[20:21]
.LBB797_34:
	s_or_b64 exec, exec, s[10:11]
	v_mov_b32_e32 v50, 0
	v_mov_b32_e32 v40, v35
	v_cmp_ne_u16_sdwa s[20:21], v35, v50 src0_sel:BYTE_0 src1_sel:DWORD
	v_mov_b32_e32 v51, 0
	s_and_saveexec_b64 s[10:11], s[20:21]
	s_cbranch_execz .LBB797_40
; %bb.35:
	s_movk_i32 s20, 0x80
	v_cmp_ne_u16_sdwa s[22:23], v35, s20 src0_sel:BYTE_0 src1_sel:DWORD
	v_mov_b32_e32 v51, 0xffff8000
	s_and_saveexec_b64 s[20:21], s[22:23]
	s_cbranch_execz .LBB797_39
; %bb.36:
	s_movk_i32 s22, 0x7f
	v_and_b32_e32 v42, 0x7f, v35
	v_cmp_ne_u32_e32 vcc, s22, v42
	v_mov_b32_e32 v51, 0x7f80
	s_and_saveexec_b64 s[22:23], vcc
	s_cbranch_execz .LBB797_38
; %bb.37:
	v_and_b32_e32 v51, 7, v35
	v_ffbh_u32_e32 v51, v51
	v_min_u32_e32 v51, 32, v51
	v_lshrrev_b32_e32 v52, 3, v42
	v_subrev_u32_e32 v53, 28, v51
	v_sub_u32_e32 v51, 29, v51
	v_cmp_gt_u32_e32 vcc, 8, v42
	v_cndmask_b32_e32 v42, v52, v51, vcc
	v_cndmask_b32_e32 v51, 0, v53, vcc
	v_lshlrev_b64 v[52:53], v51, v[40:41]
	v_lshlrev_b32_e32 v41, 20, v52
	v_lshlrev_b32_e32 v51, 24, v40
	v_bfrev_b32_e32 v52, 60
	v_and_b32_e32 v41, 0x700000, v41
	v_and_b32_e32 v51, 0x80000000, v51
	v_lshl_add_u32 v42, v42, 23, v52
	v_or3_b32 v41, v51, v42, v41
	v_lshrrev_b32_e32 v51, 16, v41
.LBB797_38:
	s_or_b64 exec, exec, s[22:23]
.LBB797_39:
	s_or_b64 exec, exec, s[20:21]
.LBB797_40:
	s_or_b64 exec, exec, s[10:11]
	v_lshrrev_b16_e32 v42, 8, v40
	v_cmp_ne_u16_e32 vcc, 0, v42
	s_and_saveexec_b64 s[10:11], vcc
	s_cbranch_execz .LBB797_46
; %bb.41:
	s_movk_i32 s20, 0x80
	v_cmp_ne_u16_e32 vcc, s20, v42
	v_mov_b32_e32 v50, 0xffff8000
	s_and_saveexec_b64 s[20:21], vcc
	s_cbranch_execz .LBB797_45
; %bb.42:
	s_movk_i32 s22, 0x7f
	v_and_b32_e32 v41, 0x7f, v42
	v_cmp_ne_u32_e32 vcc, s22, v41
	v_mov_b32_e32 v50, 0x7f80
	s_and_saveexec_b64 s[22:23], vcc
	s_cbranch_execz .LBB797_44
; %bb.43:
	v_and_b32_e32 v50, 7, v42
	v_ffbh_u32_e32 v52, v50
	v_min_u32_e32 v55, 32, v52
	v_subrev_u32_e32 v52, 28, v55
	v_lshlrev_b64 v[52:53], v52, v[42:43]
	v_lshrrev_b32_e32 v54, 3, v41
	v_sub_u32_e32 v42, 29, v55
	v_and_b32_e32 v52, 7, v52
	v_cmp_gt_u32_e32 vcc, 8, v41
	v_cndmask_b32_e32 v41, v54, v42, vcc
	v_cndmask_b32_e32 v42, v50, v52, vcc
	v_lshlrev_b32_e32 v40, 16, v40
	v_bfrev_b32_e32 v50, 60
	v_lshlrev_b32_e32 v42, 20, v42
	v_and_b32_e32 v40, 0x80000000, v40
	v_lshl_add_u32 v41, v41, 23, v50
	v_or3_b32 v40, v40, v41, v42
	v_lshrrev_b32_e32 v50, 16, v40
.LBB797_44:
	s_or_b64 exec, exec, s[22:23]
.LBB797_45:
	s_or_b64 exec, exec, s[20:21]
.LBB797_46:
	s_or_b64 exec, exec, s[10:11]
	s_movk_i32 s10, 0xff
	v_and_b32_sdwa v52, v35, s10 dst_sel:DWORD dst_unused:UNUSED_PAD src0_sel:WORD_1 src1_sel:DWORD
	v_lshrrev_b32_e32 v40, 16, v35
	v_cmp_ne_u16_e32 vcc, 0, v52
	v_mov_b32_e32 v41, 0
	v_mov_b32_e32 v42, 0
	s_and_saveexec_b64 s[10:11], vcc
	s_cbranch_execz .LBB797_52
; %bb.47:
	s_movk_i32 s20, 0x80
	v_cmp_ne_u16_e32 vcc, s20, v52
	v_mov_b32_e32 v42, 0xffff8000
	s_and_saveexec_b64 s[20:21], vcc
	s_cbranch_execz .LBB797_51
; %bb.48:
	v_bfe_u32 v52, v35, 16, 7
	s_movk_i32 s22, 0x7f
	v_cmp_ne_u32_e32 vcc, s22, v52
	v_mov_b32_e32 v42, 0x7f80
	s_and_saveexec_b64 s[22:23], vcc
	s_cbranch_execz .LBB797_50
; %bb.49:
	v_and_b32_e32 v42, 7, v40
	v_ffbh_u32_e32 v54, v42
	v_min_u32_e32 v56, 32, v54
	v_subrev_u32_e32 v54, 28, v56
	v_lshlrev_b64 v[54:55], v54, v[40:41]
	v_lshrrev_b32_e32 v53, 3, v52
	v_sub_u32_e32 v40, 29, v56
	v_and_b32_e32 v54, 7, v54
	v_cmp_gt_u32_e32 vcc, 8, v52
	v_mov_b32_e32 v52, 24
	v_cndmask_b32_e32 v40, v53, v40, vcc
	v_cndmask_b32_e32 v42, v42, v54, vcc
	v_lshlrev_b32_sdwa v52, v52, v35 dst_sel:DWORD dst_unused:UNUSED_PAD src0_sel:DWORD src1_sel:WORD_1
	v_bfrev_b32_e32 v53, 60
	v_lshlrev_b32_e32 v42, 20, v42
	v_and_b32_e32 v52, 0x80000000, v52
	v_lshl_add_u32 v40, v40, 23, v53
	v_or3_b32 v40, v52, v40, v42
	v_lshrrev_b32_e32 v42, 16, v40
.LBB797_50:
	s_or_b64 exec, exec, s[22:23]
.LBB797_51:
	s_or_b64 exec, exec, s[20:21]
.LBB797_52:
	s_or_b64 exec, exec, s[10:11]
	s_mov_b32 s10, -1
	s_mov_b32 s11, 0xffffff
	v_cmp_lt_u64_e32 vcc, s[10:11], v[34:35]
	s_and_saveexec_b64 s[10:11], vcc
	s_cbranch_execz .LBB797_58
; %bb.53:
	v_lshrrev_b32_e32 v34, 24, v35
	s_movk_i32 s20, 0x80
	v_cmp_ne_u32_e32 vcc, s20, v34
	v_mov_b32_e32 v41, 0xffff8000
	s_and_saveexec_b64 s[20:21], vcc
	s_cbranch_execz .LBB797_57
; %bb.54:
	v_bfe_u32 v35, v35, 24, 7
	s_movk_i32 s22, 0x7f
	v_cmp_ne_u32_e32 vcc, s22, v35
	v_mov_b32_e32 v41, 0x7f80
	s_and_saveexec_b64 s[22:23], vcc
	s_cbranch_execz .LBB797_56
; %bb.55:
	v_and_b32_e32 v52, 7, v34
	v_ffbh_u32_e32 v40, v52
	v_min_u32_e32 v54, 32, v40
	v_subrev_u32_e32 v40, 28, v54
	v_lshlrev_b64 v[40:41], v40, v[34:35]
	v_lshrrev_b32_e32 v53, 3, v35
	v_sub_u32_e32 v41, 29, v54
	v_and_b32_e32 v40, 7, v40
	v_cmp_gt_u32_e32 vcc, 8, v35
	v_cndmask_b32_e32 v35, v53, v41, vcc
	v_cndmask_b32_e32 v40, v52, v40, vcc
	v_lshlrev_b32_e32 v34, 24, v34
	v_bfrev_b32_e32 v41, 60
	v_lshlrev_b32_e32 v40, 20, v40
	v_and_b32_e32 v34, 0x80000000, v34
	v_lshl_add_u32 v35, v35, 23, v41
	v_or3_b32 v34, v34, v35, v40
	v_lshrrev_b32_e32 v41, 16, v34
.LBB797_56:
	s_or_b64 exec, exec, s[22:23]
.LBB797_57:
	s_or_b64 exec, exec, s[20:21]
.LBB797_58:
	s_or_b64 exec, exec, s[10:11]
	s_mov_b32 s10, 0x5040100
	v_perm_b32 v35, v49, v48, s10
	v_perm_b32 v34, v39, v47, s10
	;; [unrolled: 1-line block ×4, first 2 shown]
	v_mfma_f32_4x4x4bf16_1k a[0:3], v[2:3], v[34:35], 0 cbsz:4
	v_mov_b32_e32 v39, 0
	v_mfma_f32_4x4x4bf16_1k a[0:3], v[4:5], v[40:41], a[0:3] cbsz:4
	v_mov_b32_e32 v41, 0
	v_cmp_ne_u16_sdwa s[20:21], v36, v41 src0_sel:BYTE_0 src1_sel:DWORD
	s_and_saveexec_b64 s[10:11], s[20:21]
	s_cbranch_execz .LBB797_64
; %bb.59:
	s_movk_i32 s20, 0x80
	v_cmp_ne_u16_sdwa s[22:23], v36, s20 src0_sel:BYTE_0 src1_sel:DWORD
	v_mov_b32_e32 v39, 0xffff8000
	s_and_saveexec_b64 s[20:21], s[22:23]
	s_cbranch_execz .LBB797_63
; %bb.60:
	s_movk_i32 s22, 0x7f
	v_and_b32_e32 v34, 0x7f, v36
	v_cmp_ne_u32_e32 vcc, s22, v34
	v_mov_b32_e32 v39, 0x7f80
	s_and_saveexec_b64 s[22:23], vcc
	s_cbranch_execz .LBB797_62
; %bb.61:
	v_and_b32_e32 v35, 7, v36
	v_ffbh_u32_e32 v35, v35
	v_min_u32_e32 v35, 32, v35
	v_subrev_u32_e32 v40, 28, v35
	v_cmp_gt_u32_e32 vcc, 8, v34
	v_lshrrev_b32_e32 v39, 3, v34
	v_sub_u32_e32 v35, 29, v35
	v_cndmask_b32_e32 v34, 0, v40, vcc
	v_cndmask_b32_e32 v39, v39, v35, vcc
	v_lshlrev_b64 v[34:35], v34, v[36:37]
	v_lshlrev_b32_e32 v34, 20, v34
	v_lshlrev_b32_e32 v35, 24, v36
	v_bfrev_b32_e32 v40, 60
	v_and_b32_e32 v34, 0x700000, v34
	v_and_b32_e32 v35, 0x80000000, v35
	v_lshl_add_u32 v39, v39, 23, v40
	v_or3_b32 v34, v35, v39, v34
	v_lshrrev_b32_e32 v39, 16, v34
.LBB797_62:
	s_or_b64 exec, exec, s[22:23]
.LBB797_63:
	s_or_b64 exec, exec, s[20:21]
.LBB797_64:
	s_or_b64 exec, exec, s[10:11]
	v_lshrrev_b16_e32 v34, 8, v36
	v_cmp_ne_u16_e32 vcc, 0, v34
	s_and_saveexec_b64 s[10:11], vcc
	s_cbranch_execz .LBB797_70
; %bb.65:
	s_movk_i32 s20, 0x80
	v_cmp_ne_u16_e32 vcc, s20, v34
	v_mov_b32_e32 v41, 0xffff8000
	s_and_saveexec_b64 s[20:21], vcc
	s_cbranch_execz .LBB797_69
; %bb.66:
	s_movk_i32 s22, 0x7f
	v_and_b32_e32 v35, 0x7f, v34
	v_cmp_ne_u32_e32 vcc, s22, v35
	v_mov_b32_e32 v41, 0x7f80
	s_and_saveexec_b64 s[22:23], vcc
	s_cbranch_execz .LBB797_68
; %bb.67:
	v_and_b32_e32 v42, 7, v34
	v_ffbh_u32_e32 v40, v42
	v_min_u32_e32 v48, 32, v40
	v_subrev_u32_e32 v40, 28, v48
	v_lshlrev_b64 v[40:41], v40, v[34:35]
	v_lshrrev_b32_e32 v47, 3, v35
	v_sub_u32_e32 v34, 29, v48
	v_and_b32_e32 v40, 7, v40
	v_cmp_gt_u32_e32 vcc, 8, v35
	v_cndmask_b32_e32 v34, v47, v34, vcc
	v_cndmask_b32_e32 v35, v42, v40, vcc
	v_lshlrev_b32_e32 v40, 16, v36
	v_bfrev_b32_e32 v41, 60
	v_lshlrev_b32_e32 v35, 20, v35
	v_and_b32_e32 v40, 0x80000000, v40
	v_lshl_add_u32 v34, v34, 23, v41
	v_or3_b32 v34, v40, v34, v35
	v_lshrrev_b32_e32 v41, 16, v34
.LBB797_68:
	s_or_b64 exec, exec, s[22:23]
.LBB797_69:
	s_or_b64 exec, exec, s[20:21]
.LBB797_70:
	s_or_b64 exec, exec, s[10:11]
	s_movk_i32 s10, 0xff
	v_and_b32_sdwa v40, v36, s10 dst_sel:DWORD dst_unused:UNUSED_PAD src0_sel:WORD_1 src1_sel:DWORD
	v_lshrrev_b32_e32 v34, 16, v36
	v_cmp_ne_u16_e32 vcc, 0, v40
	v_mov_b32_e32 v35, 0
	v_mov_b32_e32 v42, 0
	s_and_saveexec_b64 s[10:11], vcc
	s_cbranch_execz .LBB797_76
; %bb.71:
	s_movk_i32 s20, 0x80
	v_cmp_ne_u16_e32 vcc, s20, v40
	v_mov_b32_e32 v42, 0xffff8000
	s_and_saveexec_b64 s[20:21], vcc
	s_cbranch_execz .LBB797_75
; %bb.72:
	v_bfe_u32 v40, v36, 16, 7
	s_movk_i32 s22, 0x7f
	v_cmp_ne_u32_e32 vcc, s22, v40
	v_mov_b32_e32 v42, 0x7f80
	s_and_saveexec_b64 s[22:23], vcc
	s_cbranch_execz .LBB797_74
; %bb.73:
	v_and_b32_e32 v42, 7, v34
	v_ffbh_u32_e32 v48, v42
	v_min_u32_e32 v50, 32, v48
	v_subrev_u32_e32 v48, 28, v50
	v_lshlrev_b64 v[48:49], v48, v[34:35]
	v_and_b32_e32 v48, 7, v48
	v_cmp_gt_u32_e32 vcc, 8, v40
	v_lshrrev_b32_e32 v47, 3, v40
	v_sub_u32_e32 v34, 29, v50
	v_cndmask_b32_e32 v40, v42, v48, vcc
	v_mov_b32_e32 v42, 24
	v_cndmask_b32_e32 v34, v47, v34, vcc
	v_lshlrev_b32_sdwa v42, v42, v36 dst_sel:DWORD dst_unused:UNUSED_PAD src0_sel:DWORD src1_sel:WORD_1
	v_bfrev_b32_e32 v47, 60
	v_lshlrev_b32_e32 v40, 20, v40
	v_and_b32_e32 v42, 0x80000000, v42
	v_lshl_add_u32 v34, v34, 23, v47
	v_or3_b32 v34, v42, v34, v40
	v_lshrrev_b32_e32 v42, 16, v34
.LBB797_74:
	s_or_b64 exec, exec, s[22:23]
.LBB797_75:
	s_or_b64 exec, exec, s[20:21]
.LBB797_76:
	s_or_b64 exec, exec, s[10:11]
	s_mov_b32 s10, 0xffffff
	v_cmp_lt_u32_e32 vcc, s10, v36
	v_mov_b32_e32 v47, 0
	s_and_saveexec_b64 s[10:11], vcc
	s_cbranch_execz .LBB797_82
; %bb.77:
	v_lshrrev_b32_e32 v34, 24, v36
	s_movk_i32 s20, 0x80
	v_cmp_ne_u32_e32 vcc, s20, v34
	v_mov_b32_e32 v47, 0xffff8000
	s_and_saveexec_b64 s[20:21], vcc
	s_cbranch_execz .LBB797_81
; %bb.78:
	v_bfe_u32 v40, v36, 24, 7
	s_movk_i32 s22, 0x7f
	v_cmp_ne_u32_e32 vcc, s22, v40
	v_mov_b32_e32 v47, 0x7f80
	s_and_saveexec_b64 s[22:23], vcc
	s_cbranch_execz .LBB797_80
; %bb.79:
	v_and_b32_e32 v47, 7, v34
	v_ffbh_u32_e32 v48, v47
	v_min_u32_e32 v51, 32, v48
	v_subrev_u32_e32 v48, 28, v51
	v_lshlrev_b64 v[48:49], v48, v[34:35]
	v_lshrrev_b32_e32 v50, 3, v40
	v_sub_u32_e32 v49, 29, v51
	v_and_b32_e32 v48, 7, v48
	v_cmp_gt_u32_e32 vcc, 8, v40
	v_cndmask_b32_e32 v40, v50, v49, vcc
	v_cndmask_b32_e32 v47, v47, v48, vcc
	v_lshlrev_b32_e32 v34, 24, v34
	v_bfrev_b32_e32 v48, 60
	v_lshlrev_b32_e32 v47, 20, v47
	v_and_b32_e32 v34, 0x80000000, v34
	v_lshl_add_u32 v40, v40, 23, v48
	v_or3_b32 v34, v34, v40, v47
	v_lshrrev_b32_e32 v47, 16, v34
.LBB797_80:
	s_or_b64 exec, exec, s[22:23]
.LBB797_81:
	s_or_b64 exec, exec, s[20:21]
.LBB797_82:
	s_or_b64 exec, exec, s[10:11]
	v_mov_b32_e32 v48, 0
	v_mov_b32_e32 v34, v37
	v_cmp_ne_u16_sdwa s[20:21], v37, v48 src0_sel:BYTE_0 src1_sel:DWORD
	v_mov_b32_e32 v49, 0
	s_and_saveexec_b64 s[10:11], s[20:21]
	s_cbranch_execz .LBB797_88
; %bb.83:
	s_movk_i32 s20, 0x80
	v_cmp_ne_u16_sdwa s[22:23], v37, s20 src0_sel:BYTE_0 src1_sel:DWORD
	v_mov_b32_e32 v49, 0xffff8000
	s_and_saveexec_b64 s[20:21], s[22:23]
	s_cbranch_execz .LBB797_87
; %bb.84:
	s_movk_i32 s22, 0x7f
	v_and_b32_e32 v40, 0x7f, v37
	v_cmp_ne_u32_e32 vcc, s22, v40
	v_mov_b32_e32 v49, 0x7f80
	s_and_saveexec_b64 s[22:23], vcc
	s_cbranch_execz .LBB797_86
; %bb.85:
	v_and_b32_e32 v49, 7, v37
	v_ffbh_u32_e32 v49, v49
	v_min_u32_e32 v49, 32, v49
	v_lshrrev_b32_e32 v50, 3, v40
	v_subrev_u32_e32 v51, 28, v49
	v_sub_u32_e32 v49, 29, v49
	v_cmp_gt_u32_e32 vcc, 8, v40
	v_cndmask_b32_e32 v40, v50, v49, vcc
	v_cndmask_b32_e32 v49, 0, v51, vcc
	v_lshlrev_b64 v[50:51], v49, v[34:35]
	v_lshlrev_b32_e32 v35, 20, v50
	v_lshlrev_b32_e32 v49, 24, v34
	v_bfrev_b32_e32 v50, 60
	v_and_b32_e32 v35, 0x700000, v35
	v_and_b32_e32 v49, 0x80000000, v49
	v_lshl_add_u32 v40, v40, 23, v50
	v_or3_b32 v35, v49, v40, v35
	v_lshrrev_b32_e32 v49, 16, v35
.LBB797_86:
	s_or_b64 exec, exec, s[22:23]
.LBB797_87:
	s_or_b64 exec, exec, s[20:21]
.LBB797_88:
	s_or_b64 exec, exec, s[10:11]
	v_lshrrev_b16_e32 v40, 8, v34
	v_cmp_ne_u16_e32 vcc, 0, v40
	s_and_saveexec_b64 s[10:11], vcc
	s_cbranch_execz .LBB797_94
; %bb.89:
	s_movk_i32 s20, 0x80
	v_cmp_ne_u16_e32 vcc, s20, v40
	v_mov_b32_e32 v48, 0xffff8000
	s_and_saveexec_b64 s[20:21], vcc
	s_cbranch_execz .LBB797_93
; %bb.90:
	s_movk_i32 s22, 0x7f
	v_and_b32_e32 v35, 0x7f, v40
	v_cmp_ne_u32_e32 vcc, s22, v35
	v_mov_b32_e32 v48, 0x7f80
	s_and_saveexec_b64 s[22:23], vcc
	s_cbranch_execz .LBB797_92
; %bb.91:
	v_and_b32_e32 v48, 7, v40
	v_ffbh_u32_e32 v50, v48
	v_min_u32_e32 v53, 32, v50
	v_subrev_u32_e32 v50, 28, v53
	v_lshlrev_b64 v[50:51], v50, v[40:41]
	v_lshrrev_b32_e32 v52, 3, v35
	v_sub_u32_e32 v40, 29, v53
	v_and_b32_e32 v50, 7, v50
	v_cmp_gt_u32_e32 vcc, 8, v35
	v_cndmask_b32_e32 v35, v52, v40, vcc
	v_cndmask_b32_e32 v40, v48, v50, vcc
	v_lshlrev_b32_e32 v34, 16, v34
	v_bfrev_b32_e32 v48, 60
	v_lshlrev_b32_e32 v40, 20, v40
	v_and_b32_e32 v34, 0x80000000, v34
	v_lshl_add_u32 v35, v35, 23, v48
	v_or3_b32 v34, v34, v35, v40
	v_lshrrev_b32_e32 v48, 16, v34
.LBB797_92:
	s_or_b64 exec, exec, s[22:23]
.LBB797_93:
	s_or_b64 exec, exec, s[20:21]
.LBB797_94:
	s_or_b64 exec, exec, s[10:11]
	s_movk_i32 s10, 0xff
	v_and_b32_sdwa v50, v37, s10 dst_sel:DWORD dst_unused:UNUSED_PAD src0_sel:WORD_1 src1_sel:DWORD
	v_lshrrev_b32_e32 v34, 16, v37
	v_cmp_ne_u16_e32 vcc, 0, v50
	v_mov_b32_e32 v35, 0
	v_mov_b32_e32 v40, 0
	s_and_saveexec_b64 s[10:11], vcc
	s_cbranch_execz .LBB797_100
; %bb.95:
	s_movk_i32 s20, 0x80
	v_cmp_ne_u16_e32 vcc, s20, v50
	v_mov_b32_e32 v40, 0xffff8000
	s_and_saveexec_b64 s[20:21], vcc
	s_cbranch_execz .LBB797_99
; %bb.96:
	v_bfe_u32 v50, v37, 16, 7
	s_movk_i32 s22, 0x7f
	v_cmp_ne_u32_e32 vcc, s22, v50
	v_mov_b32_e32 v40, 0x7f80
	s_and_saveexec_b64 s[22:23], vcc
	s_cbranch_execz .LBB797_98
; %bb.97:
	v_and_b32_e32 v40, 7, v34
	v_ffbh_u32_e32 v52, v40
	v_min_u32_e32 v54, 32, v52
	v_subrev_u32_e32 v52, 28, v54
	v_lshlrev_b64 v[52:53], v52, v[34:35]
	v_lshrrev_b32_e32 v51, 3, v50
	v_sub_u32_e32 v34, 29, v54
	v_and_b32_e32 v52, 7, v52
	v_cmp_gt_u32_e32 vcc, 8, v50
	v_mov_b32_e32 v50, 24
	v_cndmask_b32_e32 v34, v51, v34, vcc
	v_cndmask_b32_e32 v40, v40, v52, vcc
	v_lshlrev_b32_sdwa v50, v50, v37 dst_sel:DWORD dst_unused:UNUSED_PAD src0_sel:DWORD src1_sel:WORD_1
	v_bfrev_b32_e32 v51, 60
	v_lshlrev_b32_e32 v40, 20, v40
	v_and_b32_e32 v50, 0x80000000, v50
	v_lshl_add_u32 v34, v34, 23, v51
	v_or3_b32 v34, v50, v34, v40
	v_lshrrev_b32_e32 v40, 16, v34
.LBB797_98:
	s_or_b64 exec, exec, s[22:23]
.LBB797_99:
	s_or_b64 exec, exec, s[20:21]
.LBB797_100:
	s_or_b64 exec, exec, s[10:11]
	s_mov_b32 s10, -1
	s_mov_b32 s11, 0xffffff
	v_cmp_lt_u64_e32 vcc, s[10:11], v[36:37]
	s_and_saveexec_b64 s[10:11], vcc
	s_cbranch_execz .LBB797_106
; %bb.101:
	v_lshrrev_b32_e32 v34, 24, v37
	s_movk_i32 s20, 0x80
	v_cmp_ne_u32_e32 vcc, s20, v34
	v_mov_b32_e32 v35, 0xffff8000
	s_and_saveexec_b64 s[20:21], vcc
	s_cbranch_execz .LBB797_105
; %bb.102:
	v_bfe_u32 v36, v37, 24, 7
	s_movk_i32 s22, 0x7f
	v_cmp_ne_u32_e32 vcc, s22, v36
	v_mov_b32_e32 v35, 0x7f80
	s_and_saveexec_b64 s[22:23], vcc
	s_cbranch_execz .LBB797_104
; %bb.103:
	v_and_b32_e32 v35, 7, v34
	v_ffbh_u32_e32 v50, v35
	v_min_u32_e32 v52, 32, v50
	v_subrev_u32_e32 v50, 28, v52
	v_lshlrev_b64 v[50:51], v50, v[34:35]
	v_lshrrev_b32_e32 v37, 3, v36
	v_sub_u32_e32 v51, 29, v52
	v_and_b32_e32 v50, 7, v50
	v_cmp_gt_u32_e32 vcc, 8, v36
	v_cndmask_b32_e32 v36, v37, v51, vcc
	v_cndmask_b32_e32 v35, v35, v50, vcc
	v_lshlrev_b32_e32 v34, 24, v34
	v_bfrev_b32_e32 v37, 60
	v_lshlrev_b32_e32 v35, 20, v35
	v_and_b32_e32 v34, 0x80000000, v34
	v_lshl_add_u32 v36, v36, 23, v37
	v_or3_b32 v34, v34, v36, v35
	v_lshrrev_b32_e32 v35, 16, v34
.LBB797_104:
	s_or_b64 exec, exec, s[22:23]
.LBB797_105:
	s_or_b64 exec, exec, s[20:21]
.LBB797_106:
	s_or_b64 exec, exec, s[10:11]
	s_mov_b32 s10, 0x5040100
	v_perm_b32 v37, v47, v42, s10
	v_perm_b32 v36, v41, v39, s10
	;; [unrolled: 1-line block ×4, first 2 shown]
	v_mfma_f32_4x4x4bf16_1k a[0:3], v[2:3], v[36:37], a[0:3] cbsz:4 abid:1
	v_mov_b32_e32 v37, 0
	v_mfma_f32_4x4x4bf16_1k a[0:3], v[4:5], v[34:35], a[0:3] cbsz:4 abid:1
	v_cmp_ne_u16_sdwa s[20:21], v30, v37 src0_sel:BYTE_0 src1_sel:DWORD
	v_mov_b32_e32 v39, 0
	s_and_saveexec_b64 s[10:11], s[20:21]
	s_cbranch_execz .LBB797_112
; %bb.107:
	s_movk_i32 s20, 0x80
	v_cmp_ne_u16_sdwa s[22:23], v30, s20 src0_sel:BYTE_0 src1_sel:DWORD
	v_mov_b32_e32 v39, 0xffff8000
	s_and_saveexec_b64 s[20:21], s[22:23]
	s_cbranch_execz .LBB797_111
; %bb.108:
	s_movk_i32 s22, 0x7f
	v_and_b32_e32 v34, 0x7f, v30
	v_cmp_ne_u32_e32 vcc, s22, v34
	v_mov_b32_e32 v39, 0x7f80
	s_and_saveexec_b64 s[22:23], vcc
	s_cbranch_execz .LBB797_110
; %bb.109:
	v_and_b32_e32 v35, 7, v30
	v_ffbh_u32_e32 v35, v35
	v_min_u32_e32 v35, 32, v35
	v_subrev_u32_e32 v39, 28, v35
	v_cmp_gt_u32_e32 vcc, 8, v34
	v_lshrrev_b32_e32 v36, 3, v34
	v_sub_u32_e32 v35, 29, v35
	v_cndmask_b32_e32 v34, 0, v39, vcc
	v_cndmask_b32_e32 v36, v36, v35, vcc
	v_lshlrev_b64 v[34:35], v34, v[30:31]
	v_lshlrev_b32_e32 v34, 20, v34
	v_lshlrev_b32_e32 v35, 24, v30
	v_bfrev_b32_e32 v39, 60
	v_and_b32_e32 v34, 0x700000, v34
	v_and_b32_e32 v35, 0x80000000, v35
	v_lshl_add_u32 v36, v36, 23, v39
	v_or3_b32 v34, v35, v36, v34
	v_lshrrev_b32_e32 v39, 16, v34
.LBB797_110:
	s_or_b64 exec, exec, s[22:23]
.LBB797_111:
	s_or_b64 exec, exec, s[20:21]
.LBB797_112:
	s_or_b64 exec, exec, s[10:11]
	v_lshrrev_b16_e32 v34, 8, v30
	v_cmp_ne_u16_e32 vcc, 0, v34
	s_and_saveexec_b64 s[10:11], vcc
	s_cbranch_execz .LBB797_118
; %bb.113:
	s_movk_i32 s20, 0x80
	v_cmp_ne_u16_e32 vcc, s20, v34
	v_mov_b32_e32 v37, 0xffff8000
	s_and_saveexec_b64 s[20:21], vcc
	s_cbranch_execz .LBB797_117
; %bb.114:
	s_movk_i32 s22, 0x7f
	v_and_b32_e32 v35, 0x7f, v34
	v_cmp_ne_u32_e32 vcc, s22, v35
	v_mov_b32_e32 v37, 0x7f80
	s_and_saveexec_b64 s[22:23], vcc
	s_cbranch_execz .LBB797_116
; %bb.115:
	v_and_b32_e32 v40, 7, v34
	v_ffbh_u32_e32 v36, v40
	v_min_u32_e32 v42, 32, v36
	v_subrev_u32_e32 v36, 28, v42
	v_lshlrev_b64 v[36:37], v36, v[34:35]
	v_lshrrev_b32_e32 v41, 3, v35
	v_sub_u32_e32 v34, 29, v42
	v_and_b32_e32 v36, 7, v36
	v_cmp_gt_u32_e32 vcc, 8, v35
	v_cndmask_b32_e32 v34, v41, v34, vcc
	v_cndmask_b32_e32 v35, v40, v36, vcc
	v_lshlrev_b32_e32 v36, 16, v30
	v_bfrev_b32_e32 v37, 60
	v_lshlrev_b32_e32 v35, 20, v35
	v_and_b32_e32 v36, 0x80000000, v36
	v_lshl_add_u32 v34, v34, 23, v37
	v_or3_b32 v34, v36, v34, v35
	v_lshrrev_b32_e32 v37, 16, v34
.LBB797_116:
	s_or_b64 exec, exec, s[22:23]
.LBB797_117:
	s_or_b64 exec, exec, s[20:21]
.LBB797_118:
	s_or_b64 exec, exec, s[10:11]
	s_movk_i32 s10, 0xff
	v_and_b32_sdwa v36, v30, s10 dst_sel:DWORD dst_unused:UNUSED_PAD src0_sel:WORD_1 src1_sel:DWORD
	v_lshrrev_b32_e32 v34, 16, v30
	v_cmp_ne_u16_e32 vcc, 0, v36
	v_mov_b32_e32 v35, 0
	v_mov_b32_e32 v40, 0
	s_and_saveexec_b64 s[10:11], vcc
	s_cbranch_execz .LBB797_124
; %bb.119:
	s_movk_i32 s20, 0x80
	v_cmp_ne_u16_e32 vcc, s20, v36
	v_mov_b32_e32 v40, 0xffff8000
	s_and_saveexec_b64 s[20:21], vcc
	s_cbranch_execz .LBB797_123
; %bb.120:
	v_bfe_u32 v36, v30, 16, 7
	s_movk_i32 s22, 0x7f
	v_cmp_ne_u32_e32 vcc, s22, v36
	v_mov_b32_e32 v40, 0x7f80
	s_and_saveexec_b64 s[22:23], vcc
	s_cbranch_execz .LBB797_122
; %bb.121:
	v_and_b32_e32 v42, 7, v34
	v_ffbh_u32_e32 v40, v42
	v_min_u32_e32 v48, 32, v40
	v_subrev_u32_e32 v40, 28, v48
	v_lshlrev_b64 v[40:41], v40, v[34:35]
	v_and_b32_e32 v40, 7, v40
	v_cmp_gt_u32_e32 vcc, 8, v36
	v_lshrrev_b32_e32 v47, 3, v36
	v_sub_u32_e32 v34, 29, v48
	v_cndmask_b32_e32 v36, v42, v40, vcc
	v_mov_b32_e32 v40, 24
	v_cndmask_b32_e32 v34, v47, v34, vcc
	v_lshlrev_b32_sdwa v40, v40, v30 dst_sel:DWORD dst_unused:UNUSED_PAD src0_sel:DWORD src1_sel:WORD_1
	v_bfrev_b32_e32 v41, 60
	v_lshlrev_b32_e32 v36, 20, v36
	v_and_b32_e32 v40, 0x80000000, v40
	v_lshl_add_u32 v34, v34, 23, v41
	v_or3_b32 v34, v40, v34, v36
	v_lshrrev_b32_e32 v40, 16, v34
.LBB797_122:
	s_or_b64 exec, exec, s[22:23]
.LBB797_123:
	s_or_b64 exec, exec, s[20:21]
.LBB797_124:
	s_or_b64 exec, exec, s[10:11]
	s_mov_b32 s10, 0xffffff
	v_cmp_lt_u32_e32 vcc, s10, v30
	v_mov_b32_e32 v41, 0
	s_and_saveexec_b64 s[10:11], vcc
	s_cbranch_execz .LBB797_130
; %bb.125:
	v_lshrrev_b32_e32 v34, 24, v30
	s_movk_i32 s20, 0x80
	v_cmp_ne_u32_e32 vcc, s20, v34
	v_mov_b32_e32 v41, 0xffff8000
	s_and_saveexec_b64 s[20:21], vcc
	s_cbranch_execz .LBB797_129
; %bb.126:
	v_bfe_u32 v36, v30, 24, 7
	s_movk_i32 s22, 0x7f
	v_cmp_ne_u32_e32 vcc, s22, v36
	v_mov_b32_e32 v41, 0x7f80
	s_and_saveexec_b64 s[22:23], vcc
	s_cbranch_execz .LBB797_128
; %bb.127:
	v_and_b32_e32 v41, 7, v34
	v_ffbh_u32_e32 v47, v41
	v_min_u32_e32 v47, 32, v47
	v_subrev_u32_e32 v48, 28, v47
	v_lshlrev_b64 v[48:49], v48, v[34:35]
	v_lshrrev_b32_e32 v42, 3, v36
	v_sub_u32_e32 v47, 29, v47
	v_and_b32_e32 v48, 7, v48
	v_cmp_gt_u32_e32 vcc, 8, v36
	v_cndmask_b32_e32 v36, v42, v47, vcc
	v_cndmask_b32_e32 v41, v41, v48, vcc
	v_lshlrev_b32_e32 v34, 24, v34
	v_bfrev_b32_e32 v42, 60
	v_lshlrev_b32_e32 v41, 20, v41
	v_and_b32_e32 v34, 0x80000000, v34
	v_lshl_add_u32 v36, v36, 23, v42
	v_or3_b32 v34, v34, v36, v41
	v_lshrrev_b32_e32 v41, 16, v34
.LBB797_128:
	s_or_b64 exec, exec, s[22:23]
.LBB797_129:
	s_or_b64 exec, exec, s[20:21]
.LBB797_130:
	s_or_b64 exec, exec, s[10:11]
	v_mov_b32_e32 v42, 0
	v_mov_b32_e32 v34, v31
	v_cmp_ne_u16_sdwa s[20:21], v31, v42 src0_sel:BYTE_0 src1_sel:DWORD
	v_mov_b32_e32 v47, 0
	s_and_saveexec_b64 s[10:11], s[20:21]
	s_cbranch_execz .LBB797_136
; %bb.131:
	s_movk_i32 s20, 0x80
	v_cmp_ne_u16_sdwa s[22:23], v31, s20 src0_sel:BYTE_0 src1_sel:DWORD
	v_mov_b32_e32 v47, 0xffff8000
	s_and_saveexec_b64 s[20:21], s[22:23]
	s_cbranch_execz .LBB797_135
; %bb.132:
	s_movk_i32 s22, 0x7f
	v_and_b32_e32 v36, 0x7f, v31
	v_cmp_ne_u32_e32 vcc, s22, v36
	v_mov_b32_e32 v47, 0x7f80
	s_and_saveexec_b64 s[22:23], vcc
	s_cbranch_execz .LBB797_134
; %bb.133:
	v_and_b32_e32 v47, 7, v31
	v_ffbh_u32_e32 v47, v47
	v_min_u32_e32 v47, 32, v47
	v_lshrrev_b32_e32 v48, 3, v36
	v_subrev_u32_e32 v49, 28, v47
	v_sub_u32_e32 v47, 29, v47
	v_cmp_gt_u32_e32 vcc, 8, v36
	v_cndmask_b32_e32 v36, v48, v47, vcc
	v_cndmask_b32_e32 v47, 0, v49, vcc
	v_lshlrev_b64 v[48:49], v47, v[34:35]
	v_lshlrev_b32_e32 v35, 20, v48
	v_lshlrev_b32_e32 v47, 24, v34
	v_bfrev_b32_e32 v48, 60
	v_and_b32_e32 v35, 0x700000, v35
	v_and_b32_e32 v47, 0x80000000, v47
	v_lshl_add_u32 v36, v36, 23, v48
	v_or3_b32 v35, v47, v36, v35
	v_lshrrev_b32_e32 v47, 16, v35
.LBB797_134:
	s_or_b64 exec, exec, s[22:23]
.LBB797_135:
	s_or_b64 exec, exec, s[20:21]
.LBB797_136:
	s_or_b64 exec, exec, s[10:11]
	v_lshrrev_b16_e32 v36, 8, v34
	v_cmp_ne_u16_e32 vcc, 0, v36
	s_and_saveexec_b64 s[10:11], vcc
	s_cbranch_execz .LBB797_142
; %bb.137:
	s_movk_i32 s20, 0x80
	v_cmp_ne_u16_e32 vcc, s20, v36
	v_mov_b32_e32 v42, 0xffff8000
	s_and_saveexec_b64 s[20:21], vcc
	s_cbranch_execz .LBB797_141
; %bb.138:
	s_movk_i32 s22, 0x7f
	v_and_b32_e32 v35, 0x7f, v36
	v_cmp_ne_u32_e32 vcc, s22, v35
	v_mov_b32_e32 v42, 0x7f80
	s_and_saveexec_b64 s[22:23], vcc
	s_cbranch_execz .LBB797_140
; %bb.139:
	v_and_b32_e32 v42, 7, v36
	v_ffbh_u32_e32 v48, v42
	v_min_u32_e32 v51, 32, v48
	v_subrev_u32_e32 v48, 28, v51
	v_lshlrev_b64 v[48:49], v48, v[36:37]
	v_lshrrev_b32_e32 v50, 3, v35
	v_sub_u32_e32 v36, 29, v51
	v_and_b32_e32 v48, 7, v48
	v_cmp_gt_u32_e32 vcc, 8, v35
	v_cndmask_b32_e32 v35, v50, v36, vcc
	v_cndmask_b32_e32 v36, v42, v48, vcc
	v_lshlrev_b32_e32 v34, 16, v34
	v_bfrev_b32_e32 v42, 60
	v_lshlrev_b32_e32 v36, 20, v36
	v_and_b32_e32 v34, 0x80000000, v34
	v_lshl_add_u32 v35, v35, 23, v42
	v_or3_b32 v34, v34, v35, v36
	v_lshrrev_b32_e32 v42, 16, v34
.LBB797_140:
	s_or_b64 exec, exec, s[22:23]
.LBB797_141:
	s_or_b64 exec, exec, s[20:21]
.LBB797_142:
	s_or_b64 exec, exec, s[10:11]
	s_movk_i32 s10, 0xff
	v_and_b32_sdwa v48, v31, s10 dst_sel:DWORD dst_unused:UNUSED_PAD src0_sel:WORD_1 src1_sel:DWORD
	v_lshrrev_b32_e32 v34, 16, v31
	v_cmp_ne_u16_e32 vcc, 0, v48
	v_mov_b32_e32 v35, 0
	v_mov_b32_e32 v36, 0
	s_and_saveexec_b64 s[10:11], vcc
	s_cbranch_execz .LBB797_148
; %bb.143:
	s_movk_i32 s20, 0x80
	v_cmp_ne_u16_e32 vcc, s20, v48
	v_mov_b32_e32 v36, 0xffff8000
	s_and_saveexec_b64 s[20:21], vcc
	s_cbranch_execz .LBB797_147
; %bb.144:
	v_bfe_u32 v48, v31, 16, 7
	s_movk_i32 s22, 0x7f
	v_cmp_ne_u32_e32 vcc, s22, v48
	v_mov_b32_e32 v36, 0x7f80
	s_and_saveexec_b64 s[22:23], vcc
	s_cbranch_execz .LBB797_146
; %bb.145:
	v_and_b32_e32 v36, 7, v34
	v_ffbh_u32_e32 v50, v36
	v_min_u32_e32 v52, 32, v50
	v_subrev_u32_e32 v50, 28, v52
	v_lshlrev_b64 v[50:51], v50, v[34:35]
	v_lshrrev_b32_e32 v49, 3, v48
	v_sub_u32_e32 v34, 29, v52
	v_and_b32_e32 v50, 7, v50
	v_cmp_gt_u32_e32 vcc, 8, v48
	v_mov_b32_e32 v48, 24
	v_cndmask_b32_e32 v34, v49, v34, vcc
	v_cndmask_b32_e32 v36, v36, v50, vcc
	v_lshlrev_b32_sdwa v48, v48, v31 dst_sel:DWORD dst_unused:UNUSED_PAD src0_sel:DWORD src1_sel:WORD_1
	v_bfrev_b32_e32 v49, 60
	v_lshlrev_b32_e32 v36, 20, v36
	v_and_b32_e32 v48, 0x80000000, v48
	v_lshl_add_u32 v34, v34, 23, v49
	v_or3_b32 v34, v48, v34, v36
	v_lshrrev_b32_e32 v36, 16, v34
.LBB797_146:
	s_or_b64 exec, exec, s[22:23]
.LBB797_147:
	s_or_b64 exec, exec, s[20:21]
.LBB797_148:
	s_or_b64 exec, exec, s[10:11]
	s_mov_b32 s10, -1
	s_mov_b32 s11, 0xffffff
	v_cmp_lt_u64_e32 vcc, s[10:11], v[30:31]
	s_and_saveexec_b64 s[10:11], vcc
	s_cbranch_execz .LBB797_154
; %bb.149:
	v_lshrrev_b32_e32 v30, 24, v31
	s_movk_i32 s20, 0x80
	v_cmp_ne_u32_e32 vcc, s20, v30
	v_mov_b32_e32 v35, 0xffff8000
	s_and_saveexec_b64 s[20:21], vcc
	s_cbranch_execz .LBB797_153
; %bb.150:
	v_bfe_u32 v31, v31, 24, 7
	s_movk_i32 s22, 0x7f
	v_cmp_ne_u32_e32 vcc, s22, v31
	v_mov_b32_e32 v35, 0x7f80
	s_and_saveexec_b64 s[22:23], vcc
	s_cbranch_execz .LBB797_152
; %bb.151:
	v_and_b32_e32 v48, 7, v30
	v_ffbh_u32_e32 v34, v48
	v_min_u32_e32 v50, 32, v34
	v_subrev_u32_e32 v34, 28, v50
	v_lshlrev_b64 v[34:35], v34, v[30:31]
	v_lshrrev_b32_e32 v49, 3, v31
	v_sub_u32_e32 v35, 29, v50
	v_and_b32_e32 v34, 7, v34
	v_cmp_gt_u32_e32 vcc, 8, v31
	v_cndmask_b32_e32 v31, v49, v35, vcc
	v_cndmask_b32_e32 v34, v48, v34, vcc
	v_lshlrev_b32_e32 v30, 24, v30
	v_bfrev_b32_e32 v35, 60
	v_lshlrev_b32_e32 v34, 20, v34
	v_and_b32_e32 v30, 0x80000000, v30
	v_lshl_add_u32 v31, v31, 23, v35
	v_or3_b32 v30, v30, v31, v34
	v_lshrrev_b32_e32 v35, 16, v30
.LBB797_152:
	s_or_b64 exec, exec, s[22:23]
.LBB797_153:
	s_or_b64 exec, exec, s[20:21]
.LBB797_154:
	s_or_b64 exec, exec, s[10:11]
	s_mov_b32 s10, 0x5040100
	v_perm_b32 v31, v41, v40, s10
	v_perm_b32 v30, v37, v39, s10
	;; [unrolled: 1-line block ×4, first 2 shown]
	v_mfma_f32_4x4x4bf16_1k a[0:3], v[2:3], v[30:31], a[0:3] cbsz:4 abid:2
	v_mov_b32_e32 v36, 0
	v_mfma_f32_4x4x4bf16_1k a[0:3], v[4:5], v[34:35], a[0:3] cbsz:4 abid:2
	v_mov_b32_e32 v35, 0
	v_cmp_ne_u16_sdwa s[20:21], v32, v35 src0_sel:BYTE_0 src1_sel:DWORD
	s_and_saveexec_b64 s[10:11], s[20:21]
	s_cbranch_execz .LBB797_160
; %bb.155:
	s_movk_i32 s20, 0x80
	v_cmp_ne_u16_sdwa s[22:23], v32, s20 src0_sel:BYTE_0 src1_sel:DWORD
	v_mov_b32_e32 v36, 0xffff8000
	s_and_saveexec_b64 s[20:21], s[22:23]
	s_cbranch_execz .LBB797_159
; %bb.156:
	s_movk_i32 s22, 0x7f
	v_and_b32_e32 v30, 0x7f, v32
	v_cmp_ne_u32_e32 vcc, s22, v30
	v_mov_b32_e32 v36, 0x7f80
	s_and_saveexec_b64 s[22:23], vcc
	s_cbranch_execz .LBB797_158
; %bb.157:
	v_and_b32_e32 v31, 7, v32
	v_ffbh_u32_e32 v31, v31
	v_min_u32_e32 v31, 32, v31
	v_subrev_u32_e32 v36, 28, v31
	v_cmp_gt_u32_e32 vcc, 8, v30
	v_lshrrev_b32_e32 v34, 3, v30
	v_sub_u32_e32 v31, 29, v31
	v_cndmask_b32_e32 v30, 0, v36, vcc
	v_cndmask_b32_e32 v34, v34, v31, vcc
	v_lshlrev_b64 v[30:31], v30, v[32:33]
	v_lshlrev_b32_e32 v30, 20, v30
	v_lshlrev_b32_e32 v31, 24, v32
	v_bfrev_b32_e32 v36, 60
	v_and_b32_e32 v30, 0x700000, v30
	v_and_b32_e32 v31, 0x80000000, v31
	v_lshl_add_u32 v34, v34, 23, v36
	v_or3_b32 v30, v31, v34, v30
	v_lshrrev_b32_e32 v36, 16, v30
.LBB797_158:
	s_or_b64 exec, exec, s[22:23]
.LBB797_159:
	s_or_b64 exec, exec, s[20:21]
.LBB797_160:
	s_or_b64 exec, exec, s[10:11]
	v_lshrrev_b16_e32 v30, 8, v32
	v_cmp_ne_u16_e32 vcc, 0, v30
	s_and_saveexec_b64 s[10:11], vcc
	s_cbranch_execz .LBB797_166
; %bb.161:
	s_movk_i32 s20, 0x80
	v_cmp_ne_u16_e32 vcc, s20, v30
	v_mov_b32_e32 v35, 0xffff8000
	s_and_saveexec_b64 s[20:21], vcc
	s_cbranch_execz .LBB797_165
; %bb.162:
	s_movk_i32 s22, 0x7f
	v_and_b32_e32 v31, 0x7f, v30
	v_cmp_ne_u32_e32 vcc, s22, v31
	v_mov_b32_e32 v35, 0x7f80
	s_and_saveexec_b64 s[22:23], vcc
	s_cbranch_execz .LBB797_164
; %bb.163:
	v_and_b32_e32 v37, 7, v30
	v_ffbh_u32_e32 v34, v37
	v_min_u32_e32 v40, 32, v34
	v_subrev_u32_e32 v34, 28, v40
	v_lshlrev_b64 v[34:35], v34, v[30:31]
	v_lshrrev_b32_e32 v39, 3, v31
	v_sub_u32_e32 v30, 29, v40
	v_and_b32_e32 v34, 7, v34
	v_cmp_gt_u32_e32 vcc, 8, v31
	v_cndmask_b32_e32 v30, v39, v30, vcc
	v_cndmask_b32_e32 v31, v37, v34, vcc
	v_lshlrev_b32_e32 v34, 16, v32
	v_bfrev_b32_e32 v35, 60
	v_lshlrev_b32_e32 v31, 20, v31
	v_and_b32_e32 v34, 0x80000000, v34
	v_lshl_add_u32 v30, v30, 23, v35
	v_or3_b32 v30, v34, v30, v31
	v_lshrrev_b32_e32 v35, 16, v30
.LBB797_164:
	s_or_b64 exec, exec, s[22:23]
.LBB797_165:
	s_or_b64 exec, exec, s[20:21]
.LBB797_166:
	s_or_b64 exec, exec, s[10:11]
	s_movk_i32 s10, 0xff
	v_and_b32_sdwa v34, v32, s10 dst_sel:DWORD dst_unused:UNUSED_PAD src0_sel:WORD_1 src1_sel:DWORD
	v_lshrrev_b32_e32 v30, 16, v32
	v_cmp_ne_u16_e32 vcc, 0, v34
	v_mov_b32_e32 v31, 0
	v_mov_b32_e32 v37, 0
	s_and_saveexec_b64 s[10:11], vcc
	s_cbranch_execz .LBB797_172
; %bb.167:
	s_movk_i32 s20, 0x80
	v_cmp_ne_u16_e32 vcc, s20, v34
	v_mov_b32_e32 v37, 0xffff8000
	s_and_saveexec_b64 s[20:21], vcc
	s_cbranch_execz .LBB797_171
; %bb.168:
	v_bfe_u32 v34, v32, 16, 7
	s_movk_i32 s22, 0x7f
	v_cmp_ne_u32_e32 vcc, s22, v34
	v_mov_b32_e32 v37, 0x7f80
	s_and_saveexec_b64 s[22:23], vcc
	s_cbranch_execz .LBB797_170
; %bb.169:
	v_and_b32_e32 v37, 7, v30
	v_ffbh_u32_e32 v40, v37
	v_min_u32_e32 v42, 32, v40
	v_subrev_u32_e32 v40, 28, v42
	v_lshlrev_b64 v[40:41], v40, v[30:31]
	v_and_b32_e32 v40, 7, v40
	v_cmp_gt_u32_e32 vcc, 8, v34
	v_lshrrev_b32_e32 v39, 3, v34
	v_sub_u32_e32 v30, 29, v42
	v_cndmask_b32_e32 v34, v37, v40, vcc
	v_mov_b32_e32 v37, 24
	v_cndmask_b32_e32 v30, v39, v30, vcc
	v_lshlrev_b32_sdwa v37, v37, v32 dst_sel:DWORD dst_unused:UNUSED_PAD src0_sel:DWORD src1_sel:WORD_1
	v_bfrev_b32_e32 v39, 60
	v_lshlrev_b32_e32 v34, 20, v34
	v_and_b32_e32 v37, 0x80000000, v37
	v_lshl_add_u32 v30, v30, 23, v39
	v_or3_b32 v30, v37, v30, v34
	v_lshrrev_b32_e32 v37, 16, v30
.LBB797_170:
	s_or_b64 exec, exec, s[22:23]
.LBB797_171:
	s_or_b64 exec, exec, s[20:21]
.LBB797_172:
	s_or_b64 exec, exec, s[10:11]
	s_mov_b32 s10, 0xffffff
	v_cmp_lt_u32_e32 vcc, s10, v32
	v_mov_b32_e32 v39, 0
	s_and_saveexec_b64 s[10:11], vcc
	s_cbranch_execz .LBB797_178
; %bb.173:
	v_lshrrev_b32_e32 v30, 24, v32
	s_movk_i32 s20, 0x80
	v_cmp_ne_u32_e32 vcc, s20, v30
	v_mov_b32_e32 v39, 0xffff8000
	s_and_saveexec_b64 s[20:21], vcc
	s_cbranch_execz .LBB797_177
; %bb.174:
	v_bfe_u32 v34, v32, 24, 7
	s_movk_i32 s22, 0x7f
	v_cmp_ne_u32_e32 vcc, s22, v34
	v_mov_b32_e32 v39, 0x7f80
	s_and_saveexec_b64 s[22:23], vcc
	s_cbranch_execz .LBB797_176
; %bb.175:
	v_and_b32_e32 v39, 7, v30
	v_ffbh_u32_e32 v40, v39
	v_min_u32_e32 v47, 32, v40
	v_subrev_u32_e32 v40, 28, v47
	v_lshlrev_b64 v[40:41], v40, v[30:31]
	v_lshrrev_b32_e32 v42, 3, v34
	v_sub_u32_e32 v41, 29, v47
	v_and_b32_e32 v40, 7, v40
	v_cmp_gt_u32_e32 vcc, 8, v34
	v_cndmask_b32_e32 v34, v42, v41, vcc
	v_cndmask_b32_e32 v39, v39, v40, vcc
	v_lshlrev_b32_e32 v30, 24, v30
	v_bfrev_b32_e32 v40, 60
	v_lshlrev_b32_e32 v39, 20, v39
	v_and_b32_e32 v30, 0x80000000, v30
	v_lshl_add_u32 v34, v34, 23, v40
	v_or3_b32 v30, v30, v34, v39
	v_lshrrev_b32_e32 v39, 16, v30
.LBB797_176:
	s_or_b64 exec, exec, s[22:23]
.LBB797_177:
	s_or_b64 exec, exec, s[20:21]
.LBB797_178:
	s_or_b64 exec, exec, s[10:11]
	v_mov_b32_e32 v40, 0
	v_mov_b32_e32 v30, v33
	v_cmp_ne_u16_sdwa s[20:21], v33, v40 src0_sel:BYTE_0 src1_sel:DWORD
	v_mov_b32_e32 v41, 0
	s_and_saveexec_b64 s[10:11], s[20:21]
	s_cbranch_execz .LBB797_184
; %bb.179:
	s_movk_i32 s20, 0x80
	v_cmp_ne_u16_sdwa s[22:23], v33, s20 src0_sel:BYTE_0 src1_sel:DWORD
	v_mov_b32_e32 v41, 0xffff8000
	s_and_saveexec_b64 s[20:21], s[22:23]
	s_cbranch_execz .LBB797_183
; %bb.180:
	s_movk_i32 s22, 0x7f
	v_and_b32_e32 v34, 0x7f, v33
	v_cmp_ne_u32_e32 vcc, s22, v34
	v_mov_b32_e32 v41, 0x7f80
	s_and_saveexec_b64 s[22:23], vcc
	s_cbranch_execz .LBB797_182
; %bb.181:
	v_and_b32_e32 v41, 7, v33
	v_ffbh_u32_e32 v41, v41
	v_min_u32_e32 v41, 32, v41
	v_lshrrev_b32_e32 v42, 3, v34
	v_subrev_u32_e32 v47, 28, v41
	v_sub_u32_e32 v41, 29, v41
	v_cmp_gt_u32_e32 vcc, 8, v34
	v_cndmask_b32_e32 v34, v42, v41, vcc
	v_cndmask_b32_e32 v41, 0, v47, vcc
	v_lshlrev_b64 v[48:49], v41, v[30:31]
	v_lshlrev_b32_e32 v31, 20, v48
	v_lshlrev_b32_e32 v41, 24, v30
	v_bfrev_b32_e32 v42, 60
	v_and_b32_e32 v31, 0x700000, v31
	v_and_b32_e32 v41, 0x80000000, v41
	v_lshl_add_u32 v34, v34, 23, v42
	v_or3_b32 v31, v41, v34, v31
	v_lshrrev_b32_e32 v41, 16, v31
.LBB797_182:
	s_or_b64 exec, exec, s[22:23]
.LBB797_183:
	s_or_b64 exec, exec, s[20:21]
.LBB797_184:
	s_or_b64 exec, exec, s[10:11]
	v_lshrrev_b16_e32 v34, 8, v30
	v_cmp_ne_u16_e32 vcc, 0, v34
	s_and_saveexec_b64 s[10:11], vcc
	s_cbranch_execz .LBB797_190
; %bb.185:
	s_movk_i32 s20, 0x80
	v_cmp_ne_u16_e32 vcc, s20, v34
	v_mov_b32_e32 v40, 0xffff8000
	s_and_saveexec_b64 s[20:21], vcc
	s_cbranch_execz .LBB797_189
; %bb.186:
	s_movk_i32 s22, 0x7f
	v_and_b32_e32 v31, 0x7f, v34
	v_cmp_ne_u32_e32 vcc, s22, v31
	v_mov_b32_e32 v40, 0x7f80
	s_and_saveexec_b64 s[22:23], vcc
	s_cbranch_execz .LBB797_188
; %bb.187:
	v_and_b32_e32 v40, 7, v34
	v_ffbh_u32_e32 v47, v40
	v_min_u32_e32 v47, 32, v47
	v_subrev_u32_e32 v48, 28, v47
	v_lshlrev_b64 v[48:49], v48, v[34:35]
	v_lshrrev_b32_e32 v42, 3, v31
	v_sub_u32_e32 v34, 29, v47
	v_and_b32_e32 v47, 7, v48
	v_cmp_gt_u32_e32 vcc, 8, v31
	v_cndmask_b32_e32 v31, v42, v34, vcc
	v_cndmask_b32_e32 v34, v40, v47, vcc
	v_lshlrev_b32_e32 v30, 16, v30
	v_bfrev_b32_e32 v40, 60
	v_lshlrev_b32_e32 v34, 20, v34
	v_and_b32_e32 v30, 0x80000000, v30
	v_lshl_add_u32 v31, v31, 23, v40
	v_or3_b32 v30, v30, v31, v34
	v_lshrrev_b32_e32 v40, 16, v30
.LBB797_188:
	s_or_b64 exec, exec, s[22:23]
.LBB797_189:
	s_or_b64 exec, exec, s[20:21]
.LBB797_190:
	s_or_b64 exec, exec, s[10:11]
	s_movk_i32 s10, 0xff
	v_and_b32_sdwa v42, v33, s10 dst_sel:DWORD dst_unused:UNUSED_PAD src0_sel:WORD_1 src1_sel:DWORD
	v_lshrrev_b32_e32 v30, 16, v33
	v_cmp_ne_u16_e32 vcc, 0, v42
	v_mov_b32_e32 v31, 0
	v_mov_b32_e32 v34, 0
	s_and_saveexec_b64 s[10:11], vcc
	s_cbranch_execz .LBB797_196
; %bb.191:
	s_movk_i32 s20, 0x80
	v_cmp_ne_u16_e32 vcc, s20, v42
	v_mov_b32_e32 v34, 0xffff8000
	s_and_saveexec_b64 s[20:21], vcc
	s_cbranch_execz .LBB797_195
; %bb.192:
	v_bfe_u32 v42, v33, 16, 7
	s_movk_i32 s22, 0x7f
	v_cmp_ne_u32_e32 vcc, s22, v42
	v_mov_b32_e32 v34, 0x7f80
	s_and_saveexec_b64 s[22:23], vcc
	s_cbranch_execz .LBB797_194
; %bb.193:
	v_and_b32_e32 v34, 7, v30
	v_ffbh_u32_e32 v48, v34
	v_min_u32_e32 v50, 32, v48
	v_subrev_u32_e32 v48, 28, v50
	v_lshlrev_b64 v[48:49], v48, v[30:31]
	v_lshrrev_b32_e32 v47, 3, v42
	v_sub_u32_e32 v30, 29, v50
	v_and_b32_e32 v48, 7, v48
	v_cmp_gt_u32_e32 vcc, 8, v42
	v_mov_b32_e32 v42, 24
	v_cndmask_b32_e32 v30, v47, v30, vcc
	v_cndmask_b32_e32 v34, v34, v48, vcc
	v_lshlrev_b32_sdwa v42, v42, v33 dst_sel:DWORD dst_unused:UNUSED_PAD src0_sel:DWORD src1_sel:WORD_1
	v_bfrev_b32_e32 v47, 60
	v_lshlrev_b32_e32 v34, 20, v34
	v_and_b32_e32 v42, 0x80000000, v42
	v_lshl_add_u32 v30, v30, 23, v47
	v_or3_b32 v30, v42, v30, v34
	v_lshrrev_b32_e32 v34, 16, v30
.LBB797_194:
	s_or_b64 exec, exec, s[22:23]
.LBB797_195:
	s_or_b64 exec, exec, s[20:21]
.LBB797_196:
	s_or_b64 exec, exec, s[10:11]
	s_mov_b32 s10, -1
	s_mov_b32 s11, 0xffffff
	v_cmp_lt_u64_e32 vcc, s[10:11], v[32:33]
	s_and_saveexec_b64 s[10:11], vcc
	s_cbranch_execz .LBB797_202
; %bb.197:
	v_lshrrev_b32_e32 v30, 24, v33
	s_movk_i32 s20, 0x80
	v_cmp_ne_u32_e32 vcc, s20, v30
	v_mov_b32_e32 v31, 0xffff8000
	s_and_saveexec_b64 s[20:21], vcc
	s_cbranch_execz .LBB797_201
; %bb.198:
	v_bfe_u32 v32, v33, 24, 7
	s_movk_i32 s22, 0x7f
	v_cmp_ne_u32_e32 vcc, s22, v32
	v_mov_b32_e32 v31, 0x7f80
	s_and_saveexec_b64 s[22:23], vcc
	s_cbranch_execz .LBB797_200
; %bb.199:
	v_and_b32_e32 v31, 7, v30
	v_ffbh_u32_e32 v42, v31
	v_min_u32_e32 v42, 32, v42
	v_subrev_u32_e32 v47, 28, v42
	v_lshlrev_b64 v[48:49], v47, v[30:31]
	v_lshrrev_b32_e32 v33, 3, v32
	v_sub_u32_e32 v42, 29, v42
	v_and_b32_e32 v47, 7, v48
	v_cmp_gt_u32_e32 vcc, 8, v32
	v_cndmask_b32_e32 v32, v33, v42, vcc
	v_cndmask_b32_e32 v31, v31, v47, vcc
	v_lshlrev_b32_e32 v30, 24, v30
	v_bfrev_b32_e32 v33, 60
	v_lshlrev_b32_e32 v31, 20, v31
	v_and_b32_e32 v30, 0x80000000, v30
	v_lshl_add_u32 v32, v32, 23, v33
	v_or3_b32 v30, v30, v32, v31
	v_lshrrev_b32_e32 v31, 16, v30
.LBB797_200:
	s_or_b64 exec, exec, s[22:23]
.LBB797_201:
	s_or_b64 exec, exec, s[20:21]
.LBB797_202:
	s_or_b64 exec, exec, s[10:11]
	s_mov_b32 s10, 0x5040100
	v_perm_b32 v33, v39, v37, s10
	v_perm_b32 v32, v35, v36, s10
	;; [unrolled: 1-line block ×4, first 2 shown]
	v_mfma_f32_4x4x4bf16_1k a[0:3], v[2:3], v[32:33], a[0:3] cbsz:4 abid:3
	v_mov_b32_e32 v33, 0
	v_mfma_f32_4x4x4bf16_1k a[0:3], v[4:5], v[30:31], a[0:3] cbsz:4 abid:3
	v_cmp_ne_u16_sdwa s[20:21], v26, v33 src0_sel:BYTE_0 src1_sel:DWORD
	v_mov_b32_e32 v34, 0
	s_and_saveexec_b64 s[10:11], s[20:21]
	s_cbranch_execz .LBB797_208
; %bb.203:
	s_movk_i32 s20, 0x80
	v_cmp_ne_u16_sdwa s[22:23], v26, s20 src0_sel:BYTE_0 src1_sel:DWORD
	v_mov_b32_e32 v34, 0xffff8000
	s_and_saveexec_b64 s[20:21], s[22:23]
	s_cbranch_execz .LBB797_207
; %bb.204:
	s_movk_i32 s22, 0x7f
	v_and_b32_e32 v30, 0x7f, v26
	v_cmp_ne_u32_e32 vcc, s22, v30
	v_mov_b32_e32 v34, 0x7f80
	s_and_saveexec_b64 s[22:23], vcc
	s_cbranch_execz .LBB797_206
; %bb.205:
	v_and_b32_e32 v31, 7, v26
	v_ffbh_u32_e32 v31, v31
	v_min_u32_e32 v31, 32, v31
	v_subrev_u32_e32 v34, 28, v31
	v_cmp_gt_u32_e32 vcc, 8, v30
	v_lshrrev_b32_e32 v32, 3, v30
	v_sub_u32_e32 v31, 29, v31
	v_cndmask_b32_e32 v30, 0, v34, vcc
	v_cndmask_b32_e32 v32, v32, v31, vcc
	v_lshlrev_b64 v[30:31], v30, v[26:27]
	v_lshlrev_b32_e32 v30, 20, v30
	v_lshlrev_b32_e32 v31, 24, v26
	v_bfrev_b32_e32 v34, 60
	v_and_b32_e32 v30, 0x700000, v30
	v_and_b32_e32 v31, 0x80000000, v31
	v_lshl_add_u32 v32, v32, 23, v34
	v_or3_b32 v30, v31, v32, v30
	v_lshrrev_b32_e32 v34, 16, v30
.LBB797_206:
	s_or_b64 exec, exec, s[22:23]
.LBB797_207:
	s_or_b64 exec, exec, s[20:21]
.LBB797_208:
	s_or_b64 exec, exec, s[10:11]
	v_lshrrev_b16_e32 v30, 8, v26
	v_cmp_ne_u16_e32 vcc, 0, v30
	s_and_saveexec_b64 s[10:11], vcc
	s_cbranch_execz .LBB797_214
; %bb.209:
	s_movk_i32 s20, 0x80
	v_cmp_ne_u16_e32 vcc, s20, v30
	v_mov_b32_e32 v33, 0xffff8000
	s_and_saveexec_b64 s[20:21], vcc
	s_cbranch_execz .LBB797_213
; %bb.210:
	s_movk_i32 s22, 0x7f
	v_and_b32_e32 v31, 0x7f, v30
	v_cmp_ne_u32_e32 vcc, s22, v31
	v_mov_b32_e32 v33, 0x7f80
	s_and_saveexec_b64 s[22:23], vcc
	s_cbranch_execz .LBB797_212
; %bb.211:
	v_and_b32_e32 v35, 7, v30
	v_ffbh_u32_e32 v32, v35
	v_min_u32_e32 v37, 32, v32
	v_subrev_u32_e32 v32, 28, v37
	v_lshlrev_b64 v[32:33], v32, v[30:31]
	v_lshrrev_b32_e32 v36, 3, v31
	v_sub_u32_e32 v30, 29, v37
	v_and_b32_e32 v32, 7, v32
	v_cmp_gt_u32_e32 vcc, 8, v31
	v_cndmask_b32_e32 v30, v36, v30, vcc
	v_cndmask_b32_e32 v31, v35, v32, vcc
	v_lshlrev_b32_e32 v32, 16, v26
	v_bfrev_b32_e32 v33, 60
	v_lshlrev_b32_e32 v31, 20, v31
	v_and_b32_e32 v32, 0x80000000, v32
	v_lshl_add_u32 v30, v30, 23, v33
	v_or3_b32 v30, v32, v30, v31
	v_lshrrev_b32_e32 v33, 16, v30
.LBB797_212:
	s_or_b64 exec, exec, s[22:23]
.LBB797_213:
	s_or_b64 exec, exec, s[20:21]
.LBB797_214:
	s_or_b64 exec, exec, s[10:11]
	s_movk_i32 s10, 0xff
	v_and_b32_sdwa v32, v26, s10 dst_sel:DWORD dst_unused:UNUSED_PAD src0_sel:WORD_1 src1_sel:DWORD
	v_lshrrev_b32_e32 v30, 16, v26
	v_cmp_ne_u16_e32 vcc, 0, v32
	v_mov_b32_e32 v31, 0
	v_mov_b32_e32 v35, 0
	s_and_saveexec_b64 s[10:11], vcc
	s_cbranch_execz .LBB797_220
; %bb.215:
	s_movk_i32 s20, 0x80
	v_cmp_ne_u16_e32 vcc, s20, v32
	v_mov_b32_e32 v35, 0xffff8000
	s_and_saveexec_b64 s[20:21], vcc
	s_cbranch_execz .LBB797_219
; %bb.216:
	v_bfe_u32 v32, v26, 16, 7
	s_movk_i32 s22, 0x7f
	v_cmp_ne_u32_e32 vcc, s22, v32
	v_mov_b32_e32 v35, 0x7f80
	s_and_saveexec_b64 s[22:23], vcc
	s_cbranch_execz .LBB797_218
; %bb.217:
	v_and_b32_e32 v35, 7, v30
	v_ffbh_u32_e32 v36, v35
	v_min_u32_e32 v40, 32, v36
	v_subrev_u32_e32 v36, 28, v40
	v_lshlrev_b64 v[36:37], v36, v[30:31]
	v_and_b32_e32 v36, 7, v36
	v_cmp_gt_u32_e32 vcc, 8, v32
	v_lshrrev_b32_e32 v39, 3, v32
	v_sub_u32_e32 v30, 29, v40
	v_cndmask_b32_e32 v32, v35, v36, vcc
	v_mov_b32_e32 v35, 24
	v_cndmask_b32_e32 v30, v39, v30, vcc
	v_lshlrev_b32_sdwa v35, v35, v26 dst_sel:DWORD dst_unused:UNUSED_PAD src0_sel:DWORD src1_sel:WORD_1
	v_bfrev_b32_e32 v36, 60
	v_lshlrev_b32_e32 v32, 20, v32
	v_and_b32_e32 v35, 0x80000000, v35
	v_lshl_add_u32 v30, v30, 23, v36
	v_or3_b32 v30, v35, v30, v32
	v_lshrrev_b32_e32 v35, 16, v30
.LBB797_218:
	s_or_b64 exec, exec, s[22:23]
.LBB797_219:
	s_or_b64 exec, exec, s[20:21]
.LBB797_220:
	s_or_b64 exec, exec, s[10:11]
	s_mov_b32 s10, 0xffffff
	v_cmp_lt_u32_e32 vcc, s10, v26
	v_mov_b32_e32 v36, 0
	s_and_saveexec_b64 s[10:11], vcc
	s_cbranch_execz .LBB797_226
; %bb.221:
	v_lshrrev_b32_e32 v30, 24, v26
	s_movk_i32 s20, 0x80
	v_cmp_ne_u32_e32 vcc, s20, v30
	v_mov_b32_e32 v36, 0xffff8000
	s_and_saveexec_b64 s[20:21], vcc
	s_cbranch_execz .LBB797_225
; %bb.222:
	v_bfe_u32 v32, v26, 24, 7
	s_movk_i32 s22, 0x7f
	v_cmp_ne_u32_e32 vcc, s22, v32
	v_mov_b32_e32 v36, 0x7f80
	s_and_saveexec_b64 s[22:23], vcc
	s_cbranch_execz .LBB797_224
; %bb.223:
	v_and_b32_e32 v39, 7, v30
	v_ffbh_u32_e32 v36, v39
	v_min_u32_e32 v41, 32, v36
	v_subrev_u32_e32 v36, 28, v41
	v_lshlrev_b64 v[36:37], v36, v[30:31]
	v_lshrrev_b32_e32 v40, 3, v32
	v_sub_u32_e32 v37, 29, v41
	v_and_b32_e32 v36, 7, v36
	v_cmp_gt_u32_e32 vcc, 8, v32
	v_cndmask_b32_e32 v32, v40, v37, vcc
	v_cndmask_b32_e32 v36, v39, v36, vcc
	v_lshlrev_b32_e32 v30, 24, v30
	v_bfrev_b32_e32 v37, 60
	v_lshlrev_b32_e32 v36, 20, v36
	v_and_b32_e32 v30, 0x80000000, v30
	v_lshl_add_u32 v32, v32, 23, v37
	v_or3_b32 v30, v30, v32, v36
	v_lshrrev_b32_e32 v36, 16, v30
.LBB797_224:
	s_or_b64 exec, exec, s[22:23]
.LBB797_225:
	s_or_b64 exec, exec, s[20:21]
.LBB797_226:
	s_or_b64 exec, exec, s[10:11]
	v_mov_b32_e32 v37, 0
	v_mov_b32_e32 v30, v27
	v_cmp_ne_u16_sdwa s[20:21], v27, v37 src0_sel:BYTE_0 src1_sel:DWORD
	v_mov_b32_e32 v39, 0
	s_and_saveexec_b64 s[10:11], s[20:21]
	s_cbranch_execz .LBB797_232
; %bb.227:
	s_movk_i32 s20, 0x80
	v_cmp_ne_u16_sdwa s[22:23], v27, s20 src0_sel:BYTE_0 src1_sel:DWORD
	v_mov_b32_e32 v39, 0xffff8000
	s_and_saveexec_b64 s[20:21], s[22:23]
	s_cbranch_execz .LBB797_231
; %bb.228:
	s_movk_i32 s22, 0x7f
	v_and_b32_e32 v32, 0x7f, v27
	v_cmp_ne_u32_e32 vcc, s22, v32
	v_mov_b32_e32 v39, 0x7f80
	s_and_saveexec_b64 s[22:23], vcc
	s_cbranch_execz .LBB797_230
; %bb.229:
	v_and_b32_e32 v39, 7, v27
	v_ffbh_u32_e32 v39, v39
	v_min_u32_e32 v39, 32, v39
	v_lshrrev_b32_e32 v40, 3, v32
	v_subrev_u32_e32 v41, 28, v39
	v_sub_u32_e32 v39, 29, v39
	v_cmp_gt_u32_e32 vcc, 8, v32
	v_cndmask_b32_e32 v32, v40, v39, vcc
	v_cndmask_b32_e32 v39, 0, v41, vcc
	v_lshlrev_b64 v[40:41], v39, v[30:31]
	v_lshlrev_b32_e32 v31, 20, v40
	v_lshlrev_b32_e32 v39, 24, v30
	v_bfrev_b32_e32 v40, 60
	v_and_b32_e32 v31, 0x700000, v31
	v_and_b32_e32 v39, 0x80000000, v39
	v_lshl_add_u32 v32, v32, 23, v40
	v_or3_b32 v31, v39, v32, v31
	v_lshrrev_b32_e32 v39, 16, v31
.LBB797_230:
	s_or_b64 exec, exec, s[22:23]
.LBB797_231:
	s_or_b64 exec, exec, s[20:21]
.LBB797_232:
	s_or_b64 exec, exec, s[10:11]
	v_lshrrev_b16_e32 v32, 8, v30
	v_cmp_ne_u16_e32 vcc, 0, v32
	s_and_saveexec_b64 s[10:11], vcc
	s_cbranch_execz .LBB797_238
; %bb.233:
	s_movk_i32 s20, 0x80
	v_cmp_ne_u16_e32 vcc, s20, v32
	v_mov_b32_e32 v37, 0xffff8000
	s_and_saveexec_b64 s[20:21], vcc
	s_cbranch_execz .LBB797_237
; %bb.234:
	s_movk_i32 s22, 0x7f
	v_and_b32_e32 v31, 0x7f, v32
	v_cmp_ne_u32_e32 vcc, s22, v31
	v_mov_b32_e32 v37, 0x7f80
	s_and_saveexec_b64 s[22:23], vcc
	s_cbranch_execz .LBB797_236
; %bb.235:
	v_and_b32_e32 v37, 7, v32
	v_ffbh_u32_e32 v40, v37
	v_min_u32_e32 v47, 32, v40
	v_subrev_u32_e32 v40, 28, v47
	v_lshlrev_b64 v[40:41], v40, v[32:33]
	v_lshrrev_b32_e32 v42, 3, v31
	v_sub_u32_e32 v32, 29, v47
	v_and_b32_e32 v40, 7, v40
	v_cmp_gt_u32_e32 vcc, 8, v31
	v_cndmask_b32_e32 v31, v42, v32, vcc
	v_cndmask_b32_e32 v32, v37, v40, vcc
	v_lshlrev_b32_e32 v30, 16, v30
	v_bfrev_b32_e32 v37, 60
	v_lshlrev_b32_e32 v32, 20, v32
	v_and_b32_e32 v30, 0x80000000, v30
	v_lshl_add_u32 v31, v31, 23, v37
	v_or3_b32 v30, v30, v31, v32
	v_lshrrev_b32_e32 v37, 16, v30
.LBB797_236:
	s_or_b64 exec, exec, s[22:23]
.LBB797_237:
	s_or_b64 exec, exec, s[20:21]
.LBB797_238:
	s_or_b64 exec, exec, s[10:11]
	s_movk_i32 s10, 0xff
	v_and_b32_sdwa v40, v27, s10 dst_sel:DWORD dst_unused:UNUSED_PAD src0_sel:WORD_1 src1_sel:DWORD
	v_lshrrev_b32_e32 v30, 16, v27
	v_cmp_ne_u16_e32 vcc, 0, v40
	v_mov_b32_e32 v31, 0
	v_mov_b32_e32 v32, 0
	s_and_saveexec_b64 s[10:11], vcc
	s_cbranch_execz .LBB797_244
; %bb.239:
	s_movk_i32 s20, 0x80
	v_cmp_ne_u16_e32 vcc, s20, v40
	v_mov_b32_e32 v32, 0xffff8000
	s_and_saveexec_b64 s[20:21], vcc
	s_cbranch_execz .LBB797_243
; %bb.240:
	v_bfe_u32 v40, v27, 16, 7
	s_movk_i32 s22, 0x7f
	v_cmp_ne_u32_e32 vcc, s22, v40
	v_mov_b32_e32 v32, 0x7f80
	s_and_saveexec_b64 s[22:23], vcc
	s_cbranch_execz .LBB797_242
; %bb.241:
	v_and_b32_e32 v32, 7, v30
	v_ffbh_u32_e32 v42, v32
	v_min_u32_e32 v42, 32, v42
	v_subrev_u32_e32 v47, 28, v42
	v_lshlrev_b64 v[48:49], v47, v[30:31]
	v_lshrrev_b32_e32 v41, 3, v40
	v_sub_u32_e32 v30, 29, v42
	v_and_b32_e32 v42, 7, v48
	v_cmp_gt_u32_e32 vcc, 8, v40
	v_mov_b32_e32 v40, 24
	v_cndmask_b32_e32 v30, v41, v30, vcc
	v_cndmask_b32_e32 v32, v32, v42, vcc
	v_lshlrev_b32_sdwa v40, v40, v27 dst_sel:DWORD dst_unused:UNUSED_PAD src0_sel:DWORD src1_sel:WORD_1
	v_bfrev_b32_e32 v41, 60
	v_lshlrev_b32_e32 v32, 20, v32
	v_and_b32_e32 v40, 0x80000000, v40
	v_lshl_add_u32 v30, v30, 23, v41
	v_or3_b32 v30, v40, v30, v32
	v_lshrrev_b32_e32 v32, 16, v30
.LBB797_242:
	s_or_b64 exec, exec, s[22:23]
.LBB797_243:
	s_or_b64 exec, exec, s[20:21]
.LBB797_244:
	s_or_b64 exec, exec, s[10:11]
	s_mov_b32 s10, -1
	s_mov_b32 s11, 0xffffff
	v_cmp_lt_u64_e32 vcc, s[10:11], v[26:27]
	s_and_saveexec_b64 s[10:11], vcc
	s_cbranch_execz .LBB797_250
; %bb.245:
	v_lshrrev_b32_e32 v26, 24, v27
	s_movk_i32 s20, 0x80
	v_cmp_ne_u32_e32 vcc, s20, v26
	v_mov_b32_e32 v31, 0xffff8000
	s_and_saveexec_b64 s[20:21], vcc
	s_cbranch_execz .LBB797_249
; %bb.246:
	v_bfe_u32 v27, v27, 24, 7
	s_movk_i32 s22, 0x7f
	v_cmp_ne_u32_e32 vcc, s22, v27
	v_mov_b32_e32 v31, 0x7f80
	s_and_saveexec_b64 s[22:23], vcc
	s_cbranch_execz .LBB797_248
; %bb.247:
	v_and_b32_e32 v40, 7, v26
	v_ffbh_u32_e32 v30, v40
	v_min_u32_e32 v42, 32, v30
	v_subrev_u32_e32 v30, 28, v42
	v_lshlrev_b64 v[30:31], v30, v[26:27]
	v_lshrrev_b32_e32 v41, 3, v27
	v_sub_u32_e32 v31, 29, v42
	v_and_b32_e32 v30, 7, v30
	v_cmp_gt_u32_e32 vcc, 8, v27
	v_cndmask_b32_e32 v27, v41, v31, vcc
	v_cndmask_b32_e32 v30, v40, v30, vcc
	v_lshlrev_b32_e32 v26, 24, v26
	v_bfrev_b32_e32 v31, 60
	v_lshlrev_b32_e32 v30, 20, v30
	v_and_b32_e32 v26, 0x80000000, v26
	v_lshl_add_u32 v27, v27, 23, v31
	v_or3_b32 v26, v26, v27, v30
	v_lshrrev_b32_e32 v31, 16, v26
.LBB797_248:
	s_or_b64 exec, exec, s[22:23]
.LBB797_249:
	s_or_b64 exec, exec, s[20:21]
.LBB797_250:
	s_or_b64 exec, exec, s[10:11]
	s_mov_b32 s10, 0x5040100
	v_perm_b32 v27, v36, v35, s10
	v_perm_b32 v26, v33, v34, s10
	;; [unrolled: 1-line block ×4, first 2 shown]
	v_mfma_f32_4x4x4bf16_1k a[0:3], v[2:3], v[26:27], a[0:3] cbsz:4 abid:4
	v_mov_b32_e32 v32, 0
	v_mfma_f32_4x4x4bf16_1k a[0:3], v[4:5], v[30:31], a[0:3] cbsz:4 abid:4
	v_mov_b32_e32 v31, 0
	v_cmp_ne_u16_sdwa s[20:21], v28, v31 src0_sel:BYTE_0 src1_sel:DWORD
	s_and_saveexec_b64 s[10:11], s[20:21]
	s_cbranch_execz .LBB797_256
; %bb.251:
	s_movk_i32 s20, 0x80
	v_cmp_ne_u16_sdwa s[22:23], v28, s20 src0_sel:BYTE_0 src1_sel:DWORD
	v_mov_b32_e32 v32, 0xffff8000
	s_and_saveexec_b64 s[20:21], s[22:23]
	s_cbranch_execz .LBB797_255
; %bb.252:
	s_movk_i32 s22, 0x7f
	v_and_b32_e32 v26, 0x7f, v28
	v_cmp_ne_u32_e32 vcc, s22, v26
	v_mov_b32_e32 v32, 0x7f80
	s_and_saveexec_b64 s[22:23], vcc
	s_cbranch_execz .LBB797_254
; %bb.253:
	v_and_b32_e32 v27, 7, v28
	v_ffbh_u32_e32 v27, v27
	v_min_u32_e32 v27, 32, v27
	v_subrev_u32_e32 v32, 28, v27
	v_cmp_gt_u32_e32 vcc, 8, v26
	v_lshrrev_b32_e32 v30, 3, v26
	v_sub_u32_e32 v27, 29, v27
	v_cndmask_b32_e32 v26, 0, v32, vcc
	v_cndmask_b32_e32 v30, v30, v27, vcc
	v_lshlrev_b64 v[26:27], v26, v[28:29]
	v_lshlrev_b32_e32 v26, 20, v26
	v_lshlrev_b32_e32 v27, 24, v28
	v_bfrev_b32_e32 v32, 60
	v_and_b32_e32 v26, 0x700000, v26
	v_and_b32_e32 v27, 0x80000000, v27
	v_lshl_add_u32 v30, v30, 23, v32
	v_or3_b32 v26, v27, v30, v26
	v_lshrrev_b32_e32 v32, 16, v26
.LBB797_254:
	s_or_b64 exec, exec, s[22:23]
.LBB797_255:
	s_or_b64 exec, exec, s[20:21]
.LBB797_256:
	s_or_b64 exec, exec, s[10:11]
	v_lshrrev_b16_e32 v26, 8, v28
	v_cmp_ne_u16_e32 vcc, 0, v26
	s_and_saveexec_b64 s[10:11], vcc
	s_cbranch_execz .LBB797_262
; %bb.257:
	s_movk_i32 s20, 0x80
	v_cmp_ne_u16_e32 vcc, s20, v26
	v_mov_b32_e32 v31, 0xffff8000
	s_and_saveexec_b64 s[20:21], vcc
	s_cbranch_execz .LBB797_261
; %bb.258:
	s_movk_i32 s22, 0x7f
	v_and_b32_e32 v27, 0x7f, v26
	v_cmp_ne_u32_e32 vcc, s22, v27
	v_mov_b32_e32 v31, 0x7f80
	s_and_saveexec_b64 s[22:23], vcc
	s_cbranch_execz .LBB797_260
; %bb.259:
	v_and_b32_e32 v33, 7, v26
	v_ffbh_u32_e32 v30, v33
	v_min_u32_e32 v35, 32, v30
	v_subrev_u32_e32 v30, 28, v35
	v_lshlrev_b64 v[30:31], v30, v[26:27]
	v_lshrrev_b32_e32 v34, 3, v27
	v_sub_u32_e32 v26, 29, v35
	v_and_b32_e32 v30, 7, v30
	v_cmp_gt_u32_e32 vcc, 8, v27
	v_cndmask_b32_e32 v26, v34, v26, vcc
	v_cndmask_b32_e32 v27, v33, v30, vcc
	v_lshlrev_b32_e32 v30, 16, v28
	v_bfrev_b32_e32 v31, 60
	v_lshlrev_b32_e32 v27, 20, v27
	v_and_b32_e32 v30, 0x80000000, v30
	v_lshl_add_u32 v26, v26, 23, v31
	v_or3_b32 v26, v30, v26, v27
	v_lshrrev_b32_e32 v31, 16, v26
.LBB797_260:
	s_or_b64 exec, exec, s[22:23]
.LBB797_261:
	s_or_b64 exec, exec, s[20:21]
.LBB797_262:
	s_or_b64 exec, exec, s[10:11]
	s_movk_i32 s10, 0xff
	v_and_b32_sdwa v30, v28, s10 dst_sel:DWORD dst_unused:UNUSED_PAD src0_sel:WORD_1 src1_sel:DWORD
	v_lshrrev_b32_e32 v26, 16, v28
	v_cmp_ne_u16_e32 vcc, 0, v30
	v_mov_b32_e32 v27, 0
	v_mov_b32_e32 v33, 0
	s_and_saveexec_b64 s[10:11], vcc
	s_cbranch_execz .LBB797_268
; %bb.263:
	s_movk_i32 s20, 0x80
	v_cmp_ne_u16_e32 vcc, s20, v30
	v_mov_b32_e32 v33, 0xffff8000
	s_and_saveexec_b64 s[20:21], vcc
	s_cbranch_execz .LBB797_267
; %bb.264:
	v_bfe_u32 v30, v28, 16, 7
	s_movk_i32 s22, 0x7f
	v_cmp_ne_u32_e32 vcc, s22, v30
	v_mov_b32_e32 v33, 0x7f80
	s_and_saveexec_b64 s[22:23], vcc
	s_cbranch_execz .LBB797_266
; %bb.265:
	v_and_b32_e32 v33, 7, v26
	v_ffbh_u32_e32 v34, v33
	v_min_u32_e32 v37, 32, v34
	v_subrev_u32_e32 v34, 28, v37
	v_lshlrev_b64 v[34:35], v34, v[26:27]
	v_and_b32_e32 v34, 7, v34
	v_cmp_gt_u32_e32 vcc, 8, v30
	v_lshrrev_b32_e32 v36, 3, v30
	v_sub_u32_e32 v26, 29, v37
	v_cndmask_b32_e32 v30, v33, v34, vcc
	v_mov_b32_e32 v33, 24
	v_cndmask_b32_e32 v26, v36, v26, vcc
	v_lshlrev_b32_sdwa v33, v33, v28 dst_sel:DWORD dst_unused:UNUSED_PAD src0_sel:DWORD src1_sel:WORD_1
	v_bfrev_b32_e32 v34, 60
	v_lshlrev_b32_e32 v30, 20, v30
	v_and_b32_e32 v33, 0x80000000, v33
	v_lshl_add_u32 v26, v26, 23, v34
	v_or3_b32 v26, v33, v26, v30
	v_lshrrev_b32_e32 v33, 16, v26
.LBB797_266:
	s_or_b64 exec, exec, s[22:23]
.LBB797_267:
	s_or_b64 exec, exec, s[20:21]
.LBB797_268:
	s_or_b64 exec, exec, s[10:11]
	s_mov_b32 s10, 0xffffff
	v_cmp_lt_u32_e32 vcc, s10, v28
	v_mov_b32_e32 v34, 0
	s_and_saveexec_b64 s[10:11], vcc
	s_cbranch_execz .LBB797_274
; %bb.269:
	v_lshrrev_b32_e32 v26, 24, v28
	s_movk_i32 s20, 0x80
	v_cmp_ne_u32_e32 vcc, s20, v26
	v_mov_b32_e32 v34, 0xffff8000
	s_and_saveexec_b64 s[20:21], vcc
	s_cbranch_execz .LBB797_273
; %bb.270:
	v_bfe_u32 v30, v28, 24, 7
	s_movk_i32 s22, 0x7f
	v_cmp_ne_u32_e32 vcc, s22, v30
	v_mov_b32_e32 v34, 0x7f80
	s_and_saveexec_b64 s[22:23], vcc
	s_cbranch_execz .LBB797_272
; %bb.271:
	v_and_b32_e32 v36, 7, v26
	v_ffbh_u32_e32 v34, v36
	v_min_u32_e32 v39, 32, v34
	v_subrev_u32_e32 v34, 28, v39
	v_lshlrev_b64 v[34:35], v34, v[26:27]
	v_lshrrev_b32_e32 v37, 3, v30
	v_sub_u32_e32 v35, 29, v39
	v_and_b32_e32 v34, 7, v34
	v_cmp_gt_u32_e32 vcc, 8, v30
	v_cndmask_b32_e32 v30, v37, v35, vcc
	v_cndmask_b32_e32 v34, v36, v34, vcc
	v_lshlrev_b32_e32 v26, 24, v26
	v_bfrev_b32_e32 v35, 60
	v_lshlrev_b32_e32 v34, 20, v34
	v_and_b32_e32 v26, 0x80000000, v26
	v_lshl_add_u32 v30, v30, 23, v35
	v_or3_b32 v26, v26, v30, v34
	v_lshrrev_b32_e32 v34, 16, v26
.LBB797_272:
	s_or_b64 exec, exec, s[22:23]
.LBB797_273:
	s_or_b64 exec, exec, s[20:21]
.LBB797_274:
	s_or_b64 exec, exec, s[10:11]
	v_mov_b32_e32 v35, 0
	v_mov_b32_e32 v26, v29
	v_cmp_ne_u16_sdwa s[20:21], v29, v35 src0_sel:BYTE_0 src1_sel:DWORD
	v_mov_b32_e32 v36, 0
	s_and_saveexec_b64 s[10:11], s[20:21]
	s_cbranch_execz .LBB797_280
; %bb.275:
	s_movk_i32 s20, 0x80
	v_cmp_ne_u16_sdwa s[22:23], v29, s20 src0_sel:BYTE_0 src1_sel:DWORD
	v_mov_b32_e32 v36, 0xffff8000
	s_and_saveexec_b64 s[20:21], s[22:23]
	s_cbranch_execz .LBB797_279
; %bb.276:
	s_movk_i32 s22, 0x7f
	v_and_b32_e32 v30, 0x7f, v29
	v_cmp_ne_u32_e32 vcc, s22, v30
	v_mov_b32_e32 v36, 0x7f80
	s_and_saveexec_b64 s[22:23], vcc
	s_cbranch_execz .LBB797_278
; %bb.277:
	v_and_b32_e32 v36, 7, v29
	v_ffbh_u32_e32 v36, v36
	v_min_u32_e32 v36, 32, v36
	v_lshrrev_b32_e32 v37, 3, v30
	v_subrev_u32_e32 v39, 28, v36
	v_sub_u32_e32 v36, 29, v36
	v_cmp_gt_u32_e32 vcc, 8, v30
	v_cndmask_b32_e32 v30, v37, v36, vcc
	v_cndmask_b32_e32 v36, 0, v39, vcc
	v_lshlrev_b64 v[36:37], v36, v[26:27]
	v_lshlrev_b32_e32 v27, 20, v36
	v_lshlrev_b32_e32 v36, 24, v26
	v_bfrev_b32_e32 v37, 60
	v_and_b32_e32 v27, 0x700000, v27
	v_and_b32_e32 v36, 0x80000000, v36
	v_lshl_add_u32 v30, v30, 23, v37
	v_or3_b32 v27, v36, v30, v27
	v_lshrrev_b32_e32 v36, 16, v27
.LBB797_278:
	s_or_b64 exec, exec, s[22:23]
.LBB797_279:
	s_or_b64 exec, exec, s[20:21]
.LBB797_280:
	s_or_b64 exec, exec, s[10:11]
	v_lshrrev_b16_e32 v30, 8, v26
	v_cmp_ne_u16_e32 vcc, 0, v30
	s_and_saveexec_b64 s[10:11], vcc
	s_cbranch_execz .LBB797_286
; %bb.281:
	s_movk_i32 s20, 0x80
	v_cmp_ne_u16_e32 vcc, s20, v30
	v_mov_b32_e32 v35, 0xffff8000
	s_and_saveexec_b64 s[20:21], vcc
	s_cbranch_execz .LBB797_285
; %bb.282:
	s_movk_i32 s22, 0x7f
	v_and_b32_e32 v27, 0x7f, v30
	v_cmp_ne_u32_e32 vcc, s22, v27
	v_mov_b32_e32 v35, 0x7f80
	s_and_saveexec_b64 s[22:23], vcc
	s_cbranch_execz .LBB797_284
; %bb.283:
	v_and_b32_e32 v35, 7, v30
	v_ffbh_u32_e32 v39, v35
	v_min_u32_e32 v39, 32, v39
	v_subrev_u32_e32 v40, 28, v39
	v_lshlrev_b64 v[40:41], v40, v[30:31]
	v_lshrrev_b32_e32 v37, 3, v27
	v_sub_u32_e32 v30, 29, v39
	v_and_b32_e32 v39, 7, v40
	v_cmp_gt_u32_e32 vcc, 8, v27
	v_cndmask_b32_e32 v27, v37, v30, vcc
	v_cndmask_b32_e32 v30, v35, v39, vcc
	v_lshlrev_b32_e32 v26, 16, v26
	v_bfrev_b32_e32 v35, 60
	v_lshlrev_b32_e32 v30, 20, v30
	v_and_b32_e32 v26, 0x80000000, v26
	v_lshl_add_u32 v27, v27, 23, v35
	v_or3_b32 v26, v26, v27, v30
	v_lshrrev_b32_e32 v35, 16, v26
.LBB797_284:
	s_or_b64 exec, exec, s[22:23]
.LBB797_285:
	s_or_b64 exec, exec, s[20:21]
.LBB797_286:
	s_or_b64 exec, exec, s[10:11]
	s_movk_i32 s10, 0xff
	v_and_b32_sdwa v37, v29, s10 dst_sel:DWORD dst_unused:UNUSED_PAD src0_sel:WORD_1 src1_sel:DWORD
	v_lshrrev_b32_e32 v26, 16, v29
	v_cmp_ne_u16_e32 vcc, 0, v37
	v_mov_b32_e32 v27, 0
	v_mov_b32_e32 v30, 0
	s_and_saveexec_b64 s[10:11], vcc
	s_cbranch_execz .LBB797_292
; %bb.287:
	s_movk_i32 s20, 0x80
	v_cmp_ne_u16_e32 vcc, s20, v37
	v_mov_b32_e32 v30, 0xffff8000
	s_and_saveexec_b64 s[20:21], vcc
	s_cbranch_execz .LBB797_291
; %bb.288:
	v_bfe_u32 v37, v29, 16, 7
	s_movk_i32 s22, 0x7f
	v_cmp_ne_u32_e32 vcc, s22, v37
	v_mov_b32_e32 v30, 0x7f80
	s_and_saveexec_b64 s[22:23], vcc
	s_cbranch_execz .LBB797_290
; %bb.289:
	v_and_b32_e32 v30, 7, v26
	v_ffbh_u32_e32 v40, v30
	v_min_u32_e32 v42, 32, v40
	v_subrev_u32_e32 v40, 28, v42
	v_lshlrev_b64 v[40:41], v40, v[26:27]
	v_lshrrev_b32_e32 v39, 3, v37
	v_sub_u32_e32 v26, 29, v42
	v_and_b32_e32 v40, 7, v40
	v_cmp_gt_u32_e32 vcc, 8, v37
	v_mov_b32_e32 v37, 24
	v_cndmask_b32_e32 v26, v39, v26, vcc
	v_cndmask_b32_e32 v30, v30, v40, vcc
	v_lshlrev_b32_sdwa v37, v37, v29 dst_sel:DWORD dst_unused:UNUSED_PAD src0_sel:DWORD src1_sel:WORD_1
	v_bfrev_b32_e32 v39, 60
	v_lshlrev_b32_e32 v30, 20, v30
	v_and_b32_e32 v37, 0x80000000, v37
	v_lshl_add_u32 v26, v26, 23, v39
	v_or3_b32 v26, v37, v26, v30
	v_lshrrev_b32_e32 v30, 16, v26
.LBB797_290:
	s_or_b64 exec, exec, s[22:23]
.LBB797_291:
	s_or_b64 exec, exec, s[20:21]
.LBB797_292:
	s_or_b64 exec, exec, s[10:11]
	s_mov_b32 s10, -1
	s_mov_b32 s11, 0xffffff
	v_cmp_lt_u64_e32 vcc, s[10:11], v[28:29]
	s_and_saveexec_b64 s[10:11], vcc
	s_cbranch_execz .LBB797_298
; %bb.293:
	v_lshrrev_b32_e32 v26, 24, v29
	s_movk_i32 s20, 0x80
	v_cmp_ne_u32_e32 vcc, s20, v26
	v_mov_b32_e32 v27, 0xffff8000
	s_and_saveexec_b64 s[20:21], vcc
	s_cbranch_execz .LBB797_297
; %bb.294:
	v_bfe_u32 v28, v29, 24, 7
	s_movk_i32 s22, 0x7f
	v_cmp_ne_u32_e32 vcc, s22, v28
	v_mov_b32_e32 v27, 0x7f80
	s_and_saveexec_b64 s[22:23], vcc
	s_cbranch_execz .LBB797_296
; %bb.295:
	v_and_b32_e32 v27, 7, v26
	v_ffbh_u32_e32 v37, v27
	v_min_u32_e32 v37, 32, v37
	v_subrev_u32_e32 v39, 28, v37
	v_lshlrev_b64 v[40:41], v39, v[26:27]
	v_lshrrev_b32_e32 v29, 3, v28
	v_sub_u32_e32 v37, 29, v37
	v_and_b32_e32 v39, 7, v40
	v_cmp_gt_u32_e32 vcc, 8, v28
	v_cndmask_b32_e32 v28, v29, v37, vcc
	v_cndmask_b32_e32 v27, v27, v39, vcc
	v_lshlrev_b32_e32 v26, 24, v26
	v_bfrev_b32_e32 v29, 60
	v_lshlrev_b32_e32 v27, 20, v27
	v_and_b32_e32 v26, 0x80000000, v26
	v_lshl_add_u32 v28, v28, 23, v29
	v_or3_b32 v26, v26, v28, v27
	v_lshrrev_b32_e32 v27, 16, v26
.LBB797_296:
	s_or_b64 exec, exec, s[22:23]
.LBB797_297:
	s_or_b64 exec, exec, s[20:21]
.LBB797_298:
	s_or_b64 exec, exec, s[10:11]
	s_mov_b32 s10, 0x5040100
	v_perm_b32 v29, v34, v33, s10
	v_perm_b32 v28, v31, v32, s10
	;; [unrolled: 1-line block ×4, first 2 shown]
	v_mfma_f32_4x4x4bf16_1k a[0:3], v[2:3], v[28:29], a[0:3] cbsz:4 abid:5
	v_mov_b32_e32 v29, 0
	v_mfma_f32_4x4x4bf16_1k a[0:3], v[4:5], v[26:27], a[0:3] cbsz:4 abid:5
	v_cmp_ne_u16_sdwa s[20:21], v22, v29 src0_sel:BYTE_0 src1_sel:DWORD
	v_mov_b32_e32 v30, 0
	s_and_saveexec_b64 s[10:11], s[20:21]
	s_cbranch_execz .LBB797_304
; %bb.299:
	s_movk_i32 s20, 0x80
	v_cmp_ne_u16_sdwa s[22:23], v22, s20 src0_sel:BYTE_0 src1_sel:DWORD
	v_mov_b32_e32 v30, 0xffff8000
	s_and_saveexec_b64 s[20:21], s[22:23]
	s_cbranch_execz .LBB797_303
; %bb.300:
	s_movk_i32 s22, 0x7f
	v_and_b32_e32 v26, 0x7f, v22
	v_cmp_ne_u32_e32 vcc, s22, v26
	v_mov_b32_e32 v30, 0x7f80
	s_and_saveexec_b64 s[22:23], vcc
	s_cbranch_execz .LBB797_302
; %bb.301:
	v_and_b32_e32 v27, 7, v22
	v_ffbh_u32_e32 v27, v27
	v_min_u32_e32 v27, 32, v27
	v_subrev_u32_e32 v30, 28, v27
	v_cmp_gt_u32_e32 vcc, 8, v26
	v_lshrrev_b32_e32 v28, 3, v26
	v_sub_u32_e32 v27, 29, v27
	v_cndmask_b32_e32 v26, 0, v30, vcc
	v_cndmask_b32_e32 v28, v28, v27, vcc
	v_lshlrev_b64 v[26:27], v26, v[22:23]
	v_lshlrev_b32_e32 v26, 20, v26
	v_lshlrev_b32_e32 v27, 24, v22
	v_bfrev_b32_e32 v30, 60
	v_and_b32_e32 v26, 0x700000, v26
	v_and_b32_e32 v27, 0x80000000, v27
	v_lshl_add_u32 v28, v28, 23, v30
	v_or3_b32 v26, v27, v28, v26
	v_lshrrev_b32_e32 v30, 16, v26
.LBB797_302:
	s_or_b64 exec, exec, s[22:23]
.LBB797_303:
	s_or_b64 exec, exec, s[20:21]
.LBB797_304:
	s_or_b64 exec, exec, s[10:11]
	v_lshrrev_b16_e32 v26, 8, v22
	v_cmp_ne_u16_e32 vcc, 0, v26
	s_and_saveexec_b64 s[10:11], vcc
	s_cbranch_execz .LBB797_310
; %bb.305:
	s_movk_i32 s20, 0x80
	v_cmp_ne_u16_e32 vcc, s20, v26
	v_mov_b32_e32 v29, 0xffff8000
	s_and_saveexec_b64 s[20:21], vcc
	s_cbranch_execz .LBB797_309
; %bb.306:
	s_movk_i32 s22, 0x7f
	v_and_b32_e32 v27, 0x7f, v26
	v_cmp_ne_u32_e32 vcc, s22, v27
	v_mov_b32_e32 v29, 0x7f80
	s_and_saveexec_b64 s[22:23], vcc
	s_cbranch_execz .LBB797_308
; %bb.307:
	v_and_b32_e32 v31, 7, v26
	v_ffbh_u32_e32 v28, v31
	v_min_u32_e32 v33, 32, v28
	v_subrev_u32_e32 v28, 28, v33
	v_lshlrev_b64 v[28:29], v28, v[26:27]
	v_lshrrev_b32_e32 v32, 3, v27
	v_sub_u32_e32 v26, 29, v33
	v_and_b32_e32 v28, 7, v28
	v_cmp_gt_u32_e32 vcc, 8, v27
	v_cndmask_b32_e32 v26, v32, v26, vcc
	v_cndmask_b32_e32 v27, v31, v28, vcc
	v_lshlrev_b32_e32 v28, 16, v22
	v_bfrev_b32_e32 v29, 60
	v_lshlrev_b32_e32 v27, 20, v27
	v_and_b32_e32 v28, 0x80000000, v28
	v_lshl_add_u32 v26, v26, 23, v29
	v_or3_b32 v26, v28, v26, v27
	v_lshrrev_b32_e32 v29, 16, v26
.LBB797_308:
	s_or_b64 exec, exec, s[22:23]
.LBB797_309:
	s_or_b64 exec, exec, s[20:21]
.LBB797_310:
	s_or_b64 exec, exec, s[10:11]
	s_movk_i32 s10, 0xff
	v_and_b32_sdwa v28, v22, s10 dst_sel:DWORD dst_unused:UNUSED_PAD src0_sel:WORD_1 src1_sel:DWORD
	v_lshrrev_b32_e32 v26, 16, v22
	v_cmp_ne_u16_e32 vcc, 0, v28
	v_mov_b32_e32 v27, 0
	v_mov_b32_e32 v31, 0
	s_and_saveexec_b64 s[10:11], vcc
	s_cbranch_execz .LBB797_316
; %bb.311:
	s_movk_i32 s20, 0x80
	v_cmp_ne_u16_e32 vcc, s20, v28
	v_mov_b32_e32 v31, 0xffff8000
	s_and_saveexec_b64 s[20:21], vcc
	s_cbranch_execz .LBB797_315
; %bb.312:
	v_bfe_u32 v28, v22, 16, 7
	s_movk_i32 s22, 0x7f
	v_cmp_ne_u32_e32 vcc, s22, v28
	v_mov_b32_e32 v31, 0x7f80
	s_and_saveexec_b64 s[22:23], vcc
	s_cbranch_execz .LBB797_314
; %bb.313:
	v_and_b32_e32 v31, 7, v26
	v_ffbh_u32_e32 v32, v31
	v_min_u32_e32 v35, 32, v32
	v_subrev_u32_e32 v32, 28, v35
	v_lshlrev_b64 v[32:33], v32, v[26:27]
	v_and_b32_e32 v32, 7, v32
	v_cmp_gt_u32_e32 vcc, 8, v28
	v_lshrrev_b32_e32 v34, 3, v28
	v_sub_u32_e32 v26, 29, v35
	v_cndmask_b32_e32 v28, v31, v32, vcc
	v_mov_b32_e32 v31, 24
	v_cndmask_b32_e32 v26, v34, v26, vcc
	v_lshlrev_b32_sdwa v31, v31, v22 dst_sel:DWORD dst_unused:UNUSED_PAD src0_sel:DWORD src1_sel:WORD_1
	v_bfrev_b32_e32 v32, 60
	v_lshlrev_b32_e32 v28, 20, v28
	v_and_b32_e32 v31, 0x80000000, v31
	v_lshl_add_u32 v26, v26, 23, v32
	v_or3_b32 v26, v31, v26, v28
	v_lshrrev_b32_e32 v31, 16, v26
.LBB797_314:
	s_or_b64 exec, exec, s[22:23]
.LBB797_315:
	s_or_b64 exec, exec, s[20:21]
.LBB797_316:
	s_or_b64 exec, exec, s[10:11]
	s_mov_b32 s10, 0xffffff
	v_cmp_lt_u32_e32 vcc, s10, v22
	v_mov_b32_e32 v32, 0
	s_and_saveexec_b64 s[10:11], vcc
	s_cbranch_execz .LBB797_322
; %bb.317:
	v_lshrrev_b32_e32 v26, 24, v22
	s_movk_i32 s20, 0x80
	v_cmp_ne_u32_e32 vcc, s20, v26
	v_mov_b32_e32 v32, 0xffff8000
	s_and_saveexec_b64 s[20:21], vcc
	s_cbranch_execz .LBB797_321
; %bb.318:
	v_bfe_u32 v28, v22, 24, 7
	s_movk_i32 s22, 0x7f
	v_cmp_ne_u32_e32 vcc, s22, v28
	v_mov_b32_e32 v32, 0x7f80
	s_and_saveexec_b64 s[22:23], vcc
	s_cbranch_execz .LBB797_320
; %bb.319:
	v_and_b32_e32 v34, 7, v26
	v_ffbh_u32_e32 v32, v34
	v_min_u32_e32 v36, 32, v32
	v_subrev_u32_e32 v32, 28, v36
	v_lshlrev_b64 v[32:33], v32, v[26:27]
	v_lshrrev_b32_e32 v35, 3, v28
	v_sub_u32_e32 v33, 29, v36
	v_and_b32_e32 v32, 7, v32
	v_cmp_gt_u32_e32 vcc, 8, v28
	v_cndmask_b32_e32 v28, v35, v33, vcc
	v_cndmask_b32_e32 v32, v34, v32, vcc
	v_lshlrev_b32_e32 v26, 24, v26
	v_bfrev_b32_e32 v33, 60
	v_lshlrev_b32_e32 v32, 20, v32
	v_and_b32_e32 v26, 0x80000000, v26
	v_lshl_add_u32 v28, v28, 23, v33
	v_or3_b32 v26, v26, v28, v32
	v_lshrrev_b32_e32 v32, 16, v26
.LBB797_320:
	s_or_b64 exec, exec, s[22:23]
.LBB797_321:
	s_or_b64 exec, exec, s[20:21]
.LBB797_322:
	s_or_b64 exec, exec, s[10:11]
	v_mov_b32_e32 v33, 0
	v_mov_b32_e32 v26, v23
	v_cmp_ne_u16_sdwa s[20:21], v23, v33 src0_sel:BYTE_0 src1_sel:DWORD
	v_mov_b32_e32 v34, 0
	s_and_saveexec_b64 s[10:11], s[20:21]
	s_cbranch_execz .LBB797_328
; %bb.323:
	s_movk_i32 s20, 0x80
	v_cmp_ne_u16_sdwa s[22:23], v23, s20 src0_sel:BYTE_0 src1_sel:DWORD
	v_mov_b32_e32 v34, 0xffff8000
	s_and_saveexec_b64 s[20:21], s[22:23]
	s_cbranch_execz .LBB797_327
; %bb.324:
	s_movk_i32 s22, 0x7f
	v_and_b32_e32 v28, 0x7f, v23
	v_cmp_ne_u32_e32 vcc, s22, v28
	v_mov_b32_e32 v34, 0x7f80
	s_and_saveexec_b64 s[22:23], vcc
	s_cbranch_execz .LBB797_326
; %bb.325:
	v_and_b32_e32 v34, 7, v23
	v_ffbh_u32_e32 v34, v34
	v_min_u32_e32 v34, 32, v34
	v_lshrrev_b32_e32 v35, 3, v28
	v_subrev_u32_e32 v36, 28, v34
	v_sub_u32_e32 v34, 29, v34
	v_cmp_gt_u32_e32 vcc, 8, v28
	v_cndmask_b32_e32 v28, v35, v34, vcc
	v_cndmask_b32_e32 v34, 0, v36, vcc
	v_lshlrev_b64 v[34:35], v34, v[26:27]
	v_lshlrev_b32_e32 v27, 20, v34
	v_lshlrev_b32_e32 v34, 24, v26
	v_bfrev_b32_e32 v35, 60
	v_and_b32_e32 v27, 0x700000, v27
	v_and_b32_e32 v34, 0x80000000, v34
	v_lshl_add_u32 v28, v28, 23, v35
	v_or3_b32 v27, v34, v28, v27
	v_lshrrev_b32_e32 v34, 16, v27
.LBB797_326:
	s_or_b64 exec, exec, s[22:23]
.LBB797_327:
	s_or_b64 exec, exec, s[20:21]
.LBB797_328:
	s_or_b64 exec, exec, s[10:11]
	v_lshrrev_b16_e32 v28, 8, v26
	v_cmp_ne_u16_e32 vcc, 0, v28
	s_and_saveexec_b64 s[10:11], vcc
	s_cbranch_execz .LBB797_334
; %bb.329:
	s_movk_i32 s20, 0x80
	v_cmp_ne_u16_e32 vcc, s20, v28
	v_mov_b32_e32 v33, 0xffff8000
	s_and_saveexec_b64 s[20:21], vcc
	s_cbranch_execz .LBB797_333
; %bb.330:
	s_movk_i32 s22, 0x7f
	v_and_b32_e32 v27, 0x7f, v28
	v_cmp_ne_u32_e32 vcc, s22, v27
	v_mov_b32_e32 v33, 0x7f80
	s_and_saveexec_b64 s[22:23], vcc
	s_cbranch_execz .LBB797_332
; %bb.331:
	v_and_b32_e32 v33, 7, v28
	v_ffbh_u32_e32 v36, v33
	v_min_u32_e32 v39, 32, v36
	v_subrev_u32_e32 v36, 28, v39
	v_lshlrev_b64 v[36:37], v36, v[28:29]
	v_lshrrev_b32_e32 v35, 3, v27
	v_sub_u32_e32 v28, 29, v39
	v_and_b32_e32 v36, 7, v36
	v_cmp_gt_u32_e32 vcc, 8, v27
	v_cndmask_b32_e32 v27, v35, v28, vcc
	v_cndmask_b32_e32 v28, v33, v36, vcc
	v_lshlrev_b32_e32 v26, 16, v26
	v_bfrev_b32_e32 v33, 60
	v_lshlrev_b32_e32 v28, 20, v28
	v_and_b32_e32 v26, 0x80000000, v26
	v_lshl_add_u32 v27, v27, 23, v33
	v_or3_b32 v26, v26, v27, v28
	v_lshrrev_b32_e32 v33, 16, v26
.LBB797_332:
	s_or_b64 exec, exec, s[22:23]
.LBB797_333:
	s_or_b64 exec, exec, s[20:21]
.LBB797_334:
	s_or_b64 exec, exec, s[10:11]
	s_movk_i32 s10, 0xff
	v_and_b32_sdwa v35, v23, s10 dst_sel:DWORD dst_unused:UNUSED_PAD src0_sel:WORD_1 src1_sel:DWORD
	v_lshrrev_b32_e32 v26, 16, v23
	v_cmp_ne_u16_e32 vcc, 0, v35
	v_mov_b32_e32 v27, 0
	v_mov_b32_e32 v28, 0
	s_and_saveexec_b64 s[10:11], vcc
	s_cbranch_execz .LBB797_340
; %bb.335:
	s_movk_i32 s20, 0x80
	v_cmp_ne_u16_e32 vcc, s20, v35
	v_mov_b32_e32 v28, 0xffff8000
	s_and_saveexec_b64 s[20:21], vcc
	s_cbranch_execz .LBB797_339
; %bb.336:
	v_bfe_u32 v35, v23, 16, 7
	s_movk_i32 s22, 0x7f
	v_cmp_ne_u32_e32 vcc, s22, v35
	v_mov_b32_e32 v28, 0x7f80
	s_and_saveexec_b64 s[22:23], vcc
	s_cbranch_execz .LBB797_338
; %bb.337:
	v_and_b32_e32 v28, 7, v26
	v_ffbh_u32_e32 v36, v28
	v_min_u32_e32 v40, 32, v36
	v_subrev_u32_e32 v36, 28, v40
	v_lshlrev_b64 v[36:37], v36, v[26:27]
	v_lshrrev_b32_e32 v39, 3, v35
	v_sub_u32_e32 v26, 29, v40
	v_and_b32_e32 v36, 7, v36
	v_cmp_gt_u32_e32 vcc, 8, v35
	v_mov_b32_e32 v35, 24
	v_cndmask_b32_e32 v26, v39, v26, vcc
	v_cndmask_b32_e32 v28, v28, v36, vcc
	v_lshlrev_b32_sdwa v35, v35, v23 dst_sel:DWORD dst_unused:UNUSED_PAD src0_sel:DWORD src1_sel:WORD_1
	v_bfrev_b32_e32 v36, 60
	v_lshlrev_b32_e32 v28, 20, v28
	v_and_b32_e32 v35, 0x80000000, v35
	v_lshl_add_u32 v26, v26, 23, v36
	v_or3_b32 v26, v35, v26, v28
	v_lshrrev_b32_e32 v28, 16, v26
.LBB797_338:
	s_or_b64 exec, exec, s[22:23]
.LBB797_339:
	s_or_b64 exec, exec, s[20:21]
.LBB797_340:
	s_or_b64 exec, exec, s[10:11]
	s_mov_b32 s10, -1
	s_mov_b32 s11, 0xffffff
	v_cmp_lt_u64_e32 vcc, s[10:11], v[22:23]
	s_and_saveexec_b64 s[10:11], vcc
	s_cbranch_execz .LBB797_346
; %bb.341:
	v_lshrrev_b32_e32 v22, 24, v23
	s_movk_i32 s20, 0x80
	v_cmp_ne_u32_e32 vcc, s20, v22
	v_mov_b32_e32 v27, 0xffff8000
	s_and_saveexec_b64 s[20:21], vcc
	s_cbranch_execz .LBB797_345
; %bb.342:
	v_bfe_u32 v23, v23, 24, 7
	s_movk_i32 s22, 0x7f
	v_cmp_ne_u32_e32 vcc, s22, v23
	v_mov_b32_e32 v27, 0x7f80
	s_and_saveexec_b64 s[22:23], vcc
	s_cbranch_execz .LBB797_344
; %bb.343:
	v_and_b32_e32 v35, 7, v22
	v_ffbh_u32_e32 v26, v35
	v_min_u32_e32 v37, 32, v26
	v_subrev_u32_e32 v26, 28, v37
	v_lshlrev_b64 v[26:27], v26, v[22:23]
	v_lshrrev_b32_e32 v36, 3, v23
	v_sub_u32_e32 v27, 29, v37
	v_and_b32_e32 v26, 7, v26
	v_cmp_gt_u32_e32 vcc, 8, v23
	v_cndmask_b32_e32 v23, v36, v27, vcc
	v_cndmask_b32_e32 v26, v35, v26, vcc
	v_lshlrev_b32_e32 v22, 24, v22
	v_bfrev_b32_e32 v27, 60
	v_lshlrev_b32_e32 v26, 20, v26
	v_and_b32_e32 v22, 0x80000000, v22
	v_lshl_add_u32 v23, v23, 23, v27
	v_or3_b32 v22, v22, v23, v26
	v_lshrrev_b32_e32 v27, 16, v22
.LBB797_344:
	s_or_b64 exec, exec, s[22:23]
.LBB797_345:
	s_or_b64 exec, exec, s[20:21]
.LBB797_346:
	s_or_b64 exec, exec, s[10:11]
	s_mov_b32 s10, 0x5040100
	v_perm_b32 v23, v32, v31, s10
	v_perm_b32 v22, v29, v30, s10
	;; [unrolled: 1-line block ×4, first 2 shown]
	v_mfma_f32_4x4x4bf16_1k a[0:3], v[2:3], v[22:23], a[0:3] cbsz:4 abid:6
	v_mov_b32_e32 v28, 0
	v_mfma_f32_4x4x4bf16_1k a[0:3], v[4:5], v[26:27], a[0:3] cbsz:4 abid:6
	v_mov_b32_e32 v27, 0
	v_cmp_ne_u16_sdwa s[20:21], v24, v27 src0_sel:BYTE_0 src1_sel:DWORD
	s_and_saveexec_b64 s[10:11], s[20:21]
	s_cbranch_execz .LBB797_352
; %bb.347:
	s_movk_i32 s20, 0x80
	v_cmp_ne_u16_sdwa s[22:23], v24, s20 src0_sel:BYTE_0 src1_sel:DWORD
	v_mov_b32_e32 v28, 0xffff8000
	s_and_saveexec_b64 s[20:21], s[22:23]
	s_cbranch_execz .LBB797_351
; %bb.348:
	s_movk_i32 s22, 0x7f
	v_and_b32_e32 v22, 0x7f, v24
	v_cmp_ne_u32_e32 vcc, s22, v22
	v_mov_b32_e32 v28, 0x7f80
	s_and_saveexec_b64 s[22:23], vcc
	s_cbranch_execz .LBB797_350
; %bb.349:
	v_and_b32_e32 v23, 7, v24
	v_ffbh_u32_e32 v23, v23
	v_min_u32_e32 v23, 32, v23
	v_subrev_u32_e32 v28, 28, v23
	v_cmp_gt_u32_e32 vcc, 8, v22
	v_lshrrev_b32_e32 v26, 3, v22
	v_sub_u32_e32 v23, 29, v23
	v_cndmask_b32_e32 v22, 0, v28, vcc
	v_cndmask_b32_e32 v26, v26, v23, vcc
	v_lshlrev_b64 v[22:23], v22, v[24:25]
	v_lshlrev_b32_e32 v22, 20, v22
	v_lshlrev_b32_e32 v23, 24, v24
	v_bfrev_b32_e32 v28, 60
	v_and_b32_e32 v22, 0x700000, v22
	v_and_b32_e32 v23, 0x80000000, v23
	v_lshl_add_u32 v26, v26, 23, v28
	v_or3_b32 v22, v23, v26, v22
	v_lshrrev_b32_e32 v28, 16, v22
.LBB797_350:
	s_or_b64 exec, exec, s[22:23]
.LBB797_351:
	s_or_b64 exec, exec, s[20:21]
.LBB797_352:
	s_or_b64 exec, exec, s[10:11]
	v_lshrrev_b16_e32 v22, 8, v24
	v_cmp_ne_u16_e32 vcc, 0, v22
	s_and_saveexec_b64 s[10:11], vcc
	s_cbranch_execz .LBB797_358
; %bb.353:
	s_movk_i32 s20, 0x80
	v_cmp_ne_u16_e32 vcc, s20, v22
	v_mov_b32_e32 v27, 0xffff8000
	s_and_saveexec_b64 s[20:21], vcc
	s_cbranch_execz .LBB797_357
; %bb.354:
	s_movk_i32 s22, 0x7f
	v_and_b32_e32 v23, 0x7f, v22
	v_cmp_ne_u32_e32 vcc, s22, v23
	v_mov_b32_e32 v27, 0x7f80
	s_and_saveexec_b64 s[22:23], vcc
	s_cbranch_execz .LBB797_356
; %bb.355:
	v_and_b32_e32 v29, 7, v22
	v_ffbh_u32_e32 v26, v29
	v_min_u32_e32 v31, 32, v26
	v_subrev_u32_e32 v26, 28, v31
	v_lshlrev_b64 v[26:27], v26, v[22:23]
	v_lshrrev_b32_e32 v30, 3, v23
	v_sub_u32_e32 v22, 29, v31
	v_and_b32_e32 v26, 7, v26
	v_cmp_gt_u32_e32 vcc, 8, v23
	v_cndmask_b32_e32 v22, v30, v22, vcc
	v_cndmask_b32_e32 v23, v29, v26, vcc
	v_lshlrev_b32_e32 v26, 16, v24
	v_bfrev_b32_e32 v27, 60
	v_lshlrev_b32_e32 v23, 20, v23
	v_and_b32_e32 v26, 0x80000000, v26
	v_lshl_add_u32 v22, v22, 23, v27
	v_or3_b32 v22, v26, v22, v23
	v_lshrrev_b32_e32 v27, 16, v22
.LBB797_356:
	s_or_b64 exec, exec, s[22:23]
.LBB797_357:
	s_or_b64 exec, exec, s[20:21]
.LBB797_358:
	s_or_b64 exec, exec, s[10:11]
	s_movk_i32 s10, 0xff
	v_and_b32_sdwa v26, v24, s10 dst_sel:DWORD dst_unused:UNUSED_PAD src0_sel:WORD_1 src1_sel:DWORD
	v_lshrrev_b32_e32 v22, 16, v24
	v_cmp_ne_u16_e32 vcc, 0, v26
	v_mov_b32_e32 v23, 0
	v_mov_b32_e32 v29, 0
	s_and_saveexec_b64 s[10:11], vcc
	s_cbranch_execz .LBB797_364
; %bb.359:
	s_movk_i32 s20, 0x80
	v_cmp_ne_u16_e32 vcc, s20, v26
	v_mov_b32_e32 v29, 0xffff8000
	s_and_saveexec_b64 s[20:21], vcc
	s_cbranch_execz .LBB797_363
; %bb.360:
	v_bfe_u32 v26, v24, 16, 7
	s_movk_i32 s22, 0x7f
	v_cmp_ne_u32_e32 vcc, s22, v26
	v_mov_b32_e32 v29, 0x7f80
	s_and_saveexec_b64 s[22:23], vcc
	s_cbranch_execz .LBB797_362
; %bb.361:
	v_and_b32_e32 v29, 7, v22
	v_ffbh_u32_e32 v30, v29
	v_min_u32_e32 v33, 32, v30
	v_subrev_u32_e32 v30, 28, v33
	v_lshlrev_b64 v[30:31], v30, v[22:23]
	v_and_b32_e32 v30, 7, v30
	v_cmp_gt_u32_e32 vcc, 8, v26
	v_lshrrev_b32_e32 v32, 3, v26
	v_sub_u32_e32 v22, 29, v33
	v_cndmask_b32_e32 v26, v29, v30, vcc
	v_mov_b32_e32 v29, 24
	v_cndmask_b32_e32 v22, v32, v22, vcc
	v_lshlrev_b32_sdwa v29, v29, v24 dst_sel:DWORD dst_unused:UNUSED_PAD src0_sel:DWORD src1_sel:WORD_1
	v_bfrev_b32_e32 v30, 60
	v_lshlrev_b32_e32 v26, 20, v26
	v_and_b32_e32 v29, 0x80000000, v29
	v_lshl_add_u32 v22, v22, 23, v30
	v_or3_b32 v22, v29, v22, v26
	v_lshrrev_b32_e32 v29, 16, v22
.LBB797_362:
	s_or_b64 exec, exec, s[22:23]
.LBB797_363:
	s_or_b64 exec, exec, s[20:21]
.LBB797_364:
	s_or_b64 exec, exec, s[10:11]
	s_mov_b32 s10, 0xffffff
	v_cmp_lt_u32_e32 vcc, s10, v24
	v_mov_b32_e32 v30, 0
	s_and_saveexec_b64 s[10:11], vcc
	s_cbranch_execz .LBB797_370
; %bb.365:
	v_lshrrev_b32_e32 v22, 24, v24
	s_movk_i32 s20, 0x80
	v_cmp_ne_u32_e32 vcc, s20, v22
	v_mov_b32_e32 v30, 0xffff8000
	s_and_saveexec_b64 s[20:21], vcc
	s_cbranch_execz .LBB797_369
; %bb.366:
	v_bfe_u32 v26, v24, 24, 7
	s_movk_i32 s22, 0x7f
	v_cmp_ne_u32_e32 vcc, s22, v26
	v_mov_b32_e32 v30, 0x7f80
	s_and_saveexec_b64 s[22:23], vcc
	s_cbranch_execz .LBB797_368
; %bb.367:
	v_and_b32_e32 v32, 7, v22
	v_ffbh_u32_e32 v30, v32
	v_min_u32_e32 v34, 32, v30
	v_subrev_u32_e32 v30, 28, v34
	v_lshlrev_b64 v[30:31], v30, v[22:23]
	v_lshrrev_b32_e32 v33, 3, v26
	v_sub_u32_e32 v31, 29, v34
	v_and_b32_e32 v30, 7, v30
	v_cmp_gt_u32_e32 vcc, 8, v26
	v_cndmask_b32_e32 v26, v33, v31, vcc
	v_cndmask_b32_e32 v30, v32, v30, vcc
	v_lshlrev_b32_e32 v22, 24, v22
	v_bfrev_b32_e32 v31, 60
	v_lshlrev_b32_e32 v30, 20, v30
	v_and_b32_e32 v22, 0x80000000, v22
	v_lshl_add_u32 v26, v26, 23, v31
	v_or3_b32 v22, v22, v26, v30
	v_lshrrev_b32_e32 v30, 16, v22
.LBB797_368:
	s_or_b64 exec, exec, s[22:23]
.LBB797_369:
	s_or_b64 exec, exec, s[20:21]
.LBB797_370:
	s_or_b64 exec, exec, s[10:11]
	v_mov_b32_e32 v31, 0
	v_mov_b32_e32 v22, v25
	v_cmp_ne_u16_sdwa s[20:21], v25, v31 src0_sel:BYTE_0 src1_sel:DWORD
	v_mov_b32_e32 v32, 0
	s_and_saveexec_b64 s[10:11], s[20:21]
	s_cbranch_execz .LBB797_376
; %bb.371:
	s_movk_i32 s20, 0x80
	v_cmp_ne_u16_sdwa s[22:23], v25, s20 src0_sel:BYTE_0 src1_sel:DWORD
	v_mov_b32_e32 v32, 0xffff8000
	s_and_saveexec_b64 s[20:21], s[22:23]
	s_cbranch_execz .LBB797_375
; %bb.372:
	s_movk_i32 s22, 0x7f
	v_and_b32_e32 v26, 0x7f, v25
	v_cmp_ne_u32_e32 vcc, s22, v26
	v_mov_b32_e32 v32, 0x7f80
	s_and_saveexec_b64 s[22:23], vcc
	s_cbranch_execz .LBB797_374
; %bb.373:
	v_and_b32_e32 v32, 7, v25
	v_ffbh_u32_e32 v32, v32
	v_min_u32_e32 v32, 32, v32
	v_lshrrev_b32_e32 v33, 3, v26
	v_subrev_u32_e32 v34, 28, v32
	v_sub_u32_e32 v32, 29, v32
	v_cmp_gt_u32_e32 vcc, 8, v26
	v_cndmask_b32_e32 v26, v33, v32, vcc
	v_cndmask_b32_e32 v32, 0, v34, vcc
	v_lshlrev_b64 v[32:33], v32, v[22:23]
	v_lshlrev_b32_e32 v23, 20, v32
	v_lshlrev_b32_e32 v32, 24, v22
	v_bfrev_b32_e32 v33, 60
	v_and_b32_e32 v23, 0x700000, v23
	v_and_b32_e32 v32, 0x80000000, v32
	v_lshl_add_u32 v26, v26, 23, v33
	v_or3_b32 v23, v32, v26, v23
	v_lshrrev_b32_e32 v32, 16, v23
.LBB797_374:
	s_or_b64 exec, exec, s[22:23]
.LBB797_375:
	s_or_b64 exec, exec, s[20:21]
.LBB797_376:
	s_or_b64 exec, exec, s[10:11]
	v_lshrrev_b16_e32 v26, 8, v22
	v_cmp_ne_u16_e32 vcc, 0, v26
	s_and_saveexec_b64 s[10:11], vcc
	s_cbranch_execz .LBB797_382
; %bb.377:
	s_movk_i32 s20, 0x80
	v_cmp_ne_u16_e32 vcc, s20, v26
	v_mov_b32_e32 v31, 0xffff8000
	s_and_saveexec_b64 s[20:21], vcc
	s_cbranch_execz .LBB797_381
; %bb.378:
	s_movk_i32 s22, 0x7f
	v_and_b32_e32 v23, 0x7f, v26
	v_cmp_ne_u32_e32 vcc, s22, v23
	v_mov_b32_e32 v31, 0x7f80
	s_and_saveexec_b64 s[22:23], vcc
	s_cbranch_execz .LBB797_380
; %bb.379:
	v_and_b32_e32 v31, 7, v26
	v_ffbh_u32_e32 v34, v31
	v_min_u32_e32 v36, 32, v34
	v_subrev_u32_e32 v34, 28, v36
	v_lshlrev_b64 v[34:35], v34, v[26:27]
	v_lshrrev_b32_e32 v33, 3, v23
	v_sub_u32_e32 v26, 29, v36
	v_and_b32_e32 v34, 7, v34
	v_cmp_gt_u32_e32 vcc, 8, v23
	v_cndmask_b32_e32 v23, v33, v26, vcc
	v_cndmask_b32_e32 v26, v31, v34, vcc
	v_lshlrev_b32_e32 v22, 16, v22
	v_bfrev_b32_e32 v31, 60
	v_lshlrev_b32_e32 v26, 20, v26
	v_and_b32_e32 v22, 0x80000000, v22
	v_lshl_add_u32 v23, v23, 23, v31
	v_or3_b32 v22, v22, v23, v26
	v_lshrrev_b32_e32 v31, 16, v22
.LBB797_380:
	s_or_b64 exec, exec, s[22:23]
.LBB797_381:
	s_or_b64 exec, exec, s[20:21]
.LBB797_382:
	s_or_b64 exec, exec, s[10:11]
	s_movk_i32 s10, 0xff
	v_and_b32_sdwa v33, v25, s10 dst_sel:DWORD dst_unused:UNUSED_PAD src0_sel:WORD_1 src1_sel:DWORD
	v_lshrrev_b32_e32 v22, 16, v25
	v_cmp_ne_u16_e32 vcc, 0, v33
	v_mov_b32_e32 v23, 0
	v_mov_b32_e32 v26, 0
	s_and_saveexec_b64 s[10:11], vcc
	s_cbranch_execz .LBB797_388
; %bb.383:
	s_movk_i32 s20, 0x80
	v_cmp_ne_u16_e32 vcc, s20, v33
	v_mov_b32_e32 v26, 0xffff8000
	s_and_saveexec_b64 s[20:21], vcc
	s_cbranch_execz .LBB797_387
; %bb.384:
	v_bfe_u32 v33, v25, 16, 7
	s_movk_i32 s22, 0x7f
	v_cmp_ne_u32_e32 vcc, s22, v33
	v_mov_b32_e32 v26, 0x7f80
	s_and_saveexec_b64 s[22:23], vcc
	s_cbranch_execz .LBB797_386
; %bb.385:
	v_and_b32_e32 v26, 7, v22
	v_ffbh_u32_e32 v34, v26
	v_min_u32_e32 v37, 32, v34
	v_subrev_u32_e32 v34, 28, v37
	v_lshlrev_b64 v[34:35], v34, v[22:23]
	v_lshrrev_b32_e32 v36, 3, v33
	v_sub_u32_e32 v22, 29, v37
	v_and_b32_e32 v34, 7, v34
	v_cmp_gt_u32_e32 vcc, 8, v33
	v_mov_b32_e32 v33, 24
	v_cndmask_b32_e32 v22, v36, v22, vcc
	v_cndmask_b32_e32 v26, v26, v34, vcc
	v_lshlrev_b32_sdwa v33, v33, v25 dst_sel:DWORD dst_unused:UNUSED_PAD src0_sel:DWORD src1_sel:WORD_1
	v_bfrev_b32_e32 v34, 60
	v_lshlrev_b32_e32 v26, 20, v26
	v_and_b32_e32 v33, 0x80000000, v33
	v_lshl_add_u32 v22, v22, 23, v34
	v_or3_b32 v22, v33, v22, v26
	v_lshrrev_b32_e32 v26, 16, v22
.LBB797_386:
	s_or_b64 exec, exec, s[22:23]
.LBB797_387:
	s_or_b64 exec, exec, s[20:21]
.LBB797_388:
	s_or_b64 exec, exec, s[10:11]
	s_mov_b32 s10, -1
	s_mov_b32 s11, 0xffffff
	v_cmp_lt_u64_e32 vcc, s[10:11], v[24:25]
	s_and_saveexec_b64 s[10:11], vcc
	s_cbranch_execz .LBB797_394
; %bb.389:
	v_lshrrev_b32_e32 v22, 24, v25
	s_movk_i32 s20, 0x80
	v_cmp_ne_u32_e32 vcc, s20, v22
	v_mov_b32_e32 v23, 0xffff8000
	s_and_saveexec_b64 s[20:21], vcc
	s_cbranch_execz .LBB797_393
; %bb.390:
	v_bfe_u32 v24, v25, 24, 7
	s_movk_i32 s22, 0x7f
	v_cmp_ne_u32_e32 vcc, s22, v24
	v_mov_b32_e32 v23, 0x7f80
	s_and_saveexec_b64 s[22:23], vcc
	s_cbranch_execz .LBB797_392
; %bb.391:
	v_and_b32_e32 v23, 7, v22
	v_ffbh_u32_e32 v33, v23
	v_min_u32_e32 v33, 32, v33
	v_subrev_u32_e32 v34, 28, v33
	v_lshlrev_b64 v[34:35], v34, v[22:23]
	v_lshrrev_b32_e32 v25, 3, v24
	v_sub_u32_e32 v33, 29, v33
	v_and_b32_e32 v34, 7, v34
	v_cmp_gt_u32_e32 vcc, 8, v24
	v_cndmask_b32_e32 v24, v25, v33, vcc
	v_cndmask_b32_e32 v23, v23, v34, vcc
	v_lshlrev_b32_e32 v22, 24, v22
	v_bfrev_b32_e32 v25, 60
	v_lshlrev_b32_e32 v23, 20, v23
	v_and_b32_e32 v22, 0x80000000, v22
	v_lshl_add_u32 v24, v24, 23, v25
	v_or3_b32 v22, v22, v24, v23
	v_lshrrev_b32_e32 v23, 16, v22
.LBB797_392:
	s_or_b64 exec, exec, s[22:23]
.LBB797_393:
	s_or_b64 exec, exec, s[20:21]
.LBB797_394:
	s_or_b64 exec, exec, s[10:11]
	s_mov_b32 s10, 0x5040100
	v_perm_b32 v25, v30, v29, s10
	v_perm_b32 v24, v27, v28, s10
	;; [unrolled: 1-line block ×4, first 2 shown]
	v_mfma_f32_4x4x4bf16_1k a[0:3], v[2:3], v[24:25], a[0:3] cbsz:4 abid:7
	v_mov_b32_e32 v25, 0
	v_mfma_f32_4x4x4bf16_1k a[0:3], v[4:5], v[22:23], a[0:3] cbsz:4 abid:7
	v_cmp_ne_u16_sdwa s[20:21], v18, v25 src0_sel:BYTE_0 src1_sel:DWORD
	v_mov_b32_e32 v26, 0
	s_and_saveexec_b64 s[10:11], s[20:21]
	s_cbranch_execz .LBB797_400
; %bb.395:
	s_movk_i32 s20, 0x80
	v_cmp_ne_u16_sdwa s[22:23], v18, s20 src0_sel:BYTE_0 src1_sel:DWORD
	v_mov_b32_e32 v26, 0xffff8000
	s_and_saveexec_b64 s[20:21], s[22:23]
	s_cbranch_execz .LBB797_399
; %bb.396:
	s_movk_i32 s22, 0x7f
	v_and_b32_e32 v22, 0x7f, v18
	v_cmp_ne_u32_e32 vcc, s22, v22
	v_mov_b32_e32 v26, 0x7f80
	s_and_saveexec_b64 s[22:23], vcc
	s_cbranch_execz .LBB797_398
; %bb.397:
	v_and_b32_e32 v23, 7, v18
	v_ffbh_u32_e32 v23, v23
	v_min_u32_e32 v23, 32, v23
	v_subrev_u32_e32 v26, 28, v23
	v_cmp_gt_u32_e32 vcc, 8, v22
	v_lshrrev_b32_e32 v24, 3, v22
	v_sub_u32_e32 v23, 29, v23
	v_cndmask_b32_e32 v22, 0, v26, vcc
	v_cndmask_b32_e32 v24, v24, v23, vcc
	v_lshlrev_b64 v[22:23], v22, v[18:19]
	v_lshlrev_b32_e32 v22, 20, v22
	v_lshlrev_b32_e32 v23, 24, v18
	v_bfrev_b32_e32 v26, 60
	v_and_b32_e32 v22, 0x700000, v22
	v_and_b32_e32 v23, 0x80000000, v23
	v_lshl_add_u32 v24, v24, 23, v26
	v_or3_b32 v22, v23, v24, v22
	v_lshrrev_b32_e32 v26, 16, v22
.LBB797_398:
	s_or_b64 exec, exec, s[22:23]
.LBB797_399:
	s_or_b64 exec, exec, s[20:21]
.LBB797_400:
	s_or_b64 exec, exec, s[10:11]
	v_lshrrev_b16_e32 v22, 8, v18
	v_cmp_ne_u16_e32 vcc, 0, v22
	s_and_saveexec_b64 s[10:11], vcc
	s_cbranch_execz .LBB797_406
; %bb.401:
	s_movk_i32 s20, 0x80
	v_cmp_ne_u16_e32 vcc, s20, v22
	v_mov_b32_e32 v25, 0xffff8000
	s_and_saveexec_b64 s[20:21], vcc
	s_cbranch_execz .LBB797_405
; %bb.402:
	s_movk_i32 s22, 0x7f
	v_and_b32_e32 v23, 0x7f, v22
	v_cmp_ne_u32_e32 vcc, s22, v23
	v_mov_b32_e32 v25, 0x7f80
	s_and_saveexec_b64 s[22:23], vcc
	s_cbranch_execz .LBB797_404
; %bb.403:
	v_and_b32_e32 v27, 7, v22
	v_ffbh_u32_e32 v24, v27
	v_min_u32_e32 v29, 32, v24
	v_subrev_u32_e32 v24, 28, v29
	v_lshlrev_b64 v[24:25], v24, v[22:23]
	v_lshrrev_b32_e32 v28, 3, v23
	v_sub_u32_e32 v22, 29, v29
	v_and_b32_e32 v24, 7, v24
	v_cmp_gt_u32_e32 vcc, 8, v23
	v_cndmask_b32_e32 v22, v28, v22, vcc
	v_cndmask_b32_e32 v23, v27, v24, vcc
	v_lshlrev_b32_e32 v24, 16, v18
	v_bfrev_b32_e32 v25, 60
	v_lshlrev_b32_e32 v23, 20, v23
	v_and_b32_e32 v24, 0x80000000, v24
	v_lshl_add_u32 v22, v22, 23, v25
	v_or3_b32 v22, v24, v22, v23
	v_lshrrev_b32_e32 v25, 16, v22
.LBB797_404:
	s_or_b64 exec, exec, s[22:23]
.LBB797_405:
	s_or_b64 exec, exec, s[20:21]
.LBB797_406:
	s_or_b64 exec, exec, s[10:11]
	s_movk_i32 s10, 0xff
	v_and_b32_sdwa v24, v18, s10 dst_sel:DWORD dst_unused:UNUSED_PAD src0_sel:WORD_1 src1_sel:DWORD
	v_lshrrev_b32_e32 v22, 16, v18
	v_cmp_ne_u16_e32 vcc, 0, v24
	v_mov_b32_e32 v23, 0
	v_mov_b32_e32 v27, 0
	s_and_saveexec_b64 s[10:11], vcc
	s_cbranch_execz .LBB797_412
; %bb.407:
	s_movk_i32 s20, 0x80
	v_cmp_ne_u16_e32 vcc, s20, v24
	v_mov_b32_e32 v27, 0xffff8000
	s_and_saveexec_b64 s[20:21], vcc
	s_cbranch_execz .LBB797_411
; %bb.408:
	v_bfe_u32 v24, v18, 16, 7
	s_movk_i32 s22, 0x7f
	v_cmp_ne_u32_e32 vcc, s22, v24
	v_mov_b32_e32 v27, 0x7f80
	s_and_saveexec_b64 s[22:23], vcc
	s_cbranch_execz .LBB797_410
; %bb.409:
	v_and_b32_e32 v27, 7, v22
	v_ffbh_u32_e32 v28, v27
	v_min_u32_e32 v31, 32, v28
	v_subrev_u32_e32 v28, 28, v31
	v_lshlrev_b64 v[28:29], v28, v[22:23]
	v_and_b32_e32 v28, 7, v28
	v_cmp_gt_u32_e32 vcc, 8, v24
	v_lshrrev_b32_e32 v30, 3, v24
	v_sub_u32_e32 v22, 29, v31
	v_cndmask_b32_e32 v24, v27, v28, vcc
	v_mov_b32_e32 v27, 24
	v_cndmask_b32_e32 v22, v30, v22, vcc
	v_lshlrev_b32_sdwa v27, v27, v18 dst_sel:DWORD dst_unused:UNUSED_PAD src0_sel:DWORD src1_sel:WORD_1
	v_bfrev_b32_e32 v28, 60
	v_lshlrev_b32_e32 v24, 20, v24
	v_and_b32_e32 v27, 0x80000000, v27
	v_lshl_add_u32 v22, v22, 23, v28
	v_or3_b32 v22, v27, v22, v24
	v_lshrrev_b32_e32 v27, 16, v22
.LBB797_410:
	s_or_b64 exec, exec, s[22:23]
.LBB797_411:
	s_or_b64 exec, exec, s[20:21]
.LBB797_412:
	s_or_b64 exec, exec, s[10:11]
	s_mov_b32 s10, 0xffffff
	v_cmp_lt_u32_e32 vcc, s10, v18
	v_mov_b32_e32 v28, 0
	s_and_saveexec_b64 s[10:11], vcc
	s_cbranch_execz .LBB797_418
; %bb.413:
	v_lshrrev_b32_e32 v22, 24, v18
	s_movk_i32 s20, 0x80
	v_cmp_ne_u32_e32 vcc, s20, v22
	v_mov_b32_e32 v28, 0xffff8000
	s_and_saveexec_b64 s[20:21], vcc
	s_cbranch_execz .LBB797_417
; %bb.414:
	v_bfe_u32 v24, v18, 24, 7
	s_movk_i32 s22, 0x7f
	v_cmp_ne_u32_e32 vcc, s22, v24
	v_mov_b32_e32 v28, 0x7f80
	s_and_saveexec_b64 s[22:23], vcc
	s_cbranch_execz .LBB797_416
; %bb.415:
	v_and_b32_e32 v30, 7, v22
	v_ffbh_u32_e32 v28, v30
	v_min_u32_e32 v32, 32, v28
	v_subrev_u32_e32 v28, 28, v32
	v_lshlrev_b64 v[28:29], v28, v[22:23]
	v_lshrrev_b32_e32 v31, 3, v24
	v_sub_u32_e32 v29, 29, v32
	v_and_b32_e32 v28, 7, v28
	v_cmp_gt_u32_e32 vcc, 8, v24
	v_cndmask_b32_e32 v24, v31, v29, vcc
	v_cndmask_b32_e32 v28, v30, v28, vcc
	v_lshlrev_b32_e32 v22, 24, v22
	v_bfrev_b32_e32 v29, 60
	v_lshlrev_b32_e32 v28, 20, v28
	v_and_b32_e32 v22, 0x80000000, v22
	v_lshl_add_u32 v24, v24, 23, v29
	v_or3_b32 v22, v22, v24, v28
	v_lshrrev_b32_e32 v28, 16, v22
.LBB797_416:
	s_or_b64 exec, exec, s[22:23]
.LBB797_417:
	s_or_b64 exec, exec, s[20:21]
.LBB797_418:
	s_or_b64 exec, exec, s[10:11]
	v_mov_b32_e32 v29, 0
	v_mov_b32_e32 v22, v19
	v_cmp_ne_u16_sdwa s[20:21], v19, v29 src0_sel:BYTE_0 src1_sel:DWORD
	v_mov_b32_e32 v30, 0
	s_and_saveexec_b64 s[10:11], s[20:21]
	s_cbranch_execz .LBB797_424
; %bb.419:
	s_movk_i32 s20, 0x80
	v_cmp_ne_u16_sdwa s[22:23], v19, s20 src0_sel:BYTE_0 src1_sel:DWORD
	v_mov_b32_e32 v30, 0xffff8000
	s_and_saveexec_b64 s[20:21], s[22:23]
	s_cbranch_execz .LBB797_423
; %bb.420:
	s_movk_i32 s22, 0x7f
	v_and_b32_e32 v24, 0x7f, v19
	v_cmp_ne_u32_e32 vcc, s22, v24
	v_mov_b32_e32 v30, 0x7f80
	s_and_saveexec_b64 s[22:23], vcc
	s_cbranch_execz .LBB797_422
; %bb.421:
	v_and_b32_e32 v30, 7, v19
	v_ffbh_u32_e32 v30, v30
	v_min_u32_e32 v30, 32, v30
	v_lshrrev_b32_e32 v31, 3, v24
	v_subrev_u32_e32 v32, 28, v30
	v_sub_u32_e32 v30, 29, v30
	v_cmp_gt_u32_e32 vcc, 8, v24
	v_cndmask_b32_e32 v24, v31, v30, vcc
	v_cndmask_b32_e32 v30, 0, v32, vcc
	v_lshlrev_b64 v[30:31], v30, v[22:23]
	v_lshlrev_b32_e32 v23, 20, v30
	v_lshlrev_b32_e32 v30, 24, v22
	v_bfrev_b32_e32 v31, 60
	v_and_b32_e32 v23, 0x700000, v23
	v_and_b32_e32 v30, 0x80000000, v30
	v_lshl_add_u32 v24, v24, 23, v31
	v_or3_b32 v23, v30, v24, v23
	v_lshrrev_b32_e32 v30, 16, v23
.LBB797_422:
	s_or_b64 exec, exec, s[22:23]
.LBB797_423:
	s_or_b64 exec, exec, s[20:21]
.LBB797_424:
	s_or_b64 exec, exec, s[10:11]
	v_lshrrev_b16_e32 v24, 8, v22
	v_cmp_ne_u16_e32 vcc, 0, v24
	s_and_saveexec_b64 s[10:11], vcc
	s_cbranch_execz .LBB797_430
; %bb.425:
	s_movk_i32 s20, 0x80
	v_cmp_ne_u16_e32 vcc, s20, v24
	v_mov_b32_e32 v29, 0xffff8000
	s_and_saveexec_b64 s[20:21], vcc
	s_cbranch_execz .LBB797_429
; %bb.426:
	s_movk_i32 s22, 0x7f
	v_and_b32_e32 v23, 0x7f, v24
	v_cmp_ne_u32_e32 vcc, s22, v23
	v_mov_b32_e32 v29, 0x7f80
	s_and_saveexec_b64 s[22:23], vcc
	s_cbranch_execz .LBB797_428
; %bb.427:
	v_and_b32_e32 v29, 7, v24
	v_ffbh_u32_e32 v32, v29
	v_min_u32_e32 v34, 32, v32
	v_subrev_u32_e32 v32, 28, v34
	v_lshlrev_b64 v[32:33], v32, v[24:25]
	v_lshrrev_b32_e32 v31, 3, v23
	v_sub_u32_e32 v24, 29, v34
	v_and_b32_e32 v32, 7, v32
	v_cmp_gt_u32_e32 vcc, 8, v23
	v_cndmask_b32_e32 v23, v31, v24, vcc
	v_cndmask_b32_e32 v24, v29, v32, vcc
	v_lshlrev_b32_e32 v22, 16, v22
	v_bfrev_b32_e32 v29, 60
	v_lshlrev_b32_e32 v24, 20, v24
	v_and_b32_e32 v22, 0x80000000, v22
	v_lshl_add_u32 v23, v23, 23, v29
	v_or3_b32 v22, v22, v23, v24
	v_lshrrev_b32_e32 v29, 16, v22
.LBB797_428:
	s_or_b64 exec, exec, s[22:23]
.LBB797_429:
	s_or_b64 exec, exec, s[20:21]
.LBB797_430:
	s_or_b64 exec, exec, s[10:11]
	s_movk_i32 s10, 0xff
	v_and_b32_sdwa v31, v19, s10 dst_sel:DWORD dst_unused:UNUSED_PAD src0_sel:WORD_1 src1_sel:DWORD
	v_lshrrev_b32_e32 v22, 16, v19
	v_cmp_ne_u16_e32 vcc, 0, v31
	v_mov_b32_e32 v23, 0
	v_mov_b32_e32 v24, 0
	s_and_saveexec_b64 s[10:11], vcc
	s_cbranch_execz .LBB797_436
; %bb.431:
	s_movk_i32 s20, 0x80
	v_cmp_ne_u16_e32 vcc, s20, v31
	v_mov_b32_e32 v24, 0xffff8000
	s_and_saveexec_b64 s[20:21], vcc
	s_cbranch_execz .LBB797_435
; %bb.432:
	v_bfe_u32 v31, v19, 16, 7
	s_movk_i32 s22, 0x7f
	v_cmp_ne_u32_e32 vcc, s22, v31
	v_mov_b32_e32 v24, 0x7f80
	s_and_saveexec_b64 s[22:23], vcc
	s_cbranch_execz .LBB797_434
; %bb.433:
	v_and_b32_e32 v24, 7, v22
	v_ffbh_u32_e32 v32, v24
	v_min_u32_e32 v35, 32, v32
	v_subrev_u32_e32 v32, 28, v35
	v_lshlrev_b64 v[32:33], v32, v[22:23]
	v_lshrrev_b32_e32 v34, 3, v31
	v_sub_u32_e32 v22, 29, v35
	v_and_b32_e32 v32, 7, v32
	v_cmp_gt_u32_e32 vcc, 8, v31
	v_mov_b32_e32 v31, 24
	v_cndmask_b32_e32 v22, v34, v22, vcc
	v_cndmask_b32_e32 v24, v24, v32, vcc
	v_lshlrev_b32_sdwa v31, v31, v19 dst_sel:DWORD dst_unused:UNUSED_PAD src0_sel:DWORD src1_sel:WORD_1
	v_bfrev_b32_e32 v32, 60
	v_lshlrev_b32_e32 v24, 20, v24
	v_and_b32_e32 v31, 0x80000000, v31
	v_lshl_add_u32 v22, v22, 23, v32
	v_or3_b32 v22, v31, v22, v24
	v_lshrrev_b32_e32 v24, 16, v22
.LBB797_434:
	s_or_b64 exec, exec, s[22:23]
.LBB797_435:
	s_or_b64 exec, exec, s[20:21]
.LBB797_436:
	s_or_b64 exec, exec, s[10:11]
	s_mov_b32 s10, -1
	s_mov_b32 s11, 0xffffff
	v_cmp_lt_u64_e32 vcc, s[10:11], v[18:19]
	s_and_saveexec_b64 s[10:11], vcc
	s_cbranch_execz .LBB797_442
; %bb.437:
	v_lshrrev_b32_e32 v18, 24, v19
	s_movk_i32 s20, 0x80
	v_cmp_ne_u32_e32 vcc, s20, v18
	v_mov_b32_e32 v23, 0xffff8000
	s_and_saveexec_b64 s[20:21], vcc
	s_cbranch_execz .LBB797_441
; %bb.438:
	v_bfe_u32 v19, v19, 24, 7
	s_movk_i32 s22, 0x7f
	v_cmp_ne_u32_e32 vcc, s22, v19
	v_mov_b32_e32 v23, 0x7f80
	s_and_saveexec_b64 s[22:23], vcc
	s_cbranch_execz .LBB797_440
; %bb.439:
	v_and_b32_e32 v31, 7, v18
	v_ffbh_u32_e32 v22, v31
	v_min_u32_e32 v33, 32, v22
	v_subrev_u32_e32 v22, 28, v33
	v_lshlrev_b64 v[22:23], v22, v[18:19]
	v_lshrrev_b32_e32 v32, 3, v19
	v_sub_u32_e32 v23, 29, v33
	v_and_b32_e32 v22, 7, v22
	v_cmp_gt_u32_e32 vcc, 8, v19
	v_cndmask_b32_e32 v19, v32, v23, vcc
	v_cndmask_b32_e32 v22, v31, v22, vcc
	v_lshlrev_b32_e32 v18, 24, v18
	v_bfrev_b32_e32 v23, 60
	v_lshlrev_b32_e32 v22, 20, v22
	v_and_b32_e32 v18, 0x80000000, v18
	v_lshl_add_u32 v19, v19, 23, v23
	v_or3_b32 v18, v18, v19, v22
	v_lshrrev_b32_e32 v23, 16, v18
.LBB797_440:
	s_or_b64 exec, exec, s[22:23]
.LBB797_441:
	s_or_b64 exec, exec, s[20:21]
.LBB797_442:
	s_or_b64 exec, exec, s[10:11]
	s_mov_b32 s10, 0x5040100
	v_perm_b32 v19, v28, v27, s10
	v_perm_b32 v18, v25, v26, s10
	v_perm_b32 v23, v23, v24, s10
	v_perm_b32 v22, v29, v30, s10
	v_mfma_f32_4x4x4bf16_1k a[0:3], v[2:3], v[18:19], a[0:3] cbsz:4 abid:8
	v_mov_b32_e32 v24, 0
	v_mfma_f32_4x4x4bf16_1k a[0:3], v[4:5], v[22:23], a[0:3] cbsz:4 abid:8
	v_mov_b32_e32 v23, 0
	v_cmp_ne_u16_sdwa s[20:21], v20, v23 src0_sel:BYTE_0 src1_sel:DWORD
	s_and_saveexec_b64 s[10:11], s[20:21]
	s_cbranch_execz .LBB797_448
; %bb.443:
	s_movk_i32 s20, 0x80
	v_cmp_ne_u16_sdwa s[22:23], v20, s20 src0_sel:BYTE_0 src1_sel:DWORD
	v_mov_b32_e32 v24, 0xffff8000
	s_and_saveexec_b64 s[20:21], s[22:23]
	s_cbranch_execz .LBB797_447
; %bb.444:
	s_movk_i32 s22, 0x7f
	v_and_b32_e32 v18, 0x7f, v20
	v_cmp_ne_u32_e32 vcc, s22, v18
	v_mov_b32_e32 v24, 0x7f80
	s_and_saveexec_b64 s[22:23], vcc
	s_cbranch_execz .LBB797_446
; %bb.445:
	v_and_b32_e32 v19, 7, v20
	v_ffbh_u32_e32 v19, v19
	v_min_u32_e32 v19, 32, v19
	v_subrev_u32_e32 v24, 28, v19
	v_cmp_gt_u32_e32 vcc, 8, v18
	v_lshrrev_b32_e32 v22, 3, v18
	v_sub_u32_e32 v19, 29, v19
	v_cndmask_b32_e32 v18, 0, v24, vcc
	v_cndmask_b32_e32 v22, v22, v19, vcc
	v_lshlrev_b64 v[18:19], v18, v[20:21]
	v_lshlrev_b32_e32 v18, 20, v18
	v_lshlrev_b32_e32 v19, 24, v20
	v_bfrev_b32_e32 v24, 60
	v_and_b32_e32 v18, 0x700000, v18
	v_and_b32_e32 v19, 0x80000000, v19
	v_lshl_add_u32 v22, v22, 23, v24
	v_or3_b32 v18, v19, v22, v18
	v_lshrrev_b32_e32 v24, 16, v18
.LBB797_446:
	s_or_b64 exec, exec, s[22:23]
.LBB797_447:
	s_or_b64 exec, exec, s[20:21]
.LBB797_448:
	s_or_b64 exec, exec, s[10:11]
	v_lshrrev_b16_e32 v18, 8, v20
	v_cmp_ne_u16_e32 vcc, 0, v18
	s_and_saveexec_b64 s[10:11], vcc
	s_cbranch_execz .LBB797_454
; %bb.449:
	s_movk_i32 s20, 0x80
	v_cmp_ne_u16_e32 vcc, s20, v18
	v_mov_b32_e32 v23, 0xffff8000
	s_and_saveexec_b64 s[20:21], vcc
	s_cbranch_execz .LBB797_453
; %bb.450:
	s_movk_i32 s22, 0x7f
	v_and_b32_e32 v19, 0x7f, v18
	v_cmp_ne_u32_e32 vcc, s22, v19
	v_mov_b32_e32 v23, 0x7f80
	s_and_saveexec_b64 s[22:23], vcc
	s_cbranch_execz .LBB797_452
; %bb.451:
	v_and_b32_e32 v25, 7, v18
	v_ffbh_u32_e32 v22, v25
	v_min_u32_e32 v27, 32, v22
	v_subrev_u32_e32 v22, 28, v27
	v_lshlrev_b64 v[22:23], v22, v[18:19]
	v_lshrrev_b32_e32 v26, 3, v19
	v_sub_u32_e32 v18, 29, v27
	v_and_b32_e32 v22, 7, v22
	v_cmp_gt_u32_e32 vcc, 8, v19
	v_cndmask_b32_e32 v18, v26, v18, vcc
	v_cndmask_b32_e32 v19, v25, v22, vcc
	v_lshlrev_b32_e32 v22, 16, v20
	v_bfrev_b32_e32 v23, 60
	v_lshlrev_b32_e32 v19, 20, v19
	v_and_b32_e32 v22, 0x80000000, v22
	v_lshl_add_u32 v18, v18, 23, v23
	v_or3_b32 v18, v22, v18, v19
	v_lshrrev_b32_e32 v23, 16, v18
.LBB797_452:
	s_or_b64 exec, exec, s[22:23]
.LBB797_453:
	s_or_b64 exec, exec, s[20:21]
.LBB797_454:
	s_or_b64 exec, exec, s[10:11]
	s_movk_i32 s10, 0xff
	v_and_b32_sdwa v22, v20, s10 dst_sel:DWORD dst_unused:UNUSED_PAD src0_sel:WORD_1 src1_sel:DWORD
	v_lshrrev_b32_e32 v18, 16, v20
	v_cmp_ne_u16_e32 vcc, 0, v22
	v_mov_b32_e32 v19, 0
	v_mov_b32_e32 v25, 0
	s_and_saveexec_b64 s[10:11], vcc
	s_cbranch_execz .LBB797_460
; %bb.455:
	s_movk_i32 s20, 0x80
	v_cmp_ne_u16_e32 vcc, s20, v22
	v_mov_b32_e32 v25, 0xffff8000
	s_and_saveexec_b64 s[20:21], vcc
	s_cbranch_execz .LBB797_459
; %bb.456:
	v_bfe_u32 v22, v20, 16, 7
	s_movk_i32 s22, 0x7f
	v_cmp_ne_u32_e32 vcc, s22, v22
	v_mov_b32_e32 v25, 0x7f80
	s_and_saveexec_b64 s[22:23], vcc
	s_cbranch_execz .LBB797_458
; %bb.457:
	v_and_b32_e32 v25, 7, v18
	v_ffbh_u32_e32 v26, v25
	v_min_u32_e32 v29, 32, v26
	v_subrev_u32_e32 v26, 28, v29
	v_lshlrev_b64 v[26:27], v26, v[18:19]
	v_and_b32_e32 v26, 7, v26
	v_cmp_gt_u32_e32 vcc, 8, v22
	v_lshrrev_b32_e32 v28, 3, v22
	v_sub_u32_e32 v18, 29, v29
	v_cndmask_b32_e32 v22, v25, v26, vcc
	v_mov_b32_e32 v25, 24
	v_cndmask_b32_e32 v18, v28, v18, vcc
	v_lshlrev_b32_sdwa v25, v25, v20 dst_sel:DWORD dst_unused:UNUSED_PAD src0_sel:DWORD src1_sel:WORD_1
	v_bfrev_b32_e32 v26, 60
	v_lshlrev_b32_e32 v22, 20, v22
	v_and_b32_e32 v25, 0x80000000, v25
	v_lshl_add_u32 v18, v18, 23, v26
	v_or3_b32 v18, v25, v18, v22
	v_lshrrev_b32_e32 v25, 16, v18
.LBB797_458:
	s_or_b64 exec, exec, s[22:23]
.LBB797_459:
	s_or_b64 exec, exec, s[20:21]
.LBB797_460:
	s_or_b64 exec, exec, s[10:11]
	s_mov_b32 s10, 0xffffff
	v_cmp_lt_u32_e32 vcc, s10, v20
	v_mov_b32_e32 v26, 0
	s_and_saveexec_b64 s[10:11], vcc
	s_cbranch_execz .LBB797_466
; %bb.461:
	v_lshrrev_b32_e32 v18, 24, v20
	s_movk_i32 s20, 0x80
	v_cmp_ne_u32_e32 vcc, s20, v18
	v_mov_b32_e32 v26, 0xffff8000
	s_and_saveexec_b64 s[20:21], vcc
	s_cbranch_execz .LBB797_465
; %bb.462:
	v_bfe_u32 v22, v20, 24, 7
	s_movk_i32 s22, 0x7f
	v_cmp_ne_u32_e32 vcc, s22, v22
	v_mov_b32_e32 v26, 0x7f80
	s_and_saveexec_b64 s[22:23], vcc
	s_cbranch_execz .LBB797_464
; %bb.463:
	v_and_b32_e32 v28, 7, v18
	v_ffbh_u32_e32 v26, v28
	v_min_u32_e32 v30, 32, v26
	v_subrev_u32_e32 v26, 28, v30
	v_lshlrev_b64 v[26:27], v26, v[18:19]
	v_lshrrev_b32_e32 v29, 3, v22
	v_sub_u32_e32 v27, 29, v30
	v_and_b32_e32 v26, 7, v26
	v_cmp_gt_u32_e32 vcc, 8, v22
	v_cndmask_b32_e32 v22, v29, v27, vcc
	v_cndmask_b32_e32 v26, v28, v26, vcc
	v_lshlrev_b32_e32 v18, 24, v18
	v_bfrev_b32_e32 v27, 60
	v_lshlrev_b32_e32 v26, 20, v26
	v_and_b32_e32 v18, 0x80000000, v18
	v_lshl_add_u32 v22, v22, 23, v27
	v_or3_b32 v18, v18, v22, v26
	v_lshrrev_b32_e32 v26, 16, v18
.LBB797_464:
	s_or_b64 exec, exec, s[22:23]
.LBB797_465:
	s_or_b64 exec, exec, s[20:21]
.LBB797_466:
	s_or_b64 exec, exec, s[10:11]
	v_mov_b32_e32 v27, 0
	v_mov_b32_e32 v18, v21
	v_cmp_ne_u16_sdwa s[20:21], v21, v27 src0_sel:BYTE_0 src1_sel:DWORD
	v_mov_b32_e32 v28, 0
	s_and_saveexec_b64 s[10:11], s[20:21]
	s_cbranch_execz .LBB797_472
; %bb.467:
	s_movk_i32 s20, 0x80
	v_cmp_ne_u16_sdwa s[22:23], v21, s20 src0_sel:BYTE_0 src1_sel:DWORD
	v_mov_b32_e32 v28, 0xffff8000
	s_and_saveexec_b64 s[20:21], s[22:23]
	s_cbranch_execz .LBB797_471
; %bb.468:
	s_movk_i32 s22, 0x7f
	v_and_b32_e32 v22, 0x7f, v21
	v_cmp_ne_u32_e32 vcc, s22, v22
	v_mov_b32_e32 v28, 0x7f80
	s_and_saveexec_b64 s[22:23], vcc
	s_cbranch_execz .LBB797_470
; %bb.469:
	v_and_b32_e32 v28, 7, v21
	v_ffbh_u32_e32 v28, v28
	v_min_u32_e32 v28, 32, v28
	v_lshrrev_b32_e32 v29, 3, v22
	v_subrev_u32_e32 v30, 28, v28
	v_sub_u32_e32 v28, 29, v28
	v_cmp_gt_u32_e32 vcc, 8, v22
	v_cndmask_b32_e32 v22, v29, v28, vcc
	v_cndmask_b32_e32 v28, 0, v30, vcc
	v_lshlrev_b64 v[28:29], v28, v[18:19]
	v_lshlrev_b32_e32 v19, 20, v28
	v_lshlrev_b32_e32 v28, 24, v18
	v_bfrev_b32_e32 v29, 60
	v_and_b32_e32 v19, 0x700000, v19
	v_and_b32_e32 v28, 0x80000000, v28
	v_lshl_add_u32 v22, v22, 23, v29
	v_or3_b32 v19, v28, v22, v19
	v_lshrrev_b32_e32 v28, 16, v19
.LBB797_470:
	s_or_b64 exec, exec, s[22:23]
.LBB797_471:
	s_or_b64 exec, exec, s[20:21]
.LBB797_472:
	s_or_b64 exec, exec, s[10:11]
	v_lshrrev_b16_e32 v22, 8, v18
	v_cmp_ne_u16_e32 vcc, 0, v22
	s_and_saveexec_b64 s[10:11], vcc
	s_cbranch_execz .LBB797_478
; %bb.473:
	s_movk_i32 s20, 0x80
	v_cmp_ne_u16_e32 vcc, s20, v22
	v_mov_b32_e32 v27, 0xffff8000
	s_and_saveexec_b64 s[20:21], vcc
	s_cbranch_execz .LBB797_477
; %bb.474:
	s_movk_i32 s22, 0x7f
	v_and_b32_e32 v19, 0x7f, v22
	v_cmp_ne_u32_e32 vcc, s22, v19
	v_mov_b32_e32 v27, 0x7f80
	s_and_saveexec_b64 s[22:23], vcc
	s_cbranch_execz .LBB797_476
; %bb.475:
	v_and_b32_e32 v27, 7, v22
	v_ffbh_u32_e32 v30, v27
	v_min_u32_e32 v32, 32, v30
	v_subrev_u32_e32 v30, 28, v32
	v_lshlrev_b64 v[30:31], v30, v[22:23]
	v_lshrrev_b32_e32 v29, 3, v19
	v_sub_u32_e32 v22, 29, v32
	v_and_b32_e32 v30, 7, v30
	v_cmp_gt_u32_e32 vcc, 8, v19
	v_cndmask_b32_e32 v19, v29, v22, vcc
	v_cndmask_b32_e32 v22, v27, v30, vcc
	v_lshlrev_b32_e32 v18, 16, v18
	v_bfrev_b32_e32 v27, 60
	v_lshlrev_b32_e32 v22, 20, v22
	v_and_b32_e32 v18, 0x80000000, v18
	v_lshl_add_u32 v19, v19, 23, v27
	v_or3_b32 v18, v18, v19, v22
	v_lshrrev_b32_e32 v27, 16, v18
.LBB797_476:
	s_or_b64 exec, exec, s[22:23]
.LBB797_477:
	s_or_b64 exec, exec, s[20:21]
.LBB797_478:
	s_or_b64 exec, exec, s[10:11]
	s_movk_i32 s10, 0xff
	v_and_b32_sdwa v29, v21, s10 dst_sel:DWORD dst_unused:UNUSED_PAD src0_sel:WORD_1 src1_sel:DWORD
	v_lshrrev_b32_e32 v18, 16, v21
	v_cmp_ne_u16_e32 vcc, 0, v29
	v_mov_b32_e32 v19, 0
	v_mov_b32_e32 v22, 0
	s_and_saveexec_b64 s[10:11], vcc
	s_cbranch_execz .LBB797_484
; %bb.479:
	s_movk_i32 s20, 0x80
	v_cmp_ne_u16_e32 vcc, s20, v29
	v_mov_b32_e32 v22, 0xffff8000
	s_and_saveexec_b64 s[20:21], vcc
	s_cbranch_execz .LBB797_483
; %bb.480:
	v_bfe_u32 v29, v21, 16, 7
	s_movk_i32 s22, 0x7f
	v_cmp_ne_u32_e32 vcc, s22, v29
	v_mov_b32_e32 v22, 0x7f80
	s_and_saveexec_b64 s[22:23], vcc
	s_cbranch_execz .LBB797_482
; %bb.481:
	v_and_b32_e32 v22, 7, v18
	v_ffbh_u32_e32 v30, v22
	v_min_u32_e32 v33, 32, v30
	v_subrev_u32_e32 v30, 28, v33
	v_lshlrev_b64 v[30:31], v30, v[18:19]
	v_lshrrev_b32_e32 v32, 3, v29
	v_sub_u32_e32 v18, 29, v33
	v_and_b32_e32 v30, 7, v30
	v_cmp_gt_u32_e32 vcc, 8, v29
	v_mov_b32_e32 v29, 24
	v_cndmask_b32_e32 v18, v32, v18, vcc
	v_cndmask_b32_e32 v22, v22, v30, vcc
	v_lshlrev_b32_sdwa v29, v29, v21 dst_sel:DWORD dst_unused:UNUSED_PAD src0_sel:DWORD src1_sel:WORD_1
	v_bfrev_b32_e32 v30, 60
	v_lshlrev_b32_e32 v22, 20, v22
	v_and_b32_e32 v29, 0x80000000, v29
	v_lshl_add_u32 v18, v18, 23, v30
	v_or3_b32 v18, v29, v18, v22
	v_lshrrev_b32_e32 v22, 16, v18
.LBB797_482:
	s_or_b64 exec, exec, s[22:23]
.LBB797_483:
	s_or_b64 exec, exec, s[20:21]
.LBB797_484:
	s_or_b64 exec, exec, s[10:11]
	s_mov_b32 s10, -1
	s_mov_b32 s11, 0xffffff
	v_cmp_lt_u64_e32 vcc, s[10:11], v[20:21]
	s_and_saveexec_b64 s[10:11], vcc
	s_cbranch_execz .LBB797_490
; %bb.485:
	v_lshrrev_b32_e32 v18, 24, v21
	s_movk_i32 s20, 0x80
	v_cmp_ne_u32_e32 vcc, s20, v18
	v_mov_b32_e32 v19, 0xffff8000
	s_and_saveexec_b64 s[20:21], vcc
	s_cbranch_execz .LBB797_489
; %bb.486:
	v_bfe_u32 v20, v21, 24, 7
	s_movk_i32 s22, 0x7f
	v_cmp_ne_u32_e32 vcc, s22, v20
	v_mov_b32_e32 v19, 0x7f80
	s_and_saveexec_b64 s[22:23], vcc
	s_cbranch_execz .LBB797_488
; %bb.487:
	v_and_b32_e32 v19, 7, v18
	v_ffbh_u32_e32 v29, v19
	v_min_u32_e32 v29, 32, v29
	v_subrev_u32_e32 v30, 28, v29
	v_lshlrev_b64 v[30:31], v30, v[18:19]
	v_lshrrev_b32_e32 v21, 3, v20
	v_sub_u32_e32 v29, 29, v29
	v_and_b32_e32 v30, 7, v30
	v_cmp_gt_u32_e32 vcc, 8, v20
	v_cndmask_b32_e32 v20, v21, v29, vcc
	v_cndmask_b32_e32 v19, v19, v30, vcc
	v_lshlrev_b32_e32 v18, 24, v18
	v_bfrev_b32_e32 v21, 60
	v_lshlrev_b32_e32 v19, 20, v19
	v_and_b32_e32 v18, 0x80000000, v18
	v_lshl_add_u32 v20, v20, 23, v21
	v_or3_b32 v18, v18, v20, v19
	v_lshrrev_b32_e32 v19, 16, v18
.LBB797_488:
	s_or_b64 exec, exec, s[22:23]
.LBB797_489:
	s_or_b64 exec, exec, s[20:21]
.LBB797_490:
	s_or_b64 exec, exec, s[10:11]
	s_mov_b32 s10, 0x5040100
	v_perm_b32 v21, v26, v25, s10
	v_perm_b32 v20, v23, v24, s10
	;; [unrolled: 1-line block ×4, first 2 shown]
	v_mfma_f32_4x4x4bf16_1k a[0:3], v[2:3], v[20:21], a[0:3] cbsz:4 abid:9
	v_mov_b32_e32 v21, 0
	v_mfma_f32_4x4x4bf16_1k a[0:3], v[4:5], v[18:19], a[0:3] cbsz:4 abid:9
	v_cmp_ne_u16_sdwa s[20:21], v14, v21 src0_sel:BYTE_0 src1_sel:DWORD
	v_mov_b32_e32 v22, 0
	s_and_saveexec_b64 s[10:11], s[20:21]
	s_cbranch_execz .LBB797_496
; %bb.491:
	s_movk_i32 s20, 0x80
	v_cmp_ne_u16_sdwa s[22:23], v14, s20 src0_sel:BYTE_0 src1_sel:DWORD
	v_mov_b32_e32 v22, 0xffff8000
	s_and_saveexec_b64 s[20:21], s[22:23]
	s_cbranch_execz .LBB797_495
; %bb.492:
	s_movk_i32 s22, 0x7f
	v_and_b32_e32 v18, 0x7f, v14
	v_cmp_ne_u32_e32 vcc, s22, v18
	v_mov_b32_e32 v22, 0x7f80
	s_and_saveexec_b64 s[22:23], vcc
	s_cbranch_execz .LBB797_494
; %bb.493:
	v_and_b32_e32 v19, 7, v14
	v_ffbh_u32_e32 v19, v19
	v_min_u32_e32 v19, 32, v19
	v_subrev_u32_e32 v22, 28, v19
	v_cmp_gt_u32_e32 vcc, 8, v18
	v_lshrrev_b32_e32 v20, 3, v18
	v_sub_u32_e32 v19, 29, v19
	v_cndmask_b32_e32 v18, 0, v22, vcc
	v_cndmask_b32_e32 v20, v20, v19, vcc
	v_lshlrev_b64 v[18:19], v18, v[14:15]
	v_lshlrev_b32_e32 v18, 20, v18
	v_lshlrev_b32_e32 v19, 24, v14
	v_bfrev_b32_e32 v22, 60
	v_and_b32_e32 v18, 0x700000, v18
	v_and_b32_e32 v19, 0x80000000, v19
	v_lshl_add_u32 v20, v20, 23, v22
	v_or3_b32 v18, v19, v20, v18
	v_lshrrev_b32_e32 v22, 16, v18
.LBB797_494:
	s_or_b64 exec, exec, s[22:23]
.LBB797_495:
	s_or_b64 exec, exec, s[20:21]
.LBB797_496:
	s_or_b64 exec, exec, s[10:11]
	v_lshrrev_b16_e32 v18, 8, v14
	v_cmp_ne_u16_e32 vcc, 0, v18
	s_and_saveexec_b64 s[10:11], vcc
	s_cbranch_execz .LBB797_502
; %bb.497:
	s_movk_i32 s20, 0x80
	v_cmp_ne_u16_e32 vcc, s20, v18
	v_mov_b32_e32 v21, 0xffff8000
	s_and_saveexec_b64 s[20:21], vcc
	s_cbranch_execz .LBB797_501
; %bb.498:
	s_movk_i32 s22, 0x7f
	v_and_b32_e32 v19, 0x7f, v18
	v_cmp_ne_u32_e32 vcc, s22, v19
	v_mov_b32_e32 v21, 0x7f80
	s_and_saveexec_b64 s[22:23], vcc
	s_cbranch_execz .LBB797_500
; %bb.499:
	v_and_b32_e32 v23, 7, v18
	v_ffbh_u32_e32 v20, v23
	v_min_u32_e32 v25, 32, v20
	v_subrev_u32_e32 v20, 28, v25
	v_lshlrev_b64 v[20:21], v20, v[18:19]
	v_lshrrev_b32_e32 v24, 3, v19
	v_sub_u32_e32 v18, 29, v25
	v_and_b32_e32 v20, 7, v20
	v_cmp_gt_u32_e32 vcc, 8, v19
	v_cndmask_b32_e32 v18, v24, v18, vcc
	v_cndmask_b32_e32 v19, v23, v20, vcc
	v_lshlrev_b32_e32 v20, 16, v14
	v_bfrev_b32_e32 v21, 60
	v_lshlrev_b32_e32 v19, 20, v19
	v_and_b32_e32 v20, 0x80000000, v20
	v_lshl_add_u32 v18, v18, 23, v21
	v_or3_b32 v18, v20, v18, v19
	v_lshrrev_b32_e32 v21, 16, v18
.LBB797_500:
	s_or_b64 exec, exec, s[22:23]
.LBB797_501:
	s_or_b64 exec, exec, s[20:21]
.LBB797_502:
	s_or_b64 exec, exec, s[10:11]
	s_movk_i32 s10, 0xff
	v_and_b32_sdwa v20, v14, s10 dst_sel:DWORD dst_unused:UNUSED_PAD src0_sel:WORD_1 src1_sel:DWORD
	v_lshrrev_b32_e32 v18, 16, v14
	v_cmp_ne_u16_e32 vcc, 0, v20
	v_mov_b32_e32 v19, 0
	v_mov_b32_e32 v23, 0
	s_and_saveexec_b64 s[10:11], vcc
	s_cbranch_execz .LBB797_508
; %bb.503:
	s_movk_i32 s20, 0x80
	v_cmp_ne_u16_e32 vcc, s20, v20
	v_mov_b32_e32 v23, 0xffff8000
	s_and_saveexec_b64 s[20:21], vcc
	s_cbranch_execz .LBB797_507
; %bb.504:
	v_bfe_u32 v20, v14, 16, 7
	s_movk_i32 s22, 0x7f
	v_cmp_ne_u32_e32 vcc, s22, v20
	v_mov_b32_e32 v23, 0x7f80
	s_and_saveexec_b64 s[22:23], vcc
	s_cbranch_execz .LBB797_506
; %bb.505:
	v_and_b32_e32 v23, 7, v18
	v_ffbh_u32_e32 v24, v23
	v_min_u32_e32 v27, 32, v24
	v_subrev_u32_e32 v24, 28, v27
	v_lshlrev_b64 v[24:25], v24, v[18:19]
	v_and_b32_e32 v24, 7, v24
	v_cmp_gt_u32_e32 vcc, 8, v20
	v_lshrrev_b32_e32 v26, 3, v20
	v_sub_u32_e32 v18, 29, v27
	v_cndmask_b32_e32 v20, v23, v24, vcc
	v_mov_b32_e32 v23, 24
	v_cndmask_b32_e32 v18, v26, v18, vcc
	v_lshlrev_b32_sdwa v23, v23, v14 dst_sel:DWORD dst_unused:UNUSED_PAD src0_sel:DWORD src1_sel:WORD_1
	v_bfrev_b32_e32 v24, 60
	v_lshlrev_b32_e32 v20, 20, v20
	v_and_b32_e32 v23, 0x80000000, v23
	v_lshl_add_u32 v18, v18, 23, v24
	v_or3_b32 v18, v23, v18, v20
	v_lshrrev_b32_e32 v23, 16, v18
.LBB797_506:
	s_or_b64 exec, exec, s[22:23]
.LBB797_507:
	s_or_b64 exec, exec, s[20:21]
.LBB797_508:
	s_or_b64 exec, exec, s[10:11]
	s_mov_b32 s10, 0xffffff
	v_cmp_lt_u32_e32 vcc, s10, v14
	v_mov_b32_e32 v24, 0
	s_and_saveexec_b64 s[10:11], vcc
	s_cbranch_execz .LBB797_514
; %bb.509:
	v_lshrrev_b32_e32 v18, 24, v14
	s_movk_i32 s20, 0x80
	v_cmp_ne_u32_e32 vcc, s20, v18
	v_mov_b32_e32 v24, 0xffff8000
	s_and_saveexec_b64 s[20:21], vcc
	s_cbranch_execz .LBB797_513
; %bb.510:
	v_bfe_u32 v20, v14, 24, 7
	s_movk_i32 s22, 0x7f
	v_cmp_ne_u32_e32 vcc, s22, v20
	v_mov_b32_e32 v24, 0x7f80
	s_and_saveexec_b64 s[22:23], vcc
	s_cbranch_execz .LBB797_512
; %bb.511:
	v_and_b32_e32 v26, 7, v18
	v_ffbh_u32_e32 v24, v26
	v_min_u32_e32 v28, 32, v24
	v_subrev_u32_e32 v24, 28, v28
	v_lshlrev_b64 v[24:25], v24, v[18:19]
	v_lshrrev_b32_e32 v27, 3, v20
	v_sub_u32_e32 v25, 29, v28
	v_and_b32_e32 v24, 7, v24
	v_cmp_gt_u32_e32 vcc, 8, v20
	v_cndmask_b32_e32 v20, v27, v25, vcc
	v_cndmask_b32_e32 v24, v26, v24, vcc
	v_lshlrev_b32_e32 v18, 24, v18
	v_bfrev_b32_e32 v25, 60
	v_lshlrev_b32_e32 v24, 20, v24
	v_and_b32_e32 v18, 0x80000000, v18
	v_lshl_add_u32 v20, v20, 23, v25
	v_or3_b32 v18, v18, v20, v24
	v_lshrrev_b32_e32 v24, 16, v18
.LBB797_512:
	s_or_b64 exec, exec, s[22:23]
.LBB797_513:
	s_or_b64 exec, exec, s[20:21]
.LBB797_514:
	s_or_b64 exec, exec, s[10:11]
	v_mov_b32_e32 v25, 0
	v_mov_b32_e32 v18, v15
	v_cmp_ne_u16_sdwa s[20:21], v15, v25 src0_sel:BYTE_0 src1_sel:DWORD
	v_mov_b32_e32 v26, 0
	s_and_saveexec_b64 s[10:11], s[20:21]
	s_cbranch_execz .LBB797_520
; %bb.515:
	s_movk_i32 s20, 0x80
	v_cmp_ne_u16_sdwa s[22:23], v15, s20 src0_sel:BYTE_0 src1_sel:DWORD
	v_mov_b32_e32 v26, 0xffff8000
	s_and_saveexec_b64 s[20:21], s[22:23]
	s_cbranch_execz .LBB797_519
; %bb.516:
	s_movk_i32 s22, 0x7f
	v_and_b32_e32 v20, 0x7f, v15
	v_cmp_ne_u32_e32 vcc, s22, v20
	v_mov_b32_e32 v26, 0x7f80
	s_and_saveexec_b64 s[22:23], vcc
	s_cbranch_execz .LBB797_518
; %bb.517:
	v_and_b32_e32 v26, 7, v15
	v_ffbh_u32_e32 v26, v26
	v_min_u32_e32 v26, 32, v26
	v_lshrrev_b32_e32 v27, 3, v20
	v_subrev_u32_e32 v28, 28, v26
	v_sub_u32_e32 v26, 29, v26
	v_cmp_gt_u32_e32 vcc, 8, v20
	v_cndmask_b32_e32 v20, v27, v26, vcc
	v_cndmask_b32_e32 v26, 0, v28, vcc
	v_lshlrev_b64 v[26:27], v26, v[18:19]
	v_lshlrev_b32_e32 v19, 20, v26
	v_lshlrev_b32_e32 v26, 24, v18
	v_bfrev_b32_e32 v27, 60
	v_and_b32_e32 v19, 0x700000, v19
	v_and_b32_e32 v26, 0x80000000, v26
	v_lshl_add_u32 v20, v20, 23, v27
	v_or3_b32 v19, v26, v20, v19
	v_lshrrev_b32_e32 v26, 16, v19
.LBB797_518:
	s_or_b64 exec, exec, s[22:23]
.LBB797_519:
	s_or_b64 exec, exec, s[20:21]
.LBB797_520:
	s_or_b64 exec, exec, s[10:11]
	v_lshrrev_b16_e32 v20, 8, v18
	v_cmp_ne_u16_e32 vcc, 0, v20
	s_and_saveexec_b64 s[10:11], vcc
	s_cbranch_execz .LBB797_526
; %bb.521:
	s_movk_i32 s20, 0x80
	v_cmp_ne_u16_e32 vcc, s20, v20
	v_mov_b32_e32 v25, 0xffff8000
	s_and_saveexec_b64 s[20:21], vcc
	s_cbranch_execz .LBB797_525
; %bb.522:
	s_movk_i32 s22, 0x7f
	v_and_b32_e32 v19, 0x7f, v20
	v_cmp_ne_u32_e32 vcc, s22, v19
	v_mov_b32_e32 v25, 0x7f80
	s_and_saveexec_b64 s[22:23], vcc
	s_cbranch_execz .LBB797_524
; %bb.523:
	v_and_b32_e32 v25, 7, v20
	v_ffbh_u32_e32 v28, v25
	v_min_u32_e32 v30, 32, v28
	v_subrev_u32_e32 v28, 28, v30
	v_lshlrev_b64 v[28:29], v28, v[20:21]
	v_lshrrev_b32_e32 v27, 3, v19
	v_sub_u32_e32 v20, 29, v30
	v_and_b32_e32 v28, 7, v28
	v_cmp_gt_u32_e32 vcc, 8, v19
	v_cndmask_b32_e32 v19, v27, v20, vcc
	v_cndmask_b32_e32 v20, v25, v28, vcc
	v_lshlrev_b32_e32 v18, 16, v18
	v_bfrev_b32_e32 v25, 60
	v_lshlrev_b32_e32 v20, 20, v20
	v_and_b32_e32 v18, 0x80000000, v18
	v_lshl_add_u32 v19, v19, 23, v25
	v_or3_b32 v18, v18, v19, v20
	v_lshrrev_b32_e32 v25, 16, v18
.LBB797_524:
	s_or_b64 exec, exec, s[22:23]
.LBB797_525:
	s_or_b64 exec, exec, s[20:21]
.LBB797_526:
	s_or_b64 exec, exec, s[10:11]
	s_movk_i32 s10, 0xff
	v_and_b32_sdwa v27, v15, s10 dst_sel:DWORD dst_unused:UNUSED_PAD src0_sel:WORD_1 src1_sel:DWORD
	v_lshrrev_b32_e32 v18, 16, v15
	v_cmp_ne_u16_e32 vcc, 0, v27
	v_mov_b32_e32 v19, 0
	v_mov_b32_e32 v20, 0
	s_and_saveexec_b64 s[10:11], vcc
	s_cbranch_execz .LBB797_532
; %bb.527:
	s_movk_i32 s20, 0x80
	v_cmp_ne_u16_e32 vcc, s20, v27
	v_mov_b32_e32 v20, 0xffff8000
	s_and_saveexec_b64 s[20:21], vcc
	s_cbranch_execz .LBB797_531
; %bb.528:
	v_bfe_u32 v27, v15, 16, 7
	s_movk_i32 s22, 0x7f
	v_cmp_ne_u32_e32 vcc, s22, v27
	v_mov_b32_e32 v20, 0x7f80
	s_and_saveexec_b64 s[22:23], vcc
	s_cbranch_execz .LBB797_530
; %bb.529:
	v_and_b32_e32 v20, 7, v18
	v_ffbh_u32_e32 v28, v20
	v_min_u32_e32 v31, 32, v28
	v_subrev_u32_e32 v28, 28, v31
	v_lshlrev_b64 v[28:29], v28, v[18:19]
	v_lshrrev_b32_e32 v30, 3, v27
	v_sub_u32_e32 v18, 29, v31
	v_and_b32_e32 v28, 7, v28
	v_cmp_gt_u32_e32 vcc, 8, v27
	v_mov_b32_e32 v27, 24
	v_cndmask_b32_e32 v18, v30, v18, vcc
	v_cndmask_b32_e32 v20, v20, v28, vcc
	v_lshlrev_b32_sdwa v27, v27, v15 dst_sel:DWORD dst_unused:UNUSED_PAD src0_sel:DWORD src1_sel:WORD_1
	v_bfrev_b32_e32 v28, 60
	v_lshlrev_b32_e32 v20, 20, v20
	v_and_b32_e32 v27, 0x80000000, v27
	v_lshl_add_u32 v18, v18, 23, v28
	v_or3_b32 v18, v27, v18, v20
	v_lshrrev_b32_e32 v20, 16, v18
.LBB797_530:
	s_or_b64 exec, exec, s[22:23]
.LBB797_531:
	s_or_b64 exec, exec, s[20:21]
.LBB797_532:
	s_or_b64 exec, exec, s[10:11]
	s_mov_b32 s10, -1
	s_mov_b32 s11, 0xffffff
	v_cmp_lt_u64_e32 vcc, s[10:11], v[14:15]
	s_and_saveexec_b64 s[10:11], vcc
	s_cbranch_execz .LBB797_538
; %bb.533:
	v_lshrrev_b32_e32 v14, 24, v15
	s_movk_i32 s20, 0x80
	v_cmp_ne_u32_e32 vcc, s20, v14
	v_mov_b32_e32 v19, 0xffff8000
	s_and_saveexec_b64 s[20:21], vcc
	s_cbranch_execz .LBB797_537
; %bb.534:
	v_bfe_u32 v15, v15, 24, 7
	s_movk_i32 s22, 0x7f
	v_cmp_ne_u32_e32 vcc, s22, v15
	v_mov_b32_e32 v19, 0x7f80
	s_and_saveexec_b64 s[22:23], vcc
	s_cbranch_execz .LBB797_536
; %bb.535:
	v_and_b32_e32 v27, 7, v14
	v_ffbh_u32_e32 v18, v27
	v_min_u32_e32 v29, 32, v18
	v_subrev_u32_e32 v18, 28, v29
	v_lshlrev_b64 v[18:19], v18, v[14:15]
	v_lshrrev_b32_e32 v28, 3, v15
	v_sub_u32_e32 v19, 29, v29
	v_and_b32_e32 v18, 7, v18
	v_cmp_gt_u32_e32 vcc, 8, v15
	v_cndmask_b32_e32 v15, v28, v19, vcc
	v_cndmask_b32_e32 v18, v27, v18, vcc
	v_lshlrev_b32_e32 v14, 24, v14
	v_bfrev_b32_e32 v19, 60
	v_lshlrev_b32_e32 v18, 20, v18
	v_and_b32_e32 v14, 0x80000000, v14
	v_lshl_add_u32 v15, v15, 23, v19
	v_or3_b32 v14, v14, v15, v18
	v_lshrrev_b32_e32 v19, 16, v14
.LBB797_536:
	s_or_b64 exec, exec, s[22:23]
.LBB797_537:
	s_or_b64 exec, exec, s[20:21]
.LBB797_538:
	s_or_b64 exec, exec, s[10:11]
	s_mov_b32 s10, 0x5040100
	v_perm_b32 v15, v24, v23, s10
	v_perm_b32 v14, v21, v22, s10
	;; [unrolled: 1-line block ×4, first 2 shown]
	v_mfma_f32_4x4x4bf16_1k a[0:3], v[2:3], v[14:15], a[0:3] cbsz:4 abid:10
	v_mov_b32_e32 v20, 0
	v_mfma_f32_4x4x4bf16_1k a[0:3], v[4:5], v[18:19], a[0:3] cbsz:4 abid:10
	v_mov_b32_e32 v19, 0
	v_cmp_ne_u16_sdwa s[20:21], v16, v19 src0_sel:BYTE_0 src1_sel:DWORD
	s_and_saveexec_b64 s[10:11], s[20:21]
	s_cbranch_execz .LBB797_544
; %bb.539:
	s_movk_i32 s20, 0x80
	v_cmp_ne_u16_sdwa s[22:23], v16, s20 src0_sel:BYTE_0 src1_sel:DWORD
	v_mov_b32_e32 v20, 0xffff8000
	s_and_saveexec_b64 s[20:21], s[22:23]
	s_cbranch_execz .LBB797_543
; %bb.540:
	s_movk_i32 s22, 0x7f
	v_and_b32_e32 v14, 0x7f, v16
	v_cmp_ne_u32_e32 vcc, s22, v14
	v_mov_b32_e32 v20, 0x7f80
	s_and_saveexec_b64 s[22:23], vcc
	s_cbranch_execz .LBB797_542
; %bb.541:
	v_and_b32_e32 v15, 7, v16
	v_ffbh_u32_e32 v15, v15
	v_min_u32_e32 v15, 32, v15
	v_subrev_u32_e32 v20, 28, v15
	v_cmp_gt_u32_e32 vcc, 8, v14
	v_lshrrev_b32_e32 v18, 3, v14
	v_sub_u32_e32 v15, 29, v15
	v_cndmask_b32_e32 v14, 0, v20, vcc
	v_cndmask_b32_e32 v18, v18, v15, vcc
	v_lshlrev_b64 v[14:15], v14, v[16:17]
	v_lshlrev_b32_e32 v14, 20, v14
	v_lshlrev_b32_e32 v15, 24, v16
	v_bfrev_b32_e32 v20, 60
	v_and_b32_e32 v14, 0x700000, v14
	v_and_b32_e32 v15, 0x80000000, v15
	v_lshl_add_u32 v18, v18, 23, v20
	v_or3_b32 v14, v15, v18, v14
	v_lshrrev_b32_e32 v20, 16, v14
.LBB797_542:
	s_or_b64 exec, exec, s[22:23]
.LBB797_543:
	s_or_b64 exec, exec, s[20:21]
.LBB797_544:
	s_or_b64 exec, exec, s[10:11]
	v_lshrrev_b16_e32 v14, 8, v16
	v_cmp_ne_u16_e32 vcc, 0, v14
	s_and_saveexec_b64 s[10:11], vcc
	s_cbranch_execz .LBB797_550
; %bb.545:
	s_movk_i32 s20, 0x80
	v_cmp_ne_u16_e32 vcc, s20, v14
	v_mov_b32_e32 v19, 0xffff8000
	s_and_saveexec_b64 s[20:21], vcc
	s_cbranch_execz .LBB797_549
; %bb.546:
	s_movk_i32 s22, 0x7f
	v_and_b32_e32 v15, 0x7f, v14
	v_cmp_ne_u32_e32 vcc, s22, v15
	v_mov_b32_e32 v19, 0x7f80
	s_and_saveexec_b64 s[22:23], vcc
	s_cbranch_execz .LBB797_548
; %bb.547:
	v_and_b32_e32 v21, 7, v14
	v_ffbh_u32_e32 v18, v21
	v_min_u32_e32 v23, 32, v18
	v_subrev_u32_e32 v18, 28, v23
	v_lshlrev_b64 v[18:19], v18, v[14:15]
	v_lshrrev_b32_e32 v22, 3, v15
	v_sub_u32_e32 v14, 29, v23
	v_and_b32_e32 v18, 7, v18
	v_cmp_gt_u32_e32 vcc, 8, v15
	v_cndmask_b32_e32 v14, v22, v14, vcc
	v_cndmask_b32_e32 v15, v21, v18, vcc
	v_lshlrev_b32_e32 v18, 16, v16
	v_bfrev_b32_e32 v19, 60
	v_lshlrev_b32_e32 v15, 20, v15
	v_and_b32_e32 v18, 0x80000000, v18
	v_lshl_add_u32 v14, v14, 23, v19
	v_or3_b32 v14, v18, v14, v15
	v_lshrrev_b32_e32 v19, 16, v14
.LBB797_548:
	s_or_b64 exec, exec, s[22:23]
.LBB797_549:
	s_or_b64 exec, exec, s[20:21]
.LBB797_550:
	s_or_b64 exec, exec, s[10:11]
	s_movk_i32 s10, 0xff
	v_and_b32_sdwa v18, v16, s10 dst_sel:DWORD dst_unused:UNUSED_PAD src0_sel:WORD_1 src1_sel:DWORD
	v_lshrrev_b32_e32 v14, 16, v16
	v_cmp_ne_u16_e32 vcc, 0, v18
	v_mov_b32_e32 v15, 0
	v_mov_b32_e32 v21, 0
	s_and_saveexec_b64 s[10:11], vcc
	s_cbranch_execz .LBB797_556
; %bb.551:
	s_movk_i32 s20, 0x80
	v_cmp_ne_u16_e32 vcc, s20, v18
	v_mov_b32_e32 v21, 0xffff8000
	s_and_saveexec_b64 s[20:21], vcc
	s_cbranch_execz .LBB797_555
; %bb.552:
	v_bfe_u32 v18, v16, 16, 7
	s_movk_i32 s22, 0x7f
	v_cmp_ne_u32_e32 vcc, s22, v18
	v_mov_b32_e32 v21, 0x7f80
	s_and_saveexec_b64 s[22:23], vcc
	s_cbranch_execz .LBB797_554
; %bb.553:
	v_and_b32_e32 v21, 7, v14
	v_ffbh_u32_e32 v22, v21
	v_min_u32_e32 v25, 32, v22
	v_subrev_u32_e32 v22, 28, v25
	v_lshlrev_b64 v[22:23], v22, v[14:15]
	v_and_b32_e32 v22, 7, v22
	v_cmp_gt_u32_e32 vcc, 8, v18
	v_lshrrev_b32_e32 v24, 3, v18
	v_sub_u32_e32 v14, 29, v25
	v_cndmask_b32_e32 v18, v21, v22, vcc
	v_mov_b32_e32 v21, 24
	v_cndmask_b32_e32 v14, v24, v14, vcc
	v_lshlrev_b32_sdwa v21, v21, v16 dst_sel:DWORD dst_unused:UNUSED_PAD src0_sel:DWORD src1_sel:WORD_1
	v_bfrev_b32_e32 v22, 60
	v_lshlrev_b32_e32 v18, 20, v18
	v_and_b32_e32 v21, 0x80000000, v21
	v_lshl_add_u32 v14, v14, 23, v22
	v_or3_b32 v14, v21, v14, v18
	v_lshrrev_b32_e32 v21, 16, v14
.LBB797_554:
	s_or_b64 exec, exec, s[22:23]
.LBB797_555:
	s_or_b64 exec, exec, s[20:21]
.LBB797_556:
	s_or_b64 exec, exec, s[10:11]
	s_mov_b32 s10, 0xffffff
	v_cmp_lt_u32_e32 vcc, s10, v16
	v_mov_b32_e32 v22, 0
	s_and_saveexec_b64 s[10:11], vcc
	s_cbranch_execz .LBB797_562
; %bb.557:
	v_lshrrev_b32_e32 v14, 24, v16
	s_movk_i32 s20, 0x80
	v_cmp_ne_u32_e32 vcc, s20, v14
	v_mov_b32_e32 v22, 0xffff8000
	s_and_saveexec_b64 s[20:21], vcc
	s_cbranch_execz .LBB797_561
; %bb.558:
	v_bfe_u32 v18, v16, 24, 7
	s_movk_i32 s22, 0x7f
	v_cmp_ne_u32_e32 vcc, s22, v18
	v_mov_b32_e32 v22, 0x7f80
	s_and_saveexec_b64 s[22:23], vcc
	s_cbranch_execz .LBB797_560
; %bb.559:
	v_and_b32_e32 v24, 7, v14
	v_ffbh_u32_e32 v22, v24
	v_min_u32_e32 v26, 32, v22
	v_subrev_u32_e32 v22, 28, v26
	v_lshlrev_b64 v[22:23], v22, v[14:15]
	v_lshrrev_b32_e32 v25, 3, v18
	v_sub_u32_e32 v23, 29, v26
	v_and_b32_e32 v22, 7, v22
	v_cmp_gt_u32_e32 vcc, 8, v18
	v_cndmask_b32_e32 v18, v25, v23, vcc
	v_cndmask_b32_e32 v22, v24, v22, vcc
	v_lshlrev_b32_e32 v14, 24, v14
	v_bfrev_b32_e32 v23, 60
	v_lshlrev_b32_e32 v22, 20, v22
	v_and_b32_e32 v14, 0x80000000, v14
	v_lshl_add_u32 v18, v18, 23, v23
	v_or3_b32 v14, v14, v18, v22
	v_lshrrev_b32_e32 v22, 16, v14
.LBB797_560:
	s_or_b64 exec, exec, s[22:23]
.LBB797_561:
	s_or_b64 exec, exec, s[20:21]
.LBB797_562:
	s_or_b64 exec, exec, s[10:11]
	v_mov_b32_e32 v23, 0
	v_mov_b32_e32 v14, v17
	v_cmp_ne_u16_sdwa s[20:21], v17, v23 src0_sel:BYTE_0 src1_sel:DWORD
	v_mov_b32_e32 v24, 0
	s_and_saveexec_b64 s[10:11], s[20:21]
	s_cbranch_execz .LBB797_568
; %bb.563:
	s_movk_i32 s20, 0x80
	v_cmp_ne_u16_sdwa s[22:23], v17, s20 src0_sel:BYTE_0 src1_sel:DWORD
	v_mov_b32_e32 v24, 0xffff8000
	s_and_saveexec_b64 s[20:21], s[22:23]
	s_cbranch_execz .LBB797_567
; %bb.564:
	s_movk_i32 s22, 0x7f
	v_and_b32_e32 v18, 0x7f, v17
	v_cmp_ne_u32_e32 vcc, s22, v18
	v_mov_b32_e32 v24, 0x7f80
	s_and_saveexec_b64 s[22:23], vcc
	s_cbranch_execz .LBB797_566
; %bb.565:
	v_and_b32_e32 v24, 7, v17
	v_ffbh_u32_e32 v24, v24
	v_min_u32_e32 v24, 32, v24
	v_lshrrev_b32_e32 v25, 3, v18
	v_subrev_u32_e32 v26, 28, v24
	v_sub_u32_e32 v24, 29, v24
	v_cmp_gt_u32_e32 vcc, 8, v18
	v_cndmask_b32_e32 v18, v25, v24, vcc
	v_cndmask_b32_e32 v24, 0, v26, vcc
	v_lshlrev_b64 v[24:25], v24, v[14:15]
	v_lshlrev_b32_e32 v15, 20, v24
	v_lshlrev_b32_e32 v24, 24, v14
	v_bfrev_b32_e32 v25, 60
	v_and_b32_e32 v15, 0x700000, v15
	v_and_b32_e32 v24, 0x80000000, v24
	v_lshl_add_u32 v18, v18, 23, v25
	v_or3_b32 v15, v24, v18, v15
	v_lshrrev_b32_e32 v24, 16, v15
.LBB797_566:
	s_or_b64 exec, exec, s[22:23]
.LBB797_567:
	s_or_b64 exec, exec, s[20:21]
.LBB797_568:
	s_or_b64 exec, exec, s[10:11]
	v_lshrrev_b16_e32 v18, 8, v14
	v_cmp_ne_u16_e32 vcc, 0, v18
	s_and_saveexec_b64 s[10:11], vcc
	s_cbranch_execz .LBB797_574
; %bb.569:
	s_movk_i32 s20, 0x80
	v_cmp_ne_u16_e32 vcc, s20, v18
	v_mov_b32_e32 v23, 0xffff8000
	s_and_saveexec_b64 s[20:21], vcc
	s_cbranch_execz .LBB797_573
; %bb.570:
	s_movk_i32 s22, 0x7f
	v_and_b32_e32 v15, 0x7f, v18
	v_cmp_ne_u32_e32 vcc, s22, v15
	v_mov_b32_e32 v23, 0x7f80
	s_and_saveexec_b64 s[22:23], vcc
	s_cbranch_execz .LBB797_572
; %bb.571:
	v_and_b32_e32 v23, 7, v18
	v_ffbh_u32_e32 v26, v23
	v_min_u32_e32 v28, 32, v26
	v_subrev_u32_e32 v26, 28, v28
	v_lshlrev_b64 v[26:27], v26, v[18:19]
	v_lshrrev_b32_e32 v25, 3, v15
	v_sub_u32_e32 v18, 29, v28
	v_and_b32_e32 v26, 7, v26
	v_cmp_gt_u32_e32 vcc, 8, v15
	v_cndmask_b32_e32 v15, v25, v18, vcc
	v_cndmask_b32_e32 v18, v23, v26, vcc
	v_lshlrev_b32_e32 v14, 16, v14
	v_bfrev_b32_e32 v23, 60
	v_lshlrev_b32_e32 v18, 20, v18
	v_and_b32_e32 v14, 0x80000000, v14
	v_lshl_add_u32 v15, v15, 23, v23
	v_or3_b32 v14, v14, v15, v18
	v_lshrrev_b32_e32 v23, 16, v14
.LBB797_572:
	s_or_b64 exec, exec, s[22:23]
.LBB797_573:
	s_or_b64 exec, exec, s[20:21]
.LBB797_574:
	s_or_b64 exec, exec, s[10:11]
	s_movk_i32 s10, 0xff
	v_and_b32_sdwa v25, v17, s10 dst_sel:DWORD dst_unused:UNUSED_PAD src0_sel:WORD_1 src1_sel:DWORD
	v_lshrrev_b32_e32 v14, 16, v17
	v_cmp_ne_u16_e32 vcc, 0, v25
	v_mov_b32_e32 v15, 0
	v_mov_b32_e32 v18, 0
	s_and_saveexec_b64 s[10:11], vcc
	s_cbranch_execz .LBB797_580
; %bb.575:
	s_movk_i32 s20, 0x80
	v_cmp_ne_u16_e32 vcc, s20, v25
	v_mov_b32_e32 v18, 0xffff8000
	s_and_saveexec_b64 s[20:21], vcc
	s_cbranch_execz .LBB797_579
; %bb.576:
	v_bfe_u32 v25, v17, 16, 7
	s_movk_i32 s22, 0x7f
	v_cmp_ne_u32_e32 vcc, s22, v25
	v_mov_b32_e32 v18, 0x7f80
	s_and_saveexec_b64 s[22:23], vcc
	s_cbranch_execz .LBB797_578
; %bb.577:
	v_and_b32_e32 v18, 7, v14
	v_ffbh_u32_e32 v26, v18
	v_min_u32_e32 v29, 32, v26
	v_subrev_u32_e32 v26, 28, v29
	v_lshlrev_b64 v[26:27], v26, v[14:15]
	v_lshrrev_b32_e32 v28, 3, v25
	v_sub_u32_e32 v14, 29, v29
	v_and_b32_e32 v26, 7, v26
	v_cmp_gt_u32_e32 vcc, 8, v25
	v_mov_b32_e32 v25, 24
	v_cndmask_b32_e32 v14, v28, v14, vcc
	v_cndmask_b32_e32 v18, v18, v26, vcc
	v_lshlrev_b32_sdwa v25, v25, v17 dst_sel:DWORD dst_unused:UNUSED_PAD src0_sel:DWORD src1_sel:WORD_1
	v_bfrev_b32_e32 v26, 60
	v_lshlrev_b32_e32 v18, 20, v18
	v_and_b32_e32 v25, 0x80000000, v25
	v_lshl_add_u32 v14, v14, 23, v26
	v_or3_b32 v14, v25, v14, v18
	v_lshrrev_b32_e32 v18, 16, v14
.LBB797_578:
	s_or_b64 exec, exec, s[22:23]
.LBB797_579:
	s_or_b64 exec, exec, s[20:21]
.LBB797_580:
	s_or_b64 exec, exec, s[10:11]
	s_mov_b32 s10, -1
	s_mov_b32 s11, 0xffffff
	v_cmp_lt_u64_e32 vcc, s[10:11], v[16:17]
	s_and_saveexec_b64 s[10:11], vcc
	s_cbranch_execz .LBB797_586
; %bb.581:
	v_lshrrev_b32_e32 v14, 24, v17
	s_movk_i32 s20, 0x80
	v_cmp_ne_u32_e32 vcc, s20, v14
	v_mov_b32_e32 v15, 0xffff8000
	s_and_saveexec_b64 s[20:21], vcc
	s_cbranch_execz .LBB797_585
; %bb.582:
	v_bfe_u32 v16, v17, 24, 7
	s_movk_i32 s22, 0x7f
	v_cmp_ne_u32_e32 vcc, s22, v16
	v_mov_b32_e32 v15, 0x7f80
	s_and_saveexec_b64 s[22:23], vcc
	s_cbranch_execz .LBB797_584
; %bb.583:
	v_and_b32_e32 v15, 7, v14
	v_ffbh_u32_e32 v25, v15
	v_min_u32_e32 v25, 32, v25
	v_subrev_u32_e32 v26, 28, v25
	v_lshlrev_b64 v[26:27], v26, v[14:15]
	v_lshrrev_b32_e32 v17, 3, v16
	v_sub_u32_e32 v25, 29, v25
	v_and_b32_e32 v26, 7, v26
	v_cmp_gt_u32_e32 vcc, 8, v16
	v_cndmask_b32_e32 v16, v17, v25, vcc
	v_cndmask_b32_e32 v15, v15, v26, vcc
	v_lshlrev_b32_e32 v14, 24, v14
	v_bfrev_b32_e32 v17, 60
	v_lshlrev_b32_e32 v15, 20, v15
	v_and_b32_e32 v14, 0x80000000, v14
	v_lshl_add_u32 v16, v16, 23, v17
	v_or3_b32 v14, v14, v16, v15
	v_lshrrev_b32_e32 v15, 16, v14
.LBB797_584:
	s_or_b64 exec, exec, s[22:23]
.LBB797_585:
	s_or_b64 exec, exec, s[20:21]
.LBB797_586:
	s_or_b64 exec, exec, s[10:11]
	s_mov_b32 s10, 0x5040100
	v_perm_b32 v17, v22, v21, s10
	v_perm_b32 v16, v19, v20, s10
	;; [unrolled: 1-line block ×4, first 2 shown]
	v_mfma_f32_4x4x4bf16_1k a[0:3], v[2:3], v[16:17], a[0:3] cbsz:4 abid:11
	v_mov_b32_e32 v17, 0
	v_mfma_f32_4x4x4bf16_1k a[0:3], v[4:5], v[14:15], a[0:3] cbsz:4 abid:11
	s_waitcnt vmcnt(17)
	v_cmp_ne_u16_sdwa s[20:21], v10, v17 src0_sel:BYTE_0 src1_sel:DWORD
	v_mov_b32_e32 v18, 0
	s_and_saveexec_b64 s[10:11], s[20:21]
	s_cbranch_execz .LBB797_592
; %bb.587:
	s_movk_i32 s20, 0x80
	v_cmp_ne_u16_sdwa s[22:23], v10, s20 src0_sel:BYTE_0 src1_sel:DWORD
	v_mov_b32_e32 v18, 0xffff8000
	s_and_saveexec_b64 s[20:21], s[22:23]
	s_cbranch_execz .LBB797_591
; %bb.588:
	s_movk_i32 s22, 0x7f
	v_and_b32_e32 v14, 0x7f, v10
	v_cmp_ne_u32_e32 vcc, s22, v14
	v_mov_b32_e32 v18, 0x7f80
	s_and_saveexec_b64 s[22:23], vcc
	s_cbranch_execz .LBB797_590
; %bb.589:
	v_and_b32_e32 v15, 7, v10
	v_ffbh_u32_e32 v15, v15
	v_min_u32_e32 v15, 32, v15
	v_subrev_u32_e32 v18, 28, v15
	v_cmp_gt_u32_e32 vcc, 8, v14
	v_lshrrev_b32_e32 v16, 3, v14
	v_sub_u32_e32 v15, 29, v15
	v_cndmask_b32_e32 v14, 0, v18, vcc
	v_cndmask_b32_e32 v16, v16, v15, vcc
	v_lshlrev_b64 v[14:15], v14, v[10:11]
	v_lshlrev_b32_e32 v14, 20, v14
	v_lshlrev_b32_e32 v15, 24, v10
	v_bfrev_b32_e32 v18, 60
	v_and_b32_e32 v14, 0x700000, v14
	v_and_b32_e32 v15, 0x80000000, v15
	v_lshl_add_u32 v16, v16, 23, v18
	v_or3_b32 v14, v15, v16, v14
	v_lshrrev_b32_e32 v18, 16, v14
.LBB797_590:
	s_or_b64 exec, exec, s[22:23]
.LBB797_591:
	s_or_b64 exec, exec, s[20:21]
.LBB797_592:
	s_or_b64 exec, exec, s[10:11]
	v_lshrrev_b16_e32 v14, 8, v10
	v_cmp_ne_u16_e32 vcc, 0, v14
	s_and_saveexec_b64 s[10:11], vcc
	s_cbranch_execz .LBB797_598
; %bb.593:
	s_movk_i32 s20, 0x80
	v_cmp_ne_u16_e32 vcc, s20, v14
	v_mov_b32_e32 v17, 0xffff8000
	s_and_saveexec_b64 s[20:21], vcc
	s_cbranch_execz .LBB797_597
; %bb.594:
	s_movk_i32 s22, 0x7f
	v_and_b32_e32 v15, 0x7f, v14
	v_cmp_ne_u32_e32 vcc, s22, v15
	v_mov_b32_e32 v17, 0x7f80
	s_and_saveexec_b64 s[22:23], vcc
	s_cbranch_execz .LBB797_596
; %bb.595:
	v_and_b32_e32 v19, 7, v14
	v_ffbh_u32_e32 v16, v19
	v_min_u32_e32 v21, 32, v16
	v_subrev_u32_e32 v16, 28, v21
	v_lshlrev_b64 v[16:17], v16, v[14:15]
	v_lshrrev_b32_e32 v20, 3, v15
	v_sub_u32_e32 v14, 29, v21
	v_and_b32_e32 v16, 7, v16
	v_cmp_gt_u32_e32 vcc, 8, v15
	v_cndmask_b32_e32 v14, v20, v14, vcc
	v_cndmask_b32_e32 v15, v19, v16, vcc
	v_lshlrev_b32_e32 v16, 16, v10
	v_bfrev_b32_e32 v17, 60
	v_lshlrev_b32_e32 v15, 20, v15
	v_and_b32_e32 v16, 0x80000000, v16
	v_lshl_add_u32 v14, v14, 23, v17
	v_or3_b32 v14, v16, v14, v15
	v_lshrrev_b32_e32 v17, 16, v14
.LBB797_596:
	s_or_b64 exec, exec, s[22:23]
.LBB797_597:
	s_or_b64 exec, exec, s[20:21]
.LBB797_598:
	s_or_b64 exec, exec, s[10:11]
	s_movk_i32 s10, 0xff
	v_and_b32_sdwa v16, v10, s10 dst_sel:DWORD dst_unused:UNUSED_PAD src0_sel:WORD_1 src1_sel:DWORD
	v_lshrrev_b32_e32 v14, 16, v10
	v_cmp_ne_u16_e32 vcc, 0, v16
	v_mov_b32_e32 v15, 0
	v_mov_b32_e32 v19, 0
	s_and_saveexec_b64 s[10:11], vcc
	s_cbranch_execz .LBB797_604
; %bb.599:
	s_movk_i32 s20, 0x80
	v_cmp_ne_u16_e32 vcc, s20, v16
	v_mov_b32_e32 v19, 0xffff8000
	s_and_saveexec_b64 s[20:21], vcc
	s_cbranch_execz .LBB797_603
; %bb.600:
	v_bfe_u32 v16, v10, 16, 7
	s_movk_i32 s22, 0x7f
	v_cmp_ne_u32_e32 vcc, s22, v16
	v_mov_b32_e32 v19, 0x7f80
	s_and_saveexec_b64 s[22:23], vcc
	s_cbranch_execz .LBB797_602
; %bb.601:
	v_and_b32_e32 v19, 7, v14
	v_ffbh_u32_e32 v20, v19
	v_min_u32_e32 v23, 32, v20
	v_subrev_u32_e32 v20, 28, v23
	v_lshlrev_b64 v[20:21], v20, v[14:15]
	v_and_b32_e32 v20, 7, v20
	v_cmp_gt_u32_e32 vcc, 8, v16
	v_lshrrev_b32_e32 v22, 3, v16
	v_sub_u32_e32 v14, 29, v23
	v_cndmask_b32_e32 v16, v19, v20, vcc
	v_mov_b32_e32 v19, 24
	v_cndmask_b32_e32 v14, v22, v14, vcc
	v_lshlrev_b32_sdwa v19, v19, v10 dst_sel:DWORD dst_unused:UNUSED_PAD src0_sel:DWORD src1_sel:WORD_1
	v_bfrev_b32_e32 v20, 60
	v_lshlrev_b32_e32 v16, 20, v16
	v_and_b32_e32 v19, 0x80000000, v19
	v_lshl_add_u32 v14, v14, 23, v20
	v_or3_b32 v14, v19, v14, v16
	v_lshrrev_b32_e32 v19, 16, v14
.LBB797_602:
	s_or_b64 exec, exec, s[22:23]
.LBB797_603:
	s_or_b64 exec, exec, s[20:21]
.LBB797_604:
	s_or_b64 exec, exec, s[10:11]
	s_mov_b32 s10, 0xffffff
	v_cmp_lt_u32_e32 vcc, s10, v10
	v_mov_b32_e32 v20, 0
	s_and_saveexec_b64 s[10:11], vcc
	s_cbranch_execz .LBB797_610
; %bb.605:
	v_lshrrev_b32_e32 v14, 24, v10
	s_movk_i32 s20, 0x80
	v_cmp_ne_u32_e32 vcc, s20, v14
	v_mov_b32_e32 v20, 0xffff8000
	s_and_saveexec_b64 s[20:21], vcc
	s_cbranch_execz .LBB797_609
; %bb.606:
	v_bfe_u32 v16, v10, 24, 7
	s_movk_i32 s22, 0x7f
	v_cmp_ne_u32_e32 vcc, s22, v16
	v_mov_b32_e32 v20, 0x7f80
	s_and_saveexec_b64 s[22:23], vcc
	s_cbranch_execz .LBB797_608
; %bb.607:
	v_and_b32_e32 v22, 7, v14
	v_ffbh_u32_e32 v20, v22
	v_min_u32_e32 v24, 32, v20
	v_subrev_u32_e32 v20, 28, v24
	v_lshlrev_b64 v[20:21], v20, v[14:15]
	v_lshrrev_b32_e32 v23, 3, v16
	v_sub_u32_e32 v21, 29, v24
	v_and_b32_e32 v20, 7, v20
	v_cmp_gt_u32_e32 vcc, 8, v16
	v_cndmask_b32_e32 v16, v23, v21, vcc
	v_cndmask_b32_e32 v20, v22, v20, vcc
	v_lshlrev_b32_e32 v14, 24, v14
	v_bfrev_b32_e32 v21, 60
	v_lshlrev_b32_e32 v20, 20, v20
	v_and_b32_e32 v14, 0x80000000, v14
	v_lshl_add_u32 v16, v16, 23, v21
	v_or3_b32 v14, v14, v16, v20
	v_lshrrev_b32_e32 v20, 16, v14
.LBB797_608:
	s_or_b64 exec, exec, s[22:23]
.LBB797_609:
	s_or_b64 exec, exec, s[20:21]
.LBB797_610:
	s_or_b64 exec, exec, s[10:11]
	v_mov_b32_e32 v21, 0
	v_mov_b32_e32 v14, v11
	v_cmp_ne_u16_sdwa s[20:21], v11, v21 src0_sel:BYTE_0 src1_sel:DWORD
	v_mov_b32_e32 v22, 0
	s_and_saveexec_b64 s[10:11], s[20:21]
	s_cbranch_execz .LBB797_616
; %bb.611:
	s_movk_i32 s20, 0x80
	v_cmp_ne_u16_sdwa s[22:23], v11, s20 src0_sel:BYTE_0 src1_sel:DWORD
	v_mov_b32_e32 v22, 0xffff8000
	s_and_saveexec_b64 s[20:21], s[22:23]
	s_cbranch_execz .LBB797_615
; %bb.612:
	s_movk_i32 s22, 0x7f
	v_and_b32_e32 v16, 0x7f, v11
	v_cmp_ne_u32_e32 vcc, s22, v16
	v_mov_b32_e32 v22, 0x7f80
	s_and_saveexec_b64 s[22:23], vcc
	s_cbranch_execz .LBB797_614
; %bb.613:
	v_and_b32_e32 v22, 7, v11
	v_ffbh_u32_e32 v22, v22
	v_min_u32_e32 v22, 32, v22
	v_lshrrev_b32_e32 v23, 3, v16
	v_subrev_u32_e32 v24, 28, v22
	v_sub_u32_e32 v22, 29, v22
	v_cmp_gt_u32_e32 vcc, 8, v16
	v_cndmask_b32_e32 v16, v23, v22, vcc
	v_cndmask_b32_e32 v22, 0, v24, vcc
	v_lshlrev_b64 v[22:23], v22, v[14:15]
	v_lshlrev_b32_e32 v15, 20, v22
	v_lshlrev_b32_e32 v22, 24, v14
	v_bfrev_b32_e32 v23, 60
	v_and_b32_e32 v15, 0x700000, v15
	v_and_b32_e32 v22, 0x80000000, v22
	v_lshl_add_u32 v16, v16, 23, v23
	v_or3_b32 v15, v22, v16, v15
	v_lshrrev_b32_e32 v22, 16, v15
.LBB797_614:
	s_or_b64 exec, exec, s[22:23]
.LBB797_615:
	s_or_b64 exec, exec, s[20:21]
.LBB797_616:
	s_or_b64 exec, exec, s[10:11]
	v_lshrrev_b16_e32 v16, 8, v14
	v_cmp_ne_u16_e32 vcc, 0, v16
	s_and_saveexec_b64 s[10:11], vcc
	s_cbranch_execz .LBB797_622
; %bb.617:
	s_movk_i32 s20, 0x80
	v_cmp_ne_u16_e32 vcc, s20, v16
	v_mov_b32_e32 v21, 0xffff8000
	s_and_saveexec_b64 s[20:21], vcc
	s_cbranch_execz .LBB797_621
; %bb.618:
	s_movk_i32 s22, 0x7f
	v_and_b32_e32 v15, 0x7f, v16
	v_cmp_ne_u32_e32 vcc, s22, v15
	v_mov_b32_e32 v21, 0x7f80
	s_and_saveexec_b64 s[22:23], vcc
	s_cbranch_execz .LBB797_620
; %bb.619:
	v_and_b32_e32 v21, 7, v16
	v_ffbh_u32_e32 v24, v21
	v_min_u32_e32 v26, 32, v24
	v_subrev_u32_e32 v24, 28, v26
	v_lshlrev_b64 v[24:25], v24, v[16:17]
	v_lshrrev_b32_e32 v23, 3, v15
	v_sub_u32_e32 v16, 29, v26
	v_and_b32_e32 v24, 7, v24
	v_cmp_gt_u32_e32 vcc, 8, v15
	v_cndmask_b32_e32 v15, v23, v16, vcc
	v_cndmask_b32_e32 v16, v21, v24, vcc
	v_lshlrev_b32_e32 v14, 16, v14
	v_bfrev_b32_e32 v21, 60
	v_lshlrev_b32_e32 v16, 20, v16
	v_and_b32_e32 v14, 0x80000000, v14
	v_lshl_add_u32 v15, v15, 23, v21
	v_or3_b32 v14, v14, v15, v16
	v_lshrrev_b32_e32 v21, 16, v14
.LBB797_620:
	s_or_b64 exec, exec, s[22:23]
.LBB797_621:
	s_or_b64 exec, exec, s[20:21]
.LBB797_622:
	s_or_b64 exec, exec, s[10:11]
	s_movk_i32 s10, 0xff
	v_and_b32_sdwa v23, v11, s10 dst_sel:DWORD dst_unused:UNUSED_PAD src0_sel:WORD_1 src1_sel:DWORD
	v_lshrrev_b32_e32 v14, 16, v11
	v_cmp_ne_u16_e32 vcc, 0, v23
	v_mov_b32_e32 v15, 0
	v_mov_b32_e32 v16, 0
	s_and_saveexec_b64 s[10:11], vcc
	s_cbranch_execz .LBB797_628
; %bb.623:
	s_movk_i32 s20, 0x80
	v_cmp_ne_u16_e32 vcc, s20, v23
	v_mov_b32_e32 v16, 0xffff8000
	s_and_saveexec_b64 s[20:21], vcc
	s_cbranch_execz .LBB797_627
; %bb.624:
	v_bfe_u32 v23, v11, 16, 7
	s_movk_i32 s22, 0x7f
	v_cmp_ne_u32_e32 vcc, s22, v23
	v_mov_b32_e32 v16, 0x7f80
	s_and_saveexec_b64 s[22:23], vcc
	s_cbranch_execz .LBB797_626
; %bb.625:
	v_and_b32_e32 v16, 7, v14
	v_ffbh_u32_e32 v24, v16
	v_min_u32_e32 v27, 32, v24
	v_subrev_u32_e32 v24, 28, v27
	v_lshlrev_b64 v[24:25], v24, v[14:15]
	v_lshrrev_b32_e32 v26, 3, v23
	v_sub_u32_e32 v14, 29, v27
	v_and_b32_e32 v24, 7, v24
	v_cmp_gt_u32_e32 vcc, 8, v23
	v_mov_b32_e32 v23, 24
	v_cndmask_b32_e32 v14, v26, v14, vcc
	v_cndmask_b32_e32 v16, v16, v24, vcc
	v_lshlrev_b32_sdwa v23, v23, v11 dst_sel:DWORD dst_unused:UNUSED_PAD src0_sel:DWORD src1_sel:WORD_1
	v_bfrev_b32_e32 v24, 60
	v_lshlrev_b32_e32 v16, 20, v16
	v_and_b32_e32 v23, 0x80000000, v23
	v_lshl_add_u32 v14, v14, 23, v24
	v_or3_b32 v14, v23, v14, v16
	v_lshrrev_b32_e32 v16, 16, v14
.LBB797_626:
	s_or_b64 exec, exec, s[22:23]
.LBB797_627:
	s_or_b64 exec, exec, s[20:21]
.LBB797_628:
	s_or_b64 exec, exec, s[10:11]
	s_mov_b32 s10, -1
	s_mov_b32 s11, 0xffffff
	v_cmp_lt_u64_e32 vcc, s[10:11], v[10:11]
	s_and_saveexec_b64 s[10:11], vcc
	s_cbranch_execz .LBB797_634
; %bb.629:
	v_lshrrev_b32_e32 v10, 24, v11
	s_movk_i32 s20, 0x80
	v_cmp_ne_u32_e32 vcc, s20, v10
	v_mov_b32_e32 v15, 0xffff8000
	s_and_saveexec_b64 s[20:21], vcc
	s_cbranch_execz .LBB797_633
; %bb.630:
	v_bfe_u32 v11, v11, 24, 7
	s_movk_i32 s22, 0x7f
	v_cmp_ne_u32_e32 vcc, s22, v11
	v_mov_b32_e32 v15, 0x7f80
	s_and_saveexec_b64 s[22:23], vcc
	s_cbranch_execz .LBB797_632
; %bb.631:
	v_and_b32_e32 v23, 7, v10
	v_ffbh_u32_e32 v14, v23
	v_min_u32_e32 v25, 32, v14
	v_subrev_u32_e32 v14, 28, v25
	v_lshlrev_b64 v[14:15], v14, v[10:11]
	v_lshrrev_b32_e32 v24, 3, v11
	v_sub_u32_e32 v15, 29, v25
	v_and_b32_e32 v14, 7, v14
	v_cmp_gt_u32_e32 vcc, 8, v11
	v_cndmask_b32_e32 v11, v24, v15, vcc
	v_cndmask_b32_e32 v14, v23, v14, vcc
	v_lshlrev_b32_e32 v10, 24, v10
	v_bfrev_b32_e32 v15, 60
	v_lshlrev_b32_e32 v14, 20, v14
	v_and_b32_e32 v10, 0x80000000, v10
	v_lshl_add_u32 v11, v11, 23, v15
	v_or3_b32 v10, v10, v11, v14
	v_lshrrev_b32_e32 v15, 16, v10
.LBB797_632:
	s_or_b64 exec, exec, s[22:23]
.LBB797_633:
	s_or_b64 exec, exec, s[20:21]
.LBB797_634:
	s_or_b64 exec, exec, s[10:11]
	s_mov_b32 s10, 0x5040100
	v_perm_b32 v11, v20, v19, s10
	v_perm_b32 v10, v17, v18, s10
	;; [unrolled: 1-line block ×4, first 2 shown]
	v_mfma_f32_4x4x4bf16_1k a[0:3], v[2:3], v[10:11], a[0:3] cbsz:4 abid:12
	v_mov_b32_e32 v16, 0
	v_mfma_f32_4x4x4bf16_1k a[0:3], v[4:5], v[14:15], a[0:3] cbsz:4 abid:12
	v_mov_b32_e32 v15, 0
	v_cmp_ne_u16_sdwa s[20:21], v12, v15 src0_sel:BYTE_0 src1_sel:DWORD
	s_and_saveexec_b64 s[10:11], s[20:21]
	s_cbranch_execz .LBB797_640
; %bb.635:
	s_movk_i32 s20, 0x80
	v_cmp_ne_u16_sdwa s[22:23], v12, s20 src0_sel:BYTE_0 src1_sel:DWORD
	v_mov_b32_e32 v16, 0xffff8000
	s_and_saveexec_b64 s[20:21], s[22:23]
	s_cbranch_execz .LBB797_639
; %bb.636:
	s_movk_i32 s22, 0x7f
	v_and_b32_e32 v10, 0x7f, v12
	v_cmp_ne_u32_e32 vcc, s22, v10
	v_mov_b32_e32 v16, 0x7f80
	s_and_saveexec_b64 s[22:23], vcc
	s_cbranch_execz .LBB797_638
; %bb.637:
	v_and_b32_e32 v11, 7, v12
	v_ffbh_u32_e32 v11, v11
	v_min_u32_e32 v11, 32, v11
	v_subrev_u32_e32 v16, 28, v11
	v_cmp_gt_u32_e32 vcc, 8, v10
	v_lshrrev_b32_e32 v14, 3, v10
	v_sub_u32_e32 v11, 29, v11
	v_cndmask_b32_e32 v10, 0, v16, vcc
	v_cndmask_b32_e32 v14, v14, v11, vcc
	v_lshlrev_b64 v[10:11], v10, v[12:13]
	v_lshlrev_b32_e32 v10, 20, v10
	v_lshlrev_b32_e32 v11, 24, v12
	v_bfrev_b32_e32 v16, 60
	v_and_b32_e32 v10, 0x700000, v10
	v_and_b32_e32 v11, 0x80000000, v11
	v_lshl_add_u32 v14, v14, 23, v16
	v_or3_b32 v10, v11, v14, v10
	v_lshrrev_b32_e32 v16, 16, v10
.LBB797_638:
	s_or_b64 exec, exec, s[22:23]
.LBB797_639:
	s_or_b64 exec, exec, s[20:21]
.LBB797_640:
	s_or_b64 exec, exec, s[10:11]
	v_lshrrev_b16_e32 v10, 8, v12
	v_cmp_ne_u16_e32 vcc, 0, v10
	s_and_saveexec_b64 s[10:11], vcc
	s_cbranch_execz .LBB797_646
; %bb.641:
	s_movk_i32 s20, 0x80
	v_cmp_ne_u16_e32 vcc, s20, v10
	v_mov_b32_e32 v15, 0xffff8000
	s_and_saveexec_b64 s[20:21], vcc
	s_cbranch_execz .LBB797_645
; %bb.642:
	s_movk_i32 s22, 0x7f
	v_and_b32_e32 v11, 0x7f, v10
	v_cmp_ne_u32_e32 vcc, s22, v11
	v_mov_b32_e32 v15, 0x7f80
	s_and_saveexec_b64 s[22:23], vcc
	s_cbranch_execz .LBB797_644
; %bb.643:
	v_and_b32_e32 v17, 7, v10
	v_ffbh_u32_e32 v14, v17
	v_min_u32_e32 v19, 32, v14
	v_subrev_u32_e32 v14, 28, v19
	v_lshlrev_b64 v[14:15], v14, v[10:11]
	v_lshrrev_b32_e32 v18, 3, v11
	v_sub_u32_e32 v10, 29, v19
	v_and_b32_e32 v14, 7, v14
	v_cmp_gt_u32_e32 vcc, 8, v11
	v_cndmask_b32_e32 v10, v18, v10, vcc
	v_cndmask_b32_e32 v11, v17, v14, vcc
	v_lshlrev_b32_e32 v14, 16, v12
	v_bfrev_b32_e32 v15, 60
	v_lshlrev_b32_e32 v11, 20, v11
	v_and_b32_e32 v14, 0x80000000, v14
	v_lshl_add_u32 v10, v10, 23, v15
	v_or3_b32 v10, v14, v10, v11
	v_lshrrev_b32_e32 v15, 16, v10
.LBB797_644:
	s_or_b64 exec, exec, s[22:23]
.LBB797_645:
	s_or_b64 exec, exec, s[20:21]
.LBB797_646:
	s_or_b64 exec, exec, s[10:11]
	s_movk_i32 s10, 0xff
	v_and_b32_sdwa v14, v12, s10 dst_sel:DWORD dst_unused:UNUSED_PAD src0_sel:WORD_1 src1_sel:DWORD
	v_lshrrev_b32_e32 v10, 16, v12
	v_cmp_ne_u16_e32 vcc, 0, v14
	v_mov_b32_e32 v11, 0
	v_mov_b32_e32 v17, 0
	s_and_saveexec_b64 s[10:11], vcc
	s_cbranch_execz .LBB797_652
; %bb.647:
	s_movk_i32 s20, 0x80
	v_cmp_ne_u16_e32 vcc, s20, v14
	v_mov_b32_e32 v17, 0xffff8000
	s_and_saveexec_b64 s[20:21], vcc
	s_cbranch_execz .LBB797_651
; %bb.648:
	v_bfe_u32 v14, v12, 16, 7
	s_movk_i32 s22, 0x7f
	v_cmp_ne_u32_e32 vcc, s22, v14
	v_mov_b32_e32 v17, 0x7f80
	s_and_saveexec_b64 s[22:23], vcc
	s_cbranch_execz .LBB797_650
; %bb.649:
	v_and_b32_e32 v17, 7, v10
	v_ffbh_u32_e32 v18, v17
	v_min_u32_e32 v21, 32, v18
	v_subrev_u32_e32 v18, 28, v21
	v_lshlrev_b64 v[18:19], v18, v[10:11]
	v_and_b32_e32 v18, 7, v18
	v_cmp_gt_u32_e32 vcc, 8, v14
	v_lshrrev_b32_e32 v20, 3, v14
	v_sub_u32_e32 v10, 29, v21
	v_cndmask_b32_e32 v14, v17, v18, vcc
	v_mov_b32_e32 v17, 24
	v_cndmask_b32_e32 v10, v20, v10, vcc
	v_lshlrev_b32_sdwa v17, v17, v12 dst_sel:DWORD dst_unused:UNUSED_PAD src0_sel:DWORD src1_sel:WORD_1
	v_bfrev_b32_e32 v18, 60
	v_lshlrev_b32_e32 v14, 20, v14
	v_and_b32_e32 v17, 0x80000000, v17
	v_lshl_add_u32 v10, v10, 23, v18
	v_or3_b32 v10, v17, v10, v14
	v_lshrrev_b32_e32 v17, 16, v10
.LBB797_650:
	s_or_b64 exec, exec, s[22:23]
.LBB797_651:
	s_or_b64 exec, exec, s[20:21]
.LBB797_652:
	s_or_b64 exec, exec, s[10:11]
	s_mov_b32 s10, 0xffffff
	v_cmp_lt_u32_e32 vcc, s10, v12
	v_mov_b32_e32 v18, 0
	s_and_saveexec_b64 s[10:11], vcc
	s_cbranch_execz .LBB797_658
; %bb.653:
	v_lshrrev_b32_e32 v10, 24, v12
	s_movk_i32 s20, 0x80
	v_cmp_ne_u32_e32 vcc, s20, v10
	v_mov_b32_e32 v18, 0xffff8000
	s_and_saveexec_b64 s[20:21], vcc
	s_cbranch_execz .LBB797_657
; %bb.654:
	v_bfe_u32 v14, v12, 24, 7
	s_movk_i32 s22, 0x7f
	v_cmp_ne_u32_e32 vcc, s22, v14
	v_mov_b32_e32 v18, 0x7f80
	s_and_saveexec_b64 s[22:23], vcc
	s_cbranch_execz .LBB797_656
; %bb.655:
	v_and_b32_e32 v20, 7, v10
	v_ffbh_u32_e32 v18, v20
	v_min_u32_e32 v22, 32, v18
	v_subrev_u32_e32 v18, 28, v22
	v_lshlrev_b64 v[18:19], v18, v[10:11]
	v_lshrrev_b32_e32 v21, 3, v14
	v_sub_u32_e32 v19, 29, v22
	v_and_b32_e32 v18, 7, v18
	v_cmp_gt_u32_e32 vcc, 8, v14
	v_cndmask_b32_e32 v14, v21, v19, vcc
	v_cndmask_b32_e32 v18, v20, v18, vcc
	v_lshlrev_b32_e32 v10, 24, v10
	v_bfrev_b32_e32 v19, 60
	v_lshlrev_b32_e32 v18, 20, v18
	v_and_b32_e32 v10, 0x80000000, v10
	v_lshl_add_u32 v14, v14, 23, v19
	v_or3_b32 v10, v10, v14, v18
	v_lshrrev_b32_e32 v18, 16, v10
.LBB797_656:
	s_or_b64 exec, exec, s[22:23]
.LBB797_657:
	s_or_b64 exec, exec, s[20:21]
.LBB797_658:
	s_or_b64 exec, exec, s[10:11]
	v_mov_b32_e32 v19, 0
	v_mov_b32_e32 v10, v13
	v_cmp_ne_u16_sdwa s[20:21], v13, v19 src0_sel:BYTE_0 src1_sel:DWORD
	v_mov_b32_e32 v20, 0
	s_and_saveexec_b64 s[10:11], s[20:21]
	s_cbranch_execz .LBB797_664
; %bb.659:
	s_movk_i32 s20, 0x80
	v_cmp_ne_u16_sdwa s[22:23], v13, s20 src0_sel:BYTE_0 src1_sel:DWORD
	v_mov_b32_e32 v20, 0xffff8000
	s_and_saveexec_b64 s[20:21], s[22:23]
	s_cbranch_execz .LBB797_663
; %bb.660:
	s_movk_i32 s22, 0x7f
	v_and_b32_e32 v14, 0x7f, v13
	v_cmp_ne_u32_e32 vcc, s22, v14
	v_mov_b32_e32 v20, 0x7f80
	s_and_saveexec_b64 s[22:23], vcc
	s_cbranch_execz .LBB797_662
; %bb.661:
	v_and_b32_e32 v20, 7, v13
	v_ffbh_u32_e32 v20, v20
	v_min_u32_e32 v20, 32, v20
	v_lshrrev_b32_e32 v21, 3, v14
	v_subrev_u32_e32 v22, 28, v20
	v_sub_u32_e32 v20, 29, v20
	v_cmp_gt_u32_e32 vcc, 8, v14
	v_cndmask_b32_e32 v14, v21, v20, vcc
	v_cndmask_b32_e32 v20, 0, v22, vcc
	v_lshlrev_b64 v[20:21], v20, v[10:11]
	v_lshlrev_b32_e32 v11, 20, v20
	v_lshlrev_b32_e32 v20, 24, v10
	v_bfrev_b32_e32 v21, 60
	v_and_b32_e32 v11, 0x700000, v11
	v_and_b32_e32 v20, 0x80000000, v20
	v_lshl_add_u32 v14, v14, 23, v21
	v_or3_b32 v11, v20, v14, v11
	v_lshrrev_b32_e32 v20, 16, v11
.LBB797_662:
	s_or_b64 exec, exec, s[22:23]
.LBB797_663:
	s_or_b64 exec, exec, s[20:21]
.LBB797_664:
	s_or_b64 exec, exec, s[10:11]
	v_lshrrev_b16_e32 v14, 8, v10
	v_cmp_ne_u16_e32 vcc, 0, v14
	s_and_saveexec_b64 s[10:11], vcc
	s_cbranch_execz .LBB797_670
; %bb.665:
	s_movk_i32 s20, 0x80
	v_cmp_ne_u16_e32 vcc, s20, v14
	v_mov_b32_e32 v19, 0xffff8000
	s_and_saveexec_b64 s[20:21], vcc
	s_cbranch_execz .LBB797_669
; %bb.666:
	s_movk_i32 s22, 0x7f
	v_and_b32_e32 v11, 0x7f, v14
	v_cmp_ne_u32_e32 vcc, s22, v11
	v_mov_b32_e32 v19, 0x7f80
	s_and_saveexec_b64 s[22:23], vcc
	s_cbranch_execz .LBB797_668
; %bb.667:
	v_and_b32_e32 v19, 7, v14
	v_ffbh_u32_e32 v22, v19
	v_min_u32_e32 v24, 32, v22
	v_subrev_u32_e32 v22, 28, v24
	v_lshlrev_b64 v[22:23], v22, v[14:15]
	v_lshrrev_b32_e32 v21, 3, v11
	v_sub_u32_e32 v14, 29, v24
	v_and_b32_e32 v22, 7, v22
	v_cmp_gt_u32_e32 vcc, 8, v11
	v_cndmask_b32_e32 v11, v21, v14, vcc
	v_cndmask_b32_e32 v14, v19, v22, vcc
	v_lshlrev_b32_e32 v10, 16, v10
	v_bfrev_b32_e32 v19, 60
	v_lshlrev_b32_e32 v14, 20, v14
	v_and_b32_e32 v10, 0x80000000, v10
	v_lshl_add_u32 v11, v11, 23, v19
	v_or3_b32 v10, v10, v11, v14
	v_lshrrev_b32_e32 v19, 16, v10
.LBB797_668:
	s_or_b64 exec, exec, s[22:23]
.LBB797_669:
	s_or_b64 exec, exec, s[20:21]
.LBB797_670:
	s_or_b64 exec, exec, s[10:11]
	s_movk_i32 s10, 0xff
	v_and_b32_sdwa v21, v13, s10 dst_sel:DWORD dst_unused:UNUSED_PAD src0_sel:WORD_1 src1_sel:DWORD
	v_lshrrev_b32_e32 v10, 16, v13
	v_cmp_ne_u16_e32 vcc, 0, v21
	v_mov_b32_e32 v11, 0
	v_mov_b32_e32 v14, 0
	s_and_saveexec_b64 s[10:11], vcc
	s_cbranch_execz .LBB797_676
; %bb.671:
	s_movk_i32 s20, 0x80
	v_cmp_ne_u16_e32 vcc, s20, v21
	v_mov_b32_e32 v14, 0xffff8000
	s_and_saveexec_b64 s[20:21], vcc
	s_cbranch_execz .LBB797_675
; %bb.672:
	v_bfe_u32 v21, v13, 16, 7
	s_movk_i32 s22, 0x7f
	v_cmp_ne_u32_e32 vcc, s22, v21
	v_mov_b32_e32 v14, 0x7f80
	s_and_saveexec_b64 s[22:23], vcc
	s_cbranch_execz .LBB797_674
; %bb.673:
	v_and_b32_e32 v14, 7, v10
	v_ffbh_u32_e32 v22, v14
	v_min_u32_e32 v25, 32, v22
	v_subrev_u32_e32 v22, 28, v25
	v_lshlrev_b64 v[22:23], v22, v[10:11]
	v_lshrrev_b32_e32 v24, 3, v21
	v_sub_u32_e32 v10, 29, v25
	v_and_b32_e32 v22, 7, v22
	v_cmp_gt_u32_e32 vcc, 8, v21
	v_mov_b32_e32 v21, 24
	v_cndmask_b32_e32 v10, v24, v10, vcc
	v_cndmask_b32_e32 v14, v14, v22, vcc
	v_lshlrev_b32_sdwa v21, v21, v13 dst_sel:DWORD dst_unused:UNUSED_PAD src0_sel:DWORD src1_sel:WORD_1
	v_bfrev_b32_e32 v22, 60
	v_lshlrev_b32_e32 v14, 20, v14
	v_and_b32_e32 v21, 0x80000000, v21
	v_lshl_add_u32 v10, v10, 23, v22
	v_or3_b32 v10, v21, v10, v14
	v_lshrrev_b32_e32 v14, 16, v10
.LBB797_674:
	s_or_b64 exec, exec, s[22:23]
.LBB797_675:
	s_or_b64 exec, exec, s[20:21]
.LBB797_676:
	s_or_b64 exec, exec, s[10:11]
	s_mov_b32 s10, -1
	s_mov_b32 s11, 0xffffff
	v_cmp_lt_u64_e32 vcc, s[10:11], v[12:13]
	s_and_saveexec_b64 s[10:11], vcc
	s_cbranch_execz .LBB797_682
; %bb.677:
	v_lshrrev_b32_e32 v10, 24, v13
	s_movk_i32 s20, 0x80
	v_cmp_ne_u32_e32 vcc, s20, v10
	v_mov_b32_e32 v11, 0xffff8000
	s_and_saveexec_b64 s[20:21], vcc
	s_cbranch_execz .LBB797_681
; %bb.678:
	v_bfe_u32 v12, v13, 24, 7
	s_movk_i32 s22, 0x7f
	v_cmp_ne_u32_e32 vcc, s22, v12
	v_mov_b32_e32 v11, 0x7f80
	s_and_saveexec_b64 s[22:23], vcc
	s_cbranch_execz .LBB797_680
; %bb.679:
	v_and_b32_e32 v11, 7, v10
	v_ffbh_u32_e32 v21, v11
	v_min_u32_e32 v21, 32, v21
	v_subrev_u32_e32 v22, 28, v21
	v_lshlrev_b64 v[22:23], v22, v[10:11]
	v_lshrrev_b32_e32 v13, 3, v12
	v_sub_u32_e32 v21, 29, v21
	v_and_b32_e32 v22, 7, v22
	v_cmp_gt_u32_e32 vcc, 8, v12
	v_cndmask_b32_e32 v12, v13, v21, vcc
	v_cndmask_b32_e32 v11, v11, v22, vcc
	v_lshlrev_b32_e32 v10, 24, v10
	v_bfrev_b32_e32 v13, 60
	v_lshlrev_b32_e32 v11, 20, v11
	v_and_b32_e32 v10, 0x80000000, v10
	v_lshl_add_u32 v12, v12, 23, v13
	v_or3_b32 v10, v10, v12, v11
	v_lshrrev_b32_e32 v11, 16, v10
.LBB797_680:
	s_or_b64 exec, exec, s[22:23]
.LBB797_681:
	s_or_b64 exec, exec, s[20:21]
.LBB797_682:
	s_or_b64 exec, exec, s[10:11]
	s_mov_b32 s10, 0x5040100
	v_perm_b32 v13, v18, v17, s10
	v_perm_b32 v12, v15, v16, s10
	;; [unrolled: 1-line block ×4, first 2 shown]
	v_mfma_f32_4x4x4bf16_1k a[0:3], v[2:3], v[12:13], a[0:3] cbsz:4 abid:13
	v_mov_b32_e32 v13, 0
	v_mfma_f32_4x4x4bf16_1k a[0:3], v[4:5], v[10:11], a[0:3] cbsz:4 abid:13
	s_waitcnt vmcnt(12)
	v_cmp_ne_u16_sdwa s[20:21], v6, v13 src0_sel:BYTE_0 src1_sel:DWORD
	v_mov_b32_e32 v14, 0
	s_and_saveexec_b64 s[10:11], s[20:21]
	s_cbranch_execz .LBB797_688
; %bb.683:
	s_movk_i32 s20, 0x80
	v_cmp_ne_u16_sdwa s[22:23], v6, s20 src0_sel:BYTE_0 src1_sel:DWORD
	v_mov_b32_e32 v14, 0xffff8000
	s_and_saveexec_b64 s[20:21], s[22:23]
	s_cbranch_execz .LBB797_687
; %bb.684:
	s_movk_i32 s22, 0x7f
	v_and_b32_e32 v10, 0x7f, v6
	v_cmp_ne_u32_e32 vcc, s22, v10
	v_mov_b32_e32 v14, 0x7f80
	s_and_saveexec_b64 s[22:23], vcc
	s_cbranch_execz .LBB797_686
; %bb.685:
	v_and_b32_e32 v11, 7, v6
	v_ffbh_u32_e32 v11, v11
	v_min_u32_e32 v11, 32, v11
	v_subrev_u32_e32 v14, 28, v11
	v_cmp_gt_u32_e32 vcc, 8, v10
	v_lshrrev_b32_e32 v12, 3, v10
	v_sub_u32_e32 v11, 29, v11
	v_cndmask_b32_e32 v10, 0, v14, vcc
	v_cndmask_b32_e32 v12, v12, v11, vcc
	v_lshlrev_b64 v[10:11], v10, v[6:7]
	v_lshlrev_b32_e32 v10, 20, v10
	v_lshlrev_b32_e32 v11, 24, v6
	v_bfrev_b32_e32 v14, 60
	v_and_b32_e32 v10, 0x700000, v10
	v_and_b32_e32 v11, 0x80000000, v11
	v_lshl_add_u32 v12, v12, 23, v14
	v_or3_b32 v10, v11, v12, v10
	v_lshrrev_b32_e32 v14, 16, v10
.LBB797_686:
	s_or_b64 exec, exec, s[22:23]
.LBB797_687:
	s_or_b64 exec, exec, s[20:21]
.LBB797_688:
	s_or_b64 exec, exec, s[10:11]
	v_lshrrev_b16_e32 v10, 8, v6
	v_cmp_ne_u16_e32 vcc, 0, v10
	s_and_saveexec_b64 s[10:11], vcc
	s_cbranch_execz .LBB797_694
; %bb.689:
	s_movk_i32 s20, 0x80
	v_cmp_ne_u16_e32 vcc, s20, v10
	v_mov_b32_e32 v13, 0xffff8000
	s_and_saveexec_b64 s[20:21], vcc
	s_cbranch_execz .LBB797_693
; %bb.690:
	s_movk_i32 s22, 0x7f
	v_and_b32_e32 v11, 0x7f, v10
	v_cmp_ne_u32_e32 vcc, s22, v11
	v_mov_b32_e32 v13, 0x7f80
	s_and_saveexec_b64 s[22:23], vcc
	s_cbranch_execz .LBB797_692
; %bb.691:
	v_and_b32_e32 v15, 7, v10
	v_ffbh_u32_e32 v12, v15
	v_min_u32_e32 v17, 32, v12
	v_subrev_u32_e32 v12, 28, v17
	v_lshlrev_b64 v[12:13], v12, v[10:11]
	v_lshrrev_b32_e32 v16, 3, v11
	v_sub_u32_e32 v10, 29, v17
	v_and_b32_e32 v12, 7, v12
	v_cmp_gt_u32_e32 vcc, 8, v11
	v_cndmask_b32_e32 v10, v16, v10, vcc
	v_cndmask_b32_e32 v11, v15, v12, vcc
	v_lshlrev_b32_e32 v12, 16, v6
	v_bfrev_b32_e32 v13, 60
	v_lshlrev_b32_e32 v11, 20, v11
	v_and_b32_e32 v12, 0x80000000, v12
	v_lshl_add_u32 v10, v10, 23, v13
	v_or3_b32 v10, v12, v10, v11
	v_lshrrev_b32_e32 v13, 16, v10
.LBB797_692:
	s_or_b64 exec, exec, s[22:23]
.LBB797_693:
	s_or_b64 exec, exec, s[20:21]
.LBB797_694:
	s_or_b64 exec, exec, s[10:11]
	s_movk_i32 s10, 0xff
	v_and_b32_sdwa v12, v6, s10 dst_sel:DWORD dst_unused:UNUSED_PAD src0_sel:WORD_1 src1_sel:DWORD
	v_lshrrev_b32_e32 v10, 16, v6
	v_cmp_ne_u16_e32 vcc, 0, v12
	v_mov_b32_e32 v11, 0
	v_mov_b32_e32 v15, 0
	s_and_saveexec_b64 s[10:11], vcc
	s_cbranch_execz .LBB797_700
; %bb.695:
	s_movk_i32 s20, 0x80
	v_cmp_ne_u16_e32 vcc, s20, v12
	v_mov_b32_e32 v15, 0xffff8000
	s_and_saveexec_b64 s[20:21], vcc
	s_cbranch_execz .LBB797_699
; %bb.696:
	v_bfe_u32 v12, v6, 16, 7
	s_movk_i32 s22, 0x7f
	v_cmp_ne_u32_e32 vcc, s22, v12
	v_mov_b32_e32 v15, 0x7f80
	s_and_saveexec_b64 s[22:23], vcc
	s_cbranch_execz .LBB797_698
; %bb.697:
	v_and_b32_e32 v15, 7, v10
	v_ffbh_u32_e32 v16, v15
	v_min_u32_e32 v19, 32, v16
	v_subrev_u32_e32 v16, 28, v19
	v_lshlrev_b64 v[16:17], v16, v[10:11]
	v_and_b32_e32 v16, 7, v16
	v_cmp_gt_u32_e32 vcc, 8, v12
	v_lshrrev_b32_e32 v18, 3, v12
	v_sub_u32_e32 v10, 29, v19
	v_cndmask_b32_e32 v12, v15, v16, vcc
	v_mov_b32_e32 v15, 24
	v_cndmask_b32_e32 v10, v18, v10, vcc
	v_lshlrev_b32_sdwa v15, v15, v6 dst_sel:DWORD dst_unused:UNUSED_PAD src0_sel:DWORD src1_sel:WORD_1
	v_bfrev_b32_e32 v16, 60
	v_lshlrev_b32_e32 v12, 20, v12
	v_and_b32_e32 v15, 0x80000000, v15
	v_lshl_add_u32 v10, v10, 23, v16
	v_or3_b32 v10, v15, v10, v12
	v_lshrrev_b32_e32 v15, 16, v10
.LBB797_698:
	s_or_b64 exec, exec, s[22:23]
.LBB797_699:
	s_or_b64 exec, exec, s[20:21]
.LBB797_700:
	s_or_b64 exec, exec, s[10:11]
	s_mov_b32 s10, 0xffffff
	v_cmp_lt_u32_e32 vcc, s10, v6
	v_mov_b32_e32 v16, 0
	s_and_saveexec_b64 s[10:11], vcc
	s_cbranch_execz .LBB797_706
; %bb.701:
	v_lshrrev_b32_e32 v10, 24, v6
	s_movk_i32 s20, 0x80
	v_cmp_ne_u32_e32 vcc, s20, v10
	v_mov_b32_e32 v16, 0xffff8000
	s_and_saveexec_b64 s[20:21], vcc
	s_cbranch_execz .LBB797_705
; %bb.702:
	v_bfe_u32 v12, v6, 24, 7
	s_movk_i32 s22, 0x7f
	v_cmp_ne_u32_e32 vcc, s22, v12
	v_mov_b32_e32 v16, 0x7f80
	s_and_saveexec_b64 s[22:23], vcc
	s_cbranch_execz .LBB797_704
; %bb.703:
	v_and_b32_e32 v18, 7, v10
	v_ffbh_u32_e32 v16, v18
	v_min_u32_e32 v20, 32, v16
	v_subrev_u32_e32 v16, 28, v20
	v_lshlrev_b64 v[16:17], v16, v[10:11]
	v_lshrrev_b32_e32 v19, 3, v12
	v_sub_u32_e32 v17, 29, v20
	v_and_b32_e32 v16, 7, v16
	v_cmp_gt_u32_e32 vcc, 8, v12
	v_cndmask_b32_e32 v12, v19, v17, vcc
	v_cndmask_b32_e32 v16, v18, v16, vcc
	v_lshlrev_b32_e32 v10, 24, v10
	v_bfrev_b32_e32 v17, 60
	v_lshlrev_b32_e32 v16, 20, v16
	v_and_b32_e32 v10, 0x80000000, v10
	v_lshl_add_u32 v12, v12, 23, v17
	v_or3_b32 v10, v10, v12, v16
	v_lshrrev_b32_e32 v16, 16, v10
.LBB797_704:
	s_or_b64 exec, exec, s[22:23]
.LBB797_705:
	s_or_b64 exec, exec, s[20:21]
.LBB797_706:
	s_or_b64 exec, exec, s[10:11]
	v_mov_b32_e32 v17, 0
	v_mov_b32_e32 v10, v7
	v_cmp_ne_u16_sdwa s[20:21], v7, v17 src0_sel:BYTE_0 src1_sel:DWORD
	v_mov_b32_e32 v18, 0
	s_and_saveexec_b64 s[10:11], s[20:21]
	s_cbranch_execz .LBB797_712
; %bb.707:
	s_movk_i32 s20, 0x80
	v_cmp_ne_u16_sdwa s[22:23], v7, s20 src0_sel:BYTE_0 src1_sel:DWORD
	v_mov_b32_e32 v18, 0xffff8000
	s_and_saveexec_b64 s[20:21], s[22:23]
	s_cbranch_execz .LBB797_711
; %bb.708:
	s_movk_i32 s22, 0x7f
	v_and_b32_e32 v12, 0x7f, v7
	v_cmp_ne_u32_e32 vcc, s22, v12
	v_mov_b32_e32 v18, 0x7f80
	s_and_saveexec_b64 s[22:23], vcc
	s_cbranch_execz .LBB797_710
; %bb.709:
	v_and_b32_e32 v18, 7, v7
	v_ffbh_u32_e32 v18, v18
	v_min_u32_e32 v18, 32, v18
	v_lshrrev_b32_e32 v19, 3, v12
	v_subrev_u32_e32 v20, 28, v18
	v_sub_u32_e32 v18, 29, v18
	v_cmp_gt_u32_e32 vcc, 8, v12
	v_cndmask_b32_e32 v12, v19, v18, vcc
	v_cndmask_b32_e32 v18, 0, v20, vcc
	v_lshlrev_b64 v[18:19], v18, v[10:11]
	v_lshlrev_b32_e32 v11, 20, v18
	v_lshlrev_b32_e32 v18, 24, v10
	v_bfrev_b32_e32 v19, 60
	v_and_b32_e32 v11, 0x700000, v11
	v_and_b32_e32 v18, 0x80000000, v18
	v_lshl_add_u32 v12, v12, 23, v19
	v_or3_b32 v11, v18, v12, v11
	v_lshrrev_b32_e32 v18, 16, v11
.LBB797_710:
	s_or_b64 exec, exec, s[22:23]
.LBB797_711:
	s_or_b64 exec, exec, s[20:21]
.LBB797_712:
	s_or_b64 exec, exec, s[10:11]
	v_lshrrev_b16_e32 v12, 8, v10
	v_cmp_ne_u16_e32 vcc, 0, v12
	s_and_saveexec_b64 s[10:11], vcc
	s_cbranch_execz .LBB797_718
; %bb.713:
	s_movk_i32 s20, 0x80
	v_cmp_ne_u16_e32 vcc, s20, v12
	v_mov_b32_e32 v17, 0xffff8000
	s_and_saveexec_b64 s[20:21], vcc
	s_cbranch_execz .LBB797_717
; %bb.714:
	s_movk_i32 s22, 0x7f
	v_and_b32_e32 v11, 0x7f, v12
	v_cmp_ne_u32_e32 vcc, s22, v11
	v_mov_b32_e32 v17, 0x7f80
	s_and_saveexec_b64 s[22:23], vcc
	s_cbranch_execz .LBB797_716
; %bb.715:
	v_and_b32_e32 v17, 7, v12
	v_ffbh_u32_e32 v20, v17
	v_min_u32_e32 v22, 32, v20
	v_subrev_u32_e32 v20, 28, v22
	v_lshlrev_b64 v[20:21], v20, v[12:13]
	v_lshrrev_b32_e32 v19, 3, v11
	v_sub_u32_e32 v12, 29, v22
	v_and_b32_e32 v20, 7, v20
	v_cmp_gt_u32_e32 vcc, 8, v11
	v_cndmask_b32_e32 v11, v19, v12, vcc
	v_cndmask_b32_e32 v12, v17, v20, vcc
	v_lshlrev_b32_e32 v10, 16, v10
	v_bfrev_b32_e32 v17, 60
	v_lshlrev_b32_e32 v12, 20, v12
	v_and_b32_e32 v10, 0x80000000, v10
	v_lshl_add_u32 v11, v11, 23, v17
	v_or3_b32 v10, v10, v11, v12
	v_lshrrev_b32_e32 v17, 16, v10
.LBB797_716:
	s_or_b64 exec, exec, s[22:23]
.LBB797_717:
	s_or_b64 exec, exec, s[20:21]
.LBB797_718:
	s_or_b64 exec, exec, s[10:11]
	s_movk_i32 s10, 0xff
	v_and_b32_sdwa v19, v7, s10 dst_sel:DWORD dst_unused:UNUSED_PAD src0_sel:WORD_1 src1_sel:DWORD
	v_lshrrev_b32_e32 v10, 16, v7
	v_cmp_ne_u16_e32 vcc, 0, v19
	v_mov_b32_e32 v11, 0
	v_mov_b32_e32 v12, 0
	s_and_saveexec_b64 s[10:11], vcc
	s_cbranch_execz .LBB797_724
; %bb.719:
	s_movk_i32 s20, 0x80
	v_cmp_ne_u16_e32 vcc, s20, v19
	v_mov_b32_e32 v12, 0xffff8000
	s_and_saveexec_b64 s[20:21], vcc
	s_cbranch_execz .LBB797_723
; %bb.720:
	v_bfe_u32 v19, v7, 16, 7
	s_movk_i32 s22, 0x7f
	v_cmp_ne_u32_e32 vcc, s22, v19
	v_mov_b32_e32 v12, 0x7f80
	s_and_saveexec_b64 s[22:23], vcc
	s_cbranch_execz .LBB797_722
; %bb.721:
	v_and_b32_e32 v12, 7, v10
	v_ffbh_u32_e32 v20, v12
	v_min_u32_e32 v23, 32, v20
	v_subrev_u32_e32 v20, 28, v23
	v_lshlrev_b64 v[20:21], v20, v[10:11]
	v_lshrrev_b32_e32 v22, 3, v19
	v_sub_u32_e32 v10, 29, v23
	v_and_b32_e32 v20, 7, v20
	v_cmp_gt_u32_e32 vcc, 8, v19
	v_mov_b32_e32 v19, 24
	v_cndmask_b32_e32 v10, v22, v10, vcc
	v_cndmask_b32_e32 v12, v12, v20, vcc
	v_lshlrev_b32_sdwa v19, v19, v7 dst_sel:DWORD dst_unused:UNUSED_PAD src0_sel:DWORD src1_sel:WORD_1
	v_bfrev_b32_e32 v20, 60
	v_lshlrev_b32_e32 v12, 20, v12
	v_and_b32_e32 v19, 0x80000000, v19
	v_lshl_add_u32 v10, v10, 23, v20
	v_or3_b32 v10, v19, v10, v12
	v_lshrrev_b32_e32 v12, 16, v10
.LBB797_722:
	s_or_b64 exec, exec, s[22:23]
.LBB797_723:
	s_or_b64 exec, exec, s[20:21]
.LBB797_724:
	s_or_b64 exec, exec, s[10:11]
	s_mov_b32 s10, -1
	s_mov_b32 s11, 0xffffff
	v_cmp_lt_u64_e32 vcc, s[10:11], v[6:7]
	s_and_saveexec_b64 s[10:11], vcc
	s_cbranch_execz .LBB797_730
; %bb.725:
	v_lshrrev_b32_e32 v6, 24, v7
	s_movk_i32 s20, 0x80
	v_cmp_ne_u32_e32 vcc, s20, v6
	v_mov_b32_e32 v11, 0xffff8000
	s_and_saveexec_b64 s[20:21], vcc
	s_cbranch_execz .LBB797_729
; %bb.726:
	v_bfe_u32 v7, v7, 24, 7
	s_movk_i32 s22, 0x7f
	v_cmp_ne_u32_e32 vcc, s22, v7
	v_mov_b32_e32 v11, 0x7f80
	s_and_saveexec_b64 s[22:23], vcc
	s_cbranch_execz .LBB797_728
; %bb.727:
	v_and_b32_e32 v19, 7, v6
	v_ffbh_u32_e32 v10, v19
	v_min_u32_e32 v21, 32, v10
	v_subrev_u32_e32 v10, 28, v21
	v_lshlrev_b64 v[10:11], v10, v[6:7]
	v_lshrrev_b32_e32 v20, 3, v7
	v_sub_u32_e32 v11, 29, v21
	v_and_b32_e32 v10, 7, v10
	v_cmp_gt_u32_e32 vcc, 8, v7
	v_cndmask_b32_e32 v7, v20, v11, vcc
	v_cndmask_b32_e32 v10, v19, v10, vcc
	v_lshlrev_b32_e32 v6, 24, v6
	v_bfrev_b32_e32 v11, 60
	v_lshlrev_b32_e32 v10, 20, v10
	v_and_b32_e32 v6, 0x80000000, v6
	v_lshl_add_u32 v7, v7, 23, v11
	v_or3_b32 v6, v6, v7, v10
	v_lshrrev_b32_e32 v11, 16, v6
.LBB797_728:
	s_or_b64 exec, exec, s[22:23]
.LBB797_729:
	s_or_b64 exec, exec, s[20:21]
.LBB797_730:
	s_or_b64 exec, exec, s[10:11]
	s_mov_b32 s10, 0x5040100
	v_perm_b32 v7, v16, v15, s10
	v_perm_b32 v6, v13, v14, s10
	;; [unrolled: 1-line block ×4, first 2 shown]
	v_mfma_f32_4x4x4bf16_1k a[0:3], v[2:3], v[6:7], a[0:3] cbsz:4 abid:14
	v_mov_b32_e32 v12, 0
	v_mfma_f32_4x4x4bf16_1k a[0:3], v[4:5], v[10:11], a[0:3] cbsz:4 abid:14
	v_mov_b32_e32 v11, 0
	v_cmp_ne_u16_sdwa s[20:21], v8, v11 src0_sel:BYTE_0 src1_sel:DWORD
	s_and_saveexec_b64 s[10:11], s[20:21]
	s_cbranch_execz .LBB797_736
; %bb.731:
	s_movk_i32 s20, 0x80
	v_cmp_ne_u16_sdwa s[22:23], v8, s20 src0_sel:BYTE_0 src1_sel:DWORD
	v_mov_b32_e32 v12, 0xffff8000
	s_and_saveexec_b64 s[20:21], s[22:23]
	s_cbranch_execz .LBB797_735
; %bb.732:
	s_movk_i32 s22, 0x7f
	v_and_b32_e32 v6, 0x7f, v8
	v_cmp_ne_u32_e32 vcc, s22, v6
	v_mov_b32_e32 v12, 0x7f80
	s_and_saveexec_b64 s[22:23], vcc
	s_cbranch_execz .LBB797_734
; %bb.733:
	v_and_b32_e32 v7, 7, v8
	v_ffbh_u32_e32 v7, v7
	v_min_u32_e32 v7, 32, v7
	v_subrev_u32_e32 v12, 28, v7
	v_cmp_gt_u32_e32 vcc, 8, v6
	v_lshrrev_b32_e32 v10, 3, v6
	v_sub_u32_e32 v7, 29, v7
	v_cndmask_b32_e32 v6, 0, v12, vcc
	v_cndmask_b32_e32 v10, v10, v7, vcc
	v_lshlrev_b64 v[6:7], v6, v[8:9]
	v_lshlrev_b32_e32 v6, 20, v6
	v_lshlrev_b32_e32 v7, 24, v8
	v_bfrev_b32_e32 v12, 60
	v_and_b32_e32 v6, 0x700000, v6
	v_and_b32_e32 v7, 0x80000000, v7
	v_lshl_add_u32 v10, v10, 23, v12
	v_or3_b32 v6, v7, v10, v6
	v_lshrrev_b32_e32 v12, 16, v6
.LBB797_734:
	s_or_b64 exec, exec, s[22:23]
.LBB797_735:
	s_or_b64 exec, exec, s[20:21]
.LBB797_736:
	s_or_b64 exec, exec, s[10:11]
	v_lshrrev_b16_e32 v6, 8, v8
	v_cmp_ne_u16_e32 vcc, 0, v6
	s_and_saveexec_b64 s[10:11], vcc
	s_cbranch_execz .LBB797_742
; %bb.737:
	s_movk_i32 s20, 0x80
	v_cmp_ne_u16_e32 vcc, s20, v6
	v_mov_b32_e32 v11, 0xffff8000
	s_and_saveexec_b64 s[20:21], vcc
	s_cbranch_execz .LBB797_741
; %bb.738:
	s_movk_i32 s22, 0x7f
	v_and_b32_e32 v7, 0x7f, v6
	v_cmp_ne_u32_e32 vcc, s22, v7
	v_mov_b32_e32 v11, 0x7f80
	s_and_saveexec_b64 s[22:23], vcc
	s_cbranch_execz .LBB797_740
; %bb.739:
	v_and_b32_e32 v13, 7, v6
	v_ffbh_u32_e32 v10, v13
	v_min_u32_e32 v15, 32, v10
	v_subrev_u32_e32 v10, 28, v15
	v_lshlrev_b64 v[10:11], v10, v[6:7]
	v_lshrrev_b32_e32 v14, 3, v7
	v_sub_u32_e32 v6, 29, v15
	v_and_b32_e32 v10, 7, v10
	v_cmp_gt_u32_e32 vcc, 8, v7
	v_cndmask_b32_e32 v6, v14, v6, vcc
	v_cndmask_b32_e32 v7, v13, v10, vcc
	v_lshlrev_b32_e32 v10, 16, v8
	v_bfrev_b32_e32 v11, 60
	v_lshlrev_b32_e32 v7, 20, v7
	v_and_b32_e32 v10, 0x80000000, v10
	v_lshl_add_u32 v6, v6, 23, v11
	v_or3_b32 v6, v10, v6, v7
	v_lshrrev_b32_e32 v11, 16, v6
.LBB797_740:
	s_or_b64 exec, exec, s[22:23]
.LBB797_741:
	s_or_b64 exec, exec, s[20:21]
.LBB797_742:
	s_or_b64 exec, exec, s[10:11]
	s_movk_i32 s10, 0xff
	v_and_b32_sdwa v10, v8, s10 dst_sel:DWORD dst_unused:UNUSED_PAD src0_sel:WORD_1 src1_sel:DWORD
	v_lshrrev_b32_e32 v6, 16, v8
	v_cmp_ne_u16_e32 vcc, 0, v10
	v_mov_b32_e32 v7, 0
	v_mov_b32_e32 v13, 0
	s_and_saveexec_b64 s[10:11], vcc
	s_cbranch_execz .LBB797_748
; %bb.743:
	s_movk_i32 s20, 0x80
	v_cmp_ne_u16_e32 vcc, s20, v10
	v_mov_b32_e32 v13, 0xffff8000
	s_and_saveexec_b64 s[20:21], vcc
	s_cbranch_execz .LBB797_747
; %bb.744:
	v_bfe_u32 v10, v8, 16, 7
	s_movk_i32 s22, 0x7f
	v_cmp_ne_u32_e32 vcc, s22, v10
	v_mov_b32_e32 v13, 0x7f80
	s_and_saveexec_b64 s[22:23], vcc
	s_cbranch_execz .LBB797_746
; %bb.745:
	v_and_b32_e32 v13, 7, v6
	v_ffbh_u32_e32 v14, v13
	v_min_u32_e32 v17, 32, v14
	v_subrev_u32_e32 v14, 28, v17
	v_lshlrev_b64 v[14:15], v14, v[6:7]
	v_and_b32_e32 v14, 7, v14
	v_cmp_gt_u32_e32 vcc, 8, v10
	v_lshrrev_b32_e32 v16, 3, v10
	v_sub_u32_e32 v6, 29, v17
	v_cndmask_b32_e32 v10, v13, v14, vcc
	v_mov_b32_e32 v13, 24
	v_cndmask_b32_e32 v6, v16, v6, vcc
	v_lshlrev_b32_sdwa v13, v13, v8 dst_sel:DWORD dst_unused:UNUSED_PAD src0_sel:DWORD src1_sel:WORD_1
	v_bfrev_b32_e32 v14, 60
	v_lshlrev_b32_e32 v10, 20, v10
	v_and_b32_e32 v13, 0x80000000, v13
	v_lshl_add_u32 v6, v6, 23, v14
	v_or3_b32 v6, v13, v6, v10
	v_lshrrev_b32_e32 v13, 16, v6
.LBB797_746:
	s_or_b64 exec, exec, s[22:23]
.LBB797_747:
	s_or_b64 exec, exec, s[20:21]
.LBB797_748:
	s_or_b64 exec, exec, s[10:11]
	s_mov_b32 s10, 0xffffff
	v_cmp_lt_u32_e32 vcc, s10, v8
	v_mov_b32_e32 v14, 0
	s_and_saveexec_b64 s[10:11], vcc
	s_cbranch_execz .LBB797_754
; %bb.749:
	v_lshrrev_b32_e32 v6, 24, v8
	s_movk_i32 s20, 0x80
	v_cmp_ne_u32_e32 vcc, s20, v6
	v_mov_b32_e32 v14, 0xffff8000
	s_and_saveexec_b64 s[20:21], vcc
	s_cbranch_execz .LBB797_753
; %bb.750:
	v_bfe_u32 v10, v8, 24, 7
	s_movk_i32 s22, 0x7f
	v_cmp_ne_u32_e32 vcc, s22, v10
	v_mov_b32_e32 v14, 0x7f80
	s_and_saveexec_b64 s[22:23], vcc
	s_cbranch_execz .LBB797_752
; %bb.751:
	v_and_b32_e32 v16, 7, v6
	v_ffbh_u32_e32 v14, v16
	v_min_u32_e32 v18, 32, v14
	v_subrev_u32_e32 v14, 28, v18
	v_lshlrev_b64 v[14:15], v14, v[6:7]
	v_lshrrev_b32_e32 v17, 3, v10
	v_sub_u32_e32 v15, 29, v18
	v_and_b32_e32 v14, 7, v14
	v_cmp_gt_u32_e32 vcc, 8, v10
	v_cndmask_b32_e32 v10, v17, v15, vcc
	v_cndmask_b32_e32 v14, v16, v14, vcc
	v_lshlrev_b32_e32 v6, 24, v6
	v_bfrev_b32_e32 v15, 60
	v_lshlrev_b32_e32 v14, 20, v14
	v_and_b32_e32 v6, 0x80000000, v6
	v_lshl_add_u32 v10, v10, 23, v15
	v_or3_b32 v6, v6, v10, v14
	v_lshrrev_b32_e32 v14, 16, v6
.LBB797_752:
	s_or_b64 exec, exec, s[22:23]
.LBB797_753:
	s_or_b64 exec, exec, s[20:21]
.LBB797_754:
	s_or_b64 exec, exec, s[10:11]
	v_mov_b32_e32 v15, 0
	v_mov_b32_e32 v6, v9
	v_cmp_ne_u16_sdwa s[20:21], v9, v15 src0_sel:BYTE_0 src1_sel:DWORD
	v_mov_b32_e32 v16, 0
	s_and_saveexec_b64 s[10:11], s[20:21]
	s_cbranch_execz .LBB797_760
; %bb.755:
	s_movk_i32 s20, 0x80
	v_cmp_ne_u16_sdwa s[22:23], v9, s20 src0_sel:BYTE_0 src1_sel:DWORD
	v_mov_b32_e32 v16, 0xffff8000
	s_and_saveexec_b64 s[20:21], s[22:23]
	s_cbranch_execz .LBB797_759
; %bb.756:
	s_movk_i32 s22, 0x7f
	v_and_b32_e32 v10, 0x7f, v9
	v_cmp_ne_u32_e32 vcc, s22, v10
	v_mov_b32_e32 v16, 0x7f80
	s_and_saveexec_b64 s[22:23], vcc
	s_cbranch_execz .LBB797_758
; %bb.757:
	v_and_b32_e32 v16, 7, v9
	v_ffbh_u32_e32 v16, v16
	v_min_u32_e32 v16, 32, v16
	v_lshrrev_b32_e32 v17, 3, v10
	v_subrev_u32_e32 v18, 28, v16
	v_sub_u32_e32 v16, 29, v16
	v_cmp_gt_u32_e32 vcc, 8, v10
	v_cndmask_b32_e32 v10, v17, v16, vcc
	v_cndmask_b32_e32 v16, 0, v18, vcc
	v_lshlrev_b64 v[16:17], v16, v[6:7]
	v_lshlrev_b32_e32 v7, 20, v16
	v_lshlrev_b32_e32 v16, 24, v6
	v_bfrev_b32_e32 v17, 60
	v_and_b32_e32 v7, 0x700000, v7
	v_and_b32_e32 v16, 0x80000000, v16
	v_lshl_add_u32 v10, v10, 23, v17
	v_or3_b32 v7, v16, v10, v7
	v_lshrrev_b32_e32 v16, 16, v7
.LBB797_758:
	s_or_b64 exec, exec, s[22:23]
.LBB797_759:
	s_or_b64 exec, exec, s[20:21]
.LBB797_760:
	s_or_b64 exec, exec, s[10:11]
	v_lshrrev_b16_e32 v10, 8, v6
	v_cmp_ne_u16_e32 vcc, 0, v10
	s_and_saveexec_b64 s[10:11], vcc
	s_cbranch_execz .LBB797_766
; %bb.761:
	s_movk_i32 s20, 0x80
	v_cmp_ne_u16_e32 vcc, s20, v10
	v_mov_b32_e32 v15, 0xffff8000
	s_and_saveexec_b64 s[20:21], vcc
	s_cbranch_execz .LBB797_765
; %bb.762:
	s_movk_i32 s22, 0x7f
	v_and_b32_e32 v7, 0x7f, v10
	v_cmp_ne_u32_e32 vcc, s22, v7
	v_mov_b32_e32 v15, 0x7f80
	s_and_saveexec_b64 s[22:23], vcc
	s_cbranch_execz .LBB797_764
; %bb.763:
	v_and_b32_e32 v15, 7, v10
	v_ffbh_u32_e32 v18, v15
	v_min_u32_e32 v20, 32, v18
	v_subrev_u32_e32 v18, 28, v20
	v_lshlrev_b64 v[18:19], v18, v[10:11]
	v_lshrrev_b32_e32 v17, 3, v7
	v_sub_u32_e32 v10, 29, v20
	v_and_b32_e32 v18, 7, v18
	v_cmp_gt_u32_e32 vcc, 8, v7
	v_cndmask_b32_e32 v7, v17, v10, vcc
	v_cndmask_b32_e32 v10, v15, v18, vcc
	v_lshlrev_b32_e32 v6, 16, v6
	v_bfrev_b32_e32 v15, 60
	v_lshlrev_b32_e32 v10, 20, v10
	v_and_b32_e32 v6, 0x80000000, v6
	v_lshl_add_u32 v7, v7, 23, v15
	v_or3_b32 v6, v6, v7, v10
	v_lshrrev_b32_e32 v15, 16, v6
.LBB797_764:
	s_or_b64 exec, exec, s[22:23]
.LBB797_765:
	s_or_b64 exec, exec, s[20:21]
.LBB797_766:
	s_or_b64 exec, exec, s[10:11]
	s_movk_i32 s10, 0xff
	v_and_b32_sdwa v17, v9, s10 dst_sel:DWORD dst_unused:UNUSED_PAD src0_sel:WORD_1 src1_sel:DWORD
	v_lshrrev_b32_e32 v6, 16, v9
	v_cmp_ne_u16_e32 vcc, 0, v17
	v_mov_b32_e32 v7, 0
	v_mov_b32_e32 v10, 0
	s_and_saveexec_b64 s[10:11], vcc
	s_cbranch_execz .LBB797_772
; %bb.767:
	s_movk_i32 s20, 0x80
	v_cmp_ne_u16_e32 vcc, s20, v17
	v_mov_b32_e32 v10, 0xffff8000
	s_and_saveexec_b64 s[20:21], vcc
	s_cbranch_execz .LBB797_771
; %bb.768:
	v_bfe_u32 v17, v9, 16, 7
	s_movk_i32 s22, 0x7f
	v_cmp_ne_u32_e32 vcc, s22, v17
	v_mov_b32_e32 v10, 0x7f80
	s_and_saveexec_b64 s[22:23], vcc
	s_cbranch_execz .LBB797_770
; %bb.769:
	v_and_b32_e32 v10, 7, v6
	v_ffbh_u32_e32 v18, v10
	v_min_u32_e32 v21, 32, v18
	v_subrev_u32_e32 v18, 28, v21
	v_lshlrev_b64 v[18:19], v18, v[6:7]
	v_lshrrev_b32_e32 v20, 3, v17
	v_sub_u32_e32 v6, 29, v21
	v_and_b32_e32 v18, 7, v18
	v_cmp_gt_u32_e32 vcc, 8, v17
	v_mov_b32_e32 v17, 24
	v_cndmask_b32_e32 v6, v20, v6, vcc
	v_cndmask_b32_e32 v10, v10, v18, vcc
	v_lshlrev_b32_sdwa v17, v17, v9 dst_sel:DWORD dst_unused:UNUSED_PAD src0_sel:DWORD src1_sel:WORD_1
	v_bfrev_b32_e32 v18, 60
	v_lshlrev_b32_e32 v10, 20, v10
	v_and_b32_e32 v17, 0x80000000, v17
	v_lshl_add_u32 v6, v6, 23, v18
	v_or3_b32 v6, v17, v6, v10
	v_lshrrev_b32_e32 v10, 16, v6
.LBB797_770:
	s_or_b64 exec, exec, s[22:23]
.LBB797_771:
	s_or_b64 exec, exec, s[20:21]
.LBB797_772:
	s_or_b64 exec, exec, s[10:11]
	s_mov_b32 s10, -1
	s_mov_b32 s11, 0xffffff
	v_cmp_lt_u64_e32 vcc, s[10:11], v[8:9]
	s_and_saveexec_b64 s[10:11], vcc
	s_cbranch_execz .LBB797_778
; %bb.773:
	v_lshrrev_b32_e32 v6, 24, v9
	s_movk_i32 s20, 0x80
	v_cmp_ne_u32_e32 vcc, s20, v6
	v_mov_b32_e32 v7, 0xffff8000
	s_and_saveexec_b64 s[20:21], vcc
	s_cbranch_execz .LBB797_777
; %bb.774:
	v_bfe_u32 v8, v9, 24, 7
	s_movk_i32 s22, 0x7f
	v_cmp_ne_u32_e32 vcc, s22, v8
	v_mov_b32_e32 v7, 0x7f80
	s_and_saveexec_b64 s[22:23], vcc
	s_cbranch_execz .LBB797_776
; %bb.775:
	v_and_b32_e32 v7, 7, v6
	v_ffbh_u32_e32 v17, v7
	v_min_u32_e32 v17, 32, v17
	v_subrev_u32_e32 v18, 28, v17
	v_lshlrev_b64 v[18:19], v18, v[6:7]
	v_lshrrev_b32_e32 v9, 3, v8
	v_sub_u32_e32 v17, 29, v17
	v_and_b32_e32 v18, 7, v18
	v_cmp_gt_u32_e32 vcc, 8, v8
	v_cndmask_b32_e32 v8, v9, v17, vcc
	v_cndmask_b32_e32 v7, v7, v18, vcc
	v_lshlrev_b32_e32 v6, 24, v6
	v_bfrev_b32_e32 v9, 60
	v_lshlrev_b32_e32 v7, 20, v7
	v_and_b32_e32 v6, 0x80000000, v6
	v_lshl_add_u32 v8, v8, 23, v9
	v_or3_b32 v6, v6, v8, v7
	v_lshrrev_b32_e32 v7, 16, v6
.LBB797_776:
	s_or_b64 exec, exec, s[22:23]
.LBB797_777:
	s_or_b64 exec, exec, s[20:21]
.LBB797_778:
	s_or_b64 exec, exec, s[10:11]
	s_load_dword s4, s[4:5], 0x1c
	s_mov_b32 s5, 0x5040100
	v_perm_b32 v9, v14, v13, s5
	v_perm_b32 v8, v11, v12, s5
	;; [unrolled: 1-line block ×4, first 2 shown]
	v_mfma_f32_4x4x4bf16_1k a[0:3], v[2:3], v[8:9], a[0:3] cbsz:4 abid:15
	s_load_dword s5, s[12:13], 0x0
	v_mfma_f32_4x4x4bf16_1k a[0:3], v[4:5], v[6:7], a[0:3] cbsz:4 abid:15
	s_waitcnt lgkmcnt(0)
	v_mov_b32_e32 v2, s4
	v_cmp_eq_u32_e32 vcc, 0, v44
	v_mov_b32_e32 v9, 0xff7fffff
	v_mul_f32_e32 v4, s5, v2
	v_accvgpr_read_b32 v7, a1
	v_accvgpr_read_b32 v6, a0
	v_pk_mul_f32 v[6:7], v[6:7], v[4:5] op_sel_hi:[1,0]
	v_accvgpr_read_b32 v3, a3
	v_accvgpr_read_b32 v2, a2
	v_pk_mul_f32 v[2:3], v[2:3], v[4:5] op_sel_hi:[1,0]
	v_cndmask_b32_e64 v4, 0, 1.0, vcc
	v_cmp_eq_u32_e32 vcc, 1, v44
	s_nop 0
	v_mfma_f32_4x4x1f32 a[0:3], v6, v4, 0
	v_cndmask_b32_e64 v4, 0, 1.0, vcc
	v_cmp_eq_u32_e32 vcc, 2, v44
	s_nop 0
	v_mfma_f32_4x4x1f32 a[0:3], v7, v4, a[0:3]
	;; [unrolled: 4-line block ×3, first 2 shown]
	v_cndmask_b32_e64 v2, 0, 1.0, vcc
	s_nop 1
	v_mfma_f32_4x4x1f32 a[0:3], v3, v2, a[0:3]
	v_and_b32_e32 v2, -4, v45
	v_subrev_u32_e32 v3, s9, v2
	v_add_u32_e32 v4, 1, v3
	v_cvt_f32_i32_e32 v4, v4
	v_add_u32_e32 v5, 2, v3
	v_cvt_f32_i32_e32 v5, v5
	v_accvgpr_read_b32 v6, a0
	v_fma_f32 v4, v46, v4, v6
	v_accvgpr_read_b32 v6, a1
	v_fma_f32 v5, v46, v5, v6
	v_add_u32_e32 v6, 3, v3
	v_cvt_f32_i32_e32 v6, v6
	v_accvgpr_read_b32 v7, a2
	v_add_u32_e32 v3, 4, v3
	v_cmp_gt_i32_e32 vcc, s9, v2
	v_fma_f32 v7, v46, v6, v7
	v_max_f32_e32 v6, 0xff7fffff, v4
	v_cvt_f32_i32_e32 v3, v3
	v_cndmask_b32_e32 v6, v9, v6, vcc
	v_or_b32_e32 v9, 1, v2
	v_max_f32_e32 v10, v6, v5
	v_cmp_gt_i32_e64 s[4:5], s9, v9
	v_cndmask_b32_e64 v6, v6, v10, s[4:5]
	v_or_b32_e32 v2, 2, v2
	v_accvgpr_read_b32 v8, a3
	v_max_f32_e32 v9, v6, v7
	v_cmp_gt_i32_e64 s[10:11], s9, v2
	v_fmac_f32_e32 v8, v46, v3
	v_cndmask_b32_e64 v2, v6, v9, s[10:11]
	v_or_b32_e32 v6, 3, v45
	v_max_f32_e32 v9, v2, v8
	v_cmp_gt_i32_e64 s[12:13], s9, v6
	v_lshlrev_b32_e32 v3, 2, v0
	v_cndmask_b32_e64 v2, v2, v9, s[12:13]
	v_and_or_b32 v3, v3, 48, v44
	;;#ASMSTART
	v_nop
 v_nop
 v_max_f32_dpp v2, v2, v2 row_ror:4
	;;#ASMEND
	v_lshlrev_b32_e32 v9, 2, v3
	;;#ASMSTART
	v_nop
 v_nop
 v_max_f32_dpp v2, v2, v2 row_ror:8
	;;#ASMEND
	ds_bpermute_b32 v2, v9, v2
	s_waitcnt lgkmcnt(0)
	;;#ASMSTART
	v_nop
 v_nop
 v_max_f32_dpp v2, v2, v2 row_ror:4
	;;#ASMEND
	;;#ASMSTART
	v_nop
 v_nop
 v_max_f32_dpp v6, v2, v2 row_ror:8
	;;#ASMEND
	v_sub_f32_e32 v2, v4, v6
	v_mul_f32_e32 v2, 0x3fb8aa3b, v2
	v_sub_f32_e32 v3, v5, v6
	v_exp_f32_e32 v2, v2
	v_mul_f32_e32 v3, 0x3fb8aa3b, v3
	v_sub_f32_e32 v5, v7, v6
	v_exp_f32_e32 v3, v3
	;; [unrolled: 3-line block ×3, first 2 shown]
	v_mul_f32_e32 v7, 0x3fb8aa3b, v7
	v_exp_f32_e32 v7, v7
	v_cndmask_b32_e32 v2, 0, v2, vcc
	v_add_f32_e32 v4, 0, v2
	v_cndmask_b32_e64 v3, 0, v3, s[4:5]
	v_add_f32_e32 v8, v4, v3
	v_cndmask_b32_e64 v4, 0, v5, s[10:11]
	;; [unrolled: 2-line block ×3, first 2 shown]
	v_add_f32_e32 v7, v8, v5
	;;#ASMSTART
	v_nop
 v_nop
 v_add_f32_dpp v7, v7, v7 row_ror:4
	;;#ASMEND
	;;#ASMSTART
	v_nop
 v_nop
 v_add_f32_dpp v7, v7, v7 row_ror:8
	;;#ASMEND
	ds_bpermute_b32 v7, v9, v7
	s_waitcnt lgkmcnt(0)
	;;#ASMSTART
	v_nop
 v_nop
 v_add_f32_dpp v7, v7, v7 row_ror:4
	;;#ASMEND
	v_cmp_gt_u32_e32 vcc, 4, v1
	;;#ASMSTART
	v_nop
 v_nop
 v_add_f32_dpp v7, v7, v7 row_ror:8
	;;#ASMEND
	s_and_saveexec_b64 s[4:5], vcc
	s_cbranch_execz .LBB797_780
; %bb.779:
	v_mul_u32_u24_e32 v8, 20, v43
	v_lshl_add_u32 v8, v44, 2, v8
	v_add_u32_e32 v8, 0x1400, v8
	ds_write2_b32 v8, v6, v7 offset1:20
.LBB797_780:
	s_or_b64 exec, exec, s[4:5]
.LBB797_781:
	s_or_b64 exec, exec, s[36:37]
	v_lshlrev_b32_e32 v7, 2, v44
	v_add_u32_e32 v7, 0x1400, v7
	s_waitcnt lgkmcnt(0)
	s_barrier
	s_load_dword s4, s[34:35], 0x8
	ds_read2_b32 v[10:11], v7 offset1:5
	ds_read2_b32 v[12:13], v7 offset0:10 offset1:15
	s_mov_b32 s12, 0xff7fffff
	s_mul_i32 s5, s8, s48
	ds_read2_b32 v[14:15], v7 offset0:20 offset1:25
	s_waitcnt lgkmcnt(0)
	v_max3_f32 v8, v10, s12, v11
	v_max3_f32 v8, v8, v12, v13
	v_sub_f32_e32 v9, v10, v8
	v_sub_f32_e32 v10, v11, v8
	v_mul_f32_e32 v9, 0x3fb8aa3b, v9
	v_mul_f32_e32 v10, 0x3fb8aa3b, v10
	s_mul_i32 s5, s5, s4
	v_exp_f32_e32 v9, v9
	v_exp_f32_e32 v16, v10
	ds_read2_b32 v[10:11], v7 offset0:30 offset1:35
	v_sub_f32_e32 v7, v12, v8
	s_lshl_b32 s4, s5, 2
	s_mov_b32 s5, 0
	v_mul_f32_e32 v7, 0x3fb8aa3b, v7
	v_sub_f32_e32 v12, v13, v8
	s_lshl_b64 s[8:9], s[4:5], 2
	v_exp_f32_e32 v7, v7
	v_mul_f32_e32 v12, 0x3fb8aa3b, v12
	s_add_u32 s10, s16, s8
	v_exp_f32_e32 v12, v12
	s_addc_u32 s11, s17, s9
	v_fma_f32 v9, v9, v14, 0
	s_mov_b32 s29, s5
	s_add_u32 s12, s18, s8
	v_fmac_f32_e32 v9, v16, v15
	s_addc_u32 s13, s19, s9
	s_lshl_b64 s[8:9], s[28:29], 2
	s_waitcnt lgkmcnt(0)
	v_fmac_f32_e32 v9, v7, v10
	s_add_u32 s12, s12, s8
	v_fmac_f32_e32 v9, v12, v11
	v_mul_lo_u32 v10, s48, v38
	v_mov_b32_e32 v11, 0
	s_addc_u32 s13, s13, s9
	v_lshlrev_b64 v[10:11], 2, v[10:11]
	s_add_u32 s8, s10, s8
	v_mov_b32_e32 v7, s13
	v_add_co_u32_e32 v12, vcc, s12, v10
	s_addc_u32 s9, s11, s9
	v_addc_co_u32_e32 v13, vcc, v7, v11, vcc
	v_mov_b32_e32 v7, s9
	v_add_co_u32_e32 v10, vcc, s8, v10
	v_addc_co_u32_e32 v11, vcc, v7, v11, vcc
	v_lshlrev_b32_e32 v7, 3, v43
	global_store_dword v[12:13], v8, off
	global_store_dword v[10:11], v9, off
	s_and_saveexec_b64 s[8:9], s[6:7]
	s_xor_b64 s[6:7], exec, s[8:9]
	s_cbranch_execz .LBB797_783
; %bb.782:
	s_mov_b32 s8, s5
	s_mov_b32 s9, s5
	v_mad_u32_u24 v4, v1, 40, v7
	v_pk_mov_b32 v[2:3], s[8:9], s[8:9] op_sel:[0,1]
	ds_write2st64_b64 v4, v[2:3], v[2:3] offset1:5
                                        ; implicit-def: $vgpr7
                                        ; implicit-def: $vgpr9
                                        ; implicit-def: $vgpr6
                                        ; implicit-def: $vgpr8
                                        ; implicit-def: $vgpr4
                                        ; implicit-def: $vgpr2
.LBB797_783:
	s_andn2_saveexec_b64 s[6:7], s[6:7]
	s_cbranch_execz .LBB797_1171
; %bb.784:
	v_add_f32_e32 v9, 0x358637bd, v9
	v_div_scale_f32 v10, s[8:9], v9, v9, 1.0
	v_rcp_f32_e32 v11, v10
	v_div_scale_f32 v12, vcc, 1.0, v9, 1.0
	v_sub_f32_e32 v6, v6, v8
	v_fma_f32 v13, -v10, v11, 1.0
	v_fmac_f32_e32 v11, v13, v11
	v_mul_f32_e32 v13, v12, v11
	v_fma_f32 v14, -v10, v13, v12
	v_mul_f32_e32 v6, 0x3fb8aa3b, v6
	v_fmac_f32_e32 v13, v14, v11
	v_exp_f32_e32 v6, v6
	v_fma_f32 v10, -v10, v13, v12
	v_div_fmas_f32 v8, v10, v11, v13
	v_div_fixup_f32 v8, v8, v9, 1.0
	v_mul_f32_e32 v6, v6, v8
	v_pk_mul_f32 v[2:3], v[2:3], v[6:7] op_sel_hi:[1,0]
	s_load_dword s8, s[14:15], 0x0
	v_pk_mul_f32 v[4:5], v[4:5], v[6:7] op_sel_hi:[1,0]
	v_bfe_u32 v6, v3, 16, 1
	v_bfe_u32 v8, v2, 16, 1
	s_movk_i32 s5, 0x7fff
	v_add3_u32 v2, v2, v8, s5
	v_add3_u32 v3, v3, v6, s5
	s_mov_b32 s20, 0x7060302
	v_perm_b32 v2, v3, v2, s20
	v_bfe_u32 v3, v5, 16, 1
	v_bfe_u32 v6, v4, 16, 1
	v_add3_u32 v4, v4, v6, s5
	v_add3_u32 v3, v5, v3, s5
	v_mov_b32_e32 v11, 0
	v_perm_b32 v3, v3, v4, s20
	v_add_u32_e32 v5, 64, v11
	s_waitcnt lgkmcnt(0)
	s_mov_b32 s9, s8
	s_mov_b32 s10, s8
	;; [unrolled: 1-line block ×4, first 2 shown]
	s_mov_b64 s[12:13], -1
	s_movk_i32 s21, 0x80
	s_movk_i32 s23, 0x7f
	s_mov_b32 s24, 0xffffff
	s_mov_b32 s25, 0x5040100
	v_mov_b32_e32 v9, 0
	v_bfrev_b32_e32 v10, 60
	s_branch .LBB797_788
.LBB797_785:                            ;   in Loop: Header=BB797_788 Depth=1
	s_or_b64 exec, exec, s[18:19]
.LBB797_786:                            ;   in Loop: Header=BB797_788 Depth=1
	s_or_b64 exec, exec, s[16:17]
.LBB797_787:                            ;   in Loop: Header=BB797_788 Depth=1
	s_or_b64 exec, exec, s[14:15]
	v_perm_b32 v19, v15, v12, s25
	v_perm_b32 v18, v11, v13, s25
	;; [unrolled: 1-line block ×4, first 2 shown]
	v_mfma_f32_4x4x4bf16_1k a[0:3], v[2:3], v[18:19], a[0:3] cbsz:4 abid:14
	s_mul_i32 s14, s22, 0xa00
	v_mfma_f32_4x4x4bf16_1k a[0:3], v[2:3], v[12:13], a[0:3] cbsz:4 abid:15
	s_mov_b32 s22, 1
	v_mov_b32_e32 v11, v5
	s_nop 2
	v_accvgpr_read_b32 v15, a1
	v_accvgpr_read_b32 v14, a0
	v_pk_mul_f32 v[14:15], v[14:15], s[8:9]
	v_accvgpr_read_b32 v13, a3
	v_accvgpr_read_b32 v12, a2
	v_bfe_u32 v4, v15, 16, 1
	v_bfe_u32 v6, v14, 16, 1
	v_pk_mul_f32 v[12:13], v[12:13], s[10:11]
	v_add3_u32 v6, v14, v6, s5
	v_add3_u32 v4, v15, v4, s5
	v_perm_b32 v14, v4, v6, s20
	v_bfe_u32 v4, v13, 16, 1
	v_bfe_u32 v6, v12, 16, 1
	v_add3_u32 v6, v12, v6, s5
	v_add3_u32 v4, v13, v4, s5
	v_perm_b32 v15, v4, v6, s20
	v_mul_u32_u24_e32 v4, 40, v1
	v_add3_u32 v4, s14, v4, v7
	s_xor_b64 s[14:15], s[12:13], -1
	s_mov_b64 s[12:13], 0
	s_andn2_b64 vcc, exec, s[14:15]
	ds_write_b64 v4, v[14:15]
	s_cbranch_vccz .LBB797_1171
.LBB797_788:                            ; =>This Inner Loop Header: Depth=1
	buffer_load_dword v6, v11, s[0:3], 0 offen
	buffer_load_dword v4, v11, s[0:3], 0 offen offset:4
	v_mov_b32_e32 v13, 0
	s_waitcnt vmcnt(1)
	v_cmp_ne_u16_sdwa s[16:17], v6, v9 src0_sel:BYTE_0 src1_sel:DWORD
	s_and_saveexec_b64 s[14:15], s[16:17]
	s_cbranch_execz .LBB797_794
; %bb.789:                              ;   in Loop: Header=BB797_788 Depth=1
	v_cmp_ne_u16_sdwa s[18:19], v6, s21 src0_sel:BYTE_0 src1_sel:DWORD
	v_mov_b32_e32 v13, 0xffff8000
	s_and_saveexec_b64 s[16:17], s[18:19]
	s_cbranch_execz .LBB797_793
; %bb.790:                              ;   in Loop: Header=BB797_788 Depth=1
	v_and_b32_e32 v8, 0x7f, v6
	v_cmp_ne_u32_e32 vcc, s23, v8
	v_mov_b32_e32 v13, 0x7f80
	s_and_saveexec_b64 s[18:19], vcc
	s_cbranch_execz .LBB797_792
; %bb.791:                              ;   in Loop: Header=BB797_788 Depth=1
	v_and_b32_e32 v14, 7, v6
	v_ffbh_u32_e32 v12, v14
	v_min_u32_e32 v16, 32, v12
	v_subrev_u32_e32 v12, 28, v16
	v_lshlrev_b64 v[12:13], v12, v[6:7]
	v_lshrrev_b32_e32 v15, 3, v8
	v_sub_u32_e32 v13, 29, v16
	v_and_b32_e32 v12, 7, v12
	v_cmp_gt_u32_e32 vcc, 8, v8
	v_cndmask_b32_e32 v8, v15, v13, vcc
	v_cndmask_b32_e32 v12, v14, v12, vcc
	v_lshlrev_b32_e32 v13, 24, v6
	v_lshlrev_b32_e32 v12, 20, v12
	v_and_b32_e32 v13, 0x80000000, v13
	v_lshl_add_u32 v8, v8, 23, v10
	v_or3_b32 v8, v13, v8, v12
	v_lshrrev_b32_e32 v13, 16, v8
.LBB797_792:                            ;   in Loop: Header=BB797_788 Depth=1
	s_or_b64 exec, exec, s[18:19]
.LBB797_793:                            ;   in Loop: Header=BB797_788 Depth=1
	s_or_b64 exec, exec, s[16:17]
.LBB797_794:                            ;   in Loop: Header=BB797_788 Depth=1
	s_or_b64 exec, exec, s[14:15]
	v_lshrrev_b16_e32 v8, 8, v6
	v_cmp_ne_u16_e32 vcc, 0, v8
	v_mov_b32_e32 v15, 0
	v_mov_b32_e32 v14, 0
	s_and_saveexec_b64 s[14:15], vcc
	s_cbranch_execz .LBB797_800
; %bb.795:                              ;   in Loop: Header=BB797_788 Depth=1
	v_cmp_ne_u16_e32 vcc, s21, v8
	v_mov_b32_e32 v14, 0xffff8000
	s_and_saveexec_b64 s[16:17], vcc
	s_cbranch_execz .LBB797_799
; %bb.796:                              ;   in Loop: Header=BB797_788 Depth=1
	v_and_b32_e32 v12, 0x7f, v8
	v_cmp_ne_u32_e32 vcc, s23, v12
	v_mov_b32_e32 v14, 0x7f80
	s_and_saveexec_b64 s[18:19], vcc
	s_cbranch_execz .LBB797_798
; %bb.797:                              ;   in Loop: Header=BB797_788 Depth=1
	v_and_b32_e32 v14, 7, v8
	v_ffbh_u32_e32 v16, v14
	v_min_u32_e32 v19, 32, v16
	v_subrev_u32_e32 v16, 28, v19
	v_lshlrev_b64 v[16:17], v16, v[8:9]
	v_lshrrev_b32_e32 v18, 3, v12
	v_sub_u32_e32 v8, 29, v19
	v_and_b32_e32 v16, 7, v16
	v_cmp_gt_u32_e32 vcc, 8, v12
	v_cndmask_b32_e32 v8, v18, v8, vcc
	v_cndmask_b32_e32 v12, v14, v16, vcc
	v_lshlrev_b32_e32 v14, 16, v6
	v_lshlrev_b32_e32 v12, 20, v12
	v_and_b32_e32 v14, 0x80000000, v14
	v_lshl_add_u32 v8, v8, 23, v10
	v_or3_b32 v8, v14, v8, v12
	v_lshrrev_b32_e32 v14, 16, v8
.LBB797_798:                            ;   in Loop: Header=BB797_788 Depth=1
	s_or_b64 exec, exec, s[18:19]
.LBB797_799:                            ;   in Loop: Header=BB797_788 Depth=1
	s_or_b64 exec, exec, s[16:17]
.LBB797_800:                            ;   in Loop: Header=BB797_788 Depth=1
	s_or_b64 exec, exec, s[14:15]
	v_lshrrev_b32_e32 v8, 16, v6
	v_cmp_ne_u16_sdwa s[16:17], v8, v9 src0_sel:BYTE_0 src1_sel:DWORD
	s_and_saveexec_b64 s[14:15], s[16:17]
	s_cbranch_execz .LBB797_806
; %bb.801:                              ;   in Loop: Header=BB797_788 Depth=1
	v_cmp_ne_u16_sdwa s[18:19], v8, s21 src0_sel:BYTE_0 src1_sel:DWORD
	v_mov_b32_e32 v15, 0xffff8000
	s_and_saveexec_b64 s[16:17], s[18:19]
	s_cbranch_execz .LBB797_805
; %bb.802:                              ;   in Loop: Header=BB797_788 Depth=1
	v_bfe_u32 v12, v6, 16, 7
	v_cmp_ne_u32_e32 vcc, s23, v12
	v_mov_b32_e32 v15, 0x7f80
	s_and_saveexec_b64 s[18:19], vcc
	s_cbranch_execz .LBB797_804
; %bb.803:                              ;   in Loop: Header=BB797_788 Depth=1
	v_and_b32_e32 v15, 7, v8
	v_ffbh_u32_e32 v16, v15
	v_min_u32_e32 v19, 32, v16
	v_subrev_u32_e32 v16, 28, v19
	v_lshlrev_b64 v[16:17], v16, v[8:9]
	v_lshrrev_b32_e32 v18, 3, v12
	v_sub_u32_e32 v17, 29, v19
	v_and_b32_e32 v16, 7, v16
	v_cmp_gt_u32_e32 vcc, 8, v12
	v_cndmask_b32_e32 v12, v18, v17, vcc
	v_cndmask_b32_e32 v15, v15, v16, vcc
	v_lshlrev_b32_e32 v8, 24, v8
	v_lshlrev_b32_e32 v15, 20, v15
	v_and_b32_e32 v8, 0x80000000, v8
	v_lshl_add_u32 v12, v12, 23, v10
	v_or3_b32 v8, v8, v12, v15
	v_lshrrev_b32_e32 v15, 16, v8
.LBB797_804:                            ;   in Loop: Header=BB797_788 Depth=1
	s_or_b64 exec, exec, s[18:19]
.LBB797_805:                            ;   in Loop: Header=BB797_788 Depth=1
	s_or_b64 exec, exec, s[16:17]
.LBB797_806:                            ;   in Loop: Header=BB797_788 Depth=1
	s_or_b64 exec, exec, s[14:15]
	v_cmp_lt_u32_e32 vcc, s24, v6
	v_mov_b32_e32 v16, 0
	v_mov_b32_e32 v17, 0
	s_and_saveexec_b64 s[14:15], vcc
	s_cbranch_execz .LBB797_812
; %bb.807:                              ;   in Loop: Header=BB797_788 Depth=1
	v_lshrrev_b32_e32 v8, 24, v6
	v_cmp_ne_u32_e32 vcc, s21, v8
	v_mov_b32_e32 v17, 0xffff8000
	s_and_saveexec_b64 s[16:17], vcc
	s_cbranch_execz .LBB797_811
; %bb.808:                              ;   in Loop: Header=BB797_788 Depth=1
	v_bfe_u32 v6, v6, 24, 7
	v_cmp_ne_u32_e32 vcc, s23, v6
	v_mov_b32_e32 v17, 0x7f80
	s_and_saveexec_b64 s[18:19], vcc
	s_cbranch_execz .LBB797_810
; %bb.809:                              ;   in Loop: Header=BB797_788 Depth=1
	v_and_b32_e32 v12, 7, v8
	v_ffbh_u32_e32 v18, v12
	v_min_u32_e32 v20, 32, v18
	v_subrev_u32_e32 v18, 28, v20
	v_lshlrev_b64 v[18:19], v18, v[8:9]
	v_lshrrev_b32_e32 v17, 3, v6
	v_sub_u32_e32 v19, 29, v20
	v_and_b32_e32 v18, 7, v18
	v_cmp_gt_u32_e32 vcc, 8, v6
	v_cndmask_b32_e32 v6, v17, v19, vcc
	v_cndmask_b32_e32 v12, v12, v18, vcc
	v_lshlrev_b32_e32 v8, 24, v8
	v_lshlrev_b32_e32 v12, 20, v12
	v_and_b32_e32 v8, 0x80000000, v8
	v_lshl_add_u32 v6, v6, 23, v10
	v_or3_b32 v6, v8, v6, v12
	v_lshrrev_b32_e32 v17, 16, v6
.LBB797_810:                            ;   in Loop: Header=BB797_788 Depth=1
	s_or_b64 exec, exec, s[18:19]
.LBB797_811:                            ;   in Loop: Header=BB797_788 Depth=1
	s_or_b64 exec, exec, s[16:17]
.LBB797_812:                            ;   in Loop: Header=BB797_788 Depth=1
	s_or_b64 exec, exec, s[14:15]
	s_waitcnt vmcnt(0)
	v_cmp_ne_u16_sdwa s[16:17], v4, v9 src0_sel:BYTE_0 src1_sel:DWORD
	s_and_saveexec_b64 s[14:15], s[16:17]
	s_cbranch_execz .LBB797_818
; %bb.813:                              ;   in Loop: Header=BB797_788 Depth=1
	v_cmp_ne_u16_sdwa s[18:19], v4, s21 src0_sel:BYTE_0 src1_sel:DWORD
	v_mov_b32_e32 v16, 0xffff8000
	s_and_saveexec_b64 s[16:17], s[18:19]
	s_cbranch_execz .LBB797_817
; %bb.814:                              ;   in Loop: Header=BB797_788 Depth=1
	v_and_b32_e32 v6, 0x7f, v4
	v_cmp_ne_u32_e32 vcc, s23, v6
	v_mov_b32_e32 v16, 0x7f80
	s_and_saveexec_b64 s[18:19], vcc
	s_cbranch_execz .LBB797_816
; %bb.815:                              ;   in Loop: Header=BB797_788 Depth=1
	v_and_b32_e32 v8, 7, v4
	v_ffbh_u32_e32 v16, v8
	v_min_u32_e32 v16, 32, v16
	v_subrev_u32_e32 v18, 28, v16
	v_lshlrev_b64 v[18:19], v18, v[4:5]
	v_lshrrev_b32_e32 v12, 3, v6
	v_sub_u32_e32 v16, 29, v16
	v_and_b32_e32 v18, 7, v18
	v_cmp_gt_u32_e32 vcc, 8, v6
	v_cndmask_b32_e32 v6, v12, v16, vcc
	v_cndmask_b32_e32 v8, v8, v18, vcc
	v_lshlrev_b32_e32 v12, 24, v4
	v_lshlrev_b32_e32 v8, 20, v8
	v_and_b32_e32 v12, 0x80000000, v12
	v_lshl_add_u32 v6, v6, 23, v10
	v_or3_b32 v6, v12, v6, v8
	v_lshrrev_b32_e32 v16, 16, v6
.LBB797_816:                            ;   in Loop: Header=BB797_788 Depth=1
	s_or_b64 exec, exec, s[18:19]
.LBB797_817:                            ;   in Loop: Header=BB797_788 Depth=1
	s_or_b64 exec, exec, s[16:17]
.LBB797_818:                            ;   in Loop: Header=BB797_788 Depth=1
	s_or_b64 exec, exec, s[14:15]
	v_lshrrev_b16_e32 v6, 8, v4
	v_cmp_ne_u16_e32 vcc, 0, v6
	v_mov_b32_e32 v18, 0
	v_mov_b32_e32 v8, 0
	s_and_saveexec_b64 s[14:15], vcc
	s_cbranch_execz .LBB797_824
; %bb.819:                              ;   in Loop: Header=BB797_788 Depth=1
	v_cmp_ne_u16_e32 vcc, s21, v6
	v_mov_b32_e32 v8, 0xffff8000
	s_and_saveexec_b64 s[16:17], vcc
	s_cbranch_execz .LBB797_823
; %bb.820:                              ;   in Loop: Header=BB797_788 Depth=1
	v_and_b32_e32 v12, 0x7f, v6
	v_cmp_ne_u32_e32 vcc, s23, v12
	v_mov_b32_e32 v8, 0x7f80
	s_and_saveexec_b64 s[18:19], vcc
	s_cbranch_execz .LBB797_822
; %bb.821:                              ;   in Loop: Header=BB797_788 Depth=1
	v_and_b32_e32 v8, 7, v6
	v_ffbh_u32_e32 v20, v8
	v_min_u32_e32 v22, 32, v20
	v_subrev_u32_e32 v20, 28, v22
	v_lshlrev_b64 v[20:21], v20, v[6:7]
	v_lshrrev_b32_e32 v19, 3, v12
	v_sub_u32_e32 v6, 29, v22
	v_and_b32_e32 v20, 7, v20
	v_cmp_gt_u32_e32 vcc, 8, v12
	v_cndmask_b32_e32 v6, v19, v6, vcc
	v_cndmask_b32_e32 v8, v8, v20, vcc
	v_lshlrev_b32_e32 v12, 16, v4
	v_lshlrev_b32_e32 v8, 20, v8
	v_and_b32_e32 v12, 0x80000000, v12
	v_lshl_add_u32 v6, v6, 23, v10
	v_or3_b32 v6, v12, v6, v8
	v_lshrrev_b32_e32 v8, 16, v6
.LBB797_822:                            ;   in Loop: Header=BB797_788 Depth=1
	s_or_b64 exec, exec, s[18:19]
.LBB797_823:                            ;   in Loop: Header=BB797_788 Depth=1
	s_or_b64 exec, exec, s[16:17]
.LBB797_824:                            ;   in Loop: Header=BB797_788 Depth=1
	s_or_b64 exec, exec, s[14:15]
	v_lshrrev_b32_e32 v6, 16, v4
	v_cmp_ne_u16_sdwa s[16:17], v6, v9 src0_sel:BYTE_0 src1_sel:DWORD
	s_and_saveexec_b64 s[14:15], s[16:17]
	s_cbranch_execz .LBB797_830
; %bb.825:                              ;   in Loop: Header=BB797_788 Depth=1
	v_cmp_ne_u16_sdwa s[18:19], v6, s21 src0_sel:BYTE_0 src1_sel:DWORD
	v_mov_b32_e32 v18, 0xffff8000
	s_and_saveexec_b64 s[16:17], s[18:19]
	s_cbranch_execz .LBB797_829
; %bb.826:                              ;   in Loop: Header=BB797_788 Depth=1
	v_bfe_u32 v12, v4, 16, 7
	v_cmp_ne_u32_e32 vcc, s23, v12
	v_mov_b32_e32 v18, 0x7f80
	s_and_saveexec_b64 s[18:19], vcc
	s_cbranch_execz .LBB797_828
; %bb.827:                              ;   in Loop: Header=BB797_788 Depth=1
	v_and_b32_e32 v20, 7, v6
	v_ffbh_u32_e32 v18, v20
	v_min_u32_e32 v22, 32, v18
	v_subrev_u32_e32 v18, 28, v22
	v_lshlrev_b64 v[18:19], v18, v[6:7]
	v_lshrrev_b32_e32 v21, 3, v12
	v_sub_u32_e32 v19, 29, v22
	v_and_b32_e32 v18, 7, v18
	v_cmp_gt_u32_e32 vcc, 8, v12
	v_cndmask_b32_e32 v12, v21, v19, vcc
	v_cndmask_b32_e32 v18, v20, v18, vcc
	v_lshlrev_b32_e32 v6, 24, v6
	v_lshlrev_b32_e32 v18, 20, v18
	v_and_b32_e32 v6, 0x80000000, v6
	v_lshl_add_u32 v12, v12, 23, v10
	v_or3_b32 v6, v6, v12, v18
	v_lshrrev_b32_e32 v18, 16, v6
.LBB797_828:                            ;   in Loop: Header=BB797_788 Depth=1
	s_or_b64 exec, exec, s[18:19]
.LBB797_829:                            ;   in Loop: Header=BB797_788 Depth=1
	s_or_b64 exec, exec, s[16:17]
.LBB797_830:                            ;   in Loop: Header=BB797_788 Depth=1
	s_or_b64 exec, exec, s[14:15]
	v_cmp_lt_u32_e32 vcc, s24, v4
	v_mov_b32_e32 v12, 0
	v_mov_b32_e32 v19, 0
	s_and_saveexec_b64 s[14:15], vcc
	s_cbranch_execz .LBB797_836
; %bb.831:                              ;   in Loop: Header=BB797_788 Depth=1
	v_lshrrev_b32_e32 v6, 24, v4
	v_cmp_ne_u32_e32 vcc, s21, v6
	v_mov_b32_e32 v19, 0xffff8000
	s_and_saveexec_b64 s[16:17], vcc
	s_cbranch_execz .LBB797_835
; %bb.832:                              ;   in Loop: Header=BB797_788 Depth=1
	v_bfe_u32 v4, v4, 24, 7
	v_cmp_ne_u32_e32 vcc, s23, v4
	v_mov_b32_e32 v19, 0x7f80
	s_and_saveexec_b64 s[18:19], vcc
	s_cbranch_execz .LBB797_834
; %bb.833:                              ;   in Loop: Header=BB797_788 Depth=1
	v_and_b32_e32 v19, 7, v6
	v_ffbh_u32_e32 v20, v19
	v_min_u32_e32 v23, 32, v20
	v_subrev_u32_e32 v20, 28, v23
	v_lshlrev_b64 v[20:21], v20, v[6:7]
	v_lshrrev_b32_e32 v22, 3, v4
	v_sub_u32_e32 v21, 29, v23
	v_and_b32_e32 v20, 7, v20
	v_cmp_gt_u32_e32 vcc, 8, v4
	v_cndmask_b32_e32 v4, v22, v21, vcc
	v_cndmask_b32_e32 v19, v19, v20, vcc
	v_lshlrev_b32_e32 v6, 24, v6
	v_lshlrev_b32_e32 v19, 20, v19
	v_and_b32_e32 v6, 0x80000000, v6
	v_lshl_add_u32 v4, v4, 23, v10
	v_or3_b32 v4, v6, v4, v19
	v_lshrrev_b32_e32 v19, 16, v4
.LBB797_834:                            ;   in Loop: Header=BB797_788 Depth=1
	s_or_b64 exec, exec, s[18:19]
.LBB797_835:                            ;   in Loop: Header=BB797_788 Depth=1
	s_or_b64 exec, exec, s[16:17]
.LBB797_836:                            ;   in Loop: Header=BB797_788 Depth=1
	s_or_b64 exec, exec, s[14:15]
	buffer_load_dword v6, v11, s[0:3], 0 offen offset:8
	buffer_load_dword v4, v11, s[0:3], 0 offen offset:12
	v_perm_b32 v15, v17, v15, s25
	v_perm_b32 v14, v14, v13, s25
	;; [unrolled: 1-line block ×4, first 2 shown]
	v_mfma_f32_4x4x4bf16_1k a[0:3], v[2:3], v[14:15], 0 cbsz:4
	s_waitcnt vmcnt(1)
	v_cmp_ne_u16_sdwa s[16:17], v6, v9 src0_sel:BYTE_0 src1_sel:DWORD
	v_mfma_f32_4x4x4bf16_1k a[0:3], v[2:3], v[16:17], a[0:3] cbsz:4 abid:1
	s_and_saveexec_b64 s[14:15], s[16:17]
	s_cbranch_execz .LBB797_842
; %bb.837:                              ;   in Loop: Header=BB797_788 Depth=1
	v_cmp_ne_u16_sdwa s[18:19], v6, s21 src0_sel:BYTE_0 src1_sel:DWORD
	v_mov_b32_e32 v12, 0xffff8000
	s_and_saveexec_b64 s[16:17], s[18:19]
	s_cbranch_execz .LBB797_841
; %bb.838:                              ;   in Loop: Header=BB797_788 Depth=1
	v_and_b32_e32 v8, 0x7f, v6
	v_cmp_ne_u32_e32 vcc, s23, v8
	v_mov_b32_e32 v12, 0x7f80
	s_and_saveexec_b64 s[18:19], vcc
	s_cbranch_execz .LBB797_840
; %bb.839:                              ;   in Loop: Header=BB797_788 Depth=1
	v_and_b32_e32 v14, 7, v6
	v_ffbh_u32_e32 v12, v14
	v_min_u32_e32 v16, 32, v12
	v_subrev_u32_e32 v12, 28, v16
	v_lshlrev_b64 v[12:13], v12, v[6:7]
	v_lshrrev_b32_e32 v15, 3, v8
	v_sub_u32_e32 v13, 29, v16
	v_and_b32_e32 v12, 7, v12
	v_cmp_gt_u32_e32 vcc, 8, v8
	v_cndmask_b32_e32 v8, v15, v13, vcc
	v_cndmask_b32_e32 v12, v14, v12, vcc
	v_lshlrev_b32_e32 v13, 24, v6
	v_lshlrev_b32_e32 v12, 20, v12
	v_and_b32_e32 v13, 0x80000000, v13
	v_lshl_add_u32 v8, v8, 23, v10
	v_or3_b32 v8, v13, v8, v12
	v_lshrrev_b32_e32 v12, 16, v8
.LBB797_840:                            ;   in Loop: Header=BB797_788 Depth=1
	s_or_b64 exec, exec, s[18:19]
.LBB797_841:                            ;   in Loop: Header=BB797_788 Depth=1
	s_or_b64 exec, exec, s[16:17]
.LBB797_842:                            ;   in Loop: Header=BB797_788 Depth=1
	s_or_b64 exec, exec, s[14:15]
	v_lshrrev_b16_e32 v8, 8, v6
	v_cmp_ne_u16_e32 vcc, 0, v8
	v_mov_b32_e32 v15, 0
	v_mov_b32_e32 v14, 0
	s_and_saveexec_b64 s[14:15], vcc
	s_cbranch_execz .LBB797_848
; %bb.843:                              ;   in Loop: Header=BB797_788 Depth=1
	v_cmp_ne_u16_e32 vcc, s21, v8
	v_mov_b32_e32 v14, 0xffff8000
	s_and_saveexec_b64 s[16:17], vcc
	s_cbranch_execz .LBB797_847
; %bb.844:                              ;   in Loop: Header=BB797_788 Depth=1
	v_and_b32_e32 v13, 0x7f, v8
	v_cmp_ne_u32_e32 vcc, s23, v13
	v_mov_b32_e32 v14, 0x7f80
	s_and_saveexec_b64 s[18:19], vcc
	s_cbranch_execz .LBB797_846
; %bb.845:                              ;   in Loop: Header=BB797_788 Depth=1
	v_and_b32_e32 v14, 7, v8
	v_ffbh_u32_e32 v16, v14
	v_min_u32_e32 v19, 32, v16
	v_subrev_u32_e32 v16, 28, v19
	v_lshlrev_b64 v[16:17], v16, v[8:9]
	v_lshrrev_b32_e32 v18, 3, v13
	v_sub_u32_e32 v8, 29, v19
	v_and_b32_e32 v16, 7, v16
	v_cmp_gt_u32_e32 vcc, 8, v13
	v_cndmask_b32_e32 v8, v18, v8, vcc
	v_cndmask_b32_e32 v13, v14, v16, vcc
	v_lshlrev_b32_e32 v14, 16, v6
	v_lshlrev_b32_e32 v13, 20, v13
	v_and_b32_e32 v14, 0x80000000, v14
	v_lshl_add_u32 v8, v8, 23, v10
	v_or3_b32 v8, v14, v8, v13
	v_lshrrev_b32_e32 v14, 16, v8
.LBB797_846:                            ;   in Loop: Header=BB797_788 Depth=1
	s_or_b64 exec, exec, s[18:19]
.LBB797_847:                            ;   in Loop: Header=BB797_788 Depth=1
	s_or_b64 exec, exec, s[16:17]
.LBB797_848:                            ;   in Loop: Header=BB797_788 Depth=1
	s_or_b64 exec, exec, s[14:15]
	v_lshrrev_b32_e32 v8, 16, v6
	v_cmp_ne_u16_sdwa s[16:17], v8, v9 src0_sel:BYTE_0 src1_sel:DWORD
	s_and_saveexec_b64 s[14:15], s[16:17]
	s_cbranch_execz .LBB797_854
; %bb.849:                              ;   in Loop: Header=BB797_788 Depth=1
	v_cmp_ne_u16_sdwa s[18:19], v8, s21 src0_sel:BYTE_0 src1_sel:DWORD
	v_mov_b32_e32 v15, 0xffff8000
	s_and_saveexec_b64 s[16:17], s[18:19]
	s_cbranch_execz .LBB797_853
; %bb.850:                              ;   in Loop: Header=BB797_788 Depth=1
	v_bfe_u32 v13, v6, 16, 7
	v_cmp_ne_u32_e32 vcc, s23, v13
	v_mov_b32_e32 v15, 0x7f80
	s_and_saveexec_b64 s[18:19], vcc
	s_cbranch_execz .LBB797_852
; %bb.851:                              ;   in Loop: Header=BB797_788 Depth=1
	v_and_b32_e32 v15, 7, v8
	v_ffbh_u32_e32 v16, v15
	v_min_u32_e32 v19, 32, v16
	v_subrev_u32_e32 v16, 28, v19
	v_lshlrev_b64 v[16:17], v16, v[8:9]
	v_lshrrev_b32_e32 v18, 3, v13
	v_sub_u32_e32 v17, 29, v19
	v_and_b32_e32 v16, 7, v16
	v_cmp_gt_u32_e32 vcc, 8, v13
	v_cndmask_b32_e32 v13, v18, v17, vcc
	v_cndmask_b32_e32 v15, v15, v16, vcc
	v_lshlrev_b32_e32 v8, 24, v8
	v_lshlrev_b32_e32 v15, 20, v15
	v_and_b32_e32 v8, 0x80000000, v8
	v_lshl_add_u32 v13, v13, 23, v10
	v_or3_b32 v8, v8, v13, v15
	v_lshrrev_b32_e32 v15, 16, v8
.LBB797_852:                            ;   in Loop: Header=BB797_788 Depth=1
	s_or_b64 exec, exec, s[18:19]
.LBB797_853:                            ;   in Loop: Header=BB797_788 Depth=1
	s_or_b64 exec, exec, s[16:17]
.LBB797_854:                            ;   in Loop: Header=BB797_788 Depth=1
	s_or_b64 exec, exec, s[14:15]
	v_cmp_lt_u32_e32 vcc, s24, v6
	v_mov_b32_e32 v16, 0
	v_mov_b32_e32 v17, 0
	s_and_saveexec_b64 s[14:15], vcc
	s_cbranch_execz .LBB797_860
; %bb.855:                              ;   in Loop: Header=BB797_788 Depth=1
	v_lshrrev_b32_e32 v8, 24, v6
	v_cmp_ne_u32_e32 vcc, s21, v8
	v_mov_b32_e32 v17, 0xffff8000
	s_and_saveexec_b64 s[16:17], vcc
	s_cbranch_execz .LBB797_859
; %bb.856:                              ;   in Loop: Header=BB797_788 Depth=1
	v_bfe_u32 v6, v6, 24, 7
	v_cmp_ne_u32_e32 vcc, s23, v6
	v_mov_b32_e32 v17, 0x7f80
	s_and_saveexec_b64 s[18:19], vcc
	s_cbranch_execz .LBB797_858
; %bb.857:                              ;   in Loop: Header=BB797_788 Depth=1
	v_and_b32_e32 v13, 7, v8
	v_ffbh_u32_e32 v18, v13
	v_min_u32_e32 v20, 32, v18
	v_subrev_u32_e32 v18, 28, v20
	v_lshlrev_b64 v[18:19], v18, v[8:9]
	v_lshrrev_b32_e32 v17, 3, v6
	v_sub_u32_e32 v19, 29, v20
	v_and_b32_e32 v18, 7, v18
	v_cmp_gt_u32_e32 vcc, 8, v6
	v_cndmask_b32_e32 v6, v17, v19, vcc
	v_cndmask_b32_e32 v13, v13, v18, vcc
	v_lshlrev_b32_e32 v8, 24, v8
	v_lshlrev_b32_e32 v13, 20, v13
	v_and_b32_e32 v8, 0x80000000, v8
	v_lshl_add_u32 v6, v6, 23, v10
	v_or3_b32 v6, v8, v6, v13
	v_lshrrev_b32_e32 v17, 16, v6
.LBB797_858:                            ;   in Loop: Header=BB797_788 Depth=1
	s_or_b64 exec, exec, s[18:19]
.LBB797_859:                            ;   in Loop: Header=BB797_788 Depth=1
	s_or_b64 exec, exec, s[16:17]
.LBB797_860:                            ;   in Loop: Header=BB797_788 Depth=1
	s_or_b64 exec, exec, s[14:15]
	s_waitcnt vmcnt(0)
	v_cmp_ne_u16_sdwa s[16:17], v4, v9 src0_sel:BYTE_0 src1_sel:DWORD
	s_and_saveexec_b64 s[14:15], s[16:17]
	s_cbranch_execz .LBB797_866
; %bb.861:                              ;   in Loop: Header=BB797_788 Depth=1
	v_cmp_ne_u16_sdwa s[18:19], v4, s21 src0_sel:BYTE_0 src1_sel:DWORD
	v_mov_b32_e32 v16, 0xffff8000
	s_and_saveexec_b64 s[16:17], s[18:19]
	s_cbranch_execz .LBB797_865
; %bb.862:                              ;   in Loop: Header=BB797_788 Depth=1
	v_and_b32_e32 v6, 0x7f, v4
	v_cmp_ne_u32_e32 vcc, s23, v6
	v_mov_b32_e32 v16, 0x7f80
	s_and_saveexec_b64 s[18:19], vcc
	s_cbranch_execz .LBB797_864
; %bb.863:                              ;   in Loop: Header=BB797_788 Depth=1
	v_and_b32_e32 v8, 7, v4
	v_ffbh_u32_e32 v16, v8
	v_min_u32_e32 v16, 32, v16
	v_subrev_u32_e32 v18, 28, v16
	v_lshlrev_b64 v[18:19], v18, v[4:5]
	v_lshrrev_b32_e32 v13, 3, v6
	v_sub_u32_e32 v16, 29, v16
	v_and_b32_e32 v18, 7, v18
	v_cmp_gt_u32_e32 vcc, 8, v6
	v_cndmask_b32_e32 v6, v13, v16, vcc
	v_cndmask_b32_e32 v8, v8, v18, vcc
	v_lshlrev_b32_e32 v13, 24, v4
	v_lshlrev_b32_e32 v8, 20, v8
	v_and_b32_e32 v13, 0x80000000, v13
	v_lshl_add_u32 v6, v6, 23, v10
	v_or3_b32 v6, v13, v6, v8
	v_lshrrev_b32_e32 v16, 16, v6
.LBB797_864:                            ;   in Loop: Header=BB797_788 Depth=1
	s_or_b64 exec, exec, s[18:19]
.LBB797_865:                            ;   in Loop: Header=BB797_788 Depth=1
	s_or_b64 exec, exec, s[16:17]
.LBB797_866:                            ;   in Loop: Header=BB797_788 Depth=1
	s_or_b64 exec, exec, s[14:15]
	v_lshrrev_b16_e32 v6, 8, v4
	v_cmp_ne_u16_e32 vcc, 0, v6
	v_mov_b32_e32 v18, 0
	v_mov_b32_e32 v8, 0
	s_and_saveexec_b64 s[14:15], vcc
	s_cbranch_execz .LBB797_872
; %bb.867:                              ;   in Loop: Header=BB797_788 Depth=1
	v_cmp_ne_u16_e32 vcc, s21, v6
	v_mov_b32_e32 v8, 0xffff8000
	s_and_saveexec_b64 s[16:17], vcc
	s_cbranch_execz .LBB797_871
; %bb.868:                              ;   in Loop: Header=BB797_788 Depth=1
	v_and_b32_e32 v13, 0x7f, v6
	v_cmp_ne_u32_e32 vcc, s23, v13
	v_mov_b32_e32 v8, 0x7f80
	s_and_saveexec_b64 s[18:19], vcc
	s_cbranch_execz .LBB797_870
; %bb.869:                              ;   in Loop: Header=BB797_788 Depth=1
	v_and_b32_e32 v8, 7, v6
	v_ffbh_u32_e32 v20, v8
	v_min_u32_e32 v22, 32, v20
	v_subrev_u32_e32 v20, 28, v22
	v_lshlrev_b64 v[20:21], v20, v[6:7]
	v_lshrrev_b32_e32 v19, 3, v13
	v_sub_u32_e32 v6, 29, v22
	v_and_b32_e32 v20, 7, v20
	v_cmp_gt_u32_e32 vcc, 8, v13
	v_cndmask_b32_e32 v6, v19, v6, vcc
	v_cndmask_b32_e32 v8, v8, v20, vcc
	v_lshlrev_b32_e32 v13, 16, v4
	v_lshlrev_b32_e32 v8, 20, v8
	v_and_b32_e32 v13, 0x80000000, v13
	v_lshl_add_u32 v6, v6, 23, v10
	v_or3_b32 v6, v13, v6, v8
	v_lshrrev_b32_e32 v8, 16, v6
.LBB797_870:                            ;   in Loop: Header=BB797_788 Depth=1
	s_or_b64 exec, exec, s[18:19]
.LBB797_871:                            ;   in Loop: Header=BB797_788 Depth=1
	s_or_b64 exec, exec, s[16:17]
.LBB797_872:                            ;   in Loop: Header=BB797_788 Depth=1
	s_or_b64 exec, exec, s[14:15]
	v_lshrrev_b32_e32 v6, 16, v4
	v_cmp_ne_u16_sdwa s[16:17], v6, v9 src0_sel:BYTE_0 src1_sel:DWORD
	s_and_saveexec_b64 s[14:15], s[16:17]
	s_cbranch_execz .LBB797_878
; %bb.873:                              ;   in Loop: Header=BB797_788 Depth=1
	v_cmp_ne_u16_sdwa s[18:19], v6, s21 src0_sel:BYTE_0 src1_sel:DWORD
	v_mov_b32_e32 v18, 0xffff8000
	s_and_saveexec_b64 s[16:17], s[18:19]
	s_cbranch_execz .LBB797_877
; %bb.874:                              ;   in Loop: Header=BB797_788 Depth=1
	v_bfe_u32 v13, v4, 16, 7
	v_cmp_ne_u32_e32 vcc, s23, v13
	v_mov_b32_e32 v18, 0x7f80
	s_and_saveexec_b64 s[18:19], vcc
	s_cbranch_execz .LBB797_876
; %bb.875:                              ;   in Loop: Header=BB797_788 Depth=1
	v_and_b32_e32 v20, 7, v6
	v_ffbh_u32_e32 v18, v20
	v_min_u32_e32 v22, 32, v18
	v_subrev_u32_e32 v18, 28, v22
	v_lshlrev_b64 v[18:19], v18, v[6:7]
	v_lshrrev_b32_e32 v21, 3, v13
	v_sub_u32_e32 v19, 29, v22
	v_and_b32_e32 v18, 7, v18
	v_cmp_gt_u32_e32 vcc, 8, v13
	v_cndmask_b32_e32 v13, v21, v19, vcc
	v_cndmask_b32_e32 v18, v20, v18, vcc
	v_lshlrev_b32_e32 v6, 24, v6
	v_lshlrev_b32_e32 v18, 20, v18
	v_and_b32_e32 v6, 0x80000000, v6
	v_lshl_add_u32 v13, v13, 23, v10
	v_or3_b32 v6, v6, v13, v18
	v_lshrrev_b32_e32 v18, 16, v6
.LBB797_876:                            ;   in Loop: Header=BB797_788 Depth=1
	s_or_b64 exec, exec, s[18:19]
.LBB797_877:                            ;   in Loop: Header=BB797_788 Depth=1
	s_or_b64 exec, exec, s[16:17]
.LBB797_878:                            ;   in Loop: Header=BB797_788 Depth=1
	s_or_b64 exec, exec, s[14:15]
	v_cmp_lt_u32_e32 vcc, s24, v4
	v_mov_b32_e32 v13, 0
	v_mov_b32_e32 v19, 0
	s_and_saveexec_b64 s[14:15], vcc
	s_cbranch_execz .LBB797_884
; %bb.879:                              ;   in Loop: Header=BB797_788 Depth=1
	v_lshrrev_b32_e32 v6, 24, v4
	v_cmp_ne_u32_e32 vcc, s21, v6
	v_mov_b32_e32 v19, 0xffff8000
	s_and_saveexec_b64 s[16:17], vcc
	s_cbranch_execz .LBB797_883
; %bb.880:                              ;   in Loop: Header=BB797_788 Depth=1
	v_bfe_u32 v4, v4, 24, 7
	v_cmp_ne_u32_e32 vcc, s23, v4
	v_mov_b32_e32 v19, 0x7f80
	s_and_saveexec_b64 s[18:19], vcc
	s_cbranch_execz .LBB797_882
; %bb.881:                              ;   in Loop: Header=BB797_788 Depth=1
	v_and_b32_e32 v19, 7, v6
	v_ffbh_u32_e32 v20, v19
	v_min_u32_e32 v23, 32, v20
	v_subrev_u32_e32 v20, 28, v23
	v_lshlrev_b64 v[20:21], v20, v[6:7]
	v_lshrrev_b32_e32 v22, 3, v4
	v_sub_u32_e32 v21, 29, v23
	v_and_b32_e32 v20, 7, v20
	v_cmp_gt_u32_e32 vcc, 8, v4
	v_cndmask_b32_e32 v4, v22, v21, vcc
	v_cndmask_b32_e32 v19, v19, v20, vcc
	v_lshlrev_b32_e32 v6, 24, v6
	v_lshlrev_b32_e32 v19, 20, v19
	v_and_b32_e32 v6, 0x80000000, v6
	v_lshl_add_u32 v4, v4, 23, v10
	v_or3_b32 v4, v6, v4, v19
	v_lshrrev_b32_e32 v19, 16, v4
.LBB797_882:                            ;   in Loop: Header=BB797_788 Depth=1
	s_or_b64 exec, exec, s[18:19]
.LBB797_883:                            ;   in Loop: Header=BB797_788 Depth=1
	s_or_b64 exec, exec, s[16:17]
.LBB797_884:                            ;   in Loop: Header=BB797_788 Depth=1
	s_or_b64 exec, exec, s[14:15]
	buffer_load_dword v6, v11, s[0:3], 0 offen offset:16
	buffer_load_dword v4, v11, s[0:3], 0 offen offset:20
	v_perm_b32 v15, v17, v15, s25
	v_perm_b32 v14, v14, v12, s25
	;; [unrolled: 1-line block ×4, first 2 shown]
	v_mfma_f32_4x4x4bf16_1k a[0:3], v[2:3], v[14:15], a[0:3] cbsz:4 abid:2
	s_waitcnt vmcnt(1)
	v_cmp_ne_u16_sdwa s[16:17], v6, v9 src0_sel:BYTE_0 src1_sel:DWORD
	v_mfma_f32_4x4x4bf16_1k a[0:3], v[2:3], v[16:17], a[0:3] cbsz:4 abid:3
	s_and_saveexec_b64 s[14:15], s[16:17]
	s_cbranch_execz .LBB797_890
; %bb.885:                              ;   in Loop: Header=BB797_788 Depth=1
	v_cmp_ne_u16_sdwa s[18:19], v6, s21 src0_sel:BYTE_0 src1_sel:DWORD
	v_mov_b32_e32 v13, 0xffff8000
	s_and_saveexec_b64 s[16:17], s[18:19]
	s_cbranch_execz .LBB797_889
; %bb.886:                              ;   in Loop: Header=BB797_788 Depth=1
	v_and_b32_e32 v8, 0x7f, v6
	v_cmp_ne_u32_e32 vcc, s23, v8
	v_mov_b32_e32 v13, 0x7f80
	s_and_saveexec_b64 s[18:19], vcc
	s_cbranch_execz .LBB797_888
; %bb.887:                              ;   in Loop: Header=BB797_788 Depth=1
	v_and_b32_e32 v14, 7, v6
	v_ffbh_u32_e32 v12, v14
	v_min_u32_e32 v16, 32, v12
	v_subrev_u32_e32 v12, 28, v16
	v_lshlrev_b64 v[12:13], v12, v[6:7]
	v_lshrrev_b32_e32 v15, 3, v8
	v_sub_u32_e32 v13, 29, v16
	v_and_b32_e32 v12, 7, v12
	v_cmp_gt_u32_e32 vcc, 8, v8
	v_cndmask_b32_e32 v8, v15, v13, vcc
	v_cndmask_b32_e32 v12, v14, v12, vcc
	v_lshlrev_b32_e32 v13, 24, v6
	v_lshlrev_b32_e32 v12, 20, v12
	v_and_b32_e32 v13, 0x80000000, v13
	v_lshl_add_u32 v8, v8, 23, v10
	v_or3_b32 v8, v13, v8, v12
	v_lshrrev_b32_e32 v13, 16, v8
.LBB797_888:                            ;   in Loop: Header=BB797_788 Depth=1
	s_or_b64 exec, exec, s[18:19]
.LBB797_889:                            ;   in Loop: Header=BB797_788 Depth=1
	s_or_b64 exec, exec, s[16:17]
.LBB797_890:                            ;   in Loop: Header=BB797_788 Depth=1
	s_or_b64 exec, exec, s[14:15]
	v_lshrrev_b16_e32 v8, 8, v6
	v_cmp_ne_u16_e32 vcc, 0, v8
	v_mov_b32_e32 v15, 0
	v_mov_b32_e32 v14, 0
	s_and_saveexec_b64 s[14:15], vcc
	s_cbranch_execz .LBB797_896
; %bb.891:                              ;   in Loop: Header=BB797_788 Depth=1
	v_cmp_ne_u16_e32 vcc, s21, v8
	v_mov_b32_e32 v14, 0xffff8000
	s_and_saveexec_b64 s[16:17], vcc
	s_cbranch_execz .LBB797_895
; %bb.892:                              ;   in Loop: Header=BB797_788 Depth=1
	v_and_b32_e32 v12, 0x7f, v8
	v_cmp_ne_u32_e32 vcc, s23, v12
	v_mov_b32_e32 v14, 0x7f80
	s_and_saveexec_b64 s[18:19], vcc
	s_cbranch_execz .LBB797_894
; %bb.893:                              ;   in Loop: Header=BB797_788 Depth=1
	v_and_b32_e32 v14, 7, v8
	v_ffbh_u32_e32 v16, v14
	v_min_u32_e32 v19, 32, v16
	v_subrev_u32_e32 v16, 28, v19
	v_lshlrev_b64 v[16:17], v16, v[8:9]
	v_lshrrev_b32_e32 v18, 3, v12
	v_sub_u32_e32 v8, 29, v19
	v_and_b32_e32 v16, 7, v16
	v_cmp_gt_u32_e32 vcc, 8, v12
	v_cndmask_b32_e32 v8, v18, v8, vcc
	v_cndmask_b32_e32 v12, v14, v16, vcc
	v_lshlrev_b32_e32 v14, 16, v6
	v_lshlrev_b32_e32 v12, 20, v12
	v_and_b32_e32 v14, 0x80000000, v14
	v_lshl_add_u32 v8, v8, 23, v10
	v_or3_b32 v8, v14, v8, v12
	v_lshrrev_b32_e32 v14, 16, v8
.LBB797_894:                            ;   in Loop: Header=BB797_788 Depth=1
	s_or_b64 exec, exec, s[18:19]
.LBB797_895:                            ;   in Loop: Header=BB797_788 Depth=1
	s_or_b64 exec, exec, s[16:17]
.LBB797_896:                            ;   in Loop: Header=BB797_788 Depth=1
	s_or_b64 exec, exec, s[14:15]
	v_lshrrev_b32_e32 v8, 16, v6
	v_cmp_ne_u16_sdwa s[16:17], v8, v9 src0_sel:BYTE_0 src1_sel:DWORD
	s_and_saveexec_b64 s[14:15], s[16:17]
	s_cbranch_execz .LBB797_902
; %bb.897:                              ;   in Loop: Header=BB797_788 Depth=1
	v_cmp_ne_u16_sdwa s[18:19], v8, s21 src0_sel:BYTE_0 src1_sel:DWORD
	v_mov_b32_e32 v15, 0xffff8000
	s_and_saveexec_b64 s[16:17], s[18:19]
	s_cbranch_execz .LBB797_901
; %bb.898:                              ;   in Loop: Header=BB797_788 Depth=1
	v_bfe_u32 v12, v6, 16, 7
	v_cmp_ne_u32_e32 vcc, s23, v12
	v_mov_b32_e32 v15, 0x7f80
	s_and_saveexec_b64 s[18:19], vcc
	s_cbranch_execz .LBB797_900
; %bb.899:                              ;   in Loop: Header=BB797_788 Depth=1
	v_and_b32_e32 v15, 7, v8
	v_ffbh_u32_e32 v16, v15
	v_min_u32_e32 v19, 32, v16
	v_subrev_u32_e32 v16, 28, v19
	v_lshlrev_b64 v[16:17], v16, v[8:9]
	v_lshrrev_b32_e32 v18, 3, v12
	v_sub_u32_e32 v17, 29, v19
	v_and_b32_e32 v16, 7, v16
	v_cmp_gt_u32_e32 vcc, 8, v12
	v_cndmask_b32_e32 v12, v18, v17, vcc
	v_cndmask_b32_e32 v15, v15, v16, vcc
	v_lshlrev_b32_e32 v8, 24, v8
	v_lshlrev_b32_e32 v15, 20, v15
	v_and_b32_e32 v8, 0x80000000, v8
	v_lshl_add_u32 v12, v12, 23, v10
	v_or3_b32 v8, v8, v12, v15
	v_lshrrev_b32_e32 v15, 16, v8
.LBB797_900:                            ;   in Loop: Header=BB797_788 Depth=1
	s_or_b64 exec, exec, s[18:19]
.LBB797_901:                            ;   in Loop: Header=BB797_788 Depth=1
	s_or_b64 exec, exec, s[16:17]
.LBB797_902:                            ;   in Loop: Header=BB797_788 Depth=1
	s_or_b64 exec, exec, s[14:15]
	v_cmp_lt_u32_e32 vcc, s24, v6
	v_mov_b32_e32 v16, 0
	v_mov_b32_e32 v17, 0
	s_and_saveexec_b64 s[14:15], vcc
	s_cbranch_execz .LBB797_908
; %bb.903:                              ;   in Loop: Header=BB797_788 Depth=1
	v_lshrrev_b32_e32 v8, 24, v6
	v_cmp_ne_u32_e32 vcc, s21, v8
	v_mov_b32_e32 v17, 0xffff8000
	s_and_saveexec_b64 s[16:17], vcc
	s_cbranch_execz .LBB797_907
; %bb.904:                              ;   in Loop: Header=BB797_788 Depth=1
	v_bfe_u32 v6, v6, 24, 7
	v_cmp_ne_u32_e32 vcc, s23, v6
	v_mov_b32_e32 v17, 0x7f80
	s_and_saveexec_b64 s[18:19], vcc
	s_cbranch_execz .LBB797_906
; %bb.905:                              ;   in Loop: Header=BB797_788 Depth=1
	v_and_b32_e32 v12, 7, v8
	v_ffbh_u32_e32 v18, v12
	v_min_u32_e32 v20, 32, v18
	v_subrev_u32_e32 v18, 28, v20
	v_lshlrev_b64 v[18:19], v18, v[8:9]
	v_lshrrev_b32_e32 v17, 3, v6
	v_sub_u32_e32 v19, 29, v20
	v_and_b32_e32 v18, 7, v18
	v_cmp_gt_u32_e32 vcc, 8, v6
	v_cndmask_b32_e32 v6, v17, v19, vcc
	v_cndmask_b32_e32 v12, v12, v18, vcc
	v_lshlrev_b32_e32 v8, 24, v8
	v_lshlrev_b32_e32 v12, 20, v12
	v_and_b32_e32 v8, 0x80000000, v8
	v_lshl_add_u32 v6, v6, 23, v10
	v_or3_b32 v6, v8, v6, v12
	v_lshrrev_b32_e32 v17, 16, v6
.LBB797_906:                            ;   in Loop: Header=BB797_788 Depth=1
	s_or_b64 exec, exec, s[18:19]
.LBB797_907:                            ;   in Loop: Header=BB797_788 Depth=1
	s_or_b64 exec, exec, s[16:17]
.LBB797_908:                            ;   in Loop: Header=BB797_788 Depth=1
	s_or_b64 exec, exec, s[14:15]
	s_waitcnt vmcnt(0)
	v_cmp_ne_u16_sdwa s[16:17], v4, v9 src0_sel:BYTE_0 src1_sel:DWORD
	s_and_saveexec_b64 s[14:15], s[16:17]
	s_cbranch_execz .LBB797_914
; %bb.909:                              ;   in Loop: Header=BB797_788 Depth=1
	v_cmp_ne_u16_sdwa s[18:19], v4, s21 src0_sel:BYTE_0 src1_sel:DWORD
	v_mov_b32_e32 v16, 0xffff8000
	s_and_saveexec_b64 s[16:17], s[18:19]
	s_cbranch_execz .LBB797_913
; %bb.910:                              ;   in Loop: Header=BB797_788 Depth=1
	v_and_b32_e32 v6, 0x7f, v4
	v_cmp_ne_u32_e32 vcc, s23, v6
	v_mov_b32_e32 v16, 0x7f80
	s_and_saveexec_b64 s[18:19], vcc
	s_cbranch_execz .LBB797_912
; %bb.911:                              ;   in Loop: Header=BB797_788 Depth=1
	v_and_b32_e32 v8, 7, v4
	v_ffbh_u32_e32 v16, v8
	v_min_u32_e32 v16, 32, v16
	v_subrev_u32_e32 v18, 28, v16
	v_lshlrev_b64 v[18:19], v18, v[4:5]
	v_lshrrev_b32_e32 v12, 3, v6
	v_sub_u32_e32 v16, 29, v16
	v_and_b32_e32 v18, 7, v18
	v_cmp_gt_u32_e32 vcc, 8, v6
	v_cndmask_b32_e32 v6, v12, v16, vcc
	v_cndmask_b32_e32 v8, v8, v18, vcc
	v_lshlrev_b32_e32 v12, 24, v4
	v_lshlrev_b32_e32 v8, 20, v8
	v_and_b32_e32 v12, 0x80000000, v12
	v_lshl_add_u32 v6, v6, 23, v10
	v_or3_b32 v6, v12, v6, v8
	v_lshrrev_b32_e32 v16, 16, v6
.LBB797_912:                            ;   in Loop: Header=BB797_788 Depth=1
	s_or_b64 exec, exec, s[18:19]
.LBB797_913:                            ;   in Loop: Header=BB797_788 Depth=1
	s_or_b64 exec, exec, s[16:17]
.LBB797_914:                            ;   in Loop: Header=BB797_788 Depth=1
	s_or_b64 exec, exec, s[14:15]
	v_lshrrev_b16_e32 v6, 8, v4
	v_cmp_ne_u16_e32 vcc, 0, v6
	v_mov_b32_e32 v18, 0
	v_mov_b32_e32 v8, 0
	s_and_saveexec_b64 s[14:15], vcc
	s_cbranch_execz .LBB797_920
; %bb.915:                              ;   in Loop: Header=BB797_788 Depth=1
	v_cmp_ne_u16_e32 vcc, s21, v6
	v_mov_b32_e32 v8, 0xffff8000
	s_and_saveexec_b64 s[16:17], vcc
	s_cbranch_execz .LBB797_919
; %bb.916:                              ;   in Loop: Header=BB797_788 Depth=1
	v_and_b32_e32 v12, 0x7f, v6
	v_cmp_ne_u32_e32 vcc, s23, v12
	v_mov_b32_e32 v8, 0x7f80
	s_and_saveexec_b64 s[18:19], vcc
	s_cbranch_execz .LBB797_918
; %bb.917:                              ;   in Loop: Header=BB797_788 Depth=1
	v_and_b32_e32 v8, 7, v6
	v_ffbh_u32_e32 v20, v8
	v_min_u32_e32 v22, 32, v20
	v_subrev_u32_e32 v20, 28, v22
	v_lshlrev_b64 v[20:21], v20, v[6:7]
	v_lshrrev_b32_e32 v19, 3, v12
	v_sub_u32_e32 v6, 29, v22
	v_and_b32_e32 v20, 7, v20
	v_cmp_gt_u32_e32 vcc, 8, v12
	v_cndmask_b32_e32 v6, v19, v6, vcc
	v_cndmask_b32_e32 v8, v8, v20, vcc
	v_lshlrev_b32_e32 v12, 16, v4
	v_lshlrev_b32_e32 v8, 20, v8
	v_and_b32_e32 v12, 0x80000000, v12
	v_lshl_add_u32 v6, v6, 23, v10
	v_or3_b32 v6, v12, v6, v8
	v_lshrrev_b32_e32 v8, 16, v6
.LBB797_918:                            ;   in Loop: Header=BB797_788 Depth=1
	s_or_b64 exec, exec, s[18:19]
.LBB797_919:                            ;   in Loop: Header=BB797_788 Depth=1
	s_or_b64 exec, exec, s[16:17]
.LBB797_920:                            ;   in Loop: Header=BB797_788 Depth=1
	s_or_b64 exec, exec, s[14:15]
	v_lshrrev_b32_e32 v6, 16, v4
	v_cmp_ne_u16_sdwa s[16:17], v6, v9 src0_sel:BYTE_0 src1_sel:DWORD
	s_and_saveexec_b64 s[14:15], s[16:17]
	s_cbranch_execz .LBB797_926
; %bb.921:                              ;   in Loop: Header=BB797_788 Depth=1
	v_cmp_ne_u16_sdwa s[18:19], v6, s21 src0_sel:BYTE_0 src1_sel:DWORD
	v_mov_b32_e32 v18, 0xffff8000
	s_and_saveexec_b64 s[16:17], s[18:19]
	s_cbranch_execz .LBB797_925
; %bb.922:                              ;   in Loop: Header=BB797_788 Depth=1
	v_bfe_u32 v12, v4, 16, 7
	v_cmp_ne_u32_e32 vcc, s23, v12
	v_mov_b32_e32 v18, 0x7f80
	s_and_saveexec_b64 s[18:19], vcc
	s_cbranch_execz .LBB797_924
; %bb.923:                              ;   in Loop: Header=BB797_788 Depth=1
	v_and_b32_e32 v20, 7, v6
	v_ffbh_u32_e32 v18, v20
	v_min_u32_e32 v22, 32, v18
	v_subrev_u32_e32 v18, 28, v22
	v_lshlrev_b64 v[18:19], v18, v[6:7]
	v_lshrrev_b32_e32 v21, 3, v12
	v_sub_u32_e32 v19, 29, v22
	v_and_b32_e32 v18, 7, v18
	v_cmp_gt_u32_e32 vcc, 8, v12
	v_cndmask_b32_e32 v12, v21, v19, vcc
	v_cndmask_b32_e32 v18, v20, v18, vcc
	v_lshlrev_b32_e32 v6, 24, v6
	v_lshlrev_b32_e32 v18, 20, v18
	v_and_b32_e32 v6, 0x80000000, v6
	v_lshl_add_u32 v12, v12, 23, v10
	v_or3_b32 v6, v6, v12, v18
	v_lshrrev_b32_e32 v18, 16, v6
.LBB797_924:                            ;   in Loop: Header=BB797_788 Depth=1
	s_or_b64 exec, exec, s[18:19]
.LBB797_925:                            ;   in Loop: Header=BB797_788 Depth=1
	s_or_b64 exec, exec, s[16:17]
.LBB797_926:                            ;   in Loop: Header=BB797_788 Depth=1
	s_or_b64 exec, exec, s[14:15]
	v_cmp_lt_u32_e32 vcc, s24, v4
	v_mov_b32_e32 v12, 0
	v_mov_b32_e32 v19, 0
	s_and_saveexec_b64 s[14:15], vcc
	s_cbranch_execz .LBB797_932
; %bb.927:                              ;   in Loop: Header=BB797_788 Depth=1
	v_lshrrev_b32_e32 v6, 24, v4
	v_cmp_ne_u32_e32 vcc, s21, v6
	v_mov_b32_e32 v19, 0xffff8000
	s_and_saveexec_b64 s[16:17], vcc
	s_cbranch_execz .LBB797_931
; %bb.928:                              ;   in Loop: Header=BB797_788 Depth=1
	v_bfe_u32 v4, v4, 24, 7
	v_cmp_ne_u32_e32 vcc, s23, v4
	v_mov_b32_e32 v19, 0x7f80
	s_and_saveexec_b64 s[18:19], vcc
	s_cbranch_execz .LBB797_930
; %bb.929:                              ;   in Loop: Header=BB797_788 Depth=1
	v_and_b32_e32 v19, 7, v6
	v_ffbh_u32_e32 v20, v19
	v_min_u32_e32 v23, 32, v20
	v_subrev_u32_e32 v20, 28, v23
	v_lshlrev_b64 v[20:21], v20, v[6:7]
	v_lshrrev_b32_e32 v22, 3, v4
	v_sub_u32_e32 v21, 29, v23
	v_and_b32_e32 v20, 7, v20
	v_cmp_gt_u32_e32 vcc, 8, v4
	v_cndmask_b32_e32 v4, v22, v21, vcc
	v_cndmask_b32_e32 v19, v19, v20, vcc
	v_lshlrev_b32_e32 v6, 24, v6
	v_lshlrev_b32_e32 v19, 20, v19
	v_and_b32_e32 v6, 0x80000000, v6
	v_lshl_add_u32 v4, v4, 23, v10
	v_or3_b32 v4, v6, v4, v19
	v_lshrrev_b32_e32 v19, 16, v4
.LBB797_930:                            ;   in Loop: Header=BB797_788 Depth=1
	s_or_b64 exec, exec, s[18:19]
.LBB797_931:                            ;   in Loop: Header=BB797_788 Depth=1
	s_or_b64 exec, exec, s[16:17]
.LBB797_932:                            ;   in Loop: Header=BB797_788 Depth=1
	s_or_b64 exec, exec, s[14:15]
	buffer_load_dword v6, v11, s[0:3], 0 offen offset:24
	buffer_load_dword v4, v11, s[0:3], 0 offen offset:28
	v_perm_b32 v15, v17, v15, s25
	v_perm_b32 v14, v14, v13, s25
	;; [unrolled: 1-line block ×4, first 2 shown]
	v_mfma_f32_4x4x4bf16_1k a[0:3], v[2:3], v[14:15], a[0:3] cbsz:4 abid:4
	s_waitcnt vmcnt(1)
	v_cmp_ne_u16_sdwa s[16:17], v6, v9 src0_sel:BYTE_0 src1_sel:DWORD
	v_mfma_f32_4x4x4bf16_1k a[0:3], v[2:3], v[16:17], a[0:3] cbsz:4 abid:5
	s_and_saveexec_b64 s[14:15], s[16:17]
	s_cbranch_execz .LBB797_938
; %bb.933:                              ;   in Loop: Header=BB797_788 Depth=1
	v_cmp_ne_u16_sdwa s[18:19], v6, s21 src0_sel:BYTE_0 src1_sel:DWORD
	v_mov_b32_e32 v12, 0xffff8000
	s_and_saveexec_b64 s[16:17], s[18:19]
	s_cbranch_execz .LBB797_937
; %bb.934:                              ;   in Loop: Header=BB797_788 Depth=1
	v_and_b32_e32 v8, 0x7f, v6
	v_cmp_ne_u32_e32 vcc, s23, v8
	v_mov_b32_e32 v12, 0x7f80
	s_and_saveexec_b64 s[18:19], vcc
	s_cbranch_execz .LBB797_936
; %bb.935:                              ;   in Loop: Header=BB797_788 Depth=1
	v_and_b32_e32 v14, 7, v6
	v_ffbh_u32_e32 v12, v14
	v_min_u32_e32 v16, 32, v12
	v_subrev_u32_e32 v12, 28, v16
	v_lshlrev_b64 v[12:13], v12, v[6:7]
	v_lshrrev_b32_e32 v15, 3, v8
	v_sub_u32_e32 v13, 29, v16
	v_and_b32_e32 v12, 7, v12
	v_cmp_gt_u32_e32 vcc, 8, v8
	v_cndmask_b32_e32 v8, v15, v13, vcc
	v_cndmask_b32_e32 v12, v14, v12, vcc
	v_lshlrev_b32_e32 v13, 24, v6
	v_lshlrev_b32_e32 v12, 20, v12
	v_and_b32_e32 v13, 0x80000000, v13
	v_lshl_add_u32 v8, v8, 23, v10
	v_or3_b32 v8, v13, v8, v12
	v_lshrrev_b32_e32 v12, 16, v8
.LBB797_936:                            ;   in Loop: Header=BB797_788 Depth=1
	s_or_b64 exec, exec, s[18:19]
.LBB797_937:                            ;   in Loop: Header=BB797_788 Depth=1
	s_or_b64 exec, exec, s[16:17]
.LBB797_938:                            ;   in Loop: Header=BB797_788 Depth=1
	s_or_b64 exec, exec, s[14:15]
	v_lshrrev_b16_e32 v8, 8, v6
	v_cmp_ne_u16_e32 vcc, 0, v8
	v_mov_b32_e32 v15, 0
	v_mov_b32_e32 v14, 0
	s_and_saveexec_b64 s[14:15], vcc
	s_cbranch_execz .LBB797_944
; %bb.939:                              ;   in Loop: Header=BB797_788 Depth=1
	v_cmp_ne_u16_e32 vcc, s21, v8
	v_mov_b32_e32 v14, 0xffff8000
	s_and_saveexec_b64 s[16:17], vcc
	s_cbranch_execz .LBB797_943
; %bb.940:                              ;   in Loop: Header=BB797_788 Depth=1
	v_and_b32_e32 v13, 0x7f, v8
	v_cmp_ne_u32_e32 vcc, s23, v13
	v_mov_b32_e32 v14, 0x7f80
	s_and_saveexec_b64 s[18:19], vcc
	s_cbranch_execz .LBB797_942
; %bb.941:                              ;   in Loop: Header=BB797_788 Depth=1
	v_and_b32_e32 v14, 7, v8
	v_ffbh_u32_e32 v16, v14
	v_min_u32_e32 v19, 32, v16
	v_subrev_u32_e32 v16, 28, v19
	v_lshlrev_b64 v[16:17], v16, v[8:9]
	v_lshrrev_b32_e32 v18, 3, v13
	v_sub_u32_e32 v8, 29, v19
	v_and_b32_e32 v16, 7, v16
	v_cmp_gt_u32_e32 vcc, 8, v13
	v_cndmask_b32_e32 v8, v18, v8, vcc
	v_cndmask_b32_e32 v13, v14, v16, vcc
	v_lshlrev_b32_e32 v14, 16, v6
	v_lshlrev_b32_e32 v13, 20, v13
	v_and_b32_e32 v14, 0x80000000, v14
	v_lshl_add_u32 v8, v8, 23, v10
	v_or3_b32 v8, v14, v8, v13
	v_lshrrev_b32_e32 v14, 16, v8
.LBB797_942:                            ;   in Loop: Header=BB797_788 Depth=1
	s_or_b64 exec, exec, s[18:19]
.LBB797_943:                            ;   in Loop: Header=BB797_788 Depth=1
	s_or_b64 exec, exec, s[16:17]
.LBB797_944:                            ;   in Loop: Header=BB797_788 Depth=1
	s_or_b64 exec, exec, s[14:15]
	v_lshrrev_b32_e32 v8, 16, v6
	v_cmp_ne_u16_sdwa s[16:17], v8, v9 src0_sel:BYTE_0 src1_sel:DWORD
	s_and_saveexec_b64 s[14:15], s[16:17]
	s_cbranch_execz .LBB797_950
; %bb.945:                              ;   in Loop: Header=BB797_788 Depth=1
	v_cmp_ne_u16_sdwa s[18:19], v8, s21 src0_sel:BYTE_0 src1_sel:DWORD
	v_mov_b32_e32 v15, 0xffff8000
	s_and_saveexec_b64 s[16:17], s[18:19]
	s_cbranch_execz .LBB797_949
; %bb.946:                              ;   in Loop: Header=BB797_788 Depth=1
	v_bfe_u32 v13, v6, 16, 7
	v_cmp_ne_u32_e32 vcc, s23, v13
	v_mov_b32_e32 v15, 0x7f80
	s_and_saveexec_b64 s[18:19], vcc
	s_cbranch_execz .LBB797_948
; %bb.947:                              ;   in Loop: Header=BB797_788 Depth=1
	v_and_b32_e32 v15, 7, v8
	v_ffbh_u32_e32 v16, v15
	v_min_u32_e32 v19, 32, v16
	v_subrev_u32_e32 v16, 28, v19
	v_lshlrev_b64 v[16:17], v16, v[8:9]
	v_lshrrev_b32_e32 v18, 3, v13
	v_sub_u32_e32 v17, 29, v19
	v_and_b32_e32 v16, 7, v16
	v_cmp_gt_u32_e32 vcc, 8, v13
	v_cndmask_b32_e32 v13, v18, v17, vcc
	v_cndmask_b32_e32 v15, v15, v16, vcc
	v_lshlrev_b32_e32 v8, 24, v8
	v_lshlrev_b32_e32 v15, 20, v15
	v_and_b32_e32 v8, 0x80000000, v8
	v_lshl_add_u32 v13, v13, 23, v10
	v_or3_b32 v8, v8, v13, v15
	v_lshrrev_b32_e32 v15, 16, v8
.LBB797_948:                            ;   in Loop: Header=BB797_788 Depth=1
	s_or_b64 exec, exec, s[18:19]
.LBB797_949:                            ;   in Loop: Header=BB797_788 Depth=1
	s_or_b64 exec, exec, s[16:17]
.LBB797_950:                            ;   in Loop: Header=BB797_788 Depth=1
	s_or_b64 exec, exec, s[14:15]
	v_cmp_lt_u32_e32 vcc, s24, v6
	v_mov_b32_e32 v16, 0
	v_mov_b32_e32 v17, 0
	s_and_saveexec_b64 s[14:15], vcc
	s_cbranch_execz .LBB797_956
; %bb.951:                              ;   in Loop: Header=BB797_788 Depth=1
	v_lshrrev_b32_e32 v8, 24, v6
	v_cmp_ne_u32_e32 vcc, s21, v8
	v_mov_b32_e32 v17, 0xffff8000
	s_and_saveexec_b64 s[16:17], vcc
	s_cbranch_execz .LBB797_955
; %bb.952:                              ;   in Loop: Header=BB797_788 Depth=1
	v_bfe_u32 v6, v6, 24, 7
	v_cmp_ne_u32_e32 vcc, s23, v6
	v_mov_b32_e32 v17, 0x7f80
	s_and_saveexec_b64 s[18:19], vcc
	s_cbranch_execz .LBB797_954
; %bb.953:                              ;   in Loop: Header=BB797_788 Depth=1
	v_and_b32_e32 v13, 7, v8
	v_ffbh_u32_e32 v18, v13
	v_min_u32_e32 v20, 32, v18
	v_subrev_u32_e32 v18, 28, v20
	v_lshlrev_b64 v[18:19], v18, v[8:9]
	v_lshrrev_b32_e32 v17, 3, v6
	v_sub_u32_e32 v19, 29, v20
	v_and_b32_e32 v18, 7, v18
	v_cmp_gt_u32_e32 vcc, 8, v6
	v_cndmask_b32_e32 v6, v17, v19, vcc
	v_cndmask_b32_e32 v13, v13, v18, vcc
	v_lshlrev_b32_e32 v8, 24, v8
	v_lshlrev_b32_e32 v13, 20, v13
	v_and_b32_e32 v8, 0x80000000, v8
	v_lshl_add_u32 v6, v6, 23, v10
	v_or3_b32 v6, v8, v6, v13
	v_lshrrev_b32_e32 v17, 16, v6
.LBB797_954:                            ;   in Loop: Header=BB797_788 Depth=1
	s_or_b64 exec, exec, s[18:19]
.LBB797_955:                            ;   in Loop: Header=BB797_788 Depth=1
	s_or_b64 exec, exec, s[16:17]
.LBB797_956:                            ;   in Loop: Header=BB797_788 Depth=1
	s_or_b64 exec, exec, s[14:15]
	s_waitcnt vmcnt(0)
	v_cmp_ne_u16_sdwa s[16:17], v4, v9 src0_sel:BYTE_0 src1_sel:DWORD
	s_and_saveexec_b64 s[14:15], s[16:17]
	s_cbranch_execz .LBB797_962
; %bb.957:                              ;   in Loop: Header=BB797_788 Depth=1
	v_cmp_ne_u16_sdwa s[18:19], v4, s21 src0_sel:BYTE_0 src1_sel:DWORD
	v_mov_b32_e32 v16, 0xffff8000
	s_and_saveexec_b64 s[16:17], s[18:19]
	s_cbranch_execz .LBB797_961
; %bb.958:                              ;   in Loop: Header=BB797_788 Depth=1
	v_and_b32_e32 v6, 0x7f, v4
	v_cmp_ne_u32_e32 vcc, s23, v6
	v_mov_b32_e32 v16, 0x7f80
	s_and_saveexec_b64 s[18:19], vcc
	s_cbranch_execz .LBB797_960
; %bb.959:                              ;   in Loop: Header=BB797_788 Depth=1
	v_and_b32_e32 v8, 7, v4
	v_ffbh_u32_e32 v16, v8
	v_min_u32_e32 v16, 32, v16
	v_subrev_u32_e32 v18, 28, v16
	v_lshlrev_b64 v[18:19], v18, v[4:5]
	v_lshrrev_b32_e32 v13, 3, v6
	v_sub_u32_e32 v16, 29, v16
	v_and_b32_e32 v18, 7, v18
	v_cmp_gt_u32_e32 vcc, 8, v6
	v_cndmask_b32_e32 v6, v13, v16, vcc
	v_cndmask_b32_e32 v8, v8, v18, vcc
	v_lshlrev_b32_e32 v13, 24, v4
	v_lshlrev_b32_e32 v8, 20, v8
	v_and_b32_e32 v13, 0x80000000, v13
	v_lshl_add_u32 v6, v6, 23, v10
	v_or3_b32 v6, v13, v6, v8
	v_lshrrev_b32_e32 v16, 16, v6
.LBB797_960:                            ;   in Loop: Header=BB797_788 Depth=1
	s_or_b64 exec, exec, s[18:19]
.LBB797_961:                            ;   in Loop: Header=BB797_788 Depth=1
	s_or_b64 exec, exec, s[16:17]
.LBB797_962:                            ;   in Loop: Header=BB797_788 Depth=1
	s_or_b64 exec, exec, s[14:15]
	v_lshrrev_b16_e32 v6, 8, v4
	v_cmp_ne_u16_e32 vcc, 0, v6
	v_mov_b32_e32 v18, 0
	v_mov_b32_e32 v8, 0
	s_and_saveexec_b64 s[14:15], vcc
	s_cbranch_execz .LBB797_968
; %bb.963:                              ;   in Loop: Header=BB797_788 Depth=1
	v_cmp_ne_u16_e32 vcc, s21, v6
	v_mov_b32_e32 v8, 0xffff8000
	s_and_saveexec_b64 s[16:17], vcc
	s_cbranch_execz .LBB797_967
; %bb.964:                              ;   in Loop: Header=BB797_788 Depth=1
	v_and_b32_e32 v13, 0x7f, v6
	v_cmp_ne_u32_e32 vcc, s23, v13
	v_mov_b32_e32 v8, 0x7f80
	s_and_saveexec_b64 s[18:19], vcc
	s_cbranch_execz .LBB797_966
; %bb.965:                              ;   in Loop: Header=BB797_788 Depth=1
	v_and_b32_e32 v8, 7, v6
	v_ffbh_u32_e32 v20, v8
	v_min_u32_e32 v22, 32, v20
	v_subrev_u32_e32 v20, 28, v22
	v_lshlrev_b64 v[20:21], v20, v[6:7]
	v_lshrrev_b32_e32 v19, 3, v13
	v_sub_u32_e32 v6, 29, v22
	v_and_b32_e32 v20, 7, v20
	v_cmp_gt_u32_e32 vcc, 8, v13
	v_cndmask_b32_e32 v6, v19, v6, vcc
	v_cndmask_b32_e32 v8, v8, v20, vcc
	v_lshlrev_b32_e32 v13, 16, v4
	v_lshlrev_b32_e32 v8, 20, v8
	v_and_b32_e32 v13, 0x80000000, v13
	v_lshl_add_u32 v6, v6, 23, v10
	v_or3_b32 v6, v13, v6, v8
	v_lshrrev_b32_e32 v8, 16, v6
.LBB797_966:                            ;   in Loop: Header=BB797_788 Depth=1
	s_or_b64 exec, exec, s[18:19]
.LBB797_967:                            ;   in Loop: Header=BB797_788 Depth=1
	s_or_b64 exec, exec, s[16:17]
.LBB797_968:                            ;   in Loop: Header=BB797_788 Depth=1
	s_or_b64 exec, exec, s[14:15]
	v_lshrrev_b32_e32 v6, 16, v4
	v_cmp_ne_u16_sdwa s[16:17], v6, v9 src0_sel:BYTE_0 src1_sel:DWORD
	s_and_saveexec_b64 s[14:15], s[16:17]
	s_cbranch_execz .LBB797_974
; %bb.969:                              ;   in Loop: Header=BB797_788 Depth=1
	v_cmp_ne_u16_sdwa s[18:19], v6, s21 src0_sel:BYTE_0 src1_sel:DWORD
	v_mov_b32_e32 v18, 0xffff8000
	s_and_saveexec_b64 s[16:17], s[18:19]
	s_cbranch_execz .LBB797_973
; %bb.970:                              ;   in Loop: Header=BB797_788 Depth=1
	v_bfe_u32 v13, v4, 16, 7
	v_cmp_ne_u32_e32 vcc, s23, v13
	v_mov_b32_e32 v18, 0x7f80
	s_and_saveexec_b64 s[18:19], vcc
	s_cbranch_execz .LBB797_972
; %bb.971:                              ;   in Loop: Header=BB797_788 Depth=1
	v_and_b32_e32 v20, 7, v6
	v_ffbh_u32_e32 v18, v20
	v_min_u32_e32 v22, 32, v18
	v_subrev_u32_e32 v18, 28, v22
	v_lshlrev_b64 v[18:19], v18, v[6:7]
	v_lshrrev_b32_e32 v21, 3, v13
	v_sub_u32_e32 v19, 29, v22
	v_and_b32_e32 v18, 7, v18
	v_cmp_gt_u32_e32 vcc, 8, v13
	v_cndmask_b32_e32 v13, v21, v19, vcc
	v_cndmask_b32_e32 v18, v20, v18, vcc
	v_lshlrev_b32_e32 v6, 24, v6
	v_lshlrev_b32_e32 v18, 20, v18
	v_and_b32_e32 v6, 0x80000000, v6
	v_lshl_add_u32 v13, v13, 23, v10
	v_or3_b32 v6, v6, v13, v18
	v_lshrrev_b32_e32 v18, 16, v6
.LBB797_972:                            ;   in Loop: Header=BB797_788 Depth=1
	s_or_b64 exec, exec, s[18:19]
.LBB797_973:                            ;   in Loop: Header=BB797_788 Depth=1
	s_or_b64 exec, exec, s[16:17]
.LBB797_974:                            ;   in Loop: Header=BB797_788 Depth=1
	s_or_b64 exec, exec, s[14:15]
	v_cmp_lt_u32_e32 vcc, s24, v4
	v_mov_b32_e32 v13, 0
	v_mov_b32_e32 v19, 0
	s_and_saveexec_b64 s[14:15], vcc
	s_cbranch_execz .LBB797_980
; %bb.975:                              ;   in Loop: Header=BB797_788 Depth=1
	v_lshrrev_b32_e32 v6, 24, v4
	v_cmp_ne_u32_e32 vcc, s21, v6
	v_mov_b32_e32 v19, 0xffff8000
	s_and_saveexec_b64 s[16:17], vcc
	s_cbranch_execz .LBB797_979
; %bb.976:                              ;   in Loop: Header=BB797_788 Depth=1
	v_bfe_u32 v4, v4, 24, 7
	v_cmp_ne_u32_e32 vcc, s23, v4
	v_mov_b32_e32 v19, 0x7f80
	s_and_saveexec_b64 s[18:19], vcc
	s_cbranch_execz .LBB797_978
; %bb.977:                              ;   in Loop: Header=BB797_788 Depth=1
	v_and_b32_e32 v19, 7, v6
	v_ffbh_u32_e32 v20, v19
	v_min_u32_e32 v23, 32, v20
	v_subrev_u32_e32 v20, 28, v23
	v_lshlrev_b64 v[20:21], v20, v[6:7]
	v_lshrrev_b32_e32 v22, 3, v4
	v_sub_u32_e32 v21, 29, v23
	v_and_b32_e32 v20, 7, v20
	v_cmp_gt_u32_e32 vcc, 8, v4
	v_cndmask_b32_e32 v4, v22, v21, vcc
	v_cndmask_b32_e32 v19, v19, v20, vcc
	v_lshlrev_b32_e32 v6, 24, v6
	v_lshlrev_b32_e32 v19, 20, v19
	v_and_b32_e32 v6, 0x80000000, v6
	v_lshl_add_u32 v4, v4, 23, v10
	v_or3_b32 v4, v6, v4, v19
	v_lshrrev_b32_e32 v19, 16, v4
.LBB797_978:                            ;   in Loop: Header=BB797_788 Depth=1
	s_or_b64 exec, exec, s[18:19]
.LBB797_979:                            ;   in Loop: Header=BB797_788 Depth=1
	s_or_b64 exec, exec, s[16:17]
.LBB797_980:                            ;   in Loop: Header=BB797_788 Depth=1
	s_or_b64 exec, exec, s[14:15]
	buffer_load_dword v6, v11, s[0:3], 0 offen offset:32
	buffer_load_dword v4, v11, s[0:3], 0 offen offset:36
	v_perm_b32 v15, v17, v15, s25
	v_perm_b32 v14, v14, v12, s25
	;; [unrolled: 1-line block ×4, first 2 shown]
	v_mfma_f32_4x4x4bf16_1k a[0:3], v[2:3], v[14:15], a[0:3] cbsz:4 abid:6
	s_waitcnt vmcnt(1)
	v_cmp_ne_u16_sdwa s[16:17], v6, v9 src0_sel:BYTE_0 src1_sel:DWORD
	v_mfma_f32_4x4x4bf16_1k a[0:3], v[2:3], v[16:17], a[0:3] cbsz:4 abid:7
	s_and_saveexec_b64 s[14:15], s[16:17]
	s_cbranch_execz .LBB797_986
; %bb.981:                              ;   in Loop: Header=BB797_788 Depth=1
	v_cmp_ne_u16_sdwa s[18:19], v6, s21 src0_sel:BYTE_0 src1_sel:DWORD
	v_mov_b32_e32 v13, 0xffff8000
	s_and_saveexec_b64 s[16:17], s[18:19]
	s_cbranch_execz .LBB797_985
; %bb.982:                              ;   in Loop: Header=BB797_788 Depth=1
	v_and_b32_e32 v8, 0x7f, v6
	v_cmp_ne_u32_e32 vcc, s23, v8
	v_mov_b32_e32 v13, 0x7f80
	s_and_saveexec_b64 s[18:19], vcc
	s_cbranch_execz .LBB797_984
; %bb.983:                              ;   in Loop: Header=BB797_788 Depth=1
	v_and_b32_e32 v14, 7, v6
	v_ffbh_u32_e32 v12, v14
	v_min_u32_e32 v16, 32, v12
	v_subrev_u32_e32 v12, 28, v16
	v_lshlrev_b64 v[12:13], v12, v[6:7]
	v_lshrrev_b32_e32 v15, 3, v8
	v_sub_u32_e32 v13, 29, v16
	v_and_b32_e32 v12, 7, v12
	v_cmp_gt_u32_e32 vcc, 8, v8
	v_cndmask_b32_e32 v8, v15, v13, vcc
	v_cndmask_b32_e32 v12, v14, v12, vcc
	v_lshlrev_b32_e32 v13, 24, v6
	v_lshlrev_b32_e32 v12, 20, v12
	v_and_b32_e32 v13, 0x80000000, v13
	v_lshl_add_u32 v8, v8, 23, v10
	v_or3_b32 v8, v13, v8, v12
	v_lshrrev_b32_e32 v13, 16, v8
.LBB797_984:                            ;   in Loop: Header=BB797_788 Depth=1
	s_or_b64 exec, exec, s[18:19]
.LBB797_985:                            ;   in Loop: Header=BB797_788 Depth=1
	s_or_b64 exec, exec, s[16:17]
.LBB797_986:                            ;   in Loop: Header=BB797_788 Depth=1
	s_or_b64 exec, exec, s[14:15]
	v_lshrrev_b16_e32 v8, 8, v6
	v_cmp_ne_u16_e32 vcc, 0, v8
	v_mov_b32_e32 v15, 0
	v_mov_b32_e32 v12, 0
	s_and_saveexec_b64 s[14:15], vcc
	s_cbranch_execz .LBB797_992
; %bb.987:                              ;   in Loop: Header=BB797_788 Depth=1
	v_cmp_ne_u16_e32 vcc, s21, v8
	v_mov_b32_e32 v12, 0xffff8000
	s_and_saveexec_b64 s[16:17], vcc
	s_cbranch_execz .LBB797_991
; %bb.988:                              ;   in Loop: Header=BB797_788 Depth=1
	v_and_b32_e32 v14, 0x7f, v8
	v_cmp_ne_u32_e32 vcc, s23, v14
	v_mov_b32_e32 v12, 0x7f80
	s_and_saveexec_b64 s[18:19], vcc
	s_cbranch_execz .LBB797_990
; %bb.989:                              ;   in Loop: Header=BB797_788 Depth=1
	v_and_b32_e32 v12, 7, v8
	v_ffbh_u32_e32 v16, v12
	v_min_u32_e32 v19, 32, v16
	v_subrev_u32_e32 v16, 28, v19
	v_lshlrev_b64 v[16:17], v16, v[8:9]
	v_lshrrev_b32_e32 v18, 3, v14
	v_sub_u32_e32 v8, 29, v19
	v_and_b32_e32 v16, 7, v16
	v_cmp_gt_u32_e32 vcc, 8, v14
	v_cndmask_b32_e32 v8, v18, v8, vcc
	v_cndmask_b32_e32 v12, v12, v16, vcc
	v_lshlrev_b32_e32 v14, 16, v6
	v_lshlrev_b32_e32 v12, 20, v12
	v_and_b32_e32 v14, 0x80000000, v14
	v_lshl_add_u32 v8, v8, 23, v10
	v_or3_b32 v8, v14, v8, v12
	v_lshrrev_b32_e32 v12, 16, v8
.LBB797_990:                            ;   in Loop: Header=BB797_788 Depth=1
	s_or_b64 exec, exec, s[18:19]
.LBB797_991:                            ;   in Loop: Header=BB797_788 Depth=1
	s_or_b64 exec, exec, s[16:17]
.LBB797_992:                            ;   in Loop: Header=BB797_788 Depth=1
	s_or_b64 exec, exec, s[14:15]
	v_lshrrev_b32_e32 v8, 16, v6
	v_cmp_ne_u16_sdwa s[16:17], v8, v9 src0_sel:BYTE_0 src1_sel:DWORD
	s_and_saveexec_b64 s[14:15], s[16:17]
	s_cbranch_execz .LBB797_998
; %bb.993:                              ;   in Loop: Header=BB797_788 Depth=1
	v_cmp_ne_u16_sdwa s[18:19], v8, s21 src0_sel:BYTE_0 src1_sel:DWORD
	v_mov_b32_e32 v15, 0xffff8000
	s_and_saveexec_b64 s[16:17], s[18:19]
	s_cbranch_execz .LBB797_997
; %bb.994:                              ;   in Loop: Header=BB797_788 Depth=1
	v_bfe_u32 v14, v6, 16, 7
	v_cmp_ne_u32_e32 vcc, s23, v14
	v_mov_b32_e32 v15, 0x7f80
	s_and_saveexec_b64 s[18:19], vcc
	s_cbranch_execz .LBB797_996
; %bb.995:                              ;   in Loop: Header=BB797_788 Depth=1
	v_and_b32_e32 v15, 7, v8
	v_ffbh_u32_e32 v16, v15
	v_min_u32_e32 v19, 32, v16
	v_subrev_u32_e32 v16, 28, v19
	v_lshlrev_b64 v[16:17], v16, v[8:9]
	v_lshrrev_b32_e32 v18, 3, v14
	v_sub_u32_e32 v17, 29, v19
	v_and_b32_e32 v16, 7, v16
	v_cmp_gt_u32_e32 vcc, 8, v14
	v_cndmask_b32_e32 v14, v18, v17, vcc
	v_cndmask_b32_e32 v15, v15, v16, vcc
	v_lshlrev_b32_e32 v8, 24, v8
	v_lshlrev_b32_e32 v15, 20, v15
	v_and_b32_e32 v8, 0x80000000, v8
	v_lshl_add_u32 v14, v14, 23, v10
	v_or3_b32 v8, v8, v14, v15
	v_lshrrev_b32_e32 v15, 16, v8
.LBB797_996:                            ;   in Loop: Header=BB797_788 Depth=1
	s_or_b64 exec, exec, s[18:19]
.LBB797_997:                            ;   in Loop: Header=BB797_788 Depth=1
	s_or_b64 exec, exec, s[16:17]
.LBB797_998:                            ;   in Loop: Header=BB797_788 Depth=1
	s_or_b64 exec, exec, s[14:15]
	v_cmp_lt_u32_e32 vcc, s24, v6
	v_mov_b32_e32 v16, 0
	v_mov_b32_e32 v17, 0
	s_and_saveexec_b64 s[14:15], vcc
	s_cbranch_execz .LBB797_1004
; %bb.999:                              ;   in Loop: Header=BB797_788 Depth=1
	v_lshrrev_b32_e32 v8, 24, v6
	v_cmp_ne_u32_e32 vcc, s21, v8
	v_mov_b32_e32 v17, 0xffff8000
	s_and_saveexec_b64 s[16:17], vcc
	s_cbranch_execz .LBB797_1003
; %bb.1000:                             ;   in Loop: Header=BB797_788 Depth=1
	v_bfe_u32 v6, v6, 24, 7
	v_cmp_ne_u32_e32 vcc, s23, v6
	v_mov_b32_e32 v17, 0x7f80
	s_and_saveexec_b64 s[18:19], vcc
	s_cbranch_execz .LBB797_1002
; %bb.1001:                             ;   in Loop: Header=BB797_788 Depth=1
	v_and_b32_e32 v14, 7, v8
	v_ffbh_u32_e32 v18, v14
	v_min_u32_e32 v20, 32, v18
	v_subrev_u32_e32 v18, 28, v20
	v_lshlrev_b64 v[18:19], v18, v[8:9]
	v_lshrrev_b32_e32 v17, 3, v6
	v_sub_u32_e32 v19, 29, v20
	v_and_b32_e32 v18, 7, v18
	v_cmp_gt_u32_e32 vcc, 8, v6
	v_cndmask_b32_e32 v6, v17, v19, vcc
	v_cndmask_b32_e32 v14, v14, v18, vcc
	v_lshlrev_b32_e32 v8, 24, v8
	v_lshlrev_b32_e32 v14, 20, v14
	v_and_b32_e32 v8, 0x80000000, v8
	v_lshl_add_u32 v6, v6, 23, v10
	v_or3_b32 v6, v8, v6, v14
	v_lshrrev_b32_e32 v17, 16, v6
.LBB797_1002:                           ;   in Loop: Header=BB797_788 Depth=1
	s_or_b64 exec, exec, s[18:19]
.LBB797_1003:                           ;   in Loop: Header=BB797_788 Depth=1
	s_or_b64 exec, exec, s[16:17]
.LBB797_1004:                           ;   in Loop: Header=BB797_788 Depth=1
	s_or_b64 exec, exec, s[14:15]
	s_waitcnt vmcnt(0)
	v_cmp_ne_u16_sdwa s[16:17], v4, v9 src0_sel:BYTE_0 src1_sel:DWORD
	s_and_saveexec_b64 s[14:15], s[16:17]
	s_cbranch_execz .LBB797_1010
; %bb.1005:                             ;   in Loop: Header=BB797_788 Depth=1
	v_cmp_ne_u16_sdwa s[18:19], v4, s21 src0_sel:BYTE_0 src1_sel:DWORD
	v_mov_b32_e32 v16, 0xffff8000
	s_and_saveexec_b64 s[16:17], s[18:19]
	s_cbranch_execz .LBB797_1009
; %bb.1006:                             ;   in Loop: Header=BB797_788 Depth=1
	v_and_b32_e32 v6, 0x7f, v4
	v_cmp_ne_u32_e32 vcc, s23, v6
	v_mov_b32_e32 v16, 0x7f80
	s_and_saveexec_b64 s[18:19], vcc
	s_cbranch_execz .LBB797_1008
; %bb.1007:                             ;   in Loop: Header=BB797_788 Depth=1
	v_and_b32_e32 v8, 7, v4
	v_ffbh_u32_e32 v16, v8
	v_min_u32_e32 v16, 32, v16
	v_subrev_u32_e32 v18, 28, v16
	v_lshlrev_b64 v[18:19], v18, v[4:5]
	v_lshrrev_b32_e32 v14, 3, v6
	v_sub_u32_e32 v16, 29, v16
	v_and_b32_e32 v18, 7, v18
	v_cmp_gt_u32_e32 vcc, 8, v6
	v_cndmask_b32_e32 v6, v14, v16, vcc
	v_cndmask_b32_e32 v8, v8, v18, vcc
	v_lshlrev_b32_e32 v14, 24, v4
	v_lshlrev_b32_e32 v8, 20, v8
	v_and_b32_e32 v14, 0x80000000, v14
	v_lshl_add_u32 v6, v6, 23, v10
	v_or3_b32 v6, v14, v6, v8
	v_lshrrev_b32_e32 v16, 16, v6
.LBB797_1008:                           ;   in Loop: Header=BB797_788 Depth=1
	s_or_b64 exec, exec, s[18:19]
.LBB797_1009:                           ;   in Loop: Header=BB797_788 Depth=1
	s_or_b64 exec, exec, s[16:17]
.LBB797_1010:                           ;   in Loop: Header=BB797_788 Depth=1
	s_or_b64 exec, exec, s[14:15]
	v_lshrrev_b16_e32 v6, 8, v4
	v_cmp_ne_u16_e32 vcc, 0, v6
	v_mov_b32_e32 v18, 0
	v_mov_b32_e32 v8, 0
	s_and_saveexec_b64 s[14:15], vcc
	s_cbranch_execz .LBB797_1016
; %bb.1011:                             ;   in Loop: Header=BB797_788 Depth=1
	v_cmp_ne_u16_e32 vcc, s21, v6
	v_mov_b32_e32 v8, 0xffff8000
	s_and_saveexec_b64 s[16:17], vcc
	s_cbranch_execz .LBB797_1015
; %bb.1012:                             ;   in Loop: Header=BB797_788 Depth=1
	v_and_b32_e32 v14, 0x7f, v6
	v_cmp_ne_u32_e32 vcc, s23, v14
	v_mov_b32_e32 v8, 0x7f80
	s_and_saveexec_b64 s[18:19], vcc
	s_cbranch_execz .LBB797_1014
; %bb.1013:                             ;   in Loop: Header=BB797_788 Depth=1
	v_and_b32_e32 v8, 7, v6
	v_ffbh_u32_e32 v20, v8
	v_min_u32_e32 v22, 32, v20
	v_subrev_u32_e32 v20, 28, v22
	v_lshlrev_b64 v[20:21], v20, v[6:7]
	v_lshrrev_b32_e32 v19, 3, v14
	v_sub_u32_e32 v6, 29, v22
	v_and_b32_e32 v20, 7, v20
	v_cmp_gt_u32_e32 vcc, 8, v14
	v_cndmask_b32_e32 v6, v19, v6, vcc
	v_cndmask_b32_e32 v8, v8, v20, vcc
	v_lshlrev_b32_e32 v14, 16, v4
	v_lshlrev_b32_e32 v8, 20, v8
	v_and_b32_e32 v14, 0x80000000, v14
	v_lshl_add_u32 v6, v6, 23, v10
	v_or3_b32 v6, v14, v6, v8
	v_lshrrev_b32_e32 v8, 16, v6
.LBB797_1014:                           ;   in Loop: Header=BB797_788 Depth=1
	s_or_b64 exec, exec, s[18:19]
.LBB797_1015:                           ;   in Loop: Header=BB797_788 Depth=1
	s_or_b64 exec, exec, s[16:17]
.LBB797_1016:                           ;   in Loop: Header=BB797_788 Depth=1
	s_or_b64 exec, exec, s[14:15]
	v_lshrrev_b32_e32 v6, 16, v4
	v_cmp_ne_u16_sdwa s[16:17], v6, v9 src0_sel:BYTE_0 src1_sel:DWORD
	s_and_saveexec_b64 s[14:15], s[16:17]
	s_cbranch_execz .LBB797_1022
; %bb.1017:                             ;   in Loop: Header=BB797_788 Depth=1
	v_cmp_ne_u16_sdwa s[18:19], v6, s21 src0_sel:BYTE_0 src1_sel:DWORD
	v_mov_b32_e32 v18, 0xffff8000
	s_and_saveexec_b64 s[16:17], s[18:19]
	s_cbranch_execz .LBB797_1021
; %bb.1018:                             ;   in Loop: Header=BB797_788 Depth=1
	v_bfe_u32 v14, v4, 16, 7
	v_cmp_ne_u32_e32 vcc, s23, v14
	v_mov_b32_e32 v18, 0x7f80
	s_and_saveexec_b64 s[18:19], vcc
	s_cbranch_execz .LBB797_1020
; %bb.1019:                             ;   in Loop: Header=BB797_788 Depth=1
	v_and_b32_e32 v20, 7, v6
	v_ffbh_u32_e32 v18, v20
	v_min_u32_e32 v22, 32, v18
	v_subrev_u32_e32 v18, 28, v22
	v_lshlrev_b64 v[18:19], v18, v[6:7]
	v_lshrrev_b32_e32 v21, 3, v14
	v_sub_u32_e32 v19, 29, v22
	v_and_b32_e32 v18, 7, v18
	v_cmp_gt_u32_e32 vcc, 8, v14
	v_cndmask_b32_e32 v14, v21, v19, vcc
	v_cndmask_b32_e32 v18, v20, v18, vcc
	v_lshlrev_b32_e32 v6, 24, v6
	v_lshlrev_b32_e32 v18, 20, v18
	v_and_b32_e32 v6, 0x80000000, v6
	v_lshl_add_u32 v14, v14, 23, v10
	v_or3_b32 v6, v6, v14, v18
	v_lshrrev_b32_e32 v18, 16, v6
.LBB797_1020:                           ;   in Loop: Header=BB797_788 Depth=1
	s_or_b64 exec, exec, s[18:19]
.LBB797_1021:                           ;   in Loop: Header=BB797_788 Depth=1
	s_or_b64 exec, exec, s[16:17]
.LBB797_1022:                           ;   in Loop: Header=BB797_788 Depth=1
	s_or_b64 exec, exec, s[14:15]
	v_cmp_lt_u32_e32 vcc, s24, v4
	v_mov_b32_e32 v14, 0
	v_mov_b32_e32 v19, 0
	s_and_saveexec_b64 s[14:15], vcc
	s_cbranch_execz .LBB797_1028
; %bb.1023:                             ;   in Loop: Header=BB797_788 Depth=1
	v_lshrrev_b32_e32 v6, 24, v4
	v_cmp_ne_u32_e32 vcc, s21, v6
	v_mov_b32_e32 v19, 0xffff8000
	s_and_saveexec_b64 s[16:17], vcc
	s_cbranch_execz .LBB797_1027
; %bb.1024:                             ;   in Loop: Header=BB797_788 Depth=1
	v_bfe_u32 v4, v4, 24, 7
	v_cmp_ne_u32_e32 vcc, s23, v4
	v_mov_b32_e32 v19, 0x7f80
	s_and_saveexec_b64 s[18:19], vcc
	s_cbranch_execz .LBB797_1026
; %bb.1025:                             ;   in Loop: Header=BB797_788 Depth=1
	v_and_b32_e32 v19, 7, v6
	v_ffbh_u32_e32 v20, v19
	v_min_u32_e32 v23, 32, v20
	v_subrev_u32_e32 v20, 28, v23
	v_lshlrev_b64 v[20:21], v20, v[6:7]
	v_lshrrev_b32_e32 v22, 3, v4
	v_sub_u32_e32 v21, 29, v23
	v_and_b32_e32 v20, 7, v20
	v_cmp_gt_u32_e32 vcc, 8, v4
	v_cndmask_b32_e32 v4, v22, v21, vcc
	v_cndmask_b32_e32 v19, v19, v20, vcc
	v_lshlrev_b32_e32 v6, 24, v6
	v_lshlrev_b32_e32 v19, 20, v19
	v_and_b32_e32 v6, 0x80000000, v6
	v_lshl_add_u32 v4, v4, 23, v10
	v_or3_b32 v4, v6, v4, v19
	v_lshrrev_b32_e32 v19, 16, v4
.LBB797_1026:                           ;   in Loop: Header=BB797_788 Depth=1
	s_or_b64 exec, exec, s[18:19]
.LBB797_1027:                           ;   in Loop: Header=BB797_788 Depth=1
	s_or_b64 exec, exec, s[16:17]
.LBB797_1028:                           ;   in Loop: Header=BB797_788 Depth=1
	s_or_b64 exec, exec, s[14:15]
	buffer_load_dword v6, v11, s[0:3], 0 offen offset:40
	buffer_load_dword v4, v11, s[0:3], 0 offen offset:44
	v_perm_b32 v21, v17, v15, s25
	v_perm_b32 v20, v12, v13, s25
	;; [unrolled: 1-line block ×4, first 2 shown]
	v_mfma_f32_4x4x4bf16_1k a[0:3], v[2:3], v[20:21], a[0:3] cbsz:4 abid:8
	s_waitcnt vmcnt(1)
	v_cmp_ne_u16_sdwa s[16:17], v6, v9 src0_sel:BYTE_0 src1_sel:DWORD
	v_mfma_f32_4x4x4bf16_1k a[0:3], v[2:3], v[12:13], a[0:3] cbsz:4 abid:9
	s_and_saveexec_b64 s[14:15], s[16:17]
	s_cbranch_execz .LBB797_1034
; %bb.1029:                             ;   in Loop: Header=BB797_788 Depth=1
	v_cmp_ne_u16_sdwa s[18:19], v6, s21 src0_sel:BYTE_0 src1_sel:DWORD
	v_mov_b32_e32 v14, 0xffff8000
	s_and_saveexec_b64 s[16:17], s[18:19]
	s_cbranch_execz .LBB797_1033
; %bb.1030:                             ;   in Loop: Header=BB797_788 Depth=1
	v_and_b32_e32 v8, 0x7f, v6
	v_cmp_ne_u32_e32 vcc, s23, v8
	v_mov_b32_e32 v14, 0x7f80
	s_and_saveexec_b64 s[18:19], vcc
	s_cbranch_execz .LBB797_1032
; %bb.1031:                             ;   in Loop: Header=BB797_788 Depth=1
	v_and_b32_e32 v14, 7, v6
	v_ffbh_u32_e32 v12, v14
	v_min_u32_e32 v16, 32, v12
	v_subrev_u32_e32 v12, 28, v16
	v_lshlrev_b64 v[12:13], v12, v[6:7]
	v_lshrrev_b32_e32 v15, 3, v8
	v_sub_u32_e32 v13, 29, v16
	v_and_b32_e32 v12, 7, v12
	v_cmp_gt_u32_e32 vcc, 8, v8
	v_cndmask_b32_e32 v8, v15, v13, vcc
	v_cndmask_b32_e32 v12, v14, v12, vcc
	v_lshlrev_b32_e32 v13, 24, v6
	v_lshlrev_b32_e32 v12, 20, v12
	v_and_b32_e32 v13, 0x80000000, v13
	v_lshl_add_u32 v8, v8, 23, v10
	v_or3_b32 v8, v13, v8, v12
	v_lshrrev_b32_e32 v14, 16, v8
.LBB797_1032:                           ;   in Loop: Header=BB797_788 Depth=1
	s_or_b64 exec, exec, s[18:19]
.LBB797_1033:                           ;   in Loop: Header=BB797_788 Depth=1
	s_or_b64 exec, exec, s[16:17]
.LBB797_1034:                           ;   in Loop: Header=BB797_788 Depth=1
	s_or_b64 exec, exec, s[14:15]
	v_lshrrev_b16_e32 v8, 8, v6
	v_cmp_ne_u16_e32 vcc, 0, v8
	v_mov_b32_e32 v15, 0
	v_mov_b32_e32 v13, 0
	s_and_saveexec_b64 s[14:15], vcc
	s_cbranch_execz .LBB797_1040
; %bb.1035:                             ;   in Loop: Header=BB797_788 Depth=1
	v_cmp_ne_u16_e32 vcc, s21, v8
	v_mov_b32_e32 v13, 0xffff8000
	s_and_saveexec_b64 s[16:17], vcc
	s_cbranch_execz .LBB797_1039
; %bb.1036:                             ;   in Loop: Header=BB797_788 Depth=1
	v_and_b32_e32 v12, 0x7f, v8
	v_cmp_ne_u32_e32 vcc, s23, v12
	v_mov_b32_e32 v13, 0x7f80
	s_and_saveexec_b64 s[18:19], vcc
	s_cbranch_execz .LBB797_1038
; %bb.1037:                             ;   in Loop: Header=BB797_788 Depth=1
	v_and_b32_e32 v13, 7, v8
	v_ffbh_u32_e32 v16, v13
	v_min_u32_e32 v19, 32, v16
	v_subrev_u32_e32 v16, 28, v19
	v_lshlrev_b64 v[16:17], v16, v[8:9]
	v_lshrrev_b32_e32 v18, 3, v12
	v_sub_u32_e32 v8, 29, v19
	v_and_b32_e32 v16, 7, v16
	v_cmp_gt_u32_e32 vcc, 8, v12
	v_cndmask_b32_e32 v8, v18, v8, vcc
	v_cndmask_b32_e32 v12, v13, v16, vcc
	v_lshlrev_b32_e32 v13, 16, v6
	v_lshlrev_b32_e32 v12, 20, v12
	v_and_b32_e32 v13, 0x80000000, v13
	v_lshl_add_u32 v8, v8, 23, v10
	v_or3_b32 v8, v13, v8, v12
	v_lshrrev_b32_e32 v13, 16, v8
.LBB797_1038:                           ;   in Loop: Header=BB797_788 Depth=1
	s_or_b64 exec, exec, s[18:19]
.LBB797_1039:                           ;   in Loop: Header=BB797_788 Depth=1
	s_or_b64 exec, exec, s[16:17]
.LBB797_1040:                           ;   in Loop: Header=BB797_788 Depth=1
	s_or_b64 exec, exec, s[14:15]
	v_lshrrev_b32_e32 v8, 16, v6
	v_cmp_ne_u16_sdwa s[16:17], v8, v9 src0_sel:BYTE_0 src1_sel:DWORD
	s_and_saveexec_b64 s[14:15], s[16:17]
	s_cbranch_execz .LBB797_1046
; %bb.1041:                             ;   in Loop: Header=BB797_788 Depth=1
	v_cmp_ne_u16_sdwa s[18:19], v8, s21 src0_sel:BYTE_0 src1_sel:DWORD
	v_mov_b32_e32 v15, 0xffff8000
	s_and_saveexec_b64 s[16:17], s[18:19]
	s_cbranch_execz .LBB797_1045
; %bb.1042:                             ;   in Loop: Header=BB797_788 Depth=1
	v_bfe_u32 v12, v6, 16, 7
	v_cmp_ne_u32_e32 vcc, s23, v12
	v_mov_b32_e32 v15, 0x7f80
	s_and_saveexec_b64 s[18:19], vcc
	s_cbranch_execz .LBB797_1044
; %bb.1043:                             ;   in Loop: Header=BB797_788 Depth=1
	v_and_b32_e32 v15, 7, v8
	v_ffbh_u32_e32 v16, v15
	v_min_u32_e32 v19, 32, v16
	v_subrev_u32_e32 v16, 28, v19
	v_lshlrev_b64 v[16:17], v16, v[8:9]
	v_lshrrev_b32_e32 v18, 3, v12
	v_sub_u32_e32 v17, 29, v19
	v_and_b32_e32 v16, 7, v16
	v_cmp_gt_u32_e32 vcc, 8, v12
	v_cndmask_b32_e32 v12, v18, v17, vcc
	v_cndmask_b32_e32 v15, v15, v16, vcc
	v_lshlrev_b32_e32 v8, 24, v8
	v_lshlrev_b32_e32 v15, 20, v15
	v_and_b32_e32 v8, 0x80000000, v8
	v_lshl_add_u32 v12, v12, 23, v10
	v_or3_b32 v8, v8, v12, v15
	v_lshrrev_b32_e32 v15, 16, v8
.LBB797_1044:                           ;   in Loop: Header=BB797_788 Depth=1
	s_or_b64 exec, exec, s[18:19]
.LBB797_1045:                           ;   in Loop: Header=BB797_788 Depth=1
	s_or_b64 exec, exec, s[16:17]
.LBB797_1046:                           ;   in Loop: Header=BB797_788 Depth=1
	s_or_b64 exec, exec, s[14:15]
	v_cmp_lt_u32_e32 vcc, s24, v6
	v_mov_b32_e32 v16, 0
	v_mov_b32_e32 v17, 0
	s_and_saveexec_b64 s[14:15], vcc
	s_cbranch_execz .LBB797_1052
; %bb.1047:                             ;   in Loop: Header=BB797_788 Depth=1
	v_lshrrev_b32_e32 v8, 24, v6
	v_cmp_ne_u32_e32 vcc, s21, v8
	v_mov_b32_e32 v17, 0xffff8000
	s_and_saveexec_b64 s[16:17], vcc
	s_cbranch_execz .LBB797_1051
; %bb.1048:                             ;   in Loop: Header=BB797_788 Depth=1
	v_bfe_u32 v6, v6, 24, 7
	v_cmp_ne_u32_e32 vcc, s23, v6
	v_mov_b32_e32 v17, 0x7f80
	s_and_saveexec_b64 s[18:19], vcc
	s_cbranch_execz .LBB797_1050
; %bb.1049:                             ;   in Loop: Header=BB797_788 Depth=1
	v_and_b32_e32 v12, 7, v8
	v_ffbh_u32_e32 v18, v12
	v_min_u32_e32 v20, 32, v18
	v_subrev_u32_e32 v18, 28, v20
	v_lshlrev_b64 v[18:19], v18, v[8:9]
	v_lshrrev_b32_e32 v17, 3, v6
	v_sub_u32_e32 v19, 29, v20
	v_and_b32_e32 v18, 7, v18
	v_cmp_gt_u32_e32 vcc, 8, v6
	v_cndmask_b32_e32 v6, v17, v19, vcc
	v_cndmask_b32_e32 v12, v12, v18, vcc
	v_lshlrev_b32_e32 v8, 24, v8
	v_lshlrev_b32_e32 v12, 20, v12
	v_and_b32_e32 v8, 0x80000000, v8
	v_lshl_add_u32 v6, v6, 23, v10
	v_or3_b32 v6, v8, v6, v12
	v_lshrrev_b32_e32 v17, 16, v6
.LBB797_1050:                           ;   in Loop: Header=BB797_788 Depth=1
	s_or_b64 exec, exec, s[18:19]
.LBB797_1051:                           ;   in Loop: Header=BB797_788 Depth=1
	s_or_b64 exec, exec, s[16:17]
.LBB797_1052:                           ;   in Loop: Header=BB797_788 Depth=1
	s_or_b64 exec, exec, s[14:15]
	s_waitcnt vmcnt(0)
	v_cmp_ne_u16_sdwa s[16:17], v4, v9 src0_sel:BYTE_0 src1_sel:DWORD
	s_and_saveexec_b64 s[14:15], s[16:17]
	s_cbranch_execz .LBB797_1058
; %bb.1053:                             ;   in Loop: Header=BB797_788 Depth=1
	v_cmp_ne_u16_sdwa s[18:19], v4, s21 src0_sel:BYTE_0 src1_sel:DWORD
	v_mov_b32_e32 v16, 0xffff8000
	s_and_saveexec_b64 s[16:17], s[18:19]
	s_cbranch_execz .LBB797_1057
; %bb.1054:                             ;   in Loop: Header=BB797_788 Depth=1
	v_and_b32_e32 v6, 0x7f, v4
	v_cmp_ne_u32_e32 vcc, s23, v6
	v_mov_b32_e32 v16, 0x7f80
	s_and_saveexec_b64 s[18:19], vcc
	s_cbranch_execz .LBB797_1056
; %bb.1055:                             ;   in Loop: Header=BB797_788 Depth=1
	v_and_b32_e32 v8, 7, v4
	v_ffbh_u32_e32 v16, v8
	v_min_u32_e32 v16, 32, v16
	v_subrev_u32_e32 v18, 28, v16
	v_lshlrev_b64 v[18:19], v18, v[4:5]
	v_lshrrev_b32_e32 v12, 3, v6
	v_sub_u32_e32 v16, 29, v16
	v_and_b32_e32 v18, 7, v18
	v_cmp_gt_u32_e32 vcc, 8, v6
	v_cndmask_b32_e32 v6, v12, v16, vcc
	v_cndmask_b32_e32 v8, v8, v18, vcc
	v_lshlrev_b32_e32 v12, 24, v4
	v_lshlrev_b32_e32 v8, 20, v8
	v_and_b32_e32 v12, 0x80000000, v12
	v_lshl_add_u32 v6, v6, 23, v10
	v_or3_b32 v6, v12, v6, v8
	v_lshrrev_b32_e32 v16, 16, v6
.LBB797_1056:                           ;   in Loop: Header=BB797_788 Depth=1
	s_or_b64 exec, exec, s[18:19]
.LBB797_1057:                           ;   in Loop: Header=BB797_788 Depth=1
	s_or_b64 exec, exec, s[16:17]
.LBB797_1058:                           ;   in Loop: Header=BB797_788 Depth=1
	s_or_b64 exec, exec, s[14:15]
	v_lshrrev_b16_e32 v6, 8, v4
	v_cmp_ne_u16_e32 vcc, 0, v6
	v_mov_b32_e32 v18, 0
	v_mov_b32_e32 v8, 0
	s_and_saveexec_b64 s[14:15], vcc
	s_cbranch_execz .LBB797_1064
; %bb.1059:                             ;   in Loop: Header=BB797_788 Depth=1
	v_cmp_ne_u16_e32 vcc, s21, v6
	v_mov_b32_e32 v8, 0xffff8000
	s_and_saveexec_b64 s[16:17], vcc
	s_cbranch_execz .LBB797_1063
; %bb.1060:                             ;   in Loop: Header=BB797_788 Depth=1
	v_and_b32_e32 v12, 0x7f, v6
	v_cmp_ne_u32_e32 vcc, s23, v12
	v_mov_b32_e32 v8, 0x7f80
	s_and_saveexec_b64 s[18:19], vcc
	s_cbranch_execz .LBB797_1062
; %bb.1061:                             ;   in Loop: Header=BB797_788 Depth=1
	v_and_b32_e32 v8, 7, v6
	v_ffbh_u32_e32 v20, v8
	v_min_u32_e32 v22, 32, v20
	v_subrev_u32_e32 v20, 28, v22
	v_lshlrev_b64 v[20:21], v20, v[6:7]
	v_lshrrev_b32_e32 v19, 3, v12
	v_sub_u32_e32 v6, 29, v22
	v_and_b32_e32 v20, 7, v20
	v_cmp_gt_u32_e32 vcc, 8, v12
	v_cndmask_b32_e32 v6, v19, v6, vcc
	v_cndmask_b32_e32 v8, v8, v20, vcc
	v_lshlrev_b32_e32 v12, 16, v4
	v_lshlrev_b32_e32 v8, 20, v8
	v_and_b32_e32 v12, 0x80000000, v12
	v_lshl_add_u32 v6, v6, 23, v10
	v_or3_b32 v6, v12, v6, v8
	v_lshrrev_b32_e32 v8, 16, v6
.LBB797_1062:                           ;   in Loop: Header=BB797_788 Depth=1
	s_or_b64 exec, exec, s[18:19]
.LBB797_1063:                           ;   in Loop: Header=BB797_788 Depth=1
	s_or_b64 exec, exec, s[16:17]
.LBB797_1064:                           ;   in Loop: Header=BB797_788 Depth=1
	s_or_b64 exec, exec, s[14:15]
	v_lshrrev_b32_e32 v6, 16, v4
	v_cmp_ne_u16_sdwa s[16:17], v6, v9 src0_sel:BYTE_0 src1_sel:DWORD
	s_and_saveexec_b64 s[14:15], s[16:17]
	s_cbranch_execz .LBB797_1070
; %bb.1065:                             ;   in Loop: Header=BB797_788 Depth=1
	v_cmp_ne_u16_sdwa s[18:19], v6, s21 src0_sel:BYTE_0 src1_sel:DWORD
	v_mov_b32_e32 v18, 0xffff8000
	s_and_saveexec_b64 s[16:17], s[18:19]
	s_cbranch_execz .LBB797_1069
; %bb.1066:                             ;   in Loop: Header=BB797_788 Depth=1
	v_bfe_u32 v12, v4, 16, 7
	v_cmp_ne_u32_e32 vcc, s23, v12
	v_mov_b32_e32 v18, 0x7f80
	s_and_saveexec_b64 s[18:19], vcc
	s_cbranch_execz .LBB797_1068
; %bb.1067:                             ;   in Loop: Header=BB797_788 Depth=1
	v_and_b32_e32 v20, 7, v6
	v_ffbh_u32_e32 v18, v20
	v_min_u32_e32 v22, 32, v18
	v_subrev_u32_e32 v18, 28, v22
	v_lshlrev_b64 v[18:19], v18, v[6:7]
	v_lshrrev_b32_e32 v21, 3, v12
	v_sub_u32_e32 v19, 29, v22
	v_and_b32_e32 v18, 7, v18
	v_cmp_gt_u32_e32 vcc, 8, v12
	v_cndmask_b32_e32 v12, v21, v19, vcc
	v_cndmask_b32_e32 v18, v20, v18, vcc
	v_lshlrev_b32_e32 v6, 24, v6
	v_lshlrev_b32_e32 v18, 20, v18
	v_and_b32_e32 v6, 0x80000000, v6
	v_lshl_add_u32 v12, v12, 23, v10
	v_or3_b32 v6, v6, v12, v18
	v_lshrrev_b32_e32 v18, 16, v6
.LBB797_1068:                           ;   in Loop: Header=BB797_788 Depth=1
	s_or_b64 exec, exec, s[18:19]
.LBB797_1069:                           ;   in Loop: Header=BB797_788 Depth=1
	s_or_b64 exec, exec, s[16:17]
.LBB797_1070:                           ;   in Loop: Header=BB797_788 Depth=1
	s_or_b64 exec, exec, s[14:15]
	v_cmp_lt_u32_e32 vcc, s24, v4
	v_mov_b32_e32 v12, 0
	v_mov_b32_e32 v19, 0
	s_and_saveexec_b64 s[14:15], vcc
	s_cbranch_execz .LBB797_1076
; %bb.1071:                             ;   in Loop: Header=BB797_788 Depth=1
	v_lshrrev_b32_e32 v6, 24, v4
	v_cmp_ne_u32_e32 vcc, s21, v6
	v_mov_b32_e32 v19, 0xffff8000
	s_and_saveexec_b64 s[16:17], vcc
	s_cbranch_execz .LBB797_1075
; %bb.1072:                             ;   in Loop: Header=BB797_788 Depth=1
	v_bfe_u32 v4, v4, 24, 7
	v_cmp_ne_u32_e32 vcc, s23, v4
	v_mov_b32_e32 v19, 0x7f80
	s_and_saveexec_b64 s[18:19], vcc
	s_cbranch_execz .LBB797_1074
; %bb.1073:                             ;   in Loop: Header=BB797_788 Depth=1
	v_and_b32_e32 v19, 7, v6
	v_ffbh_u32_e32 v20, v19
	v_min_u32_e32 v23, 32, v20
	v_subrev_u32_e32 v20, 28, v23
	v_lshlrev_b64 v[20:21], v20, v[6:7]
	v_lshrrev_b32_e32 v22, 3, v4
	v_sub_u32_e32 v21, 29, v23
	v_and_b32_e32 v20, 7, v20
	v_cmp_gt_u32_e32 vcc, 8, v4
	v_cndmask_b32_e32 v4, v22, v21, vcc
	v_cndmask_b32_e32 v19, v19, v20, vcc
	v_lshlrev_b32_e32 v6, 24, v6
	v_lshlrev_b32_e32 v19, 20, v19
	v_and_b32_e32 v6, 0x80000000, v6
	v_lshl_add_u32 v4, v4, 23, v10
	v_or3_b32 v4, v6, v4, v19
	v_lshrrev_b32_e32 v19, 16, v4
.LBB797_1074:                           ;   in Loop: Header=BB797_788 Depth=1
	s_or_b64 exec, exec, s[18:19]
.LBB797_1075:                           ;   in Loop: Header=BB797_788 Depth=1
	s_or_b64 exec, exec, s[16:17]
.LBB797_1076:                           ;   in Loop: Header=BB797_788 Depth=1
	s_or_b64 exec, exec, s[14:15]
	buffer_load_dword v6, v11, s[0:3], 0 offen offset:48
	buffer_load_dword v4, v11, s[0:3], 0 offen offset:52
	v_perm_b32 v15, v17, v15, s25
	v_perm_b32 v14, v13, v14, s25
	;; [unrolled: 1-line block ×4, first 2 shown]
	v_mfma_f32_4x4x4bf16_1k a[0:3], v[2:3], v[14:15], a[0:3] cbsz:4 abid:10
	s_waitcnt vmcnt(1)
	v_cmp_ne_u16_sdwa s[16:17], v6, v9 src0_sel:BYTE_0 src1_sel:DWORD
	v_mfma_f32_4x4x4bf16_1k a[0:3], v[2:3], v[16:17], a[0:3] cbsz:4 abid:11
	s_and_saveexec_b64 s[14:15], s[16:17]
	s_cbranch_execz .LBB797_1082
; %bb.1077:                             ;   in Loop: Header=BB797_788 Depth=1
	v_cmp_ne_u16_sdwa s[18:19], v6, s21 src0_sel:BYTE_0 src1_sel:DWORD
	v_mov_b32_e32 v12, 0xffff8000
	s_and_saveexec_b64 s[16:17], s[18:19]
	s_cbranch_execz .LBB797_1081
; %bb.1078:                             ;   in Loop: Header=BB797_788 Depth=1
	v_and_b32_e32 v8, 0x7f, v6
	v_cmp_ne_u32_e32 vcc, s23, v8
	v_mov_b32_e32 v12, 0x7f80
	s_and_saveexec_b64 s[18:19], vcc
	s_cbranch_execz .LBB797_1080
; %bb.1079:                             ;   in Loop: Header=BB797_788 Depth=1
	v_and_b32_e32 v14, 7, v6
	v_ffbh_u32_e32 v12, v14
	v_min_u32_e32 v16, 32, v12
	v_subrev_u32_e32 v12, 28, v16
	v_lshlrev_b64 v[12:13], v12, v[6:7]
	v_lshrrev_b32_e32 v15, 3, v8
	v_sub_u32_e32 v13, 29, v16
	v_and_b32_e32 v12, 7, v12
	v_cmp_gt_u32_e32 vcc, 8, v8
	v_cndmask_b32_e32 v8, v15, v13, vcc
	v_cndmask_b32_e32 v12, v14, v12, vcc
	v_lshlrev_b32_e32 v13, 24, v6
	v_lshlrev_b32_e32 v12, 20, v12
	v_and_b32_e32 v13, 0x80000000, v13
	v_lshl_add_u32 v8, v8, 23, v10
	v_or3_b32 v8, v13, v8, v12
	v_lshrrev_b32_e32 v12, 16, v8
.LBB797_1080:                           ;   in Loop: Header=BB797_788 Depth=1
	s_or_b64 exec, exec, s[18:19]
.LBB797_1081:                           ;   in Loop: Header=BB797_788 Depth=1
	s_or_b64 exec, exec, s[16:17]
.LBB797_1082:                           ;   in Loop: Header=BB797_788 Depth=1
	s_or_b64 exec, exec, s[14:15]
	v_lshrrev_b16_e32 v8, 8, v6
	v_cmp_ne_u16_e32 vcc, 0, v8
	v_mov_b32_e32 v15, 0
	v_mov_b32_e32 v14, 0
	s_and_saveexec_b64 s[14:15], vcc
	s_cbranch_execz .LBB797_1088
; %bb.1083:                             ;   in Loop: Header=BB797_788 Depth=1
	v_cmp_ne_u16_e32 vcc, s21, v8
	v_mov_b32_e32 v14, 0xffff8000
	s_and_saveexec_b64 s[16:17], vcc
	s_cbranch_execz .LBB797_1087
; %bb.1084:                             ;   in Loop: Header=BB797_788 Depth=1
	v_and_b32_e32 v13, 0x7f, v8
	v_cmp_ne_u32_e32 vcc, s23, v13
	v_mov_b32_e32 v14, 0x7f80
	s_and_saveexec_b64 s[18:19], vcc
	s_cbranch_execz .LBB797_1086
; %bb.1085:                             ;   in Loop: Header=BB797_788 Depth=1
	v_and_b32_e32 v14, 7, v8
	v_ffbh_u32_e32 v16, v14
	v_min_u32_e32 v19, 32, v16
	v_subrev_u32_e32 v16, 28, v19
	v_lshlrev_b64 v[16:17], v16, v[8:9]
	v_lshrrev_b32_e32 v18, 3, v13
	v_sub_u32_e32 v8, 29, v19
	v_and_b32_e32 v16, 7, v16
	v_cmp_gt_u32_e32 vcc, 8, v13
	v_cndmask_b32_e32 v8, v18, v8, vcc
	v_cndmask_b32_e32 v13, v14, v16, vcc
	v_lshlrev_b32_e32 v14, 16, v6
	v_lshlrev_b32_e32 v13, 20, v13
	v_and_b32_e32 v14, 0x80000000, v14
	v_lshl_add_u32 v8, v8, 23, v10
	v_or3_b32 v8, v14, v8, v13
	v_lshrrev_b32_e32 v14, 16, v8
.LBB797_1086:                           ;   in Loop: Header=BB797_788 Depth=1
	s_or_b64 exec, exec, s[18:19]
.LBB797_1087:                           ;   in Loop: Header=BB797_788 Depth=1
	s_or_b64 exec, exec, s[16:17]
.LBB797_1088:                           ;   in Loop: Header=BB797_788 Depth=1
	s_or_b64 exec, exec, s[14:15]
	v_lshrrev_b32_e32 v8, 16, v6
	v_cmp_ne_u16_sdwa s[16:17], v8, v9 src0_sel:BYTE_0 src1_sel:DWORD
	s_and_saveexec_b64 s[14:15], s[16:17]
	s_cbranch_execz .LBB797_1094
; %bb.1089:                             ;   in Loop: Header=BB797_788 Depth=1
	v_cmp_ne_u16_sdwa s[18:19], v8, s21 src0_sel:BYTE_0 src1_sel:DWORD
	v_mov_b32_e32 v15, 0xffff8000
	s_and_saveexec_b64 s[16:17], s[18:19]
	s_cbranch_execz .LBB797_1093
; %bb.1090:                             ;   in Loop: Header=BB797_788 Depth=1
	v_bfe_u32 v13, v6, 16, 7
	v_cmp_ne_u32_e32 vcc, s23, v13
	v_mov_b32_e32 v15, 0x7f80
	s_and_saveexec_b64 s[18:19], vcc
	s_cbranch_execz .LBB797_1092
; %bb.1091:                             ;   in Loop: Header=BB797_788 Depth=1
	v_and_b32_e32 v15, 7, v8
	v_ffbh_u32_e32 v16, v15
	v_min_u32_e32 v19, 32, v16
	v_subrev_u32_e32 v16, 28, v19
	v_lshlrev_b64 v[16:17], v16, v[8:9]
	v_lshrrev_b32_e32 v18, 3, v13
	v_sub_u32_e32 v17, 29, v19
	v_and_b32_e32 v16, 7, v16
	v_cmp_gt_u32_e32 vcc, 8, v13
	v_cndmask_b32_e32 v13, v18, v17, vcc
	v_cndmask_b32_e32 v15, v15, v16, vcc
	v_lshlrev_b32_e32 v8, 24, v8
	v_lshlrev_b32_e32 v15, 20, v15
	v_and_b32_e32 v8, 0x80000000, v8
	v_lshl_add_u32 v13, v13, 23, v10
	v_or3_b32 v8, v8, v13, v15
	v_lshrrev_b32_e32 v15, 16, v8
.LBB797_1092:                           ;   in Loop: Header=BB797_788 Depth=1
	s_or_b64 exec, exec, s[18:19]
.LBB797_1093:                           ;   in Loop: Header=BB797_788 Depth=1
	s_or_b64 exec, exec, s[16:17]
.LBB797_1094:                           ;   in Loop: Header=BB797_788 Depth=1
	s_or_b64 exec, exec, s[14:15]
	v_cmp_lt_u32_e32 vcc, s24, v6
	v_mov_b32_e32 v16, 0
	v_mov_b32_e32 v17, 0
	s_and_saveexec_b64 s[14:15], vcc
	s_cbranch_execz .LBB797_1100
; %bb.1095:                             ;   in Loop: Header=BB797_788 Depth=1
	v_lshrrev_b32_e32 v8, 24, v6
	v_cmp_ne_u32_e32 vcc, s21, v8
	v_mov_b32_e32 v17, 0xffff8000
	s_and_saveexec_b64 s[16:17], vcc
	s_cbranch_execz .LBB797_1099
; %bb.1096:                             ;   in Loop: Header=BB797_788 Depth=1
	v_bfe_u32 v6, v6, 24, 7
	v_cmp_ne_u32_e32 vcc, s23, v6
	v_mov_b32_e32 v17, 0x7f80
	s_and_saveexec_b64 s[18:19], vcc
	s_cbranch_execz .LBB797_1098
; %bb.1097:                             ;   in Loop: Header=BB797_788 Depth=1
	v_and_b32_e32 v13, 7, v8
	v_ffbh_u32_e32 v18, v13
	v_min_u32_e32 v20, 32, v18
	v_subrev_u32_e32 v18, 28, v20
	v_lshlrev_b64 v[18:19], v18, v[8:9]
	v_lshrrev_b32_e32 v17, 3, v6
	v_sub_u32_e32 v19, 29, v20
	v_and_b32_e32 v18, 7, v18
	v_cmp_gt_u32_e32 vcc, 8, v6
	v_cndmask_b32_e32 v6, v17, v19, vcc
	v_cndmask_b32_e32 v13, v13, v18, vcc
	v_lshlrev_b32_e32 v8, 24, v8
	v_lshlrev_b32_e32 v13, 20, v13
	v_and_b32_e32 v8, 0x80000000, v8
	v_lshl_add_u32 v6, v6, 23, v10
	v_or3_b32 v6, v8, v6, v13
	v_lshrrev_b32_e32 v17, 16, v6
.LBB797_1098:                           ;   in Loop: Header=BB797_788 Depth=1
	s_or_b64 exec, exec, s[18:19]
.LBB797_1099:                           ;   in Loop: Header=BB797_788 Depth=1
	s_or_b64 exec, exec, s[16:17]
.LBB797_1100:                           ;   in Loop: Header=BB797_788 Depth=1
	s_or_b64 exec, exec, s[14:15]
	s_waitcnt vmcnt(0)
	v_cmp_ne_u16_sdwa s[16:17], v4, v9 src0_sel:BYTE_0 src1_sel:DWORD
	s_and_saveexec_b64 s[14:15], s[16:17]
	s_cbranch_execz .LBB797_1106
; %bb.1101:                             ;   in Loop: Header=BB797_788 Depth=1
	v_cmp_ne_u16_sdwa s[18:19], v4, s21 src0_sel:BYTE_0 src1_sel:DWORD
	v_mov_b32_e32 v16, 0xffff8000
	s_and_saveexec_b64 s[16:17], s[18:19]
	s_cbranch_execz .LBB797_1105
; %bb.1102:                             ;   in Loop: Header=BB797_788 Depth=1
	v_and_b32_e32 v6, 0x7f, v4
	v_cmp_ne_u32_e32 vcc, s23, v6
	v_mov_b32_e32 v16, 0x7f80
	s_and_saveexec_b64 s[18:19], vcc
	s_cbranch_execz .LBB797_1104
; %bb.1103:                             ;   in Loop: Header=BB797_788 Depth=1
	v_and_b32_e32 v8, 7, v4
	v_ffbh_u32_e32 v16, v8
	v_min_u32_e32 v16, 32, v16
	v_subrev_u32_e32 v18, 28, v16
	v_lshlrev_b64 v[18:19], v18, v[4:5]
	v_lshrrev_b32_e32 v13, 3, v6
	v_sub_u32_e32 v16, 29, v16
	v_and_b32_e32 v18, 7, v18
	v_cmp_gt_u32_e32 vcc, 8, v6
	v_cndmask_b32_e32 v6, v13, v16, vcc
	v_cndmask_b32_e32 v8, v8, v18, vcc
	v_lshlrev_b32_e32 v13, 24, v4
	v_lshlrev_b32_e32 v8, 20, v8
	v_and_b32_e32 v13, 0x80000000, v13
	v_lshl_add_u32 v6, v6, 23, v10
	v_or3_b32 v6, v13, v6, v8
	v_lshrrev_b32_e32 v16, 16, v6
.LBB797_1104:                           ;   in Loop: Header=BB797_788 Depth=1
	s_or_b64 exec, exec, s[18:19]
.LBB797_1105:                           ;   in Loop: Header=BB797_788 Depth=1
	s_or_b64 exec, exec, s[16:17]
.LBB797_1106:                           ;   in Loop: Header=BB797_788 Depth=1
	s_or_b64 exec, exec, s[14:15]
	v_lshrrev_b16_e32 v6, 8, v4
	v_cmp_ne_u16_e32 vcc, 0, v6
	v_mov_b32_e32 v18, 0
	v_mov_b32_e32 v8, 0
	s_and_saveexec_b64 s[14:15], vcc
	s_cbranch_execz .LBB797_1112
; %bb.1107:                             ;   in Loop: Header=BB797_788 Depth=1
	v_cmp_ne_u16_e32 vcc, s21, v6
	v_mov_b32_e32 v8, 0xffff8000
	s_and_saveexec_b64 s[16:17], vcc
	s_cbranch_execz .LBB797_1111
; %bb.1108:                             ;   in Loop: Header=BB797_788 Depth=1
	v_and_b32_e32 v13, 0x7f, v6
	v_cmp_ne_u32_e32 vcc, s23, v13
	v_mov_b32_e32 v8, 0x7f80
	s_and_saveexec_b64 s[18:19], vcc
	s_cbranch_execz .LBB797_1110
; %bb.1109:                             ;   in Loop: Header=BB797_788 Depth=1
	v_and_b32_e32 v8, 7, v6
	v_ffbh_u32_e32 v20, v8
	v_min_u32_e32 v22, 32, v20
	v_subrev_u32_e32 v20, 28, v22
	v_lshlrev_b64 v[20:21], v20, v[6:7]
	v_lshrrev_b32_e32 v19, 3, v13
	v_sub_u32_e32 v6, 29, v22
	v_and_b32_e32 v20, 7, v20
	v_cmp_gt_u32_e32 vcc, 8, v13
	v_cndmask_b32_e32 v6, v19, v6, vcc
	v_cndmask_b32_e32 v8, v8, v20, vcc
	v_lshlrev_b32_e32 v13, 16, v4
	v_lshlrev_b32_e32 v8, 20, v8
	v_and_b32_e32 v13, 0x80000000, v13
	v_lshl_add_u32 v6, v6, 23, v10
	v_or3_b32 v6, v13, v6, v8
	v_lshrrev_b32_e32 v8, 16, v6
.LBB797_1110:                           ;   in Loop: Header=BB797_788 Depth=1
	s_or_b64 exec, exec, s[18:19]
.LBB797_1111:                           ;   in Loop: Header=BB797_788 Depth=1
	s_or_b64 exec, exec, s[16:17]
.LBB797_1112:                           ;   in Loop: Header=BB797_788 Depth=1
	s_or_b64 exec, exec, s[14:15]
	v_lshrrev_b32_e32 v6, 16, v4
	v_cmp_ne_u16_sdwa s[16:17], v6, v9 src0_sel:BYTE_0 src1_sel:DWORD
	s_and_saveexec_b64 s[14:15], s[16:17]
	s_cbranch_execz .LBB797_1118
; %bb.1113:                             ;   in Loop: Header=BB797_788 Depth=1
	v_cmp_ne_u16_sdwa s[18:19], v6, s21 src0_sel:BYTE_0 src1_sel:DWORD
	v_mov_b32_e32 v18, 0xffff8000
	s_and_saveexec_b64 s[16:17], s[18:19]
	s_cbranch_execz .LBB797_1117
; %bb.1114:                             ;   in Loop: Header=BB797_788 Depth=1
	v_bfe_u32 v13, v4, 16, 7
	v_cmp_ne_u32_e32 vcc, s23, v13
	v_mov_b32_e32 v18, 0x7f80
	s_and_saveexec_b64 s[18:19], vcc
	s_cbranch_execz .LBB797_1116
; %bb.1115:                             ;   in Loop: Header=BB797_788 Depth=1
	v_and_b32_e32 v20, 7, v6
	v_ffbh_u32_e32 v18, v20
	v_min_u32_e32 v22, 32, v18
	v_subrev_u32_e32 v18, 28, v22
	v_lshlrev_b64 v[18:19], v18, v[6:7]
	v_lshrrev_b32_e32 v21, 3, v13
	v_sub_u32_e32 v19, 29, v22
	v_and_b32_e32 v18, 7, v18
	v_cmp_gt_u32_e32 vcc, 8, v13
	v_cndmask_b32_e32 v13, v21, v19, vcc
	v_cndmask_b32_e32 v18, v20, v18, vcc
	v_lshlrev_b32_e32 v6, 24, v6
	v_lshlrev_b32_e32 v18, 20, v18
	v_and_b32_e32 v6, 0x80000000, v6
	v_lshl_add_u32 v13, v13, 23, v10
	v_or3_b32 v6, v6, v13, v18
	v_lshrrev_b32_e32 v18, 16, v6
.LBB797_1116:                           ;   in Loop: Header=BB797_788 Depth=1
	s_or_b64 exec, exec, s[18:19]
.LBB797_1117:                           ;   in Loop: Header=BB797_788 Depth=1
	s_or_b64 exec, exec, s[16:17]
.LBB797_1118:                           ;   in Loop: Header=BB797_788 Depth=1
	s_or_b64 exec, exec, s[14:15]
	v_cmp_lt_u32_e32 vcc, s24, v4
	v_mov_b32_e32 v13, 0
	v_mov_b32_e32 v19, 0
	s_and_saveexec_b64 s[14:15], vcc
	s_cbranch_execz .LBB797_1124
; %bb.1119:                             ;   in Loop: Header=BB797_788 Depth=1
	v_lshrrev_b32_e32 v6, 24, v4
	v_cmp_ne_u32_e32 vcc, s21, v6
	v_mov_b32_e32 v19, 0xffff8000
	s_and_saveexec_b64 s[16:17], vcc
	s_cbranch_execz .LBB797_1123
; %bb.1120:                             ;   in Loop: Header=BB797_788 Depth=1
	v_bfe_u32 v4, v4, 24, 7
	v_cmp_ne_u32_e32 vcc, s23, v4
	v_mov_b32_e32 v19, 0x7f80
	s_and_saveexec_b64 s[18:19], vcc
	s_cbranch_execz .LBB797_1122
; %bb.1121:                             ;   in Loop: Header=BB797_788 Depth=1
	v_and_b32_e32 v19, 7, v6
	v_ffbh_u32_e32 v20, v19
	v_min_u32_e32 v23, 32, v20
	v_subrev_u32_e32 v20, 28, v23
	v_lshlrev_b64 v[20:21], v20, v[6:7]
	v_lshrrev_b32_e32 v22, 3, v4
	v_sub_u32_e32 v21, 29, v23
	v_and_b32_e32 v20, 7, v20
	v_cmp_gt_u32_e32 vcc, 8, v4
	v_cndmask_b32_e32 v4, v22, v21, vcc
	v_cndmask_b32_e32 v19, v19, v20, vcc
	v_lshlrev_b32_e32 v6, 24, v6
	v_lshlrev_b32_e32 v19, 20, v19
	v_and_b32_e32 v6, 0x80000000, v6
	v_lshl_add_u32 v4, v4, 23, v10
	v_or3_b32 v4, v6, v4, v19
	v_lshrrev_b32_e32 v19, 16, v4
.LBB797_1122:                           ;   in Loop: Header=BB797_788 Depth=1
	s_or_b64 exec, exec, s[18:19]
.LBB797_1123:                           ;   in Loop: Header=BB797_788 Depth=1
	s_or_b64 exec, exec, s[16:17]
.LBB797_1124:                           ;   in Loop: Header=BB797_788 Depth=1
	s_or_b64 exec, exec, s[14:15]
	buffer_load_dword v6, v11, s[0:3], 0 offen offset:56
	buffer_load_dword v4, v11, s[0:3], 0 offen offset:60
	v_perm_b32 v15, v17, v15, s25
	v_perm_b32 v14, v14, v12, s25
	;; [unrolled: 1-line block ×4, first 2 shown]
	v_mfma_f32_4x4x4bf16_1k a[0:3], v[2:3], v[14:15], a[0:3] cbsz:4 abid:12
	s_waitcnt vmcnt(1)
	v_cmp_ne_u16_sdwa s[16:17], v6, v9 src0_sel:BYTE_0 src1_sel:DWORD
	v_mfma_f32_4x4x4bf16_1k a[0:3], v[2:3], v[16:17], a[0:3] cbsz:4 abid:13
	s_and_saveexec_b64 s[14:15], s[16:17]
	s_cbranch_execz .LBB797_1130
; %bb.1125:                             ;   in Loop: Header=BB797_788 Depth=1
	v_cmp_ne_u16_sdwa s[18:19], v6, s21 src0_sel:BYTE_0 src1_sel:DWORD
	v_mov_b32_e32 v13, 0xffff8000
	s_and_saveexec_b64 s[16:17], s[18:19]
	s_cbranch_execz .LBB797_1129
; %bb.1126:                             ;   in Loop: Header=BB797_788 Depth=1
	v_and_b32_e32 v8, 0x7f, v6
	v_cmp_ne_u32_e32 vcc, s23, v8
	v_mov_b32_e32 v13, 0x7f80
	s_and_saveexec_b64 s[18:19], vcc
	s_cbranch_execz .LBB797_1128
; %bb.1127:                             ;   in Loop: Header=BB797_788 Depth=1
	v_and_b32_e32 v11, 7, v6
	v_ffbh_u32_e32 v12, v11
	v_min_u32_e32 v15, 32, v12
	v_subrev_u32_e32 v12, 28, v15
	v_lshlrev_b64 v[12:13], v12, v[6:7]
	v_lshrrev_b32_e32 v14, 3, v8
	v_sub_u32_e32 v13, 29, v15
	v_and_b32_e32 v12, 7, v12
	v_cmp_gt_u32_e32 vcc, 8, v8
	v_cndmask_b32_e32 v8, v14, v13, vcc
	v_cndmask_b32_e32 v11, v11, v12, vcc
	v_lshlrev_b32_e32 v12, 24, v6
	v_lshlrev_b32_e32 v11, 20, v11
	v_and_b32_e32 v12, 0x80000000, v12
	v_lshl_add_u32 v8, v8, 23, v10
	v_or3_b32 v8, v12, v8, v11
	v_lshrrev_b32_e32 v13, 16, v8
.LBB797_1128:                           ;   in Loop: Header=BB797_788 Depth=1
	s_or_b64 exec, exec, s[18:19]
.LBB797_1129:                           ;   in Loop: Header=BB797_788 Depth=1
	s_or_b64 exec, exec, s[16:17]
.LBB797_1130:                           ;   in Loop: Header=BB797_788 Depth=1
	s_or_b64 exec, exec, s[14:15]
	v_lshrrev_b16_e32 v8, 8, v6
	v_cmp_ne_u16_e32 vcc, 0, v8
	v_mov_b32_e32 v12, 0
	v_mov_b32_e32 v11, 0
	s_and_saveexec_b64 s[14:15], vcc
	s_cbranch_execz .LBB797_1136
; %bb.1131:                             ;   in Loop: Header=BB797_788 Depth=1
	v_cmp_ne_u16_e32 vcc, s21, v8
	v_mov_b32_e32 v11, 0xffff8000
	s_and_saveexec_b64 s[16:17], vcc
	s_cbranch_execz .LBB797_1135
; %bb.1132:                             ;   in Loop: Header=BB797_788 Depth=1
	v_and_b32_e32 v14, 0x7f, v8
	v_cmp_ne_u32_e32 vcc, s23, v14
	v_mov_b32_e32 v11, 0x7f80
	s_and_saveexec_b64 s[18:19], vcc
	s_cbranch_execz .LBB797_1134
; %bb.1133:                             ;   in Loop: Header=BB797_788 Depth=1
	v_and_b32_e32 v11, 7, v8
	v_ffbh_u32_e32 v16, v11
	v_min_u32_e32 v18, 32, v16
	v_subrev_u32_e32 v16, 28, v18
	v_lshlrev_b64 v[16:17], v16, v[8:9]
	v_lshrrev_b32_e32 v15, 3, v14
	v_sub_u32_e32 v8, 29, v18
	v_and_b32_e32 v16, 7, v16
	v_cmp_gt_u32_e32 vcc, 8, v14
	v_cndmask_b32_e32 v8, v15, v8, vcc
	v_cndmask_b32_e32 v11, v11, v16, vcc
	v_lshlrev_b32_e32 v14, 16, v6
	v_lshlrev_b32_e32 v11, 20, v11
	v_and_b32_e32 v14, 0x80000000, v14
	v_lshl_add_u32 v8, v8, 23, v10
	v_or3_b32 v8, v14, v8, v11
	v_lshrrev_b32_e32 v11, 16, v8
.LBB797_1134:                           ;   in Loop: Header=BB797_788 Depth=1
	s_or_b64 exec, exec, s[18:19]
.LBB797_1135:                           ;   in Loop: Header=BB797_788 Depth=1
	s_or_b64 exec, exec, s[16:17]
.LBB797_1136:                           ;   in Loop: Header=BB797_788 Depth=1
	s_or_b64 exec, exec, s[14:15]
	v_lshrrev_b32_e32 v8, 16, v6
	v_cmp_ne_u16_sdwa s[16:17], v8, v9 src0_sel:BYTE_0 src1_sel:DWORD
	s_and_saveexec_b64 s[14:15], s[16:17]
	s_cbranch_execz .LBB797_1142
; %bb.1137:                             ;   in Loop: Header=BB797_788 Depth=1
	v_cmp_ne_u16_sdwa s[18:19], v8, s21 src0_sel:BYTE_0 src1_sel:DWORD
	v_mov_b32_e32 v12, 0xffff8000
	s_and_saveexec_b64 s[16:17], s[18:19]
	s_cbranch_execz .LBB797_1141
; %bb.1138:                             ;   in Loop: Header=BB797_788 Depth=1
	v_bfe_u32 v14, v6, 16, 7
	v_cmp_ne_u32_e32 vcc, s23, v14
	v_mov_b32_e32 v12, 0x7f80
	s_and_saveexec_b64 s[18:19], vcc
	s_cbranch_execz .LBB797_1140
; %bb.1139:                             ;   in Loop: Header=BB797_788 Depth=1
	v_and_b32_e32 v12, 7, v8
	v_ffbh_u32_e32 v16, v12
	v_min_u32_e32 v18, 32, v16
	v_subrev_u32_e32 v16, 28, v18
	v_lshlrev_b64 v[16:17], v16, v[8:9]
	v_lshrrev_b32_e32 v15, 3, v14
	v_sub_u32_e32 v17, 29, v18
	v_and_b32_e32 v16, 7, v16
	v_cmp_gt_u32_e32 vcc, 8, v14
	v_cndmask_b32_e32 v14, v15, v17, vcc
	v_cndmask_b32_e32 v12, v12, v16, vcc
	v_lshlrev_b32_e32 v8, 24, v8
	v_lshlrev_b32_e32 v12, 20, v12
	v_and_b32_e32 v8, 0x80000000, v8
	v_lshl_add_u32 v14, v14, 23, v10
	v_or3_b32 v8, v8, v14, v12
	v_lshrrev_b32_e32 v12, 16, v8
.LBB797_1140:                           ;   in Loop: Header=BB797_788 Depth=1
	s_or_b64 exec, exec, s[18:19]
.LBB797_1141:                           ;   in Loop: Header=BB797_788 Depth=1
	s_or_b64 exec, exec, s[16:17]
.LBB797_1142:                           ;   in Loop: Header=BB797_788 Depth=1
	s_or_b64 exec, exec, s[14:15]
	v_cmp_lt_u32_e32 vcc, s24, v6
	v_mov_b32_e32 v14, 0
	v_mov_b32_e32 v15, 0
	s_and_saveexec_b64 s[14:15], vcc
	s_cbranch_execz .LBB797_1148
; %bb.1143:                             ;   in Loop: Header=BB797_788 Depth=1
	v_lshrrev_b32_e32 v8, 24, v6
	v_cmp_ne_u32_e32 vcc, s21, v8
	v_mov_b32_e32 v15, 0xffff8000
	s_and_saveexec_b64 s[16:17], vcc
	s_cbranch_execz .LBB797_1147
; %bb.1144:                             ;   in Loop: Header=BB797_788 Depth=1
	v_bfe_u32 v6, v6, 24, 7
	v_cmp_ne_u32_e32 vcc, s23, v6
	v_mov_b32_e32 v15, 0x7f80
	s_and_saveexec_b64 s[18:19], vcc
	s_cbranch_execz .LBB797_1146
; %bb.1145:                             ;   in Loop: Header=BB797_788 Depth=1
	v_and_b32_e32 v15, 7, v8
	v_ffbh_u32_e32 v16, v15
	v_min_u32_e32 v19, 32, v16
	v_subrev_u32_e32 v16, 28, v19
	v_lshlrev_b64 v[16:17], v16, v[8:9]
	v_lshrrev_b32_e32 v18, 3, v6
	v_sub_u32_e32 v17, 29, v19
	v_and_b32_e32 v16, 7, v16
	v_cmp_gt_u32_e32 vcc, 8, v6
	v_cndmask_b32_e32 v6, v18, v17, vcc
	v_cndmask_b32_e32 v15, v15, v16, vcc
	v_lshlrev_b32_e32 v8, 24, v8
	v_lshlrev_b32_e32 v15, 20, v15
	v_and_b32_e32 v8, 0x80000000, v8
	v_lshl_add_u32 v6, v6, 23, v10
	v_or3_b32 v6, v8, v6, v15
	v_lshrrev_b32_e32 v15, 16, v6
.LBB797_1146:                           ;   in Loop: Header=BB797_788 Depth=1
	s_or_b64 exec, exec, s[18:19]
.LBB797_1147:                           ;   in Loop: Header=BB797_788 Depth=1
	s_or_b64 exec, exec, s[16:17]
.LBB797_1148:                           ;   in Loop: Header=BB797_788 Depth=1
	s_or_b64 exec, exec, s[14:15]
	s_waitcnt vmcnt(0)
	v_cmp_ne_u16_sdwa s[16:17], v4, v9 src0_sel:BYTE_0 src1_sel:DWORD
	s_and_saveexec_b64 s[14:15], s[16:17]
	s_cbranch_execz .LBB797_1154
; %bb.1149:                             ;   in Loop: Header=BB797_788 Depth=1
	v_cmp_ne_u16_sdwa s[18:19], v4, s21 src0_sel:BYTE_0 src1_sel:DWORD
	v_mov_b32_e32 v14, 0xffff8000
	s_and_saveexec_b64 s[16:17], s[18:19]
	s_cbranch_execz .LBB797_1153
; %bb.1150:                             ;   in Loop: Header=BB797_788 Depth=1
	v_and_b32_e32 v6, 0x7f, v4
	v_cmp_ne_u32_e32 vcc, s23, v6
	v_mov_b32_e32 v14, 0x7f80
	s_and_saveexec_b64 s[18:19], vcc
	s_cbranch_execz .LBB797_1152
; %bb.1151:                             ;   in Loop: Header=BB797_788 Depth=1
	v_and_b32_e32 v8, 7, v4
	v_ffbh_u32_e32 v16, v8
	v_min_u32_e32 v18, 32, v16
	v_subrev_u32_e32 v16, 28, v18
	v_lshlrev_b64 v[16:17], v16, v[4:5]
	v_lshrrev_b32_e32 v14, 3, v6
	v_sub_u32_e32 v17, 29, v18
	v_and_b32_e32 v16, 7, v16
	v_cmp_gt_u32_e32 vcc, 8, v6
	v_cndmask_b32_e32 v6, v14, v17, vcc
	v_cndmask_b32_e32 v8, v8, v16, vcc
	v_lshlrev_b32_e32 v14, 24, v4
	v_lshlrev_b32_e32 v8, 20, v8
	v_and_b32_e32 v14, 0x80000000, v14
	v_lshl_add_u32 v6, v6, 23, v10
	v_or3_b32 v6, v14, v6, v8
	v_lshrrev_b32_e32 v14, 16, v6
.LBB797_1152:                           ;   in Loop: Header=BB797_788 Depth=1
	s_or_b64 exec, exec, s[18:19]
.LBB797_1153:                           ;   in Loop: Header=BB797_788 Depth=1
	s_or_b64 exec, exec, s[16:17]
.LBB797_1154:                           ;   in Loop: Header=BB797_788 Depth=1
	s_or_b64 exec, exec, s[14:15]
	v_lshrrev_b16_e32 v6, 8, v4
	v_cmp_ne_u16_e32 vcc, 0, v6
	v_mov_b32_e32 v16, 0
	v_mov_b32_e32 v8, 0
	s_and_saveexec_b64 s[14:15], vcc
	s_cbranch_execz .LBB797_1160
; %bb.1155:                             ;   in Loop: Header=BB797_788 Depth=1
	v_cmp_ne_u16_e32 vcc, s21, v6
	v_mov_b32_e32 v8, 0xffff8000
	s_and_saveexec_b64 s[16:17], vcc
	s_cbranch_execz .LBB797_1159
; %bb.1156:                             ;   in Loop: Header=BB797_788 Depth=1
	v_and_b32_e32 v17, 0x7f, v6
	v_cmp_ne_u32_e32 vcc, s23, v17
	v_mov_b32_e32 v8, 0x7f80
	s_and_saveexec_b64 s[18:19], vcc
	s_cbranch_execz .LBB797_1158
; %bb.1157:                             ;   in Loop: Header=BB797_788 Depth=1
	v_and_b32_e32 v8, 7, v6
	v_ffbh_u32_e32 v18, v8
	v_min_u32_e32 v21, 32, v18
	v_subrev_u32_e32 v18, 28, v21
	v_lshlrev_b64 v[18:19], v18, v[6:7]
	v_lshrrev_b32_e32 v20, 3, v17
	v_sub_u32_e32 v6, 29, v21
	v_and_b32_e32 v18, 7, v18
	v_cmp_gt_u32_e32 vcc, 8, v17
	v_cndmask_b32_e32 v6, v20, v6, vcc
	v_cndmask_b32_e32 v8, v8, v18, vcc
	v_lshlrev_b32_e32 v17, 16, v4
	v_lshlrev_b32_e32 v8, 20, v8
	v_and_b32_e32 v17, 0x80000000, v17
	v_lshl_add_u32 v6, v6, 23, v10
	v_or3_b32 v6, v17, v6, v8
	v_lshrrev_b32_e32 v8, 16, v6
.LBB797_1158:                           ;   in Loop: Header=BB797_788 Depth=1
	s_or_b64 exec, exec, s[18:19]
.LBB797_1159:                           ;   in Loop: Header=BB797_788 Depth=1
	s_or_b64 exec, exec, s[16:17]
.LBB797_1160:                           ;   in Loop: Header=BB797_788 Depth=1
	s_or_b64 exec, exec, s[14:15]
	v_lshrrev_b32_e32 v6, 16, v4
	v_cmp_ne_u16_sdwa s[16:17], v6, v9 src0_sel:BYTE_0 src1_sel:DWORD
	s_and_saveexec_b64 s[14:15], s[16:17]
	s_cbranch_execz .LBB797_1166
; %bb.1161:                             ;   in Loop: Header=BB797_788 Depth=1
	v_cmp_ne_u16_sdwa s[18:19], v6, s21 src0_sel:BYTE_0 src1_sel:DWORD
	v_mov_b32_e32 v16, 0xffff8000
	s_and_saveexec_b64 s[16:17], s[18:19]
	s_cbranch_execz .LBB797_1165
; %bb.1162:                             ;   in Loop: Header=BB797_788 Depth=1
	v_bfe_u32 v17, v4, 16, 7
	v_cmp_ne_u32_e32 vcc, s23, v17
	v_mov_b32_e32 v16, 0x7f80
	s_and_saveexec_b64 s[18:19], vcc
	s_cbranch_execz .LBB797_1164
; %bb.1163:                             ;   in Loop: Header=BB797_788 Depth=1
	v_and_b32_e32 v16, 7, v6
	v_ffbh_u32_e32 v18, v16
	v_min_u32_e32 v21, 32, v18
	v_subrev_u32_e32 v18, 28, v21
	v_lshlrev_b64 v[18:19], v18, v[6:7]
	v_lshrrev_b32_e32 v20, 3, v17
	v_sub_u32_e32 v19, 29, v21
	v_and_b32_e32 v18, 7, v18
	v_cmp_gt_u32_e32 vcc, 8, v17
	v_cndmask_b32_e32 v17, v20, v19, vcc
	v_cndmask_b32_e32 v16, v16, v18, vcc
	v_lshlrev_b32_e32 v6, 24, v6
	v_lshlrev_b32_e32 v16, 20, v16
	v_and_b32_e32 v6, 0x80000000, v6
	v_lshl_add_u32 v17, v17, 23, v10
	v_or3_b32 v6, v6, v17, v16
	v_lshrrev_b32_e32 v16, 16, v6
.LBB797_1164:                           ;   in Loop: Header=BB797_788 Depth=1
	s_or_b64 exec, exec, s[18:19]
.LBB797_1165:                           ;   in Loop: Header=BB797_788 Depth=1
	s_or_b64 exec, exec, s[16:17]
.LBB797_1166:                           ;   in Loop: Header=BB797_788 Depth=1
	s_or_b64 exec, exec, s[14:15]
	v_cmp_lt_u32_e32 vcc, s24, v4
	v_mov_b32_e32 v17, 0
	s_and_saveexec_b64 s[14:15], vcc
	s_cbranch_execz .LBB797_787
; %bb.1167:                             ;   in Loop: Header=BB797_788 Depth=1
	v_lshrrev_b32_e32 v6, 24, v4
	v_cmp_ne_u32_e32 vcc, s21, v6
	v_mov_b32_e32 v17, 0xffff8000
	s_and_saveexec_b64 s[16:17], vcc
	s_cbranch_execz .LBB797_786
; %bb.1168:                             ;   in Loop: Header=BB797_788 Depth=1
	v_bfe_u32 v4, v4, 24, 7
	v_cmp_ne_u32_e32 vcc, s23, v4
	v_mov_b32_e32 v17, 0x7f80
	s_and_saveexec_b64 s[18:19], vcc
	s_cbranch_execz .LBB797_785
; %bb.1169:                             ;   in Loop: Header=BB797_788 Depth=1
	v_and_b32_e32 v17, 7, v6
	v_ffbh_u32_e32 v18, v17
	v_min_u32_e32 v21, 32, v18
	v_subrev_u32_e32 v18, 28, v21
	v_lshlrev_b64 v[18:19], v18, v[6:7]
	v_lshrrev_b32_e32 v20, 3, v4
	v_sub_u32_e32 v19, 29, v21
	v_and_b32_e32 v18, 7, v18
	v_cmp_gt_u32_e32 vcc, 8, v4
	v_cndmask_b32_e32 v4, v20, v19, vcc
	v_cndmask_b32_e32 v17, v17, v18, vcc
	v_lshlrev_b32_e32 v6, 24, v6
	v_lshlrev_b32_e32 v17, 20, v17
	v_and_b32_e32 v6, 0x80000000, v6
	v_lshl_add_u32 v4, v4, 23, v10
	v_or3_b32 v4, v6, v4, v17
	v_lshrrev_b32_e32 v17, 16, v4
	s_branch .LBB797_785
.LBB797_1170:
	s_mov_b64 s[12:13], 0
                                        ; implicit-def: $sgpr38_sgpr39
	s_branch .LBB797_2
.LBB797_1171:
	s_or_b64 exec, exec, s[6:7]
	v_cmp_gt_u32_e32 vcc, 64, v0
	s_waitcnt lgkmcnt(0)
	s_barrier
	s_and_saveexec_b64 s[6:7], vcc
	s_cbranch_execz .LBB797_1173
; %bb.1172:
	v_mul_u32_u24_e32 v6, 40, v1
	ds_read2_b64 v[2:5], v6 offset1:1
	ds_read2_b64 v[6:9], v6 offset0:2 offset1:3
	s_mov_b32 s5, 0
	s_lshl_b32 s4, s4, 7
	s_lshl_b64 s[6:7], s[4:5], 1
	s_waitcnt lgkmcnt(1)
	v_lshlrev_b32_e32 v10, 16, v2
	v_and_b32_e32 v2, 0xffff0000, v2
	v_add_f32_e32 v2, 0, v2
	v_lshlrev_b32_e32 v11, 16, v3
	v_and_b32_e32 v3, 0xffff0000, v3
	v_and_b32_e32 v2, 0xffff0000, v2
	v_add_f32_e32 v11, 0, v11
	v_add_f32_e32 v3, 0, v3
	v_lshlrev_b32_e32 v12, 16, v4
	v_and_b32_e32 v4, 0xffff0000, v4
	v_add_f32_e32 v10, 0, v10
	v_and_b32_e32 v11, 0xffff0000, v11
	v_and_b32_e32 v3, 0xffff0000, v3
	v_add_f32_e32 v2, v2, v4
	v_lshlrev_b32_e32 v4, 16, v5
	v_and_b32_e32 v5, 0xffff0000, v5
	v_and_b32_e32 v10, 0xffff0000, v10
	;; [unrolled: 1-line block ×3, first 2 shown]
	v_add_f32_e32 v4, v11, v4
	v_add_f32_e32 v3, v3, v5
	s_waitcnt lgkmcnt(0)
	v_lshlrev_b32_e32 v5, 16, v6
	v_and_b32_e32 v6, 0xffff0000, v6
	v_add_f32_e32 v10, v10, v12
	v_and_b32_e32 v4, 0xffff0000, v4
	v_add_f32_e32 v2, v2, v6
	v_lshlrev_b32_e32 v6, 16, v7
	v_and_b32_e32 v10, 0xffff0000, v10
	v_and_b32_e32 v3, 0xffff0000, v3
	v_add_f32_e32 v4, v4, v6
	v_and_b32_e32 v6, 0xffff0000, v7
	v_add_f32_e32 v5, v10, v5
	v_add_f32_e32 v3, v3, v6
	v_and_b32_e32 v5, 0xffff0000, v5
	v_and_b32_e32 v6, 0xffff0000, v3
	v_lshlrev_b32_e32 v3, 16, v8
	v_and_b32_e32 v2, 0xffff0000, v2
	v_add_f32_e32 v10, v5, v3
	v_and_b32_e32 v3, 0xffff0000, v8
	v_and_b32_e32 v4, 0xffff0000, v4
	v_add_f32_e32 v11, v2, v3
	v_lshlrev_b32_e32 v2, 16, v9
	v_add_f32_e32 v12, v4, v2
	v_mov_b32_e32 v2, 0xa00
	v_mad_u32_u24 v2, v1, 40, v2
	ds_read2_b64 v[2:5], v2 offset1:1
	v_and_b32_e32 v7, 0xffff0000, v9
	v_add_f32_e32 v13, v6, v7
	v_mov_b32_e32 v6, 0xa10
	v_mad_u32_u24 v1, v1, 40, v6
	ds_read2_b64 v[6:9], v1 offset1:1
	s_waitcnt lgkmcnt(1)
	v_lshlrev_b32_e32 v1, 16, v2
	v_and_b32_e32 v2, 0xffff0000, v2
	v_add_f32_e32 v1, 0, v1
	v_add_f32_e32 v2, 0, v2
	v_lshlrev_b32_e32 v14, 16, v3
	v_and_b32_e32 v3, 0xffff0000, v3
	v_and_b32_e32 v1, 0xffff0000, v1
	;; [unrolled: 1-line block ×3, first 2 shown]
	v_add_f32_e32 v3, 0, v3
	v_lshlrev_b32_e32 v15, 16, v4
	v_and_b32_e32 v4, 0xffff0000, v4
	v_add_f32_e32 v14, 0, v14
	v_and_b32_e32 v3, 0xffff0000, v3
	v_add_f32_e32 v1, v1, v15
	v_add_f32_e32 v2, v2, v4
	v_lshlrev_b32_e32 v4, 16, v5
	v_and_b32_e32 v5, 0xffff0000, v5
	v_and_b32_e32 v14, 0xffff0000, v14
	;; [unrolled: 1-line block ×3, first 2 shown]
	v_add_f32_e32 v3, v3, v5
	s_waitcnt lgkmcnt(0)
	v_lshlrev_b32_e32 v5, 16, v6
	v_and_b32_e32 v2, 0xffff0000, v2
	v_add_f32_e32 v4, v14, v4
	v_add_f32_e32 v1, v1, v5
	v_and_b32_e32 v5, 0xffff0000, v6
	v_and_b32_e32 v4, 0xffff0000, v4
	v_add_f32_e32 v2, v2, v5
	v_lshlrev_b32_e32 v5, 16, v7
	s_add_u32 s6, s30, s6
	v_and_b32_e32 v3, 0xffff0000, v3
	v_add_f32_e32 v4, v4, v5
	v_and_b32_e32 v5, 0xffff0000, v7
	s_addc_u32 s7, s31, s7
	s_lshl_b32 s4, s28, 7
	v_and_b32_e32 v1, 0xffff0000, v1
	v_add_f32_e32 v3, v3, v5
	v_lshlrev_b32_e32 v5, 16, v8
	s_lshl_b64 s[4:5], s[4:5], 1
	v_and_b32_e32 v2, 0xffff0000, v2
	v_add_f32_e32 v14, v1, v5
	v_and_b32_e32 v1, 0xffff0000, v8
	s_add_u32 s4, s6, s4
	v_and_b32_e32 v4, 0xffff0000, v4
	v_add_f32_e32 v15, v2, v1
	v_lshlrev_b32_e32 v1, 16, v9
	s_addc_u32 s5, s7, s5
	s_lshl_b32 s6, s48, 7
	v_and_b32_e32 v3, 0xffff0000, v3
	v_add_f32_e32 v16, v4, v1
	v_and_b32_e32 v1, 0xffff0000, v9
	s_mul_i32 s7, s6, s33
	v_add_f32_e32 v17, v3, v1
	v_or_b32_e32 v2, s7, v0
	v_mov_b32_e32 v3, 0
	v_lshlrev_b64 v[4:5], 1, v[2:3]
	s_add_i32 s7, s7, s6
	v_mov_b32_e32 v1, s5
	v_add_co_u32_e32 v4, vcc, s4, v4
	v_or_b32_e32 v2, s7, v0
	v_addc_co_u32_e32 v5, vcc, v1, v5, vcc
	v_lshlrev_b64 v[6:7], 1, v[2:3]
	s_add_i32 s7, s7, s6
	v_add_co_u32_e32 v6, vcc, s4, v6
	v_or_b32_e32 v2, s7, v0
	v_addc_co_u32_e32 v7, vcc, v1, v7, vcc
	v_lshlrev_b64 v[8:9], 1, v[2:3]
	s_add_i32 s7, s7, s6
	v_add_co_u32_e32 v8, vcc, s4, v8
	v_or_b32_e32 v2, s7, v0
	v_addc_co_u32_e32 v9, vcc, v1, v9, vcc
	v_lshlrev_b64 v[0:1], 1, v[2:3]
	v_mov_b32_e32 v2, s5
	v_add_co_u32_e32 v0, vcc, s4, v0
	v_addc_co_u32_e32 v1, vcc, v2, v1, vcc
	global_store_short_d16_hi v[4:5], v10, off
	global_store_short_d16_hi v[6:7], v11, off
	;; [unrolled: 1-line block ×4, first 2 shown]
	global_store_short_d16_hi v[4:5], v14, off offset:128
	global_store_short_d16_hi v[6:7], v15, off offset:128
	;; [unrolled: 1-line block ×4, first 2 shown]
.LBB797_1173:
	s_endpgm
	.section	.rodata,"a",@progbits
	.p2align	6, 0x0
	.amdhsa_kernel _Z38paged_attention_ll4mi_QKV_mfma4_kernelI14__hip_bfloat16hLN4vllm18Fp8KVCacheDataTypeE1ES0_Li32ELi128ELi256ELb1ELi4EEvPKT_PKT0_S8_ifPKiSA_SA_iPKfiiiPfSD_PS3_PT2_iSC_SC_
		.amdhsa_group_segment_fixed_size 5280
		.amdhsa_private_segment_fixed_size 144
		.amdhsa_kernarg_size 400
		.amdhsa_user_sgpr_count 8
		.amdhsa_user_sgpr_private_segment_buffer 1
		.amdhsa_user_sgpr_dispatch_ptr 0
		.amdhsa_user_sgpr_queue_ptr 0
		.amdhsa_user_sgpr_kernarg_segment_ptr 1
		.amdhsa_user_sgpr_dispatch_id 0
		.amdhsa_user_sgpr_flat_scratch_init 1
		.amdhsa_user_sgpr_kernarg_preload_length 0
		.amdhsa_user_sgpr_kernarg_preload_offset 0
		.amdhsa_user_sgpr_private_segment_size 0
		.amdhsa_uses_dynamic_stack 0
		.amdhsa_system_sgpr_private_segment_wavefront_offset 1
		.amdhsa_system_sgpr_workgroup_id_x 1
		.amdhsa_system_sgpr_workgroup_id_y 1
		.amdhsa_system_sgpr_workgroup_id_z 1
		.amdhsa_system_sgpr_workgroup_info 0
		.amdhsa_system_vgpr_workitem_id 0
		.amdhsa_next_free_vgpr 72
		.amdhsa_next_free_sgpr 49
		.amdhsa_accum_offset 68
		.amdhsa_reserve_vcc 1
		.amdhsa_reserve_flat_scratch 0
		.amdhsa_float_round_mode_32 0
		.amdhsa_float_round_mode_16_64 0
		.amdhsa_float_denorm_mode_32 3
		.amdhsa_float_denorm_mode_16_64 3
		.amdhsa_dx10_clamp 1
		.amdhsa_ieee_mode 1
		.amdhsa_fp16_overflow 0
		.amdhsa_tg_split 0
		.amdhsa_exception_fp_ieee_invalid_op 0
		.amdhsa_exception_fp_denorm_src 0
		.amdhsa_exception_fp_ieee_div_zero 0
		.amdhsa_exception_fp_ieee_overflow 0
		.amdhsa_exception_fp_ieee_underflow 0
		.amdhsa_exception_fp_ieee_inexact 0
		.amdhsa_exception_int_div_zero 0
	.end_amdhsa_kernel
	.section	.text._Z38paged_attention_ll4mi_QKV_mfma4_kernelI14__hip_bfloat16hLN4vllm18Fp8KVCacheDataTypeE1ES0_Li32ELi128ELi256ELb1ELi4EEvPKT_PKT0_S8_ifPKiSA_SA_iPKfiiiPfSD_PS3_PT2_iSC_SC_,"axG",@progbits,_Z38paged_attention_ll4mi_QKV_mfma4_kernelI14__hip_bfloat16hLN4vllm18Fp8KVCacheDataTypeE1ES0_Li32ELi128ELi256ELb1ELi4EEvPKT_PKT0_S8_ifPKiSA_SA_iPKfiiiPfSD_PS3_PT2_iSC_SC_,comdat
.Lfunc_end797:
	.size	_Z38paged_attention_ll4mi_QKV_mfma4_kernelI14__hip_bfloat16hLN4vllm18Fp8KVCacheDataTypeE1ES0_Li32ELi128ELi256ELb1ELi4EEvPKT_PKT0_S8_ifPKiSA_SA_iPKfiiiPfSD_PS3_PT2_iSC_SC_, .Lfunc_end797-_Z38paged_attention_ll4mi_QKV_mfma4_kernelI14__hip_bfloat16hLN4vllm18Fp8KVCacheDataTypeE1ES0_Li32ELi128ELi256ELb1ELi4EEvPKT_PKT0_S8_ifPKiSA_SA_iPKfiiiPfSD_PS3_PT2_iSC_SC_
                                        ; -- End function
	.section	.AMDGPU.csdata,"",@progbits
; Kernel info:
; codeLenInByte = 39912
; NumSgprs: 53
; NumVgprs: 68
; NumAgprs: 4
; TotalNumVgprs: 72
; ScratchSize: 144
; MemoryBound: 0
; FloatMode: 240
; IeeeMode: 1
; LDSByteSize: 5280 bytes/workgroup (compile time only)
; SGPRBlocks: 6
; VGPRBlocks: 8
; NumSGPRsForWavesPerEU: 53
; NumVGPRsForWavesPerEU: 72
; AccumOffset: 68
; Occupancy: 7
; WaveLimiterHint : 1
; COMPUTE_PGM_RSRC2:SCRATCH_EN: 1
; COMPUTE_PGM_RSRC2:USER_SGPR: 8
; COMPUTE_PGM_RSRC2:TRAP_HANDLER: 0
; COMPUTE_PGM_RSRC2:TGID_X_EN: 1
; COMPUTE_PGM_RSRC2:TGID_Y_EN: 1
; COMPUTE_PGM_RSRC2:TGID_Z_EN: 1
; COMPUTE_PGM_RSRC2:TIDIG_COMP_CNT: 0
; COMPUTE_PGM_RSRC3_GFX90A:ACCUM_OFFSET: 16
; COMPUTE_PGM_RSRC3_GFX90A:TG_SPLIT: 0
	.section	.text._Z39paged_attention_ll4mi_QKV_mfma16_kernelI14__hip_bfloat16hLN4vllm18Fp8KVCacheDataTypeE1ES0_Li32ELi128ELi256ELb1ELi5EL8MFMAType1EEvPKT_PKT0_S9_ifPKiSB_SB_iPKfiiiPfSE_PS4_PT2_iSD_SD_,"axG",@progbits,_Z39paged_attention_ll4mi_QKV_mfma16_kernelI14__hip_bfloat16hLN4vllm18Fp8KVCacheDataTypeE1ES0_Li32ELi128ELi256ELb1ELi5EL8MFMAType1EEvPKT_PKT0_S9_ifPKiSB_SB_iPKfiiiPfSE_PS4_PT2_iSD_SD_,comdat
	.protected	_Z39paged_attention_ll4mi_QKV_mfma16_kernelI14__hip_bfloat16hLN4vllm18Fp8KVCacheDataTypeE1ES0_Li32ELi128ELi256ELb1ELi5EL8MFMAType1EEvPKT_PKT0_S9_ifPKiSB_SB_iPKfiiiPfSE_PS4_PT2_iSD_SD_ ; -- Begin function _Z39paged_attention_ll4mi_QKV_mfma16_kernelI14__hip_bfloat16hLN4vllm18Fp8KVCacheDataTypeE1ES0_Li32ELi128ELi256ELb1ELi5EL8MFMAType1EEvPKT_PKT0_S9_ifPKiSB_SB_iPKfiiiPfSE_PS4_PT2_iSD_SD_
	.globl	_Z39paged_attention_ll4mi_QKV_mfma16_kernelI14__hip_bfloat16hLN4vllm18Fp8KVCacheDataTypeE1ES0_Li32ELi128ELi256ELb1ELi5EL8MFMAType1EEvPKT_PKT0_S9_ifPKiSB_SB_iPKfiiiPfSE_PS4_PT2_iSD_SD_
	.p2align	8
	.type	_Z39paged_attention_ll4mi_QKV_mfma16_kernelI14__hip_bfloat16hLN4vllm18Fp8KVCacheDataTypeE1ES0_Li32ELi128ELi256ELb1ELi5EL8MFMAType1EEvPKT_PKT0_S9_ifPKiSB_SB_iPKfiiiPfSE_PS4_PT2_iSD_SD_,@function
_Z39paged_attention_ll4mi_QKV_mfma16_kernelI14__hip_bfloat16hLN4vllm18Fp8KVCacheDataTypeE1ES0_Li32ELi128ELi256ELb1ELi5EL8MFMAType1EEvPKT_PKT0_S9_ifPKiSB_SB_iPKfiiiPfSE_PS4_PT2_iSD_SD_: ; @_Z39paged_attention_ll4mi_QKV_mfma16_kernelI14__hip_bfloat16hLN4vllm18Fp8KVCacheDataTypeE1ES0_Li32ELi128ELi256ELb1ELi5EL8MFMAType1EEvPKT_PKT0_S9_ifPKiSB_SB_iPKfiiiPfSE_PS4_PT2_iSD_SD_
; %bb.0:
	s_load_dwordx2 s[12:13], s[4:5], 0x30
	s_add_u32 flat_scratch_lo, s6, s11
	s_addc_u32 flat_scratch_hi, s7, 0
	s_add_u32 s0, s0, s11
	s_addc_u32 s1, s1, 0
	s_waitcnt lgkmcnt(0)
	s_cmp_lg_u64 s[12:13], 0
	s_cselect_b64 s[14:15], -1, 0
	s_mov_b32 s6, s9
	s_mov_b64 s[16:17], 0
	s_and_b64 vcc, exec, s[14:15]
	s_mov_b32 s32, 0
	s_cbranch_vccz .LBB798_11
; %bb.1:
	s_add_i32 s18, s8, 1
	s_mov_b32 s19, 0
	s_lshl_b64 s[20:21], s[18:19], 2
	s_add_u32 s20, s12, s20
	s_mov_b32 s9, s19
	s_addc_u32 s21, s13, s21
	s_lshl_b64 s[18:19], s[8:9], 2
	s_add_u32 s18, s12, s18
	s_addc_u32 s19, s13, s19
	s_load_dword s7, s[20:21], 0x0
	s_load_dword s11, s[18:19], 0x0
	s_waitcnt lgkmcnt(0)
	s_sub_i32 s7, s7, s11
	s_cmp_eq_u32 s7, 1
	s_cselect_b64 s[18:19], -1, 0
	s_andn2_b64 vcc, exec, s[16:17]
	s_cbranch_vccnz .LBB798_3
.LBB798_2:
	s_mov_b32 s9, 0
	s_mov_b64 s[18:19], -1
.LBB798_3:
	s_andn2_b64 vcc, exec, s[18:19]
	s_cbranch_vccnz .LBB798_10
; %bb.4:
	s_load_dwordx2 s[18:19], s[4:5], 0x28
	s_lshl_b64 s[16:17], s[8:9], 2
	s_waitcnt lgkmcnt(0)
	s_add_u32 s18, s18, s16
	s_addc_u32 s19, s19, s17
	s_load_dword s7, s[18:19], 0x0
	s_lshl_b32 s6, s6, 8
	s_waitcnt lgkmcnt(0)
	s_cmp_ge_i32 s6, s7
	s_cbranch_scc1 .LBB798_10
; %bb.5:
	s_andn2_b64 vcc, exec, s[14:15]
	s_cbranch_vccnz .LBB798_7
; %bb.6:
	s_add_u32 s6, s12, s16
	s_addc_u32 s7, s13, s17
	s_load_dword s8, s[6:7], 0x0
.LBB798_7:
	s_movk_i32 s6, 0x50
	v_cmp_gt_u32_e32 vcc, s6, v0
	s_and_saveexec_b64 s[6:7], vcc
	s_cbranch_execz .LBB798_9
; %bb.8:
	s_load_dword s11, s[4:5], 0x48
	s_load_dwordx2 s[12:13], s[4:5], 0x0
	v_lshrrev_b32_e32 v1, 4, v0
	s_mul_i32 s10, s10, 5
	v_add_lshl_u32 v2, v1, s10, 7
	s_waitcnt lgkmcnt(0)
	s_ashr_i32 s9, s11, 31
	s_mul_hi_u32 s14, s8, s11
	s_mul_i32 s9, s8, s9
	s_add_i32 s9, s14, s9
	s_mul_i32 s8, s8, s11
	s_lshl_b64 s[8:9], s[8:9], 1
	s_add_u32 s8, s12, s8
	v_ashrrev_i32_e32 v3, 31, v2
	s_addc_u32 s9, s13, s9
	v_lshlrev_b64 v[2:3], 1, v[2:3]
	v_and_b32_e32 v4, 15, v0
	v_mov_b32_e32 v5, s9
	v_add_co_u32_e32 v2, vcc, s8, v2
	v_addc_co_u32_e32 v3, vcc, v5, v3, vcc
	v_lshlrev_b32_e32 v4, 4, v4
	v_add_co_u32_e32 v2, vcc, v2, v4
	v_addc_co_u32_e32 v3, vcc, 0, v3, vcc
	global_load_dwordx4 v[2:5], v[2:3], off
	v_lshlrev_b32_e32 v6, 4, v0
	v_lshlrev_b32_e32 v0, 8, v0
	v_and_b32_e32 v6, 16, v6
	v_lshlrev_b32_e32 v1, 5, v1
	v_and_b32_e32 v0, 0xe00, v0
	v_or3_b32 v0, v0, v1, v6
	s_waitcnt vmcnt(0)
	ds_write_b128 v0, v[2:5]
.LBB798_9:
	s_or_b64 exec, exec, s[6:7]
	s_waitcnt lgkmcnt(0)
	s_add_u32 s8, s4, 0x90
	s_addc_u32 s9, s5, 0
	s_getpc_b64 s[4:5]
	s_add_u32 s4, s4, __PRETTY_FUNCTION__._Z39paged_attention_ll4mi_QKV_mfma16_kernelI14__hip_bfloat16hLN4vllm18Fp8KVCacheDataTypeE1ES0_Li32ELi128ELi256ELb1ELi5EL8MFMAType1EEvPKT_PKT0_S9_ifPKiSB_SB_iPKfiiiPfSE_PS4_PT2_iSD_SD_@rel32@lo+4
	s_addc_u32 s5, s5, __PRETTY_FUNCTION__._Z39paged_attention_ll4mi_QKV_mfma16_kernelI14__hip_bfloat16hLN4vllm18Fp8KVCacheDataTypeE1ES0_Li32ELi128ELi256ELb1ELi5EL8MFMAType1EEvPKT_PKT0_S9_ifPKiSB_SB_iPKfiiiPfSE_PS4_PT2_iSD_SD_@rel32@hi+12
	v_mov_b32_e32 v0, 0x288
	v_mov_b32_e32 v1, s4
	;; [unrolled: 1-line block ×3, first 2 shown]
	s_barrier
	s_getpc_b64 s[6:7]
	s_add_u32 s6, s6, __assert_fail@rel32@lo+4
	s_addc_u32 s7, s7, __assert_fail@rel32@hi+12
	s_swappc_b64 s[30:31], s[6:7]
	; divergent unreachable
.LBB798_10:
	s_endpgm
.LBB798_11:
	s_mov_b64 s[18:19], 0
	s_branch .LBB798_2
	.section	.rodata,"a",@progbits
	.p2align	6, 0x0
	.amdhsa_kernel _Z39paged_attention_ll4mi_QKV_mfma16_kernelI14__hip_bfloat16hLN4vllm18Fp8KVCacheDataTypeE1ES0_Li32ELi128ELi256ELb1ELi5EL8MFMAType1EEvPKT_PKT0_S9_ifPKiSB_SB_iPKfiiiPfSE_PS4_PT2_iSD_SD_
		.amdhsa_group_segment_fixed_size 8192
		.amdhsa_private_segment_fixed_size 64
		.amdhsa_kernarg_size 400
		.amdhsa_user_sgpr_count 8
		.amdhsa_user_sgpr_private_segment_buffer 1
		.amdhsa_user_sgpr_dispatch_ptr 0
		.amdhsa_user_sgpr_queue_ptr 0
		.amdhsa_user_sgpr_kernarg_segment_ptr 1
		.amdhsa_user_sgpr_dispatch_id 0
		.amdhsa_user_sgpr_flat_scratch_init 1
		.amdhsa_user_sgpr_kernarg_preload_length 0
		.amdhsa_user_sgpr_kernarg_preload_offset 0
		.amdhsa_user_sgpr_private_segment_size 0
		.amdhsa_uses_dynamic_stack 0
		.amdhsa_system_sgpr_private_segment_wavefront_offset 1
		.amdhsa_system_sgpr_workgroup_id_x 1
		.amdhsa_system_sgpr_workgroup_id_y 1
		.amdhsa_system_sgpr_workgroup_id_z 1
		.amdhsa_system_sgpr_workgroup_info 0
		.amdhsa_system_vgpr_workitem_id 0
		.amdhsa_next_free_vgpr 45
		.amdhsa_next_free_sgpr 34
		.amdhsa_accum_offset 44
		.amdhsa_reserve_vcc 1
		.amdhsa_reserve_flat_scratch 1
		.amdhsa_float_round_mode_32 0
		.amdhsa_float_round_mode_16_64 0
		.amdhsa_float_denorm_mode_32 3
		.amdhsa_float_denorm_mode_16_64 3
		.amdhsa_dx10_clamp 1
		.amdhsa_ieee_mode 1
		.amdhsa_fp16_overflow 0
		.amdhsa_tg_split 0
		.amdhsa_exception_fp_ieee_invalid_op 0
		.amdhsa_exception_fp_denorm_src 0
		.amdhsa_exception_fp_ieee_div_zero 0
		.amdhsa_exception_fp_ieee_overflow 0
		.amdhsa_exception_fp_ieee_underflow 0
		.amdhsa_exception_fp_ieee_inexact 0
		.amdhsa_exception_int_div_zero 0
	.end_amdhsa_kernel
	.section	.text._Z39paged_attention_ll4mi_QKV_mfma16_kernelI14__hip_bfloat16hLN4vllm18Fp8KVCacheDataTypeE1ES0_Li32ELi128ELi256ELb1ELi5EL8MFMAType1EEvPKT_PKT0_S9_ifPKiSB_SB_iPKfiiiPfSE_PS4_PT2_iSD_SD_,"axG",@progbits,_Z39paged_attention_ll4mi_QKV_mfma16_kernelI14__hip_bfloat16hLN4vllm18Fp8KVCacheDataTypeE1ES0_Li32ELi128ELi256ELb1ELi5EL8MFMAType1EEvPKT_PKT0_S9_ifPKiSB_SB_iPKfiiiPfSE_PS4_PT2_iSD_SD_,comdat
.Lfunc_end798:
	.size	_Z39paged_attention_ll4mi_QKV_mfma16_kernelI14__hip_bfloat16hLN4vllm18Fp8KVCacheDataTypeE1ES0_Li32ELi128ELi256ELb1ELi5EL8MFMAType1EEvPKT_PKT0_S9_ifPKiSB_SB_iPKfiiiPfSE_PS4_PT2_iSD_SD_, .Lfunc_end798-_Z39paged_attention_ll4mi_QKV_mfma16_kernelI14__hip_bfloat16hLN4vllm18Fp8KVCacheDataTypeE1ES0_Li32ELi128ELi256ELb1ELi5EL8MFMAType1EEvPKT_PKT0_S9_ifPKiSB_SB_iPKfiiiPfSE_PS4_PT2_iSD_SD_
                                        ; -- End function
	.section	.AMDGPU.csdata,"",@progbits
; Kernel info:
; codeLenInByte = 492
; NumSgprs: 40
; NumVgprs: 42
; NumAgprs: 1
; TotalNumVgprs: 45
; ScratchSize: 64
; MemoryBound: 0
; FloatMode: 240
; IeeeMode: 1
; LDSByteSize: 8192 bytes/workgroup (compile time only)
; SGPRBlocks: 4
; VGPRBlocks: 5
; NumSGPRsForWavesPerEU: 40
; NumVGPRsForWavesPerEU: 45
; AccumOffset: 44
; Occupancy: 8
; WaveLimiterHint : 1
; COMPUTE_PGM_RSRC2:SCRATCH_EN: 1
; COMPUTE_PGM_RSRC2:USER_SGPR: 8
; COMPUTE_PGM_RSRC2:TRAP_HANDLER: 0
; COMPUTE_PGM_RSRC2:TGID_X_EN: 1
; COMPUTE_PGM_RSRC2:TGID_Y_EN: 1
; COMPUTE_PGM_RSRC2:TGID_Z_EN: 1
; COMPUTE_PGM_RSRC2:TIDIG_COMP_CNT: 0
; COMPUTE_PGM_RSRC3_GFX90A:ACCUM_OFFSET: 10
; COMPUTE_PGM_RSRC3_GFX90A:TG_SPLIT: 0
	.section	.text._Z39paged_attention_ll4mi_QKV_mfma16_kernelI14__hip_bfloat16hLN4vllm18Fp8KVCacheDataTypeE1ES0_Li32ELi128ELi256ELb1ELi6EL8MFMAType1EEvPKT_PKT0_S9_ifPKiSB_SB_iPKfiiiPfSE_PS4_PT2_iSD_SD_,"axG",@progbits,_Z39paged_attention_ll4mi_QKV_mfma16_kernelI14__hip_bfloat16hLN4vllm18Fp8KVCacheDataTypeE1ES0_Li32ELi128ELi256ELb1ELi6EL8MFMAType1EEvPKT_PKT0_S9_ifPKiSB_SB_iPKfiiiPfSE_PS4_PT2_iSD_SD_,comdat
	.protected	_Z39paged_attention_ll4mi_QKV_mfma16_kernelI14__hip_bfloat16hLN4vllm18Fp8KVCacheDataTypeE1ES0_Li32ELi128ELi256ELb1ELi6EL8MFMAType1EEvPKT_PKT0_S9_ifPKiSB_SB_iPKfiiiPfSE_PS4_PT2_iSD_SD_ ; -- Begin function _Z39paged_attention_ll4mi_QKV_mfma16_kernelI14__hip_bfloat16hLN4vllm18Fp8KVCacheDataTypeE1ES0_Li32ELi128ELi256ELb1ELi6EL8MFMAType1EEvPKT_PKT0_S9_ifPKiSB_SB_iPKfiiiPfSE_PS4_PT2_iSD_SD_
	.globl	_Z39paged_attention_ll4mi_QKV_mfma16_kernelI14__hip_bfloat16hLN4vllm18Fp8KVCacheDataTypeE1ES0_Li32ELi128ELi256ELb1ELi6EL8MFMAType1EEvPKT_PKT0_S9_ifPKiSB_SB_iPKfiiiPfSE_PS4_PT2_iSD_SD_
	.p2align	8
	.type	_Z39paged_attention_ll4mi_QKV_mfma16_kernelI14__hip_bfloat16hLN4vllm18Fp8KVCacheDataTypeE1ES0_Li32ELi128ELi256ELb1ELi6EL8MFMAType1EEvPKT_PKT0_S9_ifPKiSB_SB_iPKfiiiPfSE_PS4_PT2_iSD_SD_,@function
_Z39paged_attention_ll4mi_QKV_mfma16_kernelI14__hip_bfloat16hLN4vllm18Fp8KVCacheDataTypeE1ES0_Li32ELi128ELi256ELb1ELi6EL8MFMAType1EEvPKT_PKT0_S9_ifPKiSB_SB_iPKfiiiPfSE_PS4_PT2_iSD_SD_: ; @_Z39paged_attention_ll4mi_QKV_mfma16_kernelI14__hip_bfloat16hLN4vllm18Fp8KVCacheDataTypeE1ES0_Li32ELi128ELi256ELb1ELi6EL8MFMAType1EEvPKT_PKT0_S9_ifPKiSB_SB_iPKfiiiPfSE_PS4_PT2_iSD_SD_
; %bb.0:
	s_load_dwordx2 s[12:13], s[4:5], 0x30
	s_add_u32 flat_scratch_lo, s6, s11
	s_addc_u32 flat_scratch_hi, s7, 0
	s_add_u32 s0, s0, s11
	s_addc_u32 s1, s1, 0
	s_waitcnt lgkmcnt(0)
	s_cmp_lg_u64 s[12:13], 0
	s_cselect_b64 s[14:15], -1, 0
	s_mov_b32 s6, s9
	s_mov_b64 s[16:17], 0
	s_and_b64 vcc, exec, s[14:15]
	s_mov_b32 s32, 0
	s_cbranch_vccz .LBB799_11
; %bb.1:
	s_add_i32 s18, s8, 1
	s_mov_b32 s19, 0
	s_lshl_b64 s[20:21], s[18:19], 2
	s_add_u32 s20, s12, s20
	s_mov_b32 s9, s19
	s_addc_u32 s21, s13, s21
	s_lshl_b64 s[18:19], s[8:9], 2
	s_add_u32 s18, s12, s18
	s_addc_u32 s19, s13, s19
	s_load_dword s7, s[20:21], 0x0
	s_load_dword s11, s[18:19], 0x0
	s_waitcnt lgkmcnt(0)
	s_sub_i32 s7, s7, s11
	s_cmp_eq_u32 s7, 1
	s_cselect_b64 s[18:19], -1, 0
	s_andn2_b64 vcc, exec, s[16:17]
	s_cbranch_vccnz .LBB799_3
.LBB799_2:
	s_mov_b32 s9, 0
	s_mov_b64 s[18:19], -1
.LBB799_3:
	s_andn2_b64 vcc, exec, s[18:19]
	s_cbranch_vccnz .LBB799_10
; %bb.4:
	s_load_dwordx2 s[18:19], s[4:5], 0x28
	s_lshl_b64 s[16:17], s[8:9], 2
	s_waitcnt lgkmcnt(0)
	s_add_u32 s18, s18, s16
	s_addc_u32 s19, s19, s17
	s_load_dword s7, s[18:19], 0x0
	s_lshl_b32 s6, s6, 8
	s_waitcnt lgkmcnt(0)
	s_cmp_ge_i32 s6, s7
	s_cbranch_scc1 .LBB799_10
; %bb.5:
	s_andn2_b64 vcc, exec, s[14:15]
	s_cbranch_vccnz .LBB799_7
; %bb.6:
	s_add_u32 s6, s12, s16
	s_addc_u32 s7, s13, s17
	s_load_dword s8, s[6:7], 0x0
.LBB799_7:
	s_movk_i32 s6, 0x60
	v_cmp_gt_u32_e32 vcc, s6, v0
	s_and_saveexec_b64 s[6:7], vcc
	s_cbranch_execz .LBB799_9
; %bb.8:
	s_load_dword s11, s[4:5], 0x48
	s_load_dwordx2 s[12:13], s[4:5], 0x0
	v_lshrrev_b32_e32 v1, 4, v0
	s_mul_i32 s10, s10, 6
	v_add_lshl_u32 v2, v1, s10, 7
	s_waitcnt lgkmcnt(0)
	s_ashr_i32 s9, s11, 31
	s_mul_hi_u32 s14, s8, s11
	s_mul_i32 s9, s8, s9
	s_add_i32 s9, s14, s9
	s_mul_i32 s8, s8, s11
	s_lshl_b64 s[8:9], s[8:9], 1
	s_add_u32 s8, s12, s8
	v_ashrrev_i32_e32 v3, 31, v2
	s_addc_u32 s9, s13, s9
	v_lshlrev_b64 v[2:3], 1, v[2:3]
	v_and_b32_e32 v4, 15, v0
	v_mov_b32_e32 v5, s9
	v_add_co_u32_e32 v2, vcc, s8, v2
	v_addc_co_u32_e32 v3, vcc, v5, v3, vcc
	v_lshlrev_b32_e32 v4, 4, v4
	v_add_co_u32_e32 v2, vcc, v2, v4
	v_addc_co_u32_e32 v3, vcc, 0, v3, vcc
	global_load_dwordx4 v[2:5], v[2:3], off
	v_lshlrev_b32_e32 v6, 4, v0
	v_lshlrev_b32_e32 v0, 8, v0
	v_and_b32_e32 v6, 16, v6
	v_lshlrev_b32_e32 v1, 5, v1
	v_and_b32_e32 v0, 0xe00, v0
	v_or3_b32 v0, v0, v1, v6
	s_waitcnt vmcnt(0)
	ds_write_b128 v0, v[2:5]
.LBB799_9:
	s_or_b64 exec, exec, s[6:7]
	s_waitcnt lgkmcnt(0)
	s_add_u32 s8, s4, 0x90
	s_addc_u32 s9, s5, 0
	s_getpc_b64 s[4:5]
	s_add_u32 s4, s4, __PRETTY_FUNCTION__._Z39paged_attention_ll4mi_QKV_mfma16_kernelI14__hip_bfloat16hLN4vllm18Fp8KVCacheDataTypeE1ES0_Li32ELi128ELi256ELb1ELi6EL8MFMAType1EEvPKT_PKT0_S9_ifPKiSB_SB_iPKfiiiPfSE_PS4_PT2_iSD_SD_@rel32@lo+4
	s_addc_u32 s5, s5, __PRETTY_FUNCTION__._Z39paged_attention_ll4mi_QKV_mfma16_kernelI14__hip_bfloat16hLN4vllm18Fp8KVCacheDataTypeE1ES0_Li32ELi128ELi256ELb1ELi6EL8MFMAType1EEvPKT_PKT0_S9_ifPKiSB_SB_iPKfiiiPfSE_PS4_PT2_iSD_SD_@rel32@hi+12
	v_mov_b32_e32 v0, 0x288
	v_mov_b32_e32 v1, s4
	v_mov_b32_e32 v2, s5
	s_barrier
	s_getpc_b64 s[6:7]
	s_add_u32 s6, s6, __assert_fail@rel32@lo+4
	s_addc_u32 s7, s7, __assert_fail@rel32@hi+12
	s_swappc_b64 s[30:31], s[6:7]
	; divergent unreachable
.LBB799_10:
	s_endpgm
.LBB799_11:
	s_mov_b64 s[18:19], 0
	s_branch .LBB799_2
	.section	.rodata,"a",@progbits
	.p2align	6, 0x0
	.amdhsa_kernel _Z39paged_attention_ll4mi_QKV_mfma16_kernelI14__hip_bfloat16hLN4vllm18Fp8KVCacheDataTypeE1ES0_Li32ELi128ELi256ELb1ELi6EL8MFMAType1EEvPKT_PKT0_S9_ifPKiSB_SB_iPKfiiiPfSE_PS4_PT2_iSD_SD_
		.amdhsa_group_segment_fixed_size 8192
		.amdhsa_private_segment_fixed_size 64
		.amdhsa_kernarg_size 400
		.amdhsa_user_sgpr_count 8
		.amdhsa_user_sgpr_private_segment_buffer 1
		.amdhsa_user_sgpr_dispatch_ptr 0
		.amdhsa_user_sgpr_queue_ptr 0
		.amdhsa_user_sgpr_kernarg_segment_ptr 1
		.amdhsa_user_sgpr_dispatch_id 0
		.amdhsa_user_sgpr_flat_scratch_init 1
		.amdhsa_user_sgpr_kernarg_preload_length 0
		.amdhsa_user_sgpr_kernarg_preload_offset 0
		.amdhsa_user_sgpr_private_segment_size 0
		.amdhsa_uses_dynamic_stack 0
		.amdhsa_system_sgpr_private_segment_wavefront_offset 1
		.amdhsa_system_sgpr_workgroup_id_x 1
		.amdhsa_system_sgpr_workgroup_id_y 1
		.amdhsa_system_sgpr_workgroup_id_z 1
		.amdhsa_system_sgpr_workgroup_info 0
		.amdhsa_system_vgpr_workitem_id 0
		.amdhsa_next_free_vgpr 45
		.amdhsa_next_free_sgpr 34
		.amdhsa_accum_offset 44
		.amdhsa_reserve_vcc 1
		.amdhsa_reserve_flat_scratch 1
		.amdhsa_float_round_mode_32 0
		.amdhsa_float_round_mode_16_64 0
		.amdhsa_float_denorm_mode_32 3
		.amdhsa_float_denorm_mode_16_64 3
		.amdhsa_dx10_clamp 1
		.amdhsa_ieee_mode 1
		.amdhsa_fp16_overflow 0
		.amdhsa_tg_split 0
		.amdhsa_exception_fp_ieee_invalid_op 0
		.amdhsa_exception_fp_denorm_src 0
		.amdhsa_exception_fp_ieee_div_zero 0
		.amdhsa_exception_fp_ieee_overflow 0
		.amdhsa_exception_fp_ieee_underflow 0
		.amdhsa_exception_fp_ieee_inexact 0
		.amdhsa_exception_int_div_zero 0
	.end_amdhsa_kernel
	.section	.text._Z39paged_attention_ll4mi_QKV_mfma16_kernelI14__hip_bfloat16hLN4vllm18Fp8KVCacheDataTypeE1ES0_Li32ELi128ELi256ELb1ELi6EL8MFMAType1EEvPKT_PKT0_S9_ifPKiSB_SB_iPKfiiiPfSE_PS4_PT2_iSD_SD_,"axG",@progbits,_Z39paged_attention_ll4mi_QKV_mfma16_kernelI14__hip_bfloat16hLN4vllm18Fp8KVCacheDataTypeE1ES0_Li32ELi128ELi256ELb1ELi6EL8MFMAType1EEvPKT_PKT0_S9_ifPKiSB_SB_iPKfiiiPfSE_PS4_PT2_iSD_SD_,comdat
.Lfunc_end799:
	.size	_Z39paged_attention_ll4mi_QKV_mfma16_kernelI14__hip_bfloat16hLN4vllm18Fp8KVCacheDataTypeE1ES0_Li32ELi128ELi256ELb1ELi6EL8MFMAType1EEvPKT_PKT0_S9_ifPKiSB_SB_iPKfiiiPfSE_PS4_PT2_iSD_SD_, .Lfunc_end799-_Z39paged_attention_ll4mi_QKV_mfma16_kernelI14__hip_bfloat16hLN4vllm18Fp8KVCacheDataTypeE1ES0_Li32ELi128ELi256ELb1ELi6EL8MFMAType1EEvPKT_PKT0_S9_ifPKiSB_SB_iPKfiiiPfSE_PS4_PT2_iSD_SD_
                                        ; -- End function
	.section	.AMDGPU.csdata,"",@progbits
; Kernel info:
; codeLenInByte = 492
; NumSgprs: 40
; NumVgprs: 42
; NumAgprs: 1
; TotalNumVgprs: 45
; ScratchSize: 64
; MemoryBound: 0
; FloatMode: 240
; IeeeMode: 1
; LDSByteSize: 8192 bytes/workgroup (compile time only)
; SGPRBlocks: 4
; VGPRBlocks: 5
; NumSGPRsForWavesPerEU: 40
; NumVGPRsForWavesPerEU: 45
; AccumOffset: 44
; Occupancy: 8
; WaveLimiterHint : 1
; COMPUTE_PGM_RSRC2:SCRATCH_EN: 1
; COMPUTE_PGM_RSRC2:USER_SGPR: 8
; COMPUTE_PGM_RSRC2:TRAP_HANDLER: 0
; COMPUTE_PGM_RSRC2:TGID_X_EN: 1
; COMPUTE_PGM_RSRC2:TGID_Y_EN: 1
; COMPUTE_PGM_RSRC2:TGID_Z_EN: 1
; COMPUTE_PGM_RSRC2:TIDIG_COMP_CNT: 0
; COMPUTE_PGM_RSRC3_GFX90A:ACCUM_OFFSET: 10
; COMPUTE_PGM_RSRC3_GFX90A:TG_SPLIT: 0
	.section	.text._Z39paged_attention_ll4mi_QKV_mfma16_kernelI14__hip_bfloat16hLN4vllm18Fp8KVCacheDataTypeE1ES0_Li32ELi128ELi256ELb1ELi7EL8MFMAType1EEvPKT_PKT0_S9_ifPKiSB_SB_iPKfiiiPfSE_PS4_PT2_iSD_SD_,"axG",@progbits,_Z39paged_attention_ll4mi_QKV_mfma16_kernelI14__hip_bfloat16hLN4vllm18Fp8KVCacheDataTypeE1ES0_Li32ELi128ELi256ELb1ELi7EL8MFMAType1EEvPKT_PKT0_S9_ifPKiSB_SB_iPKfiiiPfSE_PS4_PT2_iSD_SD_,comdat
	.protected	_Z39paged_attention_ll4mi_QKV_mfma16_kernelI14__hip_bfloat16hLN4vllm18Fp8KVCacheDataTypeE1ES0_Li32ELi128ELi256ELb1ELi7EL8MFMAType1EEvPKT_PKT0_S9_ifPKiSB_SB_iPKfiiiPfSE_PS4_PT2_iSD_SD_ ; -- Begin function _Z39paged_attention_ll4mi_QKV_mfma16_kernelI14__hip_bfloat16hLN4vllm18Fp8KVCacheDataTypeE1ES0_Li32ELi128ELi256ELb1ELi7EL8MFMAType1EEvPKT_PKT0_S9_ifPKiSB_SB_iPKfiiiPfSE_PS4_PT2_iSD_SD_
	.globl	_Z39paged_attention_ll4mi_QKV_mfma16_kernelI14__hip_bfloat16hLN4vllm18Fp8KVCacheDataTypeE1ES0_Li32ELi128ELi256ELb1ELi7EL8MFMAType1EEvPKT_PKT0_S9_ifPKiSB_SB_iPKfiiiPfSE_PS4_PT2_iSD_SD_
	.p2align	8
	.type	_Z39paged_attention_ll4mi_QKV_mfma16_kernelI14__hip_bfloat16hLN4vllm18Fp8KVCacheDataTypeE1ES0_Li32ELi128ELi256ELb1ELi7EL8MFMAType1EEvPKT_PKT0_S9_ifPKiSB_SB_iPKfiiiPfSE_PS4_PT2_iSD_SD_,@function
_Z39paged_attention_ll4mi_QKV_mfma16_kernelI14__hip_bfloat16hLN4vllm18Fp8KVCacheDataTypeE1ES0_Li32ELi128ELi256ELb1ELi7EL8MFMAType1EEvPKT_PKT0_S9_ifPKiSB_SB_iPKfiiiPfSE_PS4_PT2_iSD_SD_: ; @_Z39paged_attention_ll4mi_QKV_mfma16_kernelI14__hip_bfloat16hLN4vllm18Fp8KVCacheDataTypeE1ES0_Li32ELi128ELi256ELb1ELi7EL8MFMAType1EEvPKT_PKT0_S9_ifPKiSB_SB_iPKfiiiPfSE_PS4_PT2_iSD_SD_
; %bb.0:
	s_load_dwordx2 s[12:13], s[4:5], 0x30
	s_add_u32 flat_scratch_lo, s6, s11
	s_addc_u32 flat_scratch_hi, s7, 0
	s_add_u32 s0, s0, s11
	s_addc_u32 s1, s1, 0
	s_waitcnt lgkmcnt(0)
	s_cmp_lg_u64 s[12:13], 0
	s_cselect_b64 s[14:15], -1, 0
	s_mov_b32 s6, s9
	s_mov_b64 s[16:17], 0
	s_and_b64 vcc, exec, s[14:15]
	s_mov_b32 s32, 0
	s_cbranch_vccz .LBB800_11
; %bb.1:
	s_add_i32 s18, s8, 1
	s_mov_b32 s19, 0
	s_lshl_b64 s[20:21], s[18:19], 2
	s_add_u32 s20, s12, s20
	s_mov_b32 s9, s19
	s_addc_u32 s21, s13, s21
	s_lshl_b64 s[18:19], s[8:9], 2
	s_add_u32 s18, s12, s18
	s_addc_u32 s19, s13, s19
	s_load_dword s7, s[20:21], 0x0
	s_load_dword s11, s[18:19], 0x0
	s_waitcnt lgkmcnt(0)
	s_sub_i32 s7, s7, s11
	s_cmp_eq_u32 s7, 1
	s_cselect_b64 s[18:19], -1, 0
	s_andn2_b64 vcc, exec, s[16:17]
	s_cbranch_vccnz .LBB800_3
.LBB800_2:
	s_mov_b32 s9, 0
	s_mov_b64 s[18:19], -1
.LBB800_3:
	s_andn2_b64 vcc, exec, s[18:19]
	s_cbranch_vccnz .LBB800_10
; %bb.4:
	s_load_dwordx2 s[18:19], s[4:5], 0x28
	s_lshl_b64 s[16:17], s[8:9], 2
	s_waitcnt lgkmcnt(0)
	s_add_u32 s18, s18, s16
	s_addc_u32 s19, s19, s17
	s_load_dword s7, s[18:19], 0x0
	s_lshl_b32 s6, s6, 8
	s_waitcnt lgkmcnt(0)
	s_cmp_ge_i32 s6, s7
	s_cbranch_scc1 .LBB800_10
; %bb.5:
	s_andn2_b64 vcc, exec, s[14:15]
	s_cbranch_vccnz .LBB800_7
; %bb.6:
	s_add_u32 s6, s12, s16
	s_addc_u32 s7, s13, s17
	s_load_dword s8, s[6:7], 0x0
.LBB800_7:
	s_movk_i32 s6, 0x70
	v_cmp_gt_u32_e32 vcc, s6, v0
	s_and_saveexec_b64 s[6:7], vcc
	s_cbranch_execz .LBB800_9
; %bb.8:
	s_load_dword s11, s[4:5], 0x48
	s_load_dwordx2 s[12:13], s[4:5], 0x0
	v_lshrrev_b32_e32 v1, 4, v0
	s_mul_i32 s10, s10, 7
	v_add_lshl_u32 v2, v1, s10, 7
	s_waitcnt lgkmcnt(0)
	s_ashr_i32 s9, s11, 31
	s_mul_hi_u32 s14, s8, s11
	s_mul_i32 s9, s8, s9
	s_add_i32 s9, s14, s9
	s_mul_i32 s8, s8, s11
	s_lshl_b64 s[8:9], s[8:9], 1
	s_add_u32 s8, s12, s8
	v_ashrrev_i32_e32 v3, 31, v2
	s_addc_u32 s9, s13, s9
	v_lshlrev_b64 v[2:3], 1, v[2:3]
	v_and_b32_e32 v4, 15, v0
	v_mov_b32_e32 v5, s9
	v_add_co_u32_e32 v2, vcc, s8, v2
	v_addc_co_u32_e32 v3, vcc, v5, v3, vcc
	v_lshlrev_b32_e32 v4, 4, v4
	v_add_co_u32_e32 v2, vcc, v2, v4
	v_addc_co_u32_e32 v3, vcc, 0, v3, vcc
	global_load_dwordx4 v[2:5], v[2:3], off
	v_lshlrev_b32_e32 v6, 4, v0
	v_lshlrev_b32_e32 v0, 8, v0
	v_and_b32_e32 v6, 16, v6
	v_lshlrev_b32_e32 v1, 5, v1
	v_and_b32_e32 v0, 0xe00, v0
	v_or3_b32 v0, v0, v1, v6
	s_waitcnt vmcnt(0)
	ds_write_b128 v0, v[2:5]
.LBB800_9:
	s_or_b64 exec, exec, s[6:7]
	s_waitcnt lgkmcnt(0)
	s_add_u32 s8, s4, 0x90
	s_addc_u32 s9, s5, 0
	s_getpc_b64 s[4:5]
	s_add_u32 s4, s4, __PRETTY_FUNCTION__._Z39paged_attention_ll4mi_QKV_mfma16_kernelI14__hip_bfloat16hLN4vllm18Fp8KVCacheDataTypeE1ES0_Li32ELi128ELi256ELb1ELi7EL8MFMAType1EEvPKT_PKT0_S9_ifPKiSB_SB_iPKfiiiPfSE_PS4_PT2_iSD_SD_@rel32@lo+4
	s_addc_u32 s5, s5, __PRETTY_FUNCTION__._Z39paged_attention_ll4mi_QKV_mfma16_kernelI14__hip_bfloat16hLN4vllm18Fp8KVCacheDataTypeE1ES0_Li32ELi128ELi256ELb1ELi7EL8MFMAType1EEvPKT_PKT0_S9_ifPKiSB_SB_iPKfiiiPfSE_PS4_PT2_iSD_SD_@rel32@hi+12
	v_mov_b32_e32 v0, 0x288
	v_mov_b32_e32 v1, s4
	;; [unrolled: 1-line block ×3, first 2 shown]
	s_barrier
	s_getpc_b64 s[6:7]
	s_add_u32 s6, s6, __assert_fail@rel32@lo+4
	s_addc_u32 s7, s7, __assert_fail@rel32@hi+12
	s_swappc_b64 s[30:31], s[6:7]
	; divergent unreachable
.LBB800_10:
	s_endpgm
.LBB800_11:
	s_mov_b64 s[18:19], 0
	s_branch .LBB800_2
	.section	.rodata,"a",@progbits
	.p2align	6, 0x0
	.amdhsa_kernel _Z39paged_attention_ll4mi_QKV_mfma16_kernelI14__hip_bfloat16hLN4vllm18Fp8KVCacheDataTypeE1ES0_Li32ELi128ELi256ELb1ELi7EL8MFMAType1EEvPKT_PKT0_S9_ifPKiSB_SB_iPKfiiiPfSE_PS4_PT2_iSD_SD_
		.amdhsa_group_segment_fixed_size 8192
		.amdhsa_private_segment_fixed_size 64
		.amdhsa_kernarg_size 400
		.amdhsa_user_sgpr_count 8
		.amdhsa_user_sgpr_private_segment_buffer 1
		.amdhsa_user_sgpr_dispatch_ptr 0
		.amdhsa_user_sgpr_queue_ptr 0
		.amdhsa_user_sgpr_kernarg_segment_ptr 1
		.amdhsa_user_sgpr_dispatch_id 0
		.amdhsa_user_sgpr_flat_scratch_init 1
		.amdhsa_user_sgpr_kernarg_preload_length 0
		.amdhsa_user_sgpr_kernarg_preload_offset 0
		.amdhsa_user_sgpr_private_segment_size 0
		.amdhsa_uses_dynamic_stack 0
		.amdhsa_system_sgpr_private_segment_wavefront_offset 1
		.amdhsa_system_sgpr_workgroup_id_x 1
		.amdhsa_system_sgpr_workgroup_id_y 1
		.amdhsa_system_sgpr_workgroup_id_z 1
		.amdhsa_system_sgpr_workgroup_info 0
		.amdhsa_system_vgpr_workitem_id 0
		.amdhsa_next_free_vgpr 45
		.amdhsa_next_free_sgpr 34
		.amdhsa_accum_offset 44
		.amdhsa_reserve_vcc 1
		.amdhsa_reserve_flat_scratch 1
		.amdhsa_float_round_mode_32 0
		.amdhsa_float_round_mode_16_64 0
		.amdhsa_float_denorm_mode_32 3
		.amdhsa_float_denorm_mode_16_64 3
		.amdhsa_dx10_clamp 1
		.amdhsa_ieee_mode 1
		.amdhsa_fp16_overflow 0
		.amdhsa_tg_split 0
		.amdhsa_exception_fp_ieee_invalid_op 0
		.amdhsa_exception_fp_denorm_src 0
		.amdhsa_exception_fp_ieee_div_zero 0
		.amdhsa_exception_fp_ieee_overflow 0
		.amdhsa_exception_fp_ieee_underflow 0
		.amdhsa_exception_fp_ieee_inexact 0
		.amdhsa_exception_int_div_zero 0
	.end_amdhsa_kernel
	.section	.text._Z39paged_attention_ll4mi_QKV_mfma16_kernelI14__hip_bfloat16hLN4vllm18Fp8KVCacheDataTypeE1ES0_Li32ELi128ELi256ELb1ELi7EL8MFMAType1EEvPKT_PKT0_S9_ifPKiSB_SB_iPKfiiiPfSE_PS4_PT2_iSD_SD_,"axG",@progbits,_Z39paged_attention_ll4mi_QKV_mfma16_kernelI14__hip_bfloat16hLN4vllm18Fp8KVCacheDataTypeE1ES0_Li32ELi128ELi256ELb1ELi7EL8MFMAType1EEvPKT_PKT0_S9_ifPKiSB_SB_iPKfiiiPfSE_PS4_PT2_iSD_SD_,comdat
.Lfunc_end800:
	.size	_Z39paged_attention_ll4mi_QKV_mfma16_kernelI14__hip_bfloat16hLN4vllm18Fp8KVCacheDataTypeE1ES0_Li32ELi128ELi256ELb1ELi7EL8MFMAType1EEvPKT_PKT0_S9_ifPKiSB_SB_iPKfiiiPfSE_PS4_PT2_iSD_SD_, .Lfunc_end800-_Z39paged_attention_ll4mi_QKV_mfma16_kernelI14__hip_bfloat16hLN4vllm18Fp8KVCacheDataTypeE1ES0_Li32ELi128ELi256ELb1ELi7EL8MFMAType1EEvPKT_PKT0_S9_ifPKiSB_SB_iPKfiiiPfSE_PS4_PT2_iSD_SD_
                                        ; -- End function
	.section	.AMDGPU.csdata,"",@progbits
; Kernel info:
; codeLenInByte = 492
; NumSgprs: 40
; NumVgprs: 42
; NumAgprs: 1
; TotalNumVgprs: 45
; ScratchSize: 64
; MemoryBound: 0
; FloatMode: 240
; IeeeMode: 1
; LDSByteSize: 8192 bytes/workgroup (compile time only)
; SGPRBlocks: 4
; VGPRBlocks: 5
; NumSGPRsForWavesPerEU: 40
; NumVGPRsForWavesPerEU: 45
; AccumOffset: 44
; Occupancy: 8
; WaveLimiterHint : 1
; COMPUTE_PGM_RSRC2:SCRATCH_EN: 1
; COMPUTE_PGM_RSRC2:USER_SGPR: 8
; COMPUTE_PGM_RSRC2:TRAP_HANDLER: 0
; COMPUTE_PGM_RSRC2:TGID_X_EN: 1
; COMPUTE_PGM_RSRC2:TGID_Y_EN: 1
; COMPUTE_PGM_RSRC2:TGID_Z_EN: 1
; COMPUTE_PGM_RSRC2:TIDIG_COMP_CNT: 0
; COMPUTE_PGM_RSRC3_GFX90A:ACCUM_OFFSET: 10
; COMPUTE_PGM_RSRC3_GFX90A:TG_SPLIT: 0
	.section	.text._Z39paged_attention_ll4mi_QKV_mfma16_kernelI14__hip_bfloat16hLN4vllm18Fp8KVCacheDataTypeE1ES0_Li32ELi128ELi256ELb1ELi8EL8MFMAType1EEvPKT_PKT0_S9_ifPKiSB_SB_iPKfiiiPfSE_PS4_PT2_iSD_SD_,"axG",@progbits,_Z39paged_attention_ll4mi_QKV_mfma16_kernelI14__hip_bfloat16hLN4vllm18Fp8KVCacheDataTypeE1ES0_Li32ELi128ELi256ELb1ELi8EL8MFMAType1EEvPKT_PKT0_S9_ifPKiSB_SB_iPKfiiiPfSE_PS4_PT2_iSD_SD_,comdat
	.protected	_Z39paged_attention_ll4mi_QKV_mfma16_kernelI14__hip_bfloat16hLN4vllm18Fp8KVCacheDataTypeE1ES0_Li32ELi128ELi256ELb1ELi8EL8MFMAType1EEvPKT_PKT0_S9_ifPKiSB_SB_iPKfiiiPfSE_PS4_PT2_iSD_SD_ ; -- Begin function _Z39paged_attention_ll4mi_QKV_mfma16_kernelI14__hip_bfloat16hLN4vllm18Fp8KVCacheDataTypeE1ES0_Li32ELi128ELi256ELb1ELi8EL8MFMAType1EEvPKT_PKT0_S9_ifPKiSB_SB_iPKfiiiPfSE_PS4_PT2_iSD_SD_
	.globl	_Z39paged_attention_ll4mi_QKV_mfma16_kernelI14__hip_bfloat16hLN4vllm18Fp8KVCacheDataTypeE1ES0_Li32ELi128ELi256ELb1ELi8EL8MFMAType1EEvPKT_PKT0_S9_ifPKiSB_SB_iPKfiiiPfSE_PS4_PT2_iSD_SD_
	.p2align	8
	.type	_Z39paged_attention_ll4mi_QKV_mfma16_kernelI14__hip_bfloat16hLN4vllm18Fp8KVCacheDataTypeE1ES0_Li32ELi128ELi256ELb1ELi8EL8MFMAType1EEvPKT_PKT0_S9_ifPKiSB_SB_iPKfiiiPfSE_PS4_PT2_iSD_SD_,@function
_Z39paged_attention_ll4mi_QKV_mfma16_kernelI14__hip_bfloat16hLN4vllm18Fp8KVCacheDataTypeE1ES0_Li32ELi128ELi256ELb1ELi8EL8MFMAType1EEvPKT_PKT0_S9_ifPKiSB_SB_iPKfiiiPfSE_PS4_PT2_iSD_SD_: ; @_Z39paged_attention_ll4mi_QKV_mfma16_kernelI14__hip_bfloat16hLN4vllm18Fp8KVCacheDataTypeE1ES0_Li32ELi128ELi256ELb1ELi8EL8MFMAType1EEvPKT_PKT0_S9_ifPKiSB_SB_iPKfiiiPfSE_PS4_PT2_iSD_SD_
; %bb.0:
	s_load_dwordx2 s[12:13], s[4:5], 0x30
	s_add_u32 flat_scratch_lo, s6, s11
	s_addc_u32 flat_scratch_hi, s7, 0
	s_add_u32 s0, s0, s11
	s_addc_u32 s1, s1, 0
	s_waitcnt lgkmcnt(0)
	s_cmp_lg_u64 s[12:13], 0
	s_cselect_b64 s[14:15], -1, 0
	s_mov_b32 s6, s9
	s_mov_b64 s[16:17], 0
	s_and_b64 vcc, exec, s[14:15]
	s_mov_b32 s32, 0
	s_cbranch_vccz .LBB801_11
; %bb.1:
	s_add_i32 s18, s8, 1
	s_mov_b32 s19, 0
	s_lshl_b64 s[20:21], s[18:19], 2
	s_add_u32 s20, s12, s20
	s_mov_b32 s9, s19
	s_addc_u32 s21, s13, s21
	s_lshl_b64 s[18:19], s[8:9], 2
	s_add_u32 s18, s12, s18
	s_addc_u32 s19, s13, s19
	s_load_dword s7, s[20:21], 0x0
	s_load_dword s11, s[18:19], 0x0
	s_waitcnt lgkmcnt(0)
	s_sub_i32 s7, s7, s11
	s_cmp_eq_u32 s7, 1
	s_cselect_b64 s[18:19], -1, 0
	s_andn2_b64 vcc, exec, s[16:17]
	s_cbranch_vccnz .LBB801_3
.LBB801_2:
	s_mov_b32 s9, 0
	s_mov_b64 s[18:19], -1
.LBB801_3:
	s_andn2_b64 vcc, exec, s[18:19]
	s_cbranch_vccnz .LBB801_10
; %bb.4:
	s_load_dwordx2 s[18:19], s[4:5], 0x28
	s_lshl_b64 s[16:17], s[8:9], 2
	s_waitcnt lgkmcnt(0)
	s_add_u32 s18, s18, s16
	s_addc_u32 s19, s19, s17
	s_load_dword s7, s[18:19], 0x0
	s_lshl_b32 s6, s6, 8
	s_waitcnt lgkmcnt(0)
	s_cmp_ge_i32 s6, s7
	s_cbranch_scc1 .LBB801_10
; %bb.5:
	s_andn2_b64 vcc, exec, s[14:15]
	s_cbranch_vccnz .LBB801_7
; %bb.6:
	s_add_u32 s6, s12, s16
	s_addc_u32 s7, s13, s17
	s_load_dword s8, s[6:7], 0x0
.LBB801_7:
	s_movk_i32 s6, 0x80
	v_cmp_gt_u32_e32 vcc, s6, v0
	s_and_saveexec_b64 s[6:7], vcc
	s_cbranch_execz .LBB801_9
; %bb.8:
	s_load_dword s11, s[4:5], 0x48
	s_load_dwordx2 s[12:13], s[4:5], 0x0
	v_lshrrev_b32_e32 v6, 4, v0
	v_lshlrev_b32_e32 v2, 7, v6
	v_lshl_or_b32 v2, s10, 10, v2
	s_waitcnt lgkmcnt(0)
	s_ashr_i32 s9, s11, 31
	s_mul_hi_u32 s14, s8, s11
	s_mul_i32 s9, s8, s9
	s_add_i32 s9, s14, s9
	s_mul_i32 s8, s8, s11
	s_lshl_b64 s[8:9], s[8:9], 1
	s_add_u32 s8, s12, s8
	v_ashrrev_i32_e32 v3, 31, v2
	s_addc_u32 s9, s13, s9
	v_lshlrev_b64 v[2:3], 1, v[2:3]
	v_and_b32_e32 v1, 15, v0
	v_mov_b32_e32 v4, s9
	v_add_co_u32_e32 v2, vcc, s8, v2
	v_addc_co_u32_e32 v3, vcc, v4, v3, vcc
	v_lshlrev_b32_e32 v1, 4, v1
	v_add_co_u32_e32 v2, vcc, v2, v1
	v_addc_co_u32_e32 v3, vcc, 0, v3, vcc
	global_load_dwordx4 v[2:5], v[2:3], off
	v_lshlrev_b32_e32 v1, 4, v0
	v_lshlrev_b32_e32 v0, 8, v0
	v_and_b32_e32 v1, 16, v1
	v_lshlrev_b32_e32 v6, 5, v6
	v_and_b32_e32 v0, 0xe00, v0
	v_or3_b32 v0, v0, v6, v1
	s_waitcnt vmcnt(0)
	ds_write_b128 v0, v[2:5]
.LBB801_9:
	s_or_b64 exec, exec, s[6:7]
	s_waitcnt lgkmcnt(0)
	s_add_u32 s8, s4, 0x90
	s_addc_u32 s9, s5, 0
	s_getpc_b64 s[4:5]
	s_add_u32 s4, s4, __PRETTY_FUNCTION__._Z39paged_attention_ll4mi_QKV_mfma16_kernelI14__hip_bfloat16hLN4vllm18Fp8KVCacheDataTypeE1ES0_Li32ELi128ELi256ELb1ELi8EL8MFMAType1EEvPKT_PKT0_S9_ifPKiSB_SB_iPKfiiiPfSE_PS4_PT2_iSD_SD_@rel32@lo+4
	s_addc_u32 s5, s5, __PRETTY_FUNCTION__._Z39paged_attention_ll4mi_QKV_mfma16_kernelI14__hip_bfloat16hLN4vllm18Fp8KVCacheDataTypeE1ES0_Li32ELi128ELi256ELb1ELi8EL8MFMAType1EEvPKT_PKT0_S9_ifPKiSB_SB_iPKfiiiPfSE_PS4_PT2_iSD_SD_@rel32@hi+12
	v_mov_b32_e32 v0, 0x288
	v_mov_b32_e32 v1, s4
	;; [unrolled: 1-line block ×3, first 2 shown]
	s_barrier
	s_getpc_b64 s[6:7]
	s_add_u32 s6, s6, __assert_fail@rel32@lo+4
	s_addc_u32 s7, s7, __assert_fail@rel32@hi+12
	s_swappc_b64 s[30:31], s[6:7]
	; divergent unreachable
.LBB801_10:
	s_endpgm
.LBB801_11:
	s_mov_b64 s[18:19], 0
	s_branch .LBB801_2
	.section	.rodata,"a",@progbits
	.p2align	6, 0x0
	.amdhsa_kernel _Z39paged_attention_ll4mi_QKV_mfma16_kernelI14__hip_bfloat16hLN4vllm18Fp8KVCacheDataTypeE1ES0_Li32ELi128ELi256ELb1ELi8EL8MFMAType1EEvPKT_PKT0_S9_ifPKiSB_SB_iPKfiiiPfSE_PS4_PT2_iSD_SD_
		.amdhsa_group_segment_fixed_size 8192
		.amdhsa_private_segment_fixed_size 64
		.amdhsa_kernarg_size 400
		.amdhsa_user_sgpr_count 8
		.amdhsa_user_sgpr_private_segment_buffer 1
		.amdhsa_user_sgpr_dispatch_ptr 0
		.amdhsa_user_sgpr_queue_ptr 0
		.amdhsa_user_sgpr_kernarg_segment_ptr 1
		.amdhsa_user_sgpr_dispatch_id 0
		.amdhsa_user_sgpr_flat_scratch_init 1
		.amdhsa_user_sgpr_kernarg_preload_length 0
		.amdhsa_user_sgpr_kernarg_preload_offset 0
		.amdhsa_user_sgpr_private_segment_size 0
		.amdhsa_uses_dynamic_stack 0
		.amdhsa_system_sgpr_private_segment_wavefront_offset 1
		.amdhsa_system_sgpr_workgroup_id_x 1
		.amdhsa_system_sgpr_workgroup_id_y 1
		.amdhsa_system_sgpr_workgroup_id_z 1
		.amdhsa_system_sgpr_workgroup_info 0
		.amdhsa_system_vgpr_workitem_id 0
		.amdhsa_next_free_vgpr 45
		.amdhsa_next_free_sgpr 34
		.amdhsa_accum_offset 44
		.amdhsa_reserve_vcc 1
		.amdhsa_reserve_flat_scratch 1
		.amdhsa_float_round_mode_32 0
		.amdhsa_float_round_mode_16_64 0
		.amdhsa_float_denorm_mode_32 3
		.amdhsa_float_denorm_mode_16_64 3
		.amdhsa_dx10_clamp 1
		.amdhsa_ieee_mode 1
		.amdhsa_fp16_overflow 0
		.amdhsa_tg_split 0
		.amdhsa_exception_fp_ieee_invalid_op 0
		.amdhsa_exception_fp_denorm_src 0
		.amdhsa_exception_fp_ieee_div_zero 0
		.amdhsa_exception_fp_ieee_overflow 0
		.amdhsa_exception_fp_ieee_underflow 0
		.amdhsa_exception_fp_ieee_inexact 0
		.amdhsa_exception_int_div_zero 0
	.end_amdhsa_kernel
	.section	.text._Z39paged_attention_ll4mi_QKV_mfma16_kernelI14__hip_bfloat16hLN4vllm18Fp8KVCacheDataTypeE1ES0_Li32ELi128ELi256ELb1ELi8EL8MFMAType1EEvPKT_PKT0_S9_ifPKiSB_SB_iPKfiiiPfSE_PS4_PT2_iSD_SD_,"axG",@progbits,_Z39paged_attention_ll4mi_QKV_mfma16_kernelI14__hip_bfloat16hLN4vllm18Fp8KVCacheDataTypeE1ES0_Li32ELi128ELi256ELb1ELi8EL8MFMAType1EEvPKT_PKT0_S9_ifPKiSB_SB_iPKfiiiPfSE_PS4_PT2_iSD_SD_,comdat
.Lfunc_end801:
	.size	_Z39paged_attention_ll4mi_QKV_mfma16_kernelI14__hip_bfloat16hLN4vllm18Fp8KVCacheDataTypeE1ES0_Li32ELi128ELi256ELb1ELi8EL8MFMAType1EEvPKT_PKT0_S9_ifPKiSB_SB_iPKfiiiPfSE_PS4_PT2_iSD_SD_, .Lfunc_end801-_Z39paged_attention_ll4mi_QKV_mfma16_kernelI14__hip_bfloat16hLN4vllm18Fp8KVCacheDataTypeE1ES0_Li32ELi128ELi256ELb1ELi8EL8MFMAType1EEvPKT_PKT0_S9_ifPKiSB_SB_iPKfiiiPfSE_PS4_PT2_iSD_SD_
                                        ; -- End function
	.section	.AMDGPU.csdata,"",@progbits
; Kernel info:
; codeLenInByte = 492
; NumSgprs: 40
; NumVgprs: 42
; NumAgprs: 1
; TotalNumVgprs: 45
; ScratchSize: 64
; MemoryBound: 0
; FloatMode: 240
; IeeeMode: 1
; LDSByteSize: 8192 bytes/workgroup (compile time only)
; SGPRBlocks: 4
; VGPRBlocks: 5
; NumSGPRsForWavesPerEU: 40
; NumVGPRsForWavesPerEU: 45
; AccumOffset: 44
; Occupancy: 8
; WaveLimiterHint : 1
; COMPUTE_PGM_RSRC2:SCRATCH_EN: 1
; COMPUTE_PGM_RSRC2:USER_SGPR: 8
; COMPUTE_PGM_RSRC2:TRAP_HANDLER: 0
; COMPUTE_PGM_RSRC2:TGID_X_EN: 1
; COMPUTE_PGM_RSRC2:TGID_Y_EN: 1
; COMPUTE_PGM_RSRC2:TGID_Z_EN: 1
; COMPUTE_PGM_RSRC2:TIDIG_COMP_CNT: 0
; COMPUTE_PGM_RSRC3_GFX90A:ACCUM_OFFSET: 10
; COMPUTE_PGM_RSRC3_GFX90A:TG_SPLIT: 0
	.section	.text._Z39paged_attention_ll4mi_QKV_mfma16_kernelI14__hip_bfloat16hLN4vllm18Fp8KVCacheDataTypeE1ES0_Li32ELi128ELi256ELb1ELi9EL8MFMAType1EEvPKT_PKT0_S9_ifPKiSB_SB_iPKfiiiPfSE_PS4_PT2_iSD_SD_,"axG",@progbits,_Z39paged_attention_ll4mi_QKV_mfma16_kernelI14__hip_bfloat16hLN4vllm18Fp8KVCacheDataTypeE1ES0_Li32ELi128ELi256ELb1ELi9EL8MFMAType1EEvPKT_PKT0_S9_ifPKiSB_SB_iPKfiiiPfSE_PS4_PT2_iSD_SD_,comdat
	.protected	_Z39paged_attention_ll4mi_QKV_mfma16_kernelI14__hip_bfloat16hLN4vllm18Fp8KVCacheDataTypeE1ES0_Li32ELi128ELi256ELb1ELi9EL8MFMAType1EEvPKT_PKT0_S9_ifPKiSB_SB_iPKfiiiPfSE_PS4_PT2_iSD_SD_ ; -- Begin function _Z39paged_attention_ll4mi_QKV_mfma16_kernelI14__hip_bfloat16hLN4vllm18Fp8KVCacheDataTypeE1ES0_Li32ELi128ELi256ELb1ELi9EL8MFMAType1EEvPKT_PKT0_S9_ifPKiSB_SB_iPKfiiiPfSE_PS4_PT2_iSD_SD_
	.globl	_Z39paged_attention_ll4mi_QKV_mfma16_kernelI14__hip_bfloat16hLN4vllm18Fp8KVCacheDataTypeE1ES0_Li32ELi128ELi256ELb1ELi9EL8MFMAType1EEvPKT_PKT0_S9_ifPKiSB_SB_iPKfiiiPfSE_PS4_PT2_iSD_SD_
	.p2align	8
	.type	_Z39paged_attention_ll4mi_QKV_mfma16_kernelI14__hip_bfloat16hLN4vllm18Fp8KVCacheDataTypeE1ES0_Li32ELi128ELi256ELb1ELi9EL8MFMAType1EEvPKT_PKT0_S9_ifPKiSB_SB_iPKfiiiPfSE_PS4_PT2_iSD_SD_,@function
_Z39paged_attention_ll4mi_QKV_mfma16_kernelI14__hip_bfloat16hLN4vllm18Fp8KVCacheDataTypeE1ES0_Li32ELi128ELi256ELb1ELi9EL8MFMAType1EEvPKT_PKT0_S9_ifPKiSB_SB_iPKfiiiPfSE_PS4_PT2_iSD_SD_: ; @_Z39paged_attention_ll4mi_QKV_mfma16_kernelI14__hip_bfloat16hLN4vllm18Fp8KVCacheDataTypeE1ES0_Li32ELi128ELi256ELb1ELi9EL8MFMAType1EEvPKT_PKT0_S9_ifPKiSB_SB_iPKfiiiPfSE_PS4_PT2_iSD_SD_
; %bb.0:
	s_load_dwordx2 s[12:13], s[4:5], 0x30
	s_add_u32 flat_scratch_lo, s6, s11
	s_addc_u32 flat_scratch_hi, s7, 0
	s_add_u32 s0, s0, s11
	s_addc_u32 s1, s1, 0
	s_waitcnt lgkmcnt(0)
	s_cmp_lg_u64 s[12:13], 0
	s_cselect_b64 s[14:15], -1, 0
	s_mov_b32 s6, s9
	s_mov_b64 s[16:17], 0
	s_and_b64 vcc, exec, s[14:15]
	s_mov_b32 s32, 0
	s_cbranch_vccz .LBB802_11
; %bb.1:
	s_add_i32 s18, s8, 1
	s_mov_b32 s19, 0
	s_lshl_b64 s[20:21], s[18:19], 2
	s_add_u32 s20, s12, s20
	s_mov_b32 s9, s19
	s_addc_u32 s21, s13, s21
	s_lshl_b64 s[18:19], s[8:9], 2
	s_add_u32 s18, s12, s18
	s_addc_u32 s19, s13, s19
	s_load_dword s7, s[20:21], 0x0
	s_load_dword s11, s[18:19], 0x0
	s_waitcnt lgkmcnt(0)
	s_sub_i32 s7, s7, s11
	s_cmp_eq_u32 s7, 1
	s_cselect_b64 s[18:19], -1, 0
	s_andn2_b64 vcc, exec, s[16:17]
	s_cbranch_vccnz .LBB802_3
.LBB802_2:
	s_mov_b32 s9, 0
	s_mov_b64 s[18:19], -1
.LBB802_3:
	s_andn2_b64 vcc, exec, s[18:19]
	s_cbranch_vccnz .LBB802_10
; %bb.4:
	s_load_dwordx2 s[18:19], s[4:5], 0x28
	s_lshl_b64 s[16:17], s[8:9], 2
	s_waitcnt lgkmcnt(0)
	s_add_u32 s18, s18, s16
	s_addc_u32 s19, s19, s17
	s_load_dword s7, s[18:19], 0x0
	s_lshl_b32 s6, s6, 8
	s_waitcnt lgkmcnt(0)
	s_cmp_ge_i32 s6, s7
	s_cbranch_scc1 .LBB802_10
; %bb.5:
	s_andn2_b64 vcc, exec, s[14:15]
	s_cbranch_vccnz .LBB802_7
; %bb.6:
	s_add_u32 s6, s12, s16
	s_addc_u32 s7, s13, s17
	s_load_dword s8, s[6:7], 0x0
.LBB802_7:
	s_movk_i32 s6, 0x90
	v_cmp_gt_u32_e32 vcc, s6, v0
	s_and_saveexec_b64 s[6:7], vcc
	s_cbranch_execz .LBB802_9
; %bb.8:
	s_load_dword s11, s[4:5], 0x48
	s_load_dwordx2 s[12:13], s[4:5], 0x0
	v_lshrrev_b32_e32 v1, 4, v0
	s_mul_i32 s10, s10, 9
	v_add_lshl_u32 v2, v1, s10, 7
	s_waitcnt lgkmcnt(0)
	s_ashr_i32 s9, s11, 31
	s_mul_hi_u32 s14, s8, s11
	s_mul_i32 s9, s8, s9
	s_add_i32 s9, s14, s9
	s_mul_i32 s8, s8, s11
	s_lshl_b64 s[8:9], s[8:9], 1
	s_add_u32 s8, s12, s8
	v_ashrrev_i32_e32 v3, 31, v2
	s_addc_u32 s9, s13, s9
	v_lshlrev_b64 v[2:3], 1, v[2:3]
	v_and_b32_e32 v4, 15, v0
	v_mov_b32_e32 v5, s9
	v_add_co_u32_e32 v2, vcc, s8, v2
	v_addc_co_u32_e32 v3, vcc, v5, v3, vcc
	v_lshlrev_b32_e32 v4, 4, v4
	v_add_co_u32_e32 v2, vcc, v2, v4
	v_addc_co_u32_e32 v3, vcc, 0, v3, vcc
	global_load_dwordx4 v[2:5], v[2:3], off
	v_lshlrev_b32_e32 v6, 4, v0
	v_lshlrev_b32_e32 v0, 8, v0
	v_and_b32_e32 v6, 16, v6
	v_lshlrev_b32_e32 v1, 5, v1
	v_and_b32_e32 v0, 0xe00, v0
	v_or3_b32 v0, v0, v1, v6
	s_waitcnt vmcnt(0)
	ds_write_b128 v0, v[2:5]
.LBB802_9:
	s_or_b64 exec, exec, s[6:7]
	s_waitcnt lgkmcnt(0)
	s_add_u32 s8, s4, 0x90
	s_addc_u32 s9, s5, 0
	s_getpc_b64 s[4:5]
	s_add_u32 s4, s4, __PRETTY_FUNCTION__._Z39paged_attention_ll4mi_QKV_mfma16_kernelI14__hip_bfloat16hLN4vllm18Fp8KVCacheDataTypeE1ES0_Li32ELi128ELi256ELb1ELi9EL8MFMAType1EEvPKT_PKT0_S9_ifPKiSB_SB_iPKfiiiPfSE_PS4_PT2_iSD_SD_@rel32@lo+4
	s_addc_u32 s5, s5, __PRETTY_FUNCTION__._Z39paged_attention_ll4mi_QKV_mfma16_kernelI14__hip_bfloat16hLN4vllm18Fp8KVCacheDataTypeE1ES0_Li32ELi128ELi256ELb1ELi9EL8MFMAType1EEvPKT_PKT0_S9_ifPKiSB_SB_iPKfiiiPfSE_PS4_PT2_iSD_SD_@rel32@hi+12
	v_mov_b32_e32 v0, 0x288
	v_mov_b32_e32 v1, s4
	;; [unrolled: 1-line block ×3, first 2 shown]
	s_barrier
	s_getpc_b64 s[6:7]
	s_add_u32 s6, s6, __assert_fail@rel32@lo+4
	s_addc_u32 s7, s7, __assert_fail@rel32@hi+12
	s_swappc_b64 s[30:31], s[6:7]
	; divergent unreachable
.LBB802_10:
	s_endpgm
.LBB802_11:
	s_mov_b64 s[18:19], 0
	s_branch .LBB802_2
	.section	.rodata,"a",@progbits
	.p2align	6, 0x0
	.amdhsa_kernel _Z39paged_attention_ll4mi_QKV_mfma16_kernelI14__hip_bfloat16hLN4vllm18Fp8KVCacheDataTypeE1ES0_Li32ELi128ELi256ELb1ELi9EL8MFMAType1EEvPKT_PKT0_S9_ifPKiSB_SB_iPKfiiiPfSE_PS4_PT2_iSD_SD_
		.amdhsa_group_segment_fixed_size 8192
		.amdhsa_private_segment_fixed_size 64
		.amdhsa_kernarg_size 400
		.amdhsa_user_sgpr_count 8
		.amdhsa_user_sgpr_private_segment_buffer 1
		.amdhsa_user_sgpr_dispatch_ptr 0
		.amdhsa_user_sgpr_queue_ptr 0
		.amdhsa_user_sgpr_kernarg_segment_ptr 1
		.amdhsa_user_sgpr_dispatch_id 0
		.amdhsa_user_sgpr_flat_scratch_init 1
		.amdhsa_user_sgpr_kernarg_preload_length 0
		.amdhsa_user_sgpr_kernarg_preload_offset 0
		.amdhsa_user_sgpr_private_segment_size 0
		.amdhsa_uses_dynamic_stack 0
		.amdhsa_system_sgpr_private_segment_wavefront_offset 1
		.amdhsa_system_sgpr_workgroup_id_x 1
		.amdhsa_system_sgpr_workgroup_id_y 1
		.amdhsa_system_sgpr_workgroup_id_z 1
		.amdhsa_system_sgpr_workgroup_info 0
		.amdhsa_system_vgpr_workitem_id 0
		.amdhsa_next_free_vgpr 45
		.amdhsa_next_free_sgpr 34
		.amdhsa_accum_offset 44
		.amdhsa_reserve_vcc 1
		.amdhsa_reserve_flat_scratch 1
		.amdhsa_float_round_mode_32 0
		.amdhsa_float_round_mode_16_64 0
		.amdhsa_float_denorm_mode_32 3
		.amdhsa_float_denorm_mode_16_64 3
		.amdhsa_dx10_clamp 1
		.amdhsa_ieee_mode 1
		.amdhsa_fp16_overflow 0
		.amdhsa_tg_split 0
		.amdhsa_exception_fp_ieee_invalid_op 0
		.amdhsa_exception_fp_denorm_src 0
		.amdhsa_exception_fp_ieee_div_zero 0
		.amdhsa_exception_fp_ieee_overflow 0
		.amdhsa_exception_fp_ieee_underflow 0
		.amdhsa_exception_fp_ieee_inexact 0
		.amdhsa_exception_int_div_zero 0
	.end_amdhsa_kernel
	.section	.text._Z39paged_attention_ll4mi_QKV_mfma16_kernelI14__hip_bfloat16hLN4vllm18Fp8KVCacheDataTypeE1ES0_Li32ELi128ELi256ELb1ELi9EL8MFMAType1EEvPKT_PKT0_S9_ifPKiSB_SB_iPKfiiiPfSE_PS4_PT2_iSD_SD_,"axG",@progbits,_Z39paged_attention_ll4mi_QKV_mfma16_kernelI14__hip_bfloat16hLN4vllm18Fp8KVCacheDataTypeE1ES0_Li32ELi128ELi256ELb1ELi9EL8MFMAType1EEvPKT_PKT0_S9_ifPKiSB_SB_iPKfiiiPfSE_PS4_PT2_iSD_SD_,comdat
.Lfunc_end802:
	.size	_Z39paged_attention_ll4mi_QKV_mfma16_kernelI14__hip_bfloat16hLN4vllm18Fp8KVCacheDataTypeE1ES0_Li32ELi128ELi256ELb1ELi9EL8MFMAType1EEvPKT_PKT0_S9_ifPKiSB_SB_iPKfiiiPfSE_PS4_PT2_iSD_SD_, .Lfunc_end802-_Z39paged_attention_ll4mi_QKV_mfma16_kernelI14__hip_bfloat16hLN4vllm18Fp8KVCacheDataTypeE1ES0_Li32ELi128ELi256ELb1ELi9EL8MFMAType1EEvPKT_PKT0_S9_ifPKiSB_SB_iPKfiiiPfSE_PS4_PT2_iSD_SD_
                                        ; -- End function
	.section	.AMDGPU.csdata,"",@progbits
; Kernel info:
; codeLenInByte = 492
; NumSgprs: 40
; NumVgprs: 42
; NumAgprs: 1
; TotalNumVgprs: 45
; ScratchSize: 64
; MemoryBound: 0
; FloatMode: 240
; IeeeMode: 1
; LDSByteSize: 8192 bytes/workgroup (compile time only)
; SGPRBlocks: 4
; VGPRBlocks: 5
; NumSGPRsForWavesPerEU: 40
; NumVGPRsForWavesPerEU: 45
; AccumOffset: 44
; Occupancy: 8
; WaveLimiterHint : 1
; COMPUTE_PGM_RSRC2:SCRATCH_EN: 1
; COMPUTE_PGM_RSRC2:USER_SGPR: 8
; COMPUTE_PGM_RSRC2:TRAP_HANDLER: 0
; COMPUTE_PGM_RSRC2:TGID_X_EN: 1
; COMPUTE_PGM_RSRC2:TGID_Y_EN: 1
; COMPUTE_PGM_RSRC2:TGID_Z_EN: 1
; COMPUTE_PGM_RSRC2:TIDIG_COMP_CNT: 0
; COMPUTE_PGM_RSRC3_GFX90A:ACCUM_OFFSET: 10
; COMPUTE_PGM_RSRC3_GFX90A:TG_SPLIT: 0
	.section	.text._Z39paged_attention_ll4mi_QKV_mfma16_kernelI14__hip_bfloat16hLN4vllm18Fp8KVCacheDataTypeE1ES0_Li32ELi128ELi256ELb1ELi10EL8MFMAType1EEvPKT_PKT0_S9_ifPKiSB_SB_iPKfiiiPfSE_PS4_PT2_iSD_SD_,"axG",@progbits,_Z39paged_attention_ll4mi_QKV_mfma16_kernelI14__hip_bfloat16hLN4vllm18Fp8KVCacheDataTypeE1ES0_Li32ELi128ELi256ELb1ELi10EL8MFMAType1EEvPKT_PKT0_S9_ifPKiSB_SB_iPKfiiiPfSE_PS4_PT2_iSD_SD_,comdat
	.protected	_Z39paged_attention_ll4mi_QKV_mfma16_kernelI14__hip_bfloat16hLN4vllm18Fp8KVCacheDataTypeE1ES0_Li32ELi128ELi256ELb1ELi10EL8MFMAType1EEvPKT_PKT0_S9_ifPKiSB_SB_iPKfiiiPfSE_PS4_PT2_iSD_SD_ ; -- Begin function _Z39paged_attention_ll4mi_QKV_mfma16_kernelI14__hip_bfloat16hLN4vllm18Fp8KVCacheDataTypeE1ES0_Li32ELi128ELi256ELb1ELi10EL8MFMAType1EEvPKT_PKT0_S9_ifPKiSB_SB_iPKfiiiPfSE_PS4_PT2_iSD_SD_
	.globl	_Z39paged_attention_ll4mi_QKV_mfma16_kernelI14__hip_bfloat16hLN4vllm18Fp8KVCacheDataTypeE1ES0_Li32ELi128ELi256ELb1ELi10EL8MFMAType1EEvPKT_PKT0_S9_ifPKiSB_SB_iPKfiiiPfSE_PS4_PT2_iSD_SD_
	.p2align	8
	.type	_Z39paged_attention_ll4mi_QKV_mfma16_kernelI14__hip_bfloat16hLN4vllm18Fp8KVCacheDataTypeE1ES0_Li32ELi128ELi256ELb1ELi10EL8MFMAType1EEvPKT_PKT0_S9_ifPKiSB_SB_iPKfiiiPfSE_PS4_PT2_iSD_SD_,@function
_Z39paged_attention_ll4mi_QKV_mfma16_kernelI14__hip_bfloat16hLN4vllm18Fp8KVCacheDataTypeE1ES0_Li32ELi128ELi256ELb1ELi10EL8MFMAType1EEvPKT_PKT0_S9_ifPKiSB_SB_iPKfiiiPfSE_PS4_PT2_iSD_SD_: ; @_Z39paged_attention_ll4mi_QKV_mfma16_kernelI14__hip_bfloat16hLN4vllm18Fp8KVCacheDataTypeE1ES0_Li32ELi128ELi256ELb1ELi10EL8MFMAType1EEvPKT_PKT0_S9_ifPKiSB_SB_iPKfiiiPfSE_PS4_PT2_iSD_SD_
; %bb.0:
	s_load_dwordx2 s[12:13], s[4:5], 0x30
	s_add_u32 flat_scratch_lo, s6, s11
	s_addc_u32 flat_scratch_hi, s7, 0
	s_add_u32 s0, s0, s11
	s_addc_u32 s1, s1, 0
	s_waitcnt lgkmcnt(0)
	s_cmp_lg_u64 s[12:13], 0
	s_cselect_b64 s[14:15], -1, 0
	s_mov_b32 s6, s9
	s_mov_b64 s[16:17], 0
	s_and_b64 vcc, exec, s[14:15]
	s_mov_b32 s32, 0
	s_cbranch_vccz .LBB803_11
; %bb.1:
	s_add_i32 s18, s8, 1
	s_mov_b32 s19, 0
	s_lshl_b64 s[20:21], s[18:19], 2
	s_add_u32 s20, s12, s20
	s_mov_b32 s9, s19
	s_addc_u32 s21, s13, s21
	s_lshl_b64 s[18:19], s[8:9], 2
	s_add_u32 s18, s12, s18
	s_addc_u32 s19, s13, s19
	s_load_dword s7, s[20:21], 0x0
	s_load_dword s11, s[18:19], 0x0
	s_waitcnt lgkmcnt(0)
	s_sub_i32 s7, s7, s11
	s_cmp_eq_u32 s7, 1
	s_cselect_b64 s[18:19], -1, 0
	s_andn2_b64 vcc, exec, s[16:17]
	s_cbranch_vccnz .LBB803_3
.LBB803_2:
	s_mov_b32 s9, 0
	s_mov_b64 s[18:19], -1
.LBB803_3:
	s_andn2_b64 vcc, exec, s[18:19]
	s_cbranch_vccnz .LBB803_10
; %bb.4:
	s_load_dwordx2 s[18:19], s[4:5], 0x28
	s_lshl_b64 s[16:17], s[8:9], 2
	s_waitcnt lgkmcnt(0)
	s_add_u32 s18, s18, s16
	s_addc_u32 s19, s19, s17
	s_load_dword s7, s[18:19], 0x0
	s_lshl_b32 s6, s6, 8
	s_waitcnt lgkmcnt(0)
	s_cmp_ge_i32 s6, s7
	s_cbranch_scc1 .LBB803_10
; %bb.5:
	s_andn2_b64 vcc, exec, s[14:15]
	s_cbranch_vccnz .LBB803_7
; %bb.6:
	s_add_u32 s6, s12, s16
	s_addc_u32 s7, s13, s17
	s_load_dword s8, s[6:7], 0x0
.LBB803_7:
	s_movk_i32 s6, 0xa0
	v_cmp_gt_u32_e32 vcc, s6, v0
	s_and_saveexec_b64 s[6:7], vcc
	s_cbranch_execz .LBB803_9
; %bb.8:
	s_load_dword s11, s[4:5], 0x48
	s_load_dwordx2 s[12:13], s[4:5], 0x0
	v_lshrrev_b32_e32 v1, 4, v0
	s_mul_i32 s10, s10, 10
	v_add_lshl_u32 v2, v1, s10, 7
	s_waitcnt lgkmcnt(0)
	s_ashr_i32 s9, s11, 31
	s_mul_hi_u32 s14, s8, s11
	s_mul_i32 s9, s8, s9
	s_add_i32 s9, s14, s9
	s_mul_i32 s8, s8, s11
	s_lshl_b64 s[8:9], s[8:9], 1
	s_add_u32 s8, s12, s8
	v_ashrrev_i32_e32 v3, 31, v2
	s_addc_u32 s9, s13, s9
	v_lshlrev_b64 v[2:3], 1, v[2:3]
	v_and_b32_e32 v4, 15, v0
	v_mov_b32_e32 v5, s9
	v_add_co_u32_e32 v2, vcc, s8, v2
	v_addc_co_u32_e32 v3, vcc, v5, v3, vcc
	v_lshlrev_b32_e32 v4, 4, v4
	v_add_co_u32_e32 v2, vcc, v2, v4
	v_addc_co_u32_e32 v3, vcc, 0, v3, vcc
	global_load_dwordx4 v[2:5], v[2:3], off
	v_lshlrev_b32_e32 v6, 4, v0
	v_lshlrev_b32_e32 v0, 8, v0
	v_and_b32_e32 v6, 16, v6
	v_lshlrev_b32_e32 v1, 5, v1
	v_and_b32_e32 v0, 0xe00, v0
	v_or3_b32 v0, v0, v1, v6
	s_waitcnt vmcnt(0)
	ds_write_b128 v0, v[2:5]
.LBB803_9:
	s_or_b64 exec, exec, s[6:7]
	s_waitcnt lgkmcnt(0)
	s_add_u32 s8, s4, 0x90
	s_addc_u32 s9, s5, 0
	s_getpc_b64 s[4:5]
	s_add_u32 s4, s4, __PRETTY_FUNCTION__._Z39paged_attention_ll4mi_QKV_mfma16_kernelI14__hip_bfloat16hLN4vllm18Fp8KVCacheDataTypeE1ES0_Li32ELi128ELi256ELb1ELi10EL8MFMAType1EEvPKT_PKT0_S9_ifPKiSB_SB_iPKfiiiPfSE_PS4_PT2_iSD_SD_@rel32@lo+4
	s_addc_u32 s5, s5, __PRETTY_FUNCTION__._Z39paged_attention_ll4mi_QKV_mfma16_kernelI14__hip_bfloat16hLN4vllm18Fp8KVCacheDataTypeE1ES0_Li32ELi128ELi256ELb1ELi10EL8MFMAType1EEvPKT_PKT0_S9_ifPKiSB_SB_iPKfiiiPfSE_PS4_PT2_iSD_SD_@rel32@hi+12
	v_mov_b32_e32 v0, 0x288
	v_mov_b32_e32 v1, s4
	;; [unrolled: 1-line block ×3, first 2 shown]
	s_barrier
	s_getpc_b64 s[6:7]
	s_add_u32 s6, s6, __assert_fail@rel32@lo+4
	s_addc_u32 s7, s7, __assert_fail@rel32@hi+12
	s_swappc_b64 s[30:31], s[6:7]
	; divergent unreachable
.LBB803_10:
	s_endpgm
.LBB803_11:
	s_mov_b64 s[18:19], 0
	s_branch .LBB803_2
	.section	.rodata,"a",@progbits
	.p2align	6, 0x0
	.amdhsa_kernel _Z39paged_attention_ll4mi_QKV_mfma16_kernelI14__hip_bfloat16hLN4vllm18Fp8KVCacheDataTypeE1ES0_Li32ELi128ELi256ELb1ELi10EL8MFMAType1EEvPKT_PKT0_S9_ifPKiSB_SB_iPKfiiiPfSE_PS4_PT2_iSD_SD_
		.amdhsa_group_segment_fixed_size 8192
		.amdhsa_private_segment_fixed_size 64
		.amdhsa_kernarg_size 400
		.amdhsa_user_sgpr_count 8
		.amdhsa_user_sgpr_private_segment_buffer 1
		.amdhsa_user_sgpr_dispatch_ptr 0
		.amdhsa_user_sgpr_queue_ptr 0
		.amdhsa_user_sgpr_kernarg_segment_ptr 1
		.amdhsa_user_sgpr_dispatch_id 0
		.amdhsa_user_sgpr_flat_scratch_init 1
		.amdhsa_user_sgpr_kernarg_preload_length 0
		.amdhsa_user_sgpr_kernarg_preload_offset 0
		.amdhsa_user_sgpr_private_segment_size 0
		.amdhsa_uses_dynamic_stack 0
		.amdhsa_system_sgpr_private_segment_wavefront_offset 1
		.amdhsa_system_sgpr_workgroup_id_x 1
		.amdhsa_system_sgpr_workgroup_id_y 1
		.amdhsa_system_sgpr_workgroup_id_z 1
		.amdhsa_system_sgpr_workgroup_info 0
		.amdhsa_system_vgpr_workitem_id 0
		.amdhsa_next_free_vgpr 45
		.amdhsa_next_free_sgpr 34
		.amdhsa_accum_offset 44
		.amdhsa_reserve_vcc 1
		.amdhsa_reserve_flat_scratch 1
		.amdhsa_float_round_mode_32 0
		.amdhsa_float_round_mode_16_64 0
		.amdhsa_float_denorm_mode_32 3
		.amdhsa_float_denorm_mode_16_64 3
		.amdhsa_dx10_clamp 1
		.amdhsa_ieee_mode 1
		.amdhsa_fp16_overflow 0
		.amdhsa_tg_split 0
		.amdhsa_exception_fp_ieee_invalid_op 0
		.amdhsa_exception_fp_denorm_src 0
		.amdhsa_exception_fp_ieee_div_zero 0
		.amdhsa_exception_fp_ieee_overflow 0
		.amdhsa_exception_fp_ieee_underflow 0
		.amdhsa_exception_fp_ieee_inexact 0
		.amdhsa_exception_int_div_zero 0
	.end_amdhsa_kernel
	.section	.text._Z39paged_attention_ll4mi_QKV_mfma16_kernelI14__hip_bfloat16hLN4vllm18Fp8KVCacheDataTypeE1ES0_Li32ELi128ELi256ELb1ELi10EL8MFMAType1EEvPKT_PKT0_S9_ifPKiSB_SB_iPKfiiiPfSE_PS4_PT2_iSD_SD_,"axG",@progbits,_Z39paged_attention_ll4mi_QKV_mfma16_kernelI14__hip_bfloat16hLN4vllm18Fp8KVCacheDataTypeE1ES0_Li32ELi128ELi256ELb1ELi10EL8MFMAType1EEvPKT_PKT0_S9_ifPKiSB_SB_iPKfiiiPfSE_PS4_PT2_iSD_SD_,comdat
.Lfunc_end803:
	.size	_Z39paged_attention_ll4mi_QKV_mfma16_kernelI14__hip_bfloat16hLN4vllm18Fp8KVCacheDataTypeE1ES0_Li32ELi128ELi256ELb1ELi10EL8MFMAType1EEvPKT_PKT0_S9_ifPKiSB_SB_iPKfiiiPfSE_PS4_PT2_iSD_SD_, .Lfunc_end803-_Z39paged_attention_ll4mi_QKV_mfma16_kernelI14__hip_bfloat16hLN4vllm18Fp8KVCacheDataTypeE1ES0_Li32ELi128ELi256ELb1ELi10EL8MFMAType1EEvPKT_PKT0_S9_ifPKiSB_SB_iPKfiiiPfSE_PS4_PT2_iSD_SD_
                                        ; -- End function
	.section	.AMDGPU.csdata,"",@progbits
; Kernel info:
; codeLenInByte = 492
; NumSgprs: 40
; NumVgprs: 42
; NumAgprs: 1
; TotalNumVgprs: 45
; ScratchSize: 64
; MemoryBound: 0
; FloatMode: 240
; IeeeMode: 1
; LDSByteSize: 8192 bytes/workgroup (compile time only)
; SGPRBlocks: 4
; VGPRBlocks: 5
; NumSGPRsForWavesPerEU: 40
; NumVGPRsForWavesPerEU: 45
; AccumOffset: 44
; Occupancy: 8
; WaveLimiterHint : 1
; COMPUTE_PGM_RSRC2:SCRATCH_EN: 1
; COMPUTE_PGM_RSRC2:USER_SGPR: 8
; COMPUTE_PGM_RSRC2:TRAP_HANDLER: 0
; COMPUTE_PGM_RSRC2:TGID_X_EN: 1
; COMPUTE_PGM_RSRC2:TGID_Y_EN: 1
; COMPUTE_PGM_RSRC2:TGID_Z_EN: 1
; COMPUTE_PGM_RSRC2:TIDIG_COMP_CNT: 0
; COMPUTE_PGM_RSRC3_GFX90A:ACCUM_OFFSET: 10
; COMPUTE_PGM_RSRC3_GFX90A:TG_SPLIT: 0
	.section	.text._Z39paged_attention_ll4mi_QKV_mfma16_kernelI14__hip_bfloat16hLN4vllm18Fp8KVCacheDataTypeE1ES0_Li32ELi128ELi256ELb1ELi11EL8MFMAType1EEvPKT_PKT0_S9_ifPKiSB_SB_iPKfiiiPfSE_PS4_PT2_iSD_SD_,"axG",@progbits,_Z39paged_attention_ll4mi_QKV_mfma16_kernelI14__hip_bfloat16hLN4vllm18Fp8KVCacheDataTypeE1ES0_Li32ELi128ELi256ELb1ELi11EL8MFMAType1EEvPKT_PKT0_S9_ifPKiSB_SB_iPKfiiiPfSE_PS4_PT2_iSD_SD_,comdat
	.protected	_Z39paged_attention_ll4mi_QKV_mfma16_kernelI14__hip_bfloat16hLN4vllm18Fp8KVCacheDataTypeE1ES0_Li32ELi128ELi256ELb1ELi11EL8MFMAType1EEvPKT_PKT0_S9_ifPKiSB_SB_iPKfiiiPfSE_PS4_PT2_iSD_SD_ ; -- Begin function _Z39paged_attention_ll4mi_QKV_mfma16_kernelI14__hip_bfloat16hLN4vllm18Fp8KVCacheDataTypeE1ES0_Li32ELi128ELi256ELb1ELi11EL8MFMAType1EEvPKT_PKT0_S9_ifPKiSB_SB_iPKfiiiPfSE_PS4_PT2_iSD_SD_
	.globl	_Z39paged_attention_ll4mi_QKV_mfma16_kernelI14__hip_bfloat16hLN4vllm18Fp8KVCacheDataTypeE1ES0_Li32ELi128ELi256ELb1ELi11EL8MFMAType1EEvPKT_PKT0_S9_ifPKiSB_SB_iPKfiiiPfSE_PS4_PT2_iSD_SD_
	.p2align	8
	.type	_Z39paged_attention_ll4mi_QKV_mfma16_kernelI14__hip_bfloat16hLN4vllm18Fp8KVCacheDataTypeE1ES0_Li32ELi128ELi256ELb1ELi11EL8MFMAType1EEvPKT_PKT0_S9_ifPKiSB_SB_iPKfiiiPfSE_PS4_PT2_iSD_SD_,@function
_Z39paged_attention_ll4mi_QKV_mfma16_kernelI14__hip_bfloat16hLN4vllm18Fp8KVCacheDataTypeE1ES0_Li32ELi128ELi256ELb1ELi11EL8MFMAType1EEvPKT_PKT0_S9_ifPKiSB_SB_iPKfiiiPfSE_PS4_PT2_iSD_SD_: ; @_Z39paged_attention_ll4mi_QKV_mfma16_kernelI14__hip_bfloat16hLN4vllm18Fp8KVCacheDataTypeE1ES0_Li32ELi128ELi256ELb1ELi11EL8MFMAType1EEvPKT_PKT0_S9_ifPKiSB_SB_iPKfiiiPfSE_PS4_PT2_iSD_SD_
; %bb.0:
	s_load_dwordx2 s[12:13], s[4:5], 0x30
	s_add_u32 flat_scratch_lo, s6, s11
	s_addc_u32 flat_scratch_hi, s7, 0
	s_add_u32 s0, s0, s11
	s_addc_u32 s1, s1, 0
	s_waitcnt lgkmcnt(0)
	s_cmp_lg_u64 s[12:13], 0
	s_cselect_b64 s[14:15], -1, 0
	s_mov_b32 s6, s9
	s_mov_b64 s[16:17], 0
	s_and_b64 vcc, exec, s[14:15]
	s_mov_b32 s32, 0
	s_cbranch_vccz .LBB804_11
; %bb.1:
	s_add_i32 s18, s8, 1
	s_mov_b32 s19, 0
	s_lshl_b64 s[20:21], s[18:19], 2
	s_add_u32 s20, s12, s20
	s_mov_b32 s9, s19
	s_addc_u32 s21, s13, s21
	s_lshl_b64 s[18:19], s[8:9], 2
	s_add_u32 s18, s12, s18
	s_addc_u32 s19, s13, s19
	s_load_dword s7, s[20:21], 0x0
	s_load_dword s11, s[18:19], 0x0
	s_waitcnt lgkmcnt(0)
	s_sub_i32 s7, s7, s11
	s_cmp_eq_u32 s7, 1
	s_cselect_b64 s[18:19], -1, 0
	s_andn2_b64 vcc, exec, s[16:17]
	s_cbranch_vccnz .LBB804_3
.LBB804_2:
	s_mov_b32 s9, 0
	s_mov_b64 s[18:19], -1
.LBB804_3:
	s_andn2_b64 vcc, exec, s[18:19]
	s_cbranch_vccnz .LBB804_10
; %bb.4:
	s_load_dwordx2 s[18:19], s[4:5], 0x28
	s_lshl_b64 s[16:17], s[8:9], 2
	s_waitcnt lgkmcnt(0)
	s_add_u32 s18, s18, s16
	s_addc_u32 s19, s19, s17
	s_load_dword s7, s[18:19], 0x0
	s_lshl_b32 s6, s6, 8
	s_waitcnt lgkmcnt(0)
	s_cmp_ge_i32 s6, s7
	s_cbranch_scc1 .LBB804_10
; %bb.5:
	s_andn2_b64 vcc, exec, s[14:15]
	s_cbranch_vccnz .LBB804_7
; %bb.6:
	s_add_u32 s6, s12, s16
	s_addc_u32 s7, s13, s17
	s_load_dword s8, s[6:7], 0x0
.LBB804_7:
	s_movk_i32 s6, 0xb0
	v_cmp_gt_u32_e32 vcc, s6, v0
	s_and_saveexec_b64 s[6:7], vcc
	s_cbranch_execz .LBB804_9
; %bb.8:
	s_load_dword s11, s[4:5], 0x48
	s_load_dwordx2 s[12:13], s[4:5], 0x0
	v_lshrrev_b32_e32 v1, 4, v0
	s_mul_i32 s10, s10, 11
	v_add_lshl_u32 v2, v1, s10, 7
	s_waitcnt lgkmcnt(0)
	s_ashr_i32 s9, s11, 31
	s_mul_hi_u32 s14, s8, s11
	s_mul_i32 s9, s8, s9
	s_add_i32 s9, s14, s9
	s_mul_i32 s8, s8, s11
	s_lshl_b64 s[8:9], s[8:9], 1
	s_add_u32 s8, s12, s8
	v_ashrrev_i32_e32 v3, 31, v2
	s_addc_u32 s9, s13, s9
	v_lshlrev_b64 v[2:3], 1, v[2:3]
	v_and_b32_e32 v4, 15, v0
	v_mov_b32_e32 v5, s9
	v_add_co_u32_e32 v2, vcc, s8, v2
	v_addc_co_u32_e32 v3, vcc, v5, v3, vcc
	v_lshlrev_b32_e32 v4, 4, v4
	v_add_co_u32_e32 v2, vcc, v2, v4
	v_addc_co_u32_e32 v3, vcc, 0, v3, vcc
	global_load_dwordx4 v[2:5], v[2:3], off
	v_lshlrev_b32_e32 v6, 4, v0
	v_lshlrev_b32_e32 v0, 8, v0
	v_and_b32_e32 v6, 16, v6
	v_lshlrev_b32_e32 v1, 5, v1
	v_and_b32_e32 v0, 0xe00, v0
	v_or3_b32 v0, v0, v1, v6
	s_waitcnt vmcnt(0)
	ds_write_b128 v0, v[2:5]
.LBB804_9:
	s_or_b64 exec, exec, s[6:7]
	s_waitcnt lgkmcnt(0)
	s_add_u32 s8, s4, 0x90
	s_addc_u32 s9, s5, 0
	s_getpc_b64 s[4:5]
	s_add_u32 s4, s4, __PRETTY_FUNCTION__._Z39paged_attention_ll4mi_QKV_mfma16_kernelI14__hip_bfloat16hLN4vllm18Fp8KVCacheDataTypeE1ES0_Li32ELi128ELi256ELb1ELi11EL8MFMAType1EEvPKT_PKT0_S9_ifPKiSB_SB_iPKfiiiPfSE_PS4_PT2_iSD_SD_@rel32@lo+4
	s_addc_u32 s5, s5, __PRETTY_FUNCTION__._Z39paged_attention_ll4mi_QKV_mfma16_kernelI14__hip_bfloat16hLN4vllm18Fp8KVCacheDataTypeE1ES0_Li32ELi128ELi256ELb1ELi11EL8MFMAType1EEvPKT_PKT0_S9_ifPKiSB_SB_iPKfiiiPfSE_PS4_PT2_iSD_SD_@rel32@hi+12
	v_mov_b32_e32 v0, 0x288
	v_mov_b32_e32 v1, s4
	;; [unrolled: 1-line block ×3, first 2 shown]
	s_barrier
	s_getpc_b64 s[6:7]
	s_add_u32 s6, s6, __assert_fail@rel32@lo+4
	s_addc_u32 s7, s7, __assert_fail@rel32@hi+12
	s_swappc_b64 s[30:31], s[6:7]
	; divergent unreachable
.LBB804_10:
	s_endpgm
.LBB804_11:
	s_mov_b64 s[18:19], 0
	s_branch .LBB804_2
	.section	.rodata,"a",@progbits
	.p2align	6, 0x0
	.amdhsa_kernel _Z39paged_attention_ll4mi_QKV_mfma16_kernelI14__hip_bfloat16hLN4vllm18Fp8KVCacheDataTypeE1ES0_Li32ELi128ELi256ELb1ELi11EL8MFMAType1EEvPKT_PKT0_S9_ifPKiSB_SB_iPKfiiiPfSE_PS4_PT2_iSD_SD_
		.amdhsa_group_segment_fixed_size 8192
		.amdhsa_private_segment_fixed_size 64
		.amdhsa_kernarg_size 400
		.amdhsa_user_sgpr_count 8
		.amdhsa_user_sgpr_private_segment_buffer 1
		.amdhsa_user_sgpr_dispatch_ptr 0
		.amdhsa_user_sgpr_queue_ptr 0
		.amdhsa_user_sgpr_kernarg_segment_ptr 1
		.amdhsa_user_sgpr_dispatch_id 0
		.amdhsa_user_sgpr_flat_scratch_init 1
		.amdhsa_user_sgpr_kernarg_preload_length 0
		.amdhsa_user_sgpr_kernarg_preload_offset 0
		.amdhsa_user_sgpr_private_segment_size 0
		.amdhsa_uses_dynamic_stack 0
		.amdhsa_system_sgpr_private_segment_wavefront_offset 1
		.amdhsa_system_sgpr_workgroup_id_x 1
		.amdhsa_system_sgpr_workgroup_id_y 1
		.amdhsa_system_sgpr_workgroup_id_z 1
		.amdhsa_system_sgpr_workgroup_info 0
		.amdhsa_system_vgpr_workitem_id 0
		.amdhsa_next_free_vgpr 45
		.amdhsa_next_free_sgpr 34
		.amdhsa_accum_offset 44
		.amdhsa_reserve_vcc 1
		.amdhsa_reserve_flat_scratch 1
		.amdhsa_float_round_mode_32 0
		.amdhsa_float_round_mode_16_64 0
		.amdhsa_float_denorm_mode_32 3
		.amdhsa_float_denorm_mode_16_64 3
		.amdhsa_dx10_clamp 1
		.amdhsa_ieee_mode 1
		.amdhsa_fp16_overflow 0
		.amdhsa_tg_split 0
		.amdhsa_exception_fp_ieee_invalid_op 0
		.amdhsa_exception_fp_denorm_src 0
		.amdhsa_exception_fp_ieee_div_zero 0
		.amdhsa_exception_fp_ieee_overflow 0
		.amdhsa_exception_fp_ieee_underflow 0
		.amdhsa_exception_fp_ieee_inexact 0
		.amdhsa_exception_int_div_zero 0
	.end_amdhsa_kernel
	.section	.text._Z39paged_attention_ll4mi_QKV_mfma16_kernelI14__hip_bfloat16hLN4vllm18Fp8KVCacheDataTypeE1ES0_Li32ELi128ELi256ELb1ELi11EL8MFMAType1EEvPKT_PKT0_S9_ifPKiSB_SB_iPKfiiiPfSE_PS4_PT2_iSD_SD_,"axG",@progbits,_Z39paged_attention_ll4mi_QKV_mfma16_kernelI14__hip_bfloat16hLN4vllm18Fp8KVCacheDataTypeE1ES0_Li32ELi128ELi256ELb1ELi11EL8MFMAType1EEvPKT_PKT0_S9_ifPKiSB_SB_iPKfiiiPfSE_PS4_PT2_iSD_SD_,comdat
.Lfunc_end804:
	.size	_Z39paged_attention_ll4mi_QKV_mfma16_kernelI14__hip_bfloat16hLN4vllm18Fp8KVCacheDataTypeE1ES0_Li32ELi128ELi256ELb1ELi11EL8MFMAType1EEvPKT_PKT0_S9_ifPKiSB_SB_iPKfiiiPfSE_PS4_PT2_iSD_SD_, .Lfunc_end804-_Z39paged_attention_ll4mi_QKV_mfma16_kernelI14__hip_bfloat16hLN4vllm18Fp8KVCacheDataTypeE1ES0_Li32ELi128ELi256ELb1ELi11EL8MFMAType1EEvPKT_PKT0_S9_ifPKiSB_SB_iPKfiiiPfSE_PS4_PT2_iSD_SD_
                                        ; -- End function
	.section	.AMDGPU.csdata,"",@progbits
; Kernel info:
; codeLenInByte = 492
; NumSgprs: 40
; NumVgprs: 42
; NumAgprs: 1
; TotalNumVgprs: 45
; ScratchSize: 64
; MemoryBound: 0
; FloatMode: 240
; IeeeMode: 1
; LDSByteSize: 8192 bytes/workgroup (compile time only)
; SGPRBlocks: 4
; VGPRBlocks: 5
; NumSGPRsForWavesPerEU: 40
; NumVGPRsForWavesPerEU: 45
; AccumOffset: 44
; Occupancy: 8
; WaveLimiterHint : 1
; COMPUTE_PGM_RSRC2:SCRATCH_EN: 1
; COMPUTE_PGM_RSRC2:USER_SGPR: 8
; COMPUTE_PGM_RSRC2:TRAP_HANDLER: 0
; COMPUTE_PGM_RSRC2:TGID_X_EN: 1
; COMPUTE_PGM_RSRC2:TGID_Y_EN: 1
; COMPUTE_PGM_RSRC2:TGID_Z_EN: 1
; COMPUTE_PGM_RSRC2:TIDIG_COMP_CNT: 0
; COMPUTE_PGM_RSRC3_GFX90A:ACCUM_OFFSET: 10
; COMPUTE_PGM_RSRC3_GFX90A:TG_SPLIT: 0
	.section	.text._Z39paged_attention_ll4mi_QKV_mfma16_kernelI14__hip_bfloat16hLN4vllm18Fp8KVCacheDataTypeE1ES0_Li32ELi128ELi256ELb1ELi12EL8MFMAType1EEvPKT_PKT0_S9_ifPKiSB_SB_iPKfiiiPfSE_PS4_PT2_iSD_SD_,"axG",@progbits,_Z39paged_attention_ll4mi_QKV_mfma16_kernelI14__hip_bfloat16hLN4vllm18Fp8KVCacheDataTypeE1ES0_Li32ELi128ELi256ELb1ELi12EL8MFMAType1EEvPKT_PKT0_S9_ifPKiSB_SB_iPKfiiiPfSE_PS4_PT2_iSD_SD_,comdat
	.protected	_Z39paged_attention_ll4mi_QKV_mfma16_kernelI14__hip_bfloat16hLN4vllm18Fp8KVCacheDataTypeE1ES0_Li32ELi128ELi256ELb1ELi12EL8MFMAType1EEvPKT_PKT0_S9_ifPKiSB_SB_iPKfiiiPfSE_PS4_PT2_iSD_SD_ ; -- Begin function _Z39paged_attention_ll4mi_QKV_mfma16_kernelI14__hip_bfloat16hLN4vllm18Fp8KVCacheDataTypeE1ES0_Li32ELi128ELi256ELb1ELi12EL8MFMAType1EEvPKT_PKT0_S9_ifPKiSB_SB_iPKfiiiPfSE_PS4_PT2_iSD_SD_
	.globl	_Z39paged_attention_ll4mi_QKV_mfma16_kernelI14__hip_bfloat16hLN4vllm18Fp8KVCacheDataTypeE1ES0_Li32ELi128ELi256ELb1ELi12EL8MFMAType1EEvPKT_PKT0_S9_ifPKiSB_SB_iPKfiiiPfSE_PS4_PT2_iSD_SD_
	.p2align	8
	.type	_Z39paged_attention_ll4mi_QKV_mfma16_kernelI14__hip_bfloat16hLN4vllm18Fp8KVCacheDataTypeE1ES0_Li32ELi128ELi256ELb1ELi12EL8MFMAType1EEvPKT_PKT0_S9_ifPKiSB_SB_iPKfiiiPfSE_PS4_PT2_iSD_SD_,@function
_Z39paged_attention_ll4mi_QKV_mfma16_kernelI14__hip_bfloat16hLN4vllm18Fp8KVCacheDataTypeE1ES0_Li32ELi128ELi256ELb1ELi12EL8MFMAType1EEvPKT_PKT0_S9_ifPKiSB_SB_iPKfiiiPfSE_PS4_PT2_iSD_SD_: ; @_Z39paged_attention_ll4mi_QKV_mfma16_kernelI14__hip_bfloat16hLN4vllm18Fp8KVCacheDataTypeE1ES0_Li32ELi128ELi256ELb1ELi12EL8MFMAType1EEvPKT_PKT0_S9_ifPKiSB_SB_iPKfiiiPfSE_PS4_PT2_iSD_SD_
; %bb.0:
	s_load_dwordx2 s[12:13], s[4:5], 0x30
	s_add_u32 flat_scratch_lo, s6, s11
	s_addc_u32 flat_scratch_hi, s7, 0
	s_add_u32 s0, s0, s11
	s_addc_u32 s1, s1, 0
	s_waitcnt lgkmcnt(0)
	s_cmp_lg_u64 s[12:13], 0
	s_cselect_b64 s[14:15], -1, 0
	s_mov_b32 s6, s9
	s_mov_b64 s[16:17], 0
	s_and_b64 vcc, exec, s[14:15]
	s_mov_b32 s32, 0
	s_cbranch_vccz .LBB805_11
; %bb.1:
	s_add_i32 s18, s8, 1
	s_mov_b32 s19, 0
	s_lshl_b64 s[20:21], s[18:19], 2
	s_add_u32 s20, s12, s20
	s_mov_b32 s9, s19
	s_addc_u32 s21, s13, s21
	s_lshl_b64 s[18:19], s[8:9], 2
	s_add_u32 s18, s12, s18
	s_addc_u32 s19, s13, s19
	s_load_dword s7, s[20:21], 0x0
	s_load_dword s11, s[18:19], 0x0
	s_waitcnt lgkmcnt(0)
	s_sub_i32 s7, s7, s11
	s_cmp_eq_u32 s7, 1
	s_cselect_b64 s[18:19], -1, 0
	s_andn2_b64 vcc, exec, s[16:17]
	s_cbranch_vccnz .LBB805_3
.LBB805_2:
	s_mov_b32 s9, 0
	s_mov_b64 s[18:19], -1
.LBB805_3:
	s_andn2_b64 vcc, exec, s[18:19]
	s_cbranch_vccnz .LBB805_10
; %bb.4:
	s_load_dwordx2 s[18:19], s[4:5], 0x28
	s_lshl_b64 s[16:17], s[8:9], 2
	s_waitcnt lgkmcnt(0)
	s_add_u32 s18, s18, s16
	s_addc_u32 s19, s19, s17
	s_load_dword s7, s[18:19], 0x0
	s_lshl_b32 s6, s6, 8
	s_waitcnt lgkmcnt(0)
	s_cmp_ge_i32 s6, s7
	s_cbranch_scc1 .LBB805_10
; %bb.5:
	s_andn2_b64 vcc, exec, s[14:15]
	s_cbranch_vccnz .LBB805_7
; %bb.6:
	s_add_u32 s6, s12, s16
	s_addc_u32 s7, s13, s17
	s_load_dword s8, s[6:7], 0x0
.LBB805_7:
	s_movk_i32 s6, 0xc0
	v_cmp_gt_u32_e32 vcc, s6, v0
	s_and_saveexec_b64 s[6:7], vcc
	s_cbranch_execz .LBB805_9
; %bb.8:
	s_load_dword s11, s[4:5], 0x48
	s_load_dwordx2 s[12:13], s[4:5], 0x0
	v_lshrrev_b32_e32 v1, 4, v0
	s_mul_i32 s10, s10, 12
	v_add_lshl_u32 v2, v1, s10, 7
	s_waitcnt lgkmcnt(0)
	s_ashr_i32 s9, s11, 31
	s_mul_hi_u32 s14, s8, s11
	s_mul_i32 s9, s8, s9
	s_add_i32 s9, s14, s9
	s_mul_i32 s8, s8, s11
	s_lshl_b64 s[8:9], s[8:9], 1
	s_add_u32 s8, s12, s8
	v_ashrrev_i32_e32 v3, 31, v2
	s_addc_u32 s9, s13, s9
	v_lshlrev_b64 v[2:3], 1, v[2:3]
	v_and_b32_e32 v4, 15, v0
	v_mov_b32_e32 v5, s9
	v_add_co_u32_e32 v2, vcc, s8, v2
	v_addc_co_u32_e32 v3, vcc, v5, v3, vcc
	v_lshlrev_b32_e32 v4, 4, v4
	v_add_co_u32_e32 v2, vcc, v2, v4
	v_addc_co_u32_e32 v3, vcc, 0, v3, vcc
	global_load_dwordx4 v[2:5], v[2:3], off
	v_lshlrev_b32_e32 v6, 4, v0
	v_lshlrev_b32_e32 v0, 8, v0
	v_and_b32_e32 v6, 16, v6
	v_lshlrev_b32_e32 v1, 5, v1
	v_and_b32_e32 v0, 0xe00, v0
	v_or3_b32 v0, v0, v1, v6
	s_waitcnt vmcnt(0)
	ds_write_b128 v0, v[2:5]
.LBB805_9:
	s_or_b64 exec, exec, s[6:7]
	s_waitcnt lgkmcnt(0)
	s_add_u32 s8, s4, 0x90
	s_addc_u32 s9, s5, 0
	s_getpc_b64 s[4:5]
	s_add_u32 s4, s4, __PRETTY_FUNCTION__._Z39paged_attention_ll4mi_QKV_mfma16_kernelI14__hip_bfloat16hLN4vllm18Fp8KVCacheDataTypeE1ES0_Li32ELi128ELi256ELb1ELi12EL8MFMAType1EEvPKT_PKT0_S9_ifPKiSB_SB_iPKfiiiPfSE_PS4_PT2_iSD_SD_@rel32@lo+4
	s_addc_u32 s5, s5, __PRETTY_FUNCTION__._Z39paged_attention_ll4mi_QKV_mfma16_kernelI14__hip_bfloat16hLN4vllm18Fp8KVCacheDataTypeE1ES0_Li32ELi128ELi256ELb1ELi12EL8MFMAType1EEvPKT_PKT0_S9_ifPKiSB_SB_iPKfiiiPfSE_PS4_PT2_iSD_SD_@rel32@hi+12
	v_mov_b32_e32 v0, 0x288
	v_mov_b32_e32 v1, s4
	;; [unrolled: 1-line block ×3, first 2 shown]
	s_barrier
	s_getpc_b64 s[6:7]
	s_add_u32 s6, s6, __assert_fail@rel32@lo+4
	s_addc_u32 s7, s7, __assert_fail@rel32@hi+12
	s_swappc_b64 s[30:31], s[6:7]
	; divergent unreachable
.LBB805_10:
	s_endpgm
.LBB805_11:
	s_mov_b64 s[18:19], 0
	s_branch .LBB805_2
	.section	.rodata,"a",@progbits
	.p2align	6, 0x0
	.amdhsa_kernel _Z39paged_attention_ll4mi_QKV_mfma16_kernelI14__hip_bfloat16hLN4vllm18Fp8KVCacheDataTypeE1ES0_Li32ELi128ELi256ELb1ELi12EL8MFMAType1EEvPKT_PKT0_S9_ifPKiSB_SB_iPKfiiiPfSE_PS4_PT2_iSD_SD_
		.amdhsa_group_segment_fixed_size 8192
		.amdhsa_private_segment_fixed_size 64
		.amdhsa_kernarg_size 400
		.amdhsa_user_sgpr_count 8
		.amdhsa_user_sgpr_private_segment_buffer 1
		.amdhsa_user_sgpr_dispatch_ptr 0
		.amdhsa_user_sgpr_queue_ptr 0
		.amdhsa_user_sgpr_kernarg_segment_ptr 1
		.amdhsa_user_sgpr_dispatch_id 0
		.amdhsa_user_sgpr_flat_scratch_init 1
		.amdhsa_user_sgpr_kernarg_preload_length 0
		.amdhsa_user_sgpr_kernarg_preload_offset 0
		.amdhsa_user_sgpr_private_segment_size 0
		.amdhsa_uses_dynamic_stack 0
		.amdhsa_system_sgpr_private_segment_wavefront_offset 1
		.amdhsa_system_sgpr_workgroup_id_x 1
		.amdhsa_system_sgpr_workgroup_id_y 1
		.amdhsa_system_sgpr_workgroup_id_z 1
		.amdhsa_system_sgpr_workgroup_info 0
		.amdhsa_system_vgpr_workitem_id 0
		.amdhsa_next_free_vgpr 45
		.amdhsa_next_free_sgpr 34
		.amdhsa_accum_offset 44
		.amdhsa_reserve_vcc 1
		.amdhsa_reserve_flat_scratch 1
		.amdhsa_float_round_mode_32 0
		.amdhsa_float_round_mode_16_64 0
		.amdhsa_float_denorm_mode_32 3
		.amdhsa_float_denorm_mode_16_64 3
		.amdhsa_dx10_clamp 1
		.amdhsa_ieee_mode 1
		.amdhsa_fp16_overflow 0
		.amdhsa_tg_split 0
		.amdhsa_exception_fp_ieee_invalid_op 0
		.amdhsa_exception_fp_denorm_src 0
		.amdhsa_exception_fp_ieee_div_zero 0
		.amdhsa_exception_fp_ieee_overflow 0
		.amdhsa_exception_fp_ieee_underflow 0
		.amdhsa_exception_fp_ieee_inexact 0
		.amdhsa_exception_int_div_zero 0
	.end_amdhsa_kernel
	.section	.text._Z39paged_attention_ll4mi_QKV_mfma16_kernelI14__hip_bfloat16hLN4vllm18Fp8KVCacheDataTypeE1ES0_Li32ELi128ELi256ELb1ELi12EL8MFMAType1EEvPKT_PKT0_S9_ifPKiSB_SB_iPKfiiiPfSE_PS4_PT2_iSD_SD_,"axG",@progbits,_Z39paged_attention_ll4mi_QKV_mfma16_kernelI14__hip_bfloat16hLN4vllm18Fp8KVCacheDataTypeE1ES0_Li32ELi128ELi256ELb1ELi12EL8MFMAType1EEvPKT_PKT0_S9_ifPKiSB_SB_iPKfiiiPfSE_PS4_PT2_iSD_SD_,comdat
.Lfunc_end805:
	.size	_Z39paged_attention_ll4mi_QKV_mfma16_kernelI14__hip_bfloat16hLN4vllm18Fp8KVCacheDataTypeE1ES0_Li32ELi128ELi256ELb1ELi12EL8MFMAType1EEvPKT_PKT0_S9_ifPKiSB_SB_iPKfiiiPfSE_PS4_PT2_iSD_SD_, .Lfunc_end805-_Z39paged_attention_ll4mi_QKV_mfma16_kernelI14__hip_bfloat16hLN4vllm18Fp8KVCacheDataTypeE1ES0_Li32ELi128ELi256ELb1ELi12EL8MFMAType1EEvPKT_PKT0_S9_ifPKiSB_SB_iPKfiiiPfSE_PS4_PT2_iSD_SD_
                                        ; -- End function
	.section	.AMDGPU.csdata,"",@progbits
; Kernel info:
; codeLenInByte = 492
; NumSgprs: 40
; NumVgprs: 42
; NumAgprs: 1
; TotalNumVgprs: 45
; ScratchSize: 64
; MemoryBound: 0
; FloatMode: 240
; IeeeMode: 1
; LDSByteSize: 8192 bytes/workgroup (compile time only)
; SGPRBlocks: 4
; VGPRBlocks: 5
; NumSGPRsForWavesPerEU: 40
; NumVGPRsForWavesPerEU: 45
; AccumOffset: 44
; Occupancy: 8
; WaveLimiterHint : 1
; COMPUTE_PGM_RSRC2:SCRATCH_EN: 1
; COMPUTE_PGM_RSRC2:USER_SGPR: 8
; COMPUTE_PGM_RSRC2:TRAP_HANDLER: 0
; COMPUTE_PGM_RSRC2:TGID_X_EN: 1
; COMPUTE_PGM_RSRC2:TGID_Y_EN: 1
; COMPUTE_PGM_RSRC2:TGID_Z_EN: 1
; COMPUTE_PGM_RSRC2:TIDIG_COMP_CNT: 0
; COMPUTE_PGM_RSRC3_GFX90A:ACCUM_OFFSET: 10
; COMPUTE_PGM_RSRC3_GFX90A:TG_SPLIT: 0
	.section	.text._Z39paged_attention_ll4mi_QKV_mfma16_kernelI14__hip_bfloat16hLN4vllm18Fp8KVCacheDataTypeE1ES0_Li32ELi128ELi256ELb1ELi13EL8MFMAType1EEvPKT_PKT0_S9_ifPKiSB_SB_iPKfiiiPfSE_PS4_PT2_iSD_SD_,"axG",@progbits,_Z39paged_attention_ll4mi_QKV_mfma16_kernelI14__hip_bfloat16hLN4vllm18Fp8KVCacheDataTypeE1ES0_Li32ELi128ELi256ELb1ELi13EL8MFMAType1EEvPKT_PKT0_S9_ifPKiSB_SB_iPKfiiiPfSE_PS4_PT2_iSD_SD_,comdat
	.protected	_Z39paged_attention_ll4mi_QKV_mfma16_kernelI14__hip_bfloat16hLN4vllm18Fp8KVCacheDataTypeE1ES0_Li32ELi128ELi256ELb1ELi13EL8MFMAType1EEvPKT_PKT0_S9_ifPKiSB_SB_iPKfiiiPfSE_PS4_PT2_iSD_SD_ ; -- Begin function _Z39paged_attention_ll4mi_QKV_mfma16_kernelI14__hip_bfloat16hLN4vllm18Fp8KVCacheDataTypeE1ES0_Li32ELi128ELi256ELb1ELi13EL8MFMAType1EEvPKT_PKT0_S9_ifPKiSB_SB_iPKfiiiPfSE_PS4_PT2_iSD_SD_
	.globl	_Z39paged_attention_ll4mi_QKV_mfma16_kernelI14__hip_bfloat16hLN4vllm18Fp8KVCacheDataTypeE1ES0_Li32ELi128ELi256ELb1ELi13EL8MFMAType1EEvPKT_PKT0_S9_ifPKiSB_SB_iPKfiiiPfSE_PS4_PT2_iSD_SD_
	.p2align	8
	.type	_Z39paged_attention_ll4mi_QKV_mfma16_kernelI14__hip_bfloat16hLN4vllm18Fp8KVCacheDataTypeE1ES0_Li32ELi128ELi256ELb1ELi13EL8MFMAType1EEvPKT_PKT0_S9_ifPKiSB_SB_iPKfiiiPfSE_PS4_PT2_iSD_SD_,@function
_Z39paged_attention_ll4mi_QKV_mfma16_kernelI14__hip_bfloat16hLN4vllm18Fp8KVCacheDataTypeE1ES0_Li32ELi128ELi256ELb1ELi13EL8MFMAType1EEvPKT_PKT0_S9_ifPKiSB_SB_iPKfiiiPfSE_PS4_PT2_iSD_SD_: ; @_Z39paged_attention_ll4mi_QKV_mfma16_kernelI14__hip_bfloat16hLN4vllm18Fp8KVCacheDataTypeE1ES0_Li32ELi128ELi256ELb1ELi13EL8MFMAType1EEvPKT_PKT0_S9_ifPKiSB_SB_iPKfiiiPfSE_PS4_PT2_iSD_SD_
; %bb.0:
	s_load_dwordx2 s[12:13], s[4:5], 0x30
	s_add_u32 flat_scratch_lo, s6, s11
	s_addc_u32 flat_scratch_hi, s7, 0
	s_add_u32 s0, s0, s11
	s_addc_u32 s1, s1, 0
	s_waitcnt lgkmcnt(0)
	s_cmp_lg_u64 s[12:13], 0
	s_cselect_b64 s[14:15], -1, 0
	s_mov_b32 s6, s9
	s_mov_b64 s[16:17], 0
	s_and_b64 vcc, exec, s[14:15]
	s_mov_b32 s32, 0
	s_cbranch_vccz .LBB806_11
; %bb.1:
	s_add_i32 s18, s8, 1
	s_mov_b32 s19, 0
	s_lshl_b64 s[20:21], s[18:19], 2
	s_add_u32 s20, s12, s20
	s_mov_b32 s9, s19
	s_addc_u32 s21, s13, s21
	s_lshl_b64 s[18:19], s[8:9], 2
	s_add_u32 s18, s12, s18
	s_addc_u32 s19, s13, s19
	s_load_dword s7, s[20:21], 0x0
	s_load_dword s11, s[18:19], 0x0
	s_waitcnt lgkmcnt(0)
	s_sub_i32 s7, s7, s11
	s_cmp_eq_u32 s7, 1
	s_cselect_b64 s[18:19], -1, 0
	s_andn2_b64 vcc, exec, s[16:17]
	s_cbranch_vccnz .LBB806_3
.LBB806_2:
	s_mov_b32 s9, 0
	s_mov_b64 s[18:19], -1
.LBB806_3:
	s_andn2_b64 vcc, exec, s[18:19]
	s_cbranch_vccnz .LBB806_10
; %bb.4:
	s_load_dwordx2 s[18:19], s[4:5], 0x28
	s_lshl_b64 s[16:17], s[8:9], 2
	s_waitcnt lgkmcnt(0)
	s_add_u32 s18, s18, s16
	s_addc_u32 s19, s19, s17
	s_load_dword s7, s[18:19], 0x0
	s_lshl_b32 s6, s6, 8
	s_waitcnt lgkmcnt(0)
	s_cmp_ge_i32 s6, s7
	s_cbranch_scc1 .LBB806_10
; %bb.5:
	s_andn2_b64 vcc, exec, s[14:15]
	s_cbranch_vccnz .LBB806_7
; %bb.6:
	s_add_u32 s6, s12, s16
	s_addc_u32 s7, s13, s17
	s_load_dword s8, s[6:7], 0x0
.LBB806_7:
	s_movk_i32 s6, 0xd0
	v_cmp_gt_u32_e32 vcc, s6, v0
	s_and_saveexec_b64 s[6:7], vcc
	s_cbranch_execz .LBB806_9
; %bb.8:
	s_load_dword s11, s[4:5], 0x48
	s_load_dwordx2 s[12:13], s[4:5], 0x0
	v_lshrrev_b32_e32 v1, 4, v0
	s_mul_i32 s10, s10, 13
	v_add_lshl_u32 v2, v1, s10, 7
	s_waitcnt lgkmcnt(0)
	s_ashr_i32 s9, s11, 31
	s_mul_hi_u32 s14, s8, s11
	s_mul_i32 s9, s8, s9
	s_add_i32 s9, s14, s9
	s_mul_i32 s8, s8, s11
	s_lshl_b64 s[8:9], s[8:9], 1
	s_add_u32 s8, s12, s8
	v_ashrrev_i32_e32 v3, 31, v2
	s_addc_u32 s9, s13, s9
	v_lshlrev_b64 v[2:3], 1, v[2:3]
	v_and_b32_e32 v4, 15, v0
	v_mov_b32_e32 v5, s9
	v_add_co_u32_e32 v2, vcc, s8, v2
	v_addc_co_u32_e32 v3, vcc, v5, v3, vcc
	v_lshlrev_b32_e32 v4, 4, v4
	v_add_co_u32_e32 v2, vcc, v2, v4
	v_addc_co_u32_e32 v3, vcc, 0, v3, vcc
	global_load_dwordx4 v[2:5], v[2:3], off
	v_lshlrev_b32_e32 v6, 4, v0
	v_lshlrev_b32_e32 v0, 8, v0
	v_and_b32_e32 v6, 16, v6
	v_lshlrev_b32_e32 v1, 5, v1
	v_and_b32_e32 v0, 0xe00, v0
	v_or3_b32 v0, v0, v1, v6
	s_waitcnt vmcnt(0)
	ds_write_b128 v0, v[2:5]
.LBB806_9:
	s_or_b64 exec, exec, s[6:7]
	s_waitcnt lgkmcnt(0)
	s_add_u32 s8, s4, 0x90
	s_addc_u32 s9, s5, 0
	s_getpc_b64 s[4:5]
	s_add_u32 s4, s4, __PRETTY_FUNCTION__._Z39paged_attention_ll4mi_QKV_mfma16_kernelI14__hip_bfloat16hLN4vllm18Fp8KVCacheDataTypeE1ES0_Li32ELi128ELi256ELb1ELi13EL8MFMAType1EEvPKT_PKT0_S9_ifPKiSB_SB_iPKfiiiPfSE_PS4_PT2_iSD_SD_@rel32@lo+4
	s_addc_u32 s5, s5, __PRETTY_FUNCTION__._Z39paged_attention_ll4mi_QKV_mfma16_kernelI14__hip_bfloat16hLN4vllm18Fp8KVCacheDataTypeE1ES0_Li32ELi128ELi256ELb1ELi13EL8MFMAType1EEvPKT_PKT0_S9_ifPKiSB_SB_iPKfiiiPfSE_PS4_PT2_iSD_SD_@rel32@hi+12
	v_mov_b32_e32 v0, 0x288
	v_mov_b32_e32 v1, s4
	;; [unrolled: 1-line block ×3, first 2 shown]
	s_barrier
	s_getpc_b64 s[6:7]
	s_add_u32 s6, s6, __assert_fail@rel32@lo+4
	s_addc_u32 s7, s7, __assert_fail@rel32@hi+12
	s_swappc_b64 s[30:31], s[6:7]
	; divergent unreachable
.LBB806_10:
	s_endpgm
.LBB806_11:
	s_mov_b64 s[18:19], 0
	s_branch .LBB806_2
	.section	.rodata,"a",@progbits
	.p2align	6, 0x0
	.amdhsa_kernel _Z39paged_attention_ll4mi_QKV_mfma16_kernelI14__hip_bfloat16hLN4vllm18Fp8KVCacheDataTypeE1ES0_Li32ELi128ELi256ELb1ELi13EL8MFMAType1EEvPKT_PKT0_S9_ifPKiSB_SB_iPKfiiiPfSE_PS4_PT2_iSD_SD_
		.amdhsa_group_segment_fixed_size 8192
		.amdhsa_private_segment_fixed_size 64
		.amdhsa_kernarg_size 400
		.amdhsa_user_sgpr_count 8
		.amdhsa_user_sgpr_private_segment_buffer 1
		.amdhsa_user_sgpr_dispatch_ptr 0
		.amdhsa_user_sgpr_queue_ptr 0
		.amdhsa_user_sgpr_kernarg_segment_ptr 1
		.amdhsa_user_sgpr_dispatch_id 0
		.amdhsa_user_sgpr_flat_scratch_init 1
		.amdhsa_user_sgpr_kernarg_preload_length 0
		.amdhsa_user_sgpr_kernarg_preload_offset 0
		.amdhsa_user_sgpr_private_segment_size 0
		.amdhsa_uses_dynamic_stack 0
		.amdhsa_system_sgpr_private_segment_wavefront_offset 1
		.amdhsa_system_sgpr_workgroup_id_x 1
		.amdhsa_system_sgpr_workgroup_id_y 1
		.amdhsa_system_sgpr_workgroup_id_z 1
		.amdhsa_system_sgpr_workgroup_info 0
		.amdhsa_system_vgpr_workitem_id 0
		.amdhsa_next_free_vgpr 45
		.amdhsa_next_free_sgpr 34
		.amdhsa_accum_offset 44
		.amdhsa_reserve_vcc 1
		.amdhsa_reserve_flat_scratch 1
		.amdhsa_float_round_mode_32 0
		.amdhsa_float_round_mode_16_64 0
		.amdhsa_float_denorm_mode_32 3
		.amdhsa_float_denorm_mode_16_64 3
		.amdhsa_dx10_clamp 1
		.amdhsa_ieee_mode 1
		.amdhsa_fp16_overflow 0
		.amdhsa_tg_split 0
		.amdhsa_exception_fp_ieee_invalid_op 0
		.amdhsa_exception_fp_denorm_src 0
		.amdhsa_exception_fp_ieee_div_zero 0
		.amdhsa_exception_fp_ieee_overflow 0
		.amdhsa_exception_fp_ieee_underflow 0
		.amdhsa_exception_fp_ieee_inexact 0
		.amdhsa_exception_int_div_zero 0
	.end_amdhsa_kernel
	.section	.text._Z39paged_attention_ll4mi_QKV_mfma16_kernelI14__hip_bfloat16hLN4vllm18Fp8KVCacheDataTypeE1ES0_Li32ELi128ELi256ELb1ELi13EL8MFMAType1EEvPKT_PKT0_S9_ifPKiSB_SB_iPKfiiiPfSE_PS4_PT2_iSD_SD_,"axG",@progbits,_Z39paged_attention_ll4mi_QKV_mfma16_kernelI14__hip_bfloat16hLN4vllm18Fp8KVCacheDataTypeE1ES0_Li32ELi128ELi256ELb1ELi13EL8MFMAType1EEvPKT_PKT0_S9_ifPKiSB_SB_iPKfiiiPfSE_PS4_PT2_iSD_SD_,comdat
.Lfunc_end806:
	.size	_Z39paged_attention_ll4mi_QKV_mfma16_kernelI14__hip_bfloat16hLN4vllm18Fp8KVCacheDataTypeE1ES0_Li32ELi128ELi256ELb1ELi13EL8MFMAType1EEvPKT_PKT0_S9_ifPKiSB_SB_iPKfiiiPfSE_PS4_PT2_iSD_SD_, .Lfunc_end806-_Z39paged_attention_ll4mi_QKV_mfma16_kernelI14__hip_bfloat16hLN4vllm18Fp8KVCacheDataTypeE1ES0_Li32ELi128ELi256ELb1ELi13EL8MFMAType1EEvPKT_PKT0_S9_ifPKiSB_SB_iPKfiiiPfSE_PS4_PT2_iSD_SD_
                                        ; -- End function
	.section	.AMDGPU.csdata,"",@progbits
; Kernel info:
; codeLenInByte = 492
; NumSgprs: 40
; NumVgprs: 42
; NumAgprs: 1
; TotalNumVgprs: 45
; ScratchSize: 64
; MemoryBound: 0
; FloatMode: 240
; IeeeMode: 1
; LDSByteSize: 8192 bytes/workgroup (compile time only)
; SGPRBlocks: 4
; VGPRBlocks: 5
; NumSGPRsForWavesPerEU: 40
; NumVGPRsForWavesPerEU: 45
; AccumOffset: 44
; Occupancy: 8
; WaveLimiterHint : 1
; COMPUTE_PGM_RSRC2:SCRATCH_EN: 1
; COMPUTE_PGM_RSRC2:USER_SGPR: 8
; COMPUTE_PGM_RSRC2:TRAP_HANDLER: 0
; COMPUTE_PGM_RSRC2:TGID_X_EN: 1
; COMPUTE_PGM_RSRC2:TGID_Y_EN: 1
; COMPUTE_PGM_RSRC2:TGID_Z_EN: 1
; COMPUTE_PGM_RSRC2:TIDIG_COMP_CNT: 0
; COMPUTE_PGM_RSRC3_GFX90A:ACCUM_OFFSET: 10
; COMPUTE_PGM_RSRC3_GFX90A:TG_SPLIT: 0
	.section	.text._Z39paged_attention_ll4mi_QKV_mfma16_kernelI14__hip_bfloat16hLN4vllm18Fp8KVCacheDataTypeE1ES0_Li32ELi128ELi256ELb1ELi14EL8MFMAType1EEvPKT_PKT0_S9_ifPKiSB_SB_iPKfiiiPfSE_PS4_PT2_iSD_SD_,"axG",@progbits,_Z39paged_attention_ll4mi_QKV_mfma16_kernelI14__hip_bfloat16hLN4vllm18Fp8KVCacheDataTypeE1ES0_Li32ELi128ELi256ELb1ELi14EL8MFMAType1EEvPKT_PKT0_S9_ifPKiSB_SB_iPKfiiiPfSE_PS4_PT2_iSD_SD_,comdat
	.protected	_Z39paged_attention_ll4mi_QKV_mfma16_kernelI14__hip_bfloat16hLN4vllm18Fp8KVCacheDataTypeE1ES0_Li32ELi128ELi256ELb1ELi14EL8MFMAType1EEvPKT_PKT0_S9_ifPKiSB_SB_iPKfiiiPfSE_PS4_PT2_iSD_SD_ ; -- Begin function _Z39paged_attention_ll4mi_QKV_mfma16_kernelI14__hip_bfloat16hLN4vllm18Fp8KVCacheDataTypeE1ES0_Li32ELi128ELi256ELb1ELi14EL8MFMAType1EEvPKT_PKT0_S9_ifPKiSB_SB_iPKfiiiPfSE_PS4_PT2_iSD_SD_
	.globl	_Z39paged_attention_ll4mi_QKV_mfma16_kernelI14__hip_bfloat16hLN4vllm18Fp8KVCacheDataTypeE1ES0_Li32ELi128ELi256ELb1ELi14EL8MFMAType1EEvPKT_PKT0_S9_ifPKiSB_SB_iPKfiiiPfSE_PS4_PT2_iSD_SD_
	.p2align	8
	.type	_Z39paged_attention_ll4mi_QKV_mfma16_kernelI14__hip_bfloat16hLN4vllm18Fp8KVCacheDataTypeE1ES0_Li32ELi128ELi256ELb1ELi14EL8MFMAType1EEvPKT_PKT0_S9_ifPKiSB_SB_iPKfiiiPfSE_PS4_PT2_iSD_SD_,@function
_Z39paged_attention_ll4mi_QKV_mfma16_kernelI14__hip_bfloat16hLN4vllm18Fp8KVCacheDataTypeE1ES0_Li32ELi128ELi256ELb1ELi14EL8MFMAType1EEvPKT_PKT0_S9_ifPKiSB_SB_iPKfiiiPfSE_PS4_PT2_iSD_SD_: ; @_Z39paged_attention_ll4mi_QKV_mfma16_kernelI14__hip_bfloat16hLN4vllm18Fp8KVCacheDataTypeE1ES0_Li32ELi128ELi256ELb1ELi14EL8MFMAType1EEvPKT_PKT0_S9_ifPKiSB_SB_iPKfiiiPfSE_PS4_PT2_iSD_SD_
; %bb.0:
	s_load_dwordx2 s[12:13], s[4:5], 0x30
	s_add_u32 flat_scratch_lo, s6, s11
	s_addc_u32 flat_scratch_hi, s7, 0
	s_add_u32 s0, s0, s11
	s_addc_u32 s1, s1, 0
	s_waitcnt lgkmcnt(0)
	s_cmp_lg_u64 s[12:13], 0
	s_cselect_b64 s[14:15], -1, 0
	s_mov_b32 s6, s9
	s_mov_b64 s[16:17], 0
	s_and_b64 vcc, exec, s[14:15]
	s_mov_b32 s32, 0
	s_cbranch_vccz .LBB807_11
; %bb.1:
	s_add_i32 s18, s8, 1
	s_mov_b32 s19, 0
	s_lshl_b64 s[20:21], s[18:19], 2
	s_add_u32 s20, s12, s20
	s_mov_b32 s9, s19
	s_addc_u32 s21, s13, s21
	s_lshl_b64 s[18:19], s[8:9], 2
	s_add_u32 s18, s12, s18
	s_addc_u32 s19, s13, s19
	s_load_dword s7, s[20:21], 0x0
	s_load_dword s11, s[18:19], 0x0
	s_waitcnt lgkmcnt(0)
	s_sub_i32 s7, s7, s11
	s_cmp_eq_u32 s7, 1
	s_cselect_b64 s[18:19], -1, 0
	s_andn2_b64 vcc, exec, s[16:17]
	s_cbranch_vccnz .LBB807_3
.LBB807_2:
	s_mov_b32 s9, 0
	s_mov_b64 s[18:19], -1
.LBB807_3:
	s_andn2_b64 vcc, exec, s[18:19]
	s_cbranch_vccnz .LBB807_10
; %bb.4:
	s_load_dwordx2 s[18:19], s[4:5], 0x28
	s_lshl_b64 s[16:17], s[8:9], 2
	s_waitcnt lgkmcnt(0)
	s_add_u32 s18, s18, s16
	s_addc_u32 s19, s19, s17
	s_load_dword s7, s[18:19], 0x0
	s_lshl_b32 s6, s6, 8
	s_waitcnt lgkmcnt(0)
	s_cmp_ge_i32 s6, s7
	s_cbranch_scc1 .LBB807_10
; %bb.5:
	s_andn2_b64 vcc, exec, s[14:15]
	s_cbranch_vccnz .LBB807_7
; %bb.6:
	s_add_u32 s6, s12, s16
	s_addc_u32 s7, s13, s17
	s_load_dword s8, s[6:7], 0x0
.LBB807_7:
	s_movk_i32 s6, 0xe0
	v_cmp_gt_u32_e32 vcc, s6, v0
	s_and_saveexec_b64 s[6:7], vcc
	s_cbranch_execz .LBB807_9
; %bb.8:
	s_load_dword s11, s[4:5], 0x48
	s_load_dwordx2 s[12:13], s[4:5], 0x0
	v_lshrrev_b32_e32 v1, 4, v0
	s_mul_i32 s10, s10, 14
	v_add_lshl_u32 v2, v1, s10, 7
	s_waitcnt lgkmcnt(0)
	s_ashr_i32 s9, s11, 31
	s_mul_hi_u32 s14, s8, s11
	s_mul_i32 s9, s8, s9
	s_add_i32 s9, s14, s9
	s_mul_i32 s8, s8, s11
	s_lshl_b64 s[8:9], s[8:9], 1
	s_add_u32 s8, s12, s8
	v_ashrrev_i32_e32 v3, 31, v2
	s_addc_u32 s9, s13, s9
	v_lshlrev_b64 v[2:3], 1, v[2:3]
	v_and_b32_e32 v4, 15, v0
	v_mov_b32_e32 v5, s9
	v_add_co_u32_e32 v2, vcc, s8, v2
	v_addc_co_u32_e32 v3, vcc, v5, v3, vcc
	v_lshlrev_b32_e32 v4, 4, v4
	v_add_co_u32_e32 v2, vcc, v2, v4
	v_addc_co_u32_e32 v3, vcc, 0, v3, vcc
	global_load_dwordx4 v[2:5], v[2:3], off
	v_lshlrev_b32_e32 v6, 4, v0
	v_lshlrev_b32_e32 v0, 8, v0
	v_and_b32_e32 v6, 16, v6
	v_lshlrev_b32_e32 v1, 5, v1
	v_and_b32_e32 v0, 0xe00, v0
	v_or3_b32 v0, v0, v1, v6
	s_waitcnt vmcnt(0)
	ds_write_b128 v0, v[2:5]
.LBB807_9:
	s_or_b64 exec, exec, s[6:7]
	s_waitcnt lgkmcnt(0)
	s_add_u32 s8, s4, 0x90
	s_addc_u32 s9, s5, 0
	s_getpc_b64 s[4:5]
	s_add_u32 s4, s4, __PRETTY_FUNCTION__._Z39paged_attention_ll4mi_QKV_mfma16_kernelI14__hip_bfloat16hLN4vllm18Fp8KVCacheDataTypeE1ES0_Li32ELi128ELi256ELb1ELi14EL8MFMAType1EEvPKT_PKT0_S9_ifPKiSB_SB_iPKfiiiPfSE_PS4_PT2_iSD_SD_@rel32@lo+4
	s_addc_u32 s5, s5, __PRETTY_FUNCTION__._Z39paged_attention_ll4mi_QKV_mfma16_kernelI14__hip_bfloat16hLN4vllm18Fp8KVCacheDataTypeE1ES0_Li32ELi128ELi256ELb1ELi14EL8MFMAType1EEvPKT_PKT0_S9_ifPKiSB_SB_iPKfiiiPfSE_PS4_PT2_iSD_SD_@rel32@hi+12
	v_mov_b32_e32 v0, 0x288
	v_mov_b32_e32 v1, s4
	;; [unrolled: 1-line block ×3, first 2 shown]
	s_barrier
	s_getpc_b64 s[6:7]
	s_add_u32 s6, s6, __assert_fail@rel32@lo+4
	s_addc_u32 s7, s7, __assert_fail@rel32@hi+12
	s_swappc_b64 s[30:31], s[6:7]
	; divergent unreachable
.LBB807_10:
	s_endpgm
.LBB807_11:
	s_mov_b64 s[18:19], 0
	s_branch .LBB807_2
	.section	.rodata,"a",@progbits
	.p2align	6, 0x0
	.amdhsa_kernel _Z39paged_attention_ll4mi_QKV_mfma16_kernelI14__hip_bfloat16hLN4vllm18Fp8KVCacheDataTypeE1ES0_Li32ELi128ELi256ELb1ELi14EL8MFMAType1EEvPKT_PKT0_S9_ifPKiSB_SB_iPKfiiiPfSE_PS4_PT2_iSD_SD_
		.amdhsa_group_segment_fixed_size 8192
		.amdhsa_private_segment_fixed_size 64
		.amdhsa_kernarg_size 400
		.amdhsa_user_sgpr_count 8
		.amdhsa_user_sgpr_private_segment_buffer 1
		.amdhsa_user_sgpr_dispatch_ptr 0
		.amdhsa_user_sgpr_queue_ptr 0
		.amdhsa_user_sgpr_kernarg_segment_ptr 1
		.amdhsa_user_sgpr_dispatch_id 0
		.amdhsa_user_sgpr_flat_scratch_init 1
		.amdhsa_user_sgpr_kernarg_preload_length 0
		.amdhsa_user_sgpr_kernarg_preload_offset 0
		.amdhsa_user_sgpr_private_segment_size 0
		.amdhsa_uses_dynamic_stack 0
		.amdhsa_system_sgpr_private_segment_wavefront_offset 1
		.amdhsa_system_sgpr_workgroup_id_x 1
		.amdhsa_system_sgpr_workgroup_id_y 1
		.amdhsa_system_sgpr_workgroup_id_z 1
		.amdhsa_system_sgpr_workgroup_info 0
		.amdhsa_system_vgpr_workitem_id 0
		.amdhsa_next_free_vgpr 45
		.amdhsa_next_free_sgpr 34
		.amdhsa_accum_offset 44
		.amdhsa_reserve_vcc 1
		.amdhsa_reserve_flat_scratch 1
		.amdhsa_float_round_mode_32 0
		.amdhsa_float_round_mode_16_64 0
		.amdhsa_float_denorm_mode_32 3
		.amdhsa_float_denorm_mode_16_64 3
		.amdhsa_dx10_clamp 1
		.amdhsa_ieee_mode 1
		.amdhsa_fp16_overflow 0
		.amdhsa_tg_split 0
		.amdhsa_exception_fp_ieee_invalid_op 0
		.amdhsa_exception_fp_denorm_src 0
		.amdhsa_exception_fp_ieee_div_zero 0
		.amdhsa_exception_fp_ieee_overflow 0
		.amdhsa_exception_fp_ieee_underflow 0
		.amdhsa_exception_fp_ieee_inexact 0
		.amdhsa_exception_int_div_zero 0
	.end_amdhsa_kernel
	.section	.text._Z39paged_attention_ll4mi_QKV_mfma16_kernelI14__hip_bfloat16hLN4vllm18Fp8KVCacheDataTypeE1ES0_Li32ELi128ELi256ELb1ELi14EL8MFMAType1EEvPKT_PKT0_S9_ifPKiSB_SB_iPKfiiiPfSE_PS4_PT2_iSD_SD_,"axG",@progbits,_Z39paged_attention_ll4mi_QKV_mfma16_kernelI14__hip_bfloat16hLN4vllm18Fp8KVCacheDataTypeE1ES0_Li32ELi128ELi256ELb1ELi14EL8MFMAType1EEvPKT_PKT0_S9_ifPKiSB_SB_iPKfiiiPfSE_PS4_PT2_iSD_SD_,comdat
.Lfunc_end807:
	.size	_Z39paged_attention_ll4mi_QKV_mfma16_kernelI14__hip_bfloat16hLN4vllm18Fp8KVCacheDataTypeE1ES0_Li32ELi128ELi256ELb1ELi14EL8MFMAType1EEvPKT_PKT0_S9_ifPKiSB_SB_iPKfiiiPfSE_PS4_PT2_iSD_SD_, .Lfunc_end807-_Z39paged_attention_ll4mi_QKV_mfma16_kernelI14__hip_bfloat16hLN4vllm18Fp8KVCacheDataTypeE1ES0_Li32ELi128ELi256ELb1ELi14EL8MFMAType1EEvPKT_PKT0_S9_ifPKiSB_SB_iPKfiiiPfSE_PS4_PT2_iSD_SD_
                                        ; -- End function
	.section	.AMDGPU.csdata,"",@progbits
; Kernel info:
; codeLenInByte = 492
; NumSgprs: 40
; NumVgprs: 42
; NumAgprs: 1
; TotalNumVgprs: 45
; ScratchSize: 64
; MemoryBound: 0
; FloatMode: 240
; IeeeMode: 1
; LDSByteSize: 8192 bytes/workgroup (compile time only)
; SGPRBlocks: 4
; VGPRBlocks: 5
; NumSGPRsForWavesPerEU: 40
; NumVGPRsForWavesPerEU: 45
; AccumOffset: 44
; Occupancy: 8
; WaveLimiterHint : 1
; COMPUTE_PGM_RSRC2:SCRATCH_EN: 1
; COMPUTE_PGM_RSRC2:USER_SGPR: 8
; COMPUTE_PGM_RSRC2:TRAP_HANDLER: 0
; COMPUTE_PGM_RSRC2:TGID_X_EN: 1
; COMPUTE_PGM_RSRC2:TGID_Y_EN: 1
; COMPUTE_PGM_RSRC2:TGID_Z_EN: 1
; COMPUTE_PGM_RSRC2:TIDIG_COMP_CNT: 0
; COMPUTE_PGM_RSRC3_GFX90A:ACCUM_OFFSET: 10
; COMPUTE_PGM_RSRC3_GFX90A:TG_SPLIT: 0
	.section	.text._Z39paged_attention_ll4mi_QKV_mfma16_kernelI14__hip_bfloat16hLN4vllm18Fp8KVCacheDataTypeE1ES0_Li32ELi128ELi256ELb1ELi15EL8MFMAType1EEvPKT_PKT0_S9_ifPKiSB_SB_iPKfiiiPfSE_PS4_PT2_iSD_SD_,"axG",@progbits,_Z39paged_attention_ll4mi_QKV_mfma16_kernelI14__hip_bfloat16hLN4vllm18Fp8KVCacheDataTypeE1ES0_Li32ELi128ELi256ELb1ELi15EL8MFMAType1EEvPKT_PKT0_S9_ifPKiSB_SB_iPKfiiiPfSE_PS4_PT2_iSD_SD_,comdat
	.protected	_Z39paged_attention_ll4mi_QKV_mfma16_kernelI14__hip_bfloat16hLN4vllm18Fp8KVCacheDataTypeE1ES0_Li32ELi128ELi256ELb1ELi15EL8MFMAType1EEvPKT_PKT0_S9_ifPKiSB_SB_iPKfiiiPfSE_PS4_PT2_iSD_SD_ ; -- Begin function _Z39paged_attention_ll4mi_QKV_mfma16_kernelI14__hip_bfloat16hLN4vllm18Fp8KVCacheDataTypeE1ES0_Li32ELi128ELi256ELb1ELi15EL8MFMAType1EEvPKT_PKT0_S9_ifPKiSB_SB_iPKfiiiPfSE_PS4_PT2_iSD_SD_
	.globl	_Z39paged_attention_ll4mi_QKV_mfma16_kernelI14__hip_bfloat16hLN4vllm18Fp8KVCacheDataTypeE1ES0_Li32ELi128ELi256ELb1ELi15EL8MFMAType1EEvPKT_PKT0_S9_ifPKiSB_SB_iPKfiiiPfSE_PS4_PT2_iSD_SD_
	.p2align	8
	.type	_Z39paged_attention_ll4mi_QKV_mfma16_kernelI14__hip_bfloat16hLN4vllm18Fp8KVCacheDataTypeE1ES0_Li32ELi128ELi256ELb1ELi15EL8MFMAType1EEvPKT_PKT0_S9_ifPKiSB_SB_iPKfiiiPfSE_PS4_PT2_iSD_SD_,@function
_Z39paged_attention_ll4mi_QKV_mfma16_kernelI14__hip_bfloat16hLN4vllm18Fp8KVCacheDataTypeE1ES0_Li32ELi128ELi256ELb1ELi15EL8MFMAType1EEvPKT_PKT0_S9_ifPKiSB_SB_iPKfiiiPfSE_PS4_PT2_iSD_SD_: ; @_Z39paged_attention_ll4mi_QKV_mfma16_kernelI14__hip_bfloat16hLN4vllm18Fp8KVCacheDataTypeE1ES0_Li32ELi128ELi256ELb1ELi15EL8MFMAType1EEvPKT_PKT0_S9_ifPKiSB_SB_iPKfiiiPfSE_PS4_PT2_iSD_SD_
; %bb.0:
	s_load_dwordx2 s[12:13], s[4:5], 0x30
	s_add_u32 flat_scratch_lo, s6, s11
	s_addc_u32 flat_scratch_hi, s7, 0
	s_add_u32 s0, s0, s11
	s_addc_u32 s1, s1, 0
	s_waitcnt lgkmcnt(0)
	s_cmp_lg_u64 s[12:13], 0
	s_cselect_b64 s[14:15], -1, 0
	s_mov_b32 s6, s9
	s_mov_b64 s[16:17], 0
	s_and_b64 vcc, exec, s[14:15]
	s_mov_b32 s32, 0
	s_cbranch_vccz .LBB808_11
; %bb.1:
	s_add_i32 s18, s8, 1
	s_mov_b32 s19, 0
	s_lshl_b64 s[20:21], s[18:19], 2
	s_add_u32 s20, s12, s20
	s_mov_b32 s9, s19
	s_addc_u32 s21, s13, s21
	s_lshl_b64 s[18:19], s[8:9], 2
	s_add_u32 s18, s12, s18
	s_addc_u32 s19, s13, s19
	s_load_dword s7, s[20:21], 0x0
	s_load_dword s11, s[18:19], 0x0
	s_waitcnt lgkmcnt(0)
	s_sub_i32 s7, s7, s11
	s_cmp_eq_u32 s7, 1
	s_cselect_b64 s[18:19], -1, 0
	s_andn2_b64 vcc, exec, s[16:17]
	s_cbranch_vccnz .LBB808_3
.LBB808_2:
	s_mov_b32 s9, 0
	s_mov_b64 s[18:19], -1
.LBB808_3:
	s_andn2_b64 vcc, exec, s[18:19]
	s_cbranch_vccnz .LBB808_10
; %bb.4:
	s_load_dwordx2 s[18:19], s[4:5], 0x28
	s_lshl_b64 s[16:17], s[8:9], 2
	s_waitcnt lgkmcnt(0)
	s_add_u32 s18, s18, s16
	s_addc_u32 s19, s19, s17
	s_load_dword s7, s[18:19], 0x0
	s_lshl_b32 s6, s6, 8
	s_waitcnt lgkmcnt(0)
	s_cmp_ge_i32 s6, s7
	s_cbranch_scc1 .LBB808_10
; %bb.5:
	s_andn2_b64 vcc, exec, s[14:15]
	s_cbranch_vccnz .LBB808_7
; %bb.6:
	s_add_u32 s6, s12, s16
	s_addc_u32 s7, s13, s17
	s_load_dword s8, s[6:7], 0x0
.LBB808_7:
	s_movk_i32 s6, 0xf0
	v_cmp_gt_u32_e32 vcc, s6, v0
	s_and_saveexec_b64 s[6:7], vcc
	s_cbranch_execz .LBB808_9
; %bb.8:
	s_load_dword s11, s[4:5], 0x48
	s_load_dwordx2 s[12:13], s[4:5], 0x0
	v_lshrrev_b32_e32 v1, 4, v0
	s_mul_i32 s10, s10, 15
	v_add_lshl_u32 v2, v1, s10, 7
	s_waitcnt lgkmcnt(0)
	s_ashr_i32 s9, s11, 31
	s_mul_hi_u32 s14, s8, s11
	s_mul_i32 s9, s8, s9
	s_add_i32 s9, s14, s9
	s_mul_i32 s8, s8, s11
	s_lshl_b64 s[8:9], s[8:9], 1
	s_add_u32 s8, s12, s8
	v_ashrrev_i32_e32 v3, 31, v2
	s_addc_u32 s9, s13, s9
	v_lshlrev_b64 v[2:3], 1, v[2:3]
	v_and_b32_e32 v4, 15, v0
	v_mov_b32_e32 v5, s9
	v_add_co_u32_e32 v2, vcc, s8, v2
	v_addc_co_u32_e32 v3, vcc, v5, v3, vcc
	v_lshlrev_b32_e32 v4, 4, v4
	v_add_co_u32_e32 v2, vcc, v2, v4
	v_addc_co_u32_e32 v3, vcc, 0, v3, vcc
	global_load_dwordx4 v[2:5], v[2:3], off
	v_lshlrev_b32_e32 v6, 4, v0
	v_lshlrev_b32_e32 v0, 8, v0
	v_and_b32_e32 v6, 16, v6
	v_lshlrev_b32_e32 v1, 5, v1
	v_and_b32_e32 v0, 0xe00, v0
	v_or3_b32 v0, v0, v1, v6
	s_waitcnt vmcnt(0)
	ds_write_b128 v0, v[2:5]
.LBB808_9:
	s_or_b64 exec, exec, s[6:7]
	s_waitcnt lgkmcnt(0)
	s_add_u32 s8, s4, 0x90
	s_addc_u32 s9, s5, 0
	s_getpc_b64 s[4:5]
	s_add_u32 s4, s4, __PRETTY_FUNCTION__._Z39paged_attention_ll4mi_QKV_mfma16_kernelI14__hip_bfloat16hLN4vllm18Fp8KVCacheDataTypeE1ES0_Li32ELi128ELi256ELb1ELi15EL8MFMAType1EEvPKT_PKT0_S9_ifPKiSB_SB_iPKfiiiPfSE_PS4_PT2_iSD_SD_@rel32@lo+4
	s_addc_u32 s5, s5, __PRETTY_FUNCTION__._Z39paged_attention_ll4mi_QKV_mfma16_kernelI14__hip_bfloat16hLN4vllm18Fp8KVCacheDataTypeE1ES0_Li32ELi128ELi256ELb1ELi15EL8MFMAType1EEvPKT_PKT0_S9_ifPKiSB_SB_iPKfiiiPfSE_PS4_PT2_iSD_SD_@rel32@hi+12
	v_mov_b32_e32 v0, 0x288
	v_mov_b32_e32 v1, s4
	;; [unrolled: 1-line block ×3, first 2 shown]
	s_barrier
	s_getpc_b64 s[6:7]
	s_add_u32 s6, s6, __assert_fail@rel32@lo+4
	s_addc_u32 s7, s7, __assert_fail@rel32@hi+12
	s_swappc_b64 s[30:31], s[6:7]
	; divergent unreachable
.LBB808_10:
	s_endpgm
.LBB808_11:
	s_mov_b64 s[18:19], 0
	s_branch .LBB808_2
	.section	.rodata,"a",@progbits
	.p2align	6, 0x0
	.amdhsa_kernel _Z39paged_attention_ll4mi_QKV_mfma16_kernelI14__hip_bfloat16hLN4vllm18Fp8KVCacheDataTypeE1ES0_Li32ELi128ELi256ELb1ELi15EL8MFMAType1EEvPKT_PKT0_S9_ifPKiSB_SB_iPKfiiiPfSE_PS4_PT2_iSD_SD_
		.amdhsa_group_segment_fixed_size 8192
		.amdhsa_private_segment_fixed_size 64
		.amdhsa_kernarg_size 400
		.amdhsa_user_sgpr_count 8
		.amdhsa_user_sgpr_private_segment_buffer 1
		.amdhsa_user_sgpr_dispatch_ptr 0
		.amdhsa_user_sgpr_queue_ptr 0
		.amdhsa_user_sgpr_kernarg_segment_ptr 1
		.amdhsa_user_sgpr_dispatch_id 0
		.amdhsa_user_sgpr_flat_scratch_init 1
		.amdhsa_user_sgpr_kernarg_preload_length 0
		.amdhsa_user_sgpr_kernarg_preload_offset 0
		.amdhsa_user_sgpr_private_segment_size 0
		.amdhsa_uses_dynamic_stack 0
		.amdhsa_system_sgpr_private_segment_wavefront_offset 1
		.amdhsa_system_sgpr_workgroup_id_x 1
		.amdhsa_system_sgpr_workgroup_id_y 1
		.amdhsa_system_sgpr_workgroup_id_z 1
		.amdhsa_system_sgpr_workgroup_info 0
		.amdhsa_system_vgpr_workitem_id 0
		.amdhsa_next_free_vgpr 45
		.amdhsa_next_free_sgpr 34
		.amdhsa_accum_offset 44
		.amdhsa_reserve_vcc 1
		.amdhsa_reserve_flat_scratch 1
		.amdhsa_float_round_mode_32 0
		.amdhsa_float_round_mode_16_64 0
		.amdhsa_float_denorm_mode_32 3
		.amdhsa_float_denorm_mode_16_64 3
		.amdhsa_dx10_clamp 1
		.amdhsa_ieee_mode 1
		.amdhsa_fp16_overflow 0
		.amdhsa_tg_split 0
		.amdhsa_exception_fp_ieee_invalid_op 0
		.amdhsa_exception_fp_denorm_src 0
		.amdhsa_exception_fp_ieee_div_zero 0
		.amdhsa_exception_fp_ieee_overflow 0
		.amdhsa_exception_fp_ieee_underflow 0
		.amdhsa_exception_fp_ieee_inexact 0
		.amdhsa_exception_int_div_zero 0
	.end_amdhsa_kernel
	.section	.text._Z39paged_attention_ll4mi_QKV_mfma16_kernelI14__hip_bfloat16hLN4vllm18Fp8KVCacheDataTypeE1ES0_Li32ELi128ELi256ELb1ELi15EL8MFMAType1EEvPKT_PKT0_S9_ifPKiSB_SB_iPKfiiiPfSE_PS4_PT2_iSD_SD_,"axG",@progbits,_Z39paged_attention_ll4mi_QKV_mfma16_kernelI14__hip_bfloat16hLN4vllm18Fp8KVCacheDataTypeE1ES0_Li32ELi128ELi256ELb1ELi15EL8MFMAType1EEvPKT_PKT0_S9_ifPKiSB_SB_iPKfiiiPfSE_PS4_PT2_iSD_SD_,comdat
.Lfunc_end808:
	.size	_Z39paged_attention_ll4mi_QKV_mfma16_kernelI14__hip_bfloat16hLN4vllm18Fp8KVCacheDataTypeE1ES0_Li32ELi128ELi256ELb1ELi15EL8MFMAType1EEvPKT_PKT0_S9_ifPKiSB_SB_iPKfiiiPfSE_PS4_PT2_iSD_SD_, .Lfunc_end808-_Z39paged_attention_ll4mi_QKV_mfma16_kernelI14__hip_bfloat16hLN4vllm18Fp8KVCacheDataTypeE1ES0_Li32ELi128ELi256ELb1ELi15EL8MFMAType1EEvPKT_PKT0_S9_ifPKiSB_SB_iPKfiiiPfSE_PS4_PT2_iSD_SD_
                                        ; -- End function
	.section	.AMDGPU.csdata,"",@progbits
; Kernel info:
; codeLenInByte = 492
; NumSgprs: 40
; NumVgprs: 42
; NumAgprs: 1
; TotalNumVgprs: 45
; ScratchSize: 64
; MemoryBound: 0
; FloatMode: 240
; IeeeMode: 1
; LDSByteSize: 8192 bytes/workgroup (compile time only)
; SGPRBlocks: 4
; VGPRBlocks: 5
; NumSGPRsForWavesPerEU: 40
; NumVGPRsForWavesPerEU: 45
; AccumOffset: 44
; Occupancy: 8
; WaveLimiterHint : 1
; COMPUTE_PGM_RSRC2:SCRATCH_EN: 1
; COMPUTE_PGM_RSRC2:USER_SGPR: 8
; COMPUTE_PGM_RSRC2:TRAP_HANDLER: 0
; COMPUTE_PGM_RSRC2:TGID_X_EN: 1
; COMPUTE_PGM_RSRC2:TGID_Y_EN: 1
; COMPUTE_PGM_RSRC2:TGID_Z_EN: 1
; COMPUTE_PGM_RSRC2:TIDIG_COMP_CNT: 0
; COMPUTE_PGM_RSRC3_GFX90A:ACCUM_OFFSET: 10
; COMPUTE_PGM_RSRC3_GFX90A:TG_SPLIT: 0
	.section	.text._Z39paged_attention_ll4mi_QKV_mfma16_kernelI14__hip_bfloat16hLN4vllm18Fp8KVCacheDataTypeE1ES0_Li32ELi128ELi256ELb1ELi16EL8MFMAType1EEvPKT_PKT0_S9_ifPKiSB_SB_iPKfiiiPfSE_PS4_PT2_iSD_SD_,"axG",@progbits,_Z39paged_attention_ll4mi_QKV_mfma16_kernelI14__hip_bfloat16hLN4vllm18Fp8KVCacheDataTypeE1ES0_Li32ELi128ELi256ELb1ELi16EL8MFMAType1EEvPKT_PKT0_S9_ifPKiSB_SB_iPKfiiiPfSE_PS4_PT2_iSD_SD_,comdat
	.protected	_Z39paged_attention_ll4mi_QKV_mfma16_kernelI14__hip_bfloat16hLN4vllm18Fp8KVCacheDataTypeE1ES0_Li32ELi128ELi256ELb1ELi16EL8MFMAType1EEvPKT_PKT0_S9_ifPKiSB_SB_iPKfiiiPfSE_PS4_PT2_iSD_SD_ ; -- Begin function _Z39paged_attention_ll4mi_QKV_mfma16_kernelI14__hip_bfloat16hLN4vllm18Fp8KVCacheDataTypeE1ES0_Li32ELi128ELi256ELb1ELi16EL8MFMAType1EEvPKT_PKT0_S9_ifPKiSB_SB_iPKfiiiPfSE_PS4_PT2_iSD_SD_
	.globl	_Z39paged_attention_ll4mi_QKV_mfma16_kernelI14__hip_bfloat16hLN4vllm18Fp8KVCacheDataTypeE1ES0_Li32ELi128ELi256ELb1ELi16EL8MFMAType1EEvPKT_PKT0_S9_ifPKiSB_SB_iPKfiiiPfSE_PS4_PT2_iSD_SD_
	.p2align	8
	.type	_Z39paged_attention_ll4mi_QKV_mfma16_kernelI14__hip_bfloat16hLN4vllm18Fp8KVCacheDataTypeE1ES0_Li32ELi128ELi256ELb1ELi16EL8MFMAType1EEvPKT_PKT0_S9_ifPKiSB_SB_iPKfiiiPfSE_PS4_PT2_iSD_SD_,@function
_Z39paged_attention_ll4mi_QKV_mfma16_kernelI14__hip_bfloat16hLN4vllm18Fp8KVCacheDataTypeE1ES0_Li32ELi128ELi256ELb1ELi16EL8MFMAType1EEvPKT_PKT0_S9_ifPKiSB_SB_iPKfiiiPfSE_PS4_PT2_iSD_SD_: ; @_Z39paged_attention_ll4mi_QKV_mfma16_kernelI14__hip_bfloat16hLN4vllm18Fp8KVCacheDataTypeE1ES0_Li32ELi128ELi256ELb1ELi16EL8MFMAType1EEvPKT_PKT0_S9_ifPKiSB_SB_iPKfiiiPfSE_PS4_PT2_iSD_SD_
; %bb.0:
	s_load_dwordx2 s[12:13], s[4:5], 0x30
	s_add_u32 flat_scratch_lo, s6, s11
	s_addc_u32 flat_scratch_hi, s7, 0
	s_add_u32 s0, s0, s11
	s_addc_u32 s1, s1, 0
	s_waitcnt lgkmcnt(0)
	s_cmp_lg_u64 s[12:13], 0
	s_cselect_b64 s[14:15], -1, 0
	s_mov_b32 s6, s9
	s_mov_b64 s[16:17], 0
	s_and_b64 vcc, exec, s[14:15]
	s_mov_b32 s32, 0
	s_cbranch_vccz .LBB809_11
; %bb.1:
	s_add_i32 s18, s8, 1
	s_mov_b32 s19, 0
	s_lshl_b64 s[20:21], s[18:19], 2
	s_add_u32 s20, s12, s20
	s_mov_b32 s9, s19
	s_addc_u32 s21, s13, s21
	s_lshl_b64 s[18:19], s[8:9], 2
	s_add_u32 s18, s12, s18
	s_addc_u32 s19, s13, s19
	s_load_dword s7, s[20:21], 0x0
	s_load_dword s11, s[18:19], 0x0
	s_waitcnt lgkmcnt(0)
	s_sub_i32 s7, s7, s11
	s_cmp_eq_u32 s7, 1
	s_cselect_b64 s[18:19], -1, 0
	s_andn2_b64 vcc, exec, s[16:17]
	s_cbranch_vccnz .LBB809_3
.LBB809_2:
	s_mov_b32 s9, 0
	s_mov_b64 s[18:19], -1
.LBB809_3:
	s_andn2_b64 vcc, exec, s[18:19]
	s_cbranch_vccnz .LBB809_10
; %bb.4:
	s_load_dwordx2 s[18:19], s[4:5], 0x28
	s_lshl_b64 s[16:17], s[8:9], 2
	s_waitcnt lgkmcnt(0)
	s_add_u32 s18, s18, s16
	s_addc_u32 s19, s19, s17
	s_load_dword s7, s[18:19], 0x0
	s_lshl_b32 s6, s6, 8
	s_waitcnt lgkmcnt(0)
	s_cmp_ge_i32 s6, s7
	s_cbranch_scc1 .LBB809_10
; %bb.5:
	s_andn2_b64 vcc, exec, s[14:15]
	s_cbranch_vccnz .LBB809_7
; %bb.6:
	s_add_u32 s6, s12, s16
	s_addc_u32 s7, s13, s17
	s_load_dword s8, s[6:7], 0x0
.LBB809_7:
	s_movk_i32 s6, 0x100
	v_cmp_gt_u32_e32 vcc, s6, v0
	s_and_saveexec_b64 s[6:7], vcc
	s_cbranch_execz .LBB809_9
; %bb.8:
	s_load_dword s11, s[4:5], 0x48
	s_load_dwordx2 s[12:13], s[4:5], 0x0
	v_lshrrev_b32_e32 v6, 4, v0
	v_lshlrev_b32_e32 v2, 7, v6
	v_lshl_or_b32 v2, s10, 11, v2
	s_waitcnt lgkmcnt(0)
	s_ashr_i32 s9, s11, 31
	s_mul_hi_u32 s14, s8, s11
	s_mul_i32 s9, s8, s9
	s_add_i32 s9, s14, s9
	s_mul_i32 s8, s8, s11
	s_lshl_b64 s[8:9], s[8:9], 1
	s_add_u32 s8, s12, s8
	v_ashrrev_i32_e32 v3, 31, v2
	s_addc_u32 s9, s13, s9
	v_lshlrev_b64 v[2:3], 1, v[2:3]
	v_and_b32_e32 v1, 15, v0
	v_mov_b32_e32 v4, s9
	v_add_co_u32_e32 v2, vcc, s8, v2
	v_addc_co_u32_e32 v3, vcc, v4, v3, vcc
	v_lshlrev_b32_e32 v1, 4, v1
	v_add_co_u32_e32 v2, vcc, v2, v1
	v_addc_co_u32_e32 v3, vcc, 0, v3, vcc
	global_load_dwordx4 v[2:5], v[2:3], off
	v_lshlrev_b32_e32 v1, 4, v0
	v_lshlrev_b32_e32 v0, 8, v0
	v_and_b32_e32 v1, 16, v1
	v_lshlrev_b32_e32 v6, 5, v6
	v_and_b32_e32 v0, 0xe00, v0
	v_or3_b32 v0, v0, v6, v1
	s_waitcnt vmcnt(0)
	ds_write_b128 v0, v[2:5]
.LBB809_9:
	s_or_b64 exec, exec, s[6:7]
	s_waitcnt lgkmcnt(0)
	s_add_u32 s8, s4, 0x90
	s_addc_u32 s9, s5, 0
	s_getpc_b64 s[4:5]
	s_add_u32 s4, s4, __PRETTY_FUNCTION__._Z39paged_attention_ll4mi_QKV_mfma16_kernelI14__hip_bfloat16hLN4vllm18Fp8KVCacheDataTypeE1ES0_Li32ELi128ELi256ELb1ELi16EL8MFMAType1EEvPKT_PKT0_S9_ifPKiSB_SB_iPKfiiiPfSE_PS4_PT2_iSD_SD_@rel32@lo+4
	s_addc_u32 s5, s5, __PRETTY_FUNCTION__._Z39paged_attention_ll4mi_QKV_mfma16_kernelI14__hip_bfloat16hLN4vllm18Fp8KVCacheDataTypeE1ES0_Li32ELi128ELi256ELb1ELi16EL8MFMAType1EEvPKT_PKT0_S9_ifPKiSB_SB_iPKfiiiPfSE_PS4_PT2_iSD_SD_@rel32@hi+12
	v_mov_b32_e32 v0, 0x288
	v_mov_b32_e32 v1, s4
	;; [unrolled: 1-line block ×3, first 2 shown]
	s_barrier
	s_getpc_b64 s[6:7]
	s_add_u32 s6, s6, __assert_fail@rel32@lo+4
	s_addc_u32 s7, s7, __assert_fail@rel32@hi+12
	s_swappc_b64 s[30:31], s[6:7]
	; divergent unreachable
.LBB809_10:
	s_endpgm
.LBB809_11:
	s_mov_b64 s[18:19], 0
	s_branch .LBB809_2
	.section	.rodata,"a",@progbits
	.p2align	6, 0x0
	.amdhsa_kernel _Z39paged_attention_ll4mi_QKV_mfma16_kernelI14__hip_bfloat16hLN4vllm18Fp8KVCacheDataTypeE1ES0_Li32ELi128ELi256ELb1ELi16EL8MFMAType1EEvPKT_PKT0_S9_ifPKiSB_SB_iPKfiiiPfSE_PS4_PT2_iSD_SD_
		.amdhsa_group_segment_fixed_size 8192
		.amdhsa_private_segment_fixed_size 64
		.amdhsa_kernarg_size 400
		.amdhsa_user_sgpr_count 8
		.amdhsa_user_sgpr_private_segment_buffer 1
		.amdhsa_user_sgpr_dispatch_ptr 0
		.amdhsa_user_sgpr_queue_ptr 0
		.amdhsa_user_sgpr_kernarg_segment_ptr 1
		.amdhsa_user_sgpr_dispatch_id 0
		.amdhsa_user_sgpr_flat_scratch_init 1
		.amdhsa_user_sgpr_kernarg_preload_length 0
		.amdhsa_user_sgpr_kernarg_preload_offset 0
		.amdhsa_user_sgpr_private_segment_size 0
		.amdhsa_uses_dynamic_stack 0
		.amdhsa_system_sgpr_private_segment_wavefront_offset 1
		.amdhsa_system_sgpr_workgroup_id_x 1
		.amdhsa_system_sgpr_workgroup_id_y 1
		.amdhsa_system_sgpr_workgroup_id_z 1
		.amdhsa_system_sgpr_workgroup_info 0
		.amdhsa_system_vgpr_workitem_id 0
		.amdhsa_next_free_vgpr 45
		.amdhsa_next_free_sgpr 34
		.amdhsa_accum_offset 44
		.amdhsa_reserve_vcc 1
		.amdhsa_reserve_flat_scratch 1
		.amdhsa_float_round_mode_32 0
		.amdhsa_float_round_mode_16_64 0
		.amdhsa_float_denorm_mode_32 3
		.amdhsa_float_denorm_mode_16_64 3
		.amdhsa_dx10_clamp 1
		.amdhsa_ieee_mode 1
		.amdhsa_fp16_overflow 0
		.amdhsa_tg_split 0
		.amdhsa_exception_fp_ieee_invalid_op 0
		.amdhsa_exception_fp_denorm_src 0
		.amdhsa_exception_fp_ieee_div_zero 0
		.amdhsa_exception_fp_ieee_overflow 0
		.amdhsa_exception_fp_ieee_underflow 0
		.amdhsa_exception_fp_ieee_inexact 0
		.amdhsa_exception_int_div_zero 0
	.end_amdhsa_kernel
	.section	.text._Z39paged_attention_ll4mi_QKV_mfma16_kernelI14__hip_bfloat16hLN4vllm18Fp8KVCacheDataTypeE1ES0_Li32ELi128ELi256ELb1ELi16EL8MFMAType1EEvPKT_PKT0_S9_ifPKiSB_SB_iPKfiiiPfSE_PS4_PT2_iSD_SD_,"axG",@progbits,_Z39paged_attention_ll4mi_QKV_mfma16_kernelI14__hip_bfloat16hLN4vllm18Fp8KVCacheDataTypeE1ES0_Li32ELi128ELi256ELb1ELi16EL8MFMAType1EEvPKT_PKT0_S9_ifPKiSB_SB_iPKfiiiPfSE_PS4_PT2_iSD_SD_,comdat
.Lfunc_end809:
	.size	_Z39paged_attention_ll4mi_QKV_mfma16_kernelI14__hip_bfloat16hLN4vllm18Fp8KVCacheDataTypeE1ES0_Li32ELi128ELi256ELb1ELi16EL8MFMAType1EEvPKT_PKT0_S9_ifPKiSB_SB_iPKfiiiPfSE_PS4_PT2_iSD_SD_, .Lfunc_end809-_Z39paged_attention_ll4mi_QKV_mfma16_kernelI14__hip_bfloat16hLN4vllm18Fp8KVCacheDataTypeE1ES0_Li32ELi128ELi256ELb1ELi16EL8MFMAType1EEvPKT_PKT0_S9_ifPKiSB_SB_iPKfiiiPfSE_PS4_PT2_iSD_SD_
                                        ; -- End function
	.section	.AMDGPU.csdata,"",@progbits
; Kernel info:
; codeLenInByte = 492
; NumSgprs: 40
; NumVgprs: 42
; NumAgprs: 1
; TotalNumVgprs: 45
; ScratchSize: 64
; MemoryBound: 0
; FloatMode: 240
; IeeeMode: 1
; LDSByteSize: 8192 bytes/workgroup (compile time only)
; SGPRBlocks: 4
; VGPRBlocks: 5
; NumSGPRsForWavesPerEU: 40
; NumVGPRsForWavesPerEU: 45
; AccumOffset: 44
; Occupancy: 8
; WaveLimiterHint : 1
; COMPUTE_PGM_RSRC2:SCRATCH_EN: 1
; COMPUTE_PGM_RSRC2:USER_SGPR: 8
; COMPUTE_PGM_RSRC2:TRAP_HANDLER: 0
; COMPUTE_PGM_RSRC2:TGID_X_EN: 1
; COMPUTE_PGM_RSRC2:TGID_Y_EN: 1
; COMPUTE_PGM_RSRC2:TGID_Z_EN: 1
; COMPUTE_PGM_RSRC2:TIDIG_COMP_CNT: 0
; COMPUTE_PGM_RSRC3_GFX90A:ACCUM_OFFSET: 10
; COMPUTE_PGM_RSRC3_GFX90A:TG_SPLIT: 0
	.section	.text._Z39paged_attention_ll4mi_QKV_mfma16_kernelI14__hip_bfloat16hLN4vllm18Fp8KVCacheDataTypeE1ES0_Li32ELi128ELi256ELb1ELi1EL8MFMAType1EEvPKT_PKT0_S9_ifPKiSB_SB_iPKfiiiPfSE_PS4_PT2_iSD_SD_,"axG",@progbits,_Z39paged_attention_ll4mi_QKV_mfma16_kernelI14__hip_bfloat16hLN4vllm18Fp8KVCacheDataTypeE1ES0_Li32ELi128ELi256ELb1ELi1EL8MFMAType1EEvPKT_PKT0_S9_ifPKiSB_SB_iPKfiiiPfSE_PS4_PT2_iSD_SD_,comdat
	.protected	_Z39paged_attention_ll4mi_QKV_mfma16_kernelI14__hip_bfloat16hLN4vllm18Fp8KVCacheDataTypeE1ES0_Li32ELi128ELi256ELb1ELi1EL8MFMAType1EEvPKT_PKT0_S9_ifPKiSB_SB_iPKfiiiPfSE_PS4_PT2_iSD_SD_ ; -- Begin function _Z39paged_attention_ll4mi_QKV_mfma16_kernelI14__hip_bfloat16hLN4vllm18Fp8KVCacheDataTypeE1ES0_Li32ELi128ELi256ELb1ELi1EL8MFMAType1EEvPKT_PKT0_S9_ifPKiSB_SB_iPKfiiiPfSE_PS4_PT2_iSD_SD_
	.globl	_Z39paged_attention_ll4mi_QKV_mfma16_kernelI14__hip_bfloat16hLN4vllm18Fp8KVCacheDataTypeE1ES0_Li32ELi128ELi256ELb1ELi1EL8MFMAType1EEvPKT_PKT0_S9_ifPKiSB_SB_iPKfiiiPfSE_PS4_PT2_iSD_SD_
	.p2align	8
	.type	_Z39paged_attention_ll4mi_QKV_mfma16_kernelI14__hip_bfloat16hLN4vllm18Fp8KVCacheDataTypeE1ES0_Li32ELi128ELi256ELb1ELi1EL8MFMAType1EEvPKT_PKT0_S9_ifPKiSB_SB_iPKfiiiPfSE_PS4_PT2_iSD_SD_,@function
_Z39paged_attention_ll4mi_QKV_mfma16_kernelI14__hip_bfloat16hLN4vllm18Fp8KVCacheDataTypeE1ES0_Li32ELi128ELi256ELb1ELi1EL8MFMAType1EEvPKT_PKT0_S9_ifPKiSB_SB_iPKfiiiPfSE_PS4_PT2_iSD_SD_: ; @_Z39paged_attention_ll4mi_QKV_mfma16_kernelI14__hip_bfloat16hLN4vllm18Fp8KVCacheDataTypeE1ES0_Li32ELi128ELi256ELb1ELi1EL8MFMAType1EEvPKT_PKT0_S9_ifPKiSB_SB_iPKfiiiPfSE_PS4_PT2_iSD_SD_
; %bb.0:
	s_load_dwordx2 s[12:13], s[4:5], 0x30
	s_add_u32 flat_scratch_lo, s6, s11
	s_addc_u32 flat_scratch_hi, s7, 0
	s_add_u32 s0, s0, s11
	s_addc_u32 s1, s1, 0
	s_waitcnt lgkmcnt(0)
	s_cmp_lg_u64 s[12:13], 0
	s_cselect_b64 s[14:15], -1, 0
	s_mov_b32 s6, s9
	s_mov_b64 s[16:17], 0
	s_and_b64 vcc, exec, s[14:15]
	s_mov_b32 s32, 0
	s_cbranch_vccz .LBB810_11
; %bb.1:
	s_add_i32 s18, s8, 1
	s_mov_b32 s19, 0
	s_lshl_b64 s[20:21], s[18:19], 2
	s_add_u32 s20, s12, s20
	s_mov_b32 s9, s19
	s_addc_u32 s21, s13, s21
	s_lshl_b64 s[18:19], s[8:9], 2
	s_add_u32 s18, s12, s18
	s_addc_u32 s19, s13, s19
	s_load_dword s7, s[20:21], 0x0
	s_load_dword s11, s[18:19], 0x0
	s_waitcnt lgkmcnt(0)
	s_sub_i32 s7, s7, s11
	s_cmp_eq_u32 s7, 1
	s_cselect_b64 s[18:19], -1, 0
	s_andn2_b64 vcc, exec, s[16:17]
	s_cbranch_vccnz .LBB810_3
.LBB810_2:
	s_mov_b32 s9, 0
	s_mov_b64 s[18:19], -1
.LBB810_3:
	s_andn2_b64 vcc, exec, s[18:19]
	s_cbranch_vccnz .LBB810_10
; %bb.4:
	s_load_dwordx2 s[18:19], s[4:5], 0x28
	s_lshl_b64 s[16:17], s[8:9], 2
	s_waitcnt lgkmcnt(0)
	s_add_u32 s18, s18, s16
	s_addc_u32 s19, s19, s17
	s_load_dword s7, s[18:19], 0x0
	s_lshl_b32 s6, s6, 8
	s_waitcnt lgkmcnt(0)
	s_cmp_ge_i32 s6, s7
	s_cbranch_scc1 .LBB810_10
; %bb.5:
	s_andn2_b64 vcc, exec, s[14:15]
	s_cbranch_vccnz .LBB810_7
; %bb.6:
	s_add_u32 s6, s12, s16
	s_addc_u32 s7, s13, s17
	s_load_dword s8, s[6:7], 0x0
.LBB810_7:
	v_cmp_gt_u32_e32 vcc, 16, v0
	s_and_saveexec_b64 s[6:7], vcc
	s_cbranch_execz .LBB810_9
; %bb.8:
	s_load_dword s9, s[4:5], 0x48
	s_load_dwordx2 s[12:13], s[4:5], 0x0
	v_lshlrev_b32_e32 v1, 4, v0
	v_lshlrev_b32_e32 v0, 8, v0
	s_waitcnt lgkmcnt(0)
	s_ashr_i32 s11, s9, 31
	s_mul_hi_u32 s15, s8, s9
	s_mul_i32 s14, s8, s9
	s_mul_i32 s8, s8, s11
	s_add_i32 s15, s15, s8
	s_lshl_b64 s[8:9], s[14:15], 1
	s_add_u32 s11, s12, s8
	s_addc_u32 s12, s13, s9
	s_lshl_b32 s8, s10, 7
	s_ashr_i32 s9, s8, 31
	s_lshl_b64 s[8:9], s[8:9], 1
	s_add_u32 s8, s11, s8
	s_addc_u32 s9, s12, s9
	global_load_dwordx4 v[2:5], v1, s[8:9]
	v_and_b32_e32 v1, 16, v1
	s_mov_b32 s8, 0xfe00
	v_and_or_b32 v0, v0, s8, v1
	s_waitcnt vmcnt(0)
	ds_write_b128 v0, v[2:5]
.LBB810_9:
	s_or_b64 exec, exec, s[6:7]
	s_waitcnt lgkmcnt(0)
	s_add_u32 s8, s4, 0x90
	s_addc_u32 s9, s5, 0
	s_getpc_b64 s[4:5]
	s_add_u32 s4, s4, __PRETTY_FUNCTION__._Z39paged_attention_ll4mi_QKV_mfma16_kernelI14__hip_bfloat16hLN4vllm18Fp8KVCacheDataTypeE1ES0_Li32ELi128ELi256ELb1ELi1EL8MFMAType1EEvPKT_PKT0_S9_ifPKiSB_SB_iPKfiiiPfSE_PS4_PT2_iSD_SD_@rel32@lo+4
	s_addc_u32 s5, s5, __PRETTY_FUNCTION__._Z39paged_attention_ll4mi_QKV_mfma16_kernelI14__hip_bfloat16hLN4vllm18Fp8KVCacheDataTypeE1ES0_Li32ELi128ELi256ELb1ELi1EL8MFMAType1EEvPKT_PKT0_S9_ifPKiSB_SB_iPKfiiiPfSE_PS4_PT2_iSD_SD_@rel32@hi+12
	v_mov_b32_e32 v0, 0x288
	v_mov_b32_e32 v1, s4
	;; [unrolled: 1-line block ×3, first 2 shown]
	s_barrier
	s_getpc_b64 s[6:7]
	s_add_u32 s6, s6, __assert_fail@rel32@lo+4
	s_addc_u32 s7, s7, __assert_fail@rel32@hi+12
	s_swappc_b64 s[30:31], s[6:7]
	; divergent unreachable
.LBB810_10:
	s_endpgm
.LBB810_11:
	s_mov_b64 s[18:19], 0
	s_branch .LBB810_2
	.section	.rodata,"a",@progbits
	.p2align	6, 0x0
	.amdhsa_kernel _Z39paged_attention_ll4mi_QKV_mfma16_kernelI14__hip_bfloat16hLN4vllm18Fp8KVCacheDataTypeE1ES0_Li32ELi128ELi256ELb1ELi1EL8MFMAType1EEvPKT_PKT0_S9_ifPKiSB_SB_iPKfiiiPfSE_PS4_PT2_iSD_SD_
		.amdhsa_group_segment_fixed_size 8192
		.amdhsa_private_segment_fixed_size 64
		.amdhsa_kernarg_size 400
		.amdhsa_user_sgpr_count 8
		.amdhsa_user_sgpr_private_segment_buffer 1
		.amdhsa_user_sgpr_dispatch_ptr 0
		.amdhsa_user_sgpr_queue_ptr 0
		.amdhsa_user_sgpr_kernarg_segment_ptr 1
		.amdhsa_user_sgpr_dispatch_id 0
		.amdhsa_user_sgpr_flat_scratch_init 1
		.amdhsa_user_sgpr_kernarg_preload_length 0
		.amdhsa_user_sgpr_kernarg_preload_offset 0
		.amdhsa_user_sgpr_private_segment_size 0
		.amdhsa_uses_dynamic_stack 0
		.amdhsa_system_sgpr_private_segment_wavefront_offset 1
		.amdhsa_system_sgpr_workgroup_id_x 1
		.amdhsa_system_sgpr_workgroup_id_y 1
		.amdhsa_system_sgpr_workgroup_id_z 1
		.amdhsa_system_sgpr_workgroup_info 0
		.amdhsa_system_vgpr_workitem_id 0
		.amdhsa_next_free_vgpr 45
		.amdhsa_next_free_sgpr 34
		.amdhsa_accum_offset 44
		.amdhsa_reserve_vcc 1
		.amdhsa_reserve_flat_scratch 1
		.amdhsa_float_round_mode_32 0
		.amdhsa_float_round_mode_16_64 0
		.amdhsa_float_denorm_mode_32 3
		.amdhsa_float_denorm_mode_16_64 3
		.amdhsa_dx10_clamp 1
		.amdhsa_ieee_mode 1
		.amdhsa_fp16_overflow 0
		.amdhsa_tg_split 0
		.amdhsa_exception_fp_ieee_invalid_op 0
		.amdhsa_exception_fp_denorm_src 0
		.amdhsa_exception_fp_ieee_div_zero 0
		.amdhsa_exception_fp_ieee_overflow 0
		.amdhsa_exception_fp_ieee_underflow 0
		.amdhsa_exception_fp_ieee_inexact 0
		.amdhsa_exception_int_div_zero 0
	.end_amdhsa_kernel
	.section	.text._Z39paged_attention_ll4mi_QKV_mfma16_kernelI14__hip_bfloat16hLN4vllm18Fp8KVCacheDataTypeE1ES0_Li32ELi128ELi256ELb1ELi1EL8MFMAType1EEvPKT_PKT0_S9_ifPKiSB_SB_iPKfiiiPfSE_PS4_PT2_iSD_SD_,"axG",@progbits,_Z39paged_attention_ll4mi_QKV_mfma16_kernelI14__hip_bfloat16hLN4vllm18Fp8KVCacheDataTypeE1ES0_Li32ELi128ELi256ELb1ELi1EL8MFMAType1EEvPKT_PKT0_S9_ifPKiSB_SB_iPKfiiiPfSE_PS4_PT2_iSD_SD_,comdat
.Lfunc_end810:
	.size	_Z39paged_attention_ll4mi_QKV_mfma16_kernelI14__hip_bfloat16hLN4vllm18Fp8KVCacheDataTypeE1ES0_Li32ELi128ELi256ELb1ELi1EL8MFMAType1EEvPKT_PKT0_S9_ifPKiSB_SB_iPKfiiiPfSE_PS4_PT2_iSD_SD_, .Lfunc_end810-_Z39paged_attention_ll4mi_QKV_mfma16_kernelI14__hip_bfloat16hLN4vllm18Fp8KVCacheDataTypeE1ES0_Li32ELi128ELi256ELb1ELi1EL8MFMAType1EEvPKT_PKT0_S9_ifPKiSB_SB_iPKfiiiPfSE_PS4_PT2_iSD_SD_
                                        ; -- End function
	.section	.AMDGPU.csdata,"",@progbits
; Kernel info:
; codeLenInByte = 448
; NumSgprs: 40
; NumVgprs: 42
; NumAgprs: 1
; TotalNumVgprs: 45
; ScratchSize: 64
; MemoryBound: 0
; FloatMode: 240
; IeeeMode: 1
; LDSByteSize: 8192 bytes/workgroup (compile time only)
; SGPRBlocks: 4
; VGPRBlocks: 5
; NumSGPRsForWavesPerEU: 40
; NumVGPRsForWavesPerEU: 45
; AccumOffset: 44
; Occupancy: 8
; WaveLimiterHint : 1
; COMPUTE_PGM_RSRC2:SCRATCH_EN: 1
; COMPUTE_PGM_RSRC2:USER_SGPR: 8
; COMPUTE_PGM_RSRC2:TRAP_HANDLER: 0
; COMPUTE_PGM_RSRC2:TGID_X_EN: 1
; COMPUTE_PGM_RSRC2:TGID_Y_EN: 1
; COMPUTE_PGM_RSRC2:TGID_Z_EN: 1
; COMPUTE_PGM_RSRC2:TIDIG_COMP_CNT: 0
; COMPUTE_PGM_RSRC3_GFX90A:ACCUM_OFFSET: 10
; COMPUTE_PGM_RSRC3_GFX90A:TG_SPLIT: 0
	.section	.text._Z39paged_attention_ll4mi_QKV_mfma16_kernelI14__hip_bfloat16hLN4vllm18Fp8KVCacheDataTypeE1ES0_Li32ELi128ELi256ELb1ELi2EL8MFMAType1EEvPKT_PKT0_S9_ifPKiSB_SB_iPKfiiiPfSE_PS4_PT2_iSD_SD_,"axG",@progbits,_Z39paged_attention_ll4mi_QKV_mfma16_kernelI14__hip_bfloat16hLN4vllm18Fp8KVCacheDataTypeE1ES0_Li32ELi128ELi256ELb1ELi2EL8MFMAType1EEvPKT_PKT0_S9_ifPKiSB_SB_iPKfiiiPfSE_PS4_PT2_iSD_SD_,comdat
	.protected	_Z39paged_attention_ll4mi_QKV_mfma16_kernelI14__hip_bfloat16hLN4vllm18Fp8KVCacheDataTypeE1ES0_Li32ELi128ELi256ELb1ELi2EL8MFMAType1EEvPKT_PKT0_S9_ifPKiSB_SB_iPKfiiiPfSE_PS4_PT2_iSD_SD_ ; -- Begin function _Z39paged_attention_ll4mi_QKV_mfma16_kernelI14__hip_bfloat16hLN4vllm18Fp8KVCacheDataTypeE1ES0_Li32ELi128ELi256ELb1ELi2EL8MFMAType1EEvPKT_PKT0_S9_ifPKiSB_SB_iPKfiiiPfSE_PS4_PT2_iSD_SD_
	.globl	_Z39paged_attention_ll4mi_QKV_mfma16_kernelI14__hip_bfloat16hLN4vllm18Fp8KVCacheDataTypeE1ES0_Li32ELi128ELi256ELb1ELi2EL8MFMAType1EEvPKT_PKT0_S9_ifPKiSB_SB_iPKfiiiPfSE_PS4_PT2_iSD_SD_
	.p2align	8
	.type	_Z39paged_attention_ll4mi_QKV_mfma16_kernelI14__hip_bfloat16hLN4vllm18Fp8KVCacheDataTypeE1ES0_Li32ELi128ELi256ELb1ELi2EL8MFMAType1EEvPKT_PKT0_S9_ifPKiSB_SB_iPKfiiiPfSE_PS4_PT2_iSD_SD_,@function
_Z39paged_attention_ll4mi_QKV_mfma16_kernelI14__hip_bfloat16hLN4vllm18Fp8KVCacheDataTypeE1ES0_Li32ELi128ELi256ELb1ELi2EL8MFMAType1EEvPKT_PKT0_S9_ifPKiSB_SB_iPKfiiiPfSE_PS4_PT2_iSD_SD_: ; @_Z39paged_attention_ll4mi_QKV_mfma16_kernelI14__hip_bfloat16hLN4vllm18Fp8KVCacheDataTypeE1ES0_Li32ELi128ELi256ELb1ELi2EL8MFMAType1EEvPKT_PKT0_S9_ifPKiSB_SB_iPKfiiiPfSE_PS4_PT2_iSD_SD_
; %bb.0:
	s_load_dwordx2 s[12:13], s[4:5], 0x30
	s_add_u32 flat_scratch_lo, s6, s11
	s_addc_u32 flat_scratch_hi, s7, 0
	s_add_u32 s0, s0, s11
	s_addc_u32 s1, s1, 0
	s_waitcnt lgkmcnt(0)
	s_cmp_lg_u64 s[12:13], 0
	s_cselect_b64 s[14:15], -1, 0
	s_mov_b32 s6, s9
	s_mov_b64 s[16:17], 0
	s_and_b64 vcc, exec, s[14:15]
	s_mov_b32 s32, 0
	s_cbranch_vccz .LBB811_11
; %bb.1:
	s_add_i32 s18, s8, 1
	s_mov_b32 s19, 0
	s_lshl_b64 s[20:21], s[18:19], 2
	s_add_u32 s20, s12, s20
	s_mov_b32 s9, s19
	s_addc_u32 s21, s13, s21
	s_lshl_b64 s[18:19], s[8:9], 2
	s_add_u32 s18, s12, s18
	s_addc_u32 s19, s13, s19
	s_load_dword s7, s[20:21], 0x0
	s_load_dword s11, s[18:19], 0x0
	s_waitcnt lgkmcnt(0)
	s_sub_i32 s7, s7, s11
	s_cmp_eq_u32 s7, 1
	s_cselect_b64 s[18:19], -1, 0
	s_andn2_b64 vcc, exec, s[16:17]
	s_cbranch_vccnz .LBB811_3
.LBB811_2:
	s_mov_b32 s9, 0
	s_mov_b64 s[18:19], -1
.LBB811_3:
	s_andn2_b64 vcc, exec, s[18:19]
	s_cbranch_vccnz .LBB811_10
; %bb.4:
	s_load_dwordx2 s[18:19], s[4:5], 0x28
	s_lshl_b64 s[16:17], s[8:9], 2
	s_waitcnt lgkmcnt(0)
	s_add_u32 s18, s18, s16
	s_addc_u32 s19, s19, s17
	s_load_dword s7, s[18:19], 0x0
	s_lshl_b32 s6, s6, 8
	s_waitcnt lgkmcnt(0)
	s_cmp_ge_i32 s6, s7
	s_cbranch_scc1 .LBB811_10
; %bb.5:
	s_andn2_b64 vcc, exec, s[14:15]
	s_cbranch_vccnz .LBB811_7
; %bb.6:
	s_add_u32 s6, s12, s16
	s_addc_u32 s7, s13, s17
	s_load_dword s8, s[6:7], 0x0
.LBB811_7:
	v_cmp_gt_u32_e32 vcc, 32, v0
	s_and_saveexec_b64 s[6:7], vcc
	s_cbranch_execz .LBB811_9
; %bb.8:
	s_load_dword s11, s[4:5], 0x48
	s_load_dwordx2 s[12:13], s[4:5], 0x0
	v_lshrrev_b32_e32 v6, 4, v0
	v_lshlrev_b32_e32 v2, 7, v6
	v_lshl_or_b32 v2, s10, 8, v2
	s_waitcnt lgkmcnt(0)
	s_ashr_i32 s9, s11, 31
	s_mul_hi_u32 s14, s8, s11
	s_mul_i32 s9, s8, s9
	s_add_i32 s9, s14, s9
	s_mul_i32 s8, s8, s11
	s_lshl_b64 s[8:9], s[8:9], 1
	s_add_u32 s8, s12, s8
	v_ashrrev_i32_e32 v3, 31, v2
	s_addc_u32 s9, s13, s9
	v_lshlrev_b64 v[2:3], 1, v[2:3]
	v_and_b32_e32 v1, 15, v0
	v_mov_b32_e32 v4, s9
	v_add_co_u32_e32 v2, vcc, s8, v2
	v_addc_co_u32_e32 v3, vcc, v4, v3, vcc
	v_lshlrev_b32_e32 v1, 4, v1
	v_add_co_u32_e32 v2, vcc, v2, v1
	v_addc_co_u32_e32 v3, vcc, 0, v3, vcc
	global_load_dwordx4 v[2:5], v[2:3], off
	v_lshlrev_b32_e32 v1, 4, v0
	v_lshlrev_b32_e32 v0, 8, v0
	v_and_b32_e32 v1, 16, v1
	v_lshlrev_b32_e32 v6, 5, v6
	v_and_b32_e32 v0, 0xe00, v0
	v_or3_b32 v0, v0, v6, v1
	s_waitcnt vmcnt(0)
	ds_write_b128 v0, v[2:5]
.LBB811_9:
	s_or_b64 exec, exec, s[6:7]
	s_waitcnt lgkmcnt(0)
	s_add_u32 s8, s4, 0x90
	s_addc_u32 s9, s5, 0
	s_getpc_b64 s[4:5]
	s_add_u32 s4, s4, __PRETTY_FUNCTION__._Z39paged_attention_ll4mi_QKV_mfma16_kernelI14__hip_bfloat16hLN4vllm18Fp8KVCacheDataTypeE1ES0_Li32ELi128ELi256ELb1ELi2EL8MFMAType1EEvPKT_PKT0_S9_ifPKiSB_SB_iPKfiiiPfSE_PS4_PT2_iSD_SD_@rel32@lo+4
	s_addc_u32 s5, s5, __PRETTY_FUNCTION__._Z39paged_attention_ll4mi_QKV_mfma16_kernelI14__hip_bfloat16hLN4vllm18Fp8KVCacheDataTypeE1ES0_Li32ELi128ELi256ELb1ELi2EL8MFMAType1EEvPKT_PKT0_S9_ifPKiSB_SB_iPKfiiiPfSE_PS4_PT2_iSD_SD_@rel32@hi+12
	v_mov_b32_e32 v0, 0x288
	v_mov_b32_e32 v1, s4
	;; [unrolled: 1-line block ×3, first 2 shown]
	s_barrier
	s_getpc_b64 s[6:7]
	s_add_u32 s6, s6, __assert_fail@rel32@lo+4
	s_addc_u32 s7, s7, __assert_fail@rel32@hi+12
	s_swappc_b64 s[30:31], s[6:7]
	; divergent unreachable
.LBB811_10:
	s_endpgm
.LBB811_11:
	s_mov_b64 s[18:19], 0
	s_branch .LBB811_2
	.section	.rodata,"a",@progbits
	.p2align	6, 0x0
	.amdhsa_kernel _Z39paged_attention_ll4mi_QKV_mfma16_kernelI14__hip_bfloat16hLN4vllm18Fp8KVCacheDataTypeE1ES0_Li32ELi128ELi256ELb1ELi2EL8MFMAType1EEvPKT_PKT0_S9_ifPKiSB_SB_iPKfiiiPfSE_PS4_PT2_iSD_SD_
		.amdhsa_group_segment_fixed_size 8192
		.amdhsa_private_segment_fixed_size 64
		.amdhsa_kernarg_size 400
		.amdhsa_user_sgpr_count 8
		.amdhsa_user_sgpr_private_segment_buffer 1
		.amdhsa_user_sgpr_dispatch_ptr 0
		.amdhsa_user_sgpr_queue_ptr 0
		.amdhsa_user_sgpr_kernarg_segment_ptr 1
		.amdhsa_user_sgpr_dispatch_id 0
		.amdhsa_user_sgpr_flat_scratch_init 1
		.amdhsa_user_sgpr_kernarg_preload_length 0
		.amdhsa_user_sgpr_kernarg_preload_offset 0
		.amdhsa_user_sgpr_private_segment_size 0
		.amdhsa_uses_dynamic_stack 0
		.amdhsa_system_sgpr_private_segment_wavefront_offset 1
		.amdhsa_system_sgpr_workgroup_id_x 1
		.amdhsa_system_sgpr_workgroup_id_y 1
		.amdhsa_system_sgpr_workgroup_id_z 1
		.amdhsa_system_sgpr_workgroup_info 0
		.amdhsa_system_vgpr_workitem_id 0
		.amdhsa_next_free_vgpr 45
		.amdhsa_next_free_sgpr 34
		.amdhsa_accum_offset 44
		.amdhsa_reserve_vcc 1
		.amdhsa_reserve_flat_scratch 1
		.amdhsa_float_round_mode_32 0
		.amdhsa_float_round_mode_16_64 0
		.amdhsa_float_denorm_mode_32 3
		.amdhsa_float_denorm_mode_16_64 3
		.amdhsa_dx10_clamp 1
		.amdhsa_ieee_mode 1
		.amdhsa_fp16_overflow 0
		.amdhsa_tg_split 0
		.amdhsa_exception_fp_ieee_invalid_op 0
		.amdhsa_exception_fp_denorm_src 0
		.amdhsa_exception_fp_ieee_div_zero 0
		.amdhsa_exception_fp_ieee_overflow 0
		.amdhsa_exception_fp_ieee_underflow 0
		.amdhsa_exception_fp_ieee_inexact 0
		.amdhsa_exception_int_div_zero 0
	.end_amdhsa_kernel
	.section	.text._Z39paged_attention_ll4mi_QKV_mfma16_kernelI14__hip_bfloat16hLN4vllm18Fp8KVCacheDataTypeE1ES0_Li32ELi128ELi256ELb1ELi2EL8MFMAType1EEvPKT_PKT0_S9_ifPKiSB_SB_iPKfiiiPfSE_PS4_PT2_iSD_SD_,"axG",@progbits,_Z39paged_attention_ll4mi_QKV_mfma16_kernelI14__hip_bfloat16hLN4vllm18Fp8KVCacheDataTypeE1ES0_Li32ELi128ELi256ELb1ELi2EL8MFMAType1EEvPKT_PKT0_S9_ifPKiSB_SB_iPKfiiiPfSE_PS4_PT2_iSD_SD_,comdat
.Lfunc_end811:
	.size	_Z39paged_attention_ll4mi_QKV_mfma16_kernelI14__hip_bfloat16hLN4vllm18Fp8KVCacheDataTypeE1ES0_Li32ELi128ELi256ELb1ELi2EL8MFMAType1EEvPKT_PKT0_S9_ifPKiSB_SB_iPKfiiiPfSE_PS4_PT2_iSD_SD_, .Lfunc_end811-_Z39paged_attention_ll4mi_QKV_mfma16_kernelI14__hip_bfloat16hLN4vllm18Fp8KVCacheDataTypeE1ES0_Li32ELi128ELi256ELb1ELi2EL8MFMAType1EEvPKT_PKT0_S9_ifPKiSB_SB_iPKfiiiPfSE_PS4_PT2_iSD_SD_
                                        ; -- End function
	.section	.AMDGPU.csdata,"",@progbits
; Kernel info:
; codeLenInByte = 488
; NumSgprs: 40
; NumVgprs: 42
; NumAgprs: 1
; TotalNumVgprs: 45
; ScratchSize: 64
; MemoryBound: 0
; FloatMode: 240
; IeeeMode: 1
; LDSByteSize: 8192 bytes/workgroup (compile time only)
; SGPRBlocks: 4
; VGPRBlocks: 5
; NumSGPRsForWavesPerEU: 40
; NumVGPRsForWavesPerEU: 45
; AccumOffset: 44
; Occupancy: 8
; WaveLimiterHint : 1
; COMPUTE_PGM_RSRC2:SCRATCH_EN: 1
; COMPUTE_PGM_RSRC2:USER_SGPR: 8
; COMPUTE_PGM_RSRC2:TRAP_HANDLER: 0
; COMPUTE_PGM_RSRC2:TGID_X_EN: 1
; COMPUTE_PGM_RSRC2:TGID_Y_EN: 1
; COMPUTE_PGM_RSRC2:TGID_Z_EN: 1
; COMPUTE_PGM_RSRC2:TIDIG_COMP_CNT: 0
; COMPUTE_PGM_RSRC3_GFX90A:ACCUM_OFFSET: 10
; COMPUTE_PGM_RSRC3_GFX90A:TG_SPLIT: 0
	.section	.text._Z39paged_attention_ll4mi_QKV_mfma16_kernelI14__hip_bfloat16hLN4vllm18Fp8KVCacheDataTypeE1ES0_Li32ELi128ELi256ELb1ELi3EL8MFMAType1EEvPKT_PKT0_S9_ifPKiSB_SB_iPKfiiiPfSE_PS4_PT2_iSD_SD_,"axG",@progbits,_Z39paged_attention_ll4mi_QKV_mfma16_kernelI14__hip_bfloat16hLN4vllm18Fp8KVCacheDataTypeE1ES0_Li32ELi128ELi256ELb1ELi3EL8MFMAType1EEvPKT_PKT0_S9_ifPKiSB_SB_iPKfiiiPfSE_PS4_PT2_iSD_SD_,comdat
	.protected	_Z39paged_attention_ll4mi_QKV_mfma16_kernelI14__hip_bfloat16hLN4vllm18Fp8KVCacheDataTypeE1ES0_Li32ELi128ELi256ELb1ELi3EL8MFMAType1EEvPKT_PKT0_S9_ifPKiSB_SB_iPKfiiiPfSE_PS4_PT2_iSD_SD_ ; -- Begin function _Z39paged_attention_ll4mi_QKV_mfma16_kernelI14__hip_bfloat16hLN4vllm18Fp8KVCacheDataTypeE1ES0_Li32ELi128ELi256ELb1ELi3EL8MFMAType1EEvPKT_PKT0_S9_ifPKiSB_SB_iPKfiiiPfSE_PS4_PT2_iSD_SD_
	.globl	_Z39paged_attention_ll4mi_QKV_mfma16_kernelI14__hip_bfloat16hLN4vllm18Fp8KVCacheDataTypeE1ES0_Li32ELi128ELi256ELb1ELi3EL8MFMAType1EEvPKT_PKT0_S9_ifPKiSB_SB_iPKfiiiPfSE_PS4_PT2_iSD_SD_
	.p2align	8
	.type	_Z39paged_attention_ll4mi_QKV_mfma16_kernelI14__hip_bfloat16hLN4vllm18Fp8KVCacheDataTypeE1ES0_Li32ELi128ELi256ELb1ELi3EL8MFMAType1EEvPKT_PKT0_S9_ifPKiSB_SB_iPKfiiiPfSE_PS4_PT2_iSD_SD_,@function
_Z39paged_attention_ll4mi_QKV_mfma16_kernelI14__hip_bfloat16hLN4vllm18Fp8KVCacheDataTypeE1ES0_Li32ELi128ELi256ELb1ELi3EL8MFMAType1EEvPKT_PKT0_S9_ifPKiSB_SB_iPKfiiiPfSE_PS4_PT2_iSD_SD_: ; @_Z39paged_attention_ll4mi_QKV_mfma16_kernelI14__hip_bfloat16hLN4vllm18Fp8KVCacheDataTypeE1ES0_Li32ELi128ELi256ELb1ELi3EL8MFMAType1EEvPKT_PKT0_S9_ifPKiSB_SB_iPKfiiiPfSE_PS4_PT2_iSD_SD_
; %bb.0:
	s_load_dwordx2 s[12:13], s[4:5], 0x30
	s_add_u32 flat_scratch_lo, s6, s11
	s_addc_u32 flat_scratch_hi, s7, 0
	s_add_u32 s0, s0, s11
	s_addc_u32 s1, s1, 0
	s_waitcnt lgkmcnt(0)
	s_cmp_lg_u64 s[12:13], 0
	s_cselect_b64 s[14:15], -1, 0
	s_mov_b32 s6, s9
	s_mov_b64 s[16:17], 0
	s_and_b64 vcc, exec, s[14:15]
	s_mov_b32 s32, 0
	s_cbranch_vccz .LBB812_11
; %bb.1:
	s_add_i32 s18, s8, 1
	s_mov_b32 s19, 0
	s_lshl_b64 s[20:21], s[18:19], 2
	s_add_u32 s20, s12, s20
	s_mov_b32 s9, s19
	s_addc_u32 s21, s13, s21
	s_lshl_b64 s[18:19], s[8:9], 2
	s_add_u32 s18, s12, s18
	s_addc_u32 s19, s13, s19
	s_load_dword s7, s[20:21], 0x0
	s_load_dword s11, s[18:19], 0x0
	s_waitcnt lgkmcnt(0)
	s_sub_i32 s7, s7, s11
	s_cmp_eq_u32 s7, 1
	s_cselect_b64 s[18:19], -1, 0
	s_andn2_b64 vcc, exec, s[16:17]
	s_cbranch_vccnz .LBB812_3
.LBB812_2:
	s_mov_b32 s9, 0
	s_mov_b64 s[18:19], -1
.LBB812_3:
	s_andn2_b64 vcc, exec, s[18:19]
	s_cbranch_vccnz .LBB812_10
; %bb.4:
	s_load_dwordx2 s[18:19], s[4:5], 0x28
	s_lshl_b64 s[16:17], s[8:9], 2
	s_waitcnt lgkmcnt(0)
	s_add_u32 s18, s18, s16
	s_addc_u32 s19, s19, s17
	s_load_dword s7, s[18:19], 0x0
	s_lshl_b32 s6, s6, 8
	s_waitcnt lgkmcnt(0)
	s_cmp_ge_i32 s6, s7
	s_cbranch_scc1 .LBB812_10
; %bb.5:
	s_andn2_b64 vcc, exec, s[14:15]
	s_cbranch_vccnz .LBB812_7
; %bb.6:
	s_add_u32 s6, s12, s16
	s_addc_u32 s7, s13, s17
	s_load_dword s8, s[6:7], 0x0
.LBB812_7:
	v_cmp_gt_u32_e32 vcc, 48, v0
	s_and_saveexec_b64 s[6:7], vcc
	s_cbranch_execz .LBB812_9
; %bb.8:
	s_load_dword s11, s[4:5], 0x48
	s_load_dwordx2 s[12:13], s[4:5], 0x0
	v_lshrrev_b32_e32 v1, 4, v0
	s_mul_i32 s10, s10, 3
	v_add_lshl_u32 v2, v1, s10, 7
	s_waitcnt lgkmcnt(0)
	s_ashr_i32 s9, s11, 31
	s_mul_hi_u32 s14, s8, s11
	s_mul_i32 s9, s8, s9
	s_add_i32 s9, s14, s9
	s_mul_i32 s8, s8, s11
	s_lshl_b64 s[8:9], s[8:9], 1
	s_add_u32 s8, s12, s8
	v_ashrrev_i32_e32 v3, 31, v2
	s_addc_u32 s9, s13, s9
	v_lshlrev_b64 v[2:3], 1, v[2:3]
	v_and_b32_e32 v4, 15, v0
	v_mov_b32_e32 v5, s9
	v_add_co_u32_e32 v2, vcc, s8, v2
	v_addc_co_u32_e32 v3, vcc, v5, v3, vcc
	v_lshlrev_b32_e32 v4, 4, v4
	v_add_co_u32_e32 v2, vcc, v2, v4
	v_addc_co_u32_e32 v3, vcc, 0, v3, vcc
	global_load_dwordx4 v[2:5], v[2:3], off
	v_lshlrev_b32_e32 v6, 4, v0
	v_lshlrev_b32_e32 v0, 8, v0
	v_and_b32_e32 v6, 16, v6
	v_lshlrev_b32_e32 v1, 5, v1
	v_and_b32_e32 v0, 0xe00, v0
	v_or3_b32 v0, v0, v1, v6
	s_waitcnt vmcnt(0)
	ds_write_b128 v0, v[2:5]
.LBB812_9:
	s_or_b64 exec, exec, s[6:7]
	s_waitcnt lgkmcnt(0)
	s_add_u32 s8, s4, 0x90
	s_addc_u32 s9, s5, 0
	s_getpc_b64 s[4:5]
	s_add_u32 s4, s4, __PRETTY_FUNCTION__._Z39paged_attention_ll4mi_QKV_mfma16_kernelI14__hip_bfloat16hLN4vllm18Fp8KVCacheDataTypeE1ES0_Li32ELi128ELi256ELb1ELi3EL8MFMAType1EEvPKT_PKT0_S9_ifPKiSB_SB_iPKfiiiPfSE_PS4_PT2_iSD_SD_@rel32@lo+4
	s_addc_u32 s5, s5, __PRETTY_FUNCTION__._Z39paged_attention_ll4mi_QKV_mfma16_kernelI14__hip_bfloat16hLN4vllm18Fp8KVCacheDataTypeE1ES0_Li32ELi128ELi256ELb1ELi3EL8MFMAType1EEvPKT_PKT0_S9_ifPKiSB_SB_iPKfiiiPfSE_PS4_PT2_iSD_SD_@rel32@hi+12
	v_mov_b32_e32 v0, 0x288
	v_mov_b32_e32 v1, s4
	;; [unrolled: 1-line block ×3, first 2 shown]
	s_barrier
	s_getpc_b64 s[6:7]
	s_add_u32 s6, s6, __assert_fail@rel32@lo+4
	s_addc_u32 s7, s7, __assert_fail@rel32@hi+12
	s_swappc_b64 s[30:31], s[6:7]
	; divergent unreachable
.LBB812_10:
	s_endpgm
.LBB812_11:
	s_mov_b64 s[18:19], 0
	s_branch .LBB812_2
	.section	.rodata,"a",@progbits
	.p2align	6, 0x0
	.amdhsa_kernel _Z39paged_attention_ll4mi_QKV_mfma16_kernelI14__hip_bfloat16hLN4vllm18Fp8KVCacheDataTypeE1ES0_Li32ELi128ELi256ELb1ELi3EL8MFMAType1EEvPKT_PKT0_S9_ifPKiSB_SB_iPKfiiiPfSE_PS4_PT2_iSD_SD_
		.amdhsa_group_segment_fixed_size 8192
		.amdhsa_private_segment_fixed_size 64
		.amdhsa_kernarg_size 400
		.amdhsa_user_sgpr_count 8
		.amdhsa_user_sgpr_private_segment_buffer 1
		.amdhsa_user_sgpr_dispatch_ptr 0
		.amdhsa_user_sgpr_queue_ptr 0
		.amdhsa_user_sgpr_kernarg_segment_ptr 1
		.amdhsa_user_sgpr_dispatch_id 0
		.amdhsa_user_sgpr_flat_scratch_init 1
		.amdhsa_user_sgpr_kernarg_preload_length 0
		.amdhsa_user_sgpr_kernarg_preload_offset 0
		.amdhsa_user_sgpr_private_segment_size 0
		.amdhsa_uses_dynamic_stack 0
		.amdhsa_system_sgpr_private_segment_wavefront_offset 1
		.amdhsa_system_sgpr_workgroup_id_x 1
		.amdhsa_system_sgpr_workgroup_id_y 1
		.amdhsa_system_sgpr_workgroup_id_z 1
		.amdhsa_system_sgpr_workgroup_info 0
		.amdhsa_system_vgpr_workitem_id 0
		.amdhsa_next_free_vgpr 45
		.amdhsa_next_free_sgpr 34
		.amdhsa_accum_offset 44
		.amdhsa_reserve_vcc 1
		.amdhsa_reserve_flat_scratch 1
		.amdhsa_float_round_mode_32 0
		.amdhsa_float_round_mode_16_64 0
		.amdhsa_float_denorm_mode_32 3
		.amdhsa_float_denorm_mode_16_64 3
		.amdhsa_dx10_clamp 1
		.amdhsa_ieee_mode 1
		.amdhsa_fp16_overflow 0
		.amdhsa_tg_split 0
		.amdhsa_exception_fp_ieee_invalid_op 0
		.amdhsa_exception_fp_denorm_src 0
		.amdhsa_exception_fp_ieee_div_zero 0
		.amdhsa_exception_fp_ieee_overflow 0
		.amdhsa_exception_fp_ieee_underflow 0
		.amdhsa_exception_fp_ieee_inexact 0
		.amdhsa_exception_int_div_zero 0
	.end_amdhsa_kernel
	.section	.text._Z39paged_attention_ll4mi_QKV_mfma16_kernelI14__hip_bfloat16hLN4vllm18Fp8KVCacheDataTypeE1ES0_Li32ELi128ELi256ELb1ELi3EL8MFMAType1EEvPKT_PKT0_S9_ifPKiSB_SB_iPKfiiiPfSE_PS4_PT2_iSD_SD_,"axG",@progbits,_Z39paged_attention_ll4mi_QKV_mfma16_kernelI14__hip_bfloat16hLN4vllm18Fp8KVCacheDataTypeE1ES0_Li32ELi128ELi256ELb1ELi3EL8MFMAType1EEvPKT_PKT0_S9_ifPKiSB_SB_iPKfiiiPfSE_PS4_PT2_iSD_SD_,comdat
.Lfunc_end812:
	.size	_Z39paged_attention_ll4mi_QKV_mfma16_kernelI14__hip_bfloat16hLN4vllm18Fp8KVCacheDataTypeE1ES0_Li32ELi128ELi256ELb1ELi3EL8MFMAType1EEvPKT_PKT0_S9_ifPKiSB_SB_iPKfiiiPfSE_PS4_PT2_iSD_SD_, .Lfunc_end812-_Z39paged_attention_ll4mi_QKV_mfma16_kernelI14__hip_bfloat16hLN4vllm18Fp8KVCacheDataTypeE1ES0_Li32ELi128ELi256ELb1ELi3EL8MFMAType1EEvPKT_PKT0_S9_ifPKiSB_SB_iPKfiiiPfSE_PS4_PT2_iSD_SD_
                                        ; -- End function
	.section	.AMDGPU.csdata,"",@progbits
; Kernel info:
; codeLenInByte = 488
; NumSgprs: 40
; NumVgprs: 42
; NumAgprs: 1
; TotalNumVgprs: 45
; ScratchSize: 64
; MemoryBound: 0
; FloatMode: 240
; IeeeMode: 1
; LDSByteSize: 8192 bytes/workgroup (compile time only)
; SGPRBlocks: 4
; VGPRBlocks: 5
; NumSGPRsForWavesPerEU: 40
; NumVGPRsForWavesPerEU: 45
; AccumOffset: 44
; Occupancy: 8
; WaveLimiterHint : 1
; COMPUTE_PGM_RSRC2:SCRATCH_EN: 1
; COMPUTE_PGM_RSRC2:USER_SGPR: 8
; COMPUTE_PGM_RSRC2:TRAP_HANDLER: 0
; COMPUTE_PGM_RSRC2:TGID_X_EN: 1
; COMPUTE_PGM_RSRC2:TGID_Y_EN: 1
; COMPUTE_PGM_RSRC2:TGID_Z_EN: 1
; COMPUTE_PGM_RSRC2:TIDIG_COMP_CNT: 0
; COMPUTE_PGM_RSRC3_GFX90A:ACCUM_OFFSET: 10
; COMPUTE_PGM_RSRC3_GFX90A:TG_SPLIT: 0
	.section	.text._Z39paged_attention_ll4mi_QKV_mfma16_kernelI14__hip_bfloat16hLN4vllm18Fp8KVCacheDataTypeE1ES0_Li32ELi128ELi256ELb1ELi4EL8MFMAType1EEvPKT_PKT0_S9_ifPKiSB_SB_iPKfiiiPfSE_PS4_PT2_iSD_SD_,"axG",@progbits,_Z39paged_attention_ll4mi_QKV_mfma16_kernelI14__hip_bfloat16hLN4vllm18Fp8KVCacheDataTypeE1ES0_Li32ELi128ELi256ELb1ELi4EL8MFMAType1EEvPKT_PKT0_S9_ifPKiSB_SB_iPKfiiiPfSE_PS4_PT2_iSD_SD_,comdat
	.protected	_Z39paged_attention_ll4mi_QKV_mfma16_kernelI14__hip_bfloat16hLN4vllm18Fp8KVCacheDataTypeE1ES0_Li32ELi128ELi256ELb1ELi4EL8MFMAType1EEvPKT_PKT0_S9_ifPKiSB_SB_iPKfiiiPfSE_PS4_PT2_iSD_SD_ ; -- Begin function _Z39paged_attention_ll4mi_QKV_mfma16_kernelI14__hip_bfloat16hLN4vllm18Fp8KVCacheDataTypeE1ES0_Li32ELi128ELi256ELb1ELi4EL8MFMAType1EEvPKT_PKT0_S9_ifPKiSB_SB_iPKfiiiPfSE_PS4_PT2_iSD_SD_
	.globl	_Z39paged_attention_ll4mi_QKV_mfma16_kernelI14__hip_bfloat16hLN4vllm18Fp8KVCacheDataTypeE1ES0_Li32ELi128ELi256ELb1ELi4EL8MFMAType1EEvPKT_PKT0_S9_ifPKiSB_SB_iPKfiiiPfSE_PS4_PT2_iSD_SD_
	.p2align	8
	.type	_Z39paged_attention_ll4mi_QKV_mfma16_kernelI14__hip_bfloat16hLN4vllm18Fp8KVCacheDataTypeE1ES0_Li32ELi128ELi256ELb1ELi4EL8MFMAType1EEvPKT_PKT0_S9_ifPKiSB_SB_iPKfiiiPfSE_PS4_PT2_iSD_SD_,@function
_Z39paged_attention_ll4mi_QKV_mfma16_kernelI14__hip_bfloat16hLN4vllm18Fp8KVCacheDataTypeE1ES0_Li32ELi128ELi256ELb1ELi4EL8MFMAType1EEvPKT_PKT0_S9_ifPKiSB_SB_iPKfiiiPfSE_PS4_PT2_iSD_SD_: ; @_Z39paged_attention_ll4mi_QKV_mfma16_kernelI14__hip_bfloat16hLN4vllm18Fp8KVCacheDataTypeE1ES0_Li32ELi128ELi256ELb1ELi4EL8MFMAType1EEvPKT_PKT0_S9_ifPKiSB_SB_iPKfiiiPfSE_PS4_PT2_iSD_SD_
; %bb.0:
	s_load_dwordx2 s[12:13], s[4:5], 0x30
	s_add_u32 flat_scratch_lo, s6, s11
	s_addc_u32 flat_scratch_hi, s7, 0
	s_add_u32 s0, s0, s11
	s_addc_u32 s1, s1, 0
	s_waitcnt lgkmcnt(0)
	s_cmp_lg_u64 s[12:13], 0
	s_cselect_b64 s[14:15], -1, 0
	s_mov_b32 s6, s9
	s_mov_b64 s[16:17], 0
	s_and_b64 vcc, exec, s[14:15]
	s_mov_b32 s32, 0
	s_cbranch_vccz .LBB813_11
; %bb.1:
	s_add_i32 s18, s8, 1
	s_mov_b32 s19, 0
	s_lshl_b64 s[20:21], s[18:19], 2
	s_add_u32 s20, s12, s20
	s_mov_b32 s9, s19
	s_addc_u32 s21, s13, s21
	s_lshl_b64 s[18:19], s[8:9], 2
	s_add_u32 s18, s12, s18
	s_addc_u32 s19, s13, s19
	s_load_dword s7, s[20:21], 0x0
	s_load_dword s11, s[18:19], 0x0
	s_waitcnt lgkmcnt(0)
	s_sub_i32 s7, s7, s11
	s_cmp_eq_u32 s7, 1
	s_cselect_b64 s[18:19], -1, 0
	s_andn2_b64 vcc, exec, s[16:17]
	s_cbranch_vccnz .LBB813_3
.LBB813_2:
	s_mov_b32 s9, 0
	s_mov_b64 s[18:19], -1
.LBB813_3:
	s_andn2_b64 vcc, exec, s[18:19]
	s_cbranch_vccnz .LBB813_10
; %bb.4:
	s_load_dwordx2 s[18:19], s[4:5], 0x28
	s_lshl_b64 s[16:17], s[8:9], 2
	s_waitcnt lgkmcnt(0)
	s_add_u32 s18, s18, s16
	s_addc_u32 s19, s19, s17
	s_load_dword s7, s[18:19], 0x0
	s_lshl_b32 s6, s6, 8
	s_waitcnt lgkmcnt(0)
	s_cmp_ge_i32 s6, s7
	s_cbranch_scc1 .LBB813_10
; %bb.5:
	s_andn2_b64 vcc, exec, s[14:15]
	s_cbranch_vccnz .LBB813_7
; %bb.6:
	s_add_u32 s6, s12, s16
	s_addc_u32 s7, s13, s17
	s_load_dword s8, s[6:7], 0x0
.LBB813_7:
	v_cmp_gt_u32_e32 vcc, 64, v0
	s_and_saveexec_b64 s[6:7], vcc
	s_cbranch_execz .LBB813_9
; %bb.8:
	s_load_dword s11, s[4:5], 0x48
	s_load_dwordx2 s[12:13], s[4:5], 0x0
	v_lshrrev_b32_e32 v6, 4, v0
	v_lshlrev_b32_e32 v2, 7, v6
	v_lshl_or_b32 v2, s10, 9, v2
	s_waitcnt lgkmcnt(0)
	s_ashr_i32 s9, s11, 31
	s_mul_hi_u32 s14, s8, s11
	s_mul_i32 s9, s8, s9
	s_add_i32 s9, s14, s9
	s_mul_i32 s8, s8, s11
	s_lshl_b64 s[8:9], s[8:9], 1
	s_add_u32 s8, s12, s8
	v_ashrrev_i32_e32 v3, 31, v2
	s_addc_u32 s9, s13, s9
	v_lshlrev_b64 v[2:3], 1, v[2:3]
	v_and_b32_e32 v1, 15, v0
	v_mov_b32_e32 v4, s9
	v_add_co_u32_e32 v2, vcc, s8, v2
	v_addc_co_u32_e32 v3, vcc, v4, v3, vcc
	v_lshlrev_b32_e32 v1, 4, v1
	v_add_co_u32_e32 v2, vcc, v2, v1
	v_addc_co_u32_e32 v3, vcc, 0, v3, vcc
	global_load_dwordx4 v[2:5], v[2:3], off
	v_lshlrev_b32_e32 v1, 4, v0
	v_lshlrev_b32_e32 v0, 8, v0
	v_and_b32_e32 v1, 16, v1
	v_lshlrev_b32_e32 v6, 5, v6
	v_and_b32_e32 v0, 0xe00, v0
	v_or3_b32 v0, v0, v6, v1
	s_waitcnt vmcnt(0)
	ds_write_b128 v0, v[2:5]
.LBB813_9:
	s_or_b64 exec, exec, s[6:7]
	s_waitcnt lgkmcnt(0)
	s_add_u32 s8, s4, 0x90
	s_addc_u32 s9, s5, 0
	s_getpc_b64 s[4:5]
	s_add_u32 s4, s4, __PRETTY_FUNCTION__._Z39paged_attention_ll4mi_QKV_mfma16_kernelI14__hip_bfloat16hLN4vllm18Fp8KVCacheDataTypeE1ES0_Li32ELi128ELi256ELb1ELi4EL8MFMAType1EEvPKT_PKT0_S9_ifPKiSB_SB_iPKfiiiPfSE_PS4_PT2_iSD_SD_@rel32@lo+4
	s_addc_u32 s5, s5, __PRETTY_FUNCTION__._Z39paged_attention_ll4mi_QKV_mfma16_kernelI14__hip_bfloat16hLN4vllm18Fp8KVCacheDataTypeE1ES0_Li32ELi128ELi256ELb1ELi4EL8MFMAType1EEvPKT_PKT0_S9_ifPKiSB_SB_iPKfiiiPfSE_PS4_PT2_iSD_SD_@rel32@hi+12
	v_mov_b32_e32 v0, 0x288
	v_mov_b32_e32 v1, s4
	;; [unrolled: 1-line block ×3, first 2 shown]
	s_barrier
	s_getpc_b64 s[6:7]
	s_add_u32 s6, s6, __assert_fail@rel32@lo+4
	s_addc_u32 s7, s7, __assert_fail@rel32@hi+12
	s_swappc_b64 s[30:31], s[6:7]
	; divergent unreachable
.LBB813_10:
	s_endpgm
.LBB813_11:
	s_mov_b64 s[18:19], 0
	s_branch .LBB813_2
	.section	.rodata,"a",@progbits
	.p2align	6, 0x0
	.amdhsa_kernel _Z39paged_attention_ll4mi_QKV_mfma16_kernelI14__hip_bfloat16hLN4vllm18Fp8KVCacheDataTypeE1ES0_Li32ELi128ELi256ELb1ELi4EL8MFMAType1EEvPKT_PKT0_S9_ifPKiSB_SB_iPKfiiiPfSE_PS4_PT2_iSD_SD_
		.amdhsa_group_segment_fixed_size 8192
		.amdhsa_private_segment_fixed_size 64
		.amdhsa_kernarg_size 400
		.amdhsa_user_sgpr_count 8
		.amdhsa_user_sgpr_private_segment_buffer 1
		.amdhsa_user_sgpr_dispatch_ptr 0
		.amdhsa_user_sgpr_queue_ptr 0
		.amdhsa_user_sgpr_kernarg_segment_ptr 1
		.amdhsa_user_sgpr_dispatch_id 0
		.amdhsa_user_sgpr_flat_scratch_init 1
		.amdhsa_user_sgpr_kernarg_preload_length 0
		.amdhsa_user_sgpr_kernarg_preload_offset 0
		.amdhsa_user_sgpr_private_segment_size 0
		.amdhsa_uses_dynamic_stack 0
		.amdhsa_system_sgpr_private_segment_wavefront_offset 1
		.amdhsa_system_sgpr_workgroup_id_x 1
		.amdhsa_system_sgpr_workgroup_id_y 1
		.amdhsa_system_sgpr_workgroup_id_z 1
		.amdhsa_system_sgpr_workgroup_info 0
		.amdhsa_system_vgpr_workitem_id 0
		.amdhsa_next_free_vgpr 45
		.amdhsa_next_free_sgpr 34
		.amdhsa_accum_offset 44
		.amdhsa_reserve_vcc 1
		.amdhsa_reserve_flat_scratch 1
		.amdhsa_float_round_mode_32 0
		.amdhsa_float_round_mode_16_64 0
		.amdhsa_float_denorm_mode_32 3
		.amdhsa_float_denorm_mode_16_64 3
		.amdhsa_dx10_clamp 1
		.amdhsa_ieee_mode 1
		.amdhsa_fp16_overflow 0
		.amdhsa_tg_split 0
		.amdhsa_exception_fp_ieee_invalid_op 0
		.amdhsa_exception_fp_denorm_src 0
		.amdhsa_exception_fp_ieee_div_zero 0
		.amdhsa_exception_fp_ieee_overflow 0
		.amdhsa_exception_fp_ieee_underflow 0
		.amdhsa_exception_fp_ieee_inexact 0
		.amdhsa_exception_int_div_zero 0
	.end_amdhsa_kernel
	.section	.text._Z39paged_attention_ll4mi_QKV_mfma16_kernelI14__hip_bfloat16hLN4vllm18Fp8KVCacheDataTypeE1ES0_Li32ELi128ELi256ELb1ELi4EL8MFMAType1EEvPKT_PKT0_S9_ifPKiSB_SB_iPKfiiiPfSE_PS4_PT2_iSD_SD_,"axG",@progbits,_Z39paged_attention_ll4mi_QKV_mfma16_kernelI14__hip_bfloat16hLN4vllm18Fp8KVCacheDataTypeE1ES0_Li32ELi128ELi256ELb1ELi4EL8MFMAType1EEvPKT_PKT0_S9_ifPKiSB_SB_iPKfiiiPfSE_PS4_PT2_iSD_SD_,comdat
.Lfunc_end813:
	.size	_Z39paged_attention_ll4mi_QKV_mfma16_kernelI14__hip_bfloat16hLN4vllm18Fp8KVCacheDataTypeE1ES0_Li32ELi128ELi256ELb1ELi4EL8MFMAType1EEvPKT_PKT0_S9_ifPKiSB_SB_iPKfiiiPfSE_PS4_PT2_iSD_SD_, .Lfunc_end813-_Z39paged_attention_ll4mi_QKV_mfma16_kernelI14__hip_bfloat16hLN4vllm18Fp8KVCacheDataTypeE1ES0_Li32ELi128ELi256ELb1ELi4EL8MFMAType1EEvPKT_PKT0_S9_ifPKiSB_SB_iPKfiiiPfSE_PS4_PT2_iSD_SD_
                                        ; -- End function
	.section	.AMDGPU.csdata,"",@progbits
; Kernel info:
; codeLenInByte = 488
; NumSgprs: 40
; NumVgprs: 42
; NumAgprs: 1
; TotalNumVgprs: 45
; ScratchSize: 64
; MemoryBound: 0
; FloatMode: 240
; IeeeMode: 1
; LDSByteSize: 8192 bytes/workgroup (compile time only)
; SGPRBlocks: 4
; VGPRBlocks: 5
; NumSGPRsForWavesPerEU: 40
; NumVGPRsForWavesPerEU: 45
; AccumOffset: 44
; Occupancy: 8
; WaveLimiterHint : 1
; COMPUTE_PGM_RSRC2:SCRATCH_EN: 1
; COMPUTE_PGM_RSRC2:USER_SGPR: 8
; COMPUTE_PGM_RSRC2:TRAP_HANDLER: 0
; COMPUTE_PGM_RSRC2:TGID_X_EN: 1
; COMPUTE_PGM_RSRC2:TGID_Y_EN: 1
; COMPUTE_PGM_RSRC2:TGID_Z_EN: 1
; COMPUTE_PGM_RSRC2:TIDIG_COMP_CNT: 0
; COMPUTE_PGM_RSRC3_GFX90A:ACCUM_OFFSET: 10
; COMPUTE_PGM_RSRC3_GFX90A:TG_SPLIT: 0
	.section	.text._Z38paged_attention_ll4mi_QKV_mfma4_kernelI14__hip_bfloat16hLN4vllm18Fp8KVCacheDataTypeE1ES0_Li32ELi128ELi256ELb0ELi1EEvPKT_PKT0_S8_ifPKiSA_SA_iPKfiiiPfSD_PS3_PT2_iSC_SC_,"axG",@progbits,_Z38paged_attention_ll4mi_QKV_mfma4_kernelI14__hip_bfloat16hLN4vllm18Fp8KVCacheDataTypeE1ES0_Li32ELi128ELi256ELb0ELi1EEvPKT_PKT0_S8_ifPKiSA_SA_iPKfiiiPfSD_PS3_PT2_iSC_SC_,comdat
	.protected	_Z38paged_attention_ll4mi_QKV_mfma4_kernelI14__hip_bfloat16hLN4vllm18Fp8KVCacheDataTypeE1ES0_Li32ELi128ELi256ELb0ELi1EEvPKT_PKT0_S8_ifPKiSA_SA_iPKfiiiPfSD_PS3_PT2_iSC_SC_ ; -- Begin function _Z38paged_attention_ll4mi_QKV_mfma4_kernelI14__hip_bfloat16hLN4vllm18Fp8KVCacheDataTypeE1ES0_Li32ELi128ELi256ELb0ELi1EEvPKT_PKT0_S8_ifPKiSA_SA_iPKfiiiPfSD_PS3_PT2_iSC_SC_
	.globl	_Z38paged_attention_ll4mi_QKV_mfma4_kernelI14__hip_bfloat16hLN4vllm18Fp8KVCacheDataTypeE1ES0_Li32ELi128ELi256ELb0ELi1EEvPKT_PKT0_S8_ifPKiSA_SA_iPKfiiiPfSD_PS3_PT2_iSC_SC_
	.p2align	8
	.type	_Z38paged_attention_ll4mi_QKV_mfma4_kernelI14__hip_bfloat16hLN4vllm18Fp8KVCacheDataTypeE1ES0_Li32ELi128ELi256ELb0ELi1EEvPKT_PKT0_S8_ifPKiSA_SA_iPKfiiiPfSD_PS3_PT2_iSC_SC_,@function
_Z38paged_attention_ll4mi_QKV_mfma4_kernelI14__hip_bfloat16hLN4vllm18Fp8KVCacheDataTypeE1ES0_Li32ELi128ELi256ELb0ELi1EEvPKT_PKT0_S8_ifPKiSA_SA_iPKfiiiPfSD_PS3_PT2_iSC_SC_: ; @_Z38paged_attention_ll4mi_QKV_mfma4_kernelI14__hip_bfloat16hLN4vllm18Fp8KVCacheDataTypeE1ES0_Li32ELi128ELi256ELb0ELi1EEvPKT_PKT0_S8_ifPKiSA_SA_iPKfiiiPfSD_PS3_PT2_iSC_SC_
; %bb.0:
	s_load_dwordx2 s[24:25], s[4:5], 0x30
	s_add_u32 s0, s0, s11
	s_addc_u32 s1, s1, 0
	s_mov_b32 s28, s9
	s_mov_b64 s[6:7], 0
	s_waitcnt lgkmcnt(0)
	s_cmp_lg_u64 s[24:25], 0
	s_cselect_b64 s[26:27], -1, 0
	s_and_b64 vcc, exec, s[26:27]
	s_cbranch_vccz .LBB814_10
; %bb.1:
	s_add_i32 s12, s8, 1
	s_mov_b32 s13, 0
	s_lshl_b64 s[14:15], s[12:13], 2
	s_add_u32 s14, s24, s14
	s_mov_b32 s9, s13
	s_addc_u32 s15, s25, s15
	s_lshl_b64 s[12:13], s[8:9], 2
	s_add_u32 s12, s24, s12
	s_addc_u32 s13, s25, s13
	s_load_dword s11, s[14:15], 0x0
	s_load_dword s16, s[12:13], 0x0
	s_waitcnt lgkmcnt(0)
	s_sub_i32 s11, s11, s16
	s_cmp_eq_u32 s11, 1
	s_cselect_b64 s[12:13], -1, 0
	s_andn2_b64 vcc, exec, s[6:7]
	s_cbranch_vccnz .LBB814_3
.LBB814_2:
	s_mov_b32 s9, 0
	s_mov_b64 s[12:13], -1
.LBB814_3:
	s_andn2_b64 vcc, exec, s[12:13]
	s_cbranch_vccnz .LBB814_1178
; %bb.4:
	s_load_dword s11, s[4:5], 0x9c
	s_load_dwordx2 s[6:7], s[4:5], 0x28
	s_add_u32 s34, s4, 0x90
	s_addc_u32 s35, s5, 0
	s_lshl_b64 s[38:39], s[8:9], 2
	s_waitcnt lgkmcnt(0)
	s_and_b32 s11, s11, 0xffff
	s_add_u32 s6, s6, s38
	s_addc_u32 s7, s7, s39
	s_load_dword s9, s[6:7], 0x0
	s_mul_i32 s14, s28, s11
	s_waitcnt lgkmcnt(0)
	s_cmp_ge_i32 s14, s9
	s_cbranch_scc1 .LBB814_1178
; %bb.5:
	v_and_b32_e32 v1, 0xc0, v0
	v_add_u32_e32 v7, s14, v1
	v_lshrrev_b32_e32 v42, 6, v0
	v_cmp_le_i32_e64 s[6:7], s9, v7
                                        ; implicit-def: $sgpr29
                                        ; implicit-def: $sgpr15
	s_and_saveexec_b64 s[12:13], s[6:7]
	s_xor_b64 s[12:13], exec, s[12:13]
	s_cbranch_execz .LBB814_7
; %bb.6:
	v_mul_u32_u24_e32 v1, 20, v42
	v_or_b32_e32 v1, 0x1400, v1
	v_mov_b32_e32 v2, 0x1450
	v_mov_b32_e32 v3, 0xff7fffff
	v_mad_u32_u24 v2, v42, 20, v2
	ds_write2_b32 v1, v3, v3 offset1:1
	v_mov_b32_e32 v1, 0
	ds_write2_b32 v2, v1, v1 offset1:1
	v_mov_b32_e32 v2, 0x1408
	s_mov_b32 s15, 0xff7fffff
	s_mov_b32 s29, 0
	v_mad_u32_u24 v2, v42, 20, v2
	v_mov_b32_e32 v4, 0x1458
	v_mad_u32_u24 v4, v42, 20, v4
	ds_write2_b32 v2, v3, v3 offset1:1
	ds_write2_b32 v4, v1, v1 offset1:1
                                        ; implicit-def: $vgpr7
.LBB814_7:
	s_or_saveexec_b64 s[36:37], s[12:13]
	s_load_dwordx2 s[30:31], s[4:5], 0x68
	s_load_dwordx4 s[20:23], s[4:5], 0x58
	s_load_dword s11, s[34:35], 0x4
	s_load_dwordx4 s[16:19], s[4:5], 0x80
	v_and_b32_e32 v1, 63, v0
	v_and_b32_e32 v43, 3, v0
	v_mov_b32_e32 v5, s29
	v_mov_b32_e32 v6, s15
	;; [unrolled: 1-line block ×5, first 2 shown]
	s_xor_b64 exec, exec, s[36:37]
	s_cbranch_execz .LBB814_785
; %bb.8:
	s_add_i32 s29, s9, 31
	s_load_dwordx2 s[12:13], s[4:5], 0x20
	s_load_dword s15, s[4:5], 0x38
	s_ashr_i32 s33, s29, 31
	s_lshr_b32 s33, s33, 27
	v_add_u32_e32 v44, s14, v0
	s_add_i32 s29, s29, s33
	v_ashrrev_i32_e32 v2, 31, v44
	s_ashr_i32 s29, s29, 5
	v_lshrrev_b32_e32 v2, 27, v2
	s_add_i32 s29, s29, -1
	v_add_u32_e32 v2, v44, v2
	s_waitcnt lgkmcnt(0)
	s_mul_i32 s40, s8, s15
	s_mov_b32 s41, 0
	v_ashrrev_i32_e32 v2, 5, v2
	v_mov_b32_e32 v3, s29
	v_cmp_gt_i32_e32 vcc, s9, v44
	s_lshl_b64 s[40:41], s[40:41], 2
	v_cndmask_b32_e32 v2, v3, v2, vcc
	s_add_u32 s12, s12, s40
	v_ashrrev_i32_e32 v3, 31, v2
	s_addc_u32 s13, s13, s41
	v_lshlrev_b64 v[2:3], 2, v[2:3]
	v_mov_b32_e32 v4, s13
	v_add_co_u32_e32 v2, vcc, s12, v2
	v_addc_co_u32_e32 v3, vcc, v4, v3, vcc
	v_ashrrev_i32_e32 v4, 31, v7
	v_lshrrev_b32_e32 v4, 27, v4
	v_add_u32_e32 v4, v7, v4
	v_ashrrev_i32_e32 v6, 5, v4
	v_min_i32_e32 v4, s29, v6
	v_ashrrev_i32_e32 v5, 31, v4
	v_lshlrev_b64 v[4:5], 2, v[4:5]
	v_add_u32_e32 v6, 1, v6
	v_mov_b32_e32 v7, s13
	v_add_co_u32_e32 v4, vcc, s12, v4
	v_min_i32_e32 v6, s29, v6
	v_addc_co_u32_e32 v5, vcc, v7, v5, vcc
	v_ashrrev_i32_e32 v7, 31, v6
	v_lshlrev_b64 v[6:7], 2, v[6:7]
	v_mov_b32_e32 v8, s13
	v_add_co_u32_e32 v10, vcc, s12, v6
	v_addc_co_u32_e32 v11, vcc, v8, v7, vcc
	global_load_dword v6, v[2:3], off
	global_load_dword v8, v[4:5], off
	;; [unrolled: 1-line block ×3, first 2 shown]
	s_load_dwordx4 s[12:15], s[4:5], 0x8
	s_andn2_b64 vcc, exec, s[26:27]
	s_cbranch_vccnz .LBB814_11
; %bb.9:
	s_add_u32 s24, s24, s38
	s_addc_u32 s25, s25, s39
	s_load_dword s29, s[24:25], 0x0
	s_branch .LBB814_12
.LBB814_10:
	s_mov_b64 s[12:13], 0
	s_branch .LBB814_2
.LBB814_11:
	s_mov_b32 s29, s8
.LBB814_12:
	s_load_dwordx4 s[24:27], s[4:5], 0x48
	v_cmp_eq_u32_e32 vcc, 0, v43
	s_mov_b32 s41, 0
	v_mov_b32_e32 v39, 0
	v_mov_b32_e32 v2, 0
	;; [unrolled: 1-line block ×5, first 2 shown]
	s_and_saveexec_b64 s[38:39], vcc
	s_cbranch_execz .LBB814_14
; %bb.13:
	s_load_dwordx2 s[42:43], s[4:5], 0x0
	s_waitcnt lgkmcnt(0)
	s_ashr_i32 s27, s24, 31
	s_mul_hi_u32 s33, s29, s24
	s_mul_i32 s27, s29, s27
	s_add_i32 s45, s33, s27
	s_mul_i32 s44, s29, s24
	s_lshl_b64 s[44:45], s[44:45], 1
	s_add_u32 s24, s42, s44
	s_addc_u32 s27, s43, s45
	s_lshl_b32 s40, s10, 7
	s_lshl_b64 s[40:41], s[40:41], 1
	s_add_u32 s40, s24, s40
	s_addc_u32 s41, s27, s41
	v_lshlrev_b32_e32 v2, 2, v1
	global_load_dwordx4 v[2:5], v2, s[40:41]
.LBB814_14:
	s_or_b64 exec, exec, s[38:39]
	s_waitcnt lgkmcnt(0)
	s_mul_i32 s24, s10, s26
	s_waitcnt vmcnt(1)
	v_mul_hi_i32 v9, v8, s25
	s_add_u32 s26, s24, s12
	v_ashrrev_i32_e32 v9, 31, v9
	s_addc_u32 s27, 0, s13
	v_lshrrev_b32_e32 v38, 29, v9
	s_add_u32 s14, s14, s24
	v_mad_i64_i32 v[8:9], s[12:13], v8, s25, v[38:39]
	s_addc_u32 s15, s15, 0
	v_and_b32_e32 v8, -8, v8
	v_mov_b32_e32 v10, s15
	v_add_co_u32_e64 v8, s[12:13], s14, v8
	v_addc_co_u32_e64 v9, s[12:13], v10, v9, s[12:13]
	v_lshlrev_b32_e32 v16, 5, v1
	v_add_co_u32_e64 v12, s[12:13], v8, v16
	v_addc_co_u32_e64 v13, s[12:13], 0, v9, s[12:13]
	global_load_dwordx4 v[8:11], v[12:13], off
	global_load_dwordx4 v[46:49], v[12:13], off offset:16
	s_waitcnt vmcnt(2)
	v_mul_hi_i32 v15, v7, s25
	v_lshlrev_b32_e32 v14, 4, v0
	v_ashrrev_i32_e32 v18, 31, v15
	v_and_b32_e32 v17, 0x1f0, v14
	v_pk_mov_b32 v[14:15], s[26:27], s[26:27] op_sel:[0,1]
	v_lshrrev_b32_e32 v38, 29, v18
	v_mad_i64_i32 v[14:15], s[12:13], v6, s25, v[14:15]
	v_mad_i64_i32 v[6:7], s[12:13], v7, s25, v[38:39]
	v_add_co_u32_e64 v40, s[12:13], v14, v17
	v_addc_co_u32_e64 v41, s[12:13], 0, v15, s[12:13]
	v_and_b32_e32 v6, -8, v6
	v_mov_b32_e32 v14, s15
	v_add_co_u32_e64 v6, s[12:13], s14, v6
	v_addc_co_u32_e64 v7, s[12:13], v14, v7, s[12:13]
	v_add_co_u32_e64 v6, s[12:13], v6, v16
	v_addc_co_u32_e64 v7, s[12:13], 0, v7, s[12:13]
	global_load_dwordx4 v[50:53], v[12:13], off offset:2064
	global_load_dwordx4 v[54:57], v[12:13], off offset:2048
	;; [unrolled: 1-line block ×3, first 2 shown]
	global_load_dwordx4 v[62:65], v[6:7], off
	global_load_dwordx4 v[34:37], v[40:41], off
	global_load_dwordx4 v[30:33], v[40:41], off offset:512
	global_load_dwordx4 v[26:29], v[40:41], off offset:1024
	;; [unrolled: 1-line block ×5, first 2 shown]
	s_waitcnt vmcnt(11)
	buffer_store_dword v9, off, s[0:3], 0 offset:4
	buffer_store_dword v8, off, s[0:3], 0
	buffer_store_dword v11, off, s[0:3], 0 offset:12
	buffer_store_dword v10, off, s[0:3], 0 offset:8
	global_load_dwordx4 v[18:21], v[40:41], off offset:2048
	global_load_dwordx4 v[14:17], v[40:41], off offset:2560
	s_waitcnt vmcnt(16)
	buffer_store_dword v47, off, s[0:3], 0 offset:20
	buffer_store_dword v46, off, s[0:3], 0 offset:16
	;; [unrolled: 1-line block ×4, first 2 shown]
	global_load_dwordx4 v[10:13], v[40:41], off offset:3072
	global_load_dwordx4 v[6:9], v[40:41], off offset:3584
	s_waitcnt vmcnt(20)
	buffer_store_dword v55, off, s[0:3], 0 offset:68
	buffer_store_dword v54, off, s[0:3], 0 offset:64
	buffer_store_dword v57, off, s[0:3], 0 offset:76
	buffer_store_dword v56, off, s[0:3], 0 offset:72
	buffer_store_dword v51, off, s[0:3], 0 offset:84
	buffer_store_dword v50, off, s[0:3], 0 offset:80
	buffer_store_dword v53, off, s[0:3], 0 offset:92
	buffer_store_dword v52, off, s[0:3], 0 offset:88
	s_waitcnt vmcnt(26)
	buffer_store_dword v63, off, s[0:3], 0 offset:36
	buffer_store_dword v62, off, s[0:3], 0 offset:32
	buffer_store_dword v65, off, s[0:3], 0 offset:44
	buffer_store_dword v64, off, s[0:3], 0 offset:40
	buffer_store_dword v59, off, s[0:3], 0 offset:52
	buffer_store_dword v58, off, s[0:3], 0 offset:48
	buffer_store_dword v61, off, s[0:3], 0 offset:60
	buffer_store_dword v60, off, s[0:3], 0 offset:56
	;; [unrolled: 9-line block ×3, first 2 shown]
	v_cmp_ne_u16_sdwa s[12:13], v34, v39 src0_sel:BYTE_0 src1_sel:DWORD
	s_and_saveexec_b64 s[14:15], s[12:13]
	s_cbranch_execz .LBB814_20
; %bb.15:
	s_movk_i32 s12, 0x80
	v_cmp_ne_u16_sdwa s[12:13], v34, s12 src0_sel:BYTE_0 src1_sel:DWORD
	v_mov_b32_e32 v39, 0xffff8000
	s_and_saveexec_b64 s[24:25], s[12:13]
	s_cbranch_execz .LBB814_19
; %bb.16:
	s_movk_i32 s12, 0x7f
	v_and_b32_e32 v38, 0x7f, v34
	v_cmp_ne_u32_e64 s[12:13], s12, v38
	v_mov_b32_e32 v39, 0x7f80
	s_and_saveexec_b64 s[26:27], s[12:13]
	s_cbranch_execz .LBB814_18
; %bb.17:
	v_and_b32_e32 v39, 7, v34
	v_ffbh_u32_e32 v39, v39
	v_min_u32_e32 v39, 32, v39
	v_subrev_u32_e32 v41, 28, v39
	v_cmp_gt_u32_e64 s[12:13], 8, v38
	v_lshrrev_b32_e32 v40, 3, v38
	v_sub_u32_e32 v39, 29, v39
	v_cndmask_b32_e64 v38, 0, v41, s[12:13]
	v_cndmask_b32_e64 v40, v40, v39, s[12:13]
	v_lshlrev_b64 v[38:39], v38, v[34:35]
	v_lshlrev_b32_e32 v38, 20, v38
	v_lshlrev_b32_e32 v39, 24, v34
	v_bfrev_b32_e32 v41, 60
	v_and_b32_e32 v38, 0x700000, v38
	v_and_b32_e32 v39, 0x80000000, v39
	v_lshl_add_u32 v40, v40, 23, v41
	v_or3_b32 v38, v39, v40, v38
	v_lshrrev_b32_e32 v39, 16, v38
.LBB814_18:
	s_or_b64 exec, exec, s[26:27]
.LBB814_19:
	s_or_b64 exec, exec, s[24:25]
.LBB814_20:
	s_or_b64 exec, exec, s[14:15]
	v_lshrrev_b16_e32 v38, 8, v34
	v_cmp_ne_u16_e64 s[12:13], 0, v38
	v_mov_b32_e32 v46, 0
	v_mov_b32_e32 v45, 0
	s_and_saveexec_b64 s[14:15], s[12:13]
	s_cbranch_execz .LBB814_26
; %bb.21:
	s_movk_i32 s12, 0x80
	v_cmp_ne_u16_e64 s[12:13], s12, v38
	v_mov_b32_e32 v45, 0xffff8000
	s_and_saveexec_b64 s[24:25], s[12:13]
	s_cbranch_execz .LBB814_25
; %bb.22:
	s_movk_i32 s12, 0x7f
	v_and_b32_e32 v40, 0x7f, v38
	v_cmp_ne_u32_e64 s[12:13], s12, v40
	v_mov_b32_e32 v45, 0x7f80
	s_and_saveexec_b64 s[26:27], s[12:13]
	s_cbranch_execz .LBB814_24
; %bb.23:
	v_and_b32_e32 v41, 7, v38
	v_ffbh_u32_e32 v47, v41
	v_min_u32_e32 v47, 32, v47
	v_subrev_u32_e32 v48, 28, v47
	v_lshlrev_b64 v[48:49], v48, v[38:39]
	v_lshrrev_b32_e32 v45, 3, v40
	v_sub_u32_e32 v38, 29, v47
	v_and_b32_e32 v47, 7, v48
	v_cmp_gt_u32_e64 s[12:13], 8, v40
	v_cndmask_b32_e64 v38, v45, v38, s[12:13]
	v_cndmask_b32_e64 v40, v41, v47, s[12:13]
	v_lshlrev_b32_e32 v41, 16, v34
	v_bfrev_b32_e32 v45, 60
	v_lshlrev_b32_e32 v40, 20, v40
	v_and_b32_e32 v41, 0x80000000, v41
	v_lshl_add_u32 v38, v38, 23, v45
	v_or3_b32 v38, v41, v38, v40
	v_lshrrev_b32_e32 v45, 16, v38
.LBB814_24:
	s_or_b64 exec, exec, s[26:27]
.LBB814_25:
	s_or_b64 exec, exec, s[24:25]
.LBB814_26:
	s_or_b64 exec, exec, s[14:15]
	s_movk_i32 s12, 0xff
	v_and_b32_sdwa v40, v34, s12 dst_sel:DWORD dst_unused:UNUSED_PAD src0_sel:WORD_1 src1_sel:DWORD
	v_lshrrev_b32_e32 v38, 16, v34
	v_cmp_ne_u16_e64 s[12:13], 0, v40
	s_and_saveexec_b64 s[14:15], s[12:13]
	s_cbranch_execz .LBB814_32
; %bb.27:
	s_movk_i32 s12, 0x80
	v_cmp_ne_u16_e64 s[12:13], s12, v40
	v_mov_b32_e32 v46, 0xffff8000
	s_and_saveexec_b64 s[24:25], s[12:13]
	s_cbranch_execz .LBB814_31
; %bb.28:
	v_bfe_u32 v40, v34, 16, 7
	s_movk_i32 s12, 0x7f
	v_cmp_ne_u32_e64 s[12:13], s12, v40
	v_mov_b32_e32 v46, 0x7f80
	s_and_saveexec_b64 s[26:27], s[12:13]
	s_cbranch_execz .LBB814_30
; %bb.29:
	v_and_b32_e32 v41, 7, v38
	v_ffbh_u32_e32 v46, v41
	v_min_u32_e32 v49, 32, v46
	v_subrev_u32_e32 v46, 28, v49
	v_lshlrev_b64 v[46:47], v46, v[38:39]
	v_and_b32_e32 v46, 7, v46
	v_cmp_gt_u32_e64 s[12:13], 8, v40
	v_lshrrev_b32_e32 v48, 3, v40
	v_sub_u32_e32 v38, 29, v49
	v_cndmask_b32_e64 v40, v41, v46, s[12:13]
	v_mov_b32_e32 v41, 24
	v_cndmask_b32_e64 v38, v48, v38, s[12:13]
	v_lshlrev_b32_sdwa v41, v41, v34 dst_sel:DWORD dst_unused:UNUSED_PAD src0_sel:DWORD src1_sel:WORD_1
	v_bfrev_b32_e32 v46, 60
	v_lshlrev_b32_e32 v40, 20, v40
	v_and_b32_e32 v41, 0x80000000, v41
	v_lshl_add_u32 v38, v38, 23, v46
	v_or3_b32 v38, v41, v38, v40
	v_lshrrev_b32_e32 v46, 16, v38
.LBB814_30:
	s_or_b64 exec, exec, s[26:27]
.LBB814_31:
	s_or_b64 exec, exec, s[24:25]
.LBB814_32:
	s_or_b64 exec, exec, s[14:15]
	s_mov_b32 s12, 0xffffff
	v_cmp_lt_u32_e64 s[12:13], s12, v34
	v_mov_b32_e32 v41, 0
	v_mov_b32_e32 v47, 0
	s_and_saveexec_b64 s[14:15], s[12:13]
	s_cbranch_execz .LBB814_38
; %bb.33:
	v_lshrrev_b32_e32 v38, 24, v34
	s_movk_i32 s12, 0x80
	v_cmp_ne_u32_e64 s[12:13], s12, v38
	v_mov_b32_e32 v47, 0xffff8000
	s_and_saveexec_b64 s[24:25], s[12:13]
	s_cbranch_execz .LBB814_37
; %bb.34:
	v_bfe_u32 v40, v34, 24, 7
	s_movk_i32 s12, 0x7f
	v_cmp_ne_u32_e64 s[12:13], s12, v40
	v_mov_b32_e32 v47, 0x7f80
	s_and_saveexec_b64 s[26:27], s[12:13]
	s_cbranch_execz .LBB814_36
; %bb.35:
	v_and_b32_e32 v47, 7, v38
	v_ffbh_u32_e32 v48, v47
	v_min_u32_e32 v51, 32, v48
	v_subrev_u32_e32 v48, 28, v51
	v_lshlrev_b64 v[48:49], v48, v[38:39]
	v_lshrrev_b32_e32 v50, 3, v40
	v_sub_u32_e32 v49, 29, v51
	v_and_b32_e32 v48, 7, v48
	v_cmp_gt_u32_e64 s[12:13], 8, v40
	v_cndmask_b32_e64 v40, v50, v49, s[12:13]
	v_cndmask_b32_e64 v47, v47, v48, s[12:13]
	v_lshlrev_b32_e32 v38, 24, v38
	v_bfrev_b32_e32 v48, 60
	v_lshlrev_b32_e32 v47, 20, v47
	v_and_b32_e32 v38, 0x80000000, v38
	v_lshl_add_u32 v40, v40, 23, v48
	v_or3_b32 v38, v38, v40, v47
	v_lshrrev_b32_e32 v47, 16, v38
.LBB814_36:
	s_or_b64 exec, exec, s[26:27]
.LBB814_37:
	s_or_b64 exec, exec, s[24:25]
.LBB814_38:
	s_or_b64 exec, exec, s[14:15]
	v_mov_b32_e32 v40, v35
	v_cmp_ne_u16_sdwa s[12:13], v35, v41 src0_sel:BYTE_0 src1_sel:DWORD
	s_and_saveexec_b64 s[14:15], s[12:13]
	s_cbranch_execz .LBB814_44
; %bb.39:
	s_movk_i32 s12, 0x80
	v_cmp_ne_u16_sdwa s[12:13], v35, s12 src0_sel:BYTE_0 src1_sel:DWORD
	v_mov_b32_e32 v38, 0xffff8000
	s_and_saveexec_b64 s[24:25], s[12:13]
	s_cbranch_execz .LBB814_43
; %bb.40:
	s_movk_i32 s12, 0x7f
	v_and_b32_e32 v48, 0x7f, v35
	v_cmp_ne_u32_e64 s[12:13], s12, v48
	v_mov_b32_e32 v38, 0x7f80
	s_and_saveexec_b64 s[26:27], s[12:13]
	s_cbranch_execz .LBB814_42
; %bb.41:
	v_and_b32_e32 v38, 7, v35
	v_ffbh_u32_e32 v38, v38
	v_min_u32_e32 v38, 32, v38
	v_subrev_u32_e32 v50, 28, v38
	v_cmp_gt_u32_e64 s[12:13], 8, v48
	v_lshrrev_b32_e32 v49, 3, v48
	v_sub_u32_e32 v38, 29, v38
	v_cndmask_b32_e64 v48, 0, v50, s[12:13]
	v_cndmask_b32_e64 v38, v49, v38, s[12:13]
	v_lshlrev_b64 v[48:49], v48, v[40:41]
	v_lshlrev_b32_e32 v41, 20, v48
	v_lshlrev_b32_e32 v48, 24, v40
	v_bfrev_b32_e32 v49, 60
	v_and_b32_e32 v41, 0x700000, v41
	v_and_b32_e32 v48, 0x80000000, v48
	v_lshl_add_u32 v38, v38, 23, v49
	v_or3_b32 v38, v48, v38, v41
	v_lshrrev_b32_e32 v38, 16, v38
.LBB814_42:
	s_or_b64 exec, exec, s[26:27]
.LBB814_43:
	s_or_b64 exec, exec, s[24:25]
	v_mov_b32_e32 v41, v38
.LBB814_44:
	s_or_b64 exec, exec, s[14:15]
	v_lshrrev_b16_e32 v38, 8, v40
	v_cmp_ne_u16_e64 s[12:13], 0, v38
	v_mov_b32_e32 v49, 0
	v_mov_b32_e32 v48, 0
	s_and_saveexec_b64 s[14:15], s[12:13]
	s_cbranch_execz .LBB814_50
; %bb.45:
	s_movk_i32 s12, 0x80
	v_cmp_ne_u16_e64 s[12:13], s12, v38
	v_mov_b32_e32 v48, 0xffff8000
	s_and_saveexec_b64 s[24:25], s[12:13]
	s_cbranch_execz .LBB814_49
; %bb.46:
	s_movk_i32 s12, 0x7f
	v_and_b32_e32 v50, 0x7f, v38
	v_cmp_ne_u32_e64 s[12:13], s12, v50
	v_mov_b32_e32 v48, 0x7f80
	s_and_saveexec_b64 s[26:27], s[12:13]
	s_cbranch_execz .LBB814_48
; %bb.47:
	v_and_b32_e32 v48, 7, v38
	v_ffbh_u32_e32 v52, v48
	v_min_u32_e32 v54, 32, v52
	v_subrev_u32_e32 v52, 28, v54
	v_lshlrev_b64 v[52:53], v52, v[38:39]
	v_lshrrev_b32_e32 v51, 3, v50
	v_sub_u32_e32 v38, 29, v54
	v_and_b32_e32 v52, 7, v52
	v_cmp_gt_u32_e64 s[12:13], 8, v50
	v_cndmask_b32_e64 v38, v51, v38, s[12:13]
	v_cndmask_b32_e64 v48, v48, v52, s[12:13]
	v_lshlrev_b32_e32 v40, 16, v40
	v_bfrev_b32_e32 v50, 60
	v_lshlrev_b32_e32 v48, 20, v48
	v_and_b32_e32 v40, 0x80000000, v40
	v_lshl_add_u32 v38, v38, 23, v50
	v_or3_b32 v38, v40, v38, v48
	v_lshrrev_b32_e32 v48, 16, v38
.LBB814_48:
	s_or_b64 exec, exec, s[26:27]
.LBB814_49:
	s_or_b64 exec, exec, s[24:25]
.LBB814_50:
	s_or_b64 exec, exec, s[14:15]
	s_movk_i32 s12, 0xff
	v_and_b32_sdwa v40, v35, s12 dst_sel:DWORD dst_unused:UNUSED_PAD src0_sel:WORD_1 src1_sel:DWORD
	v_lshrrev_b32_e32 v38, 16, v35
	v_cmp_ne_u16_e64 s[12:13], 0, v40
	s_and_saveexec_b64 s[14:15], s[12:13]
	s_cbranch_execz .LBB814_56
; %bb.51:
	s_movk_i32 s12, 0x80
	v_cmp_ne_u16_e64 s[12:13], s12, v40
	v_mov_b32_e32 v49, 0xffff8000
	s_and_saveexec_b64 s[24:25], s[12:13]
	s_cbranch_execz .LBB814_55
; %bb.52:
	v_bfe_u32 v40, v35, 16, 7
	s_movk_i32 s12, 0x7f
	v_cmp_ne_u32_e64 s[12:13], s12, v40
	v_mov_b32_e32 v49, 0x7f80
	s_and_saveexec_b64 s[26:27], s[12:13]
	s_cbranch_execz .LBB814_54
; %bb.53:
	v_and_b32_e32 v49, 7, v38
	v_ffbh_u32_e32 v50, v49
	v_min_u32_e32 v53, 32, v50
	v_subrev_u32_e32 v50, 28, v53
	v_lshlrev_b64 v[50:51], v50, v[38:39]
	v_and_b32_e32 v50, 7, v50
	v_cmp_gt_u32_e64 s[12:13], 8, v40
	v_lshrrev_b32_e32 v52, 3, v40
	v_sub_u32_e32 v38, 29, v53
	v_cndmask_b32_e64 v40, v49, v50, s[12:13]
	v_mov_b32_e32 v49, 24
	v_cndmask_b32_e64 v38, v52, v38, s[12:13]
	v_lshlrev_b32_sdwa v49, v49, v35 dst_sel:DWORD dst_unused:UNUSED_PAD src0_sel:DWORD src1_sel:WORD_1
	v_bfrev_b32_e32 v50, 60
	v_lshlrev_b32_e32 v40, 20, v40
	v_and_b32_e32 v49, 0x80000000, v49
	v_lshl_add_u32 v38, v38, 23, v50
	v_or3_b32 v38, v49, v38, v40
	v_lshrrev_b32_e32 v49, 16, v38
.LBB814_54:
	s_or_b64 exec, exec, s[26:27]
.LBB814_55:
	s_or_b64 exec, exec, s[24:25]
.LBB814_56:
	s_or_b64 exec, exec, s[14:15]
	s_mov_b32 s12, -1
	s_mov_b32 s13, 0xffffff
	v_cmp_lt_u64_e64 s[12:13], s[12:13], v[34:35]
	v_mov_b32_e32 v40, 0
	v_mov_b32_e32 v38, 0
	s_and_saveexec_b64 s[14:15], s[12:13]
	s_cbranch_execz .LBB814_62
; %bb.57:
	v_lshrrev_b32_e32 v34, 24, v35
	s_movk_i32 s12, 0x80
	v_cmp_ne_u32_e64 s[12:13], s12, v34
	v_mov_b32_e32 v38, 0xffff8000
	s_and_saveexec_b64 s[24:25], s[12:13]
	s_cbranch_execz .LBB814_61
; %bb.58:
	v_bfe_u32 v35, v35, 24, 7
	s_movk_i32 s12, 0x7f
	v_cmp_ne_u32_e64 s[12:13], s12, v35
	v_mov_b32_e32 v38, 0x7f80
	s_and_saveexec_b64 s[26:27], s[12:13]
	s_cbranch_execz .LBB814_60
; %bb.59:
	v_and_b32_e32 v38, 7, v34
	v_ffbh_u32_e32 v50, v38
	v_min_u32_e32 v53, 32, v50
	v_subrev_u32_e32 v50, 28, v53
	v_lshlrev_b64 v[50:51], v50, v[34:35]
	v_lshrrev_b32_e32 v52, 3, v35
	v_sub_u32_e32 v51, 29, v53
	v_and_b32_e32 v50, 7, v50
	v_cmp_gt_u32_e64 s[12:13], 8, v35
	v_cndmask_b32_e64 v35, v52, v51, s[12:13]
	v_cndmask_b32_e64 v38, v38, v50, s[12:13]
	v_lshlrev_b32_e32 v34, 24, v34
	v_bfrev_b32_e32 v50, 60
	v_lshlrev_b32_e32 v38, 20, v38
	v_and_b32_e32 v34, 0x80000000, v34
	v_lshl_add_u32 v35, v35, 23, v50
	v_or3_b32 v34, v34, v35, v38
	v_lshrrev_b32_e32 v38, 16, v34
.LBB814_60:
	s_or_b64 exec, exec, s[26:27]
.LBB814_61:
	s_or_b64 exec, exec, s[24:25]
.LBB814_62:
	s_or_b64 exec, exec, s[14:15]
	s_mov_b32 s12, 0x5040100
	v_perm_b32 v35, v47, v46, s12
	v_perm_b32 v34, v45, v39, s12
	;; [unrolled: 1-line block ×4, first 2 shown]
	v_mfma_f32_4x4x4bf16_1k a[0:3], v[2:3], v[34:35], 0 cbsz:4
	v_cmp_ne_u16_sdwa s[12:13], v36, v40 src0_sel:BYTE_0 src1_sel:DWORD
	v_mfma_f32_4x4x4bf16_1k a[0:3], v[4:5], v[38:39], a[0:3] cbsz:4
	s_and_saveexec_b64 s[14:15], s[12:13]
	s_cbranch_execz .LBB814_68
; %bb.63:
	s_movk_i32 s12, 0x80
	v_cmp_ne_u16_sdwa s[12:13], v36, s12 src0_sel:BYTE_0 src1_sel:DWORD
	v_mov_b32_e32 v40, 0xffff8000
	s_and_saveexec_b64 s[24:25], s[12:13]
	s_cbranch_execz .LBB814_67
; %bb.64:
	s_movk_i32 s12, 0x7f
	v_and_b32_e32 v34, 0x7f, v36
	v_cmp_ne_u32_e64 s[12:13], s12, v34
	v_mov_b32_e32 v40, 0x7f80
	s_and_saveexec_b64 s[26:27], s[12:13]
	s_cbranch_execz .LBB814_66
; %bb.65:
	v_and_b32_e32 v35, 7, v36
	v_ffbh_u32_e32 v35, v35
	v_min_u32_e32 v35, 32, v35
	v_subrev_u32_e32 v39, 28, v35
	v_cmp_gt_u32_e64 s[12:13], 8, v34
	v_lshrrev_b32_e32 v38, 3, v34
	v_sub_u32_e32 v35, 29, v35
	v_cndmask_b32_e64 v34, 0, v39, s[12:13]
	v_cndmask_b32_e64 v38, v38, v35, s[12:13]
	v_lshlrev_b64 v[34:35], v34, v[36:37]
	v_lshlrev_b32_e32 v34, 20, v34
	v_lshlrev_b32_e32 v35, 24, v36
	v_bfrev_b32_e32 v39, 60
	v_and_b32_e32 v34, 0x700000, v34
	v_and_b32_e32 v35, 0x80000000, v35
	v_lshl_add_u32 v38, v38, 23, v39
	v_or3_b32 v34, v35, v38, v34
	v_lshrrev_b32_e32 v40, 16, v34
.LBB814_66:
	s_or_b64 exec, exec, s[26:27]
.LBB814_67:
	s_or_b64 exec, exec, s[24:25]
.LBB814_68:
	s_or_b64 exec, exec, s[14:15]
	v_lshrrev_b16_e32 v34, 8, v36
	v_cmp_ne_u16_e64 s[12:13], 0, v34
	v_mov_b32_e32 v41, 0
	v_mov_b32_e32 v39, 0
	s_and_saveexec_b64 s[14:15], s[12:13]
	s_cbranch_execz .LBB814_74
; %bb.69:
	s_movk_i32 s12, 0x80
	v_cmp_ne_u16_e64 s[12:13], s12, v34
	v_mov_b32_e32 v39, 0xffff8000
	s_and_saveexec_b64 s[24:25], s[12:13]
	s_cbranch_execz .LBB814_73
; %bb.70:
	s_movk_i32 s12, 0x7f
	v_and_b32_e32 v35, 0x7f, v34
	v_cmp_ne_u32_e64 s[12:13], s12, v35
	v_mov_b32_e32 v39, 0x7f80
	s_and_saveexec_b64 s[26:27], s[12:13]
	s_cbranch_execz .LBB814_72
; %bb.71:
	v_and_b32_e32 v45, 7, v34
	v_ffbh_u32_e32 v38, v45
	v_min_u32_e32 v47, 32, v38
	v_subrev_u32_e32 v38, 28, v47
	v_lshlrev_b64 v[38:39], v38, v[34:35]
	v_lshrrev_b32_e32 v46, 3, v35
	v_sub_u32_e32 v34, 29, v47
	v_and_b32_e32 v38, 7, v38
	v_cmp_gt_u32_e64 s[12:13], 8, v35
	v_cndmask_b32_e64 v34, v46, v34, s[12:13]
	v_cndmask_b32_e64 v35, v45, v38, s[12:13]
	v_lshlrev_b32_e32 v38, 16, v36
	v_bfrev_b32_e32 v39, 60
	v_lshlrev_b32_e32 v35, 20, v35
	v_and_b32_e32 v38, 0x80000000, v38
	v_lshl_add_u32 v34, v34, 23, v39
	v_or3_b32 v34, v38, v34, v35
	v_lshrrev_b32_e32 v39, 16, v34
.LBB814_72:
	s_or_b64 exec, exec, s[26:27]
.LBB814_73:
	s_or_b64 exec, exec, s[24:25]
.LBB814_74:
	s_or_b64 exec, exec, s[14:15]
	s_movk_i32 s12, 0xff
	v_and_b32_sdwa v35, v36, s12 dst_sel:DWORD dst_unused:UNUSED_PAD src0_sel:WORD_1 src1_sel:DWORD
	v_lshrrev_b32_e32 v34, 16, v36
	v_cmp_ne_u16_e64 s[12:13], 0, v35
	s_and_saveexec_b64 s[14:15], s[12:13]
	s_cbranch_execz .LBB814_80
; %bb.75:
	s_movk_i32 s12, 0x80
	v_cmp_ne_u16_e64 s[12:13], s12, v35
	v_mov_b32_e32 v41, 0xffff8000
	s_and_saveexec_b64 s[24:25], s[12:13]
	s_cbranch_execz .LBB814_79
; %bb.76:
	v_bfe_u32 v35, v36, 16, 7
	s_movk_i32 s12, 0x7f
	v_cmp_ne_u32_e64 s[12:13], s12, v35
	v_mov_b32_e32 v41, 0x7f80
	s_and_saveexec_b64 s[26:27], s[12:13]
	s_cbranch_execz .LBB814_78
; %bb.77:
	v_and_b32_e32 v38, 7, v34
	v_ffbh_u32_e32 v45, v38
	v_min_u32_e32 v45, 32, v45
	v_subrev_u32_e32 v46, 28, v45
	v_lshlrev_b64 v[46:47], v46, v[34:35]
	v_sub_u32_e32 v34, 29, v45
	v_and_b32_e32 v45, 7, v46
	v_cmp_gt_u32_e64 s[12:13], 8, v35
	v_lshrrev_b32_e32 v41, 3, v35
	v_cndmask_b32_e64 v35, v38, v45, s[12:13]
	v_mov_b32_e32 v38, 24
	v_cndmask_b32_e64 v34, v41, v34, s[12:13]
	v_lshlrev_b32_sdwa v38, v38, v36 dst_sel:DWORD dst_unused:UNUSED_PAD src0_sel:DWORD src1_sel:WORD_1
	v_bfrev_b32_e32 v41, 60
	v_lshlrev_b32_e32 v35, 20, v35
	v_and_b32_e32 v38, 0x80000000, v38
	v_lshl_add_u32 v34, v34, 23, v41
	v_or3_b32 v34, v38, v34, v35
	v_lshrrev_b32_e32 v41, 16, v34
.LBB814_78:
	s_or_b64 exec, exec, s[26:27]
.LBB814_79:
	s_or_b64 exec, exec, s[24:25]
.LBB814_80:
	s_or_b64 exec, exec, s[14:15]
	s_mov_b32 s12, 0xffffff
	v_cmp_lt_u32_e64 s[12:13], s12, v36
	v_mov_b32_e32 v35, 0
	v_mov_b32_e32 v45, 0
	s_and_saveexec_b64 s[14:15], s[12:13]
	s_cbranch_execz .LBB814_86
; %bb.81:
	v_lshrrev_b32_e32 v34, 24, v36
	s_movk_i32 s12, 0x80
	v_cmp_ne_u32_e64 s[12:13], s12, v34
	v_mov_b32_e32 v45, 0xffff8000
	s_and_saveexec_b64 s[24:25], s[12:13]
	s_cbranch_execz .LBB814_85
; %bb.82:
	v_bfe_u32 v38, v36, 24, 7
	s_movk_i32 s12, 0x7f
	v_cmp_ne_u32_e64 s[12:13], s12, v38
	v_mov_b32_e32 v45, 0x7f80
	s_and_saveexec_b64 s[26:27], s[12:13]
	s_cbranch_execz .LBB814_84
; %bb.83:
	v_and_b32_e32 v45, 7, v34
	v_ffbh_u32_e32 v46, v45
	v_min_u32_e32 v49, 32, v46
	v_subrev_u32_e32 v46, 28, v49
	v_lshlrev_b64 v[46:47], v46, v[34:35]
	v_lshrrev_b32_e32 v48, 3, v38
	v_sub_u32_e32 v47, 29, v49
	v_and_b32_e32 v46, 7, v46
	v_cmp_gt_u32_e64 s[12:13], 8, v38
	v_cndmask_b32_e64 v38, v48, v47, s[12:13]
	v_cndmask_b32_e64 v45, v45, v46, s[12:13]
	v_lshlrev_b32_e32 v34, 24, v34
	v_bfrev_b32_e32 v46, 60
	v_lshlrev_b32_e32 v45, 20, v45
	v_and_b32_e32 v34, 0x80000000, v34
	v_lshl_add_u32 v38, v38, 23, v46
	v_or3_b32 v34, v34, v38, v45
	v_lshrrev_b32_e32 v45, 16, v34
.LBB814_84:
	s_or_b64 exec, exec, s[26:27]
.LBB814_85:
	s_or_b64 exec, exec, s[24:25]
.LBB814_86:
	s_or_b64 exec, exec, s[14:15]
	v_mov_b32_e32 v34, v37
	v_cmp_ne_u16_sdwa s[12:13], v37, v35 src0_sel:BYTE_0 src1_sel:DWORD
	s_and_saveexec_b64 s[14:15], s[12:13]
	s_cbranch_execz .LBB814_92
; %bb.87:
	s_movk_i32 s12, 0x80
	v_cmp_ne_u16_sdwa s[12:13], v37, s12 src0_sel:BYTE_0 src1_sel:DWORD
	v_mov_b32_e32 v38, 0xffff8000
	s_and_saveexec_b64 s[24:25], s[12:13]
	s_cbranch_execz .LBB814_91
; %bb.88:
	s_movk_i32 s12, 0x7f
	v_and_b32_e32 v46, 0x7f, v37
	v_cmp_ne_u32_e64 s[12:13], s12, v46
	v_mov_b32_e32 v38, 0x7f80
	s_and_saveexec_b64 s[26:27], s[12:13]
	s_cbranch_execz .LBB814_90
; %bb.89:
	v_and_b32_e32 v38, 7, v37
	v_ffbh_u32_e32 v38, v38
	v_min_u32_e32 v38, 32, v38
	v_subrev_u32_e32 v48, 28, v38
	v_cmp_gt_u32_e64 s[12:13], 8, v46
	v_lshrrev_b32_e32 v47, 3, v46
	v_sub_u32_e32 v38, 29, v38
	v_cndmask_b32_e64 v46, 0, v48, s[12:13]
	v_cndmask_b32_e64 v38, v47, v38, s[12:13]
	v_lshlrev_b64 v[46:47], v46, v[34:35]
	v_lshlrev_b32_e32 v35, 20, v46
	v_lshlrev_b32_e32 v46, 24, v34
	v_bfrev_b32_e32 v47, 60
	v_and_b32_e32 v35, 0x700000, v35
	v_and_b32_e32 v46, 0x80000000, v46
	v_lshl_add_u32 v38, v38, 23, v47
	v_or3_b32 v35, v46, v38, v35
	v_lshrrev_b32_e32 v38, 16, v35
.LBB814_90:
	s_or_b64 exec, exec, s[26:27]
.LBB814_91:
	s_or_b64 exec, exec, s[24:25]
	v_mov_b32_e32 v35, v38
.LBB814_92:
	s_or_b64 exec, exec, s[14:15]
	v_lshrrev_b16_e32 v38, 8, v34
	v_cmp_ne_u16_e64 s[12:13], 0, v38
	v_mov_b32_e32 v47, 0
	v_mov_b32_e32 v46, 0
	s_and_saveexec_b64 s[14:15], s[12:13]
	s_cbranch_execz .LBB814_98
; %bb.93:
	s_movk_i32 s12, 0x80
	v_cmp_ne_u16_e64 s[12:13], s12, v38
	v_mov_b32_e32 v46, 0xffff8000
	s_and_saveexec_b64 s[24:25], s[12:13]
	s_cbranch_execz .LBB814_97
; %bb.94:
	s_movk_i32 s12, 0x7f
	v_and_b32_e32 v48, 0x7f, v38
	v_cmp_ne_u32_e64 s[12:13], s12, v48
	v_mov_b32_e32 v46, 0x7f80
	s_and_saveexec_b64 s[26:27], s[12:13]
	s_cbranch_execz .LBB814_96
; %bb.95:
	v_and_b32_e32 v46, 7, v38
	v_ffbh_u32_e32 v50, v46
	v_min_u32_e32 v52, 32, v50
	v_subrev_u32_e32 v50, 28, v52
	v_lshlrev_b64 v[50:51], v50, v[38:39]
	v_lshrrev_b32_e32 v49, 3, v48
	v_sub_u32_e32 v38, 29, v52
	v_and_b32_e32 v50, 7, v50
	v_cmp_gt_u32_e64 s[12:13], 8, v48
	v_cndmask_b32_e64 v38, v49, v38, s[12:13]
	v_cndmask_b32_e64 v46, v46, v50, s[12:13]
	v_lshlrev_b32_e32 v34, 16, v34
	v_bfrev_b32_e32 v48, 60
	v_lshlrev_b32_e32 v46, 20, v46
	v_and_b32_e32 v34, 0x80000000, v34
	v_lshl_add_u32 v38, v38, 23, v48
	v_or3_b32 v34, v34, v38, v46
	v_lshrrev_b32_e32 v46, 16, v34
.LBB814_96:
	s_or_b64 exec, exec, s[26:27]
.LBB814_97:
	s_or_b64 exec, exec, s[24:25]
.LBB814_98:
	s_or_b64 exec, exec, s[14:15]
	s_movk_i32 s12, 0xff
	v_and_b32_sdwa v38, v37, s12 dst_sel:DWORD dst_unused:UNUSED_PAD src0_sel:WORD_1 src1_sel:DWORD
	v_lshrrev_b32_e32 v34, 16, v37
	v_cmp_ne_u16_e64 s[12:13], 0, v38
	s_and_saveexec_b64 s[14:15], s[12:13]
	s_cbranch_execz .LBB814_104
; %bb.99:
	s_movk_i32 s12, 0x80
	v_cmp_ne_u16_e64 s[12:13], s12, v38
	v_mov_b32_e32 v47, 0xffff8000
	s_and_saveexec_b64 s[24:25], s[12:13]
	s_cbranch_execz .LBB814_103
; %bb.100:
	v_bfe_u32 v38, v37, 16, 7
	s_movk_i32 s12, 0x7f
	v_cmp_ne_u32_e64 s[12:13], s12, v38
	v_mov_b32_e32 v47, 0x7f80
	s_and_saveexec_b64 s[26:27], s[12:13]
	s_cbranch_execz .LBB814_102
; %bb.101:
	v_and_b32_e32 v47, 7, v34
	v_ffbh_u32_e32 v48, v47
	v_min_u32_e32 v51, 32, v48
	v_subrev_u32_e32 v48, 28, v51
	v_lshlrev_b64 v[48:49], v48, v[34:35]
	v_and_b32_e32 v48, 7, v48
	v_cmp_gt_u32_e64 s[12:13], 8, v38
	v_lshrrev_b32_e32 v50, 3, v38
	v_sub_u32_e32 v34, 29, v51
	v_cndmask_b32_e64 v38, v47, v48, s[12:13]
	v_mov_b32_e32 v47, 24
	v_cndmask_b32_e64 v34, v50, v34, s[12:13]
	v_lshlrev_b32_sdwa v47, v47, v37 dst_sel:DWORD dst_unused:UNUSED_PAD src0_sel:DWORD src1_sel:WORD_1
	v_bfrev_b32_e32 v48, 60
	v_lshlrev_b32_e32 v38, 20, v38
	v_and_b32_e32 v47, 0x80000000, v47
	v_lshl_add_u32 v34, v34, 23, v48
	v_or3_b32 v34, v47, v34, v38
	v_lshrrev_b32_e32 v47, 16, v34
.LBB814_102:
	s_or_b64 exec, exec, s[26:27]
.LBB814_103:
	s_or_b64 exec, exec, s[24:25]
.LBB814_104:
	s_or_b64 exec, exec, s[14:15]
	s_mov_b32 s12, -1
	s_mov_b32 s13, 0xffffff
	v_cmp_lt_u64_e64 s[12:13], s[12:13], v[36:37]
	v_mov_b32_e32 v38, 0
	v_mov_b32_e32 v36, 0
	s_and_saveexec_b64 s[14:15], s[12:13]
	s_cbranch_execz .LBB814_110
; %bb.105:
	v_lshrrev_b32_e32 v34, 24, v37
	s_movk_i32 s12, 0x80
	v_cmp_ne_u32_e64 s[12:13], s12, v34
	v_mov_b32_e32 v36, 0xffff8000
	s_and_saveexec_b64 s[24:25], s[12:13]
	s_cbranch_execz .LBB814_109
; %bb.106:
	v_bfe_u32 v37, v37, 24, 7
	s_movk_i32 s12, 0x7f
	v_cmp_ne_u32_e64 s[12:13], s12, v37
	v_mov_b32_e32 v36, 0x7f80
	s_and_saveexec_b64 s[26:27], s[12:13]
	s_cbranch_execz .LBB814_108
; %bb.107:
	v_and_b32_e32 v36, 7, v34
	v_ffbh_u32_e32 v48, v36
	v_min_u32_e32 v51, 32, v48
	v_subrev_u32_e32 v48, 28, v51
	v_lshlrev_b64 v[48:49], v48, v[34:35]
	v_lshrrev_b32_e32 v50, 3, v37
	v_sub_u32_e32 v49, 29, v51
	v_and_b32_e32 v48, 7, v48
	v_cmp_gt_u32_e64 s[12:13], 8, v37
	v_cndmask_b32_e64 v37, v50, v49, s[12:13]
	v_cndmask_b32_e64 v36, v36, v48, s[12:13]
	v_lshlrev_b32_e32 v34, 24, v34
	v_bfrev_b32_e32 v48, 60
	v_lshlrev_b32_e32 v36, 20, v36
	v_and_b32_e32 v34, 0x80000000, v34
	v_lshl_add_u32 v37, v37, 23, v48
	v_or3_b32 v34, v34, v37, v36
	v_lshrrev_b32_e32 v36, 16, v34
.LBB814_108:
	s_or_b64 exec, exec, s[26:27]
.LBB814_109:
	s_or_b64 exec, exec, s[24:25]
.LBB814_110:
	s_or_b64 exec, exec, s[14:15]
	s_mov_b32 s12, 0x5040100
	v_perm_b32 v41, v45, v41, s12
	v_perm_b32 v40, v39, v40, s12
	;; [unrolled: 1-line block ×4, first 2 shown]
	v_mfma_f32_4x4x4bf16_1k a[0:3], v[2:3], v[40:41], a[0:3] cbsz:4 abid:1
	v_cmp_ne_u16_sdwa s[12:13], v30, v38 src0_sel:BYTE_0 src1_sel:DWORD
	v_mfma_f32_4x4x4bf16_1k a[0:3], v[4:5], v[36:37], a[0:3] cbsz:4 abid:1
	s_and_saveexec_b64 s[14:15], s[12:13]
	s_cbranch_execz .LBB814_116
; %bb.111:
	s_movk_i32 s12, 0x80
	v_cmp_ne_u16_sdwa s[12:13], v30, s12 src0_sel:BYTE_0 src1_sel:DWORD
	v_mov_b32_e32 v38, 0xffff8000
	s_and_saveexec_b64 s[24:25], s[12:13]
	s_cbranch_execz .LBB814_115
; %bb.112:
	s_movk_i32 s12, 0x7f
	v_and_b32_e32 v34, 0x7f, v30
	v_cmp_ne_u32_e64 s[12:13], s12, v34
	v_mov_b32_e32 v38, 0x7f80
	s_and_saveexec_b64 s[26:27], s[12:13]
	s_cbranch_execz .LBB814_114
; %bb.113:
	v_and_b32_e32 v35, 7, v30
	v_ffbh_u32_e32 v35, v35
	v_min_u32_e32 v35, 32, v35
	v_subrev_u32_e32 v37, 28, v35
	v_cmp_gt_u32_e64 s[12:13], 8, v34
	v_lshrrev_b32_e32 v36, 3, v34
	v_sub_u32_e32 v35, 29, v35
	v_cndmask_b32_e64 v34, 0, v37, s[12:13]
	v_cndmask_b32_e64 v36, v36, v35, s[12:13]
	v_lshlrev_b64 v[34:35], v34, v[30:31]
	v_lshlrev_b32_e32 v34, 20, v34
	v_lshlrev_b32_e32 v35, 24, v30
	v_bfrev_b32_e32 v37, 60
	v_and_b32_e32 v34, 0x700000, v34
	v_and_b32_e32 v35, 0x80000000, v35
	v_lshl_add_u32 v36, v36, 23, v37
	v_or3_b32 v34, v35, v36, v34
	v_lshrrev_b32_e32 v38, 16, v34
.LBB814_114:
	s_or_b64 exec, exec, s[26:27]
.LBB814_115:
	s_or_b64 exec, exec, s[24:25]
.LBB814_116:
	s_or_b64 exec, exec, s[14:15]
	v_lshrrev_b16_e32 v34, 8, v30
	v_cmp_ne_u16_e64 s[12:13], 0, v34
	v_mov_b32_e32 v39, 0
	v_mov_b32_e32 v37, 0
	s_and_saveexec_b64 s[14:15], s[12:13]
	s_cbranch_execz .LBB814_122
; %bb.117:
	s_movk_i32 s12, 0x80
	v_cmp_ne_u16_e64 s[12:13], s12, v34
	v_mov_b32_e32 v37, 0xffff8000
	s_and_saveexec_b64 s[24:25], s[12:13]
	s_cbranch_execz .LBB814_121
; %bb.118:
	s_movk_i32 s12, 0x7f
	v_and_b32_e32 v35, 0x7f, v34
	v_cmp_ne_u32_e64 s[12:13], s12, v35
	v_mov_b32_e32 v37, 0x7f80
	s_and_saveexec_b64 s[26:27], s[12:13]
	s_cbranch_execz .LBB814_120
; %bb.119:
	v_and_b32_e32 v40, 7, v34
	v_ffbh_u32_e32 v36, v40
	v_min_u32_e32 v45, 32, v36
	v_subrev_u32_e32 v36, 28, v45
	v_lshlrev_b64 v[36:37], v36, v[34:35]
	v_lshrrev_b32_e32 v41, 3, v35
	v_sub_u32_e32 v34, 29, v45
	v_and_b32_e32 v36, 7, v36
	v_cmp_gt_u32_e64 s[12:13], 8, v35
	v_cndmask_b32_e64 v34, v41, v34, s[12:13]
	v_cndmask_b32_e64 v35, v40, v36, s[12:13]
	v_lshlrev_b32_e32 v36, 16, v30
	v_bfrev_b32_e32 v37, 60
	v_lshlrev_b32_e32 v35, 20, v35
	v_and_b32_e32 v36, 0x80000000, v36
	v_lshl_add_u32 v34, v34, 23, v37
	v_or3_b32 v34, v36, v34, v35
	v_lshrrev_b32_e32 v37, 16, v34
.LBB814_120:
	s_or_b64 exec, exec, s[26:27]
.LBB814_121:
	s_or_b64 exec, exec, s[24:25]
.LBB814_122:
	s_or_b64 exec, exec, s[14:15]
	s_movk_i32 s12, 0xff
	v_and_b32_sdwa v35, v30, s12 dst_sel:DWORD dst_unused:UNUSED_PAD src0_sel:WORD_1 src1_sel:DWORD
	v_lshrrev_b32_e32 v34, 16, v30
	v_cmp_ne_u16_e64 s[12:13], 0, v35
	s_and_saveexec_b64 s[14:15], s[12:13]
	s_cbranch_execz .LBB814_128
; %bb.123:
	s_movk_i32 s12, 0x80
	v_cmp_ne_u16_e64 s[12:13], s12, v35
	v_mov_b32_e32 v39, 0xffff8000
	s_and_saveexec_b64 s[24:25], s[12:13]
	s_cbranch_execz .LBB814_127
; %bb.124:
	v_bfe_u32 v35, v30, 16, 7
	s_movk_i32 s12, 0x7f
	v_cmp_ne_u32_e64 s[12:13], s12, v35
	v_mov_b32_e32 v39, 0x7f80
	s_and_saveexec_b64 s[26:27], s[12:13]
	s_cbranch_execz .LBB814_126
; %bb.125:
	v_and_b32_e32 v36, 7, v34
	v_ffbh_u32_e32 v40, v36
	v_min_u32_e32 v45, 32, v40
	v_subrev_u32_e32 v40, 28, v45
	v_lshlrev_b64 v[40:41], v40, v[34:35]
	v_and_b32_e32 v40, 7, v40
	v_cmp_gt_u32_e64 s[12:13], 8, v35
	v_lshrrev_b32_e32 v39, 3, v35
	v_sub_u32_e32 v34, 29, v45
	v_cndmask_b32_e64 v35, v36, v40, s[12:13]
	v_mov_b32_e32 v36, 24
	v_cndmask_b32_e64 v34, v39, v34, s[12:13]
	v_lshlrev_b32_sdwa v36, v36, v30 dst_sel:DWORD dst_unused:UNUSED_PAD src0_sel:DWORD src1_sel:WORD_1
	v_bfrev_b32_e32 v39, 60
	v_lshlrev_b32_e32 v35, 20, v35
	v_and_b32_e32 v36, 0x80000000, v36
	v_lshl_add_u32 v34, v34, 23, v39
	v_or3_b32 v34, v36, v34, v35
	v_lshrrev_b32_e32 v39, 16, v34
.LBB814_126:
	s_or_b64 exec, exec, s[26:27]
.LBB814_127:
	s_or_b64 exec, exec, s[24:25]
.LBB814_128:
	s_or_b64 exec, exec, s[14:15]
	s_mov_b32 s12, 0xffffff
	v_cmp_lt_u32_e64 s[12:13], s12, v30
	v_mov_b32_e32 v35, 0
	v_mov_b32_e32 v40, 0
	s_and_saveexec_b64 s[14:15], s[12:13]
	s_cbranch_execz .LBB814_134
; %bb.129:
	v_lshrrev_b32_e32 v34, 24, v30
	s_movk_i32 s12, 0x80
	v_cmp_ne_u32_e64 s[12:13], s12, v34
	v_mov_b32_e32 v40, 0xffff8000
	s_and_saveexec_b64 s[24:25], s[12:13]
	s_cbranch_execz .LBB814_133
; %bb.130:
	v_bfe_u32 v36, v30, 24, 7
	s_movk_i32 s12, 0x7f
	v_cmp_ne_u32_e64 s[12:13], s12, v36
	v_mov_b32_e32 v40, 0x7f80
	s_and_saveexec_b64 s[26:27], s[12:13]
	s_cbranch_execz .LBB814_132
; %bb.131:
	v_and_b32_e32 v45, 7, v34
	v_ffbh_u32_e32 v40, v45
	v_min_u32_e32 v47, 32, v40
	v_subrev_u32_e32 v40, 28, v47
	v_lshlrev_b64 v[40:41], v40, v[34:35]
	v_lshrrev_b32_e32 v46, 3, v36
	v_sub_u32_e32 v41, 29, v47
	v_and_b32_e32 v40, 7, v40
	v_cmp_gt_u32_e64 s[12:13], 8, v36
	v_cndmask_b32_e64 v36, v46, v41, s[12:13]
	v_cndmask_b32_e64 v40, v45, v40, s[12:13]
	v_lshlrev_b32_e32 v34, 24, v34
	v_bfrev_b32_e32 v41, 60
	v_lshlrev_b32_e32 v40, 20, v40
	v_and_b32_e32 v34, 0x80000000, v34
	v_lshl_add_u32 v36, v36, 23, v41
	v_or3_b32 v34, v34, v36, v40
	v_lshrrev_b32_e32 v40, 16, v34
.LBB814_132:
	s_or_b64 exec, exec, s[26:27]
.LBB814_133:
	s_or_b64 exec, exec, s[24:25]
.LBB814_134:
	s_or_b64 exec, exec, s[14:15]
	v_mov_b32_e32 v34, v31
	v_cmp_ne_u16_sdwa s[12:13], v31, v35 src0_sel:BYTE_0 src1_sel:DWORD
	s_and_saveexec_b64 s[14:15], s[12:13]
	s_cbranch_execz .LBB814_140
; %bb.135:
	s_movk_i32 s12, 0x80
	v_cmp_ne_u16_sdwa s[12:13], v31, s12 src0_sel:BYTE_0 src1_sel:DWORD
	v_mov_b32_e32 v36, 0xffff8000
	s_and_saveexec_b64 s[24:25], s[12:13]
	s_cbranch_execz .LBB814_139
; %bb.136:
	s_movk_i32 s12, 0x7f
	v_and_b32_e32 v41, 0x7f, v31
	v_cmp_ne_u32_e64 s[12:13], s12, v41
	v_mov_b32_e32 v36, 0x7f80
	s_and_saveexec_b64 s[26:27], s[12:13]
	s_cbranch_execz .LBB814_138
; %bb.137:
	v_and_b32_e32 v36, 7, v31
	v_ffbh_u32_e32 v36, v36
	v_min_u32_e32 v36, 32, v36
	v_subrev_u32_e32 v46, 28, v36
	v_cmp_gt_u32_e64 s[12:13], 8, v41
	v_lshrrev_b32_e32 v45, 3, v41
	v_cndmask_b32_e64 v41, 0, v46, s[12:13]
	v_sub_u32_e32 v36, 29, v36
	v_lshlrev_b64 v[46:47], v41, v[34:35]
	v_cndmask_b32_e64 v36, v45, v36, s[12:13]
	v_lshlrev_b32_e32 v35, 20, v46
	v_lshlrev_b32_e32 v41, 24, v34
	v_bfrev_b32_e32 v45, 60
	v_and_b32_e32 v35, 0x700000, v35
	v_and_b32_e32 v41, 0x80000000, v41
	v_lshl_add_u32 v36, v36, 23, v45
	v_or3_b32 v35, v41, v36, v35
	v_lshrrev_b32_e32 v36, 16, v35
.LBB814_138:
	s_or_b64 exec, exec, s[26:27]
.LBB814_139:
	s_or_b64 exec, exec, s[24:25]
	v_mov_b32_e32 v35, v36
.LBB814_140:
	s_or_b64 exec, exec, s[14:15]
	v_lshrrev_b16_e32 v36, 8, v34
	v_cmp_ne_u16_e64 s[12:13], 0, v36
	v_mov_b32_e32 v45, 0
	v_mov_b32_e32 v41, 0
	s_and_saveexec_b64 s[14:15], s[12:13]
	s_cbranch_execz .LBB814_146
; %bb.141:
	s_movk_i32 s12, 0x80
	v_cmp_ne_u16_e64 s[12:13], s12, v36
	v_mov_b32_e32 v41, 0xffff8000
	s_and_saveexec_b64 s[24:25], s[12:13]
	s_cbranch_execz .LBB814_145
; %bb.142:
	s_movk_i32 s12, 0x7f
	v_and_b32_e32 v46, 0x7f, v36
	v_cmp_ne_u32_e64 s[12:13], s12, v46
	v_mov_b32_e32 v41, 0x7f80
	s_and_saveexec_b64 s[26:27], s[12:13]
	s_cbranch_execz .LBB814_144
; %bb.143:
	v_and_b32_e32 v41, 7, v36
	v_ffbh_u32_e32 v48, v41
	v_min_u32_e32 v50, 32, v48
	v_subrev_u32_e32 v48, 28, v50
	v_lshlrev_b64 v[48:49], v48, v[36:37]
	v_lshrrev_b32_e32 v47, 3, v46
	v_sub_u32_e32 v36, 29, v50
	v_and_b32_e32 v48, 7, v48
	v_cmp_gt_u32_e64 s[12:13], 8, v46
	v_cndmask_b32_e64 v36, v47, v36, s[12:13]
	v_cndmask_b32_e64 v41, v41, v48, s[12:13]
	v_lshlrev_b32_e32 v34, 16, v34
	v_bfrev_b32_e32 v46, 60
	v_lshlrev_b32_e32 v41, 20, v41
	v_and_b32_e32 v34, 0x80000000, v34
	v_lshl_add_u32 v36, v36, 23, v46
	v_or3_b32 v34, v34, v36, v41
	v_lshrrev_b32_e32 v41, 16, v34
.LBB814_144:
	s_or_b64 exec, exec, s[26:27]
.LBB814_145:
	s_or_b64 exec, exec, s[24:25]
.LBB814_146:
	s_or_b64 exec, exec, s[14:15]
	s_movk_i32 s12, 0xff
	v_and_b32_sdwa v36, v31, s12 dst_sel:DWORD dst_unused:UNUSED_PAD src0_sel:WORD_1 src1_sel:DWORD
	v_lshrrev_b32_e32 v34, 16, v31
	v_cmp_ne_u16_e64 s[12:13], 0, v36
	s_and_saveexec_b64 s[14:15], s[12:13]
	s_cbranch_execz .LBB814_152
; %bb.147:
	s_movk_i32 s12, 0x80
	v_cmp_ne_u16_e64 s[12:13], s12, v36
	v_mov_b32_e32 v45, 0xffff8000
	s_and_saveexec_b64 s[24:25], s[12:13]
	s_cbranch_execz .LBB814_151
; %bb.148:
	v_bfe_u32 v36, v31, 16, 7
	s_movk_i32 s12, 0x7f
	v_cmp_ne_u32_e64 s[12:13], s12, v36
	v_mov_b32_e32 v45, 0x7f80
	s_and_saveexec_b64 s[26:27], s[12:13]
	s_cbranch_execz .LBB814_150
; %bb.149:
	v_and_b32_e32 v45, 7, v34
	v_ffbh_u32_e32 v46, v45
	v_min_u32_e32 v49, 32, v46
	v_subrev_u32_e32 v46, 28, v49
	v_lshlrev_b64 v[46:47], v46, v[34:35]
	v_and_b32_e32 v46, 7, v46
	v_cmp_gt_u32_e64 s[12:13], 8, v36
	v_lshrrev_b32_e32 v48, 3, v36
	v_sub_u32_e32 v34, 29, v49
	v_cndmask_b32_e64 v36, v45, v46, s[12:13]
	v_mov_b32_e32 v45, 24
	v_cndmask_b32_e64 v34, v48, v34, s[12:13]
	v_lshlrev_b32_sdwa v45, v45, v31 dst_sel:DWORD dst_unused:UNUSED_PAD src0_sel:DWORD src1_sel:WORD_1
	v_bfrev_b32_e32 v46, 60
	v_lshlrev_b32_e32 v36, 20, v36
	v_and_b32_e32 v45, 0x80000000, v45
	v_lshl_add_u32 v34, v34, 23, v46
	v_or3_b32 v34, v45, v34, v36
	v_lshrrev_b32_e32 v45, 16, v34
.LBB814_150:
	s_or_b64 exec, exec, s[26:27]
.LBB814_151:
	s_or_b64 exec, exec, s[24:25]
.LBB814_152:
	s_or_b64 exec, exec, s[14:15]
	s_mov_b32 s12, -1
	s_mov_b32 s13, 0xffffff
	v_cmp_lt_u64_e64 s[12:13], s[12:13], v[30:31]
	v_mov_b32_e32 v36, 0
	v_mov_b32_e32 v34, 0
	s_and_saveexec_b64 s[14:15], s[12:13]
	s_cbranch_execz .LBB814_158
; %bb.153:
	v_lshrrev_b32_e32 v30, 24, v31
	s_movk_i32 s12, 0x80
	v_cmp_ne_u32_e64 s[12:13], s12, v30
	v_mov_b32_e32 v34, 0xffff8000
	s_and_saveexec_b64 s[24:25], s[12:13]
	s_cbranch_execz .LBB814_157
; %bb.154:
	v_bfe_u32 v31, v31, 24, 7
	s_movk_i32 s12, 0x7f
	v_cmp_ne_u32_e64 s[12:13], s12, v31
	v_mov_b32_e32 v34, 0x7f80
	s_and_saveexec_b64 s[26:27], s[12:13]
	s_cbranch_execz .LBB814_156
; %bb.155:
	v_and_b32_e32 v34, 7, v30
	v_ffbh_u32_e32 v46, v34
	v_min_u32_e32 v49, 32, v46
	v_subrev_u32_e32 v46, 28, v49
	v_lshlrev_b64 v[46:47], v46, v[30:31]
	v_lshrrev_b32_e32 v48, 3, v31
	v_sub_u32_e32 v47, 29, v49
	v_and_b32_e32 v46, 7, v46
	v_cmp_gt_u32_e64 s[12:13], 8, v31
	v_cndmask_b32_e64 v31, v48, v47, s[12:13]
	v_cndmask_b32_e64 v34, v34, v46, s[12:13]
	v_lshlrev_b32_e32 v30, 24, v30
	v_bfrev_b32_e32 v46, 60
	v_lshlrev_b32_e32 v34, 20, v34
	v_and_b32_e32 v30, 0x80000000, v30
	v_lshl_add_u32 v31, v31, 23, v46
	v_or3_b32 v30, v30, v31, v34
	v_lshrrev_b32_e32 v34, 16, v30
.LBB814_156:
	s_or_b64 exec, exec, s[26:27]
.LBB814_157:
	s_or_b64 exec, exec, s[24:25]
.LBB814_158:
	s_or_b64 exec, exec, s[14:15]
	s_mov_b32 s12, 0x5040100
	v_perm_b32 v31, v40, v39, s12
	v_perm_b32 v30, v37, v38, s12
	;; [unrolled: 1-line block ×4, first 2 shown]
	v_mfma_f32_4x4x4bf16_1k a[0:3], v[2:3], v[30:31], a[0:3] cbsz:4 abid:2
	v_cmp_ne_u16_sdwa s[12:13], v32, v36 src0_sel:BYTE_0 src1_sel:DWORD
	v_mfma_f32_4x4x4bf16_1k a[0:3], v[4:5], v[38:39], a[0:3] cbsz:4 abid:2
	s_and_saveexec_b64 s[14:15], s[12:13]
	s_cbranch_execz .LBB814_164
; %bb.159:
	s_movk_i32 s12, 0x80
	v_cmp_ne_u16_sdwa s[12:13], v32, s12 src0_sel:BYTE_0 src1_sel:DWORD
	v_mov_b32_e32 v36, 0xffff8000
	s_and_saveexec_b64 s[24:25], s[12:13]
	s_cbranch_execz .LBB814_163
; %bb.160:
	s_movk_i32 s12, 0x7f
	v_and_b32_e32 v30, 0x7f, v32
	v_cmp_ne_u32_e64 s[12:13], s12, v30
	v_mov_b32_e32 v36, 0x7f80
	s_and_saveexec_b64 s[26:27], s[12:13]
	s_cbranch_execz .LBB814_162
; %bb.161:
	v_and_b32_e32 v31, 7, v32
	v_ffbh_u32_e32 v31, v31
	v_min_u32_e32 v31, 32, v31
	v_subrev_u32_e32 v35, 28, v31
	v_cmp_gt_u32_e64 s[12:13], 8, v30
	v_lshrrev_b32_e32 v34, 3, v30
	v_sub_u32_e32 v31, 29, v31
	v_cndmask_b32_e64 v30, 0, v35, s[12:13]
	v_cndmask_b32_e64 v34, v34, v31, s[12:13]
	v_lshlrev_b64 v[30:31], v30, v[32:33]
	v_lshlrev_b32_e32 v30, 20, v30
	v_lshlrev_b32_e32 v31, 24, v32
	v_bfrev_b32_e32 v35, 60
	v_and_b32_e32 v30, 0x700000, v30
	v_and_b32_e32 v31, 0x80000000, v31
	v_lshl_add_u32 v34, v34, 23, v35
	v_or3_b32 v30, v31, v34, v30
	v_lshrrev_b32_e32 v36, 16, v30
.LBB814_162:
	s_or_b64 exec, exec, s[26:27]
.LBB814_163:
	s_or_b64 exec, exec, s[24:25]
.LBB814_164:
	s_or_b64 exec, exec, s[14:15]
	v_lshrrev_b16_e32 v30, 8, v32
	v_cmp_ne_u16_e64 s[12:13], 0, v30
	v_mov_b32_e32 v37, 0
	v_mov_b32_e32 v35, 0
	s_and_saveexec_b64 s[14:15], s[12:13]
	s_cbranch_execz .LBB814_170
; %bb.165:
	s_movk_i32 s12, 0x80
	v_cmp_ne_u16_e64 s[12:13], s12, v30
	v_mov_b32_e32 v35, 0xffff8000
	s_and_saveexec_b64 s[24:25], s[12:13]
	s_cbranch_execz .LBB814_169
; %bb.166:
	s_movk_i32 s12, 0x7f
	v_and_b32_e32 v31, 0x7f, v30
	v_cmp_ne_u32_e64 s[12:13], s12, v31
	v_mov_b32_e32 v35, 0x7f80
	s_and_saveexec_b64 s[26:27], s[12:13]
	s_cbranch_execz .LBB814_168
; %bb.167:
	v_and_b32_e32 v38, 7, v30
	v_ffbh_u32_e32 v34, v38
	v_min_u32_e32 v40, 32, v34
	v_subrev_u32_e32 v34, 28, v40
	v_lshlrev_b64 v[34:35], v34, v[30:31]
	v_lshrrev_b32_e32 v39, 3, v31
	v_sub_u32_e32 v30, 29, v40
	v_and_b32_e32 v34, 7, v34
	v_cmp_gt_u32_e64 s[12:13], 8, v31
	v_cndmask_b32_e64 v30, v39, v30, s[12:13]
	v_cndmask_b32_e64 v31, v38, v34, s[12:13]
	v_lshlrev_b32_e32 v34, 16, v32
	v_bfrev_b32_e32 v35, 60
	v_lshlrev_b32_e32 v31, 20, v31
	v_and_b32_e32 v34, 0x80000000, v34
	v_lshl_add_u32 v30, v30, 23, v35
	v_or3_b32 v30, v34, v30, v31
	v_lshrrev_b32_e32 v35, 16, v30
.LBB814_168:
	s_or_b64 exec, exec, s[26:27]
.LBB814_169:
	s_or_b64 exec, exec, s[24:25]
.LBB814_170:
	s_or_b64 exec, exec, s[14:15]
	s_movk_i32 s12, 0xff
	v_and_b32_sdwa v31, v32, s12 dst_sel:DWORD dst_unused:UNUSED_PAD src0_sel:WORD_1 src1_sel:DWORD
	v_lshrrev_b32_e32 v30, 16, v32
	v_cmp_ne_u16_e64 s[12:13], 0, v31
	s_and_saveexec_b64 s[14:15], s[12:13]
	s_cbranch_execz .LBB814_176
; %bb.171:
	s_movk_i32 s12, 0x80
	v_cmp_ne_u16_e64 s[12:13], s12, v31
	v_mov_b32_e32 v37, 0xffff8000
	s_and_saveexec_b64 s[24:25], s[12:13]
	s_cbranch_execz .LBB814_175
; %bb.172:
	v_bfe_u32 v31, v32, 16, 7
	s_movk_i32 s12, 0x7f
	v_cmp_ne_u32_e64 s[12:13], s12, v31
	v_mov_b32_e32 v37, 0x7f80
	s_and_saveexec_b64 s[26:27], s[12:13]
	s_cbranch_execz .LBB814_174
; %bb.173:
	v_and_b32_e32 v34, 7, v30
	v_ffbh_u32_e32 v38, v34
	v_min_u32_e32 v40, 32, v38
	v_subrev_u32_e32 v38, 28, v40
	v_lshlrev_b64 v[38:39], v38, v[30:31]
	v_and_b32_e32 v38, 7, v38
	v_cmp_gt_u32_e64 s[12:13], 8, v31
	v_lshrrev_b32_e32 v37, 3, v31
	v_sub_u32_e32 v30, 29, v40
	v_cndmask_b32_e64 v31, v34, v38, s[12:13]
	v_mov_b32_e32 v34, 24
	v_cndmask_b32_e64 v30, v37, v30, s[12:13]
	v_lshlrev_b32_sdwa v34, v34, v32 dst_sel:DWORD dst_unused:UNUSED_PAD src0_sel:DWORD src1_sel:WORD_1
	v_bfrev_b32_e32 v37, 60
	v_lshlrev_b32_e32 v31, 20, v31
	v_and_b32_e32 v34, 0x80000000, v34
	v_lshl_add_u32 v30, v30, 23, v37
	v_or3_b32 v30, v34, v30, v31
	v_lshrrev_b32_e32 v37, 16, v30
.LBB814_174:
	s_or_b64 exec, exec, s[26:27]
.LBB814_175:
	s_or_b64 exec, exec, s[24:25]
.LBB814_176:
	s_or_b64 exec, exec, s[14:15]
	s_mov_b32 s12, 0xffffff
	v_cmp_lt_u32_e64 s[12:13], s12, v32
	v_mov_b32_e32 v31, 0
	v_mov_b32_e32 v38, 0
	s_and_saveexec_b64 s[14:15], s[12:13]
	s_cbranch_execz .LBB814_182
; %bb.177:
	v_lshrrev_b32_e32 v30, 24, v32
	s_movk_i32 s12, 0x80
	v_cmp_ne_u32_e64 s[12:13], s12, v30
	v_mov_b32_e32 v38, 0xffff8000
	s_and_saveexec_b64 s[24:25], s[12:13]
	s_cbranch_execz .LBB814_181
; %bb.178:
	v_bfe_u32 v34, v32, 24, 7
	s_movk_i32 s12, 0x7f
	v_cmp_ne_u32_e64 s[12:13], s12, v34
	v_mov_b32_e32 v38, 0x7f80
	s_and_saveexec_b64 s[26:27], s[12:13]
	s_cbranch_execz .LBB814_180
; %bb.179:
	v_and_b32_e32 v40, 7, v30
	v_ffbh_u32_e32 v38, v40
	v_min_u32_e32 v45, 32, v38
	v_subrev_u32_e32 v38, 28, v45
	v_lshlrev_b64 v[38:39], v38, v[30:31]
	v_lshrrev_b32_e32 v41, 3, v34
	v_sub_u32_e32 v39, 29, v45
	v_and_b32_e32 v38, 7, v38
	v_cmp_gt_u32_e64 s[12:13], 8, v34
	v_cndmask_b32_e64 v34, v41, v39, s[12:13]
	v_cndmask_b32_e64 v38, v40, v38, s[12:13]
	v_lshlrev_b32_e32 v30, 24, v30
	v_bfrev_b32_e32 v39, 60
	v_lshlrev_b32_e32 v38, 20, v38
	v_and_b32_e32 v30, 0x80000000, v30
	v_lshl_add_u32 v34, v34, 23, v39
	v_or3_b32 v30, v30, v34, v38
	v_lshrrev_b32_e32 v38, 16, v30
.LBB814_180:
	s_or_b64 exec, exec, s[26:27]
.LBB814_181:
	s_or_b64 exec, exec, s[24:25]
.LBB814_182:
	s_or_b64 exec, exec, s[14:15]
	v_mov_b32_e32 v30, v33
	v_cmp_ne_u16_sdwa s[12:13], v33, v31 src0_sel:BYTE_0 src1_sel:DWORD
	s_and_saveexec_b64 s[14:15], s[12:13]
	s_cbranch_execz .LBB814_188
; %bb.183:
	s_movk_i32 s12, 0x80
	v_cmp_ne_u16_sdwa s[12:13], v33, s12 src0_sel:BYTE_0 src1_sel:DWORD
	v_mov_b32_e32 v34, 0xffff8000
	s_and_saveexec_b64 s[24:25], s[12:13]
	s_cbranch_execz .LBB814_187
; %bb.184:
	s_movk_i32 s12, 0x7f
	v_and_b32_e32 v39, 0x7f, v33
	v_cmp_ne_u32_e64 s[12:13], s12, v39
	v_mov_b32_e32 v34, 0x7f80
	s_and_saveexec_b64 s[26:27], s[12:13]
	s_cbranch_execz .LBB814_186
; %bb.185:
	v_and_b32_e32 v34, 7, v33
	v_ffbh_u32_e32 v34, v34
	v_min_u32_e32 v34, 32, v34
	v_subrev_u32_e32 v41, 28, v34
	v_cmp_gt_u32_e64 s[12:13], 8, v39
	v_lshrrev_b32_e32 v40, 3, v39
	v_sub_u32_e32 v34, 29, v34
	v_cndmask_b32_e64 v39, 0, v41, s[12:13]
	v_cndmask_b32_e64 v34, v40, v34, s[12:13]
	v_lshlrev_b64 v[40:41], v39, v[30:31]
	v_lshlrev_b32_e32 v31, 20, v40
	v_lshlrev_b32_e32 v39, 24, v30
	v_bfrev_b32_e32 v40, 60
	v_and_b32_e32 v31, 0x700000, v31
	v_and_b32_e32 v39, 0x80000000, v39
	v_lshl_add_u32 v34, v34, 23, v40
	v_or3_b32 v31, v39, v34, v31
	v_lshrrev_b32_e32 v34, 16, v31
.LBB814_186:
	s_or_b64 exec, exec, s[26:27]
.LBB814_187:
	s_or_b64 exec, exec, s[24:25]
	v_mov_b32_e32 v31, v34
.LBB814_188:
	s_or_b64 exec, exec, s[14:15]
	v_lshrrev_b16_e32 v34, 8, v30
	v_cmp_ne_u16_e64 s[12:13], 0, v34
	v_mov_b32_e32 v40, 0
	v_mov_b32_e32 v39, 0
	s_and_saveexec_b64 s[14:15], s[12:13]
	s_cbranch_execz .LBB814_194
; %bb.189:
	s_movk_i32 s12, 0x80
	v_cmp_ne_u16_e64 s[12:13], s12, v34
	v_mov_b32_e32 v39, 0xffff8000
	s_and_saveexec_b64 s[24:25], s[12:13]
	s_cbranch_execz .LBB814_193
; %bb.190:
	s_movk_i32 s12, 0x7f
	v_and_b32_e32 v41, 0x7f, v34
	v_cmp_ne_u32_e64 s[12:13], s12, v41
	v_mov_b32_e32 v39, 0x7f80
	s_and_saveexec_b64 s[26:27], s[12:13]
	s_cbranch_execz .LBB814_192
; %bb.191:
	v_and_b32_e32 v39, 7, v34
	v_ffbh_u32_e32 v46, v39
	v_min_u32_e32 v48, 32, v46
	v_subrev_u32_e32 v46, 28, v48
	v_lshlrev_b64 v[46:47], v46, v[34:35]
	v_lshrrev_b32_e32 v45, 3, v41
	v_sub_u32_e32 v34, 29, v48
	v_and_b32_e32 v46, 7, v46
	v_cmp_gt_u32_e64 s[12:13], 8, v41
	v_cndmask_b32_e64 v34, v45, v34, s[12:13]
	v_cndmask_b32_e64 v39, v39, v46, s[12:13]
	v_lshlrev_b32_e32 v30, 16, v30
	v_bfrev_b32_e32 v41, 60
	v_lshlrev_b32_e32 v39, 20, v39
	v_and_b32_e32 v30, 0x80000000, v30
	v_lshl_add_u32 v34, v34, 23, v41
	v_or3_b32 v30, v30, v34, v39
	v_lshrrev_b32_e32 v39, 16, v30
.LBB814_192:
	s_or_b64 exec, exec, s[26:27]
.LBB814_193:
	s_or_b64 exec, exec, s[24:25]
.LBB814_194:
	s_or_b64 exec, exec, s[14:15]
	s_movk_i32 s12, 0xff
	v_and_b32_sdwa v34, v33, s12 dst_sel:DWORD dst_unused:UNUSED_PAD src0_sel:WORD_1 src1_sel:DWORD
	v_lshrrev_b32_e32 v30, 16, v33
	v_cmp_ne_u16_e64 s[12:13], 0, v34
	s_and_saveexec_b64 s[14:15], s[12:13]
	s_cbranch_execz .LBB814_200
; %bb.195:
	s_movk_i32 s12, 0x80
	v_cmp_ne_u16_e64 s[12:13], s12, v34
	v_mov_b32_e32 v40, 0xffff8000
	s_and_saveexec_b64 s[24:25], s[12:13]
	s_cbranch_execz .LBB814_199
; %bb.196:
	v_bfe_u32 v34, v33, 16, 7
	s_movk_i32 s12, 0x7f
	v_cmp_ne_u32_e64 s[12:13], s12, v34
	v_mov_b32_e32 v40, 0x7f80
	s_and_saveexec_b64 s[26:27], s[12:13]
	s_cbranch_execz .LBB814_198
; %bb.197:
	v_and_b32_e32 v45, 7, v30
	v_ffbh_u32_e32 v40, v45
	v_min_u32_e32 v47, 32, v40
	v_subrev_u32_e32 v40, 28, v47
	v_lshlrev_b64 v[40:41], v40, v[30:31]
	v_and_b32_e32 v40, 7, v40
	v_cmp_gt_u32_e64 s[12:13], 8, v34
	v_lshrrev_b32_e32 v46, 3, v34
	v_sub_u32_e32 v30, 29, v47
	v_cndmask_b32_e64 v34, v45, v40, s[12:13]
	v_mov_b32_e32 v40, 24
	v_cndmask_b32_e64 v30, v46, v30, s[12:13]
	v_lshlrev_b32_sdwa v40, v40, v33 dst_sel:DWORD dst_unused:UNUSED_PAD src0_sel:DWORD src1_sel:WORD_1
	v_bfrev_b32_e32 v41, 60
	v_lshlrev_b32_e32 v34, 20, v34
	v_and_b32_e32 v40, 0x80000000, v40
	v_lshl_add_u32 v30, v30, 23, v41
	v_or3_b32 v30, v40, v30, v34
	v_lshrrev_b32_e32 v40, 16, v30
.LBB814_198:
	s_or_b64 exec, exec, s[26:27]
.LBB814_199:
	s_or_b64 exec, exec, s[24:25]
.LBB814_200:
	s_or_b64 exec, exec, s[14:15]
	s_mov_b32 s12, -1
	s_mov_b32 s13, 0xffffff
	v_cmp_lt_u64_e64 s[12:13], s[12:13], v[32:33]
	v_mov_b32_e32 v34, 0
	v_mov_b32_e32 v32, 0
	s_and_saveexec_b64 s[14:15], s[12:13]
	s_cbranch_execz .LBB814_206
; %bb.201:
	v_lshrrev_b32_e32 v30, 24, v33
	s_movk_i32 s12, 0x80
	v_cmp_ne_u32_e64 s[12:13], s12, v30
	v_mov_b32_e32 v32, 0xffff8000
	s_and_saveexec_b64 s[24:25], s[12:13]
	s_cbranch_execz .LBB814_205
; %bb.202:
	v_bfe_u32 v33, v33, 24, 7
	s_movk_i32 s12, 0x7f
	v_cmp_ne_u32_e64 s[12:13], s12, v33
	v_mov_b32_e32 v32, 0x7f80
	s_and_saveexec_b64 s[26:27], s[12:13]
	s_cbranch_execz .LBB814_204
; %bb.203:
	v_and_b32_e32 v32, 7, v30
	v_ffbh_u32_e32 v45, v32
	v_min_u32_e32 v45, 32, v45
	v_subrev_u32_e32 v46, 28, v45
	v_lshlrev_b64 v[46:47], v46, v[30:31]
	v_lshrrev_b32_e32 v41, 3, v33
	v_sub_u32_e32 v45, 29, v45
	v_and_b32_e32 v46, 7, v46
	v_cmp_gt_u32_e64 s[12:13], 8, v33
	v_cndmask_b32_e64 v33, v41, v45, s[12:13]
	v_cndmask_b32_e64 v32, v32, v46, s[12:13]
	v_lshlrev_b32_e32 v30, 24, v30
	v_bfrev_b32_e32 v41, 60
	v_lshlrev_b32_e32 v32, 20, v32
	v_and_b32_e32 v30, 0x80000000, v30
	v_lshl_add_u32 v33, v33, 23, v41
	v_or3_b32 v30, v30, v33, v32
	v_lshrrev_b32_e32 v32, 16, v30
.LBB814_204:
	s_or_b64 exec, exec, s[26:27]
.LBB814_205:
	s_or_b64 exec, exec, s[24:25]
.LBB814_206:
	s_or_b64 exec, exec, s[14:15]
	s_mov_b32 s12, 0x5040100
	v_perm_b32 v37, v38, v37, s12
	v_perm_b32 v36, v35, v36, s12
	;; [unrolled: 1-line block ×4, first 2 shown]
	v_mfma_f32_4x4x4bf16_1k a[0:3], v[2:3], v[36:37], a[0:3] cbsz:4 abid:3
	v_cmp_ne_u16_sdwa s[12:13], v26, v34 src0_sel:BYTE_0 src1_sel:DWORD
	v_mfma_f32_4x4x4bf16_1k a[0:3], v[4:5], v[32:33], a[0:3] cbsz:4 abid:3
	s_and_saveexec_b64 s[14:15], s[12:13]
	s_cbranch_execz .LBB814_212
; %bb.207:
	s_movk_i32 s12, 0x80
	v_cmp_ne_u16_sdwa s[12:13], v26, s12 src0_sel:BYTE_0 src1_sel:DWORD
	v_mov_b32_e32 v34, 0xffff8000
	s_and_saveexec_b64 s[24:25], s[12:13]
	s_cbranch_execz .LBB814_211
; %bb.208:
	s_movk_i32 s12, 0x7f
	v_and_b32_e32 v30, 0x7f, v26
	v_cmp_ne_u32_e64 s[12:13], s12, v30
	v_mov_b32_e32 v34, 0x7f80
	s_and_saveexec_b64 s[26:27], s[12:13]
	s_cbranch_execz .LBB814_210
; %bb.209:
	v_and_b32_e32 v31, 7, v26
	v_ffbh_u32_e32 v31, v31
	v_min_u32_e32 v31, 32, v31
	v_subrev_u32_e32 v33, 28, v31
	v_cmp_gt_u32_e64 s[12:13], 8, v30
	v_lshrrev_b32_e32 v32, 3, v30
	v_sub_u32_e32 v31, 29, v31
	v_cndmask_b32_e64 v30, 0, v33, s[12:13]
	v_cndmask_b32_e64 v32, v32, v31, s[12:13]
	v_lshlrev_b64 v[30:31], v30, v[26:27]
	v_lshlrev_b32_e32 v30, 20, v30
	v_lshlrev_b32_e32 v31, 24, v26
	v_bfrev_b32_e32 v33, 60
	v_and_b32_e32 v30, 0x700000, v30
	v_and_b32_e32 v31, 0x80000000, v31
	v_lshl_add_u32 v32, v32, 23, v33
	v_or3_b32 v30, v31, v32, v30
	v_lshrrev_b32_e32 v34, 16, v30
.LBB814_210:
	s_or_b64 exec, exec, s[26:27]
.LBB814_211:
	s_or_b64 exec, exec, s[24:25]
.LBB814_212:
	s_or_b64 exec, exec, s[14:15]
	v_lshrrev_b16_e32 v30, 8, v26
	v_cmp_ne_u16_e64 s[12:13], 0, v30
	v_mov_b32_e32 v35, 0
	v_mov_b32_e32 v33, 0
	s_and_saveexec_b64 s[14:15], s[12:13]
	s_cbranch_execz .LBB814_218
; %bb.213:
	s_movk_i32 s12, 0x80
	v_cmp_ne_u16_e64 s[12:13], s12, v30
	v_mov_b32_e32 v33, 0xffff8000
	s_and_saveexec_b64 s[24:25], s[12:13]
	s_cbranch_execz .LBB814_217
; %bb.214:
	s_movk_i32 s12, 0x7f
	v_and_b32_e32 v31, 0x7f, v30
	v_cmp_ne_u32_e64 s[12:13], s12, v31
	v_mov_b32_e32 v33, 0x7f80
	s_and_saveexec_b64 s[26:27], s[12:13]
	s_cbranch_execz .LBB814_216
; %bb.215:
	v_and_b32_e32 v36, 7, v30
	v_ffbh_u32_e32 v32, v36
	v_min_u32_e32 v38, 32, v32
	v_subrev_u32_e32 v32, 28, v38
	v_lshlrev_b64 v[32:33], v32, v[30:31]
	v_lshrrev_b32_e32 v37, 3, v31
	v_sub_u32_e32 v30, 29, v38
	v_and_b32_e32 v32, 7, v32
	v_cmp_gt_u32_e64 s[12:13], 8, v31
	v_cndmask_b32_e64 v30, v37, v30, s[12:13]
	v_cndmask_b32_e64 v31, v36, v32, s[12:13]
	v_lshlrev_b32_e32 v32, 16, v26
	v_bfrev_b32_e32 v33, 60
	v_lshlrev_b32_e32 v31, 20, v31
	v_and_b32_e32 v32, 0x80000000, v32
	v_lshl_add_u32 v30, v30, 23, v33
	v_or3_b32 v30, v32, v30, v31
	v_lshrrev_b32_e32 v33, 16, v30
.LBB814_216:
	s_or_b64 exec, exec, s[26:27]
.LBB814_217:
	s_or_b64 exec, exec, s[24:25]
.LBB814_218:
	s_or_b64 exec, exec, s[14:15]
	s_movk_i32 s12, 0xff
	v_and_b32_sdwa v31, v26, s12 dst_sel:DWORD dst_unused:UNUSED_PAD src0_sel:WORD_1 src1_sel:DWORD
	v_lshrrev_b32_e32 v30, 16, v26
	v_cmp_ne_u16_e64 s[12:13], 0, v31
	s_and_saveexec_b64 s[14:15], s[12:13]
	s_cbranch_execz .LBB814_224
; %bb.219:
	s_movk_i32 s12, 0x80
	v_cmp_ne_u16_e64 s[12:13], s12, v31
	v_mov_b32_e32 v35, 0xffff8000
	s_and_saveexec_b64 s[24:25], s[12:13]
	s_cbranch_execz .LBB814_223
; %bb.220:
	v_bfe_u32 v31, v26, 16, 7
	s_movk_i32 s12, 0x7f
	v_cmp_ne_u32_e64 s[12:13], s12, v31
	v_mov_b32_e32 v35, 0x7f80
	s_and_saveexec_b64 s[26:27], s[12:13]
	s_cbranch_execz .LBB814_222
; %bb.221:
	v_and_b32_e32 v32, 7, v30
	v_ffbh_u32_e32 v36, v32
	v_min_u32_e32 v38, 32, v36
	v_subrev_u32_e32 v36, 28, v38
	v_lshlrev_b64 v[36:37], v36, v[30:31]
	v_and_b32_e32 v36, 7, v36
	v_cmp_gt_u32_e64 s[12:13], 8, v31
	v_lshrrev_b32_e32 v35, 3, v31
	v_sub_u32_e32 v30, 29, v38
	v_cndmask_b32_e64 v31, v32, v36, s[12:13]
	v_mov_b32_e32 v32, 24
	v_cndmask_b32_e64 v30, v35, v30, s[12:13]
	v_lshlrev_b32_sdwa v32, v32, v26 dst_sel:DWORD dst_unused:UNUSED_PAD src0_sel:DWORD src1_sel:WORD_1
	v_bfrev_b32_e32 v35, 60
	v_lshlrev_b32_e32 v31, 20, v31
	v_and_b32_e32 v32, 0x80000000, v32
	v_lshl_add_u32 v30, v30, 23, v35
	v_or3_b32 v30, v32, v30, v31
	v_lshrrev_b32_e32 v35, 16, v30
.LBB814_222:
	s_or_b64 exec, exec, s[26:27]
.LBB814_223:
	s_or_b64 exec, exec, s[24:25]
.LBB814_224:
	s_or_b64 exec, exec, s[14:15]
	s_mov_b32 s12, 0xffffff
	v_cmp_lt_u32_e64 s[12:13], s12, v26
	v_mov_b32_e32 v31, 0
	v_mov_b32_e32 v36, 0
	s_and_saveexec_b64 s[14:15], s[12:13]
	s_cbranch_execz .LBB814_230
; %bb.225:
	v_lshrrev_b32_e32 v30, 24, v26
	s_movk_i32 s12, 0x80
	v_cmp_ne_u32_e64 s[12:13], s12, v30
	v_mov_b32_e32 v36, 0xffff8000
	s_and_saveexec_b64 s[24:25], s[12:13]
	s_cbranch_execz .LBB814_229
; %bb.226:
	v_bfe_u32 v32, v26, 24, 7
	s_movk_i32 s12, 0x7f
	v_cmp_ne_u32_e64 s[12:13], s12, v32
	v_mov_b32_e32 v36, 0x7f80
	s_and_saveexec_b64 s[26:27], s[12:13]
	s_cbranch_execz .LBB814_228
; %bb.227:
	v_and_b32_e32 v38, 7, v30
	v_ffbh_u32_e32 v36, v38
	v_min_u32_e32 v40, 32, v36
	v_subrev_u32_e32 v36, 28, v40
	v_lshlrev_b64 v[36:37], v36, v[30:31]
	v_lshrrev_b32_e32 v39, 3, v32
	v_sub_u32_e32 v37, 29, v40
	v_and_b32_e32 v36, 7, v36
	v_cmp_gt_u32_e64 s[12:13], 8, v32
	v_cndmask_b32_e64 v32, v39, v37, s[12:13]
	v_cndmask_b32_e64 v36, v38, v36, s[12:13]
	v_lshlrev_b32_e32 v30, 24, v30
	v_bfrev_b32_e32 v37, 60
	v_lshlrev_b32_e32 v36, 20, v36
	v_and_b32_e32 v30, 0x80000000, v30
	v_lshl_add_u32 v32, v32, 23, v37
	v_or3_b32 v30, v30, v32, v36
	v_lshrrev_b32_e32 v36, 16, v30
.LBB814_228:
	s_or_b64 exec, exec, s[26:27]
.LBB814_229:
	s_or_b64 exec, exec, s[24:25]
.LBB814_230:
	s_or_b64 exec, exec, s[14:15]
	v_mov_b32_e32 v30, v27
	v_cmp_ne_u16_sdwa s[12:13], v27, v31 src0_sel:BYTE_0 src1_sel:DWORD
	s_and_saveexec_b64 s[14:15], s[12:13]
	s_cbranch_execz .LBB814_236
; %bb.231:
	s_movk_i32 s12, 0x80
	v_cmp_ne_u16_sdwa s[12:13], v27, s12 src0_sel:BYTE_0 src1_sel:DWORD
	v_mov_b32_e32 v32, 0xffff8000
	s_and_saveexec_b64 s[24:25], s[12:13]
	s_cbranch_execz .LBB814_235
; %bb.232:
	s_movk_i32 s12, 0x7f
	v_and_b32_e32 v37, 0x7f, v27
	v_cmp_ne_u32_e64 s[12:13], s12, v37
	v_mov_b32_e32 v32, 0x7f80
	s_and_saveexec_b64 s[26:27], s[12:13]
	s_cbranch_execz .LBB814_234
; %bb.233:
	v_and_b32_e32 v32, 7, v27
	v_ffbh_u32_e32 v32, v32
	v_min_u32_e32 v32, 32, v32
	v_subrev_u32_e32 v39, 28, v32
	v_cmp_gt_u32_e64 s[12:13], 8, v37
	v_lshrrev_b32_e32 v38, 3, v37
	v_sub_u32_e32 v32, 29, v32
	v_cndmask_b32_e64 v37, 0, v39, s[12:13]
	v_cndmask_b32_e64 v32, v38, v32, s[12:13]
	v_lshlrev_b64 v[38:39], v37, v[30:31]
	v_lshlrev_b32_e32 v31, 20, v38
	v_lshlrev_b32_e32 v37, 24, v30
	v_bfrev_b32_e32 v38, 60
	v_and_b32_e32 v31, 0x700000, v31
	v_and_b32_e32 v37, 0x80000000, v37
	v_lshl_add_u32 v32, v32, 23, v38
	v_or3_b32 v31, v37, v32, v31
	v_lshrrev_b32_e32 v32, 16, v31
.LBB814_234:
	s_or_b64 exec, exec, s[26:27]
.LBB814_235:
	s_or_b64 exec, exec, s[24:25]
	v_mov_b32_e32 v31, v32
.LBB814_236:
	s_or_b64 exec, exec, s[14:15]
	v_lshrrev_b16_e32 v32, 8, v30
	v_cmp_ne_u16_e64 s[12:13], 0, v32
	v_mov_b32_e32 v38, 0
	v_mov_b32_e32 v37, 0
	s_and_saveexec_b64 s[14:15], s[12:13]
	s_cbranch_execz .LBB814_242
; %bb.237:
	s_movk_i32 s12, 0x80
	v_cmp_ne_u16_e64 s[12:13], s12, v32
	v_mov_b32_e32 v37, 0xffff8000
	s_and_saveexec_b64 s[24:25], s[12:13]
	s_cbranch_execz .LBB814_241
; %bb.238:
	s_movk_i32 s12, 0x7f
	v_and_b32_e32 v39, 0x7f, v32
	v_cmp_ne_u32_e64 s[12:13], s12, v39
	v_mov_b32_e32 v37, 0x7f80
	s_and_saveexec_b64 s[26:27], s[12:13]
	s_cbranch_execz .LBB814_240
; %bb.239:
	v_and_b32_e32 v37, 7, v32
	v_ffbh_u32_e32 v40, v37
	v_min_u32_e32 v46, 32, v40
	v_subrev_u32_e32 v40, 28, v46
	v_lshlrev_b64 v[40:41], v40, v[32:33]
	v_lshrrev_b32_e32 v45, 3, v39
	v_sub_u32_e32 v32, 29, v46
	v_and_b32_e32 v40, 7, v40
	v_cmp_gt_u32_e64 s[12:13], 8, v39
	v_cndmask_b32_e64 v32, v45, v32, s[12:13]
	v_cndmask_b32_e64 v37, v37, v40, s[12:13]
	v_lshlrev_b32_e32 v30, 16, v30
	v_bfrev_b32_e32 v39, 60
	v_lshlrev_b32_e32 v37, 20, v37
	v_and_b32_e32 v30, 0x80000000, v30
	v_lshl_add_u32 v32, v32, 23, v39
	v_or3_b32 v30, v30, v32, v37
	v_lshrrev_b32_e32 v37, 16, v30
.LBB814_240:
	s_or_b64 exec, exec, s[26:27]
.LBB814_241:
	s_or_b64 exec, exec, s[24:25]
.LBB814_242:
	s_or_b64 exec, exec, s[14:15]
	s_movk_i32 s12, 0xff
	v_and_b32_sdwa v32, v27, s12 dst_sel:DWORD dst_unused:UNUSED_PAD src0_sel:WORD_1 src1_sel:DWORD
	v_lshrrev_b32_e32 v30, 16, v27
	v_cmp_ne_u16_e64 s[12:13], 0, v32
	s_and_saveexec_b64 s[14:15], s[12:13]
	s_cbranch_execz .LBB814_248
; %bb.243:
	s_movk_i32 s12, 0x80
	v_cmp_ne_u16_e64 s[12:13], s12, v32
	v_mov_b32_e32 v38, 0xffff8000
	s_and_saveexec_b64 s[24:25], s[12:13]
	s_cbranch_execz .LBB814_247
; %bb.244:
	v_bfe_u32 v32, v27, 16, 7
	s_movk_i32 s12, 0x7f
	v_cmp_ne_u32_e64 s[12:13], s12, v32
	v_mov_b32_e32 v38, 0x7f80
	s_and_saveexec_b64 s[26:27], s[12:13]
	s_cbranch_execz .LBB814_246
; %bb.245:
	v_and_b32_e32 v40, 7, v30
	v_ffbh_u32_e32 v38, v40
	v_min_u32_e32 v45, 32, v38
	v_subrev_u32_e32 v38, 28, v45
	v_lshlrev_b64 v[38:39], v38, v[30:31]
	v_and_b32_e32 v38, 7, v38
	v_cmp_gt_u32_e64 s[12:13], 8, v32
	v_lshrrev_b32_e32 v41, 3, v32
	v_sub_u32_e32 v30, 29, v45
	v_cndmask_b32_e64 v32, v40, v38, s[12:13]
	v_mov_b32_e32 v38, 24
	v_cndmask_b32_e64 v30, v41, v30, s[12:13]
	v_lshlrev_b32_sdwa v38, v38, v27 dst_sel:DWORD dst_unused:UNUSED_PAD src0_sel:DWORD src1_sel:WORD_1
	v_bfrev_b32_e32 v39, 60
	v_lshlrev_b32_e32 v32, 20, v32
	v_and_b32_e32 v38, 0x80000000, v38
	v_lshl_add_u32 v30, v30, 23, v39
	v_or3_b32 v30, v38, v30, v32
	v_lshrrev_b32_e32 v38, 16, v30
.LBB814_246:
	s_or_b64 exec, exec, s[26:27]
.LBB814_247:
	s_or_b64 exec, exec, s[24:25]
.LBB814_248:
	s_or_b64 exec, exec, s[14:15]
	s_mov_b32 s12, -1
	s_mov_b32 s13, 0xffffff
	v_cmp_lt_u64_e64 s[12:13], s[12:13], v[26:27]
	v_mov_b32_e32 v32, 0
	v_mov_b32_e32 v30, 0
	s_and_saveexec_b64 s[14:15], s[12:13]
	s_cbranch_execz .LBB814_254
; %bb.249:
	v_lshrrev_b32_e32 v26, 24, v27
	s_movk_i32 s12, 0x80
	v_cmp_ne_u32_e64 s[12:13], s12, v26
	v_mov_b32_e32 v30, 0xffff8000
	s_and_saveexec_b64 s[24:25], s[12:13]
	s_cbranch_execz .LBB814_253
; %bb.250:
	v_bfe_u32 v27, v27, 24, 7
	s_movk_i32 s12, 0x7f
	v_cmp_ne_u32_e64 s[12:13], s12, v27
	v_mov_b32_e32 v30, 0x7f80
	s_and_saveexec_b64 s[26:27], s[12:13]
	s_cbranch_execz .LBB814_252
; %bb.251:
	v_and_b32_e32 v30, 7, v26
	v_ffbh_u32_e32 v40, v30
	v_min_u32_e32 v45, 32, v40
	v_subrev_u32_e32 v40, 28, v45
	v_lshlrev_b64 v[40:41], v40, v[26:27]
	v_lshrrev_b32_e32 v39, 3, v27
	v_sub_u32_e32 v41, 29, v45
	v_and_b32_e32 v40, 7, v40
	v_cmp_gt_u32_e64 s[12:13], 8, v27
	v_cndmask_b32_e64 v27, v39, v41, s[12:13]
	v_cndmask_b32_e64 v30, v30, v40, s[12:13]
	v_lshlrev_b32_e32 v26, 24, v26
	v_bfrev_b32_e32 v39, 60
	v_lshlrev_b32_e32 v30, 20, v30
	v_and_b32_e32 v26, 0x80000000, v26
	v_lshl_add_u32 v27, v27, 23, v39
	v_or3_b32 v26, v26, v27, v30
	v_lshrrev_b32_e32 v30, 16, v26
.LBB814_252:
	s_or_b64 exec, exec, s[26:27]
.LBB814_253:
	s_or_b64 exec, exec, s[24:25]
.LBB814_254:
	s_or_b64 exec, exec, s[14:15]
	s_mov_b32 s12, 0x5040100
	v_perm_b32 v27, v36, v35, s12
	v_perm_b32 v26, v33, v34, s12
	v_perm_b32 v35, v30, v38, s12
	v_perm_b32 v34, v37, v31, s12
	v_mfma_f32_4x4x4bf16_1k a[0:3], v[2:3], v[26:27], a[0:3] cbsz:4 abid:4
	v_cmp_ne_u16_sdwa s[12:13], v28, v32 src0_sel:BYTE_0 src1_sel:DWORD
	v_mfma_f32_4x4x4bf16_1k a[0:3], v[4:5], v[34:35], a[0:3] cbsz:4 abid:4
	s_and_saveexec_b64 s[14:15], s[12:13]
	s_cbranch_execz .LBB814_260
; %bb.255:
	s_movk_i32 s12, 0x80
	v_cmp_ne_u16_sdwa s[12:13], v28, s12 src0_sel:BYTE_0 src1_sel:DWORD
	v_mov_b32_e32 v32, 0xffff8000
	s_and_saveexec_b64 s[24:25], s[12:13]
	s_cbranch_execz .LBB814_259
; %bb.256:
	s_movk_i32 s12, 0x7f
	v_and_b32_e32 v26, 0x7f, v28
	v_cmp_ne_u32_e64 s[12:13], s12, v26
	v_mov_b32_e32 v32, 0x7f80
	s_and_saveexec_b64 s[26:27], s[12:13]
	s_cbranch_execz .LBB814_258
; %bb.257:
	v_and_b32_e32 v27, 7, v28
	v_ffbh_u32_e32 v27, v27
	v_min_u32_e32 v27, 32, v27
	v_subrev_u32_e32 v31, 28, v27
	v_cmp_gt_u32_e64 s[12:13], 8, v26
	v_lshrrev_b32_e32 v30, 3, v26
	v_sub_u32_e32 v27, 29, v27
	v_cndmask_b32_e64 v26, 0, v31, s[12:13]
	v_cndmask_b32_e64 v30, v30, v27, s[12:13]
	v_lshlrev_b64 v[26:27], v26, v[28:29]
	v_lshlrev_b32_e32 v26, 20, v26
	v_lshlrev_b32_e32 v27, 24, v28
	v_bfrev_b32_e32 v31, 60
	v_and_b32_e32 v26, 0x700000, v26
	v_and_b32_e32 v27, 0x80000000, v27
	v_lshl_add_u32 v30, v30, 23, v31
	v_or3_b32 v26, v27, v30, v26
	v_lshrrev_b32_e32 v32, 16, v26
.LBB814_258:
	s_or_b64 exec, exec, s[26:27]
.LBB814_259:
	s_or_b64 exec, exec, s[24:25]
.LBB814_260:
	s_or_b64 exec, exec, s[14:15]
	v_lshrrev_b16_e32 v26, 8, v28
	v_cmp_ne_u16_e64 s[12:13], 0, v26
	v_mov_b32_e32 v33, 0
	v_mov_b32_e32 v31, 0
	s_and_saveexec_b64 s[14:15], s[12:13]
	s_cbranch_execz .LBB814_266
; %bb.261:
	s_movk_i32 s12, 0x80
	v_cmp_ne_u16_e64 s[12:13], s12, v26
	v_mov_b32_e32 v31, 0xffff8000
	s_and_saveexec_b64 s[24:25], s[12:13]
	s_cbranch_execz .LBB814_265
; %bb.262:
	s_movk_i32 s12, 0x7f
	v_and_b32_e32 v27, 0x7f, v26
	v_cmp_ne_u32_e64 s[12:13], s12, v27
	v_mov_b32_e32 v31, 0x7f80
	s_and_saveexec_b64 s[26:27], s[12:13]
	s_cbranch_execz .LBB814_264
; %bb.263:
	v_and_b32_e32 v34, 7, v26
	v_ffbh_u32_e32 v30, v34
	v_min_u32_e32 v36, 32, v30
	v_subrev_u32_e32 v30, 28, v36
	v_lshlrev_b64 v[30:31], v30, v[26:27]
	v_lshrrev_b32_e32 v35, 3, v27
	v_sub_u32_e32 v26, 29, v36
	v_and_b32_e32 v30, 7, v30
	v_cmp_gt_u32_e64 s[12:13], 8, v27
	v_cndmask_b32_e64 v26, v35, v26, s[12:13]
	v_cndmask_b32_e64 v27, v34, v30, s[12:13]
	v_lshlrev_b32_e32 v30, 16, v28
	v_bfrev_b32_e32 v31, 60
	v_lshlrev_b32_e32 v27, 20, v27
	v_and_b32_e32 v30, 0x80000000, v30
	v_lshl_add_u32 v26, v26, 23, v31
	v_or3_b32 v26, v30, v26, v27
	v_lshrrev_b32_e32 v31, 16, v26
.LBB814_264:
	s_or_b64 exec, exec, s[26:27]
.LBB814_265:
	s_or_b64 exec, exec, s[24:25]
.LBB814_266:
	s_or_b64 exec, exec, s[14:15]
	s_movk_i32 s12, 0xff
	v_and_b32_sdwa v27, v28, s12 dst_sel:DWORD dst_unused:UNUSED_PAD src0_sel:WORD_1 src1_sel:DWORD
	v_lshrrev_b32_e32 v26, 16, v28
	v_cmp_ne_u16_e64 s[12:13], 0, v27
	s_and_saveexec_b64 s[14:15], s[12:13]
	s_cbranch_execz .LBB814_272
; %bb.267:
	s_movk_i32 s12, 0x80
	v_cmp_ne_u16_e64 s[12:13], s12, v27
	v_mov_b32_e32 v33, 0xffff8000
	s_and_saveexec_b64 s[24:25], s[12:13]
	s_cbranch_execz .LBB814_271
; %bb.268:
	v_bfe_u32 v27, v28, 16, 7
	s_movk_i32 s12, 0x7f
	v_cmp_ne_u32_e64 s[12:13], s12, v27
	v_mov_b32_e32 v33, 0x7f80
	s_and_saveexec_b64 s[26:27], s[12:13]
	s_cbranch_execz .LBB814_270
; %bb.269:
	v_and_b32_e32 v30, 7, v26
	v_ffbh_u32_e32 v34, v30
	v_min_u32_e32 v36, 32, v34
	v_subrev_u32_e32 v34, 28, v36
	v_lshlrev_b64 v[34:35], v34, v[26:27]
	v_and_b32_e32 v34, 7, v34
	v_cmp_gt_u32_e64 s[12:13], 8, v27
	v_lshrrev_b32_e32 v33, 3, v27
	v_sub_u32_e32 v26, 29, v36
	v_cndmask_b32_e64 v27, v30, v34, s[12:13]
	v_mov_b32_e32 v30, 24
	v_cndmask_b32_e64 v26, v33, v26, s[12:13]
	v_lshlrev_b32_sdwa v30, v30, v28 dst_sel:DWORD dst_unused:UNUSED_PAD src0_sel:DWORD src1_sel:WORD_1
	v_bfrev_b32_e32 v33, 60
	v_lshlrev_b32_e32 v27, 20, v27
	v_and_b32_e32 v30, 0x80000000, v30
	v_lshl_add_u32 v26, v26, 23, v33
	v_or3_b32 v26, v30, v26, v27
	v_lshrrev_b32_e32 v33, 16, v26
.LBB814_270:
	s_or_b64 exec, exec, s[26:27]
.LBB814_271:
	s_or_b64 exec, exec, s[24:25]
.LBB814_272:
	s_or_b64 exec, exec, s[14:15]
	s_mov_b32 s12, 0xffffff
	v_cmp_lt_u32_e64 s[12:13], s12, v28
	v_mov_b32_e32 v27, 0
	v_mov_b32_e32 v34, 0
	s_and_saveexec_b64 s[14:15], s[12:13]
	s_cbranch_execz .LBB814_278
; %bb.273:
	v_lshrrev_b32_e32 v26, 24, v28
	s_movk_i32 s12, 0x80
	v_cmp_ne_u32_e64 s[12:13], s12, v26
	v_mov_b32_e32 v34, 0xffff8000
	s_and_saveexec_b64 s[24:25], s[12:13]
	s_cbranch_execz .LBB814_277
; %bb.274:
	v_bfe_u32 v30, v28, 24, 7
	s_movk_i32 s12, 0x7f
	v_cmp_ne_u32_e64 s[12:13], s12, v30
	v_mov_b32_e32 v34, 0x7f80
	s_and_saveexec_b64 s[26:27], s[12:13]
	s_cbranch_execz .LBB814_276
; %bb.275:
	v_and_b32_e32 v36, 7, v26
	v_ffbh_u32_e32 v34, v36
	v_min_u32_e32 v38, 32, v34
	v_subrev_u32_e32 v34, 28, v38
	v_lshlrev_b64 v[34:35], v34, v[26:27]
	v_lshrrev_b32_e32 v37, 3, v30
	v_sub_u32_e32 v35, 29, v38
	v_and_b32_e32 v34, 7, v34
	v_cmp_gt_u32_e64 s[12:13], 8, v30
	v_cndmask_b32_e64 v30, v37, v35, s[12:13]
	v_cndmask_b32_e64 v34, v36, v34, s[12:13]
	v_lshlrev_b32_e32 v26, 24, v26
	v_bfrev_b32_e32 v35, 60
	v_lshlrev_b32_e32 v34, 20, v34
	v_and_b32_e32 v26, 0x80000000, v26
	v_lshl_add_u32 v30, v30, 23, v35
	v_or3_b32 v26, v26, v30, v34
	v_lshrrev_b32_e32 v34, 16, v26
.LBB814_276:
	s_or_b64 exec, exec, s[26:27]
.LBB814_277:
	s_or_b64 exec, exec, s[24:25]
.LBB814_278:
	s_or_b64 exec, exec, s[14:15]
	v_mov_b32_e32 v26, v29
	v_cmp_ne_u16_sdwa s[12:13], v29, v27 src0_sel:BYTE_0 src1_sel:DWORD
	s_and_saveexec_b64 s[14:15], s[12:13]
	s_cbranch_execz .LBB814_284
; %bb.279:
	s_movk_i32 s12, 0x80
	v_cmp_ne_u16_sdwa s[12:13], v29, s12 src0_sel:BYTE_0 src1_sel:DWORD
	v_mov_b32_e32 v30, 0xffff8000
	s_and_saveexec_b64 s[24:25], s[12:13]
	s_cbranch_execz .LBB814_283
; %bb.280:
	s_movk_i32 s12, 0x7f
	v_and_b32_e32 v35, 0x7f, v29
	v_cmp_ne_u32_e64 s[12:13], s12, v35
	v_mov_b32_e32 v30, 0x7f80
	s_and_saveexec_b64 s[26:27], s[12:13]
	s_cbranch_execz .LBB814_282
; %bb.281:
	v_and_b32_e32 v30, 7, v29
	v_ffbh_u32_e32 v30, v30
	v_min_u32_e32 v30, 32, v30
	v_subrev_u32_e32 v37, 28, v30
	v_cmp_gt_u32_e64 s[12:13], 8, v35
	v_lshrrev_b32_e32 v36, 3, v35
	v_sub_u32_e32 v30, 29, v30
	v_cndmask_b32_e64 v35, 0, v37, s[12:13]
	v_cndmask_b32_e64 v30, v36, v30, s[12:13]
	v_lshlrev_b64 v[36:37], v35, v[26:27]
	v_lshlrev_b32_e32 v27, 20, v36
	v_lshlrev_b32_e32 v35, 24, v26
	v_bfrev_b32_e32 v36, 60
	v_and_b32_e32 v27, 0x700000, v27
	v_and_b32_e32 v35, 0x80000000, v35
	v_lshl_add_u32 v30, v30, 23, v36
	v_or3_b32 v27, v35, v30, v27
	v_lshrrev_b32_e32 v30, 16, v27
.LBB814_282:
	s_or_b64 exec, exec, s[26:27]
.LBB814_283:
	s_or_b64 exec, exec, s[24:25]
	v_mov_b32_e32 v27, v30
.LBB814_284:
	s_or_b64 exec, exec, s[14:15]
	v_lshrrev_b16_e32 v30, 8, v26
	v_cmp_ne_u16_e64 s[12:13], 0, v30
	v_mov_b32_e32 v36, 0
	v_mov_b32_e32 v35, 0
	s_and_saveexec_b64 s[14:15], s[12:13]
	s_cbranch_execz .LBB814_290
; %bb.285:
	s_movk_i32 s12, 0x80
	v_cmp_ne_u16_e64 s[12:13], s12, v30
	v_mov_b32_e32 v35, 0xffff8000
	s_and_saveexec_b64 s[24:25], s[12:13]
	s_cbranch_execz .LBB814_289
; %bb.286:
	s_movk_i32 s12, 0x7f
	v_and_b32_e32 v37, 0x7f, v30
	v_cmp_ne_u32_e64 s[12:13], s12, v37
	v_mov_b32_e32 v35, 0x7f80
	s_and_saveexec_b64 s[26:27], s[12:13]
	s_cbranch_execz .LBB814_288
; %bb.287:
	v_and_b32_e32 v35, 7, v30
	v_ffbh_u32_e32 v38, v35
	v_min_u32_e32 v41, 32, v38
	v_subrev_u32_e32 v38, 28, v41
	v_lshlrev_b64 v[38:39], v38, v[30:31]
	v_lshrrev_b32_e32 v40, 3, v37
	v_sub_u32_e32 v30, 29, v41
	v_and_b32_e32 v38, 7, v38
	v_cmp_gt_u32_e64 s[12:13], 8, v37
	v_cndmask_b32_e64 v30, v40, v30, s[12:13]
	v_cndmask_b32_e64 v35, v35, v38, s[12:13]
	v_lshlrev_b32_e32 v26, 16, v26
	v_bfrev_b32_e32 v37, 60
	v_lshlrev_b32_e32 v35, 20, v35
	v_and_b32_e32 v26, 0x80000000, v26
	v_lshl_add_u32 v30, v30, 23, v37
	v_or3_b32 v26, v26, v30, v35
	v_lshrrev_b32_e32 v35, 16, v26
.LBB814_288:
	s_or_b64 exec, exec, s[26:27]
.LBB814_289:
	s_or_b64 exec, exec, s[24:25]
.LBB814_290:
	s_or_b64 exec, exec, s[14:15]
	s_movk_i32 s12, 0xff
	v_and_b32_sdwa v30, v29, s12 dst_sel:DWORD dst_unused:UNUSED_PAD src0_sel:WORD_1 src1_sel:DWORD
	v_lshrrev_b32_e32 v26, 16, v29
	v_cmp_ne_u16_e64 s[12:13], 0, v30
	s_and_saveexec_b64 s[14:15], s[12:13]
	s_cbranch_execz .LBB814_296
; %bb.291:
	s_movk_i32 s12, 0x80
	v_cmp_ne_u16_e64 s[12:13], s12, v30
	v_mov_b32_e32 v36, 0xffff8000
	s_and_saveexec_b64 s[24:25], s[12:13]
	s_cbranch_execz .LBB814_295
; %bb.292:
	v_bfe_u32 v30, v29, 16, 7
	s_movk_i32 s12, 0x7f
	v_cmp_ne_u32_e64 s[12:13], s12, v30
	v_mov_b32_e32 v36, 0x7f80
	s_and_saveexec_b64 s[26:27], s[12:13]
	s_cbranch_execz .LBB814_294
; %bb.293:
	v_and_b32_e32 v38, 7, v26
	v_ffbh_u32_e32 v36, v38
	v_min_u32_e32 v40, 32, v36
	v_subrev_u32_e32 v36, 28, v40
	v_lshlrev_b64 v[36:37], v36, v[26:27]
	v_and_b32_e32 v36, 7, v36
	v_cmp_gt_u32_e64 s[12:13], 8, v30
	v_lshrrev_b32_e32 v39, 3, v30
	v_sub_u32_e32 v26, 29, v40
	v_cndmask_b32_e64 v30, v38, v36, s[12:13]
	v_mov_b32_e32 v36, 24
	v_cndmask_b32_e64 v26, v39, v26, s[12:13]
	v_lshlrev_b32_sdwa v36, v36, v29 dst_sel:DWORD dst_unused:UNUSED_PAD src0_sel:DWORD src1_sel:WORD_1
	v_bfrev_b32_e32 v37, 60
	v_lshlrev_b32_e32 v30, 20, v30
	v_and_b32_e32 v36, 0x80000000, v36
	v_lshl_add_u32 v26, v26, 23, v37
	v_or3_b32 v26, v36, v26, v30
	v_lshrrev_b32_e32 v36, 16, v26
.LBB814_294:
	s_or_b64 exec, exec, s[26:27]
.LBB814_295:
	s_or_b64 exec, exec, s[24:25]
.LBB814_296:
	s_or_b64 exec, exec, s[14:15]
	s_mov_b32 s12, -1
	s_mov_b32 s13, 0xffffff
	v_cmp_lt_u64_e64 s[12:13], s[12:13], v[28:29]
	v_mov_b32_e32 v30, 0
	v_mov_b32_e32 v28, 0
	s_and_saveexec_b64 s[14:15], s[12:13]
	s_cbranch_execz .LBB814_302
; %bb.297:
	v_lshrrev_b32_e32 v26, 24, v29
	s_movk_i32 s12, 0x80
	v_cmp_ne_u32_e64 s[12:13], s12, v26
	v_mov_b32_e32 v28, 0xffff8000
	s_and_saveexec_b64 s[24:25], s[12:13]
	s_cbranch_execz .LBB814_301
; %bb.298:
	v_bfe_u32 v29, v29, 24, 7
	s_movk_i32 s12, 0x7f
	v_cmp_ne_u32_e64 s[12:13], s12, v29
	v_mov_b32_e32 v28, 0x7f80
	s_and_saveexec_b64 s[26:27], s[12:13]
	s_cbranch_execz .LBB814_300
; %bb.299:
	v_and_b32_e32 v28, 7, v26
	v_ffbh_u32_e32 v38, v28
	v_min_u32_e32 v40, 32, v38
	v_subrev_u32_e32 v38, 28, v40
	v_lshlrev_b64 v[38:39], v38, v[26:27]
	v_lshrrev_b32_e32 v37, 3, v29
	v_sub_u32_e32 v39, 29, v40
	v_and_b32_e32 v38, 7, v38
	v_cmp_gt_u32_e64 s[12:13], 8, v29
	v_cndmask_b32_e64 v29, v37, v39, s[12:13]
	v_cndmask_b32_e64 v28, v28, v38, s[12:13]
	v_lshlrev_b32_e32 v26, 24, v26
	v_bfrev_b32_e32 v37, 60
	v_lshlrev_b32_e32 v28, 20, v28
	v_and_b32_e32 v26, 0x80000000, v26
	v_lshl_add_u32 v29, v29, 23, v37
	v_or3_b32 v26, v26, v29, v28
	v_lshrrev_b32_e32 v28, 16, v26
.LBB814_300:
	s_or_b64 exec, exec, s[26:27]
.LBB814_301:
	s_or_b64 exec, exec, s[24:25]
.LBB814_302:
	s_or_b64 exec, exec, s[14:15]
	s_mov_b32 s12, 0x5040100
	v_perm_b32 v33, v34, v33, s12
	v_perm_b32 v32, v31, v32, s12
	;; [unrolled: 1-line block ×4, first 2 shown]
	v_mfma_f32_4x4x4bf16_1k a[0:3], v[2:3], v[32:33], a[0:3] cbsz:4 abid:5
	v_cmp_ne_u16_sdwa s[12:13], v22, v30 src0_sel:BYTE_0 src1_sel:DWORD
	v_mfma_f32_4x4x4bf16_1k a[0:3], v[4:5], v[28:29], a[0:3] cbsz:4 abid:5
	s_and_saveexec_b64 s[14:15], s[12:13]
	s_cbranch_execz .LBB814_308
; %bb.303:
	s_movk_i32 s12, 0x80
	v_cmp_ne_u16_sdwa s[12:13], v22, s12 src0_sel:BYTE_0 src1_sel:DWORD
	v_mov_b32_e32 v30, 0xffff8000
	s_and_saveexec_b64 s[24:25], s[12:13]
	s_cbranch_execz .LBB814_307
; %bb.304:
	s_movk_i32 s12, 0x7f
	v_and_b32_e32 v26, 0x7f, v22
	v_cmp_ne_u32_e64 s[12:13], s12, v26
	v_mov_b32_e32 v30, 0x7f80
	s_and_saveexec_b64 s[26:27], s[12:13]
	s_cbranch_execz .LBB814_306
; %bb.305:
	v_and_b32_e32 v27, 7, v22
	v_ffbh_u32_e32 v27, v27
	v_min_u32_e32 v27, 32, v27
	v_subrev_u32_e32 v29, 28, v27
	v_cmp_gt_u32_e64 s[12:13], 8, v26
	v_lshrrev_b32_e32 v28, 3, v26
	v_sub_u32_e32 v27, 29, v27
	v_cndmask_b32_e64 v26, 0, v29, s[12:13]
	v_cndmask_b32_e64 v28, v28, v27, s[12:13]
	v_lshlrev_b64 v[26:27], v26, v[22:23]
	v_lshlrev_b32_e32 v26, 20, v26
	v_lshlrev_b32_e32 v27, 24, v22
	v_bfrev_b32_e32 v29, 60
	v_and_b32_e32 v26, 0x700000, v26
	v_and_b32_e32 v27, 0x80000000, v27
	v_lshl_add_u32 v28, v28, 23, v29
	v_or3_b32 v26, v27, v28, v26
	v_lshrrev_b32_e32 v30, 16, v26
.LBB814_306:
	s_or_b64 exec, exec, s[26:27]
.LBB814_307:
	s_or_b64 exec, exec, s[24:25]
.LBB814_308:
	s_or_b64 exec, exec, s[14:15]
	v_lshrrev_b16_e32 v26, 8, v22
	v_cmp_ne_u16_e64 s[12:13], 0, v26
	v_mov_b32_e32 v31, 0
	v_mov_b32_e32 v29, 0
	s_and_saveexec_b64 s[14:15], s[12:13]
	s_cbranch_execz .LBB814_314
; %bb.309:
	s_movk_i32 s12, 0x80
	v_cmp_ne_u16_e64 s[12:13], s12, v26
	v_mov_b32_e32 v29, 0xffff8000
	s_and_saveexec_b64 s[24:25], s[12:13]
	s_cbranch_execz .LBB814_313
; %bb.310:
	s_movk_i32 s12, 0x7f
	v_and_b32_e32 v27, 0x7f, v26
	v_cmp_ne_u32_e64 s[12:13], s12, v27
	v_mov_b32_e32 v29, 0x7f80
	s_and_saveexec_b64 s[26:27], s[12:13]
	s_cbranch_execz .LBB814_312
; %bb.311:
	v_and_b32_e32 v32, 7, v26
	v_ffbh_u32_e32 v28, v32
	v_min_u32_e32 v34, 32, v28
	v_subrev_u32_e32 v28, 28, v34
	v_lshlrev_b64 v[28:29], v28, v[26:27]
	v_lshrrev_b32_e32 v33, 3, v27
	v_sub_u32_e32 v26, 29, v34
	v_and_b32_e32 v28, 7, v28
	v_cmp_gt_u32_e64 s[12:13], 8, v27
	v_cndmask_b32_e64 v26, v33, v26, s[12:13]
	v_cndmask_b32_e64 v27, v32, v28, s[12:13]
	v_lshlrev_b32_e32 v28, 16, v22
	v_bfrev_b32_e32 v29, 60
	v_lshlrev_b32_e32 v27, 20, v27
	v_and_b32_e32 v28, 0x80000000, v28
	v_lshl_add_u32 v26, v26, 23, v29
	v_or3_b32 v26, v28, v26, v27
	v_lshrrev_b32_e32 v29, 16, v26
.LBB814_312:
	s_or_b64 exec, exec, s[26:27]
.LBB814_313:
	s_or_b64 exec, exec, s[24:25]
.LBB814_314:
	s_or_b64 exec, exec, s[14:15]
	s_movk_i32 s12, 0xff
	v_and_b32_sdwa v27, v22, s12 dst_sel:DWORD dst_unused:UNUSED_PAD src0_sel:WORD_1 src1_sel:DWORD
	v_lshrrev_b32_e32 v26, 16, v22
	v_cmp_ne_u16_e64 s[12:13], 0, v27
	s_and_saveexec_b64 s[14:15], s[12:13]
	s_cbranch_execz .LBB814_320
; %bb.315:
	s_movk_i32 s12, 0x80
	v_cmp_ne_u16_e64 s[12:13], s12, v27
	v_mov_b32_e32 v31, 0xffff8000
	s_and_saveexec_b64 s[24:25], s[12:13]
	s_cbranch_execz .LBB814_319
; %bb.316:
	v_bfe_u32 v27, v22, 16, 7
	s_movk_i32 s12, 0x7f
	v_cmp_ne_u32_e64 s[12:13], s12, v27
	v_mov_b32_e32 v31, 0x7f80
	s_and_saveexec_b64 s[26:27], s[12:13]
	s_cbranch_execz .LBB814_318
; %bb.317:
	v_and_b32_e32 v28, 7, v26
	v_ffbh_u32_e32 v32, v28
	v_min_u32_e32 v34, 32, v32
	v_subrev_u32_e32 v32, 28, v34
	v_lshlrev_b64 v[32:33], v32, v[26:27]
	v_and_b32_e32 v32, 7, v32
	v_cmp_gt_u32_e64 s[12:13], 8, v27
	v_lshrrev_b32_e32 v31, 3, v27
	v_sub_u32_e32 v26, 29, v34
	v_cndmask_b32_e64 v27, v28, v32, s[12:13]
	v_mov_b32_e32 v28, 24
	v_cndmask_b32_e64 v26, v31, v26, s[12:13]
	v_lshlrev_b32_sdwa v28, v28, v22 dst_sel:DWORD dst_unused:UNUSED_PAD src0_sel:DWORD src1_sel:WORD_1
	v_bfrev_b32_e32 v31, 60
	v_lshlrev_b32_e32 v27, 20, v27
	v_and_b32_e32 v28, 0x80000000, v28
	v_lshl_add_u32 v26, v26, 23, v31
	v_or3_b32 v26, v28, v26, v27
	v_lshrrev_b32_e32 v31, 16, v26
.LBB814_318:
	s_or_b64 exec, exec, s[26:27]
.LBB814_319:
	s_or_b64 exec, exec, s[24:25]
.LBB814_320:
	s_or_b64 exec, exec, s[14:15]
	s_mov_b32 s12, 0xffffff
	v_cmp_lt_u32_e64 s[12:13], s12, v22
	v_mov_b32_e32 v27, 0
	v_mov_b32_e32 v32, 0
	s_and_saveexec_b64 s[14:15], s[12:13]
	s_cbranch_execz .LBB814_326
; %bb.321:
	v_lshrrev_b32_e32 v26, 24, v22
	s_movk_i32 s12, 0x80
	v_cmp_ne_u32_e64 s[12:13], s12, v26
	v_mov_b32_e32 v32, 0xffff8000
	s_and_saveexec_b64 s[24:25], s[12:13]
	s_cbranch_execz .LBB814_325
; %bb.322:
	v_bfe_u32 v28, v22, 24, 7
	s_movk_i32 s12, 0x7f
	v_cmp_ne_u32_e64 s[12:13], s12, v28
	v_mov_b32_e32 v32, 0x7f80
	s_and_saveexec_b64 s[26:27], s[12:13]
	s_cbranch_execz .LBB814_324
; %bb.323:
	v_and_b32_e32 v34, 7, v26
	v_ffbh_u32_e32 v32, v34
	v_min_u32_e32 v36, 32, v32
	v_subrev_u32_e32 v32, 28, v36
	v_lshlrev_b64 v[32:33], v32, v[26:27]
	v_lshrrev_b32_e32 v35, 3, v28
	v_sub_u32_e32 v33, 29, v36
	v_and_b32_e32 v32, 7, v32
	v_cmp_gt_u32_e64 s[12:13], 8, v28
	v_cndmask_b32_e64 v28, v35, v33, s[12:13]
	v_cndmask_b32_e64 v32, v34, v32, s[12:13]
	v_lshlrev_b32_e32 v26, 24, v26
	v_bfrev_b32_e32 v33, 60
	v_lshlrev_b32_e32 v32, 20, v32
	v_and_b32_e32 v26, 0x80000000, v26
	v_lshl_add_u32 v28, v28, 23, v33
	v_or3_b32 v26, v26, v28, v32
	v_lshrrev_b32_e32 v32, 16, v26
.LBB814_324:
	s_or_b64 exec, exec, s[26:27]
.LBB814_325:
	s_or_b64 exec, exec, s[24:25]
.LBB814_326:
	s_or_b64 exec, exec, s[14:15]
	v_mov_b32_e32 v26, v23
	v_cmp_ne_u16_sdwa s[12:13], v23, v27 src0_sel:BYTE_0 src1_sel:DWORD
	s_and_saveexec_b64 s[14:15], s[12:13]
	s_cbranch_execz .LBB814_332
; %bb.327:
	s_movk_i32 s12, 0x80
	v_cmp_ne_u16_sdwa s[12:13], v23, s12 src0_sel:BYTE_0 src1_sel:DWORD
	v_mov_b32_e32 v28, 0xffff8000
	s_and_saveexec_b64 s[24:25], s[12:13]
	s_cbranch_execz .LBB814_331
; %bb.328:
	s_movk_i32 s12, 0x7f
	v_and_b32_e32 v33, 0x7f, v23
	v_cmp_ne_u32_e64 s[12:13], s12, v33
	v_mov_b32_e32 v28, 0x7f80
	s_and_saveexec_b64 s[26:27], s[12:13]
	s_cbranch_execz .LBB814_330
; %bb.329:
	v_and_b32_e32 v28, 7, v23
	v_ffbh_u32_e32 v28, v28
	v_min_u32_e32 v28, 32, v28
	v_subrev_u32_e32 v35, 28, v28
	v_cmp_gt_u32_e64 s[12:13], 8, v33
	v_lshrrev_b32_e32 v34, 3, v33
	v_sub_u32_e32 v28, 29, v28
	v_cndmask_b32_e64 v33, 0, v35, s[12:13]
	v_cndmask_b32_e64 v28, v34, v28, s[12:13]
	v_lshlrev_b64 v[34:35], v33, v[26:27]
	v_lshlrev_b32_e32 v27, 20, v34
	v_lshlrev_b32_e32 v33, 24, v26
	v_bfrev_b32_e32 v34, 60
	v_and_b32_e32 v27, 0x700000, v27
	v_and_b32_e32 v33, 0x80000000, v33
	v_lshl_add_u32 v28, v28, 23, v34
	v_or3_b32 v27, v33, v28, v27
	v_lshrrev_b32_e32 v28, 16, v27
.LBB814_330:
	s_or_b64 exec, exec, s[26:27]
.LBB814_331:
	s_or_b64 exec, exec, s[24:25]
	v_mov_b32_e32 v27, v28
.LBB814_332:
	s_or_b64 exec, exec, s[14:15]
	v_lshrrev_b16_e32 v28, 8, v26
	v_cmp_ne_u16_e64 s[12:13], 0, v28
	v_mov_b32_e32 v34, 0
	v_mov_b32_e32 v33, 0
	s_and_saveexec_b64 s[14:15], s[12:13]
	s_cbranch_execz .LBB814_338
; %bb.333:
	s_movk_i32 s12, 0x80
	v_cmp_ne_u16_e64 s[12:13], s12, v28
	v_mov_b32_e32 v33, 0xffff8000
	s_and_saveexec_b64 s[24:25], s[12:13]
	s_cbranch_execz .LBB814_337
; %bb.334:
	s_movk_i32 s12, 0x7f
	v_and_b32_e32 v35, 0x7f, v28
	v_cmp_ne_u32_e64 s[12:13], s12, v35
	v_mov_b32_e32 v33, 0x7f80
	s_and_saveexec_b64 s[26:27], s[12:13]
	s_cbranch_execz .LBB814_336
; %bb.335:
	v_and_b32_e32 v33, 7, v28
	v_ffbh_u32_e32 v36, v33
	v_min_u32_e32 v39, 32, v36
	v_subrev_u32_e32 v36, 28, v39
	v_lshlrev_b64 v[36:37], v36, v[28:29]
	v_lshrrev_b32_e32 v38, 3, v35
	v_sub_u32_e32 v28, 29, v39
	v_and_b32_e32 v36, 7, v36
	v_cmp_gt_u32_e64 s[12:13], 8, v35
	v_cndmask_b32_e64 v28, v38, v28, s[12:13]
	v_cndmask_b32_e64 v33, v33, v36, s[12:13]
	v_lshlrev_b32_e32 v26, 16, v26
	v_bfrev_b32_e32 v35, 60
	v_lshlrev_b32_e32 v33, 20, v33
	v_and_b32_e32 v26, 0x80000000, v26
	v_lshl_add_u32 v28, v28, 23, v35
	v_or3_b32 v26, v26, v28, v33
	v_lshrrev_b32_e32 v33, 16, v26
.LBB814_336:
	s_or_b64 exec, exec, s[26:27]
.LBB814_337:
	s_or_b64 exec, exec, s[24:25]
.LBB814_338:
	s_or_b64 exec, exec, s[14:15]
	s_movk_i32 s12, 0xff
	v_and_b32_sdwa v28, v23, s12 dst_sel:DWORD dst_unused:UNUSED_PAD src0_sel:WORD_1 src1_sel:DWORD
	v_lshrrev_b32_e32 v26, 16, v23
	v_cmp_ne_u16_e64 s[12:13], 0, v28
	s_and_saveexec_b64 s[14:15], s[12:13]
	s_cbranch_execz .LBB814_344
; %bb.339:
	s_movk_i32 s12, 0x80
	v_cmp_ne_u16_e64 s[12:13], s12, v28
	v_mov_b32_e32 v34, 0xffff8000
	s_and_saveexec_b64 s[24:25], s[12:13]
	s_cbranch_execz .LBB814_343
; %bb.340:
	v_bfe_u32 v28, v23, 16, 7
	s_movk_i32 s12, 0x7f
	v_cmp_ne_u32_e64 s[12:13], s12, v28
	v_mov_b32_e32 v34, 0x7f80
	s_and_saveexec_b64 s[26:27], s[12:13]
	s_cbranch_execz .LBB814_342
; %bb.341:
	v_and_b32_e32 v36, 7, v26
	v_ffbh_u32_e32 v34, v36
	v_min_u32_e32 v38, 32, v34
	v_subrev_u32_e32 v34, 28, v38
	v_lshlrev_b64 v[34:35], v34, v[26:27]
	v_and_b32_e32 v34, 7, v34
	v_cmp_gt_u32_e64 s[12:13], 8, v28
	v_lshrrev_b32_e32 v37, 3, v28
	v_sub_u32_e32 v26, 29, v38
	v_cndmask_b32_e64 v28, v36, v34, s[12:13]
	v_mov_b32_e32 v34, 24
	v_cndmask_b32_e64 v26, v37, v26, s[12:13]
	v_lshlrev_b32_sdwa v34, v34, v23 dst_sel:DWORD dst_unused:UNUSED_PAD src0_sel:DWORD src1_sel:WORD_1
	v_bfrev_b32_e32 v35, 60
	v_lshlrev_b32_e32 v28, 20, v28
	v_and_b32_e32 v34, 0x80000000, v34
	v_lshl_add_u32 v26, v26, 23, v35
	v_or3_b32 v26, v34, v26, v28
	v_lshrrev_b32_e32 v34, 16, v26
.LBB814_342:
	s_or_b64 exec, exec, s[26:27]
.LBB814_343:
	s_or_b64 exec, exec, s[24:25]
.LBB814_344:
	s_or_b64 exec, exec, s[14:15]
	s_mov_b32 s12, -1
	s_mov_b32 s13, 0xffffff
	v_cmp_lt_u64_e64 s[12:13], s[12:13], v[22:23]
	v_mov_b32_e32 v28, 0
	v_mov_b32_e32 v26, 0
	s_and_saveexec_b64 s[14:15], s[12:13]
	s_cbranch_execz .LBB814_350
; %bb.345:
	v_lshrrev_b32_e32 v22, 24, v23
	s_movk_i32 s12, 0x80
	v_cmp_ne_u32_e64 s[12:13], s12, v22
	v_mov_b32_e32 v26, 0xffff8000
	s_and_saveexec_b64 s[24:25], s[12:13]
	s_cbranch_execz .LBB814_349
; %bb.346:
	v_bfe_u32 v23, v23, 24, 7
	s_movk_i32 s12, 0x7f
	v_cmp_ne_u32_e64 s[12:13], s12, v23
	v_mov_b32_e32 v26, 0x7f80
	s_and_saveexec_b64 s[26:27], s[12:13]
	s_cbranch_execz .LBB814_348
; %bb.347:
	v_and_b32_e32 v26, 7, v22
	v_ffbh_u32_e32 v36, v26
	v_min_u32_e32 v38, 32, v36
	v_subrev_u32_e32 v36, 28, v38
	v_lshlrev_b64 v[36:37], v36, v[22:23]
	v_lshrrev_b32_e32 v35, 3, v23
	v_sub_u32_e32 v37, 29, v38
	v_and_b32_e32 v36, 7, v36
	v_cmp_gt_u32_e64 s[12:13], 8, v23
	v_cndmask_b32_e64 v23, v35, v37, s[12:13]
	v_cndmask_b32_e64 v26, v26, v36, s[12:13]
	v_lshlrev_b32_e32 v22, 24, v22
	v_bfrev_b32_e32 v35, 60
	v_lshlrev_b32_e32 v26, 20, v26
	v_and_b32_e32 v22, 0x80000000, v22
	v_lshl_add_u32 v23, v23, 23, v35
	v_or3_b32 v22, v22, v23, v26
	v_lshrrev_b32_e32 v26, 16, v22
.LBB814_348:
	s_or_b64 exec, exec, s[26:27]
.LBB814_349:
	s_or_b64 exec, exec, s[24:25]
.LBB814_350:
	s_or_b64 exec, exec, s[14:15]
	s_mov_b32 s12, 0x5040100
	v_perm_b32 v23, v32, v31, s12
	v_perm_b32 v22, v29, v30, s12
	;; [unrolled: 1-line block ×4, first 2 shown]
	v_mfma_f32_4x4x4bf16_1k a[0:3], v[2:3], v[22:23], a[0:3] cbsz:4 abid:6
	v_cmp_ne_u16_sdwa s[12:13], v24, v28 src0_sel:BYTE_0 src1_sel:DWORD
	v_mfma_f32_4x4x4bf16_1k a[0:3], v[4:5], v[30:31], a[0:3] cbsz:4 abid:6
	s_and_saveexec_b64 s[14:15], s[12:13]
	s_cbranch_execz .LBB814_356
; %bb.351:
	s_movk_i32 s12, 0x80
	v_cmp_ne_u16_sdwa s[12:13], v24, s12 src0_sel:BYTE_0 src1_sel:DWORD
	v_mov_b32_e32 v28, 0xffff8000
	s_and_saveexec_b64 s[24:25], s[12:13]
	s_cbranch_execz .LBB814_355
; %bb.352:
	s_movk_i32 s12, 0x7f
	v_and_b32_e32 v22, 0x7f, v24
	v_cmp_ne_u32_e64 s[12:13], s12, v22
	v_mov_b32_e32 v28, 0x7f80
	s_and_saveexec_b64 s[26:27], s[12:13]
	s_cbranch_execz .LBB814_354
; %bb.353:
	v_and_b32_e32 v23, 7, v24
	v_ffbh_u32_e32 v23, v23
	v_min_u32_e32 v23, 32, v23
	v_subrev_u32_e32 v27, 28, v23
	v_cmp_gt_u32_e64 s[12:13], 8, v22
	v_lshrrev_b32_e32 v26, 3, v22
	v_sub_u32_e32 v23, 29, v23
	v_cndmask_b32_e64 v22, 0, v27, s[12:13]
	v_cndmask_b32_e64 v26, v26, v23, s[12:13]
	v_lshlrev_b64 v[22:23], v22, v[24:25]
	v_lshlrev_b32_e32 v22, 20, v22
	v_lshlrev_b32_e32 v23, 24, v24
	v_bfrev_b32_e32 v27, 60
	v_and_b32_e32 v22, 0x700000, v22
	v_and_b32_e32 v23, 0x80000000, v23
	v_lshl_add_u32 v26, v26, 23, v27
	v_or3_b32 v22, v23, v26, v22
	v_lshrrev_b32_e32 v28, 16, v22
.LBB814_354:
	s_or_b64 exec, exec, s[26:27]
.LBB814_355:
	s_or_b64 exec, exec, s[24:25]
.LBB814_356:
	s_or_b64 exec, exec, s[14:15]
	v_lshrrev_b16_e32 v22, 8, v24
	v_cmp_ne_u16_e64 s[12:13], 0, v22
	v_mov_b32_e32 v29, 0
	v_mov_b32_e32 v27, 0
	s_and_saveexec_b64 s[14:15], s[12:13]
	s_cbranch_execz .LBB814_362
; %bb.357:
	s_movk_i32 s12, 0x80
	v_cmp_ne_u16_e64 s[12:13], s12, v22
	v_mov_b32_e32 v27, 0xffff8000
	s_and_saveexec_b64 s[24:25], s[12:13]
	s_cbranch_execz .LBB814_361
; %bb.358:
	s_movk_i32 s12, 0x7f
	v_and_b32_e32 v23, 0x7f, v22
	v_cmp_ne_u32_e64 s[12:13], s12, v23
	v_mov_b32_e32 v27, 0x7f80
	s_and_saveexec_b64 s[26:27], s[12:13]
	s_cbranch_execz .LBB814_360
; %bb.359:
	v_and_b32_e32 v30, 7, v22
	v_ffbh_u32_e32 v26, v30
	v_min_u32_e32 v32, 32, v26
	v_subrev_u32_e32 v26, 28, v32
	v_lshlrev_b64 v[26:27], v26, v[22:23]
	v_lshrrev_b32_e32 v31, 3, v23
	v_sub_u32_e32 v22, 29, v32
	v_and_b32_e32 v26, 7, v26
	v_cmp_gt_u32_e64 s[12:13], 8, v23
	v_cndmask_b32_e64 v22, v31, v22, s[12:13]
	v_cndmask_b32_e64 v23, v30, v26, s[12:13]
	v_lshlrev_b32_e32 v26, 16, v24
	v_bfrev_b32_e32 v27, 60
	v_lshlrev_b32_e32 v23, 20, v23
	v_and_b32_e32 v26, 0x80000000, v26
	v_lshl_add_u32 v22, v22, 23, v27
	v_or3_b32 v22, v26, v22, v23
	v_lshrrev_b32_e32 v27, 16, v22
.LBB814_360:
	s_or_b64 exec, exec, s[26:27]
.LBB814_361:
	s_or_b64 exec, exec, s[24:25]
.LBB814_362:
	s_or_b64 exec, exec, s[14:15]
	s_movk_i32 s12, 0xff
	v_and_b32_sdwa v23, v24, s12 dst_sel:DWORD dst_unused:UNUSED_PAD src0_sel:WORD_1 src1_sel:DWORD
	v_lshrrev_b32_e32 v22, 16, v24
	v_cmp_ne_u16_e64 s[12:13], 0, v23
	s_and_saveexec_b64 s[14:15], s[12:13]
	s_cbranch_execz .LBB814_368
; %bb.363:
	s_movk_i32 s12, 0x80
	v_cmp_ne_u16_e64 s[12:13], s12, v23
	v_mov_b32_e32 v29, 0xffff8000
	s_and_saveexec_b64 s[24:25], s[12:13]
	s_cbranch_execz .LBB814_367
; %bb.364:
	v_bfe_u32 v23, v24, 16, 7
	s_movk_i32 s12, 0x7f
	v_cmp_ne_u32_e64 s[12:13], s12, v23
	v_mov_b32_e32 v29, 0x7f80
	s_and_saveexec_b64 s[26:27], s[12:13]
	s_cbranch_execz .LBB814_366
; %bb.365:
	v_and_b32_e32 v26, 7, v22
	v_ffbh_u32_e32 v30, v26
	v_min_u32_e32 v32, 32, v30
	v_subrev_u32_e32 v30, 28, v32
	v_lshlrev_b64 v[30:31], v30, v[22:23]
	v_and_b32_e32 v30, 7, v30
	v_cmp_gt_u32_e64 s[12:13], 8, v23
	v_lshrrev_b32_e32 v29, 3, v23
	v_sub_u32_e32 v22, 29, v32
	v_cndmask_b32_e64 v23, v26, v30, s[12:13]
	v_mov_b32_e32 v26, 24
	v_cndmask_b32_e64 v22, v29, v22, s[12:13]
	v_lshlrev_b32_sdwa v26, v26, v24 dst_sel:DWORD dst_unused:UNUSED_PAD src0_sel:DWORD src1_sel:WORD_1
	v_bfrev_b32_e32 v29, 60
	v_lshlrev_b32_e32 v23, 20, v23
	v_and_b32_e32 v26, 0x80000000, v26
	v_lshl_add_u32 v22, v22, 23, v29
	v_or3_b32 v22, v26, v22, v23
	v_lshrrev_b32_e32 v29, 16, v22
.LBB814_366:
	s_or_b64 exec, exec, s[26:27]
.LBB814_367:
	s_or_b64 exec, exec, s[24:25]
.LBB814_368:
	s_or_b64 exec, exec, s[14:15]
	s_mov_b32 s12, 0xffffff
	v_cmp_lt_u32_e64 s[12:13], s12, v24
	v_mov_b32_e32 v23, 0
	v_mov_b32_e32 v30, 0
	s_and_saveexec_b64 s[14:15], s[12:13]
	s_cbranch_execz .LBB814_374
; %bb.369:
	v_lshrrev_b32_e32 v22, 24, v24
	s_movk_i32 s12, 0x80
	v_cmp_ne_u32_e64 s[12:13], s12, v22
	v_mov_b32_e32 v30, 0xffff8000
	s_and_saveexec_b64 s[24:25], s[12:13]
	s_cbranch_execz .LBB814_373
; %bb.370:
	v_bfe_u32 v26, v24, 24, 7
	s_movk_i32 s12, 0x7f
	v_cmp_ne_u32_e64 s[12:13], s12, v26
	v_mov_b32_e32 v30, 0x7f80
	s_and_saveexec_b64 s[26:27], s[12:13]
	s_cbranch_execz .LBB814_372
; %bb.371:
	v_and_b32_e32 v32, 7, v22
	v_ffbh_u32_e32 v30, v32
	v_min_u32_e32 v34, 32, v30
	v_subrev_u32_e32 v30, 28, v34
	v_lshlrev_b64 v[30:31], v30, v[22:23]
	v_lshrrev_b32_e32 v33, 3, v26
	v_sub_u32_e32 v31, 29, v34
	v_and_b32_e32 v30, 7, v30
	v_cmp_gt_u32_e64 s[12:13], 8, v26
	v_cndmask_b32_e64 v26, v33, v31, s[12:13]
	v_cndmask_b32_e64 v30, v32, v30, s[12:13]
	v_lshlrev_b32_e32 v22, 24, v22
	v_bfrev_b32_e32 v31, 60
	v_lshlrev_b32_e32 v30, 20, v30
	v_and_b32_e32 v22, 0x80000000, v22
	v_lshl_add_u32 v26, v26, 23, v31
	v_or3_b32 v22, v22, v26, v30
	v_lshrrev_b32_e32 v30, 16, v22
.LBB814_372:
	s_or_b64 exec, exec, s[26:27]
.LBB814_373:
	s_or_b64 exec, exec, s[24:25]
.LBB814_374:
	s_or_b64 exec, exec, s[14:15]
	v_mov_b32_e32 v22, v25
	v_cmp_ne_u16_sdwa s[12:13], v25, v23 src0_sel:BYTE_0 src1_sel:DWORD
	s_and_saveexec_b64 s[14:15], s[12:13]
	s_cbranch_execz .LBB814_380
; %bb.375:
	s_movk_i32 s12, 0x80
	v_cmp_ne_u16_sdwa s[12:13], v25, s12 src0_sel:BYTE_0 src1_sel:DWORD
	v_mov_b32_e32 v26, 0xffff8000
	s_and_saveexec_b64 s[24:25], s[12:13]
	s_cbranch_execz .LBB814_379
; %bb.376:
	s_movk_i32 s12, 0x7f
	v_and_b32_e32 v31, 0x7f, v25
	v_cmp_ne_u32_e64 s[12:13], s12, v31
	v_mov_b32_e32 v26, 0x7f80
	s_and_saveexec_b64 s[26:27], s[12:13]
	s_cbranch_execz .LBB814_378
; %bb.377:
	v_and_b32_e32 v26, 7, v25
	v_ffbh_u32_e32 v26, v26
	v_min_u32_e32 v26, 32, v26
	v_subrev_u32_e32 v33, 28, v26
	v_cmp_gt_u32_e64 s[12:13], 8, v31
	v_lshrrev_b32_e32 v32, 3, v31
	v_sub_u32_e32 v26, 29, v26
	v_cndmask_b32_e64 v31, 0, v33, s[12:13]
	v_cndmask_b32_e64 v26, v32, v26, s[12:13]
	v_lshlrev_b64 v[32:33], v31, v[22:23]
	v_lshlrev_b32_e32 v23, 20, v32
	v_lshlrev_b32_e32 v31, 24, v22
	v_bfrev_b32_e32 v32, 60
	v_and_b32_e32 v23, 0x700000, v23
	v_and_b32_e32 v31, 0x80000000, v31
	v_lshl_add_u32 v26, v26, 23, v32
	v_or3_b32 v23, v31, v26, v23
	v_lshrrev_b32_e32 v26, 16, v23
.LBB814_378:
	s_or_b64 exec, exec, s[26:27]
.LBB814_379:
	s_or_b64 exec, exec, s[24:25]
	v_mov_b32_e32 v23, v26
.LBB814_380:
	s_or_b64 exec, exec, s[14:15]
	v_lshrrev_b16_e32 v26, 8, v22
	v_cmp_ne_u16_e64 s[12:13], 0, v26
	v_mov_b32_e32 v32, 0
	v_mov_b32_e32 v31, 0
	s_and_saveexec_b64 s[14:15], s[12:13]
	s_cbranch_execz .LBB814_386
; %bb.381:
	s_movk_i32 s12, 0x80
	v_cmp_ne_u16_e64 s[12:13], s12, v26
	v_mov_b32_e32 v31, 0xffff8000
	s_and_saveexec_b64 s[24:25], s[12:13]
	s_cbranch_execz .LBB814_385
; %bb.382:
	s_movk_i32 s12, 0x7f
	v_and_b32_e32 v33, 0x7f, v26
	v_cmp_ne_u32_e64 s[12:13], s12, v33
	v_mov_b32_e32 v31, 0x7f80
	s_and_saveexec_b64 s[26:27], s[12:13]
	s_cbranch_execz .LBB814_384
; %bb.383:
	v_and_b32_e32 v31, 7, v26
	v_ffbh_u32_e32 v34, v31
	v_min_u32_e32 v37, 32, v34
	v_subrev_u32_e32 v34, 28, v37
	v_lshlrev_b64 v[34:35], v34, v[26:27]
	v_lshrrev_b32_e32 v36, 3, v33
	v_sub_u32_e32 v26, 29, v37
	v_and_b32_e32 v34, 7, v34
	v_cmp_gt_u32_e64 s[12:13], 8, v33
	v_cndmask_b32_e64 v26, v36, v26, s[12:13]
	v_cndmask_b32_e64 v31, v31, v34, s[12:13]
	v_lshlrev_b32_e32 v22, 16, v22
	v_bfrev_b32_e32 v33, 60
	v_lshlrev_b32_e32 v31, 20, v31
	v_and_b32_e32 v22, 0x80000000, v22
	v_lshl_add_u32 v26, v26, 23, v33
	v_or3_b32 v22, v22, v26, v31
	v_lshrrev_b32_e32 v31, 16, v22
.LBB814_384:
	s_or_b64 exec, exec, s[26:27]
.LBB814_385:
	s_or_b64 exec, exec, s[24:25]
.LBB814_386:
	s_or_b64 exec, exec, s[14:15]
	s_movk_i32 s12, 0xff
	v_and_b32_sdwa v26, v25, s12 dst_sel:DWORD dst_unused:UNUSED_PAD src0_sel:WORD_1 src1_sel:DWORD
	v_lshrrev_b32_e32 v22, 16, v25
	v_cmp_ne_u16_e64 s[12:13], 0, v26
	s_and_saveexec_b64 s[14:15], s[12:13]
	s_cbranch_execz .LBB814_392
; %bb.387:
	s_movk_i32 s12, 0x80
	v_cmp_ne_u16_e64 s[12:13], s12, v26
	v_mov_b32_e32 v32, 0xffff8000
	s_and_saveexec_b64 s[24:25], s[12:13]
	s_cbranch_execz .LBB814_391
; %bb.388:
	v_bfe_u32 v26, v25, 16, 7
	s_movk_i32 s12, 0x7f
	v_cmp_ne_u32_e64 s[12:13], s12, v26
	v_mov_b32_e32 v32, 0x7f80
	s_and_saveexec_b64 s[26:27], s[12:13]
	s_cbranch_execz .LBB814_390
; %bb.389:
	v_and_b32_e32 v34, 7, v22
	v_ffbh_u32_e32 v32, v34
	v_min_u32_e32 v36, 32, v32
	v_subrev_u32_e32 v32, 28, v36
	v_lshlrev_b64 v[32:33], v32, v[22:23]
	v_and_b32_e32 v32, 7, v32
	v_cmp_gt_u32_e64 s[12:13], 8, v26
	v_lshrrev_b32_e32 v35, 3, v26
	v_sub_u32_e32 v22, 29, v36
	v_cndmask_b32_e64 v26, v34, v32, s[12:13]
	v_mov_b32_e32 v32, 24
	v_cndmask_b32_e64 v22, v35, v22, s[12:13]
	v_lshlrev_b32_sdwa v32, v32, v25 dst_sel:DWORD dst_unused:UNUSED_PAD src0_sel:DWORD src1_sel:WORD_1
	v_bfrev_b32_e32 v33, 60
	v_lshlrev_b32_e32 v26, 20, v26
	v_and_b32_e32 v32, 0x80000000, v32
	v_lshl_add_u32 v22, v22, 23, v33
	v_or3_b32 v22, v32, v22, v26
	v_lshrrev_b32_e32 v32, 16, v22
.LBB814_390:
	s_or_b64 exec, exec, s[26:27]
.LBB814_391:
	s_or_b64 exec, exec, s[24:25]
.LBB814_392:
	s_or_b64 exec, exec, s[14:15]
	s_mov_b32 s12, -1
	s_mov_b32 s13, 0xffffff
	v_cmp_lt_u64_e64 s[12:13], s[12:13], v[24:25]
	v_mov_b32_e32 v26, 0
	v_mov_b32_e32 v24, 0
	s_and_saveexec_b64 s[14:15], s[12:13]
	s_cbranch_execz .LBB814_398
; %bb.393:
	v_lshrrev_b32_e32 v22, 24, v25
	s_movk_i32 s12, 0x80
	v_cmp_ne_u32_e64 s[12:13], s12, v22
	v_mov_b32_e32 v24, 0xffff8000
	s_and_saveexec_b64 s[24:25], s[12:13]
	s_cbranch_execz .LBB814_397
; %bb.394:
	v_bfe_u32 v25, v25, 24, 7
	s_movk_i32 s12, 0x7f
	v_cmp_ne_u32_e64 s[12:13], s12, v25
	v_mov_b32_e32 v24, 0x7f80
	s_and_saveexec_b64 s[26:27], s[12:13]
	s_cbranch_execz .LBB814_396
; %bb.395:
	v_and_b32_e32 v24, 7, v22
	v_ffbh_u32_e32 v34, v24
	v_min_u32_e32 v36, 32, v34
	v_subrev_u32_e32 v34, 28, v36
	v_lshlrev_b64 v[34:35], v34, v[22:23]
	v_lshrrev_b32_e32 v33, 3, v25
	v_sub_u32_e32 v35, 29, v36
	v_and_b32_e32 v34, 7, v34
	v_cmp_gt_u32_e64 s[12:13], 8, v25
	v_cndmask_b32_e64 v25, v33, v35, s[12:13]
	v_cndmask_b32_e64 v24, v24, v34, s[12:13]
	v_lshlrev_b32_e32 v22, 24, v22
	v_bfrev_b32_e32 v33, 60
	v_lshlrev_b32_e32 v24, 20, v24
	v_and_b32_e32 v22, 0x80000000, v22
	v_lshl_add_u32 v25, v25, 23, v33
	v_or3_b32 v22, v22, v25, v24
	v_lshrrev_b32_e32 v24, 16, v22
.LBB814_396:
	s_or_b64 exec, exec, s[26:27]
.LBB814_397:
	s_or_b64 exec, exec, s[24:25]
.LBB814_398:
	s_or_b64 exec, exec, s[14:15]
	s_mov_b32 s12, 0x5040100
	v_perm_b32 v29, v30, v29, s12
	v_perm_b32 v28, v27, v28, s12
	;; [unrolled: 1-line block ×4, first 2 shown]
	v_mfma_f32_4x4x4bf16_1k a[0:3], v[2:3], v[28:29], a[0:3] cbsz:4 abid:7
	s_waitcnt vmcnt(31)
	v_cmp_ne_u16_sdwa s[12:13], v18, v26 src0_sel:BYTE_0 src1_sel:DWORD
	v_mfma_f32_4x4x4bf16_1k a[0:3], v[4:5], v[24:25], a[0:3] cbsz:4 abid:7
	s_and_saveexec_b64 s[14:15], s[12:13]
	s_cbranch_execz .LBB814_404
; %bb.399:
	s_movk_i32 s12, 0x80
	v_cmp_ne_u16_sdwa s[12:13], v18, s12 src0_sel:BYTE_0 src1_sel:DWORD
	v_mov_b32_e32 v26, 0xffff8000
	s_and_saveexec_b64 s[24:25], s[12:13]
	s_cbranch_execz .LBB814_403
; %bb.400:
	s_movk_i32 s12, 0x7f
	v_and_b32_e32 v22, 0x7f, v18
	v_cmp_ne_u32_e64 s[12:13], s12, v22
	v_mov_b32_e32 v26, 0x7f80
	s_and_saveexec_b64 s[26:27], s[12:13]
	s_cbranch_execz .LBB814_402
; %bb.401:
	v_and_b32_e32 v23, 7, v18
	v_ffbh_u32_e32 v23, v23
	v_min_u32_e32 v23, 32, v23
	v_subrev_u32_e32 v25, 28, v23
	v_cmp_gt_u32_e64 s[12:13], 8, v22
	v_lshrrev_b32_e32 v24, 3, v22
	v_sub_u32_e32 v23, 29, v23
	v_cndmask_b32_e64 v22, 0, v25, s[12:13]
	v_cndmask_b32_e64 v24, v24, v23, s[12:13]
	v_lshlrev_b64 v[22:23], v22, v[18:19]
	v_lshlrev_b32_e32 v22, 20, v22
	v_lshlrev_b32_e32 v23, 24, v18
	v_bfrev_b32_e32 v25, 60
	v_and_b32_e32 v22, 0x700000, v22
	v_and_b32_e32 v23, 0x80000000, v23
	v_lshl_add_u32 v24, v24, 23, v25
	v_or3_b32 v22, v23, v24, v22
	v_lshrrev_b32_e32 v26, 16, v22
.LBB814_402:
	s_or_b64 exec, exec, s[26:27]
.LBB814_403:
	s_or_b64 exec, exec, s[24:25]
.LBB814_404:
	s_or_b64 exec, exec, s[14:15]
	v_lshrrev_b16_e32 v22, 8, v18
	v_cmp_ne_u16_e64 s[12:13], 0, v22
	v_mov_b32_e32 v27, 0
	v_mov_b32_e32 v25, 0
	s_and_saveexec_b64 s[14:15], s[12:13]
	s_cbranch_execz .LBB814_410
; %bb.405:
	s_movk_i32 s12, 0x80
	v_cmp_ne_u16_e64 s[12:13], s12, v22
	v_mov_b32_e32 v25, 0xffff8000
	s_and_saveexec_b64 s[24:25], s[12:13]
	s_cbranch_execz .LBB814_409
; %bb.406:
	s_movk_i32 s12, 0x7f
	v_and_b32_e32 v23, 0x7f, v22
	v_cmp_ne_u32_e64 s[12:13], s12, v23
	v_mov_b32_e32 v25, 0x7f80
	s_and_saveexec_b64 s[26:27], s[12:13]
	s_cbranch_execz .LBB814_408
; %bb.407:
	v_and_b32_e32 v28, 7, v22
	v_ffbh_u32_e32 v24, v28
	v_min_u32_e32 v30, 32, v24
	v_subrev_u32_e32 v24, 28, v30
	v_lshlrev_b64 v[24:25], v24, v[22:23]
	v_lshrrev_b32_e32 v29, 3, v23
	v_sub_u32_e32 v22, 29, v30
	v_and_b32_e32 v24, 7, v24
	v_cmp_gt_u32_e64 s[12:13], 8, v23
	v_cndmask_b32_e64 v22, v29, v22, s[12:13]
	v_cndmask_b32_e64 v23, v28, v24, s[12:13]
	v_lshlrev_b32_e32 v24, 16, v18
	v_bfrev_b32_e32 v25, 60
	v_lshlrev_b32_e32 v23, 20, v23
	v_and_b32_e32 v24, 0x80000000, v24
	v_lshl_add_u32 v22, v22, 23, v25
	v_or3_b32 v22, v24, v22, v23
	v_lshrrev_b32_e32 v25, 16, v22
.LBB814_408:
	s_or_b64 exec, exec, s[26:27]
.LBB814_409:
	s_or_b64 exec, exec, s[24:25]
.LBB814_410:
	s_or_b64 exec, exec, s[14:15]
	s_movk_i32 s12, 0xff
	v_and_b32_sdwa v23, v18, s12 dst_sel:DWORD dst_unused:UNUSED_PAD src0_sel:WORD_1 src1_sel:DWORD
	v_lshrrev_b32_e32 v22, 16, v18
	v_cmp_ne_u16_e64 s[12:13], 0, v23
	s_and_saveexec_b64 s[14:15], s[12:13]
	s_cbranch_execz .LBB814_416
; %bb.411:
	s_movk_i32 s12, 0x80
	v_cmp_ne_u16_e64 s[12:13], s12, v23
	v_mov_b32_e32 v27, 0xffff8000
	s_and_saveexec_b64 s[24:25], s[12:13]
	s_cbranch_execz .LBB814_415
; %bb.412:
	v_bfe_u32 v23, v18, 16, 7
	s_movk_i32 s12, 0x7f
	v_cmp_ne_u32_e64 s[12:13], s12, v23
	v_mov_b32_e32 v27, 0x7f80
	s_and_saveexec_b64 s[26:27], s[12:13]
	s_cbranch_execz .LBB814_414
; %bb.413:
	v_and_b32_e32 v24, 7, v22
	v_ffbh_u32_e32 v28, v24
	v_min_u32_e32 v30, 32, v28
	v_subrev_u32_e32 v28, 28, v30
	v_lshlrev_b64 v[28:29], v28, v[22:23]
	v_and_b32_e32 v28, 7, v28
	v_cmp_gt_u32_e64 s[12:13], 8, v23
	v_lshrrev_b32_e32 v27, 3, v23
	v_sub_u32_e32 v22, 29, v30
	v_cndmask_b32_e64 v23, v24, v28, s[12:13]
	v_mov_b32_e32 v24, 24
	v_cndmask_b32_e64 v22, v27, v22, s[12:13]
	v_lshlrev_b32_sdwa v24, v24, v18 dst_sel:DWORD dst_unused:UNUSED_PAD src0_sel:DWORD src1_sel:WORD_1
	v_bfrev_b32_e32 v27, 60
	v_lshlrev_b32_e32 v23, 20, v23
	v_and_b32_e32 v24, 0x80000000, v24
	v_lshl_add_u32 v22, v22, 23, v27
	v_or3_b32 v22, v24, v22, v23
	v_lshrrev_b32_e32 v27, 16, v22
.LBB814_414:
	s_or_b64 exec, exec, s[26:27]
.LBB814_415:
	s_or_b64 exec, exec, s[24:25]
.LBB814_416:
	s_or_b64 exec, exec, s[14:15]
	s_mov_b32 s12, 0xffffff
	v_cmp_lt_u32_e64 s[12:13], s12, v18
	v_mov_b32_e32 v23, 0
	v_mov_b32_e32 v28, 0
	s_and_saveexec_b64 s[14:15], s[12:13]
	s_cbranch_execz .LBB814_422
; %bb.417:
	v_lshrrev_b32_e32 v22, 24, v18
	s_movk_i32 s12, 0x80
	v_cmp_ne_u32_e64 s[12:13], s12, v22
	v_mov_b32_e32 v28, 0xffff8000
	s_and_saveexec_b64 s[24:25], s[12:13]
	s_cbranch_execz .LBB814_421
; %bb.418:
	v_bfe_u32 v24, v18, 24, 7
	s_movk_i32 s12, 0x7f
	v_cmp_ne_u32_e64 s[12:13], s12, v24
	v_mov_b32_e32 v28, 0x7f80
	s_and_saveexec_b64 s[26:27], s[12:13]
	s_cbranch_execz .LBB814_420
; %bb.419:
	v_and_b32_e32 v30, 7, v22
	v_ffbh_u32_e32 v28, v30
	v_min_u32_e32 v32, 32, v28
	v_subrev_u32_e32 v28, 28, v32
	v_lshlrev_b64 v[28:29], v28, v[22:23]
	v_lshrrev_b32_e32 v31, 3, v24
	v_sub_u32_e32 v29, 29, v32
	v_and_b32_e32 v28, 7, v28
	v_cmp_gt_u32_e64 s[12:13], 8, v24
	v_cndmask_b32_e64 v24, v31, v29, s[12:13]
	v_cndmask_b32_e64 v28, v30, v28, s[12:13]
	v_lshlrev_b32_e32 v22, 24, v22
	v_bfrev_b32_e32 v29, 60
	v_lshlrev_b32_e32 v28, 20, v28
	v_and_b32_e32 v22, 0x80000000, v22
	v_lshl_add_u32 v24, v24, 23, v29
	v_or3_b32 v22, v22, v24, v28
	v_lshrrev_b32_e32 v28, 16, v22
.LBB814_420:
	s_or_b64 exec, exec, s[26:27]
.LBB814_421:
	s_or_b64 exec, exec, s[24:25]
.LBB814_422:
	s_or_b64 exec, exec, s[14:15]
	v_mov_b32_e32 v22, v19
	v_cmp_ne_u16_sdwa s[12:13], v19, v23 src0_sel:BYTE_0 src1_sel:DWORD
	s_and_saveexec_b64 s[14:15], s[12:13]
	s_cbranch_execz .LBB814_428
; %bb.423:
	s_movk_i32 s12, 0x80
	v_cmp_ne_u16_sdwa s[12:13], v19, s12 src0_sel:BYTE_0 src1_sel:DWORD
	v_mov_b32_e32 v24, 0xffff8000
	s_and_saveexec_b64 s[24:25], s[12:13]
	s_cbranch_execz .LBB814_427
; %bb.424:
	s_movk_i32 s12, 0x7f
	v_and_b32_e32 v29, 0x7f, v19
	v_cmp_ne_u32_e64 s[12:13], s12, v29
	v_mov_b32_e32 v24, 0x7f80
	s_and_saveexec_b64 s[26:27], s[12:13]
	s_cbranch_execz .LBB814_426
; %bb.425:
	v_and_b32_e32 v24, 7, v19
	v_ffbh_u32_e32 v24, v24
	v_min_u32_e32 v24, 32, v24
	v_subrev_u32_e32 v31, 28, v24
	v_cmp_gt_u32_e64 s[12:13], 8, v29
	v_lshrrev_b32_e32 v30, 3, v29
	v_sub_u32_e32 v24, 29, v24
	v_cndmask_b32_e64 v29, 0, v31, s[12:13]
	v_cndmask_b32_e64 v24, v30, v24, s[12:13]
	v_lshlrev_b64 v[30:31], v29, v[22:23]
	v_lshlrev_b32_e32 v23, 20, v30
	v_lshlrev_b32_e32 v29, 24, v22
	v_bfrev_b32_e32 v30, 60
	v_and_b32_e32 v23, 0x700000, v23
	v_and_b32_e32 v29, 0x80000000, v29
	v_lshl_add_u32 v24, v24, 23, v30
	v_or3_b32 v23, v29, v24, v23
	v_lshrrev_b32_e32 v24, 16, v23
.LBB814_426:
	s_or_b64 exec, exec, s[26:27]
.LBB814_427:
	s_or_b64 exec, exec, s[24:25]
	v_mov_b32_e32 v23, v24
.LBB814_428:
	s_or_b64 exec, exec, s[14:15]
	v_lshrrev_b16_e32 v24, 8, v22
	v_cmp_ne_u16_e64 s[12:13], 0, v24
	v_mov_b32_e32 v30, 0
	v_mov_b32_e32 v29, 0
	s_and_saveexec_b64 s[14:15], s[12:13]
	s_cbranch_execz .LBB814_434
; %bb.429:
	s_movk_i32 s12, 0x80
	v_cmp_ne_u16_e64 s[12:13], s12, v24
	v_mov_b32_e32 v29, 0xffff8000
	s_and_saveexec_b64 s[24:25], s[12:13]
	s_cbranch_execz .LBB814_433
; %bb.430:
	s_movk_i32 s12, 0x7f
	v_and_b32_e32 v31, 0x7f, v24
	v_cmp_ne_u32_e64 s[12:13], s12, v31
	v_mov_b32_e32 v29, 0x7f80
	s_and_saveexec_b64 s[26:27], s[12:13]
	s_cbranch_execz .LBB814_432
; %bb.431:
	v_and_b32_e32 v29, 7, v24
	v_ffbh_u32_e32 v32, v29
	v_min_u32_e32 v35, 32, v32
	v_subrev_u32_e32 v32, 28, v35
	v_lshlrev_b64 v[32:33], v32, v[24:25]
	v_lshrrev_b32_e32 v34, 3, v31
	v_sub_u32_e32 v24, 29, v35
	v_and_b32_e32 v32, 7, v32
	v_cmp_gt_u32_e64 s[12:13], 8, v31
	v_cndmask_b32_e64 v24, v34, v24, s[12:13]
	v_cndmask_b32_e64 v29, v29, v32, s[12:13]
	v_lshlrev_b32_e32 v22, 16, v22
	v_bfrev_b32_e32 v31, 60
	v_lshlrev_b32_e32 v29, 20, v29
	v_and_b32_e32 v22, 0x80000000, v22
	v_lshl_add_u32 v24, v24, 23, v31
	v_or3_b32 v22, v22, v24, v29
	v_lshrrev_b32_e32 v29, 16, v22
.LBB814_432:
	s_or_b64 exec, exec, s[26:27]
.LBB814_433:
	s_or_b64 exec, exec, s[24:25]
.LBB814_434:
	s_or_b64 exec, exec, s[14:15]
	s_movk_i32 s12, 0xff
	v_and_b32_sdwa v24, v19, s12 dst_sel:DWORD dst_unused:UNUSED_PAD src0_sel:WORD_1 src1_sel:DWORD
	v_lshrrev_b32_e32 v22, 16, v19
	v_cmp_ne_u16_e64 s[12:13], 0, v24
	s_and_saveexec_b64 s[14:15], s[12:13]
	s_cbranch_execz .LBB814_440
; %bb.435:
	s_movk_i32 s12, 0x80
	v_cmp_ne_u16_e64 s[12:13], s12, v24
	v_mov_b32_e32 v30, 0xffff8000
	s_and_saveexec_b64 s[24:25], s[12:13]
	s_cbranch_execz .LBB814_439
; %bb.436:
	v_bfe_u32 v24, v19, 16, 7
	s_movk_i32 s12, 0x7f
	v_cmp_ne_u32_e64 s[12:13], s12, v24
	v_mov_b32_e32 v30, 0x7f80
	s_and_saveexec_b64 s[26:27], s[12:13]
	s_cbranch_execz .LBB814_438
; %bb.437:
	v_and_b32_e32 v32, 7, v22
	v_ffbh_u32_e32 v30, v32
	v_min_u32_e32 v34, 32, v30
	v_subrev_u32_e32 v30, 28, v34
	v_lshlrev_b64 v[30:31], v30, v[22:23]
	v_and_b32_e32 v30, 7, v30
	v_cmp_gt_u32_e64 s[12:13], 8, v24
	v_lshrrev_b32_e32 v33, 3, v24
	v_sub_u32_e32 v22, 29, v34
	v_cndmask_b32_e64 v24, v32, v30, s[12:13]
	v_mov_b32_e32 v30, 24
	v_cndmask_b32_e64 v22, v33, v22, s[12:13]
	v_lshlrev_b32_sdwa v30, v30, v19 dst_sel:DWORD dst_unused:UNUSED_PAD src0_sel:DWORD src1_sel:WORD_1
	v_bfrev_b32_e32 v31, 60
	v_lshlrev_b32_e32 v24, 20, v24
	v_and_b32_e32 v30, 0x80000000, v30
	v_lshl_add_u32 v22, v22, 23, v31
	v_or3_b32 v22, v30, v22, v24
	v_lshrrev_b32_e32 v30, 16, v22
.LBB814_438:
	s_or_b64 exec, exec, s[26:27]
.LBB814_439:
	s_or_b64 exec, exec, s[24:25]
.LBB814_440:
	s_or_b64 exec, exec, s[14:15]
	s_mov_b32 s12, -1
	s_mov_b32 s13, 0xffffff
	v_cmp_lt_u64_e64 s[12:13], s[12:13], v[18:19]
	v_mov_b32_e32 v24, 0
	v_mov_b32_e32 v22, 0
	s_and_saveexec_b64 s[14:15], s[12:13]
	s_cbranch_execz .LBB814_446
; %bb.441:
	v_lshrrev_b32_e32 v18, 24, v19
	s_movk_i32 s12, 0x80
	v_cmp_ne_u32_e64 s[12:13], s12, v18
	v_mov_b32_e32 v22, 0xffff8000
	s_and_saveexec_b64 s[24:25], s[12:13]
	s_cbranch_execz .LBB814_445
; %bb.442:
	v_bfe_u32 v19, v19, 24, 7
	s_movk_i32 s12, 0x7f
	v_cmp_ne_u32_e64 s[12:13], s12, v19
	v_mov_b32_e32 v22, 0x7f80
	s_and_saveexec_b64 s[26:27], s[12:13]
	s_cbranch_execz .LBB814_444
; %bb.443:
	v_and_b32_e32 v22, 7, v18
	v_ffbh_u32_e32 v32, v22
	v_min_u32_e32 v34, 32, v32
	v_subrev_u32_e32 v32, 28, v34
	v_lshlrev_b64 v[32:33], v32, v[18:19]
	v_lshrrev_b32_e32 v31, 3, v19
	v_sub_u32_e32 v33, 29, v34
	v_and_b32_e32 v32, 7, v32
	v_cmp_gt_u32_e64 s[12:13], 8, v19
	v_cndmask_b32_e64 v19, v31, v33, s[12:13]
	v_cndmask_b32_e64 v22, v22, v32, s[12:13]
	v_lshlrev_b32_e32 v18, 24, v18
	v_bfrev_b32_e32 v31, 60
	v_lshlrev_b32_e32 v22, 20, v22
	v_and_b32_e32 v18, 0x80000000, v18
	v_lshl_add_u32 v19, v19, 23, v31
	v_or3_b32 v18, v18, v19, v22
	v_lshrrev_b32_e32 v22, 16, v18
.LBB814_444:
	s_or_b64 exec, exec, s[26:27]
.LBB814_445:
	s_or_b64 exec, exec, s[24:25]
.LBB814_446:
	s_or_b64 exec, exec, s[14:15]
	s_mov_b32 s12, 0x5040100
	v_perm_b32 v19, v28, v27, s12
	v_perm_b32 v18, v25, v26, s12
	;; [unrolled: 1-line block ×4, first 2 shown]
	v_mfma_f32_4x4x4bf16_1k a[0:3], v[2:3], v[18:19], a[0:3] cbsz:4 abid:8
	v_cmp_ne_u16_sdwa s[12:13], v20, v24 src0_sel:BYTE_0 src1_sel:DWORD
	v_mfma_f32_4x4x4bf16_1k a[0:3], v[4:5], v[26:27], a[0:3] cbsz:4 abid:8
	s_and_saveexec_b64 s[14:15], s[12:13]
	s_cbranch_execz .LBB814_452
; %bb.447:
	s_movk_i32 s12, 0x80
	v_cmp_ne_u16_sdwa s[12:13], v20, s12 src0_sel:BYTE_0 src1_sel:DWORD
	v_mov_b32_e32 v24, 0xffff8000
	s_and_saveexec_b64 s[24:25], s[12:13]
	s_cbranch_execz .LBB814_451
; %bb.448:
	s_movk_i32 s12, 0x7f
	v_and_b32_e32 v18, 0x7f, v20
	v_cmp_ne_u32_e64 s[12:13], s12, v18
	v_mov_b32_e32 v24, 0x7f80
	s_and_saveexec_b64 s[26:27], s[12:13]
	s_cbranch_execz .LBB814_450
; %bb.449:
	v_and_b32_e32 v19, 7, v20
	v_ffbh_u32_e32 v19, v19
	v_min_u32_e32 v19, 32, v19
	v_subrev_u32_e32 v23, 28, v19
	v_cmp_gt_u32_e64 s[12:13], 8, v18
	v_lshrrev_b32_e32 v22, 3, v18
	v_sub_u32_e32 v19, 29, v19
	v_cndmask_b32_e64 v18, 0, v23, s[12:13]
	v_cndmask_b32_e64 v22, v22, v19, s[12:13]
	v_lshlrev_b64 v[18:19], v18, v[20:21]
	v_lshlrev_b32_e32 v18, 20, v18
	v_lshlrev_b32_e32 v19, 24, v20
	v_bfrev_b32_e32 v23, 60
	v_and_b32_e32 v18, 0x700000, v18
	v_and_b32_e32 v19, 0x80000000, v19
	v_lshl_add_u32 v22, v22, 23, v23
	v_or3_b32 v18, v19, v22, v18
	v_lshrrev_b32_e32 v24, 16, v18
.LBB814_450:
	s_or_b64 exec, exec, s[26:27]
.LBB814_451:
	s_or_b64 exec, exec, s[24:25]
.LBB814_452:
	s_or_b64 exec, exec, s[14:15]
	v_lshrrev_b16_e32 v18, 8, v20
	v_cmp_ne_u16_e64 s[12:13], 0, v18
	v_mov_b32_e32 v25, 0
	v_mov_b32_e32 v23, 0
	s_and_saveexec_b64 s[14:15], s[12:13]
	s_cbranch_execz .LBB814_458
; %bb.453:
	s_movk_i32 s12, 0x80
	v_cmp_ne_u16_e64 s[12:13], s12, v18
	v_mov_b32_e32 v23, 0xffff8000
	s_and_saveexec_b64 s[24:25], s[12:13]
	s_cbranch_execz .LBB814_457
; %bb.454:
	s_movk_i32 s12, 0x7f
	v_and_b32_e32 v19, 0x7f, v18
	v_cmp_ne_u32_e64 s[12:13], s12, v19
	v_mov_b32_e32 v23, 0x7f80
	s_and_saveexec_b64 s[26:27], s[12:13]
	s_cbranch_execz .LBB814_456
; %bb.455:
	v_and_b32_e32 v26, 7, v18
	v_ffbh_u32_e32 v22, v26
	v_min_u32_e32 v28, 32, v22
	v_subrev_u32_e32 v22, 28, v28
	v_lshlrev_b64 v[22:23], v22, v[18:19]
	v_lshrrev_b32_e32 v27, 3, v19
	v_sub_u32_e32 v18, 29, v28
	v_and_b32_e32 v22, 7, v22
	v_cmp_gt_u32_e64 s[12:13], 8, v19
	v_cndmask_b32_e64 v18, v27, v18, s[12:13]
	v_cndmask_b32_e64 v19, v26, v22, s[12:13]
	v_lshlrev_b32_e32 v22, 16, v20
	v_bfrev_b32_e32 v23, 60
	v_lshlrev_b32_e32 v19, 20, v19
	v_and_b32_e32 v22, 0x80000000, v22
	v_lshl_add_u32 v18, v18, 23, v23
	v_or3_b32 v18, v22, v18, v19
	v_lshrrev_b32_e32 v23, 16, v18
.LBB814_456:
	s_or_b64 exec, exec, s[26:27]
.LBB814_457:
	s_or_b64 exec, exec, s[24:25]
.LBB814_458:
	s_or_b64 exec, exec, s[14:15]
	s_movk_i32 s12, 0xff
	v_and_b32_sdwa v19, v20, s12 dst_sel:DWORD dst_unused:UNUSED_PAD src0_sel:WORD_1 src1_sel:DWORD
	v_lshrrev_b32_e32 v18, 16, v20
	v_cmp_ne_u16_e64 s[12:13], 0, v19
	s_and_saveexec_b64 s[14:15], s[12:13]
	s_cbranch_execz .LBB814_464
; %bb.459:
	s_movk_i32 s12, 0x80
	v_cmp_ne_u16_e64 s[12:13], s12, v19
	v_mov_b32_e32 v25, 0xffff8000
	s_and_saveexec_b64 s[24:25], s[12:13]
	s_cbranch_execz .LBB814_463
; %bb.460:
	v_bfe_u32 v19, v20, 16, 7
	s_movk_i32 s12, 0x7f
	v_cmp_ne_u32_e64 s[12:13], s12, v19
	v_mov_b32_e32 v25, 0x7f80
	s_and_saveexec_b64 s[26:27], s[12:13]
	s_cbranch_execz .LBB814_462
; %bb.461:
	v_and_b32_e32 v22, 7, v18
	v_ffbh_u32_e32 v26, v22
	v_min_u32_e32 v28, 32, v26
	v_subrev_u32_e32 v26, 28, v28
	v_lshlrev_b64 v[26:27], v26, v[18:19]
	v_and_b32_e32 v26, 7, v26
	v_cmp_gt_u32_e64 s[12:13], 8, v19
	v_lshrrev_b32_e32 v25, 3, v19
	v_sub_u32_e32 v18, 29, v28
	v_cndmask_b32_e64 v19, v22, v26, s[12:13]
	v_mov_b32_e32 v22, 24
	v_cndmask_b32_e64 v18, v25, v18, s[12:13]
	v_lshlrev_b32_sdwa v22, v22, v20 dst_sel:DWORD dst_unused:UNUSED_PAD src0_sel:DWORD src1_sel:WORD_1
	v_bfrev_b32_e32 v25, 60
	v_lshlrev_b32_e32 v19, 20, v19
	v_and_b32_e32 v22, 0x80000000, v22
	v_lshl_add_u32 v18, v18, 23, v25
	v_or3_b32 v18, v22, v18, v19
	v_lshrrev_b32_e32 v25, 16, v18
.LBB814_462:
	s_or_b64 exec, exec, s[26:27]
.LBB814_463:
	s_or_b64 exec, exec, s[24:25]
.LBB814_464:
	s_or_b64 exec, exec, s[14:15]
	s_mov_b32 s12, 0xffffff
	v_cmp_lt_u32_e64 s[12:13], s12, v20
	v_mov_b32_e32 v19, 0
	v_mov_b32_e32 v26, 0
	s_and_saveexec_b64 s[14:15], s[12:13]
	s_cbranch_execz .LBB814_470
; %bb.465:
	v_lshrrev_b32_e32 v18, 24, v20
	s_movk_i32 s12, 0x80
	v_cmp_ne_u32_e64 s[12:13], s12, v18
	v_mov_b32_e32 v26, 0xffff8000
	s_and_saveexec_b64 s[24:25], s[12:13]
	s_cbranch_execz .LBB814_469
; %bb.466:
	v_bfe_u32 v22, v20, 24, 7
	s_movk_i32 s12, 0x7f
	v_cmp_ne_u32_e64 s[12:13], s12, v22
	v_mov_b32_e32 v26, 0x7f80
	s_and_saveexec_b64 s[26:27], s[12:13]
	s_cbranch_execz .LBB814_468
; %bb.467:
	v_and_b32_e32 v28, 7, v18
	v_ffbh_u32_e32 v26, v28
	v_min_u32_e32 v30, 32, v26
	v_subrev_u32_e32 v26, 28, v30
	v_lshlrev_b64 v[26:27], v26, v[18:19]
	v_lshrrev_b32_e32 v29, 3, v22
	v_sub_u32_e32 v27, 29, v30
	v_and_b32_e32 v26, 7, v26
	v_cmp_gt_u32_e64 s[12:13], 8, v22
	v_cndmask_b32_e64 v22, v29, v27, s[12:13]
	v_cndmask_b32_e64 v26, v28, v26, s[12:13]
	v_lshlrev_b32_e32 v18, 24, v18
	v_bfrev_b32_e32 v27, 60
	v_lshlrev_b32_e32 v26, 20, v26
	v_and_b32_e32 v18, 0x80000000, v18
	v_lshl_add_u32 v22, v22, 23, v27
	v_or3_b32 v18, v18, v22, v26
	v_lshrrev_b32_e32 v26, 16, v18
.LBB814_468:
	s_or_b64 exec, exec, s[26:27]
.LBB814_469:
	s_or_b64 exec, exec, s[24:25]
.LBB814_470:
	s_or_b64 exec, exec, s[14:15]
	v_mov_b32_e32 v18, v21
	v_cmp_ne_u16_sdwa s[12:13], v21, v19 src0_sel:BYTE_0 src1_sel:DWORD
	s_and_saveexec_b64 s[14:15], s[12:13]
	s_cbranch_execz .LBB814_476
; %bb.471:
	s_movk_i32 s12, 0x80
	v_cmp_ne_u16_sdwa s[12:13], v21, s12 src0_sel:BYTE_0 src1_sel:DWORD
	v_mov_b32_e32 v22, 0xffff8000
	s_and_saveexec_b64 s[24:25], s[12:13]
	s_cbranch_execz .LBB814_475
; %bb.472:
	s_movk_i32 s12, 0x7f
	v_and_b32_e32 v27, 0x7f, v21
	v_cmp_ne_u32_e64 s[12:13], s12, v27
	v_mov_b32_e32 v22, 0x7f80
	s_and_saveexec_b64 s[26:27], s[12:13]
	s_cbranch_execz .LBB814_474
; %bb.473:
	v_and_b32_e32 v22, 7, v21
	v_ffbh_u32_e32 v22, v22
	v_min_u32_e32 v22, 32, v22
	v_subrev_u32_e32 v29, 28, v22
	v_cmp_gt_u32_e64 s[12:13], 8, v27
	v_lshrrev_b32_e32 v28, 3, v27
	v_sub_u32_e32 v22, 29, v22
	v_cndmask_b32_e64 v27, 0, v29, s[12:13]
	v_cndmask_b32_e64 v22, v28, v22, s[12:13]
	v_lshlrev_b64 v[28:29], v27, v[18:19]
	v_lshlrev_b32_e32 v19, 20, v28
	v_lshlrev_b32_e32 v27, 24, v18
	v_bfrev_b32_e32 v28, 60
	v_and_b32_e32 v19, 0x700000, v19
	v_and_b32_e32 v27, 0x80000000, v27
	v_lshl_add_u32 v22, v22, 23, v28
	v_or3_b32 v19, v27, v22, v19
	v_lshrrev_b32_e32 v22, 16, v19
.LBB814_474:
	s_or_b64 exec, exec, s[26:27]
.LBB814_475:
	s_or_b64 exec, exec, s[24:25]
	v_mov_b32_e32 v19, v22
.LBB814_476:
	s_or_b64 exec, exec, s[14:15]
	v_lshrrev_b16_e32 v22, 8, v18
	v_cmp_ne_u16_e64 s[12:13], 0, v22
	v_mov_b32_e32 v28, 0
	v_mov_b32_e32 v27, 0
	s_and_saveexec_b64 s[14:15], s[12:13]
	s_cbranch_execz .LBB814_482
; %bb.477:
	s_movk_i32 s12, 0x80
	v_cmp_ne_u16_e64 s[12:13], s12, v22
	v_mov_b32_e32 v27, 0xffff8000
	s_and_saveexec_b64 s[24:25], s[12:13]
	s_cbranch_execz .LBB814_481
; %bb.478:
	s_movk_i32 s12, 0x7f
	v_and_b32_e32 v29, 0x7f, v22
	v_cmp_ne_u32_e64 s[12:13], s12, v29
	v_mov_b32_e32 v27, 0x7f80
	s_and_saveexec_b64 s[26:27], s[12:13]
	s_cbranch_execz .LBB814_480
; %bb.479:
	v_and_b32_e32 v27, 7, v22
	v_ffbh_u32_e32 v30, v27
	v_min_u32_e32 v33, 32, v30
	v_subrev_u32_e32 v30, 28, v33
	v_lshlrev_b64 v[30:31], v30, v[22:23]
	v_lshrrev_b32_e32 v32, 3, v29
	v_sub_u32_e32 v22, 29, v33
	v_and_b32_e32 v30, 7, v30
	v_cmp_gt_u32_e64 s[12:13], 8, v29
	v_cndmask_b32_e64 v22, v32, v22, s[12:13]
	v_cndmask_b32_e64 v27, v27, v30, s[12:13]
	v_lshlrev_b32_e32 v18, 16, v18
	v_bfrev_b32_e32 v29, 60
	v_lshlrev_b32_e32 v27, 20, v27
	v_and_b32_e32 v18, 0x80000000, v18
	v_lshl_add_u32 v22, v22, 23, v29
	v_or3_b32 v18, v18, v22, v27
	v_lshrrev_b32_e32 v27, 16, v18
.LBB814_480:
	s_or_b64 exec, exec, s[26:27]
.LBB814_481:
	s_or_b64 exec, exec, s[24:25]
.LBB814_482:
	s_or_b64 exec, exec, s[14:15]
	s_movk_i32 s12, 0xff
	v_and_b32_sdwa v22, v21, s12 dst_sel:DWORD dst_unused:UNUSED_PAD src0_sel:WORD_1 src1_sel:DWORD
	v_lshrrev_b32_e32 v18, 16, v21
	v_cmp_ne_u16_e64 s[12:13], 0, v22
	s_and_saveexec_b64 s[14:15], s[12:13]
	s_cbranch_execz .LBB814_488
; %bb.483:
	s_movk_i32 s12, 0x80
	v_cmp_ne_u16_e64 s[12:13], s12, v22
	v_mov_b32_e32 v28, 0xffff8000
	s_and_saveexec_b64 s[24:25], s[12:13]
	s_cbranch_execz .LBB814_487
; %bb.484:
	v_bfe_u32 v22, v21, 16, 7
	s_movk_i32 s12, 0x7f
	v_cmp_ne_u32_e64 s[12:13], s12, v22
	v_mov_b32_e32 v28, 0x7f80
	s_and_saveexec_b64 s[26:27], s[12:13]
	s_cbranch_execz .LBB814_486
; %bb.485:
	v_and_b32_e32 v30, 7, v18
	v_ffbh_u32_e32 v28, v30
	v_min_u32_e32 v32, 32, v28
	v_subrev_u32_e32 v28, 28, v32
	v_lshlrev_b64 v[28:29], v28, v[18:19]
	v_and_b32_e32 v28, 7, v28
	v_cmp_gt_u32_e64 s[12:13], 8, v22
	v_lshrrev_b32_e32 v31, 3, v22
	v_sub_u32_e32 v18, 29, v32
	v_cndmask_b32_e64 v22, v30, v28, s[12:13]
	v_mov_b32_e32 v28, 24
	v_cndmask_b32_e64 v18, v31, v18, s[12:13]
	v_lshlrev_b32_sdwa v28, v28, v21 dst_sel:DWORD dst_unused:UNUSED_PAD src0_sel:DWORD src1_sel:WORD_1
	v_bfrev_b32_e32 v29, 60
	v_lshlrev_b32_e32 v22, 20, v22
	v_and_b32_e32 v28, 0x80000000, v28
	v_lshl_add_u32 v18, v18, 23, v29
	v_or3_b32 v18, v28, v18, v22
	v_lshrrev_b32_e32 v28, 16, v18
.LBB814_486:
	s_or_b64 exec, exec, s[26:27]
.LBB814_487:
	s_or_b64 exec, exec, s[24:25]
.LBB814_488:
	s_or_b64 exec, exec, s[14:15]
	s_mov_b32 s12, -1
	s_mov_b32 s13, 0xffffff
	v_cmp_lt_u64_e64 s[12:13], s[12:13], v[20:21]
	v_mov_b32_e32 v22, 0
	v_mov_b32_e32 v20, 0
	s_and_saveexec_b64 s[14:15], s[12:13]
	s_cbranch_execz .LBB814_494
; %bb.489:
	v_lshrrev_b32_e32 v18, 24, v21
	s_movk_i32 s12, 0x80
	v_cmp_ne_u32_e64 s[12:13], s12, v18
	v_mov_b32_e32 v20, 0xffff8000
	s_and_saveexec_b64 s[24:25], s[12:13]
	s_cbranch_execz .LBB814_493
; %bb.490:
	v_bfe_u32 v21, v21, 24, 7
	s_movk_i32 s12, 0x7f
	v_cmp_ne_u32_e64 s[12:13], s12, v21
	v_mov_b32_e32 v20, 0x7f80
	s_and_saveexec_b64 s[26:27], s[12:13]
	s_cbranch_execz .LBB814_492
; %bb.491:
	v_and_b32_e32 v20, 7, v18
	v_ffbh_u32_e32 v30, v20
	v_min_u32_e32 v32, 32, v30
	v_subrev_u32_e32 v30, 28, v32
	v_lshlrev_b64 v[30:31], v30, v[18:19]
	v_lshrrev_b32_e32 v29, 3, v21
	v_sub_u32_e32 v31, 29, v32
	v_and_b32_e32 v30, 7, v30
	v_cmp_gt_u32_e64 s[12:13], 8, v21
	v_cndmask_b32_e64 v21, v29, v31, s[12:13]
	v_cndmask_b32_e64 v20, v20, v30, s[12:13]
	v_lshlrev_b32_e32 v18, 24, v18
	v_bfrev_b32_e32 v29, 60
	v_lshlrev_b32_e32 v20, 20, v20
	v_and_b32_e32 v18, 0x80000000, v18
	v_lshl_add_u32 v21, v21, 23, v29
	v_or3_b32 v18, v18, v21, v20
	v_lshrrev_b32_e32 v20, 16, v18
.LBB814_492:
	s_or_b64 exec, exec, s[26:27]
.LBB814_493:
	s_or_b64 exec, exec, s[24:25]
.LBB814_494:
	s_or_b64 exec, exec, s[14:15]
	s_mov_b32 s12, 0x5040100
	v_perm_b32 v25, v26, v25, s12
	v_perm_b32 v24, v23, v24, s12
	;; [unrolled: 1-line block ×4, first 2 shown]
	v_mfma_f32_4x4x4bf16_1k a[0:3], v[2:3], v[24:25], a[0:3] cbsz:4 abid:9
	s_waitcnt vmcnt(30)
	v_cmp_ne_u16_sdwa s[12:13], v14, v22 src0_sel:BYTE_0 src1_sel:DWORD
	v_mfma_f32_4x4x4bf16_1k a[0:3], v[4:5], v[20:21], a[0:3] cbsz:4 abid:9
	s_and_saveexec_b64 s[14:15], s[12:13]
	s_cbranch_execz .LBB814_500
; %bb.495:
	s_movk_i32 s12, 0x80
	v_cmp_ne_u16_sdwa s[12:13], v14, s12 src0_sel:BYTE_0 src1_sel:DWORD
	v_mov_b32_e32 v22, 0xffff8000
	s_and_saveexec_b64 s[24:25], s[12:13]
	s_cbranch_execz .LBB814_499
; %bb.496:
	s_movk_i32 s12, 0x7f
	v_and_b32_e32 v18, 0x7f, v14
	v_cmp_ne_u32_e64 s[12:13], s12, v18
	v_mov_b32_e32 v22, 0x7f80
	s_and_saveexec_b64 s[26:27], s[12:13]
	s_cbranch_execz .LBB814_498
; %bb.497:
	v_and_b32_e32 v19, 7, v14
	v_ffbh_u32_e32 v19, v19
	v_min_u32_e32 v19, 32, v19
	v_subrev_u32_e32 v21, 28, v19
	v_cmp_gt_u32_e64 s[12:13], 8, v18
	v_lshrrev_b32_e32 v20, 3, v18
	v_sub_u32_e32 v19, 29, v19
	v_cndmask_b32_e64 v18, 0, v21, s[12:13]
	v_cndmask_b32_e64 v20, v20, v19, s[12:13]
	v_lshlrev_b64 v[18:19], v18, v[14:15]
	v_lshlrev_b32_e32 v18, 20, v18
	v_lshlrev_b32_e32 v19, 24, v14
	v_bfrev_b32_e32 v21, 60
	v_and_b32_e32 v18, 0x700000, v18
	v_and_b32_e32 v19, 0x80000000, v19
	v_lshl_add_u32 v20, v20, 23, v21
	v_or3_b32 v18, v19, v20, v18
	v_lshrrev_b32_e32 v22, 16, v18
.LBB814_498:
	s_or_b64 exec, exec, s[26:27]
.LBB814_499:
	s_or_b64 exec, exec, s[24:25]
.LBB814_500:
	s_or_b64 exec, exec, s[14:15]
	v_lshrrev_b16_e32 v18, 8, v14
	v_cmp_ne_u16_e64 s[12:13], 0, v18
	v_mov_b32_e32 v23, 0
	v_mov_b32_e32 v21, 0
	s_and_saveexec_b64 s[14:15], s[12:13]
	s_cbranch_execz .LBB814_506
; %bb.501:
	s_movk_i32 s12, 0x80
	v_cmp_ne_u16_e64 s[12:13], s12, v18
	v_mov_b32_e32 v21, 0xffff8000
	s_and_saveexec_b64 s[24:25], s[12:13]
	s_cbranch_execz .LBB814_505
; %bb.502:
	s_movk_i32 s12, 0x7f
	v_and_b32_e32 v19, 0x7f, v18
	v_cmp_ne_u32_e64 s[12:13], s12, v19
	v_mov_b32_e32 v21, 0x7f80
	s_and_saveexec_b64 s[26:27], s[12:13]
	s_cbranch_execz .LBB814_504
; %bb.503:
	v_and_b32_e32 v24, 7, v18
	v_ffbh_u32_e32 v20, v24
	v_min_u32_e32 v26, 32, v20
	v_subrev_u32_e32 v20, 28, v26
	v_lshlrev_b64 v[20:21], v20, v[18:19]
	v_lshrrev_b32_e32 v25, 3, v19
	v_sub_u32_e32 v18, 29, v26
	v_and_b32_e32 v20, 7, v20
	v_cmp_gt_u32_e64 s[12:13], 8, v19
	v_cndmask_b32_e64 v18, v25, v18, s[12:13]
	v_cndmask_b32_e64 v19, v24, v20, s[12:13]
	v_lshlrev_b32_e32 v20, 16, v14
	v_bfrev_b32_e32 v21, 60
	v_lshlrev_b32_e32 v19, 20, v19
	v_and_b32_e32 v20, 0x80000000, v20
	v_lshl_add_u32 v18, v18, 23, v21
	v_or3_b32 v18, v20, v18, v19
	v_lshrrev_b32_e32 v21, 16, v18
.LBB814_504:
	s_or_b64 exec, exec, s[26:27]
.LBB814_505:
	s_or_b64 exec, exec, s[24:25]
.LBB814_506:
	s_or_b64 exec, exec, s[14:15]
	s_movk_i32 s12, 0xff
	v_and_b32_sdwa v19, v14, s12 dst_sel:DWORD dst_unused:UNUSED_PAD src0_sel:WORD_1 src1_sel:DWORD
	v_lshrrev_b32_e32 v18, 16, v14
	v_cmp_ne_u16_e64 s[12:13], 0, v19
	s_and_saveexec_b64 s[14:15], s[12:13]
	s_cbranch_execz .LBB814_512
; %bb.507:
	s_movk_i32 s12, 0x80
	v_cmp_ne_u16_e64 s[12:13], s12, v19
	v_mov_b32_e32 v23, 0xffff8000
	s_and_saveexec_b64 s[24:25], s[12:13]
	s_cbranch_execz .LBB814_511
; %bb.508:
	v_bfe_u32 v19, v14, 16, 7
	s_movk_i32 s12, 0x7f
	v_cmp_ne_u32_e64 s[12:13], s12, v19
	v_mov_b32_e32 v23, 0x7f80
	s_and_saveexec_b64 s[26:27], s[12:13]
	s_cbranch_execz .LBB814_510
; %bb.509:
	v_and_b32_e32 v20, 7, v18
	v_ffbh_u32_e32 v24, v20
	v_min_u32_e32 v26, 32, v24
	v_subrev_u32_e32 v24, 28, v26
	v_lshlrev_b64 v[24:25], v24, v[18:19]
	v_and_b32_e32 v24, 7, v24
	v_cmp_gt_u32_e64 s[12:13], 8, v19
	v_lshrrev_b32_e32 v23, 3, v19
	v_sub_u32_e32 v18, 29, v26
	v_cndmask_b32_e64 v19, v20, v24, s[12:13]
	v_mov_b32_e32 v20, 24
	v_cndmask_b32_e64 v18, v23, v18, s[12:13]
	v_lshlrev_b32_sdwa v20, v20, v14 dst_sel:DWORD dst_unused:UNUSED_PAD src0_sel:DWORD src1_sel:WORD_1
	v_bfrev_b32_e32 v23, 60
	v_lshlrev_b32_e32 v19, 20, v19
	v_and_b32_e32 v20, 0x80000000, v20
	v_lshl_add_u32 v18, v18, 23, v23
	v_or3_b32 v18, v20, v18, v19
	v_lshrrev_b32_e32 v23, 16, v18
.LBB814_510:
	s_or_b64 exec, exec, s[26:27]
.LBB814_511:
	s_or_b64 exec, exec, s[24:25]
.LBB814_512:
	s_or_b64 exec, exec, s[14:15]
	s_mov_b32 s12, 0xffffff
	v_cmp_lt_u32_e64 s[12:13], s12, v14
	v_mov_b32_e32 v19, 0
	v_mov_b32_e32 v24, 0
	s_and_saveexec_b64 s[14:15], s[12:13]
	s_cbranch_execz .LBB814_518
; %bb.513:
	v_lshrrev_b32_e32 v18, 24, v14
	s_movk_i32 s12, 0x80
	v_cmp_ne_u32_e64 s[12:13], s12, v18
	v_mov_b32_e32 v24, 0xffff8000
	s_and_saveexec_b64 s[24:25], s[12:13]
	s_cbranch_execz .LBB814_517
; %bb.514:
	v_bfe_u32 v20, v14, 24, 7
	s_movk_i32 s12, 0x7f
	v_cmp_ne_u32_e64 s[12:13], s12, v20
	v_mov_b32_e32 v24, 0x7f80
	s_and_saveexec_b64 s[26:27], s[12:13]
	s_cbranch_execz .LBB814_516
; %bb.515:
	v_and_b32_e32 v26, 7, v18
	v_ffbh_u32_e32 v24, v26
	v_min_u32_e32 v28, 32, v24
	v_subrev_u32_e32 v24, 28, v28
	v_lshlrev_b64 v[24:25], v24, v[18:19]
	v_lshrrev_b32_e32 v27, 3, v20
	v_sub_u32_e32 v25, 29, v28
	v_and_b32_e32 v24, 7, v24
	v_cmp_gt_u32_e64 s[12:13], 8, v20
	v_cndmask_b32_e64 v20, v27, v25, s[12:13]
	v_cndmask_b32_e64 v24, v26, v24, s[12:13]
	v_lshlrev_b32_e32 v18, 24, v18
	v_bfrev_b32_e32 v25, 60
	v_lshlrev_b32_e32 v24, 20, v24
	v_and_b32_e32 v18, 0x80000000, v18
	v_lshl_add_u32 v20, v20, 23, v25
	v_or3_b32 v18, v18, v20, v24
	v_lshrrev_b32_e32 v24, 16, v18
.LBB814_516:
	s_or_b64 exec, exec, s[26:27]
.LBB814_517:
	s_or_b64 exec, exec, s[24:25]
.LBB814_518:
	s_or_b64 exec, exec, s[14:15]
	v_mov_b32_e32 v18, v15
	v_cmp_ne_u16_sdwa s[12:13], v15, v19 src0_sel:BYTE_0 src1_sel:DWORD
	s_and_saveexec_b64 s[14:15], s[12:13]
	s_cbranch_execz .LBB814_524
; %bb.519:
	s_movk_i32 s12, 0x80
	v_cmp_ne_u16_sdwa s[12:13], v15, s12 src0_sel:BYTE_0 src1_sel:DWORD
	v_mov_b32_e32 v20, 0xffff8000
	s_and_saveexec_b64 s[24:25], s[12:13]
	s_cbranch_execz .LBB814_523
; %bb.520:
	s_movk_i32 s12, 0x7f
	v_and_b32_e32 v25, 0x7f, v15
	v_cmp_ne_u32_e64 s[12:13], s12, v25
	v_mov_b32_e32 v20, 0x7f80
	s_and_saveexec_b64 s[26:27], s[12:13]
	s_cbranch_execz .LBB814_522
; %bb.521:
	v_and_b32_e32 v20, 7, v15
	v_ffbh_u32_e32 v20, v20
	v_min_u32_e32 v20, 32, v20
	v_subrev_u32_e32 v27, 28, v20
	v_cmp_gt_u32_e64 s[12:13], 8, v25
	v_lshrrev_b32_e32 v26, 3, v25
	v_sub_u32_e32 v20, 29, v20
	v_cndmask_b32_e64 v25, 0, v27, s[12:13]
	v_cndmask_b32_e64 v20, v26, v20, s[12:13]
	v_lshlrev_b64 v[26:27], v25, v[18:19]
	v_lshlrev_b32_e32 v19, 20, v26
	v_lshlrev_b32_e32 v25, 24, v18
	v_bfrev_b32_e32 v26, 60
	v_and_b32_e32 v19, 0x700000, v19
	v_and_b32_e32 v25, 0x80000000, v25
	v_lshl_add_u32 v20, v20, 23, v26
	v_or3_b32 v19, v25, v20, v19
	v_lshrrev_b32_e32 v20, 16, v19
.LBB814_522:
	s_or_b64 exec, exec, s[26:27]
.LBB814_523:
	s_or_b64 exec, exec, s[24:25]
	v_mov_b32_e32 v19, v20
.LBB814_524:
	s_or_b64 exec, exec, s[14:15]
	v_lshrrev_b16_e32 v20, 8, v18
	v_cmp_ne_u16_e64 s[12:13], 0, v20
	v_mov_b32_e32 v26, 0
	v_mov_b32_e32 v25, 0
	s_and_saveexec_b64 s[14:15], s[12:13]
	s_cbranch_execz .LBB814_530
; %bb.525:
	s_movk_i32 s12, 0x80
	v_cmp_ne_u16_e64 s[12:13], s12, v20
	v_mov_b32_e32 v25, 0xffff8000
	s_and_saveexec_b64 s[24:25], s[12:13]
	s_cbranch_execz .LBB814_529
; %bb.526:
	s_movk_i32 s12, 0x7f
	v_and_b32_e32 v27, 0x7f, v20
	v_cmp_ne_u32_e64 s[12:13], s12, v27
	v_mov_b32_e32 v25, 0x7f80
	s_and_saveexec_b64 s[26:27], s[12:13]
	s_cbranch_execz .LBB814_528
; %bb.527:
	v_and_b32_e32 v25, 7, v20
	v_ffbh_u32_e32 v28, v25
	v_min_u32_e32 v31, 32, v28
	v_subrev_u32_e32 v28, 28, v31
	v_lshlrev_b64 v[28:29], v28, v[20:21]
	v_lshrrev_b32_e32 v30, 3, v27
	v_sub_u32_e32 v20, 29, v31
	v_and_b32_e32 v28, 7, v28
	v_cmp_gt_u32_e64 s[12:13], 8, v27
	v_cndmask_b32_e64 v20, v30, v20, s[12:13]
	v_cndmask_b32_e64 v25, v25, v28, s[12:13]
	v_lshlrev_b32_e32 v18, 16, v18
	v_bfrev_b32_e32 v27, 60
	v_lshlrev_b32_e32 v25, 20, v25
	v_and_b32_e32 v18, 0x80000000, v18
	v_lshl_add_u32 v20, v20, 23, v27
	v_or3_b32 v18, v18, v20, v25
	v_lshrrev_b32_e32 v25, 16, v18
.LBB814_528:
	s_or_b64 exec, exec, s[26:27]
.LBB814_529:
	s_or_b64 exec, exec, s[24:25]
.LBB814_530:
	s_or_b64 exec, exec, s[14:15]
	s_movk_i32 s12, 0xff
	v_and_b32_sdwa v20, v15, s12 dst_sel:DWORD dst_unused:UNUSED_PAD src0_sel:WORD_1 src1_sel:DWORD
	v_lshrrev_b32_e32 v18, 16, v15
	v_cmp_ne_u16_e64 s[12:13], 0, v20
	s_and_saveexec_b64 s[14:15], s[12:13]
	s_cbranch_execz .LBB814_536
; %bb.531:
	s_movk_i32 s12, 0x80
	v_cmp_ne_u16_e64 s[12:13], s12, v20
	v_mov_b32_e32 v26, 0xffff8000
	s_and_saveexec_b64 s[24:25], s[12:13]
	s_cbranch_execz .LBB814_535
; %bb.532:
	v_bfe_u32 v20, v15, 16, 7
	s_movk_i32 s12, 0x7f
	v_cmp_ne_u32_e64 s[12:13], s12, v20
	v_mov_b32_e32 v26, 0x7f80
	s_and_saveexec_b64 s[26:27], s[12:13]
	s_cbranch_execz .LBB814_534
; %bb.533:
	v_and_b32_e32 v28, 7, v18
	v_ffbh_u32_e32 v26, v28
	v_min_u32_e32 v30, 32, v26
	v_subrev_u32_e32 v26, 28, v30
	v_lshlrev_b64 v[26:27], v26, v[18:19]
	v_and_b32_e32 v26, 7, v26
	v_cmp_gt_u32_e64 s[12:13], 8, v20
	v_lshrrev_b32_e32 v29, 3, v20
	v_sub_u32_e32 v18, 29, v30
	v_cndmask_b32_e64 v20, v28, v26, s[12:13]
	v_mov_b32_e32 v26, 24
	v_cndmask_b32_e64 v18, v29, v18, s[12:13]
	v_lshlrev_b32_sdwa v26, v26, v15 dst_sel:DWORD dst_unused:UNUSED_PAD src0_sel:DWORD src1_sel:WORD_1
	v_bfrev_b32_e32 v27, 60
	v_lshlrev_b32_e32 v20, 20, v20
	v_and_b32_e32 v26, 0x80000000, v26
	v_lshl_add_u32 v18, v18, 23, v27
	v_or3_b32 v18, v26, v18, v20
	v_lshrrev_b32_e32 v26, 16, v18
.LBB814_534:
	s_or_b64 exec, exec, s[26:27]
.LBB814_535:
	s_or_b64 exec, exec, s[24:25]
.LBB814_536:
	s_or_b64 exec, exec, s[14:15]
	s_mov_b32 s12, -1
	s_mov_b32 s13, 0xffffff
	v_cmp_lt_u64_e64 s[12:13], s[12:13], v[14:15]
	v_mov_b32_e32 v20, 0
	v_mov_b32_e32 v18, 0
	s_and_saveexec_b64 s[14:15], s[12:13]
	s_cbranch_execz .LBB814_542
; %bb.537:
	v_lshrrev_b32_e32 v14, 24, v15
	s_movk_i32 s12, 0x80
	v_cmp_ne_u32_e64 s[12:13], s12, v14
	v_mov_b32_e32 v18, 0xffff8000
	s_and_saveexec_b64 s[24:25], s[12:13]
	s_cbranch_execz .LBB814_541
; %bb.538:
	v_bfe_u32 v15, v15, 24, 7
	s_movk_i32 s12, 0x7f
	v_cmp_ne_u32_e64 s[12:13], s12, v15
	v_mov_b32_e32 v18, 0x7f80
	s_and_saveexec_b64 s[26:27], s[12:13]
	s_cbranch_execz .LBB814_540
; %bb.539:
	v_and_b32_e32 v18, 7, v14
	v_ffbh_u32_e32 v28, v18
	v_min_u32_e32 v30, 32, v28
	v_subrev_u32_e32 v28, 28, v30
	v_lshlrev_b64 v[28:29], v28, v[14:15]
	v_lshrrev_b32_e32 v27, 3, v15
	v_sub_u32_e32 v29, 29, v30
	v_and_b32_e32 v28, 7, v28
	v_cmp_gt_u32_e64 s[12:13], 8, v15
	v_cndmask_b32_e64 v15, v27, v29, s[12:13]
	v_cndmask_b32_e64 v18, v18, v28, s[12:13]
	v_lshlrev_b32_e32 v14, 24, v14
	v_bfrev_b32_e32 v27, 60
	v_lshlrev_b32_e32 v18, 20, v18
	v_and_b32_e32 v14, 0x80000000, v14
	v_lshl_add_u32 v15, v15, 23, v27
	v_or3_b32 v14, v14, v15, v18
	v_lshrrev_b32_e32 v18, 16, v14
.LBB814_540:
	s_or_b64 exec, exec, s[26:27]
.LBB814_541:
	s_or_b64 exec, exec, s[24:25]
.LBB814_542:
	s_or_b64 exec, exec, s[14:15]
	s_mov_b32 s12, 0x5040100
	v_perm_b32 v15, v24, v23, s12
	v_perm_b32 v14, v21, v22, s12
	;; [unrolled: 1-line block ×4, first 2 shown]
	v_mfma_f32_4x4x4bf16_1k a[0:3], v[2:3], v[14:15], a[0:3] cbsz:4 abid:10
	v_cmp_ne_u16_sdwa s[12:13], v16, v20 src0_sel:BYTE_0 src1_sel:DWORD
	v_mfma_f32_4x4x4bf16_1k a[0:3], v[4:5], v[22:23], a[0:3] cbsz:4 abid:10
	s_and_saveexec_b64 s[14:15], s[12:13]
	s_cbranch_execz .LBB814_548
; %bb.543:
	s_movk_i32 s12, 0x80
	v_cmp_ne_u16_sdwa s[12:13], v16, s12 src0_sel:BYTE_0 src1_sel:DWORD
	v_mov_b32_e32 v20, 0xffff8000
	s_and_saveexec_b64 s[24:25], s[12:13]
	s_cbranch_execz .LBB814_547
; %bb.544:
	s_movk_i32 s12, 0x7f
	v_and_b32_e32 v14, 0x7f, v16
	v_cmp_ne_u32_e64 s[12:13], s12, v14
	v_mov_b32_e32 v20, 0x7f80
	s_and_saveexec_b64 s[26:27], s[12:13]
	s_cbranch_execz .LBB814_546
; %bb.545:
	v_and_b32_e32 v15, 7, v16
	v_ffbh_u32_e32 v15, v15
	v_min_u32_e32 v15, 32, v15
	v_subrev_u32_e32 v19, 28, v15
	v_cmp_gt_u32_e64 s[12:13], 8, v14
	v_lshrrev_b32_e32 v18, 3, v14
	v_sub_u32_e32 v15, 29, v15
	v_cndmask_b32_e64 v14, 0, v19, s[12:13]
	v_cndmask_b32_e64 v18, v18, v15, s[12:13]
	v_lshlrev_b64 v[14:15], v14, v[16:17]
	v_lshlrev_b32_e32 v14, 20, v14
	v_lshlrev_b32_e32 v15, 24, v16
	v_bfrev_b32_e32 v19, 60
	v_and_b32_e32 v14, 0x700000, v14
	v_and_b32_e32 v15, 0x80000000, v15
	v_lshl_add_u32 v18, v18, 23, v19
	v_or3_b32 v14, v15, v18, v14
	v_lshrrev_b32_e32 v20, 16, v14
.LBB814_546:
	s_or_b64 exec, exec, s[26:27]
.LBB814_547:
	s_or_b64 exec, exec, s[24:25]
.LBB814_548:
	s_or_b64 exec, exec, s[14:15]
	v_lshrrev_b16_e32 v14, 8, v16
	v_cmp_ne_u16_e64 s[12:13], 0, v14
	v_mov_b32_e32 v21, 0
	v_mov_b32_e32 v19, 0
	s_and_saveexec_b64 s[14:15], s[12:13]
	s_cbranch_execz .LBB814_554
; %bb.549:
	s_movk_i32 s12, 0x80
	v_cmp_ne_u16_e64 s[12:13], s12, v14
	v_mov_b32_e32 v19, 0xffff8000
	s_and_saveexec_b64 s[24:25], s[12:13]
	s_cbranch_execz .LBB814_553
; %bb.550:
	s_movk_i32 s12, 0x7f
	v_and_b32_e32 v15, 0x7f, v14
	v_cmp_ne_u32_e64 s[12:13], s12, v15
	v_mov_b32_e32 v19, 0x7f80
	s_and_saveexec_b64 s[26:27], s[12:13]
	s_cbranch_execz .LBB814_552
; %bb.551:
	v_and_b32_e32 v22, 7, v14
	v_ffbh_u32_e32 v18, v22
	v_min_u32_e32 v24, 32, v18
	v_subrev_u32_e32 v18, 28, v24
	v_lshlrev_b64 v[18:19], v18, v[14:15]
	v_lshrrev_b32_e32 v23, 3, v15
	v_sub_u32_e32 v14, 29, v24
	v_and_b32_e32 v18, 7, v18
	v_cmp_gt_u32_e64 s[12:13], 8, v15
	v_cndmask_b32_e64 v14, v23, v14, s[12:13]
	v_cndmask_b32_e64 v15, v22, v18, s[12:13]
	v_lshlrev_b32_e32 v18, 16, v16
	v_bfrev_b32_e32 v19, 60
	v_lshlrev_b32_e32 v15, 20, v15
	v_and_b32_e32 v18, 0x80000000, v18
	v_lshl_add_u32 v14, v14, 23, v19
	v_or3_b32 v14, v18, v14, v15
	v_lshrrev_b32_e32 v19, 16, v14
.LBB814_552:
	s_or_b64 exec, exec, s[26:27]
.LBB814_553:
	s_or_b64 exec, exec, s[24:25]
.LBB814_554:
	s_or_b64 exec, exec, s[14:15]
	s_movk_i32 s12, 0xff
	v_and_b32_sdwa v15, v16, s12 dst_sel:DWORD dst_unused:UNUSED_PAD src0_sel:WORD_1 src1_sel:DWORD
	v_lshrrev_b32_e32 v14, 16, v16
	v_cmp_ne_u16_e64 s[12:13], 0, v15
	s_and_saveexec_b64 s[14:15], s[12:13]
	s_cbranch_execz .LBB814_560
; %bb.555:
	s_movk_i32 s12, 0x80
	v_cmp_ne_u16_e64 s[12:13], s12, v15
	v_mov_b32_e32 v21, 0xffff8000
	s_and_saveexec_b64 s[24:25], s[12:13]
	s_cbranch_execz .LBB814_559
; %bb.556:
	v_bfe_u32 v15, v16, 16, 7
	s_movk_i32 s12, 0x7f
	v_cmp_ne_u32_e64 s[12:13], s12, v15
	v_mov_b32_e32 v21, 0x7f80
	s_and_saveexec_b64 s[26:27], s[12:13]
	s_cbranch_execz .LBB814_558
; %bb.557:
	v_and_b32_e32 v18, 7, v14
	v_ffbh_u32_e32 v22, v18
	v_min_u32_e32 v24, 32, v22
	v_subrev_u32_e32 v22, 28, v24
	v_lshlrev_b64 v[22:23], v22, v[14:15]
	v_and_b32_e32 v22, 7, v22
	v_cmp_gt_u32_e64 s[12:13], 8, v15
	v_lshrrev_b32_e32 v21, 3, v15
	v_sub_u32_e32 v14, 29, v24
	v_cndmask_b32_e64 v15, v18, v22, s[12:13]
	v_mov_b32_e32 v18, 24
	v_cndmask_b32_e64 v14, v21, v14, s[12:13]
	v_lshlrev_b32_sdwa v18, v18, v16 dst_sel:DWORD dst_unused:UNUSED_PAD src0_sel:DWORD src1_sel:WORD_1
	v_bfrev_b32_e32 v21, 60
	v_lshlrev_b32_e32 v15, 20, v15
	v_and_b32_e32 v18, 0x80000000, v18
	v_lshl_add_u32 v14, v14, 23, v21
	v_or3_b32 v14, v18, v14, v15
	v_lshrrev_b32_e32 v21, 16, v14
.LBB814_558:
	s_or_b64 exec, exec, s[26:27]
.LBB814_559:
	s_or_b64 exec, exec, s[24:25]
.LBB814_560:
	s_or_b64 exec, exec, s[14:15]
	s_mov_b32 s12, 0xffffff
	v_cmp_lt_u32_e64 s[12:13], s12, v16
	v_mov_b32_e32 v15, 0
	v_mov_b32_e32 v22, 0
	s_and_saveexec_b64 s[14:15], s[12:13]
	s_cbranch_execz .LBB814_566
; %bb.561:
	v_lshrrev_b32_e32 v14, 24, v16
	s_movk_i32 s12, 0x80
	v_cmp_ne_u32_e64 s[12:13], s12, v14
	v_mov_b32_e32 v22, 0xffff8000
	s_and_saveexec_b64 s[24:25], s[12:13]
	s_cbranch_execz .LBB814_565
; %bb.562:
	v_bfe_u32 v18, v16, 24, 7
	s_movk_i32 s12, 0x7f
	v_cmp_ne_u32_e64 s[12:13], s12, v18
	v_mov_b32_e32 v22, 0x7f80
	s_and_saveexec_b64 s[26:27], s[12:13]
	s_cbranch_execz .LBB814_564
; %bb.563:
	v_and_b32_e32 v24, 7, v14
	v_ffbh_u32_e32 v22, v24
	v_min_u32_e32 v26, 32, v22
	v_subrev_u32_e32 v22, 28, v26
	v_lshlrev_b64 v[22:23], v22, v[14:15]
	v_lshrrev_b32_e32 v25, 3, v18
	v_sub_u32_e32 v23, 29, v26
	v_and_b32_e32 v22, 7, v22
	v_cmp_gt_u32_e64 s[12:13], 8, v18
	v_cndmask_b32_e64 v18, v25, v23, s[12:13]
	v_cndmask_b32_e64 v22, v24, v22, s[12:13]
	v_lshlrev_b32_e32 v14, 24, v14
	v_bfrev_b32_e32 v23, 60
	v_lshlrev_b32_e32 v22, 20, v22
	v_and_b32_e32 v14, 0x80000000, v14
	v_lshl_add_u32 v18, v18, 23, v23
	v_or3_b32 v14, v14, v18, v22
	v_lshrrev_b32_e32 v22, 16, v14
.LBB814_564:
	s_or_b64 exec, exec, s[26:27]
.LBB814_565:
	s_or_b64 exec, exec, s[24:25]
.LBB814_566:
	s_or_b64 exec, exec, s[14:15]
	v_mov_b32_e32 v14, v17
	v_cmp_ne_u16_sdwa s[12:13], v17, v15 src0_sel:BYTE_0 src1_sel:DWORD
	s_and_saveexec_b64 s[14:15], s[12:13]
	s_cbranch_execz .LBB814_572
; %bb.567:
	s_movk_i32 s12, 0x80
	v_cmp_ne_u16_sdwa s[12:13], v17, s12 src0_sel:BYTE_0 src1_sel:DWORD
	v_mov_b32_e32 v18, 0xffff8000
	s_and_saveexec_b64 s[24:25], s[12:13]
	s_cbranch_execz .LBB814_571
; %bb.568:
	s_movk_i32 s12, 0x7f
	v_and_b32_e32 v23, 0x7f, v17
	v_cmp_ne_u32_e64 s[12:13], s12, v23
	v_mov_b32_e32 v18, 0x7f80
	s_and_saveexec_b64 s[26:27], s[12:13]
	s_cbranch_execz .LBB814_570
; %bb.569:
	v_and_b32_e32 v18, 7, v17
	v_ffbh_u32_e32 v18, v18
	v_min_u32_e32 v18, 32, v18
	v_subrev_u32_e32 v25, 28, v18
	v_cmp_gt_u32_e64 s[12:13], 8, v23
	v_lshrrev_b32_e32 v24, 3, v23
	v_sub_u32_e32 v18, 29, v18
	v_cndmask_b32_e64 v23, 0, v25, s[12:13]
	v_cndmask_b32_e64 v18, v24, v18, s[12:13]
	v_lshlrev_b64 v[24:25], v23, v[14:15]
	v_lshlrev_b32_e32 v15, 20, v24
	v_lshlrev_b32_e32 v23, 24, v14
	v_bfrev_b32_e32 v24, 60
	v_and_b32_e32 v15, 0x700000, v15
	v_and_b32_e32 v23, 0x80000000, v23
	v_lshl_add_u32 v18, v18, 23, v24
	v_or3_b32 v15, v23, v18, v15
	v_lshrrev_b32_e32 v18, 16, v15
.LBB814_570:
	s_or_b64 exec, exec, s[26:27]
.LBB814_571:
	s_or_b64 exec, exec, s[24:25]
	v_mov_b32_e32 v15, v18
.LBB814_572:
	s_or_b64 exec, exec, s[14:15]
	v_lshrrev_b16_e32 v18, 8, v14
	v_cmp_ne_u16_e64 s[12:13], 0, v18
	v_mov_b32_e32 v24, 0
	v_mov_b32_e32 v23, 0
	s_and_saveexec_b64 s[14:15], s[12:13]
	s_cbranch_execz .LBB814_578
; %bb.573:
	s_movk_i32 s12, 0x80
	v_cmp_ne_u16_e64 s[12:13], s12, v18
	v_mov_b32_e32 v23, 0xffff8000
	s_and_saveexec_b64 s[24:25], s[12:13]
	s_cbranch_execz .LBB814_577
; %bb.574:
	s_movk_i32 s12, 0x7f
	v_and_b32_e32 v25, 0x7f, v18
	v_cmp_ne_u32_e64 s[12:13], s12, v25
	v_mov_b32_e32 v23, 0x7f80
	s_and_saveexec_b64 s[26:27], s[12:13]
	s_cbranch_execz .LBB814_576
; %bb.575:
	v_and_b32_e32 v23, 7, v18
	v_ffbh_u32_e32 v26, v23
	v_min_u32_e32 v29, 32, v26
	v_subrev_u32_e32 v26, 28, v29
	v_lshlrev_b64 v[26:27], v26, v[18:19]
	v_lshrrev_b32_e32 v28, 3, v25
	v_sub_u32_e32 v18, 29, v29
	v_and_b32_e32 v26, 7, v26
	v_cmp_gt_u32_e64 s[12:13], 8, v25
	v_cndmask_b32_e64 v18, v28, v18, s[12:13]
	v_cndmask_b32_e64 v23, v23, v26, s[12:13]
	v_lshlrev_b32_e32 v14, 16, v14
	v_bfrev_b32_e32 v25, 60
	v_lshlrev_b32_e32 v23, 20, v23
	v_and_b32_e32 v14, 0x80000000, v14
	v_lshl_add_u32 v18, v18, 23, v25
	v_or3_b32 v14, v14, v18, v23
	v_lshrrev_b32_e32 v23, 16, v14
.LBB814_576:
	s_or_b64 exec, exec, s[26:27]
.LBB814_577:
	s_or_b64 exec, exec, s[24:25]
.LBB814_578:
	s_or_b64 exec, exec, s[14:15]
	s_movk_i32 s12, 0xff
	v_and_b32_sdwa v18, v17, s12 dst_sel:DWORD dst_unused:UNUSED_PAD src0_sel:WORD_1 src1_sel:DWORD
	v_lshrrev_b32_e32 v14, 16, v17
	v_cmp_ne_u16_e64 s[12:13], 0, v18
	s_and_saveexec_b64 s[14:15], s[12:13]
	s_cbranch_execz .LBB814_584
; %bb.579:
	s_movk_i32 s12, 0x80
	v_cmp_ne_u16_e64 s[12:13], s12, v18
	v_mov_b32_e32 v24, 0xffff8000
	s_and_saveexec_b64 s[24:25], s[12:13]
	s_cbranch_execz .LBB814_583
; %bb.580:
	v_bfe_u32 v18, v17, 16, 7
	s_movk_i32 s12, 0x7f
	v_cmp_ne_u32_e64 s[12:13], s12, v18
	v_mov_b32_e32 v24, 0x7f80
	s_and_saveexec_b64 s[26:27], s[12:13]
	s_cbranch_execz .LBB814_582
; %bb.581:
	v_and_b32_e32 v26, 7, v14
	v_ffbh_u32_e32 v24, v26
	v_min_u32_e32 v28, 32, v24
	v_subrev_u32_e32 v24, 28, v28
	v_lshlrev_b64 v[24:25], v24, v[14:15]
	v_and_b32_e32 v24, 7, v24
	v_cmp_gt_u32_e64 s[12:13], 8, v18
	v_lshrrev_b32_e32 v27, 3, v18
	v_sub_u32_e32 v14, 29, v28
	v_cndmask_b32_e64 v18, v26, v24, s[12:13]
	v_mov_b32_e32 v24, 24
	v_cndmask_b32_e64 v14, v27, v14, s[12:13]
	v_lshlrev_b32_sdwa v24, v24, v17 dst_sel:DWORD dst_unused:UNUSED_PAD src0_sel:DWORD src1_sel:WORD_1
	v_bfrev_b32_e32 v25, 60
	v_lshlrev_b32_e32 v18, 20, v18
	v_and_b32_e32 v24, 0x80000000, v24
	v_lshl_add_u32 v14, v14, 23, v25
	v_or3_b32 v14, v24, v14, v18
	v_lshrrev_b32_e32 v24, 16, v14
.LBB814_582:
	s_or_b64 exec, exec, s[26:27]
.LBB814_583:
	s_or_b64 exec, exec, s[24:25]
.LBB814_584:
	s_or_b64 exec, exec, s[14:15]
	s_mov_b32 s12, -1
	s_mov_b32 s13, 0xffffff
	v_cmp_lt_u64_e64 s[12:13], s[12:13], v[16:17]
	v_mov_b32_e32 v18, 0
	v_mov_b32_e32 v16, 0
	s_and_saveexec_b64 s[14:15], s[12:13]
	s_cbranch_execz .LBB814_590
; %bb.585:
	v_lshrrev_b32_e32 v14, 24, v17
	s_movk_i32 s12, 0x80
	v_cmp_ne_u32_e64 s[12:13], s12, v14
	v_mov_b32_e32 v16, 0xffff8000
	s_and_saveexec_b64 s[24:25], s[12:13]
	s_cbranch_execz .LBB814_589
; %bb.586:
	v_bfe_u32 v17, v17, 24, 7
	s_movk_i32 s12, 0x7f
	v_cmp_ne_u32_e64 s[12:13], s12, v17
	v_mov_b32_e32 v16, 0x7f80
	s_and_saveexec_b64 s[26:27], s[12:13]
	s_cbranch_execz .LBB814_588
; %bb.587:
	v_and_b32_e32 v16, 7, v14
	v_ffbh_u32_e32 v26, v16
	v_min_u32_e32 v28, 32, v26
	v_subrev_u32_e32 v26, 28, v28
	v_lshlrev_b64 v[26:27], v26, v[14:15]
	v_lshrrev_b32_e32 v25, 3, v17
	v_sub_u32_e32 v27, 29, v28
	v_and_b32_e32 v26, 7, v26
	v_cmp_gt_u32_e64 s[12:13], 8, v17
	v_cndmask_b32_e64 v17, v25, v27, s[12:13]
	v_cndmask_b32_e64 v16, v16, v26, s[12:13]
	v_lshlrev_b32_e32 v14, 24, v14
	v_bfrev_b32_e32 v25, 60
	v_lshlrev_b32_e32 v16, 20, v16
	v_and_b32_e32 v14, 0x80000000, v14
	v_lshl_add_u32 v17, v17, 23, v25
	v_or3_b32 v14, v14, v17, v16
	v_lshrrev_b32_e32 v16, 16, v14
.LBB814_588:
	s_or_b64 exec, exec, s[26:27]
.LBB814_589:
	s_or_b64 exec, exec, s[24:25]
.LBB814_590:
	s_or_b64 exec, exec, s[14:15]
	s_mov_b32 s12, 0x5040100
	v_perm_b32 v21, v22, v21, s12
	v_perm_b32 v20, v19, v20, s12
	;; [unrolled: 1-line block ×4, first 2 shown]
	v_mfma_f32_4x4x4bf16_1k a[0:3], v[2:3], v[20:21], a[0:3] cbsz:4 abid:11
	s_waitcnt vmcnt(25)
	v_cmp_ne_u16_sdwa s[12:13], v10, v18 src0_sel:BYTE_0 src1_sel:DWORD
	v_mfma_f32_4x4x4bf16_1k a[0:3], v[4:5], v[16:17], a[0:3] cbsz:4 abid:11
	s_and_saveexec_b64 s[14:15], s[12:13]
	s_cbranch_execz .LBB814_596
; %bb.591:
	s_movk_i32 s12, 0x80
	v_cmp_ne_u16_sdwa s[12:13], v10, s12 src0_sel:BYTE_0 src1_sel:DWORD
	v_mov_b32_e32 v18, 0xffff8000
	s_and_saveexec_b64 s[24:25], s[12:13]
	s_cbranch_execz .LBB814_595
; %bb.592:
	s_movk_i32 s12, 0x7f
	v_and_b32_e32 v14, 0x7f, v10
	v_cmp_ne_u32_e64 s[12:13], s12, v14
	v_mov_b32_e32 v18, 0x7f80
	s_and_saveexec_b64 s[26:27], s[12:13]
	s_cbranch_execz .LBB814_594
; %bb.593:
	v_and_b32_e32 v15, 7, v10
	v_ffbh_u32_e32 v15, v15
	v_min_u32_e32 v15, 32, v15
	v_subrev_u32_e32 v17, 28, v15
	v_cmp_gt_u32_e64 s[12:13], 8, v14
	v_lshrrev_b32_e32 v16, 3, v14
	v_sub_u32_e32 v15, 29, v15
	v_cndmask_b32_e64 v14, 0, v17, s[12:13]
	v_cndmask_b32_e64 v16, v16, v15, s[12:13]
	v_lshlrev_b64 v[14:15], v14, v[10:11]
	v_lshlrev_b32_e32 v14, 20, v14
	v_lshlrev_b32_e32 v15, 24, v10
	v_bfrev_b32_e32 v17, 60
	v_and_b32_e32 v14, 0x700000, v14
	v_and_b32_e32 v15, 0x80000000, v15
	v_lshl_add_u32 v16, v16, 23, v17
	v_or3_b32 v14, v15, v16, v14
	v_lshrrev_b32_e32 v18, 16, v14
.LBB814_594:
	s_or_b64 exec, exec, s[26:27]
.LBB814_595:
	s_or_b64 exec, exec, s[24:25]
.LBB814_596:
	s_or_b64 exec, exec, s[14:15]
	v_lshrrev_b16_e32 v14, 8, v10
	v_cmp_ne_u16_e64 s[12:13], 0, v14
	v_mov_b32_e32 v19, 0
	v_mov_b32_e32 v17, 0
	s_and_saveexec_b64 s[14:15], s[12:13]
	s_cbranch_execz .LBB814_602
; %bb.597:
	s_movk_i32 s12, 0x80
	v_cmp_ne_u16_e64 s[12:13], s12, v14
	v_mov_b32_e32 v17, 0xffff8000
	s_and_saveexec_b64 s[24:25], s[12:13]
	s_cbranch_execz .LBB814_601
; %bb.598:
	s_movk_i32 s12, 0x7f
	v_and_b32_e32 v15, 0x7f, v14
	v_cmp_ne_u32_e64 s[12:13], s12, v15
	v_mov_b32_e32 v17, 0x7f80
	s_and_saveexec_b64 s[26:27], s[12:13]
	s_cbranch_execz .LBB814_600
; %bb.599:
	v_and_b32_e32 v20, 7, v14
	v_ffbh_u32_e32 v16, v20
	v_min_u32_e32 v22, 32, v16
	v_subrev_u32_e32 v16, 28, v22
	v_lshlrev_b64 v[16:17], v16, v[14:15]
	v_lshrrev_b32_e32 v21, 3, v15
	v_sub_u32_e32 v14, 29, v22
	v_and_b32_e32 v16, 7, v16
	v_cmp_gt_u32_e64 s[12:13], 8, v15
	v_cndmask_b32_e64 v14, v21, v14, s[12:13]
	v_cndmask_b32_e64 v15, v20, v16, s[12:13]
	v_lshlrev_b32_e32 v16, 16, v10
	v_bfrev_b32_e32 v17, 60
	v_lshlrev_b32_e32 v15, 20, v15
	v_and_b32_e32 v16, 0x80000000, v16
	v_lshl_add_u32 v14, v14, 23, v17
	v_or3_b32 v14, v16, v14, v15
	v_lshrrev_b32_e32 v17, 16, v14
.LBB814_600:
	s_or_b64 exec, exec, s[26:27]
.LBB814_601:
	s_or_b64 exec, exec, s[24:25]
.LBB814_602:
	s_or_b64 exec, exec, s[14:15]
	s_movk_i32 s12, 0xff
	v_and_b32_sdwa v15, v10, s12 dst_sel:DWORD dst_unused:UNUSED_PAD src0_sel:WORD_1 src1_sel:DWORD
	v_lshrrev_b32_e32 v14, 16, v10
	v_cmp_ne_u16_e64 s[12:13], 0, v15
	s_and_saveexec_b64 s[14:15], s[12:13]
	s_cbranch_execz .LBB814_608
; %bb.603:
	s_movk_i32 s12, 0x80
	v_cmp_ne_u16_e64 s[12:13], s12, v15
	v_mov_b32_e32 v19, 0xffff8000
	s_and_saveexec_b64 s[24:25], s[12:13]
	s_cbranch_execz .LBB814_607
; %bb.604:
	v_bfe_u32 v15, v10, 16, 7
	s_movk_i32 s12, 0x7f
	v_cmp_ne_u32_e64 s[12:13], s12, v15
	v_mov_b32_e32 v19, 0x7f80
	s_and_saveexec_b64 s[26:27], s[12:13]
	s_cbranch_execz .LBB814_606
; %bb.605:
	v_and_b32_e32 v16, 7, v14
	v_ffbh_u32_e32 v20, v16
	v_min_u32_e32 v22, 32, v20
	v_subrev_u32_e32 v20, 28, v22
	v_lshlrev_b64 v[20:21], v20, v[14:15]
	v_and_b32_e32 v20, 7, v20
	v_cmp_gt_u32_e64 s[12:13], 8, v15
	v_lshrrev_b32_e32 v19, 3, v15
	v_sub_u32_e32 v14, 29, v22
	v_cndmask_b32_e64 v15, v16, v20, s[12:13]
	v_mov_b32_e32 v16, 24
	v_cndmask_b32_e64 v14, v19, v14, s[12:13]
	v_lshlrev_b32_sdwa v16, v16, v10 dst_sel:DWORD dst_unused:UNUSED_PAD src0_sel:DWORD src1_sel:WORD_1
	v_bfrev_b32_e32 v19, 60
	v_lshlrev_b32_e32 v15, 20, v15
	v_and_b32_e32 v16, 0x80000000, v16
	v_lshl_add_u32 v14, v14, 23, v19
	v_or3_b32 v14, v16, v14, v15
	v_lshrrev_b32_e32 v19, 16, v14
.LBB814_606:
	s_or_b64 exec, exec, s[26:27]
.LBB814_607:
	s_or_b64 exec, exec, s[24:25]
.LBB814_608:
	s_or_b64 exec, exec, s[14:15]
	s_mov_b32 s12, 0xffffff
	v_cmp_lt_u32_e64 s[12:13], s12, v10
	v_mov_b32_e32 v15, 0
	v_mov_b32_e32 v20, 0
	s_and_saveexec_b64 s[14:15], s[12:13]
	s_cbranch_execz .LBB814_614
; %bb.609:
	v_lshrrev_b32_e32 v14, 24, v10
	s_movk_i32 s12, 0x80
	v_cmp_ne_u32_e64 s[12:13], s12, v14
	v_mov_b32_e32 v20, 0xffff8000
	s_and_saveexec_b64 s[24:25], s[12:13]
	s_cbranch_execz .LBB814_613
; %bb.610:
	v_bfe_u32 v16, v10, 24, 7
	s_movk_i32 s12, 0x7f
	v_cmp_ne_u32_e64 s[12:13], s12, v16
	v_mov_b32_e32 v20, 0x7f80
	s_and_saveexec_b64 s[26:27], s[12:13]
	s_cbranch_execz .LBB814_612
; %bb.611:
	v_and_b32_e32 v22, 7, v14
	v_ffbh_u32_e32 v20, v22
	v_min_u32_e32 v24, 32, v20
	v_subrev_u32_e32 v20, 28, v24
	v_lshlrev_b64 v[20:21], v20, v[14:15]
	v_lshrrev_b32_e32 v23, 3, v16
	v_sub_u32_e32 v21, 29, v24
	v_and_b32_e32 v20, 7, v20
	v_cmp_gt_u32_e64 s[12:13], 8, v16
	v_cndmask_b32_e64 v16, v23, v21, s[12:13]
	v_cndmask_b32_e64 v20, v22, v20, s[12:13]
	v_lshlrev_b32_e32 v14, 24, v14
	v_bfrev_b32_e32 v21, 60
	v_lshlrev_b32_e32 v20, 20, v20
	v_and_b32_e32 v14, 0x80000000, v14
	v_lshl_add_u32 v16, v16, 23, v21
	v_or3_b32 v14, v14, v16, v20
	v_lshrrev_b32_e32 v20, 16, v14
.LBB814_612:
	s_or_b64 exec, exec, s[26:27]
.LBB814_613:
	s_or_b64 exec, exec, s[24:25]
.LBB814_614:
	s_or_b64 exec, exec, s[14:15]
	v_mov_b32_e32 v14, v11
	v_cmp_ne_u16_sdwa s[12:13], v11, v15 src0_sel:BYTE_0 src1_sel:DWORD
	s_and_saveexec_b64 s[14:15], s[12:13]
	s_cbranch_execz .LBB814_620
; %bb.615:
	s_movk_i32 s12, 0x80
	v_cmp_ne_u16_sdwa s[12:13], v11, s12 src0_sel:BYTE_0 src1_sel:DWORD
	v_mov_b32_e32 v16, 0xffff8000
	s_and_saveexec_b64 s[24:25], s[12:13]
	s_cbranch_execz .LBB814_619
; %bb.616:
	s_movk_i32 s12, 0x7f
	v_and_b32_e32 v21, 0x7f, v11
	v_cmp_ne_u32_e64 s[12:13], s12, v21
	v_mov_b32_e32 v16, 0x7f80
	s_and_saveexec_b64 s[26:27], s[12:13]
	s_cbranch_execz .LBB814_618
; %bb.617:
	v_and_b32_e32 v16, 7, v11
	v_ffbh_u32_e32 v16, v16
	v_min_u32_e32 v16, 32, v16
	v_subrev_u32_e32 v23, 28, v16
	v_cmp_gt_u32_e64 s[12:13], 8, v21
	v_lshrrev_b32_e32 v22, 3, v21
	v_sub_u32_e32 v16, 29, v16
	v_cndmask_b32_e64 v21, 0, v23, s[12:13]
	v_cndmask_b32_e64 v16, v22, v16, s[12:13]
	v_lshlrev_b64 v[22:23], v21, v[14:15]
	v_lshlrev_b32_e32 v15, 20, v22
	v_lshlrev_b32_e32 v21, 24, v14
	v_bfrev_b32_e32 v22, 60
	v_and_b32_e32 v15, 0x700000, v15
	v_and_b32_e32 v21, 0x80000000, v21
	v_lshl_add_u32 v16, v16, 23, v22
	v_or3_b32 v15, v21, v16, v15
	v_lshrrev_b32_e32 v16, 16, v15
.LBB814_618:
	s_or_b64 exec, exec, s[26:27]
.LBB814_619:
	s_or_b64 exec, exec, s[24:25]
	v_mov_b32_e32 v15, v16
.LBB814_620:
	s_or_b64 exec, exec, s[14:15]
	v_lshrrev_b16_e32 v16, 8, v14
	v_cmp_ne_u16_e64 s[12:13], 0, v16
	v_mov_b32_e32 v22, 0
	v_mov_b32_e32 v21, 0
	s_and_saveexec_b64 s[14:15], s[12:13]
	s_cbranch_execz .LBB814_626
; %bb.621:
	s_movk_i32 s12, 0x80
	v_cmp_ne_u16_e64 s[12:13], s12, v16
	v_mov_b32_e32 v21, 0xffff8000
	s_and_saveexec_b64 s[24:25], s[12:13]
	s_cbranch_execz .LBB814_625
; %bb.622:
	s_movk_i32 s12, 0x7f
	v_and_b32_e32 v23, 0x7f, v16
	v_cmp_ne_u32_e64 s[12:13], s12, v23
	v_mov_b32_e32 v21, 0x7f80
	s_and_saveexec_b64 s[26:27], s[12:13]
	s_cbranch_execz .LBB814_624
; %bb.623:
	v_and_b32_e32 v21, 7, v16
	v_ffbh_u32_e32 v24, v21
	v_min_u32_e32 v27, 32, v24
	v_subrev_u32_e32 v24, 28, v27
	v_lshlrev_b64 v[24:25], v24, v[16:17]
	v_lshrrev_b32_e32 v26, 3, v23
	v_sub_u32_e32 v16, 29, v27
	v_and_b32_e32 v24, 7, v24
	v_cmp_gt_u32_e64 s[12:13], 8, v23
	v_cndmask_b32_e64 v16, v26, v16, s[12:13]
	v_cndmask_b32_e64 v21, v21, v24, s[12:13]
	v_lshlrev_b32_e32 v14, 16, v14
	v_bfrev_b32_e32 v23, 60
	v_lshlrev_b32_e32 v21, 20, v21
	v_and_b32_e32 v14, 0x80000000, v14
	v_lshl_add_u32 v16, v16, 23, v23
	v_or3_b32 v14, v14, v16, v21
	v_lshrrev_b32_e32 v21, 16, v14
.LBB814_624:
	s_or_b64 exec, exec, s[26:27]
.LBB814_625:
	s_or_b64 exec, exec, s[24:25]
.LBB814_626:
	s_or_b64 exec, exec, s[14:15]
	s_movk_i32 s12, 0xff
	v_and_b32_sdwa v16, v11, s12 dst_sel:DWORD dst_unused:UNUSED_PAD src0_sel:WORD_1 src1_sel:DWORD
	v_lshrrev_b32_e32 v14, 16, v11
	v_cmp_ne_u16_e64 s[12:13], 0, v16
	s_and_saveexec_b64 s[14:15], s[12:13]
	s_cbranch_execz .LBB814_632
; %bb.627:
	s_movk_i32 s12, 0x80
	v_cmp_ne_u16_e64 s[12:13], s12, v16
	v_mov_b32_e32 v22, 0xffff8000
	s_and_saveexec_b64 s[24:25], s[12:13]
	s_cbranch_execz .LBB814_631
; %bb.628:
	v_bfe_u32 v16, v11, 16, 7
	s_movk_i32 s12, 0x7f
	v_cmp_ne_u32_e64 s[12:13], s12, v16
	v_mov_b32_e32 v22, 0x7f80
	s_and_saveexec_b64 s[26:27], s[12:13]
	s_cbranch_execz .LBB814_630
; %bb.629:
	v_and_b32_e32 v24, 7, v14
	v_ffbh_u32_e32 v22, v24
	v_min_u32_e32 v26, 32, v22
	v_subrev_u32_e32 v22, 28, v26
	v_lshlrev_b64 v[22:23], v22, v[14:15]
	v_and_b32_e32 v22, 7, v22
	v_cmp_gt_u32_e64 s[12:13], 8, v16
	v_lshrrev_b32_e32 v25, 3, v16
	v_sub_u32_e32 v14, 29, v26
	v_cndmask_b32_e64 v16, v24, v22, s[12:13]
	v_mov_b32_e32 v22, 24
	v_cndmask_b32_e64 v14, v25, v14, s[12:13]
	v_lshlrev_b32_sdwa v22, v22, v11 dst_sel:DWORD dst_unused:UNUSED_PAD src0_sel:DWORD src1_sel:WORD_1
	v_bfrev_b32_e32 v23, 60
	v_lshlrev_b32_e32 v16, 20, v16
	v_and_b32_e32 v22, 0x80000000, v22
	v_lshl_add_u32 v14, v14, 23, v23
	v_or3_b32 v14, v22, v14, v16
	v_lshrrev_b32_e32 v22, 16, v14
.LBB814_630:
	s_or_b64 exec, exec, s[26:27]
.LBB814_631:
	s_or_b64 exec, exec, s[24:25]
.LBB814_632:
	s_or_b64 exec, exec, s[14:15]
	s_mov_b32 s12, -1
	s_mov_b32 s13, 0xffffff
	v_cmp_lt_u64_e64 s[12:13], s[12:13], v[10:11]
	v_mov_b32_e32 v16, 0
	v_mov_b32_e32 v14, 0
	s_and_saveexec_b64 s[14:15], s[12:13]
	s_cbranch_execz .LBB814_638
; %bb.633:
	v_lshrrev_b32_e32 v10, 24, v11
	s_movk_i32 s12, 0x80
	v_cmp_ne_u32_e64 s[12:13], s12, v10
	v_mov_b32_e32 v14, 0xffff8000
	s_and_saveexec_b64 s[24:25], s[12:13]
	s_cbranch_execz .LBB814_637
; %bb.634:
	v_bfe_u32 v11, v11, 24, 7
	s_movk_i32 s12, 0x7f
	v_cmp_ne_u32_e64 s[12:13], s12, v11
	v_mov_b32_e32 v14, 0x7f80
	s_and_saveexec_b64 s[26:27], s[12:13]
	s_cbranch_execz .LBB814_636
; %bb.635:
	v_and_b32_e32 v14, 7, v10
	v_ffbh_u32_e32 v24, v14
	v_min_u32_e32 v26, 32, v24
	v_subrev_u32_e32 v24, 28, v26
	v_lshlrev_b64 v[24:25], v24, v[10:11]
	v_lshrrev_b32_e32 v23, 3, v11
	v_sub_u32_e32 v25, 29, v26
	v_and_b32_e32 v24, 7, v24
	v_cmp_gt_u32_e64 s[12:13], 8, v11
	v_cndmask_b32_e64 v11, v23, v25, s[12:13]
	v_cndmask_b32_e64 v14, v14, v24, s[12:13]
	v_lshlrev_b32_e32 v10, 24, v10
	v_bfrev_b32_e32 v23, 60
	v_lshlrev_b32_e32 v14, 20, v14
	v_and_b32_e32 v10, 0x80000000, v10
	v_lshl_add_u32 v11, v11, 23, v23
	v_or3_b32 v10, v10, v11, v14
	v_lshrrev_b32_e32 v14, 16, v10
.LBB814_636:
	s_or_b64 exec, exec, s[26:27]
.LBB814_637:
	s_or_b64 exec, exec, s[24:25]
.LBB814_638:
	s_or_b64 exec, exec, s[14:15]
	s_mov_b32 s12, 0x5040100
	v_perm_b32 v11, v20, v19, s12
	v_perm_b32 v10, v17, v18, s12
	;; [unrolled: 1-line block ×4, first 2 shown]
	v_mfma_f32_4x4x4bf16_1k a[0:3], v[2:3], v[10:11], a[0:3] cbsz:4 abid:12
	v_cmp_ne_u16_sdwa s[12:13], v12, v16 src0_sel:BYTE_0 src1_sel:DWORD
	v_mfma_f32_4x4x4bf16_1k a[0:3], v[4:5], v[18:19], a[0:3] cbsz:4 abid:12
	s_and_saveexec_b64 s[14:15], s[12:13]
	s_cbranch_execz .LBB814_644
; %bb.639:
	s_movk_i32 s12, 0x80
	v_cmp_ne_u16_sdwa s[12:13], v12, s12 src0_sel:BYTE_0 src1_sel:DWORD
	v_mov_b32_e32 v16, 0xffff8000
	s_and_saveexec_b64 s[24:25], s[12:13]
	s_cbranch_execz .LBB814_643
; %bb.640:
	s_movk_i32 s12, 0x7f
	v_and_b32_e32 v10, 0x7f, v12
	v_cmp_ne_u32_e64 s[12:13], s12, v10
	v_mov_b32_e32 v16, 0x7f80
	s_and_saveexec_b64 s[26:27], s[12:13]
	s_cbranch_execz .LBB814_642
; %bb.641:
	v_and_b32_e32 v11, 7, v12
	v_ffbh_u32_e32 v11, v11
	v_min_u32_e32 v11, 32, v11
	v_subrev_u32_e32 v15, 28, v11
	v_cmp_gt_u32_e64 s[12:13], 8, v10
	v_lshrrev_b32_e32 v14, 3, v10
	v_sub_u32_e32 v11, 29, v11
	v_cndmask_b32_e64 v10, 0, v15, s[12:13]
	v_cndmask_b32_e64 v14, v14, v11, s[12:13]
	v_lshlrev_b64 v[10:11], v10, v[12:13]
	v_lshlrev_b32_e32 v10, 20, v10
	v_lshlrev_b32_e32 v11, 24, v12
	v_bfrev_b32_e32 v15, 60
	v_and_b32_e32 v10, 0x700000, v10
	v_and_b32_e32 v11, 0x80000000, v11
	v_lshl_add_u32 v14, v14, 23, v15
	v_or3_b32 v10, v11, v14, v10
	v_lshrrev_b32_e32 v16, 16, v10
.LBB814_642:
	s_or_b64 exec, exec, s[26:27]
.LBB814_643:
	s_or_b64 exec, exec, s[24:25]
.LBB814_644:
	s_or_b64 exec, exec, s[14:15]
	v_lshrrev_b16_e32 v10, 8, v12
	v_cmp_ne_u16_e64 s[12:13], 0, v10
	v_mov_b32_e32 v17, 0
	v_mov_b32_e32 v15, 0
	s_and_saveexec_b64 s[14:15], s[12:13]
	s_cbranch_execz .LBB814_650
; %bb.645:
	s_movk_i32 s12, 0x80
	v_cmp_ne_u16_e64 s[12:13], s12, v10
	v_mov_b32_e32 v15, 0xffff8000
	s_and_saveexec_b64 s[24:25], s[12:13]
	s_cbranch_execz .LBB814_649
; %bb.646:
	s_movk_i32 s12, 0x7f
	v_and_b32_e32 v11, 0x7f, v10
	v_cmp_ne_u32_e64 s[12:13], s12, v11
	v_mov_b32_e32 v15, 0x7f80
	s_and_saveexec_b64 s[26:27], s[12:13]
	s_cbranch_execz .LBB814_648
; %bb.647:
	v_and_b32_e32 v18, 7, v10
	v_ffbh_u32_e32 v14, v18
	v_min_u32_e32 v20, 32, v14
	v_subrev_u32_e32 v14, 28, v20
	v_lshlrev_b64 v[14:15], v14, v[10:11]
	v_lshrrev_b32_e32 v19, 3, v11
	v_sub_u32_e32 v10, 29, v20
	v_and_b32_e32 v14, 7, v14
	v_cmp_gt_u32_e64 s[12:13], 8, v11
	v_cndmask_b32_e64 v10, v19, v10, s[12:13]
	v_cndmask_b32_e64 v11, v18, v14, s[12:13]
	v_lshlrev_b32_e32 v14, 16, v12
	v_bfrev_b32_e32 v15, 60
	v_lshlrev_b32_e32 v11, 20, v11
	v_and_b32_e32 v14, 0x80000000, v14
	v_lshl_add_u32 v10, v10, 23, v15
	v_or3_b32 v10, v14, v10, v11
	v_lshrrev_b32_e32 v15, 16, v10
.LBB814_648:
	s_or_b64 exec, exec, s[26:27]
.LBB814_649:
	s_or_b64 exec, exec, s[24:25]
.LBB814_650:
	s_or_b64 exec, exec, s[14:15]
	s_movk_i32 s12, 0xff
	v_and_b32_sdwa v11, v12, s12 dst_sel:DWORD dst_unused:UNUSED_PAD src0_sel:WORD_1 src1_sel:DWORD
	v_lshrrev_b32_e32 v10, 16, v12
	v_cmp_ne_u16_e64 s[12:13], 0, v11
	s_and_saveexec_b64 s[14:15], s[12:13]
	s_cbranch_execz .LBB814_656
; %bb.651:
	s_movk_i32 s12, 0x80
	v_cmp_ne_u16_e64 s[12:13], s12, v11
	v_mov_b32_e32 v17, 0xffff8000
	s_and_saveexec_b64 s[24:25], s[12:13]
	s_cbranch_execz .LBB814_655
; %bb.652:
	v_bfe_u32 v11, v12, 16, 7
	s_movk_i32 s12, 0x7f
	v_cmp_ne_u32_e64 s[12:13], s12, v11
	v_mov_b32_e32 v17, 0x7f80
	s_and_saveexec_b64 s[26:27], s[12:13]
	s_cbranch_execz .LBB814_654
; %bb.653:
	v_and_b32_e32 v14, 7, v10
	v_ffbh_u32_e32 v18, v14
	v_min_u32_e32 v20, 32, v18
	v_subrev_u32_e32 v18, 28, v20
	v_lshlrev_b64 v[18:19], v18, v[10:11]
	v_and_b32_e32 v18, 7, v18
	v_cmp_gt_u32_e64 s[12:13], 8, v11
	v_lshrrev_b32_e32 v17, 3, v11
	v_sub_u32_e32 v10, 29, v20
	v_cndmask_b32_e64 v11, v14, v18, s[12:13]
	v_mov_b32_e32 v14, 24
	v_cndmask_b32_e64 v10, v17, v10, s[12:13]
	v_lshlrev_b32_sdwa v14, v14, v12 dst_sel:DWORD dst_unused:UNUSED_PAD src0_sel:DWORD src1_sel:WORD_1
	v_bfrev_b32_e32 v17, 60
	v_lshlrev_b32_e32 v11, 20, v11
	v_and_b32_e32 v14, 0x80000000, v14
	v_lshl_add_u32 v10, v10, 23, v17
	v_or3_b32 v10, v14, v10, v11
	v_lshrrev_b32_e32 v17, 16, v10
.LBB814_654:
	s_or_b64 exec, exec, s[26:27]
.LBB814_655:
	s_or_b64 exec, exec, s[24:25]
.LBB814_656:
	s_or_b64 exec, exec, s[14:15]
	s_mov_b32 s12, 0xffffff
	v_cmp_lt_u32_e64 s[12:13], s12, v12
	v_mov_b32_e32 v11, 0
	v_mov_b32_e32 v18, 0
	s_and_saveexec_b64 s[14:15], s[12:13]
	s_cbranch_execz .LBB814_662
; %bb.657:
	v_lshrrev_b32_e32 v10, 24, v12
	s_movk_i32 s12, 0x80
	v_cmp_ne_u32_e64 s[12:13], s12, v10
	v_mov_b32_e32 v18, 0xffff8000
	s_and_saveexec_b64 s[24:25], s[12:13]
	s_cbranch_execz .LBB814_661
; %bb.658:
	v_bfe_u32 v14, v12, 24, 7
	s_movk_i32 s12, 0x7f
	v_cmp_ne_u32_e64 s[12:13], s12, v14
	v_mov_b32_e32 v18, 0x7f80
	s_and_saveexec_b64 s[26:27], s[12:13]
	s_cbranch_execz .LBB814_660
; %bb.659:
	v_and_b32_e32 v20, 7, v10
	v_ffbh_u32_e32 v18, v20
	v_min_u32_e32 v22, 32, v18
	v_subrev_u32_e32 v18, 28, v22
	v_lshlrev_b64 v[18:19], v18, v[10:11]
	v_lshrrev_b32_e32 v21, 3, v14
	v_sub_u32_e32 v19, 29, v22
	v_and_b32_e32 v18, 7, v18
	v_cmp_gt_u32_e64 s[12:13], 8, v14
	v_cndmask_b32_e64 v14, v21, v19, s[12:13]
	v_cndmask_b32_e64 v18, v20, v18, s[12:13]
	v_lshlrev_b32_e32 v10, 24, v10
	v_bfrev_b32_e32 v19, 60
	v_lshlrev_b32_e32 v18, 20, v18
	v_and_b32_e32 v10, 0x80000000, v10
	v_lshl_add_u32 v14, v14, 23, v19
	v_or3_b32 v10, v10, v14, v18
	v_lshrrev_b32_e32 v18, 16, v10
.LBB814_660:
	s_or_b64 exec, exec, s[26:27]
.LBB814_661:
	s_or_b64 exec, exec, s[24:25]
.LBB814_662:
	s_or_b64 exec, exec, s[14:15]
	v_mov_b32_e32 v10, v13
	v_cmp_ne_u16_sdwa s[12:13], v13, v11 src0_sel:BYTE_0 src1_sel:DWORD
	s_and_saveexec_b64 s[14:15], s[12:13]
	s_cbranch_execz .LBB814_668
; %bb.663:
	s_movk_i32 s12, 0x80
	v_cmp_ne_u16_sdwa s[12:13], v13, s12 src0_sel:BYTE_0 src1_sel:DWORD
	v_mov_b32_e32 v14, 0xffff8000
	s_and_saveexec_b64 s[24:25], s[12:13]
	s_cbranch_execz .LBB814_667
; %bb.664:
	s_movk_i32 s12, 0x7f
	v_and_b32_e32 v19, 0x7f, v13
	v_cmp_ne_u32_e64 s[12:13], s12, v19
	v_mov_b32_e32 v14, 0x7f80
	s_and_saveexec_b64 s[26:27], s[12:13]
	s_cbranch_execz .LBB814_666
; %bb.665:
	v_and_b32_e32 v14, 7, v13
	v_ffbh_u32_e32 v14, v14
	v_min_u32_e32 v14, 32, v14
	v_subrev_u32_e32 v21, 28, v14
	v_cmp_gt_u32_e64 s[12:13], 8, v19
	v_lshrrev_b32_e32 v20, 3, v19
	v_sub_u32_e32 v14, 29, v14
	v_cndmask_b32_e64 v19, 0, v21, s[12:13]
	v_cndmask_b32_e64 v14, v20, v14, s[12:13]
	v_lshlrev_b64 v[20:21], v19, v[10:11]
	v_lshlrev_b32_e32 v11, 20, v20
	v_lshlrev_b32_e32 v19, 24, v10
	v_bfrev_b32_e32 v20, 60
	v_and_b32_e32 v11, 0x700000, v11
	v_and_b32_e32 v19, 0x80000000, v19
	v_lshl_add_u32 v14, v14, 23, v20
	v_or3_b32 v11, v19, v14, v11
	v_lshrrev_b32_e32 v14, 16, v11
.LBB814_666:
	s_or_b64 exec, exec, s[26:27]
.LBB814_667:
	s_or_b64 exec, exec, s[24:25]
	v_mov_b32_e32 v11, v14
.LBB814_668:
	s_or_b64 exec, exec, s[14:15]
	v_lshrrev_b16_e32 v14, 8, v10
	v_cmp_ne_u16_e64 s[12:13], 0, v14
	v_mov_b32_e32 v20, 0
	v_mov_b32_e32 v19, 0
	s_and_saveexec_b64 s[14:15], s[12:13]
	s_cbranch_execz .LBB814_674
; %bb.669:
	s_movk_i32 s12, 0x80
	v_cmp_ne_u16_e64 s[12:13], s12, v14
	v_mov_b32_e32 v19, 0xffff8000
	s_and_saveexec_b64 s[24:25], s[12:13]
	s_cbranch_execz .LBB814_673
; %bb.670:
	s_movk_i32 s12, 0x7f
	v_and_b32_e32 v21, 0x7f, v14
	v_cmp_ne_u32_e64 s[12:13], s12, v21
	v_mov_b32_e32 v19, 0x7f80
	s_and_saveexec_b64 s[26:27], s[12:13]
	s_cbranch_execz .LBB814_672
; %bb.671:
	v_and_b32_e32 v19, 7, v14
	v_ffbh_u32_e32 v22, v19
	v_min_u32_e32 v25, 32, v22
	v_subrev_u32_e32 v22, 28, v25
	v_lshlrev_b64 v[22:23], v22, v[14:15]
	v_lshrrev_b32_e32 v24, 3, v21
	v_sub_u32_e32 v14, 29, v25
	v_and_b32_e32 v22, 7, v22
	v_cmp_gt_u32_e64 s[12:13], 8, v21
	v_cndmask_b32_e64 v14, v24, v14, s[12:13]
	v_cndmask_b32_e64 v19, v19, v22, s[12:13]
	v_lshlrev_b32_e32 v10, 16, v10
	v_bfrev_b32_e32 v21, 60
	v_lshlrev_b32_e32 v19, 20, v19
	v_and_b32_e32 v10, 0x80000000, v10
	v_lshl_add_u32 v14, v14, 23, v21
	v_or3_b32 v10, v10, v14, v19
	v_lshrrev_b32_e32 v19, 16, v10
.LBB814_672:
	s_or_b64 exec, exec, s[26:27]
.LBB814_673:
	s_or_b64 exec, exec, s[24:25]
.LBB814_674:
	s_or_b64 exec, exec, s[14:15]
	s_movk_i32 s12, 0xff
	v_and_b32_sdwa v14, v13, s12 dst_sel:DWORD dst_unused:UNUSED_PAD src0_sel:WORD_1 src1_sel:DWORD
	v_lshrrev_b32_e32 v10, 16, v13
	v_cmp_ne_u16_e64 s[12:13], 0, v14
	s_and_saveexec_b64 s[14:15], s[12:13]
	s_cbranch_execz .LBB814_680
; %bb.675:
	s_movk_i32 s12, 0x80
	v_cmp_ne_u16_e64 s[12:13], s12, v14
	v_mov_b32_e32 v20, 0xffff8000
	s_and_saveexec_b64 s[24:25], s[12:13]
	s_cbranch_execz .LBB814_679
; %bb.676:
	v_bfe_u32 v14, v13, 16, 7
	s_movk_i32 s12, 0x7f
	v_cmp_ne_u32_e64 s[12:13], s12, v14
	v_mov_b32_e32 v20, 0x7f80
	s_and_saveexec_b64 s[26:27], s[12:13]
	s_cbranch_execz .LBB814_678
; %bb.677:
	v_and_b32_e32 v22, 7, v10
	v_ffbh_u32_e32 v20, v22
	v_min_u32_e32 v24, 32, v20
	v_subrev_u32_e32 v20, 28, v24
	v_lshlrev_b64 v[20:21], v20, v[10:11]
	v_and_b32_e32 v20, 7, v20
	v_cmp_gt_u32_e64 s[12:13], 8, v14
	v_lshrrev_b32_e32 v23, 3, v14
	v_sub_u32_e32 v10, 29, v24
	v_cndmask_b32_e64 v14, v22, v20, s[12:13]
	v_mov_b32_e32 v20, 24
	v_cndmask_b32_e64 v10, v23, v10, s[12:13]
	v_lshlrev_b32_sdwa v20, v20, v13 dst_sel:DWORD dst_unused:UNUSED_PAD src0_sel:DWORD src1_sel:WORD_1
	v_bfrev_b32_e32 v21, 60
	v_lshlrev_b32_e32 v14, 20, v14
	v_and_b32_e32 v20, 0x80000000, v20
	v_lshl_add_u32 v10, v10, 23, v21
	v_or3_b32 v10, v20, v10, v14
	v_lshrrev_b32_e32 v20, 16, v10
.LBB814_678:
	s_or_b64 exec, exec, s[26:27]
.LBB814_679:
	s_or_b64 exec, exec, s[24:25]
.LBB814_680:
	s_or_b64 exec, exec, s[14:15]
	s_mov_b32 s12, -1
	s_mov_b32 s13, 0xffffff
	v_cmp_lt_u64_e64 s[12:13], s[12:13], v[12:13]
	v_mov_b32_e32 v14, 0
	v_mov_b32_e32 v12, 0
	s_and_saveexec_b64 s[14:15], s[12:13]
	s_cbranch_execz .LBB814_686
; %bb.681:
	v_lshrrev_b32_e32 v10, 24, v13
	s_movk_i32 s12, 0x80
	v_cmp_ne_u32_e64 s[12:13], s12, v10
	v_mov_b32_e32 v12, 0xffff8000
	s_and_saveexec_b64 s[24:25], s[12:13]
	s_cbranch_execz .LBB814_685
; %bb.682:
	v_bfe_u32 v13, v13, 24, 7
	s_movk_i32 s12, 0x7f
	v_cmp_ne_u32_e64 s[12:13], s12, v13
	v_mov_b32_e32 v12, 0x7f80
	s_and_saveexec_b64 s[26:27], s[12:13]
	s_cbranch_execz .LBB814_684
; %bb.683:
	v_and_b32_e32 v12, 7, v10
	v_ffbh_u32_e32 v22, v12
	v_min_u32_e32 v24, 32, v22
	v_subrev_u32_e32 v22, 28, v24
	v_lshlrev_b64 v[22:23], v22, v[10:11]
	v_lshrrev_b32_e32 v21, 3, v13
	v_sub_u32_e32 v23, 29, v24
	v_and_b32_e32 v22, 7, v22
	v_cmp_gt_u32_e64 s[12:13], 8, v13
	v_cndmask_b32_e64 v13, v21, v23, s[12:13]
	v_cndmask_b32_e64 v12, v12, v22, s[12:13]
	v_lshlrev_b32_e32 v10, 24, v10
	v_bfrev_b32_e32 v21, 60
	v_lshlrev_b32_e32 v12, 20, v12
	v_and_b32_e32 v10, 0x80000000, v10
	v_lshl_add_u32 v13, v13, 23, v21
	v_or3_b32 v10, v10, v13, v12
	v_lshrrev_b32_e32 v12, 16, v10
.LBB814_684:
	s_or_b64 exec, exec, s[26:27]
.LBB814_685:
	s_or_b64 exec, exec, s[24:25]
.LBB814_686:
	s_or_b64 exec, exec, s[14:15]
	s_mov_b32 s12, 0x5040100
	v_perm_b32 v17, v18, v17, s12
	v_perm_b32 v16, v15, v16, s12
	;; [unrolled: 1-line block ×4, first 2 shown]
	v_mfma_f32_4x4x4bf16_1k a[0:3], v[2:3], v[16:17], a[0:3] cbsz:4 abid:13
	s_waitcnt vmcnt(24)
	v_cmp_ne_u16_sdwa s[12:13], v6, v14 src0_sel:BYTE_0 src1_sel:DWORD
	v_mfma_f32_4x4x4bf16_1k a[0:3], v[4:5], v[12:13], a[0:3] cbsz:4 abid:13
	s_and_saveexec_b64 s[14:15], s[12:13]
	s_cbranch_execz .LBB814_692
; %bb.687:
	s_movk_i32 s12, 0x80
	v_cmp_ne_u16_sdwa s[12:13], v6, s12 src0_sel:BYTE_0 src1_sel:DWORD
	v_mov_b32_e32 v14, 0xffff8000
	s_and_saveexec_b64 s[24:25], s[12:13]
	s_cbranch_execz .LBB814_691
; %bb.688:
	s_movk_i32 s12, 0x7f
	v_and_b32_e32 v10, 0x7f, v6
	v_cmp_ne_u32_e64 s[12:13], s12, v10
	v_mov_b32_e32 v14, 0x7f80
	s_and_saveexec_b64 s[26:27], s[12:13]
	s_cbranch_execz .LBB814_690
; %bb.689:
	v_and_b32_e32 v11, 7, v6
	v_ffbh_u32_e32 v11, v11
	v_min_u32_e32 v11, 32, v11
	v_subrev_u32_e32 v13, 28, v11
	v_cmp_gt_u32_e64 s[12:13], 8, v10
	v_lshrrev_b32_e32 v12, 3, v10
	v_sub_u32_e32 v11, 29, v11
	v_cndmask_b32_e64 v10, 0, v13, s[12:13]
	v_cndmask_b32_e64 v12, v12, v11, s[12:13]
	v_lshlrev_b64 v[10:11], v10, v[6:7]
	v_lshlrev_b32_e32 v10, 20, v10
	v_lshlrev_b32_e32 v11, 24, v6
	v_bfrev_b32_e32 v13, 60
	v_and_b32_e32 v10, 0x700000, v10
	v_and_b32_e32 v11, 0x80000000, v11
	v_lshl_add_u32 v12, v12, 23, v13
	v_or3_b32 v10, v11, v12, v10
	v_lshrrev_b32_e32 v14, 16, v10
.LBB814_690:
	s_or_b64 exec, exec, s[26:27]
.LBB814_691:
	s_or_b64 exec, exec, s[24:25]
.LBB814_692:
	s_or_b64 exec, exec, s[14:15]
	v_lshrrev_b16_e32 v10, 8, v6
	v_cmp_ne_u16_e64 s[12:13], 0, v10
	v_mov_b32_e32 v15, 0
	v_mov_b32_e32 v13, 0
	s_and_saveexec_b64 s[14:15], s[12:13]
	s_cbranch_execz .LBB814_698
; %bb.693:
	s_movk_i32 s12, 0x80
	v_cmp_ne_u16_e64 s[12:13], s12, v10
	v_mov_b32_e32 v13, 0xffff8000
	s_and_saveexec_b64 s[24:25], s[12:13]
	s_cbranch_execz .LBB814_697
; %bb.694:
	s_movk_i32 s12, 0x7f
	v_and_b32_e32 v11, 0x7f, v10
	v_cmp_ne_u32_e64 s[12:13], s12, v11
	v_mov_b32_e32 v13, 0x7f80
	s_and_saveexec_b64 s[26:27], s[12:13]
	s_cbranch_execz .LBB814_696
; %bb.695:
	v_and_b32_e32 v16, 7, v10
	v_ffbh_u32_e32 v12, v16
	v_min_u32_e32 v18, 32, v12
	v_subrev_u32_e32 v12, 28, v18
	v_lshlrev_b64 v[12:13], v12, v[10:11]
	v_lshrrev_b32_e32 v17, 3, v11
	v_sub_u32_e32 v10, 29, v18
	v_and_b32_e32 v12, 7, v12
	v_cmp_gt_u32_e64 s[12:13], 8, v11
	v_cndmask_b32_e64 v10, v17, v10, s[12:13]
	v_cndmask_b32_e64 v11, v16, v12, s[12:13]
	v_lshlrev_b32_e32 v12, 16, v6
	v_bfrev_b32_e32 v13, 60
	v_lshlrev_b32_e32 v11, 20, v11
	v_and_b32_e32 v12, 0x80000000, v12
	v_lshl_add_u32 v10, v10, 23, v13
	v_or3_b32 v10, v12, v10, v11
	v_lshrrev_b32_e32 v13, 16, v10
.LBB814_696:
	s_or_b64 exec, exec, s[26:27]
.LBB814_697:
	s_or_b64 exec, exec, s[24:25]
.LBB814_698:
	s_or_b64 exec, exec, s[14:15]
	s_movk_i32 s12, 0xff
	v_and_b32_sdwa v11, v6, s12 dst_sel:DWORD dst_unused:UNUSED_PAD src0_sel:WORD_1 src1_sel:DWORD
	v_lshrrev_b32_e32 v10, 16, v6
	v_cmp_ne_u16_e64 s[12:13], 0, v11
	s_and_saveexec_b64 s[14:15], s[12:13]
	s_cbranch_execz .LBB814_704
; %bb.699:
	s_movk_i32 s12, 0x80
	v_cmp_ne_u16_e64 s[12:13], s12, v11
	v_mov_b32_e32 v15, 0xffff8000
	s_and_saveexec_b64 s[24:25], s[12:13]
	s_cbranch_execz .LBB814_703
; %bb.700:
	v_bfe_u32 v11, v6, 16, 7
	s_movk_i32 s12, 0x7f
	v_cmp_ne_u32_e64 s[12:13], s12, v11
	v_mov_b32_e32 v15, 0x7f80
	s_and_saveexec_b64 s[26:27], s[12:13]
	s_cbranch_execz .LBB814_702
; %bb.701:
	v_and_b32_e32 v12, 7, v10
	v_ffbh_u32_e32 v16, v12
	v_min_u32_e32 v18, 32, v16
	v_subrev_u32_e32 v16, 28, v18
	v_lshlrev_b64 v[16:17], v16, v[10:11]
	v_and_b32_e32 v16, 7, v16
	v_cmp_gt_u32_e64 s[12:13], 8, v11
	v_lshrrev_b32_e32 v15, 3, v11
	v_sub_u32_e32 v10, 29, v18
	v_cndmask_b32_e64 v11, v12, v16, s[12:13]
	v_mov_b32_e32 v12, 24
	v_cndmask_b32_e64 v10, v15, v10, s[12:13]
	v_lshlrev_b32_sdwa v12, v12, v6 dst_sel:DWORD dst_unused:UNUSED_PAD src0_sel:DWORD src1_sel:WORD_1
	v_bfrev_b32_e32 v15, 60
	v_lshlrev_b32_e32 v11, 20, v11
	v_and_b32_e32 v12, 0x80000000, v12
	v_lshl_add_u32 v10, v10, 23, v15
	v_or3_b32 v10, v12, v10, v11
	v_lshrrev_b32_e32 v15, 16, v10
.LBB814_702:
	s_or_b64 exec, exec, s[26:27]
.LBB814_703:
	s_or_b64 exec, exec, s[24:25]
.LBB814_704:
	s_or_b64 exec, exec, s[14:15]
	s_mov_b32 s12, 0xffffff
	v_cmp_lt_u32_e64 s[12:13], s12, v6
	v_mov_b32_e32 v11, 0
	v_mov_b32_e32 v16, 0
	s_and_saveexec_b64 s[14:15], s[12:13]
	s_cbranch_execz .LBB814_710
; %bb.705:
	v_lshrrev_b32_e32 v10, 24, v6
	s_movk_i32 s12, 0x80
	v_cmp_ne_u32_e64 s[12:13], s12, v10
	v_mov_b32_e32 v16, 0xffff8000
	s_and_saveexec_b64 s[24:25], s[12:13]
	s_cbranch_execz .LBB814_709
; %bb.706:
	v_bfe_u32 v12, v6, 24, 7
	s_movk_i32 s12, 0x7f
	v_cmp_ne_u32_e64 s[12:13], s12, v12
	v_mov_b32_e32 v16, 0x7f80
	s_and_saveexec_b64 s[26:27], s[12:13]
	s_cbranch_execz .LBB814_708
; %bb.707:
	v_and_b32_e32 v18, 7, v10
	v_ffbh_u32_e32 v16, v18
	v_min_u32_e32 v20, 32, v16
	v_subrev_u32_e32 v16, 28, v20
	v_lshlrev_b64 v[16:17], v16, v[10:11]
	v_lshrrev_b32_e32 v19, 3, v12
	v_sub_u32_e32 v17, 29, v20
	v_and_b32_e32 v16, 7, v16
	v_cmp_gt_u32_e64 s[12:13], 8, v12
	v_cndmask_b32_e64 v12, v19, v17, s[12:13]
	v_cndmask_b32_e64 v16, v18, v16, s[12:13]
	v_lshlrev_b32_e32 v10, 24, v10
	v_bfrev_b32_e32 v17, 60
	v_lshlrev_b32_e32 v16, 20, v16
	v_and_b32_e32 v10, 0x80000000, v10
	v_lshl_add_u32 v12, v12, 23, v17
	v_or3_b32 v10, v10, v12, v16
	v_lshrrev_b32_e32 v16, 16, v10
.LBB814_708:
	s_or_b64 exec, exec, s[26:27]
.LBB814_709:
	s_or_b64 exec, exec, s[24:25]
.LBB814_710:
	s_or_b64 exec, exec, s[14:15]
	v_mov_b32_e32 v10, v7
	v_cmp_ne_u16_sdwa s[12:13], v7, v11 src0_sel:BYTE_0 src1_sel:DWORD
	s_and_saveexec_b64 s[14:15], s[12:13]
	s_cbranch_execz .LBB814_716
; %bb.711:
	s_movk_i32 s12, 0x80
	v_cmp_ne_u16_sdwa s[12:13], v7, s12 src0_sel:BYTE_0 src1_sel:DWORD
	v_mov_b32_e32 v12, 0xffff8000
	s_and_saveexec_b64 s[24:25], s[12:13]
	s_cbranch_execz .LBB814_715
; %bb.712:
	s_movk_i32 s12, 0x7f
	v_and_b32_e32 v17, 0x7f, v7
	v_cmp_ne_u32_e64 s[12:13], s12, v17
	v_mov_b32_e32 v12, 0x7f80
	s_and_saveexec_b64 s[26:27], s[12:13]
	s_cbranch_execz .LBB814_714
; %bb.713:
	v_and_b32_e32 v12, 7, v7
	v_ffbh_u32_e32 v12, v12
	v_min_u32_e32 v12, 32, v12
	v_subrev_u32_e32 v19, 28, v12
	v_cmp_gt_u32_e64 s[12:13], 8, v17
	v_lshrrev_b32_e32 v18, 3, v17
	v_sub_u32_e32 v12, 29, v12
	v_cndmask_b32_e64 v17, 0, v19, s[12:13]
	v_cndmask_b32_e64 v12, v18, v12, s[12:13]
	v_lshlrev_b64 v[18:19], v17, v[10:11]
	v_lshlrev_b32_e32 v11, 20, v18
	v_lshlrev_b32_e32 v17, 24, v10
	v_bfrev_b32_e32 v18, 60
	v_and_b32_e32 v11, 0x700000, v11
	v_and_b32_e32 v17, 0x80000000, v17
	v_lshl_add_u32 v12, v12, 23, v18
	v_or3_b32 v11, v17, v12, v11
	v_lshrrev_b32_e32 v12, 16, v11
.LBB814_714:
	s_or_b64 exec, exec, s[26:27]
.LBB814_715:
	s_or_b64 exec, exec, s[24:25]
	v_mov_b32_e32 v11, v12
.LBB814_716:
	s_or_b64 exec, exec, s[14:15]
	v_lshrrev_b16_e32 v12, 8, v10
	v_cmp_ne_u16_e64 s[12:13], 0, v12
	v_mov_b32_e32 v18, 0
	v_mov_b32_e32 v17, 0
	s_and_saveexec_b64 s[14:15], s[12:13]
	s_cbranch_execz .LBB814_722
; %bb.717:
	s_movk_i32 s12, 0x80
	v_cmp_ne_u16_e64 s[12:13], s12, v12
	v_mov_b32_e32 v17, 0xffff8000
	s_and_saveexec_b64 s[24:25], s[12:13]
	s_cbranch_execz .LBB814_721
; %bb.718:
	s_movk_i32 s12, 0x7f
	v_and_b32_e32 v19, 0x7f, v12
	v_cmp_ne_u32_e64 s[12:13], s12, v19
	v_mov_b32_e32 v17, 0x7f80
	s_and_saveexec_b64 s[26:27], s[12:13]
	s_cbranch_execz .LBB814_720
; %bb.719:
	v_and_b32_e32 v17, 7, v12
	v_ffbh_u32_e32 v20, v17
	v_min_u32_e32 v23, 32, v20
	v_subrev_u32_e32 v20, 28, v23
	v_lshlrev_b64 v[20:21], v20, v[12:13]
	v_lshrrev_b32_e32 v22, 3, v19
	v_sub_u32_e32 v12, 29, v23
	v_and_b32_e32 v20, 7, v20
	v_cmp_gt_u32_e64 s[12:13], 8, v19
	v_cndmask_b32_e64 v12, v22, v12, s[12:13]
	v_cndmask_b32_e64 v17, v17, v20, s[12:13]
	v_lshlrev_b32_e32 v10, 16, v10
	v_bfrev_b32_e32 v19, 60
	v_lshlrev_b32_e32 v17, 20, v17
	v_and_b32_e32 v10, 0x80000000, v10
	v_lshl_add_u32 v12, v12, 23, v19
	v_or3_b32 v10, v10, v12, v17
	v_lshrrev_b32_e32 v17, 16, v10
.LBB814_720:
	s_or_b64 exec, exec, s[26:27]
.LBB814_721:
	s_or_b64 exec, exec, s[24:25]
.LBB814_722:
	s_or_b64 exec, exec, s[14:15]
	s_movk_i32 s12, 0xff
	v_and_b32_sdwa v12, v7, s12 dst_sel:DWORD dst_unused:UNUSED_PAD src0_sel:WORD_1 src1_sel:DWORD
	v_lshrrev_b32_e32 v10, 16, v7
	v_cmp_ne_u16_e64 s[12:13], 0, v12
	s_and_saveexec_b64 s[14:15], s[12:13]
	s_cbranch_execz .LBB814_728
; %bb.723:
	s_movk_i32 s12, 0x80
	v_cmp_ne_u16_e64 s[12:13], s12, v12
	v_mov_b32_e32 v18, 0xffff8000
	s_and_saveexec_b64 s[24:25], s[12:13]
	s_cbranch_execz .LBB814_727
; %bb.724:
	v_bfe_u32 v12, v7, 16, 7
	s_movk_i32 s12, 0x7f
	v_cmp_ne_u32_e64 s[12:13], s12, v12
	v_mov_b32_e32 v18, 0x7f80
	s_and_saveexec_b64 s[26:27], s[12:13]
	s_cbranch_execz .LBB814_726
; %bb.725:
	v_and_b32_e32 v20, 7, v10
	v_ffbh_u32_e32 v18, v20
	v_min_u32_e32 v22, 32, v18
	v_subrev_u32_e32 v18, 28, v22
	v_lshlrev_b64 v[18:19], v18, v[10:11]
	v_and_b32_e32 v18, 7, v18
	v_cmp_gt_u32_e64 s[12:13], 8, v12
	v_lshrrev_b32_e32 v21, 3, v12
	v_sub_u32_e32 v10, 29, v22
	v_cndmask_b32_e64 v12, v20, v18, s[12:13]
	v_mov_b32_e32 v18, 24
	v_cndmask_b32_e64 v10, v21, v10, s[12:13]
	v_lshlrev_b32_sdwa v18, v18, v7 dst_sel:DWORD dst_unused:UNUSED_PAD src0_sel:DWORD src1_sel:WORD_1
	v_bfrev_b32_e32 v19, 60
	v_lshlrev_b32_e32 v12, 20, v12
	v_and_b32_e32 v18, 0x80000000, v18
	v_lshl_add_u32 v10, v10, 23, v19
	v_or3_b32 v10, v18, v10, v12
	v_lshrrev_b32_e32 v18, 16, v10
.LBB814_726:
	s_or_b64 exec, exec, s[26:27]
.LBB814_727:
	s_or_b64 exec, exec, s[24:25]
.LBB814_728:
	s_or_b64 exec, exec, s[14:15]
	s_mov_b32 s12, -1
	s_mov_b32 s13, 0xffffff
	v_cmp_lt_u64_e64 s[12:13], s[12:13], v[6:7]
	v_mov_b32_e32 v12, 0
	v_mov_b32_e32 v10, 0
	s_and_saveexec_b64 s[14:15], s[12:13]
	s_cbranch_execz .LBB814_734
; %bb.729:
	v_lshrrev_b32_e32 v6, 24, v7
	s_movk_i32 s12, 0x80
	v_cmp_ne_u32_e64 s[12:13], s12, v6
	v_mov_b32_e32 v10, 0xffff8000
	s_and_saveexec_b64 s[24:25], s[12:13]
	s_cbranch_execz .LBB814_733
; %bb.730:
	v_bfe_u32 v7, v7, 24, 7
	s_movk_i32 s12, 0x7f
	v_cmp_ne_u32_e64 s[12:13], s12, v7
	v_mov_b32_e32 v10, 0x7f80
	s_and_saveexec_b64 s[26:27], s[12:13]
	s_cbranch_execz .LBB814_732
; %bb.731:
	v_and_b32_e32 v10, 7, v6
	v_ffbh_u32_e32 v20, v10
	v_min_u32_e32 v22, 32, v20
	v_subrev_u32_e32 v20, 28, v22
	v_lshlrev_b64 v[20:21], v20, v[6:7]
	v_lshrrev_b32_e32 v19, 3, v7
	v_sub_u32_e32 v21, 29, v22
	v_and_b32_e32 v20, 7, v20
	v_cmp_gt_u32_e64 s[12:13], 8, v7
	v_cndmask_b32_e64 v7, v19, v21, s[12:13]
	v_cndmask_b32_e64 v10, v10, v20, s[12:13]
	v_lshlrev_b32_e32 v6, 24, v6
	v_bfrev_b32_e32 v19, 60
	v_lshlrev_b32_e32 v10, 20, v10
	v_and_b32_e32 v6, 0x80000000, v6
	v_lshl_add_u32 v7, v7, 23, v19
	v_or3_b32 v6, v6, v7, v10
	v_lshrrev_b32_e32 v10, 16, v6
.LBB814_732:
	s_or_b64 exec, exec, s[26:27]
.LBB814_733:
	s_or_b64 exec, exec, s[24:25]
.LBB814_734:
	s_or_b64 exec, exec, s[14:15]
	s_mov_b32 s12, 0x5040100
	v_perm_b32 v7, v16, v15, s12
	v_perm_b32 v6, v13, v14, s12
	;; [unrolled: 1-line block ×4, first 2 shown]
	v_mfma_f32_4x4x4bf16_1k a[0:3], v[2:3], v[6:7], a[0:3] cbsz:4 abid:14
	v_cmp_ne_u16_sdwa s[12:13], v8, v12 src0_sel:BYTE_0 src1_sel:DWORD
	v_mfma_f32_4x4x4bf16_1k a[0:3], v[4:5], v[14:15], a[0:3] cbsz:4 abid:14
	s_and_saveexec_b64 s[14:15], s[12:13]
	s_cbranch_execz .LBB814_740
; %bb.735:
	s_movk_i32 s12, 0x80
	v_cmp_ne_u16_sdwa s[12:13], v8, s12 src0_sel:BYTE_0 src1_sel:DWORD
	v_mov_b32_e32 v12, 0xffff8000
	s_and_saveexec_b64 s[24:25], s[12:13]
	s_cbranch_execz .LBB814_739
; %bb.736:
	s_movk_i32 s12, 0x7f
	v_and_b32_e32 v6, 0x7f, v8
	v_cmp_ne_u32_e64 s[12:13], s12, v6
	v_mov_b32_e32 v12, 0x7f80
	s_and_saveexec_b64 s[26:27], s[12:13]
	s_cbranch_execz .LBB814_738
; %bb.737:
	v_and_b32_e32 v7, 7, v8
	v_ffbh_u32_e32 v7, v7
	v_min_u32_e32 v7, 32, v7
	v_subrev_u32_e32 v11, 28, v7
	v_cmp_gt_u32_e64 s[12:13], 8, v6
	v_lshrrev_b32_e32 v10, 3, v6
	v_sub_u32_e32 v7, 29, v7
	v_cndmask_b32_e64 v6, 0, v11, s[12:13]
	v_cndmask_b32_e64 v10, v10, v7, s[12:13]
	v_lshlrev_b64 v[6:7], v6, v[8:9]
	v_lshlrev_b32_e32 v6, 20, v6
	v_lshlrev_b32_e32 v7, 24, v8
	v_bfrev_b32_e32 v11, 60
	v_and_b32_e32 v6, 0x700000, v6
	v_and_b32_e32 v7, 0x80000000, v7
	v_lshl_add_u32 v10, v10, 23, v11
	v_or3_b32 v6, v7, v10, v6
	v_lshrrev_b32_e32 v12, 16, v6
.LBB814_738:
	s_or_b64 exec, exec, s[26:27]
.LBB814_739:
	s_or_b64 exec, exec, s[24:25]
.LBB814_740:
	s_or_b64 exec, exec, s[14:15]
	v_lshrrev_b16_e32 v6, 8, v8
	v_cmp_ne_u16_e64 s[12:13], 0, v6
	v_mov_b32_e32 v13, 0
	v_mov_b32_e32 v11, 0
	s_and_saveexec_b64 s[14:15], s[12:13]
	s_cbranch_execz .LBB814_746
; %bb.741:
	s_movk_i32 s12, 0x80
	v_cmp_ne_u16_e64 s[12:13], s12, v6
	v_mov_b32_e32 v11, 0xffff8000
	s_and_saveexec_b64 s[24:25], s[12:13]
	s_cbranch_execz .LBB814_745
; %bb.742:
	s_movk_i32 s12, 0x7f
	v_and_b32_e32 v7, 0x7f, v6
	v_cmp_ne_u32_e64 s[12:13], s12, v7
	v_mov_b32_e32 v11, 0x7f80
	s_and_saveexec_b64 s[26:27], s[12:13]
	s_cbranch_execz .LBB814_744
; %bb.743:
	v_and_b32_e32 v14, 7, v6
	v_ffbh_u32_e32 v10, v14
	v_min_u32_e32 v16, 32, v10
	v_subrev_u32_e32 v10, 28, v16
	v_lshlrev_b64 v[10:11], v10, v[6:7]
	v_lshrrev_b32_e32 v15, 3, v7
	v_sub_u32_e32 v6, 29, v16
	v_and_b32_e32 v10, 7, v10
	v_cmp_gt_u32_e64 s[12:13], 8, v7
	v_cndmask_b32_e64 v6, v15, v6, s[12:13]
	v_cndmask_b32_e64 v7, v14, v10, s[12:13]
	v_lshlrev_b32_e32 v10, 16, v8
	v_bfrev_b32_e32 v11, 60
	v_lshlrev_b32_e32 v7, 20, v7
	v_and_b32_e32 v10, 0x80000000, v10
	v_lshl_add_u32 v6, v6, 23, v11
	v_or3_b32 v6, v10, v6, v7
	v_lshrrev_b32_e32 v11, 16, v6
.LBB814_744:
	s_or_b64 exec, exec, s[26:27]
.LBB814_745:
	s_or_b64 exec, exec, s[24:25]
.LBB814_746:
	s_or_b64 exec, exec, s[14:15]
	s_movk_i32 s12, 0xff
	v_and_b32_sdwa v7, v8, s12 dst_sel:DWORD dst_unused:UNUSED_PAD src0_sel:WORD_1 src1_sel:DWORD
	v_lshrrev_b32_e32 v6, 16, v8
	v_cmp_ne_u16_e64 s[12:13], 0, v7
	s_and_saveexec_b64 s[14:15], s[12:13]
	s_cbranch_execz .LBB814_752
; %bb.747:
	s_movk_i32 s12, 0x80
	v_cmp_ne_u16_e64 s[12:13], s12, v7
	v_mov_b32_e32 v13, 0xffff8000
	s_and_saveexec_b64 s[24:25], s[12:13]
	s_cbranch_execz .LBB814_751
; %bb.748:
	v_bfe_u32 v7, v8, 16, 7
	s_movk_i32 s12, 0x7f
	v_cmp_ne_u32_e64 s[12:13], s12, v7
	v_mov_b32_e32 v13, 0x7f80
	s_and_saveexec_b64 s[26:27], s[12:13]
	s_cbranch_execz .LBB814_750
; %bb.749:
	v_and_b32_e32 v10, 7, v6
	v_ffbh_u32_e32 v14, v10
	v_min_u32_e32 v16, 32, v14
	v_subrev_u32_e32 v14, 28, v16
	v_lshlrev_b64 v[14:15], v14, v[6:7]
	v_and_b32_e32 v14, 7, v14
	v_cmp_gt_u32_e64 s[12:13], 8, v7
	v_lshrrev_b32_e32 v13, 3, v7
	v_sub_u32_e32 v6, 29, v16
	v_cndmask_b32_e64 v7, v10, v14, s[12:13]
	v_mov_b32_e32 v10, 24
	v_cndmask_b32_e64 v6, v13, v6, s[12:13]
	v_lshlrev_b32_sdwa v10, v10, v8 dst_sel:DWORD dst_unused:UNUSED_PAD src0_sel:DWORD src1_sel:WORD_1
	v_bfrev_b32_e32 v13, 60
	v_lshlrev_b32_e32 v7, 20, v7
	v_and_b32_e32 v10, 0x80000000, v10
	v_lshl_add_u32 v6, v6, 23, v13
	v_or3_b32 v6, v10, v6, v7
	v_lshrrev_b32_e32 v13, 16, v6
.LBB814_750:
	s_or_b64 exec, exec, s[26:27]
.LBB814_751:
	s_or_b64 exec, exec, s[24:25]
.LBB814_752:
	s_or_b64 exec, exec, s[14:15]
	s_mov_b32 s12, 0xffffff
	v_cmp_lt_u32_e64 s[12:13], s12, v8
	v_mov_b32_e32 v7, 0
	v_mov_b32_e32 v14, 0
	s_and_saveexec_b64 s[14:15], s[12:13]
	s_cbranch_execz .LBB814_758
; %bb.753:
	v_lshrrev_b32_e32 v6, 24, v8
	s_movk_i32 s12, 0x80
	v_cmp_ne_u32_e64 s[12:13], s12, v6
	v_mov_b32_e32 v14, 0xffff8000
	s_and_saveexec_b64 s[24:25], s[12:13]
	s_cbranch_execz .LBB814_757
; %bb.754:
	v_bfe_u32 v10, v8, 24, 7
	s_movk_i32 s12, 0x7f
	v_cmp_ne_u32_e64 s[12:13], s12, v10
	v_mov_b32_e32 v14, 0x7f80
	s_and_saveexec_b64 s[26:27], s[12:13]
	s_cbranch_execz .LBB814_756
; %bb.755:
	v_and_b32_e32 v16, 7, v6
	v_ffbh_u32_e32 v14, v16
	v_min_u32_e32 v18, 32, v14
	v_subrev_u32_e32 v14, 28, v18
	v_lshlrev_b64 v[14:15], v14, v[6:7]
	v_lshrrev_b32_e32 v17, 3, v10
	v_sub_u32_e32 v15, 29, v18
	v_and_b32_e32 v14, 7, v14
	v_cmp_gt_u32_e64 s[12:13], 8, v10
	v_cndmask_b32_e64 v10, v17, v15, s[12:13]
	v_cndmask_b32_e64 v14, v16, v14, s[12:13]
	v_lshlrev_b32_e32 v6, 24, v6
	v_bfrev_b32_e32 v15, 60
	v_lshlrev_b32_e32 v14, 20, v14
	v_and_b32_e32 v6, 0x80000000, v6
	v_lshl_add_u32 v10, v10, 23, v15
	v_or3_b32 v6, v6, v10, v14
	v_lshrrev_b32_e32 v14, 16, v6
.LBB814_756:
	s_or_b64 exec, exec, s[26:27]
.LBB814_757:
	s_or_b64 exec, exec, s[24:25]
.LBB814_758:
	s_or_b64 exec, exec, s[14:15]
	v_mov_b32_e32 v6, v9
	v_cmp_ne_u16_sdwa s[12:13], v9, v7 src0_sel:BYTE_0 src1_sel:DWORD
	s_and_saveexec_b64 s[14:15], s[12:13]
	s_cbranch_execz .LBB814_764
; %bb.759:
	s_movk_i32 s12, 0x80
	v_cmp_ne_u16_sdwa s[12:13], v9, s12 src0_sel:BYTE_0 src1_sel:DWORD
	v_mov_b32_e32 v10, 0xffff8000
	s_and_saveexec_b64 s[24:25], s[12:13]
	s_cbranch_execz .LBB814_763
; %bb.760:
	s_movk_i32 s12, 0x7f
	v_and_b32_e32 v15, 0x7f, v9
	v_cmp_ne_u32_e64 s[12:13], s12, v15
	v_mov_b32_e32 v10, 0x7f80
	s_and_saveexec_b64 s[26:27], s[12:13]
	s_cbranch_execz .LBB814_762
; %bb.761:
	v_and_b32_e32 v10, 7, v9
	v_ffbh_u32_e32 v10, v10
	v_min_u32_e32 v10, 32, v10
	v_subrev_u32_e32 v17, 28, v10
	v_cmp_gt_u32_e64 s[12:13], 8, v15
	v_lshrrev_b32_e32 v16, 3, v15
	v_sub_u32_e32 v10, 29, v10
	v_cndmask_b32_e64 v15, 0, v17, s[12:13]
	v_cndmask_b32_e64 v10, v16, v10, s[12:13]
	v_lshlrev_b64 v[16:17], v15, v[6:7]
	v_lshlrev_b32_e32 v7, 20, v16
	v_lshlrev_b32_e32 v15, 24, v6
	v_bfrev_b32_e32 v16, 60
	v_and_b32_e32 v7, 0x700000, v7
	v_and_b32_e32 v15, 0x80000000, v15
	v_lshl_add_u32 v10, v10, 23, v16
	v_or3_b32 v7, v15, v10, v7
	v_lshrrev_b32_e32 v10, 16, v7
.LBB814_762:
	s_or_b64 exec, exec, s[26:27]
.LBB814_763:
	s_or_b64 exec, exec, s[24:25]
	v_mov_b32_e32 v7, v10
.LBB814_764:
	s_or_b64 exec, exec, s[14:15]
	v_lshrrev_b16_e32 v10, 8, v6
	v_cmp_ne_u16_e64 s[12:13], 0, v10
	v_mov_b32_e32 v16, 0
	v_mov_b32_e32 v15, 0
	s_and_saveexec_b64 s[14:15], s[12:13]
	s_cbranch_execz .LBB814_770
; %bb.765:
	s_movk_i32 s12, 0x80
	v_cmp_ne_u16_e64 s[12:13], s12, v10
	v_mov_b32_e32 v15, 0xffff8000
	s_and_saveexec_b64 s[24:25], s[12:13]
	s_cbranch_execz .LBB814_769
; %bb.766:
	s_movk_i32 s12, 0x7f
	v_and_b32_e32 v17, 0x7f, v10
	v_cmp_ne_u32_e64 s[12:13], s12, v17
	v_mov_b32_e32 v15, 0x7f80
	s_and_saveexec_b64 s[26:27], s[12:13]
	s_cbranch_execz .LBB814_768
; %bb.767:
	v_and_b32_e32 v15, 7, v10
	v_ffbh_u32_e32 v18, v15
	v_min_u32_e32 v21, 32, v18
	v_subrev_u32_e32 v18, 28, v21
	v_lshlrev_b64 v[18:19], v18, v[10:11]
	v_lshrrev_b32_e32 v20, 3, v17
	v_sub_u32_e32 v10, 29, v21
	v_and_b32_e32 v18, 7, v18
	v_cmp_gt_u32_e64 s[12:13], 8, v17
	v_cndmask_b32_e64 v10, v20, v10, s[12:13]
	v_cndmask_b32_e64 v15, v15, v18, s[12:13]
	v_lshlrev_b32_e32 v6, 16, v6
	v_bfrev_b32_e32 v17, 60
	v_lshlrev_b32_e32 v15, 20, v15
	v_and_b32_e32 v6, 0x80000000, v6
	v_lshl_add_u32 v10, v10, 23, v17
	v_or3_b32 v6, v6, v10, v15
	v_lshrrev_b32_e32 v15, 16, v6
.LBB814_768:
	s_or_b64 exec, exec, s[26:27]
.LBB814_769:
	s_or_b64 exec, exec, s[24:25]
.LBB814_770:
	s_or_b64 exec, exec, s[14:15]
	s_movk_i32 s12, 0xff
	v_and_b32_sdwa v10, v9, s12 dst_sel:DWORD dst_unused:UNUSED_PAD src0_sel:WORD_1 src1_sel:DWORD
	v_lshrrev_b32_e32 v6, 16, v9
	v_cmp_ne_u16_e64 s[12:13], 0, v10
	s_and_saveexec_b64 s[14:15], s[12:13]
	s_cbranch_execz .LBB814_776
; %bb.771:
	s_movk_i32 s12, 0x80
	v_cmp_ne_u16_e64 s[12:13], s12, v10
	v_mov_b32_e32 v16, 0xffff8000
	s_and_saveexec_b64 s[24:25], s[12:13]
	s_cbranch_execz .LBB814_775
; %bb.772:
	v_bfe_u32 v10, v9, 16, 7
	s_movk_i32 s12, 0x7f
	v_cmp_ne_u32_e64 s[12:13], s12, v10
	v_mov_b32_e32 v16, 0x7f80
	s_and_saveexec_b64 s[26:27], s[12:13]
	s_cbranch_execz .LBB814_774
; %bb.773:
	v_and_b32_e32 v18, 7, v6
	v_ffbh_u32_e32 v16, v18
	v_min_u32_e32 v20, 32, v16
	v_subrev_u32_e32 v16, 28, v20
	v_lshlrev_b64 v[16:17], v16, v[6:7]
	v_and_b32_e32 v16, 7, v16
	v_cmp_gt_u32_e64 s[12:13], 8, v10
	v_lshrrev_b32_e32 v19, 3, v10
	v_sub_u32_e32 v6, 29, v20
	v_cndmask_b32_e64 v10, v18, v16, s[12:13]
	v_mov_b32_e32 v16, 24
	v_cndmask_b32_e64 v6, v19, v6, s[12:13]
	v_lshlrev_b32_sdwa v16, v16, v9 dst_sel:DWORD dst_unused:UNUSED_PAD src0_sel:DWORD src1_sel:WORD_1
	v_bfrev_b32_e32 v17, 60
	v_lshlrev_b32_e32 v10, 20, v10
	v_and_b32_e32 v16, 0x80000000, v16
	v_lshl_add_u32 v6, v6, 23, v17
	v_or3_b32 v6, v16, v6, v10
	v_lshrrev_b32_e32 v16, 16, v6
.LBB814_774:
	s_or_b64 exec, exec, s[26:27]
.LBB814_775:
	s_or_b64 exec, exec, s[24:25]
.LBB814_776:
	s_or_b64 exec, exec, s[14:15]
	s_mov_b32 s12, -1
	s_mov_b32 s13, 0xffffff
	v_cmp_lt_u64_e64 s[12:13], s[12:13], v[8:9]
	v_mov_b32_e32 v8, 0
	s_and_saveexec_b64 s[14:15], s[12:13]
	s_cbranch_execz .LBB814_782
; %bb.777:
	v_lshrrev_b32_e32 v6, 24, v9
	s_movk_i32 s12, 0x80
	v_cmp_ne_u32_e64 s[12:13], s12, v6
	v_mov_b32_e32 v8, 0xffff8000
	s_and_saveexec_b64 s[24:25], s[12:13]
	s_cbranch_execz .LBB814_781
; %bb.778:
	v_bfe_u32 v9, v9, 24, 7
	s_movk_i32 s12, 0x7f
	v_cmp_ne_u32_e64 s[12:13], s12, v9
	v_mov_b32_e32 v8, 0x7f80
	s_and_saveexec_b64 s[26:27], s[12:13]
	s_cbranch_execz .LBB814_780
; %bb.779:
	v_and_b32_e32 v8, 7, v6
	v_ffbh_u32_e32 v17, v8
	v_min_u32_e32 v17, 32, v17
	v_subrev_u32_e32 v18, 28, v17
	v_lshlrev_b64 v[18:19], v18, v[6:7]
	v_lshrrev_b32_e32 v10, 3, v9
	v_sub_u32_e32 v17, 29, v17
	v_and_b32_e32 v18, 7, v18
	v_cmp_gt_u32_e64 s[12:13], 8, v9
	v_cndmask_b32_e64 v9, v10, v17, s[12:13]
	v_cndmask_b32_e64 v8, v8, v18, s[12:13]
	v_lshlrev_b32_e32 v6, 24, v6
	v_bfrev_b32_e32 v10, 60
	v_lshlrev_b32_e32 v8, 20, v8
	v_and_b32_e32 v6, 0x80000000, v6
	v_lshl_add_u32 v9, v9, 23, v10
	v_or3_b32 v6, v6, v9, v8
	v_lshrrev_b32_e32 v8, 16, v6
.LBB814_780:
	s_or_b64 exec, exec, s[26:27]
.LBB814_781:
	s_or_b64 exec, exec, s[24:25]
.LBB814_782:
	s_or_b64 exec, exec, s[14:15]
	s_load_dword s4, s[4:5], 0x1c
	s_mov_b32 s5, 0x5040100
	v_perm_b32 v13, v14, v13, s5
	v_perm_b32 v12, v11, v12, s5
	s_load_dword s12, s[16:17], 0x0
	v_perm_b32 v9, v8, v16, s5
	v_mfma_f32_4x4x4bf16_1k a[0:3], v[2:3], v[12:13], a[0:3] cbsz:4 abid:15
	v_perm_b32 v8, v15, v7, s5
	s_waitcnt lgkmcnt(0)
	v_mov_b32_e32 v2, s4
	v_mul_f32_e32 v2, s12, v2
	v_mfma_f32_4x4x4bf16_1k a[0:3], v[4:5], v[8:9], a[0:3] cbsz:4 abid:15
	s_nop 4
	v_accvgpr_read_b32 v5, a1
	v_accvgpr_read_b32 v4, a0
	v_pk_mul_f32 v[4:5], v[4:5], v[2:3] op_sel_hi:[1,0]
	v_accvgpr_read_b32 v7, a3
	v_accvgpr_read_b32 v6, a2
	v_pk_mul_f32 v[2:3], v[6:7], v[2:3] op_sel_hi:[1,0]
	v_cndmask_b32_e64 v6, 0, 1.0, vcc
	v_cmp_eq_u32_e32 vcc, 1, v43
	s_nop 0
	v_mfma_f32_4x4x1f32 a[0:3], v4, v6, 0
	v_cndmask_b32_e64 v4, 0, 1.0, vcc
	v_cmp_eq_u32_e32 vcc, 2, v43
	v_mov_b32_e32 v6, 0xff7fffff
	v_mfma_f32_4x4x1f32 a[0:3], v5, v4, a[0:3]
	v_cndmask_b32_e64 v4, 0, 1.0, vcc
	v_cmp_eq_u32_e32 vcc, 3, v43
	s_nop 0
	v_mfma_f32_4x4x1f32 a[0:3], v2, v4, a[0:3]
	v_cndmask_b32_e64 v2, 0, 1.0, vcc
	s_nop 1
	v_mfma_f32_4x4x1f32 a[0:3], v3, v2, a[0:3]
	v_and_b32_e32 v2, -4, v44
	v_cmp_gt_i32_e32 vcc, s9, v2
	v_lshlrev_b32_e32 v3, 2, v0
	v_and_or_b32 v3, v3, 48, v43
	v_lshlrev_b32_e32 v10, 2, v3
	v_accvgpr_read_b32 v4, a0
	v_max_f32_e32 v5, v4, v4
	v_max_f32_e32 v5, 0xff7fffff, v5
	v_accvgpr_read_b32 v7, a1
	v_cndmask_b32_e32 v5, v6, v5, vcc
	v_or_b32_e32 v6, 1, v2
	v_max_f32_e32 v8, v7, v7
	v_max_f32_e32 v8, v5, v8
	v_cmp_gt_i32_e64 s[4:5], s9, v6
	v_cndmask_b32_e64 v5, v5, v8, s[4:5]
	v_accvgpr_read_b32 v8, a2
	v_or_b32_e32 v2, 2, v2
	v_max_f32_e32 v6, v8, v8
	v_max_f32_e32 v6, v5, v6
	v_cmp_gt_i32_e64 s[12:13], s9, v2
	v_accvgpr_read_b32 v9, a3
	v_cndmask_b32_e64 v2, v5, v6, s[12:13]
	v_or_b32_e32 v5, 3, v44
	v_max_f32_e32 v6, v9, v9
	v_max_f32_e32 v6, v2, v6
	v_cmp_gt_i32_e64 s[14:15], s9, v5
	v_cndmask_b32_e64 v2, v2, v6, s[14:15]
	;;#ASMSTART
	v_nop
 v_nop
 v_max_f32_dpp v2, v2, v2 row_ror:4
	;;#ASMEND
	;;#ASMSTART
	v_nop
 v_nop
 v_max_f32_dpp v2, v2, v2 row_ror:8
	;;#ASMEND
	ds_bpermute_b32 v2, v10, v2
	s_waitcnt lgkmcnt(0)
	;;#ASMSTART
	v_nop
 v_nop
 v_max_f32_dpp v2, v2, v2 row_ror:4
	;;#ASMEND
	;;#ASMSTART
	v_nop
 v_nop
 v_max_f32_dpp v6, v2, v2 row_ror:8
	;;#ASMEND
	v_sub_f32_e32 v2, v4, v6
	v_mul_f32_e32 v2, 0x3fb8aa3b, v2
	v_sub_f32_e32 v3, v7, v6
	v_exp_f32_e32 v2, v2
	v_mul_f32_e32 v3, 0x3fb8aa3b, v3
	v_sub_f32_e32 v5, v8, v6
	v_exp_f32_e32 v3, v3
	v_mul_f32_e32 v5, 0x3fb8aa3b, v5
	v_sub_f32_e32 v7, v9, v6
	v_exp_f32_e32 v5, v5
	v_mul_f32_e32 v7, 0x3fb8aa3b, v7
	v_exp_f32_e32 v7, v7
	v_cndmask_b32_e32 v2, 0, v2, vcc
	v_add_f32_e32 v4, 0, v2
	v_cndmask_b32_e64 v3, 0, v3, s[4:5]
	v_add_f32_e32 v8, v4, v3
	v_cndmask_b32_e64 v4, 0, v5, s[12:13]
	;; [unrolled: 2-line block ×3, first 2 shown]
	v_add_f32_e32 v7, v8, v5
	;;#ASMSTART
	v_nop
 v_nop
 v_add_f32_dpp v7, v7, v7 row_ror:4
	;;#ASMEND
	;;#ASMSTART
	v_nop
 v_nop
 v_add_f32_dpp v7, v7, v7 row_ror:8
	;;#ASMEND
	ds_bpermute_b32 v7, v10, v7
	s_waitcnt lgkmcnt(0)
	;;#ASMSTART
	v_nop
 v_nop
 v_add_f32_dpp v7, v7, v7 row_ror:4
	;;#ASMEND
	v_cmp_gt_u32_e32 vcc, 4, v1
	;;#ASMSTART
	v_nop
 v_nop
 v_add_f32_dpp v7, v7, v7 row_ror:8
	;;#ASMEND
	s_and_saveexec_b64 s[4:5], vcc
	s_cbranch_execz .LBB814_784
; %bb.783:
	v_mul_u32_u24_e32 v8, 20, v42
	v_lshl_add_u32 v8, v43, 2, v8
	v_add_u32_e32 v8, 0x1400, v8
	ds_write2_b32 v8, v6, v7 offset1:20
.LBB814_784:
	s_or_b64 exec, exec, s[4:5]
.LBB814_785:
	s_or_b64 exec, exec, s[36:37]
	s_waitcnt lgkmcnt(0)
	s_barrier
	s_load_dword s4, s[34:35], 0x8
	v_lshlrev_b32_e32 v7, 2, v43
	v_add_u32_e32 v9, 0x1400, v7
	ds_read2_b32 v[10:11], v9 offset1:5
	ds_read2_b32 v[12:13], v9 offset0:10 offset1:15
	s_mul_i32 s5, s11, s8
	s_waitcnt lgkmcnt(0)
	s_mul_i32 s4, s5, s4
	s_mov_b32 s5, 0xff7fffff
	v_max3_f32 v7, v10, s5, v11
	v_max3_f32 v8, v7, v12, v13
	v_sub_f32_e32 v7, v10, v8
	v_sub_f32_e32 v10, v11, v8
	v_mul_f32_e32 v10, 0x3fb8aa3b, v10
	ds_read2_b32 v[14:15], v9 offset0:20 offset1:25
	v_mul_f32_e32 v7, 0x3fb8aa3b, v7
	v_exp_f32_e32 v17, v10
	ds_read2_b32 v[10:11], v9 offset0:30 offset1:35
	v_sub_f32_e32 v9, v12, v8
	v_exp_f32_e32 v16, v7
	v_mul_f32_e32 v9, 0x3fb8aa3b, v9
	v_exp_f32_e32 v12, v9
	v_sub_f32_e32 v9, v13, v8
	v_mul_f32_e32 v9, 0x3fb8aa3b, v9
	v_exp_f32_e32 v13, v9
	s_waitcnt lgkmcnt(1)
	v_fma_f32 v9, v16, v14, 0
	v_fmac_f32_e32 v9, v17, v15
	s_waitcnt lgkmcnt(0)
	v_fmac_f32_e32 v9, v12, v10
	v_mov_b32_e32 v7, 0
	v_fmac_f32_e32 v9, v13, v11
	s_mov_b32 s5, 0
	v_cmp_eq_u32_e32 vcc, 0, v43
	s_and_saveexec_b64 s[8:9], vcc
	s_cbranch_execz .LBB814_787
; %bb.786:
	s_lshl_b64 s[12:13], s[4:5], 2
	s_add_u32 s16, s20, s12
	s_mov_b32 s29, s5
	s_addc_u32 s17, s21, s13
	s_lshl_b64 s[14:15], s[28:29], 2
	s_add_u32 s16, s16, s14
	s_addc_u32 s17, s17, s15
	s_add_u32 s12, s22, s12
	s_addc_u32 s13, s23, s13
	;; [unrolled: 2-line block ×3, first 2 shown]
	s_mul_i32 s12, s11, s10
	s_mov_b32 s13, s5
	s_lshl_b64 s[12:13], s[12:13], 2
	s_add_u32 s14, s16, s12
	s_addc_u32 s15, s17, s13
	s_add_u32 s12, s20, s12
	s_addc_u32 s13, s21, s13
	global_store_dword v7, v8, s[12:13]
	global_store_dword v7, v9, s[14:15]
.LBB814_787:
	s_or_b64 exec, exec, s[8:9]
	v_lshlrev_b32_e32 v7, 3, v42
	s_and_saveexec_b64 s[8:9], s[6:7]
	s_xor_b64 s[6:7], exec, s[8:9]
	s_cbranch_execz .LBB814_789
; %bb.788:
	s_mov_b32 s8, 0
	s_mov_b32 s9, s8
	v_mad_u32_u24 v4, v1, 40, v7
	v_pk_mov_b32 v[2:3], s[8:9], s[8:9] op_sel:[0,1]
	ds_write2st64_b64 v4, v[2:3], v[2:3] offset1:5
                                        ; implicit-def: $vgpr7
                                        ; implicit-def: $vgpr9
                                        ; implicit-def: $vgpr6
                                        ; implicit-def: $vgpr8
                                        ; implicit-def: $vgpr4
                                        ; implicit-def: $vgpr2
.LBB814_789:
	s_andn2_saveexec_b64 s[6:7], s[6:7]
	s_cbranch_execz .LBB814_1176
; %bb.790:
	v_add_f32_e32 v9, 0x358637bd, v9
	v_div_scale_f32 v10, s[8:9], v9, v9, 1.0
	v_rcp_f32_e32 v11, v10
	v_div_scale_f32 v12, vcc, 1.0, v9, 1.0
	v_sub_f32_e32 v6, v6, v8
	v_fma_f32 v13, -v10, v11, 1.0
	v_fmac_f32_e32 v11, v13, v11
	v_mul_f32_e32 v13, v12, v11
	v_fma_f32 v14, -v10, v13, v12
	v_mul_f32_e32 v6, 0x3fb8aa3b, v6
	v_fmac_f32_e32 v13, v14, v11
	v_exp_f32_e32 v6, v6
	v_fma_f32 v10, -v10, v13, v12
	v_div_fmas_f32 v8, v10, v11, v13
	v_div_fixup_f32 v8, v8, v9, 1.0
	v_mul_f32_e32 v6, v6, v8
	v_pk_mul_f32 v[2:3], v[2:3], v[6:7] op_sel_hi:[1,0]
	s_load_dword s8, s[18:19], 0x0
	v_pk_mul_f32 v[4:5], v[4:5], v[6:7] op_sel_hi:[1,0]
	v_bfe_u32 v6, v3, 16, 1
	v_bfe_u32 v8, v2, 16, 1
	s_movk_i32 s5, 0x7fff
	v_add3_u32 v2, v2, v8, s5
	v_add3_u32 v3, v3, v6, s5
	s_mov_b32 s22, 0x7060302
	v_perm_b32 v2, v3, v2, s22
	v_bfe_u32 v3, v5, 16, 1
	v_bfe_u32 v6, v4, 16, 1
	v_add3_u32 v4, v4, v6, s5
	v_add3_u32 v3, v5, v3, s5
	v_mov_b32_e32 v11, 0
	v_perm_b32 v3, v3, v4, s22
	v_add_u32_e32 v5, 64, v11
	s_waitcnt lgkmcnt(0)
	s_mov_b32 s9, s8
	s_mov_b32 s12, s8
	;; [unrolled: 1-line block ×4, first 2 shown]
	s_mov_b64 s[14:15], -1
	s_movk_i32 s23, 0x80
	s_movk_i32 s25, 0x7f
	s_mov_b32 s26, 0xffffff
	s_mov_b32 s27, 0x5040100
	v_mov_b32_e32 v9, 0
	v_bfrev_b32_e32 v10, 60
	s_branch .LBB814_794
.LBB814_791:                            ;   in Loop: Header=BB814_794 Depth=1
	s_or_b64 exec, exec, s[20:21]
.LBB814_792:                            ;   in Loop: Header=BB814_794 Depth=1
	s_or_b64 exec, exec, s[18:19]
.LBB814_793:                            ;   in Loop: Header=BB814_794 Depth=1
	s_or_b64 exec, exec, s[16:17]
	v_perm_b32 v19, v15, v12, s27
	v_perm_b32 v18, v11, v13, s27
	v_perm_b32 v13, v17, v16, s27
	v_perm_b32 v12, v8, v14, s27
	v_mfma_f32_4x4x4bf16_1k a[0:3], v[2:3], v[18:19], a[0:3] cbsz:4 abid:14
	s_mul_i32 s16, s24, 0xa00
	v_mfma_f32_4x4x4bf16_1k a[0:3], v[2:3], v[12:13], a[0:3] cbsz:4 abid:15
	s_mov_b32 s24, 1
	v_mov_b32_e32 v11, v5
	s_nop 2
	v_accvgpr_read_b32 v15, a1
	v_accvgpr_read_b32 v14, a0
	v_pk_mul_f32 v[14:15], v[14:15], s[8:9]
	v_accvgpr_read_b32 v13, a3
	v_accvgpr_read_b32 v12, a2
	v_bfe_u32 v4, v15, 16, 1
	v_bfe_u32 v6, v14, 16, 1
	v_pk_mul_f32 v[12:13], v[12:13], s[12:13]
	v_add3_u32 v6, v14, v6, s5
	v_add3_u32 v4, v15, v4, s5
	v_perm_b32 v14, v4, v6, s22
	v_bfe_u32 v4, v13, 16, 1
	v_bfe_u32 v6, v12, 16, 1
	v_add3_u32 v6, v12, v6, s5
	v_add3_u32 v4, v13, v4, s5
	v_perm_b32 v15, v4, v6, s22
	v_mul_u32_u24_e32 v4, 40, v1
	v_add3_u32 v4, s16, v4, v7
	s_xor_b64 s[16:17], s[14:15], -1
	s_mov_b64 s[14:15], 0
	s_andn2_b64 vcc, exec, s[16:17]
	ds_write_b64 v4, v[14:15]
	s_cbranch_vccz .LBB814_1176
.LBB814_794:                            ; =>This Inner Loop Header: Depth=1
	buffer_load_dword v6, v11, s[0:3], 0 offen
	buffer_load_dword v4, v11, s[0:3], 0 offen offset:4
	v_mov_b32_e32 v13, 0
	s_waitcnt vmcnt(1)
	v_cmp_ne_u16_sdwa s[18:19], v6, v9 src0_sel:BYTE_0 src1_sel:DWORD
	s_and_saveexec_b64 s[16:17], s[18:19]
	s_cbranch_execz .LBB814_800
; %bb.795:                              ;   in Loop: Header=BB814_794 Depth=1
	v_cmp_ne_u16_sdwa s[20:21], v6, s23 src0_sel:BYTE_0 src1_sel:DWORD
	v_mov_b32_e32 v13, 0xffff8000
	s_and_saveexec_b64 s[18:19], s[20:21]
	s_cbranch_execz .LBB814_799
; %bb.796:                              ;   in Loop: Header=BB814_794 Depth=1
	v_and_b32_e32 v8, 0x7f, v6
	v_cmp_ne_u32_e32 vcc, s25, v8
	v_mov_b32_e32 v13, 0x7f80
	s_and_saveexec_b64 s[20:21], vcc
	s_cbranch_execz .LBB814_798
; %bb.797:                              ;   in Loop: Header=BB814_794 Depth=1
	v_and_b32_e32 v14, 7, v6
	v_ffbh_u32_e32 v12, v14
	v_min_u32_e32 v16, 32, v12
	v_subrev_u32_e32 v12, 28, v16
	v_lshlrev_b64 v[12:13], v12, v[6:7]
	v_lshrrev_b32_e32 v15, 3, v8
	v_sub_u32_e32 v13, 29, v16
	v_and_b32_e32 v12, 7, v12
	v_cmp_gt_u32_e32 vcc, 8, v8
	v_cndmask_b32_e32 v8, v15, v13, vcc
	v_cndmask_b32_e32 v12, v14, v12, vcc
	v_lshlrev_b32_e32 v13, 24, v6
	v_lshlrev_b32_e32 v12, 20, v12
	v_and_b32_e32 v13, 0x80000000, v13
	v_lshl_add_u32 v8, v8, 23, v10
	v_or3_b32 v8, v13, v8, v12
	v_lshrrev_b32_e32 v13, 16, v8
.LBB814_798:                            ;   in Loop: Header=BB814_794 Depth=1
	s_or_b64 exec, exec, s[20:21]
.LBB814_799:                            ;   in Loop: Header=BB814_794 Depth=1
	s_or_b64 exec, exec, s[18:19]
.LBB814_800:                            ;   in Loop: Header=BB814_794 Depth=1
	s_or_b64 exec, exec, s[16:17]
	v_lshrrev_b16_e32 v8, 8, v6
	v_cmp_ne_u16_e32 vcc, 0, v8
	v_mov_b32_e32 v15, 0
	v_mov_b32_e32 v14, 0
	s_and_saveexec_b64 s[16:17], vcc
	s_cbranch_execz .LBB814_806
; %bb.801:                              ;   in Loop: Header=BB814_794 Depth=1
	v_cmp_ne_u16_e32 vcc, s23, v8
	v_mov_b32_e32 v14, 0xffff8000
	s_and_saveexec_b64 s[18:19], vcc
	s_cbranch_execz .LBB814_805
; %bb.802:                              ;   in Loop: Header=BB814_794 Depth=1
	v_and_b32_e32 v12, 0x7f, v8
	v_cmp_ne_u32_e32 vcc, s25, v12
	v_mov_b32_e32 v14, 0x7f80
	s_and_saveexec_b64 s[20:21], vcc
	s_cbranch_execz .LBB814_804
; %bb.803:                              ;   in Loop: Header=BB814_794 Depth=1
	v_and_b32_e32 v14, 7, v8
	v_ffbh_u32_e32 v16, v14
	v_min_u32_e32 v19, 32, v16
	v_subrev_u32_e32 v16, 28, v19
	v_lshlrev_b64 v[16:17], v16, v[8:9]
	v_lshrrev_b32_e32 v18, 3, v12
	v_sub_u32_e32 v8, 29, v19
	v_and_b32_e32 v16, 7, v16
	v_cmp_gt_u32_e32 vcc, 8, v12
	v_cndmask_b32_e32 v8, v18, v8, vcc
	v_cndmask_b32_e32 v12, v14, v16, vcc
	v_lshlrev_b32_e32 v14, 16, v6
	v_lshlrev_b32_e32 v12, 20, v12
	v_and_b32_e32 v14, 0x80000000, v14
	v_lshl_add_u32 v8, v8, 23, v10
	v_or3_b32 v8, v14, v8, v12
	v_lshrrev_b32_e32 v14, 16, v8
.LBB814_804:                            ;   in Loop: Header=BB814_794 Depth=1
	s_or_b64 exec, exec, s[20:21]
.LBB814_805:                            ;   in Loop: Header=BB814_794 Depth=1
	s_or_b64 exec, exec, s[18:19]
.LBB814_806:                            ;   in Loop: Header=BB814_794 Depth=1
	s_or_b64 exec, exec, s[16:17]
	v_lshrrev_b32_e32 v8, 16, v6
	v_cmp_ne_u16_sdwa s[18:19], v8, v9 src0_sel:BYTE_0 src1_sel:DWORD
	s_and_saveexec_b64 s[16:17], s[18:19]
	s_cbranch_execz .LBB814_812
; %bb.807:                              ;   in Loop: Header=BB814_794 Depth=1
	v_cmp_ne_u16_sdwa s[20:21], v8, s23 src0_sel:BYTE_0 src1_sel:DWORD
	v_mov_b32_e32 v15, 0xffff8000
	s_and_saveexec_b64 s[18:19], s[20:21]
	s_cbranch_execz .LBB814_811
; %bb.808:                              ;   in Loop: Header=BB814_794 Depth=1
	v_bfe_u32 v12, v6, 16, 7
	v_cmp_ne_u32_e32 vcc, s25, v12
	v_mov_b32_e32 v15, 0x7f80
	s_and_saveexec_b64 s[20:21], vcc
	s_cbranch_execz .LBB814_810
; %bb.809:                              ;   in Loop: Header=BB814_794 Depth=1
	v_and_b32_e32 v15, 7, v8
	v_ffbh_u32_e32 v16, v15
	v_min_u32_e32 v19, 32, v16
	v_subrev_u32_e32 v16, 28, v19
	v_lshlrev_b64 v[16:17], v16, v[8:9]
	v_lshrrev_b32_e32 v18, 3, v12
	v_sub_u32_e32 v17, 29, v19
	v_and_b32_e32 v16, 7, v16
	v_cmp_gt_u32_e32 vcc, 8, v12
	v_cndmask_b32_e32 v12, v18, v17, vcc
	v_cndmask_b32_e32 v15, v15, v16, vcc
	v_lshlrev_b32_e32 v8, 24, v8
	v_lshlrev_b32_e32 v15, 20, v15
	v_and_b32_e32 v8, 0x80000000, v8
	v_lshl_add_u32 v12, v12, 23, v10
	v_or3_b32 v8, v8, v12, v15
	v_lshrrev_b32_e32 v15, 16, v8
.LBB814_810:                            ;   in Loop: Header=BB814_794 Depth=1
	s_or_b64 exec, exec, s[20:21]
.LBB814_811:                            ;   in Loop: Header=BB814_794 Depth=1
	s_or_b64 exec, exec, s[18:19]
.LBB814_812:                            ;   in Loop: Header=BB814_794 Depth=1
	s_or_b64 exec, exec, s[16:17]
	v_cmp_lt_u32_e32 vcc, s26, v6
	v_mov_b32_e32 v16, 0
	v_mov_b32_e32 v17, 0
	s_and_saveexec_b64 s[16:17], vcc
	s_cbranch_execz .LBB814_818
; %bb.813:                              ;   in Loop: Header=BB814_794 Depth=1
	v_lshrrev_b32_e32 v8, 24, v6
	v_cmp_ne_u32_e32 vcc, s23, v8
	v_mov_b32_e32 v17, 0xffff8000
	s_and_saveexec_b64 s[18:19], vcc
	s_cbranch_execz .LBB814_817
; %bb.814:                              ;   in Loop: Header=BB814_794 Depth=1
	v_bfe_u32 v6, v6, 24, 7
	v_cmp_ne_u32_e32 vcc, s25, v6
	v_mov_b32_e32 v17, 0x7f80
	s_and_saveexec_b64 s[20:21], vcc
	s_cbranch_execz .LBB814_816
; %bb.815:                              ;   in Loop: Header=BB814_794 Depth=1
	v_and_b32_e32 v12, 7, v8
	v_ffbh_u32_e32 v18, v12
	v_min_u32_e32 v20, 32, v18
	v_subrev_u32_e32 v18, 28, v20
	v_lshlrev_b64 v[18:19], v18, v[8:9]
	v_lshrrev_b32_e32 v17, 3, v6
	v_sub_u32_e32 v19, 29, v20
	v_and_b32_e32 v18, 7, v18
	v_cmp_gt_u32_e32 vcc, 8, v6
	v_cndmask_b32_e32 v6, v17, v19, vcc
	v_cndmask_b32_e32 v12, v12, v18, vcc
	v_lshlrev_b32_e32 v8, 24, v8
	v_lshlrev_b32_e32 v12, 20, v12
	v_and_b32_e32 v8, 0x80000000, v8
	v_lshl_add_u32 v6, v6, 23, v10
	v_or3_b32 v6, v8, v6, v12
	v_lshrrev_b32_e32 v17, 16, v6
.LBB814_816:                            ;   in Loop: Header=BB814_794 Depth=1
	s_or_b64 exec, exec, s[20:21]
.LBB814_817:                            ;   in Loop: Header=BB814_794 Depth=1
	s_or_b64 exec, exec, s[18:19]
.LBB814_818:                            ;   in Loop: Header=BB814_794 Depth=1
	s_or_b64 exec, exec, s[16:17]
	s_waitcnt vmcnt(0)
	v_cmp_ne_u16_sdwa s[18:19], v4, v9 src0_sel:BYTE_0 src1_sel:DWORD
	s_and_saveexec_b64 s[16:17], s[18:19]
	s_cbranch_execz .LBB814_824
; %bb.819:                              ;   in Loop: Header=BB814_794 Depth=1
	v_cmp_ne_u16_sdwa s[20:21], v4, s23 src0_sel:BYTE_0 src1_sel:DWORD
	v_mov_b32_e32 v16, 0xffff8000
	s_and_saveexec_b64 s[18:19], s[20:21]
	s_cbranch_execz .LBB814_823
; %bb.820:                              ;   in Loop: Header=BB814_794 Depth=1
	v_and_b32_e32 v6, 0x7f, v4
	v_cmp_ne_u32_e32 vcc, s25, v6
	v_mov_b32_e32 v16, 0x7f80
	s_and_saveexec_b64 s[20:21], vcc
	s_cbranch_execz .LBB814_822
; %bb.821:                              ;   in Loop: Header=BB814_794 Depth=1
	v_and_b32_e32 v8, 7, v4
	v_ffbh_u32_e32 v16, v8
	v_min_u32_e32 v16, 32, v16
	v_subrev_u32_e32 v18, 28, v16
	v_lshlrev_b64 v[18:19], v18, v[4:5]
	v_lshrrev_b32_e32 v12, 3, v6
	v_sub_u32_e32 v16, 29, v16
	v_and_b32_e32 v18, 7, v18
	v_cmp_gt_u32_e32 vcc, 8, v6
	v_cndmask_b32_e32 v6, v12, v16, vcc
	v_cndmask_b32_e32 v8, v8, v18, vcc
	v_lshlrev_b32_e32 v12, 24, v4
	v_lshlrev_b32_e32 v8, 20, v8
	v_and_b32_e32 v12, 0x80000000, v12
	v_lshl_add_u32 v6, v6, 23, v10
	v_or3_b32 v6, v12, v6, v8
	v_lshrrev_b32_e32 v16, 16, v6
.LBB814_822:                            ;   in Loop: Header=BB814_794 Depth=1
	s_or_b64 exec, exec, s[20:21]
.LBB814_823:                            ;   in Loop: Header=BB814_794 Depth=1
	s_or_b64 exec, exec, s[18:19]
.LBB814_824:                            ;   in Loop: Header=BB814_794 Depth=1
	s_or_b64 exec, exec, s[16:17]
	v_lshrrev_b16_e32 v6, 8, v4
	v_cmp_ne_u16_e32 vcc, 0, v6
	v_mov_b32_e32 v18, 0
	v_mov_b32_e32 v8, 0
	s_and_saveexec_b64 s[16:17], vcc
	s_cbranch_execz .LBB814_830
; %bb.825:                              ;   in Loop: Header=BB814_794 Depth=1
	v_cmp_ne_u16_e32 vcc, s23, v6
	v_mov_b32_e32 v8, 0xffff8000
	s_and_saveexec_b64 s[18:19], vcc
	s_cbranch_execz .LBB814_829
; %bb.826:                              ;   in Loop: Header=BB814_794 Depth=1
	v_and_b32_e32 v12, 0x7f, v6
	v_cmp_ne_u32_e32 vcc, s25, v12
	v_mov_b32_e32 v8, 0x7f80
	s_and_saveexec_b64 s[20:21], vcc
	s_cbranch_execz .LBB814_828
; %bb.827:                              ;   in Loop: Header=BB814_794 Depth=1
	v_and_b32_e32 v8, 7, v6
	v_ffbh_u32_e32 v20, v8
	v_min_u32_e32 v22, 32, v20
	v_subrev_u32_e32 v20, 28, v22
	v_lshlrev_b64 v[20:21], v20, v[6:7]
	v_lshrrev_b32_e32 v19, 3, v12
	v_sub_u32_e32 v6, 29, v22
	v_and_b32_e32 v20, 7, v20
	v_cmp_gt_u32_e32 vcc, 8, v12
	v_cndmask_b32_e32 v6, v19, v6, vcc
	v_cndmask_b32_e32 v8, v8, v20, vcc
	v_lshlrev_b32_e32 v12, 16, v4
	v_lshlrev_b32_e32 v8, 20, v8
	v_and_b32_e32 v12, 0x80000000, v12
	v_lshl_add_u32 v6, v6, 23, v10
	v_or3_b32 v6, v12, v6, v8
	v_lshrrev_b32_e32 v8, 16, v6
.LBB814_828:                            ;   in Loop: Header=BB814_794 Depth=1
	s_or_b64 exec, exec, s[20:21]
.LBB814_829:                            ;   in Loop: Header=BB814_794 Depth=1
	s_or_b64 exec, exec, s[18:19]
.LBB814_830:                            ;   in Loop: Header=BB814_794 Depth=1
	s_or_b64 exec, exec, s[16:17]
	v_lshrrev_b32_e32 v6, 16, v4
	v_cmp_ne_u16_sdwa s[18:19], v6, v9 src0_sel:BYTE_0 src1_sel:DWORD
	s_and_saveexec_b64 s[16:17], s[18:19]
	s_cbranch_execz .LBB814_836
; %bb.831:                              ;   in Loop: Header=BB814_794 Depth=1
	v_cmp_ne_u16_sdwa s[20:21], v6, s23 src0_sel:BYTE_0 src1_sel:DWORD
	v_mov_b32_e32 v18, 0xffff8000
	s_and_saveexec_b64 s[18:19], s[20:21]
	s_cbranch_execz .LBB814_835
; %bb.832:                              ;   in Loop: Header=BB814_794 Depth=1
	v_bfe_u32 v12, v4, 16, 7
	v_cmp_ne_u32_e32 vcc, s25, v12
	v_mov_b32_e32 v18, 0x7f80
	s_and_saveexec_b64 s[20:21], vcc
	s_cbranch_execz .LBB814_834
; %bb.833:                              ;   in Loop: Header=BB814_794 Depth=1
	v_and_b32_e32 v20, 7, v6
	v_ffbh_u32_e32 v18, v20
	v_min_u32_e32 v22, 32, v18
	v_subrev_u32_e32 v18, 28, v22
	v_lshlrev_b64 v[18:19], v18, v[6:7]
	v_lshrrev_b32_e32 v21, 3, v12
	v_sub_u32_e32 v19, 29, v22
	v_and_b32_e32 v18, 7, v18
	v_cmp_gt_u32_e32 vcc, 8, v12
	v_cndmask_b32_e32 v12, v21, v19, vcc
	v_cndmask_b32_e32 v18, v20, v18, vcc
	v_lshlrev_b32_e32 v6, 24, v6
	v_lshlrev_b32_e32 v18, 20, v18
	v_and_b32_e32 v6, 0x80000000, v6
	v_lshl_add_u32 v12, v12, 23, v10
	v_or3_b32 v6, v6, v12, v18
	v_lshrrev_b32_e32 v18, 16, v6
.LBB814_834:                            ;   in Loop: Header=BB814_794 Depth=1
	s_or_b64 exec, exec, s[20:21]
.LBB814_835:                            ;   in Loop: Header=BB814_794 Depth=1
	s_or_b64 exec, exec, s[18:19]
.LBB814_836:                            ;   in Loop: Header=BB814_794 Depth=1
	s_or_b64 exec, exec, s[16:17]
	v_cmp_lt_u32_e32 vcc, s26, v4
	v_mov_b32_e32 v12, 0
	v_mov_b32_e32 v19, 0
	s_and_saveexec_b64 s[16:17], vcc
	s_cbranch_execz .LBB814_842
; %bb.837:                              ;   in Loop: Header=BB814_794 Depth=1
	v_lshrrev_b32_e32 v6, 24, v4
	v_cmp_ne_u32_e32 vcc, s23, v6
	v_mov_b32_e32 v19, 0xffff8000
	s_and_saveexec_b64 s[18:19], vcc
	s_cbranch_execz .LBB814_841
; %bb.838:                              ;   in Loop: Header=BB814_794 Depth=1
	v_bfe_u32 v4, v4, 24, 7
	v_cmp_ne_u32_e32 vcc, s25, v4
	v_mov_b32_e32 v19, 0x7f80
	s_and_saveexec_b64 s[20:21], vcc
	s_cbranch_execz .LBB814_840
; %bb.839:                              ;   in Loop: Header=BB814_794 Depth=1
	v_and_b32_e32 v19, 7, v6
	v_ffbh_u32_e32 v20, v19
	v_min_u32_e32 v23, 32, v20
	v_subrev_u32_e32 v20, 28, v23
	v_lshlrev_b64 v[20:21], v20, v[6:7]
	v_lshrrev_b32_e32 v22, 3, v4
	v_sub_u32_e32 v21, 29, v23
	v_and_b32_e32 v20, 7, v20
	v_cmp_gt_u32_e32 vcc, 8, v4
	v_cndmask_b32_e32 v4, v22, v21, vcc
	v_cndmask_b32_e32 v19, v19, v20, vcc
	v_lshlrev_b32_e32 v6, 24, v6
	v_lshlrev_b32_e32 v19, 20, v19
	v_and_b32_e32 v6, 0x80000000, v6
	v_lshl_add_u32 v4, v4, 23, v10
	v_or3_b32 v4, v6, v4, v19
	v_lshrrev_b32_e32 v19, 16, v4
.LBB814_840:                            ;   in Loop: Header=BB814_794 Depth=1
	s_or_b64 exec, exec, s[20:21]
.LBB814_841:                            ;   in Loop: Header=BB814_794 Depth=1
	s_or_b64 exec, exec, s[18:19]
.LBB814_842:                            ;   in Loop: Header=BB814_794 Depth=1
	s_or_b64 exec, exec, s[16:17]
	buffer_load_dword v6, v11, s[0:3], 0 offen offset:8
	buffer_load_dword v4, v11, s[0:3], 0 offen offset:12
	v_perm_b32 v15, v17, v15, s27
	v_perm_b32 v14, v14, v13, s27
	;; [unrolled: 1-line block ×4, first 2 shown]
	v_mfma_f32_4x4x4bf16_1k a[0:3], v[2:3], v[14:15], 0 cbsz:4
	s_waitcnt vmcnt(1)
	v_cmp_ne_u16_sdwa s[18:19], v6, v9 src0_sel:BYTE_0 src1_sel:DWORD
	v_mfma_f32_4x4x4bf16_1k a[0:3], v[2:3], v[16:17], a[0:3] cbsz:4 abid:1
	s_and_saveexec_b64 s[16:17], s[18:19]
	s_cbranch_execz .LBB814_848
; %bb.843:                              ;   in Loop: Header=BB814_794 Depth=1
	v_cmp_ne_u16_sdwa s[20:21], v6, s23 src0_sel:BYTE_0 src1_sel:DWORD
	v_mov_b32_e32 v12, 0xffff8000
	s_and_saveexec_b64 s[18:19], s[20:21]
	s_cbranch_execz .LBB814_847
; %bb.844:                              ;   in Loop: Header=BB814_794 Depth=1
	v_and_b32_e32 v8, 0x7f, v6
	v_cmp_ne_u32_e32 vcc, s25, v8
	v_mov_b32_e32 v12, 0x7f80
	s_and_saveexec_b64 s[20:21], vcc
	s_cbranch_execz .LBB814_846
; %bb.845:                              ;   in Loop: Header=BB814_794 Depth=1
	v_and_b32_e32 v14, 7, v6
	v_ffbh_u32_e32 v12, v14
	v_min_u32_e32 v16, 32, v12
	v_subrev_u32_e32 v12, 28, v16
	v_lshlrev_b64 v[12:13], v12, v[6:7]
	v_lshrrev_b32_e32 v15, 3, v8
	v_sub_u32_e32 v13, 29, v16
	v_and_b32_e32 v12, 7, v12
	v_cmp_gt_u32_e32 vcc, 8, v8
	v_cndmask_b32_e32 v8, v15, v13, vcc
	v_cndmask_b32_e32 v12, v14, v12, vcc
	v_lshlrev_b32_e32 v13, 24, v6
	v_lshlrev_b32_e32 v12, 20, v12
	v_and_b32_e32 v13, 0x80000000, v13
	v_lshl_add_u32 v8, v8, 23, v10
	v_or3_b32 v8, v13, v8, v12
	v_lshrrev_b32_e32 v12, 16, v8
.LBB814_846:                            ;   in Loop: Header=BB814_794 Depth=1
	s_or_b64 exec, exec, s[20:21]
.LBB814_847:                            ;   in Loop: Header=BB814_794 Depth=1
	s_or_b64 exec, exec, s[18:19]
.LBB814_848:                            ;   in Loop: Header=BB814_794 Depth=1
	s_or_b64 exec, exec, s[16:17]
	v_lshrrev_b16_e32 v8, 8, v6
	v_cmp_ne_u16_e32 vcc, 0, v8
	v_mov_b32_e32 v15, 0
	v_mov_b32_e32 v14, 0
	s_and_saveexec_b64 s[16:17], vcc
	s_cbranch_execz .LBB814_854
; %bb.849:                              ;   in Loop: Header=BB814_794 Depth=1
	v_cmp_ne_u16_e32 vcc, s23, v8
	v_mov_b32_e32 v14, 0xffff8000
	s_and_saveexec_b64 s[18:19], vcc
	s_cbranch_execz .LBB814_853
; %bb.850:                              ;   in Loop: Header=BB814_794 Depth=1
	v_and_b32_e32 v13, 0x7f, v8
	v_cmp_ne_u32_e32 vcc, s25, v13
	v_mov_b32_e32 v14, 0x7f80
	s_and_saveexec_b64 s[20:21], vcc
	s_cbranch_execz .LBB814_852
; %bb.851:                              ;   in Loop: Header=BB814_794 Depth=1
	v_and_b32_e32 v14, 7, v8
	v_ffbh_u32_e32 v16, v14
	v_min_u32_e32 v19, 32, v16
	v_subrev_u32_e32 v16, 28, v19
	v_lshlrev_b64 v[16:17], v16, v[8:9]
	v_lshrrev_b32_e32 v18, 3, v13
	v_sub_u32_e32 v8, 29, v19
	v_and_b32_e32 v16, 7, v16
	v_cmp_gt_u32_e32 vcc, 8, v13
	v_cndmask_b32_e32 v8, v18, v8, vcc
	v_cndmask_b32_e32 v13, v14, v16, vcc
	v_lshlrev_b32_e32 v14, 16, v6
	v_lshlrev_b32_e32 v13, 20, v13
	v_and_b32_e32 v14, 0x80000000, v14
	v_lshl_add_u32 v8, v8, 23, v10
	v_or3_b32 v8, v14, v8, v13
	v_lshrrev_b32_e32 v14, 16, v8
.LBB814_852:                            ;   in Loop: Header=BB814_794 Depth=1
	s_or_b64 exec, exec, s[20:21]
.LBB814_853:                            ;   in Loop: Header=BB814_794 Depth=1
	s_or_b64 exec, exec, s[18:19]
.LBB814_854:                            ;   in Loop: Header=BB814_794 Depth=1
	s_or_b64 exec, exec, s[16:17]
	v_lshrrev_b32_e32 v8, 16, v6
	v_cmp_ne_u16_sdwa s[18:19], v8, v9 src0_sel:BYTE_0 src1_sel:DWORD
	s_and_saveexec_b64 s[16:17], s[18:19]
	s_cbranch_execz .LBB814_860
; %bb.855:                              ;   in Loop: Header=BB814_794 Depth=1
	v_cmp_ne_u16_sdwa s[20:21], v8, s23 src0_sel:BYTE_0 src1_sel:DWORD
	v_mov_b32_e32 v15, 0xffff8000
	s_and_saveexec_b64 s[18:19], s[20:21]
	s_cbranch_execz .LBB814_859
; %bb.856:                              ;   in Loop: Header=BB814_794 Depth=1
	v_bfe_u32 v13, v6, 16, 7
	v_cmp_ne_u32_e32 vcc, s25, v13
	v_mov_b32_e32 v15, 0x7f80
	s_and_saveexec_b64 s[20:21], vcc
	s_cbranch_execz .LBB814_858
; %bb.857:                              ;   in Loop: Header=BB814_794 Depth=1
	v_and_b32_e32 v15, 7, v8
	v_ffbh_u32_e32 v16, v15
	v_min_u32_e32 v19, 32, v16
	v_subrev_u32_e32 v16, 28, v19
	v_lshlrev_b64 v[16:17], v16, v[8:9]
	v_lshrrev_b32_e32 v18, 3, v13
	v_sub_u32_e32 v17, 29, v19
	v_and_b32_e32 v16, 7, v16
	v_cmp_gt_u32_e32 vcc, 8, v13
	v_cndmask_b32_e32 v13, v18, v17, vcc
	v_cndmask_b32_e32 v15, v15, v16, vcc
	v_lshlrev_b32_e32 v8, 24, v8
	v_lshlrev_b32_e32 v15, 20, v15
	v_and_b32_e32 v8, 0x80000000, v8
	v_lshl_add_u32 v13, v13, 23, v10
	v_or3_b32 v8, v8, v13, v15
	v_lshrrev_b32_e32 v15, 16, v8
.LBB814_858:                            ;   in Loop: Header=BB814_794 Depth=1
	s_or_b64 exec, exec, s[20:21]
.LBB814_859:                            ;   in Loop: Header=BB814_794 Depth=1
	s_or_b64 exec, exec, s[18:19]
.LBB814_860:                            ;   in Loop: Header=BB814_794 Depth=1
	s_or_b64 exec, exec, s[16:17]
	v_cmp_lt_u32_e32 vcc, s26, v6
	v_mov_b32_e32 v16, 0
	v_mov_b32_e32 v17, 0
	s_and_saveexec_b64 s[16:17], vcc
	s_cbranch_execz .LBB814_866
; %bb.861:                              ;   in Loop: Header=BB814_794 Depth=1
	v_lshrrev_b32_e32 v8, 24, v6
	v_cmp_ne_u32_e32 vcc, s23, v8
	v_mov_b32_e32 v17, 0xffff8000
	s_and_saveexec_b64 s[18:19], vcc
	s_cbranch_execz .LBB814_865
; %bb.862:                              ;   in Loop: Header=BB814_794 Depth=1
	v_bfe_u32 v6, v6, 24, 7
	v_cmp_ne_u32_e32 vcc, s25, v6
	v_mov_b32_e32 v17, 0x7f80
	s_and_saveexec_b64 s[20:21], vcc
	s_cbranch_execz .LBB814_864
; %bb.863:                              ;   in Loop: Header=BB814_794 Depth=1
	v_and_b32_e32 v13, 7, v8
	v_ffbh_u32_e32 v18, v13
	v_min_u32_e32 v20, 32, v18
	v_subrev_u32_e32 v18, 28, v20
	v_lshlrev_b64 v[18:19], v18, v[8:9]
	v_lshrrev_b32_e32 v17, 3, v6
	v_sub_u32_e32 v19, 29, v20
	v_and_b32_e32 v18, 7, v18
	v_cmp_gt_u32_e32 vcc, 8, v6
	v_cndmask_b32_e32 v6, v17, v19, vcc
	v_cndmask_b32_e32 v13, v13, v18, vcc
	v_lshlrev_b32_e32 v8, 24, v8
	v_lshlrev_b32_e32 v13, 20, v13
	v_and_b32_e32 v8, 0x80000000, v8
	v_lshl_add_u32 v6, v6, 23, v10
	v_or3_b32 v6, v8, v6, v13
	v_lshrrev_b32_e32 v17, 16, v6
.LBB814_864:                            ;   in Loop: Header=BB814_794 Depth=1
	s_or_b64 exec, exec, s[20:21]
.LBB814_865:                            ;   in Loop: Header=BB814_794 Depth=1
	s_or_b64 exec, exec, s[18:19]
.LBB814_866:                            ;   in Loop: Header=BB814_794 Depth=1
	s_or_b64 exec, exec, s[16:17]
	s_waitcnt vmcnt(0)
	v_cmp_ne_u16_sdwa s[18:19], v4, v9 src0_sel:BYTE_0 src1_sel:DWORD
	s_and_saveexec_b64 s[16:17], s[18:19]
	s_cbranch_execz .LBB814_872
; %bb.867:                              ;   in Loop: Header=BB814_794 Depth=1
	v_cmp_ne_u16_sdwa s[20:21], v4, s23 src0_sel:BYTE_0 src1_sel:DWORD
	v_mov_b32_e32 v16, 0xffff8000
	s_and_saveexec_b64 s[18:19], s[20:21]
	s_cbranch_execz .LBB814_871
; %bb.868:                              ;   in Loop: Header=BB814_794 Depth=1
	v_and_b32_e32 v6, 0x7f, v4
	v_cmp_ne_u32_e32 vcc, s25, v6
	v_mov_b32_e32 v16, 0x7f80
	s_and_saveexec_b64 s[20:21], vcc
	s_cbranch_execz .LBB814_870
; %bb.869:                              ;   in Loop: Header=BB814_794 Depth=1
	v_and_b32_e32 v8, 7, v4
	v_ffbh_u32_e32 v16, v8
	v_min_u32_e32 v16, 32, v16
	v_subrev_u32_e32 v18, 28, v16
	v_lshlrev_b64 v[18:19], v18, v[4:5]
	v_lshrrev_b32_e32 v13, 3, v6
	v_sub_u32_e32 v16, 29, v16
	v_and_b32_e32 v18, 7, v18
	v_cmp_gt_u32_e32 vcc, 8, v6
	v_cndmask_b32_e32 v6, v13, v16, vcc
	v_cndmask_b32_e32 v8, v8, v18, vcc
	v_lshlrev_b32_e32 v13, 24, v4
	v_lshlrev_b32_e32 v8, 20, v8
	v_and_b32_e32 v13, 0x80000000, v13
	v_lshl_add_u32 v6, v6, 23, v10
	v_or3_b32 v6, v13, v6, v8
	v_lshrrev_b32_e32 v16, 16, v6
.LBB814_870:                            ;   in Loop: Header=BB814_794 Depth=1
	s_or_b64 exec, exec, s[20:21]
.LBB814_871:                            ;   in Loop: Header=BB814_794 Depth=1
	s_or_b64 exec, exec, s[18:19]
.LBB814_872:                            ;   in Loop: Header=BB814_794 Depth=1
	s_or_b64 exec, exec, s[16:17]
	v_lshrrev_b16_e32 v6, 8, v4
	v_cmp_ne_u16_e32 vcc, 0, v6
	v_mov_b32_e32 v18, 0
	v_mov_b32_e32 v8, 0
	s_and_saveexec_b64 s[16:17], vcc
	s_cbranch_execz .LBB814_878
; %bb.873:                              ;   in Loop: Header=BB814_794 Depth=1
	v_cmp_ne_u16_e32 vcc, s23, v6
	v_mov_b32_e32 v8, 0xffff8000
	s_and_saveexec_b64 s[18:19], vcc
	s_cbranch_execz .LBB814_877
; %bb.874:                              ;   in Loop: Header=BB814_794 Depth=1
	v_and_b32_e32 v13, 0x7f, v6
	v_cmp_ne_u32_e32 vcc, s25, v13
	v_mov_b32_e32 v8, 0x7f80
	s_and_saveexec_b64 s[20:21], vcc
	s_cbranch_execz .LBB814_876
; %bb.875:                              ;   in Loop: Header=BB814_794 Depth=1
	v_and_b32_e32 v8, 7, v6
	v_ffbh_u32_e32 v20, v8
	v_min_u32_e32 v22, 32, v20
	v_subrev_u32_e32 v20, 28, v22
	v_lshlrev_b64 v[20:21], v20, v[6:7]
	v_lshrrev_b32_e32 v19, 3, v13
	v_sub_u32_e32 v6, 29, v22
	v_and_b32_e32 v20, 7, v20
	v_cmp_gt_u32_e32 vcc, 8, v13
	v_cndmask_b32_e32 v6, v19, v6, vcc
	v_cndmask_b32_e32 v8, v8, v20, vcc
	v_lshlrev_b32_e32 v13, 16, v4
	v_lshlrev_b32_e32 v8, 20, v8
	v_and_b32_e32 v13, 0x80000000, v13
	v_lshl_add_u32 v6, v6, 23, v10
	v_or3_b32 v6, v13, v6, v8
	v_lshrrev_b32_e32 v8, 16, v6
.LBB814_876:                            ;   in Loop: Header=BB814_794 Depth=1
	s_or_b64 exec, exec, s[20:21]
.LBB814_877:                            ;   in Loop: Header=BB814_794 Depth=1
	s_or_b64 exec, exec, s[18:19]
.LBB814_878:                            ;   in Loop: Header=BB814_794 Depth=1
	s_or_b64 exec, exec, s[16:17]
	v_lshrrev_b32_e32 v6, 16, v4
	v_cmp_ne_u16_sdwa s[18:19], v6, v9 src0_sel:BYTE_0 src1_sel:DWORD
	s_and_saveexec_b64 s[16:17], s[18:19]
	s_cbranch_execz .LBB814_884
; %bb.879:                              ;   in Loop: Header=BB814_794 Depth=1
	v_cmp_ne_u16_sdwa s[20:21], v6, s23 src0_sel:BYTE_0 src1_sel:DWORD
	v_mov_b32_e32 v18, 0xffff8000
	s_and_saveexec_b64 s[18:19], s[20:21]
	s_cbranch_execz .LBB814_883
; %bb.880:                              ;   in Loop: Header=BB814_794 Depth=1
	v_bfe_u32 v13, v4, 16, 7
	v_cmp_ne_u32_e32 vcc, s25, v13
	v_mov_b32_e32 v18, 0x7f80
	s_and_saveexec_b64 s[20:21], vcc
	s_cbranch_execz .LBB814_882
; %bb.881:                              ;   in Loop: Header=BB814_794 Depth=1
	v_and_b32_e32 v20, 7, v6
	v_ffbh_u32_e32 v18, v20
	v_min_u32_e32 v22, 32, v18
	v_subrev_u32_e32 v18, 28, v22
	v_lshlrev_b64 v[18:19], v18, v[6:7]
	v_lshrrev_b32_e32 v21, 3, v13
	v_sub_u32_e32 v19, 29, v22
	v_and_b32_e32 v18, 7, v18
	v_cmp_gt_u32_e32 vcc, 8, v13
	v_cndmask_b32_e32 v13, v21, v19, vcc
	v_cndmask_b32_e32 v18, v20, v18, vcc
	v_lshlrev_b32_e32 v6, 24, v6
	v_lshlrev_b32_e32 v18, 20, v18
	v_and_b32_e32 v6, 0x80000000, v6
	v_lshl_add_u32 v13, v13, 23, v10
	v_or3_b32 v6, v6, v13, v18
	v_lshrrev_b32_e32 v18, 16, v6
.LBB814_882:                            ;   in Loop: Header=BB814_794 Depth=1
	s_or_b64 exec, exec, s[20:21]
.LBB814_883:                            ;   in Loop: Header=BB814_794 Depth=1
	s_or_b64 exec, exec, s[18:19]
.LBB814_884:                            ;   in Loop: Header=BB814_794 Depth=1
	s_or_b64 exec, exec, s[16:17]
	v_cmp_lt_u32_e32 vcc, s26, v4
	v_mov_b32_e32 v13, 0
	v_mov_b32_e32 v19, 0
	s_and_saveexec_b64 s[16:17], vcc
	s_cbranch_execz .LBB814_890
; %bb.885:                              ;   in Loop: Header=BB814_794 Depth=1
	v_lshrrev_b32_e32 v6, 24, v4
	v_cmp_ne_u32_e32 vcc, s23, v6
	v_mov_b32_e32 v19, 0xffff8000
	s_and_saveexec_b64 s[18:19], vcc
	s_cbranch_execz .LBB814_889
; %bb.886:                              ;   in Loop: Header=BB814_794 Depth=1
	v_bfe_u32 v4, v4, 24, 7
	v_cmp_ne_u32_e32 vcc, s25, v4
	v_mov_b32_e32 v19, 0x7f80
	s_and_saveexec_b64 s[20:21], vcc
	s_cbranch_execz .LBB814_888
; %bb.887:                              ;   in Loop: Header=BB814_794 Depth=1
	v_and_b32_e32 v19, 7, v6
	v_ffbh_u32_e32 v20, v19
	v_min_u32_e32 v23, 32, v20
	v_subrev_u32_e32 v20, 28, v23
	v_lshlrev_b64 v[20:21], v20, v[6:7]
	v_lshrrev_b32_e32 v22, 3, v4
	v_sub_u32_e32 v21, 29, v23
	v_and_b32_e32 v20, 7, v20
	v_cmp_gt_u32_e32 vcc, 8, v4
	v_cndmask_b32_e32 v4, v22, v21, vcc
	v_cndmask_b32_e32 v19, v19, v20, vcc
	v_lshlrev_b32_e32 v6, 24, v6
	v_lshlrev_b32_e32 v19, 20, v19
	v_and_b32_e32 v6, 0x80000000, v6
	v_lshl_add_u32 v4, v4, 23, v10
	v_or3_b32 v4, v6, v4, v19
	v_lshrrev_b32_e32 v19, 16, v4
.LBB814_888:                            ;   in Loop: Header=BB814_794 Depth=1
	s_or_b64 exec, exec, s[20:21]
.LBB814_889:                            ;   in Loop: Header=BB814_794 Depth=1
	s_or_b64 exec, exec, s[18:19]
.LBB814_890:                            ;   in Loop: Header=BB814_794 Depth=1
	s_or_b64 exec, exec, s[16:17]
	buffer_load_dword v6, v11, s[0:3], 0 offen offset:16
	buffer_load_dword v4, v11, s[0:3], 0 offen offset:20
	v_perm_b32 v15, v17, v15, s27
	v_perm_b32 v14, v14, v12, s27
	;; [unrolled: 1-line block ×4, first 2 shown]
	v_mfma_f32_4x4x4bf16_1k a[0:3], v[2:3], v[14:15], a[0:3] cbsz:4 abid:2
	s_waitcnt vmcnt(1)
	v_cmp_ne_u16_sdwa s[18:19], v6, v9 src0_sel:BYTE_0 src1_sel:DWORD
	v_mfma_f32_4x4x4bf16_1k a[0:3], v[2:3], v[16:17], a[0:3] cbsz:4 abid:3
	s_and_saveexec_b64 s[16:17], s[18:19]
	s_cbranch_execz .LBB814_896
; %bb.891:                              ;   in Loop: Header=BB814_794 Depth=1
	v_cmp_ne_u16_sdwa s[20:21], v6, s23 src0_sel:BYTE_0 src1_sel:DWORD
	v_mov_b32_e32 v13, 0xffff8000
	s_and_saveexec_b64 s[18:19], s[20:21]
	s_cbranch_execz .LBB814_895
; %bb.892:                              ;   in Loop: Header=BB814_794 Depth=1
	v_and_b32_e32 v8, 0x7f, v6
	v_cmp_ne_u32_e32 vcc, s25, v8
	v_mov_b32_e32 v13, 0x7f80
	s_and_saveexec_b64 s[20:21], vcc
	s_cbranch_execz .LBB814_894
; %bb.893:                              ;   in Loop: Header=BB814_794 Depth=1
	v_and_b32_e32 v14, 7, v6
	v_ffbh_u32_e32 v12, v14
	v_min_u32_e32 v16, 32, v12
	v_subrev_u32_e32 v12, 28, v16
	v_lshlrev_b64 v[12:13], v12, v[6:7]
	v_lshrrev_b32_e32 v15, 3, v8
	v_sub_u32_e32 v13, 29, v16
	v_and_b32_e32 v12, 7, v12
	v_cmp_gt_u32_e32 vcc, 8, v8
	v_cndmask_b32_e32 v8, v15, v13, vcc
	v_cndmask_b32_e32 v12, v14, v12, vcc
	v_lshlrev_b32_e32 v13, 24, v6
	v_lshlrev_b32_e32 v12, 20, v12
	v_and_b32_e32 v13, 0x80000000, v13
	v_lshl_add_u32 v8, v8, 23, v10
	v_or3_b32 v8, v13, v8, v12
	v_lshrrev_b32_e32 v13, 16, v8
.LBB814_894:                            ;   in Loop: Header=BB814_794 Depth=1
	s_or_b64 exec, exec, s[20:21]
.LBB814_895:                            ;   in Loop: Header=BB814_794 Depth=1
	s_or_b64 exec, exec, s[18:19]
.LBB814_896:                            ;   in Loop: Header=BB814_794 Depth=1
	s_or_b64 exec, exec, s[16:17]
	v_lshrrev_b16_e32 v8, 8, v6
	v_cmp_ne_u16_e32 vcc, 0, v8
	v_mov_b32_e32 v15, 0
	v_mov_b32_e32 v14, 0
	s_and_saveexec_b64 s[16:17], vcc
	s_cbranch_execz .LBB814_902
; %bb.897:                              ;   in Loop: Header=BB814_794 Depth=1
	v_cmp_ne_u16_e32 vcc, s23, v8
	v_mov_b32_e32 v14, 0xffff8000
	s_and_saveexec_b64 s[18:19], vcc
	s_cbranch_execz .LBB814_901
; %bb.898:                              ;   in Loop: Header=BB814_794 Depth=1
	v_and_b32_e32 v12, 0x7f, v8
	v_cmp_ne_u32_e32 vcc, s25, v12
	v_mov_b32_e32 v14, 0x7f80
	s_and_saveexec_b64 s[20:21], vcc
	s_cbranch_execz .LBB814_900
; %bb.899:                              ;   in Loop: Header=BB814_794 Depth=1
	v_and_b32_e32 v14, 7, v8
	v_ffbh_u32_e32 v16, v14
	v_min_u32_e32 v19, 32, v16
	v_subrev_u32_e32 v16, 28, v19
	v_lshlrev_b64 v[16:17], v16, v[8:9]
	v_lshrrev_b32_e32 v18, 3, v12
	v_sub_u32_e32 v8, 29, v19
	v_and_b32_e32 v16, 7, v16
	v_cmp_gt_u32_e32 vcc, 8, v12
	v_cndmask_b32_e32 v8, v18, v8, vcc
	v_cndmask_b32_e32 v12, v14, v16, vcc
	v_lshlrev_b32_e32 v14, 16, v6
	v_lshlrev_b32_e32 v12, 20, v12
	v_and_b32_e32 v14, 0x80000000, v14
	v_lshl_add_u32 v8, v8, 23, v10
	v_or3_b32 v8, v14, v8, v12
	v_lshrrev_b32_e32 v14, 16, v8
.LBB814_900:                            ;   in Loop: Header=BB814_794 Depth=1
	s_or_b64 exec, exec, s[20:21]
.LBB814_901:                            ;   in Loop: Header=BB814_794 Depth=1
	s_or_b64 exec, exec, s[18:19]
.LBB814_902:                            ;   in Loop: Header=BB814_794 Depth=1
	s_or_b64 exec, exec, s[16:17]
	v_lshrrev_b32_e32 v8, 16, v6
	v_cmp_ne_u16_sdwa s[18:19], v8, v9 src0_sel:BYTE_0 src1_sel:DWORD
	s_and_saveexec_b64 s[16:17], s[18:19]
	s_cbranch_execz .LBB814_908
; %bb.903:                              ;   in Loop: Header=BB814_794 Depth=1
	v_cmp_ne_u16_sdwa s[20:21], v8, s23 src0_sel:BYTE_0 src1_sel:DWORD
	v_mov_b32_e32 v15, 0xffff8000
	s_and_saveexec_b64 s[18:19], s[20:21]
	s_cbranch_execz .LBB814_907
; %bb.904:                              ;   in Loop: Header=BB814_794 Depth=1
	v_bfe_u32 v12, v6, 16, 7
	v_cmp_ne_u32_e32 vcc, s25, v12
	v_mov_b32_e32 v15, 0x7f80
	s_and_saveexec_b64 s[20:21], vcc
	s_cbranch_execz .LBB814_906
; %bb.905:                              ;   in Loop: Header=BB814_794 Depth=1
	v_and_b32_e32 v15, 7, v8
	v_ffbh_u32_e32 v16, v15
	v_min_u32_e32 v19, 32, v16
	v_subrev_u32_e32 v16, 28, v19
	v_lshlrev_b64 v[16:17], v16, v[8:9]
	v_lshrrev_b32_e32 v18, 3, v12
	v_sub_u32_e32 v17, 29, v19
	v_and_b32_e32 v16, 7, v16
	v_cmp_gt_u32_e32 vcc, 8, v12
	v_cndmask_b32_e32 v12, v18, v17, vcc
	v_cndmask_b32_e32 v15, v15, v16, vcc
	v_lshlrev_b32_e32 v8, 24, v8
	v_lshlrev_b32_e32 v15, 20, v15
	v_and_b32_e32 v8, 0x80000000, v8
	v_lshl_add_u32 v12, v12, 23, v10
	v_or3_b32 v8, v8, v12, v15
	v_lshrrev_b32_e32 v15, 16, v8
.LBB814_906:                            ;   in Loop: Header=BB814_794 Depth=1
	s_or_b64 exec, exec, s[20:21]
.LBB814_907:                            ;   in Loop: Header=BB814_794 Depth=1
	s_or_b64 exec, exec, s[18:19]
.LBB814_908:                            ;   in Loop: Header=BB814_794 Depth=1
	s_or_b64 exec, exec, s[16:17]
	v_cmp_lt_u32_e32 vcc, s26, v6
	v_mov_b32_e32 v16, 0
	v_mov_b32_e32 v17, 0
	s_and_saveexec_b64 s[16:17], vcc
	s_cbranch_execz .LBB814_914
; %bb.909:                              ;   in Loop: Header=BB814_794 Depth=1
	v_lshrrev_b32_e32 v8, 24, v6
	v_cmp_ne_u32_e32 vcc, s23, v8
	v_mov_b32_e32 v17, 0xffff8000
	s_and_saveexec_b64 s[18:19], vcc
	s_cbranch_execz .LBB814_913
; %bb.910:                              ;   in Loop: Header=BB814_794 Depth=1
	v_bfe_u32 v6, v6, 24, 7
	v_cmp_ne_u32_e32 vcc, s25, v6
	v_mov_b32_e32 v17, 0x7f80
	s_and_saveexec_b64 s[20:21], vcc
	s_cbranch_execz .LBB814_912
; %bb.911:                              ;   in Loop: Header=BB814_794 Depth=1
	v_and_b32_e32 v12, 7, v8
	v_ffbh_u32_e32 v18, v12
	v_min_u32_e32 v20, 32, v18
	v_subrev_u32_e32 v18, 28, v20
	v_lshlrev_b64 v[18:19], v18, v[8:9]
	v_lshrrev_b32_e32 v17, 3, v6
	v_sub_u32_e32 v19, 29, v20
	v_and_b32_e32 v18, 7, v18
	v_cmp_gt_u32_e32 vcc, 8, v6
	v_cndmask_b32_e32 v6, v17, v19, vcc
	v_cndmask_b32_e32 v12, v12, v18, vcc
	v_lshlrev_b32_e32 v8, 24, v8
	v_lshlrev_b32_e32 v12, 20, v12
	v_and_b32_e32 v8, 0x80000000, v8
	v_lshl_add_u32 v6, v6, 23, v10
	v_or3_b32 v6, v8, v6, v12
	v_lshrrev_b32_e32 v17, 16, v6
.LBB814_912:                            ;   in Loop: Header=BB814_794 Depth=1
	s_or_b64 exec, exec, s[20:21]
.LBB814_913:                            ;   in Loop: Header=BB814_794 Depth=1
	s_or_b64 exec, exec, s[18:19]
.LBB814_914:                            ;   in Loop: Header=BB814_794 Depth=1
	s_or_b64 exec, exec, s[16:17]
	s_waitcnt vmcnt(0)
	v_cmp_ne_u16_sdwa s[18:19], v4, v9 src0_sel:BYTE_0 src1_sel:DWORD
	s_and_saveexec_b64 s[16:17], s[18:19]
	s_cbranch_execz .LBB814_920
; %bb.915:                              ;   in Loop: Header=BB814_794 Depth=1
	v_cmp_ne_u16_sdwa s[20:21], v4, s23 src0_sel:BYTE_0 src1_sel:DWORD
	v_mov_b32_e32 v16, 0xffff8000
	s_and_saveexec_b64 s[18:19], s[20:21]
	s_cbranch_execz .LBB814_919
; %bb.916:                              ;   in Loop: Header=BB814_794 Depth=1
	v_and_b32_e32 v6, 0x7f, v4
	v_cmp_ne_u32_e32 vcc, s25, v6
	v_mov_b32_e32 v16, 0x7f80
	s_and_saveexec_b64 s[20:21], vcc
	s_cbranch_execz .LBB814_918
; %bb.917:                              ;   in Loop: Header=BB814_794 Depth=1
	v_and_b32_e32 v8, 7, v4
	v_ffbh_u32_e32 v16, v8
	v_min_u32_e32 v16, 32, v16
	v_subrev_u32_e32 v18, 28, v16
	v_lshlrev_b64 v[18:19], v18, v[4:5]
	v_lshrrev_b32_e32 v12, 3, v6
	v_sub_u32_e32 v16, 29, v16
	v_and_b32_e32 v18, 7, v18
	v_cmp_gt_u32_e32 vcc, 8, v6
	v_cndmask_b32_e32 v6, v12, v16, vcc
	v_cndmask_b32_e32 v8, v8, v18, vcc
	v_lshlrev_b32_e32 v12, 24, v4
	v_lshlrev_b32_e32 v8, 20, v8
	v_and_b32_e32 v12, 0x80000000, v12
	v_lshl_add_u32 v6, v6, 23, v10
	v_or3_b32 v6, v12, v6, v8
	v_lshrrev_b32_e32 v16, 16, v6
.LBB814_918:                            ;   in Loop: Header=BB814_794 Depth=1
	s_or_b64 exec, exec, s[20:21]
.LBB814_919:                            ;   in Loop: Header=BB814_794 Depth=1
	s_or_b64 exec, exec, s[18:19]
.LBB814_920:                            ;   in Loop: Header=BB814_794 Depth=1
	s_or_b64 exec, exec, s[16:17]
	v_lshrrev_b16_e32 v6, 8, v4
	v_cmp_ne_u16_e32 vcc, 0, v6
	v_mov_b32_e32 v18, 0
	v_mov_b32_e32 v8, 0
	s_and_saveexec_b64 s[16:17], vcc
	s_cbranch_execz .LBB814_926
; %bb.921:                              ;   in Loop: Header=BB814_794 Depth=1
	v_cmp_ne_u16_e32 vcc, s23, v6
	v_mov_b32_e32 v8, 0xffff8000
	s_and_saveexec_b64 s[18:19], vcc
	s_cbranch_execz .LBB814_925
; %bb.922:                              ;   in Loop: Header=BB814_794 Depth=1
	v_and_b32_e32 v12, 0x7f, v6
	v_cmp_ne_u32_e32 vcc, s25, v12
	v_mov_b32_e32 v8, 0x7f80
	s_and_saveexec_b64 s[20:21], vcc
	s_cbranch_execz .LBB814_924
; %bb.923:                              ;   in Loop: Header=BB814_794 Depth=1
	v_and_b32_e32 v8, 7, v6
	v_ffbh_u32_e32 v20, v8
	v_min_u32_e32 v22, 32, v20
	v_subrev_u32_e32 v20, 28, v22
	v_lshlrev_b64 v[20:21], v20, v[6:7]
	v_lshrrev_b32_e32 v19, 3, v12
	v_sub_u32_e32 v6, 29, v22
	v_and_b32_e32 v20, 7, v20
	v_cmp_gt_u32_e32 vcc, 8, v12
	v_cndmask_b32_e32 v6, v19, v6, vcc
	v_cndmask_b32_e32 v8, v8, v20, vcc
	v_lshlrev_b32_e32 v12, 16, v4
	v_lshlrev_b32_e32 v8, 20, v8
	v_and_b32_e32 v12, 0x80000000, v12
	v_lshl_add_u32 v6, v6, 23, v10
	v_or3_b32 v6, v12, v6, v8
	v_lshrrev_b32_e32 v8, 16, v6
.LBB814_924:                            ;   in Loop: Header=BB814_794 Depth=1
	s_or_b64 exec, exec, s[20:21]
.LBB814_925:                            ;   in Loop: Header=BB814_794 Depth=1
	s_or_b64 exec, exec, s[18:19]
.LBB814_926:                            ;   in Loop: Header=BB814_794 Depth=1
	s_or_b64 exec, exec, s[16:17]
	v_lshrrev_b32_e32 v6, 16, v4
	v_cmp_ne_u16_sdwa s[18:19], v6, v9 src0_sel:BYTE_0 src1_sel:DWORD
	s_and_saveexec_b64 s[16:17], s[18:19]
	s_cbranch_execz .LBB814_932
; %bb.927:                              ;   in Loop: Header=BB814_794 Depth=1
	v_cmp_ne_u16_sdwa s[20:21], v6, s23 src0_sel:BYTE_0 src1_sel:DWORD
	v_mov_b32_e32 v18, 0xffff8000
	s_and_saveexec_b64 s[18:19], s[20:21]
	s_cbranch_execz .LBB814_931
; %bb.928:                              ;   in Loop: Header=BB814_794 Depth=1
	v_bfe_u32 v12, v4, 16, 7
	v_cmp_ne_u32_e32 vcc, s25, v12
	v_mov_b32_e32 v18, 0x7f80
	s_and_saveexec_b64 s[20:21], vcc
	s_cbranch_execz .LBB814_930
; %bb.929:                              ;   in Loop: Header=BB814_794 Depth=1
	v_and_b32_e32 v20, 7, v6
	v_ffbh_u32_e32 v18, v20
	v_min_u32_e32 v22, 32, v18
	v_subrev_u32_e32 v18, 28, v22
	v_lshlrev_b64 v[18:19], v18, v[6:7]
	v_lshrrev_b32_e32 v21, 3, v12
	v_sub_u32_e32 v19, 29, v22
	v_and_b32_e32 v18, 7, v18
	v_cmp_gt_u32_e32 vcc, 8, v12
	v_cndmask_b32_e32 v12, v21, v19, vcc
	v_cndmask_b32_e32 v18, v20, v18, vcc
	v_lshlrev_b32_e32 v6, 24, v6
	v_lshlrev_b32_e32 v18, 20, v18
	v_and_b32_e32 v6, 0x80000000, v6
	v_lshl_add_u32 v12, v12, 23, v10
	v_or3_b32 v6, v6, v12, v18
	v_lshrrev_b32_e32 v18, 16, v6
.LBB814_930:                            ;   in Loop: Header=BB814_794 Depth=1
	s_or_b64 exec, exec, s[20:21]
.LBB814_931:                            ;   in Loop: Header=BB814_794 Depth=1
	s_or_b64 exec, exec, s[18:19]
.LBB814_932:                            ;   in Loop: Header=BB814_794 Depth=1
	s_or_b64 exec, exec, s[16:17]
	v_cmp_lt_u32_e32 vcc, s26, v4
	v_mov_b32_e32 v12, 0
	v_mov_b32_e32 v19, 0
	s_and_saveexec_b64 s[16:17], vcc
	s_cbranch_execz .LBB814_938
; %bb.933:                              ;   in Loop: Header=BB814_794 Depth=1
	v_lshrrev_b32_e32 v6, 24, v4
	v_cmp_ne_u32_e32 vcc, s23, v6
	v_mov_b32_e32 v19, 0xffff8000
	s_and_saveexec_b64 s[18:19], vcc
	s_cbranch_execz .LBB814_937
; %bb.934:                              ;   in Loop: Header=BB814_794 Depth=1
	v_bfe_u32 v4, v4, 24, 7
	v_cmp_ne_u32_e32 vcc, s25, v4
	v_mov_b32_e32 v19, 0x7f80
	s_and_saveexec_b64 s[20:21], vcc
	s_cbranch_execz .LBB814_936
; %bb.935:                              ;   in Loop: Header=BB814_794 Depth=1
	v_and_b32_e32 v19, 7, v6
	v_ffbh_u32_e32 v20, v19
	v_min_u32_e32 v23, 32, v20
	v_subrev_u32_e32 v20, 28, v23
	v_lshlrev_b64 v[20:21], v20, v[6:7]
	v_lshrrev_b32_e32 v22, 3, v4
	v_sub_u32_e32 v21, 29, v23
	v_and_b32_e32 v20, 7, v20
	v_cmp_gt_u32_e32 vcc, 8, v4
	v_cndmask_b32_e32 v4, v22, v21, vcc
	v_cndmask_b32_e32 v19, v19, v20, vcc
	v_lshlrev_b32_e32 v6, 24, v6
	v_lshlrev_b32_e32 v19, 20, v19
	v_and_b32_e32 v6, 0x80000000, v6
	v_lshl_add_u32 v4, v4, 23, v10
	v_or3_b32 v4, v6, v4, v19
	v_lshrrev_b32_e32 v19, 16, v4
.LBB814_936:                            ;   in Loop: Header=BB814_794 Depth=1
	s_or_b64 exec, exec, s[20:21]
.LBB814_937:                            ;   in Loop: Header=BB814_794 Depth=1
	s_or_b64 exec, exec, s[18:19]
.LBB814_938:                            ;   in Loop: Header=BB814_794 Depth=1
	s_or_b64 exec, exec, s[16:17]
	buffer_load_dword v6, v11, s[0:3], 0 offen offset:24
	buffer_load_dword v4, v11, s[0:3], 0 offen offset:28
	v_perm_b32 v15, v17, v15, s27
	v_perm_b32 v14, v14, v13, s27
	;; [unrolled: 1-line block ×4, first 2 shown]
	v_mfma_f32_4x4x4bf16_1k a[0:3], v[2:3], v[14:15], a[0:3] cbsz:4 abid:4
	s_waitcnt vmcnt(1)
	v_cmp_ne_u16_sdwa s[18:19], v6, v9 src0_sel:BYTE_0 src1_sel:DWORD
	v_mfma_f32_4x4x4bf16_1k a[0:3], v[2:3], v[16:17], a[0:3] cbsz:4 abid:5
	s_and_saveexec_b64 s[16:17], s[18:19]
	s_cbranch_execz .LBB814_944
; %bb.939:                              ;   in Loop: Header=BB814_794 Depth=1
	v_cmp_ne_u16_sdwa s[20:21], v6, s23 src0_sel:BYTE_0 src1_sel:DWORD
	v_mov_b32_e32 v12, 0xffff8000
	s_and_saveexec_b64 s[18:19], s[20:21]
	s_cbranch_execz .LBB814_943
; %bb.940:                              ;   in Loop: Header=BB814_794 Depth=1
	v_and_b32_e32 v8, 0x7f, v6
	v_cmp_ne_u32_e32 vcc, s25, v8
	v_mov_b32_e32 v12, 0x7f80
	s_and_saveexec_b64 s[20:21], vcc
	s_cbranch_execz .LBB814_942
; %bb.941:                              ;   in Loop: Header=BB814_794 Depth=1
	v_and_b32_e32 v14, 7, v6
	v_ffbh_u32_e32 v12, v14
	v_min_u32_e32 v16, 32, v12
	v_subrev_u32_e32 v12, 28, v16
	v_lshlrev_b64 v[12:13], v12, v[6:7]
	v_lshrrev_b32_e32 v15, 3, v8
	v_sub_u32_e32 v13, 29, v16
	v_and_b32_e32 v12, 7, v12
	v_cmp_gt_u32_e32 vcc, 8, v8
	v_cndmask_b32_e32 v8, v15, v13, vcc
	v_cndmask_b32_e32 v12, v14, v12, vcc
	v_lshlrev_b32_e32 v13, 24, v6
	v_lshlrev_b32_e32 v12, 20, v12
	v_and_b32_e32 v13, 0x80000000, v13
	v_lshl_add_u32 v8, v8, 23, v10
	v_or3_b32 v8, v13, v8, v12
	v_lshrrev_b32_e32 v12, 16, v8
.LBB814_942:                            ;   in Loop: Header=BB814_794 Depth=1
	s_or_b64 exec, exec, s[20:21]
.LBB814_943:                            ;   in Loop: Header=BB814_794 Depth=1
	s_or_b64 exec, exec, s[18:19]
.LBB814_944:                            ;   in Loop: Header=BB814_794 Depth=1
	s_or_b64 exec, exec, s[16:17]
	v_lshrrev_b16_e32 v8, 8, v6
	v_cmp_ne_u16_e32 vcc, 0, v8
	v_mov_b32_e32 v15, 0
	v_mov_b32_e32 v14, 0
	s_and_saveexec_b64 s[16:17], vcc
	s_cbranch_execz .LBB814_950
; %bb.945:                              ;   in Loop: Header=BB814_794 Depth=1
	v_cmp_ne_u16_e32 vcc, s23, v8
	v_mov_b32_e32 v14, 0xffff8000
	s_and_saveexec_b64 s[18:19], vcc
	s_cbranch_execz .LBB814_949
; %bb.946:                              ;   in Loop: Header=BB814_794 Depth=1
	v_and_b32_e32 v13, 0x7f, v8
	v_cmp_ne_u32_e32 vcc, s25, v13
	v_mov_b32_e32 v14, 0x7f80
	s_and_saveexec_b64 s[20:21], vcc
	s_cbranch_execz .LBB814_948
; %bb.947:                              ;   in Loop: Header=BB814_794 Depth=1
	v_and_b32_e32 v14, 7, v8
	v_ffbh_u32_e32 v16, v14
	v_min_u32_e32 v19, 32, v16
	v_subrev_u32_e32 v16, 28, v19
	v_lshlrev_b64 v[16:17], v16, v[8:9]
	v_lshrrev_b32_e32 v18, 3, v13
	v_sub_u32_e32 v8, 29, v19
	v_and_b32_e32 v16, 7, v16
	v_cmp_gt_u32_e32 vcc, 8, v13
	v_cndmask_b32_e32 v8, v18, v8, vcc
	v_cndmask_b32_e32 v13, v14, v16, vcc
	v_lshlrev_b32_e32 v14, 16, v6
	v_lshlrev_b32_e32 v13, 20, v13
	v_and_b32_e32 v14, 0x80000000, v14
	v_lshl_add_u32 v8, v8, 23, v10
	v_or3_b32 v8, v14, v8, v13
	v_lshrrev_b32_e32 v14, 16, v8
.LBB814_948:                            ;   in Loop: Header=BB814_794 Depth=1
	s_or_b64 exec, exec, s[20:21]
.LBB814_949:                            ;   in Loop: Header=BB814_794 Depth=1
	s_or_b64 exec, exec, s[18:19]
.LBB814_950:                            ;   in Loop: Header=BB814_794 Depth=1
	s_or_b64 exec, exec, s[16:17]
	v_lshrrev_b32_e32 v8, 16, v6
	v_cmp_ne_u16_sdwa s[18:19], v8, v9 src0_sel:BYTE_0 src1_sel:DWORD
	s_and_saveexec_b64 s[16:17], s[18:19]
	s_cbranch_execz .LBB814_956
; %bb.951:                              ;   in Loop: Header=BB814_794 Depth=1
	v_cmp_ne_u16_sdwa s[20:21], v8, s23 src0_sel:BYTE_0 src1_sel:DWORD
	v_mov_b32_e32 v15, 0xffff8000
	s_and_saveexec_b64 s[18:19], s[20:21]
	s_cbranch_execz .LBB814_955
; %bb.952:                              ;   in Loop: Header=BB814_794 Depth=1
	v_bfe_u32 v13, v6, 16, 7
	v_cmp_ne_u32_e32 vcc, s25, v13
	v_mov_b32_e32 v15, 0x7f80
	s_and_saveexec_b64 s[20:21], vcc
	s_cbranch_execz .LBB814_954
; %bb.953:                              ;   in Loop: Header=BB814_794 Depth=1
	v_and_b32_e32 v15, 7, v8
	v_ffbh_u32_e32 v16, v15
	v_min_u32_e32 v19, 32, v16
	v_subrev_u32_e32 v16, 28, v19
	v_lshlrev_b64 v[16:17], v16, v[8:9]
	v_lshrrev_b32_e32 v18, 3, v13
	v_sub_u32_e32 v17, 29, v19
	v_and_b32_e32 v16, 7, v16
	v_cmp_gt_u32_e32 vcc, 8, v13
	v_cndmask_b32_e32 v13, v18, v17, vcc
	v_cndmask_b32_e32 v15, v15, v16, vcc
	v_lshlrev_b32_e32 v8, 24, v8
	v_lshlrev_b32_e32 v15, 20, v15
	v_and_b32_e32 v8, 0x80000000, v8
	v_lshl_add_u32 v13, v13, 23, v10
	v_or3_b32 v8, v8, v13, v15
	v_lshrrev_b32_e32 v15, 16, v8
.LBB814_954:                            ;   in Loop: Header=BB814_794 Depth=1
	s_or_b64 exec, exec, s[20:21]
.LBB814_955:                            ;   in Loop: Header=BB814_794 Depth=1
	s_or_b64 exec, exec, s[18:19]
.LBB814_956:                            ;   in Loop: Header=BB814_794 Depth=1
	s_or_b64 exec, exec, s[16:17]
	v_cmp_lt_u32_e32 vcc, s26, v6
	v_mov_b32_e32 v16, 0
	v_mov_b32_e32 v17, 0
	s_and_saveexec_b64 s[16:17], vcc
	s_cbranch_execz .LBB814_962
; %bb.957:                              ;   in Loop: Header=BB814_794 Depth=1
	v_lshrrev_b32_e32 v8, 24, v6
	v_cmp_ne_u32_e32 vcc, s23, v8
	v_mov_b32_e32 v17, 0xffff8000
	s_and_saveexec_b64 s[18:19], vcc
	s_cbranch_execz .LBB814_961
; %bb.958:                              ;   in Loop: Header=BB814_794 Depth=1
	v_bfe_u32 v6, v6, 24, 7
	v_cmp_ne_u32_e32 vcc, s25, v6
	v_mov_b32_e32 v17, 0x7f80
	s_and_saveexec_b64 s[20:21], vcc
	s_cbranch_execz .LBB814_960
; %bb.959:                              ;   in Loop: Header=BB814_794 Depth=1
	v_and_b32_e32 v13, 7, v8
	v_ffbh_u32_e32 v18, v13
	v_min_u32_e32 v20, 32, v18
	v_subrev_u32_e32 v18, 28, v20
	v_lshlrev_b64 v[18:19], v18, v[8:9]
	v_lshrrev_b32_e32 v17, 3, v6
	v_sub_u32_e32 v19, 29, v20
	v_and_b32_e32 v18, 7, v18
	v_cmp_gt_u32_e32 vcc, 8, v6
	v_cndmask_b32_e32 v6, v17, v19, vcc
	v_cndmask_b32_e32 v13, v13, v18, vcc
	v_lshlrev_b32_e32 v8, 24, v8
	v_lshlrev_b32_e32 v13, 20, v13
	v_and_b32_e32 v8, 0x80000000, v8
	v_lshl_add_u32 v6, v6, 23, v10
	v_or3_b32 v6, v8, v6, v13
	v_lshrrev_b32_e32 v17, 16, v6
.LBB814_960:                            ;   in Loop: Header=BB814_794 Depth=1
	s_or_b64 exec, exec, s[20:21]
.LBB814_961:                            ;   in Loop: Header=BB814_794 Depth=1
	s_or_b64 exec, exec, s[18:19]
.LBB814_962:                            ;   in Loop: Header=BB814_794 Depth=1
	s_or_b64 exec, exec, s[16:17]
	s_waitcnt vmcnt(0)
	v_cmp_ne_u16_sdwa s[18:19], v4, v9 src0_sel:BYTE_0 src1_sel:DWORD
	s_and_saveexec_b64 s[16:17], s[18:19]
	s_cbranch_execz .LBB814_968
; %bb.963:                              ;   in Loop: Header=BB814_794 Depth=1
	v_cmp_ne_u16_sdwa s[20:21], v4, s23 src0_sel:BYTE_0 src1_sel:DWORD
	v_mov_b32_e32 v16, 0xffff8000
	s_and_saveexec_b64 s[18:19], s[20:21]
	s_cbranch_execz .LBB814_967
; %bb.964:                              ;   in Loop: Header=BB814_794 Depth=1
	v_and_b32_e32 v6, 0x7f, v4
	v_cmp_ne_u32_e32 vcc, s25, v6
	v_mov_b32_e32 v16, 0x7f80
	s_and_saveexec_b64 s[20:21], vcc
	s_cbranch_execz .LBB814_966
; %bb.965:                              ;   in Loop: Header=BB814_794 Depth=1
	v_and_b32_e32 v8, 7, v4
	v_ffbh_u32_e32 v16, v8
	v_min_u32_e32 v16, 32, v16
	v_subrev_u32_e32 v18, 28, v16
	v_lshlrev_b64 v[18:19], v18, v[4:5]
	v_lshrrev_b32_e32 v13, 3, v6
	v_sub_u32_e32 v16, 29, v16
	v_and_b32_e32 v18, 7, v18
	v_cmp_gt_u32_e32 vcc, 8, v6
	v_cndmask_b32_e32 v6, v13, v16, vcc
	v_cndmask_b32_e32 v8, v8, v18, vcc
	v_lshlrev_b32_e32 v13, 24, v4
	v_lshlrev_b32_e32 v8, 20, v8
	v_and_b32_e32 v13, 0x80000000, v13
	v_lshl_add_u32 v6, v6, 23, v10
	v_or3_b32 v6, v13, v6, v8
	v_lshrrev_b32_e32 v16, 16, v6
.LBB814_966:                            ;   in Loop: Header=BB814_794 Depth=1
	s_or_b64 exec, exec, s[20:21]
.LBB814_967:                            ;   in Loop: Header=BB814_794 Depth=1
	s_or_b64 exec, exec, s[18:19]
.LBB814_968:                            ;   in Loop: Header=BB814_794 Depth=1
	s_or_b64 exec, exec, s[16:17]
	v_lshrrev_b16_e32 v6, 8, v4
	v_cmp_ne_u16_e32 vcc, 0, v6
	v_mov_b32_e32 v18, 0
	v_mov_b32_e32 v8, 0
	s_and_saveexec_b64 s[16:17], vcc
	s_cbranch_execz .LBB814_974
; %bb.969:                              ;   in Loop: Header=BB814_794 Depth=1
	v_cmp_ne_u16_e32 vcc, s23, v6
	v_mov_b32_e32 v8, 0xffff8000
	s_and_saveexec_b64 s[18:19], vcc
	s_cbranch_execz .LBB814_973
; %bb.970:                              ;   in Loop: Header=BB814_794 Depth=1
	v_and_b32_e32 v13, 0x7f, v6
	v_cmp_ne_u32_e32 vcc, s25, v13
	v_mov_b32_e32 v8, 0x7f80
	s_and_saveexec_b64 s[20:21], vcc
	s_cbranch_execz .LBB814_972
; %bb.971:                              ;   in Loop: Header=BB814_794 Depth=1
	v_and_b32_e32 v8, 7, v6
	v_ffbh_u32_e32 v20, v8
	v_min_u32_e32 v22, 32, v20
	v_subrev_u32_e32 v20, 28, v22
	v_lshlrev_b64 v[20:21], v20, v[6:7]
	v_lshrrev_b32_e32 v19, 3, v13
	v_sub_u32_e32 v6, 29, v22
	v_and_b32_e32 v20, 7, v20
	v_cmp_gt_u32_e32 vcc, 8, v13
	v_cndmask_b32_e32 v6, v19, v6, vcc
	v_cndmask_b32_e32 v8, v8, v20, vcc
	v_lshlrev_b32_e32 v13, 16, v4
	v_lshlrev_b32_e32 v8, 20, v8
	v_and_b32_e32 v13, 0x80000000, v13
	v_lshl_add_u32 v6, v6, 23, v10
	v_or3_b32 v6, v13, v6, v8
	v_lshrrev_b32_e32 v8, 16, v6
.LBB814_972:                            ;   in Loop: Header=BB814_794 Depth=1
	s_or_b64 exec, exec, s[20:21]
.LBB814_973:                            ;   in Loop: Header=BB814_794 Depth=1
	s_or_b64 exec, exec, s[18:19]
.LBB814_974:                            ;   in Loop: Header=BB814_794 Depth=1
	s_or_b64 exec, exec, s[16:17]
	v_lshrrev_b32_e32 v6, 16, v4
	v_cmp_ne_u16_sdwa s[18:19], v6, v9 src0_sel:BYTE_0 src1_sel:DWORD
	s_and_saveexec_b64 s[16:17], s[18:19]
	s_cbranch_execz .LBB814_980
; %bb.975:                              ;   in Loop: Header=BB814_794 Depth=1
	v_cmp_ne_u16_sdwa s[20:21], v6, s23 src0_sel:BYTE_0 src1_sel:DWORD
	v_mov_b32_e32 v18, 0xffff8000
	s_and_saveexec_b64 s[18:19], s[20:21]
	s_cbranch_execz .LBB814_979
; %bb.976:                              ;   in Loop: Header=BB814_794 Depth=1
	v_bfe_u32 v13, v4, 16, 7
	v_cmp_ne_u32_e32 vcc, s25, v13
	v_mov_b32_e32 v18, 0x7f80
	s_and_saveexec_b64 s[20:21], vcc
	s_cbranch_execz .LBB814_978
; %bb.977:                              ;   in Loop: Header=BB814_794 Depth=1
	v_and_b32_e32 v20, 7, v6
	v_ffbh_u32_e32 v18, v20
	v_min_u32_e32 v22, 32, v18
	v_subrev_u32_e32 v18, 28, v22
	v_lshlrev_b64 v[18:19], v18, v[6:7]
	v_lshrrev_b32_e32 v21, 3, v13
	v_sub_u32_e32 v19, 29, v22
	v_and_b32_e32 v18, 7, v18
	v_cmp_gt_u32_e32 vcc, 8, v13
	v_cndmask_b32_e32 v13, v21, v19, vcc
	v_cndmask_b32_e32 v18, v20, v18, vcc
	v_lshlrev_b32_e32 v6, 24, v6
	v_lshlrev_b32_e32 v18, 20, v18
	v_and_b32_e32 v6, 0x80000000, v6
	v_lshl_add_u32 v13, v13, 23, v10
	v_or3_b32 v6, v6, v13, v18
	v_lshrrev_b32_e32 v18, 16, v6
.LBB814_978:                            ;   in Loop: Header=BB814_794 Depth=1
	s_or_b64 exec, exec, s[20:21]
.LBB814_979:                            ;   in Loop: Header=BB814_794 Depth=1
	s_or_b64 exec, exec, s[18:19]
.LBB814_980:                            ;   in Loop: Header=BB814_794 Depth=1
	s_or_b64 exec, exec, s[16:17]
	v_cmp_lt_u32_e32 vcc, s26, v4
	v_mov_b32_e32 v13, 0
	v_mov_b32_e32 v19, 0
	s_and_saveexec_b64 s[16:17], vcc
	s_cbranch_execz .LBB814_986
; %bb.981:                              ;   in Loop: Header=BB814_794 Depth=1
	v_lshrrev_b32_e32 v6, 24, v4
	v_cmp_ne_u32_e32 vcc, s23, v6
	v_mov_b32_e32 v19, 0xffff8000
	s_and_saveexec_b64 s[18:19], vcc
	s_cbranch_execz .LBB814_985
; %bb.982:                              ;   in Loop: Header=BB814_794 Depth=1
	v_bfe_u32 v4, v4, 24, 7
	v_cmp_ne_u32_e32 vcc, s25, v4
	v_mov_b32_e32 v19, 0x7f80
	s_and_saveexec_b64 s[20:21], vcc
	s_cbranch_execz .LBB814_984
; %bb.983:                              ;   in Loop: Header=BB814_794 Depth=1
	v_and_b32_e32 v19, 7, v6
	v_ffbh_u32_e32 v20, v19
	v_min_u32_e32 v23, 32, v20
	v_subrev_u32_e32 v20, 28, v23
	v_lshlrev_b64 v[20:21], v20, v[6:7]
	v_lshrrev_b32_e32 v22, 3, v4
	v_sub_u32_e32 v21, 29, v23
	v_and_b32_e32 v20, 7, v20
	v_cmp_gt_u32_e32 vcc, 8, v4
	v_cndmask_b32_e32 v4, v22, v21, vcc
	v_cndmask_b32_e32 v19, v19, v20, vcc
	v_lshlrev_b32_e32 v6, 24, v6
	v_lshlrev_b32_e32 v19, 20, v19
	v_and_b32_e32 v6, 0x80000000, v6
	v_lshl_add_u32 v4, v4, 23, v10
	v_or3_b32 v4, v6, v4, v19
	v_lshrrev_b32_e32 v19, 16, v4
.LBB814_984:                            ;   in Loop: Header=BB814_794 Depth=1
	s_or_b64 exec, exec, s[20:21]
.LBB814_985:                            ;   in Loop: Header=BB814_794 Depth=1
	s_or_b64 exec, exec, s[18:19]
.LBB814_986:                            ;   in Loop: Header=BB814_794 Depth=1
	s_or_b64 exec, exec, s[16:17]
	buffer_load_dword v6, v11, s[0:3], 0 offen offset:32
	buffer_load_dword v4, v11, s[0:3], 0 offen offset:36
	v_perm_b32 v15, v17, v15, s27
	v_perm_b32 v14, v14, v12, s27
	;; [unrolled: 1-line block ×4, first 2 shown]
	v_mfma_f32_4x4x4bf16_1k a[0:3], v[2:3], v[14:15], a[0:3] cbsz:4 abid:6
	s_waitcnt vmcnt(1)
	v_cmp_ne_u16_sdwa s[18:19], v6, v9 src0_sel:BYTE_0 src1_sel:DWORD
	v_mfma_f32_4x4x4bf16_1k a[0:3], v[2:3], v[16:17], a[0:3] cbsz:4 abid:7
	s_and_saveexec_b64 s[16:17], s[18:19]
	s_cbranch_execz .LBB814_992
; %bb.987:                              ;   in Loop: Header=BB814_794 Depth=1
	v_cmp_ne_u16_sdwa s[20:21], v6, s23 src0_sel:BYTE_0 src1_sel:DWORD
	v_mov_b32_e32 v13, 0xffff8000
	s_and_saveexec_b64 s[18:19], s[20:21]
	s_cbranch_execz .LBB814_991
; %bb.988:                              ;   in Loop: Header=BB814_794 Depth=1
	v_and_b32_e32 v8, 0x7f, v6
	v_cmp_ne_u32_e32 vcc, s25, v8
	v_mov_b32_e32 v13, 0x7f80
	s_and_saveexec_b64 s[20:21], vcc
	s_cbranch_execz .LBB814_990
; %bb.989:                              ;   in Loop: Header=BB814_794 Depth=1
	v_and_b32_e32 v14, 7, v6
	v_ffbh_u32_e32 v12, v14
	v_min_u32_e32 v16, 32, v12
	v_subrev_u32_e32 v12, 28, v16
	v_lshlrev_b64 v[12:13], v12, v[6:7]
	v_lshrrev_b32_e32 v15, 3, v8
	v_sub_u32_e32 v13, 29, v16
	v_and_b32_e32 v12, 7, v12
	v_cmp_gt_u32_e32 vcc, 8, v8
	v_cndmask_b32_e32 v8, v15, v13, vcc
	v_cndmask_b32_e32 v12, v14, v12, vcc
	v_lshlrev_b32_e32 v13, 24, v6
	v_lshlrev_b32_e32 v12, 20, v12
	v_and_b32_e32 v13, 0x80000000, v13
	v_lshl_add_u32 v8, v8, 23, v10
	v_or3_b32 v8, v13, v8, v12
	v_lshrrev_b32_e32 v13, 16, v8
.LBB814_990:                            ;   in Loop: Header=BB814_794 Depth=1
	s_or_b64 exec, exec, s[20:21]
.LBB814_991:                            ;   in Loop: Header=BB814_794 Depth=1
	s_or_b64 exec, exec, s[18:19]
.LBB814_992:                            ;   in Loop: Header=BB814_794 Depth=1
	s_or_b64 exec, exec, s[16:17]
	v_lshrrev_b16_e32 v8, 8, v6
	v_cmp_ne_u16_e32 vcc, 0, v8
	v_mov_b32_e32 v15, 0
	v_mov_b32_e32 v12, 0
	s_and_saveexec_b64 s[16:17], vcc
	s_cbranch_execz .LBB814_998
; %bb.993:                              ;   in Loop: Header=BB814_794 Depth=1
	v_cmp_ne_u16_e32 vcc, s23, v8
	v_mov_b32_e32 v12, 0xffff8000
	s_and_saveexec_b64 s[18:19], vcc
	s_cbranch_execz .LBB814_997
; %bb.994:                              ;   in Loop: Header=BB814_794 Depth=1
	v_and_b32_e32 v14, 0x7f, v8
	v_cmp_ne_u32_e32 vcc, s25, v14
	v_mov_b32_e32 v12, 0x7f80
	s_and_saveexec_b64 s[20:21], vcc
	s_cbranch_execz .LBB814_996
; %bb.995:                              ;   in Loop: Header=BB814_794 Depth=1
	v_and_b32_e32 v12, 7, v8
	v_ffbh_u32_e32 v16, v12
	v_min_u32_e32 v19, 32, v16
	v_subrev_u32_e32 v16, 28, v19
	v_lshlrev_b64 v[16:17], v16, v[8:9]
	v_lshrrev_b32_e32 v18, 3, v14
	v_sub_u32_e32 v8, 29, v19
	v_and_b32_e32 v16, 7, v16
	v_cmp_gt_u32_e32 vcc, 8, v14
	v_cndmask_b32_e32 v8, v18, v8, vcc
	v_cndmask_b32_e32 v12, v12, v16, vcc
	v_lshlrev_b32_e32 v14, 16, v6
	v_lshlrev_b32_e32 v12, 20, v12
	v_and_b32_e32 v14, 0x80000000, v14
	v_lshl_add_u32 v8, v8, 23, v10
	v_or3_b32 v8, v14, v8, v12
	v_lshrrev_b32_e32 v12, 16, v8
.LBB814_996:                            ;   in Loop: Header=BB814_794 Depth=1
	s_or_b64 exec, exec, s[20:21]
.LBB814_997:                            ;   in Loop: Header=BB814_794 Depth=1
	s_or_b64 exec, exec, s[18:19]
.LBB814_998:                            ;   in Loop: Header=BB814_794 Depth=1
	s_or_b64 exec, exec, s[16:17]
	v_lshrrev_b32_e32 v8, 16, v6
	v_cmp_ne_u16_sdwa s[18:19], v8, v9 src0_sel:BYTE_0 src1_sel:DWORD
	s_and_saveexec_b64 s[16:17], s[18:19]
	s_cbranch_execz .LBB814_1004
; %bb.999:                              ;   in Loop: Header=BB814_794 Depth=1
	v_cmp_ne_u16_sdwa s[20:21], v8, s23 src0_sel:BYTE_0 src1_sel:DWORD
	v_mov_b32_e32 v15, 0xffff8000
	s_and_saveexec_b64 s[18:19], s[20:21]
	s_cbranch_execz .LBB814_1003
; %bb.1000:                             ;   in Loop: Header=BB814_794 Depth=1
	v_bfe_u32 v14, v6, 16, 7
	v_cmp_ne_u32_e32 vcc, s25, v14
	v_mov_b32_e32 v15, 0x7f80
	s_and_saveexec_b64 s[20:21], vcc
	s_cbranch_execz .LBB814_1002
; %bb.1001:                             ;   in Loop: Header=BB814_794 Depth=1
	v_and_b32_e32 v15, 7, v8
	v_ffbh_u32_e32 v16, v15
	v_min_u32_e32 v19, 32, v16
	v_subrev_u32_e32 v16, 28, v19
	v_lshlrev_b64 v[16:17], v16, v[8:9]
	v_lshrrev_b32_e32 v18, 3, v14
	v_sub_u32_e32 v17, 29, v19
	v_and_b32_e32 v16, 7, v16
	v_cmp_gt_u32_e32 vcc, 8, v14
	v_cndmask_b32_e32 v14, v18, v17, vcc
	v_cndmask_b32_e32 v15, v15, v16, vcc
	v_lshlrev_b32_e32 v8, 24, v8
	v_lshlrev_b32_e32 v15, 20, v15
	v_and_b32_e32 v8, 0x80000000, v8
	v_lshl_add_u32 v14, v14, 23, v10
	v_or3_b32 v8, v8, v14, v15
	v_lshrrev_b32_e32 v15, 16, v8
.LBB814_1002:                           ;   in Loop: Header=BB814_794 Depth=1
	s_or_b64 exec, exec, s[20:21]
.LBB814_1003:                           ;   in Loop: Header=BB814_794 Depth=1
	s_or_b64 exec, exec, s[18:19]
.LBB814_1004:                           ;   in Loop: Header=BB814_794 Depth=1
	s_or_b64 exec, exec, s[16:17]
	v_cmp_lt_u32_e32 vcc, s26, v6
	v_mov_b32_e32 v16, 0
	v_mov_b32_e32 v17, 0
	s_and_saveexec_b64 s[16:17], vcc
	s_cbranch_execz .LBB814_1010
; %bb.1005:                             ;   in Loop: Header=BB814_794 Depth=1
	v_lshrrev_b32_e32 v8, 24, v6
	v_cmp_ne_u32_e32 vcc, s23, v8
	v_mov_b32_e32 v17, 0xffff8000
	s_and_saveexec_b64 s[18:19], vcc
	s_cbranch_execz .LBB814_1009
; %bb.1006:                             ;   in Loop: Header=BB814_794 Depth=1
	v_bfe_u32 v6, v6, 24, 7
	v_cmp_ne_u32_e32 vcc, s25, v6
	v_mov_b32_e32 v17, 0x7f80
	s_and_saveexec_b64 s[20:21], vcc
	s_cbranch_execz .LBB814_1008
; %bb.1007:                             ;   in Loop: Header=BB814_794 Depth=1
	v_and_b32_e32 v14, 7, v8
	v_ffbh_u32_e32 v18, v14
	v_min_u32_e32 v20, 32, v18
	v_subrev_u32_e32 v18, 28, v20
	v_lshlrev_b64 v[18:19], v18, v[8:9]
	v_lshrrev_b32_e32 v17, 3, v6
	v_sub_u32_e32 v19, 29, v20
	v_and_b32_e32 v18, 7, v18
	v_cmp_gt_u32_e32 vcc, 8, v6
	v_cndmask_b32_e32 v6, v17, v19, vcc
	v_cndmask_b32_e32 v14, v14, v18, vcc
	v_lshlrev_b32_e32 v8, 24, v8
	v_lshlrev_b32_e32 v14, 20, v14
	v_and_b32_e32 v8, 0x80000000, v8
	v_lshl_add_u32 v6, v6, 23, v10
	v_or3_b32 v6, v8, v6, v14
	v_lshrrev_b32_e32 v17, 16, v6
.LBB814_1008:                           ;   in Loop: Header=BB814_794 Depth=1
	s_or_b64 exec, exec, s[20:21]
.LBB814_1009:                           ;   in Loop: Header=BB814_794 Depth=1
	s_or_b64 exec, exec, s[18:19]
.LBB814_1010:                           ;   in Loop: Header=BB814_794 Depth=1
	s_or_b64 exec, exec, s[16:17]
	s_waitcnt vmcnt(0)
	v_cmp_ne_u16_sdwa s[18:19], v4, v9 src0_sel:BYTE_0 src1_sel:DWORD
	s_and_saveexec_b64 s[16:17], s[18:19]
	s_cbranch_execz .LBB814_1016
; %bb.1011:                             ;   in Loop: Header=BB814_794 Depth=1
	v_cmp_ne_u16_sdwa s[20:21], v4, s23 src0_sel:BYTE_0 src1_sel:DWORD
	v_mov_b32_e32 v16, 0xffff8000
	s_and_saveexec_b64 s[18:19], s[20:21]
	s_cbranch_execz .LBB814_1015
; %bb.1012:                             ;   in Loop: Header=BB814_794 Depth=1
	v_and_b32_e32 v6, 0x7f, v4
	v_cmp_ne_u32_e32 vcc, s25, v6
	v_mov_b32_e32 v16, 0x7f80
	s_and_saveexec_b64 s[20:21], vcc
	s_cbranch_execz .LBB814_1014
; %bb.1013:                             ;   in Loop: Header=BB814_794 Depth=1
	v_and_b32_e32 v8, 7, v4
	v_ffbh_u32_e32 v16, v8
	v_min_u32_e32 v16, 32, v16
	v_subrev_u32_e32 v18, 28, v16
	v_lshlrev_b64 v[18:19], v18, v[4:5]
	v_lshrrev_b32_e32 v14, 3, v6
	v_sub_u32_e32 v16, 29, v16
	v_and_b32_e32 v18, 7, v18
	v_cmp_gt_u32_e32 vcc, 8, v6
	v_cndmask_b32_e32 v6, v14, v16, vcc
	v_cndmask_b32_e32 v8, v8, v18, vcc
	v_lshlrev_b32_e32 v14, 24, v4
	v_lshlrev_b32_e32 v8, 20, v8
	v_and_b32_e32 v14, 0x80000000, v14
	v_lshl_add_u32 v6, v6, 23, v10
	v_or3_b32 v6, v14, v6, v8
	v_lshrrev_b32_e32 v16, 16, v6
.LBB814_1014:                           ;   in Loop: Header=BB814_794 Depth=1
	s_or_b64 exec, exec, s[20:21]
.LBB814_1015:                           ;   in Loop: Header=BB814_794 Depth=1
	s_or_b64 exec, exec, s[18:19]
.LBB814_1016:                           ;   in Loop: Header=BB814_794 Depth=1
	s_or_b64 exec, exec, s[16:17]
	v_lshrrev_b16_e32 v6, 8, v4
	v_cmp_ne_u16_e32 vcc, 0, v6
	v_mov_b32_e32 v18, 0
	v_mov_b32_e32 v8, 0
	s_and_saveexec_b64 s[16:17], vcc
	s_cbranch_execz .LBB814_1022
; %bb.1017:                             ;   in Loop: Header=BB814_794 Depth=1
	v_cmp_ne_u16_e32 vcc, s23, v6
	v_mov_b32_e32 v8, 0xffff8000
	s_and_saveexec_b64 s[18:19], vcc
	s_cbranch_execz .LBB814_1021
; %bb.1018:                             ;   in Loop: Header=BB814_794 Depth=1
	v_and_b32_e32 v14, 0x7f, v6
	v_cmp_ne_u32_e32 vcc, s25, v14
	v_mov_b32_e32 v8, 0x7f80
	s_and_saveexec_b64 s[20:21], vcc
	s_cbranch_execz .LBB814_1020
; %bb.1019:                             ;   in Loop: Header=BB814_794 Depth=1
	v_and_b32_e32 v8, 7, v6
	v_ffbh_u32_e32 v20, v8
	v_min_u32_e32 v22, 32, v20
	v_subrev_u32_e32 v20, 28, v22
	v_lshlrev_b64 v[20:21], v20, v[6:7]
	v_lshrrev_b32_e32 v19, 3, v14
	v_sub_u32_e32 v6, 29, v22
	v_and_b32_e32 v20, 7, v20
	v_cmp_gt_u32_e32 vcc, 8, v14
	v_cndmask_b32_e32 v6, v19, v6, vcc
	v_cndmask_b32_e32 v8, v8, v20, vcc
	v_lshlrev_b32_e32 v14, 16, v4
	v_lshlrev_b32_e32 v8, 20, v8
	v_and_b32_e32 v14, 0x80000000, v14
	v_lshl_add_u32 v6, v6, 23, v10
	v_or3_b32 v6, v14, v6, v8
	v_lshrrev_b32_e32 v8, 16, v6
.LBB814_1020:                           ;   in Loop: Header=BB814_794 Depth=1
	s_or_b64 exec, exec, s[20:21]
.LBB814_1021:                           ;   in Loop: Header=BB814_794 Depth=1
	s_or_b64 exec, exec, s[18:19]
.LBB814_1022:                           ;   in Loop: Header=BB814_794 Depth=1
	s_or_b64 exec, exec, s[16:17]
	v_lshrrev_b32_e32 v6, 16, v4
	v_cmp_ne_u16_sdwa s[18:19], v6, v9 src0_sel:BYTE_0 src1_sel:DWORD
	s_and_saveexec_b64 s[16:17], s[18:19]
	s_cbranch_execz .LBB814_1028
; %bb.1023:                             ;   in Loop: Header=BB814_794 Depth=1
	v_cmp_ne_u16_sdwa s[20:21], v6, s23 src0_sel:BYTE_0 src1_sel:DWORD
	v_mov_b32_e32 v18, 0xffff8000
	s_and_saveexec_b64 s[18:19], s[20:21]
	s_cbranch_execz .LBB814_1027
; %bb.1024:                             ;   in Loop: Header=BB814_794 Depth=1
	v_bfe_u32 v14, v4, 16, 7
	v_cmp_ne_u32_e32 vcc, s25, v14
	v_mov_b32_e32 v18, 0x7f80
	s_and_saveexec_b64 s[20:21], vcc
	s_cbranch_execz .LBB814_1026
; %bb.1025:                             ;   in Loop: Header=BB814_794 Depth=1
	v_and_b32_e32 v20, 7, v6
	v_ffbh_u32_e32 v18, v20
	v_min_u32_e32 v22, 32, v18
	v_subrev_u32_e32 v18, 28, v22
	v_lshlrev_b64 v[18:19], v18, v[6:7]
	v_lshrrev_b32_e32 v21, 3, v14
	v_sub_u32_e32 v19, 29, v22
	v_and_b32_e32 v18, 7, v18
	v_cmp_gt_u32_e32 vcc, 8, v14
	v_cndmask_b32_e32 v14, v21, v19, vcc
	v_cndmask_b32_e32 v18, v20, v18, vcc
	v_lshlrev_b32_e32 v6, 24, v6
	v_lshlrev_b32_e32 v18, 20, v18
	v_and_b32_e32 v6, 0x80000000, v6
	v_lshl_add_u32 v14, v14, 23, v10
	v_or3_b32 v6, v6, v14, v18
	v_lshrrev_b32_e32 v18, 16, v6
.LBB814_1026:                           ;   in Loop: Header=BB814_794 Depth=1
	s_or_b64 exec, exec, s[20:21]
.LBB814_1027:                           ;   in Loop: Header=BB814_794 Depth=1
	s_or_b64 exec, exec, s[18:19]
.LBB814_1028:                           ;   in Loop: Header=BB814_794 Depth=1
	s_or_b64 exec, exec, s[16:17]
	v_cmp_lt_u32_e32 vcc, s26, v4
	v_mov_b32_e32 v14, 0
	v_mov_b32_e32 v19, 0
	s_and_saveexec_b64 s[16:17], vcc
	s_cbranch_execz .LBB814_1034
; %bb.1029:                             ;   in Loop: Header=BB814_794 Depth=1
	v_lshrrev_b32_e32 v6, 24, v4
	v_cmp_ne_u32_e32 vcc, s23, v6
	v_mov_b32_e32 v19, 0xffff8000
	s_and_saveexec_b64 s[18:19], vcc
	s_cbranch_execz .LBB814_1033
; %bb.1030:                             ;   in Loop: Header=BB814_794 Depth=1
	v_bfe_u32 v4, v4, 24, 7
	v_cmp_ne_u32_e32 vcc, s25, v4
	v_mov_b32_e32 v19, 0x7f80
	s_and_saveexec_b64 s[20:21], vcc
	s_cbranch_execz .LBB814_1032
; %bb.1031:                             ;   in Loop: Header=BB814_794 Depth=1
	v_and_b32_e32 v19, 7, v6
	v_ffbh_u32_e32 v20, v19
	v_min_u32_e32 v23, 32, v20
	v_subrev_u32_e32 v20, 28, v23
	v_lshlrev_b64 v[20:21], v20, v[6:7]
	v_lshrrev_b32_e32 v22, 3, v4
	v_sub_u32_e32 v21, 29, v23
	v_and_b32_e32 v20, 7, v20
	v_cmp_gt_u32_e32 vcc, 8, v4
	v_cndmask_b32_e32 v4, v22, v21, vcc
	v_cndmask_b32_e32 v19, v19, v20, vcc
	v_lshlrev_b32_e32 v6, 24, v6
	v_lshlrev_b32_e32 v19, 20, v19
	v_and_b32_e32 v6, 0x80000000, v6
	v_lshl_add_u32 v4, v4, 23, v10
	v_or3_b32 v4, v6, v4, v19
	v_lshrrev_b32_e32 v19, 16, v4
.LBB814_1032:                           ;   in Loop: Header=BB814_794 Depth=1
	s_or_b64 exec, exec, s[20:21]
.LBB814_1033:                           ;   in Loop: Header=BB814_794 Depth=1
	s_or_b64 exec, exec, s[18:19]
.LBB814_1034:                           ;   in Loop: Header=BB814_794 Depth=1
	s_or_b64 exec, exec, s[16:17]
	buffer_load_dword v6, v11, s[0:3], 0 offen offset:40
	buffer_load_dword v4, v11, s[0:3], 0 offen offset:44
	v_perm_b32 v21, v17, v15, s27
	v_perm_b32 v20, v12, v13, s27
	;; [unrolled: 1-line block ×4, first 2 shown]
	v_mfma_f32_4x4x4bf16_1k a[0:3], v[2:3], v[20:21], a[0:3] cbsz:4 abid:8
	s_waitcnt vmcnt(1)
	v_cmp_ne_u16_sdwa s[18:19], v6, v9 src0_sel:BYTE_0 src1_sel:DWORD
	v_mfma_f32_4x4x4bf16_1k a[0:3], v[2:3], v[12:13], a[0:3] cbsz:4 abid:9
	s_and_saveexec_b64 s[16:17], s[18:19]
	s_cbranch_execz .LBB814_1040
; %bb.1035:                             ;   in Loop: Header=BB814_794 Depth=1
	v_cmp_ne_u16_sdwa s[20:21], v6, s23 src0_sel:BYTE_0 src1_sel:DWORD
	v_mov_b32_e32 v14, 0xffff8000
	s_and_saveexec_b64 s[18:19], s[20:21]
	s_cbranch_execz .LBB814_1039
; %bb.1036:                             ;   in Loop: Header=BB814_794 Depth=1
	v_and_b32_e32 v8, 0x7f, v6
	v_cmp_ne_u32_e32 vcc, s25, v8
	v_mov_b32_e32 v14, 0x7f80
	s_and_saveexec_b64 s[20:21], vcc
	s_cbranch_execz .LBB814_1038
; %bb.1037:                             ;   in Loop: Header=BB814_794 Depth=1
	v_and_b32_e32 v14, 7, v6
	v_ffbh_u32_e32 v12, v14
	v_min_u32_e32 v16, 32, v12
	v_subrev_u32_e32 v12, 28, v16
	v_lshlrev_b64 v[12:13], v12, v[6:7]
	v_lshrrev_b32_e32 v15, 3, v8
	v_sub_u32_e32 v13, 29, v16
	v_and_b32_e32 v12, 7, v12
	v_cmp_gt_u32_e32 vcc, 8, v8
	v_cndmask_b32_e32 v8, v15, v13, vcc
	v_cndmask_b32_e32 v12, v14, v12, vcc
	v_lshlrev_b32_e32 v13, 24, v6
	v_lshlrev_b32_e32 v12, 20, v12
	v_and_b32_e32 v13, 0x80000000, v13
	v_lshl_add_u32 v8, v8, 23, v10
	v_or3_b32 v8, v13, v8, v12
	v_lshrrev_b32_e32 v14, 16, v8
.LBB814_1038:                           ;   in Loop: Header=BB814_794 Depth=1
	s_or_b64 exec, exec, s[20:21]
.LBB814_1039:                           ;   in Loop: Header=BB814_794 Depth=1
	s_or_b64 exec, exec, s[18:19]
.LBB814_1040:                           ;   in Loop: Header=BB814_794 Depth=1
	s_or_b64 exec, exec, s[16:17]
	v_lshrrev_b16_e32 v8, 8, v6
	v_cmp_ne_u16_e32 vcc, 0, v8
	v_mov_b32_e32 v15, 0
	v_mov_b32_e32 v13, 0
	s_and_saveexec_b64 s[16:17], vcc
	s_cbranch_execz .LBB814_1046
; %bb.1041:                             ;   in Loop: Header=BB814_794 Depth=1
	v_cmp_ne_u16_e32 vcc, s23, v8
	v_mov_b32_e32 v13, 0xffff8000
	s_and_saveexec_b64 s[18:19], vcc
	s_cbranch_execz .LBB814_1045
; %bb.1042:                             ;   in Loop: Header=BB814_794 Depth=1
	v_and_b32_e32 v12, 0x7f, v8
	v_cmp_ne_u32_e32 vcc, s25, v12
	v_mov_b32_e32 v13, 0x7f80
	s_and_saveexec_b64 s[20:21], vcc
	s_cbranch_execz .LBB814_1044
; %bb.1043:                             ;   in Loop: Header=BB814_794 Depth=1
	v_and_b32_e32 v13, 7, v8
	v_ffbh_u32_e32 v16, v13
	v_min_u32_e32 v19, 32, v16
	v_subrev_u32_e32 v16, 28, v19
	v_lshlrev_b64 v[16:17], v16, v[8:9]
	v_lshrrev_b32_e32 v18, 3, v12
	v_sub_u32_e32 v8, 29, v19
	v_and_b32_e32 v16, 7, v16
	v_cmp_gt_u32_e32 vcc, 8, v12
	v_cndmask_b32_e32 v8, v18, v8, vcc
	v_cndmask_b32_e32 v12, v13, v16, vcc
	v_lshlrev_b32_e32 v13, 16, v6
	v_lshlrev_b32_e32 v12, 20, v12
	v_and_b32_e32 v13, 0x80000000, v13
	v_lshl_add_u32 v8, v8, 23, v10
	v_or3_b32 v8, v13, v8, v12
	v_lshrrev_b32_e32 v13, 16, v8
.LBB814_1044:                           ;   in Loop: Header=BB814_794 Depth=1
	s_or_b64 exec, exec, s[20:21]
.LBB814_1045:                           ;   in Loop: Header=BB814_794 Depth=1
	s_or_b64 exec, exec, s[18:19]
.LBB814_1046:                           ;   in Loop: Header=BB814_794 Depth=1
	s_or_b64 exec, exec, s[16:17]
	v_lshrrev_b32_e32 v8, 16, v6
	v_cmp_ne_u16_sdwa s[18:19], v8, v9 src0_sel:BYTE_0 src1_sel:DWORD
	s_and_saveexec_b64 s[16:17], s[18:19]
	s_cbranch_execz .LBB814_1052
; %bb.1047:                             ;   in Loop: Header=BB814_794 Depth=1
	v_cmp_ne_u16_sdwa s[20:21], v8, s23 src0_sel:BYTE_0 src1_sel:DWORD
	v_mov_b32_e32 v15, 0xffff8000
	s_and_saveexec_b64 s[18:19], s[20:21]
	s_cbranch_execz .LBB814_1051
; %bb.1048:                             ;   in Loop: Header=BB814_794 Depth=1
	v_bfe_u32 v12, v6, 16, 7
	v_cmp_ne_u32_e32 vcc, s25, v12
	v_mov_b32_e32 v15, 0x7f80
	s_and_saveexec_b64 s[20:21], vcc
	s_cbranch_execz .LBB814_1050
; %bb.1049:                             ;   in Loop: Header=BB814_794 Depth=1
	v_and_b32_e32 v15, 7, v8
	v_ffbh_u32_e32 v16, v15
	v_min_u32_e32 v19, 32, v16
	v_subrev_u32_e32 v16, 28, v19
	v_lshlrev_b64 v[16:17], v16, v[8:9]
	v_lshrrev_b32_e32 v18, 3, v12
	v_sub_u32_e32 v17, 29, v19
	v_and_b32_e32 v16, 7, v16
	v_cmp_gt_u32_e32 vcc, 8, v12
	v_cndmask_b32_e32 v12, v18, v17, vcc
	v_cndmask_b32_e32 v15, v15, v16, vcc
	v_lshlrev_b32_e32 v8, 24, v8
	v_lshlrev_b32_e32 v15, 20, v15
	v_and_b32_e32 v8, 0x80000000, v8
	v_lshl_add_u32 v12, v12, 23, v10
	v_or3_b32 v8, v8, v12, v15
	v_lshrrev_b32_e32 v15, 16, v8
.LBB814_1050:                           ;   in Loop: Header=BB814_794 Depth=1
	s_or_b64 exec, exec, s[20:21]
.LBB814_1051:                           ;   in Loop: Header=BB814_794 Depth=1
	s_or_b64 exec, exec, s[18:19]
.LBB814_1052:                           ;   in Loop: Header=BB814_794 Depth=1
	s_or_b64 exec, exec, s[16:17]
	v_cmp_lt_u32_e32 vcc, s26, v6
	v_mov_b32_e32 v16, 0
	v_mov_b32_e32 v17, 0
	s_and_saveexec_b64 s[16:17], vcc
	s_cbranch_execz .LBB814_1058
; %bb.1053:                             ;   in Loop: Header=BB814_794 Depth=1
	v_lshrrev_b32_e32 v8, 24, v6
	v_cmp_ne_u32_e32 vcc, s23, v8
	v_mov_b32_e32 v17, 0xffff8000
	s_and_saveexec_b64 s[18:19], vcc
	s_cbranch_execz .LBB814_1057
; %bb.1054:                             ;   in Loop: Header=BB814_794 Depth=1
	v_bfe_u32 v6, v6, 24, 7
	v_cmp_ne_u32_e32 vcc, s25, v6
	v_mov_b32_e32 v17, 0x7f80
	s_and_saveexec_b64 s[20:21], vcc
	s_cbranch_execz .LBB814_1056
; %bb.1055:                             ;   in Loop: Header=BB814_794 Depth=1
	v_and_b32_e32 v12, 7, v8
	v_ffbh_u32_e32 v18, v12
	v_min_u32_e32 v20, 32, v18
	v_subrev_u32_e32 v18, 28, v20
	v_lshlrev_b64 v[18:19], v18, v[8:9]
	v_lshrrev_b32_e32 v17, 3, v6
	v_sub_u32_e32 v19, 29, v20
	v_and_b32_e32 v18, 7, v18
	v_cmp_gt_u32_e32 vcc, 8, v6
	v_cndmask_b32_e32 v6, v17, v19, vcc
	v_cndmask_b32_e32 v12, v12, v18, vcc
	v_lshlrev_b32_e32 v8, 24, v8
	v_lshlrev_b32_e32 v12, 20, v12
	v_and_b32_e32 v8, 0x80000000, v8
	v_lshl_add_u32 v6, v6, 23, v10
	v_or3_b32 v6, v8, v6, v12
	v_lshrrev_b32_e32 v17, 16, v6
.LBB814_1056:                           ;   in Loop: Header=BB814_794 Depth=1
	s_or_b64 exec, exec, s[20:21]
.LBB814_1057:                           ;   in Loop: Header=BB814_794 Depth=1
	s_or_b64 exec, exec, s[18:19]
.LBB814_1058:                           ;   in Loop: Header=BB814_794 Depth=1
	s_or_b64 exec, exec, s[16:17]
	s_waitcnt vmcnt(0)
	v_cmp_ne_u16_sdwa s[18:19], v4, v9 src0_sel:BYTE_0 src1_sel:DWORD
	s_and_saveexec_b64 s[16:17], s[18:19]
	s_cbranch_execz .LBB814_1064
; %bb.1059:                             ;   in Loop: Header=BB814_794 Depth=1
	v_cmp_ne_u16_sdwa s[20:21], v4, s23 src0_sel:BYTE_0 src1_sel:DWORD
	v_mov_b32_e32 v16, 0xffff8000
	s_and_saveexec_b64 s[18:19], s[20:21]
	s_cbranch_execz .LBB814_1063
; %bb.1060:                             ;   in Loop: Header=BB814_794 Depth=1
	v_and_b32_e32 v6, 0x7f, v4
	v_cmp_ne_u32_e32 vcc, s25, v6
	v_mov_b32_e32 v16, 0x7f80
	s_and_saveexec_b64 s[20:21], vcc
	s_cbranch_execz .LBB814_1062
; %bb.1061:                             ;   in Loop: Header=BB814_794 Depth=1
	v_and_b32_e32 v8, 7, v4
	v_ffbh_u32_e32 v16, v8
	v_min_u32_e32 v16, 32, v16
	v_subrev_u32_e32 v18, 28, v16
	v_lshlrev_b64 v[18:19], v18, v[4:5]
	v_lshrrev_b32_e32 v12, 3, v6
	v_sub_u32_e32 v16, 29, v16
	v_and_b32_e32 v18, 7, v18
	v_cmp_gt_u32_e32 vcc, 8, v6
	v_cndmask_b32_e32 v6, v12, v16, vcc
	v_cndmask_b32_e32 v8, v8, v18, vcc
	v_lshlrev_b32_e32 v12, 24, v4
	v_lshlrev_b32_e32 v8, 20, v8
	v_and_b32_e32 v12, 0x80000000, v12
	v_lshl_add_u32 v6, v6, 23, v10
	v_or3_b32 v6, v12, v6, v8
	v_lshrrev_b32_e32 v16, 16, v6
.LBB814_1062:                           ;   in Loop: Header=BB814_794 Depth=1
	s_or_b64 exec, exec, s[20:21]
.LBB814_1063:                           ;   in Loop: Header=BB814_794 Depth=1
	s_or_b64 exec, exec, s[18:19]
.LBB814_1064:                           ;   in Loop: Header=BB814_794 Depth=1
	s_or_b64 exec, exec, s[16:17]
	v_lshrrev_b16_e32 v6, 8, v4
	v_cmp_ne_u16_e32 vcc, 0, v6
	v_mov_b32_e32 v18, 0
	v_mov_b32_e32 v8, 0
	s_and_saveexec_b64 s[16:17], vcc
	s_cbranch_execz .LBB814_1070
; %bb.1065:                             ;   in Loop: Header=BB814_794 Depth=1
	v_cmp_ne_u16_e32 vcc, s23, v6
	v_mov_b32_e32 v8, 0xffff8000
	s_and_saveexec_b64 s[18:19], vcc
	s_cbranch_execz .LBB814_1069
; %bb.1066:                             ;   in Loop: Header=BB814_794 Depth=1
	v_and_b32_e32 v12, 0x7f, v6
	v_cmp_ne_u32_e32 vcc, s25, v12
	v_mov_b32_e32 v8, 0x7f80
	s_and_saveexec_b64 s[20:21], vcc
	s_cbranch_execz .LBB814_1068
; %bb.1067:                             ;   in Loop: Header=BB814_794 Depth=1
	v_and_b32_e32 v8, 7, v6
	v_ffbh_u32_e32 v20, v8
	v_min_u32_e32 v22, 32, v20
	v_subrev_u32_e32 v20, 28, v22
	v_lshlrev_b64 v[20:21], v20, v[6:7]
	v_lshrrev_b32_e32 v19, 3, v12
	v_sub_u32_e32 v6, 29, v22
	v_and_b32_e32 v20, 7, v20
	v_cmp_gt_u32_e32 vcc, 8, v12
	v_cndmask_b32_e32 v6, v19, v6, vcc
	v_cndmask_b32_e32 v8, v8, v20, vcc
	v_lshlrev_b32_e32 v12, 16, v4
	v_lshlrev_b32_e32 v8, 20, v8
	v_and_b32_e32 v12, 0x80000000, v12
	v_lshl_add_u32 v6, v6, 23, v10
	v_or3_b32 v6, v12, v6, v8
	v_lshrrev_b32_e32 v8, 16, v6
.LBB814_1068:                           ;   in Loop: Header=BB814_794 Depth=1
	s_or_b64 exec, exec, s[20:21]
.LBB814_1069:                           ;   in Loop: Header=BB814_794 Depth=1
	s_or_b64 exec, exec, s[18:19]
.LBB814_1070:                           ;   in Loop: Header=BB814_794 Depth=1
	s_or_b64 exec, exec, s[16:17]
	v_lshrrev_b32_e32 v6, 16, v4
	v_cmp_ne_u16_sdwa s[18:19], v6, v9 src0_sel:BYTE_0 src1_sel:DWORD
	s_and_saveexec_b64 s[16:17], s[18:19]
	s_cbranch_execz .LBB814_1076
; %bb.1071:                             ;   in Loop: Header=BB814_794 Depth=1
	v_cmp_ne_u16_sdwa s[20:21], v6, s23 src0_sel:BYTE_0 src1_sel:DWORD
	v_mov_b32_e32 v18, 0xffff8000
	s_and_saveexec_b64 s[18:19], s[20:21]
	s_cbranch_execz .LBB814_1075
; %bb.1072:                             ;   in Loop: Header=BB814_794 Depth=1
	v_bfe_u32 v12, v4, 16, 7
	v_cmp_ne_u32_e32 vcc, s25, v12
	v_mov_b32_e32 v18, 0x7f80
	s_and_saveexec_b64 s[20:21], vcc
	s_cbranch_execz .LBB814_1074
; %bb.1073:                             ;   in Loop: Header=BB814_794 Depth=1
	v_and_b32_e32 v20, 7, v6
	v_ffbh_u32_e32 v18, v20
	v_min_u32_e32 v22, 32, v18
	v_subrev_u32_e32 v18, 28, v22
	v_lshlrev_b64 v[18:19], v18, v[6:7]
	v_lshrrev_b32_e32 v21, 3, v12
	v_sub_u32_e32 v19, 29, v22
	v_and_b32_e32 v18, 7, v18
	v_cmp_gt_u32_e32 vcc, 8, v12
	v_cndmask_b32_e32 v12, v21, v19, vcc
	v_cndmask_b32_e32 v18, v20, v18, vcc
	v_lshlrev_b32_e32 v6, 24, v6
	v_lshlrev_b32_e32 v18, 20, v18
	v_and_b32_e32 v6, 0x80000000, v6
	v_lshl_add_u32 v12, v12, 23, v10
	v_or3_b32 v6, v6, v12, v18
	v_lshrrev_b32_e32 v18, 16, v6
.LBB814_1074:                           ;   in Loop: Header=BB814_794 Depth=1
	s_or_b64 exec, exec, s[20:21]
.LBB814_1075:                           ;   in Loop: Header=BB814_794 Depth=1
	s_or_b64 exec, exec, s[18:19]
.LBB814_1076:                           ;   in Loop: Header=BB814_794 Depth=1
	s_or_b64 exec, exec, s[16:17]
	v_cmp_lt_u32_e32 vcc, s26, v4
	v_mov_b32_e32 v12, 0
	v_mov_b32_e32 v19, 0
	s_and_saveexec_b64 s[16:17], vcc
	s_cbranch_execz .LBB814_1082
; %bb.1077:                             ;   in Loop: Header=BB814_794 Depth=1
	v_lshrrev_b32_e32 v6, 24, v4
	v_cmp_ne_u32_e32 vcc, s23, v6
	v_mov_b32_e32 v19, 0xffff8000
	s_and_saveexec_b64 s[18:19], vcc
	s_cbranch_execz .LBB814_1081
; %bb.1078:                             ;   in Loop: Header=BB814_794 Depth=1
	v_bfe_u32 v4, v4, 24, 7
	v_cmp_ne_u32_e32 vcc, s25, v4
	v_mov_b32_e32 v19, 0x7f80
	s_and_saveexec_b64 s[20:21], vcc
	s_cbranch_execz .LBB814_1080
; %bb.1079:                             ;   in Loop: Header=BB814_794 Depth=1
	v_and_b32_e32 v19, 7, v6
	v_ffbh_u32_e32 v20, v19
	v_min_u32_e32 v23, 32, v20
	v_subrev_u32_e32 v20, 28, v23
	v_lshlrev_b64 v[20:21], v20, v[6:7]
	v_lshrrev_b32_e32 v22, 3, v4
	v_sub_u32_e32 v21, 29, v23
	v_and_b32_e32 v20, 7, v20
	v_cmp_gt_u32_e32 vcc, 8, v4
	v_cndmask_b32_e32 v4, v22, v21, vcc
	v_cndmask_b32_e32 v19, v19, v20, vcc
	v_lshlrev_b32_e32 v6, 24, v6
	v_lshlrev_b32_e32 v19, 20, v19
	v_and_b32_e32 v6, 0x80000000, v6
	v_lshl_add_u32 v4, v4, 23, v10
	v_or3_b32 v4, v6, v4, v19
	v_lshrrev_b32_e32 v19, 16, v4
.LBB814_1080:                           ;   in Loop: Header=BB814_794 Depth=1
	s_or_b64 exec, exec, s[20:21]
.LBB814_1081:                           ;   in Loop: Header=BB814_794 Depth=1
	s_or_b64 exec, exec, s[18:19]
.LBB814_1082:                           ;   in Loop: Header=BB814_794 Depth=1
	s_or_b64 exec, exec, s[16:17]
	buffer_load_dword v6, v11, s[0:3], 0 offen offset:48
	buffer_load_dword v4, v11, s[0:3], 0 offen offset:52
	v_perm_b32 v15, v17, v15, s27
	v_perm_b32 v14, v13, v14, s27
	v_perm_b32 v17, v19, v18, s27
	v_perm_b32 v16, v8, v16, s27
	v_mfma_f32_4x4x4bf16_1k a[0:3], v[2:3], v[14:15], a[0:3] cbsz:4 abid:10
	s_waitcnt vmcnt(1)
	v_cmp_ne_u16_sdwa s[18:19], v6, v9 src0_sel:BYTE_0 src1_sel:DWORD
	v_mfma_f32_4x4x4bf16_1k a[0:3], v[2:3], v[16:17], a[0:3] cbsz:4 abid:11
	s_and_saveexec_b64 s[16:17], s[18:19]
	s_cbranch_execz .LBB814_1088
; %bb.1083:                             ;   in Loop: Header=BB814_794 Depth=1
	v_cmp_ne_u16_sdwa s[20:21], v6, s23 src0_sel:BYTE_0 src1_sel:DWORD
	v_mov_b32_e32 v12, 0xffff8000
	s_and_saveexec_b64 s[18:19], s[20:21]
	s_cbranch_execz .LBB814_1087
; %bb.1084:                             ;   in Loop: Header=BB814_794 Depth=1
	v_and_b32_e32 v8, 0x7f, v6
	v_cmp_ne_u32_e32 vcc, s25, v8
	v_mov_b32_e32 v12, 0x7f80
	s_and_saveexec_b64 s[20:21], vcc
	s_cbranch_execz .LBB814_1086
; %bb.1085:                             ;   in Loop: Header=BB814_794 Depth=1
	v_and_b32_e32 v14, 7, v6
	v_ffbh_u32_e32 v12, v14
	v_min_u32_e32 v16, 32, v12
	v_subrev_u32_e32 v12, 28, v16
	v_lshlrev_b64 v[12:13], v12, v[6:7]
	v_lshrrev_b32_e32 v15, 3, v8
	v_sub_u32_e32 v13, 29, v16
	v_and_b32_e32 v12, 7, v12
	v_cmp_gt_u32_e32 vcc, 8, v8
	v_cndmask_b32_e32 v8, v15, v13, vcc
	v_cndmask_b32_e32 v12, v14, v12, vcc
	v_lshlrev_b32_e32 v13, 24, v6
	v_lshlrev_b32_e32 v12, 20, v12
	v_and_b32_e32 v13, 0x80000000, v13
	v_lshl_add_u32 v8, v8, 23, v10
	v_or3_b32 v8, v13, v8, v12
	v_lshrrev_b32_e32 v12, 16, v8
.LBB814_1086:                           ;   in Loop: Header=BB814_794 Depth=1
	s_or_b64 exec, exec, s[20:21]
.LBB814_1087:                           ;   in Loop: Header=BB814_794 Depth=1
	s_or_b64 exec, exec, s[18:19]
.LBB814_1088:                           ;   in Loop: Header=BB814_794 Depth=1
	s_or_b64 exec, exec, s[16:17]
	v_lshrrev_b16_e32 v8, 8, v6
	v_cmp_ne_u16_e32 vcc, 0, v8
	v_mov_b32_e32 v15, 0
	v_mov_b32_e32 v14, 0
	s_and_saveexec_b64 s[16:17], vcc
	s_cbranch_execz .LBB814_1094
; %bb.1089:                             ;   in Loop: Header=BB814_794 Depth=1
	v_cmp_ne_u16_e32 vcc, s23, v8
	v_mov_b32_e32 v14, 0xffff8000
	s_and_saveexec_b64 s[18:19], vcc
	s_cbranch_execz .LBB814_1093
; %bb.1090:                             ;   in Loop: Header=BB814_794 Depth=1
	v_and_b32_e32 v13, 0x7f, v8
	v_cmp_ne_u32_e32 vcc, s25, v13
	v_mov_b32_e32 v14, 0x7f80
	s_and_saveexec_b64 s[20:21], vcc
	s_cbranch_execz .LBB814_1092
; %bb.1091:                             ;   in Loop: Header=BB814_794 Depth=1
	v_and_b32_e32 v14, 7, v8
	v_ffbh_u32_e32 v16, v14
	v_min_u32_e32 v19, 32, v16
	v_subrev_u32_e32 v16, 28, v19
	v_lshlrev_b64 v[16:17], v16, v[8:9]
	v_lshrrev_b32_e32 v18, 3, v13
	v_sub_u32_e32 v8, 29, v19
	v_and_b32_e32 v16, 7, v16
	v_cmp_gt_u32_e32 vcc, 8, v13
	v_cndmask_b32_e32 v8, v18, v8, vcc
	v_cndmask_b32_e32 v13, v14, v16, vcc
	v_lshlrev_b32_e32 v14, 16, v6
	v_lshlrev_b32_e32 v13, 20, v13
	v_and_b32_e32 v14, 0x80000000, v14
	v_lshl_add_u32 v8, v8, 23, v10
	v_or3_b32 v8, v14, v8, v13
	v_lshrrev_b32_e32 v14, 16, v8
.LBB814_1092:                           ;   in Loop: Header=BB814_794 Depth=1
	s_or_b64 exec, exec, s[20:21]
.LBB814_1093:                           ;   in Loop: Header=BB814_794 Depth=1
	s_or_b64 exec, exec, s[18:19]
.LBB814_1094:                           ;   in Loop: Header=BB814_794 Depth=1
	s_or_b64 exec, exec, s[16:17]
	v_lshrrev_b32_e32 v8, 16, v6
	v_cmp_ne_u16_sdwa s[18:19], v8, v9 src0_sel:BYTE_0 src1_sel:DWORD
	s_and_saveexec_b64 s[16:17], s[18:19]
	s_cbranch_execz .LBB814_1100
; %bb.1095:                             ;   in Loop: Header=BB814_794 Depth=1
	v_cmp_ne_u16_sdwa s[20:21], v8, s23 src0_sel:BYTE_0 src1_sel:DWORD
	v_mov_b32_e32 v15, 0xffff8000
	s_and_saveexec_b64 s[18:19], s[20:21]
	s_cbranch_execz .LBB814_1099
; %bb.1096:                             ;   in Loop: Header=BB814_794 Depth=1
	v_bfe_u32 v13, v6, 16, 7
	v_cmp_ne_u32_e32 vcc, s25, v13
	v_mov_b32_e32 v15, 0x7f80
	s_and_saveexec_b64 s[20:21], vcc
	s_cbranch_execz .LBB814_1098
; %bb.1097:                             ;   in Loop: Header=BB814_794 Depth=1
	v_and_b32_e32 v15, 7, v8
	v_ffbh_u32_e32 v16, v15
	v_min_u32_e32 v19, 32, v16
	v_subrev_u32_e32 v16, 28, v19
	v_lshlrev_b64 v[16:17], v16, v[8:9]
	v_lshrrev_b32_e32 v18, 3, v13
	v_sub_u32_e32 v17, 29, v19
	v_and_b32_e32 v16, 7, v16
	v_cmp_gt_u32_e32 vcc, 8, v13
	v_cndmask_b32_e32 v13, v18, v17, vcc
	v_cndmask_b32_e32 v15, v15, v16, vcc
	v_lshlrev_b32_e32 v8, 24, v8
	v_lshlrev_b32_e32 v15, 20, v15
	v_and_b32_e32 v8, 0x80000000, v8
	v_lshl_add_u32 v13, v13, 23, v10
	v_or3_b32 v8, v8, v13, v15
	v_lshrrev_b32_e32 v15, 16, v8
.LBB814_1098:                           ;   in Loop: Header=BB814_794 Depth=1
	s_or_b64 exec, exec, s[20:21]
.LBB814_1099:                           ;   in Loop: Header=BB814_794 Depth=1
	s_or_b64 exec, exec, s[18:19]
.LBB814_1100:                           ;   in Loop: Header=BB814_794 Depth=1
	s_or_b64 exec, exec, s[16:17]
	v_cmp_lt_u32_e32 vcc, s26, v6
	v_mov_b32_e32 v16, 0
	v_mov_b32_e32 v17, 0
	s_and_saveexec_b64 s[16:17], vcc
	s_cbranch_execz .LBB814_1106
; %bb.1101:                             ;   in Loop: Header=BB814_794 Depth=1
	v_lshrrev_b32_e32 v8, 24, v6
	v_cmp_ne_u32_e32 vcc, s23, v8
	v_mov_b32_e32 v17, 0xffff8000
	s_and_saveexec_b64 s[18:19], vcc
	s_cbranch_execz .LBB814_1105
; %bb.1102:                             ;   in Loop: Header=BB814_794 Depth=1
	v_bfe_u32 v6, v6, 24, 7
	v_cmp_ne_u32_e32 vcc, s25, v6
	v_mov_b32_e32 v17, 0x7f80
	s_and_saveexec_b64 s[20:21], vcc
	s_cbranch_execz .LBB814_1104
; %bb.1103:                             ;   in Loop: Header=BB814_794 Depth=1
	v_and_b32_e32 v13, 7, v8
	v_ffbh_u32_e32 v18, v13
	v_min_u32_e32 v20, 32, v18
	v_subrev_u32_e32 v18, 28, v20
	v_lshlrev_b64 v[18:19], v18, v[8:9]
	v_lshrrev_b32_e32 v17, 3, v6
	v_sub_u32_e32 v19, 29, v20
	v_and_b32_e32 v18, 7, v18
	v_cmp_gt_u32_e32 vcc, 8, v6
	v_cndmask_b32_e32 v6, v17, v19, vcc
	v_cndmask_b32_e32 v13, v13, v18, vcc
	v_lshlrev_b32_e32 v8, 24, v8
	v_lshlrev_b32_e32 v13, 20, v13
	v_and_b32_e32 v8, 0x80000000, v8
	v_lshl_add_u32 v6, v6, 23, v10
	v_or3_b32 v6, v8, v6, v13
	v_lshrrev_b32_e32 v17, 16, v6
.LBB814_1104:                           ;   in Loop: Header=BB814_794 Depth=1
	s_or_b64 exec, exec, s[20:21]
.LBB814_1105:                           ;   in Loop: Header=BB814_794 Depth=1
	s_or_b64 exec, exec, s[18:19]
.LBB814_1106:                           ;   in Loop: Header=BB814_794 Depth=1
	s_or_b64 exec, exec, s[16:17]
	s_waitcnt vmcnt(0)
	v_cmp_ne_u16_sdwa s[18:19], v4, v9 src0_sel:BYTE_0 src1_sel:DWORD
	s_and_saveexec_b64 s[16:17], s[18:19]
	s_cbranch_execz .LBB814_1112
; %bb.1107:                             ;   in Loop: Header=BB814_794 Depth=1
	v_cmp_ne_u16_sdwa s[20:21], v4, s23 src0_sel:BYTE_0 src1_sel:DWORD
	v_mov_b32_e32 v16, 0xffff8000
	s_and_saveexec_b64 s[18:19], s[20:21]
	s_cbranch_execz .LBB814_1111
; %bb.1108:                             ;   in Loop: Header=BB814_794 Depth=1
	v_and_b32_e32 v6, 0x7f, v4
	v_cmp_ne_u32_e32 vcc, s25, v6
	v_mov_b32_e32 v16, 0x7f80
	s_and_saveexec_b64 s[20:21], vcc
	s_cbranch_execz .LBB814_1110
; %bb.1109:                             ;   in Loop: Header=BB814_794 Depth=1
	v_and_b32_e32 v8, 7, v4
	v_ffbh_u32_e32 v16, v8
	v_min_u32_e32 v16, 32, v16
	v_subrev_u32_e32 v18, 28, v16
	v_lshlrev_b64 v[18:19], v18, v[4:5]
	v_lshrrev_b32_e32 v13, 3, v6
	v_sub_u32_e32 v16, 29, v16
	v_and_b32_e32 v18, 7, v18
	v_cmp_gt_u32_e32 vcc, 8, v6
	v_cndmask_b32_e32 v6, v13, v16, vcc
	v_cndmask_b32_e32 v8, v8, v18, vcc
	v_lshlrev_b32_e32 v13, 24, v4
	v_lshlrev_b32_e32 v8, 20, v8
	v_and_b32_e32 v13, 0x80000000, v13
	v_lshl_add_u32 v6, v6, 23, v10
	v_or3_b32 v6, v13, v6, v8
	v_lshrrev_b32_e32 v16, 16, v6
.LBB814_1110:                           ;   in Loop: Header=BB814_794 Depth=1
	s_or_b64 exec, exec, s[20:21]
.LBB814_1111:                           ;   in Loop: Header=BB814_794 Depth=1
	s_or_b64 exec, exec, s[18:19]
.LBB814_1112:                           ;   in Loop: Header=BB814_794 Depth=1
	s_or_b64 exec, exec, s[16:17]
	v_lshrrev_b16_e32 v6, 8, v4
	v_cmp_ne_u16_e32 vcc, 0, v6
	v_mov_b32_e32 v18, 0
	v_mov_b32_e32 v8, 0
	s_and_saveexec_b64 s[16:17], vcc
	s_cbranch_execz .LBB814_1118
; %bb.1113:                             ;   in Loop: Header=BB814_794 Depth=1
	v_cmp_ne_u16_e32 vcc, s23, v6
	v_mov_b32_e32 v8, 0xffff8000
	s_and_saveexec_b64 s[18:19], vcc
	s_cbranch_execz .LBB814_1117
; %bb.1114:                             ;   in Loop: Header=BB814_794 Depth=1
	v_and_b32_e32 v13, 0x7f, v6
	v_cmp_ne_u32_e32 vcc, s25, v13
	v_mov_b32_e32 v8, 0x7f80
	s_and_saveexec_b64 s[20:21], vcc
	s_cbranch_execz .LBB814_1116
; %bb.1115:                             ;   in Loop: Header=BB814_794 Depth=1
	v_and_b32_e32 v8, 7, v6
	v_ffbh_u32_e32 v20, v8
	v_min_u32_e32 v22, 32, v20
	v_subrev_u32_e32 v20, 28, v22
	v_lshlrev_b64 v[20:21], v20, v[6:7]
	v_lshrrev_b32_e32 v19, 3, v13
	v_sub_u32_e32 v6, 29, v22
	v_and_b32_e32 v20, 7, v20
	v_cmp_gt_u32_e32 vcc, 8, v13
	v_cndmask_b32_e32 v6, v19, v6, vcc
	v_cndmask_b32_e32 v8, v8, v20, vcc
	v_lshlrev_b32_e32 v13, 16, v4
	v_lshlrev_b32_e32 v8, 20, v8
	v_and_b32_e32 v13, 0x80000000, v13
	v_lshl_add_u32 v6, v6, 23, v10
	v_or3_b32 v6, v13, v6, v8
	v_lshrrev_b32_e32 v8, 16, v6
.LBB814_1116:                           ;   in Loop: Header=BB814_794 Depth=1
	s_or_b64 exec, exec, s[20:21]
.LBB814_1117:                           ;   in Loop: Header=BB814_794 Depth=1
	s_or_b64 exec, exec, s[18:19]
.LBB814_1118:                           ;   in Loop: Header=BB814_794 Depth=1
	s_or_b64 exec, exec, s[16:17]
	v_lshrrev_b32_e32 v6, 16, v4
	v_cmp_ne_u16_sdwa s[18:19], v6, v9 src0_sel:BYTE_0 src1_sel:DWORD
	s_and_saveexec_b64 s[16:17], s[18:19]
	s_cbranch_execz .LBB814_1124
; %bb.1119:                             ;   in Loop: Header=BB814_794 Depth=1
	v_cmp_ne_u16_sdwa s[20:21], v6, s23 src0_sel:BYTE_0 src1_sel:DWORD
	v_mov_b32_e32 v18, 0xffff8000
	s_and_saveexec_b64 s[18:19], s[20:21]
	s_cbranch_execz .LBB814_1123
; %bb.1120:                             ;   in Loop: Header=BB814_794 Depth=1
	v_bfe_u32 v13, v4, 16, 7
	v_cmp_ne_u32_e32 vcc, s25, v13
	v_mov_b32_e32 v18, 0x7f80
	s_and_saveexec_b64 s[20:21], vcc
	s_cbranch_execz .LBB814_1122
; %bb.1121:                             ;   in Loop: Header=BB814_794 Depth=1
	v_and_b32_e32 v20, 7, v6
	v_ffbh_u32_e32 v18, v20
	v_min_u32_e32 v22, 32, v18
	v_subrev_u32_e32 v18, 28, v22
	v_lshlrev_b64 v[18:19], v18, v[6:7]
	v_lshrrev_b32_e32 v21, 3, v13
	v_sub_u32_e32 v19, 29, v22
	v_and_b32_e32 v18, 7, v18
	v_cmp_gt_u32_e32 vcc, 8, v13
	v_cndmask_b32_e32 v13, v21, v19, vcc
	v_cndmask_b32_e32 v18, v20, v18, vcc
	v_lshlrev_b32_e32 v6, 24, v6
	v_lshlrev_b32_e32 v18, 20, v18
	v_and_b32_e32 v6, 0x80000000, v6
	v_lshl_add_u32 v13, v13, 23, v10
	v_or3_b32 v6, v6, v13, v18
	v_lshrrev_b32_e32 v18, 16, v6
.LBB814_1122:                           ;   in Loop: Header=BB814_794 Depth=1
	s_or_b64 exec, exec, s[20:21]
.LBB814_1123:                           ;   in Loop: Header=BB814_794 Depth=1
	s_or_b64 exec, exec, s[18:19]
.LBB814_1124:                           ;   in Loop: Header=BB814_794 Depth=1
	s_or_b64 exec, exec, s[16:17]
	v_cmp_lt_u32_e32 vcc, s26, v4
	v_mov_b32_e32 v13, 0
	v_mov_b32_e32 v19, 0
	s_and_saveexec_b64 s[16:17], vcc
	s_cbranch_execz .LBB814_1130
; %bb.1125:                             ;   in Loop: Header=BB814_794 Depth=1
	v_lshrrev_b32_e32 v6, 24, v4
	v_cmp_ne_u32_e32 vcc, s23, v6
	v_mov_b32_e32 v19, 0xffff8000
	s_and_saveexec_b64 s[18:19], vcc
	s_cbranch_execz .LBB814_1129
; %bb.1126:                             ;   in Loop: Header=BB814_794 Depth=1
	v_bfe_u32 v4, v4, 24, 7
	v_cmp_ne_u32_e32 vcc, s25, v4
	v_mov_b32_e32 v19, 0x7f80
	s_and_saveexec_b64 s[20:21], vcc
	s_cbranch_execz .LBB814_1128
; %bb.1127:                             ;   in Loop: Header=BB814_794 Depth=1
	v_and_b32_e32 v19, 7, v6
	v_ffbh_u32_e32 v20, v19
	v_min_u32_e32 v23, 32, v20
	v_subrev_u32_e32 v20, 28, v23
	v_lshlrev_b64 v[20:21], v20, v[6:7]
	v_lshrrev_b32_e32 v22, 3, v4
	v_sub_u32_e32 v21, 29, v23
	v_and_b32_e32 v20, 7, v20
	v_cmp_gt_u32_e32 vcc, 8, v4
	v_cndmask_b32_e32 v4, v22, v21, vcc
	v_cndmask_b32_e32 v19, v19, v20, vcc
	v_lshlrev_b32_e32 v6, 24, v6
	v_lshlrev_b32_e32 v19, 20, v19
	v_and_b32_e32 v6, 0x80000000, v6
	v_lshl_add_u32 v4, v4, 23, v10
	v_or3_b32 v4, v6, v4, v19
	v_lshrrev_b32_e32 v19, 16, v4
.LBB814_1128:                           ;   in Loop: Header=BB814_794 Depth=1
	s_or_b64 exec, exec, s[20:21]
.LBB814_1129:                           ;   in Loop: Header=BB814_794 Depth=1
	s_or_b64 exec, exec, s[18:19]
.LBB814_1130:                           ;   in Loop: Header=BB814_794 Depth=1
	s_or_b64 exec, exec, s[16:17]
	buffer_load_dword v6, v11, s[0:3], 0 offen offset:56
	buffer_load_dword v4, v11, s[0:3], 0 offen offset:60
	v_perm_b32 v15, v17, v15, s27
	v_perm_b32 v14, v14, v12, s27
	;; [unrolled: 1-line block ×4, first 2 shown]
	v_mfma_f32_4x4x4bf16_1k a[0:3], v[2:3], v[14:15], a[0:3] cbsz:4 abid:12
	s_waitcnt vmcnt(1)
	v_cmp_ne_u16_sdwa s[18:19], v6, v9 src0_sel:BYTE_0 src1_sel:DWORD
	v_mfma_f32_4x4x4bf16_1k a[0:3], v[2:3], v[16:17], a[0:3] cbsz:4 abid:13
	s_and_saveexec_b64 s[16:17], s[18:19]
	s_cbranch_execz .LBB814_1136
; %bb.1131:                             ;   in Loop: Header=BB814_794 Depth=1
	v_cmp_ne_u16_sdwa s[20:21], v6, s23 src0_sel:BYTE_0 src1_sel:DWORD
	v_mov_b32_e32 v13, 0xffff8000
	s_and_saveexec_b64 s[18:19], s[20:21]
	s_cbranch_execz .LBB814_1135
; %bb.1132:                             ;   in Loop: Header=BB814_794 Depth=1
	v_and_b32_e32 v8, 0x7f, v6
	v_cmp_ne_u32_e32 vcc, s25, v8
	v_mov_b32_e32 v13, 0x7f80
	s_and_saveexec_b64 s[20:21], vcc
	s_cbranch_execz .LBB814_1134
; %bb.1133:                             ;   in Loop: Header=BB814_794 Depth=1
	v_and_b32_e32 v11, 7, v6
	v_ffbh_u32_e32 v12, v11
	v_min_u32_e32 v15, 32, v12
	v_subrev_u32_e32 v12, 28, v15
	v_lshlrev_b64 v[12:13], v12, v[6:7]
	v_lshrrev_b32_e32 v14, 3, v8
	v_sub_u32_e32 v13, 29, v15
	v_and_b32_e32 v12, 7, v12
	v_cmp_gt_u32_e32 vcc, 8, v8
	v_cndmask_b32_e32 v8, v14, v13, vcc
	v_cndmask_b32_e32 v11, v11, v12, vcc
	v_lshlrev_b32_e32 v12, 24, v6
	v_lshlrev_b32_e32 v11, 20, v11
	v_and_b32_e32 v12, 0x80000000, v12
	v_lshl_add_u32 v8, v8, 23, v10
	v_or3_b32 v8, v12, v8, v11
	v_lshrrev_b32_e32 v13, 16, v8
.LBB814_1134:                           ;   in Loop: Header=BB814_794 Depth=1
	s_or_b64 exec, exec, s[20:21]
.LBB814_1135:                           ;   in Loop: Header=BB814_794 Depth=1
	s_or_b64 exec, exec, s[18:19]
.LBB814_1136:                           ;   in Loop: Header=BB814_794 Depth=1
	s_or_b64 exec, exec, s[16:17]
	v_lshrrev_b16_e32 v8, 8, v6
	v_cmp_ne_u16_e32 vcc, 0, v8
	v_mov_b32_e32 v12, 0
	v_mov_b32_e32 v11, 0
	s_and_saveexec_b64 s[16:17], vcc
	s_cbranch_execz .LBB814_1142
; %bb.1137:                             ;   in Loop: Header=BB814_794 Depth=1
	v_cmp_ne_u16_e32 vcc, s23, v8
	v_mov_b32_e32 v11, 0xffff8000
	s_and_saveexec_b64 s[18:19], vcc
	s_cbranch_execz .LBB814_1141
; %bb.1138:                             ;   in Loop: Header=BB814_794 Depth=1
	v_and_b32_e32 v14, 0x7f, v8
	v_cmp_ne_u32_e32 vcc, s25, v14
	v_mov_b32_e32 v11, 0x7f80
	s_and_saveexec_b64 s[20:21], vcc
	s_cbranch_execz .LBB814_1140
; %bb.1139:                             ;   in Loop: Header=BB814_794 Depth=1
	v_and_b32_e32 v11, 7, v8
	v_ffbh_u32_e32 v16, v11
	v_min_u32_e32 v18, 32, v16
	v_subrev_u32_e32 v16, 28, v18
	v_lshlrev_b64 v[16:17], v16, v[8:9]
	v_lshrrev_b32_e32 v15, 3, v14
	v_sub_u32_e32 v8, 29, v18
	v_and_b32_e32 v16, 7, v16
	v_cmp_gt_u32_e32 vcc, 8, v14
	v_cndmask_b32_e32 v8, v15, v8, vcc
	v_cndmask_b32_e32 v11, v11, v16, vcc
	v_lshlrev_b32_e32 v14, 16, v6
	v_lshlrev_b32_e32 v11, 20, v11
	v_and_b32_e32 v14, 0x80000000, v14
	v_lshl_add_u32 v8, v8, 23, v10
	v_or3_b32 v8, v14, v8, v11
	v_lshrrev_b32_e32 v11, 16, v8
.LBB814_1140:                           ;   in Loop: Header=BB814_794 Depth=1
	s_or_b64 exec, exec, s[20:21]
.LBB814_1141:                           ;   in Loop: Header=BB814_794 Depth=1
	s_or_b64 exec, exec, s[18:19]
.LBB814_1142:                           ;   in Loop: Header=BB814_794 Depth=1
	s_or_b64 exec, exec, s[16:17]
	v_lshrrev_b32_e32 v8, 16, v6
	v_cmp_ne_u16_sdwa s[18:19], v8, v9 src0_sel:BYTE_0 src1_sel:DWORD
	s_and_saveexec_b64 s[16:17], s[18:19]
	s_cbranch_execz .LBB814_1148
; %bb.1143:                             ;   in Loop: Header=BB814_794 Depth=1
	v_cmp_ne_u16_sdwa s[20:21], v8, s23 src0_sel:BYTE_0 src1_sel:DWORD
	v_mov_b32_e32 v12, 0xffff8000
	s_and_saveexec_b64 s[18:19], s[20:21]
	s_cbranch_execz .LBB814_1147
; %bb.1144:                             ;   in Loop: Header=BB814_794 Depth=1
	v_bfe_u32 v14, v6, 16, 7
	v_cmp_ne_u32_e32 vcc, s25, v14
	v_mov_b32_e32 v12, 0x7f80
	s_and_saveexec_b64 s[20:21], vcc
	s_cbranch_execz .LBB814_1146
; %bb.1145:                             ;   in Loop: Header=BB814_794 Depth=1
	v_and_b32_e32 v12, 7, v8
	v_ffbh_u32_e32 v16, v12
	v_min_u32_e32 v18, 32, v16
	v_subrev_u32_e32 v16, 28, v18
	v_lshlrev_b64 v[16:17], v16, v[8:9]
	v_lshrrev_b32_e32 v15, 3, v14
	v_sub_u32_e32 v17, 29, v18
	v_and_b32_e32 v16, 7, v16
	v_cmp_gt_u32_e32 vcc, 8, v14
	v_cndmask_b32_e32 v14, v15, v17, vcc
	v_cndmask_b32_e32 v12, v12, v16, vcc
	v_lshlrev_b32_e32 v8, 24, v8
	v_lshlrev_b32_e32 v12, 20, v12
	v_and_b32_e32 v8, 0x80000000, v8
	v_lshl_add_u32 v14, v14, 23, v10
	v_or3_b32 v8, v8, v14, v12
	v_lshrrev_b32_e32 v12, 16, v8
.LBB814_1146:                           ;   in Loop: Header=BB814_794 Depth=1
	s_or_b64 exec, exec, s[20:21]
.LBB814_1147:                           ;   in Loop: Header=BB814_794 Depth=1
	s_or_b64 exec, exec, s[18:19]
.LBB814_1148:                           ;   in Loop: Header=BB814_794 Depth=1
	s_or_b64 exec, exec, s[16:17]
	v_cmp_lt_u32_e32 vcc, s26, v6
	v_mov_b32_e32 v14, 0
	v_mov_b32_e32 v15, 0
	s_and_saveexec_b64 s[16:17], vcc
	s_cbranch_execz .LBB814_1154
; %bb.1149:                             ;   in Loop: Header=BB814_794 Depth=1
	v_lshrrev_b32_e32 v8, 24, v6
	v_cmp_ne_u32_e32 vcc, s23, v8
	v_mov_b32_e32 v15, 0xffff8000
	s_and_saveexec_b64 s[18:19], vcc
	s_cbranch_execz .LBB814_1153
; %bb.1150:                             ;   in Loop: Header=BB814_794 Depth=1
	v_bfe_u32 v6, v6, 24, 7
	v_cmp_ne_u32_e32 vcc, s25, v6
	v_mov_b32_e32 v15, 0x7f80
	s_and_saveexec_b64 s[20:21], vcc
	s_cbranch_execz .LBB814_1152
; %bb.1151:                             ;   in Loop: Header=BB814_794 Depth=1
	v_and_b32_e32 v15, 7, v8
	v_ffbh_u32_e32 v16, v15
	v_min_u32_e32 v19, 32, v16
	v_subrev_u32_e32 v16, 28, v19
	v_lshlrev_b64 v[16:17], v16, v[8:9]
	v_lshrrev_b32_e32 v18, 3, v6
	v_sub_u32_e32 v17, 29, v19
	v_and_b32_e32 v16, 7, v16
	v_cmp_gt_u32_e32 vcc, 8, v6
	v_cndmask_b32_e32 v6, v18, v17, vcc
	v_cndmask_b32_e32 v15, v15, v16, vcc
	v_lshlrev_b32_e32 v8, 24, v8
	v_lshlrev_b32_e32 v15, 20, v15
	v_and_b32_e32 v8, 0x80000000, v8
	v_lshl_add_u32 v6, v6, 23, v10
	v_or3_b32 v6, v8, v6, v15
	v_lshrrev_b32_e32 v15, 16, v6
.LBB814_1152:                           ;   in Loop: Header=BB814_794 Depth=1
	s_or_b64 exec, exec, s[20:21]
.LBB814_1153:                           ;   in Loop: Header=BB814_794 Depth=1
	s_or_b64 exec, exec, s[18:19]
.LBB814_1154:                           ;   in Loop: Header=BB814_794 Depth=1
	s_or_b64 exec, exec, s[16:17]
	s_waitcnt vmcnt(0)
	v_cmp_ne_u16_sdwa s[18:19], v4, v9 src0_sel:BYTE_0 src1_sel:DWORD
	s_and_saveexec_b64 s[16:17], s[18:19]
	s_cbranch_execz .LBB814_1160
; %bb.1155:                             ;   in Loop: Header=BB814_794 Depth=1
	v_cmp_ne_u16_sdwa s[20:21], v4, s23 src0_sel:BYTE_0 src1_sel:DWORD
	v_mov_b32_e32 v14, 0xffff8000
	s_and_saveexec_b64 s[18:19], s[20:21]
	s_cbranch_execz .LBB814_1159
; %bb.1156:                             ;   in Loop: Header=BB814_794 Depth=1
	v_and_b32_e32 v6, 0x7f, v4
	v_cmp_ne_u32_e32 vcc, s25, v6
	v_mov_b32_e32 v14, 0x7f80
	s_and_saveexec_b64 s[20:21], vcc
	s_cbranch_execz .LBB814_1158
; %bb.1157:                             ;   in Loop: Header=BB814_794 Depth=1
	v_and_b32_e32 v8, 7, v4
	v_ffbh_u32_e32 v16, v8
	v_min_u32_e32 v18, 32, v16
	v_subrev_u32_e32 v16, 28, v18
	v_lshlrev_b64 v[16:17], v16, v[4:5]
	v_lshrrev_b32_e32 v14, 3, v6
	v_sub_u32_e32 v17, 29, v18
	v_and_b32_e32 v16, 7, v16
	v_cmp_gt_u32_e32 vcc, 8, v6
	v_cndmask_b32_e32 v6, v14, v17, vcc
	v_cndmask_b32_e32 v8, v8, v16, vcc
	v_lshlrev_b32_e32 v14, 24, v4
	v_lshlrev_b32_e32 v8, 20, v8
	v_and_b32_e32 v14, 0x80000000, v14
	v_lshl_add_u32 v6, v6, 23, v10
	v_or3_b32 v6, v14, v6, v8
	v_lshrrev_b32_e32 v14, 16, v6
.LBB814_1158:                           ;   in Loop: Header=BB814_794 Depth=1
	s_or_b64 exec, exec, s[20:21]
.LBB814_1159:                           ;   in Loop: Header=BB814_794 Depth=1
	s_or_b64 exec, exec, s[18:19]
.LBB814_1160:                           ;   in Loop: Header=BB814_794 Depth=1
	s_or_b64 exec, exec, s[16:17]
	v_lshrrev_b16_e32 v6, 8, v4
	v_cmp_ne_u16_e32 vcc, 0, v6
	v_mov_b32_e32 v16, 0
	v_mov_b32_e32 v8, 0
	s_and_saveexec_b64 s[16:17], vcc
	s_cbranch_execz .LBB814_1166
; %bb.1161:                             ;   in Loop: Header=BB814_794 Depth=1
	v_cmp_ne_u16_e32 vcc, s23, v6
	v_mov_b32_e32 v8, 0xffff8000
	s_and_saveexec_b64 s[18:19], vcc
	s_cbranch_execz .LBB814_1165
; %bb.1162:                             ;   in Loop: Header=BB814_794 Depth=1
	v_and_b32_e32 v17, 0x7f, v6
	v_cmp_ne_u32_e32 vcc, s25, v17
	v_mov_b32_e32 v8, 0x7f80
	s_and_saveexec_b64 s[20:21], vcc
	s_cbranch_execz .LBB814_1164
; %bb.1163:                             ;   in Loop: Header=BB814_794 Depth=1
	v_and_b32_e32 v8, 7, v6
	v_ffbh_u32_e32 v18, v8
	v_min_u32_e32 v21, 32, v18
	v_subrev_u32_e32 v18, 28, v21
	v_lshlrev_b64 v[18:19], v18, v[6:7]
	v_lshrrev_b32_e32 v20, 3, v17
	v_sub_u32_e32 v6, 29, v21
	v_and_b32_e32 v18, 7, v18
	v_cmp_gt_u32_e32 vcc, 8, v17
	v_cndmask_b32_e32 v6, v20, v6, vcc
	v_cndmask_b32_e32 v8, v8, v18, vcc
	v_lshlrev_b32_e32 v17, 16, v4
	v_lshlrev_b32_e32 v8, 20, v8
	v_and_b32_e32 v17, 0x80000000, v17
	v_lshl_add_u32 v6, v6, 23, v10
	v_or3_b32 v6, v17, v6, v8
	v_lshrrev_b32_e32 v8, 16, v6
.LBB814_1164:                           ;   in Loop: Header=BB814_794 Depth=1
	s_or_b64 exec, exec, s[20:21]
.LBB814_1165:                           ;   in Loop: Header=BB814_794 Depth=1
	s_or_b64 exec, exec, s[18:19]
.LBB814_1166:                           ;   in Loop: Header=BB814_794 Depth=1
	s_or_b64 exec, exec, s[16:17]
	v_lshrrev_b32_e32 v6, 16, v4
	v_cmp_ne_u16_sdwa s[18:19], v6, v9 src0_sel:BYTE_0 src1_sel:DWORD
	s_and_saveexec_b64 s[16:17], s[18:19]
	s_cbranch_execz .LBB814_1172
; %bb.1167:                             ;   in Loop: Header=BB814_794 Depth=1
	v_cmp_ne_u16_sdwa s[20:21], v6, s23 src0_sel:BYTE_0 src1_sel:DWORD
	v_mov_b32_e32 v16, 0xffff8000
	s_and_saveexec_b64 s[18:19], s[20:21]
	s_cbranch_execz .LBB814_1171
; %bb.1168:                             ;   in Loop: Header=BB814_794 Depth=1
	v_bfe_u32 v17, v4, 16, 7
	v_cmp_ne_u32_e32 vcc, s25, v17
	v_mov_b32_e32 v16, 0x7f80
	s_and_saveexec_b64 s[20:21], vcc
	s_cbranch_execz .LBB814_1170
; %bb.1169:                             ;   in Loop: Header=BB814_794 Depth=1
	v_and_b32_e32 v16, 7, v6
	v_ffbh_u32_e32 v18, v16
	v_min_u32_e32 v21, 32, v18
	v_subrev_u32_e32 v18, 28, v21
	v_lshlrev_b64 v[18:19], v18, v[6:7]
	v_lshrrev_b32_e32 v20, 3, v17
	v_sub_u32_e32 v19, 29, v21
	v_and_b32_e32 v18, 7, v18
	v_cmp_gt_u32_e32 vcc, 8, v17
	v_cndmask_b32_e32 v17, v20, v19, vcc
	v_cndmask_b32_e32 v16, v16, v18, vcc
	v_lshlrev_b32_e32 v6, 24, v6
	v_lshlrev_b32_e32 v16, 20, v16
	v_and_b32_e32 v6, 0x80000000, v6
	v_lshl_add_u32 v17, v17, 23, v10
	v_or3_b32 v6, v6, v17, v16
	v_lshrrev_b32_e32 v16, 16, v6
.LBB814_1170:                           ;   in Loop: Header=BB814_794 Depth=1
	s_or_b64 exec, exec, s[20:21]
.LBB814_1171:                           ;   in Loop: Header=BB814_794 Depth=1
	s_or_b64 exec, exec, s[18:19]
.LBB814_1172:                           ;   in Loop: Header=BB814_794 Depth=1
	s_or_b64 exec, exec, s[16:17]
	v_cmp_lt_u32_e32 vcc, s26, v4
	v_mov_b32_e32 v17, 0
	s_and_saveexec_b64 s[16:17], vcc
	s_cbranch_execz .LBB814_793
; %bb.1173:                             ;   in Loop: Header=BB814_794 Depth=1
	v_lshrrev_b32_e32 v6, 24, v4
	v_cmp_ne_u32_e32 vcc, s23, v6
	v_mov_b32_e32 v17, 0xffff8000
	s_and_saveexec_b64 s[18:19], vcc
	s_cbranch_execz .LBB814_792
; %bb.1174:                             ;   in Loop: Header=BB814_794 Depth=1
	v_bfe_u32 v4, v4, 24, 7
	v_cmp_ne_u32_e32 vcc, s25, v4
	v_mov_b32_e32 v17, 0x7f80
	s_and_saveexec_b64 s[20:21], vcc
	s_cbranch_execz .LBB814_791
; %bb.1175:                             ;   in Loop: Header=BB814_794 Depth=1
	v_and_b32_e32 v17, 7, v6
	v_ffbh_u32_e32 v18, v17
	v_min_u32_e32 v21, 32, v18
	v_subrev_u32_e32 v18, 28, v21
	v_lshlrev_b64 v[18:19], v18, v[6:7]
	v_lshrrev_b32_e32 v20, 3, v4
	v_sub_u32_e32 v19, 29, v21
	v_and_b32_e32 v18, 7, v18
	v_cmp_gt_u32_e32 vcc, 8, v4
	v_cndmask_b32_e32 v4, v20, v19, vcc
	v_cndmask_b32_e32 v17, v17, v18, vcc
	v_lshlrev_b32_e32 v6, 24, v6
	v_lshlrev_b32_e32 v17, 20, v17
	v_and_b32_e32 v6, 0x80000000, v6
	v_lshl_add_u32 v4, v4, 23, v10
	v_or3_b32 v4, v6, v4, v17
	v_lshrrev_b32_e32 v17, 16, v4
	s_branch .LBB814_791
.LBB814_1176:
	s_or_b64 exec, exec, s[6:7]
	v_cmp_gt_u32_e32 vcc, 64, v0
	s_waitcnt lgkmcnt(0)
	s_barrier
	s_and_saveexec_b64 s[6:7], vcc
	s_cbranch_execz .LBB814_1178
; %bb.1177:
	v_mov_b32_e32 v2, 0xa00
	v_mad_u32_u24 v2, v1, 40, v2
	ds_read2_b64 v[2:5], v2 offset1:1
	s_waitcnt lgkmcnt(0)
	v_mov_b32_e32 v3, 0xa10
	v_mul_u32_u24_e32 v10, 40, v1
	v_mad_u32_u24 v1, v1, 40, v3
	ds_read2_b64 v[6:9], v1 offset1:1
	v_lshlrev_b32_e32 v1, 16, v2
	v_add_f32_e32 v1, 0, v1
	v_and_b32_e32 v1, 0xffff0000, v1
	v_lshlrev_b32_e32 v2, 16, v4
	v_add_f32_e32 v1, v1, v2
	s_mov_b32 s5, 0
	v_and_b32_e32 v1, 0xffff0000, v1
	s_waitcnt lgkmcnt(0)
	v_lshlrev_b32_e32 v2, 16, v6
	s_lshl_b32 s4, s4, 7
	v_add_f32_e32 v1, v1, v2
	s_lshl_b64 s[6:7], s[4:5], 1
	v_and_b32_e32 v1, 0xffff0000, v1
	v_lshlrev_b32_e32 v2, 16, v8
	s_add_u32 s6, s30, s6
	s_mul_i32 s10, s10, s11
	v_add_f32_e32 v11, v1, v2
	s_addc_u32 s7, s31, s7
	s_lshl_b32 s4, s28, 7
	v_lshl_or_b32 v0, s10, 7, v0
	v_mov_b32_e32 v1, 0
	s_lshl_b64 s[4:5], s[4:5], 1
	v_lshlrev_b64 v[4:5], 1, v[0:1]
	ds_read2_b64 v[0:3], v10 offset1:1
	s_add_u32 s4, s6, s4
	s_addc_u32 s5, s7, s5
	v_mov_b32_e32 v6, s5
	v_add_co_u32_e32 v8, vcc, s4, v4
	v_addc_co_u32_e32 v9, vcc, v6, v5, vcc
	ds_read2_b64 v[4:7], v10 offset0:2 offset1:3
	s_waitcnt lgkmcnt(1)
	v_lshlrev_b32_e32 v0, 16, v0
	v_add_f32_e32 v0, 0, v0
	v_and_b32_e32 v0, 0xffff0000, v0
	v_lshlrev_b32_e32 v1, 16, v2
	v_add_f32_e32 v0, v0, v1
	v_and_b32_e32 v0, 0xffff0000, v0
	s_waitcnt lgkmcnt(0)
	v_lshlrev_b32_e32 v1, 16, v4
	v_add_f32_e32 v0, v0, v1
	v_and_b32_e32 v0, 0xffff0000, v0
	v_lshlrev_b32_e32 v1, 16, v6
	v_add_f32_e32 v0, v0, v1
	global_store_short_d16_hi v[8:9], v0, off
	global_store_short_d16_hi v[8:9], v11, off offset:128
.LBB814_1178:
	s_endpgm
	.section	.rodata,"a",@progbits
	.p2align	6, 0x0
	.amdhsa_kernel _Z38paged_attention_ll4mi_QKV_mfma4_kernelI14__hip_bfloat16hLN4vllm18Fp8KVCacheDataTypeE1ES0_Li32ELi128ELi256ELb0ELi1EEvPKT_PKT0_S8_ifPKiSA_SA_iPKfiiiPfSD_PS3_PT2_iSC_SC_
		.amdhsa_group_segment_fixed_size 5280
		.amdhsa_private_segment_fixed_size 144
		.amdhsa_kernarg_size 400
		.amdhsa_user_sgpr_count 8
		.amdhsa_user_sgpr_private_segment_buffer 1
		.amdhsa_user_sgpr_dispatch_ptr 0
		.amdhsa_user_sgpr_queue_ptr 0
		.amdhsa_user_sgpr_kernarg_segment_ptr 1
		.amdhsa_user_sgpr_dispatch_id 0
		.amdhsa_user_sgpr_flat_scratch_init 1
		.amdhsa_user_sgpr_kernarg_preload_length 0
		.amdhsa_user_sgpr_kernarg_preload_offset 0
		.amdhsa_user_sgpr_private_segment_size 0
		.amdhsa_uses_dynamic_stack 0
		.amdhsa_system_sgpr_private_segment_wavefront_offset 1
		.amdhsa_system_sgpr_workgroup_id_x 1
		.amdhsa_system_sgpr_workgroup_id_y 1
		.amdhsa_system_sgpr_workgroup_id_z 1
		.amdhsa_system_sgpr_workgroup_info 0
		.amdhsa_system_vgpr_workitem_id 0
		.amdhsa_next_free_vgpr 80
		.amdhsa_next_free_sgpr 46
		.amdhsa_accum_offset 76
		.amdhsa_reserve_vcc 1
		.amdhsa_reserve_flat_scratch 0
		.amdhsa_float_round_mode_32 0
		.amdhsa_float_round_mode_16_64 0
		.amdhsa_float_denorm_mode_32 3
		.amdhsa_float_denorm_mode_16_64 3
		.amdhsa_dx10_clamp 1
		.amdhsa_ieee_mode 1
		.amdhsa_fp16_overflow 0
		.amdhsa_tg_split 0
		.amdhsa_exception_fp_ieee_invalid_op 0
		.amdhsa_exception_fp_denorm_src 0
		.amdhsa_exception_fp_ieee_div_zero 0
		.amdhsa_exception_fp_ieee_overflow 0
		.amdhsa_exception_fp_ieee_underflow 0
		.amdhsa_exception_fp_ieee_inexact 0
		.amdhsa_exception_int_div_zero 0
	.end_amdhsa_kernel
	.section	.text._Z38paged_attention_ll4mi_QKV_mfma4_kernelI14__hip_bfloat16hLN4vllm18Fp8KVCacheDataTypeE1ES0_Li32ELi128ELi256ELb0ELi1EEvPKT_PKT0_S8_ifPKiSA_SA_iPKfiiiPfSD_PS3_PT2_iSC_SC_,"axG",@progbits,_Z38paged_attention_ll4mi_QKV_mfma4_kernelI14__hip_bfloat16hLN4vllm18Fp8KVCacheDataTypeE1ES0_Li32ELi128ELi256ELb0ELi1EEvPKT_PKT0_S8_ifPKiSA_SA_iPKfiiiPfSD_PS3_PT2_iSC_SC_,comdat
.Lfunc_end814:
	.size	_Z38paged_attention_ll4mi_QKV_mfma4_kernelI14__hip_bfloat16hLN4vllm18Fp8KVCacheDataTypeE1ES0_Li32ELi128ELi256ELb0ELi1EEvPKT_PKT0_S8_ifPKiSA_SA_iPKfiiiPfSD_PS3_PT2_iSC_SC_, .Lfunc_end814-_Z38paged_attention_ll4mi_QKV_mfma4_kernelI14__hip_bfloat16hLN4vllm18Fp8KVCacheDataTypeE1ES0_Li32ELi128ELi256ELb0ELi1EEvPKT_PKT0_S8_ifPKiSA_SA_iPKfiiiPfSD_PS3_PT2_iSC_SC_
                                        ; -- End function
	.section	.AMDGPU.csdata,"",@progbits
; Kernel info:
; codeLenInByte = 42140
; NumSgprs: 50
; NumVgprs: 74
; NumAgprs: 4
; TotalNumVgprs: 80
; ScratchSize: 144
; MemoryBound: 0
; FloatMode: 240
; IeeeMode: 1
; LDSByteSize: 5280 bytes/workgroup (compile time only)
; SGPRBlocks: 6
; VGPRBlocks: 9
; NumSGPRsForWavesPerEU: 50
; NumVGPRsForWavesPerEU: 80
; AccumOffset: 76
; Occupancy: 6
; WaveLimiterHint : 1
; COMPUTE_PGM_RSRC2:SCRATCH_EN: 1
; COMPUTE_PGM_RSRC2:USER_SGPR: 8
; COMPUTE_PGM_RSRC2:TRAP_HANDLER: 0
; COMPUTE_PGM_RSRC2:TGID_X_EN: 1
; COMPUTE_PGM_RSRC2:TGID_Y_EN: 1
; COMPUTE_PGM_RSRC2:TGID_Z_EN: 1
; COMPUTE_PGM_RSRC2:TIDIG_COMP_CNT: 0
; COMPUTE_PGM_RSRC3_GFX90A:ACCUM_OFFSET: 18
; COMPUTE_PGM_RSRC3_GFX90A:TG_SPLIT: 0
	.section	.text._Z38paged_attention_ll4mi_QKV_mfma4_kernelI14__hip_bfloat16hLN4vllm18Fp8KVCacheDataTypeE1ES0_Li32ELi128ELi256ELb0ELi2EEvPKT_PKT0_S8_ifPKiSA_SA_iPKfiiiPfSD_PS3_PT2_iSC_SC_,"axG",@progbits,_Z38paged_attention_ll4mi_QKV_mfma4_kernelI14__hip_bfloat16hLN4vllm18Fp8KVCacheDataTypeE1ES0_Li32ELi128ELi256ELb0ELi2EEvPKT_PKT0_S8_ifPKiSA_SA_iPKfiiiPfSD_PS3_PT2_iSC_SC_,comdat
	.protected	_Z38paged_attention_ll4mi_QKV_mfma4_kernelI14__hip_bfloat16hLN4vllm18Fp8KVCacheDataTypeE1ES0_Li32ELi128ELi256ELb0ELi2EEvPKT_PKT0_S8_ifPKiSA_SA_iPKfiiiPfSD_PS3_PT2_iSC_SC_ ; -- Begin function _Z38paged_attention_ll4mi_QKV_mfma4_kernelI14__hip_bfloat16hLN4vllm18Fp8KVCacheDataTypeE1ES0_Li32ELi128ELi256ELb0ELi2EEvPKT_PKT0_S8_ifPKiSA_SA_iPKfiiiPfSD_PS3_PT2_iSC_SC_
	.globl	_Z38paged_attention_ll4mi_QKV_mfma4_kernelI14__hip_bfloat16hLN4vllm18Fp8KVCacheDataTypeE1ES0_Li32ELi128ELi256ELb0ELi2EEvPKT_PKT0_S8_ifPKiSA_SA_iPKfiiiPfSD_PS3_PT2_iSC_SC_
	.p2align	8
	.type	_Z38paged_attention_ll4mi_QKV_mfma4_kernelI14__hip_bfloat16hLN4vllm18Fp8KVCacheDataTypeE1ES0_Li32ELi128ELi256ELb0ELi2EEvPKT_PKT0_S8_ifPKiSA_SA_iPKfiiiPfSD_PS3_PT2_iSC_SC_,@function
_Z38paged_attention_ll4mi_QKV_mfma4_kernelI14__hip_bfloat16hLN4vllm18Fp8KVCacheDataTypeE1ES0_Li32ELi128ELi256ELb0ELi2EEvPKT_PKT0_S8_ifPKiSA_SA_iPKfiiiPfSD_PS3_PT2_iSC_SC_: ; @_Z38paged_attention_ll4mi_QKV_mfma4_kernelI14__hip_bfloat16hLN4vllm18Fp8KVCacheDataTypeE1ES0_Li32ELi128ELi256ELb0ELi2EEvPKT_PKT0_S8_ifPKiSA_SA_iPKfiiiPfSD_PS3_PT2_iSC_SC_
; %bb.0:
	s_load_dwordx2 s[12:13], s[4:5], 0x30
	s_add_u32 s0, s0, s11
	s_addc_u32 s1, s1, 0
	s_mov_b32 s28, s9
	s_mov_b64 s[6:7], 0
	s_waitcnt lgkmcnt(0)
	s_cmp_lg_u64 s[12:13], 0
	s_cselect_b64 s[14:15], -1, 0
	s_and_b64 vcc, exec, s[14:15]
	s_cbranch_vccz .LBB815_10
; %bb.1:
	s_add_i32 s16, s8, 1
	s_mov_b32 s17, 0
	s_lshl_b64 s[18:19], s[16:17], 2
	s_add_u32 s18, s12, s18
	s_mov_b32 s9, s17
	s_addc_u32 s19, s13, s19
	s_lshl_b64 s[16:17], s[8:9], 2
	s_add_u32 s16, s12, s16
	s_addc_u32 s17, s13, s17
	s_load_dword s11, s[18:19], 0x0
	s_load_dword s20, s[16:17], 0x0
	s_waitcnt lgkmcnt(0)
	s_sub_i32 s11, s11, s20
	s_cmp_eq_u32 s11, 1
	s_cselect_b64 s[16:17], -1, 0
	s_andn2_b64 vcc, exec, s[6:7]
	s_cbranch_vccnz .LBB815_3
.LBB815_2:
	s_mov_b32 s9, 0
	s_mov_b64 s[16:17], -1
.LBB815_3:
	s_andn2_b64 vcc, exec, s[16:17]
	s_cbranch_vccnz .LBB815_1178
; %bb.4:
	s_load_dword s11, s[4:5], 0x9c
	s_load_dwordx2 s[6:7], s[4:5], 0x28
	s_add_u32 s34, s4, 0x90
	s_addc_u32 s35, s5, 0
	s_lshl_b64 s[38:39], s[8:9], 2
	s_waitcnt lgkmcnt(0)
	s_and_b32 s11, s11, 0xffff
	s_add_u32 s6, s6, s38
	s_addc_u32 s7, s7, s39
	s_load_dword s9, s[6:7], 0x0
	s_mul_i32 s11, s28, s11
	s_waitcnt lgkmcnt(0)
	s_cmp_ge_i32 s11, s9
	s_cbranch_scc1 .LBB815_1178
; %bb.5:
	v_and_b32_e32 v1, 0xc0, v0
	v_add_u32_e32 v7, s11, v1
	v_lshrrev_b32_e32 v42, 6, v0
	v_cmp_le_i32_e64 s[6:7], s9, v7
                                        ; implicit-def: $sgpr25
                                        ; implicit-def: $sgpr24
	s_and_saveexec_b64 s[16:17], s[6:7]
	s_xor_b64 s[16:17], exec, s[16:17]
	s_cbranch_execz .LBB815_7
; %bb.6:
	v_mul_u32_u24_e32 v1, 20, v42
	v_or_b32_e32 v1, 0x1400, v1
	v_mov_b32_e32 v2, 0x1450
	v_mov_b32_e32 v3, 0xff7fffff
	v_mad_u32_u24 v2, v42, 20, v2
	ds_write2_b32 v1, v3, v3 offset1:1
	v_mov_b32_e32 v1, 0
	ds_write2_b32 v2, v1, v1 offset1:1
	v_mov_b32_e32 v2, 0x1408
	s_mov_b32 s24, 0xff7fffff
	s_mov_b32 s25, 0
	v_mad_u32_u24 v2, v42, 20, v2
	v_mov_b32_e32 v4, 0x1458
	v_mad_u32_u24 v4, v42, 20, v4
	ds_write2_b32 v2, v3, v3 offset1:1
	ds_write2_b32 v4, v1, v1 offset1:1
                                        ; implicit-def: $vgpr7
.LBB815_7:
	s_or_saveexec_b64 s[36:37], s[16:17]
	s_load_dwordx2 s[30:31], s[4:5], 0x68
	s_load_dwordx4 s[20:23], s[4:5], 0x58
	s_load_dword s33, s[34:35], 0x4
	s_load_dwordx4 s[16:19], s[4:5], 0x80
	v_and_b32_e32 v1, 63, v0
	v_and_b32_e32 v43, 3, v0
	v_mov_b32_e32 v5, s25
	v_mov_b32_e32 v6, s24
	;; [unrolled: 1-line block ×5, first 2 shown]
	s_xor_b64 exec, exec, s[36:37]
	s_cbranch_execz .LBB815_785
; %bb.8:
	s_add_i32 s27, s9, 31
	s_load_dwordx2 s[24:25], s[4:5], 0x20
	s_load_dword s26, s[4:5], 0x38
	s_ashr_i32 s29, s27, 31
	s_lshr_b32 s29, s29, 27
	v_add_u32_e32 v44, s11, v0
	s_add_i32 s27, s27, s29
	v_ashrrev_i32_e32 v2, 31, v44
	s_ashr_i32 s27, s27, 5
	v_lshrrev_b32_e32 v2, 27, v2
	s_add_i32 s29, s27, -1
	v_add_u32_e32 v2, v44, v2
	s_waitcnt lgkmcnt(0)
	s_mul_i32 s26, s8, s26
	s_mov_b32 s27, 0
	v_ashrrev_i32_e32 v2, 5, v2
	v_mov_b32_e32 v3, s29
	v_cmp_gt_i32_e32 vcc, s9, v44
	s_lshl_b64 s[26:27], s[26:27], 2
	v_cndmask_b32_e32 v2, v3, v2, vcc
	s_add_u32 s24, s24, s26
	v_ashrrev_i32_e32 v3, 31, v2
	s_addc_u32 s25, s25, s27
	v_lshlrev_b64 v[2:3], 2, v[2:3]
	v_mov_b32_e32 v4, s25
	v_add_co_u32_e32 v2, vcc, s24, v2
	v_addc_co_u32_e32 v3, vcc, v4, v3, vcc
	v_ashrrev_i32_e32 v4, 31, v7
	v_lshrrev_b32_e32 v4, 27, v4
	v_add_u32_e32 v4, v7, v4
	v_ashrrev_i32_e32 v6, 5, v4
	v_min_i32_e32 v4, s29, v6
	v_ashrrev_i32_e32 v5, 31, v4
	v_lshlrev_b64 v[4:5], 2, v[4:5]
	v_add_u32_e32 v6, 1, v6
	v_mov_b32_e32 v7, s25
	v_add_co_u32_e32 v4, vcc, s24, v4
	v_min_i32_e32 v6, s29, v6
	v_addc_co_u32_e32 v5, vcc, v7, v5, vcc
	v_ashrrev_i32_e32 v7, 31, v6
	v_lshlrev_b64 v[6:7], 2, v[6:7]
	v_mov_b32_e32 v8, s25
	v_add_co_u32_e32 v10, vcc, s24, v6
	v_addc_co_u32_e32 v11, vcc, v8, v7, vcc
	global_load_dword v6, v[2:3], off
	global_load_dword v8, v[4:5], off
	;; [unrolled: 1-line block ×3, first 2 shown]
	s_load_dwordx4 s[24:27], s[4:5], 0x8
	s_andn2_b64 vcc, exec, s[14:15]
	s_cbranch_vccnz .LBB815_11
; %bb.9:
	s_add_u32 s12, s12, s38
	s_addc_u32 s13, s13, s39
	s_load_dword s11, s[12:13], 0x0
	s_branch .LBB815_12
.LBB815_10:
	s_mov_b64 s[16:17], 0
	s_branch .LBB815_2
.LBB815_11:
	s_mov_b32 s11, s8
.LBB815_12:
	s_load_dwordx4 s[12:15], s[4:5], 0x48
	v_cmp_gt_u32_e32 vcc, 2, v43
	s_mov_b32 s41, 0
	v_mov_b32_e32 v39, 0
	v_mov_b32_e32 v2, 0
	;; [unrolled: 1-line block ×5, first 2 shown]
	s_and_saveexec_b64 s[38:39], vcc
	s_cbranch_execz .LBB815_14
; %bb.13:
	s_load_dwordx2 s[42:43], s[4:5], 0x0
	s_waitcnt lgkmcnt(0)
	s_ashr_i32 s15, s12, 31
	s_mul_hi_u32 s29, s11, s12
	s_mul_i32 s15, s11, s15
	s_add_i32 s45, s29, s15
	s_mul_i32 s44, s11, s12
	s_lshl_b64 s[44:45], s[44:45], 1
	s_add_u32 s11, s42, s44
	s_addc_u32 s12, s43, s45
	s_lshl_b32 s40, s10, 8
	s_lshl_b64 s[40:41], s[40:41], 1
	v_lshlrev_b32_e32 v2, 2, v1
	s_add_u32 s40, s11, s40
	v_and_b32_e32 v2, 0xf0, v2
	s_addc_u32 s41, s12, s41
	v_lshl_or_b32 v2, v43, 8, v2
	global_load_dwordx4 v[2:5], v2, s[40:41]
.LBB815_14:
	s_or_b64 exec, exec, s[38:39]
	s_waitcnt lgkmcnt(0)
	s_mul_i32 s11, s10, s14
	s_waitcnt vmcnt(1)
	v_mul_hi_i32 v9, v8, s13
	s_add_u32 s14, s11, s24
	v_ashrrev_i32_e32 v9, 31, v9
	s_addc_u32 s15, 0, s25
	v_lshrrev_b32_e32 v38, 29, v9
	s_add_u32 s11, s26, s11
	v_mad_i64_i32 v[8:9], s[24:25], v8, s13, v[38:39]
	s_addc_u32 s26, s27, 0
	v_and_b32_e32 v8, -8, v8
	v_mov_b32_e32 v10, s26
	v_add_co_u32_e32 v8, vcc, s11, v8
	v_addc_co_u32_e32 v9, vcc, v10, v9, vcc
	v_lshlrev_b32_e32 v16, 5, v1
	v_add_co_u32_e32 v12, vcc, v8, v16
	v_addc_co_u32_e32 v13, vcc, 0, v9, vcc
	global_load_dwordx4 v[8:11], v[12:13], off
	global_load_dwordx4 v[46:49], v[12:13], off offset:16
	v_lshlrev_b32_e32 v14, 4, v0
	s_waitcnt vmcnt(2)
	v_mul_hi_i32 v15, v7, s13
	v_and_b32_e32 v17, 0x1f0, v14
	v_ashrrev_i32_e32 v18, 31, v15
	v_pk_mov_b32 v[14:15], s[14:15], s[14:15] op_sel:[0,1]
	v_lshrrev_b32_e32 v38, 29, v18
	v_mad_i64_i32 v[14:15], s[14:15], v6, s13, v[14:15]
	v_mad_i64_i32 v[6:7], s[12:13], v7, s13, v[38:39]
	v_add_co_u32_e32 v40, vcc, v14, v17
	v_addc_co_u32_e32 v41, vcc, 0, v15, vcc
	v_and_b32_e32 v6, -8, v6
	v_mov_b32_e32 v14, s26
	v_add_co_u32_e32 v6, vcc, s11, v6
	v_addc_co_u32_e32 v7, vcc, v14, v7, vcc
	v_add_co_u32_e32 v6, vcc, v6, v16
	v_addc_co_u32_e32 v7, vcc, 0, v7, vcc
	global_load_dwordx4 v[50:53], v[12:13], off offset:2064
	global_load_dwordx4 v[54:57], v[12:13], off offset:2048
	;; [unrolled: 1-line block ×3, first 2 shown]
	global_load_dwordx4 v[62:65], v[6:7], off
	global_load_dwordx4 v[34:37], v[40:41], off
	global_load_dwordx4 v[30:33], v[40:41], off offset:512
	global_load_dwordx4 v[26:29], v[40:41], off offset:1024
	;; [unrolled: 1-line block ×5, first 2 shown]
	s_waitcnt vmcnt(11)
	buffer_store_dword v9, off, s[0:3], 0 offset:4
	buffer_store_dword v8, off, s[0:3], 0
	buffer_store_dword v11, off, s[0:3], 0 offset:12
	buffer_store_dword v10, off, s[0:3], 0 offset:8
	global_load_dwordx4 v[18:21], v[40:41], off offset:2048
	global_load_dwordx4 v[14:17], v[40:41], off offset:2560
	s_waitcnt vmcnt(16)
	buffer_store_dword v47, off, s[0:3], 0 offset:20
	buffer_store_dword v46, off, s[0:3], 0 offset:16
	;; [unrolled: 1-line block ×4, first 2 shown]
	global_load_dwordx4 v[10:13], v[40:41], off offset:3072
	global_load_dwordx4 v[6:9], v[40:41], off offset:3584
	s_waitcnt vmcnt(20)
	buffer_store_dword v55, off, s[0:3], 0 offset:68
	buffer_store_dword v54, off, s[0:3], 0 offset:64
	buffer_store_dword v57, off, s[0:3], 0 offset:76
	buffer_store_dword v56, off, s[0:3], 0 offset:72
	buffer_store_dword v51, off, s[0:3], 0 offset:84
	buffer_store_dword v50, off, s[0:3], 0 offset:80
	buffer_store_dword v53, off, s[0:3], 0 offset:92
	buffer_store_dword v52, off, s[0:3], 0 offset:88
	s_waitcnt vmcnt(26)
	buffer_store_dword v63, off, s[0:3], 0 offset:36
	buffer_store_dword v62, off, s[0:3], 0 offset:32
	buffer_store_dword v65, off, s[0:3], 0 offset:44
	buffer_store_dword v64, off, s[0:3], 0 offset:40
	buffer_store_dword v59, off, s[0:3], 0 offset:52
	buffer_store_dword v58, off, s[0:3], 0 offset:48
	buffer_store_dword v61, off, s[0:3], 0 offset:60
	buffer_store_dword v60, off, s[0:3], 0 offset:56
	;; [unrolled: 9-line block ×3, first 2 shown]
	v_cmp_ne_u16_sdwa s[14:15], v34, v39 src0_sel:BYTE_0 src1_sel:DWORD
	s_and_saveexec_b64 s[12:13], s[14:15]
	s_cbranch_execz .LBB815_20
; %bb.15:
	s_movk_i32 s11, 0x80
	v_cmp_ne_u16_sdwa s[24:25], v34, s11 src0_sel:BYTE_0 src1_sel:DWORD
	v_mov_b32_e32 v39, 0xffff8000
	s_and_saveexec_b64 s[14:15], s[24:25]
	s_cbranch_execz .LBB815_19
; %bb.16:
	s_movk_i32 s11, 0x7f
	v_and_b32_e32 v38, 0x7f, v34
	v_cmp_ne_u32_e32 vcc, s11, v38
	v_mov_b32_e32 v39, 0x7f80
	s_and_saveexec_b64 s[24:25], vcc
	s_cbranch_execz .LBB815_18
; %bb.17:
	v_and_b32_e32 v39, 7, v34
	v_ffbh_u32_e32 v39, v39
	v_min_u32_e32 v39, 32, v39
	v_subrev_u32_e32 v41, 28, v39
	v_cmp_gt_u32_e32 vcc, 8, v38
	v_lshrrev_b32_e32 v40, 3, v38
	v_sub_u32_e32 v39, 29, v39
	v_cndmask_b32_e32 v38, 0, v41, vcc
	v_cndmask_b32_e32 v40, v40, v39, vcc
	v_lshlrev_b64 v[38:39], v38, v[34:35]
	v_lshlrev_b32_e32 v38, 20, v38
	v_lshlrev_b32_e32 v39, 24, v34
	v_bfrev_b32_e32 v41, 60
	v_and_b32_e32 v38, 0x700000, v38
	v_and_b32_e32 v39, 0x80000000, v39
	v_lshl_add_u32 v40, v40, 23, v41
	v_or3_b32 v38, v39, v40, v38
	v_lshrrev_b32_e32 v39, 16, v38
.LBB815_18:
	s_or_b64 exec, exec, s[24:25]
.LBB815_19:
	s_or_b64 exec, exec, s[14:15]
.LBB815_20:
	s_or_b64 exec, exec, s[12:13]
	v_lshrrev_b16_e32 v38, 8, v34
	v_cmp_ne_u16_e32 vcc, 0, v38
	v_mov_b32_e32 v46, 0
	v_mov_b32_e32 v45, 0
	s_and_saveexec_b64 s[12:13], vcc
	s_cbranch_execz .LBB815_26
; %bb.21:
	s_movk_i32 s11, 0x80
	v_cmp_ne_u16_e32 vcc, s11, v38
	v_mov_b32_e32 v45, 0xffff8000
	s_and_saveexec_b64 s[14:15], vcc
	s_cbranch_execz .LBB815_25
; %bb.22:
	s_movk_i32 s11, 0x7f
	v_and_b32_e32 v40, 0x7f, v38
	v_cmp_ne_u32_e32 vcc, s11, v40
	v_mov_b32_e32 v45, 0x7f80
	s_and_saveexec_b64 s[24:25], vcc
	s_cbranch_execz .LBB815_24
; %bb.23:
	v_and_b32_e32 v41, 7, v38
	v_ffbh_u32_e32 v47, v41
	v_min_u32_e32 v47, 32, v47
	v_subrev_u32_e32 v48, 28, v47
	v_lshlrev_b64 v[48:49], v48, v[38:39]
	v_lshrrev_b32_e32 v45, 3, v40
	v_sub_u32_e32 v38, 29, v47
	v_and_b32_e32 v47, 7, v48
	v_cmp_gt_u32_e32 vcc, 8, v40
	v_cndmask_b32_e32 v38, v45, v38, vcc
	v_cndmask_b32_e32 v40, v41, v47, vcc
	v_lshlrev_b32_e32 v41, 16, v34
	v_bfrev_b32_e32 v45, 60
	v_lshlrev_b32_e32 v40, 20, v40
	v_and_b32_e32 v41, 0x80000000, v41
	v_lshl_add_u32 v38, v38, 23, v45
	v_or3_b32 v38, v41, v38, v40
	v_lshrrev_b32_e32 v45, 16, v38
.LBB815_24:
	s_or_b64 exec, exec, s[24:25]
.LBB815_25:
	s_or_b64 exec, exec, s[14:15]
.LBB815_26:
	s_or_b64 exec, exec, s[12:13]
	s_movk_i32 s11, 0xff
	v_and_b32_sdwa v40, v34, s11 dst_sel:DWORD dst_unused:UNUSED_PAD src0_sel:WORD_1 src1_sel:DWORD
	v_lshrrev_b32_e32 v38, 16, v34
	v_cmp_ne_u16_e32 vcc, 0, v40
	s_and_saveexec_b64 s[12:13], vcc
	s_cbranch_execz .LBB815_32
; %bb.27:
	s_movk_i32 s11, 0x80
	v_cmp_ne_u16_e32 vcc, s11, v40
	v_mov_b32_e32 v46, 0xffff8000
	s_and_saveexec_b64 s[14:15], vcc
	s_cbranch_execz .LBB815_31
; %bb.28:
	v_bfe_u32 v40, v34, 16, 7
	s_movk_i32 s11, 0x7f
	v_cmp_ne_u32_e32 vcc, s11, v40
	v_mov_b32_e32 v46, 0x7f80
	s_and_saveexec_b64 s[24:25], vcc
	s_cbranch_execz .LBB815_30
; %bb.29:
	v_and_b32_e32 v41, 7, v38
	v_ffbh_u32_e32 v46, v41
	v_min_u32_e32 v49, 32, v46
	v_subrev_u32_e32 v46, 28, v49
	v_lshlrev_b64 v[46:47], v46, v[38:39]
	v_and_b32_e32 v46, 7, v46
	v_cmp_gt_u32_e32 vcc, 8, v40
	v_lshrrev_b32_e32 v48, 3, v40
	v_sub_u32_e32 v38, 29, v49
	v_cndmask_b32_e32 v40, v41, v46, vcc
	v_mov_b32_e32 v41, 24
	v_cndmask_b32_e32 v38, v48, v38, vcc
	v_lshlrev_b32_sdwa v41, v41, v34 dst_sel:DWORD dst_unused:UNUSED_PAD src0_sel:DWORD src1_sel:WORD_1
	v_bfrev_b32_e32 v46, 60
	v_lshlrev_b32_e32 v40, 20, v40
	v_and_b32_e32 v41, 0x80000000, v41
	v_lshl_add_u32 v38, v38, 23, v46
	v_or3_b32 v38, v41, v38, v40
	v_lshrrev_b32_e32 v46, 16, v38
.LBB815_30:
	s_or_b64 exec, exec, s[24:25]
.LBB815_31:
	s_or_b64 exec, exec, s[14:15]
.LBB815_32:
	s_or_b64 exec, exec, s[12:13]
	s_mov_b32 s11, 0xffffff
	v_cmp_lt_u32_e32 vcc, s11, v34
	v_mov_b32_e32 v41, 0
	v_mov_b32_e32 v47, 0
	s_and_saveexec_b64 s[12:13], vcc
	s_cbranch_execz .LBB815_38
; %bb.33:
	v_lshrrev_b32_e32 v38, 24, v34
	s_movk_i32 s11, 0x80
	v_cmp_ne_u32_e32 vcc, s11, v38
	v_mov_b32_e32 v47, 0xffff8000
	s_and_saveexec_b64 s[14:15], vcc
	s_cbranch_execz .LBB815_37
; %bb.34:
	v_bfe_u32 v40, v34, 24, 7
	s_movk_i32 s11, 0x7f
	v_cmp_ne_u32_e32 vcc, s11, v40
	v_mov_b32_e32 v47, 0x7f80
	s_and_saveexec_b64 s[24:25], vcc
	s_cbranch_execz .LBB815_36
; %bb.35:
	v_and_b32_e32 v47, 7, v38
	v_ffbh_u32_e32 v48, v47
	v_min_u32_e32 v51, 32, v48
	v_subrev_u32_e32 v48, 28, v51
	v_lshlrev_b64 v[48:49], v48, v[38:39]
	v_lshrrev_b32_e32 v50, 3, v40
	v_sub_u32_e32 v49, 29, v51
	v_and_b32_e32 v48, 7, v48
	v_cmp_gt_u32_e32 vcc, 8, v40
	v_cndmask_b32_e32 v40, v50, v49, vcc
	v_cndmask_b32_e32 v47, v47, v48, vcc
	v_lshlrev_b32_e32 v38, 24, v38
	v_bfrev_b32_e32 v48, 60
	v_lshlrev_b32_e32 v47, 20, v47
	v_and_b32_e32 v38, 0x80000000, v38
	v_lshl_add_u32 v40, v40, 23, v48
	v_or3_b32 v38, v38, v40, v47
	v_lshrrev_b32_e32 v47, 16, v38
.LBB815_36:
	s_or_b64 exec, exec, s[24:25]
.LBB815_37:
	s_or_b64 exec, exec, s[14:15]
.LBB815_38:
	s_or_b64 exec, exec, s[12:13]
	v_mov_b32_e32 v40, v35
	v_cmp_ne_u16_sdwa s[14:15], v35, v41 src0_sel:BYTE_0 src1_sel:DWORD
	s_and_saveexec_b64 s[12:13], s[14:15]
	s_cbranch_execz .LBB815_44
; %bb.39:
	s_movk_i32 s11, 0x80
	v_cmp_ne_u16_sdwa s[24:25], v35, s11 src0_sel:BYTE_0 src1_sel:DWORD
	v_mov_b32_e32 v38, 0xffff8000
	s_and_saveexec_b64 s[14:15], s[24:25]
	s_cbranch_execz .LBB815_43
; %bb.40:
	s_movk_i32 s11, 0x7f
	v_and_b32_e32 v48, 0x7f, v35
	v_cmp_ne_u32_e32 vcc, s11, v48
	v_mov_b32_e32 v38, 0x7f80
	s_and_saveexec_b64 s[24:25], vcc
	s_cbranch_execz .LBB815_42
; %bb.41:
	v_and_b32_e32 v38, 7, v35
	v_ffbh_u32_e32 v38, v38
	v_min_u32_e32 v38, 32, v38
	v_subrev_u32_e32 v50, 28, v38
	v_cmp_gt_u32_e32 vcc, 8, v48
	v_lshrrev_b32_e32 v49, 3, v48
	v_sub_u32_e32 v38, 29, v38
	v_cndmask_b32_e32 v48, 0, v50, vcc
	v_cndmask_b32_e32 v38, v49, v38, vcc
	v_lshlrev_b64 v[48:49], v48, v[40:41]
	v_lshlrev_b32_e32 v41, 20, v48
	v_lshlrev_b32_e32 v48, 24, v40
	v_bfrev_b32_e32 v49, 60
	v_and_b32_e32 v41, 0x700000, v41
	v_and_b32_e32 v48, 0x80000000, v48
	v_lshl_add_u32 v38, v38, 23, v49
	v_or3_b32 v38, v48, v38, v41
	v_lshrrev_b32_e32 v38, 16, v38
.LBB815_42:
	s_or_b64 exec, exec, s[24:25]
.LBB815_43:
	s_or_b64 exec, exec, s[14:15]
	v_mov_b32_e32 v41, v38
.LBB815_44:
	s_or_b64 exec, exec, s[12:13]
	v_lshrrev_b16_e32 v38, 8, v40
	v_cmp_ne_u16_e32 vcc, 0, v38
	v_mov_b32_e32 v49, 0
	v_mov_b32_e32 v48, 0
	s_and_saveexec_b64 s[12:13], vcc
	s_cbranch_execz .LBB815_50
; %bb.45:
	s_movk_i32 s11, 0x80
	v_cmp_ne_u16_e32 vcc, s11, v38
	v_mov_b32_e32 v48, 0xffff8000
	s_and_saveexec_b64 s[14:15], vcc
	s_cbranch_execz .LBB815_49
; %bb.46:
	s_movk_i32 s11, 0x7f
	v_and_b32_e32 v50, 0x7f, v38
	v_cmp_ne_u32_e32 vcc, s11, v50
	v_mov_b32_e32 v48, 0x7f80
	s_and_saveexec_b64 s[24:25], vcc
	s_cbranch_execz .LBB815_48
; %bb.47:
	v_and_b32_e32 v48, 7, v38
	v_ffbh_u32_e32 v52, v48
	v_min_u32_e32 v54, 32, v52
	v_subrev_u32_e32 v52, 28, v54
	v_lshlrev_b64 v[52:53], v52, v[38:39]
	v_lshrrev_b32_e32 v51, 3, v50
	v_sub_u32_e32 v38, 29, v54
	v_and_b32_e32 v52, 7, v52
	v_cmp_gt_u32_e32 vcc, 8, v50
	v_cndmask_b32_e32 v38, v51, v38, vcc
	v_cndmask_b32_e32 v48, v48, v52, vcc
	v_lshlrev_b32_e32 v40, 16, v40
	v_bfrev_b32_e32 v50, 60
	v_lshlrev_b32_e32 v48, 20, v48
	v_and_b32_e32 v40, 0x80000000, v40
	v_lshl_add_u32 v38, v38, 23, v50
	v_or3_b32 v38, v40, v38, v48
	v_lshrrev_b32_e32 v48, 16, v38
.LBB815_48:
	s_or_b64 exec, exec, s[24:25]
.LBB815_49:
	s_or_b64 exec, exec, s[14:15]
.LBB815_50:
	s_or_b64 exec, exec, s[12:13]
	s_movk_i32 s11, 0xff
	v_and_b32_sdwa v40, v35, s11 dst_sel:DWORD dst_unused:UNUSED_PAD src0_sel:WORD_1 src1_sel:DWORD
	v_lshrrev_b32_e32 v38, 16, v35
	v_cmp_ne_u16_e32 vcc, 0, v40
	s_and_saveexec_b64 s[12:13], vcc
	s_cbranch_execz .LBB815_56
; %bb.51:
	s_movk_i32 s11, 0x80
	v_cmp_ne_u16_e32 vcc, s11, v40
	v_mov_b32_e32 v49, 0xffff8000
	s_and_saveexec_b64 s[14:15], vcc
	s_cbranch_execz .LBB815_55
; %bb.52:
	v_bfe_u32 v40, v35, 16, 7
	s_movk_i32 s11, 0x7f
	v_cmp_ne_u32_e32 vcc, s11, v40
	v_mov_b32_e32 v49, 0x7f80
	s_and_saveexec_b64 s[24:25], vcc
	s_cbranch_execz .LBB815_54
; %bb.53:
	v_and_b32_e32 v49, 7, v38
	v_ffbh_u32_e32 v50, v49
	v_min_u32_e32 v53, 32, v50
	v_subrev_u32_e32 v50, 28, v53
	v_lshlrev_b64 v[50:51], v50, v[38:39]
	v_and_b32_e32 v50, 7, v50
	v_cmp_gt_u32_e32 vcc, 8, v40
	v_lshrrev_b32_e32 v52, 3, v40
	v_sub_u32_e32 v38, 29, v53
	v_cndmask_b32_e32 v40, v49, v50, vcc
	v_mov_b32_e32 v49, 24
	v_cndmask_b32_e32 v38, v52, v38, vcc
	v_lshlrev_b32_sdwa v49, v49, v35 dst_sel:DWORD dst_unused:UNUSED_PAD src0_sel:DWORD src1_sel:WORD_1
	v_bfrev_b32_e32 v50, 60
	v_lshlrev_b32_e32 v40, 20, v40
	v_and_b32_e32 v49, 0x80000000, v49
	v_lshl_add_u32 v38, v38, 23, v50
	v_or3_b32 v38, v49, v38, v40
	v_lshrrev_b32_e32 v49, 16, v38
.LBB815_54:
	s_or_b64 exec, exec, s[24:25]
.LBB815_55:
	s_or_b64 exec, exec, s[14:15]
.LBB815_56:
	s_or_b64 exec, exec, s[12:13]
	s_mov_b32 s12, -1
	s_mov_b32 s13, 0xffffff
	v_cmp_lt_u64_e32 vcc, s[12:13], v[34:35]
	v_mov_b32_e32 v40, 0
	v_mov_b32_e32 v38, 0
	s_and_saveexec_b64 s[12:13], vcc
	s_cbranch_execz .LBB815_62
; %bb.57:
	v_lshrrev_b32_e32 v34, 24, v35
	s_movk_i32 s11, 0x80
	v_cmp_ne_u32_e32 vcc, s11, v34
	v_mov_b32_e32 v38, 0xffff8000
	s_and_saveexec_b64 s[14:15], vcc
	s_cbranch_execz .LBB815_61
; %bb.58:
	v_bfe_u32 v35, v35, 24, 7
	s_movk_i32 s11, 0x7f
	v_cmp_ne_u32_e32 vcc, s11, v35
	v_mov_b32_e32 v38, 0x7f80
	s_and_saveexec_b64 s[24:25], vcc
	s_cbranch_execz .LBB815_60
; %bb.59:
	v_and_b32_e32 v38, 7, v34
	v_ffbh_u32_e32 v50, v38
	v_min_u32_e32 v53, 32, v50
	v_subrev_u32_e32 v50, 28, v53
	v_lshlrev_b64 v[50:51], v50, v[34:35]
	v_lshrrev_b32_e32 v52, 3, v35
	v_sub_u32_e32 v51, 29, v53
	v_and_b32_e32 v50, 7, v50
	v_cmp_gt_u32_e32 vcc, 8, v35
	v_cndmask_b32_e32 v35, v52, v51, vcc
	v_cndmask_b32_e32 v38, v38, v50, vcc
	v_lshlrev_b32_e32 v34, 24, v34
	v_bfrev_b32_e32 v50, 60
	v_lshlrev_b32_e32 v38, 20, v38
	v_and_b32_e32 v34, 0x80000000, v34
	v_lshl_add_u32 v35, v35, 23, v50
	v_or3_b32 v34, v34, v35, v38
	v_lshrrev_b32_e32 v38, 16, v34
.LBB815_60:
	s_or_b64 exec, exec, s[24:25]
.LBB815_61:
	s_or_b64 exec, exec, s[14:15]
.LBB815_62:
	s_or_b64 exec, exec, s[12:13]
	s_mov_b32 s11, 0x5040100
	v_perm_b32 v35, v47, v46, s11
	v_perm_b32 v34, v45, v39, s11
	v_perm_b32 v39, v38, v49, s11
	v_perm_b32 v38, v48, v41, s11
	v_mfma_f32_4x4x4bf16_1k a[0:3], v[2:3], v[34:35], 0 cbsz:4
	v_cmp_ne_u16_sdwa s[14:15], v36, v40 src0_sel:BYTE_0 src1_sel:DWORD
	v_mfma_f32_4x4x4bf16_1k a[0:3], v[4:5], v[38:39], a[0:3] cbsz:4
	s_and_saveexec_b64 s[12:13], s[14:15]
	s_cbranch_execz .LBB815_68
; %bb.63:
	s_movk_i32 s11, 0x80
	v_cmp_ne_u16_sdwa s[24:25], v36, s11 src0_sel:BYTE_0 src1_sel:DWORD
	v_mov_b32_e32 v40, 0xffff8000
	s_and_saveexec_b64 s[14:15], s[24:25]
	s_cbranch_execz .LBB815_67
; %bb.64:
	s_movk_i32 s11, 0x7f
	v_and_b32_e32 v34, 0x7f, v36
	v_cmp_ne_u32_e32 vcc, s11, v34
	v_mov_b32_e32 v40, 0x7f80
	s_and_saveexec_b64 s[24:25], vcc
	s_cbranch_execz .LBB815_66
; %bb.65:
	v_and_b32_e32 v35, 7, v36
	v_ffbh_u32_e32 v35, v35
	v_min_u32_e32 v35, 32, v35
	v_subrev_u32_e32 v39, 28, v35
	v_cmp_gt_u32_e32 vcc, 8, v34
	v_lshrrev_b32_e32 v38, 3, v34
	v_sub_u32_e32 v35, 29, v35
	v_cndmask_b32_e32 v34, 0, v39, vcc
	v_cndmask_b32_e32 v38, v38, v35, vcc
	v_lshlrev_b64 v[34:35], v34, v[36:37]
	v_lshlrev_b32_e32 v34, 20, v34
	v_lshlrev_b32_e32 v35, 24, v36
	v_bfrev_b32_e32 v39, 60
	v_and_b32_e32 v34, 0x700000, v34
	v_and_b32_e32 v35, 0x80000000, v35
	v_lshl_add_u32 v38, v38, 23, v39
	v_or3_b32 v34, v35, v38, v34
	v_lshrrev_b32_e32 v40, 16, v34
.LBB815_66:
	s_or_b64 exec, exec, s[24:25]
.LBB815_67:
	s_or_b64 exec, exec, s[14:15]
.LBB815_68:
	s_or_b64 exec, exec, s[12:13]
	v_lshrrev_b16_e32 v34, 8, v36
	v_cmp_ne_u16_e32 vcc, 0, v34
	v_mov_b32_e32 v41, 0
	v_mov_b32_e32 v39, 0
	s_and_saveexec_b64 s[12:13], vcc
	s_cbranch_execz .LBB815_74
; %bb.69:
	s_movk_i32 s11, 0x80
	v_cmp_ne_u16_e32 vcc, s11, v34
	v_mov_b32_e32 v39, 0xffff8000
	s_and_saveexec_b64 s[14:15], vcc
	s_cbranch_execz .LBB815_73
; %bb.70:
	s_movk_i32 s11, 0x7f
	v_and_b32_e32 v35, 0x7f, v34
	v_cmp_ne_u32_e32 vcc, s11, v35
	v_mov_b32_e32 v39, 0x7f80
	s_and_saveexec_b64 s[24:25], vcc
	s_cbranch_execz .LBB815_72
; %bb.71:
	v_and_b32_e32 v45, 7, v34
	v_ffbh_u32_e32 v38, v45
	v_min_u32_e32 v47, 32, v38
	v_subrev_u32_e32 v38, 28, v47
	v_lshlrev_b64 v[38:39], v38, v[34:35]
	v_lshrrev_b32_e32 v46, 3, v35
	v_sub_u32_e32 v34, 29, v47
	v_and_b32_e32 v38, 7, v38
	v_cmp_gt_u32_e32 vcc, 8, v35
	v_cndmask_b32_e32 v34, v46, v34, vcc
	v_cndmask_b32_e32 v35, v45, v38, vcc
	v_lshlrev_b32_e32 v38, 16, v36
	v_bfrev_b32_e32 v39, 60
	v_lshlrev_b32_e32 v35, 20, v35
	v_and_b32_e32 v38, 0x80000000, v38
	v_lshl_add_u32 v34, v34, 23, v39
	v_or3_b32 v34, v38, v34, v35
	v_lshrrev_b32_e32 v39, 16, v34
.LBB815_72:
	s_or_b64 exec, exec, s[24:25]
.LBB815_73:
	s_or_b64 exec, exec, s[14:15]
.LBB815_74:
	s_or_b64 exec, exec, s[12:13]
	s_movk_i32 s11, 0xff
	v_and_b32_sdwa v35, v36, s11 dst_sel:DWORD dst_unused:UNUSED_PAD src0_sel:WORD_1 src1_sel:DWORD
	v_lshrrev_b32_e32 v34, 16, v36
	v_cmp_ne_u16_e32 vcc, 0, v35
	s_and_saveexec_b64 s[12:13], vcc
	s_cbranch_execz .LBB815_80
; %bb.75:
	s_movk_i32 s11, 0x80
	v_cmp_ne_u16_e32 vcc, s11, v35
	v_mov_b32_e32 v41, 0xffff8000
	s_and_saveexec_b64 s[14:15], vcc
	s_cbranch_execz .LBB815_79
; %bb.76:
	v_bfe_u32 v35, v36, 16, 7
	s_movk_i32 s11, 0x7f
	v_cmp_ne_u32_e32 vcc, s11, v35
	v_mov_b32_e32 v41, 0x7f80
	s_and_saveexec_b64 s[24:25], vcc
	s_cbranch_execz .LBB815_78
; %bb.77:
	v_and_b32_e32 v38, 7, v34
	v_ffbh_u32_e32 v45, v38
	v_min_u32_e32 v45, 32, v45
	v_subrev_u32_e32 v46, 28, v45
	v_lshlrev_b64 v[46:47], v46, v[34:35]
	v_sub_u32_e32 v34, 29, v45
	v_and_b32_e32 v45, 7, v46
	v_cmp_gt_u32_e32 vcc, 8, v35
	v_lshrrev_b32_e32 v41, 3, v35
	v_cndmask_b32_e32 v35, v38, v45, vcc
	v_mov_b32_e32 v38, 24
	v_cndmask_b32_e32 v34, v41, v34, vcc
	v_lshlrev_b32_sdwa v38, v38, v36 dst_sel:DWORD dst_unused:UNUSED_PAD src0_sel:DWORD src1_sel:WORD_1
	v_bfrev_b32_e32 v41, 60
	v_lshlrev_b32_e32 v35, 20, v35
	v_and_b32_e32 v38, 0x80000000, v38
	v_lshl_add_u32 v34, v34, 23, v41
	v_or3_b32 v34, v38, v34, v35
	v_lshrrev_b32_e32 v41, 16, v34
.LBB815_78:
	s_or_b64 exec, exec, s[24:25]
.LBB815_79:
	s_or_b64 exec, exec, s[14:15]
.LBB815_80:
	s_or_b64 exec, exec, s[12:13]
	s_mov_b32 s11, 0xffffff
	v_cmp_lt_u32_e32 vcc, s11, v36
	v_mov_b32_e32 v35, 0
	v_mov_b32_e32 v45, 0
	s_and_saveexec_b64 s[12:13], vcc
	s_cbranch_execz .LBB815_86
; %bb.81:
	v_lshrrev_b32_e32 v34, 24, v36
	s_movk_i32 s11, 0x80
	v_cmp_ne_u32_e32 vcc, s11, v34
	v_mov_b32_e32 v45, 0xffff8000
	s_and_saveexec_b64 s[14:15], vcc
	s_cbranch_execz .LBB815_85
; %bb.82:
	v_bfe_u32 v38, v36, 24, 7
	s_movk_i32 s11, 0x7f
	v_cmp_ne_u32_e32 vcc, s11, v38
	v_mov_b32_e32 v45, 0x7f80
	s_and_saveexec_b64 s[24:25], vcc
	s_cbranch_execz .LBB815_84
; %bb.83:
	v_and_b32_e32 v45, 7, v34
	v_ffbh_u32_e32 v46, v45
	v_min_u32_e32 v49, 32, v46
	v_subrev_u32_e32 v46, 28, v49
	v_lshlrev_b64 v[46:47], v46, v[34:35]
	v_lshrrev_b32_e32 v48, 3, v38
	v_sub_u32_e32 v47, 29, v49
	v_and_b32_e32 v46, 7, v46
	v_cmp_gt_u32_e32 vcc, 8, v38
	v_cndmask_b32_e32 v38, v48, v47, vcc
	v_cndmask_b32_e32 v45, v45, v46, vcc
	v_lshlrev_b32_e32 v34, 24, v34
	v_bfrev_b32_e32 v46, 60
	v_lshlrev_b32_e32 v45, 20, v45
	v_and_b32_e32 v34, 0x80000000, v34
	v_lshl_add_u32 v38, v38, 23, v46
	v_or3_b32 v34, v34, v38, v45
	v_lshrrev_b32_e32 v45, 16, v34
.LBB815_84:
	s_or_b64 exec, exec, s[24:25]
.LBB815_85:
	s_or_b64 exec, exec, s[14:15]
.LBB815_86:
	s_or_b64 exec, exec, s[12:13]
	v_mov_b32_e32 v34, v37
	v_cmp_ne_u16_sdwa s[14:15], v37, v35 src0_sel:BYTE_0 src1_sel:DWORD
	s_and_saveexec_b64 s[12:13], s[14:15]
	s_cbranch_execz .LBB815_92
; %bb.87:
	s_movk_i32 s11, 0x80
	v_cmp_ne_u16_sdwa s[24:25], v37, s11 src0_sel:BYTE_0 src1_sel:DWORD
	v_mov_b32_e32 v38, 0xffff8000
	s_and_saveexec_b64 s[14:15], s[24:25]
	s_cbranch_execz .LBB815_91
; %bb.88:
	s_movk_i32 s11, 0x7f
	v_and_b32_e32 v46, 0x7f, v37
	v_cmp_ne_u32_e32 vcc, s11, v46
	v_mov_b32_e32 v38, 0x7f80
	s_and_saveexec_b64 s[24:25], vcc
	s_cbranch_execz .LBB815_90
; %bb.89:
	v_and_b32_e32 v38, 7, v37
	v_ffbh_u32_e32 v38, v38
	v_min_u32_e32 v38, 32, v38
	v_subrev_u32_e32 v48, 28, v38
	v_cmp_gt_u32_e32 vcc, 8, v46
	v_lshrrev_b32_e32 v47, 3, v46
	v_sub_u32_e32 v38, 29, v38
	v_cndmask_b32_e32 v46, 0, v48, vcc
	v_cndmask_b32_e32 v38, v47, v38, vcc
	v_lshlrev_b64 v[46:47], v46, v[34:35]
	v_lshlrev_b32_e32 v35, 20, v46
	v_lshlrev_b32_e32 v46, 24, v34
	v_bfrev_b32_e32 v47, 60
	v_and_b32_e32 v35, 0x700000, v35
	v_and_b32_e32 v46, 0x80000000, v46
	v_lshl_add_u32 v38, v38, 23, v47
	v_or3_b32 v35, v46, v38, v35
	v_lshrrev_b32_e32 v38, 16, v35
.LBB815_90:
	s_or_b64 exec, exec, s[24:25]
.LBB815_91:
	s_or_b64 exec, exec, s[14:15]
	v_mov_b32_e32 v35, v38
.LBB815_92:
	s_or_b64 exec, exec, s[12:13]
	v_lshrrev_b16_e32 v38, 8, v34
	v_cmp_ne_u16_e32 vcc, 0, v38
	v_mov_b32_e32 v47, 0
	v_mov_b32_e32 v46, 0
	s_and_saveexec_b64 s[12:13], vcc
	s_cbranch_execz .LBB815_98
; %bb.93:
	s_movk_i32 s11, 0x80
	v_cmp_ne_u16_e32 vcc, s11, v38
	v_mov_b32_e32 v46, 0xffff8000
	s_and_saveexec_b64 s[14:15], vcc
	s_cbranch_execz .LBB815_97
; %bb.94:
	s_movk_i32 s11, 0x7f
	v_and_b32_e32 v48, 0x7f, v38
	v_cmp_ne_u32_e32 vcc, s11, v48
	v_mov_b32_e32 v46, 0x7f80
	s_and_saveexec_b64 s[24:25], vcc
	s_cbranch_execz .LBB815_96
; %bb.95:
	v_and_b32_e32 v46, 7, v38
	v_ffbh_u32_e32 v50, v46
	v_min_u32_e32 v52, 32, v50
	v_subrev_u32_e32 v50, 28, v52
	v_lshlrev_b64 v[50:51], v50, v[38:39]
	v_lshrrev_b32_e32 v49, 3, v48
	v_sub_u32_e32 v38, 29, v52
	v_and_b32_e32 v50, 7, v50
	v_cmp_gt_u32_e32 vcc, 8, v48
	v_cndmask_b32_e32 v38, v49, v38, vcc
	v_cndmask_b32_e32 v46, v46, v50, vcc
	v_lshlrev_b32_e32 v34, 16, v34
	v_bfrev_b32_e32 v48, 60
	v_lshlrev_b32_e32 v46, 20, v46
	v_and_b32_e32 v34, 0x80000000, v34
	v_lshl_add_u32 v38, v38, 23, v48
	v_or3_b32 v34, v34, v38, v46
	v_lshrrev_b32_e32 v46, 16, v34
.LBB815_96:
	s_or_b64 exec, exec, s[24:25]
.LBB815_97:
	s_or_b64 exec, exec, s[14:15]
.LBB815_98:
	s_or_b64 exec, exec, s[12:13]
	s_movk_i32 s11, 0xff
	v_and_b32_sdwa v38, v37, s11 dst_sel:DWORD dst_unused:UNUSED_PAD src0_sel:WORD_1 src1_sel:DWORD
	v_lshrrev_b32_e32 v34, 16, v37
	v_cmp_ne_u16_e32 vcc, 0, v38
	s_and_saveexec_b64 s[12:13], vcc
	s_cbranch_execz .LBB815_104
; %bb.99:
	s_movk_i32 s11, 0x80
	v_cmp_ne_u16_e32 vcc, s11, v38
	v_mov_b32_e32 v47, 0xffff8000
	s_and_saveexec_b64 s[14:15], vcc
	s_cbranch_execz .LBB815_103
; %bb.100:
	v_bfe_u32 v38, v37, 16, 7
	s_movk_i32 s11, 0x7f
	v_cmp_ne_u32_e32 vcc, s11, v38
	v_mov_b32_e32 v47, 0x7f80
	s_and_saveexec_b64 s[24:25], vcc
	s_cbranch_execz .LBB815_102
; %bb.101:
	v_and_b32_e32 v47, 7, v34
	v_ffbh_u32_e32 v48, v47
	v_min_u32_e32 v51, 32, v48
	v_subrev_u32_e32 v48, 28, v51
	v_lshlrev_b64 v[48:49], v48, v[34:35]
	v_and_b32_e32 v48, 7, v48
	v_cmp_gt_u32_e32 vcc, 8, v38
	v_lshrrev_b32_e32 v50, 3, v38
	v_sub_u32_e32 v34, 29, v51
	v_cndmask_b32_e32 v38, v47, v48, vcc
	v_mov_b32_e32 v47, 24
	v_cndmask_b32_e32 v34, v50, v34, vcc
	v_lshlrev_b32_sdwa v47, v47, v37 dst_sel:DWORD dst_unused:UNUSED_PAD src0_sel:DWORD src1_sel:WORD_1
	v_bfrev_b32_e32 v48, 60
	v_lshlrev_b32_e32 v38, 20, v38
	v_and_b32_e32 v47, 0x80000000, v47
	v_lshl_add_u32 v34, v34, 23, v48
	v_or3_b32 v34, v47, v34, v38
	v_lshrrev_b32_e32 v47, 16, v34
.LBB815_102:
	s_or_b64 exec, exec, s[24:25]
.LBB815_103:
	s_or_b64 exec, exec, s[14:15]
.LBB815_104:
	s_or_b64 exec, exec, s[12:13]
	s_mov_b32 s12, -1
	s_mov_b32 s13, 0xffffff
	v_cmp_lt_u64_e32 vcc, s[12:13], v[36:37]
	v_mov_b32_e32 v38, 0
	v_mov_b32_e32 v36, 0
	s_and_saveexec_b64 s[12:13], vcc
	s_cbranch_execz .LBB815_110
; %bb.105:
	v_lshrrev_b32_e32 v34, 24, v37
	s_movk_i32 s11, 0x80
	v_cmp_ne_u32_e32 vcc, s11, v34
	v_mov_b32_e32 v36, 0xffff8000
	s_and_saveexec_b64 s[14:15], vcc
	s_cbranch_execz .LBB815_109
; %bb.106:
	v_bfe_u32 v37, v37, 24, 7
	s_movk_i32 s11, 0x7f
	v_cmp_ne_u32_e32 vcc, s11, v37
	v_mov_b32_e32 v36, 0x7f80
	s_and_saveexec_b64 s[24:25], vcc
	s_cbranch_execz .LBB815_108
; %bb.107:
	v_and_b32_e32 v36, 7, v34
	v_ffbh_u32_e32 v48, v36
	v_min_u32_e32 v51, 32, v48
	v_subrev_u32_e32 v48, 28, v51
	v_lshlrev_b64 v[48:49], v48, v[34:35]
	v_lshrrev_b32_e32 v50, 3, v37
	v_sub_u32_e32 v49, 29, v51
	v_and_b32_e32 v48, 7, v48
	v_cmp_gt_u32_e32 vcc, 8, v37
	v_cndmask_b32_e32 v37, v50, v49, vcc
	v_cndmask_b32_e32 v36, v36, v48, vcc
	v_lshlrev_b32_e32 v34, 24, v34
	v_bfrev_b32_e32 v48, 60
	v_lshlrev_b32_e32 v36, 20, v36
	v_and_b32_e32 v34, 0x80000000, v34
	v_lshl_add_u32 v37, v37, 23, v48
	v_or3_b32 v34, v34, v37, v36
	v_lshrrev_b32_e32 v36, 16, v34
.LBB815_108:
	s_or_b64 exec, exec, s[24:25]
.LBB815_109:
	s_or_b64 exec, exec, s[14:15]
.LBB815_110:
	s_or_b64 exec, exec, s[12:13]
	s_mov_b32 s11, 0x5040100
	v_perm_b32 v41, v45, v41, s11
	v_perm_b32 v40, v39, v40, s11
	;; [unrolled: 1-line block ×4, first 2 shown]
	v_mfma_f32_4x4x4bf16_1k a[0:3], v[2:3], v[40:41], a[0:3] cbsz:4 abid:1
	v_cmp_ne_u16_sdwa s[14:15], v30, v38 src0_sel:BYTE_0 src1_sel:DWORD
	v_mfma_f32_4x4x4bf16_1k a[0:3], v[4:5], v[36:37], a[0:3] cbsz:4 abid:1
	s_and_saveexec_b64 s[12:13], s[14:15]
	s_cbranch_execz .LBB815_116
; %bb.111:
	s_movk_i32 s11, 0x80
	v_cmp_ne_u16_sdwa s[24:25], v30, s11 src0_sel:BYTE_0 src1_sel:DWORD
	v_mov_b32_e32 v38, 0xffff8000
	s_and_saveexec_b64 s[14:15], s[24:25]
	s_cbranch_execz .LBB815_115
; %bb.112:
	s_movk_i32 s11, 0x7f
	v_and_b32_e32 v34, 0x7f, v30
	v_cmp_ne_u32_e32 vcc, s11, v34
	v_mov_b32_e32 v38, 0x7f80
	s_and_saveexec_b64 s[24:25], vcc
	s_cbranch_execz .LBB815_114
; %bb.113:
	v_and_b32_e32 v35, 7, v30
	v_ffbh_u32_e32 v35, v35
	v_min_u32_e32 v35, 32, v35
	v_subrev_u32_e32 v37, 28, v35
	v_cmp_gt_u32_e32 vcc, 8, v34
	v_lshrrev_b32_e32 v36, 3, v34
	v_sub_u32_e32 v35, 29, v35
	v_cndmask_b32_e32 v34, 0, v37, vcc
	v_cndmask_b32_e32 v36, v36, v35, vcc
	v_lshlrev_b64 v[34:35], v34, v[30:31]
	v_lshlrev_b32_e32 v34, 20, v34
	v_lshlrev_b32_e32 v35, 24, v30
	v_bfrev_b32_e32 v37, 60
	v_and_b32_e32 v34, 0x700000, v34
	v_and_b32_e32 v35, 0x80000000, v35
	v_lshl_add_u32 v36, v36, 23, v37
	v_or3_b32 v34, v35, v36, v34
	v_lshrrev_b32_e32 v38, 16, v34
.LBB815_114:
	s_or_b64 exec, exec, s[24:25]
.LBB815_115:
	s_or_b64 exec, exec, s[14:15]
.LBB815_116:
	s_or_b64 exec, exec, s[12:13]
	v_lshrrev_b16_e32 v34, 8, v30
	v_cmp_ne_u16_e32 vcc, 0, v34
	v_mov_b32_e32 v39, 0
	v_mov_b32_e32 v37, 0
	s_and_saveexec_b64 s[12:13], vcc
	s_cbranch_execz .LBB815_122
; %bb.117:
	s_movk_i32 s11, 0x80
	v_cmp_ne_u16_e32 vcc, s11, v34
	v_mov_b32_e32 v37, 0xffff8000
	s_and_saveexec_b64 s[14:15], vcc
	s_cbranch_execz .LBB815_121
; %bb.118:
	s_movk_i32 s11, 0x7f
	v_and_b32_e32 v35, 0x7f, v34
	v_cmp_ne_u32_e32 vcc, s11, v35
	v_mov_b32_e32 v37, 0x7f80
	s_and_saveexec_b64 s[24:25], vcc
	s_cbranch_execz .LBB815_120
; %bb.119:
	v_and_b32_e32 v40, 7, v34
	v_ffbh_u32_e32 v36, v40
	v_min_u32_e32 v45, 32, v36
	v_subrev_u32_e32 v36, 28, v45
	v_lshlrev_b64 v[36:37], v36, v[34:35]
	v_lshrrev_b32_e32 v41, 3, v35
	v_sub_u32_e32 v34, 29, v45
	v_and_b32_e32 v36, 7, v36
	v_cmp_gt_u32_e32 vcc, 8, v35
	v_cndmask_b32_e32 v34, v41, v34, vcc
	v_cndmask_b32_e32 v35, v40, v36, vcc
	v_lshlrev_b32_e32 v36, 16, v30
	v_bfrev_b32_e32 v37, 60
	v_lshlrev_b32_e32 v35, 20, v35
	v_and_b32_e32 v36, 0x80000000, v36
	v_lshl_add_u32 v34, v34, 23, v37
	v_or3_b32 v34, v36, v34, v35
	v_lshrrev_b32_e32 v37, 16, v34
.LBB815_120:
	s_or_b64 exec, exec, s[24:25]
.LBB815_121:
	s_or_b64 exec, exec, s[14:15]
.LBB815_122:
	s_or_b64 exec, exec, s[12:13]
	s_movk_i32 s11, 0xff
	v_and_b32_sdwa v35, v30, s11 dst_sel:DWORD dst_unused:UNUSED_PAD src0_sel:WORD_1 src1_sel:DWORD
	v_lshrrev_b32_e32 v34, 16, v30
	v_cmp_ne_u16_e32 vcc, 0, v35
	s_and_saveexec_b64 s[12:13], vcc
	s_cbranch_execz .LBB815_128
; %bb.123:
	s_movk_i32 s11, 0x80
	v_cmp_ne_u16_e32 vcc, s11, v35
	v_mov_b32_e32 v39, 0xffff8000
	s_and_saveexec_b64 s[14:15], vcc
	s_cbranch_execz .LBB815_127
; %bb.124:
	v_bfe_u32 v35, v30, 16, 7
	s_movk_i32 s11, 0x7f
	v_cmp_ne_u32_e32 vcc, s11, v35
	v_mov_b32_e32 v39, 0x7f80
	s_and_saveexec_b64 s[24:25], vcc
	s_cbranch_execz .LBB815_126
; %bb.125:
	v_and_b32_e32 v36, 7, v34
	v_ffbh_u32_e32 v40, v36
	v_min_u32_e32 v45, 32, v40
	v_subrev_u32_e32 v40, 28, v45
	v_lshlrev_b64 v[40:41], v40, v[34:35]
	v_and_b32_e32 v40, 7, v40
	v_cmp_gt_u32_e32 vcc, 8, v35
	v_lshrrev_b32_e32 v39, 3, v35
	v_sub_u32_e32 v34, 29, v45
	v_cndmask_b32_e32 v35, v36, v40, vcc
	v_mov_b32_e32 v36, 24
	v_cndmask_b32_e32 v34, v39, v34, vcc
	v_lshlrev_b32_sdwa v36, v36, v30 dst_sel:DWORD dst_unused:UNUSED_PAD src0_sel:DWORD src1_sel:WORD_1
	v_bfrev_b32_e32 v39, 60
	v_lshlrev_b32_e32 v35, 20, v35
	v_and_b32_e32 v36, 0x80000000, v36
	v_lshl_add_u32 v34, v34, 23, v39
	v_or3_b32 v34, v36, v34, v35
	v_lshrrev_b32_e32 v39, 16, v34
.LBB815_126:
	s_or_b64 exec, exec, s[24:25]
.LBB815_127:
	s_or_b64 exec, exec, s[14:15]
.LBB815_128:
	s_or_b64 exec, exec, s[12:13]
	s_mov_b32 s11, 0xffffff
	v_cmp_lt_u32_e32 vcc, s11, v30
	v_mov_b32_e32 v35, 0
	v_mov_b32_e32 v40, 0
	s_and_saveexec_b64 s[12:13], vcc
	s_cbranch_execz .LBB815_134
; %bb.129:
	v_lshrrev_b32_e32 v34, 24, v30
	s_movk_i32 s11, 0x80
	v_cmp_ne_u32_e32 vcc, s11, v34
	v_mov_b32_e32 v40, 0xffff8000
	s_and_saveexec_b64 s[14:15], vcc
	s_cbranch_execz .LBB815_133
; %bb.130:
	v_bfe_u32 v36, v30, 24, 7
	s_movk_i32 s11, 0x7f
	v_cmp_ne_u32_e32 vcc, s11, v36
	v_mov_b32_e32 v40, 0x7f80
	s_and_saveexec_b64 s[24:25], vcc
	s_cbranch_execz .LBB815_132
; %bb.131:
	v_and_b32_e32 v45, 7, v34
	v_ffbh_u32_e32 v40, v45
	v_min_u32_e32 v47, 32, v40
	v_subrev_u32_e32 v40, 28, v47
	v_lshlrev_b64 v[40:41], v40, v[34:35]
	v_lshrrev_b32_e32 v46, 3, v36
	v_sub_u32_e32 v41, 29, v47
	v_and_b32_e32 v40, 7, v40
	v_cmp_gt_u32_e32 vcc, 8, v36
	v_cndmask_b32_e32 v36, v46, v41, vcc
	v_cndmask_b32_e32 v40, v45, v40, vcc
	v_lshlrev_b32_e32 v34, 24, v34
	v_bfrev_b32_e32 v41, 60
	v_lshlrev_b32_e32 v40, 20, v40
	v_and_b32_e32 v34, 0x80000000, v34
	v_lshl_add_u32 v36, v36, 23, v41
	v_or3_b32 v34, v34, v36, v40
	v_lshrrev_b32_e32 v40, 16, v34
.LBB815_132:
	s_or_b64 exec, exec, s[24:25]
.LBB815_133:
	s_or_b64 exec, exec, s[14:15]
.LBB815_134:
	s_or_b64 exec, exec, s[12:13]
	v_mov_b32_e32 v34, v31
	v_cmp_ne_u16_sdwa s[14:15], v31, v35 src0_sel:BYTE_0 src1_sel:DWORD
	s_and_saveexec_b64 s[12:13], s[14:15]
	s_cbranch_execz .LBB815_140
; %bb.135:
	s_movk_i32 s11, 0x80
	v_cmp_ne_u16_sdwa s[24:25], v31, s11 src0_sel:BYTE_0 src1_sel:DWORD
	v_mov_b32_e32 v36, 0xffff8000
	s_and_saveexec_b64 s[14:15], s[24:25]
	s_cbranch_execz .LBB815_139
; %bb.136:
	s_movk_i32 s11, 0x7f
	v_and_b32_e32 v41, 0x7f, v31
	v_cmp_ne_u32_e32 vcc, s11, v41
	v_mov_b32_e32 v36, 0x7f80
	s_and_saveexec_b64 s[24:25], vcc
	s_cbranch_execz .LBB815_138
; %bb.137:
	v_and_b32_e32 v36, 7, v31
	v_ffbh_u32_e32 v36, v36
	v_min_u32_e32 v36, 32, v36
	v_subrev_u32_e32 v46, 28, v36
	v_cmp_gt_u32_e32 vcc, 8, v41
	v_lshrrev_b32_e32 v45, 3, v41
	v_cndmask_b32_e32 v41, 0, v46, vcc
	v_sub_u32_e32 v36, 29, v36
	v_lshlrev_b64 v[46:47], v41, v[34:35]
	v_cndmask_b32_e32 v36, v45, v36, vcc
	v_lshlrev_b32_e32 v35, 20, v46
	v_lshlrev_b32_e32 v41, 24, v34
	v_bfrev_b32_e32 v45, 60
	v_and_b32_e32 v35, 0x700000, v35
	v_and_b32_e32 v41, 0x80000000, v41
	v_lshl_add_u32 v36, v36, 23, v45
	v_or3_b32 v35, v41, v36, v35
	v_lshrrev_b32_e32 v36, 16, v35
.LBB815_138:
	s_or_b64 exec, exec, s[24:25]
.LBB815_139:
	s_or_b64 exec, exec, s[14:15]
	v_mov_b32_e32 v35, v36
.LBB815_140:
	s_or_b64 exec, exec, s[12:13]
	v_lshrrev_b16_e32 v36, 8, v34
	v_cmp_ne_u16_e32 vcc, 0, v36
	v_mov_b32_e32 v45, 0
	v_mov_b32_e32 v41, 0
	s_and_saveexec_b64 s[12:13], vcc
	s_cbranch_execz .LBB815_146
; %bb.141:
	s_movk_i32 s11, 0x80
	v_cmp_ne_u16_e32 vcc, s11, v36
	v_mov_b32_e32 v41, 0xffff8000
	s_and_saveexec_b64 s[14:15], vcc
	s_cbranch_execz .LBB815_145
; %bb.142:
	s_movk_i32 s11, 0x7f
	v_and_b32_e32 v46, 0x7f, v36
	v_cmp_ne_u32_e32 vcc, s11, v46
	v_mov_b32_e32 v41, 0x7f80
	s_and_saveexec_b64 s[24:25], vcc
	s_cbranch_execz .LBB815_144
; %bb.143:
	v_and_b32_e32 v41, 7, v36
	v_ffbh_u32_e32 v48, v41
	v_min_u32_e32 v50, 32, v48
	v_subrev_u32_e32 v48, 28, v50
	v_lshlrev_b64 v[48:49], v48, v[36:37]
	v_lshrrev_b32_e32 v47, 3, v46
	v_sub_u32_e32 v36, 29, v50
	v_and_b32_e32 v48, 7, v48
	v_cmp_gt_u32_e32 vcc, 8, v46
	v_cndmask_b32_e32 v36, v47, v36, vcc
	v_cndmask_b32_e32 v41, v41, v48, vcc
	v_lshlrev_b32_e32 v34, 16, v34
	v_bfrev_b32_e32 v46, 60
	v_lshlrev_b32_e32 v41, 20, v41
	v_and_b32_e32 v34, 0x80000000, v34
	v_lshl_add_u32 v36, v36, 23, v46
	v_or3_b32 v34, v34, v36, v41
	v_lshrrev_b32_e32 v41, 16, v34
.LBB815_144:
	s_or_b64 exec, exec, s[24:25]
.LBB815_145:
	s_or_b64 exec, exec, s[14:15]
.LBB815_146:
	s_or_b64 exec, exec, s[12:13]
	s_movk_i32 s11, 0xff
	v_and_b32_sdwa v36, v31, s11 dst_sel:DWORD dst_unused:UNUSED_PAD src0_sel:WORD_1 src1_sel:DWORD
	v_lshrrev_b32_e32 v34, 16, v31
	v_cmp_ne_u16_e32 vcc, 0, v36
	s_and_saveexec_b64 s[12:13], vcc
	s_cbranch_execz .LBB815_152
; %bb.147:
	s_movk_i32 s11, 0x80
	v_cmp_ne_u16_e32 vcc, s11, v36
	v_mov_b32_e32 v45, 0xffff8000
	s_and_saveexec_b64 s[14:15], vcc
	s_cbranch_execz .LBB815_151
; %bb.148:
	v_bfe_u32 v36, v31, 16, 7
	s_movk_i32 s11, 0x7f
	v_cmp_ne_u32_e32 vcc, s11, v36
	v_mov_b32_e32 v45, 0x7f80
	s_and_saveexec_b64 s[24:25], vcc
	s_cbranch_execz .LBB815_150
; %bb.149:
	v_and_b32_e32 v45, 7, v34
	v_ffbh_u32_e32 v46, v45
	v_min_u32_e32 v49, 32, v46
	v_subrev_u32_e32 v46, 28, v49
	v_lshlrev_b64 v[46:47], v46, v[34:35]
	v_and_b32_e32 v46, 7, v46
	v_cmp_gt_u32_e32 vcc, 8, v36
	v_lshrrev_b32_e32 v48, 3, v36
	v_sub_u32_e32 v34, 29, v49
	v_cndmask_b32_e32 v36, v45, v46, vcc
	v_mov_b32_e32 v45, 24
	v_cndmask_b32_e32 v34, v48, v34, vcc
	v_lshlrev_b32_sdwa v45, v45, v31 dst_sel:DWORD dst_unused:UNUSED_PAD src0_sel:DWORD src1_sel:WORD_1
	v_bfrev_b32_e32 v46, 60
	v_lshlrev_b32_e32 v36, 20, v36
	v_and_b32_e32 v45, 0x80000000, v45
	v_lshl_add_u32 v34, v34, 23, v46
	v_or3_b32 v34, v45, v34, v36
	v_lshrrev_b32_e32 v45, 16, v34
.LBB815_150:
	s_or_b64 exec, exec, s[24:25]
.LBB815_151:
	s_or_b64 exec, exec, s[14:15]
.LBB815_152:
	s_or_b64 exec, exec, s[12:13]
	s_mov_b32 s12, -1
	s_mov_b32 s13, 0xffffff
	v_cmp_lt_u64_e32 vcc, s[12:13], v[30:31]
	v_mov_b32_e32 v36, 0
	v_mov_b32_e32 v34, 0
	s_and_saveexec_b64 s[12:13], vcc
	s_cbranch_execz .LBB815_158
; %bb.153:
	v_lshrrev_b32_e32 v30, 24, v31
	s_movk_i32 s11, 0x80
	v_cmp_ne_u32_e32 vcc, s11, v30
	v_mov_b32_e32 v34, 0xffff8000
	s_and_saveexec_b64 s[14:15], vcc
	s_cbranch_execz .LBB815_157
; %bb.154:
	v_bfe_u32 v31, v31, 24, 7
	s_movk_i32 s11, 0x7f
	v_cmp_ne_u32_e32 vcc, s11, v31
	v_mov_b32_e32 v34, 0x7f80
	s_and_saveexec_b64 s[24:25], vcc
	s_cbranch_execz .LBB815_156
; %bb.155:
	v_and_b32_e32 v34, 7, v30
	v_ffbh_u32_e32 v46, v34
	v_min_u32_e32 v49, 32, v46
	v_subrev_u32_e32 v46, 28, v49
	v_lshlrev_b64 v[46:47], v46, v[30:31]
	v_lshrrev_b32_e32 v48, 3, v31
	v_sub_u32_e32 v47, 29, v49
	v_and_b32_e32 v46, 7, v46
	v_cmp_gt_u32_e32 vcc, 8, v31
	v_cndmask_b32_e32 v31, v48, v47, vcc
	v_cndmask_b32_e32 v34, v34, v46, vcc
	v_lshlrev_b32_e32 v30, 24, v30
	v_bfrev_b32_e32 v46, 60
	v_lshlrev_b32_e32 v34, 20, v34
	v_and_b32_e32 v30, 0x80000000, v30
	v_lshl_add_u32 v31, v31, 23, v46
	v_or3_b32 v30, v30, v31, v34
	v_lshrrev_b32_e32 v34, 16, v30
.LBB815_156:
	s_or_b64 exec, exec, s[24:25]
.LBB815_157:
	s_or_b64 exec, exec, s[14:15]
.LBB815_158:
	s_or_b64 exec, exec, s[12:13]
	s_mov_b32 s11, 0x5040100
	v_perm_b32 v31, v40, v39, s11
	v_perm_b32 v30, v37, v38, s11
	;; [unrolled: 1-line block ×4, first 2 shown]
	v_mfma_f32_4x4x4bf16_1k a[0:3], v[2:3], v[30:31], a[0:3] cbsz:4 abid:2
	v_cmp_ne_u16_sdwa s[14:15], v32, v36 src0_sel:BYTE_0 src1_sel:DWORD
	v_mfma_f32_4x4x4bf16_1k a[0:3], v[4:5], v[38:39], a[0:3] cbsz:4 abid:2
	s_and_saveexec_b64 s[12:13], s[14:15]
	s_cbranch_execz .LBB815_164
; %bb.159:
	s_movk_i32 s11, 0x80
	v_cmp_ne_u16_sdwa s[24:25], v32, s11 src0_sel:BYTE_0 src1_sel:DWORD
	v_mov_b32_e32 v36, 0xffff8000
	s_and_saveexec_b64 s[14:15], s[24:25]
	s_cbranch_execz .LBB815_163
; %bb.160:
	s_movk_i32 s11, 0x7f
	v_and_b32_e32 v30, 0x7f, v32
	v_cmp_ne_u32_e32 vcc, s11, v30
	v_mov_b32_e32 v36, 0x7f80
	s_and_saveexec_b64 s[24:25], vcc
	s_cbranch_execz .LBB815_162
; %bb.161:
	v_and_b32_e32 v31, 7, v32
	v_ffbh_u32_e32 v31, v31
	v_min_u32_e32 v31, 32, v31
	v_subrev_u32_e32 v35, 28, v31
	v_cmp_gt_u32_e32 vcc, 8, v30
	v_lshrrev_b32_e32 v34, 3, v30
	v_sub_u32_e32 v31, 29, v31
	v_cndmask_b32_e32 v30, 0, v35, vcc
	v_cndmask_b32_e32 v34, v34, v31, vcc
	v_lshlrev_b64 v[30:31], v30, v[32:33]
	v_lshlrev_b32_e32 v30, 20, v30
	v_lshlrev_b32_e32 v31, 24, v32
	v_bfrev_b32_e32 v35, 60
	v_and_b32_e32 v30, 0x700000, v30
	v_and_b32_e32 v31, 0x80000000, v31
	v_lshl_add_u32 v34, v34, 23, v35
	v_or3_b32 v30, v31, v34, v30
	v_lshrrev_b32_e32 v36, 16, v30
.LBB815_162:
	s_or_b64 exec, exec, s[24:25]
.LBB815_163:
	s_or_b64 exec, exec, s[14:15]
.LBB815_164:
	s_or_b64 exec, exec, s[12:13]
	v_lshrrev_b16_e32 v30, 8, v32
	v_cmp_ne_u16_e32 vcc, 0, v30
	v_mov_b32_e32 v37, 0
	v_mov_b32_e32 v35, 0
	s_and_saveexec_b64 s[12:13], vcc
	s_cbranch_execz .LBB815_170
; %bb.165:
	s_movk_i32 s11, 0x80
	v_cmp_ne_u16_e32 vcc, s11, v30
	v_mov_b32_e32 v35, 0xffff8000
	s_and_saveexec_b64 s[14:15], vcc
	s_cbranch_execz .LBB815_169
; %bb.166:
	s_movk_i32 s11, 0x7f
	v_and_b32_e32 v31, 0x7f, v30
	v_cmp_ne_u32_e32 vcc, s11, v31
	v_mov_b32_e32 v35, 0x7f80
	s_and_saveexec_b64 s[24:25], vcc
	s_cbranch_execz .LBB815_168
; %bb.167:
	v_and_b32_e32 v38, 7, v30
	v_ffbh_u32_e32 v34, v38
	v_min_u32_e32 v40, 32, v34
	v_subrev_u32_e32 v34, 28, v40
	v_lshlrev_b64 v[34:35], v34, v[30:31]
	v_lshrrev_b32_e32 v39, 3, v31
	v_sub_u32_e32 v30, 29, v40
	v_and_b32_e32 v34, 7, v34
	v_cmp_gt_u32_e32 vcc, 8, v31
	v_cndmask_b32_e32 v30, v39, v30, vcc
	v_cndmask_b32_e32 v31, v38, v34, vcc
	v_lshlrev_b32_e32 v34, 16, v32
	v_bfrev_b32_e32 v35, 60
	v_lshlrev_b32_e32 v31, 20, v31
	v_and_b32_e32 v34, 0x80000000, v34
	v_lshl_add_u32 v30, v30, 23, v35
	v_or3_b32 v30, v34, v30, v31
	v_lshrrev_b32_e32 v35, 16, v30
.LBB815_168:
	s_or_b64 exec, exec, s[24:25]
.LBB815_169:
	s_or_b64 exec, exec, s[14:15]
.LBB815_170:
	s_or_b64 exec, exec, s[12:13]
	s_movk_i32 s11, 0xff
	v_and_b32_sdwa v31, v32, s11 dst_sel:DWORD dst_unused:UNUSED_PAD src0_sel:WORD_1 src1_sel:DWORD
	v_lshrrev_b32_e32 v30, 16, v32
	v_cmp_ne_u16_e32 vcc, 0, v31
	s_and_saveexec_b64 s[12:13], vcc
	s_cbranch_execz .LBB815_176
; %bb.171:
	s_movk_i32 s11, 0x80
	v_cmp_ne_u16_e32 vcc, s11, v31
	v_mov_b32_e32 v37, 0xffff8000
	s_and_saveexec_b64 s[14:15], vcc
	s_cbranch_execz .LBB815_175
; %bb.172:
	v_bfe_u32 v31, v32, 16, 7
	s_movk_i32 s11, 0x7f
	v_cmp_ne_u32_e32 vcc, s11, v31
	v_mov_b32_e32 v37, 0x7f80
	s_and_saveexec_b64 s[24:25], vcc
	s_cbranch_execz .LBB815_174
; %bb.173:
	v_and_b32_e32 v34, 7, v30
	v_ffbh_u32_e32 v38, v34
	v_min_u32_e32 v40, 32, v38
	v_subrev_u32_e32 v38, 28, v40
	v_lshlrev_b64 v[38:39], v38, v[30:31]
	v_and_b32_e32 v38, 7, v38
	v_cmp_gt_u32_e32 vcc, 8, v31
	v_lshrrev_b32_e32 v37, 3, v31
	v_sub_u32_e32 v30, 29, v40
	v_cndmask_b32_e32 v31, v34, v38, vcc
	v_mov_b32_e32 v34, 24
	v_cndmask_b32_e32 v30, v37, v30, vcc
	v_lshlrev_b32_sdwa v34, v34, v32 dst_sel:DWORD dst_unused:UNUSED_PAD src0_sel:DWORD src1_sel:WORD_1
	v_bfrev_b32_e32 v37, 60
	v_lshlrev_b32_e32 v31, 20, v31
	v_and_b32_e32 v34, 0x80000000, v34
	v_lshl_add_u32 v30, v30, 23, v37
	v_or3_b32 v30, v34, v30, v31
	v_lshrrev_b32_e32 v37, 16, v30
.LBB815_174:
	s_or_b64 exec, exec, s[24:25]
.LBB815_175:
	s_or_b64 exec, exec, s[14:15]
.LBB815_176:
	s_or_b64 exec, exec, s[12:13]
	s_mov_b32 s11, 0xffffff
	v_cmp_lt_u32_e32 vcc, s11, v32
	v_mov_b32_e32 v31, 0
	v_mov_b32_e32 v38, 0
	s_and_saveexec_b64 s[12:13], vcc
	s_cbranch_execz .LBB815_182
; %bb.177:
	v_lshrrev_b32_e32 v30, 24, v32
	s_movk_i32 s11, 0x80
	v_cmp_ne_u32_e32 vcc, s11, v30
	v_mov_b32_e32 v38, 0xffff8000
	s_and_saveexec_b64 s[14:15], vcc
	s_cbranch_execz .LBB815_181
; %bb.178:
	v_bfe_u32 v34, v32, 24, 7
	s_movk_i32 s11, 0x7f
	v_cmp_ne_u32_e32 vcc, s11, v34
	v_mov_b32_e32 v38, 0x7f80
	s_and_saveexec_b64 s[24:25], vcc
	s_cbranch_execz .LBB815_180
; %bb.179:
	v_and_b32_e32 v40, 7, v30
	v_ffbh_u32_e32 v38, v40
	v_min_u32_e32 v45, 32, v38
	v_subrev_u32_e32 v38, 28, v45
	v_lshlrev_b64 v[38:39], v38, v[30:31]
	v_lshrrev_b32_e32 v41, 3, v34
	v_sub_u32_e32 v39, 29, v45
	v_and_b32_e32 v38, 7, v38
	v_cmp_gt_u32_e32 vcc, 8, v34
	v_cndmask_b32_e32 v34, v41, v39, vcc
	v_cndmask_b32_e32 v38, v40, v38, vcc
	v_lshlrev_b32_e32 v30, 24, v30
	v_bfrev_b32_e32 v39, 60
	v_lshlrev_b32_e32 v38, 20, v38
	v_and_b32_e32 v30, 0x80000000, v30
	v_lshl_add_u32 v34, v34, 23, v39
	v_or3_b32 v30, v30, v34, v38
	v_lshrrev_b32_e32 v38, 16, v30
.LBB815_180:
	s_or_b64 exec, exec, s[24:25]
.LBB815_181:
	s_or_b64 exec, exec, s[14:15]
.LBB815_182:
	s_or_b64 exec, exec, s[12:13]
	v_mov_b32_e32 v30, v33
	v_cmp_ne_u16_sdwa s[14:15], v33, v31 src0_sel:BYTE_0 src1_sel:DWORD
	s_and_saveexec_b64 s[12:13], s[14:15]
	s_cbranch_execz .LBB815_188
; %bb.183:
	s_movk_i32 s11, 0x80
	v_cmp_ne_u16_sdwa s[24:25], v33, s11 src0_sel:BYTE_0 src1_sel:DWORD
	v_mov_b32_e32 v34, 0xffff8000
	s_and_saveexec_b64 s[14:15], s[24:25]
	s_cbranch_execz .LBB815_187
; %bb.184:
	s_movk_i32 s11, 0x7f
	v_and_b32_e32 v39, 0x7f, v33
	v_cmp_ne_u32_e32 vcc, s11, v39
	v_mov_b32_e32 v34, 0x7f80
	s_and_saveexec_b64 s[24:25], vcc
	s_cbranch_execz .LBB815_186
; %bb.185:
	v_and_b32_e32 v34, 7, v33
	v_ffbh_u32_e32 v34, v34
	v_min_u32_e32 v34, 32, v34
	v_subrev_u32_e32 v41, 28, v34
	v_cmp_gt_u32_e32 vcc, 8, v39
	v_lshrrev_b32_e32 v40, 3, v39
	v_sub_u32_e32 v34, 29, v34
	v_cndmask_b32_e32 v39, 0, v41, vcc
	v_cndmask_b32_e32 v34, v40, v34, vcc
	v_lshlrev_b64 v[40:41], v39, v[30:31]
	v_lshlrev_b32_e32 v31, 20, v40
	v_lshlrev_b32_e32 v39, 24, v30
	v_bfrev_b32_e32 v40, 60
	v_and_b32_e32 v31, 0x700000, v31
	v_and_b32_e32 v39, 0x80000000, v39
	v_lshl_add_u32 v34, v34, 23, v40
	v_or3_b32 v31, v39, v34, v31
	v_lshrrev_b32_e32 v34, 16, v31
.LBB815_186:
	s_or_b64 exec, exec, s[24:25]
.LBB815_187:
	s_or_b64 exec, exec, s[14:15]
	v_mov_b32_e32 v31, v34
.LBB815_188:
	s_or_b64 exec, exec, s[12:13]
	v_lshrrev_b16_e32 v34, 8, v30
	v_cmp_ne_u16_e32 vcc, 0, v34
	v_mov_b32_e32 v40, 0
	v_mov_b32_e32 v39, 0
	s_and_saveexec_b64 s[12:13], vcc
	s_cbranch_execz .LBB815_194
; %bb.189:
	s_movk_i32 s11, 0x80
	v_cmp_ne_u16_e32 vcc, s11, v34
	v_mov_b32_e32 v39, 0xffff8000
	s_and_saveexec_b64 s[14:15], vcc
	s_cbranch_execz .LBB815_193
; %bb.190:
	s_movk_i32 s11, 0x7f
	v_and_b32_e32 v41, 0x7f, v34
	v_cmp_ne_u32_e32 vcc, s11, v41
	v_mov_b32_e32 v39, 0x7f80
	s_and_saveexec_b64 s[24:25], vcc
	s_cbranch_execz .LBB815_192
; %bb.191:
	v_and_b32_e32 v39, 7, v34
	v_ffbh_u32_e32 v46, v39
	v_min_u32_e32 v48, 32, v46
	v_subrev_u32_e32 v46, 28, v48
	v_lshlrev_b64 v[46:47], v46, v[34:35]
	v_lshrrev_b32_e32 v45, 3, v41
	v_sub_u32_e32 v34, 29, v48
	v_and_b32_e32 v46, 7, v46
	v_cmp_gt_u32_e32 vcc, 8, v41
	v_cndmask_b32_e32 v34, v45, v34, vcc
	v_cndmask_b32_e32 v39, v39, v46, vcc
	v_lshlrev_b32_e32 v30, 16, v30
	v_bfrev_b32_e32 v41, 60
	v_lshlrev_b32_e32 v39, 20, v39
	v_and_b32_e32 v30, 0x80000000, v30
	v_lshl_add_u32 v34, v34, 23, v41
	v_or3_b32 v30, v30, v34, v39
	v_lshrrev_b32_e32 v39, 16, v30
.LBB815_192:
	s_or_b64 exec, exec, s[24:25]
.LBB815_193:
	s_or_b64 exec, exec, s[14:15]
.LBB815_194:
	s_or_b64 exec, exec, s[12:13]
	s_movk_i32 s11, 0xff
	v_and_b32_sdwa v34, v33, s11 dst_sel:DWORD dst_unused:UNUSED_PAD src0_sel:WORD_1 src1_sel:DWORD
	v_lshrrev_b32_e32 v30, 16, v33
	v_cmp_ne_u16_e32 vcc, 0, v34
	s_and_saveexec_b64 s[12:13], vcc
	s_cbranch_execz .LBB815_200
; %bb.195:
	s_movk_i32 s11, 0x80
	v_cmp_ne_u16_e32 vcc, s11, v34
	v_mov_b32_e32 v40, 0xffff8000
	s_and_saveexec_b64 s[14:15], vcc
	s_cbranch_execz .LBB815_199
; %bb.196:
	v_bfe_u32 v34, v33, 16, 7
	s_movk_i32 s11, 0x7f
	v_cmp_ne_u32_e32 vcc, s11, v34
	v_mov_b32_e32 v40, 0x7f80
	s_and_saveexec_b64 s[24:25], vcc
	s_cbranch_execz .LBB815_198
; %bb.197:
	v_and_b32_e32 v45, 7, v30
	v_ffbh_u32_e32 v40, v45
	v_min_u32_e32 v47, 32, v40
	v_subrev_u32_e32 v40, 28, v47
	v_lshlrev_b64 v[40:41], v40, v[30:31]
	v_and_b32_e32 v40, 7, v40
	v_cmp_gt_u32_e32 vcc, 8, v34
	v_lshrrev_b32_e32 v46, 3, v34
	v_sub_u32_e32 v30, 29, v47
	v_cndmask_b32_e32 v34, v45, v40, vcc
	v_mov_b32_e32 v40, 24
	v_cndmask_b32_e32 v30, v46, v30, vcc
	v_lshlrev_b32_sdwa v40, v40, v33 dst_sel:DWORD dst_unused:UNUSED_PAD src0_sel:DWORD src1_sel:WORD_1
	v_bfrev_b32_e32 v41, 60
	v_lshlrev_b32_e32 v34, 20, v34
	v_and_b32_e32 v40, 0x80000000, v40
	v_lshl_add_u32 v30, v30, 23, v41
	v_or3_b32 v30, v40, v30, v34
	v_lshrrev_b32_e32 v40, 16, v30
.LBB815_198:
	s_or_b64 exec, exec, s[24:25]
.LBB815_199:
	s_or_b64 exec, exec, s[14:15]
.LBB815_200:
	s_or_b64 exec, exec, s[12:13]
	s_mov_b32 s12, -1
	s_mov_b32 s13, 0xffffff
	v_cmp_lt_u64_e32 vcc, s[12:13], v[32:33]
	v_mov_b32_e32 v34, 0
	v_mov_b32_e32 v32, 0
	s_and_saveexec_b64 s[12:13], vcc
	s_cbranch_execz .LBB815_206
; %bb.201:
	v_lshrrev_b32_e32 v30, 24, v33
	s_movk_i32 s11, 0x80
	v_cmp_ne_u32_e32 vcc, s11, v30
	v_mov_b32_e32 v32, 0xffff8000
	s_and_saveexec_b64 s[14:15], vcc
	s_cbranch_execz .LBB815_205
; %bb.202:
	v_bfe_u32 v33, v33, 24, 7
	s_movk_i32 s11, 0x7f
	v_cmp_ne_u32_e32 vcc, s11, v33
	v_mov_b32_e32 v32, 0x7f80
	s_and_saveexec_b64 s[24:25], vcc
	s_cbranch_execz .LBB815_204
; %bb.203:
	v_and_b32_e32 v32, 7, v30
	v_ffbh_u32_e32 v45, v32
	v_min_u32_e32 v45, 32, v45
	v_subrev_u32_e32 v46, 28, v45
	v_lshlrev_b64 v[46:47], v46, v[30:31]
	v_lshrrev_b32_e32 v41, 3, v33
	v_sub_u32_e32 v45, 29, v45
	v_and_b32_e32 v46, 7, v46
	v_cmp_gt_u32_e32 vcc, 8, v33
	v_cndmask_b32_e32 v33, v41, v45, vcc
	v_cndmask_b32_e32 v32, v32, v46, vcc
	v_lshlrev_b32_e32 v30, 24, v30
	v_bfrev_b32_e32 v41, 60
	v_lshlrev_b32_e32 v32, 20, v32
	v_and_b32_e32 v30, 0x80000000, v30
	v_lshl_add_u32 v33, v33, 23, v41
	v_or3_b32 v30, v30, v33, v32
	v_lshrrev_b32_e32 v32, 16, v30
.LBB815_204:
	s_or_b64 exec, exec, s[24:25]
.LBB815_205:
	s_or_b64 exec, exec, s[14:15]
.LBB815_206:
	s_or_b64 exec, exec, s[12:13]
	s_mov_b32 s11, 0x5040100
	v_perm_b32 v37, v38, v37, s11
	v_perm_b32 v36, v35, v36, s11
	;; [unrolled: 1-line block ×4, first 2 shown]
	v_mfma_f32_4x4x4bf16_1k a[0:3], v[2:3], v[36:37], a[0:3] cbsz:4 abid:3
	v_cmp_ne_u16_sdwa s[14:15], v26, v34 src0_sel:BYTE_0 src1_sel:DWORD
	v_mfma_f32_4x4x4bf16_1k a[0:3], v[4:5], v[32:33], a[0:3] cbsz:4 abid:3
	s_and_saveexec_b64 s[12:13], s[14:15]
	s_cbranch_execz .LBB815_212
; %bb.207:
	s_movk_i32 s11, 0x80
	v_cmp_ne_u16_sdwa s[24:25], v26, s11 src0_sel:BYTE_0 src1_sel:DWORD
	v_mov_b32_e32 v34, 0xffff8000
	s_and_saveexec_b64 s[14:15], s[24:25]
	s_cbranch_execz .LBB815_211
; %bb.208:
	s_movk_i32 s11, 0x7f
	v_and_b32_e32 v30, 0x7f, v26
	v_cmp_ne_u32_e32 vcc, s11, v30
	v_mov_b32_e32 v34, 0x7f80
	s_and_saveexec_b64 s[24:25], vcc
	s_cbranch_execz .LBB815_210
; %bb.209:
	v_and_b32_e32 v31, 7, v26
	v_ffbh_u32_e32 v31, v31
	v_min_u32_e32 v31, 32, v31
	v_subrev_u32_e32 v33, 28, v31
	v_cmp_gt_u32_e32 vcc, 8, v30
	v_lshrrev_b32_e32 v32, 3, v30
	v_sub_u32_e32 v31, 29, v31
	v_cndmask_b32_e32 v30, 0, v33, vcc
	v_cndmask_b32_e32 v32, v32, v31, vcc
	v_lshlrev_b64 v[30:31], v30, v[26:27]
	v_lshlrev_b32_e32 v30, 20, v30
	v_lshlrev_b32_e32 v31, 24, v26
	v_bfrev_b32_e32 v33, 60
	v_and_b32_e32 v30, 0x700000, v30
	v_and_b32_e32 v31, 0x80000000, v31
	v_lshl_add_u32 v32, v32, 23, v33
	v_or3_b32 v30, v31, v32, v30
	v_lshrrev_b32_e32 v34, 16, v30
.LBB815_210:
	s_or_b64 exec, exec, s[24:25]
.LBB815_211:
	s_or_b64 exec, exec, s[14:15]
.LBB815_212:
	s_or_b64 exec, exec, s[12:13]
	v_lshrrev_b16_e32 v30, 8, v26
	v_cmp_ne_u16_e32 vcc, 0, v30
	v_mov_b32_e32 v35, 0
	v_mov_b32_e32 v33, 0
	s_and_saveexec_b64 s[12:13], vcc
	s_cbranch_execz .LBB815_218
; %bb.213:
	s_movk_i32 s11, 0x80
	v_cmp_ne_u16_e32 vcc, s11, v30
	v_mov_b32_e32 v33, 0xffff8000
	s_and_saveexec_b64 s[14:15], vcc
	s_cbranch_execz .LBB815_217
; %bb.214:
	s_movk_i32 s11, 0x7f
	v_and_b32_e32 v31, 0x7f, v30
	v_cmp_ne_u32_e32 vcc, s11, v31
	v_mov_b32_e32 v33, 0x7f80
	s_and_saveexec_b64 s[24:25], vcc
	s_cbranch_execz .LBB815_216
; %bb.215:
	v_and_b32_e32 v36, 7, v30
	v_ffbh_u32_e32 v32, v36
	v_min_u32_e32 v38, 32, v32
	v_subrev_u32_e32 v32, 28, v38
	v_lshlrev_b64 v[32:33], v32, v[30:31]
	v_lshrrev_b32_e32 v37, 3, v31
	v_sub_u32_e32 v30, 29, v38
	v_and_b32_e32 v32, 7, v32
	v_cmp_gt_u32_e32 vcc, 8, v31
	v_cndmask_b32_e32 v30, v37, v30, vcc
	v_cndmask_b32_e32 v31, v36, v32, vcc
	v_lshlrev_b32_e32 v32, 16, v26
	v_bfrev_b32_e32 v33, 60
	v_lshlrev_b32_e32 v31, 20, v31
	v_and_b32_e32 v32, 0x80000000, v32
	v_lshl_add_u32 v30, v30, 23, v33
	v_or3_b32 v30, v32, v30, v31
	v_lshrrev_b32_e32 v33, 16, v30
.LBB815_216:
	s_or_b64 exec, exec, s[24:25]
.LBB815_217:
	s_or_b64 exec, exec, s[14:15]
.LBB815_218:
	s_or_b64 exec, exec, s[12:13]
	s_movk_i32 s11, 0xff
	v_and_b32_sdwa v31, v26, s11 dst_sel:DWORD dst_unused:UNUSED_PAD src0_sel:WORD_1 src1_sel:DWORD
	v_lshrrev_b32_e32 v30, 16, v26
	v_cmp_ne_u16_e32 vcc, 0, v31
	s_and_saveexec_b64 s[12:13], vcc
	s_cbranch_execz .LBB815_224
; %bb.219:
	s_movk_i32 s11, 0x80
	v_cmp_ne_u16_e32 vcc, s11, v31
	v_mov_b32_e32 v35, 0xffff8000
	s_and_saveexec_b64 s[14:15], vcc
	s_cbranch_execz .LBB815_223
; %bb.220:
	v_bfe_u32 v31, v26, 16, 7
	s_movk_i32 s11, 0x7f
	v_cmp_ne_u32_e32 vcc, s11, v31
	v_mov_b32_e32 v35, 0x7f80
	s_and_saveexec_b64 s[24:25], vcc
	s_cbranch_execz .LBB815_222
; %bb.221:
	v_and_b32_e32 v32, 7, v30
	v_ffbh_u32_e32 v36, v32
	v_min_u32_e32 v38, 32, v36
	v_subrev_u32_e32 v36, 28, v38
	v_lshlrev_b64 v[36:37], v36, v[30:31]
	v_and_b32_e32 v36, 7, v36
	v_cmp_gt_u32_e32 vcc, 8, v31
	v_lshrrev_b32_e32 v35, 3, v31
	v_sub_u32_e32 v30, 29, v38
	v_cndmask_b32_e32 v31, v32, v36, vcc
	v_mov_b32_e32 v32, 24
	v_cndmask_b32_e32 v30, v35, v30, vcc
	v_lshlrev_b32_sdwa v32, v32, v26 dst_sel:DWORD dst_unused:UNUSED_PAD src0_sel:DWORD src1_sel:WORD_1
	v_bfrev_b32_e32 v35, 60
	v_lshlrev_b32_e32 v31, 20, v31
	v_and_b32_e32 v32, 0x80000000, v32
	v_lshl_add_u32 v30, v30, 23, v35
	v_or3_b32 v30, v32, v30, v31
	v_lshrrev_b32_e32 v35, 16, v30
.LBB815_222:
	s_or_b64 exec, exec, s[24:25]
.LBB815_223:
	s_or_b64 exec, exec, s[14:15]
.LBB815_224:
	s_or_b64 exec, exec, s[12:13]
	s_mov_b32 s11, 0xffffff
	v_cmp_lt_u32_e32 vcc, s11, v26
	v_mov_b32_e32 v31, 0
	v_mov_b32_e32 v36, 0
	s_and_saveexec_b64 s[12:13], vcc
	s_cbranch_execz .LBB815_230
; %bb.225:
	v_lshrrev_b32_e32 v30, 24, v26
	s_movk_i32 s11, 0x80
	v_cmp_ne_u32_e32 vcc, s11, v30
	v_mov_b32_e32 v36, 0xffff8000
	s_and_saveexec_b64 s[14:15], vcc
	s_cbranch_execz .LBB815_229
; %bb.226:
	v_bfe_u32 v32, v26, 24, 7
	s_movk_i32 s11, 0x7f
	v_cmp_ne_u32_e32 vcc, s11, v32
	v_mov_b32_e32 v36, 0x7f80
	s_and_saveexec_b64 s[24:25], vcc
	s_cbranch_execz .LBB815_228
; %bb.227:
	v_and_b32_e32 v38, 7, v30
	v_ffbh_u32_e32 v36, v38
	v_min_u32_e32 v40, 32, v36
	v_subrev_u32_e32 v36, 28, v40
	v_lshlrev_b64 v[36:37], v36, v[30:31]
	v_lshrrev_b32_e32 v39, 3, v32
	v_sub_u32_e32 v37, 29, v40
	v_and_b32_e32 v36, 7, v36
	v_cmp_gt_u32_e32 vcc, 8, v32
	v_cndmask_b32_e32 v32, v39, v37, vcc
	v_cndmask_b32_e32 v36, v38, v36, vcc
	v_lshlrev_b32_e32 v30, 24, v30
	v_bfrev_b32_e32 v37, 60
	v_lshlrev_b32_e32 v36, 20, v36
	v_and_b32_e32 v30, 0x80000000, v30
	v_lshl_add_u32 v32, v32, 23, v37
	v_or3_b32 v30, v30, v32, v36
	v_lshrrev_b32_e32 v36, 16, v30
.LBB815_228:
	s_or_b64 exec, exec, s[24:25]
.LBB815_229:
	s_or_b64 exec, exec, s[14:15]
.LBB815_230:
	s_or_b64 exec, exec, s[12:13]
	v_mov_b32_e32 v30, v27
	v_cmp_ne_u16_sdwa s[14:15], v27, v31 src0_sel:BYTE_0 src1_sel:DWORD
	s_and_saveexec_b64 s[12:13], s[14:15]
	s_cbranch_execz .LBB815_236
; %bb.231:
	s_movk_i32 s11, 0x80
	v_cmp_ne_u16_sdwa s[24:25], v27, s11 src0_sel:BYTE_0 src1_sel:DWORD
	v_mov_b32_e32 v32, 0xffff8000
	s_and_saveexec_b64 s[14:15], s[24:25]
	s_cbranch_execz .LBB815_235
; %bb.232:
	s_movk_i32 s11, 0x7f
	v_and_b32_e32 v37, 0x7f, v27
	v_cmp_ne_u32_e32 vcc, s11, v37
	v_mov_b32_e32 v32, 0x7f80
	s_and_saveexec_b64 s[24:25], vcc
	s_cbranch_execz .LBB815_234
; %bb.233:
	v_and_b32_e32 v32, 7, v27
	v_ffbh_u32_e32 v32, v32
	v_min_u32_e32 v32, 32, v32
	v_subrev_u32_e32 v39, 28, v32
	v_cmp_gt_u32_e32 vcc, 8, v37
	v_lshrrev_b32_e32 v38, 3, v37
	v_sub_u32_e32 v32, 29, v32
	v_cndmask_b32_e32 v37, 0, v39, vcc
	v_cndmask_b32_e32 v32, v38, v32, vcc
	v_lshlrev_b64 v[38:39], v37, v[30:31]
	v_lshlrev_b32_e32 v31, 20, v38
	v_lshlrev_b32_e32 v37, 24, v30
	v_bfrev_b32_e32 v38, 60
	v_and_b32_e32 v31, 0x700000, v31
	v_and_b32_e32 v37, 0x80000000, v37
	v_lshl_add_u32 v32, v32, 23, v38
	v_or3_b32 v31, v37, v32, v31
	v_lshrrev_b32_e32 v32, 16, v31
.LBB815_234:
	s_or_b64 exec, exec, s[24:25]
.LBB815_235:
	s_or_b64 exec, exec, s[14:15]
	v_mov_b32_e32 v31, v32
.LBB815_236:
	s_or_b64 exec, exec, s[12:13]
	v_lshrrev_b16_e32 v32, 8, v30
	v_cmp_ne_u16_e32 vcc, 0, v32
	v_mov_b32_e32 v38, 0
	v_mov_b32_e32 v37, 0
	s_and_saveexec_b64 s[12:13], vcc
	s_cbranch_execz .LBB815_242
; %bb.237:
	s_movk_i32 s11, 0x80
	v_cmp_ne_u16_e32 vcc, s11, v32
	v_mov_b32_e32 v37, 0xffff8000
	s_and_saveexec_b64 s[14:15], vcc
	s_cbranch_execz .LBB815_241
; %bb.238:
	s_movk_i32 s11, 0x7f
	v_and_b32_e32 v39, 0x7f, v32
	v_cmp_ne_u32_e32 vcc, s11, v39
	v_mov_b32_e32 v37, 0x7f80
	s_and_saveexec_b64 s[24:25], vcc
	s_cbranch_execz .LBB815_240
; %bb.239:
	v_and_b32_e32 v37, 7, v32
	v_ffbh_u32_e32 v40, v37
	v_min_u32_e32 v46, 32, v40
	v_subrev_u32_e32 v40, 28, v46
	v_lshlrev_b64 v[40:41], v40, v[32:33]
	v_lshrrev_b32_e32 v45, 3, v39
	v_sub_u32_e32 v32, 29, v46
	v_and_b32_e32 v40, 7, v40
	v_cmp_gt_u32_e32 vcc, 8, v39
	v_cndmask_b32_e32 v32, v45, v32, vcc
	v_cndmask_b32_e32 v37, v37, v40, vcc
	v_lshlrev_b32_e32 v30, 16, v30
	v_bfrev_b32_e32 v39, 60
	v_lshlrev_b32_e32 v37, 20, v37
	v_and_b32_e32 v30, 0x80000000, v30
	v_lshl_add_u32 v32, v32, 23, v39
	v_or3_b32 v30, v30, v32, v37
	v_lshrrev_b32_e32 v37, 16, v30
.LBB815_240:
	s_or_b64 exec, exec, s[24:25]
.LBB815_241:
	s_or_b64 exec, exec, s[14:15]
.LBB815_242:
	s_or_b64 exec, exec, s[12:13]
	s_movk_i32 s11, 0xff
	v_and_b32_sdwa v32, v27, s11 dst_sel:DWORD dst_unused:UNUSED_PAD src0_sel:WORD_1 src1_sel:DWORD
	v_lshrrev_b32_e32 v30, 16, v27
	v_cmp_ne_u16_e32 vcc, 0, v32
	s_and_saveexec_b64 s[12:13], vcc
	s_cbranch_execz .LBB815_248
; %bb.243:
	s_movk_i32 s11, 0x80
	v_cmp_ne_u16_e32 vcc, s11, v32
	v_mov_b32_e32 v38, 0xffff8000
	s_and_saveexec_b64 s[14:15], vcc
	s_cbranch_execz .LBB815_247
; %bb.244:
	v_bfe_u32 v32, v27, 16, 7
	s_movk_i32 s11, 0x7f
	v_cmp_ne_u32_e32 vcc, s11, v32
	v_mov_b32_e32 v38, 0x7f80
	s_and_saveexec_b64 s[24:25], vcc
	s_cbranch_execz .LBB815_246
; %bb.245:
	v_and_b32_e32 v40, 7, v30
	v_ffbh_u32_e32 v38, v40
	v_min_u32_e32 v45, 32, v38
	v_subrev_u32_e32 v38, 28, v45
	v_lshlrev_b64 v[38:39], v38, v[30:31]
	v_and_b32_e32 v38, 7, v38
	v_cmp_gt_u32_e32 vcc, 8, v32
	v_lshrrev_b32_e32 v41, 3, v32
	v_sub_u32_e32 v30, 29, v45
	v_cndmask_b32_e32 v32, v40, v38, vcc
	v_mov_b32_e32 v38, 24
	v_cndmask_b32_e32 v30, v41, v30, vcc
	v_lshlrev_b32_sdwa v38, v38, v27 dst_sel:DWORD dst_unused:UNUSED_PAD src0_sel:DWORD src1_sel:WORD_1
	v_bfrev_b32_e32 v39, 60
	v_lshlrev_b32_e32 v32, 20, v32
	v_and_b32_e32 v38, 0x80000000, v38
	v_lshl_add_u32 v30, v30, 23, v39
	v_or3_b32 v30, v38, v30, v32
	v_lshrrev_b32_e32 v38, 16, v30
.LBB815_246:
	s_or_b64 exec, exec, s[24:25]
.LBB815_247:
	s_or_b64 exec, exec, s[14:15]
.LBB815_248:
	s_or_b64 exec, exec, s[12:13]
	s_mov_b32 s12, -1
	s_mov_b32 s13, 0xffffff
	v_cmp_lt_u64_e32 vcc, s[12:13], v[26:27]
	v_mov_b32_e32 v32, 0
	v_mov_b32_e32 v30, 0
	s_and_saveexec_b64 s[12:13], vcc
	s_cbranch_execz .LBB815_254
; %bb.249:
	v_lshrrev_b32_e32 v26, 24, v27
	s_movk_i32 s11, 0x80
	v_cmp_ne_u32_e32 vcc, s11, v26
	v_mov_b32_e32 v30, 0xffff8000
	s_and_saveexec_b64 s[14:15], vcc
	s_cbranch_execz .LBB815_253
; %bb.250:
	v_bfe_u32 v27, v27, 24, 7
	s_movk_i32 s11, 0x7f
	v_cmp_ne_u32_e32 vcc, s11, v27
	v_mov_b32_e32 v30, 0x7f80
	s_and_saveexec_b64 s[24:25], vcc
	s_cbranch_execz .LBB815_252
; %bb.251:
	v_and_b32_e32 v30, 7, v26
	v_ffbh_u32_e32 v40, v30
	v_min_u32_e32 v45, 32, v40
	v_subrev_u32_e32 v40, 28, v45
	v_lshlrev_b64 v[40:41], v40, v[26:27]
	v_lshrrev_b32_e32 v39, 3, v27
	v_sub_u32_e32 v41, 29, v45
	v_and_b32_e32 v40, 7, v40
	v_cmp_gt_u32_e32 vcc, 8, v27
	v_cndmask_b32_e32 v27, v39, v41, vcc
	v_cndmask_b32_e32 v30, v30, v40, vcc
	v_lshlrev_b32_e32 v26, 24, v26
	v_bfrev_b32_e32 v39, 60
	v_lshlrev_b32_e32 v30, 20, v30
	v_and_b32_e32 v26, 0x80000000, v26
	v_lshl_add_u32 v27, v27, 23, v39
	v_or3_b32 v26, v26, v27, v30
	v_lshrrev_b32_e32 v30, 16, v26
.LBB815_252:
	s_or_b64 exec, exec, s[24:25]
.LBB815_253:
	s_or_b64 exec, exec, s[14:15]
.LBB815_254:
	s_or_b64 exec, exec, s[12:13]
	s_mov_b32 s11, 0x5040100
	v_perm_b32 v27, v36, v35, s11
	v_perm_b32 v26, v33, v34, s11
	;; [unrolled: 1-line block ×4, first 2 shown]
	v_mfma_f32_4x4x4bf16_1k a[0:3], v[2:3], v[26:27], a[0:3] cbsz:4 abid:4
	v_cmp_ne_u16_sdwa s[14:15], v28, v32 src0_sel:BYTE_0 src1_sel:DWORD
	v_mfma_f32_4x4x4bf16_1k a[0:3], v[4:5], v[34:35], a[0:3] cbsz:4 abid:4
	s_and_saveexec_b64 s[12:13], s[14:15]
	s_cbranch_execz .LBB815_260
; %bb.255:
	s_movk_i32 s11, 0x80
	v_cmp_ne_u16_sdwa s[24:25], v28, s11 src0_sel:BYTE_0 src1_sel:DWORD
	v_mov_b32_e32 v32, 0xffff8000
	s_and_saveexec_b64 s[14:15], s[24:25]
	s_cbranch_execz .LBB815_259
; %bb.256:
	s_movk_i32 s11, 0x7f
	v_and_b32_e32 v26, 0x7f, v28
	v_cmp_ne_u32_e32 vcc, s11, v26
	v_mov_b32_e32 v32, 0x7f80
	s_and_saveexec_b64 s[24:25], vcc
	s_cbranch_execz .LBB815_258
; %bb.257:
	v_and_b32_e32 v27, 7, v28
	v_ffbh_u32_e32 v27, v27
	v_min_u32_e32 v27, 32, v27
	v_subrev_u32_e32 v31, 28, v27
	v_cmp_gt_u32_e32 vcc, 8, v26
	v_lshrrev_b32_e32 v30, 3, v26
	v_sub_u32_e32 v27, 29, v27
	v_cndmask_b32_e32 v26, 0, v31, vcc
	v_cndmask_b32_e32 v30, v30, v27, vcc
	v_lshlrev_b64 v[26:27], v26, v[28:29]
	v_lshlrev_b32_e32 v26, 20, v26
	v_lshlrev_b32_e32 v27, 24, v28
	v_bfrev_b32_e32 v31, 60
	v_and_b32_e32 v26, 0x700000, v26
	v_and_b32_e32 v27, 0x80000000, v27
	v_lshl_add_u32 v30, v30, 23, v31
	v_or3_b32 v26, v27, v30, v26
	v_lshrrev_b32_e32 v32, 16, v26
.LBB815_258:
	s_or_b64 exec, exec, s[24:25]
.LBB815_259:
	s_or_b64 exec, exec, s[14:15]
.LBB815_260:
	s_or_b64 exec, exec, s[12:13]
	v_lshrrev_b16_e32 v26, 8, v28
	v_cmp_ne_u16_e32 vcc, 0, v26
	v_mov_b32_e32 v33, 0
	v_mov_b32_e32 v31, 0
	s_and_saveexec_b64 s[12:13], vcc
	s_cbranch_execz .LBB815_266
; %bb.261:
	s_movk_i32 s11, 0x80
	v_cmp_ne_u16_e32 vcc, s11, v26
	v_mov_b32_e32 v31, 0xffff8000
	s_and_saveexec_b64 s[14:15], vcc
	s_cbranch_execz .LBB815_265
; %bb.262:
	s_movk_i32 s11, 0x7f
	v_and_b32_e32 v27, 0x7f, v26
	v_cmp_ne_u32_e32 vcc, s11, v27
	v_mov_b32_e32 v31, 0x7f80
	s_and_saveexec_b64 s[24:25], vcc
	s_cbranch_execz .LBB815_264
; %bb.263:
	v_and_b32_e32 v34, 7, v26
	v_ffbh_u32_e32 v30, v34
	v_min_u32_e32 v36, 32, v30
	v_subrev_u32_e32 v30, 28, v36
	v_lshlrev_b64 v[30:31], v30, v[26:27]
	v_lshrrev_b32_e32 v35, 3, v27
	v_sub_u32_e32 v26, 29, v36
	v_and_b32_e32 v30, 7, v30
	v_cmp_gt_u32_e32 vcc, 8, v27
	v_cndmask_b32_e32 v26, v35, v26, vcc
	v_cndmask_b32_e32 v27, v34, v30, vcc
	v_lshlrev_b32_e32 v30, 16, v28
	v_bfrev_b32_e32 v31, 60
	v_lshlrev_b32_e32 v27, 20, v27
	v_and_b32_e32 v30, 0x80000000, v30
	v_lshl_add_u32 v26, v26, 23, v31
	v_or3_b32 v26, v30, v26, v27
	v_lshrrev_b32_e32 v31, 16, v26
.LBB815_264:
	s_or_b64 exec, exec, s[24:25]
.LBB815_265:
	s_or_b64 exec, exec, s[14:15]
.LBB815_266:
	s_or_b64 exec, exec, s[12:13]
	s_movk_i32 s11, 0xff
	v_and_b32_sdwa v27, v28, s11 dst_sel:DWORD dst_unused:UNUSED_PAD src0_sel:WORD_1 src1_sel:DWORD
	v_lshrrev_b32_e32 v26, 16, v28
	v_cmp_ne_u16_e32 vcc, 0, v27
	s_and_saveexec_b64 s[12:13], vcc
	s_cbranch_execz .LBB815_272
; %bb.267:
	s_movk_i32 s11, 0x80
	v_cmp_ne_u16_e32 vcc, s11, v27
	v_mov_b32_e32 v33, 0xffff8000
	s_and_saveexec_b64 s[14:15], vcc
	s_cbranch_execz .LBB815_271
; %bb.268:
	v_bfe_u32 v27, v28, 16, 7
	s_movk_i32 s11, 0x7f
	v_cmp_ne_u32_e32 vcc, s11, v27
	v_mov_b32_e32 v33, 0x7f80
	s_and_saveexec_b64 s[24:25], vcc
	s_cbranch_execz .LBB815_270
; %bb.269:
	v_and_b32_e32 v30, 7, v26
	v_ffbh_u32_e32 v34, v30
	v_min_u32_e32 v36, 32, v34
	v_subrev_u32_e32 v34, 28, v36
	v_lshlrev_b64 v[34:35], v34, v[26:27]
	v_and_b32_e32 v34, 7, v34
	v_cmp_gt_u32_e32 vcc, 8, v27
	v_lshrrev_b32_e32 v33, 3, v27
	v_sub_u32_e32 v26, 29, v36
	v_cndmask_b32_e32 v27, v30, v34, vcc
	v_mov_b32_e32 v30, 24
	v_cndmask_b32_e32 v26, v33, v26, vcc
	v_lshlrev_b32_sdwa v30, v30, v28 dst_sel:DWORD dst_unused:UNUSED_PAD src0_sel:DWORD src1_sel:WORD_1
	v_bfrev_b32_e32 v33, 60
	v_lshlrev_b32_e32 v27, 20, v27
	v_and_b32_e32 v30, 0x80000000, v30
	v_lshl_add_u32 v26, v26, 23, v33
	v_or3_b32 v26, v30, v26, v27
	v_lshrrev_b32_e32 v33, 16, v26
.LBB815_270:
	s_or_b64 exec, exec, s[24:25]
.LBB815_271:
	s_or_b64 exec, exec, s[14:15]
.LBB815_272:
	s_or_b64 exec, exec, s[12:13]
	s_mov_b32 s11, 0xffffff
	v_cmp_lt_u32_e32 vcc, s11, v28
	v_mov_b32_e32 v27, 0
	v_mov_b32_e32 v34, 0
	s_and_saveexec_b64 s[12:13], vcc
	s_cbranch_execz .LBB815_278
; %bb.273:
	v_lshrrev_b32_e32 v26, 24, v28
	s_movk_i32 s11, 0x80
	v_cmp_ne_u32_e32 vcc, s11, v26
	v_mov_b32_e32 v34, 0xffff8000
	s_and_saveexec_b64 s[14:15], vcc
	s_cbranch_execz .LBB815_277
; %bb.274:
	v_bfe_u32 v30, v28, 24, 7
	s_movk_i32 s11, 0x7f
	v_cmp_ne_u32_e32 vcc, s11, v30
	v_mov_b32_e32 v34, 0x7f80
	s_and_saveexec_b64 s[24:25], vcc
	s_cbranch_execz .LBB815_276
; %bb.275:
	v_and_b32_e32 v36, 7, v26
	v_ffbh_u32_e32 v34, v36
	v_min_u32_e32 v38, 32, v34
	v_subrev_u32_e32 v34, 28, v38
	v_lshlrev_b64 v[34:35], v34, v[26:27]
	v_lshrrev_b32_e32 v37, 3, v30
	v_sub_u32_e32 v35, 29, v38
	v_and_b32_e32 v34, 7, v34
	v_cmp_gt_u32_e32 vcc, 8, v30
	v_cndmask_b32_e32 v30, v37, v35, vcc
	v_cndmask_b32_e32 v34, v36, v34, vcc
	v_lshlrev_b32_e32 v26, 24, v26
	v_bfrev_b32_e32 v35, 60
	v_lshlrev_b32_e32 v34, 20, v34
	v_and_b32_e32 v26, 0x80000000, v26
	v_lshl_add_u32 v30, v30, 23, v35
	v_or3_b32 v26, v26, v30, v34
	v_lshrrev_b32_e32 v34, 16, v26
.LBB815_276:
	s_or_b64 exec, exec, s[24:25]
.LBB815_277:
	s_or_b64 exec, exec, s[14:15]
.LBB815_278:
	s_or_b64 exec, exec, s[12:13]
	v_mov_b32_e32 v26, v29
	v_cmp_ne_u16_sdwa s[14:15], v29, v27 src0_sel:BYTE_0 src1_sel:DWORD
	s_and_saveexec_b64 s[12:13], s[14:15]
	s_cbranch_execz .LBB815_284
; %bb.279:
	s_movk_i32 s11, 0x80
	v_cmp_ne_u16_sdwa s[24:25], v29, s11 src0_sel:BYTE_0 src1_sel:DWORD
	v_mov_b32_e32 v30, 0xffff8000
	s_and_saveexec_b64 s[14:15], s[24:25]
	s_cbranch_execz .LBB815_283
; %bb.280:
	s_movk_i32 s11, 0x7f
	v_and_b32_e32 v35, 0x7f, v29
	v_cmp_ne_u32_e32 vcc, s11, v35
	v_mov_b32_e32 v30, 0x7f80
	s_and_saveexec_b64 s[24:25], vcc
	s_cbranch_execz .LBB815_282
; %bb.281:
	v_and_b32_e32 v30, 7, v29
	v_ffbh_u32_e32 v30, v30
	v_min_u32_e32 v30, 32, v30
	v_subrev_u32_e32 v37, 28, v30
	v_cmp_gt_u32_e32 vcc, 8, v35
	v_lshrrev_b32_e32 v36, 3, v35
	v_sub_u32_e32 v30, 29, v30
	v_cndmask_b32_e32 v35, 0, v37, vcc
	v_cndmask_b32_e32 v30, v36, v30, vcc
	v_lshlrev_b64 v[36:37], v35, v[26:27]
	v_lshlrev_b32_e32 v27, 20, v36
	v_lshlrev_b32_e32 v35, 24, v26
	v_bfrev_b32_e32 v36, 60
	v_and_b32_e32 v27, 0x700000, v27
	v_and_b32_e32 v35, 0x80000000, v35
	v_lshl_add_u32 v30, v30, 23, v36
	v_or3_b32 v27, v35, v30, v27
	v_lshrrev_b32_e32 v30, 16, v27
.LBB815_282:
	s_or_b64 exec, exec, s[24:25]
.LBB815_283:
	s_or_b64 exec, exec, s[14:15]
	v_mov_b32_e32 v27, v30
.LBB815_284:
	s_or_b64 exec, exec, s[12:13]
	v_lshrrev_b16_e32 v30, 8, v26
	v_cmp_ne_u16_e32 vcc, 0, v30
	v_mov_b32_e32 v36, 0
	v_mov_b32_e32 v35, 0
	s_and_saveexec_b64 s[12:13], vcc
	s_cbranch_execz .LBB815_290
; %bb.285:
	s_movk_i32 s11, 0x80
	v_cmp_ne_u16_e32 vcc, s11, v30
	v_mov_b32_e32 v35, 0xffff8000
	s_and_saveexec_b64 s[14:15], vcc
	s_cbranch_execz .LBB815_289
; %bb.286:
	s_movk_i32 s11, 0x7f
	v_and_b32_e32 v37, 0x7f, v30
	v_cmp_ne_u32_e32 vcc, s11, v37
	v_mov_b32_e32 v35, 0x7f80
	s_and_saveexec_b64 s[24:25], vcc
	s_cbranch_execz .LBB815_288
; %bb.287:
	v_and_b32_e32 v35, 7, v30
	v_ffbh_u32_e32 v38, v35
	v_min_u32_e32 v41, 32, v38
	v_subrev_u32_e32 v38, 28, v41
	v_lshlrev_b64 v[38:39], v38, v[30:31]
	v_lshrrev_b32_e32 v40, 3, v37
	v_sub_u32_e32 v30, 29, v41
	v_and_b32_e32 v38, 7, v38
	v_cmp_gt_u32_e32 vcc, 8, v37
	v_cndmask_b32_e32 v30, v40, v30, vcc
	v_cndmask_b32_e32 v35, v35, v38, vcc
	v_lshlrev_b32_e32 v26, 16, v26
	v_bfrev_b32_e32 v37, 60
	v_lshlrev_b32_e32 v35, 20, v35
	v_and_b32_e32 v26, 0x80000000, v26
	v_lshl_add_u32 v30, v30, 23, v37
	v_or3_b32 v26, v26, v30, v35
	v_lshrrev_b32_e32 v35, 16, v26
.LBB815_288:
	s_or_b64 exec, exec, s[24:25]
.LBB815_289:
	s_or_b64 exec, exec, s[14:15]
.LBB815_290:
	s_or_b64 exec, exec, s[12:13]
	s_movk_i32 s11, 0xff
	v_and_b32_sdwa v30, v29, s11 dst_sel:DWORD dst_unused:UNUSED_PAD src0_sel:WORD_1 src1_sel:DWORD
	v_lshrrev_b32_e32 v26, 16, v29
	v_cmp_ne_u16_e32 vcc, 0, v30
	s_and_saveexec_b64 s[12:13], vcc
	s_cbranch_execz .LBB815_296
; %bb.291:
	s_movk_i32 s11, 0x80
	v_cmp_ne_u16_e32 vcc, s11, v30
	v_mov_b32_e32 v36, 0xffff8000
	s_and_saveexec_b64 s[14:15], vcc
	s_cbranch_execz .LBB815_295
; %bb.292:
	v_bfe_u32 v30, v29, 16, 7
	s_movk_i32 s11, 0x7f
	v_cmp_ne_u32_e32 vcc, s11, v30
	v_mov_b32_e32 v36, 0x7f80
	s_and_saveexec_b64 s[24:25], vcc
	s_cbranch_execz .LBB815_294
; %bb.293:
	v_and_b32_e32 v38, 7, v26
	v_ffbh_u32_e32 v36, v38
	v_min_u32_e32 v40, 32, v36
	v_subrev_u32_e32 v36, 28, v40
	v_lshlrev_b64 v[36:37], v36, v[26:27]
	v_and_b32_e32 v36, 7, v36
	v_cmp_gt_u32_e32 vcc, 8, v30
	v_lshrrev_b32_e32 v39, 3, v30
	v_sub_u32_e32 v26, 29, v40
	v_cndmask_b32_e32 v30, v38, v36, vcc
	v_mov_b32_e32 v36, 24
	v_cndmask_b32_e32 v26, v39, v26, vcc
	v_lshlrev_b32_sdwa v36, v36, v29 dst_sel:DWORD dst_unused:UNUSED_PAD src0_sel:DWORD src1_sel:WORD_1
	v_bfrev_b32_e32 v37, 60
	v_lshlrev_b32_e32 v30, 20, v30
	v_and_b32_e32 v36, 0x80000000, v36
	v_lshl_add_u32 v26, v26, 23, v37
	v_or3_b32 v26, v36, v26, v30
	v_lshrrev_b32_e32 v36, 16, v26
.LBB815_294:
	s_or_b64 exec, exec, s[24:25]
.LBB815_295:
	s_or_b64 exec, exec, s[14:15]
.LBB815_296:
	s_or_b64 exec, exec, s[12:13]
	s_mov_b32 s12, -1
	s_mov_b32 s13, 0xffffff
	v_cmp_lt_u64_e32 vcc, s[12:13], v[28:29]
	v_mov_b32_e32 v30, 0
	v_mov_b32_e32 v28, 0
	s_and_saveexec_b64 s[12:13], vcc
	s_cbranch_execz .LBB815_302
; %bb.297:
	v_lshrrev_b32_e32 v26, 24, v29
	s_movk_i32 s11, 0x80
	v_cmp_ne_u32_e32 vcc, s11, v26
	v_mov_b32_e32 v28, 0xffff8000
	s_and_saveexec_b64 s[14:15], vcc
	s_cbranch_execz .LBB815_301
; %bb.298:
	v_bfe_u32 v29, v29, 24, 7
	s_movk_i32 s11, 0x7f
	v_cmp_ne_u32_e32 vcc, s11, v29
	v_mov_b32_e32 v28, 0x7f80
	s_and_saveexec_b64 s[24:25], vcc
	s_cbranch_execz .LBB815_300
; %bb.299:
	v_and_b32_e32 v28, 7, v26
	v_ffbh_u32_e32 v38, v28
	v_min_u32_e32 v40, 32, v38
	v_subrev_u32_e32 v38, 28, v40
	v_lshlrev_b64 v[38:39], v38, v[26:27]
	v_lshrrev_b32_e32 v37, 3, v29
	v_sub_u32_e32 v39, 29, v40
	v_and_b32_e32 v38, 7, v38
	v_cmp_gt_u32_e32 vcc, 8, v29
	v_cndmask_b32_e32 v29, v37, v39, vcc
	v_cndmask_b32_e32 v28, v28, v38, vcc
	v_lshlrev_b32_e32 v26, 24, v26
	v_bfrev_b32_e32 v37, 60
	v_lshlrev_b32_e32 v28, 20, v28
	v_and_b32_e32 v26, 0x80000000, v26
	v_lshl_add_u32 v29, v29, 23, v37
	v_or3_b32 v26, v26, v29, v28
	v_lshrrev_b32_e32 v28, 16, v26
.LBB815_300:
	s_or_b64 exec, exec, s[24:25]
.LBB815_301:
	s_or_b64 exec, exec, s[14:15]
.LBB815_302:
	s_or_b64 exec, exec, s[12:13]
	s_mov_b32 s11, 0x5040100
	v_perm_b32 v33, v34, v33, s11
	v_perm_b32 v32, v31, v32, s11
	;; [unrolled: 1-line block ×4, first 2 shown]
	v_mfma_f32_4x4x4bf16_1k a[0:3], v[2:3], v[32:33], a[0:3] cbsz:4 abid:5
	v_cmp_ne_u16_sdwa s[14:15], v22, v30 src0_sel:BYTE_0 src1_sel:DWORD
	v_mfma_f32_4x4x4bf16_1k a[0:3], v[4:5], v[28:29], a[0:3] cbsz:4 abid:5
	s_and_saveexec_b64 s[12:13], s[14:15]
	s_cbranch_execz .LBB815_308
; %bb.303:
	s_movk_i32 s11, 0x80
	v_cmp_ne_u16_sdwa s[24:25], v22, s11 src0_sel:BYTE_0 src1_sel:DWORD
	v_mov_b32_e32 v30, 0xffff8000
	s_and_saveexec_b64 s[14:15], s[24:25]
	s_cbranch_execz .LBB815_307
; %bb.304:
	s_movk_i32 s11, 0x7f
	v_and_b32_e32 v26, 0x7f, v22
	v_cmp_ne_u32_e32 vcc, s11, v26
	v_mov_b32_e32 v30, 0x7f80
	s_and_saveexec_b64 s[24:25], vcc
	s_cbranch_execz .LBB815_306
; %bb.305:
	v_and_b32_e32 v27, 7, v22
	v_ffbh_u32_e32 v27, v27
	v_min_u32_e32 v27, 32, v27
	v_subrev_u32_e32 v29, 28, v27
	v_cmp_gt_u32_e32 vcc, 8, v26
	v_lshrrev_b32_e32 v28, 3, v26
	v_sub_u32_e32 v27, 29, v27
	v_cndmask_b32_e32 v26, 0, v29, vcc
	v_cndmask_b32_e32 v28, v28, v27, vcc
	v_lshlrev_b64 v[26:27], v26, v[22:23]
	v_lshlrev_b32_e32 v26, 20, v26
	v_lshlrev_b32_e32 v27, 24, v22
	v_bfrev_b32_e32 v29, 60
	v_and_b32_e32 v26, 0x700000, v26
	v_and_b32_e32 v27, 0x80000000, v27
	v_lshl_add_u32 v28, v28, 23, v29
	v_or3_b32 v26, v27, v28, v26
	v_lshrrev_b32_e32 v30, 16, v26
.LBB815_306:
	s_or_b64 exec, exec, s[24:25]
.LBB815_307:
	s_or_b64 exec, exec, s[14:15]
.LBB815_308:
	s_or_b64 exec, exec, s[12:13]
	v_lshrrev_b16_e32 v26, 8, v22
	v_cmp_ne_u16_e32 vcc, 0, v26
	v_mov_b32_e32 v31, 0
	v_mov_b32_e32 v29, 0
	s_and_saveexec_b64 s[12:13], vcc
	s_cbranch_execz .LBB815_314
; %bb.309:
	s_movk_i32 s11, 0x80
	v_cmp_ne_u16_e32 vcc, s11, v26
	v_mov_b32_e32 v29, 0xffff8000
	s_and_saveexec_b64 s[14:15], vcc
	s_cbranch_execz .LBB815_313
; %bb.310:
	s_movk_i32 s11, 0x7f
	v_and_b32_e32 v27, 0x7f, v26
	v_cmp_ne_u32_e32 vcc, s11, v27
	v_mov_b32_e32 v29, 0x7f80
	s_and_saveexec_b64 s[24:25], vcc
	s_cbranch_execz .LBB815_312
; %bb.311:
	v_and_b32_e32 v32, 7, v26
	v_ffbh_u32_e32 v28, v32
	v_min_u32_e32 v34, 32, v28
	v_subrev_u32_e32 v28, 28, v34
	v_lshlrev_b64 v[28:29], v28, v[26:27]
	v_lshrrev_b32_e32 v33, 3, v27
	v_sub_u32_e32 v26, 29, v34
	v_and_b32_e32 v28, 7, v28
	v_cmp_gt_u32_e32 vcc, 8, v27
	v_cndmask_b32_e32 v26, v33, v26, vcc
	v_cndmask_b32_e32 v27, v32, v28, vcc
	v_lshlrev_b32_e32 v28, 16, v22
	v_bfrev_b32_e32 v29, 60
	v_lshlrev_b32_e32 v27, 20, v27
	v_and_b32_e32 v28, 0x80000000, v28
	v_lshl_add_u32 v26, v26, 23, v29
	v_or3_b32 v26, v28, v26, v27
	v_lshrrev_b32_e32 v29, 16, v26
.LBB815_312:
	s_or_b64 exec, exec, s[24:25]
.LBB815_313:
	s_or_b64 exec, exec, s[14:15]
.LBB815_314:
	s_or_b64 exec, exec, s[12:13]
	s_movk_i32 s11, 0xff
	v_and_b32_sdwa v27, v22, s11 dst_sel:DWORD dst_unused:UNUSED_PAD src0_sel:WORD_1 src1_sel:DWORD
	v_lshrrev_b32_e32 v26, 16, v22
	v_cmp_ne_u16_e32 vcc, 0, v27
	s_and_saveexec_b64 s[12:13], vcc
	s_cbranch_execz .LBB815_320
; %bb.315:
	s_movk_i32 s11, 0x80
	v_cmp_ne_u16_e32 vcc, s11, v27
	v_mov_b32_e32 v31, 0xffff8000
	s_and_saveexec_b64 s[14:15], vcc
	s_cbranch_execz .LBB815_319
; %bb.316:
	v_bfe_u32 v27, v22, 16, 7
	s_movk_i32 s11, 0x7f
	v_cmp_ne_u32_e32 vcc, s11, v27
	v_mov_b32_e32 v31, 0x7f80
	s_and_saveexec_b64 s[24:25], vcc
	s_cbranch_execz .LBB815_318
; %bb.317:
	v_and_b32_e32 v28, 7, v26
	v_ffbh_u32_e32 v32, v28
	v_min_u32_e32 v34, 32, v32
	v_subrev_u32_e32 v32, 28, v34
	v_lshlrev_b64 v[32:33], v32, v[26:27]
	v_and_b32_e32 v32, 7, v32
	v_cmp_gt_u32_e32 vcc, 8, v27
	v_lshrrev_b32_e32 v31, 3, v27
	v_sub_u32_e32 v26, 29, v34
	v_cndmask_b32_e32 v27, v28, v32, vcc
	v_mov_b32_e32 v28, 24
	v_cndmask_b32_e32 v26, v31, v26, vcc
	v_lshlrev_b32_sdwa v28, v28, v22 dst_sel:DWORD dst_unused:UNUSED_PAD src0_sel:DWORD src1_sel:WORD_1
	v_bfrev_b32_e32 v31, 60
	v_lshlrev_b32_e32 v27, 20, v27
	v_and_b32_e32 v28, 0x80000000, v28
	v_lshl_add_u32 v26, v26, 23, v31
	v_or3_b32 v26, v28, v26, v27
	v_lshrrev_b32_e32 v31, 16, v26
.LBB815_318:
	s_or_b64 exec, exec, s[24:25]
.LBB815_319:
	s_or_b64 exec, exec, s[14:15]
.LBB815_320:
	s_or_b64 exec, exec, s[12:13]
	s_mov_b32 s11, 0xffffff
	v_cmp_lt_u32_e32 vcc, s11, v22
	v_mov_b32_e32 v27, 0
	v_mov_b32_e32 v32, 0
	s_and_saveexec_b64 s[12:13], vcc
	s_cbranch_execz .LBB815_326
; %bb.321:
	v_lshrrev_b32_e32 v26, 24, v22
	s_movk_i32 s11, 0x80
	v_cmp_ne_u32_e32 vcc, s11, v26
	v_mov_b32_e32 v32, 0xffff8000
	s_and_saveexec_b64 s[14:15], vcc
	s_cbranch_execz .LBB815_325
; %bb.322:
	v_bfe_u32 v28, v22, 24, 7
	s_movk_i32 s11, 0x7f
	v_cmp_ne_u32_e32 vcc, s11, v28
	v_mov_b32_e32 v32, 0x7f80
	s_and_saveexec_b64 s[24:25], vcc
	s_cbranch_execz .LBB815_324
; %bb.323:
	v_and_b32_e32 v34, 7, v26
	v_ffbh_u32_e32 v32, v34
	v_min_u32_e32 v36, 32, v32
	v_subrev_u32_e32 v32, 28, v36
	v_lshlrev_b64 v[32:33], v32, v[26:27]
	v_lshrrev_b32_e32 v35, 3, v28
	v_sub_u32_e32 v33, 29, v36
	v_and_b32_e32 v32, 7, v32
	v_cmp_gt_u32_e32 vcc, 8, v28
	v_cndmask_b32_e32 v28, v35, v33, vcc
	v_cndmask_b32_e32 v32, v34, v32, vcc
	v_lshlrev_b32_e32 v26, 24, v26
	v_bfrev_b32_e32 v33, 60
	v_lshlrev_b32_e32 v32, 20, v32
	v_and_b32_e32 v26, 0x80000000, v26
	v_lshl_add_u32 v28, v28, 23, v33
	v_or3_b32 v26, v26, v28, v32
	v_lshrrev_b32_e32 v32, 16, v26
.LBB815_324:
	s_or_b64 exec, exec, s[24:25]
.LBB815_325:
	s_or_b64 exec, exec, s[14:15]
.LBB815_326:
	s_or_b64 exec, exec, s[12:13]
	v_mov_b32_e32 v26, v23
	v_cmp_ne_u16_sdwa s[14:15], v23, v27 src0_sel:BYTE_0 src1_sel:DWORD
	s_and_saveexec_b64 s[12:13], s[14:15]
	s_cbranch_execz .LBB815_332
; %bb.327:
	s_movk_i32 s11, 0x80
	v_cmp_ne_u16_sdwa s[24:25], v23, s11 src0_sel:BYTE_0 src1_sel:DWORD
	v_mov_b32_e32 v28, 0xffff8000
	s_and_saveexec_b64 s[14:15], s[24:25]
	s_cbranch_execz .LBB815_331
; %bb.328:
	s_movk_i32 s11, 0x7f
	v_and_b32_e32 v33, 0x7f, v23
	v_cmp_ne_u32_e32 vcc, s11, v33
	v_mov_b32_e32 v28, 0x7f80
	s_and_saveexec_b64 s[24:25], vcc
	s_cbranch_execz .LBB815_330
; %bb.329:
	v_and_b32_e32 v28, 7, v23
	v_ffbh_u32_e32 v28, v28
	v_min_u32_e32 v28, 32, v28
	v_subrev_u32_e32 v35, 28, v28
	v_cmp_gt_u32_e32 vcc, 8, v33
	v_lshrrev_b32_e32 v34, 3, v33
	v_sub_u32_e32 v28, 29, v28
	v_cndmask_b32_e32 v33, 0, v35, vcc
	v_cndmask_b32_e32 v28, v34, v28, vcc
	v_lshlrev_b64 v[34:35], v33, v[26:27]
	v_lshlrev_b32_e32 v27, 20, v34
	v_lshlrev_b32_e32 v33, 24, v26
	v_bfrev_b32_e32 v34, 60
	v_and_b32_e32 v27, 0x700000, v27
	v_and_b32_e32 v33, 0x80000000, v33
	v_lshl_add_u32 v28, v28, 23, v34
	v_or3_b32 v27, v33, v28, v27
	v_lshrrev_b32_e32 v28, 16, v27
.LBB815_330:
	s_or_b64 exec, exec, s[24:25]
.LBB815_331:
	s_or_b64 exec, exec, s[14:15]
	v_mov_b32_e32 v27, v28
.LBB815_332:
	s_or_b64 exec, exec, s[12:13]
	v_lshrrev_b16_e32 v28, 8, v26
	v_cmp_ne_u16_e32 vcc, 0, v28
	v_mov_b32_e32 v34, 0
	v_mov_b32_e32 v33, 0
	s_and_saveexec_b64 s[12:13], vcc
	s_cbranch_execz .LBB815_338
; %bb.333:
	s_movk_i32 s11, 0x80
	v_cmp_ne_u16_e32 vcc, s11, v28
	v_mov_b32_e32 v33, 0xffff8000
	s_and_saveexec_b64 s[14:15], vcc
	s_cbranch_execz .LBB815_337
; %bb.334:
	s_movk_i32 s11, 0x7f
	v_and_b32_e32 v35, 0x7f, v28
	v_cmp_ne_u32_e32 vcc, s11, v35
	v_mov_b32_e32 v33, 0x7f80
	s_and_saveexec_b64 s[24:25], vcc
	s_cbranch_execz .LBB815_336
; %bb.335:
	v_and_b32_e32 v33, 7, v28
	v_ffbh_u32_e32 v36, v33
	v_min_u32_e32 v39, 32, v36
	v_subrev_u32_e32 v36, 28, v39
	v_lshlrev_b64 v[36:37], v36, v[28:29]
	v_lshrrev_b32_e32 v38, 3, v35
	v_sub_u32_e32 v28, 29, v39
	v_and_b32_e32 v36, 7, v36
	v_cmp_gt_u32_e32 vcc, 8, v35
	v_cndmask_b32_e32 v28, v38, v28, vcc
	v_cndmask_b32_e32 v33, v33, v36, vcc
	v_lshlrev_b32_e32 v26, 16, v26
	v_bfrev_b32_e32 v35, 60
	v_lshlrev_b32_e32 v33, 20, v33
	v_and_b32_e32 v26, 0x80000000, v26
	v_lshl_add_u32 v28, v28, 23, v35
	v_or3_b32 v26, v26, v28, v33
	v_lshrrev_b32_e32 v33, 16, v26
.LBB815_336:
	s_or_b64 exec, exec, s[24:25]
.LBB815_337:
	s_or_b64 exec, exec, s[14:15]
.LBB815_338:
	s_or_b64 exec, exec, s[12:13]
	s_movk_i32 s11, 0xff
	v_and_b32_sdwa v28, v23, s11 dst_sel:DWORD dst_unused:UNUSED_PAD src0_sel:WORD_1 src1_sel:DWORD
	v_lshrrev_b32_e32 v26, 16, v23
	v_cmp_ne_u16_e32 vcc, 0, v28
	s_and_saveexec_b64 s[12:13], vcc
	s_cbranch_execz .LBB815_344
; %bb.339:
	s_movk_i32 s11, 0x80
	v_cmp_ne_u16_e32 vcc, s11, v28
	v_mov_b32_e32 v34, 0xffff8000
	s_and_saveexec_b64 s[14:15], vcc
	s_cbranch_execz .LBB815_343
; %bb.340:
	v_bfe_u32 v28, v23, 16, 7
	s_movk_i32 s11, 0x7f
	v_cmp_ne_u32_e32 vcc, s11, v28
	v_mov_b32_e32 v34, 0x7f80
	s_and_saveexec_b64 s[24:25], vcc
	s_cbranch_execz .LBB815_342
; %bb.341:
	v_and_b32_e32 v36, 7, v26
	v_ffbh_u32_e32 v34, v36
	v_min_u32_e32 v38, 32, v34
	v_subrev_u32_e32 v34, 28, v38
	v_lshlrev_b64 v[34:35], v34, v[26:27]
	v_and_b32_e32 v34, 7, v34
	v_cmp_gt_u32_e32 vcc, 8, v28
	v_lshrrev_b32_e32 v37, 3, v28
	v_sub_u32_e32 v26, 29, v38
	v_cndmask_b32_e32 v28, v36, v34, vcc
	v_mov_b32_e32 v34, 24
	v_cndmask_b32_e32 v26, v37, v26, vcc
	v_lshlrev_b32_sdwa v34, v34, v23 dst_sel:DWORD dst_unused:UNUSED_PAD src0_sel:DWORD src1_sel:WORD_1
	v_bfrev_b32_e32 v35, 60
	v_lshlrev_b32_e32 v28, 20, v28
	v_and_b32_e32 v34, 0x80000000, v34
	v_lshl_add_u32 v26, v26, 23, v35
	v_or3_b32 v26, v34, v26, v28
	v_lshrrev_b32_e32 v34, 16, v26
.LBB815_342:
	s_or_b64 exec, exec, s[24:25]
.LBB815_343:
	s_or_b64 exec, exec, s[14:15]
.LBB815_344:
	s_or_b64 exec, exec, s[12:13]
	s_mov_b32 s12, -1
	s_mov_b32 s13, 0xffffff
	v_cmp_lt_u64_e32 vcc, s[12:13], v[22:23]
	v_mov_b32_e32 v28, 0
	v_mov_b32_e32 v26, 0
	s_and_saveexec_b64 s[12:13], vcc
	s_cbranch_execz .LBB815_350
; %bb.345:
	v_lshrrev_b32_e32 v22, 24, v23
	s_movk_i32 s11, 0x80
	v_cmp_ne_u32_e32 vcc, s11, v22
	v_mov_b32_e32 v26, 0xffff8000
	s_and_saveexec_b64 s[14:15], vcc
	s_cbranch_execz .LBB815_349
; %bb.346:
	v_bfe_u32 v23, v23, 24, 7
	s_movk_i32 s11, 0x7f
	v_cmp_ne_u32_e32 vcc, s11, v23
	v_mov_b32_e32 v26, 0x7f80
	s_and_saveexec_b64 s[24:25], vcc
	s_cbranch_execz .LBB815_348
; %bb.347:
	v_and_b32_e32 v26, 7, v22
	v_ffbh_u32_e32 v36, v26
	v_min_u32_e32 v38, 32, v36
	v_subrev_u32_e32 v36, 28, v38
	v_lshlrev_b64 v[36:37], v36, v[22:23]
	v_lshrrev_b32_e32 v35, 3, v23
	v_sub_u32_e32 v37, 29, v38
	v_and_b32_e32 v36, 7, v36
	v_cmp_gt_u32_e32 vcc, 8, v23
	v_cndmask_b32_e32 v23, v35, v37, vcc
	v_cndmask_b32_e32 v26, v26, v36, vcc
	v_lshlrev_b32_e32 v22, 24, v22
	v_bfrev_b32_e32 v35, 60
	v_lshlrev_b32_e32 v26, 20, v26
	v_and_b32_e32 v22, 0x80000000, v22
	v_lshl_add_u32 v23, v23, 23, v35
	v_or3_b32 v22, v22, v23, v26
	v_lshrrev_b32_e32 v26, 16, v22
.LBB815_348:
	s_or_b64 exec, exec, s[24:25]
.LBB815_349:
	s_or_b64 exec, exec, s[14:15]
.LBB815_350:
	s_or_b64 exec, exec, s[12:13]
	s_mov_b32 s11, 0x5040100
	v_perm_b32 v23, v32, v31, s11
	v_perm_b32 v22, v29, v30, s11
	;; [unrolled: 1-line block ×4, first 2 shown]
	v_mfma_f32_4x4x4bf16_1k a[0:3], v[2:3], v[22:23], a[0:3] cbsz:4 abid:6
	v_cmp_ne_u16_sdwa s[14:15], v24, v28 src0_sel:BYTE_0 src1_sel:DWORD
	v_mfma_f32_4x4x4bf16_1k a[0:3], v[4:5], v[30:31], a[0:3] cbsz:4 abid:6
	s_and_saveexec_b64 s[12:13], s[14:15]
	s_cbranch_execz .LBB815_356
; %bb.351:
	s_movk_i32 s11, 0x80
	v_cmp_ne_u16_sdwa s[24:25], v24, s11 src0_sel:BYTE_0 src1_sel:DWORD
	v_mov_b32_e32 v28, 0xffff8000
	s_and_saveexec_b64 s[14:15], s[24:25]
	s_cbranch_execz .LBB815_355
; %bb.352:
	s_movk_i32 s11, 0x7f
	v_and_b32_e32 v22, 0x7f, v24
	v_cmp_ne_u32_e32 vcc, s11, v22
	v_mov_b32_e32 v28, 0x7f80
	s_and_saveexec_b64 s[24:25], vcc
	s_cbranch_execz .LBB815_354
; %bb.353:
	v_and_b32_e32 v23, 7, v24
	v_ffbh_u32_e32 v23, v23
	v_min_u32_e32 v23, 32, v23
	v_subrev_u32_e32 v27, 28, v23
	v_cmp_gt_u32_e32 vcc, 8, v22
	v_lshrrev_b32_e32 v26, 3, v22
	v_sub_u32_e32 v23, 29, v23
	v_cndmask_b32_e32 v22, 0, v27, vcc
	v_cndmask_b32_e32 v26, v26, v23, vcc
	v_lshlrev_b64 v[22:23], v22, v[24:25]
	v_lshlrev_b32_e32 v22, 20, v22
	v_lshlrev_b32_e32 v23, 24, v24
	v_bfrev_b32_e32 v27, 60
	v_and_b32_e32 v22, 0x700000, v22
	v_and_b32_e32 v23, 0x80000000, v23
	v_lshl_add_u32 v26, v26, 23, v27
	v_or3_b32 v22, v23, v26, v22
	v_lshrrev_b32_e32 v28, 16, v22
.LBB815_354:
	s_or_b64 exec, exec, s[24:25]
.LBB815_355:
	s_or_b64 exec, exec, s[14:15]
.LBB815_356:
	s_or_b64 exec, exec, s[12:13]
	v_lshrrev_b16_e32 v22, 8, v24
	v_cmp_ne_u16_e32 vcc, 0, v22
	v_mov_b32_e32 v29, 0
	v_mov_b32_e32 v27, 0
	s_and_saveexec_b64 s[12:13], vcc
	s_cbranch_execz .LBB815_362
; %bb.357:
	s_movk_i32 s11, 0x80
	v_cmp_ne_u16_e32 vcc, s11, v22
	v_mov_b32_e32 v27, 0xffff8000
	s_and_saveexec_b64 s[14:15], vcc
	s_cbranch_execz .LBB815_361
; %bb.358:
	s_movk_i32 s11, 0x7f
	v_and_b32_e32 v23, 0x7f, v22
	v_cmp_ne_u32_e32 vcc, s11, v23
	v_mov_b32_e32 v27, 0x7f80
	s_and_saveexec_b64 s[24:25], vcc
	s_cbranch_execz .LBB815_360
; %bb.359:
	v_and_b32_e32 v30, 7, v22
	v_ffbh_u32_e32 v26, v30
	v_min_u32_e32 v32, 32, v26
	v_subrev_u32_e32 v26, 28, v32
	v_lshlrev_b64 v[26:27], v26, v[22:23]
	v_lshrrev_b32_e32 v31, 3, v23
	v_sub_u32_e32 v22, 29, v32
	v_and_b32_e32 v26, 7, v26
	v_cmp_gt_u32_e32 vcc, 8, v23
	v_cndmask_b32_e32 v22, v31, v22, vcc
	v_cndmask_b32_e32 v23, v30, v26, vcc
	v_lshlrev_b32_e32 v26, 16, v24
	v_bfrev_b32_e32 v27, 60
	v_lshlrev_b32_e32 v23, 20, v23
	v_and_b32_e32 v26, 0x80000000, v26
	v_lshl_add_u32 v22, v22, 23, v27
	v_or3_b32 v22, v26, v22, v23
	v_lshrrev_b32_e32 v27, 16, v22
.LBB815_360:
	s_or_b64 exec, exec, s[24:25]
.LBB815_361:
	s_or_b64 exec, exec, s[14:15]
.LBB815_362:
	s_or_b64 exec, exec, s[12:13]
	s_movk_i32 s11, 0xff
	v_and_b32_sdwa v23, v24, s11 dst_sel:DWORD dst_unused:UNUSED_PAD src0_sel:WORD_1 src1_sel:DWORD
	v_lshrrev_b32_e32 v22, 16, v24
	v_cmp_ne_u16_e32 vcc, 0, v23
	s_and_saveexec_b64 s[12:13], vcc
	s_cbranch_execz .LBB815_368
; %bb.363:
	s_movk_i32 s11, 0x80
	v_cmp_ne_u16_e32 vcc, s11, v23
	v_mov_b32_e32 v29, 0xffff8000
	s_and_saveexec_b64 s[14:15], vcc
	s_cbranch_execz .LBB815_367
; %bb.364:
	v_bfe_u32 v23, v24, 16, 7
	s_movk_i32 s11, 0x7f
	v_cmp_ne_u32_e32 vcc, s11, v23
	v_mov_b32_e32 v29, 0x7f80
	s_and_saveexec_b64 s[24:25], vcc
	s_cbranch_execz .LBB815_366
; %bb.365:
	v_and_b32_e32 v26, 7, v22
	v_ffbh_u32_e32 v30, v26
	v_min_u32_e32 v32, 32, v30
	v_subrev_u32_e32 v30, 28, v32
	v_lshlrev_b64 v[30:31], v30, v[22:23]
	v_and_b32_e32 v30, 7, v30
	v_cmp_gt_u32_e32 vcc, 8, v23
	v_lshrrev_b32_e32 v29, 3, v23
	v_sub_u32_e32 v22, 29, v32
	v_cndmask_b32_e32 v23, v26, v30, vcc
	v_mov_b32_e32 v26, 24
	v_cndmask_b32_e32 v22, v29, v22, vcc
	v_lshlrev_b32_sdwa v26, v26, v24 dst_sel:DWORD dst_unused:UNUSED_PAD src0_sel:DWORD src1_sel:WORD_1
	v_bfrev_b32_e32 v29, 60
	v_lshlrev_b32_e32 v23, 20, v23
	v_and_b32_e32 v26, 0x80000000, v26
	v_lshl_add_u32 v22, v22, 23, v29
	v_or3_b32 v22, v26, v22, v23
	v_lshrrev_b32_e32 v29, 16, v22
.LBB815_366:
	s_or_b64 exec, exec, s[24:25]
.LBB815_367:
	s_or_b64 exec, exec, s[14:15]
.LBB815_368:
	s_or_b64 exec, exec, s[12:13]
	s_mov_b32 s11, 0xffffff
	v_cmp_lt_u32_e32 vcc, s11, v24
	v_mov_b32_e32 v23, 0
	v_mov_b32_e32 v30, 0
	s_and_saveexec_b64 s[12:13], vcc
	s_cbranch_execz .LBB815_374
; %bb.369:
	v_lshrrev_b32_e32 v22, 24, v24
	s_movk_i32 s11, 0x80
	v_cmp_ne_u32_e32 vcc, s11, v22
	v_mov_b32_e32 v30, 0xffff8000
	s_and_saveexec_b64 s[14:15], vcc
	s_cbranch_execz .LBB815_373
; %bb.370:
	v_bfe_u32 v26, v24, 24, 7
	s_movk_i32 s11, 0x7f
	v_cmp_ne_u32_e32 vcc, s11, v26
	v_mov_b32_e32 v30, 0x7f80
	s_and_saveexec_b64 s[24:25], vcc
	s_cbranch_execz .LBB815_372
; %bb.371:
	v_and_b32_e32 v32, 7, v22
	v_ffbh_u32_e32 v30, v32
	v_min_u32_e32 v34, 32, v30
	v_subrev_u32_e32 v30, 28, v34
	v_lshlrev_b64 v[30:31], v30, v[22:23]
	v_lshrrev_b32_e32 v33, 3, v26
	v_sub_u32_e32 v31, 29, v34
	v_and_b32_e32 v30, 7, v30
	v_cmp_gt_u32_e32 vcc, 8, v26
	v_cndmask_b32_e32 v26, v33, v31, vcc
	v_cndmask_b32_e32 v30, v32, v30, vcc
	v_lshlrev_b32_e32 v22, 24, v22
	v_bfrev_b32_e32 v31, 60
	v_lshlrev_b32_e32 v30, 20, v30
	v_and_b32_e32 v22, 0x80000000, v22
	v_lshl_add_u32 v26, v26, 23, v31
	v_or3_b32 v22, v22, v26, v30
	v_lshrrev_b32_e32 v30, 16, v22
.LBB815_372:
	s_or_b64 exec, exec, s[24:25]
.LBB815_373:
	s_or_b64 exec, exec, s[14:15]
.LBB815_374:
	s_or_b64 exec, exec, s[12:13]
	v_mov_b32_e32 v22, v25
	v_cmp_ne_u16_sdwa s[14:15], v25, v23 src0_sel:BYTE_0 src1_sel:DWORD
	s_and_saveexec_b64 s[12:13], s[14:15]
	s_cbranch_execz .LBB815_380
; %bb.375:
	s_movk_i32 s11, 0x80
	v_cmp_ne_u16_sdwa s[24:25], v25, s11 src0_sel:BYTE_0 src1_sel:DWORD
	v_mov_b32_e32 v26, 0xffff8000
	s_and_saveexec_b64 s[14:15], s[24:25]
	s_cbranch_execz .LBB815_379
; %bb.376:
	s_movk_i32 s11, 0x7f
	v_and_b32_e32 v31, 0x7f, v25
	v_cmp_ne_u32_e32 vcc, s11, v31
	v_mov_b32_e32 v26, 0x7f80
	s_and_saveexec_b64 s[24:25], vcc
	s_cbranch_execz .LBB815_378
; %bb.377:
	v_and_b32_e32 v26, 7, v25
	v_ffbh_u32_e32 v26, v26
	v_min_u32_e32 v26, 32, v26
	v_subrev_u32_e32 v33, 28, v26
	v_cmp_gt_u32_e32 vcc, 8, v31
	v_lshrrev_b32_e32 v32, 3, v31
	v_sub_u32_e32 v26, 29, v26
	v_cndmask_b32_e32 v31, 0, v33, vcc
	v_cndmask_b32_e32 v26, v32, v26, vcc
	v_lshlrev_b64 v[32:33], v31, v[22:23]
	v_lshlrev_b32_e32 v23, 20, v32
	v_lshlrev_b32_e32 v31, 24, v22
	v_bfrev_b32_e32 v32, 60
	v_and_b32_e32 v23, 0x700000, v23
	v_and_b32_e32 v31, 0x80000000, v31
	v_lshl_add_u32 v26, v26, 23, v32
	v_or3_b32 v23, v31, v26, v23
	v_lshrrev_b32_e32 v26, 16, v23
.LBB815_378:
	s_or_b64 exec, exec, s[24:25]
.LBB815_379:
	s_or_b64 exec, exec, s[14:15]
	v_mov_b32_e32 v23, v26
.LBB815_380:
	s_or_b64 exec, exec, s[12:13]
	v_lshrrev_b16_e32 v26, 8, v22
	v_cmp_ne_u16_e32 vcc, 0, v26
	v_mov_b32_e32 v32, 0
	v_mov_b32_e32 v31, 0
	s_and_saveexec_b64 s[12:13], vcc
	s_cbranch_execz .LBB815_386
; %bb.381:
	s_movk_i32 s11, 0x80
	v_cmp_ne_u16_e32 vcc, s11, v26
	v_mov_b32_e32 v31, 0xffff8000
	s_and_saveexec_b64 s[14:15], vcc
	s_cbranch_execz .LBB815_385
; %bb.382:
	s_movk_i32 s11, 0x7f
	v_and_b32_e32 v33, 0x7f, v26
	v_cmp_ne_u32_e32 vcc, s11, v33
	v_mov_b32_e32 v31, 0x7f80
	s_and_saveexec_b64 s[24:25], vcc
	s_cbranch_execz .LBB815_384
; %bb.383:
	v_and_b32_e32 v31, 7, v26
	v_ffbh_u32_e32 v34, v31
	v_min_u32_e32 v37, 32, v34
	v_subrev_u32_e32 v34, 28, v37
	v_lshlrev_b64 v[34:35], v34, v[26:27]
	v_lshrrev_b32_e32 v36, 3, v33
	v_sub_u32_e32 v26, 29, v37
	v_and_b32_e32 v34, 7, v34
	v_cmp_gt_u32_e32 vcc, 8, v33
	v_cndmask_b32_e32 v26, v36, v26, vcc
	v_cndmask_b32_e32 v31, v31, v34, vcc
	v_lshlrev_b32_e32 v22, 16, v22
	v_bfrev_b32_e32 v33, 60
	v_lshlrev_b32_e32 v31, 20, v31
	v_and_b32_e32 v22, 0x80000000, v22
	v_lshl_add_u32 v26, v26, 23, v33
	v_or3_b32 v22, v22, v26, v31
	v_lshrrev_b32_e32 v31, 16, v22
.LBB815_384:
	s_or_b64 exec, exec, s[24:25]
.LBB815_385:
	s_or_b64 exec, exec, s[14:15]
.LBB815_386:
	s_or_b64 exec, exec, s[12:13]
	s_movk_i32 s11, 0xff
	v_and_b32_sdwa v26, v25, s11 dst_sel:DWORD dst_unused:UNUSED_PAD src0_sel:WORD_1 src1_sel:DWORD
	v_lshrrev_b32_e32 v22, 16, v25
	v_cmp_ne_u16_e32 vcc, 0, v26
	s_and_saveexec_b64 s[12:13], vcc
	s_cbranch_execz .LBB815_392
; %bb.387:
	s_movk_i32 s11, 0x80
	v_cmp_ne_u16_e32 vcc, s11, v26
	v_mov_b32_e32 v32, 0xffff8000
	s_and_saveexec_b64 s[14:15], vcc
	s_cbranch_execz .LBB815_391
; %bb.388:
	v_bfe_u32 v26, v25, 16, 7
	s_movk_i32 s11, 0x7f
	v_cmp_ne_u32_e32 vcc, s11, v26
	v_mov_b32_e32 v32, 0x7f80
	s_and_saveexec_b64 s[24:25], vcc
	s_cbranch_execz .LBB815_390
; %bb.389:
	v_and_b32_e32 v34, 7, v22
	v_ffbh_u32_e32 v32, v34
	v_min_u32_e32 v36, 32, v32
	v_subrev_u32_e32 v32, 28, v36
	v_lshlrev_b64 v[32:33], v32, v[22:23]
	v_and_b32_e32 v32, 7, v32
	v_cmp_gt_u32_e32 vcc, 8, v26
	v_lshrrev_b32_e32 v35, 3, v26
	v_sub_u32_e32 v22, 29, v36
	v_cndmask_b32_e32 v26, v34, v32, vcc
	v_mov_b32_e32 v32, 24
	v_cndmask_b32_e32 v22, v35, v22, vcc
	v_lshlrev_b32_sdwa v32, v32, v25 dst_sel:DWORD dst_unused:UNUSED_PAD src0_sel:DWORD src1_sel:WORD_1
	v_bfrev_b32_e32 v33, 60
	v_lshlrev_b32_e32 v26, 20, v26
	v_and_b32_e32 v32, 0x80000000, v32
	v_lshl_add_u32 v22, v22, 23, v33
	v_or3_b32 v22, v32, v22, v26
	v_lshrrev_b32_e32 v32, 16, v22
.LBB815_390:
	s_or_b64 exec, exec, s[24:25]
.LBB815_391:
	s_or_b64 exec, exec, s[14:15]
.LBB815_392:
	s_or_b64 exec, exec, s[12:13]
	s_mov_b32 s12, -1
	s_mov_b32 s13, 0xffffff
	v_cmp_lt_u64_e32 vcc, s[12:13], v[24:25]
	v_mov_b32_e32 v26, 0
	v_mov_b32_e32 v24, 0
	s_and_saveexec_b64 s[12:13], vcc
	s_cbranch_execz .LBB815_398
; %bb.393:
	v_lshrrev_b32_e32 v22, 24, v25
	s_movk_i32 s11, 0x80
	v_cmp_ne_u32_e32 vcc, s11, v22
	v_mov_b32_e32 v24, 0xffff8000
	s_and_saveexec_b64 s[14:15], vcc
	s_cbranch_execz .LBB815_397
; %bb.394:
	v_bfe_u32 v25, v25, 24, 7
	s_movk_i32 s11, 0x7f
	v_cmp_ne_u32_e32 vcc, s11, v25
	v_mov_b32_e32 v24, 0x7f80
	s_and_saveexec_b64 s[24:25], vcc
	s_cbranch_execz .LBB815_396
; %bb.395:
	v_and_b32_e32 v24, 7, v22
	v_ffbh_u32_e32 v34, v24
	v_min_u32_e32 v36, 32, v34
	v_subrev_u32_e32 v34, 28, v36
	v_lshlrev_b64 v[34:35], v34, v[22:23]
	v_lshrrev_b32_e32 v33, 3, v25
	v_sub_u32_e32 v35, 29, v36
	v_and_b32_e32 v34, 7, v34
	v_cmp_gt_u32_e32 vcc, 8, v25
	v_cndmask_b32_e32 v25, v33, v35, vcc
	v_cndmask_b32_e32 v24, v24, v34, vcc
	v_lshlrev_b32_e32 v22, 24, v22
	v_bfrev_b32_e32 v33, 60
	v_lshlrev_b32_e32 v24, 20, v24
	v_and_b32_e32 v22, 0x80000000, v22
	v_lshl_add_u32 v25, v25, 23, v33
	v_or3_b32 v22, v22, v25, v24
	v_lshrrev_b32_e32 v24, 16, v22
.LBB815_396:
	s_or_b64 exec, exec, s[24:25]
.LBB815_397:
	s_or_b64 exec, exec, s[14:15]
.LBB815_398:
	s_or_b64 exec, exec, s[12:13]
	s_mov_b32 s11, 0x5040100
	v_perm_b32 v29, v30, v29, s11
	v_perm_b32 v28, v27, v28, s11
	v_perm_b32 v25, v24, v32, s11
	v_perm_b32 v24, v31, v23, s11
	v_mfma_f32_4x4x4bf16_1k a[0:3], v[2:3], v[28:29], a[0:3] cbsz:4 abid:7
	s_waitcnt vmcnt(31)
	v_cmp_ne_u16_sdwa s[14:15], v18, v26 src0_sel:BYTE_0 src1_sel:DWORD
	v_mfma_f32_4x4x4bf16_1k a[0:3], v[4:5], v[24:25], a[0:3] cbsz:4 abid:7
	s_and_saveexec_b64 s[12:13], s[14:15]
	s_cbranch_execz .LBB815_404
; %bb.399:
	s_movk_i32 s11, 0x80
	v_cmp_ne_u16_sdwa s[24:25], v18, s11 src0_sel:BYTE_0 src1_sel:DWORD
	v_mov_b32_e32 v26, 0xffff8000
	s_and_saveexec_b64 s[14:15], s[24:25]
	s_cbranch_execz .LBB815_403
; %bb.400:
	s_movk_i32 s11, 0x7f
	v_and_b32_e32 v22, 0x7f, v18
	v_cmp_ne_u32_e32 vcc, s11, v22
	v_mov_b32_e32 v26, 0x7f80
	s_and_saveexec_b64 s[24:25], vcc
	s_cbranch_execz .LBB815_402
; %bb.401:
	v_and_b32_e32 v23, 7, v18
	v_ffbh_u32_e32 v23, v23
	v_min_u32_e32 v23, 32, v23
	v_subrev_u32_e32 v25, 28, v23
	v_cmp_gt_u32_e32 vcc, 8, v22
	v_lshrrev_b32_e32 v24, 3, v22
	v_sub_u32_e32 v23, 29, v23
	v_cndmask_b32_e32 v22, 0, v25, vcc
	v_cndmask_b32_e32 v24, v24, v23, vcc
	v_lshlrev_b64 v[22:23], v22, v[18:19]
	v_lshlrev_b32_e32 v22, 20, v22
	v_lshlrev_b32_e32 v23, 24, v18
	v_bfrev_b32_e32 v25, 60
	v_and_b32_e32 v22, 0x700000, v22
	v_and_b32_e32 v23, 0x80000000, v23
	v_lshl_add_u32 v24, v24, 23, v25
	v_or3_b32 v22, v23, v24, v22
	v_lshrrev_b32_e32 v26, 16, v22
.LBB815_402:
	s_or_b64 exec, exec, s[24:25]
.LBB815_403:
	s_or_b64 exec, exec, s[14:15]
.LBB815_404:
	s_or_b64 exec, exec, s[12:13]
	v_lshrrev_b16_e32 v22, 8, v18
	v_cmp_ne_u16_e32 vcc, 0, v22
	v_mov_b32_e32 v27, 0
	v_mov_b32_e32 v25, 0
	s_and_saveexec_b64 s[12:13], vcc
	s_cbranch_execz .LBB815_410
; %bb.405:
	s_movk_i32 s11, 0x80
	v_cmp_ne_u16_e32 vcc, s11, v22
	v_mov_b32_e32 v25, 0xffff8000
	s_and_saveexec_b64 s[14:15], vcc
	s_cbranch_execz .LBB815_409
; %bb.406:
	s_movk_i32 s11, 0x7f
	v_and_b32_e32 v23, 0x7f, v22
	v_cmp_ne_u32_e32 vcc, s11, v23
	v_mov_b32_e32 v25, 0x7f80
	s_and_saveexec_b64 s[24:25], vcc
	s_cbranch_execz .LBB815_408
; %bb.407:
	v_and_b32_e32 v28, 7, v22
	v_ffbh_u32_e32 v24, v28
	v_min_u32_e32 v30, 32, v24
	v_subrev_u32_e32 v24, 28, v30
	v_lshlrev_b64 v[24:25], v24, v[22:23]
	v_lshrrev_b32_e32 v29, 3, v23
	v_sub_u32_e32 v22, 29, v30
	v_and_b32_e32 v24, 7, v24
	v_cmp_gt_u32_e32 vcc, 8, v23
	v_cndmask_b32_e32 v22, v29, v22, vcc
	v_cndmask_b32_e32 v23, v28, v24, vcc
	v_lshlrev_b32_e32 v24, 16, v18
	v_bfrev_b32_e32 v25, 60
	v_lshlrev_b32_e32 v23, 20, v23
	v_and_b32_e32 v24, 0x80000000, v24
	v_lshl_add_u32 v22, v22, 23, v25
	v_or3_b32 v22, v24, v22, v23
	v_lshrrev_b32_e32 v25, 16, v22
.LBB815_408:
	s_or_b64 exec, exec, s[24:25]
.LBB815_409:
	s_or_b64 exec, exec, s[14:15]
.LBB815_410:
	s_or_b64 exec, exec, s[12:13]
	s_movk_i32 s11, 0xff
	v_and_b32_sdwa v23, v18, s11 dst_sel:DWORD dst_unused:UNUSED_PAD src0_sel:WORD_1 src1_sel:DWORD
	v_lshrrev_b32_e32 v22, 16, v18
	v_cmp_ne_u16_e32 vcc, 0, v23
	s_and_saveexec_b64 s[12:13], vcc
	s_cbranch_execz .LBB815_416
; %bb.411:
	s_movk_i32 s11, 0x80
	v_cmp_ne_u16_e32 vcc, s11, v23
	v_mov_b32_e32 v27, 0xffff8000
	s_and_saveexec_b64 s[14:15], vcc
	s_cbranch_execz .LBB815_415
; %bb.412:
	v_bfe_u32 v23, v18, 16, 7
	s_movk_i32 s11, 0x7f
	v_cmp_ne_u32_e32 vcc, s11, v23
	v_mov_b32_e32 v27, 0x7f80
	s_and_saveexec_b64 s[24:25], vcc
	s_cbranch_execz .LBB815_414
; %bb.413:
	v_and_b32_e32 v24, 7, v22
	v_ffbh_u32_e32 v28, v24
	v_min_u32_e32 v30, 32, v28
	v_subrev_u32_e32 v28, 28, v30
	v_lshlrev_b64 v[28:29], v28, v[22:23]
	v_and_b32_e32 v28, 7, v28
	v_cmp_gt_u32_e32 vcc, 8, v23
	v_lshrrev_b32_e32 v27, 3, v23
	v_sub_u32_e32 v22, 29, v30
	v_cndmask_b32_e32 v23, v24, v28, vcc
	v_mov_b32_e32 v24, 24
	v_cndmask_b32_e32 v22, v27, v22, vcc
	v_lshlrev_b32_sdwa v24, v24, v18 dst_sel:DWORD dst_unused:UNUSED_PAD src0_sel:DWORD src1_sel:WORD_1
	v_bfrev_b32_e32 v27, 60
	v_lshlrev_b32_e32 v23, 20, v23
	v_and_b32_e32 v24, 0x80000000, v24
	v_lshl_add_u32 v22, v22, 23, v27
	v_or3_b32 v22, v24, v22, v23
	v_lshrrev_b32_e32 v27, 16, v22
.LBB815_414:
	s_or_b64 exec, exec, s[24:25]
.LBB815_415:
	s_or_b64 exec, exec, s[14:15]
.LBB815_416:
	s_or_b64 exec, exec, s[12:13]
	s_mov_b32 s11, 0xffffff
	v_cmp_lt_u32_e32 vcc, s11, v18
	v_mov_b32_e32 v23, 0
	v_mov_b32_e32 v28, 0
	s_and_saveexec_b64 s[12:13], vcc
	s_cbranch_execz .LBB815_422
; %bb.417:
	v_lshrrev_b32_e32 v22, 24, v18
	s_movk_i32 s11, 0x80
	v_cmp_ne_u32_e32 vcc, s11, v22
	v_mov_b32_e32 v28, 0xffff8000
	s_and_saveexec_b64 s[14:15], vcc
	s_cbranch_execz .LBB815_421
; %bb.418:
	v_bfe_u32 v24, v18, 24, 7
	s_movk_i32 s11, 0x7f
	v_cmp_ne_u32_e32 vcc, s11, v24
	v_mov_b32_e32 v28, 0x7f80
	s_and_saveexec_b64 s[24:25], vcc
	s_cbranch_execz .LBB815_420
; %bb.419:
	v_and_b32_e32 v30, 7, v22
	v_ffbh_u32_e32 v28, v30
	v_min_u32_e32 v32, 32, v28
	v_subrev_u32_e32 v28, 28, v32
	v_lshlrev_b64 v[28:29], v28, v[22:23]
	v_lshrrev_b32_e32 v31, 3, v24
	v_sub_u32_e32 v29, 29, v32
	v_and_b32_e32 v28, 7, v28
	v_cmp_gt_u32_e32 vcc, 8, v24
	v_cndmask_b32_e32 v24, v31, v29, vcc
	v_cndmask_b32_e32 v28, v30, v28, vcc
	v_lshlrev_b32_e32 v22, 24, v22
	v_bfrev_b32_e32 v29, 60
	v_lshlrev_b32_e32 v28, 20, v28
	v_and_b32_e32 v22, 0x80000000, v22
	v_lshl_add_u32 v24, v24, 23, v29
	v_or3_b32 v22, v22, v24, v28
	v_lshrrev_b32_e32 v28, 16, v22
.LBB815_420:
	s_or_b64 exec, exec, s[24:25]
.LBB815_421:
	s_or_b64 exec, exec, s[14:15]
.LBB815_422:
	s_or_b64 exec, exec, s[12:13]
	v_mov_b32_e32 v22, v19
	v_cmp_ne_u16_sdwa s[14:15], v19, v23 src0_sel:BYTE_0 src1_sel:DWORD
	s_and_saveexec_b64 s[12:13], s[14:15]
	s_cbranch_execz .LBB815_428
; %bb.423:
	s_movk_i32 s11, 0x80
	v_cmp_ne_u16_sdwa s[24:25], v19, s11 src0_sel:BYTE_0 src1_sel:DWORD
	v_mov_b32_e32 v24, 0xffff8000
	s_and_saveexec_b64 s[14:15], s[24:25]
	s_cbranch_execz .LBB815_427
; %bb.424:
	s_movk_i32 s11, 0x7f
	v_and_b32_e32 v29, 0x7f, v19
	v_cmp_ne_u32_e32 vcc, s11, v29
	v_mov_b32_e32 v24, 0x7f80
	s_and_saveexec_b64 s[24:25], vcc
	s_cbranch_execz .LBB815_426
; %bb.425:
	v_and_b32_e32 v24, 7, v19
	v_ffbh_u32_e32 v24, v24
	v_min_u32_e32 v24, 32, v24
	v_subrev_u32_e32 v31, 28, v24
	v_cmp_gt_u32_e32 vcc, 8, v29
	v_lshrrev_b32_e32 v30, 3, v29
	v_sub_u32_e32 v24, 29, v24
	v_cndmask_b32_e32 v29, 0, v31, vcc
	v_cndmask_b32_e32 v24, v30, v24, vcc
	v_lshlrev_b64 v[30:31], v29, v[22:23]
	v_lshlrev_b32_e32 v23, 20, v30
	v_lshlrev_b32_e32 v29, 24, v22
	v_bfrev_b32_e32 v30, 60
	v_and_b32_e32 v23, 0x700000, v23
	v_and_b32_e32 v29, 0x80000000, v29
	v_lshl_add_u32 v24, v24, 23, v30
	v_or3_b32 v23, v29, v24, v23
	v_lshrrev_b32_e32 v24, 16, v23
.LBB815_426:
	s_or_b64 exec, exec, s[24:25]
.LBB815_427:
	s_or_b64 exec, exec, s[14:15]
	v_mov_b32_e32 v23, v24
.LBB815_428:
	s_or_b64 exec, exec, s[12:13]
	v_lshrrev_b16_e32 v24, 8, v22
	v_cmp_ne_u16_e32 vcc, 0, v24
	v_mov_b32_e32 v30, 0
	v_mov_b32_e32 v29, 0
	s_and_saveexec_b64 s[12:13], vcc
	s_cbranch_execz .LBB815_434
; %bb.429:
	s_movk_i32 s11, 0x80
	v_cmp_ne_u16_e32 vcc, s11, v24
	v_mov_b32_e32 v29, 0xffff8000
	s_and_saveexec_b64 s[14:15], vcc
	s_cbranch_execz .LBB815_433
; %bb.430:
	s_movk_i32 s11, 0x7f
	v_and_b32_e32 v31, 0x7f, v24
	v_cmp_ne_u32_e32 vcc, s11, v31
	v_mov_b32_e32 v29, 0x7f80
	s_and_saveexec_b64 s[24:25], vcc
	s_cbranch_execz .LBB815_432
; %bb.431:
	v_and_b32_e32 v29, 7, v24
	v_ffbh_u32_e32 v32, v29
	v_min_u32_e32 v35, 32, v32
	v_subrev_u32_e32 v32, 28, v35
	v_lshlrev_b64 v[32:33], v32, v[24:25]
	v_lshrrev_b32_e32 v34, 3, v31
	v_sub_u32_e32 v24, 29, v35
	v_and_b32_e32 v32, 7, v32
	v_cmp_gt_u32_e32 vcc, 8, v31
	v_cndmask_b32_e32 v24, v34, v24, vcc
	v_cndmask_b32_e32 v29, v29, v32, vcc
	v_lshlrev_b32_e32 v22, 16, v22
	v_bfrev_b32_e32 v31, 60
	v_lshlrev_b32_e32 v29, 20, v29
	v_and_b32_e32 v22, 0x80000000, v22
	v_lshl_add_u32 v24, v24, 23, v31
	v_or3_b32 v22, v22, v24, v29
	v_lshrrev_b32_e32 v29, 16, v22
.LBB815_432:
	s_or_b64 exec, exec, s[24:25]
.LBB815_433:
	s_or_b64 exec, exec, s[14:15]
.LBB815_434:
	s_or_b64 exec, exec, s[12:13]
	s_movk_i32 s11, 0xff
	v_and_b32_sdwa v24, v19, s11 dst_sel:DWORD dst_unused:UNUSED_PAD src0_sel:WORD_1 src1_sel:DWORD
	v_lshrrev_b32_e32 v22, 16, v19
	v_cmp_ne_u16_e32 vcc, 0, v24
	s_and_saveexec_b64 s[12:13], vcc
	s_cbranch_execz .LBB815_440
; %bb.435:
	s_movk_i32 s11, 0x80
	v_cmp_ne_u16_e32 vcc, s11, v24
	v_mov_b32_e32 v30, 0xffff8000
	s_and_saveexec_b64 s[14:15], vcc
	s_cbranch_execz .LBB815_439
; %bb.436:
	v_bfe_u32 v24, v19, 16, 7
	s_movk_i32 s11, 0x7f
	v_cmp_ne_u32_e32 vcc, s11, v24
	v_mov_b32_e32 v30, 0x7f80
	s_and_saveexec_b64 s[24:25], vcc
	s_cbranch_execz .LBB815_438
; %bb.437:
	v_and_b32_e32 v32, 7, v22
	v_ffbh_u32_e32 v30, v32
	v_min_u32_e32 v34, 32, v30
	v_subrev_u32_e32 v30, 28, v34
	v_lshlrev_b64 v[30:31], v30, v[22:23]
	v_and_b32_e32 v30, 7, v30
	v_cmp_gt_u32_e32 vcc, 8, v24
	v_lshrrev_b32_e32 v33, 3, v24
	v_sub_u32_e32 v22, 29, v34
	v_cndmask_b32_e32 v24, v32, v30, vcc
	v_mov_b32_e32 v30, 24
	v_cndmask_b32_e32 v22, v33, v22, vcc
	v_lshlrev_b32_sdwa v30, v30, v19 dst_sel:DWORD dst_unused:UNUSED_PAD src0_sel:DWORD src1_sel:WORD_1
	v_bfrev_b32_e32 v31, 60
	v_lshlrev_b32_e32 v24, 20, v24
	v_and_b32_e32 v30, 0x80000000, v30
	v_lshl_add_u32 v22, v22, 23, v31
	v_or3_b32 v22, v30, v22, v24
	v_lshrrev_b32_e32 v30, 16, v22
.LBB815_438:
	s_or_b64 exec, exec, s[24:25]
.LBB815_439:
	s_or_b64 exec, exec, s[14:15]
.LBB815_440:
	s_or_b64 exec, exec, s[12:13]
	s_mov_b32 s12, -1
	s_mov_b32 s13, 0xffffff
	v_cmp_lt_u64_e32 vcc, s[12:13], v[18:19]
	v_mov_b32_e32 v24, 0
	v_mov_b32_e32 v22, 0
	s_and_saveexec_b64 s[12:13], vcc
	s_cbranch_execz .LBB815_446
; %bb.441:
	v_lshrrev_b32_e32 v18, 24, v19
	s_movk_i32 s11, 0x80
	v_cmp_ne_u32_e32 vcc, s11, v18
	v_mov_b32_e32 v22, 0xffff8000
	s_and_saveexec_b64 s[14:15], vcc
	s_cbranch_execz .LBB815_445
; %bb.442:
	v_bfe_u32 v19, v19, 24, 7
	s_movk_i32 s11, 0x7f
	v_cmp_ne_u32_e32 vcc, s11, v19
	v_mov_b32_e32 v22, 0x7f80
	s_and_saveexec_b64 s[24:25], vcc
	s_cbranch_execz .LBB815_444
; %bb.443:
	v_and_b32_e32 v22, 7, v18
	v_ffbh_u32_e32 v32, v22
	v_min_u32_e32 v34, 32, v32
	v_subrev_u32_e32 v32, 28, v34
	v_lshlrev_b64 v[32:33], v32, v[18:19]
	v_lshrrev_b32_e32 v31, 3, v19
	v_sub_u32_e32 v33, 29, v34
	v_and_b32_e32 v32, 7, v32
	v_cmp_gt_u32_e32 vcc, 8, v19
	v_cndmask_b32_e32 v19, v31, v33, vcc
	v_cndmask_b32_e32 v22, v22, v32, vcc
	v_lshlrev_b32_e32 v18, 24, v18
	v_bfrev_b32_e32 v31, 60
	v_lshlrev_b32_e32 v22, 20, v22
	v_and_b32_e32 v18, 0x80000000, v18
	v_lshl_add_u32 v19, v19, 23, v31
	v_or3_b32 v18, v18, v19, v22
	v_lshrrev_b32_e32 v22, 16, v18
.LBB815_444:
	s_or_b64 exec, exec, s[24:25]
.LBB815_445:
	s_or_b64 exec, exec, s[14:15]
.LBB815_446:
	s_or_b64 exec, exec, s[12:13]
	s_mov_b32 s11, 0x5040100
	v_perm_b32 v19, v28, v27, s11
	v_perm_b32 v18, v25, v26, s11
	;; [unrolled: 1-line block ×4, first 2 shown]
	v_mfma_f32_4x4x4bf16_1k a[0:3], v[2:3], v[18:19], a[0:3] cbsz:4 abid:8
	v_cmp_ne_u16_sdwa s[14:15], v20, v24 src0_sel:BYTE_0 src1_sel:DWORD
	v_mfma_f32_4x4x4bf16_1k a[0:3], v[4:5], v[26:27], a[0:3] cbsz:4 abid:8
	s_and_saveexec_b64 s[12:13], s[14:15]
	s_cbranch_execz .LBB815_452
; %bb.447:
	s_movk_i32 s11, 0x80
	v_cmp_ne_u16_sdwa s[24:25], v20, s11 src0_sel:BYTE_0 src1_sel:DWORD
	v_mov_b32_e32 v24, 0xffff8000
	s_and_saveexec_b64 s[14:15], s[24:25]
	s_cbranch_execz .LBB815_451
; %bb.448:
	s_movk_i32 s11, 0x7f
	v_and_b32_e32 v18, 0x7f, v20
	v_cmp_ne_u32_e32 vcc, s11, v18
	v_mov_b32_e32 v24, 0x7f80
	s_and_saveexec_b64 s[24:25], vcc
	s_cbranch_execz .LBB815_450
; %bb.449:
	v_and_b32_e32 v19, 7, v20
	v_ffbh_u32_e32 v19, v19
	v_min_u32_e32 v19, 32, v19
	v_subrev_u32_e32 v23, 28, v19
	v_cmp_gt_u32_e32 vcc, 8, v18
	v_lshrrev_b32_e32 v22, 3, v18
	v_sub_u32_e32 v19, 29, v19
	v_cndmask_b32_e32 v18, 0, v23, vcc
	v_cndmask_b32_e32 v22, v22, v19, vcc
	v_lshlrev_b64 v[18:19], v18, v[20:21]
	v_lshlrev_b32_e32 v18, 20, v18
	v_lshlrev_b32_e32 v19, 24, v20
	v_bfrev_b32_e32 v23, 60
	v_and_b32_e32 v18, 0x700000, v18
	v_and_b32_e32 v19, 0x80000000, v19
	v_lshl_add_u32 v22, v22, 23, v23
	v_or3_b32 v18, v19, v22, v18
	v_lshrrev_b32_e32 v24, 16, v18
.LBB815_450:
	s_or_b64 exec, exec, s[24:25]
.LBB815_451:
	s_or_b64 exec, exec, s[14:15]
.LBB815_452:
	s_or_b64 exec, exec, s[12:13]
	v_lshrrev_b16_e32 v18, 8, v20
	v_cmp_ne_u16_e32 vcc, 0, v18
	v_mov_b32_e32 v25, 0
	v_mov_b32_e32 v23, 0
	s_and_saveexec_b64 s[12:13], vcc
	s_cbranch_execz .LBB815_458
; %bb.453:
	s_movk_i32 s11, 0x80
	v_cmp_ne_u16_e32 vcc, s11, v18
	v_mov_b32_e32 v23, 0xffff8000
	s_and_saveexec_b64 s[14:15], vcc
	s_cbranch_execz .LBB815_457
; %bb.454:
	s_movk_i32 s11, 0x7f
	v_and_b32_e32 v19, 0x7f, v18
	v_cmp_ne_u32_e32 vcc, s11, v19
	v_mov_b32_e32 v23, 0x7f80
	s_and_saveexec_b64 s[24:25], vcc
	s_cbranch_execz .LBB815_456
; %bb.455:
	v_and_b32_e32 v26, 7, v18
	v_ffbh_u32_e32 v22, v26
	v_min_u32_e32 v28, 32, v22
	v_subrev_u32_e32 v22, 28, v28
	v_lshlrev_b64 v[22:23], v22, v[18:19]
	v_lshrrev_b32_e32 v27, 3, v19
	v_sub_u32_e32 v18, 29, v28
	v_and_b32_e32 v22, 7, v22
	v_cmp_gt_u32_e32 vcc, 8, v19
	v_cndmask_b32_e32 v18, v27, v18, vcc
	v_cndmask_b32_e32 v19, v26, v22, vcc
	v_lshlrev_b32_e32 v22, 16, v20
	v_bfrev_b32_e32 v23, 60
	v_lshlrev_b32_e32 v19, 20, v19
	v_and_b32_e32 v22, 0x80000000, v22
	v_lshl_add_u32 v18, v18, 23, v23
	v_or3_b32 v18, v22, v18, v19
	v_lshrrev_b32_e32 v23, 16, v18
.LBB815_456:
	s_or_b64 exec, exec, s[24:25]
.LBB815_457:
	s_or_b64 exec, exec, s[14:15]
.LBB815_458:
	s_or_b64 exec, exec, s[12:13]
	s_movk_i32 s11, 0xff
	v_and_b32_sdwa v19, v20, s11 dst_sel:DWORD dst_unused:UNUSED_PAD src0_sel:WORD_1 src1_sel:DWORD
	v_lshrrev_b32_e32 v18, 16, v20
	v_cmp_ne_u16_e32 vcc, 0, v19
	s_and_saveexec_b64 s[12:13], vcc
	s_cbranch_execz .LBB815_464
; %bb.459:
	s_movk_i32 s11, 0x80
	v_cmp_ne_u16_e32 vcc, s11, v19
	v_mov_b32_e32 v25, 0xffff8000
	s_and_saveexec_b64 s[14:15], vcc
	s_cbranch_execz .LBB815_463
; %bb.460:
	v_bfe_u32 v19, v20, 16, 7
	s_movk_i32 s11, 0x7f
	v_cmp_ne_u32_e32 vcc, s11, v19
	v_mov_b32_e32 v25, 0x7f80
	s_and_saveexec_b64 s[24:25], vcc
	s_cbranch_execz .LBB815_462
; %bb.461:
	v_and_b32_e32 v22, 7, v18
	v_ffbh_u32_e32 v26, v22
	v_min_u32_e32 v28, 32, v26
	v_subrev_u32_e32 v26, 28, v28
	v_lshlrev_b64 v[26:27], v26, v[18:19]
	v_and_b32_e32 v26, 7, v26
	v_cmp_gt_u32_e32 vcc, 8, v19
	v_lshrrev_b32_e32 v25, 3, v19
	v_sub_u32_e32 v18, 29, v28
	v_cndmask_b32_e32 v19, v22, v26, vcc
	v_mov_b32_e32 v22, 24
	v_cndmask_b32_e32 v18, v25, v18, vcc
	v_lshlrev_b32_sdwa v22, v22, v20 dst_sel:DWORD dst_unused:UNUSED_PAD src0_sel:DWORD src1_sel:WORD_1
	v_bfrev_b32_e32 v25, 60
	v_lshlrev_b32_e32 v19, 20, v19
	v_and_b32_e32 v22, 0x80000000, v22
	v_lshl_add_u32 v18, v18, 23, v25
	v_or3_b32 v18, v22, v18, v19
	v_lshrrev_b32_e32 v25, 16, v18
.LBB815_462:
	s_or_b64 exec, exec, s[24:25]
.LBB815_463:
	s_or_b64 exec, exec, s[14:15]
.LBB815_464:
	s_or_b64 exec, exec, s[12:13]
	s_mov_b32 s11, 0xffffff
	v_cmp_lt_u32_e32 vcc, s11, v20
	v_mov_b32_e32 v19, 0
	v_mov_b32_e32 v26, 0
	s_and_saveexec_b64 s[12:13], vcc
	s_cbranch_execz .LBB815_470
; %bb.465:
	v_lshrrev_b32_e32 v18, 24, v20
	s_movk_i32 s11, 0x80
	v_cmp_ne_u32_e32 vcc, s11, v18
	v_mov_b32_e32 v26, 0xffff8000
	s_and_saveexec_b64 s[14:15], vcc
	s_cbranch_execz .LBB815_469
; %bb.466:
	v_bfe_u32 v22, v20, 24, 7
	s_movk_i32 s11, 0x7f
	v_cmp_ne_u32_e32 vcc, s11, v22
	v_mov_b32_e32 v26, 0x7f80
	s_and_saveexec_b64 s[24:25], vcc
	s_cbranch_execz .LBB815_468
; %bb.467:
	v_and_b32_e32 v28, 7, v18
	v_ffbh_u32_e32 v26, v28
	v_min_u32_e32 v30, 32, v26
	v_subrev_u32_e32 v26, 28, v30
	v_lshlrev_b64 v[26:27], v26, v[18:19]
	v_lshrrev_b32_e32 v29, 3, v22
	v_sub_u32_e32 v27, 29, v30
	v_and_b32_e32 v26, 7, v26
	v_cmp_gt_u32_e32 vcc, 8, v22
	v_cndmask_b32_e32 v22, v29, v27, vcc
	v_cndmask_b32_e32 v26, v28, v26, vcc
	v_lshlrev_b32_e32 v18, 24, v18
	v_bfrev_b32_e32 v27, 60
	v_lshlrev_b32_e32 v26, 20, v26
	v_and_b32_e32 v18, 0x80000000, v18
	v_lshl_add_u32 v22, v22, 23, v27
	v_or3_b32 v18, v18, v22, v26
	v_lshrrev_b32_e32 v26, 16, v18
.LBB815_468:
	s_or_b64 exec, exec, s[24:25]
.LBB815_469:
	s_or_b64 exec, exec, s[14:15]
.LBB815_470:
	s_or_b64 exec, exec, s[12:13]
	v_mov_b32_e32 v18, v21
	v_cmp_ne_u16_sdwa s[14:15], v21, v19 src0_sel:BYTE_0 src1_sel:DWORD
	s_and_saveexec_b64 s[12:13], s[14:15]
	s_cbranch_execz .LBB815_476
; %bb.471:
	s_movk_i32 s11, 0x80
	v_cmp_ne_u16_sdwa s[24:25], v21, s11 src0_sel:BYTE_0 src1_sel:DWORD
	v_mov_b32_e32 v22, 0xffff8000
	s_and_saveexec_b64 s[14:15], s[24:25]
	s_cbranch_execz .LBB815_475
; %bb.472:
	s_movk_i32 s11, 0x7f
	v_and_b32_e32 v27, 0x7f, v21
	v_cmp_ne_u32_e32 vcc, s11, v27
	v_mov_b32_e32 v22, 0x7f80
	s_and_saveexec_b64 s[24:25], vcc
	s_cbranch_execz .LBB815_474
; %bb.473:
	v_and_b32_e32 v22, 7, v21
	v_ffbh_u32_e32 v22, v22
	v_min_u32_e32 v22, 32, v22
	v_subrev_u32_e32 v29, 28, v22
	v_cmp_gt_u32_e32 vcc, 8, v27
	v_lshrrev_b32_e32 v28, 3, v27
	v_sub_u32_e32 v22, 29, v22
	v_cndmask_b32_e32 v27, 0, v29, vcc
	v_cndmask_b32_e32 v22, v28, v22, vcc
	v_lshlrev_b64 v[28:29], v27, v[18:19]
	v_lshlrev_b32_e32 v19, 20, v28
	v_lshlrev_b32_e32 v27, 24, v18
	v_bfrev_b32_e32 v28, 60
	v_and_b32_e32 v19, 0x700000, v19
	v_and_b32_e32 v27, 0x80000000, v27
	v_lshl_add_u32 v22, v22, 23, v28
	v_or3_b32 v19, v27, v22, v19
	v_lshrrev_b32_e32 v22, 16, v19
.LBB815_474:
	s_or_b64 exec, exec, s[24:25]
.LBB815_475:
	s_or_b64 exec, exec, s[14:15]
	v_mov_b32_e32 v19, v22
.LBB815_476:
	s_or_b64 exec, exec, s[12:13]
	v_lshrrev_b16_e32 v22, 8, v18
	v_cmp_ne_u16_e32 vcc, 0, v22
	v_mov_b32_e32 v28, 0
	v_mov_b32_e32 v27, 0
	s_and_saveexec_b64 s[12:13], vcc
	s_cbranch_execz .LBB815_482
; %bb.477:
	s_movk_i32 s11, 0x80
	v_cmp_ne_u16_e32 vcc, s11, v22
	v_mov_b32_e32 v27, 0xffff8000
	s_and_saveexec_b64 s[14:15], vcc
	s_cbranch_execz .LBB815_481
; %bb.478:
	s_movk_i32 s11, 0x7f
	v_and_b32_e32 v29, 0x7f, v22
	v_cmp_ne_u32_e32 vcc, s11, v29
	v_mov_b32_e32 v27, 0x7f80
	s_and_saveexec_b64 s[24:25], vcc
	s_cbranch_execz .LBB815_480
; %bb.479:
	v_and_b32_e32 v27, 7, v22
	v_ffbh_u32_e32 v30, v27
	v_min_u32_e32 v33, 32, v30
	v_subrev_u32_e32 v30, 28, v33
	v_lshlrev_b64 v[30:31], v30, v[22:23]
	v_lshrrev_b32_e32 v32, 3, v29
	v_sub_u32_e32 v22, 29, v33
	v_and_b32_e32 v30, 7, v30
	v_cmp_gt_u32_e32 vcc, 8, v29
	v_cndmask_b32_e32 v22, v32, v22, vcc
	v_cndmask_b32_e32 v27, v27, v30, vcc
	v_lshlrev_b32_e32 v18, 16, v18
	v_bfrev_b32_e32 v29, 60
	v_lshlrev_b32_e32 v27, 20, v27
	v_and_b32_e32 v18, 0x80000000, v18
	v_lshl_add_u32 v22, v22, 23, v29
	v_or3_b32 v18, v18, v22, v27
	v_lshrrev_b32_e32 v27, 16, v18
.LBB815_480:
	s_or_b64 exec, exec, s[24:25]
.LBB815_481:
	s_or_b64 exec, exec, s[14:15]
.LBB815_482:
	s_or_b64 exec, exec, s[12:13]
	s_movk_i32 s11, 0xff
	v_and_b32_sdwa v22, v21, s11 dst_sel:DWORD dst_unused:UNUSED_PAD src0_sel:WORD_1 src1_sel:DWORD
	v_lshrrev_b32_e32 v18, 16, v21
	v_cmp_ne_u16_e32 vcc, 0, v22
	s_and_saveexec_b64 s[12:13], vcc
	s_cbranch_execz .LBB815_488
; %bb.483:
	s_movk_i32 s11, 0x80
	v_cmp_ne_u16_e32 vcc, s11, v22
	v_mov_b32_e32 v28, 0xffff8000
	s_and_saveexec_b64 s[14:15], vcc
	s_cbranch_execz .LBB815_487
; %bb.484:
	v_bfe_u32 v22, v21, 16, 7
	s_movk_i32 s11, 0x7f
	v_cmp_ne_u32_e32 vcc, s11, v22
	v_mov_b32_e32 v28, 0x7f80
	s_and_saveexec_b64 s[24:25], vcc
	s_cbranch_execz .LBB815_486
; %bb.485:
	v_and_b32_e32 v30, 7, v18
	v_ffbh_u32_e32 v28, v30
	v_min_u32_e32 v32, 32, v28
	v_subrev_u32_e32 v28, 28, v32
	v_lshlrev_b64 v[28:29], v28, v[18:19]
	v_and_b32_e32 v28, 7, v28
	v_cmp_gt_u32_e32 vcc, 8, v22
	v_lshrrev_b32_e32 v31, 3, v22
	v_sub_u32_e32 v18, 29, v32
	v_cndmask_b32_e32 v22, v30, v28, vcc
	v_mov_b32_e32 v28, 24
	v_cndmask_b32_e32 v18, v31, v18, vcc
	v_lshlrev_b32_sdwa v28, v28, v21 dst_sel:DWORD dst_unused:UNUSED_PAD src0_sel:DWORD src1_sel:WORD_1
	v_bfrev_b32_e32 v29, 60
	v_lshlrev_b32_e32 v22, 20, v22
	v_and_b32_e32 v28, 0x80000000, v28
	v_lshl_add_u32 v18, v18, 23, v29
	v_or3_b32 v18, v28, v18, v22
	v_lshrrev_b32_e32 v28, 16, v18
.LBB815_486:
	s_or_b64 exec, exec, s[24:25]
.LBB815_487:
	s_or_b64 exec, exec, s[14:15]
.LBB815_488:
	s_or_b64 exec, exec, s[12:13]
	s_mov_b32 s12, -1
	s_mov_b32 s13, 0xffffff
	v_cmp_lt_u64_e32 vcc, s[12:13], v[20:21]
	v_mov_b32_e32 v22, 0
	v_mov_b32_e32 v20, 0
	s_and_saveexec_b64 s[12:13], vcc
	s_cbranch_execz .LBB815_494
; %bb.489:
	v_lshrrev_b32_e32 v18, 24, v21
	s_movk_i32 s11, 0x80
	v_cmp_ne_u32_e32 vcc, s11, v18
	v_mov_b32_e32 v20, 0xffff8000
	s_and_saveexec_b64 s[14:15], vcc
	s_cbranch_execz .LBB815_493
; %bb.490:
	v_bfe_u32 v21, v21, 24, 7
	s_movk_i32 s11, 0x7f
	v_cmp_ne_u32_e32 vcc, s11, v21
	v_mov_b32_e32 v20, 0x7f80
	s_and_saveexec_b64 s[24:25], vcc
	s_cbranch_execz .LBB815_492
; %bb.491:
	v_and_b32_e32 v20, 7, v18
	v_ffbh_u32_e32 v30, v20
	v_min_u32_e32 v32, 32, v30
	v_subrev_u32_e32 v30, 28, v32
	v_lshlrev_b64 v[30:31], v30, v[18:19]
	v_lshrrev_b32_e32 v29, 3, v21
	v_sub_u32_e32 v31, 29, v32
	v_and_b32_e32 v30, 7, v30
	v_cmp_gt_u32_e32 vcc, 8, v21
	v_cndmask_b32_e32 v21, v29, v31, vcc
	v_cndmask_b32_e32 v20, v20, v30, vcc
	v_lshlrev_b32_e32 v18, 24, v18
	v_bfrev_b32_e32 v29, 60
	v_lshlrev_b32_e32 v20, 20, v20
	v_and_b32_e32 v18, 0x80000000, v18
	v_lshl_add_u32 v21, v21, 23, v29
	v_or3_b32 v18, v18, v21, v20
	v_lshrrev_b32_e32 v20, 16, v18
.LBB815_492:
	s_or_b64 exec, exec, s[24:25]
.LBB815_493:
	s_or_b64 exec, exec, s[14:15]
.LBB815_494:
	s_or_b64 exec, exec, s[12:13]
	s_mov_b32 s11, 0x5040100
	v_perm_b32 v25, v26, v25, s11
	v_perm_b32 v24, v23, v24, s11
	;; [unrolled: 1-line block ×4, first 2 shown]
	v_mfma_f32_4x4x4bf16_1k a[0:3], v[2:3], v[24:25], a[0:3] cbsz:4 abid:9
	s_waitcnt vmcnt(30)
	v_cmp_ne_u16_sdwa s[14:15], v14, v22 src0_sel:BYTE_0 src1_sel:DWORD
	v_mfma_f32_4x4x4bf16_1k a[0:3], v[4:5], v[20:21], a[0:3] cbsz:4 abid:9
	s_and_saveexec_b64 s[12:13], s[14:15]
	s_cbranch_execz .LBB815_500
; %bb.495:
	s_movk_i32 s11, 0x80
	v_cmp_ne_u16_sdwa s[24:25], v14, s11 src0_sel:BYTE_0 src1_sel:DWORD
	v_mov_b32_e32 v22, 0xffff8000
	s_and_saveexec_b64 s[14:15], s[24:25]
	s_cbranch_execz .LBB815_499
; %bb.496:
	s_movk_i32 s11, 0x7f
	v_and_b32_e32 v18, 0x7f, v14
	v_cmp_ne_u32_e32 vcc, s11, v18
	v_mov_b32_e32 v22, 0x7f80
	s_and_saveexec_b64 s[24:25], vcc
	s_cbranch_execz .LBB815_498
; %bb.497:
	v_and_b32_e32 v19, 7, v14
	v_ffbh_u32_e32 v19, v19
	v_min_u32_e32 v19, 32, v19
	v_subrev_u32_e32 v21, 28, v19
	v_cmp_gt_u32_e32 vcc, 8, v18
	v_lshrrev_b32_e32 v20, 3, v18
	v_sub_u32_e32 v19, 29, v19
	v_cndmask_b32_e32 v18, 0, v21, vcc
	v_cndmask_b32_e32 v20, v20, v19, vcc
	v_lshlrev_b64 v[18:19], v18, v[14:15]
	v_lshlrev_b32_e32 v18, 20, v18
	v_lshlrev_b32_e32 v19, 24, v14
	v_bfrev_b32_e32 v21, 60
	v_and_b32_e32 v18, 0x700000, v18
	v_and_b32_e32 v19, 0x80000000, v19
	v_lshl_add_u32 v20, v20, 23, v21
	v_or3_b32 v18, v19, v20, v18
	v_lshrrev_b32_e32 v22, 16, v18
.LBB815_498:
	s_or_b64 exec, exec, s[24:25]
.LBB815_499:
	s_or_b64 exec, exec, s[14:15]
.LBB815_500:
	s_or_b64 exec, exec, s[12:13]
	v_lshrrev_b16_e32 v18, 8, v14
	v_cmp_ne_u16_e32 vcc, 0, v18
	v_mov_b32_e32 v23, 0
	v_mov_b32_e32 v21, 0
	s_and_saveexec_b64 s[12:13], vcc
	s_cbranch_execz .LBB815_506
; %bb.501:
	s_movk_i32 s11, 0x80
	v_cmp_ne_u16_e32 vcc, s11, v18
	v_mov_b32_e32 v21, 0xffff8000
	s_and_saveexec_b64 s[14:15], vcc
	s_cbranch_execz .LBB815_505
; %bb.502:
	s_movk_i32 s11, 0x7f
	v_and_b32_e32 v19, 0x7f, v18
	v_cmp_ne_u32_e32 vcc, s11, v19
	v_mov_b32_e32 v21, 0x7f80
	s_and_saveexec_b64 s[24:25], vcc
	s_cbranch_execz .LBB815_504
; %bb.503:
	v_and_b32_e32 v24, 7, v18
	v_ffbh_u32_e32 v20, v24
	v_min_u32_e32 v26, 32, v20
	v_subrev_u32_e32 v20, 28, v26
	v_lshlrev_b64 v[20:21], v20, v[18:19]
	v_lshrrev_b32_e32 v25, 3, v19
	v_sub_u32_e32 v18, 29, v26
	v_and_b32_e32 v20, 7, v20
	v_cmp_gt_u32_e32 vcc, 8, v19
	v_cndmask_b32_e32 v18, v25, v18, vcc
	v_cndmask_b32_e32 v19, v24, v20, vcc
	v_lshlrev_b32_e32 v20, 16, v14
	v_bfrev_b32_e32 v21, 60
	v_lshlrev_b32_e32 v19, 20, v19
	v_and_b32_e32 v20, 0x80000000, v20
	v_lshl_add_u32 v18, v18, 23, v21
	v_or3_b32 v18, v20, v18, v19
	v_lshrrev_b32_e32 v21, 16, v18
.LBB815_504:
	s_or_b64 exec, exec, s[24:25]
.LBB815_505:
	s_or_b64 exec, exec, s[14:15]
.LBB815_506:
	s_or_b64 exec, exec, s[12:13]
	s_movk_i32 s11, 0xff
	v_and_b32_sdwa v19, v14, s11 dst_sel:DWORD dst_unused:UNUSED_PAD src0_sel:WORD_1 src1_sel:DWORD
	v_lshrrev_b32_e32 v18, 16, v14
	v_cmp_ne_u16_e32 vcc, 0, v19
	s_and_saveexec_b64 s[12:13], vcc
	s_cbranch_execz .LBB815_512
; %bb.507:
	s_movk_i32 s11, 0x80
	v_cmp_ne_u16_e32 vcc, s11, v19
	v_mov_b32_e32 v23, 0xffff8000
	s_and_saveexec_b64 s[14:15], vcc
	s_cbranch_execz .LBB815_511
; %bb.508:
	v_bfe_u32 v19, v14, 16, 7
	s_movk_i32 s11, 0x7f
	v_cmp_ne_u32_e32 vcc, s11, v19
	v_mov_b32_e32 v23, 0x7f80
	s_and_saveexec_b64 s[24:25], vcc
	s_cbranch_execz .LBB815_510
; %bb.509:
	v_and_b32_e32 v20, 7, v18
	v_ffbh_u32_e32 v24, v20
	v_min_u32_e32 v26, 32, v24
	v_subrev_u32_e32 v24, 28, v26
	v_lshlrev_b64 v[24:25], v24, v[18:19]
	v_and_b32_e32 v24, 7, v24
	v_cmp_gt_u32_e32 vcc, 8, v19
	v_lshrrev_b32_e32 v23, 3, v19
	v_sub_u32_e32 v18, 29, v26
	v_cndmask_b32_e32 v19, v20, v24, vcc
	v_mov_b32_e32 v20, 24
	v_cndmask_b32_e32 v18, v23, v18, vcc
	v_lshlrev_b32_sdwa v20, v20, v14 dst_sel:DWORD dst_unused:UNUSED_PAD src0_sel:DWORD src1_sel:WORD_1
	v_bfrev_b32_e32 v23, 60
	v_lshlrev_b32_e32 v19, 20, v19
	v_and_b32_e32 v20, 0x80000000, v20
	v_lshl_add_u32 v18, v18, 23, v23
	v_or3_b32 v18, v20, v18, v19
	v_lshrrev_b32_e32 v23, 16, v18
.LBB815_510:
	s_or_b64 exec, exec, s[24:25]
.LBB815_511:
	s_or_b64 exec, exec, s[14:15]
.LBB815_512:
	s_or_b64 exec, exec, s[12:13]
	s_mov_b32 s11, 0xffffff
	v_cmp_lt_u32_e32 vcc, s11, v14
	v_mov_b32_e32 v19, 0
	v_mov_b32_e32 v24, 0
	s_and_saveexec_b64 s[12:13], vcc
	s_cbranch_execz .LBB815_518
; %bb.513:
	v_lshrrev_b32_e32 v18, 24, v14
	s_movk_i32 s11, 0x80
	v_cmp_ne_u32_e32 vcc, s11, v18
	v_mov_b32_e32 v24, 0xffff8000
	s_and_saveexec_b64 s[14:15], vcc
	s_cbranch_execz .LBB815_517
; %bb.514:
	v_bfe_u32 v20, v14, 24, 7
	s_movk_i32 s11, 0x7f
	v_cmp_ne_u32_e32 vcc, s11, v20
	v_mov_b32_e32 v24, 0x7f80
	s_and_saveexec_b64 s[24:25], vcc
	s_cbranch_execz .LBB815_516
; %bb.515:
	v_and_b32_e32 v26, 7, v18
	v_ffbh_u32_e32 v24, v26
	v_min_u32_e32 v28, 32, v24
	v_subrev_u32_e32 v24, 28, v28
	v_lshlrev_b64 v[24:25], v24, v[18:19]
	v_lshrrev_b32_e32 v27, 3, v20
	v_sub_u32_e32 v25, 29, v28
	v_and_b32_e32 v24, 7, v24
	v_cmp_gt_u32_e32 vcc, 8, v20
	v_cndmask_b32_e32 v20, v27, v25, vcc
	v_cndmask_b32_e32 v24, v26, v24, vcc
	v_lshlrev_b32_e32 v18, 24, v18
	v_bfrev_b32_e32 v25, 60
	v_lshlrev_b32_e32 v24, 20, v24
	v_and_b32_e32 v18, 0x80000000, v18
	v_lshl_add_u32 v20, v20, 23, v25
	v_or3_b32 v18, v18, v20, v24
	v_lshrrev_b32_e32 v24, 16, v18
.LBB815_516:
	s_or_b64 exec, exec, s[24:25]
.LBB815_517:
	s_or_b64 exec, exec, s[14:15]
.LBB815_518:
	s_or_b64 exec, exec, s[12:13]
	v_mov_b32_e32 v18, v15
	v_cmp_ne_u16_sdwa s[14:15], v15, v19 src0_sel:BYTE_0 src1_sel:DWORD
	s_and_saveexec_b64 s[12:13], s[14:15]
	s_cbranch_execz .LBB815_524
; %bb.519:
	s_movk_i32 s11, 0x80
	v_cmp_ne_u16_sdwa s[24:25], v15, s11 src0_sel:BYTE_0 src1_sel:DWORD
	v_mov_b32_e32 v20, 0xffff8000
	s_and_saveexec_b64 s[14:15], s[24:25]
	s_cbranch_execz .LBB815_523
; %bb.520:
	s_movk_i32 s11, 0x7f
	v_and_b32_e32 v25, 0x7f, v15
	v_cmp_ne_u32_e32 vcc, s11, v25
	v_mov_b32_e32 v20, 0x7f80
	s_and_saveexec_b64 s[24:25], vcc
	s_cbranch_execz .LBB815_522
; %bb.521:
	v_and_b32_e32 v20, 7, v15
	v_ffbh_u32_e32 v20, v20
	v_min_u32_e32 v20, 32, v20
	v_subrev_u32_e32 v27, 28, v20
	v_cmp_gt_u32_e32 vcc, 8, v25
	v_lshrrev_b32_e32 v26, 3, v25
	v_sub_u32_e32 v20, 29, v20
	v_cndmask_b32_e32 v25, 0, v27, vcc
	v_cndmask_b32_e32 v20, v26, v20, vcc
	v_lshlrev_b64 v[26:27], v25, v[18:19]
	v_lshlrev_b32_e32 v19, 20, v26
	v_lshlrev_b32_e32 v25, 24, v18
	v_bfrev_b32_e32 v26, 60
	v_and_b32_e32 v19, 0x700000, v19
	v_and_b32_e32 v25, 0x80000000, v25
	v_lshl_add_u32 v20, v20, 23, v26
	v_or3_b32 v19, v25, v20, v19
	v_lshrrev_b32_e32 v20, 16, v19
.LBB815_522:
	s_or_b64 exec, exec, s[24:25]
.LBB815_523:
	s_or_b64 exec, exec, s[14:15]
	v_mov_b32_e32 v19, v20
.LBB815_524:
	s_or_b64 exec, exec, s[12:13]
	v_lshrrev_b16_e32 v20, 8, v18
	v_cmp_ne_u16_e32 vcc, 0, v20
	v_mov_b32_e32 v26, 0
	v_mov_b32_e32 v25, 0
	s_and_saveexec_b64 s[12:13], vcc
	s_cbranch_execz .LBB815_530
; %bb.525:
	s_movk_i32 s11, 0x80
	v_cmp_ne_u16_e32 vcc, s11, v20
	v_mov_b32_e32 v25, 0xffff8000
	s_and_saveexec_b64 s[14:15], vcc
	s_cbranch_execz .LBB815_529
; %bb.526:
	s_movk_i32 s11, 0x7f
	v_and_b32_e32 v27, 0x7f, v20
	v_cmp_ne_u32_e32 vcc, s11, v27
	v_mov_b32_e32 v25, 0x7f80
	s_and_saveexec_b64 s[24:25], vcc
	s_cbranch_execz .LBB815_528
; %bb.527:
	v_and_b32_e32 v25, 7, v20
	v_ffbh_u32_e32 v28, v25
	v_min_u32_e32 v31, 32, v28
	v_subrev_u32_e32 v28, 28, v31
	v_lshlrev_b64 v[28:29], v28, v[20:21]
	v_lshrrev_b32_e32 v30, 3, v27
	v_sub_u32_e32 v20, 29, v31
	v_and_b32_e32 v28, 7, v28
	v_cmp_gt_u32_e32 vcc, 8, v27
	v_cndmask_b32_e32 v20, v30, v20, vcc
	v_cndmask_b32_e32 v25, v25, v28, vcc
	v_lshlrev_b32_e32 v18, 16, v18
	v_bfrev_b32_e32 v27, 60
	v_lshlrev_b32_e32 v25, 20, v25
	v_and_b32_e32 v18, 0x80000000, v18
	v_lshl_add_u32 v20, v20, 23, v27
	v_or3_b32 v18, v18, v20, v25
	v_lshrrev_b32_e32 v25, 16, v18
.LBB815_528:
	s_or_b64 exec, exec, s[24:25]
.LBB815_529:
	s_or_b64 exec, exec, s[14:15]
.LBB815_530:
	s_or_b64 exec, exec, s[12:13]
	s_movk_i32 s11, 0xff
	v_and_b32_sdwa v20, v15, s11 dst_sel:DWORD dst_unused:UNUSED_PAD src0_sel:WORD_1 src1_sel:DWORD
	v_lshrrev_b32_e32 v18, 16, v15
	v_cmp_ne_u16_e32 vcc, 0, v20
	s_and_saveexec_b64 s[12:13], vcc
	s_cbranch_execz .LBB815_536
; %bb.531:
	s_movk_i32 s11, 0x80
	v_cmp_ne_u16_e32 vcc, s11, v20
	v_mov_b32_e32 v26, 0xffff8000
	s_and_saveexec_b64 s[14:15], vcc
	s_cbranch_execz .LBB815_535
; %bb.532:
	v_bfe_u32 v20, v15, 16, 7
	s_movk_i32 s11, 0x7f
	v_cmp_ne_u32_e32 vcc, s11, v20
	v_mov_b32_e32 v26, 0x7f80
	s_and_saveexec_b64 s[24:25], vcc
	s_cbranch_execz .LBB815_534
; %bb.533:
	v_and_b32_e32 v28, 7, v18
	v_ffbh_u32_e32 v26, v28
	v_min_u32_e32 v30, 32, v26
	v_subrev_u32_e32 v26, 28, v30
	v_lshlrev_b64 v[26:27], v26, v[18:19]
	v_and_b32_e32 v26, 7, v26
	v_cmp_gt_u32_e32 vcc, 8, v20
	v_lshrrev_b32_e32 v29, 3, v20
	v_sub_u32_e32 v18, 29, v30
	v_cndmask_b32_e32 v20, v28, v26, vcc
	v_mov_b32_e32 v26, 24
	v_cndmask_b32_e32 v18, v29, v18, vcc
	v_lshlrev_b32_sdwa v26, v26, v15 dst_sel:DWORD dst_unused:UNUSED_PAD src0_sel:DWORD src1_sel:WORD_1
	v_bfrev_b32_e32 v27, 60
	v_lshlrev_b32_e32 v20, 20, v20
	v_and_b32_e32 v26, 0x80000000, v26
	v_lshl_add_u32 v18, v18, 23, v27
	v_or3_b32 v18, v26, v18, v20
	v_lshrrev_b32_e32 v26, 16, v18
.LBB815_534:
	s_or_b64 exec, exec, s[24:25]
.LBB815_535:
	s_or_b64 exec, exec, s[14:15]
.LBB815_536:
	s_or_b64 exec, exec, s[12:13]
	s_mov_b32 s12, -1
	s_mov_b32 s13, 0xffffff
	v_cmp_lt_u64_e32 vcc, s[12:13], v[14:15]
	v_mov_b32_e32 v20, 0
	v_mov_b32_e32 v18, 0
	s_and_saveexec_b64 s[12:13], vcc
	s_cbranch_execz .LBB815_542
; %bb.537:
	v_lshrrev_b32_e32 v14, 24, v15
	s_movk_i32 s11, 0x80
	v_cmp_ne_u32_e32 vcc, s11, v14
	v_mov_b32_e32 v18, 0xffff8000
	s_and_saveexec_b64 s[14:15], vcc
	s_cbranch_execz .LBB815_541
; %bb.538:
	v_bfe_u32 v15, v15, 24, 7
	s_movk_i32 s11, 0x7f
	v_cmp_ne_u32_e32 vcc, s11, v15
	v_mov_b32_e32 v18, 0x7f80
	s_and_saveexec_b64 s[24:25], vcc
	s_cbranch_execz .LBB815_540
; %bb.539:
	v_and_b32_e32 v18, 7, v14
	v_ffbh_u32_e32 v28, v18
	v_min_u32_e32 v30, 32, v28
	v_subrev_u32_e32 v28, 28, v30
	v_lshlrev_b64 v[28:29], v28, v[14:15]
	v_lshrrev_b32_e32 v27, 3, v15
	v_sub_u32_e32 v29, 29, v30
	v_and_b32_e32 v28, 7, v28
	v_cmp_gt_u32_e32 vcc, 8, v15
	v_cndmask_b32_e32 v15, v27, v29, vcc
	v_cndmask_b32_e32 v18, v18, v28, vcc
	v_lshlrev_b32_e32 v14, 24, v14
	v_bfrev_b32_e32 v27, 60
	v_lshlrev_b32_e32 v18, 20, v18
	v_and_b32_e32 v14, 0x80000000, v14
	v_lshl_add_u32 v15, v15, 23, v27
	v_or3_b32 v14, v14, v15, v18
	v_lshrrev_b32_e32 v18, 16, v14
.LBB815_540:
	s_or_b64 exec, exec, s[24:25]
.LBB815_541:
	s_or_b64 exec, exec, s[14:15]
.LBB815_542:
	s_or_b64 exec, exec, s[12:13]
	s_mov_b32 s11, 0x5040100
	v_perm_b32 v15, v24, v23, s11
	v_perm_b32 v14, v21, v22, s11
	v_perm_b32 v23, v18, v26, s11
	v_perm_b32 v22, v25, v19, s11
	v_mfma_f32_4x4x4bf16_1k a[0:3], v[2:3], v[14:15], a[0:3] cbsz:4 abid:10
	v_cmp_ne_u16_sdwa s[14:15], v16, v20 src0_sel:BYTE_0 src1_sel:DWORD
	v_mfma_f32_4x4x4bf16_1k a[0:3], v[4:5], v[22:23], a[0:3] cbsz:4 abid:10
	s_and_saveexec_b64 s[12:13], s[14:15]
	s_cbranch_execz .LBB815_548
; %bb.543:
	s_movk_i32 s11, 0x80
	v_cmp_ne_u16_sdwa s[24:25], v16, s11 src0_sel:BYTE_0 src1_sel:DWORD
	v_mov_b32_e32 v20, 0xffff8000
	s_and_saveexec_b64 s[14:15], s[24:25]
	s_cbranch_execz .LBB815_547
; %bb.544:
	s_movk_i32 s11, 0x7f
	v_and_b32_e32 v14, 0x7f, v16
	v_cmp_ne_u32_e32 vcc, s11, v14
	v_mov_b32_e32 v20, 0x7f80
	s_and_saveexec_b64 s[24:25], vcc
	s_cbranch_execz .LBB815_546
; %bb.545:
	v_and_b32_e32 v15, 7, v16
	v_ffbh_u32_e32 v15, v15
	v_min_u32_e32 v15, 32, v15
	v_subrev_u32_e32 v19, 28, v15
	v_cmp_gt_u32_e32 vcc, 8, v14
	v_lshrrev_b32_e32 v18, 3, v14
	v_sub_u32_e32 v15, 29, v15
	v_cndmask_b32_e32 v14, 0, v19, vcc
	v_cndmask_b32_e32 v18, v18, v15, vcc
	v_lshlrev_b64 v[14:15], v14, v[16:17]
	v_lshlrev_b32_e32 v14, 20, v14
	v_lshlrev_b32_e32 v15, 24, v16
	v_bfrev_b32_e32 v19, 60
	v_and_b32_e32 v14, 0x700000, v14
	v_and_b32_e32 v15, 0x80000000, v15
	v_lshl_add_u32 v18, v18, 23, v19
	v_or3_b32 v14, v15, v18, v14
	v_lshrrev_b32_e32 v20, 16, v14
.LBB815_546:
	s_or_b64 exec, exec, s[24:25]
.LBB815_547:
	s_or_b64 exec, exec, s[14:15]
.LBB815_548:
	s_or_b64 exec, exec, s[12:13]
	v_lshrrev_b16_e32 v14, 8, v16
	v_cmp_ne_u16_e32 vcc, 0, v14
	v_mov_b32_e32 v21, 0
	v_mov_b32_e32 v19, 0
	s_and_saveexec_b64 s[12:13], vcc
	s_cbranch_execz .LBB815_554
; %bb.549:
	s_movk_i32 s11, 0x80
	v_cmp_ne_u16_e32 vcc, s11, v14
	v_mov_b32_e32 v19, 0xffff8000
	s_and_saveexec_b64 s[14:15], vcc
	s_cbranch_execz .LBB815_553
; %bb.550:
	s_movk_i32 s11, 0x7f
	v_and_b32_e32 v15, 0x7f, v14
	v_cmp_ne_u32_e32 vcc, s11, v15
	v_mov_b32_e32 v19, 0x7f80
	s_and_saveexec_b64 s[24:25], vcc
	s_cbranch_execz .LBB815_552
; %bb.551:
	v_and_b32_e32 v22, 7, v14
	v_ffbh_u32_e32 v18, v22
	v_min_u32_e32 v24, 32, v18
	v_subrev_u32_e32 v18, 28, v24
	v_lshlrev_b64 v[18:19], v18, v[14:15]
	v_lshrrev_b32_e32 v23, 3, v15
	v_sub_u32_e32 v14, 29, v24
	v_and_b32_e32 v18, 7, v18
	v_cmp_gt_u32_e32 vcc, 8, v15
	v_cndmask_b32_e32 v14, v23, v14, vcc
	v_cndmask_b32_e32 v15, v22, v18, vcc
	v_lshlrev_b32_e32 v18, 16, v16
	v_bfrev_b32_e32 v19, 60
	v_lshlrev_b32_e32 v15, 20, v15
	v_and_b32_e32 v18, 0x80000000, v18
	v_lshl_add_u32 v14, v14, 23, v19
	v_or3_b32 v14, v18, v14, v15
	v_lshrrev_b32_e32 v19, 16, v14
.LBB815_552:
	s_or_b64 exec, exec, s[24:25]
.LBB815_553:
	s_or_b64 exec, exec, s[14:15]
.LBB815_554:
	s_or_b64 exec, exec, s[12:13]
	s_movk_i32 s11, 0xff
	v_and_b32_sdwa v15, v16, s11 dst_sel:DWORD dst_unused:UNUSED_PAD src0_sel:WORD_1 src1_sel:DWORD
	v_lshrrev_b32_e32 v14, 16, v16
	v_cmp_ne_u16_e32 vcc, 0, v15
	s_and_saveexec_b64 s[12:13], vcc
	s_cbranch_execz .LBB815_560
; %bb.555:
	s_movk_i32 s11, 0x80
	v_cmp_ne_u16_e32 vcc, s11, v15
	v_mov_b32_e32 v21, 0xffff8000
	s_and_saveexec_b64 s[14:15], vcc
	s_cbranch_execz .LBB815_559
; %bb.556:
	v_bfe_u32 v15, v16, 16, 7
	s_movk_i32 s11, 0x7f
	v_cmp_ne_u32_e32 vcc, s11, v15
	v_mov_b32_e32 v21, 0x7f80
	s_and_saveexec_b64 s[24:25], vcc
	s_cbranch_execz .LBB815_558
; %bb.557:
	v_and_b32_e32 v18, 7, v14
	v_ffbh_u32_e32 v22, v18
	v_min_u32_e32 v24, 32, v22
	v_subrev_u32_e32 v22, 28, v24
	v_lshlrev_b64 v[22:23], v22, v[14:15]
	v_and_b32_e32 v22, 7, v22
	v_cmp_gt_u32_e32 vcc, 8, v15
	v_lshrrev_b32_e32 v21, 3, v15
	v_sub_u32_e32 v14, 29, v24
	v_cndmask_b32_e32 v15, v18, v22, vcc
	v_mov_b32_e32 v18, 24
	v_cndmask_b32_e32 v14, v21, v14, vcc
	v_lshlrev_b32_sdwa v18, v18, v16 dst_sel:DWORD dst_unused:UNUSED_PAD src0_sel:DWORD src1_sel:WORD_1
	v_bfrev_b32_e32 v21, 60
	v_lshlrev_b32_e32 v15, 20, v15
	v_and_b32_e32 v18, 0x80000000, v18
	v_lshl_add_u32 v14, v14, 23, v21
	v_or3_b32 v14, v18, v14, v15
	v_lshrrev_b32_e32 v21, 16, v14
.LBB815_558:
	s_or_b64 exec, exec, s[24:25]
.LBB815_559:
	s_or_b64 exec, exec, s[14:15]
.LBB815_560:
	s_or_b64 exec, exec, s[12:13]
	s_mov_b32 s11, 0xffffff
	v_cmp_lt_u32_e32 vcc, s11, v16
	v_mov_b32_e32 v15, 0
	v_mov_b32_e32 v22, 0
	s_and_saveexec_b64 s[12:13], vcc
	s_cbranch_execz .LBB815_566
; %bb.561:
	v_lshrrev_b32_e32 v14, 24, v16
	s_movk_i32 s11, 0x80
	v_cmp_ne_u32_e32 vcc, s11, v14
	v_mov_b32_e32 v22, 0xffff8000
	s_and_saveexec_b64 s[14:15], vcc
	s_cbranch_execz .LBB815_565
; %bb.562:
	v_bfe_u32 v18, v16, 24, 7
	s_movk_i32 s11, 0x7f
	v_cmp_ne_u32_e32 vcc, s11, v18
	v_mov_b32_e32 v22, 0x7f80
	s_and_saveexec_b64 s[24:25], vcc
	s_cbranch_execz .LBB815_564
; %bb.563:
	v_and_b32_e32 v24, 7, v14
	v_ffbh_u32_e32 v22, v24
	v_min_u32_e32 v26, 32, v22
	v_subrev_u32_e32 v22, 28, v26
	v_lshlrev_b64 v[22:23], v22, v[14:15]
	v_lshrrev_b32_e32 v25, 3, v18
	v_sub_u32_e32 v23, 29, v26
	v_and_b32_e32 v22, 7, v22
	v_cmp_gt_u32_e32 vcc, 8, v18
	v_cndmask_b32_e32 v18, v25, v23, vcc
	v_cndmask_b32_e32 v22, v24, v22, vcc
	v_lshlrev_b32_e32 v14, 24, v14
	v_bfrev_b32_e32 v23, 60
	v_lshlrev_b32_e32 v22, 20, v22
	v_and_b32_e32 v14, 0x80000000, v14
	v_lshl_add_u32 v18, v18, 23, v23
	v_or3_b32 v14, v14, v18, v22
	v_lshrrev_b32_e32 v22, 16, v14
.LBB815_564:
	s_or_b64 exec, exec, s[24:25]
.LBB815_565:
	s_or_b64 exec, exec, s[14:15]
.LBB815_566:
	s_or_b64 exec, exec, s[12:13]
	v_mov_b32_e32 v14, v17
	v_cmp_ne_u16_sdwa s[14:15], v17, v15 src0_sel:BYTE_0 src1_sel:DWORD
	s_and_saveexec_b64 s[12:13], s[14:15]
	s_cbranch_execz .LBB815_572
; %bb.567:
	s_movk_i32 s11, 0x80
	v_cmp_ne_u16_sdwa s[24:25], v17, s11 src0_sel:BYTE_0 src1_sel:DWORD
	v_mov_b32_e32 v18, 0xffff8000
	s_and_saveexec_b64 s[14:15], s[24:25]
	s_cbranch_execz .LBB815_571
; %bb.568:
	s_movk_i32 s11, 0x7f
	v_and_b32_e32 v23, 0x7f, v17
	v_cmp_ne_u32_e32 vcc, s11, v23
	v_mov_b32_e32 v18, 0x7f80
	s_and_saveexec_b64 s[24:25], vcc
	s_cbranch_execz .LBB815_570
; %bb.569:
	v_and_b32_e32 v18, 7, v17
	v_ffbh_u32_e32 v18, v18
	v_min_u32_e32 v18, 32, v18
	v_subrev_u32_e32 v25, 28, v18
	v_cmp_gt_u32_e32 vcc, 8, v23
	v_lshrrev_b32_e32 v24, 3, v23
	v_sub_u32_e32 v18, 29, v18
	v_cndmask_b32_e32 v23, 0, v25, vcc
	v_cndmask_b32_e32 v18, v24, v18, vcc
	v_lshlrev_b64 v[24:25], v23, v[14:15]
	v_lshlrev_b32_e32 v15, 20, v24
	v_lshlrev_b32_e32 v23, 24, v14
	v_bfrev_b32_e32 v24, 60
	v_and_b32_e32 v15, 0x700000, v15
	v_and_b32_e32 v23, 0x80000000, v23
	v_lshl_add_u32 v18, v18, 23, v24
	v_or3_b32 v15, v23, v18, v15
	v_lshrrev_b32_e32 v18, 16, v15
.LBB815_570:
	s_or_b64 exec, exec, s[24:25]
.LBB815_571:
	s_or_b64 exec, exec, s[14:15]
	v_mov_b32_e32 v15, v18
.LBB815_572:
	s_or_b64 exec, exec, s[12:13]
	v_lshrrev_b16_e32 v18, 8, v14
	v_cmp_ne_u16_e32 vcc, 0, v18
	v_mov_b32_e32 v24, 0
	v_mov_b32_e32 v23, 0
	s_and_saveexec_b64 s[12:13], vcc
	s_cbranch_execz .LBB815_578
; %bb.573:
	s_movk_i32 s11, 0x80
	v_cmp_ne_u16_e32 vcc, s11, v18
	v_mov_b32_e32 v23, 0xffff8000
	s_and_saveexec_b64 s[14:15], vcc
	s_cbranch_execz .LBB815_577
; %bb.574:
	s_movk_i32 s11, 0x7f
	v_and_b32_e32 v25, 0x7f, v18
	v_cmp_ne_u32_e32 vcc, s11, v25
	v_mov_b32_e32 v23, 0x7f80
	s_and_saveexec_b64 s[24:25], vcc
	s_cbranch_execz .LBB815_576
; %bb.575:
	v_and_b32_e32 v23, 7, v18
	v_ffbh_u32_e32 v26, v23
	v_min_u32_e32 v29, 32, v26
	v_subrev_u32_e32 v26, 28, v29
	v_lshlrev_b64 v[26:27], v26, v[18:19]
	v_lshrrev_b32_e32 v28, 3, v25
	v_sub_u32_e32 v18, 29, v29
	v_and_b32_e32 v26, 7, v26
	v_cmp_gt_u32_e32 vcc, 8, v25
	v_cndmask_b32_e32 v18, v28, v18, vcc
	v_cndmask_b32_e32 v23, v23, v26, vcc
	v_lshlrev_b32_e32 v14, 16, v14
	v_bfrev_b32_e32 v25, 60
	v_lshlrev_b32_e32 v23, 20, v23
	v_and_b32_e32 v14, 0x80000000, v14
	v_lshl_add_u32 v18, v18, 23, v25
	v_or3_b32 v14, v14, v18, v23
	v_lshrrev_b32_e32 v23, 16, v14
.LBB815_576:
	s_or_b64 exec, exec, s[24:25]
.LBB815_577:
	s_or_b64 exec, exec, s[14:15]
.LBB815_578:
	s_or_b64 exec, exec, s[12:13]
	s_movk_i32 s11, 0xff
	v_and_b32_sdwa v18, v17, s11 dst_sel:DWORD dst_unused:UNUSED_PAD src0_sel:WORD_1 src1_sel:DWORD
	v_lshrrev_b32_e32 v14, 16, v17
	v_cmp_ne_u16_e32 vcc, 0, v18
	s_and_saveexec_b64 s[12:13], vcc
	s_cbranch_execz .LBB815_584
; %bb.579:
	s_movk_i32 s11, 0x80
	v_cmp_ne_u16_e32 vcc, s11, v18
	v_mov_b32_e32 v24, 0xffff8000
	s_and_saveexec_b64 s[14:15], vcc
	s_cbranch_execz .LBB815_583
; %bb.580:
	v_bfe_u32 v18, v17, 16, 7
	s_movk_i32 s11, 0x7f
	v_cmp_ne_u32_e32 vcc, s11, v18
	v_mov_b32_e32 v24, 0x7f80
	s_and_saveexec_b64 s[24:25], vcc
	s_cbranch_execz .LBB815_582
; %bb.581:
	v_and_b32_e32 v26, 7, v14
	v_ffbh_u32_e32 v24, v26
	v_min_u32_e32 v28, 32, v24
	v_subrev_u32_e32 v24, 28, v28
	v_lshlrev_b64 v[24:25], v24, v[14:15]
	v_and_b32_e32 v24, 7, v24
	v_cmp_gt_u32_e32 vcc, 8, v18
	v_lshrrev_b32_e32 v27, 3, v18
	v_sub_u32_e32 v14, 29, v28
	v_cndmask_b32_e32 v18, v26, v24, vcc
	v_mov_b32_e32 v24, 24
	v_cndmask_b32_e32 v14, v27, v14, vcc
	v_lshlrev_b32_sdwa v24, v24, v17 dst_sel:DWORD dst_unused:UNUSED_PAD src0_sel:DWORD src1_sel:WORD_1
	v_bfrev_b32_e32 v25, 60
	v_lshlrev_b32_e32 v18, 20, v18
	v_and_b32_e32 v24, 0x80000000, v24
	v_lshl_add_u32 v14, v14, 23, v25
	v_or3_b32 v14, v24, v14, v18
	v_lshrrev_b32_e32 v24, 16, v14
.LBB815_582:
	s_or_b64 exec, exec, s[24:25]
.LBB815_583:
	s_or_b64 exec, exec, s[14:15]
.LBB815_584:
	s_or_b64 exec, exec, s[12:13]
	s_mov_b32 s12, -1
	s_mov_b32 s13, 0xffffff
	v_cmp_lt_u64_e32 vcc, s[12:13], v[16:17]
	v_mov_b32_e32 v18, 0
	v_mov_b32_e32 v16, 0
	s_and_saveexec_b64 s[12:13], vcc
	s_cbranch_execz .LBB815_590
; %bb.585:
	v_lshrrev_b32_e32 v14, 24, v17
	s_movk_i32 s11, 0x80
	v_cmp_ne_u32_e32 vcc, s11, v14
	v_mov_b32_e32 v16, 0xffff8000
	s_and_saveexec_b64 s[14:15], vcc
	s_cbranch_execz .LBB815_589
; %bb.586:
	v_bfe_u32 v17, v17, 24, 7
	s_movk_i32 s11, 0x7f
	v_cmp_ne_u32_e32 vcc, s11, v17
	v_mov_b32_e32 v16, 0x7f80
	s_and_saveexec_b64 s[24:25], vcc
	s_cbranch_execz .LBB815_588
; %bb.587:
	v_and_b32_e32 v16, 7, v14
	v_ffbh_u32_e32 v26, v16
	v_min_u32_e32 v28, 32, v26
	v_subrev_u32_e32 v26, 28, v28
	v_lshlrev_b64 v[26:27], v26, v[14:15]
	v_lshrrev_b32_e32 v25, 3, v17
	v_sub_u32_e32 v27, 29, v28
	v_and_b32_e32 v26, 7, v26
	v_cmp_gt_u32_e32 vcc, 8, v17
	v_cndmask_b32_e32 v17, v25, v27, vcc
	v_cndmask_b32_e32 v16, v16, v26, vcc
	v_lshlrev_b32_e32 v14, 24, v14
	v_bfrev_b32_e32 v25, 60
	v_lshlrev_b32_e32 v16, 20, v16
	v_and_b32_e32 v14, 0x80000000, v14
	v_lshl_add_u32 v17, v17, 23, v25
	v_or3_b32 v14, v14, v17, v16
	v_lshrrev_b32_e32 v16, 16, v14
.LBB815_588:
	s_or_b64 exec, exec, s[24:25]
.LBB815_589:
	s_or_b64 exec, exec, s[14:15]
.LBB815_590:
	s_or_b64 exec, exec, s[12:13]
	s_mov_b32 s11, 0x5040100
	v_perm_b32 v21, v22, v21, s11
	v_perm_b32 v20, v19, v20, s11
	;; [unrolled: 1-line block ×4, first 2 shown]
	v_mfma_f32_4x4x4bf16_1k a[0:3], v[2:3], v[20:21], a[0:3] cbsz:4 abid:11
	s_waitcnt vmcnt(25)
	v_cmp_ne_u16_sdwa s[14:15], v10, v18 src0_sel:BYTE_0 src1_sel:DWORD
	v_mfma_f32_4x4x4bf16_1k a[0:3], v[4:5], v[16:17], a[0:3] cbsz:4 abid:11
	s_and_saveexec_b64 s[12:13], s[14:15]
	s_cbranch_execz .LBB815_596
; %bb.591:
	s_movk_i32 s11, 0x80
	v_cmp_ne_u16_sdwa s[24:25], v10, s11 src0_sel:BYTE_0 src1_sel:DWORD
	v_mov_b32_e32 v18, 0xffff8000
	s_and_saveexec_b64 s[14:15], s[24:25]
	s_cbranch_execz .LBB815_595
; %bb.592:
	s_movk_i32 s11, 0x7f
	v_and_b32_e32 v14, 0x7f, v10
	v_cmp_ne_u32_e32 vcc, s11, v14
	v_mov_b32_e32 v18, 0x7f80
	s_and_saveexec_b64 s[24:25], vcc
	s_cbranch_execz .LBB815_594
; %bb.593:
	v_and_b32_e32 v15, 7, v10
	v_ffbh_u32_e32 v15, v15
	v_min_u32_e32 v15, 32, v15
	v_subrev_u32_e32 v17, 28, v15
	v_cmp_gt_u32_e32 vcc, 8, v14
	v_lshrrev_b32_e32 v16, 3, v14
	v_sub_u32_e32 v15, 29, v15
	v_cndmask_b32_e32 v14, 0, v17, vcc
	v_cndmask_b32_e32 v16, v16, v15, vcc
	v_lshlrev_b64 v[14:15], v14, v[10:11]
	v_lshlrev_b32_e32 v14, 20, v14
	v_lshlrev_b32_e32 v15, 24, v10
	v_bfrev_b32_e32 v17, 60
	v_and_b32_e32 v14, 0x700000, v14
	v_and_b32_e32 v15, 0x80000000, v15
	v_lshl_add_u32 v16, v16, 23, v17
	v_or3_b32 v14, v15, v16, v14
	v_lshrrev_b32_e32 v18, 16, v14
.LBB815_594:
	s_or_b64 exec, exec, s[24:25]
.LBB815_595:
	s_or_b64 exec, exec, s[14:15]
.LBB815_596:
	s_or_b64 exec, exec, s[12:13]
	v_lshrrev_b16_e32 v14, 8, v10
	v_cmp_ne_u16_e32 vcc, 0, v14
	v_mov_b32_e32 v19, 0
	v_mov_b32_e32 v17, 0
	s_and_saveexec_b64 s[12:13], vcc
	s_cbranch_execz .LBB815_602
; %bb.597:
	s_movk_i32 s11, 0x80
	v_cmp_ne_u16_e32 vcc, s11, v14
	v_mov_b32_e32 v17, 0xffff8000
	s_and_saveexec_b64 s[14:15], vcc
	s_cbranch_execz .LBB815_601
; %bb.598:
	s_movk_i32 s11, 0x7f
	v_and_b32_e32 v15, 0x7f, v14
	v_cmp_ne_u32_e32 vcc, s11, v15
	v_mov_b32_e32 v17, 0x7f80
	s_and_saveexec_b64 s[24:25], vcc
	s_cbranch_execz .LBB815_600
; %bb.599:
	v_and_b32_e32 v20, 7, v14
	v_ffbh_u32_e32 v16, v20
	v_min_u32_e32 v22, 32, v16
	v_subrev_u32_e32 v16, 28, v22
	v_lshlrev_b64 v[16:17], v16, v[14:15]
	v_lshrrev_b32_e32 v21, 3, v15
	v_sub_u32_e32 v14, 29, v22
	v_and_b32_e32 v16, 7, v16
	v_cmp_gt_u32_e32 vcc, 8, v15
	v_cndmask_b32_e32 v14, v21, v14, vcc
	v_cndmask_b32_e32 v15, v20, v16, vcc
	v_lshlrev_b32_e32 v16, 16, v10
	v_bfrev_b32_e32 v17, 60
	v_lshlrev_b32_e32 v15, 20, v15
	v_and_b32_e32 v16, 0x80000000, v16
	v_lshl_add_u32 v14, v14, 23, v17
	v_or3_b32 v14, v16, v14, v15
	v_lshrrev_b32_e32 v17, 16, v14
.LBB815_600:
	s_or_b64 exec, exec, s[24:25]
.LBB815_601:
	s_or_b64 exec, exec, s[14:15]
.LBB815_602:
	s_or_b64 exec, exec, s[12:13]
	s_movk_i32 s11, 0xff
	v_and_b32_sdwa v15, v10, s11 dst_sel:DWORD dst_unused:UNUSED_PAD src0_sel:WORD_1 src1_sel:DWORD
	v_lshrrev_b32_e32 v14, 16, v10
	v_cmp_ne_u16_e32 vcc, 0, v15
	s_and_saveexec_b64 s[12:13], vcc
	s_cbranch_execz .LBB815_608
; %bb.603:
	s_movk_i32 s11, 0x80
	v_cmp_ne_u16_e32 vcc, s11, v15
	v_mov_b32_e32 v19, 0xffff8000
	s_and_saveexec_b64 s[14:15], vcc
	s_cbranch_execz .LBB815_607
; %bb.604:
	v_bfe_u32 v15, v10, 16, 7
	s_movk_i32 s11, 0x7f
	v_cmp_ne_u32_e32 vcc, s11, v15
	v_mov_b32_e32 v19, 0x7f80
	s_and_saveexec_b64 s[24:25], vcc
	s_cbranch_execz .LBB815_606
; %bb.605:
	v_and_b32_e32 v16, 7, v14
	v_ffbh_u32_e32 v20, v16
	v_min_u32_e32 v22, 32, v20
	v_subrev_u32_e32 v20, 28, v22
	v_lshlrev_b64 v[20:21], v20, v[14:15]
	v_and_b32_e32 v20, 7, v20
	v_cmp_gt_u32_e32 vcc, 8, v15
	v_lshrrev_b32_e32 v19, 3, v15
	v_sub_u32_e32 v14, 29, v22
	v_cndmask_b32_e32 v15, v16, v20, vcc
	v_mov_b32_e32 v16, 24
	v_cndmask_b32_e32 v14, v19, v14, vcc
	v_lshlrev_b32_sdwa v16, v16, v10 dst_sel:DWORD dst_unused:UNUSED_PAD src0_sel:DWORD src1_sel:WORD_1
	v_bfrev_b32_e32 v19, 60
	v_lshlrev_b32_e32 v15, 20, v15
	v_and_b32_e32 v16, 0x80000000, v16
	v_lshl_add_u32 v14, v14, 23, v19
	v_or3_b32 v14, v16, v14, v15
	v_lshrrev_b32_e32 v19, 16, v14
.LBB815_606:
	s_or_b64 exec, exec, s[24:25]
.LBB815_607:
	s_or_b64 exec, exec, s[14:15]
.LBB815_608:
	s_or_b64 exec, exec, s[12:13]
	s_mov_b32 s11, 0xffffff
	v_cmp_lt_u32_e32 vcc, s11, v10
	v_mov_b32_e32 v15, 0
	v_mov_b32_e32 v20, 0
	s_and_saveexec_b64 s[12:13], vcc
	s_cbranch_execz .LBB815_614
; %bb.609:
	v_lshrrev_b32_e32 v14, 24, v10
	s_movk_i32 s11, 0x80
	v_cmp_ne_u32_e32 vcc, s11, v14
	v_mov_b32_e32 v20, 0xffff8000
	s_and_saveexec_b64 s[14:15], vcc
	s_cbranch_execz .LBB815_613
; %bb.610:
	v_bfe_u32 v16, v10, 24, 7
	s_movk_i32 s11, 0x7f
	v_cmp_ne_u32_e32 vcc, s11, v16
	v_mov_b32_e32 v20, 0x7f80
	s_and_saveexec_b64 s[24:25], vcc
	s_cbranch_execz .LBB815_612
; %bb.611:
	v_and_b32_e32 v22, 7, v14
	v_ffbh_u32_e32 v20, v22
	v_min_u32_e32 v24, 32, v20
	v_subrev_u32_e32 v20, 28, v24
	v_lshlrev_b64 v[20:21], v20, v[14:15]
	v_lshrrev_b32_e32 v23, 3, v16
	v_sub_u32_e32 v21, 29, v24
	v_and_b32_e32 v20, 7, v20
	v_cmp_gt_u32_e32 vcc, 8, v16
	v_cndmask_b32_e32 v16, v23, v21, vcc
	v_cndmask_b32_e32 v20, v22, v20, vcc
	v_lshlrev_b32_e32 v14, 24, v14
	v_bfrev_b32_e32 v21, 60
	v_lshlrev_b32_e32 v20, 20, v20
	v_and_b32_e32 v14, 0x80000000, v14
	v_lshl_add_u32 v16, v16, 23, v21
	v_or3_b32 v14, v14, v16, v20
	v_lshrrev_b32_e32 v20, 16, v14
.LBB815_612:
	s_or_b64 exec, exec, s[24:25]
.LBB815_613:
	s_or_b64 exec, exec, s[14:15]
.LBB815_614:
	s_or_b64 exec, exec, s[12:13]
	v_mov_b32_e32 v14, v11
	v_cmp_ne_u16_sdwa s[14:15], v11, v15 src0_sel:BYTE_0 src1_sel:DWORD
	s_and_saveexec_b64 s[12:13], s[14:15]
	s_cbranch_execz .LBB815_620
; %bb.615:
	s_movk_i32 s11, 0x80
	v_cmp_ne_u16_sdwa s[24:25], v11, s11 src0_sel:BYTE_0 src1_sel:DWORD
	v_mov_b32_e32 v16, 0xffff8000
	s_and_saveexec_b64 s[14:15], s[24:25]
	s_cbranch_execz .LBB815_619
; %bb.616:
	s_movk_i32 s11, 0x7f
	v_and_b32_e32 v21, 0x7f, v11
	v_cmp_ne_u32_e32 vcc, s11, v21
	v_mov_b32_e32 v16, 0x7f80
	s_and_saveexec_b64 s[24:25], vcc
	s_cbranch_execz .LBB815_618
; %bb.617:
	v_and_b32_e32 v16, 7, v11
	v_ffbh_u32_e32 v16, v16
	v_min_u32_e32 v16, 32, v16
	v_subrev_u32_e32 v23, 28, v16
	v_cmp_gt_u32_e32 vcc, 8, v21
	v_lshrrev_b32_e32 v22, 3, v21
	v_sub_u32_e32 v16, 29, v16
	v_cndmask_b32_e32 v21, 0, v23, vcc
	v_cndmask_b32_e32 v16, v22, v16, vcc
	v_lshlrev_b64 v[22:23], v21, v[14:15]
	v_lshlrev_b32_e32 v15, 20, v22
	v_lshlrev_b32_e32 v21, 24, v14
	v_bfrev_b32_e32 v22, 60
	v_and_b32_e32 v15, 0x700000, v15
	v_and_b32_e32 v21, 0x80000000, v21
	v_lshl_add_u32 v16, v16, 23, v22
	v_or3_b32 v15, v21, v16, v15
	v_lshrrev_b32_e32 v16, 16, v15
.LBB815_618:
	s_or_b64 exec, exec, s[24:25]
.LBB815_619:
	s_or_b64 exec, exec, s[14:15]
	v_mov_b32_e32 v15, v16
.LBB815_620:
	s_or_b64 exec, exec, s[12:13]
	v_lshrrev_b16_e32 v16, 8, v14
	v_cmp_ne_u16_e32 vcc, 0, v16
	v_mov_b32_e32 v22, 0
	v_mov_b32_e32 v21, 0
	s_and_saveexec_b64 s[12:13], vcc
	s_cbranch_execz .LBB815_626
; %bb.621:
	s_movk_i32 s11, 0x80
	v_cmp_ne_u16_e32 vcc, s11, v16
	v_mov_b32_e32 v21, 0xffff8000
	s_and_saveexec_b64 s[14:15], vcc
	s_cbranch_execz .LBB815_625
; %bb.622:
	s_movk_i32 s11, 0x7f
	v_and_b32_e32 v23, 0x7f, v16
	v_cmp_ne_u32_e32 vcc, s11, v23
	v_mov_b32_e32 v21, 0x7f80
	s_and_saveexec_b64 s[24:25], vcc
	s_cbranch_execz .LBB815_624
; %bb.623:
	v_and_b32_e32 v21, 7, v16
	v_ffbh_u32_e32 v24, v21
	v_min_u32_e32 v27, 32, v24
	v_subrev_u32_e32 v24, 28, v27
	v_lshlrev_b64 v[24:25], v24, v[16:17]
	v_lshrrev_b32_e32 v26, 3, v23
	v_sub_u32_e32 v16, 29, v27
	v_and_b32_e32 v24, 7, v24
	v_cmp_gt_u32_e32 vcc, 8, v23
	v_cndmask_b32_e32 v16, v26, v16, vcc
	v_cndmask_b32_e32 v21, v21, v24, vcc
	v_lshlrev_b32_e32 v14, 16, v14
	v_bfrev_b32_e32 v23, 60
	v_lshlrev_b32_e32 v21, 20, v21
	v_and_b32_e32 v14, 0x80000000, v14
	v_lshl_add_u32 v16, v16, 23, v23
	v_or3_b32 v14, v14, v16, v21
	v_lshrrev_b32_e32 v21, 16, v14
.LBB815_624:
	s_or_b64 exec, exec, s[24:25]
.LBB815_625:
	s_or_b64 exec, exec, s[14:15]
.LBB815_626:
	s_or_b64 exec, exec, s[12:13]
	s_movk_i32 s11, 0xff
	v_and_b32_sdwa v16, v11, s11 dst_sel:DWORD dst_unused:UNUSED_PAD src0_sel:WORD_1 src1_sel:DWORD
	v_lshrrev_b32_e32 v14, 16, v11
	v_cmp_ne_u16_e32 vcc, 0, v16
	s_and_saveexec_b64 s[12:13], vcc
	s_cbranch_execz .LBB815_632
; %bb.627:
	s_movk_i32 s11, 0x80
	v_cmp_ne_u16_e32 vcc, s11, v16
	v_mov_b32_e32 v22, 0xffff8000
	s_and_saveexec_b64 s[14:15], vcc
	s_cbranch_execz .LBB815_631
; %bb.628:
	v_bfe_u32 v16, v11, 16, 7
	s_movk_i32 s11, 0x7f
	v_cmp_ne_u32_e32 vcc, s11, v16
	v_mov_b32_e32 v22, 0x7f80
	s_and_saveexec_b64 s[24:25], vcc
	s_cbranch_execz .LBB815_630
; %bb.629:
	v_and_b32_e32 v24, 7, v14
	v_ffbh_u32_e32 v22, v24
	v_min_u32_e32 v26, 32, v22
	v_subrev_u32_e32 v22, 28, v26
	v_lshlrev_b64 v[22:23], v22, v[14:15]
	v_and_b32_e32 v22, 7, v22
	v_cmp_gt_u32_e32 vcc, 8, v16
	v_lshrrev_b32_e32 v25, 3, v16
	v_sub_u32_e32 v14, 29, v26
	v_cndmask_b32_e32 v16, v24, v22, vcc
	v_mov_b32_e32 v22, 24
	v_cndmask_b32_e32 v14, v25, v14, vcc
	v_lshlrev_b32_sdwa v22, v22, v11 dst_sel:DWORD dst_unused:UNUSED_PAD src0_sel:DWORD src1_sel:WORD_1
	v_bfrev_b32_e32 v23, 60
	v_lshlrev_b32_e32 v16, 20, v16
	v_and_b32_e32 v22, 0x80000000, v22
	v_lshl_add_u32 v14, v14, 23, v23
	v_or3_b32 v14, v22, v14, v16
	v_lshrrev_b32_e32 v22, 16, v14
.LBB815_630:
	s_or_b64 exec, exec, s[24:25]
.LBB815_631:
	s_or_b64 exec, exec, s[14:15]
.LBB815_632:
	s_or_b64 exec, exec, s[12:13]
	s_mov_b32 s12, -1
	s_mov_b32 s13, 0xffffff
	v_cmp_lt_u64_e32 vcc, s[12:13], v[10:11]
	v_mov_b32_e32 v16, 0
	v_mov_b32_e32 v14, 0
	s_and_saveexec_b64 s[12:13], vcc
	s_cbranch_execz .LBB815_638
; %bb.633:
	v_lshrrev_b32_e32 v10, 24, v11
	s_movk_i32 s11, 0x80
	v_cmp_ne_u32_e32 vcc, s11, v10
	v_mov_b32_e32 v14, 0xffff8000
	s_and_saveexec_b64 s[14:15], vcc
	s_cbranch_execz .LBB815_637
; %bb.634:
	v_bfe_u32 v11, v11, 24, 7
	s_movk_i32 s11, 0x7f
	v_cmp_ne_u32_e32 vcc, s11, v11
	v_mov_b32_e32 v14, 0x7f80
	s_and_saveexec_b64 s[24:25], vcc
	s_cbranch_execz .LBB815_636
; %bb.635:
	v_and_b32_e32 v14, 7, v10
	v_ffbh_u32_e32 v24, v14
	v_min_u32_e32 v26, 32, v24
	v_subrev_u32_e32 v24, 28, v26
	v_lshlrev_b64 v[24:25], v24, v[10:11]
	v_lshrrev_b32_e32 v23, 3, v11
	v_sub_u32_e32 v25, 29, v26
	v_and_b32_e32 v24, 7, v24
	v_cmp_gt_u32_e32 vcc, 8, v11
	v_cndmask_b32_e32 v11, v23, v25, vcc
	v_cndmask_b32_e32 v14, v14, v24, vcc
	v_lshlrev_b32_e32 v10, 24, v10
	v_bfrev_b32_e32 v23, 60
	v_lshlrev_b32_e32 v14, 20, v14
	v_and_b32_e32 v10, 0x80000000, v10
	v_lshl_add_u32 v11, v11, 23, v23
	v_or3_b32 v10, v10, v11, v14
	v_lshrrev_b32_e32 v14, 16, v10
.LBB815_636:
	s_or_b64 exec, exec, s[24:25]
.LBB815_637:
	s_or_b64 exec, exec, s[14:15]
.LBB815_638:
	s_or_b64 exec, exec, s[12:13]
	s_mov_b32 s11, 0x5040100
	v_perm_b32 v11, v20, v19, s11
	v_perm_b32 v10, v17, v18, s11
	;; [unrolled: 1-line block ×4, first 2 shown]
	v_mfma_f32_4x4x4bf16_1k a[0:3], v[2:3], v[10:11], a[0:3] cbsz:4 abid:12
	v_cmp_ne_u16_sdwa s[14:15], v12, v16 src0_sel:BYTE_0 src1_sel:DWORD
	v_mfma_f32_4x4x4bf16_1k a[0:3], v[4:5], v[18:19], a[0:3] cbsz:4 abid:12
	s_and_saveexec_b64 s[12:13], s[14:15]
	s_cbranch_execz .LBB815_644
; %bb.639:
	s_movk_i32 s11, 0x80
	v_cmp_ne_u16_sdwa s[24:25], v12, s11 src0_sel:BYTE_0 src1_sel:DWORD
	v_mov_b32_e32 v16, 0xffff8000
	s_and_saveexec_b64 s[14:15], s[24:25]
	s_cbranch_execz .LBB815_643
; %bb.640:
	s_movk_i32 s11, 0x7f
	v_and_b32_e32 v10, 0x7f, v12
	v_cmp_ne_u32_e32 vcc, s11, v10
	v_mov_b32_e32 v16, 0x7f80
	s_and_saveexec_b64 s[24:25], vcc
	s_cbranch_execz .LBB815_642
; %bb.641:
	v_and_b32_e32 v11, 7, v12
	v_ffbh_u32_e32 v11, v11
	v_min_u32_e32 v11, 32, v11
	v_subrev_u32_e32 v15, 28, v11
	v_cmp_gt_u32_e32 vcc, 8, v10
	v_lshrrev_b32_e32 v14, 3, v10
	v_sub_u32_e32 v11, 29, v11
	v_cndmask_b32_e32 v10, 0, v15, vcc
	v_cndmask_b32_e32 v14, v14, v11, vcc
	v_lshlrev_b64 v[10:11], v10, v[12:13]
	v_lshlrev_b32_e32 v10, 20, v10
	v_lshlrev_b32_e32 v11, 24, v12
	v_bfrev_b32_e32 v15, 60
	v_and_b32_e32 v10, 0x700000, v10
	v_and_b32_e32 v11, 0x80000000, v11
	v_lshl_add_u32 v14, v14, 23, v15
	v_or3_b32 v10, v11, v14, v10
	v_lshrrev_b32_e32 v16, 16, v10
.LBB815_642:
	s_or_b64 exec, exec, s[24:25]
.LBB815_643:
	s_or_b64 exec, exec, s[14:15]
.LBB815_644:
	s_or_b64 exec, exec, s[12:13]
	v_lshrrev_b16_e32 v10, 8, v12
	v_cmp_ne_u16_e32 vcc, 0, v10
	v_mov_b32_e32 v17, 0
	v_mov_b32_e32 v15, 0
	s_and_saveexec_b64 s[12:13], vcc
	s_cbranch_execz .LBB815_650
; %bb.645:
	s_movk_i32 s11, 0x80
	v_cmp_ne_u16_e32 vcc, s11, v10
	v_mov_b32_e32 v15, 0xffff8000
	s_and_saveexec_b64 s[14:15], vcc
	s_cbranch_execz .LBB815_649
; %bb.646:
	s_movk_i32 s11, 0x7f
	v_and_b32_e32 v11, 0x7f, v10
	v_cmp_ne_u32_e32 vcc, s11, v11
	v_mov_b32_e32 v15, 0x7f80
	s_and_saveexec_b64 s[24:25], vcc
	s_cbranch_execz .LBB815_648
; %bb.647:
	v_and_b32_e32 v18, 7, v10
	v_ffbh_u32_e32 v14, v18
	v_min_u32_e32 v20, 32, v14
	v_subrev_u32_e32 v14, 28, v20
	v_lshlrev_b64 v[14:15], v14, v[10:11]
	v_lshrrev_b32_e32 v19, 3, v11
	v_sub_u32_e32 v10, 29, v20
	v_and_b32_e32 v14, 7, v14
	v_cmp_gt_u32_e32 vcc, 8, v11
	v_cndmask_b32_e32 v10, v19, v10, vcc
	v_cndmask_b32_e32 v11, v18, v14, vcc
	v_lshlrev_b32_e32 v14, 16, v12
	v_bfrev_b32_e32 v15, 60
	v_lshlrev_b32_e32 v11, 20, v11
	v_and_b32_e32 v14, 0x80000000, v14
	v_lshl_add_u32 v10, v10, 23, v15
	v_or3_b32 v10, v14, v10, v11
	v_lshrrev_b32_e32 v15, 16, v10
.LBB815_648:
	s_or_b64 exec, exec, s[24:25]
.LBB815_649:
	s_or_b64 exec, exec, s[14:15]
.LBB815_650:
	s_or_b64 exec, exec, s[12:13]
	s_movk_i32 s11, 0xff
	v_and_b32_sdwa v11, v12, s11 dst_sel:DWORD dst_unused:UNUSED_PAD src0_sel:WORD_1 src1_sel:DWORD
	v_lshrrev_b32_e32 v10, 16, v12
	v_cmp_ne_u16_e32 vcc, 0, v11
	s_and_saveexec_b64 s[12:13], vcc
	s_cbranch_execz .LBB815_656
; %bb.651:
	s_movk_i32 s11, 0x80
	v_cmp_ne_u16_e32 vcc, s11, v11
	v_mov_b32_e32 v17, 0xffff8000
	s_and_saveexec_b64 s[14:15], vcc
	s_cbranch_execz .LBB815_655
; %bb.652:
	v_bfe_u32 v11, v12, 16, 7
	s_movk_i32 s11, 0x7f
	v_cmp_ne_u32_e32 vcc, s11, v11
	v_mov_b32_e32 v17, 0x7f80
	s_and_saveexec_b64 s[24:25], vcc
	s_cbranch_execz .LBB815_654
; %bb.653:
	v_and_b32_e32 v14, 7, v10
	v_ffbh_u32_e32 v18, v14
	v_min_u32_e32 v20, 32, v18
	v_subrev_u32_e32 v18, 28, v20
	v_lshlrev_b64 v[18:19], v18, v[10:11]
	v_and_b32_e32 v18, 7, v18
	v_cmp_gt_u32_e32 vcc, 8, v11
	v_lshrrev_b32_e32 v17, 3, v11
	v_sub_u32_e32 v10, 29, v20
	v_cndmask_b32_e32 v11, v14, v18, vcc
	v_mov_b32_e32 v14, 24
	v_cndmask_b32_e32 v10, v17, v10, vcc
	v_lshlrev_b32_sdwa v14, v14, v12 dst_sel:DWORD dst_unused:UNUSED_PAD src0_sel:DWORD src1_sel:WORD_1
	v_bfrev_b32_e32 v17, 60
	v_lshlrev_b32_e32 v11, 20, v11
	v_and_b32_e32 v14, 0x80000000, v14
	v_lshl_add_u32 v10, v10, 23, v17
	v_or3_b32 v10, v14, v10, v11
	v_lshrrev_b32_e32 v17, 16, v10
.LBB815_654:
	s_or_b64 exec, exec, s[24:25]
.LBB815_655:
	s_or_b64 exec, exec, s[14:15]
.LBB815_656:
	s_or_b64 exec, exec, s[12:13]
	s_mov_b32 s11, 0xffffff
	v_cmp_lt_u32_e32 vcc, s11, v12
	v_mov_b32_e32 v11, 0
	v_mov_b32_e32 v18, 0
	s_and_saveexec_b64 s[12:13], vcc
	s_cbranch_execz .LBB815_662
; %bb.657:
	v_lshrrev_b32_e32 v10, 24, v12
	s_movk_i32 s11, 0x80
	v_cmp_ne_u32_e32 vcc, s11, v10
	v_mov_b32_e32 v18, 0xffff8000
	s_and_saveexec_b64 s[14:15], vcc
	s_cbranch_execz .LBB815_661
; %bb.658:
	v_bfe_u32 v14, v12, 24, 7
	s_movk_i32 s11, 0x7f
	v_cmp_ne_u32_e32 vcc, s11, v14
	v_mov_b32_e32 v18, 0x7f80
	s_and_saveexec_b64 s[24:25], vcc
	s_cbranch_execz .LBB815_660
; %bb.659:
	v_and_b32_e32 v20, 7, v10
	v_ffbh_u32_e32 v18, v20
	v_min_u32_e32 v22, 32, v18
	v_subrev_u32_e32 v18, 28, v22
	v_lshlrev_b64 v[18:19], v18, v[10:11]
	v_lshrrev_b32_e32 v21, 3, v14
	v_sub_u32_e32 v19, 29, v22
	v_and_b32_e32 v18, 7, v18
	v_cmp_gt_u32_e32 vcc, 8, v14
	v_cndmask_b32_e32 v14, v21, v19, vcc
	v_cndmask_b32_e32 v18, v20, v18, vcc
	v_lshlrev_b32_e32 v10, 24, v10
	v_bfrev_b32_e32 v19, 60
	v_lshlrev_b32_e32 v18, 20, v18
	v_and_b32_e32 v10, 0x80000000, v10
	v_lshl_add_u32 v14, v14, 23, v19
	v_or3_b32 v10, v10, v14, v18
	v_lshrrev_b32_e32 v18, 16, v10
.LBB815_660:
	s_or_b64 exec, exec, s[24:25]
.LBB815_661:
	s_or_b64 exec, exec, s[14:15]
.LBB815_662:
	s_or_b64 exec, exec, s[12:13]
	v_mov_b32_e32 v10, v13
	v_cmp_ne_u16_sdwa s[14:15], v13, v11 src0_sel:BYTE_0 src1_sel:DWORD
	s_and_saveexec_b64 s[12:13], s[14:15]
	s_cbranch_execz .LBB815_668
; %bb.663:
	s_movk_i32 s11, 0x80
	v_cmp_ne_u16_sdwa s[24:25], v13, s11 src0_sel:BYTE_0 src1_sel:DWORD
	v_mov_b32_e32 v14, 0xffff8000
	s_and_saveexec_b64 s[14:15], s[24:25]
	s_cbranch_execz .LBB815_667
; %bb.664:
	s_movk_i32 s11, 0x7f
	v_and_b32_e32 v19, 0x7f, v13
	v_cmp_ne_u32_e32 vcc, s11, v19
	v_mov_b32_e32 v14, 0x7f80
	s_and_saveexec_b64 s[24:25], vcc
	s_cbranch_execz .LBB815_666
; %bb.665:
	v_and_b32_e32 v14, 7, v13
	v_ffbh_u32_e32 v14, v14
	v_min_u32_e32 v14, 32, v14
	v_subrev_u32_e32 v21, 28, v14
	v_cmp_gt_u32_e32 vcc, 8, v19
	v_lshrrev_b32_e32 v20, 3, v19
	v_sub_u32_e32 v14, 29, v14
	v_cndmask_b32_e32 v19, 0, v21, vcc
	v_cndmask_b32_e32 v14, v20, v14, vcc
	v_lshlrev_b64 v[20:21], v19, v[10:11]
	v_lshlrev_b32_e32 v11, 20, v20
	v_lshlrev_b32_e32 v19, 24, v10
	v_bfrev_b32_e32 v20, 60
	v_and_b32_e32 v11, 0x700000, v11
	v_and_b32_e32 v19, 0x80000000, v19
	v_lshl_add_u32 v14, v14, 23, v20
	v_or3_b32 v11, v19, v14, v11
	v_lshrrev_b32_e32 v14, 16, v11
.LBB815_666:
	s_or_b64 exec, exec, s[24:25]
.LBB815_667:
	s_or_b64 exec, exec, s[14:15]
	v_mov_b32_e32 v11, v14
.LBB815_668:
	s_or_b64 exec, exec, s[12:13]
	v_lshrrev_b16_e32 v14, 8, v10
	v_cmp_ne_u16_e32 vcc, 0, v14
	v_mov_b32_e32 v20, 0
	v_mov_b32_e32 v19, 0
	s_and_saveexec_b64 s[12:13], vcc
	s_cbranch_execz .LBB815_674
; %bb.669:
	s_movk_i32 s11, 0x80
	v_cmp_ne_u16_e32 vcc, s11, v14
	v_mov_b32_e32 v19, 0xffff8000
	s_and_saveexec_b64 s[14:15], vcc
	s_cbranch_execz .LBB815_673
; %bb.670:
	s_movk_i32 s11, 0x7f
	v_and_b32_e32 v21, 0x7f, v14
	v_cmp_ne_u32_e32 vcc, s11, v21
	v_mov_b32_e32 v19, 0x7f80
	s_and_saveexec_b64 s[24:25], vcc
	s_cbranch_execz .LBB815_672
; %bb.671:
	v_and_b32_e32 v19, 7, v14
	v_ffbh_u32_e32 v22, v19
	v_min_u32_e32 v25, 32, v22
	v_subrev_u32_e32 v22, 28, v25
	v_lshlrev_b64 v[22:23], v22, v[14:15]
	v_lshrrev_b32_e32 v24, 3, v21
	v_sub_u32_e32 v14, 29, v25
	v_and_b32_e32 v22, 7, v22
	v_cmp_gt_u32_e32 vcc, 8, v21
	v_cndmask_b32_e32 v14, v24, v14, vcc
	v_cndmask_b32_e32 v19, v19, v22, vcc
	v_lshlrev_b32_e32 v10, 16, v10
	v_bfrev_b32_e32 v21, 60
	v_lshlrev_b32_e32 v19, 20, v19
	v_and_b32_e32 v10, 0x80000000, v10
	v_lshl_add_u32 v14, v14, 23, v21
	v_or3_b32 v10, v10, v14, v19
	v_lshrrev_b32_e32 v19, 16, v10
.LBB815_672:
	s_or_b64 exec, exec, s[24:25]
.LBB815_673:
	s_or_b64 exec, exec, s[14:15]
.LBB815_674:
	s_or_b64 exec, exec, s[12:13]
	s_movk_i32 s11, 0xff
	v_and_b32_sdwa v14, v13, s11 dst_sel:DWORD dst_unused:UNUSED_PAD src0_sel:WORD_1 src1_sel:DWORD
	v_lshrrev_b32_e32 v10, 16, v13
	v_cmp_ne_u16_e32 vcc, 0, v14
	s_and_saveexec_b64 s[12:13], vcc
	s_cbranch_execz .LBB815_680
; %bb.675:
	s_movk_i32 s11, 0x80
	v_cmp_ne_u16_e32 vcc, s11, v14
	v_mov_b32_e32 v20, 0xffff8000
	s_and_saveexec_b64 s[14:15], vcc
	s_cbranch_execz .LBB815_679
; %bb.676:
	v_bfe_u32 v14, v13, 16, 7
	s_movk_i32 s11, 0x7f
	v_cmp_ne_u32_e32 vcc, s11, v14
	v_mov_b32_e32 v20, 0x7f80
	s_and_saveexec_b64 s[24:25], vcc
	s_cbranch_execz .LBB815_678
; %bb.677:
	v_and_b32_e32 v22, 7, v10
	v_ffbh_u32_e32 v20, v22
	v_min_u32_e32 v24, 32, v20
	v_subrev_u32_e32 v20, 28, v24
	v_lshlrev_b64 v[20:21], v20, v[10:11]
	v_and_b32_e32 v20, 7, v20
	v_cmp_gt_u32_e32 vcc, 8, v14
	v_lshrrev_b32_e32 v23, 3, v14
	v_sub_u32_e32 v10, 29, v24
	v_cndmask_b32_e32 v14, v22, v20, vcc
	v_mov_b32_e32 v20, 24
	v_cndmask_b32_e32 v10, v23, v10, vcc
	v_lshlrev_b32_sdwa v20, v20, v13 dst_sel:DWORD dst_unused:UNUSED_PAD src0_sel:DWORD src1_sel:WORD_1
	v_bfrev_b32_e32 v21, 60
	v_lshlrev_b32_e32 v14, 20, v14
	v_and_b32_e32 v20, 0x80000000, v20
	v_lshl_add_u32 v10, v10, 23, v21
	v_or3_b32 v10, v20, v10, v14
	v_lshrrev_b32_e32 v20, 16, v10
.LBB815_678:
	s_or_b64 exec, exec, s[24:25]
.LBB815_679:
	s_or_b64 exec, exec, s[14:15]
.LBB815_680:
	s_or_b64 exec, exec, s[12:13]
	s_mov_b32 s12, -1
	s_mov_b32 s13, 0xffffff
	v_cmp_lt_u64_e32 vcc, s[12:13], v[12:13]
	v_mov_b32_e32 v14, 0
	v_mov_b32_e32 v12, 0
	s_and_saveexec_b64 s[12:13], vcc
	s_cbranch_execz .LBB815_686
; %bb.681:
	v_lshrrev_b32_e32 v10, 24, v13
	s_movk_i32 s11, 0x80
	v_cmp_ne_u32_e32 vcc, s11, v10
	v_mov_b32_e32 v12, 0xffff8000
	s_and_saveexec_b64 s[14:15], vcc
	s_cbranch_execz .LBB815_685
; %bb.682:
	v_bfe_u32 v13, v13, 24, 7
	s_movk_i32 s11, 0x7f
	v_cmp_ne_u32_e32 vcc, s11, v13
	v_mov_b32_e32 v12, 0x7f80
	s_and_saveexec_b64 s[24:25], vcc
	s_cbranch_execz .LBB815_684
; %bb.683:
	v_and_b32_e32 v12, 7, v10
	v_ffbh_u32_e32 v22, v12
	v_min_u32_e32 v24, 32, v22
	v_subrev_u32_e32 v22, 28, v24
	v_lshlrev_b64 v[22:23], v22, v[10:11]
	v_lshrrev_b32_e32 v21, 3, v13
	v_sub_u32_e32 v23, 29, v24
	v_and_b32_e32 v22, 7, v22
	v_cmp_gt_u32_e32 vcc, 8, v13
	v_cndmask_b32_e32 v13, v21, v23, vcc
	v_cndmask_b32_e32 v12, v12, v22, vcc
	v_lshlrev_b32_e32 v10, 24, v10
	v_bfrev_b32_e32 v21, 60
	v_lshlrev_b32_e32 v12, 20, v12
	v_and_b32_e32 v10, 0x80000000, v10
	v_lshl_add_u32 v13, v13, 23, v21
	v_or3_b32 v10, v10, v13, v12
	v_lshrrev_b32_e32 v12, 16, v10
.LBB815_684:
	s_or_b64 exec, exec, s[24:25]
.LBB815_685:
	s_or_b64 exec, exec, s[14:15]
.LBB815_686:
	s_or_b64 exec, exec, s[12:13]
	s_mov_b32 s11, 0x5040100
	v_perm_b32 v17, v18, v17, s11
	v_perm_b32 v16, v15, v16, s11
	;; [unrolled: 1-line block ×4, first 2 shown]
	v_mfma_f32_4x4x4bf16_1k a[0:3], v[2:3], v[16:17], a[0:3] cbsz:4 abid:13
	s_waitcnt vmcnt(24)
	v_cmp_ne_u16_sdwa s[14:15], v6, v14 src0_sel:BYTE_0 src1_sel:DWORD
	v_mfma_f32_4x4x4bf16_1k a[0:3], v[4:5], v[12:13], a[0:3] cbsz:4 abid:13
	s_and_saveexec_b64 s[12:13], s[14:15]
	s_cbranch_execz .LBB815_692
; %bb.687:
	s_movk_i32 s11, 0x80
	v_cmp_ne_u16_sdwa s[24:25], v6, s11 src0_sel:BYTE_0 src1_sel:DWORD
	v_mov_b32_e32 v14, 0xffff8000
	s_and_saveexec_b64 s[14:15], s[24:25]
	s_cbranch_execz .LBB815_691
; %bb.688:
	s_movk_i32 s11, 0x7f
	v_and_b32_e32 v10, 0x7f, v6
	v_cmp_ne_u32_e32 vcc, s11, v10
	v_mov_b32_e32 v14, 0x7f80
	s_and_saveexec_b64 s[24:25], vcc
	s_cbranch_execz .LBB815_690
; %bb.689:
	v_and_b32_e32 v11, 7, v6
	v_ffbh_u32_e32 v11, v11
	v_min_u32_e32 v11, 32, v11
	v_subrev_u32_e32 v13, 28, v11
	v_cmp_gt_u32_e32 vcc, 8, v10
	v_lshrrev_b32_e32 v12, 3, v10
	v_sub_u32_e32 v11, 29, v11
	v_cndmask_b32_e32 v10, 0, v13, vcc
	v_cndmask_b32_e32 v12, v12, v11, vcc
	v_lshlrev_b64 v[10:11], v10, v[6:7]
	v_lshlrev_b32_e32 v10, 20, v10
	v_lshlrev_b32_e32 v11, 24, v6
	v_bfrev_b32_e32 v13, 60
	v_and_b32_e32 v10, 0x700000, v10
	v_and_b32_e32 v11, 0x80000000, v11
	v_lshl_add_u32 v12, v12, 23, v13
	v_or3_b32 v10, v11, v12, v10
	v_lshrrev_b32_e32 v14, 16, v10
.LBB815_690:
	s_or_b64 exec, exec, s[24:25]
.LBB815_691:
	s_or_b64 exec, exec, s[14:15]
.LBB815_692:
	s_or_b64 exec, exec, s[12:13]
	v_lshrrev_b16_e32 v10, 8, v6
	v_cmp_ne_u16_e32 vcc, 0, v10
	v_mov_b32_e32 v15, 0
	v_mov_b32_e32 v13, 0
	s_and_saveexec_b64 s[12:13], vcc
	s_cbranch_execz .LBB815_698
; %bb.693:
	s_movk_i32 s11, 0x80
	v_cmp_ne_u16_e32 vcc, s11, v10
	v_mov_b32_e32 v13, 0xffff8000
	s_and_saveexec_b64 s[14:15], vcc
	s_cbranch_execz .LBB815_697
; %bb.694:
	s_movk_i32 s11, 0x7f
	v_and_b32_e32 v11, 0x7f, v10
	v_cmp_ne_u32_e32 vcc, s11, v11
	v_mov_b32_e32 v13, 0x7f80
	s_and_saveexec_b64 s[24:25], vcc
	s_cbranch_execz .LBB815_696
; %bb.695:
	v_and_b32_e32 v16, 7, v10
	v_ffbh_u32_e32 v12, v16
	v_min_u32_e32 v18, 32, v12
	v_subrev_u32_e32 v12, 28, v18
	v_lshlrev_b64 v[12:13], v12, v[10:11]
	v_lshrrev_b32_e32 v17, 3, v11
	v_sub_u32_e32 v10, 29, v18
	v_and_b32_e32 v12, 7, v12
	v_cmp_gt_u32_e32 vcc, 8, v11
	v_cndmask_b32_e32 v10, v17, v10, vcc
	v_cndmask_b32_e32 v11, v16, v12, vcc
	v_lshlrev_b32_e32 v12, 16, v6
	v_bfrev_b32_e32 v13, 60
	v_lshlrev_b32_e32 v11, 20, v11
	v_and_b32_e32 v12, 0x80000000, v12
	v_lshl_add_u32 v10, v10, 23, v13
	v_or3_b32 v10, v12, v10, v11
	v_lshrrev_b32_e32 v13, 16, v10
.LBB815_696:
	s_or_b64 exec, exec, s[24:25]
.LBB815_697:
	s_or_b64 exec, exec, s[14:15]
.LBB815_698:
	s_or_b64 exec, exec, s[12:13]
	s_movk_i32 s11, 0xff
	v_and_b32_sdwa v11, v6, s11 dst_sel:DWORD dst_unused:UNUSED_PAD src0_sel:WORD_1 src1_sel:DWORD
	v_lshrrev_b32_e32 v10, 16, v6
	v_cmp_ne_u16_e32 vcc, 0, v11
	s_and_saveexec_b64 s[12:13], vcc
	s_cbranch_execz .LBB815_704
; %bb.699:
	s_movk_i32 s11, 0x80
	v_cmp_ne_u16_e32 vcc, s11, v11
	v_mov_b32_e32 v15, 0xffff8000
	s_and_saveexec_b64 s[14:15], vcc
	s_cbranch_execz .LBB815_703
; %bb.700:
	v_bfe_u32 v11, v6, 16, 7
	s_movk_i32 s11, 0x7f
	v_cmp_ne_u32_e32 vcc, s11, v11
	v_mov_b32_e32 v15, 0x7f80
	s_and_saveexec_b64 s[24:25], vcc
	s_cbranch_execz .LBB815_702
; %bb.701:
	v_and_b32_e32 v12, 7, v10
	v_ffbh_u32_e32 v16, v12
	v_min_u32_e32 v18, 32, v16
	v_subrev_u32_e32 v16, 28, v18
	v_lshlrev_b64 v[16:17], v16, v[10:11]
	v_and_b32_e32 v16, 7, v16
	v_cmp_gt_u32_e32 vcc, 8, v11
	v_lshrrev_b32_e32 v15, 3, v11
	v_sub_u32_e32 v10, 29, v18
	v_cndmask_b32_e32 v11, v12, v16, vcc
	v_mov_b32_e32 v12, 24
	v_cndmask_b32_e32 v10, v15, v10, vcc
	v_lshlrev_b32_sdwa v12, v12, v6 dst_sel:DWORD dst_unused:UNUSED_PAD src0_sel:DWORD src1_sel:WORD_1
	v_bfrev_b32_e32 v15, 60
	v_lshlrev_b32_e32 v11, 20, v11
	v_and_b32_e32 v12, 0x80000000, v12
	v_lshl_add_u32 v10, v10, 23, v15
	v_or3_b32 v10, v12, v10, v11
	v_lshrrev_b32_e32 v15, 16, v10
.LBB815_702:
	s_or_b64 exec, exec, s[24:25]
.LBB815_703:
	s_or_b64 exec, exec, s[14:15]
.LBB815_704:
	s_or_b64 exec, exec, s[12:13]
	s_mov_b32 s11, 0xffffff
	v_cmp_lt_u32_e32 vcc, s11, v6
	v_mov_b32_e32 v11, 0
	v_mov_b32_e32 v16, 0
	s_and_saveexec_b64 s[12:13], vcc
	s_cbranch_execz .LBB815_710
; %bb.705:
	v_lshrrev_b32_e32 v10, 24, v6
	s_movk_i32 s11, 0x80
	v_cmp_ne_u32_e32 vcc, s11, v10
	v_mov_b32_e32 v16, 0xffff8000
	s_and_saveexec_b64 s[14:15], vcc
	s_cbranch_execz .LBB815_709
; %bb.706:
	v_bfe_u32 v12, v6, 24, 7
	s_movk_i32 s11, 0x7f
	v_cmp_ne_u32_e32 vcc, s11, v12
	v_mov_b32_e32 v16, 0x7f80
	s_and_saveexec_b64 s[24:25], vcc
	s_cbranch_execz .LBB815_708
; %bb.707:
	v_and_b32_e32 v18, 7, v10
	v_ffbh_u32_e32 v16, v18
	v_min_u32_e32 v20, 32, v16
	v_subrev_u32_e32 v16, 28, v20
	v_lshlrev_b64 v[16:17], v16, v[10:11]
	v_lshrrev_b32_e32 v19, 3, v12
	v_sub_u32_e32 v17, 29, v20
	v_and_b32_e32 v16, 7, v16
	v_cmp_gt_u32_e32 vcc, 8, v12
	v_cndmask_b32_e32 v12, v19, v17, vcc
	v_cndmask_b32_e32 v16, v18, v16, vcc
	v_lshlrev_b32_e32 v10, 24, v10
	v_bfrev_b32_e32 v17, 60
	v_lshlrev_b32_e32 v16, 20, v16
	v_and_b32_e32 v10, 0x80000000, v10
	v_lshl_add_u32 v12, v12, 23, v17
	v_or3_b32 v10, v10, v12, v16
	v_lshrrev_b32_e32 v16, 16, v10
.LBB815_708:
	s_or_b64 exec, exec, s[24:25]
.LBB815_709:
	s_or_b64 exec, exec, s[14:15]
.LBB815_710:
	s_or_b64 exec, exec, s[12:13]
	v_mov_b32_e32 v10, v7
	v_cmp_ne_u16_sdwa s[14:15], v7, v11 src0_sel:BYTE_0 src1_sel:DWORD
	s_and_saveexec_b64 s[12:13], s[14:15]
	s_cbranch_execz .LBB815_716
; %bb.711:
	s_movk_i32 s11, 0x80
	v_cmp_ne_u16_sdwa s[24:25], v7, s11 src0_sel:BYTE_0 src1_sel:DWORD
	v_mov_b32_e32 v12, 0xffff8000
	s_and_saveexec_b64 s[14:15], s[24:25]
	s_cbranch_execz .LBB815_715
; %bb.712:
	s_movk_i32 s11, 0x7f
	v_and_b32_e32 v17, 0x7f, v7
	v_cmp_ne_u32_e32 vcc, s11, v17
	v_mov_b32_e32 v12, 0x7f80
	s_and_saveexec_b64 s[24:25], vcc
	s_cbranch_execz .LBB815_714
; %bb.713:
	v_and_b32_e32 v12, 7, v7
	v_ffbh_u32_e32 v12, v12
	v_min_u32_e32 v12, 32, v12
	v_subrev_u32_e32 v19, 28, v12
	v_cmp_gt_u32_e32 vcc, 8, v17
	v_lshrrev_b32_e32 v18, 3, v17
	v_sub_u32_e32 v12, 29, v12
	v_cndmask_b32_e32 v17, 0, v19, vcc
	v_cndmask_b32_e32 v12, v18, v12, vcc
	v_lshlrev_b64 v[18:19], v17, v[10:11]
	v_lshlrev_b32_e32 v11, 20, v18
	v_lshlrev_b32_e32 v17, 24, v10
	v_bfrev_b32_e32 v18, 60
	v_and_b32_e32 v11, 0x700000, v11
	v_and_b32_e32 v17, 0x80000000, v17
	v_lshl_add_u32 v12, v12, 23, v18
	v_or3_b32 v11, v17, v12, v11
	v_lshrrev_b32_e32 v12, 16, v11
.LBB815_714:
	s_or_b64 exec, exec, s[24:25]
.LBB815_715:
	s_or_b64 exec, exec, s[14:15]
	v_mov_b32_e32 v11, v12
.LBB815_716:
	s_or_b64 exec, exec, s[12:13]
	v_lshrrev_b16_e32 v12, 8, v10
	v_cmp_ne_u16_e32 vcc, 0, v12
	v_mov_b32_e32 v18, 0
	v_mov_b32_e32 v17, 0
	s_and_saveexec_b64 s[12:13], vcc
	s_cbranch_execz .LBB815_722
; %bb.717:
	s_movk_i32 s11, 0x80
	v_cmp_ne_u16_e32 vcc, s11, v12
	v_mov_b32_e32 v17, 0xffff8000
	s_and_saveexec_b64 s[14:15], vcc
	s_cbranch_execz .LBB815_721
; %bb.718:
	s_movk_i32 s11, 0x7f
	v_and_b32_e32 v19, 0x7f, v12
	v_cmp_ne_u32_e32 vcc, s11, v19
	v_mov_b32_e32 v17, 0x7f80
	s_and_saveexec_b64 s[24:25], vcc
	s_cbranch_execz .LBB815_720
; %bb.719:
	v_and_b32_e32 v17, 7, v12
	v_ffbh_u32_e32 v20, v17
	v_min_u32_e32 v23, 32, v20
	v_subrev_u32_e32 v20, 28, v23
	v_lshlrev_b64 v[20:21], v20, v[12:13]
	v_lshrrev_b32_e32 v22, 3, v19
	v_sub_u32_e32 v12, 29, v23
	v_and_b32_e32 v20, 7, v20
	v_cmp_gt_u32_e32 vcc, 8, v19
	v_cndmask_b32_e32 v12, v22, v12, vcc
	v_cndmask_b32_e32 v17, v17, v20, vcc
	v_lshlrev_b32_e32 v10, 16, v10
	v_bfrev_b32_e32 v19, 60
	v_lshlrev_b32_e32 v17, 20, v17
	v_and_b32_e32 v10, 0x80000000, v10
	v_lshl_add_u32 v12, v12, 23, v19
	v_or3_b32 v10, v10, v12, v17
	v_lshrrev_b32_e32 v17, 16, v10
.LBB815_720:
	s_or_b64 exec, exec, s[24:25]
.LBB815_721:
	s_or_b64 exec, exec, s[14:15]
.LBB815_722:
	s_or_b64 exec, exec, s[12:13]
	s_movk_i32 s11, 0xff
	v_and_b32_sdwa v12, v7, s11 dst_sel:DWORD dst_unused:UNUSED_PAD src0_sel:WORD_1 src1_sel:DWORD
	v_lshrrev_b32_e32 v10, 16, v7
	v_cmp_ne_u16_e32 vcc, 0, v12
	s_and_saveexec_b64 s[12:13], vcc
	s_cbranch_execz .LBB815_728
; %bb.723:
	s_movk_i32 s11, 0x80
	v_cmp_ne_u16_e32 vcc, s11, v12
	v_mov_b32_e32 v18, 0xffff8000
	s_and_saveexec_b64 s[14:15], vcc
	s_cbranch_execz .LBB815_727
; %bb.724:
	v_bfe_u32 v12, v7, 16, 7
	s_movk_i32 s11, 0x7f
	v_cmp_ne_u32_e32 vcc, s11, v12
	v_mov_b32_e32 v18, 0x7f80
	s_and_saveexec_b64 s[24:25], vcc
	s_cbranch_execz .LBB815_726
; %bb.725:
	v_and_b32_e32 v20, 7, v10
	v_ffbh_u32_e32 v18, v20
	v_min_u32_e32 v22, 32, v18
	v_subrev_u32_e32 v18, 28, v22
	v_lshlrev_b64 v[18:19], v18, v[10:11]
	v_and_b32_e32 v18, 7, v18
	v_cmp_gt_u32_e32 vcc, 8, v12
	v_lshrrev_b32_e32 v21, 3, v12
	v_sub_u32_e32 v10, 29, v22
	v_cndmask_b32_e32 v12, v20, v18, vcc
	v_mov_b32_e32 v18, 24
	v_cndmask_b32_e32 v10, v21, v10, vcc
	v_lshlrev_b32_sdwa v18, v18, v7 dst_sel:DWORD dst_unused:UNUSED_PAD src0_sel:DWORD src1_sel:WORD_1
	v_bfrev_b32_e32 v19, 60
	v_lshlrev_b32_e32 v12, 20, v12
	v_and_b32_e32 v18, 0x80000000, v18
	v_lshl_add_u32 v10, v10, 23, v19
	v_or3_b32 v10, v18, v10, v12
	v_lshrrev_b32_e32 v18, 16, v10
.LBB815_726:
	s_or_b64 exec, exec, s[24:25]
.LBB815_727:
	s_or_b64 exec, exec, s[14:15]
.LBB815_728:
	s_or_b64 exec, exec, s[12:13]
	s_mov_b32 s12, -1
	s_mov_b32 s13, 0xffffff
	v_cmp_lt_u64_e32 vcc, s[12:13], v[6:7]
	v_mov_b32_e32 v12, 0
	v_mov_b32_e32 v10, 0
	s_and_saveexec_b64 s[12:13], vcc
	s_cbranch_execz .LBB815_734
; %bb.729:
	v_lshrrev_b32_e32 v6, 24, v7
	s_movk_i32 s11, 0x80
	v_cmp_ne_u32_e32 vcc, s11, v6
	v_mov_b32_e32 v10, 0xffff8000
	s_and_saveexec_b64 s[14:15], vcc
	s_cbranch_execz .LBB815_733
; %bb.730:
	v_bfe_u32 v7, v7, 24, 7
	s_movk_i32 s11, 0x7f
	v_cmp_ne_u32_e32 vcc, s11, v7
	v_mov_b32_e32 v10, 0x7f80
	s_and_saveexec_b64 s[24:25], vcc
	s_cbranch_execz .LBB815_732
; %bb.731:
	v_and_b32_e32 v10, 7, v6
	v_ffbh_u32_e32 v20, v10
	v_min_u32_e32 v22, 32, v20
	v_subrev_u32_e32 v20, 28, v22
	v_lshlrev_b64 v[20:21], v20, v[6:7]
	v_lshrrev_b32_e32 v19, 3, v7
	v_sub_u32_e32 v21, 29, v22
	v_and_b32_e32 v20, 7, v20
	v_cmp_gt_u32_e32 vcc, 8, v7
	v_cndmask_b32_e32 v7, v19, v21, vcc
	v_cndmask_b32_e32 v10, v10, v20, vcc
	v_lshlrev_b32_e32 v6, 24, v6
	v_bfrev_b32_e32 v19, 60
	v_lshlrev_b32_e32 v10, 20, v10
	v_and_b32_e32 v6, 0x80000000, v6
	v_lshl_add_u32 v7, v7, 23, v19
	v_or3_b32 v6, v6, v7, v10
	v_lshrrev_b32_e32 v10, 16, v6
.LBB815_732:
	s_or_b64 exec, exec, s[24:25]
.LBB815_733:
	s_or_b64 exec, exec, s[14:15]
.LBB815_734:
	s_or_b64 exec, exec, s[12:13]
	s_mov_b32 s11, 0x5040100
	v_perm_b32 v7, v16, v15, s11
	v_perm_b32 v6, v13, v14, s11
	;; [unrolled: 1-line block ×4, first 2 shown]
	v_mfma_f32_4x4x4bf16_1k a[0:3], v[2:3], v[6:7], a[0:3] cbsz:4 abid:14
	v_cmp_ne_u16_sdwa s[14:15], v8, v12 src0_sel:BYTE_0 src1_sel:DWORD
	v_mfma_f32_4x4x4bf16_1k a[0:3], v[4:5], v[14:15], a[0:3] cbsz:4 abid:14
	s_and_saveexec_b64 s[12:13], s[14:15]
	s_cbranch_execz .LBB815_740
; %bb.735:
	s_movk_i32 s11, 0x80
	v_cmp_ne_u16_sdwa s[24:25], v8, s11 src0_sel:BYTE_0 src1_sel:DWORD
	v_mov_b32_e32 v12, 0xffff8000
	s_and_saveexec_b64 s[14:15], s[24:25]
	s_cbranch_execz .LBB815_739
; %bb.736:
	s_movk_i32 s11, 0x7f
	v_and_b32_e32 v6, 0x7f, v8
	v_cmp_ne_u32_e32 vcc, s11, v6
	v_mov_b32_e32 v12, 0x7f80
	s_and_saveexec_b64 s[24:25], vcc
	s_cbranch_execz .LBB815_738
; %bb.737:
	v_and_b32_e32 v7, 7, v8
	v_ffbh_u32_e32 v7, v7
	v_min_u32_e32 v7, 32, v7
	v_subrev_u32_e32 v11, 28, v7
	v_cmp_gt_u32_e32 vcc, 8, v6
	v_lshrrev_b32_e32 v10, 3, v6
	v_sub_u32_e32 v7, 29, v7
	v_cndmask_b32_e32 v6, 0, v11, vcc
	v_cndmask_b32_e32 v10, v10, v7, vcc
	v_lshlrev_b64 v[6:7], v6, v[8:9]
	v_lshlrev_b32_e32 v6, 20, v6
	v_lshlrev_b32_e32 v7, 24, v8
	v_bfrev_b32_e32 v11, 60
	v_and_b32_e32 v6, 0x700000, v6
	v_and_b32_e32 v7, 0x80000000, v7
	v_lshl_add_u32 v10, v10, 23, v11
	v_or3_b32 v6, v7, v10, v6
	v_lshrrev_b32_e32 v12, 16, v6
.LBB815_738:
	s_or_b64 exec, exec, s[24:25]
.LBB815_739:
	s_or_b64 exec, exec, s[14:15]
.LBB815_740:
	s_or_b64 exec, exec, s[12:13]
	v_lshrrev_b16_e32 v6, 8, v8
	v_cmp_ne_u16_e32 vcc, 0, v6
	v_mov_b32_e32 v13, 0
	v_mov_b32_e32 v11, 0
	s_and_saveexec_b64 s[12:13], vcc
	s_cbranch_execz .LBB815_746
; %bb.741:
	s_movk_i32 s11, 0x80
	v_cmp_ne_u16_e32 vcc, s11, v6
	v_mov_b32_e32 v11, 0xffff8000
	s_and_saveexec_b64 s[14:15], vcc
	s_cbranch_execz .LBB815_745
; %bb.742:
	s_movk_i32 s11, 0x7f
	v_and_b32_e32 v7, 0x7f, v6
	v_cmp_ne_u32_e32 vcc, s11, v7
	v_mov_b32_e32 v11, 0x7f80
	s_and_saveexec_b64 s[24:25], vcc
	s_cbranch_execz .LBB815_744
; %bb.743:
	v_and_b32_e32 v14, 7, v6
	v_ffbh_u32_e32 v10, v14
	v_min_u32_e32 v16, 32, v10
	v_subrev_u32_e32 v10, 28, v16
	v_lshlrev_b64 v[10:11], v10, v[6:7]
	v_lshrrev_b32_e32 v15, 3, v7
	v_sub_u32_e32 v6, 29, v16
	v_and_b32_e32 v10, 7, v10
	v_cmp_gt_u32_e32 vcc, 8, v7
	v_cndmask_b32_e32 v6, v15, v6, vcc
	v_cndmask_b32_e32 v7, v14, v10, vcc
	v_lshlrev_b32_e32 v10, 16, v8
	v_bfrev_b32_e32 v11, 60
	v_lshlrev_b32_e32 v7, 20, v7
	v_and_b32_e32 v10, 0x80000000, v10
	v_lshl_add_u32 v6, v6, 23, v11
	v_or3_b32 v6, v10, v6, v7
	v_lshrrev_b32_e32 v11, 16, v6
.LBB815_744:
	s_or_b64 exec, exec, s[24:25]
.LBB815_745:
	s_or_b64 exec, exec, s[14:15]
.LBB815_746:
	s_or_b64 exec, exec, s[12:13]
	s_movk_i32 s11, 0xff
	v_and_b32_sdwa v7, v8, s11 dst_sel:DWORD dst_unused:UNUSED_PAD src0_sel:WORD_1 src1_sel:DWORD
	v_lshrrev_b32_e32 v6, 16, v8
	v_cmp_ne_u16_e32 vcc, 0, v7
	s_and_saveexec_b64 s[12:13], vcc
	s_cbranch_execz .LBB815_752
; %bb.747:
	s_movk_i32 s11, 0x80
	v_cmp_ne_u16_e32 vcc, s11, v7
	v_mov_b32_e32 v13, 0xffff8000
	s_and_saveexec_b64 s[14:15], vcc
	s_cbranch_execz .LBB815_751
; %bb.748:
	v_bfe_u32 v7, v8, 16, 7
	s_movk_i32 s11, 0x7f
	v_cmp_ne_u32_e32 vcc, s11, v7
	v_mov_b32_e32 v13, 0x7f80
	s_and_saveexec_b64 s[24:25], vcc
	s_cbranch_execz .LBB815_750
; %bb.749:
	v_and_b32_e32 v10, 7, v6
	v_ffbh_u32_e32 v14, v10
	v_min_u32_e32 v16, 32, v14
	v_subrev_u32_e32 v14, 28, v16
	v_lshlrev_b64 v[14:15], v14, v[6:7]
	v_and_b32_e32 v14, 7, v14
	v_cmp_gt_u32_e32 vcc, 8, v7
	v_lshrrev_b32_e32 v13, 3, v7
	v_sub_u32_e32 v6, 29, v16
	v_cndmask_b32_e32 v7, v10, v14, vcc
	v_mov_b32_e32 v10, 24
	v_cndmask_b32_e32 v6, v13, v6, vcc
	v_lshlrev_b32_sdwa v10, v10, v8 dst_sel:DWORD dst_unused:UNUSED_PAD src0_sel:DWORD src1_sel:WORD_1
	v_bfrev_b32_e32 v13, 60
	v_lshlrev_b32_e32 v7, 20, v7
	v_and_b32_e32 v10, 0x80000000, v10
	v_lshl_add_u32 v6, v6, 23, v13
	v_or3_b32 v6, v10, v6, v7
	v_lshrrev_b32_e32 v13, 16, v6
.LBB815_750:
	s_or_b64 exec, exec, s[24:25]
.LBB815_751:
	s_or_b64 exec, exec, s[14:15]
.LBB815_752:
	s_or_b64 exec, exec, s[12:13]
	s_mov_b32 s11, 0xffffff
	v_cmp_lt_u32_e32 vcc, s11, v8
	v_mov_b32_e32 v7, 0
	v_mov_b32_e32 v14, 0
	s_and_saveexec_b64 s[12:13], vcc
	s_cbranch_execz .LBB815_758
; %bb.753:
	v_lshrrev_b32_e32 v6, 24, v8
	s_movk_i32 s11, 0x80
	v_cmp_ne_u32_e32 vcc, s11, v6
	v_mov_b32_e32 v14, 0xffff8000
	s_and_saveexec_b64 s[14:15], vcc
	s_cbranch_execz .LBB815_757
; %bb.754:
	v_bfe_u32 v10, v8, 24, 7
	s_movk_i32 s11, 0x7f
	v_cmp_ne_u32_e32 vcc, s11, v10
	v_mov_b32_e32 v14, 0x7f80
	s_and_saveexec_b64 s[24:25], vcc
	s_cbranch_execz .LBB815_756
; %bb.755:
	v_and_b32_e32 v16, 7, v6
	v_ffbh_u32_e32 v14, v16
	v_min_u32_e32 v18, 32, v14
	v_subrev_u32_e32 v14, 28, v18
	v_lshlrev_b64 v[14:15], v14, v[6:7]
	v_lshrrev_b32_e32 v17, 3, v10
	v_sub_u32_e32 v15, 29, v18
	v_and_b32_e32 v14, 7, v14
	v_cmp_gt_u32_e32 vcc, 8, v10
	v_cndmask_b32_e32 v10, v17, v15, vcc
	v_cndmask_b32_e32 v14, v16, v14, vcc
	v_lshlrev_b32_e32 v6, 24, v6
	v_bfrev_b32_e32 v15, 60
	v_lshlrev_b32_e32 v14, 20, v14
	v_and_b32_e32 v6, 0x80000000, v6
	v_lshl_add_u32 v10, v10, 23, v15
	v_or3_b32 v6, v6, v10, v14
	v_lshrrev_b32_e32 v14, 16, v6
.LBB815_756:
	s_or_b64 exec, exec, s[24:25]
.LBB815_757:
	s_or_b64 exec, exec, s[14:15]
.LBB815_758:
	s_or_b64 exec, exec, s[12:13]
	v_mov_b32_e32 v6, v9
	v_cmp_ne_u16_sdwa s[14:15], v9, v7 src0_sel:BYTE_0 src1_sel:DWORD
	s_and_saveexec_b64 s[12:13], s[14:15]
	s_cbranch_execz .LBB815_764
; %bb.759:
	s_movk_i32 s11, 0x80
	v_cmp_ne_u16_sdwa s[24:25], v9, s11 src0_sel:BYTE_0 src1_sel:DWORD
	v_mov_b32_e32 v10, 0xffff8000
	s_and_saveexec_b64 s[14:15], s[24:25]
	s_cbranch_execz .LBB815_763
; %bb.760:
	s_movk_i32 s11, 0x7f
	v_and_b32_e32 v15, 0x7f, v9
	v_cmp_ne_u32_e32 vcc, s11, v15
	v_mov_b32_e32 v10, 0x7f80
	s_and_saveexec_b64 s[24:25], vcc
	s_cbranch_execz .LBB815_762
; %bb.761:
	v_and_b32_e32 v10, 7, v9
	v_ffbh_u32_e32 v10, v10
	v_min_u32_e32 v10, 32, v10
	v_subrev_u32_e32 v17, 28, v10
	v_cmp_gt_u32_e32 vcc, 8, v15
	v_lshrrev_b32_e32 v16, 3, v15
	v_sub_u32_e32 v10, 29, v10
	v_cndmask_b32_e32 v15, 0, v17, vcc
	v_cndmask_b32_e32 v10, v16, v10, vcc
	v_lshlrev_b64 v[16:17], v15, v[6:7]
	v_lshlrev_b32_e32 v7, 20, v16
	v_lshlrev_b32_e32 v15, 24, v6
	v_bfrev_b32_e32 v16, 60
	v_and_b32_e32 v7, 0x700000, v7
	v_and_b32_e32 v15, 0x80000000, v15
	v_lshl_add_u32 v10, v10, 23, v16
	v_or3_b32 v7, v15, v10, v7
	v_lshrrev_b32_e32 v10, 16, v7
.LBB815_762:
	s_or_b64 exec, exec, s[24:25]
.LBB815_763:
	s_or_b64 exec, exec, s[14:15]
	v_mov_b32_e32 v7, v10
.LBB815_764:
	s_or_b64 exec, exec, s[12:13]
	v_lshrrev_b16_e32 v10, 8, v6
	v_cmp_ne_u16_e32 vcc, 0, v10
	v_mov_b32_e32 v16, 0
	v_mov_b32_e32 v15, 0
	s_and_saveexec_b64 s[12:13], vcc
	s_cbranch_execz .LBB815_770
; %bb.765:
	s_movk_i32 s11, 0x80
	v_cmp_ne_u16_e32 vcc, s11, v10
	v_mov_b32_e32 v15, 0xffff8000
	s_and_saveexec_b64 s[14:15], vcc
	s_cbranch_execz .LBB815_769
; %bb.766:
	s_movk_i32 s11, 0x7f
	v_and_b32_e32 v17, 0x7f, v10
	v_cmp_ne_u32_e32 vcc, s11, v17
	v_mov_b32_e32 v15, 0x7f80
	s_and_saveexec_b64 s[24:25], vcc
	s_cbranch_execz .LBB815_768
; %bb.767:
	v_and_b32_e32 v15, 7, v10
	v_ffbh_u32_e32 v18, v15
	v_min_u32_e32 v21, 32, v18
	v_subrev_u32_e32 v18, 28, v21
	v_lshlrev_b64 v[18:19], v18, v[10:11]
	v_lshrrev_b32_e32 v20, 3, v17
	v_sub_u32_e32 v10, 29, v21
	v_and_b32_e32 v18, 7, v18
	v_cmp_gt_u32_e32 vcc, 8, v17
	v_cndmask_b32_e32 v10, v20, v10, vcc
	v_cndmask_b32_e32 v15, v15, v18, vcc
	v_lshlrev_b32_e32 v6, 16, v6
	v_bfrev_b32_e32 v17, 60
	v_lshlrev_b32_e32 v15, 20, v15
	v_and_b32_e32 v6, 0x80000000, v6
	v_lshl_add_u32 v10, v10, 23, v17
	v_or3_b32 v6, v6, v10, v15
	v_lshrrev_b32_e32 v15, 16, v6
.LBB815_768:
	s_or_b64 exec, exec, s[24:25]
.LBB815_769:
	s_or_b64 exec, exec, s[14:15]
.LBB815_770:
	s_or_b64 exec, exec, s[12:13]
	s_movk_i32 s11, 0xff
	v_and_b32_sdwa v10, v9, s11 dst_sel:DWORD dst_unused:UNUSED_PAD src0_sel:WORD_1 src1_sel:DWORD
	v_lshrrev_b32_e32 v6, 16, v9
	v_cmp_ne_u16_e32 vcc, 0, v10
	s_and_saveexec_b64 s[12:13], vcc
	s_cbranch_execz .LBB815_776
; %bb.771:
	s_movk_i32 s11, 0x80
	v_cmp_ne_u16_e32 vcc, s11, v10
	v_mov_b32_e32 v16, 0xffff8000
	s_and_saveexec_b64 s[14:15], vcc
	s_cbranch_execz .LBB815_775
; %bb.772:
	v_bfe_u32 v10, v9, 16, 7
	s_movk_i32 s11, 0x7f
	v_cmp_ne_u32_e32 vcc, s11, v10
	v_mov_b32_e32 v16, 0x7f80
	s_and_saveexec_b64 s[24:25], vcc
	s_cbranch_execz .LBB815_774
; %bb.773:
	v_and_b32_e32 v18, 7, v6
	v_ffbh_u32_e32 v16, v18
	v_min_u32_e32 v20, 32, v16
	v_subrev_u32_e32 v16, 28, v20
	v_lshlrev_b64 v[16:17], v16, v[6:7]
	v_and_b32_e32 v16, 7, v16
	v_cmp_gt_u32_e32 vcc, 8, v10
	v_lshrrev_b32_e32 v19, 3, v10
	v_sub_u32_e32 v6, 29, v20
	v_cndmask_b32_e32 v10, v18, v16, vcc
	v_mov_b32_e32 v16, 24
	v_cndmask_b32_e32 v6, v19, v6, vcc
	v_lshlrev_b32_sdwa v16, v16, v9 dst_sel:DWORD dst_unused:UNUSED_PAD src0_sel:DWORD src1_sel:WORD_1
	v_bfrev_b32_e32 v17, 60
	v_lshlrev_b32_e32 v10, 20, v10
	v_and_b32_e32 v16, 0x80000000, v16
	v_lshl_add_u32 v6, v6, 23, v17
	v_or3_b32 v6, v16, v6, v10
	v_lshrrev_b32_e32 v16, 16, v6
.LBB815_774:
	s_or_b64 exec, exec, s[24:25]
.LBB815_775:
	s_or_b64 exec, exec, s[14:15]
.LBB815_776:
	s_or_b64 exec, exec, s[12:13]
	s_mov_b32 s12, -1
	s_mov_b32 s13, 0xffffff
	v_cmp_lt_u64_e32 vcc, s[12:13], v[8:9]
	v_mov_b32_e32 v8, 0
	s_and_saveexec_b64 s[12:13], vcc
	s_cbranch_execz .LBB815_782
; %bb.777:
	v_lshrrev_b32_e32 v6, 24, v9
	s_movk_i32 s11, 0x80
	v_cmp_ne_u32_e32 vcc, s11, v6
	v_mov_b32_e32 v8, 0xffff8000
	s_and_saveexec_b64 s[14:15], vcc
	s_cbranch_execz .LBB815_781
; %bb.778:
	v_bfe_u32 v9, v9, 24, 7
	s_movk_i32 s11, 0x7f
	v_cmp_ne_u32_e32 vcc, s11, v9
	v_mov_b32_e32 v8, 0x7f80
	s_and_saveexec_b64 s[24:25], vcc
	s_cbranch_execz .LBB815_780
; %bb.779:
	v_and_b32_e32 v8, 7, v6
	v_ffbh_u32_e32 v17, v8
	v_min_u32_e32 v17, 32, v17
	v_subrev_u32_e32 v18, 28, v17
	v_lshlrev_b64 v[18:19], v18, v[6:7]
	v_lshrrev_b32_e32 v10, 3, v9
	v_sub_u32_e32 v17, 29, v17
	v_and_b32_e32 v18, 7, v18
	v_cmp_gt_u32_e32 vcc, 8, v9
	v_cndmask_b32_e32 v9, v10, v17, vcc
	v_cndmask_b32_e32 v8, v8, v18, vcc
	v_lshlrev_b32_e32 v6, 24, v6
	v_bfrev_b32_e32 v10, 60
	v_lshlrev_b32_e32 v8, 20, v8
	v_and_b32_e32 v6, 0x80000000, v6
	v_lshl_add_u32 v9, v9, 23, v10
	v_or3_b32 v6, v6, v9, v8
	v_lshrrev_b32_e32 v8, 16, v6
.LBB815_780:
	s_or_b64 exec, exec, s[24:25]
.LBB815_781:
	s_or_b64 exec, exec, s[14:15]
.LBB815_782:
	s_or_b64 exec, exec, s[12:13]
	s_load_dword s4, s[4:5], 0x1c
	s_mov_b32 s5, 0x5040100
	v_perm_b32 v13, v14, v13, s5
	v_perm_b32 v12, v11, v12, s5
	;; [unrolled: 1-line block ×4, first 2 shown]
	v_mfma_f32_4x4x4bf16_1k a[0:3], v[2:3], v[12:13], a[0:3] cbsz:4 abid:15
	s_load_dword s5, s[16:17], 0x0
	v_mfma_f32_4x4x4bf16_1k a[0:3], v[4:5], v[8:9], a[0:3] cbsz:4 abid:15
	s_waitcnt lgkmcnt(0)
	v_mov_b32_e32 v2, s4
	v_cmp_eq_u32_e32 vcc, 0, v43
	v_mul_f32_e32 v4, s5, v2
	s_nop 0
	v_accvgpr_read_b32 v7, a1
	v_accvgpr_read_b32 v6, a0
	v_pk_mul_f32 v[6:7], v[6:7], v[4:5] op_sel_hi:[1,0]
	v_accvgpr_read_b32 v3, a3
	v_accvgpr_read_b32 v2, a2
	v_pk_mul_f32 v[2:3], v[2:3], v[4:5] op_sel_hi:[1,0]
	v_cndmask_b32_e64 v4, 0, 1.0, vcc
	v_cmp_eq_u32_e32 vcc, 1, v43
	s_nop 0
	v_mfma_f32_4x4x1f32 a[0:3], v6, v4, 0
	v_cndmask_b32_e64 v4, 0, 1.0, vcc
	v_cmp_eq_u32_e32 vcc, 2, v43
	v_mov_b32_e32 v6, 0xff7fffff
	v_mfma_f32_4x4x1f32 a[0:3], v7, v4, a[0:3]
	v_cndmask_b32_e64 v4, 0, 1.0, vcc
	v_cmp_eq_u32_e32 vcc, 3, v43
	s_nop 0
	v_mfma_f32_4x4x1f32 a[0:3], v2, v4, a[0:3]
	v_cndmask_b32_e64 v2, 0, 1.0, vcc
	s_nop 1
	v_mfma_f32_4x4x1f32 a[0:3], v3, v2, a[0:3]
	v_and_b32_e32 v2, -4, v44
	v_cmp_gt_i32_e32 vcc, s9, v2
	v_lshlrev_b32_e32 v3, 2, v0
	v_and_or_b32 v3, v3, 48, v43
	v_lshlrev_b32_e32 v10, 2, v3
	v_accvgpr_read_b32 v4, a0
	v_max_f32_e32 v5, v4, v4
	v_max_f32_e32 v5, 0xff7fffff, v5
	v_accvgpr_read_b32 v7, a1
	v_cndmask_b32_e32 v5, v6, v5, vcc
	v_or_b32_e32 v6, 1, v2
	v_max_f32_e32 v8, v7, v7
	v_max_f32_e32 v8, v5, v8
	v_cmp_gt_i32_e64 s[4:5], s9, v6
	v_cndmask_b32_e64 v5, v5, v8, s[4:5]
	v_accvgpr_read_b32 v8, a2
	v_or_b32_e32 v2, 2, v2
	v_max_f32_e32 v6, v8, v8
	v_max_f32_e32 v6, v5, v6
	v_cmp_gt_i32_e64 s[12:13], s9, v2
	v_accvgpr_read_b32 v9, a3
	v_cndmask_b32_e64 v2, v5, v6, s[12:13]
	v_or_b32_e32 v5, 3, v44
	v_max_f32_e32 v6, v9, v9
	v_max_f32_e32 v6, v2, v6
	v_cmp_gt_i32_e64 s[14:15], s9, v5
	v_cndmask_b32_e64 v2, v2, v6, s[14:15]
	;;#ASMSTART
	v_nop
 v_nop
 v_max_f32_dpp v2, v2, v2 row_ror:4
	;;#ASMEND
	;;#ASMSTART
	v_nop
 v_nop
 v_max_f32_dpp v2, v2, v2 row_ror:8
	;;#ASMEND
	ds_bpermute_b32 v2, v10, v2
	s_waitcnt lgkmcnt(0)
	;;#ASMSTART
	v_nop
 v_nop
 v_max_f32_dpp v2, v2, v2 row_ror:4
	;;#ASMEND
	;;#ASMSTART
	v_nop
 v_nop
 v_max_f32_dpp v6, v2, v2 row_ror:8
	;;#ASMEND
	v_sub_f32_e32 v2, v4, v6
	v_mul_f32_e32 v2, 0x3fb8aa3b, v2
	v_sub_f32_e32 v3, v7, v6
	v_exp_f32_e32 v2, v2
	v_mul_f32_e32 v3, 0x3fb8aa3b, v3
	v_sub_f32_e32 v5, v8, v6
	v_exp_f32_e32 v3, v3
	v_mul_f32_e32 v5, 0x3fb8aa3b, v5
	v_sub_f32_e32 v7, v9, v6
	v_exp_f32_e32 v5, v5
	v_mul_f32_e32 v7, 0x3fb8aa3b, v7
	v_exp_f32_e32 v7, v7
	v_cndmask_b32_e32 v2, 0, v2, vcc
	v_add_f32_e32 v4, 0, v2
	v_cndmask_b32_e64 v3, 0, v3, s[4:5]
	v_add_f32_e32 v8, v4, v3
	v_cndmask_b32_e64 v4, 0, v5, s[12:13]
	v_add_f32_e32 v8, v8, v4
	v_cndmask_b32_e64 v5, 0, v7, s[14:15]
	v_add_f32_e32 v7, v8, v5
	;;#ASMSTART
	v_nop
 v_nop
 v_add_f32_dpp v7, v7, v7 row_ror:4
	;;#ASMEND
	;;#ASMSTART
	v_nop
 v_nop
 v_add_f32_dpp v7, v7, v7 row_ror:8
	;;#ASMEND
	ds_bpermute_b32 v7, v10, v7
	s_waitcnt lgkmcnt(0)
	;;#ASMSTART
	v_nop
 v_nop
 v_add_f32_dpp v7, v7, v7 row_ror:4
	;;#ASMEND
	v_cmp_gt_u32_e32 vcc, 4, v1
	;;#ASMSTART
	v_nop
 v_nop
 v_add_f32_dpp v7, v7, v7 row_ror:8
	;;#ASMEND
	s_and_saveexec_b64 s[4:5], vcc
	s_cbranch_execz .LBB815_784
; %bb.783:
	v_mul_u32_u24_e32 v8, 20, v42
	v_lshl_add_u32 v8, v43, 2, v8
	v_add_u32_e32 v8, 0x1400, v8
	ds_write2_b32 v8, v6, v7 offset1:20
.LBB815_784:
	s_or_b64 exec, exec, s[4:5]
.LBB815_785:
	s_or_b64 exec, exec, s[36:37]
	s_waitcnt lgkmcnt(0)
	s_barrier
	s_load_dword s4, s[34:35], 0x8
	v_lshlrev_b32_e32 v7, 2, v43
	v_add_u32_e32 v7, 0x1400, v7
	ds_read2_b32 v[10:11], v7 offset1:5
	ds_read2_b32 v[12:13], v7 offset0:10 offset1:15
	s_mul_i32 s5, s8, s33
	s_waitcnt lgkmcnt(0)
	s_mul_i32 s5, s5, s4
	s_lshl_b32 s4, s5, 1
	s_mov_b32 s5, 0xff7fffff
	v_max3_f32 v8, v10, s5, v11
	v_max3_f32 v8, v8, v12, v13
	v_sub_f32_e32 v9, v10, v8
	v_sub_f32_e32 v10, v11, v8
	ds_read2_b32 v[14:15], v7 offset0:20 offset1:25
	v_mul_f32_e32 v9, 0x3fb8aa3b, v9
	v_mul_f32_e32 v10, 0x3fb8aa3b, v10
	v_exp_f32_e32 v9, v9
	v_exp_f32_e32 v16, v10
	ds_read2_b32 v[10:11], v7 offset0:30 offset1:35
	v_sub_f32_e32 v7, v12, v8
	v_mul_f32_e32 v7, 0x3fb8aa3b, v7
	v_sub_f32_e32 v12, v13, v8
	v_exp_f32_e32 v7, v7
	v_mul_f32_e32 v12, 0x3fb8aa3b, v12
	v_exp_f32_e32 v12, v12
	s_waitcnt lgkmcnt(1)
	v_fma_f32 v9, v9, v14, 0
	v_fmac_f32_e32 v9, v16, v15
	s_waitcnt lgkmcnt(0)
	v_fmac_f32_e32 v9, v7, v10
	s_lshl_b32 s24, s10, 1
	v_fmac_f32_e32 v9, v12, v11
	v_cmp_gt_u32_e32 vcc, 2, v43
	s_and_saveexec_b64 s[8:9], vcc
	s_cbranch_execz .LBB815_787
; %bb.786:
	s_mov_b32 s5, 0
	s_lshl_b64 s[10:11], s[4:5], 2
	s_add_u32 s14, s20, s10
	s_mov_b32 s29, s5
	s_addc_u32 s15, s21, s11
	s_lshl_b64 s[12:13], s[28:29], 2
	s_add_u32 s5, s14, s12
	s_addc_u32 s14, s15, s13
	v_or_b32_e32 v7, s24, v43
	s_add_u32 s10, s22, s10
	v_mul_lo_u32 v10, s33, v7
	v_mov_b32_e32 v11, 0
	s_addc_u32 s11, s23, s11
	v_lshlrev_b64 v[10:11], 2, v[10:11]
	s_add_u32 s10, s10, s12
	v_mov_b32_e32 v7, s14
	v_add_co_u32_e32 v12, vcc, s5, v10
	s_addc_u32 s11, s11, s13
	v_addc_co_u32_e32 v13, vcc, v7, v11, vcc
	v_mov_b32_e32 v7, s11
	v_add_co_u32_e32 v10, vcc, s10, v10
	v_addc_co_u32_e32 v11, vcc, v7, v11, vcc
	global_store_dword v[10:11], v8, off
	global_store_dword v[12:13], v9, off
.LBB815_787:
	s_or_b64 exec, exec, s[8:9]
	v_lshlrev_b32_e32 v7, 3, v42
	s_and_saveexec_b64 s[8:9], s[6:7]
	s_xor_b64 s[6:7], exec, s[8:9]
	s_cbranch_execz .LBB815_789
; %bb.788:
	s_mov_b32 s8, 0
	s_mov_b32 s9, s8
	v_mad_u32_u24 v4, v1, 40, v7
	v_pk_mov_b32 v[2:3], s[8:9], s[8:9] op_sel:[0,1]
	ds_write2st64_b64 v4, v[2:3], v[2:3] offset1:5
                                        ; implicit-def: $vgpr7
                                        ; implicit-def: $vgpr9
                                        ; implicit-def: $vgpr6
                                        ; implicit-def: $vgpr8
                                        ; implicit-def: $vgpr4
                                        ; implicit-def: $vgpr2
.LBB815_789:
	s_andn2_saveexec_b64 s[6:7], s[6:7]
	s_cbranch_execz .LBB815_1176
; %bb.790:
	v_add_f32_e32 v9, 0x358637bd, v9
	v_div_scale_f32 v10, s[8:9], v9, v9, 1.0
	v_rcp_f32_e32 v11, v10
	v_div_scale_f32 v12, vcc, 1.0, v9, 1.0
	v_sub_f32_e32 v6, v6, v8
	v_fma_f32 v13, -v10, v11, 1.0
	v_fmac_f32_e32 v11, v13, v11
	v_mul_f32_e32 v13, v12, v11
	v_fma_f32 v14, -v10, v13, v12
	v_mul_f32_e32 v6, 0x3fb8aa3b, v6
	v_fmac_f32_e32 v13, v14, v11
	v_exp_f32_e32 v6, v6
	v_fma_f32 v10, -v10, v13, v12
	v_div_fmas_f32 v8, v10, v11, v13
	v_div_fixup_f32 v8, v8, v9, 1.0
	v_mul_f32_e32 v6, v6, v8
	v_pk_mul_f32 v[2:3], v[2:3], v[6:7] op_sel_hi:[1,0]
	s_load_dword s8, s[18:19], 0x0
	v_pk_mul_f32 v[4:5], v[4:5], v[6:7] op_sel_hi:[1,0]
	v_bfe_u32 v6, v3, 16, 1
	v_bfe_u32 v8, v2, 16, 1
	s_movk_i32 s5, 0x7fff
	v_add3_u32 v2, v2, v8, s5
	v_add3_u32 v3, v3, v6, s5
	s_mov_b32 s20, 0x7060302
	v_perm_b32 v2, v3, v2, s20
	v_bfe_u32 v3, v5, 16, 1
	v_bfe_u32 v6, v4, 16, 1
	v_add3_u32 v4, v4, v6, s5
	v_add3_u32 v3, v5, v3, s5
	v_mov_b32_e32 v11, 0
	v_perm_b32 v3, v3, v4, s20
	v_add_u32_e32 v5, 64, v11
	s_waitcnt lgkmcnt(0)
	s_mov_b32 s9, s8
	s_mov_b32 s10, s8
	;; [unrolled: 1-line block ×4, first 2 shown]
	s_mov_b64 s[12:13], -1
	s_movk_i32 s21, 0x80
	s_movk_i32 s23, 0x7f
	s_mov_b32 s25, 0xffffff
	s_mov_b32 s26, 0x5040100
	v_mov_b32_e32 v9, 0
	v_bfrev_b32_e32 v10, 60
	s_branch .LBB815_794
.LBB815_791:                            ;   in Loop: Header=BB815_794 Depth=1
	s_or_b64 exec, exec, s[18:19]
.LBB815_792:                            ;   in Loop: Header=BB815_794 Depth=1
	s_or_b64 exec, exec, s[16:17]
.LBB815_793:                            ;   in Loop: Header=BB815_794 Depth=1
	s_or_b64 exec, exec, s[14:15]
	v_perm_b32 v19, v15, v12, s26
	v_perm_b32 v18, v11, v13, s26
	;; [unrolled: 1-line block ×4, first 2 shown]
	v_mfma_f32_4x4x4bf16_1k a[0:3], v[2:3], v[18:19], a[0:3] cbsz:4 abid:14
	s_mul_i32 s14, s22, 0xa00
	v_mfma_f32_4x4x4bf16_1k a[0:3], v[2:3], v[12:13], a[0:3] cbsz:4 abid:15
	s_mov_b32 s22, 1
	v_mov_b32_e32 v11, v5
	s_nop 2
	v_accvgpr_read_b32 v15, a1
	v_accvgpr_read_b32 v14, a0
	v_pk_mul_f32 v[14:15], v[14:15], s[8:9]
	v_accvgpr_read_b32 v13, a3
	v_accvgpr_read_b32 v12, a2
	v_bfe_u32 v4, v15, 16, 1
	v_bfe_u32 v6, v14, 16, 1
	v_pk_mul_f32 v[12:13], v[12:13], s[10:11]
	v_add3_u32 v6, v14, v6, s5
	v_add3_u32 v4, v15, v4, s5
	v_perm_b32 v14, v4, v6, s20
	v_bfe_u32 v4, v13, 16, 1
	v_bfe_u32 v6, v12, 16, 1
	v_add3_u32 v6, v12, v6, s5
	v_add3_u32 v4, v13, v4, s5
	v_perm_b32 v15, v4, v6, s20
	v_mul_u32_u24_e32 v4, 40, v1
	v_add3_u32 v4, s14, v4, v7
	s_xor_b64 s[14:15], s[12:13], -1
	s_mov_b64 s[12:13], 0
	s_andn2_b64 vcc, exec, s[14:15]
	ds_write_b64 v4, v[14:15]
	s_cbranch_vccz .LBB815_1176
.LBB815_794:                            ; =>This Inner Loop Header: Depth=1
	buffer_load_dword v6, v11, s[0:3], 0 offen
	buffer_load_dword v4, v11, s[0:3], 0 offen offset:4
	v_mov_b32_e32 v13, 0
	s_waitcnt vmcnt(1)
	v_cmp_ne_u16_sdwa s[16:17], v6, v9 src0_sel:BYTE_0 src1_sel:DWORD
	s_and_saveexec_b64 s[14:15], s[16:17]
	s_cbranch_execz .LBB815_800
; %bb.795:                              ;   in Loop: Header=BB815_794 Depth=1
	v_cmp_ne_u16_sdwa s[18:19], v6, s21 src0_sel:BYTE_0 src1_sel:DWORD
	v_mov_b32_e32 v13, 0xffff8000
	s_and_saveexec_b64 s[16:17], s[18:19]
	s_cbranch_execz .LBB815_799
; %bb.796:                              ;   in Loop: Header=BB815_794 Depth=1
	v_and_b32_e32 v8, 0x7f, v6
	v_cmp_ne_u32_e32 vcc, s23, v8
	v_mov_b32_e32 v13, 0x7f80
	s_and_saveexec_b64 s[18:19], vcc
	s_cbranch_execz .LBB815_798
; %bb.797:                              ;   in Loop: Header=BB815_794 Depth=1
	v_and_b32_e32 v14, 7, v6
	v_ffbh_u32_e32 v12, v14
	v_min_u32_e32 v16, 32, v12
	v_subrev_u32_e32 v12, 28, v16
	v_lshlrev_b64 v[12:13], v12, v[6:7]
	v_lshrrev_b32_e32 v15, 3, v8
	v_sub_u32_e32 v13, 29, v16
	v_and_b32_e32 v12, 7, v12
	v_cmp_gt_u32_e32 vcc, 8, v8
	v_cndmask_b32_e32 v8, v15, v13, vcc
	v_cndmask_b32_e32 v12, v14, v12, vcc
	v_lshlrev_b32_e32 v13, 24, v6
	v_lshlrev_b32_e32 v12, 20, v12
	v_and_b32_e32 v13, 0x80000000, v13
	v_lshl_add_u32 v8, v8, 23, v10
	v_or3_b32 v8, v13, v8, v12
	v_lshrrev_b32_e32 v13, 16, v8
.LBB815_798:                            ;   in Loop: Header=BB815_794 Depth=1
	s_or_b64 exec, exec, s[18:19]
.LBB815_799:                            ;   in Loop: Header=BB815_794 Depth=1
	s_or_b64 exec, exec, s[16:17]
.LBB815_800:                            ;   in Loop: Header=BB815_794 Depth=1
	s_or_b64 exec, exec, s[14:15]
	v_lshrrev_b16_e32 v8, 8, v6
	v_cmp_ne_u16_e32 vcc, 0, v8
	v_mov_b32_e32 v15, 0
	v_mov_b32_e32 v14, 0
	s_and_saveexec_b64 s[14:15], vcc
	s_cbranch_execz .LBB815_806
; %bb.801:                              ;   in Loop: Header=BB815_794 Depth=1
	v_cmp_ne_u16_e32 vcc, s21, v8
	v_mov_b32_e32 v14, 0xffff8000
	s_and_saveexec_b64 s[16:17], vcc
	s_cbranch_execz .LBB815_805
; %bb.802:                              ;   in Loop: Header=BB815_794 Depth=1
	v_and_b32_e32 v12, 0x7f, v8
	v_cmp_ne_u32_e32 vcc, s23, v12
	v_mov_b32_e32 v14, 0x7f80
	s_and_saveexec_b64 s[18:19], vcc
	s_cbranch_execz .LBB815_804
; %bb.803:                              ;   in Loop: Header=BB815_794 Depth=1
	v_and_b32_e32 v14, 7, v8
	v_ffbh_u32_e32 v16, v14
	v_min_u32_e32 v19, 32, v16
	v_subrev_u32_e32 v16, 28, v19
	v_lshlrev_b64 v[16:17], v16, v[8:9]
	v_lshrrev_b32_e32 v18, 3, v12
	v_sub_u32_e32 v8, 29, v19
	v_and_b32_e32 v16, 7, v16
	v_cmp_gt_u32_e32 vcc, 8, v12
	v_cndmask_b32_e32 v8, v18, v8, vcc
	v_cndmask_b32_e32 v12, v14, v16, vcc
	v_lshlrev_b32_e32 v14, 16, v6
	v_lshlrev_b32_e32 v12, 20, v12
	v_and_b32_e32 v14, 0x80000000, v14
	v_lshl_add_u32 v8, v8, 23, v10
	v_or3_b32 v8, v14, v8, v12
	v_lshrrev_b32_e32 v14, 16, v8
.LBB815_804:                            ;   in Loop: Header=BB815_794 Depth=1
	s_or_b64 exec, exec, s[18:19]
.LBB815_805:                            ;   in Loop: Header=BB815_794 Depth=1
	s_or_b64 exec, exec, s[16:17]
.LBB815_806:                            ;   in Loop: Header=BB815_794 Depth=1
	s_or_b64 exec, exec, s[14:15]
	v_lshrrev_b32_e32 v8, 16, v6
	v_cmp_ne_u16_sdwa s[16:17], v8, v9 src0_sel:BYTE_0 src1_sel:DWORD
	s_and_saveexec_b64 s[14:15], s[16:17]
	s_cbranch_execz .LBB815_812
; %bb.807:                              ;   in Loop: Header=BB815_794 Depth=1
	v_cmp_ne_u16_sdwa s[18:19], v8, s21 src0_sel:BYTE_0 src1_sel:DWORD
	v_mov_b32_e32 v15, 0xffff8000
	s_and_saveexec_b64 s[16:17], s[18:19]
	s_cbranch_execz .LBB815_811
; %bb.808:                              ;   in Loop: Header=BB815_794 Depth=1
	v_bfe_u32 v12, v6, 16, 7
	v_cmp_ne_u32_e32 vcc, s23, v12
	v_mov_b32_e32 v15, 0x7f80
	s_and_saveexec_b64 s[18:19], vcc
	s_cbranch_execz .LBB815_810
; %bb.809:                              ;   in Loop: Header=BB815_794 Depth=1
	v_and_b32_e32 v15, 7, v8
	v_ffbh_u32_e32 v16, v15
	v_min_u32_e32 v19, 32, v16
	v_subrev_u32_e32 v16, 28, v19
	v_lshlrev_b64 v[16:17], v16, v[8:9]
	v_lshrrev_b32_e32 v18, 3, v12
	v_sub_u32_e32 v17, 29, v19
	v_and_b32_e32 v16, 7, v16
	v_cmp_gt_u32_e32 vcc, 8, v12
	v_cndmask_b32_e32 v12, v18, v17, vcc
	v_cndmask_b32_e32 v15, v15, v16, vcc
	v_lshlrev_b32_e32 v8, 24, v8
	v_lshlrev_b32_e32 v15, 20, v15
	v_and_b32_e32 v8, 0x80000000, v8
	v_lshl_add_u32 v12, v12, 23, v10
	v_or3_b32 v8, v8, v12, v15
	v_lshrrev_b32_e32 v15, 16, v8
.LBB815_810:                            ;   in Loop: Header=BB815_794 Depth=1
	s_or_b64 exec, exec, s[18:19]
.LBB815_811:                            ;   in Loop: Header=BB815_794 Depth=1
	s_or_b64 exec, exec, s[16:17]
.LBB815_812:                            ;   in Loop: Header=BB815_794 Depth=1
	s_or_b64 exec, exec, s[14:15]
	v_cmp_lt_u32_e32 vcc, s25, v6
	v_mov_b32_e32 v16, 0
	v_mov_b32_e32 v17, 0
	s_and_saveexec_b64 s[14:15], vcc
	s_cbranch_execz .LBB815_818
; %bb.813:                              ;   in Loop: Header=BB815_794 Depth=1
	v_lshrrev_b32_e32 v8, 24, v6
	v_cmp_ne_u32_e32 vcc, s21, v8
	v_mov_b32_e32 v17, 0xffff8000
	s_and_saveexec_b64 s[16:17], vcc
	s_cbranch_execz .LBB815_817
; %bb.814:                              ;   in Loop: Header=BB815_794 Depth=1
	v_bfe_u32 v6, v6, 24, 7
	v_cmp_ne_u32_e32 vcc, s23, v6
	v_mov_b32_e32 v17, 0x7f80
	s_and_saveexec_b64 s[18:19], vcc
	s_cbranch_execz .LBB815_816
; %bb.815:                              ;   in Loop: Header=BB815_794 Depth=1
	v_and_b32_e32 v12, 7, v8
	v_ffbh_u32_e32 v18, v12
	v_min_u32_e32 v20, 32, v18
	v_subrev_u32_e32 v18, 28, v20
	v_lshlrev_b64 v[18:19], v18, v[8:9]
	v_lshrrev_b32_e32 v17, 3, v6
	v_sub_u32_e32 v19, 29, v20
	v_and_b32_e32 v18, 7, v18
	v_cmp_gt_u32_e32 vcc, 8, v6
	v_cndmask_b32_e32 v6, v17, v19, vcc
	v_cndmask_b32_e32 v12, v12, v18, vcc
	v_lshlrev_b32_e32 v8, 24, v8
	v_lshlrev_b32_e32 v12, 20, v12
	v_and_b32_e32 v8, 0x80000000, v8
	v_lshl_add_u32 v6, v6, 23, v10
	v_or3_b32 v6, v8, v6, v12
	v_lshrrev_b32_e32 v17, 16, v6
.LBB815_816:                            ;   in Loop: Header=BB815_794 Depth=1
	s_or_b64 exec, exec, s[18:19]
.LBB815_817:                            ;   in Loop: Header=BB815_794 Depth=1
	s_or_b64 exec, exec, s[16:17]
.LBB815_818:                            ;   in Loop: Header=BB815_794 Depth=1
	s_or_b64 exec, exec, s[14:15]
	s_waitcnt vmcnt(0)
	v_cmp_ne_u16_sdwa s[16:17], v4, v9 src0_sel:BYTE_0 src1_sel:DWORD
	s_and_saveexec_b64 s[14:15], s[16:17]
	s_cbranch_execz .LBB815_824
; %bb.819:                              ;   in Loop: Header=BB815_794 Depth=1
	v_cmp_ne_u16_sdwa s[18:19], v4, s21 src0_sel:BYTE_0 src1_sel:DWORD
	v_mov_b32_e32 v16, 0xffff8000
	s_and_saveexec_b64 s[16:17], s[18:19]
	s_cbranch_execz .LBB815_823
; %bb.820:                              ;   in Loop: Header=BB815_794 Depth=1
	v_and_b32_e32 v6, 0x7f, v4
	v_cmp_ne_u32_e32 vcc, s23, v6
	v_mov_b32_e32 v16, 0x7f80
	s_and_saveexec_b64 s[18:19], vcc
	s_cbranch_execz .LBB815_822
; %bb.821:                              ;   in Loop: Header=BB815_794 Depth=1
	v_and_b32_e32 v8, 7, v4
	v_ffbh_u32_e32 v16, v8
	v_min_u32_e32 v16, 32, v16
	v_subrev_u32_e32 v18, 28, v16
	v_lshlrev_b64 v[18:19], v18, v[4:5]
	v_lshrrev_b32_e32 v12, 3, v6
	v_sub_u32_e32 v16, 29, v16
	v_and_b32_e32 v18, 7, v18
	v_cmp_gt_u32_e32 vcc, 8, v6
	v_cndmask_b32_e32 v6, v12, v16, vcc
	v_cndmask_b32_e32 v8, v8, v18, vcc
	v_lshlrev_b32_e32 v12, 24, v4
	v_lshlrev_b32_e32 v8, 20, v8
	v_and_b32_e32 v12, 0x80000000, v12
	v_lshl_add_u32 v6, v6, 23, v10
	v_or3_b32 v6, v12, v6, v8
	v_lshrrev_b32_e32 v16, 16, v6
.LBB815_822:                            ;   in Loop: Header=BB815_794 Depth=1
	s_or_b64 exec, exec, s[18:19]
.LBB815_823:                            ;   in Loop: Header=BB815_794 Depth=1
	s_or_b64 exec, exec, s[16:17]
.LBB815_824:                            ;   in Loop: Header=BB815_794 Depth=1
	s_or_b64 exec, exec, s[14:15]
	v_lshrrev_b16_e32 v6, 8, v4
	v_cmp_ne_u16_e32 vcc, 0, v6
	v_mov_b32_e32 v18, 0
	v_mov_b32_e32 v8, 0
	s_and_saveexec_b64 s[14:15], vcc
	s_cbranch_execz .LBB815_830
; %bb.825:                              ;   in Loop: Header=BB815_794 Depth=1
	v_cmp_ne_u16_e32 vcc, s21, v6
	v_mov_b32_e32 v8, 0xffff8000
	s_and_saveexec_b64 s[16:17], vcc
	s_cbranch_execz .LBB815_829
; %bb.826:                              ;   in Loop: Header=BB815_794 Depth=1
	v_and_b32_e32 v12, 0x7f, v6
	v_cmp_ne_u32_e32 vcc, s23, v12
	v_mov_b32_e32 v8, 0x7f80
	s_and_saveexec_b64 s[18:19], vcc
	s_cbranch_execz .LBB815_828
; %bb.827:                              ;   in Loop: Header=BB815_794 Depth=1
	v_and_b32_e32 v8, 7, v6
	v_ffbh_u32_e32 v20, v8
	v_min_u32_e32 v22, 32, v20
	v_subrev_u32_e32 v20, 28, v22
	v_lshlrev_b64 v[20:21], v20, v[6:7]
	v_lshrrev_b32_e32 v19, 3, v12
	v_sub_u32_e32 v6, 29, v22
	v_and_b32_e32 v20, 7, v20
	v_cmp_gt_u32_e32 vcc, 8, v12
	v_cndmask_b32_e32 v6, v19, v6, vcc
	v_cndmask_b32_e32 v8, v8, v20, vcc
	v_lshlrev_b32_e32 v12, 16, v4
	v_lshlrev_b32_e32 v8, 20, v8
	v_and_b32_e32 v12, 0x80000000, v12
	v_lshl_add_u32 v6, v6, 23, v10
	v_or3_b32 v6, v12, v6, v8
	v_lshrrev_b32_e32 v8, 16, v6
.LBB815_828:                            ;   in Loop: Header=BB815_794 Depth=1
	s_or_b64 exec, exec, s[18:19]
.LBB815_829:                            ;   in Loop: Header=BB815_794 Depth=1
	s_or_b64 exec, exec, s[16:17]
.LBB815_830:                            ;   in Loop: Header=BB815_794 Depth=1
	s_or_b64 exec, exec, s[14:15]
	v_lshrrev_b32_e32 v6, 16, v4
	v_cmp_ne_u16_sdwa s[16:17], v6, v9 src0_sel:BYTE_0 src1_sel:DWORD
	s_and_saveexec_b64 s[14:15], s[16:17]
	s_cbranch_execz .LBB815_836
; %bb.831:                              ;   in Loop: Header=BB815_794 Depth=1
	v_cmp_ne_u16_sdwa s[18:19], v6, s21 src0_sel:BYTE_0 src1_sel:DWORD
	v_mov_b32_e32 v18, 0xffff8000
	s_and_saveexec_b64 s[16:17], s[18:19]
	s_cbranch_execz .LBB815_835
; %bb.832:                              ;   in Loop: Header=BB815_794 Depth=1
	v_bfe_u32 v12, v4, 16, 7
	v_cmp_ne_u32_e32 vcc, s23, v12
	v_mov_b32_e32 v18, 0x7f80
	s_and_saveexec_b64 s[18:19], vcc
	s_cbranch_execz .LBB815_834
; %bb.833:                              ;   in Loop: Header=BB815_794 Depth=1
	v_and_b32_e32 v20, 7, v6
	v_ffbh_u32_e32 v18, v20
	v_min_u32_e32 v22, 32, v18
	v_subrev_u32_e32 v18, 28, v22
	v_lshlrev_b64 v[18:19], v18, v[6:7]
	v_lshrrev_b32_e32 v21, 3, v12
	v_sub_u32_e32 v19, 29, v22
	v_and_b32_e32 v18, 7, v18
	v_cmp_gt_u32_e32 vcc, 8, v12
	v_cndmask_b32_e32 v12, v21, v19, vcc
	v_cndmask_b32_e32 v18, v20, v18, vcc
	v_lshlrev_b32_e32 v6, 24, v6
	v_lshlrev_b32_e32 v18, 20, v18
	v_and_b32_e32 v6, 0x80000000, v6
	v_lshl_add_u32 v12, v12, 23, v10
	v_or3_b32 v6, v6, v12, v18
	v_lshrrev_b32_e32 v18, 16, v6
.LBB815_834:                            ;   in Loop: Header=BB815_794 Depth=1
	s_or_b64 exec, exec, s[18:19]
.LBB815_835:                            ;   in Loop: Header=BB815_794 Depth=1
	s_or_b64 exec, exec, s[16:17]
.LBB815_836:                            ;   in Loop: Header=BB815_794 Depth=1
	s_or_b64 exec, exec, s[14:15]
	v_cmp_lt_u32_e32 vcc, s25, v4
	v_mov_b32_e32 v12, 0
	v_mov_b32_e32 v19, 0
	s_and_saveexec_b64 s[14:15], vcc
	s_cbranch_execz .LBB815_842
; %bb.837:                              ;   in Loop: Header=BB815_794 Depth=1
	v_lshrrev_b32_e32 v6, 24, v4
	v_cmp_ne_u32_e32 vcc, s21, v6
	v_mov_b32_e32 v19, 0xffff8000
	s_and_saveexec_b64 s[16:17], vcc
	s_cbranch_execz .LBB815_841
; %bb.838:                              ;   in Loop: Header=BB815_794 Depth=1
	v_bfe_u32 v4, v4, 24, 7
	v_cmp_ne_u32_e32 vcc, s23, v4
	v_mov_b32_e32 v19, 0x7f80
	s_and_saveexec_b64 s[18:19], vcc
	s_cbranch_execz .LBB815_840
; %bb.839:                              ;   in Loop: Header=BB815_794 Depth=1
	v_and_b32_e32 v19, 7, v6
	v_ffbh_u32_e32 v20, v19
	v_min_u32_e32 v23, 32, v20
	v_subrev_u32_e32 v20, 28, v23
	v_lshlrev_b64 v[20:21], v20, v[6:7]
	v_lshrrev_b32_e32 v22, 3, v4
	v_sub_u32_e32 v21, 29, v23
	v_and_b32_e32 v20, 7, v20
	v_cmp_gt_u32_e32 vcc, 8, v4
	v_cndmask_b32_e32 v4, v22, v21, vcc
	v_cndmask_b32_e32 v19, v19, v20, vcc
	v_lshlrev_b32_e32 v6, 24, v6
	v_lshlrev_b32_e32 v19, 20, v19
	v_and_b32_e32 v6, 0x80000000, v6
	v_lshl_add_u32 v4, v4, 23, v10
	v_or3_b32 v4, v6, v4, v19
	v_lshrrev_b32_e32 v19, 16, v4
.LBB815_840:                            ;   in Loop: Header=BB815_794 Depth=1
	s_or_b64 exec, exec, s[18:19]
.LBB815_841:                            ;   in Loop: Header=BB815_794 Depth=1
	s_or_b64 exec, exec, s[16:17]
.LBB815_842:                            ;   in Loop: Header=BB815_794 Depth=1
	s_or_b64 exec, exec, s[14:15]
	buffer_load_dword v6, v11, s[0:3], 0 offen offset:8
	buffer_load_dword v4, v11, s[0:3], 0 offen offset:12
	v_perm_b32 v15, v17, v15, s26
	v_perm_b32 v14, v14, v13, s26
	v_perm_b32 v17, v19, v18, s26
	v_perm_b32 v16, v8, v16, s26
	v_mfma_f32_4x4x4bf16_1k a[0:3], v[2:3], v[14:15], 0 cbsz:4
	s_waitcnt vmcnt(1)
	v_cmp_ne_u16_sdwa s[16:17], v6, v9 src0_sel:BYTE_0 src1_sel:DWORD
	v_mfma_f32_4x4x4bf16_1k a[0:3], v[2:3], v[16:17], a[0:3] cbsz:4 abid:1
	s_and_saveexec_b64 s[14:15], s[16:17]
	s_cbranch_execz .LBB815_848
; %bb.843:                              ;   in Loop: Header=BB815_794 Depth=1
	v_cmp_ne_u16_sdwa s[18:19], v6, s21 src0_sel:BYTE_0 src1_sel:DWORD
	v_mov_b32_e32 v12, 0xffff8000
	s_and_saveexec_b64 s[16:17], s[18:19]
	s_cbranch_execz .LBB815_847
; %bb.844:                              ;   in Loop: Header=BB815_794 Depth=1
	v_and_b32_e32 v8, 0x7f, v6
	v_cmp_ne_u32_e32 vcc, s23, v8
	v_mov_b32_e32 v12, 0x7f80
	s_and_saveexec_b64 s[18:19], vcc
	s_cbranch_execz .LBB815_846
; %bb.845:                              ;   in Loop: Header=BB815_794 Depth=1
	v_and_b32_e32 v14, 7, v6
	v_ffbh_u32_e32 v12, v14
	v_min_u32_e32 v16, 32, v12
	v_subrev_u32_e32 v12, 28, v16
	v_lshlrev_b64 v[12:13], v12, v[6:7]
	v_lshrrev_b32_e32 v15, 3, v8
	v_sub_u32_e32 v13, 29, v16
	v_and_b32_e32 v12, 7, v12
	v_cmp_gt_u32_e32 vcc, 8, v8
	v_cndmask_b32_e32 v8, v15, v13, vcc
	v_cndmask_b32_e32 v12, v14, v12, vcc
	v_lshlrev_b32_e32 v13, 24, v6
	v_lshlrev_b32_e32 v12, 20, v12
	v_and_b32_e32 v13, 0x80000000, v13
	v_lshl_add_u32 v8, v8, 23, v10
	v_or3_b32 v8, v13, v8, v12
	v_lshrrev_b32_e32 v12, 16, v8
.LBB815_846:                            ;   in Loop: Header=BB815_794 Depth=1
	s_or_b64 exec, exec, s[18:19]
.LBB815_847:                            ;   in Loop: Header=BB815_794 Depth=1
	s_or_b64 exec, exec, s[16:17]
.LBB815_848:                            ;   in Loop: Header=BB815_794 Depth=1
	s_or_b64 exec, exec, s[14:15]
	v_lshrrev_b16_e32 v8, 8, v6
	v_cmp_ne_u16_e32 vcc, 0, v8
	v_mov_b32_e32 v15, 0
	v_mov_b32_e32 v14, 0
	s_and_saveexec_b64 s[14:15], vcc
	s_cbranch_execz .LBB815_854
; %bb.849:                              ;   in Loop: Header=BB815_794 Depth=1
	v_cmp_ne_u16_e32 vcc, s21, v8
	v_mov_b32_e32 v14, 0xffff8000
	s_and_saveexec_b64 s[16:17], vcc
	s_cbranch_execz .LBB815_853
; %bb.850:                              ;   in Loop: Header=BB815_794 Depth=1
	v_and_b32_e32 v13, 0x7f, v8
	v_cmp_ne_u32_e32 vcc, s23, v13
	v_mov_b32_e32 v14, 0x7f80
	s_and_saveexec_b64 s[18:19], vcc
	s_cbranch_execz .LBB815_852
; %bb.851:                              ;   in Loop: Header=BB815_794 Depth=1
	v_and_b32_e32 v14, 7, v8
	v_ffbh_u32_e32 v16, v14
	v_min_u32_e32 v19, 32, v16
	v_subrev_u32_e32 v16, 28, v19
	v_lshlrev_b64 v[16:17], v16, v[8:9]
	v_lshrrev_b32_e32 v18, 3, v13
	v_sub_u32_e32 v8, 29, v19
	v_and_b32_e32 v16, 7, v16
	v_cmp_gt_u32_e32 vcc, 8, v13
	v_cndmask_b32_e32 v8, v18, v8, vcc
	v_cndmask_b32_e32 v13, v14, v16, vcc
	v_lshlrev_b32_e32 v14, 16, v6
	v_lshlrev_b32_e32 v13, 20, v13
	v_and_b32_e32 v14, 0x80000000, v14
	v_lshl_add_u32 v8, v8, 23, v10
	v_or3_b32 v8, v14, v8, v13
	v_lshrrev_b32_e32 v14, 16, v8
.LBB815_852:                            ;   in Loop: Header=BB815_794 Depth=1
	s_or_b64 exec, exec, s[18:19]
.LBB815_853:                            ;   in Loop: Header=BB815_794 Depth=1
	s_or_b64 exec, exec, s[16:17]
.LBB815_854:                            ;   in Loop: Header=BB815_794 Depth=1
	s_or_b64 exec, exec, s[14:15]
	v_lshrrev_b32_e32 v8, 16, v6
	v_cmp_ne_u16_sdwa s[16:17], v8, v9 src0_sel:BYTE_0 src1_sel:DWORD
	s_and_saveexec_b64 s[14:15], s[16:17]
	s_cbranch_execz .LBB815_860
; %bb.855:                              ;   in Loop: Header=BB815_794 Depth=1
	v_cmp_ne_u16_sdwa s[18:19], v8, s21 src0_sel:BYTE_0 src1_sel:DWORD
	v_mov_b32_e32 v15, 0xffff8000
	s_and_saveexec_b64 s[16:17], s[18:19]
	s_cbranch_execz .LBB815_859
; %bb.856:                              ;   in Loop: Header=BB815_794 Depth=1
	v_bfe_u32 v13, v6, 16, 7
	v_cmp_ne_u32_e32 vcc, s23, v13
	v_mov_b32_e32 v15, 0x7f80
	s_and_saveexec_b64 s[18:19], vcc
	s_cbranch_execz .LBB815_858
; %bb.857:                              ;   in Loop: Header=BB815_794 Depth=1
	v_and_b32_e32 v15, 7, v8
	v_ffbh_u32_e32 v16, v15
	v_min_u32_e32 v19, 32, v16
	v_subrev_u32_e32 v16, 28, v19
	v_lshlrev_b64 v[16:17], v16, v[8:9]
	v_lshrrev_b32_e32 v18, 3, v13
	v_sub_u32_e32 v17, 29, v19
	v_and_b32_e32 v16, 7, v16
	v_cmp_gt_u32_e32 vcc, 8, v13
	v_cndmask_b32_e32 v13, v18, v17, vcc
	v_cndmask_b32_e32 v15, v15, v16, vcc
	v_lshlrev_b32_e32 v8, 24, v8
	v_lshlrev_b32_e32 v15, 20, v15
	v_and_b32_e32 v8, 0x80000000, v8
	v_lshl_add_u32 v13, v13, 23, v10
	v_or3_b32 v8, v8, v13, v15
	v_lshrrev_b32_e32 v15, 16, v8
.LBB815_858:                            ;   in Loop: Header=BB815_794 Depth=1
	s_or_b64 exec, exec, s[18:19]
.LBB815_859:                            ;   in Loop: Header=BB815_794 Depth=1
	s_or_b64 exec, exec, s[16:17]
.LBB815_860:                            ;   in Loop: Header=BB815_794 Depth=1
	s_or_b64 exec, exec, s[14:15]
	v_cmp_lt_u32_e32 vcc, s25, v6
	v_mov_b32_e32 v16, 0
	v_mov_b32_e32 v17, 0
	s_and_saveexec_b64 s[14:15], vcc
	s_cbranch_execz .LBB815_866
; %bb.861:                              ;   in Loop: Header=BB815_794 Depth=1
	v_lshrrev_b32_e32 v8, 24, v6
	v_cmp_ne_u32_e32 vcc, s21, v8
	v_mov_b32_e32 v17, 0xffff8000
	s_and_saveexec_b64 s[16:17], vcc
	s_cbranch_execz .LBB815_865
; %bb.862:                              ;   in Loop: Header=BB815_794 Depth=1
	v_bfe_u32 v6, v6, 24, 7
	v_cmp_ne_u32_e32 vcc, s23, v6
	v_mov_b32_e32 v17, 0x7f80
	s_and_saveexec_b64 s[18:19], vcc
	s_cbranch_execz .LBB815_864
; %bb.863:                              ;   in Loop: Header=BB815_794 Depth=1
	v_and_b32_e32 v13, 7, v8
	v_ffbh_u32_e32 v18, v13
	v_min_u32_e32 v20, 32, v18
	v_subrev_u32_e32 v18, 28, v20
	v_lshlrev_b64 v[18:19], v18, v[8:9]
	v_lshrrev_b32_e32 v17, 3, v6
	v_sub_u32_e32 v19, 29, v20
	v_and_b32_e32 v18, 7, v18
	v_cmp_gt_u32_e32 vcc, 8, v6
	v_cndmask_b32_e32 v6, v17, v19, vcc
	v_cndmask_b32_e32 v13, v13, v18, vcc
	v_lshlrev_b32_e32 v8, 24, v8
	v_lshlrev_b32_e32 v13, 20, v13
	v_and_b32_e32 v8, 0x80000000, v8
	v_lshl_add_u32 v6, v6, 23, v10
	v_or3_b32 v6, v8, v6, v13
	v_lshrrev_b32_e32 v17, 16, v6
.LBB815_864:                            ;   in Loop: Header=BB815_794 Depth=1
	s_or_b64 exec, exec, s[18:19]
.LBB815_865:                            ;   in Loop: Header=BB815_794 Depth=1
	s_or_b64 exec, exec, s[16:17]
.LBB815_866:                            ;   in Loop: Header=BB815_794 Depth=1
	s_or_b64 exec, exec, s[14:15]
	s_waitcnt vmcnt(0)
	v_cmp_ne_u16_sdwa s[16:17], v4, v9 src0_sel:BYTE_0 src1_sel:DWORD
	s_and_saveexec_b64 s[14:15], s[16:17]
	s_cbranch_execz .LBB815_872
; %bb.867:                              ;   in Loop: Header=BB815_794 Depth=1
	v_cmp_ne_u16_sdwa s[18:19], v4, s21 src0_sel:BYTE_0 src1_sel:DWORD
	v_mov_b32_e32 v16, 0xffff8000
	s_and_saveexec_b64 s[16:17], s[18:19]
	s_cbranch_execz .LBB815_871
; %bb.868:                              ;   in Loop: Header=BB815_794 Depth=1
	v_and_b32_e32 v6, 0x7f, v4
	v_cmp_ne_u32_e32 vcc, s23, v6
	v_mov_b32_e32 v16, 0x7f80
	s_and_saveexec_b64 s[18:19], vcc
	s_cbranch_execz .LBB815_870
; %bb.869:                              ;   in Loop: Header=BB815_794 Depth=1
	v_and_b32_e32 v8, 7, v4
	v_ffbh_u32_e32 v16, v8
	v_min_u32_e32 v16, 32, v16
	v_subrev_u32_e32 v18, 28, v16
	v_lshlrev_b64 v[18:19], v18, v[4:5]
	v_lshrrev_b32_e32 v13, 3, v6
	v_sub_u32_e32 v16, 29, v16
	v_and_b32_e32 v18, 7, v18
	v_cmp_gt_u32_e32 vcc, 8, v6
	v_cndmask_b32_e32 v6, v13, v16, vcc
	v_cndmask_b32_e32 v8, v8, v18, vcc
	v_lshlrev_b32_e32 v13, 24, v4
	v_lshlrev_b32_e32 v8, 20, v8
	v_and_b32_e32 v13, 0x80000000, v13
	v_lshl_add_u32 v6, v6, 23, v10
	v_or3_b32 v6, v13, v6, v8
	v_lshrrev_b32_e32 v16, 16, v6
.LBB815_870:                            ;   in Loop: Header=BB815_794 Depth=1
	s_or_b64 exec, exec, s[18:19]
.LBB815_871:                            ;   in Loop: Header=BB815_794 Depth=1
	s_or_b64 exec, exec, s[16:17]
.LBB815_872:                            ;   in Loop: Header=BB815_794 Depth=1
	s_or_b64 exec, exec, s[14:15]
	v_lshrrev_b16_e32 v6, 8, v4
	v_cmp_ne_u16_e32 vcc, 0, v6
	v_mov_b32_e32 v18, 0
	v_mov_b32_e32 v8, 0
	s_and_saveexec_b64 s[14:15], vcc
	s_cbranch_execz .LBB815_878
; %bb.873:                              ;   in Loop: Header=BB815_794 Depth=1
	v_cmp_ne_u16_e32 vcc, s21, v6
	v_mov_b32_e32 v8, 0xffff8000
	s_and_saveexec_b64 s[16:17], vcc
	s_cbranch_execz .LBB815_877
; %bb.874:                              ;   in Loop: Header=BB815_794 Depth=1
	v_and_b32_e32 v13, 0x7f, v6
	v_cmp_ne_u32_e32 vcc, s23, v13
	v_mov_b32_e32 v8, 0x7f80
	s_and_saveexec_b64 s[18:19], vcc
	s_cbranch_execz .LBB815_876
; %bb.875:                              ;   in Loop: Header=BB815_794 Depth=1
	v_and_b32_e32 v8, 7, v6
	v_ffbh_u32_e32 v20, v8
	v_min_u32_e32 v22, 32, v20
	v_subrev_u32_e32 v20, 28, v22
	v_lshlrev_b64 v[20:21], v20, v[6:7]
	v_lshrrev_b32_e32 v19, 3, v13
	v_sub_u32_e32 v6, 29, v22
	v_and_b32_e32 v20, 7, v20
	v_cmp_gt_u32_e32 vcc, 8, v13
	v_cndmask_b32_e32 v6, v19, v6, vcc
	v_cndmask_b32_e32 v8, v8, v20, vcc
	v_lshlrev_b32_e32 v13, 16, v4
	v_lshlrev_b32_e32 v8, 20, v8
	v_and_b32_e32 v13, 0x80000000, v13
	v_lshl_add_u32 v6, v6, 23, v10
	v_or3_b32 v6, v13, v6, v8
	v_lshrrev_b32_e32 v8, 16, v6
.LBB815_876:                            ;   in Loop: Header=BB815_794 Depth=1
	s_or_b64 exec, exec, s[18:19]
.LBB815_877:                            ;   in Loop: Header=BB815_794 Depth=1
	s_or_b64 exec, exec, s[16:17]
.LBB815_878:                            ;   in Loop: Header=BB815_794 Depth=1
	s_or_b64 exec, exec, s[14:15]
	v_lshrrev_b32_e32 v6, 16, v4
	v_cmp_ne_u16_sdwa s[16:17], v6, v9 src0_sel:BYTE_0 src1_sel:DWORD
	s_and_saveexec_b64 s[14:15], s[16:17]
	s_cbranch_execz .LBB815_884
; %bb.879:                              ;   in Loop: Header=BB815_794 Depth=1
	v_cmp_ne_u16_sdwa s[18:19], v6, s21 src0_sel:BYTE_0 src1_sel:DWORD
	v_mov_b32_e32 v18, 0xffff8000
	s_and_saveexec_b64 s[16:17], s[18:19]
	s_cbranch_execz .LBB815_883
; %bb.880:                              ;   in Loop: Header=BB815_794 Depth=1
	v_bfe_u32 v13, v4, 16, 7
	v_cmp_ne_u32_e32 vcc, s23, v13
	v_mov_b32_e32 v18, 0x7f80
	s_and_saveexec_b64 s[18:19], vcc
	s_cbranch_execz .LBB815_882
; %bb.881:                              ;   in Loop: Header=BB815_794 Depth=1
	v_and_b32_e32 v20, 7, v6
	v_ffbh_u32_e32 v18, v20
	v_min_u32_e32 v22, 32, v18
	v_subrev_u32_e32 v18, 28, v22
	v_lshlrev_b64 v[18:19], v18, v[6:7]
	v_lshrrev_b32_e32 v21, 3, v13
	v_sub_u32_e32 v19, 29, v22
	v_and_b32_e32 v18, 7, v18
	v_cmp_gt_u32_e32 vcc, 8, v13
	v_cndmask_b32_e32 v13, v21, v19, vcc
	v_cndmask_b32_e32 v18, v20, v18, vcc
	v_lshlrev_b32_e32 v6, 24, v6
	v_lshlrev_b32_e32 v18, 20, v18
	v_and_b32_e32 v6, 0x80000000, v6
	v_lshl_add_u32 v13, v13, 23, v10
	v_or3_b32 v6, v6, v13, v18
	v_lshrrev_b32_e32 v18, 16, v6
.LBB815_882:                            ;   in Loop: Header=BB815_794 Depth=1
	s_or_b64 exec, exec, s[18:19]
.LBB815_883:                            ;   in Loop: Header=BB815_794 Depth=1
	s_or_b64 exec, exec, s[16:17]
.LBB815_884:                            ;   in Loop: Header=BB815_794 Depth=1
	s_or_b64 exec, exec, s[14:15]
	v_cmp_lt_u32_e32 vcc, s25, v4
	v_mov_b32_e32 v13, 0
	v_mov_b32_e32 v19, 0
	s_and_saveexec_b64 s[14:15], vcc
	s_cbranch_execz .LBB815_890
; %bb.885:                              ;   in Loop: Header=BB815_794 Depth=1
	v_lshrrev_b32_e32 v6, 24, v4
	v_cmp_ne_u32_e32 vcc, s21, v6
	v_mov_b32_e32 v19, 0xffff8000
	s_and_saveexec_b64 s[16:17], vcc
	s_cbranch_execz .LBB815_889
; %bb.886:                              ;   in Loop: Header=BB815_794 Depth=1
	v_bfe_u32 v4, v4, 24, 7
	v_cmp_ne_u32_e32 vcc, s23, v4
	v_mov_b32_e32 v19, 0x7f80
	s_and_saveexec_b64 s[18:19], vcc
	s_cbranch_execz .LBB815_888
; %bb.887:                              ;   in Loop: Header=BB815_794 Depth=1
	v_and_b32_e32 v19, 7, v6
	v_ffbh_u32_e32 v20, v19
	v_min_u32_e32 v23, 32, v20
	v_subrev_u32_e32 v20, 28, v23
	v_lshlrev_b64 v[20:21], v20, v[6:7]
	v_lshrrev_b32_e32 v22, 3, v4
	v_sub_u32_e32 v21, 29, v23
	v_and_b32_e32 v20, 7, v20
	v_cmp_gt_u32_e32 vcc, 8, v4
	v_cndmask_b32_e32 v4, v22, v21, vcc
	v_cndmask_b32_e32 v19, v19, v20, vcc
	v_lshlrev_b32_e32 v6, 24, v6
	v_lshlrev_b32_e32 v19, 20, v19
	v_and_b32_e32 v6, 0x80000000, v6
	v_lshl_add_u32 v4, v4, 23, v10
	v_or3_b32 v4, v6, v4, v19
	v_lshrrev_b32_e32 v19, 16, v4
.LBB815_888:                            ;   in Loop: Header=BB815_794 Depth=1
	s_or_b64 exec, exec, s[18:19]
.LBB815_889:                            ;   in Loop: Header=BB815_794 Depth=1
	s_or_b64 exec, exec, s[16:17]
.LBB815_890:                            ;   in Loop: Header=BB815_794 Depth=1
	s_or_b64 exec, exec, s[14:15]
	buffer_load_dword v6, v11, s[0:3], 0 offen offset:16
	buffer_load_dword v4, v11, s[0:3], 0 offen offset:20
	v_perm_b32 v15, v17, v15, s26
	v_perm_b32 v14, v14, v12, s26
	;; [unrolled: 1-line block ×4, first 2 shown]
	v_mfma_f32_4x4x4bf16_1k a[0:3], v[2:3], v[14:15], a[0:3] cbsz:4 abid:2
	s_waitcnt vmcnt(1)
	v_cmp_ne_u16_sdwa s[16:17], v6, v9 src0_sel:BYTE_0 src1_sel:DWORD
	v_mfma_f32_4x4x4bf16_1k a[0:3], v[2:3], v[16:17], a[0:3] cbsz:4 abid:3
	s_and_saveexec_b64 s[14:15], s[16:17]
	s_cbranch_execz .LBB815_896
; %bb.891:                              ;   in Loop: Header=BB815_794 Depth=1
	v_cmp_ne_u16_sdwa s[18:19], v6, s21 src0_sel:BYTE_0 src1_sel:DWORD
	v_mov_b32_e32 v13, 0xffff8000
	s_and_saveexec_b64 s[16:17], s[18:19]
	s_cbranch_execz .LBB815_895
; %bb.892:                              ;   in Loop: Header=BB815_794 Depth=1
	v_and_b32_e32 v8, 0x7f, v6
	v_cmp_ne_u32_e32 vcc, s23, v8
	v_mov_b32_e32 v13, 0x7f80
	s_and_saveexec_b64 s[18:19], vcc
	s_cbranch_execz .LBB815_894
; %bb.893:                              ;   in Loop: Header=BB815_794 Depth=1
	v_and_b32_e32 v14, 7, v6
	v_ffbh_u32_e32 v12, v14
	v_min_u32_e32 v16, 32, v12
	v_subrev_u32_e32 v12, 28, v16
	v_lshlrev_b64 v[12:13], v12, v[6:7]
	v_lshrrev_b32_e32 v15, 3, v8
	v_sub_u32_e32 v13, 29, v16
	v_and_b32_e32 v12, 7, v12
	v_cmp_gt_u32_e32 vcc, 8, v8
	v_cndmask_b32_e32 v8, v15, v13, vcc
	v_cndmask_b32_e32 v12, v14, v12, vcc
	v_lshlrev_b32_e32 v13, 24, v6
	v_lshlrev_b32_e32 v12, 20, v12
	v_and_b32_e32 v13, 0x80000000, v13
	v_lshl_add_u32 v8, v8, 23, v10
	v_or3_b32 v8, v13, v8, v12
	v_lshrrev_b32_e32 v13, 16, v8
.LBB815_894:                            ;   in Loop: Header=BB815_794 Depth=1
	s_or_b64 exec, exec, s[18:19]
.LBB815_895:                            ;   in Loop: Header=BB815_794 Depth=1
	s_or_b64 exec, exec, s[16:17]
.LBB815_896:                            ;   in Loop: Header=BB815_794 Depth=1
	s_or_b64 exec, exec, s[14:15]
	v_lshrrev_b16_e32 v8, 8, v6
	v_cmp_ne_u16_e32 vcc, 0, v8
	v_mov_b32_e32 v15, 0
	v_mov_b32_e32 v14, 0
	s_and_saveexec_b64 s[14:15], vcc
	s_cbranch_execz .LBB815_902
; %bb.897:                              ;   in Loop: Header=BB815_794 Depth=1
	v_cmp_ne_u16_e32 vcc, s21, v8
	v_mov_b32_e32 v14, 0xffff8000
	s_and_saveexec_b64 s[16:17], vcc
	s_cbranch_execz .LBB815_901
; %bb.898:                              ;   in Loop: Header=BB815_794 Depth=1
	v_and_b32_e32 v12, 0x7f, v8
	v_cmp_ne_u32_e32 vcc, s23, v12
	v_mov_b32_e32 v14, 0x7f80
	s_and_saveexec_b64 s[18:19], vcc
	s_cbranch_execz .LBB815_900
; %bb.899:                              ;   in Loop: Header=BB815_794 Depth=1
	v_and_b32_e32 v14, 7, v8
	v_ffbh_u32_e32 v16, v14
	v_min_u32_e32 v19, 32, v16
	v_subrev_u32_e32 v16, 28, v19
	v_lshlrev_b64 v[16:17], v16, v[8:9]
	v_lshrrev_b32_e32 v18, 3, v12
	v_sub_u32_e32 v8, 29, v19
	v_and_b32_e32 v16, 7, v16
	v_cmp_gt_u32_e32 vcc, 8, v12
	v_cndmask_b32_e32 v8, v18, v8, vcc
	v_cndmask_b32_e32 v12, v14, v16, vcc
	v_lshlrev_b32_e32 v14, 16, v6
	v_lshlrev_b32_e32 v12, 20, v12
	v_and_b32_e32 v14, 0x80000000, v14
	v_lshl_add_u32 v8, v8, 23, v10
	v_or3_b32 v8, v14, v8, v12
	v_lshrrev_b32_e32 v14, 16, v8
.LBB815_900:                            ;   in Loop: Header=BB815_794 Depth=1
	s_or_b64 exec, exec, s[18:19]
.LBB815_901:                            ;   in Loop: Header=BB815_794 Depth=1
	s_or_b64 exec, exec, s[16:17]
.LBB815_902:                            ;   in Loop: Header=BB815_794 Depth=1
	s_or_b64 exec, exec, s[14:15]
	v_lshrrev_b32_e32 v8, 16, v6
	v_cmp_ne_u16_sdwa s[16:17], v8, v9 src0_sel:BYTE_0 src1_sel:DWORD
	s_and_saveexec_b64 s[14:15], s[16:17]
	s_cbranch_execz .LBB815_908
; %bb.903:                              ;   in Loop: Header=BB815_794 Depth=1
	v_cmp_ne_u16_sdwa s[18:19], v8, s21 src0_sel:BYTE_0 src1_sel:DWORD
	v_mov_b32_e32 v15, 0xffff8000
	s_and_saveexec_b64 s[16:17], s[18:19]
	s_cbranch_execz .LBB815_907
; %bb.904:                              ;   in Loop: Header=BB815_794 Depth=1
	v_bfe_u32 v12, v6, 16, 7
	v_cmp_ne_u32_e32 vcc, s23, v12
	v_mov_b32_e32 v15, 0x7f80
	s_and_saveexec_b64 s[18:19], vcc
	s_cbranch_execz .LBB815_906
; %bb.905:                              ;   in Loop: Header=BB815_794 Depth=1
	v_and_b32_e32 v15, 7, v8
	v_ffbh_u32_e32 v16, v15
	v_min_u32_e32 v19, 32, v16
	v_subrev_u32_e32 v16, 28, v19
	v_lshlrev_b64 v[16:17], v16, v[8:9]
	v_lshrrev_b32_e32 v18, 3, v12
	v_sub_u32_e32 v17, 29, v19
	v_and_b32_e32 v16, 7, v16
	v_cmp_gt_u32_e32 vcc, 8, v12
	v_cndmask_b32_e32 v12, v18, v17, vcc
	v_cndmask_b32_e32 v15, v15, v16, vcc
	v_lshlrev_b32_e32 v8, 24, v8
	v_lshlrev_b32_e32 v15, 20, v15
	v_and_b32_e32 v8, 0x80000000, v8
	v_lshl_add_u32 v12, v12, 23, v10
	v_or3_b32 v8, v8, v12, v15
	v_lshrrev_b32_e32 v15, 16, v8
.LBB815_906:                            ;   in Loop: Header=BB815_794 Depth=1
	s_or_b64 exec, exec, s[18:19]
.LBB815_907:                            ;   in Loop: Header=BB815_794 Depth=1
	s_or_b64 exec, exec, s[16:17]
.LBB815_908:                            ;   in Loop: Header=BB815_794 Depth=1
	s_or_b64 exec, exec, s[14:15]
	v_cmp_lt_u32_e32 vcc, s25, v6
	v_mov_b32_e32 v16, 0
	v_mov_b32_e32 v17, 0
	s_and_saveexec_b64 s[14:15], vcc
	s_cbranch_execz .LBB815_914
; %bb.909:                              ;   in Loop: Header=BB815_794 Depth=1
	v_lshrrev_b32_e32 v8, 24, v6
	v_cmp_ne_u32_e32 vcc, s21, v8
	v_mov_b32_e32 v17, 0xffff8000
	s_and_saveexec_b64 s[16:17], vcc
	s_cbranch_execz .LBB815_913
; %bb.910:                              ;   in Loop: Header=BB815_794 Depth=1
	v_bfe_u32 v6, v6, 24, 7
	v_cmp_ne_u32_e32 vcc, s23, v6
	v_mov_b32_e32 v17, 0x7f80
	s_and_saveexec_b64 s[18:19], vcc
	s_cbranch_execz .LBB815_912
; %bb.911:                              ;   in Loop: Header=BB815_794 Depth=1
	v_and_b32_e32 v12, 7, v8
	v_ffbh_u32_e32 v18, v12
	v_min_u32_e32 v20, 32, v18
	v_subrev_u32_e32 v18, 28, v20
	v_lshlrev_b64 v[18:19], v18, v[8:9]
	v_lshrrev_b32_e32 v17, 3, v6
	v_sub_u32_e32 v19, 29, v20
	v_and_b32_e32 v18, 7, v18
	v_cmp_gt_u32_e32 vcc, 8, v6
	v_cndmask_b32_e32 v6, v17, v19, vcc
	v_cndmask_b32_e32 v12, v12, v18, vcc
	v_lshlrev_b32_e32 v8, 24, v8
	v_lshlrev_b32_e32 v12, 20, v12
	v_and_b32_e32 v8, 0x80000000, v8
	v_lshl_add_u32 v6, v6, 23, v10
	v_or3_b32 v6, v8, v6, v12
	v_lshrrev_b32_e32 v17, 16, v6
.LBB815_912:                            ;   in Loop: Header=BB815_794 Depth=1
	s_or_b64 exec, exec, s[18:19]
.LBB815_913:                            ;   in Loop: Header=BB815_794 Depth=1
	s_or_b64 exec, exec, s[16:17]
.LBB815_914:                            ;   in Loop: Header=BB815_794 Depth=1
	s_or_b64 exec, exec, s[14:15]
	s_waitcnt vmcnt(0)
	v_cmp_ne_u16_sdwa s[16:17], v4, v9 src0_sel:BYTE_0 src1_sel:DWORD
	s_and_saveexec_b64 s[14:15], s[16:17]
	s_cbranch_execz .LBB815_920
; %bb.915:                              ;   in Loop: Header=BB815_794 Depth=1
	v_cmp_ne_u16_sdwa s[18:19], v4, s21 src0_sel:BYTE_0 src1_sel:DWORD
	v_mov_b32_e32 v16, 0xffff8000
	s_and_saveexec_b64 s[16:17], s[18:19]
	s_cbranch_execz .LBB815_919
; %bb.916:                              ;   in Loop: Header=BB815_794 Depth=1
	v_and_b32_e32 v6, 0x7f, v4
	v_cmp_ne_u32_e32 vcc, s23, v6
	v_mov_b32_e32 v16, 0x7f80
	s_and_saveexec_b64 s[18:19], vcc
	s_cbranch_execz .LBB815_918
; %bb.917:                              ;   in Loop: Header=BB815_794 Depth=1
	v_and_b32_e32 v8, 7, v4
	v_ffbh_u32_e32 v16, v8
	v_min_u32_e32 v16, 32, v16
	v_subrev_u32_e32 v18, 28, v16
	v_lshlrev_b64 v[18:19], v18, v[4:5]
	v_lshrrev_b32_e32 v12, 3, v6
	v_sub_u32_e32 v16, 29, v16
	v_and_b32_e32 v18, 7, v18
	v_cmp_gt_u32_e32 vcc, 8, v6
	v_cndmask_b32_e32 v6, v12, v16, vcc
	v_cndmask_b32_e32 v8, v8, v18, vcc
	v_lshlrev_b32_e32 v12, 24, v4
	v_lshlrev_b32_e32 v8, 20, v8
	v_and_b32_e32 v12, 0x80000000, v12
	v_lshl_add_u32 v6, v6, 23, v10
	v_or3_b32 v6, v12, v6, v8
	v_lshrrev_b32_e32 v16, 16, v6
.LBB815_918:                            ;   in Loop: Header=BB815_794 Depth=1
	s_or_b64 exec, exec, s[18:19]
.LBB815_919:                            ;   in Loop: Header=BB815_794 Depth=1
	s_or_b64 exec, exec, s[16:17]
.LBB815_920:                            ;   in Loop: Header=BB815_794 Depth=1
	s_or_b64 exec, exec, s[14:15]
	v_lshrrev_b16_e32 v6, 8, v4
	v_cmp_ne_u16_e32 vcc, 0, v6
	v_mov_b32_e32 v18, 0
	v_mov_b32_e32 v8, 0
	s_and_saveexec_b64 s[14:15], vcc
	s_cbranch_execz .LBB815_926
; %bb.921:                              ;   in Loop: Header=BB815_794 Depth=1
	v_cmp_ne_u16_e32 vcc, s21, v6
	v_mov_b32_e32 v8, 0xffff8000
	s_and_saveexec_b64 s[16:17], vcc
	s_cbranch_execz .LBB815_925
; %bb.922:                              ;   in Loop: Header=BB815_794 Depth=1
	v_and_b32_e32 v12, 0x7f, v6
	v_cmp_ne_u32_e32 vcc, s23, v12
	v_mov_b32_e32 v8, 0x7f80
	s_and_saveexec_b64 s[18:19], vcc
	s_cbranch_execz .LBB815_924
; %bb.923:                              ;   in Loop: Header=BB815_794 Depth=1
	v_and_b32_e32 v8, 7, v6
	v_ffbh_u32_e32 v20, v8
	v_min_u32_e32 v22, 32, v20
	v_subrev_u32_e32 v20, 28, v22
	v_lshlrev_b64 v[20:21], v20, v[6:7]
	v_lshrrev_b32_e32 v19, 3, v12
	v_sub_u32_e32 v6, 29, v22
	v_and_b32_e32 v20, 7, v20
	v_cmp_gt_u32_e32 vcc, 8, v12
	v_cndmask_b32_e32 v6, v19, v6, vcc
	v_cndmask_b32_e32 v8, v8, v20, vcc
	v_lshlrev_b32_e32 v12, 16, v4
	v_lshlrev_b32_e32 v8, 20, v8
	v_and_b32_e32 v12, 0x80000000, v12
	v_lshl_add_u32 v6, v6, 23, v10
	v_or3_b32 v6, v12, v6, v8
	v_lshrrev_b32_e32 v8, 16, v6
.LBB815_924:                            ;   in Loop: Header=BB815_794 Depth=1
	s_or_b64 exec, exec, s[18:19]
.LBB815_925:                            ;   in Loop: Header=BB815_794 Depth=1
	s_or_b64 exec, exec, s[16:17]
.LBB815_926:                            ;   in Loop: Header=BB815_794 Depth=1
	s_or_b64 exec, exec, s[14:15]
	v_lshrrev_b32_e32 v6, 16, v4
	v_cmp_ne_u16_sdwa s[16:17], v6, v9 src0_sel:BYTE_0 src1_sel:DWORD
	s_and_saveexec_b64 s[14:15], s[16:17]
	s_cbranch_execz .LBB815_932
; %bb.927:                              ;   in Loop: Header=BB815_794 Depth=1
	v_cmp_ne_u16_sdwa s[18:19], v6, s21 src0_sel:BYTE_0 src1_sel:DWORD
	v_mov_b32_e32 v18, 0xffff8000
	s_and_saveexec_b64 s[16:17], s[18:19]
	s_cbranch_execz .LBB815_931
; %bb.928:                              ;   in Loop: Header=BB815_794 Depth=1
	v_bfe_u32 v12, v4, 16, 7
	v_cmp_ne_u32_e32 vcc, s23, v12
	v_mov_b32_e32 v18, 0x7f80
	s_and_saveexec_b64 s[18:19], vcc
	s_cbranch_execz .LBB815_930
; %bb.929:                              ;   in Loop: Header=BB815_794 Depth=1
	v_and_b32_e32 v20, 7, v6
	v_ffbh_u32_e32 v18, v20
	v_min_u32_e32 v22, 32, v18
	v_subrev_u32_e32 v18, 28, v22
	v_lshlrev_b64 v[18:19], v18, v[6:7]
	v_lshrrev_b32_e32 v21, 3, v12
	v_sub_u32_e32 v19, 29, v22
	v_and_b32_e32 v18, 7, v18
	v_cmp_gt_u32_e32 vcc, 8, v12
	v_cndmask_b32_e32 v12, v21, v19, vcc
	v_cndmask_b32_e32 v18, v20, v18, vcc
	v_lshlrev_b32_e32 v6, 24, v6
	v_lshlrev_b32_e32 v18, 20, v18
	v_and_b32_e32 v6, 0x80000000, v6
	v_lshl_add_u32 v12, v12, 23, v10
	v_or3_b32 v6, v6, v12, v18
	v_lshrrev_b32_e32 v18, 16, v6
.LBB815_930:                            ;   in Loop: Header=BB815_794 Depth=1
	s_or_b64 exec, exec, s[18:19]
.LBB815_931:                            ;   in Loop: Header=BB815_794 Depth=1
	s_or_b64 exec, exec, s[16:17]
.LBB815_932:                            ;   in Loop: Header=BB815_794 Depth=1
	s_or_b64 exec, exec, s[14:15]
	v_cmp_lt_u32_e32 vcc, s25, v4
	v_mov_b32_e32 v12, 0
	v_mov_b32_e32 v19, 0
	s_and_saveexec_b64 s[14:15], vcc
	s_cbranch_execz .LBB815_938
; %bb.933:                              ;   in Loop: Header=BB815_794 Depth=1
	v_lshrrev_b32_e32 v6, 24, v4
	v_cmp_ne_u32_e32 vcc, s21, v6
	v_mov_b32_e32 v19, 0xffff8000
	s_and_saveexec_b64 s[16:17], vcc
	s_cbranch_execz .LBB815_937
; %bb.934:                              ;   in Loop: Header=BB815_794 Depth=1
	v_bfe_u32 v4, v4, 24, 7
	v_cmp_ne_u32_e32 vcc, s23, v4
	v_mov_b32_e32 v19, 0x7f80
	s_and_saveexec_b64 s[18:19], vcc
	s_cbranch_execz .LBB815_936
; %bb.935:                              ;   in Loop: Header=BB815_794 Depth=1
	v_and_b32_e32 v19, 7, v6
	v_ffbh_u32_e32 v20, v19
	v_min_u32_e32 v23, 32, v20
	v_subrev_u32_e32 v20, 28, v23
	v_lshlrev_b64 v[20:21], v20, v[6:7]
	v_lshrrev_b32_e32 v22, 3, v4
	v_sub_u32_e32 v21, 29, v23
	v_and_b32_e32 v20, 7, v20
	v_cmp_gt_u32_e32 vcc, 8, v4
	v_cndmask_b32_e32 v4, v22, v21, vcc
	v_cndmask_b32_e32 v19, v19, v20, vcc
	v_lshlrev_b32_e32 v6, 24, v6
	v_lshlrev_b32_e32 v19, 20, v19
	v_and_b32_e32 v6, 0x80000000, v6
	v_lshl_add_u32 v4, v4, 23, v10
	v_or3_b32 v4, v6, v4, v19
	v_lshrrev_b32_e32 v19, 16, v4
.LBB815_936:                            ;   in Loop: Header=BB815_794 Depth=1
	s_or_b64 exec, exec, s[18:19]
.LBB815_937:                            ;   in Loop: Header=BB815_794 Depth=1
	s_or_b64 exec, exec, s[16:17]
.LBB815_938:                            ;   in Loop: Header=BB815_794 Depth=1
	s_or_b64 exec, exec, s[14:15]
	buffer_load_dword v6, v11, s[0:3], 0 offen offset:24
	buffer_load_dword v4, v11, s[0:3], 0 offen offset:28
	v_perm_b32 v15, v17, v15, s26
	v_perm_b32 v14, v14, v13, s26
	;; [unrolled: 1-line block ×4, first 2 shown]
	v_mfma_f32_4x4x4bf16_1k a[0:3], v[2:3], v[14:15], a[0:3] cbsz:4 abid:4
	s_waitcnt vmcnt(1)
	v_cmp_ne_u16_sdwa s[16:17], v6, v9 src0_sel:BYTE_0 src1_sel:DWORD
	v_mfma_f32_4x4x4bf16_1k a[0:3], v[2:3], v[16:17], a[0:3] cbsz:4 abid:5
	s_and_saveexec_b64 s[14:15], s[16:17]
	s_cbranch_execz .LBB815_944
; %bb.939:                              ;   in Loop: Header=BB815_794 Depth=1
	v_cmp_ne_u16_sdwa s[18:19], v6, s21 src0_sel:BYTE_0 src1_sel:DWORD
	v_mov_b32_e32 v12, 0xffff8000
	s_and_saveexec_b64 s[16:17], s[18:19]
	s_cbranch_execz .LBB815_943
; %bb.940:                              ;   in Loop: Header=BB815_794 Depth=1
	v_and_b32_e32 v8, 0x7f, v6
	v_cmp_ne_u32_e32 vcc, s23, v8
	v_mov_b32_e32 v12, 0x7f80
	s_and_saveexec_b64 s[18:19], vcc
	s_cbranch_execz .LBB815_942
; %bb.941:                              ;   in Loop: Header=BB815_794 Depth=1
	v_and_b32_e32 v14, 7, v6
	v_ffbh_u32_e32 v12, v14
	v_min_u32_e32 v16, 32, v12
	v_subrev_u32_e32 v12, 28, v16
	v_lshlrev_b64 v[12:13], v12, v[6:7]
	v_lshrrev_b32_e32 v15, 3, v8
	v_sub_u32_e32 v13, 29, v16
	v_and_b32_e32 v12, 7, v12
	v_cmp_gt_u32_e32 vcc, 8, v8
	v_cndmask_b32_e32 v8, v15, v13, vcc
	v_cndmask_b32_e32 v12, v14, v12, vcc
	v_lshlrev_b32_e32 v13, 24, v6
	v_lshlrev_b32_e32 v12, 20, v12
	v_and_b32_e32 v13, 0x80000000, v13
	v_lshl_add_u32 v8, v8, 23, v10
	v_or3_b32 v8, v13, v8, v12
	v_lshrrev_b32_e32 v12, 16, v8
.LBB815_942:                            ;   in Loop: Header=BB815_794 Depth=1
	s_or_b64 exec, exec, s[18:19]
.LBB815_943:                            ;   in Loop: Header=BB815_794 Depth=1
	s_or_b64 exec, exec, s[16:17]
.LBB815_944:                            ;   in Loop: Header=BB815_794 Depth=1
	s_or_b64 exec, exec, s[14:15]
	v_lshrrev_b16_e32 v8, 8, v6
	v_cmp_ne_u16_e32 vcc, 0, v8
	v_mov_b32_e32 v15, 0
	v_mov_b32_e32 v14, 0
	s_and_saveexec_b64 s[14:15], vcc
	s_cbranch_execz .LBB815_950
; %bb.945:                              ;   in Loop: Header=BB815_794 Depth=1
	v_cmp_ne_u16_e32 vcc, s21, v8
	v_mov_b32_e32 v14, 0xffff8000
	s_and_saveexec_b64 s[16:17], vcc
	s_cbranch_execz .LBB815_949
; %bb.946:                              ;   in Loop: Header=BB815_794 Depth=1
	v_and_b32_e32 v13, 0x7f, v8
	v_cmp_ne_u32_e32 vcc, s23, v13
	v_mov_b32_e32 v14, 0x7f80
	s_and_saveexec_b64 s[18:19], vcc
	s_cbranch_execz .LBB815_948
; %bb.947:                              ;   in Loop: Header=BB815_794 Depth=1
	v_and_b32_e32 v14, 7, v8
	v_ffbh_u32_e32 v16, v14
	v_min_u32_e32 v19, 32, v16
	v_subrev_u32_e32 v16, 28, v19
	v_lshlrev_b64 v[16:17], v16, v[8:9]
	v_lshrrev_b32_e32 v18, 3, v13
	v_sub_u32_e32 v8, 29, v19
	v_and_b32_e32 v16, 7, v16
	v_cmp_gt_u32_e32 vcc, 8, v13
	v_cndmask_b32_e32 v8, v18, v8, vcc
	v_cndmask_b32_e32 v13, v14, v16, vcc
	v_lshlrev_b32_e32 v14, 16, v6
	v_lshlrev_b32_e32 v13, 20, v13
	v_and_b32_e32 v14, 0x80000000, v14
	v_lshl_add_u32 v8, v8, 23, v10
	v_or3_b32 v8, v14, v8, v13
	v_lshrrev_b32_e32 v14, 16, v8
.LBB815_948:                            ;   in Loop: Header=BB815_794 Depth=1
	s_or_b64 exec, exec, s[18:19]
.LBB815_949:                            ;   in Loop: Header=BB815_794 Depth=1
	s_or_b64 exec, exec, s[16:17]
.LBB815_950:                            ;   in Loop: Header=BB815_794 Depth=1
	s_or_b64 exec, exec, s[14:15]
	v_lshrrev_b32_e32 v8, 16, v6
	v_cmp_ne_u16_sdwa s[16:17], v8, v9 src0_sel:BYTE_0 src1_sel:DWORD
	s_and_saveexec_b64 s[14:15], s[16:17]
	s_cbranch_execz .LBB815_956
; %bb.951:                              ;   in Loop: Header=BB815_794 Depth=1
	v_cmp_ne_u16_sdwa s[18:19], v8, s21 src0_sel:BYTE_0 src1_sel:DWORD
	v_mov_b32_e32 v15, 0xffff8000
	s_and_saveexec_b64 s[16:17], s[18:19]
	s_cbranch_execz .LBB815_955
; %bb.952:                              ;   in Loop: Header=BB815_794 Depth=1
	v_bfe_u32 v13, v6, 16, 7
	v_cmp_ne_u32_e32 vcc, s23, v13
	v_mov_b32_e32 v15, 0x7f80
	s_and_saveexec_b64 s[18:19], vcc
	s_cbranch_execz .LBB815_954
; %bb.953:                              ;   in Loop: Header=BB815_794 Depth=1
	v_and_b32_e32 v15, 7, v8
	v_ffbh_u32_e32 v16, v15
	v_min_u32_e32 v19, 32, v16
	v_subrev_u32_e32 v16, 28, v19
	v_lshlrev_b64 v[16:17], v16, v[8:9]
	v_lshrrev_b32_e32 v18, 3, v13
	v_sub_u32_e32 v17, 29, v19
	v_and_b32_e32 v16, 7, v16
	v_cmp_gt_u32_e32 vcc, 8, v13
	v_cndmask_b32_e32 v13, v18, v17, vcc
	v_cndmask_b32_e32 v15, v15, v16, vcc
	v_lshlrev_b32_e32 v8, 24, v8
	v_lshlrev_b32_e32 v15, 20, v15
	v_and_b32_e32 v8, 0x80000000, v8
	v_lshl_add_u32 v13, v13, 23, v10
	v_or3_b32 v8, v8, v13, v15
	v_lshrrev_b32_e32 v15, 16, v8
.LBB815_954:                            ;   in Loop: Header=BB815_794 Depth=1
	s_or_b64 exec, exec, s[18:19]
.LBB815_955:                            ;   in Loop: Header=BB815_794 Depth=1
	s_or_b64 exec, exec, s[16:17]
.LBB815_956:                            ;   in Loop: Header=BB815_794 Depth=1
	s_or_b64 exec, exec, s[14:15]
	v_cmp_lt_u32_e32 vcc, s25, v6
	v_mov_b32_e32 v16, 0
	v_mov_b32_e32 v17, 0
	s_and_saveexec_b64 s[14:15], vcc
	s_cbranch_execz .LBB815_962
; %bb.957:                              ;   in Loop: Header=BB815_794 Depth=1
	v_lshrrev_b32_e32 v8, 24, v6
	v_cmp_ne_u32_e32 vcc, s21, v8
	v_mov_b32_e32 v17, 0xffff8000
	s_and_saveexec_b64 s[16:17], vcc
	s_cbranch_execz .LBB815_961
; %bb.958:                              ;   in Loop: Header=BB815_794 Depth=1
	v_bfe_u32 v6, v6, 24, 7
	v_cmp_ne_u32_e32 vcc, s23, v6
	v_mov_b32_e32 v17, 0x7f80
	s_and_saveexec_b64 s[18:19], vcc
	s_cbranch_execz .LBB815_960
; %bb.959:                              ;   in Loop: Header=BB815_794 Depth=1
	v_and_b32_e32 v13, 7, v8
	v_ffbh_u32_e32 v18, v13
	v_min_u32_e32 v20, 32, v18
	v_subrev_u32_e32 v18, 28, v20
	v_lshlrev_b64 v[18:19], v18, v[8:9]
	v_lshrrev_b32_e32 v17, 3, v6
	v_sub_u32_e32 v19, 29, v20
	v_and_b32_e32 v18, 7, v18
	v_cmp_gt_u32_e32 vcc, 8, v6
	v_cndmask_b32_e32 v6, v17, v19, vcc
	v_cndmask_b32_e32 v13, v13, v18, vcc
	v_lshlrev_b32_e32 v8, 24, v8
	v_lshlrev_b32_e32 v13, 20, v13
	v_and_b32_e32 v8, 0x80000000, v8
	v_lshl_add_u32 v6, v6, 23, v10
	v_or3_b32 v6, v8, v6, v13
	v_lshrrev_b32_e32 v17, 16, v6
.LBB815_960:                            ;   in Loop: Header=BB815_794 Depth=1
	s_or_b64 exec, exec, s[18:19]
.LBB815_961:                            ;   in Loop: Header=BB815_794 Depth=1
	s_or_b64 exec, exec, s[16:17]
.LBB815_962:                            ;   in Loop: Header=BB815_794 Depth=1
	s_or_b64 exec, exec, s[14:15]
	s_waitcnt vmcnt(0)
	v_cmp_ne_u16_sdwa s[16:17], v4, v9 src0_sel:BYTE_0 src1_sel:DWORD
	s_and_saveexec_b64 s[14:15], s[16:17]
	s_cbranch_execz .LBB815_968
; %bb.963:                              ;   in Loop: Header=BB815_794 Depth=1
	v_cmp_ne_u16_sdwa s[18:19], v4, s21 src0_sel:BYTE_0 src1_sel:DWORD
	v_mov_b32_e32 v16, 0xffff8000
	s_and_saveexec_b64 s[16:17], s[18:19]
	s_cbranch_execz .LBB815_967
; %bb.964:                              ;   in Loop: Header=BB815_794 Depth=1
	v_and_b32_e32 v6, 0x7f, v4
	v_cmp_ne_u32_e32 vcc, s23, v6
	v_mov_b32_e32 v16, 0x7f80
	s_and_saveexec_b64 s[18:19], vcc
	s_cbranch_execz .LBB815_966
; %bb.965:                              ;   in Loop: Header=BB815_794 Depth=1
	v_and_b32_e32 v8, 7, v4
	v_ffbh_u32_e32 v16, v8
	v_min_u32_e32 v16, 32, v16
	v_subrev_u32_e32 v18, 28, v16
	v_lshlrev_b64 v[18:19], v18, v[4:5]
	v_lshrrev_b32_e32 v13, 3, v6
	v_sub_u32_e32 v16, 29, v16
	v_and_b32_e32 v18, 7, v18
	v_cmp_gt_u32_e32 vcc, 8, v6
	v_cndmask_b32_e32 v6, v13, v16, vcc
	v_cndmask_b32_e32 v8, v8, v18, vcc
	v_lshlrev_b32_e32 v13, 24, v4
	v_lshlrev_b32_e32 v8, 20, v8
	v_and_b32_e32 v13, 0x80000000, v13
	v_lshl_add_u32 v6, v6, 23, v10
	v_or3_b32 v6, v13, v6, v8
	v_lshrrev_b32_e32 v16, 16, v6
.LBB815_966:                            ;   in Loop: Header=BB815_794 Depth=1
	s_or_b64 exec, exec, s[18:19]
.LBB815_967:                            ;   in Loop: Header=BB815_794 Depth=1
	s_or_b64 exec, exec, s[16:17]
.LBB815_968:                            ;   in Loop: Header=BB815_794 Depth=1
	s_or_b64 exec, exec, s[14:15]
	v_lshrrev_b16_e32 v6, 8, v4
	v_cmp_ne_u16_e32 vcc, 0, v6
	v_mov_b32_e32 v18, 0
	v_mov_b32_e32 v8, 0
	s_and_saveexec_b64 s[14:15], vcc
	s_cbranch_execz .LBB815_974
; %bb.969:                              ;   in Loop: Header=BB815_794 Depth=1
	v_cmp_ne_u16_e32 vcc, s21, v6
	v_mov_b32_e32 v8, 0xffff8000
	s_and_saveexec_b64 s[16:17], vcc
	s_cbranch_execz .LBB815_973
; %bb.970:                              ;   in Loop: Header=BB815_794 Depth=1
	v_and_b32_e32 v13, 0x7f, v6
	v_cmp_ne_u32_e32 vcc, s23, v13
	v_mov_b32_e32 v8, 0x7f80
	s_and_saveexec_b64 s[18:19], vcc
	s_cbranch_execz .LBB815_972
; %bb.971:                              ;   in Loop: Header=BB815_794 Depth=1
	v_and_b32_e32 v8, 7, v6
	v_ffbh_u32_e32 v20, v8
	v_min_u32_e32 v22, 32, v20
	v_subrev_u32_e32 v20, 28, v22
	v_lshlrev_b64 v[20:21], v20, v[6:7]
	v_lshrrev_b32_e32 v19, 3, v13
	v_sub_u32_e32 v6, 29, v22
	v_and_b32_e32 v20, 7, v20
	v_cmp_gt_u32_e32 vcc, 8, v13
	v_cndmask_b32_e32 v6, v19, v6, vcc
	v_cndmask_b32_e32 v8, v8, v20, vcc
	v_lshlrev_b32_e32 v13, 16, v4
	v_lshlrev_b32_e32 v8, 20, v8
	v_and_b32_e32 v13, 0x80000000, v13
	v_lshl_add_u32 v6, v6, 23, v10
	v_or3_b32 v6, v13, v6, v8
	v_lshrrev_b32_e32 v8, 16, v6
.LBB815_972:                            ;   in Loop: Header=BB815_794 Depth=1
	s_or_b64 exec, exec, s[18:19]
.LBB815_973:                            ;   in Loop: Header=BB815_794 Depth=1
	s_or_b64 exec, exec, s[16:17]
.LBB815_974:                            ;   in Loop: Header=BB815_794 Depth=1
	s_or_b64 exec, exec, s[14:15]
	v_lshrrev_b32_e32 v6, 16, v4
	v_cmp_ne_u16_sdwa s[16:17], v6, v9 src0_sel:BYTE_0 src1_sel:DWORD
	s_and_saveexec_b64 s[14:15], s[16:17]
	s_cbranch_execz .LBB815_980
; %bb.975:                              ;   in Loop: Header=BB815_794 Depth=1
	v_cmp_ne_u16_sdwa s[18:19], v6, s21 src0_sel:BYTE_0 src1_sel:DWORD
	v_mov_b32_e32 v18, 0xffff8000
	s_and_saveexec_b64 s[16:17], s[18:19]
	s_cbranch_execz .LBB815_979
; %bb.976:                              ;   in Loop: Header=BB815_794 Depth=1
	v_bfe_u32 v13, v4, 16, 7
	v_cmp_ne_u32_e32 vcc, s23, v13
	v_mov_b32_e32 v18, 0x7f80
	s_and_saveexec_b64 s[18:19], vcc
	s_cbranch_execz .LBB815_978
; %bb.977:                              ;   in Loop: Header=BB815_794 Depth=1
	v_and_b32_e32 v20, 7, v6
	v_ffbh_u32_e32 v18, v20
	v_min_u32_e32 v22, 32, v18
	v_subrev_u32_e32 v18, 28, v22
	v_lshlrev_b64 v[18:19], v18, v[6:7]
	v_lshrrev_b32_e32 v21, 3, v13
	v_sub_u32_e32 v19, 29, v22
	v_and_b32_e32 v18, 7, v18
	v_cmp_gt_u32_e32 vcc, 8, v13
	v_cndmask_b32_e32 v13, v21, v19, vcc
	v_cndmask_b32_e32 v18, v20, v18, vcc
	v_lshlrev_b32_e32 v6, 24, v6
	v_lshlrev_b32_e32 v18, 20, v18
	v_and_b32_e32 v6, 0x80000000, v6
	v_lshl_add_u32 v13, v13, 23, v10
	v_or3_b32 v6, v6, v13, v18
	v_lshrrev_b32_e32 v18, 16, v6
.LBB815_978:                            ;   in Loop: Header=BB815_794 Depth=1
	s_or_b64 exec, exec, s[18:19]
.LBB815_979:                            ;   in Loop: Header=BB815_794 Depth=1
	s_or_b64 exec, exec, s[16:17]
.LBB815_980:                            ;   in Loop: Header=BB815_794 Depth=1
	s_or_b64 exec, exec, s[14:15]
	v_cmp_lt_u32_e32 vcc, s25, v4
	v_mov_b32_e32 v13, 0
	v_mov_b32_e32 v19, 0
	s_and_saveexec_b64 s[14:15], vcc
	s_cbranch_execz .LBB815_986
; %bb.981:                              ;   in Loop: Header=BB815_794 Depth=1
	v_lshrrev_b32_e32 v6, 24, v4
	v_cmp_ne_u32_e32 vcc, s21, v6
	v_mov_b32_e32 v19, 0xffff8000
	s_and_saveexec_b64 s[16:17], vcc
	s_cbranch_execz .LBB815_985
; %bb.982:                              ;   in Loop: Header=BB815_794 Depth=1
	v_bfe_u32 v4, v4, 24, 7
	v_cmp_ne_u32_e32 vcc, s23, v4
	v_mov_b32_e32 v19, 0x7f80
	s_and_saveexec_b64 s[18:19], vcc
	s_cbranch_execz .LBB815_984
; %bb.983:                              ;   in Loop: Header=BB815_794 Depth=1
	v_and_b32_e32 v19, 7, v6
	v_ffbh_u32_e32 v20, v19
	v_min_u32_e32 v23, 32, v20
	v_subrev_u32_e32 v20, 28, v23
	v_lshlrev_b64 v[20:21], v20, v[6:7]
	v_lshrrev_b32_e32 v22, 3, v4
	v_sub_u32_e32 v21, 29, v23
	v_and_b32_e32 v20, 7, v20
	v_cmp_gt_u32_e32 vcc, 8, v4
	v_cndmask_b32_e32 v4, v22, v21, vcc
	v_cndmask_b32_e32 v19, v19, v20, vcc
	v_lshlrev_b32_e32 v6, 24, v6
	v_lshlrev_b32_e32 v19, 20, v19
	v_and_b32_e32 v6, 0x80000000, v6
	v_lshl_add_u32 v4, v4, 23, v10
	v_or3_b32 v4, v6, v4, v19
	v_lshrrev_b32_e32 v19, 16, v4
.LBB815_984:                            ;   in Loop: Header=BB815_794 Depth=1
	s_or_b64 exec, exec, s[18:19]
.LBB815_985:                            ;   in Loop: Header=BB815_794 Depth=1
	s_or_b64 exec, exec, s[16:17]
.LBB815_986:                            ;   in Loop: Header=BB815_794 Depth=1
	s_or_b64 exec, exec, s[14:15]
	buffer_load_dword v6, v11, s[0:3], 0 offen offset:32
	buffer_load_dword v4, v11, s[0:3], 0 offen offset:36
	v_perm_b32 v15, v17, v15, s26
	v_perm_b32 v14, v14, v12, s26
	;; [unrolled: 1-line block ×4, first 2 shown]
	v_mfma_f32_4x4x4bf16_1k a[0:3], v[2:3], v[14:15], a[0:3] cbsz:4 abid:6
	s_waitcnt vmcnt(1)
	v_cmp_ne_u16_sdwa s[16:17], v6, v9 src0_sel:BYTE_0 src1_sel:DWORD
	v_mfma_f32_4x4x4bf16_1k a[0:3], v[2:3], v[16:17], a[0:3] cbsz:4 abid:7
	s_and_saveexec_b64 s[14:15], s[16:17]
	s_cbranch_execz .LBB815_992
; %bb.987:                              ;   in Loop: Header=BB815_794 Depth=1
	v_cmp_ne_u16_sdwa s[18:19], v6, s21 src0_sel:BYTE_0 src1_sel:DWORD
	v_mov_b32_e32 v13, 0xffff8000
	s_and_saveexec_b64 s[16:17], s[18:19]
	s_cbranch_execz .LBB815_991
; %bb.988:                              ;   in Loop: Header=BB815_794 Depth=1
	v_and_b32_e32 v8, 0x7f, v6
	v_cmp_ne_u32_e32 vcc, s23, v8
	v_mov_b32_e32 v13, 0x7f80
	s_and_saveexec_b64 s[18:19], vcc
	s_cbranch_execz .LBB815_990
; %bb.989:                              ;   in Loop: Header=BB815_794 Depth=1
	v_and_b32_e32 v14, 7, v6
	v_ffbh_u32_e32 v12, v14
	v_min_u32_e32 v16, 32, v12
	v_subrev_u32_e32 v12, 28, v16
	v_lshlrev_b64 v[12:13], v12, v[6:7]
	v_lshrrev_b32_e32 v15, 3, v8
	v_sub_u32_e32 v13, 29, v16
	v_and_b32_e32 v12, 7, v12
	v_cmp_gt_u32_e32 vcc, 8, v8
	v_cndmask_b32_e32 v8, v15, v13, vcc
	v_cndmask_b32_e32 v12, v14, v12, vcc
	v_lshlrev_b32_e32 v13, 24, v6
	v_lshlrev_b32_e32 v12, 20, v12
	v_and_b32_e32 v13, 0x80000000, v13
	v_lshl_add_u32 v8, v8, 23, v10
	v_or3_b32 v8, v13, v8, v12
	v_lshrrev_b32_e32 v13, 16, v8
.LBB815_990:                            ;   in Loop: Header=BB815_794 Depth=1
	s_or_b64 exec, exec, s[18:19]
.LBB815_991:                            ;   in Loop: Header=BB815_794 Depth=1
	s_or_b64 exec, exec, s[16:17]
.LBB815_992:                            ;   in Loop: Header=BB815_794 Depth=1
	s_or_b64 exec, exec, s[14:15]
	v_lshrrev_b16_e32 v8, 8, v6
	v_cmp_ne_u16_e32 vcc, 0, v8
	v_mov_b32_e32 v15, 0
	v_mov_b32_e32 v12, 0
	s_and_saveexec_b64 s[14:15], vcc
	s_cbranch_execz .LBB815_998
; %bb.993:                              ;   in Loop: Header=BB815_794 Depth=1
	v_cmp_ne_u16_e32 vcc, s21, v8
	v_mov_b32_e32 v12, 0xffff8000
	s_and_saveexec_b64 s[16:17], vcc
	s_cbranch_execz .LBB815_997
; %bb.994:                              ;   in Loop: Header=BB815_794 Depth=1
	v_and_b32_e32 v14, 0x7f, v8
	v_cmp_ne_u32_e32 vcc, s23, v14
	v_mov_b32_e32 v12, 0x7f80
	s_and_saveexec_b64 s[18:19], vcc
	s_cbranch_execz .LBB815_996
; %bb.995:                              ;   in Loop: Header=BB815_794 Depth=1
	v_and_b32_e32 v12, 7, v8
	v_ffbh_u32_e32 v16, v12
	v_min_u32_e32 v19, 32, v16
	v_subrev_u32_e32 v16, 28, v19
	v_lshlrev_b64 v[16:17], v16, v[8:9]
	v_lshrrev_b32_e32 v18, 3, v14
	v_sub_u32_e32 v8, 29, v19
	v_and_b32_e32 v16, 7, v16
	v_cmp_gt_u32_e32 vcc, 8, v14
	v_cndmask_b32_e32 v8, v18, v8, vcc
	v_cndmask_b32_e32 v12, v12, v16, vcc
	v_lshlrev_b32_e32 v14, 16, v6
	v_lshlrev_b32_e32 v12, 20, v12
	v_and_b32_e32 v14, 0x80000000, v14
	v_lshl_add_u32 v8, v8, 23, v10
	v_or3_b32 v8, v14, v8, v12
	v_lshrrev_b32_e32 v12, 16, v8
.LBB815_996:                            ;   in Loop: Header=BB815_794 Depth=1
	s_or_b64 exec, exec, s[18:19]
.LBB815_997:                            ;   in Loop: Header=BB815_794 Depth=1
	s_or_b64 exec, exec, s[16:17]
.LBB815_998:                            ;   in Loop: Header=BB815_794 Depth=1
	s_or_b64 exec, exec, s[14:15]
	v_lshrrev_b32_e32 v8, 16, v6
	v_cmp_ne_u16_sdwa s[16:17], v8, v9 src0_sel:BYTE_0 src1_sel:DWORD
	s_and_saveexec_b64 s[14:15], s[16:17]
	s_cbranch_execz .LBB815_1004
; %bb.999:                              ;   in Loop: Header=BB815_794 Depth=1
	v_cmp_ne_u16_sdwa s[18:19], v8, s21 src0_sel:BYTE_0 src1_sel:DWORD
	v_mov_b32_e32 v15, 0xffff8000
	s_and_saveexec_b64 s[16:17], s[18:19]
	s_cbranch_execz .LBB815_1003
; %bb.1000:                             ;   in Loop: Header=BB815_794 Depth=1
	v_bfe_u32 v14, v6, 16, 7
	v_cmp_ne_u32_e32 vcc, s23, v14
	v_mov_b32_e32 v15, 0x7f80
	s_and_saveexec_b64 s[18:19], vcc
	s_cbranch_execz .LBB815_1002
; %bb.1001:                             ;   in Loop: Header=BB815_794 Depth=1
	v_and_b32_e32 v15, 7, v8
	v_ffbh_u32_e32 v16, v15
	v_min_u32_e32 v19, 32, v16
	v_subrev_u32_e32 v16, 28, v19
	v_lshlrev_b64 v[16:17], v16, v[8:9]
	v_lshrrev_b32_e32 v18, 3, v14
	v_sub_u32_e32 v17, 29, v19
	v_and_b32_e32 v16, 7, v16
	v_cmp_gt_u32_e32 vcc, 8, v14
	v_cndmask_b32_e32 v14, v18, v17, vcc
	v_cndmask_b32_e32 v15, v15, v16, vcc
	v_lshlrev_b32_e32 v8, 24, v8
	v_lshlrev_b32_e32 v15, 20, v15
	v_and_b32_e32 v8, 0x80000000, v8
	v_lshl_add_u32 v14, v14, 23, v10
	v_or3_b32 v8, v8, v14, v15
	v_lshrrev_b32_e32 v15, 16, v8
.LBB815_1002:                           ;   in Loop: Header=BB815_794 Depth=1
	s_or_b64 exec, exec, s[18:19]
.LBB815_1003:                           ;   in Loop: Header=BB815_794 Depth=1
	s_or_b64 exec, exec, s[16:17]
.LBB815_1004:                           ;   in Loop: Header=BB815_794 Depth=1
	s_or_b64 exec, exec, s[14:15]
	v_cmp_lt_u32_e32 vcc, s25, v6
	v_mov_b32_e32 v16, 0
	v_mov_b32_e32 v17, 0
	s_and_saveexec_b64 s[14:15], vcc
	s_cbranch_execz .LBB815_1010
; %bb.1005:                             ;   in Loop: Header=BB815_794 Depth=1
	v_lshrrev_b32_e32 v8, 24, v6
	v_cmp_ne_u32_e32 vcc, s21, v8
	v_mov_b32_e32 v17, 0xffff8000
	s_and_saveexec_b64 s[16:17], vcc
	s_cbranch_execz .LBB815_1009
; %bb.1006:                             ;   in Loop: Header=BB815_794 Depth=1
	v_bfe_u32 v6, v6, 24, 7
	v_cmp_ne_u32_e32 vcc, s23, v6
	v_mov_b32_e32 v17, 0x7f80
	s_and_saveexec_b64 s[18:19], vcc
	s_cbranch_execz .LBB815_1008
; %bb.1007:                             ;   in Loop: Header=BB815_794 Depth=1
	v_and_b32_e32 v14, 7, v8
	v_ffbh_u32_e32 v18, v14
	v_min_u32_e32 v20, 32, v18
	v_subrev_u32_e32 v18, 28, v20
	v_lshlrev_b64 v[18:19], v18, v[8:9]
	v_lshrrev_b32_e32 v17, 3, v6
	v_sub_u32_e32 v19, 29, v20
	v_and_b32_e32 v18, 7, v18
	v_cmp_gt_u32_e32 vcc, 8, v6
	v_cndmask_b32_e32 v6, v17, v19, vcc
	v_cndmask_b32_e32 v14, v14, v18, vcc
	v_lshlrev_b32_e32 v8, 24, v8
	v_lshlrev_b32_e32 v14, 20, v14
	v_and_b32_e32 v8, 0x80000000, v8
	v_lshl_add_u32 v6, v6, 23, v10
	v_or3_b32 v6, v8, v6, v14
	v_lshrrev_b32_e32 v17, 16, v6
.LBB815_1008:                           ;   in Loop: Header=BB815_794 Depth=1
	s_or_b64 exec, exec, s[18:19]
.LBB815_1009:                           ;   in Loop: Header=BB815_794 Depth=1
	s_or_b64 exec, exec, s[16:17]
.LBB815_1010:                           ;   in Loop: Header=BB815_794 Depth=1
	s_or_b64 exec, exec, s[14:15]
	s_waitcnt vmcnt(0)
	v_cmp_ne_u16_sdwa s[16:17], v4, v9 src0_sel:BYTE_0 src1_sel:DWORD
	s_and_saveexec_b64 s[14:15], s[16:17]
	s_cbranch_execz .LBB815_1016
; %bb.1011:                             ;   in Loop: Header=BB815_794 Depth=1
	v_cmp_ne_u16_sdwa s[18:19], v4, s21 src0_sel:BYTE_0 src1_sel:DWORD
	v_mov_b32_e32 v16, 0xffff8000
	s_and_saveexec_b64 s[16:17], s[18:19]
	s_cbranch_execz .LBB815_1015
; %bb.1012:                             ;   in Loop: Header=BB815_794 Depth=1
	v_and_b32_e32 v6, 0x7f, v4
	v_cmp_ne_u32_e32 vcc, s23, v6
	v_mov_b32_e32 v16, 0x7f80
	s_and_saveexec_b64 s[18:19], vcc
	s_cbranch_execz .LBB815_1014
; %bb.1013:                             ;   in Loop: Header=BB815_794 Depth=1
	v_and_b32_e32 v8, 7, v4
	v_ffbh_u32_e32 v16, v8
	v_min_u32_e32 v16, 32, v16
	v_subrev_u32_e32 v18, 28, v16
	v_lshlrev_b64 v[18:19], v18, v[4:5]
	v_lshrrev_b32_e32 v14, 3, v6
	v_sub_u32_e32 v16, 29, v16
	v_and_b32_e32 v18, 7, v18
	v_cmp_gt_u32_e32 vcc, 8, v6
	v_cndmask_b32_e32 v6, v14, v16, vcc
	v_cndmask_b32_e32 v8, v8, v18, vcc
	v_lshlrev_b32_e32 v14, 24, v4
	v_lshlrev_b32_e32 v8, 20, v8
	v_and_b32_e32 v14, 0x80000000, v14
	v_lshl_add_u32 v6, v6, 23, v10
	v_or3_b32 v6, v14, v6, v8
	v_lshrrev_b32_e32 v16, 16, v6
.LBB815_1014:                           ;   in Loop: Header=BB815_794 Depth=1
	s_or_b64 exec, exec, s[18:19]
.LBB815_1015:                           ;   in Loop: Header=BB815_794 Depth=1
	s_or_b64 exec, exec, s[16:17]
.LBB815_1016:                           ;   in Loop: Header=BB815_794 Depth=1
	s_or_b64 exec, exec, s[14:15]
	v_lshrrev_b16_e32 v6, 8, v4
	v_cmp_ne_u16_e32 vcc, 0, v6
	v_mov_b32_e32 v18, 0
	v_mov_b32_e32 v8, 0
	s_and_saveexec_b64 s[14:15], vcc
	s_cbranch_execz .LBB815_1022
; %bb.1017:                             ;   in Loop: Header=BB815_794 Depth=1
	v_cmp_ne_u16_e32 vcc, s21, v6
	v_mov_b32_e32 v8, 0xffff8000
	s_and_saveexec_b64 s[16:17], vcc
	s_cbranch_execz .LBB815_1021
; %bb.1018:                             ;   in Loop: Header=BB815_794 Depth=1
	v_and_b32_e32 v14, 0x7f, v6
	v_cmp_ne_u32_e32 vcc, s23, v14
	v_mov_b32_e32 v8, 0x7f80
	s_and_saveexec_b64 s[18:19], vcc
	s_cbranch_execz .LBB815_1020
; %bb.1019:                             ;   in Loop: Header=BB815_794 Depth=1
	v_and_b32_e32 v8, 7, v6
	v_ffbh_u32_e32 v20, v8
	v_min_u32_e32 v22, 32, v20
	v_subrev_u32_e32 v20, 28, v22
	v_lshlrev_b64 v[20:21], v20, v[6:7]
	v_lshrrev_b32_e32 v19, 3, v14
	v_sub_u32_e32 v6, 29, v22
	v_and_b32_e32 v20, 7, v20
	v_cmp_gt_u32_e32 vcc, 8, v14
	v_cndmask_b32_e32 v6, v19, v6, vcc
	v_cndmask_b32_e32 v8, v8, v20, vcc
	v_lshlrev_b32_e32 v14, 16, v4
	v_lshlrev_b32_e32 v8, 20, v8
	v_and_b32_e32 v14, 0x80000000, v14
	v_lshl_add_u32 v6, v6, 23, v10
	v_or3_b32 v6, v14, v6, v8
	v_lshrrev_b32_e32 v8, 16, v6
.LBB815_1020:                           ;   in Loop: Header=BB815_794 Depth=1
	s_or_b64 exec, exec, s[18:19]
.LBB815_1021:                           ;   in Loop: Header=BB815_794 Depth=1
	s_or_b64 exec, exec, s[16:17]
.LBB815_1022:                           ;   in Loop: Header=BB815_794 Depth=1
	s_or_b64 exec, exec, s[14:15]
	v_lshrrev_b32_e32 v6, 16, v4
	v_cmp_ne_u16_sdwa s[16:17], v6, v9 src0_sel:BYTE_0 src1_sel:DWORD
	s_and_saveexec_b64 s[14:15], s[16:17]
	s_cbranch_execz .LBB815_1028
; %bb.1023:                             ;   in Loop: Header=BB815_794 Depth=1
	v_cmp_ne_u16_sdwa s[18:19], v6, s21 src0_sel:BYTE_0 src1_sel:DWORD
	v_mov_b32_e32 v18, 0xffff8000
	s_and_saveexec_b64 s[16:17], s[18:19]
	s_cbranch_execz .LBB815_1027
; %bb.1024:                             ;   in Loop: Header=BB815_794 Depth=1
	v_bfe_u32 v14, v4, 16, 7
	v_cmp_ne_u32_e32 vcc, s23, v14
	v_mov_b32_e32 v18, 0x7f80
	s_and_saveexec_b64 s[18:19], vcc
	s_cbranch_execz .LBB815_1026
; %bb.1025:                             ;   in Loop: Header=BB815_794 Depth=1
	v_and_b32_e32 v20, 7, v6
	v_ffbh_u32_e32 v18, v20
	v_min_u32_e32 v22, 32, v18
	v_subrev_u32_e32 v18, 28, v22
	v_lshlrev_b64 v[18:19], v18, v[6:7]
	v_lshrrev_b32_e32 v21, 3, v14
	v_sub_u32_e32 v19, 29, v22
	v_and_b32_e32 v18, 7, v18
	v_cmp_gt_u32_e32 vcc, 8, v14
	v_cndmask_b32_e32 v14, v21, v19, vcc
	v_cndmask_b32_e32 v18, v20, v18, vcc
	v_lshlrev_b32_e32 v6, 24, v6
	v_lshlrev_b32_e32 v18, 20, v18
	v_and_b32_e32 v6, 0x80000000, v6
	v_lshl_add_u32 v14, v14, 23, v10
	v_or3_b32 v6, v6, v14, v18
	v_lshrrev_b32_e32 v18, 16, v6
.LBB815_1026:                           ;   in Loop: Header=BB815_794 Depth=1
	s_or_b64 exec, exec, s[18:19]
.LBB815_1027:                           ;   in Loop: Header=BB815_794 Depth=1
	s_or_b64 exec, exec, s[16:17]
.LBB815_1028:                           ;   in Loop: Header=BB815_794 Depth=1
	s_or_b64 exec, exec, s[14:15]
	v_cmp_lt_u32_e32 vcc, s25, v4
	v_mov_b32_e32 v14, 0
	v_mov_b32_e32 v19, 0
	s_and_saveexec_b64 s[14:15], vcc
	s_cbranch_execz .LBB815_1034
; %bb.1029:                             ;   in Loop: Header=BB815_794 Depth=1
	v_lshrrev_b32_e32 v6, 24, v4
	v_cmp_ne_u32_e32 vcc, s21, v6
	v_mov_b32_e32 v19, 0xffff8000
	s_and_saveexec_b64 s[16:17], vcc
	s_cbranch_execz .LBB815_1033
; %bb.1030:                             ;   in Loop: Header=BB815_794 Depth=1
	v_bfe_u32 v4, v4, 24, 7
	v_cmp_ne_u32_e32 vcc, s23, v4
	v_mov_b32_e32 v19, 0x7f80
	s_and_saveexec_b64 s[18:19], vcc
	s_cbranch_execz .LBB815_1032
; %bb.1031:                             ;   in Loop: Header=BB815_794 Depth=1
	v_and_b32_e32 v19, 7, v6
	v_ffbh_u32_e32 v20, v19
	v_min_u32_e32 v23, 32, v20
	v_subrev_u32_e32 v20, 28, v23
	v_lshlrev_b64 v[20:21], v20, v[6:7]
	v_lshrrev_b32_e32 v22, 3, v4
	v_sub_u32_e32 v21, 29, v23
	v_and_b32_e32 v20, 7, v20
	v_cmp_gt_u32_e32 vcc, 8, v4
	v_cndmask_b32_e32 v4, v22, v21, vcc
	v_cndmask_b32_e32 v19, v19, v20, vcc
	v_lshlrev_b32_e32 v6, 24, v6
	v_lshlrev_b32_e32 v19, 20, v19
	v_and_b32_e32 v6, 0x80000000, v6
	v_lshl_add_u32 v4, v4, 23, v10
	v_or3_b32 v4, v6, v4, v19
	v_lshrrev_b32_e32 v19, 16, v4
.LBB815_1032:                           ;   in Loop: Header=BB815_794 Depth=1
	s_or_b64 exec, exec, s[18:19]
.LBB815_1033:                           ;   in Loop: Header=BB815_794 Depth=1
	s_or_b64 exec, exec, s[16:17]
.LBB815_1034:                           ;   in Loop: Header=BB815_794 Depth=1
	s_or_b64 exec, exec, s[14:15]
	buffer_load_dword v6, v11, s[0:3], 0 offen offset:40
	buffer_load_dword v4, v11, s[0:3], 0 offen offset:44
	v_perm_b32 v21, v17, v15, s26
	v_perm_b32 v20, v12, v13, s26
	;; [unrolled: 1-line block ×4, first 2 shown]
	v_mfma_f32_4x4x4bf16_1k a[0:3], v[2:3], v[20:21], a[0:3] cbsz:4 abid:8
	s_waitcnt vmcnt(1)
	v_cmp_ne_u16_sdwa s[16:17], v6, v9 src0_sel:BYTE_0 src1_sel:DWORD
	v_mfma_f32_4x4x4bf16_1k a[0:3], v[2:3], v[12:13], a[0:3] cbsz:4 abid:9
	s_and_saveexec_b64 s[14:15], s[16:17]
	s_cbranch_execz .LBB815_1040
; %bb.1035:                             ;   in Loop: Header=BB815_794 Depth=1
	v_cmp_ne_u16_sdwa s[18:19], v6, s21 src0_sel:BYTE_0 src1_sel:DWORD
	v_mov_b32_e32 v14, 0xffff8000
	s_and_saveexec_b64 s[16:17], s[18:19]
	s_cbranch_execz .LBB815_1039
; %bb.1036:                             ;   in Loop: Header=BB815_794 Depth=1
	v_and_b32_e32 v8, 0x7f, v6
	v_cmp_ne_u32_e32 vcc, s23, v8
	v_mov_b32_e32 v14, 0x7f80
	s_and_saveexec_b64 s[18:19], vcc
	s_cbranch_execz .LBB815_1038
; %bb.1037:                             ;   in Loop: Header=BB815_794 Depth=1
	v_and_b32_e32 v14, 7, v6
	v_ffbh_u32_e32 v12, v14
	v_min_u32_e32 v16, 32, v12
	v_subrev_u32_e32 v12, 28, v16
	v_lshlrev_b64 v[12:13], v12, v[6:7]
	v_lshrrev_b32_e32 v15, 3, v8
	v_sub_u32_e32 v13, 29, v16
	v_and_b32_e32 v12, 7, v12
	v_cmp_gt_u32_e32 vcc, 8, v8
	v_cndmask_b32_e32 v8, v15, v13, vcc
	v_cndmask_b32_e32 v12, v14, v12, vcc
	v_lshlrev_b32_e32 v13, 24, v6
	v_lshlrev_b32_e32 v12, 20, v12
	v_and_b32_e32 v13, 0x80000000, v13
	v_lshl_add_u32 v8, v8, 23, v10
	v_or3_b32 v8, v13, v8, v12
	v_lshrrev_b32_e32 v14, 16, v8
.LBB815_1038:                           ;   in Loop: Header=BB815_794 Depth=1
	s_or_b64 exec, exec, s[18:19]
.LBB815_1039:                           ;   in Loop: Header=BB815_794 Depth=1
	s_or_b64 exec, exec, s[16:17]
.LBB815_1040:                           ;   in Loop: Header=BB815_794 Depth=1
	s_or_b64 exec, exec, s[14:15]
	v_lshrrev_b16_e32 v8, 8, v6
	v_cmp_ne_u16_e32 vcc, 0, v8
	v_mov_b32_e32 v15, 0
	v_mov_b32_e32 v13, 0
	s_and_saveexec_b64 s[14:15], vcc
	s_cbranch_execz .LBB815_1046
; %bb.1041:                             ;   in Loop: Header=BB815_794 Depth=1
	v_cmp_ne_u16_e32 vcc, s21, v8
	v_mov_b32_e32 v13, 0xffff8000
	s_and_saveexec_b64 s[16:17], vcc
	s_cbranch_execz .LBB815_1045
; %bb.1042:                             ;   in Loop: Header=BB815_794 Depth=1
	v_and_b32_e32 v12, 0x7f, v8
	v_cmp_ne_u32_e32 vcc, s23, v12
	v_mov_b32_e32 v13, 0x7f80
	s_and_saveexec_b64 s[18:19], vcc
	s_cbranch_execz .LBB815_1044
; %bb.1043:                             ;   in Loop: Header=BB815_794 Depth=1
	v_and_b32_e32 v13, 7, v8
	v_ffbh_u32_e32 v16, v13
	v_min_u32_e32 v19, 32, v16
	v_subrev_u32_e32 v16, 28, v19
	v_lshlrev_b64 v[16:17], v16, v[8:9]
	v_lshrrev_b32_e32 v18, 3, v12
	v_sub_u32_e32 v8, 29, v19
	v_and_b32_e32 v16, 7, v16
	v_cmp_gt_u32_e32 vcc, 8, v12
	v_cndmask_b32_e32 v8, v18, v8, vcc
	v_cndmask_b32_e32 v12, v13, v16, vcc
	v_lshlrev_b32_e32 v13, 16, v6
	v_lshlrev_b32_e32 v12, 20, v12
	v_and_b32_e32 v13, 0x80000000, v13
	v_lshl_add_u32 v8, v8, 23, v10
	v_or3_b32 v8, v13, v8, v12
	v_lshrrev_b32_e32 v13, 16, v8
.LBB815_1044:                           ;   in Loop: Header=BB815_794 Depth=1
	s_or_b64 exec, exec, s[18:19]
.LBB815_1045:                           ;   in Loop: Header=BB815_794 Depth=1
	s_or_b64 exec, exec, s[16:17]
.LBB815_1046:                           ;   in Loop: Header=BB815_794 Depth=1
	s_or_b64 exec, exec, s[14:15]
	v_lshrrev_b32_e32 v8, 16, v6
	v_cmp_ne_u16_sdwa s[16:17], v8, v9 src0_sel:BYTE_0 src1_sel:DWORD
	s_and_saveexec_b64 s[14:15], s[16:17]
	s_cbranch_execz .LBB815_1052
; %bb.1047:                             ;   in Loop: Header=BB815_794 Depth=1
	v_cmp_ne_u16_sdwa s[18:19], v8, s21 src0_sel:BYTE_0 src1_sel:DWORD
	v_mov_b32_e32 v15, 0xffff8000
	s_and_saveexec_b64 s[16:17], s[18:19]
	s_cbranch_execz .LBB815_1051
; %bb.1048:                             ;   in Loop: Header=BB815_794 Depth=1
	v_bfe_u32 v12, v6, 16, 7
	v_cmp_ne_u32_e32 vcc, s23, v12
	v_mov_b32_e32 v15, 0x7f80
	s_and_saveexec_b64 s[18:19], vcc
	s_cbranch_execz .LBB815_1050
; %bb.1049:                             ;   in Loop: Header=BB815_794 Depth=1
	v_and_b32_e32 v15, 7, v8
	v_ffbh_u32_e32 v16, v15
	v_min_u32_e32 v19, 32, v16
	v_subrev_u32_e32 v16, 28, v19
	v_lshlrev_b64 v[16:17], v16, v[8:9]
	v_lshrrev_b32_e32 v18, 3, v12
	v_sub_u32_e32 v17, 29, v19
	v_and_b32_e32 v16, 7, v16
	v_cmp_gt_u32_e32 vcc, 8, v12
	v_cndmask_b32_e32 v12, v18, v17, vcc
	v_cndmask_b32_e32 v15, v15, v16, vcc
	v_lshlrev_b32_e32 v8, 24, v8
	v_lshlrev_b32_e32 v15, 20, v15
	v_and_b32_e32 v8, 0x80000000, v8
	v_lshl_add_u32 v12, v12, 23, v10
	v_or3_b32 v8, v8, v12, v15
	v_lshrrev_b32_e32 v15, 16, v8
.LBB815_1050:                           ;   in Loop: Header=BB815_794 Depth=1
	s_or_b64 exec, exec, s[18:19]
.LBB815_1051:                           ;   in Loop: Header=BB815_794 Depth=1
	s_or_b64 exec, exec, s[16:17]
.LBB815_1052:                           ;   in Loop: Header=BB815_794 Depth=1
	s_or_b64 exec, exec, s[14:15]
	v_cmp_lt_u32_e32 vcc, s25, v6
	v_mov_b32_e32 v16, 0
	v_mov_b32_e32 v17, 0
	s_and_saveexec_b64 s[14:15], vcc
	s_cbranch_execz .LBB815_1058
; %bb.1053:                             ;   in Loop: Header=BB815_794 Depth=1
	v_lshrrev_b32_e32 v8, 24, v6
	v_cmp_ne_u32_e32 vcc, s21, v8
	v_mov_b32_e32 v17, 0xffff8000
	s_and_saveexec_b64 s[16:17], vcc
	s_cbranch_execz .LBB815_1057
; %bb.1054:                             ;   in Loop: Header=BB815_794 Depth=1
	v_bfe_u32 v6, v6, 24, 7
	v_cmp_ne_u32_e32 vcc, s23, v6
	v_mov_b32_e32 v17, 0x7f80
	s_and_saveexec_b64 s[18:19], vcc
	s_cbranch_execz .LBB815_1056
; %bb.1055:                             ;   in Loop: Header=BB815_794 Depth=1
	v_and_b32_e32 v12, 7, v8
	v_ffbh_u32_e32 v18, v12
	v_min_u32_e32 v20, 32, v18
	v_subrev_u32_e32 v18, 28, v20
	v_lshlrev_b64 v[18:19], v18, v[8:9]
	v_lshrrev_b32_e32 v17, 3, v6
	v_sub_u32_e32 v19, 29, v20
	v_and_b32_e32 v18, 7, v18
	v_cmp_gt_u32_e32 vcc, 8, v6
	v_cndmask_b32_e32 v6, v17, v19, vcc
	v_cndmask_b32_e32 v12, v12, v18, vcc
	v_lshlrev_b32_e32 v8, 24, v8
	v_lshlrev_b32_e32 v12, 20, v12
	v_and_b32_e32 v8, 0x80000000, v8
	v_lshl_add_u32 v6, v6, 23, v10
	v_or3_b32 v6, v8, v6, v12
	v_lshrrev_b32_e32 v17, 16, v6
.LBB815_1056:                           ;   in Loop: Header=BB815_794 Depth=1
	s_or_b64 exec, exec, s[18:19]
.LBB815_1057:                           ;   in Loop: Header=BB815_794 Depth=1
	s_or_b64 exec, exec, s[16:17]
.LBB815_1058:                           ;   in Loop: Header=BB815_794 Depth=1
	s_or_b64 exec, exec, s[14:15]
	s_waitcnt vmcnt(0)
	v_cmp_ne_u16_sdwa s[16:17], v4, v9 src0_sel:BYTE_0 src1_sel:DWORD
	s_and_saveexec_b64 s[14:15], s[16:17]
	s_cbranch_execz .LBB815_1064
; %bb.1059:                             ;   in Loop: Header=BB815_794 Depth=1
	v_cmp_ne_u16_sdwa s[18:19], v4, s21 src0_sel:BYTE_0 src1_sel:DWORD
	v_mov_b32_e32 v16, 0xffff8000
	s_and_saveexec_b64 s[16:17], s[18:19]
	s_cbranch_execz .LBB815_1063
; %bb.1060:                             ;   in Loop: Header=BB815_794 Depth=1
	v_and_b32_e32 v6, 0x7f, v4
	v_cmp_ne_u32_e32 vcc, s23, v6
	v_mov_b32_e32 v16, 0x7f80
	s_and_saveexec_b64 s[18:19], vcc
	s_cbranch_execz .LBB815_1062
; %bb.1061:                             ;   in Loop: Header=BB815_794 Depth=1
	v_and_b32_e32 v8, 7, v4
	v_ffbh_u32_e32 v16, v8
	v_min_u32_e32 v16, 32, v16
	v_subrev_u32_e32 v18, 28, v16
	v_lshlrev_b64 v[18:19], v18, v[4:5]
	v_lshrrev_b32_e32 v12, 3, v6
	v_sub_u32_e32 v16, 29, v16
	v_and_b32_e32 v18, 7, v18
	v_cmp_gt_u32_e32 vcc, 8, v6
	v_cndmask_b32_e32 v6, v12, v16, vcc
	v_cndmask_b32_e32 v8, v8, v18, vcc
	v_lshlrev_b32_e32 v12, 24, v4
	v_lshlrev_b32_e32 v8, 20, v8
	v_and_b32_e32 v12, 0x80000000, v12
	v_lshl_add_u32 v6, v6, 23, v10
	v_or3_b32 v6, v12, v6, v8
	v_lshrrev_b32_e32 v16, 16, v6
.LBB815_1062:                           ;   in Loop: Header=BB815_794 Depth=1
	s_or_b64 exec, exec, s[18:19]
.LBB815_1063:                           ;   in Loop: Header=BB815_794 Depth=1
	s_or_b64 exec, exec, s[16:17]
.LBB815_1064:                           ;   in Loop: Header=BB815_794 Depth=1
	s_or_b64 exec, exec, s[14:15]
	v_lshrrev_b16_e32 v6, 8, v4
	v_cmp_ne_u16_e32 vcc, 0, v6
	v_mov_b32_e32 v18, 0
	v_mov_b32_e32 v8, 0
	s_and_saveexec_b64 s[14:15], vcc
	s_cbranch_execz .LBB815_1070
; %bb.1065:                             ;   in Loop: Header=BB815_794 Depth=1
	v_cmp_ne_u16_e32 vcc, s21, v6
	v_mov_b32_e32 v8, 0xffff8000
	s_and_saveexec_b64 s[16:17], vcc
	s_cbranch_execz .LBB815_1069
; %bb.1066:                             ;   in Loop: Header=BB815_794 Depth=1
	v_and_b32_e32 v12, 0x7f, v6
	v_cmp_ne_u32_e32 vcc, s23, v12
	v_mov_b32_e32 v8, 0x7f80
	s_and_saveexec_b64 s[18:19], vcc
	s_cbranch_execz .LBB815_1068
; %bb.1067:                             ;   in Loop: Header=BB815_794 Depth=1
	v_and_b32_e32 v8, 7, v6
	v_ffbh_u32_e32 v20, v8
	v_min_u32_e32 v22, 32, v20
	v_subrev_u32_e32 v20, 28, v22
	v_lshlrev_b64 v[20:21], v20, v[6:7]
	v_lshrrev_b32_e32 v19, 3, v12
	v_sub_u32_e32 v6, 29, v22
	v_and_b32_e32 v20, 7, v20
	v_cmp_gt_u32_e32 vcc, 8, v12
	v_cndmask_b32_e32 v6, v19, v6, vcc
	v_cndmask_b32_e32 v8, v8, v20, vcc
	v_lshlrev_b32_e32 v12, 16, v4
	v_lshlrev_b32_e32 v8, 20, v8
	v_and_b32_e32 v12, 0x80000000, v12
	v_lshl_add_u32 v6, v6, 23, v10
	v_or3_b32 v6, v12, v6, v8
	v_lshrrev_b32_e32 v8, 16, v6
.LBB815_1068:                           ;   in Loop: Header=BB815_794 Depth=1
	s_or_b64 exec, exec, s[18:19]
.LBB815_1069:                           ;   in Loop: Header=BB815_794 Depth=1
	s_or_b64 exec, exec, s[16:17]
.LBB815_1070:                           ;   in Loop: Header=BB815_794 Depth=1
	s_or_b64 exec, exec, s[14:15]
	v_lshrrev_b32_e32 v6, 16, v4
	v_cmp_ne_u16_sdwa s[16:17], v6, v9 src0_sel:BYTE_0 src1_sel:DWORD
	s_and_saveexec_b64 s[14:15], s[16:17]
	s_cbranch_execz .LBB815_1076
; %bb.1071:                             ;   in Loop: Header=BB815_794 Depth=1
	v_cmp_ne_u16_sdwa s[18:19], v6, s21 src0_sel:BYTE_0 src1_sel:DWORD
	v_mov_b32_e32 v18, 0xffff8000
	s_and_saveexec_b64 s[16:17], s[18:19]
	s_cbranch_execz .LBB815_1075
; %bb.1072:                             ;   in Loop: Header=BB815_794 Depth=1
	v_bfe_u32 v12, v4, 16, 7
	v_cmp_ne_u32_e32 vcc, s23, v12
	v_mov_b32_e32 v18, 0x7f80
	s_and_saveexec_b64 s[18:19], vcc
	s_cbranch_execz .LBB815_1074
; %bb.1073:                             ;   in Loop: Header=BB815_794 Depth=1
	v_and_b32_e32 v20, 7, v6
	v_ffbh_u32_e32 v18, v20
	v_min_u32_e32 v22, 32, v18
	v_subrev_u32_e32 v18, 28, v22
	v_lshlrev_b64 v[18:19], v18, v[6:7]
	v_lshrrev_b32_e32 v21, 3, v12
	v_sub_u32_e32 v19, 29, v22
	v_and_b32_e32 v18, 7, v18
	v_cmp_gt_u32_e32 vcc, 8, v12
	v_cndmask_b32_e32 v12, v21, v19, vcc
	v_cndmask_b32_e32 v18, v20, v18, vcc
	v_lshlrev_b32_e32 v6, 24, v6
	v_lshlrev_b32_e32 v18, 20, v18
	v_and_b32_e32 v6, 0x80000000, v6
	v_lshl_add_u32 v12, v12, 23, v10
	v_or3_b32 v6, v6, v12, v18
	v_lshrrev_b32_e32 v18, 16, v6
.LBB815_1074:                           ;   in Loop: Header=BB815_794 Depth=1
	s_or_b64 exec, exec, s[18:19]
.LBB815_1075:                           ;   in Loop: Header=BB815_794 Depth=1
	s_or_b64 exec, exec, s[16:17]
.LBB815_1076:                           ;   in Loop: Header=BB815_794 Depth=1
	s_or_b64 exec, exec, s[14:15]
	v_cmp_lt_u32_e32 vcc, s25, v4
	v_mov_b32_e32 v12, 0
	v_mov_b32_e32 v19, 0
	s_and_saveexec_b64 s[14:15], vcc
	s_cbranch_execz .LBB815_1082
; %bb.1077:                             ;   in Loop: Header=BB815_794 Depth=1
	v_lshrrev_b32_e32 v6, 24, v4
	v_cmp_ne_u32_e32 vcc, s21, v6
	v_mov_b32_e32 v19, 0xffff8000
	s_and_saveexec_b64 s[16:17], vcc
	s_cbranch_execz .LBB815_1081
; %bb.1078:                             ;   in Loop: Header=BB815_794 Depth=1
	v_bfe_u32 v4, v4, 24, 7
	v_cmp_ne_u32_e32 vcc, s23, v4
	v_mov_b32_e32 v19, 0x7f80
	s_and_saveexec_b64 s[18:19], vcc
	s_cbranch_execz .LBB815_1080
; %bb.1079:                             ;   in Loop: Header=BB815_794 Depth=1
	v_and_b32_e32 v19, 7, v6
	v_ffbh_u32_e32 v20, v19
	v_min_u32_e32 v23, 32, v20
	v_subrev_u32_e32 v20, 28, v23
	v_lshlrev_b64 v[20:21], v20, v[6:7]
	v_lshrrev_b32_e32 v22, 3, v4
	v_sub_u32_e32 v21, 29, v23
	v_and_b32_e32 v20, 7, v20
	v_cmp_gt_u32_e32 vcc, 8, v4
	v_cndmask_b32_e32 v4, v22, v21, vcc
	v_cndmask_b32_e32 v19, v19, v20, vcc
	v_lshlrev_b32_e32 v6, 24, v6
	v_lshlrev_b32_e32 v19, 20, v19
	v_and_b32_e32 v6, 0x80000000, v6
	v_lshl_add_u32 v4, v4, 23, v10
	v_or3_b32 v4, v6, v4, v19
	v_lshrrev_b32_e32 v19, 16, v4
.LBB815_1080:                           ;   in Loop: Header=BB815_794 Depth=1
	s_or_b64 exec, exec, s[18:19]
.LBB815_1081:                           ;   in Loop: Header=BB815_794 Depth=1
	s_or_b64 exec, exec, s[16:17]
.LBB815_1082:                           ;   in Loop: Header=BB815_794 Depth=1
	s_or_b64 exec, exec, s[14:15]
	buffer_load_dword v6, v11, s[0:3], 0 offen offset:48
	buffer_load_dword v4, v11, s[0:3], 0 offen offset:52
	v_perm_b32 v15, v17, v15, s26
	v_perm_b32 v14, v13, v14, s26
	;; [unrolled: 1-line block ×4, first 2 shown]
	v_mfma_f32_4x4x4bf16_1k a[0:3], v[2:3], v[14:15], a[0:3] cbsz:4 abid:10
	s_waitcnt vmcnt(1)
	v_cmp_ne_u16_sdwa s[16:17], v6, v9 src0_sel:BYTE_0 src1_sel:DWORD
	v_mfma_f32_4x4x4bf16_1k a[0:3], v[2:3], v[16:17], a[0:3] cbsz:4 abid:11
	s_and_saveexec_b64 s[14:15], s[16:17]
	s_cbranch_execz .LBB815_1088
; %bb.1083:                             ;   in Loop: Header=BB815_794 Depth=1
	v_cmp_ne_u16_sdwa s[18:19], v6, s21 src0_sel:BYTE_0 src1_sel:DWORD
	v_mov_b32_e32 v12, 0xffff8000
	s_and_saveexec_b64 s[16:17], s[18:19]
	s_cbranch_execz .LBB815_1087
; %bb.1084:                             ;   in Loop: Header=BB815_794 Depth=1
	v_and_b32_e32 v8, 0x7f, v6
	v_cmp_ne_u32_e32 vcc, s23, v8
	v_mov_b32_e32 v12, 0x7f80
	s_and_saveexec_b64 s[18:19], vcc
	s_cbranch_execz .LBB815_1086
; %bb.1085:                             ;   in Loop: Header=BB815_794 Depth=1
	v_and_b32_e32 v14, 7, v6
	v_ffbh_u32_e32 v12, v14
	v_min_u32_e32 v16, 32, v12
	v_subrev_u32_e32 v12, 28, v16
	v_lshlrev_b64 v[12:13], v12, v[6:7]
	v_lshrrev_b32_e32 v15, 3, v8
	v_sub_u32_e32 v13, 29, v16
	v_and_b32_e32 v12, 7, v12
	v_cmp_gt_u32_e32 vcc, 8, v8
	v_cndmask_b32_e32 v8, v15, v13, vcc
	v_cndmask_b32_e32 v12, v14, v12, vcc
	v_lshlrev_b32_e32 v13, 24, v6
	v_lshlrev_b32_e32 v12, 20, v12
	v_and_b32_e32 v13, 0x80000000, v13
	v_lshl_add_u32 v8, v8, 23, v10
	v_or3_b32 v8, v13, v8, v12
	v_lshrrev_b32_e32 v12, 16, v8
.LBB815_1086:                           ;   in Loop: Header=BB815_794 Depth=1
	s_or_b64 exec, exec, s[18:19]
.LBB815_1087:                           ;   in Loop: Header=BB815_794 Depth=1
	s_or_b64 exec, exec, s[16:17]
.LBB815_1088:                           ;   in Loop: Header=BB815_794 Depth=1
	s_or_b64 exec, exec, s[14:15]
	v_lshrrev_b16_e32 v8, 8, v6
	v_cmp_ne_u16_e32 vcc, 0, v8
	v_mov_b32_e32 v15, 0
	v_mov_b32_e32 v14, 0
	s_and_saveexec_b64 s[14:15], vcc
	s_cbranch_execz .LBB815_1094
; %bb.1089:                             ;   in Loop: Header=BB815_794 Depth=1
	v_cmp_ne_u16_e32 vcc, s21, v8
	v_mov_b32_e32 v14, 0xffff8000
	s_and_saveexec_b64 s[16:17], vcc
	s_cbranch_execz .LBB815_1093
; %bb.1090:                             ;   in Loop: Header=BB815_794 Depth=1
	v_and_b32_e32 v13, 0x7f, v8
	v_cmp_ne_u32_e32 vcc, s23, v13
	v_mov_b32_e32 v14, 0x7f80
	s_and_saveexec_b64 s[18:19], vcc
	s_cbranch_execz .LBB815_1092
; %bb.1091:                             ;   in Loop: Header=BB815_794 Depth=1
	v_and_b32_e32 v14, 7, v8
	v_ffbh_u32_e32 v16, v14
	v_min_u32_e32 v19, 32, v16
	v_subrev_u32_e32 v16, 28, v19
	v_lshlrev_b64 v[16:17], v16, v[8:9]
	v_lshrrev_b32_e32 v18, 3, v13
	v_sub_u32_e32 v8, 29, v19
	v_and_b32_e32 v16, 7, v16
	v_cmp_gt_u32_e32 vcc, 8, v13
	v_cndmask_b32_e32 v8, v18, v8, vcc
	v_cndmask_b32_e32 v13, v14, v16, vcc
	v_lshlrev_b32_e32 v14, 16, v6
	v_lshlrev_b32_e32 v13, 20, v13
	v_and_b32_e32 v14, 0x80000000, v14
	v_lshl_add_u32 v8, v8, 23, v10
	v_or3_b32 v8, v14, v8, v13
	v_lshrrev_b32_e32 v14, 16, v8
.LBB815_1092:                           ;   in Loop: Header=BB815_794 Depth=1
	s_or_b64 exec, exec, s[18:19]
.LBB815_1093:                           ;   in Loop: Header=BB815_794 Depth=1
	s_or_b64 exec, exec, s[16:17]
.LBB815_1094:                           ;   in Loop: Header=BB815_794 Depth=1
	s_or_b64 exec, exec, s[14:15]
	v_lshrrev_b32_e32 v8, 16, v6
	v_cmp_ne_u16_sdwa s[16:17], v8, v9 src0_sel:BYTE_0 src1_sel:DWORD
	s_and_saveexec_b64 s[14:15], s[16:17]
	s_cbranch_execz .LBB815_1100
; %bb.1095:                             ;   in Loop: Header=BB815_794 Depth=1
	v_cmp_ne_u16_sdwa s[18:19], v8, s21 src0_sel:BYTE_0 src1_sel:DWORD
	v_mov_b32_e32 v15, 0xffff8000
	s_and_saveexec_b64 s[16:17], s[18:19]
	s_cbranch_execz .LBB815_1099
; %bb.1096:                             ;   in Loop: Header=BB815_794 Depth=1
	v_bfe_u32 v13, v6, 16, 7
	v_cmp_ne_u32_e32 vcc, s23, v13
	v_mov_b32_e32 v15, 0x7f80
	s_and_saveexec_b64 s[18:19], vcc
	s_cbranch_execz .LBB815_1098
; %bb.1097:                             ;   in Loop: Header=BB815_794 Depth=1
	v_and_b32_e32 v15, 7, v8
	v_ffbh_u32_e32 v16, v15
	v_min_u32_e32 v19, 32, v16
	v_subrev_u32_e32 v16, 28, v19
	v_lshlrev_b64 v[16:17], v16, v[8:9]
	v_lshrrev_b32_e32 v18, 3, v13
	v_sub_u32_e32 v17, 29, v19
	v_and_b32_e32 v16, 7, v16
	v_cmp_gt_u32_e32 vcc, 8, v13
	v_cndmask_b32_e32 v13, v18, v17, vcc
	v_cndmask_b32_e32 v15, v15, v16, vcc
	v_lshlrev_b32_e32 v8, 24, v8
	v_lshlrev_b32_e32 v15, 20, v15
	v_and_b32_e32 v8, 0x80000000, v8
	v_lshl_add_u32 v13, v13, 23, v10
	v_or3_b32 v8, v8, v13, v15
	v_lshrrev_b32_e32 v15, 16, v8
.LBB815_1098:                           ;   in Loop: Header=BB815_794 Depth=1
	s_or_b64 exec, exec, s[18:19]
.LBB815_1099:                           ;   in Loop: Header=BB815_794 Depth=1
	s_or_b64 exec, exec, s[16:17]
.LBB815_1100:                           ;   in Loop: Header=BB815_794 Depth=1
	s_or_b64 exec, exec, s[14:15]
	v_cmp_lt_u32_e32 vcc, s25, v6
	v_mov_b32_e32 v16, 0
	v_mov_b32_e32 v17, 0
	s_and_saveexec_b64 s[14:15], vcc
	s_cbranch_execz .LBB815_1106
; %bb.1101:                             ;   in Loop: Header=BB815_794 Depth=1
	v_lshrrev_b32_e32 v8, 24, v6
	v_cmp_ne_u32_e32 vcc, s21, v8
	v_mov_b32_e32 v17, 0xffff8000
	s_and_saveexec_b64 s[16:17], vcc
	s_cbranch_execz .LBB815_1105
; %bb.1102:                             ;   in Loop: Header=BB815_794 Depth=1
	v_bfe_u32 v6, v6, 24, 7
	v_cmp_ne_u32_e32 vcc, s23, v6
	v_mov_b32_e32 v17, 0x7f80
	s_and_saveexec_b64 s[18:19], vcc
	s_cbranch_execz .LBB815_1104
; %bb.1103:                             ;   in Loop: Header=BB815_794 Depth=1
	v_and_b32_e32 v13, 7, v8
	v_ffbh_u32_e32 v18, v13
	v_min_u32_e32 v20, 32, v18
	v_subrev_u32_e32 v18, 28, v20
	v_lshlrev_b64 v[18:19], v18, v[8:9]
	v_lshrrev_b32_e32 v17, 3, v6
	v_sub_u32_e32 v19, 29, v20
	v_and_b32_e32 v18, 7, v18
	v_cmp_gt_u32_e32 vcc, 8, v6
	v_cndmask_b32_e32 v6, v17, v19, vcc
	v_cndmask_b32_e32 v13, v13, v18, vcc
	v_lshlrev_b32_e32 v8, 24, v8
	v_lshlrev_b32_e32 v13, 20, v13
	v_and_b32_e32 v8, 0x80000000, v8
	v_lshl_add_u32 v6, v6, 23, v10
	v_or3_b32 v6, v8, v6, v13
	v_lshrrev_b32_e32 v17, 16, v6
.LBB815_1104:                           ;   in Loop: Header=BB815_794 Depth=1
	s_or_b64 exec, exec, s[18:19]
.LBB815_1105:                           ;   in Loop: Header=BB815_794 Depth=1
	s_or_b64 exec, exec, s[16:17]
.LBB815_1106:                           ;   in Loop: Header=BB815_794 Depth=1
	s_or_b64 exec, exec, s[14:15]
	s_waitcnt vmcnt(0)
	v_cmp_ne_u16_sdwa s[16:17], v4, v9 src0_sel:BYTE_0 src1_sel:DWORD
	s_and_saveexec_b64 s[14:15], s[16:17]
	s_cbranch_execz .LBB815_1112
; %bb.1107:                             ;   in Loop: Header=BB815_794 Depth=1
	v_cmp_ne_u16_sdwa s[18:19], v4, s21 src0_sel:BYTE_0 src1_sel:DWORD
	v_mov_b32_e32 v16, 0xffff8000
	s_and_saveexec_b64 s[16:17], s[18:19]
	s_cbranch_execz .LBB815_1111
; %bb.1108:                             ;   in Loop: Header=BB815_794 Depth=1
	v_and_b32_e32 v6, 0x7f, v4
	v_cmp_ne_u32_e32 vcc, s23, v6
	v_mov_b32_e32 v16, 0x7f80
	s_and_saveexec_b64 s[18:19], vcc
	s_cbranch_execz .LBB815_1110
; %bb.1109:                             ;   in Loop: Header=BB815_794 Depth=1
	v_and_b32_e32 v8, 7, v4
	v_ffbh_u32_e32 v16, v8
	v_min_u32_e32 v16, 32, v16
	v_subrev_u32_e32 v18, 28, v16
	v_lshlrev_b64 v[18:19], v18, v[4:5]
	v_lshrrev_b32_e32 v13, 3, v6
	v_sub_u32_e32 v16, 29, v16
	v_and_b32_e32 v18, 7, v18
	v_cmp_gt_u32_e32 vcc, 8, v6
	v_cndmask_b32_e32 v6, v13, v16, vcc
	v_cndmask_b32_e32 v8, v8, v18, vcc
	v_lshlrev_b32_e32 v13, 24, v4
	v_lshlrev_b32_e32 v8, 20, v8
	v_and_b32_e32 v13, 0x80000000, v13
	v_lshl_add_u32 v6, v6, 23, v10
	v_or3_b32 v6, v13, v6, v8
	v_lshrrev_b32_e32 v16, 16, v6
.LBB815_1110:                           ;   in Loop: Header=BB815_794 Depth=1
	s_or_b64 exec, exec, s[18:19]
.LBB815_1111:                           ;   in Loop: Header=BB815_794 Depth=1
	s_or_b64 exec, exec, s[16:17]
.LBB815_1112:                           ;   in Loop: Header=BB815_794 Depth=1
	s_or_b64 exec, exec, s[14:15]
	v_lshrrev_b16_e32 v6, 8, v4
	v_cmp_ne_u16_e32 vcc, 0, v6
	v_mov_b32_e32 v18, 0
	v_mov_b32_e32 v8, 0
	s_and_saveexec_b64 s[14:15], vcc
	s_cbranch_execz .LBB815_1118
; %bb.1113:                             ;   in Loop: Header=BB815_794 Depth=1
	v_cmp_ne_u16_e32 vcc, s21, v6
	v_mov_b32_e32 v8, 0xffff8000
	s_and_saveexec_b64 s[16:17], vcc
	s_cbranch_execz .LBB815_1117
; %bb.1114:                             ;   in Loop: Header=BB815_794 Depth=1
	v_and_b32_e32 v13, 0x7f, v6
	v_cmp_ne_u32_e32 vcc, s23, v13
	v_mov_b32_e32 v8, 0x7f80
	s_and_saveexec_b64 s[18:19], vcc
	s_cbranch_execz .LBB815_1116
; %bb.1115:                             ;   in Loop: Header=BB815_794 Depth=1
	v_and_b32_e32 v8, 7, v6
	v_ffbh_u32_e32 v20, v8
	v_min_u32_e32 v22, 32, v20
	v_subrev_u32_e32 v20, 28, v22
	v_lshlrev_b64 v[20:21], v20, v[6:7]
	v_lshrrev_b32_e32 v19, 3, v13
	v_sub_u32_e32 v6, 29, v22
	v_and_b32_e32 v20, 7, v20
	v_cmp_gt_u32_e32 vcc, 8, v13
	v_cndmask_b32_e32 v6, v19, v6, vcc
	v_cndmask_b32_e32 v8, v8, v20, vcc
	v_lshlrev_b32_e32 v13, 16, v4
	v_lshlrev_b32_e32 v8, 20, v8
	v_and_b32_e32 v13, 0x80000000, v13
	v_lshl_add_u32 v6, v6, 23, v10
	v_or3_b32 v6, v13, v6, v8
	v_lshrrev_b32_e32 v8, 16, v6
.LBB815_1116:                           ;   in Loop: Header=BB815_794 Depth=1
	s_or_b64 exec, exec, s[18:19]
.LBB815_1117:                           ;   in Loop: Header=BB815_794 Depth=1
	s_or_b64 exec, exec, s[16:17]
.LBB815_1118:                           ;   in Loop: Header=BB815_794 Depth=1
	s_or_b64 exec, exec, s[14:15]
	v_lshrrev_b32_e32 v6, 16, v4
	v_cmp_ne_u16_sdwa s[16:17], v6, v9 src0_sel:BYTE_0 src1_sel:DWORD
	s_and_saveexec_b64 s[14:15], s[16:17]
	s_cbranch_execz .LBB815_1124
; %bb.1119:                             ;   in Loop: Header=BB815_794 Depth=1
	v_cmp_ne_u16_sdwa s[18:19], v6, s21 src0_sel:BYTE_0 src1_sel:DWORD
	v_mov_b32_e32 v18, 0xffff8000
	s_and_saveexec_b64 s[16:17], s[18:19]
	s_cbranch_execz .LBB815_1123
; %bb.1120:                             ;   in Loop: Header=BB815_794 Depth=1
	v_bfe_u32 v13, v4, 16, 7
	v_cmp_ne_u32_e32 vcc, s23, v13
	v_mov_b32_e32 v18, 0x7f80
	s_and_saveexec_b64 s[18:19], vcc
	s_cbranch_execz .LBB815_1122
; %bb.1121:                             ;   in Loop: Header=BB815_794 Depth=1
	v_and_b32_e32 v20, 7, v6
	v_ffbh_u32_e32 v18, v20
	v_min_u32_e32 v22, 32, v18
	v_subrev_u32_e32 v18, 28, v22
	v_lshlrev_b64 v[18:19], v18, v[6:7]
	v_lshrrev_b32_e32 v21, 3, v13
	v_sub_u32_e32 v19, 29, v22
	v_and_b32_e32 v18, 7, v18
	v_cmp_gt_u32_e32 vcc, 8, v13
	v_cndmask_b32_e32 v13, v21, v19, vcc
	v_cndmask_b32_e32 v18, v20, v18, vcc
	v_lshlrev_b32_e32 v6, 24, v6
	v_lshlrev_b32_e32 v18, 20, v18
	v_and_b32_e32 v6, 0x80000000, v6
	v_lshl_add_u32 v13, v13, 23, v10
	v_or3_b32 v6, v6, v13, v18
	v_lshrrev_b32_e32 v18, 16, v6
.LBB815_1122:                           ;   in Loop: Header=BB815_794 Depth=1
	s_or_b64 exec, exec, s[18:19]
.LBB815_1123:                           ;   in Loop: Header=BB815_794 Depth=1
	s_or_b64 exec, exec, s[16:17]
.LBB815_1124:                           ;   in Loop: Header=BB815_794 Depth=1
	s_or_b64 exec, exec, s[14:15]
	v_cmp_lt_u32_e32 vcc, s25, v4
	v_mov_b32_e32 v13, 0
	v_mov_b32_e32 v19, 0
	s_and_saveexec_b64 s[14:15], vcc
	s_cbranch_execz .LBB815_1130
; %bb.1125:                             ;   in Loop: Header=BB815_794 Depth=1
	v_lshrrev_b32_e32 v6, 24, v4
	v_cmp_ne_u32_e32 vcc, s21, v6
	v_mov_b32_e32 v19, 0xffff8000
	s_and_saveexec_b64 s[16:17], vcc
	s_cbranch_execz .LBB815_1129
; %bb.1126:                             ;   in Loop: Header=BB815_794 Depth=1
	v_bfe_u32 v4, v4, 24, 7
	v_cmp_ne_u32_e32 vcc, s23, v4
	v_mov_b32_e32 v19, 0x7f80
	s_and_saveexec_b64 s[18:19], vcc
	s_cbranch_execz .LBB815_1128
; %bb.1127:                             ;   in Loop: Header=BB815_794 Depth=1
	v_and_b32_e32 v19, 7, v6
	v_ffbh_u32_e32 v20, v19
	v_min_u32_e32 v23, 32, v20
	v_subrev_u32_e32 v20, 28, v23
	v_lshlrev_b64 v[20:21], v20, v[6:7]
	v_lshrrev_b32_e32 v22, 3, v4
	v_sub_u32_e32 v21, 29, v23
	v_and_b32_e32 v20, 7, v20
	v_cmp_gt_u32_e32 vcc, 8, v4
	v_cndmask_b32_e32 v4, v22, v21, vcc
	v_cndmask_b32_e32 v19, v19, v20, vcc
	v_lshlrev_b32_e32 v6, 24, v6
	v_lshlrev_b32_e32 v19, 20, v19
	v_and_b32_e32 v6, 0x80000000, v6
	v_lshl_add_u32 v4, v4, 23, v10
	v_or3_b32 v4, v6, v4, v19
	v_lshrrev_b32_e32 v19, 16, v4
.LBB815_1128:                           ;   in Loop: Header=BB815_794 Depth=1
	s_or_b64 exec, exec, s[18:19]
.LBB815_1129:                           ;   in Loop: Header=BB815_794 Depth=1
	s_or_b64 exec, exec, s[16:17]
.LBB815_1130:                           ;   in Loop: Header=BB815_794 Depth=1
	s_or_b64 exec, exec, s[14:15]
	buffer_load_dword v6, v11, s[0:3], 0 offen offset:56
	buffer_load_dword v4, v11, s[0:3], 0 offen offset:60
	v_perm_b32 v15, v17, v15, s26
	v_perm_b32 v14, v14, v12, s26
	;; [unrolled: 1-line block ×4, first 2 shown]
	v_mfma_f32_4x4x4bf16_1k a[0:3], v[2:3], v[14:15], a[0:3] cbsz:4 abid:12
	s_waitcnt vmcnt(1)
	v_cmp_ne_u16_sdwa s[16:17], v6, v9 src0_sel:BYTE_0 src1_sel:DWORD
	v_mfma_f32_4x4x4bf16_1k a[0:3], v[2:3], v[16:17], a[0:3] cbsz:4 abid:13
	s_and_saveexec_b64 s[14:15], s[16:17]
	s_cbranch_execz .LBB815_1136
; %bb.1131:                             ;   in Loop: Header=BB815_794 Depth=1
	v_cmp_ne_u16_sdwa s[18:19], v6, s21 src0_sel:BYTE_0 src1_sel:DWORD
	v_mov_b32_e32 v13, 0xffff8000
	s_and_saveexec_b64 s[16:17], s[18:19]
	s_cbranch_execz .LBB815_1135
; %bb.1132:                             ;   in Loop: Header=BB815_794 Depth=1
	v_and_b32_e32 v8, 0x7f, v6
	v_cmp_ne_u32_e32 vcc, s23, v8
	v_mov_b32_e32 v13, 0x7f80
	s_and_saveexec_b64 s[18:19], vcc
	s_cbranch_execz .LBB815_1134
; %bb.1133:                             ;   in Loop: Header=BB815_794 Depth=1
	v_and_b32_e32 v11, 7, v6
	v_ffbh_u32_e32 v12, v11
	v_min_u32_e32 v15, 32, v12
	v_subrev_u32_e32 v12, 28, v15
	v_lshlrev_b64 v[12:13], v12, v[6:7]
	v_lshrrev_b32_e32 v14, 3, v8
	v_sub_u32_e32 v13, 29, v15
	v_and_b32_e32 v12, 7, v12
	v_cmp_gt_u32_e32 vcc, 8, v8
	v_cndmask_b32_e32 v8, v14, v13, vcc
	v_cndmask_b32_e32 v11, v11, v12, vcc
	v_lshlrev_b32_e32 v12, 24, v6
	v_lshlrev_b32_e32 v11, 20, v11
	v_and_b32_e32 v12, 0x80000000, v12
	v_lshl_add_u32 v8, v8, 23, v10
	v_or3_b32 v8, v12, v8, v11
	v_lshrrev_b32_e32 v13, 16, v8
.LBB815_1134:                           ;   in Loop: Header=BB815_794 Depth=1
	s_or_b64 exec, exec, s[18:19]
.LBB815_1135:                           ;   in Loop: Header=BB815_794 Depth=1
	s_or_b64 exec, exec, s[16:17]
.LBB815_1136:                           ;   in Loop: Header=BB815_794 Depth=1
	s_or_b64 exec, exec, s[14:15]
	v_lshrrev_b16_e32 v8, 8, v6
	v_cmp_ne_u16_e32 vcc, 0, v8
	v_mov_b32_e32 v12, 0
	v_mov_b32_e32 v11, 0
	s_and_saveexec_b64 s[14:15], vcc
	s_cbranch_execz .LBB815_1142
; %bb.1137:                             ;   in Loop: Header=BB815_794 Depth=1
	v_cmp_ne_u16_e32 vcc, s21, v8
	v_mov_b32_e32 v11, 0xffff8000
	s_and_saveexec_b64 s[16:17], vcc
	s_cbranch_execz .LBB815_1141
; %bb.1138:                             ;   in Loop: Header=BB815_794 Depth=1
	v_and_b32_e32 v14, 0x7f, v8
	v_cmp_ne_u32_e32 vcc, s23, v14
	v_mov_b32_e32 v11, 0x7f80
	s_and_saveexec_b64 s[18:19], vcc
	s_cbranch_execz .LBB815_1140
; %bb.1139:                             ;   in Loop: Header=BB815_794 Depth=1
	v_and_b32_e32 v11, 7, v8
	v_ffbh_u32_e32 v16, v11
	v_min_u32_e32 v18, 32, v16
	v_subrev_u32_e32 v16, 28, v18
	v_lshlrev_b64 v[16:17], v16, v[8:9]
	v_lshrrev_b32_e32 v15, 3, v14
	v_sub_u32_e32 v8, 29, v18
	v_and_b32_e32 v16, 7, v16
	v_cmp_gt_u32_e32 vcc, 8, v14
	v_cndmask_b32_e32 v8, v15, v8, vcc
	v_cndmask_b32_e32 v11, v11, v16, vcc
	v_lshlrev_b32_e32 v14, 16, v6
	v_lshlrev_b32_e32 v11, 20, v11
	v_and_b32_e32 v14, 0x80000000, v14
	v_lshl_add_u32 v8, v8, 23, v10
	v_or3_b32 v8, v14, v8, v11
	v_lshrrev_b32_e32 v11, 16, v8
.LBB815_1140:                           ;   in Loop: Header=BB815_794 Depth=1
	s_or_b64 exec, exec, s[18:19]
.LBB815_1141:                           ;   in Loop: Header=BB815_794 Depth=1
	s_or_b64 exec, exec, s[16:17]
.LBB815_1142:                           ;   in Loop: Header=BB815_794 Depth=1
	s_or_b64 exec, exec, s[14:15]
	v_lshrrev_b32_e32 v8, 16, v6
	v_cmp_ne_u16_sdwa s[16:17], v8, v9 src0_sel:BYTE_0 src1_sel:DWORD
	s_and_saveexec_b64 s[14:15], s[16:17]
	s_cbranch_execz .LBB815_1148
; %bb.1143:                             ;   in Loop: Header=BB815_794 Depth=1
	v_cmp_ne_u16_sdwa s[18:19], v8, s21 src0_sel:BYTE_0 src1_sel:DWORD
	v_mov_b32_e32 v12, 0xffff8000
	s_and_saveexec_b64 s[16:17], s[18:19]
	s_cbranch_execz .LBB815_1147
; %bb.1144:                             ;   in Loop: Header=BB815_794 Depth=1
	v_bfe_u32 v14, v6, 16, 7
	v_cmp_ne_u32_e32 vcc, s23, v14
	v_mov_b32_e32 v12, 0x7f80
	s_and_saveexec_b64 s[18:19], vcc
	s_cbranch_execz .LBB815_1146
; %bb.1145:                             ;   in Loop: Header=BB815_794 Depth=1
	v_and_b32_e32 v12, 7, v8
	v_ffbh_u32_e32 v16, v12
	v_min_u32_e32 v18, 32, v16
	v_subrev_u32_e32 v16, 28, v18
	v_lshlrev_b64 v[16:17], v16, v[8:9]
	v_lshrrev_b32_e32 v15, 3, v14
	v_sub_u32_e32 v17, 29, v18
	v_and_b32_e32 v16, 7, v16
	v_cmp_gt_u32_e32 vcc, 8, v14
	v_cndmask_b32_e32 v14, v15, v17, vcc
	v_cndmask_b32_e32 v12, v12, v16, vcc
	v_lshlrev_b32_e32 v8, 24, v8
	v_lshlrev_b32_e32 v12, 20, v12
	v_and_b32_e32 v8, 0x80000000, v8
	v_lshl_add_u32 v14, v14, 23, v10
	v_or3_b32 v8, v8, v14, v12
	v_lshrrev_b32_e32 v12, 16, v8
.LBB815_1146:                           ;   in Loop: Header=BB815_794 Depth=1
	s_or_b64 exec, exec, s[18:19]
.LBB815_1147:                           ;   in Loop: Header=BB815_794 Depth=1
	s_or_b64 exec, exec, s[16:17]
.LBB815_1148:                           ;   in Loop: Header=BB815_794 Depth=1
	s_or_b64 exec, exec, s[14:15]
	v_cmp_lt_u32_e32 vcc, s25, v6
	v_mov_b32_e32 v14, 0
	v_mov_b32_e32 v15, 0
	s_and_saveexec_b64 s[14:15], vcc
	s_cbranch_execz .LBB815_1154
; %bb.1149:                             ;   in Loop: Header=BB815_794 Depth=1
	v_lshrrev_b32_e32 v8, 24, v6
	v_cmp_ne_u32_e32 vcc, s21, v8
	v_mov_b32_e32 v15, 0xffff8000
	s_and_saveexec_b64 s[16:17], vcc
	s_cbranch_execz .LBB815_1153
; %bb.1150:                             ;   in Loop: Header=BB815_794 Depth=1
	v_bfe_u32 v6, v6, 24, 7
	v_cmp_ne_u32_e32 vcc, s23, v6
	v_mov_b32_e32 v15, 0x7f80
	s_and_saveexec_b64 s[18:19], vcc
	s_cbranch_execz .LBB815_1152
; %bb.1151:                             ;   in Loop: Header=BB815_794 Depth=1
	v_and_b32_e32 v15, 7, v8
	v_ffbh_u32_e32 v16, v15
	v_min_u32_e32 v19, 32, v16
	v_subrev_u32_e32 v16, 28, v19
	v_lshlrev_b64 v[16:17], v16, v[8:9]
	v_lshrrev_b32_e32 v18, 3, v6
	v_sub_u32_e32 v17, 29, v19
	v_and_b32_e32 v16, 7, v16
	v_cmp_gt_u32_e32 vcc, 8, v6
	v_cndmask_b32_e32 v6, v18, v17, vcc
	v_cndmask_b32_e32 v15, v15, v16, vcc
	v_lshlrev_b32_e32 v8, 24, v8
	v_lshlrev_b32_e32 v15, 20, v15
	v_and_b32_e32 v8, 0x80000000, v8
	v_lshl_add_u32 v6, v6, 23, v10
	v_or3_b32 v6, v8, v6, v15
	v_lshrrev_b32_e32 v15, 16, v6
.LBB815_1152:                           ;   in Loop: Header=BB815_794 Depth=1
	s_or_b64 exec, exec, s[18:19]
.LBB815_1153:                           ;   in Loop: Header=BB815_794 Depth=1
	s_or_b64 exec, exec, s[16:17]
.LBB815_1154:                           ;   in Loop: Header=BB815_794 Depth=1
	s_or_b64 exec, exec, s[14:15]
	s_waitcnt vmcnt(0)
	v_cmp_ne_u16_sdwa s[16:17], v4, v9 src0_sel:BYTE_0 src1_sel:DWORD
	s_and_saveexec_b64 s[14:15], s[16:17]
	s_cbranch_execz .LBB815_1160
; %bb.1155:                             ;   in Loop: Header=BB815_794 Depth=1
	v_cmp_ne_u16_sdwa s[18:19], v4, s21 src0_sel:BYTE_0 src1_sel:DWORD
	v_mov_b32_e32 v14, 0xffff8000
	s_and_saveexec_b64 s[16:17], s[18:19]
	s_cbranch_execz .LBB815_1159
; %bb.1156:                             ;   in Loop: Header=BB815_794 Depth=1
	v_and_b32_e32 v6, 0x7f, v4
	v_cmp_ne_u32_e32 vcc, s23, v6
	v_mov_b32_e32 v14, 0x7f80
	s_and_saveexec_b64 s[18:19], vcc
	s_cbranch_execz .LBB815_1158
; %bb.1157:                             ;   in Loop: Header=BB815_794 Depth=1
	v_and_b32_e32 v8, 7, v4
	v_ffbh_u32_e32 v16, v8
	v_min_u32_e32 v18, 32, v16
	v_subrev_u32_e32 v16, 28, v18
	v_lshlrev_b64 v[16:17], v16, v[4:5]
	v_lshrrev_b32_e32 v14, 3, v6
	v_sub_u32_e32 v17, 29, v18
	v_and_b32_e32 v16, 7, v16
	v_cmp_gt_u32_e32 vcc, 8, v6
	v_cndmask_b32_e32 v6, v14, v17, vcc
	v_cndmask_b32_e32 v8, v8, v16, vcc
	v_lshlrev_b32_e32 v14, 24, v4
	v_lshlrev_b32_e32 v8, 20, v8
	v_and_b32_e32 v14, 0x80000000, v14
	v_lshl_add_u32 v6, v6, 23, v10
	v_or3_b32 v6, v14, v6, v8
	v_lshrrev_b32_e32 v14, 16, v6
.LBB815_1158:                           ;   in Loop: Header=BB815_794 Depth=1
	s_or_b64 exec, exec, s[18:19]
.LBB815_1159:                           ;   in Loop: Header=BB815_794 Depth=1
	s_or_b64 exec, exec, s[16:17]
.LBB815_1160:                           ;   in Loop: Header=BB815_794 Depth=1
	s_or_b64 exec, exec, s[14:15]
	v_lshrrev_b16_e32 v6, 8, v4
	v_cmp_ne_u16_e32 vcc, 0, v6
	v_mov_b32_e32 v16, 0
	v_mov_b32_e32 v8, 0
	s_and_saveexec_b64 s[14:15], vcc
	s_cbranch_execz .LBB815_1166
; %bb.1161:                             ;   in Loop: Header=BB815_794 Depth=1
	v_cmp_ne_u16_e32 vcc, s21, v6
	v_mov_b32_e32 v8, 0xffff8000
	s_and_saveexec_b64 s[16:17], vcc
	s_cbranch_execz .LBB815_1165
; %bb.1162:                             ;   in Loop: Header=BB815_794 Depth=1
	v_and_b32_e32 v17, 0x7f, v6
	v_cmp_ne_u32_e32 vcc, s23, v17
	v_mov_b32_e32 v8, 0x7f80
	s_and_saveexec_b64 s[18:19], vcc
	s_cbranch_execz .LBB815_1164
; %bb.1163:                             ;   in Loop: Header=BB815_794 Depth=1
	v_and_b32_e32 v8, 7, v6
	v_ffbh_u32_e32 v18, v8
	v_min_u32_e32 v21, 32, v18
	v_subrev_u32_e32 v18, 28, v21
	v_lshlrev_b64 v[18:19], v18, v[6:7]
	v_lshrrev_b32_e32 v20, 3, v17
	v_sub_u32_e32 v6, 29, v21
	v_and_b32_e32 v18, 7, v18
	v_cmp_gt_u32_e32 vcc, 8, v17
	v_cndmask_b32_e32 v6, v20, v6, vcc
	v_cndmask_b32_e32 v8, v8, v18, vcc
	v_lshlrev_b32_e32 v17, 16, v4
	v_lshlrev_b32_e32 v8, 20, v8
	v_and_b32_e32 v17, 0x80000000, v17
	v_lshl_add_u32 v6, v6, 23, v10
	v_or3_b32 v6, v17, v6, v8
	v_lshrrev_b32_e32 v8, 16, v6
.LBB815_1164:                           ;   in Loop: Header=BB815_794 Depth=1
	s_or_b64 exec, exec, s[18:19]
.LBB815_1165:                           ;   in Loop: Header=BB815_794 Depth=1
	s_or_b64 exec, exec, s[16:17]
.LBB815_1166:                           ;   in Loop: Header=BB815_794 Depth=1
	s_or_b64 exec, exec, s[14:15]
	v_lshrrev_b32_e32 v6, 16, v4
	v_cmp_ne_u16_sdwa s[16:17], v6, v9 src0_sel:BYTE_0 src1_sel:DWORD
	s_and_saveexec_b64 s[14:15], s[16:17]
	s_cbranch_execz .LBB815_1172
; %bb.1167:                             ;   in Loop: Header=BB815_794 Depth=1
	v_cmp_ne_u16_sdwa s[18:19], v6, s21 src0_sel:BYTE_0 src1_sel:DWORD
	v_mov_b32_e32 v16, 0xffff8000
	s_and_saveexec_b64 s[16:17], s[18:19]
	s_cbranch_execz .LBB815_1171
; %bb.1168:                             ;   in Loop: Header=BB815_794 Depth=1
	v_bfe_u32 v17, v4, 16, 7
	v_cmp_ne_u32_e32 vcc, s23, v17
	v_mov_b32_e32 v16, 0x7f80
	s_and_saveexec_b64 s[18:19], vcc
	s_cbranch_execz .LBB815_1170
; %bb.1169:                             ;   in Loop: Header=BB815_794 Depth=1
	v_and_b32_e32 v16, 7, v6
	v_ffbh_u32_e32 v18, v16
	v_min_u32_e32 v21, 32, v18
	v_subrev_u32_e32 v18, 28, v21
	v_lshlrev_b64 v[18:19], v18, v[6:7]
	v_lshrrev_b32_e32 v20, 3, v17
	v_sub_u32_e32 v19, 29, v21
	v_and_b32_e32 v18, 7, v18
	v_cmp_gt_u32_e32 vcc, 8, v17
	v_cndmask_b32_e32 v17, v20, v19, vcc
	v_cndmask_b32_e32 v16, v16, v18, vcc
	v_lshlrev_b32_e32 v6, 24, v6
	v_lshlrev_b32_e32 v16, 20, v16
	v_and_b32_e32 v6, 0x80000000, v6
	v_lshl_add_u32 v17, v17, 23, v10
	v_or3_b32 v6, v6, v17, v16
	v_lshrrev_b32_e32 v16, 16, v6
.LBB815_1170:                           ;   in Loop: Header=BB815_794 Depth=1
	s_or_b64 exec, exec, s[18:19]
.LBB815_1171:                           ;   in Loop: Header=BB815_794 Depth=1
	s_or_b64 exec, exec, s[16:17]
.LBB815_1172:                           ;   in Loop: Header=BB815_794 Depth=1
	s_or_b64 exec, exec, s[14:15]
	v_cmp_lt_u32_e32 vcc, s25, v4
	v_mov_b32_e32 v17, 0
	s_and_saveexec_b64 s[14:15], vcc
	s_cbranch_execz .LBB815_793
; %bb.1173:                             ;   in Loop: Header=BB815_794 Depth=1
	v_lshrrev_b32_e32 v6, 24, v4
	v_cmp_ne_u32_e32 vcc, s21, v6
	v_mov_b32_e32 v17, 0xffff8000
	s_and_saveexec_b64 s[16:17], vcc
	s_cbranch_execz .LBB815_792
; %bb.1174:                             ;   in Loop: Header=BB815_794 Depth=1
	v_bfe_u32 v4, v4, 24, 7
	v_cmp_ne_u32_e32 vcc, s23, v4
	v_mov_b32_e32 v17, 0x7f80
	s_and_saveexec_b64 s[18:19], vcc
	s_cbranch_execz .LBB815_791
; %bb.1175:                             ;   in Loop: Header=BB815_794 Depth=1
	v_and_b32_e32 v17, 7, v6
	v_ffbh_u32_e32 v18, v17
	v_min_u32_e32 v21, 32, v18
	v_subrev_u32_e32 v18, 28, v21
	v_lshlrev_b64 v[18:19], v18, v[6:7]
	v_lshrrev_b32_e32 v20, 3, v4
	v_sub_u32_e32 v19, 29, v21
	v_and_b32_e32 v18, 7, v18
	v_cmp_gt_u32_e32 vcc, 8, v4
	v_cndmask_b32_e32 v4, v20, v19, vcc
	v_cndmask_b32_e32 v17, v17, v18, vcc
	v_lshlrev_b32_e32 v6, 24, v6
	v_lshlrev_b32_e32 v17, 20, v17
	v_and_b32_e32 v6, 0x80000000, v6
	v_lshl_add_u32 v4, v4, 23, v10
	v_or3_b32 v4, v6, v4, v17
	v_lshrrev_b32_e32 v17, 16, v4
	s_branch .LBB815_791
.LBB815_1176:
	s_or_b64 exec, exec, s[6:7]
	v_cmp_gt_u32_e32 vcc, 64, v0
	s_waitcnt lgkmcnt(0)
	s_barrier
	s_and_saveexec_b64 s[6:7], vcc
	s_cbranch_execz .LBB815_1178
; %bb.1177:
	v_mul_u32_u24_e32 v6, 40, v1
	ds_read2_b64 v[2:5], v6 offset1:1
	ds_read2_b64 v[6:9], v6 offset0:2 offset1:3
	s_mov_b32 s5, 0
	s_lshl_b32 s4, s4, 7
	s_lshl_b64 s[6:7], s[4:5], 1
	s_waitcnt lgkmcnt(1)
	v_and_b32_e32 v3, 0xffff0000, v2
	v_add_f32_e32 v3, 0, v3
	v_and_b32_e32 v5, 0xffff0000, v4
	v_and_b32_e32 v3, 0xffff0000, v3
	v_add_f32_e32 v3, v3, v5
	s_waitcnt lgkmcnt(0)
	v_and_b32_e32 v7, 0xffff0000, v6
	v_and_b32_e32 v3, 0xffff0000, v3
	v_add_f32_e32 v3, v3, v7
	v_mov_b32_e32 v7, 0xa00
	v_mad_u32_u24 v7, v1, 40, v7
	ds_read2_b64 v[10:13], v7 offset1:1
	v_and_b32_e32 v3, 0xffff0000, v3
	v_and_b32_e32 v5, 0xffff0000, v8
	v_add_f32_e32 v7, v3, v5
	v_mov_b32_e32 v3, 0xa10
	v_mad_u32_u24 v1, v1, 40, v3
	ds_read2_b64 v[14:17], v1 offset1:1
	s_waitcnt lgkmcnt(1)
	v_lshlrev_b32_e32 v1, 16, v10
	v_add_f32_e32 v1, 0, v1
	v_and_b32_e32 v3, 0xffff0000, v10
	v_and_b32_e32 v1, 0xffff0000, v1
	v_add_f32_e32 v3, 0, v3
	v_lshlrev_b32_e32 v5, 16, v12
	v_and_b32_e32 v3, 0xffff0000, v3
	v_add_f32_e32 v1, v1, v5
	v_and_b32_e32 v5, 0xffff0000, v12
	v_and_b32_e32 v1, 0xffff0000, v1
	v_add_f32_e32 v3, v3, v5
	s_waitcnt lgkmcnt(0)
	v_lshlrev_b32_e32 v5, 16, v14
	v_and_b32_e32 v3, 0xffff0000, v3
	v_add_f32_e32 v1, v1, v5
	v_and_b32_e32 v5, 0xffff0000, v14
	v_and_b32_e32 v1, 0xffff0000, v1
	v_add_f32_e32 v3, v3, v5
	v_lshlrev_b32_e32 v5, 16, v16
	v_and_b32_e32 v3, 0xffff0000, v3
	v_add_f32_e32 v9, v1, v5
	v_and_b32_e32 v1, 0xffff0000, v16
	v_add_f32_e32 v10, v3, v1
	v_lshlrev_b32_e32 v1, 16, v2
	s_add_u32 s6, s30, s6
	v_add_f32_e32 v1, 0, v1
	s_addc_u32 s7, s31, s7
	s_lshl_b32 s4, s28, 7
	v_and_b32_e32 v1, 0xffff0000, v1
	v_lshlrev_b32_e32 v2, 16, v4
	s_lshl_b64 s[4:5], s[4:5], 1
	v_add_f32_e32 v1, v1, v2
	s_add_u32 s4, s6, s4
	v_and_b32_e32 v1, 0xffff0000, v1
	v_lshlrev_b32_e32 v2, 16, v6
	s_addc_u32 s5, s7, s5
	s_lshl_b32 s6, s33, 7
	v_add_f32_e32 v1, v1, v2
	v_and_b32_e32 v1, 0xffff0000, v1
	v_lshlrev_b32_e32 v2, 16, v8
	s_mul_i32 s7, s6, s24
	v_add_f32_e32 v1, v1, v2
	v_or_b32_e32 v2, s7, v0
	v_mov_b32_e32 v3, 0
	v_lshlrev_b64 v[4:5], 1, v[2:3]
	v_mov_b32_e32 v2, s5
	v_add_co_u32_e32 v4, vcc, s4, v4
	s_add_i32 s7, s7, s6
	v_addc_co_u32_e32 v5, vcc, v2, v5, vcc
	v_or_b32_e32 v2, s7, v0
	global_store_short_d16_hi v[4:5], v1, off
	v_lshlrev_b64 v[0:1], 1, v[2:3]
	v_mov_b32_e32 v2, s5
	v_add_co_u32_e32 v0, vcc, s4, v0
	v_addc_co_u32_e32 v1, vcc, v2, v1, vcc
	global_store_short_d16_hi v[0:1], v7, off
	global_store_short_d16_hi v[4:5], v9, off offset:128
	global_store_short_d16_hi v[0:1], v10, off offset:128
.LBB815_1178:
	s_endpgm
	.section	.rodata,"a",@progbits
	.p2align	6, 0x0
	.amdhsa_kernel _Z38paged_attention_ll4mi_QKV_mfma4_kernelI14__hip_bfloat16hLN4vllm18Fp8KVCacheDataTypeE1ES0_Li32ELi128ELi256ELb0ELi2EEvPKT_PKT0_S8_ifPKiSA_SA_iPKfiiiPfSD_PS3_PT2_iSC_SC_
		.amdhsa_group_segment_fixed_size 5280
		.amdhsa_private_segment_fixed_size 144
		.amdhsa_kernarg_size 400
		.amdhsa_user_sgpr_count 8
		.amdhsa_user_sgpr_private_segment_buffer 1
		.amdhsa_user_sgpr_dispatch_ptr 0
		.amdhsa_user_sgpr_queue_ptr 0
		.amdhsa_user_sgpr_kernarg_segment_ptr 1
		.amdhsa_user_sgpr_dispatch_id 0
		.amdhsa_user_sgpr_flat_scratch_init 1
		.amdhsa_user_sgpr_kernarg_preload_length 0
		.amdhsa_user_sgpr_kernarg_preload_offset 0
		.amdhsa_user_sgpr_private_segment_size 0
		.amdhsa_uses_dynamic_stack 0
		.amdhsa_system_sgpr_private_segment_wavefront_offset 1
		.amdhsa_system_sgpr_workgroup_id_x 1
		.amdhsa_system_sgpr_workgroup_id_y 1
		.amdhsa_system_sgpr_workgroup_id_z 1
		.amdhsa_system_sgpr_workgroup_info 0
		.amdhsa_system_vgpr_workitem_id 0
		.amdhsa_next_free_vgpr 80
		.amdhsa_next_free_sgpr 46
		.amdhsa_accum_offset 76
		.amdhsa_reserve_vcc 1
		.amdhsa_reserve_flat_scratch 0
		.amdhsa_float_round_mode_32 0
		.amdhsa_float_round_mode_16_64 0
		.amdhsa_float_denorm_mode_32 3
		.amdhsa_float_denorm_mode_16_64 3
		.amdhsa_dx10_clamp 1
		.amdhsa_ieee_mode 1
		.amdhsa_fp16_overflow 0
		.amdhsa_tg_split 0
		.amdhsa_exception_fp_ieee_invalid_op 0
		.amdhsa_exception_fp_denorm_src 0
		.amdhsa_exception_fp_ieee_div_zero 0
		.amdhsa_exception_fp_ieee_overflow 0
		.amdhsa_exception_fp_ieee_underflow 0
		.amdhsa_exception_fp_ieee_inexact 0
		.amdhsa_exception_int_div_zero 0
	.end_amdhsa_kernel
	.section	.text._Z38paged_attention_ll4mi_QKV_mfma4_kernelI14__hip_bfloat16hLN4vllm18Fp8KVCacheDataTypeE1ES0_Li32ELi128ELi256ELb0ELi2EEvPKT_PKT0_S8_ifPKiSA_SA_iPKfiiiPfSD_PS3_PT2_iSC_SC_,"axG",@progbits,_Z38paged_attention_ll4mi_QKV_mfma4_kernelI14__hip_bfloat16hLN4vllm18Fp8KVCacheDataTypeE1ES0_Li32ELi128ELi256ELb0ELi2EEvPKT_PKT0_S8_ifPKiSA_SA_iPKfiiiPfSD_PS3_PT2_iSC_SC_,comdat
.Lfunc_end815:
	.size	_Z38paged_attention_ll4mi_QKV_mfma4_kernelI14__hip_bfloat16hLN4vllm18Fp8KVCacheDataTypeE1ES0_Li32ELi128ELi256ELb0ELi2EEvPKT_PKT0_S8_ifPKiSA_SA_iPKfiiiPfSD_PS3_PT2_iSC_SC_, .Lfunc_end815-_Z38paged_attention_ll4mi_QKV_mfma4_kernelI14__hip_bfloat16hLN4vllm18Fp8KVCacheDataTypeE1ES0_Li32ELi128ELi256ELb0ELi2EEvPKT_PKT0_S8_ifPKiSA_SA_iPKfiiiPfSD_PS3_PT2_iSC_SC_
                                        ; -- End function
	.section	.AMDGPU.csdata,"",@progbits
; Kernel info:
; codeLenInByte = 39516
; NumSgprs: 50
; NumVgprs: 74
; NumAgprs: 4
; TotalNumVgprs: 80
; ScratchSize: 144
; MemoryBound: 0
; FloatMode: 240
; IeeeMode: 1
; LDSByteSize: 5280 bytes/workgroup (compile time only)
; SGPRBlocks: 6
; VGPRBlocks: 9
; NumSGPRsForWavesPerEU: 50
; NumVGPRsForWavesPerEU: 80
; AccumOffset: 76
; Occupancy: 6
; WaveLimiterHint : 1
; COMPUTE_PGM_RSRC2:SCRATCH_EN: 1
; COMPUTE_PGM_RSRC2:USER_SGPR: 8
; COMPUTE_PGM_RSRC2:TRAP_HANDLER: 0
; COMPUTE_PGM_RSRC2:TGID_X_EN: 1
; COMPUTE_PGM_RSRC2:TGID_Y_EN: 1
; COMPUTE_PGM_RSRC2:TGID_Z_EN: 1
; COMPUTE_PGM_RSRC2:TIDIG_COMP_CNT: 0
; COMPUTE_PGM_RSRC3_GFX90A:ACCUM_OFFSET: 18
; COMPUTE_PGM_RSRC3_GFX90A:TG_SPLIT: 0
	.section	.text._Z38paged_attention_ll4mi_QKV_mfma4_kernelI14__hip_bfloat16hLN4vllm18Fp8KVCacheDataTypeE1ES0_Li32ELi128ELi256ELb0ELi3EEvPKT_PKT0_S8_ifPKiSA_SA_iPKfiiiPfSD_PS3_PT2_iSC_SC_,"axG",@progbits,_Z38paged_attention_ll4mi_QKV_mfma4_kernelI14__hip_bfloat16hLN4vllm18Fp8KVCacheDataTypeE1ES0_Li32ELi128ELi256ELb0ELi3EEvPKT_PKT0_S8_ifPKiSA_SA_iPKfiiiPfSD_PS3_PT2_iSC_SC_,comdat
	.protected	_Z38paged_attention_ll4mi_QKV_mfma4_kernelI14__hip_bfloat16hLN4vllm18Fp8KVCacheDataTypeE1ES0_Li32ELi128ELi256ELb0ELi3EEvPKT_PKT0_S8_ifPKiSA_SA_iPKfiiiPfSD_PS3_PT2_iSC_SC_ ; -- Begin function _Z38paged_attention_ll4mi_QKV_mfma4_kernelI14__hip_bfloat16hLN4vllm18Fp8KVCacheDataTypeE1ES0_Li32ELi128ELi256ELb0ELi3EEvPKT_PKT0_S8_ifPKiSA_SA_iPKfiiiPfSD_PS3_PT2_iSC_SC_
	.globl	_Z38paged_attention_ll4mi_QKV_mfma4_kernelI14__hip_bfloat16hLN4vllm18Fp8KVCacheDataTypeE1ES0_Li32ELi128ELi256ELb0ELi3EEvPKT_PKT0_S8_ifPKiSA_SA_iPKfiiiPfSD_PS3_PT2_iSC_SC_
	.p2align	8
	.type	_Z38paged_attention_ll4mi_QKV_mfma4_kernelI14__hip_bfloat16hLN4vllm18Fp8KVCacheDataTypeE1ES0_Li32ELi128ELi256ELb0ELi3EEvPKT_PKT0_S8_ifPKiSA_SA_iPKfiiiPfSD_PS3_PT2_iSC_SC_,@function
_Z38paged_attention_ll4mi_QKV_mfma4_kernelI14__hip_bfloat16hLN4vllm18Fp8KVCacheDataTypeE1ES0_Li32ELi128ELi256ELb0ELi3EEvPKT_PKT0_S8_ifPKiSA_SA_iPKfiiiPfSD_PS3_PT2_iSC_SC_: ; @_Z38paged_attention_ll4mi_QKV_mfma4_kernelI14__hip_bfloat16hLN4vllm18Fp8KVCacheDataTypeE1ES0_Li32ELi128ELi256ELb0ELi3EEvPKT_PKT0_S8_ifPKiSA_SA_iPKfiiiPfSD_PS3_PT2_iSC_SC_
; %bb.0:
	s_load_dwordx2 s[12:13], s[4:5], 0x30
	s_add_u32 s0, s0, s11
	s_addc_u32 s1, s1, 0
	s_mov_b32 s34, s9
	s_mov_b64 s[6:7], 0
	s_waitcnt lgkmcnt(0)
	s_cmp_lg_u64 s[12:13], 0
	s_cselect_b64 s[14:15], -1, 0
	s_and_b64 vcc, exec, s[14:15]
	s_cbranch_vccz .LBB816_10
; %bb.1:
	s_add_i32 s16, s8, 1
	s_mov_b32 s17, 0
	s_lshl_b64 s[18:19], s[16:17], 2
	s_add_u32 s18, s12, s18
	s_mov_b32 s9, s17
	s_addc_u32 s19, s13, s19
	s_lshl_b64 s[16:17], s[8:9], 2
	s_add_u32 s16, s12, s16
	s_addc_u32 s17, s13, s17
	s_load_dword s11, s[18:19], 0x0
	s_load_dword s20, s[16:17], 0x0
	s_waitcnt lgkmcnt(0)
	s_sub_i32 s11, s11, s20
	s_cmp_eq_u32 s11, 1
	s_cselect_b64 s[16:17], -1, 0
	s_andn2_b64 vcc, exec, s[6:7]
	s_cbranch_vccnz .LBB816_3
.LBB816_2:
	s_mov_b32 s9, 0
	s_mov_b64 s[16:17], -1
.LBB816_3:
	s_andn2_b64 vcc, exec, s[16:17]
	s_cbranch_vccnz .LBB816_1178
; %bb.4:
	s_load_dword s11, s[4:5], 0x9c
	s_load_dwordx2 s[6:7], s[4:5], 0x28
	s_add_u32 s38, s4, 0x90
	s_addc_u32 s39, s5, 0
	s_lshl_b64 s[24:25], s[8:9], 2
	s_waitcnt lgkmcnt(0)
	s_and_b32 s11, s11, 0xffff
	s_add_u32 s6, s6, s24
	s_addc_u32 s7, s7, s25
	s_load_dword s9, s[6:7], 0x0
	s_mul_i32 s11, s34, s11
	s_waitcnt lgkmcnt(0)
	s_cmp_ge_i32 s11, s9
	s_cbranch_scc1 .LBB816_1178
; %bb.5:
	v_and_b32_e32 v1, 0xc0, v0
	v_add_u32_e32 v7, s11, v1
	v_lshrrev_b32_e32 v42, 6, v0
	v_cmp_le_i32_e64 s[6:7], s9, v7
                                        ; implicit-def: $sgpr27
                                        ; implicit-def: $sgpr26
	s_and_saveexec_b64 s[16:17], s[6:7]
	s_xor_b64 s[16:17], exec, s[16:17]
	s_cbranch_execz .LBB816_7
; %bb.6:
	v_mul_u32_u24_e32 v1, 20, v42
	v_or_b32_e32 v1, 0x1400, v1
	v_mov_b32_e32 v2, 0x1450
	v_mov_b32_e32 v3, 0xff7fffff
	v_mad_u32_u24 v2, v42, 20, v2
	ds_write2_b32 v1, v3, v3 offset1:1
	v_mov_b32_e32 v1, 0
	ds_write2_b32 v2, v1, v1 offset1:1
	v_mov_b32_e32 v2, 0x1408
	s_mov_b32 s26, 0xff7fffff
	s_mov_b32 s27, 0
	v_mad_u32_u24 v2, v42, 20, v2
	v_mov_b32_e32 v4, 0x1458
	v_mad_u32_u24 v4, v42, 20, v4
	ds_write2_b32 v2, v3, v3 offset1:1
	ds_write2_b32 v4, v1, v1 offset1:1
                                        ; implicit-def: $vgpr7
.LBB816_7:
	s_or_saveexec_b64 s[40:41], s[16:17]
	s_load_dwordx2 s[36:37], s[4:5], 0x68
	s_load_dwordx4 s[20:23], s[4:5], 0x58
	s_load_dword s33, s[38:39], 0x4
	s_load_dwordx4 s[16:19], s[4:5], 0x80
	v_and_b32_e32 v1, 63, v0
	v_and_b32_e32 v43, 3, v0
	v_mov_b32_e32 v5, s27
	v_mov_b32_e32 v6, s26
	v_mov_b32_e32 v4, s27
	v_mov_b32_e32 v3, s27
	v_mov_b32_e32 v2, s27
	s_xor_b64 exec, exec, s[40:41]
	s_cbranch_execz .LBB816_785
; %bb.8:
	s_add_i32 s29, s9, 31
	s_load_dwordx2 s[26:27], s[4:5], 0x20
	s_load_dword s28, s[4:5], 0x38
	s_ashr_i32 s30, s29, 31
	s_lshr_b32 s30, s30, 27
	v_add_u32_e32 v44, s11, v0
	s_add_i32 s29, s29, s30
	v_ashrrev_i32_e32 v2, 31, v44
	s_ashr_i32 s29, s29, 5
	v_lshrrev_b32_e32 v2, 27, v2
	s_add_i32 s30, s29, -1
	v_add_u32_e32 v2, v44, v2
	s_waitcnt lgkmcnt(0)
	s_mul_i32 s28, s8, s28
	s_mov_b32 s29, 0
	v_ashrrev_i32_e32 v2, 5, v2
	v_mov_b32_e32 v3, s30
	v_cmp_gt_i32_e32 vcc, s9, v44
	s_lshl_b64 s[28:29], s[28:29], 2
	v_cndmask_b32_e32 v2, v3, v2, vcc
	s_add_u32 s26, s26, s28
	v_ashrrev_i32_e32 v3, 31, v2
	s_addc_u32 s27, s27, s29
	v_lshlrev_b64 v[2:3], 2, v[2:3]
	v_mov_b32_e32 v4, s27
	v_add_co_u32_e32 v2, vcc, s26, v2
	v_addc_co_u32_e32 v3, vcc, v4, v3, vcc
	v_ashrrev_i32_e32 v4, 31, v7
	v_lshrrev_b32_e32 v4, 27, v4
	v_add_u32_e32 v4, v7, v4
	v_ashrrev_i32_e32 v6, 5, v4
	v_min_i32_e32 v4, s30, v6
	v_ashrrev_i32_e32 v5, 31, v4
	v_lshlrev_b64 v[4:5], 2, v[4:5]
	v_add_u32_e32 v6, 1, v6
	v_mov_b32_e32 v7, s27
	v_add_co_u32_e32 v4, vcc, s26, v4
	v_min_i32_e32 v6, s30, v6
	v_addc_co_u32_e32 v5, vcc, v7, v5, vcc
	v_ashrrev_i32_e32 v7, 31, v6
	v_lshlrev_b64 v[6:7], 2, v[6:7]
	v_mov_b32_e32 v8, s27
	v_add_co_u32_e32 v10, vcc, s26, v6
	v_addc_co_u32_e32 v11, vcc, v8, v7, vcc
	global_load_dword v6, v[2:3], off
	global_load_dword v8, v[4:5], off
	;; [unrolled: 1-line block ×3, first 2 shown]
	s_load_dwordx4 s[28:31], s[4:5], 0x8
	s_andn2_b64 vcc, exec, s[14:15]
	s_cbranch_vccnz .LBB816_11
; %bb.9:
	s_add_u32 s12, s12, s24
	s_addc_u32 s13, s13, s25
	s_load_dword s11, s[12:13], 0x0
	s_branch .LBB816_12
.LBB816_10:
	s_mov_b64 s[16:17], 0
	s_branch .LBB816_2
.LBB816_11:
	s_mov_b32 s11, s8
.LBB816_12:
	s_load_dwordx4 s[24:27], s[4:5], 0x48
	v_cmp_eq_u32_e32 vcc, 3, v43
	v_cmp_ne_u32_e64 s[12:13], 3, v43
	s_mov_b32 s43, 0
	v_mov_b32_e32 v39, 0
	v_mov_b32_e32 v2, 0
	;; [unrolled: 1-line block ×5, first 2 shown]
	s_and_saveexec_b64 s[14:15], s[12:13]
	s_cbranch_execz .LBB816_14
; %bb.13:
	s_load_dwordx2 s[12:13], s[4:5], 0x0
	s_waitcnt lgkmcnt(0)
	s_ashr_i32 s27, s24, 31
	s_mul_hi_u32 s35, s11, s24
	s_mul_i32 s27, s11, s27
	s_add_i32 s45, s35, s27
	s_mul_i32 s44, s11, s24
	s_lshl_b64 s[44:45], s[44:45], 1
	s_add_u32 s11, s12, s44
	s_mul_i32 s42, s10, 0x180
	s_addc_u32 s24, s13, s45
	s_lshl_b64 s[12:13], s[42:43], 1
	v_lshlrev_b32_e32 v2, 2, v1
	s_add_u32 s12, s11, s12
	v_and_b32_e32 v2, 0xf0, v2
	s_addc_u32 s13, s24, s13
	v_lshl_or_b32 v2, v43, 8, v2
	global_load_dwordx4 v[2:5], v2, s[12:13]
.LBB816_14:
	s_or_b64 exec, exec, s[14:15]
	s_waitcnt lgkmcnt(0)
	s_mul_i32 s11, s10, s26
	s_waitcnt vmcnt(1)
	v_mul_hi_i32 v9, v8, s25
	s_add_u32 s14, s11, s28
	v_ashrrev_i32_e32 v9, 31, v9
	s_addc_u32 s15, 0, s29
	v_lshrrev_b32_e32 v38, 29, v9
	s_add_u32 s11, s30, s11
	v_mad_i64_i32 v[8:9], s[12:13], v8, s25, v[38:39]
	s_addc_u32 s24, s31, 0
	v_and_b32_e32 v8, -8, v8
	v_mov_b32_e32 v10, s24
	v_add_co_u32_e64 v8, s[12:13], s11, v8
	v_addc_co_u32_e64 v9, s[12:13], v10, v9, s[12:13]
	v_lshlrev_b32_e32 v16, 5, v1
	v_add_co_u32_e64 v12, s[12:13], v8, v16
	v_addc_co_u32_e64 v13, s[12:13], 0, v9, s[12:13]
	global_load_dwordx4 v[8:11], v[12:13], off
	global_load_dwordx4 v[46:49], v[12:13], off offset:16
	s_waitcnt vmcnt(2)
	v_mul_hi_i32 v15, v7, s25
	v_lshlrev_b32_e32 v14, 4, v0
	v_ashrrev_i32_e32 v18, 31, v15
	v_and_b32_e32 v17, 0x1f0, v14
	v_pk_mov_b32 v[14:15], s[14:15], s[14:15] op_sel:[0,1]
	v_lshrrev_b32_e32 v38, 29, v18
	v_mad_i64_i32 v[14:15], s[12:13], v6, s25, v[14:15]
	v_mad_i64_i32 v[6:7], s[12:13], v7, s25, v[38:39]
	v_add_co_u32_e64 v40, s[12:13], v14, v17
	v_addc_co_u32_e64 v41, s[12:13], 0, v15, s[12:13]
	v_and_b32_e32 v6, -8, v6
	v_mov_b32_e32 v14, s24
	v_add_co_u32_e64 v6, s[12:13], s11, v6
	v_addc_co_u32_e64 v7, s[12:13], v14, v7, s[12:13]
	v_add_co_u32_e64 v6, s[12:13], v6, v16
	v_addc_co_u32_e64 v7, s[12:13], 0, v7, s[12:13]
	global_load_dwordx4 v[50:53], v[12:13], off offset:2064
	global_load_dwordx4 v[54:57], v[12:13], off offset:2048
	;; [unrolled: 1-line block ×3, first 2 shown]
	global_load_dwordx4 v[62:65], v[6:7], off
	global_load_dwordx4 v[34:37], v[40:41], off
	global_load_dwordx4 v[30:33], v[40:41], off offset:512
	global_load_dwordx4 v[26:29], v[40:41], off offset:1024
	;; [unrolled: 1-line block ×5, first 2 shown]
	s_waitcnt vmcnt(11)
	buffer_store_dword v9, off, s[0:3], 0 offset:4
	buffer_store_dword v8, off, s[0:3], 0
	buffer_store_dword v11, off, s[0:3], 0 offset:12
	buffer_store_dword v10, off, s[0:3], 0 offset:8
	global_load_dwordx4 v[18:21], v[40:41], off offset:2048
	global_load_dwordx4 v[14:17], v[40:41], off offset:2560
	s_waitcnt vmcnt(16)
	buffer_store_dword v47, off, s[0:3], 0 offset:20
	buffer_store_dword v46, off, s[0:3], 0 offset:16
	;; [unrolled: 1-line block ×4, first 2 shown]
	global_load_dwordx4 v[10:13], v[40:41], off offset:3072
	global_load_dwordx4 v[6:9], v[40:41], off offset:3584
	s_waitcnt vmcnt(20)
	buffer_store_dword v55, off, s[0:3], 0 offset:68
	buffer_store_dword v54, off, s[0:3], 0 offset:64
	buffer_store_dword v57, off, s[0:3], 0 offset:76
	buffer_store_dword v56, off, s[0:3], 0 offset:72
	buffer_store_dword v51, off, s[0:3], 0 offset:84
	buffer_store_dword v50, off, s[0:3], 0 offset:80
	buffer_store_dword v53, off, s[0:3], 0 offset:92
	buffer_store_dword v52, off, s[0:3], 0 offset:88
	s_waitcnt vmcnt(26)
	buffer_store_dword v63, off, s[0:3], 0 offset:36
	buffer_store_dword v62, off, s[0:3], 0 offset:32
	buffer_store_dword v65, off, s[0:3], 0 offset:44
	buffer_store_dword v64, off, s[0:3], 0 offset:40
	buffer_store_dword v59, off, s[0:3], 0 offset:52
	buffer_store_dword v58, off, s[0:3], 0 offset:48
	buffer_store_dword v61, off, s[0:3], 0 offset:60
	buffer_store_dword v60, off, s[0:3], 0 offset:56
	;; [unrolled: 9-line block ×3, first 2 shown]
	v_cmp_ne_u16_sdwa s[12:13], v34, v39 src0_sel:BYTE_0 src1_sel:DWORD
	s_and_saveexec_b64 s[14:15], s[12:13]
	s_cbranch_execz .LBB816_20
; %bb.15:
	s_movk_i32 s11, 0x80
	v_cmp_ne_u16_sdwa s[12:13], v34, s11 src0_sel:BYTE_0 src1_sel:DWORD
	v_mov_b32_e32 v39, 0xffff8000
	s_and_saveexec_b64 s[24:25], s[12:13]
	s_cbranch_execz .LBB816_19
; %bb.16:
	s_movk_i32 s11, 0x7f
	v_and_b32_e32 v38, 0x7f, v34
	v_cmp_ne_u32_e64 s[12:13], s11, v38
	v_mov_b32_e32 v39, 0x7f80
	s_and_saveexec_b64 s[26:27], s[12:13]
	s_cbranch_execz .LBB816_18
; %bb.17:
	v_and_b32_e32 v39, 7, v34
	v_ffbh_u32_e32 v39, v39
	v_min_u32_e32 v39, 32, v39
	v_subrev_u32_e32 v41, 28, v39
	v_cmp_gt_u32_e64 s[12:13], 8, v38
	v_lshrrev_b32_e32 v40, 3, v38
	v_sub_u32_e32 v39, 29, v39
	v_cndmask_b32_e64 v38, 0, v41, s[12:13]
	v_cndmask_b32_e64 v40, v40, v39, s[12:13]
	v_lshlrev_b64 v[38:39], v38, v[34:35]
	v_lshlrev_b32_e32 v38, 20, v38
	v_lshlrev_b32_e32 v39, 24, v34
	v_bfrev_b32_e32 v41, 60
	v_and_b32_e32 v38, 0x700000, v38
	v_and_b32_e32 v39, 0x80000000, v39
	v_lshl_add_u32 v40, v40, 23, v41
	v_or3_b32 v38, v39, v40, v38
	v_lshrrev_b32_e32 v39, 16, v38
.LBB816_18:
	s_or_b64 exec, exec, s[26:27]
.LBB816_19:
	s_or_b64 exec, exec, s[24:25]
.LBB816_20:
	s_or_b64 exec, exec, s[14:15]
	v_lshrrev_b16_e32 v38, 8, v34
	v_cmp_ne_u16_e64 s[12:13], 0, v38
	v_mov_b32_e32 v46, 0
	v_mov_b32_e32 v45, 0
	s_and_saveexec_b64 s[14:15], s[12:13]
	s_cbranch_execz .LBB816_26
; %bb.21:
	s_movk_i32 s11, 0x80
	v_cmp_ne_u16_e64 s[12:13], s11, v38
	v_mov_b32_e32 v45, 0xffff8000
	s_and_saveexec_b64 s[24:25], s[12:13]
	s_cbranch_execz .LBB816_25
; %bb.22:
	s_movk_i32 s11, 0x7f
	v_and_b32_e32 v40, 0x7f, v38
	v_cmp_ne_u32_e64 s[12:13], s11, v40
	v_mov_b32_e32 v45, 0x7f80
	s_and_saveexec_b64 s[26:27], s[12:13]
	s_cbranch_execz .LBB816_24
; %bb.23:
	v_and_b32_e32 v41, 7, v38
	v_ffbh_u32_e32 v47, v41
	v_min_u32_e32 v47, 32, v47
	v_subrev_u32_e32 v48, 28, v47
	v_lshlrev_b64 v[48:49], v48, v[38:39]
	v_lshrrev_b32_e32 v45, 3, v40
	v_sub_u32_e32 v38, 29, v47
	v_and_b32_e32 v47, 7, v48
	v_cmp_gt_u32_e64 s[12:13], 8, v40
	v_cndmask_b32_e64 v38, v45, v38, s[12:13]
	v_cndmask_b32_e64 v40, v41, v47, s[12:13]
	v_lshlrev_b32_e32 v41, 16, v34
	v_bfrev_b32_e32 v45, 60
	v_lshlrev_b32_e32 v40, 20, v40
	v_and_b32_e32 v41, 0x80000000, v41
	v_lshl_add_u32 v38, v38, 23, v45
	v_or3_b32 v38, v41, v38, v40
	v_lshrrev_b32_e32 v45, 16, v38
.LBB816_24:
	s_or_b64 exec, exec, s[26:27]
.LBB816_25:
	s_or_b64 exec, exec, s[24:25]
.LBB816_26:
	s_or_b64 exec, exec, s[14:15]
	s_movk_i32 s11, 0xff
	v_and_b32_sdwa v40, v34, s11 dst_sel:DWORD dst_unused:UNUSED_PAD src0_sel:WORD_1 src1_sel:DWORD
	v_lshrrev_b32_e32 v38, 16, v34
	v_cmp_ne_u16_e64 s[12:13], 0, v40
	s_and_saveexec_b64 s[14:15], s[12:13]
	s_cbranch_execz .LBB816_32
; %bb.27:
	s_movk_i32 s11, 0x80
	v_cmp_ne_u16_e64 s[12:13], s11, v40
	v_mov_b32_e32 v46, 0xffff8000
	s_and_saveexec_b64 s[24:25], s[12:13]
	s_cbranch_execz .LBB816_31
; %bb.28:
	v_bfe_u32 v40, v34, 16, 7
	s_movk_i32 s11, 0x7f
	v_cmp_ne_u32_e64 s[12:13], s11, v40
	v_mov_b32_e32 v46, 0x7f80
	s_and_saveexec_b64 s[26:27], s[12:13]
	s_cbranch_execz .LBB816_30
; %bb.29:
	v_and_b32_e32 v41, 7, v38
	v_ffbh_u32_e32 v46, v41
	v_min_u32_e32 v49, 32, v46
	v_subrev_u32_e32 v46, 28, v49
	v_lshlrev_b64 v[46:47], v46, v[38:39]
	v_and_b32_e32 v46, 7, v46
	v_cmp_gt_u32_e64 s[12:13], 8, v40
	v_lshrrev_b32_e32 v48, 3, v40
	v_sub_u32_e32 v38, 29, v49
	v_cndmask_b32_e64 v40, v41, v46, s[12:13]
	v_mov_b32_e32 v41, 24
	v_cndmask_b32_e64 v38, v48, v38, s[12:13]
	v_lshlrev_b32_sdwa v41, v41, v34 dst_sel:DWORD dst_unused:UNUSED_PAD src0_sel:DWORD src1_sel:WORD_1
	v_bfrev_b32_e32 v46, 60
	v_lshlrev_b32_e32 v40, 20, v40
	v_and_b32_e32 v41, 0x80000000, v41
	v_lshl_add_u32 v38, v38, 23, v46
	v_or3_b32 v38, v41, v38, v40
	v_lshrrev_b32_e32 v46, 16, v38
.LBB816_30:
	s_or_b64 exec, exec, s[26:27]
.LBB816_31:
	s_or_b64 exec, exec, s[24:25]
.LBB816_32:
	s_or_b64 exec, exec, s[14:15]
	s_mov_b32 s11, 0xffffff
	v_cmp_lt_u32_e64 s[12:13], s11, v34
	v_mov_b32_e32 v41, 0
	v_mov_b32_e32 v47, 0
	s_and_saveexec_b64 s[14:15], s[12:13]
	s_cbranch_execz .LBB816_38
; %bb.33:
	v_lshrrev_b32_e32 v38, 24, v34
	s_movk_i32 s11, 0x80
	v_cmp_ne_u32_e64 s[12:13], s11, v38
	v_mov_b32_e32 v47, 0xffff8000
	s_and_saveexec_b64 s[24:25], s[12:13]
	s_cbranch_execz .LBB816_37
; %bb.34:
	v_bfe_u32 v40, v34, 24, 7
	s_movk_i32 s11, 0x7f
	v_cmp_ne_u32_e64 s[12:13], s11, v40
	v_mov_b32_e32 v47, 0x7f80
	s_and_saveexec_b64 s[26:27], s[12:13]
	s_cbranch_execz .LBB816_36
; %bb.35:
	v_and_b32_e32 v47, 7, v38
	v_ffbh_u32_e32 v48, v47
	v_min_u32_e32 v51, 32, v48
	v_subrev_u32_e32 v48, 28, v51
	v_lshlrev_b64 v[48:49], v48, v[38:39]
	v_lshrrev_b32_e32 v50, 3, v40
	v_sub_u32_e32 v49, 29, v51
	v_and_b32_e32 v48, 7, v48
	v_cmp_gt_u32_e64 s[12:13], 8, v40
	v_cndmask_b32_e64 v40, v50, v49, s[12:13]
	v_cndmask_b32_e64 v47, v47, v48, s[12:13]
	v_lshlrev_b32_e32 v38, 24, v38
	v_bfrev_b32_e32 v48, 60
	v_lshlrev_b32_e32 v47, 20, v47
	v_and_b32_e32 v38, 0x80000000, v38
	v_lshl_add_u32 v40, v40, 23, v48
	v_or3_b32 v38, v38, v40, v47
	v_lshrrev_b32_e32 v47, 16, v38
.LBB816_36:
	s_or_b64 exec, exec, s[26:27]
.LBB816_37:
	s_or_b64 exec, exec, s[24:25]
.LBB816_38:
	s_or_b64 exec, exec, s[14:15]
	v_mov_b32_e32 v40, v35
	v_cmp_ne_u16_sdwa s[12:13], v35, v41 src0_sel:BYTE_0 src1_sel:DWORD
	s_and_saveexec_b64 s[14:15], s[12:13]
	s_cbranch_execz .LBB816_44
; %bb.39:
	s_movk_i32 s11, 0x80
	v_cmp_ne_u16_sdwa s[12:13], v35, s11 src0_sel:BYTE_0 src1_sel:DWORD
	v_mov_b32_e32 v38, 0xffff8000
	s_and_saveexec_b64 s[24:25], s[12:13]
	s_cbranch_execz .LBB816_43
; %bb.40:
	s_movk_i32 s11, 0x7f
	v_and_b32_e32 v48, 0x7f, v35
	v_cmp_ne_u32_e64 s[12:13], s11, v48
	v_mov_b32_e32 v38, 0x7f80
	s_and_saveexec_b64 s[26:27], s[12:13]
	s_cbranch_execz .LBB816_42
; %bb.41:
	v_and_b32_e32 v38, 7, v35
	v_ffbh_u32_e32 v38, v38
	v_min_u32_e32 v38, 32, v38
	v_subrev_u32_e32 v50, 28, v38
	v_cmp_gt_u32_e64 s[12:13], 8, v48
	v_lshrrev_b32_e32 v49, 3, v48
	v_sub_u32_e32 v38, 29, v38
	v_cndmask_b32_e64 v48, 0, v50, s[12:13]
	v_cndmask_b32_e64 v38, v49, v38, s[12:13]
	v_lshlrev_b64 v[48:49], v48, v[40:41]
	v_lshlrev_b32_e32 v41, 20, v48
	v_lshlrev_b32_e32 v48, 24, v40
	v_bfrev_b32_e32 v49, 60
	v_and_b32_e32 v41, 0x700000, v41
	v_and_b32_e32 v48, 0x80000000, v48
	v_lshl_add_u32 v38, v38, 23, v49
	v_or3_b32 v38, v48, v38, v41
	v_lshrrev_b32_e32 v38, 16, v38
.LBB816_42:
	s_or_b64 exec, exec, s[26:27]
.LBB816_43:
	s_or_b64 exec, exec, s[24:25]
	v_mov_b32_e32 v41, v38
.LBB816_44:
	s_or_b64 exec, exec, s[14:15]
	v_lshrrev_b16_e32 v38, 8, v40
	v_cmp_ne_u16_e64 s[12:13], 0, v38
	v_mov_b32_e32 v49, 0
	v_mov_b32_e32 v48, 0
	s_and_saveexec_b64 s[14:15], s[12:13]
	s_cbranch_execz .LBB816_50
; %bb.45:
	s_movk_i32 s11, 0x80
	v_cmp_ne_u16_e64 s[12:13], s11, v38
	v_mov_b32_e32 v48, 0xffff8000
	s_and_saveexec_b64 s[24:25], s[12:13]
	s_cbranch_execz .LBB816_49
; %bb.46:
	s_movk_i32 s11, 0x7f
	v_and_b32_e32 v50, 0x7f, v38
	v_cmp_ne_u32_e64 s[12:13], s11, v50
	v_mov_b32_e32 v48, 0x7f80
	s_and_saveexec_b64 s[26:27], s[12:13]
	s_cbranch_execz .LBB816_48
; %bb.47:
	v_and_b32_e32 v48, 7, v38
	v_ffbh_u32_e32 v52, v48
	v_min_u32_e32 v54, 32, v52
	v_subrev_u32_e32 v52, 28, v54
	v_lshlrev_b64 v[52:53], v52, v[38:39]
	v_lshrrev_b32_e32 v51, 3, v50
	v_sub_u32_e32 v38, 29, v54
	v_and_b32_e32 v52, 7, v52
	v_cmp_gt_u32_e64 s[12:13], 8, v50
	v_cndmask_b32_e64 v38, v51, v38, s[12:13]
	v_cndmask_b32_e64 v48, v48, v52, s[12:13]
	v_lshlrev_b32_e32 v40, 16, v40
	v_bfrev_b32_e32 v50, 60
	v_lshlrev_b32_e32 v48, 20, v48
	v_and_b32_e32 v40, 0x80000000, v40
	v_lshl_add_u32 v38, v38, 23, v50
	v_or3_b32 v38, v40, v38, v48
	v_lshrrev_b32_e32 v48, 16, v38
.LBB816_48:
	s_or_b64 exec, exec, s[26:27]
.LBB816_49:
	s_or_b64 exec, exec, s[24:25]
.LBB816_50:
	s_or_b64 exec, exec, s[14:15]
	s_movk_i32 s11, 0xff
	v_and_b32_sdwa v40, v35, s11 dst_sel:DWORD dst_unused:UNUSED_PAD src0_sel:WORD_1 src1_sel:DWORD
	v_lshrrev_b32_e32 v38, 16, v35
	v_cmp_ne_u16_e64 s[12:13], 0, v40
	s_and_saveexec_b64 s[14:15], s[12:13]
	s_cbranch_execz .LBB816_56
; %bb.51:
	s_movk_i32 s11, 0x80
	v_cmp_ne_u16_e64 s[12:13], s11, v40
	v_mov_b32_e32 v49, 0xffff8000
	s_and_saveexec_b64 s[24:25], s[12:13]
	s_cbranch_execz .LBB816_55
; %bb.52:
	v_bfe_u32 v40, v35, 16, 7
	s_movk_i32 s11, 0x7f
	v_cmp_ne_u32_e64 s[12:13], s11, v40
	v_mov_b32_e32 v49, 0x7f80
	s_and_saveexec_b64 s[26:27], s[12:13]
	s_cbranch_execz .LBB816_54
; %bb.53:
	v_and_b32_e32 v49, 7, v38
	v_ffbh_u32_e32 v50, v49
	v_min_u32_e32 v53, 32, v50
	v_subrev_u32_e32 v50, 28, v53
	v_lshlrev_b64 v[50:51], v50, v[38:39]
	v_and_b32_e32 v50, 7, v50
	v_cmp_gt_u32_e64 s[12:13], 8, v40
	v_lshrrev_b32_e32 v52, 3, v40
	v_sub_u32_e32 v38, 29, v53
	v_cndmask_b32_e64 v40, v49, v50, s[12:13]
	v_mov_b32_e32 v49, 24
	v_cndmask_b32_e64 v38, v52, v38, s[12:13]
	v_lshlrev_b32_sdwa v49, v49, v35 dst_sel:DWORD dst_unused:UNUSED_PAD src0_sel:DWORD src1_sel:WORD_1
	v_bfrev_b32_e32 v50, 60
	v_lshlrev_b32_e32 v40, 20, v40
	v_and_b32_e32 v49, 0x80000000, v49
	v_lshl_add_u32 v38, v38, 23, v50
	v_or3_b32 v38, v49, v38, v40
	v_lshrrev_b32_e32 v49, 16, v38
.LBB816_54:
	s_or_b64 exec, exec, s[26:27]
.LBB816_55:
	s_or_b64 exec, exec, s[24:25]
.LBB816_56:
	s_or_b64 exec, exec, s[14:15]
	s_mov_b32 s12, -1
	s_mov_b32 s13, 0xffffff
	v_cmp_lt_u64_e64 s[12:13], s[12:13], v[34:35]
	v_mov_b32_e32 v40, 0
	v_mov_b32_e32 v38, 0
	s_and_saveexec_b64 s[14:15], s[12:13]
	s_cbranch_execz .LBB816_62
; %bb.57:
	v_lshrrev_b32_e32 v34, 24, v35
	s_movk_i32 s11, 0x80
	v_cmp_ne_u32_e64 s[12:13], s11, v34
	v_mov_b32_e32 v38, 0xffff8000
	s_and_saveexec_b64 s[24:25], s[12:13]
	s_cbranch_execz .LBB816_61
; %bb.58:
	v_bfe_u32 v35, v35, 24, 7
	s_movk_i32 s11, 0x7f
	v_cmp_ne_u32_e64 s[12:13], s11, v35
	v_mov_b32_e32 v38, 0x7f80
	s_and_saveexec_b64 s[26:27], s[12:13]
	s_cbranch_execz .LBB816_60
; %bb.59:
	v_and_b32_e32 v38, 7, v34
	v_ffbh_u32_e32 v50, v38
	v_min_u32_e32 v53, 32, v50
	v_subrev_u32_e32 v50, 28, v53
	v_lshlrev_b64 v[50:51], v50, v[34:35]
	v_lshrrev_b32_e32 v52, 3, v35
	v_sub_u32_e32 v51, 29, v53
	v_and_b32_e32 v50, 7, v50
	v_cmp_gt_u32_e64 s[12:13], 8, v35
	v_cndmask_b32_e64 v35, v52, v51, s[12:13]
	v_cndmask_b32_e64 v38, v38, v50, s[12:13]
	v_lshlrev_b32_e32 v34, 24, v34
	v_bfrev_b32_e32 v50, 60
	v_lshlrev_b32_e32 v38, 20, v38
	v_and_b32_e32 v34, 0x80000000, v34
	v_lshl_add_u32 v35, v35, 23, v50
	v_or3_b32 v34, v34, v35, v38
	v_lshrrev_b32_e32 v38, 16, v34
.LBB816_60:
	s_or_b64 exec, exec, s[26:27]
.LBB816_61:
	s_or_b64 exec, exec, s[24:25]
.LBB816_62:
	s_or_b64 exec, exec, s[14:15]
	s_mov_b32 s11, 0x5040100
	v_perm_b32 v35, v47, v46, s11
	v_perm_b32 v34, v45, v39, s11
	v_perm_b32 v39, v38, v49, s11
	v_perm_b32 v38, v48, v41, s11
	v_mfma_f32_4x4x4bf16_1k a[0:3], v[2:3], v[34:35], 0 cbsz:4
	v_cmp_ne_u16_sdwa s[12:13], v36, v40 src0_sel:BYTE_0 src1_sel:DWORD
	v_mfma_f32_4x4x4bf16_1k a[0:3], v[4:5], v[38:39], a[0:3] cbsz:4
	s_and_saveexec_b64 s[14:15], s[12:13]
	s_cbranch_execz .LBB816_68
; %bb.63:
	s_movk_i32 s11, 0x80
	v_cmp_ne_u16_sdwa s[12:13], v36, s11 src0_sel:BYTE_0 src1_sel:DWORD
	v_mov_b32_e32 v40, 0xffff8000
	s_and_saveexec_b64 s[24:25], s[12:13]
	s_cbranch_execz .LBB816_67
; %bb.64:
	s_movk_i32 s11, 0x7f
	v_and_b32_e32 v34, 0x7f, v36
	v_cmp_ne_u32_e64 s[12:13], s11, v34
	v_mov_b32_e32 v40, 0x7f80
	s_and_saveexec_b64 s[26:27], s[12:13]
	s_cbranch_execz .LBB816_66
; %bb.65:
	v_and_b32_e32 v35, 7, v36
	v_ffbh_u32_e32 v35, v35
	v_min_u32_e32 v35, 32, v35
	v_subrev_u32_e32 v39, 28, v35
	v_cmp_gt_u32_e64 s[12:13], 8, v34
	v_lshrrev_b32_e32 v38, 3, v34
	v_sub_u32_e32 v35, 29, v35
	v_cndmask_b32_e64 v34, 0, v39, s[12:13]
	v_cndmask_b32_e64 v38, v38, v35, s[12:13]
	v_lshlrev_b64 v[34:35], v34, v[36:37]
	v_lshlrev_b32_e32 v34, 20, v34
	v_lshlrev_b32_e32 v35, 24, v36
	v_bfrev_b32_e32 v39, 60
	v_and_b32_e32 v34, 0x700000, v34
	v_and_b32_e32 v35, 0x80000000, v35
	v_lshl_add_u32 v38, v38, 23, v39
	v_or3_b32 v34, v35, v38, v34
	v_lshrrev_b32_e32 v40, 16, v34
.LBB816_66:
	s_or_b64 exec, exec, s[26:27]
.LBB816_67:
	s_or_b64 exec, exec, s[24:25]
.LBB816_68:
	s_or_b64 exec, exec, s[14:15]
	v_lshrrev_b16_e32 v34, 8, v36
	v_cmp_ne_u16_e64 s[12:13], 0, v34
	v_mov_b32_e32 v41, 0
	v_mov_b32_e32 v39, 0
	s_and_saveexec_b64 s[14:15], s[12:13]
	s_cbranch_execz .LBB816_74
; %bb.69:
	s_movk_i32 s11, 0x80
	v_cmp_ne_u16_e64 s[12:13], s11, v34
	v_mov_b32_e32 v39, 0xffff8000
	s_and_saveexec_b64 s[24:25], s[12:13]
	s_cbranch_execz .LBB816_73
; %bb.70:
	s_movk_i32 s11, 0x7f
	v_and_b32_e32 v35, 0x7f, v34
	v_cmp_ne_u32_e64 s[12:13], s11, v35
	v_mov_b32_e32 v39, 0x7f80
	s_and_saveexec_b64 s[26:27], s[12:13]
	s_cbranch_execz .LBB816_72
; %bb.71:
	v_and_b32_e32 v45, 7, v34
	v_ffbh_u32_e32 v38, v45
	v_min_u32_e32 v47, 32, v38
	v_subrev_u32_e32 v38, 28, v47
	v_lshlrev_b64 v[38:39], v38, v[34:35]
	v_lshrrev_b32_e32 v46, 3, v35
	v_sub_u32_e32 v34, 29, v47
	v_and_b32_e32 v38, 7, v38
	v_cmp_gt_u32_e64 s[12:13], 8, v35
	v_cndmask_b32_e64 v34, v46, v34, s[12:13]
	v_cndmask_b32_e64 v35, v45, v38, s[12:13]
	v_lshlrev_b32_e32 v38, 16, v36
	v_bfrev_b32_e32 v39, 60
	v_lshlrev_b32_e32 v35, 20, v35
	v_and_b32_e32 v38, 0x80000000, v38
	v_lshl_add_u32 v34, v34, 23, v39
	v_or3_b32 v34, v38, v34, v35
	v_lshrrev_b32_e32 v39, 16, v34
.LBB816_72:
	s_or_b64 exec, exec, s[26:27]
.LBB816_73:
	s_or_b64 exec, exec, s[24:25]
.LBB816_74:
	s_or_b64 exec, exec, s[14:15]
	s_movk_i32 s11, 0xff
	v_and_b32_sdwa v35, v36, s11 dst_sel:DWORD dst_unused:UNUSED_PAD src0_sel:WORD_1 src1_sel:DWORD
	v_lshrrev_b32_e32 v34, 16, v36
	v_cmp_ne_u16_e64 s[12:13], 0, v35
	s_and_saveexec_b64 s[14:15], s[12:13]
	s_cbranch_execz .LBB816_80
; %bb.75:
	s_movk_i32 s11, 0x80
	v_cmp_ne_u16_e64 s[12:13], s11, v35
	v_mov_b32_e32 v41, 0xffff8000
	s_and_saveexec_b64 s[24:25], s[12:13]
	s_cbranch_execz .LBB816_79
; %bb.76:
	v_bfe_u32 v35, v36, 16, 7
	s_movk_i32 s11, 0x7f
	v_cmp_ne_u32_e64 s[12:13], s11, v35
	v_mov_b32_e32 v41, 0x7f80
	s_and_saveexec_b64 s[26:27], s[12:13]
	s_cbranch_execz .LBB816_78
; %bb.77:
	v_and_b32_e32 v38, 7, v34
	v_ffbh_u32_e32 v45, v38
	v_min_u32_e32 v45, 32, v45
	v_subrev_u32_e32 v46, 28, v45
	v_lshlrev_b64 v[46:47], v46, v[34:35]
	v_sub_u32_e32 v34, 29, v45
	v_and_b32_e32 v45, 7, v46
	v_cmp_gt_u32_e64 s[12:13], 8, v35
	v_lshrrev_b32_e32 v41, 3, v35
	v_cndmask_b32_e64 v35, v38, v45, s[12:13]
	v_mov_b32_e32 v38, 24
	v_cndmask_b32_e64 v34, v41, v34, s[12:13]
	v_lshlrev_b32_sdwa v38, v38, v36 dst_sel:DWORD dst_unused:UNUSED_PAD src0_sel:DWORD src1_sel:WORD_1
	v_bfrev_b32_e32 v41, 60
	v_lshlrev_b32_e32 v35, 20, v35
	v_and_b32_e32 v38, 0x80000000, v38
	v_lshl_add_u32 v34, v34, 23, v41
	v_or3_b32 v34, v38, v34, v35
	v_lshrrev_b32_e32 v41, 16, v34
.LBB816_78:
	s_or_b64 exec, exec, s[26:27]
.LBB816_79:
	s_or_b64 exec, exec, s[24:25]
.LBB816_80:
	s_or_b64 exec, exec, s[14:15]
	s_mov_b32 s11, 0xffffff
	v_cmp_lt_u32_e64 s[12:13], s11, v36
	v_mov_b32_e32 v35, 0
	v_mov_b32_e32 v45, 0
	s_and_saveexec_b64 s[14:15], s[12:13]
	s_cbranch_execz .LBB816_86
; %bb.81:
	v_lshrrev_b32_e32 v34, 24, v36
	s_movk_i32 s11, 0x80
	v_cmp_ne_u32_e64 s[12:13], s11, v34
	v_mov_b32_e32 v45, 0xffff8000
	s_and_saveexec_b64 s[24:25], s[12:13]
	s_cbranch_execz .LBB816_85
; %bb.82:
	v_bfe_u32 v38, v36, 24, 7
	s_movk_i32 s11, 0x7f
	v_cmp_ne_u32_e64 s[12:13], s11, v38
	v_mov_b32_e32 v45, 0x7f80
	s_and_saveexec_b64 s[26:27], s[12:13]
	s_cbranch_execz .LBB816_84
; %bb.83:
	v_and_b32_e32 v45, 7, v34
	v_ffbh_u32_e32 v46, v45
	v_min_u32_e32 v49, 32, v46
	v_subrev_u32_e32 v46, 28, v49
	v_lshlrev_b64 v[46:47], v46, v[34:35]
	v_lshrrev_b32_e32 v48, 3, v38
	v_sub_u32_e32 v47, 29, v49
	v_and_b32_e32 v46, 7, v46
	v_cmp_gt_u32_e64 s[12:13], 8, v38
	v_cndmask_b32_e64 v38, v48, v47, s[12:13]
	v_cndmask_b32_e64 v45, v45, v46, s[12:13]
	v_lshlrev_b32_e32 v34, 24, v34
	v_bfrev_b32_e32 v46, 60
	v_lshlrev_b32_e32 v45, 20, v45
	v_and_b32_e32 v34, 0x80000000, v34
	v_lshl_add_u32 v38, v38, 23, v46
	v_or3_b32 v34, v34, v38, v45
	v_lshrrev_b32_e32 v45, 16, v34
.LBB816_84:
	s_or_b64 exec, exec, s[26:27]
.LBB816_85:
	s_or_b64 exec, exec, s[24:25]
.LBB816_86:
	s_or_b64 exec, exec, s[14:15]
	v_mov_b32_e32 v34, v37
	v_cmp_ne_u16_sdwa s[12:13], v37, v35 src0_sel:BYTE_0 src1_sel:DWORD
	s_and_saveexec_b64 s[14:15], s[12:13]
	s_cbranch_execz .LBB816_92
; %bb.87:
	s_movk_i32 s11, 0x80
	v_cmp_ne_u16_sdwa s[12:13], v37, s11 src0_sel:BYTE_0 src1_sel:DWORD
	v_mov_b32_e32 v38, 0xffff8000
	s_and_saveexec_b64 s[24:25], s[12:13]
	s_cbranch_execz .LBB816_91
; %bb.88:
	s_movk_i32 s11, 0x7f
	v_and_b32_e32 v46, 0x7f, v37
	v_cmp_ne_u32_e64 s[12:13], s11, v46
	v_mov_b32_e32 v38, 0x7f80
	s_and_saveexec_b64 s[26:27], s[12:13]
	s_cbranch_execz .LBB816_90
; %bb.89:
	v_and_b32_e32 v38, 7, v37
	v_ffbh_u32_e32 v38, v38
	v_min_u32_e32 v38, 32, v38
	v_subrev_u32_e32 v48, 28, v38
	v_cmp_gt_u32_e64 s[12:13], 8, v46
	v_lshrrev_b32_e32 v47, 3, v46
	v_sub_u32_e32 v38, 29, v38
	v_cndmask_b32_e64 v46, 0, v48, s[12:13]
	v_cndmask_b32_e64 v38, v47, v38, s[12:13]
	v_lshlrev_b64 v[46:47], v46, v[34:35]
	v_lshlrev_b32_e32 v35, 20, v46
	v_lshlrev_b32_e32 v46, 24, v34
	v_bfrev_b32_e32 v47, 60
	v_and_b32_e32 v35, 0x700000, v35
	v_and_b32_e32 v46, 0x80000000, v46
	v_lshl_add_u32 v38, v38, 23, v47
	v_or3_b32 v35, v46, v38, v35
	v_lshrrev_b32_e32 v38, 16, v35
.LBB816_90:
	s_or_b64 exec, exec, s[26:27]
.LBB816_91:
	s_or_b64 exec, exec, s[24:25]
	v_mov_b32_e32 v35, v38
.LBB816_92:
	s_or_b64 exec, exec, s[14:15]
	v_lshrrev_b16_e32 v38, 8, v34
	v_cmp_ne_u16_e64 s[12:13], 0, v38
	v_mov_b32_e32 v47, 0
	v_mov_b32_e32 v46, 0
	s_and_saveexec_b64 s[14:15], s[12:13]
	s_cbranch_execz .LBB816_98
; %bb.93:
	s_movk_i32 s11, 0x80
	v_cmp_ne_u16_e64 s[12:13], s11, v38
	v_mov_b32_e32 v46, 0xffff8000
	s_and_saveexec_b64 s[24:25], s[12:13]
	s_cbranch_execz .LBB816_97
; %bb.94:
	s_movk_i32 s11, 0x7f
	v_and_b32_e32 v48, 0x7f, v38
	v_cmp_ne_u32_e64 s[12:13], s11, v48
	v_mov_b32_e32 v46, 0x7f80
	s_and_saveexec_b64 s[26:27], s[12:13]
	s_cbranch_execz .LBB816_96
; %bb.95:
	v_and_b32_e32 v46, 7, v38
	v_ffbh_u32_e32 v50, v46
	v_min_u32_e32 v52, 32, v50
	v_subrev_u32_e32 v50, 28, v52
	v_lshlrev_b64 v[50:51], v50, v[38:39]
	v_lshrrev_b32_e32 v49, 3, v48
	v_sub_u32_e32 v38, 29, v52
	v_and_b32_e32 v50, 7, v50
	v_cmp_gt_u32_e64 s[12:13], 8, v48
	v_cndmask_b32_e64 v38, v49, v38, s[12:13]
	v_cndmask_b32_e64 v46, v46, v50, s[12:13]
	v_lshlrev_b32_e32 v34, 16, v34
	v_bfrev_b32_e32 v48, 60
	v_lshlrev_b32_e32 v46, 20, v46
	v_and_b32_e32 v34, 0x80000000, v34
	v_lshl_add_u32 v38, v38, 23, v48
	v_or3_b32 v34, v34, v38, v46
	v_lshrrev_b32_e32 v46, 16, v34
.LBB816_96:
	s_or_b64 exec, exec, s[26:27]
.LBB816_97:
	s_or_b64 exec, exec, s[24:25]
.LBB816_98:
	s_or_b64 exec, exec, s[14:15]
	s_movk_i32 s11, 0xff
	v_and_b32_sdwa v38, v37, s11 dst_sel:DWORD dst_unused:UNUSED_PAD src0_sel:WORD_1 src1_sel:DWORD
	v_lshrrev_b32_e32 v34, 16, v37
	v_cmp_ne_u16_e64 s[12:13], 0, v38
	s_and_saveexec_b64 s[14:15], s[12:13]
	s_cbranch_execz .LBB816_104
; %bb.99:
	s_movk_i32 s11, 0x80
	v_cmp_ne_u16_e64 s[12:13], s11, v38
	v_mov_b32_e32 v47, 0xffff8000
	s_and_saveexec_b64 s[24:25], s[12:13]
	s_cbranch_execz .LBB816_103
; %bb.100:
	v_bfe_u32 v38, v37, 16, 7
	s_movk_i32 s11, 0x7f
	v_cmp_ne_u32_e64 s[12:13], s11, v38
	v_mov_b32_e32 v47, 0x7f80
	s_and_saveexec_b64 s[26:27], s[12:13]
	s_cbranch_execz .LBB816_102
; %bb.101:
	v_and_b32_e32 v47, 7, v34
	v_ffbh_u32_e32 v48, v47
	v_min_u32_e32 v51, 32, v48
	v_subrev_u32_e32 v48, 28, v51
	v_lshlrev_b64 v[48:49], v48, v[34:35]
	v_and_b32_e32 v48, 7, v48
	v_cmp_gt_u32_e64 s[12:13], 8, v38
	v_lshrrev_b32_e32 v50, 3, v38
	v_sub_u32_e32 v34, 29, v51
	v_cndmask_b32_e64 v38, v47, v48, s[12:13]
	v_mov_b32_e32 v47, 24
	v_cndmask_b32_e64 v34, v50, v34, s[12:13]
	v_lshlrev_b32_sdwa v47, v47, v37 dst_sel:DWORD dst_unused:UNUSED_PAD src0_sel:DWORD src1_sel:WORD_1
	v_bfrev_b32_e32 v48, 60
	v_lshlrev_b32_e32 v38, 20, v38
	v_and_b32_e32 v47, 0x80000000, v47
	v_lshl_add_u32 v34, v34, 23, v48
	v_or3_b32 v34, v47, v34, v38
	v_lshrrev_b32_e32 v47, 16, v34
.LBB816_102:
	s_or_b64 exec, exec, s[26:27]
.LBB816_103:
	s_or_b64 exec, exec, s[24:25]
.LBB816_104:
	s_or_b64 exec, exec, s[14:15]
	s_mov_b32 s12, -1
	s_mov_b32 s13, 0xffffff
	v_cmp_lt_u64_e64 s[12:13], s[12:13], v[36:37]
	v_mov_b32_e32 v38, 0
	v_mov_b32_e32 v36, 0
	s_and_saveexec_b64 s[14:15], s[12:13]
	s_cbranch_execz .LBB816_110
; %bb.105:
	v_lshrrev_b32_e32 v34, 24, v37
	s_movk_i32 s11, 0x80
	v_cmp_ne_u32_e64 s[12:13], s11, v34
	v_mov_b32_e32 v36, 0xffff8000
	s_and_saveexec_b64 s[24:25], s[12:13]
	s_cbranch_execz .LBB816_109
; %bb.106:
	v_bfe_u32 v37, v37, 24, 7
	s_movk_i32 s11, 0x7f
	v_cmp_ne_u32_e64 s[12:13], s11, v37
	v_mov_b32_e32 v36, 0x7f80
	s_and_saveexec_b64 s[26:27], s[12:13]
	s_cbranch_execz .LBB816_108
; %bb.107:
	v_and_b32_e32 v36, 7, v34
	v_ffbh_u32_e32 v48, v36
	v_min_u32_e32 v51, 32, v48
	v_subrev_u32_e32 v48, 28, v51
	v_lshlrev_b64 v[48:49], v48, v[34:35]
	v_lshrrev_b32_e32 v50, 3, v37
	v_sub_u32_e32 v49, 29, v51
	v_and_b32_e32 v48, 7, v48
	v_cmp_gt_u32_e64 s[12:13], 8, v37
	v_cndmask_b32_e64 v37, v50, v49, s[12:13]
	v_cndmask_b32_e64 v36, v36, v48, s[12:13]
	v_lshlrev_b32_e32 v34, 24, v34
	v_bfrev_b32_e32 v48, 60
	v_lshlrev_b32_e32 v36, 20, v36
	v_and_b32_e32 v34, 0x80000000, v34
	v_lshl_add_u32 v37, v37, 23, v48
	v_or3_b32 v34, v34, v37, v36
	v_lshrrev_b32_e32 v36, 16, v34
.LBB816_108:
	s_or_b64 exec, exec, s[26:27]
.LBB816_109:
	s_or_b64 exec, exec, s[24:25]
.LBB816_110:
	s_or_b64 exec, exec, s[14:15]
	s_mov_b32 s11, 0x5040100
	v_perm_b32 v41, v45, v41, s11
	v_perm_b32 v40, v39, v40, s11
	;; [unrolled: 1-line block ×4, first 2 shown]
	v_mfma_f32_4x4x4bf16_1k a[0:3], v[2:3], v[40:41], a[0:3] cbsz:4 abid:1
	v_cmp_ne_u16_sdwa s[12:13], v30, v38 src0_sel:BYTE_0 src1_sel:DWORD
	v_mfma_f32_4x4x4bf16_1k a[0:3], v[4:5], v[36:37], a[0:3] cbsz:4 abid:1
	s_and_saveexec_b64 s[14:15], s[12:13]
	s_cbranch_execz .LBB816_116
; %bb.111:
	s_movk_i32 s11, 0x80
	v_cmp_ne_u16_sdwa s[12:13], v30, s11 src0_sel:BYTE_0 src1_sel:DWORD
	v_mov_b32_e32 v38, 0xffff8000
	s_and_saveexec_b64 s[24:25], s[12:13]
	s_cbranch_execz .LBB816_115
; %bb.112:
	s_movk_i32 s11, 0x7f
	v_and_b32_e32 v34, 0x7f, v30
	v_cmp_ne_u32_e64 s[12:13], s11, v34
	v_mov_b32_e32 v38, 0x7f80
	s_and_saveexec_b64 s[26:27], s[12:13]
	s_cbranch_execz .LBB816_114
; %bb.113:
	v_and_b32_e32 v35, 7, v30
	v_ffbh_u32_e32 v35, v35
	v_min_u32_e32 v35, 32, v35
	v_subrev_u32_e32 v37, 28, v35
	v_cmp_gt_u32_e64 s[12:13], 8, v34
	v_lshrrev_b32_e32 v36, 3, v34
	v_sub_u32_e32 v35, 29, v35
	v_cndmask_b32_e64 v34, 0, v37, s[12:13]
	v_cndmask_b32_e64 v36, v36, v35, s[12:13]
	v_lshlrev_b64 v[34:35], v34, v[30:31]
	v_lshlrev_b32_e32 v34, 20, v34
	v_lshlrev_b32_e32 v35, 24, v30
	v_bfrev_b32_e32 v37, 60
	v_and_b32_e32 v34, 0x700000, v34
	v_and_b32_e32 v35, 0x80000000, v35
	v_lshl_add_u32 v36, v36, 23, v37
	v_or3_b32 v34, v35, v36, v34
	v_lshrrev_b32_e32 v38, 16, v34
.LBB816_114:
	s_or_b64 exec, exec, s[26:27]
.LBB816_115:
	s_or_b64 exec, exec, s[24:25]
.LBB816_116:
	s_or_b64 exec, exec, s[14:15]
	v_lshrrev_b16_e32 v34, 8, v30
	v_cmp_ne_u16_e64 s[12:13], 0, v34
	v_mov_b32_e32 v39, 0
	v_mov_b32_e32 v37, 0
	s_and_saveexec_b64 s[14:15], s[12:13]
	s_cbranch_execz .LBB816_122
; %bb.117:
	s_movk_i32 s11, 0x80
	v_cmp_ne_u16_e64 s[12:13], s11, v34
	v_mov_b32_e32 v37, 0xffff8000
	s_and_saveexec_b64 s[24:25], s[12:13]
	s_cbranch_execz .LBB816_121
; %bb.118:
	s_movk_i32 s11, 0x7f
	v_and_b32_e32 v35, 0x7f, v34
	v_cmp_ne_u32_e64 s[12:13], s11, v35
	v_mov_b32_e32 v37, 0x7f80
	s_and_saveexec_b64 s[26:27], s[12:13]
	s_cbranch_execz .LBB816_120
; %bb.119:
	v_and_b32_e32 v40, 7, v34
	v_ffbh_u32_e32 v36, v40
	v_min_u32_e32 v45, 32, v36
	v_subrev_u32_e32 v36, 28, v45
	v_lshlrev_b64 v[36:37], v36, v[34:35]
	v_lshrrev_b32_e32 v41, 3, v35
	v_sub_u32_e32 v34, 29, v45
	v_and_b32_e32 v36, 7, v36
	v_cmp_gt_u32_e64 s[12:13], 8, v35
	v_cndmask_b32_e64 v34, v41, v34, s[12:13]
	v_cndmask_b32_e64 v35, v40, v36, s[12:13]
	v_lshlrev_b32_e32 v36, 16, v30
	v_bfrev_b32_e32 v37, 60
	v_lshlrev_b32_e32 v35, 20, v35
	v_and_b32_e32 v36, 0x80000000, v36
	v_lshl_add_u32 v34, v34, 23, v37
	v_or3_b32 v34, v36, v34, v35
	v_lshrrev_b32_e32 v37, 16, v34
.LBB816_120:
	s_or_b64 exec, exec, s[26:27]
.LBB816_121:
	s_or_b64 exec, exec, s[24:25]
.LBB816_122:
	s_or_b64 exec, exec, s[14:15]
	s_movk_i32 s11, 0xff
	v_and_b32_sdwa v35, v30, s11 dst_sel:DWORD dst_unused:UNUSED_PAD src0_sel:WORD_1 src1_sel:DWORD
	v_lshrrev_b32_e32 v34, 16, v30
	v_cmp_ne_u16_e64 s[12:13], 0, v35
	s_and_saveexec_b64 s[14:15], s[12:13]
	s_cbranch_execz .LBB816_128
; %bb.123:
	s_movk_i32 s11, 0x80
	v_cmp_ne_u16_e64 s[12:13], s11, v35
	v_mov_b32_e32 v39, 0xffff8000
	s_and_saveexec_b64 s[24:25], s[12:13]
	s_cbranch_execz .LBB816_127
; %bb.124:
	v_bfe_u32 v35, v30, 16, 7
	s_movk_i32 s11, 0x7f
	v_cmp_ne_u32_e64 s[12:13], s11, v35
	v_mov_b32_e32 v39, 0x7f80
	s_and_saveexec_b64 s[26:27], s[12:13]
	s_cbranch_execz .LBB816_126
; %bb.125:
	v_and_b32_e32 v36, 7, v34
	v_ffbh_u32_e32 v40, v36
	v_min_u32_e32 v45, 32, v40
	v_subrev_u32_e32 v40, 28, v45
	v_lshlrev_b64 v[40:41], v40, v[34:35]
	v_and_b32_e32 v40, 7, v40
	v_cmp_gt_u32_e64 s[12:13], 8, v35
	v_lshrrev_b32_e32 v39, 3, v35
	v_sub_u32_e32 v34, 29, v45
	v_cndmask_b32_e64 v35, v36, v40, s[12:13]
	v_mov_b32_e32 v36, 24
	v_cndmask_b32_e64 v34, v39, v34, s[12:13]
	v_lshlrev_b32_sdwa v36, v36, v30 dst_sel:DWORD dst_unused:UNUSED_PAD src0_sel:DWORD src1_sel:WORD_1
	v_bfrev_b32_e32 v39, 60
	v_lshlrev_b32_e32 v35, 20, v35
	v_and_b32_e32 v36, 0x80000000, v36
	v_lshl_add_u32 v34, v34, 23, v39
	v_or3_b32 v34, v36, v34, v35
	v_lshrrev_b32_e32 v39, 16, v34
.LBB816_126:
	s_or_b64 exec, exec, s[26:27]
.LBB816_127:
	s_or_b64 exec, exec, s[24:25]
.LBB816_128:
	s_or_b64 exec, exec, s[14:15]
	s_mov_b32 s11, 0xffffff
	v_cmp_lt_u32_e64 s[12:13], s11, v30
	v_mov_b32_e32 v35, 0
	v_mov_b32_e32 v40, 0
	s_and_saveexec_b64 s[14:15], s[12:13]
	s_cbranch_execz .LBB816_134
; %bb.129:
	v_lshrrev_b32_e32 v34, 24, v30
	s_movk_i32 s11, 0x80
	v_cmp_ne_u32_e64 s[12:13], s11, v34
	v_mov_b32_e32 v40, 0xffff8000
	s_and_saveexec_b64 s[24:25], s[12:13]
	s_cbranch_execz .LBB816_133
; %bb.130:
	v_bfe_u32 v36, v30, 24, 7
	s_movk_i32 s11, 0x7f
	v_cmp_ne_u32_e64 s[12:13], s11, v36
	v_mov_b32_e32 v40, 0x7f80
	s_and_saveexec_b64 s[26:27], s[12:13]
	s_cbranch_execz .LBB816_132
; %bb.131:
	v_and_b32_e32 v45, 7, v34
	v_ffbh_u32_e32 v40, v45
	v_min_u32_e32 v47, 32, v40
	v_subrev_u32_e32 v40, 28, v47
	v_lshlrev_b64 v[40:41], v40, v[34:35]
	v_lshrrev_b32_e32 v46, 3, v36
	v_sub_u32_e32 v41, 29, v47
	v_and_b32_e32 v40, 7, v40
	v_cmp_gt_u32_e64 s[12:13], 8, v36
	v_cndmask_b32_e64 v36, v46, v41, s[12:13]
	v_cndmask_b32_e64 v40, v45, v40, s[12:13]
	v_lshlrev_b32_e32 v34, 24, v34
	v_bfrev_b32_e32 v41, 60
	v_lshlrev_b32_e32 v40, 20, v40
	v_and_b32_e32 v34, 0x80000000, v34
	v_lshl_add_u32 v36, v36, 23, v41
	v_or3_b32 v34, v34, v36, v40
	v_lshrrev_b32_e32 v40, 16, v34
.LBB816_132:
	s_or_b64 exec, exec, s[26:27]
.LBB816_133:
	s_or_b64 exec, exec, s[24:25]
.LBB816_134:
	s_or_b64 exec, exec, s[14:15]
	v_mov_b32_e32 v34, v31
	v_cmp_ne_u16_sdwa s[12:13], v31, v35 src0_sel:BYTE_0 src1_sel:DWORD
	s_and_saveexec_b64 s[14:15], s[12:13]
	s_cbranch_execz .LBB816_140
; %bb.135:
	s_movk_i32 s11, 0x80
	v_cmp_ne_u16_sdwa s[12:13], v31, s11 src0_sel:BYTE_0 src1_sel:DWORD
	v_mov_b32_e32 v36, 0xffff8000
	s_and_saveexec_b64 s[24:25], s[12:13]
	s_cbranch_execz .LBB816_139
; %bb.136:
	s_movk_i32 s11, 0x7f
	v_and_b32_e32 v41, 0x7f, v31
	v_cmp_ne_u32_e64 s[12:13], s11, v41
	v_mov_b32_e32 v36, 0x7f80
	s_and_saveexec_b64 s[26:27], s[12:13]
	s_cbranch_execz .LBB816_138
; %bb.137:
	v_and_b32_e32 v36, 7, v31
	v_ffbh_u32_e32 v36, v36
	v_min_u32_e32 v36, 32, v36
	v_subrev_u32_e32 v46, 28, v36
	v_cmp_gt_u32_e64 s[12:13], 8, v41
	v_lshrrev_b32_e32 v45, 3, v41
	v_cndmask_b32_e64 v41, 0, v46, s[12:13]
	v_sub_u32_e32 v36, 29, v36
	v_lshlrev_b64 v[46:47], v41, v[34:35]
	v_cndmask_b32_e64 v36, v45, v36, s[12:13]
	v_lshlrev_b32_e32 v35, 20, v46
	v_lshlrev_b32_e32 v41, 24, v34
	v_bfrev_b32_e32 v45, 60
	v_and_b32_e32 v35, 0x700000, v35
	v_and_b32_e32 v41, 0x80000000, v41
	v_lshl_add_u32 v36, v36, 23, v45
	v_or3_b32 v35, v41, v36, v35
	v_lshrrev_b32_e32 v36, 16, v35
.LBB816_138:
	s_or_b64 exec, exec, s[26:27]
.LBB816_139:
	s_or_b64 exec, exec, s[24:25]
	v_mov_b32_e32 v35, v36
.LBB816_140:
	s_or_b64 exec, exec, s[14:15]
	v_lshrrev_b16_e32 v36, 8, v34
	v_cmp_ne_u16_e64 s[12:13], 0, v36
	v_mov_b32_e32 v45, 0
	v_mov_b32_e32 v41, 0
	s_and_saveexec_b64 s[14:15], s[12:13]
	s_cbranch_execz .LBB816_146
; %bb.141:
	s_movk_i32 s11, 0x80
	v_cmp_ne_u16_e64 s[12:13], s11, v36
	v_mov_b32_e32 v41, 0xffff8000
	s_and_saveexec_b64 s[24:25], s[12:13]
	s_cbranch_execz .LBB816_145
; %bb.142:
	s_movk_i32 s11, 0x7f
	v_and_b32_e32 v46, 0x7f, v36
	v_cmp_ne_u32_e64 s[12:13], s11, v46
	v_mov_b32_e32 v41, 0x7f80
	s_and_saveexec_b64 s[26:27], s[12:13]
	s_cbranch_execz .LBB816_144
; %bb.143:
	v_and_b32_e32 v41, 7, v36
	v_ffbh_u32_e32 v48, v41
	v_min_u32_e32 v50, 32, v48
	v_subrev_u32_e32 v48, 28, v50
	v_lshlrev_b64 v[48:49], v48, v[36:37]
	v_lshrrev_b32_e32 v47, 3, v46
	v_sub_u32_e32 v36, 29, v50
	v_and_b32_e32 v48, 7, v48
	v_cmp_gt_u32_e64 s[12:13], 8, v46
	v_cndmask_b32_e64 v36, v47, v36, s[12:13]
	v_cndmask_b32_e64 v41, v41, v48, s[12:13]
	v_lshlrev_b32_e32 v34, 16, v34
	v_bfrev_b32_e32 v46, 60
	v_lshlrev_b32_e32 v41, 20, v41
	v_and_b32_e32 v34, 0x80000000, v34
	v_lshl_add_u32 v36, v36, 23, v46
	v_or3_b32 v34, v34, v36, v41
	v_lshrrev_b32_e32 v41, 16, v34
.LBB816_144:
	s_or_b64 exec, exec, s[26:27]
.LBB816_145:
	s_or_b64 exec, exec, s[24:25]
.LBB816_146:
	s_or_b64 exec, exec, s[14:15]
	s_movk_i32 s11, 0xff
	v_and_b32_sdwa v36, v31, s11 dst_sel:DWORD dst_unused:UNUSED_PAD src0_sel:WORD_1 src1_sel:DWORD
	v_lshrrev_b32_e32 v34, 16, v31
	v_cmp_ne_u16_e64 s[12:13], 0, v36
	s_and_saveexec_b64 s[14:15], s[12:13]
	s_cbranch_execz .LBB816_152
; %bb.147:
	s_movk_i32 s11, 0x80
	v_cmp_ne_u16_e64 s[12:13], s11, v36
	v_mov_b32_e32 v45, 0xffff8000
	s_and_saveexec_b64 s[24:25], s[12:13]
	s_cbranch_execz .LBB816_151
; %bb.148:
	v_bfe_u32 v36, v31, 16, 7
	s_movk_i32 s11, 0x7f
	v_cmp_ne_u32_e64 s[12:13], s11, v36
	v_mov_b32_e32 v45, 0x7f80
	s_and_saveexec_b64 s[26:27], s[12:13]
	s_cbranch_execz .LBB816_150
; %bb.149:
	v_and_b32_e32 v45, 7, v34
	v_ffbh_u32_e32 v46, v45
	v_min_u32_e32 v49, 32, v46
	v_subrev_u32_e32 v46, 28, v49
	v_lshlrev_b64 v[46:47], v46, v[34:35]
	v_and_b32_e32 v46, 7, v46
	v_cmp_gt_u32_e64 s[12:13], 8, v36
	v_lshrrev_b32_e32 v48, 3, v36
	v_sub_u32_e32 v34, 29, v49
	v_cndmask_b32_e64 v36, v45, v46, s[12:13]
	v_mov_b32_e32 v45, 24
	v_cndmask_b32_e64 v34, v48, v34, s[12:13]
	v_lshlrev_b32_sdwa v45, v45, v31 dst_sel:DWORD dst_unused:UNUSED_PAD src0_sel:DWORD src1_sel:WORD_1
	v_bfrev_b32_e32 v46, 60
	v_lshlrev_b32_e32 v36, 20, v36
	v_and_b32_e32 v45, 0x80000000, v45
	v_lshl_add_u32 v34, v34, 23, v46
	v_or3_b32 v34, v45, v34, v36
	v_lshrrev_b32_e32 v45, 16, v34
.LBB816_150:
	s_or_b64 exec, exec, s[26:27]
.LBB816_151:
	s_or_b64 exec, exec, s[24:25]
.LBB816_152:
	s_or_b64 exec, exec, s[14:15]
	s_mov_b32 s12, -1
	s_mov_b32 s13, 0xffffff
	v_cmp_lt_u64_e64 s[12:13], s[12:13], v[30:31]
	v_mov_b32_e32 v36, 0
	v_mov_b32_e32 v34, 0
	s_and_saveexec_b64 s[14:15], s[12:13]
	s_cbranch_execz .LBB816_158
; %bb.153:
	v_lshrrev_b32_e32 v30, 24, v31
	s_movk_i32 s11, 0x80
	v_cmp_ne_u32_e64 s[12:13], s11, v30
	v_mov_b32_e32 v34, 0xffff8000
	s_and_saveexec_b64 s[24:25], s[12:13]
	s_cbranch_execz .LBB816_157
; %bb.154:
	v_bfe_u32 v31, v31, 24, 7
	s_movk_i32 s11, 0x7f
	v_cmp_ne_u32_e64 s[12:13], s11, v31
	v_mov_b32_e32 v34, 0x7f80
	s_and_saveexec_b64 s[26:27], s[12:13]
	s_cbranch_execz .LBB816_156
; %bb.155:
	v_and_b32_e32 v34, 7, v30
	v_ffbh_u32_e32 v46, v34
	v_min_u32_e32 v49, 32, v46
	v_subrev_u32_e32 v46, 28, v49
	v_lshlrev_b64 v[46:47], v46, v[30:31]
	v_lshrrev_b32_e32 v48, 3, v31
	v_sub_u32_e32 v47, 29, v49
	v_and_b32_e32 v46, 7, v46
	v_cmp_gt_u32_e64 s[12:13], 8, v31
	v_cndmask_b32_e64 v31, v48, v47, s[12:13]
	v_cndmask_b32_e64 v34, v34, v46, s[12:13]
	v_lshlrev_b32_e32 v30, 24, v30
	v_bfrev_b32_e32 v46, 60
	v_lshlrev_b32_e32 v34, 20, v34
	v_and_b32_e32 v30, 0x80000000, v30
	v_lshl_add_u32 v31, v31, 23, v46
	v_or3_b32 v30, v30, v31, v34
	v_lshrrev_b32_e32 v34, 16, v30
.LBB816_156:
	s_or_b64 exec, exec, s[26:27]
.LBB816_157:
	s_or_b64 exec, exec, s[24:25]
.LBB816_158:
	s_or_b64 exec, exec, s[14:15]
	s_mov_b32 s11, 0x5040100
	v_perm_b32 v31, v40, v39, s11
	v_perm_b32 v30, v37, v38, s11
	;; [unrolled: 1-line block ×4, first 2 shown]
	v_mfma_f32_4x4x4bf16_1k a[0:3], v[2:3], v[30:31], a[0:3] cbsz:4 abid:2
	v_cmp_ne_u16_sdwa s[12:13], v32, v36 src0_sel:BYTE_0 src1_sel:DWORD
	v_mfma_f32_4x4x4bf16_1k a[0:3], v[4:5], v[38:39], a[0:3] cbsz:4 abid:2
	s_and_saveexec_b64 s[14:15], s[12:13]
	s_cbranch_execz .LBB816_164
; %bb.159:
	s_movk_i32 s11, 0x80
	v_cmp_ne_u16_sdwa s[12:13], v32, s11 src0_sel:BYTE_0 src1_sel:DWORD
	v_mov_b32_e32 v36, 0xffff8000
	s_and_saveexec_b64 s[24:25], s[12:13]
	s_cbranch_execz .LBB816_163
; %bb.160:
	s_movk_i32 s11, 0x7f
	v_and_b32_e32 v30, 0x7f, v32
	v_cmp_ne_u32_e64 s[12:13], s11, v30
	v_mov_b32_e32 v36, 0x7f80
	s_and_saveexec_b64 s[26:27], s[12:13]
	s_cbranch_execz .LBB816_162
; %bb.161:
	v_and_b32_e32 v31, 7, v32
	v_ffbh_u32_e32 v31, v31
	v_min_u32_e32 v31, 32, v31
	v_subrev_u32_e32 v35, 28, v31
	v_cmp_gt_u32_e64 s[12:13], 8, v30
	v_lshrrev_b32_e32 v34, 3, v30
	v_sub_u32_e32 v31, 29, v31
	v_cndmask_b32_e64 v30, 0, v35, s[12:13]
	v_cndmask_b32_e64 v34, v34, v31, s[12:13]
	v_lshlrev_b64 v[30:31], v30, v[32:33]
	v_lshlrev_b32_e32 v30, 20, v30
	v_lshlrev_b32_e32 v31, 24, v32
	v_bfrev_b32_e32 v35, 60
	v_and_b32_e32 v30, 0x700000, v30
	v_and_b32_e32 v31, 0x80000000, v31
	v_lshl_add_u32 v34, v34, 23, v35
	v_or3_b32 v30, v31, v34, v30
	v_lshrrev_b32_e32 v36, 16, v30
.LBB816_162:
	s_or_b64 exec, exec, s[26:27]
.LBB816_163:
	s_or_b64 exec, exec, s[24:25]
.LBB816_164:
	s_or_b64 exec, exec, s[14:15]
	v_lshrrev_b16_e32 v30, 8, v32
	v_cmp_ne_u16_e64 s[12:13], 0, v30
	v_mov_b32_e32 v37, 0
	v_mov_b32_e32 v35, 0
	s_and_saveexec_b64 s[14:15], s[12:13]
	s_cbranch_execz .LBB816_170
; %bb.165:
	s_movk_i32 s11, 0x80
	v_cmp_ne_u16_e64 s[12:13], s11, v30
	v_mov_b32_e32 v35, 0xffff8000
	s_and_saveexec_b64 s[24:25], s[12:13]
	s_cbranch_execz .LBB816_169
; %bb.166:
	s_movk_i32 s11, 0x7f
	v_and_b32_e32 v31, 0x7f, v30
	v_cmp_ne_u32_e64 s[12:13], s11, v31
	v_mov_b32_e32 v35, 0x7f80
	s_and_saveexec_b64 s[26:27], s[12:13]
	s_cbranch_execz .LBB816_168
; %bb.167:
	v_and_b32_e32 v38, 7, v30
	v_ffbh_u32_e32 v34, v38
	v_min_u32_e32 v40, 32, v34
	v_subrev_u32_e32 v34, 28, v40
	v_lshlrev_b64 v[34:35], v34, v[30:31]
	v_lshrrev_b32_e32 v39, 3, v31
	v_sub_u32_e32 v30, 29, v40
	v_and_b32_e32 v34, 7, v34
	v_cmp_gt_u32_e64 s[12:13], 8, v31
	v_cndmask_b32_e64 v30, v39, v30, s[12:13]
	v_cndmask_b32_e64 v31, v38, v34, s[12:13]
	v_lshlrev_b32_e32 v34, 16, v32
	v_bfrev_b32_e32 v35, 60
	v_lshlrev_b32_e32 v31, 20, v31
	v_and_b32_e32 v34, 0x80000000, v34
	v_lshl_add_u32 v30, v30, 23, v35
	v_or3_b32 v30, v34, v30, v31
	v_lshrrev_b32_e32 v35, 16, v30
.LBB816_168:
	s_or_b64 exec, exec, s[26:27]
.LBB816_169:
	s_or_b64 exec, exec, s[24:25]
.LBB816_170:
	s_or_b64 exec, exec, s[14:15]
	s_movk_i32 s11, 0xff
	v_and_b32_sdwa v31, v32, s11 dst_sel:DWORD dst_unused:UNUSED_PAD src0_sel:WORD_1 src1_sel:DWORD
	v_lshrrev_b32_e32 v30, 16, v32
	v_cmp_ne_u16_e64 s[12:13], 0, v31
	s_and_saveexec_b64 s[14:15], s[12:13]
	s_cbranch_execz .LBB816_176
; %bb.171:
	s_movk_i32 s11, 0x80
	v_cmp_ne_u16_e64 s[12:13], s11, v31
	v_mov_b32_e32 v37, 0xffff8000
	s_and_saveexec_b64 s[24:25], s[12:13]
	s_cbranch_execz .LBB816_175
; %bb.172:
	v_bfe_u32 v31, v32, 16, 7
	s_movk_i32 s11, 0x7f
	v_cmp_ne_u32_e64 s[12:13], s11, v31
	v_mov_b32_e32 v37, 0x7f80
	s_and_saveexec_b64 s[26:27], s[12:13]
	s_cbranch_execz .LBB816_174
; %bb.173:
	v_and_b32_e32 v34, 7, v30
	v_ffbh_u32_e32 v38, v34
	v_min_u32_e32 v40, 32, v38
	v_subrev_u32_e32 v38, 28, v40
	v_lshlrev_b64 v[38:39], v38, v[30:31]
	v_and_b32_e32 v38, 7, v38
	v_cmp_gt_u32_e64 s[12:13], 8, v31
	v_lshrrev_b32_e32 v37, 3, v31
	v_sub_u32_e32 v30, 29, v40
	v_cndmask_b32_e64 v31, v34, v38, s[12:13]
	v_mov_b32_e32 v34, 24
	v_cndmask_b32_e64 v30, v37, v30, s[12:13]
	v_lshlrev_b32_sdwa v34, v34, v32 dst_sel:DWORD dst_unused:UNUSED_PAD src0_sel:DWORD src1_sel:WORD_1
	v_bfrev_b32_e32 v37, 60
	v_lshlrev_b32_e32 v31, 20, v31
	v_and_b32_e32 v34, 0x80000000, v34
	v_lshl_add_u32 v30, v30, 23, v37
	v_or3_b32 v30, v34, v30, v31
	v_lshrrev_b32_e32 v37, 16, v30
.LBB816_174:
	s_or_b64 exec, exec, s[26:27]
.LBB816_175:
	s_or_b64 exec, exec, s[24:25]
.LBB816_176:
	s_or_b64 exec, exec, s[14:15]
	s_mov_b32 s11, 0xffffff
	v_cmp_lt_u32_e64 s[12:13], s11, v32
	v_mov_b32_e32 v31, 0
	v_mov_b32_e32 v38, 0
	s_and_saveexec_b64 s[14:15], s[12:13]
	s_cbranch_execz .LBB816_182
; %bb.177:
	v_lshrrev_b32_e32 v30, 24, v32
	s_movk_i32 s11, 0x80
	v_cmp_ne_u32_e64 s[12:13], s11, v30
	v_mov_b32_e32 v38, 0xffff8000
	s_and_saveexec_b64 s[24:25], s[12:13]
	s_cbranch_execz .LBB816_181
; %bb.178:
	v_bfe_u32 v34, v32, 24, 7
	s_movk_i32 s11, 0x7f
	v_cmp_ne_u32_e64 s[12:13], s11, v34
	v_mov_b32_e32 v38, 0x7f80
	s_and_saveexec_b64 s[26:27], s[12:13]
	s_cbranch_execz .LBB816_180
; %bb.179:
	v_and_b32_e32 v40, 7, v30
	v_ffbh_u32_e32 v38, v40
	v_min_u32_e32 v45, 32, v38
	v_subrev_u32_e32 v38, 28, v45
	v_lshlrev_b64 v[38:39], v38, v[30:31]
	v_lshrrev_b32_e32 v41, 3, v34
	v_sub_u32_e32 v39, 29, v45
	v_and_b32_e32 v38, 7, v38
	v_cmp_gt_u32_e64 s[12:13], 8, v34
	v_cndmask_b32_e64 v34, v41, v39, s[12:13]
	v_cndmask_b32_e64 v38, v40, v38, s[12:13]
	v_lshlrev_b32_e32 v30, 24, v30
	v_bfrev_b32_e32 v39, 60
	v_lshlrev_b32_e32 v38, 20, v38
	v_and_b32_e32 v30, 0x80000000, v30
	v_lshl_add_u32 v34, v34, 23, v39
	v_or3_b32 v30, v30, v34, v38
	v_lshrrev_b32_e32 v38, 16, v30
.LBB816_180:
	s_or_b64 exec, exec, s[26:27]
.LBB816_181:
	s_or_b64 exec, exec, s[24:25]
.LBB816_182:
	s_or_b64 exec, exec, s[14:15]
	v_mov_b32_e32 v30, v33
	v_cmp_ne_u16_sdwa s[12:13], v33, v31 src0_sel:BYTE_0 src1_sel:DWORD
	s_and_saveexec_b64 s[14:15], s[12:13]
	s_cbranch_execz .LBB816_188
; %bb.183:
	s_movk_i32 s11, 0x80
	v_cmp_ne_u16_sdwa s[12:13], v33, s11 src0_sel:BYTE_0 src1_sel:DWORD
	v_mov_b32_e32 v34, 0xffff8000
	s_and_saveexec_b64 s[24:25], s[12:13]
	s_cbranch_execz .LBB816_187
; %bb.184:
	s_movk_i32 s11, 0x7f
	v_and_b32_e32 v39, 0x7f, v33
	v_cmp_ne_u32_e64 s[12:13], s11, v39
	v_mov_b32_e32 v34, 0x7f80
	s_and_saveexec_b64 s[26:27], s[12:13]
	s_cbranch_execz .LBB816_186
; %bb.185:
	v_and_b32_e32 v34, 7, v33
	v_ffbh_u32_e32 v34, v34
	v_min_u32_e32 v34, 32, v34
	v_subrev_u32_e32 v41, 28, v34
	v_cmp_gt_u32_e64 s[12:13], 8, v39
	v_lshrrev_b32_e32 v40, 3, v39
	v_sub_u32_e32 v34, 29, v34
	v_cndmask_b32_e64 v39, 0, v41, s[12:13]
	v_cndmask_b32_e64 v34, v40, v34, s[12:13]
	v_lshlrev_b64 v[40:41], v39, v[30:31]
	v_lshlrev_b32_e32 v31, 20, v40
	v_lshlrev_b32_e32 v39, 24, v30
	v_bfrev_b32_e32 v40, 60
	v_and_b32_e32 v31, 0x700000, v31
	v_and_b32_e32 v39, 0x80000000, v39
	v_lshl_add_u32 v34, v34, 23, v40
	v_or3_b32 v31, v39, v34, v31
	v_lshrrev_b32_e32 v34, 16, v31
.LBB816_186:
	s_or_b64 exec, exec, s[26:27]
.LBB816_187:
	s_or_b64 exec, exec, s[24:25]
	v_mov_b32_e32 v31, v34
.LBB816_188:
	s_or_b64 exec, exec, s[14:15]
	v_lshrrev_b16_e32 v34, 8, v30
	v_cmp_ne_u16_e64 s[12:13], 0, v34
	v_mov_b32_e32 v40, 0
	v_mov_b32_e32 v39, 0
	s_and_saveexec_b64 s[14:15], s[12:13]
	s_cbranch_execz .LBB816_194
; %bb.189:
	s_movk_i32 s11, 0x80
	v_cmp_ne_u16_e64 s[12:13], s11, v34
	v_mov_b32_e32 v39, 0xffff8000
	s_and_saveexec_b64 s[24:25], s[12:13]
	s_cbranch_execz .LBB816_193
; %bb.190:
	s_movk_i32 s11, 0x7f
	v_and_b32_e32 v41, 0x7f, v34
	v_cmp_ne_u32_e64 s[12:13], s11, v41
	v_mov_b32_e32 v39, 0x7f80
	s_and_saveexec_b64 s[26:27], s[12:13]
	s_cbranch_execz .LBB816_192
; %bb.191:
	v_and_b32_e32 v39, 7, v34
	v_ffbh_u32_e32 v46, v39
	v_min_u32_e32 v48, 32, v46
	v_subrev_u32_e32 v46, 28, v48
	v_lshlrev_b64 v[46:47], v46, v[34:35]
	v_lshrrev_b32_e32 v45, 3, v41
	v_sub_u32_e32 v34, 29, v48
	v_and_b32_e32 v46, 7, v46
	v_cmp_gt_u32_e64 s[12:13], 8, v41
	v_cndmask_b32_e64 v34, v45, v34, s[12:13]
	v_cndmask_b32_e64 v39, v39, v46, s[12:13]
	v_lshlrev_b32_e32 v30, 16, v30
	v_bfrev_b32_e32 v41, 60
	v_lshlrev_b32_e32 v39, 20, v39
	v_and_b32_e32 v30, 0x80000000, v30
	v_lshl_add_u32 v34, v34, 23, v41
	v_or3_b32 v30, v30, v34, v39
	v_lshrrev_b32_e32 v39, 16, v30
.LBB816_192:
	s_or_b64 exec, exec, s[26:27]
.LBB816_193:
	s_or_b64 exec, exec, s[24:25]
.LBB816_194:
	s_or_b64 exec, exec, s[14:15]
	s_movk_i32 s11, 0xff
	v_and_b32_sdwa v34, v33, s11 dst_sel:DWORD dst_unused:UNUSED_PAD src0_sel:WORD_1 src1_sel:DWORD
	v_lshrrev_b32_e32 v30, 16, v33
	v_cmp_ne_u16_e64 s[12:13], 0, v34
	s_and_saveexec_b64 s[14:15], s[12:13]
	s_cbranch_execz .LBB816_200
; %bb.195:
	s_movk_i32 s11, 0x80
	v_cmp_ne_u16_e64 s[12:13], s11, v34
	v_mov_b32_e32 v40, 0xffff8000
	s_and_saveexec_b64 s[24:25], s[12:13]
	s_cbranch_execz .LBB816_199
; %bb.196:
	v_bfe_u32 v34, v33, 16, 7
	s_movk_i32 s11, 0x7f
	v_cmp_ne_u32_e64 s[12:13], s11, v34
	v_mov_b32_e32 v40, 0x7f80
	s_and_saveexec_b64 s[26:27], s[12:13]
	s_cbranch_execz .LBB816_198
; %bb.197:
	v_and_b32_e32 v45, 7, v30
	v_ffbh_u32_e32 v40, v45
	v_min_u32_e32 v47, 32, v40
	v_subrev_u32_e32 v40, 28, v47
	v_lshlrev_b64 v[40:41], v40, v[30:31]
	v_and_b32_e32 v40, 7, v40
	v_cmp_gt_u32_e64 s[12:13], 8, v34
	v_lshrrev_b32_e32 v46, 3, v34
	v_sub_u32_e32 v30, 29, v47
	v_cndmask_b32_e64 v34, v45, v40, s[12:13]
	v_mov_b32_e32 v40, 24
	v_cndmask_b32_e64 v30, v46, v30, s[12:13]
	v_lshlrev_b32_sdwa v40, v40, v33 dst_sel:DWORD dst_unused:UNUSED_PAD src0_sel:DWORD src1_sel:WORD_1
	v_bfrev_b32_e32 v41, 60
	v_lshlrev_b32_e32 v34, 20, v34
	v_and_b32_e32 v40, 0x80000000, v40
	v_lshl_add_u32 v30, v30, 23, v41
	v_or3_b32 v30, v40, v30, v34
	v_lshrrev_b32_e32 v40, 16, v30
.LBB816_198:
	s_or_b64 exec, exec, s[26:27]
.LBB816_199:
	s_or_b64 exec, exec, s[24:25]
.LBB816_200:
	s_or_b64 exec, exec, s[14:15]
	s_mov_b32 s12, -1
	s_mov_b32 s13, 0xffffff
	v_cmp_lt_u64_e64 s[12:13], s[12:13], v[32:33]
	v_mov_b32_e32 v34, 0
	v_mov_b32_e32 v32, 0
	s_and_saveexec_b64 s[14:15], s[12:13]
	s_cbranch_execz .LBB816_206
; %bb.201:
	v_lshrrev_b32_e32 v30, 24, v33
	s_movk_i32 s11, 0x80
	v_cmp_ne_u32_e64 s[12:13], s11, v30
	v_mov_b32_e32 v32, 0xffff8000
	s_and_saveexec_b64 s[24:25], s[12:13]
	s_cbranch_execz .LBB816_205
; %bb.202:
	v_bfe_u32 v33, v33, 24, 7
	s_movk_i32 s11, 0x7f
	v_cmp_ne_u32_e64 s[12:13], s11, v33
	v_mov_b32_e32 v32, 0x7f80
	s_and_saveexec_b64 s[26:27], s[12:13]
	s_cbranch_execz .LBB816_204
; %bb.203:
	v_and_b32_e32 v32, 7, v30
	v_ffbh_u32_e32 v45, v32
	v_min_u32_e32 v45, 32, v45
	v_subrev_u32_e32 v46, 28, v45
	v_lshlrev_b64 v[46:47], v46, v[30:31]
	v_lshrrev_b32_e32 v41, 3, v33
	v_sub_u32_e32 v45, 29, v45
	v_and_b32_e32 v46, 7, v46
	v_cmp_gt_u32_e64 s[12:13], 8, v33
	v_cndmask_b32_e64 v33, v41, v45, s[12:13]
	v_cndmask_b32_e64 v32, v32, v46, s[12:13]
	v_lshlrev_b32_e32 v30, 24, v30
	v_bfrev_b32_e32 v41, 60
	v_lshlrev_b32_e32 v32, 20, v32
	v_and_b32_e32 v30, 0x80000000, v30
	v_lshl_add_u32 v33, v33, 23, v41
	v_or3_b32 v30, v30, v33, v32
	v_lshrrev_b32_e32 v32, 16, v30
.LBB816_204:
	s_or_b64 exec, exec, s[26:27]
.LBB816_205:
	s_or_b64 exec, exec, s[24:25]
.LBB816_206:
	s_or_b64 exec, exec, s[14:15]
	s_mov_b32 s11, 0x5040100
	v_perm_b32 v37, v38, v37, s11
	v_perm_b32 v36, v35, v36, s11
	;; [unrolled: 1-line block ×4, first 2 shown]
	v_mfma_f32_4x4x4bf16_1k a[0:3], v[2:3], v[36:37], a[0:3] cbsz:4 abid:3
	v_cmp_ne_u16_sdwa s[12:13], v26, v34 src0_sel:BYTE_0 src1_sel:DWORD
	v_mfma_f32_4x4x4bf16_1k a[0:3], v[4:5], v[32:33], a[0:3] cbsz:4 abid:3
	s_and_saveexec_b64 s[14:15], s[12:13]
	s_cbranch_execz .LBB816_212
; %bb.207:
	s_movk_i32 s11, 0x80
	v_cmp_ne_u16_sdwa s[12:13], v26, s11 src0_sel:BYTE_0 src1_sel:DWORD
	v_mov_b32_e32 v34, 0xffff8000
	s_and_saveexec_b64 s[24:25], s[12:13]
	s_cbranch_execz .LBB816_211
; %bb.208:
	s_movk_i32 s11, 0x7f
	v_and_b32_e32 v30, 0x7f, v26
	v_cmp_ne_u32_e64 s[12:13], s11, v30
	v_mov_b32_e32 v34, 0x7f80
	s_and_saveexec_b64 s[26:27], s[12:13]
	s_cbranch_execz .LBB816_210
; %bb.209:
	v_and_b32_e32 v31, 7, v26
	v_ffbh_u32_e32 v31, v31
	v_min_u32_e32 v31, 32, v31
	v_subrev_u32_e32 v33, 28, v31
	v_cmp_gt_u32_e64 s[12:13], 8, v30
	v_lshrrev_b32_e32 v32, 3, v30
	v_sub_u32_e32 v31, 29, v31
	v_cndmask_b32_e64 v30, 0, v33, s[12:13]
	v_cndmask_b32_e64 v32, v32, v31, s[12:13]
	v_lshlrev_b64 v[30:31], v30, v[26:27]
	v_lshlrev_b32_e32 v30, 20, v30
	v_lshlrev_b32_e32 v31, 24, v26
	v_bfrev_b32_e32 v33, 60
	v_and_b32_e32 v30, 0x700000, v30
	v_and_b32_e32 v31, 0x80000000, v31
	v_lshl_add_u32 v32, v32, 23, v33
	v_or3_b32 v30, v31, v32, v30
	v_lshrrev_b32_e32 v34, 16, v30
.LBB816_210:
	s_or_b64 exec, exec, s[26:27]
.LBB816_211:
	s_or_b64 exec, exec, s[24:25]
.LBB816_212:
	s_or_b64 exec, exec, s[14:15]
	v_lshrrev_b16_e32 v30, 8, v26
	v_cmp_ne_u16_e64 s[12:13], 0, v30
	v_mov_b32_e32 v35, 0
	v_mov_b32_e32 v33, 0
	s_and_saveexec_b64 s[14:15], s[12:13]
	s_cbranch_execz .LBB816_218
; %bb.213:
	s_movk_i32 s11, 0x80
	v_cmp_ne_u16_e64 s[12:13], s11, v30
	v_mov_b32_e32 v33, 0xffff8000
	s_and_saveexec_b64 s[24:25], s[12:13]
	s_cbranch_execz .LBB816_217
; %bb.214:
	s_movk_i32 s11, 0x7f
	v_and_b32_e32 v31, 0x7f, v30
	v_cmp_ne_u32_e64 s[12:13], s11, v31
	v_mov_b32_e32 v33, 0x7f80
	s_and_saveexec_b64 s[26:27], s[12:13]
	s_cbranch_execz .LBB816_216
; %bb.215:
	v_and_b32_e32 v36, 7, v30
	v_ffbh_u32_e32 v32, v36
	v_min_u32_e32 v38, 32, v32
	v_subrev_u32_e32 v32, 28, v38
	v_lshlrev_b64 v[32:33], v32, v[30:31]
	v_lshrrev_b32_e32 v37, 3, v31
	v_sub_u32_e32 v30, 29, v38
	v_and_b32_e32 v32, 7, v32
	v_cmp_gt_u32_e64 s[12:13], 8, v31
	v_cndmask_b32_e64 v30, v37, v30, s[12:13]
	v_cndmask_b32_e64 v31, v36, v32, s[12:13]
	v_lshlrev_b32_e32 v32, 16, v26
	v_bfrev_b32_e32 v33, 60
	v_lshlrev_b32_e32 v31, 20, v31
	v_and_b32_e32 v32, 0x80000000, v32
	v_lshl_add_u32 v30, v30, 23, v33
	v_or3_b32 v30, v32, v30, v31
	v_lshrrev_b32_e32 v33, 16, v30
.LBB816_216:
	s_or_b64 exec, exec, s[26:27]
.LBB816_217:
	s_or_b64 exec, exec, s[24:25]
.LBB816_218:
	s_or_b64 exec, exec, s[14:15]
	s_movk_i32 s11, 0xff
	v_and_b32_sdwa v31, v26, s11 dst_sel:DWORD dst_unused:UNUSED_PAD src0_sel:WORD_1 src1_sel:DWORD
	v_lshrrev_b32_e32 v30, 16, v26
	v_cmp_ne_u16_e64 s[12:13], 0, v31
	s_and_saveexec_b64 s[14:15], s[12:13]
	s_cbranch_execz .LBB816_224
; %bb.219:
	s_movk_i32 s11, 0x80
	v_cmp_ne_u16_e64 s[12:13], s11, v31
	v_mov_b32_e32 v35, 0xffff8000
	s_and_saveexec_b64 s[24:25], s[12:13]
	s_cbranch_execz .LBB816_223
; %bb.220:
	v_bfe_u32 v31, v26, 16, 7
	s_movk_i32 s11, 0x7f
	v_cmp_ne_u32_e64 s[12:13], s11, v31
	v_mov_b32_e32 v35, 0x7f80
	s_and_saveexec_b64 s[26:27], s[12:13]
	s_cbranch_execz .LBB816_222
; %bb.221:
	v_and_b32_e32 v32, 7, v30
	v_ffbh_u32_e32 v36, v32
	v_min_u32_e32 v38, 32, v36
	v_subrev_u32_e32 v36, 28, v38
	v_lshlrev_b64 v[36:37], v36, v[30:31]
	v_and_b32_e32 v36, 7, v36
	v_cmp_gt_u32_e64 s[12:13], 8, v31
	v_lshrrev_b32_e32 v35, 3, v31
	v_sub_u32_e32 v30, 29, v38
	v_cndmask_b32_e64 v31, v32, v36, s[12:13]
	v_mov_b32_e32 v32, 24
	v_cndmask_b32_e64 v30, v35, v30, s[12:13]
	v_lshlrev_b32_sdwa v32, v32, v26 dst_sel:DWORD dst_unused:UNUSED_PAD src0_sel:DWORD src1_sel:WORD_1
	v_bfrev_b32_e32 v35, 60
	v_lshlrev_b32_e32 v31, 20, v31
	v_and_b32_e32 v32, 0x80000000, v32
	v_lshl_add_u32 v30, v30, 23, v35
	v_or3_b32 v30, v32, v30, v31
	v_lshrrev_b32_e32 v35, 16, v30
.LBB816_222:
	s_or_b64 exec, exec, s[26:27]
.LBB816_223:
	s_or_b64 exec, exec, s[24:25]
.LBB816_224:
	s_or_b64 exec, exec, s[14:15]
	s_mov_b32 s11, 0xffffff
	v_cmp_lt_u32_e64 s[12:13], s11, v26
	v_mov_b32_e32 v31, 0
	v_mov_b32_e32 v36, 0
	s_and_saveexec_b64 s[14:15], s[12:13]
	s_cbranch_execz .LBB816_230
; %bb.225:
	v_lshrrev_b32_e32 v30, 24, v26
	s_movk_i32 s11, 0x80
	v_cmp_ne_u32_e64 s[12:13], s11, v30
	v_mov_b32_e32 v36, 0xffff8000
	s_and_saveexec_b64 s[24:25], s[12:13]
	s_cbranch_execz .LBB816_229
; %bb.226:
	v_bfe_u32 v32, v26, 24, 7
	s_movk_i32 s11, 0x7f
	v_cmp_ne_u32_e64 s[12:13], s11, v32
	v_mov_b32_e32 v36, 0x7f80
	s_and_saveexec_b64 s[26:27], s[12:13]
	s_cbranch_execz .LBB816_228
; %bb.227:
	v_and_b32_e32 v38, 7, v30
	v_ffbh_u32_e32 v36, v38
	v_min_u32_e32 v40, 32, v36
	v_subrev_u32_e32 v36, 28, v40
	v_lshlrev_b64 v[36:37], v36, v[30:31]
	v_lshrrev_b32_e32 v39, 3, v32
	v_sub_u32_e32 v37, 29, v40
	v_and_b32_e32 v36, 7, v36
	v_cmp_gt_u32_e64 s[12:13], 8, v32
	v_cndmask_b32_e64 v32, v39, v37, s[12:13]
	v_cndmask_b32_e64 v36, v38, v36, s[12:13]
	v_lshlrev_b32_e32 v30, 24, v30
	v_bfrev_b32_e32 v37, 60
	v_lshlrev_b32_e32 v36, 20, v36
	v_and_b32_e32 v30, 0x80000000, v30
	v_lshl_add_u32 v32, v32, 23, v37
	v_or3_b32 v30, v30, v32, v36
	v_lshrrev_b32_e32 v36, 16, v30
.LBB816_228:
	s_or_b64 exec, exec, s[26:27]
.LBB816_229:
	s_or_b64 exec, exec, s[24:25]
.LBB816_230:
	s_or_b64 exec, exec, s[14:15]
	v_mov_b32_e32 v30, v27
	v_cmp_ne_u16_sdwa s[12:13], v27, v31 src0_sel:BYTE_0 src1_sel:DWORD
	s_and_saveexec_b64 s[14:15], s[12:13]
	s_cbranch_execz .LBB816_236
; %bb.231:
	s_movk_i32 s11, 0x80
	v_cmp_ne_u16_sdwa s[12:13], v27, s11 src0_sel:BYTE_0 src1_sel:DWORD
	v_mov_b32_e32 v32, 0xffff8000
	s_and_saveexec_b64 s[24:25], s[12:13]
	s_cbranch_execz .LBB816_235
; %bb.232:
	s_movk_i32 s11, 0x7f
	v_and_b32_e32 v37, 0x7f, v27
	v_cmp_ne_u32_e64 s[12:13], s11, v37
	v_mov_b32_e32 v32, 0x7f80
	s_and_saveexec_b64 s[26:27], s[12:13]
	s_cbranch_execz .LBB816_234
; %bb.233:
	v_and_b32_e32 v32, 7, v27
	v_ffbh_u32_e32 v32, v32
	v_min_u32_e32 v32, 32, v32
	v_subrev_u32_e32 v39, 28, v32
	v_cmp_gt_u32_e64 s[12:13], 8, v37
	v_lshrrev_b32_e32 v38, 3, v37
	v_sub_u32_e32 v32, 29, v32
	v_cndmask_b32_e64 v37, 0, v39, s[12:13]
	v_cndmask_b32_e64 v32, v38, v32, s[12:13]
	v_lshlrev_b64 v[38:39], v37, v[30:31]
	v_lshlrev_b32_e32 v31, 20, v38
	v_lshlrev_b32_e32 v37, 24, v30
	v_bfrev_b32_e32 v38, 60
	v_and_b32_e32 v31, 0x700000, v31
	v_and_b32_e32 v37, 0x80000000, v37
	v_lshl_add_u32 v32, v32, 23, v38
	v_or3_b32 v31, v37, v32, v31
	v_lshrrev_b32_e32 v32, 16, v31
.LBB816_234:
	s_or_b64 exec, exec, s[26:27]
.LBB816_235:
	s_or_b64 exec, exec, s[24:25]
	v_mov_b32_e32 v31, v32
.LBB816_236:
	s_or_b64 exec, exec, s[14:15]
	v_lshrrev_b16_e32 v32, 8, v30
	v_cmp_ne_u16_e64 s[12:13], 0, v32
	v_mov_b32_e32 v38, 0
	v_mov_b32_e32 v37, 0
	s_and_saveexec_b64 s[14:15], s[12:13]
	s_cbranch_execz .LBB816_242
; %bb.237:
	s_movk_i32 s11, 0x80
	v_cmp_ne_u16_e64 s[12:13], s11, v32
	v_mov_b32_e32 v37, 0xffff8000
	s_and_saveexec_b64 s[24:25], s[12:13]
	s_cbranch_execz .LBB816_241
; %bb.238:
	s_movk_i32 s11, 0x7f
	v_and_b32_e32 v39, 0x7f, v32
	v_cmp_ne_u32_e64 s[12:13], s11, v39
	v_mov_b32_e32 v37, 0x7f80
	s_and_saveexec_b64 s[26:27], s[12:13]
	s_cbranch_execz .LBB816_240
; %bb.239:
	v_and_b32_e32 v37, 7, v32
	v_ffbh_u32_e32 v40, v37
	v_min_u32_e32 v46, 32, v40
	v_subrev_u32_e32 v40, 28, v46
	v_lshlrev_b64 v[40:41], v40, v[32:33]
	v_lshrrev_b32_e32 v45, 3, v39
	v_sub_u32_e32 v32, 29, v46
	v_and_b32_e32 v40, 7, v40
	v_cmp_gt_u32_e64 s[12:13], 8, v39
	v_cndmask_b32_e64 v32, v45, v32, s[12:13]
	v_cndmask_b32_e64 v37, v37, v40, s[12:13]
	v_lshlrev_b32_e32 v30, 16, v30
	v_bfrev_b32_e32 v39, 60
	v_lshlrev_b32_e32 v37, 20, v37
	v_and_b32_e32 v30, 0x80000000, v30
	v_lshl_add_u32 v32, v32, 23, v39
	v_or3_b32 v30, v30, v32, v37
	v_lshrrev_b32_e32 v37, 16, v30
.LBB816_240:
	s_or_b64 exec, exec, s[26:27]
.LBB816_241:
	s_or_b64 exec, exec, s[24:25]
.LBB816_242:
	s_or_b64 exec, exec, s[14:15]
	s_movk_i32 s11, 0xff
	v_and_b32_sdwa v32, v27, s11 dst_sel:DWORD dst_unused:UNUSED_PAD src0_sel:WORD_1 src1_sel:DWORD
	v_lshrrev_b32_e32 v30, 16, v27
	v_cmp_ne_u16_e64 s[12:13], 0, v32
	s_and_saveexec_b64 s[14:15], s[12:13]
	s_cbranch_execz .LBB816_248
; %bb.243:
	s_movk_i32 s11, 0x80
	v_cmp_ne_u16_e64 s[12:13], s11, v32
	v_mov_b32_e32 v38, 0xffff8000
	s_and_saveexec_b64 s[24:25], s[12:13]
	s_cbranch_execz .LBB816_247
; %bb.244:
	v_bfe_u32 v32, v27, 16, 7
	s_movk_i32 s11, 0x7f
	v_cmp_ne_u32_e64 s[12:13], s11, v32
	v_mov_b32_e32 v38, 0x7f80
	s_and_saveexec_b64 s[26:27], s[12:13]
	s_cbranch_execz .LBB816_246
; %bb.245:
	v_and_b32_e32 v40, 7, v30
	v_ffbh_u32_e32 v38, v40
	v_min_u32_e32 v45, 32, v38
	v_subrev_u32_e32 v38, 28, v45
	v_lshlrev_b64 v[38:39], v38, v[30:31]
	v_and_b32_e32 v38, 7, v38
	v_cmp_gt_u32_e64 s[12:13], 8, v32
	v_lshrrev_b32_e32 v41, 3, v32
	v_sub_u32_e32 v30, 29, v45
	v_cndmask_b32_e64 v32, v40, v38, s[12:13]
	v_mov_b32_e32 v38, 24
	v_cndmask_b32_e64 v30, v41, v30, s[12:13]
	v_lshlrev_b32_sdwa v38, v38, v27 dst_sel:DWORD dst_unused:UNUSED_PAD src0_sel:DWORD src1_sel:WORD_1
	v_bfrev_b32_e32 v39, 60
	v_lshlrev_b32_e32 v32, 20, v32
	v_and_b32_e32 v38, 0x80000000, v38
	v_lshl_add_u32 v30, v30, 23, v39
	v_or3_b32 v30, v38, v30, v32
	v_lshrrev_b32_e32 v38, 16, v30
.LBB816_246:
	s_or_b64 exec, exec, s[26:27]
.LBB816_247:
	s_or_b64 exec, exec, s[24:25]
.LBB816_248:
	s_or_b64 exec, exec, s[14:15]
	s_mov_b32 s12, -1
	s_mov_b32 s13, 0xffffff
	v_cmp_lt_u64_e64 s[12:13], s[12:13], v[26:27]
	v_mov_b32_e32 v32, 0
	v_mov_b32_e32 v30, 0
	s_and_saveexec_b64 s[14:15], s[12:13]
	s_cbranch_execz .LBB816_254
; %bb.249:
	v_lshrrev_b32_e32 v26, 24, v27
	s_movk_i32 s11, 0x80
	v_cmp_ne_u32_e64 s[12:13], s11, v26
	v_mov_b32_e32 v30, 0xffff8000
	s_and_saveexec_b64 s[24:25], s[12:13]
	s_cbranch_execz .LBB816_253
; %bb.250:
	v_bfe_u32 v27, v27, 24, 7
	s_movk_i32 s11, 0x7f
	v_cmp_ne_u32_e64 s[12:13], s11, v27
	v_mov_b32_e32 v30, 0x7f80
	s_and_saveexec_b64 s[26:27], s[12:13]
	s_cbranch_execz .LBB816_252
; %bb.251:
	v_and_b32_e32 v30, 7, v26
	v_ffbh_u32_e32 v40, v30
	v_min_u32_e32 v45, 32, v40
	v_subrev_u32_e32 v40, 28, v45
	v_lshlrev_b64 v[40:41], v40, v[26:27]
	v_lshrrev_b32_e32 v39, 3, v27
	v_sub_u32_e32 v41, 29, v45
	v_and_b32_e32 v40, 7, v40
	v_cmp_gt_u32_e64 s[12:13], 8, v27
	v_cndmask_b32_e64 v27, v39, v41, s[12:13]
	v_cndmask_b32_e64 v30, v30, v40, s[12:13]
	v_lshlrev_b32_e32 v26, 24, v26
	v_bfrev_b32_e32 v39, 60
	v_lshlrev_b32_e32 v30, 20, v30
	v_and_b32_e32 v26, 0x80000000, v26
	v_lshl_add_u32 v27, v27, 23, v39
	v_or3_b32 v26, v26, v27, v30
	v_lshrrev_b32_e32 v30, 16, v26
.LBB816_252:
	s_or_b64 exec, exec, s[26:27]
.LBB816_253:
	s_or_b64 exec, exec, s[24:25]
.LBB816_254:
	s_or_b64 exec, exec, s[14:15]
	s_mov_b32 s11, 0x5040100
	v_perm_b32 v27, v36, v35, s11
	v_perm_b32 v26, v33, v34, s11
	;; [unrolled: 1-line block ×4, first 2 shown]
	v_mfma_f32_4x4x4bf16_1k a[0:3], v[2:3], v[26:27], a[0:3] cbsz:4 abid:4
	v_cmp_ne_u16_sdwa s[12:13], v28, v32 src0_sel:BYTE_0 src1_sel:DWORD
	v_mfma_f32_4x4x4bf16_1k a[0:3], v[4:5], v[34:35], a[0:3] cbsz:4 abid:4
	s_and_saveexec_b64 s[14:15], s[12:13]
	s_cbranch_execz .LBB816_260
; %bb.255:
	s_movk_i32 s11, 0x80
	v_cmp_ne_u16_sdwa s[12:13], v28, s11 src0_sel:BYTE_0 src1_sel:DWORD
	v_mov_b32_e32 v32, 0xffff8000
	s_and_saveexec_b64 s[24:25], s[12:13]
	s_cbranch_execz .LBB816_259
; %bb.256:
	s_movk_i32 s11, 0x7f
	v_and_b32_e32 v26, 0x7f, v28
	v_cmp_ne_u32_e64 s[12:13], s11, v26
	v_mov_b32_e32 v32, 0x7f80
	s_and_saveexec_b64 s[26:27], s[12:13]
	s_cbranch_execz .LBB816_258
; %bb.257:
	v_and_b32_e32 v27, 7, v28
	v_ffbh_u32_e32 v27, v27
	v_min_u32_e32 v27, 32, v27
	v_subrev_u32_e32 v31, 28, v27
	v_cmp_gt_u32_e64 s[12:13], 8, v26
	v_lshrrev_b32_e32 v30, 3, v26
	v_sub_u32_e32 v27, 29, v27
	v_cndmask_b32_e64 v26, 0, v31, s[12:13]
	v_cndmask_b32_e64 v30, v30, v27, s[12:13]
	v_lshlrev_b64 v[26:27], v26, v[28:29]
	v_lshlrev_b32_e32 v26, 20, v26
	v_lshlrev_b32_e32 v27, 24, v28
	v_bfrev_b32_e32 v31, 60
	v_and_b32_e32 v26, 0x700000, v26
	v_and_b32_e32 v27, 0x80000000, v27
	v_lshl_add_u32 v30, v30, 23, v31
	v_or3_b32 v26, v27, v30, v26
	v_lshrrev_b32_e32 v32, 16, v26
.LBB816_258:
	s_or_b64 exec, exec, s[26:27]
.LBB816_259:
	s_or_b64 exec, exec, s[24:25]
.LBB816_260:
	s_or_b64 exec, exec, s[14:15]
	v_lshrrev_b16_e32 v26, 8, v28
	v_cmp_ne_u16_e64 s[12:13], 0, v26
	v_mov_b32_e32 v33, 0
	v_mov_b32_e32 v31, 0
	s_and_saveexec_b64 s[14:15], s[12:13]
	s_cbranch_execz .LBB816_266
; %bb.261:
	s_movk_i32 s11, 0x80
	v_cmp_ne_u16_e64 s[12:13], s11, v26
	v_mov_b32_e32 v31, 0xffff8000
	s_and_saveexec_b64 s[24:25], s[12:13]
	s_cbranch_execz .LBB816_265
; %bb.262:
	s_movk_i32 s11, 0x7f
	v_and_b32_e32 v27, 0x7f, v26
	v_cmp_ne_u32_e64 s[12:13], s11, v27
	v_mov_b32_e32 v31, 0x7f80
	s_and_saveexec_b64 s[26:27], s[12:13]
	s_cbranch_execz .LBB816_264
; %bb.263:
	v_and_b32_e32 v34, 7, v26
	v_ffbh_u32_e32 v30, v34
	v_min_u32_e32 v36, 32, v30
	v_subrev_u32_e32 v30, 28, v36
	v_lshlrev_b64 v[30:31], v30, v[26:27]
	v_lshrrev_b32_e32 v35, 3, v27
	v_sub_u32_e32 v26, 29, v36
	v_and_b32_e32 v30, 7, v30
	v_cmp_gt_u32_e64 s[12:13], 8, v27
	v_cndmask_b32_e64 v26, v35, v26, s[12:13]
	v_cndmask_b32_e64 v27, v34, v30, s[12:13]
	v_lshlrev_b32_e32 v30, 16, v28
	v_bfrev_b32_e32 v31, 60
	v_lshlrev_b32_e32 v27, 20, v27
	v_and_b32_e32 v30, 0x80000000, v30
	v_lshl_add_u32 v26, v26, 23, v31
	v_or3_b32 v26, v30, v26, v27
	v_lshrrev_b32_e32 v31, 16, v26
.LBB816_264:
	s_or_b64 exec, exec, s[26:27]
.LBB816_265:
	s_or_b64 exec, exec, s[24:25]
.LBB816_266:
	s_or_b64 exec, exec, s[14:15]
	s_movk_i32 s11, 0xff
	v_and_b32_sdwa v27, v28, s11 dst_sel:DWORD dst_unused:UNUSED_PAD src0_sel:WORD_1 src1_sel:DWORD
	v_lshrrev_b32_e32 v26, 16, v28
	v_cmp_ne_u16_e64 s[12:13], 0, v27
	s_and_saveexec_b64 s[14:15], s[12:13]
	s_cbranch_execz .LBB816_272
; %bb.267:
	s_movk_i32 s11, 0x80
	v_cmp_ne_u16_e64 s[12:13], s11, v27
	v_mov_b32_e32 v33, 0xffff8000
	s_and_saveexec_b64 s[24:25], s[12:13]
	s_cbranch_execz .LBB816_271
; %bb.268:
	v_bfe_u32 v27, v28, 16, 7
	s_movk_i32 s11, 0x7f
	v_cmp_ne_u32_e64 s[12:13], s11, v27
	v_mov_b32_e32 v33, 0x7f80
	s_and_saveexec_b64 s[26:27], s[12:13]
	s_cbranch_execz .LBB816_270
; %bb.269:
	v_and_b32_e32 v30, 7, v26
	v_ffbh_u32_e32 v34, v30
	v_min_u32_e32 v36, 32, v34
	v_subrev_u32_e32 v34, 28, v36
	v_lshlrev_b64 v[34:35], v34, v[26:27]
	v_and_b32_e32 v34, 7, v34
	v_cmp_gt_u32_e64 s[12:13], 8, v27
	v_lshrrev_b32_e32 v33, 3, v27
	v_sub_u32_e32 v26, 29, v36
	v_cndmask_b32_e64 v27, v30, v34, s[12:13]
	v_mov_b32_e32 v30, 24
	v_cndmask_b32_e64 v26, v33, v26, s[12:13]
	v_lshlrev_b32_sdwa v30, v30, v28 dst_sel:DWORD dst_unused:UNUSED_PAD src0_sel:DWORD src1_sel:WORD_1
	v_bfrev_b32_e32 v33, 60
	v_lshlrev_b32_e32 v27, 20, v27
	v_and_b32_e32 v30, 0x80000000, v30
	v_lshl_add_u32 v26, v26, 23, v33
	v_or3_b32 v26, v30, v26, v27
	v_lshrrev_b32_e32 v33, 16, v26
.LBB816_270:
	s_or_b64 exec, exec, s[26:27]
.LBB816_271:
	s_or_b64 exec, exec, s[24:25]
.LBB816_272:
	s_or_b64 exec, exec, s[14:15]
	s_mov_b32 s11, 0xffffff
	v_cmp_lt_u32_e64 s[12:13], s11, v28
	v_mov_b32_e32 v27, 0
	v_mov_b32_e32 v34, 0
	s_and_saveexec_b64 s[14:15], s[12:13]
	s_cbranch_execz .LBB816_278
; %bb.273:
	v_lshrrev_b32_e32 v26, 24, v28
	s_movk_i32 s11, 0x80
	v_cmp_ne_u32_e64 s[12:13], s11, v26
	v_mov_b32_e32 v34, 0xffff8000
	s_and_saveexec_b64 s[24:25], s[12:13]
	s_cbranch_execz .LBB816_277
; %bb.274:
	v_bfe_u32 v30, v28, 24, 7
	s_movk_i32 s11, 0x7f
	v_cmp_ne_u32_e64 s[12:13], s11, v30
	v_mov_b32_e32 v34, 0x7f80
	s_and_saveexec_b64 s[26:27], s[12:13]
	s_cbranch_execz .LBB816_276
; %bb.275:
	v_and_b32_e32 v36, 7, v26
	v_ffbh_u32_e32 v34, v36
	v_min_u32_e32 v38, 32, v34
	v_subrev_u32_e32 v34, 28, v38
	v_lshlrev_b64 v[34:35], v34, v[26:27]
	v_lshrrev_b32_e32 v37, 3, v30
	v_sub_u32_e32 v35, 29, v38
	v_and_b32_e32 v34, 7, v34
	v_cmp_gt_u32_e64 s[12:13], 8, v30
	v_cndmask_b32_e64 v30, v37, v35, s[12:13]
	v_cndmask_b32_e64 v34, v36, v34, s[12:13]
	v_lshlrev_b32_e32 v26, 24, v26
	v_bfrev_b32_e32 v35, 60
	v_lshlrev_b32_e32 v34, 20, v34
	v_and_b32_e32 v26, 0x80000000, v26
	v_lshl_add_u32 v30, v30, 23, v35
	v_or3_b32 v26, v26, v30, v34
	v_lshrrev_b32_e32 v34, 16, v26
.LBB816_276:
	s_or_b64 exec, exec, s[26:27]
.LBB816_277:
	s_or_b64 exec, exec, s[24:25]
.LBB816_278:
	s_or_b64 exec, exec, s[14:15]
	v_mov_b32_e32 v26, v29
	v_cmp_ne_u16_sdwa s[12:13], v29, v27 src0_sel:BYTE_0 src1_sel:DWORD
	s_and_saveexec_b64 s[14:15], s[12:13]
	s_cbranch_execz .LBB816_284
; %bb.279:
	s_movk_i32 s11, 0x80
	v_cmp_ne_u16_sdwa s[12:13], v29, s11 src0_sel:BYTE_0 src1_sel:DWORD
	v_mov_b32_e32 v30, 0xffff8000
	s_and_saveexec_b64 s[24:25], s[12:13]
	s_cbranch_execz .LBB816_283
; %bb.280:
	s_movk_i32 s11, 0x7f
	v_and_b32_e32 v35, 0x7f, v29
	v_cmp_ne_u32_e64 s[12:13], s11, v35
	v_mov_b32_e32 v30, 0x7f80
	s_and_saveexec_b64 s[26:27], s[12:13]
	s_cbranch_execz .LBB816_282
; %bb.281:
	v_and_b32_e32 v30, 7, v29
	v_ffbh_u32_e32 v30, v30
	v_min_u32_e32 v30, 32, v30
	v_subrev_u32_e32 v37, 28, v30
	v_cmp_gt_u32_e64 s[12:13], 8, v35
	v_lshrrev_b32_e32 v36, 3, v35
	v_sub_u32_e32 v30, 29, v30
	v_cndmask_b32_e64 v35, 0, v37, s[12:13]
	v_cndmask_b32_e64 v30, v36, v30, s[12:13]
	v_lshlrev_b64 v[36:37], v35, v[26:27]
	v_lshlrev_b32_e32 v27, 20, v36
	v_lshlrev_b32_e32 v35, 24, v26
	v_bfrev_b32_e32 v36, 60
	v_and_b32_e32 v27, 0x700000, v27
	v_and_b32_e32 v35, 0x80000000, v35
	v_lshl_add_u32 v30, v30, 23, v36
	v_or3_b32 v27, v35, v30, v27
	v_lshrrev_b32_e32 v30, 16, v27
.LBB816_282:
	s_or_b64 exec, exec, s[26:27]
.LBB816_283:
	s_or_b64 exec, exec, s[24:25]
	v_mov_b32_e32 v27, v30
.LBB816_284:
	s_or_b64 exec, exec, s[14:15]
	v_lshrrev_b16_e32 v30, 8, v26
	v_cmp_ne_u16_e64 s[12:13], 0, v30
	v_mov_b32_e32 v36, 0
	v_mov_b32_e32 v35, 0
	s_and_saveexec_b64 s[14:15], s[12:13]
	s_cbranch_execz .LBB816_290
; %bb.285:
	s_movk_i32 s11, 0x80
	v_cmp_ne_u16_e64 s[12:13], s11, v30
	v_mov_b32_e32 v35, 0xffff8000
	s_and_saveexec_b64 s[24:25], s[12:13]
	s_cbranch_execz .LBB816_289
; %bb.286:
	s_movk_i32 s11, 0x7f
	v_and_b32_e32 v37, 0x7f, v30
	v_cmp_ne_u32_e64 s[12:13], s11, v37
	v_mov_b32_e32 v35, 0x7f80
	s_and_saveexec_b64 s[26:27], s[12:13]
	s_cbranch_execz .LBB816_288
; %bb.287:
	v_and_b32_e32 v35, 7, v30
	v_ffbh_u32_e32 v38, v35
	v_min_u32_e32 v41, 32, v38
	v_subrev_u32_e32 v38, 28, v41
	v_lshlrev_b64 v[38:39], v38, v[30:31]
	v_lshrrev_b32_e32 v40, 3, v37
	v_sub_u32_e32 v30, 29, v41
	v_and_b32_e32 v38, 7, v38
	v_cmp_gt_u32_e64 s[12:13], 8, v37
	v_cndmask_b32_e64 v30, v40, v30, s[12:13]
	v_cndmask_b32_e64 v35, v35, v38, s[12:13]
	v_lshlrev_b32_e32 v26, 16, v26
	v_bfrev_b32_e32 v37, 60
	v_lshlrev_b32_e32 v35, 20, v35
	v_and_b32_e32 v26, 0x80000000, v26
	v_lshl_add_u32 v30, v30, 23, v37
	v_or3_b32 v26, v26, v30, v35
	v_lshrrev_b32_e32 v35, 16, v26
.LBB816_288:
	s_or_b64 exec, exec, s[26:27]
.LBB816_289:
	s_or_b64 exec, exec, s[24:25]
.LBB816_290:
	s_or_b64 exec, exec, s[14:15]
	s_movk_i32 s11, 0xff
	v_and_b32_sdwa v30, v29, s11 dst_sel:DWORD dst_unused:UNUSED_PAD src0_sel:WORD_1 src1_sel:DWORD
	v_lshrrev_b32_e32 v26, 16, v29
	v_cmp_ne_u16_e64 s[12:13], 0, v30
	s_and_saveexec_b64 s[14:15], s[12:13]
	s_cbranch_execz .LBB816_296
; %bb.291:
	s_movk_i32 s11, 0x80
	v_cmp_ne_u16_e64 s[12:13], s11, v30
	v_mov_b32_e32 v36, 0xffff8000
	s_and_saveexec_b64 s[24:25], s[12:13]
	s_cbranch_execz .LBB816_295
; %bb.292:
	v_bfe_u32 v30, v29, 16, 7
	s_movk_i32 s11, 0x7f
	v_cmp_ne_u32_e64 s[12:13], s11, v30
	v_mov_b32_e32 v36, 0x7f80
	s_and_saveexec_b64 s[26:27], s[12:13]
	s_cbranch_execz .LBB816_294
; %bb.293:
	v_and_b32_e32 v38, 7, v26
	v_ffbh_u32_e32 v36, v38
	v_min_u32_e32 v40, 32, v36
	v_subrev_u32_e32 v36, 28, v40
	v_lshlrev_b64 v[36:37], v36, v[26:27]
	v_and_b32_e32 v36, 7, v36
	v_cmp_gt_u32_e64 s[12:13], 8, v30
	v_lshrrev_b32_e32 v39, 3, v30
	v_sub_u32_e32 v26, 29, v40
	v_cndmask_b32_e64 v30, v38, v36, s[12:13]
	v_mov_b32_e32 v36, 24
	v_cndmask_b32_e64 v26, v39, v26, s[12:13]
	v_lshlrev_b32_sdwa v36, v36, v29 dst_sel:DWORD dst_unused:UNUSED_PAD src0_sel:DWORD src1_sel:WORD_1
	v_bfrev_b32_e32 v37, 60
	v_lshlrev_b32_e32 v30, 20, v30
	v_and_b32_e32 v36, 0x80000000, v36
	v_lshl_add_u32 v26, v26, 23, v37
	v_or3_b32 v26, v36, v26, v30
	v_lshrrev_b32_e32 v36, 16, v26
.LBB816_294:
	s_or_b64 exec, exec, s[26:27]
.LBB816_295:
	s_or_b64 exec, exec, s[24:25]
.LBB816_296:
	s_or_b64 exec, exec, s[14:15]
	s_mov_b32 s12, -1
	s_mov_b32 s13, 0xffffff
	v_cmp_lt_u64_e64 s[12:13], s[12:13], v[28:29]
	v_mov_b32_e32 v30, 0
	v_mov_b32_e32 v28, 0
	s_and_saveexec_b64 s[14:15], s[12:13]
	s_cbranch_execz .LBB816_302
; %bb.297:
	v_lshrrev_b32_e32 v26, 24, v29
	s_movk_i32 s11, 0x80
	v_cmp_ne_u32_e64 s[12:13], s11, v26
	v_mov_b32_e32 v28, 0xffff8000
	s_and_saveexec_b64 s[24:25], s[12:13]
	s_cbranch_execz .LBB816_301
; %bb.298:
	v_bfe_u32 v29, v29, 24, 7
	s_movk_i32 s11, 0x7f
	v_cmp_ne_u32_e64 s[12:13], s11, v29
	v_mov_b32_e32 v28, 0x7f80
	s_and_saveexec_b64 s[26:27], s[12:13]
	s_cbranch_execz .LBB816_300
; %bb.299:
	v_and_b32_e32 v28, 7, v26
	v_ffbh_u32_e32 v38, v28
	v_min_u32_e32 v40, 32, v38
	v_subrev_u32_e32 v38, 28, v40
	v_lshlrev_b64 v[38:39], v38, v[26:27]
	v_lshrrev_b32_e32 v37, 3, v29
	v_sub_u32_e32 v39, 29, v40
	v_and_b32_e32 v38, 7, v38
	v_cmp_gt_u32_e64 s[12:13], 8, v29
	v_cndmask_b32_e64 v29, v37, v39, s[12:13]
	v_cndmask_b32_e64 v28, v28, v38, s[12:13]
	v_lshlrev_b32_e32 v26, 24, v26
	v_bfrev_b32_e32 v37, 60
	v_lshlrev_b32_e32 v28, 20, v28
	v_and_b32_e32 v26, 0x80000000, v26
	v_lshl_add_u32 v29, v29, 23, v37
	v_or3_b32 v26, v26, v29, v28
	v_lshrrev_b32_e32 v28, 16, v26
.LBB816_300:
	s_or_b64 exec, exec, s[26:27]
.LBB816_301:
	s_or_b64 exec, exec, s[24:25]
.LBB816_302:
	s_or_b64 exec, exec, s[14:15]
	s_mov_b32 s11, 0x5040100
	v_perm_b32 v33, v34, v33, s11
	v_perm_b32 v32, v31, v32, s11
	v_perm_b32 v29, v28, v36, s11
	v_perm_b32 v28, v35, v27, s11
	v_mfma_f32_4x4x4bf16_1k a[0:3], v[2:3], v[32:33], a[0:3] cbsz:4 abid:5
	v_cmp_ne_u16_sdwa s[12:13], v22, v30 src0_sel:BYTE_0 src1_sel:DWORD
	v_mfma_f32_4x4x4bf16_1k a[0:3], v[4:5], v[28:29], a[0:3] cbsz:4 abid:5
	s_and_saveexec_b64 s[14:15], s[12:13]
	s_cbranch_execz .LBB816_308
; %bb.303:
	s_movk_i32 s11, 0x80
	v_cmp_ne_u16_sdwa s[12:13], v22, s11 src0_sel:BYTE_0 src1_sel:DWORD
	v_mov_b32_e32 v30, 0xffff8000
	s_and_saveexec_b64 s[24:25], s[12:13]
	s_cbranch_execz .LBB816_307
; %bb.304:
	s_movk_i32 s11, 0x7f
	v_and_b32_e32 v26, 0x7f, v22
	v_cmp_ne_u32_e64 s[12:13], s11, v26
	v_mov_b32_e32 v30, 0x7f80
	s_and_saveexec_b64 s[26:27], s[12:13]
	s_cbranch_execz .LBB816_306
; %bb.305:
	v_and_b32_e32 v27, 7, v22
	v_ffbh_u32_e32 v27, v27
	v_min_u32_e32 v27, 32, v27
	v_subrev_u32_e32 v29, 28, v27
	v_cmp_gt_u32_e64 s[12:13], 8, v26
	v_lshrrev_b32_e32 v28, 3, v26
	v_sub_u32_e32 v27, 29, v27
	v_cndmask_b32_e64 v26, 0, v29, s[12:13]
	v_cndmask_b32_e64 v28, v28, v27, s[12:13]
	v_lshlrev_b64 v[26:27], v26, v[22:23]
	v_lshlrev_b32_e32 v26, 20, v26
	v_lshlrev_b32_e32 v27, 24, v22
	v_bfrev_b32_e32 v29, 60
	v_and_b32_e32 v26, 0x700000, v26
	v_and_b32_e32 v27, 0x80000000, v27
	v_lshl_add_u32 v28, v28, 23, v29
	v_or3_b32 v26, v27, v28, v26
	v_lshrrev_b32_e32 v30, 16, v26
.LBB816_306:
	s_or_b64 exec, exec, s[26:27]
.LBB816_307:
	s_or_b64 exec, exec, s[24:25]
.LBB816_308:
	s_or_b64 exec, exec, s[14:15]
	v_lshrrev_b16_e32 v26, 8, v22
	v_cmp_ne_u16_e64 s[12:13], 0, v26
	v_mov_b32_e32 v31, 0
	v_mov_b32_e32 v29, 0
	s_and_saveexec_b64 s[14:15], s[12:13]
	s_cbranch_execz .LBB816_314
; %bb.309:
	s_movk_i32 s11, 0x80
	v_cmp_ne_u16_e64 s[12:13], s11, v26
	v_mov_b32_e32 v29, 0xffff8000
	s_and_saveexec_b64 s[24:25], s[12:13]
	s_cbranch_execz .LBB816_313
; %bb.310:
	s_movk_i32 s11, 0x7f
	v_and_b32_e32 v27, 0x7f, v26
	v_cmp_ne_u32_e64 s[12:13], s11, v27
	v_mov_b32_e32 v29, 0x7f80
	s_and_saveexec_b64 s[26:27], s[12:13]
	s_cbranch_execz .LBB816_312
; %bb.311:
	v_and_b32_e32 v32, 7, v26
	v_ffbh_u32_e32 v28, v32
	v_min_u32_e32 v34, 32, v28
	v_subrev_u32_e32 v28, 28, v34
	v_lshlrev_b64 v[28:29], v28, v[26:27]
	v_lshrrev_b32_e32 v33, 3, v27
	v_sub_u32_e32 v26, 29, v34
	v_and_b32_e32 v28, 7, v28
	v_cmp_gt_u32_e64 s[12:13], 8, v27
	v_cndmask_b32_e64 v26, v33, v26, s[12:13]
	v_cndmask_b32_e64 v27, v32, v28, s[12:13]
	v_lshlrev_b32_e32 v28, 16, v22
	v_bfrev_b32_e32 v29, 60
	v_lshlrev_b32_e32 v27, 20, v27
	v_and_b32_e32 v28, 0x80000000, v28
	v_lshl_add_u32 v26, v26, 23, v29
	v_or3_b32 v26, v28, v26, v27
	v_lshrrev_b32_e32 v29, 16, v26
.LBB816_312:
	s_or_b64 exec, exec, s[26:27]
.LBB816_313:
	s_or_b64 exec, exec, s[24:25]
.LBB816_314:
	s_or_b64 exec, exec, s[14:15]
	s_movk_i32 s11, 0xff
	v_and_b32_sdwa v27, v22, s11 dst_sel:DWORD dst_unused:UNUSED_PAD src0_sel:WORD_1 src1_sel:DWORD
	v_lshrrev_b32_e32 v26, 16, v22
	v_cmp_ne_u16_e64 s[12:13], 0, v27
	s_and_saveexec_b64 s[14:15], s[12:13]
	s_cbranch_execz .LBB816_320
; %bb.315:
	s_movk_i32 s11, 0x80
	v_cmp_ne_u16_e64 s[12:13], s11, v27
	v_mov_b32_e32 v31, 0xffff8000
	s_and_saveexec_b64 s[24:25], s[12:13]
	s_cbranch_execz .LBB816_319
; %bb.316:
	v_bfe_u32 v27, v22, 16, 7
	s_movk_i32 s11, 0x7f
	v_cmp_ne_u32_e64 s[12:13], s11, v27
	v_mov_b32_e32 v31, 0x7f80
	s_and_saveexec_b64 s[26:27], s[12:13]
	s_cbranch_execz .LBB816_318
; %bb.317:
	v_and_b32_e32 v28, 7, v26
	v_ffbh_u32_e32 v32, v28
	v_min_u32_e32 v34, 32, v32
	v_subrev_u32_e32 v32, 28, v34
	v_lshlrev_b64 v[32:33], v32, v[26:27]
	v_and_b32_e32 v32, 7, v32
	v_cmp_gt_u32_e64 s[12:13], 8, v27
	v_lshrrev_b32_e32 v31, 3, v27
	v_sub_u32_e32 v26, 29, v34
	v_cndmask_b32_e64 v27, v28, v32, s[12:13]
	v_mov_b32_e32 v28, 24
	v_cndmask_b32_e64 v26, v31, v26, s[12:13]
	v_lshlrev_b32_sdwa v28, v28, v22 dst_sel:DWORD dst_unused:UNUSED_PAD src0_sel:DWORD src1_sel:WORD_1
	v_bfrev_b32_e32 v31, 60
	v_lshlrev_b32_e32 v27, 20, v27
	v_and_b32_e32 v28, 0x80000000, v28
	v_lshl_add_u32 v26, v26, 23, v31
	v_or3_b32 v26, v28, v26, v27
	v_lshrrev_b32_e32 v31, 16, v26
.LBB816_318:
	s_or_b64 exec, exec, s[26:27]
.LBB816_319:
	s_or_b64 exec, exec, s[24:25]
.LBB816_320:
	s_or_b64 exec, exec, s[14:15]
	s_mov_b32 s11, 0xffffff
	v_cmp_lt_u32_e64 s[12:13], s11, v22
	v_mov_b32_e32 v27, 0
	v_mov_b32_e32 v32, 0
	s_and_saveexec_b64 s[14:15], s[12:13]
	s_cbranch_execz .LBB816_326
; %bb.321:
	v_lshrrev_b32_e32 v26, 24, v22
	s_movk_i32 s11, 0x80
	v_cmp_ne_u32_e64 s[12:13], s11, v26
	v_mov_b32_e32 v32, 0xffff8000
	s_and_saveexec_b64 s[24:25], s[12:13]
	s_cbranch_execz .LBB816_325
; %bb.322:
	v_bfe_u32 v28, v22, 24, 7
	s_movk_i32 s11, 0x7f
	v_cmp_ne_u32_e64 s[12:13], s11, v28
	v_mov_b32_e32 v32, 0x7f80
	s_and_saveexec_b64 s[26:27], s[12:13]
	s_cbranch_execz .LBB816_324
; %bb.323:
	v_and_b32_e32 v34, 7, v26
	v_ffbh_u32_e32 v32, v34
	v_min_u32_e32 v36, 32, v32
	v_subrev_u32_e32 v32, 28, v36
	v_lshlrev_b64 v[32:33], v32, v[26:27]
	v_lshrrev_b32_e32 v35, 3, v28
	v_sub_u32_e32 v33, 29, v36
	v_and_b32_e32 v32, 7, v32
	v_cmp_gt_u32_e64 s[12:13], 8, v28
	v_cndmask_b32_e64 v28, v35, v33, s[12:13]
	v_cndmask_b32_e64 v32, v34, v32, s[12:13]
	v_lshlrev_b32_e32 v26, 24, v26
	v_bfrev_b32_e32 v33, 60
	v_lshlrev_b32_e32 v32, 20, v32
	v_and_b32_e32 v26, 0x80000000, v26
	v_lshl_add_u32 v28, v28, 23, v33
	v_or3_b32 v26, v26, v28, v32
	v_lshrrev_b32_e32 v32, 16, v26
.LBB816_324:
	s_or_b64 exec, exec, s[26:27]
.LBB816_325:
	s_or_b64 exec, exec, s[24:25]
.LBB816_326:
	s_or_b64 exec, exec, s[14:15]
	v_mov_b32_e32 v26, v23
	v_cmp_ne_u16_sdwa s[12:13], v23, v27 src0_sel:BYTE_0 src1_sel:DWORD
	s_and_saveexec_b64 s[14:15], s[12:13]
	s_cbranch_execz .LBB816_332
; %bb.327:
	s_movk_i32 s11, 0x80
	v_cmp_ne_u16_sdwa s[12:13], v23, s11 src0_sel:BYTE_0 src1_sel:DWORD
	v_mov_b32_e32 v28, 0xffff8000
	s_and_saveexec_b64 s[24:25], s[12:13]
	s_cbranch_execz .LBB816_331
; %bb.328:
	s_movk_i32 s11, 0x7f
	v_and_b32_e32 v33, 0x7f, v23
	v_cmp_ne_u32_e64 s[12:13], s11, v33
	v_mov_b32_e32 v28, 0x7f80
	s_and_saveexec_b64 s[26:27], s[12:13]
	s_cbranch_execz .LBB816_330
; %bb.329:
	v_and_b32_e32 v28, 7, v23
	v_ffbh_u32_e32 v28, v28
	v_min_u32_e32 v28, 32, v28
	v_subrev_u32_e32 v35, 28, v28
	v_cmp_gt_u32_e64 s[12:13], 8, v33
	v_lshrrev_b32_e32 v34, 3, v33
	v_sub_u32_e32 v28, 29, v28
	v_cndmask_b32_e64 v33, 0, v35, s[12:13]
	v_cndmask_b32_e64 v28, v34, v28, s[12:13]
	v_lshlrev_b64 v[34:35], v33, v[26:27]
	v_lshlrev_b32_e32 v27, 20, v34
	v_lshlrev_b32_e32 v33, 24, v26
	v_bfrev_b32_e32 v34, 60
	v_and_b32_e32 v27, 0x700000, v27
	v_and_b32_e32 v33, 0x80000000, v33
	v_lshl_add_u32 v28, v28, 23, v34
	v_or3_b32 v27, v33, v28, v27
	v_lshrrev_b32_e32 v28, 16, v27
.LBB816_330:
	s_or_b64 exec, exec, s[26:27]
.LBB816_331:
	s_or_b64 exec, exec, s[24:25]
	v_mov_b32_e32 v27, v28
.LBB816_332:
	s_or_b64 exec, exec, s[14:15]
	v_lshrrev_b16_e32 v28, 8, v26
	v_cmp_ne_u16_e64 s[12:13], 0, v28
	v_mov_b32_e32 v34, 0
	v_mov_b32_e32 v33, 0
	s_and_saveexec_b64 s[14:15], s[12:13]
	s_cbranch_execz .LBB816_338
; %bb.333:
	s_movk_i32 s11, 0x80
	v_cmp_ne_u16_e64 s[12:13], s11, v28
	v_mov_b32_e32 v33, 0xffff8000
	s_and_saveexec_b64 s[24:25], s[12:13]
	s_cbranch_execz .LBB816_337
; %bb.334:
	s_movk_i32 s11, 0x7f
	v_and_b32_e32 v35, 0x7f, v28
	v_cmp_ne_u32_e64 s[12:13], s11, v35
	v_mov_b32_e32 v33, 0x7f80
	s_and_saveexec_b64 s[26:27], s[12:13]
	s_cbranch_execz .LBB816_336
; %bb.335:
	v_and_b32_e32 v33, 7, v28
	v_ffbh_u32_e32 v36, v33
	v_min_u32_e32 v39, 32, v36
	v_subrev_u32_e32 v36, 28, v39
	v_lshlrev_b64 v[36:37], v36, v[28:29]
	v_lshrrev_b32_e32 v38, 3, v35
	v_sub_u32_e32 v28, 29, v39
	v_and_b32_e32 v36, 7, v36
	v_cmp_gt_u32_e64 s[12:13], 8, v35
	v_cndmask_b32_e64 v28, v38, v28, s[12:13]
	v_cndmask_b32_e64 v33, v33, v36, s[12:13]
	v_lshlrev_b32_e32 v26, 16, v26
	v_bfrev_b32_e32 v35, 60
	v_lshlrev_b32_e32 v33, 20, v33
	v_and_b32_e32 v26, 0x80000000, v26
	v_lshl_add_u32 v28, v28, 23, v35
	v_or3_b32 v26, v26, v28, v33
	v_lshrrev_b32_e32 v33, 16, v26
.LBB816_336:
	s_or_b64 exec, exec, s[26:27]
.LBB816_337:
	s_or_b64 exec, exec, s[24:25]
.LBB816_338:
	s_or_b64 exec, exec, s[14:15]
	s_movk_i32 s11, 0xff
	v_and_b32_sdwa v28, v23, s11 dst_sel:DWORD dst_unused:UNUSED_PAD src0_sel:WORD_1 src1_sel:DWORD
	v_lshrrev_b32_e32 v26, 16, v23
	v_cmp_ne_u16_e64 s[12:13], 0, v28
	s_and_saveexec_b64 s[14:15], s[12:13]
	s_cbranch_execz .LBB816_344
; %bb.339:
	s_movk_i32 s11, 0x80
	v_cmp_ne_u16_e64 s[12:13], s11, v28
	v_mov_b32_e32 v34, 0xffff8000
	s_and_saveexec_b64 s[24:25], s[12:13]
	s_cbranch_execz .LBB816_343
; %bb.340:
	v_bfe_u32 v28, v23, 16, 7
	s_movk_i32 s11, 0x7f
	v_cmp_ne_u32_e64 s[12:13], s11, v28
	v_mov_b32_e32 v34, 0x7f80
	s_and_saveexec_b64 s[26:27], s[12:13]
	s_cbranch_execz .LBB816_342
; %bb.341:
	v_and_b32_e32 v36, 7, v26
	v_ffbh_u32_e32 v34, v36
	v_min_u32_e32 v38, 32, v34
	v_subrev_u32_e32 v34, 28, v38
	v_lshlrev_b64 v[34:35], v34, v[26:27]
	v_and_b32_e32 v34, 7, v34
	v_cmp_gt_u32_e64 s[12:13], 8, v28
	v_lshrrev_b32_e32 v37, 3, v28
	v_sub_u32_e32 v26, 29, v38
	v_cndmask_b32_e64 v28, v36, v34, s[12:13]
	v_mov_b32_e32 v34, 24
	v_cndmask_b32_e64 v26, v37, v26, s[12:13]
	v_lshlrev_b32_sdwa v34, v34, v23 dst_sel:DWORD dst_unused:UNUSED_PAD src0_sel:DWORD src1_sel:WORD_1
	v_bfrev_b32_e32 v35, 60
	v_lshlrev_b32_e32 v28, 20, v28
	v_and_b32_e32 v34, 0x80000000, v34
	v_lshl_add_u32 v26, v26, 23, v35
	v_or3_b32 v26, v34, v26, v28
	v_lshrrev_b32_e32 v34, 16, v26
.LBB816_342:
	s_or_b64 exec, exec, s[26:27]
.LBB816_343:
	s_or_b64 exec, exec, s[24:25]
.LBB816_344:
	s_or_b64 exec, exec, s[14:15]
	s_mov_b32 s12, -1
	s_mov_b32 s13, 0xffffff
	v_cmp_lt_u64_e64 s[12:13], s[12:13], v[22:23]
	v_mov_b32_e32 v28, 0
	v_mov_b32_e32 v26, 0
	s_and_saveexec_b64 s[14:15], s[12:13]
	s_cbranch_execz .LBB816_350
; %bb.345:
	v_lshrrev_b32_e32 v22, 24, v23
	s_movk_i32 s11, 0x80
	v_cmp_ne_u32_e64 s[12:13], s11, v22
	v_mov_b32_e32 v26, 0xffff8000
	s_and_saveexec_b64 s[24:25], s[12:13]
	s_cbranch_execz .LBB816_349
; %bb.346:
	v_bfe_u32 v23, v23, 24, 7
	s_movk_i32 s11, 0x7f
	v_cmp_ne_u32_e64 s[12:13], s11, v23
	v_mov_b32_e32 v26, 0x7f80
	s_and_saveexec_b64 s[26:27], s[12:13]
	s_cbranch_execz .LBB816_348
; %bb.347:
	v_and_b32_e32 v26, 7, v22
	v_ffbh_u32_e32 v36, v26
	v_min_u32_e32 v38, 32, v36
	v_subrev_u32_e32 v36, 28, v38
	v_lshlrev_b64 v[36:37], v36, v[22:23]
	v_lshrrev_b32_e32 v35, 3, v23
	v_sub_u32_e32 v37, 29, v38
	v_and_b32_e32 v36, 7, v36
	v_cmp_gt_u32_e64 s[12:13], 8, v23
	v_cndmask_b32_e64 v23, v35, v37, s[12:13]
	v_cndmask_b32_e64 v26, v26, v36, s[12:13]
	v_lshlrev_b32_e32 v22, 24, v22
	v_bfrev_b32_e32 v35, 60
	v_lshlrev_b32_e32 v26, 20, v26
	v_and_b32_e32 v22, 0x80000000, v22
	v_lshl_add_u32 v23, v23, 23, v35
	v_or3_b32 v22, v22, v23, v26
	v_lshrrev_b32_e32 v26, 16, v22
.LBB816_348:
	s_or_b64 exec, exec, s[26:27]
.LBB816_349:
	s_or_b64 exec, exec, s[24:25]
.LBB816_350:
	s_or_b64 exec, exec, s[14:15]
	s_mov_b32 s11, 0x5040100
	v_perm_b32 v23, v32, v31, s11
	v_perm_b32 v22, v29, v30, s11
	;; [unrolled: 1-line block ×4, first 2 shown]
	v_mfma_f32_4x4x4bf16_1k a[0:3], v[2:3], v[22:23], a[0:3] cbsz:4 abid:6
	v_cmp_ne_u16_sdwa s[12:13], v24, v28 src0_sel:BYTE_0 src1_sel:DWORD
	v_mfma_f32_4x4x4bf16_1k a[0:3], v[4:5], v[30:31], a[0:3] cbsz:4 abid:6
	s_and_saveexec_b64 s[14:15], s[12:13]
	s_cbranch_execz .LBB816_356
; %bb.351:
	s_movk_i32 s11, 0x80
	v_cmp_ne_u16_sdwa s[12:13], v24, s11 src0_sel:BYTE_0 src1_sel:DWORD
	v_mov_b32_e32 v28, 0xffff8000
	s_and_saveexec_b64 s[24:25], s[12:13]
	s_cbranch_execz .LBB816_355
; %bb.352:
	s_movk_i32 s11, 0x7f
	v_and_b32_e32 v22, 0x7f, v24
	v_cmp_ne_u32_e64 s[12:13], s11, v22
	v_mov_b32_e32 v28, 0x7f80
	s_and_saveexec_b64 s[26:27], s[12:13]
	s_cbranch_execz .LBB816_354
; %bb.353:
	v_and_b32_e32 v23, 7, v24
	v_ffbh_u32_e32 v23, v23
	v_min_u32_e32 v23, 32, v23
	v_subrev_u32_e32 v27, 28, v23
	v_cmp_gt_u32_e64 s[12:13], 8, v22
	v_lshrrev_b32_e32 v26, 3, v22
	v_sub_u32_e32 v23, 29, v23
	v_cndmask_b32_e64 v22, 0, v27, s[12:13]
	v_cndmask_b32_e64 v26, v26, v23, s[12:13]
	v_lshlrev_b64 v[22:23], v22, v[24:25]
	v_lshlrev_b32_e32 v22, 20, v22
	v_lshlrev_b32_e32 v23, 24, v24
	v_bfrev_b32_e32 v27, 60
	v_and_b32_e32 v22, 0x700000, v22
	v_and_b32_e32 v23, 0x80000000, v23
	v_lshl_add_u32 v26, v26, 23, v27
	v_or3_b32 v22, v23, v26, v22
	v_lshrrev_b32_e32 v28, 16, v22
.LBB816_354:
	s_or_b64 exec, exec, s[26:27]
.LBB816_355:
	s_or_b64 exec, exec, s[24:25]
.LBB816_356:
	s_or_b64 exec, exec, s[14:15]
	v_lshrrev_b16_e32 v22, 8, v24
	v_cmp_ne_u16_e64 s[12:13], 0, v22
	v_mov_b32_e32 v29, 0
	v_mov_b32_e32 v27, 0
	s_and_saveexec_b64 s[14:15], s[12:13]
	s_cbranch_execz .LBB816_362
; %bb.357:
	s_movk_i32 s11, 0x80
	v_cmp_ne_u16_e64 s[12:13], s11, v22
	v_mov_b32_e32 v27, 0xffff8000
	s_and_saveexec_b64 s[24:25], s[12:13]
	s_cbranch_execz .LBB816_361
; %bb.358:
	s_movk_i32 s11, 0x7f
	v_and_b32_e32 v23, 0x7f, v22
	v_cmp_ne_u32_e64 s[12:13], s11, v23
	v_mov_b32_e32 v27, 0x7f80
	s_and_saveexec_b64 s[26:27], s[12:13]
	s_cbranch_execz .LBB816_360
; %bb.359:
	v_and_b32_e32 v30, 7, v22
	v_ffbh_u32_e32 v26, v30
	v_min_u32_e32 v32, 32, v26
	v_subrev_u32_e32 v26, 28, v32
	v_lshlrev_b64 v[26:27], v26, v[22:23]
	v_lshrrev_b32_e32 v31, 3, v23
	v_sub_u32_e32 v22, 29, v32
	v_and_b32_e32 v26, 7, v26
	v_cmp_gt_u32_e64 s[12:13], 8, v23
	v_cndmask_b32_e64 v22, v31, v22, s[12:13]
	v_cndmask_b32_e64 v23, v30, v26, s[12:13]
	v_lshlrev_b32_e32 v26, 16, v24
	v_bfrev_b32_e32 v27, 60
	v_lshlrev_b32_e32 v23, 20, v23
	v_and_b32_e32 v26, 0x80000000, v26
	v_lshl_add_u32 v22, v22, 23, v27
	v_or3_b32 v22, v26, v22, v23
	v_lshrrev_b32_e32 v27, 16, v22
.LBB816_360:
	s_or_b64 exec, exec, s[26:27]
.LBB816_361:
	s_or_b64 exec, exec, s[24:25]
.LBB816_362:
	s_or_b64 exec, exec, s[14:15]
	s_movk_i32 s11, 0xff
	v_and_b32_sdwa v23, v24, s11 dst_sel:DWORD dst_unused:UNUSED_PAD src0_sel:WORD_1 src1_sel:DWORD
	v_lshrrev_b32_e32 v22, 16, v24
	v_cmp_ne_u16_e64 s[12:13], 0, v23
	s_and_saveexec_b64 s[14:15], s[12:13]
	s_cbranch_execz .LBB816_368
; %bb.363:
	s_movk_i32 s11, 0x80
	v_cmp_ne_u16_e64 s[12:13], s11, v23
	v_mov_b32_e32 v29, 0xffff8000
	s_and_saveexec_b64 s[24:25], s[12:13]
	s_cbranch_execz .LBB816_367
; %bb.364:
	v_bfe_u32 v23, v24, 16, 7
	s_movk_i32 s11, 0x7f
	v_cmp_ne_u32_e64 s[12:13], s11, v23
	v_mov_b32_e32 v29, 0x7f80
	s_and_saveexec_b64 s[26:27], s[12:13]
	s_cbranch_execz .LBB816_366
; %bb.365:
	v_and_b32_e32 v26, 7, v22
	v_ffbh_u32_e32 v30, v26
	v_min_u32_e32 v32, 32, v30
	v_subrev_u32_e32 v30, 28, v32
	v_lshlrev_b64 v[30:31], v30, v[22:23]
	v_and_b32_e32 v30, 7, v30
	v_cmp_gt_u32_e64 s[12:13], 8, v23
	v_lshrrev_b32_e32 v29, 3, v23
	v_sub_u32_e32 v22, 29, v32
	v_cndmask_b32_e64 v23, v26, v30, s[12:13]
	v_mov_b32_e32 v26, 24
	v_cndmask_b32_e64 v22, v29, v22, s[12:13]
	v_lshlrev_b32_sdwa v26, v26, v24 dst_sel:DWORD dst_unused:UNUSED_PAD src0_sel:DWORD src1_sel:WORD_1
	v_bfrev_b32_e32 v29, 60
	v_lshlrev_b32_e32 v23, 20, v23
	v_and_b32_e32 v26, 0x80000000, v26
	v_lshl_add_u32 v22, v22, 23, v29
	v_or3_b32 v22, v26, v22, v23
	v_lshrrev_b32_e32 v29, 16, v22
.LBB816_366:
	s_or_b64 exec, exec, s[26:27]
.LBB816_367:
	s_or_b64 exec, exec, s[24:25]
.LBB816_368:
	s_or_b64 exec, exec, s[14:15]
	s_mov_b32 s11, 0xffffff
	v_cmp_lt_u32_e64 s[12:13], s11, v24
	v_mov_b32_e32 v23, 0
	v_mov_b32_e32 v30, 0
	s_and_saveexec_b64 s[14:15], s[12:13]
	s_cbranch_execz .LBB816_374
; %bb.369:
	v_lshrrev_b32_e32 v22, 24, v24
	s_movk_i32 s11, 0x80
	v_cmp_ne_u32_e64 s[12:13], s11, v22
	v_mov_b32_e32 v30, 0xffff8000
	s_and_saveexec_b64 s[24:25], s[12:13]
	s_cbranch_execz .LBB816_373
; %bb.370:
	v_bfe_u32 v26, v24, 24, 7
	s_movk_i32 s11, 0x7f
	v_cmp_ne_u32_e64 s[12:13], s11, v26
	v_mov_b32_e32 v30, 0x7f80
	s_and_saveexec_b64 s[26:27], s[12:13]
	s_cbranch_execz .LBB816_372
; %bb.371:
	v_and_b32_e32 v32, 7, v22
	v_ffbh_u32_e32 v30, v32
	v_min_u32_e32 v34, 32, v30
	v_subrev_u32_e32 v30, 28, v34
	v_lshlrev_b64 v[30:31], v30, v[22:23]
	v_lshrrev_b32_e32 v33, 3, v26
	v_sub_u32_e32 v31, 29, v34
	v_and_b32_e32 v30, 7, v30
	v_cmp_gt_u32_e64 s[12:13], 8, v26
	v_cndmask_b32_e64 v26, v33, v31, s[12:13]
	v_cndmask_b32_e64 v30, v32, v30, s[12:13]
	v_lshlrev_b32_e32 v22, 24, v22
	v_bfrev_b32_e32 v31, 60
	v_lshlrev_b32_e32 v30, 20, v30
	v_and_b32_e32 v22, 0x80000000, v22
	v_lshl_add_u32 v26, v26, 23, v31
	v_or3_b32 v22, v22, v26, v30
	v_lshrrev_b32_e32 v30, 16, v22
.LBB816_372:
	s_or_b64 exec, exec, s[26:27]
.LBB816_373:
	s_or_b64 exec, exec, s[24:25]
.LBB816_374:
	s_or_b64 exec, exec, s[14:15]
	v_mov_b32_e32 v22, v25
	v_cmp_ne_u16_sdwa s[12:13], v25, v23 src0_sel:BYTE_0 src1_sel:DWORD
	s_and_saveexec_b64 s[14:15], s[12:13]
	s_cbranch_execz .LBB816_380
; %bb.375:
	s_movk_i32 s11, 0x80
	v_cmp_ne_u16_sdwa s[12:13], v25, s11 src0_sel:BYTE_0 src1_sel:DWORD
	v_mov_b32_e32 v26, 0xffff8000
	s_and_saveexec_b64 s[24:25], s[12:13]
	s_cbranch_execz .LBB816_379
; %bb.376:
	s_movk_i32 s11, 0x7f
	v_and_b32_e32 v31, 0x7f, v25
	v_cmp_ne_u32_e64 s[12:13], s11, v31
	v_mov_b32_e32 v26, 0x7f80
	s_and_saveexec_b64 s[26:27], s[12:13]
	s_cbranch_execz .LBB816_378
; %bb.377:
	v_and_b32_e32 v26, 7, v25
	v_ffbh_u32_e32 v26, v26
	v_min_u32_e32 v26, 32, v26
	v_subrev_u32_e32 v33, 28, v26
	v_cmp_gt_u32_e64 s[12:13], 8, v31
	v_lshrrev_b32_e32 v32, 3, v31
	v_sub_u32_e32 v26, 29, v26
	v_cndmask_b32_e64 v31, 0, v33, s[12:13]
	v_cndmask_b32_e64 v26, v32, v26, s[12:13]
	v_lshlrev_b64 v[32:33], v31, v[22:23]
	v_lshlrev_b32_e32 v23, 20, v32
	v_lshlrev_b32_e32 v31, 24, v22
	v_bfrev_b32_e32 v32, 60
	v_and_b32_e32 v23, 0x700000, v23
	v_and_b32_e32 v31, 0x80000000, v31
	v_lshl_add_u32 v26, v26, 23, v32
	v_or3_b32 v23, v31, v26, v23
	v_lshrrev_b32_e32 v26, 16, v23
.LBB816_378:
	s_or_b64 exec, exec, s[26:27]
.LBB816_379:
	s_or_b64 exec, exec, s[24:25]
	v_mov_b32_e32 v23, v26
.LBB816_380:
	s_or_b64 exec, exec, s[14:15]
	v_lshrrev_b16_e32 v26, 8, v22
	v_cmp_ne_u16_e64 s[12:13], 0, v26
	v_mov_b32_e32 v32, 0
	v_mov_b32_e32 v31, 0
	s_and_saveexec_b64 s[14:15], s[12:13]
	s_cbranch_execz .LBB816_386
; %bb.381:
	s_movk_i32 s11, 0x80
	v_cmp_ne_u16_e64 s[12:13], s11, v26
	v_mov_b32_e32 v31, 0xffff8000
	s_and_saveexec_b64 s[24:25], s[12:13]
	s_cbranch_execz .LBB816_385
; %bb.382:
	s_movk_i32 s11, 0x7f
	v_and_b32_e32 v33, 0x7f, v26
	v_cmp_ne_u32_e64 s[12:13], s11, v33
	v_mov_b32_e32 v31, 0x7f80
	s_and_saveexec_b64 s[26:27], s[12:13]
	s_cbranch_execz .LBB816_384
; %bb.383:
	v_and_b32_e32 v31, 7, v26
	v_ffbh_u32_e32 v34, v31
	v_min_u32_e32 v37, 32, v34
	v_subrev_u32_e32 v34, 28, v37
	v_lshlrev_b64 v[34:35], v34, v[26:27]
	v_lshrrev_b32_e32 v36, 3, v33
	v_sub_u32_e32 v26, 29, v37
	v_and_b32_e32 v34, 7, v34
	v_cmp_gt_u32_e64 s[12:13], 8, v33
	v_cndmask_b32_e64 v26, v36, v26, s[12:13]
	v_cndmask_b32_e64 v31, v31, v34, s[12:13]
	v_lshlrev_b32_e32 v22, 16, v22
	v_bfrev_b32_e32 v33, 60
	v_lshlrev_b32_e32 v31, 20, v31
	v_and_b32_e32 v22, 0x80000000, v22
	v_lshl_add_u32 v26, v26, 23, v33
	v_or3_b32 v22, v22, v26, v31
	v_lshrrev_b32_e32 v31, 16, v22
.LBB816_384:
	s_or_b64 exec, exec, s[26:27]
.LBB816_385:
	s_or_b64 exec, exec, s[24:25]
.LBB816_386:
	s_or_b64 exec, exec, s[14:15]
	s_movk_i32 s11, 0xff
	v_and_b32_sdwa v26, v25, s11 dst_sel:DWORD dst_unused:UNUSED_PAD src0_sel:WORD_1 src1_sel:DWORD
	v_lshrrev_b32_e32 v22, 16, v25
	v_cmp_ne_u16_e64 s[12:13], 0, v26
	s_and_saveexec_b64 s[14:15], s[12:13]
	s_cbranch_execz .LBB816_392
; %bb.387:
	s_movk_i32 s11, 0x80
	v_cmp_ne_u16_e64 s[12:13], s11, v26
	v_mov_b32_e32 v32, 0xffff8000
	s_and_saveexec_b64 s[24:25], s[12:13]
	s_cbranch_execz .LBB816_391
; %bb.388:
	v_bfe_u32 v26, v25, 16, 7
	s_movk_i32 s11, 0x7f
	v_cmp_ne_u32_e64 s[12:13], s11, v26
	v_mov_b32_e32 v32, 0x7f80
	s_and_saveexec_b64 s[26:27], s[12:13]
	s_cbranch_execz .LBB816_390
; %bb.389:
	v_and_b32_e32 v34, 7, v22
	v_ffbh_u32_e32 v32, v34
	v_min_u32_e32 v36, 32, v32
	v_subrev_u32_e32 v32, 28, v36
	v_lshlrev_b64 v[32:33], v32, v[22:23]
	v_and_b32_e32 v32, 7, v32
	v_cmp_gt_u32_e64 s[12:13], 8, v26
	v_lshrrev_b32_e32 v35, 3, v26
	v_sub_u32_e32 v22, 29, v36
	v_cndmask_b32_e64 v26, v34, v32, s[12:13]
	v_mov_b32_e32 v32, 24
	v_cndmask_b32_e64 v22, v35, v22, s[12:13]
	v_lshlrev_b32_sdwa v32, v32, v25 dst_sel:DWORD dst_unused:UNUSED_PAD src0_sel:DWORD src1_sel:WORD_1
	v_bfrev_b32_e32 v33, 60
	v_lshlrev_b32_e32 v26, 20, v26
	v_and_b32_e32 v32, 0x80000000, v32
	v_lshl_add_u32 v22, v22, 23, v33
	v_or3_b32 v22, v32, v22, v26
	v_lshrrev_b32_e32 v32, 16, v22
.LBB816_390:
	s_or_b64 exec, exec, s[26:27]
.LBB816_391:
	s_or_b64 exec, exec, s[24:25]
.LBB816_392:
	s_or_b64 exec, exec, s[14:15]
	s_mov_b32 s12, -1
	s_mov_b32 s13, 0xffffff
	v_cmp_lt_u64_e64 s[12:13], s[12:13], v[24:25]
	v_mov_b32_e32 v26, 0
	v_mov_b32_e32 v24, 0
	s_and_saveexec_b64 s[14:15], s[12:13]
	s_cbranch_execz .LBB816_398
; %bb.393:
	v_lshrrev_b32_e32 v22, 24, v25
	s_movk_i32 s11, 0x80
	v_cmp_ne_u32_e64 s[12:13], s11, v22
	v_mov_b32_e32 v24, 0xffff8000
	s_and_saveexec_b64 s[24:25], s[12:13]
	s_cbranch_execz .LBB816_397
; %bb.394:
	v_bfe_u32 v25, v25, 24, 7
	s_movk_i32 s11, 0x7f
	v_cmp_ne_u32_e64 s[12:13], s11, v25
	v_mov_b32_e32 v24, 0x7f80
	s_and_saveexec_b64 s[26:27], s[12:13]
	s_cbranch_execz .LBB816_396
; %bb.395:
	v_and_b32_e32 v24, 7, v22
	v_ffbh_u32_e32 v34, v24
	v_min_u32_e32 v36, 32, v34
	v_subrev_u32_e32 v34, 28, v36
	v_lshlrev_b64 v[34:35], v34, v[22:23]
	v_lshrrev_b32_e32 v33, 3, v25
	v_sub_u32_e32 v35, 29, v36
	v_and_b32_e32 v34, 7, v34
	v_cmp_gt_u32_e64 s[12:13], 8, v25
	v_cndmask_b32_e64 v25, v33, v35, s[12:13]
	v_cndmask_b32_e64 v24, v24, v34, s[12:13]
	v_lshlrev_b32_e32 v22, 24, v22
	v_bfrev_b32_e32 v33, 60
	v_lshlrev_b32_e32 v24, 20, v24
	v_and_b32_e32 v22, 0x80000000, v22
	v_lshl_add_u32 v25, v25, 23, v33
	v_or3_b32 v22, v22, v25, v24
	v_lshrrev_b32_e32 v24, 16, v22
.LBB816_396:
	s_or_b64 exec, exec, s[26:27]
.LBB816_397:
	s_or_b64 exec, exec, s[24:25]
.LBB816_398:
	s_or_b64 exec, exec, s[14:15]
	s_mov_b32 s11, 0x5040100
	v_perm_b32 v29, v30, v29, s11
	v_perm_b32 v28, v27, v28, s11
	v_perm_b32 v25, v24, v32, s11
	v_perm_b32 v24, v31, v23, s11
	v_mfma_f32_4x4x4bf16_1k a[0:3], v[2:3], v[28:29], a[0:3] cbsz:4 abid:7
	s_waitcnt vmcnt(31)
	v_cmp_ne_u16_sdwa s[12:13], v18, v26 src0_sel:BYTE_0 src1_sel:DWORD
	v_mfma_f32_4x4x4bf16_1k a[0:3], v[4:5], v[24:25], a[0:3] cbsz:4 abid:7
	s_and_saveexec_b64 s[14:15], s[12:13]
	s_cbranch_execz .LBB816_404
; %bb.399:
	s_movk_i32 s11, 0x80
	v_cmp_ne_u16_sdwa s[12:13], v18, s11 src0_sel:BYTE_0 src1_sel:DWORD
	v_mov_b32_e32 v26, 0xffff8000
	s_and_saveexec_b64 s[24:25], s[12:13]
	s_cbranch_execz .LBB816_403
; %bb.400:
	s_movk_i32 s11, 0x7f
	v_and_b32_e32 v22, 0x7f, v18
	v_cmp_ne_u32_e64 s[12:13], s11, v22
	v_mov_b32_e32 v26, 0x7f80
	s_and_saveexec_b64 s[26:27], s[12:13]
	s_cbranch_execz .LBB816_402
; %bb.401:
	v_and_b32_e32 v23, 7, v18
	v_ffbh_u32_e32 v23, v23
	v_min_u32_e32 v23, 32, v23
	v_subrev_u32_e32 v25, 28, v23
	v_cmp_gt_u32_e64 s[12:13], 8, v22
	v_lshrrev_b32_e32 v24, 3, v22
	v_sub_u32_e32 v23, 29, v23
	v_cndmask_b32_e64 v22, 0, v25, s[12:13]
	v_cndmask_b32_e64 v24, v24, v23, s[12:13]
	v_lshlrev_b64 v[22:23], v22, v[18:19]
	v_lshlrev_b32_e32 v22, 20, v22
	v_lshlrev_b32_e32 v23, 24, v18
	v_bfrev_b32_e32 v25, 60
	v_and_b32_e32 v22, 0x700000, v22
	v_and_b32_e32 v23, 0x80000000, v23
	v_lshl_add_u32 v24, v24, 23, v25
	v_or3_b32 v22, v23, v24, v22
	v_lshrrev_b32_e32 v26, 16, v22
.LBB816_402:
	s_or_b64 exec, exec, s[26:27]
.LBB816_403:
	s_or_b64 exec, exec, s[24:25]
.LBB816_404:
	s_or_b64 exec, exec, s[14:15]
	v_lshrrev_b16_e32 v22, 8, v18
	v_cmp_ne_u16_e64 s[12:13], 0, v22
	v_mov_b32_e32 v27, 0
	v_mov_b32_e32 v25, 0
	s_and_saveexec_b64 s[14:15], s[12:13]
	s_cbranch_execz .LBB816_410
; %bb.405:
	s_movk_i32 s11, 0x80
	v_cmp_ne_u16_e64 s[12:13], s11, v22
	v_mov_b32_e32 v25, 0xffff8000
	s_and_saveexec_b64 s[24:25], s[12:13]
	s_cbranch_execz .LBB816_409
; %bb.406:
	s_movk_i32 s11, 0x7f
	v_and_b32_e32 v23, 0x7f, v22
	v_cmp_ne_u32_e64 s[12:13], s11, v23
	v_mov_b32_e32 v25, 0x7f80
	s_and_saveexec_b64 s[26:27], s[12:13]
	s_cbranch_execz .LBB816_408
; %bb.407:
	v_and_b32_e32 v28, 7, v22
	v_ffbh_u32_e32 v24, v28
	v_min_u32_e32 v30, 32, v24
	v_subrev_u32_e32 v24, 28, v30
	v_lshlrev_b64 v[24:25], v24, v[22:23]
	v_lshrrev_b32_e32 v29, 3, v23
	v_sub_u32_e32 v22, 29, v30
	v_and_b32_e32 v24, 7, v24
	v_cmp_gt_u32_e64 s[12:13], 8, v23
	v_cndmask_b32_e64 v22, v29, v22, s[12:13]
	v_cndmask_b32_e64 v23, v28, v24, s[12:13]
	v_lshlrev_b32_e32 v24, 16, v18
	v_bfrev_b32_e32 v25, 60
	v_lshlrev_b32_e32 v23, 20, v23
	v_and_b32_e32 v24, 0x80000000, v24
	v_lshl_add_u32 v22, v22, 23, v25
	v_or3_b32 v22, v24, v22, v23
	v_lshrrev_b32_e32 v25, 16, v22
.LBB816_408:
	s_or_b64 exec, exec, s[26:27]
.LBB816_409:
	s_or_b64 exec, exec, s[24:25]
.LBB816_410:
	s_or_b64 exec, exec, s[14:15]
	s_movk_i32 s11, 0xff
	v_and_b32_sdwa v23, v18, s11 dst_sel:DWORD dst_unused:UNUSED_PAD src0_sel:WORD_1 src1_sel:DWORD
	v_lshrrev_b32_e32 v22, 16, v18
	v_cmp_ne_u16_e64 s[12:13], 0, v23
	s_and_saveexec_b64 s[14:15], s[12:13]
	s_cbranch_execz .LBB816_416
; %bb.411:
	s_movk_i32 s11, 0x80
	v_cmp_ne_u16_e64 s[12:13], s11, v23
	v_mov_b32_e32 v27, 0xffff8000
	s_and_saveexec_b64 s[24:25], s[12:13]
	s_cbranch_execz .LBB816_415
; %bb.412:
	v_bfe_u32 v23, v18, 16, 7
	s_movk_i32 s11, 0x7f
	v_cmp_ne_u32_e64 s[12:13], s11, v23
	v_mov_b32_e32 v27, 0x7f80
	s_and_saveexec_b64 s[26:27], s[12:13]
	s_cbranch_execz .LBB816_414
; %bb.413:
	v_and_b32_e32 v24, 7, v22
	v_ffbh_u32_e32 v28, v24
	v_min_u32_e32 v30, 32, v28
	v_subrev_u32_e32 v28, 28, v30
	v_lshlrev_b64 v[28:29], v28, v[22:23]
	v_and_b32_e32 v28, 7, v28
	v_cmp_gt_u32_e64 s[12:13], 8, v23
	v_lshrrev_b32_e32 v27, 3, v23
	v_sub_u32_e32 v22, 29, v30
	v_cndmask_b32_e64 v23, v24, v28, s[12:13]
	v_mov_b32_e32 v24, 24
	v_cndmask_b32_e64 v22, v27, v22, s[12:13]
	v_lshlrev_b32_sdwa v24, v24, v18 dst_sel:DWORD dst_unused:UNUSED_PAD src0_sel:DWORD src1_sel:WORD_1
	v_bfrev_b32_e32 v27, 60
	v_lshlrev_b32_e32 v23, 20, v23
	v_and_b32_e32 v24, 0x80000000, v24
	v_lshl_add_u32 v22, v22, 23, v27
	v_or3_b32 v22, v24, v22, v23
	v_lshrrev_b32_e32 v27, 16, v22
.LBB816_414:
	s_or_b64 exec, exec, s[26:27]
.LBB816_415:
	s_or_b64 exec, exec, s[24:25]
.LBB816_416:
	s_or_b64 exec, exec, s[14:15]
	s_mov_b32 s11, 0xffffff
	v_cmp_lt_u32_e64 s[12:13], s11, v18
	v_mov_b32_e32 v23, 0
	v_mov_b32_e32 v28, 0
	s_and_saveexec_b64 s[14:15], s[12:13]
	s_cbranch_execz .LBB816_422
; %bb.417:
	v_lshrrev_b32_e32 v22, 24, v18
	s_movk_i32 s11, 0x80
	v_cmp_ne_u32_e64 s[12:13], s11, v22
	v_mov_b32_e32 v28, 0xffff8000
	s_and_saveexec_b64 s[24:25], s[12:13]
	s_cbranch_execz .LBB816_421
; %bb.418:
	v_bfe_u32 v24, v18, 24, 7
	s_movk_i32 s11, 0x7f
	v_cmp_ne_u32_e64 s[12:13], s11, v24
	v_mov_b32_e32 v28, 0x7f80
	s_and_saveexec_b64 s[26:27], s[12:13]
	s_cbranch_execz .LBB816_420
; %bb.419:
	v_and_b32_e32 v30, 7, v22
	v_ffbh_u32_e32 v28, v30
	v_min_u32_e32 v32, 32, v28
	v_subrev_u32_e32 v28, 28, v32
	v_lshlrev_b64 v[28:29], v28, v[22:23]
	v_lshrrev_b32_e32 v31, 3, v24
	v_sub_u32_e32 v29, 29, v32
	v_and_b32_e32 v28, 7, v28
	v_cmp_gt_u32_e64 s[12:13], 8, v24
	v_cndmask_b32_e64 v24, v31, v29, s[12:13]
	v_cndmask_b32_e64 v28, v30, v28, s[12:13]
	v_lshlrev_b32_e32 v22, 24, v22
	v_bfrev_b32_e32 v29, 60
	v_lshlrev_b32_e32 v28, 20, v28
	v_and_b32_e32 v22, 0x80000000, v22
	v_lshl_add_u32 v24, v24, 23, v29
	v_or3_b32 v22, v22, v24, v28
	v_lshrrev_b32_e32 v28, 16, v22
.LBB816_420:
	s_or_b64 exec, exec, s[26:27]
.LBB816_421:
	s_or_b64 exec, exec, s[24:25]
.LBB816_422:
	s_or_b64 exec, exec, s[14:15]
	v_mov_b32_e32 v22, v19
	v_cmp_ne_u16_sdwa s[12:13], v19, v23 src0_sel:BYTE_0 src1_sel:DWORD
	s_and_saveexec_b64 s[14:15], s[12:13]
	s_cbranch_execz .LBB816_428
; %bb.423:
	s_movk_i32 s11, 0x80
	v_cmp_ne_u16_sdwa s[12:13], v19, s11 src0_sel:BYTE_0 src1_sel:DWORD
	v_mov_b32_e32 v24, 0xffff8000
	s_and_saveexec_b64 s[24:25], s[12:13]
	s_cbranch_execz .LBB816_427
; %bb.424:
	s_movk_i32 s11, 0x7f
	v_and_b32_e32 v29, 0x7f, v19
	v_cmp_ne_u32_e64 s[12:13], s11, v29
	v_mov_b32_e32 v24, 0x7f80
	s_and_saveexec_b64 s[26:27], s[12:13]
	s_cbranch_execz .LBB816_426
; %bb.425:
	v_and_b32_e32 v24, 7, v19
	v_ffbh_u32_e32 v24, v24
	v_min_u32_e32 v24, 32, v24
	v_subrev_u32_e32 v31, 28, v24
	v_cmp_gt_u32_e64 s[12:13], 8, v29
	v_lshrrev_b32_e32 v30, 3, v29
	v_sub_u32_e32 v24, 29, v24
	v_cndmask_b32_e64 v29, 0, v31, s[12:13]
	v_cndmask_b32_e64 v24, v30, v24, s[12:13]
	v_lshlrev_b64 v[30:31], v29, v[22:23]
	v_lshlrev_b32_e32 v23, 20, v30
	v_lshlrev_b32_e32 v29, 24, v22
	v_bfrev_b32_e32 v30, 60
	v_and_b32_e32 v23, 0x700000, v23
	v_and_b32_e32 v29, 0x80000000, v29
	v_lshl_add_u32 v24, v24, 23, v30
	v_or3_b32 v23, v29, v24, v23
	v_lshrrev_b32_e32 v24, 16, v23
.LBB816_426:
	s_or_b64 exec, exec, s[26:27]
.LBB816_427:
	s_or_b64 exec, exec, s[24:25]
	v_mov_b32_e32 v23, v24
.LBB816_428:
	s_or_b64 exec, exec, s[14:15]
	v_lshrrev_b16_e32 v24, 8, v22
	v_cmp_ne_u16_e64 s[12:13], 0, v24
	v_mov_b32_e32 v30, 0
	v_mov_b32_e32 v29, 0
	s_and_saveexec_b64 s[14:15], s[12:13]
	s_cbranch_execz .LBB816_434
; %bb.429:
	s_movk_i32 s11, 0x80
	v_cmp_ne_u16_e64 s[12:13], s11, v24
	v_mov_b32_e32 v29, 0xffff8000
	s_and_saveexec_b64 s[24:25], s[12:13]
	s_cbranch_execz .LBB816_433
; %bb.430:
	s_movk_i32 s11, 0x7f
	v_and_b32_e32 v31, 0x7f, v24
	v_cmp_ne_u32_e64 s[12:13], s11, v31
	v_mov_b32_e32 v29, 0x7f80
	s_and_saveexec_b64 s[26:27], s[12:13]
	s_cbranch_execz .LBB816_432
; %bb.431:
	v_and_b32_e32 v29, 7, v24
	v_ffbh_u32_e32 v32, v29
	v_min_u32_e32 v35, 32, v32
	v_subrev_u32_e32 v32, 28, v35
	v_lshlrev_b64 v[32:33], v32, v[24:25]
	v_lshrrev_b32_e32 v34, 3, v31
	v_sub_u32_e32 v24, 29, v35
	v_and_b32_e32 v32, 7, v32
	v_cmp_gt_u32_e64 s[12:13], 8, v31
	v_cndmask_b32_e64 v24, v34, v24, s[12:13]
	v_cndmask_b32_e64 v29, v29, v32, s[12:13]
	v_lshlrev_b32_e32 v22, 16, v22
	v_bfrev_b32_e32 v31, 60
	v_lshlrev_b32_e32 v29, 20, v29
	v_and_b32_e32 v22, 0x80000000, v22
	v_lshl_add_u32 v24, v24, 23, v31
	v_or3_b32 v22, v22, v24, v29
	v_lshrrev_b32_e32 v29, 16, v22
.LBB816_432:
	s_or_b64 exec, exec, s[26:27]
.LBB816_433:
	s_or_b64 exec, exec, s[24:25]
.LBB816_434:
	s_or_b64 exec, exec, s[14:15]
	s_movk_i32 s11, 0xff
	v_and_b32_sdwa v24, v19, s11 dst_sel:DWORD dst_unused:UNUSED_PAD src0_sel:WORD_1 src1_sel:DWORD
	v_lshrrev_b32_e32 v22, 16, v19
	v_cmp_ne_u16_e64 s[12:13], 0, v24
	s_and_saveexec_b64 s[14:15], s[12:13]
	s_cbranch_execz .LBB816_440
; %bb.435:
	s_movk_i32 s11, 0x80
	v_cmp_ne_u16_e64 s[12:13], s11, v24
	v_mov_b32_e32 v30, 0xffff8000
	s_and_saveexec_b64 s[24:25], s[12:13]
	s_cbranch_execz .LBB816_439
; %bb.436:
	v_bfe_u32 v24, v19, 16, 7
	s_movk_i32 s11, 0x7f
	v_cmp_ne_u32_e64 s[12:13], s11, v24
	v_mov_b32_e32 v30, 0x7f80
	s_and_saveexec_b64 s[26:27], s[12:13]
	s_cbranch_execz .LBB816_438
; %bb.437:
	v_and_b32_e32 v32, 7, v22
	v_ffbh_u32_e32 v30, v32
	v_min_u32_e32 v34, 32, v30
	v_subrev_u32_e32 v30, 28, v34
	v_lshlrev_b64 v[30:31], v30, v[22:23]
	v_and_b32_e32 v30, 7, v30
	v_cmp_gt_u32_e64 s[12:13], 8, v24
	v_lshrrev_b32_e32 v33, 3, v24
	v_sub_u32_e32 v22, 29, v34
	v_cndmask_b32_e64 v24, v32, v30, s[12:13]
	v_mov_b32_e32 v30, 24
	v_cndmask_b32_e64 v22, v33, v22, s[12:13]
	v_lshlrev_b32_sdwa v30, v30, v19 dst_sel:DWORD dst_unused:UNUSED_PAD src0_sel:DWORD src1_sel:WORD_1
	v_bfrev_b32_e32 v31, 60
	v_lshlrev_b32_e32 v24, 20, v24
	v_and_b32_e32 v30, 0x80000000, v30
	v_lshl_add_u32 v22, v22, 23, v31
	v_or3_b32 v22, v30, v22, v24
	v_lshrrev_b32_e32 v30, 16, v22
.LBB816_438:
	s_or_b64 exec, exec, s[26:27]
.LBB816_439:
	s_or_b64 exec, exec, s[24:25]
.LBB816_440:
	s_or_b64 exec, exec, s[14:15]
	s_mov_b32 s12, -1
	s_mov_b32 s13, 0xffffff
	v_cmp_lt_u64_e64 s[12:13], s[12:13], v[18:19]
	v_mov_b32_e32 v24, 0
	v_mov_b32_e32 v22, 0
	s_and_saveexec_b64 s[14:15], s[12:13]
	s_cbranch_execz .LBB816_446
; %bb.441:
	v_lshrrev_b32_e32 v18, 24, v19
	s_movk_i32 s11, 0x80
	v_cmp_ne_u32_e64 s[12:13], s11, v18
	v_mov_b32_e32 v22, 0xffff8000
	s_and_saveexec_b64 s[24:25], s[12:13]
	s_cbranch_execz .LBB816_445
; %bb.442:
	v_bfe_u32 v19, v19, 24, 7
	s_movk_i32 s11, 0x7f
	v_cmp_ne_u32_e64 s[12:13], s11, v19
	v_mov_b32_e32 v22, 0x7f80
	s_and_saveexec_b64 s[26:27], s[12:13]
	s_cbranch_execz .LBB816_444
; %bb.443:
	v_and_b32_e32 v22, 7, v18
	v_ffbh_u32_e32 v32, v22
	v_min_u32_e32 v34, 32, v32
	v_subrev_u32_e32 v32, 28, v34
	v_lshlrev_b64 v[32:33], v32, v[18:19]
	v_lshrrev_b32_e32 v31, 3, v19
	v_sub_u32_e32 v33, 29, v34
	v_and_b32_e32 v32, 7, v32
	v_cmp_gt_u32_e64 s[12:13], 8, v19
	v_cndmask_b32_e64 v19, v31, v33, s[12:13]
	v_cndmask_b32_e64 v22, v22, v32, s[12:13]
	v_lshlrev_b32_e32 v18, 24, v18
	v_bfrev_b32_e32 v31, 60
	v_lshlrev_b32_e32 v22, 20, v22
	v_and_b32_e32 v18, 0x80000000, v18
	v_lshl_add_u32 v19, v19, 23, v31
	v_or3_b32 v18, v18, v19, v22
	v_lshrrev_b32_e32 v22, 16, v18
.LBB816_444:
	s_or_b64 exec, exec, s[26:27]
.LBB816_445:
	s_or_b64 exec, exec, s[24:25]
.LBB816_446:
	s_or_b64 exec, exec, s[14:15]
	s_mov_b32 s11, 0x5040100
	v_perm_b32 v19, v28, v27, s11
	v_perm_b32 v18, v25, v26, s11
	;; [unrolled: 1-line block ×4, first 2 shown]
	v_mfma_f32_4x4x4bf16_1k a[0:3], v[2:3], v[18:19], a[0:3] cbsz:4 abid:8
	v_cmp_ne_u16_sdwa s[12:13], v20, v24 src0_sel:BYTE_0 src1_sel:DWORD
	v_mfma_f32_4x4x4bf16_1k a[0:3], v[4:5], v[26:27], a[0:3] cbsz:4 abid:8
	s_and_saveexec_b64 s[14:15], s[12:13]
	s_cbranch_execz .LBB816_452
; %bb.447:
	s_movk_i32 s11, 0x80
	v_cmp_ne_u16_sdwa s[12:13], v20, s11 src0_sel:BYTE_0 src1_sel:DWORD
	v_mov_b32_e32 v24, 0xffff8000
	s_and_saveexec_b64 s[24:25], s[12:13]
	s_cbranch_execz .LBB816_451
; %bb.448:
	s_movk_i32 s11, 0x7f
	v_and_b32_e32 v18, 0x7f, v20
	v_cmp_ne_u32_e64 s[12:13], s11, v18
	v_mov_b32_e32 v24, 0x7f80
	s_and_saveexec_b64 s[26:27], s[12:13]
	s_cbranch_execz .LBB816_450
; %bb.449:
	v_and_b32_e32 v19, 7, v20
	v_ffbh_u32_e32 v19, v19
	v_min_u32_e32 v19, 32, v19
	v_subrev_u32_e32 v23, 28, v19
	v_cmp_gt_u32_e64 s[12:13], 8, v18
	v_lshrrev_b32_e32 v22, 3, v18
	v_sub_u32_e32 v19, 29, v19
	v_cndmask_b32_e64 v18, 0, v23, s[12:13]
	v_cndmask_b32_e64 v22, v22, v19, s[12:13]
	v_lshlrev_b64 v[18:19], v18, v[20:21]
	v_lshlrev_b32_e32 v18, 20, v18
	v_lshlrev_b32_e32 v19, 24, v20
	v_bfrev_b32_e32 v23, 60
	v_and_b32_e32 v18, 0x700000, v18
	v_and_b32_e32 v19, 0x80000000, v19
	v_lshl_add_u32 v22, v22, 23, v23
	v_or3_b32 v18, v19, v22, v18
	v_lshrrev_b32_e32 v24, 16, v18
.LBB816_450:
	s_or_b64 exec, exec, s[26:27]
.LBB816_451:
	s_or_b64 exec, exec, s[24:25]
.LBB816_452:
	s_or_b64 exec, exec, s[14:15]
	v_lshrrev_b16_e32 v18, 8, v20
	v_cmp_ne_u16_e64 s[12:13], 0, v18
	v_mov_b32_e32 v25, 0
	v_mov_b32_e32 v23, 0
	s_and_saveexec_b64 s[14:15], s[12:13]
	s_cbranch_execz .LBB816_458
; %bb.453:
	s_movk_i32 s11, 0x80
	v_cmp_ne_u16_e64 s[12:13], s11, v18
	v_mov_b32_e32 v23, 0xffff8000
	s_and_saveexec_b64 s[24:25], s[12:13]
	s_cbranch_execz .LBB816_457
; %bb.454:
	s_movk_i32 s11, 0x7f
	v_and_b32_e32 v19, 0x7f, v18
	v_cmp_ne_u32_e64 s[12:13], s11, v19
	v_mov_b32_e32 v23, 0x7f80
	s_and_saveexec_b64 s[26:27], s[12:13]
	s_cbranch_execz .LBB816_456
; %bb.455:
	v_and_b32_e32 v26, 7, v18
	v_ffbh_u32_e32 v22, v26
	v_min_u32_e32 v28, 32, v22
	v_subrev_u32_e32 v22, 28, v28
	v_lshlrev_b64 v[22:23], v22, v[18:19]
	v_lshrrev_b32_e32 v27, 3, v19
	v_sub_u32_e32 v18, 29, v28
	v_and_b32_e32 v22, 7, v22
	v_cmp_gt_u32_e64 s[12:13], 8, v19
	v_cndmask_b32_e64 v18, v27, v18, s[12:13]
	v_cndmask_b32_e64 v19, v26, v22, s[12:13]
	v_lshlrev_b32_e32 v22, 16, v20
	v_bfrev_b32_e32 v23, 60
	v_lshlrev_b32_e32 v19, 20, v19
	v_and_b32_e32 v22, 0x80000000, v22
	v_lshl_add_u32 v18, v18, 23, v23
	v_or3_b32 v18, v22, v18, v19
	v_lshrrev_b32_e32 v23, 16, v18
.LBB816_456:
	s_or_b64 exec, exec, s[26:27]
.LBB816_457:
	s_or_b64 exec, exec, s[24:25]
.LBB816_458:
	s_or_b64 exec, exec, s[14:15]
	s_movk_i32 s11, 0xff
	v_and_b32_sdwa v19, v20, s11 dst_sel:DWORD dst_unused:UNUSED_PAD src0_sel:WORD_1 src1_sel:DWORD
	v_lshrrev_b32_e32 v18, 16, v20
	v_cmp_ne_u16_e64 s[12:13], 0, v19
	s_and_saveexec_b64 s[14:15], s[12:13]
	s_cbranch_execz .LBB816_464
; %bb.459:
	s_movk_i32 s11, 0x80
	v_cmp_ne_u16_e64 s[12:13], s11, v19
	v_mov_b32_e32 v25, 0xffff8000
	s_and_saveexec_b64 s[24:25], s[12:13]
	s_cbranch_execz .LBB816_463
; %bb.460:
	v_bfe_u32 v19, v20, 16, 7
	s_movk_i32 s11, 0x7f
	v_cmp_ne_u32_e64 s[12:13], s11, v19
	v_mov_b32_e32 v25, 0x7f80
	s_and_saveexec_b64 s[26:27], s[12:13]
	s_cbranch_execz .LBB816_462
; %bb.461:
	v_and_b32_e32 v22, 7, v18
	v_ffbh_u32_e32 v26, v22
	v_min_u32_e32 v28, 32, v26
	v_subrev_u32_e32 v26, 28, v28
	v_lshlrev_b64 v[26:27], v26, v[18:19]
	v_and_b32_e32 v26, 7, v26
	v_cmp_gt_u32_e64 s[12:13], 8, v19
	v_lshrrev_b32_e32 v25, 3, v19
	v_sub_u32_e32 v18, 29, v28
	v_cndmask_b32_e64 v19, v22, v26, s[12:13]
	v_mov_b32_e32 v22, 24
	v_cndmask_b32_e64 v18, v25, v18, s[12:13]
	v_lshlrev_b32_sdwa v22, v22, v20 dst_sel:DWORD dst_unused:UNUSED_PAD src0_sel:DWORD src1_sel:WORD_1
	v_bfrev_b32_e32 v25, 60
	v_lshlrev_b32_e32 v19, 20, v19
	v_and_b32_e32 v22, 0x80000000, v22
	v_lshl_add_u32 v18, v18, 23, v25
	v_or3_b32 v18, v22, v18, v19
	v_lshrrev_b32_e32 v25, 16, v18
.LBB816_462:
	s_or_b64 exec, exec, s[26:27]
.LBB816_463:
	s_or_b64 exec, exec, s[24:25]
.LBB816_464:
	s_or_b64 exec, exec, s[14:15]
	s_mov_b32 s11, 0xffffff
	v_cmp_lt_u32_e64 s[12:13], s11, v20
	v_mov_b32_e32 v19, 0
	v_mov_b32_e32 v26, 0
	s_and_saveexec_b64 s[14:15], s[12:13]
	s_cbranch_execz .LBB816_470
; %bb.465:
	v_lshrrev_b32_e32 v18, 24, v20
	s_movk_i32 s11, 0x80
	v_cmp_ne_u32_e64 s[12:13], s11, v18
	v_mov_b32_e32 v26, 0xffff8000
	s_and_saveexec_b64 s[24:25], s[12:13]
	s_cbranch_execz .LBB816_469
; %bb.466:
	v_bfe_u32 v22, v20, 24, 7
	s_movk_i32 s11, 0x7f
	v_cmp_ne_u32_e64 s[12:13], s11, v22
	v_mov_b32_e32 v26, 0x7f80
	s_and_saveexec_b64 s[26:27], s[12:13]
	s_cbranch_execz .LBB816_468
; %bb.467:
	v_and_b32_e32 v28, 7, v18
	v_ffbh_u32_e32 v26, v28
	v_min_u32_e32 v30, 32, v26
	v_subrev_u32_e32 v26, 28, v30
	v_lshlrev_b64 v[26:27], v26, v[18:19]
	v_lshrrev_b32_e32 v29, 3, v22
	v_sub_u32_e32 v27, 29, v30
	v_and_b32_e32 v26, 7, v26
	v_cmp_gt_u32_e64 s[12:13], 8, v22
	v_cndmask_b32_e64 v22, v29, v27, s[12:13]
	v_cndmask_b32_e64 v26, v28, v26, s[12:13]
	v_lshlrev_b32_e32 v18, 24, v18
	v_bfrev_b32_e32 v27, 60
	v_lshlrev_b32_e32 v26, 20, v26
	v_and_b32_e32 v18, 0x80000000, v18
	v_lshl_add_u32 v22, v22, 23, v27
	v_or3_b32 v18, v18, v22, v26
	v_lshrrev_b32_e32 v26, 16, v18
.LBB816_468:
	s_or_b64 exec, exec, s[26:27]
.LBB816_469:
	s_or_b64 exec, exec, s[24:25]
.LBB816_470:
	s_or_b64 exec, exec, s[14:15]
	v_mov_b32_e32 v18, v21
	v_cmp_ne_u16_sdwa s[12:13], v21, v19 src0_sel:BYTE_0 src1_sel:DWORD
	s_and_saveexec_b64 s[14:15], s[12:13]
	s_cbranch_execz .LBB816_476
; %bb.471:
	s_movk_i32 s11, 0x80
	v_cmp_ne_u16_sdwa s[12:13], v21, s11 src0_sel:BYTE_0 src1_sel:DWORD
	v_mov_b32_e32 v22, 0xffff8000
	s_and_saveexec_b64 s[24:25], s[12:13]
	s_cbranch_execz .LBB816_475
; %bb.472:
	s_movk_i32 s11, 0x7f
	v_and_b32_e32 v27, 0x7f, v21
	v_cmp_ne_u32_e64 s[12:13], s11, v27
	v_mov_b32_e32 v22, 0x7f80
	s_and_saveexec_b64 s[26:27], s[12:13]
	s_cbranch_execz .LBB816_474
; %bb.473:
	v_and_b32_e32 v22, 7, v21
	v_ffbh_u32_e32 v22, v22
	v_min_u32_e32 v22, 32, v22
	v_subrev_u32_e32 v29, 28, v22
	v_cmp_gt_u32_e64 s[12:13], 8, v27
	v_lshrrev_b32_e32 v28, 3, v27
	v_sub_u32_e32 v22, 29, v22
	v_cndmask_b32_e64 v27, 0, v29, s[12:13]
	v_cndmask_b32_e64 v22, v28, v22, s[12:13]
	v_lshlrev_b64 v[28:29], v27, v[18:19]
	v_lshlrev_b32_e32 v19, 20, v28
	v_lshlrev_b32_e32 v27, 24, v18
	v_bfrev_b32_e32 v28, 60
	v_and_b32_e32 v19, 0x700000, v19
	v_and_b32_e32 v27, 0x80000000, v27
	v_lshl_add_u32 v22, v22, 23, v28
	v_or3_b32 v19, v27, v22, v19
	v_lshrrev_b32_e32 v22, 16, v19
.LBB816_474:
	s_or_b64 exec, exec, s[26:27]
.LBB816_475:
	s_or_b64 exec, exec, s[24:25]
	v_mov_b32_e32 v19, v22
.LBB816_476:
	s_or_b64 exec, exec, s[14:15]
	v_lshrrev_b16_e32 v22, 8, v18
	v_cmp_ne_u16_e64 s[12:13], 0, v22
	v_mov_b32_e32 v28, 0
	v_mov_b32_e32 v27, 0
	s_and_saveexec_b64 s[14:15], s[12:13]
	s_cbranch_execz .LBB816_482
; %bb.477:
	s_movk_i32 s11, 0x80
	v_cmp_ne_u16_e64 s[12:13], s11, v22
	v_mov_b32_e32 v27, 0xffff8000
	s_and_saveexec_b64 s[24:25], s[12:13]
	s_cbranch_execz .LBB816_481
; %bb.478:
	s_movk_i32 s11, 0x7f
	v_and_b32_e32 v29, 0x7f, v22
	v_cmp_ne_u32_e64 s[12:13], s11, v29
	v_mov_b32_e32 v27, 0x7f80
	s_and_saveexec_b64 s[26:27], s[12:13]
	s_cbranch_execz .LBB816_480
; %bb.479:
	v_and_b32_e32 v27, 7, v22
	v_ffbh_u32_e32 v30, v27
	v_min_u32_e32 v33, 32, v30
	v_subrev_u32_e32 v30, 28, v33
	v_lshlrev_b64 v[30:31], v30, v[22:23]
	v_lshrrev_b32_e32 v32, 3, v29
	v_sub_u32_e32 v22, 29, v33
	v_and_b32_e32 v30, 7, v30
	v_cmp_gt_u32_e64 s[12:13], 8, v29
	v_cndmask_b32_e64 v22, v32, v22, s[12:13]
	v_cndmask_b32_e64 v27, v27, v30, s[12:13]
	v_lshlrev_b32_e32 v18, 16, v18
	v_bfrev_b32_e32 v29, 60
	v_lshlrev_b32_e32 v27, 20, v27
	v_and_b32_e32 v18, 0x80000000, v18
	v_lshl_add_u32 v22, v22, 23, v29
	v_or3_b32 v18, v18, v22, v27
	v_lshrrev_b32_e32 v27, 16, v18
.LBB816_480:
	s_or_b64 exec, exec, s[26:27]
.LBB816_481:
	s_or_b64 exec, exec, s[24:25]
.LBB816_482:
	s_or_b64 exec, exec, s[14:15]
	s_movk_i32 s11, 0xff
	v_and_b32_sdwa v22, v21, s11 dst_sel:DWORD dst_unused:UNUSED_PAD src0_sel:WORD_1 src1_sel:DWORD
	v_lshrrev_b32_e32 v18, 16, v21
	v_cmp_ne_u16_e64 s[12:13], 0, v22
	s_and_saveexec_b64 s[14:15], s[12:13]
	s_cbranch_execz .LBB816_488
; %bb.483:
	s_movk_i32 s11, 0x80
	v_cmp_ne_u16_e64 s[12:13], s11, v22
	v_mov_b32_e32 v28, 0xffff8000
	s_and_saveexec_b64 s[24:25], s[12:13]
	s_cbranch_execz .LBB816_487
; %bb.484:
	v_bfe_u32 v22, v21, 16, 7
	s_movk_i32 s11, 0x7f
	v_cmp_ne_u32_e64 s[12:13], s11, v22
	v_mov_b32_e32 v28, 0x7f80
	s_and_saveexec_b64 s[26:27], s[12:13]
	s_cbranch_execz .LBB816_486
; %bb.485:
	v_and_b32_e32 v30, 7, v18
	v_ffbh_u32_e32 v28, v30
	v_min_u32_e32 v32, 32, v28
	v_subrev_u32_e32 v28, 28, v32
	v_lshlrev_b64 v[28:29], v28, v[18:19]
	v_and_b32_e32 v28, 7, v28
	v_cmp_gt_u32_e64 s[12:13], 8, v22
	v_lshrrev_b32_e32 v31, 3, v22
	v_sub_u32_e32 v18, 29, v32
	v_cndmask_b32_e64 v22, v30, v28, s[12:13]
	v_mov_b32_e32 v28, 24
	v_cndmask_b32_e64 v18, v31, v18, s[12:13]
	v_lshlrev_b32_sdwa v28, v28, v21 dst_sel:DWORD dst_unused:UNUSED_PAD src0_sel:DWORD src1_sel:WORD_1
	v_bfrev_b32_e32 v29, 60
	v_lshlrev_b32_e32 v22, 20, v22
	v_and_b32_e32 v28, 0x80000000, v28
	v_lshl_add_u32 v18, v18, 23, v29
	v_or3_b32 v18, v28, v18, v22
	v_lshrrev_b32_e32 v28, 16, v18
.LBB816_486:
	s_or_b64 exec, exec, s[26:27]
.LBB816_487:
	s_or_b64 exec, exec, s[24:25]
.LBB816_488:
	s_or_b64 exec, exec, s[14:15]
	s_mov_b32 s12, -1
	s_mov_b32 s13, 0xffffff
	v_cmp_lt_u64_e64 s[12:13], s[12:13], v[20:21]
	v_mov_b32_e32 v22, 0
	v_mov_b32_e32 v20, 0
	s_and_saveexec_b64 s[14:15], s[12:13]
	s_cbranch_execz .LBB816_494
; %bb.489:
	v_lshrrev_b32_e32 v18, 24, v21
	s_movk_i32 s11, 0x80
	v_cmp_ne_u32_e64 s[12:13], s11, v18
	v_mov_b32_e32 v20, 0xffff8000
	s_and_saveexec_b64 s[24:25], s[12:13]
	s_cbranch_execz .LBB816_493
; %bb.490:
	v_bfe_u32 v21, v21, 24, 7
	s_movk_i32 s11, 0x7f
	v_cmp_ne_u32_e64 s[12:13], s11, v21
	v_mov_b32_e32 v20, 0x7f80
	s_and_saveexec_b64 s[26:27], s[12:13]
	s_cbranch_execz .LBB816_492
; %bb.491:
	v_and_b32_e32 v20, 7, v18
	v_ffbh_u32_e32 v30, v20
	v_min_u32_e32 v32, 32, v30
	v_subrev_u32_e32 v30, 28, v32
	v_lshlrev_b64 v[30:31], v30, v[18:19]
	v_lshrrev_b32_e32 v29, 3, v21
	v_sub_u32_e32 v31, 29, v32
	v_and_b32_e32 v30, 7, v30
	v_cmp_gt_u32_e64 s[12:13], 8, v21
	v_cndmask_b32_e64 v21, v29, v31, s[12:13]
	v_cndmask_b32_e64 v20, v20, v30, s[12:13]
	v_lshlrev_b32_e32 v18, 24, v18
	v_bfrev_b32_e32 v29, 60
	v_lshlrev_b32_e32 v20, 20, v20
	v_and_b32_e32 v18, 0x80000000, v18
	v_lshl_add_u32 v21, v21, 23, v29
	v_or3_b32 v18, v18, v21, v20
	v_lshrrev_b32_e32 v20, 16, v18
.LBB816_492:
	s_or_b64 exec, exec, s[26:27]
.LBB816_493:
	s_or_b64 exec, exec, s[24:25]
.LBB816_494:
	s_or_b64 exec, exec, s[14:15]
	s_mov_b32 s11, 0x5040100
	v_perm_b32 v25, v26, v25, s11
	v_perm_b32 v24, v23, v24, s11
	;; [unrolled: 1-line block ×4, first 2 shown]
	v_mfma_f32_4x4x4bf16_1k a[0:3], v[2:3], v[24:25], a[0:3] cbsz:4 abid:9
	s_waitcnt vmcnt(30)
	v_cmp_ne_u16_sdwa s[12:13], v14, v22 src0_sel:BYTE_0 src1_sel:DWORD
	v_mfma_f32_4x4x4bf16_1k a[0:3], v[4:5], v[20:21], a[0:3] cbsz:4 abid:9
	s_and_saveexec_b64 s[14:15], s[12:13]
	s_cbranch_execz .LBB816_500
; %bb.495:
	s_movk_i32 s11, 0x80
	v_cmp_ne_u16_sdwa s[12:13], v14, s11 src0_sel:BYTE_0 src1_sel:DWORD
	v_mov_b32_e32 v22, 0xffff8000
	s_and_saveexec_b64 s[24:25], s[12:13]
	s_cbranch_execz .LBB816_499
; %bb.496:
	s_movk_i32 s11, 0x7f
	v_and_b32_e32 v18, 0x7f, v14
	v_cmp_ne_u32_e64 s[12:13], s11, v18
	v_mov_b32_e32 v22, 0x7f80
	s_and_saveexec_b64 s[26:27], s[12:13]
	s_cbranch_execz .LBB816_498
; %bb.497:
	v_and_b32_e32 v19, 7, v14
	v_ffbh_u32_e32 v19, v19
	v_min_u32_e32 v19, 32, v19
	v_subrev_u32_e32 v21, 28, v19
	v_cmp_gt_u32_e64 s[12:13], 8, v18
	v_lshrrev_b32_e32 v20, 3, v18
	v_sub_u32_e32 v19, 29, v19
	v_cndmask_b32_e64 v18, 0, v21, s[12:13]
	v_cndmask_b32_e64 v20, v20, v19, s[12:13]
	v_lshlrev_b64 v[18:19], v18, v[14:15]
	v_lshlrev_b32_e32 v18, 20, v18
	v_lshlrev_b32_e32 v19, 24, v14
	v_bfrev_b32_e32 v21, 60
	v_and_b32_e32 v18, 0x700000, v18
	v_and_b32_e32 v19, 0x80000000, v19
	v_lshl_add_u32 v20, v20, 23, v21
	v_or3_b32 v18, v19, v20, v18
	v_lshrrev_b32_e32 v22, 16, v18
.LBB816_498:
	s_or_b64 exec, exec, s[26:27]
.LBB816_499:
	s_or_b64 exec, exec, s[24:25]
.LBB816_500:
	s_or_b64 exec, exec, s[14:15]
	v_lshrrev_b16_e32 v18, 8, v14
	v_cmp_ne_u16_e64 s[12:13], 0, v18
	v_mov_b32_e32 v23, 0
	v_mov_b32_e32 v21, 0
	s_and_saveexec_b64 s[14:15], s[12:13]
	s_cbranch_execz .LBB816_506
; %bb.501:
	s_movk_i32 s11, 0x80
	v_cmp_ne_u16_e64 s[12:13], s11, v18
	v_mov_b32_e32 v21, 0xffff8000
	s_and_saveexec_b64 s[24:25], s[12:13]
	s_cbranch_execz .LBB816_505
; %bb.502:
	s_movk_i32 s11, 0x7f
	v_and_b32_e32 v19, 0x7f, v18
	v_cmp_ne_u32_e64 s[12:13], s11, v19
	v_mov_b32_e32 v21, 0x7f80
	s_and_saveexec_b64 s[26:27], s[12:13]
	s_cbranch_execz .LBB816_504
; %bb.503:
	v_and_b32_e32 v24, 7, v18
	v_ffbh_u32_e32 v20, v24
	v_min_u32_e32 v26, 32, v20
	v_subrev_u32_e32 v20, 28, v26
	v_lshlrev_b64 v[20:21], v20, v[18:19]
	v_lshrrev_b32_e32 v25, 3, v19
	v_sub_u32_e32 v18, 29, v26
	v_and_b32_e32 v20, 7, v20
	v_cmp_gt_u32_e64 s[12:13], 8, v19
	v_cndmask_b32_e64 v18, v25, v18, s[12:13]
	v_cndmask_b32_e64 v19, v24, v20, s[12:13]
	v_lshlrev_b32_e32 v20, 16, v14
	v_bfrev_b32_e32 v21, 60
	v_lshlrev_b32_e32 v19, 20, v19
	v_and_b32_e32 v20, 0x80000000, v20
	v_lshl_add_u32 v18, v18, 23, v21
	v_or3_b32 v18, v20, v18, v19
	v_lshrrev_b32_e32 v21, 16, v18
.LBB816_504:
	s_or_b64 exec, exec, s[26:27]
.LBB816_505:
	s_or_b64 exec, exec, s[24:25]
.LBB816_506:
	s_or_b64 exec, exec, s[14:15]
	s_movk_i32 s11, 0xff
	v_and_b32_sdwa v19, v14, s11 dst_sel:DWORD dst_unused:UNUSED_PAD src0_sel:WORD_1 src1_sel:DWORD
	v_lshrrev_b32_e32 v18, 16, v14
	v_cmp_ne_u16_e64 s[12:13], 0, v19
	s_and_saveexec_b64 s[14:15], s[12:13]
	s_cbranch_execz .LBB816_512
; %bb.507:
	s_movk_i32 s11, 0x80
	v_cmp_ne_u16_e64 s[12:13], s11, v19
	v_mov_b32_e32 v23, 0xffff8000
	s_and_saveexec_b64 s[24:25], s[12:13]
	s_cbranch_execz .LBB816_511
; %bb.508:
	v_bfe_u32 v19, v14, 16, 7
	s_movk_i32 s11, 0x7f
	v_cmp_ne_u32_e64 s[12:13], s11, v19
	v_mov_b32_e32 v23, 0x7f80
	s_and_saveexec_b64 s[26:27], s[12:13]
	s_cbranch_execz .LBB816_510
; %bb.509:
	v_and_b32_e32 v20, 7, v18
	v_ffbh_u32_e32 v24, v20
	v_min_u32_e32 v26, 32, v24
	v_subrev_u32_e32 v24, 28, v26
	v_lshlrev_b64 v[24:25], v24, v[18:19]
	v_and_b32_e32 v24, 7, v24
	v_cmp_gt_u32_e64 s[12:13], 8, v19
	v_lshrrev_b32_e32 v23, 3, v19
	v_sub_u32_e32 v18, 29, v26
	v_cndmask_b32_e64 v19, v20, v24, s[12:13]
	v_mov_b32_e32 v20, 24
	v_cndmask_b32_e64 v18, v23, v18, s[12:13]
	v_lshlrev_b32_sdwa v20, v20, v14 dst_sel:DWORD dst_unused:UNUSED_PAD src0_sel:DWORD src1_sel:WORD_1
	v_bfrev_b32_e32 v23, 60
	v_lshlrev_b32_e32 v19, 20, v19
	v_and_b32_e32 v20, 0x80000000, v20
	v_lshl_add_u32 v18, v18, 23, v23
	v_or3_b32 v18, v20, v18, v19
	v_lshrrev_b32_e32 v23, 16, v18
.LBB816_510:
	s_or_b64 exec, exec, s[26:27]
.LBB816_511:
	s_or_b64 exec, exec, s[24:25]
.LBB816_512:
	s_or_b64 exec, exec, s[14:15]
	s_mov_b32 s11, 0xffffff
	v_cmp_lt_u32_e64 s[12:13], s11, v14
	v_mov_b32_e32 v19, 0
	v_mov_b32_e32 v24, 0
	s_and_saveexec_b64 s[14:15], s[12:13]
	s_cbranch_execz .LBB816_518
; %bb.513:
	v_lshrrev_b32_e32 v18, 24, v14
	s_movk_i32 s11, 0x80
	v_cmp_ne_u32_e64 s[12:13], s11, v18
	v_mov_b32_e32 v24, 0xffff8000
	s_and_saveexec_b64 s[24:25], s[12:13]
	s_cbranch_execz .LBB816_517
; %bb.514:
	v_bfe_u32 v20, v14, 24, 7
	s_movk_i32 s11, 0x7f
	v_cmp_ne_u32_e64 s[12:13], s11, v20
	v_mov_b32_e32 v24, 0x7f80
	s_and_saveexec_b64 s[26:27], s[12:13]
	s_cbranch_execz .LBB816_516
; %bb.515:
	v_and_b32_e32 v26, 7, v18
	v_ffbh_u32_e32 v24, v26
	v_min_u32_e32 v28, 32, v24
	v_subrev_u32_e32 v24, 28, v28
	v_lshlrev_b64 v[24:25], v24, v[18:19]
	v_lshrrev_b32_e32 v27, 3, v20
	v_sub_u32_e32 v25, 29, v28
	v_and_b32_e32 v24, 7, v24
	v_cmp_gt_u32_e64 s[12:13], 8, v20
	v_cndmask_b32_e64 v20, v27, v25, s[12:13]
	v_cndmask_b32_e64 v24, v26, v24, s[12:13]
	v_lshlrev_b32_e32 v18, 24, v18
	v_bfrev_b32_e32 v25, 60
	v_lshlrev_b32_e32 v24, 20, v24
	v_and_b32_e32 v18, 0x80000000, v18
	v_lshl_add_u32 v20, v20, 23, v25
	v_or3_b32 v18, v18, v20, v24
	v_lshrrev_b32_e32 v24, 16, v18
.LBB816_516:
	s_or_b64 exec, exec, s[26:27]
.LBB816_517:
	s_or_b64 exec, exec, s[24:25]
.LBB816_518:
	s_or_b64 exec, exec, s[14:15]
	v_mov_b32_e32 v18, v15
	v_cmp_ne_u16_sdwa s[12:13], v15, v19 src0_sel:BYTE_0 src1_sel:DWORD
	s_and_saveexec_b64 s[14:15], s[12:13]
	s_cbranch_execz .LBB816_524
; %bb.519:
	s_movk_i32 s11, 0x80
	v_cmp_ne_u16_sdwa s[12:13], v15, s11 src0_sel:BYTE_0 src1_sel:DWORD
	v_mov_b32_e32 v20, 0xffff8000
	s_and_saveexec_b64 s[24:25], s[12:13]
	s_cbranch_execz .LBB816_523
; %bb.520:
	s_movk_i32 s11, 0x7f
	v_and_b32_e32 v25, 0x7f, v15
	v_cmp_ne_u32_e64 s[12:13], s11, v25
	v_mov_b32_e32 v20, 0x7f80
	s_and_saveexec_b64 s[26:27], s[12:13]
	s_cbranch_execz .LBB816_522
; %bb.521:
	v_and_b32_e32 v20, 7, v15
	v_ffbh_u32_e32 v20, v20
	v_min_u32_e32 v20, 32, v20
	v_subrev_u32_e32 v27, 28, v20
	v_cmp_gt_u32_e64 s[12:13], 8, v25
	v_lshrrev_b32_e32 v26, 3, v25
	v_sub_u32_e32 v20, 29, v20
	v_cndmask_b32_e64 v25, 0, v27, s[12:13]
	v_cndmask_b32_e64 v20, v26, v20, s[12:13]
	v_lshlrev_b64 v[26:27], v25, v[18:19]
	v_lshlrev_b32_e32 v19, 20, v26
	v_lshlrev_b32_e32 v25, 24, v18
	v_bfrev_b32_e32 v26, 60
	v_and_b32_e32 v19, 0x700000, v19
	v_and_b32_e32 v25, 0x80000000, v25
	v_lshl_add_u32 v20, v20, 23, v26
	v_or3_b32 v19, v25, v20, v19
	v_lshrrev_b32_e32 v20, 16, v19
.LBB816_522:
	s_or_b64 exec, exec, s[26:27]
.LBB816_523:
	s_or_b64 exec, exec, s[24:25]
	v_mov_b32_e32 v19, v20
.LBB816_524:
	s_or_b64 exec, exec, s[14:15]
	v_lshrrev_b16_e32 v20, 8, v18
	v_cmp_ne_u16_e64 s[12:13], 0, v20
	v_mov_b32_e32 v26, 0
	v_mov_b32_e32 v25, 0
	s_and_saveexec_b64 s[14:15], s[12:13]
	s_cbranch_execz .LBB816_530
; %bb.525:
	s_movk_i32 s11, 0x80
	v_cmp_ne_u16_e64 s[12:13], s11, v20
	v_mov_b32_e32 v25, 0xffff8000
	s_and_saveexec_b64 s[24:25], s[12:13]
	s_cbranch_execz .LBB816_529
; %bb.526:
	s_movk_i32 s11, 0x7f
	v_and_b32_e32 v27, 0x7f, v20
	v_cmp_ne_u32_e64 s[12:13], s11, v27
	v_mov_b32_e32 v25, 0x7f80
	s_and_saveexec_b64 s[26:27], s[12:13]
	s_cbranch_execz .LBB816_528
; %bb.527:
	v_and_b32_e32 v25, 7, v20
	v_ffbh_u32_e32 v28, v25
	v_min_u32_e32 v31, 32, v28
	v_subrev_u32_e32 v28, 28, v31
	v_lshlrev_b64 v[28:29], v28, v[20:21]
	v_lshrrev_b32_e32 v30, 3, v27
	v_sub_u32_e32 v20, 29, v31
	v_and_b32_e32 v28, 7, v28
	v_cmp_gt_u32_e64 s[12:13], 8, v27
	v_cndmask_b32_e64 v20, v30, v20, s[12:13]
	v_cndmask_b32_e64 v25, v25, v28, s[12:13]
	v_lshlrev_b32_e32 v18, 16, v18
	v_bfrev_b32_e32 v27, 60
	v_lshlrev_b32_e32 v25, 20, v25
	v_and_b32_e32 v18, 0x80000000, v18
	v_lshl_add_u32 v20, v20, 23, v27
	v_or3_b32 v18, v18, v20, v25
	v_lshrrev_b32_e32 v25, 16, v18
.LBB816_528:
	s_or_b64 exec, exec, s[26:27]
.LBB816_529:
	s_or_b64 exec, exec, s[24:25]
.LBB816_530:
	s_or_b64 exec, exec, s[14:15]
	s_movk_i32 s11, 0xff
	v_and_b32_sdwa v20, v15, s11 dst_sel:DWORD dst_unused:UNUSED_PAD src0_sel:WORD_1 src1_sel:DWORD
	v_lshrrev_b32_e32 v18, 16, v15
	v_cmp_ne_u16_e64 s[12:13], 0, v20
	s_and_saveexec_b64 s[14:15], s[12:13]
	s_cbranch_execz .LBB816_536
; %bb.531:
	s_movk_i32 s11, 0x80
	v_cmp_ne_u16_e64 s[12:13], s11, v20
	v_mov_b32_e32 v26, 0xffff8000
	s_and_saveexec_b64 s[24:25], s[12:13]
	s_cbranch_execz .LBB816_535
; %bb.532:
	v_bfe_u32 v20, v15, 16, 7
	s_movk_i32 s11, 0x7f
	v_cmp_ne_u32_e64 s[12:13], s11, v20
	v_mov_b32_e32 v26, 0x7f80
	s_and_saveexec_b64 s[26:27], s[12:13]
	s_cbranch_execz .LBB816_534
; %bb.533:
	v_and_b32_e32 v28, 7, v18
	v_ffbh_u32_e32 v26, v28
	v_min_u32_e32 v30, 32, v26
	v_subrev_u32_e32 v26, 28, v30
	v_lshlrev_b64 v[26:27], v26, v[18:19]
	v_and_b32_e32 v26, 7, v26
	v_cmp_gt_u32_e64 s[12:13], 8, v20
	v_lshrrev_b32_e32 v29, 3, v20
	v_sub_u32_e32 v18, 29, v30
	v_cndmask_b32_e64 v20, v28, v26, s[12:13]
	v_mov_b32_e32 v26, 24
	v_cndmask_b32_e64 v18, v29, v18, s[12:13]
	v_lshlrev_b32_sdwa v26, v26, v15 dst_sel:DWORD dst_unused:UNUSED_PAD src0_sel:DWORD src1_sel:WORD_1
	v_bfrev_b32_e32 v27, 60
	v_lshlrev_b32_e32 v20, 20, v20
	v_and_b32_e32 v26, 0x80000000, v26
	v_lshl_add_u32 v18, v18, 23, v27
	v_or3_b32 v18, v26, v18, v20
	v_lshrrev_b32_e32 v26, 16, v18
.LBB816_534:
	s_or_b64 exec, exec, s[26:27]
.LBB816_535:
	s_or_b64 exec, exec, s[24:25]
.LBB816_536:
	s_or_b64 exec, exec, s[14:15]
	s_mov_b32 s12, -1
	s_mov_b32 s13, 0xffffff
	v_cmp_lt_u64_e64 s[12:13], s[12:13], v[14:15]
	v_mov_b32_e32 v20, 0
	v_mov_b32_e32 v18, 0
	s_and_saveexec_b64 s[14:15], s[12:13]
	s_cbranch_execz .LBB816_542
; %bb.537:
	v_lshrrev_b32_e32 v14, 24, v15
	s_movk_i32 s11, 0x80
	v_cmp_ne_u32_e64 s[12:13], s11, v14
	v_mov_b32_e32 v18, 0xffff8000
	s_and_saveexec_b64 s[24:25], s[12:13]
	s_cbranch_execz .LBB816_541
; %bb.538:
	v_bfe_u32 v15, v15, 24, 7
	s_movk_i32 s11, 0x7f
	v_cmp_ne_u32_e64 s[12:13], s11, v15
	v_mov_b32_e32 v18, 0x7f80
	s_and_saveexec_b64 s[26:27], s[12:13]
	s_cbranch_execz .LBB816_540
; %bb.539:
	v_and_b32_e32 v18, 7, v14
	v_ffbh_u32_e32 v28, v18
	v_min_u32_e32 v30, 32, v28
	v_subrev_u32_e32 v28, 28, v30
	v_lshlrev_b64 v[28:29], v28, v[14:15]
	v_lshrrev_b32_e32 v27, 3, v15
	v_sub_u32_e32 v29, 29, v30
	v_and_b32_e32 v28, 7, v28
	v_cmp_gt_u32_e64 s[12:13], 8, v15
	v_cndmask_b32_e64 v15, v27, v29, s[12:13]
	v_cndmask_b32_e64 v18, v18, v28, s[12:13]
	v_lshlrev_b32_e32 v14, 24, v14
	v_bfrev_b32_e32 v27, 60
	v_lshlrev_b32_e32 v18, 20, v18
	v_and_b32_e32 v14, 0x80000000, v14
	v_lshl_add_u32 v15, v15, 23, v27
	v_or3_b32 v14, v14, v15, v18
	v_lshrrev_b32_e32 v18, 16, v14
.LBB816_540:
	s_or_b64 exec, exec, s[26:27]
.LBB816_541:
	s_or_b64 exec, exec, s[24:25]
.LBB816_542:
	s_or_b64 exec, exec, s[14:15]
	s_mov_b32 s11, 0x5040100
	v_perm_b32 v15, v24, v23, s11
	v_perm_b32 v14, v21, v22, s11
	;; [unrolled: 1-line block ×4, first 2 shown]
	v_mfma_f32_4x4x4bf16_1k a[0:3], v[2:3], v[14:15], a[0:3] cbsz:4 abid:10
	v_cmp_ne_u16_sdwa s[12:13], v16, v20 src0_sel:BYTE_0 src1_sel:DWORD
	v_mfma_f32_4x4x4bf16_1k a[0:3], v[4:5], v[22:23], a[0:3] cbsz:4 abid:10
	s_and_saveexec_b64 s[14:15], s[12:13]
	s_cbranch_execz .LBB816_548
; %bb.543:
	s_movk_i32 s11, 0x80
	v_cmp_ne_u16_sdwa s[12:13], v16, s11 src0_sel:BYTE_0 src1_sel:DWORD
	v_mov_b32_e32 v20, 0xffff8000
	s_and_saveexec_b64 s[24:25], s[12:13]
	s_cbranch_execz .LBB816_547
; %bb.544:
	s_movk_i32 s11, 0x7f
	v_and_b32_e32 v14, 0x7f, v16
	v_cmp_ne_u32_e64 s[12:13], s11, v14
	v_mov_b32_e32 v20, 0x7f80
	s_and_saveexec_b64 s[26:27], s[12:13]
	s_cbranch_execz .LBB816_546
; %bb.545:
	v_and_b32_e32 v15, 7, v16
	v_ffbh_u32_e32 v15, v15
	v_min_u32_e32 v15, 32, v15
	v_subrev_u32_e32 v19, 28, v15
	v_cmp_gt_u32_e64 s[12:13], 8, v14
	v_lshrrev_b32_e32 v18, 3, v14
	v_sub_u32_e32 v15, 29, v15
	v_cndmask_b32_e64 v14, 0, v19, s[12:13]
	v_cndmask_b32_e64 v18, v18, v15, s[12:13]
	v_lshlrev_b64 v[14:15], v14, v[16:17]
	v_lshlrev_b32_e32 v14, 20, v14
	v_lshlrev_b32_e32 v15, 24, v16
	v_bfrev_b32_e32 v19, 60
	v_and_b32_e32 v14, 0x700000, v14
	v_and_b32_e32 v15, 0x80000000, v15
	v_lshl_add_u32 v18, v18, 23, v19
	v_or3_b32 v14, v15, v18, v14
	v_lshrrev_b32_e32 v20, 16, v14
.LBB816_546:
	s_or_b64 exec, exec, s[26:27]
.LBB816_547:
	s_or_b64 exec, exec, s[24:25]
.LBB816_548:
	s_or_b64 exec, exec, s[14:15]
	v_lshrrev_b16_e32 v14, 8, v16
	v_cmp_ne_u16_e64 s[12:13], 0, v14
	v_mov_b32_e32 v21, 0
	v_mov_b32_e32 v19, 0
	s_and_saveexec_b64 s[14:15], s[12:13]
	s_cbranch_execz .LBB816_554
; %bb.549:
	s_movk_i32 s11, 0x80
	v_cmp_ne_u16_e64 s[12:13], s11, v14
	v_mov_b32_e32 v19, 0xffff8000
	s_and_saveexec_b64 s[24:25], s[12:13]
	s_cbranch_execz .LBB816_553
; %bb.550:
	s_movk_i32 s11, 0x7f
	v_and_b32_e32 v15, 0x7f, v14
	v_cmp_ne_u32_e64 s[12:13], s11, v15
	v_mov_b32_e32 v19, 0x7f80
	s_and_saveexec_b64 s[26:27], s[12:13]
	s_cbranch_execz .LBB816_552
; %bb.551:
	v_and_b32_e32 v22, 7, v14
	v_ffbh_u32_e32 v18, v22
	v_min_u32_e32 v24, 32, v18
	v_subrev_u32_e32 v18, 28, v24
	v_lshlrev_b64 v[18:19], v18, v[14:15]
	v_lshrrev_b32_e32 v23, 3, v15
	v_sub_u32_e32 v14, 29, v24
	v_and_b32_e32 v18, 7, v18
	v_cmp_gt_u32_e64 s[12:13], 8, v15
	v_cndmask_b32_e64 v14, v23, v14, s[12:13]
	v_cndmask_b32_e64 v15, v22, v18, s[12:13]
	v_lshlrev_b32_e32 v18, 16, v16
	v_bfrev_b32_e32 v19, 60
	v_lshlrev_b32_e32 v15, 20, v15
	v_and_b32_e32 v18, 0x80000000, v18
	v_lshl_add_u32 v14, v14, 23, v19
	v_or3_b32 v14, v18, v14, v15
	v_lshrrev_b32_e32 v19, 16, v14
.LBB816_552:
	s_or_b64 exec, exec, s[26:27]
.LBB816_553:
	s_or_b64 exec, exec, s[24:25]
.LBB816_554:
	s_or_b64 exec, exec, s[14:15]
	s_movk_i32 s11, 0xff
	v_and_b32_sdwa v15, v16, s11 dst_sel:DWORD dst_unused:UNUSED_PAD src0_sel:WORD_1 src1_sel:DWORD
	v_lshrrev_b32_e32 v14, 16, v16
	v_cmp_ne_u16_e64 s[12:13], 0, v15
	s_and_saveexec_b64 s[14:15], s[12:13]
	s_cbranch_execz .LBB816_560
; %bb.555:
	s_movk_i32 s11, 0x80
	v_cmp_ne_u16_e64 s[12:13], s11, v15
	v_mov_b32_e32 v21, 0xffff8000
	s_and_saveexec_b64 s[24:25], s[12:13]
	s_cbranch_execz .LBB816_559
; %bb.556:
	v_bfe_u32 v15, v16, 16, 7
	s_movk_i32 s11, 0x7f
	v_cmp_ne_u32_e64 s[12:13], s11, v15
	v_mov_b32_e32 v21, 0x7f80
	s_and_saveexec_b64 s[26:27], s[12:13]
	s_cbranch_execz .LBB816_558
; %bb.557:
	v_and_b32_e32 v18, 7, v14
	v_ffbh_u32_e32 v22, v18
	v_min_u32_e32 v24, 32, v22
	v_subrev_u32_e32 v22, 28, v24
	v_lshlrev_b64 v[22:23], v22, v[14:15]
	v_and_b32_e32 v22, 7, v22
	v_cmp_gt_u32_e64 s[12:13], 8, v15
	v_lshrrev_b32_e32 v21, 3, v15
	v_sub_u32_e32 v14, 29, v24
	v_cndmask_b32_e64 v15, v18, v22, s[12:13]
	v_mov_b32_e32 v18, 24
	v_cndmask_b32_e64 v14, v21, v14, s[12:13]
	v_lshlrev_b32_sdwa v18, v18, v16 dst_sel:DWORD dst_unused:UNUSED_PAD src0_sel:DWORD src1_sel:WORD_1
	v_bfrev_b32_e32 v21, 60
	v_lshlrev_b32_e32 v15, 20, v15
	v_and_b32_e32 v18, 0x80000000, v18
	v_lshl_add_u32 v14, v14, 23, v21
	v_or3_b32 v14, v18, v14, v15
	v_lshrrev_b32_e32 v21, 16, v14
.LBB816_558:
	s_or_b64 exec, exec, s[26:27]
.LBB816_559:
	s_or_b64 exec, exec, s[24:25]
.LBB816_560:
	s_or_b64 exec, exec, s[14:15]
	s_mov_b32 s11, 0xffffff
	v_cmp_lt_u32_e64 s[12:13], s11, v16
	v_mov_b32_e32 v15, 0
	v_mov_b32_e32 v22, 0
	s_and_saveexec_b64 s[14:15], s[12:13]
	s_cbranch_execz .LBB816_566
; %bb.561:
	v_lshrrev_b32_e32 v14, 24, v16
	s_movk_i32 s11, 0x80
	v_cmp_ne_u32_e64 s[12:13], s11, v14
	v_mov_b32_e32 v22, 0xffff8000
	s_and_saveexec_b64 s[24:25], s[12:13]
	s_cbranch_execz .LBB816_565
; %bb.562:
	v_bfe_u32 v18, v16, 24, 7
	s_movk_i32 s11, 0x7f
	v_cmp_ne_u32_e64 s[12:13], s11, v18
	v_mov_b32_e32 v22, 0x7f80
	s_and_saveexec_b64 s[26:27], s[12:13]
	s_cbranch_execz .LBB816_564
; %bb.563:
	v_and_b32_e32 v24, 7, v14
	v_ffbh_u32_e32 v22, v24
	v_min_u32_e32 v26, 32, v22
	v_subrev_u32_e32 v22, 28, v26
	v_lshlrev_b64 v[22:23], v22, v[14:15]
	v_lshrrev_b32_e32 v25, 3, v18
	v_sub_u32_e32 v23, 29, v26
	v_and_b32_e32 v22, 7, v22
	v_cmp_gt_u32_e64 s[12:13], 8, v18
	v_cndmask_b32_e64 v18, v25, v23, s[12:13]
	v_cndmask_b32_e64 v22, v24, v22, s[12:13]
	v_lshlrev_b32_e32 v14, 24, v14
	v_bfrev_b32_e32 v23, 60
	v_lshlrev_b32_e32 v22, 20, v22
	v_and_b32_e32 v14, 0x80000000, v14
	v_lshl_add_u32 v18, v18, 23, v23
	v_or3_b32 v14, v14, v18, v22
	v_lshrrev_b32_e32 v22, 16, v14
.LBB816_564:
	s_or_b64 exec, exec, s[26:27]
.LBB816_565:
	s_or_b64 exec, exec, s[24:25]
.LBB816_566:
	s_or_b64 exec, exec, s[14:15]
	v_mov_b32_e32 v14, v17
	v_cmp_ne_u16_sdwa s[12:13], v17, v15 src0_sel:BYTE_0 src1_sel:DWORD
	s_and_saveexec_b64 s[14:15], s[12:13]
	s_cbranch_execz .LBB816_572
; %bb.567:
	s_movk_i32 s11, 0x80
	v_cmp_ne_u16_sdwa s[12:13], v17, s11 src0_sel:BYTE_0 src1_sel:DWORD
	v_mov_b32_e32 v18, 0xffff8000
	s_and_saveexec_b64 s[24:25], s[12:13]
	s_cbranch_execz .LBB816_571
; %bb.568:
	s_movk_i32 s11, 0x7f
	v_and_b32_e32 v23, 0x7f, v17
	v_cmp_ne_u32_e64 s[12:13], s11, v23
	v_mov_b32_e32 v18, 0x7f80
	s_and_saveexec_b64 s[26:27], s[12:13]
	s_cbranch_execz .LBB816_570
; %bb.569:
	v_and_b32_e32 v18, 7, v17
	v_ffbh_u32_e32 v18, v18
	v_min_u32_e32 v18, 32, v18
	v_subrev_u32_e32 v25, 28, v18
	v_cmp_gt_u32_e64 s[12:13], 8, v23
	v_lshrrev_b32_e32 v24, 3, v23
	v_sub_u32_e32 v18, 29, v18
	v_cndmask_b32_e64 v23, 0, v25, s[12:13]
	v_cndmask_b32_e64 v18, v24, v18, s[12:13]
	v_lshlrev_b64 v[24:25], v23, v[14:15]
	v_lshlrev_b32_e32 v15, 20, v24
	v_lshlrev_b32_e32 v23, 24, v14
	v_bfrev_b32_e32 v24, 60
	v_and_b32_e32 v15, 0x700000, v15
	v_and_b32_e32 v23, 0x80000000, v23
	v_lshl_add_u32 v18, v18, 23, v24
	v_or3_b32 v15, v23, v18, v15
	v_lshrrev_b32_e32 v18, 16, v15
.LBB816_570:
	s_or_b64 exec, exec, s[26:27]
.LBB816_571:
	s_or_b64 exec, exec, s[24:25]
	v_mov_b32_e32 v15, v18
.LBB816_572:
	s_or_b64 exec, exec, s[14:15]
	v_lshrrev_b16_e32 v18, 8, v14
	v_cmp_ne_u16_e64 s[12:13], 0, v18
	v_mov_b32_e32 v24, 0
	v_mov_b32_e32 v23, 0
	s_and_saveexec_b64 s[14:15], s[12:13]
	s_cbranch_execz .LBB816_578
; %bb.573:
	s_movk_i32 s11, 0x80
	v_cmp_ne_u16_e64 s[12:13], s11, v18
	v_mov_b32_e32 v23, 0xffff8000
	s_and_saveexec_b64 s[24:25], s[12:13]
	s_cbranch_execz .LBB816_577
; %bb.574:
	s_movk_i32 s11, 0x7f
	v_and_b32_e32 v25, 0x7f, v18
	v_cmp_ne_u32_e64 s[12:13], s11, v25
	v_mov_b32_e32 v23, 0x7f80
	s_and_saveexec_b64 s[26:27], s[12:13]
	s_cbranch_execz .LBB816_576
; %bb.575:
	v_and_b32_e32 v23, 7, v18
	v_ffbh_u32_e32 v26, v23
	v_min_u32_e32 v29, 32, v26
	v_subrev_u32_e32 v26, 28, v29
	v_lshlrev_b64 v[26:27], v26, v[18:19]
	v_lshrrev_b32_e32 v28, 3, v25
	v_sub_u32_e32 v18, 29, v29
	v_and_b32_e32 v26, 7, v26
	v_cmp_gt_u32_e64 s[12:13], 8, v25
	v_cndmask_b32_e64 v18, v28, v18, s[12:13]
	v_cndmask_b32_e64 v23, v23, v26, s[12:13]
	v_lshlrev_b32_e32 v14, 16, v14
	v_bfrev_b32_e32 v25, 60
	v_lshlrev_b32_e32 v23, 20, v23
	v_and_b32_e32 v14, 0x80000000, v14
	v_lshl_add_u32 v18, v18, 23, v25
	v_or3_b32 v14, v14, v18, v23
	v_lshrrev_b32_e32 v23, 16, v14
.LBB816_576:
	s_or_b64 exec, exec, s[26:27]
.LBB816_577:
	s_or_b64 exec, exec, s[24:25]
.LBB816_578:
	s_or_b64 exec, exec, s[14:15]
	s_movk_i32 s11, 0xff
	v_and_b32_sdwa v18, v17, s11 dst_sel:DWORD dst_unused:UNUSED_PAD src0_sel:WORD_1 src1_sel:DWORD
	v_lshrrev_b32_e32 v14, 16, v17
	v_cmp_ne_u16_e64 s[12:13], 0, v18
	s_and_saveexec_b64 s[14:15], s[12:13]
	s_cbranch_execz .LBB816_584
; %bb.579:
	s_movk_i32 s11, 0x80
	v_cmp_ne_u16_e64 s[12:13], s11, v18
	v_mov_b32_e32 v24, 0xffff8000
	s_and_saveexec_b64 s[24:25], s[12:13]
	s_cbranch_execz .LBB816_583
; %bb.580:
	v_bfe_u32 v18, v17, 16, 7
	s_movk_i32 s11, 0x7f
	v_cmp_ne_u32_e64 s[12:13], s11, v18
	v_mov_b32_e32 v24, 0x7f80
	s_and_saveexec_b64 s[26:27], s[12:13]
	s_cbranch_execz .LBB816_582
; %bb.581:
	v_and_b32_e32 v26, 7, v14
	v_ffbh_u32_e32 v24, v26
	v_min_u32_e32 v28, 32, v24
	v_subrev_u32_e32 v24, 28, v28
	v_lshlrev_b64 v[24:25], v24, v[14:15]
	v_and_b32_e32 v24, 7, v24
	v_cmp_gt_u32_e64 s[12:13], 8, v18
	v_lshrrev_b32_e32 v27, 3, v18
	v_sub_u32_e32 v14, 29, v28
	v_cndmask_b32_e64 v18, v26, v24, s[12:13]
	v_mov_b32_e32 v24, 24
	v_cndmask_b32_e64 v14, v27, v14, s[12:13]
	v_lshlrev_b32_sdwa v24, v24, v17 dst_sel:DWORD dst_unused:UNUSED_PAD src0_sel:DWORD src1_sel:WORD_1
	v_bfrev_b32_e32 v25, 60
	v_lshlrev_b32_e32 v18, 20, v18
	v_and_b32_e32 v24, 0x80000000, v24
	v_lshl_add_u32 v14, v14, 23, v25
	v_or3_b32 v14, v24, v14, v18
	v_lshrrev_b32_e32 v24, 16, v14
.LBB816_582:
	s_or_b64 exec, exec, s[26:27]
.LBB816_583:
	s_or_b64 exec, exec, s[24:25]
.LBB816_584:
	s_or_b64 exec, exec, s[14:15]
	s_mov_b32 s12, -1
	s_mov_b32 s13, 0xffffff
	v_cmp_lt_u64_e64 s[12:13], s[12:13], v[16:17]
	v_mov_b32_e32 v18, 0
	v_mov_b32_e32 v16, 0
	s_and_saveexec_b64 s[14:15], s[12:13]
	s_cbranch_execz .LBB816_590
; %bb.585:
	v_lshrrev_b32_e32 v14, 24, v17
	s_movk_i32 s11, 0x80
	v_cmp_ne_u32_e64 s[12:13], s11, v14
	v_mov_b32_e32 v16, 0xffff8000
	s_and_saveexec_b64 s[24:25], s[12:13]
	s_cbranch_execz .LBB816_589
; %bb.586:
	v_bfe_u32 v17, v17, 24, 7
	s_movk_i32 s11, 0x7f
	v_cmp_ne_u32_e64 s[12:13], s11, v17
	v_mov_b32_e32 v16, 0x7f80
	s_and_saveexec_b64 s[26:27], s[12:13]
	s_cbranch_execz .LBB816_588
; %bb.587:
	v_and_b32_e32 v16, 7, v14
	v_ffbh_u32_e32 v26, v16
	v_min_u32_e32 v28, 32, v26
	v_subrev_u32_e32 v26, 28, v28
	v_lshlrev_b64 v[26:27], v26, v[14:15]
	v_lshrrev_b32_e32 v25, 3, v17
	v_sub_u32_e32 v27, 29, v28
	v_and_b32_e32 v26, 7, v26
	v_cmp_gt_u32_e64 s[12:13], 8, v17
	v_cndmask_b32_e64 v17, v25, v27, s[12:13]
	v_cndmask_b32_e64 v16, v16, v26, s[12:13]
	v_lshlrev_b32_e32 v14, 24, v14
	v_bfrev_b32_e32 v25, 60
	v_lshlrev_b32_e32 v16, 20, v16
	v_and_b32_e32 v14, 0x80000000, v14
	v_lshl_add_u32 v17, v17, 23, v25
	v_or3_b32 v14, v14, v17, v16
	v_lshrrev_b32_e32 v16, 16, v14
.LBB816_588:
	s_or_b64 exec, exec, s[26:27]
.LBB816_589:
	s_or_b64 exec, exec, s[24:25]
.LBB816_590:
	s_or_b64 exec, exec, s[14:15]
	s_mov_b32 s11, 0x5040100
	v_perm_b32 v21, v22, v21, s11
	v_perm_b32 v20, v19, v20, s11
	;; [unrolled: 1-line block ×4, first 2 shown]
	v_mfma_f32_4x4x4bf16_1k a[0:3], v[2:3], v[20:21], a[0:3] cbsz:4 abid:11
	s_waitcnt vmcnt(25)
	v_cmp_ne_u16_sdwa s[12:13], v10, v18 src0_sel:BYTE_0 src1_sel:DWORD
	v_mfma_f32_4x4x4bf16_1k a[0:3], v[4:5], v[16:17], a[0:3] cbsz:4 abid:11
	s_and_saveexec_b64 s[14:15], s[12:13]
	s_cbranch_execz .LBB816_596
; %bb.591:
	s_movk_i32 s11, 0x80
	v_cmp_ne_u16_sdwa s[12:13], v10, s11 src0_sel:BYTE_0 src1_sel:DWORD
	v_mov_b32_e32 v18, 0xffff8000
	s_and_saveexec_b64 s[24:25], s[12:13]
	s_cbranch_execz .LBB816_595
; %bb.592:
	s_movk_i32 s11, 0x7f
	v_and_b32_e32 v14, 0x7f, v10
	v_cmp_ne_u32_e64 s[12:13], s11, v14
	v_mov_b32_e32 v18, 0x7f80
	s_and_saveexec_b64 s[26:27], s[12:13]
	s_cbranch_execz .LBB816_594
; %bb.593:
	v_and_b32_e32 v15, 7, v10
	v_ffbh_u32_e32 v15, v15
	v_min_u32_e32 v15, 32, v15
	v_subrev_u32_e32 v17, 28, v15
	v_cmp_gt_u32_e64 s[12:13], 8, v14
	v_lshrrev_b32_e32 v16, 3, v14
	v_sub_u32_e32 v15, 29, v15
	v_cndmask_b32_e64 v14, 0, v17, s[12:13]
	v_cndmask_b32_e64 v16, v16, v15, s[12:13]
	v_lshlrev_b64 v[14:15], v14, v[10:11]
	v_lshlrev_b32_e32 v14, 20, v14
	v_lshlrev_b32_e32 v15, 24, v10
	v_bfrev_b32_e32 v17, 60
	v_and_b32_e32 v14, 0x700000, v14
	v_and_b32_e32 v15, 0x80000000, v15
	v_lshl_add_u32 v16, v16, 23, v17
	v_or3_b32 v14, v15, v16, v14
	v_lshrrev_b32_e32 v18, 16, v14
.LBB816_594:
	s_or_b64 exec, exec, s[26:27]
.LBB816_595:
	s_or_b64 exec, exec, s[24:25]
.LBB816_596:
	s_or_b64 exec, exec, s[14:15]
	v_lshrrev_b16_e32 v14, 8, v10
	v_cmp_ne_u16_e64 s[12:13], 0, v14
	v_mov_b32_e32 v19, 0
	v_mov_b32_e32 v17, 0
	s_and_saveexec_b64 s[14:15], s[12:13]
	s_cbranch_execz .LBB816_602
; %bb.597:
	s_movk_i32 s11, 0x80
	v_cmp_ne_u16_e64 s[12:13], s11, v14
	v_mov_b32_e32 v17, 0xffff8000
	s_and_saveexec_b64 s[24:25], s[12:13]
	s_cbranch_execz .LBB816_601
; %bb.598:
	s_movk_i32 s11, 0x7f
	v_and_b32_e32 v15, 0x7f, v14
	v_cmp_ne_u32_e64 s[12:13], s11, v15
	v_mov_b32_e32 v17, 0x7f80
	s_and_saveexec_b64 s[26:27], s[12:13]
	s_cbranch_execz .LBB816_600
; %bb.599:
	v_and_b32_e32 v20, 7, v14
	v_ffbh_u32_e32 v16, v20
	v_min_u32_e32 v22, 32, v16
	v_subrev_u32_e32 v16, 28, v22
	v_lshlrev_b64 v[16:17], v16, v[14:15]
	v_lshrrev_b32_e32 v21, 3, v15
	v_sub_u32_e32 v14, 29, v22
	v_and_b32_e32 v16, 7, v16
	v_cmp_gt_u32_e64 s[12:13], 8, v15
	v_cndmask_b32_e64 v14, v21, v14, s[12:13]
	v_cndmask_b32_e64 v15, v20, v16, s[12:13]
	v_lshlrev_b32_e32 v16, 16, v10
	v_bfrev_b32_e32 v17, 60
	v_lshlrev_b32_e32 v15, 20, v15
	v_and_b32_e32 v16, 0x80000000, v16
	v_lshl_add_u32 v14, v14, 23, v17
	v_or3_b32 v14, v16, v14, v15
	v_lshrrev_b32_e32 v17, 16, v14
.LBB816_600:
	s_or_b64 exec, exec, s[26:27]
.LBB816_601:
	s_or_b64 exec, exec, s[24:25]
.LBB816_602:
	s_or_b64 exec, exec, s[14:15]
	s_movk_i32 s11, 0xff
	v_and_b32_sdwa v15, v10, s11 dst_sel:DWORD dst_unused:UNUSED_PAD src0_sel:WORD_1 src1_sel:DWORD
	v_lshrrev_b32_e32 v14, 16, v10
	v_cmp_ne_u16_e64 s[12:13], 0, v15
	s_and_saveexec_b64 s[14:15], s[12:13]
	s_cbranch_execz .LBB816_608
; %bb.603:
	s_movk_i32 s11, 0x80
	v_cmp_ne_u16_e64 s[12:13], s11, v15
	v_mov_b32_e32 v19, 0xffff8000
	s_and_saveexec_b64 s[24:25], s[12:13]
	s_cbranch_execz .LBB816_607
; %bb.604:
	v_bfe_u32 v15, v10, 16, 7
	s_movk_i32 s11, 0x7f
	v_cmp_ne_u32_e64 s[12:13], s11, v15
	v_mov_b32_e32 v19, 0x7f80
	s_and_saveexec_b64 s[26:27], s[12:13]
	s_cbranch_execz .LBB816_606
; %bb.605:
	v_and_b32_e32 v16, 7, v14
	v_ffbh_u32_e32 v20, v16
	v_min_u32_e32 v22, 32, v20
	v_subrev_u32_e32 v20, 28, v22
	v_lshlrev_b64 v[20:21], v20, v[14:15]
	v_and_b32_e32 v20, 7, v20
	v_cmp_gt_u32_e64 s[12:13], 8, v15
	v_lshrrev_b32_e32 v19, 3, v15
	v_sub_u32_e32 v14, 29, v22
	v_cndmask_b32_e64 v15, v16, v20, s[12:13]
	v_mov_b32_e32 v16, 24
	v_cndmask_b32_e64 v14, v19, v14, s[12:13]
	v_lshlrev_b32_sdwa v16, v16, v10 dst_sel:DWORD dst_unused:UNUSED_PAD src0_sel:DWORD src1_sel:WORD_1
	v_bfrev_b32_e32 v19, 60
	v_lshlrev_b32_e32 v15, 20, v15
	v_and_b32_e32 v16, 0x80000000, v16
	v_lshl_add_u32 v14, v14, 23, v19
	v_or3_b32 v14, v16, v14, v15
	v_lshrrev_b32_e32 v19, 16, v14
.LBB816_606:
	s_or_b64 exec, exec, s[26:27]
.LBB816_607:
	s_or_b64 exec, exec, s[24:25]
.LBB816_608:
	s_or_b64 exec, exec, s[14:15]
	s_mov_b32 s11, 0xffffff
	v_cmp_lt_u32_e64 s[12:13], s11, v10
	v_mov_b32_e32 v15, 0
	v_mov_b32_e32 v20, 0
	s_and_saveexec_b64 s[14:15], s[12:13]
	s_cbranch_execz .LBB816_614
; %bb.609:
	v_lshrrev_b32_e32 v14, 24, v10
	s_movk_i32 s11, 0x80
	v_cmp_ne_u32_e64 s[12:13], s11, v14
	v_mov_b32_e32 v20, 0xffff8000
	s_and_saveexec_b64 s[24:25], s[12:13]
	s_cbranch_execz .LBB816_613
; %bb.610:
	v_bfe_u32 v16, v10, 24, 7
	s_movk_i32 s11, 0x7f
	v_cmp_ne_u32_e64 s[12:13], s11, v16
	v_mov_b32_e32 v20, 0x7f80
	s_and_saveexec_b64 s[26:27], s[12:13]
	s_cbranch_execz .LBB816_612
; %bb.611:
	v_and_b32_e32 v22, 7, v14
	v_ffbh_u32_e32 v20, v22
	v_min_u32_e32 v24, 32, v20
	v_subrev_u32_e32 v20, 28, v24
	v_lshlrev_b64 v[20:21], v20, v[14:15]
	v_lshrrev_b32_e32 v23, 3, v16
	v_sub_u32_e32 v21, 29, v24
	v_and_b32_e32 v20, 7, v20
	v_cmp_gt_u32_e64 s[12:13], 8, v16
	v_cndmask_b32_e64 v16, v23, v21, s[12:13]
	v_cndmask_b32_e64 v20, v22, v20, s[12:13]
	v_lshlrev_b32_e32 v14, 24, v14
	v_bfrev_b32_e32 v21, 60
	v_lshlrev_b32_e32 v20, 20, v20
	v_and_b32_e32 v14, 0x80000000, v14
	v_lshl_add_u32 v16, v16, 23, v21
	v_or3_b32 v14, v14, v16, v20
	v_lshrrev_b32_e32 v20, 16, v14
.LBB816_612:
	s_or_b64 exec, exec, s[26:27]
.LBB816_613:
	s_or_b64 exec, exec, s[24:25]
.LBB816_614:
	s_or_b64 exec, exec, s[14:15]
	v_mov_b32_e32 v14, v11
	v_cmp_ne_u16_sdwa s[12:13], v11, v15 src0_sel:BYTE_0 src1_sel:DWORD
	s_and_saveexec_b64 s[14:15], s[12:13]
	s_cbranch_execz .LBB816_620
; %bb.615:
	s_movk_i32 s11, 0x80
	v_cmp_ne_u16_sdwa s[12:13], v11, s11 src0_sel:BYTE_0 src1_sel:DWORD
	v_mov_b32_e32 v16, 0xffff8000
	s_and_saveexec_b64 s[24:25], s[12:13]
	s_cbranch_execz .LBB816_619
; %bb.616:
	s_movk_i32 s11, 0x7f
	v_and_b32_e32 v21, 0x7f, v11
	v_cmp_ne_u32_e64 s[12:13], s11, v21
	v_mov_b32_e32 v16, 0x7f80
	s_and_saveexec_b64 s[26:27], s[12:13]
	s_cbranch_execz .LBB816_618
; %bb.617:
	v_and_b32_e32 v16, 7, v11
	v_ffbh_u32_e32 v16, v16
	v_min_u32_e32 v16, 32, v16
	v_subrev_u32_e32 v23, 28, v16
	v_cmp_gt_u32_e64 s[12:13], 8, v21
	v_lshrrev_b32_e32 v22, 3, v21
	v_sub_u32_e32 v16, 29, v16
	v_cndmask_b32_e64 v21, 0, v23, s[12:13]
	v_cndmask_b32_e64 v16, v22, v16, s[12:13]
	v_lshlrev_b64 v[22:23], v21, v[14:15]
	v_lshlrev_b32_e32 v15, 20, v22
	v_lshlrev_b32_e32 v21, 24, v14
	v_bfrev_b32_e32 v22, 60
	v_and_b32_e32 v15, 0x700000, v15
	v_and_b32_e32 v21, 0x80000000, v21
	v_lshl_add_u32 v16, v16, 23, v22
	v_or3_b32 v15, v21, v16, v15
	v_lshrrev_b32_e32 v16, 16, v15
.LBB816_618:
	s_or_b64 exec, exec, s[26:27]
.LBB816_619:
	s_or_b64 exec, exec, s[24:25]
	v_mov_b32_e32 v15, v16
.LBB816_620:
	s_or_b64 exec, exec, s[14:15]
	v_lshrrev_b16_e32 v16, 8, v14
	v_cmp_ne_u16_e64 s[12:13], 0, v16
	v_mov_b32_e32 v22, 0
	v_mov_b32_e32 v21, 0
	s_and_saveexec_b64 s[14:15], s[12:13]
	s_cbranch_execz .LBB816_626
; %bb.621:
	s_movk_i32 s11, 0x80
	v_cmp_ne_u16_e64 s[12:13], s11, v16
	v_mov_b32_e32 v21, 0xffff8000
	s_and_saveexec_b64 s[24:25], s[12:13]
	s_cbranch_execz .LBB816_625
; %bb.622:
	s_movk_i32 s11, 0x7f
	v_and_b32_e32 v23, 0x7f, v16
	v_cmp_ne_u32_e64 s[12:13], s11, v23
	v_mov_b32_e32 v21, 0x7f80
	s_and_saveexec_b64 s[26:27], s[12:13]
	s_cbranch_execz .LBB816_624
; %bb.623:
	v_and_b32_e32 v21, 7, v16
	v_ffbh_u32_e32 v24, v21
	v_min_u32_e32 v27, 32, v24
	v_subrev_u32_e32 v24, 28, v27
	v_lshlrev_b64 v[24:25], v24, v[16:17]
	v_lshrrev_b32_e32 v26, 3, v23
	v_sub_u32_e32 v16, 29, v27
	v_and_b32_e32 v24, 7, v24
	v_cmp_gt_u32_e64 s[12:13], 8, v23
	v_cndmask_b32_e64 v16, v26, v16, s[12:13]
	v_cndmask_b32_e64 v21, v21, v24, s[12:13]
	v_lshlrev_b32_e32 v14, 16, v14
	v_bfrev_b32_e32 v23, 60
	v_lshlrev_b32_e32 v21, 20, v21
	v_and_b32_e32 v14, 0x80000000, v14
	v_lshl_add_u32 v16, v16, 23, v23
	v_or3_b32 v14, v14, v16, v21
	v_lshrrev_b32_e32 v21, 16, v14
.LBB816_624:
	s_or_b64 exec, exec, s[26:27]
.LBB816_625:
	s_or_b64 exec, exec, s[24:25]
.LBB816_626:
	s_or_b64 exec, exec, s[14:15]
	s_movk_i32 s11, 0xff
	v_and_b32_sdwa v16, v11, s11 dst_sel:DWORD dst_unused:UNUSED_PAD src0_sel:WORD_1 src1_sel:DWORD
	v_lshrrev_b32_e32 v14, 16, v11
	v_cmp_ne_u16_e64 s[12:13], 0, v16
	s_and_saveexec_b64 s[14:15], s[12:13]
	s_cbranch_execz .LBB816_632
; %bb.627:
	s_movk_i32 s11, 0x80
	v_cmp_ne_u16_e64 s[12:13], s11, v16
	v_mov_b32_e32 v22, 0xffff8000
	s_and_saveexec_b64 s[24:25], s[12:13]
	s_cbranch_execz .LBB816_631
; %bb.628:
	v_bfe_u32 v16, v11, 16, 7
	s_movk_i32 s11, 0x7f
	v_cmp_ne_u32_e64 s[12:13], s11, v16
	v_mov_b32_e32 v22, 0x7f80
	s_and_saveexec_b64 s[26:27], s[12:13]
	s_cbranch_execz .LBB816_630
; %bb.629:
	v_and_b32_e32 v24, 7, v14
	v_ffbh_u32_e32 v22, v24
	v_min_u32_e32 v26, 32, v22
	v_subrev_u32_e32 v22, 28, v26
	v_lshlrev_b64 v[22:23], v22, v[14:15]
	v_and_b32_e32 v22, 7, v22
	v_cmp_gt_u32_e64 s[12:13], 8, v16
	v_lshrrev_b32_e32 v25, 3, v16
	v_sub_u32_e32 v14, 29, v26
	v_cndmask_b32_e64 v16, v24, v22, s[12:13]
	v_mov_b32_e32 v22, 24
	v_cndmask_b32_e64 v14, v25, v14, s[12:13]
	v_lshlrev_b32_sdwa v22, v22, v11 dst_sel:DWORD dst_unused:UNUSED_PAD src0_sel:DWORD src1_sel:WORD_1
	v_bfrev_b32_e32 v23, 60
	v_lshlrev_b32_e32 v16, 20, v16
	v_and_b32_e32 v22, 0x80000000, v22
	v_lshl_add_u32 v14, v14, 23, v23
	v_or3_b32 v14, v22, v14, v16
	v_lshrrev_b32_e32 v22, 16, v14
.LBB816_630:
	s_or_b64 exec, exec, s[26:27]
.LBB816_631:
	s_or_b64 exec, exec, s[24:25]
.LBB816_632:
	s_or_b64 exec, exec, s[14:15]
	s_mov_b32 s12, -1
	s_mov_b32 s13, 0xffffff
	v_cmp_lt_u64_e64 s[12:13], s[12:13], v[10:11]
	v_mov_b32_e32 v16, 0
	v_mov_b32_e32 v14, 0
	s_and_saveexec_b64 s[14:15], s[12:13]
	s_cbranch_execz .LBB816_638
; %bb.633:
	v_lshrrev_b32_e32 v10, 24, v11
	s_movk_i32 s11, 0x80
	v_cmp_ne_u32_e64 s[12:13], s11, v10
	v_mov_b32_e32 v14, 0xffff8000
	s_and_saveexec_b64 s[24:25], s[12:13]
	s_cbranch_execz .LBB816_637
; %bb.634:
	v_bfe_u32 v11, v11, 24, 7
	s_movk_i32 s11, 0x7f
	v_cmp_ne_u32_e64 s[12:13], s11, v11
	v_mov_b32_e32 v14, 0x7f80
	s_and_saveexec_b64 s[26:27], s[12:13]
	s_cbranch_execz .LBB816_636
; %bb.635:
	v_and_b32_e32 v14, 7, v10
	v_ffbh_u32_e32 v24, v14
	v_min_u32_e32 v26, 32, v24
	v_subrev_u32_e32 v24, 28, v26
	v_lshlrev_b64 v[24:25], v24, v[10:11]
	v_lshrrev_b32_e32 v23, 3, v11
	v_sub_u32_e32 v25, 29, v26
	v_and_b32_e32 v24, 7, v24
	v_cmp_gt_u32_e64 s[12:13], 8, v11
	v_cndmask_b32_e64 v11, v23, v25, s[12:13]
	v_cndmask_b32_e64 v14, v14, v24, s[12:13]
	v_lshlrev_b32_e32 v10, 24, v10
	v_bfrev_b32_e32 v23, 60
	v_lshlrev_b32_e32 v14, 20, v14
	v_and_b32_e32 v10, 0x80000000, v10
	v_lshl_add_u32 v11, v11, 23, v23
	v_or3_b32 v10, v10, v11, v14
	v_lshrrev_b32_e32 v14, 16, v10
.LBB816_636:
	s_or_b64 exec, exec, s[26:27]
.LBB816_637:
	s_or_b64 exec, exec, s[24:25]
.LBB816_638:
	s_or_b64 exec, exec, s[14:15]
	s_mov_b32 s11, 0x5040100
	v_perm_b32 v11, v20, v19, s11
	v_perm_b32 v10, v17, v18, s11
	v_perm_b32 v19, v14, v22, s11
	v_perm_b32 v18, v21, v15, s11
	v_mfma_f32_4x4x4bf16_1k a[0:3], v[2:3], v[10:11], a[0:3] cbsz:4 abid:12
	v_cmp_ne_u16_sdwa s[12:13], v12, v16 src0_sel:BYTE_0 src1_sel:DWORD
	v_mfma_f32_4x4x4bf16_1k a[0:3], v[4:5], v[18:19], a[0:3] cbsz:4 abid:12
	s_and_saveexec_b64 s[14:15], s[12:13]
	s_cbranch_execz .LBB816_644
; %bb.639:
	s_movk_i32 s11, 0x80
	v_cmp_ne_u16_sdwa s[12:13], v12, s11 src0_sel:BYTE_0 src1_sel:DWORD
	v_mov_b32_e32 v16, 0xffff8000
	s_and_saveexec_b64 s[24:25], s[12:13]
	s_cbranch_execz .LBB816_643
; %bb.640:
	s_movk_i32 s11, 0x7f
	v_and_b32_e32 v10, 0x7f, v12
	v_cmp_ne_u32_e64 s[12:13], s11, v10
	v_mov_b32_e32 v16, 0x7f80
	s_and_saveexec_b64 s[26:27], s[12:13]
	s_cbranch_execz .LBB816_642
; %bb.641:
	v_and_b32_e32 v11, 7, v12
	v_ffbh_u32_e32 v11, v11
	v_min_u32_e32 v11, 32, v11
	v_subrev_u32_e32 v15, 28, v11
	v_cmp_gt_u32_e64 s[12:13], 8, v10
	v_lshrrev_b32_e32 v14, 3, v10
	v_sub_u32_e32 v11, 29, v11
	v_cndmask_b32_e64 v10, 0, v15, s[12:13]
	v_cndmask_b32_e64 v14, v14, v11, s[12:13]
	v_lshlrev_b64 v[10:11], v10, v[12:13]
	v_lshlrev_b32_e32 v10, 20, v10
	v_lshlrev_b32_e32 v11, 24, v12
	v_bfrev_b32_e32 v15, 60
	v_and_b32_e32 v10, 0x700000, v10
	v_and_b32_e32 v11, 0x80000000, v11
	v_lshl_add_u32 v14, v14, 23, v15
	v_or3_b32 v10, v11, v14, v10
	v_lshrrev_b32_e32 v16, 16, v10
.LBB816_642:
	s_or_b64 exec, exec, s[26:27]
.LBB816_643:
	s_or_b64 exec, exec, s[24:25]
.LBB816_644:
	s_or_b64 exec, exec, s[14:15]
	v_lshrrev_b16_e32 v10, 8, v12
	v_cmp_ne_u16_e64 s[12:13], 0, v10
	v_mov_b32_e32 v17, 0
	v_mov_b32_e32 v15, 0
	s_and_saveexec_b64 s[14:15], s[12:13]
	s_cbranch_execz .LBB816_650
; %bb.645:
	s_movk_i32 s11, 0x80
	v_cmp_ne_u16_e64 s[12:13], s11, v10
	v_mov_b32_e32 v15, 0xffff8000
	s_and_saveexec_b64 s[24:25], s[12:13]
	s_cbranch_execz .LBB816_649
; %bb.646:
	s_movk_i32 s11, 0x7f
	v_and_b32_e32 v11, 0x7f, v10
	v_cmp_ne_u32_e64 s[12:13], s11, v11
	v_mov_b32_e32 v15, 0x7f80
	s_and_saveexec_b64 s[26:27], s[12:13]
	s_cbranch_execz .LBB816_648
; %bb.647:
	v_and_b32_e32 v18, 7, v10
	v_ffbh_u32_e32 v14, v18
	v_min_u32_e32 v20, 32, v14
	v_subrev_u32_e32 v14, 28, v20
	v_lshlrev_b64 v[14:15], v14, v[10:11]
	v_lshrrev_b32_e32 v19, 3, v11
	v_sub_u32_e32 v10, 29, v20
	v_and_b32_e32 v14, 7, v14
	v_cmp_gt_u32_e64 s[12:13], 8, v11
	v_cndmask_b32_e64 v10, v19, v10, s[12:13]
	v_cndmask_b32_e64 v11, v18, v14, s[12:13]
	v_lshlrev_b32_e32 v14, 16, v12
	v_bfrev_b32_e32 v15, 60
	v_lshlrev_b32_e32 v11, 20, v11
	v_and_b32_e32 v14, 0x80000000, v14
	v_lshl_add_u32 v10, v10, 23, v15
	v_or3_b32 v10, v14, v10, v11
	v_lshrrev_b32_e32 v15, 16, v10
.LBB816_648:
	s_or_b64 exec, exec, s[26:27]
.LBB816_649:
	s_or_b64 exec, exec, s[24:25]
.LBB816_650:
	s_or_b64 exec, exec, s[14:15]
	s_movk_i32 s11, 0xff
	v_and_b32_sdwa v11, v12, s11 dst_sel:DWORD dst_unused:UNUSED_PAD src0_sel:WORD_1 src1_sel:DWORD
	v_lshrrev_b32_e32 v10, 16, v12
	v_cmp_ne_u16_e64 s[12:13], 0, v11
	s_and_saveexec_b64 s[14:15], s[12:13]
	s_cbranch_execz .LBB816_656
; %bb.651:
	s_movk_i32 s11, 0x80
	v_cmp_ne_u16_e64 s[12:13], s11, v11
	v_mov_b32_e32 v17, 0xffff8000
	s_and_saveexec_b64 s[24:25], s[12:13]
	s_cbranch_execz .LBB816_655
; %bb.652:
	v_bfe_u32 v11, v12, 16, 7
	s_movk_i32 s11, 0x7f
	v_cmp_ne_u32_e64 s[12:13], s11, v11
	v_mov_b32_e32 v17, 0x7f80
	s_and_saveexec_b64 s[26:27], s[12:13]
	s_cbranch_execz .LBB816_654
; %bb.653:
	v_and_b32_e32 v14, 7, v10
	v_ffbh_u32_e32 v18, v14
	v_min_u32_e32 v20, 32, v18
	v_subrev_u32_e32 v18, 28, v20
	v_lshlrev_b64 v[18:19], v18, v[10:11]
	v_and_b32_e32 v18, 7, v18
	v_cmp_gt_u32_e64 s[12:13], 8, v11
	v_lshrrev_b32_e32 v17, 3, v11
	v_sub_u32_e32 v10, 29, v20
	v_cndmask_b32_e64 v11, v14, v18, s[12:13]
	v_mov_b32_e32 v14, 24
	v_cndmask_b32_e64 v10, v17, v10, s[12:13]
	v_lshlrev_b32_sdwa v14, v14, v12 dst_sel:DWORD dst_unused:UNUSED_PAD src0_sel:DWORD src1_sel:WORD_1
	v_bfrev_b32_e32 v17, 60
	v_lshlrev_b32_e32 v11, 20, v11
	v_and_b32_e32 v14, 0x80000000, v14
	v_lshl_add_u32 v10, v10, 23, v17
	v_or3_b32 v10, v14, v10, v11
	v_lshrrev_b32_e32 v17, 16, v10
.LBB816_654:
	s_or_b64 exec, exec, s[26:27]
.LBB816_655:
	s_or_b64 exec, exec, s[24:25]
.LBB816_656:
	s_or_b64 exec, exec, s[14:15]
	s_mov_b32 s11, 0xffffff
	v_cmp_lt_u32_e64 s[12:13], s11, v12
	v_mov_b32_e32 v11, 0
	v_mov_b32_e32 v18, 0
	s_and_saveexec_b64 s[14:15], s[12:13]
	s_cbranch_execz .LBB816_662
; %bb.657:
	v_lshrrev_b32_e32 v10, 24, v12
	s_movk_i32 s11, 0x80
	v_cmp_ne_u32_e64 s[12:13], s11, v10
	v_mov_b32_e32 v18, 0xffff8000
	s_and_saveexec_b64 s[24:25], s[12:13]
	s_cbranch_execz .LBB816_661
; %bb.658:
	v_bfe_u32 v14, v12, 24, 7
	s_movk_i32 s11, 0x7f
	v_cmp_ne_u32_e64 s[12:13], s11, v14
	v_mov_b32_e32 v18, 0x7f80
	s_and_saveexec_b64 s[26:27], s[12:13]
	s_cbranch_execz .LBB816_660
; %bb.659:
	v_and_b32_e32 v20, 7, v10
	v_ffbh_u32_e32 v18, v20
	v_min_u32_e32 v22, 32, v18
	v_subrev_u32_e32 v18, 28, v22
	v_lshlrev_b64 v[18:19], v18, v[10:11]
	v_lshrrev_b32_e32 v21, 3, v14
	v_sub_u32_e32 v19, 29, v22
	v_and_b32_e32 v18, 7, v18
	v_cmp_gt_u32_e64 s[12:13], 8, v14
	v_cndmask_b32_e64 v14, v21, v19, s[12:13]
	v_cndmask_b32_e64 v18, v20, v18, s[12:13]
	v_lshlrev_b32_e32 v10, 24, v10
	v_bfrev_b32_e32 v19, 60
	v_lshlrev_b32_e32 v18, 20, v18
	v_and_b32_e32 v10, 0x80000000, v10
	v_lshl_add_u32 v14, v14, 23, v19
	v_or3_b32 v10, v10, v14, v18
	v_lshrrev_b32_e32 v18, 16, v10
.LBB816_660:
	s_or_b64 exec, exec, s[26:27]
.LBB816_661:
	s_or_b64 exec, exec, s[24:25]
.LBB816_662:
	s_or_b64 exec, exec, s[14:15]
	v_mov_b32_e32 v10, v13
	v_cmp_ne_u16_sdwa s[12:13], v13, v11 src0_sel:BYTE_0 src1_sel:DWORD
	s_and_saveexec_b64 s[14:15], s[12:13]
	s_cbranch_execz .LBB816_668
; %bb.663:
	s_movk_i32 s11, 0x80
	v_cmp_ne_u16_sdwa s[12:13], v13, s11 src0_sel:BYTE_0 src1_sel:DWORD
	v_mov_b32_e32 v14, 0xffff8000
	s_and_saveexec_b64 s[24:25], s[12:13]
	s_cbranch_execz .LBB816_667
; %bb.664:
	s_movk_i32 s11, 0x7f
	v_and_b32_e32 v19, 0x7f, v13
	v_cmp_ne_u32_e64 s[12:13], s11, v19
	v_mov_b32_e32 v14, 0x7f80
	s_and_saveexec_b64 s[26:27], s[12:13]
	s_cbranch_execz .LBB816_666
; %bb.665:
	v_and_b32_e32 v14, 7, v13
	v_ffbh_u32_e32 v14, v14
	v_min_u32_e32 v14, 32, v14
	v_subrev_u32_e32 v21, 28, v14
	v_cmp_gt_u32_e64 s[12:13], 8, v19
	v_lshrrev_b32_e32 v20, 3, v19
	v_sub_u32_e32 v14, 29, v14
	v_cndmask_b32_e64 v19, 0, v21, s[12:13]
	v_cndmask_b32_e64 v14, v20, v14, s[12:13]
	v_lshlrev_b64 v[20:21], v19, v[10:11]
	v_lshlrev_b32_e32 v11, 20, v20
	v_lshlrev_b32_e32 v19, 24, v10
	v_bfrev_b32_e32 v20, 60
	v_and_b32_e32 v11, 0x700000, v11
	v_and_b32_e32 v19, 0x80000000, v19
	v_lshl_add_u32 v14, v14, 23, v20
	v_or3_b32 v11, v19, v14, v11
	v_lshrrev_b32_e32 v14, 16, v11
.LBB816_666:
	s_or_b64 exec, exec, s[26:27]
.LBB816_667:
	s_or_b64 exec, exec, s[24:25]
	v_mov_b32_e32 v11, v14
.LBB816_668:
	s_or_b64 exec, exec, s[14:15]
	v_lshrrev_b16_e32 v14, 8, v10
	v_cmp_ne_u16_e64 s[12:13], 0, v14
	v_mov_b32_e32 v20, 0
	v_mov_b32_e32 v19, 0
	s_and_saveexec_b64 s[14:15], s[12:13]
	s_cbranch_execz .LBB816_674
; %bb.669:
	s_movk_i32 s11, 0x80
	v_cmp_ne_u16_e64 s[12:13], s11, v14
	v_mov_b32_e32 v19, 0xffff8000
	s_and_saveexec_b64 s[24:25], s[12:13]
	s_cbranch_execz .LBB816_673
; %bb.670:
	s_movk_i32 s11, 0x7f
	v_and_b32_e32 v21, 0x7f, v14
	v_cmp_ne_u32_e64 s[12:13], s11, v21
	v_mov_b32_e32 v19, 0x7f80
	s_and_saveexec_b64 s[26:27], s[12:13]
	s_cbranch_execz .LBB816_672
; %bb.671:
	v_and_b32_e32 v19, 7, v14
	v_ffbh_u32_e32 v22, v19
	v_min_u32_e32 v25, 32, v22
	v_subrev_u32_e32 v22, 28, v25
	v_lshlrev_b64 v[22:23], v22, v[14:15]
	v_lshrrev_b32_e32 v24, 3, v21
	v_sub_u32_e32 v14, 29, v25
	v_and_b32_e32 v22, 7, v22
	v_cmp_gt_u32_e64 s[12:13], 8, v21
	v_cndmask_b32_e64 v14, v24, v14, s[12:13]
	v_cndmask_b32_e64 v19, v19, v22, s[12:13]
	v_lshlrev_b32_e32 v10, 16, v10
	v_bfrev_b32_e32 v21, 60
	v_lshlrev_b32_e32 v19, 20, v19
	v_and_b32_e32 v10, 0x80000000, v10
	v_lshl_add_u32 v14, v14, 23, v21
	v_or3_b32 v10, v10, v14, v19
	v_lshrrev_b32_e32 v19, 16, v10
.LBB816_672:
	s_or_b64 exec, exec, s[26:27]
.LBB816_673:
	s_or_b64 exec, exec, s[24:25]
.LBB816_674:
	s_or_b64 exec, exec, s[14:15]
	s_movk_i32 s11, 0xff
	v_and_b32_sdwa v14, v13, s11 dst_sel:DWORD dst_unused:UNUSED_PAD src0_sel:WORD_1 src1_sel:DWORD
	v_lshrrev_b32_e32 v10, 16, v13
	v_cmp_ne_u16_e64 s[12:13], 0, v14
	s_and_saveexec_b64 s[14:15], s[12:13]
	s_cbranch_execz .LBB816_680
; %bb.675:
	s_movk_i32 s11, 0x80
	v_cmp_ne_u16_e64 s[12:13], s11, v14
	v_mov_b32_e32 v20, 0xffff8000
	s_and_saveexec_b64 s[24:25], s[12:13]
	s_cbranch_execz .LBB816_679
; %bb.676:
	v_bfe_u32 v14, v13, 16, 7
	s_movk_i32 s11, 0x7f
	v_cmp_ne_u32_e64 s[12:13], s11, v14
	v_mov_b32_e32 v20, 0x7f80
	s_and_saveexec_b64 s[26:27], s[12:13]
	s_cbranch_execz .LBB816_678
; %bb.677:
	v_and_b32_e32 v22, 7, v10
	v_ffbh_u32_e32 v20, v22
	v_min_u32_e32 v24, 32, v20
	v_subrev_u32_e32 v20, 28, v24
	v_lshlrev_b64 v[20:21], v20, v[10:11]
	v_and_b32_e32 v20, 7, v20
	v_cmp_gt_u32_e64 s[12:13], 8, v14
	v_lshrrev_b32_e32 v23, 3, v14
	v_sub_u32_e32 v10, 29, v24
	v_cndmask_b32_e64 v14, v22, v20, s[12:13]
	v_mov_b32_e32 v20, 24
	v_cndmask_b32_e64 v10, v23, v10, s[12:13]
	v_lshlrev_b32_sdwa v20, v20, v13 dst_sel:DWORD dst_unused:UNUSED_PAD src0_sel:DWORD src1_sel:WORD_1
	v_bfrev_b32_e32 v21, 60
	v_lshlrev_b32_e32 v14, 20, v14
	v_and_b32_e32 v20, 0x80000000, v20
	v_lshl_add_u32 v10, v10, 23, v21
	v_or3_b32 v10, v20, v10, v14
	v_lshrrev_b32_e32 v20, 16, v10
.LBB816_678:
	s_or_b64 exec, exec, s[26:27]
.LBB816_679:
	s_or_b64 exec, exec, s[24:25]
.LBB816_680:
	s_or_b64 exec, exec, s[14:15]
	s_mov_b32 s12, -1
	s_mov_b32 s13, 0xffffff
	v_cmp_lt_u64_e64 s[12:13], s[12:13], v[12:13]
	v_mov_b32_e32 v14, 0
	v_mov_b32_e32 v12, 0
	s_and_saveexec_b64 s[14:15], s[12:13]
	s_cbranch_execz .LBB816_686
; %bb.681:
	v_lshrrev_b32_e32 v10, 24, v13
	s_movk_i32 s11, 0x80
	v_cmp_ne_u32_e64 s[12:13], s11, v10
	v_mov_b32_e32 v12, 0xffff8000
	s_and_saveexec_b64 s[24:25], s[12:13]
	s_cbranch_execz .LBB816_685
; %bb.682:
	v_bfe_u32 v13, v13, 24, 7
	s_movk_i32 s11, 0x7f
	v_cmp_ne_u32_e64 s[12:13], s11, v13
	v_mov_b32_e32 v12, 0x7f80
	s_and_saveexec_b64 s[26:27], s[12:13]
	s_cbranch_execz .LBB816_684
; %bb.683:
	v_and_b32_e32 v12, 7, v10
	v_ffbh_u32_e32 v22, v12
	v_min_u32_e32 v24, 32, v22
	v_subrev_u32_e32 v22, 28, v24
	v_lshlrev_b64 v[22:23], v22, v[10:11]
	v_lshrrev_b32_e32 v21, 3, v13
	v_sub_u32_e32 v23, 29, v24
	v_and_b32_e32 v22, 7, v22
	v_cmp_gt_u32_e64 s[12:13], 8, v13
	v_cndmask_b32_e64 v13, v21, v23, s[12:13]
	v_cndmask_b32_e64 v12, v12, v22, s[12:13]
	v_lshlrev_b32_e32 v10, 24, v10
	v_bfrev_b32_e32 v21, 60
	v_lshlrev_b32_e32 v12, 20, v12
	v_and_b32_e32 v10, 0x80000000, v10
	v_lshl_add_u32 v13, v13, 23, v21
	v_or3_b32 v10, v10, v13, v12
	v_lshrrev_b32_e32 v12, 16, v10
.LBB816_684:
	s_or_b64 exec, exec, s[26:27]
.LBB816_685:
	s_or_b64 exec, exec, s[24:25]
.LBB816_686:
	s_or_b64 exec, exec, s[14:15]
	s_mov_b32 s11, 0x5040100
	v_perm_b32 v17, v18, v17, s11
	v_perm_b32 v16, v15, v16, s11
	;; [unrolled: 1-line block ×4, first 2 shown]
	v_mfma_f32_4x4x4bf16_1k a[0:3], v[2:3], v[16:17], a[0:3] cbsz:4 abid:13
	s_waitcnt vmcnt(24)
	v_cmp_ne_u16_sdwa s[12:13], v6, v14 src0_sel:BYTE_0 src1_sel:DWORD
	v_mfma_f32_4x4x4bf16_1k a[0:3], v[4:5], v[12:13], a[0:3] cbsz:4 abid:13
	s_and_saveexec_b64 s[14:15], s[12:13]
	s_cbranch_execz .LBB816_692
; %bb.687:
	s_movk_i32 s11, 0x80
	v_cmp_ne_u16_sdwa s[12:13], v6, s11 src0_sel:BYTE_0 src1_sel:DWORD
	v_mov_b32_e32 v14, 0xffff8000
	s_and_saveexec_b64 s[24:25], s[12:13]
	s_cbranch_execz .LBB816_691
; %bb.688:
	s_movk_i32 s11, 0x7f
	v_and_b32_e32 v10, 0x7f, v6
	v_cmp_ne_u32_e64 s[12:13], s11, v10
	v_mov_b32_e32 v14, 0x7f80
	s_and_saveexec_b64 s[26:27], s[12:13]
	s_cbranch_execz .LBB816_690
; %bb.689:
	v_and_b32_e32 v11, 7, v6
	v_ffbh_u32_e32 v11, v11
	v_min_u32_e32 v11, 32, v11
	v_subrev_u32_e32 v13, 28, v11
	v_cmp_gt_u32_e64 s[12:13], 8, v10
	v_lshrrev_b32_e32 v12, 3, v10
	v_sub_u32_e32 v11, 29, v11
	v_cndmask_b32_e64 v10, 0, v13, s[12:13]
	v_cndmask_b32_e64 v12, v12, v11, s[12:13]
	v_lshlrev_b64 v[10:11], v10, v[6:7]
	v_lshlrev_b32_e32 v10, 20, v10
	v_lshlrev_b32_e32 v11, 24, v6
	v_bfrev_b32_e32 v13, 60
	v_and_b32_e32 v10, 0x700000, v10
	v_and_b32_e32 v11, 0x80000000, v11
	v_lshl_add_u32 v12, v12, 23, v13
	v_or3_b32 v10, v11, v12, v10
	v_lshrrev_b32_e32 v14, 16, v10
.LBB816_690:
	s_or_b64 exec, exec, s[26:27]
.LBB816_691:
	s_or_b64 exec, exec, s[24:25]
.LBB816_692:
	s_or_b64 exec, exec, s[14:15]
	v_lshrrev_b16_e32 v10, 8, v6
	v_cmp_ne_u16_e64 s[12:13], 0, v10
	v_mov_b32_e32 v15, 0
	v_mov_b32_e32 v13, 0
	s_and_saveexec_b64 s[14:15], s[12:13]
	s_cbranch_execz .LBB816_698
; %bb.693:
	s_movk_i32 s11, 0x80
	v_cmp_ne_u16_e64 s[12:13], s11, v10
	v_mov_b32_e32 v13, 0xffff8000
	s_and_saveexec_b64 s[24:25], s[12:13]
	s_cbranch_execz .LBB816_697
; %bb.694:
	s_movk_i32 s11, 0x7f
	v_and_b32_e32 v11, 0x7f, v10
	v_cmp_ne_u32_e64 s[12:13], s11, v11
	v_mov_b32_e32 v13, 0x7f80
	s_and_saveexec_b64 s[26:27], s[12:13]
	s_cbranch_execz .LBB816_696
; %bb.695:
	v_and_b32_e32 v16, 7, v10
	v_ffbh_u32_e32 v12, v16
	v_min_u32_e32 v18, 32, v12
	v_subrev_u32_e32 v12, 28, v18
	v_lshlrev_b64 v[12:13], v12, v[10:11]
	v_lshrrev_b32_e32 v17, 3, v11
	v_sub_u32_e32 v10, 29, v18
	v_and_b32_e32 v12, 7, v12
	v_cmp_gt_u32_e64 s[12:13], 8, v11
	v_cndmask_b32_e64 v10, v17, v10, s[12:13]
	v_cndmask_b32_e64 v11, v16, v12, s[12:13]
	v_lshlrev_b32_e32 v12, 16, v6
	v_bfrev_b32_e32 v13, 60
	v_lshlrev_b32_e32 v11, 20, v11
	v_and_b32_e32 v12, 0x80000000, v12
	v_lshl_add_u32 v10, v10, 23, v13
	v_or3_b32 v10, v12, v10, v11
	v_lshrrev_b32_e32 v13, 16, v10
.LBB816_696:
	s_or_b64 exec, exec, s[26:27]
.LBB816_697:
	s_or_b64 exec, exec, s[24:25]
.LBB816_698:
	s_or_b64 exec, exec, s[14:15]
	s_movk_i32 s11, 0xff
	v_and_b32_sdwa v11, v6, s11 dst_sel:DWORD dst_unused:UNUSED_PAD src0_sel:WORD_1 src1_sel:DWORD
	v_lshrrev_b32_e32 v10, 16, v6
	v_cmp_ne_u16_e64 s[12:13], 0, v11
	s_and_saveexec_b64 s[14:15], s[12:13]
	s_cbranch_execz .LBB816_704
; %bb.699:
	s_movk_i32 s11, 0x80
	v_cmp_ne_u16_e64 s[12:13], s11, v11
	v_mov_b32_e32 v15, 0xffff8000
	s_and_saveexec_b64 s[24:25], s[12:13]
	s_cbranch_execz .LBB816_703
; %bb.700:
	v_bfe_u32 v11, v6, 16, 7
	s_movk_i32 s11, 0x7f
	v_cmp_ne_u32_e64 s[12:13], s11, v11
	v_mov_b32_e32 v15, 0x7f80
	s_and_saveexec_b64 s[26:27], s[12:13]
	s_cbranch_execz .LBB816_702
; %bb.701:
	v_and_b32_e32 v12, 7, v10
	v_ffbh_u32_e32 v16, v12
	v_min_u32_e32 v18, 32, v16
	v_subrev_u32_e32 v16, 28, v18
	v_lshlrev_b64 v[16:17], v16, v[10:11]
	v_and_b32_e32 v16, 7, v16
	v_cmp_gt_u32_e64 s[12:13], 8, v11
	v_lshrrev_b32_e32 v15, 3, v11
	v_sub_u32_e32 v10, 29, v18
	v_cndmask_b32_e64 v11, v12, v16, s[12:13]
	v_mov_b32_e32 v12, 24
	v_cndmask_b32_e64 v10, v15, v10, s[12:13]
	v_lshlrev_b32_sdwa v12, v12, v6 dst_sel:DWORD dst_unused:UNUSED_PAD src0_sel:DWORD src1_sel:WORD_1
	v_bfrev_b32_e32 v15, 60
	v_lshlrev_b32_e32 v11, 20, v11
	v_and_b32_e32 v12, 0x80000000, v12
	v_lshl_add_u32 v10, v10, 23, v15
	v_or3_b32 v10, v12, v10, v11
	v_lshrrev_b32_e32 v15, 16, v10
.LBB816_702:
	s_or_b64 exec, exec, s[26:27]
.LBB816_703:
	s_or_b64 exec, exec, s[24:25]
.LBB816_704:
	s_or_b64 exec, exec, s[14:15]
	s_mov_b32 s11, 0xffffff
	v_cmp_lt_u32_e64 s[12:13], s11, v6
	v_mov_b32_e32 v11, 0
	v_mov_b32_e32 v16, 0
	s_and_saveexec_b64 s[14:15], s[12:13]
	s_cbranch_execz .LBB816_710
; %bb.705:
	v_lshrrev_b32_e32 v10, 24, v6
	s_movk_i32 s11, 0x80
	v_cmp_ne_u32_e64 s[12:13], s11, v10
	v_mov_b32_e32 v16, 0xffff8000
	s_and_saveexec_b64 s[24:25], s[12:13]
	s_cbranch_execz .LBB816_709
; %bb.706:
	v_bfe_u32 v12, v6, 24, 7
	s_movk_i32 s11, 0x7f
	v_cmp_ne_u32_e64 s[12:13], s11, v12
	v_mov_b32_e32 v16, 0x7f80
	s_and_saveexec_b64 s[26:27], s[12:13]
	s_cbranch_execz .LBB816_708
; %bb.707:
	v_and_b32_e32 v18, 7, v10
	v_ffbh_u32_e32 v16, v18
	v_min_u32_e32 v20, 32, v16
	v_subrev_u32_e32 v16, 28, v20
	v_lshlrev_b64 v[16:17], v16, v[10:11]
	v_lshrrev_b32_e32 v19, 3, v12
	v_sub_u32_e32 v17, 29, v20
	v_and_b32_e32 v16, 7, v16
	v_cmp_gt_u32_e64 s[12:13], 8, v12
	v_cndmask_b32_e64 v12, v19, v17, s[12:13]
	v_cndmask_b32_e64 v16, v18, v16, s[12:13]
	v_lshlrev_b32_e32 v10, 24, v10
	v_bfrev_b32_e32 v17, 60
	v_lshlrev_b32_e32 v16, 20, v16
	v_and_b32_e32 v10, 0x80000000, v10
	v_lshl_add_u32 v12, v12, 23, v17
	v_or3_b32 v10, v10, v12, v16
	v_lshrrev_b32_e32 v16, 16, v10
.LBB816_708:
	s_or_b64 exec, exec, s[26:27]
.LBB816_709:
	s_or_b64 exec, exec, s[24:25]
.LBB816_710:
	s_or_b64 exec, exec, s[14:15]
	v_mov_b32_e32 v10, v7
	v_cmp_ne_u16_sdwa s[12:13], v7, v11 src0_sel:BYTE_0 src1_sel:DWORD
	s_and_saveexec_b64 s[14:15], s[12:13]
	s_cbranch_execz .LBB816_716
; %bb.711:
	s_movk_i32 s11, 0x80
	v_cmp_ne_u16_sdwa s[12:13], v7, s11 src0_sel:BYTE_0 src1_sel:DWORD
	v_mov_b32_e32 v12, 0xffff8000
	s_and_saveexec_b64 s[24:25], s[12:13]
	s_cbranch_execz .LBB816_715
; %bb.712:
	s_movk_i32 s11, 0x7f
	v_and_b32_e32 v17, 0x7f, v7
	v_cmp_ne_u32_e64 s[12:13], s11, v17
	v_mov_b32_e32 v12, 0x7f80
	s_and_saveexec_b64 s[26:27], s[12:13]
	s_cbranch_execz .LBB816_714
; %bb.713:
	v_and_b32_e32 v12, 7, v7
	v_ffbh_u32_e32 v12, v12
	v_min_u32_e32 v12, 32, v12
	v_subrev_u32_e32 v19, 28, v12
	v_cmp_gt_u32_e64 s[12:13], 8, v17
	v_lshrrev_b32_e32 v18, 3, v17
	v_sub_u32_e32 v12, 29, v12
	v_cndmask_b32_e64 v17, 0, v19, s[12:13]
	v_cndmask_b32_e64 v12, v18, v12, s[12:13]
	v_lshlrev_b64 v[18:19], v17, v[10:11]
	v_lshlrev_b32_e32 v11, 20, v18
	v_lshlrev_b32_e32 v17, 24, v10
	v_bfrev_b32_e32 v18, 60
	v_and_b32_e32 v11, 0x700000, v11
	v_and_b32_e32 v17, 0x80000000, v17
	v_lshl_add_u32 v12, v12, 23, v18
	v_or3_b32 v11, v17, v12, v11
	v_lshrrev_b32_e32 v12, 16, v11
.LBB816_714:
	s_or_b64 exec, exec, s[26:27]
.LBB816_715:
	s_or_b64 exec, exec, s[24:25]
	v_mov_b32_e32 v11, v12
.LBB816_716:
	s_or_b64 exec, exec, s[14:15]
	v_lshrrev_b16_e32 v12, 8, v10
	v_cmp_ne_u16_e64 s[12:13], 0, v12
	v_mov_b32_e32 v18, 0
	v_mov_b32_e32 v17, 0
	s_and_saveexec_b64 s[14:15], s[12:13]
	s_cbranch_execz .LBB816_722
; %bb.717:
	s_movk_i32 s11, 0x80
	v_cmp_ne_u16_e64 s[12:13], s11, v12
	v_mov_b32_e32 v17, 0xffff8000
	s_and_saveexec_b64 s[24:25], s[12:13]
	s_cbranch_execz .LBB816_721
; %bb.718:
	s_movk_i32 s11, 0x7f
	v_and_b32_e32 v19, 0x7f, v12
	v_cmp_ne_u32_e64 s[12:13], s11, v19
	v_mov_b32_e32 v17, 0x7f80
	s_and_saveexec_b64 s[26:27], s[12:13]
	s_cbranch_execz .LBB816_720
; %bb.719:
	v_and_b32_e32 v17, 7, v12
	v_ffbh_u32_e32 v20, v17
	v_min_u32_e32 v23, 32, v20
	v_subrev_u32_e32 v20, 28, v23
	v_lshlrev_b64 v[20:21], v20, v[12:13]
	v_lshrrev_b32_e32 v22, 3, v19
	v_sub_u32_e32 v12, 29, v23
	v_and_b32_e32 v20, 7, v20
	v_cmp_gt_u32_e64 s[12:13], 8, v19
	v_cndmask_b32_e64 v12, v22, v12, s[12:13]
	v_cndmask_b32_e64 v17, v17, v20, s[12:13]
	v_lshlrev_b32_e32 v10, 16, v10
	v_bfrev_b32_e32 v19, 60
	v_lshlrev_b32_e32 v17, 20, v17
	v_and_b32_e32 v10, 0x80000000, v10
	v_lshl_add_u32 v12, v12, 23, v19
	v_or3_b32 v10, v10, v12, v17
	v_lshrrev_b32_e32 v17, 16, v10
.LBB816_720:
	s_or_b64 exec, exec, s[26:27]
.LBB816_721:
	s_or_b64 exec, exec, s[24:25]
.LBB816_722:
	s_or_b64 exec, exec, s[14:15]
	s_movk_i32 s11, 0xff
	v_and_b32_sdwa v12, v7, s11 dst_sel:DWORD dst_unused:UNUSED_PAD src0_sel:WORD_1 src1_sel:DWORD
	v_lshrrev_b32_e32 v10, 16, v7
	v_cmp_ne_u16_e64 s[12:13], 0, v12
	s_and_saveexec_b64 s[14:15], s[12:13]
	s_cbranch_execz .LBB816_728
; %bb.723:
	s_movk_i32 s11, 0x80
	v_cmp_ne_u16_e64 s[12:13], s11, v12
	v_mov_b32_e32 v18, 0xffff8000
	s_and_saveexec_b64 s[24:25], s[12:13]
	s_cbranch_execz .LBB816_727
; %bb.724:
	v_bfe_u32 v12, v7, 16, 7
	s_movk_i32 s11, 0x7f
	v_cmp_ne_u32_e64 s[12:13], s11, v12
	v_mov_b32_e32 v18, 0x7f80
	s_and_saveexec_b64 s[26:27], s[12:13]
	s_cbranch_execz .LBB816_726
; %bb.725:
	v_and_b32_e32 v20, 7, v10
	v_ffbh_u32_e32 v18, v20
	v_min_u32_e32 v22, 32, v18
	v_subrev_u32_e32 v18, 28, v22
	v_lshlrev_b64 v[18:19], v18, v[10:11]
	v_and_b32_e32 v18, 7, v18
	v_cmp_gt_u32_e64 s[12:13], 8, v12
	v_lshrrev_b32_e32 v21, 3, v12
	v_sub_u32_e32 v10, 29, v22
	v_cndmask_b32_e64 v12, v20, v18, s[12:13]
	v_mov_b32_e32 v18, 24
	v_cndmask_b32_e64 v10, v21, v10, s[12:13]
	v_lshlrev_b32_sdwa v18, v18, v7 dst_sel:DWORD dst_unused:UNUSED_PAD src0_sel:DWORD src1_sel:WORD_1
	v_bfrev_b32_e32 v19, 60
	v_lshlrev_b32_e32 v12, 20, v12
	v_and_b32_e32 v18, 0x80000000, v18
	v_lshl_add_u32 v10, v10, 23, v19
	v_or3_b32 v10, v18, v10, v12
	v_lshrrev_b32_e32 v18, 16, v10
.LBB816_726:
	s_or_b64 exec, exec, s[26:27]
.LBB816_727:
	s_or_b64 exec, exec, s[24:25]
.LBB816_728:
	s_or_b64 exec, exec, s[14:15]
	s_mov_b32 s12, -1
	s_mov_b32 s13, 0xffffff
	v_cmp_lt_u64_e64 s[12:13], s[12:13], v[6:7]
	v_mov_b32_e32 v12, 0
	v_mov_b32_e32 v10, 0
	s_and_saveexec_b64 s[14:15], s[12:13]
	s_cbranch_execz .LBB816_734
; %bb.729:
	v_lshrrev_b32_e32 v6, 24, v7
	s_movk_i32 s11, 0x80
	v_cmp_ne_u32_e64 s[12:13], s11, v6
	v_mov_b32_e32 v10, 0xffff8000
	s_and_saveexec_b64 s[24:25], s[12:13]
	s_cbranch_execz .LBB816_733
; %bb.730:
	v_bfe_u32 v7, v7, 24, 7
	s_movk_i32 s11, 0x7f
	v_cmp_ne_u32_e64 s[12:13], s11, v7
	v_mov_b32_e32 v10, 0x7f80
	s_and_saveexec_b64 s[26:27], s[12:13]
	s_cbranch_execz .LBB816_732
; %bb.731:
	v_and_b32_e32 v10, 7, v6
	v_ffbh_u32_e32 v20, v10
	v_min_u32_e32 v22, 32, v20
	v_subrev_u32_e32 v20, 28, v22
	v_lshlrev_b64 v[20:21], v20, v[6:7]
	v_lshrrev_b32_e32 v19, 3, v7
	v_sub_u32_e32 v21, 29, v22
	v_and_b32_e32 v20, 7, v20
	v_cmp_gt_u32_e64 s[12:13], 8, v7
	v_cndmask_b32_e64 v7, v19, v21, s[12:13]
	v_cndmask_b32_e64 v10, v10, v20, s[12:13]
	v_lshlrev_b32_e32 v6, 24, v6
	v_bfrev_b32_e32 v19, 60
	v_lshlrev_b32_e32 v10, 20, v10
	v_and_b32_e32 v6, 0x80000000, v6
	v_lshl_add_u32 v7, v7, 23, v19
	v_or3_b32 v6, v6, v7, v10
	v_lshrrev_b32_e32 v10, 16, v6
.LBB816_732:
	s_or_b64 exec, exec, s[26:27]
.LBB816_733:
	s_or_b64 exec, exec, s[24:25]
.LBB816_734:
	s_or_b64 exec, exec, s[14:15]
	s_mov_b32 s11, 0x5040100
	v_perm_b32 v7, v16, v15, s11
	v_perm_b32 v6, v13, v14, s11
	;; [unrolled: 1-line block ×4, first 2 shown]
	v_mfma_f32_4x4x4bf16_1k a[0:3], v[2:3], v[6:7], a[0:3] cbsz:4 abid:14
	v_cmp_ne_u16_sdwa s[12:13], v8, v12 src0_sel:BYTE_0 src1_sel:DWORD
	v_mfma_f32_4x4x4bf16_1k a[0:3], v[4:5], v[14:15], a[0:3] cbsz:4 abid:14
	s_and_saveexec_b64 s[14:15], s[12:13]
	s_cbranch_execz .LBB816_740
; %bb.735:
	s_movk_i32 s11, 0x80
	v_cmp_ne_u16_sdwa s[12:13], v8, s11 src0_sel:BYTE_0 src1_sel:DWORD
	v_mov_b32_e32 v12, 0xffff8000
	s_and_saveexec_b64 s[24:25], s[12:13]
	s_cbranch_execz .LBB816_739
; %bb.736:
	s_movk_i32 s11, 0x7f
	v_and_b32_e32 v6, 0x7f, v8
	v_cmp_ne_u32_e64 s[12:13], s11, v6
	v_mov_b32_e32 v12, 0x7f80
	s_and_saveexec_b64 s[26:27], s[12:13]
	s_cbranch_execz .LBB816_738
; %bb.737:
	v_and_b32_e32 v7, 7, v8
	v_ffbh_u32_e32 v7, v7
	v_min_u32_e32 v7, 32, v7
	v_subrev_u32_e32 v11, 28, v7
	v_cmp_gt_u32_e64 s[12:13], 8, v6
	v_lshrrev_b32_e32 v10, 3, v6
	v_sub_u32_e32 v7, 29, v7
	v_cndmask_b32_e64 v6, 0, v11, s[12:13]
	v_cndmask_b32_e64 v10, v10, v7, s[12:13]
	v_lshlrev_b64 v[6:7], v6, v[8:9]
	v_lshlrev_b32_e32 v6, 20, v6
	v_lshlrev_b32_e32 v7, 24, v8
	v_bfrev_b32_e32 v11, 60
	v_and_b32_e32 v6, 0x700000, v6
	v_and_b32_e32 v7, 0x80000000, v7
	v_lshl_add_u32 v10, v10, 23, v11
	v_or3_b32 v6, v7, v10, v6
	v_lshrrev_b32_e32 v12, 16, v6
.LBB816_738:
	s_or_b64 exec, exec, s[26:27]
.LBB816_739:
	s_or_b64 exec, exec, s[24:25]
.LBB816_740:
	s_or_b64 exec, exec, s[14:15]
	v_lshrrev_b16_e32 v6, 8, v8
	v_cmp_ne_u16_e64 s[12:13], 0, v6
	v_mov_b32_e32 v13, 0
	v_mov_b32_e32 v11, 0
	s_and_saveexec_b64 s[14:15], s[12:13]
	s_cbranch_execz .LBB816_746
; %bb.741:
	s_movk_i32 s11, 0x80
	v_cmp_ne_u16_e64 s[12:13], s11, v6
	v_mov_b32_e32 v11, 0xffff8000
	s_and_saveexec_b64 s[24:25], s[12:13]
	s_cbranch_execz .LBB816_745
; %bb.742:
	s_movk_i32 s11, 0x7f
	v_and_b32_e32 v7, 0x7f, v6
	v_cmp_ne_u32_e64 s[12:13], s11, v7
	v_mov_b32_e32 v11, 0x7f80
	s_and_saveexec_b64 s[26:27], s[12:13]
	s_cbranch_execz .LBB816_744
; %bb.743:
	v_and_b32_e32 v14, 7, v6
	v_ffbh_u32_e32 v10, v14
	v_min_u32_e32 v16, 32, v10
	v_subrev_u32_e32 v10, 28, v16
	v_lshlrev_b64 v[10:11], v10, v[6:7]
	v_lshrrev_b32_e32 v15, 3, v7
	v_sub_u32_e32 v6, 29, v16
	v_and_b32_e32 v10, 7, v10
	v_cmp_gt_u32_e64 s[12:13], 8, v7
	v_cndmask_b32_e64 v6, v15, v6, s[12:13]
	v_cndmask_b32_e64 v7, v14, v10, s[12:13]
	v_lshlrev_b32_e32 v10, 16, v8
	v_bfrev_b32_e32 v11, 60
	v_lshlrev_b32_e32 v7, 20, v7
	v_and_b32_e32 v10, 0x80000000, v10
	v_lshl_add_u32 v6, v6, 23, v11
	v_or3_b32 v6, v10, v6, v7
	v_lshrrev_b32_e32 v11, 16, v6
.LBB816_744:
	s_or_b64 exec, exec, s[26:27]
.LBB816_745:
	s_or_b64 exec, exec, s[24:25]
.LBB816_746:
	s_or_b64 exec, exec, s[14:15]
	s_movk_i32 s11, 0xff
	v_and_b32_sdwa v7, v8, s11 dst_sel:DWORD dst_unused:UNUSED_PAD src0_sel:WORD_1 src1_sel:DWORD
	v_lshrrev_b32_e32 v6, 16, v8
	v_cmp_ne_u16_e64 s[12:13], 0, v7
	s_and_saveexec_b64 s[14:15], s[12:13]
	s_cbranch_execz .LBB816_752
; %bb.747:
	s_movk_i32 s11, 0x80
	v_cmp_ne_u16_e64 s[12:13], s11, v7
	v_mov_b32_e32 v13, 0xffff8000
	s_and_saveexec_b64 s[24:25], s[12:13]
	s_cbranch_execz .LBB816_751
; %bb.748:
	v_bfe_u32 v7, v8, 16, 7
	s_movk_i32 s11, 0x7f
	v_cmp_ne_u32_e64 s[12:13], s11, v7
	v_mov_b32_e32 v13, 0x7f80
	s_and_saveexec_b64 s[26:27], s[12:13]
	s_cbranch_execz .LBB816_750
; %bb.749:
	v_and_b32_e32 v10, 7, v6
	v_ffbh_u32_e32 v14, v10
	v_min_u32_e32 v16, 32, v14
	v_subrev_u32_e32 v14, 28, v16
	v_lshlrev_b64 v[14:15], v14, v[6:7]
	v_and_b32_e32 v14, 7, v14
	v_cmp_gt_u32_e64 s[12:13], 8, v7
	v_lshrrev_b32_e32 v13, 3, v7
	v_sub_u32_e32 v6, 29, v16
	v_cndmask_b32_e64 v7, v10, v14, s[12:13]
	v_mov_b32_e32 v10, 24
	v_cndmask_b32_e64 v6, v13, v6, s[12:13]
	v_lshlrev_b32_sdwa v10, v10, v8 dst_sel:DWORD dst_unused:UNUSED_PAD src0_sel:DWORD src1_sel:WORD_1
	v_bfrev_b32_e32 v13, 60
	v_lshlrev_b32_e32 v7, 20, v7
	v_and_b32_e32 v10, 0x80000000, v10
	v_lshl_add_u32 v6, v6, 23, v13
	v_or3_b32 v6, v10, v6, v7
	v_lshrrev_b32_e32 v13, 16, v6
.LBB816_750:
	s_or_b64 exec, exec, s[26:27]
.LBB816_751:
	s_or_b64 exec, exec, s[24:25]
.LBB816_752:
	s_or_b64 exec, exec, s[14:15]
	s_mov_b32 s11, 0xffffff
	v_cmp_lt_u32_e64 s[12:13], s11, v8
	v_mov_b32_e32 v7, 0
	v_mov_b32_e32 v14, 0
	s_and_saveexec_b64 s[14:15], s[12:13]
	s_cbranch_execz .LBB816_758
; %bb.753:
	v_lshrrev_b32_e32 v6, 24, v8
	s_movk_i32 s11, 0x80
	v_cmp_ne_u32_e64 s[12:13], s11, v6
	v_mov_b32_e32 v14, 0xffff8000
	s_and_saveexec_b64 s[24:25], s[12:13]
	s_cbranch_execz .LBB816_757
; %bb.754:
	v_bfe_u32 v10, v8, 24, 7
	s_movk_i32 s11, 0x7f
	v_cmp_ne_u32_e64 s[12:13], s11, v10
	v_mov_b32_e32 v14, 0x7f80
	s_and_saveexec_b64 s[26:27], s[12:13]
	s_cbranch_execz .LBB816_756
; %bb.755:
	v_and_b32_e32 v16, 7, v6
	v_ffbh_u32_e32 v14, v16
	v_min_u32_e32 v18, 32, v14
	v_subrev_u32_e32 v14, 28, v18
	v_lshlrev_b64 v[14:15], v14, v[6:7]
	v_lshrrev_b32_e32 v17, 3, v10
	v_sub_u32_e32 v15, 29, v18
	v_and_b32_e32 v14, 7, v14
	v_cmp_gt_u32_e64 s[12:13], 8, v10
	v_cndmask_b32_e64 v10, v17, v15, s[12:13]
	v_cndmask_b32_e64 v14, v16, v14, s[12:13]
	v_lshlrev_b32_e32 v6, 24, v6
	v_bfrev_b32_e32 v15, 60
	v_lshlrev_b32_e32 v14, 20, v14
	v_and_b32_e32 v6, 0x80000000, v6
	v_lshl_add_u32 v10, v10, 23, v15
	v_or3_b32 v6, v6, v10, v14
	v_lshrrev_b32_e32 v14, 16, v6
.LBB816_756:
	s_or_b64 exec, exec, s[26:27]
.LBB816_757:
	s_or_b64 exec, exec, s[24:25]
.LBB816_758:
	s_or_b64 exec, exec, s[14:15]
	v_mov_b32_e32 v6, v9
	v_cmp_ne_u16_sdwa s[12:13], v9, v7 src0_sel:BYTE_0 src1_sel:DWORD
	s_and_saveexec_b64 s[14:15], s[12:13]
	s_cbranch_execz .LBB816_764
; %bb.759:
	s_movk_i32 s11, 0x80
	v_cmp_ne_u16_sdwa s[12:13], v9, s11 src0_sel:BYTE_0 src1_sel:DWORD
	v_mov_b32_e32 v10, 0xffff8000
	s_and_saveexec_b64 s[24:25], s[12:13]
	s_cbranch_execz .LBB816_763
; %bb.760:
	s_movk_i32 s11, 0x7f
	v_and_b32_e32 v15, 0x7f, v9
	v_cmp_ne_u32_e64 s[12:13], s11, v15
	v_mov_b32_e32 v10, 0x7f80
	s_and_saveexec_b64 s[26:27], s[12:13]
	s_cbranch_execz .LBB816_762
; %bb.761:
	v_and_b32_e32 v10, 7, v9
	v_ffbh_u32_e32 v10, v10
	v_min_u32_e32 v10, 32, v10
	v_subrev_u32_e32 v17, 28, v10
	v_cmp_gt_u32_e64 s[12:13], 8, v15
	v_lshrrev_b32_e32 v16, 3, v15
	v_sub_u32_e32 v10, 29, v10
	v_cndmask_b32_e64 v15, 0, v17, s[12:13]
	v_cndmask_b32_e64 v10, v16, v10, s[12:13]
	v_lshlrev_b64 v[16:17], v15, v[6:7]
	v_lshlrev_b32_e32 v7, 20, v16
	v_lshlrev_b32_e32 v15, 24, v6
	v_bfrev_b32_e32 v16, 60
	v_and_b32_e32 v7, 0x700000, v7
	v_and_b32_e32 v15, 0x80000000, v15
	v_lshl_add_u32 v10, v10, 23, v16
	v_or3_b32 v7, v15, v10, v7
	v_lshrrev_b32_e32 v10, 16, v7
.LBB816_762:
	s_or_b64 exec, exec, s[26:27]
.LBB816_763:
	s_or_b64 exec, exec, s[24:25]
	v_mov_b32_e32 v7, v10
.LBB816_764:
	s_or_b64 exec, exec, s[14:15]
	v_lshrrev_b16_e32 v10, 8, v6
	v_cmp_ne_u16_e64 s[12:13], 0, v10
	v_mov_b32_e32 v16, 0
	v_mov_b32_e32 v15, 0
	s_and_saveexec_b64 s[14:15], s[12:13]
	s_cbranch_execz .LBB816_770
; %bb.765:
	s_movk_i32 s11, 0x80
	v_cmp_ne_u16_e64 s[12:13], s11, v10
	v_mov_b32_e32 v15, 0xffff8000
	s_and_saveexec_b64 s[24:25], s[12:13]
	s_cbranch_execz .LBB816_769
; %bb.766:
	s_movk_i32 s11, 0x7f
	v_and_b32_e32 v17, 0x7f, v10
	v_cmp_ne_u32_e64 s[12:13], s11, v17
	v_mov_b32_e32 v15, 0x7f80
	s_and_saveexec_b64 s[26:27], s[12:13]
	s_cbranch_execz .LBB816_768
; %bb.767:
	v_and_b32_e32 v15, 7, v10
	v_ffbh_u32_e32 v18, v15
	v_min_u32_e32 v21, 32, v18
	v_subrev_u32_e32 v18, 28, v21
	v_lshlrev_b64 v[18:19], v18, v[10:11]
	v_lshrrev_b32_e32 v20, 3, v17
	v_sub_u32_e32 v10, 29, v21
	v_and_b32_e32 v18, 7, v18
	v_cmp_gt_u32_e64 s[12:13], 8, v17
	v_cndmask_b32_e64 v10, v20, v10, s[12:13]
	v_cndmask_b32_e64 v15, v15, v18, s[12:13]
	v_lshlrev_b32_e32 v6, 16, v6
	v_bfrev_b32_e32 v17, 60
	v_lshlrev_b32_e32 v15, 20, v15
	v_and_b32_e32 v6, 0x80000000, v6
	v_lshl_add_u32 v10, v10, 23, v17
	v_or3_b32 v6, v6, v10, v15
	v_lshrrev_b32_e32 v15, 16, v6
.LBB816_768:
	s_or_b64 exec, exec, s[26:27]
.LBB816_769:
	s_or_b64 exec, exec, s[24:25]
.LBB816_770:
	s_or_b64 exec, exec, s[14:15]
	s_movk_i32 s11, 0xff
	v_and_b32_sdwa v10, v9, s11 dst_sel:DWORD dst_unused:UNUSED_PAD src0_sel:WORD_1 src1_sel:DWORD
	v_lshrrev_b32_e32 v6, 16, v9
	v_cmp_ne_u16_e64 s[12:13], 0, v10
	s_and_saveexec_b64 s[14:15], s[12:13]
	s_cbranch_execz .LBB816_776
; %bb.771:
	s_movk_i32 s11, 0x80
	v_cmp_ne_u16_e64 s[12:13], s11, v10
	v_mov_b32_e32 v16, 0xffff8000
	s_and_saveexec_b64 s[24:25], s[12:13]
	s_cbranch_execz .LBB816_775
; %bb.772:
	v_bfe_u32 v10, v9, 16, 7
	s_movk_i32 s11, 0x7f
	v_cmp_ne_u32_e64 s[12:13], s11, v10
	v_mov_b32_e32 v16, 0x7f80
	s_and_saveexec_b64 s[26:27], s[12:13]
	s_cbranch_execz .LBB816_774
; %bb.773:
	v_and_b32_e32 v18, 7, v6
	v_ffbh_u32_e32 v16, v18
	v_min_u32_e32 v20, 32, v16
	v_subrev_u32_e32 v16, 28, v20
	v_lshlrev_b64 v[16:17], v16, v[6:7]
	v_and_b32_e32 v16, 7, v16
	v_cmp_gt_u32_e64 s[12:13], 8, v10
	v_lshrrev_b32_e32 v19, 3, v10
	v_sub_u32_e32 v6, 29, v20
	v_cndmask_b32_e64 v10, v18, v16, s[12:13]
	v_mov_b32_e32 v16, 24
	v_cndmask_b32_e64 v6, v19, v6, s[12:13]
	v_lshlrev_b32_sdwa v16, v16, v9 dst_sel:DWORD dst_unused:UNUSED_PAD src0_sel:DWORD src1_sel:WORD_1
	v_bfrev_b32_e32 v17, 60
	v_lshlrev_b32_e32 v10, 20, v10
	v_and_b32_e32 v16, 0x80000000, v16
	v_lshl_add_u32 v6, v6, 23, v17
	v_or3_b32 v6, v16, v6, v10
	v_lshrrev_b32_e32 v16, 16, v6
.LBB816_774:
	s_or_b64 exec, exec, s[26:27]
.LBB816_775:
	s_or_b64 exec, exec, s[24:25]
.LBB816_776:
	s_or_b64 exec, exec, s[14:15]
	s_mov_b32 s12, -1
	s_mov_b32 s13, 0xffffff
	v_cmp_lt_u64_e64 s[12:13], s[12:13], v[8:9]
	v_mov_b32_e32 v8, 0
	s_and_saveexec_b64 s[14:15], s[12:13]
	s_cbranch_execz .LBB816_782
; %bb.777:
	v_lshrrev_b32_e32 v6, 24, v9
	s_movk_i32 s11, 0x80
	v_cmp_ne_u32_e64 s[12:13], s11, v6
	v_mov_b32_e32 v8, 0xffff8000
	s_and_saveexec_b64 s[24:25], s[12:13]
	s_cbranch_execz .LBB816_781
; %bb.778:
	v_bfe_u32 v9, v9, 24, 7
	s_movk_i32 s11, 0x7f
	v_cmp_ne_u32_e64 s[12:13], s11, v9
	v_mov_b32_e32 v8, 0x7f80
	s_and_saveexec_b64 s[26:27], s[12:13]
	s_cbranch_execz .LBB816_780
; %bb.779:
	v_and_b32_e32 v8, 7, v6
	v_ffbh_u32_e32 v17, v8
	v_min_u32_e32 v17, 32, v17
	v_subrev_u32_e32 v18, 28, v17
	v_lshlrev_b64 v[18:19], v18, v[6:7]
	v_lshrrev_b32_e32 v10, 3, v9
	v_sub_u32_e32 v17, 29, v17
	v_and_b32_e32 v18, 7, v18
	v_cmp_gt_u32_e64 s[12:13], 8, v9
	v_cndmask_b32_e64 v9, v10, v17, s[12:13]
	v_cndmask_b32_e64 v8, v8, v18, s[12:13]
	v_lshlrev_b32_e32 v6, 24, v6
	v_bfrev_b32_e32 v10, 60
	v_lshlrev_b32_e32 v8, 20, v8
	v_and_b32_e32 v6, 0x80000000, v6
	v_lshl_add_u32 v9, v9, 23, v10
	v_or3_b32 v6, v6, v9, v8
	v_lshrrev_b32_e32 v8, 16, v6
.LBB816_780:
	s_or_b64 exec, exec, s[26:27]
.LBB816_781:
	s_or_b64 exec, exec, s[24:25]
.LBB816_782:
	s_or_b64 exec, exec, s[14:15]
	s_load_dword s4, s[4:5], 0x1c
	s_mov_b32 s5, 0x5040100
	v_perm_b32 v13, v14, v13, s5
	v_perm_b32 v12, v11, v12, s5
	;; [unrolled: 1-line block ×4, first 2 shown]
	v_mfma_f32_4x4x4bf16_1k a[0:3], v[2:3], v[12:13], a[0:3] cbsz:4 abid:15
	s_load_dword s5, s[16:17], 0x0
	v_mfma_f32_4x4x4bf16_1k a[0:3], v[4:5], v[8:9], a[0:3] cbsz:4 abid:15
	s_waitcnt lgkmcnt(0)
	v_mov_b32_e32 v2, s4
	v_mul_f32_e32 v4, s5, v2
	v_cmp_eq_u32_e64 s[4:5], 0, v43
	s_nop 0
	v_accvgpr_read_b32 v7, a1
	v_accvgpr_read_b32 v6, a0
	v_pk_mul_f32 v[6:7], v[6:7], v[4:5] op_sel_hi:[1,0]
	v_accvgpr_read_b32 v3, a3
	v_accvgpr_read_b32 v2, a2
	v_pk_mul_f32 v[2:3], v[2:3], v[4:5] op_sel_hi:[1,0]
	v_cndmask_b32_e64 v4, 0, 1.0, s[4:5]
	v_cmp_eq_u32_e64 s[4:5], 1, v43
	s_nop 0
	v_mfma_f32_4x4x1f32 a[0:3], v6, v4, 0
	v_cndmask_b32_e64 v4, 0, 1.0, s[4:5]
	v_cmp_eq_u32_e64 s[4:5], 2, v43
	v_mov_b32_e32 v6, 0xff7fffff
	v_mfma_f32_4x4x1f32 a[0:3], v7, v4, a[0:3]
	v_cndmask_b32_e64 v4, 0, 1.0, s[4:5]
	s_nop 1
	v_mfma_f32_4x4x1f32 a[0:3], v2, v4, a[0:3]
	v_cndmask_b32_e64 v2, 0, 1.0, vcc
	s_nop 1
	v_mfma_f32_4x4x1f32 a[0:3], v3, v2, a[0:3]
	v_and_b32_e32 v2, -4, v44
	v_cmp_gt_i32_e32 vcc, s9, v2
	v_lshlrev_b32_e32 v3, 2, v0
	v_and_or_b32 v3, v3, 48, v43
	v_lshlrev_b32_e32 v10, 2, v3
	v_accvgpr_read_b32 v4, a0
	v_max_f32_e32 v5, v4, v4
	v_max_f32_e32 v5, 0xff7fffff, v5
	v_accvgpr_read_b32 v7, a1
	v_cndmask_b32_e32 v5, v6, v5, vcc
	v_or_b32_e32 v6, 1, v2
	v_max_f32_e32 v8, v7, v7
	v_max_f32_e32 v8, v5, v8
	v_cmp_gt_i32_e64 s[4:5], s9, v6
	v_cndmask_b32_e64 v5, v5, v8, s[4:5]
	v_accvgpr_read_b32 v8, a2
	v_or_b32_e32 v2, 2, v2
	v_max_f32_e32 v6, v8, v8
	v_max_f32_e32 v6, v5, v6
	v_cmp_gt_i32_e64 s[12:13], s9, v2
	v_accvgpr_read_b32 v9, a3
	v_cndmask_b32_e64 v2, v5, v6, s[12:13]
	v_or_b32_e32 v5, 3, v44
	v_max_f32_e32 v6, v9, v9
	v_max_f32_e32 v6, v2, v6
	v_cmp_gt_i32_e64 s[14:15], s9, v5
	v_cndmask_b32_e64 v2, v2, v6, s[14:15]
	;;#ASMSTART
	v_nop
 v_nop
 v_max_f32_dpp v2, v2, v2 row_ror:4
	;;#ASMEND
	;;#ASMSTART
	v_nop
 v_nop
 v_max_f32_dpp v2, v2, v2 row_ror:8
	;;#ASMEND
	ds_bpermute_b32 v2, v10, v2
	s_waitcnt lgkmcnt(0)
	;;#ASMSTART
	v_nop
 v_nop
 v_max_f32_dpp v2, v2, v2 row_ror:4
	;;#ASMEND
	;;#ASMSTART
	v_nop
 v_nop
 v_max_f32_dpp v6, v2, v2 row_ror:8
	;;#ASMEND
	v_sub_f32_e32 v2, v4, v6
	v_mul_f32_e32 v2, 0x3fb8aa3b, v2
	v_sub_f32_e32 v3, v7, v6
	v_exp_f32_e32 v2, v2
	v_mul_f32_e32 v3, 0x3fb8aa3b, v3
	v_sub_f32_e32 v5, v8, v6
	v_exp_f32_e32 v3, v3
	;; [unrolled: 3-line block ×3, first 2 shown]
	v_mul_f32_e32 v7, 0x3fb8aa3b, v7
	v_exp_f32_e32 v7, v7
	v_cndmask_b32_e32 v2, 0, v2, vcc
	v_add_f32_e32 v4, 0, v2
	v_cndmask_b32_e64 v3, 0, v3, s[4:5]
	v_add_f32_e32 v8, v4, v3
	v_cndmask_b32_e64 v4, 0, v5, s[12:13]
	;; [unrolled: 2-line block ×3, first 2 shown]
	v_add_f32_e32 v7, v8, v5
	;;#ASMSTART
	v_nop
 v_nop
 v_add_f32_dpp v7, v7, v7 row_ror:4
	;;#ASMEND
	;;#ASMSTART
	v_nop
 v_nop
 v_add_f32_dpp v7, v7, v7 row_ror:8
	;;#ASMEND
	ds_bpermute_b32 v7, v10, v7
	s_waitcnt lgkmcnt(0)
	;;#ASMSTART
	v_nop
 v_nop
 v_add_f32_dpp v7, v7, v7 row_ror:4
	;;#ASMEND
	v_cmp_gt_u32_e32 vcc, 4, v1
	;;#ASMSTART
	v_nop
 v_nop
 v_add_f32_dpp v7, v7, v7 row_ror:8
	;;#ASMEND
	s_and_saveexec_b64 s[4:5], vcc
	s_cbranch_execz .LBB816_784
; %bb.783:
	v_mul_u32_u24_e32 v8, 20, v42
	v_lshl_add_u32 v8, v43, 2, v8
	v_add_u32_e32 v8, 0x1400, v8
	ds_write2_b32 v8, v6, v7 offset1:20
.LBB816_784:
	s_or_b64 exec, exec, s[4:5]
.LBB816_785:
	s_or_b64 exec, exec, s[40:41]
	s_waitcnt lgkmcnt(0)
	s_barrier
	s_load_dword s4, s[38:39], 0x8
	v_lshlrev_b32_e32 v7, 2, v43
	v_add_u32_e32 v7, 0x1400, v7
	ds_read2_b32 v[10:11], v7 offset1:5
	ds_read2_b32 v[12:13], v7 offset0:10 offset1:15
	s_mul_i32 s5, s8, s33
	s_waitcnt lgkmcnt(0)
	s_mul_i32 s4, s5, s4
	s_mov_b32 s5, 0xff7fffff
	v_max3_f32 v8, v10, s5, v11
	v_max3_f32 v8, v8, v12, v13
	v_sub_f32_e32 v9, v10, v8
	v_sub_f32_e32 v10, v11, v8
	ds_read2_b32 v[14:15], v7 offset0:20 offset1:25
	v_mul_f32_e32 v9, 0x3fb8aa3b, v9
	v_mul_f32_e32 v10, 0x3fb8aa3b, v10
	v_exp_f32_e32 v9, v9
	v_exp_f32_e32 v16, v10
	ds_read2_b32 v[10:11], v7 offset0:30 offset1:35
	v_sub_f32_e32 v7, v12, v8
	v_mul_f32_e32 v7, 0x3fb8aa3b, v7
	v_sub_f32_e32 v12, v13, v8
	v_exp_f32_e32 v7, v7
	v_mul_f32_e32 v12, 0x3fb8aa3b, v12
	v_exp_f32_e32 v12, v12
	s_waitcnt lgkmcnt(1)
	v_fma_f32 v9, v9, v14, 0
	v_fmac_f32_e32 v9, v16, v15
	s_waitcnt lgkmcnt(0)
	v_fmac_f32_e32 v9, v7, v10
	s_mul_i32 s24, s10, 3
	s_mul_i32 s4, s4, 3
	v_fmac_f32_e32 v9, v12, v11
	v_cmp_ne_u32_e32 vcc, 3, v43
	s_and_saveexec_b64 s[8:9], vcc
	s_cbranch_execz .LBB816_787
; %bb.786:
	s_mov_b32 s5, 0
	s_lshl_b64 s[10:11], s[4:5], 2
	s_add_u32 s14, s20, s10
	s_mov_b32 s35, s5
	s_addc_u32 s15, s21, s11
	s_lshl_b64 s[12:13], s[34:35], 2
	s_add_u32 s5, s14, s12
	s_addc_u32 s14, s15, s13
	v_add_u32_e32 v7, s24, v43
	s_add_u32 s10, s22, s10
	v_mul_lo_u32 v10, s33, v7
	v_mov_b32_e32 v11, 0
	s_addc_u32 s11, s23, s11
	v_lshlrev_b64 v[10:11], 2, v[10:11]
	s_add_u32 s10, s10, s12
	v_mov_b32_e32 v7, s14
	v_add_co_u32_e32 v12, vcc, s5, v10
	s_addc_u32 s11, s11, s13
	v_addc_co_u32_e32 v13, vcc, v7, v11, vcc
	v_mov_b32_e32 v7, s11
	v_add_co_u32_e32 v10, vcc, s10, v10
	v_addc_co_u32_e32 v11, vcc, v7, v11, vcc
	global_store_dword v[10:11], v8, off
	global_store_dword v[12:13], v9, off
.LBB816_787:
	s_or_b64 exec, exec, s[8:9]
	v_lshlrev_b32_e32 v7, 3, v42
	s_and_saveexec_b64 s[8:9], s[6:7]
	s_xor_b64 s[6:7], exec, s[8:9]
	s_cbranch_execz .LBB816_789
; %bb.788:
	s_mov_b32 s8, 0
	s_mov_b32 s9, s8
	v_mad_u32_u24 v4, v1, 40, v7
	v_pk_mov_b32 v[2:3], s[8:9], s[8:9] op_sel:[0,1]
	ds_write2st64_b64 v4, v[2:3], v[2:3] offset1:5
                                        ; implicit-def: $vgpr7
                                        ; implicit-def: $vgpr9
                                        ; implicit-def: $vgpr6
                                        ; implicit-def: $vgpr8
                                        ; implicit-def: $vgpr4
                                        ; implicit-def: $vgpr2
.LBB816_789:
	s_andn2_saveexec_b64 s[6:7], s[6:7]
	s_cbranch_execz .LBB816_1176
; %bb.790:
	v_add_f32_e32 v9, 0x358637bd, v9
	v_div_scale_f32 v10, s[8:9], v9, v9, 1.0
	v_rcp_f32_e32 v11, v10
	v_div_scale_f32 v12, vcc, 1.0, v9, 1.0
	v_sub_f32_e32 v6, v6, v8
	v_fma_f32 v13, -v10, v11, 1.0
	v_fmac_f32_e32 v11, v13, v11
	v_mul_f32_e32 v13, v12, v11
	v_fma_f32 v14, -v10, v13, v12
	v_mul_f32_e32 v6, 0x3fb8aa3b, v6
	v_fmac_f32_e32 v13, v14, v11
	v_exp_f32_e32 v6, v6
	v_fma_f32 v10, -v10, v13, v12
	v_div_fmas_f32 v8, v10, v11, v13
	v_div_fixup_f32 v8, v8, v9, 1.0
	v_mul_f32_e32 v6, v6, v8
	v_pk_mul_f32 v[2:3], v[2:3], v[6:7] op_sel_hi:[1,0]
	s_load_dword s8, s[18:19], 0x0
	v_pk_mul_f32 v[4:5], v[4:5], v[6:7] op_sel_hi:[1,0]
	v_bfe_u32 v6, v3, 16, 1
	v_bfe_u32 v8, v2, 16, 1
	s_movk_i32 s5, 0x7fff
	v_add3_u32 v2, v2, v8, s5
	v_add3_u32 v3, v3, v6, s5
	s_mov_b32 s20, 0x7060302
	v_perm_b32 v2, v3, v2, s20
	v_bfe_u32 v3, v5, 16, 1
	v_bfe_u32 v6, v4, 16, 1
	v_add3_u32 v4, v4, v6, s5
	v_add3_u32 v3, v5, v3, s5
	v_mov_b32_e32 v11, 0
	v_perm_b32 v3, v3, v4, s20
	v_add_u32_e32 v5, 64, v11
	s_waitcnt lgkmcnt(0)
	s_mov_b32 s9, s8
	s_mov_b32 s10, s8
	;; [unrolled: 1-line block ×4, first 2 shown]
	s_mov_b64 s[12:13], -1
	s_movk_i32 s21, 0x80
	s_movk_i32 s23, 0x7f
	s_mov_b32 s25, 0xffffff
	s_mov_b32 s26, 0x5040100
	v_mov_b32_e32 v9, 0
	v_bfrev_b32_e32 v10, 60
	s_branch .LBB816_794
.LBB816_791:                            ;   in Loop: Header=BB816_794 Depth=1
	s_or_b64 exec, exec, s[18:19]
.LBB816_792:                            ;   in Loop: Header=BB816_794 Depth=1
	s_or_b64 exec, exec, s[16:17]
.LBB816_793:                            ;   in Loop: Header=BB816_794 Depth=1
	s_or_b64 exec, exec, s[14:15]
	v_perm_b32 v19, v15, v12, s26
	v_perm_b32 v18, v11, v13, s26
	v_perm_b32 v13, v17, v16, s26
	v_perm_b32 v12, v8, v14, s26
	v_mfma_f32_4x4x4bf16_1k a[0:3], v[2:3], v[18:19], a[0:3] cbsz:4 abid:14
	s_mul_i32 s14, s22, 0xa00
	v_mfma_f32_4x4x4bf16_1k a[0:3], v[2:3], v[12:13], a[0:3] cbsz:4 abid:15
	s_mov_b32 s22, 1
	v_mov_b32_e32 v11, v5
	s_nop 2
	v_accvgpr_read_b32 v15, a1
	v_accvgpr_read_b32 v14, a0
	v_pk_mul_f32 v[14:15], v[14:15], s[8:9]
	v_accvgpr_read_b32 v13, a3
	v_accvgpr_read_b32 v12, a2
	v_bfe_u32 v4, v15, 16, 1
	v_bfe_u32 v6, v14, 16, 1
	v_pk_mul_f32 v[12:13], v[12:13], s[10:11]
	v_add3_u32 v6, v14, v6, s5
	v_add3_u32 v4, v15, v4, s5
	v_perm_b32 v14, v4, v6, s20
	v_bfe_u32 v4, v13, 16, 1
	v_bfe_u32 v6, v12, 16, 1
	v_add3_u32 v6, v12, v6, s5
	v_add3_u32 v4, v13, v4, s5
	v_perm_b32 v15, v4, v6, s20
	v_mul_u32_u24_e32 v4, 40, v1
	v_add3_u32 v4, s14, v4, v7
	s_xor_b64 s[14:15], s[12:13], -1
	s_mov_b64 s[12:13], 0
	s_andn2_b64 vcc, exec, s[14:15]
	ds_write_b64 v4, v[14:15]
	s_cbranch_vccz .LBB816_1176
.LBB816_794:                            ; =>This Inner Loop Header: Depth=1
	buffer_load_dword v6, v11, s[0:3], 0 offen
	buffer_load_dword v4, v11, s[0:3], 0 offen offset:4
	v_mov_b32_e32 v13, 0
	s_waitcnt vmcnt(1)
	v_cmp_ne_u16_sdwa s[16:17], v6, v9 src0_sel:BYTE_0 src1_sel:DWORD
	s_and_saveexec_b64 s[14:15], s[16:17]
	s_cbranch_execz .LBB816_800
; %bb.795:                              ;   in Loop: Header=BB816_794 Depth=1
	v_cmp_ne_u16_sdwa s[18:19], v6, s21 src0_sel:BYTE_0 src1_sel:DWORD
	v_mov_b32_e32 v13, 0xffff8000
	s_and_saveexec_b64 s[16:17], s[18:19]
	s_cbranch_execz .LBB816_799
; %bb.796:                              ;   in Loop: Header=BB816_794 Depth=1
	v_and_b32_e32 v8, 0x7f, v6
	v_cmp_ne_u32_e32 vcc, s23, v8
	v_mov_b32_e32 v13, 0x7f80
	s_and_saveexec_b64 s[18:19], vcc
	s_cbranch_execz .LBB816_798
; %bb.797:                              ;   in Loop: Header=BB816_794 Depth=1
	v_and_b32_e32 v14, 7, v6
	v_ffbh_u32_e32 v12, v14
	v_min_u32_e32 v16, 32, v12
	v_subrev_u32_e32 v12, 28, v16
	v_lshlrev_b64 v[12:13], v12, v[6:7]
	v_lshrrev_b32_e32 v15, 3, v8
	v_sub_u32_e32 v13, 29, v16
	v_and_b32_e32 v12, 7, v12
	v_cmp_gt_u32_e32 vcc, 8, v8
	v_cndmask_b32_e32 v8, v15, v13, vcc
	v_cndmask_b32_e32 v12, v14, v12, vcc
	v_lshlrev_b32_e32 v13, 24, v6
	v_lshlrev_b32_e32 v12, 20, v12
	v_and_b32_e32 v13, 0x80000000, v13
	v_lshl_add_u32 v8, v8, 23, v10
	v_or3_b32 v8, v13, v8, v12
	v_lshrrev_b32_e32 v13, 16, v8
.LBB816_798:                            ;   in Loop: Header=BB816_794 Depth=1
	s_or_b64 exec, exec, s[18:19]
.LBB816_799:                            ;   in Loop: Header=BB816_794 Depth=1
	s_or_b64 exec, exec, s[16:17]
.LBB816_800:                            ;   in Loop: Header=BB816_794 Depth=1
	s_or_b64 exec, exec, s[14:15]
	v_lshrrev_b16_e32 v8, 8, v6
	v_cmp_ne_u16_e32 vcc, 0, v8
	v_mov_b32_e32 v15, 0
	v_mov_b32_e32 v14, 0
	s_and_saveexec_b64 s[14:15], vcc
	s_cbranch_execz .LBB816_806
; %bb.801:                              ;   in Loop: Header=BB816_794 Depth=1
	v_cmp_ne_u16_e32 vcc, s21, v8
	v_mov_b32_e32 v14, 0xffff8000
	s_and_saveexec_b64 s[16:17], vcc
	s_cbranch_execz .LBB816_805
; %bb.802:                              ;   in Loop: Header=BB816_794 Depth=1
	v_and_b32_e32 v12, 0x7f, v8
	v_cmp_ne_u32_e32 vcc, s23, v12
	v_mov_b32_e32 v14, 0x7f80
	s_and_saveexec_b64 s[18:19], vcc
	s_cbranch_execz .LBB816_804
; %bb.803:                              ;   in Loop: Header=BB816_794 Depth=1
	v_and_b32_e32 v14, 7, v8
	v_ffbh_u32_e32 v16, v14
	v_min_u32_e32 v19, 32, v16
	v_subrev_u32_e32 v16, 28, v19
	v_lshlrev_b64 v[16:17], v16, v[8:9]
	v_lshrrev_b32_e32 v18, 3, v12
	v_sub_u32_e32 v8, 29, v19
	v_and_b32_e32 v16, 7, v16
	v_cmp_gt_u32_e32 vcc, 8, v12
	v_cndmask_b32_e32 v8, v18, v8, vcc
	v_cndmask_b32_e32 v12, v14, v16, vcc
	v_lshlrev_b32_e32 v14, 16, v6
	v_lshlrev_b32_e32 v12, 20, v12
	v_and_b32_e32 v14, 0x80000000, v14
	v_lshl_add_u32 v8, v8, 23, v10
	v_or3_b32 v8, v14, v8, v12
	v_lshrrev_b32_e32 v14, 16, v8
.LBB816_804:                            ;   in Loop: Header=BB816_794 Depth=1
	s_or_b64 exec, exec, s[18:19]
.LBB816_805:                            ;   in Loop: Header=BB816_794 Depth=1
	s_or_b64 exec, exec, s[16:17]
.LBB816_806:                            ;   in Loop: Header=BB816_794 Depth=1
	s_or_b64 exec, exec, s[14:15]
	v_lshrrev_b32_e32 v8, 16, v6
	v_cmp_ne_u16_sdwa s[16:17], v8, v9 src0_sel:BYTE_0 src1_sel:DWORD
	s_and_saveexec_b64 s[14:15], s[16:17]
	s_cbranch_execz .LBB816_812
; %bb.807:                              ;   in Loop: Header=BB816_794 Depth=1
	v_cmp_ne_u16_sdwa s[18:19], v8, s21 src0_sel:BYTE_0 src1_sel:DWORD
	v_mov_b32_e32 v15, 0xffff8000
	s_and_saveexec_b64 s[16:17], s[18:19]
	s_cbranch_execz .LBB816_811
; %bb.808:                              ;   in Loop: Header=BB816_794 Depth=1
	v_bfe_u32 v12, v6, 16, 7
	v_cmp_ne_u32_e32 vcc, s23, v12
	v_mov_b32_e32 v15, 0x7f80
	s_and_saveexec_b64 s[18:19], vcc
	s_cbranch_execz .LBB816_810
; %bb.809:                              ;   in Loop: Header=BB816_794 Depth=1
	v_and_b32_e32 v15, 7, v8
	v_ffbh_u32_e32 v16, v15
	v_min_u32_e32 v19, 32, v16
	v_subrev_u32_e32 v16, 28, v19
	v_lshlrev_b64 v[16:17], v16, v[8:9]
	v_lshrrev_b32_e32 v18, 3, v12
	v_sub_u32_e32 v17, 29, v19
	v_and_b32_e32 v16, 7, v16
	v_cmp_gt_u32_e32 vcc, 8, v12
	v_cndmask_b32_e32 v12, v18, v17, vcc
	v_cndmask_b32_e32 v15, v15, v16, vcc
	v_lshlrev_b32_e32 v8, 24, v8
	v_lshlrev_b32_e32 v15, 20, v15
	v_and_b32_e32 v8, 0x80000000, v8
	v_lshl_add_u32 v12, v12, 23, v10
	v_or3_b32 v8, v8, v12, v15
	v_lshrrev_b32_e32 v15, 16, v8
.LBB816_810:                            ;   in Loop: Header=BB816_794 Depth=1
	s_or_b64 exec, exec, s[18:19]
.LBB816_811:                            ;   in Loop: Header=BB816_794 Depth=1
	s_or_b64 exec, exec, s[16:17]
.LBB816_812:                            ;   in Loop: Header=BB816_794 Depth=1
	s_or_b64 exec, exec, s[14:15]
	v_cmp_lt_u32_e32 vcc, s25, v6
	v_mov_b32_e32 v16, 0
	v_mov_b32_e32 v17, 0
	s_and_saveexec_b64 s[14:15], vcc
	s_cbranch_execz .LBB816_818
; %bb.813:                              ;   in Loop: Header=BB816_794 Depth=1
	v_lshrrev_b32_e32 v8, 24, v6
	v_cmp_ne_u32_e32 vcc, s21, v8
	v_mov_b32_e32 v17, 0xffff8000
	s_and_saveexec_b64 s[16:17], vcc
	s_cbranch_execz .LBB816_817
; %bb.814:                              ;   in Loop: Header=BB816_794 Depth=1
	v_bfe_u32 v6, v6, 24, 7
	v_cmp_ne_u32_e32 vcc, s23, v6
	v_mov_b32_e32 v17, 0x7f80
	s_and_saveexec_b64 s[18:19], vcc
	s_cbranch_execz .LBB816_816
; %bb.815:                              ;   in Loop: Header=BB816_794 Depth=1
	v_and_b32_e32 v12, 7, v8
	v_ffbh_u32_e32 v18, v12
	v_min_u32_e32 v20, 32, v18
	v_subrev_u32_e32 v18, 28, v20
	v_lshlrev_b64 v[18:19], v18, v[8:9]
	v_lshrrev_b32_e32 v17, 3, v6
	v_sub_u32_e32 v19, 29, v20
	v_and_b32_e32 v18, 7, v18
	v_cmp_gt_u32_e32 vcc, 8, v6
	v_cndmask_b32_e32 v6, v17, v19, vcc
	v_cndmask_b32_e32 v12, v12, v18, vcc
	v_lshlrev_b32_e32 v8, 24, v8
	v_lshlrev_b32_e32 v12, 20, v12
	v_and_b32_e32 v8, 0x80000000, v8
	v_lshl_add_u32 v6, v6, 23, v10
	v_or3_b32 v6, v8, v6, v12
	v_lshrrev_b32_e32 v17, 16, v6
.LBB816_816:                            ;   in Loop: Header=BB816_794 Depth=1
	s_or_b64 exec, exec, s[18:19]
.LBB816_817:                            ;   in Loop: Header=BB816_794 Depth=1
	s_or_b64 exec, exec, s[16:17]
.LBB816_818:                            ;   in Loop: Header=BB816_794 Depth=1
	s_or_b64 exec, exec, s[14:15]
	s_waitcnt vmcnt(0)
	v_cmp_ne_u16_sdwa s[16:17], v4, v9 src0_sel:BYTE_0 src1_sel:DWORD
	s_and_saveexec_b64 s[14:15], s[16:17]
	s_cbranch_execz .LBB816_824
; %bb.819:                              ;   in Loop: Header=BB816_794 Depth=1
	v_cmp_ne_u16_sdwa s[18:19], v4, s21 src0_sel:BYTE_0 src1_sel:DWORD
	v_mov_b32_e32 v16, 0xffff8000
	s_and_saveexec_b64 s[16:17], s[18:19]
	s_cbranch_execz .LBB816_823
; %bb.820:                              ;   in Loop: Header=BB816_794 Depth=1
	v_and_b32_e32 v6, 0x7f, v4
	v_cmp_ne_u32_e32 vcc, s23, v6
	v_mov_b32_e32 v16, 0x7f80
	s_and_saveexec_b64 s[18:19], vcc
	s_cbranch_execz .LBB816_822
; %bb.821:                              ;   in Loop: Header=BB816_794 Depth=1
	v_and_b32_e32 v8, 7, v4
	v_ffbh_u32_e32 v16, v8
	v_min_u32_e32 v16, 32, v16
	v_subrev_u32_e32 v18, 28, v16
	v_lshlrev_b64 v[18:19], v18, v[4:5]
	v_lshrrev_b32_e32 v12, 3, v6
	v_sub_u32_e32 v16, 29, v16
	v_and_b32_e32 v18, 7, v18
	v_cmp_gt_u32_e32 vcc, 8, v6
	v_cndmask_b32_e32 v6, v12, v16, vcc
	v_cndmask_b32_e32 v8, v8, v18, vcc
	v_lshlrev_b32_e32 v12, 24, v4
	v_lshlrev_b32_e32 v8, 20, v8
	v_and_b32_e32 v12, 0x80000000, v12
	v_lshl_add_u32 v6, v6, 23, v10
	v_or3_b32 v6, v12, v6, v8
	v_lshrrev_b32_e32 v16, 16, v6
.LBB816_822:                            ;   in Loop: Header=BB816_794 Depth=1
	s_or_b64 exec, exec, s[18:19]
.LBB816_823:                            ;   in Loop: Header=BB816_794 Depth=1
	s_or_b64 exec, exec, s[16:17]
.LBB816_824:                            ;   in Loop: Header=BB816_794 Depth=1
	s_or_b64 exec, exec, s[14:15]
	v_lshrrev_b16_e32 v6, 8, v4
	v_cmp_ne_u16_e32 vcc, 0, v6
	v_mov_b32_e32 v18, 0
	v_mov_b32_e32 v8, 0
	s_and_saveexec_b64 s[14:15], vcc
	s_cbranch_execz .LBB816_830
; %bb.825:                              ;   in Loop: Header=BB816_794 Depth=1
	v_cmp_ne_u16_e32 vcc, s21, v6
	v_mov_b32_e32 v8, 0xffff8000
	s_and_saveexec_b64 s[16:17], vcc
	s_cbranch_execz .LBB816_829
; %bb.826:                              ;   in Loop: Header=BB816_794 Depth=1
	v_and_b32_e32 v12, 0x7f, v6
	v_cmp_ne_u32_e32 vcc, s23, v12
	v_mov_b32_e32 v8, 0x7f80
	s_and_saveexec_b64 s[18:19], vcc
	s_cbranch_execz .LBB816_828
; %bb.827:                              ;   in Loop: Header=BB816_794 Depth=1
	v_and_b32_e32 v8, 7, v6
	v_ffbh_u32_e32 v20, v8
	v_min_u32_e32 v22, 32, v20
	v_subrev_u32_e32 v20, 28, v22
	v_lshlrev_b64 v[20:21], v20, v[6:7]
	v_lshrrev_b32_e32 v19, 3, v12
	v_sub_u32_e32 v6, 29, v22
	v_and_b32_e32 v20, 7, v20
	v_cmp_gt_u32_e32 vcc, 8, v12
	v_cndmask_b32_e32 v6, v19, v6, vcc
	v_cndmask_b32_e32 v8, v8, v20, vcc
	v_lshlrev_b32_e32 v12, 16, v4
	v_lshlrev_b32_e32 v8, 20, v8
	v_and_b32_e32 v12, 0x80000000, v12
	v_lshl_add_u32 v6, v6, 23, v10
	v_or3_b32 v6, v12, v6, v8
	v_lshrrev_b32_e32 v8, 16, v6
.LBB816_828:                            ;   in Loop: Header=BB816_794 Depth=1
	s_or_b64 exec, exec, s[18:19]
.LBB816_829:                            ;   in Loop: Header=BB816_794 Depth=1
	s_or_b64 exec, exec, s[16:17]
.LBB816_830:                            ;   in Loop: Header=BB816_794 Depth=1
	s_or_b64 exec, exec, s[14:15]
	v_lshrrev_b32_e32 v6, 16, v4
	v_cmp_ne_u16_sdwa s[16:17], v6, v9 src0_sel:BYTE_0 src1_sel:DWORD
	s_and_saveexec_b64 s[14:15], s[16:17]
	s_cbranch_execz .LBB816_836
; %bb.831:                              ;   in Loop: Header=BB816_794 Depth=1
	v_cmp_ne_u16_sdwa s[18:19], v6, s21 src0_sel:BYTE_0 src1_sel:DWORD
	v_mov_b32_e32 v18, 0xffff8000
	s_and_saveexec_b64 s[16:17], s[18:19]
	s_cbranch_execz .LBB816_835
; %bb.832:                              ;   in Loop: Header=BB816_794 Depth=1
	v_bfe_u32 v12, v4, 16, 7
	v_cmp_ne_u32_e32 vcc, s23, v12
	v_mov_b32_e32 v18, 0x7f80
	s_and_saveexec_b64 s[18:19], vcc
	s_cbranch_execz .LBB816_834
; %bb.833:                              ;   in Loop: Header=BB816_794 Depth=1
	v_and_b32_e32 v20, 7, v6
	v_ffbh_u32_e32 v18, v20
	v_min_u32_e32 v22, 32, v18
	v_subrev_u32_e32 v18, 28, v22
	v_lshlrev_b64 v[18:19], v18, v[6:7]
	v_lshrrev_b32_e32 v21, 3, v12
	v_sub_u32_e32 v19, 29, v22
	v_and_b32_e32 v18, 7, v18
	v_cmp_gt_u32_e32 vcc, 8, v12
	v_cndmask_b32_e32 v12, v21, v19, vcc
	v_cndmask_b32_e32 v18, v20, v18, vcc
	v_lshlrev_b32_e32 v6, 24, v6
	v_lshlrev_b32_e32 v18, 20, v18
	v_and_b32_e32 v6, 0x80000000, v6
	v_lshl_add_u32 v12, v12, 23, v10
	v_or3_b32 v6, v6, v12, v18
	v_lshrrev_b32_e32 v18, 16, v6
.LBB816_834:                            ;   in Loop: Header=BB816_794 Depth=1
	s_or_b64 exec, exec, s[18:19]
.LBB816_835:                            ;   in Loop: Header=BB816_794 Depth=1
	s_or_b64 exec, exec, s[16:17]
.LBB816_836:                            ;   in Loop: Header=BB816_794 Depth=1
	s_or_b64 exec, exec, s[14:15]
	v_cmp_lt_u32_e32 vcc, s25, v4
	v_mov_b32_e32 v12, 0
	v_mov_b32_e32 v19, 0
	s_and_saveexec_b64 s[14:15], vcc
	s_cbranch_execz .LBB816_842
; %bb.837:                              ;   in Loop: Header=BB816_794 Depth=1
	v_lshrrev_b32_e32 v6, 24, v4
	v_cmp_ne_u32_e32 vcc, s21, v6
	v_mov_b32_e32 v19, 0xffff8000
	s_and_saveexec_b64 s[16:17], vcc
	s_cbranch_execz .LBB816_841
; %bb.838:                              ;   in Loop: Header=BB816_794 Depth=1
	v_bfe_u32 v4, v4, 24, 7
	v_cmp_ne_u32_e32 vcc, s23, v4
	v_mov_b32_e32 v19, 0x7f80
	s_and_saveexec_b64 s[18:19], vcc
	s_cbranch_execz .LBB816_840
; %bb.839:                              ;   in Loop: Header=BB816_794 Depth=1
	v_and_b32_e32 v19, 7, v6
	v_ffbh_u32_e32 v20, v19
	v_min_u32_e32 v23, 32, v20
	v_subrev_u32_e32 v20, 28, v23
	v_lshlrev_b64 v[20:21], v20, v[6:7]
	v_lshrrev_b32_e32 v22, 3, v4
	v_sub_u32_e32 v21, 29, v23
	v_and_b32_e32 v20, 7, v20
	v_cmp_gt_u32_e32 vcc, 8, v4
	v_cndmask_b32_e32 v4, v22, v21, vcc
	v_cndmask_b32_e32 v19, v19, v20, vcc
	v_lshlrev_b32_e32 v6, 24, v6
	v_lshlrev_b32_e32 v19, 20, v19
	v_and_b32_e32 v6, 0x80000000, v6
	v_lshl_add_u32 v4, v4, 23, v10
	v_or3_b32 v4, v6, v4, v19
	v_lshrrev_b32_e32 v19, 16, v4
.LBB816_840:                            ;   in Loop: Header=BB816_794 Depth=1
	s_or_b64 exec, exec, s[18:19]
.LBB816_841:                            ;   in Loop: Header=BB816_794 Depth=1
	s_or_b64 exec, exec, s[16:17]
.LBB816_842:                            ;   in Loop: Header=BB816_794 Depth=1
	s_or_b64 exec, exec, s[14:15]
	buffer_load_dword v6, v11, s[0:3], 0 offen offset:8
	buffer_load_dword v4, v11, s[0:3], 0 offen offset:12
	v_perm_b32 v15, v17, v15, s26
	v_perm_b32 v14, v14, v13, s26
	;; [unrolled: 1-line block ×4, first 2 shown]
	v_mfma_f32_4x4x4bf16_1k a[0:3], v[2:3], v[14:15], 0 cbsz:4
	s_waitcnt vmcnt(1)
	v_cmp_ne_u16_sdwa s[16:17], v6, v9 src0_sel:BYTE_0 src1_sel:DWORD
	v_mfma_f32_4x4x4bf16_1k a[0:3], v[2:3], v[16:17], a[0:3] cbsz:4 abid:1
	s_and_saveexec_b64 s[14:15], s[16:17]
	s_cbranch_execz .LBB816_848
; %bb.843:                              ;   in Loop: Header=BB816_794 Depth=1
	v_cmp_ne_u16_sdwa s[18:19], v6, s21 src0_sel:BYTE_0 src1_sel:DWORD
	v_mov_b32_e32 v12, 0xffff8000
	s_and_saveexec_b64 s[16:17], s[18:19]
	s_cbranch_execz .LBB816_847
; %bb.844:                              ;   in Loop: Header=BB816_794 Depth=1
	v_and_b32_e32 v8, 0x7f, v6
	v_cmp_ne_u32_e32 vcc, s23, v8
	v_mov_b32_e32 v12, 0x7f80
	s_and_saveexec_b64 s[18:19], vcc
	s_cbranch_execz .LBB816_846
; %bb.845:                              ;   in Loop: Header=BB816_794 Depth=1
	v_and_b32_e32 v14, 7, v6
	v_ffbh_u32_e32 v12, v14
	v_min_u32_e32 v16, 32, v12
	v_subrev_u32_e32 v12, 28, v16
	v_lshlrev_b64 v[12:13], v12, v[6:7]
	v_lshrrev_b32_e32 v15, 3, v8
	v_sub_u32_e32 v13, 29, v16
	v_and_b32_e32 v12, 7, v12
	v_cmp_gt_u32_e32 vcc, 8, v8
	v_cndmask_b32_e32 v8, v15, v13, vcc
	v_cndmask_b32_e32 v12, v14, v12, vcc
	v_lshlrev_b32_e32 v13, 24, v6
	v_lshlrev_b32_e32 v12, 20, v12
	v_and_b32_e32 v13, 0x80000000, v13
	v_lshl_add_u32 v8, v8, 23, v10
	v_or3_b32 v8, v13, v8, v12
	v_lshrrev_b32_e32 v12, 16, v8
.LBB816_846:                            ;   in Loop: Header=BB816_794 Depth=1
	s_or_b64 exec, exec, s[18:19]
.LBB816_847:                            ;   in Loop: Header=BB816_794 Depth=1
	s_or_b64 exec, exec, s[16:17]
.LBB816_848:                            ;   in Loop: Header=BB816_794 Depth=1
	s_or_b64 exec, exec, s[14:15]
	v_lshrrev_b16_e32 v8, 8, v6
	v_cmp_ne_u16_e32 vcc, 0, v8
	v_mov_b32_e32 v15, 0
	v_mov_b32_e32 v14, 0
	s_and_saveexec_b64 s[14:15], vcc
	s_cbranch_execz .LBB816_854
; %bb.849:                              ;   in Loop: Header=BB816_794 Depth=1
	v_cmp_ne_u16_e32 vcc, s21, v8
	v_mov_b32_e32 v14, 0xffff8000
	s_and_saveexec_b64 s[16:17], vcc
	s_cbranch_execz .LBB816_853
; %bb.850:                              ;   in Loop: Header=BB816_794 Depth=1
	v_and_b32_e32 v13, 0x7f, v8
	v_cmp_ne_u32_e32 vcc, s23, v13
	v_mov_b32_e32 v14, 0x7f80
	s_and_saveexec_b64 s[18:19], vcc
	s_cbranch_execz .LBB816_852
; %bb.851:                              ;   in Loop: Header=BB816_794 Depth=1
	v_and_b32_e32 v14, 7, v8
	v_ffbh_u32_e32 v16, v14
	v_min_u32_e32 v19, 32, v16
	v_subrev_u32_e32 v16, 28, v19
	v_lshlrev_b64 v[16:17], v16, v[8:9]
	v_lshrrev_b32_e32 v18, 3, v13
	v_sub_u32_e32 v8, 29, v19
	v_and_b32_e32 v16, 7, v16
	v_cmp_gt_u32_e32 vcc, 8, v13
	v_cndmask_b32_e32 v8, v18, v8, vcc
	v_cndmask_b32_e32 v13, v14, v16, vcc
	v_lshlrev_b32_e32 v14, 16, v6
	v_lshlrev_b32_e32 v13, 20, v13
	v_and_b32_e32 v14, 0x80000000, v14
	v_lshl_add_u32 v8, v8, 23, v10
	v_or3_b32 v8, v14, v8, v13
	v_lshrrev_b32_e32 v14, 16, v8
.LBB816_852:                            ;   in Loop: Header=BB816_794 Depth=1
	s_or_b64 exec, exec, s[18:19]
.LBB816_853:                            ;   in Loop: Header=BB816_794 Depth=1
	s_or_b64 exec, exec, s[16:17]
.LBB816_854:                            ;   in Loop: Header=BB816_794 Depth=1
	s_or_b64 exec, exec, s[14:15]
	v_lshrrev_b32_e32 v8, 16, v6
	v_cmp_ne_u16_sdwa s[16:17], v8, v9 src0_sel:BYTE_0 src1_sel:DWORD
	s_and_saveexec_b64 s[14:15], s[16:17]
	s_cbranch_execz .LBB816_860
; %bb.855:                              ;   in Loop: Header=BB816_794 Depth=1
	v_cmp_ne_u16_sdwa s[18:19], v8, s21 src0_sel:BYTE_0 src1_sel:DWORD
	v_mov_b32_e32 v15, 0xffff8000
	s_and_saveexec_b64 s[16:17], s[18:19]
	s_cbranch_execz .LBB816_859
; %bb.856:                              ;   in Loop: Header=BB816_794 Depth=1
	v_bfe_u32 v13, v6, 16, 7
	v_cmp_ne_u32_e32 vcc, s23, v13
	v_mov_b32_e32 v15, 0x7f80
	s_and_saveexec_b64 s[18:19], vcc
	s_cbranch_execz .LBB816_858
; %bb.857:                              ;   in Loop: Header=BB816_794 Depth=1
	v_and_b32_e32 v15, 7, v8
	v_ffbh_u32_e32 v16, v15
	v_min_u32_e32 v19, 32, v16
	v_subrev_u32_e32 v16, 28, v19
	v_lshlrev_b64 v[16:17], v16, v[8:9]
	v_lshrrev_b32_e32 v18, 3, v13
	v_sub_u32_e32 v17, 29, v19
	v_and_b32_e32 v16, 7, v16
	v_cmp_gt_u32_e32 vcc, 8, v13
	v_cndmask_b32_e32 v13, v18, v17, vcc
	v_cndmask_b32_e32 v15, v15, v16, vcc
	v_lshlrev_b32_e32 v8, 24, v8
	v_lshlrev_b32_e32 v15, 20, v15
	v_and_b32_e32 v8, 0x80000000, v8
	v_lshl_add_u32 v13, v13, 23, v10
	v_or3_b32 v8, v8, v13, v15
	v_lshrrev_b32_e32 v15, 16, v8
.LBB816_858:                            ;   in Loop: Header=BB816_794 Depth=1
	s_or_b64 exec, exec, s[18:19]
.LBB816_859:                            ;   in Loop: Header=BB816_794 Depth=1
	s_or_b64 exec, exec, s[16:17]
.LBB816_860:                            ;   in Loop: Header=BB816_794 Depth=1
	s_or_b64 exec, exec, s[14:15]
	v_cmp_lt_u32_e32 vcc, s25, v6
	v_mov_b32_e32 v16, 0
	v_mov_b32_e32 v17, 0
	s_and_saveexec_b64 s[14:15], vcc
	s_cbranch_execz .LBB816_866
; %bb.861:                              ;   in Loop: Header=BB816_794 Depth=1
	v_lshrrev_b32_e32 v8, 24, v6
	v_cmp_ne_u32_e32 vcc, s21, v8
	v_mov_b32_e32 v17, 0xffff8000
	s_and_saveexec_b64 s[16:17], vcc
	s_cbranch_execz .LBB816_865
; %bb.862:                              ;   in Loop: Header=BB816_794 Depth=1
	v_bfe_u32 v6, v6, 24, 7
	v_cmp_ne_u32_e32 vcc, s23, v6
	v_mov_b32_e32 v17, 0x7f80
	s_and_saveexec_b64 s[18:19], vcc
	s_cbranch_execz .LBB816_864
; %bb.863:                              ;   in Loop: Header=BB816_794 Depth=1
	v_and_b32_e32 v13, 7, v8
	v_ffbh_u32_e32 v18, v13
	v_min_u32_e32 v20, 32, v18
	v_subrev_u32_e32 v18, 28, v20
	v_lshlrev_b64 v[18:19], v18, v[8:9]
	v_lshrrev_b32_e32 v17, 3, v6
	v_sub_u32_e32 v19, 29, v20
	v_and_b32_e32 v18, 7, v18
	v_cmp_gt_u32_e32 vcc, 8, v6
	v_cndmask_b32_e32 v6, v17, v19, vcc
	v_cndmask_b32_e32 v13, v13, v18, vcc
	v_lshlrev_b32_e32 v8, 24, v8
	v_lshlrev_b32_e32 v13, 20, v13
	v_and_b32_e32 v8, 0x80000000, v8
	v_lshl_add_u32 v6, v6, 23, v10
	v_or3_b32 v6, v8, v6, v13
	v_lshrrev_b32_e32 v17, 16, v6
.LBB816_864:                            ;   in Loop: Header=BB816_794 Depth=1
	s_or_b64 exec, exec, s[18:19]
.LBB816_865:                            ;   in Loop: Header=BB816_794 Depth=1
	s_or_b64 exec, exec, s[16:17]
.LBB816_866:                            ;   in Loop: Header=BB816_794 Depth=1
	s_or_b64 exec, exec, s[14:15]
	s_waitcnt vmcnt(0)
	v_cmp_ne_u16_sdwa s[16:17], v4, v9 src0_sel:BYTE_0 src1_sel:DWORD
	s_and_saveexec_b64 s[14:15], s[16:17]
	s_cbranch_execz .LBB816_872
; %bb.867:                              ;   in Loop: Header=BB816_794 Depth=1
	v_cmp_ne_u16_sdwa s[18:19], v4, s21 src0_sel:BYTE_0 src1_sel:DWORD
	v_mov_b32_e32 v16, 0xffff8000
	s_and_saveexec_b64 s[16:17], s[18:19]
	s_cbranch_execz .LBB816_871
; %bb.868:                              ;   in Loop: Header=BB816_794 Depth=1
	v_and_b32_e32 v6, 0x7f, v4
	v_cmp_ne_u32_e32 vcc, s23, v6
	v_mov_b32_e32 v16, 0x7f80
	s_and_saveexec_b64 s[18:19], vcc
	s_cbranch_execz .LBB816_870
; %bb.869:                              ;   in Loop: Header=BB816_794 Depth=1
	v_and_b32_e32 v8, 7, v4
	v_ffbh_u32_e32 v16, v8
	v_min_u32_e32 v16, 32, v16
	v_subrev_u32_e32 v18, 28, v16
	v_lshlrev_b64 v[18:19], v18, v[4:5]
	v_lshrrev_b32_e32 v13, 3, v6
	v_sub_u32_e32 v16, 29, v16
	v_and_b32_e32 v18, 7, v18
	v_cmp_gt_u32_e32 vcc, 8, v6
	v_cndmask_b32_e32 v6, v13, v16, vcc
	v_cndmask_b32_e32 v8, v8, v18, vcc
	v_lshlrev_b32_e32 v13, 24, v4
	v_lshlrev_b32_e32 v8, 20, v8
	v_and_b32_e32 v13, 0x80000000, v13
	v_lshl_add_u32 v6, v6, 23, v10
	v_or3_b32 v6, v13, v6, v8
	v_lshrrev_b32_e32 v16, 16, v6
.LBB816_870:                            ;   in Loop: Header=BB816_794 Depth=1
	s_or_b64 exec, exec, s[18:19]
.LBB816_871:                            ;   in Loop: Header=BB816_794 Depth=1
	s_or_b64 exec, exec, s[16:17]
.LBB816_872:                            ;   in Loop: Header=BB816_794 Depth=1
	s_or_b64 exec, exec, s[14:15]
	v_lshrrev_b16_e32 v6, 8, v4
	v_cmp_ne_u16_e32 vcc, 0, v6
	v_mov_b32_e32 v18, 0
	v_mov_b32_e32 v8, 0
	s_and_saveexec_b64 s[14:15], vcc
	s_cbranch_execz .LBB816_878
; %bb.873:                              ;   in Loop: Header=BB816_794 Depth=1
	v_cmp_ne_u16_e32 vcc, s21, v6
	v_mov_b32_e32 v8, 0xffff8000
	s_and_saveexec_b64 s[16:17], vcc
	s_cbranch_execz .LBB816_877
; %bb.874:                              ;   in Loop: Header=BB816_794 Depth=1
	v_and_b32_e32 v13, 0x7f, v6
	v_cmp_ne_u32_e32 vcc, s23, v13
	v_mov_b32_e32 v8, 0x7f80
	s_and_saveexec_b64 s[18:19], vcc
	s_cbranch_execz .LBB816_876
; %bb.875:                              ;   in Loop: Header=BB816_794 Depth=1
	v_and_b32_e32 v8, 7, v6
	v_ffbh_u32_e32 v20, v8
	v_min_u32_e32 v22, 32, v20
	v_subrev_u32_e32 v20, 28, v22
	v_lshlrev_b64 v[20:21], v20, v[6:7]
	v_lshrrev_b32_e32 v19, 3, v13
	v_sub_u32_e32 v6, 29, v22
	v_and_b32_e32 v20, 7, v20
	v_cmp_gt_u32_e32 vcc, 8, v13
	v_cndmask_b32_e32 v6, v19, v6, vcc
	v_cndmask_b32_e32 v8, v8, v20, vcc
	v_lshlrev_b32_e32 v13, 16, v4
	v_lshlrev_b32_e32 v8, 20, v8
	v_and_b32_e32 v13, 0x80000000, v13
	v_lshl_add_u32 v6, v6, 23, v10
	v_or3_b32 v6, v13, v6, v8
	v_lshrrev_b32_e32 v8, 16, v6
.LBB816_876:                            ;   in Loop: Header=BB816_794 Depth=1
	s_or_b64 exec, exec, s[18:19]
.LBB816_877:                            ;   in Loop: Header=BB816_794 Depth=1
	s_or_b64 exec, exec, s[16:17]
.LBB816_878:                            ;   in Loop: Header=BB816_794 Depth=1
	s_or_b64 exec, exec, s[14:15]
	v_lshrrev_b32_e32 v6, 16, v4
	v_cmp_ne_u16_sdwa s[16:17], v6, v9 src0_sel:BYTE_0 src1_sel:DWORD
	s_and_saveexec_b64 s[14:15], s[16:17]
	s_cbranch_execz .LBB816_884
; %bb.879:                              ;   in Loop: Header=BB816_794 Depth=1
	v_cmp_ne_u16_sdwa s[18:19], v6, s21 src0_sel:BYTE_0 src1_sel:DWORD
	v_mov_b32_e32 v18, 0xffff8000
	s_and_saveexec_b64 s[16:17], s[18:19]
	s_cbranch_execz .LBB816_883
; %bb.880:                              ;   in Loop: Header=BB816_794 Depth=1
	v_bfe_u32 v13, v4, 16, 7
	v_cmp_ne_u32_e32 vcc, s23, v13
	v_mov_b32_e32 v18, 0x7f80
	s_and_saveexec_b64 s[18:19], vcc
	s_cbranch_execz .LBB816_882
; %bb.881:                              ;   in Loop: Header=BB816_794 Depth=1
	v_and_b32_e32 v20, 7, v6
	v_ffbh_u32_e32 v18, v20
	v_min_u32_e32 v22, 32, v18
	v_subrev_u32_e32 v18, 28, v22
	v_lshlrev_b64 v[18:19], v18, v[6:7]
	v_lshrrev_b32_e32 v21, 3, v13
	v_sub_u32_e32 v19, 29, v22
	v_and_b32_e32 v18, 7, v18
	v_cmp_gt_u32_e32 vcc, 8, v13
	v_cndmask_b32_e32 v13, v21, v19, vcc
	v_cndmask_b32_e32 v18, v20, v18, vcc
	v_lshlrev_b32_e32 v6, 24, v6
	v_lshlrev_b32_e32 v18, 20, v18
	v_and_b32_e32 v6, 0x80000000, v6
	v_lshl_add_u32 v13, v13, 23, v10
	v_or3_b32 v6, v6, v13, v18
	v_lshrrev_b32_e32 v18, 16, v6
.LBB816_882:                            ;   in Loop: Header=BB816_794 Depth=1
	s_or_b64 exec, exec, s[18:19]
.LBB816_883:                            ;   in Loop: Header=BB816_794 Depth=1
	s_or_b64 exec, exec, s[16:17]
.LBB816_884:                            ;   in Loop: Header=BB816_794 Depth=1
	s_or_b64 exec, exec, s[14:15]
	v_cmp_lt_u32_e32 vcc, s25, v4
	v_mov_b32_e32 v13, 0
	v_mov_b32_e32 v19, 0
	s_and_saveexec_b64 s[14:15], vcc
	s_cbranch_execz .LBB816_890
; %bb.885:                              ;   in Loop: Header=BB816_794 Depth=1
	v_lshrrev_b32_e32 v6, 24, v4
	v_cmp_ne_u32_e32 vcc, s21, v6
	v_mov_b32_e32 v19, 0xffff8000
	s_and_saveexec_b64 s[16:17], vcc
	s_cbranch_execz .LBB816_889
; %bb.886:                              ;   in Loop: Header=BB816_794 Depth=1
	v_bfe_u32 v4, v4, 24, 7
	v_cmp_ne_u32_e32 vcc, s23, v4
	v_mov_b32_e32 v19, 0x7f80
	s_and_saveexec_b64 s[18:19], vcc
	s_cbranch_execz .LBB816_888
; %bb.887:                              ;   in Loop: Header=BB816_794 Depth=1
	v_and_b32_e32 v19, 7, v6
	v_ffbh_u32_e32 v20, v19
	v_min_u32_e32 v23, 32, v20
	v_subrev_u32_e32 v20, 28, v23
	v_lshlrev_b64 v[20:21], v20, v[6:7]
	v_lshrrev_b32_e32 v22, 3, v4
	v_sub_u32_e32 v21, 29, v23
	v_and_b32_e32 v20, 7, v20
	v_cmp_gt_u32_e32 vcc, 8, v4
	v_cndmask_b32_e32 v4, v22, v21, vcc
	v_cndmask_b32_e32 v19, v19, v20, vcc
	v_lshlrev_b32_e32 v6, 24, v6
	v_lshlrev_b32_e32 v19, 20, v19
	v_and_b32_e32 v6, 0x80000000, v6
	v_lshl_add_u32 v4, v4, 23, v10
	v_or3_b32 v4, v6, v4, v19
	v_lshrrev_b32_e32 v19, 16, v4
.LBB816_888:                            ;   in Loop: Header=BB816_794 Depth=1
	s_or_b64 exec, exec, s[18:19]
.LBB816_889:                            ;   in Loop: Header=BB816_794 Depth=1
	s_or_b64 exec, exec, s[16:17]
.LBB816_890:                            ;   in Loop: Header=BB816_794 Depth=1
	s_or_b64 exec, exec, s[14:15]
	buffer_load_dword v6, v11, s[0:3], 0 offen offset:16
	buffer_load_dword v4, v11, s[0:3], 0 offen offset:20
	v_perm_b32 v15, v17, v15, s26
	v_perm_b32 v14, v14, v12, s26
	;; [unrolled: 1-line block ×4, first 2 shown]
	v_mfma_f32_4x4x4bf16_1k a[0:3], v[2:3], v[14:15], a[0:3] cbsz:4 abid:2
	s_waitcnt vmcnt(1)
	v_cmp_ne_u16_sdwa s[16:17], v6, v9 src0_sel:BYTE_0 src1_sel:DWORD
	v_mfma_f32_4x4x4bf16_1k a[0:3], v[2:3], v[16:17], a[0:3] cbsz:4 abid:3
	s_and_saveexec_b64 s[14:15], s[16:17]
	s_cbranch_execz .LBB816_896
; %bb.891:                              ;   in Loop: Header=BB816_794 Depth=1
	v_cmp_ne_u16_sdwa s[18:19], v6, s21 src0_sel:BYTE_0 src1_sel:DWORD
	v_mov_b32_e32 v13, 0xffff8000
	s_and_saveexec_b64 s[16:17], s[18:19]
	s_cbranch_execz .LBB816_895
; %bb.892:                              ;   in Loop: Header=BB816_794 Depth=1
	v_and_b32_e32 v8, 0x7f, v6
	v_cmp_ne_u32_e32 vcc, s23, v8
	v_mov_b32_e32 v13, 0x7f80
	s_and_saveexec_b64 s[18:19], vcc
	s_cbranch_execz .LBB816_894
; %bb.893:                              ;   in Loop: Header=BB816_794 Depth=1
	v_and_b32_e32 v14, 7, v6
	v_ffbh_u32_e32 v12, v14
	v_min_u32_e32 v16, 32, v12
	v_subrev_u32_e32 v12, 28, v16
	v_lshlrev_b64 v[12:13], v12, v[6:7]
	v_lshrrev_b32_e32 v15, 3, v8
	v_sub_u32_e32 v13, 29, v16
	v_and_b32_e32 v12, 7, v12
	v_cmp_gt_u32_e32 vcc, 8, v8
	v_cndmask_b32_e32 v8, v15, v13, vcc
	v_cndmask_b32_e32 v12, v14, v12, vcc
	v_lshlrev_b32_e32 v13, 24, v6
	v_lshlrev_b32_e32 v12, 20, v12
	v_and_b32_e32 v13, 0x80000000, v13
	v_lshl_add_u32 v8, v8, 23, v10
	v_or3_b32 v8, v13, v8, v12
	v_lshrrev_b32_e32 v13, 16, v8
.LBB816_894:                            ;   in Loop: Header=BB816_794 Depth=1
	s_or_b64 exec, exec, s[18:19]
.LBB816_895:                            ;   in Loop: Header=BB816_794 Depth=1
	s_or_b64 exec, exec, s[16:17]
.LBB816_896:                            ;   in Loop: Header=BB816_794 Depth=1
	s_or_b64 exec, exec, s[14:15]
	v_lshrrev_b16_e32 v8, 8, v6
	v_cmp_ne_u16_e32 vcc, 0, v8
	v_mov_b32_e32 v15, 0
	v_mov_b32_e32 v14, 0
	s_and_saveexec_b64 s[14:15], vcc
	s_cbranch_execz .LBB816_902
; %bb.897:                              ;   in Loop: Header=BB816_794 Depth=1
	v_cmp_ne_u16_e32 vcc, s21, v8
	v_mov_b32_e32 v14, 0xffff8000
	s_and_saveexec_b64 s[16:17], vcc
	s_cbranch_execz .LBB816_901
; %bb.898:                              ;   in Loop: Header=BB816_794 Depth=1
	v_and_b32_e32 v12, 0x7f, v8
	v_cmp_ne_u32_e32 vcc, s23, v12
	v_mov_b32_e32 v14, 0x7f80
	s_and_saveexec_b64 s[18:19], vcc
	s_cbranch_execz .LBB816_900
; %bb.899:                              ;   in Loop: Header=BB816_794 Depth=1
	v_and_b32_e32 v14, 7, v8
	v_ffbh_u32_e32 v16, v14
	v_min_u32_e32 v19, 32, v16
	v_subrev_u32_e32 v16, 28, v19
	v_lshlrev_b64 v[16:17], v16, v[8:9]
	v_lshrrev_b32_e32 v18, 3, v12
	v_sub_u32_e32 v8, 29, v19
	v_and_b32_e32 v16, 7, v16
	v_cmp_gt_u32_e32 vcc, 8, v12
	v_cndmask_b32_e32 v8, v18, v8, vcc
	v_cndmask_b32_e32 v12, v14, v16, vcc
	v_lshlrev_b32_e32 v14, 16, v6
	v_lshlrev_b32_e32 v12, 20, v12
	v_and_b32_e32 v14, 0x80000000, v14
	v_lshl_add_u32 v8, v8, 23, v10
	v_or3_b32 v8, v14, v8, v12
	v_lshrrev_b32_e32 v14, 16, v8
.LBB816_900:                            ;   in Loop: Header=BB816_794 Depth=1
	s_or_b64 exec, exec, s[18:19]
.LBB816_901:                            ;   in Loop: Header=BB816_794 Depth=1
	s_or_b64 exec, exec, s[16:17]
.LBB816_902:                            ;   in Loop: Header=BB816_794 Depth=1
	s_or_b64 exec, exec, s[14:15]
	v_lshrrev_b32_e32 v8, 16, v6
	v_cmp_ne_u16_sdwa s[16:17], v8, v9 src0_sel:BYTE_0 src1_sel:DWORD
	s_and_saveexec_b64 s[14:15], s[16:17]
	s_cbranch_execz .LBB816_908
; %bb.903:                              ;   in Loop: Header=BB816_794 Depth=1
	v_cmp_ne_u16_sdwa s[18:19], v8, s21 src0_sel:BYTE_0 src1_sel:DWORD
	v_mov_b32_e32 v15, 0xffff8000
	s_and_saveexec_b64 s[16:17], s[18:19]
	s_cbranch_execz .LBB816_907
; %bb.904:                              ;   in Loop: Header=BB816_794 Depth=1
	v_bfe_u32 v12, v6, 16, 7
	v_cmp_ne_u32_e32 vcc, s23, v12
	v_mov_b32_e32 v15, 0x7f80
	s_and_saveexec_b64 s[18:19], vcc
	s_cbranch_execz .LBB816_906
; %bb.905:                              ;   in Loop: Header=BB816_794 Depth=1
	v_and_b32_e32 v15, 7, v8
	v_ffbh_u32_e32 v16, v15
	v_min_u32_e32 v19, 32, v16
	v_subrev_u32_e32 v16, 28, v19
	v_lshlrev_b64 v[16:17], v16, v[8:9]
	v_lshrrev_b32_e32 v18, 3, v12
	v_sub_u32_e32 v17, 29, v19
	v_and_b32_e32 v16, 7, v16
	v_cmp_gt_u32_e32 vcc, 8, v12
	v_cndmask_b32_e32 v12, v18, v17, vcc
	v_cndmask_b32_e32 v15, v15, v16, vcc
	v_lshlrev_b32_e32 v8, 24, v8
	v_lshlrev_b32_e32 v15, 20, v15
	v_and_b32_e32 v8, 0x80000000, v8
	v_lshl_add_u32 v12, v12, 23, v10
	v_or3_b32 v8, v8, v12, v15
	v_lshrrev_b32_e32 v15, 16, v8
.LBB816_906:                            ;   in Loop: Header=BB816_794 Depth=1
	s_or_b64 exec, exec, s[18:19]
.LBB816_907:                            ;   in Loop: Header=BB816_794 Depth=1
	s_or_b64 exec, exec, s[16:17]
.LBB816_908:                            ;   in Loop: Header=BB816_794 Depth=1
	s_or_b64 exec, exec, s[14:15]
	v_cmp_lt_u32_e32 vcc, s25, v6
	v_mov_b32_e32 v16, 0
	v_mov_b32_e32 v17, 0
	s_and_saveexec_b64 s[14:15], vcc
	s_cbranch_execz .LBB816_914
; %bb.909:                              ;   in Loop: Header=BB816_794 Depth=1
	v_lshrrev_b32_e32 v8, 24, v6
	v_cmp_ne_u32_e32 vcc, s21, v8
	v_mov_b32_e32 v17, 0xffff8000
	s_and_saveexec_b64 s[16:17], vcc
	s_cbranch_execz .LBB816_913
; %bb.910:                              ;   in Loop: Header=BB816_794 Depth=1
	v_bfe_u32 v6, v6, 24, 7
	v_cmp_ne_u32_e32 vcc, s23, v6
	v_mov_b32_e32 v17, 0x7f80
	s_and_saveexec_b64 s[18:19], vcc
	s_cbranch_execz .LBB816_912
; %bb.911:                              ;   in Loop: Header=BB816_794 Depth=1
	v_and_b32_e32 v12, 7, v8
	v_ffbh_u32_e32 v18, v12
	v_min_u32_e32 v20, 32, v18
	v_subrev_u32_e32 v18, 28, v20
	v_lshlrev_b64 v[18:19], v18, v[8:9]
	v_lshrrev_b32_e32 v17, 3, v6
	v_sub_u32_e32 v19, 29, v20
	v_and_b32_e32 v18, 7, v18
	v_cmp_gt_u32_e32 vcc, 8, v6
	v_cndmask_b32_e32 v6, v17, v19, vcc
	v_cndmask_b32_e32 v12, v12, v18, vcc
	v_lshlrev_b32_e32 v8, 24, v8
	v_lshlrev_b32_e32 v12, 20, v12
	v_and_b32_e32 v8, 0x80000000, v8
	v_lshl_add_u32 v6, v6, 23, v10
	v_or3_b32 v6, v8, v6, v12
	v_lshrrev_b32_e32 v17, 16, v6
.LBB816_912:                            ;   in Loop: Header=BB816_794 Depth=1
	s_or_b64 exec, exec, s[18:19]
.LBB816_913:                            ;   in Loop: Header=BB816_794 Depth=1
	s_or_b64 exec, exec, s[16:17]
.LBB816_914:                            ;   in Loop: Header=BB816_794 Depth=1
	s_or_b64 exec, exec, s[14:15]
	s_waitcnt vmcnt(0)
	v_cmp_ne_u16_sdwa s[16:17], v4, v9 src0_sel:BYTE_0 src1_sel:DWORD
	s_and_saveexec_b64 s[14:15], s[16:17]
	s_cbranch_execz .LBB816_920
; %bb.915:                              ;   in Loop: Header=BB816_794 Depth=1
	v_cmp_ne_u16_sdwa s[18:19], v4, s21 src0_sel:BYTE_0 src1_sel:DWORD
	v_mov_b32_e32 v16, 0xffff8000
	s_and_saveexec_b64 s[16:17], s[18:19]
	s_cbranch_execz .LBB816_919
; %bb.916:                              ;   in Loop: Header=BB816_794 Depth=1
	v_and_b32_e32 v6, 0x7f, v4
	v_cmp_ne_u32_e32 vcc, s23, v6
	v_mov_b32_e32 v16, 0x7f80
	s_and_saveexec_b64 s[18:19], vcc
	s_cbranch_execz .LBB816_918
; %bb.917:                              ;   in Loop: Header=BB816_794 Depth=1
	v_and_b32_e32 v8, 7, v4
	v_ffbh_u32_e32 v16, v8
	v_min_u32_e32 v16, 32, v16
	v_subrev_u32_e32 v18, 28, v16
	v_lshlrev_b64 v[18:19], v18, v[4:5]
	v_lshrrev_b32_e32 v12, 3, v6
	v_sub_u32_e32 v16, 29, v16
	v_and_b32_e32 v18, 7, v18
	v_cmp_gt_u32_e32 vcc, 8, v6
	v_cndmask_b32_e32 v6, v12, v16, vcc
	v_cndmask_b32_e32 v8, v8, v18, vcc
	v_lshlrev_b32_e32 v12, 24, v4
	v_lshlrev_b32_e32 v8, 20, v8
	v_and_b32_e32 v12, 0x80000000, v12
	v_lshl_add_u32 v6, v6, 23, v10
	v_or3_b32 v6, v12, v6, v8
	v_lshrrev_b32_e32 v16, 16, v6
.LBB816_918:                            ;   in Loop: Header=BB816_794 Depth=1
	s_or_b64 exec, exec, s[18:19]
.LBB816_919:                            ;   in Loop: Header=BB816_794 Depth=1
	s_or_b64 exec, exec, s[16:17]
.LBB816_920:                            ;   in Loop: Header=BB816_794 Depth=1
	s_or_b64 exec, exec, s[14:15]
	v_lshrrev_b16_e32 v6, 8, v4
	v_cmp_ne_u16_e32 vcc, 0, v6
	v_mov_b32_e32 v18, 0
	v_mov_b32_e32 v8, 0
	s_and_saveexec_b64 s[14:15], vcc
	s_cbranch_execz .LBB816_926
; %bb.921:                              ;   in Loop: Header=BB816_794 Depth=1
	v_cmp_ne_u16_e32 vcc, s21, v6
	v_mov_b32_e32 v8, 0xffff8000
	s_and_saveexec_b64 s[16:17], vcc
	s_cbranch_execz .LBB816_925
; %bb.922:                              ;   in Loop: Header=BB816_794 Depth=1
	v_and_b32_e32 v12, 0x7f, v6
	v_cmp_ne_u32_e32 vcc, s23, v12
	v_mov_b32_e32 v8, 0x7f80
	s_and_saveexec_b64 s[18:19], vcc
	s_cbranch_execz .LBB816_924
; %bb.923:                              ;   in Loop: Header=BB816_794 Depth=1
	v_and_b32_e32 v8, 7, v6
	v_ffbh_u32_e32 v20, v8
	v_min_u32_e32 v22, 32, v20
	v_subrev_u32_e32 v20, 28, v22
	v_lshlrev_b64 v[20:21], v20, v[6:7]
	v_lshrrev_b32_e32 v19, 3, v12
	v_sub_u32_e32 v6, 29, v22
	v_and_b32_e32 v20, 7, v20
	v_cmp_gt_u32_e32 vcc, 8, v12
	v_cndmask_b32_e32 v6, v19, v6, vcc
	v_cndmask_b32_e32 v8, v8, v20, vcc
	v_lshlrev_b32_e32 v12, 16, v4
	v_lshlrev_b32_e32 v8, 20, v8
	v_and_b32_e32 v12, 0x80000000, v12
	v_lshl_add_u32 v6, v6, 23, v10
	v_or3_b32 v6, v12, v6, v8
	v_lshrrev_b32_e32 v8, 16, v6
.LBB816_924:                            ;   in Loop: Header=BB816_794 Depth=1
	s_or_b64 exec, exec, s[18:19]
.LBB816_925:                            ;   in Loop: Header=BB816_794 Depth=1
	s_or_b64 exec, exec, s[16:17]
.LBB816_926:                            ;   in Loop: Header=BB816_794 Depth=1
	s_or_b64 exec, exec, s[14:15]
	v_lshrrev_b32_e32 v6, 16, v4
	v_cmp_ne_u16_sdwa s[16:17], v6, v9 src0_sel:BYTE_0 src1_sel:DWORD
	s_and_saveexec_b64 s[14:15], s[16:17]
	s_cbranch_execz .LBB816_932
; %bb.927:                              ;   in Loop: Header=BB816_794 Depth=1
	v_cmp_ne_u16_sdwa s[18:19], v6, s21 src0_sel:BYTE_0 src1_sel:DWORD
	v_mov_b32_e32 v18, 0xffff8000
	s_and_saveexec_b64 s[16:17], s[18:19]
	s_cbranch_execz .LBB816_931
; %bb.928:                              ;   in Loop: Header=BB816_794 Depth=1
	v_bfe_u32 v12, v4, 16, 7
	v_cmp_ne_u32_e32 vcc, s23, v12
	v_mov_b32_e32 v18, 0x7f80
	s_and_saveexec_b64 s[18:19], vcc
	s_cbranch_execz .LBB816_930
; %bb.929:                              ;   in Loop: Header=BB816_794 Depth=1
	v_and_b32_e32 v20, 7, v6
	v_ffbh_u32_e32 v18, v20
	v_min_u32_e32 v22, 32, v18
	v_subrev_u32_e32 v18, 28, v22
	v_lshlrev_b64 v[18:19], v18, v[6:7]
	v_lshrrev_b32_e32 v21, 3, v12
	v_sub_u32_e32 v19, 29, v22
	v_and_b32_e32 v18, 7, v18
	v_cmp_gt_u32_e32 vcc, 8, v12
	v_cndmask_b32_e32 v12, v21, v19, vcc
	v_cndmask_b32_e32 v18, v20, v18, vcc
	v_lshlrev_b32_e32 v6, 24, v6
	v_lshlrev_b32_e32 v18, 20, v18
	v_and_b32_e32 v6, 0x80000000, v6
	v_lshl_add_u32 v12, v12, 23, v10
	v_or3_b32 v6, v6, v12, v18
	v_lshrrev_b32_e32 v18, 16, v6
.LBB816_930:                            ;   in Loop: Header=BB816_794 Depth=1
	s_or_b64 exec, exec, s[18:19]
.LBB816_931:                            ;   in Loop: Header=BB816_794 Depth=1
	s_or_b64 exec, exec, s[16:17]
.LBB816_932:                            ;   in Loop: Header=BB816_794 Depth=1
	s_or_b64 exec, exec, s[14:15]
	v_cmp_lt_u32_e32 vcc, s25, v4
	v_mov_b32_e32 v12, 0
	v_mov_b32_e32 v19, 0
	s_and_saveexec_b64 s[14:15], vcc
	s_cbranch_execz .LBB816_938
; %bb.933:                              ;   in Loop: Header=BB816_794 Depth=1
	v_lshrrev_b32_e32 v6, 24, v4
	v_cmp_ne_u32_e32 vcc, s21, v6
	v_mov_b32_e32 v19, 0xffff8000
	s_and_saveexec_b64 s[16:17], vcc
	s_cbranch_execz .LBB816_937
; %bb.934:                              ;   in Loop: Header=BB816_794 Depth=1
	v_bfe_u32 v4, v4, 24, 7
	v_cmp_ne_u32_e32 vcc, s23, v4
	v_mov_b32_e32 v19, 0x7f80
	s_and_saveexec_b64 s[18:19], vcc
	s_cbranch_execz .LBB816_936
; %bb.935:                              ;   in Loop: Header=BB816_794 Depth=1
	v_and_b32_e32 v19, 7, v6
	v_ffbh_u32_e32 v20, v19
	v_min_u32_e32 v23, 32, v20
	v_subrev_u32_e32 v20, 28, v23
	v_lshlrev_b64 v[20:21], v20, v[6:7]
	v_lshrrev_b32_e32 v22, 3, v4
	v_sub_u32_e32 v21, 29, v23
	v_and_b32_e32 v20, 7, v20
	v_cmp_gt_u32_e32 vcc, 8, v4
	v_cndmask_b32_e32 v4, v22, v21, vcc
	v_cndmask_b32_e32 v19, v19, v20, vcc
	v_lshlrev_b32_e32 v6, 24, v6
	v_lshlrev_b32_e32 v19, 20, v19
	v_and_b32_e32 v6, 0x80000000, v6
	v_lshl_add_u32 v4, v4, 23, v10
	v_or3_b32 v4, v6, v4, v19
	v_lshrrev_b32_e32 v19, 16, v4
.LBB816_936:                            ;   in Loop: Header=BB816_794 Depth=1
	s_or_b64 exec, exec, s[18:19]
.LBB816_937:                            ;   in Loop: Header=BB816_794 Depth=1
	s_or_b64 exec, exec, s[16:17]
.LBB816_938:                            ;   in Loop: Header=BB816_794 Depth=1
	s_or_b64 exec, exec, s[14:15]
	buffer_load_dword v6, v11, s[0:3], 0 offen offset:24
	buffer_load_dword v4, v11, s[0:3], 0 offen offset:28
	v_perm_b32 v15, v17, v15, s26
	v_perm_b32 v14, v14, v13, s26
	;; [unrolled: 1-line block ×4, first 2 shown]
	v_mfma_f32_4x4x4bf16_1k a[0:3], v[2:3], v[14:15], a[0:3] cbsz:4 abid:4
	s_waitcnt vmcnt(1)
	v_cmp_ne_u16_sdwa s[16:17], v6, v9 src0_sel:BYTE_0 src1_sel:DWORD
	v_mfma_f32_4x4x4bf16_1k a[0:3], v[2:3], v[16:17], a[0:3] cbsz:4 abid:5
	s_and_saveexec_b64 s[14:15], s[16:17]
	s_cbranch_execz .LBB816_944
; %bb.939:                              ;   in Loop: Header=BB816_794 Depth=1
	v_cmp_ne_u16_sdwa s[18:19], v6, s21 src0_sel:BYTE_0 src1_sel:DWORD
	v_mov_b32_e32 v12, 0xffff8000
	s_and_saveexec_b64 s[16:17], s[18:19]
	s_cbranch_execz .LBB816_943
; %bb.940:                              ;   in Loop: Header=BB816_794 Depth=1
	v_and_b32_e32 v8, 0x7f, v6
	v_cmp_ne_u32_e32 vcc, s23, v8
	v_mov_b32_e32 v12, 0x7f80
	s_and_saveexec_b64 s[18:19], vcc
	s_cbranch_execz .LBB816_942
; %bb.941:                              ;   in Loop: Header=BB816_794 Depth=1
	v_and_b32_e32 v14, 7, v6
	v_ffbh_u32_e32 v12, v14
	v_min_u32_e32 v16, 32, v12
	v_subrev_u32_e32 v12, 28, v16
	v_lshlrev_b64 v[12:13], v12, v[6:7]
	v_lshrrev_b32_e32 v15, 3, v8
	v_sub_u32_e32 v13, 29, v16
	v_and_b32_e32 v12, 7, v12
	v_cmp_gt_u32_e32 vcc, 8, v8
	v_cndmask_b32_e32 v8, v15, v13, vcc
	v_cndmask_b32_e32 v12, v14, v12, vcc
	v_lshlrev_b32_e32 v13, 24, v6
	v_lshlrev_b32_e32 v12, 20, v12
	v_and_b32_e32 v13, 0x80000000, v13
	v_lshl_add_u32 v8, v8, 23, v10
	v_or3_b32 v8, v13, v8, v12
	v_lshrrev_b32_e32 v12, 16, v8
.LBB816_942:                            ;   in Loop: Header=BB816_794 Depth=1
	s_or_b64 exec, exec, s[18:19]
.LBB816_943:                            ;   in Loop: Header=BB816_794 Depth=1
	s_or_b64 exec, exec, s[16:17]
.LBB816_944:                            ;   in Loop: Header=BB816_794 Depth=1
	s_or_b64 exec, exec, s[14:15]
	v_lshrrev_b16_e32 v8, 8, v6
	v_cmp_ne_u16_e32 vcc, 0, v8
	v_mov_b32_e32 v15, 0
	v_mov_b32_e32 v14, 0
	s_and_saveexec_b64 s[14:15], vcc
	s_cbranch_execz .LBB816_950
; %bb.945:                              ;   in Loop: Header=BB816_794 Depth=1
	v_cmp_ne_u16_e32 vcc, s21, v8
	v_mov_b32_e32 v14, 0xffff8000
	s_and_saveexec_b64 s[16:17], vcc
	s_cbranch_execz .LBB816_949
; %bb.946:                              ;   in Loop: Header=BB816_794 Depth=1
	v_and_b32_e32 v13, 0x7f, v8
	v_cmp_ne_u32_e32 vcc, s23, v13
	v_mov_b32_e32 v14, 0x7f80
	s_and_saveexec_b64 s[18:19], vcc
	s_cbranch_execz .LBB816_948
; %bb.947:                              ;   in Loop: Header=BB816_794 Depth=1
	v_and_b32_e32 v14, 7, v8
	v_ffbh_u32_e32 v16, v14
	v_min_u32_e32 v19, 32, v16
	v_subrev_u32_e32 v16, 28, v19
	v_lshlrev_b64 v[16:17], v16, v[8:9]
	v_lshrrev_b32_e32 v18, 3, v13
	v_sub_u32_e32 v8, 29, v19
	v_and_b32_e32 v16, 7, v16
	v_cmp_gt_u32_e32 vcc, 8, v13
	v_cndmask_b32_e32 v8, v18, v8, vcc
	v_cndmask_b32_e32 v13, v14, v16, vcc
	v_lshlrev_b32_e32 v14, 16, v6
	v_lshlrev_b32_e32 v13, 20, v13
	v_and_b32_e32 v14, 0x80000000, v14
	v_lshl_add_u32 v8, v8, 23, v10
	v_or3_b32 v8, v14, v8, v13
	v_lshrrev_b32_e32 v14, 16, v8
.LBB816_948:                            ;   in Loop: Header=BB816_794 Depth=1
	s_or_b64 exec, exec, s[18:19]
.LBB816_949:                            ;   in Loop: Header=BB816_794 Depth=1
	s_or_b64 exec, exec, s[16:17]
.LBB816_950:                            ;   in Loop: Header=BB816_794 Depth=1
	s_or_b64 exec, exec, s[14:15]
	v_lshrrev_b32_e32 v8, 16, v6
	v_cmp_ne_u16_sdwa s[16:17], v8, v9 src0_sel:BYTE_0 src1_sel:DWORD
	s_and_saveexec_b64 s[14:15], s[16:17]
	s_cbranch_execz .LBB816_956
; %bb.951:                              ;   in Loop: Header=BB816_794 Depth=1
	v_cmp_ne_u16_sdwa s[18:19], v8, s21 src0_sel:BYTE_0 src1_sel:DWORD
	v_mov_b32_e32 v15, 0xffff8000
	s_and_saveexec_b64 s[16:17], s[18:19]
	s_cbranch_execz .LBB816_955
; %bb.952:                              ;   in Loop: Header=BB816_794 Depth=1
	v_bfe_u32 v13, v6, 16, 7
	v_cmp_ne_u32_e32 vcc, s23, v13
	v_mov_b32_e32 v15, 0x7f80
	s_and_saveexec_b64 s[18:19], vcc
	s_cbranch_execz .LBB816_954
; %bb.953:                              ;   in Loop: Header=BB816_794 Depth=1
	v_and_b32_e32 v15, 7, v8
	v_ffbh_u32_e32 v16, v15
	v_min_u32_e32 v19, 32, v16
	v_subrev_u32_e32 v16, 28, v19
	v_lshlrev_b64 v[16:17], v16, v[8:9]
	v_lshrrev_b32_e32 v18, 3, v13
	v_sub_u32_e32 v17, 29, v19
	v_and_b32_e32 v16, 7, v16
	v_cmp_gt_u32_e32 vcc, 8, v13
	v_cndmask_b32_e32 v13, v18, v17, vcc
	v_cndmask_b32_e32 v15, v15, v16, vcc
	v_lshlrev_b32_e32 v8, 24, v8
	v_lshlrev_b32_e32 v15, 20, v15
	v_and_b32_e32 v8, 0x80000000, v8
	v_lshl_add_u32 v13, v13, 23, v10
	v_or3_b32 v8, v8, v13, v15
	v_lshrrev_b32_e32 v15, 16, v8
.LBB816_954:                            ;   in Loop: Header=BB816_794 Depth=1
	s_or_b64 exec, exec, s[18:19]
.LBB816_955:                            ;   in Loop: Header=BB816_794 Depth=1
	s_or_b64 exec, exec, s[16:17]
.LBB816_956:                            ;   in Loop: Header=BB816_794 Depth=1
	s_or_b64 exec, exec, s[14:15]
	v_cmp_lt_u32_e32 vcc, s25, v6
	v_mov_b32_e32 v16, 0
	v_mov_b32_e32 v17, 0
	s_and_saveexec_b64 s[14:15], vcc
	s_cbranch_execz .LBB816_962
; %bb.957:                              ;   in Loop: Header=BB816_794 Depth=1
	v_lshrrev_b32_e32 v8, 24, v6
	v_cmp_ne_u32_e32 vcc, s21, v8
	v_mov_b32_e32 v17, 0xffff8000
	s_and_saveexec_b64 s[16:17], vcc
	s_cbranch_execz .LBB816_961
; %bb.958:                              ;   in Loop: Header=BB816_794 Depth=1
	v_bfe_u32 v6, v6, 24, 7
	v_cmp_ne_u32_e32 vcc, s23, v6
	v_mov_b32_e32 v17, 0x7f80
	s_and_saveexec_b64 s[18:19], vcc
	s_cbranch_execz .LBB816_960
; %bb.959:                              ;   in Loop: Header=BB816_794 Depth=1
	v_and_b32_e32 v13, 7, v8
	v_ffbh_u32_e32 v18, v13
	v_min_u32_e32 v20, 32, v18
	v_subrev_u32_e32 v18, 28, v20
	v_lshlrev_b64 v[18:19], v18, v[8:9]
	v_lshrrev_b32_e32 v17, 3, v6
	v_sub_u32_e32 v19, 29, v20
	v_and_b32_e32 v18, 7, v18
	v_cmp_gt_u32_e32 vcc, 8, v6
	v_cndmask_b32_e32 v6, v17, v19, vcc
	v_cndmask_b32_e32 v13, v13, v18, vcc
	v_lshlrev_b32_e32 v8, 24, v8
	v_lshlrev_b32_e32 v13, 20, v13
	v_and_b32_e32 v8, 0x80000000, v8
	v_lshl_add_u32 v6, v6, 23, v10
	v_or3_b32 v6, v8, v6, v13
	v_lshrrev_b32_e32 v17, 16, v6
.LBB816_960:                            ;   in Loop: Header=BB816_794 Depth=1
	s_or_b64 exec, exec, s[18:19]
.LBB816_961:                            ;   in Loop: Header=BB816_794 Depth=1
	s_or_b64 exec, exec, s[16:17]
.LBB816_962:                            ;   in Loop: Header=BB816_794 Depth=1
	s_or_b64 exec, exec, s[14:15]
	s_waitcnt vmcnt(0)
	v_cmp_ne_u16_sdwa s[16:17], v4, v9 src0_sel:BYTE_0 src1_sel:DWORD
	s_and_saveexec_b64 s[14:15], s[16:17]
	s_cbranch_execz .LBB816_968
; %bb.963:                              ;   in Loop: Header=BB816_794 Depth=1
	v_cmp_ne_u16_sdwa s[18:19], v4, s21 src0_sel:BYTE_0 src1_sel:DWORD
	v_mov_b32_e32 v16, 0xffff8000
	s_and_saveexec_b64 s[16:17], s[18:19]
	s_cbranch_execz .LBB816_967
; %bb.964:                              ;   in Loop: Header=BB816_794 Depth=1
	v_and_b32_e32 v6, 0x7f, v4
	v_cmp_ne_u32_e32 vcc, s23, v6
	v_mov_b32_e32 v16, 0x7f80
	s_and_saveexec_b64 s[18:19], vcc
	s_cbranch_execz .LBB816_966
; %bb.965:                              ;   in Loop: Header=BB816_794 Depth=1
	v_and_b32_e32 v8, 7, v4
	v_ffbh_u32_e32 v16, v8
	v_min_u32_e32 v16, 32, v16
	v_subrev_u32_e32 v18, 28, v16
	v_lshlrev_b64 v[18:19], v18, v[4:5]
	v_lshrrev_b32_e32 v13, 3, v6
	v_sub_u32_e32 v16, 29, v16
	v_and_b32_e32 v18, 7, v18
	v_cmp_gt_u32_e32 vcc, 8, v6
	v_cndmask_b32_e32 v6, v13, v16, vcc
	v_cndmask_b32_e32 v8, v8, v18, vcc
	v_lshlrev_b32_e32 v13, 24, v4
	v_lshlrev_b32_e32 v8, 20, v8
	v_and_b32_e32 v13, 0x80000000, v13
	v_lshl_add_u32 v6, v6, 23, v10
	v_or3_b32 v6, v13, v6, v8
	v_lshrrev_b32_e32 v16, 16, v6
.LBB816_966:                            ;   in Loop: Header=BB816_794 Depth=1
	s_or_b64 exec, exec, s[18:19]
.LBB816_967:                            ;   in Loop: Header=BB816_794 Depth=1
	s_or_b64 exec, exec, s[16:17]
.LBB816_968:                            ;   in Loop: Header=BB816_794 Depth=1
	s_or_b64 exec, exec, s[14:15]
	v_lshrrev_b16_e32 v6, 8, v4
	v_cmp_ne_u16_e32 vcc, 0, v6
	v_mov_b32_e32 v18, 0
	v_mov_b32_e32 v8, 0
	s_and_saveexec_b64 s[14:15], vcc
	s_cbranch_execz .LBB816_974
; %bb.969:                              ;   in Loop: Header=BB816_794 Depth=1
	v_cmp_ne_u16_e32 vcc, s21, v6
	v_mov_b32_e32 v8, 0xffff8000
	s_and_saveexec_b64 s[16:17], vcc
	s_cbranch_execz .LBB816_973
; %bb.970:                              ;   in Loop: Header=BB816_794 Depth=1
	v_and_b32_e32 v13, 0x7f, v6
	v_cmp_ne_u32_e32 vcc, s23, v13
	v_mov_b32_e32 v8, 0x7f80
	s_and_saveexec_b64 s[18:19], vcc
	s_cbranch_execz .LBB816_972
; %bb.971:                              ;   in Loop: Header=BB816_794 Depth=1
	v_and_b32_e32 v8, 7, v6
	v_ffbh_u32_e32 v20, v8
	v_min_u32_e32 v22, 32, v20
	v_subrev_u32_e32 v20, 28, v22
	v_lshlrev_b64 v[20:21], v20, v[6:7]
	v_lshrrev_b32_e32 v19, 3, v13
	v_sub_u32_e32 v6, 29, v22
	v_and_b32_e32 v20, 7, v20
	v_cmp_gt_u32_e32 vcc, 8, v13
	v_cndmask_b32_e32 v6, v19, v6, vcc
	v_cndmask_b32_e32 v8, v8, v20, vcc
	v_lshlrev_b32_e32 v13, 16, v4
	v_lshlrev_b32_e32 v8, 20, v8
	v_and_b32_e32 v13, 0x80000000, v13
	v_lshl_add_u32 v6, v6, 23, v10
	v_or3_b32 v6, v13, v6, v8
	v_lshrrev_b32_e32 v8, 16, v6
.LBB816_972:                            ;   in Loop: Header=BB816_794 Depth=1
	s_or_b64 exec, exec, s[18:19]
.LBB816_973:                            ;   in Loop: Header=BB816_794 Depth=1
	s_or_b64 exec, exec, s[16:17]
.LBB816_974:                            ;   in Loop: Header=BB816_794 Depth=1
	s_or_b64 exec, exec, s[14:15]
	v_lshrrev_b32_e32 v6, 16, v4
	v_cmp_ne_u16_sdwa s[16:17], v6, v9 src0_sel:BYTE_0 src1_sel:DWORD
	s_and_saveexec_b64 s[14:15], s[16:17]
	s_cbranch_execz .LBB816_980
; %bb.975:                              ;   in Loop: Header=BB816_794 Depth=1
	v_cmp_ne_u16_sdwa s[18:19], v6, s21 src0_sel:BYTE_0 src1_sel:DWORD
	v_mov_b32_e32 v18, 0xffff8000
	s_and_saveexec_b64 s[16:17], s[18:19]
	s_cbranch_execz .LBB816_979
; %bb.976:                              ;   in Loop: Header=BB816_794 Depth=1
	v_bfe_u32 v13, v4, 16, 7
	v_cmp_ne_u32_e32 vcc, s23, v13
	v_mov_b32_e32 v18, 0x7f80
	s_and_saveexec_b64 s[18:19], vcc
	s_cbranch_execz .LBB816_978
; %bb.977:                              ;   in Loop: Header=BB816_794 Depth=1
	v_and_b32_e32 v20, 7, v6
	v_ffbh_u32_e32 v18, v20
	v_min_u32_e32 v22, 32, v18
	v_subrev_u32_e32 v18, 28, v22
	v_lshlrev_b64 v[18:19], v18, v[6:7]
	v_lshrrev_b32_e32 v21, 3, v13
	v_sub_u32_e32 v19, 29, v22
	v_and_b32_e32 v18, 7, v18
	v_cmp_gt_u32_e32 vcc, 8, v13
	v_cndmask_b32_e32 v13, v21, v19, vcc
	v_cndmask_b32_e32 v18, v20, v18, vcc
	v_lshlrev_b32_e32 v6, 24, v6
	v_lshlrev_b32_e32 v18, 20, v18
	v_and_b32_e32 v6, 0x80000000, v6
	v_lshl_add_u32 v13, v13, 23, v10
	v_or3_b32 v6, v6, v13, v18
	v_lshrrev_b32_e32 v18, 16, v6
.LBB816_978:                            ;   in Loop: Header=BB816_794 Depth=1
	s_or_b64 exec, exec, s[18:19]
.LBB816_979:                            ;   in Loop: Header=BB816_794 Depth=1
	s_or_b64 exec, exec, s[16:17]
.LBB816_980:                            ;   in Loop: Header=BB816_794 Depth=1
	s_or_b64 exec, exec, s[14:15]
	v_cmp_lt_u32_e32 vcc, s25, v4
	v_mov_b32_e32 v13, 0
	v_mov_b32_e32 v19, 0
	s_and_saveexec_b64 s[14:15], vcc
	s_cbranch_execz .LBB816_986
; %bb.981:                              ;   in Loop: Header=BB816_794 Depth=1
	v_lshrrev_b32_e32 v6, 24, v4
	v_cmp_ne_u32_e32 vcc, s21, v6
	v_mov_b32_e32 v19, 0xffff8000
	s_and_saveexec_b64 s[16:17], vcc
	s_cbranch_execz .LBB816_985
; %bb.982:                              ;   in Loop: Header=BB816_794 Depth=1
	v_bfe_u32 v4, v4, 24, 7
	v_cmp_ne_u32_e32 vcc, s23, v4
	v_mov_b32_e32 v19, 0x7f80
	s_and_saveexec_b64 s[18:19], vcc
	s_cbranch_execz .LBB816_984
; %bb.983:                              ;   in Loop: Header=BB816_794 Depth=1
	v_and_b32_e32 v19, 7, v6
	v_ffbh_u32_e32 v20, v19
	v_min_u32_e32 v23, 32, v20
	v_subrev_u32_e32 v20, 28, v23
	v_lshlrev_b64 v[20:21], v20, v[6:7]
	v_lshrrev_b32_e32 v22, 3, v4
	v_sub_u32_e32 v21, 29, v23
	v_and_b32_e32 v20, 7, v20
	v_cmp_gt_u32_e32 vcc, 8, v4
	v_cndmask_b32_e32 v4, v22, v21, vcc
	v_cndmask_b32_e32 v19, v19, v20, vcc
	v_lshlrev_b32_e32 v6, 24, v6
	v_lshlrev_b32_e32 v19, 20, v19
	v_and_b32_e32 v6, 0x80000000, v6
	v_lshl_add_u32 v4, v4, 23, v10
	v_or3_b32 v4, v6, v4, v19
	v_lshrrev_b32_e32 v19, 16, v4
.LBB816_984:                            ;   in Loop: Header=BB816_794 Depth=1
	s_or_b64 exec, exec, s[18:19]
.LBB816_985:                            ;   in Loop: Header=BB816_794 Depth=1
	s_or_b64 exec, exec, s[16:17]
.LBB816_986:                            ;   in Loop: Header=BB816_794 Depth=1
	s_or_b64 exec, exec, s[14:15]
	buffer_load_dword v6, v11, s[0:3], 0 offen offset:32
	buffer_load_dword v4, v11, s[0:3], 0 offen offset:36
	v_perm_b32 v15, v17, v15, s26
	v_perm_b32 v14, v14, v12, s26
	;; [unrolled: 1-line block ×4, first 2 shown]
	v_mfma_f32_4x4x4bf16_1k a[0:3], v[2:3], v[14:15], a[0:3] cbsz:4 abid:6
	s_waitcnt vmcnt(1)
	v_cmp_ne_u16_sdwa s[16:17], v6, v9 src0_sel:BYTE_0 src1_sel:DWORD
	v_mfma_f32_4x4x4bf16_1k a[0:3], v[2:3], v[16:17], a[0:3] cbsz:4 abid:7
	s_and_saveexec_b64 s[14:15], s[16:17]
	s_cbranch_execz .LBB816_992
; %bb.987:                              ;   in Loop: Header=BB816_794 Depth=1
	v_cmp_ne_u16_sdwa s[18:19], v6, s21 src0_sel:BYTE_0 src1_sel:DWORD
	v_mov_b32_e32 v13, 0xffff8000
	s_and_saveexec_b64 s[16:17], s[18:19]
	s_cbranch_execz .LBB816_991
; %bb.988:                              ;   in Loop: Header=BB816_794 Depth=1
	v_and_b32_e32 v8, 0x7f, v6
	v_cmp_ne_u32_e32 vcc, s23, v8
	v_mov_b32_e32 v13, 0x7f80
	s_and_saveexec_b64 s[18:19], vcc
	s_cbranch_execz .LBB816_990
; %bb.989:                              ;   in Loop: Header=BB816_794 Depth=1
	v_and_b32_e32 v14, 7, v6
	v_ffbh_u32_e32 v12, v14
	v_min_u32_e32 v16, 32, v12
	v_subrev_u32_e32 v12, 28, v16
	v_lshlrev_b64 v[12:13], v12, v[6:7]
	v_lshrrev_b32_e32 v15, 3, v8
	v_sub_u32_e32 v13, 29, v16
	v_and_b32_e32 v12, 7, v12
	v_cmp_gt_u32_e32 vcc, 8, v8
	v_cndmask_b32_e32 v8, v15, v13, vcc
	v_cndmask_b32_e32 v12, v14, v12, vcc
	v_lshlrev_b32_e32 v13, 24, v6
	v_lshlrev_b32_e32 v12, 20, v12
	v_and_b32_e32 v13, 0x80000000, v13
	v_lshl_add_u32 v8, v8, 23, v10
	v_or3_b32 v8, v13, v8, v12
	v_lshrrev_b32_e32 v13, 16, v8
.LBB816_990:                            ;   in Loop: Header=BB816_794 Depth=1
	s_or_b64 exec, exec, s[18:19]
.LBB816_991:                            ;   in Loop: Header=BB816_794 Depth=1
	s_or_b64 exec, exec, s[16:17]
.LBB816_992:                            ;   in Loop: Header=BB816_794 Depth=1
	s_or_b64 exec, exec, s[14:15]
	v_lshrrev_b16_e32 v8, 8, v6
	v_cmp_ne_u16_e32 vcc, 0, v8
	v_mov_b32_e32 v15, 0
	v_mov_b32_e32 v12, 0
	s_and_saveexec_b64 s[14:15], vcc
	s_cbranch_execz .LBB816_998
; %bb.993:                              ;   in Loop: Header=BB816_794 Depth=1
	v_cmp_ne_u16_e32 vcc, s21, v8
	v_mov_b32_e32 v12, 0xffff8000
	s_and_saveexec_b64 s[16:17], vcc
	s_cbranch_execz .LBB816_997
; %bb.994:                              ;   in Loop: Header=BB816_794 Depth=1
	v_and_b32_e32 v14, 0x7f, v8
	v_cmp_ne_u32_e32 vcc, s23, v14
	v_mov_b32_e32 v12, 0x7f80
	s_and_saveexec_b64 s[18:19], vcc
	s_cbranch_execz .LBB816_996
; %bb.995:                              ;   in Loop: Header=BB816_794 Depth=1
	v_and_b32_e32 v12, 7, v8
	v_ffbh_u32_e32 v16, v12
	v_min_u32_e32 v19, 32, v16
	v_subrev_u32_e32 v16, 28, v19
	v_lshlrev_b64 v[16:17], v16, v[8:9]
	v_lshrrev_b32_e32 v18, 3, v14
	v_sub_u32_e32 v8, 29, v19
	v_and_b32_e32 v16, 7, v16
	v_cmp_gt_u32_e32 vcc, 8, v14
	v_cndmask_b32_e32 v8, v18, v8, vcc
	v_cndmask_b32_e32 v12, v12, v16, vcc
	v_lshlrev_b32_e32 v14, 16, v6
	v_lshlrev_b32_e32 v12, 20, v12
	v_and_b32_e32 v14, 0x80000000, v14
	v_lshl_add_u32 v8, v8, 23, v10
	v_or3_b32 v8, v14, v8, v12
	v_lshrrev_b32_e32 v12, 16, v8
.LBB816_996:                            ;   in Loop: Header=BB816_794 Depth=1
	s_or_b64 exec, exec, s[18:19]
.LBB816_997:                            ;   in Loop: Header=BB816_794 Depth=1
	s_or_b64 exec, exec, s[16:17]
.LBB816_998:                            ;   in Loop: Header=BB816_794 Depth=1
	s_or_b64 exec, exec, s[14:15]
	v_lshrrev_b32_e32 v8, 16, v6
	v_cmp_ne_u16_sdwa s[16:17], v8, v9 src0_sel:BYTE_0 src1_sel:DWORD
	s_and_saveexec_b64 s[14:15], s[16:17]
	s_cbranch_execz .LBB816_1004
; %bb.999:                              ;   in Loop: Header=BB816_794 Depth=1
	v_cmp_ne_u16_sdwa s[18:19], v8, s21 src0_sel:BYTE_0 src1_sel:DWORD
	v_mov_b32_e32 v15, 0xffff8000
	s_and_saveexec_b64 s[16:17], s[18:19]
	s_cbranch_execz .LBB816_1003
; %bb.1000:                             ;   in Loop: Header=BB816_794 Depth=1
	v_bfe_u32 v14, v6, 16, 7
	v_cmp_ne_u32_e32 vcc, s23, v14
	v_mov_b32_e32 v15, 0x7f80
	s_and_saveexec_b64 s[18:19], vcc
	s_cbranch_execz .LBB816_1002
; %bb.1001:                             ;   in Loop: Header=BB816_794 Depth=1
	v_and_b32_e32 v15, 7, v8
	v_ffbh_u32_e32 v16, v15
	v_min_u32_e32 v19, 32, v16
	v_subrev_u32_e32 v16, 28, v19
	v_lshlrev_b64 v[16:17], v16, v[8:9]
	v_lshrrev_b32_e32 v18, 3, v14
	v_sub_u32_e32 v17, 29, v19
	v_and_b32_e32 v16, 7, v16
	v_cmp_gt_u32_e32 vcc, 8, v14
	v_cndmask_b32_e32 v14, v18, v17, vcc
	v_cndmask_b32_e32 v15, v15, v16, vcc
	v_lshlrev_b32_e32 v8, 24, v8
	v_lshlrev_b32_e32 v15, 20, v15
	v_and_b32_e32 v8, 0x80000000, v8
	v_lshl_add_u32 v14, v14, 23, v10
	v_or3_b32 v8, v8, v14, v15
	v_lshrrev_b32_e32 v15, 16, v8
.LBB816_1002:                           ;   in Loop: Header=BB816_794 Depth=1
	s_or_b64 exec, exec, s[18:19]
.LBB816_1003:                           ;   in Loop: Header=BB816_794 Depth=1
	s_or_b64 exec, exec, s[16:17]
.LBB816_1004:                           ;   in Loop: Header=BB816_794 Depth=1
	s_or_b64 exec, exec, s[14:15]
	v_cmp_lt_u32_e32 vcc, s25, v6
	v_mov_b32_e32 v16, 0
	v_mov_b32_e32 v17, 0
	s_and_saveexec_b64 s[14:15], vcc
	s_cbranch_execz .LBB816_1010
; %bb.1005:                             ;   in Loop: Header=BB816_794 Depth=1
	v_lshrrev_b32_e32 v8, 24, v6
	v_cmp_ne_u32_e32 vcc, s21, v8
	v_mov_b32_e32 v17, 0xffff8000
	s_and_saveexec_b64 s[16:17], vcc
	s_cbranch_execz .LBB816_1009
; %bb.1006:                             ;   in Loop: Header=BB816_794 Depth=1
	v_bfe_u32 v6, v6, 24, 7
	v_cmp_ne_u32_e32 vcc, s23, v6
	v_mov_b32_e32 v17, 0x7f80
	s_and_saveexec_b64 s[18:19], vcc
	s_cbranch_execz .LBB816_1008
; %bb.1007:                             ;   in Loop: Header=BB816_794 Depth=1
	v_and_b32_e32 v14, 7, v8
	v_ffbh_u32_e32 v18, v14
	v_min_u32_e32 v20, 32, v18
	v_subrev_u32_e32 v18, 28, v20
	v_lshlrev_b64 v[18:19], v18, v[8:9]
	v_lshrrev_b32_e32 v17, 3, v6
	v_sub_u32_e32 v19, 29, v20
	v_and_b32_e32 v18, 7, v18
	v_cmp_gt_u32_e32 vcc, 8, v6
	v_cndmask_b32_e32 v6, v17, v19, vcc
	v_cndmask_b32_e32 v14, v14, v18, vcc
	v_lshlrev_b32_e32 v8, 24, v8
	v_lshlrev_b32_e32 v14, 20, v14
	v_and_b32_e32 v8, 0x80000000, v8
	v_lshl_add_u32 v6, v6, 23, v10
	v_or3_b32 v6, v8, v6, v14
	v_lshrrev_b32_e32 v17, 16, v6
.LBB816_1008:                           ;   in Loop: Header=BB816_794 Depth=1
	s_or_b64 exec, exec, s[18:19]
.LBB816_1009:                           ;   in Loop: Header=BB816_794 Depth=1
	s_or_b64 exec, exec, s[16:17]
.LBB816_1010:                           ;   in Loop: Header=BB816_794 Depth=1
	s_or_b64 exec, exec, s[14:15]
	s_waitcnt vmcnt(0)
	v_cmp_ne_u16_sdwa s[16:17], v4, v9 src0_sel:BYTE_0 src1_sel:DWORD
	s_and_saveexec_b64 s[14:15], s[16:17]
	s_cbranch_execz .LBB816_1016
; %bb.1011:                             ;   in Loop: Header=BB816_794 Depth=1
	v_cmp_ne_u16_sdwa s[18:19], v4, s21 src0_sel:BYTE_0 src1_sel:DWORD
	v_mov_b32_e32 v16, 0xffff8000
	s_and_saveexec_b64 s[16:17], s[18:19]
	s_cbranch_execz .LBB816_1015
; %bb.1012:                             ;   in Loop: Header=BB816_794 Depth=1
	v_and_b32_e32 v6, 0x7f, v4
	v_cmp_ne_u32_e32 vcc, s23, v6
	v_mov_b32_e32 v16, 0x7f80
	s_and_saveexec_b64 s[18:19], vcc
	s_cbranch_execz .LBB816_1014
; %bb.1013:                             ;   in Loop: Header=BB816_794 Depth=1
	v_and_b32_e32 v8, 7, v4
	v_ffbh_u32_e32 v16, v8
	v_min_u32_e32 v16, 32, v16
	v_subrev_u32_e32 v18, 28, v16
	v_lshlrev_b64 v[18:19], v18, v[4:5]
	v_lshrrev_b32_e32 v14, 3, v6
	v_sub_u32_e32 v16, 29, v16
	v_and_b32_e32 v18, 7, v18
	v_cmp_gt_u32_e32 vcc, 8, v6
	v_cndmask_b32_e32 v6, v14, v16, vcc
	v_cndmask_b32_e32 v8, v8, v18, vcc
	v_lshlrev_b32_e32 v14, 24, v4
	v_lshlrev_b32_e32 v8, 20, v8
	v_and_b32_e32 v14, 0x80000000, v14
	v_lshl_add_u32 v6, v6, 23, v10
	v_or3_b32 v6, v14, v6, v8
	v_lshrrev_b32_e32 v16, 16, v6
.LBB816_1014:                           ;   in Loop: Header=BB816_794 Depth=1
	s_or_b64 exec, exec, s[18:19]
.LBB816_1015:                           ;   in Loop: Header=BB816_794 Depth=1
	s_or_b64 exec, exec, s[16:17]
.LBB816_1016:                           ;   in Loop: Header=BB816_794 Depth=1
	s_or_b64 exec, exec, s[14:15]
	v_lshrrev_b16_e32 v6, 8, v4
	v_cmp_ne_u16_e32 vcc, 0, v6
	v_mov_b32_e32 v18, 0
	v_mov_b32_e32 v8, 0
	s_and_saveexec_b64 s[14:15], vcc
	s_cbranch_execz .LBB816_1022
; %bb.1017:                             ;   in Loop: Header=BB816_794 Depth=1
	v_cmp_ne_u16_e32 vcc, s21, v6
	v_mov_b32_e32 v8, 0xffff8000
	s_and_saveexec_b64 s[16:17], vcc
	s_cbranch_execz .LBB816_1021
; %bb.1018:                             ;   in Loop: Header=BB816_794 Depth=1
	v_and_b32_e32 v14, 0x7f, v6
	v_cmp_ne_u32_e32 vcc, s23, v14
	v_mov_b32_e32 v8, 0x7f80
	s_and_saveexec_b64 s[18:19], vcc
	s_cbranch_execz .LBB816_1020
; %bb.1019:                             ;   in Loop: Header=BB816_794 Depth=1
	v_and_b32_e32 v8, 7, v6
	v_ffbh_u32_e32 v20, v8
	v_min_u32_e32 v22, 32, v20
	v_subrev_u32_e32 v20, 28, v22
	v_lshlrev_b64 v[20:21], v20, v[6:7]
	v_lshrrev_b32_e32 v19, 3, v14
	v_sub_u32_e32 v6, 29, v22
	v_and_b32_e32 v20, 7, v20
	v_cmp_gt_u32_e32 vcc, 8, v14
	v_cndmask_b32_e32 v6, v19, v6, vcc
	v_cndmask_b32_e32 v8, v8, v20, vcc
	v_lshlrev_b32_e32 v14, 16, v4
	v_lshlrev_b32_e32 v8, 20, v8
	v_and_b32_e32 v14, 0x80000000, v14
	v_lshl_add_u32 v6, v6, 23, v10
	v_or3_b32 v6, v14, v6, v8
	v_lshrrev_b32_e32 v8, 16, v6
.LBB816_1020:                           ;   in Loop: Header=BB816_794 Depth=1
	s_or_b64 exec, exec, s[18:19]
.LBB816_1021:                           ;   in Loop: Header=BB816_794 Depth=1
	s_or_b64 exec, exec, s[16:17]
.LBB816_1022:                           ;   in Loop: Header=BB816_794 Depth=1
	s_or_b64 exec, exec, s[14:15]
	v_lshrrev_b32_e32 v6, 16, v4
	v_cmp_ne_u16_sdwa s[16:17], v6, v9 src0_sel:BYTE_0 src1_sel:DWORD
	s_and_saveexec_b64 s[14:15], s[16:17]
	s_cbranch_execz .LBB816_1028
; %bb.1023:                             ;   in Loop: Header=BB816_794 Depth=1
	v_cmp_ne_u16_sdwa s[18:19], v6, s21 src0_sel:BYTE_0 src1_sel:DWORD
	v_mov_b32_e32 v18, 0xffff8000
	s_and_saveexec_b64 s[16:17], s[18:19]
	s_cbranch_execz .LBB816_1027
; %bb.1024:                             ;   in Loop: Header=BB816_794 Depth=1
	v_bfe_u32 v14, v4, 16, 7
	v_cmp_ne_u32_e32 vcc, s23, v14
	v_mov_b32_e32 v18, 0x7f80
	s_and_saveexec_b64 s[18:19], vcc
	s_cbranch_execz .LBB816_1026
; %bb.1025:                             ;   in Loop: Header=BB816_794 Depth=1
	v_and_b32_e32 v20, 7, v6
	v_ffbh_u32_e32 v18, v20
	v_min_u32_e32 v22, 32, v18
	v_subrev_u32_e32 v18, 28, v22
	v_lshlrev_b64 v[18:19], v18, v[6:7]
	v_lshrrev_b32_e32 v21, 3, v14
	v_sub_u32_e32 v19, 29, v22
	v_and_b32_e32 v18, 7, v18
	v_cmp_gt_u32_e32 vcc, 8, v14
	v_cndmask_b32_e32 v14, v21, v19, vcc
	v_cndmask_b32_e32 v18, v20, v18, vcc
	v_lshlrev_b32_e32 v6, 24, v6
	v_lshlrev_b32_e32 v18, 20, v18
	v_and_b32_e32 v6, 0x80000000, v6
	v_lshl_add_u32 v14, v14, 23, v10
	v_or3_b32 v6, v6, v14, v18
	v_lshrrev_b32_e32 v18, 16, v6
.LBB816_1026:                           ;   in Loop: Header=BB816_794 Depth=1
	s_or_b64 exec, exec, s[18:19]
.LBB816_1027:                           ;   in Loop: Header=BB816_794 Depth=1
	s_or_b64 exec, exec, s[16:17]
.LBB816_1028:                           ;   in Loop: Header=BB816_794 Depth=1
	s_or_b64 exec, exec, s[14:15]
	v_cmp_lt_u32_e32 vcc, s25, v4
	v_mov_b32_e32 v14, 0
	v_mov_b32_e32 v19, 0
	s_and_saveexec_b64 s[14:15], vcc
	s_cbranch_execz .LBB816_1034
; %bb.1029:                             ;   in Loop: Header=BB816_794 Depth=1
	v_lshrrev_b32_e32 v6, 24, v4
	v_cmp_ne_u32_e32 vcc, s21, v6
	v_mov_b32_e32 v19, 0xffff8000
	s_and_saveexec_b64 s[16:17], vcc
	s_cbranch_execz .LBB816_1033
; %bb.1030:                             ;   in Loop: Header=BB816_794 Depth=1
	v_bfe_u32 v4, v4, 24, 7
	v_cmp_ne_u32_e32 vcc, s23, v4
	v_mov_b32_e32 v19, 0x7f80
	s_and_saveexec_b64 s[18:19], vcc
	s_cbranch_execz .LBB816_1032
; %bb.1031:                             ;   in Loop: Header=BB816_794 Depth=1
	v_and_b32_e32 v19, 7, v6
	v_ffbh_u32_e32 v20, v19
	v_min_u32_e32 v23, 32, v20
	v_subrev_u32_e32 v20, 28, v23
	v_lshlrev_b64 v[20:21], v20, v[6:7]
	v_lshrrev_b32_e32 v22, 3, v4
	v_sub_u32_e32 v21, 29, v23
	v_and_b32_e32 v20, 7, v20
	v_cmp_gt_u32_e32 vcc, 8, v4
	v_cndmask_b32_e32 v4, v22, v21, vcc
	v_cndmask_b32_e32 v19, v19, v20, vcc
	v_lshlrev_b32_e32 v6, 24, v6
	v_lshlrev_b32_e32 v19, 20, v19
	v_and_b32_e32 v6, 0x80000000, v6
	v_lshl_add_u32 v4, v4, 23, v10
	v_or3_b32 v4, v6, v4, v19
	v_lshrrev_b32_e32 v19, 16, v4
.LBB816_1032:                           ;   in Loop: Header=BB816_794 Depth=1
	s_or_b64 exec, exec, s[18:19]
.LBB816_1033:                           ;   in Loop: Header=BB816_794 Depth=1
	s_or_b64 exec, exec, s[16:17]
.LBB816_1034:                           ;   in Loop: Header=BB816_794 Depth=1
	s_or_b64 exec, exec, s[14:15]
	buffer_load_dword v6, v11, s[0:3], 0 offen offset:40
	buffer_load_dword v4, v11, s[0:3], 0 offen offset:44
	v_perm_b32 v21, v17, v15, s26
	v_perm_b32 v20, v12, v13, s26
	;; [unrolled: 1-line block ×4, first 2 shown]
	v_mfma_f32_4x4x4bf16_1k a[0:3], v[2:3], v[20:21], a[0:3] cbsz:4 abid:8
	s_waitcnt vmcnt(1)
	v_cmp_ne_u16_sdwa s[16:17], v6, v9 src0_sel:BYTE_0 src1_sel:DWORD
	v_mfma_f32_4x4x4bf16_1k a[0:3], v[2:3], v[12:13], a[0:3] cbsz:4 abid:9
	s_and_saveexec_b64 s[14:15], s[16:17]
	s_cbranch_execz .LBB816_1040
; %bb.1035:                             ;   in Loop: Header=BB816_794 Depth=1
	v_cmp_ne_u16_sdwa s[18:19], v6, s21 src0_sel:BYTE_0 src1_sel:DWORD
	v_mov_b32_e32 v14, 0xffff8000
	s_and_saveexec_b64 s[16:17], s[18:19]
	s_cbranch_execz .LBB816_1039
; %bb.1036:                             ;   in Loop: Header=BB816_794 Depth=1
	v_and_b32_e32 v8, 0x7f, v6
	v_cmp_ne_u32_e32 vcc, s23, v8
	v_mov_b32_e32 v14, 0x7f80
	s_and_saveexec_b64 s[18:19], vcc
	s_cbranch_execz .LBB816_1038
; %bb.1037:                             ;   in Loop: Header=BB816_794 Depth=1
	v_and_b32_e32 v14, 7, v6
	v_ffbh_u32_e32 v12, v14
	v_min_u32_e32 v16, 32, v12
	v_subrev_u32_e32 v12, 28, v16
	v_lshlrev_b64 v[12:13], v12, v[6:7]
	v_lshrrev_b32_e32 v15, 3, v8
	v_sub_u32_e32 v13, 29, v16
	v_and_b32_e32 v12, 7, v12
	v_cmp_gt_u32_e32 vcc, 8, v8
	v_cndmask_b32_e32 v8, v15, v13, vcc
	v_cndmask_b32_e32 v12, v14, v12, vcc
	v_lshlrev_b32_e32 v13, 24, v6
	v_lshlrev_b32_e32 v12, 20, v12
	v_and_b32_e32 v13, 0x80000000, v13
	v_lshl_add_u32 v8, v8, 23, v10
	v_or3_b32 v8, v13, v8, v12
	v_lshrrev_b32_e32 v14, 16, v8
.LBB816_1038:                           ;   in Loop: Header=BB816_794 Depth=1
	s_or_b64 exec, exec, s[18:19]
.LBB816_1039:                           ;   in Loop: Header=BB816_794 Depth=1
	s_or_b64 exec, exec, s[16:17]
.LBB816_1040:                           ;   in Loop: Header=BB816_794 Depth=1
	s_or_b64 exec, exec, s[14:15]
	v_lshrrev_b16_e32 v8, 8, v6
	v_cmp_ne_u16_e32 vcc, 0, v8
	v_mov_b32_e32 v15, 0
	v_mov_b32_e32 v13, 0
	s_and_saveexec_b64 s[14:15], vcc
	s_cbranch_execz .LBB816_1046
; %bb.1041:                             ;   in Loop: Header=BB816_794 Depth=1
	v_cmp_ne_u16_e32 vcc, s21, v8
	v_mov_b32_e32 v13, 0xffff8000
	s_and_saveexec_b64 s[16:17], vcc
	s_cbranch_execz .LBB816_1045
; %bb.1042:                             ;   in Loop: Header=BB816_794 Depth=1
	v_and_b32_e32 v12, 0x7f, v8
	v_cmp_ne_u32_e32 vcc, s23, v12
	v_mov_b32_e32 v13, 0x7f80
	s_and_saveexec_b64 s[18:19], vcc
	s_cbranch_execz .LBB816_1044
; %bb.1043:                             ;   in Loop: Header=BB816_794 Depth=1
	v_and_b32_e32 v13, 7, v8
	v_ffbh_u32_e32 v16, v13
	v_min_u32_e32 v19, 32, v16
	v_subrev_u32_e32 v16, 28, v19
	v_lshlrev_b64 v[16:17], v16, v[8:9]
	v_lshrrev_b32_e32 v18, 3, v12
	v_sub_u32_e32 v8, 29, v19
	v_and_b32_e32 v16, 7, v16
	v_cmp_gt_u32_e32 vcc, 8, v12
	v_cndmask_b32_e32 v8, v18, v8, vcc
	v_cndmask_b32_e32 v12, v13, v16, vcc
	v_lshlrev_b32_e32 v13, 16, v6
	v_lshlrev_b32_e32 v12, 20, v12
	v_and_b32_e32 v13, 0x80000000, v13
	v_lshl_add_u32 v8, v8, 23, v10
	v_or3_b32 v8, v13, v8, v12
	v_lshrrev_b32_e32 v13, 16, v8
.LBB816_1044:                           ;   in Loop: Header=BB816_794 Depth=1
	s_or_b64 exec, exec, s[18:19]
.LBB816_1045:                           ;   in Loop: Header=BB816_794 Depth=1
	s_or_b64 exec, exec, s[16:17]
.LBB816_1046:                           ;   in Loop: Header=BB816_794 Depth=1
	s_or_b64 exec, exec, s[14:15]
	v_lshrrev_b32_e32 v8, 16, v6
	v_cmp_ne_u16_sdwa s[16:17], v8, v9 src0_sel:BYTE_0 src1_sel:DWORD
	s_and_saveexec_b64 s[14:15], s[16:17]
	s_cbranch_execz .LBB816_1052
; %bb.1047:                             ;   in Loop: Header=BB816_794 Depth=1
	v_cmp_ne_u16_sdwa s[18:19], v8, s21 src0_sel:BYTE_0 src1_sel:DWORD
	v_mov_b32_e32 v15, 0xffff8000
	s_and_saveexec_b64 s[16:17], s[18:19]
	s_cbranch_execz .LBB816_1051
; %bb.1048:                             ;   in Loop: Header=BB816_794 Depth=1
	v_bfe_u32 v12, v6, 16, 7
	v_cmp_ne_u32_e32 vcc, s23, v12
	v_mov_b32_e32 v15, 0x7f80
	s_and_saveexec_b64 s[18:19], vcc
	s_cbranch_execz .LBB816_1050
; %bb.1049:                             ;   in Loop: Header=BB816_794 Depth=1
	v_and_b32_e32 v15, 7, v8
	v_ffbh_u32_e32 v16, v15
	v_min_u32_e32 v19, 32, v16
	v_subrev_u32_e32 v16, 28, v19
	v_lshlrev_b64 v[16:17], v16, v[8:9]
	v_lshrrev_b32_e32 v18, 3, v12
	v_sub_u32_e32 v17, 29, v19
	v_and_b32_e32 v16, 7, v16
	v_cmp_gt_u32_e32 vcc, 8, v12
	v_cndmask_b32_e32 v12, v18, v17, vcc
	v_cndmask_b32_e32 v15, v15, v16, vcc
	v_lshlrev_b32_e32 v8, 24, v8
	v_lshlrev_b32_e32 v15, 20, v15
	v_and_b32_e32 v8, 0x80000000, v8
	v_lshl_add_u32 v12, v12, 23, v10
	v_or3_b32 v8, v8, v12, v15
	v_lshrrev_b32_e32 v15, 16, v8
.LBB816_1050:                           ;   in Loop: Header=BB816_794 Depth=1
	s_or_b64 exec, exec, s[18:19]
.LBB816_1051:                           ;   in Loop: Header=BB816_794 Depth=1
	s_or_b64 exec, exec, s[16:17]
.LBB816_1052:                           ;   in Loop: Header=BB816_794 Depth=1
	s_or_b64 exec, exec, s[14:15]
	v_cmp_lt_u32_e32 vcc, s25, v6
	v_mov_b32_e32 v16, 0
	v_mov_b32_e32 v17, 0
	s_and_saveexec_b64 s[14:15], vcc
	s_cbranch_execz .LBB816_1058
; %bb.1053:                             ;   in Loop: Header=BB816_794 Depth=1
	v_lshrrev_b32_e32 v8, 24, v6
	v_cmp_ne_u32_e32 vcc, s21, v8
	v_mov_b32_e32 v17, 0xffff8000
	s_and_saveexec_b64 s[16:17], vcc
	s_cbranch_execz .LBB816_1057
; %bb.1054:                             ;   in Loop: Header=BB816_794 Depth=1
	v_bfe_u32 v6, v6, 24, 7
	v_cmp_ne_u32_e32 vcc, s23, v6
	v_mov_b32_e32 v17, 0x7f80
	s_and_saveexec_b64 s[18:19], vcc
	s_cbranch_execz .LBB816_1056
; %bb.1055:                             ;   in Loop: Header=BB816_794 Depth=1
	v_and_b32_e32 v12, 7, v8
	v_ffbh_u32_e32 v18, v12
	v_min_u32_e32 v20, 32, v18
	v_subrev_u32_e32 v18, 28, v20
	v_lshlrev_b64 v[18:19], v18, v[8:9]
	v_lshrrev_b32_e32 v17, 3, v6
	v_sub_u32_e32 v19, 29, v20
	v_and_b32_e32 v18, 7, v18
	v_cmp_gt_u32_e32 vcc, 8, v6
	v_cndmask_b32_e32 v6, v17, v19, vcc
	v_cndmask_b32_e32 v12, v12, v18, vcc
	v_lshlrev_b32_e32 v8, 24, v8
	v_lshlrev_b32_e32 v12, 20, v12
	v_and_b32_e32 v8, 0x80000000, v8
	v_lshl_add_u32 v6, v6, 23, v10
	v_or3_b32 v6, v8, v6, v12
	v_lshrrev_b32_e32 v17, 16, v6
.LBB816_1056:                           ;   in Loop: Header=BB816_794 Depth=1
	s_or_b64 exec, exec, s[18:19]
.LBB816_1057:                           ;   in Loop: Header=BB816_794 Depth=1
	s_or_b64 exec, exec, s[16:17]
.LBB816_1058:                           ;   in Loop: Header=BB816_794 Depth=1
	s_or_b64 exec, exec, s[14:15]
	s_waitcnt vmcnt(0)
	v_cmp_ne_u16_sdwa s[16:17], v4, v9 src0_sel:BYTE_0 src1_sel:DWORD
	s_and_saveexec_b64 s[14:15], s[16:17]
	s_cbranch_execz .LBB816_1064
; %bb.1059:                             ;   in Loop: Header=BB816_794 Depth=1
	v_cmp_ne_u16_sdwa s[18:19], v4, s21 src0_sel:BYTE_0 src1_sel:DWORD
	v_mov_b32_e32 v16, 0xffff8000
	s_and_saveexec_b64 s[16:17], s[18:19]
	s_cbranch_execz .LBB816_1063
; %bb.1060:                             ;   in Loop: Header=BB816_794 Depth=1
	v_and_b32_e32 v6, 0x7f, v4
	v_cmp_ne_u32_e32 vcc, s23, v6
	v_mov_b32_e32 v16, 0x7f80
	s_and_saveexec_b64 s[18:19], vcc
	s_cbranch_execz .LBB816_1062
; %bb.1061:                             ;   in Loop: Header=BB816_794 Depth=1
	v_and_b32_e32 v8, 7, v4
	v_ffbh_u32_e32 v16, v8
	v_min_u32_e32 v16, 32, v16
	v_subrev_u32_e32 v18, 28, v16
	v_lshlrev_b64 v[18:19], v18, v[4:5]
	v_lshrrev_b32_e32 v12, 3, v6
	v_sub_u32_e32 v16, 29, v16
	v_and_b32_e32 v18, 7, v18
	v_cmp_gt_u32_e32 vcc, 8, v6
	v_cndmask_b32_e32 v6, v12, v16, vcc
	v_cndmask_b32_e32 v8, v8, v18, vcc
	v_lshlrev_b32_e32 v12, 24, v4
	v_lshlrev_b32_e32 v8, 20, v8
	v_and_b32_e32 v12, 0x80000000, v12
	v_lshl_add_u32 v6, v6, 23, v10
	v_or3_b32 v6, v12, v6, v8
	v_lshrrev_b32_e32 v16, 16, v6
.LBB816_1062:                           ;   in Loop: Header=BB816_794 Depth=1
	s_or_b64 exec, exec, s[18:19]
.LBB816_1063:                           ;   in Loop: Header=BB816_794 Depth=1
	s_or_b64 exec, exec, s[16:17]
.LBB816_1064:                           ;   in Loop: Header=BB816_794 Depth=1
	s_or_b64 exec, exec, s[14:15]
	v_lshrrev_b16_e32 v6, 8, v4
	v_cmp_ne_u16_e32 vcc, 0, v6
	v_mov_b32_e32 v18, 0
	v_mov_b32_e32 v8, 0
	s_and_saveexec_b64 s[14:15], vcc
	s_cbranch_execz .LBB816_1070
; %bb.1065:                             ;   in Loop: Header=BB816_794 Depth=1
	v_cmp_ne_u16_e32 vcc, s21, v6
	v_mov_b32_e32 v8, 0xffff8000
	s_and_saveexec_b64 s[16:17], vcc
	s_cbranch_execz .LBB816_1069
; %bb.1066:                             ;   in Loop: Header=BB816_794 Depth=1
	v_and_b32_e32 v12, 0x7f, v6
	v_cmp_ne_u32_e32 vcc, s23, v12
	v_mov_b32_e32 v8, 0x7f80
	s_and_saveexec_b64 s[18:19], vcc
	s_cbranch_execz .LBB816_1068
; %bb.1067:                             ;   in Loop: Header=BB816_794 Depth=1
	v_and_b32_e32 v8, 7, v6
	v_ffbh_u32_e32 v20, v8
	v_min_u32_e32 v22, 32, v20
	v_subrev_u32_e32 v20, 28, v22
	v_lshlrev_b64 v[20:21], v20, v[6:7]
	v_lshrrev_b32_e32 v19, 3, v12
	v_sub_u32_e32 v6, 29, v22
	v_and_b32_e32 v20, 7, v20
	v_cmp_gt_u32_e32 vcc, 8, v12
	v_cndmask_b32_e32 v6, v19, v6, vcc
	v_cndmask_b32_e32 v8, v8, v20, vcc
	v_lshlrev_b32_e32 v12, 16, v4
	v_lshlrev_b32_e32 v8, 20, v8
	v_and_b32_e32 v12, 0x80000000, v12
	v_lshl_add_u32 v6, v6, 23, v10
	v_or3_b32 v6, v12, v6, v8
	v_lshrrev_b32_e32 v8, 16, v6
.LBB816_1068:                           ;   in Loop: Header=BB816_794 Depth=1
	s_or_b64 exec, exec, s[18:19]
.LBB816_1069:                           ;   in Loop: Header=BB816_794 Depth=1
	s_or_b64 exec, exec, s[16:17]
.LBB816_1070:                           ;   in Loop: Header=BB816_794 Depth=1
	s_or_b64 exec, exec, s[14:15]
	v_lshrrev_b32_e32 v6, 16, v4
	v_cmp_ne_u16_sdwa s[16:17], v6, v9 src0_sel:BYTE_0 src1_sel:DWORD
	s_and_saveexec_b64 s[14:15], s[16:17]
	s_cbranch_execz .LBB816_1076
; %bb.1071:                             ;   in Loop: Header=BB816_794 Depth=1
	v_cmp_ne_u16_sdwa s[18:19], v6, s21 src0_sel:BYTE_0 src1_sel:DWORD
	v_mov_b32_e32 v18, 0xffff8000
	s_and_saveexec_b64 s[16:17], s[18:19]
	s_cbranch_execz .LBB816_1075
; %bb.1072:                             ;   in Loop: Header=BB816_794 Depth=1
	v_bfe_u32 v12, v4, 16, 7
	v_cmp_ne_u32_e32 vcc, s23, v12
	v_mov_b32_e32 v18, 0x7f80
	s_and_saveexec_b64 s[18:19], vcc
	s_cbranch_execz .LBB816_1074
; %bb.1073:                             ;   in Loop: Header=BB816_794 Depth=1
	v_and_b32_e32 v20, 7, v6
	v_ffbh_u32_e32 v18, v20
	v_min_u32_e32 v22, 32, v18
	v_subrev_u32_e32 v18, 28, v22
	v_lshlrev_b64 v[18:19], v18, v[6:7]
	v_lshrrev_b32_e32 v21, 3, v12
	v_sub_u32_e32 v19, 29, v22
	v_and_b32_e32 v18, 7, v18
	v_cmp_gt_u32_e32 vcc, 8, v12
	v_cndmask_b32_e32 v12, v21, v19, vcc
	v_cndmask_b32_e32 v18, v20, v18, vcc
	v_lshlrev_b32_e32 v6, 24, v6
	v_lshlrev_b32_e32 v18, 20, v18
	v_and_b32_e32 v6, 0x80000000, v6
	v_lshl_add_u32 v12, v12, 23, v10
	v_or3_b32 v6, v6, v12, v18
	v_lshrrev_b32_e32 v18, 16, v6
.LBB816_1074:                           ;   in Loop: Header=BB816_794 Depth=1
	s_or_b64 exec, exec, s[18:19]
.LBB816_1075:                           ;   in Loop: Header=BB816_794 Depth=1
	s_or_b64 exec, exec, s[16:17]
.LBB816_1076:                           ;   in Loop: Header=BB816_794 Depth=1
	s_or_b64 exec, exec, s[14:15]
	v_cmp_lt_u32_e32 vcc, s25, v4
	v_mov_b32_e32 v12, 0
	v_mov_b32_e32 v19, 0
	s_and_saveexec_b64 s[14:15], vcc
	s_cbranch_execz .LBB816_1082
; %bb.1077:                             ;   in Loop: Header=BB816_794 Depth=1
	v_lshrrev_b32_e32 v6, 24, v4
	v_cmp_ne_u32_e32 vcc, s21, v6
	v_mov_b32_e32 v19, 0xffff8000
	s_and_saveexec_b64 s[16:17], vcc
	s_cbranch_execz .LBB816_1081
; %bb.1078:                             ;   in Loop: Header=BB816_794 Depth=1
	v_bfe_u32 v4, v4, 24, 7
	v_cmp_ne_u32_e32 vcc, s23, v4
	v_mov_b32_e32 v19, 0x7f80
	s_and_saveexec_b64 s[18:19], vcc
	s_cbranch_execz .LBB816_1080
; %bb.1079:                             ;   in Loop: Header=BB816_794 Depth=1
	v_and_b32_e32 v19, 7, v6
	v_ffbh_u32_e32 v20, v19
	v_min_u32_e32 v23, 32, v20
	v_subrev_u32_e32 v20, 28, v23
	v_lshlrev_b64 v[20:21], v20, v[6:7]
	v_lshrrev_b32_e32 v22, 3, v4
	v_sub_u32_e32 v21, 29, v23
	v_and_b32_e32 v20, 7, v20
	v_cmp_gt_u32_e32 vcc, 8, v4
	v_cndmask_b32_e32 v4, v22, v21, vcc
	v_cndmask_b32_e32 v19, v19, v20, vcc
	v_lshlrev_b32_e32 v6, 24, v6
	v_lshlrev_b32_e32 v19, 20, v19
	v_and_b32_e32 v6, 0x80000000, v6
	v_lshl_add_u32 v4, v4, 23, v10
	v_or3_b32 v4, v6, v4, v19
	v_lshrrev_b32_e32 v19, 16, v4
.LBB816_1080:                           ;   in Loop: Header=BB816_794 Depth=1
	s_or_b64 exec, exec, s[18:19]
.LBB816_1081:                           ;   in Loop: Header=BB816_794 Depth=1
	s_or_b64 exec, exec, s[16:17]
.LBB816_1082:                           ;   in Loop: Header=BB816_794 Depth=1
	s_or_b64 exec, exec, s[14:15]
	buffer_load_dword v6, v11, s[0:3], 0 offen offset:48
	buffer_load_dword v4, v11, s[0:3], 0 offen offset:52
	v_perm_b32 v15, v17, v15, s26
	v_perm_b32 v14, v13, v14, s26
	;; [unrolled: 1-line block ×4, first 2 shown]
	v_mfma_f32_4x4x4bf16_1k a[0:3], v[2:3], v[14:15], a[0:3] cbsz:4 abid:10
	s_waitcnt vmcnt(1)
	v_cmp_ne_u16_sdwa s[16:17], v6, v9 src0_sel:BYTE_0 src1_sel:DWORD
	v_mfma_f32_4x4x4bf16_1k a[0:3], v[2:3], v[16:17], a[0:3] cbsz:4 abid:11
	s_and_saveexec_b64 s[14:15], s[16:17]
	s_cbranch_execz .LBB816_1088
; %bb.1083:                             ;   in Loop: Header=BB816_794 Depth=1
	v_cmp_ne_u16_sdwa s[18:19], v6, s21 src0_sel:BYTE_0 src1_sel:DWORD
	v_mov_b32_e32 v12, 0xffff8000
	s_and_saveexec_b64 s[16:17], s[18:19]
	s_cbranch_execz .LBB816_1087
; %bb.1084:                             ;   in Loop: Header=BB816_794 Depth=1
	v_and_b32_e32 v8, 0x7f, v6
	v_cmp_ne_u32_e32 vcc, s23, v8
	v_mov_b32_e32 v12, 0x7f80
	s_and_saveexec_b64 s[18:19], vcc
	s_cbranch_execz .LBB816_1086
; %bb.1085:                             ;   in Loop: Header=BB816_794 Depth=1
	v_and_b32_e32 v14, 7, v6
	v_ffbh_u32_e32 v12, v14
	v_min_u32_e32 v16, 32, v12
	v_subrev_u32_e32 v12, 28, v16
	v_lshlrev_b64 v[12:13], v12, v[6:7]
	v_lshrrev_b32_e32 v15, 3, v8
	v_sub_u32_e32 v13, 29, v16
	v_and_b32_e32 v12, 7, v12
	v_cmp_gt_u32_e32 vcc, 8, v8
	v_cndmask_b32_e32 v8, v15, v13, vcc
	v_cndmask_b32_e32 v12, v14, v12, vcc
	v_lshlrev_b32_e32 v13, 24, v6
	v_lshlrev_b32_e32 v12, 20, v12
	v_and_b32_e32 v13, 0x80000000, v13
	v_lshl_add_u32 v8, v8, 23, v10
	v_or3_b32 v8, v13, v8, v12
	v_lshrrev_b32_e32 v12, 16, v8
.LBB816_1086:                           ;   in Loop: Header=BB816_794 Depth=1
	s_or_b64 exec, exec, s[18:19]
.LBB816_1087:                           ;   in Loop: Header=BB816_794 Depth=1
	s_or_b64 exec, exec, s[16:17]
.LBB816_1088:                           ;   in Loop: Header=BB816_794 Depth=1
	s_or_b64 exec, exec, s[14:15]
	v_lshrrev_b16_e32 v8, 8, v6
	v_cmp_ne_u16_e32 vcc, 0, v8
	v_mov_b32_e32 v15, 0
	v_mov_b32_e32 v14, 0
	s_and_saveexec_b64 s[14:15], vcc
	s_cbranch_execz .LBB816_1094
; %bb.1089:                             ;   in Loop: Header=BB816_794 Depth=1
	v_cmp_ne_u16_e32 vcc, s21, v8
	v_mov_b32_e32 v14, 0xffff8000
	s_and_saveexec_b64 s[16:17], vcc
	s_cbranch_execz .LBB816_1093
; %bb.1090:                             ;   in Loop: Header=BB816_794 Depth=1
	v_and_b32_e32 v13, 0x7f, v8
	v_cmp_ne_u32_e32 vcc, s23, v13
	v_mov_b32_e32 v14, 0x7f80
	s_and_saveexec_b64 s[18:19], vcc
	s_cbranch_execz .LBB816_1092
; %bb.1091:                             ;   in Loop: Header=BB816_794 Depth=1
	v_and_b32_e32 v14, 7, v8
	v_ffbh_u32_e32 v16, v14
	v_min_u32_e32 v19, 32, v16
	v_subrev_u32_e32 v16, 28, v19
	v_lshlrev_b64 v[16:17], v16, v[8:9]
	v_lshrrev_b32_e32 v18, 3, v13
	v_sub_u32_e32 v8, 29, v19
	v_and_b32_e32 v16, 7, v16
	v_cmp_gt_u32_e32 vcc, 8, v13
	v_cndmask_b32_e32 v8, v18, v8, vcc
	v_cndmask_b32_e32 v13, v14, v16, vcc
	v_lshlrev_b32_e32 v14, 16, v6
	v_lshlrev_b32_e32 v13, 20, v13
	v_and_b32_e32 v14, 0x80000000, v14
	v_lshl_add_u32 v8, v8, 23, v10
	v_or3_b32 v8, v14, v8, v13
	v_lshrrev_b32_e32 v14, 16, v8
.LBB816_1092:                           ;   in Loop: Header=BB816_794 Depth=1
	s_or_b64 exec, exec, s[18:19]
.LBB816_1093:                           ;   in Loop: Header=BB816_794 Depth=1
	s_or_b64 exec, exec, s[16:17]
.LBB816_1094:                           ;   in Loop: Header=BB816_794 Depth=1
	s_or_b64 exec, exec, s[14:15]
	v_lshrrev_b32_e32 v8, 16, v6
	v_cmp_ne_u16_sdwa s[16:17], v8, v9 src0_sel:BYTE_0 src1_sel:DWORD
	s_and_saveexec_b64 s[14:15], s[16:17]
	s_cbranch_execz .LBB816_1100
; %bb.1095:                             ;   in Loop: Header=BB816_794 Depth=1
	v_cmp_ne_u16_sdwa s[18:19], v8, s21 src0_sel:BYTE_0 src1_sel:DWORD
	v_mov_b32_e32 v15, 0xffff8000
	s_and_saveexec_b64 s[16:17], s[18:19]
	s_cbranch_execz .LBB816_1099
; %bb.1096:                             ;   in Loop: Header=BB816_794 Depth=1
	v_bfe_u32 v13, v6, 16, 7
	v_cmp_ne_u32_e32 vcc, s23, v13
	v_mov_b32_e32 v15, 0x7f80
	s_and_saveexec_b64 s[18:19], vcc
	s_cbranch_execz .LBB816_1098
; %bb.1097:                             ;   in Loop: Header=BB816_794 Depth=1
	v_and_b32_e32 v15, 7, v8
	v_ffbh_u32_e32 v16, v15
	v_min_u32_e32 v19, 32, v16
	v_subrev_u32_e32 v16, 28, v19
	v_lshlrev_b64 v[16:17], v16, v[8:9]
	v_lshrrev_b32_e32 v18, 3, v13
	v_sub_u32_e32 v17, 29, v19
	v_and_b32_e32 v16, 7, v16
	v_cmp_gt_u32_e32 vcc, 8, v13
	v_cndmask_b32_e32 v13, v18, v17, vcc
	v_cndmask_b32_e32 v15, v15, v16, vcc
	v_lshlrev_b32_e32 v8, 24, v8
	v_lshlrev_b32_e32 v15, 20, v15
	v_and_b32_e32 v8, 0x80000000, v8
	v_lshl_add_u32 v13, v13, 23, v10
	v_or3_b32 v8, v8, v13, v15
	v_lshrrev_b32_e32 v15, 16, v8
.LBB816_1098:                           ;   in Loop: Header=BB816_794 Depth=1
	s_or_b64 exec, exec, s[18:19]
.LBB816_1099:                           ;   in Loop: Header=BB816_794 Depth=1
	s_or_b64 exec, exec, s[16:17]
.LBB816_1100:                           ;   in Loop: Header=BB816_794 Depth=1
	s_or_b64 exec, exec, s[14:15]
	v_cmp_lt_u32_e32 vcc, s25, v6
	v_mov_b32_e32 v16, 0
	v_mov_b32_e32 v17, 0
	s_and_saveexec_b64 s[14:15], vcc
	s_cbranch_execz .LBB816_1106
; %bb.1101:                             ;   in Loop: Header=BB816_794 Depth=1
	v_lshrrev_b32_e32 v8, 24, v6
	v_cmp_ne_u32_e32 vcc, s21, v8
	v_mov_b32_e32 v17, 0xffff8000
	s_and_saveexec_b64 s[16:17], vcc
	s_cbranch_execz .LBB816_1105
; %bb.1102:                             ;   in Loop: Header=BB816_794 Depth=1
	v_bfe_u32 v6, v6, 24, 7
	v_cmp_ne_u32_e32 vcc, s23, v6
	v_mov_b32_e32 v17, 0x7f80
	s_and_saveexec_b64 s[18:19], vcc
	s_cbranch_execz .LBB816_1104
; %bb.1103:                             ;   in Loop: Header=BB816_794 Depth=1
	v_and_b32_e32 v13, 7, v8
	v_ffbh_u32_e32 v18, v13
	v_min_u32_e32 v20, 32, v18
	v_subrev_u32_e32 v18, 28, v20
	v_lshlrev_b64 v[18:19], v18, v[8:9]
	v_lshrrev_b32_e32 v17, 3, v6
	v_sub_u32_e32 v19, 29, v20
	v_and_b32_e32 v18, 7, v18
	v_cmp_gt_u32_e32 vcc, 8, v6
	v_cndmask_b32_e32 v6, v17, v19, vcc
	v_cndmask_b32_e32 v13, v13, v18, vcc
	v_lshlrev_b32_e32 v8, 24, v8
	v_lshlrev_b32_e32 v13, 20, v13
	v_and_b32_e32 v8, 0x80000000, v8
	v_lshl_add_u32 v6, v6, 23, v10
	v_or3_b32 v6, v8, v6, v13
	v_lshrrev_b32_e32 v17, 16, v6
.LBB816_1104:                           ;   in Loop: Header=BB816_794 Depth=1
	s_or_b64 exec, exec, s[18:19]
.LBB816_1105:                           ;   in Loop: Header=BB816_794 Depth=1
	s_or_b64 exec, exec, s[16:17]
.LBB816_1106:                           ;   in Loop: Header=BB816_794 Depth=1
	s_or_b64 exec, exec, s[14:15]
	s_waitcnt vmcnt(0)
	v_cmp_ne_u16_sdwa s[16:17], v4, v9 src0_sel:BYTE_0 src1_sel:DWORD
	s_and_saveexec_b64 s[14:15], s[16:17]
	s_cbranch_execz .LBB816_1112
; %bb.1107:                             ;   in Loop: Header=BB816_794 Depth=1
	v_cmp_ne_u16_sdwa s[18:19], v4, s21 src0_sel:BYTE_0 src1_sel:DWORD
	v_mov_b32_e32 v16, 0xffff8000
	s_and_saveexec_b64 s[16:17], s[18:19]
	s_cbranch_execz .LBB816_1111
; %bb.1108:                             ;   in Loop: Header=BB816_794 Depth=1
	v_and_b32_e32 v6, 0x7f, v4
	v_cmp_ne_u32_e32 vcc, s23, v6
	v_mov_b32_e32 v16, 0x7f80
	s_and_saveexec_b64 s[18:19], vcc
	s_cbranch_execz .LBB816_1110
; %bb.1109:                             ;   in Loop: Header=BB816_794 Depth=1
	v_and_b32_e32 v8, 7, v4
	v_ffbh_u32_e32 v16, v8
	v_min_u32_e32 v16, 32, v16
	v_subrev_u32_e32 v18, 28, v16
	v_lshlrev_b64 v[18:19], v18, v[4:5]
	v_lshrrev_b32_e32 v13, 3, v6
	v_sub_u32_e32 v16, 29, v16
	v_and_b32_e32 v18, 7, v18
	v_cmp_gt_u32_e32 vcc, 8, v6
	v_cndmask_b32_e32 v6, v13, v16, vcc
	v_cndmask_b32_e32 v8, v8, v18, vcc
	v_lshlrev_b32_e32 v13, 24, v4
	v_lshlrev_b32_e32 v8, 20, v8
	v_and_b32_e32 v13, 0x80000000, v13
	v_lshl_add_u32 v6, v6, 23, v10
	v_or3_b32 v6, v13, v6, v8
	v_lshrrev_b32_e32 v16, 16, v6
.LBB816_1110:                           ;   in Loop: Header=BB816_794 Depth=1
	s_or_b64 exec, exec, s[18:19]
.LBB816_1111:                           ;   in Loop: Header=BB816_794 Depth=1
	s_or_b64 exec, exec, s[16:17]
.LBB816_1112:                           ;   in Loop: Header=BB816_794 Depth=1
	s_or_b64 exec, exec, s[14:15]
	v_lshrrev_b16_e32 v6, 8, v4
	v_cmp_ne_u16_e32 vcc, 0, v6
	v_mov_b32_e32 v18, 0
	v_mov_b32_e32 v8, 0
	s_and_saveexec_b64 s[14:15], vcc
	s_cbranch_execz .LBB816_1118
; %bb.1113:                             ;   in Loop: Header=BB816_794 Depth=1
	v_cmp_ne_u16_e32 vcc, s21, v6
	v_mov_b32_e32 v8, 0xffff8000
	s_and_saveexec_b64 s[16:17], vcc
	s_cbranch_execz .LBB816_1117
; %bb.1114:                             ;   in Loop: Header=BB816_794 Depth=1
	v_and_b32_e32 v13, 0x7f, v6
	v_cmp_ne_u32_e32 vcc, s23, v13
	v_mov_b32_e32 v8, 0x7f80
	s_and_saveexec_b64 s[18:19], vcc
	s_cbranch_execz .LBB816_1116
; %bb.1115:                             ;   in Loop: Header=BB816_794 Depth=1
	v_and_b32_e32 v8, 7, v6
	v_ffbh_u32_e32 v20, v8
	v_min_u32_e32 v22, 32, v20
	v_subrev_u32_e32 v20, 28, v22
	v_lshlrev_b64 v[20:21], v20, v[6:7]
	v_lshrrev_b32_e32 v19, 3, v13
	v_sub_u32_e32 v6, 29, v22
	v_and_b32_e32 v20, 7, v20
	v_cmp_gt_u32_e32 vcc, 8, v13
	v_cndmask_b32_e32 v6, v19, v6, vcc
	v_cndmask_b32_e32 v8, v8, v20, vcc
	v_lshlrev_b32_e32 v13, 16, v4
	v_lshlrev_b32_e32 v8, 20, v8
	v_and_b32_e32 v13, 0x80000000, v13
	v_lshl_add_u32 v6, v6, 23, v10
	v_or3_b32 v6, v13, v6, v8
	v_lshrrev_b32_e32 v8, 16, v6
.LBB816_1116:                           ;   in Loop: Header=BB816_794 Depth=1
	s_or_b64 exec, exec, s[18:19]
.LBB816_1117:                           ;   in Loop: Header=BB816_794 Depth=1
	s_or_b64 exec, exec, s[16:17]
.LBB816_1118:                           ;   in Loop: Header=BB816_794 Depth=1
	s_or_b64 exec, exec, s[14:15]
	v_lshrrev_b32_e32 v6, 16, v4
	v_cmp_ne_u16_sdwa s[16:17], v6, v9 src0_sel:BYTE_0 src1_sel:DWORD
	s_and_saveexec_b64 s[14:15], s[16:17]
	s_cbranch_execz .LBB816_1124
; %bb.1119:                             ;   in Loop: Header=BB816_794 Depth=1
	v_cmp_ne_u16_sdwa s[18:19], v6, s21 src0_sel:BYTE_0 src1_sel:DWORD
	v_mov_b32_e32 v18, 0xffff8000
	s_and_saveexec_b64 s[16:17], s[18:19]
	s_cbranch_execz .LBB816_1123
; %bb.1120:                             ;   in Loop: Header=BB816_794 Depth=1
	v_bfe_u32 v13, v4, 16, 7
	v_cmp_ne_u32_e32 vcc, s23, v13
	v_mov_b32_e32 v18, 0x7f80
	s_and_saveexec_b64 s[18:19], vcc
	s_cbranch_execz .LBB816_1122
; %bb.1121:                             ;   in Loop: Header=BB816_794 Depth=1
	v_and_b32_e32 v20, 7, v6
	v_ffbh_u32_e32 v18, v20
	v_min_u32_e32 v22, 32, v18
	v_subrev_u32_e32 v18, 28, v22
	v_lshlrev_b64 v[18:19], v18, v[6:7]
	v_lshrrev_b32_e32 v21, 3, v13
	v_sub_u32_e32 v19, 29, v22
	v_and_b32_e32 v18, 7, v18
	v_cmp_gt_u32_e32 vcc, 8, v13
	v_cndmask_b32_e32 v13, v21, v19, vcc
	v_cndmask_b32_e32 v18, v20, v18, vcc
	v_lshlrev_b32_e32 v6, 24, v6
	v_lshlrev_b32_e32 v18, 20, v18
	v_and_b32_e32 v6, 0x80000000, v6
	v_lshl_add_u32 v13, v13, 23, v10
	v_or3_b32 v6, v6, v13, v18
	v_lshrrev_b32_e32 v18, 16, v6
.LBB816_1122:                           ;   in Loop: Header=BB816_794 Depth=1
	s_or_b64 exec, exec, s[18:19]
.LBB816_1123:                           ;   in Loop: Header=BB816_794 Depth=1
	s_or_b64 exec, exec, s[16:17]
.LBB816_1124:                           ;   in Loop: Header=BB816_794 Depth=1
	s_or_b64 exec, exec, s[14:15]
	v_cmp_lt_u32_e32 vcc, s25, v4
	v_mov_b32_e32 v13, 0
	v_mov_b32_e32 v19, 0
	s_and_saveexec_b64 s[14:15], vcc
	s_cbranch_execz .LBB816_1130
; %bb.1125:                             ;   in Loop: Header=BB816_794 Depth=1
	v_lshrrev_b32_e32 v6, 24, v4
	v_cmp_ne_u32_e32 vcc, s21, v6
	v_mov_b32_e32 v19, 0xffff8000
	s_and_saveexec_b64 s[16:17], vcc
	s_cbranch_execz .LBB816_1129
; %bb.1126:                             ;   in Loop: Header=BB816_794 Depth=1
	v_bfe_u32 v4, v4, 24, 7
	v_cmp_ne_u32_e32 vcc, s23, v4
	v_mov_b32_e32 v19, 0x7f80
	s_and_saveexec_b64 s[18:19], vcc
	s_cbranch_execz .LBB816_1128
; %bb.1127:                             ;   in Loop: Header=BB816_794 Depth=1
	v_and_b32_e32 v19, 7, v6
	v_ffbh_u32_e32 v20, v19
	v_min_u32_e32 v23, 32, v20
	v_subrev_u32_e32 v20, 28, v23
	v_lshlrev_b64 v[20:21], v20, v[6:7]
	v_lshrrev_b32_e32 v22, 3, v4
	v_sub_u32_e32 v21, 29, v23
	v_and_b32_e32 v20, 7, v20
	v_cmp_gt_u32_e32 vcc, 8, v4
	v_cndmask_b32_e32 v4, v22, v21, vcc
	v_cndmask_b32_e32 v19, v19, v20, vcc
	v_lshlrev_b32_e32 v6, 24, v6
	v_lshlrev_b32_e32 v19, 20, v19
	v_and_b32_e32 v6, 0x80000000, v6
	v_lshl_add_u32 v4, v4, 23, v10
	v_or3_b32 v4, v6, v4, v19
	v_lshrrev_b32_e32 v19, 16, v4
.LBB816_1128:                           ;   in Loop: Header=BB816_794 Depth=1
	s_or_b64 exec, exec, s[18:19]
.LBB816_1129:                           ;   in Loop: Header=BB816_794 Depth=1
	s_or_b64 exec, exec, s[16:17]
.LBB816_1130:                           ;   in Loop: Header=BB816_794 Depth=1
	s_or_b64 exec, exec, s[14:15]
	buffer_load_dword v6, v11, s[0:3], 0 offen offset:56
	buffer_load_dword v4, v11, s[0:3], 0 offen offset:60
	v_perm_b32 v15, v17, v15, s26
	v_perm_b32 v14, v14, v12, s26
	;; [unrolled: 1-line block ×4, first 2 shown]
	v_mfma_f32_4x4x4bf16_1k a[0:3], v[2:3], v[14:15], a[0:3] cbsz:4 abid:12
	s_waitcnt vmcnt(1)
	v_cmp_ne_u16_sdwa s[16:17], v6, v9 src0_sel:BYTE_0 src1_sel:DWORD
	v_mfma_f32_4x4x4bf16_1k a[0:3], v[2:3], v[16:17], a[0:3] cbsz:4 abid:13
	s_and_saveexec_b64 s[14:15], s[16:17]
	s_cbranch_execz .LBB816_1136
; %bb.1131:                             ;   in Loop: Header=BB816_794 Depth=1
	v_cmp_ne_u16_sdwa s[18:19], v6, s21 src0_sel:BYTE_0 src1_sel:DWORD
	v_mov_b32_e32 v13, 0xffff8000
	s_and_saveexec_b64 s[16:17], s[18:19]
	s_cbranch_execz .LBB816_1135
; %bb.1132:                             ;   in Loop: Header=BB816_794 Depth=1
	v_and_b32_e32 v8, 0x7f, v6
	v_cmp_ne_u32_e32 vcc, s23, v8
	v_mov_b32_e32 v13, 0x7f80
	s_and_saveexec_b64 s[18:19], vcc
	s_cbranch_execz .LBB816_1134
; %bb.1133:                             ;   in Loop: Header=BB816_794 Depth=1
	v_and_b32_e32 v11, 7, v6
	v_ffbh_u32_e32 v12, v11
	v_min_u32_e32 v15, 32, v12
	v_subrev_u32_e32 v12, 28, v15
	v_lshlrev_b64 v[12:13], v12, v[6:7]
	v_lshrrev_b32_e32 v14, 3, v8
	v_sub_u32_e32 v13, 29, v15
	v_and_b32_e32 v12, 7, v12
	v_cmp_gt_u32_e32 vcc, 8, v8
	v_cndmask_b32_e32 v8, v14, v13, vcc
	v_cndmask_b32_e32 v11, v11, v12, vcc
	v_lshlrev_b32_e32 v12, 24, v6
	v_lshlrev_b32_e32 v11, 20, v11
	v_and_b32_e32 v12, 0x80000000, v12
	v_lshl_add_u32 v8, v8, 23, v10
	v_or3_b32 v8, v12, v8, v11
	v_lshrrev_b32_e32 v13, 16, v8
.LBB816_1134:                           ;   in Loop: Header=BB816_794 Depth=1
	s_or_b64 exec, exec, s[18:19]
.LBB816_1135:                           ;   in Loop: Header=BB816_794 Depth=1
	s_or_b64 exec, exec, s[16:17]
.LBB816_1136:                           ;   in Loop: Header=BB816_794 Depth=1
	s_or_b64 exec, exec, s[14:15]
	v_lshrrev_b16_e32 v8, 8, v6
	v_cmp_ne_u16_e32 vcc, 0, v8
	v_mov_b32_e32 v12, 0
	v_mov_b32_e32 v11, 0
	s_and_saveexec_b64 s[14:15], vcc
	s_cbranch_execz .LBB816_1142
; %bb.1137:                             ;   in Loop: Header=BB816_794 Depth=1
	v_cmp_ne_u16_e32 vcc, s21, v8
	v_mov_b32_e32 v11, 0xffff8000
	s_and_saveexec_b64 s[16:17], vcc
	s_cbranch_execz .LBB816_1141
; %bb.1138:                             ;   in Loop: Header=BB816_794 Depth=1
	v_and_b32_e32 v14, 0x7f, v8
	v_cmp_ne_u32_e32 vcc, s23, v14
	v_mov_b32_e32 v11, 0x7f80
	s_and_saveexec_b64 s[18:19], vcc
	s_cbranch_execz .LBB816_1140
; %bb.1139:                             ;   in Loop: Header=BB816_794 Depth=1
	v_and_b32_e32 v11, 7, v8
	v_ffbh_u32_e32 v16, v11
	v_min_u32_e32 v18, 32, v16
	v_subrev_u32_e32 v16, 28, v18
	v_lshlrev_b64 v[16:17], v16, v[8:9]
	v_lshrrev_b32_e32 v15, 3, v14
	v_sub_u32_e32 v8, 29, v18
	v_and_b32_e32 v16, 7, v16
	v_cmp_gt_u32_e32 vcc, 8, v14
	v_cndmask_b32_e32 v8, v15, v8, vcc
	v_cndmask_b32_e32 v11, v11, v16, vcc
	v_lshlrev_b32_e32 v14, 16, v6
	v_lshlrev_b32_e32 v11, 20, v11
	v_and_b32_e32 v14, 0x80000000, v14
	v_lshl_add_u32 v8, v8, 23, v10
	v_or3_b32 v8, v14, v8, v11
	v_lshrrev_b32_e32 v11, 16, v8
.LBB816_1140:                           ;   in Loop: Header=BB816_794 Depth=1
	s_or_b64 exec, exec, s[18:19]
.LBB816_1141:                           ;   in Loop: Header=BB816_794 Depth=1
	s_or_b64 exec, exec, s[16:17]
.LBB816_1142:                           ;   in Loop: Header=BB816_794 Depth=1
	s_or_b64 exec, exec, s[14:15]
	v_lshrrev_b32_e32 v8, 16, v6
	v_cmp_ne_u16_sdwa s[16:17], v8, v9 src0_sel:BYTE_0 src1_sel:DWORD
	s_and_saveexec_b64 s[14:15], s[16:17]
	s_cbranch_execz .LBB816_1148
; %bb.1143:                             ;   in Loop: Header=BB816_794 Depth=1
	v_cmp_ne_u16_sdwa s[18:19], v8, s21 src0_sel:BYTE_0 src1_sel:DWORD
	v_mov_b32_e32 v12, 0xffff8000
	s_and_saveexec_b64 s[16:17], s[18:19]
	s_cbranch_execz .LBB816_1147
; %bb.1144:                             ;   in Loop: Header=BB816_794 Depth=1
	v_bfe_u32 v14, v6, 16, 7
	v_cmp_ne_u32_e32 vcc, s23, v14
	v_mov_b32_e32 v12, 0x7f80
	s_and_saveexec_b64 s[18:19], vcc
	s_cbranch_execz .LBB816_1146
; %bb.1145:                             ;   in Loop: Header=BB816_794 Depth=1
	v_and_b32_e32 v12, 7, v8
	v_ffbh_u32_e32 v16, v12
	v_min_u32_e32 v18, 32, v16
	v_subrev_u32_e32 v16, 28, v18
	v_lshlrev_b64 v[16:17], v16, v[8:9]
	v_lshrrev_b32_e32 v15, 3, v14
	v_sub_u32_e32 v17, 29, v18
	v_and_b32_e32 v16, 7, v16
	v_cmp_gt_u32_e32 vcc, 8, v14
	v_cndmask_b32_e32 v14, v15, v17, vcc
	v_cndmask_b32_e32 v12, v12, v16, vcc
	v_lshlrev_b32_e32 v8, 24, v8
	v_lshlrev_b32_e32 v12, 20, v12
	v_and_b32_e32 v8, 0x80000000, v8
	v_lshl_add_u32 v14, v14, 23, v10
	v_or3_b32 v8, v8, v14, v12
	v_lshrrev_b32_e32 v12, 16, v8
.LBB816_1146:                           ;   in Loop: Header=BB816_794 Depth=1
	s_or_b64 exec, exec, s[18:19]
.LBB816_1147:                           ;   in Loop: Header=BB816_794 Depth=1
	s_or_b64 exec, exec, s[16:17]
.LBB816_1148:                           ;   in Loop: Header=BB816_794 Depth=1
	s_or_b64 exec, exec, s[14:15]
	v_cmp_lt_u32_e32 vcc, s25, v6
	v_mov_b32_e32 v14, 0
	v_mov_b32_e32 v15, 0
	s_and_saveexec_b64 s[14:15], vcc
	s_cbranch_execz .LBB816_1154
; %bb.1149:                             ;   in Loop: Header=BB816_794 Depth=1
	v_lshrrev_b32_e32 v8, 24, v6
	v_cmp_ne_u32_e32 vcc, s21, v8
	v_mov_b32_e32 v15, 0xffff8000
	s_and_saveexec_b64 s[16:17], vcc
	s_cbranch_execz .LBB816_1153
; %bb.1150:                             ;   in Loop: Header=BB816_794 Depth=1
	v_bfe_u32 v6, v6, 24, 7
	v_cmp_ne_u32_e32 vcc, s23, v6
	v_mov_b32_e32 v15, 0x7f80
	s_and_saveexec_b64 s[18:19], vcc
	s_cbranch_execz .LBB816_1152
; %bb.1151:                             ;   in Loop: Header=BB816_794 Depth=1
	v_and_b32_e32 v15, 7, v8
	v_ffbh_u32_e32 v16, v15
	v_min_u32_e32 v19, 32, v16
	v_subrev_u32_e32 v16, 28, v19
	v_lshlrev_b64 v[16:17], v16, v[8:9]
	v_lshrrev_b32_e32 v18, 3, v6
	v_sub_u32_e32 v17, 29, v19
	v_and_b32_e32 v16, 7, v16
	v_cmp_gt_u32_e32 vcc, 8, v6
	v_cndmask_b32_e32 v6, v18, v17, vcc
	v_cndmask_b32_e32 v15, v15, v16, vcc
	v_lshlrev_b32_e32 v8, 24, v8
	v_lshlrev_b32_e32 v15, 20, v15
	v_and_b32_e32 v8, 0x80000000, v8
	v_lshl_add_u32 v6, v6, 23, v10
	v_or3_b32 v6, v8, v6, v15
	v_lshrrev_b32_e32 v15, 16, v6
.LBB816_1152:                           ;   in Loop: Header=BB816_794 Depth=1
	s_or_b64 exec, exec, s[18:19]
.LBB816_1153:                           ;   in Loop: Header=BB816_794 Depth=1
	s_or_b64 exec, exec, s[16:17]
.LBB816_1154:                           ;   in Loop: Header=BB816_794 Depth=1
	s_or_b64 exec, exec, s[14:15]
	s_waitcnt vmcnt(0)
	v_cmp_ne_u16_sdwa s[16:17], v4, v9 src0_sel:BYTE_0 src1_sel:DWORD
	s_and_saveexec_b64 s[14:15], s[16:17]
	s_cbranch_execz .LBB816_1160
; %bb.1155:                             ;   in Loop: Header=BB816_794 Depth=1
	v_cmp_ne_u16_sdwa s[18:19], v4, s21 src0_sel:BYTE_0 src1_sel:DWORD
	v_mov_b32_e32 v14, 0xffff8000
	s_and_saveexec_b64 s[16:17], s[18:19]
	s_cbranch_execz .LBB816_1159
; %bb.1156:                             ;   in Loop: Header=BB816_794 Depth=1
	v_and_b32_e32 v6, 0x7f, v4
	v_cmp_ne_u32_e32 vcc, s23, v6
	v_mov_b32_e32 v14, 0x7f80
	s_and_saveexec_b64 s[18:19], vcc
	s_cbranch_execz .LBB816_1158
; %bb.1157:                             ;   in Loop: Header=BB816_794 Depth=1
	v_and_b32_e32 v8, 7, v4
	v_ffbh_u32_e32 v16, v8
	v_min_u32_e32 v18, 32, v16
	v_subrev_u32_e32 v16, 28, v18
	v_lshlrev_b64 v[16:17], v16, v[4:5]
	v_lshrrev_b32_e32 v14, 3, v6
	v_sub_u32_e32 v17, 29, v18
	v_and_b32_e32 v16, 7, v16
	v_cmp_gt_u32_e32 vcc, 8, v6
	v_cndmask_b32_e32 v6, v14, v17, vcc
	v_cndmask_b32_e32 v8, v8, v16, vcc
	v_lshlrev_b32_e32 v14, 24, v4
	v_lshlrev_b32_e32 v8, 20, v8
	v_and_b32_e32 v14, 0x80000000, v14
	v_lshl_add_u32 v6, v6, 23, v10
	v_or3_b32 v6, v14, v6, v8
	v_lshrrev_b32_e32 v14, 16, v6
.LBB816_1158:                           ;   in Loop: Header=BB816_794 Depth=1
	s_or_b64 exec, exec, s[18:19]
.LBB816_1159:                           ;   in Loop: Header=BB816_794 Depth=1
	s_or_b64 exec, exec, s[16:17]
.LBB816_1160:                           ;   in Loop: Header=BB816_794 Depth=1
	s_or_b64 exec, exec, s[14:15]
	v_lshrrev_b16_e32 v6, 8, v4
	v_cmp_ne_u16_e32 vcc, 0, v6
	v_mov_b32_e32 v16, 0
	v_mov_b32_e32 v8, 0
	s_and_saveexec_b64 s[14:15], vcc
	s_cbranch_execz .LBB816_1166
; %bb.1161:                             ;   in Loop: Header=BB816_794 Depth=1
	v_cmp_ne_u16_e32 vcc, s21, v6
	v_mov_b32_e32 v8, 0xffff8000
	s_and_saveexec_b64 s[16:17], vcc
	s_cbranch_execz .LBB816_1165
; %bb.1162:                             ;   in Loop: Header=BB816_794 Depth=1
	v_and_b32_e32 v17, 0x7f, v6
	v_cmp_ne_u32_e32 vcc, s23, v17
	v_mov_b32_e32 v8, 0x7f80
	s_and_saveexec_b64 s[18:19], vcc
	s_cbranch_execz .LBB816_1164
; %bb.1163:                             ;   in Loop: Header=BB816_794 Depth=1
	v_and_b32_e32 v8, 7, v6
	v_ffbh_u32_e32 v18, v8
	v_min_u32_e32 v21, 32, v18
	v_subrev_u32_e32 v18, 28, v21
	v_lshlrev_b64 v[18:19], v18, v[6:7]
	v_lshrrev_b32_e32 v20, 3, v17
	v_sub_u32_e32 v6, 29, v21
	v_and_b32_e32 v18, 7, v18
	v_cmp_gt_u32_e32 vcc, 8, v17
	v_cndmask_b32_e32 v6, v20, v6, vcc
	v_cndmask_b32_e32 v8, v8, v18, vcc
	v_lshlrev_b32_e32 v17, 16, v4
	v_lshlrev_b32_e32 v8, 20, v8
	v_and_b32_e32 v17, 0x80000000, v17
	v_lshl_add_u32 v6, v6, 23, v10
	v_or3_b32 v6, v17, v6, v8
	v_lshrrev_b32_e32 v8, 16, v6
.LBB816_1164:                           ;   in Loop: Header=BB816_794 Depth=1
	s_or_b64 exec, exec, s[18:19]
.LBB816_1165:                           ;   in Loop: Header=BB816_794 Depth=1
	s_or_b64 exec, exec, s[16:17]
.LBB816_1166:                           ;   in Loop: Header=BB816_794 Depth=1
	s_or_b64 exec, exec, s[14:15]
	v_lshrrev_b32_e32 v6, 16, v4
	v_cmp_ne_u16_sdwa s[16:17], v6, v9 src0_sel:BYTE_0 src1_sel:DWORD
	s_and_saveexec_b64 s[14:15], s[16:17]
	s_cbranch_execz .LBB816_1172
; %bb.1167:                             ;   in Loop: Header=BB816_794 Depth=1
	v_cmp_ne_u16_sdwa s[18:19], v6, s21 src0_sel:BYTE_0 src1_sel:DWORD
	v_mov_b32_e32 v16, 0xffff8000
	s_and_saveexec_b64 s[16:17], s[18:19]
	s_cbranch_execz .LBB816_1171
; %bb.1168:                             ;   in Loop: Header=BB816_794 Depth=1
	v_bfe_u32 v17, v4, 16, 7
	v_cmp_ne_u32_e32 vcc, s23, v17
	v_mov_b32_e32 v16, 0x7f80
	s_and_saveexec_b64 s[18:19], vcc
	s_cbranch_execz .LBB816_1170
; %bb.1169:                             ;   in Loop: Header=BB816_794 Depth=1
	v_and_b32_e32 v16, 7, v6
	v_ffbh_u32_e32 v18, v16
	v_min_u32_e32 v21, 32, v18
	v_subrev_u32_e32 v18, 28, v21
	v_lshlrev_b64 v[18:19], v18, v[6:7]
	v_lshrrev_b32_e32 v20, 3, v17
	v_sub_u32_e32 v19, 29, v21
	v_and_b32_e32 v18, 7, v18
	v_cmp_gt_u32_e32 vcc, 8, v17
	v_cndmask_b32_e32 v17, v20, v19, vcc
	v_cndmask_b32_e32 v16, v16, v18, vcc
	v_lshlrev_b32_e32 v6, 24, v6
	v_lshlrev_b32_e32 v16, 20, v16
	v_and_b32_e32 v6, 0x80000000, v6
	v_lshl_add_u32 v17, v17, 23, v10
	v_or3_b32 v6, v6, v17, v16
	v_lshrrev_b32_e32 v16, 16, v6
.LBB816_1170:                           ;   in Loop: Header=BB816_794 Depth=1
	s_or_b64 exec, exec, s[18:19]
.LBB816_1171:                           ;   in Loop: Header=BB816_794 Depth=1
	s_or_b64 exec, exec, s[16:17]
.LBB816_1172:                           ;   in Loop: Header=BB816_794 Depth=1
	s_or_b64 exec, exec, s[14:15]
	v_cmp_lt_u32_e32 vcc, s25, v4
	v_mov_b32_e32 v17, 0
	s_and_saveexec_b64 s[14:15], vcc
	s_cbranch_execz .LBB816_793
; %bb.1173:                             ;   in Loop: Header=BB816_794 Depth=1
	v_lshrrev_b32_e32 v6, 24, v4
	v_cmp_ne_u32_e32 vcc, s21, v6
	v_mov_b32_e32 v17, 0xffff8000
	s_and_saveexec_b64 s[16:17], vcc
	s_cbranch_execz .LBB816_792
; %bb.1174:                             ;   in Loop: Header=BB816_794 Depth=1
	v_bfe_u32 v4, v4, 24, 7
	v_cmp_ne_u32_e32 vcc, s23, v4
	v_mov_b32_e32 v17, 0x7f80
	s_and_saveexec_b64 s[18:19], vcc
	s_cbranch_execz .LBB816_791
; %bb.1175:                             ;   in Loop: Header=BB816_794 Depth=1
	v_and_b32_e32 v17, 7, v6
	v_ffbh_u32_e32 v18, v17
	v_min_u32_e32 v21, 32, v18
	v_subrev_u32_e32 v18, 28, v21
	v_lshlrev_b64 v[18:19], v18, v[6:7]
	v_lshrrev_b32_e32 v20, 3, v4
	v_sub_u32_e32 v19, 29, v21
	v_and_b32_e32 v18, 7, v18
	v_cmp_gt_u32_e32 vcc, 8, v4
	v_cndmask_b32_e32 v4, v20, v19, vcc
	v_cndmask_b32_e32 v17, v17, v18, vcc
	v_lshlrev_b32_e32 v6, 24, v6
	v_lshlrev_b32_e32 v17, 20, v17
	v_and_b32_e32 v6, 0x80000000, v6
	v_lshl_add_u32 v4, v4, 23, v10
	v_or3_b32 v4, v6, v4, v17
	v_lshrrev_b32_e32 v17, 16, v4
	s_branch .LBB816_791
.LBB816_1176:
	s_or_b64 exec, exec, s[6:7]
	v_cmp_gt_u32_e32 vcc, 64, v0
	s_waitcnt lgkmcnt(0)
	s_barrier
	s_and_saveexec_b64 s[6:7], vcc
	s_cbranch_execz .LBB816_1178
; %bb.1177:
	v_mul_u32_u24_e32 v6, 40, v1
	ds_read2_b64 v[2:5], v6 offset1:1
	ds_read2_b64 v[6:9], v6 offset0:2 offset1:3
	s_mov_b32 s5, 0
	s_lshl_b32 s4, s4, 7
	s_lshl_b64 s[6:7], s[4:5], 1
	s_waitcnt lgkmcnt(1)
	v_and_b32_e32 v10, 0xffff0000, v2
	v_lshlrev_b32_e32 v3, 16, v3
	v_add_f32_e32 v10, 0, v10
	v_add_f32_e32 v3, 0, v3
	v_and_b32_e32 v10, 0xffff0000, v10
	v_and_b32_e32 v11, 0xffff0000, v4
	;; [unrolled: 1-line block ×3, first 2 shown]
	v_add_f32_e32 v10, v10, v11
	v_lshlrev_b32_e32 v5, 16, v5
	v_and_b32_e32 v10, 0xffff0000, v10
	v_add_f32_e32 v3, v3, v5
	s_waitcnt lgkmcnt(0)
	v_and_b32_e32 v5, 0xffff0000, v6
	v_and_b32_e32 v3, 0xffff0000, v3
	v_add_f32_e32 v5, v10, v5
	v_lshlrev_b32_e32 v7, 16, v7
	v_and_b32_e32 v5, 0xffff0000, v5
	v_add_f32_e32 v3, v3, v7
	v_and_b32_e32 v7, 0xffff0000, v8
	v_add_f32_e32 v18, v5, v7
	v_mov_b32_e32 v7, 0xa00
	v_mad_u32_u24 v7, v1, 40, v7
	ds_read2_b64 v[10:13], v7 offset1:1
	v_and_b32_e32 v3, 0xffff0000, v3
	v_lshlrev_b32_e32 v5, 16, v9
	v_add_f32_e32 v9, v3, v5
	v_mov_b32_e32 v3, 0xa10
	v_mad_u32_u24 v1, v1, 40, v3
	ds_read2_b64 v[14:17], v1 offset1:1
	s_waitcnt lgkmcnt(1)
	v_lshlrev_b32_e32 v1, 16, v10
	v_add_f32_e32 v1, 0, v1
	v_and_b32_e32 v3, 0xffff0000, v10
	v_and_b32_e32 v1, 0xffff0000, v1
	v_add_f32_e32 v3, 0, v3
	v_lshlrev_b32_e32 v5, 16, v11
	v_lshlrev_b32_e32 v7, 16, v12
	v_and_b32_e32 v3, 0xffff0000, v3
	v_add_f32_e32 v5, 0, v5
	v_add_f32_e32 v1, v1, v7
	v_and_b32_e32 v7, 0xffff0000, v12
	v_and_b32_e32 v5, 0xffff0000, v5
	v_add_f32_e32 v3, v3, v7
	v_lshlrev_b32_e32 v7, 16, v13
	v_and_b32_e32 v1, 0xffff0000, v1
	v_add_f32_e32 v5, v5, v7
	s_waitcnt lgkmcnt(0)
	v_lshlrev_b32_e32 v7, 16, v14
	v_and_b32_e32 v3, 0xffff0000, v3
	v_add_f32_e32 v1, v1, v7
	v_and_b32_e32 v7, 0xffff0000, v14
	v_and_b32_e32 v5, 0xffff0000, v5
	v_add_f32_e32 v3, v3, v7
	v_lshlrev_b32_e32 v7, 16, v15
	v_and_b32_e32 v1, 0xffff0000, v1
	v_add_f32_e32 v5, v5, v7
	v_lshlrev_b32_e32 v7, 16, v16
	v_and_b32_e32 v3, 0xffff0000, v3
	v_add_f32_e32 v10, v1, v7
	v_and_b32_e32 v1, 0xffff0000, v16
	v_and_b32_e32 v5, 0xffff0000, v5
	v_add_f32_e32 v11, v3, v1
	v_lshlrev_b32_e32 v1, 16, v17
	v_add_f32_e32 v12, v5, v1
	v_lshlrev_b32_e32 v1, 16, v2
	s_add_u32 s6, s36, s6
	v_add_f32_e32 v1, 0, v1
	s_addc_u32 s7, s37, s7
	s_lshl_b32 s4, s34, 7
	v_and_b32_e32 v1, 0xffff0000, v1
	v_lshlrev_b32_e32 v2, 16, v4
	s_lshl_b64 s[4:5], s[4:5], 1
	v_add_f32_e32 v1, v1, v2
	s_add_u32 s4, s6, s4
	v_and_b32_e32 v1, 0xffff0000, v1
	v_lshlrev_b32_e32 v2, 16, v6
	s_addc_u32 s5, s7, s5
	s_lshl_b32 s6, s33, 7
	v_add_f32_e32 v1, v1, v2
	v_and_b32_e32 v1, 0xffff0000, v1
	v_lshlrev_b32_e32 v2, 16, v8
	s_mul_i32 s7, s6, s24
	v_add_f32_e32 v1, v1, v2
	v_or_b32_e32 v2, s7, v0
	v_mov_b32_e32 v3, 0
	v_lshlrev_b64 v[4:5], 1, v[2:3]
	v_mov_b32_e32 v2, s5
	v_add_co_u32_e32 v4, vcc, s4, v4
	s_add_i32 s7, s7, s6
	v_addc_co_u32_e32 v5, vcc, v2, v5, vcc
	v_or_b32_e32 v2, s7, v0
	v_lshlrev_b64 v[6:7], 1, v[2:3]
	s_add_i32 s7, s7, s6
	global_store_short_d16_hi v[4:5], v1, off
	v_mov_b32_e32 v1, s5
	v_add_co_u32_e32 v6, vcc, s4, v6
	v_or_b32_e32 v2, s7, v0
	v_addc_co_u32_e32 v7, vcc, v1, v7, vcc
	v_lshlrev_b64 v[0:1], 1, v[2:3]
	v_mov_b32_e32 v2, s5
	v_add_co_u32_e32 v0, vcc, s4, v0
	v_addc_co_u32_e32 v1, vcc, v2, v1, vcc
	global_store_short_d16_hi v[6:7], v18, off
	global_store_short_d16_hi v[0:1], v9, off
	global_store_short_d16_hi v[4:5], v10, off offset:128
	global_store_short_d16_hi v[6:7], v11, off offset:128
	;; [unrolled: 1-line block ×3, first 2 shown]
.LBB816_1178:
	s_endpgm
	.section	.rodata,"a",@progbits
	.p2align	6, 0x0
	.amdhsa_kernel _Z38paged_attention_ll4mi_QKV_mfma4_kernelI14__hip_bfloat16hLN4vllm18Fp8KVCacheDataTypeE1ES0_Li32ELi128ELi256ELb0ELi3EEvPKT_PKT0_S8_ifPKiSA_SA_iPKfiiiPfSD_PS3_PT2_iSC_SC_
		.amdhsa_group_segment_fixed_size 5280
		.amdhsa_private_segment_fixed_size 144
		.amdhsa_kernarg_size 400
		.amdhsa_user_sgpr_count 8
		.amdhsa_user_sgpr_private_segment_buffer 1
		.amdhsa_user_sgpr_dispatch_ptr 0
		.amdhsa_user_sgpr_queue_ptr 0
		.amdhsa_user_sgpr_kernarg_segment_ptr 1
		.amdhsa_user_sgpr_dispatch_id 0
		.amdhsa_user_sgpr_flat_scratch_init 1
		.amdhsa_user_sgpr_kernarg_preload_length 0
		.amdhsa_user_sgpr_kernarg_preload_offset 0
		.amdhsa_user_sgpr_private_segment_size 0
		.amdhsa_uses_dynamic_stack 0
		.amdhsa_system_sgpr_private_segment_wavefront_offset 1
		.amdhsa_system_sgpr_workgroup_id_x 1
		.amdhsa_system_sgpr_workgroup_id_y 1
		.amdhsa_system_sgpr_workgroup_id_z 1
		.amdhsa_system_sgpr_workgroup_info 0
		.amdhsa_system_vgpr_workitem_id 0
		.amdhsa_next_free_vgpr 80
		.amdhsa_next_free_sgpr 46
		.amdhsa_accum_offset 76
		.amdhsa_reserve_vcc 1
		.amdhsa_reserve_flat_scratch 0
		.amdhsa_float_round_mode_32 0
		.amdhsa_float_round_mode_16_64 0
		.amdhsa_float_denorm_mode_32 3
		.amdhsa_float_denorm_mode_16_64 3
		.amdhsa_dx10_clamp 1
		.amdhsa_ieee_mode 1
		.amdhsa_fp16_overflow 0
		.amdhsa_tg_split 0
		.amdhsa_exception_fp_ieee_invalid_op 0
		.amdhsa_exception_fp_denorm_src 0
		.amdhsa_exception_fp_ieee_div_zero 0
		.amdhsa_exception_fp_ieee_overflow 0
		.amdhsa_exception_fp_ieee_underflow 0
		.amdhsa_exception_fp_ieee_inexact 0
		.amdhsa_exception_int_div_zero 0
	.end_amdhsa_kernel
	.section	.text._Z38paged_attention_ll4mi_QKV_mfma4_kernelI14__hip_bfloat16hLN4vllm18Fp8KVCacheDataTypeE1ES0_Li32ELi128ELi256ELb0ELi3EEvPKT_PKT0_S8_ifPKiSA_SA_iPKfiiiPfSD_PS3_PT2_iSC_SC_,"axG",@progbits,_Z38paged_attention_ll4mi_QKV_mfma4_kernelI14__hip_bfloat16hLN4vllm18Fp8KVCacheDataTypeE1ES0_Li32ELi128ELi256ELb0ELi3EEvPKT_PKT0_S8_ifPKiSA_SA_iPKfiiiPfSD_PS3_PT2_iSC_SC_,comdat
.Lfunc_end816:
	.size	_Z38paged_attention_ll4mi_QKV_mfma4_kernelI14__hip_bfloat16hLN4vllm18Fp8KVCacheDataTypeE1ES0_Li32ELi128ELi256ELb0ELi3EEvPKT_PKT0_S8_ifPKiSA_SA_iPKfiiiPfSD_PS3_PT2_iSC_SC_, .Lfunc_end816-_Z38paged_attention_ll4mi_QKV_mfma4_kernelI14__hip_bfloat16hLN4vllm18Fp8KVCacheDataTypeE1ES0_Li32ELi128ELi256ELb0ELi3EEvPKT_PKT0_S8_ifPKiSA_SA_iPKfiiiPfSD_PS3_PT2_iSC_SC_
                                        ; -- End function
	.section	.AMDGPU.csdata,"",@progbits
; Kernel info:
; codeLenInByte = 42548
; NumSgprs: 50
; NumVgprs: 74
; NumAgprs: 4
; TotalNumVgprs: 80
; ScratchSize: 144
; MemoryBound: 0
; FloatMode: 240
; IeeeMode: 1
; LDSByteSize: 5280 bytes/workgroup (compile time only)
; SGPRBlocks: 6
; VGPRBlocks: 9
; NumSGPRsForWavesPerEU: 50
; NumVGPRsForWavesPerEU: 80
; AccumOffset: 76
; Occupancy: 6
; WaveLimiterHint : 1
; COMPUTE_PGM_RSRC2:SCRATCH_EN: 1
; COMPUTE_PGM_RSRC2:USER_SGPR: 8
; COMPUTE_PGM_RSRC2:TRAP_HANDLER: 0
; COMPUTE_PGM_RSRC2:TGID_X_EN: 1
; COMPUTE_PGM_RSRC2:TGID_Y_EN: 1
; COMPUTE_PGM_RSRC2:TGID_Z_EN: 1
; COMPUTE_PGM_RSRC2:TIDIG_COMP_CNT: 0
; COMPUTE_PGM_RSRC3_GFX90A:ACCUM_OFFSET: 18
; COMPUTE_PGM_RSRC3_GFX90A:TG_SPLIT: 0
	.section	.text._Z38paged_attention_ll4mi_QKV_mfma4_kernelI14__hip_bfloat16hLN4vllm18Fp8KVCacheDataTypeE1ES0_Li32ELi128ELi256ELb0ELi4EEvPKT_PKT0_S8_ifPKiSA_SA_iPKfiiiPfSD_PS3_PT2_iSC_SC_,"axG",@progbits,_Z38paged_attention_ll4mi_QKV_mfma4_kernelI14__hip_bfloat16hLN4vllm18Fp8KVCacheDataTypeE1ES0_Li32ELi128ELi256ELb0ELi4EEvPKT_PKT0_S8_ifPKiSA_SA_iPKfiiiPfSD_PS3_PT2_iSC_SC_,comdat
	.protected	_Z38paged_attention_ll4mi_QKV_mfma4_kernelI14__hip_bfloat16hLN4vllm18Fp8KVCacheDataTypeE1ES0_Li32ELi128ELi256ELb0ELi4EEvPKT_PKT0_S8_ifPKiSA_SA_iPKfiiiPfSD_PS3_PT2_iSC_SC_ ; -- Begin function _Z38paged_attention_ll4mi_QKV_mfma4_kernelI14__hip_bfloat16hLN4vllm18Fp8KVCacheDataTypeE1ES0_Li32ELi128ELi256ELb0ELi4EEvPKT_PKT0_S8_ifPKiSA_SA_iPKfiiiPfSD_PS3_PT2_iSC_SC_
	.globl	_Z38paged_attention_ll4mi_QKV_mfma4_kernelI14__hip_bfloat16hLN4vllm18Fp8KVCacheDataTypeE1ES0_Li32ELi128ELi256ELb0ELi4EEvPKT_PKT0_S8_ifPKiSA_SA_iPKfiiiPfSD_PS3_PT2_iSC_SC_
	.p2align	8
	.type	_Z38paged_attention_ll4mi_QKV_mfma4_kernelI14__hip_bfloat16hLN4vllm18Fp8KVCacheDataTypeE1ES0_Li32ELi128ELi256ELb0ELi4EEvPKT_PKT0_S8_ifPKiSA_SA_iPKfiiiPfSD_PS3_PT2_iSC_SC_,@function
_Z38paged_attention_ll4mi_QKV_mfma4_kernelI14__hip_bfloat16hLN4vllm18Fp8KVCacheDataTypeE1ES0_Li32ELi128ELi256ELb0ELi4EEvPKT_PKT0_S8_ifPKiSA_SA_iPKfiiiPfSD_PS3_PT2_iSC_SC_: ; @_Z38paged_attention_ll4mi_QKV_mfma4_kernelI14__hip_bfloat16hLN4vllm18Fp8KVCacheDataTypeE1ES0_Li32ELi128ELi256ELb0ELi4EEvPKT_PKT0_S8_ifPKiSA_SA_iPKfiiiPfSD_PS3_PT2_iSC_SC_
; %bb.0:
	s_load_dwordx2 s[12:13], s[4:5], 0x30
	s_add_u32 s0, s0, s11
	s_addc_u32 s1, s1, 0
	s_mov_b32 s28, s9
	s_mov_b64 s[6:7], 0
	s_waitcnt lgkmcnt(0)
	s_cmp_lg_u64 s[12:13], 0
	s_cselect_b64 s[14:15], -1, 0
	s_and_b64 vcc, exec, s[14:15]
	s_cbranch_vccz .LBB817_1170
; %bb.1:
	s_add_i32 s16, s8, 1
	s_mov_b32 s17, 0
	s_lshl_b64 s[18:19], s[16:17], 2
	s_add_u32 s18, s12, s18
	s_mov_b32 s9, s17
	s_addc_u32 s19, s13, s19
	s_lshl_b64 s[16:17], s[8:9], 2
	s_add_u32 s16, s12, s16
	s_addc_u32 s17, s13, s17
	s_load_dword s11, s[18:19], 0x0
	s_load_dword s20, s[16:17], 0x0
	s_mov_b64 s[38:39], s[8:9]
	s_waitcnt lgkmcnt(0)
	s_sub_i32 s11, s11, s20
	s_cmp_eq_u32 s11, 1
	s_cselect_b64 s[16:17], -1, 0
	s_andn2_b64 vcc, exec, s[6:7]
	s_cbranch_vccnz .LBB817_3
.LBB817_2:
	s_mov_b32 s9, 0
	s_mov_b64 s[16:17], -1
	s_mov_b64 s[38:39], s[8:9]
.LBB817_3:
	s_andn2_b64 vcc, exec, s[16:17]
	s_cbranch_vccnz .LBB817_1173
; %bb.4:
	s_load_dword s9, s[4:5], 0x9c
	s_load_dwordx2 s[6:7], s[4:5], 0x28
	s_add_u32 s34, s4, 0x90
	s_addc_u32 s35, s5, 0
	s_lshl_b64 s[40:41], s[38:39], 2
	s_waitcnt lgkmcnt(0)
	s_and_b32 s11, s9, 0xffff
	s_add_u32 s6, s6, s40
	s_addc_u32 s7, s7, s41
	s_load_dword s9, s[6:7], 0x0
	s_mul_i32 s11, s28, s11
	s_waitcnt lgkmcnt(0)
	s_cmp_ge_i32 s11, s9
	s_cbranch_scc1 .LBB817_1173
; %bb.5:
	v_and_b32_e32 v1, 0xc0, v0
	v_add_u32_e32 v7, s11, v1
	v_lshrrev_b32_e32 v42, 6, v0
	v_cmp_le_i32_e64 s[6:7], s9, v7
                                        ; implicit-def: $sgpr25
                                        ; implicit-def: $sgpr24
	s_and_saveexec_b64 s[16:17], s[6:7]
	s_xor_b64 s[16:17], exec, s[16:17]
	s_cbranch_execz .LBB817_7
; %bb.6:
	v_mul_u32_u24_e32 v1, 20, v42
	v_or_b32_e32 v1, 0x1400, v1
	v_mov_b32_e32 v2, 0x1450
	v_mov_b32_e32 v3, 0xff7fffff
	v_mad_u32_u24 v2, v42, 20, v2
	ds_write2_b32 v1, v3, v3 offset1:1
	v_mov_b32_e32 v1, 0
	ds_write2_b32 v2, v1, v1 offset1:1
	v_mov_b32_e32 v2, 0x1408
	s_mov_b32 s24, 0xff7fffff
	s_mov_b32 s25, 0
	v_mad_u32_u24 v2, v42, 20, v2
	v_mov_b32_e32 v4, 0x1458
	v_mad_u32_u24 v4, v42, 20, v4
	ds_write2_b32 v2, v3, v3 offset1:1
	ds_write2_b32 v4, v1, v1 offset1:1
                                        ; implicit-def: $vgpr7
.LBB817_7:
	s_or_saveexec_b64 s[36:37], s[16:17]
	s_load_dwordx2 s[30:31], s[4:5], 0x68
	s_load_dwordx4 s[20:23], s[4:5], 0x58
	s_load_dword s33, s[34:35], 0x4
	s_load_dwordx4 s[16:19], s[4:5], 0x80
	v_and_b32_e32 v1, 63, v0
	v_and_b32_e32 v43, 3, v0
	v_mov_b32_e32 v5, s25
	v_mov_b32_e32 v6, s24
	;; [unrolled: 1-line block ×5, first 2 shown]
	s_xor_b64 exec, exec, s[36:37]
	s_cbranch_execz .LBB817_781
; %bb.8:
	s_add_i32 s27, s9, 31
	s_ashr_i32 s29, s27, 31
	s_load_dwordx2 s[24:25], s[4:5], 0x20
	s_load_dword s26, s[4:5], 0x38
	s_lshr_b32 s29, s29, 27
	v_add_u32_e32 v44, s11, v0
	s_add_i32 s27, s27, s29
	v_ashrrev_i32_e32 v2, 31, v44
	s_ashr_i32 s27, s27, 5
	v_lshrrev_b32_e32 v2, 27, v2
	s_add_i32 s29, s27, -1
	v_add_u32_e32 v2, v44, v2
	v_ashrrev_i32_e32 v2, 5, v2
	v_mov_b32_e32 v3, s29
	v_cmp_gt_i32_e32 vcc, s9, v44
	s_waitcnt lgkmcnt(0)
	s_mul_i32 s42, s8, s26
	s_mov_b32 s43, 0
	v_cndmask_b32_e32 v2, v3, v2, vcc
	s_lshl_b64 s[26:27], s[42:43], 2
	v_ashrrev_i32_e32 v3, 31, v2
	s_add_u32 s24, s24, s26
	v_lshlrev_b64 v[2:3], 2, v[2:3]
	v_add_co_u32_e32 v4, vcc, s24, v2
	v_ashrrev_i32_e32 v2, 31, v7
	v_lshrrev_b32_e32 v2, 27, v2
	v_add_u32_e32 v2, v7, v2
	s_addc_u32 s25, s25, s27
	v_ashrrev_i32_e32 v6, 5, v2
	v_mov_b32_e32 v5, s25
	v_min_i32_e32 v2, s29, v6
	v_addc_co_u32_e32 v5, vcc, v5, v3, vcc
	v_ashrrev_i32_e32 v3, 31, v2
	v_lshlrev_b64 v[2:3], 2, v[2:3]
	v_add_co_u32_e32 v8, vcc, s24, v2
	v_add_u32_e32 v2, 1, v6
	v_mov_b32_e32 v7, s25
	v_min_i32_e32 v2, s29, v2
	v_addc_co_u32_e32 v9, vcc, v7, v3, vcc
	v_ashrrev_i32_e32 v3, 31, v2
	v_lshlrev_b64 v[2:3], 2, v[2:3]
	v_mov_b32_e32 v6, s25
	v_add_co_u32_e32 v10, vcc, s24, v2
	v_addc_co_u32_e32 v11, vcc, v6, v3, vcc
	global_load_dword v6, v[4:5], off
	global_load_dword v3, v[8:9], off
	;; [unrolled: 1-line block ×3, first 2 shown]
	s_load_dwordx4 s[24:27], s[4:5], 0x0
	s_load_dwordx2 s[44:45], s[4:5], 0x10
	s_andn2_b64 vcc, exec, s[14:15]
	s_cbranch_vccnz .LBB817_10
; %bb.9:
	s_add_u32 s12, s12, s40
	s_addc_u32 s13, s13, s41
	s_load_dword s42, s[12:13], 0x0
	s_waitcnt lgkmcnt(0)
	s_mov_b64 s[38:39], s[42:43]
.LBB817_10:
	s_load_dwordx4 s[12:15], s[4:5], 0x48
	v_mov_b32_e32 v39, 0
	v_lshlrev_b32_e32 v16, 5, v1
	v_mov_b32_e32 v45, 0
	s_waitcnt lgkmcnt(0)
	s_ashr_i32 s11, s12, 31
	s_mul_hi_u32 s15, s38, s12
	s_mul_i32 s11, s38, s11
	s_mul_i32 s29, s39, s12
	s_add_i32 s11, s15, s11
	s_mul_i32 s40, s38, s12
	s_add_i32 s41, s11, s29
	s_lshl_b64 s[38:39], s[40:41], 1
	s_add_u32 s11, s24, s38
	s_addc_u32 s12, s25, s39
	s_lshl_b32 s42, s10, 9
	s_lshl_b64 s[24:25], s[42:43], 1
	s_add_u32 s24, s11, s24
	s_addc_u32 s25, s12, s25
	s_mul_i32 s11, s10, s14
	s_waitcnt vmcnt(1)
	v_mul_hi_i32 v4, v3, s13
	s_add_u32 s14, s11, s26
	v_ashrrev_i32_e32 v4, 31, v4
	s_addc_u32 s15, 0, s27
	v_lshrrev_b32_e32 v38, 29, v4
	s_add_u32 s11, s44, s11
	v_mad_i64_i32 v[4:5], s[26:27], v3, s13, v[38:39]
	s_addc_u32 s29, s45, 0
	v_and_b32_e32 v3, -8, v4
	v_mov_b32_e32 v4, s29
	v_add_co_u32_e32 v3, vcc, s11, v3
	v_addc_co_u32_e32 v5, vcc, v4, v5, vcc
	v_add_co_u32_e32 v4, vcc, v3, v16
	v_addc_co_u32_e32 v5, vcc, 0, v5, vcc
	global_load_dwordx4 v[8:11], v[4:5], off
	global_load_dwordx4 v[46:49], v[4:5], off offset:16
	global_load_dwordx4 v[50:53], v[4:5], off offset:2048
	;; [unrolled: 1-line block ×3, first 2 shown]
	v_lshlrev_b32_e32 v4, 4, v0
	v_and_b32_e32 v17, 0x1f0, v4
	s_waitcnt vmcnt(4)
	v_mul_hi_i32 v4, v2, s13
	v_ashrrev_i32_e32 v4, 31, v4
	v_lshrrev_b32_e32 v38, 29, v4
	v_mad_i64_i32 v[12:13], s[26:27], v2, s13, v[38:39]
	v_pk_mov_b32 v[14:15], s[14:15], s[14:15] op_sel:[0,1]
	v_lshlrev_b32_e32 v3, 2, v1
	v_and_b32_e32 v12, -8, v12
	v_mad_i64_i32 v[6:7], s[12:13], v6, s13, v[14:15]
	v_and_b32_e32 v3, 0xf0, v3
	v_add_co_u32_e32 v12, vcc, s11, v12
	v_add_co_u32_e64 v40, s[12:13], v6, v17
	v_mov_b32_e32 v14, s29
	v_lshl_or_b32 v3, v43, 8, v3
	v_add_co_u32_e64 v6, s[14:15], v12, v16
	v_addc_co_u32_e64 v41, s[12:13], 0, v7, s[12:13]
	v_addc_co_u32_e32 v7, vcc, v14, v13, vcc
	global_load_dwordx4 v[2:5], v3, s[24:25]
	s_nop 0
	global_load_dwordx4 v[34:37], v[40:41], off
	global_load_dwordx4 v[30:33], v[40:41], off offset:512
	global_load_dwordx4 v[26:29], v[40:41], off offset:1024
	;; [unrolled: 1-line block ×3, first 2 shown]
	v_addc_co_u32_e64 v7, vcc, 0, v7, s[14:15]
	global_load_dwordx4 v[18:21], v[40:41], off offset:2048
	global_load_dwordx4 v[14:17], v[40:41], off offset:2560
	global_load_dwordx4 v[58:61], v[6:7], off
	s_waitcnt vmcnt(11)
	buffer_store_dword v9, off, s[0:3], 0 offset:4
	buffer_store_dword v8, off, s[0:3], 0
	buffer_store_dword v11, off, s[0:3], 0 offset:12
	buffer_store_dword v10, off, s[0:3], 0 offset:8
	global_load_dwordx4 v[62:65], v[6:7], off offset:16
	s_waitcnt vmcnt(15)
	buffer_store_dword v47, off, s[0:3], 0 offset:20
	buffer_store_dword v46, off, s[0:3], 0 offset:16
	buffer_store_dword v49, off, s[0:3], 0 offset:28
	buffer_store_dword v48, off, s[0:3], 0 offset:24
	global_load_dwordx4 v[46:49], v[6:7], off offset:2048
	s_waitcnt vmcnt(19)
	buffer_store_dword v51, off, s[0:3], 0 offset:68
	buffer_store_dword v50, off, s[0:3], 0 offset:64
	;; [unrolled: 6-line block ×3, first 2 shown]
	buffer_store_dword v57, off, s[0:3], 0 offset:92
	buffer_store_dword v56, off, s[0:3], 0 offset:88
	global_load_dwordx4 v[10:13], v[40:41], off offset:3072
	global_load_dwordx4 v[6:9], v[40:41], off offset:3584
	s_waitcnt vmcnt(21)
	buffer_store_dword v59, off, s[0:3], 0 offset:36
	buffer_store_dword v58, off, s[0:3], 0 offset:32
	buffer_store_dword v61, off, s[0:3], 0 offset:44
	buffer_store_dword v60, off, s[0:3], 0 offset:40
	s_waitcnt vmcnt(20)
	buffer_store_dword v63, off, s[0:3], 0 offset:52
	buffer_store_dword v62, off, s[0:3], 0 offset:48
	buffer_store_dword v65, off, s[0:3], 0 offset:60
	buffer_store_dword v64, off, s[0:3], 0 offset:56
	;; [unrolled: 5-line block ×4, first 2 shown]
	v_cmp_ne_u16_sdwa s[14:15], v34, v39 src0_sel:BYTE_0 src1_sel:DWORD
	s_and_saveexec_b64 s[12:13], s[14:15]
	s_cbranch_execz .LBB817_16
; %bb.11:
	s_movk_i32 s11, 0x80
	v_cmp_ne_u16_sdwa s[24:25], v34, s11 src0_sel:BYTE_0 src1_sel:DWORD
	v_mov_b32_e32 v45, 0xffff8000
	s_and_saveexec_b64 s[14:15], s[24:25]
	s_cbranch_execz .LBB817_15
; %bb.12:
	s_movk_i32 s11, 0x7f
	v_and_b32_e32 v38, 0x7f, v34
	v_cmp_ne_u32_e32 vcc, s11, v38
	v_mov_b32_e32 v45, 0x7f80
	s_and_saveexec_b64 s[24:25], vcc
	s_cbranch_execz .LBB817_14
; %bb.13:
	v_and_b32_e32 v40, 7, v34
	v_ffbh_u32_e32 v40, v40
	v_min_u32_e32 v40, 32, v40
	v_lshrrev_b32_e32 v41, 3, v38
	v_subrev_u32_e32 v45, 28, v40
	v_sub_u32_e32 v40, 29, v40
	v_cmp_gt_u32_e32 vcc, 8, v38
	v_cndmask_b32_e32 v38, v41, v40, vcc
	v_cndmask_b32_e32 v40, 0, v45, vcc
	v_lshlrev_b64 v[40:41], v40, v[34:35]
	v_lshlrev_b32_e32 v40, 20, v40
	v_lshlrev_b32_e32 v41, 24, v34
	v_bfrev_b32_e32 v45, 60
	v_and_b32_e32 v40, 0x700000, v40
	v_and_b32_e32 v41, 0x80000000, v41
	v_lshl_add_u32 v38, v38, 23, v45
	v_or3_b32 v38, v41, v38, v40
	v_lshrrev_b32_e32 v45, 16, v38
.LBB817_14:
	s_or_b64 exec, exec, s[24:25]
.LBB817_15:
	s_or_b64 exec, exec, s[14:15]
.LBB817_16:
	s_or_b64 exec, exec, s[12:13]
	v_lshrrev_b16_e32 v38, 8, v34
	v_cmp_ne_u16_e32 vcc, 0, v38
	s_and_saveexec_b64 s[12:13], vcc
	s_cbranch_execz .LBB817_22
; %bb.17:
	s_movk_i32 s11, 0x80
	v_cmp_ne_u16_sdwa s[24:25], v34, s11 src0_sel:BYTE_1 src1_sel:DWORD
	v_mov_b32_e32 v39, 0xffff8000
	s_and_saveexec_b64 s[14:15], s[24:25]
	s_cbranch_execz .LBB817_21
; %bb.18:
	s_movk_i32 s11, 0x7f
	v_and_b32_e32 v40, 0x7f, v38
	v_cmp_ne_u32_e32 vcc, s11, v40
	v_mov_b32_e32 v39, 0x7f80
	s_and_saveexec_b64 s[24:25], vcc
	s_cbranch_execz .LBB817_20
; %bb.19:
	v_and_b32_e32 v41, 7, v38
	v_ffbh_u32_e32 v39, v41
	v_min_u32_e32 v47, 32, v39
	v_subrev_u32_e32 v39, 28, v47
	v_lshlrev_b64 v[38:39], v39, v[38:39]
	v_lshrrev_b32_e32 v46, 3, v40
	v_sub_u32_e32 v39, 29, v47
	v_and_b32_e32 v38, 7, v38
	v_cmp_gt_u32_e32 vcc, 8, v40
	v_cndmask_b32_e32 v39, v46, v39, vcc
	v_cndmask_b32_e32 v38, v41, v38, vcc
	v_lshlrev_b32_e32 v40, 16, v34
	v_bfrev_b32_e32 v41, 60
	v_lshlrev_b32_e32 v38, 20, v38
	v_and_b32_e32 v40, 0x80000000, v40
	v_lshl_add_u32 v39, v39, 23, v41
	v_or3_b32 v38, v40, v39, v38
	v_lshrrev_b32_e32 v39, 16, v38
.LBB817_20:
	s_or_b64 exec, exec, s[24:25]
.LBB817_21:
	s_or_b64 exec, exec, s[14:15]
.LBB817_22:
	s_or_b64 exec, exec, s[12:13]
	s_movk_i32 s11, 0xff
	v_and_b32_sdwa v40, v34, s11 dst_sel:DWORD dst_unused:UNUSED_PAD src0_sel:WORD_1 src1_sel:DWORD
	v_lshrrev_b32_e32 v38, 16, v34
	v_cmp_ne_u16_e32 vcc, 0, v40
	v_mov_b32_e32 v41, 0
	v_mov_b32_e32 v46, 0
	s_and_saveexec_b64 s[12:13], vcc
	s_cbranch_execz .LBB817_28
; %bb.23:
	s_movk_i32 s11, 0x80
	v_cmp_ne_u16_e32 vcc, s11, v40
	v_mov_b32_e32 v46, 0xffff8000
	s_and_saveexec_b64 s[14:15], vcc
	s_cbranch_execz .LBB817_27
; %bb.24:
	v_bfe_u32 v40, v34, 16, 7
	s_movk_i32 s11, 0x7f
	v_cmp_ne_u32_e32 vcc, s11, v40
	v_mov_b32_e32 v46, 0x7f80
	s_and_saveexec_b64 s[24:25], vcc
	s_cbranch_execz .LBB817_26
; %bb.25:
	v_and_b32_e32 v48, 7, v38
	v_ffbh_u32_e32 v46, v48
	v_min_u32_e32 v50, 32, v46
	v_subrev_u32_e32 v46, 28, v50
	v_lshlrev_b64 v[46:47], v46, v[38:39]
	v_and_b32_e32 v46, 7, v46
	v_cmp_gt_u32_e32 vcc, 8, v40
	v_lshrrev_b32_e32 v49, 3, v40
	v_sub_u32_e32 v38, 29, v50
	v_cndmask_b32_e32 v40, v48, v46, vcc
	v_mov_b32_e32 v46, 24
	v_cndmask_b32_e32 v38, v49, v38, vcc
	v_lshlrev_b32_sdwa v46, v46, v34 dst_sel:DWORD dst_unused:UNUSED_PAD src0_sel:DWORD src1_sel:WORD_1
	v_bfrev_b32_e32 v47, 60
	v_lshlrev_b32_e32 v40, 20, v40
	v_and_b32_e32 v46, 0x80000000, v46
	v_lshl_add_u32 v38, v38, 23, v47
	v_or3_b32 v38, v46, v38, v40
	v_lshrrev_b32_e32 v46, 16, v38
.LBB817_26:
	s_or_b64 exec, exec, s[24:25]
.LBB817_27:
	s_or_b64 exec, exec, s[14:15]
.LBB817_28:
	s_or_b64 exec, exec, s[12:13]
	s_mov_b32 s11, 0xffffff
	v_cmp_lt_u32_e32 vcc, s11, v34
	v_mov_b32_e32 v47, 0
	s_and_saveexec_b64 s[12:13], vcc
	s_cbranch_execz .LBB817_34
; %bb.29:
	v_lshrrev_b32_e32 v38, 24, v34
	s_movk_i32 s11, 0x80
	v_cmp_ne_u32_e32 vcc, s11, v38
	v_mov_b32_e32 v47, 0xffff8000
	s_and_saveexec_b64 s[14:15], vcc
	s_cbranch_execz .LBB817_33
; %bb.30:
	v_bfe_u32 v40, v34, 24, 7
	s_movk_i32 s11, 0x7f
	v_cmp_ne_u32_e32 vcc, s11, v40
	v_mov_b32_e32 v47, 0x7f80
	s_and_saveexec_b64 s[24:25], vcc
	s_cbranch_execz .LBB817_32
; %bb.31:
	v_and_b32_e32 v47, 7, v38
	v_ffbh_u32_e32 v48, v47
	v_min_u32_e32 v51, 32, v48
	v_subrev_u32_e32 v48, 28, v51
	v_lshlrev_b64 v[48:49], v48, v[38:39]
	v_lshrrev_b32_e32 v50, 3, v40
	v_sub_u32_e32 v49, 29, v51
	v_and_b32_e32 v48, 7, v48
	v_cmp_gt_u32_e32 vcc, 8, v40
	v_cndmask_b32_e32 v40, v50, v49, vcc
	v_cndmask_b32_e32 v47, v47, v48, vcc
	v_lshlrev_b32_e32 v38, 24, v38
	v_bfrev_b32_e32 v48, 60
	v_lshlrev_b32_e32 v47, 20, v47
	v_and_b32_e32 v38, 0x80000000, v38
	v_lshl_add_u32 v40, v40, 23, v48
	v_or3_b32 v38, v38, v40, v47
	v_lshrrev_b32_e32 v47, 16, v38
.LBB817_32:
	s_or_b64 exec, exec, s[24:25]
.LBB817_33:
	s_or_b64 exec, exec, s[14:15]
.LBB817_34:
	s_or_b64 exec, exec, s[12:13]
	v_mov_b32_e32 v48, 0
	v_mov_b32_e32 v40, v35
	v_cmp_ne_u16_sdwa s[14:15], v35, v48 src0_sel:BYTE_0 src1_sel:DWORD
	v_mov_b32_e32 v49, 0
	s_and_saveexec_b64 s[12:13], s[14:15]
	s_cbranch_execz .LBB817_40
; %bb.35:
	s_movk_i32 s11, 0x80
	v_cmp_ne_u16_sdwa s[24:25], v35, s11 src0_sel:BYTE_0 src1_sel:DWORD
	v_mov_b32_e32 v49, 0xffff8000
	s_and_saveexec_b64 s[14:15], s[24:25]
	s_cbranch_execz .LBB817_39
; %bb.36:
	s_movk_i32 s11, 0x7f
	v_and_b32_e32 v38, 0x7f, v35
	v_cmp_ne_u32_e32 vcc, s11, v38
	v_mov_b32_e32 v49, 0x7f80
	s_and_saveexec_b64 s[24:25], vcc
	s_cbranch_execz .LBB817_38
; %bb.37:
	v_and_b32_e32 v49, 7, v35
	v_ffbh_u32_e32 v49, v49
	v_min_u32_e32 v49, 32, v49
	v_lshrrev_b32_e32 v50, 3, v38
	v_subrev_u32_e32 v51, 28, v49
	v_sub_u32_e32 v49, 29, v49
	v_cmp_gt_u32_e32 vcc, 8, v38
	v_cndmask_b32_e32 v38, v50, v49, vcc
	v_cndmask_b32_e32 v49, 0, v51, vcc
	v_lshlrev_b64 v[50:51], v49, v[40:41]
	v_lshlrev_b32_e32 v41, 20, v50
	v_lshlrev_b32_e32 v49, 24, v40
	v_bfrev_b32_e32 v50, 60
	v_and_b32_e32 v41, 0x700000, v41
	v_and_b32_e32 v49, 0x80000000, v49
	v_lshl_add_u32 v38, v38, 23, v50
	v_or3_b32 v38, v49, v38, v41
	v_lshrrev_b32_e32 v49, 16, v38
.LBB817_38:
	s_or_b64 exec, exec, s[24:25]
.LBB817_39:
	s_or_b64 exec, exec, s[14:15]
.LBB817_40:
	s_or_b64 exec, exec, s[12:13]
	v_lshrrev_b16_e32 v38, 8, v40
	v_cmp_ne_u16_e32 vcc, 0, v38
	s_and_saveexec_b64 s[12:13], vcc
	s_cbranch_execz .LBB817_46
; %bb.41:
	s_movk_i32 s11, 0x80
	v_cmp_ne_u16_e32 vcc, s11, v38
	v_mov_b32_e32 v48, 0xffff8000
	s_and_saveexec_b64 s[14:15], vcc
	s_cbranch_execz .LBB817_45
; %bb.42:
	s_movk_i32 s11, 0x7f
	v_and_b32_e32 v41, 0x7f, v38
	v_cmp_ne_u32_e32 vcc, s11, v41
	v_mov_b32_e32 v48, 0x7f80
	s_and_saveexec_b64 s[24:25], vcc
	s_cbranch_execz .LBB817_44
; %bb.43:
	v_and_b32_e32 v48, 7, v38
	v_ffbh_u32_e32 v50, v48
	v_min_u32_e32 v53, 32, v50
	v_subrev_u32_e32 v50, 28, v53
	v_lshlrev_b64 v[50:51], v50, v[38:39]
	v_lshrrev_b32_e32 v52, 3, v41
	v_sub_u32_e32 v38, 29, v53
	v_and_b32_e32 v50, 7, v50
	v_cmp_gt_u32_e32 vcc, 8, v41
	v_cndmask_b32_e32 v38, v52, v38, vcc
	v_cndmask_b32_e32 v41, v48, v50, vcc
	v_lshlrev_b32_e32 v40, 16, v40
	v_bfrev_b32_e32 v48, 60
	v_lshlrev_b32_e32 v41, 20, v41
	v_and_b32_e32 v40, 0x80000000, v40
	v_lshl_add_u32 v38, v38, 23, v48
	v_or3_b32 v38, v40, v38, v41
	v_lshrrev_b32_e32 v48, 16, v38
.LBB817_44:
	s_or_b64 exec, exec, s[24:25]
.LBB817_45:
	s_or_b64 exec, exec, s[14:15]
.LBB817_46:
	s_or_b64 exec, exec, s[12:13]
	s_movk_i32 s11, 0xff
	v_and_b32_sdwa v50, v35, s11 dst_sel:DWORD dst_unused:UNUSED_PAD src0_sel:WORD_1 src1_sel:DWORD
	v_lshrrev_b32_e32 v38, 16, v35
	v_cmp_ne_u16_e32 vcc, 0, v50
	v_mov_b32_e32 v40, 0
	v_mov_b32_e32 v41, 0
	s_and_saveexec_b64 s[12:13], vcc
	s_cbranch_execz .LBB817_52
; %bb.47:
	s_movk_i32 s11, 0x80
	v_cmp_ne_u16_e32 vcc, s11, v50
	v_mov_b32_e32 v41, 0xffff8000
	s_and_saveexec_b64 s[14:15], vcc
	s_cbranch_execz .LBB817_51
; %bb.48:
	v_bfe_u32 v50, v35, 16, 7
	s_movk_i32 s11, 0x7f
	v_cmp_ne_u32_e32 vcc, s11, v50
	v_mov_b32_e32 v41, 0x7f80
	s_and_saveexec_b64 s[24:25], vcc
	s_cbranch_execz .LBB817_50
; %bb.49:
	v_and_b32_e32 v41, 7, v38
	v_ffbh_u32_e32 v52, v41
	v_min_u32_e32 v54, 32, v52
	v_subrev_u32_e32 v52, 28, v54
	v_lshlrev_b64 v[52:53], v52, v[38:39]
	v_lshrrev_b32_e32 v51, 3, v50
	v_sub_u32_e32 v38, 29, v54
	v_and_b32_e32 v52, 7, v52
	v_cmp_gt_u32_e32 vcc, 8, v50
	v_mov_b32_e32 v50, 24
	v_cndmask_b32_e32 v38, v51, v38, vcc
	v_cndmask_b32_e32 v41, v41, v52, vcc
	v_lshlrev_b32_sdwa v50, v50, v35 dst_sel:DWORD dst_unused:UNUSED_PAD src0_sel:DWORD src1_sel:WORD_1
	v_bfrev_b32_e32 v51, 60
	v_lshlrev_b32_e32 v41, 20, v41
	v_and_b32_e32 v50, 0x80000000, v50
	v_lshl_add_u32 v38, v38, 23, v51
	v_or3_b32 v38, v50, v38, v41
	v_lshrrev_b32_e32 v41, 16, v38
.LBB817_50:
	s_or_b64 exec, exec, s[24:25]
.LBB817_51:
	s_or_b64 exec, exec, s[14:15]
.LBB817_52:
	s_or_b64 exec, exec, s[12:13]
	s_mov_b32 s12, -1
	s_mov_b32 s13, 0xffffff
	v_cmp_lt_u64_e32 vcc, s[12:13], v[34:35]
	s_and_saveexec_b64 s[12:13], vcc
	s_cbranch_execz .LBB817_58
; %bb.53:
	v_lshrrev_b32_e32 v34, 24, v35
	s_movk_i32 s11, 0x80
	v_cmp_ne_u32_e32 vcc, s11, v34
	v_mov_b32_e32 v40, 0xffff8000
	s_and_saveexec_b64 s[14:15], vcc
	s_cbranch_execz .LBB817_57
; %bb.54:
	v_bfe_u32 v35, v35, 24, 7
	s_movk_i32 s11, 0x7f
	v_cmp_ne_u32_e32 vcc, s11, v35
	v_mov_b32_e32 v40, 0x7f80
	s_and_saveexec_b64 s[24:25], vcc
	s_cbranch_execz .LBB817_56
; %bb.55:
	v_and_b32_e32 v38, 7, v34
	v_ffbh_u32_e32 v50, v38
	v_min_u32_e32 v52, 32, v50
	v_subrev_u32_e32 v50, 28, v52
	v_lshlrev_b64 v[50:51], v50, v[34:35]
	v_lshrrev_b32_e32 v40, 3, v35
	v_sub_u32_e32 v51, 29, v52
	v_and_b32_e32 v50, 7, v50
	v_cmp_gt_u32_e32 vcc, 8, v35
	v_cndmask_b32_e32 v35, v40, v51, vcc
	v_cndmask_b32_e32 v38, v38, v50, vcc
	v_lshlrev_b32_e32 v34, 24, v34
	v_bfrev_b32_e32 v40, 60
	v_lshlrev_b32_e32 v38, 20, v38
	v_and_b32_e32 v34, 0x80000000, v34
	v_lshl_add_u32 v35, v35, 23, v40
	v_or3_b32 v34, v34, v35, v38
	v_lshrrev_b32_e32 v40, 16, v34
.LBB817_56:
	s_or_b64 exec, exec, s[24:25]
.LBB817_57:
	s_or_b64 exec, exec, s[14:15]
.LBB817_58:
	s_or_b64 exec, exec, s[12:13]
	s_mov_b32 s11, 0x5040100
	v_perm_b32 v35, v47, v46, s11
	v_perm_b32 v34, v39, v45, s11
	;; [unrolled: 1-line block ×4, first 2 shown]
	v_mfma_f32_4x4x4bf16_1k a[0:3], v[2:3], v[34:35], 0 cbsz:4
	v_mov_b32_e32 v39, 0
	v_mfma_f32_4x4x4bf16_1k a[0:3], v[4:5], v[40:41], a[0:3] cbsz:4
	v_mov_b32_e32 v40, 0
	v_cmp_ne_u16_sdwa s[14:15], v36, v40 src0_sel:BYTE_0 src1_sel:DWORD
	s_and_saveexec_b64 s[12:13], s[14:15]
	s_cbranch_execz .LBB817_64
; %bb.59:
	s_movk_i32 s11, 0x80
	v_cmp_ne_u16_sdwa s[24:25], v36, s11 src0_sel:BYTE_0 src1_sel:DWORD
	v_mov_b32_e32 v39, 0xffff8000
	s_and_saveexec_b64 s[14:15], s[24:25]
	s_cbranch_execz .LBB817_63
; %bb.60:
	s_movk_i32 s11, 0x7f
	v_and_b32_e32 v34, 0x7f, v36
	v_cmp_ne_u32_e32 vcc, s11, v34
	v_mov_b32_e32 v39, 0x7f80
	s_and_saveexec_b64 s[24:25], vcc
	s_cbranch_execz .LBB817_62
; %bb.61:
	v_and_b32_e32 v35, 7, v36
	v_ffbh_u32_e32 v35, v35
	v_min_u32_e32 v35, 32, v35
	v_subrev_u32_e32 v39, 28, v35
	v_cmp_gt_u32_e32 vcc, 8, v34
	v_lshrrev_b32_e32 v38, 3, v34
	v_sub_u32_e32 v35, 29, v35
	v_cndmask_b32_e32 v34, 0, v39, vcc
	v_cndmask_b32_e32 v38, v38, v35, vcc
	v_lshlrev_b64 v[34:35], v34, v[36:37]
	v_lshlrev_b32_e32 v34, 20, v34
	v_lshlrev_b32_e32 v35, 24, v36
	v_bfrev_b32_e32 v39, 60
	v_and_b32_e32 v34, 0x700000, v34
	v_and_b32_e32 v35, 0x80000000, v35
	v_lshl_add_u32 v38, v38, 23, v39
	v_or3_b32 v34, v35, v38, v34
	v_lshrrev_b32_e32 v39, 16, v34
.LBB817_62:
	s_or_b64 exec, exec, s[24:25]
.LBB817_63:
	s_or_b64 exec, exec, s[14:15]
.LBB817_64:
	s_or_b64 exec, exec, s[12:13]
	v_lshrrev_b16_e32 v34, 8, v36
	v_cmp_ne_u16_e32 vcc, 0, v34
	s_and_saveexec_b64 s[12:13], vcc
	s_cbranch_execz .LBB817_70
; %bb.65:
	s_movk_i32 s11, 0x80
	v_cmp_ne_u16_e32 vcc, s11, v34
	v_mov_b32_e32 v40, 0xffff8000
	s_and_saveexec_b64 s[14:15], vcc
	s_cbranch_execz .LBB817_69
; %bb.66:
	s_movk_i32 s11, 0x7f
	v_and_b32_e32 v35, 0x7f, v34
	v_cmp_ne_u32_e32 vcc, s11, v35
	v_mov_b32_e32 v40, 0x7f80
	s_and_saveexec_b64 s[24:25], vcc
	s_cbranch_execz .LBB817_68
; %bb.67:
	v_and_b32_e32 v38, 7, v34
	v_ffbh_u32_e32 v40, v38
	v_min_u32_e32 v46, 32, v40
	v_subrev_u32_e32 v40, 28, v46
	v_lshlrev_b64 v[40:41], v40, v[34:35]
	v_lshrrev_b32_e32 v45, 3, v35
	v_sub_u32_e32 v34, 29, v46
	v_and_b32_e32 v40, 7, v40
	v_cmp_gt_u32_e32 vcc, 8, v35
	v_cndmask_b32_e32 v34, v45, v34, vcc
	v_cndmask_b32_e32 v35, v38, v40, vcc
	v_lshlrev_b32_e32 v38, 16, v36
	v_bfrev_b32_e32 v40, 60
	v_lshlrev_b32_e32 v35, 20, v35
	v_and_b32_e32 v38, 0x80000000, v38
	v_lshl_add_u32 v34, v34, 23, v40
	v_or3_b32 v34, v38, v34, v35
	v_lshrrev_b32_e32 v40, 16, v34
.LBB817_68:
	s_or_b64 exec, exec, s[24:25]
.LBB817_69:
	s_or_b64 exec, exec, s[14:15]
.LBB817_70:
	s_or_b64 exec, exec, s[12:13]
	s_movk_i32 s11, 0xff
	v_and_b32_sdwa v38, v36, s11 dst_sel:DWORD dst_unused:UNUSED_PAD src0_sel:WORD_1 src1_sel:DWORD
	v_lshrrev_b32_e32 v34, 16, v36
	v_cmp_ne_u16_e32 vcc, 0, v38
	v_mov_b32_e32 v35, 0
	v_mov_b32_e32 v41, 0
	s_and_saveexec_b64 s[12:13], vcc
	s_cbranch_execz .LBB817_76
; %bb.71:
	s_movk_i32 s11, 0x80
	v_cmp_ne_u16_e32 vcc, s11, v38
	v_mov_b32_e32 v41, 0xffff8000
	s_and_saveexec_b64 s[14:15], vcc
	s_cbranch_execz .LBB817_75
; %bb.72:
	v_bfe_u32 v38, v36, 16, 7
	s_movk_i32 s11, 0x7f
	v_cmp_ne_u32_e32 vcc, s11, v38
	v_mov_b32_e32 v41, 0x7f80
	s_and_saveexec_b64 s[24:25], vcc
	s_cbranch_execz .LBB817_74
; %bb.73:
	v_and_b32_e32 v41, 7, v34
	v_ffbh_u32_e32 v46, v41
	v_min_u32_e32 v48, 32, v46
	v_subrev_u32_e32 v46, 28, v48
	v_lshlrev_b64 v[46:47], v46, v[34:35]
	v_and_b32_e32 v46, 7, v46
	v_cmp_gt_u32_e32 vcc, 8, v38
	v_lshrrev_b32_e32 v45, 3, v38
	v_sub_u32_e32 v34, 29, v48
	v_cndmask_b32_e32 v38, v41, v46, vcc
	v_mov_b32_e32 v41, 24
	v_cndmask_b32_e32 v34, v45, v34, vcc
	v_lshlrev_b32_sdwa v41, v41, v36 dst_sel:DWORD dst_unused:UNUSED_PAD src0_sel:DWORD src1_sel:WORD_1
	v_bfrev_b32_e32 v45, 60
	v_lshlrev_b32_e32 v38, 20, v38
	v_and_b32_e32 v41, 0x80000000, v41
	v_lshl_add_u32 v34, v34, 23, v45
	v_or3_b32 v34, v41, v34, v38
	v_lshrrev_b32_e32 v41, 16, v34
.LBB817_74:
	s_or_b64 exec, exec, s[24:25]
.LBB817_75:
	s_or_b64 exec, exec, s[14:15]
.LBB817_76:
	s_or_b64 exec, exec, s[12:13]
	s_mov_b32 s11, 0xffffff
	v_cmp_lt_u32_e32 vcc, s11, v36
	v_mov_b32_e32 v45, 0
	s_and_saveexec_b64 s[12:13], vcc
	s_cbranch_execz .LBB817_82
; %bb.77:
	v_lshrrev_b32_e32 v34, 24, v36
	s_movk_i32 s11, 0x80
	v_cmp_ne_u32_e32 vcc, s11, v34
	v_mov_b32_e32 v45, 0xffff8000
	s_and_saveexec_b64 s[14:15], vcc
	s_cbranch_execz .LBB817_81
; %bb.78:
	v_bfe_u32 v38, v36, 24, 7
	s_movk_i32 s11, 0x7f
	v_cmp_ne_u32_e32 vcc, s11, v38
	v_mov_b32_e32 v45, 0x7f80
	s_and_saveexec_b64 s[24:25], vcc
	s_cbranch_execz .LBB817_80
; %bb.79:
	v_and_b32_e32 v45, 7, v34
	v_ffbh_u32_e32 v46, v45
	v_min_u32_e32 v49, 32, v46
	v_subrev_u32_e32 v46, 28, v49
	v_lshlrev_b64 v[46:47], v46, v[34:35]
	v_lshrrev_b32_e32 v48, 3, v38
	v_sub_u32_e32 v47, 29, v49
	v_and_b32_e32 v46, 7, v46
	v_cmp_gt_u32_e32 vcc, 8, v38
	v_cndmask_b32_e32 v38, v48, v47, vcc
	v_cndmask_b32_e32 v45, v45, v46, vcc
	v_lshlrev_b32_e32 v34, 24, v34
	v_bfrev_b32_e32 v46, 60
	v_lshlrev_b32_e32 v45, 20, v45
	v_and_b32_e32 v34, 0x80000000, v34
	v_lshl_add_u32 v38, v38, 23, v46
	v_or3_b32 v34, v34, v38, v45
	v_lshrrev_b32_e32 v45, 16, v34
.LBB817_80:
	s_or_b64 exec, exec, s[24:25]
.LBB817_81:
	s_or_b64 exec, exec, s[14:15]
.LBB817_82:
	s_or_b64 exec, exec, s[12:13]
	v_mov_b32_e32 v46, 0
	v_mov_b32_e32 v34, v37
	v_cmp_ne_u16_sdwa s[14:15], v37, v46 src0_sel:BYTE_0 src1_sel:DWORD
	v_mov_b32_e32 v47, 0
	s_and_saveexec_b64 s[12:13], s[14:15]
	s_cbranch_execz .LBB817_88
; %bb.83:
	s_movk_i32 s11, 0x80
	v_cmp_ne_u16_sdwa s[24:25], v37, s11 src0_sel:BYTE_0 src1_sel:DWORD
	v_mov_b32_e32 v47, 0xffff8000
	s_and_saveexec_b64 s[14:15], s[24:25]
	s_cbranch_execz .LBB817_87
; %bb.84:
	s_movk_i32 s11, 0x7f
	v_and_b32_e32 v38, 0x7f, v37
	v_cmp_ne_u32_e32 vcc, s11, v38
	v_mov_b32_e32 v47, 0x7f80
	s_and_saveexec_b64 s[24:25], vcc
	s_cbranch_execz .LBB817_86
; %bb.85:
	v_and_b32_e32 v47, 7, v37
	v_ffbh_u32_e32 v47, v47
	v_min_u32_e32 v47, 32, v47
	v_lshrrev_b32_e32 v48, 3, v38
	v_subrev_u32_e32 v49, 28, v47
	v_sub_u32_e32 v47, 29, v47
	v_cmp_gt_u32_e32 vcc, 8, v38
	v_cndmask_b32_e32 v38, v48, v47, vcc
	v_cndmask_b32_e32 v47, 0, v49, vcc
	v_lshlrev_b64 v[48:49], v47, v[34:35]
	v_lshlrev_b32_e32 v35, 20, v48
	v_lshlrev_b32_e32 v47, 24, v34
	v_bfrev_b32_e32 v48, 60
	v_and_b32_e32 v35, 0x700000, v35
	v_and_b32_e32 v47, 0x80000000, v47
	v_lshl_add_u32 v38, v38, 23, v48
	v_or3_b32 v35, v47, v38, v35
	v_lshrrev_b32_e32 v47, 16, v35
.LBB817_86:
	s_or_b64 exec, exec, s[24:25]
.LBB817_87:
	s_or_b64 exec, exec, s[14:15]
.LBB817_88:
	s_or_b64 exec, exec, s[12:13]
	v_lshrrev_b16_e32 v38, 8, v34
	v_cmp_ne_u16_e32 vcc, 0, v38
	s_and_saveexec_b64 s[12:13], vcc
	s_cbranch_execz .LBB817_94
; %bb.89:
	s_movk_i32 s11, 0x80
	v_cmp_ne_u16_e32 vcc, s11, v38
	v_mov_b32_e32 v46, 0xffff8000
	s_and_saveexec_b64 s[14:15], vcc
	s_cbranch_execz .LBB817_93
; %bb.90:
	s_movk_i32 s11, 0x7f
	v_and_b32_e32 v35, 0x7f, v38
	v_cmp_ne_u32_e32 vcc, s11, v35
	v_mov_b32_e32 v46, 0x7f80
	s_and_saveexec_b64 s[24:25], vcc
	s_cbranch_execz .LBB817_92
; %bb.91:
	v_and_b32_e32 v46, 7, v38
	v_ffbh_u32_e32 v48, v46
	v_min_u32_e32 v51, 32, v48
	v_subrev_u32_e32 v48, 28, v51
	v_lshlrev_b64 v[48:49], v48, v[38:39]
	v_lshrrev_b32_e32 v50, 3, v35
	v_sub_u32_e32 v38, 29, v51
	v_and_b32_e32 v48, 7, v48
	v_cmp_gt_u32_e32 vcc, 8, v35
	v_cndmask_b32_e32 v35, v50, v38, vcc
	v_cndmask_b32_e32 v38, v46, v48, vcc
	v_lshlrev_b32_e32 v34, 16, v34
	v_bfrev_b32_e32 v46, 60
	v_lshlrev_b32_e32 v38, 20, v38
	v_and_b32_e32 v34, 0x80000000, v34
	v_lshl_add_u32 v35, v35, 23, v46
	v_or3_b32 v34, v34, v35, v38
	v_lshrrev_b32_e32 v46, 16, v34
.LBB817_92:
	s_or_b64 exec, exec, s[24:25]
.LBB817_93:
	s_or_b64 exec, exec, s[14:15]
.LBB817_94:
	s_or_b64 exec, exec, s[12:13]
	s_movk_i32 s11, 0xff
	v_and_b32_sdwa v48, v37, s11 dst_sel:DWORD dst_unused:UNUSED_PAD src0_sel:WORD_1 src1_sel:DWORD
	v_lshrrev_b32_e32 v34, 16, v37
	v_cmp_ne_u16_e32 vcc, 0, v48
	v_mov_b32_e32 v35, 0
	v_mov_b32_e32 v38, 0
	s_and_saveexec_b64 s[12:13], vcc
	s_cbranch_execz .LBB817_100
; %bb.95:
	s_movk_i32 s11, 0x80
	v_cmp_ne_u16_e32 vcc, s11, v48
	v_mov_b32_e32 v38, 0xffff8000
	s_and_saveexec_b64 s[14:15], vcc
	s_cbranch_execz .LBB817_99
; %bb.96:
	v_bfe_u32 v48, v37, 16, 7
	s_movk_i32 s11, 0x7f
	v_cmp_ne_u32_e32 vcc, s11, v48
	v_mov_b32_e32 v38, 0x7f80
	s_and_saveexec_b64 s[24:25], vcc
	s_cbranch_execz .LBB817_98
; %bb.97:
	v_and_b32_e32 v38, 7, v34
	v_ffbh_u32_e32 v50, v38
	v_min_u32_e32 v52, 32, v50
	v_subrev_u32_e32 v50, 28, v52
	v_lshlrev_b64 v[50:51], v50, v[34:35]
	v_lshrrev_b32_e32 v49, 3, v48
	v_sub_u32_e32 v34, 29, v52
	v_and_b32_e32 v50, 7, v50
	v_cmp_gt_u32_e32 vcc, 8, v48
	v_mov_b32_e32 v48, 24
	v_cndmask_b32_e32 v34, v49, v34, vcc
	v_cndmask_b32_e32 v38, v38, v50, vcc
	v_lshlrev_b32_sdwa v48, v48, v37 dst_sel:DWORD dst_unused:UNUSED_PAD src0_sel:DWORD src1_sel:WORD_1
	v_bfrev_b32_e32 v49, 60
	v_lshlrev_b32_e32 v38, 20, v38
	v_and_b32_e32 v48, 0x80000000, v48
	v_lshl_add_u32 v34, v34, 23, v49
	v_or3_b32 v34, v48, v34, v38
	v_lshrrev_b32_e32 v38, 16, v34
.LBB817_98:
	s_or_b64 exec, exec, s[24:25]
.LBB817_99:
	s_or_b64 exec, exec, s[14:15]
.LBB817_100:
	s_or_b64 exec, exec, s[12:13]
	s_mov_b32 s12, -1
	s_mov_b32 s13, 0xffffff
	v_cmp_lt_u64_e32 vcc, s[12:13], v[36:37]
	s_and_saveexec_b64 s[12:13], vcc
	s_cbranch_execz .LBB817_106
; %bb.101:
	v_lshrrev_b32_e32 v34, 24, v37
	s_movk_i32 s11, 0x80
	v_cmp_ne_u32_e32 vcc, s11, v34
	v_mov_b32_e32 v35, 0xffff8000
	s_and_saveexec_b64 s[14:15], vcc
	s_cbranch_execz .LBB817_105
; %bb.102:
	v_bfe_u32 v36, v37, 24, 7
	s_movk_i32 s11, 0x7f
	v_cmp_ne_u32_e32 vcc, s11, v36
	v_mov_b32_e32 v35, 0x7f80
	s_and_saveexec_b64 s[24:25], vcc
	s_cbranch_execz .LBB817_104
; %bb.103:
	v_and_b32_e32 v35, 7, v34
	v_ffbh_u32_e32 v48, v35
	v_min_u32_e32 v50, 32, v48
	v_subrev_u32_e32 v48, 28, v50
	v_lshlrev_b64 v[48:49], v48, v[34:35]
	v_lshrrev_b32_e32 v37, 3, v36
	v_sub_u32_e32 v49, 29, v50
	v_and_b32_e32 v48, 7, v48
	v_cmp_gt_u32_e32 vcc, 8, v36
	v_cndmask_b32_e32 v36, v37, v49, vcc
	v_cndmask_b32_e32 v35, v35, v48, vcc
	v_lshlrev_b32_e32 v34, 24, v34
	v_bfrev_b32_e32 v37, 60
	v_lshlrev_b32_e32 v35, 20, v35
	v_and_b32_e32 v34, 0x80000000, v34
	v_lshl_add_u32 v36, v36, 23, v37
	v_or3_b32 v34, v34, v36, v35
	v_lshrrev_b32_e32 v35, 16, v34
.LBB817_104:
	s_or_b64 exec, exec, s[24:25]
.LBB817_105:
	s_or_b64 exec, exec, s[14:15]
.LBB817_106:
	s_or_b64 exec, exec, s[12:13]
	s_mov_b32 s11, 0x5040100
	v_perm_b32 v37, v45, v41, s11
	v_perm_b32 v36, v40, v39, s11
	v_perm_b32 v35, v35, v38, s11
	v_perm_b32 v34, v46, v47, s11
	v_mfma_f32_4x4x4bf16_1k a[0:3], v[2:3], v[36:37], a[0:3] cbsz:4 abid:1
	v_mov_b32_e32 v37, 0
	v_mfma_f32_4x4x4bf16_1k a[0:3], v[4:5], v[34:35], a[0:3] cbsz:4 abid:1
	v_cmp_ne_u16_sdwa s[14:15], v30, v37 src0_sel:BYTE_0 src1_sel:DWORD
	v_mov_b32_e32 v38, 0
	s_and_saveexec_b64 s[12:13], s[14:15]
	s_cbranch_execz .LBB817_112
; %bb.107:
	s_movk_i32 s11, 0x80
	v_cmp_ne_u16_sdwa s[24:25], v30, s11 src0_sel:BYTE_0 src1_sel:DWORD
	v_mov_b32_e32 v38, 0xffff8000
	s_and_saveexec_b64 s[14:15], s[24:25]
	s_cbranch_execz .LBB817_111
; %bb.108:
	s_movk_i32 s11, 0x7f
	v_and_b32_e32 v34, 0x7f, v30
	v_cmp_ne_u32_e32 vcc, s11, v34
	v_mov_b32_e32 v38, 0x7f80
	s_and_saveexec_b64 s[24:25], vcc
	s_cbranch_execz .LBB817_110
; %bb.109:
	v_and_b32_e32 v35, 7, v30
	v_ffbh_u32_e32 v35, v35
	v_min_u32_e32 v35, 32, v35
	v_subrev_u32_e32 v38, 28, v35
	v_cmp_gt_u32_e32 vcc, 8, v34
	v_lshrrev_b32_e32 v36, 3, v34
	v_sub_u32_e32 v35, 29, v35
	v_cndmask_b32_e32 v34, 0, v38, vcc
	v_cndmask_b32_e32 v36, v36, v35, vcc
	v_lshlrev_b64 v[34:35], v34, v[30:31]
	v_lshlrev_b32_e32 v34, 20, v34
	v_lshlrev_b32_e32 v35, 24, v30
	v_bfrev_b32_e32 v38, 60
	v_and_b32_e32 v34, 0x700000, v34
	v_and_b32_e32 v35, 0x80000000, v35
	v_lshl_add_u32 v36, v36, 23, v38
	v_or3_b32 v34, v35, v36, v34
	v_lshrrev_b32_e32 v38, 16, v34
.LBB817_110:
	s_or_b64 exec, exec, s[24:25]
.LBB817_111:
	s_or_b64 exec, exec, s[14:15]
.LBB817_112:
	s_or_b64 exec, exec, s[12:13]
	v_lshrrev_b16_e32 v34, 8, v30
	v_cmp_ne_u16_e32 vcc, 0, v34
	s_and_saveexec_b64 s[12:13], vcc
	s_cbranch_execz .LBB817_118
; %bb.113:
	s_movk_i32 s11, 0x80
	v_cmp_ne_u16_e32 vcc, s11, v34
	v_mov_b32_e32 v37, 0xffff8000
	s_and_saveexec_b64 s[14:15], vcc
	s_cbranch_execz .LBB817_117
; %bb.114:
	s_movk_i32 s11, 0x7f
	v_and_b32_e32 v35, 0x7f, v34
	v_cmp_ne_u32_e32 vcc, s11, v35
	v_mov_b32_e32 v37, 0x7f80
	s_and_saveexec_b64 s[24:25], vcc
	s_cbranch_execz .LBB817_116
; %bb.115:
	v_and_b32_e32 v39, 7, v34
	v_ffbh_u32_e32 v36, v39
	v_min_u32_e32 v41, 32, v36
	v_subrev_u32_e32 v36, 28, v41
	v_lshlrev_b64 v[36:37], v36, v[34:35]
	v_lshrrev_b32_e32 v40, 3, v35
	v_sub_u32_e32 v34, 29, v41
	v_and_b32_e32 v36, 7, v36
	v_cmp_gt_u32_e32 vcc, 8, v35
	v_cndmask_b32_e32 v34, v40, v34, vcc
	v_cndmask_b32_e32 v35, v39, v36, vcc
	v_lshlrev_b32_e32 v36, 16, v30
	v_bfrev_b32_e32 v37, 60
	v_lshlrev_b32_e32 v35, 20, v35
	v_and_b32_e32 v36, 0x80000000, v36
	v_lshl_add_u32 v34, v34, 23, v37
	v_or3_b32 v34, v36, v34, v35
	v_lshrrev_b32_e32 v37, 16, v34
.LBB817_116:
	s_or_b64 exec, exec, s[24:25]
.LBB817_117:
	s_or_b64 exec, exec, s[14:15]
.LBB817_118:
	s_or_b64 exec, exec, s[12:13]
	s_movk_i32 s11, 0xff
	v_and_b32_sdwa v36, v30, s11 dst_sel:DWORD dst_unused:UNUSED_PAD src0_sel:WORD_1 src1_sel:DWORD
	v_lshrrev_b32_e32 v34, 16, v30
	v_cmp_ne_u16_e32 vcc, 0, v36
	v_mov_b32_e32 v35, 0
	v_mov_b32_e32 v39, 0
	s_and_saveexec_b64 s[12:13], vcc
	s_cbranch_execz .LBB817_124
; %bb.119:
	s_movk_i32 s11, 0x80
	v_cmp_ne_u16_e32 vcc, s11, v36
	v_mov_b32_e32 v39, 0xffff8000
	s_and_saveexec_b64 s[14:15], vcc
	s_cbranch_execz .LBB817_123
; %bb.120:
	v_bfe_u32 v36, v30, 16, 7
	s_movk_i32 s11, 0x7f
	v_cmp_ne_u32_e32 vcc, s11, v36
	v_mov_b32_e32 v39, 0x7f80
	s_and_saveexec_b64 s[24:25], vcc
	s_cbranch_execz .LBB817_122
; %bb.121:
	v_and_b32_e32 v39, 7, v34
	v_ffbh_u32_e32 v40, v39
	v_min_u32_e32 v46, 32, v40
	v_subrev_u32_e32 v40, 28, v46
	v_lshlrev_b64 v[40:41], v40, v[34:35]
	v_and_b32_e32 v40, 7, v40
	v_cmp_gt_u32_e32 vcc, 8, v36
	v_lshrrev_b32_e32 v45, 3, v36
	v_sub_u32_e32 v34, 29, v46
	v_cndmask_b32_e32 v36, v39, v40, vcc
	v_mov_b32_e32 v39, 24
	v_cndmask_b32_e32 v34, v45, v34, vcc
	v_lshlrev_b32_sdwa v39, v39, v30 dst_sel:DWORD dst_unused:UNUSED_PAD src0_sel:DWORD src1_sel:WORD_1
	v_bfrev_b32_e32 v40, 60
	v_lshlrev_b32_e32 v36, 20, v36
	v_and_b32_e32 v39, 0x80000000, v39
	v_lshl_add_u32 v34, v34, 23, v40
	v_or3_b32 v34, v39, v34, v36
	v_lshrrev_b32_e32 v39, 16, v34
.LBB817_122:
	s_or_b64 exec, exec, s[24:25]
.LBB817_123:
	s_or_b64 exec, exec, s[14:15]
.LBB817_124:
	s_or_b64 exec, exec, s[12:13]
	s_mov_b32 s11, 0xffffff
	v_cmp_lt_u32_e32 vcc, s11, v30
	v_mov_b32_e32 v40, 0
	s_and_saveexec_b64 s[12:13], vcc
	s_cbranch_execz .LBB817_130
; %bb.125:
	v_lshrrev_b32_e32 v34, 24, v30
	s_movk_i32 s11, 0x80
	v_cmp_ne_u32_e32 vcc, s11, v34
	v_mov_b32_e32 v40, 0xffff8000
	s_and_saveexec_b64 s[14:15], vcc
	s_cbranch_execz .LBB817_129
; %bb.126:
	v_bfe_u32 v36, v30, 24, 7
	s_movk_i32 s11, 0x7f
	v_cmp_ne_u32_e32 vcc, s11, v36
	v_mov_b32_e32 v40, 0x7f80
	s_and_saveexec_b64 s[24:25], vcc
	s_cbranch_execz .LBB817_128
; %bb.127:
	v_and_b32_e32 v45, 7, v34
	v_ffbh_u32_e32 v40, v45
	v_min_u32_e32 v47, 32, v40
	v_subrev_u32_e32 v40, 28, v47
	v_lshlrev_b64 v[40:41], v40, v[34:35]
	v_lshrrev_b32_e32 v46, 3, v36
	v_sub_u32_e32 v41, 29, v47
	v_and_b32_e32 v40, 7, v40
	v_cmp_gt_u32_e32 vcc, 8, v36
	v_cndmask_b32_e32 v36, v46, v41, vcc
	v_cndmask_b32_e32 v40, v45, v40, vcc
	v_lshlrev_b32_e32 v34, 24, v34
	v_bfrev_b32_e32 v41, 60
	v_lshlrev_b32_e32 v40, 20, v40
	v_and_b32_e32 v34, 0x80000000, v34
	v_lshl_add_u32 v36, v36, 23, v41
	v_or3_b32 v34, v34, v36, v40
	v_lshrrev_b32_e32 v40, 16, v34
.LBB817_128:
	s_or_b64 exec, exec, s[24:25]
.LBB817_129:
	s_or_b64 exec, exec, s[14:15]
.LBB817_130:
	s_or_b64 exec, exec, s[12:13]
	v_mov_b32_e32 v41, 0
	v_mov_b32_e32 v34, v31
	v_cmp_ne_u16_sdwa s[14:15], v31, v41 src0_sel:BYTE_0 src1_sel:DWORD
	v_mov_b32_e32 v45, 0
	s_and_saveexec_b64 s[12:13], s[14:15]
	s_cbranch_execz .LBB817_136
; %bb.131:
	s_movk_i32 s11, 0x80
	v_cmp_ne_u16_sdwa s[24:25], v31, s11 src0_sel:BYTE_0 src1_sel:DWORD
	v_mov_b32_e32 v45, 0xffff8000
	s_and_saveexec_b64 s[14:15], s[24:25]
	s_cbranch_execz .LBB817_135
; %bb.132:
	s_movk_i32 s11, 0x7f
	v_and_b32_e32 v36, 0x7f, v31
	v_cmp_ne_u32_e32 vcc, s11, v36
	v_mov_b32_e32 v45, 0x7f80
	s_and_saveexec_b64 s[24:25], vcc
	s_cbranch_execz .LBB817_134
; %bb.133:
	v_and_b32_e32 v45, 7, v31
	v_ffbh_u32_e32 v45, v45
	v_min_u32_e32 v45, 32, v45
	v_lshrrev_b32_e32 v46, 3, v36
	v_subrev_u32_e32 v47, 28, v45
	v_sub_u32_e32 v45, 29, v45
	v_cmp_gt_u32_e32 vcc, 8, v36
	v_cndmask_b32_e32 v36, v46, v45, vcc
	v_cndmask_b32_e32 v45, 0, v47, vcc
	v_lshlrev_b64 v[46:47], v45, v[34:35]
	v_lshlrev_b32_e32 v35, 20, v46
	v_lshlrev_b32_e32 v45, 24, v34
	v_bfrev_b32_e32 v46, 60
	v_and_b32_e32 v35, 0x700000, v35
	v_and_b32_e32 v45, 0x80000000, v45
	v_lshl_add_u32 v36, v36, 23, v46
	v_or3_b32 v35, v45, v36, v35
	v_lshrrev_b32_e32 v45, 16, v35
.LBB817_134:
	s_or_b64 exec, exec, s[24:25]
.LBB817_135:
	s_or_b64 exec, exec, s[14:15]
.LBB817_136:
	s_or_b64 exec, exec, s[12:13]
	v_lshrrev_b16_e32 v36, 8, v34
	v_cmp_ne_u16_e32 vcc, 0, v36
	s_and_saveexec_b64 s[12:13], vcc
	s_cbranch_execz .LBB817_142
; %bb.137:
	s_movk_i32 s11, 0x80
	v_cmp_ne_u16_e32 vcc, s11, v36
	v_mov_b32_e32 v41, 0xffff8000
	s_and_saveexec_b64 s[14:15], vcc
	s_cbranch_execz .LBB817_141
; %bb.138:
	s_movk_i32 s11, 0x7f
	v_and_b32_e32 v35, 0x7f, v36
	v_cmp_ne_u32_e32 vcc, s11, v35
	v_mov_b32_e32 v41, 0x7f80
	s_and_saveexec_b64 s[24:25], vcc
	s_cbranch_execz .LBB817_140
; %bb.139:
	v_and_b32_e32 v41, 7, v36
	v_ffbh_u32_e32 v46, v41
	v_min_u32_e32 v49, 32, v46
	v_subrev_u32_e32 v46, 28, v49
	v_lshlrev_b64 v[46:47], v46, v[36:37]
	v_lshrrev_b32_e32 v48, 3, v35
	v_sub_u32_e32 v36, 29, v49
	v_and_b32_e32 v46, 7, v46
	v_cmp_gt_u32_e32 vcc, 8, v35
	v_cndmask_b32_e32 v35, v48, v36, vcc
	v_cndmask_b32_e32 v36, v41, v46, vcc
	v_lshlrev_b32_e32 v34, 16, v34
	v_bfrev_b32_e32 v41, 60
	v_lshlrev_b32_e32 v36, 20, v36
	v_and_b32_e32 v34, 0x80000000, v34
	v_lshl_add_u32 v35, v35, 23, v41
	v_or3_b32 v34, v34, v35, v36
	v_lshrrev_b32_e32 v41, 16, v34
.LBB817_140:
	s_or_b64 exec, exec, s[24:25]
.LBB817_141:
	s_or_b64 exec, exec, s[14:15]
.LBB817_142:
	s_or_b64 exec, exec, s[12:13]
	s_movk_i32 s11, 0xff
	v_and_b32_sdwa v46, v31, s11 dst_sel:DWORD dst_unused:UNUSED_PAD src0_sel:WORD_1 src1_sel:DWORD
	v_lshrrev_b32_e32 v34, 16, v31
	v_cmp_ne_u16_e32 vcc, 0, v46
	v_mov_b32_e32 v35, 0
	v_mov_b32_e32 v36, 0
	s_and_saveexec_b64 s[12:13], vcc
	s_cbranch_execz .LBB817_148
; %bb.143:
	s_movk_i32 s11, 0x80
	v_cmp_ne_u16_e32 vcc, s11, v46
	v_mov_b32_e32 v36, 0xffff8000
	s_and_saveexec_b64 s[14:15], vcc
	s_cbranch_execz .LBB817_147
; %bb.144:
	v_bfe_u32 v46, v31, 16, 7
	s_movk_i32 s11, 0x7f
	v_cmp_ne_u32_e32 vcc, s11, v46
	v_mov_b32_e32 v36, 0x7f80
	s_and_saveexec_b64 s[24:25], vcc
	s_cbranch_execz .LBB817_146
; %bb.145:
	v_and_b32_e32 v36, 7, v34
	v_ffbh_u32_e32 v48, v36
	v_min_u32_e32 v50, 32, v48
	v_subrev_u32_e32 v48, 28, v50
	v_lshlrev_b64 v[48:49], v48, v[34:35]
	v_lshrrev_b32_e32 v47, 3, v46
	v_sub_u32_e32 v34, 29, v50
	v_and_b32_e32 v48, 7, v48
	v_cmp_gt_u32_e32 vcc, 8, v46
	v_mov_b32_e32 v46, 24
	v_cndmask_b32_e32 v34, v47, v34, vcc
	v_cndmask_b32_e32 v36, v36, v48, vcc
	v_lshlrev_b32_sdwa v46, v46, v31 dst_sel:DWORD dst_unused:UNUSED_PAD src0_sel:DWORD src1_sel:WORD_1
	v_bfrev_b32_e32 v47, 60
	v_lshlrev_b32_e32 v36, 20, v36
	v_and_b32_e32 v46, 0x80000000, v46
	v_lshl_add_u32 v34, v34, 23, v47
	v_or3_b32 v34, v46, v34, v36
	v_lshrrev_b32_e32 v36, 16, v34
.LBB817_146:
	s_or_b64 exec, exec, s[24:25]
.LBB817_147:
	s_or_b64 exec, exec, s[14:15]
.LBB817_148:
	s_or_b64 exec, exec, s[12:13]
	s_mov_b32 s12, -1
	s_mov_b32 s13, 0xffffff
	v_cmp_lt_u64_e32 vcc, s[12:13], v[30:31]
	s_and_saveexec_b64 s[12:13], vcc
	s_cbranch_execz .LBB817_154
; %bb.149:
	v_lshrrev_b32_e32 v30, 24, v31
	s_movk_i32 s11, 0x80
	v_cmp_ne_u32_e32 vcc, s11, v30
	v_mov_b32_e32 v35, 0xffff8000
	s_and_saveexec_b64 s[14:15], vcc
	s_cbranch_execz .LBB817_153
; %bb.150:
	v_bfe_u32 v31, v31, 24, 7
	s_movk_i32 s11, 0x7f
	v_cmp_ne_u32_e32 vcc, s11, v31
	v_mov_b32_e32 v35, 0x7f80
	s_and_saveexec_b64 s[24:25], vcc
	s_cbranch_execz .LBB817_152
; %bb.151:
	v_and_b32_e32 v46, 7, v30
	v_ffbh_u32_e32 v34, v46
	v_min_u32_e32 v48, 32, v34
	v_subrev_u32_e32 v34, 28, v48
	v_lshlrev_b64 v[34:35], v34, v[30:31]
	v_lshrrev_b32_e32 v47, 3, v31
	v_sub_u32_e32 v35, 29, v48
	v_and_b32_e32 v34, 7, v34
	v_cmp_gt_u32_e32 vcc, 8, v31
	v_cndmask_b32_e32 v31, v47, v35, vcc
	v_cndmask_b32_e32 v34, v46, v34, vcc
	v_lshlrev_b32_e32 v30, 24, v30
	v_bfrev_b32_e32 v35, 60
	v_lshlrev_b32_e32 v34, 20, v34
	v_and_b32_e32 v30, 0x80000000, v30
	v_lshl_add_u32 v31, v31, 23, v35
	v_or3_b32 v30, v30, v31, v34
	v_lshrrev_b32_e32 v35, 16, v30
.LBB817_152:
	s_or_b64 exec, exec, s[24:25]
.LBB817_153:
	s_or_b64 exec, exec, s[14:15]
.LBB817_154:
	s_or_b64 exec, exec, s[12:13]
	s_mov_b32 s11, 0x5040100
	v_perm_b32 v31, v40, v39, s11
	v_perm_b32 v30, v37, v38, s11
	;; [unrolled: 1-line block ×4, first 2 shown]
	v_mfma_f32_4x4x4bf16_1k a[0:3], v[2:3], v[30:31], a[0:3] cbsz:4 abid:2
	v_mov_b32_e32 v36, 0
	v_mfma_f32_4x4x4bf16_1k a[0:3], v[4:5], v[34:35], a[0:3] cbsz:4 abid:2
	v_mov_b32_e32 v35, 0
	v_cmp_ne_u16_sdwa s[14:15], v32, v35 src0_sel:BYTE_0 src1_sel:DWORD
	s_and_saveexec_b64 s[12:13], s[14:15]
	s_cbranch_execz .LBB817_160
; %bb.155:
	s_movk_i32 s11, 0x80
	v_cmp_ne_u16_sdwa s[24:25], v32, s11 src0_sel:BYTE_0 src1_sel:DWORD
	v_mov_b32_e32 v36, 0xffff8000
	s_and_saveexec_b64 s[14:15], s[24:25]
	s_cbranch_execz .LBB817_159
; %bb.156:
	s_movk_i32 s11, 0x7f
	v_and_b32_e32 v30, 0x7f, v32
	v_cmp_ne_u32_e32 vcc, s11, v30
	v_mov_b32_e32 v36, 0x7f80
	s_and_saveexec_b64 s[24:25], vcc
	s_cbranch_execz .LBB817_158
; %bb.157:
	v_and_b32_e32 v31, 7, v32
	v_ffbh_u32_e32 v31, v31
	v_min_u32_e32 v31, 32, v31
	v_subrev_u32_e32 v36, 28, v31
	v_cmp_gt_u32_e32 vcc, 8, v30
	v_lshrrev_b32_e32 v34, 3, v30
	v_sub_u32_e32 v31, 29, v31
	v_cndmask_b32_e32 v30, 0, v36, vcc
	v_cndmask_b32_e32 v34, v34, v31, vcc
	v_lshlrev_b64 v[30:31], v30, v[32:33]
	v_lshlrev_b32_e32 v30, 20, v30
	v_lshlrev_b32_e32 v31, 24, v32
	v_bfrev_b32_e32 v36, 60
	v_and_b32_e32 v30, 0x700000, v30
	v_and_b32_e32 v31, 0x80000000, v31
	v_lshl_add_u32 v34, v34, 23, v36
	v_or3_b32 v30, v31, v34, v30
	v_lshrrev_b32_e32 v36, 16, v30
.LBB817_158:
	s_or_b64 exec, exec, s[24:25]
.LBB817_159:
	s_or_b64 exec, exec, s[14:15]
.LBB817_160:
	s_or_b64 exec, exec, s[12:13]
	v_lshrrev_b16_e32 v30, 8, v32
	v_cmp_ne_u16_e32 vcc, 0, v30
	s_and_saveexec_b64 s[12:13], vcc
	s_cbranch_execz .LBB817_166
; %bb.161:
	s_movk_i32 s11, 0x80
	v_cmp_ne_u16_e32 vcc, s11, v30
	v_mov_b32_e32 v35, 0xffff8000
	s_and_saveexec_b64 s[14:15], vcc
	s_cbranch_execz .LBB817_165
; %bb.162:
	s_movk_i32 s11, 0x7f
	v_and_b32_e32 v31, 0x7f, v30
	v_cmp_ne_u32_e32 vcc, s11, v31
	v_mov_b32_e32 v35, 0x7f80
	s_and_saveexec_b64 s[24:25], vcc
	s_cbranch_execz .LBB817_164
; %bb.163:
	v_and_b32_e32 v37, 7, v30
	v_ffbh_u32_e32 v34, v37
	v_min_u32_e32 v39, 32, v34
	v_subrev_u32_e32 v34, 28, v39
	v_lshlrev_b64 v[34:35], v34, v[30:31]
	v_lshrrev_b32_e32 v38, 3, v31
	v_sub_u32_e32 v30, 29, v39
	v_and_b32_e32 v34, 7, v34
	v_cmp_gt_u32_e32 vcc, 8, v31
	v_cndmask_b32_e32 v30, v38, v30, vcc
	v_cndmask_b32_e32 v31, v37, v34, vcc
	v_lshlrev_b32_e32 v34, 16, v32
	v_bfrev_b32_e32 v35, 60
	v_lshlrev_b32_e32 v31, 20, v31
	v_and_b32_e32 v34, 0x80000000, v34
	v_lshl_add_u32 v30, v30, 23, v35
	v_or3_b32 v30, v34, v30, v31
	v_lshrrev_b32_e32 v35, 16, v30
.LBB817_164:
	s_or_b64 exec, exec, s[24:25]
.LBB817_165:
	s_or_b64 exec, exec, s[14:15]
.LBB817_166:
	s_or_b64 exec, exec, s[12:13]
	s_movk_i32 s11, 0xff
	v_and_b32_sdwa v34, v32, s11 dst_sel:DWORD dst_unused:UNUSED_PAD src0_sel:WORD_1 src1_sel:DWORD
	v_lshrrev_b32_e32 v30, 16, v32
	v_cmp_ne_u16_e32 vcc, 0, v34
	v_mov_b32_e32 v31, 0
	v_mov_b32_e32 v37, 0
	s_and_saveexec_b64 s[12:13], vcc
	s_cbranch_execz .LBB817_172
; %bb.167:
	s_movk_i32 s11, 0x80
	v_cmp_ne_u16_e32 vcc, s11, v34
	v_mov_b32_e32 v37, 0xffff8000
	s_and_saveexec_b64 s[14:15], vcc
	s_cbranch_execz .LBB817_171
; %bb.168:
	v_bfe_u32 v34, v32, 16, 7
	s_movk_i32 s11, 0x7f
	v_cmp_ne_u32_e32 vcc, s11, v34
	v_mov_b32_e32 v37, 0x7f80
	s_and_saveexec_b64 s[24:25], vcc
	s_cbranch_execz .LBB817_170
; %bb.169:
	v_and_b32_e32 v37, 7, v30
	v_ffbh_u32_e32 v38, v37
	v_min_u32_e32 v41, 32, v38
	v_subrev_u32_e32 v38, 28, v41
	v_lshlrev_b64 v[38:39], v38, v[30:31]
	v_and_b32_e32 v38, 7, v38
	v_cmp_gt_u32_e32 vcc, 8, v34
	v_lshrrev_b32_e32 v40, 3, v34
	v_sub_u32_e32 v30, 29, v41
	v_cndmask_b32_e32 v34, v37, v38, vcc
	v_mov_b32_e32 v37, 24
	v_cndmask_b32_e32 v30, v40, v30, vcc
	v_lshlrev_b32_sdwa v37, v37, v32 dst_sel:DWORD dst_unused:UNUSED_PAD src0_sel:DWORD src1_sel:WORD_1
	v_bfrev_b32_e32 v38, 60
	v_lshlrev_b32_e32 v34, 20, v34
	v_and_b32_e32 v37, 0x80000000, v37
	v_lshl_add_u32 v30, v30, 23, v38
	v_or3_b32 v30, v37, v30, v34
	v_lshrrev_b32_e32 v37, 16, v30
.LBB817_170:
	s_or_b64 exec, exec, s[24:25]
.LBB817_171:
	s_or_b64 exec, exec, s[14:15]
.LBB817_172:
	s_or_b64 exec, exec, s[12:13]
	s_mov_b32 s11, 0xffffff
	v_cmp_lt_u32_e32 vcc, s11, v32
	v_mov_b32_e32 v38, 0
	s_and_saveexec_b64 s[12:13], vcc
	s_cbranch_execz .LBB817_178
; %bb.173:
	v_lshrrev_b32_e32 v30, 24, v32
	s_movk_i32 s11, 0x80
	v_cmp_ne_u32_e32 vcc, s11, v30
	v_mov_b32_e32 v38, 0xffff8000
	s_and_saveexec_b64 s[14:15], vcc
	s_cbranch_execz .LBB817_177
; %bb.174:
	v_bfe_u32 v34, v32, 24, 7
	s_movk_i32 s11, 0x7f
	v_cmp_ne_u32_e32 vcc, s11, v34
	v_mov_b32_e32 v38, 0x7f80
	s_and_saveexec_b64 s[24:25], vcc
	s_cbranch_execz .LBB817_176
; %bb.175:
	v_and_b32_e32 v40, 7, v30
	v_ffbh_u32_e32 v38, v40
	v_min_u32_e32 v45, 32, v38
	v_subrev_u32_e32 v38, 28, v45
	v_lshlrev_b64 v[38:39], v38, v[30:31]
	v_lshrrev_b32_e32 v41, 3, v34
	v_sub_u32_e32 v39, 29, v45
	v_and_b32_e32 v38, 7, v38
	v_cmp_gt_u32_e32 vcc, 8, v34
	v_cndmask_b32_e32 v34, v41, v39, vcc
	v_cndmask_b32_e32 v38, v40, v38, vcc
	v_lshlrev_b32_e32 v30, 24, v30
	v_bfrev_b32_e32 v39, 60
	v_lshlrev_b32_e32 v38, 20, v38
	v_and_b32_e32 v30, 0x80000000, v30
	v_lshl_add_u32 v34, v34, 23, v39
	v_or3_b32 v30, v30, v34, v38
	v_lshrrev_b32_e32 v38, 16, v30
.LBB817_176:
	s_or_b64 exec, exec, s[24:25]
.LBB817_177:
	s_or_b64 exec, exec, s[14:15]
.LBB817_178:
	s_or_b64 exec, exec, s[12:13]
	v_mov_b32_e32 v39, 0
	v_mov_b32_e32 v30, v33
	v_cmp_ne_u16_sdwa s[14:15], v33, v39 src0_sel:BYTE_0 src1_sel:DWORD
	v_mov_b32_e32 v40, 0
	s_and_saveexec_b64 s[12:13], s[14:15]
	s_cbranch_execz .LBB817_184
; %bb.179:
	s_movk_i32 s11, 0x80
	v_cmp_ne_u16_sdwa s[24:25], v33, s11 src0_sel:BYTE_0 src1_sel:DWORD
	v_mov_b32_e32 v40, 0xffff8000
	s_and_saveexec_b64 s[14:15], s[24:25]
	s_cbranch_execz .LBB817_183
; %bb.180:
	s_movk_i32 s11, 0x7f
	v_and_b32_e32 v34, 0x7f, v33
	v_cmp_ne_u32_e32 vcc, s11, v34
	v_mov_b32_e32 v40, 0x7f80
	s_and_saveexec_b64 s[24:25], vcc
	s_cbranch_execz .LBB817_182
; %bb.181:
	v_and_b32_e32 v40, 7, v33
	v_ffbh_u32_e32 v40, v40
	v_min_u32_e32 v40, 32, v40
	v_lshrrev_b32_e32 v41, 3, v34
	v_subrev_u32_e32 v45, 28, v40
	v_sub_u32_e32 v40, 29, v40
	v_cmp_gt_u32_e32 vcc, 8, v34
	v_cndmask_b32_e32 v34, v41, v40, vcc
	v_cndmask_b32_e32 v40, 0, v45, vcc
	v_lshlrev_b64 v[40:41], v40, v[30:31]
	v_lshlrev_b32_e32 v31, 20, v40
	v_lshlrev_b32_e32 v40, 24, v30
	v_bfrev_b32_e32 v41, 60
	v_and_b32_e32 v31, 0x700000, v31
	v_and_b32_e32 v40, 0x80000000, v40
	v_lshl_add_u32 v34, v34, 23, v41
	v_or3_b32 v31, v40, v34, v31
	v_lshrrev_b32_e32 v40, 16, v31
.LBB817_182:
	s_or_b64 exec, exec, s[24:25]
.LBB817_183:
	s_or_b64 exec, exec, s[14:15]
.LBB817_184:
	s_or_b64 exec, exec, s[12:13]
	v_lshrrev_b16_e32 v34, 8, v30
	v_cmp_ne_u16_e32 vcc, 0, v34
	s_and_saveexec_b64 s[12:13], vcc
	s_cbranch_execz .LBB817_190
; %bb.185:
	s_movk_i32 s11, 0x80
	v_cmp_ne_u16_e32 vcc, s11, v34
	v_mov_b32_e32 v39, 0xffff8000
	s_and_saveexec_b64 s[14:15], vcc
	s_cbranch_execz .LBB817_189
; %bb.186:
	s_movk_i32 s11, 0x7f
	v_and_b32_e32 v31, 0x7f, v34
	v_cmp_ne_u32_e32 vcc, s11, v31
	v_mov_b32_e32 v39, 0x7f80
	s_and_saveexec_b64 s[24:25], vcc
	s_cbranch_execz .LBB817_188
; %bb.187:
	v_and_b32_e32 v39, 7, v34
	v_ffbh_u32_e32 v45, v39
	v_min_u32_e32 v45, 32, v45
	v_subrev_u32_e32 v46, 28, v45
	v_lshlrev_b64 v[46:47], v46, v[34:35]
	v_lshrrev_b32_e32 v41, 3, v31
	v_sub_u32_e32 v34, 29, v45
	v_and_b32_e32 v45, 7, v46
	v_cmp_gt_u32_e32 vcc, 8, v31
	v_cndmask_b32_e32 v31, v41, v34, vcc
	v_cndmask_b32_e32 v34, v39, v45, vcc
	v_lshlrev_b32_e32 v30, 16, v30
	v_bfrev_b32_e32 v39, 60
	v_lshlrev_b32_e32 v34, 20, v34
	v_and_b32_e32 v30, 0x80000000, v30
	v_lshl_add_u32 v31, v31, 23, v39
	v_or3_b32 v30, v30, v31, v34
	v_lshrrev_b32_e32 v39, 16, v30
.LBB817_188:
	s_or_b64 exec, exec, s[24:25]
.LBB817_189:
	s_or_b64 exec, exec, s[14:15]
.LBB817_190:
	s_or_b64 exec, exec, s[12:13]
	s_movk_i32 s11, 0xff
	v_and_b32_sdwa v41, v33, s11 dst_sel:DWORD dst_unused:UNUSED_PAD src0_sel:WORD_1 src1_sel:DWORD
	v_lshrrev_b32_e32 v30, 16, v33
	v_cmp_ne_u16_e32 vcc, 0, v41
	v_mov_b32_e32 v31, 0
	v_mov_b32_e32 v34, 0
	s_and_saveexec_b64 s[12:13], vcc
	s_cbranch_execz .LBB817_196
; %bb.191:
	s_movk_i32 s11, 0x80
	v_cmp_ne_u16_e32 vcc, s11, v41
	v_mov_b32_e32 v34, 0xffff8000
	s_and_saveexec_b64 s[14:15], vcc
	s_cbranch_execz .LBB817_195
; %bb.192:
	v_bfe_u32 v41, v33, 16, 7
	s_movk_i32 s11, 0x7f
	v_cmp_ne_u32_e32 vcc, s11, v41
	v_mov_b32_e32 v34, 0x7f80
	s_and_saveexec_b64 s[24:25], vcc
	s_cbranch_execz .LBB817_194
; %bb.193:
	v_and_b32_e32 v34, 7, v30
	v_ffbh_u32_e32 v46, v34
	v_min_u32_e32 v48, 32, v46
	v_subrev_u32_e32 v46, 28, v48
	v_lshlrev_b64 v[46:47], v46, v[30:31]
	v_lshrrev_b32_e32 v45, 3, v41
	v_sub_u32_e32 v30, 29, v48
	v_and_b32_e32 v46, 7, v46
	v_cmp_gt_u32_e32 vcc, 8, v41
	v_mov_b32_e32 v41, 24
	v_cndmask_b32_e32 v30, v45, v30, vcc
	v_cndmask_b32_e32 v34, v34, v46, vcc
	v_lshlrev_b32_sdwa v41, v41, v33 dst_sel:DWORD dst_unused:UNUSED_PAD src0_sel:DWORD src1_sel:WORD_1
	v_bfrev_b32_e32 v45, 60
	v_lshlrev_b32_e32 v34, 20, v34
	v_and_b32_e32 v41, 0x80000000, v41
	v_lshl_add_u32 v30, v30, 23, v45
	v_or3_b32 v30, v41, v30, v34
	v_lshrrev_b32_e32 v34, 16, v30
.LBB817_194:
	s_or_b64 exec, exec, s[24:25]
.LBB817_195:
	s_or_b64 exec, exec, s[14:15]
.LBB817_196:
	s_or_b64 exec, exec, s[12:13]
	s_mov_b32 s12, -1
	s_mov_b32 s13, 0xffffff
	v_cmp_lt_u64_e32 vcc, s[12:13], v[32:33]
	s_and_saveexec_b64 s[12:13], vcc
	s_cbranch_execz .LBB817_202
; %bb.197:
	v_lshrrev_b32_e32 v30, 24, v33
	s_movk_i32 s11, 0x80
	v_cmp_ne_u32_e32 vcc, s11, v30
	v_mov_b32_e32 v31, 0xffff8000
	s_and_saveexec_b64 s[14:15], vcc
	s_cbranch_execz .LBB817_201
; %bb.198:
	v_bfe_u32 v32, v33, 24, 7
	s_movk_i32 s11, 0x7f
	v_cmp_ne_u32_e32 vcc, s11, v32
	v_mov_b32_e32 v31, 0x7f80
	s_and_saveexec_b64 s[24:25], vcc
	s_cbranch_execz .LBB817_200
; %bb.199:
	v_and_b32_e32 v31, 7, v30
	v_ffbh_u32_e32 v41, v31
	v_min_u32_e32 v41, 32, v41
	v_subrev_u32_e32 v45, 28, v41
	v_lshlrev_b64 v[46:47], v45, v[30:31]
	v_lshrrev_b32_e32 v33, 3, v32
	v_sub_u32_e32 v41, 29, v41
	v_and_b32_e32 v45, 7, v46
	v_cmp_gt_u32_e32 vcc, 8, v32
	v_cndmask_b32_e32 v32, v33, v41, vcc
	v_cndmask_b32_e32 v31, v31, v45, vcc
	v_lshlrev_b32_e32 v30, 24, v30
	v_bfrev_b32_e32 v33, 60
	v_lshlrev_b32_e32 v31, 20, v31
	v_and_b32_e32 v30, 0x80000000, v30
	v_lshl_add_u32 v32, v32, 23, v33
	v_or3_b32 v30, v30, v32, v31
	v_lshrrev_b32_e32 v31, 16, v30
.LBB817_200:
	s_or_b64 exec, exec, s[24:25]
.LBB817_201:
	s_or_b64 exec, exec, s[14:15]
.LBB817_202:
	s_or_b64 exec, exec, s[12:13]
	s_mov_b32 s11, 0x5040100
	v_perm_b32 v33, v38, v37, s11
	v_perm_b32 v32, v35, v36, s11
	;; [unrolled: 1-line block ×4, first 2 shown]
	v_mfma_f32_4x4x4bf16_1k a[0:3], v[2:3], v[32:33], a[0:3] cbsz:4 abid:3
	v_mov_b32_e32 v33, 0
	v_mfma_f32_4x4x4bf16_1k a[0:3], v[4:5], v[30:31], a[0:3] cbsz:4 abid:3
	v_cmp_ne_u16_sdwa s[14:15], v26, v33 src0_sel:BYTE_0 src1_sel:DWORD
	v_mov_b32_e32 v34, 0
	s_and_saveexec_b64 s[12:13], s[14:15]
	s_cbranch_execz .LBB817_208
; %bb.203:
	s_movk_i32 s11, 0x80
	v_cmp_ne_u16_sdwa s[24:25], v26, s11 src0_sel:BYTE_0 src1_sel:DWORD
	v_mov_b32_e32 v34, 0xffff8000
	s_and_saveexec_b64 s[14:15], s[24:25]
	s_cbranch_execz .LBB817_207
; %bb.204:
	s_movk_i32 s11, 0x7f
	v_and_b32_e32 v30, 0x7f, v26
	v_cmp_ne_u32_e32 vcc, s11, v30
	v_mov_b32_e32 v34, 0x7f80
	s_and_saveexec_b64 s[24:25], vcc
	s_cbranch_execz .LBB817_206
; %bb.205:
	v_and_b32_e32 v31, 7, v26
	v_ffbh_u32_e32 v31, v31
	v_min_u32_e32 v31, 32, v31
	v_subrev_u32_e32 v34, 28, v31
	v_cmp_gt_u32_e32 vcc, 8, v30
	v_lshrrev_b32_e32 v32, 3, v30
	v_sub_u32_e32 v31, 29, v31
	v_cndmask_b32_e32 v30, 0, v34, vcc
	v_cndmask_b32_e32 v32, v32, v31, vcc
	v_lshlrev_b64 v[30:31], v30, v[26:27]
	v_lshlrev_b32_e32 v30, 20, v30
	v_lshlrev_b32_e32 v31, 24, v26
	v_bfrev_b32_e32 v34, 60
	v_and_b32_e32 v30, 0x700000, v30
	v_and_b32_e32 v31, 0x80000000, v31
	v_lshl_add_u32 v32, v32, 23, v34
	v_or3_b32 v30, v31, v32, v30
	v_lshrrev_b32_e32 v34, 16, v30
.LBB817_206:
	s_or_b64 exec, exec, s[24:25]
.LBB817_207:
	s_or_b64 exec, exec, s[14:15]
.LBB817_208:
	s_or_b64 exec, exec, s[12:13]
	v_lshrrev_b16_e32 v30, 8, v26
	v_cmp_ne_u16_e32 vcc, 0, v30
	s_and_saveexec_b64 s[12:13], vcc
	s_cbranch_execz .LBB817_214
; %bb.209:
	s_movk_i32 s11, 0x80
	v_cmp_ne_u16_e32 vcc, s11, v30
	v_mov_b32_e32 v33, 0xffff8000
	s_and_saveexec_b64 s[14:15], vcc
	s_cbranch_execz .LBB817_213
; %bb.210:
	s_movk_i32 s11, 0x7f
	v_and_b32_e32 v31, 0x7f, v30
	v_cmp_ne_u32_e32 vcc, s11, v31
	v_mov_b32_e32 v33, 0x7f80
	s_and_saveexec_b64 s[24:25], vcc
	s_cbranch_execz .LBB817_212
; %bb.211:
	v_and_b32_e32 v35, 7, v30
	v_ffbh_u32_e32 v32, v35
	v_min_u32_e32 v37, 32, v32
	v_subrev_u32_e32 v32, 28, v37
	v_lshlrev_b64 v[32:33], v32, v[30:31]
	v_lshrrev_b32_e32 v36, 3, v31
	v_sub_u32_e32 v30, 29, v37
	v_and_b32_e32 v32, 7, v32
	v_cmp_gt_u32_e32 vcc, 8, v31
	v_cndmask_b32_e32 v30, v36, v30, vcc
	v_cndmask_b32_e32 v31, v35, v32, vcc
	v_lshlrev_b32_e32 v32, 16, v26
	v_bfrev_b32_e32 v33, 60
	v_lshlrev_b32_e32 v31, 20, v31
	v_and_b32_e32 v32, 0x80000000, v32
	v_lshl_add_u32 v30, v30, 23, v33
	v_or3_b32 v30, v32, v30, v31
	v_lshrrev_b32_e32 v33, 16, v30
.LBB817_212:
	s_or_b64 exec, exec, s[24:25]
.LBB817_213:
	s_or_b64 exec, exec, s[14:15]
.LBB817_214:
	s_or_b64 exec, exec, s[12:13]
	s_movk_i32 s11, 0xff
	v_and_b32_sdwa v32, v26, s11 dst_sel:DWORD dst_unused:UNUSED_PAD src0_sel:WORD_1 src1_sel:DWORD
	v_lshrrev_b32_e32 v30, 16, v26
	v_cmp_ne_u16_e32 vcc, 0, v32
	v_mov_b32_e32 v31, 0
	v_mov_b32_e32 v35, 0
	s_and_saveexec_b64 s[12:13], vcc
	s_cbranch_execz .LBB817_220
; %bb.215:
	s_movk_i32 s11, 0x80
	v_cmp_ne_u16_e32 vcc, s11, v32
	v_mov_b32_e32 v35, 0xffff8000
	s_and_saveexec_b64 s[14:15], vcc
	s_cbranch_execz .LBB817_219
; %bb.216:
	v_bfe_u32 v32, v26, 16, 7
	s_movk_i32 s11, 0x7f
	v_cmp_ne_u32_e32 vcc, s11, v32
	v_mov_b32_e32 v35, 0x7f80
	s_and_saveexec_b64 s[24:25], vcc
	s_cbranch_execz .LBB817_218
; %bb.217:
	v_and_b32_e32 v35, 7, v30
	v_ffbh_u32_e32 v36, v35
	v_min_u32_e32 v39, 32, v36
	v_subrev_u32_e32 v36, 28, v39
	v_lshlrev_b64 v[36:37], v36, v[30:31]
	v_and_b32_e32 v36, 7, v36
	v_cmp_gt_u32_e32 vcc, 8, v32
	v_lshrrev_b32_e32 v38, 3, v32
	v_sub_u32_e32 v30, 29, v39
	v_cndmask_b32_e32 v32, v35, v36, vcc
	v_mov_b32_e32 v35, 24
	v_cndmask_b32_e32 v30, v38, v30, vcc
	v_lshlrev_b32_sdwa v35, v35, v26 dst_sel:DWORD dst_unused:UNUSED_PAD src0_sel:DWORD src1_sel:WORD_1
	v_bfrev_b32_e32 v36, 60
	v_lshlrev_b32_e32 v32, 20, v32
	v_and_b32_e32 v35, 0x80000000, v35
	v_lshl_add_u32 v30, v30, 23, v36
	v_or3_b32 v30, v35, v30, v32
	v_lshrrev_b32_e32 v35, 16, v30
.LBB817_218:
	s_or_b64 exec, exec, s[24:25]
.LBB817_219:
	s_or_b64 exec, exec, s[14:15]
.LBB817_220:
	s_or_b64 exec, exec, s[12:13]
	s_mov_b32 s11, 0xffffff
	v_cmp_lt_u32_e32 vcc, s11, v26
	v_mov_b32_e32 v36, 0
	s_and_saveexec_b64 s[12:13], vcc
	s_cbranch_execz .LBB817_226
; %bb.221:
	v_lshrrev_b32_e32 v30, 24, v26
	s_movk_i32 s11, 0x80
	v_cmp_ne_u32_e32 vcc, s11, v30
	v_mov_b32_e32 v36, 0xffff8000
	s_and_saveexec_b64 s[14:15], vcc
	s_cbranch_execz .LBB817_225
; %bb.222:
	v_bfe_u32 v32, v26, 24, 7
	s_movk_i32 s11, 0x7f
	v_cmp_ne_u32_e32 vcc, s11, v32
	v_mov_b32_e32 v36, 0x7f80
	s_and_saveexec_b64 s[24:25], vcc
	s_cbranch_execz .LBB817_224
; %bb.223:
	v_and_b32_e32 v38, 7, v30
	v_ffbh_u32_e32 v36, v38
	v_min_u32_e32 v40, 32, v36
	v_subrev_u32_e32 v36, 28, v40
	v_lshlrev_b64 v[36:37], v36, v[30:31]
	v_lshrrev_b32_e32 v39, 3, v32
	v_sub_u32_e32 v37, 29, v40
	v_and_b32_e32 v36, 7, v36
	v_cmp_gt_u32_e32 vcc, 8, v32
	v_cndmask_b32_e32 v32, v39, v37, vcc
	v_cndmask_b32_e32 v36, v38, v36, vcc
	v_lshlrev_b32_e32 v30, 24, v30
	v_bfrev_b32_e32 v37, 60
	v_lshlrev_b32_e32 v36, 20, v36
	v_and_b32_e32 v30, 0x80000000, v30
	v_lshl_add_u32 v32, v32, 23, v37
	v_or3_b32 v30, v30, v32, v36
	v_lshrrev_b32_e32 v36, 16, v30
.LBB817_224:
	s_or_b64 exec, exec, s[24:25]
.LBB817_225:
	s_or_b64 exec, exec, s[14:15]
.LBB817_226:
	s_or_b64 exec, exec, s[12:13]
	v_mov_b32_e32 v37, 0
	v_mov_b32_e32 v30, v27
	v_cmp_ne_u16_sdwa s[14:15], v27, v37 src0_sel:BYTE_0 src1_sel:DWORD
	v_mov_b32_e32 v38, 0
	s_and_saveexec_b64 s[12:13], s[14:15]
	s_cbranch_execz .LBB817_232
; %bb.227:
	s_movk_i32 s11, 0x80
	v_cmp_ne_u16_sdwa s[24:25], v27, s11 src0_sel:BYTE_0 src1_sel:DWORD
	v_mov_b32_e32 v38, 0xffff8000
	s_and_saveexec_b64 s[14:15], s[24:25]
	s_cbranch_execz .LBB817_231
; %bb.228:
	s_movk_i32 s11, 0x7f
	v_and_b32_e32 v32, 0x7f, v27
	v_cmp_ne_u32_e32 vcc, s11, v32
	v_mov_b32_e32 v38, 0x7f80
	s_and_saveexec_b64 s[24:25], vcc
	s_cbranch_execz .LBB817_230
; %bb.229:
	v_and_b32_e32 v38, 7, v27
	v_ffbh_u32_e32 v38, v38
	v_min_u32_e32 v38, 32, v38
	v_lshrrev_b32_e32 v39, 3, v32
	v_subrev_u32_e32 v40, 28, v38
	v_sub_u32_e32 v38, 29, v38
	v_cmp_gt_u32_e32 vcc, 8, v32
	v_cndmask_b32_e32 v32, v39, v38, vcc
	v_cndmask_b32_e32 v38, 0, v40, vcc
	v_lshlrev_b64 v[38:39], v38, v[30:31]
	v_lshlrev_b32_e32 v31, 20, v38
	v_lshlrev_b32_e32 v38, 24, v30
	v_bfrev_b32_e32 v39, 60
	v_and_b32_e32 v31, 0x700000, v31
	v_and_b32_e32 v38, 0x80000000, v38
	v_lshl_add_u32 v32, v32, 23, v39
	v_or3_b32 v31, v38, v32, v31
	v_lshrrev_b32_e32 v38, 16, v31
.LBB817_230:
	s_or_b64 exec, exec, s[24:25]
.LBB817_231:
	s_or_b64 exec, exec, s[14:15]
.LBB817_232:
	s_or_b64 exec, exec, s[12:13]
	v_lshrrev_b16_e32 v32, 8, v30
	v_cmp_ne_u16_e32 vcc, 0, v32
	s_and_saveexec_b64 s[12:13], vcc
	s_cbranch_execz .LBB817_238
; %bb.233:
	s_movk_i32 s11, 0x80
	v_cmp_ne_u16_e32 vcc, s11, v32
	v_mov_b32_e32 v37, 0xffff8000
	s_and_saveexec_b64 s[14:15], vcc
	s_cbranch_execz .LBB817_237
; %bb.234:
	s_movk_i32 s11, 0x7f
	v_and_b32_e32 v31, 0x7f, v32
	v_cmp_ne_u32_e32 vcc, s11, v31
	v_mov_b32_e32 v37, 0x7f80
	s_and_saveexec_b64 s[24:25], vcc
	s_cbranch_execz .LBB817_236
; %bb.235:
	v_and_b32_e32 v37, 7, v32
	v_ffbh_u32_e32 v40, v37
	v_min_u32_e32 v45, 32, v40
	v_subrev_u32_e32 v40, 28, v45
	v_lshlrev_b64 v[40:41], v40, v[32:33]
	v_lshrrev_b32_e32 v39, 3, v31
	v_sub_u32_e32 v32, 29, v45
	v_and_b32_e32 v40, 7, v40
	v_cmp_gt_u32_e32 vcc, 8, v31
	v_cndmask_b32_e32 v31, v39, v32, vcc
	v_cndmask_b32_e32 v32, v37, v40, vcc
	v_lshlrev_b32_e32 v30, 16, v30
	v_bfrev_b32_e32 v37, 60
	v_lshlrev_b32_e32 v32, 20, v32
	v_and_b32_e32 v30, 0x80000000, v30
	v_lshl_add_u32 v31, v31, 23, v37
	v_or3_b32 v30, v30, v31, v32
	v_lshrrev_b32_e32 v37, 16, v30
.LBB817_236:
	s_or_b64 exec, exec, s[24:25]
.LBB817_237:
	s_or_b64 exec, exec, s[14:15]
.LBB817_238:
	s_or_b64 exec, exec, s[12:13]
	s_movk_i32 s11, 0xff
	v_and_b32_sdwa v39, v27, s11 dst_sel:DWORD dst_unused:UNUSED_PAD src0_sel:WORD_1 src1_sel:DWORD
	v_lshrrev_b32_e32 v30, 16, v27
	v_cmp_ne_u16_e32 vcc, 0, v39
	v_mov_b32_e32 v31, 0
	v_mov_b32_e32 v32, 0
	s_and_saveexec_b64 s[12:13], vcc
	s_cbranch_execz .LBB817_244
; %bb.239:
	s_movk_i32 s11, 0x80
	v_cmp_ne_u16_e32 vcc, s11, v39
	v_mov_b32_e32 v32, 0xffff8000
	s_and_saveexec_b64 s[14:15], vcc
	s_cbranch_execz .LBB817_243
; %bb.240:
	v_bfe_u32 v39, v27, 16, 7
	s_movk_i32 s11, 0x7f
	v_cmp_ne_u32_e32 vcc, s11, v39
	v_mov_b32_e32 v32, 0x7f80
	s_and_saveexec_b64 s[24:25], vcc
	s_cbranch_execz .LBB817_242
; %bb.241:
	v_and_b32_e32 v32, 7, v30
	v_ffbh_u32_e32 v40, v32
	v_min_u32_e32 v46, 32, v40
	v_subrev_u32_e32 v40, 28, v46
	v_lshlrev_b64 v[40:41], v40, v[30:31]
	v_lshrrev_b32_e32 v45, 3, v39
	v_sub_u32_e32 v30, 29, v46
	v_and_b32_e32 v40, 7, v40
	v_cmp_gt_u32_e32 vcc, 8, v39
	v_mov_b32_e32 v39, 24
	v_cndmask_b32_e32 v30, v45, v30, vcc
	v_cndmask_b32_e32 v32, v32, v40, vcc
	v_lshlrev_b32_sdwa v39, v39, v27 dst_sel:DWORD dst_unused:UNUSED_PAD src0_sel:DWORD src1_sel:WORD_1
	v_bfrev_b32_e32 v40, 60
	v_lshlrev_b32_e32 v32, 20, v32
	v_and_b32_e32 v39, 0x80000000, v39
	v_lshl_add_u32 v30, v30, 23, v40
	v_or3_b32 v30, v39, v30, v32
	v_lshrrev_b32_e32 v32, 16, v30
.LBB817_242:
	s_or_b64 exec, exec, s[24:25]
.LBB817_243:
	s_or_b64 exec, exec, s[14:15]
.LBB817_244:
	s_or_b64 exec, exec, s[12:13]
	s_mov_b32 s12, -1
	s_mov_b32 s13, 0xffffff
	v_cmp_lt_u64_e32 vcc, s[12:13], v[26:27]
	s_and_saveexec_b64 s[12:13], vcc
	s_cbranch_execz .LBB817_250
; %bb.245:
	v_lshrrev_b32_e32 v26, 24, v27
	s_movk_i32 s11, 0x80
	v_cmp_ne_u32_e32 vcc, s11, v26
	v_mov_b32_e32 v31, 0xffff8000
	s_and_saveexec_b64 s[14:15], vcc
	s_cbranch_execz .LBB817_249
; %bb.246:
	v_bfe_u32 v27, v27, 24, 7
	s_movk_i32 s11, 0x7f
	v_cmp_ne_u32_e32 vcc, s11, v27
	v_mov_b32_e32 v31, 0x7f80
	s_and_saveexec_b64 s[24:25], vcc
	s_cbranch_execz .LBB817_248
; %bb.247:
	v_and_b32_e32 v39, 7, v26
	v_ffbh_u32_e32 v30, v39
	v_min_u32_e32 v41, 32, v30
	v_subrev_u32_e32 v30, 28, v41
	v_lshlrev_b64 v[30:31], v30, v[26:27]
	v_lshrrev_b32_e32 v40, 3, v27
	v_sub_u32_e32 v31, 29, v41
	v_and_b32_e32 v30, 7, v30
	v_cmp_gt_u32_e32 vcc, 8, v27
	v_cndmask_b32_e32 v27, v40, v31, vcc
	v_cndmask_b32_e32 v30, v39, v30, vcc
	v_lshlrev_b32_e32 v26, 24, v26
	v_bfrev_b32_e32 v31, 60
	v_lshlrev_b32_e32 v30, 20, v30
	v_and_b32_e32 v26, 0x80000000, v26
	v_lshl_add_u32 v27, v27, 23, v31
	v_or3_b32 v26, v26, v27, v30
	v_lshrrev_b32_e32 v31, 16, v26
.LBB817_248:
	s_or_b64 exec, exec, s[24:25]
.LBB817_249:
	s_or_b64 exec, exec, s[14:15]
.LBB817_250:
	s_or_b64 exec, exec, s[12:13]
	s_mov_b32 s11, 0x5040100
	v_perm_b32 v27, v36, v35, s11
	v_perm_b32 v26, v33, v34, s11
	;; [unrolled: 1-line block ×4, first 2 shown]
	v_mfma_f32_4x4x4bf16_1k a[0:3], v[2:3], v[26:27], a[0:3] cbsz:4 abid:4
	v_mov_b32_e32 v32, 0
	v_mfma_f32_4x4x4bf16_1k a[0:3], v[4:5], v[30:31], a[0:3] cbsz:4 abid:4
	v_mov_b32_e32 v31, 0
	v_cmp_ne_u16_sdwa s[14:15], v28, v31 src0_sel:BYTE_0 src1_sel:DWORD
	s_and_saveexec_b64 s[12:13], s[14:15]
	s_cbranch_execz .LBB817_256
; %bb.251:
	s_movk_i32 s11, 0x80
	v_cmp_ne_u16_sdwa s[24:25], v28, s11 src0_sel:BYTE_0 src1_sel:DWORD
	v_mov_b32_e32 v32, 0xffff8000
	s_and_saveexec_b64 s[14:15], s[24:25]
	s_cbranch_execz .LBB817_255
; %bb.252:
	s_movk_i32 s11, 0x7f
	v_and_b32_e32 v26, 0x7f, v28
	v_cmp_ne_u32_e32 vcc, s11, v26
	v_mov_b32_e32 v32, 0x7f80
	s_and_saveexec_b64 s[24:25], vcc
	s_cbranch_execz .LBB817_254
; %bb.253:
	v_and_b32_e32 v27, 7, v28
	v_ffbh_u32_e32 v27, v27
	v_min_u32_e32 v27, 32, v27
	v_subrev_u32_e32 v32, 28, v27
	v_cmp_gt_u32_e32 vcc, 8, v26
	v_lshrrev_b32_e32 v30, 3, v26
	v_sub_u32_e32 v27, 29, v27
	v_cndmask_b32_e32 v26, 0, v32, vcc
	v_cndmask_b32_e32 v30, v30, v27, vcc
	v_lshlrev_b64 v[26:27], v26, v[28:29]
	v_lshlrev_b32_e32 v26, 20, v26
	v_lshlrev_b32_e32 v27, 24, v28
	v_bfrev_b32_e32 v32, 60
	v_and_b32_e32 v26, 0x700000, v26
	v_and_b32_e32 v27, 0x80000000, v27
	v_lshl_add_u32 v30, v30, 23, v32
	v_or3_b32 v26, v27, v30, v26
	v_lshrrev_b32_e32 v32, 16, v26
.LBB817_254:
	s_or_b64 exec, exec, s[24:25]
.LBB817_255:
	s_or_b64 exec, exec, s[14:15]
.LBB817_256:
	s_or_b64 exec, exec, s[12:13]
	v_lshrrev_b16_e32 v26, 8, v28
	v_cmp_ne_u16_e32 vcc, 0, v26
	s_and_saveexec_b64 s[12:13], vcc
	s_cbranch_execz .LBB817_262
; %bb.257:
	s_movk_i32 s11, 0x80
	v_cmp_ne_u16_e32 vcc, s11, v26
	v_mov_b32_e32 v31, 0xffff8000
	s_and_saveexec_b64 s[14:15], vcc
	s_cbranch_execz .LBB817_261
; %bb.258:
	s_movk_i32 s11, 0x7f
	v_and_b32_e32 v27, 0x7f, v26
	v_cmp_ne_u32_e32 vcc, s11, v27
	v_mov_b32_e32 v31, 0x7f80
	s_and_saveexec_b64 s[24:25], vcc
	s_cbranch_execz .LBB817_260
; %bb.259:
	v_and_b32_e32 v33, 7, v26
	v_ffbh_u32_e32 v30, v33
	v_min_u32_e32 v35, 32, v30
	v_subrev_u32_e32 v30, 28, v35
	v_lshlrev_b64 v[30:31], v30, v[26:27]
	v_lshrrev_b32_e32 v34, 3, v27
	v_sub_u32_e32 v26, 29, v35
	v_and_b32_e32 v30, 7, v30
	v_cmp_gt_u32_e32 vcc, 8, v27
	v_cndmask_b32_e32 v26, v34, v26, vcc
	v_cndmask_b32_e32 v27, v33, v30, vcc
	v_lshlrev_b32_e32 v30, 16, v28
	v_bfrev_b32_e32 v31, 60
	v_lshlrev_b32_e32 v27, 20, v27
	v_and_b32_e32 v30, 0x80000000, v30
	v_lshl_add_u32 v26, v26, 23, v31
	v_or3_b32 v26, v30, v26, v27
	v_lshrrev_b32_e32 v31, 16, v26
.LBB817_260:
	s_or_b64 exec, exec, s[24:25]
.LBB817_261:
	s_or_b64 exec, exec, s[14:15]
.LBB817_262:
	s_or_b64 exec, exec, s[12:13]
	s_movk_i32 s11, 0xff
	v_and_b32_sdwa v30, v28, s11 dst_sel:DWORD dst_unused:UNUSED_PAD src0_sel:WORD_1 src1_sel:DWORD
	v_lshrrev_b32_e32 v26, 16, v28
	v_cmp_ne_u16_e32 vcc, 0, v30
	v_mov_b32_e32 v27, 0
	v_mov_b32_e32 v33, 0
	s_and_saveexec_b64 s[12:13], vcc
	s_cbranch_execz .LBB817_268
; %bb.263:
	s_movk_i32 s11, 0x80
	v_cmp_ne_u16_e32 vcc, s11, v30
	v_mov_b32_e32 v33, 0xffff8000
	s_and_saveexec_b64 s[14:15], vcc
	s_cbranch_execz .LBB817_267
; %bb.264:
	v_bfe_u32 v30, v28, 16, 7
	s_movk_i32 s11, 0x7f
	v_cmp_ne_u32_e32 vcc, s11, v30
	v_mov_b32_e32 v33, 0x7f80
	s_and_saveexec_b64 s[24:25], vcc
	s_cbranch_execz .LBB817_266
; %bb.265:
	v_and_b32_e32 v33, 7, v26
	v_ffbh_u32_e32 v34, v33
	v_min_u32_e32 v37, 32, v34
	v_subrev_u32_e32 v34, 28, v37
	v_lshlrev_b64 v[34:35], v34, v[26:27]
	v_and_b32_e32 v34, 7, v34
	v_cmp_gt_u32_e32 vcc, 8, v30
	v_lshrrev_b32_e32 v36, 3, v30
	v_sub_u32_e32 v26, 29, v37
	v_cndmask_b32_e32 v30, v33, v34, vcc
	v_mov_b32_e32 v33, 24
	v_cndmask_b32_e32 v26, v36, v26, vcc
	v_lshlrev_b32_sdwa v33, v33, v28 dst_sel:DWORD dst_unused:UNUSED_PAD src0_sel:DWORD src1_sel:WORD_1
	v_bfrev_b32_e32 v34, 60
	v_lshlrev_b32_e32 v30, 20, v30
	v_and_b32_e32 v33, 0x80000000, v33
	v_lshl_add_u32 v26, v26, 23, v34
	v_or3_b32 v26, v33, v26, v30
	v_lshrrev_b32_e32 v33, 16, v26
.LBB817_266:
	s_or_b64 exec, exec, s[24:25]
.LBB817_267:
	s_or_b64 exec, exec, s[14:15]
.LBB817_268:
	s_or_b64 exec, exec, s[12:13]
	s_mov_b32 s11, 0xffffff
	v_cmp_lt_u32_e32 vcc, s11, v28
	v_mov_b32_e32 v34, 0
	s_and_saveexec_b64 s[12:13], vcc
	s_cbranch_execz .LBB817_274
; %bb.269:
	v_lshrrev_b32_e32 v26, 24, v28
	s_movk_i32 s11, 0x80
	v_cmp_ne_u32_e32 vcc, s11, v26
	v_mov_b32_e32 v34, 0xffff8000
	s_and_saveexec_b64 s[14:15], vcc
	s_cbranch_execz .LBB817_273
; %bb.270:
	v_bfe_u32 v30, v28, 24, 7
	s_movk_i32 s11, 0x7f
	v_cmp_ne_u32_e32 vcc, s11, v30
	v_mov_b32_e32 v34, 0x7f80
	s_and_saveexec_b64 s[24:25], vcc
	s_cbranch_execz .LBB817_272
; %bb.271:
	v_and_b32_e32 v36, 7, v26
	v_ffbh_u32_e32 v34, v36
	v_min_u32_e32 v38, 32, v34
	v_subrev_u32_e32 v34, 28, v38
	v_lshlrev_b64 v[34:35], v34, v[26:27]
	v_lshrrev_b32_e32 v37, 3, v30
	v_sub_u32_e32 v35, 29, v38
	v_and_b32_e32 v34, 7, v34
	v_cmp_gt_u32_e32 vcc, 8, v30
	v_cndmask_b32_e32 v30, v37, v35, vcc
	v_cndmask_b32_e32 v34, v36, v34, vcc
	v_lshlrev_b32_e32 v26, 24, v26
	v_bfrev_b32_e32 v35, 60
	v_lshlrev_b32_e32 v34, 20, v34
	v_and_b32_e32 v26, 0x80000000, v26
	v_lshl_add_u32 v30, v30, 23, v35
	v_or3_b32 v26, v26, v30, v34
	v_lshrrev_b32_e32 v34, 16, v26
.LBB817_272:
	s_or_b64 exec, exec, s[24:25]
.LBB817_273:
	s_or_b64 exec, exec, s[14:15]
.LBB817_274:
	s_or_b64 exec, exec, s[12:13]
	v_mov_b32_e32 v35, 0
	v_mov_b32_e32 v26, v29
	v_cmp_ne_u16_sdwa s[14:15], v29, v35 src0_sel:BYTE_0 src1_sel:DWORD
	v_mov_b32_e32 v36, 0
	s_and_saveexec_b64 s[12:13], s[14:15]
	s_cbranch_execz .LBB817_280
; %bb.275:
	s_movk_i32 s11, 0x80
	v_cmp_ne_u16_sdwa s[24:25], v29, s11 src0_sel:BYTE_0 src1_sel:DWORD
	v_mov_b32_e32 v36, 0xffff8000
	s_and_saveexec_b64 s[14:15], s[24:25]
	s_cbranch_execz .LBB817_279
; %bb.276:
	s_movk_i32 s11, 0x7f
	v_and_b32_e32 v30, 0x7f, v29
	v_cmp_ne_u32_e32 vcc, s11, v30
	v_mov_b32_e32 v36, 0x7f80
	s_and_saveexec_b64 s[24:25], vcc
	s_cbranch_execz .LBB817_278
; %bb.277:
	v_and_b32_e32 v36, 7, v29
	v_ffbh_u32_e32 v36, v36
	v_min_u32_e32 v36, 32, v36
	v_lshrrev_b32_e32 v37, 3, v30
	v_subrev_u32_e32 v38, 28, v36
	v_sub_u32_e32 v36, 29, v36
	v_cmp_gt_u32_e32 vcc, 8, v30
	v_cndmask_b32_e32 v30, v37, v36, vcc
	v_cndmask_b32_e32 v36, 0, v38, vcc
	v_lshlrev_b64 v[36:37], v36, v[26:27]
	v_lshlrev_b32_e32 v27, 20, v36
	v_lshlrev_b32_e32 v36, 24, v26
	v_bfrev_b32_e32 v37, 60
	v_and_b32_e32 v27, 0x700000, v27
	v_and_b32_e32 v36, 0x80000000, v36
	v_lshl_add_u32 v30, v30, 23, v37
	v_or3_b32 v27, v36, v30, v27
	v_lshrrev_b32_e32 v36, 16, v27
.LBB817_278:
	s_or_b64 exec, exec, s[24:25]
.LBB817_279:
	s_or_b64 exec, exec, s[14:15]
.LBB817_280:
	s_or_b64 exec, exec, s[12:13]
	v_lshrrev_b16_e32 v30, 8, v26
	v_cmp_ne_u16_e32 vcc, 0, v30
	s_and_saveexec_b64 s[12:13], vcc
	s_cbranch_execz .LBB817_286
; %bb.281:
	s_movk_i32 s11, 0x80
	v_cmp_ne_u16_e32 vcc, s11, v30
	v_mov_b32_e32 v35, 0xffff8000
	s_and_saveexec_b64 s[14:15], vcc
	s_cbranch_execz .LBB817_285
; %bb.282:
	s_movk_i32 s11, 0x7f
	v_and_b32_e32 v27, 0x7f, v30
	v_cmp_ne_u32_e32 vcc, s11, v27
	v_mov_b32_e32 v35, 0x7f80
	s_and_saveexec_b64 s[24:25], vcc
	s_cbranch_execz .LBB817_284
; %bb.283:
	v_and_b32_e32 v35, 7, v30
	v_ffbh_u32_e32 v38, v35
	v_min_u32_e32 v40, 32, v38
	v_subrev_u32_e32 v38, 28, v40
	v_lshlrev_b64 v[38:39], v38, v[30:31]
	v_lshrrev_b32_e32 v37, 3, v27
	v_sub_u32_e32 v30, 29, v40
	v_and_b32_e32 v38, 7, v38
	v_cmp_gt_u32_e32 vcc, 8, v27
	v_cndmask_b32_e32 v27, v37, v30, vcc
	v_cndmask_b32_e32 v30, v35, v38, vcc
	v_lshlrev_b32_e32 v26, 16, v26
	v_bfrev_b32_e32 v35, 60
	v_lshlrev_b32_e32 v30, 20, v30
	v_and_b32_e32 v26, 0x80000000, v26
	v_lshl_add_u32 v27, v27, 23, v35
	v_or3_b32 v26, v26, v27, v30
	v_lshrrev_b32_e32 v35, 16, v26
.LBB817_284:
	s_or_b64 exec, exec, s[24:25]
.LBB817_285:
	s_or_b64 exec, exec, s[14:15]
.LBB817_286:
	s_or_b64 exec, exec, s[12:13]
	s_movk_i32 s11, 0xff
	v_and_b32_sdwa v37, v29, s11 dst_sel:DWORD dst_unused:UNUSED_PAD src0_sel:WORD_1 src1_sel:DWORD
	v_lshrrev_b32_e32 v26, 16, v29
	v_cmp_ne_u16_e32 vcc, 0, v37
	v_mov_b32_e32 v27, 0
	v_mov_b32_e32 v30, 0
	s_and_saveexec_b64 s[12:13], vcc
	s_cbranch_execz .LBB817_292
; %bb.287:
	s_movk_i32 s11, 0x80
	v_cmp_ne_u16_e32 vcc, s11, v37
	v_mov_b32_e32 v30, 0xffff8000
	s_and_saveexec_b64 s[14:15], vcc
	s_cbranch_execz .LBB817_291
; %bb.288:
	v_bfe_u32 v37, v29, 16, 7
	s_movk_i32 s11, 0x7f
	v_cmp_ne_u32_e32 vcc, s11, v37
	v_mov_b32_e32 v30, 0x7f80
	s_and_saveexec_b64 s[24:25], vcc
	s_cbranch_execz .LBB817_290
; %bb.289:
	v_and_b32_e32 v30, 7, v26
	v_ffbh_u32_e32 v38, v30
	v_min_u32_e32 v41, 32, v38
	v_subrev_u32_e32 v38, 28, v41
	v_lshlrev_b64 v[38:39], v38, v[26:27]
	v_lshrrev_b32_e32 v40, 3, v37
	v_sub_u32_e32 v26, 29, v41
	v_and_b32_e32 v38, 7, v38
	v_cmp_gt_u32_e32 vcc, 8, v37
	v_mov_b32_e32 v37, 24
	v_cndmask_b32_e32 v26, v40, v26, vcc
	v_cndmask_b32_e32 v30, v30, v38, vcc
	v_lshlrev_b32_sdwa v37, v37, v29 dst_sel:DWORD dst_unused:UNUSED_PAD src0_sel:DWORD src1_sel:WORD_1
	v_bfrev_b32_e32 v38, 60
	v_lshlrev_b32_e32 v30, 20, v30
	v_and_b32_e32 v37, 0x80000000, v37
	v_lshl_add_u32 v26, v26, 23, v38
	v_or3_b32 v26, v37, v26, v30
	v_lshrrev_b32_e32 v30, 16, v26
.LBB817_290:
	s_or_b64 exec, exec, s[24:25]
.LBB817_291:
	s_or_b64 exec, exec, s[14:15]
.LBB817_292:
	s_or_b64 exec, exec, s[12:13]
	s_mov_b32 s12, -1
	s_mov_b32 s13, 0xffffff
	v_cmp_lt_u64_e32 vcc, s[12:13], v[28:29]
	s_and_saveexec_b64 s[12:13], vcc
	s_cbranch_execz .LBB817_298
; %bb.293:
	v_lshrrev_b32_e32 v26, 24, v29
	s_movk_i32 s11, 0x80
	v_cmp_ne_u32_e32 vcc, s11, v26
	v_mov_b32_e32 v27, 0xffff8000
	s_and_saveexec_b64 s[14:15], vcc
	s_cbranch_execz .LBB817_297
; %bb.294:
	v_bfe_u32 v28, v29, 24, 7
	s_movk_i32 s11, 0x7f
	v_cmp_ne_u32_e32 vcc, s11, v28
	v_mov_b32_e32 v27, 0x7f80
	s_and_saveexec_b64 s[24:25], vcc
	s_cbranch_execz .LBB817_296
; %bb.295:
	v_and_b32_e32 v27, 7, v26
	v_ffbh_u32_e32 v37, v27
	v_min_u32_e32 v37, 32, v37
	v_subrev_u32_e32 v38, 28, v37
	v_lshlrev_b64 v[38:39], v38, v[26:27]
	v_lshrrev_b32_e32 v29, 3, v28
	v_sub_u32_e32 v37, 29, v37
	v_and_b32_e32 v38, 7, v38
	v_cmp_gt_u32_e32 vcc, 8, v28
	v_cndmask_b32_e32 v28, v29, v37, vcc
	v_cndmask_b32_e32 v27, v27, v38, vcc
	v_lshlrev_b32_e32 v26, 24, v26
	v_bfrev_b32_e32 v29, 60
	v_lshlrev_b32_e32 v27, 20, v27
	v_and_b32_e32 v26, 0x80000000, v26
	v_lshl_add_u32 v28, v28, 23, v29
	v_or3_b32 v26, v26, v28, v27
	v_lshrrev_b32_e32 v27, 16, v26
.LBB817_296:
	s_or_b64 exec, exec, s[24:25]
.LBB817_297:
	s_or_b64 exec, exec, s[14:15]
.LBB817_298:
	s_or_b64 exec, exec, s[12:13]
	s_mov_b32 s11, 0x5040100
	v_perm_b32 v29, v34, v33, s11
	v_perm_b32 v28, v31, v32, s11
	;; [unrolled: 1-line block ×4, first 2 shown]
	v_mfma_f32_4x4x4bf16_1k a[0:3], v[2:3], v[28:29], a[0:3] cbsz:4 abid:5
	v_mov_b32_e32 v29, 0
	v_mfma_f32_4x4x4bf16_1k a[0:3], v[4:5], v[26:27], a[0:3] cbsz:4 abid:5
	v_cmp_ne_u16_sdwa s[14:15], v22, v29 src0_sel:BYTE_0 src1_sel:DWORD
	v_mov_b32_e32 v30, 0
	s_and_saveexec_b64 s[12:13], s[14:15]
	s_cbranch_execz .LBB817_304
; %bb.299:
	s_movk_i32 s11, 0x80
	v_cmp_ne_u16_sdwa s[24:25], v22, s11 src0_sel:BYTE_0 src1_sel:DWORD
	v_mov_b32_e32 v30, 0xffff8000
	s_and_saveexec_b64 s[14:15], s[24:25]
	s_cbranch_execz .LBB817_303
; %bb.300:
	s_movk_i32 s11, 0x7f
	v_and_b32_e32 v26, 0x7f, v22
	v_cmp_ne_u32_e32 vcc, s11, v26
	v_mov_b32_e32 v30, 0x7f80
	s_and_saveexec_b64 s[24:25], vcc
	s_cbranch_execz .LBB817_302
; %bb.301:
	v_and_b32_e32 v27, 7, v22
	v_ffbh_u32_e32 v27, v27
	v_min_u32_e32 v27, 32, v27
	v_subrev_u32_e32 v30, 28, v27
	v_cmp_gt_u32_e32 vcc, 8, v26
	v_lshrrev_b32_e32 v28, 3, v26
	v_sub_u32_e32 v27, 29, v27
	v_cndmask_b32_e32 v26, 0, v30, vcc
	v_cndmask_b32_e32 v28, v28, v27, vcc
	v_lshlrev_b64 v[26:27], v26, v[22:23]
	v_lshlrev_b32_e32 v26, 20, v26
	v_lshlrev_b32_e32 v27, 24, v22
	v_bfrev_b32_e32 v30, 60
	v_and_b32_e32 v26, 0x700000, v26
	v_and_b32_e32 v27, 0x80000000, v27
	v_lshl_add_u32 v28, v28, 23, v30
	v_or3_b32 v26, v27, v28, v26
	v_lshrrev_b32_e32 v30, 16, v26
.LBB817_302:
	s_or_b64 exec, exec, s[24:25]
.LBB817_303:
	s_or_b64 exec, exec, s[14:15]
.LBB817_304:
	s_or_b64 exec, exec, s[12:13]
	v_lshrrev_b16_e32 v26, 8, v22
	v_cmp_ne_u16_e32 vcc, 0, v26
	s_and_saveexec_b64 s[12:13], vcc
	s_cbranch_execz .LBB817_310
; %bb.305:
	s_movk_i32 s11, 0x80
	v_cmp_ne_u16_e32 vcc, s11, v26
	v_mov_b32_e32 v29, 0xffff8000
	s_and_saveexec_b64 s[14:15], vcc
	s_cbranch_execz .LBB817_309
; %bb.306:
	s_movk_i32 s11, 0x7f
	v_and_b32_e32 v27, 0x7f, v26
	v_cmp_ne_u32_e32 vcc, s11, v27
	v_mov_b32_e32 v29, 0x7f80
	s_and_saveexec_b64 s[24:25], vcc
	s_cbranch_execz .LBB817_308
; %bb.307:
	v_and_b32_e32 v31, 7, v26
	v_ffbh_u32_e32 v28, v31
	v_min_u32_e32 v33, 32, v28
	v_subrev_u32_e32 v28, 28, v33
	v_lshlrev_b64 v[28:29], v28, v[26:27]
	v_lshrrev_b32_e32 v32, 3, v27
	v_sub_u32_e32 v26, 29, v33
	v_and_b32_e32 v28, 7, v28
	v_cmp_gt_u32_e32 vcc, 8, v27
	v_cndmask_b32_e32 v26, v32, v26, vcc
	v_cndmask_b32_e32 v27, v31, v28, vcc
	v_lshlrev_b32_e32 v28, 16, v22
	v_bfrev_b32_e32 v29, 60
	v_lshlrev_b32_e32 v27, 20, v27
	v_and_b32_e32 v28, 0x80000000, v28
	v_lshl_add_u32 v26, v26, 23, v29
	v_or3_b32 v26, v28, v26, v27
	v_lshrrev_b32_e32 v29, 16, v26
.LBB817_308:
	s_or_b64 exec, exec, s[24:25]
.LBB817_309:
	s_or_b64 exec, exec, s[14:15]
.LBB817_310:
	s_or_b64 exec, exec, s[12:13]
	s_movk_i32 s11, 0xff
	v_and_b32_sdwa v28, v22, s11 dst_sel:DWORD dst_unused:UNUSED_PAD src0_sel:WORD_1 src1_sel:DWORD
	v_lshrrev_b32_e32 v26, 16, v22
	v_cmp_ne_u16_e32 vcc, 0, v28
	v_mov_b32_e32 v27, 0
	v_mov_b32_e32 v31, 0
	s_and_saveexec_b64 s[12:13], vcc
	s_cbranch_execz .LBB817_316
; %bb.311:
	s_movk_i32 s11, 0x80
	v_cmp_ne_u16_e32 vcc, s11, v28
	v_mov_b32_e32 v31, 0xffff8000
	s_and_saveexec_b64 s[14:15], vcc
	s_cbranch_execz .LBB817_315
; %bb.312:
	v_bfe_u32 v28, v22, 16, 7
	s_movk_i32 s11, 0x7f
	v_cmp_ne_u32_e32 vcc, s11, v28
	v_mov_b32_e32 v31, 0x7f80
	s_and_saveexec_b64 s[24:25], vcc
	s_cbranch_execz .LBB817_314
; %bb.313:
	v_and_b32_e32 v31, 7, v26
	v_ffbh_u32_e32 v32, v31
	v_min_u32_e32 v35, 32, v32
	v_subrev_u32_e32 v32, 28, v35
	v_lshlrev_b64 v[32:33], v32, v[26:27]
	v_and_b32_e32 v32, 7, v32
	v_cmp_gt_u32_e32 vcc, 8, v28
	v_lshrrev_b32_e32 v34, 3, v28
	v_sub_u32_e32 v26, 29, v35
	v_cndmask_b32_e32 v28, v31, v32, vcc
	v_mov_b32_e32 v31, 24
	v_cndmask_b32_e32 v26, v34, v26, vcc
	v_lshlrev_b32_sdwa v31, v31, v22 dst_sel:DWORD dst_unused:UNUSED_PAD src0_sel:DWORD src1_sel:WORD_1
	v_bfrev_b32_e32 v32, 60
	v_lshlrev_b32_e32 v28, 20, v28
	v_and_b32_e32 v31, 0x80000000, v31
	v_lshl_add_u32 v26, v26, 23, v32
	v_or3_b32 v26, v31, v26, v28
	v_lshrrev_b32_e32 v31, 16, v26
.LBB817_314:
	s_or_b64 exec, exec, s[24:25]
.LBB817_315:
	s_or_b64 exec, exec, s[14:15]
.LBB817_316:
	s_or_b64 exec, exec, s[12:13]
	s_mov_b32 s11, 0xffffff
	v_cmp_lt_u32_e32 vcc, s11, v22
	v_mov_b32_e32 v32, 0
	s_and_saveexec_b64 s[12:13], vcc
	s_cbranch_execz .LBB817_322
; %bb.317:
	v_lshrrev_b32_e32 v26, 24, v22
	s_movk_i32 s11, 0x80
	v_cmp_ne_u32_e32 vcc, s11, v26
	v_mov_b32_e32 v32, 0xffff8000
	s_and_saveexec_b64 s[14:15], vcc
	s_cbranch_execz .LBB817_321
; %bb.318:
	v_bfe_u32 v28, v22, 24, 7
	s_movk_i32 s11, 0x7f
	v_cmp_ne_u32_e32 vcc, s11, v28
	v_mov_b32_e32 v32, 0x7f80
	s_and_saveexec_b64 s[24:25], vcc
	s_cbranch_execz .LBB817_320
; %bb.319:
	v_and_b32_e32 v34, 7, v26
	v_ffbh_u32_e32 v32, v34
	v_min_u32_e32 v36, 32, v32
	v_subrev_u32_e32 v32, 28, v36
	v_lshlrev_b64 v[32:33], v32, v[26:27]
	v_lshrrev_b32_e32 v35, 3, v28
	v_sub_u32_e32 v33, 29, v36
	v_and_b32_e32 v32, 7, v32
	v_cmp_gt_u32_e32 vcc, 8, v28
	v_cndmask_b32_e32 v28, v35, v33, vcc
	v_cndmask_b32_e32 v32, v34, v32, vcc
	v_lshlrev_b32_e32 v26, 24, v26
	v_bfrev_b32_e32 v33, 60
	v_lshlrev_b32_e32 v32, 20, v32
	v_and_b32_e32 v26, 0x80000000, v26
	v_lshl_add_u32 v28, v28, 23, v33
	v_or3_b32 v26, v26, v28, v32
	v_lshrrev_b32_e32 v32, 16, v26
.LBB817_320:
	s_or_b64 exec, exec, s[24:25]
.LBB817_321:
	s_or_b64 exec, exec, s[14:15]
.LBB817_322:
	s_or_b64 exec, exec, s[12:13]
	v_mov_b32_e32 v33, 0
	v_mov_b32_e32 v26, v23
	v_cmp_ne_u16_sdwa s[14:15], v23, v33 src0_sel:BYTE_0 src1_sel:DWORD
	v_mov_b32_e32 v34, 0
	s_and_saveexec_b64 s[12:13], s[14:15]
	s_cbranch_execz .LBB817_328
; %bb.323:
	s_movk_i32 s11, 0x80
	v_cmp_ne_u16_sdwa s[24:25], v23, s11 src0_sel:BYTE_0 src1_sel:DWORD
	v_mov_b32_e32 v34, 0xffff8000
	s_and_saveexec_b64 s[14:15], s[24:25]
	s_cbranch_execz .LBB817_327
; %bb.324:
	s_movk_i32 s11, 0x7f
	v_and_b32_e32 v28, 0x7f, v23
	v_cmp_ne_u32_e32 vcc, s11, v28
	v_mov_b32_e32 v34, 0x7f80
	s_and_saveexec_b64 s[24:25], vcc
	s_cbranch_execz .LBB817_326
; %bb.325:
	v_and_b32_e32 v34, 7, v23
	v_ffbh_u32_e32 v34, v34
	v_min_u32_e32 v34, 32, v34
	v_lshrrev_b32_e32 v35, 3, v28
	v_subrev_u32_e32 v36, 28, v34
	v_sub_u32_e32 v34, 29, v34
	v_cmp_gt_u32_e32 vcc, 8, v28
	v_cndmask_b32_e32 v28, v35, v34, vcc
	v_cndmask_b32_e32 v34, 0, v36, vcc
	v_lshlrev_b64 v[34:35], v34, v[26:27]
	v_lshlrev_b32_e32 v27, 20, v34
	v_lshlrev_b32_e32 v34, 24, v26
	v_bfrev_b32_e32 v35, 60
	v_and_b32_e32 v27, 0x700000, v27
	v_and_b32_e32 v34, 0x80000000, v34
	v_lshl_add_u32 v28, v28, 23, v35
	v_or3_b32 v27, v34, v28, v27
	v_lshrrev_b32_e32 v34, 16, v27
.LBB817_326:
	s_or_b64 exec, exec, s[24:25]
.LBB817_327:
	s_or_b64 exec, exec, s[14:15]
.LBB817_328:
	s_or_b64 exec, exec, s[12:13]
	v_lshrrev_b16_e32 v28, 8, v26
	v_cmp_ne_u16_e32 vcc, 0, v28
	s_and_saveexec_b64 s[12:13], vcc
	s_cbranch_execz .LBB817_334
; %bb.329:
	s_movk_i32 s11, 0x80
	v_cmp_ne_u16_e32 vcc, s11, v28
	v_mov_b32_e32 v33, 0xffff8000
	s_and_saveexec_b64 s[14:15], vcc
	s_cbranch_execz .LBB817_333
; %bb.330:
	s_movk_i32 s11, 0x7f
	v_and_b32_e32 v27, 0x7f, v28
	v_cmp_ne_u32_e32 vcc, s11, v27
	v_mov_b32_e32 v33, 0x7f80
	s_and_saveexec_b64 s[24:25], vcc
	s_cbranch_execz .LBB817_332
; %bb.331:
	v_and_b32_e32 v33, 7, v28
	v_ffbh_u32_e32 v36, v33
	v_min_u32_e32 v38, 32, v36
	v_subrev_u32_e32 v36, 28, v38
	v_lshlrev_b64 v[36:37], v36, v[28:29]
	v_lshrrev_b32_e32 v35, 3, v27
	v_sub_u32_e32 v28, 29, v38
	v_and_b32_e32 v36, 7, v36
	v_cmp_gt_u32_e32 vcc, 8, v27
	v_cndmask_b32_e32 v27, v35, v28, vcc
	v_cndmask_b32_e32 v28, v33, v36, vcc
	v_lshlrev_b32_e32 v26, 16, v26
	v_bfrev_b32_e32 v33, 60
	v_lshlrev_b32_e32 v28, 20, v28
	v_and_b32_e32 v26, 0x80000000, v26
	v_lshl_add_u32 v27, v27, 23, v33
	v_or3_b32 v26, v26, v27, v28
	v_lshrrev_b32_e32 v33, 16, v26
.LBB817_332:
	s_or_b64 exec, exec, s[24:25]
.LBB817_333:
	s_or_b64 exec, exec, s[14:15]
.LBB817_334:
	s_or_b64 exec, exec, s[12:13]
	s_movk_i32 s11, 0xff
	v_and_b32_sdwa v35, v23, s11 dst_sel:DWORD dst_unused:UNUSED_PAD src0_sel:WORD_1 src1_sel:DWORD
	v_lshrrev_b32_e32 v26, 16, v23
	v_cmp_ne_u16_e32 vcc, 0, v35
	v_mov_b32_e32 v27, 0
	v_mov_b32_e32 v28, 0
	s_and_saveexec_b64 s[12:13], vcc
	s_cbranch_execz .LBB817_340
; %bb.335:
	s_movk_i32 s11, 0x80
	v_cmp_ne_u16_e32 vcc, s11, v35
	v_mov_b32_e32 v28, 0xffff8000
	s_and_saveexec_b64 s[14:15], vcc
	s_cbranch_execz .LBB817_339
; %bb.336:
	v_bfe_u32 v35, v23, 16, 7
	s_movk_i32 s11, 0x7f
	v_cmp_ne_u32_e32 vcc, s11, v35
	v_mov_b32_e32 v28, 0x7f80
	s_and_saveexec_b64 s[24:25], vcc
	s_cbranch_execz .LBB817_338
; %bb.337:
	v_and_b32_e32 v28, 7, v26
	v_ffbh_u32_e32 v36, v28
	v_min_u32_e32 v39, 32, v36
	v_subrev_u32_e32 v36, 28, v39
	v_lshlrev_b64 v[36:37], v36, v[26:27]
	v_lshrrev_b32_e32 v38, 3, v35
	v_sub_u32_e32 v26, 29, v39
	v_and_b32_e32 v36, 7, v36
	v_cmp_gt_u32_e32 vcc, 8, v35
	v_mov_b32_e32 v35, 24
	v_cndmask_b32_e32 v26, v38, v26, vcc
	v_cndmask_b32_e32 v28, v28, v36, vcc
	v_lshlrev_b32_sdwa v35, v35, v23 dst_sel:DWORD dst_unused:UNUSED_PAD src0_sel:DWORD src1_sel:WORD_1
	v_bfrev_b32_e32 v36, 60
	v_lshlrev_b32_e32 v28, 20, v28
	v_and_b32_e32 v35, 0x80000000, v35
	v_lshl_add_u32 v26, v26, 23, v36
	v_or3_b32 v26, v35, v26, v28
	v_lshrrev_b32_e32 v28, 16, v26
.LBB817_338:
	s_or_b64 exec, exec, s[24:25]
.LBB817_339:
	s_or_b64 exec, exec, s[14:15]
.LBB817_340:
	s_or_b64 exec, exec, s[12:13]
	s_mov_b32 s12, -1
	s_mov_b32 s13, 0xffffff
	v_cmp_lt_u64_e32 vcc, s[12:13], v[22:23]
	s_and_saveexec_b64 s[12:13], vcc
	s_cbranch_execz .LBB817_346
; %bb.341:
	v_lshrrev_b32_e32 v22, 24, v23
	s_movk_i32 s11, 0x80
	v_cmp_ne_u32_e32 vcc, s11, v22
	v_mov_b32_e32 v27, 0xffff8000
	s_and_saveexec_b64 s[14:15], vcc
	s_cbranch_execz .LBB817_345
; %bb.342:
	v_bfe_u32 v23, v23, 24, 7
	s_movk_i32 s11, 0x7f
	v_cmp_ne_u32_e32 vcc, s11, v23
	v_mov_b32_e32 v27, 0x7f80
	s_and_saveexec_b64 s[24:25], vcc
	s_cbranch_execz .LBB817_344
; %bb.343:
	v_and_b32_e32 v35, 7, v22
	v_ffbh_u32_e32 v26, v35
	v_min_u32_e32 v37, 32, v26
	v_subrev_u32_e32 v26, 28, v37
	v_lshlrev_b64 v[26:27], v26, v[22:23]
	v_lshrrev_b32_e32 v36, 3, v23
	v_sub_u32_e32 v27, 29, v37
	v_and_b32_e32 v26, 7, v26
	v_cmp_gt_u32_e32 vcc, 8, v23
	v_cndmask_b32_e32 v23, v36, v27, vcc
	v_cndmask_b32_e32 v26, v35, v26, vcc
	v_lshlrev_b32_e32 v22, 24, v22
	v_bfrev_b32_e32 v27, 60
	v_lshlrev_b32_e32 v26, 20, v26
	v_and_b32_e32 v22, 0x80000000, v22
	v_lshl_add_u32 v23, v23, 23, v27
	v_or3_b32 v22, v22, v23, v26
	v_lshrrev_b32_e32 v27, 16, v22
.LBB817_344:
	s_or_b64 exec, exec, s[24:25]
.LBB817_345:
	s_or_b64 exec, exec, s[14:15]
.LBB817_346:
	s_or_b64 exec, exec, s[12:13]
	s_mov_b32 s11, 0x5040100
	v_perm_b32 v23, v32, v31, s11
	v_perm_b32 v22, v29, v30, s11
	;; [unrolled: 1-line block ×4, first 2 shown]
	v_mfma_f32_4x4x4bf16_1k a[0:3], v[2:3], v[22:23], a[0:3] cbsz:4 abid:6
	v_mov_b32_e32 v28, 0
	v_mfma_f32_4x4x4bf16_1k a[0:3], v[4:5], v[26:27], a[0:3] cbsz:4 abid:6
	v_mov_b32_e32 v27, 0
	v_cmp_ne_u16_sdwa s[14:15], v24, v27 src0_sel:BYTE_0 src1_sel:DWORD
	s_and_saveexec_b64 s[12:13], s[14:15]
	s_cbranch_execz .LBB817_352
; %bb.347:
	s_movk_i32 s11, 0x80
	v_cmp_ne_u16_sdwa s[24:25], v24, s11 src0_sel:BYTE_0 src1_sel:DWORD
	v_mov_b32_e32 v28, 0xffff8000
	s_and_saveexec_b64 s[14:15], s[24:25]
	s_cbranch_execz .LBB817_351
; %bb.348:
	s_movk_i32 s11, 0x7f
	v_and_b32_e32 v22, 0x7f, v24
	v_cmp_ne_u32_e32 vcc, s11, v22
	v_mov_b32_e32 v28, 0x7f80
	s_and_saveexec_b64 s[24:25], vcc
	s_cbranch_execz .LBB817_350
; %bb.349:
	v_and_b32_e32 v23, 7, v24
	v_ffbh_u32_e32 v23, v23
	v_min_u32_e32 v23, 32, v23
	v_subrev_u32_e32 v28, 28, v23
	v_cmp_gt_u32_e32 vcc, 8, v22
	v_lshrrev_b32_e32 v26, 3, v22
	v_sub_u32_e32 v23, 29, v23
	v_cndmask_b32_e32 v22, 0, v28, vcc
	v_cndmask_b32_e32 v26, v26, v23, vcc
	v_lshlrev_b64 v[22:23], v22, v[24:25]
	v_lshlrev_b32_e32 v22, 20, v22
	v_lshlrev_b32_e32 v23, 24, v24
	v_bfrev_b32_e32 v28, 60
	v_and_b32_e32 v22, 0x700000, v22
	v_and_b32_e32 v23, 0x80000000, v23
	v_lshl_add_u32 v26, v26, 23, v28
	v_or3_b32 v22, v23, v26, v22
	v_lshrrev_b32_e32 v28, 16, v22
.LBB817_350:
	s_or_b64 exec, exec, s[24:25]
.LBB817_351:
	s_or_b64 exec, exec, s[14:15]
.LBB817_352:
	s_or_b64 exec, exec, s[12:13]
	v_lshrrev_b16_e32 v22, 8, v24
	v_cmp_ne_u16_e32 vcc, 0, v22
	s_and_saveexec_b64 s[12:13], vcc
	s_cbranch_execz .LBB817_358
; %bb.353:
	s_movk_i32 s11, 0x80
	v_cmp_ne_u16_e32 vcc, s11, v22
	v_mov_b32_e32 v27, 0xffff8000
	s_and_saveexec_b64 s[14:15], vcc
	s_cbranch_execz .LBB817_357
; %bb.354:
	s_movk_i32 s11, 0x7f
	v_and_b32_e32 v23, 0x7f, v22
	v_cmp_ne_u32_e32 vcc, s11, v23
	v_mov_b32_e32 v27, 0x7f80
	s_and_saveexec_b64 s[24:25], vcc
	s_cbranch_execz .LBB817_356
; %bb.355:
	v_and_b32_e32 v29, 7, v22
	v_ffbh_u32_e32 v26, v29
	v_min_u32_e32 v31, 32, v26
	v_subrev_u32_e32 v26, 28, v31
	v_lshlrev_b64 v[26:27], v26, v[22:23]
	v_lshrrev_b32_e32 v30, 3, v23
	v_sub_u32_e32 v22, 29, v31
	v_and_b32_e32 v26, 7, v26
	v_cmp_gt_u32_e32 vcc, 8, v23
	v_cndmask_b32_e32 v22, v30, v22, vcc
	v_cndmask_b32_e32 v23, v29, v26, vcc
	v_lshlrev_b32_e32 v26, 16, v24
	v_bfrev_b32_e32 v27, 60
	v_lshlrev_b32_e32 v23, 20, v23
	v_and_b32_e32 v26, 0x80000000, v26
	v_lshl_add_u32 v22, v22, 23, v27
	v_or3_b32 v22, v26, v22, v23
	v_lshrrev_b32_e32 v27, 16, v22
.LBB817_356:
	s_or_b64 exec, exec, s[24:25]
.LBB817_357:
	s_or_b64 exec, exec, s[14:15]
.LBB817_358:
	s_or_b64 exec, exec, s[12:13]
	s_movk_i32 s11, 0xff
	v_and_b32_sdwa v26, v24, s11 dst_sel:DWORD dst_unused:UNUSED_PAD src0_sel:WORD_1 src1_sel:DWORD
	v_lshrrev_b32_e32 v22, 16, v24
	v_cmp_ne_u16_e32 vcc, 0, v26
	v_mov_b32_e32 v23, 0
	v_mov_b32_e32 v29, 0
	s_and_saveexec_b64 s[12:13], vcc
	s_cbranch_execz .LBB817_364
; %bb.359:
	s_movk_i32 s11, 0x80
	v_cmp_ne_u16_e32 vcc, s11, v26
	v_mov_b32_e32 v29, 0xffff8000
	s_and_saveexec_b64 s[14:15], vcc
	s_cbranch_execz .LBB817_363
; %bb.360:
	v_bfe_u32 v26, v24, 16, 7
	s_movk_i32 s11, 0x7f
	v_cmp_ne_u32_e32 vcc, s11, v26
	v_mov_b32_e32 v29, 0x7f80
	s_and_saveexec_b64 s[24:25], vcc
	s_cbranch_execz .LBB817_362
; %bb.361:
	v_and_b32_e32 v29, 7, v22
	v_ffbh_u32_e32 v30, v29
	v_min_u32_e32 v33, 32, v30
	v_subrev_u32_e32 v30, 28, v33
	v_lshlrev_b64 v[30:31], v30, v[22:23]
	v_and_b32_e32 v30, 7, v30
	v_cmp_gt_u32_e32 vcc, 8, v26
	v_lshrrev_b32_e32 v32, 3, v26
	v_sub_u32_e32 v22, 29, v33
	v_cndmask_b32_e32 v26, v29, v30, vcc
	v_mov_b32_e32 v29, 24
	v_cndmask_b32_e32 v22, v32, v22, vcc
	v_lshlrev_b32_sdwa v29, v29, v24 dst_sel:DWORD dst_unused:UNUSED_PAD src0_sel:DWORD src1_sel:WORD_1
	v_bfrev_b32_e32 v30, 60
	v_lshlrev_b32_e32 v26, 20, v26
	v_and_b32_e32 v29, 0x80000000, v29
	v_lshl_add_u32 v22, v22, 23, v30
	v_or3_b32 v22, v29, v22, v26
	v_lshrrev_b32_e32 v29, 16, v22
.LBB817_362:
	s_or_b64 exec, exec, s[24:25]
.LBB817_363:
	s_or_b64 exec, exec, s[14:15]
.LBB817_364:
	s_or_b64 exec, exec, s[12:13]
	s_mov_b32 s11, 0xffffff
	v_cmp_lt_u32_e32 vcc, s11, v24
	v_mov_b32_e32 v30, 0
	s_and_saveexec_b64 s[12:13], vcc
	s_cbranch_execz .LBB817_370
; %bb.365:
	v_lshrrev_b32_e32 v22, 24, v24
	s_movk_i32 s11, 0x80
	v_cmp_ne_u32_e32 vcc, s11, v22
	v_mov_b32_e32 v30, 0xffff8000
	s_and_saveexec_b64 s[14:15], vcc
	s_cbranch_execz .LBB817_369
; %bb.366:
	v_bfe_u32 v26, v24, 24, 7
	s_movk_i32 s11, 0x7f
	v_cmp_ne_u32_e32 vcc, s11, v26
	v_mov_b32_e32 v30, 0x7f80
	s_and_saveexec_b64 s[24:25], vcc
	s_cbranch_execz .LBB817_368
; %bb.367:
	v_and_b32_e32 v32, 7, v22
	v_ffbh_u32_e32 v30, v32
	v_min_u32_e32 v34, 32, v30
	v_subrev_u32_e32 v30, 28, v34
	v_lshlrev_b64 v[30:31], v30, v[22:23]
	v_lshrrev_b32_e32 v33, 3, v26
	v_sub_u32_e32 v31, 29, v34
	v_and_b32_e32 v30, 7, v30
	v_cmp_gt_u32_e32 vcc, 8, v26
	v_cndmask_b32_e32 v26, v33, v31, vcc
	v_cndmask_b32_e32 v30, v32, v30, vcc
	v_lshlrev_b32_e32 v22, 24, v22
	v_bfrev_b32_e32 v31, 60
	v_lshlrev_b32_e32 v30, 20, v30
	v_and_b32_e32 v22, 0x80000000, v22
	v_lshl_add_u32 v26, v26, 23, v31
	v_or3_b32 v22, v22, v26, v30
	v_lshrrev_b32_e32 v30, 16, v22
.LBB817_368:
	s_or_b64 exec, exec, s[24:25]
.LBB817_369:
	s_or_b64 exec, exec, s[14:15]
.LBB817_370:
	s_or_b64 exec, exec, s[12:13]
	v_mov_b32_e32 v31, 0
	v_mov_b32_e32 v22, v25
	v_cmp_ne_u16_sdwa s[14:15], v25, v31 src0_sel:BYTE_0 src1_sel:DWORD
	v_mov_b32_e32 v32, 0
	s_and_saveexec_b64 s[12:13], s[14:15]
	s_cbranch_execz .LBB817_376
; %bb.371:
	s_movk_i32 s11, 0x80
	v_cmp_ne_u16_sdwa s[24:25], v25, s11 src0_sel:BYTE_0 src1_sel:DWORD
	v_mov_b32_e32 v32, 0xffff8000
	s_and_saveexec_b64 s[14:15], s[24:25]
	s_cbranch_execz .LBB817_375
; %bb.372:
	s_movk_i32 s11, 0x7f
	v_and_b32_e32 v26, 0x7f, v25
	v_cmp_ne_u32_e32 vcc, s11, v26
	v_mov_b32_e32 v32, 0x7f80
	s_and_saveexec_b64 s[24:25], vcc
	s_cbranch_execz .LBB817_374
; %bb.373:
	v_and_b32_e32 v32, 7, v25
	v_ffbh_u32_e32 v32, v32
	v_min_u32_e32 v32, 32, v32
	v_lshrrev_b32_e32 v33, 3, v26
	v_subrev_u32_e32 v34, 28, v32
	v_sub_u32_e32 v32, 29, v32
	v_cmp_gt_u32_e32 vcc, 8, v26
	v_cndmask_b32_e32 v26, v33, v32, vcc
	v_cndmask_b32_e32 v32, 0, v34, vcc
	v_lshlrev_b64 v[32:33], v32, v[22:23]
	v_lshlrev_b32_e32 v23, 20, v32
	v_lshlrev_b32_e32 v32, 24, v22
	v_bfrev_b32_e32 v33, 60
	v_and_b32_e32 v23, 0x700000, v23
	v_and_b32_e32 v32, 0x80000000, v32
	v_lshl_add_u32 v26, v26, 23, v33
	v_or3_b32 v23, v32, v26, v23
	v_lshrrev_b32_e32 v32, 16, v23
.LBB817_374:
	s_or_b64 exec, exec, s[24:25]
.LBB817_375:
	s_or_b64 exec, exec, s[14:15]
.LBB817_376:
	s_or_b64 exec, exec, s[12:13]
	v_lshrrev_b16_e32 v26, 8, v22
	v_cmp_ne_u16_e32 vcc, 0, v26
	s_and_saveexec_b64 s[12:13], vcc
	s_cbranch_execz .LBB817_382
; %bb.377:
	s_movk_i32 s11, 0x80
	v_cmp_ne_u16_e32 vcc, s11, v26
	v_mov_b32_e32 v31, 0xffff8000
	s_and_saveexec_b64 s[14:15], vcc
	s_cbranch_execz .LBB817_381
; %bb.378:
	s_movk_i32 s11, 0x7f
	v_and_b32_e32 v23, 0x7f, v26
	v_cmp_ne_u32_e32 vcc, s11, v23
	v_mov_b32_e32 v31, 0x7f80
	s_and_saveexec_b64 s[24:25], vcc
	s_cbranch_execz .LBB817_380
; %bb.379:
	v_and_b32_e32 v31, 7, v26
	v_ffbh_u32_e32 v34, v31
	v_min_u32_e32 v36, 32, v34
	v_subrev_u32_e32 v34, 28, v36
	v_lshlrev_b64 v[34:35], v34, v[26:27]
	v_lshrrev_b32_e32 v33, 3, v23
	v_sub_u32_e32 v26, 29, v36
	v_and_b32_e32 v34, 7, v34
	v_cmp_gt_u32_e32 vcc, 8, v23
	v_cndmask_b32_e32 v23, v33, v26, vcc
	v_cndmask_b32_e32 v26, v31, v34, vcc
	v_lshlrev_b32_e32 v22, 16, v22
	v_bfrev_b32_e32 v31, 60
	v_lshlrev_b32_e32 v26, 20, v26
	v_and_b32_e32 v22, 0x80000000, v22
	v_lshl_add_u32 v23, v23, 23, v31
	v_or3_b32 v22, v22, v23, v26
	v_lshrrev_b32_e32 v31, 16, v22
.LBB817_380:
	s_or_b64 exec, exec, s[24:25]
.LBB817_381:
	s_or_b64 exec, exec, s[14:15]
.LBB817_382:
	s_or_b64 exec, exec, s[12:13]
	s_movk_i32 s11, 0xff
	v_and_b32_sdwa v33, v25, s11 dst_sel:DWORD dst_unused:UNUSED_PAD src0_sel:WORD_1 src1_sel:DWORD
	v_lshrrev_b32_e32 v22, 16, v25
	v_cmp_ne_u16_e32 vcc, 0, v33
	v_mov_b32_e32 v23, 0
	v_mov_b32_e32 v26, 0
	s_and_saveexec_b64 s[12:13], vcc
	s_cbranch_execz .LBB817_388
; %bb.383:
	s_movk_i32 s11, 0x80
	v_cmp_ne_u16_e32 vcc, s11, v33
	v_mov_b32_e32 v26, 0xffff8000
	s_and_saveexec_b64 s[14:15], vcc
	s_cbranch_execz .LBB817_387
; %bb.384:
	v_bfe_u32 v33, v25, 16, 7
	s_movk_i32 s11, 0x7f
	v_cmp_ne_u32_e32 vcc, s11, v33
	v_mov_b32_e32 v26, 0x7f80
	s_and_saveexec_b64 s[24:25], vcc
	s_cbranch_execz .LBB817_386
; %bb.385:
	v_and_b32_e32 v26, 7, v22
	v_ffbh_u32_e32 v34, v26
	v_min_u32_e32 v37, 32, v34
	v_subrev_u32_e32 v34, 28, v37
	v_lshlrev_b64 v[34:35], v34, v[22:23]
	v_lshrrev_b32_e32 v36, 3, v33
	v_sub_u32_e32 v22, 29, v37
	v_and_b32_e32 v34, 7, v34
	v_cmp_gt_u32_e32 vcc, 8, v33
	v_mov_b32_e32 v33, 24
	v_cndmask_b32_e32 v22, v36, v22, vcc
	v_cndmask_b32_e32 v26, v26, v34, vcc
	v_lshlrev_b32_sdwa v33, v33, v25 dst_sel:DWORD dst_unused:UNUSED_PAD src0_sel:DWORD src1_sel:WORD_1
	v_bfrev_b32_e32 v34, 60
	v_lshlrev_b32_e32 v26, 20, v26
	v_and_b32_e32 v33, 0x80000000, v33
	v_lshl_add_u32 v22, v22, 23, v34
	v_or3_b32 v22, v33, v22, v26
	v_lshrrev_b32_e32 v26, 16, v22
.LBB817_386:
	s_or_b64 exec, exec, s[24:25]
.LBB817_387:
	s_or_b64 exec, exec, s[14:15]
.LBB817_388:
	s_or_b64 exec, exec, s[12:13]
	s_mov_b32 s12, -1
	s_mov_b32 s13, 0xffffff
	v_cmp_lt_u64_e32 vcc, s[12:13], v[24:25]
	s_and_saveexec_b64 s[12:13], vcc
	s_cbranch_execz .LBB817_394
; %bb.389:
	v_lshrrev_b32_e32 v22, 24, v25
	s_movk_i32 s11, 0x80
	v_cmp_ne_u32_e32 vcc, s11, v22
	v_mov_b32_e32 v23, 0xffff8000
	s_and_saveexec_b64 s[14:15], vcc
	s_cbranch_execz .LBB817_393
; %bb.390:
	v_bfe_u32 v24, v25, 24, 7
	s_movk_i32 s11, 0x7f
	v_cmp_ne_u32_e32 vcc, s11, v24
	v_mov_b32_e32 v23, 0x7f80
	s_and_saveexec_b64 s[24:25], vcc
	s_cbranch_execz .LBB817_392
; %bb.391:
	v_and_b32_e32 v23, 7, v22
	v_ffbh_u32_e32 v33, v23
	v_min_u32_e32 v33, 32, v33
	v_subrev_u32_e32 v34, 28, v33
	v_lshlrev_b64 v[34:35], v34, v[22:23]
	v_lshrrev_b32_e32 v25, 3, v24
	v_sub_u32_e32 v33, 29, v33
	v_and_b32_e32 v34, 7, v34
	v_cmp_gt_u32_e32 vcc, 8, v24
	v_cndmask_b32_e32 v24, v25, v33, vcc
	v_cndmask_b32_e32 v23, v23, v34, vcc
	v_lshlrev_b32_e32 v22, 24, v22
	v_bfrev_b32_e32 v25, 60
	v_lshlrev_b32_e32 v23, 20, v23
	v_and_b32_e32 v22, 0x80000000, v22
	v_lshl_add_u32 v24, v24, 23, v25
	v_or3_b32 v22, v22, v24, v23
	v_lshrrev_b32_e32 v23, 16, v22
.LBB817_392:
	s_or_b64 exec, exec, s[24:25]
.LBB817_393:
	s_or_b64 exec, exec, s[14:15]
.LBB817_394:
	s_or_b64 exec, exec, s[12:13]
	s_mov_b32 s11, 0x5040100
	v_perm_b32 v25, v30, v29, s11
	v_perm_b32 v24, v27, v28, s11
	;; [unrolled: 1-line block ×4, first 2 shown]
	v_mfma_f32_4x4x4bf16_1k a[0:3], v[2:3], v[24:25], a[0:3] cbsz:4 abid:7
	v_mov_b32_e32 v25, 0
	v_mfma_f32_4x4x4bf16_1k a[0:3], v[4:5], v[22:23], a[0:3] cbsz:4 abid:7
	v_cmp_ne_u16_sdwa s[14:15], v18, v25 src0_sel:BYTE_0 src1_sel:DWORD
	v_mov_b32_e32 v26, 0
	s_and_saveexec_b64 s[12:13], s[14:15]
	s_cbranch_execz .LBB817_400
; %bb.395:
	s_movk_i32 s11, 0x80
	v_cmp_ne_u16_sdwa s[24:25], v18, s11 src0_sel:BYTE_0 src1_sel:DWORD
	v_mov_b32_e32 v26, 0xffff8000
	s_and_saveexec_b64 s[14:15], s[24:25]
	s_cbranch_execz .LBB817_399
; %bb.396:
	s_movk_i32 s11, 0x7f
	v_and_b32_e32 v22, 0x7f, v18
	v_cmp_ne_u32_e32 vcc, s11, v22
	v_mov_b32_e32 v26, 0x7f80
	s_and_saveexec_b64 s[24:25], vcc
	s_cbranch_execz .LBB817_398
; %bb.397:
	v_and_b32_e32 v23, 7, v18
	v_ffbh_u32_e32 v23, v23
	v_min_u32_e32 v23, 32, v23
	v_subrev_u32_e32 v26, 28, v23
	v_cmp_gt_u32_e32 vcc, 8, v22
	v_lshrrev_b32_e32 v24, 3, v22
	v_sub_u32_e32 v23, 29, v23
	v_cndmask_b32_e32 v22, 0, v26, vcc
	v_cndmask_b32_e32 v24, v24, v23, vcc
	v_lshlrev_b64 v[22:23], v22, v[18:19]
	v_lshlrev_b32_e32 v22, 20, v22
	v_lshlrev_b32_e32 v23, 24, v18
	v_bfrev_b32_e32 v26, 60
	v_and_b32_e32 v22, 0x700000, v22
	v_and_b32_e32 v23, 0x80000000, v23
	v_lshl_add_u32 v24, v24, 23, v26
	v_or3_b32 v22, v23, v24, v22
	v_lshrrev_b32_e32 v26, 16, v22
.LBB817_398:
	s_or_b64 exec, exec, s[24:25]
.LBB817_399:
	s_or_b64 exec, exec, s[14:15]
.LBB817_400:
	s_or_b64 exec, exec, s[12:13]
	v_lshrrev_b16_e32 v22, 8, v18
	v_cmp_ne_u16_e32 vcc, 0, v22
	s_and_saveexec_b64 s[12:13], vcc
	s_cbranch_execz .LBB817_406
; %bb.401:
	s_movk_i32 s11, 0x80
	v_cmp_ne_u16_e32 vcc, s11, v22
	v_mov_b32_e32 v25, 0xffff8000
	s_and_saveexec_b64 s[14:15], vcc
	s_cbranch_execz .LBB817_405
; %bb.402:
	s_movk_i32 s11, 0x7f
	v_and_b32_e32 v23, 0x7f, v22
	v_cmp_ne_u32_e32 vcc, s11, v23
	v_mov_b32_e32 v25, 0x7f80
	s_and_saveexec_b64 s[24:25], vcc
	s_cbranch_execz .LBB817_404
; %bb.403:
	v_and_b32_e32 v27, 7, v22
	v_ffbh_u32_e32 v24, v27
	v_min_u32_e32 v29, 32, v24
	v_subrev_u32_e32 v24, 28, v29
	v_lshlrev_b64 v[24:25], v24, v[22:23]
	v_lshrrev_b32_e32 v28, 3, v23
	v_sub_u32_e32 v22, 29, v29
	v_and_b32_e32 v24, 7, v24
	v_cmp_gt_u32_e32 vcc, 8, v23
	v_cndmask_b32_e32 v22, v28, v22, vcc
	v_cndmask_b32_e32 v23, v27, v24, vcc
	v_lshlrev_b32_e32 v24, 16, v18
	v_bfrev_b32_e32 v25, 60
	v_lshlrev_b32_e32 v23, 20, v23
	v_and_b32_e32 v24, 0x80000000, v24
	v_lshl_add_u32 v22, v22, 23, v25
	v_or3_b32 v22, v24, v22, v23
	v_lshrrev_b32_e32 v25, 16, v22
.LBB817_404:
	s_or_b64 exec, exec, s[24:25]
.LBB817_405:
	s_or_b64 exec, exec, s[14:15]
.LBB817_406:
	s_or_b64 exec, exec, s[12:13]
	s_movk_i32 s11, 0xff
	v_and_b32_sdwa v24, v18, s11 dst_sel:DWORD dst_unused:UNUSED_PAD src0_sel:WORD_1 src1_sel:DWORD
	v_lshrrev_b32_e32 v22, 16, v18
	v_cmp_ne_u16_e32 vcc, 0, v24
	v_mov_b32_e32 v23, 0
	v_mov_b32_e32 v27, 0
	s_and_saveexec_b64 s[12:13], vcc
	s_cbranch_execz .LBB817_412
; %bb.407:
	s_movk_i32 s11, 0x80
	v_cmp_ne_u16_e32 vcc, s11, v24
	v_mov_b32_e32 v27, 0xffff8000
	s_and_saveexec_b64 s[14:15], vcc
	s_cbranch_execz .LBB817_411
; %bb.408:
	v_bfe_u32 v24, v18, 16, 7
	s_movk_i32 s11, 0x7f
	v_cmp_ne_u32_e32 vcc, s11, v24
	v_mov_b32_e32 v27, 0x7f80
	s_and_saveexec_b64 s[24:25], vcc
	s_cbranch_execz .LBB817_410
; %bb.409:
	v_and_b32_e32 v27, 7, v22
	v_ffbh_u32_e32 v28, v27
	v_min_u32_e32 v31, 32, v28
	v_subrev_u32_e32 v28, 28, v31
	v_lshlrev_b64 v[28:29], v28, v[22:23]
	v_and_b32_e32 v28, 7, v28
	v_cmp_gt_u32_e32 vcc, 8, v24
	v_lshrrev_b32_e32 v30, 3, v24
	v_sub_u32_e32 v22, 29, v31
	v_cndmask_b32_e32 v24, v27, v28, vcc
	v_mov_b32_e32 v27, 24
	v_cndmask_b32_e32 v22, v30, v22, vcc
	v_lshlrev_b32_sdwa v27, v27, v18 dst_sel:DWORD dst_unused:UNUSED_PAD src0_sel:DWORD src1_sel:WORD_1
	v_bfrev_b32_e32 v28, 60
	v_lshlrev_b32_e32 v24, 20, v24
	v_and_b32_e32 v27, 0x80000000, v27
	v_lshl_add_u32 v22, v22, 23, v28
	v_or3_b32 v22, v27, v22, v24
	v_lshrrev_b32_e32 v27, 16, v22
.LBB817_410:
	s_or_b64 exec, exec, s[24:25]
.LBB817_411:
	s_or_b64 exec, exec, s[14:15]
.LBB817_412:
	s_or_b64 exec, exec, s[12:13]
	s_mov_b32 s11, 0xffffff
	v_cmp_lt_u32_e32 vcc, s11, v18
	v_mov_b32_e32 v28, 0
	s_and_saveexec_b64 s[12:13], vcc
	s_cbranch_execz .LBB817_418
; %bb.413:
	v_lshrrev_b32_e32 v22, 24, v18
	s_movk_i32 s11, 0x80
	v_cmp_ne_u32_e32 vcc, s11, v22
	v_mov_b32_e32 v28, 0xffff8000
	s_and_saveexec_b64 s[14:15], vcc
	s_cbranch_execz .LBB817_417
; %bb.414:
	v_bfe_u32 v24, v18, 24, 7
	s_movk_i32 s11, 0x7f
	v_cmp_ne_u32_e32 vcc, s11, v24
	v_mov_b32_e32 v28, 0x7f80
	s_and_saveexec_b64 s[24:25], vcc
	s_cbranch_execz .LBB817_416
; %bb.415:
	v_and_b32_e32 v30, 7, v22
	v_ffbh_u32_e32 v28, v30
	v_min_u32_e32 v32, 32, v28
	v_subrev_u32_e32 v28, 28, v32
	v_lshlrev_b64 v[28:29], v28, v[22:23]
	v_lshrrev_b32_e32 v31, 3, v24
	v_sub_u32_e32 v29, 29, v32
	v_and_b32_e32 v28, 7, v28
	v_cmp_gt_u32_e32 vcc, 8, v24
	v_cndmask_b32_e32 v24, v31, v29, vcc
	v_cndmask_b32_e32 v28, v30, v28, vcc
	v_lshlrev_b32_e32 v22, 24, v22
	v_bfrev_b32_e32 v29, 60
	v_lshlrev_b32_e32 v28, 20, v28
	v_and_b32_e32 v22, 0x80000000, v22
	v_lshl_add_u32 v24, v24, 23, v29
	v_or3_b32 v22, v22, v24, v28
	v_lshrrev_b32_e32 v28, 16, v22
.LBB817_416:
	s_or_b64 exec, exec, s[24:25]
.LBB817_417:
	s_or_b64 exec, exec, s[14:15]
.LBB817_418:
	s_or_b64 exec, exec, s[12:13]
	v_mov_b32_e32 v29, 0
	v_mov_b32_e32 v22, v19
	v_cmp_ne_u16_sdwa s[14:15], v19, v29 src0_sel:BYTE_0 src1_sel:DWORD
	v_mov_b32_e32 v30, 0
	s_and_saveexec_b64 s[12:13], s[14:15]
	s_cbranch_execz .LBB817_424
; %bb.419:
	s_movk_i32 s11, 0x80
	v_cmp_ne_u16_sdwa s[24:25], v19, s11 src0_sel:BYTE_0 src1_sel:DWORD
	v_mov_b32_e32 v30, 0xffff8000
	s_and_saveexec_b64 s[14:15], s[24:25]
	s_cbranch_execz .LBB817_423
; %bb.420:
	s_movk_i32 s11, 0x7f
	v_and_b32_e32 v24, 0x7f, v19
	v_cmp_ne_u32_e32 vcc, s11, v24
	v_mov_b32_e32 v30, 0x7f80
	s_and_saveexec_b64 s[24:25], vcc
	s_cbranch_execz .LBB817_422
; %bb.421:
	v_and_b32_e32 v30, 7, v19
	v_ffbh_u32_e32 v30, v30
	v_min_u32_e32 v30, 32, v30
	v_lshrrev_b32_e32 v31, 3, v24
	v_subrev_u32_e32 v32, 28, v30
	v_sub_u32_e32 v30, 29, v30
	v_cmp_gt_u32_e32 vcc, 8, v24
	v_cndmask_b32_e32 v24, v31, v30, vcc
	v_cndmask_b32_e32 v30, 0, v32, vcc
	v_lshlrev_b64 v[30:31], v30, v[22:23]
	v_lshlrev_b32_e32 v23, 20, v30
	v_lshlrev_b32_e32 v30, 24, v22
	v_bfrev_b32_e32 v31, 60
	v_and_b32_e32 v23, 0x700000, v23
	v_and_b32_e32 v30, 0x80000000, v30
	v_lshl_add_u32 v24, v24, 23, v31
	v_or3_b32 v23, v30, v24, v23
	v_lshrrev_b32_e32 v30, 16, v23
.LBB817_422:
	s_or_b64 exec, exec, s[24:25]
.LBB817_423:
	s_or_b64 exec, exec, s[14:15]
.LBB817_424:
	s_or_b64 exec, exec, s[12:13]
	v_lshrrev_b16_e32 v24, 8, v22
	v_cmp_ne_u16_e32 vcc, 0, v24
	s_and_saveexec_b64 s[12:13], vcc
	s_cbranch_execz .LBB817_430
; %bb.425:
	s_movk_i32 s11, 0x80
	v_cmp_ne_u16_e32 vcc, s11, v24
	v_mov_b32_e32 v29, 0xffff8000
	s_and_saveexec_b64 s[14:15], vcc
	s_cbranch_execz .LBB817_429
; %bb.426:
	s_movk_i32 s11, 0x7f
	v_and_b32_e32 v23, 0x7f, v24
	v_cmp_ne_u32_e32 vcc, s11, v23
	v_mov_b32_e32 v29, 0x7f80
	s_and_saveexec_b64 s[24:25], vcc
	s_cbranch_execz .LBB817_428
; %bb.427:
	v_and_b32_e32 v29, 7, v24
	v_ffbh_u32_e32 v32, v29
	v_min_u32_e32 v34, 32, v32
	v_subrev_u32_e32 v32, 28, v34
	v_lshlrev_b64 v[32:33], v32, v[24:25]
	v_lshrrev_b32_e32 v31, 3, v23
	v_sub_u32_e32 v24, 29, v34
	v_and_b32_e32 v32, 7, v32
	v_cmp_gt_u32_e32 vcc, 8, v23
	v_cndmask_b32_e32 v23, v31, v24, vcc
	v_cndmask_b32_e32 v24, v29, v32, vcc
	v_lshlrev_b32_e32 v22, 16, v22
	v_bfrev_b32_e32 v29, 60
	v_lshlrev_b32_e32 v24, 20, v24
	v_and_b32_e32 v22, 0x80000000, v22
	v_lshl_add_u32 v23, v23, 23, v29
	v_or3_b32 v22, v22, v23, v24
	v_lshrrev_b32_e32 v29, 16, v22
.LBB817_428:
	s_or_b64 exec, exec, s[24:25]
.LBB817_429:
	s_or_b64 exec, exec, s[14:15]
.LBB817_430:
	s_or_b64 exec, exec, s[12:13]
	s_movk_i32 s11, 0xff
	v_and_b32_sdwa v31, v19, s11 dst_sel:DWORD dst_unused:UNUSED_PAD src0_sel:WORD_1 src1_sel:DWORD
	v_lshrrev_b32_e32 v22, 16, v19
	v_cmp_ne_u16_e32 vcc, 0, v31
	v_mov_b32_e32 v23, 0
	v_mov_b32_e32 v24, 0
	s_and_saveexec_b64 s[12:13], vcc
	s_cbranch_execz .LBB817_436
; %bb.431:
	s_movk_i32 s11, 0x80
	v_cmp_ne_u16_e32 vcc, s11, v31
	v_mov_b32_e32 v24, 0xffff8000
	s_and_saveexec_b64 s[14:15], vcc
	s_cbranch_execz .LBB817_435
; %bb.432:
	v_bfe_u32 v31, v19, 16, 7
	s_movk_i32 s11, 0x7f
	v_cmp_ne_u32_e32 vcc, s11, v31
	v_mov_b32_e32 v24, 0x7f80
	s_and_saveexec_b64 s[24:25], vcc
	s_cbranch_execz .LBB817_434
; %bb.433:
	v_and_b32_e32 v24, 7, v22
	v_ffbh_u32_e32 v32, v24
	v_min_u32_e32 v35, 32, v32
	v_subrev_u32_e32 v32, 28, v35
	v_lshlrev_b64 v[32:33], v32, v[22:23]
	v_lshrrev_b32_e32 v34, 3, v31
	v_sub_u32_e32 v22, 29, v35
	v_and_b32_e32 v32, 7, v32
	v_cmp_gt_u32_e32 vcc, 8, v31
	v_mov_b32_e32 v31, 24
	v_cndmask_b32_e32 v22, v34, v22, vcc
	v_cndmask_b32_e32 v24, v24, v32, vcc
	v_lshlrev_b32_sdwa v31, v31, v19 dst_sel:DWORD dst_unused:UNUSED_PAD src0_sel:DWORD src1_sel:WORD_1
	v_bfrev_b32_e32 v32, 60
	v_lshlrev_b32_e32 v24, 20, v24
	v_and_b32_e32 v31, 0x80000000, v31
	v_lshl_add_u32 v22, v22, 23, v32
	v_or3_b32 v22, v31, v22, v24
	v_lshrrev_b32_e32 v24, 16, v22
.LBB817_434:
	s_or_b64 exec, exec, s[24:25]
.LBB817_435:
	s_or_b64 exec, exec, s[14:15]
.LBB817_436:
	s_or_b64 exec, exec, s[12:13]
	s_mov_b32 s12, -1
	s_mov_b32 s13, 0xffffff
	v_cmp_lt_u64_e32 vcc, s[12:13], v[18:19]
	s_and_saveexec_b64 s[12:13], vcc
	s_cbranch_execz .LBB817_442
; %bb.437:
	v_lshrrev_b32_e32 v18, 24, v19
	s_movk_i32 s11, 0x80
	v_cmp_ne_u32_e32 vcc, s11, v18
	v_mov_b32_e32 v23, 0xffff8000
	s_and_saveexec_b64 s[14:15], vcc
	s_cbranch_execz .LBB817_441
; %bb.438:
	v_bfe_u32 v19, v19, 24, 7
	s_movk_i32 s11, 0x7f
	v_cmp_ne_u32_e32 vcc, s11, v19
	v_mov_b32_e32 v23, 0x7f80
	s_and_saveexec_b64 s[24:25], vcc
	s_cbranch_execz .LBB817_440
; %bb.439:
	v_and_b32_e32 v31, 7, v18
	v_ffbh_u32_e32 v22, v31
	v_min_u32_e32 v33, 32, v22
	v_subrev_u32_e32 v22, 28, v33
	v_lshlrev_b64 v[22:23], v22, v[18:19]
	v_lshrrev_b32_e32 v32, 3, v19
	v_sub_u32_e32 v23, 29, v33
	v_and_b32_e32 v22, 7, v22
	v_cmp_gt_u32_e32 vcc, 8, v19
	v_cndmask_b32_e32 v19, v32, v23, vcc
	v_cndmask_b32_e32 v22, v31, v22, vcc
	v_lshlrev_b32_e32 v18, 24, v18
	v_bfrev_b32_e32 v23, 60
	v_lshlrev_b32_e32 v22, 20, v22
	v_and_b32_e32 v18, 0x80000000, v18
	v_lshl_add_u32 v19, v19, 23, v23
	v_or3_b32 v18, v18, v19, v22
	v_lshrrev_b32_e32 v23, 16, v18
.LBB817_440:
	s_or_b64 exec, exec, s[24:25]
.LBB817_441:
	s_or_b64 exec, exec, s[14:15]
.LBB817_442:
	s_or_b64 exec, exec, s[12:13]
	s_mov_b32 s11, 0x5040100
	v_perm_b32 v19, v28, v27, s11
	v_perm_b32 v18, v25, v26, s11
	;; [unrolled: 1-line block ×4, first 2 shown]
	v_mfma_f32_4x4x4bf16_1k a[0:3], v[2:3], v[18:19], a[0:3] cbsz:4 abid:8
	v_mov_b32_e32 v24, 0
	v_mfma_f32_4x4x4bf16_1k a[0:3], v[4:5], v[22:23], a[0:3] cbsz:4 abid:8
	v_mov_b32_e32 v23, 0
	v_cmp_ne_u16_sdwa s[14:15], v20, v23 src0_sel:BYTE_0 src1_sel:DWORD
	s_and_saveexec_b64 s[12:13], s[14:15]
	s_cbranch_execz .LBB817_448
; %bb.443:
	s_movk_i32 s11, 0x80
	v_cmp_ne_u16_sdwa s[24:25], v20, s11 src0_sel:BYTE_0 src1_sel:DWORD
	v_mov_b32_e32 v24, 0xffff8000
	s_and_saveexec_b64 s[14:15], s[24:25]
	s_cbranch_execz .LBB817_447
; %bb.444:
	s_movk_i32 s11, 0x7f
	v_and_b32_e32 v18, 0x7f, v20
	v_cmp_ne_u32_e32 vcc, s11, v18
	v_mov_b32_e32 v24, 0x7f80
	s_and_saveexec_b64 s[24:25], vcc
	s_cbranch_execz .LBB817_446
; %bb.445:
	v_and_b32_e32 v19, 7, v20
	v_ffbh_u32_e32 v19, v19
	v_min_u32_e32 v19, 32, v19
	v_subrev_u32_e32 v24, 28, v19
	v_cmp_gt_u32_e32 vcc, 8, v18
	v_lshrrev_b32_e32 v22, 3, v18
	v_sub_u32_e32 v19, 29, v19
	v_cndmask_b32_e32 v18, 0, v24, vcc
	v_cndmask_b32_e32 v22, v22, v19, vcc
	v_lshlrev_b64 v[18:19], v18, v[20:21]
	v_lshlrev_b32_e32 v18, 20, v18
	v_lshlrev_b32_e32 v19, 24, v20
	v_bfrev_b32_e32 v24, 60
	v_and_b32_e32 v18, 0x700000, v18
	v_and_b32_e32 v19, 0x80000000, v19
	v_lshl_add_u32 v22, v22, 23, v24
	v_or3_b32 v18, v19, v22, v18
	v_lshrrev_b32_e32 v24, 16, v18
.LBB817_446:
	s_or_b64 exec, exec, s[24:25]
.LBB817_447:
	s_or_b64 exec, exec, s[14:15]
.LBB817_448:
	s_or_b64 exec, exec, s[12:13]
	v_lshrrev_b16_e32 v18, 8, v20
	v_cmp_ne_u16_e32 vcc, 0, v18
	s_and_saveexec_b64 s[12:13], vcc
	s_cbranch_execz .LBB817_454
; %bb.449:
	s_movk_i32 s11, 0x80
	v_cmp_ne_u16_e32 vcc, s11, v18
	v_mov_b32_e32 v23, 0xffff8000
	s_and_saveexec_b64 s[14:15], vcc
	s_cbranch_execz .LBB817_453
; %bb.450:
	s_movk_i32 s11, 0x7f
	v_and_b32_e32 v19, 0x7f, v18
	v_cmp_ne_u32_e32 vcc, s11, v19
	v_mov_b32_e32 v23, 0x7f80
	s_and_saveexec_b64 s[24:25], vcc
	s_cbranch_execz .LBB817_452
; %bb.451:
	v_and_b32_e32 v25, 7, v18
	v_ffbh_u32_e32 v22, v25
	v_min_u32_e32 v27, 32, v22
	v_subrev_u32_e32 v22, 28, v27
	v_lshlrev_b64 v[22:23], v22, v[18:19]
	v_lshrrev_b32_e32 v26, 3, v19
	v_sub_u32_e32 v18, 29, v27
	v_and_b32_e32 v22, 7, v22
	v_cmp_gt_u32_e32 vcc, 8, v19
	v_cndmask_b32_e32 v18, v26, v18, vcc
	v_cndmask_b32_e32 v19, v25, v22, vcc
	v_lshlrev_b32_e32 v22, 16, v20
	v_bfrev_b32_e32 v23, 60
	v_lshlrev_b32_e32 v19, 20, v19
	v_and_b32_e32 v22, 0x80000000, v22
	v_lshl_add_u32 v18, v18, 23, v23
	v_or3_b32 v18, v22, v18, v19
	v_lshrrev_b32_e32 v23, 16, v18
.LBB817_452:
	s_or_b64 exec, exec, s[24:25]
.LBB817_453:
	s_or_b64 exec, exec, s[14:15]
.LBB817_454:
	s_or_b64 exec, exec, s[12:13]
	s_movk_i32 s11, 0xff
	v_and_b32_sdwa v22, v20, s11 dst_sel:DWORD dst_unused:UNUSED_PAD src0_sel:WORD_1 src1_sel:DWORD
	v_lshrrev_b32_e32 v18, 16, v20
	v_cmp_ne_u16_e32 vcc, 0, v22
	v_mov_b32_e32 v19, 0
	v_mov_b32_e32 v25, 0
	s_and_saveexec_b64 s[12:13], vcc
	s_cbranch_execz .LBB817_460
; %bb.455:
	s_movk_i32 s11, 0x80
	v_cmp_ne_u16_e32 vcc, s11, v22
	v_mov_b32_e32 v25, 0xffff8000
	s_and_saveexec_b64 s[14:15], vcc
	s_cbranch_execz .LBB817_459
; %bb.456:
	v_bfe_u32 v22, v20, 16, 7
	s_movk_i32 s11, 0x7f
	v_cmp_ne_u32_e32 vcc, s11, v22
	v_mov_b32_e32 v25, 0x7f80
	s_and_saveexec_b64 s[24:25], vcc
	s_cbranch_execz .LBB817_458
; %bb.457:
	v_and_b32_e32 v25, 7, v18
	v_ffbh_u32_e32 v26, v25
	v_min_u32_e32 v29, 32, v26
	v_subrev_u32_e32 v26, 28, v29
	v_lshlrev_b64 v[26:27], v26, v[18:19]
	v_and_b32_e32 v26, 7, v26
	v_cmp_gt_u32_e32 vcc, 8, v22
	v_lshrrev_b32_e32 v28, 3, v22
	v_sub_u32_e32 v18, 29, v29
	v_cndmask_b32_e32 v22, v25, v26, vcc
	v_mov_b32_e32 v25, 24
	v_cndmask_b32_e32 v18, v28, v18, vcc
	v_lshlrev_b32_sdwa v25, v25, v20 dst_sel:DWORD dst_unused:UNUSED_PAD src0_sel:DWORD src1_sel:WORD_1
	v_bfrev_b32_e32 v26, 60
	v_lshlrev_b32_e32 v22, 20, v22
	v_and_b32_e32 v25, 0x80000000, v25
	v_lshl_add_u32 v18, v18, 23, v26
	v_or3_b32 v18, v25, v18, v22
	v_lshrrev_b32_e32 v25, 16, v18
.LBB817_458:
	s_or_b64 exec, exec, s[24:25]
.LBB817_459:
	s_or_b64 exec, exec, s[14:15]
.LBB817_460:
	s_or_b64 exec, exec, s[12:13]
	s_mov_b32 s11, 0xffffff
	v_cmp_lt_u32_e32 vcc, s11, v20
	v_mov_b32_e32 v26, 0
	s_and_saveexec_b64 s[12:13], vcc
	s_cbranch_execz .LBB817_466
; %bb.461:
	v_lshrrev_b32_e32 v18, 24, v20
	s_movk_i32 s11, 0x80
	v_cmp_ne_u32_e32 vcc, s11, v18
	v_mov_b32_e32 v26, 0xffff8000
	s_and_saveexec_b64 s[14:15], vcc
	s_cbranch_execz .LBB817_465
; %bb.462:
	v_bfe_u32 v22, v20, 24, 7
	s_movk_i32 s11, 0x7f
	v_cmp_ne_u32_e32 vcc, s11, v22
	v_mov_b32_e32 v26, 0x7f80
	s_and_saveexec_b64 s[24:25], vcc
	s_cbranch_execz .LBB817_464
; %bb.463:
	v_and_b32_e32 v28, 7, v18
	v_ffbh_u32_e32 v26, v28
	v_min_u32_e32 v30, 32, v26
	v_subrev_u32_e32 v26, 28, v30
	v_lshlrev_b64 v[26:27], v26, v[18:19]
	v_lshrrev_b32_e32 v29, 3, v22
	v_sub_u32_e32 v27, 29, v30
	v_and_b32_e32 v26, 7, v26
	v_cmp_gt_u32_e32 vcc, 8, v22
	v_cndmask_b32_e32 v22, v29, v27, vcc
	v_cndmask_b32_e32 v26, v28, v26, vcc
	v_lshlrev_b32_e32 v18, 24, v18
	v_bfrev_b32_e32 v27, 60
	v_lshlrev_b32_e32 v26, 20, v26
	v_and_b32_e32 v18, 0x80000000, v18
	v_lshl_add_u32 v22, v22, 23, v27
	v_or3_b32 v18, v18, v22, v26
	v_lshrrev_b32_e32 v26, 16, v18
.LBB817_464:
	s_or_b64 exec, exec, s[24:25]
.LBB817_465:
	s_or_b64 exec, exec, s[14:15]
.LBB817_466:
	s_or_b64 exec, exec, s[12:13]
	v_mov_b32_e32 v27, 0
	v_mov_b32_e32 v18, v21
	v_cmp_ne_u16_sdwa s[14:15], v21, v27 src0_sel:BYTE_0 src1_sel:DWORD
	v_mov_b32_e32 v28, 0
	s_and_saveexec_b64 s[12:13], s[14:15]
	s_cbranch_execz .LBB817_472
; %bb.467:
	s_movk_i32 s11, 0x80
	v_cmp_ne_u16_sdwa s[24:25], v21, s11 src0_sel:BYTE_0 src1_sel:DWORD
	v_mov_b32_e32 v28, 0xffff8000
	s_and_saveexec_b64 s[14:15], s[24:25]
	s_cbranch_execz .LBB817_471
; %bb.468:
	s_movk_i32 s11, 0x7f
	v_and_b32_e32 v22, 0x7f, v21
	v_cmp_ne_u32_e32 vcc, s11, v22
	v_mov_b32_e32 v28, 0x7f80
	s_and_saveexec_b64 s[24:25], vcc
	s_cbranch_execz .LBB817_470
; %bb.469:
	v_and_b32_e32 v28, 7, v21
	v_ffbh_u32_e32 v28, v28
	v_min_u32_e32 v28, 32, v28
	v_lshrrev_b32_e32 v29, 3, v22
	v_subrev_u32_e32 v30, 28, v28
	v_sub_u32_e32 v28, 29, v28
	v_cmp_gt_u32_e32 vcc, 8, v22
	v_cndmask_b32_e32 v22, v29, v28, vcc
	v_cndmask_b32_e32 v28, 0, v30, vcc
	v_lshlrev_b64 v[28:29], v28, v[18:19]
	v_lshlrev_b32_e32 v19, 20, v28
	v_lshlrev_b32_e32 v28, 24, v18
	v_bfrev_b32_e32 v29, 60
	v_and_b32_e32 v19, 0x700000, v19
	v_and_b32_e32 v28, 0x80000000, v28
	v_lshl_add_u32 v22, v22, 23, v29
	v_or3_b32 v19, v28, v22, v19
	v_lshrrev_b32_e32 v28, 16, v19
.LBB817_470:
	s_or_b64 exec, exec, s[24:25]
.LBB817_471:
	s_or_b64 exec, exec, s[14:15]
.LBB817_472:
	s_or_b64 exec, exec, s[12:13]
	v_lshrrev_b16_e32 v22, 8, v18
	v_cmp_ne_u16_e32 vcc, 0, v22
	s_and_saveexec_b64 s[12:13], vcc
	s_cbranch_execz .LBB817_478
; %bb.473:
	s_movk_i32 s11, 0x80
	v_cmp_ne_u16_e32 vcc, s11, v22
	v_mov_b32_e32 v27, 0xffff8000
	s_and_saveexec_b64 s[14:15], vcc
	s_cbranch_execz .LBB817_477
; %bb.474:
	s_movk_i32 s11, 0x7f
	v_and_b32_e32 v19, 0x7f, v22
	v_cmp_ne_u32_e32 vcc, s11, v19
	v_mov_b32_e32 v27, 0x7f80
	s_and_saveexec_b64 s[24:25], vcc
	s_cbranch_execz .LBB817_476
; %bb.475:
	v_and_b32_e32 v27, 7, v22
	v_ffbh_u32_e32 v30, v27
	v_min_u32_e32 v32, 32, v30
	v_subrev_u32_e32 v30, 28, v32
	v_lshlrev_b64 v[30:31], v30, v[22:23]
	v_lshrrev_b32_e32 v29, 3, v19
	v_sub_u32_e32 v22, 29, v32
	v_and_b32_e32 v30, 7, v30
	v_cmp_gt_u32_e32 vcc, 8, v19
	v_cndmask_b32_e32 v19, v29, v22, vcc
	v_cndmask_b32_e32 v22, v27, v30, vcc
	v_lshlrev_b32_e32 v18, 16, v18
	v_bfrev_b32_e32 v27, 60
	v_lshlrev_b32_e32 v22, 20, v22
	v_and_b32_e32 v18, 0x80000000, v18
	v_lshl_add_u32 v19, v19, 23, v27
	v_or3_b32 v18, v18, v19, v22
	v_lshrrev_b32_e32 v27, 16, v18
.LBB817_476:
	s_or_b64 exec, exec, s[24:25]
.LBB817_477:
	s_or_b64 exec, exec, s[14:15]
.LBB817_478:
	s_or_b64 exec, exec, s[12:13]
	s_movk_i32 s11, 0xff
	v_and_b32_sdwa v29, v21, s11 dst_sel:DWORD dst_unused:UNUSED_PAD src0_sel:WORD_1 src1_sel:DWORD
	v_lshrrev_b32_e32 v18, 16, v21
	v_cmp_ne_u16_e32 vcc, 0, v29
	v_mov_b32_e32 v19, 0
	v_mov_b32_e32 v22, 0
	s_and_saveexec_b64 s[12:13], vcc
	s_cbranch_execz .LBB817_484
; %bb.479:
	s_movk_i32 s11, 0x80
	v_cmp_ne_u16_e32 vcc, s11, v29
	v_mov_b32_e32 v22, 0xffff8000
	s_and_saveexec_b64 s[14:15], vcc
	s_cbranch_execz .LBB817_483
; %bb.480:
	v_bfe_u32 v29, v21, 16, 7
	s_movk_i32 s11, 0x7f
	v_cmp_ne_u32_e32 vcc, s11, v29
	v_mov_b32_e32 v22, 0x7f80
	s_and_saveexec_b64 s[24:25], vcc
	s_cbranch_execz .LBB817_482
; %bb.481:
	v_and_b32_e32 v22, 7, v18
	v_ffbh_u32_e32 v30, v22
	v_min_u32_e32 v33, 32, v30
	v_subrev_u32_e32 v30, 28, v33
	v_lshlrev_b64 v[30:31], v30, v[18:19]
	v_lshrrev_b32_e32 v32, 3, v29
	v_sub_u32_e32 v18, 29, v33
	v_and_b32_e32 v30, 7, v30
	v_cmp_gt_u32_e32 vcc, 8, v29
	v_mov_b32_e32 v29, 24
	v_cndmask_b32_e32 v18, v32, v18, vcc
	v_cndmask_b32_e32 v22, v22, v30, vcc
	v_lshlrev_b32_sdwa v29, v29, v21 dst_sel:DWORD dst_unused:UNUSED_PAD src0_sel:DWORD src1_sel:WORD_1
	v_bfrev_b32_e32 v30, 60
	v_lshlrev_b32_e32 v22, 20, v22
	v_and_b32_e32 v29, 0x80000000, v29
	v_lshl_add_u32 v18, v18, 23, v30
	v_or3_b32 v18, v29, v18, v22
	v_lshrrev_b32_e32 v22, 16, v18
.LBB817_482:
	s_or_b64 exec, exec, s[24:25]
.LBB817_483:
	s_or_b64 exec, exec, s[14:15]
.LBB817_484:
	s_or_b64 exec, exec, s[12:13]
	s_mov_b32 s12, -1
	s_mov_b32 s13, 0xffffff
	v_cmp_lt_u64_e32 vcc, s[12:13], v[20:21]
	s_and_saveexec_b64 s[12:13], vcc
	s_cbranch_execz .LBB817_490
; %bb.485:
	v_lshrrev_b32_e32 v18, 24, v21
	s_movk_i32 s11, 0x80
	v_cmp_ne_u32_e32 vcc, s11, v18
	v_mov_b32_e32 v19, 0xffff8000
	s_and_saveexec_b64 s[14:15], vcc
	s_cbranch_execz .LBB817_489
; %bb.486:
	v_bfe_u32 v20, v21, 24, 7
	s_movk_i32 s11, 0x7f
	v_cmp_ne_u32_e32 vcc, s11, v20
	v_mov_b32_e32 v19, 0x7f80
	s_and_saveexec_b64 s[24:25], vcc
	s_cbranch_execz .LBB817_488
; %bb.487:
	v_and_b32_e32 v19, 7, v18
	v_ffbh_u32_e32 v29, v19
	v_min_u32_e32 v29, 32, v29
	v_subrev_u32_e32 v30, 28, v29
	v_lshlrev_b64 v[30:31], v30, v[18:19]
	v_lshrrev_b32_e32 v21, 3, v20
	v_sub_u32_e32 v29, 29, v29
	v_and_b32_e32 v30, 7, v30
	v_cmp_gt_u32_e32 vcc, 8, v20
	v_cndmask_b32_e32 v20, v21, v29, vcc
	v_cndmask_b32_e32 v19, v19, v30, vcc
	v_lshlrev_b32_e32 v18, 24, v18
	v_bfrev_b32_e32 v21, 60
	v_lshlrev_b32_e32 v19, 20, v19
	v_and_b32_e32 v18, 0x80000000, v18
	v_lshl_add_u32 v20, v20, 23, v21
	v_or3_b32 v18, v18, v20, v19
	v_lshrrev_b32_e32 v19, 16, v18
.LBB817_488:
	s_or_b64 exec, exec, s[24:25]
.LBB817_489:
	s_or_b64 exec, exec, s[14:15]
.LBB817_490:
	s_or_b64 exec, exec, s[12:13]
	s_mov_b32 s11, 0x5040100
	v_perm_b32 v21, v26, v25, s11
	v_perm_b32 v20, v23, v24, s11
	;; [unrolled: 1-line block ×4, first 2 shown]
	v_mfma_f32_4x4x4bf16_1k a[0:3], v[2:3], v[20:21], a[0:3] cbsz:4 abid:9
	v_mov_b32_e32 v21, 0
	v_mfma_f32_4x4x4bf16_1k a[0:3], v[4:5], v[18:19], a[0:3] cbsz:4 abid:9
	v_cmp_ne_u16_sdwa s[14:15], v14, v21 src0_sel:BYTE_0 src1_sel:DWORD
	v_mov_b32_e32 v22, 0
	s_and_saveexec_b64 s[12:13], s[14:15]
	s_cbranch_execz .LBB817_496
; %bb.491:
	s_movk_i32 s11, 0x80
	v_cmp_ne_u16_sdwa s[24:25], v14, s11 src0_sel:BYTE_0 src1_sel:DWORD
	v_mov_b32_e32 v22, 0xffff8000
	s_and_saveexec_b64 s[14:15], s[24:25]
	s_cbranch_execz .LBB817_495
; %bb.492:
	s_movk_i32 s11, 0x7f
	v_and_b32_e32 v18, 0x7f, v14
	v_cmp_ne_u32_e32 vcc, s11, v18
	v_mov_b32_e32 v22, 0x7f80
	s_and_saveexec_b64 s[24:25], vcc
	s_cbranch_execz .LBB817_494
; %bb.493:
	v_and_b32_e32 v19, 7, v14
	v_ffbh_u32_e32 v19, v19
	v_min_u32_e32 v19, 32, v19
	v_subrev_u32_e32 v22, 28, v19
	v_cmp_gt_u32_e32 vcc, 8, v18
	v_lshrrev_b32_e32 v20, 3, v18
	v_sub_u32_e32 v19, 29, v19
	v_cndmask_b32_e32 v18, 0, v22, vcc
	v_cndmask_b32_e32 v20, v20, v19, vcc
	v_lshlrev_b64 v[18:19], v18, v[14:15]
	v_lshlrev_b32_e32 v18, 20, v18
	v_lshlrev_b32_e32 v19, 24, v14
	v_bfrev_b32_e32 v22, 60
	v_and_b32_e32 v18, 0x700000, v18
	v_and_b32_e32 v19, 0x80000000, v19
	v_lshl_add_u32 v20, v20, 23, v22
	v_or3_b32 v18, v19, v20, v18
	v_lshrrev_b32_e32 v22, 16, v18
.LBB817_494:
	s_or_b64 exec, exec, s[24:25]
.LBB817_495:
	s_or_b64 exec, exec, s[14:15]
.LBB817_496:
	s_or_b64 exec, exec, s[12:13]
	v_lshrrev_b16_e32 v18, 8, v14
	v_cmp_ne_u16_e32 vcc, 0, v18
	s_and_saveexec_b64 s[12:13], vcc
	s_cbranch_execz .LBB817_502
; %bb.497:
	s_movk_i32 s11, 0x80
	v_cmp_ne_u16_e32 vcc, s11, v18
	v_mov_b32_e32 v21, 0xffff8000
	s_and_saveexec_b64 s[14:15], vcc
	s_cbranch_execz .LBB817_501
; %bb.498:
	s_movk_i32 s11, 0x7f
	v_and_b32_e32 v19, 0x7f, v18
	v_cmp_ne_u32_e32 vcc, s11, v19
	v_mov_b32_e32 v21, 0x7f80
	s_and_saveexec_b64 s[24:25], vcc
	s_cbranch_execz .LBB817_500
; %bb.499:
	v_and_b32_e32 v23, 7, v18
	v_ffbh_u32_e32 v20, v23
	v_min_u32_e32 v25, 32, v20
	v_subrev_u32_e32 v20, 28, v25
	v_lshlrev_b64 v[20:21], v20, v[18:19]
	v_lshrrev_b32_e32 v24, 3, v19
	v_sub_u32_e32 v18, 29, v25
	v_and_b32_e32 v20, 7, v20
	v_cmp_gt_u32_e32 vcc, 8, v19
	v_cndmask_b32_e32 v18, v24, v18, vcc
	v_cndmask_b32_e32 v19, v23, v20, vcc
	v_lshlrev_b32_e32 v20, 16, v14
	v_bfrev_b32_e32 v21, 60
	v_lshlrev_b32_e32 v19, 20, v19
	v_and_b32_e32 v20, 0x80000000, v20
	v_lshl_add_u32 v18, v18, 23, v21
	v_or3_b32 v18, v20, v18, v19
	v_lshrrev_b32_e32 v21, 16, v18
.LBB817_500:
	s_or_b64 exec, exec, s[24:25]
.LBB817_501:
	s_or_b64 exec, exec, s[14:15]
.LBB817_502:
	s_or_b64 exec, exec, s[12:13]
	s_movk_i32 s11, 0xff
	v_and_b32_sdwa v20, v14, s11 dst_sel:DWORD dst_unused:UNUSED_PAD src0_sel:WORD_1 src1_sel:DWORD
	v_lshrrev_b32_e32 v18, 16, v14
	v_cmp_ne_u16_e32 vcc, 0, v20
	v_mov_b32_e32 v19, 0
	v_mov_b32_e32 v23, 0
	s_and_saveexec_b64 s[12:13], vcc
	s_cbranch_execz .LBB817_508
; %bb.503:
	s_movk_i32 s11, 0x80
	v_cmp_ne_u16_e32 vcc, s11, v20
	v_mov_b32_e32 v23, 0xffff8000
	s_and_saveexec_b64 s[14:15], vcc
	s_cbranch_execz .LBB817_507
; %bb.504:
	v_bfe_u32 v20, v14, 16, 7
	s_movk_i32 s11, 0x7f
	v_cmp_ne_u32_e32 vcc, s11, v20
	v_mov_b32_e32 v23, 0x7f80
	s_and_saveexec_b64 s[24:25], vcc
	s_cbranch_execz .LBB817_506
; %bb.505:
	v_and_b32_e32 v23, 7, v18
	v_ffbh_u32_e32 v24, v23
	v_min_u32_e32 v27, 32, v24
	v_subrev_u32_e32 v24, 28, v27
	v_lshlrev_b64 v[24:25], v24, v[18:19]
	v_and_b32_e32 v24, 7, v24
	v_cmp_gt_u32_e32 vcc, 8, v20
	v_lshrrev_b32_e32 v26, 3, v20
	v_sub_u32_e32 v18, 29, v27
	v_cndmask_b32_e32 v20, v23, v24, vcc
	v_mov_b32_e32 v23, 24
	v_cndmask_b32_e32 v18, v26, v18, vcc
	v_lshlrev_b32_sdwa v23, v23, v14 dst_sel:DWORD dst_unused:UNUSED_PAD src0_sel:DWORD src1_sel:WORD_1
	v_bfrev_b32_e32 v24, 60
	v_lshlrev_b32_e32 v20, 20, v20
	v_and_b32_e32 v23, 0x80000000, v23
	v_lshl_add_u32 v18, v18, 23, v24
	v_or3_b32 v18, v23, v18, v20
	v_lshrrev_b32_e32 v23, 16, v18
.LBB817_506:
	s_or_b64 exec, exec, s[24:25]
.LBB817_507:
	s_or_b64 exec, exec, s[14:15]
.LBB817_508:
	s_or_b64 exec, exec, s[12:13]
	s_mov_b32 s11, 0xffffff
	v_cmp_lt_u32_e32 vcc, s11, v14
	v_mov_b32_e32 v24, 0
	s_and_saveexec_b64 s[12:13], vcc
	s_cbranch_execz .LBB817_514
; %bb.509:
	v_lshrrev_b32_e32 v18, 24, v14
	s_movk_i32 s11, 0x80
	v_cmp_ne_u32_e32 vcc, s11, v18
	v_mov_b32_e32 v24, 0xffff8000
	s_and_saveexec_b64 s[14:15], vcc
	s_cbranch_execz .LBB817_513
; %bb.510:
	v_bfe_u32 v20, v14, 24, 7
	s_movk_i32 s11, 0x7f
	v_cmp_ne_u32_e32 vcc, s11, v20
	v_mov_b32_e32 v24, 0x7f80
	s_and_saveexec_b64 s[24:25], vcc
	s_cbranch_execz .LBB817_512
; %bb.511:
	v_and_b32_e32 v26, 7, v18
	v_ffbh_u32_e32 v24, v26
	v_min_u32_e32 v28, 32, v24
	v_subrev_u32_e32 v24, 28, v28
	v_lshlrev_b64 v[24:25], v24, v[18:19]
	v_lshrrev_b32_e32 v27, 3, v20
	v_sub_u32_e32 v25, 29, v28
	v_and_b32_e32 v24, 7, v24
	v_cmp_gt_u32_e32 vcc, 8, v20
	v_cndmask_b32_e32 v20, v27, v25, vcc
	v_cndmask_b32_e32 v24, v26, v24, vcc
	v_lshlrev_b32_e32 v18, 24, v18
	v_bfrev_b32_e32 v25, 60
	v_lshlrev_b32_e32 v24, 20, v24
	v_and_b32_e32 v18, 0x80000000, v18
	v_lshl_add_u32 v20, v20, 23, v25
	v_or3_b32 v18, v18, v20, v24
	v_lshrrev_b32_e32 v24, 16, v18
.LBB817_512:
	s_or_b64 exec, exec, s[24:25]
.LBB817_513:
	s_or_b64 exec, exec, s[14:15]
.LBB817_514:
	s_or_b64 exec, exec, s[12:13]
	v_mov_b32_e32 v25, 0
	v_mov_b32_e32 v18, v15
	v_cmp_ne_u16_sdwa s[14:15], v15, v25 src0_sel:BYTE_0 src1_sel:DWORD
	v_mov_b32_e32 v26, 0
	s_and_saveexec_b64 s[12:13], s[14:15]
	s_cbranch_execz .LBB817_520
; %bb.515:
	s_movk_i32 s11, 0x80
	v_cmp_ne_u16_sdwa s[24:25], v15, s11 src0_sel:BYTE_0 src1_sel:DWORD
	v_mov_b32_e32 v26, 0xffff8000
	s_and_saveexec_b64 s[14:15], s[24:25]
	s_cbranch_execz .LBB817_519
; %bb.516:
	s_movk_i32 s11, 0x7f
	v_and_b32_e32 v20, 0x7f, v15
	v_cmp_ne_u32_e32 vcc, s11, v20
	v_mov_b32_e32 v26, 0x7f80
	s_and_saveexec_b64 s[24:25], vcc
	s_cbranch_execz .LBB817_518
; %bb.517:
	v_and_b32_e32 v26, 7, v15
	v_ffbh_u32_e32 v26, v26
	v_min_u32_e32 v26, 32, v26
	v_lshrrev_b32_e32 v27, 3, v20
	v_subrev_u32_e32 v28, 28, v26
	v_sub_u32_e32 v26, 29, v26
	v_cmp_gt_u32_e32 vcc, 8, v20
	v_cndmask_b32_e32 v20, v27, v26, vcc
	v_cndmask_b32_e32 v26, 0, v28, vcc
	v_lshlrev_b64 v[26:27], v26, v[18:19]
	v_lshlrev_b32_e32 v19, 20, v26
	v_lshlrev_b32_e32 v26, 24, v18
	v_bfrev_b32_e32 v27, 60
	v_and_b32_e32 v19, 0x700000, v19
	v_and_b32_e32 v26, 0x80000000, v26
	v_lshl_add_u32 v20, v20, 23, v27
	v_or3_b32 v19, v26, v20, v19
	v_lshrrev_b32_e32 v26, 16, v19
.LBB817_518:
	s_or_b64 exec, exec, s[24:25]
.LBB817_519:
	s_or_b64 exec, exec, s[14:15]
.LBB817_520:
	s_or_b64 exec, exec, s[12:13]
	v_lshrrev_b16_e32 v20, 8, v18
	v_cmp_ne_u16_e32 vcc, 0, v20
	s_and_saveexec_b64 s[12:13], vcc
	s_cbranch_execz .LBB817_526
; %bb.521:
	s_movk_i32 s11, 0x80
	v_cmp_ne_u16_e32 vcc, s11, v20
	v_mov_b32_e32 v25, 0xffff8000
	s_and_saveexec_b64 s[14:15], vcc
	s_cbranch_execz .LBB817_525
; %bb.522:
	s_movk_i32 s11, 0x7f
	v_and_b32_e32 v19, 0x7f, v20
	v_cmp_ne_u32_e32 vcc, s11, v19
	v_mov_b32_e32 v25, 0x7f80
	s_and_saveexec_b64 s[24:25], vcc
	s_cbranch_execz .LBB817_524
; %bb.523:
	v_and_b32_e32 v25, 7, v20
	v_ffbh_u32_e32 v28, v25
	v_min_u32_e32 v30, 32, v28
	v_subrev_u32_e32 v28, 28, v30
	v_lshlrev_b64 v[28:29], v28, v[20:21]
	v_lshrrev_b32_e32 v27, 3, v19
	v_sub_u32_e32 v20, 29, v30
	v_and_b32_e32 v28, 7, v28
	v_cmp_gt_u32_e32 vcc, 8, v19
	v_cndmask_b32_e32 v19, v27, v20, vcc
	v_cndmask_b32_e32 v20, v25, v28, vcc
	v_lshlrev_b32_e32 v18, 16, v18
	v_bfrev_b32_e32 v25, 60
	v_lshlrev_b32_e32 v20, 20, v20
	v_and_b32_e32 v18, 0x80000000, v18
	v_lshl_add_u32 v19, v19, 23, v25
	v_or3_b32 v18, v18, v19, v20
	v_lshrrev_b32_e32 v25, 16, v18
.LBB817_524:
	s_or_b64 exec, exec, s[24:25]
.LBB817_525:
	s_or_b64 exec, exec, s[14:15]
.LBB817_526:
	s_or_b64 exec, exec, s[12:13]
	s_movk_i32 s11, 0xff
	v_and_b32_sdwa v27, v15, s11 dst_sel:DWORD dst_unused:UNUSED_PAD src0_sel:WORD_1 src1_sel:DWORD
	v_lshrrev_b32_e32 v18, 16, v15
	v_cmp_ne_u16_e32 vcc, 0, v27
	v_mov_b32_e32 v19, 0
	v_mov_b32_e32 v20, 0
	s_and_saveexec_b64 s[12:13], vcc
	s_cbranch_execz .LBB817_532
; %bb.527:
	s_movk_i32 s11, 0x80
	v_cmp_ne_u16_e32 vcc, s11, v27
	v_mov_b32_e32 v20, 0xffff8000
	s_and_saveexec_b64 s[14:15], vcc
	s_cbranch_execz .LBB817_531
; %bb.528:
	v_bfe_u32 v27, v15, 16, 7
	s_movk_i32 s11, 0x7f
	v_cmp_ne_u32_e32 vcc, s11, v27
	v_mov_b32_e32 v20, 0x7f80
	s_and_saveexec_b64 s[24:25], vcc
	s_cbranch_execz .LBB817_530
; %bb.529:
	v_and_b32_e32 v20, 7, v18
	v_ffbh_u32_e32 v28, v20
	v_min_u32_e32 v31, 32, v28
	v_subrev_u32_e32 v28, 28, v31
	v_lshlrev_b64 v[28:29], v28, v[18:19]
	v_lshrrev_b32_e32 v30, 3, v27
	v_sub_u32_e32 v18, 29, v31
	v_and_b32_e32 v28, 7, v28
	v_cmp_gt_u32_e32 vcc, 8, v27
	v_mov_b32_e32 v27, 24
	v_cndmask_b32_e32 v18, v30, v18, vcc
	v_cndmask_b32_e32 v20, v20, v28, vcc
	v_lshlrev_b32_sdwa v27, v27, v15 dst_sel:DWORD dst_unused:UNUSED_PAD src0_sel:DWORD src1_sel:WORD_1
	v_bfrev_b32_e32 v28, 60
	v_lshlrev_b32_e32 v20, 20, v20
	v_and_b32_e32 v27, 0x80000000, v27
	v_lshl_add_u32 v18, v18, 23, v28
	v_or3_b32 v18, v27, v18, v20
	v_lshrrev_b32_e32 v20, 16, v18
.LBB817_530:
	s_or_b64 exec, exec, s[24:25]
.LBB817_531:
	s_or_b64 exec, exec, s[14:15]
.LBB817_532:
	s_or_b64 exec, exec, s[12:13]
	s_mov_b32 s12, -1
	s_mov_b32 s13, 0xffffff
	v_cmp_lt_u64_e32 vcc, s[12:13], v[14:15]
	s_and_saveexec_b64 s[12:13], vcc
	s_cbranch_execz .LBB817_538
; %bb.533:
	v_lshrrev_b32_e32 v14, 24, v15
	s_movk_i32 s11, 0x80
	v_cmp_ne_u32_e32 vcc, s11, v14
	v_mov_b32_e32 v19, 0xffff8000
	s_and_saveexec_b64 s[14:15], vcc
	s_cbranch_execz .LBB817_537
; %bb.534:
	v_bfe_u32 v15, v15, 24, 7
	s_movk_i32 s11, 0x7f
	v_cmp_ne_u32_e32 vcc, s11, v15
	v_mov_b32_e32 v19, 0x7f80
	s_and_saveexec_b64 s[24:25], vcc
	s_cbranch_execz .LBB817_536
; %bb.535:
	v_and_b32_e32 v27, 7, v14
	v_ffbh_u32_e32 v18, v27
	v_min_u32_e32 v29, 32, v18
	v_subrev_u32_e32 v18, 28, v29
	v_lshlrev_b64 v[18:19], v18, v[14:15]
	v_lshrrev_b32_e32 v28, 3, v15
	v_sub_u32_e32 v19, 29, v29
	v_and_b32_e32 v18, 7, v18
	v_cmp_gt_u32_e32 vcc, 8, v15
	v_cndmask_b32_e32 v15, v28, v19, vcc
	v_cndmask_b32_e32 v18, v27, v18, vcc
	v_lshlrev_b32_e32 v14, 24, v14
	v_bfrev_b32_e32 v19, 60
	v_lshlrev_b32_e32 v18, 20, v18
	v_and_b32_e32 v14, 0x80000000, v14
	v_lshl_add_u32 v15, v15, 23, v19
	v_or3_b32 v14, v14, v15, v18
	v_lshrrev_b32_e32 v19, 16, v14
.LBB817_536:
	s_or_b64 exec, exec, s[24:25]
.LBB817_537:
	s_or_b64 exec, exec, s[14:15]
.LBB817_538:
	s_or_b64 exec, exec, s[12:13]
	s_mov_b32 s11, 0x5040100
	v_perm_b32 v15, v24, v23, s11
	v_perm_b32 v14, v21, v22, s11
	;; [unrolled: 1-line block ×4, first 2 shown]
	v_mfma_f32_4x4x4bf16_1k a[0:3], v[2:3], v[14:15], a[0:3] cbsz:4 abid:10
	v_mov_b32_e32 v20, 0
	v_mfma_f32_4x4x4bf16_1k a[0:3], v[4:5], v[18:19], a[0:3] cbsz:4 abid:10
	v_mov_b32_e32 v19, 0
	v_cmp_ne_u16_sdwa s[14:15], v16, v19 src0_sel:BYTE_0 src1_sel:DWORD
	s_and_saveexec_b64 s[12:13], s[14:15]
	s_cbranch_execz .LBB817_544
; %bb.539:
	s_movk_i32 s11, 0x80
	v_cmp_ne_u16_sdwa s[24:25], v16, s11 src0_sel:BYTE_0 src1_sel:DWORD
	v_mov_b32_e32 v20, 0xffff8000
	s_and_saveexec_b64 s[14:15], s[24:25]
	s_cbranch_execz .LBB817_543
; %bb.540:
	s_movk_i32 s11, 0x7f
	v_and_b32_e32 v14, 0x7f, v16
	v_cmp_ne_u32_e32 vcc, s11, v14
	v_mov_b32_e32 v20, 0x7f80
	s_and_saveexec_b64 s[24:25], vcc
	s_cbranch_execz .LBB817_542
; %bb.541:
	v_and_b32_e32 v15, 7, v16
	v_ffbh_u32_e32 v15, v15
	v_min_u32_e32 v15, 32, v15
	v_subrev_u32_e32 v20, 28, v15
	v_cmp_gt_u32_e32 vcc, 8, v14
	v_lshrrev_b32_e32 v18, 3, v14
	v_sub_u32_e32 v15, 29, v15
	v_cndmask_b32_e32 v14, 0, v20, vcc
	v_cndmask_b32_e32 v18, v18, v15, vcc
	v_lshlrev_b64 v[14:15], v14, v[16:17]
	v_lshlrev_b32_e32 v14, 20, v14
	v_lshlrev_b32_e32 v15, 24, v16
	v_bfrev_b32_e32 v20, 60
	v_and_b32_e32 v14, 0x700000, v14
	v_and_b32_e32 v15, 0x80000000, v15
	v_lshl_add_u32 v18, v18, 23, v20
	v_or3_b32 v14, v15, v18, v14
	v_lshrrev_b32_e32 v20, 16, v14
.LBB817_542:
	s_or_b64 exec, exec, s[24:25]
.LBB817_543:
	s_or_b64 exec, exec, s[14:15]
.LBB817_544:
	s_or_b64 exec, exec, s[12:13]
	v_lshrrev_b16_e32 v14, 8, v16
	v_cmp_ne_u16_e32 vcc, 0, v14
	s_and_saveexec_b64 s[12:13], vcc
	s_cbranch_execz .LBB817_550
; %bb.545:
	s_movk_i32 s11, 0x80
	v_cmp_ne_u16_e32 vcc, s11, v14
	v_mov_b32_e32 v19, 0xffff8000
	s_and_saveexec_b64 s[14:15], vcc
	s_cbranch_execz .LBB817_549
; %bb.546:
	s_movk_i32 s11, 0x7f
	v_and_b32_e32 v15, 0x7f, v14
	v_cmp_ne_u32_e32 vcc, s11, v15
	v_mov_b32_e32 v19, 0x7f80
	s_and_saveexec_b64 s[24:25], vcc
	s_cbranch_execz .LBB817_548
; %bb.547:
	v_and_b32_e32 v21, 7, v14
	v_ffbh_u32_e32 v18, v21
	v_min_u32_e32 v23, 32, v18
	v_subrev_u32_e32 v18, 28, v23
	v_lshlrev_b64 v[18:19], v18, v[14:15]
	v_lshrrev_b32_e32 v22, 3, v15
	v_sub_u32_e32 v14, 29, v23
	v_and_b32_e32 v18, 7, v18
	v_cmp_gt_u32_e32 vcc, 8, v15
	v_cndmask_b32_e32 v14, v22, v14, vcc
	v_cndmask_b32_e32 v15, v21, v18, vcc
	v_lshlrev_b32_e32 v18, 16, v16
	v_bfrev_b32_e32 v19, 60
	v_lshlrev_b32_e32 v15, 20, v15
	v_and_b32_e32 v18, 0x80000000, v18
	v_lshl_add_u32 v14, v14, 23, v19
	v_or3_b32 v14, v18, v14, v15
	v_lshrrev_b32_e32 v19, 16, v14
.LBB817_548:
	s_or_b64 exec, exec, s[24:25]
.LBB817_549:
	s_or_b64 exec, exec, s[14:15]
.LBB817_550:
	s_or_b64 exec, exec, s[12:13]
	s_movk_i32 s11, 0xff
	v_and_b32_sdwa v18, v16, s11 dst_sel:DWORD dst_unused:UNUSED_PAD src0_sel:WORD_1 src1_sel:DWORD
	v_lshrrev_b32_e32 v14, 16, v16
	v_cmp_ne_u16_e32 vcc, 0, v18
	v_mov_b32_e32 v15, 0
	v_mov_b32_e32 v21, 0
	s_and_saveexec_b64 s[12:13], vcc
	s_cbranch_execz .LBB817_556
; %bb.551:
	s_movk_i32 s11, 0x80
	v_cmp_ne_u16_e32 vcc, s11, v18
	v_mov_b32_e32 v21, 0xffff8000
	s_and_saveexec_b64 s[14:15], vcc
	s_cbranch_execz .LBB817_555
; %bb.552:
	v_bfe_u32 v18, v16, 16, 7
	s_movk_i32 s11, 0x7f
	v_cmp_ne_u32_e32 vcc, s11, v18
	v_mov_b32_e32 v21, 0x7f80
	s_and_saveexec_b64 s[24:25], vcc
	s_cbranch_execz .LBB817_554
; %bb.553:
	v_and_b32_e32 v21, 7, v14
	v_ffbh_u32_e32 v22, v21
	v_min_u32_e32 v25, 32, v22
	v_subrev_u32_e32 v22, 28, v25
	v_lshlrev_b64 v[22:23], v22, v[14:15]
	v_and_b32_e32 v22, 7, v22
	v_cmp_gt_u32_e32 vcc, 8, v18
	v_lshrrev_b32_e32 v24, 3, v18
	v_sub_u32_e32 v14, 29, v25
	v_cndmask_b32_e32 v18, v21, v22, vcc
	v_mov_b32_e32 v21, 24
	v_cndmask_b32_e32 v14, v24, v14, vcc
	v_lshlrev_b32_sdwa v21, v21, v16 dst_sel:DWORD dst_unused:UNUSED_PAD src0_sel:DWORD src1_sel:WORD_1
	v_bfrev_b32_e32 v22, 60
	v_lshlrev_b32_e32 v18, 20, v18
	v_and_b32_e32 v21, 0x80000000, v21
	v_lshl_add_u32 v14, v14, 23, v22
	v_or3_b32 v14, v21, v14, v18
	v_lshrrev_b32_e32 v21, 16, v14
.LBB817_554:
	s_or_b64 exec, exec, s[24:25]
.LBB817_555:
	s_or_b64 exec, exec, s[14:15]
.LBB817_556:
	s_or_b64 exec, exec, s[12:13]
	s_mov_b32 s11, 0xffffff
	v_cmp_lt_u32_e32 vcc, s11, v16
	v_mov_b32_e32 v22, 0
	s_and_saveexec_b64 s[12:13], vcc
	s_cbranch_execz .LBB817_562
; %bb.557:
	v_lshrrev_b32_e32 v14, 24, v16
	s_movk_i32 s11, 0x80
	v_cmp_ne_u32_e32 vcc, s11, v14
	v_mov_b32_e32 v22, 0xffff8000
	s_and_saveexec_b64 s[14:15], vcc
	s_cbranch_execz .LBB817_561
; %bb.558:
	v_bfe_u32 v18, v16, 24, 7
	s_movk_i32 s11, 0x7f
	v_cmp_ne_u32_e32 vcc, s11, v18
	v_mov_b32_e32 v22, 0x7f80
	s_and_saveexec_b64 s[24:25], vcc
	s_cbranch_execz .LBB817_560
; %bb.559:
	v_and_b32_e32 v24, 7, v14
	v_ffbh_u32_e32 v22, v24
	v_min_u32_e32 v26, 32, v22
	v_subrev_u32_e32 v22, 28, v26
	v_lshlrev_b64 v[22:23], v22, v[14:15]
	v_lshrrev_b32_e32 v25, 3, v18
	v_sub_u32_e32 v23, 29, v26
	v_and_b32_e32 v22, 7, v22
	v_cmp_gt_u32_e32 vcc, 8, v18
	v_cndmask_b32_e32 v18, v25, v23, vcc
	v_cndmask_b32_e32 v22, v24, v22, vcc
	v_lshlrev_b32_e32 v14, 24, v14
	v_bfrev_b32_e32 v23, 60
	v_lshlrev_b32_e32 v22, 20, v22
	v_and_b32_e32 v14, 0x80000000, v14
	v_lshl_add_u32 v18, v18, 23, v23
	v_or3_b32 v14, v14, v18, v22
	v_lshrrev_b32_e32 v22, 16, v14
.LBB817_560:
	s_or_b64 exec, exec, s[24:25]
.LBB817_561:
	s_or_b64 exec, exec, s[14:15]
.LBB817_562:
	s_or_b64 exec, exec, s[12:13]
	v_mov_b32_e32 v23, 0
	v_mov_b32_e32 v14, v17
	v_cmp_ne_u16_sdwa s[14:15], v17, v23 src0_sel:BYTE_0 src1_sel:DWORD
	v_mov_b32_e32 v24, 0
	s_and_saveexec_b64 s[12:13], s[14:15]
	s_cbranch_execz .LBB817_568
; %bb.563:
	s_movk_i32 s11, 0x80
	v_cmp_ne_u16_sdwa s[24:25], v17, s11 src0_sel:BYTE_0 src1_sel:DWORD
	v_mov_b32_e32 v24, 0xffff8000
	s_and_saveexec_b64 s[14:15], s[24:25]
	s_cbranch_execz .LBB817_567
; %bb.564:
	s_movk_i32 s11, 0x7f
	v_and_b32_e32 v18, 0x7f, v17
	v_cmp_ne_u32_e32 vcc, s11, v18
	v_mov_b32_e32 v24, 0x7f80
	s_and_saveexec_b64 s[24:25], vcc
	s_cbranch_execz .LBB817_566
; %bb.565:
	v_and_b32_e32 v24, 7, v17
	v_ffbh_u32_e32 v24, v24
	v_min_u32_e32 v24, 32, v24
	v_lshrrev_b32_e32 v25, 3, v18
	v_subrev_u32_e32 v26, 28, v24
	v_sub_u32_e32 v24, 29, v24
	v_cmp_gt_u32_e32 vcc, 8, v18
	v_cndmask_b32_e32 v18, v25, v24, vcc
	v_cndmask_b32_e32 v24, 0, v26, vcc
	v_lshlrev_b64 v[24:25], v24, v[14:15]
	v_lshlrev_b32_e32 v15, 20, v24
	v_lshlrev_b32_e32 v24, 24, v14
	v_bfrev_b32_e32 v25, 60
	v_and_b32_e32 v15, 0x700000, v15
	v_and_b32_e32 v24, 0x80000000, v24
	v_lshl_add_u32 v18, v18, 23, v25
	v_or3_b32 v15, v24, v18, v15
	v_lshrrev_b32_e32 v24, 16, v15
.LBB817_566:
	s_or_b64 exec, exec, s[24:25]
.LBB817_567:
	s_or_b64 exec, exec, s[14:15]
.LBB817_568:
	s_or_b64 exec, exec, s[12:13]
	v_lshrrev_b16_e32 v18, 8, v14
	v_cmp_ne_u16_e32 vcc, 0, v18
	s_and_saveexec_b64 s[12:13], vcc
	s_cbranch_execz .LBB817_574
; %bb.569:
	s_movk_i32 s11, 0x80
	v_cmp_ne_u16_e32 vcc, s11, v18
	v_mov_b32_e32 v23, 0xffff8000
	s_and_saveexec_b64 s[14:15], vcc
	s_cbranch_execz .LBB817_573
; %bb.570:
	s_movk_i32 s11, 0x7f
	v_and_b32_e32 v15, 0x7f, v18
	v_cmp_ne_u32_e32 vcc, s11, v15
	v_mov_b32_e32 v23, 0x7f80
	s_and_saveexec_b64 s[24:25], vcc
	s_cbranch_execz .LBB817_572
; %bb.571:
	v_and_b32_e32 v23, 7, v18
	v_ffbh_u32_e32 v26, v23
	v_min_u32_e32 v28, 32, v26
	v_subrev_u32_e32 v26, 28, v28
	v_lshlrev_b64 v[26:27], v26, v[18:19]
	v_lshrrev_b32_e32 v25, 3, v15
	v_sub_u32_e32 v18, 29, v28
	v_and_b32_e32 v26, 7, v26
	v_cmp_gt_u32_e32 vcc, 8, v15
	v_cndmask_b32_e32 v15, v25, v18, vcc
	v_cndmask_b32_e32 v18, v23, v26, vcc
	v_lshlrev_b32_e32 v14, 16, v14
	v_bfrev_b32_e32 v23, 60
	v_lshlrev_b32_e32 v18, 20, v18
	v_and_b32_e32 v14, 0x80000000, v14
	v_lshl_add_u32 v15, v15, 23, v23
	v_or3_b32 v14, v14, v15, v18
	v_lshrrev_b32_e32 v23, 16, v14
.LBB817_572:
	s_or_b64 exec, exec, s[24:25]
.LBB817_573:
	s_or_b64 exec, exec, s[14:15]
.LBB817_574:
	s_or_b64 exec, exec, s[12:13]
	s_movk_i32 s11, 0xff
	v_and_b32_sdwa v25, v17, s11 dst_sel:DWORD dst_unused:UNUSED_PAD src0_sel:WORD_1 src1_sel:DWORD
	v_lshrrev_b32_e32 v14, 16, v17
	v_cmp_ne_u16_e32 vcc, 0, v25
	v_mov_b32_e32 v15, 0
	v_mov_b32_e32 v18, 0
	s_and_saveexec_b64 s[12:13], vcc
	s_cbranch_execz .LBB817_580
; %bb.575:
	s_movk_i32 s11, 0x80
	v_cmp_ne_u16_e32 vcc, s11, v25
	v_mov_b32_e32 v18, 0xffff8000
	s_and_saveexec_b64 s[14:15], vcc
	s_cbranch_execz .LBB817_579
; %bb.576:
	v_bfe_u32 v25, v17, 16, 7
	s_movk_i32 s11, 0x7f
	v_cmp_ne_u32_e32 vcc, s11, v25
	v_mov_b32_e32 v18, 0x7f80
	s_and_saveexec_b64 s[24:25], vcc
	s_cbranch_execz .LBB817_578
; %bb.577:
	v_and_b32_e32 v18, 7, v14
	v_ffbh_u32_e32 v26, v18
	v_min_u32_e32 v29, 32, v26
	v_subrev_u32_e32 v26, 28, v29
	v_lshlrev_b64 v[26:27], v26, v[14:15]
	v_lshrrev_b32_e32 v28, 3, v25
	v_sub_u32_e32 v14, 29, v29
	v_and_b32_e32 v26, 7, v26
	v_cmp_gt_u32_e32 vcc, 8, v25
	v_mov_b32_e32 v25, 24
	v_cndmask_b32_e32 v14, v28, v14, vcc
	v_cndmask_b32_e32 v18, v18, v26, vcc
	v_lshlrev_b32_sdwa v25, v25, v17 dst_sel:DWORD dst_unused:UNUSED_PAD src0_sel:DWORD src1_sel:WORD_1
	v_bfrev_b32_e32 v26, 60
	v_lshlrev_b32_e32 v18, 20, v18
	v_and_b32_e32 v25, 0x80000000, v25
	v_lshl_add_u32 v14, v14, 23, v26
	v_or3_b32 v14, v25, v14, v18
	v_lshrrev_b32_e32 v18, 16, v14
.LBB817_578:
	s_or_b64 exec, exec, s[24:25]
.LBB817_579:
	s_or_b64 exec, exec, s[14:15]
.LBB817_580:
	s_or_b64 exec, exec, s[12:13]
	s_mov_b32 s12, -1
	s_mov_b32 s13, 0xffffff
	v_cmp_lt_u64_e32 vcc, s[12:13], v[16:17]
	s_and_saveexec_b64 s[12:13], vcc
	s_cbranch_execz .LBB817_586
; %bb.581:
	v_lshrrev_b32_e32 v14, 24, v17
	s_movk_i32 s11, 0x80
	v_cmp_ne_u32_e32 vcc, s11, v14
	v_mov_b32_e32 v15, 0xffff8000
	s_and_saveexec_b64 s[14:15], vcc
	s_cbranch_execz .LBB817_585
; %bb.582:
	v_bfe_u32 v16, v17, 24, 7
	s_movk_i32 s11, 0x7f
	v_cmp_ne_u32_e32 vcc, s11, v16
	v_mov_b32_e32 v15, 0x7f80
	s_and_saveexec_b64 s[24:25], vcc
	s_cbranch_execz .LBB817_584
; %bb.583:
	v_and_b32_e32 v15, 7, v14
	v_ffbh_u32_e32 v25, v15
	v_min_u32_e32 v25, 32, v25
	v_subrev_u32_e32 v26, 28, v25
	v_lshlrev_b64 v[26:27], v26, v[14:15]
	v_lshrrev_b32_e32 v17, 3, v16
	v_sub_u32_e32 v25, 29, v25
	v_and_b32_e32 v26, 7, v26
	v_cmp_gt_u32_e32 vcc, 8, v16
	v_cndmask_b32_e32 v16, v17, v25, vcc
	v_cndmask_b32_e32 v15, v15, v26, vcc
	v_lshlrev_b32_e32 v14, 24, v14
	v_bfrev_b32_e32 v17, 60
	v_lshlrev_b32_e32 v15, 20, v15
	v_and_b32_e32 v14, 0x80000000, v14
	v_lshl_add_u32 v16, v16, 23, v17
	v_or3_b32 v14, v14, v16, v15
	v_lshrrev_b32_e32 v15, 16, v14
.LBB817_584:
	s_or_b64 exec, exec, s[24:25]
.LBB817_585:
	s_or_b64 exec, exec, s[14:15]
.LBB817_586:
	s_or_b64 exec, exec, s[12:13]
	s_mov_b32 s11, 0x5040100
	v_perm_b32 v17, v22, v21, s11
	v_perm_b32 v16, v19, v20, s11
	;; [unrolled: 1-line block ×4, first 2 shown]
	v_mfma_f32_4x4x4bf16_1k a[0:3], v[2:3], v[16:17], a[0:3] cbsz:4 abid:11
	v_mov_b32_e32 v17, 0
	v_mfma_f32_4x4x4bf16_1k a[0:3], v[4:5], v[14:15], a[0:3] cbsz:4 abid:11
	s_waitcnt vmcnt(17)
	v_cmp_ne_u16_sdwa s[14:15], v10, v17 src0_sel:BYTE_0 src1_sel:DWORD
	v_mov_b32_e32 v18, 0
	s_and_saveexec_b64 s[12:13], s[14:15]
	s_cbranch_execz .LBB817_592
; %bb.587:
	s_movk_i32 s11, 0x80
	v_cmp_ne_u16_sdwa s[24:25], v10, s11 src0_sel:BYTE_0 src1_sel:DWORD
	v_mov_b32_e32 v18, 0xffff8000
	s_and_saveexec_b64 s[14:15], s[24:25]
	s_cbranch_execz .LBB817_591
; %bb.588:
	s_movk_i32 s11, 0x7f
	v_and_b32_e32 v14, 0x7f, v10
	v_cmp_ne_u32_e32 vcc, s11, v14
	v_mov_b32_e32 v18, 0x7f80
	s_and_saveexec_b64 s[24:25], vcc
	s_cbranch_execz .LBB817_590
; %bb.589:
	v_and_b32_e32 v15, 7, v10
	v_ffbh_u32_e32 v15, v15
	v_min_u32_e32 v15, 32, v15
	v_subrev_u32_e32 v18, 28, v15
	v_cmp_gt_u32_e32 vcc, 8, v14
	v_lshrrev_b32_e32 v16, 3, v14
	v_sub_u32_e32 v15, 29, v15
	v_cndmask_b32_e32 v14, 0, v18, vcc
	v_cndmask_b32_e32 v16, v16, v15, vcc
	v_lshlrev_b64 v[14:15], v14, v[10:11]
	v_lshlrev_b32_e32 v14, 20, v14
	v_lshlrev_b32_e32 v15, 24, v10
	v_bfrev_b32_e32 v18, 60
	v_and_b32_e32 v14, 0x700000, v14
	v_and_b32_e32 v15, 0x80000000, v15
	v_lshl_add_u32 v16, v16, 23, v18
	v_or3_b32 v14, v15, v16, v14
	v_lshrrev_b32_e32 v18, 16, v14
.LBB817_590:
	s_or_b64 exec, exec, s[24:25]
.LBB817_591:
	s_or_b64 exec, exec, s[14:15]
.LBB817_592:
	s_or_b64 exec, exec, s[12:13]
	v_lshrrev_b16_e32 v14, 8, v10
	v_cmp_ne_u16_e32 vcc, 0, v14
	s_and_saveexec_b64 s[12:13], vcc
	s_cbranch_execz .LBB817_598
; %bb.593:
	s_movk_i32 s11, 0x80
	v_cmp_ne_u16_e32 vcc, s11, v14
	v_mov_b32_e32 v17, 0xffff8000
	s_and_saveexec_b64 s[14:15], vcc
	s_cbranch_execz .LBB817_597
; %bb.594:
	s_movk_i32 s11, 0x7f
	v_and_b32_e32 v15, 0x7f, v14
	v_cmp_ne_u32_e32 vcc, s11, v15
	v_mov_b32_e32 v17, 0x7f80
	s_and_saveexec_b64 s[24:25], vcc
	s_cbranch_execz .LBB817_596
; %bb.595:
	v_and_b32_e32 v19, 7, v14
	v_ffbh_u32_e32 v16, v19
	v_min_u32_e32 v21, 32, v16
	v_subrev_u32_e32 v16, 28, v21
	v_lshlrev_b64 v[16:17], v16, v[14:15]
	v_lshrrev_b32_e32 v20, 3, v15
	v_sub_u32_e32 v14, 29, v21
	v_and_b32_e32 v16, 7, v16
	v_cmp_gt_u32_e32 vcc, 8, v15
	v_cndmask_b32_e32 v14, v20, v14, vcc
	v_cndmask_b32_e32 v15, v19, v16, vcc
	v_lshlrev_b32_e32 v16, 16, v10
	v_bfrev_b32_e32 v17, 60
	v_lshlrev_b32_e32 v15, 20, v15
	v_and_b32_e32 v16, 0x80000000, v16
	v_lshl_add_u32 v14, v14, 23, v17
	v_or3_b32 v14, v16, v14, v15
	v_lshrrev_b32_e32 v17, 16, v14
.LBB817_596:
	s_or_b64 exec, exec, s[24:25]
.LBB817_597:
	s_or_b64 exec, exec, s[14:15]
.LBB817_598:
	s_or_b64 exec, exec, s[12:13]
	s_movk_i32 s11, 0xff
	v_and_b32_sdwa v16, v10, s11 dst_sel:DWORD dst_unused:UNUSED_PAD src0_sel:WORD_1 src1_sel:DWORD
	v_lshrrev_b32_e32 v14, 16, v10
	v_cmp_ne_u16_e32 vcc, 0, v16
	v_mov_b32_e32 v15, 0
	v_mov_b32_e32 v19, 0
	s_and_saveexec_b64 s[12:13], vcc
	s_cbranch_execz .LBB817_604
; %bb.599:
	s_movk_i32 s11, 0x80
	v_cmp_ne_u16_e32 vcc, s11, v16
	v_mov_b32_e32 v19, 0xffff8000
	s_and_saveexec_b64 s[14:15], vcc
	s_cbranch_execz .LBB817_603
; %bb.600:
	v_bfe_u32 v16, v10, 16, 7
	s_movk_i32 s11, 0x7f
	v_cmp_ne_u32_e32 vcc, s11, v16
	v_mov_b32_e32 v19, 0x7f80
	s_and_saveexec_b64 s[24:25], vcc
	s_cbranch_execz .LBB817_602
; %bb.601:
	v_and_b32_e32 v19, 7, v14
	v_ffbh_u32_e32 v20, v19
	v_min_u32_e32 v23, 32, v20
	v_subrev_u32_e32 v20, 28, v23
	v_lshlrev_b64 v[20:21], v20, v[14:15]
	v_and_b32_e32 v20, 7, v20
	v_cmp_gt_u32_e32 vcc, 8, v16
	v_lshrrev_b32_e32 v22, 3, v16
	v_sub_u32_e32 v14, 29, v23
	v_cndmask_b32_e32 v16, v19, v20, vcc
	v_mov_b32_e32 v19, 24
	v_cndmask_b32_e32 v14, v22, v14, vcc
	v_lshlrev_b32_sdwa v19, v19, v10 dst_sel:DWORD dst_unused:UNUSED_PAD src0_sel:DWORD src1_sel:WORD_1
	v_bfrev_b32_e32 v20, 60
	v_lshlrev_b32_e32 v16, 20, v16
	v_and_b32_e32 v19, 0x80000000, v19
	v_lshl_add_u32 v14, v14, 23, v20
	v_or3_b32 v14, v19, v14, v16
	v_lshrrev_b32_e32 v19, 16, v14
.LBB817_602:
	s_or_b64 exec, exec, s[24:25]
.LBB817_603:
	s_or_b64 exec, exec, s[14:15]
.LBB817_604:
	s_or_b64 exec, exec, s[12:13]
	s_mov_b32 s11, 0xffffff
	v_cmp_lt_u32_e32 vcc, s11, v10
	v_mov_b32_e32 v20, 0
	s_and_saveexec_b64 s[12:13], vcc
	s_cbranch_execz .LBB817_610
; %bb.605:
	v_lshrrev_b32_e32 v14, 24, v10
	s_movk_i32 s11, 0x80
	v_cmp_ne_u32_e32 vcc, s11, v14
	v_mov_b32_e32 v20, 0xffff8000
	s_and_saveexec_b64 s[14:15], vcc
	s_cbranch_execz .LBB817_609
; %bb.606:
	v_bfe_u32 v16, v10, 24, 7
	s_movk_i32 s11, 0x7f
	v_cmp_ne_u32_e32 vcc, s11, v16
	v_mov_b32_e32 v20, 0x7f80
	s_and_saveexec_b64 s[24:25], vcc
	s_cbranch_execz .LBB817_608
; %bb.607:
	v_and_b32_e32 v22, 7, v14
	v_ffbh_u32_e32 v20, v22
	v_min_u32_e32 v24, 32, v20
	v_subrev_u32_e32 v20, 28, v24
	v_lshlrev_b64 v[20:21], v20, v[14:15]
	v_lshrrev_b32_e32 v23, 3, v16
	v_sub_u32_e32 v21, 29, v24
	v_and_b32_e32 v20, 7, v20
	v_cmp_gt_u32_e32 vcc, 8, v16
	v_cndmask_b32_e32 v16, v23, v21, vcc
	v_cndmask_b32_e32 v20, v22, v20, vcc
	v_lshlrev_b32_e32 v14, 24, v14
	v_bfrev_b32_e32 v21, 60
	v_lshlrev_b32_e32 v20, 20, v20
	v_and_b32_e32 v14, 0x80000000, v14
	v_lshl_add_u32 v16, v16, 23, v21
	v_or3_b32 v14, v14, v16, v20
	v_lshrrev_b32_e32 v20, 16, v14
.LBB817_608:
	s_or_b64 exec, exec, s[24:25]
.LBB817_609:
	s_or_b64 exec, exec, s[14:15]
.LBB817_610:
	s_or_b64 exec, exec, s[12:13]
	v_mov_b32_e32 v21, 0
	v_mov_b32_e32 v14, v11
	v_cmp_ne_u16_sdwa s[14:15], v11, v21 src0_sel:BYTE_0 src1_sel:DWORD
	v_mov_b32_e32 v22, 0
	s_and_saveexec_b64 s[12:13], s[14:15]
	s_cbranch_execz .LBB817_616
; %bb.611:
	s_movk_i32 s11, 0x80
	v_cmp_ne_u16_sdwa s[24:25], v11, s11 src0_sel:BYTE_0 src1_sel:DWORD
	v_mov_b32_e32 v22, 0xffff8000
	s_and_saveexec_b64 s[14:15], s[24:25]
	s_cbranch_execz .LBB817_615
; %bb.612:
	s_movk_i32 s11, 0x7f
	v_and_b32_e32 v16, 0x7f, v11
	v_cmp_ne_u32_e32 vcc, s11, v16
	v_mov_b32_e32 v22, 0x7f80
	s_and_saveexec_b64 s[24:25], vcc
	s_cbranch_execz .LBB817_614
; %bb.613:
	v_and_b32_e32 v22, 7, v11
	v_ffbh_u32_e32 v22, v22
	v_min_u32_e32 v22, 32, v22
	v_lshrrev_b32_e32 v23, 3, v16
	v_subrev_u32_e32 v24, 28, v22
	v_sub_u32_e32 v22, 29, v22
	v_cmp_gt_u32_e32 vcc, 8, v16
	v_cndmask_b32_e32 v16, v23, v22, vcc
	v_cndmask_b32_e32 v22, 0, v24, vcc
	v_lshlrev_b64 v[22:23], v22, v[14:15]
	v_lshlrev_b32_e32 v15, 20, v22
	v_lshlrev_b32_e32 v22, 24, v14
	v_bfrev_b32_e32 v23, 60
	v_and_b32_e32 v15, 0x700000, v15
	v_and_b32_e32 v22, 0x80000000, v22
	v_lshl_add_u32 v16, v16, 23, v23
	v_or3_b32 v15, v22, v16, v15
	v_lshrrev_b32_e32 v22, 16, v15
.LBB817_614:
	s_or_b64 exec, exec, s[24:25]
.LBB817_615:
	s_or_b64 exec, exec, s[14:15]
.LBB817_616:
	s_or_b64 exec, exec, s[12:13]
	v_lshrrev_b16_e32 v16, 8, v14
	v_cmp_ne_u16_e32 vcc, 0, v16
	s_and_saveexec_b64 s[12:13], vcc
	s_cbranch_execz .LBB817_622
; %bb.617:
	s_movk_i32 s11, 0x80
	v_cmp_ne_u16_e32 vcc, s11, v16
	v_mov_b32_e32 v21, 0xffff8000
	s_and_saveexec_b64 s[14:15], vcc
	s_cbranch_execz .LBB817_621
; %bb.618:
	s_movk_i32 s11, 0x7f
	v_and_b32_e32 v15, 0x7f, v16
	v_cmp_ne_u32_e32 vcc, s11, v15
	v_mov_b32_e32 v21, 0x7f80
	s_and_saveexec_b64 s[24:25], vcc
	s_cbranch_execz .LBB817_620
; %bb.619:
	v_and_b32_e32 v21, 7, v16
	v_ffbh_u32_e32 v24, v21
	v_min_u32_e32 v26, 32, v24
	v_subrev_u32_e32 v24, 28, v26
	v_lshlrev_b64 v[24:25], v24, v[16:17]
	v_lshrrev_b32_e32 v23, 3, v15
	v_sub_u32_e32 v16, 29, v26
	v_and_b32_e32 v24, 7, v24
	v_cmp_gt_u32_e32 vcc, 8, v15
	v_cndmask_b32_e32 v15, v23, v16, vcc
	v_cndmask_b32_e32 v16, v21, v24, vcc
	v_lshlrev_b32_e32 v14, 16, v14
	v_bfrev_b32_e32 v21, 60
	v_lshlrev_b32_e32 v16, 20, v16
	v_and_b32_e32 v14, 0x80000000, v14
	v_lshl_add_u32 v15, v15, 23, v21
	v_or3_b32 v14, v14, v15, v16
	v_lshrrev_b32_e32 v21, 16, v14
.LBB817_620:
	s_or_b64 exec, exec, s[24:25]
.LBB817_621:
	s_or_b64 exec, exec, s[14:15]
.LBB817_622:
	s_or_b64 exec, exec, s[12:13]
	s_movk_i32 s11, 0xff
	v_and_b32_sdwa v23, v11, s11 dst_sel:DWORD dst_unused:UNUSED_PAD src0_sel:WORD_1 src1_sel:DWORD
	v_lshrrev_b32_e32 v14, 16, v11
	v_cmp_ne_u16_e32 vcc, 0, v23
	v_mov_b32_e32 v15, 0
	v_mov_b32_e32 v16, 0
	s_and_saveexec_b64 s[12:13], vcc
	s_cbranch_execz .LBB817_628
; %bb.623:
	s_movk_i32 s11, 0x80
	v_cmp_ne_u16_e32 vcc, s11, v23
	v_mov_b32_e32 v16, 0xffff8000
	s_and_saveexec_b64 s[14:15], vcc
	s_cbranch_execz .LBB817_627
; %bb.624:
	v_bfe_u32 v23, v11, 16, 7
	s_movk_i32 s11, 0x7f
	v_cmp_ne_u32_e32 vcc, s11, v23
	v_mov_b32_e32 v16, 0x7f80
	s_and_saveexec_b64 s[24:25], vcc
	s_cbranch_execz .LBB817_626
; %bb.625:
	v_and_b32_e32 v16, 7, v14
	v_ffbh_u32_e32 v24, v16
	v_min_u32_e32 v27, 32, v24
	v_subrev_u32_e32 v24, 28, v27
	v_lshlrev_b64 v[24:25], v24, v[14:15]
	v_lshrrev_b32_e32 v26, 3, v23
	v_sub_u32_e32 v14, 29, v27
	v_and_b32_e32 v24, 7, v24
	v_cmp_gt_u32_e32 vcc, 8, v23
	v_mov_b32_e32 v23, 24
	v_cndmask_b32_e32 v14, v26, v14, vcc
	v_cndmask_b32_e32 v16, v16, v24, vcc
	v_lshlrev_b32_sdwa v23, v23, v11 dst_sel:DWORD dst_unused:UNUSED_PAD src0_sel:DWORD src1_sel:WORD_1
	v_bfrev_b32_e32 v24, 60
	v_lshlrev_b32_e32 v16, 20, v16
	v_and_b32_e32 v23, 0x80000000, v23
	v_lshl_add_u32 v14, v14, 23, v24
	v_or3_b32 v14, v23, v14, v16
	v_lshrrev_b32_e32 v16, 16, v14
.LBB817_626:
	s_or_b64 exec, exec, s[24:25]
.LBB817_627:
	s_or_b64 exec, exec, s[14:15]
.LBB817_628:
	s_or_b64 exec, exec, s[12:13]
	s_mov_b32 s12, -1
	s_mov_b32 s13, 0xffffff
	v_cmp_lt_u64_e32 vcc, s[12:13], v[10:11]
	s_and_saveexec_b64 s[12:13], vcc
	s_cbranch_execz .LBB817_634
; %bb.629:
	v_lshrrev_b32_e32 v10, 24, v11
	s_movk_i32 s11, 0x80
	v_cmp_ne_u32_e32 vcc, s11, v10
	v_mov_b32_e32 v15, 0xffff8000
	s_and_saveexec_b64 s[14:15], vcc
	s_cbranch_execz .LBB817_633
; %bb.630:
	v_bfe_u32 v11, v11, 24, 7
	s_movk_i32 s11, 0x7f
	v_cmp_ne_u32_e32 vcc, s11, v11
	v_mov_b32_e32 v15, 0x7f80
	s_and_saveexec_b64 s[24:25], vcc
	s_cbranch_execz .LBB817_632
; %bb.631:
	v_and_b32_e32 v23, 7, v10
	v_ffbh_u32_e32 v14, v23
	v_min_u32_e32 v25, 32, v14
	v_subrev_u32_e32 v14, 28, v25
	v_lshlrev_b64 v[14:15], v14, v[10:11]
	v_lshrrev_b32_e32 v24, 3, v11
	v_sub_u32_e32 v15, 29, v25
	v_and_b32_e32 v14, 7, v14
	v_cmp_gt_u32_e32 vcc, 8, v11
	v_cndmask_b32_e32 v11, v24, v15, vcc
	v_cndmask_b32_e32 v14, v23, v14, vcc
	v_lshlrev_b32_e32 v10, 24, v10
	v_bfrev_b32_e32 v15, 60
	v_lshlrev_b32_e32 v14, 20, v14
	v_and_b32_e32 v10, 0x80000000, v10
	v_lshl_add_u32 v11, v11, 23, v15
	v_or3_b32 v10, v10, v11, v14
	v_lshrrev_b32_e32 v15, 16, v10
.LBB817_632:
	s_or_b64 exec, exec, s[24:25]
.LBB817_633:
	s_or_b64 exec, exec, s[14:15]
.LBB817_634:
	s_or_b64 exec, exec, s[12:13]
	s_mov_b32 s11, 0x5040100
	v_perm_b32 v11, v20, v19, s11
	v_perm_b32 v10, v17, v18, s11
	;; [unrolled: 1-line block ×4, first 2 shown]
	v_mfma_f32_4x4x4bf16_1k a[0:3], v[2:3], v[10:11], a[0:3] cbsz:4 abid:12
	v_mov_b32_e32 v16, 0
	v_mfma_f32_4x4x4bf16_1k a[0:3], v[4:5], v[14:15], a[0:3] cbsz:4 abid:12
	v_mov_b32_e32 v15, 0
	v_cmp_ne_u16_sdwa s[14:15], v12, v15 src0_sel:BYTE_0 src1_sel:DWORD
	s_and_saveexec_b64 s[12:13], s[14:15]
	s_cbranch_execz .LBB817_640
; %bb.635:
	s_movk_i32 s11, 0x80
	v_cmp_ne_u16_sdwa s[24:25], v12, s11 src0_sel:BYTE_0 src1_sel:DWORD
	v_mov_b32_e32 v16, 0xffff8000
	s_and_saveexec_b64 s[14:15], s[24:25]
	s_cbranch_execz .LBB817_639
; %bb.636:
	s_movk_i32 s11, 0x7f
	v_and_b32_e32 v10, 0x7f, v12
	v_cmp_ne_u32_e32 vcc, s11, v10
	v_mov_b32_e32 v16, 0x7f80
	s_and_saveexec_b64 s[24:25], vcc
	s_cbranch_execz .LBB817_638
; %bb.637:
	v_and_b32_e32 v11, 7, v12
	v_ffbh_u32_e32 v11, v11
	v_min_u32_e32 v11, 32, v11
	v_subrev_u32_e32 v16, 28, v11
	v_cmp_gt_u32_e32 vcc, 8, v10
	v_lshrrev_b32_e32 v14, 3, v10
	v_sub_u32_e32 v11, 29, v11
	v_cndmask_b32_e32 v10, 0, v16, vcc
	v_cndmask_b32_e32 v14, v14, v11, vcc
	v_lshlrev_b64 v[10:11], v10, v[12:13]
	v_lshlrev_b32_e32 v10, 20, v10
	v_lshlrev_b32_e32 v11, 24, v12
	v_bfrev_b32_e32 v16, 60
	v_and_b32_e32 v10, 0x700000, v10
	v_and_b32_e32 v11, 0x80000000, v11
	v_lshl_add_u32 v14, v14, 23, v16
	v_or3_b32 v10, v11, v14, v10
	v_lshrrev_b32_e32 v16, 16, v10
.LBB817_638:
	s_or_b64 exec, exec, s[24:25]
.LBB817_639:
	s_or_b64 exec, exec, s[14:15]
.LBB817_640:
	s_or_b64 exec, exec, s[12:13]
	v_lshrrev_b16_e32 v10, 8, v12
	v_cmp_ne_u16_e32 vcc, 0, v10
	s_and_saveexec_b64 s[12:13], vcc
	s_cbranch_execz .LBB817_646
; %bb.641:
	s_movk_i32 s11, 0x80
	v_cmp_ne_u16_e32 vcc, s11, v10
	v_mov_b32_e32 v15, 0xffff8000
	s_and_saveexec_b64 s[14:15], vcc
	s_cbranch_execz .LBB817_645
; %bb.642:
	s_movk_i32 s11, 0x7f
	v_and_b32_e32 v11, 0x7f, v10
	v_cmp_ne_u32_e32 vcc, s11, v11
	v_mov_b32_e32 v15, 0x7f80
	s_and_saveexec_b64 s[24:25], vcc
	s_cbranch_execz .LBB817_644
; %bb.643:
	v_and_b32_e32 v17, 7, v10
	v_ffbh_u32_e32 v14, v17
	v_min_u32_e32 v19, 32, v14
	v_subrev_u32_e32 v14, 28, v19
	v_lshlrev_b64 v[14:15], v14, v[10:11]
	v_lshrrev_b32_e32 v18, 3, v11
	v_sub_u32_e32 v10, 29, v19
	v_and_b32_e32 v14, 7, v14
	v_cmp_gt_u32_e32 vcc, 8, v11
	v_cndmask_b32_e32 v10, v18, v10, vcc
	v_cndmask_b32_e32 v11, v17, v14, vcc
	v_lshlrev_b32_e32 v14, 16, v12
	v_bfrev_b32_e32 v15, 60
	v_lshlrev_b32_e32 v11, 20, v11
	v_and_b32_e32 v14, 0x80000000, v14
	v_lshl_add_u32 v10, v10, 23, v15
	v_or3_b32 v10, v14, v10, v11
	v_lshrrev_b32_e32 v15, 16, v10
.LBB817_644:
	s_or_b64 exec, exec, s[24:25]
.LBB817_645:
	s_or_b64 exec, exec, s[14:15]
.LBB817_646:
	s_or_b64 exec, exec, s[12:13]
	s_movk_i32 s11, 0xff
	v_and_b32_sdwa v14, v12, s11 dst_sel:DWORD dst_unused:UNUSED_PAD src0_sel:WORD_1 src1_sel:DWORD
	v_lshrrev_b32_e32 v10, 16, v12
	v_cmp_ne_u16_e32 vcc, 0, v14
	v_mov_b32_e32 v11, 0
	v_mov_b32_e32 v17, 0
	s_and_saveexec_b64 s[12:13], vcc
	s_cbranch_execz .LBB817_652
; %bb.647:
	s_movk_i32 s11, 0x80
	v_cmp_ne_u16_e32 vcc, s11, v14
	v_mov_b32_e32 v17, 0xffff8000
	s_and_saveexec_b64 s[14:15], vcc
	s_cbranch_execz .LBB817_651
; %bb.648:
	v_bfe_u32 v14, v12, 16, 7
	s_movk_i32 s11, 0x7f
	v_cmp_ne_u32_e32 vcc, s11, v14
	v_mov_b32_e32 v17, 0x7f80
	s_and_saveexec_b64 s[24:25], vcc
	s_cbranch_execz .LBB817_650
; %bb.649:
	v_and_b32_e32 v17, 7, v10
	v_ffbh_u32_e32 v18, v17
	v_min_u32_e32 v21, 32, v18
	v_subrev_u32_e32 v18, 28, v21
	v_lshlrev_b64 v[18:19], v18, v[10:11]
	v_and_b32_e32 v18, 7, v18
	v_cmp_gt_u32_e32 vcc, 8, v14
	v_lshrrev_b32_e32 v20, 3, v14
	v_sub_u32_e32 v10, 29, v21
	v_cndmask_b32_e32 v14, v17, v18, vcc
	v_mov_b32_e32 v17, 24
	v_cndmask_b32_e32 v10, v20, v10, vcc
	v_lshlrev_b32_sdwa v17, v17, v12 dst_sel:DWORD dst_unused:UNUSED_PAD src0_sel:DWORD src1_sel:WORD_1
	v_bfrev_b32_e32 v18, 60
	v_lshlrev_b32_e32 v14, 20, v14
	v_and_b32_e32 v17, 0x80000000, v17
	v_lshl_add_u32 v10, v10, 23, v18
	v_or3_b32 v10, v17, v10, v14
	v_lshrrev_b32_e32 v17, 16, v10
.LBB817_650:
	s_or_b64 exec, exec, s[24:25]
.LBB817_651:
	s_or_b64 exec, exec, s[14:15]
.LBB817_652:
	s_or_b64 exec, exec, s[12:13]
	s_mov_b32 s11, 0xffffff
	v_cmp_lt_u32_e32 vcc, s11, v12
	v_mov_b32_e32 v18, 0
	s_and_saveexec_b64 s[12:13], vcc
	s_cbranch_execz .LBB817_658
; %bb.653:
	v_lshrrev_b32_e32 v10, 24, v12
	s_movk_i32 s11, 0x80
	v_cmp_ne_u32_e32 vcc, s11, v10
	v_mov_b32_e32 v18, 0xffff8000
	s_and_saveexec_b64 s[14:15], vcc
	s_cbranch_execz .LBB817_657
; %bb.654:
	v_bfe_u32 v14, v12, 24, 7
	s_movk_i32 s11, 0x7f
	v_cmp_ne_u32_e32 vcc, s11, v14
	v_mov_b32_e32 v18, 0x7f80
	s_and_saveexec_b64 s[24:25], vcc
	s_cbranch_execz .LBB817_656
; %bb.655:
	v_and_b32_e32 v20, 7, v10
	v_ffbh_u32_e32 v18, v20
	v_min_u32_e32 v22, 32, v18
	v_subrev_u32_e32 v18, 28, v22
	v_lshlrev_b64 v[18:19], v18, v[10:11]
	v_lshrrev_b32_e32 v21, 3, v14
	v_sub_u32_e32 v19, 29, v22
	v_and_b32_e32 v18, 7, v18
	v_cmp_gt_u32_e32 vcc, 8, v14
	v_cndmask_b32_e32 v14, v21, v19, vcc
	v_cndmask_b32_e32 v18, v20, v18, vcc
	v_lshlrev_b32_e32 v10, 24, v10
	v_bfrev_b32_e32 v19, 60
	v_lshlrev_b32_e32 v18, 20, v18
	v_and_b32_e32 v10, 0x80000000, v10
	v_lshl_add_u32 v14, v14, 23, v19
	v_or3_b32 v10, v10, v14, v18
	v_lshrrev_b32_e32 v18, 16, v10
.LBB817_656:
	s_or_b64 exec, exec, s[24:25]
.LBB817_657:
	s_or_b64 exec, exec, s[14:15]
.LBB817_658:
	s_or_b64 exec, exec, s[12:13]
	v_mov_b32_e32 v19, 0
	v_mov_b32_e32 v10, v13
	v_cmp_ne_u16_sdwa s[14:15], v13, v19 src0_sel:BYTE_0 src1_sel:DWORD
	v_mov_b32_e32 v20, 0
	s_and_saveexec_b64 s[12:13], s[14:15]
	s_cbranch_execz .LBB817_664
; %bb.659:
	s_movk_i32 s11, 0x80
	v_cmp_ne_u16_sdwa s[24:25], v13, s11 src0_sel:BYTE_0 src1_sel:DWORD
	v_mov_b32_e32 v20, 0xffff8000
	s_and_saveexec_b64 s[14:15], s[24:25]
	s_cbranch_execz .LBB817_663
; %bb.660:
	s_movk_i32 s11, 0x7f
	v_and_b32_e32 v14, 0x7f, v13
	v_cmp_ne_u32_e32 vcc, s11, v14
	v_mov_b32_e32 v20, 0x7f80
	s_and_saveexec_b64 s[24:25], vcc
	s_cbranch_execz .LBB817_662
; %bb.661:
	v_and_b32_e32 v20, 7, v13
	v_ffbh_u32_e32 v20, v20
	v_min_u32_e32 v20, 32, v20
	v_lshrrev_b32_e32 v21, 3, v14
	v_subrev_u32_e32 v22, 28, v20
	v_sub_u32_e32 v20, 29, v20
	v_cmp_gt_u32_e32 vcc, 8, v14
	v_cndmask_b32_e32 v14, v21, v20, vcc
	v_cndmask_b32_e32 v20, 0, v22, vcc
	v_lshlrev_b64 v[20:21], v20, v[10:11]
	v_lshlrev_b32_e32 v11, 20, v20
	v_lshlrev_b32_e32 v20, 24, v10
	v_bfrev_b32_e32 v21, 60
	v_and_b32_e32 v11, 0x700000, v11
	v_and_b32_e32 v20, 0x80000000, v20
	v_lshl_add_u32 v14, v14, 23, v21
	v_or3_b32 v11, v20, v14, v11
	v_lshrrev_b32_e32 v20, 16, v11
.LBB817_662:
	s_or_b64 exec, exec, s[24:25]
.LBB817_663:
	s_or_b64 exec, exec, s[14:15]
.LBB817_664:
	s_or_b64 exec, exec, s[12:13]
	v_lshrrev_b16_e32 v14, 8, v10
	v_cmp_ne_u16_e32 vcc, 0, v14
	s_and_saveexec_b64 s[12:13], vcc
	s_cbranch_execz .LBB817_670
; %bb.665:
	s_movk_i32 s11, 0x80
	v_cmp_ne_u16_e32 vcc, s11, v14
	v_mov_b32_e32 v19, 0xffff8000
	s_and_saveexec_b64 s[14:15], vcc
	s_cbranch_execz .LBB817_669
; %bb.666:
	s_movk_i32 s11, 0x7f
	v_and_b32_e32 v11, 0x7f, v14
	v_cmp_ne_u32_e32 vcc, s11, v11
	v_mov_b32_e32 v19, 0x7f80
	s_and_saveexec_b64 s[24:25], vcc
	s_cbranch_execz .LBB817_668
; %bb.667:
	v_and_b32_e32 v19, 7, v14
	v_ffbh_u32_e32 v22, v19
	v_min_u32_e32 v24, 32, v22
	v_subrev_u32_e32 v22, 28, v24
	v_lshlrev_b64 v[22:23], v22, v[14:15]
	v_lshrrev_b32_e32 v21, 3, v11
	v_sub_u32_e32 v14, 29, v24
	v_and_b32_e32 v22, 7, v22
	v_cmp_gt_u32_e32 vcc, 8, v11
	v_cndmask_b32_e32 v11, v21, v14, vcc
	v_cndmask_b32_e32 v14, v19, v22, vcc
	v_lshlrev_b32_e32 v10, 16, v10
	v_bfrev_b32_e32 v19, 60
	v_lshlrev_b32_e32 v14, 20, v14
	v_and_b32_e32 v10, 0x80000000, v10
	v_lshl_add_u32 v11, v11, 23, v19
	v_or3_b32 v10, v10, v11, v14
	v_lshrrev_b32_e32 v19, 16, v10
.LBB817_668:
	s_or_b64 exec, exec, s[24:25]
.LBB817_669:
	s_or_b64 exec, exec, s[14:15]
.LBB817_670:
	s_or_b64 exec, exec, s[12:13]
	s_movk_i32 s11, 0xff
	v_and_b32_sdwa v21, v13, s11 dst_sel:DWORD dst_unused:UNUSED_PAD src0_sel:WORD_1 src1_sel:DWORD
	v_lshrrev_b32_e32 v10, 16, v13
	v_cmp_ne_u16_e32 vcc, 0, v21
	v_mov_b32_e32 v11, 0
	v_mov_b32_e32 v14, 0
	s_and_saveexec_b64 s[12:13], vcc
	s_cbranch_execz .LBB817_676
; %bb.671:
	s_movk_i32 s11, 0x80
	v_cmp_ne_u16_e32 vcc, s11, v21
	v_mov_b32_e32 v14, 0xffff8000
	s_and_saveexec_b64 s[14:15], vcc
	s_cbranch_execz .LBB817_675
; %bb.672:
	v_bfe_u32 v21, v13, 16, 7
	s_movk_i32 s11, 0x7f
	v_cmp_ne_u32_e32 vcc, s11, v21
	v_mov_b32_e32 v14, 0x7f80
	s_and_saveexec_b64 s[24:25], vcc
	s_cbranch_execz .LBB817_674
; %bb.673:
	v_and_b32_e32 v14, 7, v10
	v_ffbh_u32_e32 v22, v14
	v_min_u32_e32 v25, 32, v22
	v_subrev_u32_e32 v22, 28, v25
	v_lshlrev_b64 v[22:23], v22, v[10:11]
	v_lshrrev_b32_e32 v24, 3, v21
	v_sub_u32_e32 v10, 29, v25
	v_and_b32_e32 v22, 7, v22
	v_cmp_gt_u32_e32 vcc, 8, v21
	v_mov_b32_e32 v21, 24
	v_cndmask_b32_e32 v10, v24, v10, vcc
	v_cndmask_b32_e32 v14, v14, v22, vcc
	v_lshlrev_b32_sdwa v21, v21, v13 dst_sel:DWORD dst_unused:UNUSED_PAD src0_sel:DWORD src1_sel:WORD_1
	v_bfrev_b32_e32 v22, 60
	v_lshlrev_b32_e32 v14, 20, v14
	v_and_b32_e32 v21, 0x80000000, v21
	v_lshl_add_u32 v10, v10, 23, v22
	v_or3_b32 v10, v21, v10, v14
	v_lshrrev_b32_e32 v14, 16, v10
.LBB817_674:
	s_or_b64 exec, exec, s[24:25]
.LBB817_675:
	s_or_b64 exec, exec, s[14:15]
.LBB817_676:
	s_or_b64 exec, exec, s[12:13]
	s_mov_b32 s12, -1
	s_mov_b32 s13, 0xffffff
	v_cmp_lt_u64_e32 vcc, s[12:13], v[12:13]
	s_and_saveexec_b64 s[12:13], vcc
	s_cbranch_execz .LBB817_682
; %bb.677:
	v_lshrrev_b32_e32 v10, 24, v13
	s_movk_i32 s11, 0x80
	v_cmp_ne_u32_e32 vcc, s11, v10
	v_mov_b32_e32 v11, 0xffff8000
	s_and_saveexec_b64 s[14:15], vcc
	s_cbranch_execz .LBB817_681
; %bb.678:
	v_bfe_u32 v12, v13, 24, 7
	s_movk_i32 s11, 0x7f
	v_cmp_ne_u32_e32 vcc, s11, v12
	v_mov_b32_e32 v11, 0x7f80
	s_and_saveexec_b64 s[24:25], vcc
	s_cbranch_execz .LBB817_680
; %bb.679:
	v_and_b32_e32 v11, 7, v10
	v_ffbh_u32_e32 v21, v11
	v_min_u32_e32 v21, 32, v21
	v_subrev_u32_e32 v22, 28, v21
	v_lshlrev_b64 v[22:23], v22, v[10:11]
	v_lshrrev_b32_e32 v13, 3, v12
	v_sub_u32_e32 v21, 29, v21
	v_and_b32_e32 v22, 7, v22
	v_cmp_gt_u32_e32 vcc, 8, v12
	v_cndmask_b32_e32 v12, v13, v21, vcc
	v_cndmask_b32_e32 v11, v11, v22, vcc
	v_lshlrev_b32_e32 v10, 24, v10
	v_bfrev_b32_e32 v13, 60
	v_lshlrev_b32_e32 v11, 20, v11
	v_and_b32_e32 v10, 0x80000000, v10
	v_lshl_add_u32 v12, v12, 23, v13
	v_or3_b32 v10, v10, v12, v11
	v_lshrrev_b32_e32 v11, 16, v10
.LBB817_680:
	s_or_b64 exec, exec, s[24:25]
.LBB817_681:
	s_or_b64 exec, exec, s[14:15]
.LBB817_682:
	s_or_b64 exec, exec, s[12:13]
	s_mov_b32 s11, 0x5040100
	v_perm_b32 v13, v18, v17, s11
	v_perm_b32 v12, v15, v16, s11
	;; [unrolled: 1-line block ×4, first 2 shown]
	v_mfma_f32_4x4x4bf16_1k a[0:3], v[2:3], v[12:13], a[0:3] cbsz:4 abid:13
	v_mov_b32_e32 v13, 0
	v_mfma_f32_4x4x4bf16_1k a[0:3], v[4:5], v[10:11], a[0:3] cbsz:4 abid:13
	s_waitcnt vmcnt(16)
	v_cmp_ne_u16_sdwa s[14:15], v6, v13 src0_sel:BYTE_0 src1_sel:DWORD
	v_mov_b32_e32 v14, 0
	s_and_saveexec_b64 s[12:13], s[14:15]
	s_cbranch_execz .LBB817_688
; %bb.683:
	s_movk_i32 s11, 0x80
	v_cmp_ne_u16_sdwa s[24:25], v6, s11 src0_sel:BYTE_0 src1_sel:DWORD
	v_mov_b32_e32 v14, 0xffff8000
	s_and_saveexec_b64 s[14:15], s[24:25]
	s_cbranch_execz .LBB817_687
; %bb.684:
	s_movk_i32 s11, 0x7f
	v_and_b32_e32 v10, 0x7f, v6
	v_cmp_ne_u32_e32 vcc, s11, v10
	v_mov_b32_e32 v14, 0x7f80
	s_and_saveexec_b64 s[24:25], vcc
	s_cbranch_execz .LBB817_686
; %bb.685:
	v_and_b32_e32 v11, 7, v6
	v_ffbh_u32_e32 v11, v11
	v_min_u32_e32 v11, 32, v11
	v_subrev_u32_e32 v14, 28, v11
	v_cmp_gt_u32_e32 vcc, 8, v10
	v_lshrrev_b32_e32 v12, 3, v10
	v_sub_u32_e32 v11, 29, v11
	v_cndmask_b32_e32 v10, 0, v14, vcc
	v_cndmask_b32_e32 v12, v12, v11, vcc
	v_lshlrev_b64 v[10:11], v10, v[6:7]
	v_lshlrev_b32_e32 v10, 20, v10
	v_lshlrev_b32_e32 v11, 24, v6
	v_bfrev_b32_e32 v14, 60
	v_and_b32_e32 v10, 0x700000, v10
	v_and_b32_e32 v11, 0x80000000, v11
	v_lshl_add_u32 v12, v12, 23, v14
	v_or3_b32 v10, v11, v12, v10
	v_lshrrev_b32_e32 v14, 16, v10
.LBB817_686:
	s_or_b64 exec, exec, s[24:25]
.LBB817_687:
	s_or_b64 exec, exec, s[14:15]
.LBB817_688:
	s_or_b64 exec, exec, s[12:13]
	v_lshrrev_b16_e32 v10, 8, v6
	v_cmp_ne_u16_e32 vcc, 0, v10
	s_and_saveexec_b64 s[12:13], vcc
	s_cbranch_execz .LBB817_694
; %bb.689:
	s_movk_i32 s11, 0x80
	v_cmp_ne_u16_e32 vcc, s11, v10
	v_mov_b32_e32 v13, 0xffff8000
	s_and_saveexec_b64 s[14:15], vcc
	s_cbranch_execz .LBB817_693
; %bb.690:
	s_movk_i32 s11, 0x7f
	v_and_b32_e32 v11, 0x7f, v10
	v_cmp_ne_u32_e32 vcc, s11, v11
	v_mov_b32_e32 v13, 0x7f80
	s_and_saveexec_b64 s[24:25], vcc
	s_cbranch_execz .LBB817_692
; %bb.691:
	v_and_b32_e32 v15, 7, v10
	v_ffbh_u32_e32 v12, v15
	v_min_u32_e32 v17, 32, v12
	v_subrev_u32_e32 v12, 28, v17
	v_lshlrev_b64 v[12:13], v12, v[10:11]
	v_lshrrev_b32_e32 v16, 3, v11
	v_sub_u32_e32 v10, 29, v17
	v_and_b32_e32 v12, 7, v12
	v_cmp_gt_u32_e32 vcc, 8, v11
	v_cndmask_b32_e32 v10, v16, v10, vcc
	v_cndmask_b32_e32 v11, v15, v12, vcc
	v_lshlrev_b32_e32 v12, 16, v6
	v_bfrev_b32_e32 v13, 60
	v_lshlrev_b32_e32 v11, 20, v11
	v_and_b32_e32 v12, 0x80000000, v12
	v_lshl_add_u32 v10, v10, 23, v13
	v_or3_b32 v10, v12, v10, v11
	v_lshrrev_b32_e32 v13, 16, v10
.LBB817_692:
	s_or_b64 exec, exec, s[24:25]
.LBB817_693:
	s_or_b64 exec, exec, s[14:15]
.LBB817_694:
	s_or_b64 exec, exec, s[12:13]
	s_movk_i32 s11, 0xff
	v_and_b32_sdwa v12, v6, s11 dst_sel:DWORD dst_unused:UNUSED_PAD src0_sel:WORD_1 src1_sel:DWORD
	v_lshrrev_b32_e32 v10, 16, v6
	v_cmp_ne_u16_e32 vcc, 0, v12
	v_mov_b32_e32 v11, 0
	v_mov_b32_e32 v15, 0
	s_and_saveexec_b64 s[12:13], vcc
	s_cbranch_execz .LBB817_700
; %bb.695:
	s_movk_i32 s11, 0x80
	v_cmp_ne_u16_e32 vcc, s11, v12
	v_mov_b32_e32 v15, 0xffff8000
	s_and_saveexec_b64 s[14:15], vcc
	s_cbranch_execz .LBB817_699
; %bb.696:
	v_bfe_u32 v12, v6, 16, 7
	s_movk_i32 s11, 0x7f
	v_cmp_ne_u32_e32 vcc, s11, v12
	v_mov_b32_e32 v15, 0x7f80
	s_and_saveexec_b64 s[24:25], vcc
	s_cbranch_execz .LBB817_698
; %bb.697:
	v_and_b32_e32 v15, 7, v10
	v_ffbh_u32_e32 v16, v15
	v_min_u32_e32 v19, 32, v16
	v_subrev_u32_e32 v16, 28, v19
	v_lshlrev_b64 v[16:17], v16, v[10:11]
	v_and_b32_e32 v16, 7, v16
	v_cmp_gt_u32_e32 vcc, 8, v12
	v_lshrrev_b32_e32 v18, 3, v12
	v_sub_u32_e32 v10, 29, v19
	v_cndmask_b32_e32 v12, v15, v16, vcc
	v_mov_b32_e32 v15, 24
	v_cndmask_b32_e32 v10, v18, v10, vcc
	v_lshlrev_b32_sdwa v15, v15, v6 dst_sel:DWORD dst_unused:UNUSED_PAD src0_sel:DWORD src1_sel:WORD_1
	v_bfrev_b32_e32 v16, 60
	v_lshlrev_b32_e32 v12, 20, v12
	v_and_b32_e32 v15, 0x80000000, v15
	v_lshl_add_u32 v10, v10, 23, v16
	v_or3_b32 v10, v15, v10, v12
	v_lshrrev_b32_e32 v15, 16, v10
.LBB817_698:
	s_or_b64 exec, exec, s[24:25]
.LBB817_699:
	s_or_b64 exec, exec, s[14:15]
.LBB817_700:
	s_or_b64 exec, exec, s[12:13]
	s_mov_b32 s11, 0xffffff
	v_cmp_lt_u32_e32 vcc, s11, v6
	v_mov_b32_e32 v16, 0
	s_and_saveexec_b64 s[12:13], vcc
	s_cbranch_execz .LBB817_706
; %bb.701:
	v_lshrrev_b32_e32 v10, 24, v6
	s_movk_i32 s11, 0x80
	v_cmp_ne_u32_e32 vcc, s11, v10
	v_mov_b32_e32 v16, 0xffff8000
	s_and_saveexec_b64 s[14:15], vcc
	s_cbranch_execz .LBB817_705
; %bb.702:
	v_bfe_u32 v12, v6, 24, 7
	s_movk_i32 s11, 0x7f
	v_cmp_ne_u32_e32 vcc, s11, v12
	v_mov_b32_e32 v16, 0x7f80
	s_and_saveexec_b64 s[24:25], vcc
	s_cbranch_execz .LBB817_704
; %bb.703:
	v_and_b32_e32 v18, 7, v10
	v_ffbh_u32_e32 v16, v18
	v_min_u32_e32 v20, 32, v16
	v_subrev_u32_e32 v16, 28, v20
	v_lshlrev_b64 v[16:17], v16, v[10:11]
	v_lshrrev_b32_e32 v19, 3, v12
	v_sub_u32_e32 v17, 29, v20
	v_and_b32_e32 v16, 7, v16
	v_cmp_gt_u32_e32 vcc, 8, v12
	v_cndmask_b32_e32 v12, v19, v17, vcc
	v_cndmask_b32_e32 v16, v18, v16, vcc
	v_lshlrev_b32_e32 v10, 24, v10
	v_bfrev_b32_e32 v17, 60
	v_lshlrev_b32_e32 v16, 20, v16
	v_and_b32_e32 v10, 0x80000000, v10
	v_lshl_add_u32 v12, v12, 23, v17
	v_or3_b32 v10, v10, v12, v16
	v_lshrrev_b32_e32 v16, 16, v10
.LBB817_704:
	s_or_b64 exec, exec, s[24:25]
.LBB817_705:
	s_or_b64 exec, exec, s[14:15]
.LBB817_706:
	s_or_b64 exec, exec, s[12:13]
	v_mov_b32_e32 v17, 0
	v_mov_b32_e32 v10, v7
	v_cmp_ne_u16_sdwa s[14:15], v7, v17 src0_sel:BYTE_0 src1_sel:DWORD
	v_mov_b32_e32 v18, 0
	s_and_saveexec_b64 s[12:13], s[14:15]
	s_cbranch_execz .LBB817_712
; %bb.707:
	s_movk_i32 s11, 0x80
	v_cmp_ne_u16_sdwa s[24:25], v7, s11 src0_sel:BYTE_0 src1_sel:DWORD
	v_mov_b32_e32 v18, 0xffff8000
	s_and_saveexec_b64 s[14:15], s[24:25]
	s_cbranch_execz .LBB817_711
; %bb.708:
	s_movk_i32 s11, 0x7f
	v_and_b32_e32 v12, 0x7f, v7
	v_cmp_ne_u32_e32 vcc, s11, v12
	v_mov_b32_e32 v18, 0x7f80
	s_and_saveexec_b64 s[24:25], vcc
	s_cbranch_execz .LBB817_710
; %bb.709:
	v_and_b32_e32 v18, 7, v7
	v_ffbh_u32_e32 v18, v18
	v_min_u32_e32 v18, 32, v18
	v_lshrrev_b32_e32 v19, 3, v12
	v_subrev_u32_e32 v20, 28, v18
	v_sub_u32_e32 v18, 29, v18
	v_cmp_gt_u32_e32 vcc, 8, v12
	v_cndmask_b32_e32 v12, v19, v18, vcc
	v_cndmask_b32_e32 v18, 0, v20, vcc
	v_lshlrev_b64 v[18:19], v18, v[10:11]
	v_lshlrev_b32_e32 v11, 20, v18
	v_lshlrev_b32_e32 v18, 24, v10
	v_bfrev_b32_e32 v19, 60
	v_and_b32_e32 v11, 0x700000, v11
	v_and_b32_e32 v18, 0x80000000, v18
	v_lshl_add_u32 v12, v12, 23, v19
	v_or3_b32 v11, v18, v12, v11
	v_lshrrev_b32_e32 v18, 16, v11
.LBB817_710:
	s_or_b64 exec, exec, s[24:25]
.LBB817_711:
	s_or_b64 exec, exec, s[14:15]
.LBB817_712:
	s_or_b64 exec, exec, s[12:13]
	v_lshrrev_b16_e32 v12, 8, v10
	v_cmp_ne_u16_e32 vcc, 0, v12
	s_and_saveexec_b64 s[12:13], vcc
	s_cbranch_execz .LBB817_718
; %bb.713:
	s_movk_i32 s11, 0x80
	v_cmp_ne_u16_e32 vcc, s11, v12
	v_mov_b32_e32 v17, 0xffff8000
	s_and_saveexec_b64 s[14:15], vcc
	s_cbranch_execz .LBB817_717
; %bb.714:
	s_movk_i32 s11, 0x7f
	v_and_b32_e32 v11, 0x7f, v12
	v_cmp_ne_u32_e32 vcc, s11, v11
	v_mov_b32_e32 v17, 0x7f80
	s_and_saveexec_b64 s[24:25], vcc
	s_cbranch_execz .LBB817_716
; %bb.715:
	v_and_b32_e32 v17, 7, v12
	v_ffbh_u32_e32 v20, v17
	v_min_u32_e32 v22, 32, v20
	v_subrev_u32_e32 v20, 28, v22
	v_lshlrev_b64 v[20:21], v20, v[12:13]
	v_lshrrev_b32_e32 v19, 3, v11
	v_sub_u32_e32 v12, 29, v22
	v_and_b32_e32 v20, 7, v20
	v_cmp_gt_u32_e32 vcc, 8, v11
	v_cndmask_b32_e32 v11, v19, v12, vcc
	v_cndmask_b32_e32 v12, v17, v20, vcc
	v_lshlrev_b32_e32 v10, 16, v10
	v_bfrev_b32_e32 v17, 60
	v_lshlrev_b32_e32 v12, 20, v12
	v_and_b32_e32 v10, 0x80000000, v10
	v_lshl_add_u32 v11, v11, 23, v17
	v_or3_b32 v10, v10, v11, v12
	v_lshrrev_b32_e32 v17, 16, v10
.LBB817_716:
	s_or_b64 exec, exec, s[24:25]
.LBB817_717:
	s_or_b64 exec, exec, s[14:15]
.LBB817_718:
	s_or_b64 exec, exec, s[12:13]
	s_movk_i32 s11, 0xff
	v_and_b32_sdwa v19, v7, s11 dst_sel:DWORD dst_unused:UNUSED_PAD src0_sel:WORD_1 src1_sel:DWORD
	v_lshrrev_b32_e32 v10, 16, v7
	v_cmp_ne_u16_e32 vcc, 0, v19
	v_mov_b32_e32 v11, 0
	v_mov_b32_e32 v12, 0
	s_and_saveexec_b64 s[12:13], vcc
	s_cbranch_execz .LBB817_724
; %bb.719:
	s_movk_i32 s11, 0x80
	v_cmp_ne_u16_e32 vcc, s11, v19
	v_mov_b32_e32 v12, 0xffff8000
	s_and_saveexec_b64 s[14:15], vcc
	s_cbranch_execz .LBB817_723
; %bb.720:
	v_bfe_u32 v19, v7, 16, 7
	s_movk_i32 s11, 0x7f
	v_cmp_ne_u32_e32 vcc, s11, v19
	v_mov_b32_e32 v12, 0x7f80
	s_and_saveexec_b64 s[24:25], vcc
	s_cbranch_execz .LBB817_722
; %bb.721:
	v_and_b32_e32 v12, 7, v10
	v_ffbh_u32_e32 v20, v12
	v_min_u32_e32 v23, 32, v20
	v_subrev_u32_e32 v20, 28, v23
	v_lshlrev_b64 v[20:21], v20, v[10:11]
	v_lshrrev_b32_e32 v22, 3, v19
	v_sub_u32_e32 v10, 29, v23
	v_and_b32_e32 v20, 7, v20
	v_cmp_gt_u32_e32 vcc, 8, v19
	v_mov_b32_e32 v19, 24
	v_cndmask_b32_e32 v10, v22, v10, vcc
	v_cndmask_b32_e32 v12, v12, v20, vcc
	v_lshlrev_b32_sdwa v19, v19, v7 dst_sel:DWORD dst_unused:UNUSED_PAD src0_sel:DWORD src1_sel:WORD_1
	v_bfrev_b32_e32 v20, 60
	v_lshlrev_b32_e32 v12, 20, v12
	v_and_b32_e32 v19, 0x80000000, v19
	v_lshl_add_u32 v10, v10, 23, v20
	v_or3_b32 v10, v19, v10, v12
	v_lshrrev_b32_e32 v12, 16, v10
.LBB817_722:
	s_or_b64 exec, exec, s[24:25]
.LBB817_723:
	s_or_b64 exec, exec, s[14:15]
.LBB817_724:
	s_or_b64 exec, exec, s[12:13]
	s_mov_b32 s12, -1
	s_mov_b32 s13, 0xffffff
	v_cmp_lt_u64_e32 vcc, s[12:13], v[6:7]
	s_and_saveexec_b64 s[12:13], vcc
	s_cbranch_execz .LBB817_730
; %bb.725:
	v_lshrrev_b32_e32 v6, 24, v7
	s_movk_i32 s11, 0x80
	v_cmp_ne_u32_e32 vcc, s11, v6
	v_mov_b32_e32 v11, 0xffff8000
	s_and_saveexec_b64 s[14:15], vcc
	s_cbranch_execz .LBB817_729
; %bb.726:
	v_bfe_u32 v7, v7, 24, 7
	s_movk_i32 s11, 0x7f
	v_cmp_ne_u32_e32 vcc, s11, v7
	v_mov_b32_e32 v11, 0x7f80
	s_and_saveexec_b64 s[24:25], vcc
	s_cbranch_execz .LBB817_728
; %bb.727:
	v_and_b32_e32 v19, 7, v6
	v_ffbh_u32_e32 v10, v19
	v_min_u32_e32 v21, 32, v10
	v_subrev_u32_e32 v10, 28, v21
	v_lshlrev_b64 v[10:11], v10, v[6:7]
	v_lshrrev_b32_e32 v20, 3, v7
	v_sub_u32_e32 v11, 29, v21
	v_and_b32_e32 v10, 7, v10
	v_cmp_gt_u32_e32 vcc, 8, v7
	v_cndmask_b32_e32 v7, v20, v11, vcc
	v_cndmask_b32_e32 v10, v19, v10, vcc
	v_lshlrev_b32_e32 v6, 24, v6
	v_bfrev_b32_e32 v11, 60
	v_lshlrev_b32_e32 v10, 20, v10
	v_and_b32_e32 v6, 0x80000000, v6
	v_lshl_add_u32 v7, v7, 23, v11
	v_or3_b32 v6, v6, v7, v10
	v_lshrrev_b32_e32 v11, 16, v6
.LBB817_728:
	s_or_b64 exec, exec, s[24:25]
.LBB817_729:
	s_or_b64 exec, exec, s[14:15]
.LBB817_730:
	s_or_b64 exec, exec, s[12:13]
	s_mov_b32 s11, 0x5040100
	v_perm_b32 v7, v16, v15, s11
	v_perm_b32 v6, v13, v14, s11
	;; [unrolled: 1-line block ×4, first 2 shown]
	v_mfma_f32_4x4x4bf16_1k a[0:3], v[2:3], v[6:7], a[0:3] cbsz:4 abid:14
	v_mov_b32_e32 v12, 0
	v_mfma_f32_4x4x4bf16_1k a[0:3], v[4:5], v[10:11], a[0:3] cbsz:4 abid:14
	v_mov_b32_e32 v11, 0
	v_cmp_ne_u16_sdwa s[14:15], v8, v11 src0_sel:BYTE_0 src1_sel:DWORD
	s_and_saveexec_b64 s[12:13], s[14:15]
	s_cbranch_execz .LBB817_736
; %bb.731:
	s_movk_i32 s11, 0x80
	v_cmp_ne_u16_sdwa s[24:25], v8, s11 src0_sel:BYTE_0 src1_sel:DWORD
	v_mov_b32_e32 v12, 0xffff8000
	s_and_saveexec_b64 s[14:15], s[24:25]
	s_cbranch_execz .LBB817_735
; %bb.732:
	s_movk_i32 s11, 0x7f
	v_and_b32_e32 v6, 0x7f, v8
	v_cmp_ne_u32_e32 vcc, s11, v6
	v_mov_b32_e32 v12, 0x7f80
	s_and_saveexec_b64 s[24:25], vcc
	s_cbranch_execz .LBB817_734
; %bb.733:
	v_and_b32_e32 v7, 7, v8
	v_ffbh_u32_e32 v7, v7
	v_min_u32_e32 v7, 32, v7
	v_subrev_u32_e32 v12, 28, v7
	v_cmp_gt_u32_e32 vcc, 8, v6
	v_lshrrev_b32_e32 v10, 3, v6
	v_sub_u32_e32 v7, 29, v7
	v_cndmask_b32_e32 v6, 0, v12, vcc
	v_cndmask_b32_e32 v10, v10, v7, vcc
	v_lshlrev_b64 v[6:7], v6, v[8:9]
	v_lshlrev_b32_e32 v6, 20, v6
	v_lshlrev_b32_e32 v7, 24, v8
	v_bfrev_b32_e32 v12, 60
	v_and_b32_e32 v6, 0x700000, v6
	v_and_b32_e32 v7, 0x80000000, v7
	v_lshl_add_u32 v10, v10, 23, v12
	v_or3_b32 v6, v7, v10, v6
	v_lshrrev_b32_e32 v12, 16, v6
.LBB817_734:
	s_or_b64 exec, exec, s[24:25]
.LBB817_735:
	s_or_b64 exec, exec, s[14:15]
.LBB817_736:
	s_or_b64 exec, exec, s[12:13]
	v_lshrrev_b16_e32 v6, 8, v8
	v_cmp_ne_u16_e32 vcc, 0, v6
	s_and_saveexec_b64 s[12:13], vcc
	s_cbranch_execz .LBB817_742
; %bb.737:
	s_movk_i32 s11, 0x80
	v_cmp_ne_u16_e32 vcc, s11, v6
	v_mov_b32_e32 v11, 0xffff8000
	s_and_saveexec_b64 s[14:15], vcc
	s_cbranch_execz .LBB817_741
; %bb.738:
	s_movk_i32 s11, 0x7f
	v_and_b32_e32 v7, 0x7f, v6
	v_cmp_ne_u32_e32 vcc, s11, v7
	v_mov_b32_e32 v11, 0x7f80
	s_and_saveexec_b64 s[24:25], vcc
	s_cbranch_execz .LBB817_740
; %bb.739:
	v_and_b32_e32 v13, 7, v6
	v_ffbh_u32_e32 v10, v13
	v_min_u32_e32 v15, 32, v10
	v_subrev_u32_e32 v10, 28, v15
	v_lshlrev_b64 v[10:11], v10, v[6:7]
	v_lshrrev_b32_e32 v14, 3, v7
	v_sub_u32_e32 v6, 29, v15
	v_and_b32_e32 v10, 7, v10
	v_cmp_gt_u32_e32 vcc, 8, v7
	v_cndmask_b32_e32 v6, v14, v6, vcc
	v_cndmask_b32_e32 v7, v13, v10, vcc
	v_lshlrev_b32_e32 v10, 16, v8
	v_bfrev_b32_e32 v11, 60
	v_lshlrev_b32_e32 v7, 20, v7
	v_and_b32_e32 v10, 0x80000000, v10
	v_lshl_add_u32 v6, v6, 23, v11
	v_or3_b32 v6, v10, v6, v7
	v_lshrrev_b32_e32 v11, 16, v6
.LBB817_740:
	s_or_b64 exec, exec, s[24:25]
.LBB817_741:
	s_or_b64 exec, exec, s[14:15]
.LBB817_742:
	s_or_b64 exec, exec, s[12:13]
	s_movk_i32 s11, 0xff
	v_and_b32_sdwa v10, v8, s11 dst_sel:DWORD dst_unused:UNUSED_PAD src0_sel:WORD_1 src1_sel:DWORD
	v_lshrrev_b32_e32 v6, 16, v8
	v_cmp_ne_u16_e32 vcc, 0, v10
	v_mov_b32_e32 v7, 0
	v_mov_b32_e32 v13, 0
	s_and_saveexec_b64 s[12:13], vcc
	s_cbranch_execz .LBB817_748
; %bb.743:
	s_movk_i32 s11, 0x80
	v_cmp_ne_u16_e32 vcc, s11, v10
	v_mov_b32_e32 v13, 0xffff8000
	s_and_saveexec_b64 s[14:15], vcc
	s_cbranch_execz .LBB817_747
; %bb.744:
	v_bfe_u32 v10, v8, 16, 7
	s_movk_i32 s11, 0x7f
	v_cmp_ne_u32_e32 vcc, s11, v10
	v_mov_b32_e32 v13, 0x7f80
	s_and_saveexec_b64 s[24:25], vcc
	s_cbranch_execz .LBB817_746
; %bb.745:
	v_and_b32_e32 v13, 7, v6
	v_ffbh_u32_e32 v14, v13
	v_min_u32_e32 v17, 32, v14
	v_subrev_u32_e32 v14, 28, v17
	v_lshlrev_b64 v[14:15], v14, v[6:7]
	v_and_b32_e32 v14, 7, v14
	v_cmp_gt_u32_e32 vcc, 8, v10
	v_lshrrev_b32_e32 v16, 3, v10
	v_sub_u32_e32 v6, 29, v17
	v_cndmask_b32_e32 v10, v13, v14, vcc
	v_mov_b32_e32 v13, 24
	v_cndmask_b32_e32 v6, v16, v6, vcc
	v_lshlrev_b32_sdwa v13, v13, v8 dst_sel:DWORD dst_unused:UNUSED_PAD src0_sel:DWORD src1_sel:WORD_1
	v_bfrev_b32_e32 v14, 60
	v_lshlrev_b32_e32 v10, 20, v10
	v_and_b32_e32 v13, 0x80000000, v13
	v_lshl_add_u32 v6, v6, 23, v14
	v_or3_b32 v6, v13, v6, v10
	v_lshrrev_b32_e32 v13, 16, v6
.LBB817_746:
	s_or_b64 exec, exec, s[24:25]
.LBB817_747:
	s_or_b64 exec, exec, s[14:15]
.LBB817_748:
	s_or_b64 exec, exec, s[12:13]
	s_mov_b32 s11, 0xffffff
	v_cmp_lt_u32_e32 vcc, s11, v8
	v_mov_b32_e32 v14, 0
	s_and_saveexec_b64 s[12:13], vcc
	s_cbranch_execz .LBB817_754
; %bb.749:
	v_lshrrev_b32_e32 v6, 24, v8
	s_movk_i32 s11, 0x80
	v_cmp_ne_u32_e32 vcc, s11, v6
	v_mov_b32_e32 v14, 0xffff8000
	s_and_saveexec_b64 s[14:15], vcc
	s_cbranch_execz .LBB817_753
; %bb.750:
	v_bfe_u32 v10, v8, 24, 7
	s_movk_i32 s11, 0x7f
	v_cmp_ne_u32_e32 vcc, s11, v10
	v_mov_b32_e32 v14, 0x7f80
	s_and_saveexec_b64 s[24:25], vcc
	s_cbranch_execz .LBB817_752
; %bb.751:
	v_and_b32_e32 v16, 7, v6
	v_ffbh_u32_e32 v14, v16
	v_min_u32_e32 v18, 32, v14
	v_subrev_u32_e32 v14, 28, v18
	v_lshlrev_b64 v[14:15], v14, v[6:7]
	v_lshrrev_b32_e32 v17, 3, v10
	v_sub_u32_e32 v15, 29, v18
	v_and_b32_e32 v14, 7, v14
	v_cmp_gt_u32_e32 vcc, 8, v10
	v_cndmask_b32_e32 v10, v17, v15, vcc
	v_cndmask_b32_e32 v14, v16, v14, vcc
	v_lshlrev_b32_e32 v6, 24, v6
	v_bfrev_b32_e32 v15, 60
	v_lshlrev_b32_e32 v14, 20, v14
	v_and_b32_e32 v6, 0x80000000, v6
	v_lshl_add_u32 v10, v10, 23, v15
	v_or3_b32 v6, v6, v10, v14
	v_lshrrev_b32_e32 v14, 16, v6
.LBB817_752:
	s_or_b64 exec, exec, s[24:25]
.LBB817_753:
	s_or_b64 exec, exec, s[14:15]
.LBB817_754:
	s_or_b64 exec, exec, s[12:13]
	v_mov_b32_e32 v15, 0
	v_mov_b32_e32 v6, v9
	v_cmp_ne_u16_sdwa s[14:15], v9, v15 src0_sel:BYTE_0 src1_sel:DWORD
	v_mov_b32_e32 v16, 0
	s_and_saveexec_b64 s[12:13], s[14:15]
	s_cbranch_execz .LBB817_760
; %bb.755:
	s_movk_i32 s11, 0x80
	v_cmp_ne_u16_sdwa s[24:25], v9, s11 src0_sel:BYTE_0 src1_sel:DWORD
	v_mov_b32_e32 v16, 0xffff8000
	s_and_saveexec_b64 s[14:15], s[24:25]
	s_cbranch_execz .LBB817_759
; %bb.756:
	s_movk_i32 s11, 0x7f
	v_and_b32_e32 v10, 0x7f, v9
	v_cmp_ne_u32_e32 vcc, s11, v10
	v_mov_b32_e32 v16, 0x7f80
	s_and_saveexec_b64 s[24:25], vcc
	s_cbranch_execz .LBB817_758
; %bb.757:
	v_and_b32_e32 v16, 7, v9
	v_ffbh_u32_e32 v16, v16
	v_min_u32_e32 v16, 32, v16
	v_lshrrev_b32_e32 v17, 3, v10
	v_subrev_u32_e32 v18, 28, v16
	v_sub_u32_e32 v16, 29, v16
	v_cmp_gt_u32_e32 vcc, 8, v10
	v_cndmask_b32_e32 v10, v17, v16, vcc
	v_cndmask_b32_e32 v16, 0, v18, vcc
	v_lshlrev_b64 v[16:17], v16, v[6:7]
	v_lshlrev_b32_e32 v7, 20, v16
	v_lshlrev_b32_e32 v16, 24, v6
	v_bfrev_b32_e32 v17, 60
	v_and_b32_e32 v7, 0x700000, v7
	v_and_b32_e32 v16, 0x80000000, v16
	v_lshl_add_u32 v10, v10, 23, v17
	v_or3_b32 v7, v16, v10, v7
	v_lshrrev_b32_e32 v16, 16, v7
.LBB817_758:
	s_or_b64 exec, exec, s[24:25]
.LBB817_759:
	s_or_b64 exec, exec, s[14:15]
.LBB817_760:
	s_or_b64 exec, exec, s[12:13]
	v_lshrrev_b16_e32 v10, 8, v6
	v_cmp_ne_u16_e32 vcc, 0, v10
	s_and_saveexec_b64 s[12:13], vcc
	s_cbranch_execz .LBB817_766
; %bb.761:
	s_movk_i32 s11, 0x80
	v_cmp_ne_u16_e32 vcc, s11, v10
	v_mov_b32_e32 v15, 0xffff8000
	s_and_saveexec_b64 s[14:15], vcc
	s_cbranch_execz .LBB817_765
; %bb.762:
	s_movk_i32 s11, 0x7f
	v_and_b32_e32 v7, 0x7f, v10
	v_cmp_ne_u32_e32 vcc, s11, v7
	v_mov_b32_e32 v15, 0x7f80
	s_and_saveexec_b64 s[24:25], vcc
	s_cbranch_execz .LBB817_764
; %bb.763:
	v_and_b32_e32 v15, 7, v10
	v_ffbh_u32_e32 v18, v15
	v_min_u32_e32 v20, 32, v18
	v_subrev_u32_e32 v18, 28, v20
	v_lshlrev_b64 v[18:19], v18, v[10:11]
	v_lshrrev_b32_e32 v17, 3, v7
	v_sub_u32_e32 v10, 29, v20
	v_and_b32_e32 v18, 7, v18
	v_cmp_gt_u32_e32 vcc, 8, v7
	v_cndmask_b32_e32 v7, v17, v10, vcc
	v_cndmask_b32_e32 v10, v15, v18, vcc
	v_lshlrev_b32_e32 v6, 16, v6
	v_bfrev_b32_e32 v15, 60
	v_lshlrev_b32_e32 v10, 20, v10
	v_and_b32_e32 v6, 0x80000000, v6
	v_lshl_add_u32 v7, v7, 23, v15
	v_or3_b32 v6, v6, v7, v10
	v_lshrrev_b32_e32 v15, 16, v6
.LBB817_764:
	s_or_b64 exec, exec, s[24:25]
.LBB817_765:
	s_or_b64 exec, exec, s[14:15]
.LBB817_766:
	s_or_b64 exec, exec, s[12:13]
	s_movk_i32 s11, 0xff
	v_and_b32_sdwa v17, v9, s11 dst_sel:DWORD dst_unused:UNUSED_PAD src0_sel:WORD_1 src1_sel:DWORD
	v_lshrrev_b32_e32 v6, 16, v9
	v_cmp_ne_u16_e32 vcc, 0, v17
	v_mov_b32_e32 v7, 0
	v_mov_b32_e32 v10, 0
	s_and_saveexec_b64 s[12:13], vcc
	s_cbranch_execz .LBB817_772
; %bb.767:
	s_movk_i32 s11, 0x80
	v_cmp_ne_u16_e32 vcc, s11, v17
	v_mov_b32_e32 v10, 0xffff8000
	s_and_saveexec_b64 s[14:15], vcc
	s_cbranch_execz .LBB817_771
; %bb.768:
	v_bfe_u32 v17, v9, 16, 7
	s_movk_i32 s11, 0x7f
	v_cmp_ne_u32_e32 vcc, s11, v17
	v_mov_b32_e32 v10, 0x7f80
	s_and_saveexec_b64 s[24:25], vcc
	s_cbranch_execz .LBB817_770
; %bb.769:
	v_and_b32_e32 v10, 7, v6
	v_ffbh_u32_e32 v18, v10
	v_min_u32_e32 v21, 32, v18
	v_subrev_u32_e32 v18, 28, v21
	v_lshlrev_b64 v[18:19], v18, v[6:7]
	v_lshrrev_b32_e32 v20, 3, v17
	v_sub_u32_e32 v6, 29, v21
	v_and_b32_e32 v18, 7, v18
	v_cmp_gt_u32_e32 vcc, 8, v17
	v_mov_b32_e32 v17, 24
	v_cndmask_b32_e32 v6, v20, v6, vcc
	v_cndmask_b32_e32 v10, v10, v18, vcc
	v_lshlrev_b32_sdwa v17, v17, v9 dst_sel:DWORD dst_unused:UNUSED_PAD src0_sel:DWORD src1_sel:WORD_1
	v_bfrev_b32_e32 v18, 60
	v_lshlrev_b32_e32 v10, 20, v10
	v_and_b32_e32 v17, 0x80000000, v17
	v_lshl_add_u32 v6, v6, 23, v18
	v_or3_b32 v6, v17, v6, v10
	v_lshrrev_b32_e32 v10, 16, v6
.LBB817_770:
	s_or_b64 exec, exec, s[24:25]
.LBB817_771:
	s_or_b64 exec, exec, s[14:15]
.LBB817_772:
	s_or_b64 exec, exec, s[12:13]
	s_mov_b32 s12, -1
	s_mov_b32 s13, 0xffffff
	v_cmp_lt_u64_e32 vcc, s[12:13], v[8:9]
	s_and_saveexec_b64 s[12:13], vcc
	s_cbranch_execz .LBB817_778
; %bb.773:
	v_lshrrev_b32_e32 v6, 24, v9
	s_movk_i32 s11, 0x80
	v_cmp_ne_u32_e32 vcc, s11, v6
	v_mov_b32_e32 v7, 0xffff8000
	s_and_saveexec_b64 s[14:15], vcc
	s_cbranch_execz .LBB817_777
; %bb.774:
	v_bfe_u32 v8, v9, 24, 7
	s_movk_i32 s11, 0x7f
	v_cmp_ne_u32_e32 vcc, s11, v8
	v_mov_b32_e32 v7, 0x7f80
	s_and_saveexec_b64 s[24:25], vcc
	s_cbranch_execz .LBB817_776
; %bb.775:
	v_and_b32_e32 v7, 7, v6
	v_ffbh_u32_e32 v17, v7
	v_min_u32_e32 v17, 32, v17
	v_subrev_u32_e32 v18, 28, v17
	v_lshlrev_b64 v[18:19], v18, v[6:7]
	v_lshrrev_b32_e32 v9, 3, v8
	v_sub_u32_e32 v17, 29, v17
	v_and_b32_e32 v18, 7, v18
	v_cmp_gt_u32_e32 vcc, 8, v8
	v_cndmask_b32_e32 v8, v9, v17, vcc
	v_cndmask_b32_e32 v7, v7, v18, vcc
	v_lshlrev_b32_e32 v6, 24, v6
	v_bfrev_b32_e32 v9, 60
	v_lshlrev_b32_e32 v7, 20, v7
	v_and_b32_e32 v6, 0x80000000, v6
	v_lshl_add_u32 v8, v8, 23, v9
	v_or3_b32 v6, v6, v8, v7
	v_lshrrev_b32_e32 v7, 16, v6
.LBB817_776:
	s_or_b64 exec, exec, s[24:25]
.LBB817_777:
	s_or_b64 exec, exec, s[14:15]
.LBB817_778:
	s_or_b64 exec, exec, s[12:13]
	s_load_dword s4, s[4:5], 0x1c
	s_mov_b32 s5, 0x5040100
	v_perm_b32 v9, v14, v13, s5
	v_perm_b32 v8, v11, v12, s5
	;; [unrolled: 1-line block ×4, first 2 shown]
	v_mfma_f32_4x4x4bf16_1k a[0:3], v[2:3], v[8:9], a[0:3] cbsz:4 abid:15
	s_load_dword s5, s[16:17], 0x0
	v_mfma_f32_4x4x4bf16_1k a[0:3], v[4:5], v[6:7], a[0:3] cbsz:4 abid:15
	s_waitcnt lgkmcnt(0)
	v_mov_b32_e32 v2, s4
	v_cmp_eq_u32_e32 vcc, 0, v43
	v_mul_f32_e32 v4, s5, v2
	s_nop 0
	v_accvgpr_read_b32 v7, a1
	v_accvgpr_read_b32 v6, a0
	v_pk_mul_f32 v[6:7], v[6:7], v[4:5] op_sel_hi:[1,0]
	v_accvgpr_read_b32 v3, a3
	v_accvgpr_read_b32 v2, a2
	v_pk_mul_f32 v[2:3], v[2:3], v[4:5] op_sel_hi:[1,0]
	v_cndmask_b32_e64 v4, 0, 1.0, vcc
	v_cmp_eq_u32_e32 vcc, 1, v43
	s_nop 0
	v_mfma_f32_4x4x1f32 a[0:3], v6, v4, 0
	v_cndmask_b32_e64 v4, 0, 1.0, vcc
	v_cmp_eq_u32_e32 vcc, 2, v43
	v_mov_b32_e32 v6, 0xff7fffff
	v_mfma_f32_4x4x1f32 a[0:3], v7, v4, a[0:3]
	v_cndmask_b32_e64 v4, 0, 1.0, vcc
	v_cmp_eq_u32_e32 vcc, 3, v43
	s_nop 0
	v_mfma_f32_4x4x1f32 a[0:3], v2, v4, a[0:3]
	v_cndmask_b32_e64 v2, 0, 1.0, vcc
	s_nop 1
	v_mfma_f32_4x4x1f32 a[0:3], v3, v2, a[0:3]
	v_and_b32_e32 v2, -4, v44
	v_cmp_gt_i32_e32 vcc, s9, v2
	v_lshlrev_b32_e32 v3, 2, v0
	v_and_or_b32 v3, v3, 48, v43
	v_lshlrev_b32_e32 v10, 2, v3
	v_accvgpr_read_b32 v4, a0
	v_max_f32_e32 v5, v4, v4
	v_max_f32_e32 v5, 0xff7fffff, v5
	v_accvgpr_read_b32 v7, a1
	v_cndmask_b32_e32 v5, v6, v5, vcc
	v_or_b32_e32 v6, 1, v2
	v_max_f32_e32 v8, v7, v7
	v_max_f32_e32 v8, v5, v8
	v_cmp_gt_i32_e64 s[4:5], s9, v6
	v_cndmask_b32_e64 v5, v5, v8, s[4:5]
	v_accvgpr_read_b32 v8, a2
	v_or_b32_e32 v2, 2, v2
	v_max_f32_e32 v6, v8, v8
	v_max_f32_e32 v6, v5, v6
	v_cmp_gt_i32_e64 s[12:13], s9, v2
	v_accvgpr_read_b32 v9, a3
	v_cndmask_b32_e64 v2, v5, v6, s[12:13]
	v_or_b32_e32 v5, 3, v44
	v_max_f32_e32 v6, v9, v9
	v_max_f32_e32 v6, v2, v6
	v_cmp_gt_i32_e64 s[14:15], s9, v5
	v_cndmask_b32_e64 v2, v2, v6, s[14:15]
	;;#ASMSTART
	v_nop
 v_nop
 v_max_f32_dpp v2, v2, v2 row_ror:4
	;;#ASMEND
	;;#ASMSTART
	v_nop
 v_nop
 v_max_f32_dpp v2, v2, v2 row_ror:8
	;;#ASMEND
	ds_bpermute_b32 v2, v10, v2
	s_waitcnt lgkmcnt(0)
	;;#ASMSTART
	v_nop
 v_nop
 v_max_f32_dpp v2, v2, v2 row_ror:4
	;;#ASMEND
	;;#ASMSTART
	v_nop
 v_nop
 v_max_f32_dpp v6, v2, v2 row_ror:8
	;;#ASMEND
	v_sub_f32_e32 v2, v4, v6
	v_mul_f32_e32 v2, 0x3fb8aa3b, v2
	v_sub_f32_e32 v3, v7, v6
	v_exp_f32_e32 v2, v2
	v_mul_f32_e32 v3, 0x3fb8aa3b, v3
	v_sub_f32_e32 v5, v8, v6
	v_exp_f32_e32 v3, v3
	v_mul_f32_e32 v5, 0x3fb8aa3b, v5
	v_sub_f32_e32 v7, v9, v6
	v_exp_f32_e32 v5, v5
	v_mul_f32_e32 v7, 0x3fb8aa3b, v7
	v_exp_f32_e32 v7, v7
	v_cndmask_b32_e32 v2, 0, v2, vcc
	v_add_f32_e32 v4, 0, v2
	v_cndmask_b32_e64 v3, 0, v3, s[4:5]
	v_add_f32_e32 v8, v4, v3
	v_cndmask_b32_e64 v4, 0, v5, s[12:13]
	;; [unrolled: 2-line block ×3, first 2 shown]
	v_add_f32_e32 v7, v8, v5
	;;#ASMSTART
	v_nop
 v_nop
 v_add_f32_dpp v7, v7, v7 row_ror:4
	;;#ASMEND
	;;#ASMSTART
	v_nop
 v_nop
 v_add_f32_dpp v7, v7, v7 row_ror:8
	;;#ASMEND
	ds_bpermute_b32 v7, v10, v7
	s_waitcnt lgkmcnt(0)
	;;#ASMSTART
	v_nop
 v_nop
 v_add_f32_dpp v7, v7, v7 row_ror:4
	;;#ASMEND
	v_cmp_gt_u32_e32 vcc, 4, v1
	;;#ASMSTART
	v_nop
 v_nop
 v_add_f32_dpp v7, v7, v7 row_ror:8
	;;#ASMEND
	s_and_saveexec_b64 s[4:5], vcc
	s_cbranch_execz .LBB817_780
; %bb.779:
	v_mul_u32_u24_e32 v8, 20, v42
	v_lshl_add_u32 v8, v43, 2, v8
	v_add_u32_e32 v8, 0x1400, v8
	ds_write2_b32 v8, v6, v7 offset1:20
.LBB817_780:
	s_or_b64 exec, exec, s[4:5]
.LBB817_781:
	s_or_b64 exec, exec, s[36:37]
	v_lshlrev_b32_e32 v7, 2, v43
	v_add_u32_e32 v7, 0x1400, v7
	s_waitcnt lgkmcnt(0)
	s_barrier
	s_load_dword s4, s[34:35], 0x8
	ds_read2_b32 v[10:11], v7 offset1:5
	ds_read2_b32 v[12:13], v7 offset0:10 offset1:15
	s_mov_b32 s12, 0xff7fffff
	s_mul_i32 s5, s8, s33
	ds_read2_b32 v[14:15], v7 offset0:20 offset1:25
	s_waitcnt lgkmcnt(0)
	v_max3_f32 v8, v10, s12, v11
	v_max3_f32 v8, v8, v12, v13
	v_sub_f32_e32 v9, v10, v8
	v_sub_f32_e32 v10, v11, v8
	v_mul_f32_e32 v9, 0x3fb8aa3b, v9
	v_mul_f32_e32 v10, 0x3fb8aa3b, v10
	s_mul_i32 s5, s5, s4
	v_exp_f32_e32 v9, v9
	v_exp_f32_e32 v16, v10
	ds_read2_b32 v[10:11], v7 offset0:30 offset1:35
	v_sub_f32_e32 v7, v12, v8
	s_lshl_b32 s4, s5, 2
	s_mov_b32 s5, 0
	v_mul_f32_e32 v7, 0x3fb8aa3b, v7
	v_sub_f32_e32 v12, v13, v8
	s_lshl_b32 s24, s10, 2
	s_lshl_b64 s[8:9], s[4:5], 2
	v_exp_f32_e32 v7, v7
	v_mul_f32_e32 v12, 0x3fb8aa3b, v12
	s_add_u32 s10, s20, s8
	v_exp_f32_e32 v12, v12
	s_addc_u32 s11, s21, s9
	v_fma_f32 v9, v9, v14, 0
	s_mov_b32 s29, s5
	s_add_u32 s12, s22, s8
	v_fmac_f32_e32 v9, v16, v15
	s_addc_u32 s13, s23, s9
	s_lshl_b64 s[8:9], s[28:29], 2
	s_waitcnt lgkmcnt(0)
	v_fmac_f32_e32 v9, v7, v10
	v_or_b32_e32 v7, s24, v43
	s_add_u32 s12, s12, s8
	v_fmac_f32_e32 v9, v12, v11
	v_mul_lo_u32 v10, s33, v7
	v_mov_b32_e32 v11, 0
	s_addc_u32 s13, s13, s9
	v_lshlrev_b64 v[10:11], 2, v[10:11]
	s_add_u32 s8, s10, s8
	v_mov_b32_e32 v7, s13
	v_add_co_u32_e32 v12, vcc, s12, v10
	s_addc_u32 s9, s11, s9
	v_addc_co_u32_e32 v13, vcc, v7, v11, vcc
	v_mov_b32_e32 v7, s9
	v_add_co_u32_e32 v10, vcc, s8, v10
	v_addc_co_u32_e32 v11, vcc, v7, v11, vcc
	v_lshlrev_b32_e32 v7, 3, v42
	global_store_dword v[12:13], v8, off
	global_store_dword v[10:11], v9, off
	s_and_saveexec_b64 s[8:9], s[6:7]
	s_xor_b64 s[6:7], exec, s[8:9]
	s_cbranch_execz .LBB817_783
; %bb.782:
	s_mov_b32 s8, s5
	s_mov_b32 s9, s5
	v_mad_u32_u24 v4, v1, 40, v7
	v_pk_mov_b32 v[2:3], s[8:9], s[8:9] op_sel:[0,1]
	ds_write2st64_b64 v4, v[2:3], v[2:3] offset1:5
                                        ; implicit-def: $vgpr7
                                        ; implicit-def: $vgpr9
                                        ; implicit-def: $vgpr6
                                        ; implicit-def: $vgpr8
                                        ; implicit-def: $vgpr4
                                        ; implicit-def: $vgpr2
.LBB817_783:
	s_andn2_saveexec_b64 s[6:7], s[6:7]
	s_cbranch_execz .LBB817_1171
; %bb.784:
	v_add_f32_e32 v9, 0x358637bd, v9
	v_div_scale_f32 v10, s[8:9], v9, v9, 1.0
	v_rcp_f32_e32 v11, v10
	v_div_scale_f32 v12, vcc, 1.0, v9, 1.0
	v_sub_f32_e32 v6, v6, v8
	v_fma_f32 v13, -v10, v11, 1.0
	v_fmac_f32_e32 v11, v13, v11
	v_mul_f32_e32 v13, v12, v11
	v_fma_f32 v14, -v10, v13, v12
	v_mul_f32_e32 v6, 0x3fb8aa3b, v6
	v_fmac_f32_e32 v13, v14, v11
	v_exp_f32_e32 v6, v6
	v_fma_f32 v10, -v10, v13, v12
	v_div_fmas_f32 v8, v10, v11, v13
	v_div_fixup_f32 v8, v8, v9, 1.0
	v_mul_f32_e32 v6, v6, v8
	v_pk_mul_f32 v[2:3], v[2:3], v[6:7] op_sel_hi:[1,0]
	s_load_dword s8, s[18:19], 0x0
	v_pk_mul_f32 v[4:5], v[4:5], v[6:7] op_sel_hi:[1,0]
	v_bfe_u32 v6, v3, 16, 1
	v_bfe_u32 v8, v2, 16, 1
	s_movk_i32 s5, 0x7fff
	v_add3_u32 v2, v2, v8, s5
	v_add3_u32 v3, v3, v6, s5
	s_mov_b32 s20, 0x7060302
	v_perm_b32 v2, v3, v2, s20
	v_bfe_u32 v3, v5, 16, 1
	v_bfe_u32 v6, v4, 16, 1
	v_add3_u32 v4, v4, v6, s5
	v_add3_u32 v3, v5, v3, s5
	v_mov_b32_e32 v11, 0
	v_perm_b32 v3, v3, v4, s20
	v_add_u32_e32 v5, 64, v11
	s_waitcnt lgkmcnt(0)
	s_mov_b32 s9, s8
	s_mov_b32 s10, s8
	;; [unrolled: 1-line block ×4, first 2 shown]
	s_mov_b64 s[12:13], -1
	s_movk_i32 s21, 0x80
	s_movk_i32 s23, 0x7f
	s_mov_b32 s25, 0xffffff
	s_mov_b32 s26, 0x5040100
	v_mov_b32_e32 v9, 0
	v_bfrev_b32_e32 v10, 60
	s_branch .LBB817_788
.LBB817_785:                            ;   in Loop: Header=BB817_788 Depth=1
	s_or_b64 exec, exec, s[18:19]
.LBB817_786:                            ;   in Loop: Header=BB817_788 Depth=1
	s_or_b64 exec, exec, s[16:17]
.LBB817_787:                            ;   in Loop: Header=BB817_788 Depth=1
	s_or_b64 exec, exec, s[14:15]
	v_perm_b32 v19, v15, v12, s26
	v_perm_b32 v18, v11, v13, s26
	;; [unrolled: 1-line block ×4, first 2 shown]
	v_mfma_f32_4x4x4bf16_1k a[0:3], v[2:3], v[18:19], a[0:3] cbsz:4 abid:14
	s_mul_i32 s14, s22, 0xa00
	v_mfma_f32_4x4x4bf16_1k a[0:3], v[2:3], v[12:13], a[0:3] cbsz:4 abid:15
	s_mov_b32 s22, 1
	v_mov_b32_e32 v11, v5
	s_nop 2
	v_accvgpr_read_b32 v15, a1
	v_accvgpr_read_b32 v14, a0
	v_pk_mul_f32 v[14:15], v[14:15], s[8:9]
	v_accvgpr_read_b32 v13, a3
	v_accvgpr_read_b32 v12, a2
	v_bfe_u32 v4, v15, 16, 1
	v_bfe_u32 v6, v14, 16, 1
	v_pk_mul_f32 v[12:13], v[12:13], s[10:11]
	v_add3_u32 v6, v14, v6, s5
	v_add3_u32 v4, v15, v4, s5
	v_perm_b32 v14, v4, v6, s20
	v_bfe_u32 v4, v13, 16, 1
	v_bfe_u32 v6, v12, 16, 1
	v_add3_u32 v6, v12, v6, s5
	v_add3_u32 v4, v13, v4, s5
	v_perm_b32 v15, v4, v6, s20
	v_mul_u32_u24_e32 v4, 40, v1
	v_add3_u32 v4, s14, v4, v7
	s_xor_b64 s[14:15], s[12:13], -1
	s_mov_b64 s[12:13], 0
	s_andn2_b64 vcc, exec, s[14:15]
	ds_write_b64 v4, v[14:15]
	s_cbranch_vccz .LBB817_1171
.LBB817_788:                            ; =>This Inner Loop Header: Depth=1
	buffer_load_dword v6, v11, s[0:3], 0 offen
	buffer_load_dword v4, v11, s[0:3], 0 offen offset:4
	v_mov_b32_e32 v13, 0
	s_waitcnt vmcnt(1)
	v_cmp_ne_u16_sdwa s[16:17], v6, v9 src0_sel:BYTE_0 src1_sel:DWORD
	s_and_saveexec_b64 s[14:15], s[16:17]
	s_cbranch_execz .LBB817_794
; %bb.789:                              ;   in Loop: Header=BB817_788 Depth=1
	v_cmp_ne_u16_sdwa s[18:19], v6, s21 src0_sel:BYTE_0 src1_sel:DWORD
	v_mov_b32_e32 v13, 0xffff8000
	s_and_saveexec_b64 s[16:17], s[18:19]
	s_cbranch_execz .LBB817_793
; %bb.790:                              ;   in Loop: Header=BB817_788 Depth=1
	v_and_b32_e32 v8, 0x7f, v6
	v_cmp_ne_u32_e32 vcc, s23, v8
	v_mov_b32_e32 v13, 0x7f80
	s_and_saveexec_b64 s[18:19], vcc
	s_cbranch_execz .LBB817_792
; %bb.791:                              ;   in Loop: Header=BB817_788 Depth=1
	v_and_b32_e32 v14, 7, v6
	v_ffbh_u32_e32 v12, v14
	v_min_u32_e32 v16, 32, v12
	v_subrev_u32_e32 v12, 28, v16
	v_lshlrev_b64 v[12:13], v12, v[6:7]
	v_lshrrev_b32_e32 v15, 3, v8
	v_sub_u32_e32 v13, 29, v16
	v_and_b32_e32 v12, 7, v12
	v_cmp_gt_u32_e32 vcc, 8, v8
	v_cndmask_b32_e32 v8, v15, v13, vcc
	v_cndmask_b32_e32 v12, v14, v12, vcc
	v_lshlrev_b32_e32 v13, 24, v6
	v_lshlrev_b32_e32 v12, 20, v12
	v_and_b32_e32 v13, 0x80000000, v13
	v_lshl_add_u32 v8, v8, 23, v10
	v_or3_b32 v8, v13, v8, v12
	v_lshrrev_b32_e32 v13, 16, v8
.LBB817_792:                            ;   in Loop: Header=BB817_788 Depth=1
	s_or_b64 exec, exec, s[18:19]
.LBB817_793:                            ;   in Loop: Header=BB817_788 Depth=1
	s_or_b64 exec, exec, s[16:17]
.LBB817_794:                            ;   in Loop: Header=BB817_788 Depth=1
	s_or_b64 exec, exec, s[14:15]
	v_lshrrev_b16_e32 v8, 8, v6
	v_cmp_ne_u16_e32 vcc, 0, v8
	v_mov_b32_e32 v15, 0
	v_mov_b32_e32 v14, 0
	s_and_saveexec_b64 s[14:15], vcc
	s_cbranch_execz .LBB817_800
; %bb.795:                              ;   in Loop: Header=BB817_788 Depth=1
	v_cmp_ne_u16_e32 vcc, s21, v8
	v_mov_b32_e32 v14, 0xffff8000
	s_and_saveexec_b64 s[16:17], vcc
	s_cbranch_execz .LBB817_799
; %bb.796:                              ;   in Loop: Header=BB817_788 Depth=1
	v_and_b32_e32 v12, 0x7f, v8
	v_cmp_ne_u32_e32 vcc, s23, v12
	v_mov_b32_e32 v14, 0x7f80
	s_and_saveexec_b64 s[18:19], vcc
	s_cbranch_execz .LBB817_798
; %bb.797:                              ;   in Loop: Header=BB817_788 Depth=1
	v_and_b32_e32 v14, 7, v8
	v_ffbh_u32_e32 v16, v14
	v_min_u32_e32 v19, 32, v16
	v_subrev_u32_e32 v16, 28, v19
	v_lshlrev_b64 v[16:17], v16, v[8:9]
	v_lshrrev_b32_e32 v18, 3, v12
	v_sub_u32_e32 v8, 29, v19
	v_and_b32_e32 v16, 7, v16
	v_cmp_gt_u32_e32 vcc, 8, v12
	v_cndmask_b32_e32 v8, v18, v8, vcc
	v_cndmask_b32_e32 v12, v14, v16, vcc
	v_lshlrev_b32_e32 v14, 16, v6
	v_lshlrev_b32_e32 v12, 20, v12
	v_and_b32_e32 v14, 0x80000000, v14
	v_lshl_add_u32 v8, v8, 23, v10
	v_or3_b32 v8, v14, v8, v12
	v_lshrrev_b32_e32 v14, 16, v8
.LBB817_798:                            ;   in Loop: Header=BB817_788 Depth=1
	s_or_b64 exec, exec, s[18:19]
.LBB817_799:                            ;   in Loop: Header=BB817_788 Depth=1
	s_or_b64 exec, exec, s[16:17]
.LBB817_800:                            ;   in Loop: Header=BB817_788 Depth=1
	s_or_b64 exec, exec, s[14:15]
	v_lshrrev_b32_e32 v8, 16, v6
	v_cmp_ne_u16_sdwa s[16:17], v8, v9 src0_sel:BYTE_0 src1_sel:DWORD
	s_and_saveexec_b64 s[14:15], s[16:17]
	s_cbranch_execz .LBB817_806
; %bb.801:                              ;   in Loop: Header=BB817_788 Depth=1
	v_cmp_ne_u16_sdwa s[18:19], v8, s21 src0_sel:BYTE_0 src1_sel:DWORD
	v_mov_b32_e32 v15, 0xffff8000
	s_and_saveexec_b64 s[16:17], s[18:19]
	s_cbranch_execz .LBB817_805
; %bb.802:                              ;   in Loop: Header=BB817_788 Depth=1
	v_bfe_u32 v12, v6, 16, 7
	v_cmp_ne_u32_e32 vcc, s23, v12
	v_mov_b32_e32 v15, 0x7f80
	s_and_saveexec_b64 s[18:19], vcc
	s_cbranch_execz .LBB817_804
; %bb.803:                              ;   in Loop: Header=BB817_788 Depth=1
	v_and_b32_e32 v15, 7, v8
	v_ffbh_u32_e32 v16, v15
	v_min_u32_e32 v19, 32, v16
	v_subrev_u32_e32 v16, 28, v19
	v_lshlrev_b64 v[16:17], v16, v[8:9]
	v_lshrrev_b32_e32 v18, 3, v12
	v_sub_u32_e32 v17, 29, v19
	v_and_b32_e32 v16, 7, v16
	v_cmp_gt_u32_e32 vcc, 8, v12
	v_cndmask_b32_e32 v12, v18, v17, vcc
	v_cndmask_b32_e32 v15, v15, v16, vcc
	v_lshlrev_b32_e32 v8, 24, v8
	v_lshlrev_b32_e32 v15, 20, v15
	v_and_b32_e32 v8, 0x80000000, v8
	v_lshl_add_u32 v12, v12, 23, v10
	v_or3_b32 v8, v8, v12, v15
	v_lshrrev_b32_e32 v15, 16, v8
.LBB817_804:                            ;   in Loop: Header=BB817_788 Depth=1
	s_or_b64 exec, exec, s[18:19]
.LBB817_805:                            ;   in Loop: Header=BB817_788 Depth=1
	s_or_b64 exec, exec, s[16:17]
.LBB817_806:                            ;   in Loop: Header=BB817_788 Depth=1
	s_or_b64 exec, exec, s[14:15]
	v_cmp_lt_u32_e32 vcc, s25, v6
	v_mov_b32_e32 v16, 0
	v_mov_b32_e32 v17, 0
	s_and_saveexec_b64 s[14:15], vcc
	s_cbranch_execz .LBB817_812
; %bb.807:                              ;   in Loop: Header=BB817_788 Depth=1
	v_lshrrev_b32_e32 v8, 24, v6
	v_cmp_ne_u32_e32 vcc, s21, v8
	v_mov_b32_e32 v17, 0xffff8000
	s_and_saveexec_b64 s[16:17], vcc
	s_cbranch_execz .LBB817_811
; %bb.808:                              ;   in Loop: Header=BB817_788 Depth=1
	v_bfe_u32 v6, v6, 24, 7
	v_cmp_ne_u32_e32 vcc, s23, v6
	v_mov_b32_e32 v17, 0x7f80
	s_and_saveexec_b64 s[18:19], vcc
	s_cbranch_execz .LBB817_810
; %bb.809:                              ;   in Loop: Header=BB817_788 Depth=1
	v_and_b32_e32 v12, 7, v8
	v_ffbh_u32_e32 v18, v12
	v_min_u32_e32 v20, 32, v18
	v_subrev_u32_e32 v18, 28, v20
	v_lshlrev_b64 v[18:19], v18, v[8:9]
	v_lshrrev_b32_e32 v17, 3, v6
	v_sub_u32_e32 v19, 29, v20
	v_and_b32_e32 v18, 7, v18
	v_cmp_gt_u32_e32 vcc, 8, v6
	v_cndmask_b32_e32 v6, v17, v19, vcc
	v_cndmask_b32_e32 v12, v12, v18, vcc
	v_lshlrev_b32_e32 v8, 24, v8
	v_lshlrev_b32_e32 v12, 20, v12
	v_and_b32_e32 v8, 0x80000000, v8
	v_lshl_add_u32 v6, v6, 23, v10
	v_or3_b32 v6, v8, v6, v12
	v_lshrrev_b32_e32 v17, 16, v6
.LBB817_810:                            ;   in Loop: Header=BB817_788 Depth=1
	s_or_b64 exec, exec, s[18:19]
.LBB817_811:                            ;   in Loop: Header=BB817_788 Depth=1
	s_or_b64 exec, exec, s[16:17]
.LBB817_812:                            ;   in Loop: Header=BB817_788 Depth=1
	s_or_b64 exec, exec, s[14:15]
	s_waitcnt vmcnt(0)
	v_cmp_ne_u16_sdwa s[16:17], v4, v9 src0_sel:BYTE_0 src1_sel:DWORD
	s_and_saveexec_b64 s[14:15], s[16:17]
	s_cbranch_execz .LBB817_818
; %bb.813:                              ;   in Loop: Header=BB817_788 Depth=1
	v_cmp_ne_u16_sdwa s[18:19], v4, s21 src0_sel:BYTE_0 src1_sel:DWORD
	v_mov_b32_e32 v16, 0xffff8000
	s_and_saveexec_b64 s[16:17], s[18:19]
	s_cbranch_execz .LBB817_817
; %bb.814:                              ;   in Loop: Header=BB817_788 Depth=1
	v_and_b32_e32 v6, 0x7f, v4
	v_cmp_ne_u32_e32 vcc, s23, v6
	v_mov_b32_e32 v16, 0x7f80
	s_and_saveexec_b64 s[18:19], vcc
	s_cbranch_execz .LBB817_816
; %bb.815:                              ;   in Loop: Header=BB817_788 Depth=1
	v_and_b32_e32 v8, 7, v4
	v_ffbh_u32_e32 v16, v8
	v_min_u32_e32 v16, 32, v16
	v_subrev_u32_e32 v18, 28, v16
	v_lshlrev_b64 v[18:19], v18, v[4:5]
	v_lshrrev_b32_e32 v12, 3, v6
	v_sub_u32_e32 v16, 29, v16
	v_and_b32_e32 v18, 7, v18
	v_cmp_gt_u32_e32 vcc, 8, v6
	v_cndmask_b32_e32 v6, v12, v16, vcc
	v_cndmask_b32_e32 v8, v8, v18, vcc
	v_lshlrev_b32_e32 v12, 24, v4
	v_lshlrev_b32_e32 v8, 20, v8
	v_and_b32_e32 v12, 0x80000000, v12
	v_lshl_add_u32 v6, v6, 23, v10
	v_or3_b32 v6, v12, v6, v8
	v_lshrrev_b32_e32 v16, 16, v6
.LBB817_816:                            ;   in Loop: Header=BB817_788 Depth=1
	s_or_b64 exec, exec, s[18:19]
.LBB817_817:                            ;   in Loop: Header=BB817_788 Depth=1
	s_or_b64 exec, exec, s[16:17]
.LBB817_818:                            ;   in Loop: Header=BB817_788 Depth=1
	s_or_b64 exec, exec, s[14:15]
	v_lshrrev_b16_e32 v6, 8, v4
	v_cmp_ne_u16_e32 vcc, 0, v6
	v_mov_b32_e32 v18, 0
	v_mov_b32_e32 v8, 0
	s_and_saveexec_b64 s[14:15], vcc
	s_cbranch_execz .LBB817_824
; %bb.819:                              ;   in Loop: Header=BB817_788 Depth=1
	v_cmp_ne_u16_e32 vcc, s21, v6
	v_mov_b32_e32 v8, 0xffff8000
	s_and_saveexec_b64 s[16:17], vcc
	s_cbranch_execz .LBB817_823
; %bb.820:                              ;   in Loop: Header=BB817_788 Depth=1
	v_and_b32_e32 v12, 0x7f, v6
	v_cmp_ne_u32_e32 vcc, s23, v12
	v_mov_b32_e32 v8, 0x7f80
	s_and_saveexec_b64 s[18:19], vcc
	s_cbranch_execz .LBB817_822
; %bb.821:                              ;   in Loop: Header=BB817_788 Depth=1
	v_and_b32_e32 v8, 7, v6
	v_ffbh_u32_e32 v20, v8
	v_min_u32_e32 v22, 32, v20
	v_subrev_u32_e32 v20, 28, v22
	v_lshlrev_b64 v[20:21], v20, v[6:7]
	v_lshrrev_b32_e32 v19, 3, v12
	v_sub_u32_e32 v6, 29, v22
	v_and_b32_e32 v20, 7, v20
	v_cmp_gt_u32_e32 vcc, 8, v12
	v_cndmask_b32_e32 v6, v19, v6, vcc
	v_cndmask_b32_e32 v8, v8, v20, vcc
	v_lshlrev_b32_e32 v12, 16, v4
	v_lshlrev_b32_e32 v8, 20, v8
	v_and_b32_e32 v12, 0x80000000, v12
	v_lshl_add_u32 v6, v6, 23, v10
	v_or3_b32 v6, v12, v6, v8
	v_lshrrev_b32_e32 v8, 16, v6
.LBB817_822:                            ;   in Loop: Header=BB817_788 Depth=1
	s_or_b64 exec, exec, s[18:19]
.LBB817_823:                            ;   in Loop: Header=BB817_788 Depth=1
	s_or_b64 exec, exec, s[16:17]
.LBB817_824:                            ;   in Loop: Header=BB817_788 Depth=1
	s_or_b64 exec, exec, s[14:15]
	v_lshrrev_b32_e32 v6, 16, v4
	v_cmp_ne_u16_sdwa s[16:17], v6, v9 src0_sel:BYTE_0 src1_sel:DWORD
	s_and_saveexec_b64 s[14:15], s[16:17]
	s_cbranch_execz .LBB817_830
; %bb.825:                              ;   in Loop: Header=BB817_788 Depth=1
	v_cmp_ne_u16_sdwa s[18:19], v6, s21 src0_sel:BYTE_0 src1_sel:DWORD
	v_mov_b32_e32 v18, 0xffff8000
	s_and_saveexec_b64 s[16:17], s[18:19]
	s_cbranch_execz .LBB817_829
; %bb.826:                              ;   in Loop: Header=BB817_788 Depth=1
	v_bfe_u32 v12, v4, 16, 7
	v_cmp_ne_u32_e32 vcc, s23, v12
	v_mov_b32_e32 v18, 0x7f80
	s_and_saveexec_b64 s[18:19], vcc
	s_cbranch_execz .LBB817_828
; %bb.827:                              ;   in Loop: Header=BB817_788 Depth=1
	v_and_b32_e32 v20, 7, v6
	v_ffbh_u32_e32 v18, v20
	v_min_u32_e32 v22, 32, v18
	v_subrev_u32_e32 v18, 28, v22
	v_lshlrev_b64 v[18:19], v18, v[6:7]
	v_lshrrev_b32_e32 v21, 3, v12
	v_sub_u32_e32 v19, 29, v22
	v_and_b32_e32 v18, 7, v18
	v_cmp_gt_u32_e32 vcc, 8, v12
	v_cndmask_b32_e32 v12, v21, v19, vcc
	v_cndmask_b32_e32 v18, v20, v18, vcc
	v_lshlrev_b32_e32 v6, 24, v6
	v_lshlrev_b32_e32 v18, 20, v18
	v_and_b32_e32 v6, 0x80000000, v6
	v_lshl_add_u32 v12, v12, 23, v10
	v_or3_b32 v6, v6, v12, v18
	v_lshrrev_b32_e32 v18, 16, v6
.LBB817_828:                            ;   in Loop: Header=BB817_788 Depth=1
	s_or_b64 exec, exec, s[18:19]
.LBB817_829:                            ;   in Loop: Header=BB817_788 Depth=1
	s_or_b64 exec, exec, s[16:17]
.LBB817_830:                            ;   in Loop: Header=BB817_788 Depth=1
	s_or_b64 exec, exec, s[14:15]
	v_cmp_lt_u32_e32 vcc, s25, v4
	v_mov_b32_e32 v12, 0
	v_mov_b32_e32 v19, 0
	s_and_saveexec_b64 s[14:15], vcc
	s_cbranch_execz .LBB817_836
; %bb.831:                              ;   in Loop: Header=BB817_788 Depth=1
	v_lshrrev_b32_e32 v6, 24, v4
	v_cmp_ne_u32_e32 vcc, s21, v6
	v_mov_b32_e32 v19, 0xffff8000
	s_and_saveexec_b64 s[16:17], vcc
	s_cbranch_execz .LBB817_835
; %bb.832:                              ;   in Loop: Header=BB817_788 Depth=1
	v_bfe_u32 v4, v4, 24, 7
	v_cmp_ne_u32_e32 vcc, s23, v4
	v_mov_b32_e32 v19, 0x7f80
	s_and_saveexec_b64 s[18:19], vcc
	s_cbranch_execz .LBB817_834
; %bb.833:                              ;   in Loop: Header=BB817_788 Depth=1
	v_and_b32_e32 v19, 7, v6
	v_ffbh_u32_e32 v20, v19
	v_min_u32_e32 v23, 32, v20
	v_subrev_u32_e32 v20, 28, v23
	v_lshlrev_b64 v[20:21], v20, v[6:7]
	v_lshrrev_b32_e32 v22, 3, v4
	v_sub_u32_e32 v21, 29, v23
	v_and_b32_e32 v20, 7, v20
	v_cmp_gt_u32_e32 vcc, 8, v4
	v_cndmask_b32_e32 v4, v22, v21, vcc
	v_cndmask_b32_e32 v19, v19, v20, vcc
	v_lshlrev_b32_e32 v6, 24, v6
	v_lshlrev_b32_e32 v19, 20, v19
	v_and_b32_e32 v6, 0x80000000, v6
	v_lshl_add_u32 v4, v4, 23, v10
	v_or3_b32 v4, v6, v4, v19
	v_lshrrev_b32_e32 v19, 16, v4
.LBB817_834:                            ;   in Loop: Header=BB817_788 Depth=1
	s_or_b64 exec, exec, s[18:19]
.LBB817_835:                            ;   in Loop: Header=BB817_788 Depth=1
	s_or_b64 exec, exec, s[16:17]
.LBB817_836:                            ;   in Loop: Header=BB817_788 Depth=1
	s_or_b64 exec, exec, s[14:15]
	buffer_load_dword v6, v11, s[0:3], 0 offen offset:8
	buffer_load_dword v4, v11, s[0:3], 0 offen offset:12
	v_perm_b32 v15, v17, v15, s26
	v_perm_b32 v14, v14, v13, s26
	;; [unrolled: 1-line block ×4, first 2 shown]
	v_mfma_f32_4x4x4bf16_1k a[0:3], v[2:3], v[14:15], 0 cbsz:4
	s_waitcnt vmcnt(1)
	v_cmp_ne_u16_sdwa s[16:17], v6, v9 src0_sel:BYTE_0 src1_sel:DWORD
	v_mfma_f32_4x4x4bf16_1k a[0:3], v[2:3], v[16:17], a[0:3] cbsz:4 abid:1
	s_and_saveexec_b64 s[14:15], s[16:17]
	s_cbranch_execz .LBB817_842
; %bb.837:                              ;   in Loop: Header=BB817_788 Depth=1
	v_cmp_ne_u16_sdwa s[18:19], v6, s21 src0_sel:BYTE_0 src1_sel:DWORD
	v_mov_b32_e32 v12, 0xffff8000
	s_and_saveexec_b64 s[16:17], s[18:19]
	s_cbranch_execz .LBB817_841
; %bb.838:                              ;   in Loop: Header=BB817_788 Depth=1
	v_and_b32_e32 v8, 0x7f, v6
	v_cmp_ne_u32_e32 vcc, s23, v8
	v_mov_b32_e32 v12, 0x7f80
	s_and_saveexec_b64 s[18:19], vcc
	s_cbranch_execz .LBB817_840
; %bb.839:                              ;   in Loop: Header=BB817_788 Depth=1
	v_and_b32_e32 v14, 7, v6
	v_ffbh_u32_e32 v12, v14
	v_min_u32_e32 v16, 32, v12
	v_subrev_u32_e32 v12, 28, v16
	v_lshlrev_b64 v[12:13], v12, v[6:7]
	v_lshrrev_b32_e32 v15, 3, v8
	v_sub_u32_e32 v13, 29, v16
	v_and_b32_e32 v12, 7, v12
	v_cmp_gt_u32_e32 vcc, 8, v8
	v_cndmask_b32_e32 v8, v15, v13, vcc
	v_cndmask_b32_e32 v12, v14, v12, vcc
	v_lshlrev_b32_e32 v13, 24, v6
	v_lshlrev_b32_e32 v12, 20, v12
	v_and_b32_e32 v13, 0x80000000, v13
	v_lshl_add_u32 v8, v8, 23, v10
	v_or3_b32 v8, v13, v8, v12
	v_lshrrev_b32_e32 v12, 16, v8
.LBB817_840:                            ;   in Loop: Header=BB817_788 Depth=1
	s_or_b64 exec, exec, s[18:19]
.LBB817_841:                            ;   in Loop: Header=BB817_788 Depth=1
	s_or_b64 exec, exec, s[16:17]
.LBB817_842:                            ;   in Loop: Header=BB817_788 Depth=1
	s_or_b64 exec, exec, s[14:15]
	v_lshrrev_b16_e32 v8, 8, v6
	v_cmp_ne_u16_e32 vcc, 0, v8
	v_mov_b32_e32 v15, 0
	v_mov_b32_e32 v14, 0
	s_and_saveexec_b64 s[14:15], vcc
	s_cbranch_execz .LBB817_848
; %bb.843:                              ;   in Loop: Header=BB817_788 Depth=1
	v_cmp_ne_u16_e32 vcc, s21, v8
	v_mov_b32_e32 v14, 0xffff8000
	s_and_saveexec_b64 s[16:17], vcc
	s_cbranch_execz .LBB817_847
; %bb.844:                              ;   in Loop: Header=BB817_788 Depth=1
	v_and_b32_e32 v13, 0x7f, v8
	v_cmp_ne_u32_e32 vcc, s23, v13
	v_mov_b32_e32 v14, 0x7f80
	s_and_saveexec_b64 s[18:19], vcc
	s_cbranch_execz .LBB817_846
; %bb.845:                              ;   in Loop: Header=BB817_788 Depth=1
	v_and_b32_e32 v14, 7, v8
	v_ffbh_u32_e32 v16, v14
	v_min_u32_e32 v19, 32, v16
	v_subrev_u32_e32 v16, 28, v19
	v_lshlrev_b64 v[16:17], v16, v[8:9]
	v_lshrrev_b32_e32 v18, 3, v13
	v_sub_u32_e32 v8, 29, v19
	v_and_b32_e32 v16, 7, v16
	v_cmp_gt_u32_e32 vcc, 8, v13
	v_cndmask_b32_e32 v8, v18, v8, vcc
	v_cndmask_b32_e32 v13, v14, v16, vcc
	v_lshlrev_b32_e32 v14, 16, v6
	v_lshlrev_b32_e32 v13, 20, v13
	v_and_b32_e32 v14, 0x80000000, v14
	v_lshl_add_u32 v8, v8, 23, v10
	v_or3_b32 v8, v14, v8, v13
	v_lshrrev_b32_e32 v14, 16, v8
.LBB817_846:                            ;   in Loop: Header=BB817_788 Depth=1
	s_or_b64 exec, exec, s[18:19]
.LBB817_847:                            ;   in Loop: Header=BB817_788 Depth=1
	s_or_b64 exec, exec, s[16:17]
.LBB817_848:                            ;   in Loop: Header=BB817_788 Depth=1
	s_or_b64 exec, exec, s[14:15]
	v_lshrrev_b32_e32 v8, 16, v6
	v_cmp_ne_u16_sdwa s[16:17], v8, v9 src0_sel:BYTE_0 src1_sel:DWORD
	s_and_saveexec_b64 s[14:15], s[16:17]
	s_cbranch_execz .LBB817_854
; %bb.849:                              ;   in Loop: Header=BB817_788 Depth=1
	v_cmp_ne_u16_sdwa s[18:19], v8, s21 src0_sel:BYTE_0 src1_sel:DWORD
	v_mov_b32_e32 v15, 0xffff8000
	s_and_saveexec_b64 s[16:17], s[18:19]
	s_cbranch_execz .LBB817_853
; %bb.850:                              ;   in Loop: Header=BB817_788 Depth=1
	v_bfe_u32 v13, v6, 16, 7
	v_cmp_ne_u32_e32 vcc, s23, v13
	v_mov_b32_e32 v15, 0x7f80
	s_and_saveexec_b64 s[18:19], vcc
	s_cbranch_execz .LBB817_852
; %bb.851:                              ;   in Loop: Header=BB817_788 Depth=1
	v_and_b32_e32 v15, 7, v8
	v_ffbh_u32_e32 v16, v15
	v_min_u32_e32 v19, 32, v16
	v_subrev_u32_e32 v16, 28, v19
	v_lshlrev_b64 v[16:17], v16, v[8:9]
	v_lshrrev_b32_e32 v18, 3, v13
	v_sub_u32_e32 v17, 29, v19
	v_and_b32_e32 v16, 7, v16
	v_cmp_gt_u32_e32 vcc, 8, v13
	v_cndmask_b32_e32 v13, v18, v17, vcc
	v_cndmask_b32_e32 v15, v15, v16, vcc
	v_lshlrev_b32_e32 v8, 24, v8
	v_lshlrev_b32_e32 v15, 20, v15
	v_and_b32_e32 v8, 0x80000000, v8
	v_lshl_add_u32 v13, v13, 23, v10
	v_or3_b32 v8, v8, v13, v15
	v_lshrrev_b32_e32 v15, 16, v8
.LBB817_852:                            ;   in Loop: Header=BB817_788 Depth=1
	s_or_b64 exec, exec, s[18:19]
.LBB817_853:                            ;   in Loop: Header=BB817_788 Depth=1
	s_or_b64 exec, exec, s[16:17]
.LBB817_854:                            ;   in Loop: Header=BB817_788 Depth=1
	s_or_b64 exec, exec, s[14:15]
	v_cmp_lt_u32_e32 vcc, s25, v6
	v_mov_b32_e32 v16, 0
	v_mov_b32_e32 v17, 0
	s_and_saveexec_b64 s[14:15], vcc
	s_cbranch_execz .LBB817_860
; %bb.855:                              ;   in Loop: Header=BB817_788 Depth=1
	v_lshrrev_b32_e32 v8, 24, v6
	v_cmp_ne_u32_e32 vcc, s21, v8
	v_mov_b32_e32 v17, 0xffff8000
	s_and_saveexec_b64 s[16:17], vcc
	s_cbranch_execz .LBB817_859
; %bb.856:                              ;   in Loop: Header=BB817_788 Depth=1
	v_bfe_u32 v6, v6, 24, 7
	v_cmp_ne_u32_e32 vcc, s23, v6
	v_mov_b32_e32 v17, 0x7f80
	s_and_saveexec_b64 s[18:19], vcc
	s_cbranch_execz .LBB817_858
; %bb.857:                              ;   in Loop: Header=BB817_788 Depth=1
	v_and_b32_e32 v13, 7, v8
	v_ffbh_u32_e32 v18, v13
	v_min_u32_e32 v20, 32, v18
	v_subrev_u32_e32 v18, 28, v20
	v_lshlrev_b64 v[18:19], v18, v[8:9]
	v_lshrrev_b32_e32 v17, 3, v6
	v_sub_u32_e32 v19, 29, v20
	v_and_b32_e32 v18, 7, v18
	v_cmp_gt_u32_e32 vcc, 8, v6
	v_cndmask_b32_e32 v6, v17, v19, vcc
	v_cndmask_b32_e32 v13, v13, v18, vcc
	v_lshlrev_b32_e32 v8, 24, v8
	v_lshlrev_b32_e32 v13, 20, v13
	v_and_b32_e32 v8, 0x80000000, v8
	v_lshl_add_u32 v6, v6, 23, v10
	v_or3_b32 v6, v8, v6, v13
	v_lshrrev_b32_e32 v17, 16, v6
.LBB817_858:                            ;   in Loop: Header=BB817_788 Depth=1
	s_or_b64 exec, exec, s[18:19]
.LBB817_859:                            ;   in Loop: Header=BB817_788 Depth=1
	s_or_b64 exec, exec, s[16:17]
.LBB817_860:                            ;   in Loop: Header=BB817_788 Depth=1
	s_or_b64 exec, exec, s[14:15]
	s_waitcnt vmcnt(0)
	v_cmp_ne_u16_sdwa s[16:17], v4, v9 src0_sel:BYTE_0 src1_sel:DWORD
	s_and_saveexec_b64 s[14:15], s[16:17]
	s_cbranch_execz .LBB817_866
; %bb.861:                              ;   in Loop: Header=BB817_788 Depth=1
	v_cmp_ne_u16_sdwa s[18:19], v4, s21 src0_sel:BYTE_0 src1_sel:DWORD
	v_mov_b32_e32 v16, 0xffff8000
	s_and_saveexec_b64 s[16:17], s[18:19]
	s_cbranch_execz .LBB817_865
; %bb.862:                              ;   in Loop: Header=BB817_788 Depth=1
	v_and_b32_e32 v6, 0x7f, v4
	v_cmp_ne_u32_e32 vcc, s23, v6
	v_mov_b32_e32 v16, 0x7f80
	s_and_saveexec_b64 s[18:19], vcc
	s_cbranch_execz .LBB817_864
; %bb.863:                              ;   in Loop: Header=BB817_788 Depth=1
	v_and_b32_e32 v8, 7, v4
	v_ffbh_u32_e32 v16, v8
	v_min_u32_e32 v16, 32, v16
	v_subrev_u32_e32 v18, 28, v16
	v_lshlrev_b64 v[18:19], v18, v[4:5]
	v_lshrrev_b32_e32 v13, 3, v6
	v_sub_u32_e32 v16, 29, v16
	v_and_b32_e32 v18, 7, v18
	v_cmp_gt_u32_e32 vcc, 8, v6
	v_cndmask_b32_e32 v6, v13, v16, vcc
	v_cndmask_b32_e32 v8, v8, v18, vcc
	v_lshlrev_b32_e32 v13, 24, v4
	v_lshlrev_b32_e32 v8, 20, v8
	v_and_b32_e32 v13, 0x80000000, v13
	v_lshl_add_u32 v6, v6, 23, v10
	v_or3_b32 v6, v13, v6, v8
	v_lshrrev_b32_e32 v16, 16, v6
.LBB817_864:                            ;   in Loop: Header=BB817_788 Depth=1
	s_or_b64 exec, exec, s[18:19]
.LBB817_865:                            ;   in Loop: Header=BB817_788 Depth=1
	s_or_b64 exec, exec, s[16:17]
.LBB817_866:                            ;   in Loop: Header=BB817_788 Depth=1
	s_or_b64 exec, exec, s[14:15]
	v_lshrrev_b16_e32 v6, 8, v4
	v_cmp_ne_u16_e32 vcc, 0, v6
	v_mov_b32_e32 v18, 0
	v_mov_b32_e32 v8, 0
	s_and_saveexec_b64 s[14:15], vcc
	s_cbranch_execz .LBB817_872
; %bb.867:                              ;   in Loop: Header=BB817_788 Depth=1
	v_cmp_ne_u16_e32 vcc, s21, v6
	v_mov_b32_e32 v8, 0xffff8000
	s_and_saveexec_b64 s[16:17], vcc
	s_cbranch_execz .LBB817_871
; %bb.868:                              ;   in Loop: Header=BB817_788 Depth=1
	v_and_b32_e32 v13, 0x7f, v6
	v_cmp_ne_u32_e32 vcc, s23, v13
	v_mov_b32_e32 v8, 0x7f80
	s_and_saveexec_b64 s[18:19], vcc
	s_cbranch_execz .LBB817_870
; %bb.869:                              ;   in Loop: Header=BB817_788 Depth=1
	v_and_b32_e32 v8, 7, v6
	v_ffbh_u32_e32 v20, v8
	v_min_u32_e32 v22, 32, v20
	v_subrev_u32_e32 v20, 28, v22
	v_lshlrev_b64 v[20:21], v20, v[6:7]
	v_lshrrev_b32_e32 v19, 3, v13
	v_sub_u32_e32 v6, 29, v22
	v_and_b32_e32 v20, 7, v20
	v_cmp_gt_u32_e32 vcc, 8, v13
	v_cndmask_b32_e32 v6, v19, v6, vcc
	v_cndmask_b32_e32 v8, v8, v20, vcc
	v_lshlrev_b32_e32 v13, 16, v4
	v_lshlrev_b32_e32 v8, 20, v8
	v_and_b32_e32 v13, 0x80000000, v13
	v_lshl_add_u32 v6, v6, 23, v10
	v_or3_b32 v6, v13, v6, v8
	v_lshrrev_b32_e32 v8, 16, v6
.LBB817_870:                            ;   in Loop: Header=BB817_788 Depth=1
	s_or_b64 exec, exec, s[18:19]
.LBB817_871:                            ;   in Loop: Header=BB817_788 Depth=1
	s_or_b64 exec, exec, s[16:17]
.LBB817_872:                            ;   in Loop: Header=BB817_788 Depth=1
	s_or_b64 exec, exec, s[14:15]
	v_lshrrev_b32_e32 v6, 16, v4
	v_cmp_ne_u16_sdwa s[16:17], v6, v9 src0_sel:BYTE_0 src1_sel:DWORD
	s_and_saveexec_b64 s[14:15], s[16:17]
	s_cbranch_execz .LBB817_878
; %bb.873:                              ;   in Loop: Header=BB817_788 Depth=1
	v_cmp_ne_u16_sdwa s[18:19], v6, s21 src0_sel:BYTE_0 src1_sel:DWORD
	v_mov_b32_e32 v18, 0xffff8000
	s_and_saveexec_b64 s[16:17], s[18:19]
	s_cbranch_execz .LBB817_877
; %bb.874:                              ;   in Loop: Header=BB817_788 Depth=1
	v_bfe_u32 v13, v4, 16, 7
	v_cmp_ne_u32_e32 vcc, s23, v13
	v_mov_b32_e32 v18, 0x7f80
	s_and_saveexec_b64 s[18:19], vcc
	s_cbranch_execz .LBB817_876
; %bb.875:                              ;   in Loop: Header=BB817_788 Depth=1
	v_and_b32_e32 v20, 7, v6
	v_ffbh_u32_e32 v18, v20
	v_min_u32_e32 v22, 32, v18
	v_subrev_u32_e32 v18, 28, v22
	v_lshlrev_b64 v[18:19], v18, v[6:7]
	v_lshrrev_b32_e32 v21, 3, v13
	v_sub_u32_e32 v19, 29, v22
	v_and_b32_e32 v18, 7, v18
	v_cmp_gt_u32_e32 vcc, 8, v13
	v_cndmask_b32_e32 v13, v21, v19, vcc
	v_cndmask_b32_e32 v18, v20, v18, vcc
	v_lshlrev_b32_e32 v6, 24, v6
	v_lshlrev_b32_e32 v18, 20, v18
	v_and_b32_e32 v6, 0x80000000, v6
	v_lshl_add_u32 v13, v13, 23, v10
	v_or3_b32 v6, v6, v13, v18
	v_lshrrev_b32_e32 v18, 16, v6
.LBB817_876:                            ;   in Loop: Header=BB817_788 Depth=1
	s_or_b64 exec, exec, s[18:19]
.LBB817_877:                            ;   in Loop: Header=BB817_788 Depth=1
	s_or_b64 exec, exec, s[16:17]
.LBB817_878:                            ;   in Loop: Header=BB817_788 Depth=1
	s_or_b64 exec, exec, s[14:15]
	v_cmp_lt_u32_e32 vcc, s25, v4
	v_mov_b32_e32 v13, 0
	v_mov_b32_e32 v19, 0
	s_and_saveexec_b64 s[14:15], vcc
	s_cbranch_execz .LBB817_884
; %bb.879:                              ;   in Loop: Header=BB817_788 Depth=1
	v_lshrrev_b32_e32 v6, 24, v4
	v_cmp_ne_u32_e32 vcc, s21, v6
	v_mov_b32_e32 v19, 0xffff8000
	s_and_saveexec_b64 s[16:17], vcc
	s_cbranch_execz .LBB817_883
; %bb.880:                              ;   in Loop: Header=BB817_788 Depth=1
	v_bfe_u32 v4, v4, 24, 7
	v_cmp_ne_u32_e32 vcc, s23, v4
	v_mov_b32_e32 v19, 0x7f80
	s_and_saveexec_b64 s[18:19], vcc
	s_cbranch_execz .LBB817_882
; %bb.881:                              ;   in Loop: Header=BB817_788 Depth=1
	v_and_b32_e32 v19, 7, v6
	v_ffbh_u32_e32 v20, v19
	v_min_u32_e32 v23, 32, v20
	v_subrev_u32_e32 v20, 28, v23
	v_lshlrev_b64 v[20:21], v20, v[6:7]
	v_lshrrev_b32_e32 v22, 3, v4
	v_sub_u32_e32 v21, 29, v23
	v_and_b32_e32 v20, 7, v20
	v_cmp_gt_u32_e32 vcc, 8, v4
	v_cndmask_b32_e32 v4, v22, v21, vcc
	v_cndmask_b32_e32 v19, v19, v20, vcc
	v_lshlrev_b32_e32 v6, 24, v6
	v_lshlrev_b32_e32 v19, 20, v19
	v_and_b32_e32 v6, 0x80000000, v6
	v_lshl_add_u32 v4, v4, 23, v10
	v_or3_b32 v4, v6, v4, v19
	v_lshrrev_b32_e32 v19, 16, v4
.LBB817_882:                            ;   in Loop: Header=BB817_788 Depth=1
	s_or_b64 exec, exec, s[18:19]
.LBB817_883:                            ;   in Loop: Header=BB817_788 Depth=1
	s_or_b64 exec, exec, s[16:17]
.LBB817_884:                            ;   in Loop: Header=BB817_788 Depth=1
	s_or_b64 exec, exec, s[14:15]
	buffer_load_dword v6, v11, s[0:3], 0 offen offset:16
	buffer_load_dword v4, v11, s[0:3], 0 offen offset:20
	v_perm_b32 v15, v17, v15, s26
	v_perm_b32 v14, v14, v12, s26
	;; [unrolled: 1-line block ×4, first 2 shown]
	v_mfma_f32_4x4x4bf16_1k a[0:3], v[2:3], v[14:15], a[0:3] cbsz:4 abid:2
	s_waitcnt vmcnt(1)
	v_cmp_ne_u16_sdwa s[16:17], v6, v9 src0_sel:BYTE_0 src1_sel:DWORD
	v_mfma_f32_4x4x4bf16_1k a[0:3], v[2:3], v[16:17], a[0:3] cbsz:4 abid:3
	s_and_saveexec_b64 s[14:15], s[16:17]
	s_cbranch_execz .LBB817_890
; %bb.885:                              ;   in Loop: Header=BB817_788 Depth=1
	v_cmp_ne_u16_sdwa s[18:19], v6, s21 src0_sel:BYTE_0 src1_sel:DWORD
	v_mov_b32_e32 v13, 0xffff8000
	s_and_saveexec_b64 s[16:17], s[18:19]
	s_cbranch_execz .LBB817_889
; %bb.886:                              ;   in Loop: Header=BB817_788 Depth=1
	v_and_b32_e32 v8, 0x7f, v6
	v_cmp_ne_u32_e32 vcc, s23, v8
	v_mov_b32_e32 v13, 0x7f80
	s_and_saveexec_b64 s[18:19], vcc
	s_cbranch_execz .LBB817_888
; %bb.887:                              ;   in Loop: Header=BB817_788 Depth=1
	v_and_b32_e32 v14, 7, v6
	v_ffbh_u32_e32 v12, v14
	v_min_u32_e32 v16, 32, v12
	v_subrev_u32_e32 v12, 28, v16
	v_lshlrev_b64 v[12:13], v12, v[6:7]
	v_lshrrev_b32_e32 v15, 3, v8
	v_sub_u32_e32 v13, 29, v16
	v_and_b32_e32 v12, 7, v12
	v_cmp_gt_u32_e32 vcc, 8, v8
	v_cndmask_b32_e32 v8, v15, v13, vcc
	v_cndmask_b32_e32 v12, v14, v12, vcc
	v_lshlrev_b32_e32 v13, 24, v6
	v_lshlrev_b32_e32 v12, 20, v12
	v_and_b32_e32 v13, 0x80000000, v13
	v_lshl_add_u32 v8, v8, 23, v10
	v_or3_b32 v8, v13, v8, v12
	v_lshrrev_b32_e32 v13, 16, v8
.LBB817_888:                            ;   in Loop: Header=BB817_788 Depth=1
	s_or_b64 exec, exec, s[18:19]
.LBB817_889:                            ;   in Loop: Header=BB817_788 Depth=1
	s_or_b64 exec, exec, s[16:17]
.LBB817_890:                            ;   in Loop: Header=BB817_788 Depth=1
	s_or_b64 exec, exec, s[14:15]
	v_lshrrev_b16_e32 v8, 8, v6
	v_cmp_ne_u16_e32 vcc, 0, v8
	v_mov_b32_e32 v15, 0
	v_mov_b32_e32 v14, 0
	s_and_saveexec_b64 s[14:15], vcc
	s_cbranch_execz .LBB817_896
; %bb.891:                              ;   in Loop: Header=BB817_788 Depth=1
	v_cmp_ne_u16_e32 vcc, s21, v8
	v_mov_b32_e32 v14, 0xffff8000
	s_and_saveexec_b64 s[16:17], vcc
	s_cbranch_execz .LBB817_895
; %bb.892:                              ;   in Loop: Header=BB817_788 Depth=1
	v_and_b32_e32 v12, 0x7f, v8
	v_cmp_ne_u32_e32 vcc, s23, v12
	v_mov_b32_e32 v14, 0x7f80
	s_and_saveexec_b64 s[18:19], vcc
	s_cbranch_execz .LBB817_894
; %bb.893:                              ;   in Loop: Header=BB817_788 Depth=1
	v_and_b32_e32 v14, 7, v8
	v_ffbh_u32_e32 v16, v14
	v_min_u32_e32 v19, 32, v16
	v_subrev_u32_e32 v16, 28, v19
	v_lshlrev_b64 v[16:17], v16, v[8:9]
	v_lshrrev_b32_e32 v18, 3, v12
	v_sub_u32_e32 v8, 29, v19
	v_and_b32_e32 v16, 7, v16
	v_cmp_gt_u32_e32 vcc, 8, v12
	v_cndmask_b32_e32 v8, v18, v8, vcc
	v_cndmask_b32_e32 v12, v14, v16, vcc
	v_lshlrev_b32_e32 v14, 16, v6
	v_lshlrev_b32_e32 v12, 20, v12
	v_and_b32_e32 v14, 0x80000000, v14
	v_lshl_add_u32 v8, v8, 23, v10
	v_or3_b32 v8, v14, v8, v12
	v_lshrrev_b32_e32 v14, 16, v8
.LBB817_894:                            ;   in Loop: Header=BB817_788 Depth=1
	s_or_b64 exec, exec, s[18:19]
.LBB817_895:                            ;   in Loop: Header=BB817_788 Depth=1
	s_or_b64 exec, exec, s[16:17]
.LBB817_896:                            ;   in Loop: Header=BB817_788 Depth=1
	s_or_b64 exec, exec, s[14:15]
	v_lshrrev_b32_e32 v8, 16, v6
	v_cmp_ne_u16_sdwa s[16:17], v8, v9 src0_sel:BYTE_0 src1_sel:DWORD
	s_and_saveexec_b64 s[14:15], s[16:17]
	s_cbranch_execz .LBB817_902
; %bb.897:                              ;   in Loop: Header=BB817_788 Depth=1
	v_cmp_ne_u16_sdwa s[18:19], v8, s21 src0_sel:BYTE_0 src1_sel:DWORD
	v_mov_b32_e32 v15, 0xffff8000
	s_and_saveexec_b64 s[16:17], s[18:19]
	s_cbranch_execz .LBB817_901
; %bb.898:                              ;   in Loop: Header=BB817_788 Depth=1
	v_bfe_u32 v12, v6, 16, 7
	v_cmp_ne_u32_e32 vcc, s23, v12
	v_mov_b32_e32 v15, 0x7f80
	s_and_saveexec_b64 s[18:19], vcc
	s_cbranch_execz .LBB817_900
; %bb.899:                              ;   in Loop: Header=BB817_788 Depth=1
	v_and_b32_e32 v15, 7, v8
	v_ffbh_u32_e32 v16, v15
	v_min_u32_e32 v19, 32, v16
	v_subrev_u32_e32 v16, 28, v19
	v_lshlrev_b64 v[16:17], v16, v[8:9]
	v_lshrrev_b32_e32 v18, 3, v12
	v_sub_u32_e32 v17, 29, v19
	v_and_b32_e32 v16, 7, v16
	v_cmp_gt_u32_e32 vcc, 8, v12
	v_cndmask_b32_e32 v12, v18, v17, vcc
	v_cndmask_b32_e32 v15, v15, v16, vcc
	v_lshlrev_b32_e32 v8, 24, v8
	v_lshlrev_b32_e32 v15, 20, v15
	v_and_b32_e32 v8, 0x80000000, v8
	v_lshl_add_u32 v12, v12, 23, v10
	v_or3_b32 v8, v8, v12, v15
	v_lshrrev_b32_e32 v15, 16, v8
.LBB817_900:                            ;   in Loop: Header=BB817_788 Depth=1
	s_or_b64 exec, exec, s[18:19]
.LBB817_901:                            ;   in Loop: Header=BB817_788 Depth=1
	s_or_b64 exec, exec, s[16:17]
.LBB817_902:                            ;   in Loop: Header=BB817_788 Depth=1
	s_or_b64 exec, exec, s[14:15]
	v_cmp_lt_u32_e32 vcc, s25, v6
	v_mov_b32_e32 v16, 0
	v_mov_b32_e32 v17, 0
	s_and_saveexec_b64 s[14:15], vcc
	s_cbranch_execz .LBB817_908
; %bb.903:                              ;   in Loop: Header=BB817_788 Depth=1
	v_lshrrev_b32_e32 v8, 24, v6
	v_cmp_ne_u32_e32 vcc, s21, v8
	v_mov_b32_e32 v17, 0xffff8000
	s_and_saveexec_b64 s[16:17], vcc
	s_cbranch_execz .LBB817_907
; %bb.904:                              ;   in Loop: Header=BB817_788 Depth=1
	v_bfe_u32 v6, v6, 24, 7
	v_cmp_ne_u32_e32 vcc, s23, v6
	v_mov_b32_e32 v17, 0x7f80
	s_and_saveexec_b64 s[18:19], vcc
	s_cbranch_execz .LBB817_906
; %bb.905:                              ;   in Loop: Header=BB817_788 Depth=1
	v_and_b32_e32 v12, 7, v8
	v_ffbh_u32_e32 v18, v12
	v_min_u32_e32 v20, 32, v18
	v_subrev_u32_e32 v18, 28, v20
	v_lshlrev_b64 v[18:19], v18, v[8:9]
	v_lshrrev_b32_e32 v17, 3, v6
	v_sub_u32_e32 v19, 29, v20
	v_and_b32_e32 v18, 7, v18
	v_cmp_gt_u32_e32 vcc, 8, v6
	v_cndmask_b32_e32 v6, v17, v19, vcc
	v_cndmask_b32_e32 v12, v12, v18, vcc
	v_lshlrev_b32_e32 v8, 24, v8
	v_lshlrev_b32_e32 v12, 20, v12
	v_and_b32_e32 v8, 0x80000000, v8
	v_lshl_add_u32 v6, v6, 23, v10
	v_or3_b32 v6, v8, v6, v12
	v_lshrrev_b32_e32 v17, 16, v6
.LBB817_906:                            ;   in Loop: Header=BB817_788 Depth=1
	s_or_b64 exec, exec, s[18:19]
.LBB817_907:                            ;   in Loop: Header=BB817_788 Depth=1
	s_or_b64 exec, exec, s[16:17]
.LBB817_908:                            ;   in Loop: Header=BB817_788 Depth=1
	s_or_b64 exec, exec, s[14:15]
	s_waitcnt vmcnt(0)
	v_cmp_ne_u16_sdwa s[16:17], v4, v9 src0_sel:BYTE_0 src1_sel:DWORD
	s_and_saveexec_b64 s[14:15], s[16:17]
	s_cbranch_execz .LBB817_914
; %bb.909:                              ;   in Loop: Header=BB817_788 Depth=1
	v_cmp_ne_u16_sdwa s[18:19], v4, s21 src0_sel:BYTE_0 src1_sel:DWORD
	v_mov_b32_e32 v16, 0xffff8000
	s_and_saveexec_b64 s[16:17], s[18:19]
	s_cbranch_execz .LBB817_913
; %bb.910:                              ;   in Loop: Header=BB817_788 Depth=1
	v_and_b32_e32 v6, 0x7f, v4
	v_cmp_ne_u32_e32 vcc, s23, v6
	v_mov_b32_e32 v16, 0x7f80
	s_and_saveexec_b64 s[18:19], vcc
	s_cbranch_execz .LBB817_912
; %bb.911:                              ;   in Loop: Header=BB817_788 Depth=1
	v_and_b32_e32 v8, 7, v4
	v_ffbh_u32_e32 v16, v8
	v_min_u32_e32 v16, 32, v16
	v_subrev_u32_e32 v18, 28, v16
	v_lshlrev_b64 v[18:19], v18, v[4:5]
	v_lshrrev_b32_e32 v12, 3, v6
	v_sub_u32_e32 v16, 29, v16
	v_and_b32_e32 v18, 7, v18
	v_cmp_gt_u32_e32 vcc, 8, v6
	v_cndmask_b32_e32 v6, v12, v16, vcc
	v_cndmask_b32_e32 v8, v8, v18, vcc
	v_lshlrev_b32_e32 v12, 24, v4
	v_lshlrev_b32_e32 v8, 20, v8
	v_and_b32_e32 v12, 0x80000000, v12
	v_lshl_add_u32 v6, v6, 23, v10
	v_or3_b32 v6, v12, v6, v8
	v_lshrrev_b32_e32 v16, 16, v6
.LBB817_912:                            ;   in Loop: Header=BB817_788 Depth=1
	s_or_b64 exec, exec, s[18:19]
.LBB817_913:                            ;   in Loop: Header=BB817_788 Depth=1
	s_or_b64 exec, exec, s[16:17]
.LBB817_914:                            ;   in Loop: Header=BB817_788 Depth=1
	s_or_b64 exec, exec, s[14:15]
	v_lshrrev_b16_e32 v6, 8, v4
	v_cmp_ne_u16_e32 vcc, 0, v6
	v_mov_b32_e32 v18, 0
	v_mov_b32_e32 v8, 0
	s_and_saveexec_b64 s[14:15], vcc
	s_cbranch_execz .LBB817_920
; %bb.915:                              ;   in Loop: Header=BB817_788 Depth=1
	v_cmp_ne_u16_e32 vcc, s21, v6
	v_mov_b32_e32 v8, 0xffff8000
	s_and_saveexec_b64 s[16:17], vcc
	s_cbranch_execz .LBB817_919
; %bb.916:                              ;   in Loop: Header=BB817_788 Depth=1
	v_and_b32_e32 v12, 0x7f, v6
	v_cmp_ne_u32_e32 vcc, s23, v12
	v_mov_b32_e32 v8, 0x7f80
	s_and_saveexec_b64 s[18:19], vcc
	s_cbranch_execz .LBB817_918
; %bb.917:                              ;   in Loop: Header=BB817_788 Depth=1
	v_and_b32_e32 v8, 7, v6
	v_ffbh_u32_e32 v20, v8
	v_min_u32_e32 v22, 32, v20
	v_subrev_u32_e32 v20, 28, v22
	v_lshlrev_b64 v[20:21], v20, v[6:7]
	v_lshrrev_b32_e32 v19, 3, v12
	v_sub_u32_e32 v6, 29, v22
	v_and_b32_e32 v20, 7, v20
	v_cmp_gt_u32_e32 vcc, 8, v12
	v_cndmask_b32_e32 v6, v19, v6, vcc
	v_cndmask_b32_e32 v8, v8, v20, vcc
	v_lshlrev_b32_e32 v12, 16, v4
	v_lshlrev_b32_e32 v8, 20, v8
	v_and_b32_e32 v12, 0x80000000, v12
	v_lshl_add_u32 v6, v6, 23, v10
	v_or3_b32 v6, v12, v6, v8
	v_lshrrev_b32_e32 v8, 16, v6
.LBB817_918:                            ;   in Loop: Header=BB817_788 Depth=1
	s_or_b64 exec, exec, s[18:19]
.LBB817_919:                            ;   in Loop: Header=BB817_788 Depth=1
	s_or_b64 exec, exec, s[16:17]
.LBB817_920:                            ;   in Loop: Header=BB817_788 Depth=1
	s_or_b64 exec, exec, s[14:15]
	v_lshrrev_b32_e32 v6, 16, v4
	v_cmp_ne_u16_sdwa s[16:17], v6, v9 src0_sel:BYTE_0 src1_sel:DWORD
	s_and_saveexec_b64 s[14:15], s[16:17]
	s_cbranch_execz .LBB817_926
; %bb.921:                              ;   in Loop: Header=BB817_788 Depth=1
	v_cmp_ne_u16_sdwa s[18:19], v6, s21 src0_sel:BYTE_0 src1_sel:DWORD
	v_mov_b32_e32 v18, 0xffff8000
	s_and_saveexec_b64 s[16:17], s[18:19]
	s_cbranch_execz .LBB817_925
; %bb.922:                              ;   in Loop: Header=BB817_788 Depth=1
	v_bfe_u32 v12, v4, 16, 7
	v_cmp_ne_u32_e32 vcc, s23, v12
	v_mov_b32_e32 v18, 0x7f80
	s_and_saveexec_b64 s[18:19], vcc
	s_cbranch_execz .LBB817_924
; %bb.923:                              ;   in Loop: Header=BB817_788 Depth=1
	v_and_b32_e32 v20, 7, v6
	v_ffbh_u32_e32 v18, v20
	v_min_u32_e32 v22, 32, v18
	v_subrev_u32_e32 v18, 28, v22
	v_lshlrev_b64 v[18:19], v18, v[6:7]
	v_lshrrev_b32_e32 v21, 3, v12
	v_sub_u32_e32 v19, 29, v22
	v_and_b32_e32 v18, 7, v18
	v_cmp_gt_u32_e32 vcc, 8, v12
	v_cndmask_b32_e32 v12, v21, v19, vcc
	v_cndmask_b32_e32 v18, v20, v18, vcc
	v_lshlrev_b32_e32 v6, 24, v6
	v_lshlrev_b32_e32 v18, 20, v18
	v_and_b32_e32 v6, 0x80000000, v6
	v_lshl_add_u32 v12, v12, 23, v10
	v_or3_b32 v6, v6, v12, v18
	v_lshrrev_b32_e32 v18, 16, v6
.LBB817_924:                            ;   in Loop: Header=BB817_788 Depth=1
	s_or_b64 exec, exec, s[18:19]
.LBB817_925:                            ;   in Loop: Header=BB817_788 Depth=1
	s_or_b64 exec, exec, s[16:17]
.LBB817_926:                            ;   in Loop: Header=BB817_788 Depth=1
	s_or_b64 exec, exec, s[14:15]
	v_cmp_lt_u32_e32 vcc, s25, v4
	v_mov_b32_e32 v12, 0
	v_mov_b32_e32 v19, 0
	s_and_saveexec_b64 s[14:15], vcc
	s_cbranch_execz .LBB817_932
; %bb.927:                              ;   in Loop: Header=BB817_788 Depth=1
	v_lshrrev_b32_e32 v6, 24, v4
	v_cmp_ne_u32_e32 vcc, s21, v6
	v_mov_b32_e32 v19, 0xffff8000
	s_and_saveexec_b64 s[16:17], vcc
	s_cbranch_execz .LBB817_931
; %bb.928:                              ;   in Loop: Header=BB817_788 Depth=1
	v_bfe_u32 v4, v4, 24, 7
	v_cmp_ne_u32_e32 vcc, s23, v4
	v_mov_b32_e32 v19, 0x7f80
	s_and_saveexec_b64 s[18:19], vcc
	s_cbranch_execz .LBB817_930
; %bb.929:                              ;   in Loop: Header=BB817_788 Depth=1
	v_and_b32_e32 v19, 7, v6
	v_ffbh_u32_e32 v20, v19
	v_min_u32_e32 v23, 32, v20
	v_subrev_u32_e32 v20, 28, v23
	v_lshlrev_b64 v[20:21], v20, v[6:7]
	v_lshrrev_b32_e32 v22, 3, v4
	v_sub_u32_e32 v21, 29, v23
	v_and_b32_e32 v20, 7, v20
	v_cmp_gt_u32_e32 vcc, 8, v4
	v_cndmask_b32_e32 v4, v22, v21, vcc
	v_cndmask_b32_e32 v19, v19, v20, vcc
	v_lshlrev_b32_e32 v6, 24, v6
	v_lshlrev_b32_e32 v19, 20, v19
	v_and_b32_e32 v6, 0x80000000, v6
	v_lshl_add_u32 v4, v4, 23, v10
	v_or3_b32 v4, v6, v4, v19
	v_lshrrev_b32_e32 v19, 16, v4
.LBB817_930:                            ;   in Loop: Header=BB817_788 Depth=1
	s_or_b64 exec, exec, s[18:19]
.LBB817_931:                            ;   in Loop: Header=BB817_788 Depth=1
	s_or_b64 exec, exec, s[16:17]
.LBB817_932:                            ;   in Loop: Header=BB817_788 Depth=1
	s_or_b64 exec, exec, s[14:15]
	buffer_load_dword v6, v11, s[0:3], 0 offen offset:24
	buffer_load_dword v4, v11, s[0:3], 0 offen offset:28
	v_perm_b32 v15, v17, v15, s26
	v_perm_b32 v14, v14, v13, s26
	;; [unrolled: 1-line block ×4, first 2 shown]
	v_mfma_f32_4x4x4bf16_1k a[0:3], v[2:3], v[14:15], a[0:3] cbsz:4 abid:4
	s_waitcnt vmcnt(1)
	v_cmp_ne_u16_sdwa s[16:17], v6, v9 src0_sel:BYTE_0 src1_sel:DWORD
	v_mfma_f32_4x4x4bf16_1k a[0:3], v[2:3], v[16:17], a[0:3] cbsz:4 abid:5
	s_and_saveexec_b64 s[14:15], s[16:17]
	s_cbranch_execz .LBB817_938
; %bb.933:                              ;   in Loop: Header=BB817_788 Depth=1
	v_cmp_ne_u16_sdwa s[18:19], v6, s21 src0_sel:BYTE_0 src1_sel:DWORD
	v_mov_b32_e32 v12, 0xffff8000
	s_and_saveexec_b64 s[16:17], s[18:19]
	s_cbranch_execz .LBB817_937
; %bb.934:                              ;   in Loop: Header=BB817_788 Depth=1
	v_and_b32_e32 v8, 0x7f, v6
	v_cmp_ne_u32_e32 vcc, s23, v8
	v_mov_b32_e32 v12, 0x7f80
	s_and_saveexec_b64 s[18:19], vcc
	s_cbranch_execz .LBB817_936
; %bb.935:                              ;   in Loop: Header=BB817_788 Depth=1
	v_and_b32_e32 v14, 7, v6
	v_ffbh_u32_e32 v12, v14
	v_min_u32_e32 v16, 32, v12
	v_subrev_u32_e32 v12, 28, v16
	v_lshlrev_b64 v[12:13], v12, v[6:7]
	v_lshrrev_b32_e32 v15, 3, v8
	v_sub_u32_e32 v13, 29, v16
	v_and_b32_e32 v12, 7, v12
	v_cmp_gt_u32_e32 vcc, 8, v8
	v_cndmask_b32_e32 v8, v15, v13, vcc
	v_cndmask_b32_e32 v12, v14, v12, vcc
	v_lshlrev_b32_e32 v13, 24, v6
	v_lshlrev_b32_e32 v12, 20, v12
	v_and_b32_e32 v13, 0x80000000, v13
	v_lshl_add_u32 v8, v8, 23, v10
	v_or3_b32 v8, v13, v8, v12
	v_lshrrev_b32_e32 v12, 16, v8
.LBB817_936:                            ;   in Loop: Header=BB817_788 Depth=1
	s_or_b64 exec, exec, s[18:19]
.LBB817_937:                            ;   in Loop: Header=BB817_788 Depth=1
	s_or_b64 exec, exec, s[16:17]
.LBB817_938:                            ;   in Loop: Header=BB817_788 Depth=1
	s_or_b64 exec, exec, s[14:15]
	v_lshrrev_b16_e32 v8, 8, v6
	v_cmp_ne_u16_e32 vcc, 0, v8
	v_mov_b32_e32 v15, 0
	v_mov_b32_e32 v14, 0
	s_and_saveexec_b64 s[14:15], vcc
	s_cbranch_execz .LBB817_944
; %bb.939:                              ;   in Loop: Header=BB817_788 Depth=1
	v_cmp_ne_u16_e32 vcc, s21, v8
	v_mov_b32_e32 v14, 0xffff8000
	s_and_saveexec_b64 s[16:17], vcc
	s_cbranch_execz .LBB817_943
; %bb.940:                              ;   in Loop: Header=BB817_788 Depth=1
	v_and_b32_e32 v13, 0x7f, v8
	v_cmp_ne_u32_e32 vcc, s23, v13
	v_mov_b32_e32 v14, 0x7f80
	s_and_saveexec_b64 s[18:19], vcc
	s_cbranch_execz .LBB817_942
; %bb.941:                              ;   in Loop: Header=BB817_788 Depth=1
	v_and_b32_e32 v14, 7, v8
	v_ffbh_u32_e32 v16, v14
	v_min_u32_e32 v19, 32, v16
	v_subrev_u32_e32 v16, 28, v19
	v_lshlrev_b64 v[16:17], v16, v[8:9]
	v_lshrrev_b32_e32 v18, 3, v13
	v_sub_u32_e32 v8, 29, v19
	v_and_b32_e32 v16, 7, v16
	v_cmp_gt_u32_e32 vcc, 8, v13
	v_cndmask_b32_e32 v8, v18, v8, vcc
	v_cndmask_b32_e32 v13, v14, v16, vcc
	v_lshlrev_b32_e32 v14, 16, v6
	v_lshlrev_b32_e32 v13, 20, v13
	v_and_b32_e32 v14, 0x80000000, v14
	v_lshl_add_u32 v8, v8, 23, v10
	v_or3_b32 v8, v14, v8, v13
	v_lshrrev_b32_e32 v14, 16, v8
.LBB817_942:                            ;   in Loop: Header=BB817_788 Depth=1
	s_or_b64 exec, exec, s[18:19]
.LBB817_943:                            ;   in Loop: Header=BB817_788 Depth=1
	s_or_b64 exec, exec, s[16:17]
.LBB817_944:                            ;   in Loop: Header=BB817_788 Depth=1
	s_or_b64 exec, exec, s[14:15]
	v_lshrrev_b32_e32 v8, 16, v6
	v_cmp_ne_u16_sdwa s[16:17], v8, v9 src0_sel:BYTE_0 src1_sel:DWORD
	s_and_saveexec_b64 s[14:15], s[16:17]
	s_cbranch_execz .LBB817_950
; %bb.945:                              ;   in Loop: Header=BB817_788 Depth=1
	v_cmp_ne_u16_sdwa s[18:19], v8, s21 src0_sel:BYTE_0 src1_sel:DWORD
	v_mov_b32_e32 v15, 0xffff8000
	s_and_saveexec_b64 s[16:17], s[18:19]
	s_cbranch_execz .LBB817_949
; %bb.946:                              ;   in Loop: Header=BB817_788 Depth=1
	v_bfe_u32 v13, v6, 16, 7
	v_cmp_ne_u32_e32 vcc, s23, v13
	v_mov_b32_e32 v15, 0x7f80
	s_and_saveexec_b64 s[18:19], vcc
	s_cbranch_execz .LBB817_948
; %bb.947:                              ;   in Loop: Header=BB817_788 Depth=1
	v_and_b32_e32 v15, 7, v8
	v_ffbh_u32_e32 v16, v15
	v_min_u32_e32 v19, 32, v16
	v_subrev_u32_e32 v16, 28, v19
	v_lshlrev_b64 v[16:17], v16, v[8:9]
	v_lshrrev_b32_e32 v18, 3, v13
	v_sub_u32_e32 v17, 29, v19
	v_and_b32_e32 v16, 7, v16
	v_cmp_gt_u32_e32 vcc, 8, v13
	v_cndmask_b32_e32 v13, v18, v17, vcc
	v_cndmask_b32_e32 v15, v15, v16, vcc
	v_lshlrev_b32_e32 v8, 24, v8
	v_lshlrev_b32_e32 v15, 20, v15
	v_and_b32_e32 v8, 0x80000000, v8
	v_lshl_add_u32 v13, v13, 23, v10
	v_or3_b32 v8, v8, v13, v15
	v_lshrrev_b32_e32 v15, 16, v8
.LBB817_948:                            ;   in Loop: Header=BB817_788 Depth=1
	s_or_b64 exec, exec, s[18:19]
.LBB817_949:                            ;   in Loop: Header=BB817_788 Depth=1
	s_or_b64 exec, exec, s[16:17]
.LBB817_950:                            ;   in Loop: Header=BB817_788 Depth=1
	s_or_b64 exec, exec, s[14:15]
	v_cmp_lt_u32_e32 vcc, s25, v6
	v_mov_b32_e32 v16, 0
	v_mov_b32_e32 v17, 0
	s_and_saveexec_b64 s[14:15], vcc
	s_cbranch_execz .LBB817_956
; %bb.951:                              ;   in Loop: Header=BB817_788 Depth=1
	v_lshrrev_b32_e32 v8, 24, v6
	v_cmp_ne_u32_e32 vcc, s21, v8
	v_mov_b32_e32 v17, 0xffff8000
	s_and_saveexec_b64 s[16:17], vcc
	s_cbranch_execz .LBB817_955
; %bb.952:                              ;   in Loop: Header=BB817_788 Depth=1
	v_bfe_u32 v6, v6, 24, 7
	v_cmp_ne_u32_e32 vcc, s23, v6
	v_mov_b32_e32 v17, 0x7f80
	s_and_saveexec_b64 s[18:19], vcc
	s_cbranch_execz .LBB817_954
; %bb.953:                              ;   in Loop: Header=BB817_788 Depth=1
	v_and_b32_e32 v13, 7, v8
	v_ffbh_u32_e32 v18, v13
	v_min_u32_e32 v20, 32, v18
	v_subrev_u32_e32 v18, 28, v20
	v_lshlrev_b64 v[18:19], v18, v[8:9]
	v_lshrrev_b32_e32 v17, 3, v6
	v_sub_u32_e32 v19, 29, v20
	v_and_b32_e32 v18, 7, v18
	v_cmp_gt_u32_e32 vcc, 8, v6
	v_cndmask_b32_e32 v6, v17, v19, vcc
	v_cndmask_b32_e32 v13, v13, v18, vcc
	v_lshlrev_b32_e32 v8, 24, v8
	v_lshlrev_b32_e32 v13, 20, v13
	v_and_b32_e32 v8, 0x80000000, v8
	v_lshl_add_u32 v6, v6, 23, v10
	v_or3_b32 v6, v8, v6, v13
	v_lshrrev_b32_e32 v17, 16, v6
.LBB817_954:                            ;   in Loop: Header=BB817_788 Depth=1
	s_or_b64 exec, exec, s[18:19]
.LBB817_955:                            ;   in Loop: Header=BB817_788 Depth=1
	s_or_b64 exec, exec, s[16:17]
.LBB817_956:                            ;   in Loop: Header=BB817_788 Depth=1
	s_or_b64 exec, exec, s[14:15]
	s_waitcnt vmcnt(0)
	v_cmp_ne_u16_sdwa s[16:17], v4, v9 src0_sel:BYTE_0 src1_sel:DWORD
	s_and_saveexec_b64 s[14:15], s[16:17]
	s_cbranch_execz .LBB817_962
; %bb.957:                              ;   in Loop: Header=BB817_788 Depth=1
	v_cmp_ne_u16_sdwa s[18:19], v4, s21 src0_sel:BYTE_0 src1_sel:DWORD
	v_mov_b32_e32 v16, 0xffff8000
	s_and_saveexec_b64 s[16:17], s[18:19]
	s_cbranch_execz .LBB817_961
; %bb.958:                              ;   in Loop: Header=BB817_788 Depth=1
	v_and_b32_e32 v6, 0x7f, v4
	v_cmp_ne_u32_e32 vcc, s23, v6
	v_mov_b32_e32 v16, 0x7f80
	s_and_saveexec_b64 s[18:19], vcc
	s_cbranch_execz .LBB817_960
; %bb.959:                              ;   in Loop: Header=BB817_788 Depth=1
	v_and_b32_e32 v8, 7, v4
	v_ffbh_u32_e32 v16, v8
	v_min_u32_e32 v16, 32, v16
	v_subrev_u32_e32 v18, 28, v16
	v_lshlrev_b64 v[18:19], v18, v[4:5]
	v_lshrrev_b32_e32 v13, 3, v6
	v_sub_u32_e32 v16, 29, v16
	v_and_b32_e32 v18, 7, v18
	v_cmp_gt_u32_e32 vcc, 8, v6
	v_cndmask_b32_e32 v6, v13, v16, vcc
	v_cndmask_b32_e32 v8, v8, v18, vcc
	v_lshlrev_b32_e32 v13, 24, v4
	v_lshlrev_b32_e32 v8, 20, v8
	v_and_b32_e32 v13, 0x80000000, v13
	v_lshl_add_u32 v6, v6, 23, v10
	v_or3_b32 v6, v13, v6, v8
	v_lshrrev_b32_e32 v16, 16, v6
.LBB817_960:                            ;   in Loop: Header=BB817_788 Depth=1
	s_or_b64 exec, exec, s[18:19]
.LBB817_961:                            ;   in Loop: Header=BB817_788 Depth=1
	s_or_b64 exec, exec, s[16:17]
.LBB817_962:                            ;   in Loop: Header=BB817_788 Depth=1
	s_or_b64 exec, exec, s[14:15]
	v_lshrrev_b16_e32 v6, 8, v4
	v_cmp_ne_u16_e32 vcc, 0, v6
	v_mov_b32_e32 v18, 0
	v_mov_b32_e32 v8, 0
	s_and_saveexec_b64 s[14:15], vcc
	s_cbranch_execz .LBB817_968
; %bb.963:                              ;   in Loop: Header=BB817_788 Depth=1
	v_cmp_ne_u16_e32 vcc, s21, v6
	v_mov_b32_e32 v8, 0xffff8000
	s_and_saveexec_b64 s[16:17], vcc
	s_cbranch_execz .LBB817_967
; %bb.964:                              ;   in Loop: Header=BB817_788 Depth=1
	v_and_b32_e32 v13, 0x7f, v6
	v_cmp_ne_u32_e32 vcc, s23, v13
	v_mov_b32_e32 v8, 0x7f80
	s_and_saveexec_b64 s[18:19], vcc
	s_cbranch_execz .LBB817_966
; %bb.965:                              ;   in Loop: Header=BB817_788 Depth=1
	v_and_b32_e32 v8, 7, v6
	v_ffbh_u32_e32 v20, v8
	v_min_u32_e32 v22, 32, v20
	v_subrev_u32_e32 v20, 28, v22
	v_lshlrev_b64 v[20:21], v20, v[6:7]
	v_lshrrev_b32_e32 v19, 3, v13
	v_sub_u32_e32 v6, 29, v22
	v_and_b32_e32 v20, 7, v20
	v_cmp_gt_u32_e32 vcc, 8, v13
	v_cndmask_b32_e32 v6, v19, v6, vcc
	v_cndmask_b32_e32 v8, v8, v20, vcc
	v_lshlrev_b32_e32 v13, 16, v4
	v_lshlrev_b32_e32 v8, 20, v8
	v_and_b32_e32 v13, 0x80000000, v13
	v_lshl_add_u32 v6, v6, 23, v10
	v_or3_b32 v6, v13, v6, v8
	v_lshrrev_b32_e32 v8, 16, v6
.LBB817_966:                            ;   in Loop: Header=BB817_788 Depth=1
	s_or_b64 exec, exec, s[18:19]
.LBB817_967:                            ;   in Loop: Header=BB817_788 Depth=1
	s_or_b64 exec, exec, s[16:17]
.LBB817_968:                            ;   in Loop: Header=BB817_788 Depth=1
	s_or_b64 exec, exec, s[14:15]
	v_lshrrev_b32_e32 v6, 16, v4
	v_cmp_ne_u16_sdwa s[16:17], v6, v9 src0_sel:BYTE_0 src1_sel:DWORD
	s_and_saveexec_b64 s[14:15], s[16:17]
	s_cbranch_execz .LBB817_974
; %bb.969:                              ;   in Loop: Header=BB817_788 Depth=1
	v_cmp_ne_u16_sdwa s[18:19], v6, s21 src0_sel:BYTE_0 src1_sel:DWORD
	v_mov_b32_e32 v18, 0xffff8000
	s_and_saveexec_b64 s[16:17], s[18:19]
	s_cbranch_execz .LBB817_973
; %bb.970:                              ;   in Loop: Header=BB817_788 Depth=1
	v_bfe_u32 v13, v4, 16, 7
	v_cmp_ne_u32_e32 vcc, s23, v13
	v_mov_b32_e32 v18, 0x7f80
	s_and_saveexec_b64 s[18:19], vcc
	s_cbranch_execz .LBB817_972
; %bb.971:                              ;   in Loop: Header=BB817_788 Depth=1
	v_and_b32_e32 v20, 7, v6
	v_ffbh_u32_e32 v18, v20
	v_min_u32_e32 v22, 32, v18
	v_subrev_u32_e32 v18, 28, v22
	v_lshlrev_b64 v[18:19], v18, v[6:7]
	v_lshrrev_b32_e32 v21, 3, v13
	v_sub_u32_e32 v19, 29, v22
	v_and_b32_e32 v18, 7, v18
	v_cmp_gt_u32_e32 vcc, 8, v13
	v_cndmask_b32_e32 v13, v21, v19, vcc
	v_cndmask_b32_e32 v18, v20, v18, vcc
	v_lshlrev_b32_e32 v6, 24, v6
	v_lshlrev_b32_e32 v18, 20, v18
	v_and_b32_e32 v6, 0x80000000, v6
	v_lshl_add_u32 v13, v13, 23, v10
	v_or3_b32 v6, v6, v13, v18
	v_lshrrev_b32_e32 v18, 16, v6
.LBB817_972:                            ;   in Loop: Header=BB817_788 Depth=1
	s_or_b64 exec, exec, s[18:19]
.LBB817_973:                            ;   in Loop: Header=BB817_788 Depth=1
	s_or_b64 exec, exec, s[16:17]
.LBB817_974:                            ;   in Loop: Header=BB817_788 Depth=1
	s_or_b64 exec, exec, s[14:15]
	v_cmp_lt_u32_e32 vcc, s25, v4
	v_mov_b32_e32 v13, 0
	v_mov_b32_e32 v19, 0
	s_and_saveexec_b64 s[14:15], vcc
	s_cbranch_execz .LBB817_980
; %bb.975:                              ;   in Loop: Header=BB817_788 Depth=1
	v_lshrrev_b32_e32 v6, 24, v4
	v_cmp_ne_u32_e32 vcc, s21, v6
	v_mov_b32_e32 v19, 0xffff8000
	s_and_saveexec_b64 s[16:17], vcc
	s_cbranch_execz .LBB817_979
; %bb.976:                              ;   in Loop: Header=BB817_788 Depth=1
	v_bfe_u32 v4, v4, 24, 7
	v_cmp_ne_u32_e32 vcc, s23, v4
	v_mov_b32_e32 v19, 0x7f80
	s_and_saveexec_b64 s[18:19], vcc
	s_cbranch_execz .LBB817_978
; %bb.977:                              ;   in Loop: Header=BB817_788 Depth=1
	v_and_b32_e32 v19, 7, v6
	v_ffbh_u32_e32 v20, v19
	v_min_u32_e32 v23, 32, v20
	v_subrev_u32_e32 v20, 28, v23
	v_lshlrev_b64 v[20:21], v20, v[6:7]
	v_lshrrev_b32_e32 v22, 3, v4
	v_sub_u32_e32 v21, 29, v23
	v_and_b32_e32 v20, 7, v20
	v_cmp_gt_u32_e32 vcc, 8, v4
	v_cndmask_b32_e32 v4, v22, v21, vcc
	v_cndmask_b32_e32 v19, v19, v20, vcc
	v_lshlrev_b32_e32 v6, 24, v6
	v_lshlrev_b32_e32 v19, 20, v19
	v_and_b32_e32 v6, 0x80000000, v6
	v_lshl_add_u32 v4, v4, 23, v10
	v_or3_b32 v4, v6, v4, v19
	v_lshrrev_b32_e32 v19, 16, v4
.LBB817_978:                            ;   in Loop: Header=BB817_788 Depth=1
	s_or_b64 exec, exec, s[18:19]
.LBB817_979:                            ;   in Loop: Header=BB817_788 Depth=1
	s_or_b64 exec, exec, s[16:17]
.LBB817_980:                            ;   in Loop: Header=BB817_788 Depth=1
	s_or_b64 exec, exec, s[14:15]
	buffer_load_dword v6, v11, s[0:3], 0 offen offset:32
	buffer_load_dword v4, v11, s[0:3], 0 offen offset:36
	v_perm_b32 v15, v17, v15, s26
	v_perm_b32 v14, v14, v12, s26
	;; [unrolled: 1-line block ×4, first 2 shown]
	v_mfma_f32_4x4x4bf16_1k a[0:3], v[2:3], v[14:15], a[0:3] cbsz:4 abid:6
	s_waitcnt vmcnt(1)
	v_cmp_ne_u16_sdwa s[16:17], v6, v9 src0_sel:BYTE_0 src1_sel:DWORD
	v_mfma_f32_4x4x4bf16_1k a[0:3], v[2:3], v[16:17], a[0:3] cbsz:4 abid:7
	s_and_saveexec_b64 s[14:15], s[16:17]
	s_cbranch_execz .LBB817_986
; %bb.981:                              ;   in Loop: Header=BB817_788 Depth=1
	v_cmp_ne_u16_sdwa s[18:19], v6, s21 src0_sel:BYTE_0 src1_sel:DWORD
	v_mov_b32_e32 v13, 0xffff8000
	s_and_saveexec_b64 s[16:17], s[18:19]
	s_cbranch_execz .LBB817_985
; %bb.982:                              ;   in Loop: Header=BB817_788 Depth=1
	v_and_b32_e32 v8, 0x7f, v6
	v_cmp_ne_u32_e32 vcc, s23, v8
	v_mov_b32_e32 v13, 0x7f80
	s_and_saveexec_b64 s[18:19], vcc
	s_cbranch_execz .LBB817_984
; %bb.983:                              ;   in Loop: Header=BB817_788 Depth=1
	v_and_b32_e32 v14, 7, v6
	v_ffbh_u32_e32 v12, v14
	v_min_u32_e32 v16, 32, v12
	v_subrev_u32_e32 v12, 28, v16
	v_lshlrev_b64 v[12:13], v12, v[6:7]
	v_lshrrev_b32_e32 v15, 3, v8
	v_sub_u32_e32 v13, 29, v16
	v_and_b32_e32 v12, 7, v12
	v_cmp_gt_u32_e32 vcc, 8, v8
	v_cndmask_b32_e32 v8, v15, v13, vcc
	v_cndmask_b32_e32 v12, v14, v12, vcc
	v_lshlrev_b32_e32 v13, 24, v6
	v_lshlrev_b32_e32 v12, 20, v12
	v_and_b32_e32 v13, 0x80000000, v13
	v_lshl_add_u32 v8, v8, 23, v10
	v_or3_b32 v8, v13, v8, v12
	v_lshrrev_b32_e32 v13, 16, v8
.LBB817_984:                            ;   in Loop: Header=BB817_788 Depth=1
	s_or_b64 exec, exec, s[18:19]
.LBB817_985:                            ;   in Loop: Header=BB817_788 Depth=1
	s_or_b64 exec, exec, s[16:17]
.LBB817_986:                            ;   in Loop: Header=BB817_788 Depth=1
	s_or_b64 exec, exec, s[14:15]
	v_lshrrev_b16_e32 v8, 8, v6
	v_cmp_ne_u16_e32 vcc, 0, v8
	v_mov_b32_e32 v15, 0
	v_mov_b32_e32 v12, 0
	s_and_saveexec_b64 s[14:15], vcc
	s_cbranch_execz .LBB817_992
; %bb.987:                              ;   in Loop: Header=BB817_788 Depth=1
	v_cmp_ne_u16_e32 vcc, s21, v8
	v_mov_b32_e32 v12, 0xffff8000
	s_and_saveexec_b64 s[16:17], vcc
	s_cbranch_execz .LBB817_991
; %bb.988:                              ;   in Loop: Header=BB817_788 Depth=1
	v_and_b32_e32 v14, 0x7f, v8
	v_cmp_ne_u32_e32 vcc, s23, v14
	v_mov_b32_e32 v12, 0x7f80
	s_and_saveexec_b64 s[18:19], vcc
	s_cbranch_execz .LBB817_990
; %bb.989:                              ;   in Loop: Header=BB817_788 Depth=1
	v_and_b32_e32 v12, 7, v8
	v_ffbh_u32_e32 v16, v12
	v_min_u32_e32 v19, 32, v16
	v_subrev_u32_e32 v16, 28, v19
	v_lshlrev_b64 v[16:17], v16, v[8:9]
	v_lshrrev_b32_e32 v18, 3, v14
	v_sub_u32_e32 v8, 29, v19
	v_and_b32_e32 v16, 7, v16
	v_cmp_gt_u32_e32 vcc, 8, v14
	v_cndmask_b32_e32 v8, v18, v8, vcc
	v_cndmask_b32_e32 v12, v12, v16, vcc
	v_lshlrev_b32_e32 v14, 16, v6
	v_lshlrev_b32_e32 v12, 20, v12
	v_and_b32_e32 v14, 0x80000000, v14
	v_lshl_add_u32 v8, v8, 23, v10
	v_or3_b32 v8, v14, v8, v12
	v_lshrrev_b32_e32 v12, 16, v8
.LBB817_990:                            ;   in Loop: Header=BB817_788 Depth=1
	s_or_b64 exec, exec, s[18:19]
.LBB817_991:                            ;   in Loop: Header=BB817_788 Depth=1
	s_or_b64 exec, exec, s[16:17]
.LBB817_992:                            ;   in Loop: Header=BB817_788 Depth=1
	s_or_b64 exec, exec, s[14:15]
	v_lshrrev_b32_e32 v8, 16, v6
	v_cmp_ne_u16_sdwa s[16:17], v8, v9 src0_sel:BYTE_0 src1_sel:DWORD
	s_and_saveexec_b64 s[14:15], s[16:17]
	s_cbranch_execz .LBB817_998
; %bb.993:                              ;   in Loop: Header=BB817_788 Depth=1
	v_cmp_ne_u16_sdwa s[18:19], v8, s21 src0_sel:BYTE_0 src1_sel:DWORD
	v_mov_b32_e32 v15, 0xffff8000
	s_and_saveexec_b64 s[16:17], s[18:19]
	s_cbranch_execz .LBB817_997
; %bb.994:                              ;   in Loop: Header=BB817_788 Depth=1
	v_bfe_u32 v14, v6, 16, 7
	v_cmp_ne_u32_e32 vcc, s23, v14
	v_mov_b32_e32 v15, 0x7f80
	s_and_saveexec_b64 s[18:19], vcc
	s_cbranch_execz .LBB817_996
; %bb.995:                              ;   in Loop: Header=BB817_788 Depth=1
	v_and_b32_e32 v15, 7, v8
	v_ffbh_u32_e32 v16, v15
	v_min_u32_e32 v19, 32, v16
	v_subrev_u32_e32 v16, 28, v19
	v_lshlrev_b64 v[16:17], v16, v[8:9]
	v_lshrrev_b32_e32 v18, 3, v14
	v_sub_u32_e32 v17, 29, v19
	v_and_b32_e32 v16, 7, v16
	v_cmp_gt_u32_e32 vcc, 8, v14
	v_cndmask_b32_e32 v14, v18, v17, vcc
	v_cndmask_b32_e32 v15, v15, v16, vcc
	v_lshlrev_b32_e32 v8, 24, v8
	v_lshlrev_b32_e32 v15, 20, v15
	v_and_b32_e32 v8, 0x80000000, v8
	v_lshl_add_u32 v14, v14, 23, v10
	v_or3_b32 v8, v8, v14, v15
	v_lshrrev_b32_e32 v15, 16, v8
.LBB817_996:                            ;   in Loop: Header=BB817_788 Depth=1
	s_or_b64 exec, exec, s[18:19]
.LBB817_997:                            ;   in Loop: Header=BB817_788 Depth=1
	s_or_b64 exec, exec, s[16:17]
.LBB817_998:                            ;   in Loop: Header=BB817_788 Depth=1
	s_or_b64 exec, exec, s[14:15]
	v_cmp_lt_u32_e32 vcc, s25, v6
	v_mov_b32_e32 v16, 0
	v_mov_b32_e32 v17, 0
	s_and_saveexec_b64 s[14:15], vcc
	s_cbranch_execz .LBB817_1004
; %bb.999:                              ;   in Loop: Header=BB817_788 Depth=1
	v_lshrrev_b32_e32 v8, 24, v6
	v_cmp_ne_u32_e32 vcc, s21, v8
	v_mov_b32_e32 v17, 0xffff8000
	s_and_saveexec_b64 s[16:17], vcc
	s_cbranch_execz .LBB817_1003
; %bb.1000:                             ;   in Loop: Header=BB817_788 Depth=1
	v_bfe_u32 v6, v6, 24, 7
	v_cmp_ne_u32_e32 vcc, s23, v6
	v_mov_b32_e32 v17, 0x7f80
	s_and_saveexec_b64 s[18:19], vcc
	s_cbranch_execz .LBB817_1002
; %bb.1001:                             ;   in Loop: Header=BB817_788 Depth=1
	v_and_b32_e32 v14, 7, v8
	v_ffbh_u32_e32 v18, v14
	v_min_u32_e32 v20, 32, v18
	v_subrev_u32_e32 v18, 28, v20
	v_lshlrev_b64 v[18:19], v18, v[8:9]
	v_lshrrev_b32_e32 v17, 3, v6
	v_sub_u32_e32 v19, 29, v20
	v_and_b32_e32 v18, 7, v18
	v_cmp_gt_u32_e32 vcc, 8, v6
	v_cndmask_b32_e32 v6, v17, v19, vcc
	v_cndmask_b32_e32 v14, v14, v18, vcc
	v_lshlrev_b32_e32 v8, 24, v8
	v_lshlrev_b32_e32 v14, 20, v14
	v_and_b32_e32 v8, 0x80000000, v8
	v_lshl_add_u32 v6, v6, 23, v10
	v_or3_b32 v6, v8, v6, v14
	v_lshrrev_b32_e32 v17, 16, v6
.LBB817_1002:                           ;   in Loop: Header=BB817_788 Depth=1
	s_or_b64 exec, exec, s[18:19]
.LBB817_1003:                           ;   in Loop: Header=BB817_788 Depth=1
	s_or_b64 exec, exec, s[16:17]
.LBB817_1004:                           ;   in Loop: Header=BB817_788 Depth=1
	s_or_b64 exec, exec, s[14:15]
	s_waitcnt vmcnt(0)
	v_cmp_ne_u16_sdwa s[16:17], v4, v9 src0_sel:BYTE_0 src1_sel:DWORD
	s_and_saveexec_b64 s[14:15], s[16:17]
	s_cbranch_execz .LBB817_1010
; %bb.1005:                             ;   in Loop: Header=BB817_788 Depth=1
	v_cmp_ne_u16_sdwa s[18:19], v4, s21 src0_sel:BYTE_0 src1_sel:DWORD
	v_mov_b32_e32 v16, 0xffff8000
	s_and_saveexec_b64 s[16:17], s[18:19]
	s_cbranch_execz .LBB817_1009
; %bb.1006:                             ;   in Loop: Header=BB817_788 Depth=1
	v_and_b32_e32 v6, 0x7f, v4
	v_cmp_ne_u32_e32 vcc, s23, v6
	v_mov_b32_e32 v16, 0x7f80
	s_and_saveexec_b64 s[18:19], vcc
	s_cbranch_execz .LBB817_1008
; %bb.1007:                             ;   in Loop: Header=BB817_788 Depth=1
	v_and_b32_e32 v8, 7, v4
	v_ffbh_u32_e32 v16, v8
	v_min_u32_e32 v16, 32, v16
	v_subrev_u32_e32 v18, 28, v16
	v_lshlrev_b64 v[18:19], v18, v[4:5]
	v_lshrrev_b32_e32 v14, 3, v6
	v_sub_u32_e32 v16, 29, v16
	v_and_b32_e32 v18, 7, v18
	v_cmp_gt_u32_e32 vcc, 8, v6
	v_cndmask_b32_e32 v6, v14, v16, vcc
	v_cndmask_b32_e32 v8, v8, v18, vcc
	v_lshlrev_b32_e32 v14, 24, v4
	v_lshlrev_b32_e32 v8, 20, v8
	v_and_b32_e32 v14, 0x80000000, v14
	v_lshl_add_u32 v6, v6, 23, v10
	v_or3_b32 v6, v14, v6, v8
	v_lshrrev_b32_e32 v16, 16, v6
.LBB817_1008:                           ;   in Loop: Header=BB817_788 Depth=1
	s_or_b64 exec, exec, s[18:19]
.LBB817_1009:                           ;   in Loop: Header=BB817_788 Depth=1
	s_or_b64 exec, exec, s[16:17]
.LBB817_1010:                           ;   in Loop: Header=BB817_788 Depth=1
	s_or_b64 exec, exec, s[14:15]
	v_lshrrev_b16_e32 v6, 8, v4
	v_cmp_ne_u16_e32 vcc, 0, v6
	v_mov_b32_e32 v18, 0
	v_mov_b32_e32 v8, 0
	s_and_saveexec_b64 s[14:15], vcc
	s_cbranch_execz .LBB817_1016
; %bb.1011:                             ;   in Loop: Header=BB817_788 Depth=1
	v_cmp_ne_u16_e32 vcc, s21, v6
	v_mov_b32_e32 v8, 0xffff8000
	s_and_saveexec_b64 s[16:17], vcc
	s_cbranch_execz .LBB817_1015
; %bb.1012:                             ;   in Loop: Header=BB817_788 Depth=1
	v_and_b32_e32 v14, 0x7f, v6
	v_cmp_ne_u32_e32 vcc, s23, v14
	v_mov_b32_e32 v8, 0x7f80
	s_and_saveexec_b64 s[18:19], vcc
	s_cbranch_execz .LBB817_1014
; %bb.1013:                             ;   in Loop: Header=BB817_788 Depth=1
	v_and_b32_e32 v8, 7, v6
	v_ffbh_u32_e32 v20, v8
	v_min_u32_e32 v22, 32, v20
	v_subrev_u32_e32 v20, 28, v22
	v_lshlrev_b64 v[20:21], v20, v[6:7]
	v_lshrrev_b32_e32 v19, 3, v14
	v_sub_u32_e32 v6, 29, v22
	v_and_b32_e32 v20, 7, v20
	v_cmp_gt_u32_e32 vcc, 8, v14
	v_cndmask_b32_e32 v6, v19, v6, vcc
	v_cndmask_b32_e32 v8, v8, v20, vcc
	v_lshlrev_b32_e32 v14, 16, v4
	v_lshlrev_b32_e32 v8, 20, v8
	v_and_b32_e32 v14, 0x80000000, v14
	v_lshl_add_u32 v6, v6, 23, v10
	v_or3_b32 v6, v14, v6, v8
	v_lshrrev_b32_e32 v8, 16, v6
.LBB817_1014:                           ;   in Loop: Header=BB817_788 Depth=1
	s_or_b64 exec, exec, s[18:19]
.LBB817_1015:                           ;   in Loop: Header=BB817_788 Depth=1
	s_or_b64 exec, exec, s[16:17]
.LBB817_1016:                           ;   in Loop: Header=BB817_788 Depth=1
	s_or_b64 exec, exec, s[14:15]
	v_lshrrev_b32_e32 v6, 16, v4
	v_cmp_ne_u16_sdwa s[16:17], v6, v9 src0_sel:BYTE_0 src1_sel:DWORD
	s_and_saveexec_b64 s[14:15], s[16:17]
	s_cbranch_execz .LBB817_1022
; %bb.1017:                             ;   in Loop: Header=BB817_788 Depth=1
	v_cmp_ne_u16_sdwa s[18:19], v6, s21 src0_sel:BYTE_0 src1_sel:DWORD
	v_mov_b32_e32 v18, 0xffff8000
	s_and_saveexec_b64 s[16:17], s[18:19]
	s_cbranch_execz .LBB817_1021
; %bb.1018:                             ;   in Loop: Header=BB817_788 Depth=1
	v_bfe_u32 v14, v4, 16, 7
	v_cmp_ne_u32_e32 vcc, s23, v14
	v_mov_b32_e32 v18, 0x7f80
	s_and_saveexec_b64 s[18:19], vcc
	s_cbranch_execz .LBB817_1020
; %bb.1019:                             ;   in Loop: Header=BB817_788 Depth=1
	v_and_b32_e32 v20, 7, v6
	v_ffbh_u32_e32 v18, v20
	v_min_u32_e32 v22, 32, v18
	v_subrev_u32_e32 v18, 28, v22
	v_lshlrev_b64 v[18:19], v18, v[6:7]
	v_lshrrev_b32_e32 v21, 3, v14
	v_sub_u32_e32 v19, 29, v22
	v_and_b32_e32 v18, 7, v18
	v_cmp_gt_u32_e32 vcc, 8, v14
	v_cndmask_b32_e32 v14, v21, v19, vcc
	v_cndmask_b32_e32 v18, v20, v18, vcc
	v_lshlrev_b32_e32 v6, 24, v6
	v_lshlrev_b32_e32 v18, 20, v18
	v_and_b32_e32 v6, 0x80000000, v6
	v_lshl_add_u32 v14, v14, 23, v10
	v_or3_b32 v6, v6, v14, v18
	v_lshrrev_b32_e32 v18, 16, v6
.LBB817_1020:                           ;   in Loop: Header=BB817_788 Depth=1
	s_or_b64 exec, exec, s[18:19]
.LBB817_1021:                           ;   in Loop: Header=BB817_788 Depth=1
	s_or_b64 exec, exec, s[16:17]
.LBB817_1022:                           ;   in Loop: Header=BB817_788 Depth=1
	s_or_b64 exec, exec, s[14:15]
	v_cmp_lt_u32_e32 vcc, s25, v4
	v_mov_b32_e32 v14, 0
	v_mov_b32_e32 v19, 0
	s_and_saveexec_b64 s[14:15], vcc
	s_cbranch_execz .LBB817_1028
; %bb.1023:                             ;   in Loop: Header=BB817_788 Depth=1
	v_lshrrev_b32_e32 v6, 24, v4
	v_cmp_ne_u32_e32 vcc, s21, v6
	v_mov_b32_e32 v19, 0xffff8000
	s_and_saveexec_b64 s[16:17], vcc
	s_cbranch_execz .LBB817_1027
; %bb.1024:                             ;   in Loop: Header=BB817_788 Depth=1
	v_bfe_u32 v4, v4, 24, 7
	v_cmp_ne_u32_e32 vcc, s23, v4
	v_mov_b32_e32 v19, 0x7f80
	s_and_saveexec_b64 s[18:19], vcc
	s_cbranch_execz .LBB817_1026
; %bb.1025:                             ;   in Loop: Header=BB817_788 Depth=1
	v_and_b32_e32 v19, 7, v6
	v_ffbh_u32_e32 v20, v19
	v_min_u32_e32 v23, 32, v20
	v_subrev_u32_e32 v20, 28, v23
	v_lshlrev_b64 v[20:21], v20, v[6:7]
	v_lshrrev_b32_e32 v22, 3, v4
	v_sub_u32_e32 v21, 29, v23
	v_and_b32_e32 v20, 7, v20
	v_cmp_gt_u32_e32 vcc, 8, v4
	v_cndmask_b32_e32 v4, v22, v21, vcc
	v_cndmask_b32_e32 v19, v19, v20, vcc
	v_lshlrev_b32_e32 v6, 24, v6
	v_lshlrev_b32_e32 v19, 20, v19
	v_and_b32_e32 v6, 0x80000000, v6
	v_lshl_add_u32 v4, v4, 23, v10
	v_or3_b32 v4, v6, v4, v19
	v_lshrrev_b32_e32 v19, 16, v4
.LBB817_1026:                           ;   in Loop: Header=BB817_788 Depth=1
	s_or_b64 exec, exec, s[18:19]
.LBB817_1027:                           ;   in Loop: Header=BB817_788 Depth=1
	s_or_b64 exec, exec, s[16:17]
.LBB817_1028:                           ;   in Loop: Header=BB817_788 Depth=1
	s_or_b64 exec, exec, s[14:15]
	buffer_load_dword v6, v11, s[0:3], 0 offen offset:40
	buffer_load_dword v4, v11, s[0:3], 0 offen offset:44
	v_perm_b32 v21, v17, v15, s26
	v_perm_b32 v20, v12, v13, s26
	;; [unrolled: 1-line block ×4, first 2 shown]
	v_mfma_f32_4x4x4bf16_1k a[0:3], v[2:3], v[20:21], a[0:3] cbsz:4 abid:8
	s_waitcnt vmcnt(1)
	v_cmp_ne_u16_sdwa s[16:17], v6, v9 src0_sel:BYTE_0 src1_sel:DWORD
	v_mfma_f32_4x4x4bf16_1k a[0:3], v[2:3], v[12:13], a[0:3] cbsz:4 abid:9
	s_and_saveexec_b64 s[14:15], s[16:17]
	s_cbranch_execz .LBB817_1034
; %bb.1029:                             ;   in Loop: Header=BB817_788 Depth=1
	v_cmp_ne_u16_sdwa s[18:19], v6, s21 src0_sel:BYTE_0 src1_sel:DWORD
	v_mov_b32_e32 v14, 0xffff8000
	s_and_saveexec_b64 s[16:17], s[18:19]
	s_cbranch_execz .LBB817_1033
; %bb.1030:                             ;   in Loop: Header=BB817_788 Depth=1
	v_and_b32_e32 v8, 0x7f, v6
	v_cmp_ne_u32_e32 vcc, s23, v8
	v_mov_b32_e32 v14, 0x7f80
	s_and_saveexec_b64 s[18:19], vcc
	s_cbranch_execz .LBB817_1032
; %bb.1031:                             ;   in Loop: Header=BB817_788 Depth=1
	v_and_b32_e32 v14, 7, v6
	v_ffbh_u32_e32 v12, v14
	v_min_u32_e32 v16, 32, v12
	v_subrev_u32_e32 v12, 28, v16
	v_lshlrev_b64 v[12:13], v12, v[6:7]
	v_lshrrev_b32_e32 v15, 3, v8
	v_sub_u32_e32 v13, 29, v16
	v_and_b32_e32 v12, 7, v12
	v_cmp_gt_u32_e32 vcc, 8, v8
	v_cndmask_b32_e32 v8, v15, v13, vcc
	v_cndmask_b32_e32 v12, v14, v12, vcc
	v_lshlrev_b32_e32 v13, 24, v6
	v_lshlrev_b32_e32 v12, 20, v12
	v_and_b32_e32 v13, 0x80000000, v13
	v_lshl_add_u32 v8, v8, 23, v10
	v_or3_b32 v8, v13, v8, v12
	v_lshrrev_b32_e32 v14, 16, v8
.LBB817_1032:                           ;   in Loop: Header=BB817_788 Depth=1
	s_or_b64 exec, exec, s[18:19]
.LBB817_1033:                           ;   in Loop: Header=BB817_788 Depth=1
	s_or_b64 exec, exec, s[16:17]
.LBB817_1034:                           ;   in Loop: Header=BB817_788 Depth=1
	s_or_b64 exec, exec, s[14:15]
	v_lshrrev_b16_e32 v8, 8, v6
	v_cmp_ne_u16_e32 vcc, 0, v8
	v_mov_b32_e32 v15, 0
	v_mov_b32_e32 v13, 0
	s_and_saveexec_b64 s[14:15], vcc
	s_cbranch_execz .LBB817_1040
; %bb.1035:                             ;   in Loop: Header=BB817_788 Depth=1
	v_cmp_ne_u16_e32 vcc, s21, v8
	v_mov_b32_e32 v13, 0xffff8000
	s_and_saveexec_b64 s[16:17], vcc
	s_cbranch_execz .LBB817_1039
; %bb.1036:                             ;   in Loop: Header=BB817_788 Depth=1
	v_and_b32_e32 v12, 0x7f, v8
	v_cmp_ne_u32_e32 vcc, s23, v12
	v_mov_b32_e32 v13, 0x7f80
	s_and_saveexec_b64 s[18:19], vcc
	s_cbranch_execz .LBB817_1038
; %bb.1037:                             ;   in Loop: Header=BB817_788 Depth=1
	v_and_b32_e32 v13, 7, v8
	v_ffbh_u32_e32 v16, v13
	v_min_u32_e32 v19, 32, v16
	v_subrev_u32_e32 v16, 28, v19
	v_lshlrev_b64 v[16:17], v16, v[8:9]
	v_lshrrev_b32_e32 v18, 3, v12
	v_sub_u32_e32 v8, 29, v19
	v_and_b32_e32 v16, 7, v16
	v_cmp_gt_u32_e32 vcc, 8, v12
	v_cndmask_b32_e32 v8, v18, v8, vcc
	v_cndmask_b32_e32 v12, v13, v16, vcc
	v_lshlrev_b32_e32 v13, 16, v6
	v_lshlrev_b32_e32 v12, 20, v12
	v_and_b32_e32 v13, 0x80000000, v13
	v_lshl_add_u32 v8, v8, 23, v10
	v_or3_b32 v8, v13, v8, v12
	v_lshrrev_b32_e32 v13, 16, v8
.LBB817_1038:                           ;   in Loop: Header=BB817_788 Depth=1
	s_or_b64 exec, exec, s[18:19]
.LBB817_1039:                           ;   in Loop: Header=BB817_788 Depth=1
	s_or_b64 exec, exec, s[16:17]
.LBB817_1040:                           ;   in Loop: Header=BB817_788 Depth=1
	s_or_b64 exec, exec, s[14:15]
	v_lshrrev_b32_e32 v8, 16, v6
	v_cmp_ne_u16_sdwa s[16:17], v8, v9 src0_sel:BYTE_0 src1_sel:DWORD
	s_and_saveexec_b64 s[14:15], s[16:17]
	s_cbranch_execz .LBB817_1046
; %bb.1041:                             ;   in Loop: Header=BB817_788 Depth=1
	v_cmp_ne_u16_sdwa s[18:19], v8, s21 src0_sel:BYTE_0 src1_sel:DWORD
	v_mov_b32_e32 v15, 0xffff8000
	s_and_saveexec_b64 s[16:17], s[18:19]
	s_cbranch_execz .LBB817_1045
; %bb.1042:                             ;   in Loop: Header=BB817_788 Depth=1
	v_bfe_u32 v12, v6, 16, 7
	v_cmp_ne_u32_e32 vcc, s23, v12
	v_mov_b32_e32 v15, 0x7f80
	s_and_saveexec_b64 s[18:19], vcc
	s_cbranch_execz .LBB817_1044
; %bb.1043:                             ;   in Loop: Header=BB817_788 Depth=1
	v_and_b32_e32 v15, 7, v8
	v_ffbh_u32_e32 v16, v15
	v_min_u32_e32 v19, 32, v16
	v_subrev_u32_e32 v16, 28, v19
	v_lshlrev_b64 v[16:17], v16, v[8:9]
	v_lshrrev_b32_e32 v18, 3, v12
	v_sub_u32_e32 v17, 29, v19
	v_and_b32_e32 v16, 7, v16
	v_cmp_gt_u32_e32 vcc, 8, v12
	v_cndmask_b32_e32 v12, v18, v17, vcc
	v_cndmask_b32_e32 v15, v15, v16, vcc
	v_lshlrev_b32_e32 v8, 24, v8
	v_lshlrev_b32_e32 v15, 20, v15
	v_and_b32_e32 v8, 0x80000000, v8
	v_lshl_add_u32 v12, v12, 23, v10
	v_or3_b32 v8, v8, v12, v15
	v_lshrrev_b32_e32 v15, 16, v8
.LBB817_1044:                           ;   in Loop: Header=BB817_788 Depth=1
	s_or_b64 exec, exec, s[18:19]
.LBB817_1045:                           ;   in Loop: Header=BB817_788 Depth=1
	s_or_b64 exec, exec, s[16:17]
.LBB817_1046:                           ;   in Loop: Header=BB817_788 Depth=1
	s_or_b64 exec, exec, s[14:15]
	v_cmp_lt_u32_e32 vcc, s25, v6
	v_mov_b32_e32 v16, 0
	v_mov_b32_e32 v17, 0
	s_and_saveexec_b64 s[14:15], vcc
	s_cbranch_execz .LBB817_1052
; %bb.1047:                             ;   in Loop: Header=BB817_788 Depth=1
	v_lshrrev_b32_e32 v8, 24, v6
	v_cmp_ne_u32_e32 vcc, s21, v8
	v_mov_b32_e32 v17, 0xffff8000
	s_and_saveexec_b64 s[16:17], vcc
	s_cbranch_execz .LBB817_1051
; %bb.1048:                             ;   in Loop: Header=BB817_788 Depth=1
	v_bfe_u32 v6, v6, 24, 7
	v_cmp_ne_u32_e32 vcc, s23, v6
	v_mov_b32_e32 v17, 0x7f80
	s_and_saveexec_b64 s[18:19], vcc
	s_cbranch_execz .LBB817_1050
; %bb.1049:                             ;   in Loop: Header=BB817_788 Depth=1
	v_and_b32_e32 v12, 7, v8
	v_ffbh_u32_e32 v18, v12
	v_min_u32_e32 v20, 32, v18
	v_subrev_u32_e32 v18, 28, v20
	v_lshlrev_b64 v[18:19], v18, v[8:9]
	v_lshrrev_b32_e32 v17, 3, v6
	v_sub_u32_e32 v19, 29, v20
	v_and_b32_e32 v18, 7, v18
	v_cmp_gt_u32_e32 vcc, 8, v6
	v_cndmask_b32_e32 v6, v17, v19, vcc
	v_cndmask_b32_e32 v12, v12, v18, vcc
	v_lshlrev_b32_e32 v8, 24, v8
	v_lshlrev_b32_e32 v12, 20, v12
	v_and_b32_e32 v8, 0x80000000, v8
	v_lshl_add_u32 v6, v6, 23, v10
	v_or3_b32 v6, v8, v6, v12
	v_lshrrev_b32_e32 v17, 16, v6
.LBB817_1050:                           ;   in Loop: Header=BB817_788 Depth=1
	s_or_b64 exec, exec, s[18:19]
.LBB817_1051:                           ;   in Loop: Header=BB817_788 Depth=1
	s_or_b64 exec, exec, s[16:17]
.LBB817_1052:                           ;   in Loop: Header=BB817_788 Depth=1
	s_or_b64 exec, exec, s[14:15]
	s_waitcnt vmcnt(0)
	v_cmp_ne_u16_sdwa s[16:17], v4, v9 src0_sel:BYTE_0 src1_sel:DWORD
	s_and_saveexec_b64 s[14:15], s[16:17]
	s_cbranch_execz .LBB817_1058
; %bb.1053:                             ;   in Loop: Header=BB817_788 Depth=1
	v_cmp_ne_u16_sdwa s[18:19], v4, s21 src0_sel:BYTE_0 src1_sel:DWORD
	v_mov_b32_e32 v16, 0xffff8000
	s_and_saveexec_b64 s[16:17], s[18:19]
	s_cbranch_execz .LBB817_1057
; %bb.1054:                             ;   in Loop: Header=BB817_788 Depth=1
	v_and_b32_e32 v6, 0x7f, v4
	v_cmp_ne_u32_e32 vcc, s23, v6
	v_mov_b32_e32 v16, 0x7f80
	s_and_saveexec_b64 s[18:19], vcc
	s_cbranch_execz .LBB817_1056
; %bb.1055:                             ;   in Loop: Header=BB817_788 Depth=1
	v_and_b32_e32 v8, 7, v4
	v_ffbh_u32_e32 v16, v8
	v_min_u32_e32 v16, 32, v16
	v_subrev_u32_e32 v18, 28, v16
	v_lshlrev_b64 v[18:19], v18, v[4:5]
	v_lshrrev_b32_e32 v12, 3, v6
	v_sub_u32_e32 v16, 29, v16
	v_and_b32_e32 v18, 7, v18
	v_cmp_gt_u32_e32 vcc, 8, v6
	v_cndmask_b32_e32 v6, v12, v16, vcc
	v_cndmask_b32_e32 v8, v8, v18, vcc
	v_lshlrev_b32_e32 v12, 24, v4
	v_lshlrev_b32_e32 v8, 20, v8
	v_and_b32_e32 v12, 0x80000000, v12
	v_lshl_add_u32 v6, v6, 23, v10
	v_or3_b32 v6, v12, v6, v8
	v_lshrrev_b32_e32 v16, 16, v6
.LBB817_1056:                           ;   in Loop: Header=BB817_788 Depth=1
	s_or_b64 exec, exec, s[18:19]
.LBB817_1057:                           ;   in Loop: Header=BB817_788 Depth=1
	s_or_b64 exec, exec, s[16:17]
.LBB817_1058:                           ;   in Loop: Header=BB817_788 Depth=1
	s_or_b64 exec, exec, s[14:15]
	v_lshrrev_b16_e32 v6, 8, v4
	v_cmp_ne_u16_e32 vcc, 0, v6
	v_mov_b32_e32 v18, 0
	v_mov_b32_e32 v8, 0
	s_and_saveexec_b64 s[14:15], vcc
	s_cbranch_execz .LBB817_1064
; %bb.1059:                             ;   in Loop: Header=BB817_788 Depth=1
	v_cmp_ne_u16_e32 vcc, s21, v6
	v_mov_b32_e32 v8, 0xffff8000
	s_and_saveexec_b64 s[16:17], vcc
	s_cbranch_execz .LBB817_1063
; %bb.1060:                             ;   in Loop: Header=BB817_788 Depth=1
	v_and_b32_e32 v12, 0x7f, v6
	v_cmp_ne_u32_e32 vcc, s23, v12
	v_mov_b32_e32 v8, 0x7f80
	s_and_saveexec_b64 s[18:19], vcc
	s_cbranch_execz .LBB817_1062
; %bb.1061:                             ;   in Loop: Header=BB817_788 Depth=1
	v_and_b32_e32 v8, 7, v6
	v_ffbh_u32_e32 v20, v8
	v_min_u32_e32 v22, 32, v20
	v_subrev_u32_e32 v20, 28, v22
	v_lshlrev_b64 v[20:21], v20, v[6:7]
	v_lshrrev_b32_e32 v19, 3, v12
	v_sub_u32_e32 v6, 29, v22
	v_and_b32_e32 v20, 7, v20
	v_cmp_gt_u32_e32 vcc, 8, v12
	v_cndmask_b32_e32 v6, v19, v6, vcc
	v_cndmask_b32_e32 v8, v8, v20, vcc
	v_lshlrev_b32_e32 v12, 16, v4
	v_lshlrev_b32_e32 v8, 20, v8
	v_and_b32_e32 v12, 0x80000000, v12
	v_lshl_add_u32 v6, v6, 23, v10
	v_or3_b32 v6, v12, v6, v8
	v_lshrrev_b32_e32 v8, 16, v6
.LBB817_1062:                           ;   in Loop: Header=BB817_788 Depth=1
	s_or_b64 exec, exec, s[18:19]
.LBB817_1063:                           ;   in Loop: Header=BB817_788 Depth=1
	s_or_b64 exec, exec, s[16:17]
.LBB817_1064:                           ;   in Loop: Header=BB817_788 Depth=1
	s_or_b64 exec, exec, s[14:15]
	v_lshrrev_b32_e32 v6, 16, v4
	v_cmp_ne_u16_sdwa s[16:17], v6, v9 src0_sel:BYTE_0 src1_sel:DWORD
	s_and_saveexec_b64 s[14:15], s[16:17]
	s_cbranch_execz .LBB817_1070
; %bb.1065:                             ;   in Loop: Header=BB817_788 Depth=1
	v_cmp_ne_u16_sdwa s[18:19], v6, s21 src0_sel:BYTE_0 src1_sel:DWORD
	v_mov_b32_e32 v18, 0xffff8000
	s_and_saveexec_b64 s[16:17], s[18:19]
	s_cbranch_execz .LBB817_1069
; %bb.1066:                             ;   in Loop: Header=BB817_788 Depth=1
	v_bfe_u32 v12, v4, 16, 7
	v_cmp_ne_u32_e32 vcc, s23, v12
	v_mov_b32_e32 v18, 0x7f80
	s_and_saveexec_b64 s[18:19], vcc
	s_cbranch_execz .LBB817_1068
; %bb.1067:                             ;   in Loop: Header=BB817_788 Depth=1
	v_and_b32_e32 v20, 7, v6
	v_ffbh_u32_e32 v18, v20
	v_min_u32_e32 v22, 32, v18
	v_subrev_u32_e32 v18, 28, v22
	v_lshlrev_b64 v[18:19], v18, v[6:7]
	v_lshrrev_b32_e32 v21, 3, v12
	v_sub_u32_e32 v19, 29, v22
	v_and_b32_e32 v18, 7, v18
	v_cmp_gt_u32_e32 vcc, 8, v12
	v_cndmask_b32_e32 v12, v21, v19, vcc
	v_cndmask_b32_e32 v18, v20, v18, vcc
	v_lshlrev_b32_e32 v6, 24, v6
	v_lshlrev_b32_e32 v18, 20, v18
	v_and_b32_e32 v6, 0x80000000, v6
	v_lshl_add_u32 v12, v12, 23, v10
	v_or3_b32 v6, v6, v12, v18
	v_lshrrev_b32_e32 v18, 16, v6
.LBB817_1068:                           ;   in Loop: Header=BB817_788 Depth=1
	s_or_b64 exec, exec, s[18:19]
.LBB817_1069:                           ;   in Loop: Header=BB817_788 Depth=1
	s_or_b64 exec, exec, s[16:17]
.LBB817_1070:                           ;   in Loop: Header=BB817_788 Depth=1
	s_or_b64 exec, exec, s[14:15]
	v_cmp_lt_u32_e32 vcc, s25, v4
	v_mov_b32_e32 v12, 0
	v_mov_b32_e32 v19, 0
	s_and_saveexec_b64 s[14:15], vcc
	s_cbranch_execz .LBB817_1076
; %bb.1071:                             ;   in Loop: Header=BB817_788 Depth=1
	v_lshrrev_b32_e32 v6, 24, v4
	v_cmp_ne_u32_e32 vcc, s21, v6
	v_mov_b32_e32 v19, 0xffff8000
	s_and_saveexec_b64 s[16:17], vcc
	s_cbranch_execz .LBB817_1075
; %bb.1072:                             ;   in Loop: Header=BB817_788 Depth=1
	v_bfe_u32 v4, v4, 24, 7
	v_cmp_ne_u32_e32 vcc, s23, v4
	v_mov_b32_e32 v19, 0x7f80
	s_and_saveexec_b64 s[18:19], vcc
	s_cbranch_execz .LBB817_1074
; %bb.1073:                             ;   in Loop: Header=BB817_788 Depth=1
	v_and_b32_e32 v19, 7, v6
	v_ffbh_u32_e32 v20, v19
	v_min_u32_e32 v23, 32, v20
	v_subrev_u32_e32 v20, 28, v23
	v_lshlrev_b64 v[20:21], v20, v[6:7]
	v_lshrrev_b32_e32 v22, 3, v4
	v_sub_u32_e32 v21, 29, v23
	v_and_b32_e32 v20, 7, v20
	v_cmp_gt_u32_e32 vcc, 8, v4
	v_cndmask_b32_e32 v4, v22, v21, vcc
	v_cndmask_b32_e32 v19, v19, v20, vcc
	v_lshlrev_b32_e32 v6, 24, v6
	v_lshlrev_b32_e32 v19, 20, v19
	v_and_b32_e32 v6, 0x80000000, v6
	v_lshl_add_u32 v4, v4, 23, v10
	v_or3_b32 v4, v6, v4, v19
	v_lshrrev_b32_e32 v19, 16, v4
.LBB817_1074:                           ;   in Loop: Header=BB817_788 Depth=1
	s_or_b64 exec, exec, s[18:19]
.LBB817_1075:                           ;   in Loop: Header=BB817_788 Depth=1
	s_or_b64 exec, exec, s[16:17]
.LBB817_1076:                           ;   in Loop: Header=BB817_788 Depth=1
	s_or_b64 exec, exec, s[14:15]
	buffer_load_dword v6, v11, s[0:3], 0 offen offset:48
	buffer_load_dword v4, v11, s[0:3], 0 offen offset:52
	v_perm_b32 v15, v17, v15, s26
	v_perm_b32 v14, v13, v14, s26
	;; [unrolled: 1-line block ×4, first 2 shown]
	v_mfma_f32_4x4x4bf16_1k a[0:3], v[2:3], v[14:15], a[0:3] cbsz:4 abid:10
	s_waitcnt vmcnt(1)
	v_cmp_ne_u16_sdwa s[16:17], v6, v9 src0_sel:BYTE_0 src1_sel:DWORD
	v_mfma_f32_4x4x4bf16_1k a[0:3], v[2:3], v[16:17], a[0:3] cbsz:4 abid:11
	s_and_saveexec_b64 s[14:15], s[16:17]
	s_cbranch_execz .LBB817_1082
; %bb.1077:                             ;   in Loop: Header=BB817_788 Depth=1
	v_cmp_ne_u16_sdwa s[18:19], v6, s21 src0_sel:BYTE_0 src1_sel:DWORD
	v_mov_b32_e32 v12, 0xffff8000
	s_and_saveexec_b64 s[16:17], s[18:19]
	s_cbranch_execz .LBB817_1081
; %bb.1078:                             ;   in Loop: Header=BB817_788 Depth=1
	v_and_b32_e32 v8, 0x7f, v6
	v_cmp_ne_u32_e32 vcc, s23, v8
	v_mov_b32_e32 v12, 0x7f80
	s_and_saveexec_b64 s[18:19], vcc
	s_cbranch_execz .LBB817_1080
; %bb.1079:                             ;   in Loop: Header=BB817_788 Depth=1
	v_and_b32_e32 v14, 7, v6
	v_ffbh_u32_e32 v12, v14
	v_min_u32_e32 v16, 32, v12
	v_subrev_u32_e32 v12, 28, v16
	v_lshlrev_b64 v[12:13], v12, v[6:7]
	v_lshrrev_b32_e32 v15, 3, v8
	v_sub_u32_e32 v13, 29, v16
	v_and_b32_e32 v12, 7, v12
	v_cmp_gt_u32_e32 vcc, 8, v8
	v_cndmask_b32_e32 v8, v15, v13, vcc
	v_cndmask_b32_e32 v12, v14, v12, vcc
	v_lshlrev_b32_e32 v13, 24, v6
	v_lshlrev_b32_e32 v12, 20, v12
	v_and_b32_e32 v13, 0x80000000, v13
	v_lshl_add_u32 v8, v8, 23, v10
	v_or3_b32 v8, v13, v8, v12
	v_lshrrev_b32_e32 v12, 16, v8
.LBB817_1080:                           ;   in Loop: Header=BB817_788 Depth=1
	s_or_b64 exec, exec, s[18:19]
.LBB817_1081:                           ;   in Loop: Header=BB817_788 Depth=1
	s_or_b64 exec, exec, s[16:17]
.LBB817_1082:                           ;   in Loop: Header=BB817_788 Depth=1
	s_or_b64 exec, exec, s[14:15]
	v_lshrrev_b16_e32 v8, 8, v6
	v_cmp_ne_u16_e32 vcc, 0, v8
	v_mov_b32_e32 v15, 0
	v_mov_b32_e32 v14, 0
	s_and_saveexec_b64 s[14:15], vcc
	s_cbranch_execz .LBB817_1088
; %bb.1083:                             ;   in Loop: Header=BB817_788 Depth=1
	v_cmp_ne_u16_e32 vcc, s21, v8
	v_mov_b32_e32 v14, 0xffff8000
	s_and_saveexec_b64 s[16:17], vcc
	s_cbranch_execz .LBB817_1087
; %bb.1084:                             ;   in Loop: Header=BB817_788 Depth=1
	v_and_b32_e32 v13, 0x7f, v8
	v_cmp_ne_u32_e32 vcc, s23, v13
	v_mov_b32_e32 v14, 0x7f80
	s_and_saveexec_b64 s[18:19], vcc
	s_cbranch_execz .LBB817_1086
; %bb.1085:                             ;   in Loop: Header=BB817_788 Depth=1
	v_and_b32_e32 v14, 7, v8
	v_ffbh_u32_e32 v16, v14
	v_min_u32_e32 v19, 32, v16
	v_subrev_u32_e32 v16, 28, v19
	v_lshlrev_b64 v[16:17], v16, v[8:9]
	v_lshrrev_b32_e32 v18, 3, v13
	v_sub_u32_e32 v8, 29, v19
	v_and_b32_e32 v16, 7, v16
	v_cmp_gt_u32_e32 vcc, 8, v13
	v_cndmask_b32_e32 v8, v18, v8, vcc
	v_cndmask_b32_e32 v13, v14, v16, vcc
	v_lshlrev_b32_e32 v14, 16, v6
	v_lshlrev_b32_e32 v13, 20, v13
	v_and_b32_e32 v14, 0x80000000, v14
	v_lshl_add_u32 v8, v8, 23, v10
	v_or3_b32 v8, v14, v8, v13
	v_lshrrev_b32_e32 v14, 16, v8
.LBB817_1086:                           ;   in Loop: Header=BB817_788 Depth=1
	s_or_b64 exec, exec, s[18:19]
.LBB817_1087:                           ;   in Loop: Header=BB817_788 Depth=1
	s_or_b64 exec, exec, s[16:17]
.LBB817_1088:                           ;   in Loop: Header=BB817_788 Depth=1
	s_or_b64 exec, exec, s[14:15]
	v_lshrrev_b32_e32 v8, 16, v6
	v_cmp_ne_u16_sdwa s[16:17], v8, v9 src0_sel:BYTE_0 src1_sel:DWORD
	s_and_saveexec_b64 s[14:15], s[16:17]
	s_cbranch_execz .LBB817_1094
; %bb.1089:                             ;   in Loop: Header=BB817_788 Depth=1
	v_cmp_ne_u16_sdwa s[18:19], v8, s21 src0_sel:BYTE_0 src1_sel:DWORD
	v_mov_b32_e32 v15, 0xffff8000
	s_and_saveexec_b64 s[16:17], s[18:19]
	s_cbranch_execz .LBB817_1093
; %bb.1090:                             ;   in Loop: Header=BB817_788 Depth=1
	v_bfe_u32 v13, v6, 16, 7
	v_cmp_ne_u32_e32 vcc, s23, v13
	v_mov_b32_e32 v15, 0x7f80
	s_and_saveexec_b64 s[18:19], vcc
	s_cbranch_execz .LBB817_1092
; %bb.1091:                             ;   in Loop: Header=BB817_788 Depth=1
	v_and_b32_e32 v15, 7, v8
	v_ffbh_u32_e32 v16, v15
	v_min_u32_e32 v19, 32, v16
	v_subrev_u32_e32 v16, 28, v19
	v_lshlrev_b64 v[16:17], v16, v[8:9]
	v_lshrrev_b32_e32 v18, 3, v13
	v_sub_u32_e32 v17, 29, v19
	v_and_b32_e32 v16, 7, v16
	v_cmp_gt_u32_e32 vcc, 8, v13
	v_cndmask_b32_e32 v13, v18, v17, vcc
	v_cndmask_b32_e32 v15, v15, v16, vcc
	v_lshlrev_b32_e32 v8, 24, v8
	v_lshlrev_b32_e32 v15, 20, v15
	v_and_b32_e32 v8, 0x80000000, v8
	v_lshl_add_u32 v13, v13, 23, v10
	v_or3_b32 v8, v8, v13, v15
	v_lshrrev_b32_e32 v15, 16, v8
.LBB817_1092:                           ;   in Loop: Header=BB817_788 Depth=1
	s_or_b64 exec, exec, s[18:19]
.LBB817_1093:                           ;   in Loop: Header=BB817_788 Depth=1
	s_or_b64 exec, exec, s[16:17]
.LBB817_1094:                           ;   in Loop: Header=BB817_788 Depth=1
	s_or_b64 exec, exec, s[14:15]
	v_cmp_lt_u32_e32 vcc, s25, v6
	v_mov_b32_e32 v16, 0
	v_mov_b32_e32 v17, 0
	s_and_saveexec_b64 s[14:15], vcc
	s_cbranch_execz .LBB817_1100
; %bb.1095:                             ;   in Loop: Header=BB817_788 Depth=1
	v_lshrrev_b32_e32 v8, 24, v6
	v_cmp_ne_u32_e32 vcc, s21, v8
	v_mov_b32_e32 v17, 0xffff8000
	s_and_saveexec_b64 s[16:17], vcc
	s_cbranch_execz .LBB817_1099
; %bb.1096:                             ;   in Loop: Header=BB817_788 Depth=1
	v_bfe_u32 v6, v6, 24, 7
	v_cmp_ne_u32_e32 vcc, s23, v6
	v_mov_b32_e32 v17, 0x7f80
	s_and_saveexec_b64 s[18:19], vcc
	s_cbranch_execz .LBB817_1098
; %bb.1097:                             ;   in Loop: Header=BB817_788 Depth=1
	v_and_b32_e32 v13, 7, v8
	v_ffbh_u32_e32 v18, v13
	v_min_u32_e32 v20, 32, v18
	v_subrev_u32_e32 v18, 28, v20
	v_lshlrev_b64 v[18:19], v18, v[8:9]
	v_lshrrev_b32_e32 v17, 3, v6
	v_sub_u32_e32 v19, 29, v20
	v_and_b32_e32 v18, 7, v18
	v_cmp_gt_u32_e32 vcc, 8, v6
	v_cndmask_b32_e32 v6, v17, v19, vcc
	v_cndmask_b32_e32 v13, v13, v18, vcc
	v_lshlrev_b32_e32 v8, 24, v8
	v_lshlrev_b32_e32 v13, 20, v13
	v_and_b32_e32 v8, 0x80000000, v8
	v_lshl_add_u32 v6, v6, 23, v10
	v_or3_b32 v6, v8, v6, v13
	v_lshrrev_b32_e32 v17, 16, v6
.LBB817_1098:                           ;   in Loop: Header=BB817_788 Depth=1
	s_or_b64 exec, exec, s[18:19]
.LBB817_1099:                           ;   in Loop: Header=BB817_788 Depth=1
	s_or_b64 exec, exec, s[16:17]
.LBB817_1100:                           ;   in Loop: Header=BB817_788 Depth=1
	s_or_b64 exec, exec, s[14:15]
	s_waitcnt vmcnt(0)
	v_cmp_ne_u16_sdwa s[16:17], v4, v9 src0_sel:BYTE_0 src1_sel:DWORD
	s_and_saveexec_b64 s[14:15], s[16:17]
	s_cbranch_execz .LBB817_1106
; %bb.1101:                             ;   in Loop: Header=BB817_788 Depth=1
	v_cmp_ne_u16_sdwa s[18:19], v4, s21 src0_sel:BYTE_0 src1_sel:DWORD
	v_mov_b32_e32 v16, 0xffff8000
	s_and_saveexec_b64 s[16:17], s[18:19]
	s_cbranch_execz .LBB817_1105
; %bb.1102:                             ;   in Loop: Header=BB817_788 Depth=1
	v_and_b32_e32 v6, 0x7f, v4
	v_cmp_ne_u32_e32 vcc, s23, v6
	v_mov_b32_e32 v16, 0x7f80
	s_and_saveexec_b64 s[18:19], vcc
	s_cbranch_execz .LBB817_1104
; %bb.1103:                             ;   in Loop: Header=BB817_788 Depth=1
	v_and_b32_e32 v8, 7, v4
	v_ffbh_u32_e32 v16, v8
	v_min_u32_e32 v16, 32, v16
	v_subrev_u32_e32 v18, 28, v16
	v_lshlrev_b64 v[18:19], v18, v[4:5]
	v_lshrrev_b32_e32 v13, 3, v6
	v_sub_u32_e32 v16, 29, v16
	v_and_b32_e32 v18, 7, v18
	v_cmp_gt_u32_e32 vcc, 8, v6
	v_cndmask_b32_e32 v6, v13, v16, vcc
	v_cndmask_b32_e32 v8, v8, v18, vcc
	v_lshlrev_b32_e32 v13, 24, v4
	v_lshlrev_b32_e32 v8, 20, v8
	v_and_b32_e32 v13, 0x80000000, v13
	v_lshl_add_u32 v6, v6, 23, v10
	v_or3_b32 v6, v13, v6, v8
	v_lshrrev_b32_e32 v16, 16, v6
.LBB817_1104:                           ;   in Loop: Header=BB817_788 Depth=1
	s_or_b64 exec, exec, s[18:19]
.LBB817_1105:                           ;   in Loop: Header=BB817_788 Depth=1
	s_or_b64 exec, exec, s[16:17]
.LBB817_1106:                           ;   in Loop: Header=BB817_788 Depth=1
	s_or_b64 exec, exec, s[14:15]
	v_lshrrev_b16_e32 v6, 8, v4
	v_cmp_ne_u16_e32 vcc, 0, v6
	v_mov_b32_e32 v18, 0
	v_mov_b32_e32 v8, 0
	s_and_saveexec_b64 s[14:15], vcc
	s_cbranch_execz .LBB817_1112
; %bb.1107:                             ;   in Loop: Header=BB817_788 Depth=1
	v_cmp_ne_u16_e32 vcc, s21, v6
	v_mov_b32_e32 v8, 0xffff8000
	s_and_saveexec_b64 s[16:17], vcc
	s_cbranch_execz .LBB817_1111
; %bb.1108:                             ;   in Loop: Header=BB817_788 Depth=1
	v_and_b32_e32 v13, 0x7f, v6
	v_cmp_ne_u32_e32 vcc, s23, v13
	v_mov_b32_e32 v8, 0x7f80
	s_and_saveexec_b64 s[18:19], vcc
	s_cbranch_execz .LBB817_1110
; %bb.1109:                             ;   in Loop: Header=BB817_788 Depth=1
	v_and_b32_e32 v8, 7, v6
	v_ffbh_u32_e32 v20, v8
	v_min_u32_e32 v22, 32, v20
	v_subrev_u32_e32 v20, 28, v22
	v_lshlrev_b64 v[20:21], v20, v[6:7]
	v_lshrrev_b32_e32 v19, 3, v13
	v_sub_u32_e32 v6, 29, v22
	v_and_b32_e32 v20, 7, v20
	v_cmp_gt_u32_e32 vcc, 8, v13
	v_cndmask_b32_e32 v6, v19, v6, vcc
	v_cndmask_b32_e32 v8, v8, v20, vcc
	v_lshlrev_b32_e32 v13, 16, v4
	v_lshlrev_b32_e32 v8, 20, v8
	v_and_b32_e32 v13, 0x80000000, v13
	v_lshl_add_u32 v6, v6, 23, v10
	v_or3_b32 v6, v13, v6, v8
	v_lshrrev_b32_e32 v8, 16, v6
.LBB817_1110:                           ;   in Loop: Header=BB817_788 Depth=1
	s_or_b64 exec, exec, s[18:19]
.LBB817_1111:                           ;   in Loop: Header=BB817_788 Depth=1
	s_or_b64 exec, exec, s[16:17]
.LBB817_1112:                           ;   in Loop: Header=BB817_788 Depth=1
	s_or_b64 exec, exec, s[14:15]
	v_lshrrev_b32_e32 v6, 16, v4
	v_cmp_ne_u16_sdwa s[16:17], v6, v9 src0_sel:BYTE_0 src1_sel:DWORD
	s_and_saveexec_b64 s[14:15], s[16:17]
	s_cbranch_execz .LBB817_1118
; %bb.1113:                             ;   in Loop: Header=BB817_788 Depth=1
	v_cmp_ne_u16_sdwa s[18:19], v6, s21 src0_sel:BYTE_0 src1_sel:DWORD
	v_mov_b32_e32 v18, 0xffff8000
	s_and_saveexec_b64 s[16:17], s[18:19]
	s_cbranch_execz .LBB817_1117
; %bb.1114:                             ;   in Loop: Header=BB817_788 Depth=1
	v_bfe_u32 v13, v4, 16, 7
	v_cmp_ne_u32_e32 vcc, s23, v13
	v_mov_b32_e32 v18, 0x7f80
	s_and_saveexec_b64 s[18:19], vcc
	s_cbranch_execz .LBB817_1116
; %bb.1115:                             ;   in Loop: Header=BB817_788 Depth=1
	v_and_b32_e32 v20, 7, v6
	v_ffbh_u32_e32 v18, v20
	v_min_u32_e32 v22, 32, v18
	v_subrev_u32_e32 v18, 28, v22
	v_lshlrev_b64 v[18:19], v18, v[6:7]
	v_lshrrev_b32_e32 v21, 3, v13
	v_sub_u32_e32 v19, 29, v22
	v_and_b32_e32 v18, 7, v18
	v_cmp_gt_u32_e32 vcc, 8, v13
	v_cndmask_b32_e32 v13, v21, v19, vcc
	v_cndmask_b32_e32 v18, v20, v18, vcc
	v_lshlrev_b32_e32 v6, 24, v6
	v_lshlrev_b32_e32 v18, 20, v18
	v_and_b32_e32 v6, 0x80000000, v6
	v_lshl_add_u32 v13, v13, 23, v10
	v_or3_b32 v6, v6, v13, v18
	v_lshrrev_b32_e32 v18, 16, v6
.LBB817_1116:                           ;   in Loop: Header=BB817_788 Depth=1
	s_or_b64 exec, exec, s[18:19]
.LBB817_1117:                           ;   in Loop: Header=BB817_788 Depth=1
	s_or_b64 exec, exec, s[16:17]
.LBB817_1118:                           ;   in Loop: Header=BB817_788 Depth=1
	s_or_b64 exec, exec, s[14:15]
	v_cmp_lt_u32_e32 vcc, s25, v4
	v_mov_b32_e32 v13, 0
	v_mov_b32_e32 v19, 0
	s_and_saveexec_b64 s[14:15], vcc
	s_cbranch_execz .LBB817_1124
; %bb.1119:                             ;   in Loop: Header=BB817_788 Depth=1
	v_lshrrev_b32_e32 v6, 24, v4
	v_cmp_ne_u32_e32 vcc, s21, v6
	v_mov_b32_e32 v19, 0xffff8000
	s_and_saveexec_b64 s[16:17], vcc
	s_cbranch_execz .LBB817_1123
; %bb.1120:                             ;   in Loop: Header=BB817_788 Depth=1
	v_bfe_u32 v4, v4, 24, 7
	v_cmp_ne_u32_e32 vcc, s23, v4
	v_mov_b32_e32 v19, 0x7f80
	s_and_saveexec_b64 s[18:19], vcc
	s_cbranch_execz .LBB817_1122
; %bb.1121:                             ;   in Loop: Header=BB817_788 Depth=1
	v_and_b32_e32 v19, 7, v6
	v_ffbh_u32_e32 v20, v19
	v_min_u32_e32 v23, 32, v20
	v_subrev_u32_e32 v20, 28, v23
	v_lshlrev_b64 v[20:21], v20, v[6:7]
	v_lshrrev_b32_e32 v22, 3, v4
	v_sub_u32_e32 v21, 29, v23
	v_and_b32_e32 v20, 7, v20
	v_cmp_gt_u32_e32 vcc, 8, v4
	v_cndmask_b32_e32 v4, v22, v21, vcc
	v_cndmask_b32_e32 v19, v19, v20, vcc
	v_lshlrev_b32_e32 v6, 24, v6
	v_lshlrev_b32_e32 v19, 20, v19
	v_and_b32_e32 v6, 0x80000000, v6
	v_lshl_add_u32 v4, v4, 23, v10
	v_or3_b32 v4, v6, v4, v19
	v_lshrrev_b32_e32 v19, 16, v4
.LBB817_1122:                           ;   in Loop: Header=BB817_788 Depth=1
	s_or_b64 exec, exec, s[18:19]
.LBB817_1123:                           ;   in Loop: Header=BB817_788 Depth=1
	s_or_b64 exec, exec, s[16:17]
.LBB817_1124:                           ;   in Loop: Header=BB817_788 Depth=1
	s_or_b64 exec, exec, s[14:15]
	buffer_load_dword v6, v11, s[0:3], 0 offen offset:56
	buffer_load_dword v4, v11, s[0:3], 0 offen offset:60
	v_perm_b32 v15, v17, v15, s26
	v_perm_b32 v14, v14, v12, s26
	;; [unrolled: 1-line block ×4, first 2 shown]
	v_mfma_f32_4x4x4bf16_1k a[0:3], v[2:3], v[14:15], a[0:3] cbsz:4 abid:12
	s_waitcnt vmcnt(1)
	v_cmp_ne_u16_sdwa s[16:17], v6, v9 src0_sel:BYTE_0 src1_sel:DWORD
	v_mfma_f32_4x4x4bf16_1k a[0:3], v[2:3], v[16:17], a[0:3] cbsz:4 abid:13
	s_and_saveexec_b64 s[14:15], s[16:17]
	s_cbranch_execz .LBB817_1130
; %bb.1125:                             ;   in Loop: Header=BB817_788 Depth=1
	v_cmp_ne_u16_sdwa s[18:19], v6, s21 src0_sel:BYTE_0 src1_sel:DWORD
	v_mov_b32_e32 v13, 0xffff8000
	s_and_saveexec_b64 s[16:17], s[18:19]
	s_cbranch_execz .LBB817_1129
; %bb.1126:                             ;   in Loop: Header=BB817_788 Depth=1
	v_and_b32_e32 v8, 0x7f, v6
	v_cmp_ne_u32_e32 vcc, s23, v8
	v_mov_b32_e32 v13, 0x7f80
	s_and_saveexec_b64 s[18:19], vcc
	s_cbranch_execz .LBB817_1128
; %bb.1127:                             ;   in Loop: Header=BB817_788 Depth=1
	v_and_b32_e32 v11, 7, v6
	v_ffbh_u32_e32 v12, v11
	v_min_u32_e32 v15, 32, v12
	v_subrev_u32_e32 v12, 28, v15
	v_lshlrev_b64 v[12:13], v12, v[6:7]
	v_lshrrev_b32_e32 v14, 3, v8
	v_sub_u32_e32 v13, 29, v15
	v_and_b32_e32 v12, 7, v12
	v_cmp_gt_u32_e32 vcc, 8, v8
	v_cndmask_b32_e32 v8, v14, v13, vcc
	v_cndmask_b32_e32 v11, v11, v12, vcc
	v_lshlrev_b32_e32 v12, 24, v6
	v_lshlrev_b32_e32 v11, 20, v11
	v_and_b32_e32 v12, 0x80000000, v12
	v_lshl_add_u32 v8, v8, 23, v10
	v_or3_b32 v8, v12, v8, v11
	v_lshrrev_b32_e32 v13, 16, v8
.LBB817_1128:                           ;   in Loop: Header=BB817_788 Depth=1
	s_or_b64 exec, exec, s[18:19]
.LBB817_1129:                           ;   in Loop: Header=BB817_788 Depth=1
	s_or_b64 exec, exec, s[16:17]
.LBB817_1130:                           ;   in Loop: Header=BB817_788 Depth=1
	s_or_b64 exec, exec, s[14:15]
	v_lshrrev_b16_e32 v8, 8, v6
	v_cmp_ne_u16_e32 vcc, 0, v8
	v_mov_b32_e32 v12, 0
	v_mov_b32_e32 v11, 0
	s_and_saveexec_b64 s[14:15], vcc
	s_cbranch_execz .LBB817_1136
; %bb.1131:                             ;   in Loop: Header=BB817_788 Depth=1
	v_cmp_ne_u16_e32 vcc, s21, v8
	v_mov_b32_e32 v11, 0xffff8000
	s_and_saveexec_b64 s[16:17], vcc
	s_cbranch_execz .LBB817_1135
; %bb.1132:                             ;   in Loop: Header=BB817_788 Depth=1
	v_and_b32_e32 v14, 0x7f, v8
	v_cmp_ne_u32_e32 vcc, s23, v14
	v_mov_b32_e32 v11, 0x7f80
	s_and_saveexec_b64 s[18:19], vcc
	s_cbranch_execz .LBB817_1134
; %bb.1133:                             ;   in Loop: Header=BB817_788 Depth=1
	v_and_b32_e32 v11, 7, v8
	v_ffbh_u32_e32 v16, v11
	v_min_u32_e32 v18, 32, v16
	v_subrev_u32_e32 v16, 28, v18
	v_lshlrev_b64 v[16:17], v16, v[8:9]
	v_lshrrev_b32_e32 v15, 3, v14
	v_sub_u32_e32 v8, 29, v18
	v_and_b32_e32 v16, 7, v16
	v_cmp_gt_u32_e32 vcc, 8, v14
	v_cndmask_b32_e32 v8, v15, v8, vcc
	v_cndmask_b32_e32 v11, v11, v16, vcc
	v_lshlrev_b32_e32 v14, 16, v6
	v_lshlrev_b32_e32 v11, 20, v11
	v_and_b32_e32 v14, 0x80000000, v14
	v_lshl_add_u32 v8, v8, 23, v10
	v_or3_b32 v8, v14, v8, v11
	v_lshrrev_b32_e32 v11, 16, v8
.LBB817_1134:                           ;   in Loop: Header=BB817_788 Depth=1
	s_or_b64 exec, exec, s[18:19]
.LBB817_1135:                           ;   in Loop: Header=BB817_788 Depth=1
	s_or_b64 exec, exec, s[16:17]
.LBB817_1136:                           ;   in Loop: Header=BB817_788 Depth=1
	s_or_b64 exec, exec, s[14:15]
	v_lshrrev_b32_e32 v8, 16, v6
	v_cmp_ne_u16_sdwa s[16:17], v8, v9 src0_sel:BYTE_0 src1_sel:DWORD
	s_and_saveexec_b64 s[14:15], s[16:17]
	s_cbranch_execz .LBB817_1142
; %bb.1137:                             ;   in Loop: Header=BB817_788 Depth=1
	v_cmp_ne_u16_sdwa s[18:19], v8, s21 src0_sel:BYTE_0 src1_sel:DWORD
	v_mov_b32_e32 v12, 0xffff8000
	s_and_saveexec_b64 s[16:17], s[18:19]
	s_cbranch_execz .LBB817_1141
; %bb.1138:                             ;   in Loop: Header=BB817_788 Depth=1
	v_bfe_u32 v14, v6, 16, 7
	v_cmp_ne_u32_e32 vcc, s23, v14
	v_mov_b32_e32 v12, 0x7f80
	s_and_saveexec_b64 s[18:19], vcc
	s_cbranch_execz .LBB817_1140
; %bb.1139:                             ;   in Loop: Header=BB817_788 Depth=1
	v_and_b32_e32 v12, 7, v8
	v_ffbh_u32_e32 v16, v12
	v_min_u32_e32 v18, 32, v16
	v_subrev_u32_e32 v16, 28, v18
	v_lshlrev_b64 v[16:17], v16, v[8:9]
	v_lshrrev_b32_e32 v15, 3, v14
	v_sub_u32_e32 v17, 29, v18
	v_and_b32_e32 v16, 7, v16
	v_cmp_gt_u32_e32 vcc, 8, v14
	v_cndmask_b32_e32 v14, v15, v17, vcc
	v_cndmask_b32_e32 v12, v12, v16, vcc
	v_lshlrev_b32_e32 v8, 24, v8
	v_lshlrev_b32_e32 v12, 20, v12
	v_and_b32_e32 v8, 0x80000000, v8
	v_lshl_add_u32 v14, v14, 23, v10
	v_or3_b32 v8, v8, v14, v12
	v_lshrrev_b32_e32 v12, 16, v8
.LBB817_1140:                           ;   in Loop: Header=BB817_788 Depth=1
	s_or_b64 exec, exec, s[18:19]
.LBB817_1141:                           ;   in Loop: Header=BB817_788 Depth=1
	s_or_b64 exec, exec, s[16:17]
.LBB817_1142:                           ;   in Loop: Header=BB817_788 Depth=1
	s_or_b64 exec, exec, s[14:15]
	v_cmp_lt_u32_e32 vcc, s25, v6
	v_mov_b32_e32 v14, 0
	v_mov_b32_e32 v15, 0
	s_and_saveexec_b64 s[14:15], vcc
	s_cbranch_execz .LBB817_1148
; %bb.1143:                             ;   in Loop: Header=BB817_788 Depth=1
	v_lshrrev_b32_e32 v8, 24, v6
	v_cmp_ne_u32_e32 vcc, s21, v8
	v_mov_b32_e32 v15, 0xffff8000
	s_and_saveexec_b64 s[16:17], vcc
	s_cbranch_execz .LBB817_1147
; %bb.1144:                             ;   in Loop: Header=BB817_788 Depth=1
	v_bfe_u32 v6, v6, 24, 7
	v_cmp_ne_u32_e32 vcc, s23, v6
	v_mov_b32_e32 v15, 0x7f80
	s_and_saveexec_b64 s[18:19], vcc
	s_cbranch_execz .LBB817_1146
; %bb.1145:                             ;   in Loop: Header=BB817_788 Depth=1
	v_and_b32_e32 v15, 7, v8
	v_ffbh_u32_e32 v16, v15
	v_min_u32_e32 v19, 32, v16
	v_subrev_u32_e32 v16, 28, v19
	v_lshlrev_b64 v[16:17], v16, v[8:9]
	v_lshrrev_b32_e32 v18, 3, v6
	v_sub_u32_e32 v17, 29, v19
	v_and_b32_e32 v16, 7, v16
	v_cmp_gt_u32_e32 vcc, 8, v6
	v_cndmask_b32_e32 v6, v18, v17, vcc
	v_cndmask_b32_e32 v15, v15, v16, vcc
	v_lshlrev_b32_e32 v8, 24, v8
	v_lshlrev_b32_e32 v15, 20, v15
	v_and_b32_e32 v8, 0x80000000, v8
	v_lshl_add_u32 v6, v6, 23, v10
	v_or3_b32 v6, v8, v6, v15
	v_lshrrev_b32_e32 v15, 16, v6
.LBB817_1146:                           ;   in Loop: Header=BB817_788 Depth=1
	s_or_b64 exec, exec, s[18:19]
.LBB817_1147:                           ;   in Loop: Header=BB817_788 Depth=1
	s_or_b64 exec, exec, s[16:17]
.LBB817_1148:                           ;   in Loop: Header=BB817_788 Depth=1
	s_or_b64 exec, exec, s[14:15]
	s_waitcnt vmcnt(0)
	v_cmp_ne_u16_sdwa s[16:17], v4, v9 src0_sel:BYTE_0 src1_sel:DWORD
	s_and_saveexec_b64 s[14:15], s[16:17]
	s_cbranch_execz .LBB817_1154
; %bb.1149:                             ;   in Loop: Header=BB817_788 Depth=1
	v_cmp_ne_u16_sdwa s[18:19], v4, s21 src0_sel:BYTE_0 src1_sel:DWORD
	v_mov_b32_e32 v14, 0xffff8000
	s_and_saveexec_b64 s[16:17], s[18:19]
	s_cbranch_execz .LBB817_1153
; %bb.1150:                             ;   in Loop: Header=BB817_788 Depth=1
	v_and_b32_e32 v6, 0x7f, v4
	v_cmp_ne_u32_e32 vcc, s23, v6
	v_mov_b32_e32 v14, 0x7f80
	s_and_saveexec_b64 s[18:19], vcc
	s_cbranch_execz .LBB817_1152
; %bb.1151:                             ;   in Loop: Header=BB817_788 Depth=1
	v_and_b32_e32 v8, 7, v4
	v_ffbh_u32_e32 v16, v8
	v_min_u32_e32 v18, 32, v16
	v_subrev_u32_e32 v16, 28, v18
	v_lshlrev_b64 v[16:17], v16, v[4:5]
	v_lshrrev_b32_e32 v14, 3, v6
	v_sub_u32_e32 v17, 29, v18
	v_and_b32_e32 v16, 7, v16
	v_cmp_gt_u32_e32 vcc, 8, v6
	v_cndmask_b32_e32 v6, v14, v17, vcc
	v_cndmask_b32_e32 v8, v8, v16, vcc
	v_lshlrev_b32_e32 v14, 24, v4
	v_lshlrev_b32_e32 v8, 20, v8
	v_and_b32_e32 v14, 0x80000000, v14
	v_lshl_add_u32 v6, v6, 23, v10
	v_or3_b32 v6, v14, v6, v8
	v_lshrrev_b32_e32 v14, 16, v6
.LBB817_1152:                           ;   in Loop: Header=BB817_788 Depth=1
	s_or_b64 exec, exec, s[18:19]
.LBB817_1153:                           ;   in Loop: Header=BB817_788 Depth=1
	s_or_b64 exec, exec, s[16:17]
.LBB817_1154:                           ;   in Loop: Header=BB817_788 Depth=1
	s_or_b64 exec, exec, s[14:15]
	v_lshrrev_b16_e32 v6, 8, v4
	v_cmp_ne_u16_e32 vcc, 0, v6
	v_mov_b32_e32 v16, 0
	v_mov_b32_e32 v8, 0
	s_and_saveexec_b64 s[14:15], vcc
	s_cbranch_execz .LBB817_1160
; %bb.1155:                             ;   in Loop: Header=BB817_788 Depth=1
	v_cmp_ne_u16_e32 vcc, s21, v6
	v_mov_b32_e32 v8, 0xffff8000
	s_and_saveexec_b64 s[16:17], vcc
	s_cbranch_execz .LBB817_1159
; %bb.1156:                             ;   in Loop: Header=BB817_788 Depth=1
	v_and_b32_e32 v17, 0x7f, v6
	v_cmp_ne_u32_e32 vcc, s23, v17
	v_mov_b32_e32 v8, 0x7f80
	s_and_saveexec_b64 s[18:19], vcc
	s_cbranch_execz .LBB817_1158
; %bb.1157:                             ;   in Loop: Header=BB817_788 Depth=1
	v_and_b32_e32 v8, 7, v6
	v_ffbh_u32_e32 v18, v8
	v_min_u32_e32 v21, 32, v18
	v_subrev_u32_e32 v18, 28, v21
	v_lshlrev_b64 v[18:19], v18, v[6:7]
	v_lshrrev_b32_e32 v20, 3, v17
	v_sub_u32_e32 v6, 29, v21
	v_and_b32_e32 v18, 7, v18
	v_cmp_gt_u32_e32 vcc, 8, v17
	v_cndmask_b32_e32 v6, v20, v6, vcc
	v_cndmask_b32_e32 v8, v8, v18, vcc
	v_lshlrev_b32_e32 v17, 16, v4
	v_lshlrev_b32_e32 v8, 20, v8
	v_and_b32_e32 v17, 0x80000000, v17
	v_lshl_add_u32 v6, v6, 23, v10
	v_or3_b32 v6, v17, v6, v8
	v_lshrrev_b32_e32 v8, 16, v6
.LBB817_1158:                           ;   in Loop: Header=BB817_788 Depth=1
	s_or_b64 exec, exec, s[18:19]
.LBB817_1159:                           ;   in Loop: Header=BB817_788 Depth=1
	s_or_b64 exec, exec, s[16:17]
.LBB817_1160:                           ;   in Loop: Header=BB817_788 Depth=1
	s_or_b64 exec, exec, s[14:15]
	v_lshrrev_b32_e32 v6, 16, v4
	v_cmp_ne_u16_sdwa s[16:17], v6, v9 src0_sel:BYTE_0 src1_sel:DWORD
	s_and_saveexec_b64 s[14:15], s[16:17]
	s_cbranch_execz .LBB817_1166
; %bb.1161:                             ;   in Loop: Header=BB817_788 Depth=1
	v_cmp_ne_u16_sdwa s[18:19], v6, s21 src0_sel:BYTE_0 src1_sel:DWORD
	v_mov_b32_e32 v16, 0xffff8000
	s_and_saveexec_b64 s[16:17], s[18:19]
	s_cbranch_execz .LBB817_1165
; %bb.1162:                             ;   in Loop: Header=BB817_788 Depth=1
	v_bfe_u32 v17, v4, 16, 7
	v_cmp_ne_u32_e32 vcc, s23, v17
	v_mov_b32_e32 v16, 0x7f80
	s_and_saveexec_b64 s[18:19], vcc
	s_cbranch_execz .LBB817_1164
; %bb.1163:                             ;   in Loop: Header=BB817_788 Depth=1
	v_and_b32_e32 v16, 7, v6
	v_ffbh_u32_e32 v18, v16
	v_min_u32_e32 v21, 32, v18
	v_subrev_u32_e32 v18, 28, v21
	v_lshlrev_b64 v[18:19], v18, v[6:7]
	v_lshrrev_b32_e32 v20, 3, v17
	v_sub_u32_e32 v19, 29, v21
	v_and_b32_e32 v18, 7, v18
	v_cmp_gt_u32_e32 vcc, 8, v17
	v_cndmask_b32_e32 v17, v20, v19, vcc
	v_cndmask_b32_e32 v16, v16, v18, vcc
	v_lshlrev_b32_e32 v6, 24, v6
	v_lshlrev_b32_e32 v16, 20, v16
	v_and_b32_e32 v6, 0x80000000, v6
	v_lshl_add_u32 v17, v17, 23, v10
	v_or3_b32 v6, v6, v17, v16
	v_lshrrev_b32_e32 v16, 16, v6
.LBB817_1164:                           ;   in Loop: Header=BB817_788 Depth=1
	s_or_b64 exec, exec, s[18:19]
.LBB817_1165:                           ;   in Loop: Header=BB817_788 Depth=1
	s_or_b64 exec, exec, s[16:17]
.LBB817_1166:                           ;   in Loop: Header=BB817_788 Depth=1
	s_or_b64 exec, exec, s[14:15]
	v_cmp_lt_u32_e32 vcc, s25, v4
	v_mov_b32_e32 v17, 0
	s_and_saveexec_b64 s[14:15], vcc
	s_cbranch_execz .LBB817_787
; %bb.1167:                             ;   in Loop: Header=BB817_788 Depth=1
	v_lshrrev_b32_e32 v6, 24, v4
	v_cmp_ne_u32_e32 vcc, s21, v6
	v_mov_b32_e32 v17, 0xffff8000
	s_and_saveexec_b64 s[16:17], vcc
	s_cbranch_execz .LBB817_786
; %bb.1168:                             ;   in Loop: Header=BB817_788 Depth=1
	v_bfe_u32 v4, v4, 24, 7
	v_cmp_ne_u32_e32 vcc, s23, v4
	v_mov_b32_e32 v17, 0x7f80
	s_and_saveexec_b64 s[18:19], vcc
	s_cbranch_execz .LBB817_785
; %bb.1169:                             ;   in Loop: Header=BB817_788 Depth=1
	v_and_b32_e32 v17, 7, v6
	v_ffbh_u32_e32 v18, v17
	v_min_u32_e32 v21, 32, v18
	v_subrev_u32_e32 v18, 28, v21
	v_lshlrev_b64 v[18:19], v18, v[6:7]
	v_lshrrev_b32_e32 v20, 3, v4
	v_sub_u32_e32 v19, 29, v21
	v_and_b32_e32 v18, 7, v18
	v_cmp_gt_u32_e32 vcc, 8, v4
	v_cndmask_b32_e32 v4, v20, v19, vcc
	v_cndmask_b32_e32 v17, v17, v18, vcc
	v_lshlrev_b32_e32 v6, 24, v6
	v_lshlrev_b32_e32 v17, 20, v17
	v_and_b32_e32 v6, 0x80000000, v6
	v_lshl_add_u32 v4, v4, 23, v10
	v_or3_b32 v4, v6, v4, v17
	v_lshrrev_b32_e32 v17, 16, v4
	s_branch .LBB817_785
.LBB817_1170:
	s_mov_b64 s[16:17], 0
                                        ; implicit-def: $sgpr38_sgpr39
	s_branch .LBB817_2
.LBB817_1171:
	s_or_b64 exec, exec, s[6:7]
	v_cmp_gt_u32_e32 vcc, 64, v0
	s_waitcnt lgkmcnt(0)
	s_barrier
	s_and_saveexec_b64 s[6:7], vcc
	s_cbranch_execz .LBB817_1173
; %bb.1172:
	v_mul_u32_u24_e32 v6, 40, v1
	ds_read2_b64 v[2:5], v6 offset1:1
	ds_read2_b64 v[6:9], v6 offset0:2 offset1:3
	s_mov_b32 s5, 0
	s_lshl_b32 s4, s4, 7
	s_lshl_b64 s[6:7], s[4:5], 1
	s_waitcnt lgkmcnt(1)
	v_lshlrev_b32_e32 v10, 16, v2
	v_and_b32_e32 v2, 0xffff0000, v2
	v_add_f32_e32 v2, 0, v2
	v_lshlrev_b32_e32 v11, 16, v3
	v_and_b32_e32 v3, 0xffff0000, v3
	v_and_b32_e32 v2, 0xffff0000, v2
	v_add_f32_e32 v11, 0, v11
	v_add_f32_e32 v3, 0, v3
	v_lshlrev_b32_e32 v12, 16, v4
	v_and_b32_e32 v4, 0xffff0000, v4
	v_add_f32_e32 v10, 0, v10
	v_and_b32_e32 v11, 0xffff0000, v11
	v_and_b32_e32 v3, 0xffff0000, v3
	v_add_f32_e32 v2, v2, v4
	v_lshlrev_b32_e32 v4, 16, v5
	v_and_b32_e32 v5, 0xffff0000, v5
	v_and_b32_e32 v10, 0xffff0000, v10
	;; [unrolled: 1-line block ×3, first 2 shown]
	v_add_f32_e32 v4, v11, v4
	v_add_f32_e32 v3, v3, v5
	s_waitcnt lgkmcnt(0)
	v_lshlrev_b32_e32 v5, 16, v6
	v_and_b32_e32 v6, 0xffff0000, v6
	v_add_f32_e32 v10, v10, v12
	v_and_b32_e32 v4, 0xffff0000, v4
	v_add_f32_e32 v2, v2, v6
	v_lshlrev_b32_e32 v6, 16, v7
	v_and_b32_e32 v10, 0xffff0000, v10
	v_and_b32_e32 v3, 0xffff0000, v3
	v_add_f32_e32 v4, v4, v6
	v_and_b32_e32 v6, 0xffff0000, v7
	v_add_f32_e32 v5, v10, v5
	v_add_f32_e32 v3, v3, v6
	v_and_b32_e32 v5, 0xffff0000, v5
	v_and_b32_e32 v6, 0xffff0000, v3
	v_lshlrev_b32_e32 v3, 16, v8
	v_and_b32_e32 v2, 0xffff0000, v2
	v_add_f32_e32 v10, v5, v3
	v_and_b32_e32 v3, 0xffff0000, v8
	v_and_b32_e32 v4, 0xffff0000, v4
	v_add_f32_e32 v11, v2, v3
	v_lshlrev_b32_e32 v2, 16, v9
	v_add_f32_e32 v12, v4, v2
	v_mov_b32_e32 v2, 0xa00
	v_mad_u32_u24 v2, v1, 40, v2
	ds_read2_b64 v[2:5], v2 offset1:1
	v_and_b32_e32 v7, 0xffff0000, v9
	v_add_f32_e32 v13, v6, v7
	v_mov_b32_e32 v6, 0xa10
	v_mad_u32_u24 v1, v1, 40, v6
	ds_read2_b64 v[6:9], v1 offset1:1
	s_waitcnt lgkmcnt(1)
	v_lshlrev_b32_e32 v1, 16, v2
	v_and_b32_e32 v2, 0xffff0000, v2
	v_add_f32_e32 v1, 0, v1
	v_add_f32_e32 v2, 0, v2
	v_lshlrev_b32_e32 v14, 16, v3
	v_and_b32_e32 v3, 0xffff0000, v3
	v_and_b32_e32 v1, 0xffff0000, v1
	;; [unrolled: 1-line block ×3, first 2 shown]
	v_add_f32_e32 v3, 0, v3
	v_lshlrev_b32_e32 v15, 16, v4
	v_and_b32_e32 v4, 0xffff0000, v4
	v_add_f32_e32 v14, 0, v14
	v_and_b32_e32 v3, 0xffff0000, v3
	v_add_f32_e32 v1, v1, v15
	v_add_f32_e32 v2, v2, v4
	v_lshlrev_b32_e32 v4, 16, v5
	v_and_b32_e32 v5, 0xffff0000, v5
	v_and_b32_e32 v14, 0xffff0000, v14
	;; [unrolled: 1-line block ×3, first 2 shown]
	v_add_f32_e32 v3, v3, v5
	s_waitcnt lgkmcnt(0)
	v_lshlrev_b32_e32 v5, 16, v6
	v_and_b32_e32 v2, 0xffff0000, v2
	v_add_f32_e32 v4, v14, v4
	v_add_f32_e32 v1, v1, v5
	v_and_b32_e32 v5, 0xffff0000, v6
	v_and_b32_e32 v4, 0xffff0000, v4
	v_add_f32_e32 v2, v2, v5
	v_lshlrev_b32_e32 v5, 16, v7
	s_add_u32 s6, s30, s6
	v_and_b32_e32 v3, 0xffff0000, v3
	v_add_f32_e32 v4, v4, v5
	v_and_b32_e32 v5, 0xffff0000, v7
	s_addc_u32 s7, s31, s7
	s_lshl_b32 s4, s28, 7
	v_and_b32_e32 v1, 0xffff0000, v1
	v_add_f32_e32 v3, v3, v5
	v_lshlrev_b32_e32 v5, 16, v8
	s_lshl_b64 s[4:5], s[4:5], 1
	v_and_b32_e32 v2, 0xffff0000, v2
	v_add_f32_e32 v14, v1, v5
	v_and_b32_e32 v1, 0xffff0000, v8
	s_add_u32 s4, s6, s4
	v_and_b32_e32 v4, 0xffff0000, v4
	v_add_f32_e32 v15, v2, v1
	v_lshlrev_b32_e32 v1, 16, v9
	s_addc_u32 s5, s7, s5
	s_lshl_b32 s6, s33, 7
	v_and_b32_e32 v3, 0xffff0000, v3
	v_add_f32_e32 v16, v4, v1
	v_and_b32_e32 v1, 0xffff0000, v9
	s_mul_i32 s7, s6, s24
	v_add_f32_e32 v17, v3, v1
	v_or_b32_e32 v2, s7, v0
	v_mov_b32_e32 v3, 0
	v_lshlrev_b64 v[4:5], 1, v[2:3]
	s_add_i32 s7, s7, s6
	v_mov_b32_e32 v1, s5
	v_add_co_u32_e32 v4, vcc, s4, v4
	v_or_b32_e32 v2, s7, v0
	v_addc_co_u32_e32 v5, vcc, v1, v5, vcc
	v_lshlrev_b64 v[6:7], 1, v[2:3]
	s_add_i32 s7, s7, s6
	v_add_co_u32_e32 v6, vcc, s4, v6
	v_or_b32_e32 v2, s7, v0
	v_addc_co_u32_e32 v7, vcc, v1, v7, vcc
	v_lshlrev_b64 v[8:9], 1, v[2:3]
	s_add_i32 s7, s7, s6
	v_add_co_u32_e32 v8, vcc, s4, v8
	v_or_b32_e32 v2, s7, v0
	v_addc_co_u32_e32 v9, vcc, v1, v9, vcc
	v_lshlrev_b64 v[0:1], 1, v[2:3]
	v_mov_b32_e32 v2, s5
	v_add_co_u32_e32 v0, vcc, s4, v0
	v_addc_co_u32_e32 v1, vcc, v2, v1, vcc
	global_store_short_d16_hi v[4:5], v10, off
	global_store_short_d16_hi v[6:7], v11, off
	;; [unrolled: 1-line block ×4, first 2 shown]
	global_store_short_d16_hi v[4:5], v14, off offset:128
	global_store_short_d16_hi v[6:7], v15, off offset:128
	;; [unrolled: 1-line block ×4, first 2 shown]
.LBB817_1173:
	s_endpgm
	.section	.rodata,"a",@progbits
	.p2align	6, 0x0
	.amdhsa_kernel _Z38paged_attention_ll4mi_QKV_mfma4_kernelI14__hip_bfloat16hLN4vllm18Fp8KVCacheDataTypeE1ES0_Li32ELi128ELi256ELb0ELi4EEvPKT_PKT0_S8_ifPKiSA_SA_iPKfiiiPfSD_PS3_PT2_iSC_SC_
		.amdhsa_group_segment_fixed_size 5280
		.amdhsa_private_segment_fixed_size 144
		.amdhsa_kernarg_size 400
		.amdhsa_user_sgpr_count 8
		.amdhsa_user_sgpr_private_segment_buffer 1
		.amdhsa_user_sgpr_dispatch_ptr 0
		.amdhsa_user_sgpr_queue_ptr 0
		.amdhsa_user_sgpr_kernarg_segment_ptr 1
		.amdhsa_user_sgpr_dispatch_id 0
		.amdhsa_user_sgpr_flat_scratch_init 1
		.amdhsa_user_sgpr_kernarg_preload_length 0
		.amdhsa_user_sgpr_kernarg_preload_offset 0
		.amdhsa_user_sgpr_private_segment_size 0
		.amdhsa_uses_dynamic_stack 0
		.amdhsa_system_sgpr_private_segment_wavefront_offset 1
		.amdhsa_system_sgpr_workgroup_id_x 1
		.amdhsa_system_sgpr_workgroup_id_y 1
		.amdhsa_system_sgpr_workgroup_id_z 1
		.amdhsa_system_sgpr_workgroup_info 0
		.amdhsa_system_vgpr_workitem_id 0
		.amdhsa_next_free_vgpr 72
		.amdhsa_next_free_sgpr 46
		.amdhsa_accum_offset 68
		.amdhsa_reserve_vcc 1
		.amdhsa_reserve_flat_scratch 0
		.amdhsa_float_round_mode_32 0
		.amdhsa_float_round_mode_16_64 0
		.amdhsa_float_denorm_mode_32 3
		.amdhsa_float_denorm_mode_16_64 3
		.amdhsa_dx10_clamp 1
		.amdhsa_ieee_mode 1
		.amdhsa_fp16_overflow 0
		.amdhsa_tg_split 0
		.amdhsa_exception_fp_ieee_invalid_op 0
		.amdhsa_exception_fp_denorm_src 0
		.amdhsa_exception_fp_ieee_div_zero 0
		.amdhsa_exception_fp_ieee_overflow 0
		.amdhsa_exception_fp_ieee_underflow 0
		.amdhsa_exception_fp_ieee_inexact 0
		.amdhsa_exception_int_div_zero 0
	.end_amdhsa_kernel
	.section	.text._Z38paged_attention_ll4mi_QKV_mfma4_kernelI14__hip_bfloat16hLN4vllm18Fp8KVCacheDataTypeE1ES0_Li32ELi128ELi256ELb0ELi4EEvPKT_PKT0_S8_ifPKiSA_SA_iPKfiiiPfSD_PS3_PT2_iSC_SC_,"axG",@progbits,_Z38paged_attention_ll4mi_QKV_mfma4_kernelI14__hip_bfloat16hLN4vllm18Fp8KVCacheDataTypeE1ES0_Li32ELi128ELi256ELb0ELi4EEvPKT_PKT0_S8_ifPKiSA_SA_iPKfiiiPfSD_PS3_PT2_iSC_SC_,comdat
.Lfunc_end817:
	.size	_Z38paged_attention_ll4mi_QKV_mfma4_kernelI14__hip_bfloat16hLN4vllm18Fp8KVCacheDataTypeE1ES0_Li32ELi128ELi256ELb0ELi4EEvPKT_PKT0_S8_ifPKiSA_SA_iPKfiiiPfSD_PS3_PT2_iSC_SC_, .Lfunc_end817-_Z38paged_attention_ll4mi_QKV_mfma4_kernelI14__hip_bfloat16hLN4vllm18Fp8KVCacheDataTypeE1ES0_Li32ELi128ELi256ELb0ELi4EEvPKT_PKT0_S8_ifPKiSA_SA_iPKfiiiPfSD_PS3_PT2_iSC_SC_
                                        ; -- End function
	.section	.AMDGPU.csdata,"",@progbits
; Kernel info:
; codeLenInByte = 39836
; NumSgprs: 50
; NumVgprs: 66
; NumAgprs: 4
; TotalNumVgprs: 72
; ScratchSize: 144
; MemoryBound: 0
; FloatMode: 240
; IeeeMode: 1
; LDSByteSize: 5280 bytes/workgroup (compile time only)
; SGPRBlocks: 6
; VGPRBlocks: 8
; NumSGPRsForWavesPerEU: 50
; NumVGPRsForWavesPerEU: 72
; AccumOffset: 68
; Occupancy: 7
; WaveLimiterHint : 1
; COMPUTE_PGM_RSRC2:SCRATCH_EN: 1
; COMPUTE_PGM_RSRC2:USER_SGPR: 8
; COMPUTE_PGM_RSRC2:TRAP_HANDLER: 0
; COMPUTE_PGM_RSRC2:TGID_X_EN: 1
; COMPUTE_PGM_RSRC2:TGID_Y_EN: 1
; COMPUTE_PGM_RSRC2:TGID_Z_EN: 1
; COMPUTE_PGM_RSRC2:TIDIG_COMP_CNT: 0
; COMPUTE_PGM_RSRC3_GFX90A:ACCUM_OFFSET: 16
; COMPUTE_PGM_RSRC3_GFX90A:TG_SPLIT: 0
	.section	.text._Z39paged_attention_ll4mi_QKV_mfma16_kernelI14__hip_bfloat16hLN4vllm18Fp8KVCacheDataTypeE1ES0_Li32ELi128ELi256ELb0ELi5EL8MFMAType1EEvPKT_PKT0_S9_ifPKiSB_SB_iPKfiiiPfSE_PS4_PT2_iSD_SD_,"axG",@progbits,_Z39paged_attention_ll4mi_QKV_mfma16_kernelI14__hip_bfloat16hLN4vllm18Fp8KVCacheDataTypeE1ES0_Li32ELi128ELi256ELb0ELi5EL8MFMAType1EEvPKT_PKT0_S9_ifPKiSB_SB_iPKfiiiPfSE_PS4_PT2_iSD_SD_,comdat
	.protected	_Z39paged_attention_ll4mi_QKV_mfma16_kernelI14__hip_bfloat16hLN4vllm18Fp8KVCacheDataTypeE1ES0_Li32ELi128ELi256ELb0ELi5EL8MFMAType1EEvPKT_PKT0_S9_ifPKiSB_SB_iPKfiiiPfSE_PS4_PT2_iSD_SD_ ; -- Begin function _Z39paged_attention_ll4mi_QKV_mfma16_kernelI14__hip_bfloat16hLN4vllm18Fp8KVCacheDataTypeE1ES0_Li32ELi128ELi256ELb0ELi5EL8MFMAType1EEvPKT_PKT0_S9_ifPKiSB_SB_iPKfiiiPfSE_PS4_PT2_iSD_SD_
	.globl	_Z39paged_attention_ll4mi_QKV_mfma16_kernelI14__hip_bfloat16hLN4vllm18Fp8KVCacheDataTypeE1ES0_Li32ELi128ELi256ELb0ELi5EL8MFMAType1EEvPKT_PKT0_S9_ifPKiSB_SB_iPKfiiiPfSE_PS4_PT2_iSD_SD_
	.p2align	8
	.type	_Z39paged_attention_ll4mi_QKV_mfma16_kernelI14__hip_bfloat16hLN4vllm18Fp8KVCacheDataTypeE1ES0_Li32ELi128ELi256ELb0ELi5EL8MFMAType1EEvPKT_PKT0_S9_ifPKiSB_SB_iPKfiiiPfSE_PS4_PT2_iSD_SD_,@function
_Z39paged_attention_ll4mi_QKV_mfma16_kernelI14__hip_bfloat16hLN4vllm18Fp8KVCacheDataTypeE1ES0_Li32ELi128ELi256ELb0ELi5EL8MFMAType1EEvPKT_PKT0_S9_ifPKiSB_SB_iPKfiiiPfSE_PS4_PT2_iSD_SD_: ; @_Z39paged_attention_ll4mi_QKV_mfma16_kernelI14__hip_bfloat16hLN4vllm18Fp8KVCacheDataTypeE1ES0_Li32ELi128ELi256ELb0ELi5EL8MFMAType1EEvPKT_PKT0_S9_ifPKiSB_SB_iPKfiiiPfSE_PS4_PT2_iSD_SD_
; %bb.0:
	s_load_dwordx2 s[12:13], s[4:5], 0x30
	s_add_u32 flat_scratch_lo, s6, s11
	s_addc_u32 flat_scratch_hi, s7, 0
	s_add_u32 s0, s0, s11
	s_addc_u32 s1, s1, 0
	s_waitcnt lgkmcnt(0)
	s_cmp_lg_u64 s[12:13], 0
	s_cselect_b64 s[14:15], -1, 0
	s_mov_b32 s6, s9
	s_mov_b64 s[16:17], 0
	s_and_b64 vcc, exec, s[14:15]
	s_mov_b32 s32, 0
	s_cbranch_vccz .LBB818_11
; %bb.1:
	s_add_i32 s18, s8, 1
	s_mov_b32 s19, 0
	s_lshl_b64 s[20:21], s[18:19], 2
	s_add_u32 s20, s12, s20
	s_mov_b32 s9, s19
	s_addc_u32 s21, s13, s21
	s_lshl_b64 s[18:19], s[8:9], 2
	s_add_u32 s18, s12, s18
	s_addc_u32 s19, s13, s19
	s_load_dword s7, s[20:21], 0x0
	s_load_dword s11, s[18:19], 0x0
	s_waitcnt lgkmcnt(0)
	s_sub_i32 s7, s7, s11
	s_cmp_eq_u32 s7, 1
	s_cselect_b64 s[18:19], -1, 0
	s_andn2_b64 vcc, exec, s[16:17]
	s_cbranch_vccnz .LBB818_3
.LBB818_2:
	s_mov_b32 s9, 0
	s_mov_b64 s[18:19], -1
.LBB818_3:
	s_andn2_b64 vcc, exec, s[18:19]
	s_cbranch_vccnz .LBB818_10
; %bb.4:
	s_load_dwordx2 s[18:19], s[4:5], 0x28
	s_lshl_b64 s[16:17], s[8:9], 2
	s_waitcnt lgkmcnt(0)
	s_add_u32 s18, s18, s16
	s_addc_u32 s19, s19, s17
	s_load_dword s7, s[18:19], 0x0
	s_lshl_b32 s6, s6, 8
	s_waitcnt lgkmcnt(0)
	s_cmp_ge_i32 s6, s7
	s_cbranch_scc1 .LBB818_10
; %bb.5:
	s_andn2_b64 vcc, exec, s[14:15]
	s_cbranch_vccnz .LBB818_7
; %bb.6:
	s_add_u32 s6, s12, s16
	s_addc_u32 s7, s13, s17
	s_load_dword s8, s[6:7], 0x0
.LBB818_7:
	s_movk_i32 s6, 0x50
	v_cmp_gt_u32_e32 vcc, s6, v0
	s_and_saveexec_b64 s[6:7], vcc
	s_cbranch_execz .LBB818_9
; %bb.8:
	s_load_dword s11, s[4:5], 0x48
	s_load_dwordx2 s[12:13], s[4:5], 0x0
	v_lshrrev_b32_e32 v1, 4, v0
	s_mul_i32 s10, s10, 5
	v_add_lshl_u32 v2, v1, s10, 7
	s_waitcnt lgkmcnt(0)
	s_ashr_i32 s9, s11, 31
	s_mul_hi_u32 s14, s8, s11
	s_mul_i32 s9, s8, s9
	s_add_i32 s9, s14, s9
	s_mul_i32 s8, s8, s11
	s_lshl_b64 s[8:9], s[8:9], 1
	s_add_u32 s8, s12, s8
	v_ashrrev_i32_e32 v3, 31, v2
	s_addc_u32 s9, s13, s9
	v_lshlrev_b64 v[2:3], 1, v[2:3]
	v_and_b32_e32 v4, 15, v0
	v_mov_b32_e32 v5, s9
	v_add_co_u32_e32 v2, vcc, s8, v2
	v_addc_co_u32_e32 v3, vcc, v5, v3, vcc
	v_lshlrev_b32_e32 v4, 4, v4
	v_add_co_u32_e32 v2, vcc, v2, v4
	v_addc_co_u32_e32 v3, vcc, 0, v3, vcc
	global_load_dwordx4 v[2:5], v[2:3], off
	v_lshlrev_b32_e32 v6, 4, v0
	v_lshlrev_b32_e32 v0, 8, v0
	v_and_b32_e32 v6, 16, v6
	v_lshlrev_b32_e32 v1, 5, v1
	v_and_b32_e32 v0, 0xe00, v0
	v_or3_b32 v0, v0, v1, v6
	s_waitcnt vmcnt(0)
	ds_write_b128 v0, v[2:5]
.LBB818_9:
	s_or_b64 exec, exec, s[6:7]
	s_waitcnt lgkmcnt(0)
	s_add_u32 s8, s4, 0x90
	s_addc_u32 s9, s5, 0
	s_getpc_b64 s[4:5]
	s_add_u32 s4, s4, __PRETTY_FUNCTION__._Z39paged_attention_ll4mi_QKV_mfma16_kernelI14__hip_bfloat16hLN4vllm18Fp8KVCacheDataTypeE1ES0_Li32ELi128ELi256ELb0ELi5EL8MFMAType1EEvPKT_PKT0_S9_ifPKiSB_SB_iPKfiiiPfSE_PS4_PT2_iSD_SD_@rel32@lo+4
	s_addc_u32 s5, s5, __PRETTY_FUNCTION__._Z39paged_attention_ll4mi_QKV_mfma16_kernelI14__hip_bfloat16hLN4vllm18Fp8KVCacheDataTypeE1ES0_Li32ELi128ELi256ELb0ELi5EL8MFMAType1EEvPKT_PKT0_S9_ifPKiSB_SB_iPKfiiiPfSE_PS4_PT2_iSD_SD_@rel32@hi+12
	v_mov_b32_e32 v0, 0x288
	v_mov_b32_e32 v1, s4
	;; [unrolled: 1-line block ×3, first 2 shown]
	s_barrier
	s_getpc_b64 s[6:7]
	s_add_u32 s6, s6, __assert_fail@rel32@lo+4
	s_addc_u32 s7, s7, __assert_fail@rel32@hi+12
	s_swappc_b64 s[30:31], s[6:7]
	; divergent unreachable
.LBB818_10:
	s_endpgm
.LBB818_11:
	s_mov_b64 s[18:19], 0
	s_branch .LBB818_2
	.section	.rodata,"a",@progbits
	.p2align	6, 0x0
	.amdhsa_kernel _Z39paged_attention_ll4mi_QKV_mfma16_kernelI14__hip_bfloat16hLN4vllm18Fp8KVCacheDataTypeE1ES0_Li32ELi128ELi256ELb0ELi5EL8MFMAType1EEvPKT_PKT0_S9_ifPKiSB_SB_iPKfiiiPfSE_PS4_PT2_iSD_SD_
		.amdhsa_group_segment_fixed_size 8192
		.amdhsa_private_segment_fixed_size 64
		.amdhsa_kernarg_size 400
		.amdhsa_user_sgpr_count 8
		.amdhsa_user_sgpr_private_segment_buffer 1
		.amdhsa_user_sgpr_dispatch_ptr 0
		.amdhsa_user_sgpr_queue_ptr 0
		.amdhsa_user_sgpr_kernarg_segment_ptr 1
		.amdhsa_user_sgpr_dispatch_id 0
		.amdhsa_user_sgpr_flat_scratch_init 1
		.amdhsa_user_sgpr_kernarg_preload_length 0
		.amdhsa_user_sgpr_kernarg_preload_offset 0
		.amdhsa_user_sgpr_private_segment_size 0
		.amdhsa_uses_dynamic_stack 0
		.amdhsa_system_sgpr_private_segment_wavefront_offset 1
		.amdhsa_system_sgpr_workgroup_id_x 1
		.amdhsa_system_sgpr_workgroup_id_y 1
		.amdhsa_system_sgpr_workgroup_id_z 1
		.amdhsa_system_sgpr_workgroup_info 0
		.amdhsa_system_vgpr_workitem_id 0
		.amdhsa_next_free_vgpr 45
		.amdhsa_next_free_sgpr 34
		.amdhsa_accum_offset 44
		.amdhsa_reserve_vcc 1
		.amdhsa_reserve_flat_scratch 1
		.amdhsa_float_round_mode_32 0
		.amdhsa_float_round_mode_16_64 0
		.amdhsa_float_denorm_mode_32 3
		.amdhsa_float_denorm_mode_16_64 3
		.amdhsa_dx10_clamp 1
		.amdhsa_ieee_mode 1
		.amdhsa_fp16_overflow 0
		.amdhsa_tg_split 0
		.amdhsa_exception_fp_ieee_invalid_op 0
		.amdhsa_exception_fp_denorm_src 0
		.amdhsa_exception_fp_ieee_div_zero 0
		.amdhsa_exception_fp_ieee_overflow 0
		.amdhsa_exception_fp_ieee_underflow 0
		.amdhsa_exception_fp_ieee_inexact 0
		.amdhsa_exception_int_div_zero 0
	.end_amdhsa_kernel
	.section	.text._Z39paged_attention_ll4mi_QKV_mfma16_kernelI14__hip_bfloat16hLN4vllm18Fp8KVCacheDataTypeE1ES0_Li32ELi128ELi256ELb0ELi5EL8MFMAType1EEvPKT_PKT0_S9_ifPKiSB_SB_iPKfiiiPfSE_PS4_PT2_iSD_SD_,"axG",@progbits,_Z39paged_attention_ll4mi_QKV_mfma16_kernelI14__hip_bfloat16hLN4vllm18Fp8KVCacheDataTypeE1ES0_Li32ELi128ELi256ELb0ELi5EL8MFMAType1EEvPKT_PKT0_S9_ifPKiSB_SB_iPKfiiiPfSE_PS4_PT2_iSD_SD_,comdat
.Lfunc_end818:
	.size	_Z39paged_attention_ll4mi_QKV_mfma16_kernelI14__hip_bfloat16hLN4vllm18Fp8KVCacheDataTypeE1ES0_Li32ELi128ELi256ELb0ELi5EL8MFMAType1EEvPKT_PKT0_S9_ifPKiSB_SB_iPKfiiiPfSE_PS4_PT2_iSD_SD_, .Lfunc_end818-_Z39paged_attention_ll4mi_QKV_mfma16_kernelI14__hip_bfloat16hLN4vllm18Fp8KVCacheDataTypeE1ES0_Li32ELi128ELi256ELb0ELi5EL8MFMAType1EEvPKT_PKT0_S9_ifPKiSB_SB_iPKfiiiPfSE_PS4_PT2_iSD_SD_
                                        ; -- End function
	.section	.AMDGPU.csdata,"",@progbits
; Kernel info:
; codeLenInByte = 492
; NumSgprs: 40
; NumVgprs: 42
; NumAgprs: 1
; TotalNumVgprs: 45
; ScratchSize: 64
; MemoryBound: 0
; FloatMode: 240
; IeeeMode: 1
; LDSByteSize: 8192 bytes/workgroup (compile time only)
; SGPRBlocks: 4
; VGPRBlocks: 5
; NumSGPRsForWavesPerEU: 40
; NumVGPRsForWavesPerEU: 45
; AccumOffset: 44
; Occupancy: 8
; WaveLimiterHint : 1
; COMPUTE_PGM_RSRC2:SCRATCH_EN: 1
; COMPUTE_PGM_RSRC2:USER_SGPR: 8
; COMPUTE_PGM_RSRC2:TRAP_HANDLER: 0
; COMPUTE_PGM_RSRC2:TGID_X_EN: 1
; COMPUTE_PGM_RSRC2:TGID_Y_EN: 1
; COMPUTE_PGM_RSRC2:TGID_Z_EN: 1
; COMPUTE_PGM_RSRC2:TIDIG_COMP_CNT: 0
; COMPUTE_PGM_RSRC3_GFX90A:ACCUM_OFFSET: 10
; COMPUTE_PGM_RSRC3_GFX90A:TG_SPLIT: 0
	.section	.text._Z39paged_attention_ll4mi_QKV_mfma16_kernelI14__hip_bfloat16hLN4vllm18Fp8KVCacheDataTypeE1ES0_Li32ELi128ELi256ELb0ELi6EL8MFMAType1EEvPKT_PKT0_S9_ifPKiSB_SB_iPKfiiiPfSE_PS4_PT2_iSD_SD_,"axG",@progbits,_Z39paged_attention_ll4mi_QKV_mfma16_kernelI14__hip_bfloat16hLN4vllm18Fp8KVCacheDataTypeE1ES0_Li32ELi128ELi256ELb0ELi6EL8MFMAType1EEvPKT_PKT0_S9_ifPKiSB_SB_iPKfiiiPfSE_PS4_PT2_iSD_SD_,comdat
	.protected	_Z39paged_attention_ll4mi_QKV_mfma16_kernelI14__hip_bfloat16hLN4vllm18Fp8KVCacheDataTypeE1ES0_Li32ELi128ELi256ELb0ELi6EL8MFMAType1EEvPKT_PKT0_S9_ifPKiSB_SB_iPKfiiiPfSE_PS4_PT2_iSD_SD_ ; -- Begin function _Z39paged_attention_ll4mi_QKV_mfma16_kernelI14__hip_bfloat16hLN4vllm18Fp8KVCacheDataTypeE1ES0_Li32ELi128ELi256ELb0ELi6EL8MFMAType1EEvPKT_PKT0_S9_ifPKiSB_SB_iPKfiiiPfSE_PS4_PT2_iSD_SD_
	.globl	_Z39paged_attention_ll4mi_QKV_mfma16_kernelI14__hip_bfloat16hLN4vllm18Fp8KVCacheDataTypeE1ES0_Li32ELi128ELi256ELb0ELi6EL8MFMAType1EEvPKT_PKT0_S9_ifPKiSB_SB_iPKfiiiPfSE_PS4_PT2_iSD_SD_
	.p2align	8
	.type	_Z39paged_attention_ll4mi_QKV_mfma16_kernelI14__hip_bfloat16hLN4vllm18Fp8KVCacheDataTypeE1ES0_Li32ELi128ELi256ELb0ELi6EL8MFMAType1EEvPKT_PKT0_S9_ifPKiSB_SB_iPKfiiiPfSE_PS4_PT2_iSD_SD_,@function
_Z39paged_attention_ll4mi_QKV_mfma16_kernelI14__hip_bfloat16hLN4vllm18Fp8KVCacheDataTypeE1ES0_Li32ELi128ELi256ELb0ELi6EL8MFMAType1EEvPKT_PKT0_S9_ifPKiSB_SB_iPKfiiiPfSE_PS4_PT2_iSD_SD_: ; @_Z39paged_attention_ll4mi_QKV_mfma16_kernelI14__hip_bfloat16hLN4vllm18Fp8KVCacheDataTypeE1ES0_Li32ELi128ELi256ELb0ELi6EL8MFMAType1EEvPKT_PKT0_S9_ifPKiSB_SB_iPKfiiiPfSE_PS4_PT2_iSD_SD_
; %bb.0:
	s_load_dwordx2 s[12:13], s[4:5], 0x30
	s_add_u32 flat_scratch_lo, s6, s11
	s_addc_u32 flat_scratch_hi, s7, 0
	s_add_u32 s0, s0, s11
	s_addc_u32 s1, s1, 0
	s_waitcnt lgkmcnt(0)
	s_cmp_lg_u64 s[12:13], 0
	s_cselect_b64 s[14:15], -1, 0
	s_mov_b32 s6, s9
	s_mov_b64 s[16:17], 0
	s_and_b64 vcc, exec, s[14:15]
	s_mov_b32 s32, 0
	s_cbranch_vccz .LBB819_11
; %bb.1:
	s_add_i32 s18, s8, 1
	s_mov_b32 s19, 0
	s_lshl_b64 s[20:21], s[18:19], 2
	s_add_u32 s20, s12, s20
	s_mov_b32 s9, s19
	s_addc_u32 s21, s13, s21
	s_lshl_b64 s[18:19], s[8:9], 2
	s_add_u32 s18, s12, s18
	s_addc_u32 s19, s13, s19
	s_load_dword s7, s[20:21], 0x0
	s_load_dword s11, s[18:19], 0x0
	s_waitcnt lgkmcnt(0)
	s_sub_i32 s7, s7, s11
	s_cmp_eq_u32 s7, 1
	s_cselect_b64 s[18:19], -1, 0
	s_andn2_b64 vcc, exec, s[16:17]
	s_cbranch_vccnz .LBB819_3
.LBB819_2:
	s_mov_b32 s9, 0
	s_mov_b64 s[18:19], -1
.LBB819_3:
	s_andn2_b64 vcc, exec, s[18:19]
	s_cbranch_vccnz .LBB819_10
; %bb.4:
	s_load_dwordx2 s[18:19], s[4:5], 0x28
	s_lshl_b64 s[16:17], s[8:9], 2
	s_waitcnt lgkmcnt(0)
	s_add_u32 s18, s18, s16
	s_addc_u32 s19, s19, s17
	s_load_dword s7, s[18:19], 0x0
	s_lshl_b32 s6, s6, 8
	s_waitcnt lgkmcnt(0)
	s_cmp_ge_i32 s6, s7
	s_cbranch_scc1 .LBB819_10
; %bb.5:
	s_andn2_b64 vcc, exec, s[14:15]
	s_cbranch_vccnz .LBB819_7
; %bb.6:
	s_add_u32 s6, s12, s16
	s_addc_u32 s7, s13, s17
	s_load_dword s8, s[6:7], 0x0
.LBB819_7:
	s_movk_i32 s6, 0x60
	v_cmp_gt_u32_e32 vcc, s6, v0
	s_and_saveexec_b64 s[6:7], vcc
	s_cbranch_execz .LBB819_9
; %bb.8:
	s_load_dword s11, s[4:5], 0x48
	s_load_dwordx2 s[12:13], s[4:5], 0x0
	v_lshrrev_b32_e32 v1, 4, v0
	s_mul_i32 s10, s10, 6
	v_add_lshl_u32 v2, v1, s10, 7
	s_waitcnt lgkmcnt(0)
	s_ashr_i32 s9, s11, 31
	s_mul_hi_u32 s14, s8, s11
	s_mul_i32 s9, s8, s9
	s_add_i32 s9, s14, s9
	s_mul_i32 s8, s8, s11
	s_lshl_b64 s[8:9], s[8:9], 1
	s_add_u32 s8, s12, s8
	v_ashrrev_i32_e32 v3, 31, v2
	s_addc_u32 s9, s13, s9
	v_lshlrev_b64 v[2:3], 1, v[2:3]
	v_and_b32_e32 v4, 15, v0
	v_mov_b32_e32 v5, s9
	v_add_co_u32_e32 v2, vcc, s8, v2
	v_addc_co_u32_e32 v3, vcc, v5, v3, vcc
	v_lshlrev_b32_e32 v4, 4, v4
	v_add_co_u32_e32 v2, vcc, v2, v4
	v_addc_co_u32_e32 v3, vcc, 0, v3, vcc
	global_load_dwordx4 v[2:5], v[2:3], off
	v_lshlrev_b32_e32 v6, 4, v0
	v_lshlrev_b32_e32 v0, 8, v0
	v_and_b32_e32 v6, 16, v6
	v_lshlrev_b32_e32 v1, 5, v1
	v_and_b32_e32 v0, 0xe00, v0
	v_or3_b32 v0, v0, v1, v6
	s_waitcnt vmcnt(0)
	ds_write_b128 v0, v[2:5]
.LBB819_9:
	s_or_b64 exec, exec, s[6:7]
	s_waitcnt lgkmcnt(0)
	s_add_u32 s8, s4, 0x90
	s_addc_u32 s9, s5, 0
	s_getpc_b64 s[4:5]
	s_add_u32 s4, s4, __PRETTY_FUNCTION__._Z39paged_attention_ll4mi_QKV_mfma16_kernelI14__hip_bfloat16hLN4vllm18Fp8KVCacheDataTypeE1ES0_Li32ELi128ELi256ELb0ELi6EL8MFMAType1EEvPKT_PKT0_S9_ifPKiSB_SB_iPKfiiiPfSE_PS4_PT2_iSD_SD_@rel32@lo+4
	s_addc_u32 s5, s5, __PRETTY_FUNCTION__._Z39paged_attention_ll4mi_QKV_mfma16_kernelI14__hip_bfloat16hLN4vllm18Fp8KVCacheDataTypeE1ES0_Li32ELi128ELi256ELb0ELi6EL8MFMAType1EEvPKT_PKT0_S9_ifPKiSB_SB_iPKfiiiPfSE_PS4_PT2_iSD_SD_@rel32@hi+12
	v_mov_b32_e32 v0, 0x288
	v_mov_b32_e32 v1, s4
	;; [unrolled: 1-line block ×3, first 2 shown]
	s_barrier
	s_getpc_b64 s[6:7]
	s_add_u32 s6, s6, __assert_fail@rel32@lo+4
	s_addc_u32 s7, s7, __assert_fail@rel32@hi+12
	s_swappc_b64 s[30:31], s[6:7]
	; divergent unreachable
.LBB819_10:
	s_endpgm
.LBB819_11:
	s_mov_b64 s[18:19], 0
	s_branch .LBB819_2
	.section	.rodata,"a",@progbits
	.p2align	6, 0x0
	.amdhsa_kernel _Z39paged_attention_ll4mi_QKV_mfma16_kernelI14__hip_bfloat16hLN4vllm18Fp8KVCacheDataTypeE1ES0_Li32ELi128ELi256ELb0ELi6EL8MFMAType1EEvPKT_PKT0_S9_ifPKiSB_SB_iPKfiiiPfSE_PS4_PT2_iSD_SD_
		.amdhsa_group_segment_fixed_size 8192
		.amdhsa_private_segment_fixed_size 64
		.amdhsa_kernarg_size 400
		.amdhsa_user_sgpr_count 8
		.amdhsa_user_sgpr_private_segment_buffer 1
		.amdhsa_user_sgpr_dispatch_ptr 0
		.amdhsa_user_sgpr_queue_ptr 0
		.amdhsa_user_sgpr_kernarg_segment_ptr 1
		.amdhsa_user_sgpr_dispatch_id 0
		.amdhsa_user_sgpr_flat_scratch_init 1
		.amdhsa_user_sgpr_kernarg_preload_length 0
		.amdhsa_user_sgpr_kernarg_preload_offset 0
		.amdhsa_user_sgpr_private_segment_size 0
		.amdhsa_uses_dynamic_stack 0
		.amdhsa_system_sgpr_private_segment_wavefront_offset 1
		.amdhsa_system_sgpr_workgroup_id_x 1
		.amdhsa_system_sgpr_workgroup_id_y 1
		.amdhsa_system_sgpr_workgroup_id_z 1
		.amdhsa_system_sgpr_workgroup_info 0
		.amdhsa_system_vgpr_workitem_id 0
		.amdhsa_next_free_vgpr 45
		.amdhsa_next_free_sgpr 34
		.amdhsa_accum_offset 44
		.amdhsa_reserve_vcc 1
		.amdhsa_reserve_flat_scratch 1
		.amdhsa_float_round_mode_32 0
		.amdhsa_float_round_mode_16_64 0
		.amdhsa_float_denorm_mode_32 3
		.amdhsa_float_denorm_mode_16_64 3
		.amdhsa_dx10_clamp 1
		.amdhsa_ieee_mode 1
		.amdhsa_fp16_overflow 0
		.amdhsa_tg_split 0
		.amdhsa_exception_fp_ieee_invalid_op 0
		.amdhsa_exception_fp_denorm_src 0
		.amdhsa_exception_fp_ieee_div_zero 0
		.amdhsa_exception_fp_ieee_overflow 0
		.amdhsa_exception_fp_ieee_underflow 0
		.amdhsa_exception_fp_ieee_inexact 0
		.amdhsa_exception_int_div_zero 0
	.end_amdhsa_kernel
	.section	.text._Z39paged_attention_ll4mi_QKV_mfma16_kernelI14__hip_bfloat16hLN4vllm18Fp8KVCacheDataTypeE1ES0_Li32ELi128ELi256ELb0ELi6EL8MFMAType1EEvPKT_PKT0_S9_ifPKiSB_SB_iPKfiiiPfSE_PS4_PT2_iSD_SD_,"axG",@progbits,_Z39paged_attention_ll4mi_QKV_mfma16_kernelI14__hip_bfloat16hLN4vllm18Fp8KVCacheDataTypeE1ES0_Li32ELi128ELi256ELb0ELi6EL8MFMAType1EEvPKT_PKT0_S9_ifPKiSB_SB_iPKfiiiPfSE_PS4_PT2_iSD_SD_,comdat
.Lfunc_end819:
	.size	_Z39paged_attention_ll4mi_QKV_mfma16_kernelI14__hip_bfloat16hLN4vllm18Fp8KVCacheDataTypeE1ES0_Li32ELi128ELi256ELb0ELi6EL8MFMAType1EEvPKT_PKT0_S9_ifPKiSB_SB_iPKfiiiPfSE_PS4_PT2_iSD_SD_, .Lfunc_end819-_Z39paged_attention_ll4mi_QKV_mfma16_kernelI14__hip_bfloat16hLN4vllm18Fp8KVCacheDataTypeE1ES0_Li32ELi128ELi256ELb0ELi6EL8MFMAType1EEvPKT_PKT0_S9_ifPKiSB_SB_iPKfiiiPfSE_PS4_PT2_iSD_SD_
                                        ; -- End function
	.section	.AMDGPU.csdata,"",@progbits
; Kernel info:
; codeLenInByte = 492
; NumSgprs: 40
; NumVgprs: 42
; NumAgprs: 1
; TotalNumVgprs: 45
; ScratchSize: 64
; MemoryBound: 0
; FloatMode: 240
; IeeeMode: 1
; LDSByteSize: 8192 bytes/workgroup (compile time only)
; SGPRBlocks: 4
; VGPRBlocks: 5
; NumSGPRsForWavesPerEU: 40
; NumVGPRsForWavesPerEU: 45
; AccumOffset: 44
; Occupancy: 8
; WaveLimiterHint : 1
; COMPUTE_PGM_RSRC2:SCRATCH_EN: 1
; COMPUTE_PGM_RSRC2:USER_SGPR: 8
; COMPUTE_PGM_RSRC2:TRAP_HANDLER: 0
; COMPUTE_PGM_RSRC2:TGID_X_EN: 1
; COMPUTE_PGM_RSRC2:TGID_Y_EN: 1
; COMPUTE_PGM_RSRC2:TGID_Z_EN: 1
; COMPUTE_PGM_RSRC2:TIDIG_COMP_CNT: 0
; COMPUTE_PGM_RSRC3_GFX90A:ACCUM_OFFSET: 10
; COMPUTE_PGM_RSRC3_GFX90A:TG_SPLIT: 0
	.section	.text._Z39paged_attention_ll4mi_QKV_mfma16_kernelI14__hip_bfloat16hLN4vllm18Fp8KVCacheDataTypeE1ES0_Li32ELi128ELi256ELb0ELi7EL8MFMAType1EEvPKT_PKT0_S9_ifPKiSB_SB_iPKfiiiPfSE_PS4_PT2_iSD_SD_,"axG",@progbits,_Z39paged_attention_ll4mi_QKV_mfma16_kernelI14__hip_bfloat16hLN4vllm18Fp8KVCacheDataTypeE1ES0_Li32ELi128ELi256ELb0ELi7EL8MFMAType1EEvPKT_PKT0_S9_ifPKiSB_SB_iPKfiiiPfSE_PS4_PT2_iSD_SD_,comdat
	.protected	_Z39paged_attention_ll4mi_QKV_mfma16_kernelI14__hip_bfloat16hLN4vllm18Fp8KVCacheDataTypeE1ES0_Li32ELi128ELi256ELb0ELi7EL8MFMAType1EEvPKT_PKT0_S9_ifPKiSB_SB_iPKfiiiPfSE_PS4_PT2_iSD_SD_ ; -- Begin function _Z39paged_attention_ll4mi_QKV_mfma16_kernelI14__hip_bfloat16hLN4vllm18Fp8KVCacheDataTypeE1ES0_Li32ELi128ELi256ELb0ELi7EL8MFMAType1EEvPKT_PKT0_S9_ifPKiSB_SB_iPKfiiiPfSE_PS4_PT2_iSD_SD_
	.globl	_Z39paged_attention_ll4mi_QKV_mfma16_kernelI14__hip_bfloat16hLN4vllm18Fp8KVCacheDataTypeE1ES0_Li32ELi128ELi256ELb0ELi7EL8MFMAType1EEvPKT_PKT0_S9_ifPKiSB_SB_iPKfiiiPfSE_PS4_PT2_iSD_SD_
	.p2align	8
	.type	_Z39paged_attention_ll4mi_QKV_mfma16_kernelI14__hip_bfloat16hLN4vllm18Fp8KVCacheDataTypeE1ES0_Li32ELi128ELi256ELb0ELi7EL8MFMAType1EEvPKT_PKT0_S9_ifPKiSB_SB_iPKfiiiPfSE_PS4_PT2_iSD_SD_,@function
_Z39paged_attention_ll4mi_QKV_mfma16_kernelI14__hip_bfloat16hLN4vllm18Fp8KVCacheDataTypeE1ES0_Li32ELi128ELi256ELb0ELi7EL8MFMAType1EEvPKT_PKT0_S9_ifPKiSB_SB_iPKfiiiPfSE_PS4_PT2_iSD_SD_: ; @_Z39paged_attention_ll4mi_QKV_mfma16_kernelI14__hip_bfloat16hLN4vllm18Fp8KVCacheDataTypeE1ES0_Li32ELi128ELi256ELb0ELi7EL8MFMAType1EEvPKT_PKT0_S9_ifPKiSB_SB_iPKfiiiPfSE_PS4_PT2_iSD_SD_
; %bb.0:
	s_load_dwordx2 s[12:13], s[4:5], 0x30
	s_add_u32 flat_scratch_lo, s6, s11
	s_addc_u32 flat_scratch_hi, s7, 0
	s_add_u32 s0, s0, s11
	s_addc_u32 s1, s1, 0
	s_waitcnt lgkmcnt(0)
	s_cmp_lg_u64 s[12:13], 0
	s_cselect_b64 s[14:15], -1, 0
	s_mov_b32 s6, s9
	s_mov_b64 s[16:17], 0
	s_and_b64 vcc, exec, s[14:15]
	s_mov_b32 s32, 0
	s_cbranch_vccz .LBB820_11
; %bb.1:
	s_add_i32 s18, s8, 1
	s_mov_b32 s19, 0
	s_lshl_b64 s[20:21], s[18:19], 2
	s_add_u32 s20, s12, s20
	s_mov_b32 s9, s19
	s_addc_u32 s21, s13, s21
	s_lshl_b64 s[18:19], s[8:9], 2
	s_add_u32 s18, s12, s18
	s_addc_u32 s19, s13, s19
	s_load_dword s7, s[20:21], 0x0
	s_load_dword s11, s[18:19], 0x0
	s_waitcnt lgkmcnt(0)
	s_sub_i32 s7, s7, s11
	s_cmp_eq_u32 s7, 1
	s_cselect_b64 s[18:19], -1, 0
	s_andn2_b64 vcc, exec, s[16:17]
	s_cbranch_vccnz .LBB820_3
.LBB820_2:
	s_mov_b32 s9, 0
	s_mov_b64 s[18:19], -1
.LBB820_3:
	s_andn2_b64 vcc, exec, s[18:19]
	s_cbranch_vccnz .LBB820_10
; %bb.4:
	s_load_dwordx2 s[18:19], s[4:5], 0x28
	s_lshl_b64 s[16:17], s[8:9], 2
	s_waitcnt lgkmcnt(0)
	s_add_u32 s18, s18, s16
	s_addc_u32 s19, s19, s17
	s_load_dword s7, s[18:19], 0x0
	s_lshl_b32 s6, s6, 8
	s_waitcnt lgkmcnt(0)
	s_cmp_ge_i32 s6, s7
	s_cbranch_scc1 .LBB820_10
; %bb.5:
	s_andn2_b64 vcc, exec, s[14:15]
	s_cbranch_vccnz .LBB820_7
; %bb.6:
	s_add_u32 s6, s12, s16
	s_addc_u32 s7, s13, s17
	s_load_dword s8, s[6:7], 0x0
.LBB820_7:
	s_movk_i32 s6, 0x70
	v_cmp_gt_u32_e32 vcc, s6, v0
	s_and_saveexec_b64 s[6:7], vcc
	s_cbranch_execz .LBB820_9
; %bb.8:
	s_load_dword s11, s[4:5], 0x48
	s_load_dwordx2 s[12:13], s[4:5], 0x0
	v_lshrrev_b32_e32 v1, 4, v0
	s_mul_i32 s10, s10, 7
	v_add_lshl_u32 v2, v1, s10, 7
	s_waitcnt lgkmcnt(0)
	s_ashr_i32 s9, s11, 31
	s_mul_hi_u32 s14, s8, s11
	s_mul_i32 s9, s8, s9
	s_add_i32 s9, s14, s9
	s_mul_i32 s8, s8, s11
	s_lshl_b64 s[8:9], s[8:9], 1
	s_add_u32 s8, s12, s8
	v_ashrrev_i32_e32 v3, 31, v2
	s_addc_u32 s9, s13, s9
	v_lshlrev_b64 v[2:3], 1, v[2:3]
	v_and_b32_e32 v4, 15, v0
	v_mov_b32_e32 v5, s9
	v_add_co_u32_e32 v2, vcc, s8, v2
	v_addc_co_u32_e32 v3, vcc, v5, v3, vcc
	v_lshlrev_b32_e32 v4, 4, v4
	v_add_co_u32_e32 v2, vcc, v2, v4
	v_addc_co_u32_e32 v3, vcc, 0, v3, vcc
	global_load_dwordx4 v[2:5], v[2:3], off
	v_lshlrev_b32_e32 v6, 4, v0
	v_lshlrev_b32_e32 v0, 8, v0
	v_and_b32_e32 v6, 16, v6
	v_lshlrev_b32_e32 v1, 5, v1
	v_and_b32_e32 v0, 0xe00, v0
	v_or3_b32 v0, v0, v1, v6
	s_waitcnt vmcnt(0)
	ds_write_b128 v0, v[2:5]
.LBB820_9:
	s_or_b64 exec, exec, s[6:7]
	s_waitcnt lgkmcnt(0)
	s_add_u32 s8, s4, 0x90
	s_addc_u32 s9, s5, 0
	s_getpc_b64 s[4:5]
	s_add_u32 s4, s4, __PRETTY_FUNCTION__._Z39paged_attention_ll4mi_QKV_mfma16_kernelI14__hip_bfloat16hLN4vllm18Fp8KVCacheDataTypeE1ES0_Li32ELi128ELi256ELb0ELi7EL8MFMAType1EEvPKT_PKT0_S9_ifPKiSB_SB_iPKfiiiPfSE_PS4_PT2_iSD_SD_@rel32@lo+4
	s_addc_u32 s5, s5, __PRETTY_FUNCTION__._Z39paged_attention_ll4mi_QKV_mfma16_kernelI14__hip_bfloat16hLN4vllm18Fp8KVCacheDataTypeE1ES0_Li32ELi128ELi256ELb0ELi7EL8MFMAType1EEvPKT_PKT0_S9_ifPKiSB_SB_iPKfiiiPfSE_PS4_PT2_iSD_SD_@rel32@hi+12
	v_mov_b32_e32 v0, 0x288
	v_mov_b32_e32 v1, s4
	;; [unrolled: 1-line block ×3, first 2 shown]
	s_barrier
	s_getpc_b64 s[6:7]
	s_add_u32 s6, s6, __assert_fail@rel32@lo+4
	s_addc_u32 s7, s7, __assert_fail@rel32@hi+12
	s_swappc_b64 s[30:31], s[6:7]
	; divergent unreachable
.LBB820_10:
	s_endpgm
.LBB820_11:
	s_mov_b64 s[18:19], 0
	s_branch .LBB820_2
	.section	.rodata,"a",@progbits
	.p2align	6, 0x0
	.amdhsa_kernel _Z39paged_attention_ll4mi_QKV_mfma16_kernelI14__hip_bfloat16hLN4vllm18Fp8KVCacheDataTypeE1ES0_Li32ELi128ELi256ELb0ELi7EL8MFMAType1EEvPKT_PKT0_S9_ifPKiSB_SB_iPKfiiiPfSE_PS4_PT2_iSD_SD_
		.amdhsa_group_segment_fixed_size 8192
		.amdhsa_private_segment_fixed_size 64
		.amdhsa_kernarg_size 400
		.amdhsa_user_sgpr_count 8
		.amdhsa_user_sgpr_private_segment_buffer 1
		.amdhsa_user_sgpr_dispatch_ptr 0
		.amdhsa_user_sgpr_queue_ptr 0
		.amdhsa_user_sgpr_kernarg_segment_ptr 1
		.amdhsa_user_sgpr_dispatch_id 0
		.amdhsa_user_sgpr_flat_scratch_init 1
		.amdhsa_user_sgpr_kernarg_preload_length 0
		.amdhsa_user_sgpr_kernarg_preload_offset 0
		.amdhsa_user_sgpr_private_segment_size 0
		.amdhsa_uses_dynamic_stack 0
		.amdhsa_system_sgpr_private_segment_wavefront_offset 1
		.amdhsa_system_sgpr_workgroup_id_x 1
		.amdhsa_system_sgpr_workgroup_id_y 1
		.amdhsa_system_sgpr_workgroup_id_z 1
		.amdhsa_system_sgpr_workgroup_info 0
		.amdhsa_system_vgpr_workitem_id 0
		.amdhsa_next_free_vgpr 45
		.amdhsa_next_free_sgpr 34
		.amdhsa_accum_offset 44
		.amdhsa_reserve_vcc 1
		.amdhsa_reserve_flat_scratch 1
		.amdhsa_float_round_mode_32 0
		.amdhsa_float_round_mode_16_64 0
		.amdhsa_float_denorm_mode_32 3
		.amdhsa_float_denorm_mode_16_64 3
		.amdhsa_dx10_clamp 1
		.amdhsa_ieee_mode 1
		.amdhsa_fp16_overflow 0
		.amdhsa_tg_split 0
		.amdhsa_exception_fp_ieee_invalid_op 0
		.amdhsa_exception_fp_denorm_src 0
		.amdhsa_exception_fp_ieee_div_zero 0
		.amdhsa_exception_fp_ieee_overflow 0
		.amdhsa_exception_fp_ieee_underflow 0
		.amdhsa_exception_fp_ieee_inexact 0
		.amdhsa_exception_int_div_zero 0
	.end_amdhsa_kernel
	.section	.text._Z39paged_attention_ll4mi_QKV_mfma16_kernelI14__hip_bfloat16hLN4vllm18Fp8KVCacheDataTypeE1ES0_Li32ELi128ELi256ELb0ELi7EL8MFMAType1EEvPKT_PKT0_S9_ifPKiSB_SB_iPKfiiiPfSE_PS4_PT2_iSD_SD_,"axG",@progbits,_Z39paged_attention_ll4mi_QKV_mfma16_kernelI14__hip_bfloat16hLN4vllm18Fp8KVCacheDataTypeE1ES0_Li32ELi128ELi256ELb0ELi7EL8MFMAType1EEvPKT_PKT0_S9_ifPKiSB_SB_iPKfiiiPfSE_PS4_PT2_iSD_SD_,comdat
.Lfunc_end820:
	.size	_Z39paged_attention_ll4mi_QKV_mfma16_kernelI14__hip_bfloat16hLN4vllm18Fp8KVCacheDataTypeE1ES0_Li32ELi128ELi256ELb0ELi7EL8MFMAType1EEvPKT_PKT0_S9_ifPKiSB_SB_iPKfiiiPfSE_PS4_PT2_iSD_SD_, .Lfunc_end820-_Z39paged_attention_ll4mi_QKV_mfma16_kernelI14__hip_bfloat16hLN4vllm18Fp8KVCacheDataTypeE1ES0_Li32ELi128ELi256ELb0ELi7EL8MFMAType1EEvPKT_PKT0_S9_ifPKiSB_SB_iPKfiiiPfSE_PS4_PT2_iSD_SD_
                                        ; -- End function
	.section	.AMDGPU.csdata,"",@progbits
; Kernel info:
; codeLenInByte = 492
; NumSgprs: 40
; NumVgprs: 42
; NumAgprs: 1
; TotalNumVgprs: 45
; ScratchSize: 64
; MemoryBound: 0
; FloatMode: 240
; IeeeMode: 1
; LDSByteSize: 8192 bytes/workgroup (compile time only)
; SGPRBlocks: 4
; VGPRBlocks: 5
; NumSGPRsForWavesPerEU: 40
; NumVGPRsForWavesPerEU: 45
; AccumOffset: 44
; Occupancy: 8
; WaveLimiterHint : 1
; COMPUTE_PGM_RSRC2:SCRATCH_EN: 1
; COMPUTE_PGM_RSRC2:USER_SGPR: 8
; COMPUTE_PGM_RSRC2:TRAP_HANDLER: 0
; COMPUTE_PGM_RSRC2:TGID_X_EN: 1
; COMPUTE_PGM_RSRC2:TGID_Y_EN: 1
; COMPUTE_PGM_RSRC2:TGID_Z_EN: 1
; COMPUTE_PGM_RSRC2:TIDIG_COMP_CNT: 0
; COMPUTE_PGM_RSRC3_GFX90A:ACCUM_OFFSET: 10
; COMPUTE_PGM_RSRC3_GFX90A:TG_SPLIT: 0
	.section	.text._Z39paged_attention_ll4mi_QKV_mfma16_kernelI14__hip_bfloat16hLN4vllm18Fp8KVCacheDataTypeE1ES0_Li32ELi128ELi256ELb0ELi8EL8MFMAType1EEvPKT_PKT0_S9_ifPKiSB_SB_iPKfiiiPfSE_PS4_PT2_iSD_SD_,"axG",@progbits,_Z39paged_attention_ll4mi_QKV_mfma16_kernelI14__hip_bfloat16hLN4vllm18Fp8KVCacheDataTypeE1ES0_Li32ELi128ELi256ELb0ELi8EL8MFMAType1EEvPKT_PKT0_S9_ifPKiSB_SB_iPKfiiiPfSE_PS4_PT2_iSD_SD_,comdat
	.protected	_Z39paged_attention_ll4mi_QKV_mfma16_kernelI14__hip_bfloat16hLN4vllm18Fp8KVCacheDataTypeE1ES0_Li32ELi128ELi256ELb0ELi8EL8MFMAType1EEvPKT_PKT0_S9_ifPKiSB_SB_iPKfiiiPfSE_PS4_PT2_iSD_SD_ ; -- Begin function _Z39paged_attention_ll4mi_QKV_mfma16_kernelI14__hip_bfloat16hLN4vllm18Fp8KVCacheDataTypeE1ES0_Li32ELi128ELi256ELb0ELi8EL8MFMAType1EEvPKT_PKT0_S9_ifPKiSB_SB_iPKfiiiPfSE_PS4_PT2_iSD_SD_
	.globl	_Z39paged_attention_ll4mi_QKV_mfma16_kernelI14__hip_bfloat16hLN4vllm18Fp8KVCacheDataTypeE1ES0_Li32ELi128ELi256ELb0ELi8EL8MFMAType1EEvPKT_PKT0_S9_ifPKiSB_SB_iPKfiiiPfSE_PS4_PT2_iSD_SD_
	.p2align	8
	.type	_Z39paged_attention_ll4mi_QKV_mfma16_kernelI14__hip_bfloat16hLN4vllm18Fp8KVCacheDataTypeE1ES0_Li32ELi128ELi256ELb0ELi8EL8MFMAType1EEvPKT_PKT0_S9_ifPKiSB_SB_iPKfiiiPfSE_PS4_PT2_iSD_SD_,@function
_Z39paged_attention_ll4mi_QKV_mfma16_kernelI14__hip_bfloat16hLN4vllm18Fp8KVCacheDataTypeE1ES0_Li32ELi128ELi256ELb0ELi8EL8MFMAType1EEvPKT_PKT0_S9_ifPKiSB_SB_iPKfiiiPfSE_PS4_PT2_iSD_SD_: ; @_Z39paged_attention_ll4mi_QKV_mfma16_kernelI14__hip_bfloat16hLN4vllm18Fp8KVCacheDataTypeE1ES0_Li32ELi128ELi256ELb0ELi8EL8MFMAType1EEvPKT_PKT0_S9_ifPKiSB_SB_iPKfiiiPfSE_PS4_PT2_iSD_SD_
; %bb.0:
	s_load_dwordx2 s[12:13], s[4:5], 0x30
	s_add_u32 flat_scratch_lo, s6, s11
	s_addc_u32 flat_scratch_hi, s7, 0
	s_add_u32 s0, s0, s11
	s_addc_u32 s1, s1, 0
	s_waitcnt lgkmcnt(0)
	s_cmp_lg_u64 s[12:13], 0
	s_cselect_b64 s[14:15], -1, 0
	s_mov_b32 s6, s9
	s_mov_b64 s[16:17], 0
	s_and_b64 vcc, exec, s[14:15]
	s_mov_b32 s32, 0
	s_cbranch_vccz .LBB821_11
; %bb.1:
	s_add_i32 s18, s8, 1
	s_mov_b32 s19, 0
	s_lshl_b64 s[20:21], s[18:19], 2
	s_add_u32 s20, s12, s20
	s_mov_b32 s9, s19
	s_addc_u32 s21, s13, s21
	s_lshl_b64 s[18:19], s[8:9], 2
	s_add_u32 s18, s12, s18
	s_addc_u32 s19, s13, s19
	s_load_dword s7, s[20:21], 0x0
	s_load_dword s11, s[18:19], 0x0
	s_waitcnt lgkmcnt(0)
	s_sub_i32 s7, s7, s11
	s_cmp_eq_u32 s7, 1
	s_cselect_b64 s[18:19], -1, 0
	s_andn2_b64 vcc, exec, s[16:17]
	s_cbranch_vccnz .LBB821_3
.LBB821_2:
	s_mov_b32 s9, 0
	s_mov_b64 s[18:19], -1
.LBB821_3:
	s_andn2_b64 vcc, exec, s[18:19]
	s_cbranch_vccnz .LBB821_10
; %bb.4:
	s_load_dwordx2 s[18:19], s[4:5], 0x28
	s_lshl_b64 s[16:17], s[8:9], 2
	s_waitcnt lgkmcnt(0)
	s_add_u32 s18, s18, s16
	s_addc_u32 s19, s19, s17
	s_load_dword s7, s[18:19], 0x0
	s_lshl_b32 s6, s6, 8
	s_waitcnt lgkmcnt(0)
	s_cmp_ge_i32 s6, s7
	s_cbranch_scc1 .LBB821_10
; %bb.5:
	s_andn2_b64 vcc, exec, s[14:15]
	s_cbranch_vccnz .LBB821_7
; %bb.6:
	s_add_u32 s6, s12, s16
	s_addc_u32 s7, s13, s17
	s_load_dword s8, s[6:7], 0x0
.LBB821_7:
	s_movk_i32 s6, 0x80
	v_cmp_gt_u32_e32 vcc, s6, v0
	s_and_saveexec_b64 s[6:7], vcc
	s_cbranch_execz .LBB821_9
; %bb.8:
	s_load_dword s11, s[4:5], 0x48
	s_load_dwordx2 s[12:13], s[4:5], 0x0
	v_lshrrev_b32_e32 v6, 4, v0
	v_and_b32_e32 v1, 15, v0
	v_lshlrev_b32_e32 v1, 4, v1
	s_waitcnt lgkmcnt(0)
	s_ashr_i32 s9, s11, 31
	s_mul_hi_u32 s14, s8, s11
	s_mul_i32 s9, s8, s9
	s_add_i32 s9, s14, s9
	s_mul_i32 s8, s8, s11
	s_lshl_b64 s[8:9], s[8:9], 1
	s_add_u32 s8, s12, s8
	s_addc_u32 s9, s13, s9
	s_lshl_b32 s10, s10, 10
	v_lshl_or_b32 v2, v6, 7, s10
	v_ashrrev_i32_e32 v3, 31, v2
	v_lshlrev_b64 v[2:3], 1, v[2:3]
	v_mov_b32_e32 v4, s9
	v_add_co_u32_e32 v2, vcc, s8, v2
	v_addc_co_u32_e32 v3, vcc, v4, v3, vcc
	v_add_co_u32_e32 v2, vcc, v2, v1
	v_addc_co_u32_e32 v3, vcc, 0, v3, vcc
	global_load_dwordx4 v[2:5], v[2:3], off
	v_lshlrev_b32_e32 v1, 4, v0
	v_lshlrev_b32_e32 v0, 8, v0
	v_and_b32_e32 v1, 16, v1
	v_lshlrev_b32_e32 v6, 5, v6
	v_and_b32_e32 v0, 0xe00, v0
	v_or3_b32 v0, v0, v6, v1
	s_waitcnt vmcnt(0)
	ds_write_b128 v0, v[2:5]
.LBB821_9:
	s_or_b64 exec, exec, s[6:7]
	s_waitcnt lgkmcnt(0)
	s_add_u32 s8, s4, 0x90
	s_addc_u32 s9, s5, 0
	s_getpc_b64 s[4:5]
	s_add_u32 s4, s4, __PRETTY_FUNCTION__._Z39paged_attention_ll4mi_QKV_mfma16_kernelI14__hip_bfloat16hLN4vllm18Fp8KVCacheDataTypeE1ES0_Li32ELi128ELi256ELb0ELi8EL8MFMAType1EEvPKT_PKT0_S9_ifPKiSB_SB_iPKfiiiPfSE_PS4_PT2_iSD_SD_@rel32@lo+4
	s_addc_u32 s5, s5, __PRETTY_FUNCTION__._Z39paged_attention_ll4mi_QKV_mfma16_kernelI14__hip_bfloat16hLN4vllm18Fp8KVCacheDataTypeE1ES0_Li32ELi128ELi256ELb0ELi8EL8MFMAType1EEvPKT_PKT0_S9_ifPKiSB_SB_iPKfiiiPfSE_PS4_PT2_iSD_SD_@rel32@hi+12
	v_mov_b32_e32 v0, 0x288
	v_mov_b32_e32 v1, s4
	;; [unrolled: 1-line block ×3, first 2 shown]
	s_barrier
	s_getpc_b64 s[6:7]
	s_add_u32 s6, s6, __assert_fail@rel32@lo+4
	s_addc_u32 s7, s7, __assert_fail@rel32@hi+12
	s_swappc_b64 s[30:31], s[6:7]
	; divergent unreachable
.LBB821_10:
	s_endpgm
.LBB821_11:
	s_mov_b64 s[18:19], 0
	s_branch .LBB821_2
	.section	.rodata,"a",@progbits
	.p2align	6, 0x0
	.amdhsa_kernel _Z39paged_attention_ll4mi_QKV_mfma16_kernelI14__hip_bfloat16hLN4vllm18Fp8KVCacheDataTypeE1ES0_Li32ELi128ELi256ELb0ELi8EL8MFMAType1EEvPKT_PKT0_S9_ifPKiSB_SB_iPKfiiiPfSE_PS4_PT2_iSD_SD_
		.amdhsa_group_segment_fixed_size 8192
		.amdhsa_private_segment_fixed_size 64
		.amdhsa_kernarg_size 400
		.amdhsa_user_sgpr_count 8
		.amdhsa_user_sgpr_private_segment_buffer 1
		.amdhsa_user_sgpr_dispatch_ptr 0
		.amdhsa_user_sgpr_queue_ptr 0
		.amdhsa_user_sgpr_kernarg_segment_ptr 1
		.amdhsa_user_sgpr_dispatch_id 0
		.amdhsa_user_sgpr_flat_scratch_init 1
		.amdhsa_user_sgpr_kernarg_preload_length 0
		.amdhsa_user_sgpr_kernarg_preload_offset 0
		.amdhsa_user_sgpr_private_segment_size 0
		.amdhsa_uses_dynamic_stack 0
		.amdhsa_system_sgpr_private_segment_wavefront_offset 1
		.amdhsa_system_sgpr_workgroup_id_x 1
		.amdhsa_system_sgpr_workgroup_id_y 1
		.amdhsa_system_sgpr_workgroup_id_z 1
		.amdhsa_system_sgpr_workgroup_info 0
		.amdhsa_system_vgpr_workitem_id 0
		.amdhsa_next_free_vgpr 45
		.amdhsa_next_free_sgpr 34
		.amdhsa_accum_offset 44
		.amdhsa_reserve_vcc 1
		.amdhsa_reserve_flat_scratch 1
		.amdhsa_float_round_mode_32 0
		.amdhsa_float_round_mode_16_64 0
		.amdhsa_float_denorm_mode_32 3
		.amdhsa_float_denorm_mode_16_64 3
		.amdhsa_dx10_clamp 1
		.amdhsa_ieee_mode 1
		.amdhsa_fp16_overflow 0
		.amdhsa_tg_split 0
		.amdhsa_exception_fp_ieee_invalid_op 0
		.amdhsa_exception_fp_denorm_src 0
		.amdhsa_exception_fp_ieee_div_zero 0
		.amdhsa_exception_fp_ieee_overflow 0
		.amdhsa_exception_fp_ieee_underflow 0
		.amdhsa_exception_fp_ieee_inexact 0
		.amdhsa_exception_int_div_zero 0
	.end_amdhsa_kernel
	.section	.text._Z39paged_attention_ll4mi_QKV_mfma16_kernelI14__hip_bfloat16hLN4vllm18Fp8KVCacheDataTypeE1ES0_Li32ELi128ELi256ELb0ELi8EL8MFMAType1EEvPKT_PKT0_S9_ifPKiSB_SB_iPKfiiiPfSE_PS4_PT2_iSD_SD_,"axG",@progbits,_Z39paged_attention_ll4mi_QKV_mfma16_kernelI14__hip_bfloat16hLN4vllm18Fp8KVCacheDataTypeE1ES0_Li32ELi128ELi256ELb0ELi8EL8MFMAType1EEvPKT_PKT0_S9_ifPKiSB_SB_iPKfiiiPfSE_PS4_PT2_iSD_SD_,comdat
.Lfunc_end821:
	.size	_Z39paged_attention_ll4mi_QKV_mfma16_kernelI14__hip_bfloat16hLN4vllm18Fp8KVCacheDataTypeE1ES0_Li32ELi128ELi256ELb0ELi8EL8MFMAType1EEvPKT_PKT0_S9_ifPKiSB_SB_iPKfiiiPfSE_PS4_PT2_iSD_SD_, .Lfunc_end821-_Z39paged_attention_ll4mi_QKV_mfma16_kernelI14__hip_bfloat16hLN4vllm18Fp8KVCacheDataTypeE1ES0_Li32ELi128ELi256ELb0ELi8EL8MFMAType1EEvPKT_PKT0_S9_ifPKiSB_SB_iPKfiiiPfSE_PS4_PT2_iSD_SD_
                                        ; -- End function
	.section	.AMDGPU.csdata,"",@progbits
; Kernel info:
; codeLenInByte = 492
; NumSgprs: 40
; NumVgprs: 42
; NumAgprs: 1
; TotalNumVgprs: 45
; ScratchSize: 64
; MemoryBound: 0
; FloatMode: 240
; IeeeMode: 1
; LDSByteSize: 8192 bytes/workgroup (compile time only)
; SGPRBlocks: 4
; VGPRBlocks: 5
; NumSGPRsForWavesPerEU: 40
; NumVGPRsForWavesPerEU: 45
; AccumOffset: 44
; Occupancy: 8
; WaveLimiterHint : 1
; COMPUTE_PGM_RSRC2:SCRATCH_EN: 1
; COMPUTE_PGM_RSRC2:USER_SGPR: 8
; COMPUTE_PGM_RSRC2:TRAP_HANDLER: 0
; COMPUTE_PGM_RSRC2:TGID_X_EN: 1
; COMPUTE_PGM_RSRC2:TGID_Y_EN: 1
; COMPUTE_PGM_RSRC2:TGID_Z_EN: 1
; COMPUTE_PGM_RSRC2:TIDIG_COMP_CNT: 0
; COMPUTE_PGM_RSRC3_GFX90A:ACCUM_OFFSET: 10
; COMPUTE_PGM_RSRC3_GFX90A:TG_SPLIT: 0
	.section	.text._Z39paged_attention_ll4mi_QKV_mfma16_kernelI14__hip_bfloat16hLN4vllm18Fp8KVCacheDataTypeE1ES0_Li32ELi128ELi256ELb0ELi9EL8MFMAType1EEvPKT_PKT0_S9_ifPKiSB_SB_iPKfiiiPfSE_PS4_PT2_iSD_SD_,"axG",@progbits,_Z39paged_attention_ll4mi_QKV_mfma16_kernelI14__hip_bfloat16hLN4vllm18Fp8KVCacheDataTypeE1ES0_Li32ELi128ELi256ELb0ELi9EL8MFMAType1EEvPKT_PKT0_S9_ifPKiSB_SB_iPKfiiiPfSE_PS4_PT2_iSD_SD_,comdat
	.protected	_Z39paged_attention_ll4mi_QKV_mfma16_kernelI14__hip_bfloat16hLN4vllm18Fp8KVCacheDataTypeE1ES0_Li32ELi128ELi256ELb0ELi9EL8MFMAType1EEvPKT_PKT0_S9_ifPKiSB_SB_iPKfiiiPfSE_PS4_PT2_iSD_SD_ ; -- Begin function _Z39paged_attention_ll4mi_QKV_mfma16_kernelI14__hip_bfloat16hLN4vllm18Fp8KVCacheDataTypeE1ES0_Li32ELi128ELi256ELb0ELi9EL8MFMAType1EEvPKT_PKT0_S9_ifPKiSB_SB_iPKfiiiPfSE_PS4_PT2_iSD_SD_
	.globl	_Z39paged_attention_ll4mi_QKV_mfma16_kernelI14__hip_bfloat16hLN4vllm18Fp8KVCacheDataTypeE1ES0_Li32ELi128ELi256ELb0ELi9EL8MFMAType1EEvPKT_PKT0_S9_ifPKiSB_SB_iPKfiiiPfSE_PS4_PT2_iSD_SD_
	.p2align	8
	.type	_Z39paged_attention_ll4mi_QKV_mfma16_kernelI14__hip_bfloat16hLN4vllm18Fp8KVCacheDataTypeE1ES0_Li32ELi128ELi256ELb0ELi9EL8MFMAType1EEvPKT_PKT0_S9_ifPKiSB_SB_iPKfiiiPfSE_PS4_PT2_iSD_SD_,@function
_Z39paged_attention_ll4mi_QKV_mfma16_kernelI14__hip_bfloat16hLN4vllm18Fp8KVCacheDataTypeE1ES0_Li32ELi128ELi256ELb0ELi9EL8MFMAType1EEvPKT_PKT0_S9_ifPKiSB_SB_iPKfiiiPfSE_PS4_PT2_iSD_SD_: ; @_Z39paged_attention_ll4mi_QKV_mfma16_kernelI14__hip_bfloat16hLN4vllm18Fp8KVCacheDataTypeE1ES0_Li32ELi128ELi256ELb0ELi9EL8MFMAType1EEvPKT_PKT0_S9_ifPKiSB_SB_iPKfiiiPfSE_PS4_PT2_iSD_SD_
; %bb.0:
	s_load_dwordx2 s[12:13], s[4:5], 0x30
	s_add_u32 flat_scratch_lo, s6, s11
	s_addc_u32 flat_scratch_hi, s7, 0
	s_add_u32 s0, s0, s11
	s_addc_u32 s1, s1, 0
	s_waitcnt lgkmcnt(0)
	s_cmp_lg_u64 s[12:13], 0
	s_cselect_b64 s[14:15], -1, 0
	s_mov_b32 s6, s9
	s_mov_b64 s[16:17], 0
	s_and_b64 vcc, exec, s[14:15]
	s_mov_b32 s32, 0
	s_cbranch_vccz .LBB822_11
; %bb.1:
	s_add_i32 s18, s8, 1
	s_mov_b32 s19, 0
	s_lshl_b64 s[20:21], s[18:19], 2
	s_add_u32 s20, s12, s20
	s_mov_b32 s9, s19
	s_addc_u32 s21, s13, s21
	s_lshl_b64 s[18:19], s[8:9], 2
	s_add_u32 s18, s12, s18
	s_addc_u32 s19, s13, s19
	s_load_dword s7, s[20:21], 0x0
	s_load_dword s11, s[18:19], 0x0
	s_waitcnt lgkmcnt(0)
	s_sub_i32 s7, s7, s11
	s_cmp_eq_u32 s7, 1
	s_cselect_b64 s[18:19], -1, 0
	s_andn2_b64 vcc, exec, s[16:17]
	s_cbranch_vccnz .LBB822_3
.LBB822_2:
	s_mov_b32 s9, 0
	s_mov_b64 s[18:19], -1
.LBB822_3:
	s_andn2_b64 vcc, exec, s[18:19]
	s_cbranch_vccnz .LBB822_10
; %bb.4:
	s_load_dwordx2 s[18:19], s[4:5], 0x28
	s_lshl_b64 s[16:17], s[8:9], 2
	s_waitcnt lgkmcnt(0)
	s_add_u32 s18, s18, s16
	s_addc_u32 s19, s19, s17
	s_load_dword s7, s[18:19], 0x0
	s_lshl_b32 s6, s6, 8
	s_waitcnt lgkmcnt(0)
	s_cmp_ge_i32 s6, s7
	s_cbranch_scc1 .LBB822_10
; %bb.5:
	s_andn2_b64 vcc, exec, s[14:15]
	s_cbranch_vccnz .LBB822_7
; %bb.6:
	s_add_u32 s6, s12, s16
	s_addc_u32 s7, s13, s17
	s_load_dword s8, s[6:7], 0x0
.LBB822_7:
	s_movk_i32 s6, 0x90
	v_cmp_gt_u32_e32 vcc, s6, v0
	s_and_saveexec_b64 s[6:7], vcc
	s_cbranch_execz .LBB822_9
; %bb.8:
	s_load_dword s11, s[4:5], 0x48
	s_load_dwordx2 s[12:13], s[4:5], 0x0
	v_lshrrev_b32_e32 v1, 4, v0
	s_mul_i32 s10, s10, 9
	v_add_lshl_u32 v2, v1, s10, 7
	s_waitcnt lgkmcnt(0)
	s_ashr_i32 s9, s11, 31
	s_mul_hi_u32 s14, s8, s11
	s_mul_i32 s9, s8, s9
	s_add_i32 s9, s14, s9
	s_mul_i32 s8, s8, s11
	s_lshl_b64 s[8:9], s[8:9], 1
	s_add_u32 s8, s12, s8
	v_ashrrev_i32_e32 v3, 31, v2
	s_addc_u32 s9, s13, s9
	v_lshlrev_b64 v[2:3], 1, v[2:3]
	v_and_b32_e32 v4, 15, v0
	v_mov_b32_e32 v5, s9
	v_add_co_u32_e32 v2, vcc, s8, v2
	v_addc_co_u32_e32 v3, vcc, v5, v3, vcc
	v_lshlrev_b32_e32 v4, 4, v4
	v_add_co_u32_e32 v2, vcc, v2, v4
	v_addc_co_u32_e32 v3, vcc, 0, v3, vcc
	global_load_dwordx4 v[2:5], v[2:3], off
	v_lshlrev_b32_e32 v6, 4, v0
	v_lshlrev_b32_e32 v0, 8, v0
	v_and_b32_e32 v6, 16, v6
	v_lshlrev_b32_e32 v1, 5, v1
	v_and_b32_e32 v0, 0xe00, v0
	v_or3_b32 v0, v0, v1, v6
	s_waitcnt vmcnt(0)
	ds_write_b128 v0, v[2:5]
.LBB822_9:
	s_or_b64 exec, exec, s[6:7]
	s_waitcnt lgkmcnt(0)
	s_add_u32 s8, s4, 0x90
	s_addc_u32 s9, s5, 0
	s_getpc_b64 s[4:5]
	s_add_u32 s4, s4, __PRETTY_FUNCTION__._Z39paged_attention_ll4mi_QKV_mfma16_kernelI14__hip_bfloat16hLN4vllm18Fp8KVCacheDataTypeE1ES0_Li32ELi128ELi256ELb0ELi9EL8MFMAType1EEvPKT_PKT0_S9_ifPKiSB_SB_iPKfiiiPfSE_PS4_PT2_iSD_SD_@rel32@lo+4
	s_addc_u32 s5, s5, __PRETTY_FUNCTION__._Z39paged_attention_ll4mi_QKV_mfma16_kernelI14__hip_bfloat16hLN4vllm18Fp8KVCacheDataTypeE1ES0_Li32ELi128ELi256ELb0ELi9EL8MFMAType1EEvPKT_PKT0_S9_ifPKiSB_SB_iPKfiiiPfSE_PS4_PT2_iSD_SD_@rel32@hi+12
	v_mov_b32_e32 v0, 0x288
	v_mov_b32_e32 v1, s4
	;; [unrolled: 1-line block ×3, first 2 shown]
	s_barrier
	s_getpc_b64 s[6:7]
	s_add_u32 s6, s6, __assert_fail@rel32@lo+4
	s_addc_u32 s7, s7, __assert_fail@rel32@hi+12
	s_swappc_b64 s[30:31], s[6:7]
	; divergent unreachable
.LBB822_10:
	s_endpgm
.LBB822_11:
	s_mov_b64 s[18:19], 0
	s_branch .LBB822_2
	.section	.rodata,"a",@progbits
	.p2align	6, 0x0
	.amdhsa_kernel _Z39paged_attention_ll4mi_QKV_mfma16_kernelI14__hip_bfloat16hLN4vllm18Fp8KVCacheDataTypeE1ES0_Li32ELi128ELi256ELb0ELi9EL8MFMAType1EEvPKT_PKT0_S9_ifPKiSB_SB_iPKfiiiPfSE_PS4_PT2_iSD_SD_
		.amdhsa_group_segment_fixed_size 8192
		.amdhsa_private_segment_fixed_size 64
		.amdhsa_kernarg_size 400
		.amdhsa_user_sgpr_count 8
		.amdhsa_user_sgpr_private_segment_buffer 1
		.amdhsa_user_sgpr_dispatch_ptr 0
		.amdhsa_user_sgpr_queue_ptr 0
		.amdhsa_user_sgpr_kernarg_segment_ptr 1
		.amdhsa_user_sgpr_dispatch_id 0
		.amdhsa_user_sgpr_flat_scratch_init 1
		.amdhsa_user_sgpr_kernarg_preload_length 0
		.amdhsa_user_sgpr_kernarg_preload_offset 0
		.amdhsa_user_sgpr_private_segment_size 0
		.amdhsa_uses_dynamic_stack 0
		.amdhsa_system_sgpr_private_segment_wavefront_offset 1
		.amdhsa_system_sgpr_workgroup_id_x 1
		.amdhsa_system_sgpr_workgroup_id_y 1
		.amdhsa_system_sgpr_workgroup_id_z 1
		.amdhsa_system_sgpr_workgroup_info 0
		.amdhsa_system_vgpr_workitem_id 0
		.amdhsa_next_free_vgpr 45
		.amdhsa_next_free_sgpr 34
		.amdhsa_accum_offset 44
		.amdhsa_reserve_vcc 1
		.amdhsa_reserve_flat_scratch 1
		.amdhsa_float_round_mode_32 0
		.amdhsa_float_round_mode_16_64 0
		.amdhsa_float_denorm_mode_32 3
		.amdhsa_float_denorm_mode_16_64 3
		.amdhsa_dx10_clamp 1
		.amdhsa_ieee_mode 1
		.amdhsa_fp16_overflow 0
		.amdhsa_tg_split 0
		.amdhsa_exception_fp_ieee_invalid_op 0
		.amdhsa_exception_fp_denorm_src 0
		.amdhsa_exception_fp_ieee_div_zero 0
		.amdhsa_exception_fp_ieee_overflow 0
		.amdhsa_exception_fp_ieee_underflow 0
		.amdhsa_exception_fp_ieee_inexact 0
		.amdhsa_exception_int_div_zero 0
	.end_amdhsa_kernel
	.section	.text._Z39paged_attention_ll4mi_QKV_mfma16_kernelI14__hip_bfloat16hLN4vllm18Fp8KVCacheDataTypeE1ES0_Li32ELi128ELi256ELb0ELi9EL8MFMAType1EEvPKT_PKT0_S9_ifPKiSB_SB_iPKfiiiPfSE_PS4_PT2_iSD_SD_,"axG",@progbits,_Z39paged_attention_ll4mi_QKV_mfma16_kernelI14__hip_bfloat16hLN4vllm18Fp8KVCacheDataTypeE1ES0_Li32ELi128ELi256ELb0ELi9EL8MFMAType1EEvPKT_PKT0_S9_ifPKiSB_SB_iPKfiiiPfSE_PS4_PT2_iSD_SD_,comdat
.Lfunc_end822:
	.size	_Z39paged_attention_ll4mi_QKV_mfma16_kernelI14__hip_bfloat16hLN4vllm18Fp8KVCacheDataTypeE1ES0_Li32ELi128ELi256ELb0ELi9EL8MFMAType1EEvPKT_PKT0_S9_ifPKiSB_SB_iPKfiiiPfSE_PS4_PT2_iSD_SD_, .Lfunc_end822-_Z39paged_attention_ll4mi_QKV_mfma16_kernelI14__hip_bfloat16hLN4vllm18Fp8KVCacheDataTypeE1ES0_Li32ELi128ELi256ELb0ELi9EL8MFMAType1EEvPKT_PKT0_S9_ifPKiSB_SB_iPKfiiiPfSE_PS4_PT2_iSD_SD_
                                        ; -- End function
	.section	.AMDGPU.csdata,"",@progbits
; Kernel info:
; codeLenInByte = 492
; NumSgprs: 40
; NumVgprs: 42
; NumAgprs: 1
; TotalNumVgprs: 45
; ScratchSize: 64
; MemoryBound: 0
; FloatMode: 240
; IeeeMode: 1
; LDSByteSize: 8192 bytes/workgroup (compile time only)
; SGPRBlocks: 4
; VGPRBlocks: 5
; NumSGPRsForWavesPerEU: 40
; NumVGPRsForWavesPerEU: 45
; AccumOffset: 44
; Occupancy: 8
; WaveLimiterHint : 1
; COMPUTE_PGM_RSRC2:SCRATCH_EN: 1
; COMPUTE_PGM_RSRC2:USER_SGPR: 8
; COMPUTE_PGM_RSRC2:TRAP_HANDLER: 0
; COMPUTE_PGM_RSRC2:TGID_X_EN: 1
; COMPUTE_PGM_RSRC2:TGID_Y_EN: 1
; COMPUTE_PGM_RSRC2:TGID_Z_EN: 1
; COMPUTE_PGM_RSRC2:TIDIG_COMP_CNT: 0
; COMPUTE_PGM_RSRC3_GFX90A:ACCUM_OFFSET: 10
; COMPUTE_PGM_RSRC3_GFX90A:TG_SPLIT: 0
	.section	.text._Z39paged_attention_ll4mi_QKV_mfma16_kernelI14__hip_bfloat16hLN4vllm18Fp8KVCacheDataTypeE1ES0_Li32ELi128ELi256ELb0ELi10EL8MFMAType1EEvPKT_PKT0_S9_ifPKiSB_SB_iPKfiiiPfSE_PS4_PT2_iSD_SD_,"axG",@progbits,_Z39paged_attention_ll4mi_QKV_mfma16_kernelI14__hip_bfloat16hLN4vllm18Fp8KVCacheDataTypeE1ES0_Li32ELi128ELi256ELb0ELi10EL8MFMAType1EEvPKT_PKT0_S9_ifPKiSB_SB_iPKfiiiPfSE_PS4_PT2_iSD_SD_,comdat
	.protected	_Z39paged_attention_ll4mi_QKV_mfma16_kernelI14__hip_bfloat16hLN4vllm18Fp8KVCacheDataTypeE1ES0_Li32ELi128ELi256ELb0ELi10EL8MFMAType1EEvPKT_PKT0_S9_ifPKiSB_SB_iPKfiiiPfSE_PS4_PT2_iSD_SD_ ; -- Begin function _Z39paged_attention_ll4mi_QKV_mfma16_kernelI14__hip_bfloat16hLN4vllm18Fp8KVCacheDataTypeE1ES0_Li32ELi128ELi256ELb0ELi10EL8MFMAType1EEvPKT_PKT0_S9_ifPKiSB_SB_iPKfiiiPfSE_PS4_PT2_iSD_SD_
	.globl	_Z39paged_attention_ll4mi_QKV_mfma16_kernelI14__hip_bfloat16hLN4vllm18Fp8KVCacheDataTypeE1ES0_Li32ELi128ELi256ELb0ELi10EL8MFMAType1EEvPKT_PKT0_S9_ifPKiSB_SB_iPKfiiiPfSE_PS4_PT2_iSD_SD_
	.p2align	8
	.type	_Z39paged_attention_ll4mi_QKV_mfma16_kernelI14__hip_bfloat16hLN4vllm18Fp8KVCacheDataTypeE1ES0_Li32ELi128ELi256ELb0ELi10EL8MFMAType1EEvPKT_PKT0_S9_ifPKiSB_SB_iPKfiiiPfSE_PS4_PT2_iSD_SD_,@function
_Z39paged_attention_ll4mi_QKV_mfma16_kernelI14__hip_bfloat16hLN4vllm18Fp8KVCacheDataTypeE1ES0_Li32ELi128ELi256ELb0ELi10EL8MFMAType1EEvPKT_PKT0_S9_ifPKiSB_SB_iPKfiiiPfSE_PS4_PT2_iSD_SD_: ; @_Z39paged_attention_ll4mi_QKV_mfma16_kernelI14__hip_bfloat16hLN4vllm18Fp8KVCacheDataTypeE1ES0_Li32ELi128ELi256ELb0ELi10EL8MFMAType1EEvPKT_PKT0_S9_ifPKiSB_SB_iPKfiiiPfSE_PS4_PT2_iSD_SD_
; %bb.0:
	s_load_dwordx2 s[12:13], s[4:5], 0x30
	s_add_u32 flat_scratch_lo, s6, s11
	s_addc_u32 flat_scratch_hi, s7, 0
	s_add_u32 s0, s0, s11
	s_addc_u32 s1, s1, 0
	s_waitcnt lgkmcnt(0)
	s_cmp_lg_u64 s[12:13], 0
	s_cselect_b64 s[14:15], -1, 0
	s_mov_b32 s6, s9
	s_mov_b64 s[16:17], 0
	s_and_b64 vcc, exec, s[14:15]
	s_mov_b32 s32, 0
	s_cbranch_vccz .LBB823_11
; %bb.1:
	s_add_i32 s18, s8, 1
	s_mov_b32 s19, 0
	s_lshl_b64 s[20:21], s[18:19], 2
	s_add_u32 s20, s12, s20
	s_mov_b32 s9, s19
	s_addc_u32 s21, s13, s21
	s_lshl_b64 s[18:19], s[8:9], 2
	s_add_u32 s18, s12, s18
	s_addc_u32 s19, s13, s19
	s_load_dword s7, s[20:21], 0x0
	s_load_dword s11, s[18:19], 0x0
	s_waitcnt lgkmcnt(0)
	s_sub_i32 s7, s7, s11
	s_cmp_eq_u32 s7, 1
	s_cselect_b64 s[18:19], -1, 0
	s_andn2_b64 vcc, exec, s[16:17]
	s_cbranch_vccnz .LBB823_3
.LBB823_2:
	s_mov_b32 s9, 0
	s_mov_b64 s[18:19], -1
.LBB823_3:
	s_andn2_b64 vcc, exec, s[18:19]
	s_cbranch_vccnz .LBB823_10
; %bb.4:
	s_load_dwordx2 s[18:19], s[4:5], 0x28
	s_lshl_b64 s[16:17], s[8:9], 2
	s_waitcnt lgkmcnt(0)
	s_add_u32 s18, s18, s16
	s_addc_u32 s19, s19, s17
	s_load_dword s7, s[18:19], 0x0
	s_lshl_b32 s6, s6, 8
	s_waitcnt lgkmcnt(0)
	s_cmp_ge_i32 s6, s7
	s_cbranch_scc1 .LBB823_10
; %bb.5:
	s_andn2_b64 vcc, exec, s[14:15]
	s_cbranch_vccnz .LBB823_7
; %bb.6:
	s_add_u32 s6, s12, s16
	s_addc_u32 s7, s13, s17
	s_load_dword s8, s[6:7], 0x0
.LBB823_7:
	s_movk_i32 s6, 0xa0
	v_cmp_gt_u32_e32 vcc, s6, v0
	s_and_saveexec_b64 s[6:7], vcc
	s_cbranch_execz .LBB823_9
; %bb.8:
	s_load_dword s11, s[4:5], 0x48
	s_load_dwordx2 s[12:13], s[4:5], 0x0
	v_lshrrev_b32_e32 v1, 4, v0
	s_mul_i32 s10, s10, 10
	v_add_lshl_u32 v2, v1, s10, 7
	s_waitcnt lgkmcnt(0)
	s_ashr_i32 s9, s11, 31
	s_mul_hi_u32 s14, s8, s11
	s_mul_i32 s9, s8, s9
	s_add_i32 s9, s14, s9
	s_mul_i32 s8, s8, s11
	s_lshl_b64 s[8:9], s[8:9], 1
	s_add_u32 s8, s12, s8
	v_ashrrev_i32_e32 v3, 31, v2
	s_addc_u32 s9, s13, s9
	v_lshlrev_b64 v[2:3], 1, v[2:3]
	v_and_b32_e32 v4, 15, v0
	v_mov_b32_e32 v5, s9
	v_add_co_u32_e32 v2, vcc, s8, v2
	v_addc_co_u32_e32 v3, vcc, v5, v3, vcc
	v_lshlrev_b32_e32 v4, 4, v4
	v_add_co_u32_e32 v2, vcc, v2, v4
	v_addc_co_u32_e32 v3, vcc, 0, v3, vcc
	global_load_dwordx4 v[2:5], v[2:3], off
	v_lshlrev_b32_e32 v6, 4, v0
	v_lshlrev_b32_e32 v0, 8, v0
	v_and_b32_e32 v6, 16, v6
	v_lshlrev_b32_e32 v1, 5, v1
	v_and_b32_e32 v0, 0xe00, v0
	v_or3_b32 v0, v0, v1, v6
	s_waitcnt vmcnt(0)
	ds_write_b128 v0, v[2:5]
.LBB823_9:
	s_or_b64 exec, exec, s[6:7]
	s_waitcnt lgkmcnt(0)
	s_add_u32 s8, s4, 0x90
	s_addc_u32 s9, s5, 0
	s_getpc_b64 s[4:5]
	s_add_u32 s4, s4, __PRETTY_FUNCTION__._Z39paged_attention_ll4mi_QKV_mfma16_kernelI14__hip_bfloat16hLN4vllm18Fp8KVCacheDataTypeE1ES0_Li32ELi128ELi256ELb0ELi10EL8MFMAType1EEvPKT_PKT0_S9_ifPKiSB_SB_iPKfiiiPfSE_PS4_PT2_iSD_SD_@rel32@lo+4
	s_addc_u32 s5, s5, __PRETTY_FUNCTION__._Z39paged_attention_ll4mi_QKV_mfma16_kernelI14__hip_bfloat16hLN4vllm18Fp8KVCacheDataTypeE1ES0_Li32ELi128ELi256ELb0ELi10EL8MFMAType1EEvPKT_PKT0_S9_ifPKiSB_SB_iPKfiiiPfSE_PS4_PT2_iSD_SD_@rel32@hi+12
	v_mov_b32_e32 v0, 0x288
	v_mov_b32_e32 v1, s4
	;; [unrolled: 1-line block ×3, first 2 shown]
	s_barrier
	s_getpc_b64 s[6:7]
	s_add_u32 s6, s6, __assert_fail@rel32@lo+4
	s_addc_u32 s7, s7, __assert_fail@rel32@hi+12
	s_swappc_b64 s[30:31], s[6:7]
	; divergent unreachable
.LBB823_10:
	s_endpgm
.LBB823_11:
	s_mov_b64 s[18:19], 0
	s_branch .LBB823_2
	.section	.rodata,"a",@progbits
	.p2align	6, 0x0
	.amdhsa_kernel _Z39paged_attention_ll4mi_QKV_mfma16_kernelI14__hip_bfloat16hLN4vllm18Fp8KVCacheDataTypeE1ES0_Li32ELi128ELi256ELb0ELi10EL8MFMAType1EEvPKT_PKT0_S9_ifPKiSB_SB_iPKfiiiPfSE_PS4_PT2_iSD_SD_
		.amdhsa_group_segment_fixed_size 8192
		.amdhsa_private_segment_fixed_size 64
		.amdhsa_kernarg_size 400
		.amdhsa_user_sgpr_count 8
		.amdhsa_user_sgpr_private_segment_buffer 1
		.amdhsa_user_sgpr_dispatch_ptr 0
		.amdhsa_user_sgpr_queue_ptr 0
		.amdhsa_user_sgpr_kernarg_segment_ptr 1
		.amdhsa_user_sgpr_dispatch_id 0
		.amdhsa_user_sgpr_flat_scratch_init 1
		.amdhsa_user_sgpr_kernarg_preload_length 0
		.amdhsa_user_sgpr_kernarg_preload_offset 0
		.amdhsa_user_sgpr_private_segment_size 0
		.amdhsa_uses_dynamic_stack 0
		.amdhsa_system_sgpr_private_segment_wavefront_offset 1
		.amdhsa_system_sgpr_workgroup_id_x 1
		.amdhsa_system_sgpr_workgroup_id_y 1
		.amdhsa_system_sgpr_workgroup_id_z 1
		.amdhsa_system_sgpr_workgroup_info 0
		.amdhsa_system_vgpr_workitem_id 0
		.amdhsa_next_free_vgpr 45
		.amdhsa_next_free_sgpr 34
		.amdhsa_accum_offset 44
		.amdhsa_reserve_vcc 1
		.amdhsa_reserve_flat_scratch 1
		.amdhsa_float_round_mode_32 0
		.amdhsa_float_round_mode_16_64 0
		.amdhsa_float_denorm_mode_32 3
		.amdhsa_float_denorm_mode_16_64 3
		.amdhsa_dx10_clamp 1
		.amdhsa_ieee_mode 1
		.amdhsa_fp16_overflow 0
		.amdhsa_tg_split 0
		.amdhsa_exception_fp_ieee_invalid_op 0
		.amdhsa_exception_fp_denorm_src 0
		.amdhsa_exception_fp_ieee_div_zero 0
		.amdhsa_exception_fp_ieee_overflow 0
		.amdhsa_exception_fp_ieee_underflow 0
		.amdhsa_exception_fp_ieee_inexact 0
		.amdhsa_exception_int_div_zero 0
	.end_amdhsa_kernel
	.section	.text._Z39paged_attention_ll4mi_QKV_mfma16_kernelI14__hip_bfloat16hLN4vllm18Fp8KVCacheDataTypeE1ES0_Li32ELi128ELi256ELb0ELi10EL8MFMAType1EEvPKT_PKT0_S9_ifPKiSB_SB_iPKfiiiPfSE_PS4_PT2_iSD_SD_,"axG",@progbits,_Z39paged_attention_ll4mi_QKV_mfma16_kernelI14__hip_bfloat16hLN4vllm18Fp8KVCacheDataTypeE1ES0_Li32ELi128ELi256ELb0ELi10EL8MFMAType1EEvPKT_PKT0_S9_ifPKiSB_SB_iPKfiiiPfSE_PS4_PT2_iSD_SD_,comdat
.Lfunc_end823:
	.size	_Z39paged_attention_ll4mi_QKV_mfma16_kernelI14__hip_bfloat16hLN4vllm18Fp8KVCacheDataTypeE1ES0_Li32ELi128ELi256ELb0ELi10EL8MFMAType1EEvPKT_PKT0_S9_ifPKiSB_SB_iPKfiiiPfSE_PS4_PT2_iSD_SD_, .Lfunc_end823-_Z39paged_attention_ll4mi_QKV_mfma16_kernelI14__hip_bfloat16hLN4vllm18Fp8KVCacheDataTypeE1ES0_Li32ELi128ELi256ELb0ELi10EL8MFMAType1EEvPKT_PKT0_S9_ifPKiSB_SB_iPKfiiiPfSE_PS4_PT2_iSD_SD_
                                        ; -- End function
	.section	.AMDGPU.csdata,"",@progbits
; Kernel info:
; codeLenInByte = 492
; NumSgprs: 40
; NumVgprs: 42
; NumAgprs: 1
; TotalNumVgprs: 45
; ScratchSize: 64
; MemoryBound: 0
; FloatMode: 240
; IeeeMode: 1
; LDSByteSize: 8192 bytes/workgroup (compile time only)
; SGPRBlocks: 4
; VGPRBlocks: 5
; NumSGPRsForWavesPerEU: 40
; NumVGPRsForWavesPerEU: 45
; AccumOffset: 44
; Occupancy: 8
; WaveLimiterHint : 1
; COMPUTE_PGM_RSRC2:SCRATCH_EN: 1
; COMPUTE_PGM_RSRC2:USER_SGPR: 8
; COMPUTE_PGM_RSRC2:TRAP_HANDLER: 0
; COMPUTE_PGM_RSRC2:TGID_X_EN: 1
; COMPUTE_PGM_RSRC2:TGID_Y_EN: 1
; COMPUTE_PGM_RSRC2:TGID_Z_EN: 1
; COMPUTE_PGM_RSRC2:TIDIG_COMP_CNT: 0
; COMPUTE_PGM_RSRC3_GFX90A:ACCUM_OFFSET: 10
; COMPUTE_PGM_RSRC3_GFX90A:TG_SPLIT: 0
	.section	.text._Z39paged_attention_ll4mi_QKV_mfma16_kernelI14__hip_bfloat16hLN4vllm18Fp8KVCacheDataTypeE1ES0_Li32ELi128ELi256ELb0ELi11EL8MFMAType1EEvPKT_PKT0_S9_ifPKiSB_SB_iPKfiiiPfSE_PS4_PT2_iSD_SD_,"axG",@progbits,_Z39paged_attention_ll4mi_QKV_mfma16_kernelI14__hip_bfloat16hLN4vllm18Fp8KVCacheDataTypeE1ES0_Li32ELi128ELi256ELb0ELi11EL8MFMAType1EEvPKT_PKT0_S9_ifPKiSB_SB_iPKfiiiPfSE_PS4_PT2_iSD_SD_,comdat
	.protected	_Z39paged_attention_ll4mi_QKV_mfma16_kernelI14__hip_bfloat16hLN4vllm18Fp8KVCacheDataTypeE1ES0_Li32ELi128ELi256ELb0ELi11EL8MFMAType1EEvPKT_PKT0_S9_ifPKiSB_SB_iPKfiiiPfSE_PS4_PT2_iSD_SD_ ; -- Begin function _Z39paged_attention_ll4mi_QKV_mfma16_kernelI14__hip_bfloat16hLN4vllm18Fp8KVCacheDataTypeE1ES0_Li32ELi128ELi256ELb0ELi11EL8MFMAType1EEvPKT_PKT0_S9_ifPKiSB_SB_iPKfiiiPfSE_PS4_PT2_iSD_SD_
	.globl	_Z39paged_attention_ll4mi_QKV_mfma16_kernelI14__hip_bfloat16hLN4vllm18Fp8KVCacheDataTypeE1ES0_Li32ELi128ELi256ELb0ELi11EL8MFMAType1EEvPKT_PKT0_S9_ifPKiSB_SB_iPKfiiiPfSE_PS4_PT2_iSD_SD_
	.p2align	8
	.type	_Z39paged_attention_ll4mi_QKV_mfma16_kernelI14__hip_bfloat16hLN4vllm18Fp8KVCacheDataTypeE1ES0_Li32ELi128ELi256ELb0ELi11EL8MFMAType1EEvPKT_PKT0_S9_ifPKiSB_SB_iPKfiiiPfSE_PS4_PT2_iSD_SD_,@function
_Z39paged_attention_ll4mi_QKV_mfma16_kernelI14__hip_bfloat16hLN4vllm18Fp8KVCacheDataTypeE1ES0_Li32ELi128ELi256ELb0ELi11EL8MFMAType1EEvPKT_PKT0_S9_ifPKiSB_SB_iPKfiiiPfSE_PS4_PT2_iSD_SD_: ; @_Z39paged_attention_ll4mi_QKV_mfma16_kernelI14__hip_bfloat16hLN4vllm18Fp8KVCacheDataTypeE1ES0_Li32ELi128ELi256ELb0ELi11EL8MFMAType1EEvPKT_PKT0_S9_ifPKiSB_SB_iPKfiiiPfSE_PS4_PT2_iSD_SD_
; %bb.0:
	s_load_dwordx2 s[12:13], s[4:5], 0x30
	s_add_u32 flat_scratch_lo, s6, s11
	s_addc_u32 flat_scratch_hi, s7, 0
	s_add_u32 s0, s0, s11
	s_addc_u32 s1, s1, 0
	s_waitcnt lgkmcnt(0)
	s_cmp_lg_u64 s[12:13], 0
	s_cselect_b64 s[14:15], -1, 0
	s_mov_b32 s6, s9
	s_mov_b64 s[16:17], 0
	s_and_b64 vcc, exec, s[14:15]
	s_mov_b32 s32, 0
	s_cbranch_vccz .LBB824_11
; %bb.1:
	s_add_i32 s18, s8, 1
	s_mov_b32 s19, 0
	s_lshl_b64 s[20:21], s[18:19], 2
	s_add_u32 s20, s12, s20
	s_mov_b32 s9, s19
	s_addc_u32 s21, s13, s21
	s_lshl_b64 s[18:19], s[8:9], 2
	s_add_u32 s18, s12, s18
	s_addc_u32 s19, s13, s19
	s_load_dword s7, s[20:21], 0x0
	s_load_dword s11, s[18:19], 0x0
	s_waitcnt lgkmcnt(0)
	s_sub_i32 s7, s7, s11
	s_cmp_eq_u32 s7, 1
	s_cselect_b64 s[18:19], -1, 0
	s_andn2_b64 vcc, exec, s[16:17]
	s_cbranch_vccnz .LBB824_3
.LBB824_2:
	s_mov_b32 s9, 0
	s_mov_b64 s[18:19], -1
.LBB824_3:
	s_andn2_b64 vcc, exec, s[18:19]
	s_cbranch_vccnz .LBB824_10
; %bb.4:
	s_load_dwordx2 s[18:19], s[4:5], 0x28
	s_lshl_b64 s[16:17], s[8:9], 2
	s_waitcnt lgkmcnt(0)
	s_add_u32 s18, s18, s16
	s_addc_u32 s19, s19, s17
	s_load_dword s7, s[18:19], 0x0
	s_lshl_b32 s6, s6, 8
	s_waitcnt lgkmcnt(0)
	s_cmp_ge_i32 s6, s7
	s_cbranch_scc1 .LBB824_10
; %bb.5:
	s_andn2_b64 vcc, exec, s[14:15]
	s_cbranch_vccnz .LBB824_7
; %bb.6:
	s_add_u32 s6, s12, s16
	s_addc_u32 s7, s13, s17
	s_load_dword s8, s[6:7], 0x0
.LBB824_7:
	s_movk_i32 s6, 0xb0
	v_cmp_gt_u32_e32 vcc, s6, v0
	s_and_saveexec_b64 s[6:7], vcc
	s_cbranch_execz .LBB824_9
; %bb.8:
	s_load_dword s11, s[4:5], 0x48
	s_load_dwordx2 s[12:13], s[4:5], 0x0
	v_lshrrev_b32_e32 v1, 4, v0
	s_mul_i32 s10, s10, 11
	v_add_lshl_u32 v2, v1, s10, 7
	s_waitcnt lgkmcnt(0)
	s_ashr_i32 s9, s11, 31
	s_mul_hi_u32 s14, s8, s11
	s_mul_i32 s9, s8, s9
	s_add_i32 s9, s14, s9
	s_mul_i32 s8, s8, s11
	s_lshl_b64 s[8:9], s[8:9], 1
	s_add_u32 s8, s12, s8
	v_ashrrev_i32_e32 v3, 31, v2
	s_addc_u32 s9, s13, s9
	v_lshlrev_b64 v[2:3], 1, v[2:3]
	v_and_b32_e32 v4, 15, v0
	v_mov_b32_e32 v5, s9
	v_add_co_u32_e32 v2, vcc, s8, v2
	v_addc_co_u32_e32 v3, vcc, v5, v3, vcc
	v_lshlrev_b32_e32 v4, 4, v4
	v_add_co_u32_e32 v2, vcc, v2, v4
	v_addc_co_u32_e32 v3, vcc, 0, v3, vcc
	global_load_dwordx4 v[2:5], v[2:3], off
	v_lshlrev_b32_e32 v6, 4, v0
	v_lshlrev_b32_e32 v0, 8, v0
	v_and_b32_e32 v6, 16, v6
	v_lshlrev_b32_e32 v1, 5, v1
	v_and_b32_e32 v0, 0xe00, v0
	v_or3_b32 v0, v0, v1, v6
	s_waitcnt vmcnt(0)
	ds_write_b128 v0, v[2:5]
.LBB824_9:
	s_or_b64 exec, exec, s[6:7]
	s_waitcnt lgkmcnt(0)
	s_add_u32 s8, s4, 0x90
	s_addc_u32 s9, s5, 0
	s_getpc_b64 s[4:5]
	s_add_u32 s4, s4, __PRETTY_FUNCTION__._Z39paged_attention_ll4mi_QKV_mfma16_kernelI14__hip_bfloat16hLN4vllm18Fp8KVCacheDataTypeE1ES0_Li32ELi128ELi256ELb0ELi11EL8MFMAType1EEvPKT_PKT0_S9_ifPKiSB_SB_iPKfiiiPfSE_PS4_PT2_iSD_SD_@rel32@lo+4
	s_addc_u32 s5, s5, __PRETTY_FUNCTION__._Z39paged_attention_ll4mi_QKV_mfma16_kernelI14__hip_bfloat16hLN4vllm18Fp8KVCacheDataTypeE1ES0_Li32ELi128ELi256ELb0ELi11EL8MFMAType1EEvPKT_PKT0_S9_ifPKiSB_SB_iPKfiiiPfSE_PS4_PT2_iSD_SD_@rel32@hi+12
	v_mov_b32_e32 v0, 0x288
	v_mov_b32_e32 v1, s4
	;; [unrolled: 1-line block ×3, first 2 shown]
	s_barrier
	s_getpc_b64 s[6:7]
	s_add_u32 s6, s6, __assert_fail@rel32@lo+4
	s_addc_u32 s7, s7, __assert_fail@rel32@hi+12
	s_swappc_b64 s[30:31], s[6:7]
	; divergent unreachable
.LBB824_10:
	s_endpgm
.LBB824_11:
	s_mov_b64 s[18:19], 0
	s_branch .LBB824_2
	.section	.rodata,"a",@progbits
	.p2align	6, 0x0
	.amdhsa_kernel _Z39paged_attention_ll4mi_QKV_mfma16_kernelI14__hip_bfloat16hLN4vllm18Fp8KVCacheDataTypeE1ES0_Li32ELi128ELi256ELb0ELi11EL8MFMAType1EEvPKT_PKT0_S9_ifPKiSB_SB_iPKfiiiPfSE_PS4_PT2_iSD_SD_
		.amdhsa_group_segment_fixed_size 8192
		.amdhsa_private_segment_fixed_size 64
		.amdhsa_kernarg_size 400
		.amdhsa_user_sgpr_count 8
		.amdhsa_user_sgpr_private_segment_buffer 1
		.amdhsa_user_sgpr_dispatch_ptr 0
		.amdhsa_user_sgpr_queue_ptr 0
		.amdhsa_user_sgpr_kernarg_segment_ptr 1
		.amdhsa_user_sgpr_dispatch_id 0
		.amdhsa_user_sgpr_flat_scratch_init 1
		.amdhsa_user_sgpr_kernarg_preload_length 0
		.amdhsa_user_sgpr_kernarg_preload_offset 0
		.amdhsa_user_sgpr_private_segment_size 0
		.amdhsa_uses_dynamic_stack 0
		.amdhsa_system_sgpr_private_segment_wavefront_offset 1
		.amdhsa_system_sgpr_workgroup_id_x 1
		.amdhsa_system_sgpr_workgroup_id_y 1
		.amdhsa_system_sgpr_workgroup_id_z 1
		.amdhsa_system_sgpr_workgroup_info 0
		.amdhsa_system_vgpr_workitem_id 0
		.amdhsa_next_free_vgpr 45
		.amdhsa_next_free_sgpr 34
		.amdhsa_accum_offset 44
		.amdhsa_reserve_vcc 1
		.amdhsa_reserve_flat_scratch 1
		.amdhsa_float_round_mode_32 0
		.amdhsa_float_round_mode_16_64 0
		.amdhsa_float_denorm_mode_32 3
		.amdhsa_float_denorm_mode_16_64 3
		.amdhsa_dx10_clamp 1
		.amdhsa_ieee_mode 1
		.amdhsa_fp16_overflow 0
		.amdhsa_tg_split 0
		.amdhsa_exception_fp_ieee_invalid_op 0
		.amdhsa_exception_fp_denorm_src 0
		.amdhsa_exception_fp_ieee_div_zero 0
		.amdhsa_exception_fp_ieee_overflow 0
		.amdhsa_exception_fp_ieee_underflow 0
		.amdhsa_exception_fp_ieee_inexact 0
		.amdhsa_exception_int_div_zero 0
	.end_amdhsa_kernel
	.section	.text._Z39paged_attention_ll4mi_QKV_mfma16_kernelI14__hip_bfloat16hLN4vllm18Fp8KVCacheDataTypeE1ES0_Li32ELi128ELi256ELb0ELi11EL8MFMAType1EEvPKT_PKT0_S9_ifPKiSB_SB_iPKfiiiPfSE_PS4_PT2_iSD_SD_,"axG",@progbits,_Z39paged_attention_ll4mi_QKV_mfma16_kernelI14__hip_bfloat16hLN4vllm18Fp8KVCacheDataTypeE1ES0_Li32ELi128ELi256ELb0ELi11EL8MFMAType1EEvPKT_PKT0_S9_ifPKiSB_SB_iPKfiiiPfSE_PS4_PT2_iSD_SD_,comdat
.Lfunc_end824:
	.size	_Z39paged_attention_ll4mi_QKV_mfma16_kernelI14__hip_bfloat16hLN4vllm18Fp8KVCacheDataTypeE1ES0_Li32ELi128ELi256ELb0ELi11EL8MFMAType1EEvPKT_PKT0_S9_ifPKiSB_SB_iPKfiiiPfSE_PS4_PT2_iSD_SD_, .Lfunc_end824-_Z39paged_attention_ll4mi_QKV_mfma16_kernelI14__hip_bfloat16hLN4vllm18Fp8KVCacheDataTypeE1ES0_Li32ELi128ELi256ELb0ELi11EL8MFMAType1EEvPKT_PKT0_S9_ifPKiSB_SB_iPKfiiiPfSE_PS4_PT2_iSD_SD_
                                        ; -- End function
	.section	.AMDGPU.csdata,"",@progbits
; Kernel info:
; codeLenInByte = 492
; NumSgprs: 40
; NumVgprs: 42
; NumAgprs: 1
; TotalNumVgprs: 45
; ScratchSize: 64
; MemoryBound: 0
; FloatMode: 240
; IeeeMode: 1
; LDSByteSize: 8192 bytes/workgroup (compile time only)
; SGPRBlocks: 4
; VGPRBlocks: 5
; NumSGPRsForWavesPerEU: 40
; NumVGPRsForWavesPerEU: 45
; AccumOffset: 44
; Occupancy: 8
; WaveLimiterHint : 1
; COMPUTE_PGM_RSRC2:SCRATCH_EN: 1
; COMPUTE_PGM_RSRC2:USER_SGPR: 8
; COMPUTE_PGM_RSRC2:TRAP_HANDLER: 0
; COMPUTE_PGM_RSRC2:TGID_X_EN: 1
; COMPUTE_PGM_RSRC2:TGID_Y_EN: 1
; COMPUTE_PGM_RSRC2:TGID_Z_EN: 1
; COMPUTE_PGM_RSRC2:TIDIG_COMP_CNT: 0
; COMPUTE_PGM_RSRC3_GFX90A:ACCUM_OFFSET: 10
; COMPUTE_PGM_RSRC3_GFX90A:TG_SPLIT: 0
	.section	.text._Z39paged_attention_ll4mi_QKV_mfma16_kernelI14__hip_bfloat16hLN4vllm18Fp8KVCacheDataTypeE1ES0_Li32ELi128ELi256ELb0ELi12EL8MFMAType1EEvPKT_PKT0_S9_ifPKiSB_SB_iPKfiiiPfSE_PS4_PT2_iSD_SD_,"axG",@progbits,_Z39paged_attention_ll4mi_QKV_mfma16_kernelI14__hip_bfloat16hLN4vllm18Fp8KVCacheDataTypeE1ES0_Li32ELi128ELi256ELb0ELi12EL8MFMAType1EEvPKT_PKT0_S9_ifPKiSB_SB_iPKfiiiPfSE_PS4_PT2_iSD_SD_,comdat
	.protected	_Z39paged_attention_ll4mi_QKV_mfma16_kernelI14__hip_bfloat16hLN4vllm18Fp8KVCacheDataTypeE1ES0_Li32ELi128ELi256ELb0ELi12EL8MFMAType1EEvPKT_PKT0_S9_ifPKiSB_SB_iPKfiiiPfSE_PS4_PT2_iSD_SD_ ; -- Begin function _Z39paged_attention_ll4mi_QKV_mfma16_kernelI14__hip_bfloat16hLN4vllm18Fp8KVCacheDataTypeE1ES0_Li32ELi128ELi256ELb0ELi12EL8MFMAType1EEvPKT_PKT0_S9_ifPKiSB_SB_iPKfiiiPfSE_PS4_PT2_iSD_SD_
	.globl	_Z39paged_attention_ll4mi_QKV_mfma16_kernelI14__hip_bfloat16hLN4vllm18Fp8KVCacheDataTypeE1ES0_Li32ELi128ELi256ELb0ELi12EL8MFMAType1EEvPKT_PKT0_S9_ifPKiSB_SB_iPKfiiiPfSE_PS4_PT2_iSD_SD_
	.p2align	8
	.type	_Z39paged_attention_ll4mi_QKV_mfma16_kernelI14__hip_bfloat16hLN4vllm18Fp8KVCacheDataTypeE1ES0_Li32ELi128ELi256ELb0ELi12EL8MFMAType1EEvPKT_PKT0_S9_ifPKiSB_SB_iPKfiiiPfSE_PS4_PT2_iSD_SD_,@function
_Z39paged_attention_ll4mi_QKV_mfma16_kernelI14__hip_bfloat16hLN4vllm18Fp8KVCacheDataTypeE1ES0_Li32ELi128ELi256ELb0ELi12EL8MFMAType1EEvPKT_PKT0_S9_ifPKiSB_SB_iPKfiiiPfSE_PS4_PT2_iSD_SD_: ; @_Z39paged_attention_ll4mi_QKV_mfma16_kernelI14__hip_bfloat16hLN4vllm18Fp8KVCacheDataTypeE1ES0_Li32ELi128ELi256ELb0ELi12EL8MFMAType1EEvPKT_PKT0_S9_ifPKiSB_SB_iPKfiiiPfSE_PS4_PT2_iSD_SD_
; %bb.0:
	s_load_dwordx2 s[12:13], s[4:5], 0x30
	s_add_u32 flat_scratch_lo, s6, s11
	s_addc_u32 flat_scratch_hi, s7, 0
	s_add_u32 s0, s0, s11
	s_addc_u32 s1, s1, 0
	s_waitcnt lgkmcnt(0)
	s_cmp_lg_u64 s[12:13], 0
	s_cselect_b64 s[14:15], -1, 0
	s_mov_b32 s6, s9
	s_mov_b64 s[16:17], 0
	s_and_b64 vcc, exec, s[14:15]
	s_mov_b32 s32, 0
	s_cbranch_vccz .LBB825_11
; %bb.1:
	s_add_i32 s18, s8, 1
	s_mov_b32 s19, 0
	s_lshl_b64 s[20:21], s[18:19], 2
	s_add_u32 s20, s12, s20
	s_mov_b32 s9, s19
	s_addc_u32 s21, s13, s21
	s_lshl_b64 s[18:19], s[8:9], 2
	s_add_u32 s18, s12, s18
	s_addc_u32 s19, s13, s19
	s_load_dword s7, s[20:21], 0x0
	s_load_dword s11, s[18:19], 0x0
	s_waitcnt lgkmcnt(0)
	s_sub_i32 s7, s7, s11
	s_cmp_eq_u32 s7, 1
	s_cselect_b64 s[18:19], -1, 0
	s_andn2_b64 vcc, exec, s[16:17]
	s_cbranch_vccnz .LBB825_3
.LBB825_2:
	s_mov_b32 s9, 0
	s_mov_b64 s[18:19], -1
.LBB825_3:
	s_andn2_b64 vcc, exec, s[18:19]
	s_cbranch_vccnz .LBB825_10
; %bb.4:
	s_load_dwordx2 s[18:19], s[4:5], 0x28
	s_lshl_b64 s[16:17], s[8:9], 2
	s_waitcnt lgkmcnt(0)
	s_add_u32 s18, s18, s16
	s_addc_u32 s19, s19, s17
	s_load_dword s7, s[18:19], 0x0
	s_lshl_b32 s6, s6, 8
	s_waitcnt lgkmcnt(0)
	s_cmp_ge_i32 s6, s7
	s_cbranch_scc1 .LBB825_10
; %bb.5:
	s_andn2_b64 vcc, exec, s[14:15]
	s_cbranch_vccnz .LBB825_7
; %bb.6:
	s_add_u32 s6, s12, s16
	s_addc_u32 s7, s13, s17
	s_load_dword s8, s[6:7], 0x0
.LBB825_7:
	s_movk_i32 s6, 0xc0
	v_cmp_gt_u32_e32 vcc, s6, v0
	s_and_saveexec_b64 s[6:7], vcc
	s_cbranch_execz .LBB825_9
; %bb.8:
	s_load_dword s11, s[4:5], 0x48
	s_load_dwordx2 s[12:13], s[4:5], 0x0
	v_lshrrev_b32_e32 v1, 4, v0
	s_mul_i32 s10, s10, 12
	v_add_lshl_u32 v2, v1, s10, 7
	s_waitcnt lgkmcnt(0)
	s_ashr_i32 s9, s11, 31
	s_mul_hi_u32 s14, s8, s11
	s_mul_i32 s9, s8, s9
	s_add_i32 s9, s14, s9
	s_mul_i32 s8, s8, s11
	s_lshl_b64 s[8:9], s[8:9], 1
	s_add_u32 s8, s12, s8
	v_ashrrev_i32_e32 v3, 31, v2
	s_addc_u32 s9, s13, s9
	v_lshlrev_b64 v[2:3], 1, v[2:3]
	v_and_b32_e32 v4, 15, v0
	v_mov_b32_e32 v5, s9
	v_add_co_u32_e32 v2, vcc, s8, v2
	v_addc_co_u32_e32 v3, vcc, v5, v3, vcc
	v_lshlrev_b32_e32 v4, 4, v4
	v_add_co_u32_e32 v2, vcc, v2, v4
	v_addc_co_u32_e32 v3, vcc, 0, v3, vcc
	global_load_dwordx4 v[2:5], v[2:3], off
	v_lshlrev_b32_e32 v6, 4, v0
	v_lshlrev_b32_e32 v0, 8, v0
	v_and_b32_e32 v6, 16, v6
	v_lshlrev_b32_e32 v1, 5, v1
	v_and_b32_e32 v0, 0xe00, v0
	v_or3_b32 v0, v0, v1, v6
	s_waitcnt vmcnt(0)
	ds_write_b128 v0, v[2:5]
.LBB825_9:
	s_or_b64 exec, exec, s[6:7]
	s_waitcnt lgkmcnt(0)
	s_add_u32 s8, s4, 0x90
	s_addc_u32 s9, s5, 0
	s_getpc_b64 s[4:5]
	s_add_u32 s4, s4, __PRETTY_FUNCTION__._Z39paged_attention_ll4mi_QKV_mfma16_kernelI14__hip_bfloat16hLN4vllm18Fp8KVCacheDataTypeE1ES0_Li32ELi128ELi256ELb0ELi12EL8MFMAType1EEvPKT_PKT0_S9_ifPKiSB_SB_iPKfiiiPfSE_PS4_PT2_iSD_SD_@rel32@lo+4
	s_addc_u32 s5, s5, __PRETTY_FUNCTION__._Z39paged_attention_ll4mi_QKV_mfma16_kernelI14__hip_bfloat16hLN4vllm18Fp8KVCacheDataTypeE1ES0_Li32ELi128ELi256ELb0ELi12EL8MFMAType1EEvPKT_PKT0_S9_ifPKiSB_SB_iPKfiiiPfSE_PS4_PT2_iSD_SD_@rel32@hi+12
	v_mov_b32_e32 v0, 0x288
	v_mov_b32_e32 v1, s4
	;; [unrolled: 1-line block ×3, first 2 shown]
	s_barrier
	s_getpc_b64 s[6:7]
	s_add_u32 s6, s6, __assert_fail@rel32@lo+4
	s_addc_u32 s7, s7, __assert_fail@rel32@hi+12
	s_swappc_b64 s[30:31], s[6:7]
	; divergent unreachable
.LBB825_10:
	s_endpgm
.LBB825_11:
	s_mov_b64 s[18:19], 0
	s_branch .LBB825_2
	.section	.rodata,"a",@progbits
	.p2align	6, 0x0
	.amdhsa_kernel _Z39paged_attention_ll4mi_QKV_mfma16_kernelI14__hip_bfloat16hLN4vllm18Fp8KVCacheDataTypeE1ES0_Li32ELi128ELi256ELb0ELi12EL8MFMAType1EEvPKT_PKT0_S9_ifPKiSB_SB_iPKfiiiPfSE_PS4_PT2_iSD_SD_
		.amdhsa_group_segment_fixed_size 8192
		.amdhsa_private_segment_fixed_size 64
		.amdhsa_kernarg_size 400
		.amdhsa_user_sgpr_count 8
		.amdhsa_user_sgpr_private_segment_buffer 1
		.amdhsa_user_sgpr_dispatch_ptr 0
		.amdhsa_user_sgpr_queue_ptr 0
		.amdhsa_user_sgpr_kernarg_segment_ptr 1
		.amdhsa_user_sgpr_dispatch_id 0
		.amdhsa_user_sgpr_flat_scratch_init 1
		.amdhsa_user_sgpr_kernarg_preload_length 0
		.amdhsa_user_sgpr_kernarg_preload_offset 0
		.amdhsa_user_sgpr_private_segment_size 0
		.amdhsa_uses_dynamic_stack 0
		.amdhsa_system_sgpr_private_segment_wavefront_offset 1
		.amdhsa_system_sgpr_workgroup_id_x 1
		.amdhsa_system_sgpr_workgroup_id_y 1
		.amdhsa_system_sgpr_workgroup_id_z 1
		.amdhsa_system_sgpr_workgroup_info 0
		.amdhsa_system_vgpr_workitem_id 0
		.amdhsa_next_free_vgpr 45
		.amdhsa_next_free_sgpr 34
		.amdhsa_accum_offset 44
		.amdhsa_reserve_vcc 1
		.amdhsa_reserve_flat_scratch 1
		.amdhsa_float_round_mode_32 0
		.amdhsa_float_round_mode_16_64 0
		.amdhsa_float_denorm_mode_32 3
		.amdhsa_float_denorm_mode_16_64 3
		.amdhsa_dx10_clamp 1
		.amdhsa_ieee_mode 1
		.amdhsa_fp16_overflow 0
		.amdhsa_tg_split 0
		.amdhsa_exception_fp_ieee_invalid_op 0
		.amdhsa_exception_fp_denorm_src 0
		.amdhsa_exception_fp_ieee_div_zero 0
		.amdhsa_exception_fp_ieee_overflow 0
		.amdhsa_exception_fp_ieee_underflow 0
		.amdhsa_exception_fp_ieee_inexact 0
		.amdhsa_exception_int_div_zero 0
	.end_amdhsa_kernel
	.section	.text._Z39paged_attention_ll4mi_QKV_mfma16_kernelI14__hip_bfloat16hLN4vllm18Fp8KVCacheDataTypeE1ES0_Li32ELi128ELi256ELb0ELi12EL8MFMAType1EEvPKT_PKT0_S9_ifPKiSB_SB_iPKfiiiPfSE_PS4_PT2_iSD_SD_,"axG",@progbits,_Z39paged_attention_ll4mi_QKV_mfma16_kernelI14__hip_bfloat16hLN4vllm18Fp8KVCacheDataTypeE1ES0_Li32ELi128ELi256ELb0ELi12EL8MFMAType1EEvPKT_PKT0_S9_ifPKiSB_SB_iPKfiiiPfSE_PS4_PT2_iSD_SD_,comdat
.Lfunc_end825:
	.size	_Z39paged_attention_ll4mi_QKV_mfma16_kernelI14__hip_bfloat16hLN4vllm18Fp8KVCacheDataTypeE1ES0_Li32ELi128ELi256ELb0ELi12EL8MFMAType1EEvPKT_PKT0_S9_ifPKiSB_SB_iPKfiiiPfSE_PS4_PT2_iSD_SD_, .Lfunc_end825-_Z39paged_attention_ll4mi_QKV_mfma16_kernelI14__hip_bfloat16hLN4vllm18Fp8KVCacheDataTypeE1ES0_Li32ELi128ELi256ELb0ELi12EL8MFMAType1EEvPKT_PKT0_S9_ifPKiSB_SB_iPKfiiiPfSE_PS4_PT2_iSD_SD_
                                        ; -- End function
	.section	.AMDGPU.csdata,"",@progbits
; Kernel info:
; codeLenInByte = 492
; NumSgprs: 40
; NumVgprs: 42
; NumAgprs: 1
; TotalNumVgprs: 45
; ScratchSize: 64
; MemoryBound: 0
; FloatMode: 240
; IeeeMode: 1
; LDSByteSize: 8192 bytes/workgroup (compile time only)
; SGPRBlocks: 4
; VGPRBlocks: 5
; NumSGPRsForWavesPerEU: 40
; NumVGPRsForWavesPerEU: 45
; AccumOffset: 44
; Occupancy: 8
; WaveLimiterHint : 1
; COMPUTE_PGM_RSRC2:SCRATCH_EN: 1
; COMPUTE_PGM_RSRC2:USER_SGPR: 8
; COMPUTE_PGM_RSRC2:TRAP_HANDLER: 0
; COMPUTE_PGM_RSRC2:TGID_X_EN: 1
; COMPUTE_PGM_RSRC2:TGID_Y_EN: 1
; COMPUTE_PGM_RSRC2:TGID_Z_EN: 1
; COMPUTE_PGM_RSRC2:TIDIG_COMP_CNT: 0
; COMPUTE_PGM_RSRC3_GFX90A:ACCUM_OFFSET: 10
; COMPUTE_PGM_RSRC3_GFX90A:TG_SPLIT: 0
	.section	.text._Z39paged_attention_ll4mi_QKV_mfma16_kernelI14__hip_bfloat16hLN4vllm18Fp8KVCacheDataTypeE1ES0_Li32ELi128ELi256ELb0ELi13EL8MFMAType1EEvPKT_PKT0_S9_ifPKiSB_SB_iPKfiiiPfSE_PS4_PT2_iSD_SD_,"axG",@progbits,_Z39paged_attention_ll4mi_QKV_mfma16_kernelI14__hip_bfloat16hLN4vllm18Fp8KVCacheDataTypeE1ES0_Li32ELi128ELi256ELb0ELi13EL8MFMAType1EEvPKT_PKT0_S9_ifPKiSB_SB_iPKfiiiPfSE_PS4_PT2_iSD_SD_,comdat
	.protected	_Z39paged_attention_ll4mi_QKV_mfma16_kernelI14__hip_bfloat16hLN4vllm18Fp8KVCacheDataTypeE1ES0_Li32ELi128ELi256ELb0ELi13EL8MFMAType1EEvPKT_PKT0_S9_ifPKiSB_SB_iPKfiiiPfSE_PS4_PT2_iSD_SD_ ; -- Begin function _Z39paged_attention_ll4mi_QKV_mfma16_kernelI14__hip_bfloat16hLN4vllm18Fp8KVCacheDataTypeE1ES0_Li32ELi128ELi256ELb0ELi13EL8MFMAType1EEvPKT_PKT0_S9_ifPKiSB_SB_iPKfiiiPfSE_PS4_PT2_iSD_SD_
	.globl	_Z39paged_attention_ll4mi_QKV_mfma16_kernelI14__hip_bfloat16hLN4vllm18Fp8KVCacheDataTypeE1ES0_Li32ELi128ELi256ELb0ELi13EL8MFMAType1EEvPKT_PKT0_S9_ifPKiSB_SB_iPKfiiiPfSE_PS4_PT2_iSD_SD_
	.p2align	8
	.type	_Z39paged_attention_ll4mi_QKV_mfma16_kernelI14__hip_bfloat16hLN4vllm18Fp8KVCacheDataTypeE1ES0_Li32ELi128ELi256ELb0ELi13EL8MFMAType1EEvPKT_PKT0_S9_ifPKiSB_SB_iPKfiiiPfSE_PS4_PT2_iSD_SD_,@function
_Z39paged_attention_ll4mi_QKV_mfma16_kernelI14__hip_bfloat16hLN4vllm18Fp8KVCacheDataTypeE1ES0_Li32ELi128ELi256ELb0ELi13EL8MFMAType1EEvPKT_PKT0_S9_ifPKiSB_SB_iPKfiiiPfSE_PS4_PT2_iSD_SD_: ; @_Z39paged_attention_ll4mi_QKV_mfma16_kernelI14__hip_bfloat16hLN4vllm18Fp8KVCacheDataTypeE1ES0_Li32ELi128ELi256ELb0ELi13EL8MFMAType1EEvPKT_PKT0_S9_ifPKiSB_SB_iPKfiiiPfSE_PS4_PT2_iSD_SD_
; %bb.0:
	s_load_dwordx2 s[12:13], s[4:5], 0x30
	s_add_u32 flat_scratch_lo, s6, s11
	s_addc_u32 flat_scratch_hi, s7, 0
	s_add_u32 s0, s0, s11
	s_addc_u32 s1, s1, 0
	s_waitcnt lgkmcnt(0)
	s_cmp_lg_u64 s[12:13], 0
	s_cselect_b64 s[14:15], -1, 0
	s_mov_b32 s6, s9
	s_mov_b64 s[16:17], 0
	s_and_b64 vcc, exec, s[14:15]
	s_mov_b32 s32, 0
	s_cbranch_vccz .LBB826_11
; %bb.1:
	s_add_i32 s18, s8, 1
	s_mov_b32 s19, 0
	s_lshl_b64 s[20:21], s[18:19], 2
	s_add_u32 s20, s12, s20
	s_mov_b32 s9, s19
	s_addc_u32 s21, s13, s21
	s_lshl_b64 s[18:19], s[8:9], 2
	s_add_u32 s18, s12, s18
	s_addc_u32 s19, s13, s19
	s_load_dword s7, s[20:21], 0x0
	s_load_dword s11, s[18:19], 0x0
	s_waitcnt lgkmcnt(0)
	s_sub_i32 s7, s7, s11
	s_cmp_eq_u32 s7, 1
	s_cselect_b64 s[18:19], -1, 0
	s_andn2_b64 vcc, exec, s[16:17]
	s_cbranch_vccnz .LBB826_3
.LBB826_2:
	s_mov_b32 s9, 0
	s_mov_b64 s[18:19], -1
.LBB826_3:
	s_andn2_b64 vcc, exec, s[18:19]
	s_cbranch_vccnz .LBB826_10
; %bb.4:
	s_load_dwordx2 s[18:19], s[4:5], 0x28
	s_lshl_b64 s[16:17], s[8:9], 2
	s_waitcnt lgkmcnt(0)
	s_add_u32 s18, s18, s16
	s_addc_u32 s19, s19, s17
	s_load_dword s7, s[18:19], 0x0
	s_lshl_b32 s6, s6, 8
	s_waitcnt lgkmcnt(0)
	s_cmp_ge_i32 s6, s7
	s_cbranch_scc1 .LBB826_10
; %bb.5:
	s_andn2_b64 vcc, exec, s[14:15]
	s_cbranch_vccnz .LBB826_7
; %bb.6:
	s_add_u32 s6, s12, s16
	s_addc_u32 s7, s13, s17
	s_load_dword s8, s[6:7], 0x0
.LBB826_7:
	s_movk_i32 s6, 0xd0
	v_cmp_gt_u32_e32 vcc, s6, v0
	s_and_saveexec_b64 s[6:7], vcc
	s_cbranch_execz .LBB826_9
; %bb.8:
	s_load_dword s11, s[4:5], 0x48
	s_load_dwordx2 s[12:13], s[4:5], 0x0
	v_lshrrev_b32_e32 v1, 4, v0
	s_mul_i32 s10, s10, 13
	v_add_lshl_u32 v2, v1, s10, 7
	s_waitcnt lgkmcnt(0)
	s_ashr_i32 s9, s11, 31
	s_mul_hi_u32 s14, s8, s11
	s_mul_i32 s9, s8, s9
	s_add_i32 s9, s14, s9
	s_mul_i32 s8, s8, s11
	s_lshl_b64 s[8:9], s[8:9], 1
	s_add_u32 s8, s12, s8
	v_ashrrev_i32_e32 v3, 31, v2
	s_addc_u32 s9, s13, s9
	v_lshlrev_b64 v[2:3], 1, v[2:3]
	v_and_b32_e32 v4, 15, v0
	v_mov_b32_e32 v5, s9
	v_add_co_u32_e32 v2, vcc, s8, v2
	v_addc_co_u32_e32 v3, vcc, v5, v3, vcc
	v_lshlrev_b32_e32 v4, 4, v4
	v_add_co_u32_e32 v2, vcc, v2, v4
	v_addc_co_u32_e32 v3, vcc, 0, v3, vcc
	global_load_dwordx4 v[2:5], v[2:3], off
	v_lshlrev_b32_e32 v6, 4, v0
	v_lshlrev_b32_e32 v0, 8, v0
	v_and_b32_e32 v6, 16, v6
	v_lshlrev_b32_e32 v1, 5, v1
	v_and_b32_e32 v0, 0xe00, v0
	v_or3_b32 v0, v0, v1, v6
	s_waitcnt vmcnt(0)
	ds_write_b128 v0, v[2:5]
.LBB826_9:
	s_or_b64 exec, exec, s[6:7]
	s_waitcnt lgkmcnt(0)
	s_add_u32 s8, s4, 0x90
	s_addc_u32 s9, s5, 0
	s_getpc_b64 s[4:5]
	s_add_u32 s4, s4, __PRETTY_FUNCTION__._Z39paged_attention_ll4mi_QKV_mfma16_kernelI14__hip_bfloat16hLN4vllm18Fp8KVCacheDataTypeE1ES0_Li32ELi128ELi256ELb0ELi13EL8MFMAType1EEvPKT_PKT0_S9_ifPKiSB_SB_iPKfiiiPfSE_PS4_PT2_iSD_SD_@rel32@lo+4
	s_addc_u32 s5, s5, __PRETTY_FUNCTION__._Z39paged_attention_ll4mi_QKV_mfma16_kernelI14__hip_bfloat16hLN4vllm18Fp8KVCacheDataTypeE1ES0_Li32ELi128ELi256ELb0ELi13EL8MFMAType1EEvPKT_PKT0_S9_ifPKiSB_SB_iPKfiiiPfSE_PS4_PT2_iSD_SD_@rel32@hi+12
	v_mov_b32_e32 v0, 0x288
	v_mov_b32_e32 v1, s4
	;; [unrolled: 1-line block ×3, first 2 shown]
	s_barrier
	s_getpc_b64 s[6:7]
	s_add_u32 s6, s6, __assert_fail@rel32@lo+4
	s_addc_u32 s7, s7, __assert_fail@rel32@hi+12
	s_swappc_b64 s[30:31], s[6:7]
	; divergent unreachable
.LBB826_10:
	s_endpgm
.LBB826_11:
	s_mov_b64 s[18:19], 0
	s_branch .LBB826_2
	.section	.rodata,"a",@progbits
	.p2align	6, 0x0
	.amdhsa_kernel _Z39paged_attention_ll4mi_QKV_mfma16_kernelI14__hip_bfloat16hLN4vllm18Fp8KVCacheDataTypeE1ES0_Li32ELi128ELi256ELb0ELi13EL8MFMAType1EEvPKT_PKT0_S9_ifPKiSB_SB_iPKfiiiPfSE_PS4_PT2_iSD_SD_
		.amdhsa_group_segment_fixed_size 8192
		.amdhsa_private_segment_fixed_size 64
		.amdhsa_kernarg_size 400
		.amdhsa_user_sgpr_count 8
		.amdhsa_user_sgpr_private_segment_buffer 1
		.amdhsa_user_sgpr_dispatch_ptr 0
		.amdhsa_user_sgpr_queue_ptr 0
		.amdhsa_user_sgpr_kernarg_segment_ptr 1
		.amdhsa_user_sgpr_dispatch_id 0
		.amdhsa_user_sgpr_flat_scratch_init 1
		.amdhsa_user_sgpr_kernarg_preload_length 0
		.amdhsa_user_sgpr_kernarg_preload_offset 0
		.amdhsa_user_sgpr_private_segment_size 0
		.amdhsa_uses_dynamic_stack 0
		.amdhsa_system_sgpr_private_segment_wavefront_offset 1
		.amdhsa_system_sgpr_workgroup_id_x 1
		.amdhsa_system_sgpr_workgroup_id_y 1
		.amdhsa_system_sgpr_workgroup_id_z 1
		.amdhsa_system_sgpr_workgroup_info 0
		.amdhsa_system_vgpr_workitem_id 0
		.amdhsa_next_free_vgpr 45
		.amdhsa_next_free_sgpr 34
		.amdhsa_accum_offset 44
		.amdhsa_reserve_vcc 1
		.amdhsa_reserve_flat_scratch 1
		.amdhsa_float_round_mode_32 0
		.amdhsa_float_round_mode_16_64 0
		.amdhsa_float_denorm_mode_32 3
		.amdhsa_float_denorm_mode_16_64 3
		.amdhsa_dx10_clamp 1
		.amdhsa_ieee_mode 1
		.amdhsa_fp16_overflow 0
		.amdhsa_tg_split 0
		.amdhsa_exception_fp_ieee_invalid_op 0
		.amdhsa_exception_fp_denorm_src 0
		.amdhsa_exception_fp_ieee_div_zero 0
		.amdhsa_exception_fp_ieee_overflow 0
		.amdhsa_exception_fp_ieee_underflow 0
		.amdhsa_exception_fp_ieee_inexact 0
		.amdhsa_exception_int_div_zero 0
	.end_amdhsa_kernel
	.section	.text._Z39paged_attention_ll4mi_QKV_mfma16_kernelI14__hip_bfloat16hLN4vllm18Fp8KVCacheDataTypeE1ES0_Li32ELi128ELi256ELb0ELi13EL8MFMAType1EEvPKT_PKT0_S9_ifPKiSB_SB_iPKfiiiPfSE_PS4_PT2_iSD_SD_,"axG",@progbits,_Z39paged_attention_ll4mi_QKV_mfma16_kernelI14__hip_bfloat16hLN4vllm18Fp8KVCacheDataTypeE1ES0_Li32ELi128ELi256ELb0ELi13EL8MFMAType1EEvPKT_PKT0_S9_ifPKiSB_SB_iPKfiiiPfSE_PS4_PT2_iSD_SD_,comdat
.Lfunc_end826:
	.size	_Z39paged_attention_ll4mi_QKV_mfma16_kernelI14__hip_bfloat16hLN4vllm18Fp8KVCacheDataTypeE1ES0_Li32ELi128ELi256ELb0ELi13EL8MFMAType1EEvPKT_PKT0_S9_ifPKiSB_SB_iPKfiiiPfSE_PS4_PT2_iSD_SD_, .Lfunc_end826-_Z39paged_attention_ll4mi_QKV_mfma16_kernelI14__hip_bfloat16hLN4vllm18Fp8KVCacheDataTypeE1ES0_Li32ELi128ELi256ELb0ELi13EL8MFMAType1EEvPKT_PKT0_S9_ifPKiSB_SB_iPKfiiiPfSE_PS4_PT2_iSD_SD_
                                        ; -- End function
	.section	.AMDGPU.csdata,"",@progbits
; Kernel info:
; codeLenInByte = 492
; NumSgprs: 40
; NumVgprs: 42
; NumAgprs: 1
; TotalNumVgprs: 45
; ScratchSize: 64
; MemoryBound: 0
; FloatMode: 240
; IeeeMode: 1
; LDSByteSize: 8192 bytes/workgroup (compile time only)
; SGPRBlocks: 4
; VGPRBlocks: 5
; NumSGPRsForWavesPerEU: 40
; NumVGPRsForWavesPerEU: 45
; AccumOffset: 44
; Occupancy: 8
; WaveLimiterHint : 1
; COMPUTE_PGM_RSRC2:SCRATCH_EN: 1
; COMPUTE_PGM_RSRC2:USER_SGPR: 8
; COMPUTE_PGM_RSRC2:TRAP_HANDLER: 0
; COMPUTE_PGM_RSRC2:TGID_X_EN: 1
; COMPUTE_PGM_RSRC2:TGID_Y_EN: 1
; COMPUTE_PGM_RSRC2:TGID_Z_EN: 1
; COMPUTE_PGM_RSRC2:TIDIG_COMP_CNT: 0
; COMPUTE_PGM_RSRC3_GFX90A:ACCUM_OFFSET: 10
; COMPUTE_PGM_RSRC3_GFX90A:TG_SPLIT: 0
	.section	.text._Z39paged_attention_ll4mi_QKV_mfma16_kernelI14__hip_bfloat16hLN4vllm18Fp8KVCacheDataTypeE1ES0_Li32ELi128ELi256ELb0ELi14EL8MFMAType1EEvPKT_PKT0_S9_ifPKiSB_SB_iPKfiiiPfSE_PS4_PT2_iSD_SD_,"axG",@progbits,_Z39paged_attention_ll4mi_QKV_mfma16_kernelI14__hip_bfloat16hLN4vllm18Fp8KVCacheDataTypeE1ES0_Li32ELi128ELi256ELb0ELi14EL8MFMAType1EEvPKT_PKT0_S9_ifPKiSB_SB_iPKfiiiPfSE_PS4_PT2_iSD_SD_,comdat
	.protected	_Z39paged_attention_ll4mi_QKV_mfma16_kernelI14__hip_bfloat16hLN4vllm18Fp8KVCacheDataTypeE1ES0_Li32ELi128ELi256ELb0ELi14EL8MFMAType1EEvPKT_PKT0_S9_ifPKiSB_SB_iPKfiiiPfSE_PS4_PT2_iSD_SD_ ; -- Begin function _Z39paged_attention_ll4mi_QKV_mfma16_kernelI14__hip_bfloat16hLN4vllm18Fp8KVCacheDataTypeE1ES0_Li32ELi128ELi256ELb0ELi14EL8MFMAType1EEvPKT_PKT0_S9_ifPKiSB_SB_iPKfiiiPfSE_PS4_PT2_iSD_SD_
	.globl	_Z39paged_attention_ll4mi_QKV_mfma16_kernelI14__hip_bfloat16hLN4vllm18Fp8KVCacheDataTypeE1ES0_Li32ELi128ELi256ELb0ELi14EL8MFMAType1EEvPKT_PKT0_S9_ifPKiSB_SB_iPKfiiiPfSE_PS4_PT2_iSD_SD_
	.p2align	8
	.type	_Z39paged_attention_ll4mi_QKV_mfma16_kernelI14__hip_bfloat16hLN4vllm18Fp8KVCacheDataTypeE1ES0_Li32ELi128ELi256ELb0ELi14EL8MFMAType1EEvPKT_PKT0_S9_ifPKiSB_SB_iPKfiiiPfSE_PS4_PT2_iSD_SD_,@function
_Z39paged_attention_ll4mi_QKV_mfma16_kernelI14__hip_bfloat16hLN4vllm18Fp8KVCacheDataTypeE1ES0_Li32ELi128ELi256ELb0ELi14EL8MFMAType1EEvPKT_PKT0_S9_ifPKiSB_SB_iPKfiiiPfSE_PS4_PT2_iSD_SD_: ; @_Z39paged_attention_ll4mi_QKV_mfma16_kernelI14__hip_bfloat16hLN4vllm18Fp8KVCacheDataTypeE1ES0_Li32ELi128ELi256ELb0ELi14EL8MFMAType1EEvPKT_PKT0_S9_ifPKiSB_SB_iPKfiiiPfSE_PS4_PT2_iSD_SD_
; %bb.0:
	s_load_dwordx2 s[12:13], s[4:5], 0x30
	s_add_u32 flat_scratch_lo, s6, s11
	s_addc_u32 flat_scratch_hi, s7, 0
	s_add_u32 s0, s0, s11
	s_addc_u32 s1, s1, 0
	s_waitcnt lgkmcnt(0)
	s_cmp_lg_u64 s[12:13], 0
	s_cselect_b64 s[14:15], -1, 0
	s_mov_b32 s6, s9
	s_mov_b64 s[16:17], 0
	s_and_b64 vcc, exec, s[14:15]
	s_mov_b32 s32, 0
	s_cbranch_vccz .LBB827_11
; %bb.1:
	s_add_i32 s18, s8, 1
	s_mov_b32 s19, 0
	s_lshl_b64 s[20:21], s[18:19], 2
	s_add_u32 s20, s12, s20
	s_mov_b32 s9, s19
	s_addc_u32 s21, s13, s21
	s_lshl_b64 s[18:19], s[8:9], 2
	s_add_u32 s18, s12, s18
	s_addc_u32 s19, s13, s19
	s_load_dword s7, s[20:21], 0x0
	s_load_dword s11, s[18:19], 0x0
	s_waitcnt lgkmcnt(0)
	s_sub_i32 s7, s7, s11
	s_cmp_eq_u32 s7, 1
	s_cselect_b64 s[18:19], -1, 0
	s_andn2_b64 vcc, exec, s[16:17]
	s_cbranch_vccnz .LBB827_3
.LBB827_2:
	s_mov_b32 s9, 0
	s_mov_b64 s[18:19], -1
.LBB827_3:
	s_andn2_b64 vcc, exec, s[18:19]
	s_cbranch_vccnz .LBB827_10
; %bb.4:
	s_load_dwordx2 s[18:19], s[4:5], 0x28
	s_lshl_b64 s[16:17], s[8:9], 2
	s_waitcnt lgkmcnt(0)
	s_add_u32 s18, s18, s16
	s_addc_u32 s19, s19, s17
	s_load_dword s7, s[18:19], 0x0
	s_lshl_b32 s6, s6, 8
	s_waitcnt lgkmcnt(0)
	s_cmp_ge_i32 s6, s7
	s_cbranch_scc1 .LBB827_10
; %bb.5:
	s_andn2_b64 vcc, exec, s[14:15]
	s_cbranch_vccnz .LBB827_7
; %bb.6:
	s_add_u32 s6, s12, s16
	s_addc_u32 s7, s13, s17
	s_load_dword s8, s[6:7], 0x0
.LBB827_7:
	s_movk_i32 s6, 0xe0
	v_cmp_gt_u32_e32 vcc, s6, v0
	s_and_saveexec_b64 s[6:7], vcc
	s_cbranch_execz .LBB827_9
; %bb.8:
	s_load_dword s11, s[4:5], 0x48
	s_load_dwordx2 s[12:13], s[4:5], 0x0
	v_lshrrev_b32_e32 v1, 4, v0
	s_mul_i32 s10, s10, 14
	v_add_lshl_u32 v2, v1, s10, 7
	s_waitcnt lgkmcnt(0)
	s_ashr_i32 s9, s11, 31
	s_mul_hi_u32 s14, s8, s11
	s_mul_i32 s9, s8, s9
	s_add_i32 s9, s14, s9
	s_mul_i32 s8, s8, s11
	s_lshl_b64 s[8:9], s[8:9], 1
	s_add_u32 s8, s12, s8
	v_ashrrev_i32_e32 v3, 31, v2
	s_addc_u32 s9, s13, s9
	v_lshlrev_b64 v[2:3], 1, v[2:3]
	v_and_b32_e32 v4, 15, v0
	v_mov_b32_e32 v5, s9
	v_add_co_u32_e32 v2, vcc, s8, v2
	v_addc_co_u32_e32 v3, vcc, v5, v3, vcc
	v_lshlrev_b32_e32 v4, 4, v4
	v_add_co_u32_e32 v2, vcc, v2, v4
	v_addc_co_u32_e32 v3, vcc, 0, v3, vcc
	global_load_dwordx4 v[2:5], v[2:3], off
	v_lshlrev_b32_e32 v6, 4, v0
	v_lshlrev_b32_e32 v0, 8, v0
	v_and_b32_e32 v6, 16, v6
	v_lshlrev_b32_e32 v1, 5, v1
	v_and_b32_e32 v0, 0xe00, v0
	v_or3_b32 v0, v0, v1, v6
	s_waitcnt vmcnt(0)
	ds_write_b128 v0, v[2:5]
.LBB827_9:
	s_or_b64 exec, exec, s[6:7]
	s_waitcnt lgkmcnt(0)
	s_add_u32 s8, s4, 0x90
	s_addc_u32 s9, s5, 0
	s_getpc_b64 s[4:5]
	s_add_u32 s4, s4, __PRETTY_FUNCTION__._Z39paged_attention_ll4mi_QKV_mfma16_kernelI14__hip_bfloat16hLN4vllm18Fp8KVCacheDataTypeE1ES0_Li32ELi128ELi256ELb0ELi14EL8MFMAType1EEvPKT_PKT0_S9_ifPKiSB_SB_iPKfiiiPfSE_PS4_PT2_iSD_SD_@rel32@lo+4
	s_addc_u32 s5, s5, __PRETTY_FUNCTION__._Z39paged_attention_ll4mi_QKV_mfma16_kernelI14__hip_bfloat16hLN4vllm18Fp8KVCacheDataTypeE1ES0_Li32ELi128ELi256ELb0ELi14EL8MFMAType1EEvPKT_PKT0_S9_ifPKiSB_SB_iPKfiiiPfSE_PS4_PT2_iSD_SD_@rel32@hi+12
	v_mov_b32_e32 v0, 0x288
	v_mov_b32_e32 v1, s4
	;; [unrolled: 1-line block ×3, first 2 shown]
	s_barrier
	s_getpc_b64 s[6:7]
	s_add_u32 s6, s6, __assert_fail@rel32@lo+4
	s_addc_u32 s7, s7, __assert_fail@rel32@hi+12
	s_swappc_b64 s[30:31], s[6:7]
	; divergent unreachable
.LBB827_10:
	s_endpgm
.LBB827_11:
	s_mov_b64 s[18:19], 0
	s_branch .LBB827_2
	.section	.rodata,"a",@progbits
	.p2align	6, 0x0
	.amdhsa_kernel _Z39paged_attention_ll4mi_QKV_mfma16_kernelI14__hip_bfloat16hLN4vllm18Fp8KVCacheDataTypeE1ES0_Li32ELi128ELi256ELb0ELi14EL8MFMAType1EEvPKT_PKT0_S9_ifPKiSB_SB_iPKfiiiPfSE_PS4_PT2_iSD_SD_
		.amdhsa_group_segment_fixed_size 8192
		.amdhsa_private_segment_fixed_size 64
		.amdhsa_kernarg_size 400
		.amdhsa_user_sgpr_count 8
		.amdhsa_user_sgpr_private_segment_buffer 1
		.amdhsa_user_sgpr_dispatch_ptr 0
		.amdhsa_user_sgpr_queue_ptr 0
		.amdhsa_user_sgpr_kernarg_segment_ptr 1
		.amdhsa_user_sgpr_dispatch_id 0
		.amdhsa_user_sgpr_flat_scratch_init 1
		.amdhsa_user_sgpr_kernarg_preload_length 0
		.amdhsa_user_sgpr_kernarg_preload_offset 0
		.amdhsa_user_sgpr_private_segment_size 0
		.amdhsa_uses_dynamic_stack 0
		.amdhsa_system_sgpr_private_segment_wavefront_offset 1
		.amdhsa_system_sgpr_workgroup_id_x 1
		.amdhsa_system_sgpr_workgroup_id_y 1
		.amdhsa_system_sgpr_workgroup_id_z 1
		.amdhsa_system_sgpr_workgroup_info 0
		.amdhsa_system_vgpr_workitem_id 0
		.amdhsa_next_free_vgpr 45
		.amdhsa_next_free_sgpr 34
		.amdhsa_accum_offset 44
		.amdhsa_reserve_vcc 1
		.amdhsa_reserve_flat_scratch 1
		.amdhsa_float_round_mode_32 0
		.amdhsa_float_round_mode_16_64 0
		.amdhsa_float_denorm_mode_32 3
		.amdhsa_float_denorm_mode_16_64 3
		.amdhsa_dx10_clamp 1
		.amdhsa_ieee_mode 1
		.amdhsa_fp16_overflow 0
		.amdhsa_tg_split 0
		.amdhsa_exception_fp_ieee_invalid_op 0
		.amdhsa_exception_fp_denorm_src 0
		.amdhsa_exception_fp_ieee_div_zero 0
		.amdhsa_exception_fp_ieee_overflow 0
		.amdhsa_exception_fp_ieee_underflow 0
		.amdhsa_exception_fp_ieee_inexact 0
		.amdhsa_exception_int_div_zero 0
	.end_amdhsa_kernel
	.section	.text._Z39paged_attention_ll4mi_QKV_mfma16_kernelI14__hip_bfloat16hLN4vllm18Fp8KVCacheDataTypeE1ES0_Li32ELi128ELi256ELb0ELi14EL8MFMAType1EEvPKT_PKT0_S9_ifPKiSB_SB_iPKfiiiPfSE_PS4_PT2_iSD_SD_,"axG",@progbits,_Z39paged_attention_ll4mi_QKV_mfma16_kernelI14__hip_bfloat16hLN4vllm18Fp8KVCacheDataTypeE1ES0_Li32ELi128ELi256ELb0ELi14EL8MFMAType1EEvPKT_PKT0_S9_ifPKiSB_SB_iPKfiiiPfSE_PS4_PT2_iSD_SD_,comdat
.Lfunc_end827:
	.size	_Z39paged_attention_ll4mi_QKV_mfma16_kernelI14__hip_bfloat16hLN4vllm18Fp8KVCacheDataTypeE1ES0_Li32ELi128ELi256ELb0ELi14EL8MFMAType1EEvPKT_PKT0_S9_ifPKiSB_SB_iPKfiiiPfSE_PS4_PT2_iSD_SD_, .Lfunc_end827-_Z39paged_attention_ll4mi_QKV_mfma16_kernelI14__hip_bfloat16hLN4vllm18Fp8KVCacheDataTypeE1ES0_Li32ELi128ELi256ELb0ELi14EL8MFMAType1EEvPKT_PKT0_S9_ifPKiSB_SB_iPKfiiiPfSE_PS4_PT2_iSD_SD_
                                        ; -- End function
	.section	.AMDGPU.csdata,"",@progbits
; Kernel info:
; codeLenInByte = 492
; NumSgprs: 40
; NumVgprs: 42
; NumAgprs: 1
; TotalNumVgprs: 45
; ScratchSize: 64
; MemoryBound: 0
; FloatMode: 240
; IeeeMode: 1
; LDSByteSize: 8192 bytes/workgroup (compile time only)
; SGPRBlocks: 4
; VGPRBlocks: 5
; NumSGPRsForWavesPerEU: 40
; NumVGPRsForWavesPerEU: 45
; AccumOffset: 44
; Occupancy: 8
; WaveLimiterHint : 1
; COMPUTE_PGM_RSRC2:SCRATCH_EN: 1
; COMPUTE_PGM_RSRC2:USER_SGPR: 8
; COMPUTE_PGM_RSRC2:TRAP_HANDLER: 0
; COMPUTE_PGM_RSRC2:TGID_X_EN: 1
; COMPUTE_PGM_RSRC2:TGID_Y_EN: 1
; COMPUTE_PGM_RSRC2:TGID_Z_EN: 1
; COMPUTE_PGM_RSRC2:TIDIG_COMP_CNT: 0
; COMPUTE_PGM_RSRC3_GFX90A:ACCUM_OFFSET: 10
; COMPUTE_PGM_RSRC3_GFX90A:TG_SPLIT: 0
	.section	.text._Z39paged_attention_ll4mi_QKV_mfma16_kernelI14__hip_bfloat16hLN4vllm18Fp8KVCacheDataTypeE1ES0_Li32ELi128ELi256ELb0ELi15EL8MFMAType1EEvPKT_PKT0_S9_ifPKiSB_SB_iPKfiiiPfSE_PS4_PT2_iSD_SD_,"axG",@progbits,_Z39paged_attention_ll4mi_QKV_mfma16_kernelI14__hip_bfloat16hLN4vllm18Fp8KVCacheDataTypeE1ES0_Li32ELi128ELi256ELb0ELi15EL8MFMAType1EEvPKT_PKT0_S9_ifPKiSB_SB_iPKfiiiPfSE_PS4_PT2_iSD_SD_,comdat
	.protected	_Z39paged_attention_ll4mi_QKV_mfma16_kernelI14__hip_bfloat16hLN4vllm18Fp8KVCacheDataTypeE1ES0_Li32ELi128ELi256ELb0ELi15EL8MFMAType1EEvPKT_PKT0_S9_ifPKiSB_SB_iPKfiiiPfSE_PS4_PT2_iSD_SD_ ; -- Begin function _Z39paged_attention_ll4mi_QKV_mfma16_kernelI14__hip_bfloat16hLN4vllm18Fp8KVCacheDataTypeE1ES0_Li32ELi128ELi256ELb0ELi15EL8MFMAType1EEvPKT_PKT0_S9_ifPKiSB_SB_iPKfiiiPfSE_PS4_PT2_iSD_SD_
	.globl	_Z39paged_attention_ll4mi_QKV_mfma16_kernelI14__hip_bfloat16hLN4vllm18Fp8KVCacheDataTypeE1ES0_Li32ELi128ELi256ELb0ELi15EL8MFMAType1EEvPKT_PKT0_S9_ifPKiSB_SB_iPKfiiiPfSE_PS4_PT2_iSD_SD_
	.p2align	8
	.type	_Z39paged_attention_ll4mi_QKV_mfma16_kernelI14__hip_bfloat16hLN4vllm18Fp8KVCacheDataTypeE1ES0_Li32ELi128ELi256ELb0ELi15EL8MFMAType1EEvPKT_PKT0_S9_ifPKiSB_SB_iPKfiiiPfSE_PS4_PT2_iSD_SD_,@function
_Z39paged_attention_ll4mi_QKV_mfma16_kernelI14__hip_bfloat16hLN4vllm18Fp8KVCacheDataTypeE1ES0_Li32ELi128ELi256ELb0ELi15EL8MFMAType1EEvPKT_PKT0_S9_ifPKiSB_SB_iPKfiiiPfSE_PS4_PT2_iSD_SD_: ; @_Z39paged_attention_ll4mi_QKV_mfma16_kernelI14__hip_bfloat16hLN4vllm18Fp8KVCacheDataTypeE1ES0_Li32ELi128ELi256ELb0ELi15EL8MFMAType1EEvPKT_PKT0_S9_ifPKiSB_SB_iPKfiiiPfSE_PS4_PT2_iSD_SD_
; %bb.0:
	s_load_dwordx2 s[12:13], s[4:5], 0x30
	s_add_u32 flat_scratch_lo, s6, s11
	s_addc_u32 flat_scratch_hi, s7, 0
	s_add_u32 s0, s0, s11
	s_addc_u32 s1, s1, 0
	s_waitcnt lgkmcnt(0)
	s_cmp_lg_u64 s[12:13], 0
	s_cselect_b64 s[14:15], -1, 0
	s_mov_b32 s6, s9
	s_mov_b64 s[16:17], 0
	s_and_b64 vcc, exec, s[14:15]
	s_mov_b32 s32, 0
	s_cbranch_vccz .LBB828_11
; %bb.1:
	s_add_i32 s18, s8, 1
	s_mov_b32 s19, 0
	s_lshl_b64 s[20:21], s[18:19], 2
	s_add_u32 s20, s12, s20
	s_mov_b32 s9, s19
	s_addc_u32 s21, s13, s21
	s_lshl_b64 s[18:19], s[8:9], 2
	s_add_u32 s18, s12, s18
	s_addc_u32 s19, s13, s19
	s_load_dword s7, s[20:21], 0x0
	s_load_dword s11, s[18:19], 0x0
	s_waitcnt lgkmcnt(0)
	s_sub_i32 s7, s7, s11
	s_cmp_eq_u32 s7, 1
	s_cselect_b64 s[18:19], -1, 0
	s_andn2_b64 vcc, exec, s[16:17]
	s_cbranch_vccnz .LBB828_3
.LBB828_2:
	s_mov_b32 s9, 0
	s_mov_b64 s[18:19], -1
.LBB828_3:
	s_andn2_b64 vcc, exec, s[18:19]
	s_cbranch_vccnz .LBB828_10
; %bb.4:
	s_load_dwordx2 s[18:19], s[4:5], 0x28
	s_lshl_b64 s[16:17], s[8:9], 2
	s_waitcnt lgkmcnt(0)
	s_add_u32 s18, s18, s16
	s_addc_u32 s19, s19, s17
	s_load_dword s7, s[18:19], 0x0
	s_lshl_b32 s6, s6, 8
	s_waitcnt lgkmcnt(0)
	s_cmp_ge_i32 s6, s7
	s_cbranch_scc1 .LBB828_10
; %bb.5:
	s_andn2_b64 vcc, exec, s[14:15]
	s_cbranch_vccnz .LBB828_7
; %bb.6:
	s_add_u32 s6, s12, s16
	s_addc_u32 s7, s13, s17
	s_load_dword s8, s[6:7], 0x0
.LBB828_7:
	s_movk_i32 s6, 0xf0
	v_cmp_gt_u32_e32 vcc, s6, v0
	s_and_saveexec_b64 s[6:7], vcc
	s_cbranch_execz .LBB828_9
; %bb.8:
	s_load_dword s11, s[4:5], 0x48
	s_load_dwordx2 s[12:13], s[4:5], 0x0
	v_lshrrev_b32_e32 v1, 4, v0
	s_mul_i32 s10, s10, 15
	v_add_lshl_u32 v2, v1, s10, 7
	s_waitcnt lgkmcnt(0)
	s_ashr_i32 s9, s11, 31
	s_mul_hi_u32 s14, s8, s11
	s_mul_i32 s9, s8, s9
	s_add_i32 s9, s14, s9
	s_mul_i32 s8, s8, s11
	s_lshl_b64 s[8:9], s[8:9], 1
	s_add_u32 s8, s12, s8
	v_ashrrev_i32_e32 v3, 31, v2
	s_addc_u32 s9, s13, s9
	v_lshlrev_b64 v[2:3], 1, v[2:3]
	v_and_b32_e32 v4, 15, v0
	v_mov_b32_e32 v5, s9
	v_add_co_u32_e32 v2, vcc, s8, v2
	v_addc_co_u32_e32 v3, vcc, v5, v3, vcc
	v_lshlrev_b32_e32 v4, 4, v4
	v_add_co_u32_e32 v2, vcc, v2, v4
	v_addc_co_u32_e32 v3, vcc, 0, v3, vcc
	global_load_dwordx4 v[2:5], v[2:3], off
	v_lshlrev_b32_e32 v6, 4, v0
	v_lshlrev_b32_e32 v0, 8, v0
	v_and_b32_e32 v6, 16, v6
	v_lshlrev_b32_e32 v1, 5, v1
	v_and_b32_e32 v0, 0xe00, v0
	v_or3_b32 v0, v0, v1, v6
	s_waitcnt vmcnt(0)
	ds_write_b128 v0, v[2:5]
.LBB828_9:
	s_or_b64 exec, exec, s[6:7]
	s_waitcnt lgkmcnt(0)
	s_add_u32 s8, s4, 0x90
	s_addc_u32 s9, s5, 0
	s_getpc_b64 s[4:5]
	s_add_u32 s4, s4, __PRETTY_FUNCTION__._Z39paged_attention_ll4mi_QKV_mfma16_kernelI14__hip_bfloat16hLN4vllm18Fp8KVCacheDataTypeE1ES0_Li32ELi128ELi256ELb0ELi15EL8MFMAType1EEvPKT_PKT0_S9_ifPKiSB_SB_iPKfiiiPfSE_PS4_PT2_iSD_SD_@rel32@lo+4
	s_addc_u32 s5, s5, __PRETTY_FUNCTION__._Z39paged_attention_ll4mi_QKV_mfma16_kernelI14__hip_bfloat16hLN4vllm18Fp8KVCacheDataTypeE1ES0_Li32ELi128ELi256ELb0ELi15EL8MFMAType1EEvPKT_PKT0_S9_ifPKiSB_SB_iPKfiiiPfSE_PS4_PT2_iSD_SD_@rel32@hi+12
	v_mov_b32_e32 v0, 0x288
	v_mov_b32_e32 v1, s4
	;; [unrolled: 1-line block ×3, first 2 shown]
	s_barrier
	s_getpc_b64 s[6:7]
	s_add_u32 s6, s6, __assert_fail@rel32@lo+4
	s_addc_u32 s7, s7, __assert_fail@rel32@hi+12
	s_swappc_b64 s[30:31], s[6:7]
	; divergent unreachable
.LBB828_10:
	s_endpgm
.LBB828_11:
	s_mov_b64 s[18:19], 0
	s_branch .LBB828_2
	.section	.rodata,"a",@progbits
	.p2align	6, 0x0
	.amdhsa_kernel _Z39paged_attention_ll4mi_QKV_mfma16_kernelI14__hip_bfloat16hLN4vllm18Fp8KVCacheDataTypeE1ES0_Li32ELi128ELi256ELb0ELi15EL8MFMAType1EEvPKT_PKT0_S9_ifPKiSB_SB_iPKfiiiPfSE_PS4_PT2_iSD_SD_
		.amdhsa_group_segment_fixed_size 8192
		.amdhsa_private_segment_fixed_size 64
		.amdhsa_kernarg_size 400
		.amdhsa_user_sgpr_count 8
		.amdhsa_user_sgpr_private_segment_buffer 1
		.amdhsa_user_sgpr_dispatch_ptr 0
		.amdhsa_user_sgpr_queue_ptr 0
		.amdhsa_user_sgpr_kernarg_segment_ptr 1
		.amdhsa_user_sgpr_dispatch_id 0
		.amdhsa_user_sgpr_flat_scratch_init 1
		.amdhsa_user_sgpr_kernarg_preload_length 0
		.amdhsa_user_sgpr_kernarg_preload_offset 0
		.amdhsa_user_sgpr_private_segment_size 0
		.amdhsa_uses_dynamic_stack 0
		.amdhsa_system_sgpr_private_segment_wavefront_offset 1
		.amdhsa_system_sgpr_workgroup_id_x 1
		.amdhsa_system_sgpr_workgroup_id_y 1
		.amdhsa_system_sgpr_workgroup_id_z 1
		.amdhsa_system_sgpr_workgroup_info 0
		.amdhsa_system_vgpr_workitem_id 0
		.amdhsa_next_free_vgpr 45
		.amdhsa_next_free_sgpr 34
		.amdhsa_accum_offset 44
		.amdhsa_reserve_vcc 1
		.amdhsa_reserve_flat_scratch 1
		.amdhsa_float_round_mode_32 0
		.amdhsa_float_round_mode_16_64 0
		.amdhsa_float_denorm_mode_32 3
		.amdhsa_float_denorm_mode_16_64 3
		.amdhsa_dx10_clamp 1
		.amdhsa_ieee_mode 1
		.amdhsa_fp16_overflow 0
		.amdhsa_tg_split 0
		.amdhsa_exception_fp_ieee_invalid_op 0
		.amdhsa_exception_fp_denorm_src 0
		.amdhsa_exception_fp_ieee_div_zero 0
		.amdhsa_exception_fp_ieee_overflow 0
		.amdhsa_exception_fp_ieee_underflow 0
		.amdhsa_exception_fp_ieee_inexact 0
		.amdhsa_exception_int_div_zero 0
	.end_amdhsa_kernel
	.section	.text._Z39paged_attention_ll4mi_QKV_mfma16_kernelI14__hip_bfloat16hLN4vllm18Fp8KVCacheDataTypeE1ES0_Li32ELi128ELi256ELb0ELi15EL8MFMAType1EEvPKT_PKT0_S9_ifPKiSB_SB_iPKfiiiPfSE_PS4_PT2_iSD_SD_,"axG",@progbits,_Z39paged_attention_ll4mi_QKV_mfma16_kernelI14__hip_bfloat16hLN4vllm18Fp8KVCacheDataTypeE1ES0_Li32ELi128ELi256ELb0ELi15EL8MFMAType1EEvPKT_PKT0_S9_ifPKiSB_SB_iPKfiiiPfSE_PS4_PT2_iSD_SD_,comdat
.Lfunc_end828:
	.size	_Z39paged_attention_ll4mi_QKV_mfma16_kernelI14__hip_bfloat16hLN4vllm18Fp8KVCacheDataTypeE1ES0_Li32ELi128ELi256ELb0ELi15EL8MFMAType1EEvPKT_PKT0_S9_ifPKiSB_SB_iPKfiiiPfSE_PS4_PT2_iSD_SD_, .Lfunc_end828-_Z39paged_attention_ll4mi_QKV_mfma16_kernelI14__hip_bfloat16hLN4vllm18Fp8KVCacheDataTypeE1ES0_Li32ELi128ELi256ELb0ELi15EL8MFMAType1EEvPKT_PKT0_S9_ifPKiSB_SB_iPKfiiiPfSE_PS4_PT2_iSD_SD_
                                        ; -- End function
	.section	.AMDGPU.csdata,"",@progbits
; Kernel info:
; codeLenInByte = 492
; NumSgprs: 40
; NumVgprs: 42
; NumAgprs: 1
; TotalNumVgprs: 45
; ScratchSize: 64
; MemoryBound: 0
; FloatMode: 240
; IeeeMode: 1
; LDSByteSize: 8192 bytes/workgroup (compile time only)
; SGPRBlocks: 4
; VGPRBlocks: 5
; NumSGPRsForWavesPerEU: 40
; NumVGPRsForWavesPerEU: 45
; AccumOffset: 44
; Occupancy: 8
; WaveLimiterHint : 1
; COMPUTE_PGM_RSRC2:SCRATCH_EN: 1
; COMPUTE_PGM_RSRC2:USER_SGPR: 8
; COMPUTE_PGM_RSRC2:TRAP_HANDLER: 0
; COMPUTE_PGM_RSRC2:TGID_X_EN: 1
; COMPUTE_PGM_RSRC2:TGID_Y_EN: 1
; COMPUTE_PGM_RSRC2:TGID_Z_EN: 1
; COMPUTE_PGM_RSRC2:TIDIG_COMP_CNT: 0
; COMPUTE_PGM_RSRC3_GFX90A:ACCUM_OFFSET: 10
; COMPUTE_PGM_RSRC3_GFX90A:TG_SPLIT: 0
	.section	.text._Z39paged_attention_ll4mi_QKV_mfma16_kernelI14__hip_bfloat16hLN4vllm18Fp8KVCacheDataTypeE1ES0_Li32ELi128ELi256ELb0ELi16EL8MFMAType1EEvPKT_PKT0_S9_ifPKiSB_SB_iPKfiiiPfSE_PS4_PT2_iSD_SD_,"axG",@progbits,_Z39paged_attention_ll4mi_QKV_mfma16_kernelI14__hip_bfloat16hLN4vllm18Fp8KVCacheDataTypeE1ES0_Li32ELi128ELi256ELb0ELi16EL8MFMAType1EEvPKT_PKT0_S9_ifPKiSB_SB_iPKfiiiPfSE_PS4_PT2_iSD_SD_,comdat
	.protected	_Z39paged_attention_ll4mi_QKV_mfma16_kernelI14__hip_bfloat16hLN4vllm18Fp8KVCacheDataTypeE1ES0_Li32ELi128ELi256ELb0ELi16EL8MFMAType1EEvPKT_PKT0_S9_ifPKiSB_SB_iPKfiiiPfSE_PS4_PT2_iSD_SD_ ; -- Begin function _Z39paged_attention_ll4mi_QKV_mfma16_kernelI14__hip_bfloat16hLN4vllm18Fp8KVCacheDataTypeE1ES0_Li32ELi128ELi256ELb0ELi16EL8MFMAType1EEvPKT_PKT0_S9_ifPKiSB_SB_iPKfiiiPfSE_PS4_PT2_iSD_SD_
	.globl	_Z39paged_attention_ll4mi_QKV_mfma16_kernelI14__hip_bfloat16hLN4vllm18Fp8KVCacheDataTypeE1ES0_Li32ELi128ELi256ELb0ELi16EL8MFMAType1EEvPKT_PKT0_S9_ifPKiSB_SB_iPKfiiiPfSE_PS4_PT2_iSD_SD_
	.p2align	8
	.type	_Z39paged_attention_ll4mi_QKV_mfma16_kernelI14__hip_bfloat16hLN4vllm18Fp8KVCacheDataTypeE1ES0_Li32ELi128ELi256ELb0ELi16EL8MFMAType1EEvPKT_PKT0_S9_ifPKiSB_SB_iPKfiiiPfSE_PS4_PT2_iSD_SD_,@function
_Z39paged_attention_ll4mi_QKV_mfma16_kernelI14__hip_bfloat16hLN4vllm18Fp8KVCacheDataTypeE1ES0_Li32ELi128ELi256ELb0ELi16EL8MFMAType1EEvPKT_PKT0_S9_ifPKiSB_SB_iPKfiiiPfSE_PS4_PT2_iSD_SD_: ; @_Z39paged_attention_ll4mi_QKV_mfma16_kernelI14__hip_bfloat16hLN4vllm18Fp8KVCacheDataTypeE1ES0_Li32ELi128ELi256ELb0ELi16EL8MFMAType1EEvPKT_PKT0_S9_ifPKiSB_SB_iPKfiiiPfSE_PS4_PT2_iSD_SD_
; %bb.0:
	s_load_dwordx2 s[12:13], s[4:5], 0x30
	s_add_u32 flat_scratch_lo, s6, s11
	s_addc_u32 flat_scratch_hi, s7, 0
	s_add_u32 s0, s0, s11
	s_addc_u32 s1, s1, 0
	s_waitcnt lgkmcnt(0)
	s_cmp_lg_u64 s[12:13], 0
	s_cselect_b64 s[14:15], -1, 0
	s_mov_b32 s6, s9
	s_mov_b64 s[16:17], 0
	s_and_b64 vcc, exec, s[14:15]
	s_mov_b32 s32, 0
	s_cbranch_vccz .LBB829_11
; %bb.1:
	s_add_i32 s18, s8, 1
	s_mov_b32 s19, 0
	s_lshl_b64 s[20:21], s[18:19], 2
	s_add_u32 s20, s12, s20
	s_mov_b32 s9, s19
	s_addc_u32 s21, s13, s21
	s_lshl_b64 s[18:19], s[8:9], 2
	s_add_u32 s18, s12, s18
	s_addc_u32 s19, s13, s19
	s_load_dword s7, s[20:21], 0x0
	s_load_dword s11, s[18:19], 0x0
	s_waitcnt lgkmcnt(0)
	s_sub_i32 s7, s7, s11
	s_cmp_eq_u32 s7, 1
	s_cselect_b64 s[18:19], -1, 0
	s_andn2_b64 vcc, exec, s[16:17]
	s_cbranch_vccnz .LBB829_3
.LBB829_2:
	s_mov_b32 s9, 0
	s_mov_b64 s[18:19], -1
.LBB829_3:
	s_andn2_b64 vcc, exec, s[18:19]
	s_cbranch_vccnz .LBB829_10
; %bb.4:
	s_load_dwordx2 s[18:19], s[4:5], 0x28
	s_lshl_b64 s[16:17], s[8:9], 2
	s_waitcnt lgkmcnt(0)
	s_add_u32 s18, s18, s16
	s_addc_u32 s19, s19, s17
	s_load_dword s7, s[18:19], 0x0
	s_lshl_b32 s6, s6, 8
	s_waitcnt lgkmcnt(0)
	s_cmp_ge_i32 s6, s7
	s_cbranch_scc1 .LBB829_10
; %bb.5:
	s_andn2_b64 vcc, exec, s[14:15]
	s_cbranch_vccnz .LBB829_7
; %bb.6:
	s_add_u32 s6, s12, s16
	s_addc_u32 s7, s13, s17
	s_load_dword s8, s[6:7], 0x0
.LBB829_7:
	s_movk_i32 s6, 0x100
	v_cmp_gt_u32_e32 vcc, s6, v0
	s_and_saveexec_b64 s[6:7], vcc
	s_cbranch_execz .LBB829_9
; %bb.8:
	s_load_dword s11, s[4:5], 0x48
	s_load_dwordx2 s[12:13], s[4:5], 0x0
	v_lshrrev_b32_e32 v6, 4, v0
	v_and_b32_e32 v1, 15, v0
	v_lshlrev_b32_e32 v1, 4, v1
	s_waitcnt lgkmcnt(0)
	s_ashr_i32 s9, s11, 31
	s_mul_hi_u32 s14, s8, s11
	s_mul_i32 s9, s8, s9
	s_add_i32 s9, s14, s9
	s_mul_i32 s8, s8, s11
	s_lshl_b64 s[8:9], s[8:9], 1
	s_add_u32 s8, s12, s8
	s_addc_u32 s9, s13, s9
	s_lshl_b32 s10, s10, 11
	v_lshl_or_b32 v2, v6, 7, s10
	v_ashrrev_i32_e32 v3, 31, v2
	v_lshlrev_b64 v[2:3], 1, v[2:3]
	v_mov_b32_e32 v4, s9
	v_add_co_u32_e32 v2, vcc, s8, v2
	v_addc_co_u32_e32 v3, vcc, v4, v3, vcc
	v_add_co_u32_e32 v2, vcc, v2, v1
	v_addc_co_u32_e32 v3, vcc, 0, v3, vcc
	global_load_dwordx4 v[2:5], v[2:3], off
	v_lshlrev_b32_e32 v1, 4, v0
	v_lshlrev_b32_e32 v0, 8, v0
	v_and_b32_e32 v1, 16, v1
	v_lshlrev_b32_e32 v6, 5, v6
	v_and_b32_e32 v0, 0xe00, v0
	v_or3_b32 v0, v0, v6, v1
	s_waitcnt vmcnt(0)
	ds_write_b128 v0, v[2:5]
.LBB829_9:
	s_or_b64 exec, exec, s[6:7]
	s_waitcnt lgkmcnt(0)
	s_add_u32 s8, s4, 0x90
	s_addc_u32 s9, s5, 0
	s_getpc_b64 s[4:5]
	s_add_u32 s4, s4, __PRETTY_FUNCTION__._Z39paged_attention_ll4mi_QKV_mfma16_kernelI14__hip_bfloat16hLN4vllm18Fp8KVCacheDataTypeE1ES0_Li32ELi128ELi256ELb0ELi16EL8MFMAType1EEvPKT_PKT0_S9_ifPKiSB_SB_iPKfiiiPfSE_PS4_PT2_iSD_SD_@rel32@lo+4
	s_addc_u32 s5, s5, __PRETTY_FUNCTION__._Z39paged_attention_ll4mi_QKV_mfma16_kernelI14__hip_bfloat16hLN4vllm18Fp8KVCacheDataTypeE1ES0_Li32ELi128ELi256ELb0ELi16EL8MFMAType1EEvPKT_PKT0_S9_ifPKiSB_SB_iPKfiiiPfSE_PS4_PT2_iSD_SD_@rel32@hi+12
	v_mov_b32_e32 v0, 0x288
	v_mov_b32_e32 v1, s4
	;; [unrolled: 1-line block ×3, first 2 shown]
	s_barrier
	s_getpc_b64 s[6:7]
	s_add_u32 s6, s6, __assert_fail@rel32@lo+4
	s_addc_u32 s7, s7, __assert_fail@rel32@hi+12
	s_swappc_b64 s[30:31], s[6:7]
	; divergent unreachable
.LBB829_10:
	s_endpgm
.LBB829_11:
	s_mov_b64 s[18:19], 0
	s_branch .LBB829_2
	.section	.rodata,"a",@progbits
	.p2align	6, 0x0
	.amdhsa_kernel _Z39paged_attention_ll4mi_QKV_mfma16_kernelI14__hip_bfloat16hLN4vllm18Fp8KVCacheDataTypeE1ES0_Li32ELi128ELi256ELb0ELi16EL8MFMAType1EEvPKT_PKT0_S9_ifPKiSB_SB_iPKfiiiPfSE_PS4_PT2_iSD_SD_
		.amdhsa_group_segment_fixed_size 8192
		.amdhsa_private_segment_fixed_size 64
		.amdhsa_kernarg_size 400
		.amdhsa_user_sgpr_count 8
		.amdhsa_user_sgpr_private_segment_buffer 1
		.amdhsa_user_sgpr_dispatch_ptr 0
		.amdhsa_user_sgpr_queue_ptr 0
		.amdhsa_user_sgpr_kernarg_segment_ptr 1
		.amdhsa_user_sgpr_dispatch_id 0
		.amdhsa_user_sgpr_flat_scratch_init 1
		.amdhsa_user_sgpr_kernarg_preload_length 0
		.amdhsa_user_sgpr_kernarg_preload_offset 0
		.amdhsa_user_sgpr_private_segment_size 0
		.amdhsa_uses_dynamic_stack 0
		.amdhsa_system_sgpr_private_segment_wavefront_offset 1
		.amdhsa_system_sgpr_workgroup_id_x 1
		.amdhsa_system_sgpr_workgroup_id_y 1
		.amdhsa_system_sgpr_workgroup_id_z 1
		.amdhsa_system_sgpr_workgroup_info 0
		.amdhsa_system_vgpr_workitem_id 0
		.amdhsa_next_free_vgpr 45
		.amdhsa_next_free_sgpr 34
		.amdhsa_accum_offset 44
		.amdhsa_reserve_vcc 1
		.amdhsa_reserve_flat_scratch 1
		.amdhsa_float_round_mode_32 0
		.amdhsa_float_round_mode_16_64 0
		.amdhsa_float_denorm_mode_32 3
		.amdhsa_float_denorm_mode_16_64 3
		.amdhsa_dx10_clamp 1
		.amdhsa_ieee_mode 1
		.amdhsa_fp16_overflow 0
		.amdhsa_tg_split 0
		.amdhsa_exception_fp_ieee_invalid_op 0
		.amdhsa_exception_fp_denorm_src 0
		.amdhsa_exception_fp_ieee_div_zero 0
		.amdhsa_exception_fp_ieee_overflow 0
		.amdhsa_exception_fp_ieee_underflow 0
		.amdhsa_exception_fp_ieee_inexact 0
		.amdhsa_exception_int_div_zero 0
	.end_amdhsa_kernel
	.section	.text._Z39paged_attention_ll4mi_QKV_mfma16_kernelI14__hip_bfloat16hLN4vllm18Fp8KVCacheDataTypeE1ES0_Li32ELi128ELi256ELb0ELi16EL8MFMAType1EEvPKT_PKT0_S9_ifPKiSB_SB_iPKfiiiPfSE_PS4_PT2_iSD_SD_,"axG",@progbits,_Z39paged_attention_ll4mi_QKV_mfma16_kernelI14__hip_bfloat16hLN4vllm18Fp8KVCacheDataTypeE1ES0_Li32ELi128ELi256ELb0ELi16EL8MFMAType1EEvPKT_PKT0_S9_ifPKiSB_SB_iPKfiiiPfSE_PS4_PT2_iSD_SD_,comdat
.Lfunc_end829:
	.size	_Z39paged_attention_ll4mi_QKV_mfma16_kernelI14__hip_bfloat16hLN4vllm18Fp8KVCacheDataTypeE1ES0_Li32ELi128ELi256ELb0ELi16EL8MFMAType1EEvPKT_PKT0_S9_ifPKiSB_SB_iPKfiiiPfSE_PS4_PT2_iSD_SD_, .Lfunc_end829-_Z39paged_attention_ll4mi_QKV_mfma16_kernelI14__hip_bfloat16hLN4vllm18Fp8KVCacheDataTypeE1ES0_Li32ELi128ELi256ELb0ELi16EL8MFMAType1EEvPKT_PKT0_S9_ifPKiSB_SB_iPKfiiiPfSE_PS4_PT2_iSD_SD_
                                        ; -- End function
	.section	.AMDGPU.csdata,"",@progbits
; Kernel info:
; codeLenInByte = 492
; NumSgprs: 40
; NumVgprs: 42
; NumAgprs: 1
; TotalNumVgprs: 45
; ScratchSize: 64
; MemoryBound: 0
; FloatMode: 240
; IeeeMode: 1
; LDSByteSize: 8192 bytes/workgroup (compile time only)
; SGPRBlocks: 4
; VGPRBlocks: 5
; NumSGPRsForWavesPerEU: 40
; NumVGPRsForWavesPerEU: 45
; AccumOffset: 44
; Occupancy: 8
; WaveLimiterHint : 1
; COMPUTE_PGM_RSRC2:SCRATCH_EN: 1
; COMPUTE_PGM_RSRC2:USER_SGPR: 8
; COMPUTE_PGM_RSRC2:TRAP_HANDLER: 0
; COMPUTE_PGM_RSRC2:TGID_X_EN: 1
; COMPUTE_PGM_RSRC2:TGID_Y_EN: 1
; COMPUTE_PGM_RSRC2:TGID_Z_EN: 1
; COMPUTE_PGM_RSRC2:TIDIG_COMP_CNT: 0
; COMPUTE_PGM_RSRC3_GFX90A:ACCUM_OFFSET: 10
; COMPUTE_PGM_RSRC3_GFX90A:TG_SPLIT: 0
	.section	.text._Z39paged_attention_ll4mi_QKV_mfma16_kernelI14__hip_bfloat16hLN4vllm18Fp8KVCacheDataTypeE1ES0_Li32ELi128ELi256ELb0ELi1EL8MFMAType1EEvPKT_PKT0_S9_ifPKiSB_SB_iPKfiiiPfSE_PS4_PT2_iSD_SD_,"axG",@progbits,_Z39paged_attention_ll4mi_QKV_mfma16_kernelI14__hip_bfloat16hLN4vllm18Fp8KVCacheDataTypeE1ES0_Li32ELi128ELi256ELb0ELi1EL8MFMAType1EEvPKT_PKT0_S9_ifPKiSB_SB_iPKfiiiPfSE_PS4_PT2_iSD_SD_,comdat
	.protected	_Z39paged_attention_ll4mi_QKV_mfma16_kernelI14__hip_bfloat16hLN4vllm18Fp8KVCacheDataTypeE1ES0_Li32ELi128ELi256ELb0ELi1EL8MFMAType1EEvPKT_PKT0_S9_ifPKiSB_SB_iPKfiiiPfSE_PS4_PT2_iSD_SD_ ; -- Begin function _Z39paged_attention_ll4mi_QKV_mfma16_kernelI14__hip_bfloat16hLN4vllm18Fp8KVCacheDataTypeE1ES0_Li32ELi128ELi256ELb0ELi1EL8MFMAType1EEvPKT_PKT0_S9_ifPKiSB_SB_iPKfiiiPfSE_PS4_PT2_iSD_SD_
	.globl	_Z39paged_attention_ll4mi_QKV_mfma16_kernelI14__hip_bfloat16hLN4vllm18Fp8KVCacheDataTypeE1ES0_Li32ELi128ELi256ELb0ELi1EL8MFMAType1EEvPKT_PKT0_S9_ifPKiSB_SB_iPKfiiiPfSE_PS4_PT2_iSD_SD_
	.p2align	8
	.type	_Z39paged_attention_ll4mi_QKV_mfma16_kernelI14__hip_bfloat16hLN4vllm18Fp8KVCacheDataTypeE1ES0_Li32ELi128ELi256ELb0ELi1EL8MFMAType1EEvPKT_PKT0_S9_ifPKiSB_SB_iPKfiiiPfSE_PS4_PT2_iSD_SD_,@function
_Z39paged_attention_ll4mi_QKV_mfma16_kernelI14__hip_bfloat16hLN4vllm18Fp8KVCacheDataTypeE1ES0_Li32ELi128ELi256ELb0ELi1EL8MFMAType1EEvPKT_PKT0_S9_ifPKiSB_SB_iPKfiiiPfSE_PS4_PT2_iSD_SD_: ; @_Z39paged_attention_ll4mi_QKV_mfma16_kernelI14__hip_bfloat16hLN4vllm18Fp8KVCacheDataTypeE1ES0_Li32ELi128ELi256ELb0ELi1EL8MFMAType1EEvPKT_PKT0_S9_ifPKiSB_SB_iPKfiiiPfSE_PS4_PT2_iSD_SD_
; %bb.0:
	s_load_dwordx2 s[12:13], s[4:5], 0x30
	s_add_u32 flat_scratch_lo, s6, s11
	s_addc_u32 flat_scratch_hi, s7, 0
	s_add_u32 s0, s0, s11
	s_addc_u32 s1, s1, 0
	s_waitcnt lgkmcnt(0)
	s_cmp_lg_u64 s[12:13], 0
	s_cselect_b64 s[14:15], -1, 0
	s_mov_b32 s6, s9
	s_mov_b64 s[16:17], 0
	s_and_b64 vcc, exec, s[14:15]
	s_mov_b32 s32, 0
	s_cbranch_vccz .LBB830_11
; %bb.1:
	s_add_i32 s18, s8, 1
	s_mov_b32 s19, 0
	s_lshl_b64 s[20:21], s[18:19], 2
	s_add_u32 s20, s12, s20
	s_mov_b32 s9, s19
	s_addc_u32 s21, s13, s21
	s_lshl_b64 s[18:19], s[8:9], 2
	s_add_u32 s18, s12, s18
	s_addc_u32 s19, s13, s19
	s_load_dword s7, s[20:21], 0x0
	s_load_dword s11, s[18:19], 0x0
	s_waitcnt lgkmcnt(0)
	s_sub_i32 s7, s7, s11
	s_cmp_eq_u32 s7, 1
	s_cselect_b64 s[18:19], -1, 0
	s_andn2_b64 vcc, exec, s[16:17]
	s_cbranch_vccnz .LBB830_3
.LBB830_2:
	s_mov_b32 s9, 0
	s_mov_b64 s[18:19], -1
.LBB830_3:
	s_andn2_b64 vcc, exec, s[18:19]
	s_cbranch_vccnz .LBB830_10
; %bb.4:
	s_load_dwordx2 s[18:19], s[4:5], 0x28
	s_lshl_b64 s[16:17], s[8:9], 2
	s_waitcnt lgkmcnt(0)
	s_add_u32 s18, s18, s16
	s_addc_u32 s19, s19, s17
	s_load_dword s7, s[18:19], 0x0
	s_lshl_b32 s6, s6, 8
	s_waitcnt lgkmcnt(0)
	s_cmp_ge_i32 s6, s7
	s_cbranch_scc1 .LBB830_10
; %bb.5:
	s_andn2_b64 vcc, exec, s[14:15]
	s_cbranch_vccnz .LBB830_7
; %bb.6:
	s_add_u32 s6, s12, s16
	s_addc_u32 s7, s13, s17
	s_load_dword s8, s[6:7], 0x0
.LBB830_7:
	v_cmp_gt_u32_e32 vcc, 16, v0
	s_and_saveexec_b64 s[6:7], vcc
	s_cbranch_execz .LBB830_9
; %bb.8:
	s_load_dword s9, s[4:5], 0x48
	s_load_dwordx2 s[12:13], s[4:5], 0x0
	v_lshlrev_b32_e32 v1, 4, v0
	v_lshlrev_b32_e32 v0, 8, v0
	s_waitcnt lgkmcnt(0)
	s_ashr_i32 s11, s9, 31
	s_mul_hi_u32 s15, s8, s9
	s_mul_i32 s14, s8, s9
	s_mul_i32 s8, s8, s11
	s_add_i32 s15, s15, s8
	s_lshl_b64 s[8:9], s[14:15], 1
	s_add_u32 s11, s12, s8
	s_addc_u32 s12, s13, s9
	s_lshl_b32 s8, s10, 7
	s_ashr_i32 s9, s8, 31
	s_lshl_b64 s[8:9], s[8:9], 1
	s_add_u32 s8, s11, s8
	s_addc_u32 s9, s12, s9
	global_load_dwordx4 v[2:5], v1, s[8:9]
	v_and_b32_e32 v1, 16, v1
	s_mov_b32 s8, 0xfe00
	v_and_or_b32 v0, v0, s8, v1
	s_waitcnt vmcnt(0)
	ds_write_b128 v0, v[2:5]
.LBB830_9:
	s_or_b64 exec, exec, s[6:7]
	s_waitcnt lgkmcnt(0)
	s_add_u32 s8, s4, 0x90
	s_addc_u32 s9, s5, 0
	s_getpc_b64 s[4:5]
	s_add_u32 s4, s4, __PRETTY_FUNCTION__._Z39paged_attention_ll4mi_QKV_mfma16_kernelI14__hip_bfloat16hLN4vllm18Fp8KVCacheDataTypeE1ES0_Li32ELi128ELi256ELb0ELi1EL8MFMAType1EEvPKT_PKT0_S9_ifPKiSB_SB_iPKfiiiPfSE_PS4_PT2_iSD_SD_@rel32@lo+4
	s_addc_u32 s5, s5, __PRETTY_FUNCTION__._Z39paged_attention_ll4mi_QKV_mfma16_kernelI14__hip_bfloat16hLN4vllm18Fp8KVCacheDataTypeE1ES0_Li32ELi128ELi256ELb0ELi1EL8MFMAType1EEvPKT_PKT0_S9_ifPKiSB_SB_iPKfiiiPfSE_PS4_PT2_iSD_SD_@rel32@hi+12
	v_mov_b32_e32 v0, 0x288
	v_mov_b32_e32 v1, s4
	v_mov_b32_e32 v2, s5
	s_barrier
	s_getpc_b64 s[6:7]
	s_add_u32 s6, s6, __assert_fail@rel32@lo+4
	s_addc_u32 s7, s7, __assert_fail@rel32@hi+12
	s_swappc_b64 s[30:31], s[6:7]
	; divergent unreachable
.LBB830_10:
	s_endpgm
.LBB830_11:
	s_mov_b64 s[18:19], 0
	s_branch .LBB830_2
	.section	.rodata,"a",@progbits
	.p2align	6, 0x0
	.amdhsa_kernel _Z39paged_attention_ll4mi_QKV_mfma16_kernelI14__hip_bfloat16hLN4vllm18Fp8KVCacheDataTypeE1ES0_Li32ELi128ELi256ELb0ELi1EL8MFMAType1EEvPKT_PKT0_S9_ifPKiSB_SB_iPKfiiiPfSE_PS4_PT2_iSD_SD_
		.amdhsa_group_segment_fixed_size 8192
		.amdhsa_private_segment_fixed_size 64
		.amdhsa_kernarg_size 400
		.amdhsa_user_sgpr_count 8
		.amdhsa_user_sgpr_private_segment_buffer 1
		.amdhsa_user_sgpr_dispatch_ptr 0
		.amdhsa_user_sgpr_queue_ptr 0
		.amdhsa_user_sgpr_kernarg_segment_ptr 1
		.amdhsa_user_sgpr_dispatch_id 0
		.amdhsa_user_sgpr_flat_scratch_init 1
		.amdhsa_user_sgpr_kernarg_preload_length 0
		.amdhsa_user_sgpr_kernarg_preload_offset 0
		.amdhsa_user_sgpr_private_segment_size 0
		.amdhsa_uses_dynamic_stack 0
		.amdhsa_system_sgpr_private_segment_wavefront_offset 1
		.amdhsa_system_sgpr_workgroup_id_x 1
		.amdhsa_system_sgpr_workgroup_id_y 1
		.amdhsa_system_sgpr_workgroup_id_z 1
		.amdhsa_system_sgpr_workgroup_info 0
		.amdhsa_system_vgpr_workitem_id 0
		.amdhsa_next_free_vgpr 45
		.amdhsa_next_free_sgpr 34
		.amdhsa_accum_offset 44
		.amdhsa_reserve_vcc 1
		.amdhsa_reserve_flat_scratch 1
		.amdhsa_float_round_mode_32 0
		.amdhsa_float_round_mode_16_64 0
		.amdhsa_float_denorm_mode_32 3
		.amdhsa_float_denorm_mode_16_64 3
		.amdhsa_dx10_clamp 1
		.amdhsa_ieee_mode 1
		.amdhsa_fp16_overflow 0
		.amdhsa_tg_split 0
		.amdhsa_exception_fp_ieee_invalid_op 0
		.amdhsa_exception_fp_denorm_src 0
		.amdhsa_exception_fp_ieee_div_zero 0
		.amdhsa_exception_fp_ieee_overflow 0
		.amdhsa_exception_fp_ieee_underflow 0
		.amdhsa_exception_fp_ieee_inexact 0
		.amdhsa_exception_int_div_zero 0
	.end_amdhsa_kernel
	.section	.text._Z39paged_attention_ll4mi_QKV_mfma16_kernelI14__hip_bfloat16hLN4vllm18Fp8KVCacheDataTypeE1ES0_Li32ELi128ELi256ELb0ELi1EL8MFMAType1EEvPKT_PKT0_S9_ifPKiSB_SB_iPKfiiiPfSE_PS4_PT2_iSD_SD_,"axG",@progbits,_Z39paged_attention_ll4mi_QKV_mfma16_kernelI14__hip_bfloat16hLN4vllm18Fp8KVCacheDataTypeE1ES0_Li32ELi128ELi256ELb0ELi1EL8MFMAType1EEvPKT_PKT0_S9_ifPKiSB_SB_iPKfiiiPfSE_PS4_PT2_iSD_SD_,comdat
.Lfunc_end830:
	.size	_Z39paged_attention_ll4mi_QKV_mfma16_kernelI14__hip_bfloat16hLN4vllm18Fp8KVCacheDataTypeE1ES0_Li32ELi128ELi256ELb0ELi1EL8MFMAType1EEvPKT_PKT0_S9_ifPKiSB_SB_iPKfiiiPfSE_PS4_PT2_iSD_SD_, .Lfunc_end830-_Z39paged_attention_ll4mi_QKV_mfma16_kernelI14__hip_bfloat16hLN4vllm18Fp8KVCacheDataTypeE1ES0_Li32ELi128ELi256ELb0ELi1EL8MFMAType1EEvPKT_PKT0_S9_ifPKiSB_SB_iPKfiiiPfSE_PS4_PT2_iSD_SD_
                                        ; -- End function
	.section	.AMDGPU.csdata,"",@progbits
; Kernel info:
; codeLenInByte = 448
; NumSgprs: 40
; NumVgprs: 42
; NumAgprs: 1
; TotalNumVgprs: 45
; ScratchSize: 64
; MemoryBound: 0
; FloatMode: 240
; IeeeMode: 1
; LDSByteSize: 8192 bytes/workgroup (compile time only)
; SGPRBlocks: 4
; VGPRBlocks: 5
; NumSGPRsForWavesPerEU: 40
; NumVGPRsForWavesPerEU: 45
; AccumOffset: 44
; Occupancy: 8
; WaveLimiterHint : 1
; COMPUTE_PGM_RSRC2:SCRATCH_EN: 1
; COMPUTE_PGM_RSRC2:USER_SGPR: 8
; COMPUTE_PGM_RSRC2:TRAP_HANDLER: 0
; COMPUTE_PGM_RSRC2:TGID_X_EN: 1
; COMPUTE_PGM_RSRC2:TGID_Y_EN: 1
; COMPUTE_PGM_RSRC2:TGID_Z_EN: 1
; COMPUTE_PGM_RSRC2:TIDIG_COMP_CNT: 0
; COMPUTE_PGM_RSRC3_GFX90A:ACCUM_OFFSET: 10
; COMPUTE_PGM_RSRC3_GFX90A:TG_SPLIT: 0
	.section	.text._Z39paged_attention_ll4mi_QKV_mfma16_kernelI14__hip_bfloat16hLN4vllm18Fp8KVCacheDataTypeE1ES0_Li32ELi128ELi256ELb0ELi2EL8MFMAType1EEvPKT_PKT0_S9_ifPKiSB_SB_iPKfiiiPfSE_PS4_PT2_iSD_SD_,"axG",@progbits,_Z39paged_attention_ll4mi_QKV_mfma16_kernelI14__hip_bfloat16hLN4vllm18Fp8KVCacheDataTypeE1ES0_Li32ELi128ELi256ELb0ELi2EL8MFMAType1EEvPKT_PKT0_S9_ifPKiSB_SB_iPKfiiiPfSE_PS4_PT2_iSD_SD_,comdat
	.protected	_Z39paged_attention_ll4mi_QKV_mfma16_kernelI14__hip_bfloat16hLN4vllm18Fp8KVCacheDataTypeE1ES0_Li32ELi128ELi256ELb0ELi2EL8MFMAType1EEvPKT_PKT0_S9_ifPKiSB_SB_iPKfiiiPfSE_PS4_PT2_iSD_SD_ ; -- Begin function _Z39paged_attention_ll4mi_QKV_mfma16_kernelI14__hip_bfloat16hLN4vllm18Fp8KVCacheDataTypeE1ES0_Li32ELi128ELi256ELb0ELi2EL8MFMAType1EEvPKT_PKT0_S9_ifPKiSB_SB_iPKfiiiPfSE_PS4_PT2_iSD_SD_
	.globl	_Z39paged_attention_ll4mi_QKV_mfma16_kernelI14__hip_bfloat16hLN4vllm18Fp8KVCacheDataTypeE1ES0_Li32ELi128ELi256ELb0ELi2EL8MFMAType1EEvPKT_PKT0_S9_ifPKiSB_SB_iPKfiiiPfSE_PS4_PT2_iSD_SD_
	.p2align	8
	.type	_Z39paged_attention_ll4mi_QKV_mfma16_kernelI14__hip_bfloat16hLN4vllm18Fp8KVCacheDataTypeE1ES0_Li32ELi128ELi256ELb0ELi2EL8MFMAType1EEvPKT_PKT0_S9_ifPKiSB_SB_iPKfiiiPfSE_PS4_PT2_iSD_SD_,@function
_Z39paged_attention_ll4mi_QKV_mfma16_kernelI14__hip_bfloat16hLN4vllm18Fp8KVCacheDataTypeE1ES0_Li32ELi128ELi256ELb0ELi2EL8MFMAType1EEvPKT_PKT0_S9_ifPKiSB_SB_iPKfiiiPfSE_PS4_PT2_iSD_SD_: ; @_Z39paged_attention_ll4mi_QKV_mfma16_kernelI14__hip_bfloat16hLN4vllm18Fp8KVCacheDataTypeE1ES0_Li32ELi128ELi256ELb0ELi2EL8MFMAType1EEvPKT_PKT0_S9_ifPKiSB_SB_iPKfiiiPfSE_PS4_PT2_iSD_SD_
; %bb.0:
	s_load_dwordx2 s[12:13], s[4:5], 0x30
	s_add_u32 flat_scratch_lo, s6, s11
	s_addc_u32 flat_scratch_hi, s7, 0
	s_add_u32 s0, s0, s11
	s_addc_u32 s1, s1, 0
	s_waitcnt lgkmcnt(0)
	s_cmp_lg_u64 s[12:13], 0
	s_cselect_b64 s[14:15], -1, 0
	s_mov_b32 s6, s9
	s_mov_b64 s[16:17], 0
	s_and_b64 vcc, exec, s[14:15]
	s_mov_b32 s32, 0
	s_cbranch_vccz .LBB831_11
; %bb.1:
	s_add_i32 s18, s8, 1
	s_mov_b32 s19, 0
	s_lshl_b64 s[20:21], s[18:19], 2
	s_add_u32 s20, s12, s20
	s_mov_b32 s9, s19
	s_addc_u32 s21, s13, s21
	s_lshl_b64 s[18:19], s[8:9], 2
	s_add_u32 s18, s12, s18
	s_addc_u32 s19, s13, s19
	s_load_dword s7, s[20:21], 0x0
	s_load_dword s11, s[18:19], 0x0
	s_waitcnt lgkmcnt(0)
	s_sub_i32 s7, s7, s11
	s_cmp_eq_u32 s7, 1
	s_cselect_b64 s[18:19], -1, 0
	s_andn2_b64 vcc, exec, s[16:17]
	s_cbranch_vccnz .LBB831_3
.LBB831_2:
	s_mov_b32 s9, 0
	s_mov_b64 s[18:19], -1
.LBB831_3:
	s_andn2_b64 vcc, exec, s[18:19]
	s_cbranch_vccnz .LBB831_10
; %bb.4:
	s_load_dwordx2 s[18:19], s[4:5], 0x28
	s_lshl_b64 s[16:17], s[8:9], 2
	s_waitcnt lgkmcnt(0)
	s_add_u32 s18, s18, s16
	s_addc_u32 s19, s19, s17
	s_load_dword s7, s[18:19], 0x0
	s_lshl_b32 s6, s6, 8
	s_waitcnt lgkmcnt(0)
	s_cmp_ge_i32 s6, s7
	s_cbranch_scc1 .LBB831_10
; %bb.5:
	s_andn2_b64 vcc, exec, s[14:15]
	s_cbranch_vccnz .LBB831_7
; %bb.6:
	s_add_u32 s6, s12, s16
	s_addc_u32 s7, s13, s17
	s_load_dword s8, s[6:7], 0x0
.LBB831_7:
	v_cmp_gt_u32_e32 vcc, 32, v0
	s_and_saveexec_b64 s[6:7], vcc
	s_cbranch_execz .LBB831_9
; %bb.8:
	s_load_dword s11, s[4:5], 0x48
	s_load_dwordx2 s[12:13], s[4:5], 0x0
	v_lshrrev_b32_e32 v6, 4, v0
	v_and_b32_e32 v1, 15, v0
	v_lshlrev_b32_e32 v1, 4, v1
	s_waitcnt lgkmcnt(0)
	s_ashr_i32 s9, s11, 31
	s_mul_hi_u32 s14, s8, s11
	s_mul_i32 s9, s8, s9
	s_add_i32 s9, s14, s9
	s_mul_i32 s8, s8, s11
	s_lshl_b64 s[8:9], s[8:9], 1
	s_add_u32 s8, s12, s8
	s_addc_u32 s9, s13, s9
	s_lshl_b32 s10, s10, 8
	v_lshl_or_b32 v2, v6, 7, s10
	v_ashrrev_i32_e32 v3, 31, v2
	v_lshlrev_b64 v[2:3], 1, v[2:3]
	v_mov_b32_e32 v4, s9
	v_add_co_u32_e32 v2, vcc, s8, v2
	v_addc_co_u32_e32 v3, vcc, v4, v3, vcc
	v_add_co_u32_e32 v2, vcc, v2, v1
	v_addc_co_u32_e32 v3, vcc, 0, v3, vcc
	global_load_dwordx4 v[2:5], v[2:3], off
	v_lshlrev_b32_e32 v1, 4, v0
	v_lshlrev_b32_e32 v0, 8, v0
	v_and_b32_e32 v1, 16, v1
	v_lshlrev_b32_e32 v6, 5, v6
	v_and_b32_e32 v0, 0xe00, v0
	v_or3_b32 v0, v0, v6, v1
	s_waitcnt vmcnt(0)
	ds_write_b128 v0, v[2:5]
.LBB831_9:
	s_or_b64 exec, exec, s[6:7]
	s_waitcnt lgkmcnt(0)
	s_add_u32 s8, s4, 0x90
	s_addc_u32 s9, s5, 0
	s_getpc_b64 s[4:5]
	s_add_u32 s4, s4, __PRETTY_FUNCTION__._Z39paged_attention_ll4mi_QKV_mfma16_kernelI14__hip_bfloat16hLN4vllm18Fp8KVCacheDataTypeE1ES0_Li32ELi128ELi256ELb0ELi2EL8MFMAType1EEvPKT_PKT0_S9_ifPKiSB_SB_iPKfiiiPfSE_PS4_PT2_iSD_SD_@rel32@lo+4
	s_addc_u32 s5, s5, __PRETTY_FUNCTION__._Z39paged_attention_ll4mi_QKV_mfma16_kernelI14__hip_bfloat16hLN4vllm18Fp8KVCacheDataTypeE1ES0_Li32ELi128ELi256ELb0ELi2EL8MFMAType1EEvPKT_PKT0_S9_ifPKiSB_SB_iPKfiiiPfSE_PS4_PT2_iSD_SD_@rel32@hi+12
	v_mov_b32_e32 v0, 0x288
	v_mov_b32_e32 v1, s4
	;; [unrolled: 1-line block ×3, first 2 shown]
	s_barrier
	s_getpc_b64 s[6:7]
	s_add_u32 s6, s6, __assert_fail@rel32@lo+4
	s_addc_u32 s7, s7, __assert_fail@rel32@hi+12
	s_swappc_b64 s[30:31], s[6:7]
	; divergent unreachable
.LBB831_10:
	s_endpgm
.LBB831_11:
	s_mov_b64 s[18:19], 0
	s_branch .LBB831_2
	.section	.rodata,"a",@progbits
	.p2align	6, 0x0
	.amdhsa_kernel _Z39paged_attention_ll4mi_QKV_mfma16_kernelI14__hip_bfloat16hLN4vllm18Fp8KVCacheDataTypeE1ES0_Li32ELi128ELi256ELb0ELi2EL8MFMAType1EEvPKT_PKT0_S9_ifPKiSB_SB_iPKfiiiPfSE_PS4_PT2_iSD_SD_
		.amdhsa_group_segment_fixed_size 8192
		.amdhsa_private_segment_fixed_size 64
		.amdhsa_kernarg_size 400
		.amdhsa_user_sgpr_count 8
		.amdhsa_user_sgpr_private_segment_buffer 1
		.amdhsa_user_sgpr_dispatch_ptr 0
		.amdhsa_user_sgpr_queue_ptr 0
		.amdhsa_user_sgpr_kernarg_segment_ptr 1
		.amdhsa_user_sgpr_dispatch_id 0
		.amdhsa_user_sgpr_flat_scratch_init 1
		.amdhsa_user_sgpr_kernarg_preload_length 0
		.amdhsa_user_sgpr_kernarg_preload_offset 0
		.amdhsa_user_sgpr_private_segment_size 0
		.amdhsa_uses_dynamic_stack 0
		.amdhsa_system_sgpr_private_segment_wavefront_offset 1
		.amdhsa_system_sgpr_workgroup_id_x 1
		.amdhsa_system_sgpr_workgroup_id_y 1
		.amdhsa_system_sgpr_workgroup_id_z 1
		.amdhsa_system_sgpr_workgroup_info 0
		.amdhsa_system_vgpr_workitem_id 0
		.amdhsa_next_free_vgpr 45
		.amdhsa_next_free_sgpr 34
		.amdhsa_accum_offset 44
		.amdhsa_reserve_vcc 1
		.amdhsa_reserve_flat_scratch 1
		.amdhsa_float_round_mode_32 0
		.amdhsa_float_round_mode_16_64 0
		.amdhsa_float_denorm_mode_32 3
		.amdhsa_float_denorm_mode_16_64 3
		.amdhsa_dx10_clamp 1
		.amdhsa_ieee_mode 1
		.amdhsa_fp16_overflow 0
		.amdhsa_tg_split 0
		.amdhsa_exception_fp_ieee_invalid_op 0
		.amdhsa_exception_fp_denorm_src 0
		.amdhsa_exception_fp_ieee_div_zero 0
		.amdhsa_exception_fp_ieee_overflow 0
		.amdhsa_exception_fp_ieee_underflow 0
		.amdhsa_exception_fp_ieee_inexact 0
		.amdhsa_exception_int_div_zero 0
	.end_amdhsa_kernel
	.section	.text._Z39paged_attention_ll4mi_QKV_mfma16_kernelI14__hip_bfloat16hLN4vllm18Fp8KVCacheDataTypeE1ES0_Li32ELi128ELi256ELb0ELi2EL8MFMAType1EEvPKT_PKT0_S9_ifPKiSB_SB_iPKfiiiPfSE_PS4_PT2_iSD_SD_,"axG",@progbits,_Z39paged_attention_ll4mi_QKV_mfma16_kernelI14__hip_bfloat16hLN4vllm18Fp8KVCacheDataTypeE1ES0_Li32ELi128ELi256ELb0ELi2EL8MFMAType1EEvPKT_PKT0_S9_ifPKiSB_SB_iPKfiiiPfSE_PS4_PT2_iSD_SD_,comdat
.Lfunc_end831:
	.size	_Z39paged_attention_ll4mi_QKV_mfma16_kernelI14__hip_bfloat16hLN4vllm18Fp8KVCacheDataTypeE1ES0_Li32ELi128ELi256ELb0ELi2EL8MFMAType1EEvPKT_PKT0_S9_ifPKiSB_SB_iPKfiiiPfSE_PS4_PT2_iSD_SD_, .Lfunc_end831-_Z39paged_attention_ll4mi_QKV_mfma16_kernelI14__hip_bfloat16hLN4vllm18Fp8KVCacheDataTypeE1ES0_Li32ELi128ELi256ELb0ELi2EL8MFMAType1EEvPKT_PKT0_S9_ifPKiSB_SB_iPKfiiiPfSE_PS4_PT2_iSD_SD_
                                        ; -- End function
	.section	.AMDGPU.csdata,"",@progbits
; Kernel info:
; codeLenInByte = 488
; NumSgprs: 40
; NumVgprs: 42
; NumAgprs: 1
; TotalNumVgprs: 45
; ScratchSize: 64
; MemoryBound: 0
; FloatMode: 240
; IeeeMode: 1
; LDSByteSize: 8192 bytes/workgroup (compile time only)
; SGPRBlocks: 4
; VGPRBlocks: 5
; NumSGPRsForWavesPerEU: 40
; NumVGPRsForWavesPerEU: 45
; AccumOffset: 44
; Occupancy: 8
; WaveLimiterHint : 1
; COMPUTE_PGM_RSRC2:SCRATCH_EN: 1
; COMPUTE_PGM_RSRC2:USER_SGPR: 8
; COMPUTE_PGM_RSRC2:TRAP_HANDLER: 0
; COMPUTE_PGM_RSRC2:TGID_X_EN: 1
; COMPUTE_PGM_RSRC2:TGID_Y_EN: 1
; COMPUTE_PGM_RSRC2:TGID_Z_EN: 1
; COMPUTE_PGM_RSRC2:TIDIG_COMP_CNT: 0
; COMPUTE_PGM_RSRC3_GFX90A:ACCUM_OFFSET: 10
; COMPUTE_PGM_RSRC3_GFX90A:TG_SPLIT: 0
	.section	.text._Z39paged_attention_ll4mi_QKV_mfma16_kernelI14__hip_bfloat16hLN4vllm18Fp8KVCacheDataTypeE1ES0_Li32ELi128ELi256ELb0ELi3EL8MFMAType1EEvPKT_PKT0_S9_ifPKiSB_SB_iPKfiiiPfSE_PS4_PT2_iSD_SD_,"axG",@progbits,_Z39paged_attention_ll4mi_QKV_mfma16_kernelI14__hip_bfloat16hLN4vllm18Fp8KVCacheDataTypeE1ES0_Li32ELi128ELi256ELb0ELi3EL8MFMAType1EEvPKT_PKT0_S9_ifPKiSB_SB_iPKfiiiPfSE_PS4_PT2_iSD_SD_,comdat
	.protected	_Z39paged_attention_ll4mi_QKV_mfma16_kernelI14__hip_bfloat16hLN4vllm18Fp8KVCacheDataTypeE1ES0_Li32ELi128ELi256ELb0ELi3EL8MFMAType1EEvPKT_PKT0_S9_ifPKiSB_SB_iPKfiiiPfSE_PS4_PT2_iSD_SD_ ; -- Begin function _Z39paged_attention_ll4mi_QKV_mfma16_kernelI14__hip_bfloat16hLN4vllm18Fp8KVCacheDataTypeE1ES0_Li32ELi128ELi256ELb0ELi3EL8MFMAType1EEvPKT_PKT0_S9_ifPKiSB_SB_iPKfiiiPfSE_PS4_PT2_iSD_SD_
	.globl	_Z39paged_attention_ll4mi_QKV_mfma16_kernelI14__hip_bfloat16hLN4vllm18Fp8KVCacheDataTypeE1ES0_Li32ELi128ELi256ELb0ELi3EL8MFMAType1EEvPKT_PKT0_S9_ifPKiSB_SB_iPKfiiiPfSE_PS4_PT2_iSD_SD_
	.p2align	8
	.type	_Z39paged_attention_ll4mi_QKV_mfma16_kernelI14__hip_bfloat16hLN4vllm18Fp8KVCacheDataTypeE1ES0_Li32ELi128ELi256ELb0ELi3EL8MFMAType1EEvPKT_PKT0_S9_ifPKiSB_SB_iPKfiiiPfSE_PS4_PT2_iSD_SD_,@function
_Z39paged_attention_ll4mi_QKV_mfma16_kernelI14__hip_bfloat16hLN4vllm18Fp8KVCacheDataTypeE1ES0_Li32ELi128ELi256ELb0ELi3EL8MFMAType1EEvPKT_PKT0_S9_ifPKiSB_SB_iPKfiiiPfSE_PS4_PT2_iSD_SD_: ; @_Z39paged_attention_ll4mi_QKV_mfma16_kernelI14__hip_bfloat16hLN4vllm18Fp8KVCacheDataTypeE1ES0_Li32ELi128ELi256ELb0ELi3EL8MFMAType1EEvPKT_PKT0_S9_ifPKiSB_SB_iPKfiiiPfSE_PS4_PT2_iSD_SD_
; %bb.0:
	s_load_dwordx2 s[12:13], s[4:5], 0x30
	s_add_u32 flat_scratch_lo, s6, s11
	s_addc_u32 flat_scratch_hi, s7, 0
	s_add_u32 s0, s0, s11
	s_addc_u32 s1, s1, 0
	s_waitcnt lgkmcnt(0)
	s_cmp_lg_u64 s[12:13], 0
	s_cselect_b64 s[14:15], -1, 0
	s_mov_b32 s6, s9
	s_mov_b64 s[16:17], 0
	s_and_b64 vcc, exec, s[14:15]
	s_mov_b32 s32, 0
	s_cbranch_vccz .LBB832_11
; %bb.1:
	s_add_i32 s18, s8, 1
	s_mov_b32 s19, 0
	s_lshl_b64 s[20:21], s[18:19], 2
	s_add_u32 s20, s12, s20
	s_mov_b32 s9, s19
	s_addc_u32 s21, s13, s21
	s_lshl_b64 s[18:19], s[8:9], 2
	s_add_u32 s18, s12, s18
	s_addc_u32 s19, s13, s19
	s_load_dword s7, s[20:21], 0x0
	s_load_dword s11, s[18:19], 0x0
	s_waitcnt lgkmcnt(0)
	s_sub_i32 s7, s7, s11
	s_cmp_eq_u32 s7, 1
	s_cselect_b64 s[18:19], -1, 0
	s_andn2_b64 vcc, exec, s[16:17]
	s_cbranch_vccnz .LBB832_3
.LBB832_2:
	s_mov_b32 s9, 0
	s_mov_b64 s[18:19], -1
.LBB832_3:
	s_andn2_b64 vcc, exec, s[18:19]
	s_cbranch_vccnz .LBB832_10
; %bb.4:
	s_load_dwordx2 s[18:19], s[4:5], 0x28
	s_lshl_b64 s[16:17], s[8:9], 2
	s_waitcnt lgkmcnt(0)
	s_add_u32 s18, s18, s16
	s_addc_u32 s19, s19, s17
	s_load_dword s7, s[18:19], 0x0
	s_lshl_b32 s6, s6, 8
	s_waitcnt lgkmcnt(0)
	s_cmp_ge_i32 s6, s7
	s_cbranch_scc1 .LBB832_10
; %bb.5:
	s_andn2_b64 vcc, exec, s[14:15]
	s_cbranch_vccnz .LBB832_7
; %bb.6:
	s_add_u32 s6, s12, s16
	s_addc_u32 s7, s13, s17
	s_load_dword s8, s[6:7], 0x0
.LBB832_7:
	v_cmp_gt_u32_e32 vcc, 48, v0
	s_and_saveexec_b64 s[6:7], vcc
	s_cbranch_execz .LBB832_9
; %bb.8:
	s_load_dword s11, s[4:5], 0x48
	s_load_dwordx2 s[12:13], s[4:5], 0x0
	v_lshrrev_b32_e32 v1, 4, v0
	s_mul_i32 s10, s10, 3
	v_add_lshl_u32 v2, v1, s10, 7
	s_waitcnt lgkmcnt(0)
	s_ashr_i32 s9, s11, 31
	s_mul_hi_u32 s14, s8, s11
	s_mul_i32 s9, s8, s9
	s_add_i32 s9, s14, s9
	s_mul_i32 s8, s8, s11
	s_lshl_b64 s[8:9], s[8:9], 1
	s_add_u32 s8, s12, s8
	v_ashrrev_i32_e32 v3, 31, v2
	s_addc_u32 s9, s13, s9
	v_lshlrev_b64 v[2:3], 1, v[2:3]
	v_and_b32_e32 v4, 15, v0
	v_mov_b32_e32 v5, s9
	v_add_co_u32_e32 v2, vcc, s8, v2
	v_addc_co_u32_e32 v3, vcc, v5, v3, vcc
	v_lshlrev_b32_e32 v4, 4, v4
	v_add_co_u32_e32 v2, vcc, v2, v4
	v_addc_co_u32_e32 v3, vcc, 0, v3, vcc
	global_load_dwordx4 v[2:5], v[2:3], off
	v_lshlrev_b32_e32 v6, 4, v0
	v_lshlrev_b32_e32 v0, 8, v0
	v_and_b32_e32 v6, 16, v6
	v_lshlrev_b32_e32 v1, 5, v1
	v_and_b32_e32 v0, 0xe00, v0
	v_or3_b32 v0, v0, v1, v6
	s_waitcnt vmcnt(0)
	ds_write_b128 v0, v[2:5]
.LBB832_9:
	s_or_b64 exec, exec, s[6:7]
	s_waitcnt lgkmcnt(0)
	s_add_u32 s8, s4, 0x90
	s_addc_u32 s9, s5, 0
	s_getpc_b64 s[4:5]
	s_add_u32 s4, s4, __PRETTY_FUNCTION__._Z39paged_attention_ll4mi_QKV_mfma16_kernelI14__hip_bfloat16hLN4vllm18Fp8KVCacheDataTypeE1ES0_Li32ELi128ELi256ELb0ELi3EL8MFMAType1EEvPKT_PKT0_S9_ifPKiSB_SB_iPKfiiiPfSE_PS4_PT2_iSD_SD_@rel32@lo+4
	s_addc_u32 s5, s5, __PRETTY_FUNCTION__._Z39paged_attention_ll4mi_QKV_mfma16_kernelI14__hip_bfloat16hLN4vllm18Fp8KVCacheDataTypeE1ES0_Li32ELi128ELi256ELb0ELi3EL8MFMAType1EEvPKT_PKT0_S9_ifPKiSB_SB_iPKfiiiPfSE_PS4_PT2_iSD_SD_@rel32@hi+12
	v_mov_b32_e32 v0, 0x288
	v_mov_b32_e32 v1, s4
	;; [unrolled: 1-line block ×3, first 2 shown]
	s_barrier
	s_getpc_b64 s[6:7]
	s_add_u32 s6, s6, __assert_fail@rel32@lo+4
	s_addc_u32 s7, s7, __assert_fail@rel32@hi+12
	s_swappc_b64 s[30:31], s[6:7]
	; divergent unreachable
.LBB832_10:
	s_endpgm
.LBB832_11:
	s_mov_b64 s[18:19], 0
	s_branch .LBB832_2
	.section	.rodata,"a",@progbits
	.p2align	6, 0x0
	.amdhsa_kernel _Z39paged_attention_ll4mi_QKV_mfma16_kernelI14__hip_bfloat16hLN4vllm18Fp8KVCacheDataTypeE1ES0_Li32ELi128ELi256ELb0ELi3EL8MFMAType1EEvPKT_PKT0_S9_ifPKiSB_SB_iPKfiiiPfSE_PS4_PT2_iSD_SD_
		.amdhsa_group_segment_fixed_size 8192
		.amdhsa_private_segment_fixed_size 64
		.amdhsa_kernarg_size 400
		.amdhsa_user_sgpr_count 8
		.amdhsa_user_sgpr_private_segment_buffer 1
		.amdhsa_user_sgpr_dispatch_ptr 0
		.amdhsa_user_sgpr_queue_ptr 0
		.amdhsa_user_sgpr_kernarg_segment_ptr 1
		.amdhsa_user_sgpr_dispatch_id 0
		.amdhsa_user_sgpr_flat_scratch_init 1
		.amdhsa_user_sgpr_kernarg_preload_length 0
		.amdhsa_user_sgpr_kernarg_preload_offset 0
		.amdhsa_user_sgpr_private_segment_size 0
		.amdhsa_uses_dynamic_stack 0
		.amdhsa_system_sgpr_private_segment_wavefront_offset 1
		.amdhsa_system_sgpr_workgroup_id_x 1
		.amdhsa_system_sgpr_workgroup_id_y 1
		.amdhsa_system_sgpr_workgroup_id_z 1
		.amdhsa_system_sgpr_workgroup_info 0
		.amdhsa_system_vgpr_workitem_id 0
		.amdhsa_next_free_vgpr 45
		.amdhsa_next_free_sgpr 34
		.amdhsa_accum_offset 44
		.amdhsa_reserve_vcc 1
		.amdhsa_reserve_flat_scratch 1
		.amdhsa_float_round_mode_32 0
		.amdhsa_float_round_mode_16_64 0
		.amdhsa_float_denorm_mode_32 3
		.amdhsa_float_denorm_mode_16_64 3
		.amdhsa_dx10_clamp 1
		.amdhsa_ieee_mode 1
		.amdhsa_fp16_overflow 0
		.amdhsa_tg_split 0
		.amdhsa_exception_fp_ieee_invalid_op 0
		.amdhsa_exception_fp_denorm_src 0
		.amdhsa_exception_fp_ieee_div_zero 0
		.amdhsa_exception_fp_ieee_overflow 0
		.amdhsa_exception_fp_ieee_underflow 0
		.amdhsa_exception_fp_ieee_inexact 0
		.amdhsa_exception_int_div_zero 0
	.end_amdhsa_kernel
	.section	.text._Z39paged_attention_ll4mi_QKV_mfma16_kernelI14__hip_bfloat16hLN4vllm18Fp8KVCacheDataTypeE1ES0_Li32ELi128ELi256ELb0ELi3EL8MFMAType1EEvPKT_PKT0_S9_ifPKiSB_SB_iPKfiiiPfSE_PS4_PT2_iSD_SD_,"axG",@progbits,_Z39paged_attention_ll4mi_QKV_mfma16_kernelI14__hip_bfloat16hLN4vllm18Fp8KVCacheDataTypeE1ES0_Li32ELi128ELi256ELb0ELi3EL8MFMAType1EEvPKT_PKT0_S9_ifPKiSB_SB_iPKfiiiPfSE_PS4_PT2_iSD_SD_,comdat
.Lfunc_end832:
	.size	_Z39paged_attention_ll4mi_QKV_mfma16_kernelI14__hip_bfloat16hLN4vllm18Fp8KVCacheDataTypeE1ES0_Li32ELi128ELi256ELb0ELi3EL8MFMAType1EEvPKT_PKT0_S9_ifPKiSB_SB_iPKfiiiPfSE_PS4_PT2_iSD_SD_, .Lfunc_end832-_Z39paged_attention_ll4mi_QKV_mfma16_kernelI14__hip_bfloat16hLN4vllm18Fp8KVCacheDataTypeE1ES0_Li32ELi128ELi256ELb0ELi3EL8MFMAType1EEvPKT_PKT0_S9_ifPKiSB_SB_iPKfiiiPfSE_PS4_PT2_iSD_SD_
                                        ; -- End function
	.section	.AMDGPU.csdata,"",@progbits
; Kernel info:
; codeLenInByte = 488
; NumSgprs: 40
; NumVgprs: 42
; NumAgprs: 1
; TotalNumVgprs: 45
; ScratchSize: 64
; MemoryBound: 0
; FloatMode: 240
; IeeeMode: 1
; LDSByteSize: 8192 bytes/workgroup (compile time only)
; SGPRBlocks: 4
; VGPRBlocks: 5
; NumSGPRsForWavesPerEU: 40
; NumVGPRsForWavesPerEU: 45
; AccumOffset: 44
; Occupancy: 8
; WaveLimiterHint : 1
; COMPUTE_PGM_RSRC2:SCRATCH_EN: 1
; COMPUTE_PGM_RSRC2:USER_SGPR: 8
; COMPUTE_PGM_RSRC2:TRAP_HANDLER: 0
; COMPUTE_PGM_RSRC2:TGID_X_EN: 1
; COMPUTE_PGM_RSRC2:TGID_Y_EN: 1
; COMPUTE_PGM_RSRC2:TGID_Z_EN: 1
; COMPUTE_PGM_RSRC2:TIDIG_COMP_CNT: 0
; COMPUTE_PGM_RSRC3_GFX90A:ACCUM_OFFSET: 10
; COMPUTE_PGM_RSRC3_GFX90A:TG_SPLIT: 0
	.section	.text._Z39paged_attention_ll4mi_QKV_mfma16_kernelI14__hip_bfloat16hLN4vllm18Fp8KVCacheDataTypeE1ES0_Li32ELi128ELi256ELb0ELi4EL8MFMAType1EEvPKT_PKT0_S9_ifPKiSB_SB_iPKfiiiPfSE_PS4_PT2_iSD_SD_,"axG",@progbits,_Z39paged_attention_ll4mi_QKV_mfma16_kernelI14__hip_bfloat16hLN4vllm18Fp8KVCacheDataTypeE1ES0_Li32ELi128ELi256ELb0ELi4EL8MFMAType1EEvPKT_PKT0_S9_ifPKiSB_SB_iPKfiiiPfSE_PS4_PT2_iSD_SD_,comdat
	.protected	_Z39paged_attention_ll4mi_QKV_mfma16_kernelI14__hip_bfloat16hLN4vllm18Fp8KVCacheDataTypeE1ES0_Li32ELi128ELi256ELb0ELi4EL8MFMAType1EEvPKT_PKT0_S9_ifPKiSB_SB_iPKfiiiPfSE_PS4_PT2_iSD_SD_ ; -- Begin function _Z39paged_attention_ll4mi_QKV_mfma16_kernelI14__hip_bfloat16hLN4vllm18Fp8KVCacheDataTypeE1ES0_Li32ELi128ELi256ELb0ELi4EL8MFMAType1EEvPKT_PKT0_S9_ifPKiSB_SB_iPKfiiiPfSE_PS4_PT2_iSD_SD_
	.globl	_Z39paged_attention_ll4mi_QKV_mfma16_kernelI14__hip_bfloat16hLN4vllm18Fp8KVCacheDataTypeE1ES0_Li32ELi128ELi256ELb0ELi4EL8MFMAType1EEvPKT_PKT0_S9_ifPKiSB_SB_iPKfiiiPfSE_PS4_PT2_iSD_SD_
	.p2align	8
	.type	_Z39paged_attention_ll4mi_QKV_mfma16_kernelI14__hip_bfloat16hLN4vllm18Fp8KVCacheDataTypeE1ES0_Li32ELi128ELi256ELb0ELi4EL8MFMAType1EEvPKT_PKT0_S9_ifPKiSB_SB_iPKfiiiPfSE_PS4_PT2_iSD_SD_,@function
_Z39paged_attention_ll4mi_QKV_mfma16_kernelI14__hip_bfloat16hLN4vllm18Fp8KVCacheDataTypeE1ES0_Li32ELi128ELi256ELb0ELi4EL8MFMAType1EEvPKT_PKT0_S9_ifPKiSB_SB_iPKfiiiPfSE_PS4_PT2_iSD_SD_: ; @_Z39paged_attention_ll4mi_QKV_mfma16_kernelI14__hip_bfloat16hLN4vllm18Fp8KVCacheDataTypeE1ES0_Li32ELi128ELi256ELb0ELi4EL8MFMAType1EEvPKT_PKT0_S9_ifPKiSB_SB_iPKfiiiPfSE_PS4_PT2_iSD_SD_
; %bb.0:
	s_load_dwordx2 s[12:13], s[4:5], 0x30
	s_add_u32 flat_scratch_lo, s6, s11
	s_addc_u32 flat_scratch_hi, s7, 0
	s_add_u32 s0, s0, s11
	s_addc_u32 s1, s1, 0
	s_waitcnt lgkmcnt(0)
	s_cmp_lg_u64 s[12:13], 0
	s_cselect_b64 s[14:15], -1, 0
	s_mov_b32 s6, s9
	s_mov_b64 s[16:17], 0
	s_and_b64 vcc, exec, s[14:15]
	s_mov_b32 s32, 0
	s_cbranch_vccz .LBB833_11
; %bb.1:
	s_add_i32 s18, s8, 1
	s_mov_b32 s19, 0
	s_lshl_b64 s[20:21], s[18:19], 2
	s_add_u32 s20, s12, s20
	s_mov_b32 s9, s19
	s_addc_u32 s21, s13, s21
	s_lshl_b64 s[18:19], s[8:9], 2
	s_add_u32 s18, s12, s18
	s_addc_u32 s19, s13, s19
	s_load_dword s7, s[20:21], 0x0
	s_load_dword s11, s[18:19], 0x0
	s_waitcnt lgkmcnt(0)
	s_sub_i32 s7, s7, s11
	s_cmp_eq_u32 s7, 1
	s_cselect_b64 s[18:19], -1, 0
	s_andn2_b64 vcc, exec, s[16:17]
	s_cbranch_vccnz .LBB833_3
.LBB833_2:
	s_mov_b32 s9, 0
	s_mov_b64 s[18:19], -1
.LBB833_3:
	s_andn2_b64 vcc, exec, s[18:19]
	s_cbranch_vccnz .LBB833_10
; %bb.4:
	s_load_dwordx2 s[18:19], s[4:5], 0x28
	s_lshl_b64 s[16:17], s[8:9], 2
	s_waitcnt lgkmcnt(0)
	s_add_u32 s18, s18, s16
	s_addc_u32 s19, s19, s17
	s_load_dword s7, s[18:19], 0x0
	s_lshl_b32 s6, s6, 8
	s_waitcnt lgkmcnt(0)
	s_cmp_ge_i32 s6, s7
	s_cbranch_scc1 .LBB833_10
; %bb.5:
	s_andn2_b64 vcc, exec, s[14:15]
	s_cbranch_vccnz .LBB833_7
; %bb.6:
	s_add_u32 s6, s12, s16
	s_addc_u32 s7, s13, s17
	s_load_dword s8, s[6:7], 0x0
.LBB833_7:
	v_cmp_gt_u32_e32 vcc, 64, v0
	s_and_saveexec_b64 s[6:7], vcc
	s_cbranch_execz .LBB833_9
; %bb.8:
	s_load_dword s11, s[4:5], 0x48
	s_load_dwordx2 s[12:13], s[4:5], 0x0
	v_lshrrev_b32_e32 v6, 4, v0
	v_and_b32_e32 v1, 15, v0
	v_lshlrev_b32_e32 v1, 4, v1
	s_waitcnt lgkmcnt(0)
	s_ashr_i32 s9, s11, 31
	s_mul_hi_u32 s14, s8, s11
	s_mul_i32 s9, s8, s9
	s_add_i32 s9, s14, s9
	s_mul_i32 s8, s8, s11
	s_lshl_b64 s[8:9], s[8:9], 1
	s_add_u32 s8, s12, s8
	s_addc_u32 s9, s13, s9
	s_lshl_b32 s10, s10, 9
	v_lshl_or_b32 v2, v6, 7, s10
	v_ashrrev_i32_e32 v3, 31, v2
	v_lshlrev_b64 v[2:3], 1, v[2:3]
	v_mov_b32_e32 v4, s9
	v_add_co_u32_e32 v2, vcc, s8, v2
	v_addc_co_u32_e32 v3, vcc, v4, v3, vcc
	v_add_co_u32_e32 v2, vcc, v2, v1
	v_addc_co_u32_e32 v3, vcc, 0, v3, vcc
	global_load_dwordx4 v[2:5], v[2:3], off
	v_lshlrev_b32_e32 v1, 4, v0
	v_lshlrev_b32_e32 v0, 8, v0
	v_and_b32_e32 v1, 16, v1
	v_lshlrev_b32_e32 v6, 5, v6
	v_and_b32_e32 v0, 0xe00, v0
	v_or3_b32 v0, v0, v6, v1
	s_waitcnt vmcnt(0)
	ds_write_b128 v0, v[2:5]
.LBB833_9:
	s_or_b64 exec, exec, s[6:7]
	s_waitcnt lgkmcnt(0)
	s_add_u32 s8, s4, 0x90
	s_addc_u32 s9, s5, 0
	s_getpc_b64 s[4:5]
	s_add_u32 s4, s4, __PRETTY_FUNCTION__._Z39paged_attention_ll4mi_QKV_mfma16_kernelI14__hip_bfloat16hLN4vllm18Fp8KVCacheDataTypeE1ES0_Li32ELi128ELi256ELb0ELi4EL8MFMAType1EEvPKT_PKT0_S9_ifPKiSB_SB_iPKfiiiPfSE_PS4_PT2_iSD_SD_@rel32@lo+4
	s_addc_u32 s5, s5, __PRETTY_FUNCTION__._Z39paged_attention_ll4mi_QKV_mfma16_kernelI14__hip_bfloat16hLN4vllm18Fp8KVCacheDataTypeE1ES0_Li32ELi128ELi256ELb0ELi4EL8MFMAType1EEvPKT_PKT0_S9_ifPKiSB_SB_iPKfiiiPfSE_PS4_PT2_iSD_SD_@rel32@hi+12
	v_mov_b32_e32 v0, 0x288
	v_mov_b32_e32 v1, s4
	;; [unrolled: 1-line block ×3, first 2 shown]
	s_barrier
	s_getpc_b64 s[6:7]
	s_add_u32 s6, s6, __assert_fail@rel32@lo+4
	s_addc_u32 s7, s7, __assert_fail@rel32@hi+12
	s_swappc_b64 s[30:31], s[6:7]
	; divergent unreachable
.LBB833_10:
	s_endpgm
.LBB833_11:
	s_mov_b64 s[18:19], 0
	s_branch .LBB833_2
	.section	.rodata,"a",@progbits
	.p2align	6, 0x0
	.amdhsa_kernel _Z39paged_attention_ll4mi_QKV_mfma16_kernelI14__hip_bfloat16hLN4vllm18Fp8KVCacheDataTypeE1ES0_Li32ELi128ELi256ELb0ELi4EL8MFMAType1EEvPKT_PKT0_S9_ifPKiSB_SB_iPKfiiiPfSE_PS4_PT2_iSD_SD_
		.amdhsa_group_segment_fixed_size 8192
		.amdhsa_private_segment_fixed_size 64
		.amdhsa_kernarg_size 400
		.amdhsa_user_sgpr_count 8
		.amdhsa_user_sgpr_private_segment_buffer 1
		.amdhsa_user_sgpr_dispatch_ptr 0
		.amdhsa_user_sgpr_queue_ptr 0
		.amdhsa_user_sgpr_kernarg_segment_ptr 1
		.amdhsa_user_sgpr_dispatch_id 0
		.amdhsa_user_sgpr_flat_scratch_init 1
		.amdhsa_user_sgpr_kernarg_preload_length 0
		.amdhsa_user_sgpr_kernarg_preload_offset 0
		.amdhsa_user_sgpr_private_segment_size 0
		.amdhsa_uses_dynamic_stack 0
		.amdhsa_system_sgpr_private_segment_wavefront_offset 1
		.amdhsa_system_sgpr_workgroup_id_x 1
		.amdhsa_system_sgpr_workgroup_id_y 1
		.amdhsa_system_sgpr_workgroup_id_z 1
		.amdhsa_system_sgpr_workgroup_info 0
		.amdhsa_system_vgpr_workitem_id 0
		.amdhsa_next_free_vgpr 45
		.amdhsa_next_free_sgpr 34
		.amdhsa_accum_offset 44
		.amdhsa_reserve_vcc 1
		.amdhsa_reserve_flat_scratch 1
		.amdhsa_float_round_mode_32 0
		.amdhsa_float_round_mode_16_64 0
		.amdhsa_float_denorm_mode_32 3
		.amdhsa_float_denorm_mode_16_64 3
		.amdhsa_dx10_clamp 1
		.amdhsa_ieee_mode 1
		.amdhsa_fp16_overflow 0
		.amdhsa_tg_split 0
		.amdhsa_exception_fp_ieee_invalid_op 0
		.amdhsa_exception_fp_denorm_src 0
		.amdhsa_exception_fp_ieee_div_zero 0
		.amdhsa_exception_fp_ieee_overflow 0
		.amdhsa_exception_fp_ieee_underflow 0
		.amdhsa_exception_fp_ieee_inexact 0
		.amdhsa_exception_int_div_zero 0
	.end_amdhsa_kernel
	.section	.text._Z39paged_attention_ll4mi_QKV_mfma16_kernelI14__hip_bfloat16hLN4vllm18Fp8KVCacheDataTypeE1ES0_Li32ELi128ELi256ELb0ELi4EL8MFMAType1EEvPKT_PKT0_S9_ifPKiSB_SB_iPKfiiiPfSE_PS4_PT2_iSD_SD_,"axG",@progbits,_Z39paged_attention_ll4mi_QKV_mfma16_kernelI14__hip_bfloat16hLN4vllm18Fp8KVCacheDataTypeE1ES0_Li32ELi128ELi256ELb0ELi4EL8MFMAType1EEvPKT_PKT0_S9_ifPKiSB_SB_iPKfiiiPfSE_PS4_PT2_iSD_SD_,comdat
.Lfunc_end833:
	.size	_Z39paged_attention_ll4mi_QKV_mfma16_kernelI14__hip_bfloat16hLN4vllm18Fp8KVCacheDataTypeE1ES0_Li32ELi128ELi256ELb0ELi4EL8MFMAType1EEvPKT_PKT0_S9_ifPKiSB_SB_iPKfiiiPfSE_PS4_PT2_iSD_SD_, .Lfunc_end833-_Z39paged_attention_ll4mi_QKV_mfma16_kernelI14__hip_bfloat16hLN4vllm18Fp8KVCacheDataTypeE1ES0_Li32ELi128ELi256ELb0ELi4EL8MFMAType1EEvPKT_PKT0_S9_ifPKiSB_SB_iPKfiiiPfSE_PS4_PT2_iSD_SD_
                                        ; -- End function
	.section	.AMDGPU.csdata,"",@progbits
; Kernel info:
; codeLenInByte = 488
; NumSgprs: 40
; NumVgprs: 42
; NumAgprs: 1
; TotalNumVgprs: 45
; ScratchSize: 64
; MemoryBound: 0
; FloatMode: 240
; IeeeMode: 1
; LDSByteSize: 8192 bytes/workgroup (compile time only)
; SGPRBlocks: 4
; VGPRBlocks: 5
; NumSGPRsForWavesPerEU: 40
; NumVGPRsForWavesPerEU: 45
; AccumOffset: 44
; Occupancy: 8
; WaveLimiterHint : 1
; COMPUTE_PGM_RSRC2:SCRATCH_EN: 1
; COMPUTE_PGM_RSRC2:USER_SGPR: 8
; COMPUTE_PGM_RSRC2:TRAP_HANDLER: 0
; COMPUTE_PGM_RSRC2:TGID_X_EN: 1
; COMPUTE_PGM_RSRC2:TGID_Y_EN: 1
; COMPUTE_PGM_RSRC2:TGID_Z_EN: 1
; COMPUTE_PGM_RSRC2:TIDIG_COMP_CNT: 0
; COMPUTE_PGM_RSRC3_GFX90A:ACCUM_OFFSET: 10
; COMPUTE_PGM_RSRC3_GFX90A:TG_SPLIT: 0
	.section	.text._Z39paged_attention_ll4mi_QKV_mfma16_kernelI14__hip_bfloat16hLN4vllm18Fp8KVCacheDataTypeE1ES0_Li16ELi64ELi256ELb1ELi5EL8MFMAType0EEvPKT_PKT0_S9_ifPKiSB_SB_iPKfiiiPfSE_PS4_PT2_iSD_SD_,"axG",@progbits,_Z39paged_attention_ll4mi_QKV_mfma16_kernelI14__hip_bfloat16hLN4vllm18Fp8KVCacheDataTypeE1ES0_Li16ELi64ELi256ELb1ELi5EL8MFMAType0EEvPKT_PKT0_S9_ifPKiSB_SB_iPKfiiiPfSE_PS4_PT2_iSD_SD_,comdat
	.protected	_Z39paged_attention_ll4mi_QKV_mfma16_kernelI14__hip_bfloat16hLN4vllm18Fp8KVCacheDataTypeE1ES0_Li16ELi64ELi256ELb1ELi5EL8MFMAType0EEvPKT_PKT0_S9_ifPKiSB_SB_iPKfiiiPfSE_PS4_PT2_iSD_SD_ ; -- Begin function _Z39paged_attention_ll4mi_QKV_mfma16_kernelI14__hip_bfloat16hLN4vllm18Fp8KVCacheDataTypeE1ES0_Li16ELi64ELi256ELb1ELi5EL8MFMAType0EEvPKT_PKT0_S9_ifPKiSB_SB_iPKfiiiPfSE_PS4_PT2_iSD_SD_
	.globl	_Z39paged_attention_ll4mi_QKV_mfma16_kernelI14__hip_bfloat16hLN4vllm18Fp8KVCacheDataTypeE1ES0_Li16ELi64ELi256ELb1ELi5EL8MFMAType0EEvPKT_PKT0_S9_ifPKiSB_SB_iPKfiiiPfSE_PS4_PT2_iSD_SD_
	.p2align	8
	.type	_Z39paged_attention_ll4mi_QKV_mfma16_kernelI14__hip_bfloat16hLN4vllm18Fp8KVCacheDataTypeE1ES0_Li16ELi64ELi256ELb1ELi5EL8MFMAType0EEvPKT_PKT0_S9_ifPKiSB_SB_iPKfiiiPfSE_PS4_PT2_iSD_SD_,@function
_Z39paged_attention_ll4mi_QKV_mfma16_kernelI14__hip_bfloat16hLN4vllm18Fp8KVCacheDataTypeE1ES0_Li16ELi64ELi256ELb1ELi5EL8MFMAType0EEvPKT_PKT0_S9_ifPKiSB_SB_iPKfiiiPfSE_PS4_PT2_iSD_SD_: ; @_Z39paged_attention_ll4mi_QKV_mfma16_kernelI14__hip_bfloat16hLN4vllm18Fp8KVCacheDataTypeE1ES0_Li16ELi64ELi256ELb1ELi5EL8MFMAType0EEvPKT_PKT0_S9_ifPKiSB_SB_iPKfiiiPfSE_PS4_PT2_iSD_SD_
; %bb.0:
	s_load_dwordx2 s[0:1], s[4:5], 0x30
	s_mov_b32 s24, s7
	s_mov_b64 s[10:11], 0
	s_waitcnt lgkmcnt(0)
	s_cmp_lg_u64 s[0:1], 0
	s_cselect_b64 s[2:3], -1, 0
	s_and_b64 vcc, exec, s[2:3]
	s_cbranch_vccz .LBB834_7
; %bb.1:
	s_add_i32 s12, s6, 1
	s_mov_b32 s13, 0
	s_lshl_b64 s[14:15], s[12:13], 2
	s_add_u32 s14, s0, s14
	s_mov_b32 s7, s13
	s_addc_u32 s15, s1, s15
	s_lshl_b64 s[12:13], s[6:7], 2
	s_add_u32 s12, s0, s12
	s_addc_u32 s13, s1, s13
	s_load_dword s9, s[14:15], 0x0
	s_load_dword s16, s[12:13], 0x0
	s_waitcnt lgkmcnt(0)
	s_sub_i32 s9, s9, s16
	s_cmp_eq_u32 s9, 1
	s_cselect_b64 s[12:13], -1, 0
	s_andn2_b64 vcc, exec, s[10:11]
	s_cbranch_vccnz .LBB834_3
.LBB834_2:
	s_mov_b32 s7, 0
	s_mov_b64 s[12:13], -1
.LBB834_3:
	s_andn2_b64 vcc, exec, s[12:13]
	s_cbranch_vccnz .LBB834_788
; %bb.4:
	s_load_dwordx2 s[12:13], s[4:5], 0x28
	s_lshl_b64 s[10:11], s[6:7], 2
	s_waitcnt lgkmcnt(0)
	s_add_u32 s12, s12, s10
	s_addc_u32 s13, s13, s11
	s_load_dword s33, s[12:13], 0x0
	s_lshl_b32 s18, s24, 8
	s_waitcnt lgkmcnt(0)
	s_cmp_ge_i32 s18, s33
	s_cbranch_scc1 .LBB834_788
; %bb.5:
	s_add_i32 s14, s33, 15
	s_load_dwordx2 s[12:13], s[4:5], 0x20
	s_load_dword s9, s[4:5], 0x38
	s_ashr_i32 s15, s14, 31
	v_and_b32_e32 v1, 0xcf, v0
	s_lshr_b32 s15, s15, 28
	v_add_u32_e32 v1, s18, v1
	s_add_i32 s14, s14, s15
	v_ashrrev_i32_e32 v2, 31, v1
	s_ashr_i32 s21, s14, 4
	v_lshrrev_b32_e32 v4, 28, v2
	s_add_i32 s21, s21, -1
	v_add_u32_e32 v2, v1, v4
	s_waitcnt lgkmcnt(0)
	s_mul_i32 s14, s6, s9
	s_mov_b32 s15, 0
	v_ashrrev_i32_e32 v2, 4, v2
	v_mov_b32_e32 v5, s21
	v_cmp_gt_i32_e32 vcc, s33, v1
	s_lshl_b64 s[14:15], s[14:15], 2
	v_cndmask_b32_e32 v2, v5, v2, vcc
	s_add_u32 s19, s12, s14
	v_ashrrev_i32_e32 v3, 31, v2
	s_addc_u32 s20, s13, s15
	v_lshlrev_b64 v[2:3], 2, v[2:3]
	v_mov_b32_e32 v7, s20
	v_add_co_u32_e32 v6, vcc, s19, v2
	v_or_b32_e32 v2, 16, v1
	v_addc_co_u32_e32 v7, vcc, v7, v3, vcc
	v_add_u32_e32 v3, v2, v4
	v_ashrrev_i32_e32 v3, 4, v3
	v_cmp_gt_i32_e32 vcc, s33, v2
	v_cndmask_b32_e32 v2, v5, v3, vcc
	v_ashrrev_i32_e32 v3, 31, v2
	v_lshlrev_b64 v[2:3], 2, v[2:3]
	v_mov_b32_e32 v9, s20
	v_add_co_u32_e32 v8, vcc, s19, v2
	v_or_b32_e32 v2, 32, v1
	v_addc_co_u32_e32 v9, vcc, v9, v3, vcc
	v_add_u32_e32 v3, v2, v4
	v_ashrrev_i32_e32 v3, 4, v3
	v_cmp_gt_i32_e32 vcc, s33, v2
	v_cndmask_b32_e32 v2, v5, v3, vcc
	v_ashrrev_i32_e32 v3, 31, v2
	;; [unrolled: 10-line block ×3, first 2 shown]
	v_lshlrev_b64 v[2:3], 2, v[2:3]
	v_mov_b32_e32 v1, s20
	v_add_co_u32_e32 v12, vcc, s19, v2
	v_addc_co_u32_e32 v13, vcc, v1, v3, vcc
	global_load_dword v5, v[6:7], off
	global_load_dword v4, v[8:9], off
	;; [unrolled: 1-line block ×4, first 2 shown]
	s_load_dwordx2 s[16:17], s[4:5], 0x8
	s_andn2_b64 vcc, exec, s[2:3]
	s_cbranch_vccnz .LBB834_8
; %bb.6:
	s_add_u32 s0, s0, s10
	s_addc_u32 s1, s1, s11
	s_load_dword s9, s[0:1], 0x0
	s_branch .LBB834_9
.LBB834_7:
	s_mov_b64 s[12:13], 0
	s_branch .LBB834_2
.LBB834_8:
	s_mov_b32 s9, s6
.LBB834_9:
	s_load_dwordx2 s[2:3], s[4:5], 0x10
	s_load_dwordx4 s[12:15], s[4:5], 0x48
	v_lshrrev_b32_e32 v49, 6, v0
	v_bfe_u32 v1, v0, 4, 2
	v_lshl_or_b32 v6, v49, 2, v1
	v_and_b32_e32 v48, 15, v0
	v_lshlrev_b32_e32 v7, 3, v48
	v_cmp_gt_u32_e32 vcc, 5, v6
	v_cmp_gt_u32_e64 s[0:1], 8, v48
	s_mul_i32 s25, s8, 5
	s_and_b64 s[22:23], s[0:1], vcc
	v_lshlrev_b32_e32 v46, 1, v7
	v_lshlrev_b32_e32 v47, 4, v0
	s_and_saveexec_b64 s[10:11], s[22:23]
	s_cbranch_execz .LBB834_11
; %bb.10:
	s_load_dwordx2 s[22:23], s[4:5], 0x0
	s_waitcnt lgkmcnt(0)
	s_ashr_i32 s15, s12, 31
	s_mul_hi_u32 s26, s9, s12
	s_mul_i32 s15, s9, s15
	s_add_i32 s27, s26, s15
	s_mul_i32 s26, s9, s12
	s_lshl_b64 s[26:27], s[26:27], 1
	v_add_lshl_u32 v8, v6, s25, 6
	s_add_u32 s9, s22, s26
	v_ashrrev_i32_e32 v9, 31, v8
	s_addc_u32 s12, s23, s27
	v_lshlrev_b64 v[8:9], 1, v[8:9]
	v_mov_b32_e32 v7, s12
	v_add_co_u32_e32 v8, vcc, s9, v8
	v_addc_co_u32_e32 v7, vcc, v7, v9, vcc
	v_add_co_u32_e32 v8, vcc, v8, v46
	v_addc_co_u32_e32 v9, vcc, 0, v7, vcc
	global_load_dwordx4 v[8:11], v[8:9], off
	v_lshlrev_b32_e32 v12, 8, v48
	v_lshlrev_b32_e32 v6, 5, v6
	v_and_b32_e32 v7, 16, v47
	v_and_b32_e32 v12, 0xe00, v12
	v_or3_b32 v6, v12, v6, v7
	s_waitcnt vmcnt(0)
	ds_write_b128 v6, v[8:11]
.LBB834_11:
	s_or_b64 exec, exec, s[10:11]
	s_waitcnt lgkmcnt(0)
	s_mul_i32 s10, s8, s14
	s_add_u32 s8, s16, s10
	s_addc_u32 s9, s17, 0
	v_and_b32_e32 v7, 0xf0, v47
	v_and_b32_e32 v6, 48, v0
	v_mov_b32_e32 v8, s9
	v_add_co_u32_e32 v7, vcc, s8, v7
	v_addc_co_u32_e32 v9, vcc, 0, v8, vcc
	v_lshlrev_b32_e32 v8, 4, v6
	v_add_co_u32_e32 v8, vcc, v7, v8
	v_addc_co_u32_e32 v9, vcc, 0, v9, vcc
	s_waitcnt vmcnt(3)
	v_mad_i64_i32 v[10:11], s[8:9], v5, s13, v[8:9]
	s_waitcnt vmcnt(2)
	v_mad_i64_i32 v[4:5], s[8:9], v4, s13, v[8:9]
	s_barrier
	global_load_dwordx4 v[34:37], v[10:11], off
	global_load_dwordx4 v[38:41], v[4:5], off
	s_waitcnt vmcnt(3)
	v_mad_i64_i32 v[4:5], s[8:9], v2, s13, v[8:9]
	s_waitcnt vmcnt(2)
	v_mad_i64_i32 v[2:3], s[8:9], v3, s13, v[8:9]
	global_load_dwordx4 v[30:33], v[4:5], off
	global_load_dwordx4 v[22:25], v[2:3], off
	v_mul_lo_u16_e32 v2, 52, v48
	v_mov_b32_e32 v3, 5
	v_mul_lo_u16_sdwa v2, v2, v3 dst_sel:DWORD dst_unused:UNUSED_PAD src0_sel:BYTE_1 src1_sel:DWORD
	v_sub_u16_e32 v2, v48, v2
	v_lshlrev_b32_sdwa v2, v3, v2 dst_sel:DWORD dst_unused:UNUSED_PAD src0_sel:DWORD src1_sel:BYTE_0
	v_lshl_add_u32 v2, v1, 9, v2
	ds_read_b128 v[26:29], v2
	ds_read_b128 v[18:21], v2 offset:16
	v_cmp_gt_u32_e32 vcc, 5, v48
	v_mov_b32_e32 v43, 0
	v_mov_b32_e32 v50, 0
	s_and_saveexec_b64 s[8:9], vcc
	s_cbranch_execz .LBB834_13
; %bb.12:
	s_load_dwordx2 s[14:15], s[4:5], 0x40
	v_add_u32_e32 v2, s25, v48
	v_ashrrev_i32_e32 v3, 31, v2
	v_lshlrev_b64 v[2:3], 2, v[2:3]
	s_waitcnt lgkmcnt(0)
	v_mov_b32_e32 v4, s15
	v_add_co_u32_e32 v2, vcc, s14, v2
	v_addc_co_u32_e32 v3, vcc, v4, v3, vcc
	global_load_dword v50, v[2:3], off
.LBB834_13:
	s_or_b64 exec, exec, s[8:9]
	v_or_b32_e32 v8, s18, v6
	v_ashrrev_i32_e32 v2, 4, v8
	v_mov_b32_e32 v9, s21
	v_cmp_gt_i32_e32 vcc, s33, v8
	v_cndmask_b32_e32 v2, v9, v2, vcc
	v_ashrrev_i32_e32 v3, 31, v2
	v_lshlrev_b64 v[2:3], 2, v[2:3]
	v_mov_b32_e32 v4, s20
	v_add_co_u32_e32 v2, vcc, s19, v2
	v_addc_co_u32_e32 v3, vcc, v4, v3, vcc
	v_or_b32_e32 v4, 64, v8
	v_ashrrev_i32_e32 v5, 4, v4
	v_cmp_gt_i32_e32 vcc, s33, v4
	v_cndmask_b32_e32 v4, v9, v5, vcc
	v_ashrrev_i32_e32 v5, 31, v4
	v_lshlrev_b64 v[4:5], 2, v[4:5]
	v_mov_b32_e32 v6, s20
	v_add_co_u32_e32 v4, vcc, s19, v4
	v_addc_co_u32_e32 v5, vcc, v6, v5, vcc
	v_or_b32_e32 v6, 0x80, v8
	v_ashrrev_i32_e32 v7, 4, v6
	v_cmp_gt_i32_e32 vcc, s33, v6
	v_cndmask_b32_e32 v6, v9, v7, vcc
	v_ashrrev_i32_e32 v7, 31, v6
	v_lshlrev_b64 v[6:7], 2, v[6:7]
	v_mov_b32_e32 v10, s20
	v_add_co_u32_e32 v6, vcc, s19, v6
	v_addc_co_u32_e32 v7, vcc, v10, v7, vcc
	global_load_dword v10, v[2:3], off
	global_load_dword v11, v[4:5], off
	;; [unrolled: 1-line block ×3, first 2 shown]
	v_or_b32_e32 v2, 0xc0, v8
	v_ashrrev_i32_e32 v3, 4, v2
	v_cmp_gt_i32_e32 vcc, s33, v2
	v_cndmask_b32_e32 v2, v9, v3, vcc
	v_ashrrev_i32_e32 v3, 31, v2
	v_lshlrev_b64 v[2:3], 2, v[2:3]
	v_mov_b32_e32 v4, s20
	v_add_co_u32_e32 v2, vcc, s19, v2
	v_addc_co_u32_e32 v3, vcc, v4, v3, vcc
	global_load_dword v13, v[2:3], off
	s_add_u32 s2, s2, s10
	v_lshlrev_b32_e32 v2, 4, v48
	s_addc_u32 s3, s3, 0
	v_lshl_or_b32 v2, v49, 8, v2
	v_mov_b32_e32 v3, s3
	v_add_co_u32_e32 v2, vcc, s2, v2
	v_addc_co_u32_e32 v3, vcc, 0, v3, vcc
	s_movk_i32 s8, 0x80
	s_waitcnt vmcnt(7)
	v_cmp_ne_u16_sdwa s[10:11], v34, v43 src0_sel:BYTE_0 src1_sel:DWORD
	s_waitcnt vmcnt(3)
	v_mad_i64_i32 v[4:5], s[2:3], v10, s13, v[2:3]
	s_waitcnt vmcnt(2)
	v_mad_i64_i32 v[6:7], s[2:3], v11, s13, v[2:3]
	;; [unrolled: 2-line block ×4, first 2 shown]
	global_load_dwordx4 v[14:17], v[4:5], off
	global_load_dwordx4 v[10:13], v[6:7], off
                                        ; kill: killed $vgpr6_vgpr7
                                        ; kill: killed $vgpr4_vgpr5
	s_nop 0
	global_load_dwordx4 v[6:9], v[8:9], off
	s_nop 0
	global_load_dwordx4 v[2:5], v[2:3], off
	s_load_dwordx4 s[40:43], s[4:5], 0x80
	s_load_dwordx2 s[44:45], s[4:5], 0x94
                                        ; kill: killed $sgpr40_sgpr41
	s_waitcnt lgkmcnt(0)
	s_load_dword s12, s[40:41], 0x0
	s_and_saveexec_b64 s[2:3], s[10:11]
	s_cbranch_execz .LBB834_19
; %bb.14:
	v_cmp_ne_u16_sdwa s[10:11], v34, s8 src0_sel:BYTE_0 src1_sel:DWORD
	v_mov_b32_e32 v43, 0xffff8000
	s_and_saveexec_b64 s[8:9], s[10:11]
	s_cbranch_execz .LBB834_18
; %bb.15:
	s_movk_i32 s10, 0x7f
	v_and_b32_e32 v42, 0x7f, v34
	v_cmp_ne_u32_e32 vcc, s10, v42
	v_mov_b32_e32 v43, 0x7f80
	s_and_saveexec_b64 s[10:11], vcc
	s_cbranch_execz .LBB834_17
; %bb.16:
	v_and_b32_e32 v43, 7, v34
	v_ffbh_u32_e32 v44, v43
	v_min_u32_e32 v52, 32, v44
	v_subrev_u32_e32 v44, 28, v52
	v_lshlrev_b64 v[44:45], v44, v[34:35]
	v_lshrrev_b32_e32 v51, 3, v42
	v_sub_u32_e32 v45, 29, v52
	v_and_b32_e32 v44, 7, v44
	v_cmp_gt_u32_e32 vcc, 8, v42
	v_cndmask_b32_e32 v42, v51, v45, vcc
	v_cndmask_b32_e32 v43, v43, v44, vcc
	v_lshlrev_b32_e32 v44, 24, v34
	v_bfrev_b32_e32 v45, 60
	v_lshlrev_b32_e32 v43, 20, v43
	v_and_b32_e32 v44, 0x80000000, v44
	v_lshl_add_u32 v42, v42, 23, v45
	v_or3_b32 v42, v44, v42, v43
	v_lshrrev_b32_e32 v43, 16, v42
.LBB834_17:
	s_or_b64 exec, exec, s[10:11]
.LBB834_18:
	s_or_b64 exec, exec, s[8:9]
.LBB834_19:
	s_or_b64 exec, exec, s[2:3]
	v_lshrrev_b16_e32 v42, 8, v34
	v_cmp_ne_u16_e32 vcc, 0, v42
	v_mov_b32_e32 v45, 0
	v_mov_b32_e32 v44, 0
	s_and_saveexec_b64 s[2:3], vcc
	s_cbranch_execz .LBB834_25
; %bb.20:
	s_movk_i32 s8, 0x80
	v_cmp_ne_u16_sdwa s[10:11], v34, s8 src0_sel:BYTE_1 src1_sel:DWORD
	v_mov_b32_e32 v44, 0xffff8000
	s_and_saveexec_b64 s[8:9], s[10:11]
	s_cbranch_execz .LBB834_24
; %bb.21:
	s_movk_i32 s10, 0x7f
	v_and_b32_e32 v51, 0x7f, v42
	v_cmp_ne_u32_e32 vcc, s10, v51
	v_mov_b32_e32 v44, 0x7f80
	s_and_saveexec_b64 s[10:11], vcc
	s_cbranch_execz .LBB834_23
; %bb.22:
	v_and_b32_e32 v44, 7, v42
	v_ffbh_u32_e32 v52, v44
	v_min_u32_e32 v55, 32, v52
	v_subrev_u32_e32 v52, 28, v55
	v_lshlrev_b64 v[52:53], v52, v[42:43]
	v_lshrrev_b32_e32 v54, 3, v51
	v_sub_u32_e32 v42, 29, v55
	v_and_b32_e32 v52, 7, v52
	v_cmp_gt_u32_e32 vcc, 8, v51
	v_cndmask_b32_e32 v42, v54, v42, vcc
	v_cndmask_b32_e32 v44, v44, v52, vcc
	v_lshlrev_b32_e32 v51, 16, v34
	v_bfrev_b32_e32 v52, 60
	v_lshlrev_b32_e32 v44, 20, v44
	v_and_b32_e32 v51, 0x80000000, v51
	v_lshl_add_u32 v42, v42, 23, v52
	v_or3_b32 v42, v51, v42, v44
	v_lshrrev_b32_e32 v44, 16, v42
.LBB834_23:
	s_or_b64 exec, exec, s[10:11]
.LBB834_24:
	s_or_b64 exec, exec, s[8:9]
.LBB834_25:
	s_or_b64 exec, exec, s[2:3]
	s_movk_i32 s2, 0xff
	v_and_b32_sdwa v51, v34, s2 dst_sel:DWORD dst_unused:UNUSED_PAD src0_sel:WORD_1 src1_sel:DWORD
	v_lshrrev_b32_e32 v42, 16, v34
	v_cmp_ne_u16_e32 vcc, 0, v51
	s_and_saveexec_b64 s[2:3], vcc
	s_cbranch_execz .LBB834_31
; %bb.26:
	s_movk_i32 s8, 0x80
	v_cmp_ne_u16_e32 vcc, s8, v51
	v_mov_b32_e32 v45, 0xffff8000
	s_and_saveexec_b64 s[8:9], vcc
	s_cbranch_execz .LBB834_30
; %bb.27:
	v_bfe_u32 v51, v34, 16, 7
	s_movk_i32 s10, 0x7f
	v_cmp_ne_u32_e32 vcc, s10, v51
	v_mov_b32_e32 v45, 0x7f80
	s_and_saveexec_b64 s[10:11], vcc
	s_cbranch_execz .LBB834_29
; %bb.28:
	v_and_b32_e32 v45, 7, v42
	v_ffbh_u32_e32 v52, v45
	v_min_u32_e32 v55, 32, v52
	v_subrev_u32_e32 v52, 28, v55
	v_lshlrev_b64 v[52:53], v52, v[42:43]
	v_lshrrev_b32_e32 v54, 3, v51
	v_sub_u32_e32 v42, 29, v55
	v_and_b32_e32 v52, 7, v52
	v_cmp_gt_u32_e32 vcc, 8, v51
	v_mov_b32_e32 v51, 24
	v_cndmask_b32_e32 v42, v54, v42, vcc
	v_cndmask_b32_e32 v45, v45, v52, vcc
	v_lshlrev_b32_sdwa v51, v51, v34 dst_sel:DWORD dst_unused:UNUSED_PAD src0_sel:DWORD src1_sel:WORD_1
	v_bfrev_b32_e32 v52, 60
	v_lshlrev_b32_e32 v45, 20, v45
	v_and_b32_e32 v51, 0x80000000, v51
	v_lshl_add_u32 v42, v42, 23, v52
	v_or3_b32 v42, v51, v42, v45
	v_lshrrev_b32_e32 v45, 16, v42
.LBB834_29:
	s_or_b64 exec, exec, s[10:11]
.LBB834_30:
	s_or_b64 exec, exec, s[8:9]
.LBB834_31:
	s_or_b64 exec, exec, s[2:3]
	s_mov_b32 s2, 0xffffff
	v_cmp_lt_u32_e32 vcc, s2, v34
	v_mov_b32_e32 v52, 0
	v_mov_b32_e32 v53, 0
	s_and_saveexec_b64 s[2:3], vcc
	s_cbranch_execz .LBB834_37
; %bb.32:
	v_lshrrev_b32_e32 v42, 24, v34
	s_movk_i32 s8, 0x80
	v_cmp_ne_u32_e32 vcc, s8, v42
	v_mov_b32_e32 v53, 0xffff8000
	s_and_saveexec_b64 s[8:9], vcc
	s_cbranch_execz .LBB834_36
; %bb.33:
	v_bfe_u32 v34, v34, 24, 7
	s_movk_i32 s10, 0x7f
	v_cmp_ne_u32_e32 vcc, s10, v34
	v_mov_b32_e32 v53, 0x7f80
	s_and_saveexec_b64 s[10:11], vcc
	s_cbranch_execz .LBB834_35
; %bb.34:
	v_and_b32_e32 v51, 7, v42
	v_ffbh_u32_e32 v54, v51
	v_min_u32_e32 v56, 32, v54
	v_subrev_u32_e32 v54, 28, v56
	v_lshlrev_b64 v[54:55], v54, v[42:43]
	v_lshrrev_b32_e32 v53, 3, v34
	v_sub_u32_e32 v55, 29, v56
	v_and_b32_e32 v54, 7, v54
	v_cmp_gt_u32_e32 vcc, 8, v34
	v_cndmask_b32_e32 v34, v53, v55, vcc
	v_cndmask_b32_e32 v51, v51, v54, vcc
	v_lshlrev_b32_e32 v42, 24, v42
	v_bfrev_b32_e32 v53, 60
	v_lshlrev_b32_e32 v51, 20, v51
	v_and_b32_e32 v42, 0x80000000, v42
	v_lshl_add_u32 v34, v34, 23, v53
	v_or3_b32 v34, v42, v34, v51
	v_lshrrev_b32_e32 v53, 16, v34
.LBB834_35:
	s_or_b64 exec, exec, s[10:11]
.LBB834_36:
	s_or_b64 exec, exec, s[8:9]
.LBB834_37:
	s_or_b64 exec, exec, s[2:3]
	v_cmp_ne_u16_sdwa s[8:9], v35, v52 src0_sel:BYTE_0 src1_sel:DWORD
	s_and_saveexec_b64 s[2:3], s[8:9]
	s_cbranch_execz .LBB834_43
; %bb.38:
	s_movk_i32 s8, 0x80
	v_cmp_ne_u16_sdwa s[10:11], v35, s8 src0_sel:BYTE_0 src1_sel:DWORD
	v_mov_b32_e32 v52, 0xffff8000
	s_and_saveexec_b64 s[8:9], s[10:11]
	s_cbranch_execz .LBB834_42
; %bb.39:
	s_movk_i32 s10, 0x7f
	v_and_b32_e32 v34, 0x7f, v35
	v_cmp_ne_u32_e32 vcc, s10, v34
	v_mov_b32_e32 v52, 0x7f80
	s_and_saveexec_b64 s[10:11], vcc
	s_cbranch_execz .LBB834_41
; %bb.40:
	v_and_b32_e32 v51, 7, v35
	v_ffbh_u32_e32 v54, v51
	v_min_u32_e32 v56, 32, v54
	v_mov_b32_e32 v42, v35
	v_subrev_u32_e32 v54, 28, v56
	v_lshlrev_b64 v[54:55], v54, v[42:43]
	v_lshrrev_b32_e32 v52, 3, v34
	v_sub_u32_e32 v42, 29, v56
	v_and_b32_e32 v54, 7, v54
	v_cmp_gt_u32_e32 vcc, 8, v34
	v_cndmask_b32_e32 v34, v52, v42, vcc
	v_cndmask_b32_e32 v42, v51, v54, vcc
	v_lshlrev_b32_e32 v51, 24, v35
	v_bfrev_b32_e32 v52, 60
	v_lshlrev_b32_e32 v42, 20, v42
	v_and_b32_e32 v51, 0x80000000, v51
	v_lshl_add_u32 v34, v34, 23, v52
	v_or3_b32 v34, v51, v34, v42
	v_lshrrev_b32_e32 v52, 16, v34
.LBB834_41:
	s_or_b64 exec, exec, s[10:11]
.LBB834_42:
	s_or_b64 exec, exec, s[8:9]
.LBB834_43:
	s_or_b64 exec, exec, s[2:3]
	v_lshrrev_b16_e32 v34, 8, v35
	v_cmp_ne_u16_e32 vcc, 0, v34
	v_mov_b32_e32 v54, 0
	v_mov_b32_e32 v42, 0
	s_and_saveexec_b64 s[2:3], vcc
	s_cbranch_execz .LBB834_49
; %bb.44:
	s_movk_i32 s8, 0x80
	v_cmp_ne_u16_e32 vcc, s8, v34
	v_mov_b32_e32 v42, 0xffff8000
	s_and_saveexec_b64 s[8:9], vcc
	s_cbranch_execz .LBB834_48
; %bb.45:
	s_movk_i32 s10, 0x7f
	v_and_b32_e32 v51, 0x7f, v34
	v_cmp_ne_u32_e32 vcc, s10, v51
	v_mov_b32_e32 v42, 0x7f80
	s_and_saveexec_b64 s[10:11], vcc
	s_cbranch_execz .LBB834_47
; %bb.46:
	v_and_b32_e32 v42, 7, v34
	v_ffbh_u32_e32 v56, v42
	v_min_u32_e32 v58, 32, v56
	v_subrev_u32_e32 v56, 28, v58
	v_lshlrev_b64 v[56:57], v56, v[34:35]
	v_lshrrev_b32_e32 v55, 3, v51
	v_sub_u32_e32 v34, 29, v58
	v_and_b32_e32 v56, 7, v56
	v_cmp_gt_u32_e32 vcc, 8, v51
	v_cndmask_b32_e32 v34, v55, v34, vcc
	v_cndmask_b32_e32 v42, v42, v56, vcc
	v_lshlrev_b32_e32 v51, 16, v35
	v_bfrev_b32_e32 v55, 60
	v_lshlrev_b32_e32 v42, 20, v42
	v_and_b32_e32 v51, 0x80000000, v51
	v_lshl_add_u32 v34, v34, 23, v55
	v_or3_b32 v34, v51, v34, v42
	v_lshrrev_b32_e32 v42, 16, v34
.LBB834_47:
	s_or_b64 exec, exec, s[10:11]
.LBB834_48:
	s_or_b64 exec, exec, s[8:9]
.LBB834_49:
	s_or_b64 exec, exec, s[2:3]
	s_movk_i32 s2, 0xff
	v_and_b32_sdwa v51, v35, s2 dst_sel:DWORD dst_unused:UNUSED_PAD src0_sel:WORD_1 src1_sel:DWORD
	v_lshrrev_b32_e32 v34, 16, v35
	v_cmp_ne_u16_e32 vcc, 0, v51
	s_and_saveexec_b64 s[2:3], vcc
	s_cbranch_execz .LBB834_55
; %bb.50:
	s_movk_i32 s8, 0x80
	v_cmp_ne_u16_e32 vcc, s8, v51
	v_mov_b32_e32 v54, 0xffff8000
	s_and_saveexec_b64 s[8:9], vcc
	s_cbranch_execz .LBB834_54
; %bb.51:
	v_bfe_u32 v51, v35, 16, 7
	s_movk_i32 s10, 0x7f
	v_cmp_ne_u32_e32 vcc, s10, v51
	v_mov_b32_e32 v54, 0x7f80
	s_and_saveexec_b64 s[10:11], vcc
	s_cbranch_execz .LBB834_53
; %bb.52:
	v_and_b32_e32 v56, 7, v34
	v_ffbh_u32_e32 v54, v56
	v_min_u32_e32 v58, 32, v54
	v_subrev_u32_e32 v54, 28, v58
	v_lshlrev_b64 v[54:55], v54, v[34:35]
	v_and_b32_e32 v54, 7, v54
	v_cmp_gt_u32_e32 vcc, 8, v51
	v_lshrrev_b32_e32 v57, 3, v51
	v_sub_u32_e32 v34, 29, v58
	v_cndmask_b32_e32 v51, v56, v54, vcc
	v_mov_b32_e32 v54, 24
	v_cndmask_b32_e32 v34, v57, v34, vcc
	v_lshlrev_b32_sdwa v54, v54, v35 dst_sel:DWORD dst_unused:UNUSED_PAD src0_sel:DWORD src1_sel:WORD_1
	v_bfrev_b32_e32 v55, 60
	v_lshlrev_b32_e32 v51, 20, v51
	v_and_b32_e32 v54, 0x80000000, v54
	v_lshl_add_u32 v34, v34, 23, v55
	v_or3_b32 v34, v54, v34, v51
	v_lshrrev_b32_e32 v54, 16, v34
.LBB834_53:
	s_or_b64 exec, exec, s[10:11]
.LBB834_54:
	s_or_b64 exec, exec, s[8:9]
.LBB834_55:
	s_or_b64 exec, exec, s[2:3]
	s_mov_b32 s2, 0xffffff
	v_cmp_lt_u32_e32 vcc, s2, v35
	v_mov_b32_e32 v51, 0
	v_mov_b32_e32 v55, 0
	s_and_saveexec_b64 s[2:3], vcc
	s_cbranch_execz .LBB834_61
; %bb.56:
	v_lshrrev_b32_e32 v34, 24, v35
	s_movk_i32 s8, 0x80
	v_cmp_ne_u32_e32 vcc, s8, v34
	v_mov_b32_e32 v55, 0xffff8000
	s_and_saveexec_b64 s[8:9], vcc
	s_cbranch_execz .LBB834_60
; %bb.57:
	v_bfe_u32 v35, v35, 24, 7
	s_movk_i32 s10, 0x7f
	v_cmp_ne_u32_e32 vcc, s10, v35
	v_mov_b32_e32 v55, 0x7f80
	s_and_saveexec_b64 s[10:11], vcc
	s_cbranch_execz .LBB834_59
; %bb.58:
	v_and_b32_e32 v55, 7, v34
	v_ffbh_u32_e32 v56, v55
	v_min_u32_e32 v59, 32, v56
	v_subrev_u32_e32 v56, 28, v59
	v_lshlrev_b64 v[56:57], v56, v[34:35]
	v_lshrrev_b32_e32 v58, 3, v35
	v_sub_u32_e32 v57, 29, v59
	v_and_b32_e32 v56, 7, v56
	v_cmp_gt_u32_e32 vcc, 8, v35
	v_cndmask_b32_e32 v35, v58, v57, vcc
	v_cndmask_b32_e32 v55, v55, v56, vcc
	v_lshlrev_b32_e32 v34, 24, v34
	v_bfrev_b32_e32 v56, 60
	v_lshlrev_b32_e32 v55, 20, v55
	v_and_b32_e32 v34, 0x80000000, v34
	v_lshl_add_u32 v35, v35, 23, v56
	v_or3_b32 v34, v34, v35, v55
	v_lshrrev_b32_e32 v55, 16, v34
.LBB834_59:
	s_or_b64 exec, exec, s[10:11]
.LBB834_60:
	s_or_b64 exec, exec, s[8:9]
.LBB834_61:
	s_or_b64 exec, exec, s[2:3]
	s_mov_b32 s2, 0x5040100
	v_perm_b32 v35, v53, v45, s2
	v_perm_b32 v34, v44, v43, s2
	v_cmp_ne_u16_sdwa s[8:9], v36, v51 src0_sel:BYTE_0 src1_sel:DWORD
	s_nop 0
	v_mfma_f32_16x16x16bf16_1k v[56:59], v[34:35], v[26:27], 0
	v_perm_b32 v35, v55, v54, s2
	v_perm_b32 v34, v42, v52, s2
	s_nop 1
	v_mfma_f32_16x16x16bf16_1k v[42:45], v[34:35], v[28:29], v[56:59]
	s_and_saveexec_b64 s[2:3], s[8:9]
	s_cbranch_execz .LBB834_67
; %bb.62:
	s_movk_i32 s8, 0x80
	v_cmp_ne_u16_sdwa s[10:11], v36, s8 src0_sel:BYTE_0 src1_sel:DWORD
	v_mov_b32_e32 v51, 0xffff8000
	s_and_saveexec_b64 s[8:9], s[10:11]
	s_cbranch_execz .LBB834_66
; %bb.63:
	s_movk_i32 s10, 0x7f
	v_and_b32_e32 v34, 0x7f, v36
	v_cmp_ne_u32_e32 vcc, s10, v34
	v_mov_b32_e32 v51, 0x7f80
	s_and_saveexec_b64 s[10:11], vcc
	s_cbranch_execz .LBB834_65
; %bb.64:
	v_and_b32_e32 v35, 7, v36
	v_ffbh_u32_e32 v52, v35
	v_min_u32_e32 v54, 32, v52
	v_subrev_u32_e32 v52, 28, v54
	v_lshlrev_b64 v[52:53], v52, v[36:37]
	v_lshrrev_b32_e32 v51, 3, v34
	v_sub_u32_e32 v53, 29, v54
	v_and_b32_e32 v52, 7, v52
	v_cmp_gt_u32_e32 vcc, 8, v34
	v_cndmask_b32_e32 v34, v51, v53, vcc
	v_cndmask_b32_e32 v35, v35, v52, vcc
	v_lshlrev_b32_e32 v51, 24, v36
	v_bfrev_b32_e32 v52, 60
	v_lshlrev_b32_e32 v35, 20, v35
	v_and_b32_e32 v51, 0x80000000, v51
	v_lshl_add_u32 v34, v34, 23, v52
	v_or3_b32 v34, v51, v34, v35
	v_lshrrev_b32_e32 v51, 16, v34
.LBB834_65:
	s_or_b64 exec, exec, s[10:11]
.LBB834_66:
	s_or_b64 exec, exec, s[8:9]
.LBB834_67:
	s_or_b64 exec, exec, s[2:3]
	v_lshrrev_b16_e32 v34, 8, v36
	v_cmp_ne_u16_e32 vcc, 0, v34
	v_mov_b32_e32 v53, 0
	v_mov_b32_e32 v35, 0
	s_and_saveexec_b64 s[2:3], vcc
	s_cbranch_execz .LBB834_73
; %bb.68:
	s_movk_i32 s8, 0x80
	v_cmp_ne_u16_e32 vcc, s8, v34
	v_mov_b32_e32 v35, 0xffff8000
	s_and_saveexec_b64 s[8:9], vcc
	s_cbranch_execz .LBB834_72
; %bb.69:
	s_movk_i32 s10, 0x7f
	v_and_b32_e32 v52, 0x7f, v34
	v_cmp_ne_u32_e32 vcc, s10, v52
	v_mov_b32_e32 v35, 0x7f80
	s_and_saveexec_b64 s[10:11], vcc
	s_cbranch_execz .LBB834_71
; %bb.70:
	v_and_b32_e32 v54, 7, v34
	v_ffbh_u32_e32 v35, v54
	v_min_u32_e32 v56, 32, v35
	v_subrev_u32_e32 v35, 28, v56
	v_lshlrev_b64 v[34:35], v35, v[34:35]
	v_lshrrev_b32_e32 v55, 3, v52
	v_sub_u32_e32 v35, 29, v56
	v_and_b32_e32 v34, 7, v34
	v_cmp_gt_u32_e32 vcc, 8, v52
	v_cndmask_b32_e32 v35, v55, v35, vcc
	v_cndmask_b32_e32 v34, v54, v34, vcc
	v_lshlrev_b32_e32 v52, 16, v36
	v_bfrev_b32_e32 v54, 60
	v_lshlrev_b32_e32 v34, 20, v34
	v_and_b32_e32 v52, 0x80000000, v52
	v_lshl_add_u32 v35, v35, 23, v54
	v_or3_b32 v34, v52, v35, v34
	v_lshrrev_b32_e32 v35, 16, v34
.LBB834_71:
	s_or_b64 exec, exec, s[10:11]
.LBB834_72:
	s_or_b64 exec, exec, s[8:9]
.LBB834_73:
	s_or_b64 exec, exec, s[2:3]
	s_movk_i32 s2, 0xff
	v_and_b32_sdwa v52, v36, s2 dst_sel:DWORD dst_unused:UNUSED_PAD src0_sel:WORD_1 src1_sel:DWORD
	v_lshrrev_b32_e32 v34, 16, v36
	v_cmp_ne_u16_e32 vcc, 0, v52
	s_and_saveexec_b64 s[2:3], vcc
	s_cbranch_execz .LBB834_79
; %bb.74:
	s_movk_i32 s8, 0x80
	v_cmp_ne_u16_e32 vcc, s8, v52
	v_mov_b32_e32 v53, 0xffff8000
	s_and_saveexec_b64 s[8:9], vcc
	s_cbranch_execz .LBB834_78
; %bb.75:
	v_bfe_u32 v52, v36, 16, 7
	s_movk_i32 s10, 0x7f
	v_cmp_ne_u32_e32 vcc, s10, v52
	v_mov_b32_e32 v53, 0x7f80
	s_and_saveexec_b64 s[10:11], vcc
	s_cbranch_execz .LBB834_77
; %bb.76:
	v_and_b32_e32 v53, 7, v34
	v_ffbh_u32_e32 v54, v53
	v_min_u32_e32 v57, 32, v54
	v_subrev_u32_e32 v54, 28, v57
	v_lshlrev_b64 v[54:55], v54, v[34:35]
	v_and_b32_e32 v54, 7, v54
	v_cmp_gt_u32_e32 vcc, 8, v52
	v_lshrrev_b32_e32 v56, 3, v52
	v_sub_u32_e32 v34, 29, v57
	v_cndmask_b32_e32 v52, v53, v54, vcc
	v_mov_b32_e32 v53, 24
	v_cndmask_b32_e32 v34, v56, v34, vcc
	v_lshlrev_b32_sdwa v53, v53, v36 dst_sel:DWORD dst_unused:UNUSED_PAD src0_sel:DWORD src1_sel:WORD_1
	v_bfrev_b32_e32 v54, 60
	v_lshlrev_b32_e32 v52, 20, v52
	v_and_b32_e32 v53, 0x80000000, v53
	v_lshl_add_u32 v34, v34, 23, v54
	v_or3_b32 v34, v53, v34, v52
	v_lshrrev_b32_e32 v53, 16, v34
.LBB834_77:
	s_or_b64 exec, exec, s[10:11]
.LBB834_78:
	s_or_b64 exec, exec, s[8:9]
.LBB834_79:
	s_or_b64 exec, exec, s[2:3]
	s_mov_b32 s2, 0xffffff
	v_cmp_lt_u32_e32 vcc, s2, v36
	v_mov_b32_e32 v54, 0
	v_mov_b32_e32 v55, 0
	s_and_saveexec_b64 s[2:3], vcc
	s_cbranch_execz .LBB834_85
; %bb.80:
	v_lshrrev_b32_e32 v34, 24, v36
	s_movk_i32 s8, 0x80
	v_cmp_ne_u32_e32 vcc, s8, v34
	v_mov_b32_e32 v55, 0xffff8000
	s_and_saveexec_b64 s[8:9], vcc
	s_cbranch_execz .LBB834_84
; %bb.81:
	v_bfe_u32 v36, v36, 24, 7
	s_movk_i32 s10, 0x7f
	v_cmp_ne_u32_e32 vcc, s10, v36
	v_mov_b32_e32 v55, 0x7f80
	s_and_saveexec_b64 s[10:11], vcc
	s_cbranch_execz .LBB834_83
; %bb.82:
	v_and_b32_e32 v52, 7, v34
	v_ffbh_u32_e32 v56, v52
	v_min_u32_e32 v58, 32, v56
	v_subrev_u32_e32 v56, 28, v58
	v_lshlrev_b64 v[56:57], v56, v[34:35]
	v_lshrrev_b32_e32 v55, 3, v36
	v_sub_u32_e32 v57, 29, v58
	v_and_b32_e32 v56, 7, v56
	v_cmp_gt_u32_e32 vcc, 8, v36
	v_cndmask_b32_e32 v36, v55, v57, vcc
	v_cndmask_b32_e32 v52, v52, v56, vcc
	v_lshlrev_b32_e32 v34, 24, v34
	v_bfrev_b32_e32 v55, 60
	v_lshlrev_b32_e32 v52, 20, v52
	v_and_b32_e32 v34, 0x80000000, v34
	v_lshl_add_u32 v36, v36, 23, v55
	v_or3_b32 v34, v34, v36, v52
	v_lshrrev_b32_e32 v55, 16, v34
.LBB834_83:
	s_or_b64 exec, exec, s[10:11]
.LBB834_84:
	s_or_b64 exec, exec, s[8:9]
.LBB834_85:
	s_or_b64 exec, exec, s[2:3]
	v_cmp_ne_u16_sdwa s[8:9], v37, v54 src0_sel:BYTE_0 src1_sel:DWORD
	s_and_saveexec_b64 s[2:3], s[8:9]
	s_cbranch_execz .LBB834_91
; %bb.86:
	s_movk_i32 s8, 0x80
	v_cmp_ne_u16_sdwa s[10:11], v37, s8 src0_sel:BYTE_0 src1_sel:DWORD
	v_mov_b32_e32 v54, 0xffff8000
	s_and_saveexec_b64 s[8:9], s[10:11]
	s_cbranch_execz .LBB834_90
; %bb.87:
	s_movk_i32 s10, 0x7f
	v_and_b32_e32 v34, 0x7f, v37
	v_cmp_ne_u32_e32 vcc, s10, v34
	v_mov_b32_e32 v54, 0x7f80
	s_and_saveexec_b64 s[10:11], vcc
	s_cbranch_execz .LBB834_89
; %bb.88:
	v_and_b32_e32 v52, 7, v37
	v_ffbh_u32_e32 v56, v52
	v_min_u32_e32 v58, 32, v56
	v_mov_b32_e32 v36, v37
	v_subrev_u32_e32 v56, 28, v58
	v_lshlrev_b64 v[56:57], v56, v[36:37]
	v_lshrrev_b32_e32 v54, 3, v34
	v_sub_u32_e32 v36, 29, v58
	v_and_b32_e32 v56, 7, v56
	v_cmp_gt_u32_e32 vcc, 8, v34
	v_cndmask_b32_e32 v34, v54, v36, vcc
	v_cndmask_b32_e32 v36, v52, v56, vcc
	v_lshlrev_b32_e32 v52, 24, v37
	v_bfrev_b32_e32 v54, 60
	v_lshlrev_b32_e32 v36, 20, v36
	v_and_b32_e32 v52, 0x80000000, v52
	v_lshl_add_u32 v34, v34, 23, v54
	v_or3_b32 v34, v52, v34, v36
	v_lshrrev_b32_e32 v54, 16, v34
.LBB834_89:
	s_or_b64 exec, exec, s[10:11]
.LBB834_90:
	s_or_b64 exec, exec, s[8:9]
.LBB834_91:
	s_or_b64 exec, exec, s[2:3]
	v_lshrrev_b16_e32 v34, 8, v37
	v_cmp_ne_u16_e32 vcc, 0, v34
	v_mov_b32_e32 v56, 0
	v_mov_b32_e32 v36, 0
	s_and_saveexec_b64 s[2:3], vcc
	s_cbranch_execz .LBB834_97
; %bb.92:
	s_movk_i32 s8, 0x80
	v_cmp_ne_u16_e32 vcc, s8, v34
	v_mov_b32_e32 v36, 0xffff8000
	s_and_saveexec_b64 s[8:9], vcc
	s_cbranch_execz .LBB834_96
; %bb.93:
	s_movk_i32 s10, 0x7f
	v_and_b32_e32 v52, 0x7f, v34
	v_cmp_ne_u32_e32 vcc, s10, v52
	v_mov_b32_e32 v36, 0x7f80
	s_and_saveexec_b64 s[10:11], vcc
	s_cbranch_execz .LBB834_95
; %bb.94:
	v_and_b32_e32 v36, 7, v34
	v_ffbh_u32_e32 v58, v36
	v_min_u32_e32 v60, 32, v58
	v_subrev_u32_e32 v58, 28, v60
	v_lshlrev_b64 v[58:59], v58, v[34:35]
	v_lshrrev_b32_e32 v57, 3, v52
	v_sub_u32_e32 v34, 29, v60
	v_and_b32_e32 v58, 7, v58
	v_cmp_gt_u32_e32 vcc, 8, v52
	v_cndmask_b32_e32 v34, v57, v34, vcc
	v_cndmask_b32_e32 v36, v36, v58, vcc
	v_lshlrev_b32_e32 v52, 16, v37
	v_bfrev_b32_e32 v57, 60
	v_lshlrev_b32_e32 v36, 20, v36
	v_and_b32_e32 v52, 0x80000000, v52
	v_lshl_add_u32 v34, v34, 23, v57
	v_or3_b32 v34, v52, v34, v36
	v_lshrrev_b32_e32 v36, 16, v34
.LBB834_95:
	s_or_b64 exec, exec, s[10:11]
.LBB834_96:
	s_or_b64 exec, exec, s[8:9]
.LBB834_97:
	s_or_b64 exec, exec, s[2:3]
	s_movk_i32 s2, 0xff
	v_and_b32_sdwa v52, v37, s2 dst_sel:DWORD dst_unused:UNUSED_PAD src0_sel:WORD_1 src1_sel:DWORD
	v_lshrrev_b32_e32 v34, 16, v37
	v_cmp_ne_u16_e32 vcc, 0, v52
	s_and_saveexec_b64 s[2:3], vcc
	s_cbranch_execz .LBB834_103
; %bb.98:
	s_movk_i32 s8, 0x80
	v_cmp_ne_u16_e32 vcc, s8, v52
	v_mov_b32_e32 v56, 0xffff8000
	s_and_saveexec_b64 s[8:9], vcc
	s_cbranch_execz .LBB834_102
; %bb.99:
	v_bfe_u32 v52, v37, 16, 7
	s_movk_i32 s10, 0x7f
	v_cmp_ne_u32_e32 vcc, s10, v52
	v_mov_b32_e32 v56, 0x7f80
	s_and_saveexec_b64 s[10:11], vcc
	s_cbranch_execz .LBB834_101
; %bb.100:
	v_and_b32_e32 v58, 7, v34
	v_ffbh_u32_e32 v56, v58
	v_min_u32_e32 v60, 32, v56
	v_subrev_u32_e32 v56, 28, v60
	v_lshlrev_b64 v[56:57], v56, v[34:35]
	v_and_b32_e32 v56, 7, v56
	v_cmp_gt_u32_e32 vcc, 8, v52
	v_lshrrev_b32_e32 v59, 3, v52
	v_sub_u32_e32 v34, 29, v60
	v_cndmask_b32_e32 v52, v58, v56, vcc
	v_mov_b32_e32 v56, 24
	v_cndmask_b32_e32 v34, v59, v34, vcc
	v_lshlrev_b32_sdwa v56, v56, v37 dst_sel:DWORD dst_unused:UNUSED_PAD src0_sel:DWORD src1_sel:WORD_1
	v_bfrev_b32_e32 v57, 60
	v_lshlrev_b32_e32 v52, 20, v52
	v_and_b32_e32 v56, 0x80000000, v56
	v_lshl_add_u32 v34, v34, 23, v57
	v_or3_b32 v34, v56, v34, v52
	v_lshrrev_b32_e32 v56, 16, v34
.LBB834_101:
	s_or_b64 exec, exec, s[10:11]
.LBB834_102:
	s_or_b64 exec, exec, s[8:9]
.LBB834_103:
	s_or_b64 exec, exec, s[2:3]
	s_mov_b32 s2, 0xffffff
	v_cmp_lt_u32_e32 vcc, s2, v37
	v_mov_b32_e32 v52, 0
	v_mov_b32_e32 v57, 0
	s_and_saveexec_b64 s[2:3], vcc
	s_cbranch_execz .LBB834_109
; %bb.104:
	v_lshrrev_b32_e32 v34, 24, v37
	s_movk_i32 s8, 0x80
	v_cmp_ne_u32_e32 vcc, s8, v34
	v_mov_b32_e32 v57, 0xffff8000
	s_and_saveexec_b64 s[8:9], vcc
	s_cbranch_execz .LBB834_108
; %bb.105:
	v_bfe_u32 v37, v37, 24, 7
	s_movk_i32 s10, 0x7f
	v_cmp_ne_u32_e32 vcc, s10, v37
	v_mov_b32_e32 v57, 0x7f80
	s_and_saveexec_b64 s[10:11], vcc
	s_cbranch_execz .LBB834_107
; %bb.106:
	v_and_b32_e32 v57, 7, v34
	v_ffbh_u32_e32 v58, v57
	v_min_u32_e32 v61, 32, v58
	v_subrev_u32_e32 v58, 28, v61
	v_lshlrev_b64 v[58:59], v58, v[34:35]
	v_lshrrev_b32_e32 v60, 3, v37
	v_sub_u32_e32 v59, 29, v61
	v_and_b32_e32 v58, 7, v58
	v_cmp_gt_u32_e32 vcc, 8, v37
	v_cndmask_b32_e32 v37, v60, v59, vcc
	v_cndmask_b32_e32 v57, v57, v58, vcc
	v_lshlrev_b32_e32 v34, 24, v34
	v_bfrev_b32_e32 v58, 60
	v_lshlrev_b32_e32 v57, 20, v57
	v_and_b32_e32 v34, 0x80000000, v34
	v_lshl_add_u32 v37, v37, 23, v58
	v_or3_b32 v34, v34, v37, v57
	v_lshrrev_b32_e32 v57, 16, v34
.LBB834_107:
	s_or_b64 exec, exec, s[10:11]
.LBB834_108:
	s_or_b64 exec, exec, s[8:9]
.LBB834_109:
	s_or_b64 exec, exec, s[2:3]
	s_mov_b32 s2, 0x5040100
	v_perm_b32 v59, v55, v53, s2
	v_perm_b32 v58, v35, v51, s2
	;; [unrolled: 1-line block ×4, first 2 shown]
	v_cmp_ne_u16_sdwa s[8:9], v38, v52 src0_sel:BYTE_0 src1_sel:DWORD
	v_mfma_f32_16x16x16bf16_1k v[42:45], v[58:59], v[18:19], v[42:45]
	v_mfma_f32_16x16x16bf16_1k v[34:37], v[34:35], v[20:21], v[42:45]
	s_and_saveexec_b64 s[2:3], s[8:9]
	s_cbranch_execz .LBB834_115
; %bb.110:
	s_movk_i32 s8, 0x80
	v_cmp_ne_u16_sdwa s[10:11], v38, s8 src0_sel:BYTE_0 src1_sel:DWORD
	v_mov_b32_e32 v52, 0xffff8000
	s_and_saveexec_b64 s[8:9], s[10:11]
	s_cbranch_execz .LBB834_114
; %bb.111:
	s_movk_i32 s10, 0x7f
	s_nop 1
	v_and_b32_e32 v42, 0x7f, v38
	v_cmp_ne_u32_e32 vcc, s10, v42
	v_mov_b32_e32 v52, 0x7f80
	s_and_saveexec_b64 s[10:11], vcc
	s_cbranch_execz .LBB834_113
; %bb.112:
	v_and_b32_e32 v43, 7, v38
	v_ffbh_u32_e32 v44, v43
	v_min_u32_e32 v52, 32, v44
	v_subrev_u32_e32 v44, 28, v52
	v_lshlrev_b64 v[44:45], v44, v[38:39]
	v_lshrrev_b32_e32 v51, 3, v42
	v_sub_u32_e32 v45, 29, v52
	v_and_b32_e32 v44, 7, v44
	v_cmp_gt_u32_e32 vcc, 8, v42
	v_cndmask_b32_e32 v42, v51, v45, vcc
	v_cndmask_b32_e32 v43, v43, v44, vcc
	v_lshlrev_b32_e32 v44, 24, v38
	v_bfrev_b32_e32 v45, 60
	v_lshlrev_b32_e32 v43, 20, v43
	v_and_b32_e32 v44, 0x80000000, v44
	v_lshl_add_u32 v42, v42, 23, v45
	v_or3_b32 v42, v44, v42, v43
	v_lshrrev_b32_e32 v52, 16, v42
.LBB834_113:
	s_or_b64 exec, exec, s[10:11]
.LBB834_114:
	s_or_b64 exec, exec, s[8:9]
.LBB834_115:
	s_or_b64 exec, exec, s[2:3]
	s_nop 6
	v_lshrrev_b16_e32 v42, 8, v38
	v_cmp_ne_u16_e32 vcc, 0, v42
	v_mov_b32_e32 v44, 0
	v_mov_b32_e32 v43, 0
	s_and_saveexec_b64 s[2:3], vcc
	s_cbranch_execz .LBB834_121
; %bb.116:
	s_movk_i32 s8, 0x80
	v_cmp_ne_u16_e32 vcc, s8, v42
	v_mov_b32_e32 v43, 0xffff8000
	s_and_saveexec_b64 s[8:9], vcc
	s_cbranch_execz .LBB834_120
; %bb.117:
	s_movk_i32 s10, 0x7f
	v_and_b32_e32 v45, 0x7f, v42
	v_cmp_ne_u32_e32 vcc, s10, v45
	v_mov_b32_e32 v43, 0x7f80
	s_and_saveexec_b64 s[10:11], vcc
	s_cbranch_execz .LBB834_119
; %bb.118:
	v_and_b32_e32 v51, 7, v42
	v_ffbh_u32_e32 v43, v51
	v_min_u32_e32 v54, 32, v43
	v_subrev_u32_e32 v43, 28, v54
	v_lshlrev_b64 v[42:43], v43, v[42:43]
	v_lshrrev_b32_e32 v53, 3, v45
	v_sub_u32_e32 v43, 29, v54
	v_and_b32_e32 v42, 7, v42
	v_cmp_gt_u32_e32 vcc, 8, v45
	v_cndmask_b32_e32 v43, v53, v43, vcc
	v_cndmask_b32_e32 v42, v51, v42, vcc
	v_lshlrev_b32_e32 v45, 16, v38
	v_bfrev_b32_e32 v51, 60
	v_lshlrev_b32_e32 v42, 20, v42
	v_and_b32_e32 v45, 0x80000000, v45
	v_lshl_add_u32 v43, v43, 23, v51
	v_or3_b32 v42, v45, v43, v42
	v_lshrrev_b32_e32 v43, 16, v42
.LBB834_119:
	s_or_b64 exec, exec, s[10:11]
.LBB834_120:
	s_or_b64 exec, exec, s[8:9]
.LBB834_121:
	s_or_b64 exec, exec, s[2:3]
	s_movk_i32 s2, 0xff
	v_and_b32_sdwa v45, v38, s2 dst_sel:DWORD dst_unused:UNUSED_PAD src0_sel:WORD_1 src1_sel:DWORD
	v_lshrrev_b32_e32 v42, 16, v38
	v_cmp_ne_u16_e32 vcc, 0, v45
	s_and_saveexec_b64 s[2:3], vcc
	s_cbranch_execz .LBB834_127
; %bb.122:
	s_movk_i32 s8, 0x80
	v_cmp_ne_u16_e32 vcc, s8, v45
	v_mov_b32_e32 v44, 0xffff8000
	s_and_saveexec_b64 s[8:9], vcc
	s_cbranch_execz .LBB834_126
; %bb.123:
	v_bfe_u32 v45, v38, 16, 7
	s_movk_i32 s10, 0x7f
	v_cmp_ne_u32_e32 vcc, s10, v45
	v_mov_b32_e32 v44, 0x7f80
	s_and_saveexec_b64 s[10:11], vcc
	s_cbranch_execz .LBB834_125
; %bb.124:
	v_and_b32_e32 v44, 7, v42
	v_ffbh_u32_e32 v53, v44
	v_min_u32_e32 v53, 32, v53
	v_subrev_u32_e32 v54, 28, v53
	v_lshlrev_b64 v[54:55], v54, v[42:43]
	v_lshrrev_b32_e32 v51, 3, v45
	v_sub_u32_e32 v42, 29, v53
	v_and_b32_e32 v53, 7, v54
	v_cmp_gt_u32_e32 vcc, 8, v45
	v_mov_b32_e32 v45, 24
	v_cndmask_b32_e32 v42, v51, v42, vcc
	v_cndmask_b32_e32 v44, v44, v53, vcc
	v_lshlrev_b32_sdwa v45, v45, v38 dst_sel:DWORD dst_unused:UNUSED_PAD src0_sel:DWORD src1_sel:WORD_1
	v_bfrev_b32_e32 v51, 60
	v_lshlrev_b32_e32 v44, 20, v44
	v_and_b32_e32 v45, 0x80000000, v45
	v_lshl_add_u32 v42, v42, 23, v51
	v_or3_b32 v42, v45, v42, v44
	v_lshrrev_b32_e32 v44, 16, v42
.LBB834_125:
	s_or_b64 exec, exec, s[10:11]
.LBB834_126:
	s_or_b64 exec, exec, s[8:9]
.LBB834_127:
	s_or_b64 exec, exec, s[2:3]
	s_mov_b32 s2, 0xffffff
	v_cmp_lt_u32_e32 vcc, s2, v38
	v_mov_b32_e32 v45, 0
	v_mov_b32_e32 v53, 0
	s_and_saveexec_b64 s[2:3], vcc
	s_cbranch_execz .LBB834_133
; %bb.128:
	v_lshrrev_b32_e32 v42, 24, v38
	s_movk_i32 s8, 0x80
	v_cmp_ne_u32_e32 vcc, s8, v42
	v_mov_b32_e32 v53, 0xffff8000
	s_and_saveexec_b64 s[8:9], vcc
	s_cbranch_execz .LBB834_132
; %bb.129:
	v_bfe_u32 v38, v38, 24, 7
	s_movk_i32 s10, 0x7f
	v_cmp_ne_u32_e32 vcc, s10, v38
	v_mov_b32_e32 v53, 0x7f80
	s_and_saveexec_b64 s[10:11], vcc
	s_cbranch_execz .LBB834_131
; %bb.130:
	v_and_b32_e32 v51, 7, v42
	v_ffbh_u32_e32 v54, v51
	v_min_u32_e32 v56, 32, v54
	v_subrev_u32_e32 v54, 28, v56
	v_lshlrev_b64 v[54:55], v54, v[42:43]
	v_lshrrev_b32_e32 v53, 3, v38
	v_sub_u32_e32 v55, 29, v56
	v_and_b32_e32 v54, 7, v54
	v_cmp_gt_u32_e32 vcc, 8, v38
	v_cndmask_b32_e32 v38, v53, v55, vcc
	v_cndmask_b32_e32 v51, v51, v54, vcc
	v_lshlrev_b32_e32 v42, 24, v42
	v_bfrev_b32_e32 v53, 60
	v_lshlrev_b32_e32 v51, 20, v51
	v_and_b32_e32 v42, 0x80000000, v42
	v_lshl_add_u32 v38, v38, 23, v53
	v_or3_b32 v38, v42, v38, v51
	v_lshrrev_b32_e32 v53, 16, v38
.LBB834_131:
	s_or_b64 exec, exec, s[10:11]
.LBB834_132:
	s_or_b64 exec, exec, s[8:9]
.LBB834_133:
	s_or_b64 exec, exec, s[2:3]
	v_cmp_ne_u16_sdwa s[8:9], v39, v45 src0_sel:BYTE_0 src1_sel:DWORD
	s_and_saveexec_b64 s[2:3], s[8:9]
	s_cbranch_execz .LBB834_139
; %bb.134:
	s_movk_i32 s8, 0x80
	v_cmp_ne_u16_sdwa s[10:11], v39, s8 src0_sel:BYTE_0 src1_sel:DWORD
	v_mov_b32_e32 v45, 0xffff8000
	s_and_saveexec_b64 s[8:9], s[10:11]
	s_cbranch_execz .LBB834_138
; %bb.135:
	s_movk_i32 s10, 0x7f
	v_and_b32_e32 v38, 0x7f, v39
	v_cmp_ne_u32_e32 vcc, s10, v38
	v_mov_b32_e32 v45, 0x7f80
	s_and_saveexec_b64 s[10:11], vcc
	s_cbranch_execz .LBB834_137
; %bb.136:
	v_and_b32_e32 v45, 7, v39
	v_ffbh_u32_e32 v54, v45
	v_min_u32_e32 v56, 32, v54
	v_mov_b32_e32 v42, v39
	v_subrev_u32_e32 v54, 28, v56
	v_lshlrev_b64 v[54:55], v54, v[42:43]
	v_lshrrev_b32_e32 v51, 3, v38
	v_sub_u32_e32 v42, 29, v56
	v_and_b32_e32 v54, 7, v54
	v_cmp_gt_u32_e32 vcc, 8, v38
	v_cndmask_b32_e32 v38, v51, v42, vcc
	v_cndmask_b32_e32 v42, v45, v54, vcc
	v_lshlrev_b32_e32 v45, 24, v39
	v_bfrev_b32_e32 v51, 60
	v_lshlrev_b32_e32 v42, 20, v42
	v_and_b32_e32 v45, 0x80000000, v45
	v_lshl_add_u32 v38, v38, 23, v51
	v_or3_b32 v38, v45, v38, v42
	v_lshrrev_b32_e32 v45, 16, v38
.LBB834_137:
	s_or_b64 exec, exec, s[10:11]
.LBB834_138:
	s_or_b64 exec, exec, s[8:9]
.LBB834_139:
	s_or_b64 exec, exec, s[2:3]
	v_lshrrev_b16_e32 v38, 8, v39
	v_cmp_ne_u16_e32 vcc, 0, v38
	v_mov_b32_e32 v54, 0
	v_mov_b32_e32 v42, 0
	s_and_saveexec_b64 s[2:3], vcc
	s_cbranch_execz .LBB834_145
; %bb.140:
	s_movk_i32 s8, 0x80
	v_cmp_ne_u16_e32 vcc, s8, v38
	v_mov_b32_e32 v42, 0xffff8000
	s_and_saveexec_b64 s[8:9], vcc
	s_cbranch_execz .LBB834_144
; %bb.141:
	s_movk_i32 s10, 0x7f
	v_and_b32_e32 v51, 0x7f, v38
	v_cmp_ne_u32_e32 vcc, s10, v51
	v_mov_b32_e32 v42, 0x7f80
	s_and_saveexec_b64 s[10:11], vcc
	s_cbranch_execz .LBB834_143
; %bb.142:
	v_and_b32_e32 v42, 7, v38
	v_ffbh_u32_e32 v56, v42
	v_min_u32_e32 v58, 32, v56
	v_subrev_u32_e32 v56, 28, v58
	v_lshlrev_b64 v[56:57], v56, v[38:39]
	v_lshrrev_b32_e32 v55, 3, v51
	v_sub_u32_e32 v38, 29, v58
	v_and_b32_e32 v56, 7, v56
	v_cmp_gt_u32_e32 vcc, 8, v51
	v_cndmask_b32_e32 v38, v55, v38, vcc
	v_cndmask_b32_e32 v42, v42, v56, vcc
	v_lshlrev_b32_e32 v51, 16, v39
	v_bfrev_b32_e32 v55, 60
	v_lshlrev_b32_e32 v42, 20, v42
	v_and_b32_e32 v51, 0x80000000, v51
	v_lshl_add_u32 v38, v38, 23, v55
	v_or3_b32 v38, v51, v38, v42
	v_lshrrev_b32_e32 v42, 16, v38
.LBB834_143:
	s_or_b64 exec, exec, s[10:11]
.LBB834_144:
	s_or_b64 exec, exec, s[8:9]
.LBB834_145:
	s_or_b64 exec, exec, s[2:3]
	s_movk_i32 s2, 0xff
	v_and_b32_sdwa v51, v39, s2 dst_sel:DWORD dst_unused:UNUSED_PAD src0_sel:WORD_1 src1_sel:DWORD
	v_lshrrev_b32_e32 v38, 16, v39
	v_cmp_ne_u16_e32 vcc, 0, v51
	s_and_saveexec_b64 s[2:3], vcc
	s_cbranch_execz .LBB834_151
; %bb.146:
	s_movk_i32 s8, 0x80
	v_cmp_ne_u16_e32 vcc, s8, v51
	v_mov_b32_e32 v54, 0xffff8000
	s_and_saveexec_b64 s[8:9], vcc
	s_cbranch_execz .LBB834_150
; %bb.147:
	v_bfe_u32 v51, v39, 16, 7
	s_movk_i32 s10, 0x7f
	v_cmp_ne_u32_e32 vcc, s10, v51
	v_mov_b32_e32 v54, 0x7f80
	s_and_saveexec_b64 s[10:11], vcc
	s_cbranch_execz .LBB834_149
; %bb.148:
	v_and_b32_e32 v56, 7, v38
	v_ffbh_u32_e32 v54, v56
	v_min_u32_e32 v58, 32, v54
	v_subrev_u32_e32 v54, 28, v58
	v_lshlrev_b64 v[54:55], v54, v[38:39]
	v_and_b32_e32 v54, 7, v54
	v_cmp_gt_u32_e32 vcc, 8, v51
	v_lshrrev_b32_e32 v57, 3, v51
	v_sub_u32_e32 v38, 29, v58
	v_cndmask_b32_e32 v51, v56, v54, vcc
	v_mov_b32_e32 v54, 24
	v_cndmask_b32_e32 v38, v57, v38, vcc
	v_lshlrev_b32_sdwa v54, v54, v39 dst_sel:DWORD dst_unused:UNUSED_PAD src0_sel:DWORD src1_sel:WORD_1
	v_bfrev_b32_e32 v55, 60
	v_lshlrev_b32_e32 v51, 20, v51
	v_and_b32_e32 v54, 0x80000000, v54
	v_lshl_add_u32 v38, v38, 23, v55
	v_or3_b32 v38, v54, v38, v51
	v_lshrrev_b32_e32 v54, 16, v38
.LBB834_149:
	s_or_b64 exec, exec, s[10:11]
.LBB834_150:
	s_or_b64 exec, exec, s[8:9]
.LBB834_151:
	s_or_b64 exec, exec, s[2:3]
	s_mov_b32 s2, 0xffffff
	v_cmp_lt_u32_e32 vcc, s2, v39
	v_mov_b32_e32 v51, 0
	v_mov_b32_e32 v55, 0
	s_and_saveexec_b64 s[2:3], vcc
	s_cbranch_execz .LBB834_157
; %bb.152:
	v_lshrrev_b32_e32 v38, 24, v39
	s_movk_i32 s8, 0x80
	v_cmp_ne_u32_e32 vcc, s8, v38
	v_mov_b32_e32 v55, 0xffff8000
	s_and_saveexec_b64 s[8:9], vcc
	s_cbranch_execz .LBB834_156
; %bb.153:
	v_bfe_u32 v39, v39, 24, 7
	s_movk_i32 s10, 0x7f
	v_cmp_ne_u32_e32 vcc, s10, v39
	v_mov_b32_e32 v55, 0x7f80
	s_and_saveexec_b64 s[10:11], vcc
	s_cbranch_execz .LBB834_155
; %bb.154:
	v_and_b32_e32 v55, 7, v38
	v_ffbh_u32_e32 v56, v55
	v_min_u32_e32 v59, 32, v56
	v_subrev_u32_e32 v56, 28, v59
	v_lshlrev_b64 v[56:57], v56, v[38:39]
	v_lshrrev_b32_e32 v58, 3, v39
	v_sub_u32_e32 v57, 29, v59
	v_and_b32_e32 v56, 7, v56
	v_cmp_gt_u32_e32 vcc, 8, v39
	v_cndmask_b32_e32 v39, v58, v57, vcc
	v_cndmask_b32_e32 v55, v55, v56, vcc
	v_lshlrev_b32_e32 v38, 24, v38
	v_bfrev_b32_e32 v56, 60
	v_lshlrev_b32_e32 v55, 20, v55
	v_and_b32_e32 v38, 0x80000000, v38
	v_lshl_add_u32 v39, v39, 23, v56
	v_or3_b32 v38, v38, v39, v55
	v_lshrrev_b32_e32 v55, 16, v38
.LBB834_155:
	s_or_b64 exec, exec, s[10:11]
.LBB834_156:
	s_or_b64 exec, exec, s[8:9]
.LBB834_157:
	s_or_b64 exec, exec, s[2:3]
	s_mov_b32 s2, 0x5040100
	v_perm_b32 v39, v53, v44, s2
	v_perm_b32 v38, v43, v52, s2
	v_cmp_ne_u16_sdwa s[8:9], v40, v51 src0_sel:BYTE_0 src1_sel:DWORD
	s_nop 0
	v_mfma_f32_16x16x16bf16_1k v[56:59], v[38:39], v[26:27], 0
	v_perm_b32 v39, v55, v54, s2
	v_perm_b32 v38, v42, v45, s2
	s_nop 1
	v_mfma_f32_16x16x16bf16_1k v[42:45], v[38:39], v[28:29], v[56:59]
	s_and_saveexec_b64 s[2:3], s[8:9]
	s_cbranch_execz .LBB834_163
; %bb.158:
	s_movk_i32 s8, 0x80
	v_cmp_ne_u16_sdwa s[10:11], v40, s8 src0_sel:BYTE_0 src1_sel:DWORD
	v_mov_b32_e32 v51, 0xffff8000
	s_and_saveexec_b64 s[8:9], s[10:11]
	s_cbranch_execz .LBB834_162
; %bb.159:
	s_movk_i32 s10, 0x7f
	v_and_b32_e32 v38, 0x7f, v40
	v_cmp_ne_u32_e32 vcc, s10, v38
	v_mov_b32_e32 v51, 0x7f80
	s_and_saveexec_b64 s[10:11], vcc
	s_cbranch_execz .LBB834_161
; %bb.160:
	v_and_b32_e32 v39, 7, v40
	v_ffbh_u32_e32 v52, v39
	v_min_u32_e32 v54, 32, v52
	v_subrev_u32_e32 v52, 28, v54
	v_lshlrev_b64 v[52:53], v52, v[40:41]
	v_lshrrev_b32_e32 v51, 3, v38
	v_sub_u32_e32 v53, 29, v54
	v_and_b32_e32 v52, 7, v52
	v_cmp_gt_u32_e32 vcc, 8, v38
	v_cndmask_b32_e32 v38, v51, v53, vcc
	v_cndmask_b32_e32 v39, v39, v52, vcc
	v_lshlrev_b32_e32 v51, 24, v40
	v_bfrev_b32_e32 v52, 60
	v_lshlrev_b32_e32 v39, 20, v39
	v_and_b32_e32 v51, 0x80000000, v51
	v_lshl_add_u32 v38, v38, 23, v52
	v_or3_b32 v38, v51, v38, v39
	v_lshrrev_b32_e32 v51, 16, v38
.LBB834_161:
	s_or_b64 exec, exec, s[10:11]
.LBB834_162:
	s_or_b64 exec, exec, s[8:9]
.LBB834_163:
	s_or_b64 exec, exec, s[2:3]
	v_lshrrev_b16_e32 v38, 8, v40
	v_cmp_ne_u16_e32 vcc, 0, v38
	v_mov_b32_e32 v53, 0
	v_mov_b32_e32 v39, 0
	s_and_saveexec_b64 s[2:3], vcc
	s_cbranch_execz .LBB834_169
; %bb.164:
	s_movk_i32 s8, 0x80
	v_cmp_ne_u16_e32 vcc, s8, v38
	v_mov_b32_e32 v39, 0xffff8000
	s_and_saveexec_b64 s[8:9], vcc
	s_cbranch_execz .LBB834_168
; %bb.165:
	s_movk_i32 s10, 0x7f
	v_and_b32_e32 v52, 0x7f, v38
	v_cmp_ne_u32_e32 vcc, s10, v52
	v_mov_b32_e32 v39, 0x7f80
	s_and_saveexec_b64 s[10:11], vcc
	s_cbranch_execz .LBB834_167
; %bb.166:
	v_and_b32_e32 v54, 7, v38
	v_ffbh_u32_e32 v39, v54
	v_min_u32_e32 v56, 32, v39
	v_subrev_u32_e32 v39, 28, v56
	v_lshlrev_b64 v[38:39], v39, v[38:39]
	v_lshrrev_b32_e32 v55, 3, v52
	v_sub_u32_e32 v39, 29, v56
	v_and_b32_e32 v38, 7, v38
	v_cmp_gt_u32_e32 vcc, 8, v52
	v_cndmask_b32_e32 v39, v55, v39, vcc
	v_cndmask_b32_e32 v38, v54, v38, vcc
	v_lshlrev_b32_e32 v52, 16, v40
	v_bfrev_b32_e32 v54, 60
	v_lshlrev_b32_e32 v38, 20, v38
	v_and_b32_e32 v52, 0x80000000, v52
	v_lshl_add_u32 v39, v39, 23, v54
	v_or3_b32 v38, v52, v39, v38
	v_lshrrev_b32_e32 v39, 16, v38
.LBB834_167:
	s_or_b64 exec, exec, s[10:11]
.LBB834_168:
	s_or_b64 exec, exec, s[8:9]
.LBB834_169:
	s_or_b64 exec, exec, s[2:3]
	s_movk_i32 s2, 0xff
	v_and_b32_sdwa v52, v40, s2 dst_sel:DWORD dst_unused:UNUSED_PAD src0_sel:WORD_1 src1_sel:DWORD
	v_lshrrev_b32_e32 v38, 16, v40
	v_cmp_ne_u16_e32 vcc, 0, v52
	s_and_saveexec_b64 s[2:3], vcc
	s_cbranch_execz .LBB834_175
; %bb.170:
	s_movk_i32 s8, 0x80
	v_cmp_ne_u16_e32 vcc, s8, v52
	v_mov_b32_e32 v53, 0xffff8000
	s_and_saveexec_b64 s[8:9], vcc
	s_cbranch_execz .LBB834_174
; %bb.171:
	v_bfe_u32 v52, v40, 16, 7
	s_movk_i32 s10, 0x7f
	v_cmp_ne_u32_e32 vcc, s10, v52
	v_mov_b32_e32 v53, 0x7f80
	s_and_saveexec_b64 s[10:11], vcc
	s_cbranch_execz .LBB834_173
; %bb.172:
	v_and_b32_e32 v53, 7, v38
	v_ffbh_u32_e32 v54, v53
	v_min_u32_e32 v57, 32, v54
	v_subrev_u32_e32 v54, 28, v57
	v_lshlrev_b64 v[54:55], v54, v[38:39]
	v_and_b32_e32 v54, 7, v54
	v_cmp_gt_u32_e32 vcc, 8, v52
	v_lshrrev_b32_e32 v56, 3, v52
	v_sub_u32_e32 v38, 29, v57
	v_cndmask_b32_e32 v52, v53, v54, vcc
	v_mov_b32_e32 v53, 24
	v_cndmask_b32_e32 v38, v56, v38, vcc
	v_lshlrev_b32_sdwa v53, v53, v40 dst_sel:DWORD dst_unused:UNUSED_PAD src0_sel:DWORD src1_sel:WORD_1
	v_bfrev_b32_e32 v54, 60
	v_lshlrev_b32_e32 v52, 20, v52
	v_and_b32_e32 v53, 0x80000000, v53
	v_lshl_add_u32 v38, v38, 23, v54
	v_or3_b32 v38, v53, v38, v52
	v_lshrrev_b32_e32 v53, 16, v38
.LBB834_173:
	s_or_b64 exec, exec, s[10:11]
.LBB834_174:
	s_or_b64 exec, exec, s[8:9]
.LBB834_175:
	s_or_b64 exec, exec, s[2:3]
	s_mov_b32 s2, 0xffffff
	v_cmp_lt_u32_e32 vcc, s2, v40
	v_mov_b32_e32 v54, 0
	v_mov_b32_e32 v55, 0
	s_and_saveexec_b64 s[2:3], vcc
	s_cbranch_execz .LBB834_181
; %bb.176:
	v_lshrrev_b32_e32 v38, 24, v40
	s_movk_i32 s8, 0x80
	v_cmp_ne_u32_e32 vcc, s8, v38
	v_mov_b32_e32 v55, 0xffff8000
	s_and_saveexec_b64 s[8:9], vcc
	s_cbranch_execz .LBB834_180
; %bb.177:
	v_bfe_u32 v40, v40, 24, 7
	s_movk_i32 s10, 0x7f
	v_cmp_ne_u32_e32 vcc, s10, v40
	v_mov_b32_e32 v55, 0x7f80
	s_and_saveexec_b64 s[10:11], vcc
	s_cbranch_execz .LBB834_179
; %bb.178:
	v_and_b32_e32 v52, 7, v38
	v_ffbh_u32_e32 v56, v52
	v_min_u32_e32 v58, 32, v56
	v_subrev_u32_e32 v56, 28, v58
	v_lshlrev_b64 v[56:57], v56, v[38:39]
	v_lshrrev_b32_e32 v55, 3, v40
	v_sub_u32_e32 v57, 29, v58
	v_and_b32_e32 v56, 7, v56
	v_cmp_gt_u32_e32 vcc, 8, v40
	v_cndmask_b32_e32 v40, v55, v57, vcc
	v_cndmask_b32_e32 v52, v52, v56, vcc
	v_lshlrev_b32_e32 v38, 24, v38
	v_bfrev_b32_e32 v55, 60
	v_lshlrev_b32_e32 v52, 20, v52
	v_and_b32_e32 v38, 0x80000000, v38
	v_lshl_add_u32 v40, v40, 23, v55
	v_or3_b32 v38, v38, v40, v52
	v_lshrrev_b32_e32 v55, 16, v38
.LBB834_179:
	s_or_b64 exec, exec, s[10:11]
.LBB834_180:
	s_or_b64 exec, exec, s[8:9]
.LBB834_181:
	s_or_b64 exec, exec, s[2:3]
	v_cmp_ne_u16_sdwa s[8:9], v41, v54 src0_sel:BYTE_0 src1_sel:DWORD
	s_and_saveexec_b64 s[2:3], s[8:9]
	s_cbranch_execz .LBB834_187
; %bb.182:
	s_movk_i32 s8, 0x80
	v_cmp_ne_u16_sdwa s[10:11], v41, s8 src0_sel:BYTE_0 src1_sel:DWORD
	v_mov_b32_e32 v54, 0xffff8000
	s_and_saveexec_b64 s[8:9], s[10:11]
	s_cbranch_execz .LBB834_186
; %bb.183:
	s_movk_i32 s10, 0x7f
	v_and_b32_e32 v38, 0x7f, v41
	v_cmp_ne_u32_e32 vcc, s10, v38
	v_mov_b32_e32 v54, 0x7f80
	s_and_saveexec_b64 s[10:11], vcc
	s_cbranch_execz .LBB834_185
; %bb.184:
	v_and_b32_e32 v52, 7, v41
	v_ffbh_u32_e32 v56, v52
	v_min_u32_e32 v58, 32, v56
	v_mov_b32_e32 v40, v41
	v_subrev_u32_e32 v56, 28, v58
	v_lshlrev_b64 v[56:57], v56, v[40:41]
	v_lshrrev_b32_e32 v54, 3, v38
	v_sub_u32_e32 v40, 29, v58
	v_and_b32_e32 v56, 7, v56
	v_cmp_gt_u32_e32 vcc, 8, v38
	v_cndmask_b32_e32 v38, v54, v40, vcc
	v_cndmask_b32_e32 v40, v52, v56, vcc
	v_lshlrev_b32_e32 v52, 24, v41
	v_bfrev_b32_e32 v54, 60
	v_lshlrev_b32_e32 v40, 20, v40
	v_and_b32_e32 v52, 0x80000000, v52
	v_lshl_add_u32 v38, v38, 23, v54
	v_or3_b32 v38, v52, v38, v40
	v_lshrrev_b32_e32 v54, 16, v38
.LBB834_185:
	s_or_b64 exec, exec, s[10:11]
.LBB834_186:
	s_or_b64 exec, exec, s[8:9]
.LBB834_187:
	s_or_b64 exec, exec, s[2:3]
	v_lshrrev_b16_e32 v38, 8, v41
	v_cmp_ne_u16_e32 vcc, 0, v38
	v_mov_b32_e32 v56, 0
	v_mov_b32_e32 v40, 0
	s_and_saveexec_b64 s[2:3], vcc
	s_cbranch_execz .LBB834_193
; %bb.188:
	s_movk_i32 s8, 0x80
	v_cmp_ne_u16_e32 vcc, s8, v38
	v_mov_b32_e32 v40, 0xffff8000
	s_and_saveexec_b64 s[8:9], vcc
	s_cbranch_execz .LBB834_192
; %bb.189:
	s_movk_i32 s10, 0x7f
	v_and_b32_e32 v52, 0x7f, v38
	v_cmp_ne_u32_e32 vcc, s10, v52
	v_mov_b32_e32 v40, 0x7f80
	s_and_saveexec_b64 s[10:11], vcc
	s_cbranch_execz .LBB834_191
; %bb.190:
	v_and_b32_e32 v40, 7, v38
	v_ffbh_u32_e32 v58, v40
	v_min_u32_e32 v60, 32, v58
	v_subrev_u32_e32 v58, 28, v60
	v_lshlrev_b64 v[58:59], v58, v[38:39]
	v_lshrrev_b32_e32 v57, 3, v52
	v_sub_u32_e32 v38, 29, v60
	v_and_b32_e32 v58, 7, v58
	v_cmp_gt_u32_e32 vcc, 8, v52
	v_cndmask_b32_e32 v38, v57, v38, vcc
	v_cndmask_b32_e32 v40, v40, v58, vcc
	v_lshlrev_b32_e32 v52, 16, v41
	v_bfrev_b32_e32 v57, 60
	v_lshlrev_b32_e32 v40, 20, v40
	v_and_b32_e32 v52, 0x80000000, v52
	v_lshl_add_u32 v38, v38, 23, v57
	v_or3_b32 v38, v52, v38, v40
	v_lshrrev_b32_e32 v40, 16, v38
.LBB834_191:
	s_or_b64 exec, exec, s[10:11]
.LBB834_192:
	s_or_b64 exec, exec, s[8:9]
.LBB834_193:
	s_or_b64 exec, exec, s[2:3]
	s_movk_i32 s2, 0xff
	v_and_b32_sdwa v52, v41, s2 dst_sel:DWORD dst_unused:UNUSED_PAD src0_sel:WORD_1 src1_sel:DWORD
	v_lshrrev_b32_e32 v38, 16, v41
	v_cmp_ne_u16_e32 vcc, 0, v52
	s_and_saveexec_b64 s[2:3], vcc
	s_cbranch_execz .LBB834_199
; %bb.194:
	s_movk_i32 s8, 0x80
	v_cmp_ne_u16_e32 vcc, s8, v52
	v_mov_b32_e32 v56, 0xffff8000
	s_and_saveexec_b64 s[8:9], vcc
	s_cbranch_execz .LBB834_198
; %bb.195:
	v_bfe_u32 v52, v41, 16, 7
	s_movk_i32 s10, 0x7f
	v_cmp_ne_u32_e32 vcc, s10, v52
	v_mov_b32_e32 v56, 0x7f80
	s_and_saveexec_b64 s[10:11], vcc
	s_cbranch_execz .LBB834_197
; %bb.196:
	v_and_b32_e32 v58, 7, v38
	v_ffbh_u32_e32 v56, v58
	v_min_u32_e32 v60, 32, v56
	v_subrev_u32_e32 v56, 28, v60
	v_lshlrev_b64 v[56:57], v56, v[38:39]
	v_and_b32_e32 v56, 7, v56
	v_cmp_gt_u32_e32 vcc, 8, v52
	v_lshrrev_b32_e32 v59, 3, v52
	v_sub_u32_e32 v38, 29, v60
	v_cndmask_b32_e32 v52, v58, v56, vcc
	v_mov_b32_e32 v56, 24
	v_cndmask_b32_e32 v38, v59, v38, vcc
	v_lshlrev_b32_sdwa v56, v56, v41 dst_sel:DWORD dst_unused:UNUSED_PAD src0_sel:DWORD src1_sel:WORD_1
	v_bfrev_b32_e32 v57, 60
	v_lshlrev_b32_e32 v52, 20, v52
	v_and_b32_e32 v56, 0x80000000, v56
	v_lshl_add_u32 v38, v38, 23, v57
	v_or3_b32 v38, v56, v38, v52
	v_lshrrev_b32_e32 v56, 16, v38
.LBB834_197:
	s_or_b64 exec, exec, s[10:11]
.LBB834_198:
	s_or_b64 exec, exec, s[8:9]
.LBB834_199:
	s_or_b64 exec, exec, s[2:3]
	s_mov_b32 s2, 0xffffff
	v_cmp_lt_u32_e32 vcc, s2, v41
	v_mov_b32_e32 v52, 0
	v_mov_b32_e32 v57, 0
	s_and_saveexec_b64 s[2:3], vcc
	s_cbranch_execz .LBB834_205
; %bb.200:
	v_lshrrev_b32_e32 v38, 24, v41
	s_movk_i32 s8, 0x80
	v_cmp_ne_u32_e32 vcc, s8, v38
	v_mov_b32_e32 v57, 0xffff8000
	s_and_saveexec_b64 s[8:9], vcc
	s_cbranch_execz .LBB834_204
; %bb.201:
	v_bfe_u32 v41, v41, 24, 7
	s_movk_i32 s10, 0x7f
	v_cmp_ne_u32_e32 vcc, s10, v41
	v_mov_b32_e32 v57, 0x7f80
	s_and_saveexec_b64 s[10:11], vcc
	s_cbranch_execz .LBB834_203
; %bb.202:
	v_and_b32_e32 v57, 7, v38
	v_ffbh_u32_e32 v58, v57
	v_min_u32_e32 v61, 32, v58
	v_subrev_u32_e32 v58, 28, v61
	v_lshlrev_b64 v[58:59], v58, v[38:39]
	v_lshrrev_b32_e32 v60, 3, v41
	v_sub_u32_e32 v59, 29, v61
	v_and_b32_e32 v58, 7, v58
	v_cmp_gt_u32_e32 vcc, 8, v41
	v_cndmask_b32_e32 v41, v60, v59, vcc
	v_cndmask_b32_e32 v57, v57, v58, vcc
	v_lshlrev_b32_e32 v38, 24, v38
	v_bfrev_b32_e32 v58, 60
	v_lshlrev_b32_e32 v57, 20, v57
	v_and_b32_e32 v38, 0x80000000, v38
	v_lshl_add_u32 v41, v41, 23, v58
	v_or3_b32 v38, v38, v41, v57
	v_lshrrev_b32_e32 v57, 16, v38
.LBB834_203:
	s_or_b64 exec, exec, s[10:11]
.LBB834_204:
	s_or_b64 exec, exec, s[8:9]
.LBB834_205:
	s_or_b64 exec, exec, s[2:3]
	s_mov_b32 s2, 0x5040100
	v_perm_b32 v59, v55, v53, s2
	v_perm_b32 v58, v39, v51, s2
	;; [unrolled: 1-line block ×4, first 2 shown]
	v_cmp_ne_u16_sdwa s[8:9], v30, v52 src0_sel:BYTE_0 src1_sel:DWORD
	v_mfma_f32_16x16x16bf16_1k v[42:45], v[58:59], v[18:19], v[42:45]
	v_mfma_f32_16x16x16bf16_1k v[38:41], v[38:39], v[20:21], v[42:45]
	s_and_saveexec_b64 s[2:3], s[8:9]
	s_cbranch_execz .LBB834_211
; %bb.206:
	s_movk_i32 s8, 0x80
	v_cmp_ne_u16_sdwa s[10:11], v30, s8 src0_sel:BYTE_0 src1_sel:DWORD
	v_mov_b32_e32 v52, 0xffff8000
	s_and_saveexec_b64 s[8:9], s[10:11]
	s_cbranch_execz .LBB834_210
; %bb.207:
	s_movk_i32 s10, 0x7f
	s_nop 1
	v_and_b32_e32 v42, 0x7f, v30
	v_cmp_ne_u32_e32 vcc, s10, v42
	v_mov_b32_e32 v52, 0x7f80
	s_and_saveexec_b64 s[10:11], vcc
	s_cbranch_execz .LBB834_209
; %bb.208:
	v_and_b32_e32 v43, 7, v30
	v_ffbh_u32_e32 v44, v43
	v_min_u32_e32 v52, 32, v44
	v_subrev_u32_e32 v44, 28, v52
	v_lshlrev_b64 v[44:45], v44, v[30:31]
	v_lshrrev_b32_e32 v51, 3, v42
	v_sub_u32_e32 v45, 29, v52
	v_and_b32_e32 v44, 7, v44
	v_cmp_gt_u32_e32 vcc, 8, v42
	v_cndmask_b32_e32 v42, v51, v45, vcc
	v_cndmask_b32_e32 v43, v43, v44, vcc
	v_lshlrev_b32_e32 v44, 24, v30
	v_bfrev_b32_e32 v45, 60
	v_lshlrev_b32_e32 v43, 20, v43
	v_and_b32_e32 v44, 0x80000000, v44
	v_lshl_add_u32 v42, v42, 23, v45
	v_or3_b32 v42, v44, v42, v43
	v_lshrrev_b32_e32 v52, 16, v42
.LBB834_209:
	s_or_b64 exec, exec, s[10:11]
.LBB834_210:
	s_or_b64 exec, exec, s[8:9]
.LBB834_211:
	s_or_b64 exec, exec, s[2:3]
	s_nop 6
	v_lshrrev_b16_e32 v42, 8, v30
	v_cmp_ne_u16_e32 vcc, 0, v42
	v_mov_b32_e32 v44, 0
	v_mov_b32_e32 v43, 0
	s_and_saveexec_b64 s[2:3], vcc
	s_cbranch_execz .LBB834_217
; %bb.212:
	s_movk_i32 s8, 0x80
	v_cmp_ne_u16_e32 vcc, s8, v42
	v_mov_b32_e32 v43, 0xffff8000
	s_and_saveexec_b64 s[8:9], vcc
	s_cbranch_execz .LBB834_216
; %bb.213:
	s_movk_i32 s10, 0x7f
	v_and_b32_e32 v45, 0x7f, v42
	v_cmp_ne_u32_e32 vcc, s10, v45
	v_mov_b32_e32 v43, 0x7f80
	s_and_saveexec_b64 s[10:11], vcc
	s_cbranch_execz .LBB834_215
; %bb.214:
	v_and_b32_e32 v51, 7, v42
	v_ffbh_u32_e32 v43, v51
	v_min_u32_e32 v54, 32, v43
	v_subrev_u32_e32 v43, 28, v54
	v_lshlrev_b64 v[42:43], v43, v[42:43]
	v_lshrrev_b32_e32 v53, 3, v45
	v_sub_u32_e32 v43, 29, v54
	v_and_b32_e32 v42, 7, v42
	v_cmp_gt_u32_e32 vcc, 8, v45
	v_cndmask_b32_e32 v43, v53, v43, vcc
	v_cndmask_b32_e32 v42, v51, v42, vcc
	v_lshlrev_b32_e32 v45, 16, v30
	v_bfrev_b32_e32 v51, 60
	v_lshlrev_b32_e32 v42, 20, v42
	v_and_b32_e32 v45, 0x80000000, v45
	v_lshl_add_u32 v43, v43, 23, v51
	v_or3_b32 v42, v45, v43, v42
	v_lshrrev_b32_e32 v43, 16, v42
.LBB834_215:
	s_or_b64 exec, exec, s[10:11]
.LBB834_216:
	s_or_b64 exec, exec, s[8:9]
.LBB834_217:
	s_or_b64 exec, exec, s[2:3]
	s_movk_i32 s2, 0xff
	v_and_b32_sdwa v45, v30, s2 dst_sel:DWORD dst_unused:UNUSED_PAD src0_sel:WORD_1 src1_sel:DWORD
	v_lshrrev_b32_e32 v42, 16, v30
	v_cmp_ne_u16_e32 vcc, 0, v45
	s_and_saveexec_b64 s[2:3], vcc
	s_cbranch_execz .LBB834_223
; %bb.218:
	s_movk_i32 s8, 0x80
	v_cmp_ne_u16_e32 vcc, s8, v45
	v_mov_b32_e32 v44, 0xffff8000
	s_and_saveexec_b64 s[8:9], vcc
	s_cbranch_execz .LBB834_222
; %bb.219:
	v_bfe_u32 v45, v30, 16, 7
	s_movk_i32 s10, 0x7f
	v_cmp_ne_u32_e32 vcc, s10, v45
	v_mov_b32_e32 v44, 0x7f80
	s_and_saveexec_b64 s[10:11], vcc
	s_cbranch_execz .LBB834_221
; %bb.220:
	v_and_b32_e32 v44, 7, v42
	v_ffbh_u32_e32 v53, v44
	v_min_u32_e32 v53, 32, v53
	v_subrev_u32_e32 v54, 28, v53
	v_lshlrev_b64 v[54:55], v54, v[42:43]
	v_lshrrev_b32_e32 v51, 3, v45
	v_sub_u32_e32 v42, 29, v53
	v_and_b32_e32 v53, 7, v54
	v_cmp_gt_u32_e32 vcc, 8, v45
	v_mov_b32_e32 v45, 24
	v_cndmask_b32_e32 v42, v51, v42, vcc
	v_cndmask_b32_e32 v44, v44, v53, vcc
	v_lshlrev_b32_sdwa v45, v45, v30 dst_sel:DWORD dst_unused:UNUSED_PAD src0_sel:DWORD src1_sel:WORD_1
	v_bfrev_b32_e32 v51, 60
	v_lshlrev_b32_e32 v44, 20, v44
	v_and_b32_e32 v45, 0x80000000, v45
	v_lshl_add_u32 v42, v42, 23, v51
	v_or3_b32 v42, v45, v42, v44
	v_lshrrev_b32_e32 v44, 16, v42
.LBB834_221:
	s_or_b64 exec, exec, s[10:11]
.LBB834_222:
	s_or_b64 exec, exec, s[8:9]
.LBB834_223:
	s_or_b64 exec, exec, s[2:3]
	s_mov_b32 s2, 0xffffff
	v_cmp_lt_u32_e32 vcc, s2, v30
	v_mov_b32_e32 v45, 0
	v_mov_b32_e32 v53, 0
	s_and_saveexec_b64 s[2:3], vcc
	s_cbranch_execz .LBB834_229
; %bb.224:
	v_lshrrev_b32_e32 v42, 24, v30
	s_movk_i32 s8, 0x80
	v_cmp_ne_u32_e32 vcc, s8, v42
	v_mov_b32_e32 v53, 0xffff8000
	s_and_saveexec_b64 s[8:9], vcc
	s_cbranch_execz .LBB834_228
; %bb.225:
	v_bfe_u32 v30, v30, 24, 7
	s_movk_i32 s10, 0x7f
	v_cmp_ne_u32_e32 vcc, s10, v30
	v_mov_b32_e32 v53, 0x7f80
	s_and_saveexec_b64 s[10:11], vcc
	s_cbranch_execz .LBB834_227
; %bb.226:
	v_and_b32_e32 v51, 7, v42
	v_ffbh_u32_e32 v54, v51
	v_min_u32_e32 v56, 32, v54
	v_subrev_u32_e32 v54, 28, v56
	v_lshlrev_b64 v[54:55], v54, v[42:43]
	v_lshrrev_b32_e32 v53, 3, v30
	v_sub_u32_e32 v55, 29, v56
	v_and_b32_e32 v54, 7, v54
	v_cmp_gt_u32_e32 vcc, 8, v30
	v_cndmask_b32_e32 v30, v53, v55, vcc
	v_cndmask_b32_e32 v51, v51, v54, vcc
	v_lshlrev_b32_e32 v42, 24, v42
	v_bfrev_b32_e32 v53, 60
	v_lshlrev_b32_e32 v51, 20, v51
	v_and_b32_e32 v42, 0x80000000, v42
	v_lshl_add_u32 v30, v30, 23, v53
	v_or3_b32 v30, v42, v30, v51
	v_lshrrev_b32_e32 v53, 16, v30
.LBB834_227:
	s_or_b64 exec, exec, s[10:11]
.LBB834_228:
	s_or_b64 exec, exec, s[8:9]
.LBB834_229:
	s_or_b64 exec, exec, s[2:3]
	v_cmp_ne_u16_sdwa s[8:9], v31, v45 src0_sel:BYTE_0 src1_sel:DWORD
	s_and_saveexec_b64 s[2:3], s[8:9]
	s_cbranch_execz .LBB834_235
; %bb.230:
	s_movk_i32 s8, 0x80
	v_cmp_ne_u16_sdwa s[10:11], v31, s8 src0_sel:BYTE_0 src1_sel:DWORD
	v_mov_b32_e32 v45, 0xffff8000
	s_and_saveexec_b64 s[8:9], s[10:11]
	s_cbranch_execz .LBB834_234
; %bb.231:
	s_movk_i32 s10, 0x7f
	v_and_b32_e32 v30, 0x7f, v31
	v_cmp_ne_u32_e32 vcc, s10, v30
	v_mov_b32_e32 v45, 0x7f80
	s_and_saveexec_b64 s[10:11], vcc
	s_cbranch_execz .LBB834_233
; %bb.232:
	v_and_b32_e32 v45, 7, v31
	v_ffbh_u32_e32 v54, v45
	v_min_u32_e32 v56, 32, v54
	v_mov_b32_e32 v42, v31
	v_subrev_u32_e32 v54, 28, v56
	v_lshlrev_b64 v[54:55], v54, v[42:43]
	v_lshrrev_b32_e32 v51, 3, v30
	v_sub_u32_e32 v42, 29, v56
	v_and_b32_e32 v54, 7, v54
	v_cmp_gt_u32_e32 vcc, 8, v30
	v_cndmask_b32_e32 v30, v51, v42, vcc
	v_cndmask_b32_e32 v42, v45, v54, vcc
	v_lshlrev_b32_e32 v45, 24, v31
	v_bfrev_b32_e32 v51, 60
	v_lshlrev_b32_e32 v42, 20, v42
	v_and_b32_e32 v45, 0x80000000, v45
	v_lshl_add_u32 v30, v30, 23, v51
	v_or3_b32 v30, v45, v30, v42
	v_lshrrev_b32_e32 v45, 16, v30
.LBB834_233:
	s_or_b64 exec, exec, s[10:11]
.LBB834_234:
	s_or_b64 exec, exec, s[8:9]
.LBB834_235:
	s_or_b64 exec, exec, s[2:3]
	v_lshrrev_b16_e32 v30, 8, v31
	v_cmp_ne_u16_e32 vcc, 0, v30
	v_mov_b32_e32 v54, 0
	v_mov_b32_e32 v42, 0
	s_and_saveexec_b64 s[2:3], vcc
	s_cbranch_execz .LBB834_241
; %bb.236:
	s_movk_i32 s8, 0x80
	v_cmp_ne_u16_e32 vcc, s8, v30
	v_mov_b32_e32 v42, 0xffff8000
	s_and_saveexec_b64 s[8:9], vcc
	s_cbranch_execz .LBB834_240
; %bb.237:
	s_movk_i32 s10, 0x7f
	v_and_b32_e32 v51, 0x7f, v30
	v_cmp_ne_u32_e32 vcc, s10, v51
	v_mov_b32_e32 v42, 0x7f80
	s_and_saveexec_b64 s[10:11], vcc
	s_cbranch_execz .LBB834_239
; %bb.238:
	v_and_b32_e32 v42, 7, v30
	v_ffbh_u32_e32 v56, v42
	v_min_u32_e32 v58, 32, v56
	v_subrev_u32_e32 v56, 28, v58
	v_lshlrev_b64 v[56:57], v56, v[30:31]
	v_lshrrev_b32_e32 v55, 3, v51
	v_sub_u32_e32 v30, 29, v58
	v_and_b32_e32 v56, 7, v56
	v_cmp_gt_u32_e32 vcc, 8, v51
	v_cndmask_b32_e32 v30, v55, v30, vcc
	v_cndmask_b32_e32 v42, v42, v56, vcc
	v_lshlrev_b32_e32 v51, 16, v31
	v_bfrev_b32_e32 v55, 60
	v_lshlrev_b32_e32 v42, 20, v42
	v_and_b32_e32 v51, 0x80000000, v51
	v_lshl_add_u32 v30, v30, 23, v55
	v_or3_b32 v30, v51, v30, v42
	v_lshrrev_b32_e32 v42, 16, v30
.LBB834_239:
	s_or_b64 exec, exec, s[10:11]
.LBB834_240:
	s_or_b64 exec, exec, s[8:9]
.LBB834_241:
	s_or_b64 exec, exec, s[2:3]
	s_movk_i32 s2, 0xff
	v_and_b32_sdwa v51, v31, s2 dst_sel:DWORD dst_unused:UNUSED_PAD src0_sel:WORD_1 src1_sel:DWORD
	v_lshrrev_b32_e32 v30, 16, v31
	v_cmp_ne_u16_e32 vcc, 0, v51
	s_and_saveexec_b64 s[2:3], vcc
	s_cbranch_execz .LBB834_247
; %bb.242:
	s_movk_i32 s8, 0x80
	v_cmp_ne_u16_e32 vcc, s8, v51
	v_mov_b32_e32 v54, 0xffff8000
	s_and_saveexec_b64 s[8:9], vcc
	s_cbranch_execz .LBB834_246
; %bb.243:
	v_bfe_u32 v51, v31, 16, 7
	s_movk_i32 s10, 0x7f
	v_cmp_ne_u32_e32 vcc, s10, v51
	v_mov_b32_e32 v54, 0x7f80
	s_and_saveexec_b64 s[10:11], vcc
	s_cbranch_execz .LBB834_245
; %bb.244:
	v_and_b32_e32 v56, 7, v30
	v_ffbh_u32_e32 v54, v56
	v_min_u32_e32 v58, 32, v54
	v_subrev_u32_e32 v54, 28, v58
	v_lshlrev_b64 v[54:55], v54, v[30:31]
	v_and_b32_e32 v54, 7, v54
	v_cmp_gt_u32_e32 vcc, 8, v51
	v_lshrrev_b32_e32 v57, 3, v51
	v_sub_u32_e32 v30, 29, v58
	v_cndmask_b32_e32 v51, v56, v54, vcc
	v_mov_b32_e32 v54, 24
	v_cndmask_b32_e32 v30, v57, v30, vcc
	v_lshlrev_b32_sdwa v54, v54, v31 dst_sel:DWORD dst_unused:UNUSED_PAD src0_sel:DWORD src1_sel:WORD_1
	v_bfrev_b32_e32 v55, 60
	v_lshlrev_b32_e32 v51, 20, v51
	v_and_b32_e32 v54, 0x80000000, v54
	v_lshl_add_u32 v30, v30, 23, v55
	v_or3_b32 v30, v54, v30, v51
	v_lshrrev_b32_e32 v54, 16, v30
.LBB834_245:
	s_or_b64 exec, exec, s[10:11]
.LBB834_246:
	s_or_b64 exec, exec, s[8:9]
.LBB834_247:
	s_or_b64 exec, exec, s[2:3]
	s_mov_b32 s2, 0xffffff
	v_cmp_lt_u32_e32 vcc, s2, v31
	v_mov_b32_e32 v51, 0
	v_mov_b32_e32 v55, 0
	s_and_saveexec_b64 s[2:3], vcc
	s_cbranch_execz .LBB834_253
; %bb.248:
	v_lshrrev_b32_e32 v30, 24, v31
	s_movk_i32 s8, 0x80
	v_cmp_ne_u32_e32 vcc, s8, v30
	v_mov_b32_e32 v55, 0xffff8000
	s_and_saveexec_b64 s[8:9], vcc
	s_cbranch_execz .LBB834_252
; %bb.249:
	v_bfe_u32 v31, v31, 24, 7
	s_movk_i32 s10, 0x7f
	v_cmp_ne_u32_e32 vcc, s10, v31
	v_mov_b32_e32 v55, 0x7f80
	s_and_saveexec_b64 s[10:11], vcc
	s_cbranch_execz .LBB834_251
; %bb.250:
	v_and_b32_e32 v55, 7, v30
	v_ffbh_u32_e32 v56, v55
	v_min_u32_e32 v59, 32, v56
	v_subrev_u32_e32 v56, 28, v59
	v_lshlrev_b64 v[56:57], v56, v[30:31]
	v_lshrrev_b32_e32 v58, 3, v31
	v_sub_u32_e32 v57, 29, v59
	v_and_b32_e32 v56, 7, v56
	v_cmp_gt_u32_e32 vcc, 8, v31
	v_cndmask_b32_e32 v31, v58, v57, vcc
	v_cndmask_b32_e32 v55, v55, v56, vcc
	v_lshlrev_b32_e32 v30, 24, v30
	v_bfrev_b32_e32 v56, 60
	v_lshlrev_b32_e32 v55, 20, v55
	v_and_b32_e32 v30, 0x80000000, v30
	v_lshl_add_u32 v31, v31, 23, v56
	v_or3_b32 v30, v30, v31, v55
	v_lshrrev_b32_e32 v55, 16, v30
.LBB834_251:
	s_or_b64 exec, exec, s[10:11]
.LBB834_252:
	s_or_b64 exec, exec, s[8:9]
.LBB834_253:
	s_or_b64 exec, exec, s[2:3]
	s_mov_b32 s2, 0x5040100
	v_perm_b32 v31, v53, v44, s2
	v_perm_b32 v30, v43, v52, s2
	v_cmp_ne_u16_sdwa s[8:9], v32, v51 src0_sel:BYTE_0 src1_sel:DWORD
	s_nop 0
	v_mfma_f32_16x16x16bf16_1k v[56:59], v[30:31], v[26:27], 0
	v_perm_b32 v31, v55, v54, s2
	v_perm_b32 v30, v42, v45, s2
	s_nop 1
	v_mfma_f32_16x16x16bf16_1k v[42:45], v[30:31], v[28:29], v[56:59]
	s_and_saveexec_b64 s[2:3], s[8:9]
	s_cbranch_execz .LBB834_259
; %bb.254:
	s_movk_i32 s8, 0x80
	v_cmp_ne_u16_sdwa s[10:11], v32, s8 src0_sel:BYTE_0 src1_sel:DWORD
	v_mov_b32_e32 v51, 0xffff8000
	s_and_saveexec_b64 s[8:9], s[10:11]
	s_cbranch_execz .LBB834_258
; %bb.255:
	s_movk_i32 s10, 0x7f
	v_and_b32_e32 v30, 0x7f, v32
	v_cmp_ne_u32_e32 vcc, s10, v30
	v_mov_b32_e32 v51, 0x7f80
	s_and_saveexec_b64 s[10:11], vcc
	s_cbranch_execz .LBB834_257
; %bb.256:
	v_and_b32_e32 v31, 7, v32
	v_ffbh_u32_e32 v52, v31
	v_min_u32_e32 v54, 32, v52
	v_subrev_u32_e32 v52, 28, v54
	v_lshlrev_b64 v[52:53], v52, v[32:33]
	v_lshrrev_b32_e32 v51, 3, v30
	v_sub_u32_e32 v53, 29, v54
	v_and_b32_e32 v52, 7, v52
	v_cmp_gt_u32_e32 vcc, 8, v30
	v_cndmask_b32_e32 v30, v51, v53, vcc
	v_cndmask_b32_e32 v31, v31, v52, vcc
	v_lshlrev_b32_e32 v51, 24, v32
	v_bfrev_b32_e32 v52, 60
	v_lshlrev_b32_e32 v31, 20, v31
	v_and_b32_e32 v51, 0x80000000, v51
	v_lshl_add_u32 v30, v30, 23, v52
	v_or3_b32 v30, v51, v30, v31
	v_lshrrev_b32_e32 v51, 16, v30
.LBB834_257:
	s_or_b64 exec, exec, s[10:11]
.LBB834_258:
	s_or_b64 exec, exec, s[8:9]
.LBB834_259:
	s_or_b64 exec, exec, s[2:3]
	v_lshrrev_b16_e32 v30, 8, v32
	v_cmp_ne_u16_e32 vcc, 0, v30
	v_mov_b32_e32 v53, 0
	v_mov_b32_e32 v31, 0
	s_and_saveexec_b64 s[2:3], vcc
	s_cbranch_execz .LBB834_265
; %bb.260:
	s_movk_i32 s8, 0x80
	v_cmp_ne_u16_e32 vcc, s8, v30
	v_mov_b32_e32 v31, 0xffff8000
	s_and_saveexec_b64 s[8:9], vcc
	s_cbranch_execz .LBB834_264
; %bb.261:
	s_movk_i32 s10, 0x7f
	v_and_b32_e32 v52, 0x7f, v30
	v_cmp_ne_u32_e32 vcc, s10, v52
	v_mov_b32_e32 v31, 0x7f80
	s_and_saveexec_b64 s[10:11], vcc
	s_cbranch_execz .LBB834_263
; %bb.262:
	v_and_b32_e32 v54, 7, v30
	v_ffbh_u32_e32 v31, v54
	v_min_u32_e32 v56, 32, v31
	v_subrev_u32_e32 v31, 28, v56
	v_lshlrev_b64 v[30:31], v31, v[30:31]
	v_lshrrev_b32_e32 v55, 3, v52
	v_sub_u32_e32 v31, 29, v56
	v_and_b32_e32 v30, 7, v30
	v_cmp_gt_u32_e32 vcc, 8, v52
	v_cndmask_b32_e32 v31, v55, v31, vcc
	v_cndmask_b32_e32 v30, v54, v30, vcc
	v_lshlrev_b32_e32 v52, 16, v32
	v_bfrev_b32_e32 v54, 60
	v_lshlrev_b32_e32 v30, 20, v30
	v_and_b32_e32 v52, 0x80000000, v52
	v_lshl_add_u32 v31, v31, 23, v54
	v_or3_b32 v30, v52, v31, v30
	v_lshrrev_b32_e32 v31, 16, v30
.LBB834_263:
	s_or_b64 exec, exec, s[10:11]
.LBB834_264:
	s_or_b64 exec, exec, s[8:9]
.LBB834_265:
	s_or_b64 exec, exec, s[2:3]
	s_movk_i32 s2, 0xff
	v_and_b32_sdwa v52, v32, s2 dst_sel:DWORD dst_unused:UNUSED_PAD src0_sel:WORD_1 src1_sel:DWORD
	v_lshrrev_b32_e32 v30, 16, v32
	v_cmp_ne_u16_e32 vcc, 0, v52
	s_and_saveexec_b64 s[2:3], vcc
	s_cbranch_execz .LBB834_271
; %bb.266:
	s_movk_i32 s8, 0x80
	v_cmp_ne_u16_e32 vcc, s8, v52
	v_mov_b32_e32 v53, 0xffff8000
	s_and_saveexec_b64 s[8:9], vcc
	s_cbranch_execz .LBB834_270
; %bb.267:
	v_bfe_u32 v52, v32, 16, 7
	s_movk_i32 s10, 0x7f
	v_cmp_ne_u32_e32 vcc, s10, v52
	v_mov_b32_e32 v53, 0x7f80
	s_and_saveexec_b64 s[10:11], vcc
	s_cbranch_execz .LBB834_269
; %bb.268:
	v_and_b32_e32 v53, 7, v30
	v_ffbh_u32_e32 v54, v53
	v_min_u32_e32 v57, 32, v54
	v_subrev_u32_e32 v54, 28, v57
	v_lshlrev_b64 v[54:55], v54, v[30:31]
	v_and_b32_e32 v54, 7, v54
	v_cmp_gt_u32_e32 vcc, 8, v52
	v_lshrrev_b32_e32 v56, 3, v52
	v_sub_u32_e32 v30, 29, v57
	v_cndmask_b32_e32 v52, v53, v54, vcc
	v_mov_b32_e32 v53, 24
	v_cndmask_b32_e32 v30, v56, v30, vcc
	v_lshlrev_b32_sdwa v53, v53, v32 dst_sel:DWORD dst_unused:UNUSED_PAD src0_sel:DWORD src1_sel:WORD_1
	v_bfrev_b32_e32 v54, 60
	v_lshlrev_b32_e32 v52, 20, v52
	v_and_b32_e32 v53, 0x80000000, v53
	v_lshl_add_u32 v30, v30, 23, v54
	v_or3_b32 v30, v53, v30, v52
	v_lshrrev_b32_e32 v53, 16, v30
.LBB834_269:
	s_or_b64 exec, exec, s[10:11]
.LBB834_270:
	s_or_b64 exec, exec, s[8:9]
.LBB834_271:
	s_or_b64 exec, exec, s[2:3]
	s_mov_b32 s2, 0xffffff
	v_cmp_lt_u32_e32 vcc, s2, v32
	v_mov_b32_e32 v54, 0
	v_mov_b32_e32 v55, 0
	s_and_saveexec_b64 s[2:3], vcc
	s_cbranch_execz .LBB834_277
; %bb.272:
	v_lshrrev_b32_e32 v30, 24, v32
	s_movk_i32 s8, 0x80
	v_cmp_ne_u32_e32 vcc, s8, v30
	v_mov_b32_e32 v55, 0xffff8000
	s_and_saveexec_b64 s[8:9], vcc
	s_cbranch_execz .LBB834_276
; %bb.273:
	v_bfe_u32 v32, v32, 24, 7
	s_movk_i32 s10, 0x7f
	v_cmp_ne_u32_e32 vcc, s10, v32
	v_mov_b32_e32 v55, 0x7f80
	s_and_saveexec_b64 s[10:11], vcc
	s_cbranch_execz .LBB834_275
; %bb.274:
	v_and_b32_e32 v52, 7, v30
	v_ffbh_u32_e32 v56, v52
	v_min_u32_e32 v58, 32, v56
	v_subrev_u32_e32 v56, 28, v58
	v_lshlrev_b64 v[56:57], v56, v[30:31]
	v_lshrrev_b32_e32 v55, 3, v32
	v_sub_u32_e32 v57, 29, v58
	v_and_b32_e32 v56, 7, v56
	v_cmp_gt_u32_e32 vcc, 8, v32
	v_cndmask_b32_e32 v32, v55, v57, vcc
	v_cndmask_b32_e32 v52, v52, v56, vcc
	v_lshlrev_b32_e32 v30, 24, v30
	v_bfrev_b32_e32 v55, 60
	v_lshlrev_b32_e32 v52, 20, v52
	v_and_b32_e32 v30, 0x80000000, v30
	v_lshl_add_u32 v32, v32, 23, v55
	v_or3_b32 v30, v30, v32, v52
	v_lshrrev_b32_e32 v55, 16, v30
.LBB834_275:
	s_or_b64 exec, exec, s[10:11]
.LBB834_276:
	s_or_b64 exec, exec, s[8:9]
.LBB834_277:
	s_or_b64 exec, exec, s[2:3]
	v_cmp_ne_u16_sdwa s[8:9], v33, v54 src0_sel:BYTE_0 src1_sel:DWORD
	s_and_saveexec_b64 s[2:3], s[8:9]
	s_cbranch_execz .LBB834_283
; %bb.278:
	s_movk_i32 s8, 0x80
	v_cmp_ne_u16_sdwa s[10:11], v33, s8 src0_sel:BYTE_0 src1_sel:DWORD
	v_mov_b32_e32 v54, 0xffff8000
	s_and_saveexec_b64 s[8:9], s[10:11]
	s_cbranch_execz .LBB834_282
; %bb.279:
	s_movk_i32 s10, 0x7f
	v_and_b32_e32 v30, 0x7f, v33
	v_cmp_ne_u32_e32 vcc, s10, v30
	v_mov_b32_e32 v54, 0x7f80
	s_and_saveexec_b64 s[10:11], vcc
	s_cbranch_execz .LBB834_281
; %bb.280:
	v_and_b32_e32 v52, 7, v33
	v_ffbh_u32_e32 v56, v52
	v_min_u32_e32 v58, 32, v56
	v_mov_b32_e32 v32, v33
	v_subrev_u32_e32 v56, 28, v58
	v_lshlrev_b64 v[56:57], v56, v[32:33]
	v_lshrrev_b32_e32 v54, 3, v30
	v_sub_u32_e32 v32, 29, v58
	v_and_b32_e32 v56, 7, v56
	v_cmp_gt_u32_e32 vcc, 8, v30
	v_cndmask_b32_e32 v30, v54, v32, vcc
	v_cndmask_b32_e32 v32, v52, v56, vcc
	v_lshlrev_b32_e32 v52, 24, v33
	v_bfrev_b32_e32 v54, 60
	v_lshlrev_b32_e32 v32, 20, v32
	v_and_b32_e32 v52, 0x80000000, v52
	v_lshl_add_u32 v30, v30, 23, v54
	v_or3_b32 v30, v52, v30, v32
	v_lshrrev_b32_e32 v54, 16, v30
.LBB834_281:
	s_or_b64 exec, exec, s[10:11]
.LBB834_282:
	s_or_b64 exec, exec, s[8:9]
.LBB834_283:
	s_or_b64 exec, exec, s[2:3]
	v_lshrrev_b16_e32 v30, 8, v33
	v_cmp_ne_u16_e32 vcc, 0, v30
	v_mov_b32_e32 v56, 0
	v_mov_b32_e32 v32, 0
	s_and_saveexec_b64 s[2:3], vcc
	s_cbranch_execz .LBB834_289
; %bb.284:
	s_movk_i32 s8, 0x80
	v_cmp_ne_u16_e32 vcc, s8, v30
	v_mov_b32_e32 v32, 0xffff8000
	s_and_saveexec_b64 s[8:9], vcc
	s_cbranch_execz .LBB834_288
; %bb.285:
	s_movk_i32 s10, 0x7f
	v_and_b32_e32 v52, 0x7f, v30
	v_cmp_ne_u32_e32 vcc, s10, v52
	v_mov_b32_e32 v32, 0x7f80
	s_and_saveexec_b64 s[10:11], vcc
	s_cbranch_execz .LBB834_287
; %bb.286:
	v_and_b32_e32 v32, 7, v30
	v_ffbh_u32_e32 v58, v32
	v_min_u32_e32 v60, 32, v58
	v_subrev_u32_e32 v58, 28, v60
	v_lshlrev_b64 v[58:59], v58, v[30:31]
	v_lshrrev_b32_e32 v57, 3, v52
	v_sub_u32_e32 v30, 29, v60
	v_and_b32_e32 v58, 7, v58
	v_cmp_gt_u32_e32 vcc, 8, v52
	v_cndmask_b32_e32 v30, v57, v30, vcc
	v_cndmask_b32_e32 v32, v32, v58, vcc
	v_lshlrev_b32_e32 v52, 16, v33
	v_bfrev_b32_e32 v57, 60
	v_lshlrev_b32_e32 v32, 20, v32
	v_and_b32_e32 v52, 0x80000000, v52
	v_lshl_add_u32 v30, v30, 23, v57
	v_or3_b32 v30, v52, v30, v32
	v_lshrrev_b32_e32 v32, 16, v30
.LBB834_287:
	s_or_b64 exec, exec, s[10:11]
.LBB834_288:
	s_or_b64 exec, exec, s[8:9]
.LBB834_289:
	s_or_b64 exec, exec, s[2:3]
	s_movk_i32 s2, 0xff
	v_and_b32_sdwa v52, v33, s2 dst_sel:DWORD dst_unused:UNUSED_PAD src0_sel:WORD_1 src1_sel:DWORD
	v_lshrrev_b32_e32 v30, 16, v33
	v_cmp_ne_u16_e32 vcc, 0, v52
	s_and_saveexec_b64 s[2:3], vcc
	s_cbranch_execz .LBB834_295
; %bb.290:
	s_movk_i32 s8, 0x80
	v_cmp_ne_u16_e32 vcc, s8, v52
	v_mov_b32_e32 v56, 0xffff8000
	s_and_saveexec_b64 s[8:9], vcc
	s_cbranch_execz .LBB834_294
; %bb.291:
	v_bfe_u32 v52, v33, 16, 7
	s_movk_i32 s10, 0x7f
	v_cmp_ne_u32_e32 vcc, s10, v52
	v_mov_b32_e32 v56, 0x7f80
	s_and_saveexec_b64 s[10:11], vcc
	s_cbranch_execz .LBB834_293
; %bb.292:
	v_and_b32_e32 v58, 7, v30
	v_ffbh_u32_e32 v56, v58
	v_min_u32_e32 v60, 32, v56
	v_subrev_u32_e32 v56, 28, v60
	v_lshlrev_b64 v[56:57], v56, v[30:31]
	v_and_b32_e32 v56, 7, v56
	v_cmp_gt_u32_e32 vcc, 8, v52
	v_lshrrev_b32_e32 v59, 3, v52
	v_sub_u32_e32 v30, 29, v60
	v_cndmask_b32_e32 v52, v58, v56, vcc
	v_mov_b32_e32 v56, 24
	v_cndmask_b32_e32 v30, v59, v30, vcc
	v_lshlrev_b32_sdwa v56, v56, v33 dst_sel:DWORD dst_unused:UNUSED_PAD src0_sel:DWORD src1_sel:WORD_1
	v_bfrev_b32_e32 v57, 60
	v_lshlrev_b32_e32 v52, 20, v52
	v_and_b32_e32 v56, 0x80000000, v56
	v_lshl_add_u32 v30, v30, 23, v57
	v_or3_b32 v30, v56, v30, v52
	v_lshrrev_b32_e32 v56, 16, v30
.LBB834_293:
	s_or_b64 exec, exec, s[10:11]
.LBB834_294:
	s_or_b64 exec, exec, s[8:9]
.LBB834_295:
	s_or_b64 exec, exec, s[2:3]
	s_mov_b32 s2, 0xffffff
	v_cmp_lt_u32_e32 vcc, s2, v33
	v_mov_b32_e32 v52, 0
	v_mov_b32_e32 v57, 0
	s_and_saveexec_b64 s[2:3], vcc
	s_cbranch_execz .LBB834_301
; %bb.296:
	v_lshrrev_b32_e32 v30, 24, v33
	s_movk_i32 s8, 0x80
	v_cmp_ne_u32_e32 vcc, s8, v30
	v_mov_b32_e32 v57, 0xffff8000
	s_and_saveexec_b64 s[8:9], vcc
	s_cbranch_execz .LBB834_300
; %bb.297:
	v_bfe_u32 v33, v33, 24, 7
	s_movk_i32 s10, 0x7f
	v_cmp_ne_u32_e32 vcc, s10, v33
	v_mov_b32_e32 v57, 0x7f80
	s_and_saveexec_b64 s[10:11], vcc
	s_cbranch_execz .LBB834_299
; %bb.298:
	v_and_b32_e32 v57, 7, v30
	v_ffbh_u32_e32 v58, v57
	v_min_u32_e32 v61, 32, v58
	v_subrev_u32_e32 v58, 28, v61
	v_lshlrev_b64 v[58:59], v58, v[30:31]
	v_lshrrev_b32_e32 v60, 3, v33
	v_sub_u32_e32 v59, 29, v61
	v_and_b32_e32 v58, 7, v58
	v_cmp_gt_u32_e32 vcc, 8, v33
	v_cndmask_b32_e32 v33, v60, v59, vcc
	v_cndmask_b32_e32 v57, v57, v58, vcc
	v_lshlrev_b32_e32 v30, 24, v30
	v_bfrev_b32_e32 v58, 60
	v_lshlrev_b32_e32 v57, 20, v57
	v_and_b32_e32 v30, 0x80000000, v30
	v_lshl_add_u32 v33, v33, 23, v58
	v_or3_b32 v30, v30, v33, v57
	v_lshrrev_b32_e32 v57, 16, v30
.LBB834_299:
	s_or_b64 exec, exec, s[10:11]
.LBB834_300:
	s_or_b64 exec, exec, s[8:9]
.LBB834_301:
	s_or_b64 exec, exec, s[2:3]
	s_mov_b32 s2, 0x5040100
	v_perm_b32 v59, v55, v53, s2
	v_perm_b32 v58, v31, v51, s2
	;; [unrolled: 1-line block ×4, first 2 shown]
	v_cmp_ne_u16_sdwa s[8:9], v22, v52 src0_sel:BYTE_0 src1_sel:DWORD
	v_mfma_f32_16x16x16bf16_1k v[42:45], v[58:59], v[18:19], v[42:45]
	v_mfma_f32_16x16x16bf16_1k v[30:33], v[30:31], v[20:21], v[42:45]
	s_and_saveexec_b64 s[2:3], s[8:9]
	s_cbranch_execz .LBB834_307
; %bb.302:
	s_movk_i32 s8, 0x80
	v_cmp_ne_u16_sdwa s[10:11], v22, s8 src0_sel:BYTE_0 src1_sel:DWORD
	v_mov_b32_e32 v52, 0xffff8000
	s_and_saveexec_b64 s[8:9], s[10:11]
	s_cbranch_execz .LBB834_306
; %bb.303:
	s_movk_i32 s10, 0x7f
	s_nop 1
	v_and_b32_e32 v42, 0x7f, v22
	v_cmp_ne_u32_e32 vcc, s10, v42
	v_mov_b32_e32 v52, 0x7f80
	s_and_saveexec_b64 s[10:11], vcc
	s_cbranch_execz .LBB834_305
; %bb.304:
	v_and_b32_e32 v43, 7, v22
	v_ffbh_u32_e32 v44, v43
	v_min_u32_e32 v52, 32, v44
	v_subrev_u32_e32 v44, 28, v52
	v_lshlrev_b64 v[44:45], v44, v[22:23]
	v_lshrrev_b32_e32 v51, 3, v42
	v_sub_u32_e32 v45, 29, v52
	v_and_b32_e32 v44, 7, v44
	v_cmp_gt_u32_e32 vcc, 8, v42
	v_cndmask_b32_e32 v42, v51, v45, vcc
	v_cndmask_b32_e32 v43, v43, v44, vcc
	v_lshlrev_b32_e32 v44, 24, v22
	v_bfrev_b32_e32 v45, 60
	v_lshlrev_b32_e32 v43, 20, v43
	v_and_b32_e32 v44, 0x80000000, v44
	v_lshl_add_u32 v42, v42, 23, v45
	v_or3_b32 v42, v44, v42, v43
	v_lshrrev_b32_e32 v52, 16, v42
.LBB834_305:
	s_or_b64 exec, exec, s[10:11]
.LBB834_306:
	s_or_b64 exec, exec, s[8:9]
.LBB834_307:
	s_or_b64 exec, exec, s[2:3]
	s_nop 6
	v_lshrrev_b16_e32 v42, 8, v22
	v_cmp_ne_u16_e32 vcc, 0, v42
	v_mov_b32_e32 v44, 0
	v_mov_b32_e32 v43, 0
	s_and_saveexec_b64 s[2:3], vcc
	s_cbranch_execz .LBB834_313
; %bb.308:
	s_movk_i32 s8, 0x80
	v_cmp_ne_u16_e32 vcc, s8, v42
	v_mov_b32_e32 v43, 0xffff8000
	s_and_saveexec_b64 s[8:9], vcc
	s_cbranch_execz .LBB834_312
; %bb.309:
	s_movk_i32 s10, 0x7f
	v_and_b32_e32 v45, 0x7f, v42
	v_cmp_ne_u32_e32 vcc, s10, v45
	v_mov_b32_e32 v43, 0x7f80
	s_and_saveexec_b64 s[10:11], vcc
	s_cbranch_execz .LBB834_311
; %bb.310:
	v_and_b32_e32 v51, 7, v42
	v_ffbh_u32_e32 v43, v51
	v_min_u32_e32 v54, 32, v43
	v_subrev_u32_e32 v43, 28, v54
	v_lshlrev_b64 v[42:43], v43, v[42:43]
	v_lshrrev_b32_e32 v53, 3, v45
	v_sub_u32_e32 v43, 29, v54
	v_and_b32_e32 v42, 7, v42
	v_cmp_gt_u32_e32 vcc, 8, v45
	v_cndmask_b32_e32 v43, v53, v43, vcc
	v_cndmask_b32_e32 v42, v51, v42, vcc
	v_lshlrev_b32_e32 v45, 16, v22
	v_bfrev_b32_e32 v51, 60
	v_lshlrev_b32_e32 v42, 20, v42
	v_and_b32_e32 v45, 0x80000000, v45
	v_lshl_add_u32 v43, v43, 23, v51
	v_or3_b32 v42, v45, v43, v42
	v_lshrrev_b32_e32 v43, 16, v42
.LBB834_311:
	s_or_b64 exec, exec, s[10:11]
.LBB834_312:
	s_or_b64 exec, exec, s[8:9]
.LBB834_313:
	s_or_b64 exec, exec, s[2:3]
	s_movk_i32 s2, 0xff
	v_and_b32_sdwa v45, v22, s2 dst_sel:DWORD dst_unused:UNUSED_PAD src0_sel:WORD_1 src1_sel:DWORD
	v_lshrrev_b32_e32 v42, 16, v22
	v_cmp_ne_u16_e32 vcc, 0, v45
	s_and_saveexec_b64 s[2:3], vcc
	s_cbranch_execz .LBB834_319
; %bb.314:
	s_movk_i32 s8, 0x80
	v_cmp_ne_u16_e32 vcc, s8, v45
	v_mov_b32_e32 v44, 0xffff8000
	s_and_saveexec_b64 s[8:9], vcc
	s_cbranch_execz .LBB834_318
; %bb.315:
	v_bfe_u32 v45, v22, 16, 7
	s_movk_i32 s10, 0x7f
	v_cmp_ne_u32_e32 vcc, s10, v45
	v_mov_b32_e32 v44, 0x7f80
	s_and_saveexec_b64 s[10:11], vcc
	s_cbranch_execz .LBB834_317
; %bb.316:
	v_and_b32_e32 v44, 7, v42
	v_ffbh_u32_e32 v53, v44
	v_min_u32_e32 v53, 32, v53
	v_subrev_u32_e32 v54, 28, v53
	v_lshlrev_b64 v[54:55], v54, v[42:43]
	v_lshrrev_b32_e32 v51, 3, v45
	v_sub_u32_e32 v42, 29, v53
	v_and_b32_e32 v53, 7, v54
	v_cmp_gt_u32_e32 vcc, 8, v45
	v_mov_b32_e32 v45, 24
	v_cndmask_b32_e32 v42, v51, v42, vcc
	v_cndmask_b32_e32 v44, v44, v53, vcc
	v_lshlrev_b32_sdwa v45, v45, v22 dst_sel:DWORD dst_unused:UNUSED_PAD src0_sel:DWORD src1_sel:WORD_1
	v_bfrev_b32_e32 v51, 60
	v_lshlrev_b32_e32 v44, 20, v44
	v_and_b32_e32 v45, 0x80000000, v45
	v_lshl_add_u32 v42, v42, 23, v51
	v_or3_b32 v42, v45, v42, v44
	v_lshrrev_b32_e32 v44, 16, v42
.LBB834_317:
	s_or_b64 exec, exec, s[10:11]
.LBB834_318:
	s_or_b64 exec, exec, s[8:9]
.LBB834_319:
	s_or_b64 exec, exec, s[2:3]
	s_mov_b32 s2, 0xffffff
	v_cmp_lt_u32_e32 vcc, s2, v22
	v_mov_b32_e32 v45, 0
	v_mov_b32_e32 v51, 0
	s_and_saveexec_b64 s[2:3], vcc
	s_cbranch_execz .LBB834_325
; %bb.320:
	v_lshrrev_b32_e32 v42, 24, v22
	s_movk_i32 s8, 0x80
	v_cmp_ne_u32_e32 vcc, s8, v42
	v_mov_b32_e32 v51, 0xffff8000
	s_and_saveexec_b64 s[8:9], vcc
	s_cbranch_execz .LBB834_324
; %bb.321:
	v_bfe_u32 v22, v22, 24, 7
	s_movk_i32 s10, 0x7f
	v_cmp_ne_u32_e32 vcc, s10, v22
	v_mov_b32_e32 v51, 0x7f80
	s_and_saveexec_b64 s[10:11], vcc
	s_cbranch_execz .LBB834_323
; %bb.322:
	v_and_b32_e32 v51, 7, v42
	v_ffbh_u32_e32 v54, v51
	v_min_u32_e32 v56, 32, v54
	v_subrev_u32_e32 v54, 28, v56
	v_lshlrev_b64 v[54:55], v54, v[42:43]
	v_lshrrev_b32_e32 v53, 3, v22
	v_sub_u32_e32 v55, 29, v56
	v_and_b32_e32 v54, 7, v54
	v_cmp_gt_u32_e32 vcc, 8, v22
	v_cndmask_b32_e32 v22, v53, v55, vcc
	v_cndmask_b32_e32 v51, v51, v54, vcc
	v_lshlrev_b32_e32 v42, 24, v42
	v_bfrev_b32_e32 v53, 60
	v_lshlrev_b32_e32 v51, 20, v51
	v_and_b32_e32 v42, 0x80000000, v42
	v_lshl_add_u32 v22, v22, 23, v53
	v_or3_b32 v22, v42, v22, v51
	v_lshrrev_b32_e32 v51, 16, v22
.LBB834_323:
	s_or_b64 exec, exec, s[10:11]
.LBB834_324:
	s_or_b64 exec, exec, s[8:9]
.LBB834_325:
	s_or_b64 exec, exec, s[2:3]
	v_cmp_ne_u16_sdwa s[8:9], v23, v45 src0_sel:BYTE_0 src1_sel:DWORD
	s_and_saveexec_b64 s[2:3], s[8:9]
	s_cbranch_execz .LBB834_331
; %bb.326:
	s_movk_i32 s8, 0x80
	v_cmp_ne_u16_sdwa s[10:11], v23, s8 src0_sel:BYTE_0 src1_sel:DWORD
	v_mov_b32_e32 v45, 0xffff8000
	s_and_saveexec_b64 s[8:9], s[10:11]
	s_cbranch_execz .LBB834_330
; %bb.327:
	s_movk_i32 s10, 0x7f
	v_and_b32_e32 v22, 0x7f, v23
	v_cmp_ne_u32_e32 vcc, s10, v22
	v_mov_b32_e32 v45, 0x7f80
	s_and_saveexec_b64 s[10:11], vcc
	s_cbranch_execz .LBB834_329
; %bb.328:
	v_and_b32_e32 v45, 7, v23
	v_ffbh_u32_e32 v54, v45
	v_min_u32_e32 v56, 32, v54
	v_mov_b32_e32 v42, v23
	v_subrev_u32_e32 v54, 28, v56
	v_lshlrev_b64 v[54:55], v54, v[42:43]
	v_lshrrev_b32_e32 v53, 3, v22
	v_sub_u32_e32 v42, 29, v56
	v_and_b32_e32 v54, 7, v54
	v_cmp_gt_u32_e32 vcc, 8, v22
	v_cndmask_b32_e32 v22, v53, v42, vcc
	v_cndmask_b32_e32 v42, v45, v54, vcc
	v_lshlrev_b32_e32 v45, 24, v23
	v_bfrev_b32_e32 v53, 60
	v_lshlrev_b32_e32 v42, 20, v42
	v_and_b32_e32 v45, 0x80000000, v45
	v_lshl_add_u32 v22, v22, 23, v53
	v_or3_b32 v22, v45, v22, v42
	v_lshrrev_b32_e32 v45, 16, v22
.LBB834_329:
	s_or_b64 exec, exec, s[10:11]
.LBB834_330:
	s_or_b64 exec, exec, s[8:9]
.LBB834_331:
	s_or_b64 exec, exec, s[2:3]
	v_lshrrev_b16_e32 v22, 8, v23
	v_cmp_ne_u16_e32 vcc, 0, v22
	v_mov_b32_e32 v54, 0
	v_mov_b32_e32 v53, 0
	s_and_saveexec_b64 s[2:3], vcc
	s_cbranch_execz .LBB834_337
; %bb.332:
	s_movk_i32 s8, 0x80
	v_cmp_ne_u16_e32 vcc, s8, v22
	v_mov_b32_e32 v53, 0xffff8000
	s_and_saveexec_b64 s[8:9], vcc
	s_cbranch_execz .LBB834_336
; %bb.333:
	s_movk_i32 s10, 0x7f
	v_and_b32_e32 v42, 0x7f, v22
	v_cmp_ne_u32_e32 vcc, s10, v42
	v_mov_b32_e32 v53, 0x7f80
	s_and_saveexec_b64 s[10:11], vcc
	s_cbranch_execz .LBB834_335
; %bb.334:
	v_and_b32_e32 v53, 7, v22
	v_ffbh_u32_e32 v56, v53
	v_min_u32_e32 v58, 32, v56
	v_subrev_u32_e32 v56, 28, v58
	v_lshlrev_b64 v[56:57], v56, v[22:23]
	v_lshrrev_b32_e32 v55, 3, v42
	v_sub_u32_e32 v22, 29, v58
	v_and_b32_e32 v56, 7, v56
	v_cmp_gt_u32_e32 vcc, 8, v42
	v_cndmask_b32_e32 v22, v55, v22, vcc
	v_cndmask_b32_e32 v42, v53, v56, vcc
	v_lshlrev_b32_e32 v53, 16, v23
	v_bfrev_b32_e32 v55, 60
	v_lshlrev_b32_e32 v42, 20, v42
	v_and_b32_e32 v53, 0x80000000, v53
	v_lshl_add_u32 v22, v22, 23, v55
	v_or3_b32 v22, v53, v22, v42
	v_lshrrev_b32_e32 v53, 16, v22
.LBB834_335:
	s_or_b64 exec, exec, s[10:11]
.LBB834_336:
	s_or_b64 exec, exec, s[8:9]
.LBB834_337:
	s_or_b64 exec, exec, s[2:3]
	s_movk_i32 s2, 0xff
	v_and_b32_sdwa v42, v23, s2 dst_sel:DWORD dst_unused:UNUSED_PAD src0_sel:WORD_1 src1_sel:DWORD
	v_lshrrev_b32_e32 v22, 16, v23
	v_cmp_ne_u16_e32 vcc, 0, v42
	s_and_saveexec_b64 s[2:3], vcc
	s_cbranch_execz .LBB834_343
; %bb.338:
	s_movk_i32 s8, 0x80
	v_cmp_ne_u16_e32 vcc, s8, v42
	v_mov_b32_e32 v54, 0xffff8000
	s_and_saveexec_b64 s[8:9], vcc
	s_cbranch_execz .LBB834_342
; %bb.339:
	v_bfe_u32 v42, v23, 16, 7
	s_movk_i32 s10, 0x7f
	v_cmp_ne_u32_e32 vcc, s10, v42
	v_mov_b32_e32 v54, 0x7f80
	s_and_saveexec_b64 s[10:11], vcc
	s_cbranch_execz .LBB834_341
; %bb.340:
	v_and_b32_e32 v56, 7, v22
	v_ffbh_u32_e32 v54, v56
	v_min_u32_e32 v58, 32, v54
	v_subrev_u32_e32 v54, 28, v58
	v_lshlrev_b64 v[54:55], v54, v[22:23]
	v_and_b32_e32 v54, 7, v54
	v_cmp_gt_u32_e32 vcc, 8, v42
	v_lshrrev_b32_e32 v57, 3, v42
	v_sub_u32_e32 v22, 29, v58
	v_cndmask_b32_e32 v42, v56, v54, vcc
	v_mov_b32_e32 v54, 24
	v_cndmask_b32_e32 v22, v57, v22, vcc
	v_lshlrev_b32_sdwa v54, v54, v23 dst_sel:DWORD dst_unused:UNUSED_PAD src0_sel:DWORD src1_sel:WORD_1
	v_bfrev_b32_e32 v55, 60
	v_lshlrev_b32_e32 v42, 20, v42
	v_and_b32_e32 v54, 0x80000000, v54
	v_lshl_add_u32 v22, v22, 23, v55
	v_or3_b32 v22, v54, v22, v42
	v_lshrrev_b32_e32 v54, 16, v22
.LBB834_341:
	s_or_b64 exec, exec, s[10:11]
.LBB834_342:
	s_or_b64 exec, exec, s[8:9]
.LBB834_343:
	s_or_b64 exec, exec, s[2:3]
	s_mov_b32 s2, 0xffffff
	v_cmp_lt_u32_e32 vcc, s2, v23
	v_mov_b32_e32 v42, 0
	v_mov_b32_e32 v55, 0
	s_and_saveexec_b64 s[2:3], vcc
	s_cbranch_execz .LBB834_349
; %bb.344:
	v_lshrrev_b32_e32 v22, 24, v23
	s_movk_i32 s8, 0x80
	v_cmp_ne_u32_e32 vcc, s8, v22
	v_mov_b32_e32 v55, 0xffff8000
	s_and_saveexec_b64 s[8:9], vcc
	s_cbranch_execz .LBB834_348
; %bb.345:
	v_bfe_u32 v23, v23, 24, 7
	s_movk_i32 s10, 0x7f
	v_cmp_ne_u32_e32 vcc, s10, v23
	v_mov_b32_e32 v55, 0x7f80
	s_and_saveexec_b64 s[10:11], vcc
	s_cbranch_execz .LBB834_347
; %bb.346:
	v_and_b32_e32 v55, 7, v22
	v_ffbh_u32_e32 v56, v55
	v_min_u32_e32 v59, 32, v56
	v_subrev_u32_e32 v56, 28, v59
	v_lshlrev_b64 v[56:57], v56, v[22:23]
	v_lshrrev_b32_e32 v58, 3, v23
	v_sub_u32_e32 v57, 29, v59
	v_and_b32_e32 v56, 7, v56
	v_cmp_gt_u32_e32 vcc, 8, v23
	v_cndmask_b32_e32 v23, v58, v57, vcc
	v_cndmask_b32_e32 v55, v55, v56, vcc
	v_lshlrev_b32_e32 v22, 24, v22
	v_bfrev_b32_e32 v56, 60
	v_lshlrev_b32_e32 v55, 20, v55
	v_and_b32_e32 v22, 0x80000000, v22
	v_lshl_add_u32 v23, v23, 23, v56
	v_or3_b32 v22, v22, v23, v55
	v_lshrrev_b32_e32 v55, 16, v22
.LBB834_347:
	s_or_b64 exec, exec, s[10:11]
.LBB834_348:
	s_or_b64 exec, exec, s[8:9]
.LBB834_349:
	s_or_b64 exec, exec, s[2:3]
	s_mov_b32 s2, 0x5040100
	v_perm_b32 v23, v51, v44, s2
	v_perm_b32 v22, v43, v52, s2
	v_cmp_ne_u16_sdwa s[8:9], v24, v42 src0_sel:BYTE_0 src1_sel:DWORD
	s_nop 0
	v_mfma_f32_16x16x16bf16_1k v[56:59], v[22:23], v[26:27], 0
	v_perm_b32 v23, v55, v54, s2
	v_perm_b32 v22, v53, v45, s2
	s_nop 1
	v_mfma_f32_16x16x16bf16_1k v[26:29], v[22:23], v[28:29], v[56:59]
	s_and_saveexec_b64 s[2:3], s[8:9]
	s_cbranch_execz .LBB834_355
; %bb.350:
	s_movk_i32 s8, 0x80
	v_cmp_ne_u16_sdwa s[10:11], v24, s8 src0_sel:BYTE_0 src1_sel:DWORD
	v_mov_b32_e32 v42, 0xffff8000
	s_and_saveexec_b64 s[8:9], s[10:11]
	s_cbranch_execz .LBB834_354
; %bb.351:
	s_movk_i32 s10, 0x7f
	v_and_b32_e32 v22, 0x7f, v24
	v_cmp_ne_u32_e32 vcc, s10, v22
	v_mov_b32_e32 v42, 0x7f80
	s_and_saveexec_b64 s[10:11], vcc
	s_cbranch_execz .LBB834_353
; %bb.352:
	v_and_b32_e32 v23, 7, v24
	v_ffbh_u32_e32 v42, v23
	v_min_u32_e32 v45, 32, v42
	v_subrev_u32_e32 v42, 28, v45
	v_lshlrev_b64 v[42:43], v42, v[24:25]
	v_lshrrev_b32_e32 v44, 3, v22
	v_sub_u32_e32 v43, 29, v45
	v_and_b32_e32 v42, 7, v42
	v_cmp_gt_u32_e32 vcc, 8, v22
	v_cndmask_b32_e32 v22, v44, v43, vcc
	v_cndmask_b32_e32 v23, v23, v42, vcc
	v_lshlrev_b32_e32 v42, 24, v24
	v_bfrev_b32_e32 v43, 60
	v_lshlrev_b32_e32 v23, 20, v23
	v_and_b32_e32 v42, 0x80000000, v42
	v_lshl_add_u32 v22, v22, 23, v43
	v_or3_b32 v22, v42, v22, v23
	v_lshrrev_b32_e32 v42, 16, v22
.LBB834_353:
	s_or_b64 exec, exec, s[10:11]
.LBB834_354:
	s_or_b64 exec, exec, s[8:9]
.LBB834_355:
	s_or_b64 exec, exec, s[2:3]
	v_lshrrev_b16_e32 v22, 8, v24
	v_cmp_ne_u16_e32 vcc, 0, v22
	v_mov_b32_e32 v43, 0
	v_mov_b32_e32 v23, 0
	s_and_saveexec_b64 s[2:3], vcc
	s_cbranch_execz .LBB834_361
; %bb.356:
	s_movk_i32 s8, 0x80
	v_cmp_ne_u16_e32 vcc, s8, v22
	v_mov_b32_e32 v23, 0xffff8000
	s_and_saveexec_b64 s[8:9], vcc
	s_cbranch_execz .LBB834_360
; %bb.357:
	s_movk_i32 s10, 0x7f
	v_and_b32_e32 v44, 0x7f, v22
	v_cmp_ne_u32_e32 vcc, s10, v44
	v_mov_b32_e32 v23, 0x7f80
	s_and_saveexec_b64 s[10:11], vcc
	s_cbranch_execz .LBB834_359
; %bb.358:
	v_and_b32_e32 v45, 7, v22
	v_ffbh_u32_e32 v23, v45
	v_min_u32_e32 v52, 32, v23
	v_subrev_u32_e32 v23, 28, v52
	v_lshlrev_b64 v[22:23], v23, v[22:23]
	v_lshrrev_b32_e32 v51, 3, v44
	v_sub_u32_e32 v23, 29, v52
	v_and_b32_e32 v22, 7, v22
	v_cmp_gt_u32_e32 vcc, 8, v44
	v_cndmask_b32_e32 v23, v51, v23, vcc
	v_cndmask_b32_e32 v22, v45, v22, vcc
	v_lshlrev_b32_e32 v44, 16, v24
	v_bfrev_b32_e32 v45, 60
	v_lshlrev_b32_e32 v22, 20, v22
	v_and_b32_e32 v44, 0x80000000, v44
	v_lshl_add_u32 v23, v23, 23, v45
	v_or3_b32 v22, v44, v23, v22
	v_lshrrev_b32_e32 v23, 16, v22
.LBB834_359:
	s_or_b64 exec, exec, s[10:11]
.LBB834_360:
	s_or_b64 exec, exec, s[8:9]
.LBB834_361:
	s_or_b64 exec, exec, s[2:3]
	s_movk_i32 s2, 0xff
	v_and_b32_sdwa v44, v24, s2 dst_sel:DWORD dst_unused:UNUSED_PAD src0_sel:WORD_1 src1_sel:DWORD
	v_lshrrev_b32_e32 v22, 16, v24
	v_cmp_ne_u16_e32 vcc, 0, v44
	s_and_saveexec_b64 s[2:3], vcc
	s_cbranch_execz .LBB834_367
; %bb.362:
	s_movk_i32 s8, 0x80
	v_cmp_ne_u16_e32 vcc, s8, v44
	v_mov_b32_e32 v43, 0xffff8000
	s_and_saveexec_b64 s[8:9], vcc
	s_cbranch_execz .LBB834_366
; %bb.363:
	v_bfe_u32 v44, v24, 16, 7
	s_movk_i32 s10, 0x7f
	v_cmp_ne_u32_e32 vcc, s10, v44
	v_mov_b32_e32 v43, 0x7f80
	s_and_saveexec_b64 s[10:11], vcc
	s_cbranch_execz .LBB834_365
; %bb.364:
	v_and_b32_e32 v43, 7, v22
	v_ffbh_u32_e32 v51, v43
	v_min_u32_e32 v51, 32, v51
	v_subrev_u32_e32 v52, 28, v51
	v_lshlrev_b64 v[52:53], v52, v[22:23]
	v_lshrrev_b32_e32 v45, 3, v44
	v_sub_u32_e32 v22, 29, v51
	v_and_b32_e32 v51, 7, v52
	v_cmp_gt_u32_e32 vcc, 8, v44
	v_mov_b32_e32 v44, 24
	v_cndmask_b32_e32 v22, v45, v22, vcc
	v_cndmask_b32_e32 v43, v43, v51, vcc
	v_lshlrev_b32_sdwa v44, v44, v24 dst_sel:DWORD dst_unused:UNUSED_PAD src0_sel:DWORD src1_sel:WORD_1
	v_bfrev_b32_e32 v45, 60
	v_lshlrev_b32_e32 v43, 20, v43
	v_and_b32_e32 v44, 0x80000000, v44
	v_lshl_add_u32 v22, v22, 23, v45
	v_or3_b32 v22, v44, v22, v43
	v_lshrrev_b32_e32 v43, 16, v22
.LBB834_365:
	s_or_b64 exec, exec, s[10:11]
.LBB834_366:
	s_or_b64 exec, exec, s[8:9]
.LBB834_367:
	s_or_b64 exec, exec, s[2:3]
	s_mov_b32 s2, 0xffffff
	v_cmp_lt_u32_e32 vcc, s2, v24
	v_mov_b32_e32 v45, 0
	v_mov_b32_e32 v51, 0
	s_and_saveexec_b64 s[2:3], vcc
	s_cbranch_execz .LBB834_373
; %bb.368:
	v_lshrrev_b32_e32 v22, 24, v24
	s_movk_i32 s8, 0x80
	v_cmp_ne_u32_e32 vcc, s8, v22
	v_mov_b32_e32 v51, 0xffff8000
	s_and_saveexec_b64 s[8:9], vcc
	s_cbranch_execz .LBB834_372
; %bb.369:
	v_bfe_u32 v24, v24, 24, 7
	s_movk_i32 s10, 0x7f
	v_cmp_ne_u32_e32 vcc, s10, v24
	v_mov_b32_e32 v51, 0x7f80
	s_and_saveexec_b64 s[10:11], vcc
	s_cbranch_execz .LBB834_371
; %bb.370:
	v_and_b32_e32 v44, 7, v22
	v_ffbh_u32_e32 v52, v44
	v_min_u32_e32 v54, 32, v52
	v_subrev_u32_e32 v52, 28, v54
	v_lshlrev_b64 v[52:53], v52, v[22:23]
	v_lshrrev_b32_e32 v51, 3, v24
	v_sub_u32_e32 v53, 29, v54
	v_and_b32_e32 v52, 7, v52
	v_cmp_gt_u32_e32 vcc, 8, v24
	v_cndmask_b32_e32 v24, v51, v53, vcc
	v_cndmask_b32_e32 v44, v44, v52, vcc
	v_lshlrev_b32_e32 v22, 24, v22
	v_bfrev_b32_e32 v51, 60
	v_lshlrev_b32_e32 v44, 20, v44
	v_and_b32_e32 v22, 0x80000000, v22
	v_lshl_add_u32 v24, v24, 23, v51
	v_or3_b32 v22, v22, v24, v44
	v_lshrrev_b32_e32 v51, 16, v22
.LBB834_371:
	s_or_b64 exec, exec, s[10:11]
.LBB834_372:
	s_or_b64 exec, exec, s[8:9]
.LBB834_373:
	s_or_b64 exec, exec, s[2:3]
	v_cmp_ne_u16_sdwa s[8:9], v25, v45 src0_sel:BYTE_0 src1_sel:DWORD
	s_and_saveexec_b64 s[2:3], s[8:9]
	s_cbranch_execz .LBB834_379
; %bb.374:
	s_movk_i32 s8, 0x80
	v_cmp_ne_u16_sdwa s[10:11], v25, s8 src0_sel:BYTE_0 src1_sel:DWORD
	v_mov_b32_e32 v45, 0xffff8000
	s_and_saveexec_b64 s[8:9], s[10:11]
	s_cbranch_execz .LBB834_378
; %bb.375:
	s_movk_i32 s10, 0x7f
	v_and_b32_e32 v22, 0x7f, v25
	v_cmp_ne_u32_e32 vcc, s10, v22
	v_mov_b32_e32 v45, 0x7f80
	s_and_saveexec_b64 s[10:11], vcc
	s_cbranch_execz .LBB834_377
; %bb.376:
	v_and_b32_e32 v52, 7, v25
	v_ffbh_u32_e32 v44, v52
	v_min_u32_e32 v54, 32, v44
	v_mov_b32_e32 v24, v25
	v_subrev_u32_e32 v44, 28, v54
	v_lshlrev_b64 v[44:45], v44, v[24:25]
	v_lshrrev_b32_e32 v53, 3, v22
	v_sub_u32_e32 v24, 29, v54
	v_and_b32_e32 v44, 7, v44
	v_cmp_gt_u32_e32 vcc, 8, v22
	v_cndmask_b32_e32 v22, v53, v24, vcc
	v_cndmask_b32_e32 v24, v52, v44, vcc
	v_lshlrev_b32_e32 v44, 24, v25
	v_bfrev_b32_e32 v45, 60
	v_lshlrev_b32_e32 v24, 20, v24
	v_and_b32_e32 v44, 0x80000000, v44
	v_lshl_add_u32 v22, v22, 23, v45
	v_or3_b32 v22, v44, v22, v24
	v_lshrrev_b32_e32 v45, 16, v22
.LBB834_377:
	s_or_b64 exec, exec, s[10:11]
.LBB834_378:
	s_or_b64 exec, exec, s[8:9]
.LBB834_379:
	s_or_b64 exec, exec, s[2:3]
	v_lshrrev_b16_e32 v22, 8, v25
	v_cmp_ne_u16_e32 vcc, 0, v22
	v_mov_b32_e32 v53, 0
	v_mov_b32_e32 v52, 0
	s_and_saveexec_b64 s[2:3], vcc
	s_cbranch_execz .LBB834_385
; %bb.380:
	s_movk_i32 s8, 0x80
	v_cmp_ne_u16_e32 vcc, s8, v22
	v_mov_b32_e32 v52, 0xffff8000
	s_and_saveexec_b64 s[8:9], vcc
	s_cbranch_execz .LBB834_384
; %bb.381:
	s_movk_i32 s10, 0x7f
	v_and_b32_e32 v24, 0x7f, v22
	v_cmp_ne_u32_e32 vcc, s10, v24
	v_mov_b32_e32 v52, 0x7f80
	s_and_saveexec_b64 s[10:11], vcc
	s_cbranch_execz .LBB834_383
; %bb.382:
	v_and_b32_e32 v44, 7, v22
	v_ffbh_u32_e32 v54, v44
	v_min_u32_e32 v56, 32, v54
	v_subrev_u32_e32 v54, 28, v56
	v_lshlrev_b64 v[54:55], v54, v[22:23]
	v_lshrrev_b32_e32 v52, 3, v24
	v_sub_u32_e32 v22, 29, v56
	v_and_b32_e32 v54, 7, v54
	v_cmp_gt_u32_e32 vcc, 8, v24
	v_cndmask_b32_e32 v22, v52, v22, vcc
	v_cndmask_b32_e32 v24, v44, v54, vcc
	v_lshlrev_b32_e32 v44, 16, v25
	v_bfrev_b32_e32 v52, 60
	v_lshlrev_b32_e32 v24, 20, v24
	v_and_b32_e32 v44, 0x80000000, v44
	v_lshl_add_u32 v22, v22, 23, v52
	v_or3_b32 v22, v44, v22, v24
	v_lshrrev_b32_e32 v52, 16, v22
.LBB834_383:
	s_or_b64 exec, exec, s[10:11]
.LBB834_384:
	s_or_b64 exec, exec, s[8:9]
.LBB834_385:
	s_or_b64 exec, exec, s[2:3]
	s_movk_i32 s2, 0xff
	v_and_b32_sdwa v24, v25, s2 dst_sel:DWORD dst_unused:UNUSED_PAD src0_sel:WORD_1 src1_sel:DWORD
	v_lshrrev_b32_e32 v22, 16, v25
	v_cmp_ne_u16_e32 vcc, 0, v24
	s_and_saveexec_b64 s[2:3], vcc
	s_cbranch_execz .LBB834_391
; %bb.386:
	s_movk_i32 s8, 0x80
	v_cmp_ne_u16_e32 vcc, s8, v24
	v_mov_b32_e32 v53, 0xffff8000
	s_and_saveexec_b64 s[8:9], vcc
	s_cbranch_execz .LBB834_390
; %bb.387:
	v_bfe_u32 v24, v25, 16, 7
	s_movk_i32 s10, 0x7f
	v_cmp_ne_u32_e32 vcc, s10, v24
	v_mov_b32_e32 v53, 0x7f80
	s_and_saveexec_b64 s[10:11], vcc
	s_cbranch_execz .LBB834_389
; %bb.388:
	v_and_b32_e32 v44, 7, v22
	v_ffbh_u32_e32 v54, v44
	v_min_u32_e32 v56, 32, v54
	v_subrev_u32_e32 v54, 28, v56
	v_lshlrev_b64 v[54:55], v54, v[22:23]
	v_and_b32_e32 v54, 7, v54
	v_cmp_gt_u32_e32 vcc, 8, v24
	v_lshrrev_b32_e32 v53, 3, v24
	v_sub_u32_e32 v22, 29, v56
	v_cndmask_b32_e32 v24, v44, v54, vcc
	v_mov_b32_e32 v44, 24
	v_cndmask_b32_e32 v22, v53, v22, vcc
	v_lshlrev_b32_sdwa v44, v44, v25 dst_sel:DWORD dst_unused:UNUSED_PAD src0_sel:DWORD src1_sel:WORD_1
	v_bfrev_b32_e32 v53, 60
	v_lshlrev_b32_e32 v24, 20, v24
	v_and_b32_e32 v44, 0x80000000, v44
	v_lshl_add_u32 v22, v22, 23, v53
	v_or3_b32 v22, v44, v22, v24
	v_lshrrev_b32_e32 v53, 16, v22
.LBB834_389:
	s_or_b64 exec, exec, s[10:11]
.LBB834_390:
	s_or_b64 exec, exec, s[8:9]
.LBB834_391:
	s_or_b64 exec, exec, s[2:3]
	s_mov_b32 s2, 0xffffff
	v_and_b32_e32 v44, 63, v0
	v_cmp_lt_u32_e32 vcc, s2, v25
	v_mov_b32_e32 v54, 0
	s_and_saveexec_b64 s[2:3], vcc
	s_cbranch_execz .LBB834_397
; %bb.392:
	v_lshrrev_b32_e32 v22, 24, v25
	s_movk_i32 s8, 0x80
	v_cmp_ne_u32_e32 vcc, s8, v22
	v_mov_b32_e32 v54, 0xffff8000
	s_and_saveexec_b64 s[8:9], vcc
	s_cbranch_execz .LBB834_396
; %bb.393:
	v_bfe_u32 v24, v25, 24, 7
	s_movk_i32 s10, 0x7f
	v_cmp_ne_u32_e32 vcc, s10, v24
	v_mov_b32_e32 v54, 0x7f80
	s_and_saveexec_b64 s[10:11], vcc
	s_cbranch_execz .LBB834_395
; %bb.394:
	v_and_b32_e32 v25, 7, v22
	v_ffbh_u32_e32 v54, v25
	v_min_u32_e32 v57, 32, v54
	v_subrev_u32_e32 v54, 28, v57
	v_lshlrev_b64 v[54:55], v54, v[22:23]
	v_lshrrev_b32_e32 v56, 3, v24
	v_sub_u32_e32 v55, 29, v57
	v_and_b32_e32 v54, 7, v54
	v_cmp_gt_u32_e32 vcc, 8, v24
	v_cndmask_b32_e32 v24, v56, v55, vcc
	v_cndmask_b32_e32 v25, v25, v54, vcc
	v_lshlrev_b32_e32 v22, 24, v22
	v_bfrev_b32_e32 v54, 60
	v_lshlrev_b32_e32 v25, 20, v25
	v_and_b32_e32 v22, 0x80000000, v22
	v_lshl_add_u32 v24, v24, 23, v54
	v_or3_b32 v22, v22, v24, v25
	v_lshrrev_b32_e32 v54, 16, v22
.LBB834_395:
	s_or_b64 exec, exec, s[10:11]
.LBB834_396:
	s_or_b64 exec, exec, s[8:9]
.LBB834_397:
	s_or_b64 exec, exec, s[2:3]
	s_mov_b32 s3, 0x5040100
	v_perm_b32 v43, v51, v43, s3
	v_perm_b32 v42, v23, v42, s3
	s_load_dword s2, s[4:5], 0x1c
	s_mov_b32 s46, 0xff7fffff
	s_waitcnt lgkmcnt(0)
	v_mfma_f32_16x16x16bf16_1k v[26:29], v[42:43], v[18:19], v[26:29]
	v_perm_b32 v19, v54, v53, s3
	v_perm_b32 v18, v52, v45, s3
	v_mov_b32_e32 v22, s2
	v_mul_f32_e32 v56, s12, v22
	v_pk_mul_f32 v[22:23], v[56:57], v[32:33] op_sel_hi:[0,1]
	v_pk_mul_f32 v[32:33], v[56:57], v[38:39] op_sel_hi:[0,1]
	v_and_b32_e32 v38, 0xc0, v0
	v_mfma_f32_16x16x16bf16_1k v[26:29], v[18:19], v[20:21], v[26:29]
	v_add_u32_e32 v38, s18, v38
	v_lshl_or_b32 v38, v1, 2, v38
	v_or_b32_e32 v39, 1, v38
	v_pk_mul_f32 v[24:25], v[56:57], v[30:31] op_sel_hi:[0,1]
	v_pk_mul_f32 v[30:31], v[56:57], v[40:41] op_sel_hi:[0,1]
	v_subrev_u32_e32 v40, s33, v39
	v_pk_mul_f32 v[34:35], v[56:57], v[34:35] op_sel_hi:[0,1]
	s_nop 3
	v_pk_mul_f32 v[20:21], v[56:57], v[26:27] op_sel_hi:[0,1]
	v_add_u32_e32 v27, 1, v40
	v_pk_mul_f32 v[18:19], v[56:57], v[28:29] op_sel_hi:[0,1]
	v_cvt_f32_i32_e32 v27, v27
	v_add_u32_e32 v29, 3, v40
	v_cvt_f32_i32_e32 v29, v29
	v_cvt_f32_i32_e32 v26, v40
	v_pk_mul_f32 v[36:37], v[56:57], v[36:37] op_sel_hi:[0,1]
	v_fmac_f32_e32 v35, v50, v27
	v_add_u32_e32 v27, 16, v40
	v_fmac_f32_e32 v37, v50, v29
	v_cvt_f32_i32_e32 v27, v27
	v_add_u32_e32 v29, 17, v40
	v_fma_f32 v26, v50, v26, v34
	v_cvt_f32_i32_e32 v29, v29
	v_add_u32_e32 v34, 18, v40
	v_cvt_f32_i32_e32 v34, v34
	v_fma_f32 v41, v50, v27, v32
	v_add_u32_e32 v27, 32, v40
	v_fmac_f32_e32 v33, v50, v29
	v_cvt_f32_i32_e32 v27, v27
	v_add_u32_e32 v29, 33, v40
	v_add_u32_e32 v32, 34, v40
	v_fma_f32 v30, v50, v34, v30
	v_cvt_f32_i32_e32 v29, v29
	v_cvt_f32_i32_e32 v32, v32
	v_add_u32_e32 v34, 35, v40
	v_cvt_f32_i32_e32 v34, v34
	v_fma_f32 v24, v50, v27, v24
	v_add_u32_e32 v27, 48, v40
	v_fmac_f32_e32 v25, v50, v29
	v_fma_f32 v22, v50, v32, v22
	v_cvt_f32_i32_e32 v27, v27
	v_add_u32_e32 v29, 49, v40
	v_add_u32_e32 v32, 50, v40
	v_fmac_f32_e32 v23, v50, v34
	v_cvt_f32_i32_e32 v29, v29
	v_cvt_f32_i32_e32 v32, v32
	v_add_u32_e32 v34, 51, v40
	v_add_u32_e32 v28, 2, v40
	v_cvt_f32_i32_e32 v34, v34
	v_cvt_f32_i32_e32 v28, v28
	v_fma_f32 v20, v50, v27, v20
	v_mov_b32_e32 v27, 0xff7fffff
	v_cmp_gt_i32_e64 s[26:27], s33, v38
	v_cmp_gt_i32_e64 s[28:29], s33, v39
	v_fmac_f32_e32 v21, v50, v29
	v_fma_f32 v18, v50, v32, v18
	v_cndmask_b32_e64 v29, v27, v26, s[26:27]
	v_cndmask_b32_e64 v32, v27, v35, s[28:29]
	v_fmac_f32_e32 v19, v50, v34
	v_max3_f32 v29, v29, s46, v32
	v_or_b32_e32 v32, 2, v38
	v_or_b32_e32 v34, 3, v38
	v_fma_f32 v28, v50, v28, v36
	v_cmp_gt_i32_e64 s[30:31], s33, v32
	v_cmp_gt_i32_e64 s[34:35], s33, v34
	v_add_u32_e32 v36, 19, v40
	v_cndmask_b32_e64 v32, v27, v28, s[30:31]
	v_cndmask_b32_e64 v34, v27, v37, s[34:35]
	v_cvt_f32_i32_e32 v36, v36
	v_max3_f32 v29, v29, v32, v34
	v_or_b32_e32 v32, 16, v38
	v_or_b32_e32 v34, 17, v38
	v_cmp_gt_i32_e64 s[36:37], s33, v32
	v_cmp_gt_i32_e64 s[38:39], s33, v34
	v_cndmask_b32_e64 v32, v27, v41, s[36:37]
	v_cndmask_b32_e64 v34, v27, v33, s[38:39]
	v_max3_f32 v29, v29, v32, v34
	v_or_b32_e32 v32, 18, v38
	v_or_b32_e32 v34, 19, v38
	v_fmac_f32_e32 v31, v50, v36
	v_cmp_gt_i32_e64 s[20:21], s33, v32
	v_cmp_gt_i32_e64 s[22:23], s33, v34
	v_cndmask_b32_e64 v32, v27, v30, s[20:21]
	v_cndmask_b32_e64 v34, v27, v31, s[22:23]
	v_max3_f32 v29, v29, v32, v34
	v_or_b32_e32 v32, 32, v38
	v_or_b32_e32 v34, 33, v38
	v_cmp_gt_i32_e64 s[16:17], s33, v32
	v_cmp_gt_i32_e64 s[18:19], s33, v34
	v_cndmask_b32_e64 v32, v27, v24, s[16:17]
	v_cndmask_b32_e64 v34, v27, v25, s[18:19]
	v_max3_f32 v29, v29, v32, v34
	v_or_b32_e32 v32, 34, v38
	v_or_b32_e32 v34, 35, v38
	;; [unrolled: 7-line block ×4, first 2 shown]
	v_cmp_gt_i32_e32 vcc, s33, v32
	v_cmp_gt_i32_e64 s[2:3], s33, v34
	v_cndmask_b32_e32 v32, v27, v18, vcc
	v_cndmask_b32_e64 v27, v27, v19, s[2:3]
	v_max3_f32 v27, v29, v32, v27
	v_mbcnt_lo_u32_b32 v29, -1, 0
	v_mbcnt_hi_u32_b32 v29, -1, v29
	v_and_b32_e32 v32, 64, v29
	v_add_u32_e32 v32, 64, v32
	v_xor_b32_e32 v34, 32, v29
	v_cmp_lt_i32_e64 s[40:41], v34, v32
	v_cndmask_b32_e64 v34, v29, v34, s[40:41]
	v_lshlrev_b32_e32 v36, 2, v34
	ds_bpermute_b32 v34, v36, v27
	s_barrier
	s_waitcnt lgkmcnt(0)
	v_max_f32_e32 v34, v34, v34
	v_max_f32_e32 v27, v27, v34
	v_xor_b32_e32 v34, 16, v29
	v_cmp_lt_i32_e64 s[40:41], v34, v32
	v_cndmask_b32_e64 v29, v29, v34, s[40:41]
	v_lshlrev_b32_e32 v38, 2, v29
	ds_bpermute_b32 v29, v38, v27
	s_waitcnt lgkmcnt(0)
	v_max_f32_e32 v29, v29, v29
	v_max_f32_e32 v32, v27, v29
	v_sub_f32_e32 v26, v26, v32
	v_mul_f32_e32 v26, 0x3fb8aa3b, v26
	v_sub_f32_e32 v27, v35, v32
	v_exp_f32_e32 v26, v26
	v_mul_f32_e32 v27, 0x3fb8aa3b, v27
	v_sub_f32_e32 v28, v28, v32
	v_exp_f32_e32 v27, v27
	v_mul_f32_e32 v28, 0x3fb8aa3b, v28
	v_exp_f32_e32 v28, v28
	v_cndmask_b32_e64 v26, 0, v26, s[26:27]
	v_sub_f32_e32 v34, v37, v32
	v_add_f32_e32 v29, 0, v26
	v_cndmask_b32_e64 v27, 0, v27, s[28:29]
	v_mul_f32_e32 v34, 0x3fb8aa3b, v34
	v_exp_f32_e32 v35, v34
	v_add_f32_e32 v29, v29, v27
	v_cndmask_b32_e64 v34, 0, v28, s[30:31]
	v_add_f32_e32 v28, v29, v34
	v_sub_f32_e32 v29, v41, v32
	v_mul_f32_e32 v29, 0x3fb8aa3b, v29
	v_sub_f32_e32 v33, v33, v32
	v_exp_f32_e32 v29, v29
	v_mul_f32_e32 v33, 0x3fb8aa3b, v33
	v_sub_f32_e32 v30, v30, v32
	v_exp_f32_e32 v33, v33
	;; [unrolled: 3-line block ×3, first 2 shown]
	v_mul_f32_e32 v31, 0x3fb8aa3b, v31
	v_sub_f32_e32 v24, v24, v32
	v_cndmask_b32_e64 v35, 0, v35, s[34:35]
	v_exp_f32_e32 v31, v31
	v_mul_f32_e32 v24, 0x3fb8aa3b, v24
	v_sub_f32_e32 v25, v25, v32
	v_add_f32_e32 v37, v28, v35
	v_cndmask_b32_e64 v28, 0, v29, s[36:37]
	v_exp_f32_e32 v24, v24
	v_mul_f32_e32 v25, 0x3fb8aa3b, v25
	v_sub_f32_e32 v22, v22, v32
	v_add_f32_e32 v37, v37, v28
	;; [unrolled: 5-line block ×7, first 2 shown]
	v_cndmask_b32_e64 v22, 0, v22, s[12:13]
	v_exp_f32_e32 v18, v18
	v_mul_f32_e32 v19, 0x3fb8aa3b, v19
	v_add_f32_e32 v33, v33, v22
	v_cndmask_b32_e64 v23, 0, v23, s[14:15]
	v_exp_f32_e32 v19, v19
	v_add_f32_e32 v33, v33, v23
	v_cndmask_b32_e64 v20, 0, v20, s[8:9]
	v_add_f32_e32 v33, v33, v20
	v_cndmask_b32_e64 v21, 0, v21, s[10:11]
	v_add_f32_e32 v33, v33, v21
	v_cndmask_b32_e32 v18, 0, v18, vcc
	v_add_f32_e32 v33, v33, v18
	v_cndmask_b32_e64 v19, 0, v19, s[2:3]
	v_add_f32_e32 v33, v33, v19
	ds_bpermute_b32 v36, v36, v33
	v_cmp_gt_u32_e64 s[2:3], 16, v44
	s_waitcnt lgkmcnt(0)
	v_add_f32_e32 v36, v33, v36
	ds_bpermute_b32 v37, v38, v36
	v_lshlrev_b32_e32 v33, 2, v48
	s_and_saveexec_b64 s[8:9], s[2:3]
	s_cbranch_execz .LBB834_399
; %bb.398:
	s_waitcnt lgkmcnt(0)
	v_add_f32_e32 v36, v36, v37
	v_lshl_or_b32 v37, v49, 6, v33
	ds_write2st64_b32 v37, v32, v36 offset1:1
.LBB834_399:
	s_or_b64 exec, exec, s[8:9]
	s_waitcnt lgkmcnt(0)
	s_barrier
	ds_read2_b32 v[36:37], v33 offset1:16
	ds_read2_b32 v[38:39], v33 offset0:32 offset1:48
	ds_read2_b32 v[40:41], v33 offset0:64 offset1:80
	s_mul_i32 s14, s45, 5
	s_waitcnt lgkmcnt(2)
	v_max3_f32 v32, v36, s46, v37
	s_waitcnt lgkmcnt(1)
	v_max3_f32 v32, v32, v38, v39
	v_sub_f32_e32 v36, v36, v32
	v_mul_f32_e32 v36, 0x3fb8aa3b, v36
	v_exp_f32_e32 v42, v36
	v_sub_f32_e32 v36, v37, v32
	v_mul_f32_e32 v36, 0x3fb8aa3b, v36
	v_exp_f32_e32 v43, v36
	;; [unrolled: 3-line block ×3, first 2 shown]
	ds_read2_b32 v[36:37], v33 offset0:96 offset1:112
	v_sub_f32_e32 v33, v39, v32
	v_mul_f32_e32 v33, 0x3fb8aa3b, v33
	v_exp_f32_e32 v39, v33
	s_waitcnt lgkmcnt(1)
	v_fma_f32 v33, v42, v40, 0
	v_fmac_f32_e32 v33, v43, v41
	s_waitcnt lgkmcnt(0)
	v_fmac_f32_e32 v33, v38, v36
	v_fmac_f32_e32 v33, v39, v37
	v_add_f32_e32 v36, 0x358637bd, v33
	v_div_scale_f32 v37, s[8:9], v36, v36, 1.0
	v_rcp_f32_e32 v40, v37
	s_movk_i32 s8, 0x7fff
	s_mov_b32 s9, 0x7060302
	v_fma_f32 v41, -v37, v40, 1.0
	v_fmac_f32_e32 v40, v41, v40
	v_div_scale_f32 v41, vcc, 1.0, v36, 1.0
	v_mul_f32_e32 v44, v41, v40
	v_fma_f32 v45, -v37, v44, v41
	v_fmac_f32_e32 v44, v45, v40
	v_fma_f32 v37, -v37, v44, v41
	v_div_fmas_f32 v37, v37, v40, v44
	v_cmp_eq_u32_e32 vcc, 1, v49
	v_div_fixup_f32 v36, v37, v36, 1.0
	v_cndmask_b32_e32 v37, v42, v43, vcc
	v_cmp_eq_u32_e32 vcc, 2, v49
	v_cndmask_b32_e32 v37, v37, v38, vcc
	v_cmp_eq_u32_e32 vcc, 3, v49
	v_cndmask_b32_e32 v37, v37, v39, vcc
	v_mul_f32_e32 v36, v37, v36
	v_pk_mul_f32 v[26:27], v[36:37], v[26:27] op_sel_hi:[0,1]
	v_pk_mul_f32 v[34:35], v[36:37], v[34:35] op_sel_hi:[0,1]
	v_bfe_u32 v37, v27, 16, 1
	v_bfe_u32 v38, v26, 16, 1
	v_add3_u32 v26, v26, v38, s8
	v_add3_u32 v27, v27, v37, s8
	v_perm_b32 v38, v27, v26, s9
	v_bfe_u32 v26, v35, 16, 1
	v_bfe_u32 v27, v34, 16, 1
	v_add3_u32 v27, v34, v27, s8
	v_add3_u32 v26, v35, v26, s8
	v_perm_b32 v39, v26, v27, s9
	v_lshlrev_b32_e32 v26, 3, v1
	v_lshlrev_b32_e32 v27, 5, v48
	;; [unrolled: 1-line block ×3, first 2 shown]
	v_pk_mul_f32 v[28:29], v[36:37], v[28:29] op_sel_hi:[0,1]
	v_or3_b32 v26, v34, v27, v26
	v_bfe_u32 v34, v29, 16, 1
	v_bfe_u32 v35, v28, 16, 1
	v_pk_mul_f32 v[30:31], v[36:37], v[30:31] op_sel_hi:[0,1]
	v_add3_u32 v28, v28, v35, s8
	v_add3_u32 v29, v29, v34, s8
	v_perm_b32 v28, v29, v28, s9
	v_bfe_u32 v29, v31, 16, 1
	v_bfe_u32 v34, v30, 16, 1
	v_add3_u32 v30, v30, v34, s8
	v_add3_u32 v29, v31, v29, s8
	v_perm_b32 v29, v29, v30, s9
	v_pk_mul_f32 v[24:25], v[36:37], v[24:25] op_sel_hi:[0,1]
	s_barrier
	ds_write2st64_b64 v26, v[38:39], v[28:29] offset1:1
	v_bfe_u32 v28, v25, 16, 1
	v_bfe_u32 v29, v24, 16, 1
	v_pk_mul_f32 v[22:23], v[36:37], v[22:23] op_sel_hi:[0,1]
	v_add3_u32 v24, v24, v29, s8
	v_add3_u32 v25, v25, v28, s8
	v_perm_b32 v24, v25, v24, s9
	v_bfe_u32 v25, v23, 16, 1
	v_bfe_u32 v28, v22, 16, 1
	v_add3_u32 v22, v22, v28, s8
	v_add3_u32 v23, v23, v25, s8
	v_pk_mul_f32 v[20:21], v[36:37], v[20:21] op_sel_hi:[0,1]
	v_perm_b32 v25, v23, v22, s9
	v_bfe_u32 v22, v21, 16, 1
	v_bfe_u32 v23, v20, 16, 1
	v_pk_mul_f32 v[18:19], v[36:37], v[18:19] op_sel_hi:[0,1]
	v_add3_u32 v20, v20, v23, s8
	v_add3_u32 v21, v21, v22, s8
	v_perm_b32 v20, v21, v20, s9
	v_bfe_u32 v21, v19, 16, 1
	v_bfe_u32 v22, v18, 16, 1
	v_add3_u32 v18, v18, v22, s8
	v_add3_u32 v19, v19, v21, s8
	v_perm_b32 v21, v19, v18, s9
	v_cmp_gt_u32_e32 vcc, 5, v0
	ds_write2st64_b64 v26, v[24:25], v[20:21] offset0:2 offset1:3
	s_and_saveexec_b64 s[8:9], vcc
	s_cbranch_execz .LBB834_401
; %bb.400:
	v_add_co_u32_e32 v20, vcc, s25, v48
	v_addc_co_u32_e64 v21, s[10:11], 0, 0, vcc
	v_mov_b32_e32 v18, s14
	v_mov_b32_e32 v19, 0
	v_mad_u64_u32 v[20:21], s[10:11], s6, v18, v[20:21]
	v_mov_b32_e32 v18, s24
	s_load_dwordx4 s[16:19], s[4:5], 0x58
	s_mul_i32 s7, s7, s14
	v_mad_u64_u32 v[18:19], s[10:11], v20, s44, v[18:19]
	v_add_u32_e32 v21, s7, v21
	v_mov_b32_e32 v20, v19
	v_mad_u64_u32 v[20:21], s[10:11], v21, s44, v[20:21]
	v_mov_b32_e32 v19, v20
	v_lshlrev_b64 v[18:19], 2, v[18:19]
	s_waitcnt lgkmcnt(0)
	v_mov_b32_e32 v21, s19
	v_add_co_u32_e32 v20, vcc, s18, v18
	v_addc_co_u32_e32 v21, vcc, v21, v19, vcc
	global_store_dword v[20:21], v32, off
	v_mov_b32_e32 v20, s17
	v_add_co_u32_e32 v18, vcc, s16, v18
	v_addc_co_u32_e32 v19, vcc, v20, v19, vcc
	global_store_dword v[18:19], v33, off
.LBB834_401:
	s_or_b64 exec, exec, s[8:9]
	v_mov_b32_e32 v19, 0
	s_waitcnt vmcnt(3)
	v_cmp_ne_u16_sdwa s[10:11], v14, v19 src0_sel:BYTE_0 src1_sel:DWORD
	v_mov_b32_e32 v20, 0
	s_waitcnt lgkmcnt(0)
	s_barrier
	s_and_saveexec_b64 s[8:9], s[10:11]
	s_cbranch_execz .LBB834_407
; %bb.402:
	s_movk_i32 s7, 0x80
	v_cmp_ne_u16_sdwa s[12:13], v14, s7 src0_sel:BYTE_0 src1_sel:DWORD
	v_mov_b32_e32 v20, 0xffff8000
	s_and_saveexec_b64 s[10:11], s[12:13]
	s_cbranch_execz .LBB834_406
; %bb.403:
	s_movk_i32 s7, 0x7f
	v_and_b32_e32 v18, 0x7f, v14
	v_cmp_ne_u32_e32 vcc, s7, v18
	v_mov_b32_e32 v20, 0x7f80
	s_and_saveexec_b64 s[12:13], vcc
	s_cbranch_execz .LBB834_405
; %bb.404:
	v_and_b32_e32 v22, 7, v14
	v_ffbh_u32_e32 v20, v22
	v_min_u32_e32 v24, 32, v20
	v_subrev_u32_e32 v20, 28, v24
	v_lshlrev_b64 v[20:21], v20, v[14:15]
	v_lshrrev_b32_e32 v23, 3, v18
	v_sub_u32_e32 v21, 29, v24
	v_and_b32_e32 v20, 7, v20
	v_cmp_gt_u32_e32 vcc, 8, v18
	v_cndmask_b32_e32 v18, v23, v21, vcc
	v_cndmask_b32_e32 v20, v22, v20, vcc
	v_lshlrev_b32_e32 v21, 24, v14
	v_bfrev_b32_e32 v22, 60
	v_lshlrev_b32_e32 v20, 20, v20
	v_and_b32_e32 v21, 0x80000000, v21
	v_lshl_add_u32 v18, v18, 23, v22
	v_or3_b32 v18, v21, v18, v20
	v_lshrrev_b32_e32 v20, 16, v18
.LBB834_405:
	s_or_b64 exec, exec, s[12:13]
.LBB834_406:
	s_or_b64 exec, exec, s[10:11]
.LBB834_407:
	s_or_b64 exec, exec, s[8:9]
	v_lshrrev_b16_e32 v18, 8, v14
	v_cmp_ne_u16_e32 vcc, 0, v18
	s_and_saveexec_b64 s[8:9], vcc
	s_cbranch_execz .LBB834_413
; %bb.408:
	s_movk_i32 s7, 0x80
	v_cmp_ne_u16_e32 vcc, s7, v18
	v_mov_b32_e32 v19, 0xffff8000
	s_and_saveexec_b64 s[10:11], vcc
	s_cbranch_execz .LBB834_412
; %bb.409:
	s_movk_i32 s7, 0x7f
	v_and_b32_e32 v21, 0x7f, v18
	v_cmp_ne_u32_e32 vcc, s7, v21
	v_mov_b32_e32 v19, 0x7f80
	s_and_saveexec_b64 s[12:13], vcc
	s_cbranch_execz .LBB834_411
; %bb.410:
	v_and_b32_e32 v22, 7, v18
	v_ffbh_u32_e32 v19, v22
	v_min_u32_e32 v24, 32, v19
	v_subrev_u32_e32 v19, 28, v24
	v_lshlrev_b64 v[18:19], v19, v[18:19]
	v_lshrrev_b32_e32 v23, 3, v21
	v_sub_u32_e32 v19, 29, v24
	v_and_b32_e32 v18, 7, v18
	v_cmp_gt_u32_e32 vcc, 8, v21
	v_cndmask_b32_e32 v19, v23, v19, vcc
	v_cndmask_b32_e32 v18, v22, v18, vcc
	v_lshlrev_b32_e32 v21, 16, v14
	v_bfrev_b32_e32 v22, 60
	v_lshlrev_b32_e32 v18, 20, v18
	v_and_b32_e32 v21, 0x80000000, v21
	v_lshl_add_u32 v19, v19, 23, v22
	v_or3_b32 v18, v21, v19, v18
	v_lshrrev_b32_e32 v19, 16, v18
.LBB834_411:
	s_or_b64 exec, exec, s[12:13]
.LBB834_412:
	s_or_b64 exec, exec, s[10:11]
.LBB834_413:
	s_or_b64 exec, exec, s[8:9]
	s_movk_i32 s7, 0xff
	v_and_b32_sdwa v23, v14, s7 dst_sel:DWORD dst_unused:UNUSED_PAD src0_sel:WORD_1 src1_sel:DWORD
	v_lshrrev_b32_e32 v18, 16, v14
	v_cmp_ne_u16_e32 vcc, 0, v23
	v_mov_b32_e32 v21, 0
	v_mov_b32_e32 v22, 0
	s_and_saveexec_b64 s[8:9], vcc
	s_cbranch_execz .LBB834_419
; %bb.414:
	s_movk_i32 s7, 0x80
	v_cmp_ne_u16_e32 vcc, s7, v23
	v_mov_b32_e32 v22, 0xffff8000
	s_and_saveexec_b64 s[10:11], vcc
	s_cbranch_execz .LBB834_418
; %bb.415:
	v_bfe_u32 v23, v14, 16, 7
	s_movk_i32 s7, 0x7f
	v_cmp_ne_u32_e32 vcc, s7, v23
	v_mov_b32_e32 v22, 0x7f80
	s_and_saveexec_b64 s[12:13], vcc
	s_cbranch_execz .LBB834_417
; %bb.416:
	v_and_b32_e32 v22, 7, v18
	v_ffbh_u32_e32 v24, v22
	v_min_u32_e32 v29, 32, v24
	v_subrev_u32_e32 v24, 28, v29
	v_lshlrev_b64 v[24:25], v24, v[18:19]
	v_lshrrev_b32_e32 v28, 3, v23
	v_sub_u32_e32 v18, 29, v29
	v_and_b32_e32 v24, 7, v24
	v_cmp_gt_u32_e32 vcc, 8, v23
	v_mov_b32_e32 v23, 24
	v_cndmask_b32_e32 v18, v28, v18, vcc
	v_cndmask_b32_e32 v22, v22, v24, vcc
	v_lshlrev_b32_sdwa v23, v23, v14 dst_sel:DWORD dst_unused:UNUSED_PAD src0_sel:DWORD src1_sel:WORD_1
	v_bfrev_b32_e32 v24, 60
	v_lshlrev_b32_e32 v22, 20, v22
	v_and_b32_e32 v23, 0x80000000, v23
	v_lshl_add_u32 v18, v18, 23, v24
	v_or3_b32 v18, v23, v18, v22
	v_lshrrev_b32_e32 v22, 16, v18
.LBB834_417:
	s_or_b64 exec, exec, s[12:13]
.LBB834_418:
	s_or_b64 exec, exec, s[10:11]
.LBB834_419:
	s_or_b64 exec, exec, s[8:9]
	s_mov_b32 s7, 0xffffff
	v_cmp_lt_u32_e32 vcc, s7, v14
	s_and_saveexec_b64 s[8:9], vcc
	s_cbranch_execz .LBB834_425
; %bb.420:
	v_lshrrev_b32_e32 v18, 24, v14
	s_movk_i32 s7, 0x80
	v_cmp_ne_u32_e32 vcc, s7, v18
	v_mov_b32_e32 v21, 0xffff8000
	s_and_saveexec_b64 s[10:11], vcc
	s_cbranch_execz .LBB834_424
; %bb.421:
	v_bfe_u32 v14, v14, 24, 7
	s_movk_i32 s7, 0x7f
	v_cmp_ne_u32_e32 vcc, s7, v14
	v_mov_b32_e32 v21, 0x7f80
	s_and_saveexec_b64 s[12:13], vcc
	s_cbranch_execz .LBB834_423
; %bb.422:
	v_and_b32_e32 v21, 7, v18
	v_ffbh_u32_e32 v24, v21
	v_min_u32_e32 v28, 32, v24
	v_subrev_u32_e32 v24, 28, v28
	v_lshlrev_b64 v[24:25], v24, v[18:19]
	v_lshrrev_b32_e32 v23, 3, v14
	v_sub_u32_e32 v25, 29, v28
	v_and_b32_e32 v24, 7, v24
	v_cmp_gt_u32_e32 vcc, 8, v14
	v_cndmask_b32_e32 v14, v23, v25, vcc
	v_cndmask_b32_e32 v21, v21, v24, vcc
	v_lshlrev_b32_e32 v18, 24, v18
	v_bfrev_b32_e32 v23, 60
	v_lshlrev_b32_e32 v21, 20, v21
	v_and_b32_e32 v18, 0x80000000, v18
	v_lshl_add_u32 v14, v14, 23, v23
	v_or3_b32 v14, v18, v14, v21
	v_lshrrev_b32_e32 v21, 16, v14
.LBB834_423:
	s_or_b64 exec, exec, s[12:13]
.LBB834_424:
	s_or_b64 exec, exec, s[10:11]
.LBB834_425:
	s_or_b64 exec, exec, s[8:9]
	v_mov_b32_e32 v18, 0
	v_cmp_ne_u16_sdwa s[10:11], v15, v18 src0_sel:BYTE_0 src1_sel:DWORD
	v_mov_b32_e32 v23, 0
	s_and_saveexec_b64 s[8:9], s[10:11]
	s_cbranch_execz .LBB834_431
; %bb.426:
	s_movk_i32 s7, 0x80
	v_cmp_ne_u16_sdwa s[12:13], v15, s7 src0_sel:BYTE_0 src1_sel:DWORD
	v_mov_b32_e32 v23, 0xffff8000
	s_and_saveexec_b64 s[10:11], s[12:13]
	s_cbranch_execz .LBB834_430
; %bb.427:
	s_movk_i32 s7, 0x7f
	v_and_b32_e32 v14, 0x7f, v15
	v_cmp_ne_u32_e32 vcc, s7, v14
	v_mov_b32_e32 v23, 0x7f80
	s_and_saveexec_b64 s[12:13], vcc
	s_cbranch_execz .LBB834_429
; %bb.428:
	v_and_b32_e32 v23, 7, v15
	v_ffbh_u32_e32 v25, v23
	v_min_u32_e32 v29, 32, v25
	v_mov_b32_e32 v24, v15
	v_subrev_u32_e32 v25, 28, v29
	v_lshlrev_b64 v[24:25], v25, v[24:25]
	v_lshrrev_b32_e32 v28, 3, v14
	v_sub_u32_e32 v25, 29, v29
	v_and_b32_e32 v24, 7, v24
	v_cmp_gt_u32_e32 vcc, 8, v14
	v_cndmask_b32_e32 v14, v28, v25, vcc
	v_cndmask_b32_e32 v23, v23, v24, vcc
	v_lshlrev_b32_e32 v24, 24, v15
	v_bfrev_b32_e32 v25, 60
	v_lshlrev_b32_e32 v23, 20, v23
	v_and_b32_e32 v24, 0x80000000, v24
	v_lshl_add_u32 v14, v14, 23, v25
	v_or3_b32 v14, v24, v14, v23
	v_lshrrev_b32_e32 v23, 16, v14
.LBB834_429:
	s_or_b64 exec, exec, s[12:13]
.LBB834_430:
	s_or_b64 exec, exec, s[10:11]
.LBB834_431:
	s_or_b64 exec, exec, s[8:9]
	v_lshrrev_b16_e32 v14, 8, v15
	v_cmp_ne_u16_e32 vcc, 0, v14
	s_and_saveexec_b64 s[8:9], vcc
	s_cbranch_execz .LBB834_437
; %bb.432:
	s_movk_i32 s7, 0x80
	v_cmp_ne_u16_e32 vcc, s7, v14
	v_mov_b32_e32 v18, 0xffff8000
	s_and_saveexec_b64 s[10:11], vcc
	s_cbranch_execz .LBB834_436
; %bb.433:
	s_movk_i32 s7, 0x7f
	v_and_b32_e32 v24, 0x7f, v14
	v_cmp_ne_u32_e32 vcc, s7, v24
	v_mov_b32_e32 v18, 0x7f80
	s_and_saveexec_b64 s[12:13], vcc
	s_cbranch_execz .LBB834_435
; %bb.434:
	v_and_b32_e32 v18, 7, v14
	v_ffbh_u32_e32 v28, v18
	v_min_u32_e32 v30, 32, v28
	v_subrev_u32_e32 v28, 28, v30
	v_lshlrev_b64 v[28:29], v28, v[14:15]
	v_lshrrev_b32_e32 v25, 3, v24
	v_sub_u32_e32 v14, 29, v30
	v_and_b32_e32 v28, 7, v28
	v_cmp_gt_u32_e32 vcc, 8, v24
	v_cndmask_b32_e32 v14, v25, v14, vcc
	v_cndmask_b32_e32 v18, v18, v28, vcc
	v_lshlrev_b32_e32 v24, 16, v15
	v_bfrev_b32_e32 v25, 60
	v_lshlrev_b32_e32 v18, 20, v18
	v_and_b32_e32 v24, 0x80000000, v24
	v_lshl_add_u32 v14, v14, 23, v25
	v_or3_b32 v14, v24, v14, v18
	v_lshrrev_b32_e32 v18, 16, v14
.LBB834_435:
	s_or_b64 exec, exec, s[12:13]
.LBB834_436:
	s_or_b64 exec, exec, s[10:11]
.LBB834_437:
	s_or_b64 exec, exec, s[8:9]
	s_movk_i32 s7, 0xff
	v_and_b32_sdwa v28, v15, s7 dst_sel:DWORD dst_unused:UNUSED_PAD src0_sel:WORD_1 src1_sel:DWORD
	v_lshrrev_b32_e32 v14, 16, v15
	v_cmp_ne_u16_e32 vcc, 0, v28
	v_mov_b32_e32 v24, 0
	v_mov_b32_e32 v25, 0
	s_and_saveexec_b64 s[8:9], vcc
	s_cbranch_execz .LBB834_443
; %bb.438:
	s_movk_i32 s7, 0x80
	v_cmp_ne_u16_e32 vcc, s7, v28
	v_mov_b32_e32 v25, 0xffff8000
	s_and_saveexec_b64 s[10:11], vcc
	s_cbranch_execz .LBB834_442
; %bb.439:
	v_bfe_u32 v28, v15, 16, 7
	s_movk_i32 s7, 0x7f
	v_cmp_ne_u32_e32 vcc, s7, v28
	v_mov_b32_e32 v25, 0x7f80
	s_and_saveexec_b64 s[12:13], vcc
	s_cbranch_execz .LBB834_441
; %bb.440:
	v_and_b32_e32 v25, 7, v14
	v_ffbh_u32_e32 v30, v25
	v_min_u32_e32 v32, 32, v30
	v_subrev_u32_e32 v30, 28, v32
	v_lshlrev_b64 v[30:31], v30, v[14:15]
	v_lshrrev_b32_e32 v29, 3, v28
	v_sub_u32_e32 v14, 29, v32
	v_and_b32_e32 v30, 7, v30
	v_cmp_gt_u32_e32 vcc, 8, v28
	v_mov_b32_e32 v28, 24
	v_cndmask_b32_e32 v14, v29, v14, vcc
	v_cndmask_b32_e32 v25, v25, v30, vcc
	v_lshlrev_b32_sdwa v28, v28, v15 dst_sel:DWORD dst_unused:UNUSED_PAD src0_sel:DWORD src1_sel:WORD_1
	v_bfrev_b32_e32 v29, 60
	v_lshlrev_b32_e32 v25, 20, v25
	v_and_b32_e32 v28, 0x80000000, v28
	v_lshl_add_u32 v14, v14, 23, v29
	v_or3_b32 v14, v28, v14, v25
	v_lshrrev_b32_e32 v25, 16, v14
.LBB834_441:
	s_or_b64 exec, exec, s[12:13]
.LBB834_442:
	s_or_b64 exec, exec, s[10:11]
.LBB834_443:
	s_or_b64 exec, exec, s[8:9]
	s_mov_b32 s7, 0xffffff
	v_cmp_lt_u32_e32 vcc, s7, v15
	s_and_saveexec_b64 s[8:9], vcc
	s_cbranch_execz .LBB834_449
; %bb.444:
	v_lshrrev_b32_e32 v14, 24, v15
	s_movk_i32 s7, 0x80
	v_cmp_ne_u32_e32 vcc, s7, v14
	v_mov_b32_e32 v24, 0xffff8000
	s_and_saveexec_b64 s[10:11], vcc
	s_cbranch_execz .LBB834_448
; %bb.445:
	v_bfe_u32 v15, v15, 24, 7
	s_movk_i32 s7, 0x7f
	v_cmp_ne_u32_e32 vcc, s7, v15
	v_mov_b32_e32 v24, 0x7f80
	s_and_saveexec_b64 s[12:13], vcc
	s_cbranch_execz .LBB834_447
; %bb.446:
	v_and_b32_e32 v24, 7, v14
	v_ffbh_u32_e32 v28, v24
	v_min_u32_e32 v31, 32, v28
	v_subrev_u32_e32 v28, 28, v31
	v_lshlrev_b64 v[28:29], v28, v[14:15]
	v_lshrrev_b32_e32 v30, 3, v15
	v_sub_u32_e32 v29, 29, v31
	v_and_b32_e32 v28, 7, v28
	v_cmp_gt_u32_e32 vcc, 8, v15
	v_cndmask_b32_e32 v15, v30, v29, vcc
	v_cndmask_b32_e32 v24, v24, v28, vcc
	v_lshlrev_b32_e32 v14, 24, v14
	v_bfrev_b32_e32 v28, 60
	v_lshlrev_b32_e32 v24, 20, v24
	v_and_b32_e32 v14, 0x80000000, v14
	v_lshl_add_u32 v15, v15, 23, v28
	v_or3_b32 v14, v14, v15, v24
	v_lshrrev_b32_e32 v24, 16, v14
.LBB834_447:
	s_or_b64 exec, exec, s[12:13]
.LBB834_448:
	s_or_b64 exec, exec, s[10:11]
.LBB834_449:
	s_or_b64 exec, exec, s[8:9]
	s_mov_b32 s7, 0x5040100
	v_perm_b32 v15, v21, v22, s7
	v_lshl_or_b32 v22, v1, 9, v27
	v_perm_b32 v14, v19, v20, s7
	ds_read_b128 v[28:31], v22
	v_perm_b32 v19, v24, v25, s7
	v_perm_b32 v18, v18, v23, s7
	s_waitcnt lgkmcnt(0)
	v_mfma_f32_16x16x16bf16_1k v[32:35], v[14:15], v[28:29], 0
	v_mov_b32_e32 v15, 0
	v_cmp_ne_u16_sdwa s[10:11], v16, v15 src0_sel:BYTE_0 src1_sel:DWORD
	v_mov_b32_e32 v23, 0
	v_mfma_f32_16x16x16bf16_1k v[18:21], v[18:19], v[30:31], v[32:35]
	s_and_saveexec_b64 s[8:9], s[10:11]
	s_cbranch_execz .LBB834_455
; %bb.450:
	s_movk_i32 s7, 0x80
	v_cmp_ne_u16_sdwa s[12:13], v16, s7 src0_sel:BYTE_0 src1_sel:DWORD
	v_mov_b32_e32 v23, 0xffff8000
	s_and_saveexec_b64 s[10:11], s[12:13]
	s_cbranch_execz .LBB834_454
; %bb.451:
	s_movk_i32 s7, 0x7f
	v_and_b32_e32 v14, 0x7f, v16
	v_cmp_ne_u32_e32 vcc, s7, v14
	v_mov_b32_e32 v23, 0x7f80
	s_and_saveexec_b64 s[12:13], vcc
	s_cbranch_execz .LBB834_453
; %bb.452:
	v_and_b32_e32 v23, 7, v16
	v_ffbh_u32_e32 v24, v23
	v_min_u32_e32 v28, 32, v24
	v_subrev_u32_e32 v24, 28, v28
	v_lshlrev_b64 v[24:25], v24, v[16:17]
	v_lshrrev_b32_e32 v27, 3, v14
	v_sub_u32_e32 v25, 29, v28
	v_and_b32_e32 v24, 7, v24
	v_cmp_gt_u32_e32 vcc, 8, v14
	v_cndmask_b32_e32 v14, v27, v25, vcc
	v_cndmask_b32_e32 v23, v23, v24, vcc
	v_lshlrev_b32_e32 v24, 24, v16
	v_bfrev_b32_e32 v25, 60
	v_lshlrev_b32_e32 v23, 20, v23
	v_and_b32_e32 v24, 0x80000000, v24
	v_lshl_add_u32 v14, v14, 23, v25
	v_or3_b32 v14, v24, v14, v23
	v_lshrrev_b32_e32 v23, 16, v14
.LBB834_453:
	s_or_b64 exec, exec, s[12:13]
.LBB834_454:
	s_or_b64 exec, exec, s[10:11]
.LBB834_455:
	s_or_b64 exec, exec, s[8:9]
	v_lshrrev_b16_e32 v14, 8, v16
	v_cmp_ne_u16_e32 vcc, 0, v14
	s_and_saveexec_b64 s[8:9], vcc
	s_cbranch_execz .LBB834_461
; %bb.456:
	s_movk_i32 s7, 0x80
	v_cmp_ne_u16_e32 vcc, s7, v14
	v_mov_b32_e32 v15, 0xffff8000
	s_and_saveexec_b64 s[10:11], vcc
	s_cbranch_execz .LBB834_460
; %bb.457:
	s_movk_i32 s7, 0x7f
	v_and_b32_e32 v24, 0x7f, v14
	v_cmp_ne_u32_e32 vcc, s7, v24
	v_mov_b32_e32 v15, 0x7f80
	s_and_saveexec_b64 s[12:13], vcc
	s_cbranch_execz .LBB834_459
; %bb.458:
	v_and_b32_e32 v25, 7, v14
	v_ffbh_u32_e32 v15, v25
	v_min_u32_e32 v28, 32, v15
	v_subrev_u32_e32 v15, 28, v28
	v_lshlrev_b64 v[14:15], v15, v[14:15]
	v_lshrrev_b32_e32 v27, 3, v24
	v_sub_u32_e32 v15, 29, v28
	v_and_b32_e32 v14, 7, v14
	v_cmp_gt_u32_e32 vcc, 8, v24
	v_cndmask_b32_e32 v15, v27, v15, vcc
	v_cndmask_b32_e32 v14, v25, v14, vcc
	v_lshlrev_b32_e32 v24, 16, v16
	v_bfrev_b32_e32 v25, 60
	v_lshlrev_b32_e32 v14, 20, v14
	v_and_b32_e32 v24, 0x80000000, v24
	v_lshl_add_u32 v15, v15, 23, v25
	v_or3_b32 v14, v24, v15, v14
	v_lshrrev_b32_e32 v15, 16, v14
.LBB834_459:
	s_or_b64 exec, exec, s[12:13]
.LBB834_460:
	s_or_b64 exec, exec, s[10:11]
.LBB834_461:
	s_or_b64 exec, exec, s[8:9]
	s_movk_i32 s7, 0xff
	v_and_b32_sdwa v27, v16, s7 dst_sel:DWORD dst_unused:UNUSED_PAD src0_sel:WORD_1 src1_sel:DWORD
	v_lshrrev_b32_e32 v14, 16, v16
	v_cmp_ne_u16_e32 vcc, 0, v27
	v_mov_b32_e32 v24, 0
	v_mov_b32_e32 v25, 0
	s_and_saveexec_b64 s[8:9], vcc
	s_cbranch_execz .LBB834_467
; %bb.462:
	s_movk_i32 s7, 0x80
	v_cmp_ne_u16_e32 vcc, s7, v27
	v_mov_b32_e32 v25, 0xffff8000
	s_and_saveexec_b64 s[10:11], vcc
	s_cbranch_execz .LBB834_466
; %bb.463:
	v_bfe_u32 v27, v16, 16, 7
	s_movk_i32 s7, 0x7f
	v_cmp_ne_u32_e32 vcc, s7, v27
	v_mov_b32_e32 v25, 0x7f80
	s_and_saveexec_b64 s[12:13], vcc
	s_cbranch_execz .LBB834_465
; %bb.464:
	v_and_b32_e32 v25, 7, v14
	v_ffbh_u32_e32 v28, v25
	v_min_u32_e32 v31, 32, v28
	v_subrev_u32_e32 v28, 28, v31
	v_lshlrev_b64 v[28:29], v28, v[14:15]
	v_lshrrev_b32_e32 v30, 3, v27
	v_sub_u32_e32 v14, 29, v31
	v_and_b32_e32 v28, 7, v28
	v_cmp_gt_u32_e32 vcc, 8, v27
	v_mov_b32_e32 v27, 24
	v_cndmask_b32_e32 v14, v30, v14, vcc
	v_cndmask_b32_e32 v25, v25, v28, vcc
	v_lshlrev_b32_sdwa v27, v27, v16 dst_sel:DWORD dst_unused:UNUSED_PAD src0_sel:DWORD src1_sel:WORD_1
	v_bfrev_b32_e32 v28, 60
	v_lshlrev_b32_e32 v25, 20, v25
	v_and_b32_e32 v27, 0x80000000, v27
	v_lshl_add_u32 v14, v14, 23, v28
	v_or3_b32 v14, v27, v14, v25
	v_lshrrev_b32_e32 v25, 16, v14
.LBB834_465:
	s_or_b64 exec, exec, s[12:13]
.LBB834_466:
	s_or_b64 exec, exec, s[10:11]
.LBB834_467:
	s_or_b64 exec, exec, s[8:9]
	s_mov_b32 s7, 0xffffff
	v_cmp_lt_u32_e32 vcc, s7, v16
	s_and_saveexec_b64 s[8:9], vcc
	s_cbranch_execz .LBB834_473
; %bb.468:
	v_lshrrev_b32_e32 v14, 24, v16
	s_movk_i32 s7, 0x80
	v_cmp_ne_u32_e32 vcc, s7, v14
	v_mov_b32_e32 v24, 0xffff8000
	s_and_saveexec_b64 s[10:11], vcc
	s_cbranch_execz .LBB834_472
; %bb.469:
	v_bfe_u32 v16, v16, 24, 7
	s_movk_i32 s7, 0x7f
	v_cmp_ne_u32_e32 vcc, s7, v16
	v_mov_b32_e32 v24, 0x7f80
	s_and_saveexec_b64 s[12:13], vcc
	s_cbranch_execz .LBB834_471
; %bb.470:
	v_and_b32_e32 v24, 7, v14
	v_ffbh_u32_e32 v28, v24
	v_min_u32_e32 v30, 32, v28
	v_subrev_u32_e32 v28, 28, v30
	v_lshlrev_b64 v[28:29], v28, v[14:15]
	v_lshrrev_b32_e32 v27, 3, v16
	v_sub_u32_e32 v29, 29, v30
	v_and_b32_e32 v28, 7, v28
	v_cmp_gt_u32_e32 vcc, 8, v16
	v_cndmask_b32_e32 v16, v27, v29, vcc
	v_cndmask_b32_e32 v24, v24, v28, vcc
	v_lshlrev_b32_e32 v14, 24, v14
	v_bfrev_b32_e32 v27, 60
	v_lshlrev_b32_e32 v24, 20, v24
	v_and_b32_e32 v14, 0x80000000, v14
	v_lshl_add_u32 v16, v16, 23, v27
	v_or3_b32 v14, v14, v16, v24
	v_lshrrev_b32_e32 v24, 16, v14
.LBB834_471:
	s_or_b64 exec, exec, s[12:13]
.LBB834_472:
	s_or_b64 exec, exec, s[10:11]
.LBB834_473:
	s_or_b64 exec, exec, s[8:9]
	v_mov_b32_e32 v16, 0
	v_cmp_ne_u16_sdwa s[10:11], v17, v16 src0_sel:BYTE_0 src1_sel:DWORD
	v_mov_b32_e32 v27, 0
	s_and_saveexec_b64 s[8:9], s[10:11]
	s_cbranch_execz .LBB834_479
; %bb.474:
	s_movk_i32 s7, 0x80
	v_cmp_ne_u16_sdwa s[12:13], v17, s7 src0_sel:BYTE_0 src1_sel:DWORD
	v_mov_b32_e32 v27, 0xffff8000
	s_and_saveexec_b64 s[10:11], s[12:13]
	s_cbranch_execz .LBB834_478
; %bb.475:
	s_movk_i32 s7, 0x7f
	v_and_b32_e32 v14, 0x7f, v17
	v_cmp_ne_u32_e32 vcc, s7, v14
	v_mov_b32_e32 v27, 0x7f80
	s_and_saveexec_b64 s[12:13], vcc
	s_cbranch_execz .LBB834_477
; %bb.476:
	v_and_b32_e32 v27, 7, v17
	v_ffbh_u32_e32 v29, v27
	v_min_u32_e32 v31, 32, v29
	v_mov_b32_e32 v28, v17
	v_subrev_u32_e32 v29, 28, v31
	v_lshlrev_b64 v[28:29], v29, v[28:29]
	v_lshrrev_b32_e32 v30, 3, v14
	v_sub_u32_e32 v29, 29, v31
	v_and_b32_e32 v28, 7, v28
	v_cmp_gt_u32_e32 vcc, 8, v14
	v_cndmask_b32_e32 v14, v30, v29, vcc
	v_cndmask_b32_e32 v27, v27, v28, vcc
	v_lshlrev_b32_e32 v28, 24, v17
	v_bfrev_b32_e32 v29, 60
	v_lshlrev_b32_e32 v27, 20, v27
	v_and_b32_e32 v28, 0x80000000, v28
	v_lshl_add_u32 v14, v14, 23, v29
	v_or3_b32 v14, v28, v14, v27
	v_lshrrev_b32_e32 v27, 16, v14
.LBB834_477:
	s_or_b64 exec, exec, s[12:13]
.LBB834_478:
	s_or_b64 exec, exec, s[10:11]
.LBB834_479:
	s_or_b64 exec, exec, s[8:9]
	v_lshrrev_b16_e32 v14, 8, v17
	v_cmp_ne_u16_e32 vcc, 0, v14
	s_and_saveexec_b64 s[8:9], vcc
	s_cbranch_execz .LBB834_485
; %bb.480:
	s_movk_i32 s7, 0x80
	v_cmp_ne_u16_e32 vcc, s7, v14
	v_mov_b32_e32 v16, 0xffff8000
	s_and_saveexec_b64 s[10:11], vcc
	s_cbranch_execz .LBB834_484
; %bb.481:
	s_movk_i32 s7, 0x7f
	v_and_b32_e32 v28, 0x7f, v14
	v_cmp_ne_u32_e32 vcc, s7, v28
	v_mov_b32_e32 v16, 0x7f80
	s_and_saveexec_b64 s[12:13], vcc
	s_cbranch_execz .LBB834_483
; %bb.482:
	v_and_b32_e32 v16, 7, v14
	v_ffbh_u32_e32 v30, v16
	v_min_u32_e32 v32, 32, v30
	v_subrev_u32_e32 v30, 28, v32
	v_lshlrev_b64 v[30:31], v30, v[14:15]
	v_lshrrev_b32_e32 v29, 3, v28
	v_sub_u32_e32 v14, 29, v32
	v_and_b32_e32 v30, 7, v30
	v_cmp_gt_u32_e32 vcc, 8, v28
	v_cndmask_b32_e32 v14, v29, v14, vcc
	v_cndmask_b32_e32 v16, v16, v30, vcc
	v_lshlrev_b32_e32 v28, 16, v17
	v_bfrev_b32_e32 v29, 60
	v_lshlrev_b32_e32 v16, 20, v16
	v_and_b32_e32 v28, 0x80000000, v28
	v_lshl_add_u32 v14, v14, 23, v29
	v_or3_b32 v14, v28, v14, v16
	v_lshrrev_b32_e32 v16, 16, v14
.LBB834_483:
	s_or_b64 exec, exec, s[12:13]
.LBB834_484:
	s_or_b64 exec, exec, s[10:11]
.LBB834_485:
	s_or_b64 exec, exec, s[8:9]
	s_movk_i32 s7, 0xff
	v_and_b32_sdwa v30, v17, s7 dst_sel:DWORD dst_unused:UNUSED_PAD src0_sel:WORD_1 src1_sel:DWORD
	v_lshrrev_b32_e32 v14, 16, v17
	v_cmp_ne_u16_e32 vcc, 0, v30
	v_mov_b32_e32 v28, 0
	v_mov_b32_e32 v29, 0
	s_and_saveexec_b64 s[8:9], vcc
	s_cbranch_execz .LBB834_491
; %bb.486:
	s_movk_i32 s7, 0x80
	v_cmp_ne_u16_e32 vcc, s7, v30
	v_mov_b32_e32 v29, 0xffff8000
	s_and_saveexec_b64 s[10:11], vcc
	s_cbranch_execz .LBB834_490
; %bb.487:
	v_bfe_u32 v30, v17, 16, 7
	s_movk_i32 s7, 0x7f
	v_cmp_ne_u32_e32 vcc, s7, v30
	v_mov_b32_e32 v29, 0x7f80
	s_and_saveexec_b64 s[12:13], vcc
	s_cbranch_execz .LBB834_489
; %bb.488:
	v_and_b32_e32 v29, 7, v14
	v_ffbh_u32_e32 v32, v29
	v_min_u32_e32 v34, 32, v32
	v_subrev_u32_e32 v32, 28, v34
	v_lshlrev_b64 v[32:33], v32, v[14:15]
	v_lshrrev_b32_e32 v31, 3, v30
	v_sub_u32_e32 v14, 29, v34
	v_and_b32_e32 v32, 7, v32
	v_cmp_gt_u32_e32 vcc, 8, v30
	v_mov_b32_e32 v30, 24
	v_cndmask_b32_e32 v14, v31, v14, vcc
	v_cndmask_b32_e32 v29, v29, v32, vcc
	v_lshlrev_b32_sdwa v30, v30, v17 dst_sel:DWORD dst_unused:UNUSED_PAD src0_sel:DWORD src1_sel:WORD_1
	v_bfrev_b32_e32 v31, 60
	v_lshlrev_b32_e32 v29, 20, v29
	v_and_b32_e32 v30, 0x80000000, v30
	v_lshl_add_u32 v14, v14, 23, v31
	v_or3_b32 v14, v30, v14, v29
	v_lshrrev_b32_e32 v29, 16, v14
.LBB834_489:
	s_or_b64 exec, exec, s[12:13]
.LBB834_490:
	s_or_b64 exec, exec, s[10:11]
.LBB834_491:
	s_or_b64 exec, exec, s[8:9]
	s_mov_b32 s7, 0xffffff
	v_cmp_lt_u32_e32 vcc, s7, v17
	s_and_saveexec_b64 s[8:9], vcc
	s_cbranch_execz .LBB834_497
; %bb.492:
	v_lshrrev_b32_e32 v14, 24, v17
	s_movk_i32 s7, 0x80
	v_cmp_ne_u32_e32 vcc, s7, v14
	v_mov_b32_e32 v28, 0xffff8000
	s_and_saveexec_b64 s[10:11], vcc
	s_cbranch_execz .LBB834_496
; %bb.493:
	v_bfe_u32 v17, v17, 24, 7
	s_movk_i32 s7, 0x7f
	v_cmp_ne_u32_e32 vcc, s7, v17
	v_mov_b32_e32 v28, 0x7f80
	s_and_saveexec_b64 s[12:13], vcc
	s_cbranch_execz .LBB834_495
; %bb.494:
	v_and_b32_e32 v28, 7, v14
	v_ffbh_u32_e32 v30, v28
	v_min_u32_e32 v33, 32, v30
	v_subrev_u32_e32 v30, 28, v33
	v_lshlrev_b64 v[30:31], v30, v[14:15]
	v_lshrrev_b32_e32 v32, 3, v17
	v_sub_u32_e32 v31, 29, v33
	v_and_b32_e32 v30, 7, v30
	v_cmp_gt_u32_e32 vcc, 8, v17
	v_cndmask_b32_e32 v17, v32, v31, vcc
	v_cndmask_b32_e32 v28, v28, v30, vcc
	v_lshlrev_b32_e32 v14, 24, v14
	v_bfrev_b32_e32 v30, 60
	v_lshlrev_b32_e32 v28, 20, v28
	v_and_b32_e32 v14, 0x80000000, v14
	v_lshl_add_u32 v17, v17, 23, v30
	v_or3_b32 v14, v14, v17, v28
	v_lshrrev_b32_e32 v28, 16, v14
.LBB834_495:
	s_or_b64 exec, exec, s[12:13]
.LBB834_496:
	s_or_b64 exec, exec, s[10:11]
.LBB834_497:
	s_or_b64 exec, exec, s[8:9]
	s_mov_b32 s7, 0x5040100
	v_perm_b32 v25, v24, v25, s7
	v_perm_b32 v24, v15, v23, s7
	ds_read_b128 v[30:33], v22 offset:16
	v_perm_b32 v15, v28, v29, s7
	v_perm_b32 v14, v16, v27, s7
	s_waitcnt lgkmcnt(0)
	v_mfma_f32_16x16x16bf16_1k v[34:37], v[24:25], v[30:31], v[18:21]
	s_nop 6
	v_mov_b32_e32 v19, 0
	s_waitcnt vmcnt(2)
	v_cmp_ne_u16_sdwa s[10:11], v10, v19 src0_sel:BYTE_0 src1_sel:DWORD
	v_mfma_f32_16x16x16bf16_1k v[14:17], v[14:15], v[32:33], v[34:37]
	v_mov_b32_e32 v20, 0
	s_and_saveexec_b64 s[8:9], s[10:11]
	s_cbranch_execz .LBB834_503
; %bb.498:
	s_movk_i32 s7, 0x80
	v_cmp_ne_u16_sdwa s[12:13], v10, s7 src0_sel:BYTE_0 src1_sel:DWORD
	v_mov_b32_e32 v20, 0xffff8000
	s_and_saveexec_b64 s[10:11], s[12:13]
	s_cbranch_execz .LBB834_502
; %bb.499:
	s_movk_i32 s7, 0x7f
	v_and_b32_e32 v18, 0x7f, v10
	v_cmp_ne_u32_e32 vcc, s7, v18
	v_mov_b32_e32 v20, 0x7f80
	s_and_saveexec_b64 s[12:13], vcc
	s_cbranch_execz .LBB834_501
; %bb.500:
	v_and_b32_e32 v23, 7, v10
	v_ffbh_u32_e32 v20, v23
	v_min_u32_e32 v25, 32, v20
	v_subrev_u32_e32 v20, 28, v25
	v_lshlrev_b64 v[20:21], v20, v[10:11]
	v_lshrrev_b32_e32 v24, 3, v18
	v_sub_u32_e32 v21, 29, v25
	v_and_b32_e32 v20, 7, v20
	v_cmp_gt_u32_e32 vcc, 8, v18
	v_cndmask_b32_e32 v18, v24, v21, vcc
	v_cndmask_b32_e32 v20, v23, v20, vcc
	v_lshlrev_b32_e32 v21, 24, v10
	v_bfrev_b32_e32 v23, 60
	v_lshlrev_b32_e32 v20, 20, v20
	v_and_b32_e32 v21, 0x80000000, v21
	v_lshl_add_u32 v18, v18, 23, v23
	v_or3_b32 v18, v21, v18, v20
	v_lshrrev_b32_e32 v20, 16, v18
.LBB834_501:
	s_or_b64 exec, exec, s[12:13]
.LBB834_502:
	s_or_b64 exec, exec, s[10:11]
.LBB834_503:
	s_or_b64 exec, exec, s[8:9]
	v_lshrrev_b16_e32 v18, 8, v10
	v_cmp_ne_u16_e32 vcc, 0, v18
	s_and_saveexec_b64 s[8:9], vcc
	s_cbranch_execz .LBB834_509
; %bb.504:
	s_movk_i32 s7, 0x80
	v_cmp_ne_u16_e32 vcc, s7, v18
	v_mov_b32_e32 v19, 0xffff8000
	s_and_saveexec_b64 s[10:11], vcc
	s_cbranch_execz .LBB834_508
; %bb.505:
	s_movk_i32 s7, 0x7f
	v_and_b32_e32 v21, 0x7f, v18
	v_cmp_ne_u32_e32 vcc, s7, v21
	v_mov_b32_e32 v19, 0x7f80
	s_and_saveexec_b64 s[12:13], vcc
	s_cbranch_execz .LBB834_507
; %bb.506:
	v_and_b32_e32 v23, 7, v18
	v_ffbh_u32_e32 v19, v23
	v_min_u32_e32 v25, 32, v19
	v_subrev_u32_e32 v19, 28, v25
	v_lshlrev_b64 v[18:19], v19, v[18:19]
	v_lshrrev_b32_e32 v24, 3, v21
	v_sub_u32_e32 v19, 29, v25
	v_and_b32_e32 v18, 7, v18
	v_cmp_gt_u32_e32 vcc, 8, v21
	v_cndmask_b32_e32 v19, v24, v19, vcc
	v_cndmask_b32_e32 v18, v23, v18, vcc
	v_lshlrev_b32_e32 v21, 16, v10
	v_bfrev_b32_e32 v23, 60
	v_lshlrev_b32_e32 v18, 20, v18
	v_and_b32_e32 v21, 0x80000000, v21
	v_lshl_add_u32 v19, v19, 23, v23
	v_or3_b32 v18, v21, v19, v18
	v_lshrrev_b32_e32 v19, 16, v18
.LBB834_507:
	s_or_b64 exec, exec, s[12:13]
.LBB834_508:
	s_or_b64 exec, exec, s[10:11]
.LBB834_509:
	s_or_b64 exec, exec, s[8:9]
	s_movk_i32 s7, 0xff
	v_and_b32_sdwa v24, v10, s7 dst_sel:DWORD dst_unused:UNUSED_PAD src0_sel:WORD_1 src1_sel:DWORD
	v_lshrrev_b32_e32 v18, 16, v10
	v_cmp_ne_u16_e32 vcc, 0, v24
	v_mov_b32_e32 v21, 0
	v_mov_b32_e32 v23, 0
	s_and_saveexec_b64 s[8:9], vcc
	s_cbranch_execz .LBB834_515
; %bb.510:
	s_movk_i32 s7, 0x80
	v_cmp_ne_u16_e32 vcc, s7, v24
	v_mov_b32_e32 v23, 0xffff8000
	s_and_saveexec_b64 s[10:11], vcc
	s_cbranch_execz .LBB834_514
; %bb.511:
	v_bfe_u32 v24, v10, 16, 7
	s_movk_i32 s7, 0x7f
	v_cmp_ne_u32_e32 vcc, s7, v24
	v_mov_b32_e32 v23, 0x7f80
	s_and_saveexec_b64 s[12:13], vcc
	s_cbranch_execz .LBB834_513
; %bb.512:
	v_and_b32_e32 v23, 7, v18
	v_ffbh_u32_e32 v27, v23
	v_min_u32_e32 v27, 32, v27
	v_subrev_u32_e32 v28, 28, v27
	v_lshlrev_b64 v[28:29], v28, v[18:19]
	v_lshrrev_b32_e32 v25, 3, v24
	v_sub_u32_e32 v18, 29, v27
	v_and_b32_e32 v27, 7, v28
	v_cmp_gt_u32_e32 vcc, 8, v24
	v_mov_b32_e32 v24, 24
	v_cndmask_b32_e32 v18, v25, v18, vcc
	v_cndmask_b32_e32 v23, v23, v27, vcc
	v_lshlrev_b32_sdwa v24, v24, v10 dst_sel:DWORD dst_unused:UNUSED_PAD src0_sel:DWORD src1_sel:WORD_1
	v_bfrev_b32_e32 v25, 60
	v_lshlrev_b32_e32 v23, 20, v23
	v_and_b32_e32 v24, 0x80000000, v24
	v_lshl_add_u32 v18, v18, 23, v25
	v_or3_b32 v18, v24, v18, v23
	v_lshrrev_b32_e32 v23, 16, v18
.LBB834_513:
	s_or_b64 exec, exec, s[12:13]
.LBB834_514:
	s_or_b64 exec, exec, s[10:11]
.LBB834_515:
	s_or_b64 exec, exec, s[8:9]
	s_mov_b32 s7, 0xffffff
	v_cmp_lt_u32_e32 vcc, s7, v10
	s_and_saveexec_b64 s[8:9], vcc
	s_cbranch_execz .LBB834_521
; %bb.516:
	v_lshrrev_b32_e32 v18, 24, v10
	s_movk_i32 s7, 0x80
	v_cmp_ne_u32_e32 vcc, s7, v18
	v_mov_b32_e32 v21, 0xffff8000
	s_and_saveexec_b64 s[10:11], vcc
	s_cbranch_execz .LBB834_520
; %bb.517:
	v_bfe_u32 v10, v10, 24, 7
	s_movk_i32 s7, 0x7f
	v_cmp_ne_u32_e32 vcc, s7, v10
	v_mov_b32_e32 v21, 0x7f80
	s_and_saveexec_b64 s[12:13], vcc
	s_cbranch_execz .LBB834_519
; %bb.518:
	v_and_b32_e32 v21, 7, v18
	v_ffbh_u32_e32 v24, v21
	v_min_u32_e32 v28, 32, v24
	v_subrev_u32_e32 v24, 28, v28
	v_lshlrev_b64 v[24:25], v24, v[18:19]
	v_lshrrev_b32_e32 v27, 3, v10
	v_sub_u32_e32 v25, 29, v28
	v_and_b32_e32 v24, 7, v24
	v_cmp_gt_u32_e32 vcc, 8, v10
	v_cndmask_b32_e32 v10, v27, v25, vcc
	v_cndmask_b32_e32 v21, v21, v24, vcc
	v_lshlrev_b32_e32 v18, 24, v18
	v_bfrev_b32_e32 v24, 60
	v_lshlrev_b32_e32 v21, 20, v21
	v_and_b32_e32 v18, 0x80000000, v18
	v_lshl_add_u32 v10, v10, 23, v24
	v_or3_b32 v10, v18, v10, v21
	v_lshrrev_b32_e32 v21, 16, v10
.LBB834_519:
	s_or_b64 exec, exec, s[12:13]
.LBB834_520:
	s_or_b64 exec, exec, s[10:11]
.LBB834_521:
	s_or_b64 exec, exec, s[8:9]
	v_mov_b32_e32 v18, 0
	v_cmp_ne_u16_sdwa s[10:11], v11, v18 src0_sel:BYTE_0 src1_sel:DWORD
	v_mov_b32_e32 v24, 0
	s_and_saveexec_b64 s[8:9], s[10:11]
	s_cbranch_execz .LBB834_527
; %bb.522:
	s_movk_i32 s7, 0x80
	v_cmp_ne_u16_sdwa s[12:13], v11, s7 src0_sel:BYTE_0 src1_sel:DWORD
	v_mov_b32_e32 v24, 0xffff8000
	s_and_saveexec_b64 s[10:11], s[12:13]
	s_cbranch_execz .LBB834_526
; %bb.523:
	s_movk_i32 s7, 0x7f
	v_and_b32_e32 v10, 0x7f, v11
	v_cmp_ne_u32_e32 vcc, s7, v10
	v_mov_b32_e32 v24, 0x7f80
	s_and_saveexec_b64 s[12:13], vcc
	s_cbranch_execz .LBB834_525
; %bb.524:
	v_and_b32_e32 v27, 7, v11
	v_ffbh_u32_e32 v25, v27
	v_min_u32_e32 v29, 32, v25
	v_mov_b32_e32 v24, v11
	v_subrev_u32_e32 v25, 28, v29
	v_lshlrev_b64 v[24:25], v25, v[24:25]
	v_lshrrev_b32_e32 v28, 3, v10
	v_sub_u32_e32 v25, 29, v29
	v_and_b32_e32 v24, 7, v24
	v_cmp_gt_u32_e32 vcc, 8, v10
	v_cndmask_b32_e32 v10, v28, v25, vcc
	v_cndmask_b32_e32 v24, v27, v24, vcc
	v_lshlrev_b32_e32 v25, 24, v11
	v_bfrev_b32_e32 v27, 60
	v_lshlrev_b32_e32 v24, 20, v24
	v_and_b32_e32 v25, 0x80000000, v25
	v_lshl_add_u32 v10, v10, 23, v27
	v_or3_b32 v10, v25, v10, v24
	v_lshrrev_b32_e32 v24, 16, v10
.LBB834_525:
	s_or_b64 exec, exec, s[12:13]
.LBB834_526:
	s_or_b64 exec, exec, s[10:11]
.LBB834_527:
	s_or_b64 exec, exec, s[8:9]
	v_lshrrev_b16_e32 v10, 8, v11
	v_cmp_ne_u16_e32 vcc, 0, v10
	s_and_saveexec_b64 s[8:9], vcc
	s_cbranch_execz .LBB834_533
; %bb.528:
	s_movk_i32 s7, 0x80
	v_cmp_ne_u16_e32 vcc, s7, v10
	v_mov_b32_e32 v18, 0xffff8000
	s_and_saveexec_b64 s[10:11], vcc
	s_cbranch_execz .LBB834_532
; %bb.529:
	s_movk_i32 s7, 0x7f
	v_and_b32_e32 v25, 0x7f, v10
	v_cmp_ne_u32_e32 vcc, s7, v25
	v_mov_b32_e32 v18, 0x7f80
	s_and_saveexec_b64 s[12:13], vcc
	s_cbranch_execz .LBB834_531
; %bb.530:
	v_and_b32_e32 v18, 7, v10
	v_ffbh_u32_e32 v28, v18
	v_min_u32_e32 v30, 32, v28
	v_subrev_u32_e32 v28, 28, v30
	v_lshlrev_b64 v[28:29], v28, v[10:11]
	v_lshrrev_b32_e32 v27, 3, v25
	v_sub_u32_e32 v10, 29, v30
	v_and_b32_e32 v28, 7, v28
	v_cmp_gt_u32_e32 vcc, 8, v25
	v_cndmask_b32_e32 v10, v27, v10, vcc
	v_cndmask_b32_e32 v18, v18, v28, vcc
	v_lshlrev_b32_e32 v25, 16, v11
	v_bfrev_b32_e32 v27, 60
	v_lshlrev_b32_e32 v18, 20, v18
	v_and_b32_e32 v25, 0x80000000, v25
	v_lshl_add_u32 v10, v10, 23, v27
	v_or3_b32 v10, v25, v10, v18
	v_lshrrev_b32_e32 v18, 16, v10
.LBB834_531:
	s_or_b64 exec, exec, s[12:13]
.LBB834_532:
	s_or_b64 exec, exec, s[10:11]
.LBB834_533:
	s_or_b64 exec, exec, s[8:9]
	s_movk_i32 s7, 0xff
	v_and_b32_sdwa v28, v11, s7 dst_sel:DWORD dst_unused:UNUSED_PAD src0_sel:WORD_1 src1_sel:DWORD
	v_lshrrev_b32_e32 v10, 16, v11
	v_cmp_ne_u16_e32 vcc, 0, v28
	v_mov_b32_e32 v25, 0
	v_mov_b32_e32 v27, 0
	s_and_saveexec_b64 s[8:9], vcc
	s_cbranch_execz .LBB834_539
; %bb.534:
	s_movk_i32 s7, 0x80
	v_cmp_ne_u16_e32 vcc, s7, v28
	v_mov_b32_e32 v27, 0xffff8000
	s_and_saveexec_b64 s[10:11], vcc
	s_cbranch_execz .LBB834_538
; %bb.535:
	v_bfe_u32 v28, v11, 16, 7
	s_movk_i32 s7, 0x7f
	v_cmp_ne_u32_e32 vcc, s7, v28
	v_mov_b32_e32 v27, 0x7f80
	s_and_saveexec_b64 s[12:13], vcc
	s_cbranch_execz .LBB834_537
; %bb.536:
	v_and_b32_e32 v27, 7, v10
	v_ffbh_u32_e32 v30, v27
	v_min_u32_e32 v32, 32, v30
	v_subrev_u32_e32 v30, 28, v32
	v_lshlrev_b64 v[30:31], v30, v[10:11]
	v_lshrrev_b32_e32 v29, 3, v28
	v_sub_u32_e32 v10, 29, v32
	v_and_b32_e32 v30, 7, v30
	v_cmp_gt_u32_e32 vcc, 8, v28
	v_mov_b32_e32 v28, 24
	v_cndmask_b32_e32 v10, v29, v10, vcc
	v_cndmask_b32_e32 v27, v27, v30, vcc
	v_lshlrev_b32_sdwa v28, v28, v11 dst_sel:DWORD dst_unused:UNUSED_PAD src0_sel:DWORD src1_sel:WORD_1
	v_bfrev_b32_e32 v29, 60
	v_lshlrev_b32_e32 v27, 20, v27
	v_and_b32_e32 v28, 0x80000000, v28
	v_lshl_add_u32 v10, v10, 23, v29
	v_or3_b32 v10, v28, v10, v27
	v_lshrrev_b32_e32 v27, 16, v10
.LBB834_537:
	s_or_b64 exec, exec, s[12:13]
.LBB834_538:
	s_or_b64 exec, exec, s[10:11]
.LBB834_539:
	s_or_b64 exec, exec, s[8:9]
	s_mov_b32 s7, 0xffffff
	v_cmp_lt_u32_e32 vcc, s7, v11
	s_and_saveexec_b64 s[8:9], vcc
	s_cbranch_execz .LBB834_545
; %bb.540:
	v_lshrrev_b32_e32 v10, 24, v11
	s_movk_i32 s7, 0x80
	v_cmp_ne_u32_e32 vcc, s7, v10
	v_mov_b32_e32 v25, 0xffff8000
	s_and_saveexec_b64 s[10:11], vcc
	s_cbranch_execz .LBB834_544
; %bb.541:
	v_bfe_u32 v11, v11, 24, 7
	s_movk_i32 s7, 0x7f
	v_cmp_ne_u32_e32 vcc, s7, v11
	v_mov_b32_e32 v25, 0x7f80
	s_and_saveexec_b64 s[12:13], vcc
	s_cbranch_execz .LBB834_543
; %bb.542:
	v_and_b32_e32 v25, 7, v10
	v_ffbh_u32_e32 v28, v25
	v_min_u32_e32 v31, 32, v28
	v_subrev_u32_e32 v28, 28, v31
	v_lshlrev_b64 v[28:29], v28, v[10:11]
	v_lshrrev_b32_e32 v30, 3, v11
	v_sub_u32_e32 v29, 29, v31
	v_and_b32_e32 v28, 7, v28
	v_cmp_gt_u32_e32 vcc, 8, v11
	v_cndmask_b32_e32 v11, v30, v29, vcc
	v_cndmask_b32_e32 v25, v25, v28, vcc
	v_lshlrev_b32_e32 v10, 24, v10
	v_bfrev_b32_e32 v28, 60
	v_lshlrev_b32_e32 v25, 20, v25
	v_and_b32_e32 v10, 0x80000000, v10
	v_lshl_add_u32 v11, v11, 23, v28
	v_or3_b32 v10, v10, v11, v25
	v_lshrrev_b32_e32 v25, 16, v10
.LBB834_543:
	s_or_b64 exec, exec, s[12:13]
.LBB834_544:
	s_or_b64 exec, exec, s[10:11]
.LBB834_545:
	s_or_b64 exec, exec, s[8:9]
	s_mov_b32 s7, 0x5040100
	v_perm_b32 v11, v21, v23, s7
	v_perm_b32 v10, v19, v20, s7
	ds_read_b128 v[28:31], v22 offset:2048
	v_perm_b32 v21, v25, v27, s7
	v_perm_b32 v20, v18, v24, s7
	s_waitcnt lgkmcnt(0)
	v_mfma_f32_16x16x16bf16_1k v[14:17], v[10:11], v[28:29], v[14:17]
	v_mov_b32_e32 v11, 0
	v_cmp_ne_u16_sdwa s[10:11], v12, v11 src0_sel:BYTE_0 src1_sel:DWORD
	v_mov_b32_e32 v18, 0
	v_mfma_f32_16x16x16bf16_1k v[14:17], v[20:21], v[30:31], v[14:17]
	s_and_saveexec_b64 s[8:9], s[10:11]
	s_cbranch_execz .LBB834_551
; %bb.546:
	s_movk_i32 s7, 0x80
	v_cmp_ne_u16_sdwa s[12:13], v12, s7 src0_sel:BYTE_0 src1_sel:DWORD
	v_mov_b32_e32 v18, 0xffff8000
	s_and_saveexec_b64 s[10:11], s[12:13]
	s_cbranch_execz .LBB834_550
; %bb.547:
	s_movk_i32 s7, 0x7f
	v_and_b32_e32 v10, 0x7f, v12
	v_cmp_ne_u32_e32 vcc, s7, v10
	v_mov_b32_e32 v18, 0x7f80
	s_and_saveexec_b64 s[12:13], vcc
	s_cbranch_execz .LBB834_549
; %bb.548:
	v_and_b32_e32 v20, 7, v12
	v_ffbh_u32_e32 v18, v20
	v_min_u32_e32 v23, 32, v18
	v_subrev_u32_e32 v18, 28, v23
	v_lshlrev_b64 v[18:19], v18, v[12:13]
	v_lshrrev_b32_e32 v21, 3, v10
	v_sub_u32_e32 v19, 29, v23
	v_and_b32_e32 v18, 7, v18
	v_cmp_gt_u32_e32 vcc, 8, v10
	v_cndmask_b32_e32 v10, v21, v19, vcc
	v_cndmask_b32_e32 v18, v20, v18, vcc
	v_lshlrev_b32_e32 v19, 24, v12
	v_bfrev_b32_e32 v20, 60
	v_lshlrev_b32_e32 v18, 20, v18
	v_and_b32_e32 v19, 0x80000000, v19
	v_lshl_add_u32 v10, v10, 23, v20
	v_or3_b32 v10, v19, v10, v18
	v_lshrrev_b32_e32 v18, 16, v10
.LBB834_549:
	s_or_b64 exec, exec, s[12:13]
.LBB834_550:
	s_or_b64 exec, exec, s[10:11]
.LBB834_551:
	s_or_b64 exec, exec, s[8:9]
	v_lshrrev_b16_e32 v10, 8, v12
	v_cmp_ne_u16_e32 vcc, 0, v10
	s_and_saveexec_b64 s[8:9], vcc
	s_cbranch_execz .LBB834_557
; %bb.552:
	s_movk_i32 s7, 0x80
	v_cmp_ne_u16_e32 vcc, s7, v10
	v_mov_b32_e32 v11, 0xffff8000
	s_and_saveexec_b64 s[10:11], vcc
	s_cbranch_execz .LBB834_556
; %bb.553:
	s_movk_i32 s7, 0x7f
	v_and_b32_e32 v19, 0x7f, v10
	v_cmp_ne_u32_e32 vcc, s7, v19
	v_mov_b32_e32 v11, 0x7f80
	s_and_saveexec_b64 s[12:13], vcc
	s_cbranch_execz .LBB834_555
; %bb.554:
	v_and_b32_e32 v20, 7, v10
	v_ffbh_u32_e32 v11, v20
	v_min_u32_e32 v23, 32, v11
	v_subrev_u32_e32 v11, 28, v23
	v_lshlrev_b64 v[10:11], v11, v[10:11]
	v_lshrrev_b32_e32 v21, 3, v19
	v_sub_u32_e32 v11, 29, v23
	v_and_b32_e32 v10, 7, v10
	v_cmp_gt_u32_e32 vcc, 8, v19
	v_cndmask_b32_e32 v11, v21, v11, vcc
	v_cndmask_b32_e32 v10, v20, v10, vcc
	v_lshlrev_b32_e32 v19, 16, v12
	v_bfrev_b32_e32 v20, 60
	v_lshlrev_b32_e32 v10, 20, v10
	v_and_b32_e32 v19, 0x80000000, v19
	v_lshl_add_u32 v11, v11, 23, v20
	v_or3_b32 v10, v19, v11, v10
	v_lshrrev_b32_e32 v11, 16, v10
.LBB834_555:
	s_or_b64 exec, exec, s[12:13]
.LBB834_556:
	s_or_b64 exec, exec, s[10:11]
.LBB834_557:
	s_or_b64 exec, exec, s[8:9]
	s_movk_i32 s7, 0xff
	v_and_b32_sdwa v21, v12, s7 dst_sel:DWORD dst_unused:UNUSED_PAD src0_sel:WORD_1 src1_sel:DWORD
	v_lshrrev_b32_e32 v10, 16, v12
	v_cmp_ne_u16_e32 vcc, 0, v21
	v_mov_b32_e32 v19, 0
	v_mov_b32_e32 v20, 0
	s_and_saveexec_b64 s[8:9], vcc
	s_cbranch_execz .LBB834_563
; %bb.558:
	s_movk_i32 s7, 0x80
	v_cmp_ne_u16_e32 vcc, s7, v21
	v_mov_b32_e32 v20, 0xffff8000
	s_and_saveexec_b64 s[10:11], vcc
	s_cbranch_execz .LBB834_562
; %bb.559:
	v_bfe_u32 v21, v12, 16, 7
	s_movk_i32 s7, 0x7f
	v_cmp_ne_u32_e32 vcc, s7, v21
	v_mov_b32_e32 v20, 0x7f80
	s_and_saveexec_b64 s[12:13], vcc
	s_cbranch_execz .LBB834_561
; %bb.560:
	v_and_b32_e32 v20, 7, v10
	v_ffbh_u32_e32 v24, v20
	v_min_u32_e32 v27, 32, v24
	v_subrev_u32_e32 v24, 28, v27
	v_lshlrev_b64 v[24:25], v24, v[10:11]
	v_lshrrev_b32_e32 v23, 3, v21
	v_sub_u32_e32 v10, 29, v27
	v_and_b32_e32 v24, 7, v24
	v_cmp_gt_u32_e32 vcc, 8, v21
	v_mov_b32_e32 v21, 24
	v_cndmask_b32_e32 v10, v23, v10, vcc
	v_cndmask_b32_e32 v20, v20, v24, vcc
	v_lshlrev_b32_sdwa v21, v21, v12 dst_sel:DWORD dst_unused:UNUSED_PAD src0_sel:DWORD src1_sel:WORD_1
	v_bfrev_b32_e32 v23, 60
	v_lshlrev_b32_e32 v20, 20, v20
	v_and_b32_e32 v21, 0x80000000, v21
	v_lshl_add_u32 v10, v10, 23, v23
	v_or3_b32 v10, v21, v10, v20
	v_lshrrev_b32_e32 v20, 16, v10
.LBB834_561:
	s_or_b64 exec, exec, s[12:13]
.LBB834_562:
	s_or_b64 exec, exec, s[10:11]
.LBB834_563:
	s_or_b64 exec, exec, s[8:9]
	s_mov_b32 s7, 0xffffff
	v_cmp_lt_u32_e32 vcc, s7, v12
	s_and_saveexec_b64 s[8:9], vcc
	s_cbranch_execz .LBB834_569
; %bb.564:
	v_lshrrev_b32_e32 v10, 24, v12
	s_movk_i32 s7, 0x80
	v_cmp_ne_u32_e32 vcc, s7, v10
	v_mov_b32_e32 v19, 0xffff8000
	s_and_saveexec_b64 s[10:11], vcc
	s_cbranch_execz .LBB834_568
; %bb.565:
	v_bfe_u32 v12, v12, 24, 7
	s_movk_i32 s7, 0x7f
	v_cmp_ne_u32_e32 vcc, s7, v12
	v_mov_b32_e32 v19, 0x7f80
	s_and_saveexec_b64 s[12:13], vcc
	s_cbranch_execz .LBB834_567
; %bb.566:
	v_and_b32_e32 v19, 7, v10
	v_ffbh_u32_e32 v23, v19
	v_min_u32_e32 v23, 32, v23
	v_subrev_u32_e32 v24, 28, v23
	v_lshlrev_b64 v[24:25], v24, v[10:11]
	v_lshrrev_b32_e32 v21, 3, v12
	v_sub_u32_e32 v23, 29, v23
	v_and_b32_e32 v24, 7, v24
	v_cmp_gt_u32_e32 vcc, 8, v12
	v_cndmask_b32_e32 v12, v21, v23, vcc
	v_cndmask_b32_e32 v19, v19, v24, vcc
	v_lshlrev_b32_e32 v10, 24, v10
	v_bfrev_b32_e32 v21, 60
	v_lshlrev_b32_e32 v19, 20, v19
	v_and_b32_e32 v10, 0x80000000, v10
	v_lshl_add_u32 v12, v12, 23, v21
	v_or3_b32 v10, v10, v12, v19
	v_lshrrev_b32_e32 v19, 16, v10
.LBB834_567:
	s_or_b64 exec, exec, s[12:13]
.LBB834_568:
	s_or_b64 exec, exec, s[10:11]
.LBB834_569:
	s_or_b64 exec, exec, s[8:9]
	v_mov_b32_e32 v12, 0
	v_cmp_ne_u16_sdwa s[10:11], v13, v12 src0_sel:BYTE_0 src1_sel:DWORD
	v_mov_b32_e32 v21, 0
	s_and_saveexec_b64 s[8:9], s[10:11]
	s_cbranch_execz .LBB834_575
; %bb.570:
	s_movk_i32 s7, 0x80
	v_cmp_ne_u16_sdwa s[12:13], v13, s7 src0_sel:BYTE_0 src1_sel:DWORD
	v_mov_b32_e32 v21, 0xffff8000
	s_and_saveexec_b64 s[10:11], s[12:13]
	s_cbranch_execz .LBB834_574
; %bb.571:
	s_movk_i32 s7, 0x7f
	v_and_b32_e32 v10, 0x7f, v13
	v_cmp_ne_u32_e32 vcc, s7, v10
	v_mov_b32_e32 v21, 0x7f80
	s_and_saveexec_b64 s[12:13], vcc
	s_cbranch_execz .LBB834_573
; %bb.572:
	v_and_b32_e32 v21, 7, v13
	v_ffbh_u32_e32 v25, v21
	v_min_u32_e32 v27, 32, v25
	v_mov_b32_e32 v24, v13
	v_subrev_u32_e32 v25, 28, v27
	v_lshlrev_b64 v[24:25], v25, v[24:25]
	v_lshrrev_b32_e32 v23, 3, v10
	v_sub_u32_e32 v25, 29, v27
	v_and_b32_e32 v24, 7, v24
	v_cmp_gt_u32_e32 vcc, 8, v10
	v_cndmask_b32_e32 v10, v23, v25, vcc
	v_cndmask_b32_e32 v21, v21, v24, vcc
	v_lshlrev_b32_e32 v23, 24, v13
	v_bfrev_b32_e32 v24, 60
	v_lshlrev_b32_e32 v21, 20, v21
	v_and_b32_e32 v23, 0x80000000, v23
	v_lshl_add_u32 v10, v10, 23, v24
	v_or3_b32 v10, v23, v10, v21
	v_lshrrev_b32_e32 v21, 16, v10
.LBB834_573:
	s_or_b64 exec, exec, s[12:13]
.LBB834_574:
	s_or_b64 exec, exec, s[10:11]
.LBB834_575:
	s_or_b64 exec, exec, s[8:9]
	v_lshrrev_b16_e32 v10, 8, v13
	v_cmp_ne_u16_e32 vcc, 0, v10
	s_and_saveexec_b64 s[8:9], vcc
	s_cbranch_execz .LBB834_581
; %bb.576:
	s_movk_i32 s7, 0x80
	v_cmp_ne_u16_e32 vcc, s7, v10
	v_mov_b32_e32 v12, 0xffff8000
	s_and_saveexec_b64 s[10:11], vcc
	s_cbranch_execz .LBB834_580
; %bb.577:
	s_movk_i32 s7, 0x7f
	v_and_b32_e32 v23, 0x7f, v10
	v_cmp_ne_u32_e32 vcc, s7, v23
	v_mov_b32_e32 v12, 0x7f80
	s_and_saveexec_b64 s[12:13], vcc
	s_cbranch_execz .LBB834_579
; %bb.578:
	v_and_b32_e32 v12, 7, v10
	v_ffbh_u32_e32 v24, v12
	v_min_u32_e32 v28, 32, v24
	v_subrev_u32_e32 v24, 28, v28
	v_lshlrev_b64 v[24:25], v24, v[10:11]
	v_lshrrev_b32_e32 v27, 3, v23
	v_sub_u32_e32 v10, 29, v28
	v_and_b32_e32 v24, 7, v24
	v_cmp_gt_u32_e32 vcc, 8, v23
	v_cndmask_b32_e32 v10, v27, v10, vcc
	v_cndmask_b32_e32 v12, v12, v24, vcc
	v_lshlrev_b32_e32 v23, 16, v13
	v_bfrev_b32_e32 v24, 60
	v_lshlrev_b32_e32 v12, 20, v12
	v_and_b32_e32 v23, 0x80000000, v23
	v_lshl_add_u32 v10, v10, 23, v24
	v_or3_b32 v10, v23, v10, v12
	v_lshrrev_b32_e32 v12, 16, v10
.LBB834_579:
	s_or_b64 exec, exec, s[12:13]
.LBB834_580:
	s_or_b64 exec, exec, s[10:11]
.LBB834_581:
	s_or_b64 exec, exec, s[8:9]
	s_movk_i32 s7, 0xff
	v_and_b32_sdwa v25, v13, s7 dst_sel:DWORD dst_unused:UNUSED_PAD src0_sel:WORD_1 src1_sel:DWORD
	v_lshrrev_b32_e32 v10, 16, v13
	v_cmp_ne_u16_e32 vcc, 0, v25
	v_mov_b32_e32 v23, 0
	v_mov_b32_e32 v24, 0
	s_and_saveexec_b64 s[8:9], vcc
	s_cbranch_execz .LBB834_587
; %bb.582:
	s_movk_i32 s7, 0x80
	v_cmp_ne_u16_e32 vcc, s7, v25
	v_mov_b32_e32 v24, 0xffff8000
	s_and_saveexec_b64 s[10:11], vcc
	s_cbranch_execz .LBB834_586
; %bb.583:
	v_bfe_u32 v25, v13, 16, 7
	s_movk_i32 s7, 0x7f
	v_cmp_ne_u32_e32 vcc, s7, v25
	v_mov_b32_e32 v24, 0x7f80
	s_and_saveexec_b64 s[12:13], vcc
	s_cbranch_execz .LBB834_585
; %bb.584:
	v_and_b32_e32 v24, 7, v10
	v_ffbh_u32_e32 v28, v24
	v_min_u32_e32 v30, 32, v28
	v_subrev_u32_e32 v28, 28, v30
	v_lshlrev_b64 v[28:29], v28, v[10:11]
	v_lshrrev_b32_e32 v27, 3, v25
	v_sub_u32_e32 v10, 29, v30
	v_and_b32_e32 v28, 7, v28
	v_cmp_gt_u32_e32 vcc, 8, v25
	v_mov_b32_e32 v25, 24
	v_cndmask_b32_e32 v10, v27, v10, vcc
	v_cndmask_b32_e32 v24, v24, v28, vcc
	v_lshlrev_b32_sdwa v25, v25, v13 dst_sel:DWORD dst_unused:UNUSED_PAD src0_sel:DWORD src1_sel:WORD_1
	v_bfrev_b32_e32 v27, 60
	v_lshlrev_b32_e32 v24, 20, v24
	v_and_b32_e32 v25, 0x80000000, v25
	v_lshl_add_u32 v10, v10, 23, v27
	v_or3_b32 v10, v25, v10, v24
	v_lshrrev_b32_e32 v24, 16, v10
.LBB834_585:
	s_or_b64 exec, exec, s[12:13]
.LBB834_586:
	s_or_b64 exec, exec, s[10:11]
.LBB834_587:
	s_or_b64 exec, exec, s[8:9]
	s_mov_b32 s7, 0xffffff
	v_cmp_lt_u32_e32 vcc, s7, v13
	s_and_saveexec_b64 s[8:9], vcc
	s_cbranch_execz .LBB834_593
; %bb.588:
	v_lshrrev_b32_e32 v10, 24, v13
	s_movk_i32 s7, 0x80
	v_cmp_ne_u32_e32 vcc, s7, v10
	v_mov_b32_e32 v23, 0xffff8000
	s_and_saveexec_b64 s[10:11], vcc
	s_cbranch_execz .LBB834_592
; %bb.589:
	v_bfe_u32 v13, v13, 24, 7
	s_movk_i32 s7, 0x7f
	v_cmp_ne_u32_e32 vcc, s7, v13
	v_mov_b32_e32 v23, 0x7f80
	s_and_saveexec_b64 s[12:13], vcc
	s_cbranch_execz .LBB834_591
; %bb.590:
	v_and_b32_e32 v23, 7, v10
	v_ffbh_u32_e32 v27, v23
	v_min_u32_e32 v27, 32, v27
	v_subrev_u32_e32 v28, 28, v27
	v_lshlrev_b64 v[28:29], v28, v[10:11]
	v_lshrrev_b32_e32 v25, 3, v13
	v_sub_u32_e32 v27, 29, v27
	v_and_b32_e32 v28, 7, v28
	v_cmp_gt_u32_e32 vcc, 8, v13
	v_cndmask_b32_e32 v13, v25, v27, vcc
	v_cndmask_b32_e32 v23, v23, v28, vcc
	v_lshlrev_b32_e32 v10, 24, v10
	v_bfrev_b32_e32 v25, 60
	v_lshlrev_b32_e32 v23, 20, v23
	v_and_b32_e32 v10, 0x80000000, v10
	v_lshl_add_u32 v13, v13, 23, v25
	v_or3_b32 v10, v10, v13, v23
	v_lshrrev_b32_e32 v23, 16, v10
.LBB834_591:
	s_or_b64 exec, exec, s[12:13]
.LBB834_592:
	s_or_b64 exec, exec, s[10:11]
.LBB834_593:
	s_or_b64 exec, exec, s[8:9]
	s_mov_b32 s7, 0x5040100
	v_perm_b32 v19, v19, v20, s7
	v_perm_b32 v18, v11, v18, s7
	ds_read_b128 v[28:31], v22 offset:2064
	v_perm_b32 v11, v23, v24, s7
	v_perm_b32 v10, v12, v21, s7
	s_waitcnt lgkmcnt(0)
	v_mfma_f32_16x16x16bf16_1k v[32:35], v[18:19], v[28:29], v[14:17]
	s_nop 6
	v_mov_b32_e32 v15, 0
	s_waitcnt vmcnt(1)
	v_cmp_ne_u16_sdwa s[10:11], v6, v15 src0_sel:BYTE_0 src1_sel:DWORD
	v_mfma_f32_16x16x16bf16_1k v[10:13], v[10:11], v[30:31], v[32:35]
	v_mov_b32_e32 v16, 0
	s_and_saveexec_b64 s[8:9], s[10:11]
	s_cbranch_execz .LBB834_599
; %bb.594:
	s_movk_i32 s7, 0x80
	v_cmp_ne_u16_sdwa s[12:13], v6, s7 src0_sel:BYTE_0 src1_sel:DWORD
	v_mov_b32_e32 v16, 0xffff8000
	s_and_saveexec_b64 s[10:11], s[12:13]
	s_cbranch_execz .LBB834_598
; %bb.595:
	s_movk_i32 s7, 0x7f
	v_and_b32_e32 v14, 0x7f, v6
	v_cmp_ne_u32_e32 vcc, s7, v14
	v_mov_b32_e32 v16, 0x7f80
	s_and_saveexec_b64 s[12:13], vcc
	s_cbranch_execz .LBB834_597
; %bb.596:
	v_and_b32_e32 v18, 7, v6
	v_ffbh_u32_e32 v16, v18
	v_min_u32_e32 v20, 32, v16
	v_subrev_u32_e32 v16, 28, v20
	v_lshlrev_b64 v[16:17], v16, v[6:7]
	v_lshrrev_b32_e32 v19, 3, v14
	v_sub_u32_e32 v17, 29, v20
	v_and_b32_e32 v16, 7, v16
	v_cmp_gt_u32_e32 vcc, 8, v14
	v_cndmask_b32_e32 v14, v19, v17, vcc
	v_cndmask_b32_e32 v16, v18, v16, vcc
	v_lshlrev_b32_e32 v17, 24, v6
	v_bfrev_b32_e32 v18, 60
	v_lshlrev_b32_e32 v16, 20, v16
	v_and_b32_e32 v17, 0x80000000, v17
	v_lshl_add_u32 v14, v14, 23, v18
	v_or3_b32 v14, v17, v14, v16
	v_lshrrev_b32_e32 v16, 16, v14
.LBB834_597:
	s_or_b64 exec, exec, s[12:13]
.LBB834_598:
	s_or_b64 exec, exec, s[10:11]
.LBB834_599:
	s_or_b64 exec, exec, s[8:9]
	v_lshrrev_b16_e32 v14, 8, v6
	v_cmp_ne_u16_e32 vcc, 0, v14
	s_and_saveexec_b64 s[8:9], vcc
	s_cbranch_execz .LBB834_605
; %bb.600:
	s_movk_i32 s7, 0x80
	v_cmp_ne_u16_e32 vcc, s7, v14
	v_mov_b32_e32 v15, 0xffff8000
	s_and_saveexec_b64 s[10:11], vcc
	s_cbranch_execz .LBB834_604
; %bb.601:
	s_movk_i32 s7, 0x7f
	v_and_b32_e32 v17, 0x7f, v14
	v_cmp_ne_u32_e32 vcc, s7, v17
	v_mov_b32_e32 v15, 0x7f80
	s_and_saveexec_b64 s[12:13], vcc
	s_cbranch_execz .LBB834_603
; %bb.602:
	v_and_b32_e32 v18, 7, v14
	v_ffbh_u32_e32 v15, v18
	v_min_u32_e32 v20, 32, v15
	v_subrev_u32_e32 v15, 28, v20
	v_lshlrev_b64 v[14:15], v15, v[14:15]
	v_lshrrev_b32_e32 v19, 3, v17
	v_sub_u32_e32 v15, 29, v20
	v_and_b32_e32 v14, 7, v14
	v_cmp_gt_u32_e32 vcc, 8, v17
	v_cndmask_b32_e32 v15, v19, v15, vcc
	v_cndmask_b32_e32 v14, v18, v14, vcc
	v_lshlrev_b32_e32 v17, 16, v6
	v_bfrev_b32_e32 v18, 60
	v_lshlrev_b32_e32 v14, 20, v14
	v_and_b32_e32 v17, 0x80000000, v17
	v_lshl_add_u32 v15, v15, 23, v18
	v_or3_b32 v14, v17, v15, v14
	v_lshrrev_b32_e32 v15, 16, v14
.LBB834_603:
	s_or_b64 exec, exec, s[12:13]
.LBB834_604:
	s_or_b64 exec, exec, s[10:11]
.LBB834_605:
	s_or_b64 exec, exec, s[8:9]
	s_movk_i32 s7, 0xff
	v_and_b32_sdwa v19, v6, s7 dst_sel:DWORD dst_unused:UNUSED_PAD src0_sel:WORD_1 src1_sel:DWORD
	v_lshrrev_b32_e32 v14, 16, v6
	v_cmp_ne_u16_e32 vcc, 0, v19
	v_mov_b32_e32 v17, 0
	v_mov_b32_e32 v18, 0
	s_and_saveexec_b64 s[8:9], vcc
	s_cbranch_execz .LBB834_611
; %bb.606:
	s_movk_i32 s7, 0x80
	v_cmp_ne_u16_e32 vcc, s7, v19
	v_mov_b32_e32 v18, 0xffff8000
	s_and_saveexec_b64 s[10:11], vcc
	s_cbranch_execz .LBB834_610
; %bb.607:
	v_bfe_u32 v19, v6, 16, 7
	s_movk_i32 s7, 0x7f
	v_cmp_ne_u32_e32 vcc, s7, v19
	v_mov_b32_e32 v18, 0x7f80
	s_and_saveexec_b64 s[12:13], vcc
	s_cbranch_execz .LBB834_609
; %bb.608:
	v_and_b32_e32 v18, 7, v14
	v_ffbh_u32_e32 v20, v18
	v_min_u32_e32 v24, 32, v20
	v_subrev_u32_e32 v20, 28, v24
	v_lshlrev_b64 v[20:21], v20, v[14:15]
	v_lshrrev_b32_e32 v23, 3, v19
	v_sub_u32_e32 v14, 29, v24
	v_and_b32_e32 v20, 7, v20
	v_cmp_gt_u32_e32 vcc, 8, v19
	v_mov_b32_e32 v19, 24
	v_cndmask_b32_e32 v14, v23, v14, vcc
	v_cndmask_b32_e32 v18, v18, v20, vcc
	v_lshlrev_b32_sdwa v19, v19, v6 dst_sel:DWORD dst_unused:UNUSED_PAD src0_sel:DWORD src1_sel:WORD_1
	v_bfrev_b32_e32 v20, 60
	v_lshlrev_b32_e32 v18, 20, v18
	v_and_b32_e32 v19, 0x80000000, v19
	v_lshl_add_u32 v14, v14, 23, v20
	v_or3_b32 v14, v19, v14, v18
	v_lshrrev_b32_e32 v18, 16, v14
.LBB834_609:
	s_or_b64 exec, exec, s[12:13]
.LBB834_610:
	s_or_b64 exec, exec, s[10:11]
.LBB834_611:
	s_or_b64 exec, exec, s[8:9]
	s_mov_b32 s7, 0xffffff
	v_cmp_lt_u32_e32 vcc, s7, v6
	s_and_saveexec_b64 s[8:9], vcc
	s_cbranch_execz .LBB834_617
; %bb.612:
	v_lshrrev_b32_e32 v14, 24, v6
	s_movk_i32 s7, 0x80
	v_cmp_ne_u32_e32 vcc, s7, v14
	v_mov_b32_e32 v17, 0xffff8000
	s_and_saveexec_b64 s[10:11], vcc
	s_cbranch_execz .LBB834_616
; %bb.613:
	v_bfe_u32 v6, v6, 24, 7
	s_movk_i32 s7, 0x7f
	v_cmp_ne_u32_e32 vcc, s7, v6
	v_mov_b32_e32 v17, 0x7f80
	s_and_saveexec_b64 s[12:13], vcc
	s_cbranch_execz .LBB834_615
; %bb.614:
	v_and_b32_e32 v17, 7, v14
	v_ffbh_u32_e32 v20, v17
	v_min_u32_e32 v23, 32, v20
	v_subrev_u32_e32 v20, 28, v23
	v_lshlrev_b64 v[20:21], v20, v[14:15]
	v_lshrrev_b32_e32 v19, 3, v6
	v_sub_u32_e32 v21, 29, v23
	v_and_b32_e32 v20, 7, v20
	v_cmp_gt_u32_e32 vcc, 8, v6
	v_cndmask_b32_e32 v6, v19, v21, vcc
	v_cndmask_b32_e32 v17, v17, v20, vcc
	v_lshlrev_b32_e32 v14, 24, v14
	v_bfrev_b32_e32 v19, 60
	v_lshlrev_b32_e32 v17, 20, v17
	v_and_b32_e32 v14, 0x80000000, v14
	v_lshl_add_u32 v6, v6, 23, v19
	v_or3_b32 v6, v14, v6, v17
	v_lshrrev_b32_e32 v17, 16, v6
.LBB834_615:
	s_or_b64 exec, exec, s[12:13]
.LBB834_616:
	s_or_b64 exec, exec, s[10:11]
.LBB834_617:
	s_or_b64 exec, exec, s[8:9]
	v_mov_b32_e32 v14, 0
	v_cmp_ne_u16_sdwa s[10:11], v7, v14 src0_sel:BYTE_0 src1_sel:DWORD
	v_mov_b32_e32 v19, 0
	s_and_saveexec_b64 s[8:9], s[10:11]
	s_cbranch_execz .LBB834_623
; %bb.618:
	s_movk_i32 s7, 0x80
	v_cmp_ne_u16_sdwa s[12:13], v7, s7 src0_sel:BYTE_0 src1_sel:DWORD
	v_mov_b32_e32 v19, 0xffff8000
	s_and_saveexec_b64 s[10:11], s[12:13]
	s_cbranch_execz .LBB834_622
; %bb.619:
	s_movk_i32 s7, 0x7f
	v_and_b32_e32 v6, 0x7f, v7
	v_cmp_ne_u32_e32 vcc, s7, v6
	v_mov_b32_e32 v19, 0x7f80
	s_and_saveexec_b64 s[12:13], vcc
	s_cbranch_execz .LBB834_621
; %bb.620:
	v_and_b32_e32 v19, 7, v7
	v_ffbh_u32_e32 v21, v19
	v_min_u32_e32 v24, 32, v21
	v_mov_b32_e32 v20, v7
	v_subrev_u32_e32 v21, 28, v24
	v_lshlrev_b64 v[20:21], v21, v[20:21]
	v_lshrrev_b32_e32 v23, 3, v6
	v_sub_u32_e32 v21, 29, v24
	v_and_b32_e32 v20, 7, v20
	v_cmp_gt_u32_e32 vcc, 8, v6
	v_cndmask_b32_e32 v6, v23, v21, vcc
	v_cndmask_b32_e32 v19, v19, v20, vcc
	v_lshlrev_b32_e32 v20, 24, v7
	v_bfrev_b32_e32 v21, 60
	v_lshlrev_b32_e32 v19, 20, v19
	v_and_b32_e32 v20, 0x80000000, v20
	v_lshl_add_u32 v6, v6, 23, v21
	v_or3_b32 v6, v20, v6, v19
	v_lshrrev_b32_e32 v19, 16, v6
.LBB834_621:
	s_or_b64 exec, exec, s[12:13]
.LBB834_622:
	s_or_b64 exec, exec, s[10:11]
.LBB834_623:
	s_or_b64 exec, exec, s[8:9]
	v_lshrrev_b16_e32 v6, 8, v7
	v_cmp_ne_u16_e32 vcc, 0, v6
	s_and_saveexec_b64 s[8:9], vcc
	s_cbranch_execz .LBB834_629
; %bb.624:
	s_movk_i32 s7, 0x80
	v_cmp_ne_u16_e32 vcc, s7, v6
	v_mov_b32_e32 v14, 0xffff8000
	s_and_saveexec_b64 s[10:11], vcc
	s_cbranch_execz .LBB834_628
; %bb.625:
	s_movk_i32 s7, 0x7f
	v_and_b32_e32 v20, 0x7f, v6
	v_cmp_ne_u32_e32 vcc, s7, v20
	v_mov_b32_e32 v14, 0x7f80
	s_and_saveexec_b64 s[12:13], vcc
	s_cbranch_execz .LBB834_627
; %bb.626:
	v_and_b32_e32 v14, 7, v6
	v_ffbh_u32_e32 v23, v14
	v_min_u32_e32 v23, 32, v23
	v_subrev_u32_e32 v24, 28, v23
	v_lshlrev_b64 v[24:25], v24, v[6:7]
	v_lshrrev_b32_e32 v21, 3, v20
	v_sub_u32_e32 v6, 29, v23
	v_and_b32_e32 v23, 7, v24
	v_cmp_gt_u32_e32 vcc, 8, v20
	v_cndmask_b32_e32 v6, v21, v6, vcc
	v_cndmask_b32_e32 v14, v14, v23, vcc
	v_lshlrev_b32_e32 v20, 16, v7
	v_bfrev_b32_e32 v21, 60
	v_lshlrev_b32_e32 v14, 20, v14
	v_and_b32_e32 v20, 0x80000000, v20
	v_lshl_add_u32 v6, v6, 23, v21
	v_or3_b32 v6, v20, v6, v14
	v_lshrrev_b32_e32 v14, 16, v6
.LBB834_627:
	s_or_b64 exec, exec, s[12:13]
.LBB834_628:
	s_or_b64 exec, exec, s[10:11]
.LBB834_629:
	s_or_b64 exec, exec, s[8:9]
	s_movk_i32 s7, 0xff
	v_and_b32_sdwa v23, v7, s7 dst_sel:DWORD dst_unused:UNUSED_PAD src0_sel:WORD_1 src1_sel:DWORD
	v_lshrrev_b32_e32 v6, 16, v7
	v_cmp_ne_u16_e32 vcc, 0, v23
	v_mov_b32_e32 v20, 0
	v_mov_b32_e32 v21, 0
	s_and_saveexec_b64 s[8:9], vcc
	s_cbranch_execz .LBB834_635
; %bb.630:
	s_movk_i32 s7, 0x80
	v_cmp_ne_u16_e32 vcc, s7, v23
	v_mov_b32_e32 v21, 0xffff8000
	s_and_saveexec_b64 s[10:11], vcc
	s_cbranch_execz .LBB834_634
; %bb.631:
	v_bfe_u32 v23, v7, 16, 7
	s_movk_i32 s7, 0x7f
	v_cmp_ne_u32_e32 vcc, s7, v23
	v_mov_b32_e32 v21, 0x7f80
	s_and_saveexec_b64 s[12:13], vcc
	s_cbranch_execz .LBB834_633
; %bb.632:
	v_and_b32_e32 v21, 7, v6
	v_ffbh_u32_e32 v24, v21
	v_min_u32_e32 v28, 32, v24
	v_subrev_u32_e32 v24, 28, v28
	v_lshlrev_b64 v[24:25], v24, v[6:7]
	v_lshrrev_b32_e32 v27, 3, v23
	v_sub_u32_e32 v6, 29, v28
	v_and_b32_e32 v24, 7, v24
	v_cmp_gt_u32_e32 vcc, 8, v23
	v_mov_b32_e32 v23, 24
	v_cndmask_b32_e32 v6, v27, v6, vcc
	v_cndmask_b32_e32 v21, v21, v24, vcc
	v_lshlrev_b32_sdwa v23, v23, v7 dst_sel:DWORD dst_unused:UNUSED_PAD src0_sel:DWORD src1_sel:WORD_1
	v_bfrev_b32_e32 v24, 60
	v_lshlrev_b32_e32 v21, 20, v21
	v_and_b32_e32 v23, 0x80000000, v23
	v_lshl_add_u32 v6, v6, 23, v24
	v_or3_b32 v6, v23, v6, v21
	v_lshrrev_b32_e32 v21, 16, v6
.LBB834_633:
	s_or_b64 exec, exec, s[12:13]
.LBB834_634:
	s_or_b64 exec, exec, s[10:11]
.LBB834_635:
	s_or_b64 exec, exec, s[8:9]
	s_mov_b32 s7, 0xffffff
	v_cmp_lt_u32_e32 vcc, s7, v7
	s_and_saveexec_b64 s[8:9], vcc
	s_cbranch_execz .LBB834_641
; %bb.636:
	v_lshrrev_b32_e32 v6, 24, v7
	s_movk_i32 s7, 0x80
	v_cmp_ne_u32_e32 vcc, s7, v6
	v_mov_b32_e32 v20, 0xffff8000
	s_and_saveexec_b64 s[10:11], vcc
	s_cbranch_execz .LBB834_640
; %bb.637:
	v_bfe_u32 v7, v7, 24, 7
	s_movk_i32 s7, 0x7f
	v_cmp_ne_u32_e32 vcc, s7, v7
	v_mov_b32_e32 v20, 0x7f80
	s_and_saveexec_b64 s[12:13], vcc
	s_cbranch_execz .LBB834_639
; %bb.638:
	v_and_b32_e32 v20, 7, v6
	v_ffbh_u32_e32 v24, v20
	v_min_u32_e32 v27, 32, v24
	v_subrev_u32_e32 v24, 28, v27
	v_lshlrev_b64 v[24:25], v24, v[6:7]
	v_lshrrev_b32_e32 v23, 3, v7
	v_sub_u32_e32 v25, 29, v27
	v_and_b32_e32 v24, 7, v24
	v_cmp_gt_u32_e32 vcc, 8, v7
	v_cndmask_b32_e32 v7, v23, v25, vcc
	v_cndmask_b32_e32 v20, v20, v24, vcc
	v_lshlrev_b32_e32 v6, 24, v6
	v_bfrev_b32_e32 v23, 60
	v_lshlrev_b32_e32 v20, 20, v20
	v_and_b32_e32 v6, 0x80000000, v6
	v_lshl_add_u32 v7, v7, 23, v23
	v_or3_b32 v6, v6, v7, v20
	v_lshrrev_b32_e32 v20, 16, v6
.LBB834_639:
	s_or_b64 exec, exec, s[12:13]
.LBB834_640:
	s_or_b64 exec, exec, s[10:11]
.LBB834_641:
	s_or_b64 exec, exec, s[8:9]
	s_mov_b32 s7, 0x5040100
	v_perm_b32 v7, v17, v18, s7
	v_perm_b32 v6, v15, v16, s7
	ds_read_b128 v[28:31], v22 offset:4096
	v_perm_b32 v17, v20, v21, s7
	v_perm_b32 v16, v14, v19, s7
	s_waitcnt lgkmcnt(0)
	v_mfma_f32_16x16x16bf16_1k v[10:13], v[6:7], v[28:29], v[10:13]
	v_mov_b32_e32 v7, 0
	v_cmp_ne_u16_sdwa s[10:11], v8, v7 src0_sel:BYTE_0 src1_sel:DWORD
	v_mov_b32_e32 v14, 0
	v_mfma_f32_16x16x16bf16_1k v[10:13], v[16:17], v[30:31], v[10:13]
	s_and_saveexec_b64 s[8:9], s[10:11]
	s_cbranch_execz .LBB834_647
; %bb.642:
	s_movk_i32 s7, 0x80
	v_cmp_ne_u16_sdwa s[12:13], v8, s7 src0_sel:BYTE_0 src1_sel:DWORD
	v_mov_b32_e32 v14, 0xffff8000
	s_and_saveexec_b64 s[10:11], s[12:13]
	s_cbranch_execz .LBB834_646
; %bb.643:
	s_movk_i32 s7, 0x7f
	v_and_b32_e32 v6, 0x7f, v8
	v_cmp_ne_u32_e32 vcc, s7, v6
	v_mov_b32_e32 v14, 0x7f80
	s_and_saveexec_b64 s[12:13], vcc
	s_cbranch_execz .LBB834_645
; %bb.644:
	v_and_b32_e32 v16, 7, v8
	v_ffbh_u32_e32 v14, v16
	v_min_u32_e32 v18, 32, v14
	v_subrev_u32_e32 v14, 28, v18
	v_lshlrev_b64 v[14:15], v14, v[8:9]
	v_lshrrev_b32_e32 v17, 3, v6
	v_sub_u32_e32 v15, 29, v18
	v_and_b32_e32 v14, 7, v14
	v_cmp_gt_u32_e32 vcc, 8, v6
	v_cndmask_b32_e32 v6, v17, v15, vcc
	v_cndmask_b32_e32 v14, v16, v14, vcc
	v_lshlrev_b32_e32 v15, 24, v8
	v_bfrev_b32_e32 v16, 60
	v_lshlrev_b32_e32 v14, 20, v14
	v_and_b32_e32 v15, 0x80000000, v15
	v_lshl_add_u32 v6, v6, 23, v16
	v_or3_b32 v6, v15, v6, v14
	v_lshrrev_b32_e32 v14, 16, v6
.LBB834_645:
	s_or_b64 exec, exec, s[12:13]
.LBB834_646:
	s_or_b64 exec, exec, s[10:11]
.LBB834_647:
	s_or_b64 exec, exec, s[8:9]
	v_lshrrev_b16_e32 v6, 8, v8
	v_cmp_ne_u16_e32 vcc, 0, v6
	s_and_saveexec_b64 s[8:9], vcc
	s_cbranch_execz .LBB834_653
; %bb.648:
	s_movk_i32 s7, 0x80
	v_cmp_ne_u16_e32 vcc, s7, v6
	v_mov_b32_e32 v7, 0xffff8000
	s_and_saveexec_b64 s[10:11], vcc
	s_cbranch_execz .LBB834_652
; %bb.649:
	s_movk_i32 s7, 0x7f
	v_and_b32_e32 v15, 0x7f, v6
	v_cmp_ne_u32_e32 vcc, s7, v15
	v_mov_b32_e32 v7, 0x7f80
	s_and_saveexec_b64 s[12:13], vcc
	s_cbranch_execz .LBB834_651
; %bb.650:
	v_and_b32_e32 v16, 7, v6
	v_ffbh_u32_e32 v7, v16
	v_min_u32_e32 v18, 32, v7
	v_subrev_u32_e32 v7, 28, v18
	v_lshlrev_b64 v[6:7], v7, v[6:7]
	v_lshrrev_b32_e32 v17, 3, v15
	v_sub_u32_e32 v7, 29, v18
	v_and_b32_e32 v6, 7, v6
	v_cmp_gt_u32_e32 vcc, 8, v15
	v_cndmask_b32_e32 v7, v17, v7, vcc
	v_cndmask_b32_e32 v6, v16, v6, vcc
	v_lshlrev_b32_e32 v15, 16, v8
	v_bfrev_b32_e32 v16, 60
	v_lshlrev_b32_e32 v6, 20, v6
	v_and_b32_e32 v15, 0x80000000, v15
	v_lshl_add_u32 v7, v7, 23, v16
	v_or3_b32 v6, v15, v7, v6
	v_lshrrev_b32_e32 v7, 16, v6
.LBB834_651:
	s_or_b64 exec, exec, s[12:13]
.LBB834_652:
	s_or_b64 exec, exec, s[10:11]
.LBB834_653:
	s_or_b64 exec, exec, s[8:9]
	s_movk_i32 s7, 0xff
	v_and_b32_sdwa v17, v8, s7 dst_sel:DWORD dst_unused:UNUSED_PAD src0_sel:WORD_1 src1_sel:DWORD
	v_lshrrev_b32_e32 v6, 16, v8
	v_cmp_ne_u16_e32 vcc, 0, v17
	v_mov_b32_e32 v15, 0
	v_mov_b32_e32 v16, 0
	s_and_saveexec_b64 s[8:9], vcc
	s_cbranch_execz .LBB834_659
; %bb.654:
	s_movk_i32 s7, 0x80
	v_cmp_ne_u16_e32 vcc, s7, v17
	v_mov_b32_e32 v16, 0xffff8000
	s_and_saveexec_b64 s[10:11], vcc
	s_cbranch_execz .LBB834_658
; %bb.655:
	v_bfe_u32 v17, v8, 16, 7
	s_movk_i32 s7, 0x7f
	v_cmp_ne_u32_e32 vcc, s7, v17
	v_mov_b32_e32 v16, 0x7f80
	s_and_saveexec_b64 s[12:13], vcc
	s_cbranch_execz .LBB834_657
; %bb.656:
	v_and_b32_e32 v16, 7, v6
	v_ffbh_u32_e32 v18, v16
	v_min_u32_e32 v21, 32, v18
	v_subrev_u32_e32 v18, 28, v21
	v_lshlrev_b64 v[18:19], v18, v[6:7]
	v_lshrrev_b32_e32 v20, 3, v17
	v_sub_u32_e32 v6, 29, v21
	v_and_b32_e32 v18, 7, v18
	v_cmp_gt_u32_e32 vcc, 8, v17
	v_mov_b32_e32 v17, 24
	v_cndmask_b32_e32 v6, v20, v6, vcc
	v_cndmask_b32_e32 v16, v16, v18, vcc
	v_lshlrev_b32_sdwa v17, v17, v8 dst_sel:DWORD dst_unused:UNUSED_PAD src0_sel:DWORD src1_sel:WORD_1
	v_bfrev_b32_e32 v18, 60
	v_lshlrev_b32_e32 v16, 20, v16
	v_and_b32_e32 v17, 0x80000000, v17
	v_lshl_add_u32 v6, v6, 23, v18
	v_or3_b32 v6, v17, v6, v16
	v_lshrrev_b32_e32 v16, 16, v6
.LBB834_657:
	s_or_b64 exec, exec, s[12:13]
.LBB834_658:
	s_or_b64 exec, exec, s[10:11]
.LBB834_659:
	s_or_b64 exec, exec, s[8:9]
	s_mov_b32 s7, 0xffffff
	v_cmp_lt_u32_e32 vcc, s7, v8
	s_and_saveexec_b64 s[8:9], vcc
	s_cbranch_execz .LBB834_665
; %bb.660:
	v_lshrrev_b32_e32 v6, 24, v8
	s_movk_i32 s7, 0x80
	v_cmp_ne_u32_e32 vcc, s7, v6
	v_mov_b32_e32 v15, 0xffff8000
	s_and_saveexec_b64 s[10:11], vcc
	s_cbranch_execz .LBB834_664
; %bb.661:
	v_bfe_u32 v8, v8, 24, 7
	s_movk_i32 s7, 0x7f
	v_cmp_ne_u32_e32 vcc, s7, v8
	v_mov_b32_e32 v15, 0x7f80
	s_and_saveexec_b64 s[12:13], vcc
	s_cbranch_execz .LBB834_663
; %bb.662:
	v_and_b32_e32 v15, 7, v6
	v_ffbh_u32_e32 v18, v15
	v_min_u32_e32 v20, 32, v18
	v_subrev_u32_e32 v18, 28, v20
	v_lshlrev_b64 v[18:19], v18, v[6:7]
	v_lshrrev_b32_e32 v17, 3, v8
	v_sub_u32_e32 v19, 29, v20
	v_and_b32_e32 v18, 7, v18
	v_cmp_gt_u32_e32 vcc, 8, v8
	v_cndmask_b32_e32 v8, v17, v19, vcc
	v_cndmask_b32_e32 v15, v15, v18, vcc
	v_lshlrev_b32_e32 v6, 24, v6
	v_bfrev_b32_e32 v17, 60
	v_lshlrev_b32_e32 v15, 20, v15
	v_and_b32_e32 v6, 0x80000000, v6
	v_lshl_add_u32 v8, v8, 23, v17
	v_or3_b32 v6, v6, v8, v15
	v_lshrrev_b32_e32 v15, 16, v6
.LBB834_663:
	s_or_b64 exec, exec, s[12:13]
.LBB834_664:
	s_or_b64 exec, exec, s[10:11]
.LBB834_665:
	s_or_b64 exec, exec, s[8:9]
	v_mov_b32_e32 v8, 0
	v_cmp_ne_u16_sdwa s[10:11], v9, v8 src0_sel:BYTE_0 src1_sel:DWORD
	v_mov_b32_e32 v17, 0
	s_and_saveexec_b64 s[8:9], s[10:11]
	s_cbranch_execz .LBB834_671
; %bb.666:
	s_movk_i32 s7, 0x80
	v_cmp_ne_u16_sdwa s[12:13], v9, s7 src0_sel:BYTE_0 src1_sel:DWORD
	v_mov_b32_e32 v17, 0xffff8000
	s_and_saveexec_b64 s[10:11], s[12:13]
	s_cbranch_execz .LBB834_670
; %bb.667:
	s_movk_i32 s7, 0x7f
	v_and_b32_e32 v6, 0x7f, v9
	v_cmp_ne_u32_e32 vcc, s7, v6
	v_mov_b32_e32 v17, 0x7f80
	s_and_saveexec_b64 s[12:13], vcc
	s_cbranch_execz .LBB834_669
; %bb.668:
	v_and_b32_e32 v17, 7, v9
	v_ffbh_u32_e32 v19, v17
	v_min_u32_e32 v21, 32, v19
	v_mov_b32_e32 v18, v9
	v_subrev_u32_e32 v19, 28, v21
	v_lshlrev_b64 v[18:19], v19, v[18:19]
	v_lshrrev_b32_e32 v20, 3, v6
	v_sub_u32_e32 v19, 29, v21
	v_and_b32_e32 v18, 7, v18
	v_cmp_gt_u32_e32 vcc, 8, v6
	v_cndmask_b32_e32 v6, v20, v19, vcc
	v_cndmask_b32_e32 v17, v17, v18, vcc
	v_lshlrev_b32_e32 v18, 24, v9
	v_bfrev_b32_e32 v19, 60
	v_lshlrev_b32_e32 v17, 20, v17
	v_and_b32_e32 v18, 0x80000000, v18
	v_lshl_add_u32 v6, v6, 23, v19
	v_or3_b32 v6, v18, v6, v17
	v_lshrrev_b32_e32 v17, 16, v6
.LBB834_669:
	s_or_b64 exec, exec, s[12:13]
.LBB834_670:
	s_or_b64 exec, exec, s[10:11]
.LBB834_671:
	s_or_b64 exec, exec, s[8:9]
	v_lshrrev_b16_e32 v6, 8, v9
	v_cmp_ne_u16_e32 vcc, 0, v6
	s_and_saveexec_b64 s[8:9], vcc
	s_cbranch_execz .LBB834_677
; %bb.672:
	s_movk_i32 s7, 0x80
	v_cmp_ne_u16_e32 vcc, s7, v6
	v_mov_b32_e32 v8, 0xffff8000
	s_and_saveexec_b64 s[10:11], vcc
	s_cbranch_execz .LBB834_676
; %bb.673:
	s_movk_i32 s7, 0x7f
	v_and_b32_e32 v18, 0x7f, v6
	v_cmp_ne_u32_e32 vcc, s7, v18
	v_mov_b32_e32 v8, 0x7f80
	s_and_saveexec_b64 s[12:13], vcc
	s_cbranch_execz .LBB834_675
; %bb.674:
	v_and_b32_e32 v8, 7, v6
	v_ffbh_u32_e32 v20, v8
	v_min_u32_e32 v23, 32, v20
	v_subrev_u32_e32 v20, 28, v23
	v_lshlrev_b64 v[20:21], v20, v[6:7]
	v_lshrrev_b32_e32 v19, 3, v18
	v_sub_u32_e32 v6, 29, v23
	v_and_b32_e32 v20, 7, v20
	v_cmp_gt_u32_e32 vcc, 8, v18
	v_cndmask_b32_e32 v6, v19, v6, vcc
	v_cndmask_b32_e32 v8, v8, v20, vcc
	v_lshlrev_b32_e32 v18, 16, v9
	v_bfrev_b32_e32 v19, 60
	v_lshlrev_b32_e32 v8, 20, v8
	v_and_b32_e32 v18, 0x80000000, v18
	v_lshl_add_u32 v6, v6, 23, v19
	v_or3_b32 v6, v18, v6, v8
	v_lshrrev_b32_e32 v8, 16, v6
.LBB834_675:
	s_or_b64 exec, exec, s[12:13]
.LBB834_676:
	s_or_b64 exec, exec, s[10:11]
.LBB834_677:
	s_or_b64 exec, exec, s[8:9]
	s_movk_i32 s7, 0xff
	v_and_b32_sdwa v20, v9, s7 dst_sel:DWORD dst_unused:UNUSED_PAD src0_sel:WORD_1 src1_sel:DWORD
	v_lshrrev_b32_e32 v6, 16, v9
	v_cmp_ne_u16_e32 vcc, 0, v20
	v_mov_b32_e32 v18, 0
	v_mov_b32_e32 v19, 0
	s_and_saveexec_b64 s[8:9], vcc
	s_cbranch_execz .LBB834_683
; %bb.678:
	s_movk_i32 s7, 0x80
	v_cmp_ne_u16_e32 vcc, s7, v20
	v_mov_b32_e32 v19, 0xffff8000
	s_and_saveexec_b64 s[10:11], vcc
	s_cbranch_execz .LBB834_682
; %bb.679:
	v_bfe_u32 v20, v9, 16, 7
	s_movk_i32 s7, 0x7f
	v_cmp_ne_u32_e32 vcc, s7, v20
	v_mov_b32_e32 v19, 0x7f80
	s_and_saveexec_b64 s[12:13], vcc
	s_cbranch_execz .LBB834_681
; %bb.680:
	v_and_b32_e32 v19, 7, v6
	v_ffbh_u32_e32 v23, v19
	v_min_u32_e32 v23, 32, v23
	v_subrev_u32_e32 v24, 28, v23
	v_lshlrev_b64 v[24:25], v24, v[6:7]
	v_lshrrev_b32_e32 v21, 3, v20
	v_sub_u32_e32 v6, 29, v23
	v_and_b32_e32 v23, 7, v24
	v_cmp_gt_u32_e32 vcc, 8, v20
	v_mov_b32_e32 v20, 24
	v_cndmask_b32_e32 v6, v21, v6, vcc
	v_cndmask_b32_e32 v19, v19, v23, vcc
	v_lshlrev_b32_sdwa v20, v20, v9 dst_sel:DWORD dst_unused:UNUSED_PAD src0_sel:DWORD src1_sel:WORD_1
	v_bfrev_b32_e32 v21, 60
	v_lshlrev_b32_e32 v19, 20, v19
	v_and_b32_e32 v20, 0x80000000, v20
	v_lshl_add_u32 v6, v6, 23, v21
	v_or3_b32 v6, v20, v6, v19
	v_lshrrev_b32_e32 v19, 16, v6
.LBB834_681:
	s_or_b64 exec, exec, s[12:13]
.LBB834_682:
	s_or_b64 exec, exec, s[10:11]
.LBB834_683:
	s_or_b64 exec, exec, s[8:9]
	s_mov_b32 s7, 0xffffff
	v_cmp_lt_u32_e32 vcc, s7, v9
	s_and_saveexec_b64 s[8:9], vcc
	s_cbranch_execz .LBB834_689
; %bb.684:
	v_lshrrev_b32_e32 v6, 24, v9
	s_movk_i32 s7, 0x80
	v_cmp_ne_u32_e32 vcc, s7, v6
	v_mov_b32_e32 v18, 0xffff8000
	s_and_saveexec_b64 s[10:11], vcc
	s_cbranch_execz .LBB834_688
; %bb.685:
	v_bfe_u32 v9, v9, 24, 7
	s_movk_i32 s7, 0x7f
	v_cmp_ne_u32_e32 vcc, s7, v9
	v_mov_b32_e32 v18, 0x7f80
	s_and_saveexec_b64 s[12:13], vcc
	s_cbranch_execz .LBB834_687
; %bb.686:
	v_and_b32_e32 v18, 7, v6
	v_ffbh_u32_e32 v20, v18
	v_min_u32_e32 v24, 32, v20
	v_subrev_u32_e32 v20, 28, v24
	v_lshlrev_b64 v[20:21], v20, v[6:7]
	v_lshrrev_b32_e32 v23, 3, v9
	v_sub_u32_e32 v21, 29, v24
	v_and_b32_e32 v20, 7, v20
	v_cmp_gt_u32_e32 vcc, 8, v9
	v_cndmask_b32_e32 v9, v23, v21, vcc
	v_cndmask_b32_e32 v18, v18, v20, vcc
	v_lshlrev_b32_e32 v6, 24, v6
	v_bfrev_b32_e32 v20, 60
	v_lshlrev_b32_e32 v18, 20, v18
	v_and_b32_e32 v6, 0x80000000, v6
	v_lshl_add_u32 v9, v9, 23, v20
	v_or3_b32 v6, v6, v9, v18
	v_lshrrev_b32_e32 v18, 16, v6
.LBB834_687:
	s_or_b64 exec, exec, s[12:13]
.LBB834_688:
	s_or_b64 exec, exec, s[10:11]
.LBB834_689:
	s_or_b64 exec, exec, s[8:9]
	s_mov_b32 s7, 0x5040100
	v_perm_b32 v15, v15, v16, s7
	v_perm_b32 v14, v7, v14, s7
	ds_read_b128 v[28:31], v22 offset:4112
	v_perm_b32 v7, v18, v19, s7
	v_perm_b32 v6, v8, v17, s7
	s_waitcnt lgkmcnt(0)
	v_mfma_f32_16x16x16bf16_1k v[32:35], v[14:15], v[28:29], v[10:13]
	s_nop 6
	v_mov_b32_e32 v11, 0
	s_waitcnt vmcnt(0)
	v_cmp_ne_u16_sdwa s[10:11], v2, v11 src0_sel:BYTE_0 src1_sel:DWORD
	v_mfma_f32_16x16x16bf16_1k v[6:9], v[6:7], v[30:31], v[32:35]
	v_mov_b32_e32 v12, 0
	s_and_saveexec_b64 s[8:9], s[10:11]
	s_cbranch_execz .LBB834_695
; %bb.690:
	s_movk_i32 s7, 0x80
	v_cmp_ne_u16_sdwa s[12:13], v2, s7 src0_sel:BYTE_0 src1_sel:DWORD
	v_mov_b32_e32 v12, 0xffff8000
	s_and_saveexec_b64 s[10:11], s[12:13]
	s_cbranch_execz .LBB834_694
; %bb.691:
	s_movk_i32 s7, 0x7f
	v_and_b32_e32 v10, 0x7f, v2
	v_cmp_ne_u32_e32 vcc, s7, v10
	v_mov_b32_e32 v12, 0x7f80
	s_and_saveexec_b64 s[12:13], vcc
	s_cbranch_execz .LBB834_693
; %bb.692:
	v_and_b32_e32 v14, 7, v2
	v_ffbh_u32_e32 v12, v14
	v_min_u32_e32 v16, 32, v12
	v_subrev_u32_e32 v12, 28, v16
	v_lshlrev_b64 v[12:13], v12, v[2:3]
	v_lshrrev_b32_e32 v15, 3, v10
	v_sub_u32_e32 v13, 29, v16
	v_and_b32_e32 v12, 7, v12
	v_cmp_gt_u32_e32 vcc, 8, v10
	v_cndmask_b32_e32 v10, v15, v13, vcc
	v_cndmask_b32_e32 v12, v14, v12, vcc
	v_lshlrev_b32_e32 v13, 24, v2
	v_bfrev_b32_e32 v14, 60
	v_lshlrev_b32_e32 v12, 20, v12
	v_and_b32_e32 v13, 0x80000000, v13
	v_lshl_add_u32 v10, v10, 23, v14
	v_or3_b32 v10, v13, v10, v12
	v_lshrrev_b32_e32 v12, 16, v10
.LBB834_693:
	s_or_b64 exec, exec, s[12:13]
.LBB834_694:
	s_or_b64 exec, exec, s[10:11]
.LBB834_695:
	s_or_b64 exec, exec, s[8:9]
	v_lshrrev_b16_e32 v10, 8, v2
	v_cmp_ne_u16_e32 vcc, 0, v10
	s_and_saveexec_b64 s[8:9], vcc
	s_cbranch_execz .LBB834_701
; %bb.696:
	s_movk_i32 s7, 0x80
	v_cmp_ne_u16_e32 vcc, s7, v10
	v_mov_b32_e32 v11, 0xffff8000
	s_and_saveexec_b64 s[10:11], vcc
	s_cbranch_execz .LBB834_700
; %bb.697:
	s_movk_i32 s7, 0x7f
	v_and_b32_e32 v13, 0x7f, v10
	v_cmp_ne_u32_e32 vcc, s7, v13
	v_mov_b32_e32 v11, 0x7f80
	s_and_saveexec_b64 s[12:13], vcc
	s_cbranch_execz .LBB834_699
; %bb.698:
	v_and_b32_e32 v14, 7, v10
	v_ffbh_u32_e32 v11, v14
	v_min_u32_e32 v16, 32, v11
	v_subrev_u32_e32 v11, 28, v16
	v_lshlrev_b64 v[10:11], v11, v[10:11]
	v_lshrrev_b32_e32 v15, 3, v13
	v_sub_u32_e32 v11, 29, v16
	v_and_b32_e32 v10, 7, v10
	v_cmp_gt_u32_e32 vcc, 8, v13
	v_cndmask_b32_e32 v11, v15, v11, vcc
	v_cndmask_b32_e32 v10, v14, v10, vcc
	v_lshlrev_b32_e32 v13, 16, v2
	v_bfrev_b32_e32 v14, 60
	v_lshlrev_b32_e32 v10, 20, v10
	v_and_b32_e32 v13, 0x80000000, v13
	v_lshl_add_u32 v11, v11, 23, v14
	v_or3_b32 v10, v13, v11, v10
	v_lshrrev_b32_e32 v11, 16, v10
.LBB834_699:
	s_or_b64 exec, exec, s[12:13]
.LBB834_700:
	s_or_b64 exec, exec, s[10:11]
.LBB834_701:
	s_or_b64 exec, exec, s[8:9]
	s_movk_i32 s7, 0xff
	v_and_b32_sdwa v15, v2, s7 dst_sel:DWORD dst_unused:UNUSED_PAD src0_sel:WORD_1 src1_sel:DWORD
	v_lshrrev_b32_e32 v10, 16, v2
	v_cmp_ne_u16_e32 vcc, 0, v15
	v_mov_b32_e32 v13, 0
	v_mov_b32_e32 v14, 0
	s_and_saveexec_b64 s[8:9], vcc
	s_cbranch_execz .LBB834_707
; %bb.702:
	s_movk_i32 s7, 0x80
	v_cmp_ne_u16_e32 vcc, s7, v15
	v_mov_b32_e32 v14, 0xffff8000
	s_and_saveexec_b64 s[10:11], vcc
	s_cbranch_execz .LBB834_706
; %bb.703:
	v_bfe_u32 v15, v2, 16, 7
	s_movk_i32 s7, 0x7f
	v_cmp_ne_u32_e32 vcc, s7, v15
	v_mov_b32_e32 v14, 0x7f80
	s_and_saveexec_b64 s[12:13], vcc
	s_cbranch_execz .LBB834_705
; %bb.704:
	v_and_b32_e32 v14, 7, v10
	v_ffbh_u32_e32 v16, v14
	v_min_u32_e32 v19, 32, v16
	v_subrev_u32_e32 v16, 28, v19
	v_lshlrev_b64 v[16:17], v16, v[10:11]
	v_lshrrev_b32_e32 v18, 3, v15
	v_sub_u32_e32 v10, 29, v19
	v_and_b32_e32 v16, 7, v16
	v_cmp_gt_u32_e32 vcc, 8, v15
	v_mov_b32_e32 v15, 24
	v_cndmask_b32_e32 v10, v18, v10, vcc
	v_cndmask_b32_e32 v14, v14, v16, vcc
	v_lshlrev_b32_sdwa v15, v15, v2 dst_sel:DWORD dst_unused:UNUSED_PAD src0_sel:DWORD src1_sel:WORD_1
	v_bfrev_b32_e32 v16, 60
	v_lshlrev_b32_e32 v14, 20, v14
	v_and_b32_e32 v15, 0x80000000, v15
	v_lshl_add_u32 v10, v10, 23, v16
	v_or3_b32 v10, v15, v10, v14
	v_lshrrev_b32_e32 v14, 16, v10
.LBB834_705:
	s_or_b64 exec, exec, s[12:13]
.LBB834_706:
	s_or_b64 exec, exec, s[10:11]
.LBB834_707:
	s_or_b64 exec, exec, s[8:9]
	s_mov_b32 s7, 0xffffff
	v_cmp_lt_u32_e32 vcc, s7, v2
	s_and_saveexec_b64 s[8:9], vcc
	s_cbranch_execz .LBB834_713
; %bb.708:
	v_lshrrev_b32_e32 v10, 24, v2
	s_movk_i32 s7, 0x80
	v_cmp_ne_u32_e32 vcc, s7, v10
	v_mov_b32_e32 v13, 0xffff8000
	s_and_saveexec_b64 s[10:11], vcc
	s_cbranch_execz .LBB834_712
; %bb.709:
	v_bfe_u32 v2, v2, 24, 7
	s_movk_i32 s7, 0x7f
	v_cmp_ne_u32_e32 vcc, s7, v2
	v_mov_b32_e32 v13, 0x7f80
	s_and_saveexec_b64 s[12:13], vcc
	s_cbranch_execz .LBB834_711
; %bb.710:
	v_and_b32_e32 v13, 7, v10
	v_ffbh_u32_e32 v16, v13
	v_min_u32_e32 v18, 32, v16
	v_subrev_u32_e32 v16, 28, v18
	v_lshlrev_b64 v[16:17], v16, v[10:11]
	v_lshrrev_b32_e32 v15, 3, v2
	v_sub_u32_e32 v17, 29, v18
	v_and_b32_e32 v16, 7, v16
	v_cmp_gt_u32_e32 vcc, 8, v2
	v_cndmask_b32_e32 v2, v15, v17, vcc
	v_cndmask_b32_e32 v13, v13, v16, vcc
	v_lshlrev_b32_e32 v10, 24, v10
	v_bfrev_b32_e32 v15, 60
	v_lshlrev_b32_e32 v13, 20, v13
	v_and_b32_e32 v10, 0x80000000, v10
	v_lshl_add_u32 v2, v2, 23, v15
	v_or3_b32 v2, v10, v2, v13
	v_lshrrev_b32_e32 v13, 16, v2
.LBB834_711:
	s_or_b64 exec, exec, s[12:13]
.LBB834_712:
	s_or_b64 exec, exec, s[10:11]
.LBB834_713:
	s_or_b64 exec, exec, s[8:9]
	v_mov_b32_e32 v10, 0
	v_cmp_ne_u16_sdwa s[10:11], v3, v10 src0_sel:BYTE_0 src1_sel:DWORD
	v_mov_b32_e32 v15, 0
	s_and_saveexec_b64 s[8:9], s[10:11]
	s_cbranch_execz .LBB834_719
; %bb.714:
	s_movk_i32 s7, 0x80
	v_cmp_ne_u16_sdwa s[12:13], v3, s7 src0_sel:BYTE_0 src1_sel:DWORD
	v_mov_b32_e32 v15, 0xffff8000
	s_and_saveexec_b64 s[10:11], s[12:13]
	s_cbranch_execz .LBB834_718
; %bb.715:
	s_movk_i32 s7, 0x7f
	v_and_b32_e32 v2, 0x7f, v3
	v_cmp_ne_u32_e32 vcc, s7, v2
	v_mov_b32_e32 v15, 0x7f80
	s_and_saveexec_b64 s[12:13], vcc
	s_cbranch_execz .LBB834_717
; %bb.716:
	v_and_b32_e32 v15, 7, v3
	v_ffbh_u32_e32 v17, v15
	v_min_u32_e32 v19, 32, v17
	v_mov_b32_e32 v16, v3
	v_subrev_u32_e32 v17, 28, v19
	v_lshlrev_b64 v[16:17], v17, v[16:17]
	v_lshrrev_b32_e32 v18, 3, v2
	v_sub_u32_e32 v17, 29, v19
	v_and_b32_e32 v16, 7, v16
	v_cmp_gt_u32_e32 vcc, 8, v2
	v_cndmask_b32_e32 v2, v18, v17, vcc
	v_cndmask_b32_e32 v15, v15, v16, vcc
	v_lshlrev_b32_e32 v16, 24, v3
	v_bfrev_b32_e32 v17, 60
	v_lshlrev_b32_e32 v15, 20, v15
	v_and_b32_e32 v16, 0x80000000, v16
	v_lshl_add_u32 v2, v2, 23, v17
	v_or3_b32 v2, v16, v2, v15
	v_lshrrev_b32_e32 v15, 16, v2
.LBB834_717:
	s_or_b64 exec, exec, s[12:13]
.LBB834_718:
	s_or_b64 exec, exec, s[10:11]
.LBB834_719:
	s_or_b64 exec, exec, s[8:9]
	v_lshrrev_b16_e32 v2, 8, v3
	v_cmp_ne_u16_e32 vcc, 0, v2
	s_and_saveexec_b64 s[8:9], vcc
	s_cbranch_execz .LBB834_725
; %bb.720:
	s_movk_i32 s7, 0x80
	v_cmp_ne_u16_e32 vcc, s7, v2
	v_mov_b32_e32 v10, 0xffff8000
	s_and_saveexec_b64 s[10:11], vcc
	s_cbranch_execz .LBB834_724
; %bb.721:
	s_movk_i32 s7, 0x7f
	v_and_b32_e32 v16, 0x7f, v2
	v_cmp_ne_u32_e32 vcc, s7, v16
	v_mov_b32_e32 v10, 0x7f80
	s_and_saveexec_b64 s[12:13], vcc
	s_cbranch_execz .LBB834_723
; %bb.722:
	v_and_b32_e32 v10, 7, v2
	v_ffbh_u32_e32 v18, v10
	v_min_u32_e32 v20, 32, v18
	v_subrev_u32_e32 v18, 28, v20
	v_lshlrev_b64 v[18:19], v18, v[2:3]
	v_lshrrev_b32_e32 v17, 3, v16
	v_sub_u32_e32 v2, 29, v20
	v_and_b32_e32 v18, 7, v18
	v_cmp_gt_u32_e32 vcc, 8, v16
	v_cndmask_b32_e32 v2, v17, v2, vcc
	v_cndmask_b32_e32 v10, v10, v18, vcc
	v_lshlrev_b32_e32 v16, 16, v3
	v_bfrev_b32_e32 v17, 60
	v_lshlrev_b32_e32 v10, 20, v10
	v_and_b32_e32 v16, 0x80000000, v16
	v_lshl_add_u32 v2, v2, 23, v17
	v_or3_b32 v2, v16, v2, v10
	v_lshrrev_b32_e32 v10, 16, v2
.LBB834_723:
	s_or_b64 exec, exec, s[12:13]
.LBB834_724:
	s_or_b64 exec, exec, s[10:11]
.LBB834_725:
	s_or_b64 exec, exec, s[8:9]
	s_movk_i32 s7, 0xff
	v_and_b32_sdwa v18, v3, s7 dst_sel:DWORD dst_unused:UNUSED_PAD src0_sel:WORD_1 src1_sel:DWORD
	v_lshrrev_b32_e32 v2, 16, v3
	v_cmp_ne_u16_e32 vcc, 0, v18
	v_mov_b32_e32 v16, 0
	v_mov_b32_e32 v17, 0
	s_and_saveexec_b64 s[8:9], vcc
	s_cbranch_execz .LBB834_731
; %bb.726:
	s_movk_i32 s7, 0x80
	v_cmp_ne_u16_e32 vcc, s7, v18
	v_mov_b32_e32 v17, 0xffff8000
	s_and_saveexec_b64 s[10:11], vcc
	s_cbranch_execz .LBB834_730
; %bb.727:
	v_bfe_u32 v18, v3, 16, 7
	s_movk_i32 s7, 0x7f
	v_cmp_ne_u32_e32 vcc, s7, v18
	v_mov_b32_e32 v17, 0x7f80
	s_and_saveexec_b64 s[12:13], vcc
	s_cbranch_execz .LBB834_729
; %bb.728:
	v_and_b32_e32 v17, 7, v2
	v_ffbh_u32_e32 v20, v17
	v_min_u32_e32 v23, 32, v20
	v_subrev_u32_e32 v20, 28, v23
	v_lshlrev_b64 v[20:21], v20, v[2:3]
	v_lshrrev_b32_e32 v19, 3, v18
	v_sub_u32_e32 v2, 29, v23
	v_and_b32_e32 v20, 7, v20
	v_cmp_gt_u32_e32 vcc, 8, v18
	v_mov_b32_e32 v18, 24
	v_cndmask_b32_e32 v2, v19, v2, vcc
	v_cndmask_b32_e32 v17, v17, v20, vcc
	v_lshlrev_b32_sdwa v18, v18, v3 dst_sel:DWORD dst_unused:UNUSED_PAD src0_sel:DWORD src1_sel:WORD_1
	v_bfrev_b32_e32 v19, 60
	v_lshlrev_b32_e32 v17, 20, v17
	v_and_b32_e32 v18, 0x80000000, v18
	v_lshl_add_u32 v2, v2, 23, v19
	v_or3_b32 v2, v18, v2, v17
	v_lshrrev_b32_e32 v17, 16, v2
.LBB834_729:
	s_or_b64 exec, exec, s[12:13]
.LBB834_730:
	s_or_b64 exec, exec, s[10:11]
.LBB834_731:
	s_or_b64 exec, exec, s[8:9]
	s_mov_b32 s7, 0xffffff
	v_cmp_lt_u32_e32 vcc, s7, v3
	s_and_saveexec_b64 s[8:9], vcc
	s_cbranch_execz .LBB834_737
; %bb.732:
	v_lshrrev_b32_e32 v2, 24, v3
	s_movk_i32 s7, 0x80
	v_cmp_ne_u32_e32 vcc, s7, v2
	v_mov_b32_e32 v16, 0xffff8000
	s_and_saveexec_b64 s[10:11], vcc
	s_cbranch_execz .LBB834_736
; %bb.733:
	v_bfe_u32 v3, v3, 24, 7
	s_movk_i32 s7, 0x7f
	v_cmp_ne_u32_e32 vcc, s7, v3
	v_mov_b32_e32 v16, 0x7f80
	s_and_saveexec_b64 s[12:13], vcc
	s_cbranch_execz .LBB834_735
; %bb.734:
	v_and_b32_e32 v16, 7, v2
	v_ffbh_u32_e32 v18, v16
	v_min_u32_e32 v21, 32, v18
	v_subrev_u32_e32 v18, 28, v21
	v_lshlrev_b64 v[18:19], v18, v[2:3]
	v_lshrrev_b32_e32 v20, 3, v3
	v_sub_u32_e32 v19, 29, v21
	v_and_b32_e32 v18, 7, v18
	v_cmp_gt_u32_e32 vcc, 8, v3
	v_cndmask_b32_e32 v3, v20, v19, vcc
	v_cndmask_b32_e32 v16, v16, v18, vcc
	v_lshlrev_b32_e32 v2, 24, v2
	v_bfrev_b32_e32 v18, 60
	v_lshlrev_b32_e32 v16, 20, v16
	v_and_b32_e32 v2, 0x80000000, v2
	v_lshl_add_u32 v3, v3, 23, v18
	v_or3_b32 v2, v2, v3, v16
	v_lshrrev_b32_e32 v16, 16, v2
.LBB834_735:
	s_or_b64 exec, exec, s[12:13]
.LBB834_736:
	s_or_b64 exec, exec, s[10:11]
.LBB834_737:
	s_or_b64 exec, exec, s[8:9]
	s_mov_b32 s7, 0x5040100
	v_perm_b32 v3, v13, v14, s7
	v_perm_b32 v2, v11, v12, s7
	ds_read_b128 v[18:21], v22 offset:6144
	v_perm_b32 v13, v16, v17, s7
	v_perm_b32 v12, v10, v15, s7
	s_waitcnt lgkmcnt(0)
	v_mfma_f32_16x16x16bf16_1k v[6:9], v[2:3], v[18:19], v[6:9]
	v_mov_b32_e32 v3, 0
	v_cmp_ne_u16_sdwa s[10:11], v4, v3 src0_sel:BYTE_0 src1_sel:DWORD
	v_mov_b32_e32 v10, 0
	v_mfma_f32_16x16x16bf16_1k v[6:9], v[12:13], v[20:21], v[6:9]
	s_and_saveexec_b64 s[8:9], s[10:11]
	s_cbranch_execz .LBB834_743
; %bb.738:
	s_movk_i32 s7, 0x80
	v_cmp_ne_u16_sdwa s[12:13], v4, s7 src0_sel:BYTE_0 src1_sel:DWORD
	v_mov_b32_e32 v10, 0xffff8000
	s_and_saveexec_b64 s[10:11], s[12:13]
	s_cbranch_execz .LBB834_742
; %bb.739:
	s_movk_i32 s7, 0x7f
	v_and_b32_e32 v2, 0x7f, v4
	v_cmp_ne_u32_e32 vcc, s7, v2
	v_mov_b32_e32 v10, 0x7f80
	s_and_saveexec_b64 s[12:13], vcc
	s_cbranch_execz .LBB834_741
; %bb.740:
	v_and_b32_e32 v12, 7, v4
	v_ffbh_u32_e32 v10, v12
	v_min_u32_e32 v14, 32, v10
	v_subrev_u32_e32 v10, 28, v14
	v_lshlrev_b64 v[10:11], v10, v[4:5]
	v_lshrrev_b32_e32 v13, 3, v2
	v_sub_u32_e32 v11, 29, v14
	v_and_b32_e32 v10, 7, v10
	v_cmp_gt_u32_e32 vcc, 8, v2
	v_cndmask_b32_e32 v2, v13, v11, vcc
	v_cndmask_b32_e32 v10, v12, v10, vcc
	v_lshlrev_b32_e32 v11, 24, v4
	v_bfrev_b32_e32 v12, 60
	v_lshlrev_b32_e32 v10, 20, v10
	v_and_b32_e32 v11, 0x80000000, v11
	v_lshl_add_u32 v2, v2, 23, v12
	v_or3_b32 v2, v11, v2, v10
	v_lshrrev_b32_e32 v10, 16, v2
.LBB834_741:
	s_or_b64 exec, exec, s[12:13]
.LBB834_742:
	s_or_b64 exec, exec, s[10:11]
.LBB834_743:
	s_or_b64 exec, exec, s[8:9]
	v_lshrrev_b16_e32 v2, 8, v4
	v_cmp_ne_u16_e32 vcc, 0, v2
	s_and_saveexec_b64 s[8:9], vcc
	s_cbranch_execz .LBB834_749
; %bb.744:
	s_movk_i32 s7, 0x80
	v_cmp_ne_u16_e32 vcc, s7, v2
	v_mov_b32_e32 v3, 0xffff8000
	s_and_saveexec_b64 s[10:11], vcc
	s_cbranch_execz .LBB834_748
; %bb.745:
	s_movk_i32 s7, 0x7f
	v_and_b32_e32 v11, 0x7f, v2
	v_cmp_ne_u32_e32 vcc, s7, v11
	v_mov_b32_e32 v3, 0x7f80
	s_and_saveexec_b64 s[12:13], vcc
	s_cbranch_execz .LBB834_747
; %bb.746:
	v_and_b32_e32 v12, 7, v2
	v_ffbh_u32_e32 v3, v12
	v_min_u32_e32 v14, 32, v3
	v_subrev_u32_e32 v3, 28, v14
	v_lshlrev_b64 v[2:3], v3, v[2:3]
	v_lshrrev_b32_e32 v13, 3, v11
	v_sub_u32_e32 v3, 29, v14
	v_and_b32_e32 v2, 7, v2
	v_cmp_gt_u32_e32 vcc, 8, v11
	v_cndmask_b32_e32 v3, v13, v3, vcc
	v_cndmask_b32_e32 v2, v12, v2, vcc
	v_lshlrev_b32_e32 v11, 16, v4
	v_bfrev_b32_e32 v12, 60
	v_lshlrev_b32_e32 v2, 20, v2
	v_and_b32_e32 v11, 0x80000000, v11
	v_lshl_add_u32 v3, v3, 23, v12
	v_or3_b32 v2, v11, v3, v2
	v_lshrrev_b32_e32 v3, 16, v2
.LBB834_747:
	s_or_b64 exec, exec, s[12:13]
.LBB834_748:
	s_or_b64 exec, exec, s[10:11]
.LBB834_749:
	s_or_b64 exec, exec, s[8:9]
	s_movk_i32 s7, 0xff
	v_and_b32_sdwa v13, v4, s7 dst_sel:DWORD dst_unused:UNUSED_PAD src0_sel:WORD_1 src1_sel:DWORD
	v_lshrrev_b32_e32 v2, 16, v4
	v_cmp_ne_u16_e32 vcc, 0, v13
	v_mov_b32_e32 v11, 0
	v_mov_b32_e32 v12, 0
	s_and_saveexec_b64 s[8:9], vcc
	s_cbranch_execz .LBB834_755
; %bb.750:
	s_movk_i32 s7, 0x80
	v_cmp_ne_u16_e32 vcc, s7, v13
	v_mov_b32_e32 v12, 0xffff8000
	s_and_saveexec_b64 s[10:11], vcc
	s_cbranch_execz .LBB834_754
; %bb.751:
	v_bfe_u32 v13, v4, 16, 7
	s_movk_i32 s7, 0x7f
	v_cmp_ne_u32_e32 vcc, s7, v13
	v_mov_b32_e32 v12, 0x7f80
	s_and_saveexec_b64 s[12:13], vcc
	s_cbranch_execz .LBB834_753
; %bb.752:
	v_and_b32_e32 v12, 7, v2
	v_ffbh_u32_e32 v14, v12
	v_min_u32_e32 v17, 32, v14
	v_subrev_u32_e32 v14, 28, v17
	v_lshlrev_b64 v[14:15], v14, v[2:3]
	v_lshrrev_b32_e32 v16, 3, v13
	v_sub_u32_e32 v2, 29, v17
	v_and_b32_e32 v14, 7, v14
	v_cmp_gt_u32_e32 vcc, 8, v13
	v_mov_b32_e32 v13, 24
	v_cndmask_b32_e32 v2, v16, v2, vcc
	v_cndmask_b32_e32 v12, v12, v14, vcc
	v_lshlrev_b32_sdwa v13, v13, v4 dst_sel:DWORD dst_unused:UNUSED_PAD src0_sel:DWORD src1_sel:WORD_1
	v_bfrev_b32_e32 v14, 60
	v_lshlrev_b32_e32 v12, 20, v12
	v_and_b32_e32 v13, 0x80000000, v13
	v_lshl_add_u32 v2, v2, 23, v14
	v_or3_b32 v2, v13, v2, v12
	v_lshrrev_b32_e32 v12, 16, v2
.LBB834_753:
	s_or_b64 exec, exec, s[12:13]
.LBB834_754:
	s_or_b64 exec, exec, s[10:11]
.LBB834_755:
	s_or_b64 exec, exec, s[8:9]
	s_mov_b32 s7, 0xffffff
	v_cmp_lt_u32_e32 vcc, s7, v4
	s_and_saveexec_b64 s[8:9], vcc
	s_cbranch_execz .LBB834_761
; %bb.756:
	v_lshrrev_b32_e32 v2, 24, v4
	s_movk_i32 s7, 0x80
	v_cmp_ne_u32_e32 vcc, s7, v2
	v_mov_b32_e32 v11, 0xffff8000
	s_and_saveexec_b64 s[10:11], vcc
	s_cbranch_execz .LBB834_760
; %bb.757:
	v_bfe_u32 v4, v4, 24, 7
	s_movk_i32 s7, 0x7f
	v_cmp_ne_u32_e32 vcc, s7, v4
	v_mov_b32_e32 v11, 0x7f80
	s_and_saveexec_b64 s[12:13], vcc
	s_cbranch_execz .LBB834_759
; %bb.758:
	v_and_b32_e32 v11, 7, v2
	v_ffbh_u32_e32 v14, v11
	v_min_u32_e32 v16, 32, v14
	v_subrev_u32_e32 v14, 28, v16
	v_lshlrev_b64 v[14:15], v14, v[2:3]
	v_lshrrev_b32_e32 v13, 3, v4
	v_sub_u32_e32 v15, 29, v16
	v_and_b32_e32 v14, 7, v14
	v_cmp_gt_u32_e32 vcc, 8, v4
	v_cndmask_b32_e32 v4, v13, v15, vcc
	v_cndmask_b32_e32 v11, v11, v14, vcc
	v_lshlrev_b32_e32 v2, 24, v2
	v_bfrev_b32_e32 v13, 60
	v_lshlrev_b32_e32 v11, 20, v11
	v_and_b32_e32 v2, 0x80000000, v2
	v_lshl_add_u32 v4, v4, 23, v13
	v_or3_b32 v2, v2, v4, v11
	v_lshrrev_b32_e32 v11, 16, v2
.LBB834_759:
	s_or_b64 exec, exec, s[12:13]
.LBB834_760:
	s_or_b64 exec, exec, s[10:11]
.LBB834_761:
	s_or_b64 exec, exec, s[8:9]
	v_mov_b32_e32 v4, 0
	v_cmp_ne_u16_sdwa s[10:11], v5, v4 src0_sel:BYTE_0 src1_sel:DWORD
	v_mov_b32_e32 v13, 0
	s_and_saveexec_b64 s[8:9], s[10:11]
	s_cbranch_execz .LBB834_767
; %bb.762:
	s_movk_i32 s7, 0x80
	v_cmp_ne_u16_sdwa s[12:13], v5, s7 src0_sel:BYTE_0 src1_sel:DWORD
	v_mov_b32_e32 v13, 0xffff8000
	s_and_saveexec_b64 s[10:11], s[12:13]
	s_cbranch_execz .LBB834_766
; %bb.763:
	s_movk_i32 s7, 0x7f
	v_and_b32_e32 v2, 0x7f, v5
	v_cmp_ne_u32_e32 vcc, s7, v2
	v_mov_b32_e32 v13, 0x7f80
	s_and_saveexec_b64 s[12:13], vcc
	s_cbranch_execz .LBB834_765
; %bb.764:
	v_and_b32_e32 v13, 7, v5
	v_ffbh_u32_e32 v15, v13
	v_min_u32_e32 v17, 32, v15
	v_mov_b32_e32 v14, v5
	v_subrev_u32_e32 v15, 28, v17
	v_lshlrev_b64 v[14:15], v15, v[14:15]
	v_lshrrev_b32_e32 v16, 3, v2
	v_sub_u32_e32 v15, 29, v17
	v_and_b32_e32 v14, 7, v14
	v_cmp_gt_u32_e32 vcc, 8, v2
	v_cndmask_b32_e32 v2, v16, v15, vcc
	v_cndmask_b32_e32 v13, v13, v14, vcc
	v_lshlrev_b32_e32 v14, 24, v5
	v_bfrev_b32_e32 v15, 60
	v_lshlrev_b32_e32 v13, 20, v13
	v_and_b32_e32 v14, 0x80000000, v14
	v_lshl_add_u32 v2, v2, 23, v15
	v_or3_b32 v2, v14, v2, v13
	v_lshrrev_b32_e32 v13, 16, v2
.LBB834_765:
	s_or_b64 exec, exec, s[12:13]
.LBB834_766:
	s_or_b64 exec, exec, s[10:11]
.LBB834_767:
	s_or_b64 exec, exec, s[8:9]
	v_lshrrev_b16_e32 v2, 8, v5
	v_cmp_ne_u16_e32 vcc, 0, v2
	s_and_saveexec_b64 s[8:9], vcc
	s_cbranch_execz .LBB834_773
; %bb.768:
	s_movk_i32 s7, 0x80
	v_cmp_ne_u16_e32 vcc, s7, v2
	v_mov_b32_e32 v4, 0xffff8000
	s_and_saveexec_b64 s[10:11], vcc
	s_cbranch_execz .LBB834_772
; %bb.769:
	s_movk_i32 s7, 0x7f
	v_and_b32_e32 v14, 0x7f, v2
	v_cmp_ne_u32_e32 vcc, s7, v14
	v_mov_b32_e32 v4, 0x7f80
	s_and_saveexec_b64 s[12:13], vcc
	s_cbranch_execz .LBB834_771
; %bb.770:
	v_and_b32_e32 v4, 7, v2
	v_ffbh_u32_e32 v16, v4
	v_min_u32_e32 v18, 32, v16
	v_subrev_u32_e32 v16, 28, v18
	v_lshlrev_b64 v[16:17], v16, v[2:3]
	v_lshrrev_b32_e32 v15, 3, v14
	v_sub_u32_e32 v2, 29, v18
	v_and_b32_e32 v16, 7, v16
	v_cmp_gt_u32_e32 vcc, 8, v14
	v_cndmask_b32_e32 v2, v15, v2, vcc
	v_cndmask_b32_e32 v4, v4, v16, vcc
	v_lshlrev_b32_e32 v14, 16, v5
	v_bfrev_b32_e32 v15, 60
	v_lshlrev_b32_e32 v4, 20, v4
	v_and_b32_e32 v14, 0x80000000, v14
	v_lshl_add_u32 v2, v2, 23, v15
	v_or3_b32 v2, v14, v2, v4
	v_lshrrev_b32_e32 v4, 16, v2
.LBB834_771:
	s_or_b64 exec, exec, s[12:13]
.LBB834_772:
	s_or_b64 exec, exec, s[10:11]
.LBB834_773:
	s_or_b64 exec, exec, s[8:9]
	s_movk_i32 s7, 0xff
	v_and_b32_sdwa v16, v5, s7 dst_sel:DWORD dst_unused:UNUSED_PAD src0_sel:WORD_1 src1_sel:DWORD
	v_lshrrev_b32_e32 v2, 16, v5
	v_cmp_ne_u16_e32 vcc, 0, v16
	v_mov_b32_e32 v14, 0
	v_mov_b32_e32 v15, 0
	s_and_saveexec_b64 s[8:9], vcc
	s_cbranch_execz .LBB834_779
; %bb.774:
	s_movk_i32 s7, 0x80
	v_cmp_ne_u16_e32 vcc, s7, v16
	v_mov_b32_e32 v15, 0xffff8000
	s_and_saveexec_b64 s[10:11], vcc
	s_cbranch_execz .LBB834_778
; %bb.775:
	v_bfe_u32 v16, v5, 16, 7
	s_movk_i32 s7, 0x7f
	v_cmp_ne_u32_e32 vcc, s7, v16
	v_mov_b32_e32 v15, 0x7f80
	s_and_saveexec_b64 s[12:13], vcc
	s_cbranch_execz .LBB834_777
; %bb.776:
	v_and_b32_e32 v15, 7, v2
	v_ffbh_u32_e32 v18, v15
	v_min_u32_e32 v20, 32, v18
	v_subrev_u32_e32 v18, 28, v20
	v_lshlrev_b64 v[18:19], v18, v[2:3]
	v_lshrrev_b32_e32 v17, 3, v16
	v_sub_u32_e32 v2, 29, v20
	v_and_b32_e32 v18, 7, v18
	v_cmp_gt_u32_e32 vcc, 8, v16
	v_mov_b32_e32 v16, 24
	v_cndmask_b32_e32 v2, v17, v2, vcc
	v_cndmask_b32_e32 v15, v15, v18, vcc
	v_lshlrev_b32_sdwa v16, v16, v5 dst_sel:DWORD dst_unused:UNUSED_PAD src0_sel:DWORD src1_sel:WORD_1
	v_bfrev_b32_e32 v17, 60
	v_lshlrev_b32_e32 v15, 20, v15
	v_and_b32_e32 v16, 0x80000000, v16
	v_lshl_add_u32 v2, v2, 23, v17
	v_or3_b32 v2, v16, v2, v15
	v_lshrrev_b32_e32 v15, 16, v2
.LBB834_777:
	s_or_b64 exec, exec, s[12:13]
.LBB834_778:
	s_or_b64 exec, exec, s[10:11]
.LBB834_779:
	s_or_b64 exec, exec, s[8:9]
	s_mov_b32 s7, 0xffffff
	v_cmp_lt_u32_e32 vcc, s7, v5
	s_and_saveexec_b64 s[8:9], vcc
	s_cbranch_execz .LBB834_785
; %bb.780:
	v_lshrrev_b32_e32 v2, 24, v5
	s_movk_i32 s7, 0x80
	v_cmp_ne_u32_e32 vcc, s7, v2
	v_mov_b32_e32 v14, 0xffff8000
	s_and_saveexec_b64 s[10:11], vcc
	s_cbranch_execz .LBB834_784
; %bb.781:
	v_bfe_u32 v5, v5, 24, 7
	s_movk_i32 s7, 0x7f
	v_cmp_ne_u32_e32 vcc, s7, v5
	v_mov_b32_e32 v14, 0x7f80
	s_and_saveexec_b64 s[12:13], vcc
	s_cbranch_execz .LBB834_783
; %bb.782:
	v_and_b32_e32 v14, 7, v2
	v_ffbh_u32_e32 v16, v14
	v_min_u32_e32 v19, 32, v16
	v_subrev_u32_e32 v16, 28, v19
	v_lshlrev_b64 v[16:17], v16, v[2:3]
	v_lshrrev_b32_e32 v18, 3, v5
	v_sub_u32_e32 v17, 29, v19
	v_and_b32_e32 v16, 7, v16
	v_cmp_gt_u32_e32 vcc, 8, v5
	v_cndmask_b32_e32 v5, v18, v17, vcc
	v_cndmask_b32_e32 v14, v14, v16, vcc
	v_lshlrev_b32_e32 v2, 24, v2
	v_bfrev_b32_e32 v16, 60
	v_lshlrev_b32_e32 v14, 20, v14
	v_and_b32_e32 v2, 0x80000000, v2
	v_lshl_add_u32 v5, v5, 23, v16
	v_or3_b32 v2, v2, v5, v14
	v_lshrrev_b32_e32 v14, 16, v2
.LBB834_783:
	s_or_b64 exec, exec, s[12:13]
.LBB834_784:
	s_or_b64 exec, exec, s[10:11]
.LBB834_785:
	s_or_b64 exec, exec, s[8:9]
	s_mov_b32 s7, 0x5040100
	v_perm_b32 v11, v11, v12, s7
	ds_read_b128 v[16:19], v22 offset:6160
	v_perm_b32 v10, v3, v10, s7
	v_perm_b32 v3, v14, v15, s7
	;; [unrolled: 1-line block ×3, first 2 shown]
	s_waitcnt lgkmcnt(0)
	v_mfma_f32_16x16x16bf16_1k v[6:9], v[10:11], v[16:17], v[6:9]
	s_load_dword s8, s[42:43], 0x0
	s_movk_i32 s9, 0x7fff
	s_mov_b32 s7, 0x7060302
	v_cmp_gt_u32_e32 vcc, 64, v0
	s_and_b64 s[0:1], vcc, s[0:1]
	s_waitcnt lgkmcnt(0)
	s_barrier
	v_mfma_f32_16x16x16bf16_1k v[2:5], v[2:3], v[18:19], v[6:9]
	s_nop 7
	s_nop 2
	v_pk_mul_f32 v[4:5], v[4:5], s[8:9] op_sel_hi:[1,0]
	v_pk_mul_f32 v[2:3], v[2:3], s[8:9] op_sel_hi:[1,0]
	v_bfe_u32 v6, v3, 16, 1
	v_bfe_u32 v7, v2, 16, 1
	;; [unrolled: 1-line block ×4, first 2 shown]
	v_add3_u32 v2, v2, v7, s9
	v_add3_u32 v3, v3, v6, s9
	;; [unrolled: 1-line block ×4, first 2 shown]
	v_perm_b32 v2, v3, v2, s7
	v_perm_b32 v3, v5, v4, s7
	ds_write_b64 v26, v[2:3]
	s_waitcnt lgkmcnt(0)
	s_barrier
	s_and_saveexec_b64 s[8:9], s[0:1]
	s_cbranch_execz .LBB834_788
; %bb.786:
	s_load_dwordx2 s[4:5], s[4:5], 0x68
	s_lshl_b32 s0, s44, 6
	s_mul_i32 s1, s14, s6
	s_mul_hi_u32 s9, s1, s0
	s_mul_i32 s8, s1, s0
	s_lshl_b64 s[8:9], s[8:9], 1
	s_waitcnt lgkmcnt(0)
	s_add_u32 s1, s4, s8
	v_lshlrev_b32_e32 v0, 10, v0
	s_mov_b32 s7, 0
	s_addc_u32 s8, s5, s9
	s_lshl_b32 s6, s24, 6
	v_and_b32_e32 v0, 0x1800, v0
	v_lshlrev_b32_e32 v2, 5, v1
	v_and_b32_e32 v3, 16, v47
	s_lshl_b64 s[4:5], s[6:7], 1
	v_or3_b32 v0, v0, v2, v3
	s_add_u32 s1, s1, s4
	s_addc_u32 s4, s8, s5
	ds_read_b128 v[4:7], v0
	v_add_u32_e32 v8, s25, v1
	v_mov_b32_e32 v3, s4
	v_add_co_u32_e32 v2, vcc, s1, v46
	v_mad_u64_u32 v[8:9], s[4:5], v8, s0, 0
	v_addc_co_u32_e32 v3, vcc, 0, v3, vcc
	v_lshlrev_b64 v[8:9], 1, v[8:9]
	v_add_co_u32_e32 v8, vcc, v2, v8
	v_addc_co_u32_e32 v9, vcc, v3, v9, vcc
	s_waitcnt lgkmcnt(0)
	global_store_dwordx4 v[8:9], v[4:7], off
	s_and_b64 exec, exec, s[2:3]
	s_cbranch_execz .LBB834_788
; %bb.787:
	ds_read_b128 v[4:7], v0 offset:128
	v_add3_u32 v0, s25, v1, 4
	v_mad_u64_u32 v[0:1], s[0:1], v0, s0, 0
	v_lshlrev_b64 v[0:1], 1, v[0:1]
	v_add_co_u32_e32 v0, vcc, v2, v0
	v_addc_co_u32_e32 v1, vcc, v3, v1, vcc
	s_waitcnt lgkmcnt(0)
	global_store_dwordx4 v[0:1], v[4:7], off
.LBB834_788:
	s_endpgm
	.section	.rodata,"a",@progbits
	.p2align	6, 0x0
	.amdhsa_kernel _Z39paged_attention_ll4mi_QKV_mfma16_kernelI14__hip_bfloat16hLN4vllm18Fp8KVCacheDataTypeE1ES0_Li16ELi64ELi256ELb1ELi5EL8MFMAType0EEvPKT_PKT0_S9_ifPKiSB_SB_iPKfiiiPfSE_PS4_PT2_iSD_SD_
		.amdhsa_group_segment_fixed_size 8192
		.amdhsa_private_segment_fixed_size 0
		.amdhsa_kernarg_size 400
		.amdhsa_user_sgpr_count 6
		.amdhsa_user_sgpr_private_segment_buffer 1
		.amdhsa_user_sgpr_dispatch_ptr 0
		.amdhsa_user_sgpr_queue_ptr 0
		.amdhsa_user_sgpr_kernarg_segment_ptr 1
		.amdhsa_user_sgpr_dispatch_id 0
		.amdhsa_user_sgpr_flat_scratch_init 0
		.amdhsa_user_sgpr_kernarg_preload_length 0
		.amdhsa_user_sgpr_kernarg_preload_offset 0
		.amdhsa_user_sgpr_private_segment_size 0
		.amdhsa_uses_dynamic_stack 0
		.amdhsa_system_sgpr_private_segment_wavefront_offset 0
		.amdhsa_system_sgpr_workgroup_id_x 1
		.amdhsa_system_sgpr_workgroup_id_y 1
		.amdhsa_system_sgpr_workgroup_id_z 1
		.amdhsa_system_sgpr_workgroup_info 0
		.amdhsa_system_vgpr_workitem_id 0
		.amdhsa_next_free_vgpr 62
		.amdhsa_next_free_sgpr 47
		.amdhsa_accum_offset 64
		.amdhsa_reserve_vcc 1
		.amdhsa_reserve_flat_scratch 0
		.amdhsa_float_round_mode_32 0
		.amdhsa_float_round_mode_16_64 0
		.amdhsa_float_denorm_mode_32 3
		.amdhsa_float_denorm_mode_16_64 3
		.amdhsa_dx10_clamp 1
		.amdhsa_ieee_mode 1
		.amdhsa_fp16_overflow 0
		.amdhsa_tg_split 0
		.amdhsa_exception_fp_ieee_invalid_op 0
		.amdhsa_exception_fp_denorm_src 0
		.amdhsa_exception_fp_ieee_div_zero 0
		.amdhsa_exception_fp_ieee_overflow 0
		.amdhsa_exception_fp_ieee_underflow 0
		.amdhsa_exception_fp_ieee_inexact 0
		.amdhsa_exception_int_div_zero 0
	.end_amdhsa_kernel
	.section	.text._Z39paged_attention_ll4mi_QKV_mfma16_kernelI14__hip_bfloat16hLN4vllm18Fp8KVCacheDataTypeE1ES0_Li16ELi64ELi256ELb1ELi5EL8MFMAType0EEvPKT_PKT0_S9_ifPKiSB_SB_iPKfiiiPfSE_PS4_PT2_iSD_SD_,"axG",@progbits,_Z39paged_attention_ll4mi_QKV_mfma16_kernelI14__hip_bfloat16hLN4vllm18Fp8KVCacheDataTypeE1ES0_Li16ELi64ELi256ELb1ELi5EL8MFMAType0EEvPKT_PKT0_S9_ifPKiSB_SB_iPKfiiiPfSE_PS4_PT2_iSD_SD_,comdat
.Lfunc_end834:
	.size	_Z39paged_attention_ll4mi_QKV_mfma16_kernelI14__hip_bfloat16hLN4vllm18Fp8KVCacheDataTypeE1ES0_Li16ELi64ELi256ELb1ELi5EL8MFMAType0EEvPKT_PKT0_S9_ifPKiSB_SB_iPKfiiiPfSE_PS4_PT2_iSD_SD_, .Lfunc_end834-_Z39paged_attention_ll4mi_QKV_mfma16_kernelI14__hip_bfloat16hLN4vllm18Fp8KVCacheDataTypeE1ES0_Li16ELi64ELi256ELb1ELi5EL8MFMAType0EEvPKT_PKT0_S9_ifPKiSB_SB_iPKfiiiPfSE_PS4_PT2_iSD_SD_
                                        ; -- End function
	.section	.AMDGPU.csdata,"",@progbits
; Kernel info:
; codeLenInByte = 28632
; NumSgprs: 51
; NumVgprs: 62
; NumAgprs: 0
; TotalNumVgprs: 62
; ScratchSize: 0
; MemoryBound: 0
; FloatMode: 240
; IeeeMode: 1
; LDSByteSize: 8192 bytes/workgroup (compile time only)
; SGPRBlocks: 6
; VGPRBlocks: 7
; NumSGPRsForWavesPerEU: 51
; NumVGPRsForWavesPerEU: 62
; AccumOffset: 64
; Occupancy: 8
; WaveLimiterHint : 1
; COMPUTE_PGM_RSRC2:SCRATCH_EN: 0
; COMPUTE_PGM_RSRC2:USER_SGPR: 6
; COMPUTE_PGM_RSRC2:TRAP_HANDLER: 0
; COMPUTE_PGM_RSRC2:TGID_X_EN: 1
; COMPUTE_PGM_RSRC2:TGID_Y_EN: 1
; COMPUTE_PGM_RSRC2:TGID_Z_EN: 1
; COMPUTE_PGM_RSRC2:TIDIG_COMP_CNT: 0
; COMPUTE_PGM_RSRC3_GFX90A:ACCUM_OFFSET: 15
; COMPUTE_PGM_RSRC3_GFX90A:TG_SPLIT: 0
	.section	.text._Z39paged_attention_ll4mi_QKV_mfma16_kernelI14__hip_bfloat16hLN4vllm18Fp8KVCacheDataTypeE1ES0_Li16ELi64ELi256ELb1ELi6EL8MFMAType0EEvPKT_PKT0_S9_ifPKiSB_SB_iPKfiiiPfSE_PS4_PT2_iSD_SD_,"axG",@progbits,_Z39paged_attention_ll4mi_QKV_mfma16_kernelI14__hip_bfloat16hLN4vllm18Fp8KVCacheDataTypeE1ES0_Li16ELi64ELi256ELb1ELi6EL8MFMAType0EEvPKT_PKT0_S9_ifPKiSB_SB_iPKfiiiPfSE_PS4_PT2_iSD_SD_,comdat
	.protected	_Z39paged_attention_ll4mi_QKV_mfma16_kernelI14__hip_bfloat16hLN4vllm18Fp8KVCacheDataTypeE1ES0_Li16ELi64ELi256ELb1ELi6EL8MFMAType0EEvPKT_PKT0_S9_ifPKiSB_SB_iPKfiiiPfSE_PS4_PT2_iSD_SD_ ; -- Begin function _Z39paged_attention_ll4mi_QKV_mfma16_kernelI14__hip_bfloat16hLN4vllm18Fp8KVCacheDataTypeE1ES0_Li16ELi64ELi256ELb1ELi6EL8MFMAType0EEvPKT_PKT0_S9_ifPKiSB_SB_iPKfiiiPfSE_PS4_PT2_iSD_SD_
	.globl	_Z39paged_attention_ll4mi_QKV_mfma16_kernelI14__hip_bfloat16hLN4vllm18Fp8KVCacheDataTypeE1ES0_Li16ELi64ELi256ELb1ELi6EL8MFMAType0EEvPKT_PKT0_S9_ifPKiSB_SB_iPKfiiiPfSE_PS4_PT2_iSD_SD_
	.p2align	8
	.type	_Z39paged_attention_ll4mi_QKV_mfma16_kernelI14__hip_bfloat16hLN4vllm18Fp8KVCacheDataTypeE1ES0_Li16ELi64ELi256ELb1ELi6EL8MFMAType0EEvPKT_PKT0_S9_ifPKiSB_SB_iPKfiiiPfSE_PS4_PT2_iSD_SD_,@function
_Z39paged_attention_ll4mi_QKV_mfma16_kernelI14__hip_bfloat16hLN4vllm18Fp8KVCacheDataTypeE1ES0_Li16ELi64ELi256ELb1ELi6EL8MFMAType0EEvPKT_PKT0_S9_ifPKiSB_SB_iPKfiiiPfSE_PS4_PT2_iSD_SD_: ; @_Z39paged_attention_ll4mi_QKV_mfma16_kernelI14__hip_bfloat16hLN4vllm18Fp8KVCacheDataTypeE1ES0_Li16ELi64ELi256ELb1ELi6EL8MFMAType0EEvPKT_PKT0_S9_ifPKiSB_SB_iPKfiiiPfSE_PS4_PT2_iSD_SD_
; %bb.0:
	s_load_dwordx2 s[0:1], s[4:5], 0x30
	s_mov_b32 s24, s7
	s_mov_b64 s[10:11], 0
	s_waitcnt lgkmcnt(0)
	s_cmp_lg_u64 s[0:1], 0
	s_cselect_b64 s[2:3], -1, 0
	s_and_b64 vcc, exec, s[2:3]
	s_cbranch_vccz .LBB835_7
; %bb.1:
	s_add_i32 s12, s6, 1
	s_mov_b32 s13, 0
	s_lshl_b64 s[14:15], s[12:13], 2
	s_add_u32 s14, s0, s14
	s_mov_b32 s7, s13
	s_addc_u32 s15, s1, s15
	s_lshl_b64 s[12:13], s[6:7], 2
	s_add_u32 s12, s0, s12
	s_addc_u32 s13, s1, s13
	s_load_dword s9, s[14:15], 0x0
	s_load_dword s16, s[12:13], 0x0
	s_waitcnt lgkmcnt(0)
	s_sub_i32 s9, s9, s16
	s_cmp_eq_u32 s9, 1
	s_cselect_b64 s[12:13], -1, 0
	s_andn2_b64 vcc, exec, s[10:11]
	s_cbranch_vccnz .LBB835_3
.LBB835_2:
	s_mov_b32 s7, 0
	s_mov_b64 s[12:13], -1
.LBB835_3:
	s_andn2_b64 vcc, exec, s[12:13]
	s_cbranch_vccnz .LBB835_788
; %bb.4:
	s_load_dwordx2 s[12:13], s[4:5], 0x28
	s_lshl_b64 s[10:11], s[6:7], 2
	s_waitcnt lgkmcnt(0)
	s_add_u32 s12, s12, s10
	s_addc_u32 s13, s13, s11
	s_load_dword s33, s[12:13], 0x0
	s_lshl_b32 s18, s24, 8
	s_waitcnt lgkmcnt(0)
	s_cmp_ge_i32 s18, s33
	s_cbranch_scc1 .LBB835_788
; %bb.5:
	s_add_i32 s14, s33, 15
	s_load_dwordx2 s[12:13], s[4:5], 0x20
	s_load_dword s9, s[4:5], 0x38
	s_ashr_i32 s15, s14, 31
	v_and_b32_e32 v1, 0xcf, v0
	s_lshr_b32 s15, s15, 28
	v_add_u32_e32 v1, s18, v1
	s_add_i32 s14, s14, s15
	v_ashrrev_i32_e32 v2, 31, v1
	s_ashr_i32 s21, s14, 4
	v_lshrrev_b32_e32 v4, 28, v2
	s_add_i32 s21, s21, -1
	v_add_u32_e32 v2, v1, v4
	s_waitcnt lgkmcnt(0)
	s_mul_i32 s14, s6, s9
	s_mov_b32 s15, 0
	v_ashrrev_i32_e32 v2, 4, v2
	v_mov_b32_e32 v5, s21
	v_cmp_gt_i32_e32 vcc, s33, v1
	s_lshl_b64 s[14:15], s[14:15], 2
	v_cndmask_b32_e32 v2, v5, v2, vcc
	s_add_u32 s19, s12, s14
	v_ashrrev_i32_e32 v3, 31, v2
	s_addc_u32 s20, s13, s15
	v_lshlrev_b64 v[2:3], 2, v[2:3]
	v_mov_b32_e32 v7, s20
	v_add_co_u32_e32 v6, vcc, s19, v2
	v_or_b32_e32 v2, 16, v1
	v_addc_co_u32_e32 v7, vcc, v7, v3, vcc
	v_add_u32_e32 v3, v2, v4
	v_ashrrev_i32_e32 v3, 4, v3
	v_cmp_gt_i32_e32 vcc, s33, v2
	v_cndmask_b32_e32 v2, v5, v3, vcc
	v_ashrrev_i32_e32 v3, 31, v2
	v_lshlrev_b64 v[2:3], 2, v[2:3]
	v_mov_b32_e32 v9, s20
	v_add_co_u32_e32 v8, vcc, s19, v2
	v_or_b32_e32 v2, 32, v1
	v_addc_co_u32_e32 v9, vcc, v9, v3, vcc
	v_add_u32_e32 v3, v2, v4
	v_ashrrev_i32_e32 v3, 4, v3
	v_cmp_gt_i32_e32 vcc, s33, v2
	v_cndmask_b32_e32 v2, v5, v3, vcc
	v_ashrrev_i32_e32 v3, 31, v2
	;; [unrolled: 10-line block ×3, first 2 shown]
	v_lshlrev_b64 v[2:3], 2, v[2:3]
	v_mov_b32_e32 v1, s20
	v_add_co_u32_e32 v12, vcc, s19, v2
	v_addc_co_u32_e32 v13, vcc, v1, v3, vcc
	global_load_dword v5, v[6:7], off
	global_load_dword v4, v[8:9], off
	;; [unrolled: 1-line block ×4, first 2 shown]
	s_load_dwordx2 s[16:17], s[4:5], 0x8
	s_andn2_b64 vcc, exec, s[2:3]
	s_cbranch_vccnz .LBB835_8
; %bb.6:
	s_add_u32 s0, s0, s10
	s_addc_u32 s1, s1, s11
	s_load_dword s9, s[0:1], 0x0
	s_branch .LBB835_9
.LBB835_7:
	s_mov_b64 s[12:13], 0
	s_branch .LBB835_2
.LBB835_8:
	s_mov_b32 s9, s6
.LBB835_9:
	s_load_dwordx2 s[2:3], s[4:5], 0x10
	s_load_dwordx4 s[12:15], s[4:5], 0x48
	v_lshrrev_b32_e32 v49, 6, v0
	v_bfe_u32 v1, v0, 4, 2
	v_lshl_or_b32 v6, v49, 2, v1
	v_and_b32_e32 v48, 15, v0
	v_lshlrev_b32_e32 v7, 3, v48
	v_cmp_gt_u32_e32 vcc, 6, v6
	v_cmp_gt_u32_e64 s[0:1], 8, v48
	s_mul_i32 s25, s8, 6
	s_and_b64 s[22:23], s[0:1], vcc
	v_lshlrev_b32_e32 v46, 1, v7
	v_lshlrev_b32_e32 v47, 4, v0
	s_and_saveexec_b64 s[10:11], s[22:23]
	s_cbranch_execz .LBB835_11
; %bb.10:
	s_load_dwordx2 s[22:23], s[4:5], 0x0
	s_waitcnt lgkmcnt(0)
	s_ashr_i32 s15, s12, 31
	s_mul_hi_u32 s26, s9, s12
	s_mul_i32 s15, s9, s15
	s_add_i32 s27, s26, s15
	s_mul_i32 s26, s9, s12
	s_lshl_b64 s[26:27], s[26:27], 1
	v_add_lshl_u32 v8, v6, s25, 6
	s_add_u32 s9, s22, s26
	v_ashrrev_i32_e32 v9, 31, v8
	s_addc_u32 s12, s23, s27
	v_lshlrev_b64 v[8:9], 1, v[8:9]
	v_mov_b32_e32 v7, s12
	v_add_co_u32_e32 v8, vcc, s9, v8
	v_addc_co_u32_e32 v7, vcc, v7, v9, vcc
	v_add_co_u32_e32 v8, vcc, v8, v46
	v_addc_co_u32_e32 v9, vcc, 0, v7, vcc
	global_load_dwordx4 v[8:11], v[8:9], off
	v_lshlrev_b32_e32 v12, 8, v48
	v_lshlrev_b32_e32 v6, 5, v6
	v_and_b32_e32 v7, 16, v47
	v_and_b32_e32 v12, 0xe00, v12
	v_or3_b32 v6, v12, v6, v7
	s_waitcnt vmcnt(0)
	ds_write_b128 v6, v[8:11]
.LBB835_11:
	s_or_b64 exec, exec, s[10:11]
	s_waitcnt lgkmcnt(0)
	s_mul_i32 s10, s8, s14
	s_add_u32 s8, s16, s10
	s_addc_u32 s9, s17, 0
	v_and_b32_e32 v7, 0xf0, v47
	v_and_b32_e32 v6, 48, v0
	v_mov_b32_e32 v8, s9
	v_add_co_u32_e32 v7, vcc, s8, v7
	v_addc_co_u32_e32 v9, vcc, 0, v8, vcc
	v_lshlrev_b32_e32 v8, 4, v6
	v_add_co_u32_e32 v8, vcc, v7, v8
	v_addc_co_u32_e32 v9, vcc, 0, v9, vcc
	s_waitcnt vmcnt(3)
	v_mad_i64_i32 v[10:11], s[8:9], v5, s13, v[8:9]
	s_waitcnt vmcnt(2)
	v_mad_i64_i32 v[4:5], s[8:9], v4, s13, v[8:9]
	s_barrier
	global_load_dwordx4 v[34:37], v[10:11], off
	global_load_dwordx4 v[38:41], v[4:5], off
	s_waitcnt vmcnt(3)
	v_mad_i64_i32 v[4:5], s[8:9], v2, s13, v[8:9]
	s_waitcnt vmcnt(2)
	v_mad_i64_i32 v[2:3], s[8:9], v3, s13, v[8:9]
	global_load_dwordx4 v[30:33], v[4:5], off
	global_load_dwordx4 v[22:25], v[2:3], off
	v_mul_lo_u16_e32 v2, 43, v48
	v_mov_b32_e32 v3, 6
	v_mul_lo_u16_sdwa v2, v2, v3 dst_sel:DWORD dst_unused:UNUSED_PAD src0_sel:BYTE_1 src1_sel:DWORD
	v_sub_u16_e32 v2, v48, v2
	v_mov_b32_e32 v3, 5
	v_lshlrev_b32_sdwa v2, v3, v2 dst_sel:DWORD dst_unused:UNUSED_PAD src0_sel:DWORD src1_sel:BYTE_0
	v_lshl_add_u32 v2, v1, 9, v2
	ds_read_b128 v[26:29], v2
	ds_read_b128 v[18:21], v2 offset:16
	v_cmp_gt_u32_e32 vcc, 6, v48
	v_mov_b32_e32 v43, 0
	v_mov_b32_e32 v50, 0
	s_and_saveexec_b64 s[8:9], vcc
	s_cbranch_execz .LBB835_13
; %bb.12:
	s_load_dwordx2 s[14:15], s[4:5], 0x40
	v_add_u32_e32 v2, s25, v48
	v_ashrrev_i32_e32 v3, 31, v2
	v_lshlrev_b64 v[2:3], 2, v[2:3]
	s_waitcnt lgkmcnt(0)
	v_mov_b32_e32 v4, s15
	v_add_co_u32_e32 v2, vcc, s14, v2
	v_addc_co_u32_e32 v3, vcc, v4, v3, vcc
	global_load_dword v50, v[2:3], off
.LBB835_13:
	s_or_b64 exec, exec, s[8:9]
	v_or_b32_e32 v8, s18, v6
	v_ashrrev_i32_e32 v2, 4, v8
	v_mov_b32_e32 v9, s21
	v_cmp_gt_i32_e32 vcc, s33, v8
	v_cndmask_b32_e32 v2, v9, v2, vcc
	v_ashrrev_i32_e32 v3, 31, v2
	v_lshlrev_b64 v[2:3], 2, v[2:3]
	v_mov_b32_e32 v4, s20
	v_add_co_u32_e32 v2, vcc, s19, v2
	v_addc_co_u32_e32 v3, vcc, v4, v3, vcc
	v_or_b32_e32 v4, 64, v8
	v_ashrrev_i32_e32 v5, 4, v4
	v_cmp_gt_i32_e32 vcc, s33, v4
	v_cndmask_b32_e32 v4, v9, v5, vcc
	v_ashrrev_i32_e32 v5, 31, v4
	v_lshlrev_b64 v[4:5], 2, v[4:5]
	v_mov_b32_e32 v6, s20
	v_add_co_u32_e32 v4, vcc, s19, v4
	v_addc_co_u32_e32 v5, vcc, v6, v5, vcc
	v_or_b32_e32 v6, 0x80, v8
	v_ashrrev_i32_e32 v7, 4, v6
	v_cmp_gt_i32_e32 vcc, s33, v6
	v_cndmask_b32_e32 v6, v9, v7, vcc
	v_ashrrev_i32_e32 v7, 31, v6
	v_lshlrev_b64 v[6:7], 2, v[6:7]
	v_mov_b32_e32 v10, s20
	v_add_co_u32_e32 v6, vcc, s19, v6
	v_addc_co_u32_e32 v7, vcc, v10, v7, vcc
	global_load_dword v10, v[2:3], off
	global_load_dword v11, v[4:5], off
	;; [unrolled: 1-line block ×3, first 2 shown]
	v_or_b32_e32 v2, 0xc0, v8
	v_ashrrev_i32_e32 v3, 4, v2
	v_cmp_gt_i32_e32 vcc, s33, v2
	v_cndmask_b32_e32 v2, v9, v3, vcc
	v_ashrrev_i32_e32 v3, 31, v2
	v_lshlrev_b64 v[2:3], 2, v[2:3]
	v_mov_b32_e32 v4, s20
	v_add_co_u32_e32 v2, vcc, s19, v2
	v_addc_co_u32_e32 v3, vcc, v4, v3, vcc
	global_load_dword v13, v[2:3], off
	s_add_u32 s2, s2, s10
	v_lshlrev_b32_e32 v2, 4, v48
	s_addc_u32 s3, s3, 0
	v_lshl_or_b32 v2, v49, 8, v2
	v_mov_b32_e32 v3, s3
	v_add_co_u32_e32 v2, vcc, s2, v2
	v_addc_co_u32_e32 v3, vcc, 0, v3, vcc
	s_movk_i32 s8, 0x80
	s_waitcnt vmcnt(7)
	v_cmp_ne_u16_sdwa s[10:11], v34, v43 src0_sel:BYTE_0 src1_sel:DWORD
	s_waitcnt vmcnt(3)
	v_mad_i64_i32 v[4:5], s[2:3], v10, s13, v[2:3]
	s_waitcnt vmcnt(2)
	v_mad_i64_i32 v[6:7], s[2:3], v11, s13, v[2:3]
	;; [unrolled: 2-line block ×4, first 2 shown]
	global_load_dwordx4 v[14:17], v[4:5], off
	global_load_dwordx4 v[10:13], v[6:7], off
                                        ; kill: killed $vgpr6_vgpr7
                                        ; kill: killed $vgpr4_vgpr5
	s_nop 0
	global_load_dwordx4 v[6:9], v[8:9], off
	s_nop 0
	global_load_dwordx4 v[2:5], v[2:3], off
	s_load_dwordx4 s[40:43], s[4:5], 0x80
	s_load_dwordx2 s[44:45], s[4:5], 0x94
                                        ; kill: killed $sgpr40_sgpr41
	s_waitcnt lgkmcnt(0)
	s_load_dword s12, s[40:41], 0x0
	s_and_saveexec_b64 s[2:3], s[10:11]
	s_cbranch_execz .LBB835_19
; %bb.14:
	v_cmp_ne_u16_sdwa s[10:11], v34, s8 src0_sel:BYTE_0 src1_sel:DWORD
	v_mov_b32_e32 v43, 0xffff8000
	s_and_saveexec_b64 s[8:9], s[10:11]
	s_cbranch_execz .LBB835_18
; %bb.15:
	s_movk_i32 s10, 0x7f
	v_and_b32_e32 v42, 0x7f, v34
	v_cmp_ne_u32_e32 vcc, s10, v42
	v_mov_b32_e32 v43, 0x7f80
	s_and_saveexec_b64 s[10:11], vcc
	s_cbranch_execz .LBB835_17
; %bb.16:
	v_and_b32_e32 v43, 7, v34
	v_ffbh_u32_e32 v44, v43
	v_min_u32_e32 v52, 32, v44
	v_subrev_u32_e32 v44, 28, v52
	v_lshlrev_b64 v[44:45], v44, v[34:35]
	v_lshrrev_b32_e32 v51, 3, v42
	v_sub_u32_e32 v45, 29, v52
	v_and_b32_e32 v44, 7, v44
	v_cmp_gt_u32_e32 vcc, 8, v42
	v_cndmask_b32_e32 v42, v51, v45, vcc
	v_cndmask_b32_e32 v43, v43, v44, vcc
	v_lshlrev_b32_e32 v44, 24, v34
	v_bfrev_b32_e32 v45, 60
	v_lshlrev_b32_e32 v43, 20, v43
	v_and_b32_e32 v44, 0x80000000, v44
	v_lshl_add_u32 v42, v42, 23, v45
	v_or3_b32 v42, v44, v42, v43
	v_lshrrev_b32_e32 v43, 16, v42
.LBB835_17:
	s_or_b64 exec, exec, s[10:11]
.LBB835_18:
	s_or_b64 exec, exec, s[8:9]
.LBB835_19:
	s_or_b64 exec, exec, s[2:3]
	v_lshrrev_b16_e32 v42, 8, v34
	v_cmp_ne_u16_e32 vcc, 0, v42
	v_mov_b32_e32 v45, 0
	v_mov_b32_e32 v44, 0
	s_and_saveexec_b64 s[2:3], vcc
	s_cbranch_execz .LBB835_25
; %bb.20:
	s_movk_i32 s8, 0x80
	v_cmp_ne_u16_sdwa s[10:11], v34, s8 src0_sel:BYTE_1 src1_sel:DWORD
	v_mov_b32_e32 v44, 0xffff8000
	s_and_saveexec_b64 s[8:9], s[10:11]
	s_cbranch_execz .LBB835_24
; %bb.21:
	s_movk_i32 s10, 0x7f
	v_and_b32_e32 v51, 0x7f, v42
	v_cmp_ne_u32_e32 vcc, s10, v51
	v_mov_b32_e32 v44, 0x7f80
	s_and_saveexec_b64 s[10:11], vcc
	s_cbranch_execz .LBB835_23
; %bb.22:
	v_and_b32_e32 v44, 7, v42
	v_ffbh_u32_e32 v52, v44
	v_min_u32_e32 v55, 32, v52
	v_subrev_u32_e32 v52, 28, v55
	v_lshlrev_b64 v[52:53], v52, v[42:43]
	v_lshrrev_b32_e32 v54, 3, v51
	v_sub_u32_e32 v42, 29, v55
	v_and_b32_e32 v52, 7, v52
	v_cmp_gt_u32_e32 vcc, 8, v51
	v_cndmask_b32_e32 v42, v54, v42, vcc
	v_cndmask_b32_e32 v44, v44, v52, vcc
	v_lshlrev_b32_e32 v51, 16, v34
	v_bfrev_b32_e32 v52, 60
	v_lshlrev_b32_e32 v44, 20, v44
	v_and_b32_e32 v51, 0x80000000, v51
	v_lshl_add_u32 v42, v42, 23, v52
	v_or3_b32 v42, v51, v42, v44
	v_lshrrev_b32_e32 v44, 16, v42
.LBB835_23:
	s_or_b64 exec, exec, s[10:11]
.LBB835_24:
	s_or_b64 exec, exec, s[8:9]
.LBB835_25:
	s_or_b64 exec, exec, s[2:3]
	s_movk_i32 s2, 0xff
	v_and_b32_sdwa v51, v34, s2 dst_sel:DWORD dst_unused:UNUSED_PAD src0_sel:WORD_1 src1_sel:DWORD
	v_lshrrev_b32_e32 v42, 16, v34
	v_cmp_ne_u16_e32 vcc, 0, v51
	s_and_saveexec_b64 s[2:3], vcc
	s_cbranch_execz .LBB835_31
; %bb.26:
	s_movk_i32 s8, 0x80
	v_cmp_ne_u16_e32 vcc, s8, v51
	v_mov_b32_e32 v45, 0xffff8000
	s_and_saveexec_b64 s[8:9], vcc
	s_cbranch_execz .LBB835_30
; %bb.27:
	v_bfe_u32 v51, v34, 16, 7
	s_movk_i32 s10, 0x7f
	v_cmp_ne_u32_e32 vcc, s10, v51
	v_mov_b32_e32 v45, 0x7f80
	s_and_saveexec_b64 s[10:11], vcc
	s_cbranch_execz .LBB835_29
; %bb.28:
	v_and_b32_e32 v45, 7, v42
	v_ffbh_u32_e32 v52, v45
	v_min_u32_e32 v55, 32, v52
	v_subrev_u32_e32 v52, 28, v55
	v_lshlrev_b64 v[52:53], v52, v[42:43]
	v_lshrrev_b32_e32 v54, 3, v51
	v_sub_u32_e32 v42, 29, v55
	v_and_b32_e32 v52, 7, v52
	v_cmp_gt_u32_e32 vcc, 8, v51
	v_mov_b32_e32 v51, 24
	v_cndmask_b32_e32 v42, v54, v42, vcc
	v_cndmask_b32_e32 v45, v45, v52, vcc
	v_lshlrev_b32_sdwa v51, v51, v34 dst_sel:DWORD dst_unused:UNUSED_PAD src0_sel:DWORD src1_sel:WORD_1
	v_bfrev_b32_e32 v52, 60
	v_lshlrev_b32_e32 v45, 20, v45
	v_and_b32_e32 v51, 0x80000000, v51
	v_lshl_add_u32 v42, v42, 23, v52
	v_or3_b32 v42, v51, v42, v45
	v_lshrrev_b32_e32 v45, 16, v42
.LBB835_29:
	s_or_b64 exec, exec, s[10:11]
.LBB835_30:
	s_or_b64 exec, exec, s[8:9]
.LBB835_31:
	s_or_b64 exec, exec, s[2:3]
	s_mov_b32 s2, 0xffffff
	v_cmp_lt_u32_e32 vcc, s2, v34
	v_mov_b32_e32 v52, 0
	v_mov_b32_e32 v53, 0
	s_and_saveexec_b64 s[2:3], vcc
	s_cbranch_execz .LBB835_37
; %bb.32:
	v_lshrrev_b32_e32 v42, 24, v34
	s_movk_i32 s8, 0x80
	v_cmp_ne_u32_e32 vcc, s8, v42
	v_mov_b32_e32 v53, 0xffff8000
	s_and_saveexec_b64 s[8:9], vcc
	s_cbranch_execz .LBB835_36
; %bb.33:
	v_bfe_u32 v34, v34, 24, 7
	s_movk_i32 s10, 0x7f
	v_cmp_ne_u32_e32 vcc, s10, v34
	v_mov_b32_e32 v53, 0x7f80
	s_and_saveexec_b64 s[10:11], vcc
	s_cbranch_execz .LBB835_35
; %bb.34:
	v_and_b32_e32 v51, 7, v42
	v_ffbh_u32_e32 v54, v51
	v_min_u32_e32 v56, 32, v54
	v_subrev_u32_e32 v54, 28, v56
	v_lshlrev_b64 v[54:55], v54, v[42:43]
	v_lshrrev_b32_e32 v53, 3, v34
	v_sub_u32_e32 v55, 29, v56
	v_and_b32_e32 v54, 7, v54
	v_cmp_gt_u32_e32 vcc, 8, v34
	v_cndmask_b32_e32 v34, v53, v55, vcc
	v_cndmask_b32_e32 v51, v51, v54, vcc
	v_lshlrev_b32_e32 v42, 24, v42
	v_bfrev_b32_e32 v53, 60
	v_lshlrev_b32_e32 v51, 20, v51
	v_and_b32_e32 v42, 0x80000000, v42
	v_lshl_add_u32 v34, v34, 23, v53
	v_or3_b32 v34, v42, v34, v51
	v_lshrrev_b32_e32 v53, 16, v34
.LBB835_35:
	s_or_b64 exec, exec, s[10:11]
.LBB835_36:
	s_or_b64 exec, exec, s[8:9]
.LBB835_37:
	s_or_b64 exec, exec, s[2:3]
	v_cmp_ne_u16_sdwa s[8:9], v35, v52 src0_sel:BYTE_0 src1_sel:DWORD
	s_and_saveexec_b64 s[2:3], s[8:9]
	s_cbranch_execz .LBB835_43
; %bb.38:
	s_movk_i32 s8, 0x80
	v_cmp_ne_u16_sdwa s[10:11], v35, s8 src0_sel:BYTE_0 src1_sel:DWORD
	v_mov_b32_e32 v52, 0xffff8000
	s_and_saveexec_b64 s[8:9], s[10:11]
	s_cbranch_execz .LBB835_42
; %bb.39:
	s_movk_i32 s10, 0x7f
	v_and_b32_e32 v34, 0x7f, v35
	v_cmp_ne_u32_e32 vcc, s10, v34
	v_mov_b32_e32 v52, 0x7f80
	s_and_saveexec_b64 s[10:11], vcc
	s_cbranch_execz .LBB835_41
; %bb.40:
	v_and_b32_e32 v51, 7, v35
	v_ffbh_u32_e32 v54, v51
	v_min_u32_e32 v56, 32, v54
	v_mov_b32_e32 v42, v35
	v_subrev_u32_e32 v54, 28, v56
	v_lshlrev_b64 v[54:55], v54, v[42:43]
	v_lshrrev_b32_e32 v52, 3, v34
	v_sub_u32_e32 v42, 29, v56
	v_and_b32_e32 v54, 7, v54
	v_cmp_gt_u32_e32 vcc, 8, v34
	v_cndmask_b32_e32 v34, v52, v42, vcc
	v_cndmask_b32_e32 v42, v51, v54, vcc
	v_lshlrev_b32_e32 v51, 24, v35
	v_bfrev_b32_e32 v52, 60
	v_lshlrev_b32_e32 v42, 20, v42
	v_and_b32_e32 v51, 0x80000000, v51
	v_lshl_add_u32 v34, v34, 23, v52
	v_or3_b32 v34, v51, v34, v42
	v_lshrrev_b32_e32 v52, 16, v34
.LBB835_41:
	s_or_b64 exec, exec, s[10:11]
.LBB835_42:
	s_or_b64 exec, exec, s[8:9]
.LBB835_43:
	s_or_b64 exec, exec, s[2:3]
	v_lshrrev_b16_e32 v34, 8, v35
	v_cmp_ne_u16_e32 vcc, 0, v34
	v_mov_b32_e32 v54, 0
	v_mov_b32_e32 v42, 0
	s_and_saveexec_b64 s[2:3], vcc
	s_cbranch_execz .LBB835_49
; %bb.44:
	s_movk_i32 s8, 0x80
	v_cmp_ne_u16_e32 vcc, s8, v34
	v_mov_b32_e32 v42, 0xffff8000
	s_and_saveexec_b64 s[8:9], vcc
	s_cbranch_execz .LBB835_48
; %bb.45:
	s_movk_i32 s10, 0x7f
	v_and_b32_e32 v51, 0x7f, v34
	v_cmp_ne_u32_e32 vcc, s10, v51
	v_mov_b32_e32 v42, 0x7f80
	s_and_saveexec_b64 s[10:11], vcc
	s_cbranch_execz .LBB835_47
; %bb.46:
	v_and_b32_e32 v42, 7, v34
	v_ffbh_u32_e32 v56, v42
	v_min_u32_e32 v58, 32, v56
	v_subrev_u32_e32 v56, 28, v58
	v_lshlrev_b64 v[56:57], v56, v[34:35]
	v_lshrrev_b32_e32 v55, 3, v51
	v_sub_u32_e32 v34, 29, v58
	v_and_b32_e32 v56, 7, v56
	v_cmp_gt_u32_e32 vcc, 8, v51
	v_cndmask_b32_e32 v34, v55, v34, vcc
	v_cndmask_b32_e32 v42, v42, v56, vcc
	v_lshlrev_b32_e32 v51, 16, v35
	v_bfrev_b32_e32 v55, 60
	v_lshlrev_b32_e32 v42, 20, v42
	v_and_b32_e32 v51, 0x80000000, v51
	v_lshl_add_u32 v34, v34, 23, v55
	v_or3_b32 v34, v51, v34, v42
	v_lshrrev_b32_e32 v42, 16, v34
.LBB835_47:
	s_or_b64 exec, exec, s[10:11]
.LBB835_48:
	s_or_b64 exec, exec, s[8:9]
.LBB835_49:
	s_or_b64 exec, exec, s[2:3]
	s_movk_i32 s2, 0xff
	v_and_b32_sdwa v51, v35, s2 dst_sel:DWORD dst_unused:UNUSED_PAD src0_sel:WORD_1 src1_sel:DWORD
	v_lshrrev_b32_e32 v34, 16, v35
	v_cmp_ne_u16_e32 vcc, 0, v51
	s_and_saveexec_b64 s[2:3], vcc
	s_cbranch_execz .LBB835_55
; %bb.50:
	s_movk_i32 s8, 0x80
	v_cmp_ne_u16_e32 vcc, s8, v51
	v_mov_b32_e32 v54, 0xffff8000
	s_and_saveexec_b64 s[8:9], vcc
	s_cbranch_execz .LBB835_54
; %bb.51:
	v_bfe_u32 v51, v35, 16, 7
	s_movk_i32 s10, 0x7f
	v_cmp_ne_u32_e32 vcc, s10, v51
	v_mov_b32_e32 v54, 0x7f80
	s_and_saveexec_b64 s[10:11], vcc
	s_cbranch_execz .LBB835_53
; %bb.52:
	v_and_b32_e32 v56, 7, v34
	v_ffbh_u32_e32 v54, v56
	v_min_u32_e32 v58, 32, v54
	v_subrev_u32_e32 v54, 28, v58
	v_lshlrev_b64 v[54:55], v54, v[34:35]
	v_and_b32_e32 v54, 7, v54
	v_cmp_gt_u32_e32 vcc, 8, v51
	v_lshrrev_b32_e32 v57, 3, v51
	v_sub_u32_e32 v34, 29, v58
	v_cndmask_b32_e32 v51, v56, v54, vcc
	v_mov_b32_e32 v54, 24
	v_cndmask_b32_e32 v34, v57, v34, vcc
	v_lshlrev_b32_sdwa v54, v54, v35 dst_sel:DWORD dst_unused:UNUSED_PAD src0_sel:DWORD src1_sel:WORD_1
	v_bfrev_b32_e32 v55, 60
	v_lshlrev_b32_e32 v51, 20, v51
	v_and_b32_e32 v54, 0x80000000, v54
	v_lshl_add_u32 v34, v34, 23, v55
	v_or3_b32 v34, v54, v34, v51
	v_lshrrev_b32_e32 v54, 16, v34
.LBB835_53:
	s_or_b64 exec, exec, s[10:11]
.LBB835_54:
	s_or_b64 exec, exec, s[8:9]
.LBB835_55:
	s_or_b64 exec, exec, s[2:3]
	s_mov_b32 s2, 0xffffff
	v_cmp_lt_u32_e32 vcc, s2, v35
	v_mov_b32_e32 v51, 0
	v_mov_b32_e32 v55, 0
	s_and_saveexec_b64 s[2:3], vcc
	s_cbranch_execz .LBB835_61
; %bb.56:
	v_lshrrev_b32_e32 v34, 24, v35
	s_movk_i32 s8, 0x80
	v_cmp_ne_u32_e32 vcc, s8, v34
	v_mov_b32_e32 v55, 0xffff8000
	s_and_saveexec_b64 s[8:9], vcc
	s_cbranch_execz .LBB835_60
; %bb.57:
	v_bfe_u32 v35, v35, 24, 7
	s_movk_i32 s10, 0x7f
	v_cmp_ne_u32_e32 vcc, s10, v35
	v_mov_b32_e32 v55, 0x7f80
	s_and_saveexec_b64 s[10:11], vcc
	s_cbranch_execz .LBB835_59
; %bb.58:
	v_and_b32_e32 v55, 7, v34
	v_ffbh_u32_e32 v56, v55
	v_min_u32_e32 v59, 32, v56
	v_subrev_u32_e32 v56, 28, v59
	v_lshlrev_b64 v[56:57], v56, v[34:35]
	v_lshrrev_b32_e32 v58, 3, v35
	v_sub_u32_e32 v57, 29, v59
	v_and_b32_e32 v56, 7, v56
	v_cmp_gt_u32_e32 vcc, 8, v35
	v_cndmask_b32_e32 v35, v58, v57, vcc
	v_cndmask_b32_e32 v55, v55, v56, vcc
	v_lshlrev_b32_e32 v34, 24, v34
	v_bfrev_b32_e32 v56, 60
	v_lshlrev_b32_e32 v55, 20, v55
	v_and_b32_e32 v34, 0x80000000, v34
	v_lshl_add_u32 v35, v35, 23, v56
	v_or3_b32 v34, v34, v35, v55
	v_lshrrev_b32_e32 v55, 16, v34
.LBB835_59:
	s_or_b64 exec, exec, s[10:11]
.LBB835_60:
	s_or_b64 exec, exec, s[8:9]
.LBB835_61:
	s_or_b64 exec, exec, s[2:3]
	s_mov_b32 s2, 0x5040100
	v_perm_b32 v35, v53, v45, s2
	v_perm_b32 v34, v44, v43, s2
	v_cmp_ne_u16_sdwa s[8:9], v36, v51 src0_sel:BYTE_0 src1_sel:DWORD
	s_nop 0
	v_mfma_f32_16x16x16bf16_1k v[56:59], v[34:35], v[26:27], 0
	v_perm_b32 v35, v55, v54, s2
	v_perm_b32 v34, v42, v52, s2
	s_nop 1
	v_mfma_f32_16x16x16bf16_1k v[42:45], v[34:35], v[28:29], v[56:59]
	s_and_saveexec_b64 s[2:3], s[8:9]
	s_cbranch_execz .LBB835_67
; %bb.62:
	s_movk_i32 s8, 0x80
	v_cmp_ne_u16_sdwa s[10:11], v36, s8 src0_sel:BYTE_0 src1_sel:DWORD
	v_mov_b32_e32 v51, 0xffff8000
	s_and_saveexec_b64 s[8:9], s[10:11]
	s_cbranch_execz .LBB835_66
; %bb.63:
	s_movk_i32 s10, 0x7f
	v_and_b32_e32 v34, 0x7f, v36
	v_cmp_ne_u32_e32 vcc, s10, v34
	v_mov_b32_e32 v51, 0x7f80
	s_and_saveexec_b64 s[10:11], vcc
	s_cbranch_execz .LBB835_65
; %bb.64:
	v_and_b32_e32 v35, 7, v36
	v_ffbh_u32_e32 v52, v35
	v_min_u32_e32 v54, 32, v52
	v_subrev_u32_e32 v52, 28, v54
	v_lshlrev_b64 v[52:53], v52, v[36:37]
	v_lshrrev_b32_e32 v51, 3, v34
	v_sub_u32_e32 v53, 29, v54
	v_and_b32_e32 v52, 7, v52
	v_cmp_gt_u32_e32 vcc, 8, v34
	v_cndmask_b32_e32 v34, v51, v53, vcc
	v_cndmask_b32_e32 v35, v35, v52, vcc
	v_lshlrev_b32_e32 v51, 24, v36
	v_bfrev_b32_e32 v52, 60
	v_lshlrev_b32_e32 v35, 20, v35
	v_and_b32_e32 v51, 0x80000000, v51
	v_lshl_add_u32 v34, v34, 23, v52
	v_or3_b32 v34, v51, v34, v35
	v_lshrrev_b32_e32 v51, 16, v34
.LBB835_65:
	s_or_b64 exec, exec, s[10:11]
.LBB835_66:
	s_or_b64 exec, exec, s[8:9]
.LBB835_67:
	s_or_b64 exec, exec, s[2:3]
	v_lshrrev_b16_e32 v34, 8, v36
	v_cmp_ne_u16_e32 vcc, 0, v34
	v_mov_b32_e32 v53, 0
	v_mov_b32_e32 v35, 0
	s_and_saveexec_b64 s[2:3], vcc
	s_cbranch_execz .LBB835_73
; %bb.68:
	s_movk_i32 s8, 0x80
	v_cmp_ne_u16_e32 vcc, s8, v34
	v_mov_b32_e32 v35, 0xffff8000
	s_and_saveexec_b64 s[8:9], vcc
	s_cbranch_execz .LBB835_72
; %bb.69:
	s_movk_i32 s10, 0x7f
	v_and_b32_e32 v52, 0x7f, v34
	v_cmp_ne_u32_e32 vcc, s10, v52
	v_mov_b32_e32 v35, 0x7f80
	s_and_saveexec_b64 s[10:11], vcc
	s_cbranch_execz .LBB835_71
; %bb.70:
	v_and_b32_e32 v54, 7, v34
	v_ffbh_u32_e32 v35, v54
	v_min_u32_e32 v56, 32, v35
	v_subrev_u32_e32 v35, 28, v56
	v_lshlrev_b64 v[34:35], v35, v[34:35]
	v_lshrrev_b32_e32 v55, 3, v52
	v_sub_u32_e32 v35, 29, v56
	v_and_b32_e32 v34, 7, v34
	v_cmp_gt_u32_e32 vcc, 8, v52
	v_cndmask_b32_e32 v35, v55, v35, vcc
	v_cndmask_b32_e32 v34, v54, v34, vcc
	v_lshlrev_b32_e32 v52, 16, v36
	v_bfrev_b32_e32 v54, 60
	v_lshlrev_b32_e32 v34, 20, v34
	v_and_b32_e32 v52, 0x80000000, v52
	v_lshl_add_u32 v35, v35, 23, v54
	v_or3_b32 v34, v52, v35, v34
	v_lshrrev_b32_e32 v35, 16, v34
.LBB835_71:
	s_or_b64 exec, exec, s[10:11]
.LBB835_72:
	s_or_b64 exec, exec, s[8:9]
.LBB835_73:
	s_or_b64 exec, exec, s[2:3]
	s_movk_i32 s2, 0xff
	v_and_b32_sdwa v52, v36, s2 dst_sel:DWORD dst_unused:UNUSED_PAD src0_sel:WORD_1 src1_sel:DWORD
	v_lshrrev_b32_e32 v34, 16, v36
	v_cmp_ne_u16_e32 vcc, 0, v52
	s_and_saveexec_b64 s[2:3], vcc
	s_cbranch_execz .LBB835_79
; %bb.74:
	s_movk_i32 s8, 0x80
	v_cmp_ne_u16_e32 vcc, s8, v52
	v_mov_b32_e32 v53, 0xffff8000
	s_and_saveexec_b64 s[8:9], vcc
	s_cbranch_execz .LBB835_78
; %bb.75:
	v_bfe_u32 v52, v36, 16, 7
	s_movk_i32 s10, 0x7f
	v_cmp_ne_u32_e32 vcc, s10, v52
	v_mov_b32_e32 v53, 0x7f80
	s_and_saveexec_b64 s[10:11], vcc
	s_cbranch_execz .LBB835_77
; %bb.76:
	v_and_b32_e32 v53, 7, v34
	v_ffbh_u32_e32 v54, v53
	v_min_u32_e32 v57, 32, v54
	v_subrev_u32_e32 v54, 28, v57
	v_lshlrev_b64 v[54:55], v54, v[34:35]
	v_and_b32_e32 v54, 7, v54
	v_cmp_gt_u32_e32 vcc, 8, v52
	v_lshrrev_b32_e32 v56, 3, v52
	v_sub_u32_e32 v34, 29, v57
	v_cndmask_b32_e32 v52, v53, v54, vcc
	v_mov_b32_e32 v53, 24
	v_cndmask_b32_e32 v34, v56, v34, vcc
	v_lshlrev_b32_sdwa v53, v53, v36 dst_sel:DWORD dst_unused:UNUSED_PAD src0_sel:DWORD src1_sel:WORD_1
	v_bfrev_b32_e32 v54, 60
	v_lshlrev_b32_e32 v52, 20, v52
	v_and_b32_e32 v53, 0x80000000, v53
	v_lshl_add_u32 v34, v34, 23, v54
	v_or3_b32 v34, v53, v34, v52
	v_lshrrev_b32_e32 v53, 16, v34
.LBB835_77:
	s_or_b64 exec, exec, s[10:11]
.LBB835_78:
	s_or_b64 exec, exec, s[8:9]
.LBB835_79:
	s_or_b64 exec, exec, s[2:3]
	s_mov_b32 s2, 0xffffff
	v_cmp_lt_u32_e32 vcc, s2, v36
	v_mov_b32_e32 v54, 0
	v_mov_b32_e32 v55, 0
	s_and_saveexec_b64 s[2:3], vcc
	s_cbranch_execz .LBB835_85
; %bb.80:
	v_lshrrev_b32_e32 v34, 24, v36
	s_movk_i32 s8, 0x80
	v_cmp_ne_u32_e32 vcc, s8, v34
	v_mov_b32_e32 v55, 0xffff8000
	s_and_saveexec_b64 s[8:9], vcc
	s_cbranch_execz .LBB835_84
; %bb.81:
	v_bfe_u32 v36, v36, 24, 7
	s_movk_i32 s10, 0x7f
	v_cmp_ne_u32_e32 vcc, s10, v36
	v_mov_b32_e32 v55, 0x7f80
	s_and_saveexec_b64 s[10:11], vcc
	s_cbranch_execz .LBB835_83
; %bb.82:
	v_and_b32_e32 v52, 7, v34
	v_ffbh_u32_e32 v56, v52
	v_min_u32_e32 v58, 32, v56
	v_subrev_u32_e32 v56, 28, v58
	v_lshlrev_b64 v[56:57], v56, v[34:35]
	v_lshrrev_b32_e32 v55, 3, v36
	v_sub_u32_e32 v57, 29, v58
	v_and_b32_e32 v56, 7, v56
	v_cmp_gt_u32_e32 vcc, 8, v36
	v_cndmask_b32_e32 v36, v55, v57, vcc
	v_cndmask_b32_e32 v52, v52, v56, vcc
	v_lshlrev_b32_e32 v34, 24, v34
	v_bfrev_b32_e32 v55, 60
	v_lshlrev_b32_e32 v52, 20, v52
	v_and_b32_e32 v34, 0x80000000, v34
	v_lshl_add_u32 v36, v36, 23, v55
	v_or3_b32 v34, v34, v36, v52
	v_lshrrev_b32_e32 v55, 16, v34
.LBB835_83:
	s_or_b64 exec, exec, s[10:11]
.LBB835_84:
	s_or_b64 exec, exec, s[8:9]
.LBB835_85:
	s_or_b64 exec, exec, s[2:3]
	v_cmp_ne_u16_sdwa s[8:9], v37, v54 src0_sel:BYTE_0 src1_sel:DWORD
	s_and_saveexec_b64 s[2:3], s[8:9]
	s_cbranch_execz .LBB835_91
; %bb.86:
	s_movk_i32 s8, 0x80
	v_cmp_ne_u16_sdwa s[10:11], v37, s8 src0_sel:BYTE_0 src1_sel:DWORD
	v_mov_b32_e32 v54, 0xffff8000
	s_and_saveexec_b64 s[8:9], s[10:11]
	s_cbranch_execz .LBB835_90
; %bb.87:
	s_movk_i32 s10, 0x7f
	v_and_b32_e32 v34, 0x7f, v37
	v_cmp_ne_u32_e32 vcc, s10, v34
	v_mov_b32_e32 v54, 0x7f80
	s_and_saveexec_b64 s[10:11], vcc
	s_cbranch_execz .LBB835_89
; %bb.88:
	v_and_b32_e32 v52, 7, v37
	v_ffbh_u32_e32 v56, v52
	v_min_u32_e32 v58, 32, v56
	v_mov_b32_e32 v36, v37
	v_subrev_u32_e32 v56, 28, v58
	v_lshlrev_b64 v[56:57], v56, v[36:37]
	v_lshrrev_b32_e32 v54, 3, v34
	v_sub_u32_e32 v36, 29, v58
	v_and_b32_e32 v56, 7, v56
	v_cmp_gt_u32_e32 vcc, 8, v34
	v_cndmask_b32_e32 v34, v54, v36, vcc
	v_cndmask_b32_e32 v36, v52, v56, vcc
	v_lshlrev_b32_e32 v52, 24, v37
	v_bfrev_b32_e32 v54, 60
	v_lshlrev_b32_e32 v36, 20, v36
	v_and_b32_e32 v52, 0x80000000, v52
	v_lshl_add_u32 v34, v34, 23, v54
	v_or3_b32 v34, v52, v34, v36
	v_lshrrev_b32_e32 v54, 16, v34
.LBB835_89:
	s_or_b64 exec, exec, s[10:11]
.LBB835_90:
	s_or_b64 exec, exec, s[8:9]
.LBB835_91:
	s_or_b64 exec, exec, s[2:3]
	v_lshrrev_b16_e32 v34, 8, v37
	v_cmp_ne_u16_e32 vcc, 0, v34
	v_mov_b32_e32 v56, 0
	v_mov_b32_e32 v36, 0
	s_and_saveexec_b64 s[2:3], vcc
	s_cbranch_execz .LBB835_97
; %bb.92:
	s_movk_i32 s8, 0x80
	v_cmp_ne_u16_e32 vcc, s8, v34
	v_mov_b32_e32 v36, 0xffff8000
	s_and_saveexec_b64 s[8:9], vcc
	s_cbranch_execz .LBB835_96
; %bb.93:
	s_movk_i32 s10, 0x7f
	v_and_b32_e32 v52, 0x7f, v34
	v_cmp_ne_u32_e32 vcc, s10, v52
	v_mov_b32_e32 v36, 0x7f80
	s_and_saveexec_b64 s[10:11], vcc
	s_cbranch_execz .LBB835_95
; %bb.94:
	v_and_b32_e32 v36, 7, v34
	v_ffbh_u32_e32 v58, v36
	v_min_u32_e32 v60, 32, v58
	v_subrev_u32_e32 v58, 28, v60
	v_lshlrev_b64 v[58:59], v58, v[34:35]
	v_lshrrev_b32_e32 v57, 3, v52
	v_sub_u32_e32 v34, 29, v60
	v_and_b32_e32 v58, 7, v58
	v_cmp_gt_u32_e32 vcc, 8, v52
	v_cndmask_b32_e32 v34, v57, v34, vcc
	v_cndmask_b32_e32 v36, v36, v58, vcc
	v_lshlrev_b32_e32 v52, 16, v37
	v_bfrev_b32_e32 v57, 60
	v_lshlrev_b32_e32 v36, 20, v36
	v_and_b32_e32 v52, 0x80000000, v52
	v_lshl_add_u32 v34, v34, 23, v57
	v_or3_b32 v34, v52, v34, v36
	v_lshrrev_b32_e32 v36, 16, v34
.LBB835_95:
	s_or_b64 exec, exec, s[10:11]
.LBB835_96:
	s_or_b64 exec, exec, s[8:9]
.LBB835_97:
	s_or_b64 exec, exec, s[2:3]
	s_movk_i32 s2, 0xff
	v_and_b32_sdwa v52, v37, s2 dst_sel:DWORD dst_unused:UNUSED_PAD src0_sel:WORD_1 src1_sel:DWORD
	v_lshrrev_b32_e32 v34, 16, v37
	v_cmp_ne_u16_e32 vcc, 0, v52
	s_and_saveexec_b64 s[2:3], vcc
	s_cbranch_execz .LBB835_103
; %bb.98:
	s_movk_i32 s8, 0x80
	v_cmp_ne_u16_e32 vcc, s8, v52
	v_mov_b32_e32 v56, 0xffff8000
	s_and_saveexec_b64 s[8:9], vcc
	s_cbranch_execz .LBB835_102
; %bb.99:
	v_bfe_u32 v52, v37, 16, 7
	s_movk_i32 s10, 0x7f
	v_cmp_ne_u32_e32 vcc, s10, v52
	v_mov_b32_e32 v56, 0x7f80
	s_and_saveexec_b64 s[10:11], vcc
	s_cbranch_execz .LBB835_101
; %bb.100:
	v_and_b32_e32 v58, 7, v34
	v_ffbh_u32_e32 v56, v58
	v_min_u32_e32 v60, 32, v56
	v_subrev_u32_e32 v56, 28, v60
	v_lshlrev_b64 v[56:57], v56, v[34:35]
	v_and_b32_e32 v56, 7, v56
	v_cmp_gt_u32_e32 vcc, 8, v52
	v_lshrrev_b32_e32 v59, 3, v52
	v_sub_u32_e32 v34, 29, v60
	v_cndmask_b32_e32 v52, v58, v56, vcc
	v_mov_b32_e32 v56, 24
	v_cndmask_b32_e32 v34, v59, v34, vcc
	v_lshlrev_b32_sdwa v56, v56, v37 dst_sel:DWORD dst_unused:UNUSED_PAD src0_sel:DWORD src1_sel:WORD_1
	v_bfrev_b32_e32 v57, 60
	v_lshlrev_b32_e32 v52, 20, v52
	v_and_b32_e32 v56, 0x80000000, v56
	v_lshl_add_u32 v34, v34, 23, v57
	v_or3_b32 v34, v56, v34, v52
	v_lshrrev_b32_e32 v56, 16, v34
.LBB835_101:
	s_or_b64 exec, exec, s[10:11]
.LBB835_102:
	s_or_b64 exec, exec, s[8:9]
.LBB835_103:
	s_or_b64 exec, exec, s[2:3]
	s_mov_b32 s2, 0xffffff
	v_cmp_lt_u32_e32 vcc, s2, v37
	v_mov_b32_e32 v52, 0
	v_mov_b32_e32 v57, 0
	s_and_saveexec_b64 s[2:3], vcc
	s_cbranch_execz .LBB835_109
; %bb.104:
	v_lshrrev_b32_e32 v34, 24, v37
	s_movk_i32 s8, 0x80
	v_cmp_ne_u32_e32 vcc, s8, v34
	v_mov_b32_e32 v57, 0xffff8000
	s_and_saveexec_b64 s[8:9], vcc
	s_cbranch_execz .LBB835_108
; %bb.105:
	v_bfe_u32 v37, v37, 24, 7
	s_movk_i32 s10, 0x7f
	v_cmp_ne_u32_e32 vcc, s10, v37
	v_mov_b32_e32 v57, 0x7f80
	s_and_saveexec_b64 s[10:11], vcc
	s_cbranch_execz .LBB835_107
; %bb.106:
	v_and_b32_e32 v57, 7, v34
	v_ffbh_u32_e32 v58, v57
	v_min_u32_e32 v61, 32, v58
	v_subrev_u32_e32 v58, 28, v61
	v_lshlrev_b64 v[58:59], v58, v[34:35]
	v_lshrrev_b32_e32 v60, 3, v37
	v_sub_u32_e32 v59, 29, v61
	v_and_b32_e32 v58, 7, v58
	v_cmp_gt_u32_e32 vcc, 8, v37
	v_cndmask_b32_e32 v37, v60, v59, vcc
	v_cndmask_b32_e32 v57, v57, v58, vcc
	v_lshlrev_b32_e32 v34, 24, v34
	v_bfrev_b32_e32 v58, 60
	v_lshlrev_b32_e32 v57, 20, v57
	v_and_b32_e32 v34, 0x80000000, v34
	v_lshl_add_u32 v37, v37, 23, v58
	v_or3_b32 v34, v34, v37, v57
	v_lshrrev_b32_e32 v57, 16, v34
.LBB835_107:
	s_or_b64 exec, exec, s[10:11]
.LBB835_108:
	s_or_b64 exec, exec, s[8:9]
.LBB835_109:
	s_or_b64 exec, exec, s[2:3]
	s_mov_b32 s2, 0x5040100
	v_perm_b32 v59, v55, v53, s2
	v_perm_b32 v58, v35, v51, s2
	;; [unrolled: 1-line block ×4, first 2 shown]
	v_cmp_ne_u16_sdwa s[8:9], v38, v52 src0_sel:BYTE_0 src1_sel:DWORD
	v_mfma_f32_16x16x16bf16_1k v[42:45], v[58:59], v[18:19], v[42:45]
	v_mfma_f32_16x16x16bf16_1k v[34:37], v[34:35], v[20:21], v[42:45]
	s_and_saveexec_b64 s[2:3], s[8:9]
	s_cbranch_execz .LBB835_115
; %bb.110:
	s_movk_i32 s8, 0x80
	v_cmp_ne_u16_sdwa s[10:11], v38, s8 src0_sel:BYTE_0 src1_sel:DWORD
	v_mov_b32_e32 v52, 0xffff8000
	s_and_saveexec_b64 s[8:9], s[10:11]
	s_cbranch_execz .LBB835_114
; %bb.111:
	s_movk_i32 s10, 0x7f
	s_nop 1
	v_and_b32_e32 v42, 0x7f, v38
	v_cmp_ne_u32_e32 vcc, s10, v42
	v_mov_b32_e32 v52, 0x7f80
	s_and_saveexec_b64 s[10:11], vcc
	s_cbranch_execz .LBB835_113
; %bb.112:
	v_and_b32_e32 v43, 7, v38
	v_ffbh_u32_e32 v44, v43
	v_min_u32_e32 v52, 32, v44
	v_subrev_u32_e32 v44, 28, v52
	v_lshlrev_b64 v[44:45], v44, v[38:39]
	v_lshrrev_b32_e32 v51, 3, v42
	v_sub_u32_e32 v45, 29, v52
	v_and_b32_e32 v44, 7, v44
	v_cmp_gt_u32_e32 vcc, 8, v42
	v_cndmask_b32_e32 v42, v51, v45, vcc
	v_cndmask_b32_e32 v43, v43, v44, vcc
	v_lshlrev_b32_e32 v44, 24, v38
	v_bfrev_b32_e32 v45, 60
	v_lshlrev_b32_e32 v43, 20, v43
	v_and_b32_e32 v44, 0x80000000, v44
	v_lshl_add_u32 v42, v42, 23, v45
	v_or3_b32 v42, v44, v42, v43
	v_lshrrev_b32_e32 v52, 16, v42
.LBB835_113:
	s_or_b64 exec, exec, s[10:11]
.LBB835_114:
	s_or_b64 exec, exec, s[8:9]
.LBB835_115:
	s_or_b64 exec, exec, s[2:3]
	s_nop 6
	v_lshrrev_b16_e32 v42, 8, v38
	v_cmp_ne_u16_e32 vcc, 0, v42
	v_mov_b32_e32 v44, 0
	v_mov_b32_e32 v43, 0
	s_and_saveexec_b64 s[2:3], vcc
	s_cbranch_execz .LBB835_121
; %bb.116:
	s_movk_i32 s8, 0x80
	v_cmp_ne_u16_e32 vcc, s8, v42
	v_mov_b32_e32 v43, 0xffff8000
	s_and_saveexec_b64 s[8:9], vcc
	s_cbranch_execz .LBB835_120
; %bb.117:
	s_movk_i32 s10, 0x7f
	v_and_b32_e32 v45, 0x7f, v42
	v_cmp_ne_u32_e32 vcc, s10, v45
	v_mov_b32_e32 v43, 0x7f80
	s_and_saveexec_b64 s[10:11], vcc
	s_cbranch_execz .LBB835_119
; %bb.118:
	v_and_b32_e32 v51, 7, v42
	v_ffbh_u32_e32 v43, v51
	v_min_u32_e32 v54, 32, v43
	v_subrev_u32_e32 v43, 28, v54
	v_lshlrev_b64 v[42:43], v43, v[42:43]
	v_lshrrev_b32_e32 v53, 3, v45
	v_sub_u32_e32 v43, 29, v54
	v_and_b32_e32 v42, 7, v42
	v_cmp_gt_u32_e32 vcc, 8, v45
	v_cndmask_b32_e32 v43, v53, v43, vcc
	v_cndmask_b32_e32 v42, v51, v42, vcc
	v_lshlrev_b32_e32 v45, 16, v38
	v_bfrev_b32_e32 v51, 60
	v_lshlrev_b32_e32 v42, 20, v42
	v_and_b32_e32 v45, 0x80000000, v45
	v_lshl_add_u32 v43, v43, 23, v51
	v_or3_b32 v42, v45, v43, v42
	v_lshrrev_b32_e32 v43, 16, v42
.LBB835_119:
	s_or_b64 exec, exec, s[10:11]
.LBB835_120:
	s_or_b64 exec, exec, s[8:9]
.LBB835_121:
	s_or_b64 exec, exec, s[2:3]
	s_movk_i32 s2, 0xff
	v_and_b32_sdwa v45, v38, s2 dst_sel:DWORD dst_unused:UNUSED_PAD src0_sel:WORD_1 src1_sel:DWORD
	v_lshrrev_b32_e32 v42, 16, v38
	v_cmp_ne_u16_e32 vcc, 0, v45
	s_and_saveexec_b64 s[2:3], vcc
	s_cbranch_execz .LBB835_127
; %bb.122:
	s_movk_i32 s8, 0x80
	v_cmp_ne_u16_e32 vcc, s8, v45
	v_mov_b32_e32 v44, 0xffff8000
	s_and_saveexec_b64 s[8:9], vcc
	s_cbranch_execz .LBB835_126
; %bb.123:
	v_bfe_u32 v45, v38, 16, 7
	s_movk_i32 s10, 0x7f
	v_cmp_ne_u32_e32 vcc, s10, v45
	v_mov_b32_e32 v44, 0x7f80
	s_and_saveexec_b64 s[10:11], vcc
	s_cbranch_execz .LBB835_125
; %bb.124:
	v_and_b32_e32 v44, 7, v42
	v_ffbh_u32_e32 v53, v44
	v_min_u32_e32 v53, 32, v53
	v_subrev_u32_e32 v54, 28, v53
	v_lshlrev_b64 v[54:55], v54, v[42:43]
	v_lshrrev_b32_e32 v51, 3, v45
	v_sub_u32_e32 v42, 29, v53
	v_and_b32_e32 v53, 7, v54
	v_cmp_gt_u32_e32 vcc, 8, v45
	v_mov_b32_e32 v45, 24
	v_cndmask_b32_e32 v42, v51, v42, vcc
	v_cndmask_b32_e32 v44, v44, v53, vcc
	v_lshlrev_b32_sdwa v45, v45, v38 dst_sel:DWORD dst_unused:UNUSED_PAD src0_sel:DWORD src1_sel:WORD_1
	v_bfrev_b32_e32 v51, 60
	v_lshlrev_b32_e32 v44, 20, v44
	v_and_b32_e32 v45, 0x80000000, v45
	v_lshl_add_u32 v42, v42, 23, v51
	v_or3_b32 v42, v45, v42, v44
	v_lshrrev_b32_e32 v44, 16, v42
.LBB835_125:
	s_or_b64 exec, exec, s[10:11]
.LBB835_126:
	s_or_b64 exec, exec, s[8:9]
.LBB835_127:
	s_or_b64 exec, exec, s[2:3]
	s_mov_b32 s2, 0xffffff
	v_cmp_lt_u32_e32 vcc, s2, v38
	v_mov_b32_e32 v45, 0
	v_mov_b32_e32 v53, 0
	s_and_saveexec_b64 s[2:3], vcc
	s_cbranch_execz .LBB835_133
; %bb.128:
	v_lshrrev_b32_e32 v42, 24, v38
	s_movk_i32 s8, 0x80
	v_cmp_ne_u32_e32 vcc, s8, v42
	v_mov_b32_e32 v53, 0xffff8000
	s_and_saveexec_b64 s[8:9], vcc
	s_cbranch_execz .LBB835_132
; %bb.129:
	v_bfe_u32 v38, v38, 24, 7
	s_movk_i32 s10, 0x7f
	v_cmp_ne_u32_e32 vcc, s10, v38
	v_mov_b32_e32 v53, 0x7f80
	s_and_saveexec_b64 s[10:11], vcc
	s_cbranch_execz .LBB835_131
; %bb.130:
	v_and_b32_e32 v51, 7, v42
	v_ffbh_u32_e32 v54, v51
	v_min_u32_e32 v56, 32, v54
	v_subrev_u32_e32 v54, 28, v56
	v_lshlrev_b64 v[54:55], v54, v[42:43]
	v_lshrrev_b32_e32 v53, 3, v38
	v_sub_u32_e32 v55, 29, v56
	v_and_b32_e32 v54, 7, v54
	v_cmp_gt_u32_e32 vcc, 8, v38
	v_cndmask_b32_e32 v38, v53, v55, vcc
	v_cndmask_b32_e32 v51, v51, v54, vcc
	v_lshlrev_b32_e32 v42, 24, v42
	v_bfrev_b32_e32 v53, 60
	v_lshlrev_b32_e32 v51, 20, v51
	v_and_b32_e32 v42, 0x80000000, v42
	v_lshl_add_u32 v38, v38, 23, v53
	v_or3_b32 v38, v42, v38, v51
	v_lshrrev_b32_e32 v53, 16, v38
.LBB835_131:
	s_or_b64 exec, exec, s[10:11]
.LBB835_132:
	s_or_b64 exec, exec, s[8:9]
.LBB835_133:
	s_or_b64 exec, exec, s[2:3]
	v_cmp_ne_u16_sdwa s[8:9], v39, v45 src0_sel:BYTE_0 src1_sel:DWORD
	s_and_saveexec_b64 s[2:3], s[8:9]
	s_cbranch_execz .LBB835_139
; %bb.134:
	s_movk_i32 s8, 0x80
	v_cmp_ne_u16_sdwa s[10:11], v39, s8 src0_sel:BYTE_0 src1_sel:DWORD
	v_mov_b32_e32 v45, 0xffff8000
	s_and_saveexec_b64 s[8:9], s[10:11]
	s_cbranch_execz .LBB835_138
; %bb.135:
	s_movk_i32 s10, 0x7f
	v_and_b32_e32 v38, 0x7f, v39
	v_cmp_ne_u32_e32 vcc, s10, v38
	v_mov_b32_e32 v45, 0x7f80
	s_and_saveexec_b64 s[10:11], vcc
	s_cbranch_execz .LBB835_137
; %bb.136:
	v_and_b32_e32 v45, 7, v39
	v_ffbh_u32_e32 v54, v45
	v_min_u32_e32 v56, 32, v54
	v_mov_b32_e32 v42, v39
	v_subrev_u32_e32 v54, 28, v56
	v_lshlrev_b64 v[54:55], v54, v[42:43]
	v_lshrrev_b32_e32 v51, 3, v38
	v_sub_u32_e32 v42, 29, v56
	v_and_b32_e32 v54, 7, v54
	v_cmp_gt_u32_e32 vcc, 8, v38
	v_cndmask_b32_e32 v38, v51, v42, vcc
	v_cndmask_b32_e32 v42, v45, v54, vcc
	v_lshlrev_b32_e32 v45, 24, v39
	v_bfrev_b32_e32 v51, 60
	v_lshlrev_b32_e32 v42, 20, v42
	v_and_b32_e32 v45, 0x80000000, v45
	v_lshl_add_u32 v38, v38, 23, v51
	v_or3_b32 v38, v45, v38, v42
	v_lshrrev_b32_e32 v45, 16, v38
.LBB835_137:
	s_or_b64 exec, exec, s[10:11]
.LBB835_138:
	s_or_b64 exec, exec, s[8:9]
.LBB835_139:
	s_or_b64 exec, exec, s[2:3]
	v_lshrrev_b16_e32 v38, 8, v39
	v_cmp_ne_u16_e32 vcc, 0, v38
	v_mov_b32_e32 v54, 0
	v_mov_b32_e32 v42, 0
	s_and_saveexec_b64 s[2:3], vcc
	s_cbranch_execz .LBB835_145
; %bb.140:
	s_movk_i32 s8, 0x80
	v_cmp_ne_u16_e32 vcc, s8, v38
	v_mov_b32_e32 v42, 0xffff8000
	s_and_saveexec_b64 s[8:9], vcc
	s_cbranch_execz .LBB835_144
; %bb.141:
	s_movk_i32 s10, 0x7f
	v_and_b32_e32 v51, 0x7f, v38
	v_cmp_ne_u32_e32 vcc, s10, v51
	v_mov_b32_e32 v42, 0x7f80
	s_and_saveexec_b64 s[10:11], vcc
	s_cbranch_execz .LBB835_143
; %bb.142:
	v_and_b32_e32 v42, 7, v38
	v_ffbh_u32_e32 v56, v42
	v_min_u32_e32 v58, 32, v56
	v_subrev_u32_e32 v56, 28, v58
	v_lshlrev_b64 v[56:57], v56, v[38:39]
	v_lshrrev_b32_e32 v55, 3, v51
	v_sub_u32_e32 v38, 29, v58
	v_and_b32_e32 v56, 7, v56
	v_cmp_gt_u32_e32 vcc, 8, v51
	v_cndmask_b32_e32 v38, v55, v38, vcc
	v_cndmask_b32_e32 v42, v42, v56, vcc
	v_lshlrev_b32_e32 v51, 16, v39
	v_bfrev_b32_e32 v55, 60
	v_lshlrev_b32_e32 v42, 20, v42
	v_and_b32_e32 v51, 0x80000000, v51
	v_lshl_add_u32 v38, v38, 23, v55
	v_or3_b32 v38, v51, v38, v42
	v_lshrrev_b32_e32 v42, 16, v38
.LBB835_143:
	s_or_b64 exec, exec, s[10:11]
.LBB835_144:
	s_or_b64 exec, exec, s[8:9]
.LBB835_145:
	s_or_b64 exec, exec, s[2:3]
	s_movk_i32 s2, 0xff
	v_and_b32_sdwa v51, v39, s2 dst_sel:DWORD dst_unused:UNUSED_PAD src0_sel:WORD_1 src1_sel:DWORD
	v_lshrrev_b32_e32 v38, 16, v39
	v_cmp_ne_u16_e32 vcc, 0, v51
	s_and_saveexec_b64 s[2:3], vcc
	s_cbranch_execz .LBB835_151
; %bb.146:
	s_movk_i32 s8, 0x80
	v_cmp_ne_u16_e32 vcc, s8, v51
	v_mov_b32_e32 v54, 0xffff8000
	s_and_saveexec_b64 s[8:9], vcc
	s_cbranch_execz .LBB835_150
; %bb.147:
	v_bfe_u32 v51, v39, 16, 7
	s_movk_i32 s10, 0x7f
	v_cmp_ne_u32_e32 vcc, s10, v51
	v_mov_b32_e32 v54, 0x7f80
	s_and_saveexec_b64 s[10:11], vcc
	s_cbranch_execz .LBB835_149
; %bb.148:
	v_and_b32_e32 v56, 7, v38
	v_ffbh_u32_e32 v54, v56
	v_min_u32_e32 v58, 32, v54
	v_subrev_u32_e32 v54, 28, v58
	v_lshlrev_b64 v[54:55], v54, v[38:39]
	v_and_b32_e32 v54, 7, v54
	v_cmp_gt_u32_e32 vcc, 8, v51
	v_lshrrev_b32_e32 v57, 3, v51
	v_sub_u32_e32 v38, 29, v58
	v_cndmask_b32_e32 v51, v56, v54, vcc
	v_mov_b32_e32 v54, 24
	v_cndmask_b32_e32 v38, v57, v38, vcc
	v_lshlrev_b32_sdwa v54, v54, v39 dst_sel:DWORD dst_unused:UNUSED_PAD src0_sel:DWORD src1_sel:WORD_1
	v_bfrev_b32_e32 v55, 60
	v_lshlrev_b32_e32 v51, 20, v51
	v_and_b32_e32 v54, 0x80000000, v54
	v_lshl_add_u32 v38, v38, 23, v55
	v_or3_b32 v38, v54, v38, v51
	v_lshrrev_b32_e32 v54, 16, v38
.LBB835_149:
	s_or_b64 exec, exec, s[10:11]
.LBB835_150:
	s_or_b64 exec, exec, s[8:9]
.LBB835_151:
	s_or_b64 exec, exec, s[2:3]
	s_mov_b32 s2, 0xffffff
	v_cmp_lt_u32_e32 vcc, s2, v39
	v_mov_b32_e32 v51, 0
	v_mov_b32_e32 v55, 0
	s_and_saveexec_b64 s[2:3], vcc
	s_cbranch_execz .LBB835_157
; %bb.152:
	v_lshrrev_b32_e32 v38, 24, v39
	s_movk_i32 s8, 0x80
	v_cmp_ne_u32_e32 vcc, s8, v38
	v_mov_b32_e32 v55, 0xffff8000
	s_and_saveexec_b64 s[8:9], vcc
	s_cbranch_execz .LBB835_156
; %bb.153:
	v_bfe_u32 v39, v39, 24, 7
	s_movk_i32 s10, 0x7f
	v_cmp_ne_u32_e32 vcc, s10, v39
	v_mov_b32_e32 v55, 0x7f80
	s_and_saveexec_b64 s[10:11], vcc
	s_cbranch_execz .LBB835_155
; %bb.154:
	v_and_b32_e32 v55, 7, v38
	v_ffbh_u32_e32 v56, v55
	v_min_u32_e32 v59, 32, v56
	v_subrev_u32_e32 v56, 28, v59
	v_lshlrev_b64 v[56:57], v56, v[38:39]
	v_lshrrev_b32_e32 v58, 3, v39
	v_sub_u32_e32 v57, 29, v59
	v_and_b32_e32 v56, 7, v56
	v_cmp_gt_u32_e32 vcc, 8, v39
	v_cndmask_b32_e32 v39, v58, v57, vcc
	v_cndmask_b32_e32 v55, v55, v56, vcc
	v_lshlrev_b32_e32 v38, 24, v38
	v_bfrev_b32_e32 v56, 60
	v_lshlrev_b32_e32 v55, 20, v55
	v_and_b32_e32 v38, 0x80000000, v38
	v_lshl_add_u32 v39, v39, 23, v56
	v_or3_b32 v38, v38, v39, v55
	v_lshrrev_b32_e32 v55, 16, v38
.LBB835_155:
	s_or_b64 exec, exec, s[10:11]
.LBB835_156:
	s_or_b64 exec, exec, s[8:9]
.LBB835_157:
	s_or_b64 exec, exec, s[2:3]
	s_mov_b32 s2, 0x5040100
	v_perm_b32 v39, v53, v44, s2
	v_perm_b32 v38, v43, v52, s2
	v_cmp_ne_u16_sdwa s[8:9], v40, v51 src0_sel:BYTE_0 src1_sel:DWORD
	s_nop 0
	v_mfma_f32_16x16x16bf16_1k v[56:59], v[38:39], v[26:27], 0
	v_perm_b32 v39, v55, v54, s2
	v_perm_b32 v38, v42, v45, s2
	s_nop 1
	v_mfma_f32_16x16x16bf16_1k v[42:45], v[38:39], v[28:29], v[56:59]
	s_and_saveexec_b64 s[2:3], s[8:9]
	s_cbranch_execz .LBB835_163
; %bb.158:
	s_movk_i32 s8, 0x80
	v_cmp_ne_u16_sdwa s[10:11], v40, s8 src0_sel:BYTE_0 src1_sel:DWORD
	v_mov_b32_e32 v51, 0xffff8000
	s_and_saveexec_b64 s[8:9], s[10:11]
	s_cbranch_execz .LBB835_162
; %bb.159:
	s_movk_i32 s10, 0x7f
	v_and_b32_e32 v38, 0x7f, v40
	v_cmp_ne_u32_e32 vcc, s10, v38
	v_mov_b32_e32 v51, 0x7f80
	s_and_saveexec_b64 s[10:11], vcc
	s_cbranch_execz .LBB835_161
; %bb.160:
	v_and_b32_e32 v39, 7, v40
	v_ffbh_u32_e32 v52, v39
	v_min_u32_e32 v54, 32, v52
	v_subrev_u32_e32 v52, 28, v54
	v_lshlrev_b64 v[52:53], v52, v[40:41]
	v_lshrrev_b32_e32 v51, 3, v38
	v_sub_u32_e32 v53, 29, v54
	v_and_b32_e32 v52, 7, v52
	v_cmp_gt_u32_e32 vcc, 8, v38
	v_cndmask_b32_e32 v38, v51, v53, vcc
	v_cndmask_b32_e32 v39, v39, v52, vcc
	v_lshlrev_b32_e32 v51, 24, v40
	v_bfrev_b32_e32 v52, 60
	v_lshlrev_b32_e32 v39, 20, v39
	v_and_b32_e32 v51, 0x80000000, v51
	v_lshl_add_u32 v38, v38, 23, v52
	v_or3_b32 v38, v51, v38, v39
	v_lshrrev_b32_e32 v51, 16, v38
.LBB835_161:
	s_or_b64 exec, exec, s[10:11]
.LBB835_162:
	s_or_b64 exec, exec, s[8:9]
.LBB835_163:
	s_or_b64 exec, exec, s[2:3]
	v_lshrrev_b16_e32 v38, 8, v40
	v_cmp_ne_u16_e32 vcc, 0, v38
	v_mov_b32_e32 v53, 0
	v_mov_b32_e32 v39, 0
	s_and_saveexec_b64 s[2:3], vcc
	s_cbranch_execz .LBB835_169
; %bb.164:
	s_movk_i32 s8, 0x80
	v_cmp_ne_u16_e32 vcc, s8, v38
	v_mov_b32_e32 v39, 0xffff8000
	s_and_saveexec_b64 s[8:9], vcc
	s_cbranch_execz .LBB835_168
; %bb.165:
	s_movk_i32 s10, 0x7f
	v_and_b32_e32 v52, 0x7f, v38
	v_cmp_ne_u32_e32 vcc, s10, v52
	v_mov_b32_e32 v39, 0x7f80
	s_and_saveexec_b64 s[10:11], vcc
	s_cbranch_execz .LBB835_167
; %bb.166:
	v_and_b32_e32 v54, 7, v38
	v_ffbh_u32_e32 v39, v54
	v_min_u32_e32 v56, 32, v39
	v_subrev_u32_e32 v39, 28, v56
	v_lshlrev_b64 v[38:39], v39, v[38:39]
	v_lshrrev_b32_e32 v55, 3, v52
	v_sub_u32_e32 v39, 29, v56
	v_and_b32_e32 v38, 7, v38
	v_cmp_gt_u32_e32 vcc, 8, v52
	v_cndmask_b32_e32 v39, v55, v39, vcc
	v_cndmask_b32_e32 v38, v54, v38, vcc
	v_lshlrev_b32_e32 v52, 16, v40
	v_bfrev_b32_e32 v54, 60
	v_lshlrev_b32_e32 v38, 20, v38
	v_and_b32_e32 v52, 0x80000000, v52
	v_lshl_add_u32 v39, v39, 23, v54
	v_or3_b32 v38, v52, v39, v38
	v_lshrrev_b32_e32 v39, 16, v38
.LBB835_167:
	s_or_b64 exec, exec, s[10:11]
.LBB835_168:
	s_or_b64 exec, exec, s[8:9]
.LBB835_169:
	s_or_b64 exec, exec, s[2:3]
	s_movk_i32 s2, 0xff
	v_and_b32_sdwa v52, v40, s2 dst_sel:DWORD dst_unused:UNUSED_PAD src0_sel:WORD_1 src1_sel:DWORD
	v_lshrrev_b32_e32 v38, 16, v40
	v_cmp_ne_u16_e32 vcc, 0, v52
	s_and_saveexec_b64 s[2:3], vcc
	s_cbranch_execz .LBB835_175
; %bb.170:
	s_movk_i32 s8, 0x80
	v_cmp_ne_u16_e32 vcc, s8, v52
	v_mov_b32_e32 v53, 0xffff8000
	s_and_saveexec_b64 s[8:9], vcc
	s_cbranch_execz .LBB835_174
; %bb.171:
	v_bfe_u32 v52, v40, 16, 7
	s_movk_i32 s10, 0x7f
	v_cmp_ne_u32_e32 vcc, s10, v52
	v_mov_b32_e32 v53, 0x7f80
	s_and_saveexec_b64 s[10:11], vcc
	s_cbranch_execz .LBB835_173
; %bb.172:
	v_and_b32_e32 v53, 7, v38
	v_ffbh_u32_e32 v54, v53
	v_min_u32_e32 v57, 32, v54
	v_subrev_u32_e32 v54, 28, v57
	v_lshlrev_b64 v[54:55], v54, v[38:39]
	v_and_b32_e32 v54, 7, v54
	v_cmp_gt_u32_e32 vcc, 8, v52
	v_lshrrev_b32_e32 v56, 3, v52
	v_sub_u32_e32 v38, 29, v57
	v_cndmask_b32_e32 v52, v53, v54, vcc
	v_mov_b32_e32 v53, 24
	v_cndmask_b32_e32 v38, v56, v38, vcc
	v_lshlrev_b32_sdwa v53, v53, v40 dst_sel:DWORD dst_unused:UNUSED_PAD src0_sel:DWORD src1_sel:WORD_1
	v_bfrev_b32_e32 v54, 60
	v_lshlrev_b32_e32 v52, 20, v52
	v_and_b32_e32 v53, 0x80000000, v53
	v_lshl_add_u32 v38, v38, 23, v54
	v_or3_b32 v38, v53, v38, v52
	v_lshrrev_b32_e32 v53, 16, v38
.LBB835_173:
	s_or_b64 exec, exec, s[10:11]
.LBB835_174:
	s_or_b64 exec, exec, s[8:9]
.LBB835_175:
	s_or_b64 exec, exec, s[2:3]
	s_mov_b32 s2, 0xffffff
	v_cmp_lt_u32_e32 vcc, s2, v40
	v_mov_b32_e32 v54, 0
	v_mov_b32_e32 v55, 0
	s_and_saveexec_b64 s[2:3], vcc
	s_cbranch_execz .LBB835_181
; %bb.176:
	v_lshrrev_b32_e32 v38, 24, v40
	s_movk_i32 s8, 0x80
	v_cmp_ne_u32_e32 vcc, s8, v38
	v_mov_b32_e32 v55, 0xffff8000
	s_and_saveexec_b64 s[8:9], vcc
	s_cbranch_execz .LBB835_180
; %bb.177:
	v_bfe_u32 v40, v40, 24, 7
	s_movk_i32 s10, 0x7f
	v_cmp_ne_u32_e32 vcc, s10, v40
	v_mov_b32_e32 v55, 0x7f80
	s_and_saveexec_b64 s[10:11], vcc
	s_cbranch_execz .LBB835_179
; %bb.178:
	v_and_b32_e32 v52, 7, v38
	v_ffbh_u32_e32 v56, v52
	v_min_u32_e32 v58, 32, v56
	v_subrev_u32_e32 v56, 28, v58
	v_lshlrev_b64 v[56:57], v56, v[38:39]
	v_lshrrev_b32_e32 v55, 3, v40
	v_sub_u32_e32 v57, 29, v58
	v_and_b32_e32 v56, 7, v56
	v_cmp_gt_u32_e32 vcc, 8, v40
	v_cndmask_b32_e32 v40, v55, v57, vcc
	v_cndmask_b32_e32 v52, v52, v56, vcc
	v_lshlrev_b32_e32 v38, 24, v38
	v_bfrev_b32_e32 v55, 60
	v_lshlrev_b32_e32 v52, 20, v52
	v_and_b32_e32 v38, 0x80000000, v38
	v_lshl_add_u32 v40, v40, 23, v55
	v_or3_b32 v38, v38, v40, v52
	v_lshrrev_b32_e32 v55, 16, v38
.LBB835_179:
	s_or_b64 exec, exec, s[10:11]
.LBB835_180:
	s_or_b64 exec, exec, s[8:9]
.LBB835_181:
	s_or_b64 exec, exec, s[2:3]
	v_cmp_ne_u16_sdwa s[8:9], v41, v54 src0_sel:BYTE_0 src1_sel:DWORD
	s_and_saveexec_b64 s[2:3], s[8:9]
	s_cbranch_execz .LBB835_187
; %bb.182:
	s_movk_i32 s8, 0x80
	v_cmp_ne_u16_sdwa s[10:11], v41, s8 src0_sel:BYTE_0 src1_sel:DWORD
	v_mov_b32_e32 v54, 0xffff8000
	s_and_saveexec_b64 s[8:9], s[10:11]
	s_cbranch_execz .LBB835_186
; %bb.183:
	s_movk_i32 s10, 0x7f
	v_and_b32_e32 v38, 0x7f, v41
	v_cmp_ne_u32_e32 vcc, s10, v38
	v_mov_b32_e32 v54, 0x7f80
	s_and_saveexec_b64 s[10:11], vcc
	s_cbranch_execz .LBB835_185
; %bb.184:
	v_and_b32_e32 v52, 7, v41
	v_ffbh_u32_e32 v56, v52
	v_min_u32_e32 v58, 32, v56
	v_mov_b32_e32 v40, v41
	v_subrev_u32_e32 v56, 28, v58
	v_lshlrev_b64 v[56:57], v56, v[40:41]
	v_lshrrev_b32_e32 v54, 3, v38
	v_sub_u32_e32 v40, 29, v58
	v_and_b32_e32 v56, 7, v56
	v_cmp_gt_u32_e32 vcc, 8, v38
	v_cndmask_b32_e32 v38, v54, v40, vcc
	v_cndmask_b32_e32 v40, v52, v56, vcc
	v_lshlrev_b32_e32 v52, 24, v41
	v_bfrev_b32_e32 v54, 60
	v_lshlrev_b32_e32 v40, 20, v40
	v_and_b32_e32 v52, 0x80000000, v52
	v_lshl_add_u32 v38, v38, 23, v54
	v_or3_b32 v38, v52, v38, v40
	v_lshrrev_b32_e32 v54, 16, v38
.LBB835_185:
	s_or_b64 exec, exec, s[10:11]
.LBB835_186:
	s_or_b64 exec, exec, s[8:9]
.LBB835_187:
	s_or_b64 exec, exec, s[2:3]
	v_lshrrev_b16_e32 v38, 8, v41
	v_cmp_ne_u16_e32 vcc, 0, v38
	v_mov_b32_e32 v56, 0
	v_mov_b32_e32 v40, 0
	s_and_saveexec_b64 s[2:3], vcc
	s_cbranch_execz .LBB835_193
; %bb.188:
	s_movk_i32 s8, 0x80
	v_cmp_ne_u16_e32 vcc, s8, v38
	v_mov_b32_e32 v40, 0xffff8000
	s_and_saveexec_b64 s[8:9], vcc
	s_cbranch_execz .LBB835_192
; %bb.189:
	s_movk_i32 s10, 0x7f
	v_and_b32_e32 v52, 0x7f, v38
	v_cmp_ne_u32_e32 vcc, s10, v52
	v_mov_b32_e32 v40, 0x7f80
	s_and_saveexec_b64 s[10:11], vcc
	s_cbranch_execz .LBB835_191
; %bb.190:
	v_and_b32_e32 v40, 7, v38
	v_ffbh_u32_e32 v58, v40
	v_min_u32_e32 v60, 32, v58
	v_subrev_u32_e32 v58, 28, v60
	v_lshlrev_b64 v[58:59], v58, v[38:39]
	v_lshrrev_b32_e32 v57, 3, v52
	v_sub_u32_e32 v38, 29, v60
	v_and_b32_e32 v58, 7, v58
	v_cmp_gt_u32_e32 vcc, 8, v52
	v_cndmask_b32_e32 v38, v57, v38, vcc
	v_cndmask_b32_e32 v40, v40, v58, vcc
	v_lshlrev_b32_e32 v52, 16, v41
	v_bfrev_b32_e32 v57, 60
	v_lshlrev_b32_e32 v40, 20, v40
	v_and_b32_e32 v52, 0x80000000, v52
	v_lshl_add_u32 v38, v38, 23, v57
	v_or3_b32 v38, v52, v38, v40
	v_lshrrev_b32_e32 v40, 16, v38
.LBB835_191:
	s_or_b64 exec, exec, s[10:11]
.LBB835_192:
	s_or_b64 exec, exec, s[8:9]
.LBB835_193:
	s_or_b64 exec, exec, s[2:3]
	s_movk_i32 s2, 0xff
	v_and_b32_sdwa v52, v41, s2 dst_sel:DWORD dst_unused:UNUSED_PAD src0_sel:WORD_1 src1_sel:DWORD
	v_lshrrev_b32_e32 v38, 16, v41
	v_cmp_ne_u16_e32 vcc, 0, v52
	s_and_saveexec_b64 s[2:3], vcc
	s_cbranch_execz .LBB835_199
; %bb.194:
	s_movk_i32 s8, 0x80
	v_cmp_ne_u16_e32 vcc, s8, v52
	v_mov_b32_e32 v56, 0xffff8000
	s_and_saveexec_b64 s[8:9], vcc
	s_cbranch_execz .LBB835_198
; %bb.195:
	v_bfe_u32 v52, v41, 16, 7
	s_movk_i32 s10, 0x7f
	v_cmp_ne_u32_e32 vcc, s10, v52
	v_mov_b32_e32 v56, 0x7f80
	s_and_saveexec_b64 s[10:11], vcc
	s_cbranch_execz .LBB835_197
; %bb.196:
	v_and_b32_e32 v58, 7, v38
	v_ffbh_u32_e32 v56, v58
	v_min_u32_e32 v60, 32, v56
	v_subrev_u32_e32 v56, 28, v60
	v_lshlrev_b64 v[56:57], v56, v[38:39]
	v_and_b32_e32 v56, 7, v56
	v_cmp_gt_u32_e32 vcc, 8, v52
	v_lshrrev_b32_e32 v59, 3, v52
	v_sub_u32_e32 v38, 29, v60
	v_cndmask_b32_e32 v52, v58, v56, vcc
	v_mov_b32_e32 v56, 24
	v_cndmask_b32_e32 v38, v59, v38, vcc
	v_lshlrev_b32_sdwa v56, v56, v41 dst_sel:DWORD dst_unused:UNUSED_PAD src0_sel:DWORD src1_sel:WORD_1
	v_bfrev_b32_e32 v57, 60
	v_lshlrev_b32_e32 v52, 20, v52
	v_and_b32_e32 v56, 0x80000000, v56
	v_lshl_add_u32 v38, v38, 23, v57
	v_or3_b32 v38, v56, v38, v52
	v_lshrrev_b32_e32 v56, 16, v38
.LBB835_197:
	s_or_b64 exec, exec, s[10:11]
.LBB835_198:
	s_or_b64 exec, exec, s[8:9]
.LBB835_199:
	s_or_b64 exec, exec, s[2:3]
	s_mov_b32 s2, 0xffffff
	v_cmp_lt_u32_e32 vcc, s2, v41
	v_mov_b32_e32 v52, 0
	v_mov_b32_e32 v57, 0
	s_and_saveexec_b64 s[2:3], vcc
	s_cbranch_execz .LBB835_205
; %bb.200:
	v_lshrrev_b32_e32 v38, 24, v41
	s_movk_i32 s8, 0x80
	v_cmp_ne_u32_e32 vcc, s8, v38
	v_mov_b32_e32 v57, 0xffff8000
	s_and_saveexec_b64 s[8:9], vcc
	s_cbranch_execz .LBB835_204
; %bb.201:
	v_bfe_u32 v41, v41, 24, 7
	s_movk_i32 s10, 0x7f
	v_cmp_ne_u32_e32 vcc, s10, v41
	v_mov_b32_e32 v57, 0x7f80
	s_and_saveexec_b64 s[10:11], vcc
	s_cbranch_execz .LBB835_203
; %bb.202:
	v_and_b32_e32 v57, 7, v38
	v_ffbh_u32_e32 v58, v57
	v_min_u32_e32 v61, 32, v58
	v_subrev_u32_e32 v58, 28, v61
	v_lshlrev_b64 v[58:59], v58, v[38:39]
	v_lshrrev_b32_e32 v60, 3, v41
	v_sub_u32_e32 v59, 29, v61
	v_and_b32_e32 v58, 7, v58
	v_cmp_gt_u32_e32 vcc, 8, v41
	v_cndmask_b32_e32 v41, v60, v59, vcc
	v_cndmask_b32_e32 v57, v57, v58, vcc
	v_lshlrev_b32_e32 v38, 24, v38
	v_bfrev_b32_e32 v58, 60
	v_lshlrev_b32_e32 v57, 20, v57
	v_and_b32_e32 v38, 0x80000000, v38
	v_lshl_add_u32 v41, v41, 23, v58
	v_or3_b32 v38, v38, v41, v57
	v_lshrrev_b32_e32 v57, 16, v38
.LBB835_203:
	s_or_b64 exec, exec, s[10:11]
.LBB835_204:
	s_or_b64 exec, exec, s[8:9]
.LBB835_205:
	s_or_b64 exec, exec, s[2:3]
	s_mov_b32 s2, 0x5040100
	v_perm_b32 v59, v55, v53, s2
	v_perm_b32 v58, v39, v51, s2
	;; [unrolled: 1-line block ×4, first 2 shown]
	v_cmp_ne_u16_sdwa s[8:9], v30, v52 src0_sel:BYTE_0 src1_sel:DWORD
	v_mfma_f32_16x16x16bf16_1k v[42:45], v[58:59], v[18:19], v[42:45]
	v_mfma_f32_16x16x16bf16_1k v[38:41], v[38:39], v[20:21], v[42:45]
	s_and_saveexec_b64 s[2:3], s[8:9]
	s_cbranch_execz .LBB835_211
; %bb.206:
	s_movk_i32 s8, 0x80
	v_cmp_ne_u16_sdwa s[10:11], v30, s8 src0_sel:BYTE_0 src1_sel:DWORD
	v_mov_b32_e32 v52, 0xffff8000
	s_and_saveexec_b64 s[8:9], s[10:11]
	s_cbranch_execz .LBB835_210
; %bb.207:
	s_movk_i32 s10, 0x7f
	s_nop 1
	v_and_b32_e32 v42, 0x7f, v30
	v_cmp_ne_u32_e32 vcc, s10, v42
	v_mov_b32_e32 v52, 0x7f80
	s_and_saveexec_b64 s[10:11], vcc
	s_cbranch_execz .LBB835_209
; %bb.208:
	v_and_b32_e32 v43, 7, v30
	v_ffbh_u32_e32 v44, v43
	v_min_u32_e32 v52, 32, v44
	v_subrev_u32_e32 v44, 28, v52
	v_lshlrev_b64 v[44:45], v44, v[30:31]
	v_lshrrev_b32_e32 v51, 3, v42
	v_sub_u32_e32 v45, 29, v52
	v_and_b32_e32 v44, 7, v44
	v_cmp_gt_u32_e32 vcc, 8, v42
	v_cndmask_b32_e32 v42, v51, v45, vcc
	v_cndmask_b32_e32 v43, v43, v44, vcc
	v_lshlrev_b32_e32 v44, 24, v30
	v_bfrev_b32_e32 v45, 60
	v_lshlrev_b32_e32 v43, 20, v43
	v_and_b32_e32 v44, 0x80000000, v44
	v_lshl_add_u32 v42, v42, 23, v45
	v_or3_b32 v42, v44, v42, v43
	v_lshrrev_b32_e32 v52, 16, v42
.LBB835_209:
	s_or_b64 exec, exec, s[10:11]
.LBB835_210:
	s_or_b64 exec, exec, s[8:9]
.LBB835_211:
	s_or_b64 exec, exec, s[2:3]
	s_nop 6
	v_lshrrev_b16_e32 v42, 8, v30
	v_cmp_ne_u16_e32 vcc, 0, v42
	v_mov_b32_e32 v44, 0
	v_mov_b32_e32 v43, 0
	s_and_saveexec_b64 s[2:3], vcc
	s_cbranch_execz .LBB835_217
; %bb.212:
	s_movk_i32 s8, 0x80
	v_cmp_ne_u16_e32 vcc, s8, v42
	v_mov_b32_e32 v43, 0xffff8000
	s_and_saveexec_b64 s[8:9], vcc
	s_cbranch_execz .LBB835_216
; %bb.213:
	s_movk_i32 s10, 0x7f
	v_and_b32_e32 v45, 0x7f, v42
	v_cmp_ne_u32_e32 vcc, s10, v45
	v_mov_b32_e32 v43, 0x7f80
	s_and_saveexec_b64 s[10:11], vcc
	s_cbranch_execz .LBB835_215
; %bb.214:
	v_and_b32_e32 v51, 7, v42
	v_ffbh_u32_e32 v43, v51
	v_min_u32_e32 v54, 32, v43
	v_subrev_u32_e32 v43, 28, v54
	v_lshlrev_b64 v[42:43], v43, v[42:43]
	v_lshrrev_b32_e32 v53, 3, v45
	v_sub_u32_e32 v43, 29, v54
	v_and_b32_e32 v42, 7, v42
	v_cmp_gt_u32_e32 vcc, 8, v45
	v_cndmask_b32_e32 v43, v53, v43, vcc
	v_cndmask_b32_e32 v42, v51, v42, vcc
	v_lshlrev_b32_e32 v45, 16, v30
	v_bfrev_b32_e32 v51, 60
	v_lshlrev_b32_e32 v42, 20, v42
	v_and_b32_e32 v45, 0x80000000, v45
	v_lshl_add_u32 v43, v43, 23, v51
	v_or3_b32 v42, v45, v43, v42
	v_lshrrev_b32_e32 v43, 16, v42
.LBB835_215:
	s_or_b64 exec, exec, s[10:11]
.LBB835_216:
	s_or_b64 exec, exec, s[8:9]
.LBB835_217:
	s_or_b64 exec, exec, s[2:3]
	s_movk_i32 s2, 0xff
	v_and_b32_sdwa v45, v30, s2 dst_sel:DWORD dst_unused:UNUSED_PAD src0_sel:WORD_1 src1_sel:DWORD
	v_lshrrev_b32_e32 v42, 16, v30
	v_cmp_ne_u16_e32 vcc, 0, v45
	s_and_saveexec_b64 s[2:3], vcc
	s_cbranch_execz .LBB835_223
; %bb.218:
	s_movk_i32 s8, 0x80
	v_cmp_ne_u16_e32 vcc, s8, v45
	v_mov_b32_e32 v44, 0xffff8000
	s_and_saveexec_b64 s[8:9], vcc
	s_cbranch_execz .LBB835_222
; %bb.219:
	v_bfe_u32 v45, v30, 16, 7
	s_movk_i32 s10, 0x7f
	v_cmp_ne_u32_e32 vcc, s10, v45
	v_mov_b32_e32 v44, 0x7f80
	s_and_saveexec_b64 s[10:11], vcc
	s_cbranch_execz .LBB835_221
; %bb.220:
	v_and_b32_e32 v44, 7, v42
	v_ffbh_u32_e32 v53, v44
	v_min_u32_e32 v53, 32, v53
	v_subrev_u32_e32 v54, 28, v53
	v_lshlrev_b64 v[54:55], v54, v[42:43]
	v_lshrrev_b32_e32 v51, 3, v45
	v_sub_u32_e32 v42, 29, v53
	v_and_b32_e32 v53, 7, v54
	v_cmp_gt_u32_e32 vcc, 8, v45
	v_mov_b32_e32 v45, 24
	v_cndmask_b32_e32 v42, v51, v42, vcc
	v_cndmask_b32_e32 v44, v44, v53, vcc
	v_lshlrev_b32_sdwa v45, v45, v30 dst_sel:DWORD dst_unused:UNUSED_PAD src0_sel:DWORD src1_sel:WORD_1
	v_bfrev_b32_e32 v51, 60
	v_lshlrev_b32_e32 v44, 20, v44
	v_and_b32_e32 v45, 0x80000000, v45
	v_lshl_add_u32 v42, v42, 23, v51
	v_or3_b32 v42, v45, v42, v44
	v_lshrrev_b32_e32 v44, 16, v42
.LBB835_221:
	s_or_b64 exec, exec, s[10:11]
.LBB835_222:
	s_or_b64 exec, exec, s[8:9]
.LBB835_223:
	s_or_b64 exec, exec, s[2:3]
	s_mov_b32 s2, 0xffffff
	v_cmp_lt_u32_e32 vcc, s2, v30
	v_mov_b32_e32 v45, 0
	v_mov_b32_e32 v53, 0
	s_and_saveexec_b64 s[2:3], vcc
	s_cbranch_execz .LBB835_229
; %bb.224:
	v_lshrrev_b32_e32 v42, 24, v30
	s_movk_i32 s8, 0x80
	v_cmp_ne_u32_e32 vcc, s8, v42
	v_mov_b32_e32 v53, 0xffff8000
	s_and_saveexec_b64 s[8:9], vcc
	s_cbranch_execz .LBB835_228
; %bb.225:
	v_bfe_u32 v30, v30, 24, 7
	s_movk_i32 s10, 0x7f
	v_cmp_ne_u32_e32 vcc, s10, v30
	v_mov_b32_e32 v53, 0x7f80
	s_and_saveexec_b64 s[10:11], vcc
	s_cbranch_execz .LBB835_227
; %bb.226:
	v_and_b32_e32 v51, 7, v42
	v_ffbh_u32_e32 v54, v51
	v_min_u32_e32 v56, 32, v54
	v_subrev_u32_e32 v54, 28, v56
	v_lshlrev_b64 v[54:55], v54, v[42:43]
	v_lshrrev_b32_e32 v53, 3, v30
	v_sub_u32_e32 v55, 29, v56
	v_and_b32_e32 v54, 7, v54
	v_cmp_gt_u32_e32 vcc, 8, v30
	v_cndmask_b32_e32 v30, v53, v55, vcc
	v_cndmask_b32_e32 v51, v51, v54, vcc
	v_lshlrev_b32_e32 v42, 24, v42
	v_bfrev_b32_e32 v53, 60
	v_lshlrev_b32_e32 v51, 20, v51
	v_and_b32_e32 v42, 0x80000000, v42
	v_lshl_add_u32 v30, v30, 23, v53
	v_or3_b32 v30, v42, v30, v51
	v_lshrrev_b32_e32 v53, 16, v30
.LBB835_227:
	s_or_b64 exec, exec, s[10:11]
.LBB835_228:
	s_or_b64 exec, exec, s[8:9]
.LBB835_229:
	s_or_b64 exec, exec, s[2:3]
	v_cmp_ne_u16_sdwa s[8:9], v31, v45 src0_sel:BYTE_0 src1_sel:DWORD
	s_and_saveexec_b64 s[2:3], s[8:9]
	s_cbranch_execz .LBB835_235
; %bb.230:
	s_movk_i32 s8, 0x80
	v_cmp_ne_u16_sdwa s[10:11], v31, s8 src0_sel:BYTE_0 src1_sel:DWORD
	v_mov_b32_e32 v45, 0xffff8000
	s_and_saveexec_b64 s[8:9], s[10:11]
	s_cbranch_execz .LBB835_234
; %bb.231:
	s_movk_i32 s10, 0x7f
	v_and_b32_e32 v30, 0x7f, v31
	v_cmp_ne_u32_e32 vcc, s10, v30
	v_mov_b32_e32 v45, 0x7f80
	s_and_saveexec_b64 s[10:11], vcc
	s_cbranch_execz .LBB835_233
; %bb.232:
	v_and_b32_e32 v45, 7, v31
	v_ffbh_u32_e32 v54, v45
	v_min_u32_e32 v56, 32, v54
	v_mov_b32_e32 v42, v31
	v_subrev_u32_e32 v54, 28, v56
	v_lshlrev_b64 v[54:55], v54, v[42:43]
	v_lshrrev_b32_e32 v51, 3, v30
	v_sub_u32_e32 v42, 29, v56
	v_and_b32_e32 v54, 7, v54
	v_cmp_gt_u32_e32 vcc, 8, v30
	v_cndmask_b32_e32 v30, v51, v42, vcc
	v_cndmask_b32_e32 v42, v45, v54, vcc
	v_lshlrev_b32_e32 v45, 24, v31
	v_bfrev_b32_e32 v51, 60
	v_lshlrev_b32_e32 v42, 20, v42
	v_and_b32_e32 v45, 0x80000000, v45
	v_lshl_add_u32 v30, v30, 23, v51
	v_or3_b32 v30, v45, v30, v42
	v_lshrrev_b32_e32 v45, 16, v30
.LBB835_233:
	s_or_b64 exec, exec, s[10:11]
.LBB835_234:
	s_or_b64 exec, exec, s[8:9]
.LBB835_235:
	s_or_b64 exec, exec, s[2:3]
	v_lshrrev_b16_e32 v30, 8, v31
	v_cmp_ne_u16_e32 vcc, 0, v30
	v_mov_b32_e32 v54, 0
	v_mov_b32_e32 v42, 0
	s_and_saveexec_b64 s[2:3], vcc
	s_cbranch_execz .LBB835_241
; %bb.236:
	s_movk_i32 s8, 0x80
	v_cmp_ne_u16_e32 vcc, s8, v30
	v_mov_b32_e32 v42, 0xffff8000
	s_and_saveexec_b64 s[8:9], vcc
	s_cbranch_execz .LBB835_240
; %bb.237:
	s_movk_i32 s10, 0x7f
	v_and_b32_e32 v51, 0x7f, v30
	v_cmp_ne_u32_e32 vcc, s10, v51
	v_mov_b32_e32 v42, 0x7f80
	s_and_saveexec_b64 s[10:11], vcc
	s_cbranch_execz .LBB835_239
; %bb.238:
	v_and_b32_e32 v42, 7, v30
	v_ffbh_u32_e32 v56, v42
	v_min_u32_e32 v58, 32, v56
	v_subrev_u32_e32 v56, 28, v58
	v_lshlrev_b64 v[56:57], v56, v[30:31]
	v_lshrrev_b32_e32 v55, 3, v51
	v_sub_u32_e32 v30, 29, v58
	v_and_b32_e32 v56, 7, v56
	v_cmp_gt_u32_e32 vcc, 8, v51
	v_cndmask_b32_e32 v30, v55, v30, vcc
	v_cndmask_b32_e32 v42, v42, v56, vcc
	v_lshlrev_b32_e32 v51, 16, v31
	v_bfrev_b32_e32 v55, 60
	v_lshlrev_b32_e32 v42, 20, v42
	v_and_b32_e32 v51, 0x80000000, v51
	v_lshl_add_u32 v30, v30, 23, v55
	v_or3_b32 v30, v51, v30, v42
	v_lshrrev_b32_e32 v42, 16, v30
.LBB835_239:
	s_or_b64 exec, exec, s[10:11]
.LBB835_240:
	s_or_b64 exec, exec, s[8:9]
.LBB835_241:
	s_or_b64 exec, exec, s[2:3]
	s_movk_i32 s2, 0xff
	v_and_b32_sdwa v51, v31, s2 dst_sel:DWORD dst_unused:UNUSED_PAD src0_sel:WORD_1 src1_sel:DWORD
	v_lshrrev_b32_e32 v30, 16, v31
	v_cmp_ne_u16_e32 vcc, 0, v51
	s_and_saveexec_b64 s[2:3], vcc
	s_cbranch_execz .LBB835_247
; %bb.242:
	s_movk_i32 s8, 0x80
	v_cmp_ne_u16_e32 vcc, s8, v51
	v_mov_b32_e32 v54, 0xffff8000
	s_and_saveexec_b64 s[8:9], vcc
	s_cbranch_execz .LBB835_246
; %bb.243:
	v_bfe_u32 v51, v31, 16, 7
	s_movk_i32 s10, 0x7f
	v_cmp_ne_u32_e32 vcc, s10, v51
	v_mov_b32_e32 v54, 0x7f80
	s_and_saveexec_b64 s[10:11], vcc
	s_cbranch_execz .LBB835_245
; %bb.244:
	v_and_b32_e32 v56, 7, v30
	v_ffbh_u32_e32 v54, v56
	v_min_u32_e32 v58, 32, v54
	v_subrev_u32_e32 v54, 28, v58
	v_lshlrev_b64 v[54:55], v54, v[30:31]
	v_and_b32_e32 v54, 7, v54
	v_cmp_gt_u32_e32 vcc, 8, v51
	v_lshrrev_b32_e32 v57, 3, v51
	v_sub_u32_e32 v30, 29, v58
	v_cndmask_b32_e32 v51, v56, v54, vcc
	v_mov_b32_e32 v54, 24
	v_cndmask_b32_e32 v30, v57, v30, vcc
	v_lshlrev_b32_sdwa v54, v54, v31 dst_sel:DWORD dst_unused:UNUSED_PAD src0_sel:DWORD src1_sel:WORD_1
	v_bfrev_b32_e32 v55, 60
	v_lshlrev_b32_e32 v51, 20, v51
	v_and_b32_e32 v54, 0x80000000, v54
	v_lshl_add_u32 v30, v30, 23, v55
	v_or3_b32 v30, v54, v30, v51
	v_lshrrev_b32_e32 v54, 16, v30
.LBB835_245:
	s_or_b64 exec, exec, s[10:11]
.LBB835_246:
	s_or_b64 exec, exec, s[8:9]
.LBB835_247:
	s_or_b64 exec, exec, s[2:3]
	s_mov_b32 s2, 0xffffff
	v_cmp_lt_u32_e32 vcc, s2, v31
	v_mov_b32_e32 v51, 0
	v_mov_b32_e32 v55, 0
	s_and_saveexec_b64 s[2:3], vcc
	s_cbranch_execz .LBB835_253
; %bb.248:
	v_lshrrev_b32_e32 v30, 24, v31
	s_movk_i32 s8, 0x80
	v_cmp_ne_u32_e32 vcc, s8, v30
	v_mov_b32_e32 v55, 0xffff8000
	s_and_saveexec_b64 s[8:9], vcc
	s_cbranch_execz .LBB835_252
; %bb.249:
	v_bfe_u32 v31, v31, 24, 7
	s_movk_i32 s10, 0x7f
	v_cmp_ne_u32_e32 vcc, s10, v31
	v_mov_b32_e32 v55, 0x7f80
	s_and_saveexec_b64 s[10:11], vcc
	s_cbranch_execz .LBB835_251
; %bb.250:
	v_and_b32_e32 v55, 7, v30
	v_ffbh_u32_e32 v56, v55
	v_min_u32_e32 v59, 32, v56
	v_subrev_u32_e32 v56, 28, v59
	v_lshlrev_b64 v[56:57], v56, v[30:31]
	v_lshrrev_b32_e32 v58, 3, v31
	v_sub_u32_e32 v57, 29, v59
	v_and_b32_e32 v56, 7, v56
	v_cmp_gt_u32_e32 vcc, 8, v31
	v_cndmask_b32_e32 v31, v58, v57, vcc
	v_cndmask_b32_e32 v55, v55, v56, vcc
	v_lshlrev_b32_e32 v30, 24, v30
	v_bfrev_b32_e32 v56, 60
	v_lshlrev_b32_e32 v55, 20, v55
	v_and_b32_e32 v30, 0x80000000, v30
	v_lshl_add_u32 v31, v31, 23, v56
	v_or3_b32 v30, v30, v31, v55
	v_lshrrev_b32_e32 v55, 16, v30
.LBB835_251:
	s_or_b64 exec, exec, s[10:11]
.LBB835_252:
	s_or_b64 exec, exec, s[8:9]
.LBB835_253:
	s_or_b64 exec, exec, s[2:3]
	s_mov_b32 s2, 0x5040100
	v_perm_b32 v31, v53, v44, s2
	v_perm_b32 v30, v43, v52, s2
	v_cmp_ne_u16_sdwa s[8:9], v32, v51 src0_sel:BYTE_0 src1_sel:DWORD
	s_nop 0
	v_mfma_f32_16x16x16bf16_1k v[56:59], v[30:31], v[26:27], 0
	v_perm_b32 v31, v55, v54, s2
	v_perm_b32 v30, v42, v45, s2
	s_nop 1
	v_mfma_f32_16x16x16bf16_1k v[42:45], v[30:31], v[28:29], v[56:59]
	s_and_saveexec_b64 s[2:3], s[8:9]
	s_cbranch_execz .LBB835_259
; %bb.254:
	s_movk_i32 s8, 0x80
	v_cmp_ne_u16_sdwa s[10:11], v32, s8 src0_sel:BYTE_0 src1_sel:DWORD
	v_mov_b32_e32 v51, 0xffff8000
	s_and_saveexec_b64 s[8:9], s[10:11]
	s_cbranch_execz .LBB835_258
; %bb.255:
	s_movk_i32 s10, 0x7f
	v_and_b32_e32 v30, 0x7f, v32
	v_cmp_ne_u32_e32 vcc, s10, v30
	v_mov_b32_e32 v51, 0x7f80
	s_and_saveexec_b64 s[10:11], vcc
	s_cbranch_execz .LBB835_257
; %bb.256:
	v_and_b32_e32 v31, 7, v32
	v_ffbh_u32_e32 v52, v31
	v_min_u32_e32 v54, 32, v52
	v_subrev_u32_e32 v52, 28, v54
	v_lshlrev_b64 v[52:53], v52, v[32:33]
	v_lshrrev_b32_e32 v51, 3, v30
	v_sub_u32_e32 v53, 29, v54
	v_and_b32_e32 v52, 7, v52
	v_cmp_gt_u32_e32 vcc, 8, v30
	v_cndmask_b32_e32 v30, v51, v53, vcc
	v_cndmask_b32_e32 v31, v31, v52, vcc
	v_lshlrev_b32_e32 v51, 24, v32
	v_bfrev_b32_e32 v52, 60
	v_lshlrev_b32_e32 v31, 20, v31
	v_and_b32_e32 v51, 0x80000000, v51
	v_lshl_add_u32 v30, v30, 23, v52
	v_or3_b32 v30, v51, v30, v31
	v_lshrrev_b32_e32 v51, 16, v30
.LBB835_257:
	s_or_b64 exec, exec, s[10:11]
.LBB835_258:
	s_or_b64 exec, exec, s[8:9]
.LBB835_259:
	s_or_b64 exec, exec, s[2:3]
	v_lshrrev_b16_e32 v30, 8, v32
	v_cmp_ne_u16_e32 vcc, 0, v30
	v_mov_b32_e32 v53, 0
	v_mov_b32_e32 v31, 0
	s_and_saveexec_b64 s[2:3], vcc
	s_cbranch_execz .LBB835_265
; %bb.260:
	s_movk_i32 s8, 0x80
	v_cmp_ne_u16_e32 vcc, s8, v30
	v_mov_b32_e32 v31, 0xffff8000
	s_and_saveexec_b64 s[8:9], vcc
	s_cbranch_execz .LBB835_264
; %bb.261:
	s_movk_i32 s10, 0x7f
	v_and_b32_e32 v52, 0x7f, v30
	v_cmp_ne_u32_e32 vcc, s10, v52
	v_mov_b32_e32 v31, 0x7f80
	s_and_saveexec_b64 s[10:11], vcc
	s_cbranch_execz .LBB835_263
; %bb.262:
	v_and_b32_e32 v54, 7, v30
	v_ffbh_u32_e32 v31, v54
	v_min_u32_e32 v56, 32, v31
	v_subrev_u32_e32 v31, 28, v56
	v_lshlrev_b64 v[30:31], v31, v[30:31]
	v_lshrrev_b32_e32 v55, 3, v52
	v_sub_u32_e32 v31, 29, v56
	v_and_b32_e32 v30, 7, v30
	v_cmp_gt_u32_e32 vcc, 8, v52
	v_cndmask_b32_e32 v31, v55, v31, vcc
	v_cndmask_b32_e32 v30, v54, v30, vcc
	v_lshlrev_b32_e32 v52, 16, v32
	v_bfrev_b32_e32 v54, 60
	v_lshlrev_b32_e32 v30, 20, v30
	v_and_b32_e32 v52, 0x80000000, v52
	v_lshl_add_u32 v31, v31, 23, v54
	v_or3_b32 v30, v52, v31, v30
	v_lshrrev_b32_e32 v31, 16, v30
.LBB835_263:
	s_or_b64 exec, exec, s[10:11]
.LBB835_264:
	s_or_b64 exec, exec, s[8:9]
.LBB835_265:
	s_or_b64 exec, exec, s[2:3]
	s_movk_i32 s2, 0xff
	v_and_b32_sdwa v52, v32, s2 dst_sel:DWORD dst_unused:UNUSED_PAD src0_sel:WORD_1 src1_sel:DWORD
	v_lshrrev_b32_e32 v30, 16, v32
	v_cmp_ne_u16_e32 vcc, 0, v52
	s_and_saveexec_b64 s[2:3], vcc
	s_cbranch_execz .LBB835_271
; %bb.266:
	s_movk_i32 s8, 0x80
	v_cmp_ne_u16_e32 vcc, s8, v52
	v_mov_b32_e32 v53, 0xffff8000
	s_and_saveexec_b64 s[8:9], vcc
	s_cbranch_execz .LBB835_270
; %bb.267:
	v_bfe_u32 v52, v32, 16, 7
	s_movk_i32 s10, 0x7f
	v_cmp_ne_u32_e32 vcc, s10, v52
	v_mov_b32_e32 v53, 0x7f80
	s_and_saveexec_b64 s[10:11], vcc
	s_cbranch_execz .LBB835_269
; %bb.268:
	v_and_b32_e32 v53, 7, v30
	v_ffbh_u32_e32 v54, v53
	v_min_u32_e32 v57, 32, v54
	v_subrev_u32_e32 v54, 28, v57
	v_lshlrev_b64 v[54:55], v54, v[30:31]
	v_and_b32_e32 v54, 7, v54
	v_cmp_gt_u32_e32 vcc, 8, v52
	v_lshrrev_b32_e32 v56, 3, v52
	v_sub_u32_e32 v30, 29, v57
	v_cndmask_b32_e32 v52, v53, v54, vcc
	v_mov_b32_e32 v53, 24
	v_cndmask_b32_e32 v30, v56, v30, vcc
	v_lshlrev_b32_sdwa v53, v53, v32 dst_sel:DWORD dst_unused:UNUSED_PAD src0_sel:DWORD src1_sel:WORD_1
	v_bfrev_b32_e32 v54, 60
	v_lshlrev_b32_e32 v52, 20, v52
	v_and_b32_e32 v53, 0x80000000, v53
	v_lshl_add_u32 v30, v30, 23, v54
	v_or3_b32 v30, v53, v30, v52
	v_lshrrev_b32_e32 v53, 16, v30
.LBB835_269:
	s_or_b64 exec, exec, s[10:11]
.LBB835_270:
	s_or_b64 exec, exec, s[8:9]
.LBB835_271:
	s_or_b64 exec, exec, s[2:3]
	s_mov_b32 s2, 0xffffff
	v_cmp_lt_u32_e32 vcc, s2, v32
	v_mov_b32_e32 v54, 0
	v_mov_b32_e32 v55, 0
	s_and_saveexec_b64 s[2:3], vcc
	s_cbranch_execz .LBB835_277
; %bb.272:
	v_lshrrev_b32_e32 v30, 24, v32
	s_movk_i32 s8, 0x80
	v_cmp_ne_u32_e32 vcc, s8, v30
	v_mov_b32_e32 v55, 0xffff8000
	s_and_saveexec_b64 s[8:9], vcc
	s_cbranch_execz .LBB835_276
; %bb.273:
	v_bfe_u32 v32, v32, 24, 7
	s_movk_i32 s10, 0x7f
	v_cmp_ne_u32_e32 vcc, s10, v32
	v_mov_b32_e32 v55, 0x7f80
	s_and_saveexec_b64 s[10:11], vcc
	s_cbranch_execz .LBB835_275
; %bb.274:
	v_and_b32_e32 v52, 7, v30
	v_ffbh_u32_e32 v56, v52
	v_min_u32_e32 v58, 32, v56
	v_subrev_u32_e32 v56, 28, v58
	v_lshlrev_b64 v[56:57], v56, v[30:31]
	v_lshrrev_b32_e32 v55, 3, v32
	v_sub_u32_e32 v57, 29, v58
	v_and_b32_e32 v56, 7, v56
	v_cmp_gt_u32_e32 vcc, 8, v32
	v_cndmask_b32_e32 v32, v55, v57, vcc
	v_cndmask_b32_e32 v52, v52, v56, vcc
	v_lshlrev_b32_e32 v30, 24, v30
	v_bfrev_b32_e32 v55, 60
	v_lshlrev_b32_e32 v52, 20, v52
	v_and_b32_e32 v30, 0x80000000, v30
	v_lshl_add_u32 v32, v32, 23, v55
	v_or3_b32 v30, v30, v32, v52
	v_lshrrev_b32_e32 v55, 16, v30
.LBB835_275:
	s_or_b64 exec, exec, s[10:11]
.LBB835_276:
	s_or_b64 exec, exec, s[8:9]
.LBB835_277:
	s_or_b64 exec, exec, s[2:3]
	v_cmp_ne_u16_sdwa s[8:9], v33, v54 src0_sel:BYTE_0 src1_sel:DWORD
	s_and_saveexec_b64 s[2:3], s[8:9]
	s_cbranch_execz .LBB835_283
; %bb.278:
	s_movk_i32 s8, 0x80
	v_cmp_ne_u16_sdwa s[10:11], v33, s8 src0_sel:BYTE_0 src1_sel:DWORD
	v_mov_b32_e32 v54, 0xffff8000
	s_and_saveexec_b64 s[8:9], s[10:11]
	s_cbranch_execz .LBB835_282
; %bb.279:
	s_movk_i32 s10, 0x7f
	v_and_b32_e32 v30, 0x7f, v33
	v_cmp_ne_u32_e32 vcc, s10, v30
	v_mov_b32_e32 v54, 0x7f80
	s_and_saveexec_b64 s[10:11], vcc
	s_cbranch_execz .LBB835_281
; %bb.280:
	v_and_b32_e32 v52, 7, v33
	v_ffbh_u32_e32 v56, v52
	v_min_u32_e32 v58, 32, v56
	v_mov_b32_e32 v32, v33
	v_subrev_u32_e32 v56, 28, v58
	v_lshlrev_b64 v[56:57], v56, v[32:33]
	v_lshrrev_b32_e32 v54, 3, v30
	v_sub_u32_e32 v32, 29, v58
	v_and_b32_e32 v56, 7, v56
	v_cmp_gt_u32_e32 vcc, 8, v30
	v_cndmask_b32_e32 v30, v54, v32, vcc
	v_cndmask_b32_e32 v32, v52, v56, vcc
	v_lshlrev_b32_e32 v52, 24, v33
	v_bfrev_b32_e32 v54, 60
	v_lshlrev_b32_e32 v32, 20, v32
	v_and_b32_e32 v52, 0x80000000, v52
	v_lshl_add_u32 v30, v30, 23, v54
	v_or3_b32 v30, v52, v30, v32
	v_lshrrev_b32_e32 v54, 16, v30
.LBB835_281:
	s_or_b64 exec, exec, s[10:11]
.LBB835_282:
	s_or_b64 exec, exec, s[8:9]
.LBB835_283:
	s_or_b64 exec, exec, s[2:3]
	v_lshrrev_b16_e32 v30, 8, v33
	v_cmp_ne_u16_e32 vcc, 0, v30
	v_mov_b32_e32 v56, 0
	v_mov_b32_e32 v32, 0
	s_and_saveexec_b64 s[2:3], vcc
	s_cbranch_execz .LBB835_289
; %bb.284:
	s_movk_i32 s8, 0x80
	v_cmp_ne_u16_e32 vcc, s8, v30
	v_mov_b32_e32 v32, 0xffff8000
	s_and_saveexec_b64 s[8:9], vcc
	s_cbranch_execz .LBB835_288
; %bb.285:
	s_movk_i32 s10, 0x7f
	v_and_b32_e32 v52, 0x7f, v30
	v_cmp_ne_u32_e32 vcc, s10, v52
	v_mov_b32_e32 v32, 0x7f80
	s_and_saveexec_b64 s[10:11], vcc
	s_cbranch_execz .LBB835_287
; %bb.286:
	v_and_b32_e32 v32, 7, v30
	v_ffbh_u32_e32 v58, v32
	v_min_u32_e32 v60, 32, v58
	v_subrev_u32_e32 v58, 28, v60
	v_lshlrev_b64 v[58:59], v58, v[30:31]
	v_lshrrev_b32_e32 v57, 3, v52
	v_sub_u32_e32 v30, 29, v60
	v_and_b32_e32 v58, 7, v58
	v_cmp_gt_u32_e32 vcc, 8, v52
	v_cndmask_b32_e32 v30, v57, v30, vcc
	v_cndmask_b32_e32 v32, v32, v58, vcc
	v_lshlrev_b32_e32 v52, 16, v33
	v_bfrev_b32_e32 v57, 60
	v_lshlrev_b32_e32 v32, 20, v32
	v_and_b32_e32 v52, 0x80000000, v52
	v_lshl_add_u32 v30, v30, 23, v57
	v_or3_b32 v30, v52, v30, v32
	v_lshrrev_b32_e32 v32, 16, v30
.LBB835_287:
	s_or_b64 exec, exec, s[10:11]
.LBB835_288:
	s_or_b64 exec, exec, s[8:9]
.LBB835_289:
	s_or_b64 exec, exec, s[2:3]
	s_movk_i32 s2, 0xff
	v_and_b32_sdwa v52, v33, s2 dst_sel:DWORD dst_unused:UNUSED_PAD src0_sel:WORD_1 src1_sel:DWORD
	v_lshrrev_b32_e32 v30, 16, v33
	v_cmp_ne_u16_e32 vcc, 0, v52
	s_and_saveexec_b64 s[2:3], vcc
	s_cbranch_execz .LBB835_295
; %bb.290:
	s_movk_i32 s8, 0x80
	v_cmp_ne_u16_e32 vcc, s8, v52
	v_mov_b32_e32 v56, 0xffff8000
	s_and_saveexec_b64 s[8:9], vcc
	s_cbranch_execz .LBB835_294
; %bb.291:
	v_bfe_u32 v52, v33, 16, 7
	s_movk_i32 s10, 0x7f
	v_cmp_ne_u32_e32 vcc, s10, v52
	v_mov_b32_e32 v56, 0x7f80
	s_and_saveexec_b64 s[10:11], vcc
	s_cbranch_execz .LBB835_293
; %bb.292:
	v_and_b32_e32 v58, 7, v30
	v_ffbh_u32_e32 v56, v58
	v_min_u32_e32 v60, 32, v56
	v_subrev_u32_e32 v56, 28, v60
	v_lshlrev_b64 v[56:57], v56, v[30:31]
	v_and_b32_e32 v56, 7, v56
	v_cmp_gt_u32_e32 vcc, 8, v52
	v_lshrrev_b32_e32 v59, 3, v52
	v_sub_u32_e32 v30, 29, v60
	v_cndmask_b32_e32 v52, v58, v56, vcc
	v_mov_b32_e32 v56, 24
	v_cndmask_b32_e32 v30, v59, v30, vcc
	v_lshlrev_b32_sdwa v56, v56, v33 dst_sel:DWORD dst_unused:UNUSED_PAD src0_sel:DWORD src1_sel:WORD_1
	v_bfrev_b32_e32 v57, 60
	v_lshlrev_b32_e32 v52, 20, v52
	v_and_b32_e32 v56, 0x80000000, v56
	v_lshl_add_u32 v30, v30, 23, v57
	v_or3_b32 v30, v56, v30, v52
	v_lshrrev_b32_e32 v56, 16, v30
.LBB835_293:
	s_or_b64 exec, exec, s[10:11]
.LBB835_294:
	s_or_b64 exec, exec, s[8:9]
.LBB835_295:
	s_or_b64 exec, exec, s[2:3]
	s_mov_b32 s2, 0xffffff
	v_cmp_lt_u32_e32 vcc, s2, v33
	v_mov_b32_e32 v52, 0
	v_mov_b32_e32 v57, 0
	s_and_saveexec_b64 s[2:3], vcc
	s_cbranch_execz .LBB835_301
; %bb.296:
	v_lshrrev_b32_e32 v30, 24, v33
	s_movk_i32 s8, 0x80
	v_cmp_ne_u32_e32 vcc, s8, v30
	v_mov_b32_e32 v57, 0xffff8000
	s_and_saveexec_b64 s[8:9], vcc
	s_cbranch_execz .LBB835_300
; %bb.297:
	v_bfe_u32 v33, v33, 24, 7
	s_movk_i32 s10, 0x7f
	v_cmp_ne_u32_e32 vcc, s10, v33
	v_mov_b32_e32 v57, 0x7f80
	s_and_saveexec_b64 s[10:11], vcc
	s_cbranch_execz .LBB835_299
; %bb.298:
	v_and_b32_e32 v57, 7, v30
	v_ffbh_u32_e32 v58, v57
	v_min_u32_e32 v61, 32, v58
	v_subrev_u32_e32 v58, 28, v61
	v_lshlrev_b64 v[58:59], v58, v[30:31]
	v_lshrrev_b32_e32 v60, 3, v33
	v_sub_u32_e32 v59, 29, v61
	v_and_b32_e32 v58, 7, v58
	v_cmp_gt_u32_e32 vcc, 8, v33
	v_cndmask_b32_e32 v33, v60, v59, vcc
	v_cndmask_b32_e32 v57, v57, v58, vcc
	v_lshlrev_b32_e32 v30, 24, v30
	v_bfrev_b32_e32 v58, 60
	v_lshlrev_b32_e32 v57, 20, v57
	v_and_b32_e32 v30, 0x80000000, v30
	v_lshl_add_u32 v33, v33, 23, v58
	v_or3_b32 v30, v30, v33, v57
	v_lshrrev_b32_e32 v57, 16, v30
.LBB835_299:
	s_or_b64 exec, exec, s[10:11]
.LBB835_300:
	s_or_b64 exec, exec, s[8:9]
.LBB835_301:
	s_or_b64 exec, exec, s[2:3]
	s_mov_b32 s2, 0x5040100
	v_perm_b32 v59, v55, v53, s2
	v_perm_b32 v58, v31, v51, s2
	;; [unrolled: 1-line block ×4, first 2 shown]
	v_cmp_ne_u16_sdwa s[8:9], v22, v52 src0_sel:BYTE_0 src1_sel:DWORD
	v_mfma_f32_16x16x16bf16_1k v[42:45], v[58:59], v[18:19], v[42:45]
	v_mfma_f32_16x16x16bf16_1k v[30:33], v[30:31], v[20:21], v[42:45]
	s_and_saveexec_b64 s[2:3], s[8:9]
	s_cbranch_execz .LBB835_307
; %bb.302:
	s_movk_i32 s8, 0x80
	v_cmp_ne_u16_sdwa s[10:11], v22, s8 src0_sel:BYTE_0 src1_sel:DWORD
	v_mov_b32_e32 v52, 0xffff8000
	s_and_saveexec_b64 s[8:9], s[10:11]
	s_cbranch_execz .LBB835_306
; %bb.303:
	s_movk_i32 s10, 0x7f
	s_nop 1
	v_and_b32_e32 v42, 0x7f, v22
	v_cmp_ne_u32_e32 vcc, s10, v42
	v_mov_b32_e32 v52, 0x7f80
	s_and_saveexec_b64 s[10:11], vcc
	s_cbranch_execz .LBB835_305
; %bb.304:
	v_and_b32_e32 v43, 7, v22
	v_ffbh_u32_e32 v44, v43
	v_min_u32_e32 v52, 32, v44
	v_subrev_u32_e32 v44, 28, v52
	v_lshlrev_b64 v[44:45], v44, v[22:23]
	v_lshrrev_b32_e32 v51, 3, v42
	v_sub_u32_e32 v45, 29, v52
	v_and_b32_e32 v44, 7, v44
	v_cmp_gt_u32_e32 vcc, 8, v42
	v_cndmask_b32_e32 v42, v51, v45, vcc
	v_cndmask_b32_e32 v43, v43, v44, vcc
	v_lshlrev_b32_e32 v44, 24, v22
	v_bfrev_b32_e32 v45, 60
	v_lshlrev_b32_e32 v43, 20, v43
	v_and_b32_e32 v44, 0x80000000, v44
	v_lshl_add_u32 v42, v42, 23, v45
	v_or3_b32 v42, v44, v42, v43
	v_lshrrev_b32_e32 v52, 16, v42
.LBB835_305:
	s_or_b64 exec, exec, s[10:11]
.LBB835_306:
	s_or_b64 exec, exec, s[8:9]
.LBB835_307:
	s_or_b64 exec, exec, s[2:3]
	s_nop 6
	v_lshrrev_b16_e32 v42, 8, v22
	v_cmp_ne_u16_e32 vcc, 0, v42
	v_mov_b32_e32 v44, 0
	v_mov_b32_e32 v43, 0
	s_and_saveexec_b64 s[2:3], vcc
	s_cbranch_execz .LBB835_313
; %bb.308:
	s_movk_i32 s8, 0x80
	v_cmp_ne_u16_e32 vcc, s8, v42
	v_mov_b32_e32 v43, 0xffff8000
	s_and_saveexec_b64 s[8:9], vcc
	s_cbranch_execz .LBB835_312
; %bb.309:
	s_movk_i32 s10, 0x7f
	v_and_b32_e32 v45, 0x7f, v42
	v_cmp_ne_u32_e32 vcc, s10, v45
	v_mov_b32_e32 v43, 0x7f80
	s_and_saveexec_b64 s[10:11], vcc
	s_cbranch_execz .LBB835_311
; %bb.310:
	v_and_b32_e32 v51, 7, v42
	v_ffbh_u32_e32 v43, v51
	v_min_u32_e32 v54, 32, v43
	v_subrev_u32_e32 v43, 28, v54
	v_lshlrev_b64 v[42:43], v43, v[42:43]
	v_lshrrev_b32_e32 v53, 3, v45
	v_sub_u32_e32 v43, 29, v54
	v_and_b32_e32 v42, 7, v42
	v_cmp_gt_u32_e32 vcc, 8, v45
	v_cndmask_b32_e32 v43, v53, v43, vcc
	v_cndmask_b32_e32 v42, v51, v42, vcc
	v_lshlrev_b32_e32 v45, 16, v22
	v_bfrev_b32_e32 v51, 60
	v_lshlrev_b32_e32 v42, 20, v42
	v_and_b32_e32 v45, 0x80000000, v45
	v_lshl_add_u32 v43, v43, 23, v51
	v_or3_b32 v42, v45, v43, v42
	v_lshrrev_b32_e32 v43, 16, v42
.LBB835_311:
	s_or_b64 exec, exec, s[10:11]
.LBB835_312:
	s_or_b64 exec, exec, s[8:9]
.LBB835_313:
	s_or_b64 exec, exec, s[2:3]
	s_movk_i32 s2, 0xff
	v_and_b32_sdwa v45, v22, s2 dst_sel:DWORD dst_unused:UNUSED_PAD src0_sel:WORD_1 src1_sel:DWORD
	v_lshrrev_b32_e32 v42, 16, v22
	v_cmp_ne_u16_e32 vcc, 0, v45
	s_and_saveexec_b64 s[2:3], vcc
	s_cbranch_execz .LBB835_319
; %bb.314:
	s_movk_i32 s8, 0x80
	v_cmp_ne_u16_e32 vcc, s8, v45
	v_mov_b32_e32 v44, 0xffff8000
	s_and_saveexec_b64 s[8:9], vcc
	s_cbranch_execz .LBB835_318
; %bb.315:
	v_bfe_u32 v45, v22, 16, 7
	s_movk_i32 s10, 0x7f
	v_cmp_ne_u32_e32 vcc, s10, v45
	v_mov_b32_e32 v44, 0x7f80
	s_and_saveexec_b64 s[10:11], vcc
	s_cbranch_execz .LBB835_317
; %bb.316:
	v_and_b32_e32 v44, 7, v42
	v_ffbh_u32_e32 v53, v44
	v_min_u32_e32 v53, 32, v53
	v_subrev_u32_e32 v54, 28, v53
	v_lshlrev_b64 v[54:55], v54, v[42:43]
	v_lshrrev_b32_e32 v51, 3, v45
	v_sub_u32_e32 v42, 29, v53
	v_and_b32_e32 v53, 7, v54
	v_cmp_gt_u32_e32 vcc, 8, v45
	v_mov_b32_e32 v45, 24
	v_cndmask_b32_e32 v42, v51, v42, vcc
	v_cndmask_b32_e32 v44, v44, v53, vcc
	v_lshlrev_b32_sdwa v45, v45, v22 dst_sel:DWORD dst_unused:UNUSED_PAD src0_sel:DWORD src1_sel:WORD_1
	v_bfrev_b32_e32 v51, 60
	v_lshlrev_b32_e32 v44, 20, v44
	v_and_b32_e32 v45, 0x80000000, v45
	v_lshl_add_u32 v42, v42, 23, v51
	v_or3_b32 v42, v45, v42, v44
	v_lshrrev_b32_e32 v44, 16, v42
.LBB835_317:
	s_or_b64 exec, exec, s[10:11]
.LBB835_318:
	s_or_b64 exec, exec, s[8:9]
.LBB835_319:
	s_or_b64 exec, exec, s[2:3]
	s_mov_b32 s2, 0xffffff
	v_cmp_lt_u32_e32 vcc, s2, v22
	v_mov_b32_e32 v45, 0
	v_mov_b32_e32 v51, 0
	s_and_saveexec_b64 s[2:3], vcc
	s_cbranch_execz .LBB835_325
; %bb.320:
	v_lshrrev_b32_e32 v42, 24, v22
	s_movk_i32 s8, 0x80
	v_cmp_ne_u32_e32 vcc, s8, v42
	v_mov_b32_e32 v51, 0xffff8000
	s_and_saveexec_b64 s[8:9], vcc
	s_cbranch_execz .LBB835_324
; %bb.321:
	v_bfe_u32 v22, v22, 24, 7
	s_movk_i32 s10, 0x7f
	v_cmp_ne_u32_e32 vcc, s10, v22
	v_mov_b32_e32 v51, 0x7f80
	s_and_saveexec_b64 s[10:11], vcc
	s_cbranch_execz .LBB835_323
; %bb.322:
	v_and_b32_e32 v51, 7, v42
	v_ffbh_u32_e32 v54, v51
	v_min_u32_e32 v56, 32, v54
	v_subrev_u32_e32 v54, 28, v56
	v_lshlrev_b64 v[54:55], v54, v[42:43]
	v_lshrrev_b32_e32 v53, 3, v22
	v_sub_u32_e32 v55, 29, v56
	v_and_b32_e32 v54, 7, v54
	v_cmp_gt_u32_e32 vcc, 8, v22
	v_cndmask_b32_e32 v22, v53, v55, vcc
	v_cndmask_b32_e32 v51, v51, v54, vcc
	v_lshlrev_b32_e32 v42, 24, v42
	v_bfrev_b32_e32 v53, 60
	v_lshlrev_b32_e32 v51, 20, v51
	v_and_b32_e32 v42, 0x80000000, v42
	v_lshl_add_u32 v22, v22, 23, v53
	v_or3_b32 v22, v42, v22, v51
	v_lshrrev_b32_e32 v51, 16, v22
.LBB835_323:
	s_or_b64 exec, exec, s[10:11]
.LBB835_324:
	s_or_b64 exec, exec, s[8:9]
.LBB835_325:
	s_or_b64 exec, exec, s[2:3]
	v_cmp_ne_u16_sdwa s[8:9], v23, v45 src0_sel:BYTE_0 src1_sel:DWORD
	s_and_saveexec_b64 s[2:3], s[8:9]
	s_cbranch_execz .LBB835_331
; %bb.326:
	s_movk_i32 s8, 0x80
	v_cmp_ne_u16_sdwa s[10:11], v23, s8 src0_sel:BYTE_0 src1_sel:DWORD
	v_mov_b32_e32 v45, 0xffff8000
	s_and_saveexec_b64 s[8:9], s[10:11]
	s_cbranch_execz .LBB835_330
; %bb.327:
	s_movk_i32 s10, 0x7f
	v_and_b32_e32 v22, 0x7f, v23
	v_cmp_ne_u32_e32 vcc, s10, v22
	v_mov_b32_e32 v45, 0x7f80
	s_and_saveexec_b64 s[10:11], vcc
	s_cbranch_execz .LBB835_329
; %bb.328:
	v_and_b32_e32 v45, 7, v23
	v_ffbh_u32_e32 v54, v45
	v_min_u32_e32 v56, 32, v54
	v_mov_b32_e32 v42, v23
	v_subrev_u32_e32 v54, 28, v56
	v_lshlrev_b64 v[54:55], v54, v[42:43]
	v_lshrrev_b32_e32 v53, 3, v22
	v_sub_u32_e32 v42, 29, v56
	v_and_b32_e32 v54, 7, v54
	v_cmp_gt_u32_e32 vcc, 8, v22
	v_cndmask_b32_e32 v22, v53, v42, vcc
	v_cndmask_b32_e32 v42, v45, v54, vcc
	v_lshlrev_b32_e32 v45, 24, v23
	v_bfrev_b32_e32 v53, 60
	v_lshlrev_b32_e32 v42, 20, v42
	v_and_b32_e32 v45, 0x80000000, v45
	v_lshl_add_u32 v22, v22, 23, v53
	v_or3_b32 v22, v45, v22, v42
	v_lshrrev_b32_e32 v45, 16, v22
.LBB835_329:
	s_or_b64 exec, exec, s[10:11]
.LBB835_330:
	s_or_b64 exec, exec, s[8:9]
.LBB835_331:
	s_or_b64 exec, exec, s[2:3]
	v_lshrrev_b16_e32 v22, 8, v23
	v_cmp_ne_u16_e32 vcc, 0, v22
	v_mov_b32_e32 v54, 0
	v_mov_b32_e32 v53, 0
	s_and_saveexec_b64 s[2:3], vcc
	s_cbranch_execz .LBB835_337
; %bb.332:
	s_movk_i32 s8, 0x80
	v_cmp_ne_u16_e32 vcc, s8, v22
	v_mov_b32_e32 v53, 0xffff8000
	s_and_saveexec_b64 s[8:9], vcc
	s_cbranch_execz .LBB835_336
; %bb.333:
	s_movk_i32 s10, 0x7f
	v_and_b32_e32 v42, 0x7f, v22
	v_cmp_ne_u32_e32 vcc, s10, v42
	v_mov_b32_e32 v53, 0x7f80
	s_and_saveexec_b64 s[10:11], vcc
	s_cbranch_execz .LBB835_335
; %bb.334:
	v_and_b32_e32 v53, 7, v22
	v_ffbh_u32_e32 v56, v53
	v_min_u32_e32 v58, 32, v56
	v_subrev_u32_e32 v56, 28, v58
	v_lshlrev_b64 v[56:57], v56, v[22:23]
	v_lshrrev_b32_e32 v55, 3, v42
	v_sub_u32_e32 v22, 29, v58
	v_and_b32_e32 v56, 7, v56
	v_cmp_gt_u32_e32 vcc, 8, v42
	v_cndmask_b32_e32 v22, v55, v22, vcc
	v_cndmask_b32_e32 v42, v53, v56, vcc
	v_lshlrev_b32_e32 v53, 16, v23
	v_bfrev_b32_e32 v55, 60
	v_lshlrev_b32_e32 v42, 20, v42
	v_and_b32_e32 v53, 0x80000000, v53
	v_lshl_add_u32 v22, v22, 23, v55
	v_or3_b32 v22, v53, v22, v42
	v_lshrrev_b32_e32 v53, 16, v22
.LBB835_335:
	s_or_b64 exec, exec, s[10:11]
.LBB835_336:
	s_or_b64 exec, exec, s[8:9]
.LBB835_337:
	s_or_b64 exec, exec, s[2:3]
	s_movk_i32 s2, 0xff
	v_and_b32_sdwa v42, v23, s2 dst_sel:DWORD dst_unused:UNUSED_PAD src0_sel:WORD_1 src1_sel:DWORD
	v_lshrrev_b32_e32 v22, 16, v23
	v_cmp_ne_u16_e32 vcc, 0, v42
	s_and_saveexec_b64 s[2:3], vcc
	s_cbranch_execz .LBB835_343
; %bb.338:
	s_movk_i32 s8, 0x80
	v_cmp_ne_u16_e32 vcc, s8, v42
	v_mov_b32_e32 v54, 0xffff8000
	s_and_saveexec_b64 s[8:9], vcc
	s_cbranch_execz .LBB835_342
; %bb.339:
	v_bfe_u32 v42, v23, 16, 7
	s_movk_i32 s10, 0x7f
	v_cmp_ne_u32_e32 vcc, s10, v42
	v_mov_b32_e32 v54, 0x7f80
	s_and_saveexec_b64 s[10:11], vcc
	s_cbranch_execz .LBB835_341
; %bb.340:
	v_and_b32_e32 v56, 7, v22
	v_ffbh_u32_e32 v54, v56
	v_min_u32_e32 v58, 32, v54
	v_subrev_u32_e32 v54, 28, v58
	v_lshlrev_b64 v[54:55], v54, v[22:23]
	v_and_b32_e32 v54, 7, v54
	v_cmp_gt_u32_e32 vcc, 8, v42
	v_lshrrev_b32_e32 v57, 3, v42
	v_sub_u32_e32 v22, 29, v58
	v_cndmask_b32_e32 v42, v56, v54, vcc
	v_mov_b32_e32 v54, 24
	v_cndmask_b32_e32 v22, v57, v22, vcc
	v_lshlrev_b32_sdwa v54, v54, v23 dst_sel:DWORD dst_unused:UNUSED_PAD src0_sel:DWORD src1_sel:WORD_1
	v_bfrev_b32_e32 v55, 60
	v_lshlrev_b32_e32 v42, 20, v42
	v_and_b32_e32 v54, 0x80000000, v54
	v_lshl_add_u32 v22, v22, 23, v55
	v_or3_b32 v22, v54, v22, v42
	v_lshrrev_b32_e32 v54, 16, v22
.LBB835_341:
	s_or_b64 exec, exec, s[10:11]
.LBB835_342:
	s_or_b64 exec, exec, s[8:9]
.LBB835_343:
	s_or_b64 exec, exec, s[2:3]
	s_mov_b32 s2, 0xffffff
	v_cmp_lt_u32_e32 vcc, s2, v23
	v_mov_b32_e32 v42, 0
	v_mov_b32_e32 v55, 0
	s_and_saveexec_b64 s[2:3], vcc
	s_cbranch_execz .LBB835_349
; %bb.344:
	v_lshrrev_b32_e32 v22, 24, v23
	s_movk_i32 s8, 0x80
	v_cmp_ne_u32_e32 vcc, s8, v22
	v_mov_b32_e32 v55, 0xffff8000
	s_and_saveexec_b64 s[8:9], vcc
	s_cbranch_execz .LBB835_348
; %bb.345:
	v_bfe_u32 v23, v23, 24, 7
	s_movk_i32 s10, 0x7f
	v_cmp_ne_u32_e32 vcc, s10, v23
	v_mov_b32_e32 v55, 0x7f80
	s_and_saveexec_b64 s[10:11], vcc
	s_cbranch_execz .LBB835_347
; %bb.346:
	v_and_b32_e32 v55, 7, v22
	v_ffbh_u32_e32 v56, v55
	v_min_u32_e32 v59, 32, v56
	v_subrev_u32_e32 v56, 28, v59
	v_lshlrev_b64 v[56:57], v56, v[22:23]
	v_lshrrev_b32_e32 v58, 3, v23
	v_sub_u32_e32 v57, 29, v59
	v_and_b32_e32 v56, 7, v56
	v_cmp_gt_u32_e32 vcc, 8, v23
	v_cndmask_b32_e32 v23, v58, v57, vcc
	v_cndmask_b32_e32 v55, v55, v56, vcc
	v_lshlrev_b32_e32 v22, 24, v22
	v_bfrev_b32_e32 v56, 60
	v_lshlrev_b32_e32 v55, 20, v55
	v_and_b32_e32 v22, 0x80000000, v22
	v_lshl_add_u32 v23, v23, 23, v56
	v_or3_b32 v22, v22, v23, v55
	v_lshrrev_b32_e32 v55, 16, v22
.LBB835_347:
	s_or_b64 exec, exec, s[10:11]
.LBB835_348:
	s_or_b64 exec, exec, s[8:9]
.LBB835_349:
	s_or_b64 exec, exec, s[2:3]
	s_mov_b32 s2, 0x5040100
	v_perm_b32 v23, v51, v44, s2
	v_perm_b32 v22, v43, v52, s2
	v_cmp_ne_u16_sdwa s[8:9], v24, v42 src0_sel:BYTE_0 src1_sel:DWORD
	s_nop 0
	v_mfma_f32_16x16x16bf16_1k v[56:59], v[22:23], v[26:27], 0
	v_perm_b32 v23, v55, v54, s2
	v_perm_b32 v22, v53, v45, s2
	s_nop 1
	v_mfma_f32_16x16x16bf16_1k v[26:29], v[22:23], v[28:29], v[56:59]
	s_and_saveexec_b64 s[2:3], s[8:9]
	s_cbranch_execz .LBB835_355
; %bb.350:
	s_movk_i32 s8, 0x80
	v_cmp_ne_u16_sdwa s[10:11], v24, s8 src0_sel:BYTE_0 src1_sel:DWORD
	v_mov_b32_e32 v42, 0xffff8000
	s_and_saveexec_b64 s[8:9], s[10:11]
	s_cbranch_execz .LBB835_354
; %bb.351:
	s_movk_i32 s10, 0x7f
	v_and_b32_e32 v22, 0x7f, v24
	v_cmp_ne_u32_e32 vcc, s10, v22
	v_mov_b32_e32 v42, 0x7f80
	s_and_saveexec_b64 s[10:11], vcc
	s_cbranch_execz .LBB835_353
; %bb.352:
	v_and_b32_e32 v23, 7, v24
	v_ffbh_u32_e32 v42, v23
	v_min_u32_e32 v45, 32, v42
	v_subrev_u32_e32 v42, 28, v45
	v_lshlrev_b64 v[42:43], v42, v[24:25]
	v_lshrrev_b32_e32 v44, 3, v22
	v_sub_u32_e32 v43, 29, v45
	v_and_b32_e32 v42, 7, v42
	v_cmp_gt_u32_e32 vcc, 8, v22
	v_cndmask_b32_e32 v22, v44, v43, vcc
	v_cndmask_b32_e32 v23, v23, v42, vcc
	v_lshlrev_b32_e32 v42, 24, v24
	v_bfrev_b32_e32 v43, 60
	v_lshlrev_b32_e32 v23, 20, v23
	v_and_b32_e32 v42, 0x80000000, v42
	v_lshl_add_u32 v22, v22, 23, v43
	v_or3_b32 v22, v42, v22, v23
	v_lshrrev_b32_e32 v42, 16, v22
.LBB835_353:
	s_or_b64 exec, exec, s[10:11]
.LBB835_354:
	s_or_b64 exec, exec, s[8:9]
.LBB835_355:
	s_or_b64 exec, exec, s[2:3]
	v_lshrrev_b16_e32 v22, 8, v24
	v_cmp_ne_u16_e32 vcc, 0, v22
	v_mov_b32_e32 v43, 0
	v_mov_b32_e32 v23, 0
	s_and_saveexec_b64 s[2:3], vcc
	s_cbranch_execz .LBB835_361
; %bb.356:
	s_movk_i32 s8, 0x80
	v_cmp_ne_u16_e32 vcc, s8, v22
	v_mov_b32_e32 v23, 0xffff8000
	s_and_saveexec_b64 s[8:9], vcc
	s_cbranch_execz .LBB835_360
; %bb.357:
	s_movk_i32 s10, 0x7f
	v_and_b32_e32 v44, 0x7f, v22
	v_cmp_ne_u32_e32 vcc, s10, v44
	v_mov_b32_e32 v23, 0x7f80
	s_and_saveexec_b64 s[10:11], vcc
	s_cbranch_execz .LBB835_359
; %bb.358:
	v_and_b32_e32 v45, 7, v22
	v_ffbh_u32_e32 v23, v45
	v_min_u32_e32 v52, 32, v23
	v_subrev_u32_e32 v23, 28, v52
	v_lshlrev_b64 v[22:23], v23, v[22:23]
	v_lshrrev_b32_e32 v51, 3, v44
	v_sub_u32_e32 v23, 29, v52
	v_and_b32_e32 v22, 7, v22
	v_cmp_gt_u32_e32 vcc, 8, v44
	v_cndmask_b32_e32 v23, v51, v23, vcc
	v_cndmask_b32_e32 v22, v45, v22, vcc
	v_lshlrev_b32_e32 v44, 16, v24
	v_bfrev_b32_e32 v45, 60
	v_lshlrev_b32_e32 v22, 20, v22
	v_and_b32_e32 v44, 0x80000000, v44
	v_lshl_add_u32 v23, v23, 23, v45
	v_or3_b32 v22, v44, v23, v22
	v_lshrrev_b32_e32 v23, 16, v22
.LBB835_359:
	s_or_b64 exec, exec, s[10:11]
.LBB835_360:
	s_or_b64 exec, exec, s[8:9]
.LBB835_361:
	s_or_b64 exec, exec, s[2:3]
	s_movk_i32 s2, 0xff
	v_and_b32_sdwa v44, v24, s2 dst_sel:DWORD dst_unused:UNUSED_PAD src0_sel:WORD_1 src1_sel:DWORD
	v_lshrrev_b32_e32 v22, 16, v24
	v_cmp_ne_u16_e32 vcc, 0, v44
	s_and_saveexec_b64 s[2:3], vcc
	s_cbranch_execz .LBB835_367
; %bb.362:
	s_movk_i32 s8, 0x80
	v_cmp_ne_u16_e32 vcc, s8, v44
	v_mov_b32_e32 v43, 0xffff8000
	s_and_saveexec_b64 s[8:9], vcc
	s_cbranch_execz .LBB835_366
; %bb.363:
	v_bfe_u32 v44, v24, 16, 7
	s_movk_i32 s10, 0x7f
	v_cmp_ne_u32_e32 vcc, s10, v44
	v_mov_b32_e32 v43, 0x7f80
	s_and_saveexec_b64 s[10:11], vcc
	s_cbranch_execz .LBB835_365
; %bb.364:
	v_and_b32_e32 v43, 7, v22
	v_ffbh_u32_e32 v51, v43
	v_min_u32_e32 v51, 32, v51
	v_subrev_u32_e32 v52, 28, v51
	v_lshlrev_b64 v[52:53], v52, v[22:23]
	v_lshrrev_b32_e32 v45, 3, v44
	v_sub_u32_e32 v22, 29, v51
	v_and_b32_e32 v51, 7, v52
	v_cmp_gt_u32_e32 vcc, 8, v44
	v_mov_b32_e32 v44, 24
	v_cndmask_b32_e32 v22, v45, v22, vcc
	v_cndmask_b32_e32 v43, v43, v51, vcc
	v_lshlrev_b32_sdwa v44, v44, v24 dst_sel:DWORD dst_unused:UNUSED_PAD src0_sel:DWORD src1_sel:WORD_1
	v_bfrev_b32_e32 v45, 60
	v_lshlrev_b32_e32 v43, 20, v43
	v_and_b32_e32 v44, 0x80000000, v44
	v_lshl_add_u32 v22, v22, 23, v45
	v_or3_b32 v22, v44, v22, v43
	v_lshrrev_b32_e32 v43, 16, v22
.LBB835_365:
	s_or_b64 exec, exec, s[10:11]
.LBB835_366:
	s_or_b64 exec, exec, s[8:9]
.LBB835_367:
	s_or_b64 exec, exec, s[2:3]
	s_mov_b32 s2, 0xffffff
	v_cmp_lt_u32_e32 vcc, s2, v24
	v_mov_b32_e32 v45, 0
	v_mov_b32_e32 v51, 0
	s_and_saveexec_b64 s[2:3], vcc
	s_cbranch_execz .LBB835_373
; %bb.368:
	v_lshrrev_b32_e32 v22, 24, v24
	s_movk_i32 s8, 0x80
	v_cmp_ne_u32_e32 vcc, s8, v22
	v_mov_b32_e32 v51, 0xffff8000
	s_and_saveexec_b64 s[8:9], vcc
	s_cbranch_execz .LBB835_372
; %bb.369:
	v_bfe_u32 v24, v24, 24, 7
	s_movk_i32 s10, 0x7f
	v_cmp_ne_u32_e32 vcc, s10, v24
	v_mov_b32_e32 v51, 0x7f80
	s_and_saveexec_b64 s[10:11], vcc
	s_cbranch_execz .LBB835_371
; %bb.370:
	v_and_b32_e32 v44, 7, v22
	v_ffbh_u32_e32 v52, v44
	v_min_u32_e32 v54, 32, v52
	v_subrev_u32_e32 v52, 28, v54
	v_lshlrev_b64 v[52:53], v52, v[22:23]
	v_lshrrev_b32_e32 v51, 3, v24
	v_sub_u32_e32 v53, 29, v54
	v_and_b32_e32 v52, 7, v52
	v_cmp_gt_u32_e32 vcc, 8, v24
	v_cndmask_b32_e32 v24, v51, v53, vcc
	v_cndmask_b32_e32 v44, v44, v52, vcc
	v_lshlrev_b32_e32 v22, 24, v22
	v_bfrev_b32_e32 v51, 60
	v_lshlrev_b32_e32 v44, 20, v44
	v_and_b32_e32 v22, 0x80000000, v22
	v_lshl_add_u32 v24, v24, 23, v51
	v_or3_b32 v22, v22, v24, v44
	v_lshrrev_b32_e32 v51, 16, v22
.LBB835_371:
	s_or_b64 exec, exec, s[10:11]
.LBB835_372:
	s_or_b64 exec, exec, s[8:9]
.LBB835_373:
	s_or_b64 exec, exec, s[2:3]
	v_cmp_ne_u16_sdwa s[8:9], v25, v45 src0_sel:BYTE_0 src1_sel:DWORD
	s_and_saveexec_b64 s[2:3], s[8:9]
	s_cbranch_execz .LBB835_379
; %bb.374:
	s_movk_i32 s8, 0x80
	v_cmp_ne_u16_sdwa s[10:11], v25, s8 src0_sel:BYTE_0 src1_sel:DWORD
	v_mov_b32_e32 v45, 0xffff8000
	s_and_saveexec_b64 s[8:9], s[10:11]
	s_cbranch_execz .LBB835_378
; %bb.375:
	s_movk_i32 s10, 0x7f
	v_and_b32_e32 v22, 0x7f, v25
	v_cmp_ne_u32_e32 vcc, s10, v22
	v_mov_b32_e32 v45, 0x7f80
	s_and_saveexec_b64 s[10:11], vcc
	s_cbranch_execz .LBB835_377
; %bb.376:
	v_and_b32_e32 v52, 7, v25
	v_ffbh_u32_e32 v44, v52
	v_min_u32_e32 v54, 32, v44
	v_mov_b32_e32 v24, v25
	v_subrev_u32_e32 v44, 28, v54
	v_lshlrev_b64 v[44:45], v44, v[24:25]
	v_lshrrev_b32_e32 v53, 3, v22
	v_sub_u32_e32 v24, 29, v54
	v_and_b32_e32 v44, 7, v44
	v_cmp_gt_u32_e32 vcc, 8, v22
	v_cndmask_b32_e32 v22, v53, v24, vcc
	v_cndmask_b32_e32 v24, v52, v44, vcc
	v_lshlrev_b32_e32 v44, 24, v25
	v_bfrev_b32_e32 v45, 60
	v_lshlrev_b32_e32 v24, 20, v24
	v_and_b32_e32 v44, 0x80000000, v44
	v_lshl_add_u32 v22, v22, 23, v45
	v_or3_b32 v22, v44, v22, v24
	v_lshrrev_b32_e32 v45, 16, v22
.LBB835_377:
	s_or_b64 exec, exec, s[10:11]
.LBB835_378:
	s_or_b64 exec, exec, s[8:9]
.LBB835_379:
	s_or_b64 exec, exec, s[2:3]
	v_lshrrev_b16_e32 v22, 8, v25
	v_cmp_ne_u16_e32 vcc, 0, v22
	v_mov_b32_e32 v53, 0
	v_mov_b32_e32 v52, 0
	s_and_saveexec_b64 s[2:3], vcc
	s_cbranch_execz .LBB835_385
; %bb.380:
	s_movk_i32 s8, 0x80
	v_cmp_ne_u16_e32 vcc, s8, v22
	v_mov_b32_e32 v52, 0xffff8000
	s_and_saveexec_b64 s[8:9], vcc
	s_cbranch_execz .LBB835_384
; %bb.381:
	s_movk_i32 s10, 0x7f
	v_and_b32_e32 v24, 0x7f, v22
	v_cmp_ne_u32_e32 vcc, s10, v24
	v_mov_b32_e32 v52, 0x7f80
	s_and_saveexec_b64 s[10:11], vcc
	s_cbranch_execz .LBB835_383
; %bb.382:
	v_and_b32_e32 v44, 7, v22
	v_ffbh_u32_e32 v54, v44
	v_min_u32_e32 v56, 32, v54
	v_subrev_u32_e32 v54, 28, v56
	v_lshlrev_b64 v[54:55], v54, v[22:23]
	v_lshrrev_b32_e32 v52, 3, v24
	v_sub_u32_e32 v22, 29, v56
	v_and_b32_e32 v54, 7, v54
	v_cmp_gt_u32_e32 vcc, 8, v24
	v_cndmask_b32_e32 v22, v52, v22, vcc
	v_cndmask_b32_e32 v24, v44, v54, vcc
	v_lshlrev_b32_e32 v44, 16, v25
	v_bfrev_b32_e32 v52, 60
	v_lshlrev_b32_e32 v24, 20, v24
	v_and_b32_e32 v44, 0x80000000, v44
	v_lshl_add_u32 v22, v22, 23, v52
	v_or3_b32 v22, v44, v22, v24
	v_lshrrev_b32_e32 v52, 16, v22
.LBB835_383:
	s_or_b64 exec, exec, s[10:11]
.LBB835_384:
	s_or_b64 exec, exec, s[8:9]
.LBB835_385:
	s_or_b64 exec, exec, s[2:3]
	s_movk_i32 s2, 0xff
	v_and_b32_sdwa v24, v25, s2 dst_sel:DWORD dst_unused:UNUSED_PAD src0_sel:WORD_1 src1_sel:DWORD
	v_lshrrev_b32_e32 v22, 16, v25
	v_cmp_ne_u16_e32 vcc, 0, v24
	s_and_saveexec_b64 s[2:3], vcc
	s_cbranch_execz .LBB835_391
; %bb.386:
	s_movk_i32 s8, 0x80
	v_cmp_ne_u16_e32 vcc, s8, v24
	v_mov_b32_e32 v53, 0xffff8000
	s_and_saveexec_b64 s[8:9], vcc
	s_cbranch_execz .LBB835_390
; %bb.387:
	v_bfe_u32 v24, v25, 16, 7
	s_movk_i32 s10, 0x7f
	v_cmp_ne_u32_e32 vcc, s10, v24
	v_mov_b32_e32 v53, 0x7f80
	s_and_saveexec_b64 s[10:11], vcc
	s_cbranch_execz .LBB835_389
; %bb.388:
	v_and_b32_e32 v44, 7, v22
	v_ffbh_u32_e32 v54, v44
	v_min_u32_e32 v56, 32, v54
	v_subrev_u32_e32 v54, 28, v56
	v_lshlrev_b64 v[54:55], v54, v[22:23]
	v_and_b32_e32 v54, 7, v54
	v_cmp_gt_u32_e32 vcc, 8, v24
	v_lshrrev_b32_e32 v53, 3, v24
	v_sub_u32_e32 v22, 29, v56
	v_cndmask_b32_e32 v24, v44, v54, vcc
	v_mov_b32_e32 v44, 24
	v_cndmask_b32_e32 v22, v53, v22, vcc
	v_lshlrev_b32_sdwa v44, v44, v25 dst_sel:DWORD dst_unused:UNUSED_PAD src0_sel:DWORD src1_sel:WORD_1
	v_bfrev_b32_e32 v53, 60
	v_lshlrev_b32_e32 v24, 20, v24
	v_and_b32_e32 v44, 0x80000000, v44
	v_lshl_add_u32 v22, v22, 23, v53
	v_or3_b32 v22, v44, v22, v24
	v_lshrrev_b32_e32 v53, 16, v22
.LBB835_389:
	s_or_b64 exec, exec, s[10:11]
.LBB835_390:
	s_or_b64 exec, exec, s[8:9]
.LBB835_391:
	s_or_b64 exec, exec, s[2:3]
	s_mov_b32 s2, 0xffffff
	v_and_b32_e32 v44, 63, v0
	v_cmp_lt_u32_e32 vcc, s2, v25
	v_mov_b32_e32 v54, 0
	s_and_saveexec_b64 s[2:3], vcc
	s_cbranch_execz .LBB835_397
; %bb.392:
	v_lshrrev_b32_e32 v22, 24, v25
	s_movk_i32 s8, 0x80
	v_cmp_ne_u32_e32 vcc, s8, v22
	v_mov_b32_e32 v54, 0xffff8000
	s_and_saveexec_b64 s[8:9], vcc
	s_cbranch_execz .LBB835_396
; %bb.393:
	v_bfe_u32 v24, v25, 24, 7
	s_movk_i32 s10, 0x7f
	v_cmp_ne_u32_e32 vcc, s10, v24
	v_mov_b32_e32 v54, 0x7f80
	s_and_saveexec_b64 s[10:11], vcc
	s_cbranch_execz .LBB835_395
; %bb.394:
	v_and_b32_e32 v25, 7, v22
	v_ffbh_u32_e32 v54, v25
	v_min_u32_e32 v57, 32, v54
	v_subrev_u32_e32 v54, 28, v57
	v_lshlrev_b64 v[54:55], v54, v[22:23]
	v_lshrrev_b32_e32 v56, 3, v24
	v_sub_u32_e32 v55, 29, v57
	v_and_b32_e32 v54, 7, v54
	v_cmp_gt_u32_e32 vcc, 8, v24
	v_cndmask_b32_e32 v24, v56, v55, vcc
	v_cndmask_b32_e32 v25, v25, v54, vcc
	v_lshlrev_b32_e32 v22, 24, v22
	v_bfrev_b32_e32 v54, 60
	v_lshlrev_b32_e32 v25, 20, v25
	v_and_b32_e32 v22, 0x80000000, v22
	v_lshl_add_u32 v24, v24, 23, v54
	v_or3_b32 v22, v22, v24, v25
	v_lshrrev_b32_e32 v54, 16, v22
.LBB835_395:
	s_or_b64 exec, exec, s[10:11]
.LBB835_396:
	s_or_b64 exec, exec, s[8:9]
.LBB835_397:
	s_or_b64 exec, exec, s[2:3]
	s_mov_b32 s3, 0x5040100
	v_perm_b32 v43, v51, v43, s3
	v_perm_b32 v42, v23, v42, s3
	s_load_dword s2, s[4:5], 0x1c
	s_mov_b32 s46, 0xff7fffff
	s_waitcnt lgkmcnt(0)
	v_mfma_f32_16x16x16bf16_1k v[26:29], v[42:43], v[18:19], v[26:29]
	v_perm_b32 v19, v54, v53, s3
	v_perm_b32 v18, v52, v45, s3
	v_mov_b32_e32 v22, s2
	v_mul_f32_e32 v56, s12, v22
	v_pk_mul_f32 v[22:23], v[56:57], v[32:33] op_sel_hi:[0,1]
	v_pk_mul_f32 v[32:33], v[56:57], v[38:39] op_sel_hi:[0,1]
	v_and_b32_e32 v38, 0xc0, v0
	v_mfma_f32_16x16x16bf16_1k v[26:29], v[18:19], v[20:21], v[26:29]
	v_add_u32_e32 v38, s18, v38
	v_lshl_or_b32 v38, v1, 2, v38
	v_or_b32_e32 v39, 1, v38
	v_pk_mul_f32 v[24:25], v[56:57], v[30:31] op_sel_hi:[0,1]
	v_pk_mul_f32 v[30:31], v[56:57], v[40:41] op_sel_hi:[0,1]
	v_subrev_u32_e32 v40, s33, v39
	v_pk_mul_f32 v[34:35], v[56:57], v[34:35] op_sel_hi:[0,1]
	s_nop 3
	v_pk_mul_f32 v[20:21], v[56:57], v[26:27] op_sel_hi:[0,1]
	v_add_u32_e32 v27, 1, v40
	v_pk_mul_f32 v[18:19], v[56:57], v[28:29] op_sel_hi:[0,1]
	v_cvt_f32_i32_e32 v27, v27
	v_add_u32_e32 v29, 3, v40
	v_cvt_f32_i32_e32 v29, v29
	v_cvt_f32_i32_e32 v26, v40
	v_pk_mul_f32 v[36:37], v[56:57], v[36:37] op_sel_hi:[0,1]
	v_fmac_f32_e32 v35, v50, v27
	v_add_u32_e32 v27, 16, v40
	v_fmac_f32_e32 v37, v50, v29
	v_cvt_f32_i32_e32 v27, v27
	v_add_u32_e32 v29, 17, v40
	v_fma_f32 v26, v50, v26, v34
	v_cvt_f32_i32_e32 v29, v29
	v_add_u32_e32 v34, 18, v40
	v_cvt_f32_i32_e32 v34, v34
	v_fma_f32 v41, v50, v27, v32
	v_add_u32_e32 v27, 32, v40
	v_fmac_f32_e32 v33, v50, v29
	v_cvt_f32_i32_e32 v27, v27
	v_add_u32_e32 v29, 33, v40
	v_add_u32_e32 v32, 34, v40
	v_fma_f32 v30, v50, v34, v30
	v_cvt_f32_i32_e32 v29, v29
	v_cvt_f32_i32_e32 v32, v32
	v_add_u32_e32 v34, 35, v40
	v_cvt_f32_i32_e32 v34, v34
	v_fma_f32 v24, v50, v27, v24
	v_add_u32_e32 v27, 48, v40
	v_fmac_f32_e32 v25, v50, v29
	v_fma_f32 v22, v50, v32, v22
	v_cvt_f32_i32_e32 v27, v27
	v_add_u32_e32 v29, 49, v40
	v_add_u32_e32 v32, 50, v40
	v_fmac_f32_e32 v23, v50, v34
	v_cvt_f32_i32_e32 v29, v29
	v_cvt_f32_i32_e32 v32, v32
	v_add_u32_e32 v34, 51, v40
	v_add_u32_e32 v28, 2, v40
	v_cvt_f32_i32_e32 v34, v34
	v_cvt_f32_i32_e32 v28, v28
	v_fma_f32 v20, v50, v27, v20
	v_mov_b32_e32 v27, 0xff7fffff
	v_cmp_gt_i32_e64 s[26:27], s33, v38
	v_cmp_gt_i32_e64 s[28:29], s33, v39
	v_fmac_f32_e32 v21, v50, v29
	v_fma_f32 v18, v50, v32, v18
	v_cndmask_b32_e64 v29, v27, v26, s[26:27]
	v_cndmask_b32_e64 v32, v27, v35, s[28:29]
	v_fmac_f32_e32 v19, v50, v34
	v_max3_f32 v29, v29, s46, v32
	v_or_b32_e32 v32, 2, v38
	v_or_b32_e32 v34, 3, v38
	v_fma_f32 v28, v50, v28, v36
	v_cmp_gt_i32_e64 s[30:31], s33, v32
	v_cmp_gt_i32_e64 s[34:35], s33, v34
	v_add_u32_e32 v36, 19, v40
	v_cndmask_b32_e64 v32, v27, v28, s[30:31]
	v_cndmask_b32_e64 v34, v27, v37, s[34:35]
	v_cvt_f32_i32_e32 v36, v36
	v_max3_f32 v29, v29, v32, v34
	v_or_b32_e32 v32, 16, v38
	v_or_b32_e32 v34, 17, v38
	v_cmp_gt_i32_e64 s[36:37], s33, v32
	v_cmp_gt_i32_e64 s[38:39], s33, v34
	v_cndmask_b32_e64 v32, v27, v41, s[36:37]
	v_cndmask_b32_e64 v34, v27, v33, s[38:39]
	v_max3_f32 v29, v29, v32, v34
	v_or_b32_e32 v32, 18, v38
	v_or_b32_e32 v34, 19, v38
	v_fmac_f32_e32 v31, v50, v36
	v_cmp_gt_i32_e64 s[20:21], s33, v32
	v_cmp_gt_i32_e64 s[22:23], s33, v34
	v_cndmask_b32_e64 v32, v27, v30, s[20:21]
	v_cndmask_b32_e64 v34, v27, v31, s[22:23]
	v_max3_f32 v29, v29, v32, v34
	v_or_b32_e32 v32, 32, v38
	v_or_b32_e32 v34, 33, v38
	v_cmp_gt_i32_e64 s[16:17], s33, v32
	v_cmp_gt_i32_e64 s[18:19], s33, v34
	v_cndmask_b32_e64 v32, v27, v24, s[16:17]
	v_cndmask_b32_e64 v34, v27, v25, s[18:19]
	v_max3_f32 v29, v29, v32, v34
	v_or_b32_e32 v32, 34, v38
	v_or_b32_e32 v34, 35, v38
	;; [unrolled: 7-line block ×4, first 2 shown]
	v_cmp_gt_i32_e32 vcc, s33, v32
	v_cmp_gt_i32_e64 s[2:3], s33, v34
	v_cndmask_b32_e32 v32, v27, v18, vcc
	v_cndmask_b32_e64 v27, v27, v19, s[2:3]
	v_max3_f32 v27, v29, v32, v27
	v_mbcnt_lo_u32_b32 v29, -1, 0
	v_mbcnt_hi_u32_b32 v29, -1, v29
	v_and_b32_e32 v32, 64, v29
	v_add_u32_e32 v32, 64, v32
	v_xor_b32_e32 v34, 32, v29
	v_cmp_lt_i32_e64 s[40:41], v34, v32
	v_cndmask_b32_e64 v34, v29, v34, s[40:41]
	v_lshlrev_b32_e32 v36, 2, v34
	ds_bpermute_b32 v34, v36, v27
	s_barrier
	s_waitcnt lgkmcnt(0)
	v_max_f32_e32 v34, v34, v34
	v_max_f32_e32 v27, v27, v34
	v_xor_b32_e32 v34, 16, v29
	v_cmp_lt_i32_e64 s[40:41], v34, v32
	v_cndmask_b32_e64 v29, v29, v34, s[40:41]
	v_lshlrev_b32_e32 v38, 2, v29
	ds_bpermute_b32 v29, v38, v27
	s_waitcnt lgkmcnt(0)
	v_max_f32_e32 v29, v29, v29
	v_max_f32_e32 v32, v27, v29
	v_sub_f32_e32 v26, v26, v32
	v_mul_f32_e32 v26, 0x3fb8aa3b, v26
	v_sub_f32_e32 v27, v35, v32
	v_exp_f32_e32 v26, v26
	v_mul_f32_e32 v27, 0x3fb8aa3b, v27
	v_sub_f32_e32 v28, v28, v32
	v_exp_f32_e32 v27, v27
	v_mul_f32_e32 v28, 0x3fb8aa3b, v28
	v_exp_f32_e32 v28, v28
	v_cndmask_b32_e64 v26, 0, v26, s[26:27]
	v_sub_f32_e32 v34, v37, v32
	v_add_f32_e32 v29, 0, v26
	v_cndmask_b32_e64 v27, 0, v27, s[28:29]
	v_mul_f32_e32 v34, 0x3fb8aa3b, v34
	v_exp_f32_e32 v35, v34
	v_add_f32_e32 v29, v29, v27
	v_cndmask_b32_e64 v34, 0, v28, s[30:31]
	v_add_f32_e32 v28, v29, v34
	v_sub_f32_e32 v29, v41, v32
	v_mul_f32_e32 v29, 0x3fb8aa3b, v29
	v_sub_f32_e32 v33, v33, v32
	v_exp_f32_e32 v29, v29
	v_mul_f32_e32 v33, 0x3fb8aa3b, v33
	v_sub_f32_e32 v30, v30, v32
	v_exp_f32_e32 v33, v33
	;; [unrolled: 3-line block ×3, first 2 shown]
	v_mul_f32_e32 v31, 0x3fb8aa3b, v31
	v_sub_f32_e32 v24, v24, v32
	v_cndmask_b32_e64 v35, 0, v35, s[34:35]
	v_exp_f32_e32 v31, v31
	v_mul_f32_e32 v24, 0x3fb8aa3b, v24
	v_sub_f32_e32 v25, v25, v32
	v_add_f32_e32 v37, v28, v35
	v_cndmask_b32_e64 v28, 0, v29, s[36:37]
	v_exp_f32_e32 v24, v24
	v_mul_f32_e32 v25, 0x3fb8aa3b, v25
	v_sub_f32_e32 v22, v22, v32
	v_add_f32_e32 v37, v37, v28
	;; [unrolled: 5-line block ×7, first 2 shown]
	v_cndmask_b32_e64 v22, 0, v22, s[12:13]
	v_exp_f32_e32 v18, v18
	v_mul_f32_e32 v19, 0x3fb8aa3b, v19
	v_add_f32_e32 v33, v33, v22
	v_cndmask_b32_e64 v23, 0, v23, s[14:15]
	v_exp_f32_e32 v19, v19
	v_add_f32_e32 v33, v33, v23
	v_cndmask_b32_e64 v20, 0, v20, s[8:9]
	v_add_f32_e32 v33, v33, v20
	v_cndmask_b32_e64 v21, 0, v21, s[10:11]
	v_add_f32_e32 v33, v33, v21
	v_cndmask_b32_e32 v18, 0, v18, vcc
	v_add_f32_e32 v33, v33, v18
	v_cndmask_b32_e64 v19, 0, v19, s[2:3]
	v_add_f32_e32 v33, v33, v19
	ds_bpermute_b32 v36, v36, v33
	v_cmp_gt_u32_e32 vcc, 16, v44
	s_waitcnt lgkmcnt(0)
	v_add_f32_e32 v36, v33, v36
	ds_bpermute_b32 v37, v38, v36
	v_lshlrev_b32_e32 v33, 2, v48
	s_and_saveexec_b64 s[2:3], vcc
	s_cbranch_execz .LBB835_399
; %bb.398:
	s_waitcnt lgkmcnt(0)
	v_add_f32_e32 v36, v36, v37
	v_lshl_or_b32 v37, v49, 6, v33
	ds_write2st64_b32 v37, v32, v36 offset1:1
.LBB835_399:
	s_or_b64 exec, exec, s[2:3]
	s_waitcnt lgkmcnt(0)
	s_barrier
	ds_read2_b32 v[36:37], v33 offset1:16
	ds_read2_b32 v[38:39], v33 offset0:32 offset1:48
	ds_read2_b32 v[40:41], v33 offset0:64 offset1:80
	s_mul_i32 s12, s45, 6
	s_waitcnt lgkmcnt(2)
	v_max3_f32 v32, v36, s46, v37
	s_waitcnt lgkmcnt(1)
	v_max3_f32 v32, v32, v38, v39
	v_sub_f32_e32 v36, v36, v32
	v_mul_f32_e32 v36, 0x3fb8aa3b, v36
	v_exp_f32_e32 v42, v36
	v_sub_f32_e32 v36, v37, v32
	v_mul_f32_e32 v36, 0x3fb8aa3b, v36
	v_exp_f32_e32 v43, v36
	;; [unrolled: 3-line block ×3, first 2 shown]
	ds_read2_b32 v[36:37], v33 offset0:96 offset1:112
	v_sub_f32_e32 v33, v39, v32
	v_mul_f32_e32 v33, 0x3fb8aa3b, v33
	v_exp_f32_e32 v39, v33
	s_waitcnt lgkmcnt(1)
	v_fma_f32 v33, v42, v40, 0
	v_fmac_f32_e32 v33, v43, v41
	s_waitcnt lgkmcnt(0)
	v_fmac_f32_e32 v33, v38, v36
	v_fmac_f32_e32 v33, v39, v37
	v_add_f32_e32 v36, 0x358637bd, v33
	v_div_scale_f32 v37, s[2:3], v36, v36, 1.0
	v_rcp_f32_e32 v40, v37
	s_movk_i32 s2, 0x7fff
	s_mov_b32 s3, 0x7060302
	v_fma_f32 v41, -v37, v40, 1.0
	v_fmac_f32_e32 v40, v41, v40
	v_div_scale_f32 v41, vcc, 1.0, v36, 1.0
	v_mul_f32_e32 v44, v41, v40
	v_fma_f32 v45, -v37, v44, v41
	v_fmac_f32_e32 v44, v45, v40
	v_fma_f32 v37, -v37, v44, v41
	v_div_fmas_f32 v37, v37, v40, v44
	v_cmp_eq_u32_e32 vcc, 1, v49
	v_div_fixup_f32 v36, v37, v36, 1.0
	v_cndmask_b32_e32 v37, v42, v43, vcc
	v_cmp_eq_u32_e32 vcc, 2, v49
	v_cndmask_b32_e32 v37, v37, v38, vcc
	v_cmp_eq_u32_e32 vcc, 3, v49
	v_cndmask_b32_e32 v37, v37, v39, vcc
	v_mul_f32_e32 v36, v37, v36
	v_pk_mul_f32 v[26:27], v[36:37], v[26:27] op_sel_hi:[0,1]
	v_pk_mul_f32 v[34:35], v[36:37], v[34:35] op_sel_hi:[0,1]
	v_bfe_u32 v37, v27, 16, 1
	v_bfe_u32 v38, v26, 16, 1
	v_add3_u32 v26, v26, v38, s2
	v_add3_u32 v27, v27, v37, s2
	v_perm_b32 v38, v27, v26, s3
	v_bfe_u32 v26, v35, 16, 1
	v_bfe_u32 v27, v34, 16, 1
	v_add3_u32 v27, v34, v27, s2
	v_add3_u32 v26, v35, v26, s2
	v_perm_b32 v39, v26, v27, s3
	v_lshlrev_b32_e32 v26, 3, v1
	v_lshlrev_b32_e32 v27, 5, v48
	;; [unrolled: 1-line block ×3, first 2 shown]
	v_pk_mul_f32 v[28:29], v[36:37], v[28:29] op_sel_hi:[0,1]
	v_or3_b32 v26, v34, v27, v26
	v_bfe_u32 v34, v29, 16, 1
	v_bfe_u32 v35, v28, 16, 1
	v_pk_mul_f32 v[30:31], v[36:37], v[30:31] op_sel_hi:[0,1]
	v_add3_u32 v28, v28, v35, s2
	v_add3_u32 v29, v29, v34, s2
	v_perm_b32 v28, v29, v28, s3
	v_bfe_u32 v29, v31, 16, 1
	v_bfe_u32 v34, v30, 16, 1
	v_add3_u32 v30, v30, v34, s2
	v_add3_u32 v29, v31, v29, s2
	v_perm_b32 v29, v29, v30, s3
	v_pk_mul_f32 v[24:25], v[36:37], v[24:25] op_sel_hi:[0,1]
	s_barrier
	ds_write2st64_b64 v26, v[38:39], v[28:29] offset1:1
	v_bfe_u32 v28, v25, 16, 1
	v_bfe_u32 v29, v24, 16, 1
	v_pk_mul_f32 v[22:23], v[36:37], v[22:23] op_sel_hi:[0,1]
	v_add3_u32 v24, v24, v29, s2
	v_add3_u32 v25, v25, v28, s2
	v_perm_b32 v24, v25, v24, s3
	v_bfe_u32 v25, v23, 16, 1
	v_bfe_u32 v28, v22, 16, 1
	v_add3_u32 v22, v22, v28, s2
	v_add3_u32 v23, v23, v25, s2
	v_pk_mul_f32 v[20:21], v[36:37], v[20:21] op_sel_hi:[0,1]
	v_perm_b32 v25, v23, v22, s3
	v_bfe_u32 v22, v21, 16, 1
	v_bfe_u32 v23, v20, 16, 1
	v_pk_mul_f32 v[18:19], v[36:37], v[18:19] op_sel_hi:[0,1]
	v_add3_u32 v20, v20, v23, s2
	v_add3_u32 v21, v21, v22, s2
	v_perm_b32 v20, v21, v20, s3
	v_bfe_u32 v21, v19, 16, 1
	v_bfe_u32 v22, v18, 16, 1
	v_add3_u32 v18, v18, v22, s2
	v_add3_u32 v19, v19, v21, s2
	v_perm_b32 v21, v19, v18, s3
	v_cmp_gt_u32_e32 vcc, 6, v0
	ds_write2st64_b64 v26, v[24:25], v[20:21] offset0:2 offset1:3
	s_and_saveexec_b64 s[2:3], vcc
	s_cbranch_execz .LBB835_401
; %bb.400:
	v_add_co_u32_e32 v20, vcc, s25, v48
	v_addc_co_u32_e64 v21, s[14:15], 0, 0, vcc
	v_mov_b32_e32 v18, s12
	v_mov_b32_e32 v19, 0
	v_mad_u64_u32 v[20:21], s[14:15], s6, v18, v[20:21]
	v_mov_b32_e32 v18, s24
	s_load_dwordx4 s[8:11], s[4:5], 0x58
	s_mul_i32 s7, s7, s12
	v_mad_u64_u32 v[18:19], s[14:15], v20, s44, v[18:19]
	v_add_u32_e32 v21, s7, v21
	v_mov_b32_e32 v20, v19
	v_mad_u64_u32 v[20:21], s[14:15], v21, s44, v[20:21]
	v_mov_b32_e32 v19, v20
	v_lshlrev_b64 v[18:19], 2, v[18:19]
	s_waitcnt lgkmcnt(0)
	v_mov_b32_e32 v21, s11
	v_add_co_u32_e32 v20, vcc, s10, v18
	v_addc_co_u32_e32 v21, vcc, v21, v19, vcc
	global_store_dword v[20:21], v32, off
	v_mov_b32_e32 v20, s9
	v_add_co_u32_e32 v18, vcc, s8, v18
	v_addc_co_u32_e32 v19, vcc, v20, v19, vcc
	global_store_dword v[18:19], v33, off
.LBB835_401:
	s_or_b64 exec, exec, s[2:3]
	v_mov_b32_e32 v19, 0
	s_waitcnt vmcnt(3)
	v_cmp_ne_u16_sdwa s[8:9], v14, v19 src0_sel:BYTE_0 src1_sel:DWORD
	v_mov_b32_e32 v20, 0
	s_waitcnt lgkmcnt(0)
	s_barrier
	s_and_saveexec_b64 s[2:3], s[8:9]
	s_cbranch_execz .LBB835_407
; %bb.402:
	s_movk_i32 s7, 0x80
	v_cmp_ne_u16_sdwa s[10:11], v14, s7 src0_sel:BYTE_0 src1_sel:DWORD
	v_mov_b32_e32 v20, 0xffff8000
	s_and_saveexec_b64 s[8:9], s[10:11]
	s_cbranch_execz .LBB835_406
; %bb.403:
	s_movk_i32 s7, 0x7f
	v_and_b32_e32 v18, 0x7f, v14
	v_cmp_ne_u32_e32 vcc, s7, v18
	v_mov_b32_e32 v20, 0x7f80
	s_and_saveexec_b64 s[10:11], vcc
	s_cbranch_execz .LBB835_405
; %bb.404:
	v_and_b32_e32 v22, 7, v14
	v_ffbh_u32_e32 v20, v22
	v_min_u32_e32 v24, 32, v20
	v_subrev_u32_e32 v20, 28, v24
	v_lshlrev_b64 v[20:21], v20, v[14:15]
	v_lshrrev_b32_e32 v23, 3, v18
	v_sub_u32_e32 v21, 29, v24
	v_and_b32_e32 v20, 7, v20
	v_cmp_gt_u32_e32 vcc, 8, v18
	v_cndmask_b32_e32 v18, v23, v21, vcc
	v_cndmask_b32_e32 v20, v22, v20, vcc
	v_lshlrev_b32_e32 v21, 24, v14
	v_bfrev_b32_e32 v22, 60
	v_lshlrev_b32_e32 v20, 20, v20
	v_and_b32_e32 v21, 0x80000000, v21
	v_lshl_add_u32 v18, v18, 23, v22
	v_or3_b32 v18, v21, v18, v20
	v_lshrrev_b32_e32 v20, 16, v18
.LBB835_405:
	s_or_b64 exec, exec, s[10:11]
.LBB835_406:
	s_or_b64 exec, exec, s[8:9]
.LBB835_407:
	s_or_b64 exec, exec, s[2:3]
	v_lshrrev_b16_e32 v18, 8, v14
	v_cmp_ne_u16_e32 vcc, 0, v18
	s_and_saveexec_b64 s[2:3], vcc
	s_cbranch_execz .LBB835_413
; %bb.408:
	s_movk_i32 s7, 0x80
	v_cmp_ne_u16_e32 vcc, s7, v18
	v_mov_b32_e32 v19, 0xffff8000
	s_and_saveexec_b64 s[8:9], vcc
	s_cbranch_execz .LBB835_412
; %bb.409:
	s_movk_i32 s7, 0x7f
	v_and_b32_e32 v21, 0x7f, v18
	v_cmp_ne_u32_e32 vcc, s7, v21
	v_mov_b32_e32 v19, 0x7f80
	s_and_saveexec_b64 s[10:11], vcc
	s_cbranch_execz .LBB835_411
; %bb.410:
	v_and_b32_e32 v22, 7, v18
	v_ffbh_u32_e32 v19, v22
	v_min_u32_e32 v24, 32, v19
	v_subrev_u32_e32 v19, 28, v24
	v_lshlrev_b64 v[18:19], v19, v[18:19]
	v_lshrrev_b32_e32 v23, 3, v21
	v_sub_u32_e32 v19, 29, v24
	v_and_b32_e32 v18, 7, v18
	v_cmp_gt_u32_e32 vcc, 8, v21
	v_cndmask_b32_e32 v19, v23, v19, vcc
	v_cndmask_b32_e32 v18, v22, v18, vcc
	v_lshlrev_b32_e32 v21, 16, v14
	v_bfrev_b32_e32 v22, 60
	v_lshlrev_b32_e32 v18, 20, v18
	v_and_b32_e32 v21, 0x80000000, v21
	v_lshl_add_u32 v19, v19, 23, v22
	v_or3_b32 v18, v21, v19, v18
	v_lshrrev_b32_e32 v19, 16, v18
.LBB835_411:
	s_or_b64 exec, exec, s[10:11]
.LBB835_412:
	s_or_b64 exec, exec, s[8:9]
.LBB835_413:
	s_or_b64 exec, exec, s[2:3]
	s_movk_i32 s2, 0xff
	v_and_b32_sdwa v23, v14, s2 dst_sel:DWORD dst_unused:UNUSED_PAD src0_sel:WORD_1 src1_sel:DWORD
	v_lshrrev_b32_e32 v18, 16, v14
	v_cmp_ne_u16_e32 vcc, 0, v23
	v_mov_b32_e32 v21, 0
	v_mov_b32_e32 v22, 0
	s_and_saveexec_b64 s[2:3], vcc
	s_cbranch_execz .LBB835_419
; %bb.414:
	s_movk_i32 s7, 0x80
	v_cmp_ne_u16_e32 vcc, s7, v23
	v_mov_b32_e32 v22, 0xffff8000
	s_and_saveexec_b64 s[8:9], vcc
	s_cbranch_execz .LBB835_418
; %bb.415:
	v_bfe_u32 v23, v14, 16, 7
	s_movk_i32 s7, 0x7f
	v_cmp_ne_u32_e32 vcc, s7, v23
	v_mov_b32_e32 v22, 0x7f80
	s_and_saveexec_b64 s[10:11], vcc
	s_cbranch_execz .LBB835_417
; %bb.416:
	v_and_b32_e32 v22, 7, v18
	v_ffbh_u32_e32 v24, v22
	v_min_u32_e32 v29, 32, v24
	v_subrev_u32_e32 v24, 28, v29
	v_lshlrev_b64 v[24:25], v24, v[18:19]
	v_lshrrev_b32_e32 v28, 3, v23
	v_sub_u32_e32 v18, 29, v29
	v_and_b32_e32 v24, 7, v24
	v_cmp_gt_u32_e32 vcc, 8, v23
	v_mov_b32_e32 v23, 24
	v_cndmask_b32_e32 v18, v28, v18, vcc
	v_cndmask_b32_e32 v22, v22, v24, vcc
	v_lshlrev_b32_sdwa v23, v23, v14 dst_sel:DWORD dst_unused:UNUSED_PAD src0_sel:DWORD src1_sel:WORD_1
	v_bfrev_b32_e32 v24, 60
	v_lshlrev_b32_e32 v22, 20, v22
	v_and_b32_e32 v23, 0x80000000, v23
	v_lshl_add_u32 v18, v18, 23, v24
	v_or3_b32 v18, v23, v18, v22
	v_lshrrev_b32_e32 v22, 16, v18
.LBB835_417:
	s_or_b64 exec, exec, s[10:11]
.LBB835_418:
	s_or_b64 exec, exec, s[8:9]
.LBB835_419:
	s_or_b64 exec, exec, s[2:3]
	s_mov_b32 s2, 0xffffff
	v_cmp_lt_u32_e32 vcc, s2, v14
	s_and_saveexec_b64 s[2:3], vcc
	s_cbranch_execz .LBB835_425
; %bb.420:
	v_lshrrev_b32_e32 v18, 24, v14
	s_movk_i32 s7, 0x80
	v_cmp_ne_u32_e32 vcc, s7, v18
	v_mov_b32_e32 v21, 0xffff8000
	s_and_saveexec_b64 s[8:9], vcc
	s_cbranch_execz .LBB835_424
; %bb.421:
	v_bfe_u32 v14, v14, 24, 7
	s_movk_i32 s7, 0x7f
	v_cmp_ne_u32_e32 vcc, s7, v14
	v_mov_b32_e32 v21, 0x7f80
	s_and_saveexec_b64 s[10:11], vcc
	s_cbranch_execz .LBB835_423
; %bb.422:
	v_and_b32_e32 v21, 7, v18
	v_ffbh_u32_e32 v24, v21
	v_min_u32_e32 v28, 32, v24
	v_subrev_u32_e32 v24, 28, v28
	v_lshlrev_b64 v[24:25], v24, v[18:19]
	v_lshrrev_b32_e32 v23, 3, v14
	v_sub_u32_e32 v25, 29, v28
	v_and_b32_e32 v24, 7, v24
	v_cmp_gt_u32_e32 vcc, 8, v14
	v_cndmask_b32_e32 v14, v23, v25, vcc
	v_cndmask_b32_e32 v21, v21, v24, vcc
	v_lshlrev_b32_e32 v18, 24, v18
	v_bfrev_b32_e32 v23, 60
	v_lshlrev_b32_e32 v21, 20, v21
	v_and_b32_e32 v18, 0x80000000, v18
	v_lshl_add_u32 v14, v14, 23, v23
	v_or3_b32 v14, v18, v14, v21
	v_lshrrev_b32_e32 v21, 16, v14
.LBB835_423:
	s_or_b64 exec, exec, s[10:11]
.LBB835_424:
	s_or_b64 exec, exec, s[8:9]
.LBB835_425:
	s_or_b64 exec, exec, s[2:3]
	v_mov_b32_e32 v18, 0
	v_cmp_ne_u16_sdwa s[8:9], v15, v18 src0_sel:BYTE_0 src1_sel:DWORD
	v_mov_b32_e32 v23, 0
	s_and_saveexec_b64 s[2:3], s[8:9]
	s_cbranch_execz .LBB835_431
; %bb.426:
	s_movk_i32 s7, 0x80
	v_cmp_ne_u16_sdwa s[10:11], v15, s7 src0_sel:BYTE_0 src1_sel:DWORD
	v_mov_b32_e32 v23, 0xffff8000
	s_and_saveexec_b64 s[8:9], s[10:11]
	s_cbranch_execz .LBB835_430
; %bb.427:
	s_movk_i32 s7, 0x7f
	v_and_b32_e32 v14, 0x7f, v15
	v_cmp_ne_u32_e32 vcc, s7, v14
	v_mov_b32_e32 v23, 0x7f80
	s_and_saveexec_b64 s[10:11], vcc
	s_cbranch_execz .LBB835_429
; %bb.428:
	v_and_b32_e32 v23, 7, v15
	v_ffbh_u32_e32 v25, v23
	v_min_u32_e32 v29, 32, v25
	v_mov_b32_e32 v24, v15
	v_subrev_u32_e32 v25, 28, v29
	v_lshlrev_b64 v[24:25], v25, v[24:25]
	v_lshrrev_b32_e32 v28, 3, v14
	v_sub_u32_e32 v25, 29, v29
	v_and_b32_e32 v24, 7, v24
	v_cmp_gt_u32_e32 vcc, 8, v14
	v_cndmask_b32_e32 v14, v28, v25, vcc
	v_cndmask_b32_e32 v23, v23, v24, vcc
	v_lshlrev_b32_e32 v24, 24, v15
	v_bfrev_b32_e32 v25, 60
	v_lshlrev_b32_e32 v23, 20, v23
	v_and_b32_e32 v24, 0x80000000, v24
	v_lshl_add_u32 v14, v14, 23, v25
	v_or3_b32 v14, v24, v14, v23
	v_lshrrev_b32_e32 v23, 16, v14
.LBB835_429:
	s_or_b64 exec, exec, s[10:11]
.LBB835_430:
	s_or_b64 exec, exec, s[8:9]
.LBB835_431:
	s_or_b64 exec, exec, s[2:3]
	v_lshrrev_b16_e32 v14, 8, v15
	v_cmp_ne_u16_e32 vcc, 0, v14
	s_and_saveexec_b64 s[2:3], vcc
	s_cbranch_execz .LBB835_437
; %bb.432:
	s_movk_i32 s7, 0x80
	v_cmp_ne_u16_e32 vcc, s7, v14
	v_mov_b32_e32 v18, 0xffff8000
	s_and_saveexec_b64 s[8:9], vcc
	s_cbranch_execz .LBB835_436
; %bb.433:
	s_movk_i32 s7, 0x7f
	v_and_b32_e32 v24, 0x7f, v14
	v_cmp_ne_u32_e32 vcc, s7, v24
	v_mov_b32_e32 v18, 0x7f80
	s_and_saveexec_b64 s[10:11], vcc
	s_cbranch_execz .LBB835_435
; %bb.434:
	v_and_b32_e32 v18, 7, v14
	v_ffbh_u32_e32 v28, v18
	v_min_u32_e32 v30, 32, v28
	v_subrev_u32_e32 v28, 28, v30
	v_lshlrev_b64 v[28:29], v28, v[14:15]
	v_lshrrev_b32_e32 v25, 3, v24
	v_sub_u32_e32 v14, 29, v30
	v_and_b32_e32 v28, 7, v28
	v_cmp_gt_u32_e32 vcc, 8, v24
	v_cndmask_b32_e32 v14, v25, v14, vcc
	v_cndmask_b32_e32 v18, v18, v28, vcc
	v_lshlrev_b32_e32 v24, 16, v15
	v_bfrev_b32_e32 v25, 60
	v_lshlrev_b32_e32 v18, 20, v18
	v_and_b32_e32 v24, 0x80000000, v24
	v_lshl_add_u32 v14, v14, 23, v25
	v_or3_b32 v14, v24, v14, v18
	v_lshrrev_b32_e32 v18, 16, v14
.LBB835_435:
	s_or_b64 exec, exec, s[10:11]
.LBB835_436:
	s_or_b64 exec, exec, s[8:9]
.LBB835_437:
	s_or_b64 exec, exec, s[2:3]
	s_movk_i32 s2, 0xff
	v_and_b32_sdwa v28, v15, s2 dst_sel:DWORD dst_unused:UNUSED_PAD src0_sel:WORD_1 src1_sel:DWORD
	v_lshrrev_b32_e32 v14, 16, v15
	v_cmp_ne_u16_e32 vcc, 0, v28
	v_mov_b32_e32 v24, 0
	v_mov_b32_e32 v25, 0
	s_and_saveexec_b64 s[2:3], vcc
	s_cbranch_execz .LBB835_443
; %bb.438:
	s_movk_i32 s7, 0x80
	v_cmp_ne_u16_e32 vcc, s7, v28
	v_mov_b32_e32 v25, 0xffff8000
	s_and_saveexec_b64 s[8:9], vcc
	s_cbranch_execz .LBB835_442
; %bb.439:
	v_bfe_u32 v28, v15, 16, 7
	s_movk_i32 s7, 0x7f
	v_cmp_ne_u32_e32 vcc, s7, v28
	v_mov_b32_e32 v25, 0x7f80
	s_and_saveexec_b64 s[10:11], vcc
	s_cbranch_execz .LBB835_441
; %bb.440:
	v_and_b32_e32 v25, 7, v14
	v_ffbh_u32_e32 v30, v25
	v_min_u32_e32 v32, 32, v30
	v_subrev_u32_e32 v30, 28, v32
	v_lshlrev_b64 v[30:31], v30, v[14:15]
	v_lshrrev_b32_e32 v29, 3, v28
	v_sub_u32_e32 v14, 29, v32
	v_and_b32_e32 v30, 7, v30
	v_cmp_gt_u32_e32 vcc, 8, v28
	v_mov_b32_e32 v28, 24
	v_cndmask_b32_e32 v14, v29, v14, vcc
	v_cndmask_b32_e32 v25, v25, v30, vcc
	v_lshlrev_b32_sdwa v28, v28, v15 dst_sel:DWORD dst_unused:UNUSED_PAD src0_sel:DWORD src1_sel:WORD_1
	v_bfrev_b32_e32 v29, 60
	v_lshlrev_b32_e32 v25, 20, v25
	v_and_b32_e32 v28, 0x80000000, v28
	v_lshl_add_u32 v14, v14, 23, v29
	v_or3_b32 v14, v28, v14, v25
	v_lshrrev_b32_e32 v25, 16, v14
.LBB835_441:
	s_or_b64 exec, exec, s[10:11]
.LBB835_442:
	s_or_b64 exec, exec, s[8:9]
.LBB835_443:
	s_or_b64 exec, exec, s[2:3]
	s_mov_b32 s2, 0xffffff
	v_cmp_lt_u32_e32 vcc, s2, v15
	s_and_saveexec_b64 s[2:3], vcc
	s_cbranch_execz .LBB835_449
; %bb.444:
	v_lshrrev_b32_e32 v14, 24, v15
	s_movk_i32 s7, 0x80
	v_cmp_ne_u32_e32 vcc, s7, v14
	v_mov_b32_e32 v24, 0xffff8000
	s_and_saveexec_b64 s[8:9], vcc
	s_cbranch_execz .LBB835_448
; %bb.445:
	v_bfe_u32 v15, v15, 24, 7
	s_movk_i32 s7, 0x7f
	v_cmp_ne_u32_e32 vcc, s7, v15
	v_mov_b32_e32 v24, 0x7f80
	s_and_saveexec_b64 s[10:11], vcc
	s_cbranch_execz .LBB835_447
; %bb.446:
	v_and_b32_e32 v24, 7, v14
	v_ffbh_u32_e32 v28, v24
	v_min_u32_e32 v31, 32, v28
	v_subrev_u32_e32 v28, 28, v31
	v_lshlrev_b64 v[28:29], v28, v[14:15]
	v_lshrrev_b32_e32 v30, 3, v15
	v_sub_u32_e32 v29, 29, v31
	v_and_b32_e32 v28, 7, v28
	v_cmp_gt_u32_e32 vcc, 8, v15
	v_cndmask_b32_e32 v15, v30, v29, vcc
	v_cndmask_b32_e32 v24, v24, v28, vcc
	v_lshlrev_b32_e32 v14, 24, v14
	v_bfrev_b32_e32 v28, 60
	v_lshlrev_b32_e32 v24, 20, v24
	v_and_b32_e32 v14, 0x80000000, v14
	v_lshl_add_u32 v15, v15, 23, v28
	v_or3_b32 v14, v14, v15, v24
	v_lshrrev_b32_e32 v24, 16, v14
.LBB835_447:
	s_or_b64 exec, exec, s[10:11]
.LBB835_448:
	s_or_b64 exec, exec, s[8:9]
.LBB835_449:
	s_or_b64 exec, exec, s[2:3]
	s_mov_b32 s2, 0x5040100
	v_perm_b32 v15, v21, v22, s2
	v_lshl_or_b32 v22, v1, 9, v27
	v_perm_b32 v14, v19, v20, s2
	ds_read_b128 v[28:31], v22
	v_perm_b32 v19, v24, v25, s2
	v_perm_b32 v18, v18, v23, s2
	s_waitcnt lgkmcnt(0)
	v_mfma_f32_16x16x16bf16_1k v[32:35], v[14:15], v[28:29], 0
	v_mov_b32_e32 v15, 0
	v_cmp_ne_u16_sdwa s[8:9], v16, v15 src0_sel:BYTE_0 src1_sel:DWORD
	v_mov_b32_e32 v23, 0
	v_mfma_f32_16x16x16bf16_1k v[18:21], v[18:19], v[30:31], v[32:35]
	s_and_saveexec_b64 s[2:3], s[8:9]
	s_cbranch_execz .LBB835_455
; %bb.450:
	s_movk_i32 s7, 0x80
	v_cmp_ne_u16_sdwa s[10:11], v16, s7 src0_sel:BYTE_0 src1_sel:DWORD
	v_mov_b32_e32 v23, 0xffff8000
	s_and_saveexec_b64 s[8:9], s[10:11]
	s_cbranch_execz .LBB835_454
; %bb.451:
	s_movk_i32 s7, 0x7f
	v_and_b32_e32 v14, 0x7f, v16
	v_cmp_ne_u32_e32 vcc, s7, v14
	v_mov_b32_e32 v23, 0x7f80
	s_and_saveexec_b64 s[10:11], vcc
	s_cbranch_execz .LBB835_453
; %bb.452:
	v_and_b32_e32 v23, 7, v16
	v_ffbh_u32_e32 v24, v23
	v_min_u32_e32 v28, 32, v24
	v_subrev_u32_e32 v24, 28, v28
	v_lshlrev_b64 v[24:25], v24, v[16:17]
	v_lshrrev_b32_e32 v27, 3, v14
	v_sub_u32_e32 v25, 29, v28
	v_and_b32_e32 v24, 7, v24
	v_cmp_gt_u32_e32 vcc, 8, v14
	v_cndmask_b32_e32 v14, v27, v25, vcc
	v_cndmask_b32_e32 v23, v23, v24, vcc
	v_lshlrev_b32_e32 v24, 24, v16
	v_bfrev_b32_e32 v25, 60
	v_lshlrev_b32_e32 v23, 20, v23
	v_and_b32_e32 v24, 0x80000000, v24
	v_lshl_add_u32 v14, v14, 23, v25
	v_or3_b32 v14, v24, v14, v23
	v_lshrrev_b32_e32 v23, 16, v14
.LBB835_453:
	s_or_b64 exec, exec, s[10:11]
.LBB835_454:
	s_or_b64 exec, exec, s[8:9]
.LBB835_455:
	s_or_b64 exec, exec, s[2:3]
	v_lshrrev_b16_e32 v14, 8, v16
	v_cmp_ne_u16_e32 vcc, 0, v14
	s_and_saveexec_b64 s[2:3], vcc
	s_cbranch_execz .LBB835_461
; %bb.456:
	s_movk_i32 s7, 0x80
	v_cmp_ne_u16_e32 vcc, s7, v14
	v_mov_b32_e32 v15, 0xffff8000
	s_and_saveexec_b64 s[8:9], vcc
	s_cbranch_execz .LBB835_460
; %bb.457:
	s_movk_i32 s7, 0x7f
	v_and_b32_e32 v24, 0x7f, v14
	v_cmp_ne_u32_e32 vcc, s7, v24
	v_mov_b32_e32 v15, 0x7f80
	s_and_saveexec_b64 s[10:11], vcc
	s_cbranch_execz .LBB835_459
; %bb.458:
	v_and_b32_e32 v25, 7, v14
	v_ffbh_u32_e32 v15, v25
	v_min_u32_e32 v28, 32, v15
	v_subrev_u32_e32 v15, 28, v28
	v_lshlrev_b64 v[14:15], v15, v[14:15]
	v_lshrrev_b32_e32 v27, 3, v24
	v_sub_u32_e32 v15, 29, v28
	v_and_b32_e32 v14, 7, v14
	v_cmp_gt_u32_e32 vcc, 8, v24
	v_cndmask_b32_e32 v15, v27, v15, vcc
	v_cndmask_b32_e32 v14, v25, v14, vcc
	v_lshlrev_b32_e32 v24, 16, v16
	v_bfrev_b32_e32 v25, 60
	v_lshlrev_b32_e32 v14, 20, v14
	v_and_b32_e32 v24, 0x80000000, v24
	v_lshl_add_u32 v15, v15, 23, v25
	v_or3_b32 v14, v24, v15, v14
	v_lshrrev_b32_e32 v15, 16, v14
.LBB835_459:
	s_or_b64 exec, exec, s[10:11]
.LBB835_460:
	s_or_b64 exec, exec, s[8:9]
.LBB835_461:
	s_or_b64 exec, exec, s[2:3]
	s_movk_i32 s2, 0xff
	v_and_b32_sdwa v27, v16, s2 dst_sel:DWORD dst_unused:UNUSED_PAD src0_sel:WORD_1 src1_sel:DWORD
	v_lshrrev_b32_e32 v14, 16, v16
	v_cmp_ne_u16_e32 vcc, 0, v27
	v_mov_b32_e32 v24, 0
	v_mov_b32_e32 v25, 0
	s_and_saveexec_b64 s[2:3], vcc
	s_cbranch_execz .LBB835_467
; %bb.462:
	s_movk_i32 s7, 0x80
	v_cmp_ne_u16_e32 vcc, s7, v27
	v_mov_b32_e32 v25, 0xffff8000
	s_and_saveexec_b64 s[8:9], vcc
	s_cbranch_execz .LBB835_466
; %bb.463:
	v_bfe_u32 v27, v16, 16, 7
	s_movk_i32 s7, 0x7f
	v_cmp_ne_u32_e32 vcc, s7, v27
	v_mov_b32_e32 v25, 0x7f80
	s_and_saveexec_b64 s[10:11], vcc
	s_cbranch_execz .LBB835_465
; %bb.464:
	v_and_b32_e32 v25, 7, v14
	v_ffbh_u32_e32 v28, v25
	v_min_u32_e32 v31, 32, v28
	v_subrev_u32_e32 v28, 28, v31
	v_lshlrev_b64 v[28:29], v28, v[14:15]
	v_lshrrev_b32_e32 v30, 3, v27
	v_sub_u32_e32 v14, 29, v31
	v_and_b32_e32 v28, 7, v28
	v_cmp_gt_u32_e32 vcc, 8, v27
	v_mov_b32_e32 v27, 24
	v_cndmask_b32_e32 v14, v30, v14, vcc
	v_cndmask_b32_e32 v25, v25, v28, vcc
	v_lshlrev_b32_sdwa v27, v27, v16 dst_sel:DWORD dst_unused:UNUSED_PAD src0_sel:DWORD src1_sel:WORD_1
	v_bfrev_b32_e32 v28, 60
	v_lshlrev_b32_e32 v25, 20, v25
	v_and_b32_e32 v27, 0x80000000, v27
	v_lshl_add_u32 v14, v14, 23, v28
	v_or3_b32 v14, v27, v14, v25
	v_lshrrev_b32_e32 v25, 16, v14
.LBB835_465:
	s_or_b64 exec, exec, s[10:11]
.LBB835_466:
	s_or_b64 exec, exec, s[8:9]
.LBB835_467:
	s_or_b64 exec, exec, s[2:3]
	s_mov_b32 s2, 0xffffff
	v_cmp_lt_u32_e32 vcc, s2, v16
	s_and_saveexec_b64 s[2:3], vcc
	s_cbranch_execz .LBB835_473
; %bb.468:
	v_lshrrev_b32_e32 v14, 24, v16
	s_movk_i32 s7, 0x80
	v_cmp_ne_u32_e32 vcc, s7, v14
	v_mov_b32_e32 v24, 0xffff8000
	s_and_saveexec_b64 s[8:9], vcc
	s_cbranch_execz .LBB835_472
; %bb.469:
	v_bfe_u32 v16, v16, 24, 7
	s_movk_i32 s7, 0x7f
	v_cmp_ne_u32_e32 vcc, s7, v16
	v_mov_b32_e32 v24, 0x7f80
	s_and_saveexec_b64 s[10:11], vcc
	s_cbranch_execz .LBB835_471
; %bb.470:
	v_and_b32_e32 v24, 7, v14
	v_ffbh_u32_e32 v28, v24
	v_min_u32_e32 v30, 32, v28
	v_subrev_u32_e32 v28, 28, v30
	v_lshlrev_b64 v[28:29], v28, v[14:15]
	v_lshrrev_b32_e32 v27, 3, v16
	v_sub_u32_e32 v29, 29, v30
	v_and_b32_e32 v28, 7, v28
	v_cmp_gt_u32_e32 vcc, 8, v16
	v_cndmask_b32_e32 v16, v27, v29, vcc
	v_cndmask_b32_e32 v24, v24, v28, vcc
	v_lshlrev_b32_e32 v14, 24, v14
	v_bfrev_b32_e32 v27, 60
	v_lshlrev_b32_e32 v24, 20, v24
	v_and_b32_e32 v14, 0x80000000, v14
	v_lshl_add_u32 v16, v16, 23, v27
	v_or3_b32 v14, v14, v16, v24
	v_lshrrev_b32_e32 v24, 16, v14
.LBB835_471:
	s_or_b64 exec, exec, s[10:11]
.LBB835_472:
	s_or_b64 exec, exec, s[8:9]
.LBB835_473:
	s_or_b64 exec, exec, s[2:3]
	v_mov_b32_e32 v16, 0
	v_cmp_ne_u16_sdwa s[8:9], v17, v16 src0_sel:BYTE_0 src1_sel:DWORD
	v_mov_b32_e32 v27, 0
	s_and_saveexec_b64 s[2:3], s[8:9]
	s_cbranch_execz .LBB835_479
; %bb.474:
	s_movk_i32 s7, 0x80
	v_cmp_ne_u16_sdwa s[10:11], v17, s7 src0_sel:BYTE_0 src1_sel:DWORD
	v_mov_b32_e32 v27, 0xffff8000
	s_and_saveexec_b64 s[8:9], s[10:11]
	s_cbranch_execz .LBB835_478
; %bb.475:
	s_movk_i32 s7, 0x7f
	v_and_b32_e32 v14, 0x7f, v17
	v_cmp_ne_u32_e32 vcc, s7, v14
	v_mov_b32_e32 v27, 0x7f80
	s_and_saveexec_b64 s[10:11], vcc
	s_cbranch_execz .LBB835_477
; %bb.476:
	v_and_b32_e32 v27, 7, v17
	v_ffbh_u32_e32 v29, v27
	v_min_u32_e32 v31, 32, v29
	v_mov_b32_e32 v28, v17
	v_subrev_u32_e32 v29, 28, v31
	v_lshlrev_b64 v[28:29], v29, v[28:29]
	v_lshrrev_b32_e32 v30, 3, v14
	v_sub_u32_e32 v29, 29, v31
	v_and_b32_e32 v28, 7, v28
	v_cmp_gt_u32_e32 vcc, 8, v14
	v_cndmask_b32_e32 v14, v30, v29, vcc
	v_cndmask_b32_e32 v27, v27, v28, vcc
	v_lshlrev_b32_e32 v28, 24, v17
	v_bfrev_b32_e32 v29, 60
	v_lshlrev_b32_e32 v27, 20, v27
	v_and_b32_e32 v28, 0x80000000, v28
	v_lshl_add_u32 v14, v14, 23, v29
	v_or3_b32 v14, v28, v14, v27
	v_lshrrev_b32_e32 v27, 16, v14
.LBB835_477:
	s_or_b64 exec, exec, s[10:11]
.LBB835_478:
	s_or_b64 exec, exec, s[8:9]
.LBB835_479:
	s_or_b64 exec, exec, s[2:3]
	v_lshrrev_b16_e32 v14, 8, v17
	v_cmp_ne_u16_e32 vcc, 0, v14
	s_and_saveexec_b64 s[2:3], vcc
	s_cbranch_execz .LBB835_485
; %bb.480:
	s_movk_i32 s7, 0x80
	v_cmp_ne_u16_e32 vcc, s7, v14
	v_mov_b32_e32 v16, 0xffff8000
	s_and_saveexec_b64 s[8:9], vcc
	s_cbranch_execz .LBB835_484
; %bb.481:
	s_movk_i32 s7, 0x7f
	v_and_b32_e32 v28, 0x7f, v14
	v_cmp_ne_u32_e32 vcc, s7, v28
	v_mov_b32_e32 v16, 0x7f80
	s_and_saveexec_b64 s[10:11], vcc
	s_cbranch_execz .LBB835_483
; %bb.482:
	v_and_b32_e32 v16, 7, v14
	v_ffbh_u32_e32 v30, v16
	v_min_u32_e32 v32, 32, v30
	v_subrev_u32_e32 v30, 28, v32
	v_lshlrev_b64 v[30:31], v30, v[14:15]
	v_lshrrev_b32_e32 v29, 3, v28
	v_sub_u32_e32 v14, 29, v32
	v_and_b32_e32 v30, 7, v30
	v_cmp_gt_u32_e32 vcc, 8, v28
	v_cndmask_b32_e32 v14, v29, v14, vcc
	v_cndmask_b32_e32 v16, v16, v30, vcc
	v_lshlrev_b32_e32 v28, 16, v17
	v_bfrev_b32_e32 v29, 60
	v_lshlrev_b32_e32 v16, 20, v16
	v_and_b32_e32 v28, 0x80000000, v28
	v_lshl_add_u32 v14, v14, 23, v29
	v_or3_b32 v14, v28, v14, v16
	v_lshrrev_b32_e32 v16, 16, v14
.LBB835_483:
	s_or_b64 exec, exec, s[10:11]
.LBB835_484:
	s_or_b64 exec, exec, s[8:9]
.LBB835_485:
	s_or_b64 exec, exec, s[2:3]
	s_movk_i32 s2, 0xff
	v_and_b32_sdwa v30, v17, s2 dst_sel:DWORD dst_unused:UNUSED_PAD src0_sel:WORD_1 src1_sel:DWORD
	v_lshrrev_b32_e32 v14, 16, v17
	v_cmp_ne_u16_e32 vcc, 0, v30
	v_mov_b32_e32 v28, 0
	v_mov_b32_e32 v29, 0
	s_and_saveexec_b64 s[2:3], vcc
	s_cbranch_execz .LBB835_491
; %bb.486:
	s_movk_i32 s7, 0x80
	v_cmp_ne_u16_e32 vcc, s7, v30
	v_mov_b32_e32 v29, 0xffff8000
	s_and_saveexec_b64 s[8:9], vcc
	s_cbranch_execz .LBB835_490
; %bb.487:
	v_bfe_u32 v30, v17, 16, 7
	s_movk_i32 s7, 0x7f
	v_cmp_ne_u32_e32 vcc, s7, v30
	v_mov_b32_e32 v29, 0x7f80
	s_and_saveexec_b64 s[10:11], vcc
	s_cbranch_execz .LBB835_489
; %bb.488:
	v_and_b32_e32 v29, 7, v14
	v_ffbh_u32_e32 v32, v29
	v_min_u32_e32 v34, 32, v32
	v_subrev_u32_e32 v32, 28, v34
	v_lshlrev_b64 v[32:33], v32, v[14:15]
	v_lshrrev_b32_e32 v31, 3, v30
	v_sub_u32_e32 v14, 29, v34
	v_and_b32_e32 v32, 7, v32
	v_cmp_gt_u32_e32 vcc, 8, v30
	v_mov_b32_e32 v30, 24
	v_cndmask_b32_e32 v14, v31, v14, vcc
	v_cndmask_b32_e32 v29, v29, v32, vcc
	v_lshlrev_b32_sdwa v30, v30, v17 dst_sel:DWORD dst_unused:UNUSED_PAD src0_sel:DWORD src1_sel:WORD_1
	v_bfrev_b32_e32 v31, 60
	v_lshlrev_b32_e32 v29, 20, v29
	v_and_b32_e32 v30, 0x80000000, v30
	v_lshl_add_u32 v14, v14, 23, v31
	v_or3_b32 v14, v30, v14, v29
	v_lshrrev_b32_e32 v29, 16, v14
.LBB835_489:
	s_or_b64 exec, exec, s[10:11]
.LBB835_490:
	s_or_b64 exec, exec, s[8:9]
.LBB835_491:
	s_or_b64 exec, exec, s[2:3]
	s_mov_b32 s2, 0xffffff
	v_cmp_lt_u32_e32 vcc, s2, v17
	s_and_saveexec_b64 s[2:3], vcc
	s_cbranch_execz .LBB835_497
; %bb.492:
	v_lshrrev_b32_e32 v14, 24, v17
	s_movk_i32 s7, 0x80
	v_cmp_ne_u32_e32 vcc, s7, v14
	v_mov_b32_e32 v28, 0xffff8000
	s_and_saveexec_b64 s[8:9], vcc
	s_cbranch_execz .LBB835_496
; %bb.493:
	v_bfe_u32 v17, v17, 24, 7
	s_movk_i32 s7, 0x7f
	v_cmp_ne_u32_e32 vcc, s7, v17
	v_mov_b32_e32 v28, 0x7f80
	s_and_saveexec_b64 s[10:11], vcc
	s_cbranch_execz .LBB835_495
; %bb.494:
	v_and_b32_e32 v28, 7, v14
	v_ffbh_u32_e32 v30, v28
	v_min_u32_e32 v33, 32, v30
	v_subrev_u32_e32 v30, 28, v33
	v_lshlrev_b64 v[30:31], v30, v[14:15]
	v_lshrrev_b32_e32 v32, 3, v17
	v_sub_u32_e32 v31, 29, v33
	v_and_b32_e32 v30, 7, v30
	v_cmp_gt_u32_e32 vcc, 8, v17
	v_cndmask_b32_e32 v17, v32, v31, vcc
	v_cndmask_b32_e32 v28, v28, v30, vcc
	v_lshlrev_b32_e32 v14, 24, v14
	v_bfrev_b32_e32 v30, 60
	v_lshlrev_b32_e32 v28, 20, v28
	v_and_b32_e32 v14, 0x80000000, v14
	v_lshl_add_u32 v17, v17, 23, v30
	v_or3_b32 v14, v14, v17, v28
	v_lshrrev_b32_e32 v28, 16, v14
.LBB835_495:
	s_or_b64 exec, exec, s[10:11]
.LBB835_496:
	s_or_b64 exec, exec, s[8:9]
.LBB835_497:
	s_or_b64 exec, exec, s[2:3]
	s_mov_b32 s2, 0x5040100
	v_perm_b32 v25, v24, v25, s2
	v_perm_b32 v24, v15, v23, s2
	ds_read_b128 v[30:33], v22 offset:16
	v_perm_b32 v15, v28, v29, s2
	v_perm_b32 v14, v16, v27, s2
	s_waitcnt lgkmcnt(0)
	v_mfma_f32_16x16x16bf16_1k v[34:37], v[24:25], v[30:31], v[18:21]
	s_nop 6
	v_mov_b32_e32 v19, 0
	s_waitcnt vmcnt(2)
	v_cmp_ne_u16_sdwa s[8:9], v10, v19 src0_sel:BYTE_0 src1_sel:DWORD
	v_mfma_f32_16x16x16bf16_1k v[14:17], v[14:15], v[32:33], v[34:37]
	v_mov_b32_e32 v20, 0
	s_and_saveexec_b64 s[2:3], s[8:9]
	s_cbranch_execz .LBB835_503
; %bb.498:
	s_movk_i32 s7, 0x80
	v_cmp_ne_u16_sdwa s[10:11], v10, s7 src0_sel:BYTE_0 src1_sel:DWORD
	v_mov_b32_e32 v20, 0xffff8000
	s_and_saveexec_b64 s[8:9], s[10:11]
	s_cbranch_execz .LBB835_502
; %bb.499:
	s_movk_i32 s7, 0x7f
	v_and_b32_e32 v18, 0x7f, v10
	v_cmp_ne_u32_e32 vcc, s7, v18
	v_mov_b32_e32 v20, 0x7f80
	s_and_saveexec_b64 s[10:11], vcc
	s_cbranch_execz .LBB835_501
; %bb.500:
	v_and_b32_e32 v23, 7, v10
	v_ffbh_u32_e32 v20, v23
	v_min_u32_e32 v25, 32, v20
	v_subrev_u32_e32 v20, 28, v25
	v_lshlrev_b64 v[20:21], v20, v[10:11]
	v_lshrrev_b32_e32 v24, 3, v18
	v_sub_u32_e32 v21, 29, v25
	v_and_b32_e32 v20, 7, v20
	v_cmp_gt_u32_e32 vcc, 8, v18
	v_cndmask_b32_e32 v18, v24, v21, vcc
	v_cndmask_b32_e32 v20, v23, v20, vcc
	v_lshlrev_b32_e32 v21, 24, v10
	v_bfrev_b32_e32 v23, 60
	v_lshlrev_b32_e32 v20, 20, v20
	v_and_b32_e32 v21, 0x80000000, v21
	v_lshl_add_u32 v18, v18, 23, v23
	v_or3_b32 v18, v21, v18, v20
	v_lshrrev_b32_e32 v20, 16, v18
.LBB835_501:
	s_or_b64 exec, exec, s[10:11]
.LBB835_502:
	s_or_b64 exec, exec, s[8:9]
.LBB835_503:
	s_or_b64 exec, exec, s[2:3]
	v_lshrrev_b16_e32 v18, 8, v10
	v_cmp_ne_u16_e32 vcc, 0, v18
	s_and_saveexec_b64 s[2:3], vcc
	s_cbranch_execz .LBB835_509
; %bb.504:
	s_movk_i32 s7, 0x80
	v_cmp_ne_u16_e32 vcc, s7, v18
	v_mov_b32_e32 v19, 0xffff8000
	s_and_saveexec_b64 s[8:9], vcc
	s_cbranch_execz .LBB835_508
; %bb.505:
	s_movk_i32 s7, 0x7f
	v_and_b32_e32 v21, 0x7f, v18
	v_cmp_ne_u32_e32 vcc, s7, v21
	v_mov_b32_e32 v19, 0x7f80
	s_and_saveexec_b64 s[10:11], vcc
	s_cbranch_execz .LBB835_507
; %bb.506:
	v_and_b32_e32 v23, 7, v18
	v_ffbh_u32_e32 v19, v23
	v_min_u32_e32 v25, 32, v19
	v_subrev_u32_e32 v19, 28, v25
	v_lshlrev_b64 v[18:19], v19, v[18:19]
	v_lshrrev_b32_e32 v24, 3, v21
	v_sub_u32_e32 v19, 29, v25
	v_and_b32_e32 v18, 7, v18
	v_cmp_gt_u32_e32 vcc, 8, v21
	v_cndmask_b32_e32 v19, v24, v19, vcc
	v_cndmask_b32_e32 v18, v23, v18, vcc
	v_lshlrev_b32_e32 v21, 16, v10
	v_bfrev_b32_e32 v23, 60
	v_lshlrev_b32_e32 v18, 20, v18
	v_and_b32_e32 v21, 0x80000000, v21
	v_lshl_add_u32 v19, v19, 23, v23
	v_or3_b32 v18, v21, v19, v18
	v_lshrrev_b32_e32 v19, 16, v18
.LBB835_507:
	s_or_b64 exec, exec, s[10:11]
.LBB835_508:
	s_or_b64 exec, exec, s[8:9]
.LBB835_509:
	s_or_b64 exec, exec, s[2:3]
	s_movk_i32 s2, 0xff
	v_and_b32_sdwa v24, v10, s2 dst_sel:DWORD dst_unused:UNUSED_PAD src0_sel:WORD_1 src1_sel:DWORD
	v_lshrrev_b32_e32 v18, 16, v10
	v_cmp_ne_u16_e32 vcc, 0, v24
	v_mov_b32_e32 v21, 0
	v_mov_b32_e32 v23, 0
	s_and_saveexec_b64 s[2:3], vcc
	s_cbranch_execz .LBB835_515
; %bb.510:
	s_movk_i32 s7, 0x80
	v_cmp_ne_u16_e32 vcc, s7, v24
	v_mov_b32_e32 v23, 0xffff8000
	s_and_saveexec_b64 s[8:9], vcc
	s_cbranch_execz .LBB835_514
; %bb.511:
	v_bfe_u32 v24, v10, 16, 7
	s_movk_i32 s7, 0x7f
	v_cmp_ne_u32_e32 vcc, s7, v24
	v_mov_b32_e32 v23, 0x7f80
	s_and_saveexec_b64 s[10:11], vcc
	s_cbranch_execz .LBB835_513
; %bb.512:
	v_and_b32_e32 v23, 7, v18
	v_ffbh_u32_e32 v27, v23
	v_min_u32_e32 v27, 32, v27
	v_subrev_u32_e32 v28, 28, v27
	v_lshlrev_b64 v[28:29], v28, v[18:19]
	v_lshrrev_b32_e32 v25, 3, v24
	v_sub_u32_e32 v18, 29, v27
	v_and_b32_e32 v27, 7, v28
	v_cmp_gt_u32_e32 vcc, 8, v24
	v_mov_b32_e32 v24, 24
	v_cndmask_b32_e32 v18, v25, v18, vcc
	v_cndmask_b32_e32 v23, v23, v27, vcc
	v_lshlrev_b32_sdwa v24, v24, v10 dst_sel:DWORD dst_unused:UNUSED_PAD src0_sel:DWORD src1_sel:WORD_1
	v_bfrev_b32_e32 v25, 60
	v_lshlrev_b32_e32 v23, 20, v23
	v_and_b32_e32 v24, 0x80000000, v24
	v_lshl_add_u32 v18, v18, 23, v25
	v_or3_b32 v18, v24, v18, v23
	v_lshrrev_b32_e32 v23, 16, v18
.LBB835_513:
	s_or_b64 exec, exec, s[10:11]
.LBB835_514:
	s_or_b64 exec, exec, s[8:9]
.LBB835_515:
	s_or_b64 exec, exec, s[2:3]
	s_mov_b32 s2, 0xffffff
	v_cmp_lt_u32_e32 vcc, s2, v10
	s_and_saveexec_b64 s[2:3], vcc
	s_cbranch_execz .LBB835_521
; %bb.516:
	v_lshrrev_b32_e32 v18, 24, v10
	s_movk_i32 s7, 0x80
	v_cmp_ne_u32_e32 vcc, s7, v18
	v_mov_b32_e32 v21, 0xffff8000
	s_and_saveexec_b64 s[8:9], vcc
	s_cbranch_execz .LBB835_520
; %bb.517:
	v_bfe_u32 v10, v10, 24, 7
	s_movk_i32 s7, 0x7f
	v_cmp_ne_u32_e32 vcc, s7, v10
	v_mov_b32_e32 v21, 0x7f80
	s_and_saveexec_b64 s[10:11], vcc
	s_cbranch_execz .LBB835_519
; %bb.518:
	v_and_b32_e32 v21, 7, v18
	v_ffbh_u32_e32 v24, v21
	v_min_u32_e32 v28, 32, v24
	v_subrev_u32_e32 v24, 28, v28
	v_lshlrev_b64 v[24:25], v24, v[18:19]
	v_lshrrev_b32_e32 v27, 3, v10
	v_sub_u32_e32 v25, 29, v28
	v_and_b32_e32 v24, 7, v24
	v_cmp_gt_u32_e32 vcc, 8, v10
	v_cndmask_b32_e32 v10, v27, v25, vcc
	v_cndmask_b32_e32 v21, v21, v24, vcc
	v_lshlrev_b32_e32 v18, 24, v18
	v_bfrev_b32_e32 v24, 60
	v_lshlrev_b32_e32 v21, 20, v21
	v_and_b32_e32 v18, 0x80000000, v18
	v_lshl_add_u32 v10, v10, 23, v24
	v_or3_b32 v10, v18, v10, v21
	v_lshrrev_b32_e32 v21, 16, v10
.LBB835_519:
	s_or_b64 exec, exec, s[10:11]
.LBB835_520:
	s_or_b64 exec, exec, s[8:9]
.LBB835_521:
	s_or_b64 exec, exec, s[2:3]
	v_mov_b32_e32 v18, 0
	v_cmp_ne_u16_sdwa s[8:9], v11, v18 src0_sel:BYTE_0 src1_sel:DWORD
	v_mov_b32_e32 v24, 0
	s_and_saveexec_b64 s[2:3], s[8:9]
	s_cbranch_execz .LBB835_527
; %bb.522:
	s_movk_i32 s7, 0x80
	v_cmp_ne_u16_sdwa s[10:11], v11, s7 src0_sel:BYTE_0 src1_sel:DWORD
	v_mov_b32_e32 v24, 0xffff8000
	s_and_saveexec_b64 s[8:9], s[10:11]
	s_cbranch_execz .LBB835_526
; %bb.523:
	s_movk_i32 s7, 0x7f
	v_and_b32_e32 v10, 0x7f, v11
	v_cmp_ne_u32_e32 vcc, s7, v10
	v_mov_b32_e32 v24, 0x7f80
	s_and_saveexec_b64 s[10:11], vcc
	s_cbranch_execz .LBB835_525
; %bb.524:
	v_and_b32_e32 v27, 7, v11
	v_ffbh_u32_e32 v25, v27
	v_min_u32_e32 v29, 32, v25
	v_mov_b32_e32 v24, v11
	v_subrev_u32_e32 v25, 28, v29
	v_lshlrev_b64 v[24:25], v25, v[24:25]
	v_lshrrev_b32_e32 v28, 3, v10
	v_sub_u32_e32 v25, 29, v29
	v_and_b32_e32 v24, 7, v24
	v_cmp_gt_u32_e32 vcc, 8, v10
	v_cndmask_b32_e32 v10, v28, v25, vcc
	v_cndmask_b32_e32 v24, v27, v24, vcc
	v_lshlrev_b32_e32 v25, 24, v11
	v_bfrev_b32_e32 v27, 60
	v_lshlrev_b32_e32 v24, 20, v24
	v_and_b32_e32 v25, 0x80000000, v25
	v_lshl_add_u32 v10, v10, 23, v27
	v_or3_b32 v10, v25, v10, v24
	v_lshrrev_b32_e32 v24, 16, v10
.LBB835_525:
	s_or_b64 exec, exec, s[10:11]
.LBB835_526:
	s_or_b64 exec, exec, s[8:9]
.LBB835_527:
	s_or_b64 exec, exec, s[2:3]
	v_lshrrev_b16_e32 v10, 8, v11
	v_cmp_ne_u16_e32 vcc, 0, v10
	s_and_saveexec_b64 s[2:3], vcc
	s_cbranch_execz .LBB835_533
; %bb.528:
	s_movk_i32 s7, 0x80
	v_cmp_ne_u16_e32 vcc, s7, v10
	v_mov_b32_e32 v18, 0xffff8000
	s_and_saveexec_b64 s[8:9], vcc
	s_cbranch_execz .LBB835_532
; %bb.529:
	s_movk_i32 s7, 0x7f
	v_and_b32_e32 v25, 0x7f, v10
	v_cmp_ne_u32_e32 vcc, s7, v25
	v_mov_b32_e32 v18, 0x7f80
	s_and_saveexec_b64 s[10:11], vcc
	s_cbranch_execz .LBB835_531
; %bb.530:
	v_and_b32_e32 v18, 7, v10
	v_ffbh_u32_e32 v28, v18
	v_min_u32_e32 v30, 32, v28
	v_subrev_u32_e32 v28, 28, v30
	v_lshlrev_b64 v[28:29], v28, v[10:11]
	v_lshrrev_b32_e32 v27, 3, v25
	v_sub_u32_e32 v10, 29, v30
	v_and_b32_e32 v28, 7, v28
	v_cmp_gt_u32_e32 vcc, 8, v25
	v_cndmask_b32_e32 v10, v27, v10, vcc
	v_cndmask_b32_e32 v18, v18, v28, vcc
	v_lshlrev_b32_e32 v25, 16, v11
	v_bfrev_b32_e32 v27, 60
	v_lshlrev_b32_e32 v18, 20, v18
	v_and_b32_e32 v25, 0x80000000, v25
	v_lshl_add_u32 v10, v10, 23, v27
	v_or3_b32 v10, v25, v10, v18
	v_lshrrev_b32_e32 v18, 16, v10
.LBB835_531:
	s_or_b64 exec, exec, s[10:11]
.LBB835_532:
	s_or_b64 exec, exec, s[8:9]
.LBB835_533:
	s_or_b64 exec, exec, s[2:3]
	s_movk_i32 s2, 0xff
	v_and_b32_sdwa v28, v11, s2 dst_sel:DWORD dst_unused:UNUSED_PAD src0_sel:WORD_1 src1_sel:DWORD
	v_lshrrev_b32_e32 v10, 16, v11
	v_cmp_ne_u16_e32 vcc, 0, v28
	v_mov_b32_e32 v25, 0
	v_mov_b32_e32 v27, 0
	s_and_saveexec_b64 s[2:3], vcc
	s_cbranch_execz .LBB835_539
; %bb.534:
	s_movk_i32 s7, 0x80
	v_cmp_ne_u16_e32 vcc, s7, v28
	v_mov_b32_e32 v27, 0xffff8000
	s_and_saveexec_b64 s[8:9], vcc
	s_cbranch_execz .LBB835_538
; %bb.535:
	v_bfe_u32 v28, v11, 16, 7
	s_movk_i32 s7, 0x7f
	v_cmp_ne_u32_e32 vcc, s7, v28
	v_mov_b32_e32 v27, 0x7f80
	s_and_saveexec_b64 s[10:11], vcc
	s_cbranch_execz .LBB835_537
; %bb.536:
	v_and_b32_e32 v27, 7, v10
	v_ffbh_u32_e32 v30, v27
	v_min_u32_e32 v32, 32, v30
	v_subrev_u32_e32 v30, 28, v32
	v_lshlrev_b64 v[30:31], v30, v[10:11]
	v_lshrrev_b32_e32 v29, 3, v28
	v_sub_u32_e32 v10, 29, v32
	v_and_b32_e32 v30, 7, v30
	v_cmp_gt_u32_e32 vcc, 8, v28
	v_mov_b32_e32 v28, 24
	v_cndmask_b32_e32 v10, v29, v10, vcc
	v_cndmask_b32_e32 v27, v27, v30, vcc
	v_lshlrev_b32_sdwa v28, v28, v11 dst_sel:DWORD dst_unused:UNUSED_PAD src0_sel:DWORD src1_sel:WORD_1
	v_bfrev_b32_e32 v29, 60
	v_lshlrev_b32_e32 v27, 20, v27
	v_and_b32_e32 v28, 0x80000000, v28
	v_lshl_add_u32 v10, v10, 23, v29
	v_or3_b32 v10, v28, v10, v27
	v_lshrrev_b32_e32 v27, 16, v10
.LBB835_537:
	s_or_b64 exec, exec, s[10:11]
.LBB835_538:
	s_or_b64 exec, exec, s[8:9]
.LBB835_539:
	s_or_b64 exec, exec, s[2:3]
	s_mov_b32 s2, 0xffffff
	v_cmp_lt_u32_e32 vcc, s2, v11
	s_and_saveexec_b64 s[2:3], vcc
	s_cbranch_execz .LBB835_545
; %bb.540:
	v_lshrrev_b32_e32 v10, 24, v11
	s_movk_i32 s7, 0x80
	v_cmp_ne_u32_e32 vcc, s7, v10
	v_mov_b32_e32 v25, 0xffff8000
	s_and_saveexec_b64 s[8:9], vcc
	s_cbranch_execz .LBB835_544
; %bb.541:
	v_bfe_u32 v11, v11, 24, 7
	s_movk_i32 s7, 0x7f
	v_cmp_ne_u32_e32 vcc, s7, v11
	v_mov_b32_e32 v25, 0x7f80
	s_and_saveexec_b64 s[10:11], vcc
	s_cbranch_execz .LBB835_543
; %bb.542:
	v_and_b32_e32 v25, 7, v10
	v_ffbh_u32_e32 v28, v25
	v_min_u32_e32 v31, 32, v28
	v_subrev_u32_e32 v28, 28, v31
	v_lshlrev_b64 v[28:29], v28, v[10:11]
	v_lshrrev_b32_e32 v30, 3, v11
	v_sub_u32_e32 v29, 29, v31
	v_and_b32_e32 v28, 7, v28
	v_cmp_gt_u32_e32 vcc, 8, v11
	v_cndmask_b32_e32 v11, v30, v29, vcc
	v_cndmask_b32_e32 v25, v25, v28, vcc
	v_lshlrev_b32_e32 v10, 24, v10
	v_bfrev_b32_e32 v28, 60
	v_lshlrev_b32_e32 v25, 20, v25
	v_and_b32_e32 v10, 0x80000000, v10
	v_lshl_add_u32 v11, v11, 23, v28
	v_or3_b32 v10, v10, v11, v25
	v_lshrrev_b32_e32 v25, 16, v10
.LBB835_543:
	s_or_b64 exec, exec, s[10:11]
.LBB835_544:
	s_or_b64 exec, exec, s[8:9]
.LBB835_545:
	s_or_b64 exec, exec, s[2:3]
	s_mov_b32 s2, 0x5040100
	v_perm_b32 v11, v21, v23, s2
	v_perm_b32 v10, v19, v20, s2
	ds_read_b128 v[28:31], v22 offset:2048
	v_perm_b32 v21, v25, v27, s2
	v_perm_b32 v20, v18, v24, s2
	s_waitcnt lgkmcnt(0)
	v_mfma_f32_16x16x16bf16_1k v[14:17], v[10:11], v[28:29], v[14:17]
	v_mov_b32_e32 v11, 0
	v_cmp_ne_u16_sdwa s[8:9], v12, v11 src0_sel:BYTE_0 src1_sel:DWORD
	v_mov_b32_e32 v18, 0
	v_mfma_f32_16x16x16bf16_1k v[14:17], v[20:21], v[30:31], v[14:17]
	s_and_saveexec_b64 s[2:3], s[8:9]
	s_cbranch_execz .LBB835_551
; %bb.546:
	s_movk_i32 s7, 0x80
	v_cmp_ne_u16_sdwa s[10:11], v12, s7 src0_sel:BYTE_0 src1_sel:DWORD
	v_mov_b32_e32 v18, 0xffff8000
	s_and_saveexec_b64 s[8:9], s[10:11]
	s_cbranch_execz .LBB835_550
; %bb.547:
	s_movk_i32 s7, 0x7f
	v_and_b32_e32 v10, 0x7f, v12
	v_cmp_ne_u32_e32 vcc, s7, v10
	v_mov_b32_e32 v18, 0x7f80
	s_and_saveexec_b64 s[10:11], vcc
	s_cbranch_execz .LBB835_549
; %bb.548:
	v_and_b32_e32 v20, 7, v12
	v_ffbh_u32_e32 v18, v20
	v_min_u32_e32 v23, 32, v18
	v_subrev_u32_e32 v18, 28, v23
	v_lshlrev_b64 v[18:19], v18, v[12:13]
	v_lshrrev_b32_e32 v21, 3, v10
	v_sub_u32_e32 v19, 29, v23
	v_and_b32_e32 v18, 7, v18
	v_cmp_gt_u32_e32 vcc, 8, v10
	v_cndmask_b32_e32 v10, v21, v19, vcc
	v_cndmask_b32_e32 v18, v20, v18, vcc
	v_lshlrev_b32_e32 v19, 24, v12
	v_bfrev_b32_e32 v20, 60
	v_lshlrev_b32_e32 v18, 20, v18
	v_and_b32_e32 v19, 0x80000000, v19
	v_lshl_add_u32 v10, v10, 23, v20
	v_or3_b32 v10, v19, v10, v18
	v_lshrrev_b32_e32 v18, 16, v10
.LBB835_549:
	s_or_b64 exec, exec, s[10:11]
.LBB835_550:
	s_or_b64 exec, exec, s[8:9]
.LBB835_551:
	s_or_b64 exec, exec, s[2:3]
	v_lshrrev_b16_e32 v10, 8, v12
	v_cmp_ne_u16_e32 vcc, 0, v10
	s_and_saveexec_b64 s[2:3], vcc
	s_cbranch_execz .LBB835_557
; %bb.552:
	s_movk_i32 s7, 0x80
	v_cmp_ne_u16_e32 vcc, s7, v10
	v_mov_b32_e32 v11, 0xffff8000
	s_and_saveexec_b64 s[8:9], vcc
	s_cbranch_execz .LBB835_556
; %bb.553:
	s_movk_i32 s7, 0x7f
	v_and_b32_e32 v19, 0x7f, v10
	v_cmp_ne_u32_e32 vcc, s7, v19
	v_mov_b32_e32 v11, 0x7f80
	s_and_saveexec_b64 s[10:11], vcc
	s_cbranch_execz .LBB835_555
; %bb.554:
	v_and_b32_e32 v20, 7, v10
	v_ffbh_u32_e32 v11, v20
	v_min_u32_e32 v23, 32, v11
	v_subrev_u32_e32 v11, 28, v23
	v_lshlrev_b64 v[10:11], v11, v[10:11]
	v_lshrrev_b32_e32 v21, 3, v19
	v_sub_u32_e32 v11, 29, v23
	v_and_b32_e32 v10, 7, v10
	v_cmp_gt_u32_e32 vcc, 8, v19
	v_cndmask_b32_e32 v11, v21, v11, vcc
	v_cndmask_b32_e32 v10, v20, v10, vcc
	v_lshlrev_b32_e32 v19, 16, v12
	v_bfrev_b32_e32 v20, 60
	v_lshlrev_b32_e32 v10, 20, v10
	v_and_b32_e32 v19, 0x80000000, v19
	v_lshl_add_u32 v11, v11, 23, v20
	v_or3_b32 v10, v19, v11, v10
	v_lshrrev_b32_e32 v11, 16, v10
.LBB835_555:
	s_or_b64 exec, exec, s[10:11]
.LBB835_556:
	s_or_b64 exec, exec, s[8:9]
.LBB835_557:
	s_or_b64 exec, exec, s[2:3]
	s_movk_i32 s2, 0xff
	v_and_b32_sdwa v21, v12, s2 dst_sel:DWORD dst_unused:UNUSED_PAD src0_sel:WORD_1 src1_sel:DWORD
	v_lshrrev_b32_e32 v10, 16, v12
	v_cmp_ne_u16_e32 vcc, 0, v21
	v_mov_b32_e32 v19, 0
	v_mov_b32_e32 v20, 0
	s_and_saveexec_b64 s[2:3], vcc
	s_cbranch_execz .LBB835_563
; %bb.558:
	s_movk_i32 s7, 0x80
	v_cmp_ne_u16_e32 vcc, s7, v21
	v_mov_b32_e32 v20, 0xffff8000
	s_and_saveexec_b64 s[8:9], vcc
	s_cbranch_execz .LBB835_562
; %bb.559:
	v_bfe_u32 v21, v12, 16, 7
	s_movk_i32 s7, 0x7f
	v_cmp_ne_u32_e32 vcc, s7, v21
	v_mov_b32_e32 v20, 0x7f80
	s_and_saveexec_b64 s[10:11], vcc
	s_cbranch_execz .LBB835_561
; %bb.560:
	v_and_b32_e32 v20, 7, v10
	v_ffbh_u32_e32 v24, v20
	v_min_u32_e32 v27, 32, v24
	v_subrev_u32_e32 v24, 28, v27
	v_lshlrev_b64 v[24:25], v24, v[10:11]
	v_lshrrev_b32_e32 v23, 3, v21
	v_sub_u32_e32 v10, 29, v27
	v_and_b32_e32 v24, 7, v24
	v_cmp_gt_u32_e32 vcc, 8, v21
	v_mov_b32_e32 v21, 24
	v_cndmask_b32_e32 v10, v23, v10, vcc
	v_cndmask_b32_e32 v20, v20, v24, vcc
	v_lshlrev_b32_sdwa v21, v21, v12 dst_sel:DWORD dst_unused:UNUSED_PAD src0_sel:DWORD src1_sel:WORD_1
	v_bfrev_b32_e32 v23, 60
	v_lshlrev_b32_e32 v20, 20, v20
	v_and_b32_e32 v21, 0x80000000, v21
	v_lshl_add_u32 v10, v10, 23, v23
	v_or3_b32 v10, v21, v10, v20
	v_lshrrev_b32_e32 v20, 16, v10
.LBB835_561:
	s_or_b64 exec, exec, s[10:11]
.LBB835_562:
	s_or_b64 exec, exec, s[8:9]
.LBB835_563:
	s_or_b64 exec, exec, s[2:3]
	s_mov_b32 s2, 0xffffff
	v_cmp_lt_u32_e32 vcc, s2, v12
	s_and_saveexec_b64 s[2:3], vcc
	s_cbranch_execz .LBB835_569
; %bb.564:
	v_lshrrev_b32_e32 v10, 24, v12
	s_movk_i32 s7, 0x80
	v_cmp_ne_u32_e32 vcc, s7, v10
	v_mov_b32_e32 v19, 0xffff8000
	s_and_saveexec_b64 s[8:9], vcc
	s_cbranch_execz .LBB835_568
; %bb.565:
	v_bfe_u32 v12, v12, 24, 7
	s_movk_i32 s7, 0x7f
	v_cmp_ne_u32_e32 vcc, s7, v12
	v_mov_b32_e32 v19, 0x7f80
	s_and_saveexec_b64 s[10:11], vcc
	s_cbranch_execz .LBB835_567
; %bb.566:
	v_and_b32_e32 v19, 7, v10
	v_ffbh_u32_e32 v23, v19
	v_min_u32_e32 v23, 32, v23
	v_subrev_u32_e32 v24, 28, v23
	v_lshlrev_b64 v[24:25], v24, v[10:11]
	v_lshrrev_b32_e32 v21, 3, v12
	v_sub_u32_e32 v23, 29, v23
	v_and_b32_e32 v24, 7, v24
	v_cmp_gt_u32_e32 vcc, 8, v12
	v_cndmask_b32_e32 v12, v21, v23, vcc
	v_cndmask_b32_e32 v19, v19, v24, vcc
	v_lshlrev_b32_e32 v10, 24, v10
	v_bfrev_b32_e32 v21, 60
	v_lshlrev_b32_e32 v19, 20, v19
	v_and_b32_e32 v10, 0x80000000, v10
	v_lshl_add_u32 v12, v12, 23, v21
	v_or3_b32 v10, v10, v12, v19
	v_lshrrev_b32_e32 v19, 16, v10
.LBB835_567:
	s_or_b64 exec, exec, s[10:11]
.LBB835_568:
	s_or_b64 exec, exec, s[8:9]
.LBB835_569:
	s_or_b64 exec, exec, s[2:3]
	v_mov_b32_e32 v12, 0
	v_cmp_ne_u16_sdwa s[8:9], v13, v12 src0_sel:BYTE_0 src1_sel:DWORD
	v_mov_b32_e32 v21, 0
	s_and_saveexec_b64 s[2:3], s[8:9]
	s_cbranch_execz .LBB835_575
; %bb.570:
	s_movk_i32 s7, 0x80
	v_cmp_ne_u16_sdwa s[10:11], v13, s7 src0_sel:BYTE_0 src1_sel:DWORD
	v_mov_b32_e32 v21, 0xffff8000
	s_and_saveexec_b64 s[8:9], s[10:11]
	s_cbranch_execz .LBB835_574
; %bb.571:
	s_movk_i32 s7, 0x7f
	v_and_b32_e32 v10, 0x7f, v13
	v_cmp_ne_u32_e32 vcc, s7, v10
	v_mov_b32_e32 v21, 0x7f80
	s_and_saveexec_b64 s[10:11], vcc
	s_cbranch_execz .LBB835_573
; %bb.572:
	v_and_b32_e32 v21, 7, v13
	v_ffbh_u32_e32 v25, v21
	v_min_u32_e32 v27, 32, v25
	v_mov_b32_e32 v24, v13
	v_subrev_u32_e32 v25, 28, v27
	v_lshlrev_b64 v[24:25], v25, v[24:25]
	v_lshrrev_b32_e32 v23, 3, v10
	v_sub_u32_e32 v25, 29, v27
	v_and_b32_e32 v24, 7, v24
	v_cmp_gt_u32_e32 vcc, 8, v10
	v_cndmask_b32_e32 v10, v23, v25, vcc
	v_cndmask_b32_e32 v21, v21, v24, vcc
	v_lshlrev_b32_e32 v23, 24, v13
	v_bfrev_b32_e32 v24, 60
	v_lshlrev_b32_e32 v21, 20, v21
	v_and_b32_e32 v23, 0x80000000, v23
	v_lshl_add_u32 v10, v10, 23, v24
	v_or3_b32 v10, v23, v10, v21
	v_lshrrev_b32_e32 v21, 16, v10
.LBB835_573:
	s_or_b64 exec, exec, s[10:11]
.LBB835_574:
	s_or_b64 exec, exec, s[8:9]
.LBB835_575:
	s_or_b64 exec, exec, s[2:3]
	v_lshrrev_b16_e32 v10, 8, v13
	v_cmp_ne_u16_e32 vcc, 0, v10
	s_and_saveexec_b64 s[2:3], vcc
	s_cbranch_execz .LBB835_581
; %bb.576:
	s_movk_i32 s7, 0x80
	v_cmp_ne_u16_e32 vcc, s7, v10
	v_mov_b32_e32 v12, 0xffff8000
	s_and_saveexec_b64 s[8:9], vcc
	s_cbranch_execz .LBB835_580
; %bb.577:
	s_movk_i32 s7, 0x7f
	v_and_b32_e32 v23, 0x7f, v10
	v_cmp_ne_u32_e32 vcc, s7, v23
	v_mov_b32_e32 v12, 0x7f80
	s_and_saveexec_b64 s[10:11], vcc
	s_cbranch_execz .LBB835_579
; %bb.578:
	v_and_b32_e32 v12, 7, v10
	v_ffbh_u32_e32 v24, v12
	v_min_u32_e32 v28, 32, v24
	v_subrev_u32_e32 v24, 28, v28
	v_lshlrev_b64 v[24:25], v24, v[10:11]
	v_lshrrev_b32_e32 v27, 3, v23
	v_sub_u32_e32 v10, 29, v28
	v_and_b32_e32 v24, 7, v24
	v_cmp_gt_u32_e32 vcc, 8, v23
	v_cndmask_b32_e32 v10, v27, v10, vcc
	v_cndmask_b32_e32 v12, v12, v24, vcc
	v_lshlrev_b32_e32 v23, 16, v13
	v_bfrev_b32_e32 v24, 60
	v_lshlrev_b32_e32 v12, 20, v12
	v_and_b32_e32 v23, 0x80000000, v23
	v_lshl_add_u32 v10, v10, 23, v24
	v_or3_b32 v10, v23, v10, v12
	v_lshrrev_b32_e32 v12, 16, v10
.LBB835_579:
	s_or_b64 exec, exec, s[10:11]
.LBB835_580:
	s_or_b64 exec, exec, s[8:9]
.LBB835_581:
	s_or_b64 exec, exec, s[2:3]
	s_movk_i32 s2, 0xff
	v_and_b32_sdwa v25, v13, s2 dst_sel:DWORD dst_unused:UNUSED_PAD src0_sel:WORD_1 src1_sel:DWORD
	v_lshrrev_b32_e32 v10, 16, v13
	v_cmp_ne_u16_e32 vcc, 0, v25
	v_mov_b32_e32 v23, 0
	v_mov_b32_e32 v24, 0
	s_and_saveexec_b64 s[2:3], vcc
	s_cbranch_execz .LBB835_587
; %bb.582:
	s_movk_i32 s7, 0x80
	v_cmp_ne_u16_e32 vcc, s7, v25
	v_mov_b32_e32 v24, 0xffff8000
	s_and_saveexec_b64 s[8:9], vcc
	s_cbranch_execz .LBB835_586
; %bb.583:
	v_bfe_u32 v25, v13, 16, 7
	s_movk_i32 s7, 0x7f
	v_cmp_ne_u32_e32 vcc, s7, v25
	v_mov_b32_e32 v24, 0x7f80
	s_and_saveexec_b64 s[10:11], vcc
	s_cbranch_execz .LBB835_585
; %bb.584:
	v_and_b32_e32 v24, 7, v10
	v_ffbh_u32_e32 v28, v24
	v_min_u32_e32 v30, 32, v28
	v_subrev_u32_e32 v28, 28, v30
	v_lshlrev_b64 v[28:29], v28, v[10:11]
	v_lshrrev_b32_e32 v27, 3, v25
	v_sub_u32_e32 v10, 29, v30
	v_and_b32_e32 v28, 7, v28
	v_cmp_gt_u32_e32 vcc, 8, v25
	v_mov_b32_e32 v25, 24
	v_cndmask_b32_e32 v10, v27, v10, vcc
	v_cndmask_b32_e32 v24, v24, v28, vcc
	v_lshlrev_b32_sdwa v25, v25, v13 dst_sel:DWORD dst_unused:UNUSED_PAD src0_sel:DWORD src1_sel:WORD_1
	v_bfrev_b32_e32 v27, 60
	v_lshlrev_b32_e32 v24, 20, v24
	v_and_b32_e32 v25, 0x80000000, v25
	v_lshl_add_u32 v10, v10, 23, v27
	v_or3_b32 v10, v25, v10, v24
	v_lshrrev_b32_e32 v24, 16, v10
.LBB835_585:
	s_or_b64 exec, exec, s[10:11]
.LBB835_586:
	s_or_b64 exec, exec, s[8:9]
.LBB835_587:
	s_or_b64 exec, exec, s[2:3]
	s_mov_b32 s2, 0xffffff
	v_cmp_lt_u32_e32 vcc, s2, v13
	s_and_saveexec_b64 s[2:3], vcc
	s_cbranch_execz .LBB835_593
; %bb.588:
	v_lshrrev_b32_e32 v10, 24, v13
	s_movk_i32 s7, 0x80
	v_cmp_ne_u32_e32 vcc, s7, v10
	v_mov_b32_e32 v23, 0xffff8000
	s_and_saveexec_b64 s[8:9], vcc
	s_cbranch_execz .LBB835_592
; %bb.589:
	v_bfe_u32 v13, v13, 24, 7
	s_movk_i32 s7, 0x7f
	v_cmp_ne_u32_e32 vcc, s7, v13
	v_mov_b32_e32 v23, 0x7f80
	s_and_saveexec_b64 s[10:11], vcc
	s_cbranch_execz .LBB835_591
; %bb.590:
	v_and_b32_e32 v23, 7, v10
	v_ffbh_u32_e32 v27, v23
	v_min_u32_e32 v27, 32, v27
	v_subrev_u32_e32 v28, 28, v27
	v_lshlrev_b64 v[28:29], v28, v[10:11]
	v_lshrrev_b32_e32 v25, 3, v13
	v_sub_u32_e32 v27, 29, v27
	v_and_b32_e32 v28, 7, v28
	v_cmp_gt_u32_e32 vcc, 8, v13
	v_cndmask_b32_e32 v13, v25, v27, vcc
	v_cndmask_b32_e32 v23, v23, v28, vcc
	v_lshlrev_b32_e32 v10, 24, v10
	v_bfrev_b32_e32 v25, 60
	v_lshlrev_b32_e32 v23, 20, v23
	v_and_b32_e32 v10, 0x80000000, v10
	v_lshl_add_u32 v13, v13, 23, v25
	v_or3_b32 v10, v10, v13, v23
	v_lshrrev_b32_e32 v23, 16, v10
.LBB835_591:
	s_or_b64 exec, exec, s[10:11]
.LBB835_592:
	s_or_b64 exec, exec, s[8:9]
.LBB835_593:
	s_or_b64 exec, exec, s[2:3]
	s_mov_b32 s2, 0x5040100
	v_perm_b32 v19, v19, v20, s2
	v_perm_b32 v18, v11, v18, s2
	ds_read_b128 v[28:31], v22 offset:2064
	v_perm_b32 v11, v23, v24, s2
	v_perm_b32 v10, v12, v21, s2
	s_waitcnt lgkmcnt(0)
	v_mfma_f32_16x16x16bf16_1k v[32:35], v[18:19], v[28:29], v[14:17]
	s_nop 6
	v_mov_b32_e32 v15, 0
	s_waitcnt vmcnt(1)
	v_cmp_ne_u16_sdwa s[8:9], v6, v15 src0_sel:BYTE_0 src1_sel:DWORD
	v_mfma_f32_16x16x16bf16_1k v[10:13], v[10:11], v[30:31], v[32:35]
	v_mov_b32_e32 v16, 0
	s_and_saveexec_b64 s[2:3], s[8:9]
	s_cbranch_execz .LBB835_599
; %bb.594:
	s_movk_i32 s7, 0x80
	v_cmp_ne_u16_sdwa s[10:11], v6, s7 src0_sel:BYTE_0 src1_sel:DWORD
	v_mov_b32_e32 v16, 0xffff8000
	s_and_saveexec_b64 s[8:9], s[10:11]
	s_cbranch_execz .LBB835_598
; %bb.595:
	s_movk_i32 s7, 0x7f
	v_and_b32_e32 v14, 0x7f, v6
	v_cmp_ne_u32_e32 vcc, s7, v14
	v_mov_b32_e32 v16, 0x7f80
	s_and_saveexec_b64 s[10:11], vcc
	s_cbranch_execz .LBB835_597
; %bb.596:
	v_and_b32_e32 v18, 7, v6
	v_ffbh_u32_e32 v16, v18
	v_min_u32_e32 v20, 32, v16
	v_subrev_u32_e32 v16, 28, v20
	v_lshlrev_b64 v[16:17], v16, v[6:7]
	v_lshrrev_b32_e32 v19, 3, v14
	v_sub_u32_e32 v17, 29, v20
	v_and_b32_e32 v16, 7, v16
	v_cmp_gt_u32_e32 vcc, 8, v14
	v_cndmask_b32_e32 v14, v19, v17, vcc
	v_cndmask_b32_e32 v16, v18, v16, vcc
	v_lshlrev_b32_e32 v17, 24, v6
	v_bfrev_b32_e32 v18, 60
	v_lshlrev_b32_e32 v16, 20, v16
	v_and_b32_e32 v17, 0x80000000, v17
	v_lshl_add_u32 v14, v14, 23, v18
	v_or3_b32 v14, v17, v14, v16
	v_lshrrev_b32_e32 v16, 16, v14
.LBB835_597:
	s_or_b64 exec, exec, s[10:11]
.LBB835_598:
	s_or_b64 exec, exec, s[8:9]
.LBB835_599:
	s_or_b64 exec, exec, s[2:3]
	v_lshrrev_b16_e32 v14, 8, v6
	v_cmp_ne_u16_e32 vcc, 0, v14
	s_and_saveexec_b64 s[2:3], vcc
	s_cbranch_execz .LBB835_605
; %bb.600:
	s_movk_i32 s7, 0x80
	v_cmp_ne_u16_e32 vcc, s7, v14
	v_mov_b32_e32 v15, 0xffff8000
	s_and_saveexec_b64 s[8:9], vcc
	s_cbranch_execz .LBB835_604
; %bb.601:
	s_movk_i32 s7, 0x7f
	v_and_b32_e32 v17, 0x7f, v14
	v_cmp_ne_u32_e32 vcc, s7, v17
	v_mov_b32_e32 v15, 0x7f80
	s_and_saveexec_b64 s[10:11], vcc
	s_cbranch_execz .LBB835_603
; %bb.602:
	v_and_b32_e32 v18, 7, v14
	v_ffbh_u32_e32 v15, v18
	v_min_u32_e32 v20, 32, v15
	v_subrev_u32_e32 v15, 28, v20
	v_lshlrev_b64 v[14:15], v15, v[14:15]
	v_lshrrev_b32_e32 v19, 3, v17
	v_sub_u32_e32 v15, 29, v20
	v_and_b32_e32 v14, 7, v14
	v_cmp_gt_u32_e32 vcc, 8, v17
	v_cndmask_b32_e32 v15, v19, v15, vcc
	v_cndmask_b32_e32 v14, v18, v14, vcc
	v_lshlrev_b32_e32 v17, 16, v6
	v_bfrev_b32_e32 v18, 60
	v_lshlrev_b32_e32 v14, 20, v14
	v_and_b32_e32 v17, 0x80000000, v17
	v_lshl_add_u32 v15, v15, 23, v18
	v_or3_b32 v14, v17, v15, v14
	v_lshrrev_b32_e32 v15, 16, v14
.LBB835_603:
	s_or_b64 exec, exec, s[10:11]
.LBB835_604:
	s_or_b64 exec, exec, s[8:9]
.LBB835_605:
	s_or_b64 exec, exec, s[2:3]
	s_movk_i32 s2, 0xff
	v_and_b32_sdwa v19, v6, s2 dst_sel:DWORD dst_unused:UNUSED_PAD src0_sel:WORD_1 src1_sel:DWORD
	v_lshrrev_b32_e32 v14, 16, v6
	v_cmp_ne_u16_e32 vcc, 0, v19
	v_mov_b32_e32 v17, 0
	v_mov_b32_e32 v18, 0
	s_and_saveexec_b64 s[2:3], vcc
	s_cbranch_execz .LBB835_611
; %bb.606:
	s_movk_i32 s7, 0x80
	v_cmp_ne_u16_e32 vcc, s7, v19
	v_mov_b32_e32 v18, 0xffff8000
	s_and_saveexec_b64 s[8:9], vcc
	s_cbranch_execz .LBB835_610
; %bb.607:
	v_bfe_u32 v19, v6, 16, 7
	s_movk_i32 s7, 0x7f
	v_cmp_ne_u32_e32 vcc, s7, v19
	v_mov_b32_e32 v18, 0x7f80
	s_and_saveexec_b64 s[10:11], vcc
	s_cbranch_execz .LBB835_609
; %bb.608:
	v_and_b32_e32 v18, 7, v14
	v_ffbh_u32_e32 v20, v18
	v_min_u32_e32 v24, 32, v20
	v_subrev_u32_e32 v20, 28, v24
	v_lshlrev_b64 v[20:21], v20, v[14:15]
	v_lshrrev_b32_e32 v23, 3, v19
	v_sub_u32_e32 v14, 29, v24
	v_and_b32_e32 v20, 7, v20
	v_cmp_gt_u32_e32 vcc, 8, v19
	v_mov_b32_e32 v19, 24
	v_cndmask_b32_e32 v14, v23, v14, vcc
	v_cndmask_b32_e32 v18, v18, v20, vcc
	v_lshlrev_b32_sdwa v19, v19, v6 dst_sel:DWORD dst_unused:UNUSED_PAD src0_sel:DWORD src1_sel:WORD_1
	v_bfrev_b32_e32 v20, 60
	v_lshlrev_b32_e32 v18, 20, v18
	v_and_b32_e32 v19, 0x80000000, v19
	v_lshl_add_u32 v14, v14, 23, v20
	v_or3_b32 v14, v19, v14, v18
	v_lshrrev_b32_e32 v18, 16, v14
.LBB835_609:
	s_or_b64 exec, exec, s[10:11]
.LBB835_610:
	s_or_b64 exec, exec, s[8:9]
.LBB835_611:
	s_or_b64 exec, exec, s[2:3]
	s_mov_b32 s2, 0xffffff
	v_cmp_lt_u32_e32 vcc, s2, v6
	s_and_saveexec_b64 s[2:3], vcc
	s_cbranch_execz .LBB835_617
; %bb.612:
	v_lshrrev_b32_e32 v14, 24, v6
	s_movk_i32 s7, 0x80
	v_cmp_ne_u32_e32 vcc, s7, v14
	v_mov_b32_e32 v17, 0xffff8000
	s_and_saveexec_b64 s[8:9], vcc
	s_cbranch_execz .LBB835_616
; %bb.613:
	v_bfe_u32 v6, v6, 24, 7
	s_movk_i32 s7, 0x7f
	v_cmp_ne_u32_e32 vcc, s7, v6
	v_mov_b32_e32 v17, 0x7f80
	s_and_saveexec_b64 s[10:11], vcc
	s_cbranch_execz .LBB835_615
; %bb.614:
	v_and_b32_e32 v17, 7, v14
	v_ffbh_u32_e32 v20, v17
	v_min_u32_e32 v23, 32, v20
	v_subrev_u32_e32 v20, 28, v23
	v_lshlrev_b64 v[20:21], v20, v[14:15]
	v_lshrrev_b32_e32 v19, 3, v6
	v_sub_u32_e32 v21, 29, v23
	v_and_b32_e32 v20, 7, v20
	v_cmp_gt_u32_e32 vcc, 8, v6
	v_cndmask_b32_e32 v6, v19, v21, vcc
	v_cndmask_b32_e32 v17, v17, v20, vcc
	v_lshlrev_b32_e32 v14, 24, v14
	v_bfrev_b32_e32 v19, 60
	v_lshlrev_b32_e32 v17, 20, v17
	v_and_b32_e32 v14, 0x80000000, v14
	v_lshl_add_u32 v6, v6, 23, v19
	v_or3_b32 v6, v14, v6, v17
	v_lshrrev_b32_e32 v17, 16, v6
.LBB835_615:
	s_or_b64 exec, exec, s[10:11]
.LBB835_616:
	s_or_b64 exec, exec, s[8:9]
.LBB835_617:
	s_or_b64 exec, exec, s[2:3]
	v_mov_b32_e32 v14, 0
	v_cmp_ne_u16_sdwa s[8:9], v7, v14 src0_sel:BYTE_0 src1_sel:DWORD
	v_mov_b32_e32 v19, 0
	s_and_saveexec_b64 s[2:3], s[8:9]
	s_cbranch_execz .LBB835_623
; %bb.618:
	s_movk_i32 s7, 0x80
	v_cmp_ne_u16_sdwa s[10:11], v7, s7 src0_sel:BYTE_0 src1_sel:DWORD
	v_mov_b32_e32 v19, 0xffff8000
	s_and_saveexec_b64 s[8:9], s[10:11]
	s_cbranch_execz .LBB835_622
; %bb.619:
	s_movk_i32 s7, 0x7f
	v_and_b32_e32 v6, 0x7f, v7
	v_cmp_ne_u32_e32 vcc, s7, v6
	v_mov_b32_e32 v19, 0x7f80
	s_and_saveexec_b64 s[10:11], vcc
	s_cbranch_execz .LBB835_621
; %bb.620:
	v_and_b32_e32 v19, 7, v7
	v_ffbh_u32_e32 v21, v19
	v_min_u32_e32 v24, 32, v21
	v_mov_b32_e32 v20, v7
	v_subrev_u32_e32 v21, 28, v24
	v_lshlrev_b64 v[20:21], v21, v[20:21]
	v_lshrrev_b32_e32 v23, 3, v6
	v_sub_u32_e32 v21, 29, v24
	v_and_b32_e32 v20, 7, v20
	v_cmp_gt_u32_e32 vcc, 8, v6
	v_cndmask_b32_e32 v6, v23, v21, vcc
	v_cndmask_b32_e32 v19, v19, v20, vcc
	v_lshlrev_b32_e32 v20, 24, v7
	v_bfrev_b32_e32 v21, 60
	v_lshlrev_b32_e32 v19, 20, v19
	v_and_b32_e32 v20, 0x80000000, v20
	v_lshl_add_u32 v6, v6, 23, v21
	v_or3_b32 v6, v20, v6, v19
	v_lshrrev_b32_e32 v19, 16, v6
.LBB835_621:
	s_or_b64 exec, exec, s[10:11]
.LBB835_622:
	s_or_b64 exec, exec, s[8:9]
.LBB835_623:
	s_or_b64 exec, exec, s[2:3]
	v_lshrrev_b16_e32 v6, 8, v7
	v_cmp_ne_u16_e32 vcc, 0, v6
	s_and_saveexec_b64 s[2:3], vcc
	s_cbranch_execz .LBB835_629
; %bb.624:
	s_movk_i32 s7, 0x80
	v_cmp_ne_u16_e32 vcc, s7, v6
	v_mov_b32_e32 v14, 0xffff8000
	s_and_saveexec_b64 s[8:9], vcc
	s_cbranch_execz .LBB835_628
; %bb.625:
	s_movk_i32 s7, 0x7f
	v_and_b32_e32 v20, 0x7f, v6
	v_cmp_ne_u32_e32 vcc, s7, v20
	v_mov_b32_e32 v14, 0x7f80
	s_and_saveexec_b64 s[10:11], vcc
	s_cbranch_execz .LBB835_627
; %bb.626:
	v_and_b32_e32 v14, 7, v6
	v_ffbh_u32_e32 v23, v14
	v_min_u32_e32 v23, 32, v23
	v_subrev_u32_e32 v24, 28, v23
	v_lshlrev_b64 v[24:25], v24, v[6:7]
	v_lshrrev_b32_e32 v21, 3, v20
	v_sub_u32_e32 v6, 29, v23
	v_and_b32_e32 v23, 7, v24
	v_cmp_gt_u32_e32 vcc, 8, v20
	v_cndmask_b32_e32 v6, v21, v6, vcc
	v_cndmask_b32_e32 v14, v14, v23, vcc
	v_lshlrev_b32_e32 v20, 16, v7
	v_bfrev_b32_e32 v21, 60
	v_lshlrev_b32_e32 v14, 20, v14
	v_and_b32_e32 v20, 0x80000000, v20
	v_lshl_add_u32 v6, v6, 23, v21
	v_or3_b32 v6, v20, v6, v14
	v_lshrrev_b32_e32 v14, 16, v6
.LBB835_627:
	s_or_b64 exec, exec, s[10:11]
.LBB835_628:
	s_or_b64 exec, exec, s[8:9]
.LBB835_629:
	s_or_b64 exec, exec, s[2:3]
	s_movk_i32 s2, 0xff
	v_and_b32_sdwa v23, v7, s2 dst_sel:DWORD dst_unused:UNUSED_PAD src0_sel:WORD_1 src1_sel:DWORD
	v_lshrrev_b32_e32 v6, 16, v7
	v_cmp_ne_u16_e32 vcc, 0, v23
	v_mov_b32_e32 v20, 0
	v_mov_b32_e32 v21, 0
	s_and_saveexec_b64 s[2:3], vcc
	s_cbranch_execz .LBB835_635
; %bb.630:
	s_movk_i32 s7, 0x80
	v_cmp_ne_u16_e32 vcc, s7, v23
	v_mov_b32_e32 v21, 0xffff8000
	s_and_saveexec_b64 s[8:9], vcc
	s_cbranch_execz .LBB835_634
; %bb.631:
	v_bfe_u32 v23, v7, 16, 7
	s_movk_i32 s7, 0x7f
	v_cmp_ne_u32_e32 vcc, s7, v23
	v_mov_b32_e32 v21, 0x7f80
	s_and_saveexec_b64 s[10:11], vcc
	s_cbranch_execz .LBB835_633
; %bb.632:
	v_and_b32_e32 v21, 7, v6
	v_ffbh_u32_e32 v24, v21
	v_min_u32_e32 v28, 32, v24
	v_subrev_u32_e32 v24, 28, v28
	v_lshlrev_b64 v[24:25], v24, v[6:7]
	v_lshrrev_b32_e32 v27, 3, v23
	v_sub_u32_e32 v6, 29, v28
	v_and_b32_e32 v24, 7, v24
	v_cmp_gt_u32_e32 vcc, 8, v23
	v_mov_b32_e32 v23, 24
	v_cndmask_b32_e32 v6, v27, v6, vcc
	v_cndmask_b32_e32 v21, v21, v24, vcc
	v_lshlrev_b32_sdwa v23, v23, v7 dst_sel:DWORD dst_unused:UNUSED_PAD src0_sel:DWORD src1_sel:WORD_1
	v_bfrev_b32_e32 v24, 60
	v_lshlrev_b32_e32 v21, 20, v21
	v_and_b32_e32 v23, 0x80000000, v23
	v_lshl_add_u32 v6, v6, 23, v24
	v_or3_b32 v6, v23, v6, v21
	v_lshrrev_b32_e32 v21, 16, v6
.LBB835_633:
	s_or_b64 exec, exec, s[10:11]
.LBB835_634:
	s_or_b64 exec, exec, s[8:9]
.LBB835_635:
	s_or_b64 exec, exec, s[2:3]
	s_mov_b32 s2, 0xffffff
	v_cmp_lt_u32_e32 vcc, s2, v7
	s_and_saveexec_b64 s[2:3], vcc
	s_cbranch_execz .LBB835_641
; %bb.636:
	v_lshrrev_b32_e32 v6, 24, v7
	s_movk_i32 s7, 0x80
	v_cmp_ne_u32_e32 vcc, s7, v6
	v_mov_b32_e32 v20, 0xffff8000
	s_and_saveexec_b64 s[8:9], vcc
	s_cbranch_execz .LBB835_640
; %bb.637:
	v_bfe_u32 v7, v7, 24, 7
	s_movk_i32 s7, 0x7f
	v_cmp_ne_u32_e32 vcc, s7, v7
	v_mov_b32_e32 v20, 0x7f80
	s_and_saveexec_b64 s[10:11], vcc
	s_cbranch_execz .LBB835_639
; %bb.638:
	v_and_b32_e32 v20, 7, v6
	v_ffbh_u32_e32 v24, v20
	v_min_u32_e32 v27, 32, v24
	v_subrev_u32_e32 v24, 28, v27
	v_lshlrev_b64 v[24:25], v24, v[6:7]
	v_lshrrev_b32_e32 v23, 3, v7
	v_sub_u32_e32 v25, 29, v27
	v_and_b32_e32 v24, 7, v24
	v_cmp_gt_u32_e32 vcc, 8, v7
	v_cndmask_b32_e32 v7, v23, v25, vcc
	v_cndmask_b32_e32 v20, v20, v24, vcc
	v_lshlrev_b32_e32 v6, 24, v6
	v_bfrev_b32_e32 v23, 60
	v_lshlrev_b32_e32 v20, 20, v20
	v_and_b32_e32 v6, 0x80000000, v6
	v_lshl_add_u32 v7, v7, 23, v23
	v_or3_b32 v6, v6, v7, v20
	v_lshrrev_b32_e32 v20, 16, v6
.LBB835_639:
	s_or_b64 exec, exec, s[10:11]
.LBB835_640:
	s_or_b64 exec, exec, s[8:9]
.LBB835_641:
	s_or_b64 exec, exec, s[2:3]
	s_mov_b32 s2, 0x5040100
	v_perm_b32 v7, v17, v18, s2
	v_perm_b32 v6, v15, v16, s2
	ds_read_b128 v[28:31], v22 offset:4096
	v_perm_b32 v17, v20, v21, s2
	v_perm_b32 v16, v14, v19, s2
	s_waitcnt lgkmcnt(0)
	v_mfma_f32_16x16x16bf16_1k v[10:13], v[6:7], v[28:29], v[10:13]
	v_mov_b32_e32 v7, 0
	v_cmp_ne_u16_sdwa s[8:9], v8, v7 src0_sel:BYTE_0 src1_sel:DWORD
	v_mov_b32_e32 v14, 0
	v_mfma_f32_16x16x16bf16_1k v[10:13], v[16:17], v[30:31], v[10:13]
	s_and_saveexec_b64 s[2:3], s[8:9]
	s_cbranch_execz .LBB835_647
; %bb.642:
	s_movk_i32 s7, 0x80
	v_cmp_ne_u16_sdwa s[10:11], v8, s7 src0_sel:BYTE_0 src1_sel:DWORD
	v_mov_b32_e32 v14, 0xffff8000
	s_and_saveexec_b64 s[8:9], s[10:11]
	s_cbranch_execz .LBB835_646
; %bb.643:
	s_movk_i32 s7, 0x7f
	v_and_b32_e32 v6, 0x7f, v8
	v_cmp_ne_u32_e32 vcc, s7, v6
	v_mov_b32_e32 v14, 0x7f80
	s_and_saveexec_b64 s[10:11], vcc
	s_cbranch_execz .LBB835_645
; %bb.644:
	v_and_b32_e32 v16, 7, v8
	v_ffbh_u32_e32 v14, v16
	v_min_u32_e32 v18, 32, v14
	v_subrev_u32_e32 v14, 28, v18
	v_lshlrev_b64 v[14:15], v14, v[8:9]
	v_lshrrev_b32_e32 v17, 3, v6
	v_sub_u32_e32 v15, 29, v18
	v_and_b32_e32 v14, 7, v14
	v_cmp_gt_u32_e32 vcc, 8, v6
	v_cndmask_b32_e32 v6, v17, v15, vcc
	v_cndmask_b32_e32 v14, v16, v14, vcc
	v_lshlrev_b32_e32 v15, 24, v8
	v_bfrev_b32_e32 v16, 60
	v_lshlrev_b32_e32 v14, 20, v14
	v_and_b32_e32 v15, 0x80000000, v15
	v_lshl_add_u32 v6, v6, 23, v16
	v_or3_b32 v6, v15, v6, v14
	v_lshrrev_b32_e32 v14, 16, v6
.LBB835_645:
	s_or_b64 exec, exec, s[10:11]
.LBB835_646:
	s_or_b64 exec, exec, s[8:9]
.LBB835_647:
	s_or_b64 exec, exec, s[2:3]
	v_lshrrev_b16_e32 v6, 8, v8
	v_cmp_ne_u16_e32 vcc, 0, v6
	s_and_saveexec_b64 s[2:3], vcc
	s_cbranch_execz .LBB835_653
; %bb.648:
	s_movk_i32 s7, 0x80
	v_cmp_ne_u16_e32 vcc, s7, v6
	v_mov_b32_e32 v7, 0xffff8000
	s_and_saveexec_b64 s[8:9], vcc
	s_cbranch_execz .LBB835_652
; %bb.649:
	s_movk_i32 s7, 0x7f
	v_and_b32_e32 v15, 0x7f, v6
	v_cmp_ne_u32_e32 vcc, s7, v15
	v_mov_b32_e32 v7, 0x7f80
	s_and_saveexec_b64 s[10:11], vcc
	s_cbranch_execz .LBB835_651
; %bb.650:
	v_and_b32_e32 v16, 7, v6
	v_ffbh_u32_e32 v7, v16
	v_min_u32_e32 v18, 32, v7
	v_subrev_u32_e32 v7, 28, v18
	v_lshlrev_b64 v[6:7], v7, v[6:7]
	v_lshrrev_b32_e32 v17, 3, v15
	v_sub_u32_e32 v7, 29, v18
	v_and_b32_e32 v6, 7, v6
	v_cmp_gt_u32_e32 vcc, 8, v15
	v_cndmask_b32_e32 v7, v17, v7, vcc
	v_cndmask_b32_e32 v6, v16, v6, vcc
	v_lshlrev_b32_e32 v15, 16, v8
	v_bfrev_b32_e32 v16, 60
	v_lshlrev_b32_e32 v6, 20, v6
	v_and_b32_e32 v15, 0x80000000, v15
	v_lshl_add_u32 v7, v7, 23, v16
	v_or3_b32 v6, v15, v7, v6
	v_lshrrev_b32_e32 v7, 16, v6
.LBB835_651:
	s_or_b64 exec, exec, s[10:11]
.LBB835_652:
	s_or_b64 exec, exec, s[8:9]
.LBB835_653:
	s_or_b64 exec, exec, s[2:3]
	s_movk_i32 s2, 0xff
	v_and_b32_sdwa v17, v8, s2 dst_sel:DWORD dst_unused:UNUSED_PAD src0_sel:WORD_1 src1_sel:DWORD
	v_lshrrev_b32_e32 v6, 16, v8
	v_cmp_ne_u16_e32 vcc, 0, v17
	v_mov_b32_e32 v15, 0
	v_mov_b32_e32 v16, 0
	s_and_saveexec_b64 s[2:3], vcc
	s_cbranch_execz .LBB835_659
; %bb.654:
	s_movk_i32 s7, 0x80
	v_cmp_ne_u16_e32 vcc, s7, v17
	v_mov_b32_e32 v16, 0xffff8000
	s_and_saveexec_b64 s[8:9], vcc
	s_cbranch_execz .LBB835_658
; %bb.655:
	v_bfe_u32 v17, v8, 16, 7
	s_movk_i32 s7, 0x7f
	v_cmp_ne_u32_e32 vcc, s7, v17
	v_mov_b32_e32 v16, 0x7f80
	s_and_saveexec_b64 s[10:11], vcc
	s_cbranch_execz .LBB835_657
; %bb.656:
	v_and_b32_e32 v16, 7, v6
	v_ffbh_u32_e32 v18, v16
	v_min_u32_e32 v21, 32, v18
	v_subrev_u32_e32 v18, 28, v21
	v_lshlrev_b64 v[18:19], v18, v[6:7]
	v_lshrrev_b32_e32 v20, 3, v17
	v_sub_u32_e32 v6, 29, v21
	v_and_b32_e32 v18, 7, v18
	v_cmp_gt_u32_e32 vcc, 8, v17
	v_mov_b32_e32 v17, 24
	v_cndmask_b32_e32 v6, v20, v6, vcc
	v_cndmask_b32_e32 v16, v16, v18, vcc
	v_lshlrev_b32_sdwa v17, v17, v8 dst_sel:DWORD dst_unused:UNUSED_PAD src0_sel:DWORD src1_sel:WORD_1
	v_bfrev_b32_e32 v18, 60
	v_lshlrev_b32_e32 v16, 20, v16
	v_and_b32_e32 v17, 0x80000000, v17
	v_lshl_add_u32 v6, v6, 23, v18
	v_or3_b32 v6, v17, v6, v16
	v_lshrrev_b32_e32 v16, 16, v6
.LBB835_657:
	s_or_b64 exec, exec, s[10:11]
.LBB835_658:
	s_or_b64 exec, exec, s[8:9]
.LBB835_659:
	s_or_b64 exec, exec, s[2:3]
	s_mov_b32 s2, 0xffffff
	v_cmp_lt_u32_e32 vcc, s2, v8
	s_and_saveexec_b64 s[2:3], vcc
	s_cbranch_execz .LBB835_665
; %bb.660:
	v_lshrrev_b32_e32 v6, 24, v8
	s_movk_i32 s7, 0x80
	v_cmp_ne_u32_e32 vcc, s7, v6
	v_mov_b32_e32 v15, 0xffff8000
	s_and_saveexec_b64 s[8:9], vcc
	s_cbranch_execz .LBB835_664
; %bb.661:
	v_bfe_u32 v8, v8, 24, 7
	s_movk_i32 s7, 0x7f
	v_cmp_ne_u32_e32 vcc, s7, v8
	v_mov_b32_e32 v15, 0x7f80
	s_and_saveexec_b64 s[10:11], vcc
	s_cbranch_execz .LBB835_663
; %bb.662:
	v_and_b32_e32 v15, 7, v6
	v_ffbh_u32_e32 v18, v15
	v_min_u32_e32 v20, 32, v18
	v_subrev_u32_e32 v18, 28, v20
	v_lshlrev_b64 v[18:19], v18, v[6:7]
	v_lshrrev_b32_e32 v17, 3, v8
	v_sub_u32_e32 v19, 29, v20
	v_and_b32_e32 v18, 7, v18
	v_cmp_gt_u32_e32 vcc, 8, v8
	v_cndmask_b32_e32 v8, v17, v19, vcc
	v_cndmask_b32_e32 v15, v15, v18, vcc
	v_lshlrev_b32_e32 v6, 24, v6
	v_bfrev_b32_e32 v17, 60
	v_lshlrev_b32_e32 v15, 20, v15
	v_and_b32_e32 v6, 0x80000000, v6
	v_lshl_add_u32 v8, v8, 23, v17
	v_or3_b32 v6, v6, v8, v15
	v_lshrrev_b32_e32 v15, 16, v6
.LBB835_663:
	s_or_b64 exec, exec, s[10:11]
.LBB835_664:
	s_or_b64 exec, exec, s[8:9]
.LBB835_665:
	s_or_b64 exec, exec, s[2:3]
	v_mov_b32_e32 v8, 0
	v_cmp_ne_u16_sdwa s[8:9], v9, v8 src0_sel:BYTE_0 src1_sel:DWORD
	v_mov_b32_e32 v17, 0
	s_and_saveexec_b64 s[2:3], s[8:9]
	s_cbranch_execz .LBB835_671
; %bb.666:
	s_movk_i32 s7, 0x80
	v_cmp_ne_u16_sdwa s[10:11], v9, s7 src0_sel:BYTE_0 src1_sel:DWORD
	v_mov_b32_e32 v17, 0xffff8000
	s_and_saveexec_b64 s[8:9], s[10:11]
	s_cbranch_execz .LBB835_670
; %bb.667:
	s_movk_i32 s7, 0x7f
	v_and_b32_e32 v6, 0x7f, v9
	v_cmp_ne_u32_e32 vcc, s7, v6
	v_mov_b32_e32 v17, 0x7f80
	s_and_saveexec_b64 s[10:11], vcc
	s_cbranch_execz .LBB835_669
; %bb.668:
	v_and_b32_e32 v17, 7, v9
	v_ffbh_u32_e32 v19, v17
	v_min_u32_e32 v21, 32, v19
	v_mov_b32_e32 v18, v9
	v_subrev_u32_e32 v19, 28, v21
	v_lshlrev_b64 v[18:19], v19, v[18:19]
	v_lshrrev_b32_e32 v20, 3, v6
	v_sub_u32_e32 v19, 29, v21
	v_and_b32_e32 v18, 7, v18
	v_cmp_gt_u32_e32 vcc, 8, v6
	v_cndmask_b32_e32 v6, v20, v19, vcc
	v_cndmask_b32_e32 v17, v17, v18, vcc
	v_lshlrev_b32_e32 v18, 24, v9
	v_bfrev_b32_e32 v19, 60
	v_lshlrev_b32_e32 v17, 20, v17
	v_and_b32_e32 v18, 0x80000000, v18
	v_lshl_add_u32 v6, v6, 23, v19
	v_or3_b32 v6, v18, v6, v17
	v_lshrrev_b32_e32 v17, 16, v6
.LBB835_669:
	s_or_b64 exec, exec, s[10:11]
.LBB835_670:
	s_or_b64 exec, exec, s[8:9]
.LBB835_671:
	s_or_b64 exec, exec, s[2:3]
	v_lshrrev_b16_e32 v6, 8, v9
	v_cmp_ne_u16_e32 vcc, 0, v6
	s_and_saveexec_b64 s[2:3], vcc
	s_cbranch_execz .LBB835_677
; %bb.672:
	s_movk_i32 s7, 0x80
	v_cmp_ne_u16_e32 vcc, s7, v6
	v_mov_b32_e32 v8, 0xffff8000
	s_and_saveexec_b64 s[8:9], vcc
	s_cbranch_execz .LBB835_676
; %bb.673:
	s_movk_i32 s7, 0x7f
	v_and_b32_e32 v18, 0x7f, v6
	v_cmp_ne_u32_e32 vcc, s7, v18
	v_mov_b32_e32 v8, 0x7f80
	s_and_saveexec_b64 s[10:11], vcc
	s_cbranch_execz .LBB835_675
; %bb.674:
	v_and_b32_e32 v8, 7, v6
	v_ffbh_u32_e32 v20, v8
	v_min_u32_e32 v23, 32, v20
	v_subrev_u32_e32 v20, 28, v23
	v_lshlrev_b64 v[20:21], v20, v[6:7]
	v_lshrrev_b32_e32 v19, 3, v18
	v_sub_u32_e32 v6, 29, v23
	v_and_b32_e32 v20, 7, v20
	v_cmp_gt_u32_e32 vcc, 8, v18
	v_cndmask_b32_e32 v6, v19, v6, vcc
	v_cndmask_b32_e32 v8, v8, v20, vcc
	v_lshlrev_b32_e32 v18, 16, v9
	v_bfrev_b32_e32 v19, 60
	v_lshlrev_b32_e32 v8, 20, v8
	v_and_b32_e32 v18, 0x80000000, v18
	v_lshl_add_u32 v6, v6, 23, v19
	v_or3_b32 v6, v18, v6, v8
	v_lshrrev_b32_e32 v8, 16, v6
.LBB835_675:
	s_or_b64 exec, exec, s[10:11]
.LBB835_676:
	s_or_b64 exec, exec, s[8:9]
.LBB835_677:
	s_or_b64 exec, exec, s[2:3]
	s_movk_i32 s2, 0xff
	v_and_b32_sdwa v20, v9, s2 dst_sel:DWORD dst_unused:UNUSED_PAD src0_sel:WORD_1 src1_sel:DWORD
	v_lshrrev_b32_e32 v6, 16, v9
	v_cmp_ne_u16_e32 vcc, 0, v20
	v_mov_b32_e32 v18, 0
	v_mov_b32_e32 v19, 0
	s_and_saveexec_b64 s[2:3], vcc
	s_cbranch_execz .LBB835_683
; %bb.678:
	s_movk_i32 s7, 0x80
	v_cmp_ne_u16_e32 vcc, s7, v20
	v_mov_b32_e32 v19, 0xffff8000
	s_and_saveexec_b64 s[8:9], vcc
	s_cbranch_execz .LBB835_682
; %bb.679:
	v_bfe_u32 v20, v9, 16, 7
	s_movk_i32 s7, 0x7f
	v_cmp_ne_u32_e32 vcc, s7, v20
	v_mov_b32_e32 v19, 0x7f80
	s_and_saveexec_b64 s[10:11], vcc
	s_cbranch_execz .LBB835_681
; %bb.680:
	v_and_b32_e32 v19, 7, v6
	v_ffbh_u32_e32 v23, v19
	v_min_u32_e32 v23, 32, v23
	v_subrev_u32_e32 v24, 28, v23
	v_lshlrev_b64 v[24:25], v24, v[6:7]
	v_lshrrev_b32_e32 v21, 3, v20
	v_sub_u32_e32 v6, 29, v23
	v_and_b32_e32 v23, 7, v24
	v_cmp_gt_u32_e32 vcc, 8, v20
	v_mov_b32_e32 v20, 24
	v_cndmask_b32_e32 v6, v21, v6, vcc
	v_cndmask_b32_e32 v19, v19, v23, vcc
	v_lshlrev_b32_sdwa v20, v20, v9 dst_sel:DWORD dst_unused:UNUSED_PAD src0_sel:DWORD src1_sel:WORD_1
	v_bfrev_b32_e32 v21, 60
	v_lshlrev_b32_e32 v19, 20, v19
	v_and_b32_e32 v20, 0x80000000, v20
	v_lshl_add_u32 v6, v6, 23, v21
	v_or3_b32 v6, v20, v6, v19
	v_lshrrev_b32_e32 v19, 16, v6
.LBB835_681:
	s_or_b64 exec, exec, s[10:11]
.LBB835_682:
	s_or_b64 exec, exec, s[8:9]
.LBB835_683:
	s_or_b64 exec, exec, s[2:3]
	s_mov_b32 s2, 0xffffff
	v_cmp_lt_u32_e32 vcc, s2, v9
	s_and_saveexec_b64 s[2:3], vcc
	s_cbranch_execz .LBB835_689
; %bb.684:
	v_lshrrev_b32_e32 v6, 24, v9
	s_movk_i32 s7, 0x80
	v_cmp_ne_u32_e32 vcc, s7, v6
	v_mov_b32_e32 v18, 0xffff8000
	s_and_saveexec_b64 s[8:9], vcc
	s_cbranch_execz .LBB835_688
; %bb.685:
	v_bfe_u32 v9, v9, 24, 7
	s_movk_i32 s7, 0x7f
	v_cmp_ne_u32_e32 vcc, s7, v9
	v_mov_b32_e32 v18, 0x7f80
	s_and_saveexec_b64 s[10:11], vcc
	s_cbranch_execz .LBB835_687
; %bb.686:
	v_and_b32_e32 v18, 7, v6
	v_ffbh_u32_e32 v20, v18
	v_min_u32_e32 v24, 32, v20
	v_subrev_u32_e32 v20, 28, v24
	v_lshlrev_b64 v[20:21], v20, v[6:7]
	v_lshrrev_b32_e32 v23, 3, v9
	v_sub_u32_e32 v21, 29, v24
	v_and_b32_e32 v20, 7, v20
	v_cmp_gt_u32_e32 vcc, 8, v9
	v_cndmask_b32_e32 v9, v23, v21, vcc
	v_cndmask_b32_e32 v18, v18, v20, vcc
	v_lshlrev_b32_e32 v6, 24, v6
	v_bfrev_b32_e32 v20, 60
	v_lshlrev_b32_e32 v18, 20, v18
	v_and_b32_e32 v6, 0x80000000, v6
	v_lshl_add_u32 v9, v9, 23, v20
	v_or3_b32 v6, v6, v9, v18
	v_lshrrev_b32_e32 v18, 16, v6
.LBB835_687:
	s_or_b64 exec, exec, s[10:11]
.LBB835_688:
	s_or_b64 exec, exec, s[8:9]
.LBB835_689:
	s_or_b64 exec, exec, s[2:3]
	s_mov_b32 s2, 0x5040100
	v_perm_b32 v15, v15, v16, s2
	v_perm_b32 v14, v7, v14, s2
	ds_read_b128 v[28:31], v22 offset:4112
	v_perm_b32 v7, v18, v19, s2
	v_perm_b32 v6, v8, v17, s2
	s_waitcnt lgkmcnt(0)
	v_mfma_f32_16x16x16bf16_1k v[32:35], v[14:15], v[28:29], v[10:13]
	s_nop 6
	v_mov_b32_e32 v11, 0
	s_waitcnt vmcnt(0)
	v_cmp_ne_u16_sdwa s[8:9], v2, v11 src0_sel:BYTE_0 src1_sel:DWORD
	v_mfma_f32_16x16x16bf16_1k v[6:9], v[6:7], v[30:31], v[32:35]
	v_mov_b32_e32 v12, 0
	s_and_saveexec_b64 s[2:3], s[8:9]
	s_cbranch_execz .LBB835_695
; %bb.690:
	s_movk_i32 s7, 0x80
	v_cmp_ne_u16_sdwa s[10:11], v2, s7 src0_sel:BYTE_0 src1_sel:DWORD
	v_mov_b32_e32 v12, 0xffff8000
	s_and_saveexec_b64 s[8:9], s[10:11]
	s_cbranch_execz .LBB835_694
; %bb.691:
	s_movk_i32 s7, 0x7f
	v_and_b32_e32 v10, 0x7f, v2
	v_cmp_ne_u32_e32 vcc, s7, v10
	v_mov_b32_e32 v12, 0x7f80
	s_and_saveexec_b64 s[10:11], vcc
	s_cbranch_execz .LBB835_693
; %bb.692:
	v_and_b32_e32 v14, 7, v2
	v_ffbh_u32_e32 v12, v14
	v_min_u32_e32 v16, 32, v12
	v_subrev_u32_e32 v12, 28, v16
	v_lshlrev_b64 v[12:13], v12, v[2:3]
	v_lshrrev_b32_e32 v15, 3, v10
	v_sub_u32_e32 v13, 29, v16
	v_and_b32_e32 v12, 7, v12
	v_cmp_gt_u32_e32 vcc, 8, v10
	v_cndmask_b32_e32 v10, v15, v13, vcc
	v_cndmask_b32_e32 v12, v14, v12, vcc
	v_lshlrev_b32_e32 v13, 24, v2
	v_bfrev_b32_e32 v14, 60
	v_lshlrev_b32_e32 v12, 20, v12
	v_and_b32_e32 v13, 0x80000000, v13
	v_lshl_add_u32 v10, v10, 23, v14
	v_or3_b32 v10, v13, v10, v12
	v_lshrrev_b32_e32 v12, 16, v10
.LBB835_693:
	s_or_b64 exec, exec, s[10:11]
.LBB835_694:
	s_or_b64 exec, exec, s[8:9]
.LBB835_695:
	s_or_b64 exec, exec, s[2:3]
	v_lshrrev_b16_e32 v10, 8, v2
	v_cmp_ne_u16_e32 vcc, 0, v10
	s_and_saveexec_b64 s[2:3], vcc
	s_cbranch_execz .LBB835_701
; %bb.696:
	s_movk_i32 s7, 0x80
	v_cmp_ne_u16_e32 vcc, s7, v10
	v_mov_b32_e32 v11, 0xffff8000
	s_and_saveexec_b64 s[8:9], vcc
	s_cbranch_execz .LBB835_700
; %bb.697:
	s_movk_i32 s7, 0x7f
	v_and_b32_e32 v13, 0x7f, v10
	v_cmp_ne_u32_e32 vcc, s7, v13
	v_mov_b32_e32 v11, 0x7f80
	s_and_saveexec_b64 s[10:11], vcc
	s_cbranch_execz .LBB835_699
; %bb.698:
	v_and_b32_e32 v14, 7, v10
	v_ffbh_u32_e32 v11, v14
	v_min_u32_e32 v16, 32, v11
	v_subrev_u32_e32 v11, 28, v16
	v_lshlrev_b64 v[10:11], v11, v[10:11]
	v_lshrrev_b32_e32 v15, 3, v13
	v_sub_u32_e32 v11, 29, v16
	v_and_b32_e32 v10, 7, v10
	v_cmp_gt_u32_e32 vcc, 8, v13
	v_cndmask_b32_e32 v11, v15, v11, vcc
	v_cndmask_b32_e32 v10, v14, v10, vcc
	v_lshlrev_b32_e32 v13, 16, v2
	v_bfrev_b32_e32 v14, 60
	v_lshlrev_b32_e32 v10, 20, v10
	v_and_b32_e32 v13, 0x80000000, v13
	v_lshl_add_u32 v11, v11, 23, v14
	v_or3_b32 v10, v13, v11, v10
	v_lshrrev_b32_e32 v11, 16, v10
.LBB835_699:
	s_or_b64 exec, exec, s[10:11]
.LBB835_700:
	s_or_b64 exec, exec, s[8:9]
.LBB835_701:
	s_or_b64 exec, exec, s[2:3]
	s_movk_i32 s2, 0xff
	v_and_b32_sdwa v15, v2, s2 dst_sel:DWORD dst_unused:UNUSED_PAD src0_sel:WORD_1 src1_sel:DWORD
	v_lshrrev_b32_e32 v10, 16, v2
	v_cmp_ne_u16_e32 vcc, 0, v15
	v_mov_b32_e32 v13, 0
	v_mov_b32_e32 v14, 0
	s_and_saveexec_b64 s[2:3], vcc
	s_cbranch_execz .LBB835_707
; %bb.702:
	s_movk_i32 s7, 0x80
	v_cmp_ne_u16_e32 vcc, s7, v15
	v_mov_b32_e32 v14, 0xffff8000
	s_and_saveexec_b64 s[8:9], vcc
	s_cbranch_execz .LBB835_706
; %bb.703:
	v_bfe_u32 v15, v2, 16, 7
	s_movk_i32 s7, 0x7f
	v_cmp_ne_u32_e32 vcc, s7, v15
	v_mov_b32_e32 v14, 0x7f80
	s_and_saveexec_b64 s[10:11], vcc
	s_cbranch_execz .LBB835_705
; %bb.704:
	v_and_b32_e32 v14, 7, v10
	v_ffbh_u32_e32 v16, v14
	v_min_u32_e32 v19, 32, v16
	v_subrev_u32_e32 v16, 28, v19
	v_lshlrev_b64 v[16:17], v16, v[10:11]
	v_lshrrev_b32_e32 v18, 3, v15
	v_sub_u32_e32 v10, 29, v19
	v_and_b32_e32 v16, 7, v16
	v_cmp_gt_u32_e32 vcc, 8, v15
	v_mov_b32_e32 v15, 24
	v_cndmask_b32_e32 v10, v18, v10, vcc
	v_cndmask_b32_e32 v14, v14, v16, vcc
	v_lshlrev_b32_sdwa v15, v15, v2 dst_sel:DWORD dst_unused:UNUSED_PAD src0_sel:DWORD src1_sel:WORD_1
	v_bfrev_b32_e32 v16, 60
	v_lshlrev_b32_e32 v14, 20, v14
	v_and_b32_e32 v15, 0x80000000, v15
	v_lshl_add_u32 v10, v10, 23, v16
	v_or3_b32 v10, v15, v10, v14
	v_lshrrev_b32_e32 v14, 16, v10
.LBB835_705:
	s_or_b64 exec, exec, s[10:11]
.LBB835_706:
	s_or_b64 exec, exec, s[8:9]
.LBB835_707:
	s_or_b64 exec, exec, s[2:3]
	s_mov_b32 s2, 0xffffff
	v_cmp_lt_u32_e32 vcc, s2, v2
	s_and_saveexec_b64 s[2:3], vcc
	s_cbranch_execz .LBB835_713
; %bb.708:
	v_lshrrev_b32_e32 v10, 24, v2
	s_movk_i32 s7, 0x80
	v_cmp_ne_u32_e32 vcc, s7, v10
	v_mov_b32_e32 v13, 0xffff8000
	s_and_saveexec_b64 s[8:9], vcc
	s_cbranch_execz .LBB835_712
; %bb.709:
	v_bfe_u32 v2, v2, 24, 7
	s_movk_i32 s7, 0x7f
	v_cmp_ne_u32_e32 vcc, s7, v2
	v_mov_b32_e32 v13, 0x7f80
	s_and_saveexec_b64 s[10:11], vcc
	s_cbranch_execz .LBB835_711
; %bb.710:
	v_and_b32_e32 v13, 7, v10
	v_ffbh_u32_e32 v16, v13
	v_min_u32_e32 v18, 32, v16
	v_subrev_u32_e32 v16, 28, v18
	v_lshlrev_b64 v[16:17], v16, v[10:11]
	v_lshrrev_b32_e32 v15, 3, v2
	v_sub_u32_e32 v17, 29, v18
	v_and_b32_e32 v16, 7, v16
	v_cmp_gt_u32_e32 vcc, 8, v2
	v_cndmask_b32_e32 v2, v15, v17, vcc
	v_cndmask_b32_e32 v13, v13, v16, vcc
	v_lshlrev_b32_e32 v10, 24, v10
	v_bfrev_b32_e32 v15, 60
	v_lshlrev_b32_e32 v13, 20, v13
	v_and_b32_e32 v10, 0x80000000, v10
	v_lshl_add_u32 v2, v2, 23, v15
	v_or3_b32 v2, v10, v2, v13
	v_lshrrev_b32_e32 v13, 16, v2
.LBB835_711:
	s_or_b64 exec, exec, s[10:11]
.LBB835_712:
	s_or_b64 exec, exec, s[8:9]
.LBB835_713:
	s_or_b64 exec, exec, s[2:3]
	v_mov_b32_e32 v10, 0
	v_cmp_ne_u16_sdwa s[8:9], v3, v10 src0_sel:BYTE_0 src1_sel:DWORD
	v_mov_b32_e32 v15, 0
	s_and_saveexec_b64 s[2:3], s[8:9]
	s_cbranch_execz .LBB835_719
; %bb.714:
	s_movk_i32 s7, 0x80
	v_cmp_ne_u16_sdwa s[10:11], v3, s7 src0_sel:BYTE_0 src1_sel:DWORD
	v_mov_b32_e32 v15, 0xffff8000
	s_and_saveexec_b64 s[8:9], s[10:11]
	s_cbranch_execz .LBB835_718
; %bb.715:
	s_movk_i32 s7, 0x7f
	v_and_b32_e32 v2, 0x7f, v3
	v_cmp_ne_u32_e32 vcc, s7, v2
	v_mov_b32_e32 v15, 0x7f80
	s_and_saveexec_b64 s[10:11], vcc
	s_cbranch_execz .LBB835_717
; %bb.716:
	v_and_b32_e32 v15, 7, v3
	v_ffbh_u32_e32 v17, v15
	v_min_u32_e32 v19, 32, v17
	v_mov_b32_e32 v16, v3
	v_subrev_u32_e32 v17, 28, v19
	v_lshlrev_b64 v[16:17], v17, v[16:17]
	v_lshrrev_b32_e32 v18, 3, v2
	v_sub_u32_e32 v17, 29, v19
	v_and_b32_e32 v16, 7, v16
	v_cmp_gt_u32_e32 vcc, 8, v2
	v_cndmask_b32_e32 v2, v18, v17, vcc
	v_cndmask_b32_e32 v15, v15, v16, vcc
	v_lshlrev_b32_e32 v16, 24, v3
	v_bfrev_b32_e32 v17, 60
	v_lshlrev_b32_e32 v15, 20, v15
	v_and_b32_e32 v16, 0x80000000, v16
	v_lshl_add_u32 v2, v2, 23, v17
	v_or3_b32 v2, v16, v2, v15
	v_lshrrev_b32_e32 v15, 16, v2
.LBB835_717:
	s_or_b64 exec, exec, s[10:11]
.LBB835_718:
	s_or_b64 exec, exec, s[8:9]
.LBB835_719:
	s_or_b64 exec, exec, s[2:3]
	v_lshrrev_b16_e32 v2, 8, v3
	v_cmp_ne_u16_e32 vcc, 0, v2
	s_and_saveexec_b64 s[2:3], vcc
	s_cbranch_execz .LBB835_725
; %bb.720:
	s_movk_i32 s7, 0x80
	v_cmp_ne_u16_e32 vcc, s7, v2
	v_mov_b32_e32 v10, 0xffff8000
	s_and_saveexec_b64 s[8:9], vcc
	s_cbranch_execz .LBB835_724
; %bb.721:
	s_movk_i32 s7, 0x7f
	v_and_b32_e32 v16, 0x7f, v2
	v_cmp_ne_u32_e32 vcc, s7, v16
	v_mov_b32_e32 v10, 0x7f80
	s_and_saveexec_b64 s[10:11], vcc
	s_cbranch_execz .LBB835_723
; %bb.722:
	v_and_b32_e32 v10, 7, v2
	v_ffbh_u32_e32 v18, v10
	v_min_u32_e32 v20, 32, v18
	v_subrev_u32_e32 v18, 28, v20
	v_lshlrev_b64 v[18:19], v18, v[2:3]
	v_lshrrev_b32_e32 v17, 3, v16
	v_sub_u32_e32 v2, 29, v20
	v_and_b32_e32 v18, 7, v18
	v_cmp_gt_u32_e32 vcc, 8, v16
	v_cndmask_b32_e32 v2, v17, v2, vcc
	v_cndmask_b32_e32 v10, v10, v18, vcc
	v_lshlrev_b32_e32 v16, 16, v3
	v_bfrev_b32_e32 v17, 60
	v_lshlrev_b32_e32 v10, 20, v10
	v_and_b32_e32 v16, 0x80000000, v16
	v_lshl_add_u32 v2, v2, 23, v17
	v_or3_b32 v2, v16, v2, v10
	v_lshrrev_b32_e32 v10, 16, v2
.LBB835_723:
	s_or_b64 exec, exec, s[10:11]
.LBB835_724:
	s_or_b64 exec, exec, s[8:9]
.LBB835_725:
	s_or_b64 exec, exec, s[2:3]
	s_movk_i32 s2, 0xff
	v_and_b32_sdwa v18, v3, s2 dst_sel:DWORD dst_unused:UNUSED_PAD src0_sel:WORD_1 src1_sel:DWORD
	v_lshrrev_b32_e32 v2, 16, v3
	v_cmp_ne_u16_e32 vcc, 0, v18
	v_mov_b32_e32 v16, 0
	v_mov_b32_e32 v17, 0
	s_and_saveexec_b64 s[2:3], vcc
	s_cbranch_execz .LBB835_731
; %bb.726:
	s_movk_i32 s7, 0x80
	v_cmp_ne_u16_e32 vcc, s7, v18
	v_mov_b32_e32 v17, 0xffff8000
	s_and_saveexec_b64 s[8:9], vcc
	s_cbranch_execz .LBB835_730
; %bb.727:
	v_bfe_u32 v18, v3, 16, 7
	s_movk_i32 s7, 0x7f
	v_cmp_ne_u32_e32 vcc, s7, v18
	v_mov_b32_e32 v17, 0x7f80
	s_and_saveexec_b64 s[10:11], vcc
	s_cbranch_execz .LBB835_729
; %bb.728:
	v_and_b32_e32 v17, 7, v2
	v_ffbh_u32_e32 v20, v17
	v_min_u32_e32 v23, 32, v20
	v_subrev_u32_e32 v20, 28, v23
	v_lshlrev_b64 v[20:21], v20, v[2:3]
	v_lshrrev_b32_e32 v19, 3, v18
	v_sub_u32_e32 v2, 29, v23
	v_and_b32_e32 v20, 7, v20
	v_cmp_gt_u32_e32 vcc, 8, v18
	v_mov_b32_e32 v18, 24
	v_cndmask_b32_e32 v2, v19, v2, vcc
	v_cndmask_b32_e32 v17, v17, v20, vcc
	v_lshlrev_b32_sdwa v18, v18, v3 dst_sel:DWORD dst_unused:UNUSED_PAD src0_sel:DWORD src1_sel:WORD_1
	v_bfrev_b32_e32 v19, 60
	v_lshlrev_b32_e32 v17, 20, v17
	v_and_b32_e32 v18, 0x80000000, v18
	v_lshl_add_u32 v2, v2, 23, v19
	v_or3_b32 v2, v18, v2, v17
	v_lshrrev_b32_e32 v17, 16, v2
.LBB835_729:
	s_or_b64 exec, exec, s[10:11]
.LBB835_730:
	s_or_b64 exec, exec, s[8:9]
.LBB835_731:
	s_or_b64 exec, exec, s[2:3]
	s_mov_b32 s2, 0xffffff
	v_cmp_lt_u32_e32 vcc, s2, v3
	s_and_saveexec_b64 s[2:3], vcc
	s_cbranch_execz .LBB835_737
; %bb.732:
	v_lshrrev_b32_e32 v2, 24, v3
	s_movk_i32 s7, 0x80
	v_cmp_ne_u32_e32 vcc, s7, v2
	v_mov_b32_e32 v16, 0xffff8000
	s_and_saveexec_b64 s[8:9], vcc
	s_cbranch_execz .LBB835_736
; %bb.733:
	v_bfe_u32 v3, v3, 24, 7
	s_movk_i32 s7, 0x7f
	v_cmp_ne_u32_e32 vcc, s7, v3
	v_mov_b32_e32 v16, 0x7f80
	s_and_saveexec_b64 s[10:11], vcc
	s_cbranch_execz .LBB835_735
; %bb.734:
	v_and_b32_e32 v16, 7, v2
	v_ffbh_u32_e32 v18, v16
	v_min_u32_e32 v21, 32, v18
	v_subrev_u32_e32 v18, 28, v21
	v_lshlrev_b64 v[18:19], v18, v[2:3]
	v_lshrrev_b32_e32 v20, 3, v3
	v_sub_u32_e32 v19, 29, v21
	v_and_b32_e32 v18, 7, v18
	v_cmp_gt_u32_e32 vcc, 8, v3
	v_cndmask_b32_e32 v3, v20, v19, vcc
	v_cndmask_b32_e32 v16, v16, v18, vcc
	v_lshlrev_b32_e32 v2, 24, v2
	v_bfrev_b32_e32 v18, 60
	v_lshlrev_b32_e32 v16, 20, v16
	v_and_b32_e32 v2, 0x80000000, v2
	v_lshl_add_u32 v3, v3, 23, v18
	v_or3_b32 v2, v2, v3, v16
	v_lshrrev_b32_e32 v16, 16, v2
.LBB835_735:
	s_or_b64 exec, exec, s[10:11]
.LBB835_736:
	s_or_b64 exec, exec, s[8:9]
.LBB835_737:
	s_or_b64 exec, exec, s[2:3]
	s_mov_b32 s2, 0x5040100
	v_perm_b32 v3, v13, v14, s2
	v_perm_b32 v2, v11, v12, s2
	ds_read_b128 v[18:21], v22 offset:6144
	v_perm_b32 v13, v16, v17, s2
	v_perm_b32 v12, v10, v15, s2
	s_waitcnt lgkmcnt(0)
	v_mfma_f32_16x16x16bf16_1k v[6:9], v[2:3], v[18:19], v[6:9]
	v_mov_b32_e32 v3, 0
	v_cmp_ne_u16_sdwa s[8:9], v4, v3 src0_sel:BYTE_0 src1_sel:DWORD
	v_mov_b32_e32 v10, 0
	v_mfma_f32_16x16x16bf16_1k v[6:9], v[12:13], v[20:21], v[6:9]
	s_and_saveexec_b64 s[2:3], s[8:9]
	s_cbranch_execz .LBB835_743
; %bb.738:
	s_movk_i32 s7, 0x80
	v_cmp_ne_u16_sdwa s[10:11], v4, s7 src0_sel:BYTE_0 src1_sel:DWORD
	v_mov_b32_e32 v10, 0xffff8000
	s_and_saveexec_b64 s[8:9], s[10:11]
	s_cbranch_execz .LBB835_742
; %bb.739:
	s_movk_i32 s7, 0x7f
	v_and_b32_e32 v2, 0x7f, v4
	v_cmp_ne_u32_e32 vcc, s7, v2
	v_mov_b32_e32 v10, 0x7f80
	s_and_saveexec_b64 s[10:11], vcc
	s_cbranch_execz .LBB835_741
; %bb.740:
	v_and_b32_e32 v12, 7, v4
	v_ffbh_u32_e32 v10, v12
	v_min_u32_e32 v14, 32, v10
	v_subrev_u32_e32 v10, 28, v14
	v_lshlrev_b64 v[10:11], v10, v[4:5]
	v_lshrrev_b32_e32 v13, 3, v2
	v_sub_u32_e32 v11, 29, v14
	v_and_b32_e32 v10, 7, v10
	v_cmp_gt_u32_e32 vcc, 8, v2
	v_cndmask_b32_e32 v2, v13, v11, vcc
	v_cndmask_b32_e32 v10, v12, v10, vcc
	v_lshlrev_b32_e32 v11, 24, v4
	v_bfrev_b32_e32 v12, 60
	v_lshlrev_b32_e32 v10, 20, v10
	v_and_b32_e32 v11, 0x80000000, v11
	v_lshl_add_u32 v2, v2, 23, v12
	v_or3_b32 v2, v11, v2, v10
	v_lshrrev_b32_e32 v10, 16, v2
.LBB835_741:
	s_or_b64 exec, exec, s[10:11]
.LBB835_742:
	s_or_b64 exec, exec, s[8:9]
.LBB835_743:
	s_or_b64 exec, exec, s[2:3]
	v_lshrrev_b16_e32 v2, 8, v4
	v_cmp_ne_u16_e32 vcc, 0, v2
	s_and_saveexec_b64 s[2:3], vcc
	s_cbranch_execz .LBB835_749
; %bb.744:
	s_movk_i32 s7, 0x80
	v_cmp_ne_u16_e32 vcc, s7, v2
	v_mov_b32_e32 v3, 0xffff8000
	s_and_saveexec_b64 s[8:9], vcc
	s_cbranch_execz .LBB835_748
; %bb.745:
	s_movk_i32 s7, 0x7f
	v_and_b32_e32 v11, 0x7f, v2
	v_cmp_ne_u32_e32 vcc, s7, v11
	v_mov_b32_e32 v3, 0x7f80
	s_and_saveexec_b64 s[10:11], vcc
	s_cbranch_execz .LBB835_747
; %bb.746:
	v_and_b32_e32 v12, 7, v2
	v_ffbh_u32_e32 v3, v12
	v_min_u32_e32 v14, 32, v3
	v_subrev_u32_e32 v3, 28, v14
	v_lshlrev_b64 v[2:3], v3, v[2:3]
	v_lshrrev_b32_e32 v13, 3, v11
	v_sub_u32_e32 v3, 29, v14
	v_and_b32_e32 v2, 7, v2
	v_cmp_gt_u32_e32 vcc, 8, v11
	v_cndmask_b32_e32 v3, v13, v3, vcc
	v_cndmask_b32_e32 v2, v12, v2, vcc
	v_lshlrev_b32_e32 v11, 16, v4
	v_bfrev_b32_e32 v12, 60
	v_lshlrev_b32_e32 v2, 20, v2
	v_and_b32_e32 v11, 0x80000000, v11
	v_lshl_add_u32 v3, v3, 23, v12
	v_or3_b32 v2, v11, v3, v2
	v_lshrrev_b32_e32 v3, 16, v2
.LBB835_747:
	s_or_b64 exec, exec, s[10:11]
.LBB835_748:
	s_or_b64 exec, exec, s[8:9]
.LBB835_749:
	s_or_b64 exec, exec, s[2:3]
	s_movk_i32 s2, 0xff
	v_and_b32_sdwa v13, v4, s2 dst_sel:DWORD dst_unused:UNUSED_PAD src0_sel:WORD_1 src1_sel:DWORD
	v_lshrrev_b32_e32 v2, 16, v4
	v_cmp_ne_u16_e32 vcc, 0, v13
	v_mov_b32_e32 v11, 0
	v_mov_b32_e32 v12, 0
	s_and_saveexec_b64 s[2:3], vcc
	s_cbranch_execz .LBB835_755
; %bb.750:
	s_movk_i32 s7, 0x80
	v_cmp_ne_u16_e32 vcc, s7, v13
	v_mov_b32_e32 v12, 0xffff8000
	s_and_saveexec_b64 s[8:9], vcc
	s_cbranch_execz .LBB835_754
; %bb.751:
	v_bfe_u32 v13, v4, 16, 7
	s_movk_i32 s7, 0x7f
	v_cmp_ne_u32_e32 vcc, s7, v13
	v_mov_b32_e32 v12, 0x7f80
	s_and_saveexec_b64 s[10:11], vcc
	s_cbranch_execz .LBB835_753
; %bb.752:
	v_and_b32_e32 v12, 7, v2
	v_ffbh_u32_e32 v14, v12
	v_min_u32_e32 v17, 32, v14
	v_subrev_u32_e32 v14, 28, v17
	v_lshlrev_b64 v[14:15], v14, v[2:3]
	v_lshrrev_b32_e32 v16, 3, v13
	v_sub_u32_e32 v2, 29, v17
	v_and_b32_e32 v14, 7, v14
	v_cmp_gt_u32_e32 vcc, 8, v13
	v_mov_b32_e32 v13, 24
	v_cndmask_b32_e32 v2, v16, v2, vcc
	v_cndmask_b32_e32 v12, v12, v14, vcc
	v_lshlrev_b32_sdwa v13, v13, v4 dst_sel:DWORD dst_unused:UNUSED_PAD src0_sel:DWORD src1_sel:WORD_1
	v_bfrev_b32_e32 v14, 60
	v_lshlrev_b32_e32 v12, 20, v12
	v_and_b32_e32 v13, 0x80000000, v13
	v_lshl_add_u32 v2, v2, 23, v14
	v_or3_b32 v2, v13, v2, v12
	v_lshrrev_b32_e32 v12, 16, v2
.LBB835_753:
	s_or_b64 exec, exec, s[10:11]
.LBB835_754:
	s_or_b64 exec, exec, s[8:9]
.LBB835_755:
	s_or_b64 exec, exec, s[2:3]
	s_mov_b32 s2, 0xffffff
	v_cmp_lt_u32_e32 vcc, s2, v4
	s_and_saveexec_b64 s[2:3], vcc
	s_cbranch_execz .LBB835_761
; %bb.756:
	v_lshrrev_b32_e32 v2, 24, v4
	s_movk_i32 s7, 0x80
	v_cmp_ne_u32_e32 vcc, s7, v2
	v_mov_b32_e32 v11, 0xffff8000
	s_and_saveexec_b64 s[8:9], vcc
	s_cbranch_execz .LBB835_760
; %bb.757:
	v_bfe_u32 v4, v4, 24, 7
	s_movk_i32 s7, 0x7f
	v_cmp_ne_u32_e32 vcc, s7, v4
	v_mov_b32_e32 v11, 0x7f80
	s_and_saveexec_b64 s[10:11], vcc
	s_cbranch_execz .LBB835_759
; %bb.758:
	v_and_b32_e32 v11, 7, v2
	v_ffbh_u32_e32 v14, v11
	v_min_u32_e32 v16, 32, v14
	v_subrev_u32_e32 v14, 28, v16
	v_lshlrev_b64 v[14:15], v14, v[2:3]
	v_lshrrev_b32_e32 v13, 3, v4
	v_sub_u32_e32 v15, 29, v16
	v_and_b32_e32 v14, 7, v14
	v_cmp_gt_u32_e32 vcc, 8, v4
	v_cndmask_b32_e32 v4, v13, v15, vcc
	v_cndmask_b32_e32 v11, v11, v14, vcc
	v_lshlrev_b32_e32 v2, 24, v2
	v_bfrev_b32_e32 v13, 60
	v_lshlrev_b32_e32 v11, 20, v11
	v_and_b32_e32 v2, 0x80000000, v2
	v_lshl_add_u32 v4, v4, 23, v13
	v_or3_b32 v2, v2, v4, v11
	v_lshrrev_b32_e32 v11, 16, v2
.LBB835_759:
	s_or_b64 exec, exec, s[10:11]
.LBB835_760:
	s_or_b64 exec, exec, s[8:9]
.LBB835_761:
	s_or_b64 exec, exec, s[2:3]
	v_mov_b32_e32 v4, 0
	v_cmp_ne_u16_sdwa s[8:9], v5, v4 src0_sel:BYTE_0 src1_sel:DWORD
	v_mov_b32_e32 v13, 0
	s_and_saveexec_b64 s[2:3], s[8:9]
	s_cbranch_execz .LBB835_767
; %bb.762:
	s_movk_i32 s7, 0x80
	v_cmp_ne_u16_sdwa s[10:11], v5, s7 src0_sel:BYTE_0 src1_sel:DWORD
	v_mov_b32_e32 v13, 0xffff8000
	s_and_saveexec_b64 s[8:9], s[10:11]
	s_cbranch_execz .LBB835_766
; %bb.763:
	s_movk_i32 s7, 0x7f
	v_and_b32_e32 v2, 0x7f, v5
	v_cmp_ne_u32_e32 vcc, s7, v2
	v_mov_b32_e32 v13, 0x7f80
	s_and_saveexec_b64 s[10:11], vcc
	s_cbranch_execz .LBB835_765
; %bb.764:
	v_and_b32_e32 v13, 7, v5
	v_ffbh_u32_e32 v15, v13
	v_min_u32_e32 v17, 32, v15
	v_mov_b32_e32 v14, v5
	v_subrev_u32_e32 v15, 28, v17
	v_lshlrev_b64 v[14:15], v15, v[14:15]
	v_lshrrev_b32_e32 v16, 3, v2
	v_sub_u32_e32 v15, 29, v17
	v_and_b32_e32 v14, 7, v14
	v_cmp_gt_u32_e32 vcc, 8, v2
	v_cndmask_b32_e32 v2, v16, v15, vcc
	v_cndmask_b32_e32 v13, v13, v14, vcc
	v_lshlrev_b32_e32 v14, 24, v5
	v_bfrev_b32_e32 v15, 60
	v_lshlrev_b32_e32 v13, 20, v13
	v_and_b32_e32 v14, 0x80000000, v14
	v_lshl_add_u32 v2, v2, 23, v15
	v_or3_b32 v2, v14, v2, v13
	v_lshrrev_b32_e32 v13, 16, v2
.LBB835_765:
	s_or_b64 exec, exec, s[10:11]
.LBB835_766:
	s_or_b64 exec, exec, s[8:9]
.LBB835_767:
	s_or_b64 exec, exec, s[2:3]
	v_lshrrev_b16_e32 v2, 8, v5
	v_cmp_ne_u16_e32 vcc, 0, v2
	s_and_saveexec_b64 s[2:3], vcc
	s_cbranch_execz .LBB835_773
; %bb.768:
	s_movk_i32 s7, 0x80
	v_cmp_ne_u16_e32 vcc, s7, v2
	v_mov_b32_e32 v4, 0xffff8000
	s_and_saveexec_b64 s[8:9], vcc
	s_cbranch_execz .LBB835_772
; %bb.769:
	s_movk_i32 s7, 0x7f
	v_and_b32_e32 v14, 0x7f, v2
	v_cmp_ne_u32_e32 vcc, s7, v14
	v_mov_b32_e32 v4, 0x7f80
	s_and_saveexec_b64 s[10:11], vcc
	s_cbranch_execz .LBB835_771
; %bb.770:
	v_and_b32_e32 v4, 7, v2
	v_ffbh_u32_e32 v16, v4
	v_min_u32_e32 v18, 32, v16
	v_subrev_u32_e32 v16, 28, v18
	v_lshlrev_b64 v[16:17], v16, v[2:3]
	v_lshrrev_b32_e32 v15, 3, v14
	v_sub_u32_e32 v2, 29, v18
	v_and_b32_e32 v16, 7, v16
	v_cmp_gt_u32_e32 vcc, 8, v14
	v_cndmask_b32_e32 v2, v15, v2, vcc
	v_cndmask_b32_e32 v4, v4, v16, vcc
	v_lshlrev_b32_e32 v14, 16, v5
	v_bfrev_b32_e32 v15, 60
	v_lshlrev_b32_e32 v4, 20, v4
	v_and_b32_e32 v14, 0x80000000, v14
	v_lshl_add_u32 v2, v2, 23, v15
	v_or3_b32 v2, v14, v2, v4
	v_lshrrev_b32_e32 v4, 16, v2
.LBB835_771:
	s_or_b64 exec, exec, s[10:11]
.LBB835_772:
	s_or_b64 exec, exec, s[8:9]
.LBB835_773:
	s_or_b64 exec, exec, s[2:3]
	s_movk_i32 s2, 0xff
	v_and_b32_sdwa v16, v5, s2 dst_sel:DWORD dst_unused:UNUSED_PAD src0_sel:WORD_1 src1_sel:DWORD
	v_lshrrev_b32_e32 v2, 16, v5
	v_cmp_ne_u16_e32 vcc, 0, v16
	v_mov_b32_e32 v14, 0
	v_mov_b32_e32 v15, 0
	s_and_saveexec_b64 s[2:3], vcc
	s_cbranch_execz .LBB835_779
; %bb.774:
	s_movk_i32 s7, 0x80
	v_cmp_ne_u16_e32 vcc, s7, v16
	v_mov_b32_e32 v15, 0xffff8000
	s_and_saveexec_b64 s[8:9], vcc
	s_cbranch_execz .LBB835_778
; %bb.775:
	v_bfe_u32 v16, v5, 16, 7
	s_movk_i32 s7, 0x7f
	v_cmp_ne_u32_e32 vcc, s7, v16
	v_mov_b32_e32 v15, 0x7f80
	s_and_saveexec_b64 s[10:11], vcc
	s_cbranch_execz .LBB835_777
; %bb.776:
	v_and_b32_e32 v15, 7, v2
	v_ffbh_u32_e32 v18, v15
	v_min_u32_e32 v20, 32, v18
	v_subrev_u32_e32 v18, 28, v20
	v_lshlrev_b64 v[18:19], v18, v[2:3]
	v_lshrrev_b32_e32 v17, 3, v16
	v_sub_u32_e32 v2, 29, v20
	v_and_b32_e32 v18, 7, v18
	v_cmp_gt_u32_e32 vcc, 8, v16
	v_mov_b32_e32 v16, 24
	v_cndmask_b32_e32 v2, v17, v2, vcc
	v_cndmask_b32_e32 v15, v15, v18, vcc
	v_lshlrev_b32_sdwa v16, v16, v5 dst_sel:DWORD dst_unused:UNUSED_PAD src0_sel:DWORD src1_sel:WORD_1
	v_bfrev_b32_e32 v17, 60
	v_lshlrev_b32_e32 v15, 20, v15
	v_and_b32_e32 v16, 0x80000000, v16
	v_lshl_add_u32 v2, v2, 23, v17
	v_or3_b32 v2, v16, v2, v15
	v_lshrrev_b32_e32 v15, 16, v2
.LBB835_777:
	s_or_b64 exec, exec, s[10:11]
.LBB835_778:
	s_or_b64 exec, exec, s[8:9]
.LBB835_779:
	s_or_b64 exec, exec, s[2:3]
	s_mov_b32 s2, 0xffffff
	v_cmp_lt_u32_e32 vcc, s2, v5
	s_and_saveexec_b64 s[2:3], vcc
	s_cbranch_execz .LBB835_785
; %bb.780:
	v_lshrrev_b32_e32 v2, 24, v5
	s_movk_i32 s7, 0x80
	v_cmp_ne_u32_e32 vcc, s7, v2
	v_mov_b32_e32 v14, 0xffff8000
	s_and_saveexec_b64 s[8:9], vcc
	s_cbranch_execz .LBB835_784
; %bb.781:
	v_bfe_u32 v5, v5, 24, 7
	s_movk_i32 s7, 0x7f
	v_cmp_ne_u32_e32 vcc, s7, v5
	v_mov_b32_e32 v14, 0x7f80
	s_and_saveexec_b64 s[10:11], vcc
	s_cbranch_execz .LBB835_783
; %bb.782:
	v_and_b32_e32 v14, 7, v2
	v_ffbh_u32_e32 v16, v14
	v_min_u32_e32 v19, 32, v16
	v_subrev_u32_e32 v16, 28, v19
	v_lshlrev_b64 v[16:17], v16, v[2:3]
	v_lshrrev_b32_e32 v18, 3, v5
	v_sub_u32_e32 v17, 29, v19
	v_and_b32_e32 v16, 7, v16
	v_cmp_gt_u32_e32 vcc, 8, v5
	v_cndmask_b32_e32 v5, v18, v17, vcc
	v_cndmask_b32_e32 v14, v14, v16, vcc
	v_lshlrev_b32_e32 v2, 24, v2
	v_bfrev_b32_e32 v16, 60
	v_lshlrev_b32_e32 v14, 20, v14
	v_and_b32_e32 v2, 0x80000000, v2
	v_lshl_add_u32 v5, v5, 23, v16
	v_or3_b32 v2, v2, v5, v14
	v_lshrrev_b32_e32 v14, 16, v2
.LBB835_783:
	s_or_b64 exec, exec, s[10:11]
.LBB835_784:
	s_or_b64 exec, exec, s[8:9]
.LBB835_785:
	s_or_b64 exec, exec, s[2:3]
	s_mov_b32 s3, 0x5040100
	v_perm_b32 v11, v11, v12, s3
	ds_read_b128 v[16:19], v22 offset:6160
	v_perm_b32 v10, v3, v10, s3
	v_perm_b32 v3, v14, v15, s3
	;; [unrolled: 1-line block ×3, first 2 shown]
	s_waitcnt lgkmcnt(0)
	v_mfma_f32_16x16x16bf16_1k v[6:9], v[10:11], v[16:17], v[6:9]
	s_load_dword s2, s[42:43], 0x0
	s_mov_b32 s3, 0x7060302
	s_movk_i32 s7, 0x7fff
	v_cmp_gt_u32_e32 vcc, 64, v0
	s_and_b64 s[0:1], vcc, s[0:1]
	s_waitcnt lgkmcnt(0)
	s_barrier
	v_mfma_f32_16x16x16bf16_1k v[2:5], v[2:3], v[18:19], v[6:9]
	s_nop 7
	s_nop 2
	v_pk_mul_f32 v[4:5], v[4:5], s[2:3] op_sel_hi:[1,0]
	v_pk_mul_f32 v[2:3], v[2:3], s[2:3] op_sel_hi:[1,0]
	v_bfe_u32 v6, v3, 16, 1
	v_bfe_u32 v7, v2, 16, 1
	;; [unrolled: 1-line block ×4, first 2 shown]
	v_add3_u32 v2, v2, v7, s7
	v_add3_u32 v3, v3, v6, s7
	;; [unrolled: 1-line block ×4, first 2 shown]
	v_perm_b32 v2, v3, v2, s3
	v_perm_b32 v3, v5, v4, s3
	ds_write_b64 v26, v[2:3]
	s_waitcnt lgkmcnt(0)
	s_barrier
	s_and_saveexec_b64 s[2:3], s[0:1]
	s_cbranch_execz .LBB835_788
; %bb.786:
	s_load_dwordx2 s[2:3], s[4:5], 0x68
	s_lshl_b32 s0, s44, 6
	s_mul_i32 s1, s12, s6
	s_mul_hi_u32 s7, s1, s0
	s_mul_i32 s6, s1, s0
	s_lshl_b64 s[6:7], s[6:7], 1
	s_waitcnt lgkmcnt(0)
	s_add_u32 s1, s2, s6
	s_mov_b32 s5, 0
	s_addc_u32 s6, s3, s7
	s_lshl_b32 s4, s24, 6
	v_lshlrev_b32_e32 v0, 10, v0
	s_lshl_b64 s[2:3], s[4:5], 1
	v_and_b32_e32 v2, 0x1800, v0
	v_lshlrev_b32_e32 v3, 5, v1
	v_and_b32_e32 v4, 16, v47
	s_add_u32 s1, s1, s2
	v_or_b32_e32 v0, 4, v1
	v_or3_b32 v2, v2, v3, v4
	s_addc_u32 s2, s6, s3
	v_add_u32_e32 v1, s25, v1
	v_mov_b32_e32 v4, s2
	v_add_co_u32_e32 v3, vcc, s1, v46
	ds_read_b128 v[6:9], v2
	v_mad_u64_u32 v[10:11], s[2:3], v1, s0, 0
	v_addc_co_u32_e32 v4, vcc, 0, v4, vcc
	v_lshlrev_b64 v[10:11], 1, v[10:11]
	v_add_co_u32_e32 v10, vcc, v3, v10
	v_addc_co_u32_e32 v11, vcc, v4, v11, vcc
	v_cmp_gt_u32_e32 vcc, 6, v0
	s_waitcnt lgkmcnt(0)
	global_store_dwordx4 v[10:11], v[6:9], off
	s_and_b64 exec, exec, vcc
	s_cbranch_execz .LBB835_788
; %bb.787:
	ds_read_b128 v[6:9], v2 offset:128
	v_add_u32_e32 v0, s25, v0
	v_mad_u64_u32 v[0:1], s[0:1], v0, s0, 0
	v_lshlrev_b64 v[0:1], 1, v[0:1]
	v_add_co_u32_e32 v0, vcc, v3, v0
	v_addc_co_u32_e32 v1, vcc, v4, v1, vcc
	s_waitcnt lgkmcnt(0)
	global_store_dwordx4 v[0:1], v[6:9], off
.LBB835_788:
	s_endpgm
	.section	.rodata,"a",@progbits
	.p2align	6, 0x0
	.amdhsa_kernel _Z39paged_attention_ll4mi_QKV_mfma16_kernelI14__hip_bfloat16hLN4vllm18Fp8KVCacheDataTypeE1ES0_Li16ELi64ELi256ELb1ELi6EL8MFMAType0EEvPKT_PKT0_S9_ifPKiSB_SB_iPKfiiiPfSE_PS4_PT2_iSD_SD_
		.amdhsa_group_segment_fixed_size 8192
		.amdhsa_private_segment_fixed_size 0
		.amdhsa_kernarg_size 400
		.amdhsa_user_sgpr_count 6
		.amdhsa_user_sgpr_private_segment_buffer 1
		.amdhsa_user_sgpr_dispatch_ptr 0
		.amdhsa_user_sgpr_queue_ptr 0
		.amdhsa_user_sgpr_kernarg_segment_ptr 1
		.amdhsa_user_sgpr_dispatch_id 0
		.amdhsa_user_sgpr_flat_scratch_init 0
		.amdhsa_user_sgpr_kernarg_preload_length 0
		.amdhsa_user_sgpr_kernarg_preload_offset 0
		.amdhsa_user_sgpr_private_segment_size 0
		.amdhsa_uses_dynamic_stack 0
		.amdhsa_system_sgpr_private_segment_wavefront_offset 0
		.amdhsa_system_sgpr_workgroup_id_x 1
		.amdhsa_system_sgpr_workgroup_id_y 1
		.amdhsa_system_sgpr_workgroup_id_z 1
		.amdhsa_system_sgpr_workgroup_info 0
		.amdhsa_system_vgpr_workitem_id 0
		.amdhsa_next_free_vgpr 62
		.amdhsa_next_free_sgpr 47
		.amdhsa_accum_offset 64
		.amdhsa_reserve_vcc 1
		.amdhsa_reserve_flat_scratch 0
		.amdhsa_float_round_mode_32 0
		.amdhsa_float_round_mode_16_64 0
		.amdhsa_float_denorm_mode_32 3
		.amdhsa_float_denorm_mode_16_64 3
		.amdhsa_dx10_clamp 1
		.amdhsa_ieee_mode 1
		.amdhsa_fp16_overflow 0
		.amdhsa_tg_split 0
		.amdhsa_exception_fp_ieee_invalid_op 0
		.amdhsa_exception_fp_denorm_src 0
		.amdhsa_exception_fp_ieee_div_zero 0
		.amdhsa_exception_fp_ieee_overflow 0
		.amdhsa_exception_fp_ieee_underflow 0
		.amdhsa_exception_fp_ieee_inexact 0
		.amdhsa_exception_int_div_zero 0
	.end_amdhsa_kernel
	.section	.text._Z39paged_attention_ll4mi_QKV_mfma16_kernelI14__hip_bfloat16hLN4vllm18Fp8KVCacheDataTypeE1ES0_Li16ELi64ELi256ELb1ELi6EL8MFMAType0EEvPKT_PKT0_S9_ifPKiSB_SB_iPKfiiiPfSE_PS4_PT2_iSD_SD_,"axG",@progbits,_Z39paged_attention_ll4mi_QKV_mfma16_kernelI14__hip_bfloat16hLN4vllm18Fp8KVCacheDataTypeE1ES0_Li16ELi64ELi256ELb1ELi6EL8MFMAType0EEvPKT_PKT0_S9_ifPKiSB_SB_iPKfiiiPfSE_PS4_PT2_iSD_SD_,comdat
.Lfunc_end835:
	.size	_Z39paged_attention_ll4mi_QKV_mfma16_kernelI14__hip_bfloat16hLN4vllm18Fp8KVCacheDataTypeE1ES0_Li16ELi64ELi256ELb1ELi6EL8MFMAType0EEvPKT_PKT0_S9_ifPKiSB_SB_iPKfiiiPfSE_PS4_PT2_iSD_SD_, .Lfunc_end835-_Z39paged_attention_ll4mi_QKV_mfma16_kernelI14__hip_bfloat16hLN4vllm18Fp8KVCacheDataTypeE1ES0_Li16ELi64ELi256ELb1ELi6EL8MFMAType0EEvPKT_PKT0_S9_ifPKiSB_SB_iPKfiiiPfSE_PS4_PT2_iSD_SD_
                                        ; -- End function
	.section	.AMDGPU.csdata,"",@progbits
; Kernel info:
; codeLenInByte = 28636
; NumSgprs: 51
; NumVgprs: 62
; NumAgprs: 0
; TotalNumVgprs: 62
; ScratchSize: 0
; MemoryBound: 0
; FloatMode: 240
; IeeeMode: 1
; LDSByteSize: 8192 bytes/workgroup (compile time only)
; SGPRBlocks: 6
; VGPRBlocks: 7
; NumSGPRsForWavesPerEU: 51
; NumVGPRsForWavesPerEU: 62
; AccumOffset: 64
; Occupancy: 8
; WaveLimiterHint : 1
; COMPUTE_PGM_RSRC2:SCRATCH_EN: 0
; COMPUTE_PGM_RSRC2:USER_SGPR: 6
; COMPUTE_PGM_RSRC2:TRAP_HANDLER: 0
; COMPUTE_PGM_RSRC2:TGID_X_EN: 1
; COMPUTE_PGM_RSRC2:TGID_Y_EN: 1
; COMPUTE_PGM_RSRC2:TGID_Z_EN: 1
; COMPUTE_PGM_RSRC2:TIDIG_COMP_CNT: 0
; COMPUTE_PGM_RSRC3_GFX90A:ACCUM_OFFSET: 15
; COMPUTE_PGM_RSRC3_GFX90A:TG_SPLIT: 0
	.section	.text._Z39paged_attention_ll4mi_QKV_mfma16_kernelI14__hip_bfloat16hLN4vllm18Fp8KVCacheDataTypeE1ES0_Li16ELi64ELi256ELb1ELi7EL8MFMAType0EEvPKT_PKT0_S9_ifPKiSB_SB_iPKfiiiPfSE_PS4_PT2_iSD_SD_,"axG",@progbits,_Z39paged_attention_ll4mi_QKV_mfma16_kernelI14__hip_bfloat16hLN4vllm18Fp8KVCacheDataTypeE1ES0_Li16ELi64ELi256ELb1ELi7EL8MFMAType0EEvPKT_PKT0_S9_ifPKiSB_SB_iPKfiiiPfSE_PS4_PT2_iSD_SD_,comdat
	.protected	_Z39paged_attention_ll4mi_QKV_mfma16_kernelI14__hip_bfloat16hLN4vllm18Fp8KVCacheDataTypeE1ES0_Li16ELi64ELi256ELb1ELi7EL8MFMAType0EEvPKT_PKT0_S9_ifPKiSB_SB_iPKfiiiPfSE_PS4_PT2_iSD_SD_ ; -- Begin function _Z39paged_attention_ll4mi_QKV_mfma16_kernelI14__hip_bfloat16hLN4vllm18Fp8KVCacheDataTypeE1ES0_Li16ELi64ELi256ELb1ELi7EL8MFMAType0EEvPKT_PKT0_S9_ifPKiSB_SB_iPKfiiiPfSE_PS4_PT2_iSD_SD_
	.globl	_Z39paged_attention_ll4mi_QKV_mfma16_kernelI14__hip_bfloat16hLN4vllm18Fp8KVCacheDataTypeE1ES0_Li16ELi64ELi256ELb1ELi7EL8MFMAType0EEvPKT_PKT0_S9_ifPKiSB_SB_iPKfiiiPfSE_PS4_PT2_iSD_SD_
	.p2align	8
	.type	_Z39paged_attention_ll4mi_QKV_mfma16_kernelI14__hip_bfloat16hLN4vllm18Fp8KVCacheDataTypeE1ES0_Li16ELi64ELi256ELb1ELi7EL8MFMAType0EEvPKT_PKT0_S9_ifPKiSB_SB_iPKfiiiPfSE_PS4_PT2_iSD_SD_,@function
_Z39paged_attention_ll4mi_QKV_mfma16_kernelI14__hip_bfloat16hLN4vllm18Fp8KVCacheDataTypeE1ES0_Li16ELi64ELi256ELb1ELi7EL8MFMAType0EEvPKT_PKT0_S9_ifPKiSB_SB_iPKfiiiPfSE_PS4_PT2_iSD_SD_: ; @_Z39paged_attention_ll4mi_QKV_mfma16_kernelI14__hip_bfloat16hLN4vllm18Fp8KVCacheDataTypeE1ES0_Li16ELi64ELi256ELb1ELi7EL8MFMAType0EEvPKT_PKT0_S9_ifPKiSB_SB_iPKfiiiPfSE_PS4_PT2_iSD_SD_
; %bb.0:
	s_load_dwordx2 s[0:1], s[4:5], 0x30
	s_mov_b32 s24, s7
	s_mov_b64 s[10:11], 0
	s_waitcnt lgkmcnt(0)
	s_cmp_lg_u64 s[0:1], 0
	s_cselect_b64 s[2:3], -1, 0
	s_and_b64 vcc, exec, s[2:3]
	s_cbranch_vccz .LBB836_7
; %bb.1:
	s_add_i32 s12, s6, 1
	s_mov_b32 s13, 0
	s_lshl_b64 s[14:15], s[12:13], 2
	s_add_u32 s14, s0, s14
	s_mov_b32 s7, s13
	s_addc_u32 s15, s1, s15
	s_lshl_b64 s[12:13], s[6:7], 2
	s_add_u32 s12, s0, s12
	s_addc_u32 s13, s1, s13
	s_load_dword s9, s[14:15], 0x0
	s_load_dword s16, s[12:13], 0x0
	s_waitcnt lgkmcnt(0)
	s_sub_i32 s9, s9, s16
	s_cmp_eq_u32 s9, 1
	s_cselect_b64 s[12:13], -1, 0
	s_andn2_b64 vcc, exec, s[10:11]
	s_cbranch_vccnz .LBB836_3
.LBB836_2:
	s_mov_b32 s7, 0
	s_mov_b64 s[12:13], -1
.LBB836_3:
	s_andn2_b64 vcc, exec, s[12:13]
	s_cbranch_vccnz .LBB836_788
; %bb.4:
	s_load_dwordx2 s[12:13], s[4:5], 0x28
	s_lshl_b64 s[10:11], s[6:7], 2
	s_waitcnt lgkmcnt(0)
	s_add_u32 s12, s12, s10
	s_addc_u32 s13, s13, s11
	s_load_dword s33, s[12:13], 0x0
	s_lshl_b32 s18, s24, 8
	s_waitcnt lgkmcnt(0)
	s_cmp_ge_i32 s18, s33
	s_cbranch_scc1 .LBB836_788
; %bb.5:
	s_add_i32 s14, s33, 15
	s_load_dwordx2 s[12:13], s[4:5], 0x20
	s_load_dword s9, s[4:5], 0x38
	s_ashr_i32 s15, s14, 31
	v_and_b32_e32 v1, 0xcf, v0
	s_lshr_b32 s15, s15, 28
	v_add_u32_e32 v1, s18, v1
	s_add_i32 s14, s14, s15
	v_ashrrev_i32_e32 v2, 31, v1
	s_ashr_i32 s21, s14, 4
	v_lshrrev_b32_e32 v4, 28, v2
	s_add_i32 s21, s21, -1
	v_add_u32_e32 v2, v1, v4
	s_waitcnt lgkmcnt(0)
	s_mul_i32 s14, s6, s9
	s_mov_b32 s15, 0
	v_ashrrev_i32_e32 v2, 4, v2
	v_mov_b32_e32 v5, s21
	v_cmp_gt_i32_e32 vcc, s33, v1
	s_lshl_b64 s[14:15], s[14:15], 2
	v_cndmask_b32_e32 v2, v5, v2, vcc
	s_add_u32 s19, s12, s14
	v_ashrrev_i32_e32 v3, 31, v2
	s_addc_u32 s20, s13, s15
	v_lshlrev_b64 v[2:3], 2, v[2:3]
	v_mov_b32_e32 v7, s20
	v_add_co_u32_e32 v6, vcc, s19, v2
	v_or_b32_e32 v2, 16, v1
	v_addc_co_u32_e32 v7, vcc, v7, v3, vcc
	v_add_u32_e32 v3, v2, v4
	v_ashrrev_i32_e32 v3, 4, v3
	v_cmp_gt_i32_e32 vcc, s33, v2
	v_cndmask_b32_e32 v2, v5, v3, vcc
	v_ashrrev_i32_e32 v3, 31, v2
	v_lshlrev_b64 v[2:3], 2, v[2:3]
	v_mov_b32_e32 v9, s20
	v_add_co_u32_e32 v8, vcc, s19, v2
	v_or_b32_e32 v2, 32, v1
	v_addc_co_u32_e32 v9, vcc, v9, v3, vcc
	v_add_u32_e32 v3, v2, v4
	v_ashrrev_i32_e32 v3, 4, v3
	v_cmp_gt_i32_e32 vcc, s33, v2
	v_cndmask_b32_e32 v2, v5, v3, vcc
	v_ashrrev_i32_e32 v3, 31, v2
	;; [unrolled: 10-line block ×3, first 2 shown]
	v_lshlrev_b64 v[2:3], 2, v[2:3]
	v_mov_b32_e32 v1, s20
	v_add_co_u32_e32 v12, vcc, s19, v2
	v_addc_co_u32_e32 v13, vcc, v1, v3, vcc
	global_load_dword v5, v[6:7], off
	global_load_dword v4, v[8:9], off
	;; [unrolled: 1-line block ×4, first 2 shown]
	s_load_dwordx2 s[16:17], s[4:5], 0x8
	s_andn2_b64 vcc, exec, s[2:3]
	s_cbranch_vccnz .LBB836_8
; %bb.6:
	s_add_u32 s0, s0, s10
	s_addc_u32 s1, s1, s11
	s_load_dword s9, s[0:1], 0x0
	s_branch .LBB836_9
.LBB836_7:
	s_mov_b64 s[12:13], 0
	s_branch .LBB836_2
.LBB836_8:
	s_mov_b32 s9, s6
.LBB836_9:
	s_load_dwordx2 s[2:3], s[4:5], 0x10
	s_load_dwordx4 s[12:15], s[4:5], 0x48
	v_lshrrev_b32_e32 v49, 6, v0
	v_bfe_u32 v1, v0, 4, 2
	v_lshl_or_b32 v6, v49, 2, v1
	v_and_b32_e32 v48, 15, v0
	v_lshlrev_b32_e32 v7, 3, v48
	v_cmp_gt_u32_e32 vcc, 7, v6
	v_cmp_gt_u32_e64 s[0:1], 8, v48
	s_mul_i32 s25, s8, 7
	s_and_b64 s[22:23], s[0:1], vcc
	v_lshlrev_b32_e32 v46, 1, v7
	v_lshlrev_b32_e32 v47, 4, v0
	s_and_saveexec_b64 s[10:11], s[22:23]
	s_cbranch_execz .LBB836_11
; %bb.10:
	s_load_dwordx2 s[22:23], s[4:5], 0x0
	s_waitcnt lgkmcnt(0)
	s_ashr_i32 s15, s12, 31
	s_mul_hi_u32 s26, s9, s12
	s_mul_i32 s15, s9, s15
	s_add_i32 s27, s26, s15
	s_mul_i32 s26, s9, s12
	s_lshl_b64 s[26:27], s[26:27], 1
	v_add_lshl_u32 v8, v6, s25, 6
	s_add_u32 s9, s22, s26
	v_ashrrev_i32_e32 v9, 31, v8
	s_addc_u32 s12, s23, s27
	v_lshlrev_b64 v[8:9], 1, v[8:9]
	v_mov_b32_e32 v7, s12
	v_add_co_u32_e32 v8, vcc, s9, v8
	v_addc_co_u32_e32 v7, vcc, v7, v9, vcc
	v_add_co_u32_e32 v8, vcc, v8, v46
	v_addc_co_u32_e32 v9, vcc, 0, v7, vcc
	global_load_dwordx4 v[8:11], v[8:9], off
	v_lshlrev_b32_e32 v12, 8, v48
	v_lshlrev_b32_e32 v6, 5, v6
	v_and_b32_e32 v7, 16, v47
	v_and_b32_e32 v12, 0xe00, v12
	v_or3_b32 v6, v12, v6, v7
	s_waitcnt vmcnt(0)
	ds_write_b128 v6, v[8:11]
.LBB836_11:
	s_or_b64 exec, exec, s[10:11]
	s_waitcnt lgkmcnt(0)
	s_mul_i32 s10, s8, s14
	s_add_u32 s8, s16, s10
	s_addc_u32 s9, s17, 0
	v_and_b32_e32 v7, 0xf0, v47
	v_and_b32_e32 v6, 48, v0
	v_mov_b32_e32 v8, s9
	v_add_co_u32_e32 v7, vcc, s8, v7
	v_addc_co_u32_e32 v9, vcc, 0, v8, vcc
	v_lshlrev_b32_e32 v8, 4, v6
	v_add_co_u32_e32 v8, vcc, v7, v8
	v_addc_co_u32_e32 v9, vcc, 0, v9, vcc
	s_waitcnt vmcnt(3)
	v_mad_i64_i32 v[10:11], s[8:9], v5, s13, v[8:9]
	s_waitcnt vmcnt(2)
	v_mad_i64_i32 v[4:5], s[8:9], v4, s13, v[8:9]
	s_barrier
	global_load_dwordx4 v[34:37], v[10:11], off
	global_load_dwordx4 v[38:41], v[4:5], off
	s_waitcnt vmcnt(3)
	v_mad_i64_i32 v[4:5], s[8:9], v2, s13, v[8:9]
	s_waitcnt vmcnt(2)
	v_mad_i64_i32 v[2:3], s[8:9], v3, s13, v[8:9]
	global_load_dwordx4 v[30:33], v[4:5], off
	global_load_dwordx4 v[22:25], v[2:3], off
	v_mul_lo_u16_e32 v2, 37, v48
	v_mov_b32_e32 v3, 7
	v_mul_lo_u16_sdwa v2, v2, v3 dst_sel:DWORD dst_unused:UNUSED_PAD src0_sel:BYTE_1 src1_sel:DWORD
	v_sub_u16_e32 v2, v48, v2
	v_mov_b32_e32 v3, 5
	v_lshlrev_b32_sdwa v2, v3, v2 dst_sel:DWORD dst_unused:UNUSED_PAD src0_sel:DWORD src1_sel:BYTE_0
	v_lshl_add_u32 v2, v1, 9, v2
	ds_read_b128 v[26:29], v2
	ds_read_b128 v[18:21], v2 offset:16
	v_cmp_gt_u32_e32 vcc, 7, v48
	v_mov_b32_e32 v43, 0
	v_mov_b32_e32 v50, 0
	s_and_saveexec_b64 s[8:9], vcc
	s_cbranch_execz .LBB836_13
; %bb.12:
	s_load_dwordx2 s[14:15], s[4:5], 0x40
	v_add_u32_e32 v2, s25, v48
	v_ashrrev_i32_e32 v3, 31, v2
	v_lshlrev_b64 v[2:3], 2, v[2:3]
	s_waitcnt lgkmcnt(0)
	v_mov_b32_e32 v4, s15
	v_add_co_u32_e32 v2, vcc, s14, v2
	v_addc_co_u32_e32 v3, vcc, v4, v3, vcc
	global_load_dword v50, v[2:3], off
.LBB836_13:
	s_or_b64 exec, exec, s[8:9]
	v_or_b32_e32 v8, s18, v6
	v_ashrrev_i32_e32 v2, 4, v8
	v_mov_b32_e32 v9, s21
	v_cmp_gt_i32_e32 vcc, s33, v8
	v_cndmask_b32_e32 v2, v9, v2, vcc
	v_ashrrev_i32_e32 v3, 31, v2
	v_lshlrev_b64 v[2:3], 2, v[2:3]
	v_mov_b32_e32 v4, s20
	v_add_co_u32_e32 v2, vcc, s19, v2
	v_addc_co_u32_e32 v3, vcc, v4, v3, vcc
	v_or_b32_e32 v4, 64, v8
	v_ashrrev_i32_e32 v5, 4, v4
	v_cmp_gt_i32_e32 vcc, s33, v4
	v_cndmask_b32_e32 v4, v9, v5, vcc
	v_ashrrev_i32_e32 v5, 31, v4
	v_lshlrev_b64 v[4:5], 2, v[4:5]
	v_mov_b32_e32 v6, s20
	v_add_co_u32_e32 v4, vcc, s19, v4
	v_addc_co_u32_e32 v5, vcc, v6, v5, vcc
	v_or_b32_e32 v6, 0x80, v8
	v_ashrrev_i32_e32 v7, 4, v6
	v_cmp_gt_i32_e32 vcc, s33, v6
	v_cndmask_b32_e32 v6, v9, v7, vcc
	v_ashrrev_i32_e32 v7, 31, v6
	v_lshlrev_b64 v[6:7], 2, v[6:7]
	v_mov_b32_e32 v10, s20
	v_add_co_u32_e32 v6, vcc, s19, v6
	v_addc_co_u32_e32 v7, vcc, v10, v7, vcc
	global_load_dword v10, v[2:3], off
	global_load_dword v11, v[4:5], off
	;; [unrolled: 1-line block ×3, first 2 shown]
	v_or_b32_e32 v2, 0xc0, v8
	v_ashrrev_i32_e32 v3, 4, v2
	v_cmp_gt_i32_e32 vcc, s33, v2
	v_cndmask_b32_e32 v2, v9, v3, vcc
	v_ashrrev_i32_e32 v3, 31, v2
	v_lshlrev_b64 v[2:3], 2, v[2:3]
	v_mov_b32_e32 v4, s20
	v_add_co_u32_e32 v2, vcc, s19, v2
	v_addc_co_u32_e32 v3, vcc, v4, v3, vcc
	global_load_dword v13, v[2:3], off
	s_add_u32 s2, s2, s10
	v_lshlrev_b32_e32 v2, 4, v48
	s_addc_u32 s3, s3, 0
	v_lshl_or_b32 v2, v49, 8, v2
	v_mov_b32_e32 v3, s3
	v_add_co_u32_e32 v2, vcc, s2, v2
	v_addc_co_u32_e32 v3, vcc, 0, v3, vcc
	s_movk_i32 s8, 0x80
	s_waitcnt vmcnt(7)
	v_cmp_ne_u16_sdwa s[10:11], v34, v43 src0_sel:BYTE_0 src1_sel:DWORD
	s_waitcnt vmcnt(3)
	v_mad_i64_i32 v[4:5], s[2:3], v10, s13, v[2:3]
	s_waitcnt vmcnt(2)
	v_mad_i64_i32 v[6:7], s[2:3], v11, s13, v[2:3]
	;; [unrolled: 2-line block ×4, first 2 shown]
	global_load_dwordx4 v[14:17], v[4:5], off
	global_load_dwordx4 v[10:13], v[6:7], off
                                        ; kill: killed $vgpr6_vgpr7
                                        ; kill: killed $vgpr4_vgpr5
	s_nop 0
	global_load_dwordx4 v[6:9], v[8:9], off
	s_nop 0
	global_load_dwordx4 v[2:5], v[2:3], off
	s_load_dwordx4 s[40:43], s[4:5], 0x80
	s_load_dwordx2 s[44:45], s[4:5], 0x94
                                        ; kill: killed $sgpr40_sgpr41
	s_waitcnt lgkmcnt(0)
	s_load_dword s12, s[40:41], 0x0
	s_and_saveexec_b64 s[2:3], s[10:11]
	s_cbranch_execz .LBB836_19
; %bb.14:
	v_cmp_ne_u16_sdwa s[10:11], v34, s8 src0_sel:BYTE_0 src1_sel:DWORD
	v_mov_b32_e32 v43, 0xffff8000
	s_and_saveexec_b64 s[8:9], s[10:11]
	s_cbranch_execz .LBB836_18
; %bb.15:
	s_movk_i32 s10, 0x7f
	v_and_b32_e32 v42, 0x7f, v34
	v_cmp_ne_u32_e32 vcc, s10, v42
	v_mov_b32_e32 v43, 0x7f80
	s_and_saveexec_b64 s[10:11], vcc
	s_cbranch_execz .LBB836_17
; %bb.16:
	v_and_b32_e32 v43, 7, v34
	v_ffbh_u32_e32 v44, v43
	v_min_u32_e32 v52, 32, v44
	v_subrev_u32_e32 v44, 28, v52
	v_lshlrev_b64 v[44:45], v44, v[34:35]
	v_lshrrev_b32_e32 v51, 3, v42
	v_sub_u32_e32 v45, 29, v52
	v_and_b32_e32 v44, 7, v44
	v_cmp_gt_u32_e32 vcc, 8, v42
	v_cndmask_b32_e32 v42, v51, v45, vcc
	v_cndmask_b32_e32 v43, v43, v44, vcc
	v_lshlrev_b32_e32 v44, 24, v34
	v_bfrev_b32_e32 v45, 60
	v_lshlrev_b32_e32 v43, 20, v43
	v_and_b32_e32 v44, 0x80000000, v44
	v_lshl_add_u32 v42, v42, 23, v45
	v_or3_b32 v42, v44, v42, v43
	v_lshrrev_b32_e32 v43, 16, v42
.LBB836_17:
	s_or_b64 exec, exec, s[10:11]
.LBB836_18:
	s_or_b64 exec, exec, s[8:9]
.LBB836_19:
	s_or_b64 exec, exec, s[2:3]
	v_lshrrev_b16_e32 v42, 8, v34
	v_cmp_ne_u16_e32 vcc, 0, v42
	v_mov_b32_e32 v45, 0
	v_mov_b32_e32 v44, 0
	s_and_saveexec_b64 s[2:3], vcc
	s_cbranch_execz .LBB836_25
; %bb.20:
	s_movk_i32 s8, 0x80
	v_cmp_ne_u16_sdwa s[10:11], v34, s8 src0_sel:BYTE_1 src1_sel:DWORD
	v_mov_b32_e32 v44, 0xffff8000
	s_and_saveexec_b64 s[8:9], s[10:11]
	s_cbranch_execz .LBB836_24
; %bb.21:
	s_movk_i32 s10, 0x7f
	v_and_b32_e32 v51, 0x7f, v42
	v_cmp_ne_u32_e32 vcc, s10, v51
	v_mov_b32_e32 v44, 0x7f80
	s_and_saveexec_b64 s[10:11], vcc
	s_cbranch_execz .LBB836_23
; %bb.22:
	v_and_b32_e32 v44, 7, v42
	v_ffbh_u32_e32 v52, v44
	v_min_u32_e32 v55, 32, v52
	v_subrev_u32_e32 v52, 28, v55
	v_lshlrev_b64 v[52:53], v52, v[42:43]
	v_lshrrev_b32_e32 v54, 3, v51
	v_sub_u32_e32 v42, 29, v55
	v_and_b32_e32 v52, 7, v52
	v_cmp_gt_u32_e32 vcc, 8, v51
	v_cndmask_b32_e32 v42, v54, v42, vcc
	v_cndmask_b32_e32 v44, v44, v52, vcc
	v_lshlrev_b32_e32 v51, 16, v34
	v_bfrev_b32_e32 v52, 60
	v_lshlrev_b32_e32 v44, 20, v44
	v_and_b32_e32 v51, 0x80000000, v51
	v_lshl_add_u32 v42, v42, 23, v52
	v_or3_b32 v42, v51, v42, v44
	v_lshrrev_b32_e32 v44, 16, v42
.LBB836_23:
	s_or_b64 exec, exec, s[10:11]
.LBB836_24:
	s_or_b64 exec, exec, s[8:9]
.LBB836_25:
	s_or_b64 exec, exec, s[2:3]
	s_movk_i32 s2, 0xff
	v_and_b32_sdwa v51, v34, s2 dst_sel:DWORD dst_unused:UNUSED_PAD src0_sel:WORD_1 src1_sel:DWORD
	v_lshrrev_b32_e32 v42, 16, v34
	v_cmp_ne_u16_e32 vcc, 0, v51
	s_and_saveexec_b64 s[2:3], vcc
	s_cbranch_execz .LBB836_31
; %bb.26:
	s_movk_i32 s8, 0x80
	v_cmp_ne_u16_e32 vcc, s8, v51
	v_mov_b32_e32 v45, 0xffff8000
	s_and_saveexec_b64 s[8:9], vcc
	s_cbranch_execz .LBB836_30
; %bb.27:
	v_bfe_u32 v51, v34, 16, 7
	s_movk_i32 s10, 0x7f
	v_cmp_ne_u32_e32 vcc, s10, v51
	v_mov_b32_e32 v45, 0x7f80
	s_and_saveexec_b64 s[10:11], vcc
	s_cbranch_execz .LBB836_29
; %bb.28:
	v_and_b32_e32 v45, 7, v42
	v_ffbh_u32_e32 v52, v45
	v_min_u32_e32 v55, 32, v52
	v_subrev_u32_e32 v52, 28, v55
	v_lshlrev_b64 v[52:53], v52, v[42:43]
	v_lshrrev_b32_e32 v54, 3, v51
	v_sub_u32_e32 v42, 29, v55
	v_and_b32_e32 v52, 7, v52
	v_cmp_gt_u32_e32 vcc, 8, v51
	v_mov_b32_e32 v51, 24
	v_cndmask_b32_e32 v42, v54, v42, vcc
	v_cndmask_b32_e32 v45, v45, v52, vcc
	v_lshlrev_b32_sdwa v51, v51, v34 dst_sel:DWORD dst_unused:UNUSED_PAD src0_sel:DWORD src1_sel:WORD_1
	v_bfrev_b32_e32 v52, 60
	v_lshlrev_b32_e32 v45, 20, v45
	v_and_b32_e32 v51, 0x80000000, v51
	v_lshl_add_u32 v42, v42, 23, v52
	v_or3_b32 v42, v51, v42, v45
	v_lshrrev_b32_e32 v45, 16, v42
.LBB836_29:
	s_or_b64 exec, exec, s[10:11]
.LBB836_30:
	s_or_b64 exec, exec, s[8:9]
.LBB836_31:
	s_or_b64 exec, exec, s[2:3]
	s_mov_b32 s2, 0xffffff
	v_cmp_lt_u32_e32 vcc, s2, v34
	v_mov_b32_e32 v52, 0
	v_mov_b32_e32 v53, 0
	s_and_saveexec_b64 s[2:3], vcc
	s_cbranch_execz .LBB836_37
; %bb.32:
	v_lshrrev_b32_e32 v42, 24, v34
	s_movk_i32 s8, 0x80
	v_cmp_ne_u32_e32 vcc, s8, v42
	v_mov_b32_e32 v53, 0xffff8000
	s_and_saveexec_b64 s[8:9], vcc
	s_cbranch_execz .LBB836_36
; %bb.33:
	v_bfe_u32 v34, v34, 24, 7
	s_movk_i32 s10, 0x7f
	v_cmp_ne_u32_e32 vcc, s10, v34
	v_mov_b32_e32 v53, 0x7f80
	s_and_saveexec_b64 s[10:11], vcc
	s_cbranch_execz .LBB836_35
; %bb.34:
	v_and_b32_e32 v51, 7, v42
	v_ffbh_u32_e32 v54, v51
	v_min_u32_e32 v56, 32, v54
	v_subrev_u32_e32 v54, 28, v56
	v_lshlrev_b64 v[54:55], v54, v[42:43]
	v_lshrrev_b32_e32 v53, 3, v34
	v_sub_u32_e32 v55, 29, v56
	v_and_b32_e32 v54, 7, v54
	v_cmp_gt_u32_e32 vcc, 8, v34
	v_cndmask_b32_e32 v34, v53, v55, vcc
	v_cndmask_b32_e32 v51, v51, v54, vcc
	v_lshlrev_b32_e32 v42, 24, v42
	v_bfrev_b32_e32 v53, 60
	v_lshlrev_b32_e32 v51, 20, v51
	v_and_b32_e32 v42, 0x80000000, v42
	v_lshl_add_u32 v34, v34, 23, v53
	v_or3_b32 v34, v42, v34, v51
	v_lshrrev_b32_e32 v53, 16, v34
.LBB836_35:
	s_or_b64 exec, exec, s[10:11]
.LBB836_36:
	s_or_b64 exec, exec, s[8:9]
.LBB836_37:
	s_or_b64 exec, exec, s[2:3]
	v_cmp_ne_u16_sdwa s[8:9], v35, v52 src0_sel:BYTE_0 src1_sel:DWORD
	s_and_saveexec_b64 s[2:3], s[8:9]
	s_cbranch_execz .LBB836_43
; %bb.38:
	s_movk_i32 s8, 0x80
	v_cmp_ne_u16_sdwa s[10:11], v35, s8 src0_sel:BYTE_0 src1_sel:DWORD
	v_mov_b32_e32 v52, 0xffff8000
	s_and_saveexec_b64 s[8:9], s[10:11]
	s_cbranch_execz .LBB836_42
; %bb.39:
	s_movk_i32 s10, 0x7f
	v_and_b32_e32 v34, 0x7f, v35
	v_cmp_ne_u32_e32 vcc, s10, v34
	v_mov_b32_e32 v52, 0x7f80
	s_and_saveexec_b64 s[10:11], vcc
	s_cbranch_execz .LBB836_41
; %bb.40:
	v_and_b32_e32 v51, 7, v35
	v_ffbh_u32_e32 v54, v51
	v_min_u32_e32 v56, 32, v54
	v_mov_b32_e32 v42, v35
	v_subrev_u32_e32 v54, 28, v56
	v_lshlrev_b64 v[54:55], v54, v[42:43]
	v_lshrrev_b32_e32 v52, 3, v34
	v_sub_u32_e32 v42, 29, v56
	v_and_b32_e32 v54, 7, v54
	v_cmp_gt_u32_e32 vcc, 8, v34
	v_cndmask_b32_e32 v34, v52, v42, vcc
	v_cndmask_b32_e32 v42, v51, v54, vcc
	v_lshlrev_b32_e32 v51, 24, v35
	v_bfrev_b32_e32 v52, 60
	v_lshlrev_b32_e32 v42, 20, v42
	v_and_b32_e32 v51, 0x80000000, v51
	v_lshl_add_u32 v34, v34, 23, v52
	v_or3_b32 v34, v51, v34, v42
	v_lshrrev_b32_e32 v52, 16, v34
.LBB836_41:
	s_or_b64 exec, exec, s[10:11]
.LBB836_42:
	s_or_b64 exec, exec, s[8:9]
.LBB836_43:
	s_or_b64 exec, exec, s[2:3]
	v_lshrrev_b16_e32 v34, 8, v35
	v_cmp_ne_u16_e32 vcc, 0, v34
	v_mov_b32_e32 v54, 0
	v_mov_b32_e32 v42, 0
	s_and_saveexec_b64 s[2:3], vcc
	s_cbranch_execz .LBB836_49
; %bb.44:
	s_movk_i32 s8, 0x80
	v_cmp_ne_u16_e32 vcc, s8, v34
	v_mov_b32_e32 v42, 0xffff8000
	s_and_saveexec_b64 s[8:9], vcc
	s_cbranch_execz .LBB836_48
; %bb.45:
	s_movk_i32 s10, 0x7f
	v_and_b32_e32 v51, 0x7f, v34
	v_cmp_ne_u32_e32 vcc, s10, v51
	v_mov_b32_e32 v42, 0x7f80
	s_and_saveexec_b64 s[10:11], vcc
	s_cbranch_execz .LBB836_47
; %bb.46:
	v_and_b32_e32 v42, 7, v34
	v_ffbh_u32_e32 v56, v42
	v_min_u32_e32 v58, 32, v56
	v_subrev_u32_e32 v56, 28, v58
	v_lshlrev_b64 v[56:57], v56, v[34:35]
	v_lshrrev_b32_e32 v55, 3, v51
	v_sub_u32_e32 v34, 29, v58
	v_and_b32_e32 v56, 7, v56
	v_cmp_gt_u32_e32 vcc, 8, v51
	v_cndmask_b32_e32 v34, v55, v34, vcc
	v_cndmask_b32_e32 v42, v42, v56, vcc
	v_lshlrev_b32_e32 v51, 16, v35
	v_bfrev_b32_e32 v55, 60
	v_lshlrev_b32_e32 v42, 20, v42
	v_and_b32_e32 v51, 0x80000000, v51
	v_lshl_add_u32 v34, v34, 23, v55
	v_or3_b32 v34, v51, v34, v42
	v_lshrrev_b32_e32 v42, 16, v34
.LBB836_47:
	s_or_b64 exec, exec, s[10:11]
.LBB836_48:
	s_or_b64 exec, exec, s[8:9]
.LBB836_49:
	s_or_b64 exec, exec, s[2:3]
	s_movk_i32 s2, 0xff
	v_and_b32_sdwa v51, v35, s2 dst_sel:DWORD dst_unused:UNUSED_PAD src0_sel:WORD_1 src1_sel:DWORD
	v_lshrrev_b32_e32 v34, 16, v35
	v_cmp_ne_u16_e32 vcc, 0, v51
	s_and_saveexec_b64 s[2:3], vcc
	s_cbranch_execz .LBB836_55
; %bb.50:
	s_movk_i32 s8, 0x80
	v_cmp_ne_u16_e32 vcc, s8, v51
	v_mov_b32_e32 v54, 0xffff8000
	s_and_saveexec_b64 s[8:9], vcc
	s_cbranch_execz .LBB836_54
; %bb.51:
	v_bfe_u32 v51, v35, 16, 7
	s_movk_i32 s10, 0x7f
	v_cmp_ne_u32_e32 vcc, s10, v51
	v_mov_b32_e32 v54, 0x7f80
	s_and_saveexec_b64 s[10:11], vcc
	s_cbranch_execz .LBB836_53
; %bb.52:
	v_and_b32_e32 v56, 7, v34
	v_ffbh_u32_e32 v54, v56
	v_min_u32_e32 v58, 32, v54
	v_subrev_u32_e32 v54, 28, v58
	v_lshlrev_b64 v[54:55], v54, v[34:35]
	v_and_b32_e32 v54, 7, v54
	v_cmp_gt_u32_e32 vcc, 8, v51
	v_lshrrev_b32_e32 v57, 3, v51
	v_sub_u32_e32 v34, 29, v58
	v_cndmask_b32_e32 v51, v56, v54, vcc
	v_mov_b32_e32 v54, 24
	v_cndmask_b32_e32 v34, v57, v34, vcc
	v_lshlrev_b32_sdwa v54, v54, v35 dst_sel:DWORD dst_unused:UNUSED_PAD src0_sel:DWORD src1_sel:WORD_1
	v_bfrev_b32_e32 v55, 60
	v_lshlrev_b32_e32 v51, 20, v51
	v_and_b32_e32 v54, 0x80000000, v54
	v_lshl_add_u32 v34, v34, 23, v55
	v_or3_b32 v34, v54, v34, v51
	v_lshrrev_b32_e32 v54, 16, v34
.LBB836_53:
	s_or_b64 exec, exec, s[10:11]
.LBB836_54:
	s_or_b64 exec, exec, s[8:9]
.LBB836_55:
	s_or_b64 exec, exec, s[2:3]
	s_mov_b32 s2, 0xffffff
	v_cmp_lt_u32_e32 vcc, s2, v35
	v_mov_b32_e32 v51, 0
	v_mov_b32_e32 v55, 0
	s_and_saveexec_b64 s[2:3], vcc
	s_cbranch_execz .LBB836_61
; %bb.56:
	v_lshrrev_b32_e32 v34, 24, v35
	s_movk_i32 s8, 0x80
	v_cmp_ne_u32_e32 vcc, s8, v34
	v_mov_b32_e32 v55, 0xffff8000
	s_and_saveexec_b64 s[8:9], vcc
	s_cbranch_execz .LBB836_60
; %bb.57:
	v_bfe_u32 v35, v35, 24, 7
	s_movk_i32 s10, 0x7f
	v_cmp_ne_u32_e32 vcc, s10, v35
	v_mov_b32_e32 v55, 0x7f80
	s_and_saveexec_b64 s[10:11], vcc
	s_cbranch_execz .LBB836_59
; %bb.58:
	v_and_b32_e32 v55, 7, v34
	v_ffbh_u32_e32 v56, v55
	v_min_u32_e32 v59, 32, v56
	v_subrev_u32_e32 v56, 28, v59
	v_lshlrev_b64 v[56:57], v56, v[34:35]
	v_lshrrev_b32_e32 v58, 3, v35
	v_sub_u32_e32 v57, 29, v59
	v_and_b32_e32 v56, 7, v56
	v_cmp_gt_u32_e32 vcc, 8, v35
	v_cndmask_b32_e32 v35, v58, v57, vcc
	v_cndmask_b32_e32 v55, v55, v56, vcc
	v_lshlrev_b32_e32 v34, 24, v34
	v_bfrev_b32_e32 v56, 60
	v_lshlrev_b32_e32 v55, 20, v55
	v_and_b32_e32 v34, 0x80000000, v34
	v_lshl_add_u32 v35, v35, 23, v56
	v_or3_b32 v34, v34, v35, v55
	v_lshrrev_b32_e32 v55, 16, v34
.LBB836_59:
	s_or_b64 exec, exec, s[10:11]
.LBB836_60:
	s_or_b64 exec, exec, s[8:9]
.LBB836_61:
	s_or_b64 exec, exec, s[2:3]
	s_mov_b32 s2, 0x5040100
	v_perm_b32 v35, v53, v45, s2
	v_perm_b32 v34, v44, v43, s2
	v_cmp_ne_u16_sdwa s[8:9], v36, v51 src0_sel:BYTE_0 src1_sel:DWORD
	s_nop 0
	v_mfma_f32_16x16x16bf16_1k v[56:59], v[34:35], v[26:27], 0
	v_perm_b32 v35, v55, v54, s2
	v_perm_b32 v34, v42, v52, s2
	s_nop 1
	v_mfma_f32_16x16x16bf16_1k v[42:45], v[34:35], v[28:29], v[56:59]
	s_and_saveexec_b64 s[2:3], s[8:9]
	s_cbranch_execz .LBB836_67
; %bb.62:
	s_movk_i32 s8, 0x80
	v_cmp_ne_u16_sdwa s[10:11], v36, s8 src0_sel:BYTE_0 src1_sel:DWORD
	v_mov_b32_e32 v51, 0xffff8000
	s_and_saveexec_b64 s[8:9], s[10:11]
	s_cbranch_execz .LBB836_66
; %bb.63:
	s_movk_i32 s10, 0x7f
	v_and_b32_e32 v34, 0x7f, v36
	v_cmp_ne_u32_e32 vcc, s10, v34
	v_mov_b32_e32 v51, 0x7f80
	s_and_saveexec_b64 s[10:11], vcc
	s_cbranch_execz .LBB836_65
; %bb.64:
	v_and_b32_e32 v35, 7, v36
	v_ffbh_u32_e32 v52, v35
	v_min_u32_e32 v54, 32, v52
	v_subrev_u32_e32 v52, 28, v54
	v_lshlrev_b64 v[52:53], v52, v[36:37]
	v_lshrrev_b32_e32 v51, 3, v34
	v_sub_u32_e32 v53, 29, v54
	v_and_b32_e32 v52, 7, v52
	v_cmp_gt_u32_e32 vcc, 8, v34
	v_cndmask_b32_e32 v34, v51, v53, vcc
	v_cndmask_b32_e32 v35, v35, v52, vcc
	v_lshlrev_b32_e32 v51, 24, v36
	v_bfrev_b32_e32 v52, 60
	v_lshlrev_b32_e32 v35, 20, v35
	v_and_b32_e32 v51, 0x80000000, v51
	v_lshl_add_u32 v34, v34, 23, v52
	v_or3_b32 v34, v51, v34, v35
	v_lshrrev_b32_e32 v51, 16, v34
.LBB836_65:
	s_or_b64 exec, exec, s[10:11]
.LBB836_66:
	s_or_b64 exec, exec, s[8:9]
.LBB836_67:
	s_or_b64 exec, exec, s[2:3]
	v_lshrrev_b16_e32 v34, 8, v36
	v_cmp_ne_u16_e32 vcc, 0, v34
	v_mov_b32_e32 v53, 0
	v_mov_b32_e32 v35, 0
	s_and_saveexec_b64 s[2:3], vcc
	s_cbranch_execz .LBB836_73
; %bb.68:
	s_movk_i32 s8, 0x80
	v_cmp_ne_u16_e32 vcc, s8, v34
	v_mov_b32_e32 v35, 0xffff8000
	s_and_saveexec_b64 s[8:9], vcc
	s_cbranch_execz .LBB836_72
; %bb.69:
	s_movk_i32 s10, 0x7f
	v_and_b32_e32 v52, 0x7f, v34
	v_cmp_ne_u32_e32 vcc, s10, v52
	v_mov_b32_e32 v35, 0x7f80
	s_and_saveexec_b64 s[10:11], vcc
	s_cbranch_execz .LBB836_71
; %bb.70:
	v_and_b32_e32 v54, 7, v34
	v_ffbh_u32_e32 v35, v54
	v_min_u32_e32 v56, 32, v35
	v_subrev_u32_e32 v35, 28, v56
	v_lshlrev_b64 v[34:35], v35, v[34:35]
	v_lshrrev_b32_e32 v55, 3, v52
	v_sub_u32_e32 v35, 29, v56
	v_and_b32_e32 v34, 7, v34
	v_cmp_gt_u32_e32 vcc, 8, v52
	v_cndmask_b32_e32 v35, v55, v35, vcc
	v_cndmask_b32_e32 v34, v54, v34, vcc
	v_lshlrev_b32_e32 v52, 16, v36
	v_bfrev_b32_e32 v54, 60
	v_lshlrev_b32_e32 v34, 20, v34
	v_and_b32_e32 v52, 0x80000000, v52
	v_lshl_add_u32 v35, v35, 23, v54
	v_or3_b32 v34, v52, v35, v34
	v_lshrrev_b32_e32 v35, 16, v34
.LBB836_71:
	s_or_b64 exec, exec, s[10:11]
.LBB836_72:
	s_or_b64 exec, exec, s[8:9]
.LBB836_73:
	s_or_b64 exec, exec, s[2:3]
	s_movk_i32 s2, 0xff
	v_and_b32_sdwa v52, v36, s2 dst_sel:DWORD dst_unused:UNUSED_PAD src0_sel:WORD_1 src1_sel:DWORD
	v_lshrrev_b32_e32 v34, 16, v36
	v_cmp_ne_u16_e32 vcc, 0, v52
	s_and_saveexec_b64 s[2:3], vcc
	s_cbranch_execz .LBB836_79
; %bb.74:
	s_movk_i32 s8, 0x80
	v_cmp_ne_u16_e32 vcc, s8, v52
	v_mov_b32_e32 v53, 0xffff8000
	s_and_saveexec_b64 s[8:9], vcc
	s_cbranch_execz .LBB836_78
; %bb.75:
	v_bfe_u32 v52, v36, 16, 7
	s_movk_i32 s10, 0x7f
	v_cmp_ne_u32_e32 vcc, s10, v52
	v_mov_b32_e32 v53, 0x7f80
	s_and_saveexec_b64 s[10:11], vcc
	s_cbranch_execz .LBB836_77
; %bb.76:
	v_and_b32_e32 v53, 7, v34
	v_ffbh_u32_e32 v54, v53
	v_min_u32_e32 v57, 32, v54
	v_subrev_u32_e32 v54, 28, v57
	v_lshlrev_b64 v[54:55], v54, v[34:35]
	v_and_b32_e32 v54, 7, v54
	v_cmp_gt_u32_e32 vcc, 8, v52
	v_lshrrev_b32_e32 v56, 3, v52
	v_sub_u32_e32 v34, 29, v57
	v_cndmask_b32_e32 v52, v53, v54, vcc
	v_mov_b32_e32 v53, 24
	v_cndmask_b32_e32 v34, v56, v34, vcc
	v_lshlrev_b32_sdwa v53, v53, v36 dst_sel:DWORD dst_unused:UNUSED_PAD src0_sel:DWORD src1_sel:WORD_1
	v_bfrev_b32_e32 v54, 60
	v_lshlrev_b32_e32 v52, 20, v52
	v_and_b32_e32 v53, 0x80000000, v53
	v_lshl_add_u32 v34, v34, 23, v54
	v_or3_b32 v34, v53, v34, v52
	v_lshrrev_b32_e32 v53, 16, v34
.LBB836_77:
	s_or_b64 exec, exec, s[10:11]
.LBB836_78:
	s_or_b64 exec, exec, s[8:9]
.LBB836_79:
	s_or_b64 exec, exec, s[2:3]
	s_mov_b32 s2, 0xffffff
	v_cmp_lt_u32_e32 vcc, s2, v36
	v_mov_b32_e32 v54, 0
	v_mov_b32_e32 v55, 0
	s_and_saveexec_b64 s[2:3], vcc
	s_cbranch_execz .LBB836_85
; %bb.80:
	v_lshrrev_b32_e32 v34, 24, v36
	s_movk_i32 s8, 0x80
	v_cmp_ne_u32_e32 vcc, s8, v34
	v_mov_b32_e32 v55, 0xffff8000
	s_and_saveexec_b64 s[8:9], vcc
	s_cbranch_execz .LBB836_84
; %bb.81:
	v_bfe_u32 v36, v36, 24, 7
	s_movk_i32 s10, 0x7f
	v_cmp_ne_u32_e32 vcc, s10, v36
	v_mov_b32_e32 v55, 0x7f80
	s_and_saveexec_b64 s[10:11], vcc
	s_cbranch_execz .LBB836_83
; %bb.82:
	v_and_b32_e32 v52, 7, v34
	v_ffbh_u32_e32 v56, v52
	v_min_u32_e32 v58, 32, v56
	v_subrev_u32_e32 v56, 28, v58
	v_lshlrev_b64 v[56:57], v56, v[34:35]
	v_lshrrev_b32_e32 v55, 3, v36
	v_sub_u32_e32 v57, 29, v58
	v_and_b32_e32 v56, 7, v56
	v_cmp_gt_u32_e32 vcc, 8, v36
	v_cndmask_b32_e32 v36, v55, v57, vcc
	v_cndmask_b32_e32 v52, v52, v56, vcc
	v_lshlrev_b32_e32 v34, 24, v34
	v_bfrev_b32_e32 v55, 60
	v_lshlrev_b32_e32 v52, 20, v52
	v_and_b32_e32 v34, 0x80000000, v34
	v_lshl_add_u32 v36, v36, 23, v55
	v_or3_b32 v34, v34, v36, v52
	v_lshrrev_b32_e32 v55, 16, v34
.LBB836_83:
	s_or_b64 exec, exec, s[10:11]
.LBB836_84:
	s_or_b64 exec, exec, s[8:9]
.LBB836_85:
	s_or_b64 exec, exec, s[2:3]
	v_cmp_ne_u16_sdwa s[8:9], v37, v54 src0_sel:BYTE_0 src1_sel:DWORD
	s_and_saveexec_b64 s[2:3], s[8:9]
	s_cbranch_execz .LBB836_91
; %bb.86:
	s_movk_i32 s8, 0x80
	v_cmp_ne_u16_sdwa s[10:11], v37, s8 src0_sel:BYTE_0 src1_sel:DWORD
	v_mov_b32_e32 v54, 0xffff8000
	s_and_saveexec_b64 s[8:9], s[10:11]
	s_cbranch_execz .LBB836_90
; %bb.87:
	s_movk_i32 s10, 0x7f
	v_and_b32_e32 v34, 0x7f, v37
	v_cmp_ne_u32_e32 vcc, s10, v34
	v_mov_b32_e32 v54, 0x7f80
	s_and_saveexec_b64 s[10:11], vcc
	s_cbranch_execz .LBB836_89
; %bb.88:
	v_and_b32_e32 v52, 7, v37
	v_ffbh_u32_e32 v56, v52
	v_min_u32_e32 v58, 32, v56
	v_mov_b32_e32 v36, v37
	v_subrev_u32_e32 v56, 28, v58
	v_lshlrev_b64 v[56:57], v56, v[36:37]
	v_lshrrev_b32_e32 v54, 3, v34
	v_sub_u32_e32 v36, 29, v58
	v_and_b32_e32 v56, 7, v56
	v_cmp_gt_u32_e32 vcc, 8, v34
	v_cndmask_b32_e32 v34, v54, v36, vcc
	v_cndmask_b32_e32 v36, v52, v56, vcc
	v_lshlrev_b32_e32 v52, 24, v37
	v_bfrev_b32_e32 v54, 60
	v_lshlrev_b32_e32 v36, 20, v36
	v_and_b32_e32 v52, 0x80000000, v52
	v_lshl_add_u32 v34, v34, 23, v54
	v_or3_b32 v34, v52, v34, v36
	v_lshrrev_b32_e32 v54, 16, v34
.LBB836_89:
	s_or_b64 exec, exec, s[10:11]
.LBB836_90:
	s_or_b64 exec, exec, s[8:9]
.LBB836_91:
	s_or_b64 exec, exec, s[2:3]
	v_lshrrev_b16_e32 v34, 8, v37
	v_cmp_ne_u16_e32 vcc, 0, v34
	v_mov_b32_e32 v56, 0
	v_mov_b32_e32 v36, 0
	s_and_saveexec_b64 s[2:3], vcc
	s_cbranch_execz .LBB836_97
; %bb.92:
	s_movk_i32 s8, 0x80
	v_cmp_ne_u16_e32 vcc, s8, v34
	v_mov_b32_e32 v36, 0xffff8000
	s_and_saveexec_b64 s[8:9], vcc
	s_cbranch_execz .LBB836_96
; %bb.93:
	s_movk_i32 s10, 0x7f
	v_and_b32_e32 v52, 0x7f, v34
	v_cmp_ne_u32_e32 vcc, s10, v52
	v_mov_b32_e32 v36, 0x7f80
	s_and_saveexec_b64 s[10:11], vcc
	s_cbranch_execz .LBB836_95
; %bb.94:
	v_and_b32_e32 v36, 7, v34
	v_ffbh_u32_e32 v58, v36
	v_min_u32_e32 v60, 32, v58
	v_subrev_u32_e32 v58, 28, v60
	v_lshlrev_b64 v[58:59], v58, v[34:35]
	v_lshrrev_b32_e32 v57, 3, v52
	v_sub_u32_e32 v34, 29, v60
	v_and_b32_e32 v58, 7, v58
	v_cmp_gt_u32_e32 vcc, 8, v52
	v_cndmask_b32_e32 v34, v57, v34, vcc
	v_cndmask_b32_e32 v36, v36, v58, vcc
	v_lshlrev_b32_e32 v52, 16, v37
	v_bfrev_b32_e32 v57, 60
	v_lshlrev_b32_e32 v36, 20, v36
	v_and_b32_e32 v52, 0x80000000, v52
	v_lshl_add_u32 v34, v34, 23, v57
	v_or3_b32 v34, v52, v34, v36
	v_lshrrev_b32_e32 v36, 16, v34
.LBB836_95:
	s_or_b64 exec, exec, s[10:11]
.LBB836_96:
	s_or_b64 exec, exec, s[8:9]
.LBB836_97:
	s_or_b64 exec, exec, s[2:3]
	s_movk_i32 s2, 0xff
	v_and_b32_sdwa v52, v37, s2 dst_sel:DWORD dst_unused:UNUSED_PAD src0_sel:WORD_1 src1_sel:DWORD
	v_lshrrev_b32_e32 v34, 16, v37
	v_cmp_ne_u16_e32 vcc, 0, v52
	s_and_saveexec_b64 s[2:3], vcc
	s_cbranch_execz .LBB836_103
; %bb.98:
	s_movk_i32 s8, 0x80
	v_cmp_ne_u16_e32 vcc, s8, v52
	v_mov_b32_e32 v56, 0xffff8000
	s_and_saveexec_b64 s[8:9], vcc
	s_cbranch_execz .LBB836_102
; %bb.99:
	v_bfe_u32 v52, v37, 16, 7
	s_movk_i32 s10, 0x7f
	v_cmp_ne_u32_e32 vcc, s10, v52
	v_mov_b32_e32 v56, 0x7f80
	s_and_saveexec_b64 s[10:11], vcc
	s_cbranch_execz .LBB836_101
; %bb.100:
	v_and_b32_e32 v58, 7, v34
	v_ffbh_u32_e32 v56, v58
	v_min_u32_e32 v60, 32, v56
	v_subrev_u32_e32 v56, 28, v60
	v_lshlrev_b64 v[56:57], v56, v[34:35]
	v_and_b32_e32 v56, 7, v56
	v_cmp_gt_u32_e32 vcc, 8, v52
	v_lshrrev_b32_e32 v59, 3, v52
	v_sub_u32_e32 v34, 29, v60
	v_cndmask_b32_e32 v52, v58, v56, vcc
	v_mov_b32_e32 v56, 24
	v_cndmask_b32_e32 v34, v59, v34, vcc
	v_lshlrev_b32_sdwa v56, v56, v37 dst_sel:DWORD dst_unused:UNUSED_PAD src0_sel:DWORD src1_sel:WORD_1
	v_bfrev_b32_e32 v57, 60
	v_lshlrev_b32_e32 v52, 20, v52
	v_and_b32_e32 v56, 0x80000000, v56
	v_lshl_add_u32 v34, v34, 23, v57
	v_or3_b32 v34, v56, v34, v52
	v_lshrrev_b32_e32 v56, 16, v34
.LBB836_101:
	s_or_b64 exec, exec, s[10:11]
.LBB836_102:
	s_or_b64 exec, exec, s[8:9]
.LBB836_103:
	s_or_b64 exec, exec, s[2:3]
	s_mov_b32 s2, 0xffffff
	v_cmp_lt_u32_e32 vcc, s2, v37
	v_mov_b32_e32 v52, 0
	v_mov_b32_e32 v57, 0
	s_and_saveexec_b64 s[2:3], vcc
	s_cbranch_execz .LBB836_109
; %bb.104:
	v_lshrrev_b32_e32 v34, 24, v37
	s_movk_i32 s8, 0x80
	v_cmp_ne_u32_e32 vcc, s8, v34
	v_mov_b32_e32 v57, 0xffff8000
	s_and_saveexec_b64 s[8:9], vcc
	s_cbranch_execz .LBB836_108
; %bb.105:
	v_bfe_u32 v37, v37, 24, 7
	s_movk_i32 s10, 0x7f
	v_cmp_ne_u32_e32 vcc, s10, v37
	v_mov_b32_e32 v57, 0x7f80
	s_and_saveexec_b64 s[10:11], vcc
	s_cbranch_execz .LBB836_107
; %bb.106:
	v_and_b32_e32 v57, 7, v34
	v_ffbh_u32_e32 v58, v57
	v_min_u32_e32 v61, 32, v58
	v_subrev_u32_e32 v58, 28, v61
	v_lshlrev_b64 v[58:59], v58, v[34:35]
	v_lshrrev_b32_e32 v60, 3, v37
	v_sub_u32_e32 v59, 29, v61
	v_and_b32_e32 v58, 7, v58
	v_cmp_gt_u32_e32 vcc, 8, v37
	v_cndmask_b32_e32 v37, v60, v59, vcc
	v_cndmask_b32_e32 v57, v57, v58, vcc
	v_lshlrev_b32_e32 v34, 24, v34
	v_bfrev_b32_e32 v58, 60
	v_lshlrev_b32_e32 v57, 20, v57
	v_and_b32_e32 v34, 0x80000000, v34
	v_lshl_add_u32 v37, v37, 23, v58
	v_or3_b32 v34, v34, v37, v57
	v_lshrrev_b32_e32 v57, 16, v34
.LBB836_107:
	s_or_b64 exec, exec, s[10:11]
.LBB836_108:
	s_or_b64 exec, exec, s[8:9]
.LBB836_109:
	s_or_b64 exec, exec, s[2:3]
	s_mov_b32 s2, 0x5040100
	v_perm_b32 v59, v55, v53, s2
	v_perm_b32 v58, v35, v51, s2
	v_perm_b32 v35, v57, v56, s2
	v_perm_b32 v34, v36, v54, s2
	v_cmp_ne_u16_sdwa s[8:9], v38, v52 src0_sel:BYTE_0 src1_sel:DWORD
	v_mfma_f32_16x16x16bf16_1k v[42:45], v[58:59], v[18:19], v[42:45]
	v_mfma_f32_16x16x16bf16_1k v[34:37], v[34:35], v[20:21], v[42:45]
	s_and_saveexec_b64 s[2:3], s[8:9]
	s_cbranch_execz .LBB836_115
; %bb.110:
	s_movk_i32 s8, 0x80
	v_cmp_ne_u16_sdwa s[10:11], v38, s8 src0_sel:BYTE_0 src1_sel:DWORD
	v_mov_b32_e32 v52, 0xffff8000
	s_and_saveexec_b64 s[8:9], s[10:11]
	s_cbranch_execz .LBB836_114
; %bb.111:
	s_movk_i32 s10, 0x7f
	s_nop 1
	v_and_b32_e32 v42, 0x7f, v38
	v_cmp_ne_u32_e32 vcc, s10, v42
	v_mov_b32_e32 v52, 0x7f80
	s_and_saveexec_b64 s[10:11], vcc
	s_cbranch_execz .LBB836_113
; %bb.112:
	v_and_b32_e32 v43, 7, v38
	v_ffbh_u32_e32 v44, v43
	v_min_u32_e32 v52, 32, v44
	v_subrev_u32_e32 v44, 28, v52
	v_lshlrev_b64 v[44:45], v44, v[38:39]
	v_lshrrev_b32_e32 v51, 3, v42
	v_sub_u32_e32 v45, 29, v52
	v_and_b32_e32 v44, 7, v44
	v_cmp_gt_u32_e32 vcc, 8, v42
	v_cndmask_b32_e32 v42, v51, v45, vcc
	v_cndmask_b32_e32 v43, v43, v44, vcc
	v_lshlrev_b32_e32 v44, 24, v38
	v_bfrev_b32_e32 v45, 60
	v_lshlrev_b32_e32 v43, 20, v43
	v_and_b32_e32 v44, 0x80000000, v44
	v_lshl_add_u32 v42, v42, 23, v45
	v_or3_b32 v42, v44, v42, v43
	v_lshrrev_b32_e32 v52, 16, v42
.LBB836_113:
	s_or_b64 exec, exec, s[10:11]
.LBB836_114:
	s_or_b64 exec, exec, s[8:9]
.LBB836_115:
	s_or_b64 exec, exec, s[2:3]
	s_nop 6
	v_lshrrev_b16_e32 v42, 8, v38
	v_cmp_ne_u16_e32 vcc, 0, v42
	v_mov_b32_e32 v44, 0
	v_mov_b32_e32 v43, 0
	s_and_saveexec_b64 s[2:3], vcc
	s_cbranch_execz .LBB836_121
; %bb.116:
	s_movk_i32 s8, 0x80
	v_cmp_ne_u16_e32 vcc, s8, v42
	v_mov_b32_e32 v43, 0xffff8000
	s_and_saveexec_b64 s[8:9], vcc
	s_cbranch_execz .LBB836_120
; %bb.117:
	s_movk_i32 s10, 0x7f
	v_and_b32_e32 v45, 0x7f, v42
	v_cmp_ne_u32_e32 vcc, s10, v45
	v_mov_b32_e32 v43, 0x7f80
	s_and_saveexec_b64 s[10:11], vcc
	s_cbranch_execz .LBB836_119
; %bb.118:
	v_and_b32_e32 v51, 7, v42
	v_ffbh_u32_e32 v43, v51
	v_min_u32_e32 v54, 32, v43
	v_subrev_u32_e32 v43, 28, v54
	v_lshlrev_b64 v[42:43], v43, v[42:43]
	v_lshrrev_b32_e32 v53, 3, v45
	v_sub_u32_e32 v43, 29, v54
	v_and_b32_e32 v42, 7, v42
	v_cmp_gt_u32_e32 vcc, 8, v45
	v_cndmask_b32_e32 v43, v53, v43, vcc
	v_cndmask_b32_e32 v42, v51, v42, vcc
	v_lshlrev_b32_e32 v45, 16, v38
	v_bfrev_b32_e32 v51, 60
	v_lshlrev_b32_e32 v42, 20, v42
	v_and_b32_e32 v45, 0x80000000, v45
	v_lshl_add_u32 v43, v43, 23, v51
	v_or3_b32 v42, v45, v43, v42
	v_lshrrev_b32_e32 v43, 16, v42
.LBB836_119:
	s_or_b64 exec, exec, s[10:11]
.LBB836_120:
	s_or_b64 exec, exec, s[8:9]
.LBB836_121:
	s_or_b64 exec, exec, s[2:3]
	s_movk_i32 s2, 0xff
	v_and_b32_sdwa v45, v38, s2 dst_sel:DWORD dst_unused:UNUSED_PAD src0_sel:WORD_1 src1_sel:DWORD
	v_lshrrev_b32_e32 v42, 16, v38
	v_cmp_ne_u16_e32 vcc, 0, v45
	s_and_saveexec_b64 s[2:3], vcc
	s_cbranch_execz .LBB836_127
; %bb.122:
	s_movk_i32 s8, 0x80
	v_cmp_ne_u16_e32 vcc, s8, v45
	v_mov_b32_e32 v44, 0xffff8000
	s_and_saveexec_b64 s[8:9], vcc
	s_cbranch_execz .LBB836_126
; %bb.123:
	v_bfe_u32 v45, v38, 16, 7
	s_movk_i32 s10, 0x7f
	v_cmp_ne_u32_e32 vcc, s10, v45
	v_mov_b32_e32 v44, 0x7f80
	s_and_saveexec_b64 s[10:11], vcc
	s_cbranch_execz .LBB836_125
; %bb.124:
	v_and_b32_e32 v44, 7, v42
	v_ffbh_u32_e32 v53, v44
	v_min_u32_e32 v53, 32, v53
	v_subrev_u32_e32 v54, 28, v53
	v_lshlrev_b64 v[54:55], v54, v[42:43]
	v_lshrrev_b32_e32 v51, 3, v45
	v_sub_u32_e32 v42, 29, v53
	v_and_b32_e32 v53, 7, v54
	v_cmp_gt_u32_e32 vcc, 8, v45
	v_mov_b32_e32 v45, 24
	v_cndmask_b32_e32 v42, v51, v42, vcc
	v_cndmask_b32_e32 v44, v44, v53, vcc
	v_lshlrev_b32_sdwa v45, v45, v38 dst_sel:DWORD dst_unused:UNUSED_PAD src0_sel:DWORD src1_sel:WORD_1
	v_bfrev_b32_e32 v51, 60
	v_lshlrev_b32_e32 v44, 20, v44
	v_and_b32_e32 v45, 0x80000000, v45
	v_lshl_add_u32 v42, v42, 23, v51
	v_or3_b32 v42, v45, v42, v44
	v_lshrrev_b32_e32 v44, 16, v42
.LBB836_125:
	s_or_b64 exec, exec, s[10:11]
.LBB836_126:
	s_or_b64 exec, exec, s[8:9]
.LBB836_127:
	s_or_b64 exec, exec, s[2:3]
	s_mov_b32 s2, 0xffffff
	v_cmp_lt_u32_e32 vcc, s2, v38
	v_mov_b32_e32 v45, 0
	v_mov_b32_e32 v53, 0
	s_and_saveexec_b64 s[2:3], vcc
	s_cbranch_execz .LBB836_133
; %bb.128:
	v_lshrrev_b32_e32 v42, 24, v38
	s_movk_i32 s8, 0x80
	v_cmp_ne_u32_e32 vcc, s8, v42
	v_mov_b32_e32 v53, 0xffff8000
	s_and_saveexec_b64 s[8:9], vcc
	s_cbranch_execz .LBB836_132
; %bb.129:
	v_bfe_u32 v38, v38, 24, 7
	s_movk_i32 s10, 0x7f
	v_cmp_ne_u32_e32 vcc, s10, v38
	v_mov_b32_e32 v53, 0x7f80
	s_and_saveexec_b64 s[10:11], vcc
	s_cbranch_execz .LBB836_131
; %bb.130:
	v_and_b32_e32 v51, 7, v42
	v_ffbh_u32_e32 v54, v51
	v_min_u32_e32 v56, 32, v54
	v_subrev_u32_e32 v54, 28, v56
	v_lshlrev_b64 v[54:55], v54, v[42:43]
	v_lshrrev_b32_e32 v53, 3, v38
	v_sub_u32_e32 v55, 29, v56
	v_and_b32_e32 v54, 7, v54
	v_cmp_gt_u32_e32 vcc, 8, v38
	v_cndmask_b32_e32 v38, v53, v55, vcc
	v_cndmask_b32_e32 v51, v51, v54, vcc
	v_lshlrev_b32_e32 v42, 24, v42
	v_bfrev_b32_e32 v53, 60
	v_lshlrev_b32_e32 v51, 20, v51
	v_and_b32_e32 v42, 0x80000000, v42
	v_lshl_add_u32 v38, v38, 23, v53
	v_or3_b32 v38, v42, v38, v51
	v_lshrrev_b32_e32 v53, 16, v38
.LBB836_131:
	s_or_b64 exec, exec, s[10:11]
.LBB836_132:
	s_or_b64 exec, exec, s[8:9]
.LBB836_133:
	s_or_b64 exec, exec, s[2:3]
	v_cmp_ne_u16_sdwa s[8:9], v39, v45 src0_sel:BYTE_0 src1_sel:DWORD
	s_and_saveexec_b64 s[2:3], s[8:9]
	s_cbranch_execz .LBB836_139
; %bb.134:
	s_movk_i32 s8, 0x80
	v_cmp_ne_u16_sdwa s[10:11], v39, s8 src0_sel:BYTE_0 src1_sel:DWORD
	v_mov_b32_e32 v45, 0xffff8000
	s_and_saveexec_b64 s[8:9], s[10:11]
	s_cbranch_execz .LBB836_138
; %bb.135:
	s_movk_i32 s10, 0x7f
	v_and_b32_e32 v38, 0x7f, v39
	v_cmp_ne_u32_e32 vcc, s10, v38
	v_mov_b32_e32 v45, 0x7f80
	s_and_saveexec_b64 s[10:11], vcc
	s_cbranch_execz .LBB836_137
; %bb.136:
	v_and_b32_e32 v45, 7, v39
	v_ffbh_u32_e32 v54, v45
	v_min_u32_e32 v56, 32, v54
	v_mov_b32_e32 v42, v39
	v_subrev_u32_e32 v54, 28, v56
	v_lshlrev_b64 v[54:55], v54, v[42:43]
	v_lshrrev_b32_e32 v51, 3, v38
	v_sub_u32_e32 v42, 29, v56
	v_and_b32_e32 v54, 7, v54
	v_cmp_gt_u32_e32 vcc, 8, v38
	v_cndmask_b32_e32 v38, v51, v42, vcc
	v_cndmask_b32_e32 v42, v45, v54, vcc
	v_lshlrev_b32_e32 v45, 24, v39
	v_bfrev_b32_e32 v51, 60
	v_lshlrev_b32_e32 v42, 20, v42
	v_and_b32_e32 v45, 0x80000000, v45
	v_lshl_add_u32 v38, v38, 23, v51
	v_or3_b32 v38, v45, v38, v42
	v_lshrrev_b32_e32 v45, 16, v38
.LBB836_137:
	s_or_b64 exec, exec, s[10:11]
.LBB836_138:
	s_or_b64 exec, exec, s[8:9]
.LBB836_139:
	s_or_b64 exec, exec, s[2:3]
	v_lshrrev_b16_e32 v38, 8, v39
	v_cmp_ne_u16_e32 vcc, 0, v38
	v_mov_b32_e32 v54, 0
	v_mov_b32_e32 v42, 0
	s_and_saveexec_b64 s[2:3], vcc
	s_cbranch_execz .LBB836_145
; %bb.140:
	s_movk_i32 s8, 0x80
	v_cmp_ne_u16_e32 vcc, s8, v38
	v_mov_b32_e32 v42, 0xffff8000
	s_and_saveexec_b64 s[8:9], vcc
	s_cbranch_execz .LBB836_144
; %bb.141:
	s_movk_i32 s10, 0x7f
	v_and_b32_e32 v51, 0x7f, v38
	v_cmp_ne_u32_e32 vcc, s10, v51
	v_mov_b32_e32 v42, 0x7f80
	s_and_saveexec_b64 s[10:11], vcc
	s_cbranch_execz .LBB836_143
; %bb.142:
	v_and_b32_e32 v42, 7, v38
	v_ffbh_u32_e32 v56, v42
	v_min_u32_e32 v58, 32, v56
	v_subrev_u32_e32 v56, 28, v58
	v_lshlrev_b64 v[56:57], v56, v[38:39]
	v_lshrrev_b32_e32 v55, 3, v51
	v_sub_u32_e32 v38, 29, v58
	v_and_b32_e32 v56, 7, v56
	v_cmp_gt_u32_e32 vcc, 8, v51
	v_cndmask_b32_e32 v38, v55, v38, vcc
	v_cndmask_b32_e32 v42, v42, v56, vcc
	v_lshlrev_b32_e32 v51, 16, v39
	v_bfrev_b32_e32 v55, 60
	v_lshlrev_b32_e32 v42, 20, v42
	v_and_b32_e32 v51, 0x80000000, v51
	v_lshl_add_u32 v38, v38, 23, v55
	v_or3_b32 v38, v51, v38, v42
	v_lshrrev_b32_e32 v42, 16, v38
.LBB836_143:
	s_or_b64 exec, exec, s[10:11]
.LBB836_144:
	s_or_b64 exec, exec, s[8:9]
.LBB836_145:
	s_or_b64 exec, exec, s[2:3]
	s_movk_i32 s2, 0xff
	v_and_b32_sdwa v51, v39, s2 dst_sel:DWORD dst_unused:UNUSED_PAD src0_sel:WORD_1 src1_sel:DWORD
	v_lshrrev_b32_e32 v38, 16, v39
	v_cmp_ne_u16_e32 vcc, 0, v51
	s_and_saveexec_b64 s[2:3], vcc
	s_cbranch_execz .LBB836_151
; %bb.146:
	s_movk_i32 s8, 0x80
	v_cmp_ne_u16_e32 vcc, s8, v51
	v_mov_b32_e32 v54, 0xffff8000
	s_and_saveexec_b64 s[8:9], vcc
	s_cbranch_execz .LBB836_150
; %bb.147:
	v_bfe_u32 v51, v39, 16, 7
	s_movk_i32 s10, 0x7f
	v_cmp_ne_u32_e32 vcc, s10, v51
	v_mov_b32_e32 v54, 0x7f80
	s_and_saveexec_b64 s[10:11], vcc
	s_cbranch_execz .LBB836_149
; %bb.148:
	v_and_b32_e32 v56, 7, v38
	v_ffbh_u32_e32 v54, v56
	v_min_u32_e32 v58, 32, v54
	v_subrev_u32_e32 v54, 28, v58
	v_lshlrev_b64 v[54:55], v54, v[38:39]
	v_and_b32_e32 v54, 7, v54
	v_cmp_gt_u32_e32 vcc, 8, v51
	v_lshrrev_b32_e32 v57, 3, v51
	v_sub_u32_e32 v38, 29, v58
	v_cndmask_b32_e32 v51, v56, v54, vcc
	v_mov_b32_e32 v54, 24
	v_cndmask_b32_e32 v38, v57, v38, vcc
	v_lshlrev_b32_sdwa v54, v54, v39 dst_sel:DWORD dst_unused:UNUSED_PAD src0_sel:DWORD src1_sel:WORD_1
	v_bfrev_b32_e32 v55, 60
	v_lshlrev_b32_e32 v51, 20, v51
	v_and_b32_e32 v54, 0x80000000, v54
	v_lshl_add_u32 v38, v38, 23, v55
	v_or3_b32 v38, v54, v38, v51
	v_lshrrev_b32_e32 v54, 16, v38
.LBB836_149:
	s_or_b64 exec, exec, s[10:11]
.LBB836_150:
	s_or_b64 exec, exec, s[8:9]
.LBB836_151:
	s_or_b64 exec, exec, s[2:3]
	s_mov_b32 s2, 0xffffff
	v_cmp_lt_u32_e32 vcc, s2, v39
	v_mov_b32_e32 v51, 0
	v_mov_b32_e32 v55, 0
	s_and_saveexec_b64 s[2:3], vcc
	s_cbranch_execz .LBB836_157
; %bb.152:
	v_lshrrev_b32_e32 v38, 24, v39
	s_movk_i32 s8, 0x80
	v_cmp_ne_u32_e32 vcc, s8, v38
	v_mov_b32_e32 v55, 0xffff8000
	s_and_saveexec_b64 s[8:9], vcc
	s_cbranch_execz .LBB836_156
; %bb.153:
	v_bfe_u32 v39, v39, 24, 7
	s_movk_i32 s10, 0x7f
	v_cmp_ne_u32_e32 vcc, s10, v39
	v_mov_b32_e32 v55, 0x7f80
	s_and_saveexec_b64 s[10:11], vcc
	s_cbranch_execz .LBB836_155
; %bb.154:
	v_and_b32_e32 v55, 7, v38
	v_ffbh_u32_e32 v56, v55
	v_min_u32_e32 v59, 32, v56
	v_subrev_u32_e32 v56, 28, v59
	v_lshlrev_b64 v[56:57], v56, v[38:39]
	v_lshrrev_b32_e32 v58, 3, v39
	v_sub_u32_e32 v57, 29, v59
	v_and_b32_e32 v56, 7, v56
	v_cmp_gt_u32_e32 vcc, 8, v39
	v_cndmask_b32_e32 v39, v58, v57, vcc
	v_cndmask_b32_e32 v55, v55, v56, vcc
	v_lshlrev_b32_e32 v38, 24, v38
	v_bfrev_b32_e32 v56, 60
	v_lshlrev_b32_e32 v55, 20, v55
	v_and_b32_e32 v38, 0x80000000, v38
	v_lshl_add_u32 v39, v39, 23, v56
	v_or3_b32 v38, v38, v39, v55
	v_lshrrev_b32_e32 v55, 16, v38
.LBB836_155:
	s_or_b64 exec, exec, s[10:11]
.LBB836_156:
	s_or_b64 exec, exec, s[8:9]
.LBB836_157:
	s_or_b64 exec, exec, s[2:3]
	s_mov_b32 s2, 0x5040100
	v_perm_b32 v39, v53, v44, s2
	v_perm_b32 v38, v43, v52, s2
	v_cmp_ne_u16_sdwa s[8:9], v40, v51 src0_sel:BYTE_0 src1_sel:DWORD
	s_nop 0
	v_mfma_f32_16x16x16bf16_1k v[56:59], v[38:39], v[26:27], 0
	v_perm_b32 v39, v55, v54, s2
	v_perm_b32 v38, v42, v45, s2
	s_nop 1
	v_mfma_f32_16x16x16bf16_1k v[42:45], v[38:39], v[28:29], v[56:59]
	s_and_saveexec_b64 s[2:3], s[8:9]
	s_cbranch_execz .LBB836_163
; %bb.158:
	s_movk_i32 s8, 0x80
	v_cmp_ne_u16_sdwa s[10:11], v40, s8 src0_sel:BYTE_0 src1_sel:DWORD
	v_mov_b32_e32 v51, 0xffff8000
	s_and_saveexec_b64 s[8:9], s[10:11]
	s_cbranch_execz .LBB836_162
; %bb.159:
	s_movk_i32 s10, 0x7f
	v_and_b32_e32 v38, 0x7f, v40
	v_cmp_ne_u32_e32 vcc, s10, v38
	v_mov_b32_e32 v51, 0x7f80
	s_and_saveexec_b64 s[10:11], vcc
	s_cbranch_execz .LBB836_161
; %bb.160:
	v_and_b32_e32 v39, 7, v40
	v_ffbh_u32_e32 v52, v39
	v_min_u32_e32 v54, 32, v52
	v_subrev_u32_e32 v52, 28, v54
	v_lshlrev_b64 v[52:53], v52, v[40:41]
	v_lshrrev_b32_e32 v51, 3, v38
	v_sub_u32_e32 v53, 29, v54
	v_and_b32_e32 v52, 7, v52
	v_cmp_gt_u32_e32 vcc, 8, v38
	v_cndmask_b32_e32 v38, v51, v53, vcc
	v_cndmask_b32_e32 v39, v39, v52, vcc
	v_lshlrev_b32_e32 v51, 24, v40
	v_bfrev_b32_e32 v52, 60
	v_lshlrev_b32_e32 v39, 20, v39
	v_and_b32_e32 v51, 0x80000000, v51
	v_lshl_add_u32 v38, v38, 23, v52
	v_or3_b32 v38, v51, v38, v39
	v_lshrrev_b32_e32 v51, 16, v38
.LBB836_161:
	s_or_b64 exec, exec, s[10:11]
.LBB836_162:
	s_or_b64 exec, exec, s[8:9]
.LBB836_163:
	s_or_b64 exec, exec, s[2:3]
	v_lshrrev_b16_e32 v38, 8, v40
	v_cmp_ne_u16_e32 vcc, 0, v38
	v_mov_b32_e32 v53, 0
	v_mov_b32_e32 v39, 0
	s_and_saveexec_b64 s[2:3], vcc
	s_cbranch_execz .LBB836_169
; %bb.164:
	s_movk_i32 s8, 0x80
	v_cmp_ne_u16_e32 vcc, s8, v38
	v_mov_b32_e32 v39, 0xffff8000
	s_and_saveexec_b64 s[8:9], vcc
	s_cbranch_execz .LBB836_168
; %bb.165:
	s_movk_i32 s10, 0x7f
	v_and_b32_e32 v52, 0x7f, v38
	v_cmp_ne_u32_e32 vcc, s10, v52
	v_mov_b32_e32 v39, 0x7f80
	s_and_saveexec_b64 s[10:11], vcc
	s_cbranch_execz .LBB836_167
; %bb.166:
	v_and_b32_e32 v54, 7, v38
	v_ffbh_u32_e32 v39, v54
	v_min_u32_e32 v56, 32, v39
	v_subrev_u32_e32 v39, 28, v56
	v_lshlrev_b64 v[38:39], v39, v[38:39]
	v_lshrrev_b32_e32 v55, 3, v52
	v_sub_u32_e32 v39, 29, v56
	v_and_b32_e32 v38, 7, v38
	v_cmp_gt_u32_e32 vcc, 8, v52
	v_cndmask_b32_e32 v39, v55, v39, vcc
	v_cndmask_b32_e32 v38, v54, v38, vcc
	v_lshlrev_b32_e32 v52, 16, v40
	v_bfrev_b32_e32 v54, 60
	v_lshlrev_b32_e32 v38, 20, v38
	v_and_b32_e32 v52, 0x80000000, v52
	v_lshl_add_u32 v39, v39, 23, v54
	v_or3_b32 v38, v52, v39, v38
	v_lshrrev_b32_e32 v39, 16, v38
.LBB836_167:
	s_or_b64 exec, exec, s[10:11]
.LBB836_168:
	s_or_b64 exec, exec, s[8:9]
.LBB836_169:
	s_or_b64 exec, exec, s[2:3]
	s_movk_i32 s2, 0xff
	v_and_b32_sdwa v52, v40, s2 dst_sel:DWORD dst_unused:UNUSED_PAD src0_sel:WORD_1 src1_sel:DWORD
	v_lshrrev_b32_e32 v38, 16, v40
	v_cmp_ne_u16_e32 vcc, 0, v52
	s_and_saveexec_b64 s[2:3], vcc
	s_cbranch_execz .LBB836_175
; %bb.170:
	s_movk_i32 s8, 0x80
	v_cmp_ne_u16_e32 vcc, s8, v52
	v_mov_b32_e32 v53, 0xffff8000
	s_and_saveexec_b64 s[8:9], vcc
	s_cbranch_execz .LBB836_174
; %bb.171:
	v_bfe_u32 v52, v40, 16, 7
	s_movk_i32 s10, 0x7f
	v_cmp_ne_u32_e32 vcc, s10, v52
	v_mov_b32_e32 v53, 0x7f80
	s_and_saveexec_b64 s[10:11], vcc
	s_cbranch_execz .LBB836_173
; %bb.172:
	v_and_b32_e32 v53, 7, v38
	v_ffbh_u32_e32 v54, v53
	v_min_u32_e32 v57, 32, v54
	v_subrev_u32_e32 v54, 28, v57
	v_lshlrev_b64 v[54:55], v54, v[38:39]
	v_and_b32_e32 v54, 7, v54
	v_cmp_gt_u32_e32 vcc, 8, v52
	v_lshrrev_b32_e32 v56, 3, v52
	v_sub_u32_e32 v38, 29, v57
	v_cndmask_b32_e32 v52, v53, v54, vcc
	v_mov_b32_e32 v53, 24
	v_cndmask_b32_e32 v38, v56, v38, vcc
	v_lshlrev_b32_sdwa v53, v53, v40 dst_sel:DWORD dst_unused:UNUSED_PAD src0_sel:DWORD src1_sel:WORD_1
	v_bfrev_b32_e32 v54, 60
	v_lshlrev_b32_e32 v52, 20, v52
	v_and_b32_e32 v53, 0x80000000, v53
	v_lshl_add_u32 v38, v38, 23, v54
	v_or3_b32 v38, v53, v38, v52
	v_lshrrev_b32_e32 v53, 16, v38
.LBB836_173:
	s_or_b64 exec, exec, s[10:11]
.LBB836_174:
	s_or_b64 exec, exec, s[8:9]
.LBB836_175:
	s_or_b64 exec, exec, s[2:3]
	s_mov_b32 s2, 0xffffff
	v_cmp_lt_u32_e32 vcc, s2, v40
	v_mov_b32_e32 v54, 0
	v_mov_b32_e32 v55, 0
	s_and_saveexec_b64 s[2:3], vcc
	s_cbranch_execz .LBB836_181
; %bb.176:
	v_lshrrev_b32_e32 v38, 24, v40
	s_movk_i32 s8, 0x80
	v_cmp_ne_u32_e32 vcc, s8, v38
	v_mov_b32_e32 v55, 0xffff8000
	s_and_saveexec_b64 s[8:9], vcc
	s_cbranch_execz .LBB836_180
; %bb.177:
	v_bfe_u32 v40, v40, 24, 7
	s_movk_i32 s10, 0x7f
	v_cmp_ne_u32_e32 vcc, s10, v40
	v_mov_b32_e32 v55, 0x7f80
	s_and_saveexec_b64 s[10:11], vcc
	s_cbranch_execz .LBB836_179
; %bb.178:
	v_and_b32_e32 v52, 7, v38
	v_ffbh_u32_e32 v56, v52
	v_min_u32_e32 v58, 32, v56
	v_subrev_u32_e32 v56, 28, v58
	v_lshlrev_b64 v[56:57], v56, v[38:39]
	v_lshrrev_b32_e32 v55, 3, v40
	v_sub_u32_e32 v57, 29, v58
	v_and_b32_e32 v56, 7, v56
	v_cmp_gt_u32_e32 vcc, 8, v40
	v_cndmask_b32_e32 v40, v55, v57, vcc
	v_cndmask_b32_e32 v52, v52, v56, vcc
	v_lshlrev_b32_e32 v38, 24, v38
	v_bfrev_b32_e32 v55, 60
	v_lshlrev_b32_e32 v52, 20, v52
	v_and_b32_e32 v38, 0x80000000, v38
	v_lshl_add_u32 v40, v40, 23, v55
	v_or3_b32 v38, v38, v40, v52
	v_lshrrev_b32_e32 v55, 16, v38
.LBB836_179:
	s_or_b64 exec, exec, s[10:11]
.LBB836_180:
	s_or_b64 exec, exec, s[8:9]
.LBB836_181:
	s_or_b64 exec, exec, s[2:3]
	v_cmp_ne_u16_sdwa s[8:9], v41, v54 src0_sel:BYTE_0 src1_sel:DWORD
	s_and_saveexec_b64 s[2:3], s[8:9]
	s_cbranch_execz .LBB836_187
; %bb.182:
	s_movk_i32 s8, 0x80
	v_cmp_ne_u16_sdwa s[10:11], v41, s8 src0_sel:BYTE_0 src1_sel:DWORD
	v_mov_b32_e32 v54, 0xffff8000
	s_and_saveexec_b64 s[8:9], s[10:11]
	s_cbranch_execz .LBB836_186
; %bb.183:
	s_movk_i32 s10, 0x7f
	v_and_b32_e32 v38, 0x7f, v41
	v_cmp_ne_u32_e32 vcc, s10, v38
	v_mov_b32_e32 v54, 0x7f80
	s_and_saveexec_b64 s[10:11], vcc
	s_cbranch_execz .LBB836_185
; %bb.184:
	v_and_b32_e32 v52, 7, v41
	v_ffbh_u32_e32 v56, v52
	v_min_u32_e32 v58, 32, v56
	v_mov_b32_e32 v40, v41
	v_subrev_u32_e32 v56, 28, v58
	v_lshlrev_b64 v[56:57], v56, v[40:41]
	v_lshrrev_b32_e32 v54, 3, v38
	v_sub_u32_e32 v40, 29, v58
	v_and_b32_e32 v56, 7, v56
	v_cmp_gt_u32_e32 vcc, 8, v38
	v_cndmask_b32_e32 v38, v54, v40, vcc
	v_cndmask_b32_e32 v40, v52, v56, vcc
	v_lshlrev_b32_e32 v52, 24, v41
	v_bfrev_b32_e32 v54, 60
	v_lshlrev_b32_e32 v40, 20, v40
	v_and_b32_e32 v52, 0x80000000, v52
	v_lshl_add_u32 v38, v38, 23, v54
	v_or3_b32 v38, v52, v38, v40
	v_lshrrev_b32_e32 v54, 16, v38
.LBB836_185:
	s_or_b64 exec, exec, s[10:11]
.LBB836_186:
	s_or_b64 exec, exec, s[8:9]
.LBB836_187:
	s_or_b64 exec, exec, s[2:3]
	v_lshrrev_b16_e32 v38, 8, v41
	v_cmp_ne_u16_e32 vcc, 0, v38
	v_mov_b32_e32 v56, 0
	v_mov_b32_e32 v40, 0
	s_and_saveexec_b64 s[2:3], vcc
	s_cbranch_execz .LBB836_193
; %bb.188:
	s_movk_i32 s8, 0x80
	v_cmp_ne_u16_e32 vcc, s8, v38
	v_mov_b32_e32 v40, 0xffff8000
	s_and_saveexec_b64 s[8:9], vcc
	s_cbranch_execz .LBB836_192
; %bb.189:
	s_movk_i32 s10, 0x7f
	v_and_b32_e32 v52, 0x7f, v38
	v_cmp_ne_u32_e32 vcc, s10, v52
	v_mov_b32_e32 v40, 0x7f80
	s_and_saveexec_b64 s[10:11], vcc
	s_cbranch_execz .LBB836_191
; %bb.190:
	v_and_b32_e32 v40, 7, v38
	v_ffbh_u32_e32 v58, v40
	v_min_u32_e32 v60, 32, v58
	v_subrev_u32_e32 v58, 28, v60
	v_lshlrev_b64 v[58:59], v58, v[38:39]
	v_lshrrev_b32_e32 v57, 3, v52
	v_sub_u32_e32 v38, 29, v60
	v_and_b32_e32 v58, 7, v58
	v_cmp_gt_u32_e32 vcc, 8, v52
	v_cndmask_b32_e32 v38, v57, v38, vcc
	v_cndmask_b32_e32 v40, v40, v58, vcc
	v_lshlrev_b32_e32 v52, 16, v41
	v_bfrev_b32_e32 v57, 60
	v_lshlrev_b32_e32 v40, 20, v40
	v_and_b32_e32 v52, 0x80000000, v52
	v_lshl_add_u32 v38, v38, 23, v57
	v_or3_b32 v38, v52, v38, v40
	v_lshrrev_b32_e32 v40, 16, v38
.LBB836_191:
	s_or_b64 exec, exec, s[10:11]
.LBB836_192:
	s_or_b64 exec, exec, s[8:9]
.LBB836_193:
	s_or_b64 exec, exec, s[2:3]
	s_movk_i32 s2, 0xff
	v_and_b32_sdwa v52, v41, s2 dst_sel:DWORD dst_unused:UNUSED_PAD src0_sel:WORD_1 src1_sel:DWORD
	v_lshrrev_b32_e32 v38, 16, v41
	v_cmp_ne_u16_e32 vcc, 0, v52
	s_and_saveexec_b64 s[2:3], vcc
	s_cbranch_execz .LBB836_199
; %bb.194:
	s_movk_i32 s8, 0x80
	v_cmp_ne_u16_e32 vcc, s8, v52
	v_mov_b32_e32 v56, 0xffff8000
	s_and_saveexec_b64 s[8:9], vcc
	s_cbranch_execz .LBB836_198
; %bb.195:
	v_bfe_u32 v52, v41, 16, 7
	s_movk_i32 s10, 0x7f
	v_cmp_ne_u32_e32 vcc, s10, v52
	v_mov_b32_e32 v56, 0x7f80
	s_and_saveexec_b64 s[10:11], vcc
	s_cbranch_execz .LBB836_197
; %bb.196:
	v_and_b32_e32 v58, 7, v38
	v_ffbh_u32_e32 v56, v58
	v_min_u32_e32 v60, 32, v56
	v_subrev_u32_e32 v56, 28, v60
	v_lshlrev_b64 v[56:57], v56, v[38:39]
	v_and_b32_e32 v56, 7, v56
	v_cmp_gt_u32_e32 vcc, 8, v52
	v_lshrrev_b32_e32 v59, 3, v52
	v_sub_u32_e32 v38, 29, v60
	v_cndmask_b32_e32 v52, v58, v56, vcc
	v_mov_b32_e32 v56, 24
	v_cndmask_b32_e32 v38, v59, v38, vcc
	v_lshlrev_b32_sdwa v56, v56, v41 dst_sel:DWORD dst_unused:UNUSED_PAD src0_sel:DWORD src1_sel:WORD_1
	v_bfrev_b32_e32 v57, 60
	v_lshlrev_b32_e32 v52, 20, v52
	v_and_b32_e32 v56, 0x80000000, v56
	v_lshl_add_u32 v38, v38, 23, v57
	v_or3_b32 v38, v56, v38, v52
	v_lshrrev_b32_e32 v56, 16, v38
.LBB836_197:
	s_or_b64 exec, exec, s[10:11]
.LBB836_198:
	s_or_b64 exec, exec, s[8:9]
.LBB836_199:
	s_or_b64 exec, exec, s[2:3]
	s_mov_b32 s2, 0xffffff
	v_cmp_lt_u32_e32 vcc, s2, v41
	v_mov_b32_e32 v52, 0
	v_mov_b32_e32 v57, 0
	s_and_saveexec_b64 s[2:3], vcc
	s_cbranch_execz .LBB836_205
; %bb.200:
	v_lshrrev_b32_e32 v38, 24, v41
	s_movk_i32 s8, 0x80
	v_cmp_ne_u32_e32 vcc, s8, v38
	v_mov_b32_e32 v57, 0xffff8000
	s_and_saveexec_b64 s[8:9], vcc
	s_cbranch_execz .LBB836_204
; %bb.201:
	v_bfe_u32 v41, v41, 24, 7
	s_movk_i32 s10, 0x7f
	v_cmp_ne_u32_e32 vcc, s10, v41
	v_mov_b32_e32 v57, 0x7f80
	s_and_saveexec_b64 s[10:11], vcc
	s_cbranch_execz .LBB836_203
; %bb.202:
	v_and_b32_e32 v57, 7, v38
	v_ffbh_u32_e32 v58, v57
	v_min_u32_e32 v61, 32, v58
	v_subrev_u32_e32 v58, 28, v61
	v_lshlrev_b64 v[58:59], v58, v[38:39]
	v_lshrrev_b32_e32 v60, 3, v41
	v_sub_u32_e32 v59, 29, v61
	v_and_b32_e32 v58, 7, v58
	v_cmp_gt_u32_e32 vcc, 8, v41
	v_cndmask_b32_e32 v41, v60, v59, vcc
	v_cndmask_b32_e32 v57, v57, v58, vcc
	v_lshlrev_b32_e32 v38, 24, v38
	v_bfrev_b32_e32 v58, 60
	v_lshlrev_b32_e32 v57, 20, v57
	v_and_b32_e32 v38, 0x80000000, v38
	v_lshl_add_u32 v41, v41, 23, v58
	v_or3_b32 v38, v38, v41, v57
	v_lshrrev_b32_e32 v57, 16, v38
.LBB836_203:
	s_or_b64 exec, exec, s[10:11]
.LBB836_204:
	s_or_b64 exec, exec, s[8:9]
.LBB836_205:
	s_or_b64 exec, exec, s[2:3]
	s_mov_b32 s2, 0x5040100
	v_perm_b32 v59, v55, v53, s2
	v_perm_b32 v58, v39, v51, s2
	;; [unrolled: 1-line block ×4, first 2 shown]
	v_cmp_ne_u16_sdwa s[8:9], v30, v52 src0_sel:BYTE_0 src1_sel:DWORD
	v_mfma_f32_16x16x16bf16_1k v[42:45], v[58:59], v[18:19], v[42:45]
	v_mfma_f32_16x16x16bf16_1k v[38:41], v[38:39], v[20:21], v[42:45]
	s_and_saveexec_b64 s[2:3], s[8:9]
	s_cbranch_execz .LBB836_211
; %bb.206:
	s_movk_i32 s8, 0x80
	v_cmp_ne_u16_sdwa s[10:11], v30, s8 src0_sel:BYTE_0 src1_sel:DWORD
	v_mov_b32_e32 v52, 0xffff8000
	s_and_saveexec_b64 s[8:9], s[10:11]
	s_cbranch_execz .LBB836_210
; %bb.207:
	s_movk_i32 s10, 0x7f
	s_nop 1
	v_and_b32_e32 v42, 0x7f, v30
	v_cmp_ne_u32_e32 vcc, s10, v42
	v_mov_b32_e32 v52, 0x7f80
	s_and_saveexec_b64 s[10:11], vcc
	s_cbranch_execz .LBB836_209
; %bb.208:
	v_and_b32_e32 v43, 7, v30
	v_ffbh_u32_e32 v44, v43
	v_min_u32_e32 v52, 32, v44
	v_subrev_u32_e32 v44, 28, v52
	v_lshlrev_b64 v[44:45], v44, v[30:31]
	v_lshrrev_b32_e32 v51, 3, v42
	v_sub_u32_e32 v45, 29, v52
	v_and_b32_e32 v44, 7, v44
	v_cmp_gt_u32_e32 vcc, 8, v42
	v_cndmask_b32_e32 v42, v51, v45, vcc
	v_cndmask_b32_e32 v43, v43, v44, vcc
	v_lshlrev_b32_e32 v44, 24, v30
	v_bfrev_b32_e32 v45, 60
	v_lshlrev_b32_e32 v43, 20, v43
	v_and_b32_e32 v44, 0x80000000, v44
	v_lshl_add_u32 v42, v42, 23, v45
	v_or3_b32 v42, v44, v42, v43
	v_lshrrev_b32_e32 v52, 16, v42
.LBB836_209:
	s_or_b64 exec, exec, s[10:11]
.LBB836_210:
	s_or_b64 exec, exec, s[8:9]
.LBB836_211:
	s_or_b64 exec, exec, s[2:3]
	s_nop 6
	v_lshrrev_b16_e32 v42, 8, v30
	v_cmp_ne_u16_e32 vcc, 0, v42
	v_mov_b32_e32 v44, 0
	v_mov_b32_e32 v43, 0
	s_and_saveexec_b64 s[2:3], vcc
	s_cbranch_execz .LBB836_217
; %bb.212:
	s_movk_i32 s8, 0x80
	v_cmp_ne_u16_e32 vcc, s8, v42
	v_mov_b32_e32 v43, 0xffff8000
	s_and_saveexec_b64 s[8:9], vcc
	s_cbranch_execz .LBB836_216
; %bb.213:
	s_movk_i32 s10, 0x7f
	v_and_b32_e32 v45, 0x7f, v42
	v_cmp_ne_u32_e32 vcc, s10, v45
	v_mov_b32_e32 v43, 0x7f80
	s_and_saveexec_b64 s[10:11], vcc
	s_cbranch_execz .LBB836_215
; %bb.214:
	v_and_b32_e32 v51, 7, v42
	v_ffbh_u32_e32 v43, v51
	v_min_u32_e32 v54, 32, v43
	v_subrev_u32_e32 v43, 28, v54
	v_lshlrev_b64 v[42:43], v43, v[42:43]
	v_lshrrev_b32_e32 v53, 3, v45
	v_sub_u32_e32 v43, 29, v54
	v_and_b32_e32 v42, 7, v42
	v_cmp_gt_u32_e32 vcc, 8, v45
	v_cndmask_b32_e32 v43, v53, v43, vcc
	v_cndmask_b32_e32 v42, v51, v42, vcc
	v_lshlrev_b32_e32 v45, 16, v30
	v_bfrev_b32_e32 v51, 60
	v_lshlrev_b32_e32 v42, 20, v42
	v_and_b32_e32 v45, 0x80000000, v45
	v_lshl_add_u32 v43, v43, 23, v51
	v_or3_b32 v42, v45, v43, v42
	v_lshrrev_b32_e32 v43, 16, v42
.LBB836_215:
	s_or_b64 exec, exec, s[10:11]
.LBB836_216:
	s_or_b64 exec, exec, s[8:9]
.LBB836_217:
	s_or_b64 exec, exec, s[2:3]
	s_movk_i32 s2, 0xff
	v_and_b32_sdwa v45, v30, s2 dst_sel:DWORD dst_unused:UNUSED_PAD src0_sel:WORD_1 src1_sel:DWORD
	v_lshrrev_b32_e32 v42, 16, v30
	v_cmp_ne_u16_e32 vcc, 0, v45
	s_and_saveexec_b64 s[2:3], vcc
	s_cbranch_execz .LBB836_223
; %bb.218:
	s_movk_i32 s8, 0x80
	v_cmp_ne_u16_e32 vcc, s8, v45
	v_mov_b32_e32 v44, 0xffff8000
	s_and_saveexec_b64 s[8:9], vcc
	s_cbranch_execz .LBB836_222
; %bb.219:
	v_bfe_u32 v45, v30, 16, 7
	s_movk_i32 s10, 0x7f
	v_cmp_ne_u32_e32 vcc, s10, v45
	v_mov_b32_e32 v44, 0x7f80
	s_and_saveexec_b64 s[10:11], vcc
	s_cbranch_execz .LBB836_221
; %bb.220:
	v_and_b32_e32 v44, 7, v42
	v_ffbh_u32_e32 v53, v44
	v_min_u32_e32 v53, 32, v53
	v_subrev_u32_e32 v54, 28, v53
	v_lshlrev_b64 v[54:55], v54, v[42:43]
	v_lshrrev_b32_e32 v51, 3, v45
	v_sub_u32_e32 v42, 29, v53
	v_and_b32_e32 v53, 7, v54
	v_cmp_gt_u32_e32 vcc, 8, v45
	v_mov_b32_e32 v45, 24
	v_cndmask_b32_e32 v42, v51, v42, vcc
	v_cndmask_b32_e32 v44, v44, v53, vcc
	v_lshlrev_b32_sdwa v45, v45, v30 dst_sel:DWORD dst_unused:UNUSED_PAD src0_sel:DWORD src1_sel:WORD_1
	v_bfrev_b32_e32 v51, 60
	v_lshlrev_b32_e32 v44, 20, v44
	v_and_b32_e32 v45, 0x80000000, v45
	v_lshl_add_u32 v42, v42, 23, v51
	v_or3_b32 v42, v45, v42, v44
	v_lshrrev_b32_e32 v44, 16, v42
.LBB836_221:
	s_or_b64 exec, exec, s[10:11]
.LBB836_222:
	s_or_b64 exec, exec, s[8:9]
.LBB836_223:
	s_or_b64 exec, exec, s[2:3]
	s_mov_b32 s2, 0xffffff
	v_cmp_lt_u32_e32 vcc, s2, v30
	v_mov_b32_e32 v45, 0
	v_mov_b32_e32 v53, 0
	s_and_saveexec_b64 s[2:3], vcc
	s_cbranch_execz .LBB836_229
; %bb.224:
	v_lshrrev_b32_e32 v42, 24, v30
	s_movk_i32 s8, 0x80
	v_cmp_ne_u32_e32 vcc, s8, v42
	v_mov_b32_e32 v53, 0xffff8000
	s_and_saveexec_b64 s[8:9], vcc
	s_cbranch_execz .LBB836_228
; %bb.225:
	v_bfe_u32 v30, v30, 24, 7
	s_movk_i32 s10, 0x7f
	v_cmp_ne_u32_e32 vcc, s10, v30
	v_mov_b32_e32 v53, 0x7f80
	s_and_saveexec_b64 s[10:11], vcc
	s_cbranch_execz .LBB836_227
; %bb.226:
	v_and_b32_e32 v51, 7, v42
	v_ffbh_u32_e32 v54, v51
	v_min_u32_e32 v56, 32, v54
	v_subrev_u32_e32 v54, 28, v56
	v_lshlrev_b64 v[54:55], v54, v[42:43]
	v_lshrrev_b32_e32 v53, 3, v30
	v_sub_u32_e32 v55, 29, v56
	v_and_b32_e32 v54, 7, v54
	v_cmp_gt_u32_e32 vcc, 8, v30
	v_cndmask_b32_e32 v30, v53, v55, vcc
	v_cndmask_b32_e32 v51, v51, v54, vcc
	v_lshlrev_b32_e32 v42, 24, v42
	v_bfrev_b32_e32 v53, 60
	v_lshlrev_b32_e32 v51, 20, v51
	v_and_b32_e32 v42, 0x80000000, v42
	v_lshl_add_u32 v30, v30, 23, v53
	v_or3_b32 v30, v42, v30, v51
	v_lshrrev_b32_e32 v53, 16, v30
.LBB836_227:
	s_or_b64 exec, exec, s[10:11]
.LBB836_228:
	s_or_b64 exec, exec, s[8:9]
.LBB836_229:
	s_or_b64 exec, exec, s[2:3]
	v_cmp_ne_u16_sdwa s[8:9], v31, v45 src0_sel:BYTE_0 src1_sel:DWORD
	s_and_saveexec_b64 s[2:3], s[8:9]
	s_cbranch_execz .LBB836_235
; %bb.230:
	s_movk_i32 s8, 0x80
	v_cmp_ne_u16_sdwa s[10:11], v31, s8 src0_sel:BYTE_0 src1_sel:DWORD
	v_mov_b32_e32 v45, 0xffff8000
	s_and_saveexec_b64 s[8:9], s[10:11]
	s_cbranch_execz .LBB836_234
; %bb.231:
	s_movk_i32 s10, 0x7f
	v_and_b32_e32 v30, 0x7f, v31
	v_cmp_ne_u32_e32 vcc, s10, v30
	v_mov_b32_e32 v45, 0x7f80
	s_and_saveexec_b64 s[10:11], vcc
	s_cbranch_execz .LBB836_233
; %bb.232:
	v_and_b32_e32 v45, 7, v31
	v_ffbh_u32_e32 v54, v45
	v_min_u32_e32 v56, 32, v54
	v_mov_b32_e32 v42, v31
	v_subrev_u32_e32 v54, 28, v56
	v_lshlrev_b64 v[54:55], v54, v[42:43]
	v_lshrrev_b32_e32 v51, 3, v30
	v_sub_u32_e32 v42, 29, v56
	v_and_b32_e32 v54, 7, v54
	v_cmp_gt_u32_e32 vcc, 8, v30
	v_cndmask_b32_e32 v30, v51, v42, vcc
	v_cndmask_b32_e32 v42, v45, v54, vcc
	v_lshlrev_b32_e32 v45, 24, v31
	v_bfrev_b32_e32 v51, 60
	v_lshlrev_b32_e32 v42, 20, v42
	v_and_b32_e32 v45, 0x80000000, v45
	v_lshl_add_u32 v30, v30, 23, v51
	v_or3_b32 v30, v45, v30, v42
	v_lshrrev_b32_e32 v45, 16, v30
.LBB836_233:
	s_or_b64 exec, exec, s[10:11]
.LBB836_234:
	s_or_b64 exec, exec, s[8:9]
.LBB836_235:
	s_or_b64 exec, exec, s[2:3]
	v_lshrrev_b16_e32 v30, 8, v31
	v_cmp_ne_u16_e32 vcc, 0, v30
	v_mov_b32_e32 v54, 0
	v_mov_b32_e32 v42, 0
	s_and_saveexec_b64 s[2:3], vcc
	s_cbranch_execz .LBB836_241
; %bb.236:
	s_movk_i32 s8, 0x80
	v_cmp_ne_u16_e32 vcc, s8, v30
	v_mov_b32_e32 v42, 0xffff8000
	s_and_saveexec_b64 s[8:9], vcc
	s_cbranch_execz .LBB836_240
; %bb.237:
	s_movk_i32 s10, 0x7f
	v_and_b32_e32 v51, 0x7f, v30
	v_cmp_ne_u32_e32 vcc, s10, v51
	v_mov_b32_e32 v42, 0x7f80
	s_and_saveexec_b64 s[10:11], vcc
	s_cbranch_execz .LBB836_239
; %bb.238:
	v_and_b32_e32 v42, 7, v30
	v_ffbh_u32_e32 v56, v42
	v_min_u32_e32 v58, 32, v56
	v_subrev_u32_e32 v56, 28, v58
	v_lshlrev_b64 v[56:57], v56, v[30:31]
	v_lshrrev_b32_e32 v55, 3, v51
	v_sub_u32_e32 v30, 29, v58
	v_and_b32_e32 v56, 7, v56
	v_cmp_gt_u32_e32 vcc, 8, v51
	v_cndmask_b32_e32 v30, v55, v30, vcc
	v_cndmask_b32_e32 v42, v42, v56, vcc
	v_lshlrev_b32_e32 v51, 16, v31
	v_bfrev_b32_e32 v55, 60
	v_lshlrev_b32_e32 v42, 20, v42
	v_and_b32_e32 v51, 0x80000000, v51
	v_lshl_add_u32 v30, v30, 23, v55
	v_or3_b32 v30, v51, v30, v42
	v_lshrrev_b32_e32 v42, 16, v30
.LBB836_239:
	s_or_b64 exec, exec, s[10:11]
.LBB836_240:
	s_or_b64 exec, exec, s[8:9]
.LBB836_241:
	s_or_b64 exec, exec, s[2:3]
	s_movk_i32 s2, 0xff
	v_and_b32_sdwa v51, v31, s2 dst_sel:DWORD dst_unused:UNUSED_PAD src0_sel:WORD_1 src1_sel:DWORD
	v_lshrrev_b32_e32 v30, 16, v31
	v_cmp_ne_u16_e32 vcc, 0, v51
	s_and_saveexec_b64 s[2:3], vcc
	s_cbranch_execz .LBB836_247
; %bb.242:
	s_movk_i32 s8, 0x80
	v_cmp_ne_u16_e32 vcc, s8, v51
	v_mov_b32_e32 v54, 0xffff8000
	s_and_saveexec_b64 s[8:9], vcc
	s_cbranch_execz .LBB836_246
; %bb.243:
	v_bfe_u32 v51, v31, 16, 7
	s_movk_i32 s10, 0x7f
	v_cmp_ne_u32_e32 vcc, s10, v51
	v_mov_b32_e32 v54, 0x7f80
	s_and_saveexec_b64 s[10:11], vcc
	s_cbranch_execz .LBB836_245
; %bb.244:
	v_and_b32_e32 v56, 7, v30
	v_ffbh_u32_e32 v54, v56
	v_min_u32_e32 v58, 32, v54
	v_subrev_u32_e32 v54, 28, v58
	v_lshlrev_b64 v[54:55], v54, v[30:31]
	v_and_b32_e32 v54, 7, v54
	v_cmp_gt_u32_e32 vcc, 8, v51
	v_lshrrev_b32_e32 v57, 3, v51
	v_sub_u32_e32 v30, 29, v58
	v_cndmask_b32_e32 v51, v56, v54, vcc
	v_mov_b32_e32 v54, 24
	v_cndmask_b32_e32 v30, v57, v30, vcc
	v_lshlrev_b32_sdwa v54, v54, v31 dst_sel:DWORD dst_unused:UNUSED_PAD src0_sel:DWORD src1_sel:WORD_1
	v_bfrev_b32_e32 v55, 60
	v_lshlrev_b32_e32 v51, 20, v51
	v_and_b32_e32 v54, 0x80000000, v54
	v_lshl_add_u32 v30, v30, 23, v55
	v_or3_b32 v30, v54, v30, v51
	v_lshrrev_b32_e32 v54, 16, v30
.LBB836_245:
	s_or_b64 exec, exec, s[10:11]
.LBB836_246:
	s_or_b64 exec, exec, s[8:9]
.LBB836_247:
	s_or_b64 exec, exec, s[2:3]
	s_mov_b32 s2, 0xffffff
	v_cmp_lt_u32_e32 vcc, s2, v31
	v_mov_b32_e32 v51, 0
	v_mov_b32_e32 v55, 0
	s_and_saveexec_b64 s[2:3], vcc
	s_cbranch_execz .LBB836_253
; %bb.248:
	v_lshrrev_b32_e32 v30, 24, v31
	s_movk_i32 s8, 0x80
	v_cmp_ne_u32_e32 vcc, s8, v30
	v_mov_b32_e32 v55, 0xffff8000
	s_and_saveexec_b64 s[8:9], vcc
	s_cbranch_execz .LBB836_252
; %bb.249:
	v_bfe_u32 v31, v31, 24, 7
	s_movk_i32 s10, 0x7f
	v_cmp_ne_u32_e32 vcc, s10, v31
	v_mov_b32_e32 v55, 0x7f80
	s_and_saveexec_b64 s[10:11], vcc
	s_cbranch_execz .LBB836_251
; %bb.250:
	v_and_b32_e32 v55, 7, v30
	v_ffbh_u32_e32 v56, v55
	v_min_u32_e32 v59, 32, v56
	v_subrev_u32_e32 v56, 28, v59
	v_lshlrev_b64 v[56:57], v56, v[30:31]
	v_lshrrev_b32_e32 v58, 3, v31
	v_sub_u32_e32 v57, 29, v59
	v_and_b32_e32 v56, 7, v56
	v_cmp_gt_u32_e32 vcc, 8, v31
	v_cndmask_b32_e32 v31, v58, v57, vcc
	v_cndmask_b32_e32 v55, v55, v56, vcc
	v_lshlrev_b32_e32 v30, 24, v30
	v_bfrev_b32_e32 v56, 60
	v_lshlrev_b32_e32 v55, 20, v55
	v_and_b32_e32 v30, 0x80000000, v30
	v_lshl_add_u32 v31, v31, 23, v56
	v_or3_b32 v30, v30, v31, v55
	v_lshrrev_b32_e32 v55, 16, v30
.LBB836_251:
	s_or_b64 exec, exec, s[10:11]
.LBB836_252:
	s_or_b64 exec, exec, s[8:9]
.LBB836_253:
	s_or_b64 exec, exec, s[2:3]
	s_mov_b32 s2, 0x5040100
	v_perm_b32 v31, v53, v44, s2
	v_perm_b32 v30, v43, v52, s2
	v_cmp_ne_u16_sdwa s[8:9], v32, v51 src0_sel:BYTE_0 src1_sel:DWORD
	s_nop 0
	v_mfma_f32_16x16x16bf16_1k v[56:59], v[30:31], v[26:27], 0
	v_perm_b32 v31, v55, v54, s2
	v_perm_b32 v30, v42, v45, s2
	s_nop 1
	v_mfma_f32_16x16x16bf16_1k v[42:45], v[30:31], v[28:29], v[56:59]
	s_and_saveexec_b64 s[2:3], s[8:9]
	s_cbranch_execz .LBB836_259
; %bb.254:
	s_movk_i32 s8, 0x80
	v_cmp_ne_u16_sdwa s[10:11], v32, s8 src0_sel:BYTE_0 src1_sel:DWORD
	v_mov_b32_e32 v51, 0xffff8000
	s_and_saveexec_b64 s[8:9], s[10:11]
	s_cbranch_execz .LBB836_258
; %bb.255:
	s_movk_i32 s10, 0x7f
	v_and_b32_e32 v30, 0x7f, v32
	v_cmp_ne_u32_e32 vcc, s10, v30
	v_mov_b32_e32 v51, 0x7f80
	s_and_saveexec_b64 s[10:11], vcc
	s_cbranch_execz .LBB836_257
; %bb.256:
	v_and_b32_e32 v31, 7, v32
	v_ffbh_u32_e32 v52, v31
	v_min_u32_e32 v54, 32, v52
	v_subrev_u32_e32 v52, 28, v54
	v_lshlrev_b64 v[52:53], v52, v[32:33]
	v_lshrrev_b32_e32 v51, 3, v30
	v_sub_u32_e32 v53, 29, v54
	v_and_b32_e32 v52, 7, v52
	v_cmp_gt_u32_e32 vcc, 8, v30
	v_cndmask_b32_e32 v30, v51, v53, vcc
	v_cndmask_b32_e32 v31, v31, v52, vcc
	v_lshlrev_b32_e32 v51, 24, v32
	v_bfrev_b32_e32 v52, 60
	v_lshlrev_b32_e32 v31, 20, v31
	v_and_b32_e32 v51, 0x80000000, v51
	v_lshl_add_u32 v30, v30, 23, v52
	v_or3_b32 v30, v51, v30, v31
	v_lshrrev_b32_e32 v51, 16, v30
.LBB836_257:
	s_or_b64 exec, exec, s[10:11]
.LBB836_258:
	s_or_b64 exec, exec, s[8:9]
.LBB836_259:
	s_or_b64 exec, exec, s[2:3]
	v_lshrrev_b16_e32 v30, 8, v32
	v_cmp_ne_u16_e32 vcc, 0, v30
	v_mov_b32_e32 v53, 0
	v_mov_b32_e32 v31, 0
	s_and_saveexec_b64 s[2:3], vcc
	s_cbranch_execz .LBB836_265
; %bb.260:
	s_movk_i32 s8, 0x80
	v_cmp_ne_u16_e32 vcc, s8, v30
	v_mov_b32_e32 v31, 0xffff8000
	s_and_saveexec_b64 s[8:9], vcc
	s_cbranch_execz .LBB836_264
; %bb.261:
	s_movk_i32 s10, 0x7f
	v_and_b32_e32 v52, 0x7f, v30
	v_cmp_ne_u32_e32 vcc, s10, v52
	v_mov_b32_e32 v31, 0x7f80
	s_and_saveexec_b64 s[10:11], vcc
	s_cbranch_execz .LBB836_263
; %bb.262:
	v_and_b32_e32 v54, 7, v30
	v_ffbh_u32_e32 v31, v54
	v_min_u32_e32 v56, 32, v31
	v_subrev_u32_e32 v31, 28, v56
	v_lshlrev_b64 v[30:31], v31, v[30:31]
	v_lshrrev_b32_e32 v55, 3, v52
	v_sub_u32_e32 v31, 29, v56
	v_and_b32_e32 v30, 7, v30
	v_cmp_gt_u32_e32 vcc, 8, v52
	v_cndmask_b32_e32 v31, v55, v31, vcc
	v_cndmask_b32_e32 v30, v54, v30, vcc
	v_lshlrev_b32_e32 v52, 16, v32
	v_bfrev_b32_e32 v54, 60
	v_lshlrev_b32_e32 v30, 20, v30
	v_and_b32_e32 v52, 0x80000000, v52
	v_lshl_add_u32 v31, v31, 23, v54
	v_or3_b32 v30, v52, v31, v30
	v_lshrrev_b32_e32 v31, 16, v30
.LBB836_263:
	s_or_b64 exec, exec, s[10:11]
.LBB836_264:
	s_or_b64 exec, exec, s[8:9]
.LBB836_265:
	s_or_b64 exec, exec, s[2:3]
	s_movk_i32 s2, 0xff
	v_and_b32_sdwa v52, v32, s2 dst_sel:DWORD dst_unused:UNUSED_PAD src0_sel:WORD_1 src1_sel:DWORD
	v_lshrrev_b32_e32 v30, 16, v32
	v_cmp_ne_u16_e32 vcc, 0, v52
	s_and_saveexec_b64 s[2:3], vcc
	s_cbranch_execz .LBB836_271
; %bb.266:
	s_movk_i32 s8, 0x80
	v_cmp_ne_u16_e32 vcc, s8, v52
	v_mov_b32_e32 v53, 0xffff8000
	s_and_saveexec_b64 s[8:9], vcc
	s_cbranch_execz .LBB836_270
; %bb.267:
	v_bfe_u32 v52, v32, 16, 7
	s_movk_i32 s10, 0x7f
	v_cmp_ne_u32_e32 vcc, s10, v52
	v_mov_b32_e32 v53, 0x7f80
	s_and_saveexec_b64 s[10:11], vcc
	s_cbranch_execz .LBB836_269
; %bb.268:
	v_and_b32_e32 v53, 7, v30
	v_ffbh_u32_e32 v54, v53
	v_min_u32_e32 v57, 32, v54
	v_subrev_u32_e32 v54, 28, v57
	v_lshlrev_b64 v[54:55], v54, v[30:31]
	v_and_b32_e32 v54, 7, v54
	v_cmp_gt_u32_e32 vcc, 8, v52
	v_lshrrev_b32_e32 v56, 3, v52
	v_sub_u32_e32 v30, 29, v57
	v_cndmask_b32_e32 v52, v53, v54, vcc
	v_mov_b32_e32 v53, 24
	v_cndmask_b32_e32 v30, v56, v30, vcc
	v_lshlrev_b32_sdwa v53, v53, v32 dst_sel:DWORD dst_unused:UNUSED_PAD src0_sel:DWORD src1_sel:WORD_1
	v_bfrev_b32_e32 v54, 60
	v_lshlrev_b32_e32 v52, 20, v52
	v_and_b32_e32 v53, 0x80000000, v53
	v_lshl_add_u32 v30, v30, 23, v54
	v_or3_b32 v30, v53, v30, v52
	v_lshrrev_b32_e32 v53, 16, v30
.LBB836_269:
	s_or_b64 exec, exec, s[10:11]
.LBB836_270:
	s_or_b64 exec, exec, s[8:9]
.LBB836_271:
	s_or_b64 exec, exec, s[2:3]
	s_mov_b32 s2, 0xffffff
	v_cmp_lt_u32_e32 vcc, s2, v32
	v_mov_b32_e32 v54, 0
	v_mov_b32_e32 v55, 0
	s_and_saveexec_b64 s[2:3], vcc
	s_cbranch_execz .LBB836_277
; %bb.272:
	v_lshrrev_b32_e32 v30, 24, v32
	s_movk_i32 s8, 0x80
	v_cmp_ne_u32_e32 vcc, s8, v30
	v_mov_b32_e32 v55, 0xffff8000
	s_and_saveexec_b64 s[8:9], vcc
	s_cbranch_execz .LBB836_276
; %bb.273:
	v_bfe_u32 v32, v32, 24, 7
	s_movk_i32 s10, 0x7f
	v_cmp_ne_u32_e32 vcc, s10, v32
	v_mov_b32_e32 v55, 0x7f80
	s_and_saveexec_b64 s[10:11], vcc
	s_cbranch_execz .LBB836_275
; %bb.274:
	v_and_b32_e32 v52, 7, v30
	v_ffbh_u32_e32 v56, v52
	v_min_u32_e32 v58, 32, v56
	v_subrev_u32_e32 v56, 28, v58
	v_lshlrev_b64 v[56:57], v56, v[30:31]
	v_lshrrev_b32_e32 v55, 3, v32
	v_sub_u32_e32 v57, 29, v58
	v_and_b32_e32 v56, 7, v56
	v_cmp_gt_u32_e32 vcc, 8, v32
	v_cndmask_b32_e32 v32, v55, v57, vcc
	v_cndmask_b32_e32 v52, v52, v56, vcc
	v_lshlrev_b32_e32 v30, 24, v30
	v_bfrev_b32_e32 v55, 60
	v_lshlrev_b32_e32 v52, 20, v52
	v_and_b32_e32 v30, 0x80000000, v30
	v_lshl_add_u32 v32, v32, 23, v55
	v_or3_b32 v30, v30, v32, v52
	v_lshrrev_b32_e32 v55, 16, v30
.LBB836_275:
	s_or_b64 exec, exec, s[10:11]
.LBB836_276:
	s_or_b64 exec, exec, s[8:9]
.LBB836_277:
	s_or_b64 exec, exec, s[2:3]
	v_cmp_ne_u16_sdwa s[8:9], v33, v54 src0_sel:BYTE_0 src1_sel:DWORD
	s_and_saveexec_b64 s[2:3], s[8:9]
	s_cbranch_execz .LBB836_283
; %bb.278:
	s_movk_i32 s8, 0x80
	v_cmp_ne_u16_sdwa s[10:11], v33, s8 src0_sel:BYTE_0 src1_sel:DWORD
	v_mov_b32_e32 v54, 0xffff8000
	s_and_saveexec_b64 s[8:9], s[10:11]
	s_cbranch_execz .LBB836_282
; %bb.279:
	s_movk_i32 s10, 0x7f
	v_and_b32_e32 v30, 0x7f, v33
	v_cmp_ne_u32_e32 vcc, s10, v30
	v_mov_b32_e32 v54, 0x7f80
	s_and_saveexec_b64 s[10:11], vcc
	s_cbranch_execz .LBB836_281
; %bb.280:
	v_and_b32_e32 v52, 7, v33
	v_ffbh_u32_e32 v56, v52
	v_min_u32_e32 v58, 32, v56
	v_mov_b32_e32 v32, v33
	v_subrev_u32_e32 v56, 28, v58
	v_lshlrev_b64 v[56:57], v56, v[32:33]
	v_lshrrev_b32_e32 v54, 3, v30
	v_sub_u32_e32 v32, 29, v58
	v_and_b32_e32 v56, 7, v56
	v_cmp_gt_u32_e32 vcc, 8, v30
	v_cndmask_b32_e32 v30, v54, v32, vcc
	v_cndmask_b32_e32 v32, v52, v56, vcc
	v_lshlrev_b32_e32 v52, 24, v33
	v_bfrev_b32_e32 v54, 60
	v_lshlrev_b32_e32 v32, 20, v32
	v_and_b32_e32 v52, 0x80000000, v52
	v_lshl_add_u32 v30, v30, 23, v54
	v_or3_b32 v30, v52, v30, v32
	v_lshrrev_b32_e32 v54, 16, v30
.LBB836_281:
	s_or_b64 exec, exec, s[10:11]
.LBB836_282:
	s_or_b64 exec, exec, s[8:9]
.LBB836_283:
	s_or_b64 exec, exec, s[2:3]
	v_lshrrev_b16_e32 v30, 8, v33
	v_cmp_ne_u16_e32 vcc, 0, v30
	v_mov_b32_e32 v56, 0
	v_mov_b32_e32 v32, 0
	s_and_saveexec_b64 s[2:3], vcc
	s_cbranch_execz .LBB836_289
; %bb.284:
	s_movk_i32 s8, 0x80
	v_cmp_ne_u16_e32 vcc, s8, v30
	v_mov_b32_e32 v32, 0xffff8000
	s_and_saveexec_b64 s[8:9], vcc
	s_cbranch_execz .LBB836_288
; %bb.285:
	s_movk_i32 s10, 0x7f
	v_and_b32_e32 v52, 0x7f, v30
	v_cmp_ne_u32_e32 vcc, s10, v52
	v_mov_b32_e32 v32, 0x7f80
	s_and_saveexec_b64 s[10:11], vcc
	s_cbranch_execz .LBB836_287
; %bb.286:
	v_and_b32_e32 v32, 7, v30
	v_ffbh_u32_e32 v58, v32
	v_min_u32_e32 v60, 32, v58
	v_subrev_u32_e32 v58, 28, v60
	v_lshlrev_b64 v[58:59], v58, v[30:31]
	v_lshrrev_b32_e32 v57, 3, v52
	v_sub_u32_e32 v30, 29, v60
	v_and_b32_e32 v58, 7, v58
	v_cmp_gt_u32_e32 vcc, 8, v52
	v_cndmask_b32_e32 v30, v57, v30, vcc
	v_cndmask_b32_e32 v32, v32, v58, vcc
	v_lshlrev_b32_e32 v52, 16, v33
	v_bfrev_b32_e32 v57, 60
	v_lshlrev_b32_e32 v32, 20, v32
	v_and_b32_e32 v52, 0x80000000, v52
	v_lshl_add_u32 v30, v30, 23, v57
	v_or3_b32 v30, v52, v30, v32
	v_lshrrev_b32_e32 v32, 16, v30
.LBB836_287:
	s_or_b64 exec, exec, s[10:11]
.LBB836_288:
	s_or_b64 exec, exec, s[8:9]
.LBB836_289:
	s_or_b64 exec, exec, s[2:3]
	s_movk_i32 s2, 0xff
	v_and_b32_sdwa v52, v33, s2 dst_sel:DWORD dst_unused:UNUSED_PAD src0_sel:WORD_1 src1_sel:DWORD
	v_lshrrev_b32_e32 v30, 16, v33
	v_cmp_ne_u16_e32 vcc, 0, v52
	s_and_saveexec_b64 s[2:3], vcc
	s_cbranch_execz .LBB836_295
; %bb.290:
	s_movk_i32 s8, 0x80
	v_cmp_ne_u16_e32 vcc, s8, v52
	v_mov_b32_e32 v56, 0xffff8000
	s_and_saveexec_b64 s[8:9], vcc
	s_cbranch_execz .LBB836_294
; %bb.291:
	v_bfe_u32 v52, v33, 16, 7
	s_movk_i32 s10, 0x7f
	v_cmp_ne_u32_e32 vcc, s10, v52
	v_mov_b32_e32 v56, 0x7f80
	s_and_saveexec_b64 s[10:11], vcc
	s_cbranch_execz .LBB836_293
; %bb.292:
	v_and_b32_e32 v58, 7, v30
	v_ffbh_u32_e32 v56, v58
	v_min_u32_e32 v60, 32, v56
	v_subrev_u32_e32 v56, 28, v60
	v_lshlrev_b64 v[56:57], v56, v[30:31]
	v_and_b32_e32 v56, 7, v56
	v_cmp_gt_u32_e32 vcc, 8, v52
	v_lshrrev_b32_e32 v59, 3, v52
	v_sub_u32_e32 v30, 29, v60
	v_cndmask_b32_e32 v52, v58, v56, vcc
	v_mov_b32_e32 v56, 24
	v_cndmask_b32_e32 v30, v59, v30, vcc
	v_lshlrev_b32_sdwa v56, v56, v33 dst_sel:DWORD dst_unused:UNUSED_PAD src0_sel:DWORD src1_sel:WORD_1
	v_bfrev_b32_e32 v57, 60
	v_lshlrev_b32_e32 v52, 20, v52
	v_and_b32_e32 v56, 0x80000000, v56
	v_lshl_add_u32 v30, v30, 23, v57
	v_or3_b32 v30, v56, v30, v52
	v_lshrrev_b32_e32 v56, 16, v30
.LBB836_293:
	s_or_b64 exec, exec, s[10:11]
.LBB836_294:
	s_or_b64 exec, exec, s[8:9]
.LBB836_295:
	s_or_b64 exec, exec, s[2:3]
	s_mov_b32 s2, 0xffffff
	v_cmp_lt_u32_e32 vcc, s2, v33
	v_mov_b32_e32 v52, 0
	v_mov_b32_e32 v57, 0
	s_and_saveexec_b64 s[2:3], vcc
	s_cbranch_execz .LBB836_301
; %bb.296:
	v_lshrrev_b32_e32 v30, 24, v33
	s_movk_i32 s8, 0x80
	v_cmp_ne_u32_e32 vcc, s8, v30
	v_mov_b32_e32 v57, 0xffff8000
	s_and_saveexec_b64 s[8:9], vcc
	s_cbranch_execz .LBB836_300
; %bb.297:
	v_bfe_u32 v33, v33, 24, 7
	s_movk_i32 s10, 0x7f
	v_cmp_ne_u32_e32 vcc, s10, v33
	v_mov_b32_e32 v57, 0x7f80
	s_and_saveexec_b64 s[10:11], vcc
	s_cbranch_execz .LBB836_299
; %bb.298:
	v_and_b32_e32 v57, 7, v30
	v_ffbh_u32_e32 v58, v57
	v_min_u32_e32 v61, 32, v58
	v_subrev_u32_e32 v58, 28, v61
	v_lshlrev_b64 v[58:59], v58, v[30:31]
	v_lshrrev_b32_e32 v60, 3, v33
	v_sub_u32_e32 v59, 29, v61
	v_and_b32_e32 v58, 7, v58
	v_cmp_gt_u32_e32 vcc, 8, v33
	v_cndmask_b32_e32 v33, v60, v59, vcc
	v_cndmask_b32_e32 v57, v57, v58, vcc
	v_lshlrev_b32_e32 v30, 24, v30
	v_bfrev_b32_e32 v58, 60
	v_lshlrev_b32_e32 v57, 20, v57
	v_and_b32_e32 v30, 0x80000000, v30
	v_lshl_add_u32 v33, v33, 23, v58
	v_or3_b32 v30, v30, v33, v57
	v_lshrrev_b32_e32 v57, 16, v30
.LBB836_299:
	s_or_b64 exec, exec, s[10:11]
.LBB836_300:
	s_or_b64 exec, exec, s[8:9]
.LBB836_301:
	s_or_b64 exec, exec, s[2:3]
	s_mov_b32 s2, 0x5040100
	v_perm_b32 v59, v55, v53, s2
	v_perm_b32 v58, v31, v51, s2
	;; [unrolled: 1-line block ×4, first 2 shown]
	v_cmp_ne_u16_sdwa s[8:9], v22, v52 src0_sel:BYTE_0 src1_sel:DWORD
	v_mfma_f32_16x16x16bf16_1k v[42:45], v[58:59], v[18:19], v[42:45]
	v_mfma_f32_16x16x16bf16_1k v[30:33], v[30:31], v[20:21], v[42:45]
	s_and_saveexec_b64 s[2:3], s[8:9]
	s_cbranch_execz .LBB836_307
; %bb.302:
	s_movk_i32 s8, 0x80
	v_cmp_ne_u16_sdwa s[10:11], v22, s8 src0_sel:BYTE_0 src1_sel:DWORD
	v_mov_b32_e32 v52, 0xffff8000
	s_and_saveexec_b64 s[8:9], s[10:11]
	s_cbranch_execz .LBB836_306
; %bb.303:
	s_movk_i32 s10, 0x7f
	s_nop 1
	v_and_b32_e32 v42, 0x7f, v22
	v_cmp_ne_u32_e32 vcc, s10, v42
	v_mov_b32_e32 v52, 0x7f80
	s_and_saveexec_b64 s[10:11], vcc
	s_cbranch_execz .LBB836_305
; %bb.304:
	v_and_b32_e32 v43, 7, v22
	v_ffbh_u32_e32 v44, v43
	v_min_u32_e32 v52, 32, v44
	v_subrev_u32_e32 v44, 28, v52
	v_lshlrev_b64 v[44:45], v44, v[22:23]
	v_lshrrev_b32_e32 v51, 3, v42
	v_sub_u32_e32 v45, 29, v52
	v_and_b32_e32 v44, 7, v44
	v_cmp_gt_u32_e32 vcc, 8, v42
	v_cndmask_b32_e32 v42, v51, v45, vcc
	v_cndmask_b32_e32 v43, v43, v44, vcc
	v_lshlrev_b32_e32 v44, 24, v22
	v_bfrev_b32_e32 v45, 60
	v_lshlrev_b32_e32 v43, 20, v43
	v_and_b32_e32 v44, 0x80000000, v44
	v_lshl_add_u32 v42, v42, 23, v45
	v_or3_b32 v42, v44, v42, v43
	v_lshrrev_b32_e32 v52, 16, v42
.LBB836_305:
	s_or_b64 exec, exec, s[10:11]
.LBB836_306:
	s_or_b64 exec, exec, s[8:9]
.LBB836_307:
	s_or_b64 exec, exec, s[2:3]
	s_nop 6
	v_lshrrev_b16_e32 v42, 8, v22
	v_cmp_ne_u16_e32 vcc, 0, v42
	v_mov_b32_e32 v44, 0
	v_mov_b32_e32 v43, 0
	s_and_saveexec_b64 s[2:3], vcc
	s_cbranch_execz .LBB836_313
; %bb.308:
	s_movk_i32 s8, 0x80
	v_cmp_ne_u16_e32 vcc, s8, v42
	v_mov_b32_e32 v43, 0xffff8000
	s_and_saveexec_b64 s[8:9], vcc
	s_cbranch_execz .LBB836_312
; %bb.309:
	s_movk_i32 s10, 0x7f
	v_and_b32_e32 v45, 0x7f, v42
	v_cmp_ne_u32_e32 vcc, s10, v45
	v_mov_b32_e32 v43, 0x7f80
	s_and_saveexec_b64 s[10:11], vcc
	s_cbranch_execz .LBB836_311
; %bb.310:
	v_and_b32_e32 v51, 7, v42
	v_ffbh_u32_e32 v43, v51
	v_min_u32_e32 v54, 32, v43
	v_subrev_u32_e32 v43, 28, v54
	v_lshlrev_b64 v[42:43], v43, v[42:43]
	v_lshrrev_b32_e32 v53, 3, v45
	v_sub_u32_e32 v43, 29, v54
	v_and_b32_e32 v42, 7, v42
	v_cmp_gt_u32_e32 vcc, 8, v45
	v_cndmask_b32_e32 v43, v53, v43, vcc
	v_cndmask_b32_e32 v42, v51, v42, vcc
	v_lshlrev_b32_e32 v45, 16, v22
	v_bfrev_b32_e32 v51, 60
	v_lshlrev_b32_e32 v42, 20, v42
	v_and_b32_e32 v45, 0x80000000, v45
	v_lshl_add_u32 v43, v43, 23, v51
	v_or3_b32 v42, v45, v43, v42
	v_lshrrev_b32_e32 v43, 16, v42
.LBB836_311:
	s_or_b64 exec, exec, s[10:11]
.LBB836_312:
	s_or_b64 exec, exec, s[8:9]
.LBB836_313:
	s_or_b64 exec, exec, s[2:3]
	s_movk_i32 s2, 0xff
	v_and_b32_sdwa v45, v22, s2 dst_sel:DWORD dst_unused:UNUSED_PAD src0_sel:WORD_1 src1_sel:DWORD
	v_lshrrev_b32_e32 v42, 16, v22
	v_cmp_ne_u16_e32 vcc, 0, v45
	s_and_saveexec_b64 s[2:3], vcc
	s_cbranch_execz .LBB836_319
; %bb.314:
	s_movk_i32 s8, 0x80
	v_cmp_ne_u16_e32 vcc, s8, v45
	v_mov_b32_e32 v44, 0xffff8000
	s_and_saveexec_b64 s[8:9], vcc
	s_cbranch_execz .LBB836_318
; %bb.315:
	v_bfe_u32 v45, v22, 16, 7
	s_movk_i32 s10, 0x7f
	v_cmp_ne_u32_e32 vcc, s10, v45
	v_mov_b32_e32 v44, 0x7f80
	s_and_saveexec_b64 s[10:11], vcc
	s_cbranch_execz .LBB836_317
; %bb.316:
	v_and_b32_e32 v44, 7, v42
	v_ffbh_u32_e32 v53, v44
	v_min_u32_e32 v53, 32, v53
	v_subrev_u32_e32 v54, 28, v53
	v_lshlrev_b64 v[54:55], v54, v[42:43]
	v_lshrrev_b32_e32 v51, 3, v45
	v_sub_u32_e32 v42, 29, v53
	v_and_b32_e32 v53, 7, v54
	v_cmp_gt_u32_e32 vcc, 8, v45
	v_mov_b32_e32 v45, 24
	v_cndmask_b32_e32 v42, v51, v42, vcc
	v_cndmask_b32_e32 v44, v44, v53, vcc
	v_lshlrev_b32_sdwa v45, v45, v22 dst_sel:DWORD dst_unused:UNUSED_PAD src0_sel:DWORD src1_sel:WORD_1
	v_bfrev_b32_e32 v51, 60
	v_lshlrev_b32_e32 v44, 20, v44
	v_and_b32_e32 v45, 0x80000000, v45
	v_lshl_add_u32 v42, v42, 23, v51
	v_or3_b32 v42, v45, v42, v44
	v_lshrrev_b32_e32 v44, 16, v42
.LBB836_317:
	s_or_b64 exec, exec, s[10:11]
.LBB836_318:
	s_or_b64 exec, exec, s[8:9]
.LBB836_319:
	s_or_b64 exec, exec, s[2:3]
	s_mov_b32 s2, 0xffffff
	v_cmp_lt_u32_e32 vcc, s2, v22
	v_mov_b32_e32 v45, 0
	v_mov_b32_e32 v51, 0
	s_and_saveexec_b64 s[2:3], vcc
	s_cbranch_execz .LBB836_325
; %bb.320:
	v_lshrrev_b32_e32 v42, 24, v22
	s_movk_i32 s8, 0x80
	v_cmp_ne_u32_e32 vcc, s8, v42
	v_mov_b32_e32 v51, 0xffff8000
	s_and_saveexec_b64 s[8:9], vcc
	s_cbranch_execz .LBB836_324
; %bb.321:
	v_bfe_u32 v22, v22, 24, 7
	s_movk_i32 s10, 0x7f
	v_cmp_ne_u32_e32 vcc, s10, v22
	v_mov_b32_e32 v51, 0x7f80
	s_and_saveexec_b64 s[10:11], vcc
	s_cbranch_execz .LBB836_323
; %bb.322:
	v_and_b32_e32 v51, 7, v42
	v_ffbh_u32_e32 v54, v51
	v_min_u32_e32 v56, 32, v54
	v_subrev_u32_e32 v54, 28, v56
	v_lshlrev_b64 v[54:55], v54, v[42:43]
	v_lshrrev_b32_e32 v53, 3, v22
	v_sub_u32_e32 v55, 29, v56
	v_and_b32_e32 v54, 7, v54
	v_cmp_gt_u32_e32 vcc, 8, v22
	v_cndmask_b32_e32 v22, v53, v55, vcc
	v_cndmask_b32_e32 v51, v51, v54, vcc
	v_lshlrev_b32_e32 v42, 24, v42
	v_bfrev_b32_e32 v53, 60
	v_lshlrev_b32_e32 v51, 20, v51
	v_and_b32_e32 v42, 0x80000000, v42
	v_lshl_add_u32 v22, v22, 23, v53
	v_or3_b32 v22, v42, v22, v51
	v_lshrrev_b32_e32 v51, 16, v22
.LBB836_323:
	s_or_b64 exec, exec, s[10:11]
.LBB836_324:
	s_or_b64 exec, exec, s[8:9]
.LBB836_325:
	s_or_b64 exec, exec, s[2:3]
	v_cmp_ne_u16_sdwa s[8:9], v23, v45 src0_sel:BYTE_0 src1_sel:DWORD
	s_and_saveexec_b64 s[2:3], s[8:9]
	s_cbranch_execz .LBB836_331
; %bb.326:
	s_movk_i32 s8, 0x80
	v_cmp_ne_u16_sdwa s[10:11], v23, s8 src0_sel:BYTE_0 src1_sel:DWORD
	v_mov_b32_e32 v45, 0xffff8000
	s_and_saveexec_b64 s[8:9], s[10:11]
	s_cbranch_execz .LBB836_330
; %bb.327:
	s_movk_i32 s10, 0x7f
	v_and_b32_e32 v22, 0x7f, v23
	v_cmp_ne_u32_e32 vcc, s10, v22
	v_mov_b32_e32 v45, 0x7f80
	s_and_saveexec_b64 s[10:11], vcc
	s_cbranch_execz .LBB836_329
; %bb.328:
	v_and_b32_e32 v45, 7, v23
	v_ffbh_u32_e32 v54, v45
	v_min_u32_e32 v56, 32, v54
	v_mov_b32_e32 v42, v23
	v_subrev_u32_e32 v54, 28, v56
	v_lshlrev_b64 v[54:55], v54, v[42:43]
	v_lshrrev_b32_e32 v53, 3, v22
	v_sub_u32_e32 v42, 29, v56
	v_and_b32_e32 v54, 7, v54
	v_cmp_gt_u32_e32 vcc, 8, v22
	v_cndmask_b32_e32 v22, v53, v42, vcc
	v_cndmask_b32_e32 v42, v45, v54, vcc
	v_lshlrev_b32_e32 v45, 24, v23
	v_bfrev_b32_e32 v53, 60
	v_lshlrev_b32_e32 v42, 20, v42
	v_and_b32_e32 v45, 0x80000000, v45
	v_lshl_add_u32 v22, v22, 23, v53
	v_or3_b32 v22, v45, v22, v42
	v_lshrrev_b32_e32 v45, 16, v22
.LBB836_329:
	s_or_b64 exec, exec, s[10:11]
.LBB836_330:
	s_or_b64 exec, exec, s[8:9]
.LBB836_331:
	s_or_b64 exec, exec, s[2:3]
	v_lshrrev_b16_e32 v22, 8, v23
	v_cmp_ne_u16_e32 vcc, 0, v22
	v_mov_b32_e32 v54, 0
	v_mov_b32_e32 v53, 0
	s_and_saveexec_b64 s[2:3], vcc
	s_cbranch_execz .LBB836_337
; %bb.332:
	s_movk_i32 s8, 0x80
	v_cmp_ne_u16_e32 vcc, s8, v22
	v_mov_b32_e32 v53, 0xffff8000
	s_and_saveexec_b64 s[8:9], vcc
	s_cbranch_execz .LBB836_336
; %bb.333:
	s_movk_i32 s10, 0x7f
	v_and_b32_e32 v42, 0x7f, v22
	v_cmp_ne_u32_e32 vcc, s10, v42
	v_mov_b32_e32 v53, 0x7f80
	s_and_saveexec_b64 s[10:11], vcc
	s_cbranch_execz .LBB836_335
; %bb.334:
	v_and_b32_e32 v53, 7, v22
	v_ffbh_u32_e32 v56, v53
	v_min_u32_e32 v58, 32, v56
	v_subrev_u32_e32 v56, 28, v58
	v_lshlrev_b64 v[56:57], v56, v[22:23]
	v_lshrrev_b32_e32 v55, 3, v42
	v_sub_u32_e32 v22, 29, v58
	v_and_b32_e32 v56, 7, v56
	v_cmp_gt_u32_e32 vcc, 8, v42
	v_cndmask_b32_e32 v22, v55, v22, vcc
	v_cndmask_b32_e32 v42, v53, v56, vcc
	v_lshlrev_b32_e32 v53, 16, v23
	v_bfrev_b32_e32 v55, 60
	v_lshlrev_b32_e32 v42, 20, v42
	v_and_b32_e32 v53, 0x80000000, v53
	v_lshl_add_u32 v22, v22, 23, v55
	v_or3_b32 v22, v53, v22, v42
	v_lshrrev_b32_e32 v53, 16, v22
.LBB836_335:
	s_or_b64 exec, exec, s[10:11]
.LBB836_336:
	s_or_b64 exec, exec, s[8:9]
.LBB836_337:
	s_or_b64 exec, exec, s[2:3]
	s_movk_i32 s2, 0xff
	v_and_b32_sdwa v42, v23, s2 dst_sel:DWORD dst_unused:UNUSED_PAD src0_sel:WORD_1 src1_sel:DWORD
	v_lshrrev_b32_e32 v22, 16, v23
	v_cmp_ne_u16_e32 vcc, 0, v42
	s_and_saveexec_b64 s[2:3], vcc
	s_cbranch_execz .LBB836_343
; %bb.338:
	s_movk_i32 s8, 0x80
	v_cmp_ne_u16_e32 vcc, s8, v42
	v_mov_b32_e32 v54, 0xffff8000
	s_and_saveexec_b64 s[8:9], vcc
	s_cbranch_execz .LBB836_342
; %bb.339:
	v_bfe_u32 v42, v23, 16, 7
	s_movk_i32 s10, 0x7f
	v_cmp_ne_u32_e32 vcc, s10, v42
	v_mov_b32_e32 v54, 0x7f80
	s_and_saveexec_b64 s[10:11], vcc
	s_cbranch_execz .LBB836_341
; %bb.340:
	v_and_b32_e32 v56, 7, v22
	v_ffbh_u32_e32 v54, v56
	v_min_u32_e32 v58, 32, v54
	v_subrev_u32_e32 v54, 28, v58
	v_lshlrev_b64 v[54:55], v54, v[22:23]
	v_and_b32_e32 v54, 7, v54
	v_cmp_gt_u32_e32 vcc, 8, v42
	v_lshrrev_b32_e32 v57, 3, v42
	v_sub_u32_e32 v22, 29, v58
	v_cndmask_b32_e32 v42, v56, v54, vcc
	v_mov_b32_e32 v54, 24
	v_cndmask_b32_e32 v22, v57, v22, vcc
	v_lshlrev_b32_sdwa v54, v54, v23 dst_sel:DWORD dst_unused:UNUSED_PAD src0_sel:DWORD src1_sel:WORD_1
	v_bfrev_b32_e32 v55, 60
	v_lshlrev_b32_e32 v42, 20, v42
	v_and_b32_e32 v54, 0x80000000, v54
	v_lshl_add_u32 v22, v22, 23, v55
	v_or3_b32 v22, v54, v22, v42
	v_lshrrev_b32_e32 v54, 16, v22
.LBB836_341:
	s_or_b64 exec, exec, s[10:11]
.LBB836_342:
	s_or_b64 exec, exec, s[8:9]
.LBB836_343:
	s_or_b64 exec, exec, s[2:3]
	s_mov_b32 s2, 0xffffff
	v_cmp_lt_u32_e32 vcc, s2, v23
	v_mov_b32_e32 v42, 0
	v_mov_b32_e32 v55, 0
	s_and_saveexec_b64 s[2:3], vcc
	s_cbranch_execz .LBB836_349
; %bb.344:
	v_lshrrev_b32_e32 v22, 24, v23
	s_movk_i32 s8, 0x80
	v_cmp_ne_u32_e32 vcc, s8, v22
	v_mov_b32_e32 v55, 0xffff8000
	s_and_saveexec_b64 s[8:9], vcc
	s_cbranch_execz .LBB836_348
; %bb.345:
	v_bfe_u32 v23, v23, 24, 7
	s_movk_i32 s10, 0x7f
	v_cmp_ne_u32_e32 vcc, s10, v23
	v_mov_b32_e32 v55, 0x7f80
	s_and_saveexec_b64 s[10:11], vcc
	s_cbranch_execz .LBB836_347
; %bb.346:
	v_and_b32_e32 v55, 7, v22
	v_ffbh_u32_e32 v56, v55
	v_min_u32_e32 v59, 32, v56
	v_subrev_u32_e32 v56, 28, v59
	v_lshlrev_b64 v[56:57], v56, v[22:23]
	v_lshrrev_b32_e32 v58, 3, v23
	v_sub_u32_e32 v57, 29, v59
	v_and_b32_e32 v56, 7, v56
	v_cmp_gt_u32_e32 vcc, 8, v23
	v_cndmask_b32_e32 v23, v58, v57, vcc
	v_cndmask_b32_e32 v55, v55, v56, vcc
	v_lshlrev_b32_e32 v22, 24, v22
	v_bfrev_b32_e32 v56, 60
	v_lshlrev_b32_e32 v55, 20, v55
	v_and_b32_e32 v22, 0x80000000, v22
	v_lshl_add_u32 v23, v23, 23, v56
	v_or3_b32 v22, v22, v23, v55
	v_lshrrev_b32_e32 v55, 16, v22
.LBB836_347:
	s_or_b64 exec, exec, s[10:11]
.LBB836_348:
	s_or_b64 exec, exec, s[8:9]
.LBB836_349:
	s_or_b64 exec, exec, s[2:3]
	s_mov_b32 s2, 0x5040100
	v_perm_b32 v23, v51, v44, s2
	v_perm_b32 v22, v43, v52, s2
	v_cmp_ne_u16_sdwa s[8:9], v24, v42 src0_sel:BYTE_0 src1_sel:DWORD
	s_nop 0
	v_mfma_f32_16x16x16bf16_1k v[56:59], v[22:23], v[26:27], 0
	v_perm_b32 v23, v55, v54, s2
	v_perm_b32 v22, v53, v45, s2
	s_nop 1
	v_mfma_f32_16x16x16bf16_1k v[26:29], v[22:23], v[28:29], v[56:59]
	s_and_saveexec_b64 s[2:3], s[8:9]
	s_cbranch_execz .LBB836_355
; %bb.350:
	s_movk_i32 s8, 0x80
	v_cmp_ne_u16_sdwa s[10:11], v24, s8 src0_sel:BYTE_0 src1_sel:DWORD
	v_mov_b32_e32 v42, 0xffff8000
	s_and_saveexec_b64 s[8:9], s[10:11]
	s_cbranch_execz .LBB836_354
; %bb.351:
	s_movk_i32 s10, 0x7f
	v_and_b32_e32 v22, 0x7f, v24
	v_cmp_ne_u32_e32 vcc, s10, v22
	v_mov_b32_e32 v42, 0x7f80
	s_and_saveexec_b64 s[10:11], vcc
	s_cbranch_execz .LBB836_353
; %bb.352:
	v_and_b32_e32 v23, 7, v24
	v_ffbh_u32_e32 v42, v23
	v_min_u32_e32 v45, 32, v42
	v_subrev_u32_e32 v42, 28, v45
	v_lshlrev_b64 v[42:43], v42, v[24:25]
	v_lshrrev_b32_e32 v44, 3, v22
	v_sub_u32_e32 v43, 29, v45
	v_and_b32_e32 v42, 7, v42
	v_cmp_gt_u32_e32 vcc, 8, v22
	v_cndmask_b32_e32 v22, v44, v43, vcc
	v_cndmask_b32_e32 v23, v23, v42, vcc
	v_lshlrev_b32_e32 v42, 24, v24
	v_bfrev_b32_e32 v43, 60
	v_lshlrev_b32_e32 v23, 20, v23
	v_and_b32_e32 v42, 0x80000000, v42
	v_lshl_add_u32 v22, v22, 23, v43
	v_or3_b32 v22, v42, v22, v23
	v_lshrrev_b32_e32 v42, 16, v22
.LBB836_353:
	s_or_b64 exec, exec, s[10:11]
.LBB836_354:
	s_or_b64 exec, exec, s[8:9]
.LBB836_355:
	s_or_b64 exec, exec, s[2:3]
	v_lshrrev_b16_e32 v22, 8, v24
	v_cmp_ne_u16_e32 vcc, 0, v22
	v_mov_b32_e32 v43, 0
	v_mov_b32_e32 v23, 0
	s_and_saveexec_b64 s[2:3], vcc
	s_cbranch_execz .LBB836_361
; %bb.356:
	s_movk_i32 s8, 0x80
	v_cmp_ne_u16_e32 vcc, s8, v22
	v_mov_b32_e32 v23, 0xffff8000
	s_and_saveexec_b64 s[8:9], vcc
	s_cbranch_execz .LBB836_360
; %bb.357:
	s_movk_i32 s10, 0x7f
	v_and_b32_e32 v44, 0x7f, v22
	v_cmp_ne_u32_e32 vcc, s10, v44
	v_mov_b32_e32 v23, 0x7f80
	s_and_saveexec_b64 s[10:11], vcc
	s_cbranch_execz .LBB836_359
; %bb.358:
	v_and_b32_e32 v45, 7, v22
	v_ffbh_u32_e32 v23, v45
	v_min_u32_e32 v52, 32, v23
	v_subrev_u32_e32 v23, 28, v52
	v_lshlrev_b64 v[22:23], v23, v[22:23]
	v_lshrrev_b32_e32 v51, 3, v44
	v_sub_u32_e32 v23, 29, v52
	v_and_b32_e32 v22, 7, v22
	v_cmp_gt_u32_e32 vcc, 8, v44
	v_cndmask_b32_e32 v23, v51, v23, vcc
	v_cndmask_b32_e32 v22, v45, v22, vcc
	v_lshlrev_b32_e32 v44, 16, v24
	v_bfrev_b32_e32 v45, 60
	v_lshlrev_b32_e32 v22, 20, v22
	v_and_b32_e32 v44, 0x80000000, v44
	v_lshl_add_u32 v23, v23, 23, v45
	v_or3_b32 v22, v44, v23, v22
	v_lshrrev_b32_e32 v23, 16, v22
.LBB836_359:
	s_or_b64 exec, exec, s[10:11]
.LBB836_360:
	s_or_b64 exec, exec, s[8:9]
.LBB836_361:
	s_or_b64 exec, exec, s[2:3]
	s_movk_i32 s2, 0xff
	v_and_b32_sdwa v44, v24, s2 dst_sel:DWORD dst_unused:UNUSED_PAD src0_sel:WORD_1 src1_sel:DWORD
	v_lshrrev_b32_e32 v22, 16, v24
	v_cmp_ne_u16_e32 vcc, 0, v44
	s_and_saveexec_b64 s[2:3], vcc
	s_cbranch_execz .LBB836_367
; %bb.362:
	s_movk_i32 s8, 0x80
	v_cmp_ne_u16_e32 vcc, s8, v44
	v_mov_b32_e32 v43, 0xffff8000
	s_and_saveexec_b64 s[8:9], vcc
	s_cbranch_execz .LBB836_366
; %bb.363:
	v_bfe_u32 v44, v24, 16, 7
	s_movk_i32 s10, 0x7f
	v_cmp_ne_u32_e32 vcc, s10, v44
	v_mov_b32_e32 v43, 0x7f80
	s_and_saveexec_b64 s[10:11], vcc
	s_cbranch_execz .LBB836_365
; %bb.364:
	v_and_b32_e32 v43, 7, v22
	v_ffbh_u32_e32 v51, v43
	v_min_u32_e32 v51, 32, v51
	v_subrev_u32_e32 v52, 28, v51
	v_lshlrev_b64 v[52:53], v52, v[22:23]
	v_lshrrev_b32_e32 v45, 3, v44
	v_sub_u32_e32 v22, 29, v51
	v_and_b32_e32 v51, 7, v52
	v_cmp_gt_u32_e32 vcc, 8, v44
	v_mov_b32_e32 v44, 24
	v_cndmask_b32_e32 v22, v45, v22, vcc
	v_cndmask_b32_e32 v43, v43, v51, vcc
	v_lshlrev_b32_sdwa v44, v44, v24 dst_sel:DWORD dst_unused:UNUSED_PAD src0_sel:DWORD src1_sel:WORD_1
	v_bfrev_b32_e32 v45, 60
	v_lshlrev_b32_e32 v43, 20, v43
	v_and_b32_e32 v44, 0x80000000, v44
	v_lshl_add_u32 v22, v22, 23, v45
	v_or3_b32 v22, v44, v22, v43
	v_lshrrev_b32_e32 v43, 16, v22
.LBB836_365:
	s_or_b64 exec, exec, s[10:11]
.LBB836_366:
	s_or_b64 exec, exec, s[8:9]
.LBB836_367:
	s_or_b64 exec, exec, s[2:3]
	s_mov_b32 s2, 0xffffff
	v_cmp_lt_u32_e32 vcc, s2, v24
	v_mov_b32_e32 v45, 0
	v_mov_b32_e32 v51, 0
	s_and_saveexec_b64 s[2:3], vcc
	s_cbranch_execz .LBB836_373
; %bb.368:
	v_lshrrev_b32_e32 v22, 24, v24
	s_movk_i32 s8, 0x80
	v_cmp_ne_u32_e32 vcc, s8, v22
	v_mov_b32_e32 v51, 0xffff8000
	s_and_saveexec_b64 s[8:9], vcc
	s_cbranch_execz .LBB836_372
; %bb.369:
	v_bfe_u32 v24, v24, 24, 7
	s_movk_i32 s10, 0x7f
	v_cmp_ne_u32_e32 vcc, s10, v24
	v_mov_b32_e32 v51, 0x7f80
	s_and_saveexec_b64 s[10:11], vcc
	s_cbranch_execz .LBB836_371
; %bb.370:
	v_and_b32_e32 v44, 7, v22
	v_ffbh_u32_e32 v52, v44
	v_min_u32_e32 v54, 32, v52
	v_subrev_u32_e32 v52, 28, v54
	v_lshlrev_b64 v[52:53], v52, v[22:23]
	v_lshrrev_b32_e32 v51, 3, v24
	v_sub_u32_e32 v53, 29, v54
	v_and_b32_e32 v52, 7, v52
	v_cmp_gt_u32_e32 vcc, 8, v24
	v_cndmask_b32_e32 v24, v51, v53, vcc
	v_cndmask_b32_e32 v44, v44, v52, vcc
	v_lshlrev_b32_e32 v22, 24, v22
	v_bfrev_b32_e32 v51, 60
	v_lshlrev_b32_e32 v44, 20, v44
	v_and_b32_e32 v22, 0x80000000, v22
	v_lshl_add_u32 v24, v24, 23, v51
	v_or3_b32 v22, v22, v24, v44
	v_lshrrev_b32_e32 v51, 16, v22
.LBB836_371:
	s_or_b64 exec, exec, s[10:11]
.LBB836_372:
	s_or_b64 exec, exec, s[8:9]
.LBB836_373:
	s_or_b64 exec, exec, s[2:3]
	v_cmp_ne_u16_sdwa s[8:9], v25, v45 src0_sel:BYTE_0 src1_sel:DWORD
	s_and_saveexec_b64 s[2:3], s[8:9]
	s_cbranch_execz .LBB836_379
; %bb.374:
	s_movk_i32 s8, 0x80
	v_cmp_ne_u16_sdwa s[10:11], v25, s8 src0_sel:BYTE_0 src1_sel:DWORD
	v_mov_b32_e32 v45, 0xffff8000
	s_and_saveexec_b64 s[8:9], s[10:11]
	s_cbranch_execz .LBB836_378
; %bb.375:
	s_movk_i32 s10, 0x7f
	v_and_b32_e32 v22, 0x7f, v25
	v_cmp_ne_u32_e32 vcc, s10, v22
	v_mov_b32_e32 v45, 0x7f80
	s_and_saveexec_b64 s[10:11], vcc
	s_cbranch_execz .LBB836_377
; %bb.376:
	v_and_b32_e32 v52, 7, v25
	v_ffbh_u32_e32 v44, v52
	v_min_u32_e32 v54, 32, v44
	v_mov_b32_e32 v24, v25
	v_subrev_u32_e32 v44, 28, v54
	v_lshlrev_b64 v[44:45], v44, v[24:25]
	v_lshrrev_b32_e32 v53, 3, v22
	v_sub_u32_e32 v24, 29, v54
	v_and_b32_e32 v44, 7, v44
	v_cmp_gt_u32_e32 vcc, 8, v22
	v_cndmask_b32_e32 v22, v53, v24, vcc
	v_cndmask_b32_e32 v24, v52, v44, vcc
	v_lshlrev_b32_e32 v44, 24, v25
	v_bfrev_b32_e32 v45, 60
	v_lshlrev_b32_e32 v24, 20, v24
	v_and_b32_e32 v44, 0x80000000, v44
	v_lshl_add_u32 v22, v22, 23, v45
	v_or3_b32 v22, v44, v22, v24
	v_lshrrev_b32_e32 v45, 16, v22
.LBB836_377:
	s_or_b64 exec, exec, s[10:11]
.LBB836_378:
	s_or_b64 exec, exec, s[8:9]
.LBB836_379:
	s_or_b64 exec, exec, s[2:3]
	v_lshrrev_b16_e32 v22, 8, v25
	v_cmp_ne_u16_e32 vcc, 0, v22
	v_mov_b32_e32 v53, 0
	v_mov_b32_e32 v52, 0
	s_and_saveexec_b64 s[2:3], vcc
	s_cbranch_execz .LBB836_385
; %bb.380:
	s_movk_i32 s8, 0x80
	v_cmp_ne_u16_e32 vcc, s8, v22
	v_mov_b32_e32 v52, 0xffff8000
	s_and_saveexec_b64 s[8:9], vcc
	s_cbranch_execz .LBB836_384
; %bb.381:
	s_movk_i32 s10, 0x7f
	v_and_b32_e32 v24, 0x7f, v22
	v_cmp_ne_u32_e32 vcc, s10, v24
	v_mov_b32_e32 v52, 0x7f80
	s_and_saveexec_b64 s[10:11], vcc
	s_cbranch_execz .LBB836_383
; %bb.382:
	v_and_b32_e32 v44, 7, v22
	v_ffbh_u32_e32 v54, v44
	v_min_u32_e32 v56, 32, v54
	v_subrev_u32_e32 v54, 28, v56
	v_lshlrev_b64 v[54:55], v54, v[22:23]
	v_lshrrev_b32_e32 v52, 3, v24
	v_sub_u32_e32 v22, 29, v56
	v_and_b32_e32 v54, 7, v54
	v_cmp_gt_u32_e32 vcc, 8, v24
	v_cndmask_b32_e32 v22, v52, v22, vcc
	v_cndmask_b32_e32 v24, v44, v54, vcc
	v_lshlrev_b32_e32 v44, 16, v25
	v_bfrev_b32_e32 v52, 60
	v_lshlrev_b32_e32 v24, 20, v24
	v_and_b32_e32 v44, 0x80000000, v44
	v_lshl_add_u32 v22, v22, 23, v52
	v_or3_b32 v22, v44, v22, v24
	v_lshrrev_b32_e32 v52, 16, v22
.LBB836_383:
	s_or_b64 exec, exec, s[10:11]
.LBB836_384:
	s_or_b64 exec, exec, s[8:9]
.LBB836_385:
	s_or_b64 exec, exec, s[2:3]
	s_movk_i32 s2, 0xff
	v_and_b32_sdwa v24, v25, s2 dst_sel:DWORD dst_unused:UNUSED_PAD src0_sel:WORD_1 src1_sel:DWORD
	v_lshrrev_b32_e32 v22, 16, v25
	v_cmp_ne_u16_e32 vcc, 0, v24
	s_and_saveexec_b64 s[2:3], vcc
	s_cbranch_execz .LBB836_391
; %bb.386:
	s_movk_i32 s8, 0x80
	v_cmp_ne_u16_e32 vcc, s8, v24
	v_mov_b32_e32 v53, 0xffff8000
	s_and_saveexec_b64 s[8:9], vcc
	s_cbranch_execz .LBB836_390
; %bb.387:
	v_bfe_u32 v24, v25, 16, 7
	s_movk_i32 s10, 0x7f
	v_cmp_ne_u32_e32 vcc, s10, v24
	v_mov_b32_e32 v53, 0x7f80
	s_and_saveexec_b64 s[10:11], vcc
	s_cbranch_execz .LBB836_389
; %bb.388:
	v_and_b32_e32 v44, 7, v22
	v_ffbh_u32_e32 v54, v44
	v_min_u32_e32 v56, 32, v54
	v_subrev_u32_e32 v54, 28, v56
	v_lshlrev_b64 v[54:55], v54, v[22:23]
	v_and_b32_e32 v54, 7, v54
	v_cmp_gt_u32_e32 vcc, 8, v24
	v_lshrrev_b32_e32 v53, 3, v24
	v_sub_u32_e32 v22, 29, v56
	v_cndmask_b32_e32 v24, v44, v54, vcc
	v_mov_b32_e32 v44, 24
	v_cndmask_b32_e32 v22, v53, v22, vcc
	v_lshlrev_b32_sdwa v44, v44, v25 dst_sel:DWORD dst_unused:UNUSED_PAD src0_sel:DWORD src1_sel:WORD_1
	v_bfrev_b32_e32 v53, 60
	v_lshlrev_b32_e32 v24, 20, v24
	v_and_b32_e32 v44, 0x80000000, v44
	v_lshl_add_u32 v22, v22, 23, v53
	v_or3_b32 v22, v44, v22, v24
	v_lshrrev_b32_e32 v53, 16, v22
.LBB836_389:
	s_or_b64 exec, exec, s[10:11]
.LBB836_390:
	s_or_b64 exec, exec, s[8:9]
.LBB836_391:
	s_or_b64 exec, exec, s[2:3]
	s_mov_b32 s2, 0xffffff
	v_and_b32_e32 v44, 63, v0
	v_cmp_lt_u32_e32 vcc, s2, v25
	v_mov_b32_e32 v54, 0
	s_and_saveexec_b64 s[2:3], vcc
	s_cbranch_execz .LBB836_397
; %bb.392:
	v_lshrrev_b32_e32 v22, 24, v25
	s_movk_i32 s8, 0x80
	v_cmp_ne_u32_e32 vcc, s8, v22
	v_mov_b32_e32 v54, 0xffff8000
	s_and_saveexec_b64 s[8:9], vcc
	s_cbranch_execz .LBB836_396
; %bb.393:
	v_bfe_u32 v24, v25, 24, 7
	s_movk_i32 s10, 0x7f
	v_cmp_ne_u32_e32 vcc, s10, v24
	v_mov_b32_e32 v54, 0x7f80
	s_and_saveexec_b64 s[10:11], vcc
	s_cbranch_execz .LBB836_395
; %bb.394:
	v_and_b32_e32 v25, 7, v22
	v_ffbh_u32_e32 v54, v25
	v_min_u32_e32 v57, 32, v54
	v_subrev_u32_e32 v54, 28, v57
	v_lshlrev_b64 v[54:55], v54, v[22:23]
	v_lshrrev_b32_e32 v56, 3, v24
	v_sub_u32_e32 v55, 29, v57
	v_and_b32_e32 v54, 7, v54
	v_cmp_gt_u32_e32 vcc, 8, v24
	v_cndmask_b32_e32 v24, v56, v55, vcc
	v_cndmask_b32_e32 v25, v25, v54, vcc
	v_lshlrev_b32_e32 v22, 24, v22
	v_bfrev_b32_e32 v54, 60
	v_lshlrev_b32_e32 v25, 20, v25
	v_and_b32_e32 v22, 0x80000000, v22
	v_lshl_add_u32 v24, v24, 23, v54
	v_or3_b32 v22, v22, v24, v25
	v_lshrrev_b32_e32 v54, 16, v22
.LBB836_395:
	s_or_b64 exec, exec, s[10:11]
.LBB836_396:
	s_or_b64 exec, exec, s[8:9]
.LBB836_397:
	s_or_b64 exec, exec, s[2:3]
	s_mov_b32 s3, 0x5040100
	v_perm_b32 v43, v51, v43, s3
	v_perm_b32 v42, v23, v42, s3
	s_load_dword s2, s[4:5], 0x1c
	s_mov_b32 s46, 0xff7fffff
	s_waitcnt lgkmcnt(0)
	v_mfma_f32_16x16x16bf16_1k v[26:29], v[42:43], v[18:19], v[26:29]
	v_perm_b32 v19, v54, v53, s3
	v_perm_b32 v18, v52, v45, s3
	v_mov_b32_e32 v22, s2
	v_mul_f32_e32 v56, s12, v22
	v_pk_mul_f32 v[22:23], v[56:57], v[32:33] op_sel_hi:[0,1]
	v_pk_mul_f32 v[32:33], v[56:57], v[38:39] op_sel_hi:[0,1]
	v_and_b32_e32 v38, 0xc0, v0
	v_mfma_f32_16x16x16bf16_1k v[26:29], v[18:19], v[20:21], v[26:29]
	v_add_u32_e32 v38, s18, v38
	v_lshl_or_b32 v38, v1, 2, v38
	v_or_b32_e32 v39, 1, v38
	v_pk_mul_f32 v[24:25], v[56:57], v[30:31] op_sel_hi:[0,1]
	v_pk_mul_f32 v[30:31], v[56:57], v[40:41] op_sel_hi:[0,1]
	v_subrev_u32_e32 v40, s33, v39
	v_pk_mul_f32 v[34:35], v[56:57], v[34:35] op_sel_hi:[0,1]
	s_nop 3
	v_pk_mul_f32 v[20:21], v[56:57], v[26:27] op_sel_hi:[0,1]
	v_add_u32_e32 v27, 1, v40
	v_pk_mul_f32 v[18:19], v[56:57], v[28:29] op_sel_hi:[0,1]
	v_cvt_f32_i32_e32 v27, v27
	v_add_u32_e32 v29, 3, v40
	v_cvt_f32_i32_e32 v29, v29
	v_cvt_f32_i32_e32 v26, v40
	v_pk_mul_f32 v[36:37], v[56:57], v[36:37] op_sel_hi:[0,1]
	v_fmac_f32_e32 v35, v50, v27
	v_add_u32_e32 v27, 16, v40
	v_fmac_f32_e32 v37, v50, v29
	v_cvt_f32_i32_e32 v27, v27
	v_add_u32_e32 v29, 17, v40
	v_fma_f32 v26, v50, v26, v34
	v_cvt_f32_i32_e32 v29, v29
	v_add_u32_e32 v34, 18, v40
	v_cvt_f32_i32_e32 v34, v34
	v_fma_f32 v41, v50, v27, v32
	v_add_u32_e32 v27, 32, v40
	v_fmac_f32_e32 v33, v50, v29
	v_cvt_f32_i32_e32 v27, v27
	v_add_u32_e32 v29, 33, v40
	v_add_u32_e32 v32, 34, v40
	v_fma_f32 v30, v50, v34, v30
	v_cvt_f32_i32_e32 v29, v29
	v_cvt_f32_i32_e32 v32, v32
	v_add_u32_e32 v34, 35, v40
	v_cvt_f32_i32_e32 v34, v34
	v_fma_f32 v24, v50, v27, v24
	v_add_u32_e32 v27, 48, v40
	v_fmac_f32_e32 v25, v50, v29
	v_fma_f32 v22, v50, v32, v22
	v_cvt_f32_i32_e32 v27, v27
	v_add_u32_e32 v29, 49, v40
	v_add_u32_e32 v32, 50, v40
	v_fmac_f32_e32 v23, v50, v34
	v_cvt_f32_i32_e32 v29, v29
	v_cvt_f32_i32_e32 v32, v32
	v_add_u32_e32 v34, 51, v40
	v_add_u32_e32 v28, 2, v40
	v_cvt_f32_i32_e32 v34, v34
	v_cvt_f32_i32_e32 v28, v28
	v_fma_f32 v20, v50, v27, v20
	v_mov_b32_e32 v27, 0xff7fffff
	v_cmp_gt_i32_e64 s[26:27], s33, v38
	v_cmp_gt_i32_e64 s[28:29], s33, v39
	v_fmac_f32_e32 v21, v50, v29
	v_fma_f32 v18, v50, v32, v18
	v_cndmask_b32_e64 v29, v27, v26, s[26:27]
	v_cndmask_b32_e64 v32, v27, v35, s[28:29]
	v_fmac_f32_e32 v19, v50, v34
	v_max3_f32 v29, v29, s46, v32
	v_or_b32_e32 v32, 2, v38
	v_or_b32_e32 v34, 3, v38
	v_fma_f32 v28, v50, v28, v36
	v_cmp_gt_i32_e64 s[30:31], s33, v32
	v_cmp_gt_i32_e64 s[34:35], s33, v34
	v_add_u32_e32 v36, 19, v40
	v_cndmask_b32_e64 v32, v27, v28, s[30:31]
	v_cndmask_b32_e64 v34, v27, v37, s[34:35]
	v_cvt_f32_i32_e32 v36, v36
	v_max3_f32 v29, v29, v32, v34
	v_or_b32_e32 v32, 16, v38
	v_or_b32_e32 v34, 17, v38
	v_cmp_gt_i32_e64 s[36:37], s33, v32
	v_cmp_gt_i32_e64 s[38:39], s33, v34
	v_cndmask_b32_e64 v32, v27, v41, s[36:37]
	v_cndmask_b32_e64 v34, v27, v33, s[38:39]
	v_max3_f32 v29, v29, v32, v34
	v_or_b32_e32 v32, 18, v38
	v_or_b32_e32 v34, 19, v38
	v_fmac_f32_e32 v31, v50, v36
	v_cmp_gt_i32_e64 s[20:21], s33, v32
	v_cmp_gt_i32_e64 s[22:23], s33, v34
	v_cndmask_b32_e64 v32, v27, v30, s[20:21]
	v_cndmask_b32_e64 v34, v27, v31, s[22:23]
	v_max3_f32 v29, v29, v32, v34
	v_or_b32_e32 v32, 32, v38
	v_or_b32_e32 v34, 33, v38
	v_cmp_gt_i32_e64 s[16:17], s33, v32
	v_cmp_gt_i32_e64 s[18:19], s33, v34
	v_cndmask_b32_e64 v32, v27, v24, s[16:17]
	v_cndmask_b32_e64 v34, v27, v25, s[18:19]
	v_max3_f32 v29, v29, v32, v34
	v_or_b32_e32 v32, 34, v38
	v_or_b32_e32 v34, 35, v38
	;; [unrolled: 7-line block ×4, first 2 shown]
	v_cmp_gt_i32_e32 vcc, s33, v32
	v_cmp_gt_i32_e64 s[2:3], s33, v34
	v_cndmask_b32_e32 v32, v27, v18, vcc
	v_cndmask_b32_e64 v27, v27, v19, s[2:3]
	v_max3_f32 v27, v29, v32, v27
	v_mbcnt_lo_u32_b32 v29, -1, 0
	v_mbcnt_hi_u32_b32 v29, -1, v29
	v_and_b32_e32 v32, 64, v29
	v_add_u32_e32 v32, 64, v32
	v_xor_b32_e32 v34, 32, v29
	v_cmp_lt_i32_e64 s[40:41], v34, v32
	v_cndmask_b32_e64 v34, v29, v34, s[40:41]
	v_lshlrev_b32_e32 v36, 2, v34
	ds_bpermute_b32 v34, v36, v27
	s_barrier
	s_waitcnt lgkmcnt(0)
	v_max_f32_e32 v34, v34, v34
	v_max_f32_e32 v27, v27, v34
	v_xor_b32_e32 v34, 16, v29
	v_cmp_lt_i32_e64 s[40:41], v34, v32
	v_cndmask_b32_e64 v29, v29, v34, s[40:41]
	v_lshlrev_b32_e32 v38, 2, v29
	ds_bpermute_b32 v29, v38, v27
	s_waitcnt lgkmcnt(0)
	v_max_f32_e32 v29, v29, v29
	v_max_f32_e32 v32, v27, v29
	v_sub_f32_e32 v26, v26, v32
	v_mul_f32_e32 v26, 0x3fb8aa3b, v26
	v_sub_f32_e32 v27, v35, v32
	v_exp_f32_e32 v26, v26
	v_mul_f32_e32 v27, 0x3fb8aa3b, v27
	v_sub_f32_e32 v28, v28, v32
	v_exp_f32_e32 v27, v27
	v_mul_f32_e32 v28, 0x3fb8aa3b, v28
	v_exp_f32_e32 v28, v28
	v_cndmask_b32_e64 v26, 0, v26, s[26:27]
	v_sub_f32_e32 v34, v37, v32
	v_add_f32_e32 v29, 0, v26
	v_cndmask_b32_e64 v27, 0, v27, s[28:29]
	v_mul_f32_e32 v34, 0x3fb8aa3b, v34
	v_exp_f32_e32 v35, v34
	v_add_f32_e32 v29, v29, v27
	v_cndmask_b32_e64 v34, 0, v28, s[30:31]
	v_add_f32_e32 v28, v29, v34
	v_sub_f32_e32 v29, v41, v32
	v_mul_f32_e32 v29, 0x3fb8aa3b, v29
	v_sub_f32_e32 v33, v33, v32
	v_exp_f32_e32 v29, v29
	v_mul_f32_e32 v33, 0x3fb8aa3b, v33
	v_sub_f32_e32 v30, v30, v32
	v_exp_f32_e32 v33, v33
	v_mul_f32_e32 v30, 0x3fb8aa3b, v30
	v_sub_f32_e32 v31, v31, v32
	v_exp_f32_e32 v30, v30
	v_mul_f32_e32 v31, 0x3fb8aa3b, v31
	v_sub_f32_e32 v24, v24, v32
	v_cndmask_b32_e64 v35, 0, v35, s[34:35]
	v_exp_f32_e32 v31, v31
	v_mul_f32_e32 v24, 0x3fb8aa3b, v24
	v_sub_f32_e32 v25, v25, v32
	v_add_f32_e32 v37, v28, v35
	v_cndmask_b32_e64 v28, 0, v29, s[36:37]
	v_exp_f32_e32 v24, v24
	v_mul_f32_e32 v25, 0x3fb8aa3b, v25
	v_sub_f32_e32 v22, v22, v32
	v_add_f32_e32 v37, v37, v28
	;; [unrolled: 5-line block ×7, first 2 shown]
	v_cndmask_b32_e64 v22, 0, v22, s[12:13]
	v_exp_f32_e32 v18, v18
	v_mul_f32_e32 v19, 0x3fb8aa3b, v19
	v_add_f32_e32 v33, v33, v22
	v_cndmask_b32_e64 v23, 0, v23, s[14:15]
	v_exp_f32_e32 v19, v19
	v_add_f32_e32 v33, v33, v23
	v_cndmask_b32_e64 v20, 0, v20, s[8:9]
	v_add_f32_e32 v33, v33, v20
	v_cndmask_b32_e64 v21, 0, v21, s[10:11]
	v_add_f32_e32 v33, v33, v21
	v_cndmask_b32_e32 v18, 0, v18, vcc
	v_add_f32_e32 v33, v33, v18
	v_cndmask_b32_e64 v19, 0, v19, s[2:3]
	v_add_f32_e32 v33, v33, v19
	ds_bpermute_b32 v36, v36, v33
	v_cmp_gt_u32_e32 vcc, 16, v44
	s_waitcnt lgkmcnt(0)
	v_add_f32_e32 v36, v33, v36
	ds_bpermute_b32 v37, v38, v36
	v_lshlrev_b32_e32 v33, 2, v48
	s_and_saveexec_b64 s[2:3], vcc
	s_cbranch_execz .LBB836_399
; %bb.398:
	s_waitcnt lgkmcnt(0)
	v_add_f32_e32 v36, v36, v37
	v_lshl_or_b32 v37, v49, 6, v33
	ds_write2st64_b32 v37, v32, v36 offset1:1
.LBB836_399:
	s_or_b64 exec, exec, s[2:3]
	s_waitcnt lgkmcnt(0)
	s_barrier
	ds_read2_b32 v[36:37], v33 offset1:16
	ds_read2_b32 v[38:39], v33 offset0:32 offset1:48
	ds_read2_b32 v[40:41], v33 offset0:64 offset1:80
	s_mul_i32 s12, s45, 7
	s_waitcnt lgkmcnt(2)
	v_max3_f32 v32, v36, s46, v37
	s_waitcnt lgkmcnt(1)
	v_max3_f32 v32, v32, v38, v39
	v_sub_f32_e32 v36, v36, v32
	v_mul_f32_e32 v36, 0x3fb8aa3b, v36
	v_exp_f32_e32 v42, v36
	v_sub_f32_e32 v36, v37, v32
	v_mul_f32_e32 v36, 0x3fb8aa3b, v36
	v_exp_f32_e32 v43, v36
	;; [unrolled: 3-line block ×3, first 2 shown]
	ds_read2_b32 v[36:37], v33 offset0:96 offset1:112
	v_sub_f32_e32 v33, v39, v32
	v_mul_f32_e32 v33, 0x3fb8aa3b, v33
	v_exp_f32_e32 v39, v33
	s_waitcnt lgkmcnt(1)
	v_fma_f32 v33, v42, v40, 0
	v_fmac_f32_e32 v33, v43, v41
	s_waitcnt lgkmcnt(0)
	v_fmac_f32_e32 v33, v38, v36
	v_fmac_f32_e32 v33, v39, v37
	v_add_f32_e32 v36, 0x358637bd, v33
	v_div_scale_f32 v37, s[2:3], v36, v36, 1.0
	v_rcp_f32_e32 v40, v37
	s_movk_i32 s2, 0x7fff
	s_mov_b32 s3, 0x7060302
	v_fma_f32 v41, -v37, v40, 1.0
	v_fmac_f32_e32 v40, v41, v40
	v_div_scale_f32 v41, vcc, 1.0, v36, 1.0
	v_mul_f32_e32 v44, v41, v40
	v_fma_f32 v45, -v37, v44, v41
	v_fmac_f32_e32 v44, v45, v40
	v_fma_f32 v37, -v37, v44, v41
	v_div_fmas_f32 v37, v37, v40, v44
	v_cmp_eq_u32_e32 vcc, 1, v49
	v_div_fixup_f32 v36, v37, v36, 1.0
	v_cndmask_b32_e32 v37, v42, v43, vcc
	v_cmp_eq_u32_e32 vcc, 2, v49
	v_cndmask_b32_e32 v37, v37, v38, vcc
	v_cmp_eq_u32_e32 vcc, 3, v49
	v_cndmask_b32_e32 v37, v37, v39, vcc
	v_mul_f32_e32 v36, v37, v36
	v_pk_mul_f32 v[26:27], v[36:37], v[26:27] op_sel_hi:[0,1]
	v_pk_mul_f32 v[34:35], v[36:37], v[34:35] op_sel_hi:[0,1]
	v_bfe_u32 v37, v27, 16, 1
	v_bfe_u32 v38, v26, 16, 1
	v_add3_u32 v26, v26, v38, s2
	v_add3_u32 v27, v27, v37, s2
	v_perm_b32 v38, v27, v26, s3
	v_bfe_u32 v26, v35, 16, 1
	v_bfe_u32 v27, v34, 16, 1
	v_add3_u32 v27, v34, v27, s2
	v_add3_u32 v26, v35, v26, s2
	v_perm_b32 v39, v26, v27, s3
	v_lshlrev_b32_e32 v26, 3, v1
	v_lshlrev_b32_e32 v27, 5, v48
	;; [unrolled: 1-line block ×3, first 2 shown]
	v_pk_mul_f32 v[28:29], v[36:37], v[28:29] op_sel_hi:[0,1]
	v_or3_b32 v26, v34, v27, v26
	v_bfe_u32 v34, v29, 16, 1
	v_bfe_u32 v35, v28, 16, 1
	v_pk_mul_f32 v[30:31], v[36:37], v[30:31] op_sel_hi:[0,1]
	v_add3_u32 v28, v28, v35, s2
	v_add3_u32 v29, v29, v34, s2
	v_perm_b32 v28, v29, v28, s3
	v_bfe_u32 v29, v31, 16, 1
	v_bfe_u32 v34, v30, 16, 1
	v_add3_u32 v30, v30, v34, s2
	v_add3_u32 v29, v31, v29, s2
	v_perm_b32 v29, v29, v30, s3
	v_pk_mul_f32 v[24:25], v[36:37], v[24:25] op_sel_hi:[0,1]
	s_barrier
	ds_write2st64_b64 v26, v[38:39], v[28:29] offset1:1
	v_bfe_u32 v28, v25, 16, 1
	v_bfe_u32 v29, v24, 16, 1
	v_pk_mul_f32 v[22:23], v[36:37], v[22:23] op_sel_hi:[0,1]
	v_add3_u32 v24, v24, v29, s2
	v_add3_u32 v25, v25, v28, s2
	v_perm_b32 v24, v25, v24, s3
	v_bfe_u32 v25, v23, 16, 1
	v_bfe_u32 v28, v22, 16, 1
	v_add3_u32 v22, v22, v28, s2
	v_add3_u32 v23, v23, v25, s2
	v_pk_mul_f32 v[20:21], v[36:37], v[20:21] op_sel_hi:[0,1]
	v_perm_b32 v25, v23, v22, s3
	v_bfe_u32 v22, v21, 16, 1
	v_bfe_u32 v23, v20, 16, 1
	v_pk_mul_f32 v[18:19], v[36:37], v[18:19] op_sel_hi:[0,1]
	v_add3_u32 v20, v20, v23, s2
	v_add3_u32 v21, v21, v22, s2
	v_perm_b32 v20, v21, v20, s3
	v_bfe_u32 v21, v19, 16, 1
	v_bfe_u32 v22, v18, 16, 1
	v_add3_u32 v18, v18, v22, s2
	v_add3_u32 v19, v19, v21, s2
	v_perm_b32 v21, v19, v18, s3
	v_cmp_gt_u32_e32 vcc, 7, v0
	ds_write2st64_b64 v26, v[24:25], v[20:21] offset0:2 offset1:3
	s_and_saveexec_b64 s[2:3], vcc
	s_cbranch_execz .LBB836_401
; %bb.400:
	v_add_co_u32_e32 v20, vcc, s25, v48
	v_addc_co_u32_e64 v21, s[14:15], 0, 0, vcc
	v_mov_b32_e32 v18, s12
	v_mov_b32_e32 v19, 0
	v_mad_u64_u32 v[20:21], s[14:15], s6, v18, v[20:21]
	v_mov_b32_e32 v18, s24
	s_load_dwordx4 s[8:11], s[4:5], 0x58
	s_mul_i32 s7, s7, s12
	v_mad_u64_u32 v[18:19], s[14:15], v20, s44, v[18:19]
	v_add_u32_e32 v21, s7, v21
	v_mov_b32_e32 v20, v19
	v_mad_u64_u32 v[20:21], s[14:15], v21, s44, v[20:21]
	v_mov_b32_e32 v19, v20
	v_lshlrev_b64 v[18:19], 2, v[18:19]
	s_waitcnt lgkmcnt(0)
	v_mov_b32_e32 v21, s11
	v_add_co_u32_e32 v20, vcc, s10, v18
	v_addc_co_u32_e32 v21, vcc, v21, v19, vcc
	global_store_dword v[20:21], v32, off
	v_mov_b32_e32 v20, s9
	v_add_co_u32_e32 v18, vcc, s8, v18
	v_addc_co_u32_e32 v19, vcc, v20, v19, vcc
	global_store_dword v[18:19], v33, off
.LBB836_401:
	s_or_b64 exec, exec, s[2:3]
	v_mov_b32_e32 v19, 0
	s_waitcnt vmcnt(3)
	v_cmp_ne_u16_sdwa s[8:9], v14, v19 src0_sel:BYTE_0 src1_sel:DWORD
	v_mov_b32_e32 v20, 0
	s_waitcnt lgkmcnt(0)
	s_barrier
	s_and_saveexec_b64 s[2:3], s[8:9]
	s_cbranch_execz .LBB836_407
; %bb.402:
	s_movk_i32 s7, 0x80
	v_cmp_ne_u16_sdwa s[10:11], v14, s7 src0_sel:BYTE_0 src1_sel:DWORD
	v_mov_b32_e32 v20, 0xffff8000
	s_and_saveexec_b64 s[8:9], s[10:11]
	s_cbranch_execz .LBB836_406
; %bb.403:
	s_movk_i32 s7, 0x7f
	v_and_b32_e32 v18, 0x7f, v14
	v_cmp_ne_u32_e32 vcc, s7, v18
	v_mov_b32_e32 v20, 0x7f80
	s_and_saveexec_b64 s[10:11], vcc
	s_cbranch_execz .LBB836_405
; %bb.404:
	v_and_b32_e32 v22, 7, v14
	v_ffbh_u32_e32 v20, v22
	v_min_u32_e32 v24, 32, v20
	v_subrev_u32_e32 v20, 28, v24
	v_lshlrev_b64 v[20:21], v20, v[14:15]
	v_lshrrev_b32_e32 v23, 3, v18
	v_sub_u32_e32 v21, 29, v24
	v_and_b32_e32 v20, 7, v20
	v_cmp_gt_u32_e32 vcc, 8, v18
	v_cndmask_b32_e32 v18, v23, v21, vcc
	v_cndmask_b32_e32 v20, v22, v20, vcc
	v_lshlrev_b32_e32 v21, 24, v14
	v_bfrev_b32_e32 v22, 60
	v_lshlrev_b32_e32 v20, 20, v20
	v_and_b32_e32 v21, 0x80000000, v21
	v_lshl_add_u32 v18, v18, 23, v22
	v_or3_b32 v18, v21, v18, v20
	v_lshrrev_b32_e32 v20, 16, v18
.LBB836_405:
	s_or_b64 exec, exec, s[10:11]
.LBB836_406:
	s_or_b64 exec, exec, s[8:9]
.LBB836_407:
	s_or_b64 exec, exec, s[2:3]
	v_lshrrev_b16_e32 v18, 8, v14
	v_cmp_ne_u16_e32 vcc, 0, v18
	s_and_saveexec_b64 s[2:3], vcc
	s_cbranch_execz .LBB836_413
; %bb.408:
	s_movk_i32 s7, 0x80
	v_cmp_ne_u16_e32 vcc, s7, v18
	v_mov_b32_e32 v19, 0xffff8000
	s_and_saveexec_b64 s[8:9], vcc
	s_cbranch_execz .LBB836_412
; %bb.409:
	s_movk_i32 s7, 0x7f
	v_and_b32_e32 v21, 0x7f, v18
	v_cmp_ne_u32_e32 vcc, s7, v21
	v_mov_b32_e32 v19, 0x7f80
	s_and_saveexec_b64 s[10:11], vcc
	s_cbranch_execz .LBB836_411
; %bb.410:
	v_and_b32_e32 v22, 7, v18
	v_ffbh_u32_e32 v19, v22
	v_min_u32_e32 v24, 32, v19
	v_subrev_u32_e32 v19, 28, v24
	v_lshlrev_b64 v[18:19], v19, v[18:19]
	v_lshrrev_b32_e32 v23, 3, v21
	v_sub_u32_e32 v19, 29, v24
	v_and_b32_e32 v18, 7, v18
	v_cmp_gt_u32_e32 vcc, 8, v21
	v_cndmask_b32_e32 v19, v23, v19, vcc
	v_cndmask_b32_e32 v18, v22, v18, vcc
	v_lshlrev_b32_e32 v21, 16, v14
	v_bfrev_b32_e32 v22, 60
	v_lshlrev_b32_e32 v18, 20, v18
	v_and_b32_e32 v21, 0x80000000, v21
	v_lshl_add_u32 v19, v19, 23, v22
	v_or3_b32 v18, v21, v19, v18
	v_lshrrev_b32_e32 v19, 16, v18
.LBB836_411:
	s_or_b64 exec, exec, s[10:11]
.LBB836_412:
	s_or_b64 exec, exec, s[8:9]
.LBB836_413:
	s_or_b64 exec, exec, s[2:3]
	s_movk_i32 s2, 0xff
	v_and_b32_sdwa v23, v14, s2 dst_sel:DWORD dst_unused:UNUSED_PAD src0_sel:WORD_1 src1_sel:DWORD
	v_lshrrev_b32_e32 v18, 16, v14
	v_cmp_ne_u16_e32 vcc, 0, v23
	v_mov_b32_e32 v21, 0
	v_mov_b32_e32 v22, 0
	s_and_saveexec_b64 s[2:3], vcc
	s_cbranch_execz .LBB836_419
; %bb.414:
	s_movk_i32 s7, 0x80
	v_cmp_ne_u16_e32 vcc, s7, v23
	v_mov_b32_e32 v22, 0xffff8000
	s_and_saveexec_b64 s[8:9], vcc
	s_cbranch_execz .LBB836_418
; %bb.415:
	v_bfe_u32 v23, v14, 16, 7
	s_movk_i32 s7, 0x7f
	v_cmp_ne_u32_e32 vcc, s7, v23
	v_mov_b32_e32 v22, 0x7f80
	s_and_saveexec_b64 s[10:11], vcc
	s_cbranch_execz .LBB836_417
; %bb.416:
	v_and_b32_e32 v22, 7, v18
	v_ffbh_u32_e32 v24, v22
	v_min_u32_e32 v29, 32, v24
	v_subrev_u32_e32 v24, 28, v29
	v_lshlrev_b64 v[24:25], v24, v[18:19]
	v_lshrrev_b32_e32 v28, 3, v23
	v_sub_u32_e32 v18, 29, v29
	v_and_b32_e32 v24, 7, v24
	v_cmp_gt_u32_e32 vcc, 8, v23
	v_mov_b32_e32 v23, 24
	v_cndmask_b32_e32 v18, v28, v18, vcc
	v_cndmask_b32_e32 v22, v22, v24, vcc
	v_lshlrev_b32_sdwa v23, v23, v14 dst_sel:DWORD dst_unused:UNUSED_PAD src0_sel:DWORD src1_sel:WORD_1
	v_bfrev_b32_e32 v24, 60
	v_lshlrev_b32_e32 v22, 20, v22
	v_and_b32_e32 v23, 0x80000000, v23
	v_lshl_add_u32 v18, v18, 23, v24
	v_or3_b32 v18, v23, v18, v22
	v_lshrrev_b32_e32 v22, 16, v18
.LBB836_417:
	s_or_b64 exec, exec, s[10:11]
.LBB836_418:
	s_or_b64 exec, exec, s[8:9]
.LBB836_419:
	s_or_b64 exec, exec, s[2:3]
	s_mov_b32 s2, 0xffffff
	v_cmp_lt_u32_e32 vcc, s2, v14
	s_and_saveexec_b64 s[2:3], vcc
	s_cbranch_execz .LBB836_425
; %bb.420:
	v_lshrrev_b32_e32 v18, 24, v14
	s_movk_i32 s7, 0x80
	v_cmp_ne_u32_e32 vcc, s7, v18
	v_mov_b32_e32 v21, 0xffff8000
	s_and_saveexec_b64 s[8:9], vcc
	s_cbranch_execz .LBB836_424
; %bb.421:
	v_bfe_u32 v14, v14, 24, 7
	s_movk_i32 s7, 0x7f
	v_cmp_ne_u32_e32 vcc, s7, v14
	v_mov_b32_e32 v21, 0x7f80
	s_and_saveexec_b64 s[10:11], vcc
	s_cbranch_execz .LBB836_423
; %bb.422:
	v_and_b32_e32 v21, 7, v18
	v_ffbh_u32_e32 v24, v21
	v_min_u32_e32 v28, 32, v24
	v_subrev_u32_e32 v24, 28, v28
	v_lshlrev_b64 v[24:25], v24, v[18:19]
	v_lshrrev_b32_e32 v23, 3, v14
	v_sub_u32_e32 v25, 29, v28
	v_and_b32_e32 v24, 7, v24
	v_cmp_gt_u32_e32 vcc, 8, v14
	v_cndmask_b32_e32 v14, v23, v25, vcc
	v_cndmask_b32_e32 v21, v21, v24, vcc
	v_lshlrev_b32_e32 v18, 24, v18
	v_bfrev_b32_e32 v23, 60
	v_lshlrev_b32_e32 v21, 20, v21
	v_and_b32_e32 v18, 0x80000000, v18
	v_lshl_add_u32 v14, v14, 23, v23
	v_or3_b32 v14, v18, v14, v21
	v_lshrrev_b32_e32 v21, 16, v14
.LBB836_423:
	s_or_b64 exec, exec, s[10:11]
.LBB836_424:
	s_or_b64 exec, exec, s[8:9]
.LBB836_425:
	s_or_b64 exec, exec, s[2:3]
	v_mov_b32_e32 v18, 0
	v_cmp_ne_u16_sdwa s[8:9], v15, v18 src0_sel:BYTE_0 src1_sel:DWORD
	v_mov_b32_e32 v23, 0
	s_and_saveexec_b64 s[2:3], s[8:9]
	s_cbranch_execz .LBB836_431
; %bb.426:
	s_movk_i32 s7, 0x80
	v_cmp_ne_u16_sdwa s[10:11], v15, s7 src0_sel:BYTE_0 src1_sel:DWORD
	v_mov_b32_e32 v23, 0xffff8000
	s_and_saveexec_b64 s[8:9], s[10:11]
	s_cbranch_execz .LBB836_430
; %bb.427:
	s_movk_i32 s7, 0x7f
	v_and_b32_e32 v14, 0x7f, v15
	v_cmp_ne_u32_e32 vcc, s7, v14
	v_mov_b32_e32 v23, 0x7f80
	s_and_saveexec_b64 s[10:11], vcc
	s_cbranch_execz .LBB836_429
; %bb.428:
	v_and_b32_e32 v23, 7, v15
	v_ffbh_u32_e32 v25, v23
	v_min_u32_e32 v29, 32, v25
	v_mov_b32_e32 v24, v15
	v_subrev_u32_e32 v25, 28, v29
	v_lshlrev_b64 v[24:25], v25, v[24:25]
	v_lshrrev_b32_e32 v28, 3, v14
	v_sub_u32_e32 v25, 29, v29
	v_and_b32_e32 v24, 7, v24
	v_cmp_gt_u32_e32 vcc, 8, v14
	v_cndmask_b32_e32 v14, v28, v25, vcc
	v_cndmask_b32_e32 v23, v23, v24, vcc
	v_lshlrev_b32_e32 v24, 24, v15
	v_bfrev_b32_e32 v25, 60
	v_lshlrev_b32_e32 v23, 20, v23
	v_and_b32_e32 v24, 0x80000000, v24
	v_lshl_add_u32 v14, v14, 23, v25
	v_or3_b32 v14, v24, v14, v23
	v_lshrrev_b32_e32 v23, 16, v14
.LBB836_429:
	s_or_b64 exec, exec, s[10:11]
.LBB836_430:
	s_or_b64 exec, exec, s[8:9]
.LBB836_431:
	s_or_b64 exec, exec, s[2:3]
	v_lshrrev_b16_e32 v14, 8, v15
	v_cmp_ne_u16_e32 vcc, 0, v14
	s_and_saveexec_b64 s[2:3], vcc
	s_cbranch_execz .LBB836_437
; %bb.432:
	s_movk_i32 s7, 0x80
	v_cmp_ne_u16_e32 vcc, s7, v14
	v_mov_b32_e32 v18, 0xffff8000
	s_and_saveexec_b64 s[8:9], vcc
	s_cbranch_execz .LBB836_436
; %bb.433:
	s_movk_i32 s7, 0x7f
	v_and_b32_e32 v24, 0x7f, v14
	v_cmp_ne_u32_e32 vcc, s7, v24
	v_mov_b32_e32 v18, 0x7f80
	s_and_saveexec_b64 s[10:11], vcc
	s_cbranch_execz .LBB836_435
; %bb.434:
	v_and_b32_e32 v18, 7, v14
	v_ffbh_u32_e32 v28, v18
	v_min_u32_e32 v30, 32, v28
	v_subrev_u32_e32 v28, 28, v30
	v_lshlrev_b64 v[28:29], v28, v[14:15]
	v_lshrrev_b32_e32 v25, 3, v24
	v_sub_u32_e32 v14, 29, v30
	v_and_b32_e32 v28, 7, v28
	v_cmp_gt_u32_e32 vcc, 8, v24
	v_cndmask_b32_e32 v14, v25, v14, vcc
	v_cndmask_b32_e32 v18, v18, v28, vcc
	v_lshlrev_b32_e32 v24, 16, v15
	v_bfrev_b32_e32 v25, 60
	v_lshlrev_b32_e32 v18, 20, v18
	v_and_b32_e32 v24, 0x80000000, v24
	v_lshl_add_u32 v14, v14, 23, v25
	v_or3_b32 v14, v24, v14, v18
	v_lshrrev_b32_e32 v18, 16, v14
.LBB836_435:
	s_or_b64 exec, exec, s[10:11]
.LBB836_436:
	s_or_b64 exec, exec, s[8:9]
.LBB836_437:
	s_or_b64 exec, exec, s[2:3]
	s_movk_i32 s2, 0xff
	v_and_b32_sdwa v28, v15, s2 dst_sel:DWORD dst_unused:UNUSED_PAD src0_sel:WORD_1 src1_sel:DWORD
	v_lshrrev_b32_e32 v14, 16, v15
	v_cmp_ne_u16_e32 vcc, 0, v28
	v_mov_b32_e32 v24, 0
	v_mov_b32_e32 v25, 0
	s_and_saveexec_b64 s[2:3], vcc
	s_cbranch_execz .LBB836_443
; %bb.438:
	s_movk_i32 s7, 0x80
	v_cmp_ne_u16_e32 vcc, s7, v28
	v_mov_b32_e32 v25, 0xffff8000
	s_and_saveexec_b64 s[8:9], vcc
	s_cbranch_execz .LBB836_442
; %bb.439:
	v_bfe_u32 v28, v15, 16, 7
	s_movk_i32 s7, 0x7f
	v_cmp_ne_u32_e32 vcc, s7, v28
	v_mov_b32_e32 v25, 0x7f80
	s_and_saveexec_b64 s[10:11], vcc
	s_cbranch_execz .LBB836_441
; %bb.440:
	v_and_b32_e32 v25, 7, v14
	v_ffbh_u32_e32 v30, v25
	v_min_u32_e32 v32, 32, v30
	v_subrev_u32_e32 v30, 28, v32
	v_lshlrev_b64 v[30:31], v30, v[14:15]
	v_lshrrev_b32_e32 v29, 3, v28
	v_sub_u32_e32 v14, 29, v32
	v_and_b32_e32 v30, 7, v30
	v_cmp_gt_u32_e32 vcc, 8, v28
	v_mov_b32_e32 v28, 24
	v_cndmask_b32_e32 v14, v29, v14, vcc
	v_cndmask_b32_e32 v25, v25, v30, vcc
	v_lshlrev_b32_sdwa v28, v28, v15 dst_sel:DWORD dst_unused:UNUSED_PAD src0_sel:DWORD src1_sel:WORD_1
	v_bfrev_b32_e32 v29, 60
	v_lshlrev_b32_e32 v25, 20, v25
	v_and_b32_e32 v28, 0x80000000, v28
	v_lshl_add_u32 v14, v14, 23, v29
	v_or3_b32 v14, v28, v14, v25
	v_lshrrev_b32_e32 v25, 16, v14
.LBB836_441:
	s_or_b64 exec, exec, s[10:11]
.LBB836_442:
	s_or_b64 exec, exec, s[8:9]
.LBB836_443:
	s_or_b64 exec, exec, s[2:3]
	s_mov_b32 s2, 0xffffff
	v_cmp_lt_u32_e32 vcc, s2, v15
	s_and_saveexec_b64 s[2:3], vcc
	s_cbranch_execz .LBB836_449
; %bb.444:
	v_lshrrev_b32_e32 v14, 24, v15
	s_movk_i32 s7, 0x80
	v_cmp_ne_u32_e32 vcc, s7, v14
	v_mov_b32_e32 v24, 0xffff8000
	s_and_saveexec_b64 s[8:9], vcc
	s_cbranch_execz .LBB836_448
; %bb.445:
	v_bfe_u32 v15, v15, 24, 7
	s_movk_i32 s7, 0x7f
	v_cmp_ne_u32_e32 vcc, s7, v15
	v_mov_b32_e32 v24, 0x7f80
	s_and_saveexec_b64 s[10:11], vcc
	s_cbranch_execz .LBB836_447
; %bb.446:
	v_and_b32_e32 v24, 7, v14
	v_ffbh_u32_e32 v28, v24
	v_min_u32_e32 v31, 32, v28
	v_subrev_u32_e32 v28, 28, v31
	v_lshlrev_b64 v[28:29], v28, v[14:15]
	v_lshrrev_b32_e32 v30, 3, v15
	v_sub_u32_e32 v29, 29, v31
	v_and_b32_e32 v28, 7, v28
	v_cmp_gt_u32_e32 vcc, 8, v15
	v_cndmask_b32_e32 v15, v30, v29, vcc
	v_cndmask_b32_e32 v24, v24, v28, vcc
	v_lshlrev_b32_e32 v14, 24, v14
	v_bfrev_b32_e32 v28, 60
	v_lshlrev_b32_e32 v24, 20, v24
	v_and_b32_e32 v14, 0x80000000, v14
	v_lshl_add_u32 v15, v15, 23, v28
	v_or3_b32 v14, v14, v15, v24
	v_lshrrev_b32_e32 v24, 16, v14
.LBB836_447:
	s_or_b64 exec, exec, s[10:11]
.LBB836_448:
	s_or_b64 exec, exec, s[8:9]
.LBB836_449:
	s_or_b64 exec, exec, s[2:3]
	s_mov_b32 s2, 0x5040100
	v_perm_b32 v15, v21, v22, s2
	v_lshl_or_b32 v22, v1, 9, v27
	v_perm_b32 v14, v19, v20, s2
	ds_read_b128 v[28:31], v22
	v_perm_b32 v19, v24, v25, s2
	v_perm_b32 v18, v18, v23, s2
	s_waitcnt lgkmcnt(0)
	v_mfma_f32_16x16x16bf16_1k v[32:35], v[14:15], v[28:29], 0
	v_mov_b32_e32 v15, 0
	v_cmp_ne_u16_sdwa s[8:9], v16, v15 src0_sel:BYTE_0 src1_sel:DWORD
	v_mov_b32_e32 v23, 0
	v_mfma_f32_16x16x16bf16_1k v[18:21], v[18:19], v[30:31], v[32:35]
	s_and_saveexec_b64 s[2:3], s[8:9]
	s_cbranch_execz .LBB836_455
; %bb.450:
	s_movk_i32 s7, 0x80
	v_cmp_ne_u16_sdwa s[10:11], v16, s7 src0_sel:BYTE_0 src1_sel:DWORD
	v_mov_b32_e32 v23, 0xffff8000
	s_and_saveexec_b64 s[8:9], s[10:11]
	s_cbranch_execz .LBB836_454
; %bb.451:
	s_movk_i32 s7, 0x7f
	v_and_b32_e32 v14, 0x7f, v16
	v_cmp_ne_u32_e32 vcc, s7, v14
	v_mov_b32_e32 v23, 0x7f80
	s_and_saveexec_b64 s[10:11], vcc
	s_cbranch_execz .LBB836_453
; %bb.452:
	v_and_b32_e32 v23, 7, v16
	v_ffbh_u32_e32 v24, v23
	v_min_u32_e32 v28, 32, v24
	v_subrev_u32_e32 v24, 28, v28
	v_lshlrev_b64 v[24:25], v24, v[16:17]
	v_lshrrev_b32_e32 v27, 3, v14
	v_sub_u32_e32 v25, 29, v28
	v_and_b32_e32 v24, 7, v24
	v_cmp_gt_u32_e32 vcc, 8, v14
	v_cndmask_b32_e32 v14, v27, v25, vcc
	v_cndmask_b32_e32 v23, v23, v24, vcc
	v_lshlrev_b32_e32 v24, 24, v16
	v_bfrev_b32_e32 v25, 60
	v_lshlrev_b32_e32 v23, 20, v23
	v_and_b32_e32 v24, 0x80000000, v24
	v_lshl_add_u32 v14, v14, 23, v25
	v_or3_b32 v14, v24, v14, v23
	v_lshrrev_b32_e32 v23, 16, v14
.LBB836_453:
	s_or_b64 exec, exec, s[10:11]
.LBB836_454:
	s_or_b64 exec, exec, s[8:9]
.LBB836_455:
	s_or_b64 exec, exec, s[2:3]
	v_lshrrev_b16_e32 v14, 8, v16
	v_cmp_ne_u16_e32 vcc, 0, v14
	s_and_saveexec_b64 s[2:3], vcc
	s_cbranch_execz .LBB836_461
; %bb.456:
	s_movk_i32 s7, 0x80
	v_cmp_ne_u16_e32 vcc, s7, v14
	v_mov_b32_e32 v15, 0xffff8000
	s_and_saveexec_b64 s[8:9], vcc
	s_cbranch_execz .LBB836_460
; %bb.457:
	s_movk_i32 s7, 0x7f
	v_and_b32_e32 v24, 0x7f, v14
	v_cmp_ne_u32_e32 vcc, s7, v24
	v_mov_b32_e32 v15, 0x7f80
	s_and_saveexec_b64 s[10:11], vcc
	s_cbranch_execz .LBB836_459
; %bb.458:
	v_and_b32_e32 v25, 7, v14
	v_ffbh_u32_e32 v15, v25
	v_min_u32_e32 v28, 32, v15
	v_subrev_u32_e32 v15, 28, v28
	v_lshlrev_b64 v[14:15], v15, v[14:15]
	v_lshrrev_b32_e32 v27, 3, v24
	v_sub_u32_e32 v15, 29, v28
	v_and_b32_e32 v14, 7, v14
	v_cmp_gt_u32_e32 vcc, 8, v24
	v_cndmask_b32_e32 v15, v27, v15, vcc
	v_cndmask_b32_e32 v14, v25, v14, vcc
	v_lshlrev_b32_e32 v24, 16, v16
	v_bfrev_b32_e32 v25, 60
	v_lshlrev_b32_e32 v14, 20, v14
	v_and_b32_e32 v24, 0x80000000, v24
	v_lshl_add_u32 v15, v15, 23, v25
	v_or3_b32 v14, v24, v15, v14
	v_lshrrev_b32_e32 v15, 16, v14
.LBB836_459:
	s_or_b64 exec, exec, s[10:11]
.LBB836_460:
	s_or_b64 exec, exec, s[8:9]
.LBB836_461:
	s_or_b64 exec, exec, s[2:3]
	s_movk_i32 s2, 0xff
	v_and_b32_sdwa v27, v16, s2 dst_sel:DWORD dst_unused:UNUSED_PAD src0_sel:WORD_1 src1_sel:DWORD
	v_lshrrev_b32_e32 v14, 16, v16
	v_cmp_ne_u16_e32 vcc, 0, v27
	v_mov_b32_e32 v24, 0
	v_mov_b32_e32 v25, 0
	s_and_saveexec_b64 s[2:3], vcc
	s_cbranch_execz .LBB836_467
; %bb.462:
	s_movk_i32 s7, 0x80
	v_cmp_ne_u16_e32 vcc, s7, v27
	v_mov_b32_e32 v25, 0xffff8000
	s_and_saveexec_b64 s[8:9], vcc
	s_cbranch_execz .LBB836_466
; %bb.463:
	v_bfe_u32 v27, v16, 16, 7
	s_movk_i32 s7, 0x7f
	v_cmp_ne_u32_e32 vcc, s7, v27
	v_mov_b32_e32 v25, 0x7f80
	s_and_saveexec_b64 s[10:11], vcc
	s_cbranch_execz .LBB836_465
; %bb.464:
	v_and_b32_e32 v25, 7, v14
	v_ffbh_u32_e32 v28, v25
	v_min_u32_e32 v31, 32, v28
	v_subrev_u32_e32 v28, 28, v31
	v_lshlrev_b64 v[28:29], v28, v[14:15]
	v_lshrrev_b32_e32 v30, 3, v27
	v_sub_u32_e32 v14, 29, v31
	v_and_b32_e32 v28, 7, v28
	v_cmp_gt_u32_e32 vcc, 8, v27
	v_mov_b32_e32 v27, 24
	v_cndmask_b32_e32 v14, v30, v14, vcc
	v_cndmask_b32_e32 v25, v25, v28, vcc
	v_lshlrev_b32_sdwa v27, v27, v16 dst_sel:DWORD dst_unused:UNUSED_PAD src0_sel:DWORD src1_sel:WORD_1
	v_bfrev_b32_e32 v28, 60
	v_lshlrev_b32_e32 v25, 20, v25
	v_and_b32_e32 v27, 0x80000000, v27
	v_lshl_add_u32 v14, v14, 23, v28
	v_or3_b32 v14, v27, v14, v25
	v_lshrrev_b32_e32 v25, 16, v14
.LBB836_465:
	s_or_b64 exec, exec, s[10:11]
.LBB836_466:
	s_or_b64 exec, exec, s[8:9]
.LBB836_467:
	s_or_b64 exec, exec, s[2:3]
	s_mov_b32 s2, 0xffffff
	v_cmp_lt_u32_e32 vcc, s2, v16
	s_and_saveexec_b64 s[2:3], vcc
	s_cbranch_execz .LBB836_473
; %bb.468:
	v_lshrrev_b32_e32 v14, 24, v16
	s_movk_i32 s7, 0x80
	v_cmp_ne_u32_e32 vcc, s7, v14
	v_mov_b32_e32 v24, 0xffff8000
	s_and_saveexec_b64 s[8:9], vcc
	s_cbranch_execz .LBB836_472
; %bb.469:
	v_bfe_u32 v16, v16, 24, 7
	s_movk_i32 s7, 0x7f
	v_cmp_ne_u32_e32 vcc, s7, v16
	v_mov_b32_e32 v24, 0x7f80
	s_and_saveexec_b64 s[10:11], vcc
	s_cbranch_execz .LBB836_471
; %bb.470:
	v_and_b32_e32 v24, 7, v14
	v_ffbh_u32_e32 v28, v24
	v_min_u32_e32 v30, 32, v28
	v_subrev_u32_e32 v28, 28, v30
	v_lshlrev_b64 v[28:29], v28, v[14:15]
	v_lshrrev_b32_e32 v27, 3, v16
	v_sub_u32_e32 v29, 29, v30
	v_and_b32_e32 v28, 7, v28
	v_cmp_gt_u32_e32 vcc, 8, v16
	v_cndmask_b32_e32 v16, v27, v29, vcc
	v_cndmask_b32_e32 v24, v24, v28, vcc
	v_lshlrev_b32_e32 v14, 24, v14
	v_bfrev_b32_e32 v27, 60
	v_lshlrev_b32_e32 v24, 20, v24
	v_and_b32_e32 v14, 0x80000000, v14
	v_lshl_add_u32 v16, v16, 23, v27
	v_or3_b32 v14, v14, v16, v24
	v_lshrrev_b32_e32 v24, 16, v14
.LBB836_471:
	s_or_b64 exec, exec, s[10:11]
.LBB836_472:
	s_or_b64 exec, exec, s[8:9]
.LBB836_473:
	s_or_b64 exec, exec, s[2:3]
	v_mov_b32_e32 v16, 0
	v_cmp_ne_u16_sdwa s[8:9], v17, v16 src0_sel:BYTE_0 src1_sel:DWORD
	v_mov_b32_e32 v27, 0
	s_and_saveexec_b64 s[2:3], s[8:9]
	s_cbranch_execz .LBB836_479
; %bb.474:
	s_movk_i32 s7, 0x80
	v_cmp_ne_u16_sdwa s[10:11], v17, s7 src0_sel:BYTE_0 src1_sel:DWORD
	v_mov_b32_e32 v27, 0xffff8000
	s_and_saveexec_b64 s[8:9], s[10:11]
	s_cbranch_execz .LBB836_478
; %bb.475:
	s_movk_i32 s7, 0x7f
	v_and_b32_e32 v14, 0x7f, v17
	v_cmp_ne_u32_e32 vcc, s7, v14
	v_mov_b32_e32 v27, 0x7f80
	s_and_saveexec_b64 s[10:11], vcc
	s_cbranch_execz .LBB836_477
; %bb.476:
	v_and_b32_e32 v27, 7, v17
	v_ffbh_u32_e32 v29, v27
	v_min_u32_e32 v31, 32, v29
	v_mov_b32_e32 v28, v17
	v_subrev_u32_e32 v29, 28, v31
	v_lshlrev_b64 v[28:29], v29, v[28:29]
	v_lshrrev_b32_e32 v30, 3, v14
	v_sub_u32_e32 v29, 29, v31
	v_and_b32_e32 v28, 7, v28
	v_cmp_gt_u32_e32 vcc, 8, v14
	v_cndmask_b32_e32 v14, v30, v29, vcc
	v_cndmask_b32_e32 v27, v27, v28, vcc
	v_lshlrev_b32_e32 v28, 24, v17
	v_bfrev_b32_e32 v29, 60
	v_lshlrev_b32_e32 v27, 20, v27
	v_and_b32_e32 v28, 0x80000000, v28
	v_lshl_add_u32 v14, v14, 23, v29
	v_or3_b32 v14, v28, v14, v27
	v_lshrrev_b32_e32 v27, 16, v14
.LBB836_477:
	s_or_b64 exec, exec, s[10:11]
.LBB836_478:
	s_or_b64 exec, exec, s[8:9]
.LBB836_479:
	s_or_b64 exec, exec, s[2:3]
	v_lshrrev_b16_e32 v14, 8, v17
	v_cmp_ne_u16_e32 vcc, 0, v14
	s_and_saveexec_b64 s[2:3], vcc
	s_cbranch_execz .LBB836_485
; %bb.480:
	s_movk_i32 s7, 0x80
	v_cmp_ne_u16_e32 vcc, s7, v14
	v_mov_b32_e32 v16, 0xffff8000
	s_and_saveexec_b64 s[8:9], vcc
	s_cbranch_execz .LBB836_484
; %bb.481:
	s_movk_i32 s7, 0x7f
	v_and_b32_e32 v28, 0x7f, v14
	v_cmp_ne_u32_e32 vcc, s7, v28
	v_mov_b32_e32 v16, 0x7f80
	s_and_saveexec_b64 s[10:11], vcc
	s_cbranch_execz .LBB836_483
; %bb.482:
	v_and_b32_e32 v16, 7, v14
	v_ffbh_u32_e32 v30, v16
	v_min_u32_e32 v32, 32, v30
	v_subrev_u32_e32 v30, 28, v32
	v_lshlrev_b64 v[30:31], v30, v[14:15]
	v_lshrrev_b32_e32 v29, 3, v28
	v_sub_u32_e32 v14, 29, v32
	v_and_b32_e32 v30, 7, v30
	v_cmp_gt_u32_e32 vcc, 8, v28
	v_cndmask_b32_e32 v14, v29, v14, vcc
	v_cndmask_b32_e32 v16, v16, v30, vcc
	v_lshlrev_b32_e32 v28, 16, v17
	v_bfrev_b32_e32 v29, 60
	v_lshlrev_b32_e32 v16, 20, v16
	v_and_b32_e32 v28, 0x80000000, v28
	v_lshl_add_u32 v14, v14, 23, v29
	v_or3_b32 v14, v28, v14, v16
	v_lshrrev_b32_e32 v16, 16, v14
.LBB836_483:
	s_or_b64 exec, exec, s[10:11]
.LBB836_484:
	s_or_b64 exec, exec, s[8:9]
.LBB836_485:
	s_or_b64 exec, exec, s[2:3]
	s_movk_i32 s2, 0xff
	v_and_b32_sdwa v30, v17, s2 dst_sel:DWORD dst_unused:UNUSED_PAD src0_sel:WORD_1 src1_sel:DWORD
	v_lshrrev_b32_e32 v14, 16, v17
	v_cmp_ne_u16_e32 vcc, 0, v30
	v_mov_b32_e32 v28, 0
	v_mov_b32_e32 v29, 0
	s_and_saveexec_b64 s[2:3], vcc
	s_cbranch_execz .LBB836_491
; %bb.486:
	s_movk_i32 s7, 0x80
	v_cmp_ne_u16_e32 vcc, s7, v30
	v_mov_b32_e32 v29, 0xffff8000
	s_and_saveexec_b64 s[8:9], vcc
	s_cbranch_execz .LBB836_490
; %bb.487:
	v_bfe_u32 v30, v17, 16, 7
	s_movk_i32 s7, 0x7f
	v_cmp_ne_u32_e32 vcc, s7, v30
	v_mov_b32_e32 v29, 0x7f80
	s_and_saveexec_b64 s[10:11], vcc
	s_cbranch_execz .LBB836_489
; %bb.488:
	v_and_b32_e32 v29, 7, v14
	v_ffbh_u32_e32 v32, v29
	v_min_u32_e32 v34, 32, v32
	v_subrev_u32_e32 v32, 28, v34
	v_lshlrev_b64 v[32:33], v32, v[14:15]
	v_lshrrev_b32_e32 v31, 3, v30
	v_sub_u32_e32 v14, 29, v34
	v_and_b32_e32 v32, 7, v32
	v_cmp_gt_u32_e32 vcc, 8, v30
	v_mov_b32_e32 v30, 24
	v_cndmask_b32_e32 v14, v31, v14, vcc
	v_cndmask_b32_e32 v29, v29, v32, vcc
	v_lshlrev_b32_sdwa v30, v30, v17 dst_sel:DWORD dst_unused:UNUSED_PAD src0_sel:DWORD src1_sel:WORD_1
	v_bfrev_b32_e32 v31, 60
	v_lshlrev_b32_e32 v29, 20, v29
	v_and_b32_e32 v30, 0x80000000, v30
	v_lshl_add_u32 v14, v14, 23, v31
	v_or3_b32 v14, v30, v14, v29
	v_lshrrev_b32_e32 v29, 16, v14
.LBB836_489:
	s_or_b64 exec, exec, s[10:11]
.LBB836_490:
	s_or_b64 exec, exec, s[8:9]
.LBB836_491:
	s_or_b64 exec, exec, s[2:3]
	s_mov_b32 s2, 0xffffff
	v_cmp_lt_u32_e32 vcc, s2, v17
	s_and_saveexec_b64 s[2:3], vcc
	s_cbranch_execz .LBB836_497
; %bb.492:
	v_lshrrev_b32_e32 v14, 24, v17
	s_movk_i32 s7, 0x80
	v_cmp_ne_u32_e32 vcc, s7, v14
	v_mov_b32_e32 v28, 0xffff8000
	s_and_saveexec_b64 s[8:9], vcc
	s_cbranch_execz .LBB836_496
; %bb.493:
	v_bfe_u32 v17, v17, 24, 7
	s_movk_i32 s7, 0x7f
	v_cmp_ne_u32_e32 vcc, s7, v17
	v_mov_b32_e32 v28, 0x7f80
	s_and_saveexec_b64 s[10:11], vcc
	s_cbranch_execz .LBB836_495
; %bb.494:
	v_and_b32_e32 v28, 7, v14
	v_ffbh_u32_e32 v30, v28
	v_min_u32_e32 v33, 32, v30
	v_subrev_u32_e32 v30, 28, v33
	v_lshlrev_b64 v[30:31], v30, v[14:15]
	v_lshrrev_b32_e32 v32, 3, v17
	v_sub_u32_e32 v31, 29, v33
	v_and_b32_e32 v30, 7, v30
	v_cmp_gt_u32_e32 vcc, 8, v17
	v_cndmask_b32_e32 v17, v32, v31, vcc
	v_cndmask_b32_e32 v28, v28, v30, vcc
	v_lshlrev_b32_e32 v14, 24, v14
	v_bfrev_b32_e32 v30, 60
	v_lshlrev_b32_e32 v28, 20, v28
	v_and_b32_e32 v14, 0x80000000, v14
	v_lshl_add_u32 v17, v17, 23, v30
	v_or3_b32 v14, v14, v17, v28
	v_lshrrev_b32_e32 v28, 16, v14
.LBB836_495:
	s_or_b64 exec, exec, s[10:11]
.LBB836_496:
	s_or_b64 exec, exec, s[8:9]
.LBB836_497:
	s_or_b64 exec, exec, s[2:3]
	s_mov_b32 s2, 0x5040100
	v_perm_b32 v25, v24, v25, s2
	v_perm_b32 v24, v15, v23, s2
	ds_read_b128 v[30:33], v22 offset:16
	v_perm_b32 v15, v28, v29, s2
	v_perm_b32 v14, v16, v27, s2
	s_waitcnt lgkmcnt(0)
	v_mfma_f32_16x16x16bf16_1k v[34:37], v[24:25], v[30:31], v[18:21]
	s_nop 6
	v_mov_b32_e32 v19, 0
	s_waitcnt vmcnt(2)
	v_cmp_ne_u16_sdwa s[8:9], v10, v19 src0_sel:BYTE_0 src1_sel:DWORD
	v_mfma_f32_16x16x16bf16_1k v[14:17], v[14:15], v[32:33], v[34:37]
	v_mov_b32_e32 v20, 0
	s_and_saveexec_b64 s[2:3], s[8:9]
	s_cbranch_execz .LBB836_503
; %bb.498:
	s_movk_i32 s7, 0x80
	v_cmp_ne_u16_sdwa s[10:11], v10, s7 src0_sel:BYTE_0 src1_sel:DWORD
	v_mov_b32_e32 v20, 0xffff8000
	s_and_saveexec_b64 s[8:9], s[10:11]
	s_cbranch_execz .LBB836_502
; %bb.499:
	s_movk_i32 s7, 0x7f
	v_and_b32_e32 v18, 0x7f, v10
	v_cmp_ne_u32_e32 vcc, s7, v18
	v_mov_b32_e32 v20, 0x7f80
	s_and_saveexec_b64 s[10:11], vcc
	s_cbranch_execz .LBB836_501
; %bb.500:
	v_and_b32_e32 v23, 7, v10
	v_ffbh_u32_e32 v20, v23
	v_min_u32_e32 v25, 32, v20
	v_subrev_u32_e32 v20, 28, v25
	v_lshlrev_b64 v[20:21], v20, v[10:11]
	v_lshrrev_b32_e32 v24, 3, v18
	v_sub_u32_e32 v21, 29, v25
	v_and_b32_e32 v20, 7, v20
	v_cmp_gt_u32_e32 vcc, 8, v18
	v_cndmask_b32_e32 v18, v24, v21, vcc
	v_cndmask_b32_e32 v20, v23, v20, vcc
	v_lshlrev_b32_e32 v21, 24, v10
	v_bfrev_b32_e32 v23, 60
	v_lshlrev_b32_e32 v20, 20, v20
	v_and_b32_e32 v21, 0x80000000, v21
	v_lshl_add_u32 v18, v18, 23, v23
	v_or3_b32 v18, v21, v18, v20
	v_lshrrev_b32_e32 v20, 16, v18
.LBB836_501:
	s_or_b64 exec, exec, s[10:11]
.LBB836_502:
	s_or_b64 exec, exec, s[8:9]
.LBB836_503:
	s_or_b64 exec, exec, s[2:3]
	v_lshrrev_b16_e32 v18, 8, v10
	v_cmp_ne_u16_e32 vcc, 0, v18
	s_and_saveexec_b64 s[2:3], vcc
	s_cbranch_execz .LBB836_509
; %bb.504:
	s_movk_i32 s7, 0x80
	v_cmp_ne_u16_e32 vcc, s7, v18
	v_mov_b32_e32 v19, 0xffff8000
	s_and_saveexec_b64 s[8:9], vcc
	s_cbranch_execz .LBB836_508
; %bb.505:
	s_movk_i32 s7, 0x7f
	v_and_b32_e32 v21, 0x7f, v18
	v_cmp_ne_u32_e32 vcc, s7, v21
	v_mov_b32_e32 v19, 0x7f80
	s_and_saveexec_b64 s[10:11], vcc
	s_cbranch_execz .LBB836_507
; %bb.506:
	v_and_b32_e32 v23, 7, v18
	v_ffbh_u32_e32 v19, v23
	v_min_u32_e32 v25, 32, v19
	v_subrev_u32_e32 v19, 28, v25
	v_lshlrev_b64 v[18:19], v19, v[18:19]
	v_lshrrev_b32_e32 v24, 3, v21
	v_sub_u32_e32 v19, 29, v25
	v_and_b32_e32 v18, 7, v18
	v_cmp_gt_u32_e32 vcc, 8, v21
	v_cndmask_b32_e32 v19, v24, v19, vcc
	v_cndmask_b32_e32 v18, v23, v18, vcc
	v_lshlrev_b32_e32 v21, 16, v10
	v_bfrev_b32_e32 v23, 60
	v_lshlrev_b32_e32 v18, 20, v18
	v_and_b32_e32 v21, 0x80000000, v21
	v_lshl_add_u32 v19, v19, 23, v23
	v_or3_b32 v18, v21, v19, v18
	v_lshrrev_b32_e32 v19, 16, v18
.LBB836_507:
	s_or_b64 exec, exec, s[10:11]
.LBB836_508:
	s_or_b64 exec, exec, s[8:9]
.LBB836_509:
	s_or_b64 exec, exec, s[2:3]
	s_movk_i32 s2, 0xff
	v_and_b32_sdwa v24, v10, s2 dst_sel:DWORD dst_unused:UNUSED_PAD src0_sel:WORD_1 src1_sel:DWORD
	v_lshrrev_b32_e32 v18, 16, v10
	v_cmp_ne_u16_e32 vcc, 0, v24
	v_mov_b32_e32 v21, 0
	v_mov_b32_e32 v23, 0
	s_and_saveexec_b64 s[2:3], vcc
	s_cbranch_execz .LBB836_515
; %bb.510:
	s_movk_i32 s7, 0x80
	v_cmp_ne_u16_e32 vcc, s7, v24
	v_mov_b32_e32 v23, 0xffff8000
	s_and_saveexec_b64 s[8:9], vcc
	s_cbranch_execz .LBB836_514
; %bb.511:
	v_bfe_u32 v24, v10, 16, 7
	s_movk_i32 s7, 0x7f
	v_cmp_ne_u32_e32 vcc, s7, v24
	v_mov_b32_e32 v23, 0x7f80
	s_and_saveexec_b64 s[10:11], vcc
	s_cbranch_execz .LBB836_513
; %bb.512:
	v_and_b32_e32 v23, 7, v18
	v_ffbh_u32_e32 v27, v23
	v_min_u32_e32 v27, 32, v27
	v_subrev_u32_e32 v28, 28, v27
	v_lshlrev_b64 v[28:29], v28, v[18:19]
	v_lshrrev_b32_e32 v25, 3, v24
	v_sub_u32_e32 v18, 29, v27
	v_and_b32_e32 v27, 7, v28
	v_cmp_gt_u32_e32 vcc, 8, v24
	v_mov_b32_e32 v24, 24
	v_cndmask_b32_e32 v18, v25, v18, vcc
	v_cndmask_b32_e32 v23, v23, v27, vcc
	v_lshlrev_b32_sdwa v24, v24, v10 dst_sel:DWORD dst_unused:UNUSED_PAD src0_sel:DWORD src1_sel:WORD_1
	v_bfrev_b32_e32 v25, 60
	v_lshlrev_b32_e32 v23, 20, v23
	v_and_b32_e32 v24, 0x80000000, v24
	v_lshl_add_u32 v18, v18, 23, v25
	v_or3_b32 v18, v24, v18, v23
	v_lshrrev_b32_e32 v23, 16, v18
.LBB836_513:
	s_or_b64 exec, exec, s[10:11]
.LBB836_514:
	s_or_b64 exec, exec, s[8:9]
.LBB836_515:
	s_or_b64 exec, exec, s[2:3]
	s_mov_b32 s2, 0xffffff
	v_cmp_lt_u32_e32 vcc, s2, v10
	s_and_saveexec_b64 s[2:3], vcc
	s_cbranch_execz .LBB836_521
; %bb.516:
	v_lshrrev_b32_e32 v18, 24, v10
	s_movk_i32 s7, 0x80
	v_cmp_ne_u32_e32 vcc, s7, v18
	v_mov_b32_e32 v21, 0xffff8000
	s_and_saveexec_b64 s[8:9], vcc
	s_cbranch_execz .LBB836_520
; %bb.517:
	v_bfe_u32 v10, v10, 24, 7
	s_movk_i32 s7, 0x7f
	v_cmp_ne_u32_e32 vcc, s7, v10
	v_mov_b32_e32 v21, 0x7f80
	s_and_saveexec_b64 s[10:11], vcc
	s_cbranch_execz .LBB836_519
; %bb.518:
	v_and_b32_e32 v21, 7, v18
	v_ffbh_u32_e32 v24, v21
	v_min_u32_e32 v28, 32, v24
	v_subrev_u32_e32 v24, 28, v28
	v_lshlrev_b64 v[24:25], v24, v[18:19]
	v_lshrrev_b32_e32 v27, 3, v10
	v_sub_u32_e32 v25, 29, v28
	v_and_b32_e32 v24, 7, v24
	v_cmp_gt_u32_e32 vcc, 8, v10
	v_cndmask_b32_e32 v10, v27, v25, vcc
	v_cndmask_b32_e32 v21, v21, v24, vcc
	v_lshlrev_b32_e32 v18, 24, v18
	v_bfrev_b32_e32 v24, 60
	v_lshlrev_b32_e32 v21, 20, v21
	v_and_b32_e32 v18, 0x80000000, v18
	v_lshl_add_u32 v10, v10, 23, v24
	v_or3_b32 v10, v18, v10, v21
	v_lshrrev_b32_e32 v21, 16, v10
.LBB836_519:
	s_or_b64 exec, exec, s[10:11]
.LBB836_520:
	s_or_b64 exec, exec, s[8:9]
.LBB836_521:
	s_or_b64 exec, exec, s[2:3]
	v_mov_b32_e32 v18, 0
	v_cmp_ne_u16_sdwa s[8:9], v11, v18 src0_sel:BYTE_0 src1_sel:DWORD
	v_mov_b32_e32 v24, 0
	s_and_saveexec_b64 s[2:3], s[8:9]
	s_cbranch_execz .LBB836_527
; %bb.522:
	s_movk_i32 s7, 0x80
	v_cmp_ne_u16_sdwa s[10:11], v11, s7 src0_sel:BYTE_0 src1_sel:DWORD
	v_mov_b32_e32 v24, 0xffff8000
	s_and_saveexec_b64 s[8:9], s[10:11]
	s_cbranch_execz .LBB836_526
; %bb.523:
	s_movk_i32 s7, 0x7f
	v_and_b32_e32 v10, 0x7f, v11
	v_cmp_ne_u32_e32 vcc, s7, v10
	v_mov_b32_e32 v24, 0x7f80
	s_and_saveexec_b64 s[10:11], vcc
	s_cbranch_execz .LBB836_525
; %bb.524:
	v_and_b32_e32 v27, 7, v11
	v_ffbh_u32_e32 v25, v27
	v_min_u32_e32 v29, 32, v25
	v_mov_b32_e32 v24, v11
	v_subrev_u32_e32 v25, 28, v29
	v_lshlrev_b64 v[24:25], v25, v[24:25]
	v_lshrrev_b32_e32 v28, 3, v10
	v_sub_u32_e32 v25, 29, v29
	v_and_b32_e32 v24, 7, v24
	v_cmp_gt_u32_e32 vcc, 8, v10
	v_cndmask_b32_e32 v10, v28, v25, vcc
	v_cndmask_b32_e32 v24, v27, v24, vcc
	v_lshlrev_b32_e32 v25, 24, v11
	v_bfrev_b32_e32 v27, 60
	v_lshlrev_b32_e32 v24, 20, v24
	v_and_b32_e32 v25, 0x80000000, v25
	v_lshl_add_u32 v10, v10, 23, v27
	v_or3_b32 v10, v25, v10, v24
	v_lshrrev_b32_e32 v24, 16, v10
.LBB836_525:
	s_or_b64 exec, exec, s[10:11]
.LBB836_526:
	s_or_b64 exec, exec, s[8:9]
.LBB836_527:
	s_or_b64 exec, exec, s[2:3]
	v_lshrrev_b16_e32 v10, 8, v11
	v_cmp_ne_u16_e32 vcc, 0, v10
	s_and_saveexec_b64 s[2:3], vcc
	s_cbranch_execz .LBB836_533
; %bb.528:
	s_movk_i32 s7, 0x80
	v_cmp_ne_u16_e32 vcc, s7, v10
	v_mov_b32_e32 v18, 0xffff8000
	s_and_saveexec_b64 s[8:9], vcc
	s_cbranch_execz .LBB836_532
; %bb.529:
	s_movk_i32 s7, 0x7f
	v_and_b32_e32 v25, 0x7f, v10
	v_cmp_ne_u32_e32 vcc, s7, v25
	v_mov_b32_e32 v18, 0x7f80
	s_and_saveexec_b64 s[10:11], vcc
	s_cbranch_execz .LBB836_531
; %bb.530:
	v_and_b32_e32 v18, 7, v10
	v_ffbh_u32_e32 v28, v18
	v_min_u32_e32 v30, 32, v28
	v_subrev_u32_e32 v28, 28, v30
	v_lshlrev_b64 v[28:29], v28, v[10:11]
	v_lshrrev_b32_e32 v27, 3, v25
	v_sub_u32_e32 v10, 29, v30
	v_and_b32_e32 v28, 7, v28
	v_cmp_gt_u32_e32 vcc, 8, v25
	v_cndmask_b32_e32 v10, v27, v10, vcc
	v_cndmask_b32_e32 v18, v18, v28, vcc
	v_lshlrev_b32_e32 v25, 16, v11
	v_bfrev_b32_e32 v27, 60
	v_lshlrev_b32_e32 v18, 20, v18
	v_and_b32_e32 v25, 0x80000000, v25
	v_lshl_add_u32 v10, v10, 23, v27
	v_or3_b32 v10, v25, v10, v18
	v_lshrrev_b32_e32 v18, 16, v10
.LBB836_531:
	s_or_b64 exec, exec, s[10:11]
.LBB836_532:
	s_or_b64 exec, exec, s[8:9]
.LBB836_533:
	s_or_b64 exec, exec, s[2:3]
	s_movk_i32 s2, 0xff
	v_and_b32_sdwa v28, v11, s2 dst_sel:DWORD dst_unused:UNUSED_PAD src0_sel:WORD_1 src1_sel:DWORD
	v_lshrrev_b32_e32 v10, 16, v11
	v_cmp_ne_u16_e32 vcc, 0, v28
	v_mov_b32_e32 v25, 0
	v_mov_b32_e32 v27, 0
	s_and_saveexec_b64 s[2:3], vcc
	s_cbranch_execz .LBB836_539
; %bb.534:
	s_movk_i32 s7, 0x80
	v_cmp_ne_u16_e32 vcc, s7, v28
	v_mov_b32_e32 v27, 0xffff8000
	s_and_saveexec_b64 s[8:9], vcc
	s_cbranch_execz .LBB836_538
; %bb.535:
	v_bfe_u32 v28, v11, 16, 7
	s_movk_i32 s7, 0x7f
	v_cmp_ne_u32_e32 vcc, s7, v28
	v_mov_b32_e32 v27, 0x7f80
	s_and_saveexec_b64 s[10:11], vcc
	s_cbranch_execz .LBB836_537
; %bb.536:
	v_and_b32_e32 v27, 7, v10
	v_ffbh_u32_e32 v30, v27
	v_min_u32_e32 v32, 32, v30
	v_subrev_u32_e32 v30, 28, v32
	v_lshlrev_b64 v[30:31], v30, v[10:11]
	v_lshrrev_b32_e32 v29, 3, v28
	v_sub_u32_e32 v10, 29, v32
	v_and_b32_e32 v30, 7, v30
	v_cmp_gt_u32_e32 vcc, 8, v28
	v_mov_b32_e32 v28, 24
	v_cndmask_b32_e32 v10, v29, v10, vcc
	v_cndmask_b32_e32 v27, v27, v30, vcc
	v_lshlrev_b32_sdwa v28, v28, v11 dst_sel:DWORD dst_unused:UNUSED_PAD src0_sel:DWORD src1_sel:WORD_1
	v_bfrev_b32_e32 v29, 60
	v_lshlrev_b32_e32 v27, 20, v27
	v_and_b32_e32 v28, 0x80000000, v28
	v_lshl_add_u32 v10, v10, 23, v29
	v_or3_b32 v10, v28, v10, v27
	v_lshrrev_b32_e32 v27, 16, v10
.LBB836_537:
	s_or_b64 exec, exec, s[10:11]
.LBB836_538:
	s_or_b64 exec, exec, s[8:9]
.LBB836_539:
	s_or_b64 exec, exec, s[2:3]
	s_mov_b32 s2, 0xffffff
	v_cmp_lt_u32_e32 vcc, s2, v11
	s_and_saveexec_b64 s[2:3], vcc
	s_cbranch_execz .LBB836_545
; %bb.540:
	v_lshrrev_b32_e32 v10, 24, v11
	s_movk_i32 s7, 0x80
	v_cmp_ne_u32_e32 vcc, s7, v10
	v_mov_b32_e32 v25, 0xffff8000
	s_and_saveexec_b64 s[8:9], vcc
	s_cbranch_execz .LBB836_544
; %bb.541:
	v_bfe_u32 v11, v11, 24, 7
	s_movk_i32 s7, 0x7f
	v_cmp_ne_u32_e32 vcc, s7, v11
	v_mov_b32_e32 v25, 0x7f80
	s_and_saveexec_b64 s[10:11], vcc
	s_cbranch_execz .LBB836_543
; %bb.542:
	v_and_b32_e32 v25, 7, v10
	v_ffbh_u32_e32 v28, v25
	v_min_u32_e32 v31, 32, v28
	v_subrev_u32_e32 v28, 28, v31
	v_lshlrev_b64 v[28:29], v28, v[10:11]
	v_lshrrev_b32_e32 v30, 3, v11
	v_sub_u32_e32 v29, 29, v31
	v_and_b32_e32 v28, 7, v28
	v_cmp_gt_u32_e32 vcc, 8, v11
	v_cndmask_b32_e32 v11, v30, v29, vcc
	v_cndmask_b32_e32 v25, v25, v28, vcc
	v_lshlrev_b32_e32 v10, 24, v10
	v_bfrev_b32_e32 v28, 60
	v_lshlrev_b32_e32 v25, 20, v25
	v_and_b32_e32 v10, 0x80000000, v10
	v_lshl_add_u32 v11, v11, 23, v28
	v_or3_b32 v10, v10, v11, v25
	v_lshrrev_b32_e32 v25, 16, v10
.LBB836_543:
	s_or_b64 exec, exec, s[10:11]
.LBB836_544:
	s_or_b64 exec, exec, s[8:9]
.LBB836_545:
	s_or_b64 exec, exec, s[2:3]
	s_mov_b32 s2, 0x5040100
	v_perm_b32 v11, v21, v23, s2
	v_perm_b32 v10, v19, v20, s2
	ds_read_b128 v[28:31], v22 offset:2048
	v_perm_b32 v21, v25, v27, s2
	v_perm_b32 v20, v18, v24, s2
	s_waitcnt lgkmcnt(0)
	v_mfma_f32_16x16x16bf16_1k v[14:17], v[10:11], v[28:29], v[14:17]
	v_mov_b32_e32 v11, 0
	v_cmp_ne_u16_sdwa s[8:9], v12, v11 src0_sel:BYTE_0 src1_sel:DWORD
	v_mov_b32_e32 v18, 0
	v_mfma_f32_16x16x16bf16_1k v[14:17], v[20:21], v[30:31], v[14:17]
	s_and_saveexec_b64 s[2:3], s[8:9]
	s_cbranch_execz .LBB836_551
; %bb.546:
	s_movk_i32 s7, 0x80
	v_cmp_ne_u16_sdwa s[10:11], v12, s7 src0_sel:BYTE_0 src1_sel:DWORD
	v_mov_b32_e32 v18, 0xffff8000
	s_and_saveexec_b64 s[8:9], s[10:11]
	s_cbranch_execz .LBB836_550
; %bb.547:
	s_movk_i32 s7, 0x7f
	v_and_b32_e32 v10, 0x7f, v12
	v_cmp_ne_u32_e32 vcc, s7, v10
	v_mov_b32_e32 v18, 0x7f80
	s_and_saveexec_b64 s[10:11], vcc
	s_cbranch_execz .LBB836_549
; %bb.548:
	v_and_b32_e32 v20, 7, v12
	v_ffbh_u32_e32 v18, v20
	v_min_u32_e32 v23, 32, v18
	v_subrev_u32_e32 v18, 28, v23
	v_lshlrev_b64 v[18:19], v18, v[12:13]
	v_lshrrev_b32_e32 v21, 3, v10
	v_sub_u32_e32 v19, 29, v23
	v_and_b32_e32 v18, 7, v18
	v_cmp_gt_u32_e32 vcc, 8, v10
	v_cndmask_b32_e32 v10, v21, v19, vcc
	v_cndmask_b32_e32 v18, v20, v18, vcc
	v_lshlrev_b32_e32 v19, 24, v12
	v_bfrev_b32_e32 v20, 60
	v_lshlrev_b32_e32 v18, 20, v18
	v_and_b32_e32 v19, 0x80000000, v19
	v_lshl_add_u32 v10, v10, 23, v20
	v_or3_b32 v10, v19, v10, v18
	v_lshrrev_b32_e32 v18, 16, v10
.LBB836_549:
	s_or_b64 exec, exec, s[10:11]
.LBB836_550:
	s_or_b64 exec, exec, s[8:9]
.LBB836_551:
	s_or_b64 exec, exec, s[2:3]
	v_lshrrev_b16_e32 v10, 8, v12
	v_cmp_ne_u16_e32 vcc, 0, v10
	s_and_saveexec_b64 s[2:3], vcc
	s_cbranch_execz .LBB836_557
; %bb.552:
	s_movk_i32 s7, 0x80
	v_cmp_ne_u16_e32 vcc, s7, v10
	v_mov_b32_e32 v11, 0xffff8000
	s_and_saveexec_b64 s[8:9], vcc
	s_cbranch_execz .LBB836_556
; %bb.553:
	s_movk_i32 s7, 0x7f
	v_and_b32_e32 v19, 0x7f, v10
	v_cmp_ne_u32_e32 vcc, s7, v19
	v_mov_b32_e32 v11, 0x7f80
	s_and_saveexec_b64 s[10:11], vcc
	s_cbranch_execz .LBB836_555
; %bb.554:
	v_and_b32_e32 v20, 7, v10
	v_ffbh_u32_e32 v11, v20
	v_min_u32_e32 v23, 32, v11
	v_subrev_u32_e32 v11, 28, v23
	v_lshlrev_b64 v[10:11], v11, v[10:11]
	v_lshrrev_b32_e32 v21, 3, v19
	v_sub_u32_e32 v11, 29, v23
	v_and_b32_e32 v10, 7, v10
	v_cmp_gt_u32_e32 vcc, 8, v19
	v_cndmask_b32_e32 v11, v21, v11, vcc
	v_cndmask_b32_e32 v10, v20, v10, vcc
	v_lshlrev_b32_e32 v19, 16, v12
	v_bfrev_b32_e32 v20, 60
	v_lshlrev_b32_e32 v10, 20, v10
	v_and_b32_e32 v19, 0x80000000, v19
	v_lshl_add_u32 v11, v11, 23, v20
	v_or3_b32 v10, v19, v11, v10
	v_lshrrev_b32_e32 v11, 16, v10
.LBB836_555:
	s_or_b64 exec, exec, s[10:11]
.LBB836_556:
	s_or_b64 exec, exec, s[8:9]
.LBB836_557:
	s_or_b64 exec, exec, s[2:3]
	s_movk_i32 s2, 0xff
	v_and_b32_sdwa v21, v12, s2 dst_sel:DWORD dst_unused:UNUSED_PAD src0_sel:WORD_1 src1_sel:DWORD
	v_lshrrev_b32_e32 v10, 16, v12
	v_cmp_ne_u16_e32 vcc, 0, v21
	v_mov_b32_e32 v19, 0
	v_mov_b32_e32 v20, 0
	s_and_saveexec_b64 s[2:3], vcc
	s_cbranch_execz .LBB836_563
; %bb.558:
	s_movk_i32 s7, 0x80
	v_cmp_ne_u16_e32 vcc, s7, v21
	v_mov_b32_e32 v20, 0xffff8000
	s_and_saveexec_b64 s[8:9], vcc
	s_cbranch_execz .LBB836_562
; %bb.559:
	v_bfe_u32 v21, v12, 16, 7
	s_movk_i32 s7, 0x7f
	v_cmp_ne_u32_e32 vcc, s7, v21
	v_mov_b32_e32 v20, 0x7f80
	s_and_saveexec_b64 s[10:11], vcc
	s_cbranch_execz .LBB836_561
; %bb.560:
	v_and_b32_e32 v20, 7, v10
	v_ffbh_u32_e32 v24, v20
	v_min_u32_e32 v27, 32, v24
	v_subrev_u32_e32 v24, 28, v27
	v_lshlrev_b64 v[24:25], v24, v[10:11]
	v_lshrrev_b32_e32 v23, 3, v21
	v_sub_u32_e32 v10, 29, v27
	v_and_b32_e32 v24, 7, v24
	v_cmp_gt_u32_e32 vcc, 8, v21
	v_mov_b32_e32 v21, 24
	v_cndmask_b32_e32 v10, v23, v10, vcc
	v_cndmask_b32_e32 v20, v20, v24, vcc
	v_lshlrev_b32_sdwa v21, v21, v12 dst_sel:DWORD dst_unused:UNUSED_PAD src0_sel:DWORD src1_sel:WORD_1
	v_bfrev_b32_e32 v23, 60
	v_lshlrev_b32_e32 v20, 20, v20
	v_and_b32_e32 v21, 0x80000000, v21
	v_lshl_add_u32 v10, v10, 23, v23
	v_or3_b32 v10, v21, v10, v20
	v_lshrrev_b32_e32 v20, 16, v10
.LBB836_561:
	s_or_b64 exec, exec, s[10:11]
.LBB836_562:
	s_or_b64 exec, exec, s[8:9]
.LBB836_563:
	s_or_b64 exec, exec, s[2:3]
	s_mov_b32 s2, 0xffffff
	v_cmp_lt_u32_e32 vcc, s2, v12
	s_and_saveexec_b64 s[2:3], vcc
	s_cbranch_execz .LBB836_569
; %bb.564:
	v_lshrrev_b32_e32 v10, 24, v12
	s_movk_i32 s7, 0x80
	v_cmp_ne_u32_e32 vcc, s7, v10
	v_mov_b32_e32 v19, 0xffff8000
	s_and_saveexec_b64 s[8:9], vcc
	s_cbranch_execz .LBB836_568
; %bb.565:
	v_bfe_u32 v12, v12, 24, 7
	s_movk_i32 s7, 0x7f
	v_cmp_ne_u32_e32 vcc, s7, v12
	v_mov_b32_e32 v19, 0x7f80
	s_and_saveexec_b64 s[10:11], vcc
	s_cbranch_execz .LBB836_567
; %bb.566:
	v_and_b32_e32 v19, 7, v10
	v_ffbh_u32_e32 v23, v19
	v_min_u32_e32 v23, 32, v23
	v_subrev_u32_e32 v24, 28, v23
	v_lshlrev_b64 v[24:25], v24, v[10:11]
	v_lshrrev_b32_e32 v21, 3, v12
	v_sub_u32_e32 v23, 29, v23
	v_and_b32_e32 v24, 7, v24
	v_cmp_gt_u32_e32 vcc, 8, v12
	v_cndmask_b32_e32 v12, v21, v23, vcc
	v_cndmask_b32_e32 v19, v19, v24, vcc
	v_lshlrev_b32_e32 v10, 24, v10
	v_bfrev_b32_e32 v21, 60
	v_lshlrev_b32_e32 v19, 20, v19
	v_and_b32_e32 v10, 0x80000000, v10
	v_lshl_add_u32 v12, v12, 23, v21
	v_or3_b32 v10, v10, v12, v19
	v_lshrrev_b32_e32 v19, 16, v10
.LBB836_567:
	s_or_b64 exec, exec, s[10:11]
.LBB836_568:
	s_or_b64 exec, exec, s[8:9]
.LBB836_569:
	s_or_b64 exec, exec, s[2:3]
	v_mov_b32_e32 v12, 0
	v_cmp_ne_u16_sdwa s[8:9], v13, v12 src0_sel:BYTE_0 src1_sel:DWORD
	v_mov_b32_e32 v21, 0
	s_and_saveexec_b64 s[2:3], s[8:9]
	s_cbranch_execz .LBB836_575
; %bb.570:
	s_movk_i32 s7, 0x80
	v_cmp_ne_u16_sdwa s[10:11], v13, s7 src0_sel:BYTE_0 src1_sel:DWORD
	v_mov_b32_e32 v21, 0xffff8000
	s_and_saveexec_b64 s[8:9], s[10:11]
	s_cbranch_execz .LBB836_574
; %bb.571:
	s_movk_i32 s7, 0x7f
	v_and_b32_e32 v10, 0x7f, v13
	v_cmp_ne_u32_e32 vcc, s7, v10
	v_mov_b32_e32 v21, 0x7f80
	s_and_saveexec_b64 s[10:11], vcc
	s_cbranch_execz .LBB836_573
; %bb.572:
	v_and_b32_e32 v21, 7, v13
	v_ffbh_u32_e32 v25, v21
	v_min_u32_e32 v27, 32, v25
	v_mov_b32_e32 v24, v13
	v_subrev_u32_e32 v25, 28, v27
	v_lshlrev_b64 v[24:25], v25, v[24:25]
	v_lshrrev_b32_e32 v23, 3, v10
	v_sub_u32_e32 v25, 29, v27
	v_and_b32_e32 v24, 7, v24
	v_cmp_gt_u32_e32 vcc, 8, v10
	v_cndmask_b32_e32 v10, v23, v25, vcc
	v_cndmask_b32_e32 v21, v21, v24, vcc
	v_lshlrev_b32_e32 v23, 24, v13
	v_bfrev_b32_e32 v24, 60
	v_lshlrev_b32_e32 v21, 20, v21
	v_and_b32_e32 v23, 0x80000000, v23
	v_lshl_add_u32 v10, v10, 23, v24
	v_or3_b32 v10, v23, v10, v21
	v_lshrrev_b32_e32 v21, 16, v10
.LBB836_573:
	s_or_b64 exec, exec, s[10:11]
.LBB836_574:
	s_or_b64 exec, exec, s[8:9]
.LBB836_575:
	s_or_b64 exec, exec, s[2:3]
	v_lshrrev_b16_e32 v10, 8, v13
	v_cmp_ne_u16_e32 vcc, 0, v10
	s_and_saveexec_b64 s[2:3], vcc
	s_cbranch_execz .LBB836_581
; %bb.576:
	s_movk_i32 s7, 0x80
	v_cmp_ne_u16_e32 vcc, s7, v10
	v_mov_b32_e32 v12, 0xffff8000
	s_and_saveexec_b64 s[8:9], vcc
	s_cbranch_execz .LBB836_580
; %bb.577:
	s_movk_i32 s7, 0x7f
	v_and_b32_e32 v23, 0x7f, v10
	v_cmp_ne_u32_e32 vcc, s7, v23
	v_mov_b32_e32 v12, 0x7f80
	s_and_saveexec_b64 s[10:11], vcc
	s_cbranch_execz .LBB836_579
; %bb.578:
	v_and_b32_e32 v12, 7, v10
	v_ffbh_u32_e32 v24, v12
	v_min_u32_e32 v28, 32, v24
	v_subrev_u32_e32 v24, 28, v28
	v_lshlrev_b64 v[24:25], v24, v[10:11]
	v_lshrrev_b32_e32 v27, 3, v23
	v_sub_u32_e32 v10, 29, v28
	v_and_b32_e32 v24, 7, v24
	v_cmp_gt_u32_e32 vcc, 8, v23
	v_cndmask_b32_e32 v10, v27, v10, vcc
	v_cndmask_b32_e32 v12, v12, v24, vcc
	v_lshlrev_b32_e32 v23, 16, v13
	v_bfrev_b32_e32 v24, 60
	v_lshlrev_b32_e32 v12, 20, v12
	v_and_b32_e32 v23, 0x80000000, v23
	v_lshl_add_u32 v10, v10, 23, v24
	v_or3_b32 v10, v23, v10, v12
	v_lshrrev_b32_e32 v12, 16, v10
.LBB836_579:
	s_or_b64 exec, exec, s[10:11]
.LBB836_580:
	s_or_b64 exec, exec, s[8:9]
.LBB836_581:
	s_or_b64 exec, exec, s[2:3]
	s_movk_i32 s2, 0xff
	v_and_b32_sdwa v25, v13, s2 dst_sel:DWORD dst_unused:UNUSED_PAD src0_sel:WORD_1 src1_sel:DWORD
	v_lshrrev_b32_e32 v10, 16, v13
	v_cmp_ne_u16_e32 vcc, 0, v25
	v_mov_b32_e32 v23, 0
	v_mov_b32_e32 v24, 0
	s_and_saveexec_b64 s[2:3], vcc
	s_cbranch_execz .LBB836_587
; %bb.582:
	s_movk_i32 s7, 0x80
	v_cmp_ne_u16_e32 vcc, s7, v25
	v_mov_b32_e32 v24, 0xffff8000
	s_and_saveexec_b64 s[8:9], vcc
	s_cbranch_execz .LBB836_586
; %bb.583:
	v_bfe_u32 v25, v13, 16, 7
	s_movk_i32 s7, 0x7f
	v_cmp_ne_u32_e32 vcc, s7, v25
	v_mov_b32_e32 v24, 0x7f80
	s_and_saveexec_b64 s[10:11], vcc
	s_cbranch_execz .LBB836_585
; %bb.584:
	v_and_b32_e32 v24, 7, v10
	v_ffbh_u32_e32 v28, v24
	v_min_u32_e32 v30, 32, v28
	v_subrev_u32_e32 v28, 28, v30
	v_lshlrev_b64 v[28:29], v28, v[10:11]
	v_lshrrev_b32_e32 v27, 3, v25
	v_sub_u32_e32 v10, 29, v30
	v_and_b32_e32 v28, 7, v28
	v_cmp_gt_u32_e32 vcc, 8, v25
	v_mov_b32_e32 v25, 24
	v_cndmask_b32_e32 v10, v27, v10, vcc
	v_cndmask_b32_e32 v24, v24, v28, vcc
	v_lshlrev_b32_sdwa v25, v25, v13 dst_sel:DWORD dst_unused:UNUSED_PAD src0_sel:DWORD src1_sel:WORD_1
	v_bfrev_b32_e32 v27, 60
	v_lshlrev_b32_e32 v24, 20, v24
	v_and_b32_e32 v25, 0x80000000, v25
	v_lshl_add_u32 v10, v10, 23, v27
	v_or3_b32 v10, v25, v10, v24
	v_lshrrev_b32_e32 v24, 16, v10
.LBB836_585:
	s_or_b64 exec, exec, s[10:11]
.LBB836_586:
	s_or_b64 exec, exec, s[8:9]
.LBB836_587:
	s_or_b64 exec, exec, s[2:3]
	s_mov_b32 s2, 0xffffff
	v_cmp_lt_u32_e32 vcc, s2, v13
	s_and_saveexec_b64 s[2:3], vcc
	s_cbranch_execz .LBB836_593
; %bb.588:
	v_lshrrev_b32_e32 v10, 24, v13
	s_movk_i32 s7, 0x80
	v_cmp_ne_u32_e32 vcc, s7, v10
	v_mov_b32_e32 v23, 0xffff8000
	s_and_saveexec_b64 s[8:9], vcc
	s_cbranch_execz .LBB836_592
; %bb.589:
	v_bfe_u32 v13, v13, 24, 7
	s_movk_i32 s7, 0x7f
	v_cmp_ne_u32_e32 vcc, s7, v13
	v_mov_b32_e32 v23, 0x7f80
	s_and_saveexec_b64 s[10:11], vcc
	s_cbranch_execz .LBB836_591
; %bb.590:
	v_and_b32_e32 v23, 7, v10
	v_ffbh_u32_e32 v27, v23
	v_min_u32_e32 v27, 32, v27
	v_subrev_u32_e32 v28, 28, v27
	v_lshlrev_b64 v[28:29], v28, v[10:11]
	v_lshrrev_b32_e32 v25, 3, v13
	v_sub_u32_e32 v27, 29, v27
	v_and_b32_e32 v28, 7, v28
	v_cmp_gt_u32_e32 vcc, 8, v13
	v_cndmask_b32_e32 v13, v25, v27, vcc
	v_cndmask_b32_e32 v23, v23, v28, vcc
	v_lshlrev_b32_e32 v10, 24, v10
	v_bfrev_b32_e32 v25, 60
	v_lshlrev_b32_e32 v23, 20, v23
	v_and_b32_e32 v10, 0x80000000, v10
	v_lshl_add_u32 v13, v13, 23, v25
	v_or3_b32 v10, v10, v13, v23
	v_lshrrev_b32_e32 v23, 16, v10
.LBB836_591:
	s_or_b64 exec, exec, s[10:11]
.LBB836_592:
	s_or_b64 exec, exec, s[8:9]
.LBB836_593:
	s_or_b64 exec, exec, s[2:3]
	s_mov_b32 s2, 0x5040100
	v_perm_b32 v19, v19, v20, s2
	v_perm_b32 v18, v11, v18, s2
	ds_read_b128 v[28:31], v22 offset:2064
	v_perm_b32 v11, v23, v24, s2
	v_perm_b32 v10, v12, v21, s2
	s_waitcnt lgkmcnt(0)
	v_mfma_f32_16x16x16bf16_1k v[32:35], v[18:19], v[28:29], v[14:17]
	s_nop 6
	v_mov_b32_e32 v15, 0
	s_waitcnt vmcnt(1)
	v_cmp_ne_u16_sdwa s[8:9], v6, v15 src0_sel:BYTE_0 src1_sel:DWORD
	v_mfma_f32_16x16x16bf16_1k v[10:13], v[10:11], v[30:31], v[32:35]
	v_mov_b32_e32 v16, 0
	s_and_saveexec_b64 s[2:3], s[8:9]
	s_cbranch_execz .LBB836_599
; %bb.594:
	s_movk_i32 s7, 0x80
	v_cmp_ne_u16_sdwa s[10:11], v6, s7 src0_sel:BYTE_0 src1_sel:DWORD
	v_mov_b32_e32 v16, 0xffff8000
	s_and_saveexec_b64 s[8:9], s[10:11]
	s_cbranch_execz .LBB836_598
; %bb.595:
	s_movk_i32 s7, 0x7f
	v_and_b32_e32 v14, 0x7f, v6
	v_cmp_ne_u32_e32 vcc, s7, v14
	v_mov_b32_e32 v16, 0x7f80
	s_and_saveexec_b64 s[10:11], vcc
	s_cbranch_execz .LBB836_597
; %bb.596:
	v_and_b32_e32 v18, 7, v6
	v_ffbh_u32_e32 v16, v18
	v_min_u32_e32 v20, 32, v16
	v_subrev_u32_e32 v16, 28, v20
	v_lshlrev_b64 v[16:17], v16, v[6:7]
	v_lshrrev_b32_e32 v19, 3, v14
	v_sub_u32_e32 v17, 29, v20
	v_and_b32_e32 v16, 7, v16
	v_cmp_gt_u32_e32 vcc, 8, v14
	v_cndmask_b32_e32 v14, v19, v17, vcc
	v_cndmask_b32_e32 v16, v18, v16, vcc
	v_lshlrev_b32_e32 v17, 24, v6
	v_bfrev_b32_e32 v18, 60
	v_lshlrev_b32_e32 v16, 20, v16
	v_and_b32_e32 v17, 0x80000000, v17
	v_lshl_add_u32 v14, v14, 23, v18
	v_or3_b32 v14, v17, v14, v16
	v_lshrrev_b32_e32 v16, 16, v14
.LBB836_597:
	s_or_b64 exec, exec, s[10:11]
.LBB836_598:
	s_or_b64 exec, exec, s[8:9]
.LBB836_599:
	s_or_b64 exec, exec, s[2:3]
	v_lshrrev_b16_e32 v14, 8, v6
	v_cmp_ne_u16_e32 vcc, 0, v14
	s_and_saveexec_b64 s[2:3], vcc
	s_cbranch_execz .LBB836_605
; %bb.600:
	s_movk_i32 s7, 0x80
	v_cmp_ne_u16_e32 vcc, s7, v14
	v_mov_b32_e32 v15, 0xffff8000
	s_and_saveexec_b64 s[8:9], vcc
	s_cbranch_execz .LBB836_604
; %bb.601:
	s_movk_i32 s7, 0x7f
	v_and_b32_e32 v17, 0x7f, v14
	v_cmp_ne_u32_e32 vcc, s7, v17
	v_mov_b32_e32 v15, 0x7f80
	s_and_saveexec_b64 s[10:11], vcc
	s_cbranch_execz .LBB836_603
; %bb.602:
	v_and_b32_e32 v18, 7, v14
	v_ffbh_u32_e32 v15, v18
	v_min_u32_e32 v20, 32, v15
	v_subrev_u32_e32 v15, 28, v20
	v_lshlrev_b64 v[14:15], v15, v[14:15]
	v_lshrrev_b32_e32 v19, 3, v17
	v_sub_u32_e32 v15, 29, v20
	v_and_b32_e32 v14, 7, v14
	v_cmp_gt_u32_e32 vcc, 8, v17
	v_cndmask_b32_e32 v15, v19, v15, vcc
	v_cndmask_b32_e32 v14, v18, v14, vcc
	v_lshlrev_b32_e32 v17, 16, v6
	v_bfrev_b32_e32 v18, 60
	v_lshlrev_b32_e32 v14, 20, v14
	v_and_b32_e32 v17, 0x80000000, v17
	v_lshl_add_u32 v15, v15, 23, v18
	v_or3_b32 v14, v17, v15, v14
	v_lshrrev_b32_e32 v15, 16, v14
.LBB836_603:
	s_or_b64 exec, exec, s[10:11]
.LBB836_604:
	s_or_b64 exec, exec, s[8:9]
.LBB836_605:
	s_or_b64 exec, exec, s[2:3]
	s_movk_i32 s2, 0xff
	v_and_b32_sdwa v19, v6, s2 dst_sel:DWORD dst_unused:UNUSED_PAD src0_sel:WORD_1 src1_sel:DWORD
	v_lshrrev_b32_e32 v14, 16, v6
	v_cmp_ne_u16_e32 vcc, 0, v19
	v_mov_b32_e32 v17, 0
	v_mov_b32_e32 v18, 0
	s_and_saveexec_b64 s[2:3], vcc
	s_cbranch_execz .LBB836_611
; %bb.606:
	s_movk_i32 s7, 0x80
	v_cmp_ne_u16_e32 vcc, s7, v19
	v_mov_b32_e32 v18, 0xffff8000
	s_and_saveexec_b64 s[8:9], vcc
	s_cbranch_execz .LBB836_610
; %bb.607:
	v_bfe_u32 v19, v6, 16, 7
	s_movk_i32 s7, 0x7f
	v_cmp_ne_u32_e32 vcc, s7, v19
	v_mov_b32_e32 v18, 0x7f80
	s_and_saveexec_b64 s[10:11], vcc
	s_cbranch_execz .LBB836_609
; %bb.608:
	v_and_b32_e32 v18, 7, v14
	v_ffbh_u32_e32 v20, v18
	v_min_u32_e32 v24, 32, v20
	v_subrev_u32_e32 v20, 28, v24
	v_lshlrev_b64 v[20:21], v20, v[14:15]
	v_lshrrev_b32_e32 v23, 3, v19
	v_sub_u32_e32 v14, 29, v24
	v_and_b32_e32 v20, 7, v20
	v_cmp_gt_u32_e32 vcc, 8, v19
	v_mov_b32_e32 v19, 24
	v_cndmask_b32_e32 v14, v23, v14, vcc
	v_cndmask_b32_e32 v18, v18, v20, vcc
	v_lshlrev_b32_sdwa v19, v19, v6 dst_sel:DWORD dst_unused:UNUSED_PAD src0_sel:DWORD src1_sel:WORD_1
	v_bfrev_b32_e32 v20, 60
	v_lshlrev_b32_e32 v18, 20, v18
	v_and_b32_e32 v19, 0x80000000, v19
	v_lshl_add_u32 v14, v14, 23, v20
	v_or3_b32 v14, v19, v14, v18
	v_lshrrev_b32_e32 v18, 16, v14
.LBB836_609:
	s_or_b64 exec, exec, s[10:11]
.LBB836_610:
	s_or_b64 exec, exec, s[8:9]
.LBB836_611:
	s_or_b64 exec, exec, s[2:3]
	s_mov_b32 s2, 0xffffff
	v_cmp_lt_u32_e32 vcc, s2, v6
	s_and_saveexec_b64 s[2:3], vcc
	s_cbranch_execz .LBB836_617
; %bb.612:
	v_lshrrev_b32_e32 v14, 24, v6
	s_movk_i32 s7, 0x80
	v_cmp_ne_u32_e32 vcc, s7, v14
	v_mov_b32_e32 v17, 0xffff8000
	s_and_saveexec_b64 s[8:9], vcc
	s_cbranch_execz .LBB836_616
; %bb.613:
	v_bfe_u32 v6, v6, 24, 7
	s_movk_i32 s7, 0x7f
	v_cmp_ne_u32_e32 vcc, s7, v6
	v_mov_b32_e32 v17, 0x7f80
	s_and_saveexec_b64 s[10:11], vcc
	s_cbranch_execz .LBB836_615
; %bb.614:
	v_and_b32_e32 v17, 7, v14
	v_ffbh_u32_e32 v20, v17
	v_min_u32_e32 v23, 32, v20
	v_subrev_u32_e32 v20, 28, v23
	v_lshlrev_b64 v[20:21], v20, v[14:15]
	v_lshrrev_b32_e32 v19, 3, v6
	v_sub_u32_e32 v21, 29, v23
	v_and_b32_e32 v20, 7, v20
	v_cmp_gt_u32_e32 vcc, 8, v6
	v_cndmask_b32_e32 v6, v19, v21, vcc
	v_cndmask_b32_e32 v17, v17, v20, vcc
	v_lshlrev_b32_e32 v14, 24, v14
	v_bfrev_b32_e32 v19, 60
	v_lshlrev_b32_e32 v17, 20, v17
	v_and_b32_e32 v14, 0x80000000, v14
	v_lshl_add_u32 v6, v6, 23, v19
	v_or3_b32 v6, v14, v6, v17
	v_lshrrev_b32_e32 v17, 16, v6
.LBB836_615:
	s_or_b64 exec, exec, s[10:11]
.LBB836_616:
	s_or_b64 exec, exec, s[8:9]
.LBB836_617:
	s_or_b64 exec, exec, s[2:3]
	v_mov_b32_e32 v14, 0
	v_cmp_ne_u16_sdwa s[8:9], v7, v14 src0_sel:BYTE_0 src1_sel:DWORD
	v_mov_b32_e32 v19, 0
	s_and_saveexec_b64 s[2:3], s[8:9]
	s_cbranch_execz .LBB836_623
; %bb.618:
	s_movk_i32 s7, 0x80
	v_cmp_ne_u16_sdwa s[10:11], v7, s7 src0_sel:BYTE_0 src1_sel:DWORD
	v_mov_b32_e32 v19, 0xffff8000
	s_and_saveexec_b64 s[8:9], s[10:11]
	s_cbranch_execz .LBB836_622
; %bb.619:
	s_movk_i32 s7, 0x7f
	v_and_b32_e32 v6, 0x7f, v7
	v_cmp_ne_u32_e32 vcc, s7, v6
	v_mov_b32_e32 v19, 0x7f80
	s_and_saveexec_b64 s[10:11], vcc
	s_cbranch_execz .LBB836_621
; %bb.620:
	v_and_b32_e32 v19, 7, v7
	v_ffbh_u32_e32 v21, v19
	v_min_u32_e32 v24, 32, v21
	v_mov_b32_e32 v20, v7
	v_subrev_u32_e32 v21, 28, v24
	v_lshlrev_b64 v[20:21], v21, v[20:21]
	v_lshrrev_b32_e32 v23, 3, v6
	v_sub_u32_e32 v21, 29, v24
	v_and_b32_e32 v20, 7, v20
	v_cmp_gt_u32_e32 vcc, 8, v6
	v_cndmask_b32_e32 v6, v23, v21, vcc
	v_cndmask_b32_e32 v19, v19, v20, vcc
	v_lshlrev_b32_e32 v20, 24, v7
	v_bfrev_b32_e32 v21, 60
	v_lshlrev_b32_e32 v19, 20, v19
	v_and_b32_e32 v20, 0x80000000, v20
	v_lshl_add_u32 v6, v6, 23, v21
	v_or3_b32 v6, v20, v6, v19
	v_lshrrev_b32_e32 v19, 16, v6
.LBB836_621:
	s_or_b64 exec, exec, s[10:11]
.LBB836_622:
	s_or_b64 exec, exec, s[8:9]
.LBB836_623:
	s_or_b64 exec, exec, s[2:3]
	v_lshrrev_b16_e32 v6, 8, v7
	v_cmp_ne_u16_e32 vcc, 0, v6
	s_and_saveexec_b64 s[2:3], vcc
	s_cbranch_execz .LBB836_629
; %bb.624:
	s_movk_i32 s7, 0x80
	v_cmp_ne_u16_e32 vcc, s7, v6
	v_mov_b32_e32 v14, 0xffff8000
	s_and_saveexec_b64 s[8:9], vcc
	s_cbranch_execz .LBB836_628
; %bb.625:
	s_movk_i32 s7, 0x7f
	v_and_b32_e32 v20, 0x7f, v6
	v_cmp_ne_u32_e32 vcc, s7, v20
	v_mov_b32_e32 v14, 0x7f80
	s_and_saveexec_b64 s[10:11], vcc
	s_cbranch_execz .LBB836_627
; %bb.626:
	v_and_b32_e32 v14, 7, v6
	v_ffbh_u32_e32 v23, v14
	v_min_u32_e32 v23, 32, v23
	v_subrev_u32_e32 v24, 28, v23
	v_lshlrev_b64 v[24:25], v24, v[6:7]
	v_lshrrev_b32_e32 v21, 3, v20
	v_sub_u32_e32 v6, 29, v23
	v_and_b32_e32 v23, 7, v24
	v_cmp_gt_u32_e32 vcc, 8, v20
	v_cndmask_b32_e32 v6, v21, v6, vcc
	v_cndmask_b32_e32 v14, v14, v23, vcc
	v_lshlrev_b32_e32 v20, 16, v7
	v_bfrev_b32_e32 v21, 60
	v_lshlrev_b32_e32 v14, 20, v14
	v_and_b32_e32 v20, 0x80000000, v20
	v_lshl_add_u32 v6, v6, 23, v21
	v_or3_b32 v6, v20, v6, v14
	v_lshrrev_b32_e32 v14, 16, v6
.LBB836_627:
	s_or_b64 exec, exec, s[10:11]
.LBB836_628:
	s_or_b64 exec, exec, s[8:9]
.LBB836_629:
	s_or_b64 exec, exec, s[2:3]
	s_movk_i32 s2, 0xff
	v_and_b32_sdwa v23, v7, s2 dst_sel:DWORD dst_unused:UNUSED_PAD src0_sel:WORD_1 src1_sel:DWORD
	v_lshrrev_b32_e32 v6, 16, v7
	v_cmp_ne_u16_e32 vcc, 0, v23
	v_mov_b32_e32 v20, 0
	v_mov_b32_e32 v21, 0
	s_and_saveexec_b64 s[2:3], vcc
	s_cbranch_execz .LBB836_635
; %bb.630:
	s_movk_i32 s7, 0x80
	v_cmp_ne_u16_e32 vcc, s7, v23
	v_mov_b32_e32 v21, 0xffff8000
	s_and_saveexec_b64 s[8:9], vcc
	s_cbranch_execz .LBB836_634
; %bb.631:
	v_bfe_u32 v23, v7, 16, 7
	s_movk_i32 s7, 0x7f
	v_cmp_ne_u32_e32 vcc, s7, v23
	v_mov_b32_e32 v21, 0x7f80
	s_and_saveexec_b64 s[10:11], vcc
	s_cbranch_execz .LBB836_633
; %bb.632:
	v_and_b32_e32 v21, 7, v6
	v_ffbh_u32_e32 v24, v21
	v_min_u32_e32 v28, 32, v24
	v_subrev_u32_e32 v24, 28, v28
	v_lshlrev_b64 v[24:25], v24, v[6:7]
	v_lshrrev_b32_e32 v27, 3, v23
	v_sub_u32_e32 v6, 29, v28
	v_and_b32_e32 v24, 7, v24
	v_cmp_gt_u32_e32 vcc, 8, v23
	v_mov_b32_e32 v23, 24
	v_cndmask_b32_e32 v6, v27, v6, vcc
	v_cndmask_b32_e32 v21, v21, v24, vcc
	v_lshlrev_b32_sdwa v23, v23, v7 dst_sel:DWORD dst_unused:UNUSED_PAD src0_sel:DWORD src1_sel:WORD_1
	v_bfrev_b32_e32 v24, 60
	v_lshlrev_b32_e32 v21, 20, v21
	v_and_b32_e32 v23, 0x80000000, v23
	v_lshl_add_u32 v6, v6, 23, v24
	v_or3_b32 v6, v23, v6, v21
	v_lshrrev_b32_e32 v21, 16, v6
.LBB836_633:
	s_or_b64 exec, exec, s[10:11]
.LBB836_634:
	s_or_b64 exec, exec, s[8:9]
.LBB836_635:
	s_or_b64 exec, exec, s[2:3]
	s_mov_b32 s2, 0xffffff
	v_cmp_lt_u32_e32 vcc, s2, v7
	s_and_saveexec_b64 s[2:3], vcc
	s_cbranch_execz .LBB836_641
; %bb.636:
	v_lshrrev_b32_e32 v6, 24, v7
	s_movk_i32 s7, 0x80
	v_cmp_ne_u32_e32 vcc, s7, v6
	v_mov_b32_e32 v20, 0xffff8000
	s_and_saveexec_b64 s[8:9], vcc
	s_cbranch_execz .LBB836_640
; %bb.637:
	v_bfe_u32 v7, v7, 24, 7
	s_movk_i32 s7, 0x7f
	v_cmp_ne_u32_e32 vcc, s7, v7
	v_mov_b32_e32 v20, 0x7f80
	s_and_saveexec_b64 s[10:11], vcc
	s_cbranch_execz .LBB836_639
; %bb.638:
	v_and_b32_e32 v20, 7, v6
	v_ffbh_u32_e32 v24, v20
	v_min_u32_e32 v27, 32, v24
	v_subrev_u32_e32 v24, 28, v27
	v_lshlrev_b64 v[24:25], v24, v[6:7]
	v_lshrrev_b32_e32 v23, 3, v7
	v_sub_u32_e32 v25, 29, v27
	v_and_b32_e32 v24, 7, v24
	v_cmp_gt_u32_e32 vcc, 8, v7
	v_cndmask_b32_e32 v7, v23, v25, vcc
	v_cndmask_b32_e32 v20, v20, v24, vcc
	v_lshlrev_b32_e32 v6, 24, v6
	v_bfrev_b32_e32 v23, 60
	v_lshlrev_b32_e32 v20, 20, v20
	v_and_b32_e32 v6, 0x80000000, v6
	v_lshl_add_u32 v7, v7, 23, v23
	v_or3_b32 v6, v6, v7, v20
	v_lshrrev_b32_e32 v20, 16, v6
.LBB836_639:
	s_or_b64 exec, exec, s[10:11]
.LBB836_640:
	s_or_b64 exec, exec, s[8:9]
.LBB836_641:
	s_or_b64 exec, exec, s[2:3]
	s_mov_b32 s2, 0x5040100
	v_perm_b32 v7, v17, v18, s2
	v_perm_b32 v6, v15, v16, s2
	ds_read_b128 v[28:31], v22 offset:4096
	v_perm_b32 v17, v20, v21, s2
	v_perm_b32 v16, v14, v19, s2
	s_waitcnt lgkmcnt(0)
	v_mfma_f32_16x16x16bf16_1k v[10:13], v[6:7], v[28:29], v[10:13]
	v_mov_b32_e32 v7, 0
	v_cmp_ne_u16_sdwa s[8:9], v8, v7 src0_sel:BYTE_0 src1_sel:DWORD
	v_mov_b32_e32 v14, 0
	v_mfma_f32_16x16x16bf16_1k v[10:13], v[16:17], v[30:31], v[10:13]
	s_and_saveexec_b64 s[2:3], s[8:9]
	s_cbranch_execz .LBB836_647
; %bb.642:
	s_movk_i32 s7, 0x80
	v_cmp_ne_u16_sdwa s[10:11], v8, s7 src0_sel:BYTE_0 src1_sel:DWORD
	v_mov_b32_e32 v14, 0xffff8000
	s_and_saveexec_b64 s[8:9], s[10:11]
	s_cbranch_execz .LBB836_646
; %bb.643:
	s_movk_i32 s7, 0x7f
	v_and_b32_e32 v6, 0x7f, v8
	v_cmp_ne_u32_e32 vcc, s7, v6
	v_mov_b32_e32 v14, 0x7f80
	s_and_saveexec_b64 s[10:11], vcc
	s_cbranch_execz .LBB836_645
; %bb.644:
	v_and_b32_e32 v16, 7, v8
	v_ffbh_u32_e32 v14, v16
	v_min_u32_e32 v18, 32, v14
	v_subrev_u32_e32 v14, 28, v18
	v_lshlrev_b64 v[14:15], v14, v[8:9]
	v_lshrrev_b32_e32 v17, 3, v6
	v_sub_u32_e32 v15, 29, v18
	v_and_b32_e32 v14, 7, v14
	v_cmp_gt_u32_e32 vcc, 8, v6
	v_cndmask_b32_e32 v6, v17, v15, vcc
	v_cndmask_b32_e32 v14, v16, v14, vcc
	v_lshlrev_b32_e32 v15, 24, v8
	v_bfrev_b32_e32 v16, 60
	v_lshlrev_b32_e32 v14, 20, v14
	v_and_b32_e32 v15, 0x80000000, v15
	v_lshl_add_u32 v6, v6, 23, v16
	v_or3_b32 v6, v15, v6, v14
	v_lshrrev_b32_e32 v14, 16, v6
.LBB836_645:
	s_or_b64 exec, exec, s[10:11]
.LBB836_646:
	s_or_b64 exec, exec, s[8:9]
.LBB836_647:
	s_or_b64 exec, exec, s[2:3]
	v_lshrrev_b16_e32 v6, 8, v8
	v_cmp_ne_u16_e32 vcc, 0, v6
	s_and_saveexec_b64 s[2:3], vcc
	s_cbranch_execz .LBB836_653
; %bb.648:
	s_movk_i32 s7, 0x80
	v_cmp_ne_u16_e32 vcc, s7, v6
	v_mov_b32_e32 v7, 0xffff8000
	s_and_saveexec_b64 s[8:9], vcc
	s_cbranch_execz .LBB836_652
; %bb.649:
	s_movk_i32 s7, 0x7f
	v_and_b32_e32 v15, 0x7f, v6
	v_cmp_ne_u32_e32 vcc, s7, v15
	v_mov_b32_e32 v7, 0x7f80
	s_and_saveexec_b64 s[10:11], vcc
	s_cbranch_execz .LBB836_651
; %bb.650:
	v_and_b32_e32 v16, 7, v6
	v_ffbh_u32_e32 v7, v16
	v_min_u32_e32 v18, 32, v7
	v_subrev_u32_e32 v7, 28, v18
	v_lshlrev_b64 v[6:7], v7, v[6:7]
	v_lshrrev_b32_e32 v17, 3, v15
	v_sub_u32_e32 v7, 29, v18
	v_and_b32_e32 v6, 7, v6
	v_cmp_gt_u32_e32 vcc, 8, v15
	v_cndmask_b32_e32 v7, v17, v7, vcc
	v_cndmask_b32_e32 v6, v16, v6, vcc
	v_lshlrev_b32_e32 v15, 16, v8
	v_bfrev_b32_e32 v16, 60
	v_lshlrev_b32_e32 v6, 20, v6
	v_and_b32_e32 v15, 0x80000000, v15
	v_lshl_add_u32 v7, v7, 23, v16
	v_or3_b32 v6, v15, v7, v6
	v_lshrrev_b32_e32 v7, 16, v6
.LBB836_651:
	s_or_b64 exec, exec, s[10:11]
.LBB836_652:
	s_or_b64 exec, exec, s[8:9]
.LBB836_653:
	s_or_b64 exec, exec, s[2:3]
	s_movk_i32 s2, 0xff
	v_and_b32_sdwa v17, v8, s2 dst_sel:DWORD dst_unused:UNUSED_PAD src0_sel:WORD_1 src1_sel:DWORD
	v_lshrrev_b32_e32 v6, 16, v8
	v_cmp_ne_u16_e32 vcc, 0, v17
	v_mov_b32_e32 v15, 0
	v_mov_b32_e32 v16, 0
	s_and_saveexec_b64 s[2:3], vcc
	s_cbranch_execz .LBB836_659
; %bb.654:
	s_movk_i32 s7, 0x80
	v_cmp_ne_u16_e32 vcc, s7, v17
	v_mov_b32_e32 v16, 0xffff8000
	s_and_saveexec_b64 s[8:9], vcc
	s_cbranch_execz .LBB836_658
; %bb.655:
	v_bfe_u32 v17, v8, 16, 7
	s_movk_i32 s7, 0x7f
	v_cmp_ne_u32_e32 vcc, s7, v17
	v_mov_b32_e32 v16, 0x7f80
	s_and_saveexec_b64 s[10:11], vcc
	s_cbranch_execz .LBB836_657
; %bb.656:
	v_and_b32_e32 v16, 7, v6
	v_ffbh_u32_e32 v18, v16
	v_min_u32_e32 v21, 32, v18
	v_subrev_u32_e32 v18, 28, v21
	v_lshlrev_b64 v[18:19], v18, v[6:7]
	v_lshrrev_b32_e32 v20, 3, v17
	v_sub_u32_e32 v6, 29, v21
	v_and_b32_e32 v18, 7, v18
	v_cmp_gt_u32_e32 vcc, 8, v17
	v_mov_b32_e32 v17, 24
	v_cndmask_b32_e32 v6, v20, v6, vcc
	v_cndmask_b32_e32 v16, v16, v18, vcc
	v_lshlrev_b32_sdwa v17, v17, v8 dst_sel:DWORD dst_unused:UNUSED_PAD src0_sel:DWORD src1_sel:WORD_1
	v_bfrev_b32_e32 v18, 60
	v_lshlrev_b32_e32 v16, 20, v16
	v_and_b32_e32 v17, 0x80000000, v17
	v_lshl_add_u32 v6, v6, 23, v18
	v_or3_b32 v6, v17, v6, v16
	v_lshrrev_b32_e32 v16, 16, v6
.LBB836_657:
	s_or_b64 exec, exec, s[10:11]
.LBB836_658:
	s_or_b64 exec, exec, s[8:9]
.LBB836_659:
	s_or_b64 exec, exec, s[2:3]
	s_mov_b32 s2, 0xffffff
	v_cmp_lt_u32_e32 vcc, s2, v8
	s_and_saveexec_b64 s[2:3], vcc
	s_cbranch_execz .LBB836_665
; %bb.660:
	v_lshrrev_b32_e32 v6, 24, v8
	s_movk_i32 s7, 0x80
	v_cmp_ne_u32_e32 vcc, s7, v6
	v_mov_b32_e32 v15, 0xffff8000
	s_and_saveexec_b64 s[8:9], vcc
	s_cbranch_execz .LBB836_664
; %bb.661:
	v_bfe_u32 v8, v8, 24, 7
	s_movk_i32 s7, 0x7f
	v_cmp_ne_u32_e32 vcc, s7, v8
	v_mov_b32_e32 v15, 0x7f80
	s_and_saveexec_b64 s[10:11], vcc
	s_cbranch_execz .LBB836_663
; %bb.662:
	v_and_b32_e32 v15, 7, v6
	v_ffbh_u32_e32 v18, v15
	v_min_u32_e32 v20, 32, v18
	v_subrev_u32_e32 v18, 28, v20
	v_lshlrev_b64 v[18:19], v18, v[6:7]
	v_lshrrev_b32_e32 v17, 3, v8
	v_sub_u32_e32 v19, 29, v20
	v_and_b32_e32 v18, 7, v18
	v_cmp_gt_u32_e32 vcc, 8, v8
	v_cndmask_b32_e32 v8, v17, v19, vcc
	v_cndmask_b32_e32 v15, v15, v18, vcc
	v_lshlrev_b32_e32 v6, 24, v6
	v_bfrev_b32_e32 v17, 60
	v_lshlrev_b32_e32 v15, 20, v15
	v_and_b32_e32 v6, 0x80000000, v6
	v_lshl_add_u32 v8, v8, 23, v17
	v_or3_b32 v6, v6, v8, v15
	v_lshrrev_b32_e32 v15, 16, v6
.LBB836_663:
	s_or_b64 exec, exec, s[10:11]
.LBB836_664:
	s_or_b64 exec, exec, s[8:9]
.LBB836_665:
	s_or_b64 exec, exec, s[2:3]
	v_mov_b32_e32 v8, 0
	v_cmp_ne_u16_sdwa s[8:9], v9, v8 src0_sel:BYTE_0 src1_sel:DWORD
	v_mov_b32_e32 v17, 0
	s_and_saveexec_b64 s[2:3], s[8:9]
	s_cbranch_execz .LBB836_671
; %bb.666:
	s_movk_i32 s7, 0x80
	v_cmp_ne_u16_sdwa s[10:11], v9, s7 src0_sel:BYTE_0 src1_sel:DWORD
	v_mov_b32_e32 v17, 0xffff8000
	s_and_saveexec_b64 s[8:9], s[10:11]
	s_cbranch_execz .LBB836_670
; %bb.667:
	s_movk_i32 s7, 0x7f
	v_and_b32_e32 v6, 0x7f, v9
	v_cmp_ne_u32_e32 vcc, s7, v6
	v_mov_b32_e32 v17, 0x7f80
	s_and_saveexec_b64 s[10:11], vcc
	s_cbranch_execz .LBB836_669
; %bb.668:
	v_and_b32_e32 v17, 7, v9
	v_ffbh_u32_e32 v19, v17
	v_min_u32_e32 v21, 32, v19
	v_mov_b32_e32 v18, v9
	v_subrev_u32_e32 v19, 28, v21
	v_lshlrev_b64 v[18:19], v19, v[18:19]
	v_lshrrev_b32_e32 v20, 3, v6
	v_sub_u32_e32 v19, 29, v21
	v_and_b32_e32 v18, 7, v18
	v_cmp_gt_u32_e32 vcc, 8, v6
	v_cndmask_b32_e32 v6, v20, v19, vcc
	v_cndmask_b32_e32 v17, v17, v18, vcc
	v_lshlrev_b32_e32 v18, 24, v9
	v_bfrev_b32_e32 v19, 60
	v_lshlrev_b32_e32 v17, 20, v17
	v_and_b32_e32 v18, 0x80000000, v18
	v_lshl_add_u32 v6, v6, 23, v19
	v_or3_b32 v6, v18, v6, v17
	v_lshrrev_b32_e32 v17, 16, v6
.LBB836_669:
	s_or_b64 exec, exec, s[10:11]
.LBB836_670:
	s_or_b64 exec, exec, s[8:9]
.LBB836_671:
	s_or_b64 exec, exec, s[2:3]
	v_lshrrev_b16_e32 v6, 8, v9
	v_cmp_ne_u16_e32 vcc, 0, v6
	s_and_saveexec_b64 s[2:3], vcc
	s_cbranch_execz .LBB836_677
; %bb.672:
	s_movk_i32 s7, 0x80
	v_cmp_ne_u16_e32 vcc, s7, v6
	v_mov_b32_e32 v8, 0xffff8000
	s_and_saveexec_b64 s[8:9], vcc
	s_cbranch_execz .LBB836_676
; %bb.673:
	s_movk_i32 s7, 0x7f
	v_and_b32_e32 v18, 0x7f, v6
	v_cmp_ne_u32_e32 vcc, s7, v18
	v_mov_b32_e32 v8, 0x7f80
	s_and_saveexec_b64 s[10:11], vcc
	s_cbranch_execz .LBB836_675
; %bb.674:
	v_and_b32_e32 v8, 7, v6
	v_ffbh_u32_e32 v20, v8
	v_min_u32_e32 v23, 32, v20
	v_subrev_u32_e32 v20, 28, v23
	v_lshlrev_b64 v[20:21], v20, v[6:7]
	v_lshrrev_b32_e32 v19, 3, v18
	v_sub_u32_e32 v6, 29, v23
	v_and_b32_e32 v20, 7, v20
	v_cmp_gt_u32_e32 vcc, 8, v18
	v_cndmask_b32_e32 v6, v19, v6, vcc
	v_cndmask_b32_e32 v8, v8, v20, vcc
	v_lshlrev_b32_e32 v18, 16, v9
	v_bfrev_b32_e32 v19, 60
	v_lshlrev_b32_e32 v8, 20, v8
	v_and_b32_e32 v18, 0x80000000, v18
	v_lshl_add_u32 v6, v6, 23, v19
	v_or3_b32 v6, v18, v6, v8
	v_lshrrev_b32_e32 v8, 16, v6
.LBB836_675:
	s_or_b64 exec, exec, s[10:11]
.LBB836_676:
	s_or_b64 exec, exec, s[8:9]
.LBB836_677:
	s_or_b64 exec, exec, s[2:3]
	s_movk_i32 s2, 0xff
	v_and_b32_sdwa v20, v9, s2 dst_sel:DWORD dst_unused:UNUSED_PAD src0_sel:WORD_1 src1_sel:DWORD
	v_lshrrev_b32_e32 v6, 16, v9
	v_cmp_ne_u16_e32 vcc, 0, v20
	v_mov_b32_e32 v18, 0
	v_mov_b32_e32 v19, 0
	s_and_saveexec_b64 s[2:3], vcc
	s_cbranch_execz .LBB836_683
; %bb.678:
	s_movk_i32 s7, 0x80
	v_cmp_ne_u16_e32 vcc, s7, v20
	v_mov_b32_e32 v19, 0xffff8000
	s_and_saveexec_b64 s[8:9], vcc
	s_cbranch_execz .LBB836_682
; %bb.679:
	v_bfe_u32 v20, v9, 16, 7
	s_movk_i32 s7, 0x7f
	v_cmp_ne_u32_e32 vcc, s7, v20
	v_mov_b32_e32 v19, 0x7f80
	s_and_saveexec_b64 s[10:11], vcc
	s_cbranch_execz .LBB836_681
; %bb.680:
	v_and_b32_e32 v19, 7, v6
	v_ffbh_u32_e32 v23, v19
	v_min_u32_e32 v23, 32, v23
	v_subrev_u32_e32 v24, 28, v23
	v_lshlrev_b64 v[24:25], v24, v[6:7]
	v_lshrrev_b32_e32 v21, 3, v20
	v_sub_u32_e32 v6, 29, v23
	v_and_b32_e32 v23, 7, v24
	v_cmp_gt_u32_e32 vcc, 8, v20
	v_mov_b32_e32 v20, 24
	v_cndmask_b32_e32 v6, v21, v6, vcc
	v_cndmask_b32_e32 v19, v19, v23, vcc
	v_lshlrev_b32_sdwa v20, v20, v9 dst_sel:DWORD dst_unused:UNUSED_PAD src0_sel:DWORD src1_sel:WORD_1
	v_bfrev_b32_e32 v21, 60
	v_lshlrev_b32_e32 v19, 20, v19
	v_and_b32_e32 v20, 0x80000000, v20
	v_lshl_add_u32 v6, v6, 23, v21
	v_or3_b32 v6, v20, v6, v19
	v_lshrrev_b32_e32 v19, 16, v6
.LBB836_681:
	s_or_b64 exec, exec, s[10:11]
.LBB836_682:
	s_or_b64 exec, exec, s[8:9]
.LBB836_683:
	s_or_b64 exec, exec, s[2:3]
	s_mov_b32 s2, 0xffffff
	v_cmp_lt_u32_e32 vcc, s2, v9
	s_and_saveexec_b64 s[2:3], vcc
	s_cbranch_execz .LBB836_689
; %bb.684:
	v_lshrrev_b32_e32 v6, 24, v9
	s_movk_i32 s7, 0x80
	v_cmp_ne_u32_e32 vcc, s7, v6
	v_mov_b32_e32 v18, 0xffff8000
	s_and_saveexec_b64 s[8:9], vcc
	s_cbranch_execz .LBB836_688
; %bb.685:
	v_bfe_u32 v9, v9, 24, 7
	s_movk_i32 s7, 0x7f
	v_cmp_ne_u32_e32 vcc, s7, v9
	v_mov_b32_e32 v18, 0x7f80
	s_and_saveexec_b64 s[10:11], vcc
	s_cbranch_execz .LBB836_687
; %bb.686:
	v_and_b32_e32 v18, 7, v6
	v_ffbh_u32_e32 v20, v18
	v_min_u32_e32 v24, 32, v20
	v_subrev_u32_e32 v20, 28, v24
	v_lshlrev_b64 v[20:21], v20, v[6:7]
	v_lshrrev_b32_e32 v23, 3, v9
	v_sub_u32_e32 v21, 29, v24
	v_and_b32_e32 v20, 7, v20
	v_cmp_gt_u32_e32 vcc, 8, v9
	v_cndmask_b32_e32 v9, v23, v21, vcc
	v_cndmask_b32_e32 v18, v18, v20, vcc
	v_lshlrev_b32_e32 v6, 24, v6
	v_bfrev_b32_e32 v20, 60
	v_lshlrev_b32_e32 v18, 20, v18
	v_and_b32_e32 v6, 0x80000000, v6
	v_lshl_add_u32 v9, v9, 23, v20
	v_or3_b32 v6, v6, v9, v18
	v_lshrrev_b32_e32 v18, 16, v6
.LBB836_687:
	s_or_b64 exec, exec, s[10:11]
.LBB836_688:
	s_or_b64 exec, exec, s[8:9]
.LBB836_689:
	s_or_b64 exec, exec, s[2:3]
	s_mov_b32 s2, 0x5040100
	v_perm_b32 v15, v15, v16, s2
	v_perm_b32 v14, v7, v14, s2
	ds_read_b128 v[28:31], v22 offset:4112
	v_perm_b32 v7, v18, v19, s2
	v_perm_b32 v6, v8, v17, s2
	s_waitcnt lgkmcnt(0)
	v_mfma_f32_16x16x16bf16_1k v[32:35], v[14:15], v[28:29], v[10:13]
	s_nop 6
	v_mov_b32_e32 v11, 0
	s_waitcnt vmcnt(0)
	v_cmp_ne_u16_sdwa s[8:9], v2, v11 src0_sel:BYTE_0 src1_sel:DWORD
	v_mfma_f32_16x16x16bf16_1k v[6:9], v[6:7], v[30:31], v[32:35]
	v_mov_b32_e32 v12, 0
	s_and_saveexec_b64 s[2:3], s[8:9]
	s_cbranch_execz .LBB836_695
; %bb.690:
	s_movk_i32 s7, 0x80
	v_cmp_ne_u16_sdwa s[10:11], v2, s7 src0_sel:BYTE_0 src1_sel:DWORD
	v_mov_b32_e32 v12, 0xffff8000
	s_and_saveexec_b64 s[8:9], s[10:11]
	s_cbranch_execz .LBB836_694
; %bb.691:
	s_movk_i32 s7, 0x7f
	v_and_b32_e32 v10, 0x7f, v2
	v_cmp_ne_u32_e32 vcc, s7, v10
	v_mov_b32_e32 v12, 0x7f80
	s_and_saveexec_b64 s[10:11], vcc
	s_cbranch_execz .LBB836_693
; %bb.692:
	v_and_b32_e32 v14, 7, v2
	v_ffbh_u32_e32 v12, v14
	v_min_u32_e32 v16, 32, v12
	v_subrev_u32_e32 v12, 28, v16
	v_lshlrev_b64 v[12:13], v12, v[2:3]
	v_lshrrev_b32_e32 v15, 3, v10
	v_sub_u32_e32 v13, 29, v16
	v_and_b32_e32 v12, 7, v12
	v_cmp_gt_u32_e32 vcc, 8, v10
	v_cndmask_b32_e32 v10, v15, v13, vcc
	v_cndmask_b32_e32 v12, v14, v12, vcc
	v_lshlrev_b32_e32 v13, 24, v2
	v_bfrev_b32_e32 v14, 60
	v_lshlrev_b32_e32 v12, 20, v12
	v_and_b32_e32 v13, 0x80000000, v13
	v_lshl_add_u32 v10, v10, 23, v14
	v_or3_b32 v10, v13, v10, v12
	v_lshrrev_b32_e32 v12, 16, v10
.LBB836_693:
	s_or_b64 exec, exec, s[10:11]
.LBB836_694:
	s_or_b64 exec, exec, s[8:9]
.LBB836_695:
	s_or_b64 exec, exec, s[2:3]
	v_lshrrev_b16_e32 v10, 8, v2
	v_cmp_ne_u16_e32 vcc, 0, v10
	s_and_saveexec_b64 s[2:3], vcc
	s_cbranch_execz .LBB836_701
; %bb.696:
	s_movk_i32 s7, 0x80
	v_cmp_ne_u16_e32 vcc, s7, v10
	v_mov_b32_e32 v11, 0xffff8000
	s_and_saveexec_b64 s[8:9], vcc
	s_cbranch_execz .LBB836_700
; %bb.697:
	s_movk_i32 s7, 0x7f
	v_and_b32_e32 v13, 0x7f, v10
	v_cmp_ne_u32_e32 vcc, s7, v13
	v_mov_b32_e32 v11, 0x7f80
	s_and_saveexec_b64 s[10:11], vcc
	s_cbranch_execz .LBB836_699
; %bb.698:
	v_and_b32_e32 v14, 7, v10
	v_ffbh_u32_e32 v11, v14
	v_min_u32_e32 v16, 32, v11
	v_subrev_u32_e32 v11, 28, v16
	v_lshlrev_b64 v[10:11], v11, v[10:11]
	v_lshrrev_b32_e32 v15, 3, v13
	v_sub_u32_e32 v11, 29, v16
	v_and_b32_e32 v10, 7, v10
	v_cmp_gt_u32_e32 vcc, 8, v13
	v_cndmask_b32_e32 v11, v15, v11, vcc
	v_cndmask_b32_e32 v10, v14, v10, vcc
	v_lshlrev_b32_e32 v13, 16, v2
	v_bfrev_b32_e32 v14, 60
	v_lshlrev_b32_e32 v10, 20, v10
	v_and_b32_e32 v13, 0x80000000, v13
	v_lshl_add_u32 v11, v11, 23, v14
	v_or3_b32 v10, v13, v11, v10
	v_lshrrev_b32_e32 v11, 16, v10
.LBB836_699:
	s_or_b64 exec, exec, s[10:11]
.LBB836_700:
	s_or_b64 exec, exec, s[8:9]
.LBB836_701:
	s_or_b64 exec, exec, s[2:3]
	s_movk_i32 s2, 0xff
	v_and_b32_sdwa v15, v2, s2 dst_sel:DWORD dst_unused:UNUSED_PAD src0_sel:WORD_1 src1_sel:DWORD
	v_lshrrev_b32_e32 v10, 16, v2
	v_cmp_ne_u16_e32 vcc, 0, v15
	v_mov_b32_e32 v13, 0
	v_mov_b32_e32 v14, 0
	s_and_saveexec_b64 s[2:3], vcc
	s_cbranch_execz .LBB836_707
; %bb.702:
	s_movk_i32 s7, 0x80
	v_cmp_ne_u16_e32 vcc, s7, v15
	v_mov_b32_e32 v14, 0xffff8000
	s_and_saveexec_b64 s[8:9], vcc
	s_cbranch_execz .LBB836_706
; %bb.703:
	v_bfe_u32 v15, v2, 16, 7
	s_movk_i32 s7, 0x7f
	v_cmp_ne_u32_e32 vcc, s7, v15
	v_mov_b32_e32 v14, 0x7f80
	s_and_saveexec_b64 s[10:11], vcc
	s_cbranch_execz .LBB836_705
; %bb.704:
	v_and_b32_e32 v14, 7, v10
	v_ffbh_u32_e32 v16, v14
	v_min_u32_e32 v19, 32, v16
	v_subrev_u32_e32 v16, 28, v19
	v_lshlrev_b64 v[16:17], v16, v[10:11]
	v_lshrrev_b32_e32 v18, 3, v15
	v_sub_u32_e32 v10, 29, v19
	v_and_b32_e32 v16, 7, v16
	v_cmp_gt_u32_e32 vcc, 8, v15
	v_mov_b32_e32 v15, 24
	v_cndmask_b32_e32 v10, v18, v10, vcc
	v_cndmask_b32_e32 v14, v14, v16, vcc
	v_lshlrev_b32_sdwa v15, v15, v2 dst_sel:DWORD dst_unused:UNUSED_PAD src0_sel:DWORD src1_sel:WORD_1
	v_bfrev_b32_e32 v16, 60
	v_lshlrev_b32_e32 v14, 20, v14
	v_and_b32_e32 v15, 0x80000000, v15
	v_lshl_add_u32 v10, v10, 23, v16
	v_or3_b32 v10, v15, v10, v14
	v_lshrrev_b32_e32 v14, 16, v10
.LBB836_705:
	s_or_b64 exec, exec, s[10:11]
.LBB836_706:
	s_or_b64 exec, exec, s[8:9]
.LBB836_707:
	s_or_b64 exec, exec, s[2:3]
	s_mov_b32 s2, 0xffffff
	v_cmp_lt_u32_e32 vcc, s2, v2
	s_and_saveexec_b64 s[2:3], vcc
	s_cbranch_execz .LBB836_713
; %bb.708:
	v_lshrrev_b32_e32 v10, 24, v2
	s_movk_i32 s7, 0x80
	v_cmp_ne_u32_e32 vcc, s7, v10
	v_mov_b32_e32 v13, 0xffff8000
	s_and_saveexec_b64 s[8:9], vcc
	s_cbranch_execz .LBB836_712
; %bb.709:
	v_bfe_u32 v2, v2, 24, 7
	s_movk_i32 s7, 0x7f
	v_cmp_ne_u32_e32 vcc, s7, v2
	v_mov_b32_e32 v13, 0x7f80
	s_and_saveexec_b64 s[10:11], vcc
	s_cbranch_execz .LBB836_711
; %bb.710:
	v_and_b32_e32 v13, 7, v10
	v_ffbh_u32_e32 v16, v13
	v_min_u32_e32 v18, 32, v16
	v_subrev_u32_e32 v16, 28, v18
	v_lshlrev_b64 v[16:17], v16, v[10:11]
	v_lshrrev_b32_e32 v15, 3, v2
	v_sub_u32_e32 v17, 29, v18
	v_and_b32_e32 v16, 7, v16
	v_cmp_gt_u32_e32 vcc, 8, v2
	v_cndmask_b32_e32 v2, v15, v17, vcc
	v_cndmask_b32_e32 v13, v13, v16, vcc
	v_lshlrev_b32_e32 v10, 24, v10
	v_bfrev_b32_e32 v15, 60
	v_lshlrev_b32_e32 v13, 20, v13
	v_and_b32_e32 v10, 0x80000000, v10
	v_lshl_add_u32 v2, v2, 23, v15
	v_or3_b32 v2, v10, v2, v13
	v_lshrrev_b32_e32 v13, 16, v2
.LBB836_711:
	s_or_b64 exec, exec, s[10:11]
.LBB836_712:
	s_or_b64 exec, exec, s[8:9]
.LBB836_713:
	s_or_b64 exec, exec, s[2:3]
	v_mov_b32_e32 v10, 0
	v_cmp_ne_u16_sdwa s[8:9], v3, v10 src0_sel:BYTE_0 src1_sel:DWORD
	v_mov_b32_e32 v15, 0
	s_and_saveexec_b64 s[2:3], s[8:9]
	s_cbranch_execz .LBB836_719
; %bb.714:
	s_movk_i32 s7, 0x80
	v_cmp_ne_u16_sdwa s[10:11], v3, s7 src0_sel:BYTE_0 src1_sel:DWORD
	v_mov_b32_e32 v15, 0xffff8000
	s_and_saveexec_b64 s[8:9], s[10:11]
	s_cbranch_execz .LBB836_718
; %bb.715:
	s_movk_i32 s7, 0x7f
	v_and_b32_e32 v2, 0x7f, v3
	v_cmp_ne_u32_e32 vcc, s7, v2
	v_mov_b32_e32 v15, 0x7f80
	s_and_saveexec_b64 s[10:11], vcc
	s_cbranch_execz .LBB836_717
; %bb.716:
	v_and_b32_e32 v15, 7, v3
	v_ffbh_u32_e32 v17, v15
	v_min_u32_e32 v19, 32, v17
	v_mov_b32_e32 v16, v3
	v_subrev_u32_e32 v17, 28, v19
	v_lshlrev_b64 v[16:17], v17, v[16:17]
	v_lshrrev_b32_e32 v18, 3, v2
	v_sub_u32_e32 v17, 29, v19
	v_and_b32_e32 v16, 7, v16
	v_cmp_gt_u32_e32 vcc, 8, v2
	v_cndmask_b32_e32 v2, v18, v17, vcc
	v_cndmask_b32_e32 v15, v15, v16, vcc
	v_lshlrev_b32_e32 v16, 24, v3
	v_bfrev_b32_e32 v17, 60
	v_lshlrev_b32_e32 v15, 20, v15
	v_and_b32_e32 v16, 0x80000000, v16
	v_lshl_add_u32 v2, v2, 23, v17
	v_or3_b32 v2, v16, v2, v15
	v_lshrrev_b32_e32 v15, 16, v2
.LBB836_717:
	s_or_b64 exec, exec, s[10:11]
.LBB836_718:
	s_or_b64 exec, exec, s[8:9]
.LBB836_719:
	s_or_b64 exec, exec, s[2:3]
	v_lshrrev_b16_e32 v2, 8, v3
	v_cmp_ne_u16_e32 vcc, 0, v2
	s_and_saveexec_b64 s[2:3], vcc
	s_cbranch_execz .LBB836_725
; %bb.720:
	s_movk_i32 s7, 0x80
	v_cmp_ne_u16_e32 vcc, s7, v2
	v_mov_b32_e32 v10, 0xffff8000
	s_and_saveexec_b64 s[8:9], vcc
	s_cbranch_execz .LBB836_724
; %bb.721:
	s_movk_i32 s7, 0x7f
	v_and_b32_e32 v16, 0x7f, v2
	v_cmp_ne_u32_e32 vcc, s7, v16
	v_mov_b32_e32 v10, 0x7f80
	s_and_saveexec_b64 s[10:11], vcc
	s_cbranch_execz .LBB836_723
; %bb.722:
	v_and_b32_e32 v10, 7, v2
	v_ffbh_u32_e32 v18, v10
	v_min_u32_e32 v20, 32, v18
	v_subrev_u32_e32 v18, 28, v20
	v_lshlrev_b64 v[18:19], v18, v[2:3]
	v_lshrrev_b32_e32 v17, 3, v16
	v_sub_u32_e32 v2, 29, v20
	v_and_b32_e32 v18, 7, v18
	v_cmp_gt_u32_e32 vcc, 8, v16
	v_cndmask_b32_e32 v2, v17, v2, vcc
	v_cndmask_b32_e32 v10, v10, v18, vcc
	v_lshlrev_b32_e32 v16, 16, v3
	v_bfrev_b32_e32 v17, 60
	v_lshlrev_b32_e32 v10, 20, v10
	v_and_b32_e32 v16, 0x80000000, v16
	v_lshl_add_u32 v2, v2, 23, v17
	v_or3_b32 v2, v16, v2, v10
	v_lshrrev_b32_e32 v10, 16, v2
.LBB836_723:
	s_or_b64 exec, exec, s[10:11]
.LBB836_724:
	s_or_b64 exec, exec, s[8:9]
.LBB836_725:
	s_or_b64 exec, exec, s[2:3]
	s_movk_i32 s2, 0xff
	v_and_b32_sdwa v18, v3, s2 dst_sel:DWORD dst_unused:UNUSED_PAD src0_sel:WORD_1 src1_sel:DWORD
	v_lshrrev_b32_e32 v2, 16, v3
	v_cmp_ne_u16_e32 vcc, 0, v18
	v_mov_b32_e32 v16, 0
	v_mov_b32_e32 v17, 0
	s_and_saveexec_b64 s[2:3], vcc
	s_cbranch_execz .LBB836_731
; %bb.726:
	s_movk_i32 s7, 0x80
	v_cmp_ne_u16_e32 vcc, s7, v18
	v_mov_b32_e32 v17, 0xffff8000
	s_and_saveexec_b64 s[8:9], vcc
	s_cbranch_execz .LBB836_730
; %bb.727:
	v_bfe_u32 v18, v3, 16, 7
	s_movk_i32 s7, 0x7f
	v_cmp_ne_u32_e32 vcc, s7, v18
	v_mov_b32_e32 v17, 0x7f80
	s_and_saveexec_b64 s[10:11], vcc
	s_cbranch_execz .LBB836_729
; %bb.728:
	v_and_b32_e32 v17, 7, v2
	v_ffbh_u32_e32 v20, v17
	v_min_u32_e32 v23, 32, v20
	v_subrev_u32_e32 v20, 28, v23
	v_lshlrev_b64 v[20:21], v20, v[2:3]
	v_lshrrev_b32_e32 v19, 3, v18
	v_sub_u32_e32 v2, 29, v23
	v_and_b32_e32 v20, 7, v20
	v_cmp_gt_u32_e32 vcc, 8, v18
	v_mov_b32_e32 v18, 24
	v_cndmask_b32_e32 v2, v19, v2, vcc
	v_cndmask_b32_e32 v17, v17, v20, vcc
	v_lshlrev_b32_sdwa v18, v18, v3 dst_sel:DWORD dst_unused:UNUSED_PAD src0_sel:DWORD src1_sel:WORD_1
	v_bfrev_b32_e32 v19, 60
	v_lshlrev_b32_e32 v17, 20, v17
	v_and_b32_e32 v18, 0x80000000, v18
	v_lshl_add_u32 v2, v2, 23, v19
	v_or3_b32 v2, v18, v2, v17
	v_lshrrev_b32_e32 v17, 16, v2
.LBB836_729:
	s_or_b64 exec, exec, s[10:11]
.LBB836_730:
	s_or_b64 exec, exec, s[8:9]
.LBB836_731:
	s_or_b64 exec, exec, s[2:3]
	s_mov_b32 s2, 0xffffff
	v_cmp_lt_u32_e32 vcc, s2, v3
	s_and_saveexec_b64 s[2:3], vcc
	s_cbranch_execz .LBB836_737
; %bb.732:
	v_lshrrev_b32_e32 v2, 24, v3
	s_movk_i32 s7, 0x80
	v_cmp_ne_u32_e32 vcc, s7, v2
	v_mov_b32_e32 v16, 0xffff8000
	s_and_saveexec_b64 s[8:9], vcc
	s_cbranch_execz .LBB836_736
; %bb.733:
	v_bfe_u32 v3, v3, 24, 7
	s_movk_i32 s7, 0x7f
	v_cmp_ne_u32_e32 vcc, s7, v3
	v_mov_b32_e32 v16, 0x7f80
	s_and_saveexec_b64 s[10:11], vcc
	s_cbranch_execz .LBB836_735
; %bb.734:
	v_and_b32_e32 v16, 7, v2
	v_ffbh_u32_e32 v18, v16
	v_min_u32_e32 v21, 32, v18
	v_subrev_u32_e32 v18, 28, v21
	v_lshlrev_b64 v[18:19], v18, v[2:3]
	v_lshrrev_b32_e32 v20, 3, v3
	v_sub_u32_e32 v19, 29, v21
	v_and_b32_e32 v18, 7, v18
	v_cmp_gt_u32_e32 vcc, 8, v3
	v_cndmask_b32_e32 v3, v20, v19, vcc
	v_cndmask_b32_e32 v16, v16, v18, vcc
	v_lshlrev_b32_e32 v2, 24, v2
	v_bfrev_b32_e32 v18, 60
	v_lshlrev_b32_e32 v16, 20, v16
	v_and_b32_e32 v2, 0x80000000, v2
	v_lshl_add_u32 v3, v3, 23, v18
	v_or3_b32 v2, v2, v3, v16
	v_lshrrev_b32_e32 v16, 16, v2
.LBB836_735:
	s_or_b64 exec, exec, s[10:11]
.LBB836_736:
	s_or_b64 exec, exec, s[8:9]
.LBB836_737:
	s_or_b64 exec, exec, s[2:3]
	s_mov_b32 s2, 0x5040100
	v_perm_b32 v3, v13, v14, s2
	v_perm_b32 v2, v11, v12, s2
	ds_read_b128 v[18:21], v22 offset:6144
	v_perm_b32 v13, v16, v17, s2
	v_perm_b32 v12, v10, v15, s2
	s_waitcnt lgkmcnt(0)
	v_mfma_f32_16x16x16bf16_1k v[6:9], v[2:3], v[18:19], v[6:9]
	v_mov_b32_e32 v3, 0
	v_cmp_ne_u16_sdwa s[8:9], v4, v3 src0_sel:BYTE_0 src1_sel:DWORD
	v_mov_b32_e32 v10, 0
	v_mfma_f32_16x16x16bf16_1k v[6:9], v[12:13], v[20:21], v[6:9]
	s_and_saveexec_b64 s[2:3], s[8:9]
	s_cbranch_execz .LBB836_743
; %bb.738:
	s_movk_i32 s7, 0x80
	v_cmp_ne_u16_sdwa s[10:11], v4, s7 src0_sel:BYTE_0 src1_sel:DWORD
	v_mov_b32_e32 v10, 0xffff8000
	s_and_saveexec_b64 s[8:9], s[10:11]
	s_cbranch_execz .LBB836_742
; %bb.739:
	s_movk_i32 s7, 0x7f
	v_and_b32_e32 v2, 0x7f, v4
	v_cmp_ne_u32_e32 vcc, s7, v2
	v_mov_b32_e32 v10, 0x7f80
	s_and_saveexec_b64 s[10:11], vcc
	s_cbranch_execz .LBB836_741
; %bb.740:
	v_and_b32_e32 v12, 7, v4
	v_ffbh_u32_e32 v10, v12
	v_min_u32_e32 v14, 32, v10
	v_subrev_u32_e32 v10, 28, v14
	v_lshlrev_b64 v[10:11], v10, v[4:5]
	v_lshrrev_b32_e32 v13, 3, v2
	v_sub_u32_e32 v11, 29, v14
	v_and_b32_e32 v10, 7, v10
	v_cmp_gt_u32_e32 vcc, 8, v2
	v_cndmask_b32_e32 v2, v13, v11, vcc
	v_cndmask_b32_e32 v10, v12, v10, vcc
	v_lshlrev_b32_e32 v11, 24, v4
	v_bfrev_b32_e32 v12, 60
	v_lshlrev_b32_e32 v10, 20, v10
	v_and_b32_e32 v11, 0x80000000, v11
	v_lshl_add_u32 v2, v2, 23, v12
	v_or3_b32 v2, v11, v2, v10
	v_lshrrev_b32_e32 v10, 16, v2
.LBB836_741:
	s_or_b64 exec, exec, s[10:11]
.LBB836_742:
	s_or_b64 exec, exec, s[8:9]
.LBB836_743:
	s_or_b64 exec, exec, s[2:3]
	v_lshrrev_b16_e32 v2, 8, v4
	v_cmp_ne_u16_e32 vcc, 0, v2
	s_and_saveexec_b64 s[2:3], vcc
	s_cbranch_execz .LBB836_749
; %bb.744:
	s_movk_i32 s7, 0x80
	v_cmp_ne_u16_e32 vcc, s7, v2
	v_mov_b32_e32 v3, 0xffff8000
	s_and_saveexec_b64 s[8:9], vcc
	s_cbranch_execz .LBB836_748
; %bb.745:
	s_movk_i32 s7, 0x7f
	v_and_b32_e32 v11, 0x7f, v2
	v_cmp_ne_u32_e32 vcc, s7, v11
	v_mov_b32_e32 v3, 0x7f80
	s_and_saveexec_b64 s[10:11], vcc
	s_cbranch_execz .LBB836_747
; %bb.746:
	v_and_b32_e32 v12, 7, v2
	v_ffbh_u32_e32 v3, v12
	v_min_u32_e32 v14, 32, v3
	v_subrev_u32_e32 v3, 28, v14
	v_lshlrev_b64 v[2:3], v3, v[2:3]
	v_lshrrev_b32_e32 v13, 3, v11
	v_sub_u32_e32 v3, 29, v14
	v_and_b32_e32 v2, 7, v2
	v_cmp_gt_u32_e32 vcc, 8, v11
	v_cndmask_b32_e32 v3, v13, v3, vcc
	v_cndmask_b32_e32 v2, v12, v2, vcc
	v_lshlrev_b32_e32 v11, 16, v4
	v_bfrev_b32_e32 v12, 60
	v_lshlrev_b32_e32 v2, 20, v2
	v_and_b32_e32 v11, 0x80000000, v11
	v_lshl_add_u32 v3, v3, 23, v12
	v_or3_b32 v2, v11, v3, v2
	v_lshrrev_b32_e32 v3, 16, v2
.LBB836_747:
	s_or_b64 exec, exec, s[10:11]
.LBB836_748:
	s_or_b64 exec, exec, s[8:9]
.LBB836_749:
	s_or_b64 exec, exec, s[2:3]
	s_movk_i32 s2, 0xff
	v_and_b32_sdwa v13, v4, s2 dst_sel:DWORD dst_unused:UNUSED_PAD src0_sel:WORD_1 src1_sel:DWORD
	v_lshrrev_b32_e32 v2, 16, v4
	v_cmp_ne_u16_e32 vcc, 0, v13
	v_mov_b32_e32 v11, 0
	v_mov_b32_e32 v12, 0
	s_and_saveexec_b64 s[2:3], vcc
	s_cbranch_execz .LBB836_755
; %bb.750:
	s_movk_i32 s7, 0x80
	v_cmp_ne_u16_e32 vcc, s7, v13
	v_mov_b32_e32 v12, 0xffff8000
	s_and_saveexec_b64 s[8:9], vcc
	s_cbranch_execz .LBB836_754
; %bb.751:
	v_bfe_u32 v13, v4, 16, 7
	s_movk_i32 s7, 0x7f
	v_cmp_ne_u32_e32 vcc, s7, v13
	v_mov_b32_e32 v12, 0x7f80
	s_and_saveexec_b64 s[10:11], vcc
	s_cbranch_execz .LBB836_753
; %bb.752:
	v_and_b32_e32 v12, 7, v2
	v_ffbh_u32_e32 v14, v12
	v_min_u32_e32 v17, 32, v14
	v_subrev_u32_e32 v14, 28, v17
	v_lshlrev_b64 v[14:15], v14, v[2:3]
	v_lshrrev_b32_e32 v16, 3, v13
	v_sub_u32_e32 v2, 29, v17
	v_and_b32_e32 v14, 7, v14
	v_cmp_gt_u32_e32 vcc, 8, v13
	v_mov_b32_e32 v13, 24
	v_cndmask_b32_e32 v2, v16, v2, vcc
	v_cndmask_b32_e32 v12, v12, v14, vcc
	v_lshlrev_b32_sdwa v13, v13, v4 dst_sel:DWORD dst_unused:UNUSED_PAD src0_sel:DWORD src1_sel:WORD_1
	v_bfrev_b32_e32 v14, 60
	v_lshlrev_b32_e32 v12, 20, v12
	v_and_b32_e32 v13, 0x80000000, v13
	v_lshl_add_u32 v2, v2, 23, v14
	v_or3_b32 v2, v13, v2, v12
	v_lshrrev_b32_e32 v12, 16, v2
.LBB836_753:
	s_or_b64 exec, exec, s[10:11]
.LBB836_754:
	s_or_b64 exec, exec, s[8:9]
.LBB836_755:
	s_or_b64 exec, exec, s[2:3]
	s_mov_b32 s2, 0xffffff
	v_cmp_lt_u32_e32 vcc, s2, v4
	s_and_saveexec_b64 s[2:3], vcc
	s_cbranch_execz .LBB836_761
; %bb.756:
	v_lshrrev_b32_e32 v2, 24, v4
	s_movk_i32 s7, 0x80
	v_cmp_ne_u32_e32 vcc, s7, v2
	v_mov_b32_e32 v11, 0xffff8000
	s_and_saveexec_b64 s[8:9], vcc
	s_cbranch_execz .LBB836_760
; %bb.757:
	v_bfe_u32 v4, v4, 24, 7
	s_movk_i32 s7, 0x7f
	v_cmp_ne_u32_e32 vcc, s7, v4
	v_mov_b32_e32 v11, 0x7f80
	s_and_saveexec_b64 s[10:11], vcc
	s_cbranch_execz .LBB836_759
; %bb.758:
	v_and_b32_e32 v11, 7, v2
	v_ffbh_u32_e32 v14, v11
	v_min_u32_e32 v16, 32, v14
	v_subrev_u32_e32 v14, 28, v16
	v_lshlrev_b64 v[14:15], v14, v[2:3]
	v_lshrrev_b32_e32 v13, 3, v4
	v_sub_u32_e32 v15, 29, v16
	v_and_b32_e32 v14, 7, v14
	v_cmp_gt_u32_e32 vcc, 8, v4
	v_cndmask_b32_e32 v4, v13, v15, vcc
	v_cndmask_b32_e32 v11, v11, v14, vcc
	v_lshlrev_b32_e32 v2, 24, v2
	v_bfrev_b32_e32 v13, 60
	v_lshlrev_b32_e32 v11, 20, v11
	v_and_b32_e32 v2, 0x80000000, v2
	v_lshl_add_u32 v4, v4, 23, v13
	v_or3_b32 v2, v2, v4, v11
	v_lshrrev_b32_e32 v11, 16, v2
.LBB836_759:
	s_or_b64 exec, exec, s[10:11]
.LBB836_760:
	s_or_b64 exec, exec, s[8:9]
.LBB836_761:
	s_or_b64 exec, exec, s[2:3]
	v_mov_b32_e32 v4, 0
	v_cmp_ne_u16_sdwa s[8:9], v5, v4 src0_sel:BYTE_0 src1_sel:DWORD
	v_mov_b32_e32 v13, 0
	s_and_saveexec_b64 s[2:3], s[8:9]
	s_cbranch_execz .LBB836_767
; %bb.762:
	s_movk_i32 s7, 0x80
	v_cmp_ne_u16_sdwa s[10:11], v5, s7 src0_sel:BYTE_0 src1_sel:DWORD
	v_mov_b32_e32 v13, 0xffff8000
	s_and_saveexec_b64 s[8:9], s[10:11]
	s_cbranch_execz .LBB836_766
; %bb.763:
	s_movk_i32 s7, 0x7f
	v_and_b32_e32 v2, 0x7f, v5
	v_cmp_ne_u32_e32 vcc, s7, v2
	v_mov_b32_e32 v13, 0x7f80
	s_and_saveexec_b64 s[10:11], vcc
	s_cbranch_execz .LBB836_765
; %bb.764:
	v_and_b32_e32 v13, 7, v5
	v_ffbh_u32_e32 v15, v13
	v_min_u32_e32 v17, 32, v15
	v_mov_b32_e32 v14, v5
	v_subrev_u32_e32 v15, 28, v17
	v_lshlrev_b64 v[14:15], v15, v[14:15]
	v_lshrrev_b32_e32 v16, 3, v2
	v_sub_u32_e32 v15, 29, v17
	v_and_b32_e32 v14, 7, v14
	v_cmp_gt_u32_e32 vcc, 8, v2
	v_cndmask_b32_e32 v2, v16, v15, vcc
	v_cndmask_b32_e32 v13, v13, v14, vcc
	v_lshlrev_b32_e32 v14, 24, v5
	v_bfrev_b32_e32 v15, 60
	v_lshlrev_b32_e32 v13, 20, v13
	v_and_b32_e32 v14, 0x80000000, v14
	v_lshl_add_u32 v2, v2, 23, v15
	v_or3_b32 v2, v14, v2, v13
	v_lshrrev_b32_e32 v13, 16, v2
.LBB836_765:
	s_or_b64 exec, exec, s[10:11]
.LBB836_766:
	s_or_b64 exec, exec, s[8:9]
.LBB836_767:
	s_or_b64 exec, exec, s[2:3]
	v_lshrrev_b16_e32 v2, 8, v5
	v_cmp_ne_u16_e32 vcc, 0, v2
	s_and_saveexec_b64 s[2:3], vcc
	s_cbranch_execz .LBB836_773
; %bb.768:
	s_movk_i32 s7, 0x80
	v_cmp_ne_u16_e32 vcc, s7, v2
	v_mov_b32_e32 v4, 0xffff8000
	s_and_saveexec_b64 s[8:9], vcc
	s_cbranch_execz .LBB836_772
; %bb.769:
	s_movk_i32 s7, 0x7f
	v_and_b32_e32 v14, 0x7f, v2
	v_cmp_ne_u32_e32 vcc, s7, v14
	v_mov_b32_e32 v4, 0x7f80
	s_and_saveexec_b64 s[10:11], vcc
	s_cbranch_execz .LBB836_771
; %bb.770:
	v_and_b32_e32 v4, 7, v2
	v_ffbh_u32_e32 v16, v4
	v_min_u32_e32 v18, 32, v16
	v_subrev_u32_e32 v16, 28, v18
	v_lshlrev_b64 v[16:17], v16, v[2:3]
	v_lshrrev_b32_e32 v15, 3, v14
	v_sub_u32_e32 v2, 29, v18
	v_and_b32_e32 v16, 7, v16
	v_cmp_gt_u32_e32 vcc, 8, v14
	v_cndmask_b32_e32 v2, v15, v2, vcc
	v_cndmask_b32_e32 v4, v4, v16, vcc
	v_lshlrev_b32_e32 v14, 16, v5
	v_bfrev_b32_e32 v15, 60
	v_lshlrev_b32_e32 v4, 20, v4
	v_and_b32_e32 v14, 0x80000000, v14
	v_lshl_add_u32 v2, v2, 23, v15
	v_or3_b32 v2, v14, v2, v4
	v_lshrrev_b32_e32 v4, 16, v2
.LBB836_771:
	s_or_b64 exec, exec, s[10:11]
.LBB836_772:
	s_or_b64 exec, exec, s[8:9]
.LBB836_773:
	s_or_b64 exec, exec, s[2:3]
	s_movk_i32 s2, 0xff
	v_and_b32_sdwa v16, v5, s2 dst_sel:DWORD dst_unused:UNUSED_PAD src0_sel:WORD_1 src1_sel:DWORD
	v_lshrrev_b32_e32 v2, 16, v5
	v_cmp_ne_u16_e32 vcc, 0, v16
	v_mov_b32_e32 v14, 0
	v_mov_b32_e32 v15, 0
	s_and_saveexec_b64 s[2:3], vcc
	s_cbranch_execz .LBB836_779
; %bb.774:
	s_movk_i32 s7, 0x80
	v_cmp_ne_u16_e32 vcc, s7, v16
	v_mov_b32_e32 v15, 0xffff8000
	s_and_saveexec_b64 s[8:9], vcc
	s_cbranch_execz .LBB836_778
; %bb.775:
	v_bfe_u32 v16, v5, 16, 7
	s_movk_i32 s7, 0x7f
	v_cmp_ne_u32_e32 vcc, s7, v16
	v_mov_b32_e32 v15, 0x7f80
	s_and_saveexec_b64 s[10:11], vcc
	s_cbranch_execz .LBB836_777
; %bb.776:
	v_and_b32_e32 v15, 7, v2
	v_ffbh_u32_e32 v18, v15
	v_min_u32_e32 v20, 32, v18
	v_subrev_u32_e32 v18, 28, v20
	v_lshlrev_b64 v[18:19], v18, v[2:3]
	v_lshrrev_b32_e32 v17, 3, v16
	v_sub_u32_e32 v2, 29, v20
	v_and_b32_e32 v18, 7, v18
	v_cmp_gt_u32_e32 vcc, 8, v16
	v_mov_b32_e32 v16, 24
	v_cndmask_b32_e32 v2, v17, v2, vcc
	v_cndmask_b32_e32 v15, v15, v18, vcc
	v_lshlrev_b32_sdwa v16, v16, v5 dst_sel:DWORD dst_unused:UNUSED_PAD src0_sel:DWORD src1_sel:WORD_1
	v_bfrev_b32_e32 v17, 60
	v_lshlrev_b32_e32 v15, 20, v15
	v_and_b32_e32 v16, 0x80000000, v16
	v_lshl_add_u32 v2, v2, 23, v17
	v_or3_b32 v2, v16, v2, v15
	v_lshrrev_b32_e32 v15, 16, v2
.LBB836_777:
	s_or_b64 exec, exec, s[10:11]
.LBB836_778:
	s_or_b64 exec, exec, s[8:9]
.LBB836_779:
	s_or_b64 exec, exec, s[2:3]
	s_mov_b32 s2, 0xffffff
	v_cmp_lt_u32_e32 vcc, s2, v5
	s_and_saveexec_b64 s[2:3], vcc
	s_cbranch_execz .LBB836_785
; %bb.780:
	v_lshrrev_b32_e32 v2, 24, v5
	s_movk_i32 s7, 0x80
	v_cmp_ne_u32_e32 vcc, s7, v2
	v_mov_b32_e32 v14, 0xffff8000
	s_and_saveexec_b64 s[8:9], vcc
	s_cbranch_execz .LBB836_784
; %bb.781:
	v_bfe_u32 v5, v5, 24, 7
	s_movk_i32 s7, 0x7f
	v_cmp_ne_u32_e32 vcc, s7, v5
	v_mov_b32_e32 v14, 0x7f80
	s_and_saveexec_b64 s[10:11], vcc
	s_cbranch_execz .LBB836_783
; %bb.782:
	v_and_b32_e32 v14, 7, v2
	v_ffbh_u32_e32 v16, v14
	v_min_u32_e32 v19, 32, v16
	v_subrev_u32_e32 v16, 28, v19
	v_lshlrev_b64 v[16:17], v16, v[2:3]
	v_lshrrev_b32_e32 v18, 3, v5
	v_sub_u32_e32 v17, 29, v19
	v_and_b32_e32 v16, 7, v16
	v_cmp_gt_u32_e32 vcc, 8, v5
	v_cndmask_b32_e32 v5, v18, v17, vcc
	v_cndmask_b32_e32 v14, v14, v16, vcc
	v_lshlrev_b32_e32 v2, 24, v2
	v_bfrev_b32_e32 v16, 60
	v_lshlrev_b32_e32 v14, 20, v14
	v_and_b32_e32 v2, 0x80000000, v2
	v_lshl_add_u32 v5, v5, 23, v16
	v_or3_b32 v2, v2, v5, v14
	v_lshrrev_b32_e32 v14, 16, v2
.LBB836_783:
	s_or_b64 exec, exec, s[10:11]
.LBB836_784:
	s_or_b64 exec, exec, s[8:9]
.LBB836_785:
	s_or_b64 exec, exec, s[2:3]
	s_mov_b32 s3, 0x5040100
	v_perm_b32 v11, v11, v12, s3
	ds_read_b128 v[16:19], v22 offset:6160
	v_perm_b32 v10, v3, v10, s3
	v_perm_b32 v3, v14, v15, s3
	;; [unrolled: 1-line block ×3, first 2 shown]
	s_waitcnt lgkmcnt(0)
	v_mfma_f32_16x16x16bf16_1k v[6:9], v[10:11], v[16:17], v[6:9]
	s_load_dword s2, s[42:43], 0x0
	s_mov_b32 s3, 0x7060302
	s_movk_i32 s7, 0x7fff
	v_cmp_gt_u32_e32 vcc, 64, v0
	s_and_b64 s[0:1], vcc, s[0:1]
	s_waitcnt lgkmcnt(0)
	s_barrier
	v_mfma_f32_16x16x16bf16_1k v[2:5], v[2:3], v[18:19], v[6:9]
	s_nop 7
	s_nop 2
	v_pk_mul_f32 v[4:5], v[4:5], s[2:3] op_sel_hi:[1,0]
	v_pk_mul_f32 v[2:3], v[2:3], s[2:3] op_sel_hi:[1,0]
	v_bfe_u32 v6, v3, 16, 1
	v_bfe_u32 v7, v2, 16, 1
	;; [unrolled: 1-line block ×4, first 2 shown]
	v_add3_u32 v2, v2, v7, s7
	v_add3_u32 v3, v3, v6, s7
	;; [unrolled: 1-line block ×4, first 2 shown]
	v_perm_b32 v2, v3, v2, s3
	v_perm_b32 v3, v5, v4, s3
	ds_write_b64 v26, v[2:3]
	s_waitcnt lgkmcnt(0)
	s_barrier
	s_and_saveexec_b64 s[2:3], s[0:1]
	s_cbranch_execz .LBB836_788
; %bb.786:
	s_load_dwordx2 s[2:3], s[4:5], 0x68
	s_lshl_b32 s0, s44, 6
	s_mul_i32 s1, s12, s6
	s_mul_hi_u32 s7, s1, s0
	s_mul_i32 s6, s1, s0
	s_lshl_b64 s[6:7], s[6:7], 1
	s_waitcnt lgkmcnt(0)
	s_add_u32 s1, s2, s6
	s_mov_b32 s5, 0
	s_addc_u32 s6, s3, s7
	s_lshl_b32 s4, s24, 6
	v_lshlrev_b32_e32 v0, 10, v0
	s_lshl_b64 s[2:3], s[4:5], 1
	v_and_b32_e32 v0, 0x1800, v0
	v_lshlrev_b32_e32 v2, 5, v1
	v_and_b32_e32 v3, 16, v47
	s_add_u32 s1, s1, s2
	v_or3_b32 v0, v0, v2, v3
	s_addc_u32 s2, s6, s3
	v_add_u32_e32 v8, s25, v1
	v_mov_b32_e32 v3, s2
	v_add_co_u32_e32 v2, vcc, s1, v46
	ds_read_b128 v[4:7], v0
	v_mad_u64_u32 v[8:9], s[2:3], v8, s0, 0
	v_addc_co_u32_e32 v3, vcc, 0, v3, vcc
	v_lshlrev_b64 v[8:9], 1, v[8:9]
	v_add_co_u32_e32 v8, vcc, v2, v8
	v_addc_co_u32_e32 v9, vcc, v3, v9, vcc
	v_cmp_ne_u32_e32 vcc, 3, v1
	s_waitcnt lgkmcnt(0)
	global_store_dwordx4 v[8:9], v[4:7], off
	s_and_b64 exec, exec, vcc
	s_cbranch_execz .LBB836_788
; %bb.787:
	ds_read_b128 v[4:7], v0 offset:128
	v_add3_u32 v0, s25, v1, 4
	v_mad_u64_u32 v[0:1], s[0:1], v0, s0, 0
	v_lshlrev_b64 v[0:1], 1, v[0:1]
	v_add_co_u32_e32 v0, vcc, v2, v0
	v_addc_co_u32_e32 v1, vcc, v3, v1, vcc
	s_waitcnt lgkmcnt(0)
	global_store_dwordx4 v[0:1], v[4:7], off
.LBB836_788:
	s_endpgm
	.section	.rodata,"a",@progbits
	.p2align	6, 0x0
	.amdhsa_kernel _Z39paged_attention_ll4mi_QKV_mfma16_kernelI14__hip_bfloat16hLN4vllm18Fp8KVCacheDataTypeE1ES0_Li16ELi64ELi256ELb1ELi7EL8MFMAType0EEvPKT_PKT0_S9_ifPKiSB_SB_iPKfiiiPfSE_PS4_PT2_iSD_SD_
		.amdhsa_group_segment_fixed_size 8192
		.amdhsa_private_segment_fixed_size 0
		.amdhsa_kernarg_size 400
		.amdhsa_user_sgpr_count 6
		.amdhsa_user_sgpr_private_segment_buffer 1
		.amdhsa_user_sgpr_dispatch_ptr 0
		.amdhsa_user_sgpr_queue_ptr 0
		.amdhsa_user_sgpr_kernarg_segment_ptr 1
		.amdhsa_user_sgpr_dispatch_id 0
		.amdhsa_user_sgpr_flat_scratch_init 0
		.amdhsa_user_sgpr_kernarg_preload_length 0
		.amdhsa_user_sgpr_kernarg_preload_offset 0
		.amdhsa_user_sgpr_private_segment_size 0
		.amdhsa_uses_dynamic_stack 0
		.amdhsa_system_sgpr_private_segment_wavefront_offset 0
		.amdhsa_system_sgpr_workgroup_id_x 1
		.amdhsa_system_sgpr_workgroup_id_y 1
		.amdhsa_system_sgpr_workgroup_id_z 1
		.amdhsa_system_sgpr_workgroup_info 0
		.amdhsa_system_vgpr_workitem_id 0
		.amdhsa_next_free_vgpr 62
		.amdhsa_next_free_sgpr 47
		.amdhsa_accum_offset 64
		.amdhsa_reserve_vcc 1
		.amdhsa_reserve_flat_scratch 0
		.amdhsa_float_round_mode_32 0
		.amdhsa_float_round_mode_16_64 0
		.amdhsa_float_denorm_mode_32 3
		.amdhsa_float_denorm_mode_16_64 3
		.amdhsa_dx10_clamp 1
		.amdhsa_ieee_mode 1
		.amdhsa_fp16_overflow 0
		.amdhsa_tg_split 0
		.amdhsa_exception_fp_ieee_invalid_op 0
		.amdhsa_exception_fp_denorm_src 0
		.amdhsa_exception_fp_ieee_div_zero 0
		.amdhsa_exception_fp_ieee_overflow 0
		.amdhsa_exception_fp_ieee_underflow 0
		.amdhsa_exception_fp_ieee_inexact 0
		.amdhsa_exception_int_div_zero 0
	.end_amdhsa_kernel
	.section	.text._Z39paged_attention_ll4mi_QKV_mfma16_kernelI14__hip_bfloat16hLN4vllm18Fp8KVCacheDataTypeE1ES0_Li16ELi64ELi256ELb1ELi7EL8MFMAType0EEvPKT_PKT0_S9_ifPKiSB_SB_iPKfiiiPfSE_PS4_PT2_iSD_SD_,"axG",@progbits,_Z39paged_attention_ll4mi_QKV_mfma16_kernelI14__hip_bfloat16hLN4vllm18Fp8KVCacheDataTypeE1ES0_Li16ELi64ELi256ELb1ELi7EL8MFMAType0EEvPKT_PKT0_S9_ifPKiSB_SB_iPKfiiiPfSE_PS4_PT2_iSD_SD_,comdat
.Lfunc_end836:
	.size	_Z39paged_attention_ll4mi_QKV_mfma16_kernelI14__hip_bfloat16hLN4vllm18Fp8KVCacheDataTypeE1ES0_Li16ELi64ELi256ELb1ELi7EL8MFMAType0EEvPKT_PKT0_S9_ifPKiSB_SB_iPKfiiiPfSE_PS4_PT2_iSD_SD_, .Lfunc_end836-_Z39paged_attention_ll4mi_QKV_mfma16_kernelI14__hip_bfloat16hLN4vllm18Fp8KVCacheDataTypeE1ES0_Li16ELi64ELi256ELb1ELi7EL8MFMAType0EEvPKT_PKT0_S9_ifPKiSB_SB_iPKfiiiPfSE_PS4_PT2_iSD_SD_
                                        ; -- End function
	.section	.AMDGPU.csdata,"",@progbits
; Kernel info:
; codeLenInByte = 28636
; NumSgprs: 51
; NumVgprs: 62
; NumAgprs: 0
; TotalNumVgprs: 62
; ScratchSize: 0
; MemoryBound: 0
; FloatMode: 240
; IeeeMode: 1
; LDSByteSize: 8192 bytes/workgroup (compile time only)
; SGPRBlocks: 6
; VGPRBlocks: 7
; NumSGPRsForWavesPerEU: 51
; NumVGPRsForWavesPerEU: 62
; AccumOffset: 64
; Occupancy: 8
; WaveLimiterHint : 1
; COMPUTE_PGM_RSRC2:SCRATCH_EN: 0
; COMPUTE_PGM_RSRC2:USER_SGPR: 6
; COMPUTE_PGM_RSRC2:TRAP_HANDLER: 0
; COMPUTE_PGM_RSRC2:TGID_X_EN: 1
; COMPUTE_PGM_RSRC2:TGID_Y_EN: 1
; COMPUTE_PGM_RSRC2:TGID_Z_EN: 1
; COMPUTE_PGM_RSRC2:TIDIG_COMP_CNT: 0
; COMPUTE_PGM_RSRC3_GFX90A:ACCUM_OFFSET: 15
; COMPUTE_PGM_RSRC3_GFX90A:TG_SPLIT: 0
	.section	.text._Z39paged_attention_ll4mi_QKV_mfma16_kernelI14__hip_bfloat16hLN4vllm18Fp8KVCacheDataTypeE1ES0_Li16ELi64ELi256ELb1ELi8EL8MFMAType0EEvPKT_PKT0_S9_ifPKiSB_SB_iPKfiiiPfSE_PS4_PT2_iSD_SD_,"axG",@progbits,_Z39paged_attention_ll4mi_QKV_mfma16_kernelI14__hip_bfloat16hLN4vllm18Fp8KVCacheDataTypeE1ES0_Li16ELi64ELi256ELb1ELi8EL8MFMAType0EEvPKT_PKT0_S9_ifPKiSB_SB_iPKfiiiPfSE_PS4_PT2_iSD_SD_,comdat
	.protected	_Z39paged_attention_ll4mi_QKV_mfma16_kernelI14__hip_bfloat16hLN4vllm18Fp8KVCacheDataTypeE1ES0_Li16ELi64ELi256ELb1ELi8EL8MFMAType0EEvPKT_PKT0_S9_ifPKiSB_SB_iPKfiiiPfSE_PS4_PT2_iSD_SD_ ; -- Begin function _Z39paged_attention_ll4mi_QKV_mfma16_kernelI14__hip_bfloat16hLN4vllm18Fp8KVCacheDataTypeE1ES0_Li16ELi64ELi256ELb1ELi8EL8MFMAType0EEvPKT_PKT0_S9_ifPKiSB_SB_iPKfiiiPfSE_PS4_PT2_iSD_SD_
	.globl	_Z39paged_attention_ll4mi_QKV_mfma16_kernelI14__hip_bfloat16hLN4vllm18Fp8KVCacheDataTypeE1ES0_Li16ELi64ELi256ELb1ELi8EL8MFMAType0EEvPKT_PKT0_S9_ifPKiSB_SB_iPKfiiiPfSE_PS4_PT2_iSD_SD_
	.p2align	8
	.type	_Z39paged_attention_ll4mi_QKV_mfma16_kernelI14__hip_bfloat16hLN4vllm18Fp8KVCacheDataTypeE1ES0_Li16ELi64ELi256ELb1ELi8EL8MFMAType0EEvPKT_PKT0_S9_ifPKiSB_SB_iPKfiiiPfSE_PS4_PT2_iSD_SD_,@function
_Z39paged_attention_ll4mi_QKV_mfma16_kernelI14__hip_bfloat16hLN4vllm18Fp8KVCacheDataTypeE1ES0_Li16ELi64ELi256ELb1ELi8EL8MFMAType0EEvPKT_PKT0_S9_ifPKiSB_SB_iPKfiiiPfSE_PS4_PT2_iSD_SD_: ; @_Z39paged_attention_ll4mi_QKV_mfma16_kernelI14__hip_bfloat16hLN4vllm18Fp8KVCacheDataTypeE1ES0_Li16ELi64ELi256ELb1ELi8EL8MFMAType0EEvPKT_PKT0_S9_ifPKiSB_SB_iPKfiiiPfSE_PS4_PT2_iSD_SD_
; %bb.0:
	s_load_dwordx2 s[0:1], s[4:5], 0x30
	s_mov_b32 s24, s7
	s_mov_b64 s[10:11], 0
	s_waitcnt lgkmcnt(0)
	s_cmp_lg_u64 s[0:1], 0
	s_cselect_b64 s[2:3], -1, 0
	s_and_b64 vcc, exec, s[2:3]
	s_cbranch_vccz .LBB837_7
; %bb.1:
	s_add_i32 s12, s6, 1
	s_mov_b32 s13, 0
	s_lshl_b64 s[14:15], s[12:13], 2
	s_add_u32 s14, s0, s14
	s_mov_b32 s7, s13
	s_addc_u32 s15, s1, s15
	s_lshl_b64 s[12:13], s[6:7], 2
	s_add_u32 s12, s0, s12
	s_addc_u32 s13, s1, s13
	s_load_dword s9, s[14:15], 0x0
	s_load_dword s16, s[12:13], 0x0
	s_waitcnt lgkmcnt(0)
	s_sub_i32 s9, s9, s16
	s_cmp_eq_u32 s9, 1
	s_cselect_b64 s[12:13], -1, 0
	s_andn2_b64 vcc, exec, s[10:11]
	s_cbranch_vccnz .LBB837_3
.LBB837_2:
	s_mov_b32 s7, 0
	s_mov_b64 s[12:13], -1
.LBB837_3:
	s_andn2_b64 vcc, exec, s[12:13]
	s_cbranch_vccnz .LBB837_787
; %bb.4:
	s_load_dwordx2 s[12:13], s[4:5], 0x28
	s_lshl_b64 s[10:11], s[6:7], 2
	s_waitcnt lgkmcnt(0)
	s_add_u32 s12, s12, s10
	s_addc_u32 s13, s13, s11
	s_load_dword s33, s[12:13], 0x0
	s_lshl_b32 s18, s24, 8
	s_waitcnt lgkmcnt(0)
	s_cmp_ge_i32 s18, s33
	s_cbranch_scc1 .LBB837_787
; %bb.5:
	s_add_i32 s14, s33, 15
	s_load_dwordx2 s[12:13], s[4:5], 0x20
	s_load_dword s9, s[4:5], 0x38
	s_ashr_i32 s15, s14, 31
	v_and_b32_e32 v1, 0xcf, v0
	s_lshr_b32 s15, s15, 28
	v_add_u32_e32 v1, s18, v1
	s_add_i32 s14, s14, s15
	v_ashrrev_i32_e32 v2, 31, v1
	s_ashr_i32 s21, s14, 4
	v_lshrrev_b32_e32 v4, 28, v2
	s_add_i32 s21, s21, -1
	v_add_u32_e32 v2, v1, v4
	s_waitcnt lgkmcnt(0)
	s_mul_i32 s14, s6, s9
	s_mov_b32 s15, 0
	v_ashrrev_i32_e32 v2, 4, v2
	v_mov_b32_e32 v5, s21
	v_cmp_gt_i32_e32 vcc, s33, v1
	s_lshl_b64 s[14:15], s[14:15], 2
	v_cndmask_b32_e32 v2, v5, v2, vcc
	s_add_u32 s19, s12, s14
	v_ashrrev_i32_e32 v3, 31, v2
	s_addc_u32 s20, s13, s15
	v_lshlrev_b64 v[2:3], 2, v[2:3]
	v_mov_b32_e32 v7, s20
	v_add_co_u32_e32 v6, vcc, s19, v2
	v_or_b32_e32 v2, 16, v1
	v_addc_co_u32_e32 v7, vcc, v7, v3, vcc
	v_add_u32_e32 v3, v2, v4
	v_ashrrev_i32_e32 v3, 4, v3
	v_cmp_gt_i32_e32 vcc, s33, v2
	v_cndmask_b32_e32 v2, v5, v3, vcc
	v_ashrrev_i32_e32 v3, 31, v2
	v_lshlrev_b64 v[2:3], 2, v[2:3]
	v_mov_b32_e32 v9, s20
	v_add_co_u32_e32 v8, vcc, s19, v2
	v_or_b32_e32 v2, 32, v1
	v_addc_co_u32_e32 v9, vcc, v9, v3, vcc
	v_add_u32_e32 v3, v2, v4
	v_ashrrev_i32_e32 v3, 4, v3
	v_cmp_gt_i32_e32 vcc, s33, v2
	v_cndmask_b32_e32 v2, v5, v3, vcc
	v_ashrrev_i32_e32 v3, 31, v2
	v_lshlrev_b64 v[2:3], 2, v[2:3]
	v_mov_b32_e32 v11, s20
	v_add_co_u32_e32 v10, vcc, s19, v2
	v_or_b32_e32 v1, 48, v1
	v_addc_co_u32_e32 v11, vcc, v11, v3, vcc
	v_add_u32_e32 v2, v1, v4
	v_ashrrev_i32_e32 v2, 4, v2
	v_cmp_gt_i32_e32 vcc, s33, v1
	v_cndmask_b32_e32 v2, v5, v2, vcc
	v_ashrrev_i32_e32 v3, 31, v2
	v_lshlrev_b64 v[2:3], 2, v[2:3]
	v_mov_b32_e32 v1, s20
	v_add_co_u32_e32 v12, vcc, s19, v2
	v_addc_co_u32_e32 v13, vcc, v1, v3, vcc
	global_load_dword v5, v[6:7], off
	global_load_dword v4, v[8:9], off
	;; [unrolled: 1-line block ×4, first 2 shown]
	s_load_dwordx2 s[16:17], s[4:5], 0x8
	s_andn2_b64 vcc, exec, s[2:3]
	s_cbranch_vccnz .LBB837_8
; %bb.6:
	s_add_u32 s0, s0, s10
	s_addc_u32 s1, s1, s11
	s_load_dword s9, s[0:1], 0x0
	s_branch .LBB837_9
.LBB837_7:
	s_mov_b64 s[12:13], 0
	s_branch .LBB837_2
.LBB837_8:
	s_mov_b32 s9, s6
.LBB837_9:
	s_load_dwordx2 s[2:3], s[4:5], 0x10
	s_load_dwordx4 s[12:15], s[4:5], 0x48
	v_and_b32_e32 v49, 15, v0
	s_movk_i32 s0, 0x80
	v_lshlrev_b32_e32 v6, 3, v49
	v_cmp_gt_u32_e32 vcc, s0, v0
	v_cmp_gt_u32_e64 s[0:1], 8, v49
	v_lshrrev_b32_e32 v48, 6, v0
	v_bfe_u32 v1, v0, 4, 2
	s_lshl_b32 s25, s8, 3
	s_and_b64 s[22:23], vcc, s[0:1]
	v_lshlrev_b32_e32 v46, 1, v6
	v_lshlrev_b32_e32 v47, 4, v0
	s_and_saveexec_b64 s[10:11], s[22:23]
	s_cbranch_execz .LBB837_11
; %bb.10:
	s_load_dwordx2 s[22:23], s[4:5], 0x0
	s_waitcnt lgkmcnt(0)
	s_ashr_i32 s15, s12, 31
	s_mul_hi_u32 s26, s9, s12
	s_mul_i32 s15, s9, s15
	v_lshl_or_b32 v10, v48, 2, v1
	s_add_i32 s27, s26, s15
	s_mul_i32 s26, s9, s12
	s_lshl_b64 s[26:27], s[26:27], 1
	v_add_lshl_u32 v6, v10, s25, 6
	s_add_u32 s9, s22, s26
	v_ashrrev_i32_e32 v7, 31, v6
	s_addc_u32 s12, s23, s27
	v_lshlrev_b64 v[6:7], 1, v[6:7]
	v_mov_b32_e32 v8, s12
	v_add_co_u32_e32 v6, vcc, s9, v6
	v_addc_co_u32_e32 v7, vcc, v8, v7, vcc
	v_add_co_u32_e32 v6, vcc, v6, v46
	v_addc_co_u32_e32 v7, vcc, 0, v7, vcc
	global_load_dwordx4 v[6:9], v[6:7], off
	v_lshlrev_b32_e32 v12, 8, v49
	v_lshlrev_b32_e32 v10, 5, v10
	v_and_b32_e32 v11, 16, v47
	v_and_b32_e32 v12, 0xe00, v12
	v_or3_b32 v10, v12, v10, v11
	s_waitcnt vmcnt(0)
	ds_write_b128 v10, v[6:9]
.LBB837_11:
	s_or_b64 exec, exec, s[10:11]
	s_waitcnt lgkmcnt(0)
	s_mul_i32 s10, s8, s14
	s_add_u32 s8, s16, s10
	s_addc_u32 s9, s17, 0
	v_and_b32_e32 v7, 0xf0, v47
	v_and_b32_e32 v6, 48, v0
	v_mov_b32_e32 v8, s9
	v_add_co_u32_e32 v7, vcc, s8, v7
	v_addc_co_u32_e32 v9, vcc, 0, v8, vcc
	v_lshlrev_b32_e32 v8, 4, v6
	v_add_co_u32_e32 v8, vcc, v7, v8
	v_addc_co_u32_e32 v9, vcc, 0, v9, vcc
	s_waitcnt vmcnt(3)
	v_mad_i64_i32 v[10:11], s[8:9], v5, s13, v[8:9]
	s_waitcnt vmcnt(2)
	v_mad_i64_i32 v[4:5], s[8:9], v4, s13, v[8:9]
	s_barrier
	global_load_dwordx4 v[34:37], v[10:11], off
	global_load_dwordx4 v[38:41], v[4:5], off
	s_waitcnt vmcnt(3)
	v_mad_i64_i32 v[4:5], s[8:9], v2, s13, v[8:9]
	s_waitcnt vmcnt(2)
	v_mad_i64_i32 v[2:3], s[8:9], v3, s13, v[8:9]
	global_load_dwordx4 v[30:33], v[4:5], off
	global_load_dwordx4 v[22:25], v[2:3], off
	v_and_b32_e32 v2, 7, v0
	v_lshlrev_b32_e32 v2, 5, v2
	v_lshl_or_b32 v2, v1, 9, v2
	ds_read_b128 v[26:29], v2
	ds_read_b128 v[18:21], v2 offset:16
	v_mov_b32_e32 v43, 0
	v_mov_b32_e32 v50, 0
	s_and_saveexec_b64 s[8:9], s[0:1]
	s_cbranch_execz .LBB837_13
; %bb.12:
	s_load_dwordx2 s[14:15], s[4:5], 0x40
	v_or_b32_e32 v2, s25, v49
	v_ashrrev_i32_e32 v3, 31, v2
	v_lshlrev_b64 v[2:3], 2, v[2:3]
	s_waitcnt lgkmcnt(0)
	v_mov_b32_e32 v4, s15
	v_add_co_u32_e32 v2, vcc, s14, v2
	v_addc_co_u32_e32 v3, vcc, v4, v3, vcc
	global_load_dword v50, v[2:3], off
.LBB837_13:
	s_or_b64 exec, exec, s[8:9]
	v_or_b32_e32 v8, s18, v6
	v_ashrrev_i32_e32 v2, 4, v8
	v_mov_b32_e32 v9, s21
	v_cmp_gt_i32_e32 vcc, s33, v8
	v_cndmask_b32_e32 v2, v9, v2, vcc
	v_ashrrev_i32_e32 v3, 31, v2
	v_lshlrev_b64 v[2:3], 2, v[2:3]
	v_mov_b32_e32 v4, s20
	v_add_co_u32_e32 v2, vcc, s19, v2
	v_addc_co_u32_e32 v3, vcc, v4, v3, vcc
	v_or_b32_e32 v4, 64, v8
	v_ashrrev_i32_e32 v5, 4, v4
	v_cmp_gt_i32_e32 vcc, s33, v4
	v_cndmask_b32_e32 v4, v9, v5, vcc
	v_ashrrev_i32_e32 v5, 31, v4
	v_lshlrev_b64 v[4:5], 2, v[4:5]
	v_mov_b32_e32 v6, s20
	v_add_co_u32_e32 v4, vcc, s19, v4
	v_addc_co_u32_e32 v5, vcc, v6, v5, vcc
	v_or_b32_e32 v6, 0x80, v8
	v_ashrrev_i32_e32 v7, 4, v6
	v_cmp_gt_i32_e32 vcc, s33, v6
	v_cndmask_b32_e32 v6, v9, v7, vcc
	v_ashrrev_i32_e32 v7, 31, v6
	v_lshlrev_b64 v[6:7], 2, v[6:7]
	v_mov_b32_e32 v10, s20
	v_add_co_u32_e32 v6, vcc, s19, v6
	v_addc_co_u32_e32 v7, vcc, v10, v7, vcc
	global_load_dword v10, v[2:3], off
	global_load_dword v11, v[4:5], off
	;; [unrolled: 1-line block ×3, first 2 shown]
	v_or_b32_e32 v2, 0xc0, v8
	v_ashrrev_i32_e32 v3, 4, v2
	v_cmp_gt_i32_e32 vcc, s33, v2
	v_cndmask_b32_e32 v2, v9, v3, vcc
	v_ashrrev_i32_e32 v3, 31, v2
	v_lshlrev_b64 v[2:3], 2, v[2:3]
	v_mov_b32_e32 v4, s20
	v_add_co_u32_e32 v2, vcc, s19, v2
	v_addc_co_u32_e32 v3, vcc, v4, v3, vcc
	global_load_dword v13, v[2:3], off
	s_add_u32 s2, s2, s10
	v_lshlrev_b32_e32 v2, 4, v49
	s_addc_u32 s3, s3, 0
	v_lshl_or_b32 v2, v48, 8, v2
	v_mov_b32_e32 v3, s3
	v_add_co_u32_e32 v2, vcc, s2, v2
	v_addc_co_u32_e32 v3, vcc, 0, v3, vcc
	s_movk_i32 s8, 0x80
	s_waitcnt vmcnt(7)
	v_cmp_ne_u16_sdwa s[10:11], v34, v43 src0_sel:BYTE_0 src1_sel:DWORD
	s_waitcnt vmcnt(3)
	v_mad_i64_i32 v[4:5], s[2:3], v10, s13, v[2:3]
	s_waitcnt vmcnt(2)
	v_mad_i64_i32 v[6:7], s[2:3], v11, s13, v[2:3]
	;; [unrolled: 2-line block ×4, first 2 shown]
	global_load_dwordx4 v[14:17], v[4:5], off
	global_load_dwordx4 v[10:13], v[6:7], off
                                        ; kill: killed $vgpr6_vgpr7
                                        ; kill: killed $vgpr4_vgpr5
	s_nop 0
	global_load_dwordx4 v[6:9], v[8:9], off
	s_nop 0
	global_load_dwordx4 v[2:5], v[2:3], off
	s_load_dwordx4 s[40:43], s[4:5], 0x80
	s_load_dwordx2 s[44:45], s[4:5], 0x94
                                        ; kill: killed $sgpr40_sgpr41
	s_waitcnt lgkmcnt(0)
	s_load_dword s12, s[40:41], 0x0
	s_and_saveexec_b64 s[2:3], s[10:11]
	s_cbranch_execz .LBB837_19
; %bb.14:
	v_cmp_ne_u16_sdwa s[10:11], v34, s8 src0_sel:BYTE_0 src1_sel:DWORD
	v_mov_b32_e32 v43, 0xffff8000
	s_and_saveexec_b64 s[8:9], s[10:11]
	s_cbranch_execz .LBB837_18
; %bb.15:
	s_movk_i32 s10, 0x7f
	v_and_b32_e32 v42, 0x7f, v34
	v_cmp_ne_u32_e32 vcc, s10, v42
	v_mov_b32_e32 v43, 0x7f80
	s_and_saveexec_b64 s[10:11], vcc
	s_cbranch_execz .LBB837_17
; %bb.16:
	v_and_b32_e32 v43, 7, v34
	v_ffbh_u32_e32 v44, v43
	v_min_u32_e32 v52, 32, v44
	v_subrev_u32_e32 v44, 28, v52
	v_lshlrev_b64 v[44:45], v44, v[34:35]
	v_lshrrev_b32_e32 v51, 3, v42
	v_sub_u32_e32 v45, 29, v52
	v_and_b32_e32 v44, 7, v44
	v_cmp_gt_u32_e32 vcc, 8, v42
	v_cndmask_b32_e32 v42, v51, v45, vcc
	v_cndmask_b32_e32 v43, v43, v44, vcc
	v_lshlrev_b32_e32 v44, 24, v34
	v_bfrev_b32_e32 v45, 60
	v_lshlrev_b32_e32 v43, 20, v43
	v_and_b32_e32 v44, 0x80000000, v44
	v_lshl_add_u32 v42, v42, 23, v45
	v_or3_b32 v42, v44, v42, v43
	v_lshrrev_b32_e32 v43, 16, v42
.LBB837_17:
	s_or_b64 exec, exec, s[10:11]
.LBB837_18:
	s_or_b64 exec, exec, s[8:9]
.LBB837_19:
	s_or_b64 exec, exec, s[2:3]
	v_lshrrev_b16_e32 v42, 8, v34
	v_cmp_ne_u16_e32 vcc, 0, v42
	v_mov_b32_e32 v45, 0
	v_mov_b32_e32 v44, 0
	s_and_saveexec_b64 s[2:3], vcc
	s_cbranch_execz .LBB837_25
; %bb.20:
	s_movk_i32 s8, 0x80
	v_cmp_ne_u16_sdwa s[10:11], v34, s8 src0_sel:BYTE_1 src1_sel:DWORD
	v_mov_b32_e32 v44, 0xffff8000
	s_and_saveexec_b64 s[8:9], s[10:11]
	s_cbranch_execz .LBB837_24
; %bb.21:
	s_movk_i32 s10, 0x7f
	v_and_b32_e32 v51, 0x7f, v42
	v_cmp_ne_u32_e32 vcc, s10, v51
	v_mov_b32_e32 v44, 0x7f80
	s_and_saveexec_b64 s[10:11], vcc
	s_cbranch_execz .LBB837_23
; %bb.22:
	v_and_b32_e32 v44, 7, v42
	v_ffbh_u32_e32 v52, v44
	v_min_u32_e32 v55, 32, v52
	v_subrev_u32_e32 v52, 28, v55
	v_lshlrev_b64 v[52:53], v52, v[42:43]
	v_lshrrev_b32_e32 v54, 3, v51
	v_sub_u32_e32 v42, 29, v55
	v_and_b32_e32 v52, 7, v52
	v_cmp_gt_u32_e32 vcc, 8, v51
	v_cndmask_b32_e32 v42, v54, v42, vcc
	v_cndmask_b32_e32 v44, v44, v52, vcc
	v_lshlrev_b32_e32 v51, 16, v34
	v_bfrev_b32_e32 v52, 60
	v_lshlrev_b32_e32 v44, 20, v44
	v_and_b32_e32 v51, 0x80000000, v51
	v_lshl_add_u32 v42, v42, 23, v52
	v_or3_b32 v42, v51, v42, v44
	v_lshrrev_b32_e32 v44, 16, v42
.LBB837_23:
	s_or_b64 exec, exec, s[10:11]
.LBB837_24:
	s_or_b64 exec, exec, s[8:9]
.LBB837_25:
	s_or_b64 exec, exec, s[2:3]
	s_movk_i32 s2, 0xff
	v_and_b32_sdwa v51, v34, s2 dst_sel:DWORD dst_unused:UNUSED_PAD src0_sel:WORD_1 src1_sel:DWORD
	v_lshrrev_b32_e32 v42, 16, v34
	v_cmp_ne_u16_e32 vcc, 0, v51
	s_and_saveexec_b64 s[2:3], vcc
	s_cbranch_execz .LBB837_31
; %bb.26:
	s_movk_i32 s8, 0x80
	v_cmp_ne_u16_e32 vcc, s8, v51
	v_mov_b32_e32 v45, 0xffff8000
	s_and_saveexec_b64 s[8:9], vcc
	s_cbranch_execz .LBB837_30
; %bb.27:
	v_bfe_u32 v51, v34, 16, 7
	s_movk_i32 s10, 0x7f
	v_cmp_ne_u32_e32 vcc, s10, v51
	v_mov_b32_e32 v45, 0x7f80
	s_and_saveexec_b64 s[10:11], vcc
	s_cbranch_execz .LBB837_29
; %bb.28:
	v_and_b32_e32 v45, 7, v42
	v_ffbh_u32_e32 v52, v45
	v_min_u32_e32 v55, 32, v52
	v_subrev_u32_e32 v52, 28, v55
	v_lshlrev_b64 v[52:53], v52, v[42:43]
	v_lshrrev_b32_e32 v54, 3, v51
	v_sub_u32_e32 v42, 29, v55
	v_and_b32_e32 v52, 7, v52
	v_cmp_gt_u32_e32 vcc, 8, v51
	v_mov_b32_e32 v51, 24
	v_cndmask_b32_e32 v42, v54, v42, vcc
	v_cndmask_b32_e32 v45, v45, v52, vcc
	v_lshlrev_b32_sdwa v51, v51, v34 dst_sel:DWORD dst_unused:UNUSED_PAD src0_sel:DWORD src1_sel:WORD_1
	v_bfrev_b32_e32 v52, 60
	v_lshlrev_b32_e32 v45, 20, v45
	v_and_b32_e32 v51, 0x80000000, v51
	v_lshl_add_u32 v42, v42, 23, v52
	v_or3_b32 v42, v51, v42, v45
	v_lshrrev_b32_e32 v45, 16, v42
.LBB837_29:
	s_or_b64 exec, exec, s[10:11]
.LBB837_30:
	s_or_b64 exec, exec, s[8:9]
.LBB837_31:
	s_or_b64 exec, exec, s[2:3]
	s_mov_b32 s2, 0xffffff
	v_cmp_lt_u32_e32 vcc, s2, v34
	v_mov_b32_e32 v52, 0
	v_mov_b32_e32 v53, 0
	s_and_saveexec_b64 s[2:3], vcc
	s_cbranch_execz .LBB837_37
; %bb.32:
	v_lshrrev_b32_e32 v42, 24, v34
	s_movk_i32 s8, 0x80
	v_cmp_ne_u32_e32 vcc, s8, v42
	v_mov_b32_e32 v53, 0xffff8000
	s_and_saveexec_b64 s[8:9], vcc
	s_cbranch_execz .LBB837_36
; %bb.33:
	v_bfe_u32 v34, v34, 24, 7
	s_movk_i32 s10, 0x7f
	v_cmp_ne_u32_e32 vcc, s10, v34
	v_mov_b32_e32 v53, 0x7f80
	s_and_saveexec_b64 s[10:11], vcc
	s_cbranch_execz .LBB837_35
; %bb.34:
	v_and_b32_e32 v51, 7, v42
	v_ffbh_u32_e32 v54, v51
	v_min_u32_e32 v56, 32, v54
	v_subrev_u32_e32 v54, 28, v56
	v_lshlrev_b64 v[54:55], v54, v[42:43]
	v_lshrrev_b32_e32 v53, 3, v34
	v_sub_u32_e32 v55, 29, v56
	v_and_b32_e32 v54, 7, v54
	v_cmp_gt_u32_e32 vcc, 8, v34
	v_cndmask_b32_e32 v34, v53, v55, vcc
	v_cndmask_b32_e32 v51, v51, v54, vcc
	v_lshlrev_b32_e32 v42, 24, v42
	v_bfrev_b32_e32 v53, 60
	v_lshlrev_b32_e32 v51, 20, v51
	v_and_b32_e32 v42, 0x80000000, v42
	v_lshl_add_u32 v34, v34, 23, v53
	v_or3_b32 v34, v42, v34, v51
	v_lshrrev_b32_e32 v53, 16, v34
.LBB837_35:
	s_or_b64 exec, exec, s[10:11]
.LBB837_36:
	s_or_b64 exec, exec, s[8:9]
.LBB837_37:
	s_or_b64 exec, exec, s[2:3]
	v_cmp_ne_u16_sdwa s[8:9], v35, v52 src0_sel:BYTE_0 src1_sel:DWORD
	s_and_saveexec_b64 s[2:3], s[8:9]
	s_cbranch_execz .LBB837_43
; %bb.38:
	s_movk_i32 s8, 0x80
	v_cmp_ne_u16_sdwa s[10:11], v35, s8 src0_sel:BYTE_0 src1_sel:DWORD
	v_mov_b32_e32 v52, 0xffff8000
	s_and_saveexec_b64 s[8:9], s[10:11]
	s_cbranch_execz .LBB837_42
; %bb.39:
	s_movk_i32 s10, 0x7f
	v_and_b32_e32 v34, 0x7f, v35
	v_cmp_ne_u32_e32 vcc, s10, v34
	v_mov_b32_e32 v52, 0x7f80
	s_and_saveexec_b64 s[10:11], vcc
	s_cbranch_execz .LBB837_41
; %bb.40:
	v_and_b32_e32 v51, 7, v35
	v_ffbh_u32_e32 v54, v51
	v_min_u32_e32 v56, 32, v54
	v_mov_b32_e32 v42, v35
	v_subrev_u32_e32 v54, 28, v56
	v_lshlrev_b64 v[54:55], v54, v[42:43]
	v_lshrrev_b32_e32 v52, 3, v34
	v_sub_u32_e32 v42, 29, v56
	v_and_b32_e32 v54, 7, v54
	v_cmp_gt_u32_e32 vcc, 8, v34
	v_cndmask_b32_e32 v34, v52, v42, vcc
	v_cndmask_b32_e32 v42, v51, v54, vcc
	v_lshlrev_b32_e32 v51, 24, v35
	v_bfrev_b32_e32 v52, 60
	v_lshlrev_b32_e32 v42, 20, v42
	v_and_b32_e32 v51, 0x80000000, v51
	v_lshl_add_u32 v34, v34, 23, v52
	v_or3_b32 v34, v51, v34, v42
	v_lshrrev_b32_e32 v52, 16, v34
.LBB837_41:
	s_or_b64 exec, exec, s[10:11]
.LBB837_42:
	s_or_b64 exec, exec, s[8:9]
.LBB837_43:
	s_or_b64 exec, exec, s[2:3]
	v_lshrrev_b16_e32 v34, 8, v35
	v_cmp_ne_u16_e32 vcc, 0, v34
	v_mov_b32_e32 v54, 0
	v_mov_b32_e32 v42, 0
	s_and_saveexec_b64 s[2:3], vcc
	s_cbranch_execz .LBB837_49
; %bb.44:
	s_movk_i32 s8, 0x80
	v_cmp_ne_u16_e32 vcc, s8, v34
	v_mov_b32_e32 v42, 0xffff8000
	s_and_saveexec_b64 s[8:9], vcc
	s_cbranch_execz .LBB837_48
; %bb.45:
	s_movk_i32 s10, 0x7f
	v_and_b32_e32 v51, 0x7f, v34
	v_cmp_ne_u32_e32 vcc, s10, v51
	v_mov_b32_e32 v42, 0x7f80
	s_and_saveexec_b64 s[10:11], vcc
	s_cbranch_execz .LBB837_47
; %bb.46:
	v_and_b32_e32 v42, 7, v34
	v_ffbh_u32_e32 v56, v42
	v_min_u32_e32 v58, 32, v56
	v_subrev_u32_e32 v56, 28, v58
	v_lshlrev_b64 v[56:57], v56, v[34:35]
	v_lshrrev_b32_e32 v55, 3, v51
	v_sub_u32_e32 v34, 29, v58
	v_and_b32_e32 v56, 7, v56
	v_cmp_gt_u32_e32 vcc, 8, v51
	v_cndmask_b32_e32 v34, v55, v34, vcc
	v_cndmask_b32_e32 v42, v42, v56, vcc
	v_lshlrev_b32_e32 v51, 16, v35
	v_bfrev_b32_e32 v55, 60
	v_lshlrev_b32_e32 v42, 20, v42
	v_and_b32_e32 v51, 0x80000000, v51
	v_lshl_add_u32 v34, v34, 23, v55
	v_or3_b32 v34, v51, v34, v42
	v_lshrrev_b32_e32 v42, 16, v34
.LBB837_47:
	s_or_b64 exec, exec, s[10:11]
.LBB837_48:
	s_or_b64 exec, exec, s[8:9]
.LBB837_49:
	s_or_b64 exec, exec, s[2:3]
	s_movk_i32 s2, 0xff
	v_and_b32_sdwa v51, v35, s2 dst_sel:DWORD dst_unused:UNUSED_PAD src0_sel:WORD_1 src1_sel:DWORD
	v_lshrrev_b32_e32 v34, 16, v35
	v_cmp_ne_u16_e32 vcc, 0, v51
	s_and_saveexec_b64 s[2:3], vcc
	s_cbranch_execz .LBB837_55
; %bb.50:
	s_movk_i32 s8, 0x80
	v_cmp_ne_u16_e32 vcc, s8, v51
	v_mov_b32_e32 v54, 0xffff8000
	s_and_saveexec_b64 s[8:9], vcc
	s_cbranch_execz .LBB837_54
; %bb.51:
	v_bfe_u32 v51, v35, 16, 7
	s_movk_i32 s10, 0x7f
	v_cmp_ne_u32_e32 vcc, s10, v51
	v_mov_b32_e32 v54, 0x7f80
	s_and_saveexec_b64 s[10:11], vcc
	s_cbranch_execz .LBB837_53
; %bb.52:
	v_and_b32_e32 v56, 7, v34
	v_ffbh_u32_e32 v54, v56
	v_min_u32_e32 v58, 32, v54
	v_subrev_u32_e32 v54, 28, v58
	v_lshlrev_b64 v[54:55], v54, v[34:35]
	v_and_b32_e32 v54, 7, v54
	v_cmp_gt_u32_e32 vcc, 8, v51
	v_lshrrev_b32_e32 v57, 3, v51
	v_sub_u32_e32 v34, 29, v58
	v_cndmask_b32_e32 v51, v56, v54, vcc
	v_mov_b32_e32 v54, 24
	v_cndmask_b32_e32 v34, v57, v34, vcc
	v_lshlrev_b32_sdwa v54, v54, v35 dst_sel:DWORD dst_unused:UNUSED_PAD src0_sel:DWORD src1_sel:WORD_1
	v_bfrev_b32_e32 v55, 60
	v_lshlrev_b32_e32 v51, 20, v51
	v_and_b32_e32 v54, 0x80000000, v54
	v_lshl_add_u32 v34, v34, 23, v55
	v_or3_b32 v34, v54, v34, v51
	v_lshrrev_b32_e32 v54, 16, v34
.LBB837_53:
	s_or_b64 exec, exec, s[10:11]
.LBB837_54:
	s_or_b64 exec, exec, s[8:9]
.LBB837_55:
	s_or_b64 exec, exec, s[2:3]
	s_mov_b32 s2, 0xffffff
	v_cmp_lt_u32_e32 vcc, s2, v35
	v_mov_b32_e32 v51, 0
	v_mov_b32_e32 v55, 0
	s_and_saveexec_b64 s[2:3], vcc
	s_cbranch_execz .LBB837_61
; %bb.56:
	v_lshrrev_b32_e32 v34, 24, v35
	s_movk_i32 s8, 0x80
	v_cmp_ne_u32_e32 vcc, s8, v34
	v_mov_b32_e32 v55, 0xffff8000
	s_and_saveexec_b64 s[8:9], vcc
	s_cbranch_execz .LBB837_60
; %bb.57:
	v_bfe_u32 v35, v35, 24, 7
	s_movk_i32 s10, 0x7f
	v_cmp_ne_u32_e32 vcc, s10, v35
	v_mov_b32_e32 v55, 0x7f80
	s_and_saveexec_b64 s[10:11], vcc
	s_cbranch_execz .LBB837_59
; %bb.58:
	v_and_b32_e32 v55, 7, v34
	v_ffbh_u32_e32 v56, v55
	v_min_u32_e32 v59, 32, v56
	v_subrev_u32_e32 v56, 28, v59
	v_lshlrev_b64 v[56:57], v56, v[34:35]
	v_lshrrev_b32_e32 v58, 3, v35
	v_sub_u32_e32 v57, 29, v59
	v_and_b32_e32 v56, 7, v56
	v_cmp_gt_u32_e32 vcc, 8, v35
	v_cndmask_b32_e32 v35, v58, v57, vcc
	v_cndmask_b32_e32 v55, v55, v56, vcc
	v_lshlrev_b32_e32 v34, 24, v34
	v_bfrev_b32_e32 v56, 60
	v_lshlrev_b32_e32 v55, 20, v55
	v_and_b32_e32 v34, 0x80000000, v34
	v_lshl_add_u32 v35, v35, 23, v56
	v_or3_b32 v34, v34, v35, v55
	v_lshrrev_b32_e32 v55, 16, v34
.LBB837_59:
	s_or_b64 exec, exec, s[10:11]
.LBB837_60:
	s_or_b64 exec, exec, s[8:9]
.LBB837_61:
	s_or_b64 exec, exec, s[2:3]
	s_mov_b32 s2, 0x5040100
	v_perm_b32 v35, v53, v45, s2
	v_perm_b32 v34, v44, v43, s2
	v_cmp_ne_u16_sdwa s[8:9], v36, v51 src0_sel:BYTE_0 src1_sel:DWORD
	s_nop 0
	v_mfma_f32_16x16x16bf16_1k v[56:59], v[34:35], v[26:27], 0
	v_perm_b32 v35, v55, v54, s2
	v_perm_b32 v34, v42, v52, s2
	s_nop 1
	v_mfma_f32_16x16x16bf16_1k v[42:45], v[34:35], v[28:29], v[56:59]
	s_and_saveexec_b64 s[2:3], s[8:9]
	s_cbranch_execz .LBB837_67
; %bb.62:
	s_movk_i32 s8, 0x80
	v_cmp_ne_u16_sdwa s[10:11], v36, s8 src0_sel:BYTE_0 src1_sel:DWORD
	v_mov_b32_e32 v51, 0xffff8000
	s_and_saveexec_b64 s[8:9], s[10:11]
	s_cbranch_execz .LBB837_66
; %bb.63:
	s_movk_i32 s10, 0x7f
	v_and_b32_e32 v34, 0x7f, v36
	v_cmp_ne_u32_e32 vcc, s10, v34
	v_mov_b32_e32 v51, 0x7f80
	s_and_saveexec_b64 s[10:11], vcc
	s_cbranch_execz .LBB837_65
; %bb.64:
	v_and_b32_e32 v35, 7, v36
	v_ffbh_u32_e32 v52, v35
	v_min_u32_e32 v54, 32, v52
	v_subrev_u32_e32 v52, 28, v54
	v_lshlrev_b64 v[52:53], v52, v[36:37]
	v_lshrrev_b32_e32 v51, 3, v34
	v_sub_u32_e32 v53, 29, v54
	v_and_b32_e32 v52, 7, v52
	v_cmp_gt_u32_e32 vcc, 8, v34
	v_cndmask_b32_e32 v34, v51, v53, vcc
	v_cndmask_b32_e32 v35, v35, v52, vcc
	v_lshlrev_b32_e32 v51, 24, v36
	v_bfrev_b32_e32 v52, 60
	v_lshlrev_b32_e32 v35, 20, v35
	v_and_b32_e32 v51, 0x80000000, v51
	v_lshl_add_u32 v34, v34, 23, v52
	v_or3_b32 v34, v51, v34, v35
	v_lshrrev_b32_e32 v51, 16, v34
.LBB837_65:
	s_or_b64 exec, exec, s[10:11]
.LBB837_66:
	s_or_b64 exec, exec, s[8:9]
.LBB837_67:
	s_or_b64 exec, exec, s[2:3]
	v_lshrrev_b16_e32 v34, 8, v36
	v_cmp_ne_u16_e32 vcc, 0, v34
	v_mov_b32_e32 v53, 0
	v_mov_b32_e32 v35, 0
	s_and_saveexec_b64 s[2:3], vcc
	s_cbranch_execz .LBB837_73
; %bb.68:
	s_movk_i32 s8, 0x80
	v_cmp_ne_u16_e32 vcc, s8, v34
	v_mov_b32_e32 v35, 0xffff8000
	s_and_saveexec_b64 s[8:9], vcc
	s_cbranch_execz .LBB837_72
; %bb.69:
	s_movk_i32 s10, 0x7f
	v_and_b32_e32 v52, 0x7f, v34
	v_cmp_ne_u32_e32 vcc, s10, v52
	v_mov_b32_e32 v35, 0x7f80
	s_and_saveexec_b64 s[10:11], vcc
	s_cbranch_execz .LBB837_71
; %bb.70:
	v_and_b32_e32 v54, 7, v34
	v_ffbh_u32_e32 v35, v54
	v_min_u32_e32 v56, 32, v35
	v_subrev_u32_e32 v35, 28, v56
	v_lshlrev_b64 v[34:35], v35, v[34:35]
	v_lshrrev_b32_e32 v55, 3, v52
	v_sub_u32_e32 v35, 29, v56
	v_and_b32_e32 v34, 7, v34
	v_cmp_gt_u32_e32 vcc, 8, v52
	v_cndmask_b32_e32 v35, v55, v35, vcc
	v_cndmask_b32_e32 v34, v54, v34, vcc
	v_lshlrev_b32_e32 v52, 16, v36
	v_bfrev_b32_e32 v54, 60
	v_lshlrev_b32_e32 v34, 20, v34
	v_and_b32_e32 v52, 0x80000000, v52
	v_lshl_add_u32 v35, v35, 23, v54
	v_or3_b32 v34, v52, v35, v34
	v_lshrrev_b32_e32 v35, 16, v34
.LBB837_71:
	s_or_b64 exec, exec, s[10:11]
.LBB837_72:
	s_or_b64 exec, exec, s[8:9]
.LBB837_73:
	s_or_b64 exec, exec, s[2:3]
	s_movk_i32 s2, 0xff
	v_and_b32_sdwa v52, v36, s2 dst_sel:DWORD dst_unused:UNUSED_PAD src0_sel:WORD_1 src1_sel:DWORD
	v_lshrrev_b32_e32 v34, 16, v36
	v_cmp_ne_u16_e32 vcc, 0, v52
	s_and_saveexec_b64 s[2:3], vcc
	s_cbranch_execz .LBB837_79
; %bb.74:
	s_movk_i32 s8, 0x80
	v_cmp_ne_u16_e32 vcc, s8, v52
	v_mov_b32_e32 v53, 0xffff8000
	s_and_saveexec_b64 s[8:9], vcc
	s_cbranch_execz .LBB837_78
; %bb.75:
	v_bfe_u32 v52, v36, 16, 7
	s_movk_i32 s10, 0x7f
	v_cmp_ne_u32_e32 vcc, s10, v52
	v_mov_b32_e32 v53, 0x7f80
	s_and_saveexec_b64 s[10:11], vcc
	s_cbranch_execz .LBB837_77
; %bb.76:
	v_and_b32_e32 v53, 7, v34
	v_ffbh_u32_e32 v54, v53
	v_min_u32_e32 v57, 32, v54
	v_subrev_u32_e32 v54, 28, v57
	v_lshlrev_b64 v[54:55], v54, v[34:35]
	v_and_b32_e32 v54, 7, v54
	v_cmp_gt_u32_e32 vcc, 8, v52
	v_lshrrev_b32_e32 v56, 3, v52
	v_sub_u32_e32 v34, 29, v57
	v_cndmask_b32_e32 v52, v53, v54, vcc
	v_mov_b32_e32 v53, 24
	v_cndmask_b32_e32 v34, v56, v34, vcc
	v_lshlrev_b32_sdwa v53, v53, v36 dst_sel:DWORD dst_unused:UNUSED_PAD src0_sel:DWORD src1_sel:WORD_1
	v_bfrev_b32_e32 v54, 60
	v_lshlrev_b32_e32 v52, 20, v52
	v_and_b32_e32 v53, 0x80000000, v53
	v_lshl_add_u32 v34, v34, 23, v54
	v_or3_b32 v34, v53, v34, v52
	v_lshrrev_b32_e32 v53, 16, v34
.LBB837_77:
	s_or_b64 exec, exec, s[10:11]
.LBB837_78:
	s_or_b64 exec, exec, s[8:9]
.LBB837_79:
	s_or_b64 exec, exec, s[2:3]
	s_mov_b32 s2, 0xffffff
	v_cmp_lt_u32_e32 vcc, s2, v36
	v_mov_b32_e32 v54, 0
	v_mov_b32_e32 v55, 0
	s_and_saveexec_b64 s[2:3], vcc
	s_cbranch_execz .LBB837_85
; %bb.80:
	v_lshrrev_b32_e32 v34, 24, v36
	s_movk_i32 s8, 0x80
	v_cmp_ne_u32_e32 vcc, s8, v34
	v_mov_b32_e32 v55, 0xffff8000
	s_and_saveexec_b64 s[8:9], vcc
	s_cbranch_execz .LBB837_84
; %bb.81:
	v_bfe_u32 v36, v36, 24, 7
	s_movk_i32 s10, 0x7f
	v_cmp_ne_u32_e32 vcc, s10, v36
	v_mov_b32_e32 v55, 0x7f80
	s_and_saveexec_b64 s[10:11], vcc
	s_cbranch_execz .LBB837_83
; %bb.82:
	v_and_b32_e32 v52, 7, v34
	v_ffbh_u32_e32 v56, v52
	v_min_u32_e32 v58, 32, v56
	v_subrev_u32_e32 v56, 28, v58
	v_lshlrev_b64 v[56:57], v56, v[34:35]
	v_lshrrev_b32_e32 v55, 3, v36
	v_sub_u32_e32 v57, 29, v58
	v_and_b32_e32 v56, 7, v56
	v_cmp_gt_u32_e32 vcc, 8, v36
	v_cndmask_b32_e32 v36, v55, v57, vcc
	v_cndmask_b32_e32 v52, v52, v56, vcc
	v_lshlrev_b32_e32 v34, 24, v34
	v_bfrev_b32_e32 v55, 60
	v_lshlrev_b32_e32 v52, 20, v52
	v_and_b32_e32 v34, 0x80000000, v34
	v_lshl_add_u32 v36, v36, 23, v55
	v_or3_b32 v34, v34, v36, v52
	v_lshrrev_b32_e32 v55, 16, v34
.LBB837_83:
	s_or_b64 exec, exec, s[10:11]
.LBB837_84:
	s_or_b64 exec, exec, s[8:9]
.LBB837_85:
	s_or_b64 exec, exec, s[2:3]
	v_cmp_ne_u16_sdwa s[8:9], v37, v54 src0_sel:BYTE_0 src1_sel:DWORD
	s_and_saveexec_b64 s[2:3], s[8:9]
	s_cbranch_execz .LBB837_91
; %bb.86:
	s_movk_i32 s8, 0x80
	v_cmp_ne_u16_sdwa s[10:11], v37, s8 src0_sel:BYTE_0 src1_sel:DWORD
	v_mov_b32_e32 v54, 0xffff8000
	s_and_saveexec_b64 s[8:9], s[10:11]
	s_cbranch_execz .LBB837_90
; %bb.87:
	s_movk_i32 s10, 0x7f
	v_and_b32_e32 v34, 0x7f, v37
	v_cmp_ne_u32_e32 vcc, s10, v34
	v_mov_b32_e32 v54, 0x7f80
	s_and_saveexec_b64 s[10:11], vcc
	s_cbranch_execz .LBB837_89
; %bb.88:
	v_and_b32_e32 v52, 7, v37
	v_ffbh_u32_e32 v56, v52
	v_min_u32_e32 v58, 32, v56
	v_mov_b32_e32 v36, v37
	v_subrev_u32_e32 v56, 28, v58
	v_lshlrev_b64 v[56:57], v56, v[36:37]
	v_lshrrev_b32_e32 v54, 3, v34
	v_sub_u32_e32 v36, 29, v58
	v_and_b32_e32 v56, 7, v56
	v_cmp_gt_u32_e32 vcc, 8, v34
	v_cndmask_b32_e32 v34, v54, v36, vcc
	v_cndmask_b32_e32 v36, v52, v56, vcc
	v_lshlrev_b32_e32 v52, 24, v37
	v_bfrev_b32_e32 v54, 60
	v_lshlrev_b32_e32 v36, 20, v36
	v_and_b32_e32 v52, 0x80000000, v52
	v_lshl_add_u32 v34, v34, 23, v54
	v_or3_b32 v34, v52, v34, v36
	v_lshrrev_b32_e32 v54, 16, v34
.LBB837_89:
	s_or_b64 exec, exec, s[10:11]
.LBB837_90:
	s_or_b64 exec, exec, s[8:9]
.LBB837_91:
	s_or_b64 exec, exec, s[2:3]
	v_lshrrev_b16_e32 v34, 8, v37
	v_cmp_ne_u16_e32 vcc, 0, v34
	v_mov_b32_e32 v56, 0
	v_mov_b32_e32 v36, 0
	s_and_saveexec_b64 s[2:3], vcc
	s_cbranch_execz .LBB837_97
; %bb.92:
	s_movk_i32 s8, 0x80
	v_cmp_ne_u16_e32 vcc, s8, v34
	v_mov_b32_e32 v36, 0xffff8000
	s_and_saveexec_b64 s[8:9], vcc
	s_cbranch_execz .LBB837_96
; %bb.93:
	s_movk_i32 s10, 0x7f
	v_and_b32_e32 v52, 0x7f, v34
	v_cmp_ne_u32_e32 vcc, s10, v52
	v_mov_b32_e32 v36, 0x7f80
	s_and_saveexec_b64 s[10:11], vcc
	s_cbranch_execz .LBB837_95
; %bb.94:
	v_and_b32_e32 v36, 7, v34
	v_ffbh_u32_e32 v58, v36
	v_min_u32_e32 v60, 32, v58
	v_subrev_u32_e32 v58, 28, v60
	v_lshlrev_b64 v[58:59], v58, v[34:35]
	v_lshrrev_b32_e32 v57, 3, v52
	v_sub_u32_e32 v34, 29, v60
	v_and_b32_e32 v58, 7, v58
	v_cmp_gt_u32_e32 vcc, 8, v52
	v_cndmask_b32_e32 v34, v57, v34, vcc
	v_cndmask_b32_e32 v36, v36, v58, vcc
	v_lshlrev_b32_e32 v52, 16, v37
	v_bfrev_b32_e32 v57, 60
	v_lshlrev_b32_e32 v36, 20, v36
	v_and_b32_e32 v52, 0x80000000, v52
	v_lshl_add_u32 v34, v34, 23, v57
	v_or3_b32 v34, v52, v34, v36
	v_lshrrev_b32_e32 v36, 16, v34
.LBB837_95:
	s_or_b64 exec, exec, s[10:11]
.LBB837_96:
	s_or_b64 exec, exec, s[8:9]
.LBB837_97:
	s_or_b64 exec, exec, s[2:3]
	s_movk_i32 s2, 0xff
	v_and_b32_sdwa v52, v37, s2 dst_sel:DWORD dst_unused:UNUSED_PAD src0_sel:WORD_1 src1_sel:DWORD
	v_lshrrev_b32_e32 v34, 16, v37
	v_cmp_ne_u16_e32 vcc, 0, v52
	s_and_saveexec_b64 s[2:3], vcc
	s_cbranch_execz .LBB837_103
; %bb.98:
	s_movk_i32 s8, 0x80
	v_cmp_ne_u16_e32 vcc, s8, v52
	v_mov_b32_e32 v56, 0xffff8000
	s_and_saveexec_b64 s[8:9], vcc
	s_cbranch_execz .LBB837_102
; %bb.99:
	v_bfe_u32 v52, v37, 16, 7
	s_movk_i32 s10, 0x7f
	v_cmp_ne_u32_e32 vcc, s10, v52
	v_mov_b32_e32 v56, 0x7f80
	s_and_saveexec_b64 s[10:11], vcc
	s_cbranch_execz .LBB837_101
; %bb.100:
	v_and_b32_e32 v58, 7, v34
	v_ffbh_u32_e32 v56, v58
	v_min_u32_e32 v60, 32, v56
	v_subrev_u32_e32 v56, 28, v60
	v_lshlrev_b64 v[56:57], v56, v[34:35]
	v_and_b32_e32 v56, 7, v56
	v_cmp_gt_u32_e32 vcc, 8, v52
	v_lshrrev_b32_e32 v59, 3, v52
	v_sub_u32_e32 v34, 29, v60
	v_cndmask_b32_e32 v52, v58, v56, vcc
	v_mov_b32_e32 v56, 24
	v_cndmask_b32_e32 v34, v59, v34, vcc
	v_lshlrev_b32_sdwa v56, v56, v37 dst_sel:DWORD dst_unused:UNUSED_PAD src0_sel:DWORD src1_sel:WORD_1
	v_bfrev_b32_e32 v57, 60
	v_lshlrev_b32_e32 v52, 20, v52
	v_and_b32_e32 v56, 0x80000000, v56
	v_lshl_add_u32 v34, v34, 23, v57
	v_or3_b32 v34, v56, v34, v52
	v_lshrrev_b32_e32 v56, 16, v34
.LBB837_101:
	s_or_b64 exec, exec, s[10:11]
.LBB837_102:
	s_or_b64 exec, exec, s[8:9]
.LBB837_103:
	s_or_b64 exec, exec, s[2:3]
	s_mov_b32 s2, 0xffffff
	v_cmp_lt_u32_e32 vcc, s2, v37
	v_mov_b32_e32 v52, 0
	v_mov_b32_e32 v57, 0
	s_and_saveexec_b64 s[2:3], vcc
	s_cbranch_execz .LBB837_109
; %bb.104:
	v_lshrrev_b32_e32 v34, 24, v37
	s_movk_i32 s8, 0x80
	v_cmp_ne_u32_e32 vcc, s8, v34
	v_mov_b32_e32 v57, 0xffff8000
	s_and_saveexec_b64 s[8:9], vcc
	s_cbranch_execz .LBB837_108
; %bb.105:
	v_bfe_u32 v37, v37, 24, 7
	s_movk_i32 s10, 0x7f
	v_cmp_ne_u32_e32 vcc, s10, v37
	v_mov_b32_e32 v57, 0x7f80
	s_and_saveexec_b64 s[10:11], vcc
	s_cbranch_execz .LBB837_107
; %bb.106:
	v_and_b32_e32 v57, 7, v34
	v_ffbh_u32_e32 v58, v57
	v_min_u32_e32 v61, 32, v58
	v_subrev_u32_e32 v58, 28, v61
	v_lshlrev_b64 v[58:59], v58, v[34:35]
	v_lshrrev_b32_e32 v60, 3, v37
	v_sub_u32_e32 v59, 29, v61
	v_and_b32_e32 v58, 7, v58
	v_cmp_gt_u32_e32 vcc, 8, v37
	v_cndmask_b32_e32 v37, v60, v59, vcc
	v_cndmask_b32_e32 v57, v57, v58, vcc
	v_lshlrev_b32_e32 v34, 24, v34
	v_bfrev_b32_e32 v58, 60
	v_lshlrev_b32_e32 v57, 20, v57
	v_and_b32_e32 v34, 0x80000000, v34
	v_lshl_add_u32 v37, v37, 23, v58
	v_or3_b32 v34, v34, v37, v57
	v_lshrrev_b32_e32 v57, 16, v34
.LBB837_107:
	s_or_b64 exec, exec, s[10:11]
.LBB837_108:
	s_or_b64 exec, exec, s[8:9]
.LBB837_109:
	s_or_b64 exec, exec, s[2:3]
	s_mov_b32 s2, 0x5040100
	v_perm_b32 v59, v55, v53, s2
	v_perm_b32 v58, v35, v51, s2
	v_perm_b32 v35, v57, v56, s2
	v_perm_b32 v34, v36, v54, s2
	v_cmp_ne_u16_sdwa s[8:9], v38, v52 src0_sel:BYTE_0 src1_sel:DWORD
	v_mfma_f32_16x16x16bf16_1k v[42:45], v[58:59], v[18:19], v[42:45]
	v_mfma_f32_16x16x16bf16_1k v[34:37], v[34:35], v[20:21], v[42:45]
	s_and_saveexec_b64 s[2:3], s[8:9]
	s_cbranch_execz .LBB837_115
; %bb.110:
	s_movk_i32 s8, 0x80
	v_cmp_ne_u16_sdwa s[10:11], v38, s8 src0_sel:BYTE_0 src1_sel:DWORD
	v_mov_b32_e32 v52, 0xffff8000
	s_and_saveexec_b64 s[8:9], s[10:11]
	s_cbranch_execz .LBB837_114
; %bb.111:
	s_movk_i32 s10, 0x7f
	s_nop 1
	v_and_b32_e32 v42, 0x7f, v38
	v_cmp_ne_u32_e32 vcc, s10, v42
	v_mov_b32_e32 v52, 0x7f80
	s_and_saveexec_b64 s[10:11], vcc
	s_cbranch_execz .LBB837_113
; %bb.112:
	v_and_b32_e32 v43, 7, v38
	v_ffbh_u32_e32 v44, v43
	v_min_u32_e32 v52, 32, v44
	v_subrev_u32_e32 v44, 28, v52
	v_lshlrev_b64 v[44:45], v44, v[38:39]
	v_lshrrev_b32_e32 v51, 3, v42
	v_sub_u32_e32 v45, 29, v52
	v_and_b32_e32 v44, 7, v44
	v_cmp_gt_u32_e32 vcc, 8, v42
	v_cndmask_b32_e32 v42, v51, v45, vcc
	v_cndmask_b32_e32 v43, v43, v44, vcc
	v_lshlrev_b32_e32 v44, 24, v38
	v_bfrev_b32_e32 v45, 60
	v_lshlrev_b32_e32 v43, 20, v43
	v_and_b32_e32 v44, 0x80000000, v44
	v_lshl_add_u32 v42, v42, 23, v45
	v_or3_b32 v42, v44, v42, v43
	v_lshrrev_b32_e32 v52, 16, v42
.LBB837_113:
	s_or_b64 exec, exec, s[10:11]
.LBB837_114:
	s_or_b64 exec, exec, s[8:9]
.LBB837_115:
	s_or_b64 exec, exec, s[2:3]
	s_nop 6
	v_lshrrev_b16_e32 v42, 8, v38
	v_cmp_ne_u16_e32 vcc, 0, v42
	v_mov_b32_e32 v44, 0
	v_mov_b32_e32 v43, 0
	s_and_saveexec_b64 s[2:3], vcc
	s_cbranch_execz .LBB837_121
; %bb.116:
	s_movk_i32 s8, 0x80
	v_cmp_ne_u16_e32 vcc, s8, v42
	v_mov_b32_e32 v43, 0xffff8000
	s_and_saveexec_b64 s[8:9], vcc
	s_cbranch_execz .LBB837_120
; %bb.117:
	s_movk_i32 s10, 0x7f
	v_and_b32_e32 v45, 0x7f, v42
	v_cmp_ne_u32_e32 vcc, s10, v45
	v_mov_b32_e32 v43, 0x7f80
	s_and_saveexec_b64 s[10:11], vcc
	s_cbranch_execz .LBB837_119
; %bb.118:
	v_and_b32_e32 v51, 7, v42
	v_ffbh_u32_e32 v43, v51
	v_min_u32_e32 v54, 32, v43
	v_subrev_u32_e32 v43, 28, v54
	v_lshlrev_b64 v[42:43], v43, v[42:43]
	v_lshrrev_b32_e32 v53, 3, v45
	v_sub_u32_e32 v43, 29, v54
	v_and_b32_e32 v42, 7, v42
	v_cmp_gt_u32_e32 vcc, 8, v45
	v_cndmask_b32_e32 v43, v53, v43, vcc
	v_cndmask_b32_e32 v42, v51, v42, vcc
	v_lshlrev_b32_e32 v45, 16, v38
	v_bfrev_b32_e32 v51, 60
	v_lshlrev_b32_e32 v42, 20, v42
	v_and_b32_e32 v45, 0x80000000, v45
	v_lshl_add_u32 v43, v43, 23, v51
	v_or3_b32 v42, v45, v43, v42
	v_lshrrev_b32_e32 v43, 16, v42
.LBB837_119:
	s_or_b64 exec, exec, s[10:11]
.LBB837_120:
	s_or_b64 exec, exec, s[8:9]
.LBB837_121:
	s_or_b64 exec, exec, s[2:3]
	s_movk_i32 s2, 0xff
	v_and_b32_sdwa v45, v38, s2 dst_sel:DWORD dst_unused:UNUSED_PAD src0_sel:WORD_1 src1_sel:DWORD
	v_lshrrev_b32_e32 v42, 16, v38
	v_cmp_ne_u16_e32 vcc, 0, v45
	s_and_saveexec_b64 s[2:3], vcc
	s_cbranch_execz .LBB837_127
; %bb.122:
	s_movk_i32 s8, 0x80
	v_cmp_ne_u16_e32 vcc, s8, v45
	v_mov_b32_e32 v44, 0xffff8000
	s_and_saveexec_b64 s[8:9], vcc
	s_cbranch_execz .LBB837_126
; %bb.123:
	v_bfe_u32 v45, v38, 16, 7
	s_movk_i32 s10, 0x7f
	v_cmp_ne_u32_e32 vcc, s10, v45
	v_mov_b32_e32 v44, 0x7f80
	s_and_saveexec_b64 s[10:11], vcc
	s_cbranch_execz .LBB837_125
; %bb.124:
	v_and_b32_e32 v44, 7, v42
	v_ffbh_u32_e32 v53, v44
	v_min_u32_e32 v53, 32, v53
	v_subrev_u32_e32 v54, 28, v53
	v_lshlrev_b64 v[54:55], v54, v[42:43]
	v_lshrrev_b32_e32 v51, 3, v45
	v_sub_u32_e32 v42, 29, v53
	v_and_b32_e32 v53, 7, v54
	v_cmp_gt_u32_e32 vcc, 8, v45
	v_mov_b32_e32 v45, 24
	v_cndmask_b32_e32 v42, v51, v42, vcc
	v_cndmask_b32_e32 v44, v44, v53, vcc
	v_lshlrev_b32_sdwa v45, v45, v38 dst_sel:DWORD dst_unused:UNUSED_PAD src0_sel:DWORD src1_sel:WORD_1
	v_bfrev_b32_e32 v51, 60
	v_lshlrev_b32_e32 v44, 20, v44
	v_and_b32_e32 v45, 0x80000000, v45
	v_lshl_add_u32 v42, v42, 23, v51
	v_or3_b32 v42, v45, v42, v44
	v_lshrrev_b32_e32 v44, 16, v42
.LBB837_125:
	s_or_b64 exec, exec, s[10:11]
.LBB837_126:
	s_or_b64 exec, exec, s[8:9]
.LBB837_127:
	s_or_b64 exec, exec, s[2:3]
	s_mov_b32 s2, 0xffffff
	v_cmp_lt_u32_e32 vcc, s2, v38
	v_mov_b32_e32 v45, 0
	v_mov_b32_e32 v53, 0
	s_and_saveexec_b64 s[2:3], vcc
	s_cbranch_execz .LBB837_133
; %bb.128:
	v_lshrrev_b32_e32 v42, 24, v38
	s_movk_i32 s8, 0x80
	v_cmp_ne_u32_e32 vcc, s8, v42
	v_mov_b32_e32 v53, 0xffff8000
	s_and_saveexec_b64 s[8:9], vcc
	s_cbranch_execz .LBB837_132
; %bb.129:
	v_bfe_u32 v38, v38, 24, 7
	s_movk_i32 s10, 0x7f
	v_cmp_ne_u32_e32 vcc, s10, v38
	v_mov_b32_e32 v53, 0x7f80
	s_and_saveexec_b64 s[10:11], vcc
	s_cbranch_execz .LBB837_131
; %bb.130:
	v_and_b32_e32 v51, 7, v42
	v_ffbh_u32_e32 v54, v51
	v_min_u32_e32 v56, 32, v54
	v_subrev_u32_e32 v54, 28, v56
	v_lshlrev_b64 v[54:55], v54, v[42:43]
	v_lshrrev_b32_e32 v53, 3, v38
	v_sub_u32_e32 v55, 29, v56
	v_and_b32_e32 v54, 7, v54
	v_cmp_gt_u32_e32 vcc, 8, v38
	v_cndmask_b32_e32 v38, v53, v55, vcc
	v_cndmask_b32_e32 v51, v51, v54, vcc
	v_lshlrev_b32_e32 v42, 24, v42
	v_bfrev_b32_e32 v53, 60
	v_lshlrev_b32_e32 v51, 20, v51
	v_and_b32_e32 v42, 0x80000000, v42
	v_lshl_add_u32 v38, v38, 23, v53
	v_or3_b32 v38, v42, v38, v51
	v_lshrrev_b32_e32 v53, 16, v38
.LBB837_131:
	s_or_b64 exec, exec, s[10:11]
.LBB837_132:
	s_or_b64 exec, exec, s[8:9]
.LBB837_133:
	s_or_b64 exec, exec, s[2:3]
	v_cmp_ne_u16_sdwa s[8:9], v39, v45 src0_sel:BYTE_0 src1_sel:DWORD
	s_and_saveexec_b64 s[2:3], s[8:9]
	s_cbranch_execz .LBB837_139
; %bb.134:
	s_movk_i32 s8, 0x80
	v_cmp_ne_u16_sdwa s[10:11], v39, s8 src0_sel:BYTE_0 src1_sel:DWORD
	v_mov_b32_e32 v45, 0xffff8000
	s_and_saveexec_b64 s[8:9], s[10:11]
	s_cbranch_execz .LBB837_138
; %bb.135:
	s_movk_i32 s10, 0x7f
	v_and_b32_e32 v38, 0x7f, v39
	v_cmp_ne_u32_e32 vcc, s10, v38
	v_mov_b32_e32 v45, 0x7f80
	s_and_saveexec_b64 s[10:11], vcc
	s_cbranch_execz .LBB837_137
; %bb.136:
	v_and_b32_e32 v45, 7, v39
	v_ffbh_u32_e32 v54, v45
	v_min_u32_e32 v56, 32, v54
	v_mov_b32_e32 v42, v39
	v_subrev_u32_e32 v54, 28, v56
	v_lshlrev_b64 v[54:55], v54, v[42:43]
	v_lshrrev_b32_e32 v51, 3, v38
	v_sub_u32_e32 v42, 29, v56
	v_and_b32_e32 v54, 7, v54
	v_cmp_gt_u32_e32 vcc, 8, v38
	v_cndmask_b32_e32 v38, v51, v42, vcc
	v_cndmask_b32_e32 v42, v45, v54, vcc
	v_lshlrev_b32_e32 v45, 24, v39
	v_bfrev_b32_e32 v51, 60
	v_lshlrev_b32_e32 v42, 20, v42
	v_and_b32_e32 v45, 0x80000000, v45
	v_lshl_add_u32 v38, v38, 23, v51
	v_or3_b32 v38, v45, v38, v42
	v_lshrrev_b32_e32 v45, 16, v38
.LBB837_137:
	s_or_b64 exec, exec, s[10:11]
.LBB837_138:
	s_or_b64 exec, exec, s[8:9]
.LBB837_139:
	s_or_b64 exec, exec, s[2:3]
	v_lshrrev_b16_e32 v38, 8, v39
	v_cmp_ne_u16_e32 vcc, 0, v38
	v_mov_b32_e32 v54, 0
	v_mov_b32_e32 v42, 0
	s_and_saveexec_b64 s[2:3], vcc
	s_cbranch_execz .LBB837_145
; %bb.140:
	s_movk_i32 s8, 0x80
	v_cmp_ne_u16_e32 vcc, s8, v38
	v_mov_b32_e32 v42, 0xffff8000
	s_and_saveexec_b64 s[8:9], vcc
	s_cbranch_execz .LBB837_144
; %bb.141:
	s_movk_i32 s10, 0x7f
	v_and_b32_e32 v51, 0x7f, v38
	v_cmp_ne_u32_e32 vcc, s10, v51
	v_mov_b32_e32 v42, 0x7f80
	s_and_saveexec_b64 s[10:11], vcc
	s_cbranch_execz .LBB837_143
; %bb.142:
	v_and_b32_e32 v42, 7, v38
	v_ffbh_u32_e32 v56, v42
	v_min_u32_e32 v58, 32, v56
	v_subrev_u32_e32 v56, 28, v58
	v_lshlrev_b64 v[56:57], v56, v[38:39]
	v_lshrrev_b32_e32 v55, 3, v51
	v_sub_u32_e32 v38, 29, v58
	v_and_b32_e32 v56, 7, v56
	v_cmp_gt_u32_e32 vcc, 8, v51
	v_cndmask_b32_e32 v38, v55, v38, vcc
	v_cndmask_b32_e32 v42, v42, v56, vcc
	v_lshlrev_b32_e32 v51, 16, v39
	v_bfrev_b32_e32 v55, 60
	v_lshlrev_b32_e32 v42, 20, v42
	v_and_b32_e32 v51, 0x80000000, v51
	v_lshl_add_u32 v38, v38, 23, v55
	v_or3_b32 v38, v51, v38, v42
	v_lshrrev_b32_e32 v42, 16, v38
.LBB837_143:
	s_or_b64 exec, exec, s[10:11]
.LBB837_144:
	s_or_b64 exec, exec, s[8:9]
.LBB837_145:
	s_or_b64 exec, exec, s[2:3]
	s_movk_i32 s2, 0xff
	v_and_b32_sdwa v51, v39, s2 dst_sel:DWORD dst_unused:UNUSED_PAD src0_sel:WORD_1 src1_sel:DWORD
	v_lshrrev_b32_e32 v38, 16, v39
	v_cmp_ne_u16_e32 vcc, 0, v51
	s_and_saveexec_b64 s[2:3], vcc
	s_cbranch_execz .LBB837_151
; %bb.146:
	s_movk_i32 s8, 0x80
	v_cmp_ne_u16_e32 vcc, s8, v51
	v_mov_b32_e32 v54, 0xffff8000
	s_and_saveexec_b64 s[8:9], vcc
	s_cbranch_execz .LBB837_150
; %bb.147:
	v_bfe_u32 v51, v39, 16, 7
	s_movk_i32 s10, 0x7f
	v_cmp_ne_u32_e32 vcc, s10, v51
	v_mov_b32_e32 v54, 0x7f80
	s_and_saveexec_b64 s[10:11], vcc
	s_cbranch_execz .LBB837_149
; %bb.148:
	v_and_b32_e32 v56, 7, v38
	v_ffbh_u32_e32 v54, v56
	v_min_u32_e32 v58, 32, v54
	v_subrev_u32_e32 v54, 28, v58
	v_lshlrev_b64 v[54:55], v54, v[38:39]
	v_and_b32_e32 v54, 7, v54
	v_cmp_gt_u32_e32 vcc, 8, v51
	v_lshrrev_b32_e32 v57, 3, v51
	v_sub_u32_e32 v38, 29, v58
	v_cndmask_b32_e32 v51, v56, v54, vcc
	v_mov_b32_e32 v54, 24
	v_cndmask_b32_e32 v38, v57, v38, vcc
	v_lshlrev_b32_sdwa v54, v54, v39 dst_sel:DWORD dst_unused:UNUSED_PAD src0_sel:DWORD src1_sel:WORD_1
	v_bfrev_b32_e32 v55, 60
	v_lshlrev_b32_e32 v51, 20, v51
	v_and_b32_e32 v54, 0x80000000, v54
	v_lshl_add_u32 v38, v38, 23, v55
	v_or3_b32 v38, v54, v38, v51
	v_lshrrev_b32_e32 v54, 16, v38
.LBB837_149:
	s_or_b64 exec, exec, s[10:11]
.LBB837_150:
	s_or_b64 exec, exec, s[8:9]
.LBB837_151:
	s_or_b64 exec, exec, s[2:3]
	s_mov_b32 s2, 0xffffff
	v_cmp_lt_u32_e32 vcc, s2, v39
	v_mov_b32_e32 v51, 0
	v_mov_b32_e32 v55, 0
	s_and_saveexec_b64 s[2:3], vcc
	s_cbranch_execz .LBB837_157
; %bb.152:
	v_lshrrev_b32_e32 v38, 24, v39
	s_movk_i32 s8, 0x80
	v_cmp_ne_u32_e32 vcc, s8, v38
	v_mov_b32_e32 v55, 0xffff8000
	s_and_saveexec_b64 s[8:9], vcc
	s_cbranch_execz .LBB837_156
; %bb.153:
	v_bfe_u32 v39, v39, 24, 7
	s_movk_i32 s10, 0x7f
	v_cmp_ne_u32_e32 vcc, s10, v39
	v_mov_b32_e32 v55, 0x7f80
	s_and_saveexec_b64 s[10:11], vcc
	s_cbranch_execz .LBB837_155
; %bb.154:
	v_and_b32_e32 v55, 7, v38
	v_ffbh_u32_e32 v56, v55
	v_min_u32_e32 v59, 32, v56
	v_subrev_u32_e32 v56, 28, v59
	v_lshlrev_b64 v[56:57], v56, v[38:39]
	v_lshrrev_b32_e32 v58, 3, v39
	v_sub_u32_e32 v57, 29, v59
	v_and_b32_e32 v56, 7, v56
	v_cmp_gt_u32_e32 vcc, 8, v39
	v_cndmask_b32_e32 v39, v58, v57, vcc
	v_cndmask_b32_e32 v55, v55, v56, vcc
	v_lshlrev_b32_e32 v38, 24, v38
	v_bfrev_b32_e32 v56, 60
	v_lshlrev_b32_e32 v55, 20, v55
	v_and_b32_e32 v38, 0x80000000, v38
	v_lshl_add_u32 v39, v39, 23, v56
	v_or3_b32 v38, v38, v39, v55
	v_lshrrev_b32_e32 v55, 16, v38
.LBB837_155:
	s_or_b64 exec, exec, s[10:11]
.LBB837_156:
	s_or_b64 exec, exec, s[8:9]
.LBB837_157:
	s_or_b64 exec, exec, s[2:3]
	s_mov_b32 s2, 0x5040100
	v_perm_b32 v39, v53, v44, s2
	v_perm_b32 v38, v43, v52, s2
	v_cmp_ne_u16_sdwa s[8:9], v40, v51 src0_sel:BYTE_0 src1_sel:DWORD
	s_nop 0
	v_mfma_f32_16x16x16bf16_1k v[56:59], v[38:39], v[26:27], 0
	v_perm_b32 v39, v55, v54, s2
	v_perm_b32 v38, v42, v45, s2
	s_nop 1
	v_mfma_f32_16x16x16bf16_1k v[42:45], v[38:39], v[28:29], v[56:59]
	s_and_saveexec_b64 s[2:3], s[8:9]
	s_cbranch_execz .LBB837_163
; %bb.158:
	s_movk_i32 s8, 0x80
	v_cmp_ne_u16_sdwa s[10:11], v40, s8 src0_sel:BYTE_0 src1_sel:DWORD
	v_mov_b32_e32 v51, 0xffff8000
	s_and_saveexec_b64 s[8:9], s[10:11]
	s_cbranch_execz .LBB837_162
; %bb.159:
	s_movk_i32 s10, 0x7f
	v_and_b32_e32 v38, 0x7f, v40
	v_cmp_ne_u32_e32 vcc, s10, v38
	v_mov_b32_e32 v51, 0x7f80
	s_and_saveexec_b64 s[10:11], vcc
	s_cbranch_execz .LBB837_161
; %bb.160:
	v_and_b32_e32 v39, 7, v40
	v_ffbh_u32_e32 v52, v39
	v_min_u32_e32 v54, 32, v52
	v_subrev_u32_e32 v52, 28, v54
	v_lshlrev_b64 v[52:53], v52, v[40:41]
	v_lshrrev_b32_e32 v51, 3, v38
	v_sub_u32_e32 v53, 29, v54
	v_and_b32_e32 v52, 7, v52
	v_cmp_gt_u32_e32 vcc, 8, v38
	v_cndmask_b32_e32 v38, v51, v53, vcc
	v_cndmask_b32_e32 v39, v39, v52, vcc
	v_lshlrev_b32_e32 v51, 24, v40
	v_bfrev_b32_e32 v52, 60
	v_lshlrev_b32_e32 v39, 20, v39
	v_and_b32_e32 v51, 0x80000000, v51
	v_lshl_add_u32 v38, v38, 23, v52
	v_or3_b32 v38, v51, v38, v39
	v_lshrrev_b32_e32 v51, 16, v38
.LBB837_161:
	s_or_b64 exec, exec, s[10:11]
.LBB837_162:
	s_or_b64 exec, exec, s[8:9]
.LBB837_163:
	s_or_b64 exec, exec, s[2:3]
	v_lshrrev_b16_e32 v38, 8, v40
	v_cmp_ne_u16_e32 vcc, 0, v38
	v_mov_b32_e32 v53, 0
	v_mov_b32_e32 v39, 0
	s_and_saveexec_b64 s[2:3], vcc
	s_cbranch_execz .LBB837_169
; %bb.164:
	s_movk_i32 s8, 0x80
	v_cmp_ne_u16_e32 vcc, s8, v38
	v_mov_b32_e32 v39, 0xffff8000
	s_and_saveexec_b64 s[8:9], vcc
	s_cbranch_execz .LBB837_168
; %bb.165:
	s_movk_i32 s10, 0x7f
	v_and_b32_e32 v52, 0x7f, v38
	v_cmp_ne_u32_e32 vcc, s10, v52
	v_mov_b32_e32 v39, 0x7f80
	s_and_saveexec_b64 s[10:11], vcc
	s_cbranch_execz .LBB837_167
; %bb.166:
	v_and_b32_e32 v54, 7, v38
	v_ffbh_u32_e32 v39, v54
	v_min_u32_e32 v56, 32, v39
	v_subrev_u32_e32 v39, 28, v56
	v_lshlrev_b64 v[38:39], v39, v[38:39]
	v_lshrrev_b32_e32 v55, 3, v52
	v_sub_u32_e32 v39, 29, v56
	v_and_b32_e32 v38, 7, v38
	v_cmp_gt_u32_e32 vcc, 8, v52
	v_cndmask_b32_e32 v39, v55, v39, vcc
	v_cndmask_b32_e32 v38, v54, v38, vcc
	v_lshlrev_b32_e32 v52, 16, v40
	v_bfrev_b32_e32 v54, 60
	v_lshlrev_b32_e32 v38, 20, v38
	v_and_b32_e32 v52, 0x80000000, v52
	v_lshl_add_u32 v39, v39, 23, v54
	v_or3_b32 v38, v52, v39, v38
	v_lshrrev_b32_e32 v39, 16, v38
.LBB837_167:
	s_or_b64 exec, exec, s[10:11]
.LBB837_168:
	s_or_b64 exec, exec, s[8:9]
.LBB837_169:
	s_or_b64 exec, exec, s[2:3]
	s_movk_i32 s2, 0xff
	v_and_b32_sdwa v52, v40, s2 dst_sel:DWORD dst_unused:UNUSED_PAD src0_sel:WORD_1 src1_sel:DWORD
	v_lshrrev_b32_e32 v38, 16, v40
	v_cmp_ne_u16_e32 vcc, 0, v52
	s_and_saveexec_b64 s[2:3], vcc
	s_cbranch_execz .LBB837_175
; %bb.170:
	s_movk_i32 s8, 0x80
	v_cmp_ne_u16_e32 vcc, s8, v52
	v_mov_b32_e32 v53, 0xffff8000
	s_and_saveexec_b64 s[8:9], vcc
	s_cbranch_execz .LBB837_174
; %bb.171:
	v_bfe_u32 v52, v40, 16, 7
	s_movk_i32 s10, 0x7f
	v_cmp_ne_u32_e32 vcc, s10, v52
	v_mov_b32_e32 v53, 0x7f80
	s_and_saveexec_b64 s[10:11], vcc
	s_cbranch_execz .LBB837_173
; %bb.172:
	v_and_b32_e32 v53, 7, v38
	v_ffbh_u32_e32 v54, v53
	v_min_u32_e32 v57, 32, v54
	v_subrev_u32_e32 v54, 28, v57
	v_lshlrev_b64 v[54:55], v54, v[38:39]
	v_and_b32_e32 v54, 7, v54
	v_cmp_gt_u32_e32 vcc, 8, v52
	v_lshrrev_b32_e32 v56, 3, v52
	v_sub_u32_e32 v38, 29, v57
	v_cndmask_b32_e32 v52, v53, v54, vcc
	v_mov_b32_e32 v53, 24
	v_cndmask_b32_e32 v38, v56, v38, vcc
	v_lshlrev_b32_sdwa v53, v53, v40 dst_sel:DWORD dst_unused:UNUSED_PAD src0_sel:DWORD src1_sel:WORD_1
	v_bfrev_b32_e32 v54, 60
	v_lshlrev_b32_e32 v52, 20, v52
	v_and_b32_e32 v53, 0x80000000, v53
	v_lshl_add_u32 v38, v38, 23, v54
	v_or3_b32 v38, v53, v38, v52
	v_lshrrev_b32_e32 v53, 16, v38
.LBB837_173:
	s_or_b64 exec, exec, s[10:11]
.LBB837_174:
	s_or_b64 exec, exec, s[8:9]
.LBB837_175:
	s_or_b64 exec, exec, s[2:3]
	s_mov_b32 s2, 0xffffff
	v_cmp_lt_u32_e32 vcc, s2, v40
	v_mov_b32_e32 v54, 0
	v_mov_b32_e32 v55, 0
	s_and_saveexec_b64 s[2:3], vcc
	s_cbranch_execz .LBB837_181
; %bb.176:
	v_lshrrev_b32_e32 v38, 24, v40
	s_movk_i32 s8, 0x80
	v_cmp_ne_u32_e32 vcc, s8, v38
	v_mov_b32_e32 v55, 0xffff8000
	s_and_saveexec_b64 s[8:9], vcc
	s_cbranch_execz .LBB837_180
; %bb.177:
	v_bfe_u32 v40, v40, 24, 7
	s_movk_i32 s10, 0x7f
	v_cmp_ne_u32_e32 vcc, s10, v40
	v_mov_b32_e32 v55, 0x7f80
	s_and_saveexec_b64 s[10:11], vcc
	s_cbranch_execz .LBB837_179
; %bb.178:
	v_and_b32_e32 v52, 7, v38
	v_ffbh_u32_e32 v56, v52
	v_min_u32_e32 v58, 32, v56
	v_subrev_u32_e32 v56, 28, v58
	v_lshlrev_b64 v[56:57], v56, v[38:39]
	v_lshrrev_b32_e32 v55, 3, v40
	v_sub_u32_e32 v57, 29, v58
	v_and_b32_e32 v56, 7, v56
	v_cmp_gt_u32_e32 vcc, 8, v40
	v_cndmask_b32_e32 v40, v55, v57, vcc
	v_cndmask_b32_e32 v52, v52, v56, vcc
	v_lshlrev_b32_e32 v38, 24, v38
	v_bfrev_b32_e32 v55, 60
	v_lshlrev_b32_e32 v52, 20, v52
	v_and_b32_e32 v38, 0x80000000, v38
	v_lshl_add_u32 v40, v40, 23, v55
	v_or3_b32 v38, v38, v40, v52
	v_lshrrev_b32_e32 v55, 16, v38
.LBB837_179:
	s_or_b64 exec, exec, s[10:11]
.LBB837_180:
	s_or_b64 exec, exec, s[8:9]
.LBB837_181:
	s_or_b64 exec, exec, s[2:3]
	v_cmp_ne_u16_sdwa s[8:9], v41, v54 src0_sel:BYTE_0 src1_sel:DWORD
	s_and_saveexec_b64 s[2:3], s[8:9]
	s_cbranch_execz .LBB837_187
; %bb.182:
	s_movk_i32 s8, 0x80
	v_cmp_ne_u16_sdwa s[10:11], v41, s8 src0_sel:BYTE_0 src1_sel:DWORD
	v_mov_b32_e32 v54, 0xffff8000
	s_and_saveexec_b64 s[8:9], s[10:11]
	s_cbranch_execz .LBB837_186
; %bb.183:
	s_movk_i32 s10, 0x7f
	v_and_b32_e32 v38, 0x7f, v41
	v_cmp_ne_u32_e32 vcc, s10, v38
	v_mov_b32_e32 v54, 0x7f80
	s_and_saveexec_b64 s[10:11], vcc
	s_cbranch_execz .LBB837_185
; %bb.184:
	v_and_b32_e32 v52, 7, v41
	v_ffbh_u32_e32 v56, v52
	v_min_u32_e32 v58, 32, v56
	v_mov_b32_e32 v40, v41
	v_subrev_u32_e32 v56, 28, v58
	v_lshlrev_b64 v[56:57], v56, v[40:41]
	v_lshrrev_b32_e32 v54, 3, v38
	v_sub_u32_e32 v40, 29, v58
	v_and_b32_e32 v56, 7, v56
	v_cmp_gt_u32_e32 vcc, 8, v38
	v_cndmask_b32_e32 v38, v54, v40, vcc
	v_cndmask_b32_e32 v40, v52, v56, vcc
	v_lshlrev_b32_e32 v52, 24, v41
	v_bfrev_b32_e32 v54, 60
	v_lshlrev_b32_e32 v40, 20, v40
	v_and_b32_e32 v52, 0x80000000, v52
	v_lshl_add_u32 v38, v38, 23, v54
	v_or3_b32 v38, v52, v38, v40
	v_lshrrev_b32_e32 v54, 16, v38
.LBB837_185:
	s_or_b64 exec, exec, s[10:11]
.LBB837_186:
	s_or_b64 exec, exec, s[8:9]
.LBB837_187:
	s_or_b64 exec, exec, s[2:3]
	v_lshrrev_b16_e32 v38, 8, v41
	v_cmp_ne_u16_e32 vcc, 0, v38
	v_mov_b32_e32 v56, 0
	v_mov_b32_e32 v40, 0
	s_and_saveexec_b64 s[2:3], vcc
	s_cbranch_execz .LBB837_193
; %bb.188:
	s_movk_i32 s8, 0x80
	v_cmp_ne_u16_e32 vcc, s8, v38
	v_mov_b32_e32 v40, 0xffff8000
	s_and_saveexec_b64 s[8:9], vcc
	s_cbranch_execz .LBB837_192
; %bb.189:
	s_movk_i32 s10, 0x7f
	v_and_b32_e32 v52, 0x7f, v38
	v_cmp_ne_u32_e32 vcc, s10, v52
	v_mov_b32_e32 v40, 0x7f80
	s_and_saveexec_b64 s[10:11], vcc
	s_cbranch_execz .LBB837_191
; %bb.190:
	v_and_b32_e32 v40, 7, v38
	v_ffbh_u32_e32 v58, v40
	v_min_u32_e32 v60, 32, v58
	v_subrev_u32_e32 v58, 28, v60
	v_lshlrev_b64 v[58:59], v58, v[38:39]
	v_lshrrev_b32_e32 v57, 3, v52
	v_sub_u32_e32 v38, 29, v60
	v_and_b32_e32 v58, 7, v58
	v_cmp_gt_u32_e32 vcc, 8, v52
	v_cndmask_b32_e32 v38, v57, v38, vcc
	v_cndmask_b32_e32 v40, v40, v58, vcc
	v_lshlrev_b32_e32 v52, 16, v41
	v_bfrev_b32_e32 v57, 60
	v_lshlrev_b32_e32 v40, 20, v40
	v_and_b32_e32 v52, 0x80000000, v52
	v_lshl_add_u32 v38, v38, 23, v57
	v_or3_b32 v38, v52, v38, v40
	v_lshrrev_b32_e32 v40, 16, v38
.LBB837_191:
	s_or_b64 exec, exec, s[10:11]
.LBB837_192:
	s_or_b64 exec, exec, s[8:9]
.LBB837_193:
	s_or_b64 exec, exec, s[2:3]
	s_movk_i32 s2, 0xff
	v_and_b32_sdwa v52, v41, s2 dst_sel:DWORD dst_unused:UNUSED_PAD src0_sel:WORD_1 src1_sel:DWORD
	v_lshrrev_b32_e32 v38, 16, v41
	v_cmp_ne_u16_e32 vcc, 0, v52
	s_and_saveexec_b64 s[2:3], vcc
	s_cbranch_execz .LBB837_199
; %bb.194:
	s_movk_i32 s8, 0x80
	v_cmp_ne_u16_e32 vcc, s8, v52
	v_mov_b32_e32 v56, 0xffff8000
	s_and_saveexec_b64 s[8:9], vcc
	s_cbranch_execz .LBB837_198
; %bb.195:
	v_bfe_u32 v52, v41, 16, 7
	s_movk_i32 s10, 0x7f
	v_cmp_ne_u32_e32 vcc, s10, v52
	v_mov_b32_e32 v56, 0x7f80
	s_and_saveexec_b64 s[10:11], vcc
	s_cbranch_execz .LBB837_197
; %bb.196:
	v_and_b32_e32 v58, 7, v38
	v_ffbh_u32_e32 v56, v58
	v_min_u32_e32 v60, 32, v56
	v_subrev_u32_e32 v56, 28, v60
	v_lshlrev_b64 v[56:57], v56, v[38:39]
	v_and_b32_e32 v56, 7, v56
	v_cmp_gt_u32_e32 vcc, 8, v52
	v_lshrrev_b32_e32 v59, 3, v52
	v_sub_u32_e32 v38, 29, v60
	v_cndmask_b32_e32 v52, v58, v56, vcc
	v_mov_b32_e32 v56, 24
	v_cndmask_b32_e32 v38, v59, v38, vcc
	v_lshlrev_b32_sdwa v56, v56, v41 dst_sel:DWORD dst_unused:UNUSED_PAD src0_sel:DWORD src1_sel:WORD_1
	v_bfrev_b32_e32 v57, 60
	v_lshlrev_b32_e32 v52, 20, v52
	v_and_b32_e32 v56, 0x80000000, v56
	v_lshl_add_u32 v38, v38, 23, v57
	v_or3_b32 v38, v56, v38, v52
	v_lshrrev_b32_e32 v56, 16, v38
.LBB837_197:
	s_or_b64 exec, exec, s[10:11]
.LBB837_198:
	s_or_b64 exec, exec, s[8:9]
.LBB837_199:
	s_or_b64 exec, exec, s[2:3]
	s_mov_b32 s2, 0xffffff
	v_cmp_lt_u32_e32 vcc, s2, v41
	v_mov_b32_e32 v52, 0
	v_mov_b32_e32 v57, 0
	s_and_saveexec_b64 s[2:3], vcc
	s_cbranch_execz .LBB837_205
; %bb.200:
	v_lshrrev_b32_e32 v38, 24, v41
	s_movk_i32 s8, 0x80
	v_cmp_ne_u32_e32 vcc, s8, v38
	v_mov_b32_e32 v57, 0xffff8000
	s_and_saveexec_b64 s[8:9], vcc
	s_cbranch_execz .LBB837_204
; %bb.201:
	v_bfe_u32 v41, v41, 24, 7
	s_movk_i32 s10, 0x7f
	v_cmp_ne_u32_e32 vcc, s10, v41
	v_mov_b32_e32 v57, 0x7f80
	s_and_saveexec_b64 s[10:11], vcc
	s_cbranch_execz .LBB837_203
; %bb.202:
	v_and_b32_e32 v57, 7, v38
	v_ffbh_u32_e32 v58, v57
	v_min_u32_e32 v61, 32, v58
	v_subrev_u32_e32 v58, 28, v61
	v_lshlrev_b64 v[58:59], v58, v[38:39]
	v_lshrrev_b32_e32 v60, 3, v41
	v_sub_u32_e32 v59, 29, v61
	v_and_b32_e32 v58, 7, v58
	v_cmp_gt_u32_e32 vcc, 8, v41
	v_cndmask_b32_e32 v41, v60, v59, vcc
	v_cndmask_b32_e32 v57, v57, v58, vcc
	v_lshlrev_b32_e32 v38, 24, v38
	v_bfrev_b32_e32 v58, 60
	v_lshlrev_b32_e32 v57, 20, v57
	v_and_b32_e32 v38, 0x80000000, v38
	v_lshl_add_u32 v41, v41, 23, v58
	v_or3_b32 v38, v38, v41, v57
	v_lshrrev_b32_e32 v57, 16, v38
.LBB837_203:
	s_or_b64 exec, exec, s[10:11]
.LBB837_204:
	s_or_b64 exec, exec, s[8:9]
.LBB837_205:
	s_or_b64 exec, exec, s[2:3]
	s_mov_b32 s2, 0x5040100
	v_perm_b32 v59, v55, v53, s2
	v_perm_b32 v58, v39, v51, s2
	;; [unrolled: 1-line block ×4, first 2 shown]
	v_cmp_ne_u16_sdwa s[8:9], v30, v52 src0_sel:BYTE_0 src1_sel:DWORD
	v_mfma_f32_16x16x16bf16_1k v[42:45], v[58:59], v[18:19], v[42:45]
	v_mfma_f32_16x16x16bf16_1k v[38:41], v[38:39], v[20:21], v[42:45]
	s_and_saveexec_b64 s[2:3], s[8:9]
	s_cbranch_execz .LBB837_211
; %bb.206:
	s_movk_i32 s8, 0x80
	v_cmp_ne_u16_sdwa s[10:11], v30, s8 src0_sel:BYTE_0 src1_sel:DWORD
	v_mov_b32_e32 v52, 0xffff8000
	s_and_saveexec_b64 s[8:9], s[10:11]
	s_cbranch_execz .LBB837_210
; %bb.207:
	s_movk_i32 s10, 0x7f
	s_nop 1
	v_and_b32_e32 v42, 0x7f, v30
	v_cmp_ne_u32_e32 vcc, s10, v42
	v_mov_b32_e32 v52, 0x7f80
	s_and_saveexec_b64 s[10:11], vcc
	s_cbranch_execz .LBB837_209
; %bb.208:
	v_and_b32_e32 v43, 7, v30
	v_ffbh_u32_e32 v44, v43
	v_min_u32_e32 v52, 32, v44
	v_subrev_u32_e32 v44, 28, v52
	v_lshlrev_b64 v[44:45], v44, v[30:31]
	v_lshrrev_b32_e32 v51, 3, v42
	v_sub_u32_e32 v45, 29, v52
	v_and_b32_e32 v44, 7, v44
	v_cmp_gt_u32_e32 vcc, 8, v42
	v_cndmask_b32_e32 v42, v51, v45, vcc
	v_cndmask_b32_e32 v43, v43, v44, vcc
	v_lshlrev_b32_e32 v44, 24, v30
	v_bfrev_b32_e32 v45, 60
	v_lshlrev_b32_e32 v43, 20, v43
	v_and_b32_e32 v44, 0x80000000, v44
	v_lshl_add_u32 v42, v42, 23, v45
	v_or3_b32 v42, v44, v42, v43
	v_lshrrev_b32_e32 v52, 16, v42
.LBB837_209:
	s_or_b64 exec, exec, s[10:11]
.LBB837_210:
	s_or_b64 exec, exec, s[8:9]
.LBB837_211:
	s_or_b64 exec, exec, s[2:3]
	s_nop 6
	v_lshrrev_b16_e32 v42, 8, v30
	v_cmp_ne_u16_e32 vcc, 0, v42
	v_mov_b32_e32 v44, 0
	v_mov_b32_e32 v43, 0
	s_and_saveexec_b64 s[2:3], vcc
	s_cbranch_execz .LBB837_217
; %bb.212:
	s_movk_i32 s8, 0x80
	v_cmp_ne_u16_e32 vcc, s8, v42
	v_mov_b32_e32 v43, 0xffff8000
	s_and_saveexec_b64 s[8:9], vcc
	s_cbranch_execz .LBB837_216
; %bb.213:
	s_movk_i32 s10, 0x7f
	v_and_b32_e32 v45, 0x7f, v42
	v_cmp_ne_u32_e32 vcc, s10, v45
	v_mov_b32_e32 v43, 0x7f80
	s_and_saveexec_b64 s[10:11], vcc
	s_cbranch_execz .LBB837_215
; %bb.214:
	v_and_b32_e32 v51, 7, v42
	v_ffbh_u32_e32 v43, v51
	v_min_u32_e32 v54, 32, v43
	v_subrev_u32_e32 v43, 28, v54
	v_lshlrev_b64 v[42:43], v43, v[42:43]
	v_lshrrev_b32_e32 v53, 3, v45
	v_sub_u32_e32 v43, 29, v54
	v_and_b32_e32 v42, 7, v42
	v_cmp_gt_u32_e32 vcc, 8, v45
	v_cndmask_b32_e32 v43, v53, v43, vcc
	v_cndmask_b32_e32 v42, v51, v42, vcc
	v_lshlrev_b32_e32 v45, 16, v30
	v_bfrev_b32_e32 v51, 60
	v_lshlrev_b32_e32 v42, 20, v42
	v_and_b32_e32 v45, 0x80000000, v45
	v_lshl_add_u32 v43, v43, 23, v51
	v_or3_b32 v42, v45, v43, v42
	v_lshrrev_b32_e32 v43, 16, v42
.LBB837_215:
	s_or_b64 exec, exec, s[10:11]
.LBB837_216:
	s_or_b64 exec, exec, s[8:9]
.LBB837_217:
	s_or_b64 exec, exec, s[2:3]
	s_movk_i32 s2, 0xff
	v_and_b32_sdwa v45, v30, s2 dst_sel:DWORD dst_unused:UNUSED_PAD src0_sel:WORD_1 src1_sel:DWORD
	v_lshrrev_b32_e32 v42, 16, v30
	v_cmp_ne_u16_e32 vcc, 0, v45
	s_and_saveexec_b64 s[2:3], vcc
	s_cbranch_execz .LBB837_223
; %bb.218:
	s_movk_i32 s8, 0x80
	v_cmp_ne_u16_e32 vcc, s8, v45
	v_mov_b32_e32 v44, 0xffff8000
	s_and_saveexec_b64 s[8:9], vcc
	s_cbranch_execz .LBB837_222
; %bb.219:
	v_bfe_u32 v45, v30, 16, 7
	s_movk_i32 s10, 0x7f
	v_cmp_ne_u32_e32 vcc, s10, v45
	v_mov_b32_e32 v44, 0x7f80
	s_and_saveexec_b64 s[10:11], vcc
	s_cbranch_execz .LBB837_221
; %bb.220:
	v_and_b32_e32 v44, 7, v42
	v_ffbh_u32_e32 v53, v44
	v_min_u32_e32 v53, 32, v53
	v_subrev_u32_e32 v54, 28, v53
	v_lshlrev_b64 v[54:55], v54, v[42:43]
	v_lshrrev_b32_e32 v51, 3, v45
	v_sub_u32_e32 v42, 29, v53
	v_and_b32_e32 v53, 7, v54
	v_cmp_gt_u32_e32 vcc, 8, v45
	v_mov_b32_e32 v45, 24
	v_cndmask_b32_e32 v42, v51, v42, vcc
	v_cndmask_b32_e32 v44, v44, v53, vcc
	v_lshlrev_b32_sdwa v45, v45, v30 dst_sel:DWORD dst_unused:UNUSED_PAD src0_sel:DWORD src1_sel:WORD_1
	v_bfrev_b32_e32 v51, 60
	v_lshlrev_b32_e32 v44, 20, v44
	v_and_b32_e32 v45, 0x80000000, v45
	v_lshl_add_u32 v42, v42, 23, v51
	v_or3_b32 v42, v45, v42, v44
	v_lshrrev_b32_e32 v44, 16, v42
.LBB837_221:
	s_or_b64 exec, exec, s[10:11]
.LBB837_222:
	s_or_b64 exec, exec, s[8:9]
.LBB837_223:
	s_or_b64 exec, exec, s[2:3]
	s_mov_b32 s2, 0xffffff
	v_cmp_lt_u32_e32 vcc, s2, v30
	v_mov_b32_e32 v45, 0
	v_mov_b32_e32 v53, 0
	s_and_saveexec_b64 s[2:3], vcc
	s_cbranch_execz .LBB837_229
; %bb.224:
	v_lshrrev_b32_e32 v42, 24, v30
	s_movk_i32 s8, 0x80
	v_cmp_ne_u32_e32 vcc, s8, v42
	v_mov_b32_e32 v53, 0xffff8000
	s_and_saveexec_b64 s[8:9], vcc
	s_cbranch_execz .LBB837_228
; %bb.225:
	v_bfe_u32 v30, v30, 24, 7
	s_movk_i32 s10, 0x7f
	v_cmp_ne_u32_e32 vcc, s10, v30
	v_mov_b32_e32 v53, 0x7f80
	s_and_saveexec_b64 s[10:11], vcc
	s_cbranch_execz .LBB837_227
; %bb.226:
	v_and_b32_e32 v51, 7, v42
	v_ffbh_u32_e32 v54, v51
	v_min_u32_e32 v56, 32, v54
	v_subrev_u32_e32 v54, 28, v56
	v_lshlrev_b64 v[54:55], v54, v[42:43]
	v_lshrrev_b32_e32 v53, 3, v30
	v_sub_u32_e32 v55, 29, v56
	v_and_b32_e32 v54, 7, v54
	v_cmp_gt_u32_e32 vcc, 8, v30
	v_cndmask_b32_e32 v30, v53, v55, vcc
	v_cndmask_b32_e32 v51, v51, v54, vcc
	v_lshlrev_b32_e32 v42, 24, v42
	v_bfrev_b32_e32 v53, 60
	v_lshlrev_b32_e32 v51, 20, v51
	v_and_b32_e32 v42, 0x80000000, v42
	v_lshl_add_u32 v30, v30, 23, v53
	v_or3_b32 v30, v42, v30, v51
	v_lshrrev_b32_e32 v53, 16, v30
.LBB837_227:
	s_or_b64 exec, exec, s[10:11]
.LBB837_228:
	s_or_b64 exec, exec, s[8:9]
.LBB837_229:
	s_or_b64 exec, exec, s[2:3]
	v_cmp_ne_u16_sdwa s[8:9], v31, v45 src0_sel:BYTE_0 src1_sel:DWORD
	s_and_saveexec_b64 s[2:3], s[8:9]
	s_cbranch_execz .LBB837_235
; %bb.230:
	s_movk_i32 s8, 0x80
	v_cmp_ne_u16_sdwa s[10:11], v31, s8 src0_sel:BYTE_0 src1_sel:DWORD
	v_mov_b32_e32 v45, 0xffff8000
	s_and_saveexec_b64 s[8:9], s[10:11]
	s_cbranch_execz .LBB837_234
; %bb.231:
	s_movk_i32 s10, 0x7f
	v_and_b32_e32 v30, 0x7f, v31
	v_cmp_ne_u32_e32 vcc, s10, v30
	v_mov_b32_e32 v45, 0x7f80
	s_and_saveexec_b64 s[10:11], vcc
	s_cbranch_execz .LBB837_233
; %bb.232:
	v_and_b32_e32 v45, 7, v31
	v_ffbh_u32_e32 v54, v45
	v_min_u32_e32 v56, 32, v54
	v_mov_b32_e32 v42, v31
	v_subrev_u32_e32 v54, 28, v56
	v_lshlrev_b64 v[54:55], v54, v[42:43]
	v_lshrrev_b32_e32 v51, 3, v30
	v_sub_u32_e32 v42, 29, v56
	v_and_b32_e32 v54, 7, v54
	v_cmp_gt_u32_e32 vcc, 8, v30
	v_cndmask_b32_e32 v30, v51, v42, vcc
	v_cndmask_b32_e32 v42, v45, v54, vcc
	v_lshlrev_b32_e32 v45, 24, v31
	v_bfrev_b32_e32 v51, 60
	v_lshlrev_b32_e32 v42, 20, v42
	v_and_b32_e32 v45, 0x80000000, v45
	v_lshl_add_u32 v30, v30, 23, v51
	v_or3_b32 v30, v45, v30, v42
	v_lshrrev_b32_e32 v45, 16, v30
.LBB837_233:
	s_or_b64 exec, exec, s[10:11]
.LBB837_234:
	s_or_b64 exec, exec, s[8:9]
.LBB837_235:
	s_or_b64 exec, exec, s[2:3]
	v_lshrrev_b16_e32 v30, 8, v31
	v_cmp_ne_u16_e32 vcc, 0, v30
	v_mov_b32_e32 v54, 0
	v_mov_b32_e32 v42, 0
	s_and_saveexec_b64 s[2:3], vcc
	s_cbranch_execz .LBB837_241
; %bb.236:
	s_movk_i32 s8, 0x80
	v_cmp_ne_u16_e32 vcc, s8, v30
	v_mov_b32_e32 v42, 0xffff8000
	s_and_saveexec_b64 s[8:9], vcc
	s_cbranch_execz .LBB837_240
; %bb.237:
	s_movk_i32 s10, 0x7f
	v_and_b32_e32 v51, 0x7f, v30
	v_cmp_ne_u32_e32 vcc, s10, v51
	v_mov_b32_e32 v42, 0x7f80
	s_and_saveexec_b64 s[10:11], vcc
	s_cbranch_execz .LBB837_239
; %bb.238:
	v_and_b32_e32 v42, 7, v30
	v_ffbh_u32_e32 v56, v42
	v_min_u32_e32 v58, 32, v56
	v_subrev_u32_e32 v56, 28, v58
	v_lshlrev_b64 v[56:57], v56, v[30:31]
	v_lshrrev_b32_e32 v55, 3, v51
	v_sub_u32_e32 v30, 29, v58
	v_and_b32_e32 v56, 7, v56
	v_cmp_gt_u32_e32 vcc, 8, v51
	v_cndmask_b32_e32 v30, v55, v30, vcc
	v_cndmask_b32_e32 v42, v42, v56, vcc
	v_lshlrev_b32_e32 v51, 16, v31
	v_bfrev_b32_e32 v55, 60
	v_lshlrev_b32_e32 v42, 20, v42
	v_and_b32_e32 v51, 0x80000000, v51
	v_lshl_add_u32 v30, v30, 23, v55
	v_or3_b32 v30, v51, v30, v42
	v_lshrrev_b32_e32 v42, 16, v30
.LBB837_239:
	s_or_b64 exec, exec, s[10:11]
.LBB837_240:
	s_or_b64 exec, exec, s[8:9]
.LBB837_241:
	s_or_b64 exec, exec, s[2:3]
	s_movk_i32 s2, 0xff
	v_and_b32_sdwa v51, v31, s2 dst_sel:DWORD dst_unused:UNUSED_PAD src0_sel:WORD_1 src1_sel:DWORD
	v_lshrrev_b32_e32 v30, 16, v31
	v_cmp_ne_u16_e32 vcc, 0, v51
	s_and_saveexec_b64 s[2:3], vcc
	s_cbranch_execz .LBB837_247
; %bb.242:
	s_movk_i32 s8, 0x80
	v_cmp_ne_u16_e32 vcc, s8, v51
	v_mov_b32_e32 v54, 0xffff8000
	s_and_saveexec_b64 s[8:9], vcc
	s_cbranch_execz .LBB837_246
; %bb.243:
	v_bfe_u32 v51, v31, 16, 7
	s_movk_i32 s10, 0x7f
	v_cmp_ne_u32_e32 vcc, s10, v51
	v_mov_b32_e32 v54, 0x7f80
	s_and_saveexec_b64 s[10:11], vcc
	s_cbranch_execz .LBB837_245
; %bb.244:
	v_and_b32_e32 v56, 7, v30
	v_ffbh_u32_e32 v54, v56
	v_min_u32_e32 v58, 32, v54
	v_subrev_u32_e32 v54, 28, v58
	v_lshlrev_b64 v[54:55], v54, v[30:31]
	v_and_b32_e32 v54, 7, v54
	v_cmp_gt_u32_e32 vcc, 8, v51
	v_lshrrev_b32_e32 v57, 3, v51
	v_sub_u32_e32 v30, 29, v58
	v_cndmask_b32_e32 v51, v56, v54, vcc
	v_mov_b32_e32 v54, 24
	v_cndmask_b32_e32 v30, v57, v30, vcc
	v_lshlrev_b32_sdwa v54, v54, v31 dst_sel:DWORD dst_unused:UNUSED_PAD src0_sel:DWORD src1_sel:WORD_1
	v_bfrev_b32_e32 v55, 60
	v_lshlrev_b32_e32 v51, 20, v51
	v_and_b32_e32 v54, 0x80000000, v54
	v_lshl_add_u32 v30, v30, 23, v55
	v_or3_b32 v30, v54, v30, v51
	v_lshrrev_b32_e32 v54, 16, v30
.LBB837_245:
	s_or_b64 exec, exec, s[10:11]
.LBB837_246:
	s_or_b64 exec, exec, s[8:9]
.LBB837_247:
	s_or_b64 exec, exec, s[2:3]
	s_mov_b32 s2, 0xffffff
	v_cmp_lt_u32_e32 vcc, s2, v31
	v_mov_b32_e32 v51, 0
	v_mov_b32_e32 v55, 0
	s_and_saveexec_b64 s[2:3], vcc
	s_cbranch_execz .LBB837_253
; %bb.248:
	v_lshrrev_b32_e32 v30, 24, v31
	s_movk_i32 s8, 0x80
	v_cmp_ne_u32_e32 vcc, s8, v30
	v_mov_b32_e32 v55, 0xffff8000
	s_and_saveexec_b64 s[8:9], vcc
	s_cbranch_execz .LBB837_252
; %bb.249:
	v_bfe_u32 v31, v31, 24, 7
	s_movk_i32 s10, 0x7f
	v_cmp_ne_u32_e32 vcc, s10, v31
	v_mov_b32_e32 v55, 0x7f80
	s_and_saveexec_b64 s[10:11], vcc
	s_cbranch_execz .LBB837_251
; %bb.250:
	v_and_b32_e32 v55, 7, v30
	v_ffbh_u32_e32 v56, v55
	v_min_u32_e32 v59, 32, v56
	v_subrev_u32_e32 v56, 28, v59
	v_lshlrev_b64 v[56:57], v56, v[30:31]
	v_lshrrev_b32_e32 v58, 3, v31
	v_sub_u32_e32 v57, 29, v59
	v_and_b32_e32 v56, 7, v56
	v_cmp_gt_u32_e32 vcc, 8, v31
	v_cndmask_b32_e32 v31, v58, v57, vcc
	v_cndmask_b32_e32 v55, v55, v56, vcc
	v_lshlrev_b32_e32 v30, 24, v30
	v_bfrev_b32_e32 v56, 60
	v_lshlrev_b32_e32 v55, 20, v55
	v_and_b32_e32 v30, 0x80000000, v30
	v_lshl_add_u32 v31, v31, 23, v56
	v_or3_b32 v30, v30, v31, v55
	v_lshrrev_b32_e32 v55, 16, v30
.LBB837_251:
	s_or_b64 exec, exec, s[10:11]
.LBB837_252:
	s_or_b64 exec, exec, s[8:9]
.LBB837_253:
	s_or_b64 exec, exec, s[2:3]
	s_mov_b32 s2, 0x5040100
	v_perm_b32 v31, v53, v44, s2
	v_perm_b32 v30, v43, v52, s2
	v_cmp_ne_u16_sdwa s[8:9], v32, v51 src0_sel:BYTE_0 src1_sel:DWORD
	s_nop 0
	v_mfma_f32_16x16x16bf16_1k v[56:59], v[30:31], v[26:27], 0
	v_perm_b32 v31, v55, v54, s2
	v_perm_b32 v30, v42, v45, s2
	s_nop 1
	v_mfma_f32_16x16x16bf16_1k v[42:45], v[30:31], v[28:29], v[56:59]
	s_and_saveexec_b64 s[2:3], s[8:9]
	s_cbranch_execz .LBB837_259
; %bb.254:
	s_movk_i32 s8, 0x80
	v_cmp_ne_u16_sdwa s[10:11], v32, s8 src0_sel:BYTE_0 src1_sel:DWORD
	v_mov_b32_e32 v51, 0xffff8000
	s_and_saveexec_b64 s[8:9], s[10:11]
	s_cbranch_execz .LBB837_258
; %bb.255:
	s_movk_i32 s10, 0x7f
	v_and_b32_e32 v30, 0x7f, v32
	v_cmp_ne_u32_e32 vcc, s10, v30
	v_mov_b32_e32 v51, 0x7f80
	s_and_saveexec_b64 s[10:11], vcc
	s_cbranch_execz .LBB837_257
; %bb.256:
	v_and_b32_e32 v31, 7, v32
	v_ffbh_u32_e32 v52, v31
	v_min_u32_e32 v54, 32, v52
	v_subrev_u32_e32 v52, 28, v54
	v_lshlrev_b64 v[52:53], v52, v[32:33]
	v_lshrrev_b32_e32 v51, 3, v30
	v_sub_u32_e32 v53, 29, v54
	v_and_b32_e32 v52, 7, v52
	v_cmp_gt_u32_e32 vcc, 8, v30
	v_cndmask_b32_e32 v30, v51, v53, vcc
	v_cndmask_b32_e32 v31, v31, v52, vcc
	v_lshlrev_b32_e32 v51, 24, v32
	v_bfrev_b32_e32 v52, 60
	v_lshlrev_b32_e32 v31, 20, v31
	v_and_b32_e32 v51, 0x80000000, v51
	v_lshl_add_u32 v30, v30, 23, v52
	v_or3_b32 v30, v51, v30, v31
	v_lshrrev_b32_e32 v51, 16, v30
.LBB837_257:
	s_or_b64 exec, exec, s[10:11]
.LBB837_258:
	s_or_b64 exec, exec, s[8:9]
.LBB837_259:
	s_or_b64 exec, exec, s[2:3]
	v_lshrrev_b16_e32 v30, 8, v32
	v_cmp_ne_u16_e32 vcc, 0, v30
	v_mov_b32_e32 v53, 0
	v_mov_b32_e32 v31, 0
	s_and_saveexec_b64 s[2:3], vcc
	s_cbranch_execz .LBB837_265
; %bb.260:
	s_movk_i32 s8, 0x80
	v_cmp_ne_u16_e32 vcc, s8, v30
	v_mov_b32_e32 v31, 0xffff8000
	s_and_saveexec_b64 s[8:9], vcc
	s_cbranch_execz .LBB837_264
; %bb.261:
	s_movk_i32 s10, 0x7f
	v_and_b32_e32 v52, 0x7f, v30
	v_cmp_ne_u32_e32 vcc, s10, v52
	v_mov_b32_e32 v31, 0x7f80
	s_and_saveexec_b64 s[10:11], vcc
	s_cbranch_execz .LBB837_263
; %bb.262:
	v_and_b32_e32 v54, 7, v30
	v_ffbh_u32_e32 v31, v54
	v_min_u32_e32 v56, 32, v31
	v_subrev_u32_e32 v31, 28, v56
	v_lshlrev_b64 v[30:31], v31, v[30:31]
	v_lshrrev_b32_e32 v55, 3, v52
	v_sub_u32_e32 v31, 29, v56
	v_and_b32_e32 v30, 7, v30
	v_cmp_gt_u32_e32 vcc, 8, v52
	v_cndmask_b32_e32 v31, v55, v31, vcc
	v_cndmask_b32_e32 v30, v54, v30, vcc
	v_lshlrev_b32_e32 v52, 16, v32
	v_bfrev_b32_e32 v54, 60
	v_lshlrev_b32_e32 v30, 20, v30
	v_and_b32_e32 v52, 0x80000000, v52
	v_lshl_add_u32 v31, v31, 23, v54
	v_or3_b32 v30, v52, v31, v30
	v_lshrrev_b32_e32 v31, 16, v30
.LBB837_263:
	s_or_b64 exec, exec, s[10:11]
.LBB837_264:
	s_or_b64 exec, exec, s[8:9]
.LBB837_265:
	s_or_b64 exec, exec, s[2:3]
	s_movk_i32 s2, 0xff
	v_and_b32_sdwa v52, v32, s2 dst_sel:DWORD dst_unused:UNUSED_PAD src0_sel:WORD_1 src1_sel:DWORD
	v_lshrrev_b32_e32 v30, 16, v32
	v_cmp_ne_u16_e32 vcc, 0, v52
	s_and_saveexec_b64 s[2:3], vcc
	s_cbranch_execz .LBB837_271
; %bb.266:
	s_movk_i32 s8, 0x80
	v_cmp_ne_u16_e32 vcc, s8, v52
	v_mov_b32_e32 v53, 0xffff8000
	s_and_saveexec_b64 s[8:9], vcc
	s_cbranch_execz .LBB837_270
; %bb.267:
	v_bfe_u32 v52, v32, 16, 7
	s_movk_i32 s10, 0x7f
	v_cmp_ne_u32_e32 vcc, s10, v52
	v_mov_b32_e32 v53, 0x7f80
	s_and_saveexec_b64 s[10:11], vcc
	s_cbranch_execz .LBB837_269
; %bb.268:
	v_and_b32_e32 v53, 7, v30
	v_ffbh_u32_e32 v54, v53
	v_min_u32_e32 v57, 32, v54
	v_subrev_u32_e32 v54, 28, v57
	v_lshlrev_b64 v[54:55], v54, v[30:31]
	v_and_b32_e32 v54, 7, v54
	v_cmp_gt_u32_e32 vcc, 8, v52
	v_lshrrev_b32_e32 v56, 3, v52
	v_sub_u32_e32 v30, 29, v57
	v_cndmask_b32_e32 v52, v53, v54, vcc
	v_mov_b32_e32 v53, 24
	v_cndmask_b32_e32 v30, v56, v30, vcc
	v_lshlrev_b32_sdwa v53, v53, v32 dst_sel:DWORD dst_unused:UNUSED_PAD src0_sel:DWORD src1_sel:WORD_1
	v_bfrev_b32_e32 v54, 60
	v_lshlrev_b32_e32 v52, 20, v52
	v_and_b32_e32 v53, 0x80000000, v53
	v_lshl_add_u32 v30, v30, 23, v54
	v_or3_b32 v30, v53, v30, v52
	v_lshrrev_b32_e32 v53, 16, v30
.LBB837_269:
	s_or_b64 exec, exec, s[10:11]
.LBB837_270:
	s_or_b64 exec, exec, s[8:9]
.LBB837_271:
	s_or_b64 exec, exec, s[2:3]
	s_mov_b32 s2, 0xffffff
	v_cmp_lt_u32_e32 vcc, s2, v32
	v_mov_b32_e32 v54, 0
	v_mov_b32_e32 v55, 0
	s_and_saveexec_b64 s[2:3], vcc
	s_cbranch_execz .LBB837_277
; %bb.272:
	v_lshrrev_b32_e32 v30, 24, v32
	s_movk_i32 s8, 0x80
	v_cmp_ne_u32_e32 vcc, s8, v30
	v_mov_b32_e32 v55, 0xffff8000
	s_and_saveexec_b64 s[8:9], vcc
	s_cbranch_execz .LBB837_276
; %bb.273:
	v_bfe_u32 v32, v32, 24, 7
	s_movk_i32 s10, 0x7f
	v_cmp_ne_u32_e32 vcc, s10, v32
	v_mov_b32_e32 v55, 0x7f80
	s_and_saveexec_b64 s[10:11], vcc
	s_cbranch_execz .LBB837_275
; %bb.274:
	v_and_b32_e32 v52, 7, v30
	v_ffbh_u32_e32 v56, v52
	v_min_u32_e32 v58, 32, v56
	v_subrev_u32_e32 v56, 28, v58
	v_lshlrev_b64 v[56:57], v56, v[30:31]
	v_lshrrev_b32_e32 v55, 3, v32
	v_sub_u32_e32 v57, 29, v58
	v_and_b32_e32 v56, 7, v56
	v_cmp_gt_u32_e32 vcc, 8, v32
	v_cndmask_b32_e32 v32, v55, v57, vcc
	v_cndmask_b32_e32 v52, v52, v56, vcc
	v_lshlrev_b32_e32 v30, 24, v30
	v_bfrev_b32_e32 v55, 60
	v_lshlrev_b32_e32 v52, 20, v52
	v_and_b32_e32 v30, 0x80000000, v30
	v_lshl_add_u32 v32, v32, 23, v55
	v_or3_b32 v30, v30, v32, v52
	v_lshrrev_b32_e32 v55, 16, v30
.LBB837_275:
	s_or_b64 exec, exec, s[10:11]
.LBB837_276:
	s_or_b64 exec, exec, s[8:9]
.LBB837_277:
	s_or_b64 exec, exec, s[2:3]
	v_cmp_ne_u16_sdwa s[8:9], v33, v54 src0_sel:BYTE_0 src1_sel:DWORD
	s_and_saveexec_b64 s[2:3], s[8:9]
	s_cbranch_execz .LBB837_283
; %bb.278:
	s_movk_i32 s8, 0x80
	v_cmp_ne_u16_sdwa s[10:11], v33, s8 src0_sel:BYTE_0 src1_sel:DWORD
	v_mov_b32_e32 v54, 0xffff8000
	s_and_saveexec_b64 s[8:9], s[10:11]
	s_cbranch_execz .LBB837_282
; %bb.279:
	s_movk_i32 s10, 0x7f
	v_and_b32_e32 v30, 0x7f, v33
	v_cmp_ne_u32_e32 vcc, s10, v30
	v_mov_b32_e32 v54, 0x7f80
	s_and_saveexec_b64 s[10:11], vcc
	s_cbranch_execz .LBB837_281
; %bb.280:
	v_and_b32_e32 v52, 7, v33
	v_ffbh_u32_e32 v56, v52
	v_min_u32_e32 v58, 32, v56
	v_mov_b32_e32 v32, v33
	v_subrev_u32_e32 v56, 28, v58
	v_lshlrev_b64 v[56:57], v56, v[32:33]
	v_lshrrev_b32_e32 v54, 3, v30
	v_sub_u32_e32 v32, 29, v58
	v_and_b32_e32 v56, 7, v56
	v_cmp_gt_u32_e32 vcc, 8, v30
	v_cndmask_b32_e32 v30, v54, v32, vcc
	v_cndmask_b32_e32 v32, v52, v56, vcc
	v_lshlrev_b32_e32 v52, 24, v33
	v_bfrev_b32_e32 v54, 60
	v_lshlrev_b32_e32 v32, 20, v32
	v_and_b32_e32 v52, 0x80000000, v52
	v_lshl_add_u32 v30, v30, 23, v54
	v_or3_b32 v30, v52, v30, v32
	v_lshrrev_b32_e32 v54, 16, v30
.LBB837_281:
	s_or_b64 exec, exec, s[10:11]
.LBB837_282:
	s_or_b64 exec, exec, s[8:9]
.LBB837_283:
	s_or_b64 exec, exec, s[2:3]
	v_lshrrev_b16_e32 v30, 8, v33
	v_cmp_ne_u16_e32 vcc, 0, v30
	v_mov_b32_e32 v56, 0
	v_mov_b32_e32 v32, 0
	s_and_saveexec_b64 s[2:3], vcc
	s_cbranch_execz .LBB837_289
; %bb.284:
	s_movk_i32 s8, 0x80
	v_cmp_ne_u16_e32 vcc, s8, v30
	v_mov_b32_e32 v32, 0xffff8000
	s_and_saveexec_b64 s[8:9], vcc
	s_cbranch_execz .LBB837_288
; %bb.285:
	s_movk_i32 s10, 0x7f
	v_and_b32_e32 v52, 0x7f, v30
	v_cmp_ne_u32_e32 vcc, s10, v52
	v_mov_b32_e32 v32, 0x7f80
	s_and_saveexec_b64 s[10:11], vcc
	s_cbranch_execz .LBB837_287
; %bb.286:
	v_and_b32_e32 v32, 7, v30
	v_ffbh_u32_e32 v58, v32
	v_min_u32_e32 v60, 32, v58
	v_subrev_u32_e32 v58, 28, v60
	v_lshlrev_b64 v[58:59], v58, v[30:31]
	v_lshrrev_b32_e32 v57, 3, v52
	v_sub_u32_e32 v30, 29, v60
	v_and_b32_e32 v58, 7, v58
	v_cmp_gt_u32_e32 vcc, 8, v52
	v_cndmask_b32_e32 v30, v57, v30, vcc
	v_cndmask_b32_e32 v32, v32, v58, vcc
	v_lshlrev_b32_e32 v52, 16, v33
	v_bfrev_b32_e32 v57, 60
	v_lshlrev_b32_e32 v32, 20, v32
	v_and_b32_e32 v52, 0x80000000, v52
	v_lshl_add_u32 v30, v30, 23, v57
	v_or3_b32 v30, v52, v30, v32
	v_lshrrev_b32_e32 v32, 16, v30
.LBB837_287:
	s_or_b64 exec, exec, s[10:11]
.LBB837_288:
	s_or_b64 exec, exec, s[8:9]
.LBB837_289:
	s_or_b64 exec, exec, s[2:3]
	s_movk_i32 s2, 0xff
	v_and_b32_sdwa v52, v33, s2 dst_sel:DWORD dst_unused:UNUSED_PAD src0_sel:WORD_1 src1_sel:DWORD
	v_lshrrev_b32_e32 v30, 16, v33
	v_cmp_ne_u16_e32 vcc, 0, v52
	s_and_saveexec_b64 s[2:3], vcc
	s_cbranch_execz .LBB837_295
; %bb.290:
	s_movk_i32 s8, 0x80
	v_cmp_ne_u16_e32 vcc, s8, v52
	v_mov_b32_e32 v56, 0xffff8000
	s_and_saveexec_b64 s[8:9], vcc
	s_cbranch_execz .LBB837_294
; %bb.291:
	v_bfe_u32 v52, v33, 16, 7
	s_movk_i32 s10, 0x7f
	v_cmp_ne_u32_e32 vcc, s10, v52
	v_mov_b32_e32 v56, 0x7f80
	s_and_saveexec_b64 s[10:11], vcc
	s_cbranch_execz .LBB837_293
; %bb.292:
	v_and_b32_e32 v58, 7, v30
	v_ffbh_u32_e32 v56, v58
	v_min_u32_e32 v60, 32, v56
	v_subrev_u32_e32 v56, 28, v60
	v_lshlrev_b64 v[56:57], v56, v[30:31]
	v_and_b32_e32 v56, 7, v56
	v_cmp_gt_u32_e32 vcc, 8, v52
	v_lshrrev_b32_e32 v59, 3, v52
	v_sub_u32_e32 v30, 29, v60
	v_cndmask_b32_e32 v52, v58, v56, vcc
	v_mov_b32_e32 v56, 24
	v_cndmask_b32_e32 v30, v59, v30, vcc
	v_lshlrev_b32_sdwa v56, v56, v33 dst_sel:DWORD dst_unused:UNUSED_PAD src0_sel:DWORD src1_sel:WORD_1
	v_bfrev_b32_e32 v57, 60
	v_lshlrev_b32_e32 v52, 20, v52
	v_and_b32_e32 v56, 0x80000000, v56
	v_lshl_add_u32 v30, v30, 23, v57
	v_or3_b32 v30, v56, v30, v52
	v_lshrrev_b32_e32 v56, 16, v30
.LBB837_293:
	s_or_b64 exec, exec, s[10:11]
.LBB837_294:
	s_or_b64 exec, exec, s[8:9]
.LBB837_295:
	s_or_b64 exec, exec, s[2:3]
	s_mov_b32 s2, 0xffffff
	v_cmp_lt_u32_e32 vcc, s2, v33
	v_mov_b32_e32 v52, 0
	v_mov_b32_e32 v57, 0
	s_and_saveexec_b64 s[2:3], vcc
	s_cbranch_execz .LBB837_301
; %bb.296:
	v_lshrrev_b32_e32 v30, 24, v33
	s_movk_i32 s8, 0x80
	v_cmp_ne_u32_e32 vcc, s8, v30
	v_mov_b32_e32 v57, 0xffff8000
	s_and_saveexec_b64 s[8:9], vcc
	s_cbranch_execz .LBB837_300
; %bb.297:
	v_bfe_u32 v33, v33, 24, 7
	s_movk_i32 s10, 0x7f
	v_cmp_ne_u32_e32 vcc, s10, v33
	v_mov_b32_e32 v57, 0x7f80
	s_and_saveexec_b64 s[10:11], vcc
	s_cbranch_execz .LBB837_299
; %bb.298:
	v_and_b32_e32 v57, 7, v30
	v_ffbh_u32_e32 v58, v57
	v_min_u32_e32 v61, 32, v58
	v_subrev_u32_e32 v58, 28, v61
	v_lshlrev_b64 v[58:59], v58, v[30:31]
	v_lshrrev_b32_e32 v60, 3, v33
	v_sub_u32_e32 v59, 29, v61
	v_and_b32_e32 v58, 7, v58
	v_cmp_gt_u32_e32 vcc, 8, v33
	v_cndmask_b32_e32 v33, v60, v59, vcc
	v_cndmask_b32_e32 v57, v57, v58, vcc
	v_lshlrev_b32_e32 v30, 24, v30
	v_bfrev_b32_e32 v58, 60
	v_lshlrev_b32_e32 v57, 20, v57
	v_and_b32_e32 v30, 0x80000000, v30
	v_lshl_add_u32 v33, v33, 23, v58
	v_or3_b32 v30, v30, v33, v57
	v_lshrrev_b32_e32 v57, 16, v30
.LBB837_299:
	s_or_b64 exec, exec, s[10:11]
.LBB837_300:
	s_or_b64 exec, exec, s[8:9]
.LBB837_301:
	s_or_b64 exec, exec, s[2:3]
	s_mov_b32 s2, 0x5040100
	v_perm_b32 v59, v55, v53, s2
	v_perm_b32 v58, v31, v51, s2
	;; [unrolled: 1-line block ×4, first 2 shown]
	v_cmp_ne_u16_sdwa s[8:9], v22, v52 src0_sel:BYTE_0 src1_sel:DWORD
	v_mfma_f32_16x16x16bf16_1k v[42:45], v[58:59], v[18:19], v[42:45]
	v_mfma_f32_16x16x16bf16_1k v[30:33], v[30:31], v[20:21], v[42:45]
	s_and_saveexec_b64 s[2:3], s[8:9]
	s_cbranch_execz .LBB837_307
; %bb.302:
	s_movk_i32 s8, 0x80
	v_cmp_ne_u16_sdwa s[10:11], v22, s8 src0_sel:BYTE_0 src1_sel:DWORD
	v_mov_b32_e32 v52, 0xffff8000
	s_and_saveexec_b64 s[8:9], s[10:11]
	s_cbranch_execz .LBB837_306
; %bb.303:
	s_movk_i32 s10, 0x7f
	s_nop 1
	v_and_b32_e32 v42, 0x7f, v22
	v_cmp_ne_u32_e32 vcc, s10, v42
	v_mov_b32_e32 v52, 0x7f80
	s_and_saveexec_b64 s[10:11], vcc
	s_cbranch_execz .LBB837_305
; %bb.304:
	v_and_b32_e32 v43, 7, v22
	v_ffbh_u32_e32 v44, v43
	v_min_u32_e32 v52, 32, v44
	v_subrev_u32_e32 v44, 28, v52
	v_lshlrev_b64 v[44:45], v44, v[22:23]
	v_lshrrev_b32_e32 v51, 3, v42
	v_sub_u32_e32 v45, 29, v52
	v_and_b32_e32 v44, 7, v44
	v_cmp_gt_u32_e32 vcc, 8, v42
	v_cndmask_b32_e32 v42, v51, v45, vcc
	v_cndmask_b32_e32 v43, v43, v44, vcc
	v_lshlrev_b32_e32 v44, 24, v22
	v_bfrev_b32_e32 v45, 60
	v_lshlrev_b32_e32 v43, 20, v43
	v_and_b32_e32 v44, 0x80000000, v44
	v_lshl_add_u32 v42, v42, 23, v45
	v_or3_b32 v42, v44, v42, v43
	v_lshrrev_b32_e32 v52, 16, v42
.LBB837_305:
	s_or_b64 exec, exec, s[10:11]
.LBB837_306:
	s_or_b64 exec, exec, s[8:9]
.LBB837_307:
	s_or_b64 exec, exec, s[2:3]
	s_nop 6
	v_lshrrev_b16_e32 v42, 8, v22
	v_cmp_ne_u16_e32 vcc, 0, v42
	v_mov_b32_e32 v44, 0
	v_mov_b32_e32 v43, 0
	s_and_saveexec_b64 s[2:3], vcc
	s_cbranch_execz .LBB837_313
; %bb.308:
	s_movk_i32 s8, 0x80
	v_cmp_ne_u16_e32 vcc, s8, v42
	v_mov_b32_e32 v43, 0xffff8000
	s_and_saveexec_b64 s[8:9], vcc
	s_cbranch_execz .LBB837_312
; %bb.309:
	s_movk_i32 s10, 0x7f
	v_and_b32_e32 v45, 0x7f, v42
	v_cmp_ne_u32_e32 vcc, s10, v45
	v_mov_b32_e32 v43, 0x7f80
	s_and_saveexec_b64 s[10:11], vcc
	s_cbranch_execz .LBB837_311
; %bb.310:
	v_and_b32_e32 v51, 7, v42
	v_ffbh_u32_e32 v43, v51
	v_min_u32_e32 v54, 32, v43
	v_subrev_u32_e32 v43, 28, v54
	v_lshlrev_b64 v[42:43], v43, v[42:43]
	v_lshrrev_b32_e32 v53, 3, v45
	v_sub_u32_e32 v43, 29, v54
	v_and_b32_e32 v42, 7, v42
	v_cmp_gt_u32_e32 vcc, 8, v45
	v_cndmask_b32_e32 v43, v53, v43, vcc
	v_cndmask_b32_e32 v42, v51, v42, vcc
	v_lshlrev_b32_e32 v45, 16, v22
	v_bfrev_b32_e32 v51, 60
	v_lshlrev_b32_e32 v42, 20, v42
	v_and_b32_e32 v45, 0x80000000, v45
	v_lshl_add_u32 v43, v43, 23, v51
	v_or3_b32 v42, v45, v43, v42
	v_lshrrev_b32_e32 v43, 16, v42
.LBB837_311:
	s_or_b64 exec, exec, s[10:11]
.LBB837_312:
	s_or_b64 exec, exec, s[8:9]
.LBB837_313:
	s_or_b64 exec, exec, s[2:3]
	s_movk_i32 s2, 0xff
	v_and_b32_sdwa v45, v22, s2 dst_sel:DWORD dst_unused:UNUSED_PAD src0_sel:WORD_1 src1_sel:DWORD
	v_lshrrev_b32_e32 v42, 16, v22
	v_cmp_ne_u16_e32 vcc, 0, v45
	s_and_saveexec_b64 s[2:3], vcc
	s_cbranch_execz .LBB837_319
; %bb.314:
	s_movk_i32 s8, 0x80
	v_cmp_ne_u16_e32 vcc, s8, v45
	v_mov_b32_e32 v44, 0xffff8000
	s_and_saveexec_b64 s[8:9], vcc
	s_cbranch_execz .LBB837_318
; %bb.315:
	v_bfe_u32 v45, v22, 16, 7
	s_movk_i32 s10, 0x7f
	v_cmp_ne_u32_e32 vcc, s10, v45
	v_mov_b32_e32 v44, 0x7f80
	s_and_saveexec_b64 s[10:11], vcc
	s_cbranch_execz .LBB837_317
; %bb.316:
	v_and_b32_e32 v44, 7, v42
	v_ffbh_u32_e32 v53, v44
	v_min_u32_e32 v53, 32, v53
	v_subrev_u32_e32 v54, 28, v53
	v_lshlrev_b64 v[54:55], v54, v[42:43]
	v_lshrrev_b32_e32 v51, 3, v45
	v_sub_u32_e32 v42, 29, v53
	v_and_b32_e32 v53, 7, v54
	v_cmp_gt_u32_e32 vcc, 8, v45
	v_mov_b32_e32 v45, 24
	v_cndmask_b32_e32 v42, v51, v42, vcc
	v_cndmask_b32_e32 v44, v44, v53, vcc
	v_lshlrev_b32_sdwa v45, v45, v22 dst_sel:DWORD dst_unused:UNUSED_PAD src0_sel:DWORD src1_sel:WORD_1
	v_bfrev_b32_e32 v51, 60
	v_lshlrev_b32_e32 v44, 20, v44
	v_and_b32_e32 v45, 0x80000000, v45
	v_lshl_add_u32 v42, v42, 23, v51
	v_or3_b32 v42, v45, v42, v44
	v_lshrrev_b32_e32 v44, 16, v42
.LBB837_317:
	s_or_b64 exec, exec, s[10:11]
.LBB837_318:
	s_or_b64 exec, exec, s[8:9]
.LBB837_319:
	s_or_b64 exec, exec, s[2:3]
	s_mov_b32 s2, 0xffffff
	v_cmp_lt_u32_e32 vcc, s2, v22
	v_mov_b32_e32 v45, 0
	v_mov_b32_e32 v51, 0
	s_and_saveexec_b64 s[2:3], vcc
	s_cbranch_execz .LBB837_325
; %bb.320:
	v_lshrrev_b32_e32 v42, 24, v22
	s_movk_i32 s8, 0x80
	v_cmp_ne_u32_e32 vcc, s8, v42
	v_mov_b32_e32 v51, 0xffff8000
	s_and_saveexec_b64 s[8:9], vcc
	s_cbranch_execz .LBB837_324
; %bb.321:
	v_bfe_u32 v22, v22, 24, 7
	s_movk_i32 s10, 0x7f
	v_cmp_ne_u32_e32 vcc, s10, v22
	v_mov_b32_e32 v51, 0x7f80
	s_and_saveexec_b64 s[10:11], vcc
	s_cbranch_execz .LBB837_323
; %bb.322:
	v_and_b32_e32 v51, 7, v42
	v_ffbh_u32_e32 v54, v51
	v_min_u32_e32 v56, 32, v54
	v_subrev_u32_e32 v54, 28, v56
	v_lshlrev_b64 v[54:55], v54, v[42:43]
	v_lshrrev_b32_e32 v53, 3, v22
	v_sub_u32_e32 v55, 29, v56
	v_and_b32_e32 v54, 7, v54
	v_cmp_gt_u32_e32 vcc, 8, v22
	v_cndmask_b32_e32 v22, v53, v55, vcc
	v_cndmask_b32_e32 v51, v51, v54, vcc
	v_lshlrev_b32_e32 v42, 24, v42
	v_bfrev_b32_e32 v53, 60
	v_lshlrev_b32_e32 v51, 20, v51
	v_and_b32_e32 v42, 0x80000000, v42
	v_lshl_add_u32 v22, v22, 23, v53
	v_or3_b32 v22, v42, v22, v51
	v_lshrrev_b32_e32 v51, 16, v22
.LBB837_323:
	s_or_b64 exec, exec, s[10:11]
.LBB837_324:
	s_or_b64 exec, exec, s[8:9]
.LBB837_325:
	s_or_b64 exec, exec, s[2:3]
	v_cmp_ne_u16_sdwa s[8:9], v23, v45 src0_sel:BYTE_0 src1_sel:DWORD
	s_and_saveexec_b64 s[2:3], s[8:9]
	s_cbranch_execz .LBB837_331
; %bb.326:
	s_movk_i32 s8, 0x80
	v_cmp_ne_u16_sdwa s[10:11], v23, s8 src0_sel:BYTE_0 src1_sel:DWORD
	v_mov_b32_e32 v45, 0xffff8000
	s_and_saveexec_b64 s[8:9], s[10:11]
	s_cbranch_execz .LBB837_330
; %bb.327:
	s_movk_i32 s10, 0x7f
	v_and_b32_e32 v22, 0x7f, v23
	v_cmp_ne_u32_e32 vcc, s10, v22
	v_mov_b32_e32 v45, 0x7f80
	s_and_saveexec_b64 s[10:11], vcc
	s_cbranch_execz .LBB837_329
; %bb.328:
	v_and_b32_e32 v45, 7, v23
	v_ffbh_u32_e32 v54, v45
	v_min_u32_e32 v56, 32, v54
	v_mov_b32_e32 v42, v23
	v_subrev_u32_e32 v54, 28, v56
	v_lshlrev_b64 v[54:55], v54, v[42:43]
	v_lshrrev_b32_e32 v53, 3, v22
	v_sub_u32_e32 v42, 29, v56
	v_and_b32_e32 v54, 7, v54
	v_cmp_gt_u32_e32 vcc, 8, v22
	v_cndmask_b32_e32 v22, v53, v42, vcc
	v_cndmask_b32_e32 v42, v45, v54, vcc
	v_lshlrev_b32_e32 v45, 24, v23
	v_bfrev_b32_e32 v53, 60
	v_lshlrev_b32_e32 v42, 20, v42
	v_and_b32_e32 v45, 0x80000000, v45
	v_lshl_add_u32 v22, v22, 23, v53
	v_or3_b32 v22, v45, v22, v42
	v_lshrrev_b32_e32 v45, 16, v22
.LBB837_329:
	s_or_b64 exec, exec, s[10:11]
.LBB837_330:
	s_or_b64 exec, exec, s[8:9]
.LBB837_331:
	s_or_b64 exec, exec, s[2:3]
	v_lshrrev_b16_e32 v22, 8, v23
	v_cmp_ne_u16_e32 vcc, 0, v22
	v_mov_b32_e32 v54, 0
	v_mov_b32_e32 v53, 0
	s_and_saveexec_b64 s[2:3], vcc
	s_cbranch_execz .LBB837_337
; %bb.332:
	s_movk_i32 s8, 0x80
	v_cmp_ne_u16_e32 vcc, s8, v22
	v_mov_b32_e32 v53, 0xffff8000
	s_and_saveexec_b64 s[8:9], vcc
	s_cbranch_execz .LBB837_336
; %bb.333:
	s_movk_i32 s10, 0x7f
	v_and_b32_e32 v42, 0x7f, v22
	v_cmp_ne_u32_e32 vcc, s10, v42
	v_mov_b32_e32 v53, 0x7f80
	s_and_saveexec_b64 s[10:11], vcc
	s_cbranch_execz .LBB837_335
; %bb.334:
	v_and_b32_e32 v53, 7, v22
	v_ffbh_u32_e32 v56, v53
	v_min_u32_e32 v58, 32, v56
	v_subrev_u32_e32 v56, 28, v58
	v_lshlrev_b64 v[56:57], v56, v[22:23]
	v_lshrrev_b32_e32 v55, 3, v42
	v_sub_u32_e32 v22, 29, v58
	v_and_b32_e32 v56, 7, v56
	v_cmp_gt_u32_e32 vcc, 8, v42
	v_cndmask_b32_e32 v22, v55, v22, vcc
	v_cndmask_b32_e32 v42, v53, v56, vcc
	v_lshlrev_b32_e32 v53, 16, v23
	v_bfrev_b32_e32 v55, 60
	v_lshlrev_b32_e32 v42, 20, v42
	v_and_b32_e32 v53, 0x80000000, v53
	v_lshl_add_u32 v22, v22, 23, v55
	v_or3_b32 v22, v53, v22, v42
	v_lshrrev_b32_e32 v53, 16, v22
.LBB837_335:
	s_or_b64 exec, exec, s[10:11]
.LBB837_336:
	s_or_b64 exec, exec, s[8:9]
.LBB837_337:
	s_or_b64 exec, exec, s[2:3]
	s_movk_i32 s2, 0xff
	v_and_b32_sdwa v42, v23, s2 dst_sel:DWORD dst_unused:UNUSED_PAD src0_sel:WORD_1 src1_sel:DWORD
	v_lshrrev_b32_e32 v22, 16, v23
	v_cmp_ne_u16_e32 vcc, 0, v42
	s_and_saveexec_b64 s[2:3], vcc
	s_cbranch_execz .LBB837_343
; %bb.338:
	s_movk_i32 s8, 0x80
	v_cmp_ne_u16_e32 vcc, s8, v42
	v_mov_b32_e32 v54, 0xffff8000
	s_and_saveexec_b64 s[8:9], vcc
	s_cbranch_execz .LBB837_342
; %bb.339:
	v_bfe_u32 v42, v23, 16, 7
	s_movk_i32 s10, 0x7f
	v_cmp_ne_u32_e32 vcc, s10, v42
	v_mov_b32_e32 v54, 0x7f80
	s_and_saveexec_b64 s[10:11], vcc
	s_cbranch_execz .LBB837_341
; %bb.340:
	v_and_b32_e32 v56, 7, v22
	v_ffbh_u32_e32 v54, v56
	v_min_u32_e32 v58, 32, v54
	v_subrev_u32_e32 v54, 28, v58
	v_lshlrev_b64 v[54:55], v54, v[22:23]
	v_and_b32_e32 v54, 7, v54
	v_cmp_gt_u32_e32 vcc, 8, v42
	v_lshrrev_b32_e32 v57, 3, v42
	v_sub_u32_e32 v22, 29, v58
	v_cndmask_b32_e32 v42, v56, v54, vcc
	v_mov_b32_e32 v54, 24
	v_cndmask_b32_e32 v22, v57, v22, vcc
	v_lshlrev_b32_sdwa v54, v54, v23 dst_sel:DWORD dst_unused:UNUSED_PAD src0_sel:DWORD src1_sel:WORD_1
	v_bfrev_b32_e32 v55, 60
	v_lshlrev_b32_e32 v42, 20, v42
	v_and_b32_e32 v54, 0x80000000, v54
	v_lshl_add_u32 v22, v22, 23, v55
	v_or3_b32 v22, v54, v22, v42
	v_lshrrev_b32_e32 v54, 16, v22
.LBB837_341:
	s_or_b64 exec, exec, s[10:11]
.LBB837_342:
	s_or_b64 exec, exec, s[8:9]
.LBB837_343:
	s_or_b64 exec, exec, s[2:3]
	s_mov_b32 s2, 0xffffff
	v_cmp_lt_u32_e32 vcc, s2, v23
	v_mov_b32_e32 v42, 0
	v_mov_b32_e32 v55, 0
	s_and_saveexec_b64 s[2:3], vcc
	s_cbranch_execz .LBB837_349
; %bb.344:
	v_lshrrev_b32_e32 v22, 24, v23
	s_movk_i32 s8, 0x80
	v_cmp_ne_u32_e32 vcc, s8, v22
	v_mov_b32_e32 v55, 0xffff8000
	s_and_saveexec_b64 s[8:9], vcc
	s_cbranch_execz .LBB837_348
; %bb.345:
	v_bfe_u32 v23, v23, 24, 7
	s_movk_i32 s10, 0x7f
	v_cmp_ne_u32_e32 vcc, s10, v23
	v_mov_b32_e32 v55, 0x7f80
	s_and_saveexec_b64 s[10:11], vcc
	s_cbranch_execz .LBB837_347
; %bb.346:
	v_and_b32_e32 v55, 7, v22
	v_ffbh_u32_e32 v56, v55
	v_min_u32_e32 v59, 32, v56
	v_subrev_u32_e32 v56, 28, v59
	v_lshlrev_b64 v[56:57], v56, v[22:23]
	v_lshrrev_b32_e32 v58, 3, v23
	v_sub_u32_e32 v57, 29, v59
	v_and_b32_e32 v56, 7, v56
	v_cmp_gt_u32_e32 vcc, 8, v23
	v_cndmask_b32_e32 v23, v58, v57, vcc
	v_cndmask_b32_e32 v55, v55, v56, vcc
	v_lshlrev_b32_e32 v22, 24, v22
	v_bfrev_b32_e32 v56, 60
	v_lshlrev_b32_e32 v55, 20, v55
	v_and_b32_e32 v22, 0x80000000, v22
	v_lshl_add_u32 v23, v23, 23, v56
	v_or3_b32 v22, v22, v23, v55
	v_lshrrev_b32_e32 v55, 16, v22
.LBB837_347:
	s_or_b64 exec, exec, s[10:11]
.LBB837_348:
	s_or_b64 exec, exec, s[8:9]
.LBB837_349:
	s_or_b64 exec, exec, s[2:3]
	s_mov_b32 s2, 0x5040100
	v_perm_b32 v23, v51, v44, s2
	v_perm_b32 v22, v43, v52, s2
	v_cmp_ne_u16_sdwa s[8:9], v24, v42 src0_sel:BYTE_0 src1_sel:DWORD
	s_nop 0
	v_mfma_f32_16x16x16bf16_1k v[56:59], v[22:23], v[26:27], 0
	v_perm_b32 v23, v55, v54, s2
	v_perm_b32 v22, v53, v45, s2
	s_nop 1
	v_mfma_f32_16x16x16bf16_1k v[26:29], v[22:23], v[28:29], v[56:59]
	s_and_saveexec_b64 s[2:3], s[8:9]
	s_cbranch_execz .LBB837_355
; %bb.350:
	s_movk_i32 s8, 0x80
	v_cmp_ne_u16_sdwa s[10:11], v24, s8 src0_sel:BYTE_0 src1_sel:DWORD
	v_mov_b32_e32 v42, 0xffff8000
	s_and_saveexec_b64 s[8:9], s[10:11]
	s_cbranch_execz .LBB837_354
; %bb.351:
	s_movk_i32 s10, 0x7f
	v_and_b32_e32 v22, 0x7f, v24
	v_cmp_ne_u32_e32 vcc, s10, v22
	v_mov_b32_e32 v42, 0x7f80
	s_and_saveexec_b64 s[10:11], vcc
	s_cbranch_execz .LBB837_353
; %bb.352:
	v_and_b32_e32 v23, 7, v24
	v_ffbh_u32_e32 v42, v23
	v_min_u32_e32 v45, 32, v42
	v_subrev_u32_e32 v42, 28, v45
	v_lshlrev_b64 v[42:43], v42, v[24:25]
	v_lshrrev_b32_e32 v44, 3, v22
	v_sub_u32_e32 v43, 29, v45
	v_and_b32_e32 v42, 7, v42
	v_cmp_gt_u32_e32 vcc, 8, v22
	v_cndmask_b32_e32 v22, v44, v43, vcc
	v_cndmask_b32_e32 v23, v23, v42, vcc
	v_lshlrev_b32_e32 v42, 24, v24
	v_bfrev_b32_e32 v43, 60
	v_lshlrev_b32_e32 v23, 20, v23
	v_and_b32_e32 v42, 0x80000000, v42
	v_lshl_add_u32 v22, v22, 23, v43
	v_or3_b32 v22, v42, v22, v23
	v_lshrrev_b32_e32 v42, 16, v22
.LBB837_353:
	s_or_b64 exec, exec, s[10:11]
.LBB837_354:
	s_or_b64 exec, exec, s[8:9]
.LBB837_355:
	s_or_b64 exec, exec, s[2:3]
	v_lshrrev_b16_e32 v22, 8, v24
	v_cmp_ne_u16_e32 vcc, 0, v22
	v_mov_b32_e32 v43, 0
	v_mov_b32_e32 v23, 0
	s_and_saveexec_b64 s[2:3], vcc
	s_cbranch_execz .LBB837_361
; %bb.356:
	s_movk_i32 s8, 0x80
	v_cmp_ne_u16_e32 vcc, s8, v22
	v_mov_b32_e32 v23, 0xffff8000
	s_and_saveexec_b64 s[8:9], vcc
	s_cbranch_execz .LBB837_360
; %bb.357:
	s_movk_i32 s10, 0x7f
	v_and_b32_e32 v44, 0x7f, v22
	v_cmp_ne_u32_e32 vcc, s10, v44
	v_mov_b32_e32 v23, 0x7f80
	s_and_saveexec_b64 s[10:11], vcc
	s_cbranch_execz .LBB837_359
; %bb.358:
	v_and_b32_e32 v45, 7, v22
	v_ffbh_u32_e32 v23, v45
	v_min_u32_e32 v52, 32, v23
	v_subrev_u32_e32 v23, 28, v52
	v_lshlrev_b64 v[22:23], v23, v[22:23]
	v_lshrrev_b32_e32 v51, 3, v44
	v_sub_u32_e32 v23, 29, v52
	v_and_b32_e32 v22, 7, v22
	v_cmp_gt_u32_e32 vcc, 8, v44
	v_cndmask_b32_e32 v23, v51, v23, vcc
	v_cndmask_b32_e32 v22, v45, v22, vcc
	v_lshlrev_b32_e32 v44, 16, v24
	v_bfrev_b32_e32 v45, 60
	v_lshlrev_b32_e32 v22, 20, v22
	v_and_b32_e32 v44, 0x80000000, v44
	v_lshl_add_u32 v23, v23, 23, v45
	v_or3_b32 v22, v44, v23, v22
	v_lshrrev_b32_e32 v23, 16, v22
.LBB837_359:
	s_or_b64 exec, exec, s[10:11]
.LBB837_360:
	s_or_b64 exec, exec, s[8:9]
.LBB837_361:
	s_or_b64 exec, exec, s[2:3]
	s_movk_i32 s2, 0xff
	v_and_b32_sdwa v44, v24, s2 dst_sel:DWORD dst_unused:UNUSED_PAD src0_sel:WORD_1 src1_sel:DWORD
	v_lshrrev_b32_e32 v22, 16, v24
	v_cmp_ne_u16_e32 vcc, 0, v44
	s_and_saveexec_b64 s[2:3], vcc
	s_cbranch_execz .LBB837_367
; %bb.362:
	s_movk_i32 s8, 0x80
	v_cmp_ne_u16_e32 vcc, s8, v44
	v_mov_b32_e32 v43, 0xffff8000
	s_and_saveexec_b64 s[8:9], vcc
	s_cbranch_execz .LBB837_366
; %bb.363:
	v_bfe_u32 v44, v24, 16, 7
	s_movk_i32 s10, 0x7f
	v_cmp_ne_u32_e32 vcc, s10, v44
	v_mov_b32_e32 v43, 0x7f80
	s_and_saveexec_b64 s[10:11], vcc
	s_cbranch_execz .LBB837_365
; %bb.364:
	v_and_b32_e32 v43, 7, v22
	v_ffbh_u32_e32 v51, v43
	v_min_u32_e32 v51, 32, v51
	v_subrev_u32_e32 v52, 28, v51
	v_lshlrev_b64 v[52:53], v52, v[22:23]
	v_lshrrev_b32_e32 v45, 3, v44
	v_sub_u32_e32 v22, 29, v51
	v_and_b32_e32 v51, 7, v52
	v_cmp_gt_u32_e32 vcc, 8, v44
	v_mov_b32_e32 v44, 24
	v_cndmask_b32_e32 v22, v45, v22, vcc
	v_cndmask_b32_e32 v43, v43, v51, vcc
	v_lshlrev_b32_sdwa v44, v44, v24 dst_sel:DWORD dst_unused:UNUSED_PAD src0_sel:DWORD src1_sel:WORD_1
	v_bfrev_b32_e32 v45, 60
	v_lshlrev_b32_e32 v43, 20, v43
	v_and_b32_e32 v44, 0x80000000, v44
	v_lshl_add_u32 v22, v22, 23, v45
	v_or3_b32 v22, v44, v22, v43
	v_lshrrev_b32_e32 v43, 16, v22
.LBB837_365:
	s_or_b64 exec, exec, s[10:11]
.LBB837_366:
	s_or_b64 exec, exec, s[8:9]
.LBB837_367:
	s_or_b64 exec, exec, s[2:3]
	s_mov_b32 s2, 0xffffff
	v_cmp_lt_u32_e32 vcc, s2, v24
	v_mov_b32_e32 v45, 0
	v_mov_b32_e32 v51, 0
	s_and_saveexec_b64 s[2:3], vcc
	s_cbranch_execz .LBB837_373
; %bb.368:
	v_lshrrev_b32_e32 v22, 24, v24
	s_movk_i32 s8, 0x80
	v_cmp_ne_u32_e32 vcc, s8, v22
	v_mov_b32_e32 v51, 0xffff8000
	s_and_saveexec_b64 s[8:9], vcc
	s_cbranch_execz .LBB837_372
; %bb.369:
	v_bfe_u32 v24, v24, 24, 7
	s_movk_i32 s10, 0x7f
	v_cmp_ne_u32_e32 vcc, s10, v24
	v_mov_b32_e32 v51, 0x7f80
	s_and_saveexec_b64 s[10:11], vcc
	s_cbranch_execz .LBB837_371
; %bb.370:
	v_and_b32_e32 v44, 7, v22
	v_ffbh_u32_e32 v52, v44
	v_min_u32_e32 v54, 32, v52
	v_subrev_u32_e32 v52, 28, v54
	v_lshlrev_b64 v[52:53], v52, v[22:23]
	v_lshrrev_b32_e32 v51, 3, v24
	v_sub_u32_e32 v53, 29, v54
	v_and_b32_e32 v52, 7, v52
	v_cmp_gt_u32_e32 vcc, 8, v24
	v_cndmask_b32_e32 v24, v51, v53, vcc
	v_cndmask_b32_e32 v44, v44, v52, vcc
	v_lshlrev_b32_e32 v22, 24, v22
	v_bfrev_b32_e32 v51, 60
	v_lshlrev_b32_e32 v44, 20, v44
	v_and_b32_e32 v22, 0x80000000, v22
	v_lshl_add_u32 v24, v24, 23, v51
	v_or3_b32 v22, v22, v24, v44
	v_lshrrev_b32_e32 v51, 16, v22
.LBB837_371:
	s_or_b64 exec, exec, s[10:11]
.LBB837_372:
	s_or_b64 exec, exec, s[8:9]
.LBB837_373:
	s_or_b64 exec, exec, s[2:3]
	v_cmp_ne_u16_sdwa s[8:9], v25, v45 src0_sel:BYTE_0 src1_sel:DWORD
	s_and_saveexec_b64 s[2:3], s[8:9]
	s_cbranch_execz .LBB837_379
; %bb.374:
	s_movk_i32 s8, 0x80
	v_cmp_ne_u16_sdwa s[10:11], v25, s8 src0_sel:BYTE_0 src1_sel:DWORD
	v_mov_b32_e32 v45, 0xffff8000
	s_and_saveexec_b64 s[8:9], s[10:11]
	s_cbranch_execz .LBB837_378
; %bb.375:
	s_movk_i32 s10, 0x7f
	v_and_b32_e32 v22, 0x7f, v25
	v_cmp_ne_u32_e32 vcc, s10, v22
	v_mov_b32_e32 v45, 0x7f80
	s_and_saveexec_b64 s[10:11], vcc
	s_cbranch_execz .LBB837_377
; %bb.376:
	v_and_b32_e32 v52, 7, v25
	v_ffbh_u32_e32 v44, v52
	v_min_u32_e32 v54, 32, v44
	v_mov_b32_e32 v24, v25
	v_subrev_u32_e32 v44, 28, v54
	v_lshlrev_b64 v[44:45], v44, v[24:25]
	v_lshrrev_b32_e32 v53, 3, v22
	v_sub_u32_e32 v24, 29, v54
	v_and_b32_e32 v44, 7, v44
	v_cmp_gt_u32_e32 vcc, 8, v22
	v_cndmask_b32_e32 v22, v53, v24, vcc
	v_cndmask_b32_e32 v24, v52, v44, vcc
	v_lshlrev_b32_e32 v44, 24, v25
	v_bfrev_b32_e32 v45, 60
	v_lshlrev_b32_e32 v24, 20, v24
	v_and_b32_e32 v44, 0x80000000, v44
	v_lshl_add_u32 v22, v22, 23, v45
	v_or3_b32 v22, v44, v22, v24
	v_lshrrev_b32_e32 v45, 16, v22
.LBB837_377:
	s_or_b64 exec, exec, s[10:11]
.LBB837_378:
	s_or_b64 exec, exec, s[8:9]
.LBB837_379:
	s_or_b64 exec, exec, s[2:3]
	v_lshrrev_b16_e32 v22, 8, v25
	v_cmp_ne_u16_e32 vcc, 0, v22
	v_mov_b32_e32 v53, 0
	v_mov_b32_e32 v52, 0
	s_and_saveexec_b64 s[2:3], vcc
	s_cbranch_execz .LBB837_385
; %bb.380:
	s_movk_i32 s8, 0x80
	v_cmp_ne_u16_e32 vcc, s8, v22
	v_mov_b32_e32 v52, 0xffff8000
	s_and_saveexec_b64 s[8:9], vcc
	s_cbranch_execz .LBB837_384
; %bb.381:
	s_movk_i32 s10, 0x7f
	v_and_b32_e32 v24, 0x7f, v22
	v_cmp_ne_u32_e32 vcc, s10, v24
	v_mov_b32_e32 v52, 0x7f80
	s_and_saveexec_b64 s[10:11], vcc
	s_cbranch_execz .LBB837_383
; %bb.382:
	v_and_b32_e32 v44, 7, v22
	v_ffbh_u32_e32 v54, v44
	v_min_u32_e32 v56, 32, v54
	v_subrev_u32_e32 v54, 28, v56
	v_lshlrev_b64 v[54:55], v54, v[22:23]
	v_lshrrev_b32_e32 v52, 3, v24
	v_sub_u32_e32 v22, 29, v56
	v_and_b32_e32 v54, 7, v54
	v_cmp_gt_u32_e32 vcc, 8, v24
	v_cndmask_b32_e32 v22, v52, v22, vcc
	v_cndmask_b32_e32 v24, v44, v54, vcc
	v_lshlrev_b32_e32 v44, 16, v25
	v_bfrev_b32_e32 v52, 60
	v_lshlrev_b32_e32 v24, 20, v24
	v_and_b32_e32 v44, 0x80000000, v44
	v_lshl_add_u32 v22, v22, 23, v52
	v_or3_b32 v22, v44, v22, v24
	v_lshrrev_b32_e32 v52, 16, v22
.LBB837_383:
	s_or_b64 exec, exec, s[10:11]
.LBB837_384:
	s_or_b64 exec, exec, s[8:9]
.LBB837_385:
	s_or_b64 exec, exec, s[2:3]
	s_movk_i32 s2, 0xff
	v_and_b32_sdwa v24, v25, s2 dst_sel:DWORD dst_unused:UNUSED_PAD src0_sel:WORD_1 src1_sel:DWORD
	v_lshrrev_b32_e32 v22, 16, v25
	v_cmp_ne_u16_e32 vcc, 0, v24
	s_and_saveexec_b64 s[2:3], vcc
	s_cbranch_execz .LBB837_391
; %bb.386:
	s_movk_i32 s8, 0x80
	v_cmp_ne_u16_e32 vcc, s8, v24
	v_mov_b32_e32 v53, 0xffff8000
	s_and_saveexec_b64 s[8:9], vcc
	s_cbranch_execz .LBB837_390
; %bb.387:
	v_bfe_u32 v24, v25, 16, 7
	s_movk_i32 s10, 0x7f
	v_cmp_ne_u32_e32 vcc, s10, v24
	v_mov_b32_e32 v53, 0x7f80
	s_and_saveexec_b64 s[10:11], vcc
	s_cbranch_execz .LBB837_389
; %bb.388:
	v_and_b32_e32 v44, 7, v22
	v_ffbh_u32_e32 v54, v44
	v_min_u32_e32 v56, 32, v54
	v_subrev_u32_e32 v54, 28, v56
	v_lshlrev_b64 v[54:55], v54, v[22:23]
	v_and_b32_e32 v54, 7, v54
	v_cmp_gt_u32_e32 vcc, 8, v24
	v_lshrrev_b32_e32 v53, 3, v24
	v_sub_u32_e32 v22, 29, v56
	v_cndmask_b32_e32 v24, v44, v54, vcc
	v_mov_b32_e32 v44, 24
	v_cndmask_b32_e32 v22, v53, v22, vcc
	v_lshlrev_b32_sdwa v44, v44, v25 dst_sel:DWORD dst_unused:UNUSED_PAD src0_sel:DWORD src1_sel:WORD_1
	v_bfrev_b32_e32 v53, 60
	v_lshlrev_b32_e32 v24, 20, v24
	v_and_b32_e32 v44, 0x80000000, v44
	v_lshl_add_u32 v22, v22, 23, v53
	v_or3_b32 v22, v44, v22, v24
	v_lshrrev_b32_e32 v53, 16, v22
.LBB837_389:
	s_or_b64 exec, exec, s[10:11]
.LBB837_390:
	s_or_b64 exec, exec, s[8:9]
.LBB837_391:
	s_or_b64 exec, exec, s[2:3]
	s_mov_b32 s2, 0xffffff
	v_and_b32_e32 v44, 63, v0
	v_cmp_lt_u32_e32 vcc, s2, v25
	v_mov_b32_e32 v54, 0
	s_and_saveexec_b64 s[2:3], vcc
	s_cbranch_execz .LBB837_397
; %bb.392:
	v_lshrrev_b32_e32 v22, 24, v25
	s_movk_i32 s8, 0x80
	v_cmp_ne_u32_e32 vcc, s8, v22
	v_mov_b32_e32 v54, 0xffff8000
	s_and_saveexec_b64 s[8:9], vcc
	s_cbranch_execz .LBB837_396
; %bb.393:
	v_bfe_u32 v24, v25, 24, 7
	s_movk_i32 s10, 0x7f
	v_cmp_ne_u32_e32 vcc, s10, v24
	v_mov_b32_e32 v54, 0x7f80
	s_and_saveexec_b64 s[10:11], vcc
	s_cbranch_execz .LBB837_395
; %bb.394:
	v_and_b32_e32 v25, 7, v22
	v_ffbh_u32_e32 v54, v25
	v_min_u32_e32 v57, 32, v54
	v_subrev_u32_e32 v54, 28, v57
	v_lshlrev_b64 v[54:55], v54, v[22:23]
	v_lshrrev_b32_e32 v56, 3, v24
	v_sub_u32_e32 v55, 29, v57
	v_and_b32_e32 v54, 7, v54
	v_cmp_gt_u32_e32 vcc, 8, v24
	v_cndmask_b32_e32 v24, v56, v55, vcc
	v_cndmask_b32_e32 v25, v25, v54, vcc
	v_lshlrev_b32_e32 v22, 24, v22
	v_bfrev_b32_e32 v54, 60
	v_lshlrev_b32_e32 v25, 20, v25
	v_and_b32_e32 v22, 0x80000000, v22
	v_lshl_add_u32 v24, v24, 23, v54
	v_or3_b32 v22, v22, v24, v25
	v_lshrrev_b32_e32 v54, 16, v22
.LBB837_395:
	s_or_b64 exec, exec, s[10:11]
.LBB837_396:
	s_or_b64 exec, exec, s[8:9]
.LBB837_397:
	s_or_b64 exec, exec, s[2:3]
	s_mov_b32 s3, 0x5040100
	v_perm_b32 v43, v51, v43, s3
	v_perm_b32 v42, v23, v42, s3
	s_load_dword s2, s[4:5], 0x1c
	s_mov_b32 s46, 0xff7fffff
	s_waitcnt lgkmcnt(0)
	v_mfma_f32_16x16x16bf16_1k v[26:29], v[42:43], v[18:19], v[26:29]
	v_perm_b32 v19, v54, v53, s3
	v_perm_b32 v18, v52, v45, s3
	v_mov_b32_e32 v22, s2
	v_mul_f32_e32 v56, s12, v22
	v_pk_mul_f32 v[22:23], v[56:57], v[32:33] op_sel_hi:[0,1]
	v_pk_mul_f32 v[32:33], v[56:57], v[38:39] op_sel_hi:[0,1]
	v_and_b32_e32 v38, 0xc0, v0
	v_mfma_f32_16x16x16bf16_1k v[26:29], v[18:19], v[20:21], v[26:29]
	v_add_u32_e32 v38, s18, v38
	v_lshl_or_b32 v38, v1, 2, v38
	v_or_b32_e32 v39, 1, v38
	v_pk_mul_f32 v[24:25], v[56:57], v[30:31] op_sel_hi:[0,1]
	v_pk_mul_f32 v[30:31], v[56:57], v[40:41] op_sel_hi:[0,1]
	v_subrev_u32_e32 v40, s33, v39
	v_pk_mul_f32 v[34:35], v[56:57], v[34:35] op_sel_hi:[0,1]
	s_nop 3
	v_pk_mul_f32 v[20:21], v[56:57], v[26:27] op_sel_hi:[0,1]
	v_add_u32_e32 v27, 1, v40
	v_pk_mul_f32 v[18:19], v[56:57], v[28:29] op_sel_hi:[0,1]
	v_cvt_f32_i32_e32 v27, v27
	v_add_u32_e32 v29, 3, v40
	v_cvt_f32_i32_e32 v29, v29
	v_cvt_f32_i32_e32 v26, v40
	v_pk_mul_f32 v[36:37], v[56:57], v[36:37] op_sel_hi:[0,1]
	v_fmac_f32_e32 v35, v50, v27
	v_add_u32_e32 v27, 16, v40
	v_fmac_f32_e32 v37, v50, v29
	v_cvt_f32_i32_e32 v27, v27
	v_add_u32_e32 v29, 17, v40
	v_fma_f32 v26, v50, v26, v34
	v_cvt_f32_i32_e32 v29, v29
	v_add_u32_e32 v34, 18, v40
	v_cvt_f32_i32_e32 v34, v34
	v_fma_f32 v41, v50, v27, v32
	v_add_u32_e32 v27, 32, v40
	v_fmac_f32_e32 v33, v50, v29
	v_cvt_f32_i32_e32 v27, v27
	v_add_u32_e32 v29, 33, v40
	v_add_u32_e32 v32, 34, v40
	v_fma_f32 v30, v50, v34, v30
	v_cvt_f32_i32_e32 v29, v29
	v_cvt_f32_i32_e32 v32, v32
	v_add_u32_e32 v34, 35, v40
	v_cvt_f32_i32_e32 v34, v34
	v_fma_f32 v24, v50, v27, v24
	v_add_u32_e32 v27, 48, v40
	v_fmac_f32_e32 v25, v50, v29
	v_fma_f32 v22, v50, v32, v22
	v_cvt_f32_i32_e32 v27, v27
	v_add_u32_e32 v29, 49, v40
	v_add_u32_e32 v32, 50, v40
	v_fmac_f32_e32 v23, v50, v34
	v_cvt_f32_i32_e32 v29, v29
	v_cvt_f32_i32_e32 v32, v32
	v_add_u32_e32 v34, 51, v40
	v_add_u32_e32 v28, 2, v40
	v_cvt_f32_i32_e32 v34, v34
	v_cvt_f32_i32_e32 v28, v28
	v_fma_f32 v20, v50, v27, v20
	v_mov_b32_e32 v27, 0xff7fffff
	v_cmp_gt_i32_e64 s[26:27], s33, v38
	v_cmp_gt_i32_e64 s[28:29], s33, v39
	v_fmac_f32_e32 v21, v50, v29
	v_fma_f32 v18, v50, v32, v18
	v_cndmask_b32_e64 v29, v27, v26, s[26:27]
	v_cndmask_b32_e64 v32, v27, v35, s[28:29]
	v_fmac_f32_e32 v19, v50, v34
	v_max3_f32 v29, v29, s46, v32
	v_or_b32_e32 v32, 2, v38
	v_or_b32_e32 v34, 3, v38
	v_fma_f32 v28, v50, v28, v36
	v_cmp_gt_i32_e64 s[30:31], s33, v32
	v_cmp_gt_i32_e64 s[34:35], s33, v34
	v_add_u32_e32 v36, 19, v40
	v_cndmask_b32_e64 v32, v27, v28, s[30:31]
	v_cndmask_b32_e64 v34, v27, v37, s[34:35]
	v_cvt_f32_i32_e32 v36, v36
	v_max3_f32 v29, v29, v32, v34
	v_or_b32_e32 v32, 16, v38
	v_or_b32_e32 v34, 17, v38
	v_cmp_gt_i32_e64 s[36:37], s33, v32
	v_cmp_gt_i32_e64 s[38:39], s33, v34
	v_cndmask_b32_e64 v32, v27, v41, s[36:37]
	v_cndmask_b32_e64 v34, v27, v33, s[38:39]
	v_max3_f32 v29, v29, v32, v34
	v_or_b32_e32 v32, 18, v38
	v_or_b32_e32 v34, 19, v38
	v_fmac_f32_e32 v31, v50, v36
	v_cmp_gt_i32_e64 s[20:21], s33, v32
	v_cmp_gt_i32_e64 s[22:23], s33, v34
	v_cndmask_b32_e64 v32, v27, v30, s[20:21]
	v_cndmask_b32_e64 v34, v27, v31, s[22:23]
	v_max3_f32 v29, v29, v32, v34
	v_or_b32_e32 v32, 32, v38
	v_or_b32_e32 v34, 33, v38
	v_cmp_gt_i32_e64 s[16:17], s33, v32
	v_cmp_gt_i32_e64 s[18:19], s33, v34
	v_cndmask_b32_e64 v32, v27, v24, s[16:17]
	v_cndmask_b32_e64 v34, v27, v25, s[18:19]
	v_max3_f32 v29, v29, v32, v34
	v_or_b32_e32 v32, 34, v38
	v_or_b32_e32 v34, 35, v38
	;; [unrolled: 7-line block ×4, first 2 shown]
	v_cmp_gt_i32_e32 vcc, s33, v32
	v_cmp_gt_i32_e64 s[2:3], s33, v34
	v_cndmask_b32_e32 v32, v27, v18, vcc
	v_cndmask_b32_e64 v27, v27, v19, s[2:3]
	v_max3_f32 v27, v29, v32, v27
	v_mbcnt_lo_u32_b32 v29, -1, 0
	v_mbcnt_hi_u32_b32 v29, -1, v29
	v_and_b32_e32 v32, 64, v29
	v_add_u32_e32 v32, 64, v32
	v_xor_b32_e32 v34, 32, v29
	v_cmp_lt_i32_e64 s[40:41], v34, v32
	v_cndmask_b32_e64 v34, v29, v34, s[40:41]
	v_lshlrev_b32_e32 v36, 2, v34
	ds_bpermute_b32 v34, v36, v27
	s_barrier
	s_waitcnt lgkmcnt(0)
	v_max_f32_e32 v34, v34, v34
	v_max_f32_e32 v27, v27, v34
	v_xor_b32_e32 v34, 16, v29
	v_cmp_lt_i32_e64 s[40:41], v34, v32
	v_cndmask_b32_e64 v29, v29, v34, s[40:41]
	v_lshlrev_b32_e32 v38, 2, v29
	ds_bpermute_b32 v29, v38, v27
	s_waitcnt lgkmcnt(0)
	v_max_f32_e32 v29, v29, v29
	v_max_f32_e32 v32, v27, v29
	v_sub_f32_e32 v26, v26, v32
	v_mul_f32_e32 v26, 0x3fb8aa3b, v26
	v_sub_f32_e32 v27, v35, v32
	v_exp_f32_e32 v26, v26
	v_mul_f32_e32 v27, 0x3fb8aa3b, v27
	v_sub_f32_e32 v28, v28, v32
	v_exp_f32_e32 v27, v27
	v_mul_f32_e32 v28, 0x3fb8aa3b, v28
	v_exp_f32_e32 v28, v28
	v_cndmask_b32_e64 v26, 0, v26, s[26:27]
	v_sub_f32_e32 v34, v37, v32
	v_add_f32_e32 v29, 0, v26
	v_cndmask_b32_e64 v27, 0, v27, s[28:29]
	v_mul_f32_e32 v34, 0x3fb8aa3b, v34
	v_exp_f32_e32 v35, v34
	v_add_f32_e32 v29, v29, v27
	v_cndmask_b32_e64 v34, 0, v28, s[30:31]
	v_add_f32_e32 v28, v29, v34
	v_sub_f32_e32 v29, v41, v32
	v_mul_f32_e32 v29, 0x3fb8aa3b, v29
	v_sub_f32_e32 v33, v33, v32
	v_exp_f32_e32 v29, v29
	v_mul_f32_e32 v33, 0x3fb8aa3b, v33
	v_sub_f32_e32 v30, v30, v32
	v_exp_f32_e32 v33, v33
	;; [unrolled: 3-line block ×3, first 2 shown]
	v_mul_f32_e32 v31, 0x3fb8aa3b, v31
	v_sub_f32_e32 v24, v24, v32
	v_cndmask_b32_e64 v35, 0, v35, s[34:35]
	v_exp_f32_e32 v31, v31
	v_mul_f32_e32 v24, 0x3fb8aa3b, v24
	v_sub_f32_e32 v25, v25, v32
	v_add_f32_e32 v37, v28, v35
	v_cndmask_b32_e64 v28, 0, v29, s[36:37]
	v_exp_f32_e32 v24, v24
	v_mul_f32_e32 v25, 0x3fb8aa3b, v25
	v_sub_f32_e32 v22, v22, v32
	v_add_f32_e32 v37, v37, v28
	;; [unrolled: 5-line block ×7, first 2 shown]
	v_cndmask_b32_e64 v22, 0, v22, s[12:13]
	v_exp_f32_e32 v18, v18
	v_mul_f32_e32 v19, 0x3fb8aa3b, v19
	v_add_f32_e32 v33, v33, v22
	v_cndmask_b32_e64 v23, 0, v23, s[14:15]
	v_exp_f32_e32 v19, v19
	v_add_f32_e32 v33, v33, v23
	v_cndmask_b32_e64 v20, 0, v20, s[8:9]
	v_add_f32_e32 v33, v33, v20
	v_cndmask_b32_e64 v21, 0, v21, s[10:11]
	v_add_f32_e32 v33, v33, v21
	v_cndmask_b32_e32 v18, 0, v18, vcc
	v_add_f32_e32 v33, v33, v18
	v_cndmask_b32_e64 v19, 0, v19, s[2:3]
	v_add_f32_e32 v33, v33, v19
	ds_bpermute_b32 v36, v36, v33
	v_cmp_gt_u32_e32 vcc, 16, v44
	s_waitcnt lgkmcnt(0)
	v_add_f32_e32 v36, v33, v36
	ds_bpermute_b32 v37, v38, v36
	v_lshlrev_b32_e32 v33, 2, v49
	s_and_saveexec_b64 s[2:3], vcc
	s_cbranch_execz .LBB837_399
; %bb.398:
	s_waitcnt lgkmcnt(0)
	v_add_f32_e32 v36, v36, v37
	v_lshl_or_b32 v37, v48, 6, v33
	ds_write2st64_b32 v37, v32, v36 offset1:1
.LBB837_399:
	s_or_b64 exec, exec, s[2:3]
	s_waitcnt lgkmcnt(0)
	s_barrier
	ds_read2_b32 v[36:37], v33 offset1:16
	ds_read2_b32 v[38:39], v33 offset0:32 offset1:48
	ds_read2_b32 v[40:41], v33 offset0:64 offset1:80
	s_lshl_b32 s12, s45, 3
	s_waitcnt lgkmcnt(2)
	v_max3_f32 v32, v36, s46, v37
	s_waitcnt lgkmcnt(1)
	v_max3_f32 v32, v32, v38, v39
	v_sub_f32_e32 v36, v36, v32
	v_mul_f32_e32 v36, 0x3fb8aa3b, v36
	v_exp_f32_e32 v42, v36
	v_sub_f32_e32 v36, v37, v32
	v_mul_f32_e32 v36, 0x3fb8aa3b, v36
	v_exp_f32_e32 v43, v36
	;; [unrolled: 3-line block ×3, first 2 shown]
	ds_read2_b32 v[36:37], v33 offset0:96 offset1:112
	v_sub_f32_e32 v33, v39, v32
	v_mul_f32_e32 v33, 0x3fb8aa3b, v33
	v_exp_f32_e32 v39, v33
	s_waitcnt lgkmcnt(1)
	v_fma_f32 v33, v42, v40, 0
	v_fmac_f32_e32 v33, v43, v41
	s_waitcnt lgkmcnt(0)
	v_fmac_f32_e32 v33, v38, v36
	v_fmac_f32_e32 v33, v39, v37
	v_add_f32_e32 v36, 0x358637bd, v33
	v_div_scale_f32 v37, s[2:3], v36, v36, 1.0
	v_rcp_f32_e32 v40, v37
	s_movk_i32 s2, 0x7fff
	s_mov_b32 s3, 0x7060302
	v_fma_f32 v41, -v37, v40, 1.0
	v_fmac_f32_e32 v40, v41, v40
	v_div_scale_f32 v41, vcc, 1.0, v36, 1.0
	v_mul_f32_e32 v44, v41, v40
	v_fma_f32 v45, -v37, v44, v41
	v_fmac_f32_e32 v44, v45, v40
	v_fma_f32 v37, -v37, v44, v41
	v_div_fmas_f32 v37, v37, v40, v44
	v_cmp_eq_u32_e32 vcc, 1, v48
	v_div_fixup_f32 v36, v37, v36, 1.0
	v_cndmask_b32_e32 v37, v42, v43, vcc
	v_cmp_eq_u32_e32 vcc, 2, v48
	v_cndmask_b32_e32 v37, v37, v38, vcc
	v_cmp_eq_u32_e32 vcc, 3, v48
	v_cndmask_b32_e32 v37, v37, v39, vcc
	v_mul_f32_e32 v36, v37, v36
	v_pk_mul_f32 v[26:27], v[36:37], v[26:27] op_sel_hi:[0,1]
	v_pk_mul_f32 v[34:35], v[36:37], v[34:35] op_sel_hi:[0,1]
	v_bfe_u32 v37, v27, 16, 1
	v_bfe_u32 v38, v26, 16, 1
	v_add3_u32 v26, v26, v38, s2
	v_add3_u32 v27, v27, v37, s2
	v_perm_b32 v38, v27, v26, s3
	v_bfe_u32 v26, v35, 16, 1
	v_bfe_u32 v27, v34, 16, 1
	v_add3_u32 v27, v34, v27, s2
	v_add3_u32 v26, v35, v26, s2
	v_perm_b32 v39, v26, v27, s3
	v_lshlrev_b32_e32 v26, 3, v1
	v_lshlrev_b32_e32 v27, 5, v49
	;; [unrolled: 1-line block ×3, first 2 shown]
	v_pk_mul_f32 v[28:29], v[36:37], v[28:29] op_sel_hi:[0,1]
	v_or3_b32 v26, v34, v27, v26
	v_bfe_u32 v34, v29, 16, 1
	v_bfe_u32 v35, v28, 16, 1
	v_pk_mul_f32 v[30:31], v[36:37], v[30:31] op_sel_hi:[0,1]
	v_add3_u32 v28, v28, v35, s2
	v_add3_u32 v29, v29, v34, s2
	v_perm_b32 v28, v29, v28, s3
	v_bfe_u32 v29, v31, 16, 1
	v_bfe_u32 v34, v30, 16, 1
	v_add3_u32 v30, v30, v34, s2
	v_add3_u32 v29, v31, v29, s2
	v_perm_b32 v29, v29, v30, s3
	v_pk_mul_f32 v[24:25], v[36:37], v[24:25] op_sel_hi:[0,1]
	s_barrier
	ds_write2st64_b64 v26, v[38:39], v[28:29] offset1:1
	v_bfe_u32 v28, v25, 16, 1
	v_bfe_u32 v29, v24, 16, 1
	v_pk_mul_f32 v[22:23], v[36:37], v[22:23] op_sel_hi:[0,1]
	v_add3_u32 v24, v24, v29, s2
	v_add3_u32 v25, v25, v28, s2
	v_perm_b32 v24, v25, v24, s3
	v_bfe_u32 v25, v23, 16, 1
	v_bfe_u32 v28, v22, 16, 1
	v_add3_u32 v22, v22, v28, s2
	v_add3_u32 v23, v23, v25, s2
	v_pk_mul_f32 v[20:21], v[36:37], v[20:21] op_sel_hi:[0,1]
	v_perm_b32 v25, v23, v22, s3
	v_bfe_u32 v22, v21, 16, 1
	v_bfe_u32 v23, v20, 16, 1
	v_pk_mul_f32 v[18:19], v[36:37], v[18:19] op_sel_hi:[0,1]
	v_add3_u32 v20, v20, v23, s2
	v_add3_u32 v21, v21, v22, s2
	v_perm_b32 v20, v21, v20, s3
	v_bfe_u32 v21, v19, 16, 1
	v_bfe_u32 v22, v18, 16, 1
	v_add3_u32 v18, v18, v22, s2
	v_add3_u32 v19, v19, v21, s2
	v_perm_b32 v21, v19, v18, s3
	v_cmp_gt_u32_e32 vcc, 8, v0
	ds_write2st64_b64 v26, v[24:25], v[20:21] offset0:2 offset1:3
	s_and_saveexec_b64 s[2:3], vcc
	s_cbranch_execz .LBB837_401
; %bb.400:
	v_or_b32_e32 v18, s25, v0
	v_mov_b32_e32 v19, 0
	v_mov_b32_e32 v20, s12
	v_mad_u64_u32 v[20:21], s[14:15], s6, v20, v[18:19]
	v_mov_b32_e32 v18, s24
	s_load_dwordx4 s[8:11], s[4:5], 0x58
	s_mul_i32 s7, s7, s12
	v_mad_u64_u32 v[18:19], s[14:15], v20, s44, v[18:19]
	v_add_u32_e32 v21, s7, v21
	v_mov_b32_e32 v20, v19
	v_mad_u64_u32 v[20:21], s[14:15], v21, s44, v[20:21]
	v_mov_b32_e32 v19, v20
	v_lshlrev_b64 v[18:19], 2, v[18:19]
	s_waitcnt lgkmcnt(0)
	v_mov_b32_e32 v21, s11
	v_add_co_u32_e32 v20, vcc, s10, v18
	v_addc_co_u32_e32 v21, vcc, v21, v19, vcc
	global_store_dword v[20:21], v32, off
	v_mov_b32_e32 v20, s9
	v_add_co_u32_e32 v18, vcc, s8, v18
	v_addc_co_u32_e32 v19, vcc, v20, v19, vcc
	global_store_dword v[18:19], v33, off
.LBB837_401:
	s_or_b64 exec, exec, s[2:3]
	v_mov_b32_e32 v19, 0
	s_waitcnt vmcnt(3)
	v_cmp_ne_u16_sdwa s[8:9], v14, v19 src0_sel:BYTE_0 src1_sel:DWORD
	v_mov_b32_e32 v20, 0
	s_waitcnt lgkmcnt(0)
	s_barrier
	s_and_saveexec_b64 s[2:3], s[8:9]
	s_cbranch_execz .LBB837_407
; %bb.402:
	s_movk_i32 s7, 0x80
	v_cmp_ne_u16_sdwa s[10:11], v14, s7 src0_sel:BYTE_0 src1_sel:DWORD
	v_mov_b32_e32 v20, 0xffff8000
	s_and_saveexec_b64 s[8:9], s[10:11]
	s_cbranch_execz .LBB837_406
; %bb.403:
	s_movk_i32 s7, 0x7f
	v_and_b32_e32 v18, 0x7f, v14
	v_cmp_ne_u32_e32 vcc, s7, v18
	v_mov_b32_e32 v20, 0x7f80
	s_and_saveexec_b64 s[10:11], vcc
	s_cbranch_execz .LBB837_405
; %bb.404:
	v_and_b32_e32 v22, 7, v14
	v_ffbh_u32_e32 v20, v22
	v_min_u32_e32 v24, 32, v20
	v_subrev_u32_e32 v20, 28, v24
	v_lshlrev_b64 v[20:21], v20, v[14:15]
	v_lshrrev_b32_e32 v23, 3, v18
	v_sub_u32_e32 v21, 29, v24
	v_and_b32_e32 v20, 7, v20
	v_cmp_gt_u32_e32 vcc, 8, v18
	v_cndmask_b32_e32 v18, v23, v21, vcc
	v_cndmask_b32_e32 v20, v22, v20, vcc
	v_lshlrev_b32_e32 v21, 24, v14
	v_bfrev_b32_e32 v22, 60
	v_lshlrev_b32_e32 v20, 20, v20
	v_and_b32_e32 v21, 0x80000000, v21
	v_lshl_add_u32 v18, v18, 23, v22
	v_or3_b32 v18, v21, v18, v20
	v_lshrrev_b32_e32 v20, 16, v18
.LBB837_405:
	s_or_b64 exec, exec, s[10:11]
.LBB837_406:
	s_or_b64 exec, exec, s[8:9]
.LBB837_407:
	s_or_b64 exec, exec, s[2:3]
	v_lshrrev_b16_e32 v18, 8, v14
	v_cmp_ne_u16_e32 vcc, 0, v18
	s_and_saveexec_b64 s[2:3], vcc
	s_cbranch_execz .LBB837_413
; %bb.408:
	s_movk_i32 s7, 0x80
	v_cmp_ne_u16_e32 vcc, s7, v18
	v_mov_b32_e32 v19, 0xffff8000
	s_and_saveexec_b64 s[8:9], vcc
	s_cbranch_execz .LBB837_412
; %bb.409:
	s_movk_i32 s7, 0x7f
	v_and_b32_e32 v21, 0x7f, v18
	v_cmp_ne_u32_e32 vcc, s7, v21
	v_mov_b32_e32 v19, 0x7f80
	s_and_saveexec_b64 s[10:11], vcc
	s_cbranch_execz .LBB837_411
; %bb.410:
	v_and_b32_e32 v22, 7, v18
	v_ffbh_u32_e32 v19, v22
	v_min_u32_e32 v24, 32, v19
	v_subrev_u32_e32 v19, 28, v24
	v_lshlrev_b64 v[18:19], v19, v[18:19]
	v_lshrrev_b32_e32 v23, 3, v21
	v_sub_u32_e32 v19, 29, v24
	v_and_b32_e32 v18, 7, v18
	v_cmp_gt_u32_e32 vcc, 8, v21
	v_cndmask_b32_e32 v19, v23, v19, vcc
	v_cndmask_b32_e32 v18, v22, v18, vcc
	v_lshlrev_b32_e32 v21, 16, v14
	v_bfrev_b32_e32 v22, 60
	v_lshlrev_b32_e32 v18, 20, v18
	v_and_b32_e32 v21, 0x80000000, v21
	v_lshl_add_u32 v19, v19, 23, v22
	v_or3_b32 v18, v21, v19, v18
	v_lshrrev_b32_e32 v19, 16, v18
.LBB837_411:
	s_or_b64 exec, exec, s[10:11]
.LBB837_412:
	s_or_b64 exec, exec, s[8:9]
.LBB837_413:
	s_or_b64 exec, exec, s[2:3]
	s_movk_i32 s2, 0xff
	v_and_b32_sdwa v23, v14, s2 dst_sel:DWORD dst_unused:UNUSED_PAD src0_sel:WORD_1 src1_sel:DWORD
	v_lshrrev_b32_e32 v18, 16, v14
	v_cmp_ne_u16_e32 vcc, 0, v23
	v_mov_b32_e32 v21, 0
	v_mov_b32_e32 v22, 0
	s_and_saveexec_b64 s[2:3], vcc
	s_cbranch_execz .LBB837_419
; %bb.414:
	s_movk_i32 s7, 0x80
	v_cmp_ne_u16_e32 vcc, s7, v23
	v_mov_b32_e32 v22, 0xffff8000
	s_and_saveexec_b64 s[8:9], vcc
	s_cbranch_execz .LBB837_418
; %bb.415:
	v_bfe_u32 v23, v14, 16, 7
	s_movk_i32 s7, 0x7f
	v_cmp_ne_u32_e32 vcc, s7, v23
	v_mov_b32_e32 v22, 0x7f80
	s_and_saveexec_b64 s[10:11], vcc
	s_cbranch_execz .LBB837_417
; %bb.416:
	v_and_b32_e32 v22, 7, v18
	v_ffbh_u32_e32 v24, v22
	v_min_u32_e32 v29, 32, v24
	v_subrev_u32_e32 v24, 28, v29
	v_lshlrev_b64 v[24:25], v24, v[18:19]
	v_lshrrev_b32_e32 v28, 3, v23
	v_sub_u32_e32 v18, 29, v29
	v_and_b32_e32 v24, 7, v24
	v_cmp_gt_u32_e32 vcc, 8, v23
	v_mov_b32_e32 v23, 24
	v_cndmask_b32_e32 v18, v28, v18, vcc
	v_cndmask_b32_e32 v22, v22, v24, vcc
	v_lshlrev_b32_sdwa v23, v23, v14 dst_sel:DWORD dst_unused:UNUSED_PAD src0_sel:DWORD src1_sel:WORD_1
	v_bfrev_b32_e32 v24, 60
	v_lshlrev_b32_e32 v22, 20, v22
	v_and_b32_e32 v23, 0x80000000, v23
	v_lshl_add_u32 v18, v18, 23, v24
	v_or3_b32 v18, v23, v18, v22
	v_lshrrev_b32_e32 v22, 16, v18
.LBB837_417:
	s_or_b64 exec, exec, s[10:11]
.LBB837_418:
	s_or_b64 exec, exec, s[8:9]
.LBB837_419:
	s_or_b64 exec, exec, s[2:3]
	s_mov_b32 s2, 0xffffff
	v_cmp_lt_u32_e32 vcc, s2, v14
	s_and_saveexec_b64 s[2:3], vcc
	s_cbranch_execz .LBB837_425
; %bb.420:
	v_lshrrev_b32_e32 v18, 24, v14
	s_movk_i32 s7, 0x80
	v_cmp_ne_u32_e32 vcc, s7, v18
	v_mov_b32_e32 v21, 0xffff8000
	s_and_saveexec_b64 s[8:9], vcc
	s_cbranch_execz .LBB837_424
; %bb.421:
	v_bfe_u32 v14, v14, 24, 7
	s_movk_i32 s7, 0x7f
	v_cmp_ne_u32_e32 vcc, s7, v14
	v_mov_b32_e32 v21, 0x7f80
	s_and_saveexec_b64 s[10:11], vcc
	s_cbranch_execz .LBB837_423
; %bb.422:
	v_and_b32_e32 v21, 7, v18
	v_ffbh_u32_e32 v24, v21
	v_min_u32_e32 v28, 32, v24
	v_subrev_u32_e32 v24, 28, v28
	v_lshlrev_b64 v[24:25], v24, v[18:19]
	v_lshrrev_b32_e32 v23, 3, v14
	v_sub_u32_e32 v25, 29, v28
	v_and_b32_e32 v24, 7, v24
	v_cmp_gt_u32_e32 vcc, 8, v14
	v_cndmask_b32_e32 v14, v23, v25, vcc
	v_cndmask_b32_e32 v21, v21, v24, vcc
	v_lshlrev_b32_e32 v18, 24, v18
	v_bfrev_b32_e32 v23, 60
	v_lshlrev_b32_e32 v21, 20, v21
	v_and_b32_e32 v18, 0x80000000, v18
	v_lshl_add_u32 v14, v14, 23, v23
	v_or3_b32 v14, v18, v14, v21
	v_lshrrev_b32_e32 v21, 16, v14
.LBB837_423:
	s_or_b64 exec, exec, s[10:11]
.LBB837_424:
	s_or_b64 exec, exec, s[8:9]
.LBB837_425:
	s_or_b64 exec, exec, s[2:3]
	v_mov_b32_e32 v18, 0
	v_cmp_ne_u16_sdwa s[8:9], v15, v18 src0_sel:BYTE_0 src1_sel:DWORD
	v_mov_b32_e32 v23, 0
	s_and_saveexec_b64 s[2:3], s[8:9]
	s_cbranch_execz .LBB837_431
; %bb.426:
	s_movk_i32 s7, 0x80
	v_cmp_ne_u16_sdwa s[10:11], v15, s7 src0_sel:BYTE_0 src1_sel:DWORD
	v_mov_b32_e32 v23, 0xffff8000
	s_and_saveexec_b64 s[8:9], s[10:11]
	s_cbranch_execz .LBB837_430
; %bb.427:
	s_movk_i32 s7, 0x7f
	v_and_b32_e32 v14, 0x7f, v15
	v_cmp_ne_u32_e32 vcc, s7, v14
	v_mov_b32_e32 v23, 0x7f80
	s_and_saveexec_b64 s[10:11], vcc
	s_cbranch_execz .LBB837_429
; %bb.428:
	v_and_b32_e32 v23, 7, v15
	v_ffbh_u32_e32 v25, v23
	v_min_u32_e32 v29, 32, v25
	v_mov_b32_e32 v24, v15
	v_subrev_u32_e32 v25, 28, v29
	v_lshlrev_b64 v[24:25], v25, v[24:25]
	v_lshrrev_b32_e32 v28, 3, v14
	v_sub_u32_e32 v25, 29, v29
	v_and_b32_e32 v24, 7, v24
	v_cmp_gt_u32_e32 vcc, 8, v14
	v_cndmask_b32_e32 v14, v28, v25, vcc
	v_cndmask_b32_e32 v23, v23, v24, vcc
	v_lshlrev_b32_e32 v24, 24, v15
	v_bfrev_b32_e32 v25, 60
	v_lshlrev_b32_e32 v23, 20, v23
	v_and_b32_e32 v24, 0x80000000, v24
	v_lshl_add_u32 v14, v14, 23, v25
	v_or3_b32 v14, v24, v14, v23
	v_lshrrev_b32_e32 v23, 16, v14
.LBB837_429:
	s_or_b64 exec, exec, s[10:11]
.LBB837_430:
	s_or_b64 exec, exec, s[8:9]
.LBB837_431:
	s_or_b64 exec, exec, s[2:3]
	v_lshrrev_b16_e32 v14, 8, v15
	v_cmp_ne_u16_e32 vcc, 0, v14
	s_and_saveexec_b64 s[2:3], vcc
	s_cbranch_execz .LBB837_437
; %bb.432:
	s_movk_i32 s7, 0x80
	v_cmp_ne_u16_e32 vcc, s7, v14
	v_mov_b32_e32 v18, 0xffff8000
	s_and_saveexec_b64 s[8:9], vcc
	s_cbranch_execz .LBB837_436
; %bb.433:
	s_movk_i32 s7, 0x7f
	v_and_b32_e32 v24, 0x7f, v14
	v_cmp_ne_u32_e32 vcc, s7, v24
	v_mov_b32_e32 v18, 0x7f80
	s_and_saveexec_b64 s[10:11], vcc
	s_cbranch_execz .LBB837_435
; %bb.434:
	v_and_b32_e32 v18, 7, v14
	v_ffbh_u32_e32 v28, v18
	v_min_u32_e32 v30, 32, v28
	v_subrev_u32_e32 v28, 28, v30
	v_lshlrev_b64 v[28:29], v28, v[14:15]
	v_lshrrev_b32_e32 v25, 3, v24
	v_sub_u32_e32 v14, 29, v30
	v_and_b32_e32 v28, 7, v28
	v_cmp_gt_u32_e32 vcc, 8, v24
	v_cndmask_b32_e32 v14, v25, v14, vcc
	v_cndmask_b32_e32 v18, v18, v28, vcc
	v_lshlrev_b32_e32 v24, 16, v15
	v_bfrev_b32_e32 v25, 60
	v_lshlrev_b32_e32 v18, 20, v18
	v_and_b32_e32 v24, 0x80000000, v24
	v_lshl_add_u32 v14, v14, 23, v25
	v_or3_b32 v14, v24, v14, v18
	v_lshrrev_b32_e32 v18, 16, v14
.LBB837_435:
	s_or_b64 exec, exec, s[10:11]
.LBB837_436:
	s_or_b64 exec, exec, s[8:9]
.LBB837_437:
	s_or_b64 exec, exec, s[2:3]
	s_movk_i32 s2, 0xff
	v_and_b32_sdwa v28, v15, s2 dst_sel:DWORD dst_unused:UNUSED_PAD src0_sel:WORD_1 src1_sel:DWORD
	v_lshrrev_b32_e32 v14, 16, v15
	v_cmp_ne_u16_e32 vcc, 0, v28
	v_mov_b32_e32 v24, 0
	v_mov_b32_e32 v25, 0
	s_and_saveexec_b64 s[2:3], vcc
	s_cbranch_execz .LBB837_443
; %bb.438:
	s_movk_i32 s7, 0x80
	v_cmp_ne_u16_e32 vcc, s7, v28
	v_mov_b32_e32 v25, 0xffff8000
	s_and_saveexec_b64 s[8:9], vcc
	s_cbranch_execz .LBB837_442
; %bb.439:
	v_bfe_u32 v28, v15, 16, 7
	s_movk_i32 s7, 0x7f
	v_cmp_ne_u32_e32 vcc, s7, v28
	v_mov_b32_e32 v25, 0x7f80
	s_and_saveexec_b64 s[10:11], vcc
	s_cbranch_execz .LBB837_441
; %bb.440:
	v_and_b32_e32 v25, 7, v14
	v_ffbh_u32_e32 v30, v25
	v_min_u32_e32 v32, 32, v30
	v_subrev_u32_e32 v30, 28, v32
	v_lshlrev_b64 v[30:31], v30, v[14:15]
	v_lshrrev_b32_e32 v29, 3, v28
	v_sub_u32_e32 v14, 29, v32
	v_and_b32_e32 v30, 7, v30
	v_cmp_gt_u32_e32 vcc, 8, v28
	v_mov_b32_e32 v28, 24
	v_cndmask_b32_e32 v14, v29, v14, vcc
	v_cndmask_b32_e32 v25, v25, v30, vcc
	v_lshlrev_b32_sdwa v28, v28, v15 dst_sel:DWORD dst_unused:UNUSED_PAD src0_sel:DWORD src1_sel:WORD_1
	v_bfrev_b32_e32 v29, 60
	v_lshlrev_b32_e32 v25, 20, v25
	v_and_b32_e32 v28, 0x80000000, v28
	v_lshl_add_u32 v14, v14, 23, v29
	v_or3_b32 v14, v28, v14, v25
	v_lshrrev_b32_e32 v25, 16, v14
.LBB837_441:
	s_or_b64 exec, exec, s[10:11]
.LBB837_442:
	s_or_b64 exec, exec, s[8:9]
.LBB837_443:
	s_or_b64 exec, exec, s[2:3]
	s_mov_b32 s2, 0xffffff
	v_cmp_lt_u32_e32 vcc, s2, v15
	s_and_saveexec_b64 s[2:3], vcc
	s_cbranch_execz .LBB837_449
; %bb.444:
	v_lshrrev_b32_e32 v14, 24, v15
	s_movk_i32 s7, 0x80
	v_cmp_ne_u32_e32 vcc, s7, v14
	v_mov_b32_e32 v24, 0xffff8000
	s_and_saveexec_b64 s[8:9], vcc
	s_cbranch_execz .LBB837_448
; %bb.445:
	v_bfe_u32 v15, v15, 24, 7
	s_movk_i32 s7, 0x7f
	v_cmp_ne_u32_e32 vcc, s7, v15
	v_mov_b32_e32 v24, 0x7f80
	s_and_saveexec_b64 s[10:11], vcc
	s_cbranch_execz .LBB837_447
; %bb.446:
	v_and_b32_e32 v24, 7, v14
	v_ffbh_u32_e32 v28, v24
	v_min_u32_e32 v31, 32, v28
	v_subrev_u32_e32 v28, 28, v31
	v_lshlrev_b64 v[28:29], v28, v[14:15]
	v_lshrrev_b32_e32 v30, 3, v15
	v_sub_u32_e32 v29, 29, v31
	v_and_b32_e32 v28, 7, v28
	v_cmp_gt_u32_e32 vcc, 8, v15
	v_cndmask_b32_e32 v15, v30, v29, vcc
	v_cndmask_b32_e32 v24, v24, v28, vcc
	v_lshlrev_b32_e32 v14, 24, v14
	v_bfrev_b32_e32 v28, 60
	v_lshlrev_b32_e32 v24, 20, v24
	v_and_b32_e32 v14, 0x80000000, v14
	v_lshl_add_u32 v15, v15, 23, v28
	v_or3_b32 v14, v14, v15, v24
	v_lshrrev_b32_e32 v24, 16, v14
.LBB837_447:
	s_or_b64 exec, exec, s[10:11]
.LBB837_448:
	s_or_b64 exec, exec, s[8:9]
.LBB837_449:
	s_or_b64 exec, exec, s[2:3]
	s_mov_b32 s2, 0x5040100
	v_perm_b32 v15, v21, v22, s2
	v_lshl_or_b32 v22, v1, 9, v27
	v_perm_b32 v14, v19, v20, s2
	ds_read_b128 v[28:31], v22
	v_perm_b32 v19, v24, v25, s2
	v_perm_b32 v18, v18, v23, s2
	s_waitcnt lgkmcnt(0)
	v_mfma_f32_16x16x16bf16_1k v[32:35], v[14:15], v[28:29], 0
	v_mov_b32_e32 v15, 0
	v_cmp_ne_u16_sdwa s[8:9], v16, v15 src0_sel:BYTE_0 src1_sel:DWORD
	v_mov_b32_e32 v23, 0
	v_mfma_f32_16x16x16bf16_1k v[18:21], v[18:19], v[30:31], v[32:35]
	s_and_saveexec_b64 s[2:3], s[8:9]
	s_cbranch_execz .LBB837_455
; %bb.450:
	s_movk_i32 s7, 0x80
	v_cmp_ne_u16_sdwa s[10:11], v16, s7 src0_sel:BYTE_0 src1_sel:DWORD
	v_mov_b32_e32 v23, 0xffff8000
	s_and_saveexec_b64 s[8:9], s[10:11]
	s_cbranch_execz .LBB837_454
; %bb.451:
	s_movk_i32 s7, 0x7f
	v_and_b32_e32 v14, 0x7f, v16
	v_cmp_ne_u32_e32 vcc, s7, v14
	v_mov_b32_e32 v23, 0x7f80
	s_and_saveexec_b64 s[10:11], vcc
	s_cbranch_execz .LBB837_453
; %bb.452:
	v_and_b32_e32 v23, 7, v16
	v_ffbh_u32_e32 v24, v23
	v_min_u32_e32 v28, 32, v24
	v_subrev_u32_e32 v24, 28, v28
	v_lshlrev_b64 v[24:25], v24, v[16:17]
	v_lshrrev_b32_e32 v27, 3, v14
	v_sub_u32_e32 v25, 29, v28
	v_and_b32_e32 v24, 7, v24
	v_cmp_gt_u32_e32 vcc, 8, v14
	v_cndmask_b32_e32 v14, v27, v25, vcc
	v_cndmask_b32_e32 v23, v23, v24, vcc
	v_lshlrev_b32_e32 v24, 24, v16
	v_bfrev_b32_e32 v25, 60
	v_lshlrev_b32_e32 v23, 20, v23
	v_and_b32_e32 v24, 0x80000000, v24
	v_lshl_add_u32 v14, v14, 23, v25
	v_or3_b32 v14, v24, v14, v23
	v_lshrrev_b32_e32 v23, 16, v14
.LBB837_453:
	s_or_b64 exec, exec, s[10:11]
.LBB837_454:
	s_or_b64 exec, exec, s[8:9]
.LBB837_455:
	s_or_b64 exec, exec, s[2:3]
	v_lshrrev_b16_e32 v14, 8, v16
	v_cmp_ne_u16_e32 vcc, 0, v14
	s_and_saveexec_b64 s[2:3], vcc
	s_cbranch_execz .LBB837_461
; %bb.456:
	s_movk_i32 s7, 0x80
	v_cmp_ne_u16_e32 vcc, s7, v14
	v_mov_b32_e32 v15, 0xffff8000
	s_and_saveexec_b64 s[8:9], vcc
	s_cbranch_execz .LBB837_460
; %bb.457:
	s_movk_i32 s7, 0x7f
	v_and_b32_e32 v24, 0x7f, v14
	v_cmp_ne_u32_e32 vcc, s7, v24
	v_mov_b32_e32 v15, 0x7f80
	s_and_saveexec_b64 s[10:11], vcc
	s_cbranch_execz .LBB837_459
; %bb.458:
	v_and_b32_e32 v25, 7, v14
	v_ffbh_u32_e32 v15, v25
	v_min_u32_e32 v28, 32, v15
	v_subrev_u32_e32 v15, 28, v28
	v_lshlrev_b64 v[14:15], v15, v[14:15]
	v_lshrrev_b32_e32 v27, 3, v24
	v_sub_u32_e32 v15, 29, v28
	v_and_b32_e32 v14, 7, v14
	v_cmp_gt_u32_e32 vcc, 8, v24
	v_cndmask_b32_e32 v15, v27, v15, vcc
	v_cndmask_b32_e32 v14, v25, v14, vcc
	v_lshlrev_b32_e32 v24, 16, v16
	v_bfrev_b32_e32 v25, 60
	v_lshlrev_b32_e32 v14, 20, v14
	v_and_b32_e32 v24, 0x80000000, v24
	v_lshl_add_u32 v15, v15, 23, v25
	v_or3_b32 v14, v24, v15, v14
	v_lshrrev_b32_e32 v15, 16, v14
.LBB837_459:
	s_or_b64 exec, exec, s[10:11]
.LBB837_460:
	s_or_b64 exec, exec, s[8:9]
.LBB837_461:
	s_or_b64 exec, exec, s[2:3]
	s_movk_i32 s2, 0xff
	v_and_b32_sdwa v27, v16, s2 dst_sel:DWORD dst_unused:UNUSED_PAD src0_sel:WORD_1 src1_sel:DWORD
	v_lshrrev_b32_e32 v14, 16, v16
	v_cmp_ne_u16_e32 vcc, 0, v27
	v_mov_b32_e32 v24, 0
	v_mov_b32_e32 v25, 0
	s_and_saveexec_b64 s[2:3], vcc
	s_cbranch_execz .LBB837_467
; %bb.462:
	s_movk_i32 s7, 0x80
	v_cmp_ne_u16_e32 vcc, s7, v27
	v_mov_b32_e32 v25, 0xffff8000
	s_and_saveexec_b64 s[8:9], vcc
	s_cbranch_execz .LBB837_466
; %bb.463:
	v_bfe_u32 v27, v16, 16, 7
	s_movk_i32 s7, 0x7f
	v_cmp_ne_u32_e32 vcc, s7, v27
	v_mov_b32_e32 v25, 0x7f80
	s_and_saveexec_b64 s[10:11], vcc
	s_cbranch_execz .LBB837_465
; %bb.464:
	v_and_b32_e32 v25, 7, v14
	v_ffbh_u32_e32 v28, v25
	v_min_u32_e32 v31, 32, v28
	v_subrev_u32_e32 v28, 28, v31
	v_lshlrev_b64 v[28:29], v28, v[14:15]
	v_lshrrev_b32_e32 v30, 3, v27
	v_sub_u32_e32 v14, 29, v31
	v_and_b32_e32 v28, 7, v28
	v_cmp_gt_u32_e32 vcc, 8, v27
	v_mov_b32_e32 v27, 24
	v_cndmask_b32_e32 v14, v30, v14, vcc
	v_cndmask_b32_e32 v25, v25, v28, vcc
	v_lshlrev_b32_sdwa v27, v27, v16 dst_sel:DWORD dst_unused:UNUSED_PAD src0_sel:DWORD src1_sel:WORD_1
	v_bfrev_b32_e32 v28, 60
	v_lshlrev_b32_e32 v25, 20, v25
	v_and_b32_e32 v27, 0x80000000, v27
	v_lshl_add_u32 v14, v14, 23, v28
	v_or3_b32 v14, v27, v14, v25
	v_lshrrev_b32_e32 v25, 16, v14
.LBB837_465:
	s_or_b64 exec, exec, s[10:11]
.LBB837_466:
	s_or_b64 exec, exec, s[8:9]
.LBB837_467:
	s_or_b64 exec, exec, s[2:3]
	s_mov_b32 s2, 0xffffff
	v_cmp_lt_u32_e32 vcc, s2, v16
	s_and_saveexec_b64 s[2:3], vcc
	s_cbranch_execz .LBB837_473
; %bb.468:
	v_lshrrev_b32_e32 v14, 24, v16
	s_movk_i32 s7, 0x80
	v_cmp_ne_u32_e32 vcc, s7, v14
	v_mov_b32_e32 v24, 0xffff8000
	s_and_saveexec_b64 s[8:9], vcc
	s_cbranch_execz .LBB837_472
; %bb.469:
	v_bfe_u32 v16, v16, 24, 7
	s_movk_i32 s7, 0x7f
	v_cmp_ne_u32_e32 vcc, s7, v16
	v_mov_b32_e32 v24, 0x7f80
	s_and_saveexec_b64 s[10:11], vcc
	s_cbranch_execz .LBB837_471
; %bb.470:
	v_and_b32_e32 v24, 7, v14
	v_ffbh_u32_e32 v28, v24
	v_min_u32_e32 v30, 32, v28
	v_subrev_u32_e32 v28, 28, v30
	v_lshlrev_b64 v[28:29], v28, v[14:15]
	v_lshrrev_b32_e32 v27, 3, v16
	v_sub_u32_e32 v29, 29, v30
	v_and_b32_e32 v28, 7, v28
	v_cmp_gt_u32_e32 vcc, 8, v16
	v_cndmask_b32_e32 v16, v27, v29, vcc
	v_cndmask_b32_e32 v24, v24, v28, vcc
	v_lshlrev_b32_e32 v14, 24, v14
	v_bfrev_b32_e32 v27, 60
	v_lshlrev_b32_e32 v24, 20, v24
	v_and_b32_e32 v14, 0x80000000, v14
	v_lshl_add_u32 v16, v16, 23, v27
	v_or3_b32 v14, v14, v16, v24
	v_lshrrev_b32_e32 v24, 16, v14
.LBB837_471:
	s_or_b64 exec, exec, s[10:11]
.LBB837_472:
	s_or_b64 exec, exec, s[8:9]
.LBB837_473:
	s_or_b64 exec, exec, s[2:3]
	v_mov_b32_e32 v16, 0
	v_cmp_ne_u16_sdwa s[8:9], v17, v16 src0_sel:BYTE_0 src1_sel:DWORD
	v_mov_b32_e32 v27, 0
	s_and_saveexec_b64 s[2:3], s[8:9]
	s_cbranch_execz .LBB837_479
; %bb.474:
	s_movk_i32 s7, 0x80
	v_cmp_ne_u16_sdwa s[10:11], v17, s7 src0_sel:BYTE_0 src1_sel:DWORD
	v_mov_b32_e32 v27, 0xffff8000
	s_and_saveexec_b64 s[8:9], s[10:11]
	s_cbranch_execz .LBB837_478
; %bb.475:
	s_movk_i32 s7, 0x7f
	v_and_b32_e32 v14, 0x7f, v17
	v_cmp_ne_u32_e32 vcc, s7, v14
	v_mov_b32_e32 v27, 0x7f80
	s_and_saveexec_b64 s[10:11], vcc
	s_cbranch_execz .LBB837_477
; %bb.476:
	v_and_b32_e32 v27, 7, v17
	v_ffbh_u32_e32 v29, v27
	v_min_u32_e32 v31, 32, v29
	v_mov_b32_e32 v28, v17
	v_subrev_u32_e32 v29, 28, v31
	v_lshlrev_b64 v[28:29], v29, v[28:29]
	v_lshrrev_b32_e32 v30, 3, v14
	v_sub_u32_e32 v29, 29, v31
	v_and_b32_e32 v28, 7, v28
	v_cmp_gt_u32_e32 vcc, 8, v14
	v_cndmask_b32_e32 v14, v30, v29, vcc
	v_cndmask_b32_e32 v27, v27, v28, vcc
	v_lshlrev_b32_e32 v28, 24, v17
	v_bfrev_b32_e32 v29, 60
	v_lshlrev_b32_e32 v27, 20, v27
	v_and_b32_e32 v28, 0x80000000, v28
	v_lshl_add_u32 v14, v14, 23, v29
	v_or3_b32 v14, v28, v14, v27
	v_lshrrev_b32_e32 v27, 16, v14
.LBB837_477:
	s_or_b64 exec, exec, s[10:11]
.LBB837_478:
	s_or_b64 exec, exec, s[8:9]
.LBB837_479:
	s_or_b64 exec, exec, s[2:3]
	v_lshrrev_b16_e32 v14, 8, v17
	v_cmp_ne_u16_e32 vcc, 0, v14
	s_and_saveexec_b64 s[2:3], vcc
	s_cbranch_execz .LBB837_485
; %bb.480:
	s_movk_i32 s7, 0x80
	v_cmp_ne_u16_e32 vcc, s7, v14
	v_mov_b32_e32 v16, 0xffff8000
	s_and_saveexec_b64 s[8:9], vcc
	s_cbranch_execz .LBB837_484
; %bb.481:
	s_movk_i32 s7, 0x7f
	v_and_b32_e32 v28, 0x7f, v14
	v_cmp_ne_u32_e32 vcc, s7, v28
	v_mov_b32_e32 v16, 0x7f80
	s_and_saveexec_b64 s[10:11], vcc
	s_cbranch_execz .LBB837_483
; %bb.482:
	v_and_b32_e32 v16, 7, v14
	v_ffbh_u32_e32 v30, v16
	v_min_u32_e32 v32, 32, v30
	v_subrev_u32_e32 v30, 28, v32
	v_lshlrev_b64 v[30:31], v30, v[14:15]
	v_lshrrev_b32_e32 v29, 3, v28
	v_sub_u32_e32 v14, 29, v32
	v_and_b32_e32 v30, 7, v30
	v_cmp_gt_u32_e32 vcc, 8, v28
	v_cndmask_b32_e32 v14, v29, v14, vcc
	v_cndmask_b32_e32 v16, v16, v30, vcc
	v_lshlrev_b32_e32 v28, 16, v17
	v_bfrev_b32_e32 v29, 60
	v_lshlrev_b32_e32 v16, 20, v16
	v_and_b32_e32 v28, 0x80000000, v28
	v_lshl_add_u32 v14, v14, 23, v29
	v_or3_b32 v14, v28, v14, v16
	v_lshrrev_b32_e32 v16, 16, v14
.LBB837_483:
	s_or_b64 exec, exec, s[10:11]
.LBB837_484:
	s_or_b64 exec, exec, s[8:9]
.LBB837_485:
	s_or_b64 exec, exec, s[2:3]
	s_movk_i32 s2, 0xff
	v_and_b32_sdwa v30, v17, s2 dst_sel:DWORD dst_unused:UNUSED_PAD src0_sel:WORD_1 src1_sel:DWORD
	v_lshrrev_b32_e32 v14, 16, v17
	v_cmp_ne_u16_e32 vcc, 0, v30
	v_mov_b32_e32 v28, 0
	v_mov_b32_e32 v29, 0
	s_and_saveexec_b64 s[2:3], vcc
	s_cbranch_execz .LBB837_491
; %bb.486:
	s_movk_i32 s7, 0x80
	v_cmp_ne_u16_e32 vcc, s7, v30
	v_mov_b32_e32 v29, 0xffff8000
	s_and_saveexec_b64 s[8:9], vcc
	s_cbranch_execz .LBB837_490
; %bb.487:
	v_bfe_u32 v30, v17, 16, 7
	s_movk_i32 s7, 0x7f
	v_cmp_ne_u32_e32 vcc, s7, v30
	v_mov_b32_e32 v29, 0x7f80
	s_and_saveexec_b64 s[10:11], vcc
	s_cbranch_execz .LBB837_489
; %bb.488:
	v_and_b32_e32 v29, 7, v14
	v_ffbh_u32_e32 v32, v29
	v_min_u32_e32 v34, 32, v32
	v_subrev_u32_e32 v32, 28, v34
	v_lshlrev_b64 v[32:33], v32, v[14:15]
	v_lshrrev_b32_e32 v31, 3, v30
	v_sub_u32_e32 v14, 29, v34
	v_and_b32_e32 v32, 7, v32
	v_cmp_gt_u32_e32 vcc, 8, v30
	v_mov_b32_e32 v30, 24
	v_cndmask_b32_e32 v14, v31, v14, vcc
	v_cndmask_b32_e32 v29, v29, v32, vcc
	v_lshlrev_b32_sdwa v30, v30, v17 dst_sel:DWORD dst_unused:UNUSED_PAD src0_sel:DWORD src1_sel:WORD_1
	v_bfrev_b32_e32 v31, 60
	v_lshlrev_b32_e32 v29, 20, v29
	v_and_b32_e32 v30, 0x80000000, v30
	v_lshl_add_u32 v14, v14, 23, v31
	v_or3_b32 v14, v30, v14, v29
	v_lshrrev_b32_e32 v29, 16, v14
.LBB837_489:
	s_or_b64 exec, exec, s[10:11]
.LBB837_490:
	s_or_b64 exec, exec, s[8:9]
.LBB837_491:
	s_or_b64 exec, exec, s[2:3]
	s_mov_b32 s2, 0xffffff
	v_cmp_lt_u32_e32 vcc, s2, v17
	s_and_saveexec_b64 s[2:3], vcc
	s_cbranch_execz .LBB837_497
; %bb.492:
	v_lshrrev_b32_e32 v14, 24, v17
	s_movk_i32 s7, 0x80
	v_cmp_ne_u32_e32 vcc, s7, v14
	v_mov_b32_e32 v28, 0xffff8000
	s_and_saveexec_b64 s[8:9], vcc
	s_cbranch_execz .LBB837_496
; %bb.493:
	v_bfe_u32 v17, v17, 24, 7
	s_movk_i32 s7, 0x7f
	v_cmp_ne_u32_e32 vcc, s7, v17
	v_mov_b32_e32 v28, 0x7f80
	s_and_saveexec_b64 s[10:11], vcc
	s_cbranch_execz .LBB837_495
; %bb.494:
	v_and_b32_e32 v28, 7, v14
	v_ffbh_u32_e32 v30, v28
	v_min_u32_e32 v33, 32, v30
	v_subrev_u32_e32 v30, 28, v33
	v_lshlrev_b64 v[30:31], v30, v[14:15]
	v_lshrrev_b32_e32 v32, 3, v17
	v_sub_u32_e32 v31, 29, v33
	v_and_b32_e32 v30, 7, v30
	v_cmp_gt_u32_e32 vcc, 8, v17
	v_cndmask_b32_e32 v17, v32, v31, vcc
	v_cndmask_b32_e32 v28, v28, v30, vcc
	v_lshlrev_b32_e32 v14, 24, v14
	v_bfrev_b32_e32 v30, 60
	v_lshlrev_b32_e32 v28, 20, v28
	v_and_b32_e32 v14, 0x80000000, v14
	v_lshl_add_u32 v17, v17, 23, v30
	v_or3_b32 v14, v14, v17, v28
	v_lshrrev_b32_e32 v28, 16, v14
.LBB837_495:
	s_or_b64 exec, exec, s[10:11]
.LBB837_496:
	s_or_b64 exec, exec, s[8:9]
.LBB837_497:
	s_or_b64 exec, exec, s[2:3]
	s_mov_b32 s2, 0x5040100
	v_perm_b32 v25, v24, v25, s2
	v_perm_b32 v24, v15, v23, s2
	ds_read_b128 v[30:33], v22 offset:16
	v_perm_b32 v15, v28, v29, s2
	v_perm_b32 v14, v16, v27, s2
	s_waitcnt lgkmcnt(0)
	v_mfma_f32_16x16x16bf16_1k v[34:37], v[24:25], v[30:31], v[18:21]
	s_nop 6
	v_mov_b32_e32 v19, 0
	s_waitcnt vmcnt(2)
	v_cmp_ne_u16_sdwa s[8:9], v10, v19 src0_sel:BYTE_0 src1_sel:DWORD
	v_mfma_f32_16x16x16bf16_1k v[14:17], v[14:15], v[32:33], v[34:37]
	v_mov_b32_e32 v20, 0
	s_and_saveexec_b64 s[2:3], s[8:9]
	s_cbranch_execz .LBB837_503
; %bb.498:
	s_movk_i32 s7, 0x80
	v_cmp_ne_u16_sdwa s[10:11], v10, s7 src0_sel:BYTE_0 src1_sel:DWORD
	v_mov_b32_e32 v20, 0xffff8000
	s_and_saveexec_b64 s[8:9], s[10:11]
	s_cbranch_execz .LBB837_502
; %bb.499:
	s_movk_i32 s7, 0x7f
	v_and_b32_e32 v18, 0x7f, v10
	v_cmp_ne_u32_e32 vcc, s7, v18
	v_mov_b32_e32 v20, 0x7f80
	s_and_saveexec_b64 s[10:11], vcc
	s_cbranch_execz .LBB837_501
; %bb.500:
	v_and_b32_e32 v23, 7, v10
	v_ffbh_u32_e32 v20, v23
	v_min_u32_e32 v25, 32, v20
	v_subrev_u32_e32 v20, 28, v25
	v_lshlrev_b64 v[20:21], v20, v[10:11]
	v_lshrrev_b32_e32 v24, 3, v18
	v_sub_u32_e32 v21, 29, v25
	v_and_b32_e32 v20, 7, v20
	v_cmp_gt_u32_e32 vcc, 8, v18
	v_cndmask_b32_e32 v18, v24, v21, vcc
	v_cndmask_b32_e32 v20, v23, v20, vcc
	v_lshlrev_b32_e32 v21, 24, v10
	v_bfrev_b32_e32 v23, 60
	v_lshlrev_b32_e32 v20, 20, v20
	v_and_b32_e32 v21, 0x80000000, v21
	v_lshl_add_u32 v18, v18, 23, v23
	v_or3_b32 v18, v21, v18, v20
	v_lshrrev_b32_e32 v20, 16, v18
.LBB837_501:
	s_or_b64 exec, exec, s[10:11]
.LBB837_502:
	s_or_b64 exec, exec, s[8:9]
.LBB837_503:
	s_or_b64 exec, exec, s[2:3]
	v_lshrrev_b16_e32 v18, 8, v10
	v_cmp_ne_u16_e32 vcc, 0, v18
	s_and_saveexec_b64 s[2:3], vcc
	s_cbranch_execz .LBB837_509
; %bb.504:
	s_movk_i32 s7, 0x80
	v_cmp_ne_u16_e32 vcc, s7, v18
	v_mov_b32_e32 v19, 0xffff8000
	s_and_saveexec_b64 s[8:9], vcc
	s_cbranch_execz .LBB837_508
; %bb.505:
	s_movk_i32 s7, 0x7f
	v_and_b32_e32 v21, 0x7f, v18
	v_cmp_ne_u32_e32 vcc, s7, v21
	v_mov_b32_e32 v19, 0x7f80
	s_and_saveexec_b64 s[10:11], vcc
	s_cbranch_execz .LBB837_507
; %bb.506:
	v_and_b32_e32 v23, 7, v18
	v_ffbh_u32_e32 v19, v23
	v_min_u32_e32 v25, 32, v19
	v_subrev_u32_e32 v19, 28, v25
	v_lshlrev_b64 v[18:19], v19, v[18:19]
	v_lshrrev_b32_e32 v24, 3, v21
	v_sub_u32_e32 v19, 29, v25
	v_and_b32_e32 v18, 7, v18
	v_cmp_gt_u32_e32 vcc, 8, v21
	v_cndmask_b32_e32 v19, v24, v19, vcc
	v_cndmask_b32_e32 v18, v23, v18, vcc
	v_lshlrev_b32_e32 v21, 16, v10
	v_bfrev_b32_e32 v23, 60
	v_lshlrev_b32_e32 v18, 20, v18
	v_and_b32_e32 v21, 0x80000000, v21
	v_lshl_add_u32 v19, v19, 23, v23
	v_or3_b32 v18, v21, v19, v18
	v_lshrrev_b32_e32 v19, 16, v18
.LBB837_507:
	s_or_b64 exec, exec, s[10:11]
.LBB837_508:
	s_or_b64 exec, exec, s[8:9]
.LBB837_509:
	s_or_b64 exec, exec, s[2:3]
	s_movk_i32 s2, 0xff
	v_and_b32_sdwa v24, v10, s2 dst_sel:DWORD dst_unused:UNUSED_PAD src0_sel:WORD_1 src1_sel:DWORD
	v_lshrrev_b32_e32 v18, 16, v10
	v_cmp_ne_u16_e32 vcc, 0, v24
	v_mov_b32_e32 v21, 0
	v_mov_b32_e32 v23, 0
	s_and_saveexec_b64 s[2:3], vcc
	s_cbranch_execz .LBB837_515
; %bb.510:
	s_movk_i32 s7, 0x80
	v_cmp_ne_u16_e32 vcc, s7, v24
	v_mov_b32_e32 v23, 0xffff8000
	s_and_saveexec_b64 s[8:9], vcc
	s_cbranch_execz .LBB837_514
; %bb.511:
	v_bfe_u32 v24, v10, 16, 7
	s_movk_i32 s7, 0x7f
	v_cmp_ne_u32_e32 vcc, s7, v24
	v_mov_b32_e32 v23, 0x7f80
	s_and_saveexec_b64 s[10:11], vcc
	s_cbranch_execz .LBB837_513
; %bb.512:
	v_and_b32_e32 v23, 7, v18
	v_ffbh_u32_e32 v27, v23
	v_min_u32_e32 v27, 32, v27
	v_subrev_u32_e32 v28, 28, v27
	v_lshlrev_b64 v[28:29], v28, v[18:19]
	v_lshrrev_b32_e32 v25, 3, v24
	v_sub_u32_e32 v18, 29, v27
	v_and_b32_e32 v27, 7, v28
	v_cmp_gt_u32_e32 vcc, 8, v24
	v_mov_b32_e32 v24, 24
	v_cndmask_b32_e32 v18, v25, v18, vcc
	v_cndmask_b32_e32 v23, v23, v27, vcc
	v_lshlrev_b32_sdwa v24, v24, v10 dst_sel:DWORD dst_unused:UNUSED_PAD src0_sel:DWORD src1_sel:WORD_1
	v_bfrev_b32_e32 v25, 60
	v_lshlrev_b32_e32 v23, 20, v23
	v_and_b32_e32 v24, 0x80000000, v24
	v_lshl_add_u32 v18, v18, 23, v25
	v_or3_b32 v18, v24, v18, v23
	v_lshrrev_b32_e32 v23, 16, v18
.LBB837_513:
	s_or_b64 exec, exec, s[10:11]
.LBB837_514:
	s_or_b64 exec, exec, s[8:9]
.LBB837_515:
	s_or_b64 exec, exec, s[2:3]
	s_mov_b32 s2, 0xffffff
	v_cmp_lt_u32_e32 vcc, s2, v10
	s_and_saveexec_b64 s[2:3], vcc
	s_cbranch_execz .LBB837_521
; %bb.516:
	v_lshrrev_b32_e32 v18, 24, v10
	s_movk_i32 s7, 0x80
	v_cmp_ne_u32_e32 vcc, s7, v18
	v_mov_b32_e32 v21, 0xffff8000
	s_and_saveexec_b64 s[8:9], vcc
	s_cbranch_execz .LBB837_520
; %bb.517:
	v_bfe_u32 v10, v10, 24, 7
	s_movk_i32 s7, 0x7f
	v_cmp_ne_u32_e32 vcc, s7, v10
	v_mov_b32_e32 v21, 0x7f80
	s_and_saveexec_b64 s[10:11], vcc
	s_cbranch_execz .LBB837_519
; %bb.518:
	v_and_b32_e32 v21, 7, v18
	v_ffbh_u32_e32 v24, v21
	v_min_u32_e32 v28, 32, v24
	v_subrev_u32_e32 v24, 28, v28
	v_lshlrev_b64 v[24:25], v24, v[18:19]
	v_lshrrev_b32_e32 v27, 3, v10
	v_sub_u32_e32 v25, 29, v28
	v_and_b32_e32 v24, 7, v24
	v_cmp_gt_u32_e32 vcc, 8, v10
	v_cndmask_b32_e32 v10, v27, v25, vcc
	v_cndmask_b32_e32 v21, v21, v24, vcc
	v_lshlrev_b32_e32 v18, 24, v18
	v_bfrev_b32_e32 v24, 60
	v_lshlrev_b32_e32 v21, 20, v21
	v_and_b32_e32 v18, 0x80000000, v18
	v_lshl_add_u32 v10, v10, 23, v24
	v_or3_b32 v10, v18, v10, v21
	v_lshrrev_b32_e32 v21, 16, v10
.LBB837_519:
	s_or_b64 exec, exec, s[10:11]
.LBB837_520:
	s_or_b64 exec, exec, s[8:9]
.LBB837_521:
	s_or_b64 exec, exec, s[2:3]
	v_mov_b32_e32 v18, 0
	v_cmp_ne_u16_sdwa s[8:9], v11, v18 src0_sel:BYTE_0 src1_sel:DWORD
	v_mov_b32_e32 v24, 0
	s_and_saveexec_b64 s[2:3], s[8:9]
	s_cbranch_execz .LBB837_527
; %bb.522:
	s_movk_i32 s7, 0x80
	v_cmp_ne_u16_sdwa s[10:11], v11, s7 src0_sel:BYTE_0 src1_sel:DWORD
	v_mov_b32_e32 v24, 0xffff8000
	s_and_saveexec_b64 s[8:9], s[10:11]
	s_cbranch_execz .LBB837_526
; %bb.523:
	s_movk_i32 s7, 0x7f
	v_and_b32_e32 v10, 0x7f, v11
	v_cmp_ne_u32_e32 vcc, s7, v10
	v_mov_b32_e32 v24, 0x7f80
	s_and_saveexec_b64 s[10:11], vcc
	s_cbranch_execz .LBB837_525
; %bb.524:
	v_and_b32_e32 v27, 7, v11
	v_ffbh_u32_e32 v25, v27
	v_min_u32_e32 v29, 32, v25
	v_mov_b32_e32 v24, v11
	v_subrev_u32_e32 v25, 28, v29
	v_lshlrev_b64 v[24:25], v25, v[24:25]
	v_lshrrev_b32_e32 v28, 3, v10
	v_sub_u32_e32 v25, 29, v29
	v_and_b32_e32 v24, 7, v24
	v_cmp_gt_u32_e32 vcc, 8, v10
	v_cndmask_b32_e32 v10, v28, v25, vcc
	v_cndmask_b32_e32 v24, v27, v24, vcc
	v_lshlrev_b32_e32 v25, 24, v11
	v_bfrev_b32_e32 v27, 60
	v_lshlrev_b32_e32 v24, 20, v24
	v_and_b32_e32 v25, 0x80000000, v25
	v_lshl_add_u32 v10, v10, 23, v27
	v_or3_b32 v10, v25, v10, v24
	v_lshrrev_b32_e32 v24, 16, v10
.LBB837_525:
	s_or_b64 exec, exec, s[10:11]
.LBB837_526:
	s_or_b64 exec, exec, s[8:9]
.LBB837_527:
	s_or_b64 exec, exec, s[2:3]
	v_lshrrev_b16_e32 v10, 8, v11
	v_cmp_ne_u16_e32 vcc, 0, v10
	s_and_saveexec_b64 s[2:3], vcc
	s_cbranch_execz .LBB837_533
; %bb.528:
	s_movk_i32 s7, 0x80
	v_cmp_ne_u16_e32 vcc, s7, v10
	v_mov_b32_e32 v18, 0xffff8000
	s_and_saveexec_b64 s[8:9], vcc
	s_cbranch_execz .LBB837_532
; %bb.529:
	s_movk_i32 s7, 0x7f
	v_and_b32_e32 v25, 0x7f, v10
	v_cmp_ne_u32_e32 vcc, s7, v25
	v_mov_b32_e32 v18, 0x7f80
	s_and_saveexec_b64 s[10:11], vcc
	s_cbranch_execz .LBB837_531
; %bb.530:
	v_and_b32_e32 v18, 7, v10
	v_ffbh_u32_e32 v28, v18
	v_min_u32_e32 v30, 32, v28
	v_subrev_u32_e32 v28, 28, v30
	v_lshlrev_b64 v[28:29], v28, v[10:11]
	v_lshrrev_b32_e32 v27, 3, v25
	v_sub_u32_e32 v10, 29, v30
	v_and_b32_e32 v28, 7, v28
	v_cmp_gt_u32_e32 vcc, 8, v25
	v_cndmask_b32_e32 v10, v27, v10, vcc
	v_cndmask_b32_e32 v18, v18, v28, vcc
	v_lshlrev_b32_e32 v25, 16, v11
	v_bfrev_b32_e32 v27, 60
	v_lshlrev_b32_e32 v18, 20, v18
	v_and_b32_e32 v25, 0x80000000, v25
	v_lshl_add_u32 v10, v10, 23, v27
	v_or3_b32 v10, v25, v10, v18
	v_lshrrev_b32_e32 v18, 16, v10
.LBB837_531:
	s_or_b64 exec, exec, s[10:11]
.LBB837_532:
	s_or_b64 exec, exec, s[8:9]
.LBB837_533:
	s_or_b64 exec, exec, s[2:3]
	s_movk_i32 s2, 0xff
	v_and_b32_sdwa v28, v11, s2 dst_sel:DWORD dst_unused:UNUSED_PAD src0_sel:WORD_1 src1_sel:DWORD
	v_lshrrev_b32_e32 v10, 16, v11
	v_cmp_ne_u16_e32 vcc, 0, v28
	v_mov_b32_e32 v25, 0
	v_mov_b32_e32 v27, 0
	s_and_saveexec_b64 s[2:3], vcc
	s_cbranch_execz .LBB837_539
; %bb.534:
	s_movk_i32 s7, 0x80
	v_cmp_ne_u16_e32 vcc, s7, v28
	v_mov_b32_e32 v27, 0xffff8000
	s_and_saveexec_b64 s[8:9], vcc
	s_cbranch_execz .LBB837_538
; %bb.535:
	v_bfe_u32 v28, v11, 16, 7
	s_movk_i32 s7, 0x7f
	v_cmp_ne_u32_e32 vcc, s7, v28
	v_mov_b32_e32 v27, 0x7f80
	s_and_saveexec_b64 s[10:11], vcc
	s_cbranch_execz .LBB837_537
; %bb.536:
	v_and_b32_e32 v27, 7, v10
	v_ffbh_u32_e32 v30, v27
	v_min_u32_e32 v32, 32, v30
	v_subrev_u32_e32 v30, 28, v32
	v_lshlrev_b64 v[30:31], v30, v[10:11]
	v_lshrrev_b32_e32 v29, 3, v28
	v_sub_u32_e32 v10, 29, v32
	v_and_b32_e32 v30, 7, v30
	v_cmp_gt_u32_e32 vcc, 8, v28
	v_mov_b32_e32 v28, 24
	v_cndmask_b32_e32 v10, v29, v10, vcc
	v_cndmask_b32_e32 v27, v27, v30, vcc
	v_lshlrev_b32_sdwa v28, v28, v11 dst_sel:DWORD dst_unused:UNUSED_PAD src0_sel:DWORD src1_sel:WORD_1
	v_bfrev_b32_e32 v29, 60
	v_lshlrev_b32_e32 v27, 20, v27
	v_and_b32_e32 v28, 0x80000000, v28
	v_lshl_add_u32 v10, v10, 23, v29
	v_or3_b32 v10, v28, v10, v27
	v_lshrrev_b32_e32 v27, 16, v10
.LBB837_537:
	s_or_b64 exec, exec, s[10:11]
.LBB837_538:
	s_or_b64 exec, exec, s[8:9]
.LBB837_539:
	s_or_b64 exec, exec, s[2:3]
	s_mov_b32 s2, 0xffffff
	v_cmp_lt_u32_e32 vcc, s2, v11
	s_and_saveexec_b64 s[2:3], vcc
	s_cbranch_execz .LBB837_545
; %bb.540:
	v_lshrrev_b32_e32 v10, 24, v11
	s_movk_i32 s7, 0x80
	v_cmp_ne_u32_e32 vcc, s7, v10
	v_mov_b32_e32 v25, 0xffff8000
	s_and_saveexec_b64 s[8:9], vcc
	s_cbranch_execz .LBB837_544
; %bb.541:
	v_bfe_u32 v11, v11, 24, 7
	s_movk_i32 s7, 0x7f
	v_cmp_ne_u32_e32 vcc, s7, v11
	v_mov_b32_e32 v25, 0x7f80
	s_and_saveexec_b64 s[10:11], vcc
	s_cbranch_execz .LBB837_543
; %bb.542:
	v_and_b32_e32 v25, 7, v10
	v_ffbh_u32_e32 v28, v25
	v_min_u32_e32 v31, 32, v28
	v_subrev_u32_e32 v28, 28, v31
	v_lshlrev_b64 v[28:29], v28, v[10:11]
	v_lshrrev_b32_e32 v30, 3, v11
	v_sub_u32_e32 v29, 29, v31
	v_and_b32_e32 v28, 7, v28
	v_cmp_gt_u32_e32 vcc, 8, v11
	v_cndmask_b32_e32 v11, v30, v29, vcc
	v_cndmask_b32_e32 v25, v25, v28, vcc
	v_lshlrev_b32_e32 v10, 24, v10
	v_bfrev_b32_e32 v28, 60
	v_lshlrev_b32_e32 v25, 20, v25
	v_and_b32_e32 v10, 0x80000000, v10
	v_lshl_add_u32 v11, v11, 23, v28
	v_or3_b32 v10, v10, v11, v25
	v_lshrrev_b32_e32 v25, 16, v10
.LBB837_543:
	s_or_b64 exec, exec, s[10:11]
.LBB837_544:
	s_or_b64 exec, exec, s[8:9]
.LBB837_545:
	s_or_b64 exec, exec, s[2:3]
	s_mov_b32 s2, 0x5040100
	v_perm_b32 v11, v21, v23, s2
	v_perm_b32 v10, v19, v20, s2
	ds_read_b128 v[28:31], v22 offset:2048
	v_perm_b32 v21, v25, v27, s2
	v_perm_b32 v20, v18, v24, s2
	s_waitcnt lgkmcnt(0)
	v_mfma_f32_16x16x16bf16_1k v[14:17], v[10:11], v[28:29], v[14:17]
	v_mov_b32_e32 v11, 0
	v_cmp_ne_u16_sdwa s[8:9], v12, v11 src0_sel:BYTE_0 src1_sel:DWORD
	v_mov_b32_e32 v18, 0
	v_mfma_f32_16x16x16bf16_1k v[14:17], v[20:21], v[30:31], v[14:17]
	s_and_saveexec_b64 s[2:3], s[8:9]
	s_cbranch_execz .LBB837_551
; %bb.546:
	s_movk_i32 s7, 0x80
	v_cmp_ne_u16_sdwa s[10:11], v12, s7 src0_sel:BYTE_0 src1_sel:DWORD
	v_mov_b32_e32 v18, 0xffff8000
	s_and_saveexec_b64 s[8:9], s[10:11]
	s_cbranch_execz .LBB837_550
; %bb.547:
	s_movk_i32 s7, 0x7f
	v_and_b32_e32 v10, 0x7f, v12
	v_cmp_ne_u32_e32 vcc, s7, v10
	v_mov_b32_e32 v18, 0x7f80
	s_and_saveexec_b64 s[10:11], vcc
	s_cbranch_execz .LBB837_549
; %bb.548:
	v_and_b32_e32 v20, 7, v12
	v_ffbh_u32_e32 v18, v20
	v_min_u32_e32 v23, 32, v18
	v_subrev_u32_e32 v18, 28, v23
	v_lshlrev_b64 v[18:19], v18, v[12:13]
	v_lshrrev_b32_e32 v21, 3, v10
	v_sub_u32_e32 v19, 29, v23
	v_and_b32_e32 v18, 7, v18
	v_cmp_gt_u32_e32 vcc, 8, v10
	v_cndmask_b32_e32 v10, v21, v19, vcc
	v_cndmask_b32_e32 v18, v20, v18, vcc
	v_lshlrev_b32_e32 v19, 24, v12
	v_bfrev_b32_e32 v20, 60
	v_lshlrev_b32_e32 v18, 20, v18
	v_and_b32_e32 v19, 0x80000000, v19
	v_lshl_add_u32 v10, v10, 23, v20
	v_or3_b32 v10, v19, v10, v18
	v_lshrrev_b32_e32 v18, 16, v10
.LBB837_549:
	s_or_b64 exec, exec, s[10:11]
.LBB837_550:
	s_or_b64 exec, exec, s[8:9]
.LBB837_551:
	s_or_b64 exec, exec, s[2:3]
	v_lshrrev_b16_e32 v10, 8, v12
	v_cmp_ne_u16_e32 vcc, 0, v10
	s_and_saveexec_b64 s[2:3], vcc
	s_cbranch_execz .LBB837_557
; %bb.552:
	s_movk_i32 s7, 0x80
	v_cmp_ne_u16_e32 vcc, s7, v10
	v_mov_b32_e32 v11, 0xffff8000
	s_and_saveexec_b64 s[8:9], vcc
	s_cbranch_execz .LBB837_556
; %bb.553:
	s_movk_i32 s7, 0x7f
	v_and_b32_e32 v19, 0x7f, v10
	v_cmp_ne_u32_e32 vcc, s7, v19
	v_mov_b32_e32 v11, 0x7f80
	s_and_saveexec_b64 s[10:11], vcc
	s_cbranch_execz .LBB837_555
; %bb.554:
	v_and_b32_e32 v20, 7, v10
	v_ffbh_u32_e32 v11, v20
	v_min_u32_e32 v23, 32, v11
	v_subrev_u32_e32 v11, 28, v23
	v_lshlrev_b64 v[10:11], v11, v[10:11]
	v_lshrrev_b32_e32 v21, 3, v19
	v_sub_u32_e32 v11, 29, v23
	v_and_b32_e32 v10, 7, v10
	v_cmp_gt_u32_e32 vcc, 8, v19
	v_cndmask_b32_e32 v11, v21, v11, vcc
	v_cndmask_b32_e32 v10, v20, v10, vcc
	v_lshlrev_b32_e32 v19, 16, v12
	v_bfrev_b32_e32 v20, 60
	v_lshlrev_b32_e32 v10, 20, v10
	v_and_b32_e32 v19, 0x80000000, v19
	v_lshl_add_u32 v11, v11, 23, v20
	v_or3_b32 v10, v19, v11, v10
	v_lshrrev_b32_e32 v11, 16, v10
.LBB837_555:
	s_or_b64 exec, exec, s[10:11]
.LBB837_556:
	s_or_b64 exec, exec, s[8:9]
.LBB837_557:
	s_or_b64 exec, exec, s[2:3]
	s_movk_i32 s2, 0xff
	v_and_b32_sdwa v21, v12, s2 dst_sel:DWORD dst_unused:UNUSED_PAD src0_sel:WORD_1 src1_sel:DWORD
	v_lshrrev_b32_e32 v10, 16, v12
	v_cmp_ne_u16_e32 vcc, 0, v21
	v_mov_b32_e32 v19, 0
	v_mov_b32_e32 v20, 0
	s_and_saveexec_b64 s[2:3], vcc
	s_cbranch_execz .LBB837_563
; %bb.558:
	s_movk_i32 s7, 0x80
	v_cmp_ne_u16_e32 vcc, s7, v21
	v_mov_b32_e32 v20, 0xffff8000
	s_and_saveexec_b64 s[8:9], vcc
	s_cbranch_execz .LBB837_562
; %bb.559:
	v_bfe_u32 v21, v12, 16, 7
	s_movk_i32 s7, 0x7f
	v_cmp_ne_u32_e32 vcc, s7, v21
	v_mov_b32_e32 v20, 0x7f80
	s_and_saveexec_b64 s[10:11], vcc
	s_cbranch_execz .LBB837_561
; %bb.560:
	v_and_b32_e32 v20, 7, v10
	v_ffbh_u32_e32 v24, v20
	v_min_u32_e32 v27, 32, v24
	v_subrev_u32_e32 v24, 28, v27
	v_lshlrev_b64 v[24:25], v24, v[10:11]
	v_lshrrev_b32_e32 v23, 3, v21
	v_sub_u32_e32 v10, 29, v27
	v_and_b32_e32 v24, 7, v24
	v_cmp_gt_u32_e32 vcc, 8, v21
	v_mov_b32_e32 v21, 24
	v_cndmask_b32_e32 v10, v23, v10, vcc
	v_cndmask_b32_e32 v20, v20, v24, vcc
	v_lshlrev_b32_sdwa v21, v21, v12 dst_sel:DWORD dst_unused:UNUSED_PAD src0_sel:DWORD src1_sel:WORD_1
	v_bfrev_b32_e32 v23, 60
	v_lshlrev_b32_e32 v20, 20, v20
	v_and_b32_e32 v21, 0x80000000, v21
	v_lshl_add_u32 v10, v10, 23, v23
	v_or3_b32 v10, v21, v10, v20
	v_lshrrev_b32_e32 v20, 16, v10
.LBB837_561:
	s_or_b64 exec, exec, s[10:11]
.LBB837_562:
	s_or_b64 exec, exec, s[8:9]
.LBB837_563:
	s_or_b64 exec, exec, s[2:3]
	s_mov_b32 s2, 0xffffff
	v_cmp_lt_u32_e32 vcc, s2, v12
	s_and_saveexec_b64 s[2:3], vcc
	s_cbranch_execz .LBB837_569
; %bb.564:
	v_lshrrev_b32_e32 v10, 24, v12
	s_movk_i32 s7, 0x80
	v_cmp_ne_u32_e32 vcc, s7, v10
	v_mov_b32_e32 v19, 0xffff8000
	s_and_saveexec_b64 s[8:9], vcc
	s_cbranch_execz .LBB837_568
; %bb.565:
	v_bfe_u32 v12, v12, 24, 7
	s_movk_i32 s7, 0x7f
	v_cmp_ne_u32_e32 vcc, s7, v12
	v_mov_b32_e32 v19, 0x7f80
	s_and_saveexec_b64 s[10:11], vcc
	s_cbranch_execz .LBB837_567
; %bb.566:
	v_and_b32_e32 v19, 7, v10
	v_ffbh_u32_e32 v23, v19
	v_min_u32_e32 v23, 32, v23
	v_subrev_u32_e32 v24, 28, v23
	v_lshlrev_b64 v[24:25], v24, v[10:11]
	v_lshrrev_b32_e32 v21, 3, v12
	v_sub_u32_e32 v23, 29, v23
	v_and_b32_e32 v24, 7, v24
	v_cmp_gt_u32_e32 vcc, 8, v12
	v_cndmask_b32_e32 v12, v21, v23, vcc
	v_cndmask_b32_e32 v19, v19, v24, vcc
	v_lshlrev_b32_e32 v10, 24, v10
	v_bfrev_b32_e32 v21, 60
	v_lshlrev_b32_e32 v19, 20, v19
	v_and_b32_e32 v10, 0x80000000, v10
	v_lshl_add_u32 v12, v12, 23, v21
	v_or3_b32 v10, v10, v12, v19
	v_lshrrev_b32_e32 v19, 16, v10
.LBB837_567:
	s_or_b64 exec, exec, s[10:11]
.LBB837_568:
	s_or_b64 exec, exec, s[8:9]
.LBB837_569:
	s_or_b64 exec, exec, s[2:3]
	v_mov_b32_e32 v12, 0
	v_cmp_ne_u16_sdwa s[8:9], v13, v12 src0_sel:BYTE_0 src1_sel:DWORD
	v_mov_b32_e32 v21, 0
	s_and_saveexec_b64 s[2:3], s[8:9]
	s_cbranch_execz .LBB837_575
; %bb.570:
	s_movk_i32 s7, 0x80
	v_cmp_ne_u16_sdwa s[10:11], v13, s7 src0_sel:BYTE_0 src1_sel:DWORD
	v_mov_b32_e32 v21, 0xffff8000
	s_and_saveexec_b64 s[8:9], s[10:11]
	s_cbranch_execz .LBB837_574
; %bb.571:
	s_movk_i32 s7, 0x7f
	v_and_b32_e32 v10, 0x7f, v13
	v_cmp_ne_u32_e32 vcc, s7, v10
	v_mov_b32_e32 v21, 0x7f80
	s_and_saveexec_b64 s[10:11], vcc
	s_cbranch_execz .LBB837_573
; %bb.572:
	v_and_b32_e32 v21, 7, v13
	v_ffbh_u32_e32 v25, v21
	v_min_u32_e32 v27, 32, v25
	v_mov_b32_e32 v24, v13
	v_subrev_u32_e32 v25, 28, v27
	v_lshlrev_b64 v[24:25], v25, v[24:25]
	v_lshrrev_b32_e32 v23, 3, v10
	v_sub_u32_e32 v25, 29, v27
	v_and_b32_e32 v24, 7, v24
	v_cmp_gt_u32_e32 vcc, 8, v10
	v_cndmask_b32_e32 v10, v23, v25, vcc
	v_cndmask_b32_e32 v21, v21, v24, vcc
	v_lshlrev_b32_e32 v23, 24, v13
	v_bfrev_b32_e32 v24, 60
	v_lshlrev_b32_e32 v21, 20, v21
	v_and_b32_e32 v23, 0x80000000, v23
	v_lshl_add_u32 v10, v10, 23, v24
	v_or3_b32 v10, v23, v10, v21
	v_lshrrev_b32_e32 v21, 16, v10
.LBB837_573:
	s_or_b64 exec, exec, s[10:11]
.LBB837_574:
	s_or_b64 exec, exec, s[8:9]
.LBB837_575:
	s_or_b64 exec, exec, s[2:3]
	v_lshrrev_b16_e32 v10, 8, v13
	v_cmp_ne_u16_e32 vcc, 0, v10
	s_and_saveexec_b64 s[2:3], vcc
	s_cbranch_execz .LBB837_581
; %bb.576:
	s_movk_i32 s7, 0x80
	v_cmp_ne_u16_e32 vcc, s7, v10
	v_mov_b32_e32 v12, 0xffff8000
	s_and_saveexec_b64 s[8:9], vcc
	s_cbranch_execz .LBB837_580
; %bb.577:
	s_movk_i32 s7, 0x7f
	v_and_b32_e32 v23, 0x7f, v10
	v_cmp_ne_u32_e32 vcc, s7, v23
	v_mov_b32_e32 v12, 0x7f80
	s_and_saveexec_b64 s[10:11], vcc
	s_cbranch_execz .LBB837_579
; %bb.578:
	v_and_b32_e32 v12, 7, v10
	v_ffbh_u32_e32 v24, v12
	v_min_u32_e32 v28, 32, v24
	v_subrev_u32_e32 v24, 28, v28
	v_lshlrev_b64 v[24:25], v24, v[10:11]
	v_lshrrev_b32_e32 v27, 3, v23
	v_sub_u32_e32 v10, 29, v28
	v_and_b32_e32 v24, 7, v24
	v_cmp_gt_u32_e32 vcc, 8, v23
	v_cndmask_b32_e32 v10, v27, v10, vcc
	v_cndmask_b32_e32 v12, v12, v24, vcc
	v_lshlrev_b32_e32 v23, 16, v13
	v_bfrev_b32_e32 v24, 60
	v_lshlrev_b32_e32 v12, 20, v12
	v_and_b32_e32 v23, 0x80000000, v23
	v_lshl_add_u32 v10, v10, 23, v24
	v_or3_b32 v10, v23, v10, v12
	v_lshrrev_b32_e32 v12, 16, v10
.LBB837_579:
	s_or_b64 exec, exec, s[10:11]
.LBB837_580:
	s_or_b64 exec, exec, s[8:9]
.LBB837_581:
	s_or_b64 exec, exec, s[2:3]
	s_movk_i32 s2, 0xff
	v_and_b32_sdwa v25, v13, s2 dst_sel:DWORD dst_unused:UNUSED_PAD src0_sel:WORD_1 src1_sel:DWORD
	v_lshrrev_b32_e32 v10, 16, v13
	v_cmp_ne_u16_e32 vcc, 0, v25
	v_mov_b32_e32 v23, 0
	v_mov_b32_e32 v24, 0
	s_and_saveexec_b64 s[2:3], vcc
	s_cbranch_execz .LBB837_587
; %bb.582:
	s_movk_i32 s7, 0x80
	v_cmp_ne_u16_e32 vcc, s7, v25
	v_mov_b32_e32 v24, 0xffff8000
	s_and_saveexec_b64 s[8:9], vcc
	s_cbranch_execz .LBB837_586
; %bb.583:
	v_bfe_u32 v25, v13, 16, 7
	s_movk_i32 s7, 0x7f
	v_cmp_ne_u32_e32 vcc, s7, v25
	v_mov_b32_e32 v24, 0x7f80
	s_and_saveexec_b64 s[10:11], vcc
	s_cbranch_execz .LBB837_585
; %bb.584:
	v_and_b32_e32 v24, 7, v10
	v_ffbh_u32_e32 v28, v24
	v_min_u32_e32 v30, 32, v28
	v_subrev_u32_e32 v28, 28, v30
	v_lshlrev_b64 v[28:29], v28, v[10:11]
	v_lshrrev_b32_e32 v27, 3, v25
	v_sub_u32_e32 v10, 29, v30
	v_and_b32_e32 v28, 7, v28
	v_cmp_gt_u32_e32 vcc, 8, v25
	v_mov_b32_e32 v25, 24
	v_cndmask_b32_e32 v10, v27, v10, vcc
	v_cndmask_b32_e32 v24, v24, v28, vcc
	v_lshlrev_b32_sdwa v25, v25, v13 dst_sel:DWORD dst_unused:UNUSED_PAD src0_sel:DWORD src1_sel:WORD_1
	v_bfrev_b32_e32 v27, 60
	v_lshlrev_b32_e32 v24, 20, v24
	v_and_b32_e32 v25, 0x80000000, v25
	v_lshl_add_u32 v10, v10, 23, v27
	v_or3_b32 v10, v25, v10, v24
	v_lshrrev_b32_e32 v24, 16, v10
.LBB837_585:
	s_or_b64 exec, exec, s[10:11]
.LBB837_586:
	s_or_b64 exec, exec, s[8:9]
.LBB837_587:
	s_or_b64 exec, exec, s[2:3]
	s_mov_b32 s2, 0xffffff
	v_cmp_lt_u32_e32 vcc, s2, v13
	s_and_saveexec_b64 s[2:3], vcc
	s_cbranch_execz .LBB837_593
; %bb.588:
	v_lshrrev_b32_e32 v10, 24, v13
	s_movk_i32 s7, 0x80
	v_cmp_ne_u32_e32 vcc, s7, v10
	v_mov_b32_e32 v23, 0xffff8000
	s_and_saveexec_b64 s[8:9], vcc
	s_cbranch_execz .LBB837_592
; %bb.589:
	v_bfe_u32 v13, v13, 24, 7
	s_movk_i32 s7, 0x7f
	v_cmp_ne_u32_e32 vcc, s7, v13
	v_mov_b32_e32 v23, 0x7f80
	s_and_saveexec_b64 s[10:11], vcc
	s_cbranch_execz .LBB837_591
; %bb.590:
	v_and_b32_e32 v23, 7, v10
	v_ffbh_u32_e32 v27, v23
	v_min_u32_e32 v27, 32, v27
	v_subrev_u32_e32 v28, 28, v27
	v_lshlrev_b64 v[28:29], v28, v[10:11]
	v_lshrrev_b32_e32 v25, 3, v13
	v_sub_u32_e32 v27, 29, v27
	v_and_b32_e32 v28, 7, v28
	v_cmp_gt_u32_e32 vcc, 8, v13
	v_cndmask_b32_e32 v13, v25, v27, vcc
	v_cndmask_b32_e32 v23, v23, v28, vcc
	v_lshlrev_b32_e32 v10, 24, v10
	v_bfrev_b32_e32 v25, 60
	v_lshlrev_b32_e32 v23, 20, v23
	v_and_b32_e32 v10, 0x80000000, v10
	v_lshl_add_u32 v13, v13, 23, v25
	v_or3_b32 v10, v10, v13, v23
	v_lshrrev_b32_e32 v23, 16, v10
.LBB837_591:
	s_or_b64 exec, exec, s[10:11]
.LBB837_592:
	s_or_b64 exec, exec, s[8:9]
.LBB837_593:
	s_or_b64 exec, exec, s[2:3]
	s_mov_b32 s2, 0x5040100
	v_perm_b32 v19, v19, v20, s2
	v_perm_b32 v18, v11, v18, s2
	ds_read_b128 v[28:31], v22 offset:2064
	v_perm_b32 v11, v23, v24, s2
	v_perm_b32 v10, v12, v21, s2
	s_waitcnt lgkmcnt(0)
	v_mfma_f32_16x16x16bf16_1k v[32:35], v[18:19], v[28:29], v[14:17]
	s_nop 6
	v_mov_b32_e32 v15, 0
	s_waitcnt vmcnt(1)
	v_cmp_ne_u16_sdwa s[8:9], v6, v15 src0_sel:BYTE_0 src1_sel:DWORD
	v_mfma_f32_16x16x16bf16_1k v[10:13], v[10:11], v[30:31], v[32:35]
	v_mov_b32_e32 v16, 0
	s_and_saveexec_b64 s[2:3], s[8:9]
	s_cbranch_execz .LBB837_599
; %bb.594:
	s_movk_i32 s7, 0x80
	v_cmp_ne_u16_sdwa s[10:11], v6, s7 src0_sel:BYTE_0 src1_sel:DWORD
	v_mov_b32_e32 v16, 0xffff8000
	s_and_saveexec_b64 s[8:9], s[10:11]
	s_cbranch_execz .LBB837_598
; %bb.595:
	s_movk_i32 s7, 0x7f
	v_and_b32_e32 v14, 0x7f, v6
	v_cmp_ne_u32_e32 vcc, s7, v14
	v_mov_b32_e32 v16, 0x7f80
	s_and_saveexec_b64 s[10:11], vcc
	s_cbranch_execz .LBB837_597
; %bb.596:
	v_and_b32_e32 v18, 7, v6
	v_ffbh_u32_e32 v16, v18
	v_min_u32_e32 v20, 32, v16
	v_subrev_u32_e32 v16, 28, v20
	v_lshlrev_b64 v[16:17], v16, v[6:7]
	v_lshrrev_b32_e32 v19, 3, v14
	v_sub_u32_e32 v17, 29, v20
	v_and_b32_e32 v16, 7, v16
	v_cmp_gt_u32_e32 vcc, 8, v14
	v_cndmask_b32_e32 v14, v19, v17, vcc
	v_cndmask_b32_e32 v16, v18, v16, vcc
	v_lshlrev_b32_e32 v17, 24, v6
	v_bfrev_b32_e32 v18, 60
	v_lshlrev_b32_e32 v16, 20, v16
	v_and_b32_e32 v17, 0x80000000, v17
	v_lshl_add_u32 v14, v14, 23, v18
	v_or3_b32 v14, v17, v14, v16
	v_lshrrev_b32_e32 v16, 16, v14
.LBB837_597:
	s_or_b64 exec, exec, s[10:11]
.LBB837_598:
	s_or_b64 exec, exec, s[8:9]
.LBB837_599:
	s_or_b64 exec, exec, s[2:3]
	v_lshrrev_b16_e32 v14, 8, v6
	v_cmp_ne_u16_e32 vcc, 0, v14
	s_and_saveexec_b64 s[2:3], vcc
	s_cbranch_execz .LBB837_605
; %bb.600:
	s_movk_i32 s7, 0x80
	v_cmp_ne_u16_e32 vcc, s7, v14
	v_mov_b32_e32 v15, 0xffff8000
	s_and_saveexec_b64 s[8:9], vcc
	s_cbranch_execz .LBB837_604
; %bb.601:
	s_movk_i32 s7, 0x7f
	v_and_b32_e32 v17, 0x7f, v14
	v_cmp_ne_u32_e32 vcc, s7, v17
	v_mov_b32_e32 v15, 0x7f80
	s_and_saveexec_b64 s[10:11], vcc
	s_cbranch_execz .LBB837_603
; %bb.602:
	v_and_b32_e32 v18, 7, v14
	v_ffbh_u32_e32 v15, v18
	v_min_u32_e32 v20, 32, v15
	v_subrev_u32_e32 v15, 28, v20
	v_lshlrev_b64 v[14:15], v15, v[14:15]
	v_lshrrev_b32_e32 v19, 3, v17
	v_sub_u32_e32 v15, 29, v20
	v_and_b32_e32 v14, 7, v14
	v_cmp_gt_u32_e32 vcc, 8, v17
	v_cndmask_b32_e32 v15, v19, v15, vcc
	v_cndmask_b32_e32 v14, v18, v14, vcc
	v_lshlrev_b32_e32 v17, 16, v6
	v_bfrev_b32_e32 v18, 60
	v_lshlrev_b32_e32 v14, 20, v14
	v_and_b32_e32 v17, 0x80000000, v17
	v_lshl_add_u32 v15, v15, 23, v18
	v_or3_b32 v14, v17, v15, v14
	v_lshrrev_b32_e32 v15, 16, v14
.LBB837_603:
	s_or_b64 exec, exec, s[10:11]
.LBB837_604:
	s_or_b64 exec, exec, s[8:9]
.LBB837_605:
	s_or_b64 exec, exec, s[2:3]
	s_movk_i32 s2, 0xff
	v_and_b32_sdwa v19, v6, s2 dst_sel:DWORD dst_unused:UNUSED_PAD src0_sel:WORD_1 src1_sel:DWORD
	v_lshrrev_b32_e32 v14, 16, v6
	v_cmp_ne_u16_e32 vcc, 0, v19
	v_mov_b32_e32 v17, 0
	v_mov_b32_e32 v18, 0
	s_and_saveexec_b64 s[2:3], vcc
	s_cbranch_execz .LBB837_611
; %bb.606:
	s_movk_i32 s7, 0x80
	v_cmp_ne_u16_e32 vcc, s7, v19
	v_mov_b32_e32 v18, 0xffff8000
	s_and_saveexec_b64 s[8:9], vcc
	s_cbranch_execz .LBB837_610
; %bb.607:
	v_bfe_u32 v19, v6, 16, 7
	s_movk_i32 s7, 0x7f
	v_cmp_ne_u32_e32 vcc, s7, v19
	v_mov_b32_e32 v18, 0x7f80
	s_and_saveexec_b64 s[10:11], vcc
	s_cbranch_execz .LBB837_609
; %bb.608:
	v_and_b32_e32 v18, 7, v14
	v_ffbh_u32_e32 v20, v18
	v_min_u32_e32 v24, 32, v20
	v_subrev_u32_e32 v20, 28, v24
	v_lshlrev_b64 v[20:21], v20, v[14:15]
	v_lshrrev_b32_e32 v23, 3, v19
	v_sub_u32_e32 v14, 29, v24
	v_and_b32_e32 v20, 7, v20
	v_cmp_gt_u32_e32 vcc, 8, v19
	v_mov_b32_e32 v19, 24
	v_cndmask_b32_e32 v14, v23, v14, vcc
	v_cndmask_b32_e32 v18, v18, v20, vcc
	v_lshlrev_b32_sdwa v19, v19, v6 dst_sel:DWORD dst_unused:UNUSED_PAD src0_sel:DWORD src1_sel:WORD_1
	v_bfrev_b32_e32 v20, 60
	v_lshlrev_b32_e32 v18, 20, v18
	v_and_b32_e32 v19, 0x80000000, v19
	v_lshl_add_u32 v14, v14, 23, v20
	v_or3_b32 v14, v19, v14, v18
	v_lshrrev_b32_e32 v18, 16, v14
.LBB837_609:
	s_or_b64 exec, exec, s[10:11]
.LBB837_610:
	s_or_b64 exec, exec, s[8:9]
.LBB837_611:
	s_or_b64 exec, exec, s[2:3]
	s_mov_b32 s2, 0xffffff
	v_cmp_lt_u32_e32 vcc, s2, v6
	s_and_saveexec_b64 s[2:3], vcc
	s_cbranch_execz .LBB837_617
; %bb.612:
	v_lshrrev_b32_e32 v14, 24, v6
	s_movk_i32 s7, 0x80
	v_cmp_ne_u32_e32 vcc, s7, v14
	v_mov_b32_e32 v17, 0xffff8000
	s_and_saveexec_b64 s[8:9], vcc
	s_cbranch_execz .LBB837_616
; %bb.613:
	v_bfe_u32 v6, v6, 24, 7
	s_movk_i32 s7, 0x7f
	v_cmp_ne_u32_e32 vcc, s7, v6
	v_mov_b32_e32 v17, 0x7f80
	s_and_saveexec_b64 s[10:11], vcc
	s_cbranch_execz .LBB837_615
; %bb.614:
	v_and_b32_e32 v17, 7, v14
	v_ffbh_u32_e32 v20, v17
	v_min_u32_e32 v23, 32, v20
	v_subrev_u32_e32 v20, 28, v23
	v_lshlrev_b64 v[20:21], v20, v[14:15]
	v_lshrrev_b32_e32 v19, 3, v6
	v_sub_u32_e32 v21, 29, v23
	v_and_b32_e32 v20, 7, v20
	v_cmp_gt_u32_e32 vcc, 8, v6
	v_cndmask_b32_e32 v6, v19, v21, vcc
	v_cndmask_b32_e32 v17, v17, v20, vcc
	v_lshlrev_b32_e32 v14, 24, v14
	v_bfrev_b32_e32 v19, 60
	v_lshlrev_b32_e32 v17, 20, v17
	v_and_b32_e32 v14, 0x80000000, v14
	v_lshl_add_u32 v6, v6, 23, v19
	v_or3_b32 v6, v14, v6, v17
	v_lshrrev_b32_e32 v17, 16, v6
.LBB837_615:
	s_or_b64 exec, exec, s[10:11]
.LBB837_616:
	s_or_b64 exec, exec, s[8:9]
.LBB837_617:
	s_or_b64 exec, exec, s[2:3]
	v_mov_b32_e32 v14, 0
	v_cmp_ne_u16_sdwa s[8:9], v7, v14 src0_sel:BYTE_0 src1_sel:DWORD
	v_mov_b32_e32 v19, 0
	s_and_saveexec_b64 s[2:3], s[8:9]
	s_cbranch_execz .LBB837_623
; %bb.618:
	s_movk_i32 s7, 0x80
	v_cmp_ne_u16_sdwa s[10:11], v7, s7 src0_sel:BYTE_0 src1_sel:DWORD
	v_mov_b32_e32 v19, 0xffff8000
	s_and_saveexec_b64 s[8:9], s[10:11]
	s_cbranch_execz .LBB837_622
; %bb.619:
	s_movk_i32 s7, 0x7f
	v_and_b32_e32 v6, 0x7f, v7
	v_cmp_ne_u32_e32 vcc, s7, v6
	v_mov_b32_e32 v19, 0x7f80
	s_and_saveexec_b64 s[10:11], vcc
	s_cbranch_execz .LBB837_621
; %bb.620:
	v_and_b32_e32 v19, 7, v7
	v_ffbh_u32_e32 v21, v19
	v_min_u32_e32 v24, 32, v21
	v_mov_b32_e32 v20, v7
	v_subrev_u32_e32 v21, 28, v24
	v_lshlrev_b64 v[20:21], v21, v[20:21]
	v_lshrrev_b32_e32 v23, 3, v6
	v_sub_u32_e32 v21, 29, v24
	v_and_b32_e32 v20, 7, v20
	v_cmp_gt_u32_e32 vcc, 8, v6
	v_cndmask_b32_e32 v6, v23, v21, vcc
	v_cndmask_b32_e32 v19, v19, v20, vcc
	v_lshlrev_b32_e32 v20, 24, v7
	v_bfrev_b32_e32 v21, 60
	v_lshlrev_b32_e32 v19, 20, v19
	v_and_b32_e32 v20, 0x80000000, v20
	v_lshl_add_u32 v6, v6, 23, v21
	v_or3_b32 v6, v20, v6, v19
	v_lshrrev_b32_e32 v19, 16, v6
.LBB837_621:
	s_or_b64 exec, exec, s[10:11]
.LBB837_622:
	s_or_b64 exec, exec, s[8:9]
.LBB837_623:
	s_or_b64 exec, exec, s[2:3]
	v_lshrrev_b16_e32 v6, 8, v7
	v_cmp_ne_u16_e32 vcc, 0, v6
	s_and_saveexec_b64 s[2:3], vcc
	s_cbranch_execz .LBB837_629
; %bb.624:
	s_movk_i32 s7, 0x80
	v_cmp_ne_u16_e32 vcc, s7, v6
	v_mov_b32_e32 v14, 0xffff8000
	s_and_saveexec_b64 s[8:9], vcc
	s_cbranch_execz .LBB837_628
; %bb.625:
	s_movk_i32 s7, 0x7f
	v_and_b32_e32 v20, 0x7f, v6
	v_cmp_ne_u32_e32 vcc, s7, v20
	v_mov_b32_e32 v14, 0x7f80
	s_and_saveexec_b64 s[10:11], vcc
	s_cbranch_execz .LBB837_627
; %bb.626:
	v_and_b32_e32 v14, 7, v6
	v_ffbh_u32_e32 v23, v14
	v_min_u32_e32 v23, 32, v23
	v_subrev_u32_e32 v24, 28, v23
	v_lshlrev_b64 v[24:25], v24, v[6:7]
	v_lshrrev_b32_e32 v21, 3, v20
	v_sub_u32_e32 v6, 29, v23
	v_and_b32_e32 v23, 7, v24
	v_cmp_gt_u32_e32 vcc, 8, v20
	v_cndmask_b32_e32 v6, v21, v6, vcc
	v_cndmask_b32_e32 v14, v14, v23, vcc
	v_lshlrev_b32_e32 v20, 16, v7
	v_bfrev_b32_e32 v21, 60
	v_lshlrev_b32_e32 v14, 20, v14
	v_and_b32_e32 v20, 0x80000000, v20
	v_lshl_add_u32 v6, v6, 23, v21
	v_or3_b32 v6, v20, v6, v14
	v_lshrrev_b32_e32 v14, 16, v6
.LBB837_627:
	s_or_b64 exec, exec, s[10:11]
.LBB837_628:
	s_or_b64 exec, exec, s[8:9]
.LBB837_629:
	s_or_b64 exec, exec, s[2:3]
	s_movk_i32 s2, 0xff
	v_and_b32_sdwa v23, v7, s2 dst_sel:DWORD dst_unused:UNUSED_PAD src0_sel:WORD_1 src1_sel:DWORD
	v_lshrrev_b32_e32 v6, 16, v7
	v_cmp_ne_u16_e32 vcc, 0, v23
	v_mov_b32_e32 v20, 0
	v_mov_b32_e32 v21, 0
	s_and_saveexec_b64 s[2:3], vcc
	s_cbranch_execz .LBB837_635
; %bb.630:
	s_movk_i32 s7, 0x80
	v_cmp_ne_u16_e32 vcc, s7, v23
	v_mov_b32_e32 v21, 0xffff8000
	s_and_saveexec_b64 s[8:9], vcc
	s_cbranch_execz .LBB837_634
; %bb.631:
	v_bfe_u32 v23, v7, 16, 7
	s_movk_i32 s7, 0x7f
	v_cmp_ne_u32_e32 vcc, s7, v23
	v_mov_b32_e32 v21, 0x7f80
	s_and_saveexec_b64 s[10:11], vcc
	s_cbranch_execz .LBB837_633
; %bb.632:
	v_and_b32_e32 v21, 7, v6
	v_ffbh_u32_e32 v24, v21
	v_min_u32_e32 v28, 32, v24
	v_subrev_u32_e32 v24, 28, v28
	v_lshlrev_b64 v[24:25], v24, v[6:7]
	v_lshrrev_b32_e32 v27, 3, v23
	v_sub_u32_e32 v6, 29, v28
	v_and_b32_e32 v24, 7, v24
	v_cmp_gt_u32_e32 vcc, 8, v23
	v_mov_b32_e32 v23, 24
	v_cndmask_b32_e32 v6, v27, v6, vcc
	v_cndmask_b32_e32 v21, v21, v24, vcc
	v_lshlrev_b32_sdwa v23, v23, v7 dst_sel:DWORD dst_unused:UNUSED_PAD src0_sel:DWORD src1_sel:WORD_1
	v_bfrev_b32_e32 v24, 60
	v_lshlrev_b32_e32 v21, 20, v21
	v_and_b32_e32 v23, 0x80000000, v23
	v_lshl_add_u32 v6, v6, 23, v24
	v_or3_b32 v6, v23, v6, v21
	v_lshrrev_b32_e32 v21, 16, v6
.LBB837_633:
	s_or_b64 exec, exec, s[10:11]
.LBB837_634:
	s_or_b64 exec, exec, s[8:9]
.LBB837_635:
	s_or_b64 exec, exec, s[2:3]
	s_mov_b32 s2, 0xffffff
	v_cmp_lt_u32_e32 vcc, s2, v7
	s_and_saveexec_b64 s[2:3], vcc
	s_cbranch_execz .LBB837_641
; %bb.636:
	v_lshrrev_b32_e32 v6, 24, v7
	s_movk_i32 s7, 0x80
	v_cmp_ne_u32_e32 vcc, s7, v6
	v_mov_b32_e32 v20, 0xffff8000
	s_and_saveexec_b64 s[8:9], vcc
	s_cbranch_execz .LBB837_640
; %bb.637:
	v_bfe_u32 v7, v7, 24, 7
	s_movk_i32 s7, 0x7f
	v_cmp_ne_u32_e32 vcc, s7, v7
	v_mov_b32_e32 v20, 0x7f80
	s_and_saveexec_b64 s[10:11], vcc
	s_cbranch_execz .LBB837_639
; %bb.638:
	v_and_b32_e32 v20, 7, v6
	v_ffbh_u32_e32 v24, v20
	v_min_u32_e32 v27, 32, v24
	v_subrev_u32_e32 v24, 28, v27
	v_lshlrev_b64 v[24:25], v24, v[6:7]
	v_lshrrev_b32_e32 v23, 3, v7
	v_sub_u32_e32 v25, 29, v27
	v_and_b32_e32 v24, 7, v24
	v_cmp_gt_u32_e32 vcc, 8, v7
	v_cndmask_b32_e32 v7, v23, v25, vcc
	v_cndmask_b32_e32 v20, v20, v24, vcc
	v_lshlrev_b32_e32 v6, 24, v6
	v_bfrev_b32_e32 v23, 60
	v_lshlrev_b32_e32 v20, 20, v20
	v_and_b32_e32 v6, 0x80000000, v6
	v_lshl_add_u32 v7, v7, 23, v23
	v_or3_b32 v6, v6, v7, v20
	v_lshrrev_b32_e32 v20, 16, v6
.LBB837_639:
	s_or_b64 exec, exec, s[10:11]
.LBB837_640:
	s_or_b64 exec, exec, s[8:9]
.LBB837_641:
	s_or_b64 exec, exec, s[2:3]
	s_mov_b32 s2, 0x5040100
	v_perm_b32 v7, v17, v18, s2
	v_perm_b32 v6, v15, v16, s2
	ds_read_b128 v[28:31], v22 offset:4096
	v_perm_b32 v17, v20, v21, s2
	v_perm_b32 v16, v14, v19, s2
	s_waitcnt lgkmcnt(0)
	v_mfma_f32_16x16x16bf16_1k v[10:13], v[6:7], v[28:29], v[10:13]
	v_mov_b32_e32 v7, 0
	v_cmp_ne_u16_sdwa s[8:9], v8, v7 src0_sel:BYTE_0 src1_sel:DWORD
	v_mov_b32_e32 v14, 0
	v_mfma_f32_16x16x16bf16_1k v[10:13], v[16:17], v[30:31], v[10:13]
	s_and_saveexec_b64 s[2:3], s[8:9]
	s_cbranch_execz .LBB837_647
; %bb.642:
	s_movk_i32 s7, 0x80
	v_cmp_ne_u16_sdwa s[10:11], v8, s7 src0_sel:BYTE_0 src1_sel:DWORD
	v_mov_b32_e32 v14, 0xffff8000
	s_and_saveexec_b64 s[8:9], s[10:11]
	s_cbranch_execz .LBB837_646
; %bb.643:
	s_movk_i32 s7, 0x7f
	v_and_b32_e32 v6, 0x7f, v8
	v_cmp_ne_u32_e32 vcc, s7, v6
	v_mov_b32_e32 v14, 0x7f80
	s_and_saveexec_b64 s[10:11], vcc
	s_cbranch_execz .LBB837_645
; %bb.644:
	v_and_b32_e32 v16, 7, v8
	v_ffbh_u32_e32 v14, v16
	v_min_u32_e32 v18, 32, v14
	v_subrev_u32_e32 v14, 28, v18
	v_lshlrev_b64 v[14:15], v14, v[8:9]
	v_lshrrev_b32_e32 v17, 3, v6
	v_sub_u32_e32 v15, 29, v18
	v_and_b32_e32 v14, 7, v14
	v_cmp_gt_u32_e32 vcc, 8, v6
	v_cndmask_b32_e32 v6, v17, v15, vcc
	v_cndmask_b32_e32 v14, v16, v14, vcc
	v_lshlrev_b32_e32 v15, 24, v8
	v_bfrev_b32_e32 v16, 60
	v_lshlrev_b32_e32 v14, 20, v14
	v_and_b32_e32 v15, 0x80000000, v15
	v_lshl_add_u32 v6, v6, 23, v16
	v_or3_b32 v6, v15, v6, v14
	v_lshrrev_b32_e32 v14, 16, v6
.LBB837_645:
	s_or_b64 exec, exec, s[10:11]
.LBB837_646:
	s_or_b64 exec, exec, s[8:9]
.LBB837_647:
	s_or_b64 exec, exec, s[2:3]
	v_lshrrev_b16_e32 v6, 8, v8
	v_cmp_ne_u16_e32 vcc, 0, v6
	s_and_saveexec_b64 s[2:3], vcc
	s_cbranch_execz .LBB837_653
; %bb.648:
	s_movk_i32 s7, 0x80
	v_cmp_ne_u16_e32 vcc, s7, v6
	v_mov_b32_e32 v7, 0xffff8000
	s_and_saveexec_b64 s[8:9], vcc
	s_cbranch_execz .LBB837_652
; %bb.649:
	s_movk_i32 s7, 0x7f
	v_and_b32_e32 v15, 0x7f, v6
	v_cmp_ne_u32_e32 vcc, s7, v15
	v_mov_b32_e32 v7, 0x7f80
	s_and_saveexec_b64 s[10:11], vcc
	s_cbranch_execz .LBB837_651
; %bb.650:
	v_and_b32_e32 v16, 7, v6
	v_ffbh_u32_e32 v7, v16
	v_min_u32_e32 v18, 32, v7
	v_subrev_u32_e32 v7, 28, v18
	v_lshlrev_b64 v[6:7], v7, v[6:7]
	v_lshrrev_b32_e32 v17, 3, v15
	v_sub_u32_e32 v7, 29, v18
	v_and_b32_e32 v6, 7, v6
	v_cmp_gt_u32_e32 vcc, 8, v15
	v_cndmask_b32_e32 v7, v17, v7, vcc
	v_cndmask_b32_e32 v6, v16, v6, vcc
	v_lshlrev_b32_e32 v15, 16, v8
	v_bfrev_b32_e32 v16, 60
	v_lshlrev_b32_e32 v6, 20, v6
	v_and_b32_e32 v15, 0x80000000, v15
	v_lshl_add_u32 v7, v7, 23, v16
	v_or3_b32 v6, v15, v7, v6
	v_lshrrev_b32_e32 v7, 16, v6
.LBB837_651:
	s_or_b64 exec, exec, s[10:11]
.LBB837_652:
	s_or_b64 exec, exec, s[8:9]
.LBB837_653:
	s_or_b64 exec, exec, s[2:3]
	s_movk_i32 s2, 0xff
	v_and_b32_sdwa v17, v8, s2 dst_sel:DWORD dst_unused:UNUSED_PAD src0_sel:WORD_1 src1_sel:DWORD
	v_lshrrev_b32_e32 v6, 16, v8
	v_cmp_ne_u16_e32 vcc, 0, v17
	v_mov_b32_e32 v15, 0
	v_mov_b32_e32 v16, 0
	s_and_saveexec_b64 s[2:3], vcc
	s_cbranch_execz .LBB837_659
; %bb.654:
	s_movk_i32 s7, 0x80
	v_cmp_ne_u16_e32 vcc, s7, v17
	v_mov_b32_e32 v16, 0xffff8000
	s_and_saveexec_b64 s[8:9], vcc
	s_cbranch_execz .LBB837_658
; %bb.655:
	v_bfe_u32 v17, v8, 16, 7
	s_movk_i32 s7, 0x7f
	v_cmp_ne_u32_e32 vcc, s7, v17
	v_mov_b32_e32 v16, 0x7f80
	s_and_saveexec_b64 s[10:11], vcc
	s_cbranch_execz .LBB837_657
; %bb.656:
	v_and_b32_e32 v16, 7, v6
	v_ffbh_u32_e32 v18, v16
	v_min_u32_e32 v21, 32, v18
	v_subrev_u32_e32 v18, 28, v21
	v_lshlrev_b64 v[18:19], v18, v[6:7]
	v_lshrrev_b32_e32 v20, 3, v17
	v_sub_u32_e32 v6, 29, v21
	v_and_b32_e32 v18, 7, v18
	v_cmp_gt_u32_e32 vcc, 8, v17
	v_mov_b32_e32 v17, 24
	v_cndmask_b32_e32 v6, v20, v6, vcc
	v_cndmask_b32_e32 v16, v16, v18, vcc
	v_lshlrev_b32_sdwa v17, v17, v8 dst_sel:DWORD dst_unused:UNUSED_PAD src0_sel:DWORD src1_sel:WORD_1
	v_bfrev_b32_e32 v18, 60
	v_lshlrev_b32_e32 v16, 20, v16
	v_and_b32_e32 v17, 0x80000000, v17
	v_lshl_add_u32 v6, v6, 23, v18
	v_or3_b32 v6, v17, v6, v16
	v_lshrrev_b32_e32 v16, 16, v6
.LBB837_657:
	s_or_b64 exec, exec, s[10:11]
.LBB837_658:
	s_or_b64 exec, exec, s[8:9]
.LBB837_659:
	s_or_b64 exec, exec, s[2:3]
	s_mov_b32 s2, 0xffffff
	v_cmp_lt_u32_e32 vcc, s2, v8
	s_and_saveexec_b64 s[2:3], vcc
	s_cbranch_execz .LBB837_665
; %bb.660:
	v_lshrrev_b32_e32 v6, 24, v8
	s_movk_i32 s7, 0x80
	v_cmp_ne_u32_e32 vcc, s7, v6
	v_mov_b32_e32 v15, 0xffff8000
	s_and_saveexec_b64 s[8:9], vcc
	s_cbranch_execz .LBB837_664
; %bb.661:
	v_bfe_u32 v8, v8, 24, 7
	s_movk_i32 s7, 0x7f
	v_cmp_ne_u32_e32 vcc, s7, v8
	v_mov_b32_e32 v15, 0x7f80
	s_and_saveexec_b64 s[10:11], vcc
	s_cbranch_execz .LBB837_663
; %bb.662:
	v_and_b32_e32 v15, 7, v6
	v_ffbh_u32_e32 v18, v15
	v_min_u32_e32 v20, 32, v18
	v_subrev_u32_e32 v18, 28, v20
	v_lshlrev_b64 v[18:19], v18, v[6:7]
	v_lshrrev_b32_e32 v17, 3, v8
	v_sub_u32_e32 v19, 29, v20
	v_and_b32_e32 v18, 7, v18
	v_cmp_gt_u32_e32 vcc, 8, v8
	v_cndmask_b32_e32 v8, v17, v19, vcc
	v_cndmask_b32_e32 v15, v15, v18, vcc
	v_lshlrev_b32_e32 v6, 24, v6
	v_bfrev_b32_e32 v17, 60
	v_lshlrev_b32_e32 v15, 20, v15
	v_and_b32_e32 v6, 0x80000000, v6
	v_lshl_add_u32 v8, v8, 23, v17
	v_or3_b32 v6, v6, v8, v15
	v_lshrrev_b32_e32 v15, 16, v6
.LBB837_663:
	s_or_b64 exec, exec, s[10:11]
.LBB837_664:
	s_or_b64 exec, exec, s[8:9]
.LBB837_665:
	s_or_b64 exec, exec, s[2:3]
	v_mov_b32_e32 v8, 0
	v_cmp_ne_u16_sdwa s[8:9], v9, v8 src0_sel:BYTE_0 src1_sel:DWORD
	v_mov_b32_e32 v17, 0
	s_and_saveexec_b64 s[2:3], s[8:9]
	s_cbranch_execz .LBB837_671
; %bb.666:
	s_movk_i32 s7, 0x80
	v_cmp_ne_u16_sdwa s[10:11], v9, s7 src0_sel:BYTE_0 src1_sel:DWORD
	v_mov_b32_e32 v17, 0xffff8000
	s_and_saveexec_b64 s[8:9], s[10:11]
	s_cbranch_execz .LBB837_670
; %bb.667:
	s_movk_i32 s7, 0x7f
	v_and_b32_e32 v6, 0x7f, v9
	v_cmp_ne_u32_e32 vcc, s7, v6
	v_mov_b32_e32 v17, 0x7f80
	s_and_saveexec_b64 s[10:11], vcc
	s_cbranch_execz .LBB837_669
; %bb.668:
	v_and_b32_e32 v17, 7, v9
	v_ffbh_u32_e32 v19, v17
	v_min_u32_e32 v21, 32, v19
	v_mov_b32_e32 v18, v9
	v_subrev_u32_e32 v19, 28, v21
	v_lshlrev_b64 v[18:19], v19, v[18:19]
	v_lshrrev_b32_e32 v20, 3, v6
	v_sub_u32_e32 v19, 29, v21
	v_and_b32_e32 v18, 7, v18
	v_cmp_gt_u32_e32 vcc, 8, v6
	v_cndmask_b32_e32 v6, v20, v19, vcc
	v_cndmask_b32_e32 v17, v17, v18, vcc
	v_lshlrev_b32_e32 v18, 24, v9
	v_bfrev_b32_e32 v19, 60
	v_lshlrev_b32_e32 v17, 20, v17
	v_and_b32_e32 v18, 0x80000000, v18
	v_lshl_add_u32 v6, v6, 23, v19
	v_or3_b32 v6, v18, v6, v17
	v_lshrrev_b32_e32 v17, 16, v6
.LBB837_669:
	s_or_b64 exec, exec, s[10:11]
.LBB837_670:
	s_or_b64 exec, exec, s[8:9]
.LBB837_671:
	s_or_b64 exec, exec, s[2:3]
	v_lshrrev_b16_e32 v6, 8, v9
	v_cmp_ne_u16_e32 vcc, 0, v6
	s_and_saveexec_b64 s[2:3], vcc
	s_cbranch_execz .LBB837_677
; %bb.672:
	s_movk_i32 s7, 0x80
	v_cmp_ne_u16_e32 vcc, s7, v6
	v_mov_b32_e32 v8, 0xffff8000
	s_and_saveexec_b64 s[8:9], vcc
	s_cbranch_execz .LBB837_676
; %bb.673:
	s_movk_i32 s7, 0x7f
	v_and_b32_e32 v18, 0x7f, v6
	v_cmp_ne_u32_e32 vcc, s7, v18
	v_mov_b32_e32 v8, 0x7f80
	s_and_saveexec_b64 s[10:11], vcc
	s_cbranch_execz .LBB837_675
; %bb.674:
	v_and_b32_e32 v8, 7, v6
	v_ffbh_u32_e32 v20, v8
	v_min_u32_e32 v23, 32, v20
	v_subrev_u32_e32 v20, 28, v23
	v_lshlrev_b64 v[20:21], v20, v[6:7]
	v_lshrrev_b32_e32 v19, 3, v18
	v_sub_u32_e32 v6, 29, v23
	v_and_b32_e32 v20, 7, v20
	v_cmp_gt_u32_e32 vcc, 8, v18
	v_cndmask_b32_e32 v6, v19, v6, vcc
	v_cndmask_b32_e32 v8, v8, v20, vcc
	v_lshlrev_b32_e32 v18, 16, v9
	v_bfrev_b32_e32 v19, 60
	v_lshlrev_b32_e32 v8, 20, v8
	v_and_b32_e32 v18, 0x80000000, v18
	v_lshl_add_u32 v6, v6, 23, v19
	v_or3_b32 v6, v18, v6, v8
	v_lshrrev_b32_e32 v8, 16, v6
.LBB837_675:
	s_or_b64 exec, exec, s[10:11]
.LBB837_676:
	s_or_b64 exec, exec, s[8:9]
.LBB837_677:
	s_or_b64 exec, exec, s[2:3]
	s_movk_i32 s2, 0xff
	v_and_b32_sdwa v20, v9, s2 dst_sel:DWORD dst_unused:UNUSED_PAD src0_sel:WORD_1 src1_sel:DWORD
	v_lshrrev_b32_e32 v6, 16, v9
	v_cmp_ne_u16_e32 vcc, 0, v20
	v_mov_b32_e32 v18, 0
	v_mov_b32_e32 v19, 0
	s_and_saveexec_b64 s[2:3], vcc
	s_cbranch_execz .LBB837_683
; %bb.678:
	s_movk_i32 s7, 0x80
	v_cmp_ne_u16_e32 vcc, s7, v20
	v_mov_b32_e32 v19, 0xffff8000
	s_and_saveexec_b64 s[8:9], vcc
	s_cbranch_execz .LBB837_682
; %bb.679:
	v_bfe_u32 v20, v9, 16, 7
	s_movk_i32 s7, 0x7f
	v_cmp_ne_u32_e32 vcc, s7, v20
	v_mov_b32_e32 v19, 0x7f80
	s_and_saveexec_b64 s[10:11], vcc
	s_cbranch_execz .LBB837_681
; %bb.680:
	v_and_b32_e32 v19, 7, v6
	v_ffbh_u32_e32 v23, v19
	v_min_u32_e32 v23, 32, v23
	v_subrev_u32_e32 v24, 28, v23
	v_lshlrev_b64 v[24:25], v24, v[6:7]
	v_lshrrev_b32_e32 v21, 3, v20
	v_sub_u32_e32 v6, 29, v23
	v_and_b32_e32 v23, 7, v24
	v_cmp_gt_u32_e32 vcc, 8, v20
	v_mov_b32_e32 v20, 24
	v_cndmask_b32_e32 v6, v21, v6, vcc
	v_cndmask_b32_e32 v19, v19, v23, vcc
	v_lshlrev_b32_sdwa v20, v20, v9 dst_sel:DWORD dst_unused:UNUSED_PAD src0_sel:DWORD src1_sel:WORD_1
	v_bfrev_b32_e32 v21, 60
	v_lshlrev_b32_e32 v19, 20, v19
	v_and_b32_e32 v20, 0x80000000, v20
	v_lshl_add_u32 v6, v6, 23, v21
	v_or3_b32 v6, v20, v6, v19
	v_lshrrev_b32_e32 v19, 16, v6
.LBB837_681:
	s_or_b64 exec, exec, s[10:11]
.LBB837_682:
	s_or_b64 exec, exec, s[8:9]
.LBB837_683:
	s_or_b64 exec, exec, s[2:3]
	s_mov_b32 s2, 0xffffff
	v_cmp_lt_u32_e32 vcc, s2, v9
	s_and_saveexec_b64 s[2:3], vcc
	s_cbranch_execz .LBB837_689
; %bb.684:
	v_lshrrev_b32_e32 v6, 24, v9
	s_movk_i32 s7, 0x80
	v_cmp_ne_u32_e32 vcc, s7, v6
	v_mov_b32_e32 v18, 0xffff8000
	s_and_saveexec_b64 s[8:9], vcc
	s_cbranch_execz .LBB837_688
; %bb.685:
	v_bfe_u32 v9, v9, 24, 7
	s_movk_i32 s7, 0x7f
	v_cmp_ne_u32_e32 vcc, s7, v9
	v_mov_b32_e32 v18, 0x7f80
	s_and_saveexec_b64 s[10:11], vcc
	s_cbranch_execz .LBB837_687
; %bb.686:
	v_and_b32_e32 v18, 7, v6
	v_ffbh_u32_e32 v20, v18
	v_min_u32_e32 v24, 32, v20
	v_subrev_u32_e32 v20, 28, v24
	v_lshlrev_b64 v[20:21], v20, v[6:7]
	v_lshrrev_b32_e32 v23, 3, v9
	v_sub_u32_e32 v21, 29, v24
	v_and_b32_e32 v20, 7, v20
	v_cmp_gt_u32_e32 vcc, 8, v9
	v_cndmask_b32_e32 v9, v23, v21, vcc
	v_cndmask_b32_e32 v18, v18, v20, vcc
	v_lshlrev_b32_e32 v6, 24, v6
	v_bfrev_b32_e32 v20, 60
	v_lshlrev_b32_e32 v18, 20, v18
	v_and_b32_e32 v6, 0x80000000, v6
	v_lshl_add_u32 v9, v9, 23, v20
	v_or3_b32 v6, v6, v9, v18
	v_lshrrev_b32_e32 v18, 16, v6
.LBB837_687:
	s_or_b64 exec, exec, s[10:11]
.LBB837_688:
	s_or_b64 exec, exec, s[8:9]
.LBB837_689:
	s_or_b64 exec, exec, s[2:3]
	s_mov_b32 s2, 0x5040100
	v_perm_b32 v15, v15, v16, s2
	v_perm_b32 v14, v7, v14, s2
	ds_read_b128 v[28:31], v22 offset:4112
	v_perm_b32 v7, v18, v19, s2
	v_perm_b32 v6, v8, v17, s2
	s_waitcnt lgkmcnt(0)
	v_mfma_f32_16x16x16bf16_1k v[32:35], v[14:15], v[28:29], v[10:13]
	s_nop 6
	v_mov_b32_e32 v11, 0
	s_waitcnt vmcnt(0)
	v_cmp_ne_u16_sdwa s[8:9], v2, v11 src0_sel:BYTE_0 src1_sel:DWORD
	v_mfma_f32_16x16x16bf16_1k v[6:9], v[6:7], v[30:31], v[32:35]
	v_mov_b32_e32 v12, 0
	s_and_saveexec_b64 s[2:3], s[8:9]
	s_cbranch_execz .LBB837_695
; %bb.690:
	s_movk_i32 s7, 0x80
	v_cmp_ne_u16_sdwa s[10:11], v2, s7 src0_sel:BYTE_0 src1_sel:DWORD
	v_mov_b32_e32 v12, 0xffff8000
	s_and_saveexec_b64 s[8:9], s[10:11]
	s_cbranch_execz .LBB837_694
; %bb.691:
	s_movk_i32 s7, 0x7f
	v_and_b32_e32 v10, 0x7f, v2
	v_cmp_ne_u32_e32 vcc, s7, v10
	v_mov_b32_e32 v12, 0x7f80
	s_and_saveexec_b64 s[10:11], vcc
	s_cbranch_execz .LBB837_693
; %bb.692:
	v_and_b32_e32 v14, 7, v2
	v_ffbh_u32_e32 v12, v14
	v_min_u32_e32 v16, 32, v12
	v_subrev_u32_e32 v12, 28, v16
	v_lshlrev_b64 v[12:13], v12, v[2:3]
	v_lshrrev_b32_e32 v15, 3, v10
	v_sub_u32_e32 v13, 29, v16
	v_and_b32_e32 v12, 7, v12
	v_cmp_gt_u32_e32 vcc, 8, v10
	v_cndmask_b32_e32 v10, v15, v13, vcc
	v_cndmask_b32_e32 v12, v14, v12, vcc
	v_lshlrev_b32_e32 v13, 24, v2
	v_bfrev_b32_e32 v14, 60
	v_lshlrev_b32_e32 v12, 20, v12
	v_and_b32_e32 v13, 0x80000000, v13
	v_lshl_add_u32 v10, v10, 23, v14
	v_or3_b32 v10, v13, v10, v12
	v_lshrrev_b32_e32 v12, 16, v10
.LBB837_693:
	s_or_b64 exec, exec, s[10:11]
.LBB837_694:
	s_or_b64 exec, exec, s[8:9]
.LBB837_695:
	s_or_b64 exec, exec, s[2:3]
	v_lshrrev_b16_e32 v10, 8, v2
	v_cmp_ne_u16_e32 vcc, 0, v10
	s_and_saveexec_b64 s[2:3], vcc
	s_cbranch_execz .LBB837_701
; %bb.696:
	s_movk_i32 s7, 0x80
	v_cmp_ne_u16_e32 vcc, s7, v10
	v_mov_b32_e32 v11, 0xffff8000
	s_and_saveexec_b64 s[8:9], vcc
	s_cbranch_execz .LBB837_700
; %bb.697:
	s_movk_i32 s7, 0x7f
	v_and_b32_e32 v13, 0x7f, v10
	v_cmp_ne_u32_e32 vcc, s7, v13
	v_mov_b32_e32 v11, 0x7f80
	s_and_saveexec_b64 s[10:11], vcc
	s_cbranch_execz .LBB837_699
; %bb.698:
	v_and_b32_e32 v14, 7, v10
	v_ffbh_u32_e32 v11, v14
	v_min_u32_e32 v16, 32, v11
	v_subrev_u32_e32 v11, 28, v16
	v_lshlrev_b64 v[10:11], v11, v[10:11]
	v_lshrrev_b32_e32 v15, 3, v13
	v_sub_u32_e32 v11, 29, v16
	v_and_b32_e32 v10, 7, v10
	v_cmp_gt_u32_e32 vcc, 8, v13
	v_cndmask_b32_e32 v11, v15, v11, vcc
	v_cndmask_b32_e32 v10, v14, v10, vcc
	v_lshlrev_b32_e32 v13, 16, v2
	v_bfrev_b32_e32 v14, 60
	v_lshlrev_b32_e32 v10, 20, v10
	v_and_b32_e32 v13, 0x80000000, v13
	v_lshl_add_u32 v11, v11, 23, v14
	v_or3_b32 v10, v13, v11, v10
	v_lshrrev_b32_e32 v11, 16, v10
.LBB837_699:
	s_or_b64 exec, exec, s[10:11]
.LBB837_700:
	s_or_b64 exec, exec, s[8:9]
.LBB837_701:
	s_or_b64 exec, exec, s[2:3]
	s_movk_i32 s2, 0xff
	v_and_b32_sdwa v15, v2, s2 dst_sel:DWORD dst_unused:UNUSED_PAD src0_sel:WORD_1 src1_sel:DWORD
	v_lshrrev_b32_e32 v10, 16, v2
	v_cmp_ne_u16_e32 vcc, 0, v15
	v_mov_b32_e32 v13, 0
	v_mov_b32_e32 v14, 0
	s_and_saveexec_b64 s[2:3], vcc
	s_cbranch_execz .LBB837_707
; %bb.702:
	s_movk_i32 s7, 0x80
	v_cmp_ne_u16_e32 vcc, s7, v15
	v_mov_b32_e32 v14, 0xffff8000
	s_and_saveexec_b64 s[8:9], vcc
	s_cbranch_execz .LBB837_706
; %bb.703:
	v_bfe_u32 v15, v2, 16, 7
	s_movk_i32 s7, 0x7f
	v_cmp_ne_u32_e32 vcc, s7, v15
	v_mov_b32_e32 v14, 0x7f80
	s_and_saveexec_b64 s[10:11], vcc
	s_cbranch_execz .LBB837_705
; %bb.704:
	v_and_b32_e32 v14, 7, v10
	v_ffbh_u32_e32 v16, v14
	v_min_u32_e32 v19, 32, v16
	v_subrev_u32_e32 v16, 28, v19
	v_lshlrev_b64 v[16:17], v16, v[10:11]
	v_lshrrev_b32_e32 v18, 3, v15
	v_sub_u32_e32 v10, 29, v19
	v_and_b32_e32 v16, 7, v16
	v_cmp_gt_u32_e32 vcc, 8, v15
	v_mov_b32_e32 v15, 24
	v_cndmask_b32_e32 v10, v18, v10, vcc
	v_cndmask_b32_e32 v14, v14, v16, vcc
	v_lshlrev_b32_sdwa v15, v15, v2 dst_sel:DWORD dst_unused:UNUSED_PAD src0_sel:DWORD src1_sel:WORD_1
	v_bfrev_b32_e32 v16, 60
	v_lshlrev_b32_e32 v14, 20, v14
	v_and_b32_e32 v15, 0x80000000, v15
	v_lshl_add_u32 v10, v10, 23, v16
	v_or3_b32 v10, v15, v10, v14
	v_lshrrev_b32_e32 v14, 16, v10
.LBB837_705:
	s_or_b64 exec, exec, s[10:11]
.LBB837_706:
	s_or_b64 exec, exec, s[8:9]
.LBB837_707:
	s_or_b64 exec, exec, s[2:3]
	s_mov_b32 s2, 0xffffff
	v_cmp_lt_u32_e32 vcc, s2, v2
	s_and_saveexec_b64 s[2:3], vcc
	s_cbranch_execz .LBB837_713
; %bb.708:
	v_lshrrev_b32_e32 v10, 24, v2
	s_movk_i32 s7, 0x80
	v_cmp_ne_u32_e32 vcc, s7, v10
	v_mov_b32_e32 v13, 0xffff8000
	s_and_saveexec_b64 s[8:9], vcc
	s_cbranch_execz .LBB837_712
; %bb.709:
	v_bfe_u32 v2, v2, 24, 7
	s_movk_i32 s7, 0x7f
	v_cmp_ne_u32_e32 vcc, s7, v2
	v_mov_b32_e32 v13, 0x7f80
	s_and_saveexec_b64 s[10:11], vcc
	s_cbranch_execz .LBB837_711
; %bb.710:
	v_and_b32_e32 v13, 7, v10
	v_ffbh_u32_e32 v16, v13
	v_min_u32_e32 v18, 32, v16
	v_subrev_u32_e32 v16, 28, v18
	v_lshlrev_b64 v[16:17], v16, v[10:11]
	v_lshrrev_b32_e32 v15, 3, v2
	v_sub_u32_e32 v17, 29, v18
	v_and_b32_e32 v16, 7, v16
	v_cmp_gt_u32_e32 vcc, 8, v2
	v_cndmask_b32_e32 v2, v15, v17, vcc
	v_cndmask_b32_e32 v13, v13, v16, vcc
	v_lshlrev_b32_e32 v10, 24, v10
	v_bfrev_b32_e32 v15, 60
	v_lshlrev_b32_e32 v13, 20, v13
	v_and_b32_e32 v10, 0x80000000, v10
	v_lshl_add_u32 v2, v2, 23, v15
	v_or3_b32 v2, v10, v2, v13
	v_lshrrev_b32_e32 v13, 16, v2
.LBB837_711:
	s_or_b64 exec, exec, s[10:11]
.LBB837_712:
	s_or_b64 exec, exec, s[8:9]
.LBB837_713:
	s_or_b64 exec, exec, s[2:3]
	v_mov_b32_e32 v10, 0
	v_cmp_ne_u16_sdwa s[8:9], v3, v10 src0_sel:BYTE_0 src1_sel:DWORD
	v_mov_b32_e32 v15, 0
	s_and_saveexec_b64 s[2:3], s[8:9]
	s_cbranch_execz .LBB837_719
; %bb.714:
	s_movk_i32 s7, 0x80
	v_cmp_ne_u16_sdwa s[10:11], v3, s7 src0_sel:BYTE_0 src1_sel:DWORD
	v_mov_b32_e32 v15, 0xffff8000
	s_and_saveexec_b64 s[8:9], s[10:11]
	s_cbranch_execz .LBB837_718
; %bb.715:
	s_movk_i32 s7, 0x7f
	v_and_b32_e32 v2, 0x7f, v3
	v_cmp_ne_u32_e32 vcc, s7, v2
	v_mov_b32_e32 v15, 0x7f80
	s_and_saveexec_b64 s[10:11], vcc
	s_cbranch_execz .LBB837_717
; %bb.716:
	v_and_b32_e32 v15, 7, v3
	v_ffbh_u32_e32 v17, v15
	v_min_u32_e32 v19, 32, v17
	v_mov_b32_e32 v16, v3
	v_subrev_u32_e32 v17, 28, v19
	v_lshlrev_b64 v[16:17], v17, v[16:17]
	v_lshrrev_b32_e32 v18, 3, v2
	v_sub_u32_e32 v17, 29, v19
	v_and_b32_e32 v16, 7, v16
	v_cmp_gt_u32_e32 vcc, 8, v2
	v_cndmask_b32_e32 v2, v18, v17, vcc
	v_cndmask_b32_e32 v15, v15, v16, vcc
	v_lshlrev_b32_e32 v16, 24, v3
	v_bfrev_b32_e32 v17, 60
	v_lshlrev_b32_e32 v15, 20, v15
	v_and_b32_e32 v16, 0x80000000, v16
	v_lshl_add_u32 v2, v2, 23, v17
	v_or3_b32 v2, v16, v2, v15
	v_lshrrev_b32_e32 v15, 16, v2
.LBB837_717:
	s_or_b64 exec, exec, s[10:11]
.LBB837_718:
	s_or_b64 exec, exec, s[8:9]
.LBB837_719:
	s_or_b64 exec, exec, s[2:3]
	v_lshrrev_b16_e32 v2, 8, v3
	v_cmp_ne_u16_e32 vcc, 0, v2
	s_and_saveexec_b64 s[2:3], vcc
	s_cbranch_execz .LBB837_725
; %bb.720:
	s_movk_i32 s7, 0x80
	v_cmp_ne_u16_e32 vcc, s7, v2
	v_mov_b32_e32 v10, 0xffff8000
	s_and_saveexec_b64 s[8:9], vcc
	s_cbranch_execz .LBB837_724
; %bb.721:
	s_movk_i32 s7, 0x7f
	v_and_b32_e32 v16, 0x7f, v2
	v_cmp_ne_u32_e32 vcc, s7, v16
	v_mov_b32_e32 v10, 0x7f80
	s_and_saveexec_b64 s[10:11], vcc
	s_cbranch_execz .LBB837_723
; %bb.722:
	v_and_b32_e32 v10, 7, v2
	v_ffbh_u32_e32 v18, v10
	v_min_u32_e32 v20, 32, v18
	v_subrev_u32_e32 v18, 28, v20
	v_lshlrev_b64 v[18:19], v18, v[2:3]
	v_lshrrev_b32_e32 v17, 3, v16
	v_sub_u32_e32 v2, 29, v20
	v_and_b32_e32 v18, 7, v18
	v_cmp_gt_u32_e32 vcc, 8, v16
	v_cndmask_b32_e32 v2, v17, v2, vcc
	v_cndmask_b32_e32 v10, v10, v18, vcc
	v_lshlrev_b32_e32 v16, 16, v3
	v_bfrev_b32_e32 v17, 60
	v_lshlrev_b32_e32 v10, 20, v10
	v_and_b32_e32 v16, 0x80000000, v16
	v_lshl_add_u32 v2, v2, 23, v17
	v_or3_b32 v2, v16, v2, v10
	v_lshrrev_b32_e32 v10, 16, v2
.LBB837_723:
	s_or_b64 exec, exec, s[10:11]
.LBB837_724:
	s_or_b64 exec, exec, s[8:9]
.LBB837_725:
	s_or_b64 exec, exec, s[2:3]
	s_movk_i32 s2, 0xff
	v_and_b32_sdwa v18, v3, s2 dst_sel:DWORD dst_unused:UNUSED_PAD src0_sel:WORD_1 src1_sel:DWORD
	v_lshrrev_b32_e32 v2, 16, v3
	v_cmp_ne_u16_e32 vcc, 0, v18
	v_mov_b32_e32 v16, 0
	v_mov_b32_e32 v17, 0
	s_and_saveexec_b64 s[2:3], vcc
	s_cbranch_execz .LBB837_731
; %bb.726:
	s_movk_i32 s7, 0x80
	v_cmp_ne_u16_e32 vcc, s7, v18
	v_mov_b32_e32 v17, 0xffff8000
	s_and_saveexec_b64 s[8:9], vcc
	s_cbranch_execz .LBB837_730
; %bb.727:
	v_bfe_u32 v18, v3, 16, 7
	s_movk_i32 s7, 0x7f
	v_cmp_ne_u32_e32 vcc, s7, v18
	v_mov_b32_e32 v17, 0x7f80
	s_and_saveexec_b64 s[10:11], vcc
	s_cbranch_execz .LBB837_729
; %bb.728:
	v_and_b32_e32 v17, 7, v2
	v_ffbh_u32_e32 v20, v17
	v_min_u32_e32 v23, 32, v20
	v_subrev_u32_e32 v20, 28, v23
	v_lshlrev_b64 v[20:21], v20, v[2:3]
	v_lshrrev_b32_e32 v19, 3, v18
	v_sub_u32_e32 v2, 29, v23
	v_and_b32_e32 v20, 7, v20
	v_cmp_gt_u32_e32 vcc, 8, v18
	v_mov_b32_e32 v18, 24
	v_cndmask_b32_e32 v2, v19, v2, vcc
	v_cndmask_b32_e32 v17, v17, v20, vcc
	v_lshlrev_b32_sdwa v18, v18, v3 dst_sel:DWORD dst_unused:UNUSED_PAD src0_sel:DWORD src1_sel:WORD_1
	v_bfrev_b32_e32 v19, 60
	v_lshlrev_b32_e32 v17, 20, v17
	v_and_b32_e32 v18, 0x80000000, v18
	v_lshl_add_u32 v2, v2, 23, v19
	v_or3_b32 v2, v18, v2, v17
	v_lshrrev_b32_e32 v17, 16, v2
.LBB837_729:
	s_or_b64 exec, exec, s[10:11]
.LBB837_730:
	s_or_b64 exec, exec, s[8:9]
.LBB837_731:
	s_or_b64 exec, exec, s[2:3]
	s_mov_b32 s2, 0xffffff
	v_cmp_lt_u32_e32 vcc, s2, v3
	s_and_saveexec_b64 s[2:3], vcc
	s_cbranch_execz .LBB837_737
; %bb.732:
	v_lshrrev_b32_e32 v2, 24, v3
	s_movk_i32 s7, 0x80
	v_cmp_ne_u32_e32 vcc, s7, v2
	v_mov_b32_e32 v16, 0xffff8000
	s_and_saveexec_b64 s[8:9], vcc
	s_cbranch_execz .LBB837_736
; %bb.733:
	v_bfe_u32 v3, v3, 24, 7
	s_movk_i32 s7, 0x7f
	v_cmp_ne_u32_e32 vcc, s7, v3
	v_mov_b32_e32 v16, 0x7f80
	s_and_saveexec_b64 s[10:11], vcc
	s_cbranch_execz .LBB837_735
; %bb.734:
	v_and_b32_e32 v16, 7, v2
	v_ffbh_u32_e32 v18, v16
	v_min_u32_e32 v21, 32, v18
	v_subrev_u32_e32 v18, 28, v21
	v_lshlrev_b64 v[18:19], v18, v[2:3]
	v_lshrrev_b32_e32 v20, 3, v3
	v_sub_u32_e32 v19, 29, v21
	v_and_b32_e32 v18, 7, v18
	v_cmp_gt_u32_e32 vcc, 8, v3
	v_cndmask_b32_e32 v3, v20, v19, vcc
	v_cndmask_b32_e32 v16, v16, v18, vcc
	v_lshlrev_b32_e32 v2, 24, v2
	v_bfrev_b32_e32 v18, 60
	v_lshlrev_b32_e32 v16, 20, v16
	v_and_b32_e32 v2, 0x80000000, v2
	v_lshl_add_u32 v3, v3, 23, v18
	v_or3_b32 v2, v2, v3, v16
	v_lshrrev_b32_e32 v16, 16, v2
.LBB837_735:
	s_or_b64 exec, exec, s[10:11]
.LBB837_736:
	s_or_b64 exec, exec, s[8:9]
.LBB837_737:
	s_or_b64 exec, exec, s[2:3]
	s_mov_b32 s2, 0x5040100
	v_perm_b32 v3, v13, v14, s2
	v_perm_b32 v2, v11, v12, s2
	ds_read_b128 v[18:21], v22 offset:6144
	v_perm_b32 v13, v16, v17, s2
	v_perm_b32 v12, v10, v15, s2
	s_waitcnt lgkmcnt(0)
	v_mfma_f32_16x16x16bf16_1k v[6:9], v[2:3], v[18:19], v[6:9]
	v_mov_b32_e32 v3, 0
	v_cmp_ne_u16_sdwa s[8:9], v4, v3 src0_sel:BYTE_0 src1_sel:DWORD
	v_mov_b32_e32 v10, 0
	v_mfma_f32_16x16x16bf16_1k v[6:9], v[12:13], v[20:21], v[6:9]
	s_and_saveexec_b64 s[2:3], s[8:9]
	s_cbranch_execz .LBB837_743
; %bb.738:
	s_movk_i32 s7, 0x80
	v_cmp_ne_u16_sdwa s[10:11], v4, s7 src0_sel:BYTE_0 src1_sel:DWORD
	v_mov_b32_e32 v10, 0xffff8000
	s_and_saveexec_b64 s[8:9], s[10:11]
	s_cbranch_execz .LBB837_742
; %bb.739:
	s_movk_i32 s7, 0x7f
	v_and_b32_e32 v2, 0x7f, v4
	v_cmp_ne_u32_e32 vcc, s7, v2
	v_mov_b32_e32 v10, 0x7f80
	s_and_saveexec_b64 s[10:11], vcc
	s_cbranch_execz .LBB837_741
; %bb.740:
	v_and_b32_e32 v12, 7, v4
	v_ffbh_u32_e32 v10, v12
	v_min_u32_e32 v14, 32, v10
	v_subrev_u32_e32 v10, 28, v14
	v_lshlrev_b64 v[10:11], v10, v[4:5]
	v_lshrrev_b32_e32 v13, 3, v2
	v_sub_u32_e32 v11, 29, v14
	v_and_b32_e32 v10, 7, v10
	v_cmp_gt_u32_e32 vcc, 8, v2
	v_cndmask_b32_e32 v2, v13, v11, vcc
	v_cndmask_b32_e32 v10, v12, v10, vcc
	v_lshlrev_b32_e32 v11, 24, v4
	v_bfrev_b32_e32 v12, 60
	v_lshlrev_b32_e32 v10, 20, v10
	v_and_b32_e32 v11, 0x80000000, v11
	v_lshl_add_u32 v2, v2, 23, v12
	v_or3_b32 v2, v11, v2, v10
	v_lshrrev_b32_e32 v10, 16, v2
.LBB837_741:
	s_or_b64 exec, exec, s[10:11]
.LBB837_742:
	s_or_b64 exec, exec, s[8:9]
.LBB837_743:
	s_or_b64 exec, exec, s[2:3]
	v_lshrrev_b16_e32 v2, 8, v4
	v_cmp_ne_u16_e32 vcc, 0, v2
	s_and_saveexec_b64 s[2:3], vcc
	s_cbranch_execz .LBB837_749
; %bb.744:
	s_movk_i32 s7, 0x80
	v_cmp_ne_u16_e32 vcc, s7, v2
	v_mov_b32_e32 v3, 0xffff8000
	s_and_saveexec_b64 s[8:9], vcc
	s_cbranch_execz .LBB837_748
; %bb.745:
	s_movk_i32 s7, 0x7f
	v_and_b32_e32 v11, 0x7f, v2
	v_cmp_ne_u32_e32 vcc, s7, v11
	v_mov_b32_e32 v3, 0x7f80
	s_and_saveexec_b64 s[10:11], vcc
	s_cbranch_execz .LBB837_747
; %bb.746:
	v_and_b32_e32 v12, 7, v2
	v_ffbh_u32_e32 v3, v12
	v_min_u32_e32 v14, 32, v3
	v_subrev_u32_e32 v3, 28, v14
	v_lshlrev_b64 v[2:3], v3, v[2:3]
	v_lshrrev_b32_e32 v13, 3, v11
	v_sub_u32_e32 v3, 29, v14
	v_and_b32_e32 v2, 7, v2
	v_cmp_gt_u32_e32 vcc, 8, v11
	v_cndmask_b32_e32 v3, v13, v3, vcc
	v_cndmask_b32_e32 v2, v12, v2, vcc
	v_lshlrev_b32_e32 v11, 16, v4
	v_bfrev_b32_e32 v12, 60
	v_lshlrev_b32_e32 v2, 20, v2
	v_and_b32_e32 v11, 0x80000000, v11
	v_lshl_add_u32 v3, v3, 23, v12
	v_or3_b32 v2, v11, v3, v2
	v_lshrrev_b32_e32 v3, 16, v2
.LBB837_747:
	s_or_b64 exec, exec, s[10:11]
.LBB837_748:
	s_or_b64 exec, exec, s[8:9]
.LBB837_749:
	s_or_b64 exec, exec, s[2:3]
	s_movk_i32 s2, 0xff
	v_and_b32_sdwa v13, v4, s2 dst_sel:DWORD dst_unused:UNUSED_PAD src0_sel:WORD_1 src1_sel:DWORD
	v_lshrrev_b32_e32 v2, 16, v4
	v_cmp_ne_u16_e32 vcc, 0, v13
	v_mov_b32_e32 v11, 0
	v_mov_b32_e32 v12, 0
	s_and_saveexec_b64 s[2:3], vcc
	s_cbranch_execz .LBB837_755
; %bb.750:
	s_movk_i32 s7, 0x80
	v_cmp_ne_u16_e32 vcc, s7, v13
	v_mov_b32_e32 v12, 0xffff8000
	s_and_saveexec_b64 s[8:9], vcc
	s_cbranch_execz .LBB837_754
; %bb.751:
	v_bfe_u32 v13, v4, 16, 7
	s_movk_i32 s7, 0x7f
	v_cmp_ne_u32_e32 vcc, s7, v13
	v_mov_b32_e32 v12, 0x7f80
	s_and_saveexec_b64 s[10:11], vcc
	s_cbranch_execz .LBB837_753
; %bb.752:
	v_and_b32_e32 v12, 7, v2
	v_ffbh_u32_e32 v14, v12
	v_min_u32_e32 v17, 32, v14
	v_subrev_u32_e32 v14, 28, v17
	v_lshlrev_b64 v[14:15], v14, v[2:3]
	v_lshrrev_b32_e32 v16, 3, v13
	v_sub_u32_e32 v2, 29, v17
	v_and_b32_e32 v14, 7, v14
	v_cmp_gt_u32_e32 vcc, 8, v13
	v_mov_b32_e32 v13, 24
	v_cndmask_b32_e32 v2, v16, v2, vcc
	v_cndmask_b32_e32 v12, v12, v14, vcc
	v_lshlrev_b32_sdwa v13, v13, v4 dst_sel:DWORD dst_unused:UNUSED_PAD src0_sel:DWORD src1_sel:WORD_1
	v_bfrev_b32_e32 v14, 60
	v_lshlrev_b32_e32 v12, 20, v12
	v_and_b32_e32 v13, 0x80000000, v13
	v_lshl_add_u32 v2, v2, 23, v14
	v_or3_b32 v2, v13, v2, v12
	v_lshrrev_b32_e32 v12, 16, v2
.LBB837_753:
	s_or_b64 exec, exec, s[10:11]
.LBB837_754:
	s_or_b64 exec, exec, s[8:9]
.LBB837_755:
	s_or_b64 exec, exec, s[2:3]
	s_mov_b32 s2, 0xffffff
	v_cmp_lt_u32_e32 vcc, s2, v4
	s_and_saveexec_b64 s[2:3], vcc
	s_cbranch_execz .LBB837_761
; %bb.756:
	v_lshrrev_b32_e32 v2, 24, v4
	s_movk_i32 s7, 0x80
	v_cmp_ne_u32_e32 vcc, s7, v2
	v_mov_b32_e32 v11, 0xffff8000
	s_and_saveexec_b64 s[8:9], vcc
	s_cbranch_execz .LBB837_760
; %bb.757:
	v_bfe_u32 v4, v4, 24, 7
	s_movk_i32 s7, 0x7f
	v_cmp_ne_u32_e32 vcc, s7, v4
	v_mov_b32_e32 v11, 0x7f80
	s_and_saveexec_b64 s[10:11], vcc
	s_cbranch_execz .LBB837_759
; %bb.758:
	v_and_b32_e32 v11, 7, v2
	v_ffbh_u32_e32 v14, v11
	v_min_u32_e32 v16, 32, v14
	v_subrev_u32_e32 v14, 28, v16
	v_lshlrev_b64 v[14:15], v14, v[2:3]
	v_lshrrev_b32_e32 v13, 3, v4
	v_sub_u32_e32 v15, 29, v16
	v_and_b32_e32 v14, 7, v14
	v_cmp_gt_u32_e32 vcc, 8, v4
	v_cndmask_b32_e32 v4, v13, v15, vcc
	v_cndmask_b32_e32 v11, v11, v14, vcc
	v_lshlrev_b32_e32 v2, 24, v2
	v_bfrev_b32_e32 v13, 60
	v_lshlrev_b32_e32 v11, 20, v11
	v_and_b32_e32 v2, 0x80000000, v2
	v_lshl_add_u32 v4, v4, 23, v13
	v_or3_b32 v2, v2, v4, v11
	v_lshrrev_b32_e32 v11, 16, v2
.LBB837_759:
	s_or_b64 exec, exec, s[10:11]
.LBB837_760:
	s_or_b64 exec, exec, s[8:9]
.LBB837_761:
	s_or_b64 exec, exec, s[2:3]
	v_mov_b32_e32 v4, 0
	v_cmp_ne_u16_sdwa s[8:9], v5, v4 src0_sel:BYTE_0 src1_sel:DWORD
	v_mov_b32_e32 v13, 0
	s_and_saveexec_b64 s[2:3], s[8:9]
	s_cbranch_execz .LBB837_767
; %bb.762:
	s_movk_i32 s7, 0x80
	v_cmp_ne_u16_sdwa s[10:11], v5, s7 src0_sel:BYTE_0 src1_sel:DWORD
	v_mov_b32_e32 v13, 0xffff8000
	s_and_saveexec_b64 s[8:9], s[10:11]
	s_cbranch_execz .LBB837_766
; %bb.763:
	s_movk_i32 s7, 0x7f
	v_and_b32_e32 v2, 0x7f, v5
	v_cmp_ne_u32_e32 vcc, s7, v2
	v_mov_b32_e32 v13, 0x7f80
	s_and_saveexec_b64 s[10:11], vcc
	s_cbranch_execz .LBB837_765
; %bb.764:
	v_and_b32_e32 v13, 7, v5
	v_ffbh_u32_e32 v15, v13
	v_min_u32_e32 v17, 32, v15
	v_mov_b32_e32 v14, v5
	v_subrev_u32_e32 v15, 28, v17
	v_lshlrev_b64 v[14:15], v15, v[14:15]
	v_lshrrev_b32_e32 v16, 3, v2
	v_sub_u32_e32 v15, 29, v17
	v_and_b32_e32 v14, 7, v14
	v_cmp_gt_u32_e32 vcc, 8, v2
	v_cndmask_b32_e32 v2, v16, v15, vcc
	v_cndmask_b32_e32 v13, v13, v14, vcc
	v_lshlrev_b32_e32 v14, 24, v5
	v_bfrev_b32_e32 v15, 60
	v_lshlrev_b32_e32 v13, 20, v13
	v_and_b32_e32 v14, 0x80000000, v14
	v_lshl_add_u32 v2, v2, 23, v15
	v_or3_b32 v2, v14, v2, v13
	v_lshrrev_b32_e32 v13, 16, v2
.LBB837_765:
	s_or_b64 exec, exec, s[10:11]
.LBB837_766:
	s_or_b64 exec, exec, s[8:9]
.LBB837_767:
	s_or_b64 exec, exec, s[2:3]
	v_lshrrev_b16_e32 v2, 8, v5
	v_cmp_ne_u16_e32 vcc, 0, v2
	s_and_saveexec_b64 s[2:3], vcc
	s_cbranch_execz .LBB837_773
; %bb.768:
	s_movk_i32 s7, 0x80
	v_cmp_ne_u16_e32 vcc, s7, v2
	v_mov_b32_e32 v4, 0xffff8000
	s_and_saveexec_b64 s[8:9], vcc
	s_cbranch_execz .LBB837_772
; %bb.769:
	s_movk_i32 s7, 0x7f
	v_and_b32_e32 v14, 0x7f, v2
	v_cmp_ne_u32_e32 vcc, s7, v14
	v_mov_b32_e32 v4, 0x7f80
	s_and_saveexec_b64 s[10:11], vcc
	s_cbranch_execz .LBB837_771
; %bb.770:
	v_and_b32_e32 v4, 7, v2
	v_ffbh_u32_e32 v16, v4
	v_min_u32_e32 v18, 32, v16
	v_subrev_u32_e32 v16, 28, v18
	v_lshlrev_b64 v[16:17], v16, v[2:3]
	v_lshrrev_b32_e32 v15, 3, v14
	v_sub_u32_e32 v2, 29, v18
	v_and_b32_e32 v16, 7, v16
	v_cmp_gt_u32_e32 vcc, 8, v14
	v_cndmask_b32_e32 v2, v15, v2, vcc
	v_cndmask_b32_e32 v4, v4, v16, vcc
	v_lshlrev_b32_e32 v14, 16, v5
	v_bfrev_b32_e32 v15, 60
	v_lshlrev_b32_e32 v4, 20, v4
	v_and_b32_e32 v14, 0x80000000, v14
	v_lshl_add_u32 v2, v2, 23, v15
	v_or3_b32 v2, v14, v2, v4
	v_lshrrev_b32_e32 v4, 16, v2
.LBB837_771:
	s_or_b64 exec, exec, s[10:11]
.LBB837_772:
	s_or_b64 exec, exec, s[8:9]
.LBB837_773:
	s_or_b64 exec, exec, s[2:3]
	s_movk_i32 s2, 0xff
	v_and_b32_sdwa v16, v5, s2 dst_sel:DWORD dst_unused:UNUSED_PAD src0_sel:WORD_1 src1_sel:DWORD
	v_lshrrev_b32_e32 v2, 16, v5
	v_cmp_ne_u16_e32 vcc, 0, v16
	v_mov_b32_e32 v14, 0
	v_mov_b32_e32 v15, 0
	s_and_saveexec_b64 s[2:3], vcc
	s_cbranch_execz .LBB837_779
; %bb.774:
	s_movk_i32 s7, 0x80
	v_cmp_ne_u16_e32 vcc, s7, v16
	v_mov_b32_e32 v15, 0xffff8000
	s_and_saveexec_b64 s[8:9], vcc
	s_cbranch_execz .LBB837_778
; %bb.775:
	v_bfe_u32 v16, v5, 16, 7
	s_movk_i32 s7, 0x7f
	v_cmp_ne_u32_e32 vcc, s7, v16
	v_mov_b32_e32 v15, 0x7f80
	s_and_saveexec_b64 s[10:11], vcc
	s_cbranch_execz .LBB837_777
; %bb.776:
	v_and_b32_e32 v15, 7, v2
	v_ffbh_u32_e32 v18, v15
	v_min_u32_e32 v20, 32, v18
	v_subrev_u32_e32 v18, 28, v20
	v_lshlrev_b64 v[18:19], v18, v[2:3]
	v_lshrrev_b32_e32 v17, 3, v16
	v_sub_u32_e32 v2, 29, v20
	v_and_b32_e32 v18, 7, v18
	v_cmp_gt_u32_e32 vcc, 8, v16
	v_mov_b32_e32 v16, 24
	v_cndmask_b32_e32 v2, v17, v2, vcc
	v_cndmask_b32_e32 v15, v15, v18, vcc
	v_lshlrev_b32_sdwa v16, v16, v5 dst_sel:DWORD dst_unused:UNUSED_PAD src0_sel:DWORD src1_sel:WORD_1
	v_bfrev_b32_e32 v17, 60
	v_lshlrev_b32_e32 v15, 20, v15
	v_and_b32_e32 v16, 0x80000000, v16
	v_lshl_add_u32 v2, v2, 23, v17
	v_or3_b32 v2, v16, v2, v15
	v_lshrrev_b32_e32 v15, 16, v2
.LBB837_777:
	s_or_b64 exec, exec, s[10:11]
.LBB837_778:
	s_or_b64 exec, exec, s[8:9]
.LBB837_779:
	s_or_b64 exec, exec, s[2:3]
	s_mov_b32 s2, 0xffffff
	v_cmp_lt_u32_e32 vcc, s2, v5
	s_and_saveexec_b64 s[2:3], vcc
	s_cbranch_execz .LBB837_785
; %bb.780:
	v_lshrrev_b32_e32 v2, 24, v5
	s_movk_i32 s7, 0x80
	v_cmp_ne_u32_e32 vcc, s7, v2
	v_mov_b32_e32 v14, 0xffff8000
	s_and_saveexec_b64 s[8:9], vcc
	s_cbranch_execz .LBB837_784
; %bb.781:
	v_bfe_u32 v5, v5, 24, 7
	s_movk_i32 s7, 0x7f
	v_cmp_ne_u32_e32 vcc, s7, v5
	v_mov_b32_e32 v14, 0x7f80
	s_and_saveexec_b64 s[10:11], vcc
	s_cbranch_execz .LBB837_783
; %bb.782:
	v_and_b32_e32 v14, 7, v2
	v_ffbh_u32_e32 v16, v14
	v_min_u32_e32 v19, 32, v16
	v_subrev_u32_e32 v16, 28, v19
	v_lshlrev_b64 v[16:17], v16, v[2:3]
	v_lshrrev_b32_e32 v18, 3, v5
	v_sub_u32_e32 v17, 29, v19
	v_and_b32_e32 v16, 7, v16
	v_cmp_gt_u32_e32 vcc, 8, v5
	v_cndmask_b32_e32 v5, v18, v17, vcc
	v_cndmask_b32_e32 v14, v14, v16, vcc
	v_lshlrev_b32_e32 v2, 24, v2
	v_bfrev_b32_e32 v16, 60
	v_lshlrev_b32_e32 v14, 20, v14
	v_and_b32_e32 v2, 0x80000000, v2
	v_lshl_add_u32 v5, v5, 23, v16
	v_or3_b32 v2, v2, v5, v14
	v_lshrrev_b32_e32 v14, 16, v2
.LBB837_783:
	s_or_b64 exec, exec, s[10:11]
.LBB837_784:
	s_or_b64 exec, exec, s[8:9]
.LBB837_785:
	s_or_b64 exec, exec, s[2:3]
	s_mov_b32 s3, 0x5040100
	v_perm_b32 v11, v11, v12, s3
	ds_read_b128 v[16:19], v22 offset:6160
	v_perm_b32 v10, v3, v10, s3
	v_perm_b32 v3, v14, v15, s3
	;; [unrolled: 1-line block ×3, first 2 shown]
	s_waitcnt lgkmcnt(0)
	v_mfma_f32_16x16x16bf16_1k v[6:9], v[10:11], v[16:17], v[6:9]
	s_load_dword s2, s[42:43], 0x0
	s_mov_b32 s3, 0x7060302
	s_movk_i32 s7, 0x7fff
	v_cmp_gt_u32_e32 vcc, 64, v0
	s_and_b64 s[0:1], vcc, s[0:1]
	s_waitcnt lgkmcnt(0)
	s_barrier
	v_mfma_f32_16x16x16bf16_1k v[2:5], v[2:3], v[18:19], v[6:9]
	s_nop 7
	s_nop 2
	v_pk_mul_f32 v[4:5], v[4:5], s[2:3] op_sel_hi:[1,0]
	v_pk_mul_f32 v[2:3], v[2:3], s[2:3] op_sel_hi:[1,0]
	v_bfe_u32 v6, v3, 16, 1
	v_bfe_u32 v7, v2, 16, 1
	;; [unrolled: 1-line block ×4, first 2 shown]
	v_add3_u32 v2, v2, v7, s7
	v_add3_u32 v3, v3, v6, s7
	;; [unrolled: 1-line block ×4, first 2 shown]
	v_perm_b32 v2, v3, v2, s3
	v_perm_b32 v3, v5, v4, s3
	ds_write_b64 v26, v[2:3]
	s_waitcnt lgkmcnt(0)
	s_barrier
	s_and_saveexec_b64 s[2:3], s[0:1]
	s_cbranch_execz .LBB837_787
; %bb.786:
	s_load_dwordx2 s[0:1], s[4:5], 0x68
	s_lshl_b32 s4, s44, 6
	s_mul_i32 s2, s12, s6
	s_mul_hi_u32 s3, s2, s4
	s_mul_i32 s2, s2, s4
	s_lshl_b64 s[2:3], s[2:3], 1
	s_waitcnt lgkmcnt(0)
	s_add_u32 s2, s0, s2
	s_addc_u32 s3, s1, s3
	s_lshl_b32 s0, s24, 6
	s_mov_b32 s1, 0
	v_lshlrev_b32_e32 v0, 10, v0
	s_lshl_b64 s[0:1], s[0:1], 1
	v_and_b32_e32 v0, 0x1800, v0
	v_lshlrev_b32_e32 v2, 5, v1
	v_and_b32_e32 v3, 16, v47
	s_add_u32 s0, s2, s0
	v_or3_b32 v0, v0, v2, v3
	s_addc_u32 s1, s3, s1
	ds_read_b128 v[2:5], v0
	ds_read_b128 v[6:9], v0 offset:128
	v_mov_b32_e32 v0, s1
	v_add_co_u32_e32 v10, vcc, s0, v46
	v_or_b32_e32 v12, s25, v1
	v_addc_co_u32_e32 v11, vcc, 0, v0, vcc
	v_mad_u64_u32 v[0:1], s[0:1], v12, s4, 0
	v_lshlrev_b64 v[0:1], 1, v[0:1]
	v_add_co_u32_e32 v0, vcc, v10, v0
	v_addc_co_u32_e32 v1, vcc, v11, v1, vcc
	s_waitcnt lgkmcnt(1)
	global_store_dwordx4 v[0:1], v[2:5], off
	v_or_b32_e32 v0, 4, v12
	v_mad_u64_u32 v[0:1], s[0:1], v0, s4, 0
	v_lshlrev_b64 v[0:1], 1, v[0:1]
	v_add_co_u32_e32 v0, vcc, v10, v0
	v_addc_co_u32_e32 v1, vcc, v11, v1, vcc
	s_waitcnt lgkmcnt(0)
	global_store_dwordx4 v[0:1], v[6:9], off
.LBB837_787:
	s_endpgm
	.section	.rodata,"a",@progbits
	.p2align	6, 0x0
	.amdhsa_kernel _Z39paged_attention_ll4mi_QKV_mfma16_kernelI14__hip_bfloat16hLN4vllm18Fp8KVCacheDataTypeE1ES0_Li16ELi64ELi256ELb1ELi8EL8MFMAType0EEvPKT_PKT0_S9_ifPKiSB_SB_iPKfiiiPfSE_PS4_PT2_iSD_SD_
		.amdhsa_group_segment_fixed_size 8192
		.amdhsa_private_segment_fixed_size 0
		.amdhsa_kernarg_size 400
		.amdhsa_user_sgpr_count 6
		.amdhsa_user_sgpr_private_segment_buffer 1
		.amdhsa_user_sgpr_dispatch_ptr 0
		.amdhsa_user_sgpr_queue_ptr 0
		.amdhsa_user_sgpr_kernarg_segment_ptr 1
		.amdhsa_user_sgpr_dispatch_id 0
		.amdhsa_user_sgpr_flat_scratch_init 0
		.amdhsa_user_sgpr_kernarg_preload_length 0
		.amdhsa_user_sgpr_kernarg_preload_offset 0
		.amdhsa_user_sgpr_private_segment_size 0
		.amdhsa_uses_dynamic_stack 0
		.amdhsa_system_sgpr_private_segment_wavefront_offset 0
		.amdhsa_system_sgpr_workgroup_id_x 1
		.amdhsa_system_sgpr_workgroup_id_y 1
		.amdhsa_system_sgpr_workgroup_id_z 1
		.amdhsa_system_sgpr_workgroup_info 0
		.amdhsa_system_vgpr_workitem_id 0
		.amdhsa_next_free_vgpr 62
		.amdhsa_next_free_sgpr 47
		.amdhsa_accum_offset 64
		.amdhsa_reserve_vcc 1
		.amdhsa_reserve_flat_scratch 0
		.amdhsa_float_round_mode_32 0
		.amdhsa_float_round_mode_16_64 0
		.amdhsa_float_denorm_mode_32 3
		.amdhsa_float_denorm_mode_16_64 3
		.amdhsa_dx10_clamp 1
		.amdhsa_ieee_mode 1
		.amdhsa_fp16_overflow 0
		.amdhsa_tg_split 0
		.amdhsa_exception_fp_ieee_invalid_op 0
		.amdhsa_exception_fp_denorm_src 0
		.amdhsa_exception_fp_ieee_div_zero 0
		.amdhsa_exception_fp_ieee_overflow 0
		.amdhsa_exception_fp_ieee_underflow 0
		.amdhsa_exception_fp_ieee_inexact 0
		.amdhsa_exception_int_div_zero 0
	.end_amdhsa_kernel
	.section	.text._Z39paged_attention_ll4mi_QKV_mfma16_kernelI14__hip_bfloat16hLN4vllm18Fp8KVCacheDataTypeE1ES0_Li16ELi64ELi256ELb1ELi8EL8MFMAType0EEvPKT_PKT0_S9_ifPKiSB_SB_iPKfiiiPfSE_PS4_PT2_iSD_SD_,"axG",@progbits,_Z39paged_attention_ll4mi_QKV_mfma16_kernelI14__hip_bfloat16hLN4vllm18Fp8KVCacheDataTypeE1ES0_Li16ELi64ELi256ELb1ELi8EL8MFMAType0EEvPKT_PKT0_S9_ifPKiSB_SB_iPKfiiiPfSE_PS4_PT2_iSD_SD_,comdat
.Lfunc_end837:
	.size	_Z39paged_attention_ll4mi_QKV_mfma16_kernelI14__hip_bfloat16hLN4vllm18Fp8KVCacheDataTypeE1ES0_Li16ELi64ELi256ELb1ELi8EL8MFMAType0EEvPKT_PKT0_S9_ifPKiSB_SB_iPKfiiiPfSE_PS4_PT2_iSD_SD_, .Lfunc_end837-_Z39paged_attention_ll4mi_QKV_mfma16_kernelI14__hip_bfloat16hLN4vllm18Fp8KVCacheDataTypeE1ES0_Li16ELi64ELi256ELb1ELi8EL8MFMAType0EEvPKT_PKT0_S9_ifPKiSB_SB_iPKfiiiPfSE_PS4_PT2_iSD_SD_
                                        ; -- End function
	.section	.AMDGPU.csdata,"",@progbits
; Kernel info:
; codeLenInByte = 28588
; NumSgprs: 51
; NumVgprs: 62
; NumAgprs: 0
; TotalNumVgprs: 62
; ScratchSize: 0
; MemoryBound: 0
; FloatMode: 240
; IeeeMode: 1
; LDSByteSize: 8192 bytes/workgroup (compile time only)
; SGPRBlocks: 6
; VGPRBlocks: 7
; NumSGPRsForWavesPerEU: 51
; NumVGPRsForWavesPerEU: 62
; AccumOffset: 64
; Occupancy: 8
; WaveLimiterHint : 1
; COMPUTE_PGM_RSRC2:SCRATCH_EN: 0
; COMPUTE_PGM_RSRC2:USER_SGPR: 6
; COMPUTE_PGM_RSRC2:TRAP_HANDLER: 0
; COMPUTE_PGM_RSRC2:TGID_X_EN: 1
; COMPUTE_PGM_RSRC2:TGID_Y_EN: 1
; COMPUTE_PGM_RSRC2:TGID_Z_EN: 1
; COMPUTE_PGM_RSRC2:TIDIG_COMP_CNT: 0
; COMPUTE_PGM_RSRC3_GFX90A:ACCUM_OFFSET: 15
; COMPUTE_PGM_RSRC3_GFX90A:TG_SPLIT: 0
	.section	.text._Z39paged_attention_ll4mi_QKV_mfma16_kernelI14__hip_bfloat16hLN4vllm18Fp8KVCacheDataTypeE1ES0_Li16ELi64ELi256ELb1ELi9EL8MFMAType0EEvPKT_PKT0_S9_ifPKiSB_SB_iPKfiiiPfSE_PS4_PT2_iSD_SD_,"axG",@progbits,_Z39paged_attention_ll4mi_QKV_mfma16_kernelI14__hip_bfloat16hLN4vllm18Fp8KVCacheDataTypeE1ES0_Li16ELi64ELi256ELb1ELi9EL8MFMAType0EEvPKT_PKT0_S9_ifPKiSB_SB_iPKfiiiPfSE_PS4_PT2_iSD_SD_,comdat
	.protected	_Z39paged_attention_ll4mi_QKV_mfma16_kernelI14__hip_bfloat16hLN4vllm18Fp8KVCacheDataTypeE1ES0_Li16ELi64ELi256ELb1ELi9EL8MFMAType0EEvPKT_PKT0_S9_ifPKiSB_SB_iPKfiiiPfSE_PS4_PT2_iSD_SD_ ; -- Begin function _Z39paged_attention_ll4mi_QKV_mfma16_kernelI14__hip_bfloat16hLN4vllm18Fp8KVCacheDataTypeE1ES0_Li16ELi64ELi256ELb1ELi9EL8MFMAType0EEvPKT_PKT0_S9_ifPKiSB_SB_iPKfiiiPfSE_PS4_PT2_iSD_SD_
	.globl	_Z39paged_attention_ll4mi_QKV_mfma16_kernelI14__hip_bfloat16hLN4vllm18Fp8KVCacheDataTypeE1ES0_Li16ELi64ELi256ELb1ELi9EL8MFMAType0EEvPKT_PKT0_S9_ifPKiSB_SB_iPKfiiiPfSE_PS4_PT2_iSD_SD_
	.p2align	8
	.type	_Z39paged_attention_ll4mi_QKV_mfma16_kernelI14__hip_bfloat16hLN4vllm18Fp8KVCacheDataTypeE1ES0_Li16ELi64ELi256ELb1ELi9EL8MFMAType0EEvPKT_PKT0_S9_ifPKiSB_SB_iPKfiiiPfSE_PS4_PT2_iSD_SD_,@function
_Z39paged_attention_ll4mi_QKV_mfma16_kernelI14__hip_bfloat16hLN4vllm18Fp8KVCacheDataTypeE1ES0_Li16ELi64ELi256ELb1ELi9EL8MFMAType0EEvPKT_PKT0_S9_ifPKiSB_SB_iPKfiiiPfSE_PS4_PT2_iSD_SD_: ; @_Z39paged_attention_ll4mi_QKV_mfma16_kernelI14__hip_bfloat16hLN4vllm18Fp8KVCacheDataTypeE1ES0_Li16ELi64ELi256ELb1ELi9EL8MFMAType0EEvPKT_PKT0_S9_ifPKiSB_SB_iPKfiiiPfSE_PS4_PT2_iSD_SD_
; %bb.0:
	s_load_dwordx2 s[0:1], s[4:5], 0x30
	s_mov_b32 s24, s7
	s_mov_b64 s[10:11], 0
	s_waitcnt lgkmcnt(0)
	s_cmp_lg_u64 s[0:1], 0
	s_cselect_b64 s[2:3], -1, 0
	s_and_b64 vcc, exec, s[2:3]
	s_cbranch_vccz .LBB838_7
; %bb.1:
	s_add_i32 s12, s6, 1
	s_mov_b32 s13, 0
	s_lshl_b64 s[14:15], s[12:13], 2
	s_add_u32 s14, s0, s14
	s_mov_b32 s7, s13
	s_addc_u32 s15, s1, s15
	s_lshl_b64 s[12:13], s[6:7], 2
	s_add_u32 s12, s0, s12
	s_addc_u32 s13, s1, s13
	s_load_dword s9, s[14:15], 0x0
	s_load_dword s16, s[12:13], 0x0
	s_waitcnt lgkmcnt(0)
	s_sub_i32 s9, s9, s16
	s_cmp_eq_u32 s9, 1
	s_cselect_b64 s[12:13], -1, 0
	s_andn2_b64 vcc, exec, s[10:11]
	s_cbranch_vccnz .LBB838_3
.LBB838_2:
	s_mov_b32 s7, 0
	s_mov_b64 s[12:13], -1
.LBB838_3:
	s_andn2_b64 vcc, exec, s[12:13]
	s_cbranch_vccnz .LBB838_788
; %bb.4:
	s_load_dwordx2 s[12:13], s[4:5], 0x28
	s_lshl_b64 s[10:11], s[6:7], 2
	s_waitcnt lgkmcnt(0)
	s_add_u32 s12, s12, s10
	s_addc_u32 s13, s13, s11
	s_load_dword s33, s[12:13], 0x0
	s_lshl_b32 s18, s24, 8
	s_waitcnt lgkmcnt(0)
	s_cmp_ge_i32 s18, s33
	s_cbranch_scc1 .LBB838_788
; %bb.5:
	s_add_i32 s14, s33, 15
	s_load_dwordx2 s[12:13], s[4:5], 0x20
	s_load_dword s9, s[4:5], 0x38
	s_ashr_i32 s15, s14, 31
	v_and_b32_e32 v1, 0xcf, v0
	s_lshr_b32 s15, s15, 28
	v_add_u32_e32 v1, s18, v1
	s_add_i32 s14, s14, s15
	v_ashrrev_i32_e32 v2, 31, v1
	s_ashr_i32 s21, s14, 4
	v_lshrrev_b32_e32 v4, 28, v2
	s_add_i32 s21, s21, -1
	v_add_u32_e32 v2, v1, v4
	s_waitcnt lgkmcnt(0)
	s_mul_i32 s14, s6, s9
	s_mov_b32 s15, 0
	v_ashrrev_i32_e32 v2, 4, v2
	v_mov_b32_e32 v5, s21
	v_cmp_gt_i32_e32 vcc, s33, v1
	s_lshl_b64 s[14:15], s[14:15], 2
	v_cndmask_b32_e32 v2, v5, v2, vcc
	s_add_u32 s19, s12, s14
	v_ashrrev_i32_e32 v3, 31, v2
	s_addc_u32 s20, s13, s15
	v_lshlrev_b64 v[2:3], 2, v[2:3]
	v_mov_b32_e32 v7, s20
	v_add_co_u32_e32 v6, vcc, s19, v2
	v_or_b32_e32 v2, 16, v1
	v_addc_co_u32_e32 v7, vcc, v7, v3, vcc
	v_add_u32_e32 v3, v2, v4
	v_ashrrev_i32_e32 v3, 4, v3
	v_cmp_gt_i32_e32 vcc, s33, v2
	v_cndmask_b32_e32 v2, v5, v3, vcc
	v_ashrrev_i32_e32 v3, 31, v2
	v_lshlrev_b64 v[2:3], 2, v[2:3]
	v_mov_b32_e32 v9, s20
	v_add_co_u32_e32 v8, vcc, s19, v2
	v_or_b32_e32 v2, 32, v1
	v_addc_co_u32_e32 v9, vcc, v9, v3, vcc
	v_add_u32_e32 v3, v2, v4
	v_ashrrev_i32_e32 v3, 4, v3
	v_cmp_gt_i32_e32 vcc, s33, v2
	v_cndmask_b32_e32 v2, v5, v3, vcc
	v_ashrrev_i32_e32 v3, 31, v2
	;; [unrolled: 10-line block ×3, first 2 shown]
	v_lshlrev_b64 v[2:3], 2, v[2:3]
	v_mov_b32_e32 v1, s20
	v_add_co_u32_e32 v12, vcc, s19, v2
	v_addc_co_u32_e32 v13, vcc, v1, v3, vcc
	global_load_dword v5, v[6:7], off
	global_load_dword v4, v[8:9], off
	;; [unrolled: 1-line block ×4, first 2 shown]
	s_load_dwordx2 s[16:17], s[4:5], 0x8
	s_andn2_b64 vcc, exec, s[2:3]
	s_cbranch_vccnz .LBB838_8
; %bb.6:
	s_add_u32 s0, s0, s10
	s_addc_u32 s1, s1, s11
	s_load_dword s9, s[0:1], 0x0
	s_branch .LBB838_9
.LBB838_7:
	s_mov_b64 s[12:13], 0
	s_branch .LBB838_2
.LBB838_8:
	s_mov_b32 s9, s6
.LBB838_9:
	s_load_dwordx2 s[2:3], s[4:5], 0x10
	s_load_dwordx4 s[12:15], s[4:5], 0x48
	v_lshrrev_b32_e32 v49, 6, v0
	v_bfe_u32 v1, v0, 4, 2
	v_lshl_or_b32 v6, v49, 2, v1
	v_and_b32_e32 v48, 15, v0
	v_lshlrev_b32_e32 v7, 3, v48
	v_cmp_gt_u32_e32 vcc, 9, v6
	v_cmp_gt_u32_e64 s[0:1], 8, v48
	s_mul_i32 s25, s8, 9
	s_and_b64 s[22:23], s[0:1], vcc
	v_lshlrev_b32_e32 v46, 1, v7
	v_lshlrev_b32_e32 v47, 4, v0
	s_and_saveexec_b64 s[10:11], s[22:23]
	s_cbranch_execz .LBB838_11
; %bb.10:
	s_load_dwordx2 s[22:23], s[4:5], 0x0
	s_waitcnt lgkmcnt(0)
	s_ashr_i32 s15, s12, 31
	s_mul_hi_u32 s26, s9, s12
	s_mul_i32 s15, s9, s15
	s_add_i32 s27, s26, s15
	s_mul_i32 s26, s9, s12
	s_lshl_b64 s[26:27], s[26:27], 1
	v_add_lshl_u32 v8, v6, s25, 6
	s_add_u32 s9, s22, s26
	v_ashrrev_i32_e32 v9, 31, v8
	s_addc_u32 s12, s23, s27
	v_lshlrev_b64 v[8:9], 1, v[8:9]
	v_mov_b32_e32 v7, s12
	v_add_co_u32_e32 v8, vcc, s9, v8
	v_addc_co_u32_e32 v7, vcc, v7, v9, vcc
	v_add_co_u32_e32 v8, vcc, v8, v46
	v_addc_co_u32_e32 v9, vcc, 0, v7, vcc
	global_load_dwordx4 v[8:11], v[8:9], off
	v_lshlrev_b32_e32 v12, 8, v48
	v_lshlrev_b32_e32 v6, 5, v6
	v_and_b32_e32 v7, 16, v47
	v_and_b32_e32 v12, 0xe00, v12
	v_or3_b32 v6, v12, v6, v7
	s_waitcnt vmcnt(0)
	ds_write_b128 v6, v[8:11]
.LBB838_11:
	s_or_b64 exec, exec, s[10:11]
	s_waitcnt lgkmcnt(0)
	s_mul_i32 s10, s8, s14
	s_add_u32 s8, s16, s10
	s_addc_u32 s9, s17, 0
	v_and_b32_e32 v7, 0xf0, v47
	v_and_b32_e32 v6, 48, v0
	v_mov_b32_e32 v8, s9
	v_add_co_u32_e32 v7, vcc, s8, v7
	v_addc_co_u32_e32 v9, vcc, 0, v8, vcc
	v_lshlrev_b32_e32 v8, 4, v6
	v_add_co_u32_e32 v8, vcc, v7, v8
	v_addc_co_u32_e32 v9, vcc, 0, v9, vcc
	s_waitcnt vmcnt(3)
	v_mad_i64_i32 v[10:11], s[8:9], v5, s13, v[8:9]
	s_waitcnt vmcnt(2)
	v_mad_i64_i32 v[4:5], s[8:9], v4, s13, v[8:9]
	s_barrier
	global_load_dwordx4 v[34:37], v[10:11], off
	global_load_dwordx4 v[38:41], v[4:5], off
	s_waitcnt vmcnt(3)
	v_mad_i64_i32 v[4:5], s[8:9], v2, s13, v[8:9]
	s_waitcnt vmcnt(2)
	v_mad_i64_i32 v[2:3], s[8:9], v3, s13, v[8:9]
	global_load_dwordx4 v[30:33], v[4:5], off
	global_load_dwordx4 v[22:25], v[2:3], off
	v_add_u32_e32 v2, -9, v48
	v_cmp_gt_u32_e32 vcc, 9, v48
	v_cndmask_b32_e32 v2, v2, v48, vcc
	v_lshlrev_b32_e32 v2, 5, v2
	v_lshl_add_u32 v2, v1, 9, v2
	ds_read_b128 v[26:29], v2
	ds_read_b128 v[18:21], v2 offset:16
	v_mov_b32_e32 v43, 0
	v_mov_b32_e32 v50, 0
	s_and_saveexec_b64 s[8:9], vcc
	s_cbranch_execz .LBB838_13
; %bb.12:
	s_load_dwordx2 s[14:15], s[4:5], 0x40
	v_add_u32_e32 v2, s25, v48
	v_ashrrev_i32_e32 v3, 31, v2
	v_lshlrev_b64 v[2:3], 2, v[2:3]
	s_waitcnt lgkmcnt(0)
	v_mov_b32_e32 v4, s15
	v_add_co_u32_e32 v2, vcc, s14, v2
	v_addc_co_u32_e32 v3, vcc, v4, v3, vcc
	global_load_dword v50, v[2:3], off
.LBB838_13:
	s_or_b64 exec, exec, s[8:9]
	v_or_b32_e32 v8, s18, v6
	v_ashrrev_i32_e32 v2, 4, v8
	v_mov_b32_e32 v9, s21
	v_cmp_gt_i32_e32 vcc, s33, v8
	v_cndmask_b32_e32 v2, v9, v2, vcc
	v_ashrrev_i32_e32 v3, 31, v2
	v_lshlrev_b64 v[2:3], 2, v[2:3]
	v_mov_b32_e32 v4, s20
	v_add_co_u32_e32 v2, vcc, s19, v2
	v_addc_co_u32_e32 v3, vcc, v4, v3, vcc
	v_or_b32_e32 v4, 64, v8
	v_ashrrev_i32_e32 v5, 4, v4
	v_cmp_gt_i32_e32 vcc, s33, v4
	v_cndmask_b32_e32 v4, v9, v5, vcc
	v_ashrrev_i32_e32 v5, 31, v4
	v_lshlrev_b64 v[4:5], 2, v[4:5]
	v_mov_b32_e32 v6, s20
	v_add_co_u32_e32 v4, vcc, s19, v4
	v_addc_co_u32_e32 v5, vcc, v6, v5, vcc
	v_or_b32_e32 v6, 0x80, v8
	v_ashrrev_i32_e32 v7, 4, v6
	v_cmp_gt_i32_e32 vcc, s33, v6
	v_cndmask_b32_e32 v6, v9, v7, vcc
	v_ashrrev_i32_e32 v7, 31, v6
	v_lshlrev_b64 v[6:7], 2, v[6:7]
	v_mov_b32_e32 v10, s20
	v_add_co_u32_e32 v6, vcc, s19, v6
	v_addc_co_u32_e32 v7, vcc, v10, v7, vcc
	global_load_dword v10, v[2:3], off
	global_load_dword v11, v[4:5], off
	;; [unrolled: 1-line block ×3, first 2 shown]
	v_or_b32_e32 v2, 0xc0, v8
	v_ashrrev_i32_e32 v3, 4, v2
	v_cmp_gt_i32_e32 vcc, s33, v2
	v_cndmask_b32_e32 v2, v9, v3, vcc
	v_ashrrev_i32_e32 v3, 31, v2
	v_lshlrev_b64 v[2:3], 2, v[2:3]
	v_mov_b32_e32 v4, s20
	v_add_co_u32_e32 v2, vcc, s19, v2
	v_addc_co_u32_e32 v3, vcc, v4, v3, vcc
	global_load_dword v13, v[2:3], off
	s_add_u32 s2, s2, s10
	v_lshlrev_b32_e32 v2, 4, v48
	s_addc_u32 s3, s3, 0
	v_lshl_or_b32 v2, v49, 8, v2
	v_mov_b32_e32 v3, s3
	v_add_co_u32_e32 v2, vcc, s2, v2
	v_addc_co_u32_e32 v3, vcc, 0, v3, vcc
	s_movk_i32 s8, 0x80
	s_waitcnt vmcnt(7)
	v_cmp_ne_u16_sdwa s[10:11], v34, v43 src0_sel:BYTE_0 src1_sel:DWORD
	s_waitcnt vmcnt(3)
	v_mad_i64_i32 v[4:5], s[2:3], v10, s13, v[2:3]
	s_waitcnt vmcnt(2)
	v_mad_i64_i32 v[6:7], s[2:3], v11, s13, v[2:3]
	;; [unrolled: 2-line block ×4, first 2 shown]
	global_load_dwordx4 v[14:17], v[4:5], off
	global_load_dwordx4 v[10:13], v[6:7], off
                                        ; kill: killed $vgpr6_vgpr7
                                        ; kill: killed $vgpr4_vgpr5
	s_nop 0
	global_load_dwordx4 v[6:9], v[8:9], off
	s_nop 0
	global_load_dwordx4 v[2:5], v[2:3], off
	s_load_dwordx4 s[40:43], s[4:5], 0x80
	s_load_dwordx2 s[44:45], s[4:5], 0x94
                                        ; kill: killed $sgpr40_sgpr41
	s_waitcnt lgkmcnt(0)
	s_load_dword s12, s[40:41], 0x0
	s_and_saveexec_b64 s[2:3], s[10:11]
	s_cbranch_execz .LBB838_19
; %bb.14:
	v_cmp_ne_u16_sdwa s[10:11], v34, s8 src0_sel:BYTE_0 src1_sel:DWORD
	v_mov_b32_e32 v43, 0xffff8000
	s_and_saveexec_b64 s[8:9], s[10:11]
	s_cbranch_execz .LBB838_18
; %bb.15:
	s_movk_i32 s10, 0x7f
	v_and_b32_e32 v42, 0x7f, v34
	v_cmp_ne_u32_e32 vcc, s10, v42
	v_mov_b32_e32 v43, 0x7f80
	s_and_saveexec_b64 s[10:11], vcc
	s_cbranch_execz .LBB838_17
; %bb.16:
	v_and_b32_e32 v43, 7, v34
	v_ffbh_u32_e32 v44, v43
	v_min_u32_e32 v52, 32, v44
	v_subrev_u32_e32 v44, 28, v52
	v_lshlrev_b64 v[44:45], v44, v[34:35]
	v_lshrrev_b32_e32 v51, 3, v42
	v_sub_u32_e32 v45, 29, v52
	v_and_b32_e32 v44, 7, v44
	v_cmp_gt_u32_e32 vcc, 8, v42
	v_cndmask_b32_e32 v42, v51, v45, vcc
	v_cndmask_b32_e32 v43, v43, v44, vcc
	v_lshlrev_b32_e32 v44, 24, v34
	v_bfrev_b32_e32 v45, 60
	v_lshlrev_b32_e32 v43, 20, v43
	v_and_b32_e32 v44, 0x80000000, v44
	v_lshl_add_u32 v42, v42, 23, v45
	v_or3_b32 v42, v44, v42, v43
	v_lshrrev_b32_e32 v43, 16, v42
.LBB838_17:
	s_or_b64 exec, exec, s[10:11]
.LBB838_18:
	s_or_b64 exec, exec, s[8:9]
.LBB838_19:
	s_or_b64 exec, exec, s[2:3]
	v_lshrrev_b16_e32 v42, 8, v34
	v_cmp_ne_u16_e32 vcc, 0, v42
	v_mov_b32_e32 v45, 0
	v_mov_b32_e32 v44, 0
	s_and_saveexec_b64 s[2:3], vcc
	s_cbranch_execz .LBB838_25
; %bb.20:
	s_movk_i32 s8, 0x80
	v_cmp_ne_u16_sdwa s[10:11], v34, s8 src0_sel:BYTE_1 src1_sel:DWORD
	v_mov_b32_e32 v44, 0xffff8000
	s_and_saveexec_b64 s[8:9], s[10:11]
	s_cbranch_execz .LBB838_24
; %bb.21:
	s_movk_i32 s10, 0x7f
	v_and_b32_e32 v51, 0x7f, v42
	v_cmp_ne_u32_e32 vcc, s10, v51
	v_mov_b32_e32 v44, 0x7f80
	s_and_saveexec_b64 s[10:11], vcc
	s_cbranch_execz .LBB838_23
; %bb.22:
	v_and_b32_e32 v44, 7, v42
	v_ffbh_u32_e32 v52, v44
	v_min_u32_e32 v55, 32, v52
	v_subrev_u32_e32 v52, 28, v55
	v_lshlrev_b64 v[52:53], v52, v[42:43]
	v_lshrrev_b32_e32 v54, 3, v51
	v_sub_u32_e32 v42, 29, v55
	v_and_b32_e32 v52, 7, v52
	v_cmp_gt_u32_e32 vcc, 8, v51
	v_cndmask_b32_e32 v42, v54, v42, vcc
	v_cndmask_b32_e32 v44, v44, v52, vcc
	v_lshlrev_b32_e32 v51, 16, v34
	v_bfrev_b32_e32 v52, 60
	v_lshlrev_b32_e32 v44, 20, v44
	v_and_b32_e32 v51, 0x80000000, v51
	v_lshl_add_u32 v42, v42, 23, v52
	v_or3_b32 v42, v51, v42, v44
	v_lshrrev_b32_e32 v44, 16, v42
.LBB838_23:
	s_or_b64 exec, exec, s[10:11]
.LBB838_24:
	s_or_b64 exec, exec, s[8:9]
.LBB838_25:
	s_or_b64 exec, exec, s[2:3]
	s_movk_i32 s2, 0xff
	v_and_b32_sdwa v51, v34, s2 dst_sel:DWORD dst_unused:UNUSED_PAD src0_sel:WORD_1 src1_sel:DWORD
	v_lshrrev_b32_e32 v42, 16, v34
	v_cmp_ne_u16_e32 vcc, 0, v51
	s_and_saveexec_b64 s[2:3], vcc
	s_cbranch_execz .LBB838_31
; %bb.26:
	s_movk_i32 s8, 0x80
	v_cmp_ne_u16_e32 vcc, s8, v51
	v_mov_b32_e32 v45, 0xffff8000
	s_and_saveexec_b64 s[8:9], vcc
	s_cbranch_execz .LBB838_30
; %bb.27:
	v_bfe_u32 v51, v34, 16, 7
	s_movk_i32 s10, 0x7f
	v_cmp_ne_u32_e32 vcc, s10, v51
	v_mov_b32_e32 v45, 0x7f80
	s_and_saveexec_b64 s[10:11], vcc
	s_cbranch_execz .LBB838_29
; %bb.28:
	v_and_b32_e32 v45, 7, v42
	v_ffbh_u32_e32 v52, v45
	v_min_u32_e32 v55, 32, v52
	v_subrev_u32_e32 v52, 28, v55
	v_lshlrev_b64 v[52:53], v52, v[42:43]
	v_lshrrev_b32_e32 v54, 3, v51
	v_sub_u32_e32 v42, 29, v55
	v_and_b32_e32 v52, 7, v52
	v_cmp_gt_u32_e32 vcc, 8, v51
	v_mov_b32_e32 v51, 24
	v_cndmask_b32_e32 v42, v54, v42, vcc
	v_cndmask_b32_e32 v45, v45, v52, vcc
	v_lshlrev_b32_sdwa v51, v51, v34 dst_sel:DWORD dst_unused:UNUSED_PAD src0_sel:DWORD src1_sel:WORD_1
	v_bfrev_b32_e32 v52, 60
	v_lshlrev_b32_e32 v45, 20, v45
	v_and_b32_e32 v51, 0x80000000, v51
	v_lshl_add_u32 v42, v42, 23, v52
	v_or3_b32 v42, v51, v42, v45
	v_lshrrev_b32_e32 v45, 16, v42
.LBB838_29:
	s_or_b64 exec, exec, s[10:11]
.LBB838_30:
	s_or_b64 exec, exec, s[8:9]
.LBB838_31:
	s_or_b64 exec, exec, s[2:3]
	s_mov_b32 s2, 0xffffff
	v_cmp_lt_u32_e32 vcc, s2, v34
	v_mov_b32_e32 v52, 0
	v_mov_b32_e32 v53, 0
	s_and_saveexec_b64 s[2:3], vcc
	s_cbranch_execz .LBB838_37
; %bb.32:
	v_lshrrev_b32_e32 v42, 24, v34
	s_movk_i32 s8, 0x80
	v_cmp_ne_u32_e32 vcc, s8, v42
	v_mov_b32_e32 v53, 0xffff8000
	s_and_saveexec_b64 s[8:9], vcc
	s_cbranch_execz .LBB838_36
; %bb.33:
	v_bfe_u32 v34, v34, 24, 7
	s_movk_i32 s10, 0x7f
	v_cmp_ne_u32_e32 vcc, s10, v34
	v_mov_b32_e32 v53, 0x7f80
	s_and_saveexec_b64 s[10:11], vcc
	s_cbranch_execz .LBB838_35
; %bb.34:
	v_and_b32_e32 v51, 7, v42
	v_ffbh_u32_e32 v54, v51
	v_min_u32_e32 v56, 32, v54
	v_subrev_u32_e32 v54, 28, v56
	v_lshlrev_b64 v[54:55], v54, v[42:43]
	v_lshrrev_b32_e32 v53, 3, v34
	v_sub_u32_e32 v55, 29, v56
	v_and_b32_e32 v54, 7, v54
	v_cmp_gt_u32_e32 vcc, 8, v34
	v_cndmask_b32_e32 v34, v53, v55, vcc
	v_cndmask_b32_e32 v51, v51, v54, vcc
	v_lshlrev_b32_e32 v42, 24, v42
	v_bfrev_b32_e32 v53, 60
	v_lshlrev_b32_e32 v51, 20, v51
	v_and_b32_e32 v42, 0x80000000, v42
	v_lshl_add_u32 v34, v34, 23, v53
	v_or3_b32 v34, v42, v34, v51
	v_lshrrev_b32_e32 v53, 16, v34
.LBB838_35:
	s_or_b64 exec, exec, s[10:11]
.LBB838_36:
	s_or_b64 exec, exec, s[8:9]
.LBB838_37:
	s_or_b64 exec, exec, s[2:3]
	v_cmp_ne_u16_sdwa s[8:9], v35, v52 src0_sel:BYTE_0 src1_sel:DWORD
	s_and_saveexec_b64 s[2:3], s[8:9]
	s_cbranch_execz .LBB838_43
; %bb.38:
	s_movk_i32 s8, 0x80
	v_cmp_ne_u16_sdwa s[10:11], v35, s8 src0_sel:BYTE_0 src1_sel:DWORD
	v_mov_b32_e32 v52, 0xffff8000
	s_and_saveexec_b64 s[8:9], s[10:11]
	s_cbranch_execz .LBB838_42
; %bb.39:
	s_movk_i32 s10, 0x7f
	v_and_b32_e32 v34, 0x7f, v35
	v_cmp_ne_u32_e32 vcc, s10, v34
	v_mov_b32_e32 v52, 0x7f80
	s_and_saveexec_b64 s[10:11], vcc
	s_cbranch_execz .LBB838_41
; %bb.40:
	v_and_b32_e32 v51, 7, v35
	v_ffbh_u32_e32 v54, v51
	v_min_u32_e32 v56, 32, v54
	v_mov_b32_e32 v42, v35
	v_subrev_u32_e32 v54, 28, v56
	v_lshlrev_b64 v[54:55], v54, v[42:43]
	v_lshrrev_b32_e32 v52, 3, v34
	v_sub_u32_e32 v42, 29, v56
	v_and_b32_e32 v54, 7, v54
	v_cmp_gt_u32_e32 vcc, 8, v34
	v_cndmask_b32_e32 v34, v52, v42, vcc
	v_cndmask_b32_e32 v42, v51, v54, vcc
	v_lshlrev_b32_e32 v51, 24, v35
	v_bfrev_b32_e32 v52, 60
	v_lshlrev_b32_e32 v42, 20, v42
	v_and_b32_e32 v51, 0x80000000, v51
	v_lshl_add_u32 v34, v34, 23, v52
	v_or3_b32 v34, v51, v34, v42
	v_lshrrev_b32_e32 v52, 16, v34
.LBB838_41:
	s_or_b64 exec, exec, s[10:11]
.LBB838_42:
	s_or_b64 exec, exec, s[8:9]
.LBB838_43:
	s_or_b64 exec, exec, s[2:3]
	v_lshrrev_b16_e32 v34, 8, v35
	v_cmp_ne_u16_e32 vcc, 0, v34
	v_mov_b32_e32 v54, 0
	v_mov_b32_e32 v42, 0
	s_and_saveexec_b64 s[2:3], vcc
	s_cbranch_execz .LBB838_49
; %bb.44:
	s_movk_i32 s8, 0x80
	v_cmp_ne_u16_e32 vcc, s8, v34
	v_mov_b32_e32 v42, 0xffff8000
	s_and_saveexec_b64 s[8:9], vcc
	s_cbranch_execz .LBB838_48
; %bb.45:
	s_movk_i32 s10, 0x7f
	v_and_b32_e32 v51, 0x7f, v34
	v_cmp_ne_u32_e32 vcc, s10, v51
	v_mov_b32_e32 v42, 0x7f80
	s_and_saveexec_b64 s[10:11], vcc
	s_cbranch_execz .LBB838_47
; %bb.46:
	v_and_b32_e32 v42, 7, v34
	v_ffbh_u32_e32 v56, v42
	v_min_u32_e32 v58, 32, v56
	v_subrev_u32_e32 v56, 28, v58
	v_lshlrev_b64 v[56:57], v56, v[34:35]
	v_lshrrev_b32_e32 v55, 3, v51
	v_sub_u32_e32 v34, 29, v58
	v_and_b32_e32 v56, 7, v56
	v_cmp_gt_u32_e32 vcc, 8, v51
	v_cndmask_b32_e32 v34, v55, v34, vcc
	v_cndmask_b32_e32 v42, v42, v56, vcc
	v_lshlrev_b32_e32 v51, 16, v35
	v_bfrev_b32_e32 v55, 60
	v_lshlrev_b32_e32 v42, 20, v42
	v_and_b32_e32 v51, 0x80000000, v51
	v_lshl_add_u32 v34, v34, 23, v55
	v_or3_b32 v34, v51, v34, v42
	v_lshrrev_b32_e32 v42, 16, v34
.LBB838_47:
	s_or_b64 exec, exec, s[10:11]
.LBB838_48:
	s_or_b64 exec, exec, s[8:9]
.LBB838_49:
	s_or_b64 exec, exec, s[2:3]
	s_movk_i32 s2, 0xff
	v_and_b32_sdwa v51, v35, s2 dst_sel:DWORD dst_unused:UNUSED_PAD src0_sel:WORD_1 src1_sel:DWORD
	v_lshrrev_b32_e32 v34, 16, v35
	v_cmp_ne_u16_e32 vcc, 0, v51
	s_and_saveexec_b64 s[2:3], vcc
	s_cbranch_execz .LBB838_55
; %bb.50:
	s_movk_i32 s8, 0x80
	v_cmp_ne_u16_e32 vcc, s8, v51
	v_mov_b32_e32 v54, 0xffff8000
	s_and_saveexec_b64 s[8:9], vcc
	s_cbranch_execz .LBB838_54
; %bb.51:
	v_bfe_u32 v51, v35, 16, 7
	s_movk_i32 s10, 0x7f
	v_cmp_ne_u32_e32 vcc, s10, v51
	v_mov_b32_e32 v54, 0x7f80
	s_and_saveexec_b64 s[10:11], vcc
	s_cbranch_execz .LBB838_53
; %bb.52:
	v_and_b32_e32 v56, 7, v34
	v_ffbh_u32_e32 v54, v56
	v_min_u32_e32 v58, 32, v54
	v_subrev_u32_e32 v54, 28, v58
	v_lshlrev_b64 v[54:55], v54, v[34:35]
	v_and_b32_e32 v54, 7, v54
	v_cmp_gt_u32_e32 vcc, 8, v51
	v_lshrrev_b32_e32 v57, 3, v51
	v_sub_u32_e32 v34, 29, v58
	v_cndmask_b32_e32 v51, v56, v54, vcc
	v_mov_b32_e32 v54, 24
	v_cndmask_b32_e32 v34, v57, v34, vcc
	v_lshlrev_b32_sdwa v54, v54, v35 dst_sel:DWORD dst_unused:UNUSED_PAD src0_sel:DWORD src1_sel:WORD_1
	v_bfrev_b32_e32 v55, 60
	v_lshlrev_b32_e32 v51, 20, v51
	v_and_b32_e32 v54, 0x80000000, v54
	v_lshl_add_u32 v34, v34, 23, v55
	v_or3_b32 v34, v54, v34, v51
	v_lshrrev_b32_e32 v54, 16, v34
.LBB838_53:
	s_or_b64 exec, exec, s[10:11]
.LBB838_54:
	s_or_b64 exec, exec, s[8:9]
.LBB838_55:
	s_or_b64 exec, exec, s[2:3]
	s_mov_b32 s2, 0xffffff
	v_cmp_lt_u32_e32 vcc, s2, v35
	v_mov_b32_e32 v51, 0
	v_mov_b32_e32 v55, 0
	s_and_saveexec_b64 s[2:3], vcc
	s_cbranch_execz .LBB838_61
; %bb.56:
	v_lshrrev_b32_e32 v34, 24, v35
	s_movk_i32 s8, 0x80
	v_cmp_ne_u32_e32 vcc, s8, v34
	v_mov_b32_e32 v55, 0xffff8000
	s_and_saveexec_b64 s[8:9], vcc
	s_cbranch_execz .LBB838_60
; %bb.57:
	v_bfe_u32 v35, v35, 24, 7
	s_movk_i32 s10, 0x7f
	v_cmp_ne_u32_e32 vcc, s10, v35
	v_mov_b32_e32 v55, 0x7f80
	s_and_saveexec_b64 s[10:11], vcc
	s_cbranch_execz .LBB838_59
; %bb.58:
	v_and_b32_e32 v55, 7, v34
	v_ffbh_u32_e32 v56, v55
	v_min_u32_e32 v59, 32, v56
	v_subrev_u32_e32 v56, 28, v59
	v_lshlrev_b64 v[56:57], v56, v[34:35]
	v_lshrrev_b32_e32 v58, 3, v35
	v_sub_u32_e32 v57, 29, v59
	v_and_b32_e32 v56, 7, v56
	v_cmp_gt_u32_e32 vcc, 8, v35
	v_cndmask_b32_e32 v35, v58, v57, vcc
	v_cndmask_b32_e32 v55, v55, v56, vcc
	v_lshlrev_b32_e32 v34, 24, v34
	v_bfrev_b32_e32 v56, 60
	v_lshlrev_b32_e32 v55, 20, v55
	v_and_b32_e32 v34, 0x80000000, v34
	v_lshl_add_u32 v35, v35, 23, v56
	v_or3_b32 v34, v34, v35, v55
	v_lshrrev_b32_e32 v55, 16, v34
.LBB838_59:
	s_or_b64 exec, exec, s[10:11]
.LBB838_60:
	s_or_b64 exec, exec, s[8:9]
.LBB838_61:
	s_or_b64 exec, exec, s[2:3]
	s_mov_b32 s2, 0x5040100
	v_perm_b32 v35, v53, v45, s2
	v_perm_b32 v34, v44, v43, s2
	v_cmp_ne_u16_sdwa s[8:9], v36, v51 src0_sel:BYTE_0 src1_sel:DWORD
	s_nop 0
	v_mfma_f32_16x16x16bf16_1k v[56:59], v[34:35], v[26:27], 0
	v_perm_b32 v35, v55, v54, s2
	v_perm_b32 v34, v42, v52, s2
	s_nop 1
	v_mfma_f32_16x16x16bf16_1k v[42:45], v[34:35], v[28:29], v[56:59]
	s_and_saveexec_b64 s[2:3], s[8:9]
	s_cbranch_execz .LBB838_67
; %bb.62:
	s_movk_i32 s8, 0x80
	v_cmp_ne_u16_sdwa s[10:11], v36, s8 src0_sel:BYTE_0 src1_sel:DWORD
	v_mov_b32_e32 v51, 0xffff8000
	s_and_saveexec_b64 s[8:9], s[10:11]
	s_cbranch_execz .LBB838_66
; %bb.63:
	s_movk_i32 s10, 0x7f
	v_and_b32_e32 v34, 0x7f, v36
	v_cmp_ne_u32_e32 vcc, s10, v34
	v_mov_b32_e32 v51, 0x7f80
	s_and_saveexec_b64 s[10:11], vcc
	s_cbranch_execz .LBB838_65
; %bb.64:
	v_and_b32_e32 v35, 7, v36
	v_ffbh_u32_e32 v52, v35
	v_min_u32_e32 v54, 32, v52
	v_subrev_u32_e32 v52, 28, v54
	v_lshlrev_b64 v[52:53], v52, v[36:37]
	v_lshrrev_b32_e32 v51, 3, v34
	v_sub_u32_e32 v53, 29, v54
	v_and_b32_e32 v52, 7, v52
	v_cmp_gt_u32_e32 vcc, 8, v34
	v_cndmask_b32_e32 v34, v51, v53, vcc
	v_cndmask_b32_e32 v35, v35, v52, vcc
	v_lshlrev_b32_e32 v51, 24, v36
	v_bfrev_b32_e32 v52, 60
	v_lshlrev_b32_e32 v35, 20, v35
	v_and_b32_e32 v51, 0x80000000, v51
	v_lshl_add_u32 v34, v34, 23, v52
	v_or3_b32 v34, v51, v34, v35
	v_lshrrev_b32_e32 v51, 16, v34
.LBB838_65:
	s_or_b64 exec, exec, s[10:11]
.LBB838_66:
	s_or_b64 exec, exec, s[8:9]
.LBB838_67:
	s_or_b64 exec, exec, s[2:3]
	v_lshrrev_b16_e32 v34, 8, v36
	v_cmp_ne_u16_e32 vcc, 0, v34
	v_mov_b32_e32 v53, 0
	v_mov_b32_e32 v35, 0
	s_and_saveexec_b64 s[2:3], vcc
	s_cbranch_execz .LBB838_73
; %bb.68:
	s_movk_i32 s8, 0x80
	v_cmp_ne_u16_e32 vcc, s8, v34
	v_mov_b32_e32 v35, 0xffff8000
	s_and_saveexec_b64 s[8:9], vcc
	s_cbranch_execz .LBB838_72
; %bb.69:
	s_movk_i32 s10, 0x7f
	v_and_b32_e32 v52, 0x7f, v34
	v_cmp_ne_u32_e32 vcc, s10, v52
	v_mov_b32_e32 v35, 0x7f80
	s_and_saveexec_b64 s[10:11], vcc
	s_cbranch_execz .LBB838_71
; %bb.70:
	v_and_b32_e32 v54, 7, v34
	v_ffbh_u32_e32 v35, v54
	v_min_u32_e32 v56, 32, v35
	v_subrev_u32_e32 v35, 28, v56
	v_lshlrev_b64 v[34:35], v35, v[34:35]
	v_lshrrev_b32_e32 v55, 3, v52
	v_sub_u32_e32 v35, 29, v56
	v_and_b32_e32 v34, 7, v34
	v_cmp_gt_u32_e32 vcc, 8, v52
	v_cndmask_b32_e32 v35, v55, v35, vcc
	v_cndmask_b32_e32 v34, v54, v34, vcc
	v_lshlrev_b32_e32 v52, 16, v36
	v_bfrev_b32_e32 v54, 60
	v_lshlrev_b32_e32 v34, 20, v34
	v_and_b32_e32 v52, 0x80000000, v52
	v_lshl_add_u32 v35, v35, 23, v54
	v_or3_b32 v34, v52, v35, v34
	v_lshrrev_b32_e32 v35, 16, v34
.LBB838_71:
	s_or_b64 exec, exec, s[10:11]
.LBB838_72:
	s_or_b64 exec, exec, s[8:9]
.LBB838_73:
	s_or_b64 exec, exec, s[2:3]
	s_movk_i32 s2, 0xff
	v_and_b32_sdwa v52, v36, s2 dst_sel:DWORD dst_unused:UNUSED_PAD src0_sel:WORD_1 src1_sel:DWORD
	v_lshrrev_b32_e32 v34, 16, v36
	v_cmp_ne_u16_e32 vcc, 0, v52
	s_and_saveexec_b64 s[2:3], vcc
	s_cbranch_execz .LBB838_79
; %bb.74:
	s_movk_i32 s8, 0x80
	v_cmp_ne_u16_e32 vcc, s8, v52
	v_mov_b32_e32 v53, 0xffff8000
	s_and_saveexec_b64 s[8:9], vcc
	s_cbranch_execz .LBB838_78
; %bb.75:
	v_bfe_u32 v52, v36, 16, 7
	s_movk_i32 s10, 0x7f
	v_cmp_ne_u32_e32 vcc, s10, v52
	v_mov_b32_e32 v53, 0x7f80
	s_and_saveexec_b64 s[10:11], vcc
	s_cbranch_execz .LBB838_77
; %bb.76:
	v_and_b32_e32 v53, 7, v34
	v_ffbh_u32_e32 v54, v53
	v_min_u32_e32 v57, 32, v54
	v_subrev_u32_e32 v54, 28, v57
	v_lshlrev_b64 v[54:55], v54, v[34:35]
	v_and_b32_e32 v54, 7, v54
	v_cmp_gt_u32_e32 vcc, 8, v52
	v_lshrrev_b32_e32 v56, 3, v52
	v_sub_u32_e32 v34, 29, v57
	v_cndmask_b32_e32 v52, v53, v54, vcc
	v_mov_b32_e32 v53, 24
	v_cndmask_b32_e32 v34, v56, v34, vcc
	v_lshlrev_b32_sdwa v53, v53, v36 dst_sel:DWORD dst_unused:UNUSED_PAD src0_sel:DWORD src1_sel:WORD_1
	v_bfrev_b32_e32 v54, 60
	v_lshlrev_b32_e32 v52, 20, v52
	v_and_b32_e32 v53, 0x80000000, v53
	v_lshl_add_u32 v34, v34, 23, v54
	v_or3_b32 v34, v53, v34, v52
	v_lshrrev_b32_e32 v53, 16, v34
.LBB838_77:
	s_or_b64 exec, exec, s[10:11]
.LBB838_78:
	s_or_b64 exec, exec, s[8:9]
.LBB838_79:
	s_or_b64 exec, exec, s[2:3]
	s_mov_b32 s2, 0xffffff
	v_cmp_lt_u32_e32 vcc, s2, v36
	v_mov_b32_e32 v54, 0
	v_mov_b32_e32 v55, 0
	s_and_saveexec_b64 s[2:3], vcc
	s_cbranch_execz .LBB838_85
; %bb.80:
	v_lshrrev_b32_e32 v34, 24, v36
	s_movk_i32 s8, 0x80
	v_cmp_ne_u32_e32 vcc, s8, v34
	v_mov_b32_e32 v55, 0xffff8000
	s_and_saveexec_b64 s[8:9], vcc
	s_cbranch_execz .LBB838_84
; %bb.81:
	v_bfe_u32 v36, v36, 24, 7
	s_movk_i32 s10, 0x7f
	v_cmp_ne_u32_e32 vcc, s10, v36
	v_mov_b32_e32 v55, 0x7f80
	s_and_saveexec_b64 s[10:11], vcc
	s_cbranch_execz .LBB838_83
; %bb.82:
	v_and_b32_e32 v52, 7, v34
	v_ffbh_u32_e32 v56, v52
	v_min_u32_e32 v58, 32, v56
	v_subrev_u32_e32 v56, 28, v58
	v_lshlrev_b64 v[56:57], v56, v[34:35]
	v_lshrrev_b32_e32 v55, 3, v36
	v_sub_u32_e32 v57, 29, v58
	v_and_b32_e32 v56, 7, v56
	v_cmp_gt_u32_e32 vcc, 8, v36
	v_cndmask_b32_e32 v36, v55, v57, vcc
	v_cndmask_b32_e32 v52, v52, v56, vcc
	v_lshlrev_b32_e32 v34, 24, v34
	v_bfrev_b32_e32 v55, 60
	v_lshlrev_b32_e32 v52, 20, v52
	v_and_b32_e32 v34, 0x80000000, v34
	v_lshl_add_u32 v36, v36, 23, v55
	v_or3_b32 v34, v34, v36, v52
	v_lshrrev_b32_e32 v55, 16, v34
.LBB838_83:
	s_or_b64 exec, exec, s[10:11]
.LBB838_84:
	s_or_b64 exec, exec, s[8:9]
.LBB838_85:
	s_or_b64 exec, exec, s[2:3]
	v_cmp_ne_u16_sdwa s[8:9], v37, v54 src0_sel:BYTE_0 src1_sel:DWORD
	s_and_saveexec_b64 s[2:3], s[8:9]
	s_cbranch_execz .LBB838_91
; %bb.86:
	s_movk_i32 s8, 0x80
	v_cmp_ne_u16_sdwa s[10:11], v37, s8 src0_sel:BYTE_0 src1_sel:DWORD
	v_mov_b32_e32 v54, 0xffff8000
	s_and_saveexec_b64 s[8:9], s[10:11]
	s_cbranch_execz .LBB838_90
; %bb.87:
	s_movk_i32 s10, 0x7f
	v_and_b32_e32 v34, 0x7f, v37
	v_cmp_ne_u32_e32 vcc, s10, v34
	v_mov_b32_e32 v54, 0x7f80
	s_and_saveexec_b64 s[10:11], vcc
	s_cbranch_execz .LBB838_89
; %bb.88:
	v_and_b32_e32 v52, 7, v37
	v_ffbh_u32_e32 v56, v52
	v_min_u32_e32 v58, 32, v56
	v_mov_b32_e32 v36, v37
	v_subrev_u32_e32 v56, 28, v58
	v_lshlrev_b64 v[56:57], v56, v[36:37]
	v_lshrrev_b32_e32 v54, 3, v34
	v_sub_u32_e32 v36, 29, v58
	v_and_b32_e32 v56, 7, v56
	v_cmp_gt_u32_e32 vcc, 8, v34
	v_cndmask_b32_e32 v34, v54, v36, vcc
	v_cndmask_b32_e32 v36, v52, v56, vcc
	v_lshlrev_b32_e32 v52, 24, v37
	v_bfrev_b32_e32 v54, 60
	v_lshlrev_b32_e32 v36, 20, v36
	v_and_b32_e32 v52, 0x80000000, v52
	v_lshl_add_u32 v34, v34, 23, v54
	v_or3_b32 v34, v52, v34, v36
	v_lshrrev_b32_e32 v54, 16, v34
.LBB838_89:
	s_or_b64 exec, exec, s[10:11]
.LBB838_90:
	s_or_b64 exec, exec, s[8:9]
.LBB838_91:
	s_or_b64 exec, exec, s[2:3]
	v_lshrrev_b16_e32 v34, 8, v37
	v_cmp_ne_u16_e32 vcc, 0, v34
	v_mov_b32_e32 v56, 0
	v_mov_b32_e32 v36, 0
	s_and_saveexec_b64 s[2:3], vcc
	s_cbranch_execz .LBB838_97
; %bb.92:
	s_movk_i32 s8, 0x80
	v_cmp_ne_u16_e32 vcc, s8, v34
	v_mov_b32_e32 v36, 0xffff8000
	s_and_saveexec_b64 s[8:9], vcc
	s_cbranch_execz .LBB838_96
; %bb.93:
	s_movk_i32 s10, 0x7f
	v_and_b32_e32 v52, 0x7f, v34
	v_cmp_ne_u32_e32 vcc, s10, v52
	v_mov_b32_e32 v36, 0x7f80
	s_and_saveexec_b64 s[10:11], vcc
	s_cbranch_execz .LBB838_95
; %bb.94:
	v_and_b32_e32 v36, 7, v34
	v_ffbh_u32_e32 v58, v36
	v_min_u32_e32 v60, 32, v58
	v_subrev_u32_e32 v58, 28, v60
	v_lshlrev_b64 v[58:59], v58, v[34:35]
	v_lshrrev_b32_e32 v57, 3, v52
	v_sub_u32_e32 v34, 29, v60
	v_and_b32_e32 v58, 7, v58
	v_cmp_gt_u32_e32 vcc, 8, v52
	v_cndmask_b32_e32 v34, v57, v34, vcc
	v_cndmask_b32_e32 v36, v36, v58, vcc
	v_lshlrev_b32_e32 v52, 16, v37
	v_bfrev_b32_e32 v57, 60
	v_lshlrev_b32_e32 v36, 20, v36
	v_and_b32_e32 v52, 0x80000000, v52
	v_lshl_add_u32 v34, v34, 23, v57
	v_or3_b32 v34, v52, v34, v36
	v_lshrrev_b32_e32 v36, 16, v34
.LBB838_95:
	s_or_b64 exec, exec, s[10:11]
.LBB838_96:
	s_or_b64 exec, exec, s[8:9]
.LBB838_97:
	s_or_b64 exec, exec, s[2:3]
	s_movk_i32 s2, 0xff
	v_and_b32_sdwa v52, v37, s2 dst_sel:DWORD dst_unused:UNUSED_PAD src0_sel:WORD_1 src1_sel:DWORD
	v_lshrrev_b32_e32 v34, 16, v37
	v_cmp_ne_u16_e32 vcc, 0, v52
	s_and_saveexec_b64 s[2:3], vcc
	s_cbranch_execz .LBB838_103
; %bb.98:
	s_movk_i32 s8, 0x80
	v_cmp_ne_u16_e32 vcc, s8, v52
	v_mov_b32_e32 v56, 0xffff8000
	s_and_saveexec_b64 s[8:9], vcc
	s_cbranch_execz .LBB838_102
; %bb.99:
	v_bfe_u32 v52, v37, 16, 7
	s_movk_i32 s10, 0x7f
	v_cmp_ne_u32_e32 vcc, s10, v52
	v_mov_b32_e32 v56, 0x7f80
	s_and_saveexec_b64 s[10:11], vcc
	s_cbranch_execz .LBB838_101
; %bb.100:
	v_and_b32_e32 v58, 7, v34
	v_ffbh_u32_e32 v56, v58
	v_min_u32_e32 v60, 32, v56
	v_subrev_u32_e32 v56, 28, v60
	v_lshlrev_b64 v[56:57], v56, v[34:35]
	v_and_b32_e32 v56, 7, v56
	v_cmp_gt_u32_e32 vcc, 8, v52
	v_lshrrev_b32_e32 v59, 3, v52
	v_sub_u32_e32 v34, 29, v60
	v_cndmask_b32_e32 v52, v58, v56, vcc
	v_mov_b32_e32 v56, 24
	v_cndmask_b32_e32 v34, v59, v34, vcc
	v_lshlrev_b32_sdwa v56, v56, v37 dst_sel:DWORD dst_unused:UNUSED_PAD src0_sel:DWORD src1_sel:WORD_1
	v_bfrev_b32_e32 v57, 60
	v_lshlrev_b32_e32 v52, 20, v52
	v_and_b32_e32 v56, 0x80000000, v56
	v_lshl_add_u32 v34, v34, 23, v57
	v_or3_b32 v34, v56, v34, v52
	v_lshrrev_b32_e32 v56, 16, v34
.LBB838_101:
	s_or_b64 exec, exec, s[10:11]
.LBB838_102:
	s_or_b64 exec, exec, s[8:9]
.LBB838_103:
	s_or_b64 exec, exec, s[2:3]
	s_mov_b32 s2, 0xffffff
	v_cmp_lt_u32_e32 vcc, s2, v37
	v_mov_b32_e32 v52, 0
	v_mov_b32_e32 v57, 0
	s_and_saveexec_b64 s[2:3], vcc
	s_cbranch_execz .LBB838_109
; %bb.104:
	v_lshrrev_b32_e32 v34, 24, v37
	s_movk_i32 s8, 0x80
	v_cmp_ne_u32_e32 vcc, s8, v34
	v_mov_b32_e32 v57, 0xffff8000
	s_and_saveexec_b64 s[8:9], vcc
	s_cbranch_execz .LBB838_108
; %bb.105:
	v_bfe_u32 v37, v37, 24, 7
	s_movk_i32 s10, 0x7f
	v_cmp_ne_u32_e32 vcc, s10, v37
	v_mov_b32_e32 v57, 0x7f80
	s_and_saveexec_b64 s[10:11], vcc
	s_cbranch_execz .LBB838_107
; %bb.106:
	v_and_b32_e32 v57, 7, v34
	v_ffbh_u32_e32 v58, v57
	v_min_u32_e32 v61, 32, v58
	v_subrev_u32_e32 v58, 28, v61
	v_lshlrev_b64 v[58:59], v58, v[34:35]
	v_lshrrev_b32_e32 v60, 3, v37
	v_sub_u32_e32 v59, 29, v61
	v_and_b32_e32 v58, 7, v58
	v_cmp_gt_u32_e32 vcc, 8, v37
	v_cndmask_b32_e32 v37, v60, v59, vcc
	v_cndmask_b32_e32 v57, v57, v58, vcc
	v_lshlrev_b32_e32 v34, 24, v34
	v_bfrev_b32_e32 v58, 60
	v_lshlrev_b32_e32 v57, 20, v57
	v_and_b32_e32 v34, 0x80000000, v34
	v_lshl_add_u32 v37, v37, 23, v58
	v_or3_b32 v34, v34, v37, v57
	v_lshrrev_b32_e32 v57, 16, v34
.LBB838_107:
	s_or_b64 exec, exec, s[10:11]
.LBB838_108:
	s_or_b64 exec, exec, s[8:9]
.LBB838_109:
	s_or_b64 exec, exec, s[2:3]
	s_mov_b32 s2, 0x5040100
	v_perm_b32 v59, v55, v53, s2
	v_perm_b32 v58, v35, v51, s2
	;; [unrolled: 1-line block ×4, first 2 shown]
	v_cmp_ne_u16_sdwa s[8:9], v38, v52 src0_sel:BYTE_0 src1_sel:DWORD
	v_mfma_f32_16x16x16bf16_1k v[42:45], v[58:59], v[18:19], v[42:45]
	v_mfma_f32_16x16x16bf16_1k v[34:37], v[34:35], v[20:21], v[42:45]
	s_and_saveexec_b64 s[2:3], s[8:9]
	s_cbranch_execz .LBB838_115
; %bb.110:
	s_movk_i32 s8, 0x80
	v_cmp_ne_u16_sdwa s[10:11], v38, s8 src0_sel:BYTE_0 src1_sel:DWORD
	v_mov_b32_e32 v52, 0xffff8000
	s_and_saveexec_b64 s[8:9], s[10:11]
	s_cbranch_execz .LBB838_114
; %bb.111:
	s_movk_i32 s10, 0x7f
	s_nop 1
	v_and_b32_e32 v42, 0x7f, v38
	v_cmp_ne_u32_e32 vcc, s10, v42
	v_mov_b32_e32 v52, 0x7f80
	s_and_saveexec_b64 s[10:11], vcc
	s_cbranch_execz .LBB838_113
; %bb.112:
	v_and_b32_e32 v43, 7, v38
	v_ffbh_u32_e32 v44, v43
	v_min_u32_e32 v52, 32, v44
	v_subrev_u32_e32 v44, 28, v52
	v_lshlrev_b64 v[44:45], v44, v[38:39]
	v_lshrrev_b32_e32 v51, 3, v42
	v_sub_u32_e32 v45, 29, v52
	v_and_b32_e32 v44, 7, v44
	v_cmp_gt_u32_e32 vcc, 8, v42
	v_cndmask_b32_e32 v42, v51, v45, vcc
	v_cndmask_b32_e32 v43, v43, v44, vcc
	v_lshlrev_b32_e32 v44, 24, v38
	v_bfrev_b32_e32 v45, 60
	v_lshlrev_b32_e32 v43, 20, v43
	v_and_b32_e32 v44, 0x80000000, v44
	v_lshl_add_u32 v42, v42, 23, v45
	v_or3_b32 v42, v44, v42, v43
	v_lshrrev_b32_e32 v52, 16, v42
.LBB838_113:
	s_or_b64 exec, exec, s[10:11]
.LBB838_114:
	s_or_b64 exec, exec, s[8:9]
.LBB838_115:
	s_or_b64 exec, exec, s[2:3]
	s_nop 6
	v_lshrrev_b16_e32 v42, 8, v38
	v_cmp_ne_u16_e32 vcc, 0, v42
	v_mov_b32_e32 v44, 0
	v_mov_b32_e32 v43, 0
	s_and_saveexec_b64 s[2:3], vcc
	s_cbranch_execz .LBB838_121
; %bb.116:
	s_movk_i32 s8, 0x80
	v_cmp_ne_u16_e32 vcc, s8, v42
	v_mov_b32_e32 v43, 0xffff8000
	s_and_saveexec_b64 s[8:9], vcc
	s_cbranch_execz .LBB838_120
; %bb.117:
	s_movk_i32 s10, 0x7f
	v_and_b32_e32 v45, 0x7f, v42
	v_cmp_ne_u32_e32 vcc, s10, v45
	v_mov_b32_e32 v43, 0x7f80
	s_and_saveexec_b64 s[10:11], vcc
	s_cbranch_execz .LBB838_119
; %bb.118:
	v_and_b32_e32 v51, 7, v42
	v_ffbh_u32_e32 v43, v51
	v_min_u32_e32 v54, 32, v43
	v_subrev_u32_e32 v43, 28, v54
	v_lshlrev_b64 v[42:43], v43, v[42:43]
	v_lshrrev_b32_e32 v53, 3, v45
	v_sub_u32_e32 v43, 29, v54
	v_and_b32_e32 v42, 7, v42
	v_cmp_gt_u32_e32 vcc, 8, v45
	v_cndmask_b32_e32 v43, v53, v43, vcc
	v_cndmask_b32_e32 v42, v51, v42, vcc
	v_lshlrev_b32_e32 v45, 16, v38
	v_bfrev_b32_e32 v51, 60
	v_lshlrev_b32_e32 v42, 20, v42
	v_and_b32_e32 v45, 0x80000000, v45
	v_lshl_add_u32 v43, v43, 23, v51
	v_or3_b32 v42, v45, v43, v42
	v_lshrrev_b32_e32 v43, 16, v42
.LBB838_119:
	s_or_b64 exec, exec, s[10:11]
.LBB838_120:
	s_or_b64 exec, exec, s[8:9]
.LBB838_121:
	s_or_b64 exec, exec, s[2:3]
	s_movk_i32 s2, 0xff
	v_and_b32_sdwa v45, v38, s2 dst_sel:DWORD dst_unused:UNUSED_PAD src0_sel:WORD_1 src1_sel:DWORD
	v_lshrrev_b32_e32 v42, 16, v38
	v_cmp_ne_u16_e32 vcc, 0, v45
	s_and_saveexec_b64 s[2:3], vcc
	s_cbranch_execz .LBB838_127
; %bb.122:
	s_movk_i32 s8, 0x80
	v_cmp_ne_u16_e32 vcc, s8, v45
	v_mov_b32_e32 v44, 0xffff8000
	s_and_saveexec_b64 s[8:9], vcc
	s_cbranch_execz .LBB838_126
; %bb.123:
	v_bfe_u32 v45, v38, 16, 7
	s_movk_i32 s10, 0x7f
	v_cmp_ne_u32_e32 vcc, s10, v45
	v_mov_b32_e32 v44, 0x7f80
	s_and_saveexec_b64 s[10:11], vcc
	s_cbranch_execz .LBB838_125
; %bb.124:
	v_and_b32_e32 v44, 7, v42
	v_ffbh_u32_e32 v53, v44
	v_min_u32_e32 v53, 32, v53
	v_subrev_u32_e32 v54, 28, v53
	v_lshlrev_b64 v[54:55], v54, v[42:43]
	v_lshrrev_b32_e32 v51, 3, v45
	v_sub_u32_e32 v42, 29, v53
	v_and_b32_e32 v53, 7, v54
	v_cmp_gt_u32_e32 vcc, 8, v45
	v_mov_b32_e32 v45, 24
	v_cndmask_b32_e32 v42, v51, v42, vcc
	v_cndmask_b32_e32 v44, v44, v53, vcc
	v_lshlrev_b32_sdwa v45, v45, v38 dst_sel:DWORD dst_unused:UNUSED_PAD src0_sel:DWORD src1_sel:WORD_1
	v_bfrev_b32_e32 v51, 60
	v_lshlrev_b32_e32 v44, 20, v44
	v_and_b32_e32 v45, 0x80000000, v45
	v_lshl_add_u32 v42, v42, 23, v51
	v_or3_b32 v42, v45, v42, v44
	v_lshrrev_b32_e32 v44, 16, v42
.LBB838_125:
	s_or_b64 exec, exec, s[10:11]
.LBB838_126:
	s_or_b64 exec, exec, s[8:9]
.LBB838_127:
	s_or_b64 exec, exec, s[2:3]
	s_mov_b32 s2, 0xffffff
	v_cmp_lt_u32_e32 vcc, s2, v38
	v_mov_b32_e32 v45, 0
	v_mov_b32_e32 v53, 0
	s_and_saveexec_b64 s[2:3], vcc
	s_cbranch_execz .LBB838_133
; %bb.128:
	v_lshrrev_b32_e32 v42, 24, v38
	s_movk_i32 s8, 0x80
	v_cmp_ne_u32_e32 vcc, s8, v42
	v_mov_b32_e32 v53, 0xffff8000
	s_and_saveexec_b64 s[8:9], vcc
	s_cbranch_execz .LBB838_132
; %bb.129:
	v_bfe_u32 v38, v38, 24, 7
	s_movk_i32 s10, 0x7f
	v_cmp_ne_u32_e32 vcc, s10, v38
	v_mov_b32_e32 v53, 0x7f80
	s_and_saveexec_b64 s[10:11], vcc
	s_cbranch_execz .LBB838_131
; %bb.130:
	v_and_b32_e32 v51, 7, v42
	v_ffbh_u32_e32 v54, v51
	v_min_u32_e32 v56, 32, v54
	v_subrev_u32_e32 v54, 28, v56
	v_lshlrev_b64 v[54:55], v54, v[42:43]
	v_lshrrev_b32_e32 v53, 3, v38
	v_sub_u32_e32 v55, 29, v56
	v_and_b32_e32 v54, 7, v54
	v_cmp_gt_u32_e32 vcc, 8, v38
	v_cndmask_b32_e32 v38, v53, v55, vcc
	v_cndmask_b32_e32 v51, v51, v54, vcc
	v_lshlrev_b32_e32 v42, 24, v42
	v_bfrev_b32_e32 v53, 60
	v_lshlrev_b32_e32 v51, 20, v51
	v_and_b32_e32 v42, 0x80000000, v42
	v_lshl_add_u32 v38, v38, 23, v53
	v_or3_b32 v38, v42, v38, v51
	v_lshrrev_b32_e32 v53, 16, v38
.LBB838_131:
	s_or_b64 exec, exec, s[10:11]
.LBB838_132:
	s_or_b64 exec, exec, s[8:9]
.LBB838_133:
	s_or_b64 exec, exec, s[2:3]
	v_cmp_ne_u16_sdwa s[8:9], v39, v45 src0_sel:BYTE_0 src1_sel:DWORD
	s_and_saveexec_b64 s[2:3], s[8:9]
	s_cbranch_execz .LBB838_139
; %bb.134:
	s_movk_i32 s8, 0x80
	v_cmp_ne_u16_sdwa s[10:11], v39, s8 src0_sel:BYTE_0 src1_sel:DWORD
	v_mov_b32_e32 v45, 0xffff8000
	s_and_saveexec_b64 s[8:9], s[10:11]
	s_cbranch_execz .LBB838_138
; %bb.135:
	s_movk_i32 s10, 0x7f
	v_and_b32_e32 v38, 0x7f, v39
	v_cmp_ne_u32_e32 vcc, s10, v38
	v_mov_b32_e32 v45, 0x7f80
	s_and_saveexec_b64 s[10:11], vcc
	s_cbranch_execz .LBB838_137
; %bb.136:
	v_and_b32_e32 v45, 7, v39
	v_ffbh_u32_e32 v54, v45
	v_min_u32_e32 v56, 32, v54
	v_mov_b32_e32 v42, v39
	v_subrev_u32_e32 v54, 28, v56
	v_lshlrev_b64 v[54:55], v54, v[42:43]
	v_lshrrev_b32_e32 v51, 3, v38
	v_sub_u32_e32 v42, 29, v56
	v_and_b32_e32 v54, 7, v54
	v_cmp_gt_u32_e32 vcc, 8, v38
	v_cndmask_b32_e32 v38, v51, v42, vcc
	v_cndmask_b32_e32 v42, v45, v54, vcc
	v_lshlrev_b32_e32 v45, 24, v39
	v_bfrev_b32_e32 v51, 60
	v_lshlrev_b32_e32 v42, 20, v42
	v_and_b32_e32 v45, 0x80000000, v45
	v_lshl_add_u32 v38, v38, 23, v51
	v_or3_b32 v38, v45, v38, v42
	v_lshrrev_b32_e32 v45, 16, v38
.LBB838_137:
	s_or_b64 exec, exec, s[10:11]
.LBB838_138:
	s_or_b64 exec, exec, s[8:9]
.LBB838_139:
	s_or_b64 exec, exec, s[2:3]
	v_lshrrev_b16_e32 v38, 8, v39
	v_cmp_ne_u16_e32 vcc, 0, v38
	v_mov_b32_e32 v54, 0
	v_mov_b32_e32 v42, 0
	s_and_saveexec_b64 s[2:3], vcc
	s_cbranch_execz .LBB838_145
; %bb.140:
	s_movk_i32 s8, 0x80
	v_cmp_ne_u16_e32 vcc, s8, v38
	v_mov_b32_e32 v42, 0xffff8000
	s_and_saveexec_b64 s[8:9], vcc
	s_cbranch_execz .LBB838_144
; %bb.141:
	s_movk_i32 s10, 0x7f
	v_and_b32_e32 v51, 0x7f, v38
	v_cmp_ne_u32_e32 vcc, s10, v51
	v_mov_b32_e32 v42, 0x7f80
	s_and_saveexec_b64 s[10:11], vcc
	s_cbranch_execz .LBB838_143
; %bb.142:
	v_and_b32_e32 v42, 7, v38
	v_ffbh_u32_e32 v56, v42
	v_min_u32_e32 v58, 32, v56
	v_subrev_u32_e32 v56, 28, v58
	v_lshlrev_b64 v[56:57], v56, v[38:39]
	v_lshrrev_b32_e32 v55, 3, v51
	v_sub_u32_e32 v38, 29, v58
	v_and_b32_e32 v56, 7, v56
	v_cmp_gt_u32_e32 vcc, 8, v51
	v_cndmask_b32_e32 v38, v55, v38, vcc
	v_cndmask_b32_e32 v42, v42, v56, vcc
	v_lshlrev_b32_e32 v51, 16, v39
	v_bfrev_b32_e32 v55, 60
	v_lshlrev_b32_e32 v42, 20, v42
	v_and_b32_e32 v51, 0x80000000, v51
	v_lshl_add_u32 v38, v38, 23, v55
	v_or3_b32 v38, v51, v38, v42
	v_lshrrev_b32_e32 v42, 16, v38
.LBB838_143:
	s_or_b64 exec, exec, s[10:11]
.LBB838_144:
	s_or_b64 exec, exec, s[8:9]
.LBB838_145:
	s_or_b64 exec, exec, s[2:3]
	s_movk_i32 s2, 0xff
	v_and_b32_sdwa v51, v39, s2 dst_sel:DWORD dst_unused:UNUSED_PAD src0_sel:WORD_1 src1_sel:DWORD
	v_lshrrev_b32_e32 v38, 16, v39
	v_cmp_ne_u16_e32 vcc, 0, v51
	s_and_saveexec_b64 s[2:3], vcc
	s_cbranch_execz .LBB838_151
; %bb.146:
	s_movk_i32 s8, 0x80
	v_cmp_ne_u16_e32 vcc, s8, v51
	v_mov_b32_e32 v54, 0xffff8000
	s_and_saveexec_b64 s[8:9], vcc
	s_cbranch_execz .LBB838_150
; %bb.147:
	v_bfe_u32 v51, v39, 16, 7
	s_movk_i32 s10, 0x7f
	v_cmp_ne_u32_e32 vcc, s10, v51
	v_mov_b32_e32 v54, 0x7f80
	s_and_saveexec_b64 s[10:11], vcc
	s_cbranch_execz .LBB838_149
; %bb.148:
	v_and_b32_e32 v56, 7, v38
	v_ffbh_u32_e32 v54, v56
	v_min_u32_e32 v58, 32, v54
	v_subrev_u32_e32 v54, 28, v58
	v_lshlrev_b64 v[54:55], v54, v[38:39]
	v_and_b32_e32 v54, 7, v54
	v_cmp_gt_u32_e32 vcc, 8, v51
	v_lshrrev_b32_e32 v57, 3, v51
	v_sub_u32_e32 v38, 29, v58
	v_cndmask_b32_e32 v51, v56, v54, vcc
	v_mov_b32_e32 v54, 24
	v_cndmask_b32_e32 v38, v57, v38, vcc
	v_lshlrev_b32_sdwa v54, v54, v39 dst_sel:DWORD dst_unused:UNUSED_PAD src0_sel:DWORD src1_sel:WORD_1
	v_bfrev_b32_e32 v55, 60
	v_lshlrev_b32_e32 v51, 20, v51
	v_and_b32_e32 v54, 0x80000000, v54
	v_lshl_add_u32 v38, v38, 23, v55
	v_or3_b32 v38, v54, v38, v51
	v_lshrrev_b32_e32 v54, 16, v38
.LBB838_149:
	s_or_b64 exec, exec, s[10:11]
.LBB838_150:
	s_or_b64 exec, exec, s[8:9]
.LBB838_151:
	s_or_b64 exec, exec, s[2:3]
	s_mov_b32 s2, 0xffffff
	v_cmp_lt_u32_e32 vcc, s2, v39
	v_mov_b32_e32 v51, 0
	v_mov_b32_e32 v55, 0
	s_and_saveexec_b64 s[2:3], vcc
	s_cbranch_execz .LBB838_157
; %bb.152:
	v_lshrrev_b32_e32 v38, 24, v39
	s_movk_i32 s8, 0x80
	v_cmp_ne_u32_e32 vcc, s8, v38
	v_mov_b32_e32 v55, 0xffff8000
	s_and_saveexec_b64 s[8:9], vcc
	s_cbranch_execz .LBB838_156
; %bb.153:
	v_bfe_u32 v39, v39, 24, 7
	s_movk_i32 s10, 0x7f
	v_cmp_ne_u32_e32 vcc, s10, v39
	v_mov_b32_e32 v55, 0x7f80
	s_and_saveexec_b64 s[10:11], vcc
	s_cbranch_execz .LBB838_155
; %bb.154:
	v_and_b32_e32 v55, 7, v38
	v_ffbh_u32_e32 v56, v55
	v_min_u32_e32 v59, 32, v56
	v_subrev_u32_e32 v56, 28, v59
	v_lshlrev_b64 v[56:57], v56, v[38:39]
	v_lshrrev_b32_e32 v58, 3, v39
	v_sub_u32_e32 v57, 29, v59
	v_and_b32_e32 v56, 7, v56
	v_cmp_gt_u32_e32 vcc, 8, v39
	v_cndmask_b32_e32 v39, v58, v57, vcc
	v_cndmask_b32_e32 v55, v55, v56, vcc
	v_lshlrev_b32_e32 v38, 24, v38
	v_bfrev_b32_e32 v56, 60
	v_lshlrev_b32_e32 v55, 20, v55
	v_and_b32_e32 v38, 0x80000000, v38
	v_lshl_add_u32 v39, v39, 23, v56
	v_or3_b32 v38, v38, v39, v55
	v_lshrrev_b32_e32 v55, 16, v38
.LBB838_155:
	s_or_b64 exec, exec, s[10:11]
.LBB838_156:
	s_or_b64 exec, exec, s[8:9]
.LBB838_157:
	s_or_b64 exec, exec, s[2:3]
	s_mov_b32 s2, 0x5040100
	v_perm_b32 v39, v53, v44, s2
	v_perm_b32 v38, v43, v52, s2
	v_cmp_ne_u16_sdwa s[8:9], v40, v51 src0_sel:BYTE_0 src1_sel:DWORD
	s_nop 0
	v_mfma_f32_16x16x16bf16_1k v[56:59], v[38:39], v[26:27], 0
	v_perm_b32 v39, v55, v54, s2
	v_perm_b32 v38, v42, v45, s2
	s_nop 1
	v_mfma_f32_16x16x16bf16_1k v[42:45], v[38:39], v[28:29], v[56:59]
	s_and_saveexec_b64 s[2:3], s[8:9]
	s_cbranch_execz .LBB838_163
; %bb.158:
	s_movk_i32 s8, 0x80
	v_cmp_ne_u16_sdwa s[10:11], v40, s8 src0_sel:BYTE_0 src1_sel:DWORD
	v_mov_b32_e32 v51, 0xffff8000
	s_and_saveexec_b64 s[8:9], s[10:11]
	s_cbranch_execz .LBB838_162
; %bb.159:
	s_movk_i32 s10, 0x7f
	v_and_b32_e32 v38, 0x7f, v40
	v_cmp_ne_u32_e32 vcc, s10, v38
	v_mov_b32_e32 v51, 0x7f80
	s_and_saveexec_b64 s[10:11], vcc
	s_cbranch_execz .LBB838_161
; %bb.160:
	v_and_b32_e32 v39, 7, v40
	v_ffbh_u32_e32 v52, v39
	v_min_u32_e32 v54, 32, v52
	v_subrev_u32_e32 v52, 28, v54
	v_lshlrev_b64 v[52:53], v52, v[40:41]
	v_lshrrev_b32_e32 v51, 3, v38
	v_sub_u32_e32 v53, 29, v54
	v_and_b32_e32 v52, 7, v52
	v_cmp_gt_u32_e32 vcc, 8, v38
	v_cndmask_b32_e32 v38, v51, v53, vcc
	v_cndmask_b32_e32 v39, v39, v52, vcc
	v_lshlrev_b32_e32 v51, 24, v40
	v_bfrev_b32_e32 v52, 60
	v_lshlrev_b32_e32 v39, 20, v39
	v_and_b32_e32 v51, 0x80000000, v51
	v_lshl_add_u32 v38, v38, 23, v52
	v_or3_b32 v38, v51, v38, v39
	v_lshrrev_b32_e32 v51, 16, v38
.LBB838_161:
	s_or_b64 exec, exec, s[10:11]
.LBB838_162:
	s_or_b64 exec, exec, s[8:9]
.LBB838_163:
	s_or_b64 exec, exec, s[2:3]
	v_lshrrev_b16_e32 v38, 8, v40
	v_cmp_ne_u16_e32 vcc, 0, v38
	v_mov_b32_e32 v53, 0
	v_mov_b32_e32 v39, 0
	s_and_saveexec_b64 s[2:3], vcc
	s_cbranch_execz .LBB838_169
; %bb.164:
	s_movk_i32 s8, 0x80
	v_cmp_ne_u16_e32 vcc, s8, v38
	v_mov_b32_e32 v39, 0xffff8000
	s_and_saveexec_b64 s[8:9], vcc
	s_cbranch_execz .LBB838_168
; %bb.165:
	s_movk_i32 s10, 0x7f
	v_and_b32_e32 v52, 0x7f, v38
	v_cmp_ne_u32_e32 vcc, s10, v52
	v_mov_b32_e32 v39, 0x7f80
	s_and_saveexec_b64 s[10:11], vcc
	s_cbranch_execz .LBB838_167
; %bb.166:
	v_and_b32_e32 v54, 7, v38
	v_ffbh_u32_e32 v39, v54
	v_min_u32_e32 v56, 32, v39
	v_subrev_u32_e32 v39, 28, v56
	v_lshlrev_b64 v[38:39], v39, v[38:39]
	v_lshrrev_b32_e32 v55, 3, v52
	v_sub_u32_e32 v39, 29, v56
	v_and_b32_e32 v38, 7, v38
	v_cmp_gt_u32_e32 vcc, 8, v52
	v_cndmask_b32_e32 v39, v55, v39, vcc
	v_cndmask_b32_e32 v38, v54, v38, vcc
	v_lshlrev_b32_e32 v52, 16, v40
	v_bfrev_b32_e32 v54, 60
	v_lshlrev_b32_e32 v38, 20, v38
	v_and_b32_e32 v52, 0x80000000, v52
	v_lshl_add_u32 v39, v39, 23, v54
	v_or3_b32 v38, v52, v39, v38
	v_lshrrev_b32_e32 v39, 16, v38
.LBB838_167:
	s_or_b64 exec, exec, s[10:11]
.LBB838_168:
	s_or_b64 exec, exec, s[8:9]
.LBB838_169:
	s_or_b64 exec, exec, s[2:3]
	s_movk_i32 s2, 0xff
	v_and_b32_sdwa v52, v40, s2 dst_sel:DWORD dst_unused:UNUSED_PAD src0_sel:WORD_1 src1_sel:DWORD
	v_lshrrev_b32_e32 v38, 16, v40
	v_cmp_ne_u16_e32 vcc, 0, v52
	s_and_saveexec_b64 s[2:3], vcc
	s_cbranch_execz .LBB838_175
; %bb.170:
	s_movk_i32 s8, 0x80
	v_cmp_ne_u16_e32 vcc, s8, v52
	v_mov_b32_e32 v53, 0xffff8000
	s_and_saveexec_b64 s[8:9], vcc
	s_cbranch_execz .LBB838_174
; %bb.171:
	v_bfe_u32 v52, v40, 16, 7
	s_movk_i32 s10, 0x7f
	v_cmp_ne_u32_e32 vcc, s10, v52
	v_mov_b32_e32 v53, 0x7f80
	s_and_saveexec_b64 s[10:11], vcc
	s_cbranch_execz .LBB838_173
; %bb.172:
	v_and_b32_e32 v53, 7, v38
	v_ffbh_u32_e32 v54, v53
	v_min_u32_e32 v57, 32, v54
	v_subrev_u32_e32 v54, 28, v57
	v_lshlrev_b64 v[54:55], v54, v[38:39]
	v_and_b32_e32 v54, 7, v54
	v_cmp_gt_u32_e32 vcc, 8, v52
	v_lshrrev_b32_e32 v56, 3, v52
	v_sub_u32_e32 v38, 29, v57
	v_cndmask_b32_e32 v52, v53, v54, vcc
	v_mov_b32_e32 v53, 24
	v_cndmask_b32_e32 v38, v56, v38, vcc
	v_lshlrev_b32_sdwa v53, v53, v40 dst_sel:DWORD dst_unused:UNUSED_PAD src0_sel:DWORD src1_sel:WORD_1
	v_bfrev_b32_e32 v54, 60
	v_lshlrev_b32_e32 v52, 20, v52
	v_and_b32_e32 v53, 0x80000000, v53
	v_lshl_add_u32 v38, v38, 23, v54
	v_or3_b32 v38, v53, v38, v52
	v_lshrrev_b32_e32 v53, 16, v38
.LBB838_173:
	s_or_b64 exec, exec, s[10:11]
.LBB838_174:
	s_or_b64 exec, exec, s[8:9]
.LBB838_175:
	s_or_b64 exec, exec, s[2:3]
	s_mov_b32 s2, 0xffffff
	v_cmp_lt_u32_e32 vcc, s2, v40
	v_mov_b32_e32 v54, 0
	v_mov_b32_e32 v55, 0
	s_and_saveexec_b64 s[2:3], vcc
	s_cbranch_execz .LBB838_181
; %bb.176:
	v_lshrrev_b32_e32 v38, 24, v40
	s_movk_i32 s8, 0x80
	v_cmp_ne_u32_e32 vcc, s8, v38
	v_mov_b32_e32 v55, 0xffff8000
	s_and_saveexec_b64 s[8:9], vcc
	s_cbranch_execz .LBB838_180
; %bb.177:
	v_bfe_u32 v40, v40, 24, 7
	s_movk_i32 s10, 0x7f
	v_cmp_ne_u32_e32 vcc, s10, v40
	v_mov_b32_e32 v55, 0x7f80
	s_and_saveexec_b64 s[10:11], vcc
	s_cbranch_execz .LBB838_179
; %bb.178:
	v_and_b32_e32 v52, 7, v38
	v_ffbh_u32_e32 v56, v52
	v_min_u32_e32 v58, 32, v56
	v_subrev_u32_e32 v56, 28, v58
	v_lshlrev_b64 v[56:57], v56, v[38:39]
	v_lshrrev_b32_e32 v55, 3, v40
	v_sub_u32_e32 v57, 29, v58
	v_and_b32_e32 v56, 7, v56
	v_cmp_gt_u32_e32 vcc, 8, v40
	v_cndmask_b32_e32 v40, v55, v57, vcc
	v_cndmask_b32_e32 v52, v52, v56, vcc
	v_lshlrev_b32_e32 v38, 24, v38
	v_bfrev_b32_e32 v55, 60
	v_lshlrev_b32_e32 v52, 20, v52
	v_and_b32_e32 v38, 0x80000000, v38
	v_lshl_add_u32 v40, v40, 23, v55
	v_or3_b32 v38, v38, v40, v52
	v_lshrrev_b32_e32 v55, 16, v38
.LBB838_179:
	s_or_b64 exec, exec, s[10:11]
.LBB838_180:
	s_or_b64 exec, exec, s[8:9]
.LBB838_181:
	s_or_b64 exec, exec, s[2:3]
	v_cmp_ne_u16_sdwa s[8:9], v41, v54 src0_sel:BYTE_0 src1_sel:DWORD
	s_and_saveexec_b64 s[2:3], s[8:9]
	s_cbranch_execz .LBB838_187
; %bb.182:
	s_movk_i32 s8, 0x80
	v_cmp_ne_u16_sdwa s[10:11], v41, s8 src0_sel:BYTE_0 src1_sel:DWORD
	v_mov_b32_e32 v54, 0xffff8000
	s_and_saveexec_b64 s[8:9], s[10:11]
	s_cbranch_execz .LBB838_186
; %bb.183:
	s_movk_i32 s10, 0x7f
	v_and_b32_e32 v38, 0x7f, v41
	v_cmp_ne_u32_e32 vcc, s10, v38
	v_mov_b32_e32 v54, 0x7f80
	s_and_saveexec_b64 s[10:11], vcc
	s_cbranch_execz .LBB838_185
; %bb.184:
	v_and_b32_e32 v52, 7, v41
	v_ffbh_u32_e32 v56, v52
	v_min_u32_e32 v58, 32, v56
	v_mov_b32_e32 v40, v41
	v_subrev_u32_e32 v56, 28, v58
	v_lshlrev_b64 v[56:57], v56, v[40:41]
	v_lshrrev_b32_e32 v54, 3, v38
	v_sub_u32_e32 v40, 29, v58
	v_and_b32_e32 v56, 7, v56
	v_cmp_gt_u32_e32 vcc, 8, v38
	v_cndmask_b32_e32 v38, v54, v40, vcc
	v_cndmask_b32_e32 v40, v52, v56, vcc
	v_lshlrev_b32_e32 v52, 24, v41
	v_bfrev_b32_e32 v54, 60
	v_lshlrev_b32_e32 v40, 20, v40
	v_and_b32_e32 v52, 0x80000000, v52
	v_lshl_add_u32 v38, v38, 23, v54
	v_or3_b32 v38, v52, v38, v40
	v_lshrrev_b32_e32 v54, 16, v38
.LBB838_185:
	s_or_b64 exec, exec, s[10:11]
.LBB838_186:
	s_or_b64 exec, exec, s[8:9]
.LBB838_187:
	s_or_b64 exec, exec, s[2:3]
	v_lshrrev_b16_e32 v38, 8, v41
	v_cmp_ne_u16_e32 vcc, 0, v38
	v_mov_b32_e32 v56, 0
	v_mov_b32_e32 v40, 0
	s_and_saveexec_b64 s[2:3], vcc
	s_cbranch_execz .LBB838_193
; %bb.188:
	s_movk_i32 s8, 0x80
	v_cmp_ne_u16_e32 vcc, s8, v38
	v_mov_b32_e32 v40, 0xffff8000
	s_and_saveexec_b64 s[8:9], vcc
	s_cbranch_execz .LBB838_192
; %bb.189:
	s_movk_i32 s10, 0x7f
	v_and_b32_e32 v52, 0x7f, v38
	v_cmp_ne_u32_e32 vcc, s10, v52
	v_mov_b32_e32 v40, 0x7f80
	s_and_saveexec_b64 s[10:11], vcc
	s_cbranch_execz .LBB838_191
; %bb.190:
	v_and_b32_e32 v40, 7, v38
	v_ffbh_u32_e32 v58, v40
	v_min_u32_e32 v60, 32, v58
	v_subrev_u32_e32 v58, 28, v60
	v_lshlrev_b64 v[58:59], v58, v[38:39]
	v_lshrrev_b32_e32 v57, 3, v52
	v_sub_u32_e32 v38, 29, v60
	v_and_b32_e32 v58, 7, v58
	v_cmp_gt_u32_e32 vcc, 8, v52
	v_cndmask_b32_e32 v38, v57, v38, vcc
	v_cndmask_b32_e32 v40, v40, v58, vcc
	v_lshlrev_b32_e32 v52, 16, v41
	v_bfrev_b32_e32 v57, 60
	v_lshlrev_b32_e32 v40, 20, v40
	v_and_b32_e32 v52, 0x80000000, v52
	v_lshl_add_u32 v38, v38, 23, v57
	v_or3_b32 v38, v52, v38, v40
	v_lshrrev_b32_e32 v40, 16, v38
.LBB838_191:
	s_or_b64 exec, exec, s[10:11]
.LBB838_192:
	s_or_b64 exec, exec, s[8:9]
.LBB838_193:
	s_or_b64 exec, exec, s[2:3]
	s_movk_i32 s2, 0xff
	v_and_b32_sdwa v52, v41, s2 dst_sel:DWORD dst_unused:UNUSED_PAD src0_sel:WORD_1 src1_sel:DWORD
	v_lshrrev_b32_e32 v38, 16, v41
	v_cmp_ne_u16_e32 vcc, 0, v52
	s_and_saveexec_b64 s[2:3], vcc
	s_cbranch_execz .LBB838_199
; %bb.194:
	s_movk_i32 s8, 0x80
	v_cmp_ne_u16_e32 vcc, s8, v52
	v_mov_b32_e32 v56, 0xffff8000
	s_and_saveexec_b64 s[8:9], vcc
	s_cbranch_execz .LBB838_198
; %bb.195:
	v_bfe_u32 v52, v41, 16, 7
	s_movk_i32 s10, 0x7f
	v_cmp_ne_u32_e32 vcc, s10, v52
	v_mov_b32_e32 v56, 0x7f80
	s_and_saveexec_b64 s[10:11], vcc
	s_cbranch_execz .LBB838_197
; %bb.196:
	v_and_b32_e32 v58, 7, v38
	v_ffbh_u32_e32 v56, v58
	v_min_u32_e32 v60, 32, v56
	v_subrev_u32_e32 v56, 28, v60
	v_lshlrev_b64 v[56:57], v56, v[38:39]
	v_and_b32_e32 v56, 7, v56
	v_cmp_gt_u32_e32 vcc, 8, v52
	v_lshrrev_b32_e32 v59, 3, v52
	v_sub_u32_e32 v38, 29, v60
	v_cndmask_b32_e32 v52, v58, v56, vcc
	v_mov_b32_e32 v56, 24
	v_cndmask_b32_e32 v38, v59, v38, vcc
	v_lshlrev_b32_sdwa v56, v56, v41 dst_sel:DWORD dst_unused:UNUSED_PAD src0_sel:DWORD src1_sel:WORD_1
	v_bfrev_b32_e32 v57, 60
	v_lshlrev_b32_e32 v52, 20, v52
	v_and_b32_e32 v56, 0x80000000, v56
	v_lshl_add_u32 v38, v38, 23, v57
	v_or3_b32 v38, v56, v38, v52
	v_lshrrev_b32_e32 v56, 16, v38
.LBB838_197:
	s_or_b64 exec, exec, s[10:11]
.LBB838_198:
	s_or_b64 exec, exec, s[8:9]
.LBB838_199:
	s_or_b64 exec, exec, s[2:3]
	s_mov_b32 s2, 0xffffff
	v_cmp_lt_u32_e32 vcc, s2, v41
	v_mov_b32_e32 v52, 0
	v_mov_b32_e32 v57, 0
	s_and_saveexec_b64 s[2:3], vcc
	s_cbranch_execz .LBB838_205
; %bb.200:
	v_lshrrev_b32_e32 v38, 24, v41
	s_movk_i32 s8, 0x80
	v_cmp_ne_u32_e32 vcc, s8, v38
	v_mov_b32_e32 v57, 0xffff8000
	s_and_saveexec_b64 s[8:9], vcc
	s_cbranch_execz .LBB838_204
; %bb.201:
	v_bfe_u32 v41, v41, 24, 7
	s_movk_i32 s10, 0x7f
	v_cmp_ne_u32_e32 vcc, s10, v41
	v_mov_b32_e32 v57, 0x7f80
	s_and_saveexec_b64 s[10:11], vcc
	s_cbranch_execz .LBB838_203
; %bb.202:
	v_and_b32_e32 v57, 7, v38
	v_ffbh_u32_e32 v58, v57
	v_min_u32_e32 v61, 32, v58
	v_subrev_u32_e32 v58, 28, v61
	v_lshlrev_b64 v[58:59], v58, v[38:39]
	v_lshrrev_b32_e32 v60, 3, v41
	v_sub_u32_e32 v59, 29, v61
	v_and_b32_e32 v58, 7, v58
	v_cmp_gt_u32_e32 vcc, 8, v41
	v_cndmask_b32_e32 v41, v60, v59, vcc
	v_cndmask_b32_e32 v57, v57, v58, vcc
	v_lshlrev_b32_e32 v38, 24, v38
	v_bfrev_b32_e32 v58, 60
	v_lshlrev_b32_e32 v57, 20, v57
	v_and_b32_e32 v38, 0x80000000, v38
	v_lshl_add_u32 v41, v41, 23, v58
	v_or3_b32 v38, v38, v41, v57
	v_lshrrev_b32_e32 v57, 16, v38
.LBB838_203:
	s_or_b64 exec, exec, s[10:11]
.LBB838_204:
	s_or_b64 exec, exec, s[8:9]
.LBB838_205:
	s_or_b64 exec, exec, s[2:3]
	s_mov_b32 s2, 0x5040100
	v_perm_b32 v59, v55, v53, s2
	v_perm_b32 v58, v39, v51, s2
	;; [unrolled: 1-line block ×4, first 2 shown]
	v_cmp_ne_u16_sdwa s[8:9], v30, v52 src0_sel:BYTE_0 src1_sel:DWORD
	v_mfma_f32_16x16x16bf16_1k v[42:45], v[58:59], v[18:19], v[42:45]
	v_mfma_f32_16x16x16bf16_1k v[38:41], v[38:39], v[20:21], v[42:45]
	s_and_saveexec_b64 s[2:3], s[8:9]
	s_cbranch_execz .LBB838_211
; %bb.206:
	s_movk_i32 s8, 0x80
	v_cmp_ne_u16_sdwa s[10:11], v30, s8 src0_sel:BYTE_0 src1_sel:DWORD
	v_mov_b32_e32 v52, 0xffff8000
	s_and_saveexec_b64 s[8:9], s[10:11]
	s_cbranch_execz .LBB838_210
; %bb.207:
	s_movk_i32 s10, 0x7f
	s_nop 1
	v_and_b32_e32 v42, 0x7f, v30
	v_cmp_ne_u32_e32 vcc, s10, v42
	v_mov_b32_e32 v52, 0x7f80
	s_and_saveexec_b64 s[10:11], vcc
	s_cbranch_execz .LBB838_209
; %bb.208:
	v_and_b32_e32 v43, 7, v30
	v_ffbh_u32_e32 v44, v43
	v_min_u32_e32 v52, 32, v44
	v_subrev_u32_e32 v44, 28, v52
	v_lshlrev_b64 v[44:45], v44, v[30:31]
	v_lshrrev_b32_e32 v51, 3, v42
	v_sub_u32_e32 v45, 29, v52
	v_and_b32_e32 v44, 7, v44
	v_cmp_gt_u32_e32 vcc, 8, v42
	v_cndmask_b32_e32 v42, v51, v45, vcc
	v_cndmask_b32_e32 v43, v43, v44, vcc
	v_lshlrev_b32_e32 v44, 24, v30
	v_bfrev_b32_e32 v45, 60
	v_lshlrev_b32_e32 v43, 20, v43
	v_and_b32_e32 v44, 0x80000000, v44
	v_lshl_add_u32 v42, v42, 23, v45
	v_or3_b32 v42, v44, v42, v43
	v_lshrrev_b32_e32 v52, 16, v42
.LBB838_209:
	s_or_b64 exec, exec, s[10:11]
.LBB838_210:
	s_or_b64 exec, exec, s[8:9]
.LBB838_211:
	s_or_b64 exec, exec, s[2:3]
	s_nop 6
	v_lshrrev_b16_e32 v42, 8, v30
	v_cmp_ne_u16_e32 vcc, 0, v42
	v_mov_b32_e32 v44, 0
	v_mov_b32_e32 v43, 0
	s_and_saveexec_b64 s[2:3], vcc
	s_cbranch_execz .LBB838_217
; %bb.212:
	s_movk_i32 s8, 0x80
	v_cmp_ne_u16_e32 vcc, s8, v42
	v_mov_b32_e32 v43, 0xffff8000
	s_and_saveexec_b64 s[8:9], vcc
	s_cbranch_execz .LBB838_216
; %bb.213:
	s_movk_i32 s10, 0x7f
	v_and_b32_e32 v45, 0x7f, v42
	v_cmp_ne_u32_e32 vcc, s10, v45
	v_mov_b32_e32 v43, 0x7f80
	s_and_saveexec_b64 s[10:11], vcc
	s_cbranch_execz .LBB838_215
; %bb.214:
	v_and_b32_e32 v51, 7, v42
	v_ffbh_u32_e32 v43, v51
	v_min_u32_e32 v54, 32, v43
	v_subrev_u32_e32 v43, 28, v54
	v_lshlrev_b64 v[42:43], v43, v[42:43]
	v_lshrrev_b32_e32 v53, 3, v45
	v_sub_u32_e32 v43, 29, v54
	v_and_b32_e32 v42, 7, v42
	v_cmp_gt_u32_e32 vcc, 8, v45
	v_cndmask_b32_e32 v43, v53, v43, vcc
	v_cndmask_b32_e32 v42, v51, v42, vcc
	v_lshlrev_b32_e32 v45, 16, v30
	v_bfrev_b32_e32 v51, 60
	v_lshlrev_b32_e32 v42, 20, v42
	v_and_b32_e32 v45, 0x80000000, v45
	v_lshl_add_u32 v43, v43, 23, v51
	v_or3_b32 v42, v45, v43, v42
	v_lshrrev_b32_e32 v43, 16, v42
.LBB838_215:
	s_or_b64 exec, exec, s[10:11]
.LBB838_216:
	s_or_b64 exec, exec, s[8:9]
.LBB838_217:
	s_or_b64 exec, exec, s[2:3]
	s_movk_i32 s2, 0xff
	v_and_b32_sdwa v45, v30, s2 dst_sel:DWORD dst_unused:UNUSED_PAD src0_sel:WORD_1 src1_sel:DWORD
	v_lshrrev_b32_e32 v42, 16, v30
	v_cmp_ne_u16_e32 vcc, 0, v45
	s_and_saveexec_b64 s[2:3], vcc
	s_cbranch_execz .LBB838_223
; %bb.218:
	s_movk_i32 s8, 0x80
	v_cmp_ne_u16_e32 vcc, s8, v45
	v_mov_b32_e32 v44, 0xffff8000
	s_and_saveexec_b64 s[8:9], vcc
	s_cbranch_execz .LBB838_222
; %bb.219:
	v_bfe_u32 v45, v30, 16, 7
	s_movk_i32 s10, 0x7f
	v_cmp_ne_u32_e32 vcc, s10, v45
	v_mov_b32_e32 v44, 0x7f80
	s_and_saveexec_b64 s[10:11], vcc
	s_cbranch_execz .LBB838_221
; %bb.220:
	v_and_b32_e32 v44, 7, v42
	v_ffbh_u32_e32 v53, v44
	v_min_u32_e32 v53, 32, v53
	v_subrev_u32_e32 v54, 28, v53
	v_lshlrev_b64 v[54:55], v54, v[42:43]
	v_lshrrev_b32_e32 v51, 3, v45
	v_sub_u32_e32 v42, 29, v53
	v_and_b32_e32 v53, 7, v54
	v_cmp_gt_u32_e32 vcc, 8, v45
	v_mov_b32_e32 v45, 24
	v_cndmask_b32_e32 v42, v51, v42, vcc
	v_cndmask_b32_e32 v44, v44, v53, vcc
	v_lshlrev_b32_sdwa v45, v45, v30 dst_sel:DWORD dst_unused:UNUSED_PAD src0_sel:DWORD src1_sel:WORD_1
	v_bfrev_b32_e32 v51, 60
	v_lshlrev_b32_e32 v44, 20, v44
	v_and_b32_e32 v45, 0x80000000, v45
	v_lshl_add_u32 v42, v42, 23, v51
	v_or3_b32 v42, v45, v42, v44
	v_lshrrev_b32_e32 v44, 16, v42
.LBB838_221:
	s_or_b64 exec, exec, s[10:11]
.LBB838_222:
	s_or_b64 exec, exec, s[8:9]
.LBB838_223:
	s_or_b64 exec, exec, s[2:3]
	s_mov_b32 s2, 0xffffff
	v_cmp_lt_u32_e32 vcc, s2, v30
	v_mov_b32_e32 v45, 0
	v_mov_b32_e32 v53, 0
	s_and_saveexec_b64 s[2:3], vcc
	s_cbranch_execz .LBB838_229
; %bb.224:
	v_lshrrev_b32_e32 v42, 24, v30
	s_movk_i32 s8, 0x80
	v_cmp_ne_u32_e32 vcc, s8, v42
	v_mov_b32_e32 v53, 0xffff8000
	s_and_saveexec_b64 s[8:9], vcc
	s_cbranch_execz .LBB838_228
; %bb.225:
	v_bfe_u32 v30, v30, 24, 7
	s_movk_i32 s10, 0x7f
	v_cmp_ne_u32_e32 vcc, s10, v30
	v_mov_b32_e32 v53, 0x7f80
	s_and_saveexec_b64 s[10:11], vcc
	s_cbranch_execz .LBB838_227
; %bb.226:
	v_and_b32_e32 v51, 7, v42
	v_ffbh_u32_e32 v54, v51
	v_min_u32_e32 v56, 32, v54
	v_subrev_u32_e32 v54, 28, v56
	v_lshlrev_b64 v[54:55], v54, v[42:43]
	v_lshrrev_b32_e32 v53, 3, v30
	v_sub_u32_e32 v55, 29, v56
	v_and_b32_e32 v54, 7, v54
	v_cmp_gt_u32_e32 vcc, 8, v30
	v_cndmask_b32_e32 v30, v53, v55, vcc
	v_cndmask_b32_e32 v51, v51, v54, vcc
	v_lshlrev_b32_e32 v42, 24, v42
	v_bfrev_b32_e32 v53, 60
	v_lshlrev_b32_e32 v51, 20, v51
	v_and_b32_e32 v42, 0x80000000, v42
	v_lshl_add_u32 v30, v30, 23, v53
	v_or3_b32 v30, v42, v30, v51
	v_lshrrev_b32_e32 v53, 16, v30
.LBB838_227:
	s_or_b64 exec, exec, s[10:11]
.LBB838_228:
	s_or_b64 exec, exec, s[8:9]
.LBB838_229:
	s_or_b64 exec, exec, s[2:3]
	v_cmp_ne_u16_sdwa s[8:9], v31, v45 src0_sel:BYTE_0 src1_sel:DWORD
	s_and_saveexec_b64 s[2:3], s[8:9]
	s_cbranch_execz .LBB838_235
; %bb.230:
	s_movk_i32 s8, 0x80
	v_cmp_ne_u16_sdwa s[10:11], v31, s8 src0_sel:BYTE_0 src1_sel:DWORD
	v_mov_b32_e32 v45, 0xffff8000
	s_and_saveexec_b64 s[8:9], s[10:11]
	s_cbranch_execz .LBB838_234
; %bb.231:
	s_movk_i32 s10, 0x7f
	v_and_b32_e32 v30, 0x7f, v31
	v_cmp_ne_u32_e32 vcc, s10, v30
	v_mov_b32_e32 v45, 0x7f80
	s_and_saveexec_b64 s[10:11], vcc
	s_cbranch_execz .LBB838_233
; %bb.232:
	v_and_b32_e32 v45, 7, v31
	v_ffbh_u32_e32 v54, v45
	v_min_u32_e32 v56, 32, v54
	v_mov_b32_e32 v42, v31
	v_subrev_u32_e32 v54, 28, v56
	v_lshlrev_b64 v[54:55], v54, v[42:43]
	v_lshrrev_b32_e32 v51, 3, v30
	v_sub_u32_e32 v42, 29, v56
	v_and_b32_e32 v54, 7, v54
	v_cmp_gt_u32_e32 vcc, 8, v30
	v_cndmask_b32_e32 v30, v51, v42, vcc
	v_cndmask_b32_e32 v42, v45, v54, vcc
	v_lshlrev_b32_e32 v45, 24, v31
	v_bfrev_b32_e32 v51, 60
	v_lshlrev_b32_e32 v42, 20, v42
	v_and_b32_e32 v45, 0x80000000, v45
	v_lshl_add_u32 v30, v30, 23, v51
	v_or3_b32 v30, v45, v30, v42
	v_lshrrev_b32_e32 v45, 16, v30
.LBB838_233:
	s_or_b64 exec, exec, s[10:11]
.LBB838_234:
	s_or_b64 exec, exec, s[8:9]
.LBB838_235:
	s_or_b64 exec, exec, s[2:3]
	v_lshrrev_b16_e32 v30, 8, v31
	v_cmp_ne_u16_e32 vcc, 0, v30
	v_mov_b32_e32 v54, 0
	v_mov_b32_e32 v42, 0
	s_and_saveexec_b64 s[2:3], vcc
	s_cbranch_execz .LBB838_241
; %bb.236:
	s_movk_i32 s8, 0x80
	v_cmp_ne_u16_e32 vcc, s8, v30
	v_mov_b32_e32 v42, 0xffff8000
	s_and_saveexec_b64 s[8:9], vcc
	s_cbranch_execz .LBB838_240
; %bb.237:
	s_movk_i32 s10, 0x7f
	v_and_b32_e32 v51, 0x7f, v30
	v_cmp_ne_u32_e32 vcc, s10, v51
	v_mov_b32_e32 v42, 0x7f80
	s_and_saveexec_b64 s[10:11], vcc
	s_cbranch_execz .LBB838_239
; %bb.238:
	v_and_b32_e32 v42, 7, v30
	v_ffbh_u32_e32 v56, v42
	v_min_u32_e32 v58, 32, v56
	v_subrev_u32_e32 v56, 28, v58
	v_lshlrev_b64 v[56:57], v56, v[30:31]
	v_lshrrev_b32_e32 v55, 3, v51
	v_sub_u32_e32 v30, 29, v58
	v_and_b32_e32 v56, 7, v56
	v_cmp_gt_u32_e32 vcc, 8, v51
	v_cndmask_b32_e32 v30, v55, v30, vcc
	v_cndmask_b32_e32 v42, v42, v56, vcc
	v_lshlrev_b32_e32 v51, 16, v31
	v_bfrev_b32_e32 v55, 60
	v_lshlrev_b32_e32 v42, 20, v42
	v_and_b32_e32 v51, 0x80000000, v51
	v_lshl_add_u32 v30, v30, 23, v55
	v_or3_b32 v30, v51, v30, v42
	v_lshrrev_b32_e32 v42, 16, v30
.LBB838_239:
	s_or_b64 exec, exec, s[10:11]
.LBB838_240:
	s_or_b64 exec, exec, s[8:9]
.LBB838_241:
	s_or_b64 exec, exec, s[2:3]
	s_movk_i32 s2, 0xff
	v_and_b32_sdwa v51, v31, s2 dst_sel:DWORD dst_unused:UNUSED_PAD src0_sel:WORD_1 src1_sel:DWORD
	v_lshrrev_b32_e32 v30, 16, v31
	v_cmp_ne_u16_e32 vcc, 0, v51
	s_and_saveexec_b64 s[2:3], vcc
	s_cbranch_execz .LBB838_247
; %bb.242:
	s_movk_i32 s8, 0x80
	v_cmp_ne_u16_e32 vcc, s8, v51
	v_mov_b32_e32 v54, 0xffff8000
	s_and_saveexec_b64 s[8:9], vcc
	s_cbranch_execz .LBB838_246
; %bb.243:
	v_bfe_u32 v51, v31, 16, 7
	s_movk_i32 s10, 0x7f
	v_cmp_ne_u32_e32 vcc, s10, v51
	v_mov_b32_e32 v54, 0x7f80
	s_and_saveexec_b64 s[10:11], vcc
	s_cbranch_execz .LBB838_245
; %bb.244:
	v_and_b32_e32 v56, 7, v30
	v_ffbh_u32_e32 v54, v56
	v_min_u32_e32 v58, 32, v54
	v_subrev_u32_e32 v54, 28, v58
	v_lshlrev_b64 v[54:55], v54, v[30:31]
	v_and_b32_e32 v54, 7, v54
	v_cmp_gt_u32_e32 vcc, 8, v51
	v_lshrrev_b32_e32 v57, 3, v51
	v_sub_u32_e32 v30, 29, v58
	v_cndmask_b32_e32 v51, v56, v54, vcc
	v_mov_b32_e32 v54, 24
	v_cndmask_b32_e32 v30, v57, v30, vcc
	v_lshlrev_b32_sdwa v54, v54, v31 dst_sel:DWORD dst_unused:UNUSED_PAD src0_sel:DWORD src1_sel:WORD_1
	v_bfrev_b32_e32 v55, 60
	v_lshlrev_b32_e32 v51, 20, v51
	v_and_b32_e32 v54, 0x80000000, v54
	v_lshl_add_u32 v30, v30, 23, v55
	v_or3_b32 v30, v54, v30, v51
	v_lshrrev_b32_e32 v54, 16, v30
.LBB838_245:
	s_or_b64 exec, exec, s[10:11]
.LBB838_246:
	s_or_b64 exec, exec, s[8:9]
.LBB838_247:
	s_or_b64 exec, exec, s[2:3]
	s_mov_b32 s2, 0xffffff
	v_cmp_lt_u32_e32 vcc, s2, v31
	v_mov_b32_e32 v51, 0
	v_mov_b32_e32 v55, 0
	s_and_saveexec_b64 s[2:3], vcc
	s_cbranch_execz .LBB838_253
; %bb.248:
	v_lshrrev_b32_e32 v30, 24, v31
	s_movk_i32 s8, 0x80
	v_cmp_ne_u32_e32 vcc, s8, v30
	v_mov_b32_e32 v55, 0xffff8000
	s_and_saveexec_b64 s[8:9], vcc
	s_cbranch_execz .LBB838_252
; %bb.249:
	v_bfe_u32 v31, v31, 24, 7
	s_movk_i32 s10, 0x7f
	v_cmp_ne_u32_e32 vcc, s10, v31
	v_mov_b32_e32 v55, 0x7f80
	s_and_saveexec_b64 s[10:11], vcc
	s_cbranch_execz .LBB838_251
; %bb.250:
	v_and_b32_e32 v55, 7, v30
	v_ffbh_u32_e32 v56, v55
	v_min_u32_e32 v59, 32, v56
	v_subrev_u32_e32 v56, 28, v59
	v_lshlrev_b64 v[56:57], v56, v[30:31]
	v_lshrrev_b32_e32 v58, 3, v31
	v_sub_u32_e32 v57, 29, v59
	v_and_b32_e32 v56, 7, v56
	v_cmp_gt_u32_e32 vcc, 8, v31
	v_cndmask_b32_e32 v31, v58, v57, vcc
	v_cndmask_b32_e32 v55, v55, v56, vcc
	v_lshlrev_b32_e32 v30, 24, v30
	v_bfrev_b32_e32 v56, 60
	v_lshlrev_b32_e32 v55, 20, v55
	v_and_b32_e32 v30, 0x80000000, v30
	v_lshl_add_u32 v31, v31, 23, v56
	v_or3_b32 v30, v30, v31, v55
	v_lshrrev_b32_e32 v55, 16, v30
.LBB838_251:
	s_or_b64 exec, exec, s[10:11]
.LBB838_252:
	s_or_b64 exec, exec, s[8:9]
.LBB838_253:
	s_or_b64 exec, exec, s[2:3]
	s_mov_b32 s2, 0x5040100
	v_perm_b32 v31, v53, v44, s2
	v_perm_b32 v30, v43, v52, s2
	v_cmp_ne_u16_sdwa s[8:9], v32, v51 src0_sel:BYTE_0 src1_sel:DWORD
	s_nop 0
	v_mfma_f32_16x16x16bf16_1k v[56:59], v[30:31], v[26:27], 0
	v_perm_b32 v31, v55, v54, s2
	v_perm_b32 v30, v42, v45, s2
	s_nop 1
	v_mfma_f32_16x16x16bf16_1k v[42:45], v[30:31], v[28:29], v[56:59]
	s_and_saveexec_b64 s[2:3], s[8:9]
	s_cbranch_execz .LBB838_259
; %bb.254:
	s_movk_i32 s8, 0x80
	v_cmp_ne_u16_sdwa s[10:11], v32, s8 src0_sel:BYTE_0 src1_sel:DWORD
	v_mov_b32_e32 v51, 0xffff8000
	s_and_saveexec_b64 s[8:9], s[10:11]
	s_cbranch_execz .LBB838_258
; %bb.255:
	s_movk_i32 s10, 0x7f
	v_and_b32_e32 v30, 0x7f, v32
	v_cmp_ne_u32_e32 vcc, s10, v30
	v_mov_b32_e32 v51, 0x7f80
	s_and_saveexec_b64 s[10:11], vcc
	s_cbranch_execz .LBB838_257
; %bb.256:
	v_and_b32_e32 v31, 7, v32
	v_ffbh_u32_e32 v52, v31
	v_min_u32_e32 v54, 32, v52
	v_subrev_u32_e32 v52, 28, v54
	v_lshlrev_b64 v[52:53], v52, v[32:33]
	v_lshrrev_b32_e32 v51, 3, v30
	v_sub_u32_e32 v53, 29, v54
	v_and_b32_e32 v52, 7, v52
	v_cmp_gt_u32_e32 vcc, 8, v30
	v_cndmask_b32_e32 v30, v51, v53, vcc
	v_cndmask_b32_e32 v31, v31, v52, vcc
	v_lshlrev_b32_e32 v51, 24, v32
	v_bfrev_b32_e32 v52, 60
	v_lshlrev_b32_e32 v31, 20, v31
	v_and_b32_e32 v51, 0x80000000, v51
	v_lshl_add_u32 v30, v30, 23, v52
	v_or3_b32 v30, v51, v30, v31
	v_lshrrev_b32_e32 v51, 16, v30
.LBB838_257:
	s_or_b64 exec, exec, s[10:11]
.LBB838_258:
	s_or_b64 exec, exec, s[8:9]
.LBB838_259:
	s_or_b64 exec, exec, s[2:3]
	v_lshrrev_b16_e32 v30, 8, v32
	v_cmp_ne_u16_e32 vcc, 0, v30
	v_mov_b32_e32 v53, 0
	v_mov_b32_e32 v31, 0
	s_and_saveexec_b64 s[2:3], vcc
	s_cbranch_execz .LBB838_265
; %bb.260:
	s_movk_i32 s8, 0x80
	v_cmp_ne_u16_e32 vcc, s8, v30
	v_mov_b32_e32 v31, 0xffff8000
	s_and_saveexec_b64 s[8:9], vcc
	s_cbranch_execz .LBB838_264
; %bb.261:
	s_movk_i32 s10, 0x7f
	v_and_b32_e32 v52, 0x7f, v30
	v_cmp_ne_u32_e32 vcc, s10, v52
	v_mov_b32_e32 v31, 0x7f80
	s_and_saveexec_b64 s[10:11], vcc
	s_cbranch_execz .LBB838_263
; %bb.262:
	v_and_b32_e32 v54, 7, v30
	v_ffbh_u32_e32 v31, v54
	v_min_u32_e32 v56, 32, v31
	v_subrev_u32_e32 v31, 28, v56
	v_lshlrev_b64 v[30:31], v31, v[30:31]
	v_lshrrev_b32_e32 v55, 3, v52
	v_sub_u32_e32 v31, 29, v56
	v_and_b32_e32 v30, 7, v30
	v_cmp_gt_u32_e32 vcc, 8, v52
	v_cndmask_b32_e32 v31, v55, v31, vcc
	v_cndmask_b32_e32 v30, v54, v30, vcc
	v_lshlrev_b32_e32 v52, 16, v32
	v_bfrev_b32_e32 v54, 60
	v_lshlrev_b32_e32 v30, 20, v30
	v_and_b32_e32 v52, 0x80000000, v52
	v_lshl_add_u32 v31, v31, 23, v54
	v_or3_b32 v30, v52, v31, v30
	v_lshrrev_b32_e32 v31, 16, v30
.LBB838_263:
	s_or_b64 exec, exec, s[10:11]
.LBB838_264:
	s_or_b64 exec, exec, s[8:9]
.LBB838_265:
	s_or_b64 exec, exec, s[2:3]
	s_movk_i32 s2, 0xff
	v_and_b32_sdwa v52, v32, s2 dst_sel:DWORD dst_unused:UNUSED_PAD src0_sel:WORD_1 src1_sel:DWORD
	v_lshrrev_b32_e32 v30, 16, v32
	v_cmp_ne_u16_e32 vcc, 0, v52
	s_and_saveexec_b64 s[2:3], vcc
	s_cbranch_execz .LBB838_271
; %bb.266:
	s_movk_i32 s8, 0x80
	v_cmp_ne_u16_e32 vcc, s8, v52
	v_mov_b32_e32 v53, 0xffff8000
	s_and_saveexec_b64 s[8:9], vcc
	s_cbranch_execz .LBB838_270
; %bb.267:
	v_bfe_u32 v52, v32, 16, 7
	s_movk_i32 s10, 0x7f
	v_cmp_ne_u32_e32 vcc, s10, v52
	v_mov_b32_e32 v53, 0x7f80
	s_and_saveexec_b64 s[10:11], vcc
	s_cbranch_execz .LBB838_269
; %bb.268:
	v_and_b32_e32 v53, 7, v30
	v_ffbh_u32_e32 v54, v53
	v_min_u32_e32 v57, 32, v54
	v_subrev_u32_e32 v54, 28, v57
	v_lshlrev_b64 v[54:55], v54, v[30:31]
	v_and_b32_e32 v54, 7, v54
	v_cmp_gt_u32_e32 vcc, 8, v52
	v_lshrrev_b32_e32 v56, 3, v52
	v_sub_u32_e32 v30, 29, v57
	v_cndmask_b32_e32 v52, v53, v54, vcc
	v_mov_b32_e32 v53, 24
	v_cndmask_b32_e32 v30, v56, v30, vcc
	v_lshlrev_b32_sdwa v53, v53, v32 dst_sel:DWORD dst_unused:UNUSED_PAD src0_sel:DWORD src1_sel:WORD_1
	v_bfrev_b32_e32 v54, 60
	v_lshlrev_b32_e32 v52, 20, v52
	v_and_b32_e32 v53, 0x80000000, v53
	v_lshl_add_u32 v30, v30, 23, v54
	v_or3_b32 v30, v53, v30, v52
	v_lshrrev_b32_e32 v53, 16, v30
.LBB838_269:
	s_or_b64 exec, exec, s[10:11]
.LBB838_270:
	s_or_b64 exec, exec, s[8:9]
.LBB838_271:
	s_or_b64 exec, exec, s[2:3]
	s_mov_b32 s2, 0xffffff
	v_cmp_lt_u32_e32 vcc, s2, v32
	v_mov_b32_e32 v54, 0
	v_mov_b32_e32 v55, 0
	s_and_saveexec_b64 s[2:3], vcc
	s_cbranch_execz .LBB838_277
; %bb.272:
	v_lshrrev_b32_e32 v30, 24, v32
	s_movk_i32 s8, 0x80
	v_cmp_ne_u32_e32 vcc, s8, v30
	v_mov_b32_e32 v55, 0xffff8000
	s_and_saveexec_b64 s[8:9], vcc
	s_cbranch_execz .LBB838_276
; %bb.273:
	v_bfe_u32 v32, v32, 24, 7
	s_movk_i32 s10, 0x7f
	v_cmp_ne_u32_e32 vcc, s10, v32
	v_mov_b32_e32 v55, 0x7f80
	s_and_saveexec_b64 s[10:11], vcc
	s_cbranch_execz .LBB838_275
; %bb.274:
	v_and_b32_e32 v52, 7, v30
	v_ffbh_u32_e32 v56, v52
	v_min_u32_e32 v58, 32, v56
	v_subrev_u32_e32 v56, 28, v58
	v_lshlrev_b64 v[56:57], v56, v[30:31]
	v_lshrrev_b32_e32 v55, 3, v32
	v_sub_u32_e32 v57, 29, v58
	v_and_b32_e32 v56, 7, v56
	v_cmp_gt_u32_e32 vcc, 8, v32
	v_cndmask_b32_e32 v32, v55, v57, vcc
	v_cndmask_b32_e32 v52, v52, v56, vcc
	v_lshlrev_b32_e32 v30, 24, v30
	v_bfrev_b32_e32 v55, 60
	v_lshlrev_b32_e32 v52, 20, v52
	v_and_b32_e32 v30, 0x80000000, v30
	v_lshl_add_u32 v32, v32, 23, v55
	v_or3_b32 v30, v30, v32, v52
	v_lshrrev_b32_e32 v55, 16, v30
.LBB838_275:
	s_or_b64 exec, exec, s[10:11]
.LBB838_276:
	s_or_b64 exec, exec, s[8:9]
.LBB838_277:
	s_or_b64 exec, exec, s[2:3]
	v_cmp_ne_u16_sdwa s[8:9], v33, v54 src0_sel:BYTE_0 src1_sel:DWORD
	s_and_saveexec_b64 s[2:3], s[8:9]
	s_cbranch_execz .LBB838_283
; %bb.278:
	s_movk_i32 s8, 0x80
	v_cmp_ne_u16_sdwa s[10:11], v33, s8 src0_sel:BYTE_0 src1_sel:DWORD
	v_mov_b32_e32 v54, 0xffff8000
	s_and_saveexec_b64 s[8:9], s[10:11]
	s_cbranch_execz .LBB838_282
; %bb.279:
	s_movk_i32 s10, 0x7f
	v_and_b32_e32 v30, 0x7f, v33
	v_cmp_ne_u32_e32 vcc, s10, v30
	v_mov_b32_e32 v54, 0x7f80
	s_and_saveexec_b64 s[10:11], vcc
	s_cbranch_execz .LBB838_281
; %bb.280:
	v_and_b32_e32 v52, 7, v33
	v_ffbh_u32_e32 v56, v52
	v_min_u32_e32 v58, 32, v56
	v_mov_b32_e32 v32, v33
	v_subrev_u32_e32 v56, 28, v58
	v_lshlrev_b64 v[56:57], v56, v[32:33]
	v_lshrrev_b32_e32 v54, 3, v30
	v_sub_u32_e32 v32, 29, v58
	v_and_b32_e32 v56, 7, v56
	v_cmp_gt_u32_e32 vcc, 8, v30
	v_cndmask_b32_e32 v30, v54, v32, vcc
	v_cndmask_b32_e32 v32, v52, v56, vcc
	v_lshlrev_b32_e32 v52, 24, v33
	v_bfrev_b32_e32 v54, 60
	v_lshlrev_b32_e32 v32, 20, v32
	v_and_b32_e32 v52, 0x80000000, v52
	v_lshl_add_u32 v30, v30, 23, v54
	v_or3_b32 v30, v52, v30, v32
	v_lshrrev_b32_e32 v54, 16, v30
.LBB838_281:
	s_or_b64 exec, exec, s[10:11]
.LBB838_282:
	s_or_b64 exec, exec, s[8:9]
.LBB838_283:
	s_or_b64 exec, exec, s[2:3]
	v_lshrrev_b16_e32 v30, 8, v33
	v_cmp_ne_u16_e32 vcc, 0, v30
	v_mov_b32_e32 v56, 0
	v_mov_b32_e32 v32, 0
	s_and_saveexec_b64 s[2:3], vcc
	s_cbranch_execz .LBB838_289
; %bb.284:
	s_movk_i32 s8, 0x80
	v_cmp_ne_u16_e32 vcc, s8, v30
	v_mov_b32_e32 v32, 0xffff8000
	s_and_saveexec_b64 s[8:9], vcc
	s_cbranch_execz .LBB838_288
; %bb.285:
	s_movk_i32 s10, 0x7f
	v_and_b32_e32 v52, 0x7f, v30
	v_cmp_ne_u32_e32 vcc, s10, v52
	v_mov_b32_e32 v32, 0x7f80
	s_and_saveexec_b64 s[10:11], vcc
	s_cbranch_execz .LBB838_287
; %bb.286:
	v_and_b32_e32 v32, 7, v30
	v_ffbh_u32_e32 v58, v32
	v_min_u32_e32 v60, 32, v58
	v_subrev_u32_e32 v58, 28, v60
	v_lshlrev_b64 v[58:59], v58, v[30:31]
	v_lshrrev_b32_e32 v57, 3, v52
	v_sub_u32_e32 v30, 29, v60
	v_and_b32_e32 v58, 7, v58
	v_cmp_gt_u32_e32 vcc, 8, v52
	v_cndmask_b32_e32 v30, v57, v30, vcc
	v_cndmask_b32_e32 v32, v32, v58, vcc
	v_lshlrev_b32_e32 v52, 16, v33
	v_bfrev_b32_e32 v57, 60
	v_lshlrev_b32_e32 v32, 20, v32
	v_and_b32_e32 v52, 0x80000000, v52
	v_lshl_add_u32 v30, v30, 23, v57
	v_or3_b32 v30, v52, v30, v32
	v_lshrrev_b32_e32 v32, 16, v30
.LBB838_287:
	s_or_b64 exec, exec, s[10:11]
.LBB838_288:
	s_or_b64 exec, exec, s[8:9]
.LBB838_289:
	s_or_b64 exec, exec, s[2:3]
	s_movk_i32 s2, 0xff
	v_and_b32_sdwa v52, v33, s2 dst_sel:DWORD dst_unused:UNUSED_PAD src0_sel:WORD_1 src1_sel:DWORD
	v_lshrrev_b32_e32 v30, 16, v33
	v_cmp_ne_u16_e32 vcc, 0, v52
	s_and_saveexec_b64 s[2:3], vcc
	s_cbranch_execz .LBB838_295
; %bb.290:
	s_movk_i32 s8, 0x80
	v_cmp_ne_u16_e32 vcc, s8, v52
	v_mov_b32_e32 v56, 0xffff8000
	s_and_saveexec_b64 s[8:9], vcc
	s_cbranch_execz .LBB838_294
; %bb.291:
	v_bfe_u32 v52, v33, 16, 7
	s_movk_i32 s10, 0x7f
	v_cmp_ne_u32_e32 vcc, s10, v52
	v_mov_b32_e32 v56, 0x7f80
	s_and_saveexec_b64 s[10:11], vcc
	s_cbranch_execz .LBB838_293
; %bb.292:
	v_and_b32_e32 v58, 7, v30
	v_ffbh_u32_e32 v56, v58
	v_min_u32_e32 v60, 32, v56
	v_subrev_u32_e32 v56, 28, v60
	v_lshlrev_b64 v[56:57], v56, v[30:31]
	v_and_b32_e32 v56, 7, v56
	v_cmp_gt_u32_e32 vcc, 8, v52
	v_lshrrev_b32_e32 v59, 3, v52
	v_sub_u32_e32 v30, 29, v60
	v_cndmask_b32_e32 v52, v58, v56, vcc
	v_mov_b32_e32 v56, 24
	v_cndmask_b32_e32 v30, v59, v30, vcc
	v_lshlrev_b32_sdwa v56, v56, v33 dst_sel:DWORD dst_unused:UNUSED_PAD src0_sel:DWORD src1_sel:WORD_1
	v_bfrev_b32_e32 v57, 60
	v_lshlrev_b32_e32 v52, 20, v52
	v_and_b32_e32 v56, 0x80000000, v56
	v_lshl_add_u32 v30, v30, 23, v57
	v_or3_b32 v30, v56, v30, v52
	v_lshrrev_b32_e32 v56, 16, v30
.LBB838_293:
	s_or_b64 exec, exec, s[10:11]
.LBB838_294:
	s_or_b64 exec, exec, s[8:9]
.LBB838_295:
	s_or_b64 exec, exec, s[2:3]
	s_mov_b32 s2, 0xffffff
	v_cmp_lt_u32_e32 vcc, s2, v33
	v_mov_b32_e32 v52, 0
	v_mov_b32_e32 v57, 0
	s_and_saveexec_b64 s[2:3], vcc
	s_cbranch_execz .LBB838_301
; %bb.296:
	v_lshrrev_b32_e32 v30, 24, v33
	s_movk_i32 s8, 0x80
	v_cmp_ne_u32_e32 vcc, s8, v30
	v_mov_b32_e32 v57, 0xffff8000
	s_and_saveexec_b64 s[8:9], vcc
	s_cbranch_execz .LBB838_300
; %bb.297:
	v_bfe_u32 v33, v33, 24, 7
	s_movk_i32 s10, 0x7f
	v_cmp_ne_u32_e32 vcc, s10, v33
	v_mov_b32_e32 v57, 0x7f80
	s_and_saveexec_b64 s[10:11], vcc
	s_cbranch_execz .LBB838_299
; %bb.298:
	v_and_b32_e32 v57, 7, v30
	v_ffbh_u32_e32 v58, v57
	v_min_u32_e32 v61, 32, v58
	v_subrev_u32_e32 v58, 28, v61
	v_lshlrev_b64 v[58:59], v58, v[30:31]
	v_lshrrev_b32_e32 v60, 3, v33
	v_sub_u32_e32 v59, 29, v61
	v_and_b32_e32 v58, 7, v58
	v_cmp_gt_u32_e32 vcc, 8, v33
	v_cndmask_b32_e32 v33, v60, v59, vcc
	v_cndmask_b32_e32 v57, v57, v58, vcc
	v_lshlrev_b32_e32 v30, 24, v30
	v_bfrev_b32_e32 v58, 60
	v_lshlrev_b32_e32 v57, 20, v57
	v_and_b32_e32 v30, 0x80000000, v30
	v_lshl_add_u32 v33, v33, 23, v58
	v_or3_b32 v30, v30, v33, v57
	v_lshrrev_b32_e32 v57, 16, v30
.LBB838_299:
	s_or_b64 exec, exec, s[10:11]
.LBB838_300:
	s_or_b64 exec, exec, s[8:9]
.LBB838_301:
	s_or_b64 exec, exec, s[2:3]
	s_mov_b32 s2, 0x5040100
	v_perm_b32 v59, v55, v53, s2
	v_perm_b32 v58, v31, v51, s2
	;; [unrolled: 1-line block ×4, first 2 shown]
	v_cmp_ne_u16_sdwa s[8:9], v22, v52 src0_sel:BYTE_0 src1_sel:DWORD
	v_mfma_f32_16x16x16bf16_1k v[42:45], v[58:59], v[18:19], v[42:45]
	v_mfma_f32_16x16x16bf16_1k v[30:33], v[30:31], v[20:21], v[42:45]
	s_and_saveexec_b64 s[2:3], s[8:9]
	s_cbranch_execz .LBB838_307
; %bb.302:
	s_movk_i32 s8, 0x80
	v_cmp_ne_u16_sdwa s[10:11], v22, s8 src0_sel:BYTE_0 src1_sel:DWORD
	v_mov_b32_e32 v52, 0xffff8000
	s_and_saveexec_b64 s[8:9], s[10:11]
	s_cbranch_execz .LBB838_306
; %bb.303:
	s_movk_i32 s10, 0x7f
	s_nop 1
	v_and_b32_e32 v42, 0x7f, v22
	v_cmp_ne_u32_e32 vcc, s10, v42
	v_mov_b32_e32 v52, 0x7f80
	s_and_saveexec_b64 s[10:11], vcc
	s_cbranch_execz .LBB838_305
; %bb.304:
	v_and_b32_e32 v43, 7, v22
	v_ffbh_u32_e32 v44, v43
	v_min_u32_e32 v52, 32, v44
	v_subrev_u32_e32 v44, 28, v52
	v_lshlrev_b64 v[44:45], v44, v[22:23]
	v_lshrrev_b32_e32 v51, 3, v42
	v_sub_u32_e32 v45, 29, v52
	v_and_b32_e32 v44, 7, v44
	v_cmp_gt_u32_e32 vcc, 8, v42
	v_cndmask_b32_e32 v42, v51, v45, vcc
	v_cndmask_b32_e32 v43, v43, v44, vcc
	v_lshlrev_b32_e32 v44, 24, v22
	v_bfrev_b32_e32 v45, 60
	v_lshlrev_b32_e32 v43, 20, v43
	v_and_b32_e32 v44, 0x80000000, v44
	v_lshl_add_u32 v42, v42, 23, v45
	v_or3_b32 v42, v44, v42, v43
	v_lshrrev_b32_e32 v52, 16, v42
.LBB838_305:
	s_or_b64 exec, exec, s[10:11]
.LBB838_306:
	s_or_b64 exec, exec, s[8:9]
.LBB838_307:
	s_or_b64 exec, exec, s[2:3]
	s_nop 6
	v_lshrrev_b16_e32 v42, 8, v22
	v_cmp_ne_u16_e32 vcc, 0, v42
	v_mov_b32_e32 v44, 0
	v_mov_b32_e32 v43, 0
	s_and_saveexec_b64 s[2:3], vcc
	s_cbranch_execz .LBB838_313
; %bb.308:
	s_movk_i32 s8, 0x80
	v_cmp_ne_u16_e32 vcc, s8, v42
	v_mov_b32_e32 v43, 0xffff8000
	s_and_saveexec_b64 s[8:9], vcc
	s_cbranch_execz .LBB838_312
; %bb.309:
	s_movk_i32 s10, 0x7f
	v_and_b32_e32 v45, 0x7f, v42
	v_cmp_ne_u32_e32 vcc, s10, v45
	v_mov_b32_e32 v43, 0x7f80
	s_and_saveexec_b64 s[10:11], vcc
	s_cbranch_execz .LBB838_311
; %bb.310:
	v_and_b32_e32 v51, 7, v42
	v_ffbh_u32_e32 v43, v51
	v_min_u32_e32 v54, 32, v43
	v_subrev_u32_e32 v43, 28, v54
	v_lshlrev_b64 v[42:43], v43, v[42:43]
	v_lshrrev_b32_e32 v53, 3, v45
	v_sub_u32_e32 v43, 29, v54
	v_and_b32_e32 v42, 7, v42
	v_cmp_gt_u32_e32 vcc, 8, v45
	v_cndmask_b32_e32 v43, v53, v43, vcc
	v_cndmask_b32_e32 v42, v51, v42, vcc
	v_lshlrev_b32_e32 v45, 16, v22
	v_bfrev_b32_e32 v51, 60
	v_lshlrev_b32_e32 v42, 20, v42
	v_and_b32_e32 v45, 0x80000000, v45
	v_lshl_add_u32 v43, v43, 23, v51
	v_or3_b32 v42, v45, v43, v42
	v_lshrrev_b32_e32 v43, 16, v42
.LBB838_311:
	s_or_b64 exec, exec, s[10:11]
.LBB838_312:
	s_or_b64 exec, exec, s[8:9]
.LBB838_313:
	s_or_b64 exec, exec, s[2:3]
	s_movk_i32 s2, 0xff
	v_and_b32_sdwa v45, v22, s2 dst_sel:DWORD dst_unused:UNUSED_PAD src0_sel:WORD_1 src1_sel:DWORD
	v_lshrrev_b32_e32 v42, 16, v22
	v_cmp_ne_u16_e32 vcc, 0, v45
	s_and_saveexec_b64 s[2:3], vcc
	s_cbranch_execz .LBB838_319
; %bb.314:
	s_movk_i32 s8, 0x80
	v_cmp_ne_u16_e32 vcc, s8, v45
	v_mov_b32_e32 v44, 0xffff8000
	s_and_saveexec_b64 s[8:9], vcc
	s_cbranch_execz .LBB838_318
; %bb.315:
	v_bfe_u32 v45, v22, 16, 7
	s_movk_i32 s10, 0x7f
	v_cmp_ne_u32_e32 vcc, s10, v45
	v_mov_b32_e32 v44, 0x7f80
	s_and_saveexec_b64 s[10:11], vcc
	s_cbranch_execz .LBB838_317
; %bb.316:
	v_and_b32_e32 v44, 7, v42
	v_ffbh_u32_e32 v53, v44
	v_min_u32_e32 v53, 32, v53
	v_subrev_u32_e32 v54, 28, v53
	v_lshlrev_b64 v[54:55], v54, v[42:43]
	v_lshrrev_b32_e32 v51, 3, v45
	v_sub_u32_e32 v42, 29, v53
	v_and_b32_e32 v53, 7, v54
	v_cmp_gt_u32_e32 vcc, 8, v45
	v_mov_b32_e32 v45, 24
	v_cndmask_b32_e32 v42, v51, v42, vcc
	v_cndmask_b32_e32 v44, v44, v53, vcc
	v_lshlrev_b32_sdwa v45, v45, v22 dst_sel:DWORD dst_unused:UNUSED_PAD src0_sel:DWORD src1_sel:WORD_1
	v_bfrev_b32_e32 v51, 60
	v_lshlrev_b32_e32 v44, 20, v44
	v_and_b32_e32 v45, 0x80000000, v45
	v_lshl_add_u32 v42, v42, 23, v51
	v_or3_b32 v42, v45, v42, v44
	v_lshrrev_b32_e32 v44, 16, v42
.LBB838_317:
	s_or_b64 exec, exec, s[10:11]
.LBB838_318:
	s_or_b64 exec, exec, s[8:9]
.LBB838_319:
	s_or_b64 exec, exec, s[2:3]
	s_mov_b32 s2, 0xffffff
	v_cmp_lt_u32_e32 vcc, s2, v22
	v_mov_b32_e32 v45, 0
	v_mov_b32_e32 v51, 0
	s_and_saveexec_b64 s[2:3], vcc
	s_cbranch_execz .LBB838_325
; %bb.320:
	v_lshrrev_b32_e32 v42, 24, v22
	s_movk_i32 s8, 0x80
	v_cmp_ne_u32_e32 vcc, s8, v42
	v_mov_b32_e32 v51, 0xffff8000
	s_and_saveexec_b64 s[8:9], vcc
	s_cbranch_execz .LBB838_324
; %bb.321:
	v_bfe_u32 v22, v22, 24, 7
	s_movk_i32 s10, 0x7f
	v_cmp_ne_u32_e32 vcc, s10, v22
	v_mov_b32_e32 v51, 0x7f80
	s_and_saveexec_b64 s[10:11], vcc
	s_cbranch_execz .LBB838_323
; %bb.322:
	v_and_b32_e32 v51, 7, v42
	v_ffbh_u32_e32 v54, v51
	v_min_u32_e32 v56, 32, v54
	v_subrev_u32_e32 v54, 28, v56
	v_lshlrev_b64 v[54:55], v54, v[42:43]
	v_lshrrev_b32_e32 v53, 3, v22
	v_sub_u32_e32 v55, 29, v56
	v_and_b32_e32 v54, 7, v54
	v_cmp_gt_u32_e32 vcc, 8, v22
	v_cndmask_b32_e32 v22, v53, v55, vcc
	v_cndmask_b32_e32 v51, v51, v54, vcc
	v_lshlrev_b32_e32 v42, 24, v42
	v_bfrev_b32_e32 v53, 60
	v_lshlrev_b32_e32 v51, 20, v51
	v_and_b32_e32 v42, 0x80000000, v42
	v_lshl_add_u32 v22, v22, 23, v53
	v_or3_b32 v22, v42, v22, v51
	v_lshrrev_b32_e32 v51, 16, v22
.LBB838_323:
	s_or_b64 exec, exec, s[10:11]
.LBB838_324:
	s_or_b64 exec, exec, s[8:9]
.LBB838_325:
	s_or_b64 exec, exec, s[2:3]
	v_cmp_ne_u16_sdwa s[8:9], v23, v45 src0_sel:BYTE_0 src1_sel:DWORD
	s_and_saveexec_b64 s[2:3], s[8:9]
	s_cbranch_execz .LBB838_331
; %bb.326:
	s_movk_i32 s8, 0x80
	v_cmp_ne_u16_sdwa s[10:11], v23, s8 src0_sel:BYTE_0 src1_sel:DWORD
	v_mov_b32_e32 v45, 0xffff8000
	s_and_saveexec_b64 s[8:9], s[10:11]
	s_cbranch_execz .LBB838_330
; %bb.327:
	s_movk_i32 s10, 0x7f
	v_and_b32_e32 v22, 0x7f, v23
	v_cmp_ne_u32_e32 vcc, s10, v22
	v_mov_b32_e32 v45, 0x7f80
	s_and_saveexec_b64 s[10:11], vcc
	s_cbranch_execz .LBB838_329
; %bb.328:
	v_and_b32_e32 v45, 7, v23
	v_ffbh_u32_e32 v54, v45
	v_min_u32_e32 v56, 32, v54
	v_mov_b32_e32 v42, v23
	v_subrev_u32_e32 v54, 28, v56
	v_lshlrev_b64 v[54:55], v54, v[42:43]
	v_lshrrev_b32_e32 v53, 3, v22
	v_sub_u32_e32 v42, 29, v56
	v_and_b32_e32 v54, 7, v54
	v_cmp_gt_u32_e32 vcc, 8, v22
	v_cndmask_b32_e32 v22, v53, v42, vcc
	v_cndmask_b32_e32 v42, v45, v54, vcc
	v_lshlrev_b32_e32 v45, 24, v23
	v_bfrev_b32_e32 v53, 60
	v_lshlrev_b32_e32 v42, 20, v42
	v_and_b32_e32 v45, 0x80000000, v45
	v_lshl_add_u32 v22, v22, 23, v53
	v_or3_b32 v22, v45, v22, v42
	v_lshrrev_b32_e32 v45, 16, v22
.LBB838_329:
	s_or_b64 exec, exec, s[10:11]
.LBB838_330:
	s_or_b64 exec, exec, s[8:9]
.LBB838_331:
	s_or_b64 exec, exec, s[2:3]
	v_lshrrev_b16_e32 v22, 8, v23
	v_cmp_ne_u16_e32 vcc, 0, v22
	v_mov_b32_e32 v54, 0
	v_mov_b32_e32 v53, 0
	s_and_saveexec_b64 s[2:3], vcc
	s_cbranch_execz .LBB838_337
; %bb.332:
	s_movk_i32 s8, 0x80
	v_cmp_ne_u16_e32 vcc, s8, v22
	v_mov_b32_e32 v53, 0xffff8000
	s_and_saveexec_b64 s[8:9], vcc
	s_cbranch_execz .LBB838_336
; %bb.333:
	s_movk_i32 s10, 0x7f
	v_and_b32_e32 v42, 0x7f, v22
	v_cmp_ne_u32_e32 vcc, s10, v42
	v_mov_b32_e32 v53, 0x7f80
	s_and_saveexec_b64 s[10:11], vcc
	s_cbranch_execz .LBB838_335
; %bb.334:
	v_and_b32_e32 v53, 7, v22
	v_ffbh_u32_e32 v56, v53
	v_min_u32_e32 v58, 32, v56
	v_subrev_u32_e32 v56, 28, v58
	v_lshlrev_b64 v[56:57], v56, v[22:23]
	v_lshrrev_b32_e32 v55, 3, v42
	v_sub_u32_e32 v22, 29, v58
	v_and_b32_e32 v56, 7, v56
	v_cmp_gt_u32_e32 vcc, 8, v42
	v_cndmask_b32_e32 v22, v55, v22, vcc
	v_cndmask_b32_e32 v42, v53, v56, vcc
	v_lshlrev_b32_e32 v53, 16, v23
	v_bfrev_b32_e32 v55, 60
	v_lshlrev_b32_e32 v42, 20, v42
	v_and_b32_e32 v53, 0x80000000, v53
	v_lshl_add_u32 v22, v22, 23, v55
	v_or3_b32 v22, v53, v22, v42
	v_lshrrev_b32_e32 v53, 16, v22
.LBB838_335:
	s_or_b64 exec, exec, s[10:11]
.LBB838_336:
	s_or_b64 exec, exec, s[8:9]
.LBB838_337:
	s_or_b64 exec, exec, s[2:3]
	s_movk_i32 s2, 0xff
	v_and_b32_sdwa v42, v23, s2 dst_sel:DWORD dst_unused:UNUSED_PAD src0_sel:WORD_1 src1_sel:DWORD
	v_lshrrev_b32_e32 v22, 16, v23
	v_cmp_ne_u16_e32 vcc, 0, v42
	s_and_saveexec_b64 s[2:3], vcc
	s_cbranch_execz .LBB838_343
; %bb.338:
	s_movk_i32 s8, 0x80
	v_cmp_ne_u16_e32 vcc, s8, v42
	v_mov_b32_e32 v54, 0xffff8000
	s_and_saveexec_b64 s[8:9], vcc
	s_cbranch_execz .LBB838_342
; %bb.339:
	v_bfe_u32 v42, v23, 16, 7
	s_movk_i32 s10, 0x7f
	v_cmp_ne_u32_e32 vcc, s10, v42
	v_mov_b32_e32 v54, 0x7f80
	s_and_saveexec_b64 s[10:11], vcc
	s_cbranch_execz .LBB838_341
; %bb.340:
	v_and_b32_e32 v56, 7, v22
	v_ffbh_u32_e32 v54, v56
	v_min_u32_e32 v58, 32, v54
	v_subrev_u32_e32 v54, 28, v58
	v_lshlrev_b64 v[54:55], v54, v[22:23]
	v_and_b32_e32 v54, 7, v54
	v_cmp_gt_u32_e32 vcc, 8, v42
	v_lshrrev_b32_e32 v57, 3, v42
	v_sub_u32_e32 v22, 29, v58
	v_cndmask_b32_e32 v42, v56, v54, vcc
	v_mov_b32_e32 v54, 24
	v_cndmask_b32_e32 v22, v57, v22, vcc
	v_lshlrev_b32_sdwa v54, v54, v23 dst_sel:DWORD dst_unused:UNUSED_PAD src0_sel:DWORD src1_sel:WORD_1
	v_bfrev_b32_e32 v55, 60
	v_lshlrev_b32_e32 v42, 20, v42
	v_and_b32_e32 v54, 0x80000000, v54
	v_lshl_add_u32 v22, v22, 23, v55
	v_or3_b32 v22, v54, v22, v42
	v_lshrrev_b32_e32 v54, 16, v22
.LBB838_341:
	s_or_b64 exec, exec, s[10:11]
.LBB838_342:
	s_or_b64 exec, exec, s[8:9]
.LBB838_343:
	s_or_b64 exec, exec, s[2:3]
	s_mov_b32 s2, 0xffffff
	v_cmp_lt_u32_e32 vcc, s2, v23
	v_mov_b32_e32 v42, 0
	v_mov_b32_e32 v55, 0
	s_and_saveexec_b64 s[2:3], vcc
	s_cbranch_execz .LBB838_349
; %bb.344:
	v_lshrrev_b32_e32 v22, 24, v23
	s_movk_i32 s8, 0x80
	v_cmp_ne_u32_e32 vcc, s8, v22
	v_mov_b32_e32 v55, 0xffff8000
	s_and_saveexec_b64 s[8:9], vcc
	s_cbranch_execz .LBB838_348
; %bb.345:
	v_bfe_u32 v23, v23, 24, 7
	s_movk_i32 s10, 0x7f
	v_cmp_ne_u32_e32 vcc, s10, v23
	v_mov_b32_e32 v55, 0x7f80
	s_and_saveexec_b64 s[10:11], vcc
	s_cbranch_execz .LBB838_347
; %bb.346:
	v_and_b32_e32 v55, 7, v22
	v_ffbh_u32_e32 v56, v55
	v_min_u32_e32 v59, 32, v56
	v_subrev_u32_e32 v56, 28, v59
	v_lshlrev_b64 v[56:57], v56, v[22:23]
	v_lshrrev_b32_e32 v58, 3, v23
	v_sub_u32_e32 v57, 29, v59
	v_and_b32_e32 v56, 7, v56
	v_cmp_gt_u32_e32 vcc, 8, v23
	v_cndmask_b32_e32 v23, v58, v57, vcc
	v_cndmask_b32_e32 v55, v55, v56, vcc
	v_lshlrev_b32_e32 v22, 24, v22
	v_bfrev_b32_e32 v56, 60
	v_lshlrev_b32_e32 v55, 20, v55
	v_and_b32_e32 v22, 0x80000000, v22
	v_lshl_add_u32 v23, v23, 23, v56
	v_or3_b32 v22, v22, v23, v55
	v_lshrrev_b32_e32 v55, 16, v22
.LBB838_347:
	s_or_b64 exec, exec, s[10:11]
.LBB838_348:
	s_or_b64 exec, exec, s[8:9]
.LBB838_349:
	s_or_b64 exec, exec, s[2:3]
	s_mov_b32 s2, 0x5040100
	v_perm_b32 v23, v51, v44, s2
	v_perm_b32 v22, v43, v52, s2
	v_cmp_ne_u16_sdwa s[8:9], v24, v42 src0_sel:BYTE_0 src1_sel:DWORD
	s_nop 0
	v_mfma_f32_16x16x16bf16_1k v[56:59], v[22:23], v[26:27], 0
	v_perm_b32 v23, v55, v54, s2
	v_perm_b32 v22, v53, v45, s2
	s_nop 1
	v_mfma_f32_16x16x16bf16_1k v[26:29], v[22:23], v[28:29], v[56:59]
	s_and_saveexec_b64 s[2:3], s[8:9]
	s_cbranch_execz .LBB838_355
; %bb.350:
	s_movk_i32 s8, 0x80
	v_cmp_ne_u16_sdwa s[10:11], v24, s8 src0_sel:BYTE_0 src1_sel:DWORD
	v_mov_b32_e32 v42, 0xffff8000
	s_and_saveexec_b64 s[8:9], s[10:11]
	s_cbranch_execz .LBB838_354
; %bb.351:
	s_movk_i32 s10, 0x7f
	v_and_b32_e32 v22, 0x7f, v24
	v_cmp_ne_u32_e32 vcc, s10, v22
	v_mov_b32_e32 v42, 0x7f80
	s_and_saveexec_b64 s[10:11], vcc
	s_cbranch_execz .LBB838_353
; %bb.352:
	v_and_b32_e32 v23, 7, v24
	v_ffbh_u32_e32 v42, v23
	v_min_u32_e32 v45, 32, v42
	v_subrev_u32_e32 v42, 28, v45
	v_lshlrev_b64 v[42:43], v42, v[24:25]
	v_lshrrev_b32_e32 v44, 3, v22
	v_sub_u32_e32 v43, 29, v45
	v_and_b32_e32 v42, 7, v42
	v_cmp_gt_u32_e32 vcc, 8, v22
	v_cndmask_b32_e32 v22, v44, v43, vcc
	v_cndmask_b32_e32 v23, v23, v42, vcc
	v_lshlrev_b32_e32 v42, 24, v24
	v_bfrev_b32_e32 v43, 60
	v_lshlrev_b32_e32 v23, 20, v23
	v_and_b32_e32 v42, 0x80000000, v42
	v_lshl_add_u32 v22, v22, 23, v43
	v_or3_b32 v22, v42, v22, v23
	v_lshrrev_b32_e32 v42, 16, v22
.LBB838_353:
	s_or_b64 exec, exec, s[10:11]
.LBB838_354:
	s_or_b64 exec, exec, s[8:9]
.LBB838_355:
	s_or_b64 exec, exec, s[2:3]
	v_lshrrev_b16_e32 v22, 8, v24
	v_cmp_ne_u16_e32 vcc, 0, v22
	v_mov_b32_e32 v43, 0
	v_mov_b32_e32 v23, 0
	s_and_saveexec_b64 s[2:3], vcc
	s_cbranch_execz .LBB838_361
; %bb.356:
	s_movk_i32 s8, 0x80
	v_cmp_ne_u16_e32 vcc, s8, v22
	v_mov_b32_e32 v23, 0xffff8000
	s_and_saveexec_b64 s[8:9], vcc
	s_cbranch_execz .LBB838_360
; %bb.357:
	s_movk_i32 s10, 0x7f
	v_and_b32_e32 v44, 0x7f, v22
	v_cmp_ne_u32_e32 vcc, s10, v44
	v_mov_b32_e32 v23, 0x7f80
	s_and_saveexec_b64 s[10:11], vcc
	s_cbranch_execz .LBB838_359
; %bb.358:
	v_and_b32_e32 v45, 7, v22
	v_ffbh_u32_e32 v23, v45
	v_min_u32_e32 v52, 32, v23
	v_subrev_u32_e32 v23, 28, v52
	v_lshlrev_b64 v[22:23], v23, v[22:23]
	v_lshrrev_b32_e32 v51, 3, v44
	v_sub_u32_e32 v23, 29, v52
	v_and_b32_e32 v22, 7, v22
	v_cmp_gt_u32_e32 vcc, 8, v44
	v_cndmask_b32_e32 v23, v51, v23, vcc
	v_cndmask_b32_e32 v22, v45, v22, vcc
	v_lshlrev_b32_e32 v44, 16, v24
	v_bfrev_b32_e32 v45, 60
	v_lshlrev_b32_e32 v22, 20, v22
	v_and_b32_e32 v44, 0x80000000, v44
	v_lshl_add_u32 v23, v23, 23, v45
	v_or3_b32 v22, v44, v23, v22
	v_lshrrev_b32_e32 v23, 16, v22
.LBB838_359:
	s_or_b64 exec, exec, s[10:11]
.LBB838_360:
	s_or_b64 exec, exec, s[8:9]
.LBB838_361:
	s_or_b64 exec, exec, s[2:3]
	s_movk_i32 s2, 0xff
	v_and_b32_sdwa v44, v24, s2 dst_sel:DWORD dst_unused:UNUSED_PAD src0_sel:WORD_1 src1_sel:DWORD
	v_lshrrev_b32_e32 v22, 16, v24
	v_cmp_ne_u16_e32 vcc, 0, v44
	s_and_saveexec_b64 s[2:3], vcc
	s_cbranch_execz .LBB838_367
; %bb.362:
	s_movk_i32 s8, 0x80
	v_cmp_ne_u16_e32 vcc, s8, v44
	v_mov_b32_e32 v43, 0xffff8000
	s_and_saveexec_b64 s[8:9], vcc
	s_cbranch_execz .LBB838_366
; %bb.363:
	v_bfe_u32 v44, v24, 16, 7
	s_movk_i32 s10, 0x7f
	v_cmp_ne_u32_e32 vcc, s10, v44
	v_mov_b32_e32 v43, 0x7f80
	s_and_saveexec_b64 s[10:11], vcc
	s_cbranch_execz .LBB838_365
; %bb.364:
	v_and_b32_e32 v43, 7, v22
	v_ffbh_u32_e32 v51, v43
	v_min_u32_e32 v51, 32, v51
	v_subrev_u32_e32 v52, 28, v51
	v_lshlrev_b64 v[52:53], v52, v[22:23]
	v_lshrrev_b32_e32 v45, 3, v44
	v_sub_u32_e32 v22, 29, v51
	v_and_b32_e32 v51, 7, v52
	v_cmp_gt_u32_e32 vcc, 8, v44
	v_mov_b32_e32 v44, 24
	v_cndmask_b32_e32 v22, v45, v22, vcc
	v_cndmask_b32_e32 v43, v43, v51, vcc
	v_lshlrev_b32_sdwa v44, v44, v24 dst_sel:DWORD dst_unused:UNUSED_PAD src0_sel:DWORD src1_sel:WORD_1
	v_bfrev_b32_e32 v45, 60
	v_lshlrev_b32_e32 v43, 20, v43
	v_and_b32_e32 v44, 0x80000000, v44
	v_lshl_add_u32 v22, v22, 23, v45
	v_or3_b32 v22, v44, v22, v43
	v_lshrrev_b32_e32 v43, 16, v22
.LBB838_365:
	s_or_b64 exec, exec, s[10:11]
.LBB838_366:
	s_or_b64 exec, exec, s[8:9]
.LBB838_367:
	s_or_b64 exec, exec, s[2:3]
	s_mov_b32 s2, 0xffffff
	v_cmp_lt_u32_e32 vcc, s2, v24
	v_mov_b32_e32 v45, 0
	v_mov_b32_e32 v51, 0
	s_and_saveexec_b64 s[2:3], vcc
	s_cbranch_execz .LBB838_373
; %bb.368:
	v_lshrrev_b32_e32 v22, 24, v24
	s_movk_i32 s8, 0x80
	v_cmp_ne_u32_e32 vcc, s8, v22
	v_mov_b32_e32 v51, 0xffff8000
	s_and_saveexec_b64 s[8:9], vcc
	s_cbranch_execz .LBB838_372
; %bb.369:
	v_bfe_u32 v24, v24, 24, 7
	s_movk_i32 s10, 0x7f
	v_cmp_ne_u32_e32 vcc, s10, v24
	v_mov_b32_e32 v51, 0x7f80
	s_and_saveexec_b64 s[10:11], vcc
	s_cbranch_execz .LBB838_371
; %bb.370:
	v_and_b32_e32 v44, 7, v22
	v_ffbh_u32_e32 v52, v44
	v_min_u32_e32 v54, 32, v52
	v_subrev_u32_e32 v52, 28, v54
	v_lshlrev_b64 v[52:53], v52, v[22:23]
	v_lshrrev_b32_e32 v51, 3, v24
	v_sub_u32_e32 v53, 29, v54
	v_and_b32_e32 v52, 7, v52
	v_cmp_gt_u32_e32 vcc, 8, v24
	v_cndmask_b32_e32 v24, v51, v53, vcc
	v_cndmask_b32_e32 v44, v44, v52, vcc
	v_lshlrev_b32_e32 v22, 24, v22
	v_bfrev_b32_e32 v51, 60
	v_lshlrev_b32_e32 v44, 20, v44
	v_and_b32_e32 v22, 0x80000000, v22
	v_lshl_add_u32 v24, v24, 23, v51
	v_or3_b32 v22, v22, v24, v44
	v_lshrrev_b32_e32 v51, 16, v22
.LBB838_371:
	s_or_b64 exec, exec, s[10:11]
.LBB838_372:
	s_or_b64 exec, exec, s[8:9]
.LBB838_373:
	s_or_b64 exec, exec, s[2:3]
	v_cmp_ne_u16_sdwa s[8:9], v25, v45 src0_sel:BYTE_0 src1_sel:DWORD
	s_and_saveexec_b64 s[2:3], s[8:9]
	s_cbranch_execz .LBB838_379
; %bb.374:
	s_movk_i32 s8, 0x80
	v_cmp_ne_u16_sdwa s[10:11], v25, s8 src0_sel:BYTE_0 src1_sel:DWORD
	v_mov_b32_e32 v45, 0xffff8000
	s_and_saveexec_b64 s[8:9], s[10:11]
	s_cbranch_execz .LBB838_378
; %bb.375:
	s_movk_i32 s10, 0x7f
	v_and_b32_e32 v22, 0x7f, v25
	v_cmp_ne_u32_e32 vcc, s10, v22
	v_mov_b32_e32 v45, 0x7f80
	s_and_saveexec_b64 s[10:11], vcc
	s_cbranch_execz .LBB838_377
; %bb.376:
	v_and_b32_e32 v52, 7, v25
	v_ffbh_u32_e32 v44, v52
	v_min_u32_e32 v54, 32, v44
	v_mov_b32_e32 v24, v25
	v_subrev_u32_e32 v44, 28, v54
	v_lshlrev_b64 v[44:45], v44, v[24:25]
	v_lshrrev_b32_e32 v53, 3, v22
	v_sub_u32_e32 v24, 29, v54
	v_and_b32_e32 v44, 7, v44
	v_cmp_gt_u32_e32 vcc, 8, v22
	v_cndmask_b32_e32 v22, v53, v24, vcc
	v_cndmask_b32_e32 v24, v52, v44, vcc
	v_lshlrev_b32_e32 v44, 24, v25
	v_bfrev_b32_e32 v45, 60
	v_lshlrev_b32_e32 v24, 20, v24
	v_and_b32_e32 v44, 0x80000000, v44
	v_lshl_add_u32 v22, v22, 23, v45
	v_or3_b32 v22, v44, v22, v24
	v_lshrrev_b32_e32 v45, 16, v22
.LBB838_377:
	s_or_b64 exec, exec, s[10:11]
.LBB838_378:
	s_or_b64 exec, exec, s[8:9]
.LBB838_379:
	s_or_b64 exec, exec, s[2:3]
	v_lshrrev_b16_e32 v22, 8, v25
	v_cmp_ne_u16_e32 vcc, 0, v22
	v_mov_b32_e32 v53, 0
	v_mov_b32_e32 v52, 0
	s_and_saveexec_b64 s[2:3], vcc
	s_cbranch_execz .LBB838_385
; %bb.380:
	s_movk_i32 s8, 0x80
	v_cmp_ne_u16_e32 vcc, s8, v22
	v_mov_b32_e32 v52, 0xffff8000
	s_and_saveexec_b64 s[8:9], vcc
	s_cbranch_execz .LBB838_384
; %bb.381:
	s_movk_i32 s10, 0x7f
	v_and_b32_e32 v24, 0x7f, v22
	v_cmp_ne_u32_e32 vcc, s10, v24
	v_mov_b32_e32 v52, 0x7f80
	s_and_saveexec_b64 s[10:11], vcc
	s_cbranch_execz .LBB838_383
; %bb.382:
	v_and_b32_e32 v44, 7, v22
	v_ffbh_u32_e32 v54, v44
	v_min_u32_e32 v56, 32, v54
	v_subrev_u32_e32 v54, 28, v56
	v_lshlrev_b64 v[54:55], v54, v[22:23]
	v_lshrrev_b32_e32 v52, 3, v24
	v_sub_u32_e32 v22, 29, v56
	v_and_b32_e32 v54, 7, v54
	v_cmp_gt_u32_e32 vcc, 8, v24
	v_cndmask_b32_e32 v22, v52, v22, vcc
	v_cndmask_b32_e32 v24, v44, v54, vcc
	v_lshlrev_b32_e32 v44, 16, v25
	v_bfrev_b32_e32 v52, 60
	v_lshlrev_b32_e32 v24, 20, v24
	v_and_b32_e32 v44, 0x80000000, v44
	v_lshl_add_u32 v22, v22, 23, v52
	v_or3_b32 v22, v44, v22, v24
	v_lshrrev_b32_e32 v52, 16, v22
.LBB838_383:
	s_or_b64 exec, exec, s[10:11]
.LBB838_384:
	s_or_b64 exec, exec, s[8:9]
.LBB838_385:
	s_or_b64 exec, exec, s[2:3]
	s_movk_i32 s2, 0xff
	v_and_b32_sdwa v24, v25, s2 dst_sel:DWORD dst_unused:UNUSED_PAD src0_sel:WORD_1 src1_sel:DWORD
	v_lshrrev_b32_e32 v22, 16, v25
	v_cmp_ne_u16_e32 vcc, 0, v24
	s_and_saveexec_b64 s[2:3], vcc
	s_cbranch_execz .LBB838_391
; %bb.386:
	s_movk_i32 s8, 0x80
	v_cmp_ne_u16_e32 vcc, s8, v24
	v_mov_b32_e32 v53, 0xffff8000
	s_and_saveexec_b64 s[8:9], vcc
	s_cbranch_execz .LBB838_390
; %bb.387:
	v_bfe_u32 v24, v25, 16, 7
	s_movk_i32 s10, 0x7f
	v_cmp_ne_u32_e32 vcc, s10, v24
	v_mov_b32_e32 v53, 0x7f80
	s_and_saveexec_b64 s[10:11], vcc
	s_cbranch_execz .LBB838_389
; %bb.388:
	v_and_b32_e32 v44, 7, v22
	v_ffbh_u32_e32 v54, v44
	v_min_u32_e32 v56, 32, v54
	v_subrev_u32_e32 v54, 28, v56
	v_lshlrev_b64 v[54:55], v54, v[22:23]
	v_and_b32_e32 v54, 7, v54
	v_cmp_gt_u32_e32 vcc, 8, v24
	v_lshrrev_b32_e32 v53, 3, v24
	v_sub_u32_e32 v22, 29, v56
	v_cndmask_b32_e32 v24, v44, v54, vcc
	v_mov_b32_e32 v44, 24
	v_cndmask_b32_e32 v22, v53, v22, vcc
	v_lshlrev_b32_sdwa v44, v44, v25 dst_sel:DWORD dst_unused:UNUSED_PAD src0_sel:DWORD src1_sel:WORD_1
	v_bfrev_b32_e32 v53, 60
	v_lshlrev_b32_e32 v24, 20, v24
	v_and_b32_e32 v44, 0x80000000, v44
	v_lshl_add_u32 v22, v22, 23, v53
	v_or3_b32 v22, v44, v22, v24
	v_lshrrev_b32_e32 v53, 16, v22
.LBB838_389:
	s_or_b64 exec, exec, s[10:11]
.LBB838_390:
	s_or_b64 exec, exec, s[8:9]
.LBB838_391:
	s_or_b64 exec, exec, s[2:3]
	s_mov_b32 s2, 0xffffff
	v_and_b32_e32 v44, 63, v0
	v_cmp_lt_u32_e32 vcc, s2, v25
	v_mov_b32_e32 v54, 0
	s_and_saveexec_b64 s[2:3], vcc
	s_cbranch_execz .LBB838_397
; %bb.392:
	v_lshrrev_b32_e32 v22, 24, v25
	s_movk_i32 s8, 0x80
	v_cmp_ne_u32_e32 vcc, s8, v22
	v_mov_b32_e32 v54, 0xffff8000
	s_and_saveexec_b64 s[8:9], vcc
	s_cbranch_execz .LBB838_396
; %bb.393:
	v_bfe_u32 v24, v25, 24, 7
	s_movk_i32 s10, 0x7f
	v_cmp_ne_u32_e32 vcc, s10, v24
	v_mov_b32_e32 v54, 0x7f80
	s_and_saveexec_b64 s[10:11], vcc
	s_cbranch_execz .LBB838_395
; %bb.394:
	v_and_b32_e32 v25, 7, v22
	v_ffbh_u32_e32 v54, v25
	v_min_u32_e32 v57, 32, v54
	v_subrev_u32_e32 v54, 28, v57
	v_lshlrev_b64 v[54:55], v54, v[22:23]
	v_lshrrev_b32_e32 v56, 3, v24
	v_sub_u32_e32 v55, 29, v57
	v_and_b32_e32 v54, 7, v54
	v_cmp_gt_u32_e32 vcc, 8, v24
	v_cndmask_b32_e32 v24, v56, v55, vcc
	v_cndmask_b32_e32 v25, v25, v54, vcc
	v_lshlrev_b32_e32 v22, 24, v22
	v_bfrev_b32_e32 v54, 60
	v_lshlrev_b32_e32 v25, 20, v25
	v_and_b32_e32 v22, 0x80000000, v22
	v_lshl_add_u32 v24, v24, 23, v54
	v_or3_b32 v22, v22, v24, v25
	v_lshrrev_b32_e32 v54, 16, v22
.LBB838_395:
	s_or_b64 exec, exec, s[10:11]
.LBB838_396:
	s_or_b64 exec, exec, s[8:9]
.LBB838_397:
	s_or_b64 exec, exec, s[2:3]
	s_mov_b32 s3, 0x5040100
	v_perm_b32 v43, v51, v43, s3
	v_perm_b32 v42, v23, v42, s3
	s_load_dword s2, s[4:5], 0x1c
	s_mov_b32 s46, 0xff7fffff
	s_waitcnt lgkmcnt(0)
	v_mfma_f32_16x16x16bf16_1k v[26:29], v[42:43], v[18:19], v[26:29]
	v_perm_b32 v19, v54, v53, s3
	v_perm_b32 v18, v52, v45, s3
	v_mov_b32_e32 v22, s2
	v_mul_f32_e32 v56, s12, v22
	v_pk_mul_f32 v[22:23], v[56:57], v[32:33] op_sel_hi:[0,1]
	v_pk_mul_f32 v[32:33], v[56:57], v[38:39] op_sel_hi:[0,1]
	v_and_b32_e32 v38, 0xc0, v0
	v_mfma_f32_16x16x16bf16_1k v[26:29], v[18:19], v[20:21], v[26:29]
	v_add_u32_e32 v38, s18, v38
	v_lshl_or_b32 v38, v1, 2, v38
	v_or_b32_e32 v39, 1, v38
	v_pk_mul_f32 v[24:25], v[56:57], v[30:31] op_sel_hi:[0,1]
	v_pk_mul_f32 v[30:31], v[56:57], v[40:41] op_sel_hi:[0,1]
	v_subrev_u32_e32 v40, s33, v39
	v_pk_mul_f32 v[34:35], v[56:57], v[34:35] op_sel_hi:[0,1]
	s_nop 3
	v_pk_mul_f32 v[20:21], v[56:57], v[26:27] op_sel_hi:[0,1]
	v_add_u32_e32 v27, 1, v40
	v_pk_mul_f32 v[18:19], v[56:57], v[28:29] op_sel_hi:[0,1]
	v_cvt_f32_i32_e32 v27, v27
	v_add_u32_e32 v29, 3, v40
	v_cvt_f32_i32_e32 v29, v29
	v_cvt_f32_i32_e32 v26, v40
	v_pk_mul_f32 v[36:37], v[56:57], v[36:37] op_sel_hi:[0,1]
	v_fmac_f32_e32 v35, v50, v27
	v_add_u32_e32 v27, 16, v40
	v_fmac_f32_e32 v37, v50, v29
	v_cvt_f32_i32_e32 v27, v27
	v_add_u32_e32 v29, 17, v40
	v_fma_f32 v26, v50, v26, v34
	v_cvt_f32_i32_e32 v29, v29
	v_add_u32_e32 v34, 18, v40
	v_cvt_f32_i32_e32 v34, v34
	v_fma_f32 v41, v50, v27, v32
	v_add_u32_e32 v27, 32, v40
	v_fmac_f32_e32 v33, v50, v29
	v_cvt_f32_i32_e32 v27, v27
	v_add_u32_e32 v29, 33, v40
	v_add_u32_e32 v32, 34, v40
	v_fma_f32 v30, v50, v34, v30
	v_cvt_f32_i32_e32 v29, v29
	v_cvt_f32_i32_e32 v32, v32
	v_add_u32_e32 v34, 35, v40
	v_cvt_f32_i32_e32 v34, v34
	v_fma_f32 v24, v50, v27, v24
	v_add_u32_e32 v27, 48, v40
	v_fmac_f32_e32 v25, v50, v29
	v_fma_f32 v22, v50, v32, v22
	v_cvt_f32_i32_e32 v27, v27
	v_add_u32_e32 v29, 49, v40
	v_add_u32_e32 v32, 50, v40
	v_fmac_f32_e32 v23, v50, v34
	v_cvt_f32_i32_e32 v29, v29
	v_cvt_f32_i32_e32 v32, v32
	v_add_u32_e32 v34, 51, v40
	v_add_u32_e32 v28, 2, v40
	v_cvt_f32_i32_e32 v34, v34
	v_cvt_f32_i32_e32 v28, v28
	v_fma_f32 v20, v50, v27, v20
	v_mov_b32_e32 v27, 0xff7fffff
	v_cmp_gt_i32_e64 s[26:27], s33, v38
	v_cmp_gt_i32_e64 s[28:29], s33, v39
	v_fmac_f32_e32 v21, v50, v29
	v_fma_f32 v18, v50, v32, v18
	v_cndmask_b32_e64 v29, v27, v26, s[26:27]
	v_cndmask_b32_e64 v32, v27, v35, s[28:29]
	v_fmac_f32_e32 v19, v50, v34
	v_max3_f32 v29, v29, s46, v32
	v_or_b32_e32 v32, 2, v38
	v_or_b32_e32 v34, 3, v38
	v_fma_f32 v28, v50, v28, v36
	v_cmp_gt_i32_e64 s[30:31], s33, v32
	v_cmp_gt_i32_e64 s[34:35], s33, v34
	v_add_u32_e32 v36, 19, v40
	v_cndmask_b32_e64 v32, v27, v28, s[30:31]
	v_cndmask_b32_e64 v34, v27, v37, s[34:35]
	v_cvt_f32_i32_e32 v36, v36
	v_max3_f32 v29, v29, v32, v34
	v_or_b32_e32 v32, 16, v38
	v_or_b32_e32 v34, 17, v38
	v_cmp_gt_i32_e64 s[36:37], s33, v32
	v_cmp_gt_i32_e64 s[38:39], s33, v34
	v_cndmask_b32_e64 v32, v27, v41, s[36:37]
	v_cndmask_b32_e64 v34, v27, v33, s[38:39]
	v_max3_f32 v29, v29, v32, v34
	v_or_b32_e32 v32, 18, v38
	v_or_b32_e32 v34, 19, v38
	v_fmac_f32_e32 v31, v50, v36
	v_cmp_gt_i32_e64 s[20:21], s33, v32
	v_cmp_gt_i32_e64 s[22:23], s33, v34
	v_cndmask_b32_e64 v32, v27, v30, s[20:21]
	v_cndmask_b32_e64 v34, v27, v31, s[22:23]
	v_max3_f32 v29, v29, v32, v34
	v_or_b32_e32 v32, 32, v38
	v_or_b32_e32 v34, 33, v38
	v_cmp_gt_i32_e64 s[16:17], s33, v32
	v_cmp_gt_i32_e64 s[18:19], s33, v34
	v_cndmask_b32_e64 v32, v27, v24, s[16:17]
	v_cndmask_b32_e64 v34, v27, v25, s[18:19]
	v_max3_f32 v29, v29, v32, v34
	v_or_b32_e32 v32, 34, v38
	v_or_b32_e32 v34, 35, v38
	v_cmp_gt_i32_e64 s[12:13], s33, v32
	v_cmp_gt_i32_e64 s[14:15], s33, v34
	v_cndmask_b32_e64 v32, v27, v22, s[12:13]
	v_cndmask_b32_e64 v34, v27, v23, s[14:15]
	v_max3_f32 v29, v29, v32, v34
	v_or_b32_e32 v32, 48, v38
	v_or_b32_e32 v34, 49, v38
	v_cmp_gt_i32_e64 s[8:9], s33, v32
	v_cmp_gt_i32_e64 s[10:11], s33, v34
	v_cndmask_b32_e64 v32, v27, v20, s[8:9]
	v_cndmask_b32_e64 v34, v27, v21, s[10:11]
	v_max3_f32 v29, v29, v32, v34
	v_or_b32_e32 v32, 50, v38
	v_or_b32_e32 v34, 51, v38
	v_cmp_gt_i32_e32 vcc, s33, v32
	v_cmp_gt_i32_e64 s[2:3], s33, v34
	v_cndmask_b32_e32 v32, v27, v18, vcc
	v_cndmask_b32_e64 v27, v27, v19, s[2:3]
	v_max3_f32 v27, v29, v32, v27
	v_mbcnt_lo_u32_b32 v29, -1, 0
	v_mbcnt_hi_u32_b32 v29, -1, v29
	v_and_b32_e32 v32, 64, v29
	v_add_u32_e32 v32, 64, v32
	v_xor_b32_e32 v34, 32, v29
	v_cmp_lt_i32_e64 s[40:41], v34, v32
	v_cndmask_b32_e64 v34, v29, v34, s[40:41]
	v_lshlrev_b32_e32 v36, 2, v34
	ds_bpermute_b32 v34, v36, v27
	s_barrier
	s_waitcnt lgkmcnt(0)
	v_max_f32_e32 v34, v34, v34
	v_max_f32_e32 v27, v27, v34
	v_xor_b32_e32 v34, 16, v29
	v_cmp_lt_i32_e64 s[40:41], v34, v32
	v_cndmask_b32_e64 v29, v29, v34, s[40:41]
	v_lshlrev_b32_e32 v38, 2, v29
	ds_bpermute_b32 v29, v38, v27
	s_waitcnt lgkmcnt(0)
	v_max_f32_e32 v29, v29, v29
	v_max_f32_e32 v32, v27, v29
	v_sub_f32_e32 v26, v26, v32
	v_mul_f32_e32 v26, 0x3fb8aa3b, v26
	v_sub_f32_e32 v27, v35, v32
	v_exp_f32_e32 v26, v26
	v_mul_f32_e32 v27, 0x3fb8aa3b, v27
	v_sub_f32_e32 v28, v28, v32
	v_exp_f32_e32 v27, v27
	v_mul_f32_e32 v28, 0x3fb8aa3b, v28
	v_exp_f32_e32 v28, v28
	v_cndmask_b32_e64 v26, 0, v26, s[26:27]
	v_sub_f32_e32 v34, v37, v32
	v_add_f32_e32 v29, 0, v26
	v_cndmask_b32_e64 v27, 0, v27, s[28:29]
	v_mul_f32_e32 v34, 0x3fb8aa3b, v34
	v_exp_f32_e32 v35, v34
	v_add_f32_e32 v29, v29, v27
	v_cndmask_b32_e64 v34, 0, v28, s[30:31]
	v_add_f32_e32 v28, v29, v34
	v_sub_f32_e32 v29, v41, v32
	v_mul_f32_e32 v29, 0x3fb8aa3b, v29
	v_sub_f32_e32 v33, v33, v32
	v_exp_f32_e32 v29, v29
	v_mul_f32_e32 v33, 0x3fb8aa3b, v33
	v_sub_f32_e32 v30, v30, v32
	v_exp_f32_e32 v33, v33
	;; [unrolled: 3-line block ×3, first 2 shown]
	v_mul_f32_e32 v31, 0x3fb8aa3b, v31
	v_sub_f32_e32 v24, v24, v32
	v_cndmask_b32_e64 v35, 0, v35, s[34:35]
	v_exp_f32_e32 v31, v31
	v_mul_f32_e32 v24, 0x3fb8aa3b, v24
	v_sub_f32_e32 v25, v25, v32
	v_add_f32_e32 v37, v28, v35
	v_cndmask_b32_e64 v28, 0, v29, s[36:37]
	v_exp_f32_e32 v24, v24
	v_mul_f32_e32 v25, 0x3fb8aa3b, v25
	v_sub_f32_e32 v22, v22, v32
	v_add_f32_e32 v37, v37, v28
	;; [unrolled: 5-line block ×7, first 2 shown]
	v_cndmask_b32_e64 v22, 0, v22, s[12:13]
	v_exp_f32_e32 v18, v18
	v_mul_f32_e32 v19, 0x3fb8aa3b, v19
	v_add_f32_e32 v33, v33, v22
	v_cndmask_b32_e64 v23, 0, v23, s[14:15]
	v_exp_f32_e32 v19, v19
	v_add_f32_e32 v33, v33, v23
	v_cndmask_b32_e64 v20, 0, v20, s[8:9]
	v_add_f32_e32 v33, v33, v20
	v_cndmask_b32_e64 v21, 0, v21, s[10:11]
	v_add_f32_e32 v33, v33, v21
	v_cndmask_b32_e32 v18, 0, v18, vcc
	v_add_f32_e32 v33, v33, v18
	v_cndmask_b32_e64 v19, 0, v19, s[2:3]
	v_add_f32_e32 v33, v33, v19
	ds_bpermute_b32 v36, v36, v33
	v_cmp_gt_u32_e64 s[2:3], 16, v44
	s_waitcnt lgkmcnt(0)
	v_add_f32_e32 v36, v33, v36
	ds_bpermute_b32 v37, v38, v36
	v_lshlrev_b32_e32 v33, 2, v48
	s_and_saveexec_b64 s[8:9], s[2:3]
	s_cbranch_execz .LBB838_399
; %bb.398:
	s_waitcnt lgkmcnt(0)
	v_add_f32_e32 v36, v36, v37
	v_lshl_or_b32 v37, v49, 6, v33
	ds_write2st64_b32 v37, v32, v36 offset1:1
.LBB838_399:
	s_or_b64 exec, exec, s[8:9]
	s_waitcnt lgkmcnt(0)
	s_barrier
	ds_read2_b32 v[36:37], v33 offset1:16
	ds_read2_b32 v[38:39], v33 offset0:32 offset1:48
	ds_read2_b32 v[40:41], v33 offset0:64 offset1:80
	s_mul_i32 s14, s45, 9
	s_waitcnt lgkmcnt(2)
	v_max3_f32 v32, v36, s46, v37
	s_waitcnt lgkmcnt(1)
	v_max3_f32 v32, v32, v38, v39
	v_sub_f32_e32 v36, v36, v32
	v_mul_f32_e32 v36, 0x3fb8aa3b, v36
	v_exp_f32_e32 v42, v36
	v_sub_f32_e32 v36, v37, v32
	v_mul_f32_e32 v36, 0x3fb8aa3b, v36
	v_exp_f32_e32 v43, v36
	;; [unrolled: 3-line block ×3, first 2 shown]
	ds_read2_b32 v[36:37], v33 offset0:96 offset1:112
	v_sub_f32_e32 v33, v39, v32
	v_mul_f32_e32 v33, 0x3fb8aa3b, v33
	v_exp_f32_e32 v39, v33
	s_waitcnt lgkmcnt(1)
	v_fma_f32 v33, v42, v40, 0
	v_fmac_f32_e32 v33, v43, v41
	s_waitcnt lgkmcnt(0)
	v_fmac_f32_e32 v33, v38, v36
	v_fmac_f32_e32 v33, v39, v37
	v_add_f32_e32 v36, 0x358637bd, v33
	v_div_scale_f32 v37, s[8:9], v36, v36, 1.0
	v_rcp_f32_e32 v40, v37
	s_movk_i32 s8, 0x7fff
	s_mov_b32 s9, 0x7060302
	v_fma_f32 v41, -v37, v40, 1.0
	v_fmac_f32_e32 v40, v41, v40
	v_div_scale_f32 v41, vcc, 1.0, v36, 1.0
	v_mul_f32_e32 v44, v41, v40
	v_fma_f32 v45, -v37, v44, v41
	v_fmac_f32_e32 v44, v45, v40
	v_fma_f32 v37, -v37, v44, v41
	v_div_fmas_f32 v37, v37, v40, v44
	v_cmp_eq_u32_e32 vcc, 1, v49
	v_div_fixup_f32 v36, v37, v36, 1.0
	v_cndmask_b32_e32 v37, v42, v43, vcc
	v_cmp_eq_u32_e32 vcc, 2, v49
	v_cndmask_b32_e32 v37, v37, v38, vcc
	v_cmp_eq_u32_e32 vcc, 3, v49
	v_cndmask_b32_e32 v37, v37, v39, vcc
	v_mul_f32_e32 v36, v37, v36
	v_pk_mul_f32 v[26:27], v[36:37], v[26:27] op_sel_hi:[0,1]
	v_pk_mul_f32 v[34:35], v[36:37], v[34:35] op_sel_hi:[0,1]
	v_bfe_u32 v37, v27, 16, 1
	v_bfe_u32 v38, v26, 16, 1
	v_add3_u32 v26, v26, v38, s8
	v_add3_u32 v27, v27, v37, s8
	v_perm_b32 v38, v27, v26, s9
	v_bfe_u32 v26, v35, 16, 1
	v_bfe_u32 v27, v34, 16, 1
	v_add3_u32 v27, v34, v27, s8
	v_add3_u32 v26, v35, v26, s8
	v_perm_b32 v39, v26, v27, s9
	v_lshlrev_b32_e32 v26, 3, v1
	v_lshlrev_b32_e32 v27, 5, v48
	;; [unrolled: 1-line block ×3, first 2 shown]
	v_pk_mul_f32 v[28:29], v[36:37], v[28:29] op_sel_hi:[0,1]
	v_or3_b32 v26, v34, v27, v26
	v_bfe_u32 v34, v29, 16, 1
	v_bfe_u32 v35, v28, 16, 1
	v_pk_mul_f32 v[30:31], v[36:37], v[30:31] op_sel_hi:[0,1]
	v_add3_u32 v28, v28, v35, s8
	v_add3_u32 v29, v29, v34, s8
	v_perm_b32 v28, v29, v28, s9
	v_bfe_u32 v29, v31, 16, 1
	v_bfe_u32 v34, v30, 16, 1
	v_add3_u32 v30, v30, v34, s8
	v_add3_u32 v29, v31, v29, s8
	v_perm_b32 v29, v29, v30, s9
	v_pk_mul_f32 v[24:25], v[36:37], v[24:25] op_sel_hi:[0,1]
	s_barrier
	ds_write2st64_b64 v26, v[38:39], v[28:29] offset1:1
	v_bfe_u32 v28, v25, 16, 1
	v_bfe_u32 v29, v24, 16, 1
	v_pk_mul_f32 v[22:23], v[36:37], v[22:23] op_sel_hi:[0,1]
	v_add3_u32 v24, v24, v29, s8
	v_add3_u32 v25, v25, v28, s8
	v_perm_b32 v24, v25, v24, s9
	v_bfe_u32 v25, v23, 16, 1
	v_bfe_u32 v28, v22, 16, 1
	v_add3_u32 v22, v22, v28, s8
	v_add3_u32 v23, v23, v25, s8
	v_pk_mul_f32 v[20:21], v[36:37], v[20:21] op_sel_hi:[0,1]
	v_perm_b32 v25, v23, v22, s9
	v_bfe_u32 v22, v21, 16, 1
	v_bfe_u32 v23, v20, 16, 1
	v_pk_mul_f32 v[18:19], v[36:37], v[18:19] op_sel_hi:[0,1]
	v_add3_u32 v20, v20, v23, s8
	v_add3_u32 v21, v21, v22, s8
	v_perm_b32 v20, v21, v20, s9
	v_bfe_u32 v21, v19, 16, 1
	v_bfe_u32 v22, v18, 16, 1
	v_add3_u32 v18, v18, v22, s8
	v_add3_u32 v19, v19, v21, s8
	v_perm_b32 v21, v19, v18, s9
	v_cmp_gt_u32_e32 vcc, 9, v0
	ds_write2st64_b64 v26, v[24:25], v[20:21] offset0:2 offset1:3
	s_and_saveexec_b64 s[8:9], vcc
	s_cbranch_execz .LBB838_401
; %bb.400:
	v_add_co_u32_e32 v20, vcc, s25, v48
	v_addc_co_u32_e64 v21, s[10:11], 0, 0, vcc
	v_mov_b32_e32 v18, s14
	v_mov_b32_e32 v19, 0
	v_mad_u64_u32 v[20:21], s[10:11], s6, v18, v[20:21]
	v_mov_b32_e32 v18, s24
	s_load_dwordx4 s[16:19], s[4:5], 0x58
	s_mul_i32 s7, s7, s14
	v_mad_u64_u32 v[18:19], s[10:11], v20, s44, v[18:19]
	v_add_u32_e32 v21, s7, v21
	v_mov_b32_e32 v20, v19
	v_mad_u64_u32 v[20:21], s[10:11], v21, s44, v[20:21]
	v_mov_b32_e32 v19, v20
	v_lshlrev_b64 v[18:19], 2, v[18:19]
	s_waitcnt lgkmcnt(0)
	v_mov_b32_e32 v21, s19
	v_add_co_u32_e32 v20, vcc, s18, v18
	v_addc_co_u32_e32 v21, vcc, v21, v19, vcc
	global_store_dword v[20:21], v32, off
	v_mov_b32_e32 v20, s17
	v_add_co_u32_e32 v18, vcc, s16, v18
	v_addc_co_u32_e32 v19, vcc, v20, v19, vcc
	global_store_dword v[18:19], v33, off
.LBB838_401:
	s_or_b64 exec, exec, s[8:9]
	v_mov_b32_e32 v19, 0
	s_waitcnt vmcnt(3)
	v_cmp_ne_u16_sdwa s[10:11], v14, v19 src0_sel:BYTE_0 src1_sel:DWORD
	v_mov_b32_e32 v20, 0
	s_waitcnt lgkmcnt(0)
	s_barrier
	s_and_saveexec_b64 s[8:9], s[10:11]
	s_cbranch_execz .LBB838_407
; %bb.402:
	s_movk_i32 s7, 0x80
	v_cmp_ne_u16_sdwa s[12:13], v14, s7 src0_sel:BYTE_0 src1_sel:DWORD
	v_mov_b32_e32 v20, 0xffff8000
	s_and_saveexec_b64 s[10:11], s[12:13]
	s_cbranch_execz .LBB838_406
; %bb.403:
	s_movk_i32 s7, 0x7f
	v_and_b32_e32 v18, 0x7f, v14
	v_cmp_ne_u32_e32 vcc, s7, v18
	v_mov_b32_e32 v20, 0x7f80
	s_and_saveexec_b64 s[12:13], vcc
	s_cbranch_execz .LBB838_405
; %bb.404:
	v_and_b32_e32 v22, 7, v14
	v_ffbh_u32_e32 v20, v22
	v_min_u32_e32 v24, 32, v20
	v_subrev_u32_e32 v20, 28, v24
	v_lshlrev_b64 v[20:21], v20, v[14:15]
	v_lshrrev_b32_e32 v23, 3, v18
	v_sub_u32_e32 v21, 29, v24
	v_and_b32_e32 v20, 7, v20
	v_cmp_gt_u32_e32 vcc, 8, v18
	v_cndmask_b32_e32 v18, v23, v21, vcc
	v_cndmask_b32_e32 v20, v22, v20, vcc
	v_lshlrev_b32_e32 v21, 24, v14
	v_bfrev_b32_e32 v22, 60
	v_lshlrev_b32_e32 v20, 20, v20
	v_and_b32_e32 v21, 0x80000000, v21
	v_lshl_add_u32 v18, v18, 23, v22
	v_or3_b32 v18, v21, v18, v20
	v_lshrrev_b32_e32 v20, 16, v18
.LBB838_405:
	s_or_b64 exec, exec, s[12:13]
.LBB838_406:
	s_or_b64 exec, exec, s[10:11]
.LBB838_407:
	s_or_b64 exec, exec, s[8:9]
	v_lshrrev_b16_e32 v18, 8, v14
	v_cmp_ne_u16_e32 vcc, 0, v18
	s_and_saveexec_b64 s[8:9], vcc
	s_cbranch_execz .LBB838_413
; %bb.408:
	s_movk_i32 s7, 0x80
	v_cmp_ne_u16_e32 vcc, s7, v18
	v_mov_b32_e32 v19, 0xffff8000
	s_and_saveexec_b64 s[10:11], vcc
	s_cbranch_execz .LBB838_412
; %bb.409:
	s_movk_i32 s7, 0x7f
	v_and_b32_e32 v21, 0x7f, v18
	v_cmp_ne_u32_e32 vcc, s7, v21
	v_mov_b32_e32 v19, 0x7f80
	s_and_saveexec_b64 s[12:13], vcc
	s_cbranch_execz .LBB838_411
; %bb.410:
	v_and_b32_e32 v22, 7, v18
	v_ffbh_u32_e32 v19, v22
	v_min_u32_e32 v24, 32, v19
	v_subrev_u32_e32 v19, 28, v24
	v_lshlrev_b64 v[18:19], v19, v[18:19]
	v_lshrrev_b32_e32 v23, 3, v21
	v_sub_u32_e32 v19, 29, v24
	v_and_b32_e32 v18, 7, v18
	v_cmp_gt_u32_e32 vcc, 8, v21
	v_cndmask_b32_e32 v19, v23, v19, vcc
	v_cndmask_b32_e32 v18, v22, v18, vcc
	v_lshlrev_b32_e32 v21, 16, v14
	v_bfrev_b32_e32 v22, 60
	v_lshlrev_b32_e32 v18, 20, v18
	v_and_b32_e32 v21, 0x80000000, v21
	v_lshl_add_u32 v19, v19, 23, v22
	v_or3_b32 v18, v21, v19, v18
	v_lshrrev_b32_e32 v19, 16, v18
.LBB838_411:
	s_or_b64 exec, exec, s[12:13]
.LBB838_412:
	s_or_b64 exec, exec, s[10:11]
.LBB838_413:
	s_or_b64 exec, exec, s[8:9]
	s_movk_i32 s7, 0xff
	v_and_b32_sdwa v23, v14, s7 dst_sel:DWORD dst_unused:UNUSED_PAD src0_sel:WORD_1 src1_sel:DWORD
	v_lshrrev_b32_e32 v18, 16, v14
	v_cmp_ne_u16_e32 vcc, 0, v23
	v_mov_b32_e32 v21, 0
	v_mov_b32_e32 v22, 0
	s_and_saveexec_b64 s[8:9], vcc
	s_cbranch_execz .LBB838_419
; %bb.414:
	s_movk_i32 s7, 0x80
	v_cmp_ne_u16_e32 vcc, s7, v23
	v_mov_b32_e32 v22, 0xffff8000
	s_and_saveexec_b64 s[10:11], vcc
	s_cbranch_execz .LBB838_418
; %bb.415:
	v_bfe_u32 v23, v14, 16, 7
	s_movk_i32 s7, 0x7f
	v_cmp_ne_u32_e32 vcc, s7, v23
	v_mov_b32_e32 v22, 0x7f80
	s_and_saveexec_b64 s[12:13], vcc
	s_cbranch_execz .LBB838_417
; %bb.416:
	v_and_b32_e32 v22, 7, v18
	v_ffbh_u32_e32 v24, v22
	v_min_u32_e32 v29, 32, v24
	v_subrev_u32_e32 v24, 28, v29
	v_lshlrev_b64 v[24:25], v24, v[18:19]
	v_lshrrev_b32_e32 v28, 3, v23
	v_sub_u32_e32 v18, 29, v29
	v_and_b32_e32 v24, 7, v24
	v_cmp_gt_u32_e32 vcc, 8, v23
	v_mov_b32_e32 v23, 24
	v_cndmask_b32_e32 v18, v28, v18, vcc
	v_cndmask_b32_e32 v22, v22, v24, vcc
	v_lshlrev_b32_sdwa v23, v23, v14 dst_sel:DWORD dst_unused:UNUSED_PAD src0_sel:DWORD src1_sel:WORD_1
	v_bfrev_b32_e32 v24, 60
	v_lshlrev_b32_e32 v22, 20, v22
	v_and_b32_e32 v23, 0x80000000, v23
	v_lshl_add_u32 v18, v18, 23, v24
	v_or3_b32 v18, v23, v18, v22
	v_lshrrev_b32_e32 v22, 16, v18
.LBB838_417:
	s_or_b64 exec, exec, s[12:13]
.LBB838_418:
	s_or_b64 exec, exec, s[10:11]
.LBB838_419:
	s_or_b64 exec, exec, s[8:9]
	s_mov_b32 s7, 0xffffff
	v_cmp_lt_u32_e32 vcc, s7, v14
	s_and_saveexec_b64 s[8:9], vcc
	s_cbranch_execz .LBB838_425
; %bb.420:
	v_lshrrev_b32_e32 v18, 24, v14
	s_movk_i32 s7, 0x80
	v_cmp_ne_u32_e32 vcc, s7, v18
	v_mov_b32_e32 v21, 0xffff8000
	s_and_saveexec_b64 s[10:11], vcc
	s_cbranch_execz .LBB838_424
; %bb.421:
	v_bfe_u32 v14, v14, 24, 7
	s_movk_i32 s7, 0x7f
	v_cmp_ne_u32_e32 vcc, s7, v14
	v_mov_b32_e32 v21, 0x7f80
	s_and_saveexec_b64 s[12:13], vcc
	s_cbranch_execz .LBB838_423
; %bb.422:
	v_and_b32_e32 v21, 7, v18
	v_ffbh_u32_e32 v24, v21
	v_min_u32_e32 v28, 32, v24
	v_subrev_u32_e32 v24, 28, v28
	v_lshlrev_b64 v[24:25], v24, v[18:19]
	v_lshrrev_b32_e32 v23, 3, v14
	v_sub_u32_e32 v25, 29, v28
	v_and_b32_e32 v24, 7, v24
	v_cmp_gt_u32_e32 vcc, 8, v14
	v_cndmask_b32_e32 v14, v23, v25, vcc
	v_cndmask_b32_e32 v21, v21, v24, vcc
	v_lshlrev_b32_e32 v18, 24, v18
	v_bfrev_b32_e32 v23, 60
	v_lshlrev_b32_e32 v21, 20, v21
	v_and_b32_e32 v18, 0x80000000, v18
	v_lshl_add_u32 v14, v14, 23, v23
	v_or3_b32 v14, v18, v14, v21
	v_lshrrev_b32_e32 v21, 16, v14
.LBB838_423:
	s_or_b64 exec, exec, s[12:13]
.LBB838_424:
	s_or_b64 exec, exec, s[10:11]
.LBB838_425:
	s_or_b64 exec, exec, s[8:9]
	v_mov_b32_e32 v18, 0
	v_cmp_ne_u16_sdwa s[10:11], v15, v18 src0_sel:BYTE_0 src1_sel:DWORD
	v_mov_b32_e32 v23, 0
	s_and_saveexec_b64 s[8:9], s[10:11]
	s_cbranch_execz .LBB838_431
; %bb.426:
	s_movk_i32 s7, 0x80
	v_cmp_ne_u16_sdwa s[12:13], v15, s7 src0_sel:BYTE_0 src1_sel:DWORD
	v_mov_b32_e32 v23, 0xffff8000
	s_and_saveexec_b64 s[10:11], s[12:13]
	s_cbranch_execz .LBB838_430
; %bb.427:
	s_movk_i32 s7, 0x7f
	v_and_b32_e32 v14, 0x7f, v15
	v_cmp_ne_u32_e32 vcc, s7, v14
	v_mov_b32_e32 v23, 0x7f80
	s_and_saveexec_b64 s[12:13], vcc
	s_cbranch_execz .LBB838_429
; %bb.428:
	v_and_b32_e32 v23, 7, v15
	v_ffbh_u32_e32 v25, v23
	v_min_u32_e32 v29, 32, v25
	v_mov_b32_e32 v24, v15
	v_subrev_u32_e32 v25, 28, v29
	v_lshlrev_b64 v[24:25], v25, v[24:25]
	v_lshrrev_b32_e32 v28, 3, v14
	v_sub_u32_e32 v25, 29, v29
	v_and_b32_e32 v24, 7, v24
	v_cmp_gt_u32_e32 vcc, 8, v14
	v_cndmask_b32_e32 v14, v28, v25, vcc
	v_cndmask_b32_e32 v23, v23, v24, vcc
	v_lshlrev_b32_e32 v24, 24, v15
	v_bfrev_b32_e32 v25, 60
	v_lshlrev_b32_e32 v23, 20, v23
	v_and_b32_e32 v24, 0x80000000, v24
	v_lshl_add_u32 v14, v14, 23, v25
	v_or3_b32 v14, v24, v14, v23
	v_lshrrev_b32_e32 v23, 16, v14
.LBB838_429:
	s_or_b64 exec, exec, s[12:13]
.LBB838_430:
	s_or_b64 exec, exec, s[10:11]
.LBB838_431:
	s_or_b64 exec, exec, s[8:9]
	v_lshrrev_b16_e32 v14, 8, v15
	v_cmp_ne_u16_e32 vcc, 0, v14
	s_and_saveexec_b64 s[8:9], vcc
	s_cbranch_execz .LBB838_437
; %bb.432:
	s_movk_i32 s7, 0x80
	v_cmp_ne_u16_e32 vcc, s7, v14
	v_mov_b32_e32 v18, 0xffff8000
	s_and_saveexec_b64 s[10:11], vcc
	s_cbranch_execz .LBB838_436
; %bb.433:
	s_movk_i32 s7, 0x7f
	v_and_b32_e32 v24, 0x7f, v14
	v_cmp_ne_u32_e32 vcc, s7, v24
	v_mov_b32_e32 v18, 0x7f80
	s_and_saveexec_b64 s[12:13], vcc
	s_cbranch_execz .LBB838_435
; %bb.434:
	v_and_b32_e32 v18, 7, v14
	v_ffbh_u32_e32 v28, v18
	v_min_u32_e32 v30, 32, v28
	v_subrev_u32_e32 v28, 28, v30
	v_lshlrev_b64 v[28:29], v28, v[14:15]
	v_lshrrev_b32_e32 v25, 3, v24
	v_sub_u32_e32 v14, 29, v30
	v_and_b32_e32 v28, 7, v28
	v_cmp_gt_u32_e32 vcc, 8, v24
	v_cndmask_b32_e32 v14, v25, v14, vcc
	v_cndmask_b32_e32 v18, v18, v28, vcc
	v_lshlrev_b32_e32 v24, 16, v15
	v_bfrev_b32_e32 v25, 60
	v_lshlrev_b32_e32 v18, 20, v18
	v_and_b32_e32 v24, 0x80000000, v24
	v_lshl_add_u32 v14, v14, 23, v25
	v_or3_b32 v14, v24, v14, v18
	v_lshrrev_b32_e32 v18, 16, v14
.LBB838_435:
	s_or_b64 exec, exec, s[12:13]
.LBB838_436:
	s_or_b64 exec, exec, s[10:11]
.LBB838_437:
	s_or_b64 exec, exec, s[8:9]
	s_movk_i32 s7, 0xff
	v_and_b32_sdwa v28, v15, s7 dst_sel:DWORD dst_unused:UNUSED_PAD src0_sel:WORD_1 src1_sel:DWORD
	v_lshrrev_b32_e32 v14, 16, v15
	v_cmp_ne_u16_e32 vcc, 0, v28
	v_mov_b32_e32 v24, 0
	v_mov_b32_e32 v25, 0
	s_and_saveexec_b64 s[8:9], vcc
	s_cbranch_execz .LBB838_443
; %bb.438:
	s_movk_i32 s7, 0x80
	v_cmp_ne_u16_e32 vcc, s7, v28
	v_mov_b32_e32 v25, 0xffff8000
	s_and_saveexec_b64 s[10:11], vcc
	s_cbranch_execz .LBB838_442
; %bb.439:
	v_bfe_u32 v28, v15, 16, 7
	s_movk_i32 s7, 0x7f
	v_cmp_ne_u32_e32 vcc, s7, v28
	v_mov_b32_e32 v25, 0x7f80
	s_and_saveexec_b64 s[12:13], vcc
	s_cbranch_execz .LBB838_441
; %bb.440:
	v_and_b32_e32 v25, 7, v14
	v_ffbh_u32_e32 v30, v25
	v_min_u32_e32 v32, 32, v30
	v_subrev_u32_e32 v30, 28, v32
	v_lshlrev_b64 v[30:31], v30, v[14:15]
	v_lshrrev_b32_e32 v29, 3, v28
	v_sub_u32_e32 v14, 29, v32
	v_and_b32_e32 v30, 7, v30
	v_cmp_gt_u32_e32 vcc, 8, v28
	v_mov_b32_e32 v28, 24
	v_cndmask_b32_e32 v14, v29, v14, vcc
	v_cndmask_b32_e32 v25, v25, v30, vcc
	v_lshlrev_b32_sdwa v28, v28, v15 dst_sel:DWORD dst_unused:UNUSED_PAD src0_sel:DWORD src1_sel:WORD_1
	v_bfrev_b32_e32 v29, 60
	v_lshlrev_b32_e32 v25, 20, v25
	v_and_b32_e32 v28, 0x80000000, v28
	v_lshl_add_u32 v14, v14, 23, v29
	v_or3_b32 v14, v28, v14, v25
	v_lshrrev_b32_e32 v25, 16, v14
.LBB838_441:
	s_or_b64 exec, exec, s[12:13]
.LBB838_442:
	s_or_b64 exec, exec, s[10:11]
.LBB838_443:
	s_or_b64 exec, exec, s[8:9]
	s_mov_b32 s7, 0xffffff
	v_cmp_lt_u32_e32 vcc, s7, v15
	s_and_saveexec_b64 s[8:9], vcc
	s_cbranch_execz .LBB838_449
; %bb.444:
	v_lshrrev_b32_e32 v14, 24, v15
	s_movk_i32 s7, 0x80
	v_cmp_ne_u32_e32 vcc, s7, v14
	v_mov_b32_e32 v24, 0xffff8000
	s_and_saveexec_b64 s[10:11], vcc
	s_cbranch_execz .LBB838_448
; %bb.445:
	v_bfe_u32 v15, v15, 24, 7
	s_movk_i32 s7, 0x7f
	v_cmp_ne_u32_e32 vcc, s7, v15
	v_mov_b32_e32 v24, 0x7f80
	s_and_saveexec_b64 s[12:13], vcc
	s_cbranch_execz .LBB838_447
; %bb.446:
	v_and_b32_e32 v24, 7, v14
	v_ffbh_u32_e32 v28, v24
	v_min_u32_e32 v31, 32, v28
	v_subrev_u32_e32 v28, 28, v31
	v_lshlrev_b64 v[28:29], v28, v[14:15]
	v_lshrrev_b32_e32 v30, 3, v15
	v_sub_u32_e32 v29, 29, v31
	v_and_b32_e32 v28, 7, v28
	v_cmp_gt_u32_e32 vcc, 8, v15
	v_cndmask_b32_e32 v15, v30, v29, vcc
	v_cndmask_b32_e32 v24, v24, v28, vcc
	v_lshlrev_b32_e32 v14, 24, v14
	v_bfrev_b32_e32 v28, 60
	v_lshlrev_b32_e32 v24, 20, v24
	v_and_b32_e32 v14, 0x80000000, v14
	v_lshl_add_u32 v15, v15, 23, v28
	v_or3_b32 v14, v14, v15, v24
	v_lshrrev_b32_e32 v24, 16, v14
.LBB838_447:
	s_or_b64 exec, exec, s[12:13]
.LBB838_448:
	s_or_b64 exec, exec, s[10:11]
.LBB838_449:
	s_or_b64 exec, exec, s[8:9]
	s_mov_b32 s7, 0x5040100
	v_perm_b32 v15, v21, v22, s7
	v_lshl_or_b32 v22, v1, 9, v27
	v_perm_b32 v14, v19, v20, s7
	ds_read_b128 v[28:31], v22
	v_perm_b32 v19, v24, v25, s7
	v_perm_b32 v18, v18, v23, s7
	s_waitcnt lgkmcnt(0)
	v_mfma_f32_16x16x16bf16_1k v[32:35], v[14:15], v[28:29], 0
	v_mov_b32_e32 v15, 0
	v_cmp_ne_u16_sdwa s[10:11], v16, v15 src0_sel:BYTE_0 src1_sel:DWORD
	v_mov_b32_e32 v23, 0
	v_mfma_f32_16x16x16bf16_1k v[18:21], v[18:19], v[30:31], v[32:35]
	s_and_saveexec_b64 s[8:9], s[10:11]
	s_cbranch_execz .LBB838_455
; %bb.450:
	s_movk_i32 s7, 0x80
	v_cmp_ne_u16_sdwa s[12:13], v16, s7 src0_sel:BYTE_0 src1_sel:DWORD
	v_mov_b32_e32 v23, 0xffff8000
	s_and_saveexec_b64 s[10:11], s[12:13]
	s_cbranch_execz .LBB838_454
; %bb.451:
	s_movk_i32 s7, 0x7f
	v_and_b32_e32 v14, 0x7f, v16
	v_cmp_ne_u32_e32 vcc, s7, v14
	v_mov_b32_e32 v23, 0x7f80
	s_and_saveexec_b64 s[12:13], vcc
	s_cbranch_execz .LBB838_453
; %bb.452:
	v_and_b32_e32 v23, 7, v16
	v_ffbh_u32_e32 v24, v23
	v_min_u32_e32 v28, 32, v24
	v_subrev_u32_e32 v24, 28, v28
	v_lshlrev_b64 v[24:25], v24, v[16:17]
	v_lshrrev_b32_e32 v27, 3, v14
	v_sub_u32_e32 v25, 29, v28
	v_and_b32_e32 v24, 7, v24
	v_cmp_gt_u32_e32 vcc, 8, v14
	v_cndmask_b32_e32 v14, v27, v25, vcc
	v_cndmask_b32_e32 v23, v23, v24, vcc
	v_lshlrev_b32_e32 v24, 24, v16
	v_bfrev_b32_e32 v25, 60
	v_lshlrev_b32_e32 v23, 20, v23
	v_and_b32_e32 v24, 0x80000000, v24
	v_lshl_add_u32 v14, v14, 23, v25
	v_or3_b32 v14, v24, v14, v23
	v_lshrrev_b32_e32 v23, 16, v14
.LBB838_453:
	s_or_b64 exec, exec, s[12:13]
.LBB838_454:
	s_or_b64 exec, exec, s[10:11]
.LBB838_455:
	s_or_b64 exec, exec, s[8:9]
	v_lshrrev_b16_e32 v14, 8, v16
	v_cmp_ne_u16_e32 vcc, 0, v14
	s_and_saveexec_b64 s[8:9], vcc
	s_cbranch_execz .LBB838_461
; %bb.456:
	s_movk_i32 s7, 0x80
	v_cmp_ne_u16_e32 vcc, s7, v14
	v_mov_b32_e32 v15, 0xffff8000
	s_and_saveexec_b64 s[10:11], vcc
	s_cbranch_execz .LBB838_460
; %bb.457:
	s_movk_i32 s7, 0x7f
	v_and_b32_e32 v24, 0x7f, v14
	v_cmp_ne_u32_e32 vcc, s7, v24
	v_mov_b32_e32 v15, 0x7f80
	s_and_saveexec_b64 s[12:13], vcc
	s_cbranch_execz .LBB838_459
; %bb.458:
	v_and_b32_e32 v25, 7, v14
	v_ffbh_u32_e32 v15, v25
	v_min_u32_e32 v28, 32, v15
	v_subrev_u32_e32 v15, 28, v28
	v_lshlrev_b64 v[14:15], v15, v[14:15]
	v_lshrrev_b32_e32 v27, 3, v24
	v_sub_u32_e32 v15, 29, v28
	v_and_b32_e32 v14, 7, v14
	v_cmp_gt_u32_e32 vcc, 8, v24
	v_cndmask_b32_e32 v15, v27, v15, vcc
	v_cndmask_b32_e32 v14, v25, v14, vcc
	v_lshlrev_b32_e32 v24, 16, v16
	v_bfrev_b32_e32 v25, 60
	v_lshlrev_b32_e32 v14, 20, v14
	v_and_b32_e32 v24, 0x80000000, v24
	v_lshl_add_u32 v15, v15, 23, v25
	v_or3_b32 v14, v24, v15, v14
	v_lshrrev_b32_e32 v15, 16, v14
.LBB838_459:
	s_or_b64 exec, exec, s[12:13]
.LBB838_460:
	s_or_b64 exec, exec, s[10:11]
.LBB838_461:
	s_or_b64 exec, exec, s[8:9]
	s_movk_i32 s7, 0xff
	v_and_b32_sdwa v27, v16, s7 dst_sel:DWORD dst_unused:UNUSED_PAD src0_sel:WORD_1 src1_sel:DWORD
	v_lshrrev_b32_e32 v14, 16, v16
	v_cmp_ne_u16_e32 vcc, 0, v27
	v_mov_b32_e32 v24, 0
	v_mov_b32_e32 v25, 0
	s_and_saveexec_b64 s[8:9], vcc
	s_cbranch_execz .LBB838_467
; %bb.462:
	s_movk_i32 s7, 0x80
	v_cmp_ne_u16_e32 vcc, s7, v27
	v_mov_b32_e32 v25, 0xffff8000
	s_and_saveexec_b64 s[10:11], vcc
	s_cbranch_execz .LBB838_466
; %bb.463:
	v_bfe_u32 v27, v16, 16, 7
	s_movk_i32 s7, 0x7f
	v_cmp_ne_u32_e32 vcc, s7, v27
	v_mov_b32_e32 v25, 0x7f80
	s_and_saveexec_b64 s[12:13], vcc
	s_cbranch_execz .LBB838_465
; %bb.464:
	v_and_b32_e32 v25, 7, v14
	v_ffbh_u32_e32 v28, v25
	v_min_u32_e32 v31, 32, v28
	v_subrev_u32_e32 v28, 28, v31
	v_lshlrev_b64 v[28:29], v28, v[14:15]
	v_lshrrev_b32_e32 v30, 3, v27
	v_sub_u32_e32 v14, 29, v31
	v_and_b32_e32 v28, 7, v28
	v_cmp_gt_u32_e32 vcc, 8, v27
	v_mov_b32_e32 v27, 24
	v_cndmask_b32_e32 v14, v30, v14, vcc
	v_cndmask_b32_e32 v25, v25, v28, vcc
	v_lshlrev_b32_sdwa v27, v27, v16 dst_sel:DWORD dst_unused:UNUSED_PAD src0_sel:DWORD src1_sel:WORD_1
	v_bfrev_b32_e32 v28, 60
	v_lshlrev_b32_e32 v25, 20, v25
	v_and_b32_e32 v27, 0x80000000, v27
	v_lshl_add_u32 v14, v14, 23, v28
	v_or3_b32 v14, v27, v14, v25
	v_lshrrev_b32_e32 v25, 16, v14
.LBB838_465:
	s_or_b64 exec, exec, s[12:13]
.LBB838_466:
	s_or_b64 exec, exec, s[10:11]
.LBB838_467:
	s_or_b64 exec, exec, s[8:9]
	s_mov_b32 s7, 0xffffff
	v_cmp_lt_u32_e32 vcc, s7, v16
	s_and_saveexec_b64 s[8:9], vcc
	s_cbranch_execz .LBB838_473
; %bb.468:
	v_lshrrev_b32_e32 v14, 24, v16
	s_movk_i32 s7, 0x80
	v_cmp_ne_u32_e32 vcc, s7, v14
	v_mov_b32_e32 v24, 0xffff8000
	s_and_saveexec_b64 s[10:11], vcc
	s_cbranch_execz .LBB838_472
; %bb.469:
	v_bfe_u32 v16, v16, 24, 7
	s_movk_i32 s7, 0x7f
	v_cmp_ne_u32_e32 vcc, s7, v16
	v_mov_b32_e32 v24, 0x7f80
	s_and_saveexec_b64 s[12:13], vcc
	s_cbranch_execz .LBB838_471
; %bb.470:
	v_and_b32_e32 v24, 7, v14
	v_ffbh_u32_e32 v28, v24
	v_min_u32_e32 v30, 32, v28
	v_subrev_u32_e32 v28, 28, v30
	v_lshlrev_b64 v[28:29], v28, v[14:15]
	v_lshrrev_b32_e32 v27, 3, v16
	v_sub_u32_e32 v29, 29, v30
	v_and_b32_e32 v28, 7, v28
	v_cmp_gt_u32_e32 vcc, 8, v16
	v_cndmask_b32_e32 v16, v27, v29, vcc
	v_cndmask_b32_e32 v24, v24, v28, vcc
	v_lshlrev_b32_e32 v14, 24, v14
	v_bfrev_b32_e32 v27, 60
	v_lshlrev_b32_e32 v24, 20, v24
	v_and_b32_e32 v14, 0x80000000, v14
	v_lshl_add_u32 v16, v16, 23, v27
	v_or3_b32 v14, v14, v16, v24
	v_lshrrev_b32_e32 v24, 16, v14
.LBB838_471:
	s_or_b64 exec, exec, s[12:13]
.LBB838_472:
	s_or_b64 exec, exec, s[10:11]
.LBB838_473:
	s_or_b64 exec, exec, s[8:9]
	v_mov_b32_e32 v16, 0
	v_cmp_ne_u16_sdwa s[10:11], v17, v16 src0_sel:BYTE_0 src1_sel:DWORD
	v_mov_b32_e32 v27, 0
	s_and_saveexec_b64 s[8:9], s[10:11]
	s_cbranch_execz .LBB838_479
; %bb.474:
	s_movk_i32 s7, 0x80
	v_cmp_ne_u16_sdwa s[12:13], v17, s7 src0_sel:BYTE_0 src1_sel:DWORD
	v_mov_b32_e32 v27, 0xffff8000
	s_and_saveexec_b64 s[10:11], s[12:13]
	s_cbranch_execz .LBB838_478
; %bb.475:
	s_movk_i32 s7, 0x7f
	v_and_b32_e32 v14, 0x7f, v17
	v_cmp_ne_u32_e32 vcc, s7, v14
	v_mov_b32_e32 v27, 0x7f80
	s_and_saveexec_b64 s[12:13], vcc
	s_cbranch_execz .LBB838_477
; %bb.476:
	v_and_b32_e32 v27, 7, v17
	v_ffbh_u32_e32 v29, v27
	v_min_u32_e32 v31, 32, v29
	v_mov_b32_e32 v28, v17
	v_subrev_u32_e32 v29, 28, v31
	v_lshlrev_b64 v[28:29], v29, v[28:29]
	v_lshrrev_b32_e32 v30, 3, v14
	v_sub_u32_e32 v29, 29, v31
	v_and_b32_e32 v28, 7, v28
	v_cmp_gt_u32_e32 vcc, 8, v14
	v_cndmask_b32_e32 v14, v30, v29, vcc
	v_cndmask_b32_e32 v27, v27, v28, vcc
	v_lshlrev_b32_e32 v28, 24, v17
	v_bfrev_b32_e32 v29, 60
	v_lshlrev_b32_e32 v27, 20, v27
	v_and_b32_e32 v28, 0x80000000, v28
	v_lshl_add_u32 v14, v14, 23, v29
	v_or3_b32 v14, v28, v14, v27
	v_lshrrev_b32_e32 v27, 16, v14
.LBB838_477:
	s_or_b64 exec, exec, s[12:13]
.LBB838_478:
	s_or_b64 exec, exec, s[10:11]
.LBB838_479:
	s_or_b64 exec, exec, s[8:9]
	v_lshrrev_b16_e32 v14, 8, v17
	v_cmp_ne_u16_e32 vcc, 0, v14
	s_and_saveexec_b64 s[8:9], vcc
	s_cbranch_execz .LBB838_485
; %bb.480:
	s_movk_i32 s7, 0x80
	v_cmp_ne_u16_e32 vcc, s7, v14
	v_mov_b32_e32 v16, 0xffff8000
	s_and_saveexec_b64 s[10:11], vcc
	s_cbranch_execz .LBB838_484
; %bb.481:
	s_movk_i32 s7, 0x7f
	v_and_b32_e32 v28, 0x7f, v14
	v_cmp_ne_u32_e32 vcc, s7, v28
	v_mov_b32_e32 v16, 0x7f80
	s_and_saveexec_b64 s[12:13], vcc
	s_cbranch_execz .LBB838_483
; %bb.482:
	v_and_b32_e32 v16, 7, v14
	v_ffbh_u32_e32 v30, v16
	v_min_u32_e32 v32, 32, v30
	v_subrev_u32_e32 v30, 28, v32
	v_lshlrev_b64 v[30:31], v30, v[14:15]
	v_lshrrev_b32_e32 v29, 3, v28
	v_sub_u32_e32 v14, 29, v32
	v_and_b32_e32 v30, 7, v30
	v_cmp_gt_u32_e32 vcc, 8, v28
	v_cndmask_b32_e32 v14, v29, v14, vcc
	v_cndmask_b32_e32 v16, v16, v30, vcc
	v_lshlrev_b32_e32 v28, 16, v17
	v_bfrev_b32_e32 v29, 60
	v_lshlrev_b32_e32 v16, 20, v16
	v_and_b32_e32 v28, 0x80000000, v28
	v_lshl_add_u32 v14, v14, 23, v29
	v_or3_b32 v14, v28, v14, v16
	v_lshrrev_b32_e32 v16, 16, v14
.LBB838_483:
	s_or_b64 exec, exec, s[12:13]
.LBB838_484:
	s_or_b64 exec, exec, s[10:11]
.LBB838_485:
	s_or_b64 exec, exec, s[8:9]
	s_movk_i32 s7, 0xff
	v_and_b32_sdwa v30, v17, s7 dst_sel:DWORD dst_unused:UNUSED_PAD src0_sel:WORD_1 src1_sel:DWORD
	v_lshrrev_b32_e32 v14, 16, v17
	v_cmp_ne_u16_e32 vcc, 0, v30
	v_mov_b32_e32 v28, 0
	v_mov_b32_e32 v29, 0
	s_and_saveexec_b64 s[8:9], vcc
	s_cbranch_execz .LBB838_491
; %bb.486:
	s_movk_i32 s7, 0x80
	v_cmp_ne_u16_e32 vcc, s7, v30
	v_mov_b32_e32 v29, 0xffff8000
	s_and_saveexec_b64 s[10:11], vcc
	s_cbranch_execz .LBB838_490
; %bb.487:
	v_bfe_u32 v30, v17, 16, 7
	s_movk_i32 s7, 0x7f
	v_cmp_ne_u32_e32 vcc, s7, v30
	v_mov_b32_e32 v29, 0x7f80
	s_and_saveexec_b64 s[12:13], vcc
	s_cbranch_execz .LBB838_489
; %bb.488:
	v_and_b32_e32 v29, 7, v14
	v_ffbh_u32_e32 v32, v29
	v_min_u32_e32 v34, 32, v32
	v_subrev_u32_e32 v32, 28, v34
	v_lshlrev_b64 v[32:33], v32, v[14:15]
	v_lshrrev_b32_e32 v31, 3, v30
	v_sub_u32_e32 v14, 29, v34
	v_and_b32_e32 v32, 7, v32
	v_cmp_gt_u32_e32 vcc, 8, v30
	v_mov_b32_e32 v30, 24
	v_cndmask_b32_e32 v14, v31, v14, vcc
	v_cndmask_b32_e32 v29, v29, v32, vcc
	v_lshlrev_b32_sdwa v30, v30, v17 dst_sel:DWORD dst_unused:UNUSED_PAD src0_sel:DWORD src1_sel:WORD_1
	v_bfrev_b32_e32 v31, 60
	v_lshlrev_b32_e32 v29, 20, v29
	v_and_b32_e32 v30, 0x80000000, v30
	v_lshl_add_u32 v14, v14, 23, v31
	v_or3_b32 v14, v30, v14, v29
	v_lshrrev_b32_e32 v29, 16, v14
.LBB838_489:
	s_or_b64 exec, exec, s[12:13]
.LBB838_490:
	s_or_b64 exec, exec, s[10:11]
.LBB838_491:
	s_or_b64 exec, exec, s[8:9]
	s_mov_b32 s7, 0xffffff
	v_cmp_lt_u32_e32 vcc, s7, v17
	s_and_saveexec_b64 s[8:9], vcc
	s_cbranch_execz .LBB838_497
; %bb.492:
	v_lshrrev_b32_e32 v14, 24, v17
	s_movk_i32 s7, 0x80
	v_cmp_ne_u32_e32 vcc, s7, v14
	v_mov_b32_e32 v28, 0xffff8000
	s_and_saveexec_b64 s[10:11], vcc
	s_cbranch_execz .LBB838_496
; %bb.493:
	v_bfe_u32 v17, v17, 24, 7
	s_movk_i32 s7, 0x7f
	v_cmp_ne_u32_e32 vcc, s7, v17
	v_mov_b32_e32 v28, 0x7f80
	s_and_saveexec_b64 s[12:13], vcc
	s_cbranch_execz .LBB838_495
; %bb.494:
	v_and_b32_e32 v28, 7, v14
	v_ffbh_u32_e32 v30, v28
	v_min_u32_e32 v33, 32, v30
	v_subrev_u32_e32 v30, 28, v33
	v_lshlrev_b64 v[30:31], v30, v[14:15]
	v_lshrrev_b32_e32 v32, 3, v17
	v_sub_u32_e32 v31, 29, v33
	v_and_b32_e32 v30, 7, v30
	v_cmp_gt_u32_e32 vcc, 8, v17
	v_cndmask_b32_e32 v17, v32, v31, vcc
	v_cndmask_b32_e32 v28, v28, v30, vcc
	v_lshlrev_b32_e32 v14, 24, v14
	v_bfrev_b32_e32 v30, 60
	v_lshlrev_b32_e32 v28, 20, v28
	v_and_b32_e32 v14, 0x80000000, v14
	v_lshl_add_u32 v17, v17, 23, v30
	v_or3_b32 v14, v14, v17, v28
	v_lshrrev_b32_e32 v28, 16, v14
.LBB838_495:
	s_or_b64 exec, exec, s[12:13]
.LBB838_496:
	s_or_b64 exec, exec, s[10:11]
.LBB838_497:
	s_or_b64 exec, exec, s[8:9]
	s_mov_b32 s7, 0x5040100
	v_perm_b32 v25, v24, v25, s7
	v_perm_b32 v24, v15, v23, s7
	ds_read_b128 v[30:33], v22 offset:16
	v_perm_b32 v15, v28, v29, s7
	v_perm_b32 v14, v16, v27, s7
	s_waitcnt lgkmcnt(0)
	v_mfma_f32_16x16x16bf16_1k v[34:37], v[24:25], v[30:31], v[18:21]
	s_nop 6
	v_mov_b32_e32 v19, 0
	s_waitcnt vmcnt(2)
	v_cmp_ne_u16_sdwa s[10:11], v10, v19 src0_sel:BYTE_0 src1_sel:DWORD
	v_mfma_f32_16x16x16bf16_1k v[14:17], v[14:15], v[32:33], v[34:37]
	v_mov_b32_e32 v20, 0
	s_and_saveexec_b64 s[8:9], s[10:11]
	s_cbranch_execz .LBB838_503
; %bb.498:
	s_movk_i32 s7, 0x80
	v_cmp_ne_u16_sdwa s[12:13], v10, s7 src0_sel:BYTE_0 src1_sel:DWORD
	v_mov_b32_e32 v20, 0xffff8000
	s_and_saveexec_b64 s[10:11], s[12:13]
	s_cbranch_execz .LBB838_502
; %bb.499:
	s_movk_i32 s7, 0x7f
	v_and_b32_e32 v18, 0x7f, v10
	v_cmp_ne_u32_e32 vcc, s7, v18
	v_mov_b32_e32 v20, 0x7f80
	s_and_saveexec_b64 s[12:13], vcc
	s_cbranch_execz .LBB838_501
; %bb.500:
	v_and_b32_e32 v23, 7, v10
	v_ffbh_u32_e32 v20, v23
	v_min_u32_e32 v25, 32, v20
	v_subrev_u32_e32 v20, 28, v25
	v_lshlrev_b64 v[20:21], v20, v[10:11]
	v_lshrrev_b32_e32 v24, 3, v18
	v_sub_u32_e32 v21, 29, v25
	v_and_b32_e32 v20, 7, v20
	v_cmp_gt_u32_e32 vcc, 8, v18
	v_cndmask_b32_e32 v18, v24, v21, vcc
	v_cndmask_b32_e32 v20, v23, v20, vcc
	v_lshlrev_b32_e32 v21, 24, v10
	v_bfrev_b32_e32 v23, 60
	v_lshlrev_b32_e32 v20, 20, v20
	v_and_b32_e32 v21, 0x80000000, v21
	v_lshl_add_u32 v18, v18, 23, v23
	v_or3_b32 v18, v21, v18, v20
	v_lshrrev_b32_e32 v20, 16, v18
.LBB838_501:
	s_or_b64 exec, exec, s[12:13]
.LBB838_502:
	s_or_b64 exec, exec, s[10:11]
.LBB838_503:
	s_or_b64 exec, exec, s[8:9]
	v_lshrrev_b16_e32 v18, 8, v10
	v_cmp_ne_u16_e32 vcc, 0, v18
	s_and_saveexec_b64 s[8:9], vcc
	s_cbranch_execz .LBB838_509
; %bb.504:
	s_movk_i32 s7, 0x80
	v_cmp_ne_u16_e32 vcc, s7, v18
	v_mov_b32_e32 v19, 0xffff8000
	s_and_saveexec_b64 s[10:11], vcc
	s_cbranch_execz .LBB838_508
; %bb.505:
	s_movk_i32 s7, 0x7f
	v_and_b32_e32 v21, 0x7f, v18
	v_cmp_ne_u32_e32 vcc, s7, v21
	v_mov_b32_e32 v19, 0x7f80
	s_and_saveexec_b64 s[12:13], vcc
	s_cbranch_execz .LBB838_507
; %bb.506:
	v_and_b32_e32 v23, 7, v18
	v_ffbh_u32_e32 v19, v23
	v_min_u32_e32 v25, 32, v19
	v_subrev_u32_e32 v19, 28, v25
	v_lshlrev_b64 v[18:19], v19, v[18:19]
	v_lshrrev_b32_e32 v24, 3, v21
	v_sub_u32_e32 v19, 29, v25
	v_and_b32_e32 v18, 7, v18
	v_cmp_gt_u32_e32 vcc, 8, v21
	v_cndmask_b32_e32 v19, v24, v19, vcc
	v_cndmask_b32_e32 v18, v23, v18, vcc
	v_lshlrev_b32_e32 v21, 16, v10
	v_bfrev_b32_e32 v23, 60
	v_lshlrev_b32_e32 v18, 20, v18
	v_and_b32_e32 v21, 0x80000000, v21
	v_lshl_add_u32 v19, v19, 23, v23
	v_or3_b32 v18, v21, v19, v18
	v_lshrrev_b32_e32 v19, 16, v18
.LBB838_507:
	s_or_b64 exec, exec, s[12:13]
.LBB838_508:
	s_or_b64 exec, exec, s[10:11]
.LBB838_509:
	s_or_b64 exec, exec, s[8:9]
	s_movk_i32 s7, 0xff
	v_and_b32_sdwa v24, v10, s7 dst_sel:DWORD dst_unused:UNUSED_PAD src0_sel:WORD_1 src1_sel:DWORD
	v_lshrrev_b32_e32 v18, 16, v10
	v_cmp_ne_u16_e32 vcc, 0, v24
	v_mov_b32_e32 v21, 0
	v_mov_b32_e32 v23, 0
	s_and_saveexec_b64 s[8:9], vcc
	s_cbranch_execz .LBB838_515
; %bb.510:
	s_movk_i32 s7, 0x80
	v_cmp_ne_u16_e32 vcc, s7, v24
	v_mov_b32_e32 v23, 0xffff8000
	s_and_saveexec_b64 s[10:11], vcc
	s_cbranch_execz .LBB838_514
; %bb.511:
	v_bfe_u32 v24, v10, 16, 7
	s_movk_i32 s7, 0x7f
	v_cmp_ne_u32_e32 vcc, s7, v24
	v_mov_b32_e32 v23, 0x7f80
	s_and_saveexec_b64 s[12:13], vcc
	s_cbranch_execz .LBB838_513
; %bb.512:
	v_and_b32_e32 v23, 7, v18
	v_ffbh_u32_e32 v27, v23
	v_min_u32_e32 v27, 32, v27
	v_subrev_u32_e32 v28, 28, v27
	v_lshlrev_b64 v[28:29], v28, v[18:19]
	v_lshrrev_b32_e32 v25, 3, v24
	v_sub_u32_e32 v18, 29, v27
	v_and_b32_e32 v27, 7, v28
	v_cmp_gt_u32_e32 vcc, 8, v24
	v_mov_b32_e32 v24, 24
	v_cndmask_b32_e32 v18, v25, v18, vcc
	v_cndmask_b32_e32 v23, v23, v27, vcc
	v_lshlrev_b32_sdwa v24, v24, v10 dst_sel:DWORD dst_unused:UNUSED_PAD src0_sel:DWORD src1_sel:WORD_1
	v_bfrev_b32_e32 v25, 60
	v_lshlrev_b32_e32 v23, 20, v23
	v_and_b32_e32 v24, 0x80000000, v24
	v_lshl_add_u32 v18, v18, 23, v25
	v_or3_b32 v18, v24, v18, v23
	v_lshrrev_b32_e32 v23, 16, v18
.LBB838_513:
	s_or_b64 exec, exec, s[12:13]
.LBB838_514:
	s_or_b64 exec, exec, s[10:11]
.LBB838_515:
	s_or_b64 exec, exec, s[8:9]
	s_mov_b32 s7, 0xffffff
	v_cmp_lt_u32_e32 vcc, s7, v10
	s_and_saveexec_b64 s[8:9], vcc
	s_cbranch_execz .LBB838_521
; %bb.516:
	v_lshrrev_b32_e32 v18, 24, v10
	s_movk_i32 s7, 0x80
	v_cmp_ne_u32_e32 vcc, s7, v18
	v_mov_b32_e32 v21, 0xffff8000
	s_and_saveexec_b64 s[10:11], vcc
	s_cbranch_execz .LBB838_520
; %bb.517:
	v_bfe_u32 v10, v10, 24, 7
	s_movk_i32 s7, 0x7f
	v_cmp_ne_u32_e32 vcc, s7, v10
	v_mov_b32_e32 v21, 0x7f80
	s_and_saveexec_b64 s[12:13], vcc
	s_cbranch_execz .LBB838_519
; %bb.518:
	v_and_b32_e32 v21, 7, v18
	v_ffbh_u32_e32 v24, v21
	v_min_u32_e32 v28, 32, v24
	v_subrev_u32_e32 v24, 28, v28
	v_lshlrev_b64 v[24:25], v24, v[18:19]
	v_lshrrev_b32_e32 v27, 3, v10
	v_sub_u32_e32 v25, 29, v28
	v_and_b32_e32 v24, 7, v24
	v_cmp_gt_u32_e32 vcc, 8, v10
	v_cndmask_b32_e32 v10, v27, v25, vcc
	v_cndmask_b32_e32 v21, v21, v24, vcc
	v_lshlrev_b32_e32 v18, 24, v18
	v_bfrev_b32_e32 v24, 60
	v_lshlrev_b32_e32 v21, 20, v21
	v_and_b32_e32 v18, 0x80000000, v18
	v_lshl_add_u32 v10, v10, 23, v24
	v_or3_b32 v10, v18, v10, v21
	v_lshrrev_b32_e32 v21, 16, v10
.LBB838_519:
	s_or_b64 exec, exec, s[12:13]
.LBB838_520:
	s_or_b64 exec, exec, s[10:11]
.LBB838_521:
	s_or_b64 exec, exec, s[8:9]
	v_mov_b32_e32 v18, 0
	v_cmp_ne_u16_sdwa s[10:11], v11, v18 src0_sel:BYTE_0 src1_sel:DWORD
	v_mov_b32_e32 v24, 0
	s_and_saveexec_b64 s[8:9], s[10:11]
	s_cbranch_execz .LBB838_527
; %bb.522:
	s_movk_i32 s7, 0x80
	v_cmp_ne_u16_sdwa s[12:13], v11, s7 src0_sel:BYTE_0 src1_sel:DWORD
	v_mov_b32_e32 v24, 0xffff8000
	s_and_saveexec_b64 s[10:11], s[12:13]
	s_cbranch_execz .LBB838_526
; %bb.523:
	s_movk_i32 s7, 0x7f
	v_and_b32_e32 v10, 0x7f, v11
	v_cmp_ne_u32_e32 vcc, s7, v10
	v_mov_b32_e32 v24, 0x7f80
	s_and_saveexec_b64 s[12:13], vcc
	s_cbranch_execz .LBB838_525
; %bb.524:
	v_and_b32_e32 v27, 7, v11
	v_ffbh_u32_e32 v25, v27
	v_min_u32_e32 v29, 32, v25
	v_mov_b32_e32 v24, v11
	v_subrev_u32_e32 v25, 28, v29
	v_lshlrev_b64 v[24:25], v25, v[24:25]
	v_lshrrev_b32_e32 v28, 3, v10
	v_sub_u32_e32 v25, 29, v29
	v_and_b32_e32 v24, 7, v24
	v_cmp_gt_u32_e32 vcc, 8, v10
	v_cndmask_b32_e32 v10, v28, v25, vcc
	v_cndmask_b32_e32 v24, v27, v24, vcc
	v_lshlrev_b32_e32 v25, 24, v11
	v_bfrev_b32_e32 v27, 60
	v_lshlrev_b32_e32 v24, 20, v24
	v_and_b32_e32 v25, 0x80000000, v25
	v_lshl_add_u32 v10, v10, 23, v27
	v_or3_b32 v10, v25, v10, v24
	v_lshrrev_b32_e32 v24, 16, v10
.LBB838_525:
	s_or_b64 exec, exec, s[12:13]
.LBB838_526:
	s_or_b64 exec, exec, s[10:11]
.LBB838_527:
	s_or_b64 exec, exec, s[8:9]
	v_lshrrev_b16_e32 v10, 8, v11
	v_cmp_ne_u16_e32 vcc, 0, v10
	s_and_saveexec_b64 s[8:9], vcc
	s_cbranch_execz .LBB838_533
; %bb.528:
	s_movk_i32 s7, 0x80
	v_cmp_ne_u16_e32 vcc, s7, v10
	v_mov_b32_e32 v18, 0xffff8000
	s_and_saveexec_b64 s[10:11], vcc
	s_cbranch_execz .LBB838_532
; %bb.529:
	s_movk_i32 s7, 0x7f
	v_and_b32_e32 v25, 0x7f, v10
	v_cmp_ne_u32_e32 vcc, s7, v25
	v_mov_b32_e32 v18, 0x7f80
	s_and_saveexec_b64 s[12:13], vcc
	s_cbranch_execz .LBB838_531
; %bb.530:
	v_and_b32_e32 v18, 7, v10
	v_ffbh_u32_e32 v28, v18
	v_min_u32_e32 v30, 32, v28
	v_subrev_u32_e32 v28, 28, v30
	v_lshlrev_b64 v[28:29], v28, v[10:11]
	v_lshrrev_b32_e32 v27, 3, v25
	v_sub_u32_e32 v10, 29, v30
	v_and_b32_e32 v28, 7, v28
	v_cmp_gt_u32_e32 vcc, 8, v25
	v_cndmask_b32_e32 v10, v27, v10, vcc
	v_cndmask_b32_e32 v18, v18, v28, vcc
	v_lshlrev_b32_e32 v25, 16, v11
	v_bfrev_b32_e32 v27, 60
	v_lshlrev_b32_e32 v18, 20, v18
	v_and_b32_e32 v25, 0x80000000, v25
	v_lshl_add_u32 v10, v10, 23, v27
	v_or3_b32 v10, v25, v10, v18
	v_lshrrev_b32_e32 v18, 16, v10
.LBB838_531:
	s_or_b64 exec, exec, s[12:13]
.LBB838_532:
	s_or_b64 exec, exec, s[10:11]
.LBB838_533:
	s_or_b64 exec, exec, s[8:9]
	s_movk_i32 s7, 0xff
	v_and_b32_sdwa v28, v11, s7 dst_sel:DWORD dst_unused:UNUSED_PAD src0_sel:WORD_1 src1_sel:DWORD
	v_lshrrev_b32_e32 v10, 16, v11
	v_cmp_ne_u16_e32 vcc, 0, v28
	v_mov_b32_e32 v25, 0
	v_mov_b32_e32 v27, 0
	s_and_saveexec_b64 s[8:9], vcc
	s_cbranch_execz .LBB838_539
; %bb.534:
	s_movk_i32 s7, 0x80
	v_cmp_ne_u16_e32 vcc, s7, v28
	v_mov_b32_e32 v27, 0xffff8000
	s_and_saveexec_b64 s[10:11], vcc
	s_cbranch_execz .LBB838_538
; %bb.535:
	v_bfe_u32 v28, v11, 16, 7
	s_movk_i32 s7, 0x7f
	v_cmp_ne_u32_e32 vcc, s7, v28
	v_mov_b32_e32 v27, 0x7f80
	s_and_saveexec_b64 s[12:13], vcc
	s_cbranch_execz .LBB838_537
; %bb.536:
	v_and_b32_e32 v27, 7, v10
	v_ffbh_u32_e32 v30, v27
	v_min_u32_e32 v32, 32, v30
	v_subrev_u32_e32 v30, 28, v32
	v_lshlrev_b64 v[30:31], v30, v[10:11]
	v_lshrrev_b32_e32 v29, 3, v28
	v_sub_u32_e32 v10, 29, v32
	v_and_b32_e32 v30, 7, v30
	v_cmp_gt_u32_e32 vcc, 8, v28
	v_mov_b32_e32 v28, 24
	v_cndmask_b32_e32 v10, v29, v10, vcc
	v_cndmask_b32_e32 v27, v27, v30, vcc
	v_lshlrev_b32_sdwa v28, v28, v11 dst_sel:DWORD dst_unused:UNUSED_PAD src0_sel:DWORD src1_sel:WORD_1
	v_bfrev_b32_e32 v29, 60
	v_lshlrev_b32_e32 v27, 20, v27
	v_and_b32_e32 v28, 0x80000000, v28
	v_lshl_add_u32 v10, v10, 23, v29
	v_or3_b32 v10, v28, v10, v27
	v_lshrrev_b32_e32 v27, 16, v10
.LBB838_537:
	s_or_b64 exec, exec, s[12:13]
.LBB838_538:
	s_or_b64 exec, exec, s[10:11]
.LBB838_539:
	s_or_b64 exec, exec, s[8:9]
	s_mov_b32 s7, 0xffffff
	v_cmp_lt_u32_e32 vcc, s7, v11
	s_and_saveexec_b64 s[8:9], vcc
	s_cbranch_execz .LBB838_545
; %bb.540:
	v_lshrrev_b32_e32 v10, 24, v11
	s_movk_i32 s7, 0x80
	v_cmp_ne_u32_e32 vcc, s7, v10
	v_mov_b32_e32 v25, 0xffff8000
	s_and_saveexec_b64 s[10:11], vcc
	s_cbranch_execz .LBB838_544
; %bb.541:
	v_bfe_u32 v11, v11, 24, 7
	s_movk_i32 s7, 0x7f
	v_cmp_ne_u32_e32 vcc, s7, v11
	v_mov_b32_e32 v25, 0x7f80
	s_and_saveexec_b64 s[12:13], vcc
	s_cbranch_execz .LBB838_543
; %bb.542:
	v_and_b32_e32 v25, 7, v10
	v_ffbh_u32_e32 v28, v25
	v_min_u32_e32 v31, 32, v28
	v_subrev_u32_e32 v28, 28, v31
	v_lshlrev_b64 v[28:29], v28, v[10:11]
	v_lshrrev_b32_e32 v30, 3, v11
	v_sub_u32_e32 v29, 29, v31
	v_and_b32_e32 v28, 7, v28
	v_cmp_gt_u32_e32 vcc, 8, v11
	v_cndmask_b32_e32 v11, v30, v29, vcc
	v_cndmask_b32_e32 v25, v25, v28, vcc
	v_lshlrev_b32_e32 v10, 24, v10
	v_bfrev_b32_e32 v28, 60
	v_lshlrev_b32_e32 v25, 20, v25
	v_and_b32_e32 v10, 0x80000000, v10
	v_lshl_add_u32 v11, v11, 23, v28
	v_or3_b32 v10, v10, v11, v25
	v_lshrrev_b32_e32 v25, 16, v10
.LBB838_543:
	s_or_b64 exec, exec, s[12:13]
.LBB838_544:
	s_or_b64 exec, exec, s[10:11]
.LBB838_545:
	s_or_b64 exec, exec, s[8:9]
	s_mov_b32 s7, 0x5040100
	v_perm_b32 v11, v21, v23, s7
	v_perm_b32 v10, v19, v20, s7
	ds_read_b128 v[28:31], v22 offset:2048
	v_perm_b32 v21, v25, v27, s7
	v_perm_b32 v20, v18, v24, s7
	s_waitcnt lgkmcnt(0)
	v_mfma_f32_16x16x16bf16_1k v[14:17], v[10:11], v[28:29], v[14:17]
	v_mov_b32_e32 v11, 0
	v_cmp_ne_u16_sdwa s[10:11], v12, v11 src0_sel:BYTE_0 src1_sel:DWORD
	v_mov_b32_e32 v18, 0
	v_mfma_f32_16x16x16bf16_1k v[14:17], v[20:21], v[30:31], v[14:17]
	s_and_saveexec_b64 s[8:9], s[10:11]
	s_cbranch_execz .LBB838_551
; %bb.546:
	s_movk_i32 s7, 0x80
	v_cmp_ne_u16_sdwa s[12:13], v12, s7 src0_sel:BYTE_0 src1_sel:DWORD
	v_mov_b32_e32 v18, 0xffff8000
	s_and_saveexec_b64 s[10:11], s[12:13]
	s_cbranch_execz .LBB838_550
; %bb.547:
	s_movk_i32 s7, 0x7f
	v_and_b32_e32 v10, 0x7f, v12
	v_cmp_ne_u32_e32 vcc, s7, v10
	v_mov_b32_e32 v18, 0x7f80
	s_and_saveexec_b64 s[12:13], vcc
	s_cbranch_execz .LBB838_549
; %bb.548:
	v_and_b32_e32 v20, 7, v12
	v_ffbh_u32_e32 v18, v20
	v_min_u32_e32 v23, 32, v18
	v_subrev_u32_e32 v18, 28, v23
	v_lshlrev_b64 v[18:19], v18, v[12:13]
	v_lshrrev_b32_e32 v21, 3, v10
	v_sub_u32_e32 v19, 29, v23
	v_and_b32_e32 v18, 7, v18
	v_cmp_gt_u32_e32 vcc, 8, v10
	v_cndmask_b32_e32 v10, v21, v19, vcc
	v_cndmask_b32_e32 v18, v20, v18, vcc
	v_lshlrev_b32_e32 v19, 24, v12
	v_bfrev_b32_e32 v20, 60
	v_lshlrev_b32_e32 v18, 20, v18
	v_and_b32_e32 v19, 0x80000000, v19
	v_lshl_add_u32 v10, v10, 23, v20
	v_or3_b32 v10, v19, v10, v18
	v_lshrrev_b32_e32 v18, 16, v10
.LBB838_549:
	s_or_b64 exec, exec, s[12:13]
.LBB838_550:
	s_or_b64 exec, exec, s[10:11]
.LBB838_551:
	s_or_b64 exec, exec, s[8:9]
	v_lshrrev_b16_e32 v10, 8, v12
	v_cmp_ne_u16_e32 vcc, 0, v10
	s_and_saveexec_b64 s[8:9], vcc
	s_cbranch_execz .LBB838_557
; %bb.552:
	s_movk_i32 s7, 0x80
	v_cmp_ne_u16_e32 vcc, s7, v10
	v_mov_b32_e32 v11, 0xffff8000
	s_and_saveexec_b64 s[10:11], vcc
	s_cbranch_execz .LBB838_556
; %bb.553:
	s_movk_i32 s7, 0x7f
	v_and_b32_e32 v19, 0x7f, v10
	v_cmp_ne_u32_e32 vcc, s7, v19
	v_mov_b32_e32 v11, 0x7f80
	s_and_saveexec_b64 s[12:13], vcc
	s_cbranch_execz .LBB838_555
; %bb.554:
	v_and_b32_e32 v20, 7, v10
	v_ffbh_u32_e32 v11, v20
	v_min_u32_e32 v23, 32, v11
	v_subrev_u32_e32 v11, 28, v23
	v_lshlrev_b64 v[10:11], v11, v[10:11]
	v_lshrrev_b32_e32 v21, 3, v19
	v_sub_u32_e32 v11, 29, v23
	v_and_b32_e32 v10, 7, v10
	v_cmp_gt_u32_e32 vcc, 8, v19
	v_cndmask_b32_e32 v11, v21, v11, vcc
	v_cndmask_b32_e32 v10, v20, v10, vcc
	v_lshlrev_b32_e32 v19, 16, v12
	v_bfrev_b32_e32 v20, 60
	v_lshlrev_b32_e32 v10, 20, v10
	v_and_b32_e32 v19, 0x80000000, v19
	v_lshl_add_u32 v11, v11, 23, v20
	v_or3_b32 v10, v19, v11, v10
	v_lshrrev_b32_e32 v11, 16, v10
.LBB838_555:
	s_or_b64 exec, exec, s[12:13]
.LBB838_556:
	s_or_b64 exec, exec, s[10:11]
.LBB838_557:
	s_or_b64 exec, exec, s[8:9]
	s_movk_i32 s7, 0xff
	v_and_b32_sdwa v21, v12, s7 dst_sel:DWORD dst_unused:UNUSED_PAD src0_sel:WORD_1 src1_sel:DWORD
	v_lshrrev_b32_e32 v10, 16, v12
	v_cmp_ne_u16_e32 vcc, 0, v21
	v_mov_b32_e32 v19, 0
	v_mov_b32_e32 v20, 0
	s_and_saveexec_b64 s[8:9], vcc
	s_cbranch_execz .LBB838_563
; %bb.558:
	s_movk_i32 s7, 0x80
	v_cmp_ne_u16_e32 vcc, s7, v21
	v_mov_b32_e32 v20, 0xffff8000
	s_and_saveexec_b64 s[10:11], vcc
	s_cbranch_execz .LBB838_562
; %bb.559:
	v_bfe_u32 v21, v12, 16, 7
	s_movk_i32 s7, 0x7f
	v_cmp_ne_u32_e32 vcc, s7, v21
	v_mov_b32_e32 v20, 0x7f80
	s_and_saveexec_b64 s[12:13], vcc
	s_cbranch_execz .LBB838_561
; %bb.560:
	v_and_b32_e32 v20, 7, v10
	v_ffbh_u32_e32 v24, v20
	v_min_u32_e32 v27, 32, v24
	v_subrev_u32_e32 v24, 28, v27
	v_lshlrev_b64 v[24:25], v24, v[10:11]
	v_lshrrev_b32_e32 v23, 3, v21
	v_sub_u32_e32 v10, 29, v27
	v_and_b32_e32 v24, 7, v24
	v_cmp_gt_u32_e32 vcc, 8, v21
	v_mov_b32_e32 v21, 24
	v_cndmask_b32_e32 v10, v23, v10, vcc
	v_cndmask_b32_e32 v20, v20, v24, vcc
	v_lshlrev_b32_sdwa v21, v21, v12 dst_sel:DWORD dst_unused:UNUSED_PAD src0_sel:DWORD src1_sel:WORD_1
	v_bfrev_b32_e32 v23, 60
	v_lshlrev_b32_e32 v20, 20, v20
	v_and_b32_e32 v21, 0x80000000, v21
	v_lshl_add_u32 v10, v10, 23, v23
	v_or3_b32 v10, v21, v10, v20
	v_lshrrev_b32_e32 v20, 16, v10
.LBB838_561:
	s_or_b64 exec, exec, s[12:13]
.LBB838_562:
	s_or_b64 exec, exec, s[10:11]
.LBB838_563:
	s_or_b64 exec, exec, s[8:9]
	s_mov_b32 s7, 0xffffff
	v_cmp_lt_u32_e32 vcc, s7, v12
	s_and_saveexec_b64 s[8:9], vcc
	s_cbranch_execz .LBB838_569
; %bb.564:
	v_lshrrev_b32_e32 v10, 24, v12
	s_movk_i32 s7, 0x80
	v_cmp_ne_u32_e32 vcc, s7, v10
	v_mov_b32_e32 v19, 0xffff8000
	s_and_saveexec_b64 s[10:11], vcc
	s_cbranch_execz .LBB838_568
; %bb.565:
	v_bfe_u32 v12, v12, 24, 7
	s_movk_i32 s7, 0x7f
	v_cmp_ne_u32_e32 vcc, s7, v12
	v_mov_b32_e32 v19, 0x7f80
	s_and_saveexec_b64 s[12:13], vcc
	s_cbranch_execz .LBB838_567
; %bb.566:
	v_and_b32_e32 v19, 7, v10
	v_ffbh_u32_e32 v23, v19
	v_min_u32_e32 v23, 32, v23
	v_subrev_u32_e32 v24, 28, v23
	v_lshlrev_b64 v[24:25], v24, v[10:11]
	v_lshrrev_b32_e32 v21, 3, v12
	v_sub_u32_e32 v23, 29, v23
	v_and_b32_e32 v24, 7, v24
	v_cmp_gt_u32_e32 vcc, 8, v12
	v_cndmask_b32_e32 v12, v21, v23, vcc
	v_cndmask_b32_e32 v19, v19, v24, vcc
	v_lshlrev_b32_e32 v10, 24, v10
	v_bfrev_b32_e32 v21, 60
	v_lshlrev_b32_e32 v19, 20, v19
	v_and_b32_e32 v10, 0x80000000, v10
	v_lshl_add_u32 v12, v12, 23, v21
	v_or3_b32 v10, v10, v12, v19
	v_lshrrev_b32_e32 v19, 16, v10
.LBB838_567:
	s_or_b64 exec, exec, s[12:13]
.LBB838_568:
	s_or_b64 exec, exec, s[10:11]
.LBB838_569:
	s_or_b64 exec, exec, s[8:9]
	v_mov_b32_e32 v12, 0
	v_cmp_ne_u16_sdwa s[10:11], v13, v12 src0_sel:BYTE_0 src1_sel:DWORD
	v_mov_b32_e32 v21, 0
	s_and_saveexec_b64 s[8:9], s[10:11]
	s_cbranch_execz .LBB838_575
; %bb.570:
	s_movk_i32 s7, 0x80
	v_cmp_ne_u16_sdwa s[12:13], v13, s7 src0_sel:BYTE_0 src1_sel:DWORD
	v_mov_b32_e32 v21, 0xffff8000
	s_and_saveexec_b64 s[10:11], s[12:13]
	s_cbranch_execz .LBB838_574
; %bb.571:
	s_movk_i32 s7, 0x7f
	v_and_b32_e32 v10, 0x7f, v13
	v_cmp_ne_u32_e32 vcc, s7, v10
	v_mov_b32_e32 v21, 0x7f80
	s_and_saveexec_b64 s[12:13], vcc
	s_cbranch_execz .LBB838_573
; %bb.572:
	v_and_b32_e32 v21, 7, v13
	v_ffbh_u32_e32 v25, v21
	v_min_u32_e32 v27, 32, v25
	v_mov_b32_e32 v24, v13
	v_subrev_u32_e32 v25, 28, v27
	v_lshlrev_b64 v[24:25], v25, v[24:25]
	v_lshrrev_b32_e32 v23, 3, v10
	v_sub_u32_e32 v25, 29, v27
	v_and_b32_e32 v24, 7, v24
	v_cmp_gt_u32_e32 vcc, 8, v10
	v_cndmask_b32_e32 v10, v23, v25, vcc
	v_cndmask_b32_e32 v21, v21, v24, vcc
	v_lshlrev_b32_e32 v23, 24, v13
	v_bfrev_b32_e32 v24, 60
	v_lshlrev_b32_e32 v21, 20, v21
	v_and_b32_e32 v23, 0x80000000, v23
	v_lshl_add_u32 v10, v10, 23, v24
	v_or3_b32 v10, v23, v10, v21
	v_lshrrev_b32_e32 v21, 16, v10
.LBB838_573:
	s_or_b64 exec, exec, s[12:13]
.LBB838_574:
	s_or_b64 exec, exec, s[10:11]
.LBB838_575:
	s_or_b64 exec, exec, s[8:9]
	v_lshrrev_b16_e32 v10, 8, v13
	v_cmp_ne_u16_e32 vcc, 0, v10
	s_and_saveexec_b64 s[8:9], vcc
	s_cbranch_execz .LBB838_581
; %bb.576:
	s_movk_i32 s7, 0x80
	v_cmp_ne_u16_e32 vcc, s7, v10
	v_mov_b32_e32 v12, 0xffff8000
	s_and_saveexec_b64 s[10:11], vcc
	s_cbranch_execz .LBB838_580
; %bb.577:
	s_movk_i32 s7, 0x7f
	v_and_b32_e32 v23, 0x7f, v10
	v_cmp_ne_u32_e32 vcc, s7, v23
	v_mov_b32_e32 v12, 0x7f80
	s_and_saveexec_b64 s[12:13], vcc
	s_cbranch_execz .LBB838_579
; %bb.578:
	v_and_b32_e32 v12, 7, v10
	v_ffbh_u32_e32 v24, v12
	v_min_u32_e32 v28, 32, v24
	v_subrev_u32_e32 v24, 28, v28
	v_lshlrev_b64 v[24:25], v24, v[10:11]
	v_lshrrev_b32_e32 v27, 3, v23
	v_sub_u32_e32 v10, 29, v28
	v_and_b32_e32 v24, 7, v24
	v_cmp_gt_u32_e32 vcc, 8, v23
	v_cndmask_b32_e32 v10, v27, v10, vcc
	v_cndmask_b32_e32 v12, v12, v24, vcc
	v_lshlrev_b32_e32 v23, 16, v13
	v_bfrev_b32_e32 v24, 60
	v_lshlrev_b32_e32 v12, 20, v12
	v_and_b32_e32 v23, 0x80000000, v23
	v_lshl_add_u32 v10, v10, 23, v24
	v_or3_b32 v10, v23, v10, v12
	v_lshrrev_b32_e32 v12, 16, v10
.LBB838_579:
	s_or_b64 exec, exec, s[12:13]
.LBB838_580:
	s_or_b64 exec, exec, s[10:11]
.LBB838_581:
	s_or_b64 exec, exec, s[8:9]
	s_movk_i32 s7, 0xff
	v_and_b32_sdwa v25, v13, s7 dst_sel:DWORD dst_unused:UNUSED_PAD src0_sel:WORD_1 src1_sel:DWORD
	v_lshrrev_b32_e32 v10, 16, v13
	v_cmp_ne_u16_e32 vcc, 0, v25
	v_mov_b32_e32 v23, 0
	v_mov_b32_e32 v24, 0
	s_and_saveexec_b64 s[8:9], vcc
	s_cbranch_execz .LBB838_587
; %bb.582:
	s_movk_i32 s7, 0x80
	v_cmp_ne_u16_e32 vcc, s7, v25
	v_mov_b32_e32 v24, 0xffff8000
	s_and_saveexec_b64 s[10:11], vcc
	s_cbranch_execz .LBB838_586
; %bb.583:
	v_bfe_u32 v25, v13, 16, 7
	s_movk_i32 s7, 0x7f
	v_cmp_ne_u32_e32 vcc, s7, v25
	v_mov_b32_e32 v24, 0x7f80
	s_and_saveexec_b64 s[12:13], vcc
	s_cbranch_execz .LBB838_585
; %bb.584:
	v_and_b32_e32 v24, 7, v10
	v_ffbh_u32_e32 v28, v24
	v_min_u32_e32 v30, 32, v28
	v_subrev_u32_e32 v28, 28, v30
	v_lshlrev_b64 v[28:29], v28, v[10:11]
	v_lshrrev_b32_e32 v27, 3, v25
	v_sub_u32_e32 v10, 29, v30
	v_and_b32_e32 v28, 7, v28
	v_cmp_gt_u32_e32 vcc, 8, v25
	v_mov_b32_e32 v25, 24
	v_cndmask_b32_e32 v10, v27, v10, vcc
	v_cndmask_b32_e32 v24, v24, v28, vcc
	v_lshlrev_b32_sdwa v25, v25, v13 dst_sel:DWORD dst_unused:UNUSED_PAD src0_sel:DWORD src1_sel:WORD_1
	v_bfrev_b32_e32 v27, 60
	v_lshlrev_b32_e32 v24, 20, v24
	v_and_b32_e32 v25, 0x80000000, v25
	v_lshl_add_u32 v10, v10, 23, v27
	v_or3_b32 v10, v25, v10, v24
	v_lshrrev_b32_e32 v24, 16, v10
.LBB838_585:
	s_or_b64 exec, exec, s[12:13]
.LBB838_586:
	s_or_b64 exec, exec, s[10:11]
.LBB838_587:
	s_or_b64 exec, exec, s[8:9]
	s_mov_b32 s7, 0xffffff
	v_cmp_lt_u32_e32 vcc, s7, v13
	s_and_saveexec_b64 s[8:9], vcc
	s_cbranch_execz .LBB838_593
; %bb.588:
	v_lshrrev_b32_e32 v10, 24, v13
	s_movk_i32 s7, 0x80
	v_cmp_ne_u32_e32 vcc, s7, v10
	v_mov_b32_e32 v23, 0xffff8000
	s_and_saveexec_b64 s[10:11], vcc
	s_cbranch_execz .LBB838_592
; %bb.589:
	v_bfe_u32 v13, v13, 24, 7
	s_movk_i32 s7, 0x7f
	v_cmp_ne_u32_e32 vcc, s7, v13
	v_mov_b32_e32 v23, 0x7f80
	s_and_saveexec_b64 s[12:13], vcc
	s_cbranch_execz .LBB838_591
; %bb.590:
	v_and_b32_e32 v23, 7, v10
	v_ffbh_u32_e32 v27, v23
	v_min_u32_e32 v27, 32, v27
	v_subrev_u32_e32 v28, 28, v27
	v_lshlrev_b64 v[28:29], v28, v[10:11]
	v_lshrrev_b32_e32 v25, 3, v13
	v_sub_u32_e32 v27, 29, v27
	v_and_b32_e32 v28, 7, v28
	v_cmp_gt_u32_e32 vcc, 8, v13
	v_cndmask_b32_e32 v13, v25, v27, vcc
	v_cndmask_b32_e32 v23, v23, v28, vcc
	v_lshlrev_b32_e32 v10, 24, v10
	v_bfrev_b32_e32 v25, 60
	v_lshlrev_b32_e32 v23, 20, v23
	v_and_b32_e32 v10, 0x80000000, v10
	v_lshl_add_u32 v13, v13, 23, v25
	v_or3_b32 v10, v10, v13, v23
	v_lshrrev_b32_e32 v23, 16, v10
.LBB838_591:
	s_or_b64 exec, exec, s[12:13]
.LBB838_592:
	s_or_b64 exec, exec, s[10:11]
.LBB838_593:
	s_or_b64 exec, exec, s[8:9]
	s_mov_b32 s7, 0x5040100
	v_perm_b32 v19, v19, v20, s7
	v_perm_b32 v18, v11, v18, s7
	ds_read_b128 v[28:31], v22 offset:2064
	v_perm_b32 v11, v23, v24, s7
	v_perm_b32 v10, v12, v21, s7
	s_waitcnt lgkmcnt(0)
	v_mfma_f32_16x16x16bf16_1k v[32:35], v[18:19], v[28:29], v[14:17]
	s_nop 6
	v_mov_b32_e32 v15, 0
	s_waitcnt vmcnt(1)
	v_cmp_ne_u16_sdwa s[10:11], v6, v15 src0_sel:BYTE_0 src1_sel:DWORD
	v_mfma_f32_16x16x16bf16_1k v[10:13], v[10:11], v[30:31], v[32:35]
	v_mov_b32_e32 v16, 0
	s_and_saveexec_b64 s[8:9], s[10:11]
	s_cbranch_execz .LBB838_599
; %bb.594:
	s_movk_i32 s7, 0x80
	v_cmp_ne_u16_sdwa s[12:13], v6, s7 src0_sel:BYTE_0 src1_sel:DWORD
	v_mov_b32_e32 v16, 0xffff8000
	s_and_saveexec_b64 s[10:11], s[12:13]
	s_cbranch_execz .LBB838_598
; %bb.595:
	s_movk_i32 s7, 0x7f
	v_and_b32_e32 v14, 0x7f, v6
	v_cmp_ne_u32_e32 vcc, s7, v14
	v_mov_b32_e32 v16, 0x7f80
	s_and_saveexec_b64 s[12:13], vcc
	s_cbranch_execz .LBB838_597
; %bb.596:
	v_and_b32_e32 v18, 7, v6
	v_ffbh_u32_e32 v16, v18
	v_min_u32_e32 v20, 32, v16
	v_subrev_u32_e32 v16, 28, v20
	v_lshlrev_b64 v[16:17], v16, v[6:7]
	v_lshrrev_b32_e32 v19, 3, v14
	v_sub_u32_e32 v17, 29, v20
	v_and_b32_e32 v16, 7, v16
	v_cmp_gt_u32_e32 vcc, 8, v14
	v_cndmask_b32_e32 v14, v19, v17, vcc
	v_cndmask_b32_e32 v16, v18, v16, vcc
	v_lshlrev_b32_e32 v17, 24, v6
	v_bfrev_b32_e32 v18, 60
	v_lshlrev_b32_e32 v16, 20, v16
	v_and_b32_e32 v17, 0x80000000, v17
	v_lshl_add_u32 v14, v14, 23, v18
	v_or3_b32 v14, v17, v14, v16
	v_lshrrev_b32_e32 v16, 16, v14
.LBB838_597:
	s_or_b64 exec, exec, s[12:13]
.LBB838_598:
	s_or_b64 exec, exec, s[10:11]
.LBB838_599:
	s_or_b64 exec, exec, s[8:9]
	v_lshrrev_b16_e32 v14, 8, v6
	v_cmp_ne_u16_e32 vcc, 0, v14
	s_and_saveexec_b64 s[8:9], vcc
	s_cbranch_execz .LBB838_605
; %bb.600:
	s_movk_i32 s7, 0x80
	v_cmp_ne_u16_e32 vcc, s7, v14
	v_mov_b32_e32 v15, 0xffff8000
	s_and_saveexec_b64 s[10:11], vcc
	s_cbranch_execz .LBB838_604
; %bb.601:
	s_movk_i32 s7, 0x7f
	v_and_b32_e32 v17, 0x7f, v14
	v_cmp_ne_u32_e32 vcc, s7, v17
	v_mov_b32_e32 v15, 0x7f80
	s_and_saveexec_b64 s[12:13], vcc
	s_cbranch_execz .LBB838_603
; %bb.602:
	v_and_b32_e32 v18, 7, v14
	v_ffbh_u32_e32 v15, v18
	v_min_u32_e32 v20, 32, v15
	v_subrev_u32_e32 v15, 28, v20
	v_lshlrev_b64 v[14:15], v15, v[14:15]
	v_lshrrev_b32_e32 v19, 3, v17
	v_sub_u32_e32 v15, 29, v20
	v_and_b32_e32 v14, 7, v14
	v_cmp_gt_u32_e32 vcc, 8, v17
	v_cndmask_b32_e32 v15, v19, v15, vcc
	v_cndmask_b32_e32 v14, v18, v14, vcc
	v_lshlrev_b32_e32 v17, 16, v6
	v_bfrev_b32_e32 v18, 60
	v_lshlrev_b32_e32 v14, 20, v14
	v_and_b32_e32 v17, 0x80000000, v17
	v_lshl_add_u32 v15, v15, 23, v18
	v_or3_b32 v14, v17, v15, v14
	v_lshrrev_b32_e32 v15, 16, v14
.LBB838_603:
	s_or_b64 exec, exec, s[12:13]
.LBB838_604:
	s_or_b64 exec, exec, s[10:11]
.LBB838_605:
	s_or_b64 exec, exec, s[8:9]
	s_movk_i32 s7, 0xff
	v_and_b32_sdwa v19, v6, s7 dst_sel:DWORD dst_unused:UNUSED_PAD src0_sel:WORD_1 src1_sel:DWORD
	v_lshrrev_b32_e32 v14, 16, v6
	v_cmp_ne_u16_e32 vcc, 0, v19
	v_mov_b32_e32 v17, 0
	v_mov_b32_e32 v18, 0
	s_and_saveexec_b64 s[8:9], vcc
	s_cbranch_execz .LBB838_611
; %bb.606:
	s_movk_i32 s7, 0x80
	v_cmp_ne_u16_e32 vcc, s7, v19
	v_mov_b32_e32 v18, 0xffff8000
	s_and_saveexec_b64 s[10:11], vcc
	s_cbranch_execz .LBB838_610
; %bb.607:
	v_bfe_u32 v19, v6, 16, 7
	s_movk_i32 s7, 0x7f
	v_cmp_ne_u32_e32 vcc, s7, v19
	v_mov_b32_e32 v18, 0x7f80
	s_and_saveexec_b64 s[12:13], vcc
	s_cbranch_execz .LBB838_609
; %bb.608:
	v_and_b32_e32 v18, 7, v14
	v_ffbh_u32_e32 v20, v18
	v_min_u32_e32 v24, 32, v20
	v_subrev_u32_e32 v20, 28, v24
	v_lshlrev_b64 v[20:21], v20, v[14:15]
	v_lshrrev_b32_e32 v23, 3, v19
	v_sub_u32_e32 v14, 29, v24
	v_and_b32_e32 v20, 7, v20
	v_cmp_gt_u32_e32 vcc, 8, v19
	v_mov_b32_e32 v19, 24
	v_cndmask_b32_e32 v14, v23, v14, vcc
	v_cndmask_b32_e32 v18, v18, v20, vcc
	v_lshlrev_b32_sdwa v19, v19, v6 dst_sel:DWORD dst_unused:UNUSED_PAD src0_sel:DWORD src1_sel:WORD_1
	v_bfrev_b32_e32 v20, 60
	v_lshlrev_b32_e32 v18, 20, v18
	v_and_b32_e32 v19, 0x80000000, v19
	v_lshl_add_u32 v14, v14, 23, v20
	v_or3_b32 v14, v19, v14, v18
	v_lshrrev_b32_e32 v18, 16, v14
.LBB838_609:
	s_or_b64 exec, exec, s[12:13]
.LBB838_610:
	s_or_b64 exec, exec, s[10:11]
.LBB838_611:
	s_or_b64 exec, exec, s[8:9]
	s_mov_b32 s7, 0xffffff
	v_cmp_lt_u32_e32 vcc, s7, v6
	s_and_saveexec_b64 s[8:9], vcc
	s_cbranch_execz .LBB838_617
; %bb.612:
	v_lshrrev_b32_e32 v14, 24, v6
	s_movk_i32 s7, 0x80
	v_cmp_ne_u32_e32 vcc, s7, v14
	v_mov_b32_e32 v17, 0xffff8000
	s_and_saveexec_b64 s[10:11], vcc
	s_cbranch_execz .LBB838_616
; %bb.613:
	v_bfe_u32 v6, v6, 24, 7
	s_movk_i32 s7, 0x7f
	v_cmp_ne_u32_e32 vcc, s7, v6
	v_mov_b32_e32 v17, 0x7f80
	s_and_saveexec_b64 s[12:13], vcc
	s_cbranch_execz .LBB838_615
; %bb.614:
	v_and_b32_e32 v17, 7, v14
	v_ffbh_u32_e32 v20, v17
	v_min_u32_e32 v23, 32, v20
	v_subrev_u32_e32 v20, 28, v23
	v_lshlrev_b64 v[20:21], v20, v[14:15]
	v_lshrrev_b32_e32 v19, 3, v6
	v_sub_u32_e32 v21, 29, v23
	v_and_b32_e32 v20, 7, v20
	v_cmp_gt_u32_e32 vcc, 8, v6
	v_cndmask_b32_e32 v6, v19, v21, vcc
	v_cndmask_b32_e32 v17, v17, v20, vcc
	v_lshlrev_b32_e32 v14, 24, v14
	v_bfrev_b32_e32 v19, 60
	v_lshlrev_b32_e32 v17, 20, v17
	v_and_b32_e32 v14, 0x80000000, v14
	v_lshl_add_u32 v6, v6, 23, v19
	v_or3_b32 v6, v14, v6, v17
	v_lshrrev_b32_e32 v17, 16, v6
.LBB838_615:
	s_or_b64 exec, exec, s[12:13]
.LBB838_616:
	s_or_b64 exec, exec, s[10:11]
.LBB838_617:
	s_or_b64 exec, exec, s[8:9]
	v_mov_b32_e32 v14, 0
	v_cmp_ne_u16_sdwa s[10:11], v7, v14 src0_sel:BYTE_0 src1_sel:DWORD
	v_mov_b32_e32 v19, 0
	s_and_saveexec_b64 s[8:9], s[10:11]
	s_cbranch_execz .LBB838_623
; %bb.618:
	s_movk_i32 s7, 0x80
	v_cmp_ne_u16_sdwa s[12:13], v7, s7 src0_sel:BYTE_0 src1_sel:DWORD
	v_mov_b32_e32 v19, 0xffff8000
	s_and_saveexec_b64 s[10:11], s[12:13]
	s_cbranch_execz .LBB838_622
; %bb.619:
	s_movk_i32 s7, 0x7f
	v_and_b32_e32 v6, 0x7f, v7
	v_cmp_ne_u32_e32 vcc, s7, v6
	v_mov_b32_e32 v19, 0x7f80
	s_and_saveexec_b64 s[12:13], vcc
	s_cbranch_execz .LBB838_621
; %bb.620:
	v_and_b32_e32 v19, 7, v7
	v_ffbh_u32_e32 v21, v19
	v_min_u32_e32 v24, 32, v21
	v_mov_b32_e32 v20, v7
	v_subrev_u32_e32 v21, 28, v24
	v_lshlrev_b64 v[20:21], v21, v[20:21]
	v_lshrrev_b32_e32 v23, 3, v6
	v_sub_u32_e32 v21, 29, v24
	v_and_b32_e32 v20, 7, v20
	v_cmp_gt_u32_e32 vcc, 8, v6
	v_cndmask_b32_e32 v6, v23, v21, vcc
	v_cndmask_b32_e32 v19, v19, v20, vcc
	v_lshlrev_b32_e32 v20, 24, v7
	v_bfrev_b32_e32 v21, 60
	v_lshlrev_b32_e32 v19, 20, v19
	v_and_b32_e32 v20, 0x80000000, v20
	v_lshl_add_u32 v6, v6, 23, v21
	v_or3_b32 v6, v20, v6, v19
	v_lshrrev_b32_e32 v19, 16, v6
.LBB838_621:
	s_or_b64 exec, exec, s[12:13]
.LBB838_622:
	s_or_b64 exec, exec, s[10:11]
.LBB838_623:
	s_or_b64 exec, exec, s[8:9]
	v_lshrrev_b16_e32 v6, 8, v7
	v_cmp_ne_u16_e32 vcc, 0, v6
	s_and_saveexec_b64 s[8:9], vcc
	s_cbranch_execz .LBB838_629
; %bb.624:
	s_movk_i32 s7, 0x80
	v_cmp_ne_u16_e32 vcc, s7, v6
	v_mov_b32_e32 v14, 0xffff8000
	s_and_saveexec_b64 s[10:11], vcc
	s_cbranch_execz .LBB838_628
; %bb.625:
	s_movk_i32 s7, 0x7f
	v_and_b32_e32 v20, 0x7f, v6
	v_cmp_ne_u32_e32 vcc, s7, v20
	v_mov_b32_e32 v14, 0x7f80
	s_and_saveexec_b64 s[12:13], vcc
	s_cbranch_execz .LBB838_627
; %bb.626:
	v_and_b32_e32 v14, 7, v6
	v_ffbh_u32_e32 v23, v14
	v_min_u32_e32 v23, 32, v23
	v_subrev_u32_e32 v24, 28, v23
	v_lshlrev_b64 v[24:25], v24, v[6:7]
	v_lshrrev_b32_e32 v21, 3, v20
	v_sub_u32_e32 v6, 29, v23
	v_and_b32_e32 v23, 7, v24
	v_cmp_gt_u32_e32 vcc, 8, v20
	v_cndmask_b32_e32 v6, v21, v6, vcc
	v_cndmask_b32_e32 v14, v14, v23, vcc
	v_lshlrev_b32_e32 v20, 16, v7
	v_bfrev_b32_e32 v21, 60
	v_lshlrev_b32_e32 v14, 20, v14
	v_and_b32_e32 v20, 0x80000000, v20
	v_lshl_add_u32 v6, v6, 23, v21
	v_or3_b32 v6, v20, v6, v14
	v_lshrrev_b32_e32 v14, 16, v6
.LBB838_627:
	s_or_b64 exec, exec, s[12:13]
.LBB838_628:
	s_or_b64 exec, exec, s[10:11]
.LBB838_629:
	s_or_b64 exec, exec, s[8:9]
	s_movk_i32 s7, 0xff
	v_and_b32_sdwa v23, v7, s7 dst_sel:DWORD dst_unused:UNUSED_PAD src0_sel:WORD_1 src1_sel:DWORD
	v_lshrrev_b32_e32 v6, 16, v7
	v_cmp_ne_u16_e32 vcc, 0, v23
	v_mov_b32_e32 v20, 0
	v_mov_b32_e32 v21, 0
	s_and_saveexec_b64 s[8:9], vcc
	s_cbranch_execz .LBB838_635
; %bb.630:
	s_movk_i32 s7, 0x80
	v_cmp_ne_u16_e32 vcc, s7, v23
	v_mov_b32_e32 v21, 0xffff8000
	s_and_saveexec_b64 s[10:11], vcc
	s_cbranch_execz .LBB838_634
; %bb.631:
	v_bfe_u32 v23, v7, 16, 7
	s_movk_i32 s7, 0x7f
	v_cmp_ne_u32_e32 vcc, s7, v23
	v_mov_b32_e32 v21, 0x7f80
	s_and_saveexec_b64 s[12:13], vcc
	s_cbranch_execz .LBB838_633
; %bb.632:
	v_and_b32_e32 v21, 7, v6
	v_ffbh_u32_e32 v24, v21
	v_min_u32_e32 v28, 32, v24
	v_subrev_u32_e32 v24, 28, v28
	v_lshlrev_b64 v[24:25], v24, v[6:7]
	v_lshrrev_b32_e32 v27, 3, v23
	v_sub_u32_e32 v6, 29, v28
	v_and_b32_e32 v24, 7, v24
	v_cmp_gt_u32_e32 vcc, 8, v23
	v_mov_b32_e32 v23, 24
	v_cndmask_b32_e32 v6, v27, v6, vcc
	v_cndmask_b32_e32 v21, v21, v24, vcc
	v_lshlrev_b32_sdwa v23, v23, v7 dst_sel:DWORD dst_unused:UNUSED_PAD src0_sel:DWORD src1_sel:WORD_1
	v_bfrev_b32_e32 v24, 60
	v_lshlrev_b32_e32 v21, 20, v21
	v_and_b32_e32 v23, 0x80000000, v23
	v_lshl_add_u32 v6, v6, 23, v24
	v_or3_b32 v6, v23, v6, v21
	v_lshrrev_b32_e32 v21, 16, v6
.LBB838_633:
	s_or_b64 exec, exec, s[12:13]
.LBB838_634:
	s_or_b64 exec, exec, s[10:11]
.LBB838_635:
	s_or_b64 exec, exec, s[8:9]
	s_mov_b32 s7, 0xffffff
	v_cmp_lt_u32_e32 vcc, s7, v7
	s_and_saveexec_b64 s[8:9], vcc
	s_cbranch_execz .LBB838_641
; %bb.636:
	v_lshrrev_b32_e32 v6, 24, v7
	s_movk_i32 s7, 0x80
	v_cmp_ne_u32_e32 vcc, s7, v6
	v_mov_b32_e32 v20, 0xffff8000
	s_and_saveexec_b64 s[10:11], vcc
	s_cbranch_execz .LBB838_640
; %bb.637:
	v_bfe_u32 v7, v7, 24, 7
	s_movk_i32 s7, 0x7f
	v_cmp_ne_u32_e32 vcc, s7, v7
	v_mov_b32_e32 v20, 0x7f80
	s_and_saveexec_b64 s[12:13], vcc
	s_cbranch_execz .LBB838_639
; %bb.638:
	v_and_b32_e32 v20, 7, v6
	v_ffbh_u32_e32 v24, v20
	v_min_u32_e32 v27, 32, v24
	v_subrev_u32_e32 v24, 28, v27
	v_lshlrev_b64 v[24:25], v24, v[6:7]
	v_lshrrev_b32_e32 v23, 3, v7
	v_sub_u32_e32 v25, 29, v27
	v_and_b32_e32 v24, 7, v24
	v_cmp_gt_u32_e32 vcc, 8, v7
	v_cndmask_b32_e32 v7, v23, v25, vcc
	v_cndmask_b32_e32 v20, v20, v24, vcc
	v_lshlrev_b32_e32 v6, 24, v6
	v_bfrev_b32_e32 v23, 60
	v_lshlrev_b32_e32 v20, 20, v20
	v_and_b32_e32 v6, 0x80000000, v6
	v_lshl_add_u32 v7, v7, 23, v23
	v_or3_b32 v6, v6, v7, v20
	v_lshrrev_b32_e32 v20, 16, v6
.LBB838_639:
	s_or_b64 exec, exec, s[12:13]
.LBB838_640:
	s_or_b64 exec, exec, s[10:11]
.LBB838_641:
	s_or_b64 exec, exec, s[8:9]
	s_mov_b32 s7, 0x5040100
	v_perm_b32 v7, v17, v18, s7
	v_perm_b32 v6, v15, v16, s7
	ds_read_b128 v[28:31], v22 offset:4096
	v_perm_b32 v17, v20, v21, s7
	v_perm_b32 v16, v14, v19, s7
	s_waitcnt lgkmcnt(0)
	v_mfma_f32_16x16x16bf16_1k v[10:13], v[6:7], v[28:29], v[10:13]
	v_mov_b32_e32 v7, 0
	v_cmp_ne_u16_sdwa s[10:11], v8, v7 src0_sel:BYTE_0 src1_sel:DWORD
	v_mov_b32_e32 v14, 0
	v_mfma_f32_16x16x16bf16_1k v[10:13], v[16:17], v[30:31], v[10:13]
	s_and_saveexec_b64 s[8:9], s[10:11]
	s_cbranch_execz .LBB838_647
; %bb.642:
	s_movk_i32 s7, 0x80
	v_cmp_ne_u16_sdwa s[12:13], v8, s7 src0_sel:BYTE_0 src1_sel:DWORD
	v_mov_b32_e32 v14, 0xffff8000
	s_and_saveexec_b64 s[10:11], s[12:13]
	s_cbranch_execz .LBB838_646
; %bb.643:
	s_movk_i32 s7, 0x7f
	v_and_b32_e32 v6, 0x7f, v8
	v_cmp_ne_u32_e32 vcc, s7, v6
	v_mov_b32_e32 v14, 0x7f80
	s_and_saveexec_b64 s[12:13], vcc
	s_cbranch_execz .LBB838_645
; %bb.644:
	v_and_b32_e32 v16, 7, v8
	v_ffbh_u32_e32 v14, v16
	v_min_u32_e32 v18, 32, v14
	v_subrev_u32_e32 v14, 28, v18
	v_lshlrev_b64 v[14:15], v14, v[8:9]
	v_lshrrev_b32_e32 v17, 3, v6
	v_sub_u32_e32 v15, 29, v18
	v_and_b32_e32 v14, 7, v14
	v_cmp_gt_u32_e32 vcc, 8, v6
	v_cndmask_b32_e32 v6, v17, v15, vcc
	v_cndmask_b32_e32 v14, v16, v14, vcc
	v_lshlrev_b32_e32 v15, 24, v8
	v_bfrev_b32_e32 v16, 60
	v_lshlrev_b32_e32 v14, 20, v14
	v_and_b32_e32 v15, 0x80000000, v15
	v_lshl_add_u32 v6, v6, 23, v16
	v_or3_b32 v6, v15, v6, v14
	v_lshrrev_b32_e32 v14, 16, v6
.LBB838_645:
	s_or_b64 exec, exec, s[12:13]
.LBB838_646:
	s_or_b64 exec, exec, s[10:11]
.LBB838_647:
	s_or_b64 exec, exec, s[8:9]
	v_lshrrev_b16_e32 v6, 8, v8
	v_cmp_ne_u16_e32 vcc, 0, v6
	s_and_saveexec_b64 s[8:9], vcc
	s_cbranch_execz .LBB838_653
; %bb.648:
	s_movk_i32 s7, 0x80
	v_cmp_ne_u16_e32 vcc, s7, v6
	v_mov_b32_e32 v7, 0xffff8000
	s_and_saveexec_b64 s[10:11], vcc
	s_cbranch_execz .LBB838_652
; %bb.649:
	s_movk_i32 s7, 0x7f
	v_and_b32_e32 v15, 0x7f, v6
	v_cmp_ne_u32_e32 vcc, s7, v15
	v_mov_b32_e32 v7, 0x7f80
	s_and_saveexec_b64 s[12:13], vcc
	s_cbranch_execz .LBB838_651
; %bb.650:
	v_and_b32_e32 v16, 7, v6
	v_ffbh_u32_e32 v7, v16
	v_min_u32_e32 v18, 32, v7
	v_subrev_u32_e32 v7, 28, v18
	v_lshlrev_b64 v[6:7], v7, v[6:7]
	v_lshrrev_b32_e32 v17, 3, v15
	v_sub_u32_e32 v7, 29, v18
	v_and_b32_e32 v6, 7, v6
	v_cmp_gt_u32_e32 vcc, 8, v15
	v_cndmask_b32_e32 v7, v17, v7, vcc
	v_cndmask_b32_e32 v6, v16, v6, vcc
	v_lshlrev_b32_e32 v15, 16, v8
	v_bfrev_b32_e32 v16, 60
	v_lshlrev_b32_e32 v6, 20, v6
	v_and_b32_e32 v15, 0x80000000, v15
	v_lshl_add_u32 v7, v7, 23, v16
	v_or3_b32 v6, v15, v7, v6
	v_lshrrev_b32_e32 v7, 16, v6
.LBB838_651:
	s_or_b64 exec, exec, s[12:13]
.LBB838_652:
	s_or_b64 exec, exec, s[10:11]
.LBB838_653:
	s_or_b64 exec, exec, s[8:9]
	s_movk_i32 s7, 0xff
	v_and_b32_sdwa v17, v8, s7 dst_sel:DWORD dst_unused:UNUSED_PAD src0_sel:WORD_1 src1_sel:DWORD
	v_lshrrev_b32_e32 v6, 16, v8
	v_cmp_ne_u16_e32 vcc, 0, v17
	v_mov_b32_e32 v15, 0
	v_mov_b32_e32 v16, 0
	s_and_saveexec_b64 s[8:9], vcc
	s_cbranch_execz .LBB838_659
; %bb.654:
	s_movk_i32 s7, 0x80
	v_cmp_ne_u16_e32 vcc, s7, v17
	v_mov_b32_e32 v16, 0xffff8000
	s_and_saveexec_b64 s[10:11], vcc
	s_cbranch_execz .LBB838_658
; %bb.655:
	v_bfe_u32 v17, v8, 16, 7
	s_movk_i32 s7, 0x7f
	v_cmp_ne_u32_e32 vcc, s7, v17
	v_mov_b32_e32 v16, 0x7f80
	s_and_saveexec_b64 s[12:13], vcc
	s_cbranch_execz .LBB838_657
; %bb.656:
	v_and_b32_e32 v16, 7, v6
	v_ffbh_u32_e32 v18, v16
	v_min_u32_e32 v21, 32, v18
	v_subrev_u32_e32 v18, 28, v21
	v_lshlrev_b64 v[18:19], v18, v[6:7]
	v_lshrrev_b32_e32 v20, 3, v17
	v_sub_u32_e32 v6, 29, v21
	v_and_b32_e32 v18, 7, v18
	v_cmp_gt_u32_e32 vcc, 8, v17
	v_mov_b32_e32 v17, 24
	v_cndmask_b32_e32 v6, v20, v6, vcc
	v_cndmask_b32_e32 v16, v16, v18, vcc
	v_lshlrev_b32_sdwa v17, v17, v8 dst_sel:DWORD dst_unused:UNUSED_PAD src0_sel:DWORD src1_sel:WORD_1
	v_bfrev_b32_e32 v18, 60
	v_lshlrev_b32_e32 v16, 20, v16
	v_and_b32_e32 v17, 0x80000000, v17
	v_lshl_add_u32 v6, v6, 23, v18
	v_or3_b32 v6, v17, v6, v16
	v_lshrrev_b32_e32 v16, 16, v6
.LBB838_657:
	s_or_b64 exec, exec, s[12:13]
.LBB838_658:
	s_or_b64 exec, exec, s[10:11]
.LBB838_659:
	s_or_b64 exec, exec, s[8:9]
	s_mov_b32 s7, 0xffffff
	v_cmp_lt_u32_e32 vcc, s7, v8
	s_and_saveexec_b64 s[8:9], vcc
	s_cbranch_execz .LBB838_665
; %bb.660:
	v_lshrrev_b32_e32 v6, 24, v8
	s_movk_i32 s7, 0x80
	v_cmp_ne_u32_e32 vcc, s7, v6
	v_mov_b32_e32 v15, 0xffff8000
	s_and_saveexec_b64 s[10:11], vcc
	s_cbranch_execz .LBB838_664
; %bb.661:
	v_bfe_u32 v8, v8, 24, 7
	s_movk_i32 s7, 0x7f
	v_cmp_ne_u32_e32 vcc, s7, v8
	v_mov_b32_e32 v15, 0x7f80
	s_and_saveexec_b64 s[12:13], vcc
	s_cbranch_execz .LBB838_663
; %bb.662:
	v_and_b32_e32 v15, 7, v6
	v_ffbh_u32_e32 v18, v15
	v_min_u32_e32 v20, 32, v18
	v_subrev_u32_e32 v18, 28, v20
	v_lshlrev_b64 v[18:19], v18, v[6:7]
	v_lshrrev_b32_e32 v17, 3, v8
	v_sub_u32_e32 v19, 29, v20
	v_and_b32_e32 v18, 7, v18
	v_cmp_gt_u32_e32 vcc, 8, v8
	v_cndmask_b32_e32 v8, v17, v19, vcc
	v_cndmask_b32_e32 v15, v15, v18, vcc
	v_lshlrev_b32_e32 v6, 24, v6
	v_bfrev_b32_e32 v17, 60
	v_lshlrev_b32_e32 v15, 20, v15
	v_and_b32_e32 v6, 0x80000000, v6
	v_lshl_add_u32 v8, v8, 23, v17
	v_or3_b32 v6, v6, v8, v15
	v_lshrrev_b32_e32 v15, 16, v6
.LBB838_663:
	s_or_b64 exec, exec, s[12:13]
.LBB838_664:
	s_or_b64 exec, exec, s[10:11]
.LBB838_665:
	s_or_b64 exec, exec, s[8:9]
	v_mov_b32_e32 v8, 0
	v_cmp_ne_u16_sdwa s[10:11], v9, v8 src0_sel:BYTE_0 src1_sel:DWORD
	v_mov_b32_e32 v17, 0
	s_and_saveexec_b64 s[8:9], s[10:11]
	s_cbranch_execz .LBB838_671
; %bb.666:
	s_movk_i32 s7, 0x80
	v_cmp_ne_u16_sdwa s[12:13], v9, s7 src0_sel:BYTE_0 src1_sel:DWORD
	v_mov_b32_e32 v17, 0xffff8000
	s_and_saveexec_b64 s[10:11], s[12:13]
	s_cbranch_execz .LBB838_670
; %bb.667:
	s_movk_i32 s7, 0x7f
	v_and_b32_e32 v6, 0x7f, v9
	v_cmp_ne_u32_e32 vcc, s7, v6
	v_mov_b32_e32 v17, 0x7f80
	s_and_saveexec_b64 s[12:13], vcc
	s_cbranch_execz .LBB838_669
; %bb.668:
	v_and_b32_e32 v17, 7, v9
	v_ffbh_u32_e32 v19, v17
	v_min_u32_e32 v21, 32, v19
	v_mov_b32_e32 v18, v9
	v_subrev_u32_e32 v19, 28, v21
	v_lshlrev_b64 v[18:19], v19, v[18:19]
	v_lshrrev_b32_e32 v20, 3, v6
	v_sub_u32_e32 v19, 29, v21
	v_and_b32_e32 v18, 7, v18
	v_cmp_gt_u32_e32 vcc, 8, v6
	v_cndmask_b32_e32 v6, v20, v19, vcc
	v_cndmask_b32_e32 v17, v17, v18, vcc
	v_lshlrev_b32_e32 v18, 24, v9
	v_bfrev_b32_e32 v19, 60
	v_lshlrev_b32_e32 v17, 20, v17
	v_and_b32_e32 v18, 0x80000000, v18
	v_lshl_add_u32 v6, v6, 23, v19
	v_or3_b32 v6, v18, v6, v17
	v_lshrrev_b32_e32 v17, 16, v6
.LBB838_669:
	s_or_b64 exec, exec, s[12:13]
.LBB838_670:
	s_or_b64 exec, exec, s[10:11]
.LBB838_671:
	s_or_b64 exec, exec, s[8:9]
	v_lshrrev_b16_e32 v6, 8, v9
	v_cmp_ne_u16_e32 vcc, 0, v6
	s_and_saveexec_b64 s[8:9], vcc
	s_cbranch_execz .LBB838_677
; %bb.672:
	s_movk_i32 s7, 0x80
	v_cmp_ne_u16_e32 vcc, s7, v6
	v_mov_b32_e32 v8, 0xffff8000
	s_and_saveexec_b64 s[10:11], vcc
	s_cbranch_execz .LBB838_676
; %bb.673:
	s_movk_i32 s7, 0x7f
	v_and_b32_e32 v18, 0x7f, v6
	v_cmp_ne_u32_e32 vcc, s7, v18
	v_mov_b32_e32 v8, 0x7f80
	s_and_saveexec_b64 s[12:13], vcc
	s_cbranch_execz .LBB838_675
; %bb.674:
	v_and_b32_e32 v8, 7, v6
	v_ffbh_u32_e32 v20, v8
	v_min_u32_e32 v23, 32, v20
	v_subrev_u32_e32 v20, 28, v23
	v_lshlrev_b64 v[20:21], v20, v[6:7]
	v_lshrrev_b32_e32 v19, 3, v18
	v_sub_u32_e32 v6, 29, v23
	v_and_b32_e32 v20, 7, v20
	v_cmp_gt_u32_e32 vcc, 8, v18
	v_cndmask_b32_e32 v6, v19, v6, vcc
	v_cndmask_b32_e32 v8, v8, v20, vcc
	v_lshlrev_b32_e32 v18, 16, v9
	v_bfrev_b32_e32 v19, 60
	v_lshlrev_b32_e32 v8, 20, v8
	v_and_b32_e32 v18, 0x80000000, v18
	v_lshl_add_u32 v6, v6, 23, v19
	v_or3_b32 v6, v18, v6, v8
	v_lshrrev_b32_e32 v8, 16, v6
.LBB838_675:
	s_or_b64 exec, exec, s[12:13]
.LBB838_676:
	s_or_b64 exec, exec, s[10:11]
.LBB838_677:
	s_or_b64 exec, exec, s[8:9]
	s_movk_i32 s7, 0xff
	v_and_b32_sdwa v20, v9, s7 dst_sel:DWORD dst_unused:UNUSED_PAD src0_sel:WORD_1 src1_sel:DWORD
	v_lshrrev_b32_e32 v6, 16, v9
	v_cmp_ne_u16_e32 vcc, 0, v20
	v_mov_b32_e32 v18, 0
	v_mov_b32_e32 v19, 0
	s_and_saveexec_b64 s[8:9], vcc
	s_cbranch_execz .LBB838_683
; %bb.678:
	s_movk_i32 s7, 0x80
	v_cmp_ne_u16_e32 vcc, s7, v20
	v_mov_b32_e32 v19, 0xffff8000
	s_and_saveexec_b64 s[10:11], vcc
	s_cbranch_execz .LBB838_682
; %bb.679:
	v_bfe_u32 v20, v9, 16, 7
	s_movk_i32 s7, 0x7f
	v_cmp_ne_u32_e32 vcc, s7, v20
	v_mov_b32_e32 v19, 0x7f80
	s_and_saveexec_b64 s[12:13], vcc
	s_cbranch_execz .LBB838_681
; %bb.680:
	v_and_b32_e32 v19, 7, v6
	v_ffbh_u32_e32 v23, v19
	v_min_u32_e32 v23, 32, v23
	v_subrev_u32_e32 v24, 28, v23
	v_lshlrev_b64 v[24:25], v24, v[6:7]
	v_lshrrev_b32_e32 v21, 3, v20
	v_sub_u32_e32 v6, 29, v23
	v_and_b32_e32 v23, 7, v24
	v_cmp_gt_u32_e32 vcc, 8, v20
	v_mov_b32_e32 v20, 24
	v_cndmask_b32_e32 v6, v21, v6, vcc
	v_cndmask_b32_e32 v19, v19, v23, vcc
	v_lshlrev_b32_sdwa v20, v20, v9 dst_sel:DWORD dst_unused:UNUSED_PAD src0_sel:DWORD src1_sel:WORD_1
	v_bfrev_b32_e32 v21, 60
	v_lshlrev_b32_e32 v19, 20, v19
	v_and_b32_e32 v20, 0x80000000, v20
	v_lshl_add_u32 v6, v6, 23, v21
	v_or3_b32 v6, v20, v6, v19
	v_lshrrev_b32_e32 v19, 16, v6
.LBB838_681:
	s_or_b64 exec, exec, s[12:13]
.LBB838_682:
	s_or_b64 exec, exec, s[10:11]
.LBB838_683:
	s_or_b64 exec, exec, s[8:9]
	s_mov_b32 s7, 0xffffff
	v_cmp_lt_u32_e32 vcc, s7, v9
	s_and_saveexec_b64 s[8:9], vcc
	s_cbranch_execz .LBB838_689
; %bb.684:
	v_lshrrev_b32_e32 v6, 24, v9
	s_movk_i32 s7, 0x80
	v_cmp_ne_u32_e32 vcc, s7, v6
	v_mov_b32_e32 v18, 0xffff8000
	s_and_saveexec_b64 s[10:11], vcc
	s_cbranch_execz .LBB838_688
; %bb.685:
	v_bfe_u32 v9, v9, 24, 7
	s_movk_i32 s7, 0x7f
	v_cmp_ne_u32_e32 vcc, s7, v9
	v_mov_b32_e32 v18, 0x7f80
	s_and_saveexec_b64 s[12:13], vcc
	s_cbranch_execz .LBB838_687
; %bb.686:
	v_and_b32_e32 v18, 7, v6
	v_ffbh_u32_e32 v20, v18
	v_min_u32_e32 v24, 32, v20
	v_subrev_u32_e32 v20, 28, v24
	v_lshlrev_b64 v[20:21], v20, v[6:7]
	v_lshrrev_b32_e32 v23, 3, v9
	v_sub_u32_e32 v21, 29, v24
	v_and_b32_e32 v20, 7, v20
	v_cmp_gt_u32_e32 vcc, 8, v9
	v_cndmask_b32_e32 v9, v23, v21, vcc
	v_cndmask_b32_e32 v18, v18, v20, vcc
	v_lshlrev_b32_e32 v6, 24, v6
	v_bfrev_b32_e32 v20, 60
	v_lshlrev_b32_e32 v18, 20, v18
	v_and_b32_e32 v6, 0x80000000, v6
	v_lshl_add_u32 v9, v9, 23, v20
	v_or3_b32 v6, v6, v9, v18
	v_lshrrev_b32_e32 v18, 16, v6
.LBB838_687:
	s_or_b64 exec, exec, s[12:13]
.LBB838_688:
	s_or_b64 exec, exec, s[10:11]
.LBB838_689:
	s_or_b64 exec, exec, s[8:9]
	s_mov_b32 s7, 0x5040100
	v_perm_b32 v15, v15, v16, s7
	v_perm_b32 v14, v7, v14, s7
	ds_read_b128 v[28:31], v22 offset:4112
	v_perm_b32 v7, v18, v19, s7
	v_perm_b32 v6, v8, v17, s7
	s_waitcnt lgkmcnt(0)
	v_mfma_f32_16x16x16bf16_1k v[32:35], v[14:15], v[28:29], v[10:13]
	s_nop 6
	v_mov_b32_e32 v11, 0
	s_waitcnt vmcnt(0)
	v_cmp_ne_u16_sdwa s[10:11], v2, v11 src0_sel:BYTE_0 src1_sel:DWORD
	v_mfma_f32_16x16x16bf16_1k v[6:9], v[6:7], v[30:31], v[32:35]
	v_mov_b32_e32 v12, 0
	s_and_saveexec_b64 s[8:9], s[10:11]
	s_cbranch_execz .LBB838_695
; %bb.690:
	s_movk_i32 s7, 0x80
	v_cmp_ne_u16_sdwa s[12:13], v2, s7 src0_sel:BYTE_0 src1_sel:DWORD
	v_mov_b32_e32 v12, 0xffff8000
	s_and_saveexec_b64 s[10:11], s[12:13]
	s_cbranch_execz .LBB838_694
; %bb.691:
	s_movk_i32 s7, 0x7f
	v_and_b32_e32 v10, 0x7f, v2
	v_cmp_ne_u32_e32 vcc, s7, v10
	v_mov_b32_e32 v12, 0x7f80
	s_and_saveexec_b64 s[12:13], vcc
	s_cbranch_execz .LBB838_693
; %bb.692:
	v_and_b32_e32 v14, 7, v2
	v_ffbh_u32_e32 v12, v14
	v_min_u32_e32 v16, 32, v12
	v_subrev_u32_e32 v12, 28, v16
	v_lshlrev_b64 v[12:13], v12, v[2:3]
	v_lshrrev_b32_e32 v15, 3, v10
	v_sub_u32_e32 v13, 29, v16
	v_and_b32_e32 v12, 7, v12
	v_cmp_gt_u32_e32 vcc, 8, v10
	v_cndmask_b32_e32 v10, v15, v13, vcc
	v_cndmask_b32_e32 v12, v14, v12, vcc
	v_lshlrev_b32_e32 v13, 24, v2
	v_bfrev_b32_e32 v14, 60
	v_lshlrev_b32_e32 v12, 20, v12
	v_and_b32_e32 v13, 0x80000000, v13
	v_lshl_add_u32 v10, v10, 23, v14
	v_or3_b32 v10, v13, v10, v12
	v_lshrrev_b32_e32 v12, 16, v10
.LBB838_693:
	s_or_b64 exec, exec, s[12:13]
.LBB838_694:
	s_or_b64 exec, exec, s[10:11]
.LBB838_695:
	s_or_b64 exec, exec, s[8:9]
	v_lshrrev_b16_e32 v10, 8, v2
	v_cmp_ne_u16_e32 vcc, 0, v10
	s_and_saveexec_b64 s[8:9], vcc
	s_cbranch_execz .LBB838_701
; %bb.696:
	s_movk_i32 s7, 0x80
	v_cmp_ne_u16_e32 vcc, s7, v10
	v_mov_b32_e32 v11, 0xffff8000
	s_and_saveexec_b64 s[10:11], vcc
	s_cbranch_execz .LBB838_700
; %bb.697:
	s_movk_i32 s7, 0x7f
	v_and_b32_e32 v13, 0x7f, v10
	v_cmp_ne_u32_e32 vcc, s7, v13
	v_mov_b32_e32 v11, 0x7f80
	s_and_saveexec_b64 s[12:13], vcc
	s_cbranch_execz .LBB838_699
; %bb.698:
	v_and_b32_e32 v14, 7, v10
	v_ffbh_u32_e32 v11, v14
	v_min_u32_e32 v16, 32, v11
	v_subrev_u32_e32 v11, 28, v16
	v_lshlrev_b64 v[10:11], v11, v[10:11]
	v_lshrrev_b32_e32 v15, 3, v13
	v_sub_u32_e32 v11, 29, v16
	v_and_b32_e32 v10, 7, v10
	v_cmp_gt_u32_e32 vcc, 8, v13
	v_cndmask_b32_e32 v11, v15, v11, vcc
	v_cndmask_b32_e32 v10, v14, v10, vcc
	v_lshlrev_b32_e32 v13, 16, v2
	v_bfrev_b32_e32 v14, 60
	v_lshlrev_b32_e32 v10, 20, v10
	v_and_b32_e32 v13, 0x80000000, v13
	v_lshl_add_u32 v11, v11, 23, v14
	v_or3_b32 v10, v13, v11, v10
	v_lshrrev_b32_e32 v11, 16, v10
.LBB838_699:
	s_or_b64 exec, exec, s[12:13]
.LBB838_700:
	s_or_b64 exec, exec, s[10:11]
.LBB838_701:
	s_or_b64 exec, exec, s[8:9]
	s_movk_i32 s7, 0xff
	v_and_b32_sdwa v15, v2, s7 dst_sel:DWORD dst_unused:UNUSED_PAD src0_sel:WORD_1 src1_sel:DWORD
	v_lshrrev_b32_e32 v10, 16, v2
	v_cmp_ne_u16_e32 vcc, 0, v15
	v_mov_b32_e32 v13, 0
	v_mov_b32_e32 v14, 0
	s_and_saveexec_b64 s[8:9], vcc
	s_cbranch_execz .LBB838_707
; %bb.702:
	s_movk_i32 s7, 0x80
	v_cmp_ne_u16_e32 vcc, s7, v15
	v_mov_b32_e32 v14, 0xffff8000
	s_and_saveexec_b64 s[10:11], vcc
	s_cbranch_execz .LBB838_706
; %bb.703:
	v_bfe_u32 v15, v2, 16, 7
	s_movk_i32 s7, 0x7f
	v_cmp_ne_u32_e32 vcc, s7, v15
	v_mov_b32_e32 v14, 0x7f80
	s_and_saveexec_b64 s[12:13], vcc
	s_cbranch_execz .LBB838_705
; %bb.704:
	v_and_b32_e32 v14, 7, v10
	v_ffbh_u32_e32 v16, v14
	v_min_u32_e32 v19, 32, v16
	v_subrev_u32_e32 v16, 28, v19
	v_lshlrev_b64 v[16:17], v16, v[10:11]
	v_lshrrev_b32_e32 v18, 3, v15
	v_sub_u32_e32 v10, 29, v19
	v_and_b32_e32 v16, 7, v16
	v_cmp_gt_u32_e32 vcc, 8, v15
	v_mov_b32_e32 v15, 24
	v_cndmask_b32_e32 v10, v18, v10, vcc
	v_cndmask_b32_e32 v14, v14, v16, vcc
	v_lshlrev_b32_sdwa v15, v15, v2 dst_sel:DWORD dst_unused:UNUSED_PAD src0_sel:DWORD src1_sel:WORD_1
	v_bfrev_b32_e32 v16, 60
	v_lshlrev_b32_e32 v14, 20, v14
	v_and_b32_e32 v15, 0x80000000, v15
	v_lshl_add_u32 v10, v10, 23, v16
	v_or3_b32 v10, v15, v10, v14
	v_lshrrev_b32_e32 v14, 16, v10
.LBB838_705:
	s_or_b64 exec, exec, s[12:13]
.LBB838_706:
	s_or_b64 exec, exec, s[10:11]
.LBB838_707:
	s_or_b64 exec, exec, s[8:9]
	s_mov_b32 s7, 0xffffff
	v_cmp_lt_u32_e32 vcc, s7, v2
	s_and_saveexec_b64 s[8:9], vcc
	s_cbranch_execz .LBB838_713
; %bb.708:
	v_lshrrev_b32_e32 v10, 24, v2
	s_movk_i32 s7, 0x80
	v_cmp_ne_u32_e32 vcc, s7, v10
	v_mov_b32_e32 v13, 0xffff8000
	s_and_saveexec_b64 s[10:11], vcc
	s_cbranch_execz .LBB838_712
; %bb.709:
	v_bfe_u32 v2, v2, 24, 7
	s_movk_i32 s7, 0x7f
	v_cmp_ne_u32_e32 vcc, s7, v2
	v_mov_b32_e32 v13, 0x7f80
	s_and_saveexec_b64 s[12:13], vcc
	s_cbranch_execz .LBB838_711
; %bb.710:
	v_and_b32_e32 v13, 7, v10
	v_ffbh_u32_e32 v16, v13
	v_min_u32_e32 v18, 32, v16
	v_subrev_u32_e32 v16, 28, v18
	v_lshlrev_b64 v[16:17], v16, v[10:11]
	v_lshrrev_b32_e32 v15, 3, v2
	v_sub_u32_e32 v17, 29, v18
	v_and_b32_e32 v16, 7, v16
	v_cmp_gt_u32_e32 vcc, 8, v2
	v_cndmask_b32_e32 v2, v15, v17, vcc
	v_cndmask_b32_e32 v13, v13, v16, vcc
	v_lshlrev_b32_e32 v10, 24, v10
	v_bfrev_b32_e32 v15, 60
	v_lshlrev_b32_e32 v13, 20, v13
	v_and_b32_e32 v10, 0x80000000, v10
	v_lshl_add_u32 v2, v2, 23, v15
	v_or3_b32 v2, v10, v2, v13
	v_lshrrev_b32_e32 v13, 16, v2
.LBB838_711:
	s_or_b64 exec, exec, s[12:13]
.LBB838_712:
	s_or_b64 exec, exec, s[10:11]
.LBB838_713:
	s_or_b64 exec, exec, s[8:9]
	v_mov_b32_e32 v10, 0
	v_cmp_ne_u16_sdwa s[10:11], v3, v10 src0_sel:BYTE_0 src1_sel:DWORD
	v_mov_b32_e32 v15, 0
	s_and_saveexec_b64 s[8:9], s[10:11]
	s_cbranch_execz .LBB838_719
; %bb.714:
	s_movk_i32 s7, 0x80
	v_cmp_ne_u16_sdwa s[12:13], v3, s7 src0_sel:BYTE_0 src1_sel:DWORD
	v_mov_b32_e32 v15, 0xffff8000
	s_and_saveexec_b64 s[10:11], s[12:13]
	s_cbranch_execz .LBB838_718
; %bb.715:
	s_movk_i32 s7, 0x7f
	v_and_b32_e32 v2, 0x7f, v3
	v_cmp_ne_u32_e32 vcc, s7, v2
	v_mov_b32_e32 v15, 0x7f80
	s_and_saveexec_b64 s[12:13], vcc
	s_cbranch_execz .LBB838_717
; %bb.716:
	v_and_b32_e32 v15, 7, v3
	v_ffbh_u32_e32 v17, v15
	v_min_u32_e32 v19, 32, v17
	v_mov_b32_e32 v16, v3
	v_subrev_u32_e32 v17, 28, v19
	v_lshlrev_b64 v[16:17], v17, v[16:17]
	v_lshrrev_b32_e32 v18, 3, v2
	v_sub_u32_e32 v17, 29, v19
	v_and_b32_e32 v16, 7, v16
	v_cmp_gt_u32_e32 vcc, 8, v2
	v_cndmask_b32_e32 v2, v18, v17, vcc
	v_cndmask_b32_e32 v15, v15, v16, vcc
	v_lshlrev_b32_e32 v16, 24, v3
	v_bfrev_b32_e32 v17, 60
	v_lshlrev_b32_e32 v15, 20, v15
	v_and_b32_e32 v16, 0x80000000, v16
	v_lshl_add_u32 v2, v2, 23, v17
	v_or3_b32 v2, v16, v2, v15
	v_lshrrev_b32_e32 v15, 16, v2
.LBB838_717:
	s_or_b64 exec, exec, s[12:13]
.LBB838_718:
	s_or_b64 exec, exec, s[10:11]
.LBB838_719:
	s_or_b64 exec, exec, s[8:9]
	v_lshrrev_b16_e32 v2, 8, v3
	v_cmp_ne_u16_e32 vcc, 0, v2
	s_and_saveexec_b64 s[8:9], vcc
	s_cbranch_execz .LBB838_725
; %bb.720:
	s_movk_i32 s7, 0x80
	v_cmp_ne_u16_e32 vcc, s7, v2
	v_mov_b32_e32 v10, 0xffff8000
	s_and_saveexec_b64 s[10:11], vcc
	s_cbranch_execz .LBB838_724
; %bb.721:
	s_movk_i32 s7, 0x7f
	v_and_b32_e32 v16, 0x7f, v2
	v_cmp_ne_u32_e32 vcc, s7, v16
	v_mov_b32_e32 v10, 0x7f80
	s_and_saveexec_b64 s[12:13], vcc
	s_cbranch_execz .LBB838_723
; %bb.722:
	v_and_b32_e32 v10, 7, v2
	v_ffbh_u32_e32 v18, v10
	v_min_u32_e32 v20, 32, v18
	v_subrev_u32_e32 v18, 28, v20
	v_lshlrev_b64 v[18:19], v18, v[2:3]
	v_lshrrev_b32_e32 v17, 3, v16
	v_sub_u32_e32 v2, 29, v20
	v_and_b32_e32 v18, 7, v18
	v_cmp_gt_u32_e32 vcc, 8, v16
	v_cndmask_b32_e32 v2, v17, v2, vcc
	v_cndmask_b32_e32 v10, v10, v18, vcc
	v_lshlrev_b32_e32 v16, 16, v3
	v_bfrev_b32_e32 v17, 60
	v_lshlrev_b32_e32 v10, 20, v10
	v_and_b32_e32 v16, 0x80000000, v16
	v_lshl_add_u32 v2, v2, 23, v17
	v_or3_b32 v2, v16, v2, v10
	v_lshrrev_b32_e32 v10, 16, v2
.LBB838_723:
	s_or_b64 exec, exec, s[12:13]
.LBB838_724:
	s_or_b64 exec, exec, s[10:11]
.LBB838_725:
	s_or_b64 exec, exec, s[8:9]
	s_movk_i32 s7, 0xff
	v_and_b32_sdwa v18, v3, s7 dst_sel:DWORD dst_unused:UNUSED_PAD src0_sel:WORD_1 src1_sel:DWORD
	v_lshrrev_b32_e32 v2, 16, v3
	v_cmp_ne_u16_e32 vcc, 0, v18
	v_mov_b32_e32 v16, 0
	v_mov_b32_e32 v17, 0
	s_and_saveexec_b64 s[8:9], vcc
	s_cbranch_execz .LBB838_731
; %bb.726:
	s_movk_i32 s7, 0x80
	v_cmp_ne_u16_e32 vcc, s7, v18
	v_mov_b32_e32 v17, 0xffff8000
	s_and_saveexec_b64 s[10:11], vcc
	s_cbranch_execz .LBB838_730
; %bb.727:
	v_bfe_u32 v18, v3, 16, 7
	s_movk_i32 s7, 0x7f
	v_cmp_ne_u32_e32 vcc, s7, v18
	v_mov_b32_e32 v17, 0x7f80
	s_and_saveexec_b64 s[12:13], vcc
	s_cbranch_execz .LBB838_729
; %bb.728:
	v_and_b32_e32 v17, 7, v2
	v_ffbh_u32_e32 v20, v17
	v_min_u32_e32 v23, 32, v20
	v_subrev_u32_e32 v20, 28, v23
	v_lshlrev_b64 v[20:21], v20, v[2:3]
	v_lshrrev_b32_e32 v19, 3, v18
	v_sub_u32_e32 v2, 29, v23
	v_and_b32_e32 v20, 7, v20
	v_cmp_gt_u32_e32 vcc, 8, v18
	v_mov_b32_e32 v18, 24
	v_cndmask_b32_e32 v2, v19, v2, vcc
	v_cndmask_b32_e32 v17, v17, v20, vcc
	v_lshlrev_b32_sdwa v18, v18, v3 dst_sel:DWORD dst_unused:UNUSED_PAD src0_sel:DWORD src1_sel:WORD_1
	v_bfrev_b32_e32 v19, 60
	v_lshlrev_b32_e32 v17, 20, v17
	v_and_b32_e32 v18, 0x80000000, v18
	v_lshl_add_u32 v2, v2, 23, v19
	v_or3_b32 v2, v18, v2, v17
	v_lshrrev_b32_e32 v17, 16, v2
.LBB838_729:
	s_or_b64 exec, exec, s[12:13]
.LBB838_730:
	s_or_b64 exec, exec, s[10:11]
.LBB838_731:
	s_or_b64 exec, exec, s[8:9]
	s_mov_b32 s7, 0xffffff
	v_cmp_lt_u32_e32 vcc, s7, v3
	s_and_saveexec_b64 s[8:9], vcc
	s_cbranch_execz .LBB838_737
; %bb.732:
	v_lshrrev_b32_e32 v2, 24, v3
	s_movk_i32 s7, 0x80
	v_cmp_ne_u32_e32 vcc, s7, v2
	v_mov_b32_e32 v16, 0xffff8000
	s_and_saveexec_b64 s[10:11], vcc
	s_cbranch_execz .LBB838_736
; %bb.733:
	v_bfe_u32 v3, v3, 24, 7
	s_movk_i32 s7, 0x7f
	v_cmp_ne_u32_e32 vcc, s7, v3
	v_mov_b32_e32 v16, 0x7f80
	s_and_saveexec_b64 s[12:13], vcc
	s_cbranch_execz .LBB838_735
; %bb.734:
	v_and_b32_e32 v16, 7, v2
	v_ffbh_u32_e32 v18, v16
	v_min_u32_e32 v21, 32, v18
	v_subrev_u32_e32 v18, 28, v21
	v_lshlrev_b64 v[18:19], v18, v[2:3]
	v_lshrrev_b32_e32 v20, 3, v3
	v_sub_u32_e32 v19, 29, v21
	v_and_b32_e32 v18, 7, v18
	v_cmp_gt_u32_e32 vcc, 8, v3
	v_cndmask_b32_e32 v3, v20, v19, vcc
	v_cndmask_b32_e32 v16, v16, v18, vcc
	v_lshlrev_b32_e32 v2, 24, v2
	v_bfrev_b32_e32 v18, 60
	v_lshlrev_b32_e32 v16, 20, v16
	v_and_b32_e32 v2, 0x80000000, v2
	v_lshl_add_u32 v3, v3, 23, v18
	v_or3_b32 v2, v2, v3, v16
	v_lshrrev_b32_e32 v16, 16, v2
.LBB838_735:
	s_or_b64 exec, exec, s[12:13]
.LBB838_736:
	s_or_b64 exec, exec, s[10:11]
.LBB838_737:
	s_or_b64 exec, exec, s[8:9]
	s_mov_b32 s7, 0x5040100
	v_perm_b32 v3, v13, v14, s7
	v_perm_b32 v2, v11, v12, s7
	ds_read_b128 v[18:21], v22 offset:6144
	v_perm_b32 v13, v16, v17, s7
	v_perm_b32 v12, v10, v15, s7
	s_waitcnt lgkmcnt(0)
	v_mfma_f32_16x16x16bf16_1k v[6:9], v[2:3], v[18:19], v[6:9]
	v_mov_b32_e32 v3, 0
	v_cmp_ne_u16_sdwa s[10:11], v4, v3 src0_sel:BYTE_0 src1_sel:DWORD
	v_mov_b32_e32 v10, 0
	v_mfma_f32_16x16x16bf16_1k v[6:9], v[12:13], v[20:21], v[6:9]
	s_and_saveexec_b64 s[8:9], s[10:11]
	s_cbranch_execz .LBB838_743
; %bb.738:
	s_movk_i32 s7, 0x80
	v_cmp_ne_u16_sdwa s[12:13], v4, s7 src0_sel:BYTE_0 src1_sel:DWORD
	v_mov_b32_e32 v10, 0xffff8000
	s_and_saveexec_b64 s[10:11], s[12:13]
	s_cbranch_execz .LBB838_742
; %bb.739:
	s_movk_i32 s7, 0x7f
	v_and_b32_e32 v2, 0x7f, v4
	v_cmp_ne_u32_e32 vcc, s7, v2
	v_mov_b32_e32 v10, 0x7f80
	s_and_saveexec_b64 s[12:13], vcc
	s_cbranch_execz .LBB838_741
; %bb.740:
	v_and_b32_e32 v12, 7, v4
	v_ffbh_u32_e32 v10, v12
	v_min_u32_e32 v14, 32, v10
	v_subrev_u32_e32 v10, 28, v14
	v_lshlrev_b64 v[10:11], v10, v[4:5]
	v_lshrrev_b32_e32 v13, 3, v2
	v_sub_u32_e32 v11, 29, v14
	v_and_b32_e32 v10, 7, v10
	v_cmp_gt_u32_e32 vcc, 8, v2
	v_cndmask_b32_e32 v2, v13, v11, vcc
	v_cndmask_b32_e32 v10, v12, v10, vcc
	v_lshlrev_b32_e32 v11, 24, v4
	v_bfrev_b32_e32 v12, 60
	v_lshlrev_b32_e32 v10, 20, v10
	v_and_b32_e32 v11, 0x80000000, v11
	v_lshl_add_u32 v2, v2, 23, v12
	v_or3_b32 v2, v11, v2, v10
	v_lshrrev_b32_e32 v10, 16, v2
.LBB838_741:
	s_or_b64 exec, exec, s[12:13]
.LBB838_742:
	s_or_b64 exec, exec, s[10:11]
.LBB838_743:
	s_or_b64 exec, exec, s[8:9]
	v_lshrrev_b16_e32 v2, 8, v4
	v_cmp_ne_u16_e32 vcc, 0, v2
	s_and_saveexec_b64 s[8:9], vcc
	s_cbranch_execz .LBB838_749
; %bb.744:
	s_movk_i32 s7, 0x80
	v_cmp_ne_u16_e32 vcc, s7, v2
	v_mov_b32_e32 v3, 0xffff8000
	s_and_saveexec_b64 s[10:11], vcc
	s_cbranch_execz .LBB838_748
; %bb.745:
	s_movk_i32 s7, 0x7f
	v_and_b32_e32 v11, 0x7f, v2
	v_cmp_ne_u32_e32 vcc, s7, v11
	v_mov_b32_e32 v3, 0x7f80
	s_and_saveexec_b64 s[12:13], vcc
	s_cbranch_execz .LBB838_747
; %bb.746:
	v_and_b32_e32 v12, 7, v2
	v_ffbh_u32_e32 v3, v12
	v_min_u32_e32 v14, 32, v3
	v_subrev_u32_e32 v3, 28, v14
	v_lshlrev_b64 v[2:3], v3, v[2:3]
	v_lshrrev_b32_e32 v13, 3, v11
	v_sub_u32_e32 v3, 29, v14
	v_and_b32_e32 v2, 7, v2
	v_cmp_gt_u32_e32 vcc, 8, v11
	v_cndmask_b32_e32 v3, v13, v3, vcc
	v_cndmask_b32_e32 v2, v12, v2, vcc
	v_lshlrev_b32_e32 v11, 16, v4
	v_bfrev_b32_e32 v12, 60
	v_lshlrev_b32_e32 v2, 20, v2
	v_and_b32_e32 v11, 0x80000000, v11
	v_lshl_add_u32 v3, v3, 23, v12
	v_or3_b32 v2, v11, v3, v2
	v_lshrrev_b32_e32 v3, 16, v2
.LBB838_747:
	s_or_b64 exec, exec, s[12:13]
.LBB838_748:
	s_or_b64 exec, exec, s[10:11]
.LBB838_749:
	s_or_b64 exec, exec, s[8:9]
	s_movk_i32 s7, 0xff
	v_and_b32_sdwa v13, v4, s7 dst_sel:DWORD dst_unused:UNUSED_PAD src0_sel:WORD_1 src1_sel:DWORD
	v_lshrrev_b32_e32 v2, 16, v4
	v_cmp_ne_u16_e32 vcc, 0, v13
	v_mov_b32_e32 v11, 0
	v_mov_b32_e32 v12, 0
	s_and_saveexec_b64 s[8:9], vcc
	s_cbranch_execz .LBB838_755
; %bb.750:
	s_movk_i32 s7, 0x80
	v_cmp_ne_u16_e32 vcc, s7, v13
	v_mov_b32_e32 v12, 0xffff8000
	s_and_saveexec_b64 s[10:11], vcc
	s_cbranch_execz .LBB838_754
; %bb.751:
	v_bfe_u32 v13, v4, 16, 7
	s_movk_i32 s7, 0x7f
	v_cmp_ne_u32_e32 vcc, s7, v13
	v_mov_b32_e32 v12, 0x7f80
	s_and_saveexec_b64 s[12:13], vcc
	s_cbranch_execz .LBB838_753
; %bb.752:
	v_and_b32_e32 v12, 7, v2
	v_ffbh_u32_e32 v14, v12
	v_min_u32_e32 v17, 32, v14
	v_subrev_u32_e32 v14, 28, v17
	v_lshlrev_b64 v[14:15], v14, v[2:3]
	v_lshrrev_b32_e32 v16, 3, v13
	v_sub_u32_e32 v2, 29, v17
	v_and_b32_e32 v14, 7, v14
	v_cmp_gt_u32_e32 vcc, 8, v13
	v_mov_b32_e32 v13, 24
	v_cndmask_b32_e32 v2, v16, v2, vcc
	v_cndmask_b32_e32 v12, v12, v14, vcc
	v_lshlrev_b32_sdwa v13, v13, v4 dst_sel:DWORD dst_unused:UNUSED_PAD src0_sel:DWORD src1_sel:WORD_1
	v_bfrev_b32_e32 v14, 60
	v_lshlrev_b32_e32 v12, 20, v12
	v_and_b32_e32 v13, 0x80000000, v13
	v_lshl_add_u32 v2, v2, 23, v14
	v_or3_b32 v2, v13, v2, v12
	v_lshrrev_b32_e32 v12, 16, v2
.LBB838_753:
	s_or_b64 exec, exec, s[12:13]
.LBB838_754:
	s_or_b64 exec, exec, s[10:11]
.LBB838_755:
	s_or_b64 exec, exec, s[8:9]
	s_mov_b32 s7, 0xffffff
	v_cmp_lt_u32_e32 vcc, s7, v4
	s_and_saveexec_b64 s[8:9], vcc
	s_cbranch_execz .LBB838_761
; %bb.756:
	v_lshrrev_b32_e32 v2, 24, v4
	s_movk_i32 s7, 0x80
	v_cmp_ne_u32_e32 vcc, s7, v2
	v_mov_b32_e32 v11, 0xffff8000
	s_and_saveexec_b64 s[10:11], vcc
	s_cbranch_execz .LBB838_760
; %bb.757:
	v_bfe_u32 v4, v4, 24, 7
	s_movk_i32 s7, 0x7f
	v_cmp_ne_u32_e32 vcc, s7, v4
	v_mov_b32_e32 v11, 0x7f80
	s_and_saveexec_b64 s[12:13], vcc
	s_cbranch_execz .LBB838_759
; %bb.758:
	v_and_b32_e32 v11, 7, v2
	v_ffbh_u32_e32 v14, v11
	v_min_u32_e32 v16, 32, v14
	v_subrev_u32_e32 v14, 28, v16
	v_lshlrev_b64 v[14:15], v14, v[2:3]
	v_lshrrev_b32_e32 v13, 3, v4
	v_sub_u32_e32 v15, 29, v16
	v_and_b32_e32 v14, 7, v14
	v_cmp_gt_u32_e32 vcc, 8, v4
	v_cndmask_b32_e32 v4, v13, v15, vcc
	v_cndmask_b32_e32 v11, v11, v14, vcc
	v_lshlrev_b32_e32 v2, 24, v2
	v_bfrev_b32_e32 v13, 60
	v_lshlrev_b32_e32 v11, 20, v11
	v_and_b32_e32 v2, 0x80000000, v2
	v_lshl_add_u32 v4, v4, 23, v13
	v_or3_b32 v2, v2, v4, v11
	v_lshrrev_b32_e32 v11, 16, v2
.LBB838_759:
	s_or_b64 exec, exec, s[12:13]
.LBB838_760:
	s_or_b64 exec, exec, s[10:11]
.LBB838_761:
	s_or_b64 exec, exec, s[8:9]
	v_mov_b32_e32 v4, 0
	v_cmp_ne_u16_sdwa s[10:11], v5, v4 src0_sel:BYTE_0 src1_sel:DWORD
	v_mov_b32_e32 v13, 0
	s_and_saveexec_b64 s[8:9], s[10:11]
	s_cbranch_execz .LBB838_767
; %bb.762:
	s_movk_i32 s7, 0x80
	v_cmp_ne_u16_sdwa s[12:13], v5, s7 src0_sel:BYTE_0 src1_sel:DWORD
	v_mov_b32_e32 v13, 0xffff8000
	s_and_saveexec_b64 s[10:11], s[12:13]
	s_cbranch_execz .LBB838_766
; %bb.763:
	s_movk_i32 s7, 0x7f
	v_and_b32_e32 v2, 0x7f, v5
	v_cmp_ne_u32_e32 vcc, s7, v2
	v_mov_b32_e32 v13, 0x7f80
	s_and_saveexec_b64 s[12:13], vcc
	s_cbranch_execz .LBB838_765
; %bb.764:
	v_and_b32_e32 v13, 7, v5
	v_ffbh_u32_e32 v15, v13
	v_min_u32_e32 v17, 32, v15
	v_mov_b32_e32 v14, v5
	v_subrev_u32_e32 v15, 28, v17
	v_lshlrev_b64 v[14:15], v15, v[14:15]
	v_lshrrev_b32_e32 v16, 3, v2
	v_sub_u32_e32 v15, 29, v17
	v_and_b32_e32 v14, 7, v14
	v_cmp_gt_u32_e32 vcc, 8, v2
	v_cndmask_b32_e32 v2, v16, v15, vcc
	v_cndmask_b32_e32 v13, v13, v14, vcc
	v_lshlrev_b32_e32 v14, 24, v5
	v_bfrev_b32_e32 v15, 60
	v_lshlrev_b32_e32 v13, 20, v13
	v_and_b32_e32 v14, 0x80000000, v14
	v_lshl_add_u32 v2, v2, 23, v15
	v_or3_b32 v2, v14, v2, v13
	v_lshrrev_b32_e32 v13, 16, v2
.LBB838_765:
	s_or_b64 exec, exec, s[12:13]
.LBB838_766:
	s_or_b64 exec, exec, s[10:11]
.LBB838_767:
	s_or_b64 exec, exec, s[8:9]
	v_lshrrev_b16_e32 v2, 8, v5
	v_cmp_ne_u16_e32 vcc, 0, v2
	s_and_saveexec_b64 s[8:9], vcc
	s_cbranch_execz .LBB838_773
; %bb.768:
	s_movk_i32 s7, 0x80
	v_cmp_ne_u16_e32 vcc, s7, v2
	v_mov_b32_e32 v4, 0xffff8000
	s_and_saveexec_b64 s[10:11], vcc
	s_cbranch_execz .LBB838_772
; %bb.769:
	s_movk_i32 s7, 0x7f
	v_and_b32_e32 v14, 0x7f, v2
	v_cmp_ne_u32_e32 vcc, s7, v14
	v_mov_b32_e32 v4, 0x7f80
	s_and_saveexec_b64 s[12:13], vcc
	s_cbranch_execz .LBB838_771
; %bb.770:
	v_and_b32_e32 v4, 7, v2
	v_ffbh_u32_e32 v16, v4
	v_min_u32_e32 v18, 32, v16
	v_subrev_u32_e32 v16, 28, v18
	v_lshlrev_b64 v[16:17], v16, v[2:3]
	v_lshrrev_b32_e32 v15, 3, v14
	v_sub_u32_e32 v2, 29, v18
	v_and_b32_e32 v16, 7, v16
	v_cmp_gt_u32_e32 vcc, 8, v14
	v_cndmask_b32_e32 v2, v15, v2, vcc
	v_cndmask_b32_e32 v4, v4, v16, vcc
	v_lshlrev_b32_e32 v14, 16, v5
	v_bfrev_b32_e32 v15, 60
	v_lshlrev_b32_e32 v4, 20, v4
	v_and_b32_e32 v14, 0x80000000, v14
	v_lshl_add_u32 v2, v2, 23, v15
	v_or3_b32 v2, v14, v2, v4
	v_lshrrev_b32_e32 v4, 16, v2
.LBB838_771:
	s_or_b64 exec, exec, s[12:13]
.LBB838_772:
	s_or_b64 exec, exec, s[10:11]
.LBB838_773:
	s_or_b64 exec, exec, s[8:9]
	s_movk_i32 s7, 0xff
	v_and_b32_sdwa v16, v5, s7 dst_sel:DWORD dst_unused:UNUSED_PAD src0_sel:WORD_1 src1_sel:DWORD
	v_lshrrev_b32_e32 v2, 16, v5
	v_cmp_ne_u16_e32 vcc, 0, v16
	v_mov_b32_e32 v14, 0
	v_mov_b32_e32 v15, 0
	s_and_saveexec_b64 s[8:9], vcc
	s_cbranch_execz .LBB838_779
; %bb.774:
	s_movk_i32 s7, 0x80
	v_cmp_ne_u16_e32 vcc, s7, v16
	v_mov_b32_e32 v15, 0xffff8000
	s_and_saveexec_b64 s[10:11], vcc
	s_cbranch_execz .LBB838_778
; %bb.775:
	v_bfe_u32 v16, v5, 16, 7
	s_movk_i32 s7, 0x7f
	v_cmp_ne_u32_e32 vcc, s7, v16
	v_mov_b32_e32 v15, 0x7f80
	s_and_saveexec_b64 s[12:13], vcc
	s_cbranch_execz .LBB838_777
; %bb.776:
	v_and_b32_e32 v15, 7, v2
	v_ffbh_u32_e32 v18, v15
	v_min_u32_e32 v20, 32, v18
	v_subrev_u32_e32 v18, 28, v20
	v_lshlrev_b64 v[18:19], v18, v[2:3]
	v_lshrrev_b32_e32 v17, 3, v16
	v_sub_u32_e32 v2, 29, v20
	v_and_b32_e32 v18, 7, v18
	v_cmp_gt_u32_e32 vcc, 8, v16
	v_mov_b32_e32 v16, 24
	v_cndmask_b32_e32 v2, v17, v2, vcc
	v_cndmask_b32_e32 v15, v15, v18, vcc
	v_lshlrev_b32_sdwa v16, v16, v5 dst_sel:DWORD dst_unused:UNUSED_PAD src0_sel:DWORD src1_sel:WORD_1
	v_bfrev_b32_e32 v17, 60
	v_lshlrev_b32_e32 v15, 20, v15
	v_and_b32_e32 v16, 0x80000000, v16
	v_lshl_add_u32 v2, v2, 23, v17
	v_or3_b32 v2, v16, v2, v15
	v_lshrrev_b32_e32 v15, 16, v2
.LBB838_777:
	s_or_b64 exec, exec, s[12:13]
.LBB838_778:
	s_or_b64 exec, exec, s[10:11]
.LBB838_779:
	s_or_b64 exec, exec, s[8:9]
	s_mov_b32 s7, 0xffffff
	v_cmp_lt_u32_e32 vcc, s7, v5
	s_and_saveexec_b64 s[8:9], vcc
	s_cbranch_execz .LBB838_785
; %bb.780:
	v_lshrrev_b32_e32 v2, 24, v5
	s_movk_i32 s7, 0x80
	v_cmp_ne_u32_e32 vcc, s7, v2
	v_mov_b32_e32 v14, 0xffff8000
	s_and_saveexec_b64 s[10:11], vcc
	s_cbranch_execz .LBB838_784
; %bb.781:
	v_bfe_u32 v5, v5, 24, 7
	s_movk_i32 s7, 0x7f
	v_cmp_ne_u32_e32 vcc, s7, v5
	v_mov_b32_e32 v14, 0x7f80
	s_and_saveexec_b64 s[12:13], vcc
	s_cbranch_execz .LBB838_783
; %bb.782:
	v_and_b32_e32 v14, 7, v2
	v_ffbh_u32_e32 v16, v14
	v_min_u32_e32 v19, 32, v16
	v_subrev_u32_e32 v16, 28, v19
	v_lshlrev_b64 v[16:17], v16, v[2:3]
	v_lshrrev_b32_e32 v18, 3, v5
	v_sub_u32_e32 v17, 29, v19
	v_and_b32_e32 v16, 7, v16
	v_cmp_gt_u32_e32 vcc, 8, v5
	v_cndmask_b32_e32 v5, v18, v17, vcc
	v_cndmask_b32_e32 v14, v14, v16, vcc
	v_lshlrev_b32_e32 v2, 24, v2
	v_bfrev_b32_e32 v16, 60
	v_lshlrev_b32_e32 v14, 20, v14
	v_and_b32_e32 v2, 0x80000000, v2
	v_lshl_add_u32 v5, v5, 23, v16
	v_or3_b32 v2, v2, v5, v14
	v_lshrrev_b32_e32 v14, 16, v2
.LBB838_783:
	s_or_b64 exec, exec, s[12:13]
.LBB838_784:
	s_or_b64 exec, exec, s[10:11]
.LBB838_785:
	s_or_b64 exec, exec, s[8:9]
	s_mov_b32 s7, 0x5040100
	v_perm_b32 v11, v11, v12, s7
	ds_read_b128 v[16:19], v22 offset:6160
	v_perm_b32 v10, v3, v10, s7
	v_perm_b32 v3, v14, v15, s7
	;; [unrolled: 1-line block ×3, first 2 shown]
	s_waitcnt lgkmcnt(0)
	v_mfma_f32_16x16x16bf16_1k v[6:9], v[10:11], v[16:17], v[6:9]
	s_load_dword s8, s[42:43], 0x0
	s_movk_i32 s9, 0x7fff
	s_mov_b32 s7, 0x7060302
	v_cmp_gt_u32_e32 vcc, 64, v0
	s_and_b64 s[0:1], vcc, s[0:1]
	s_waitcnt lgkmcnt(0)
	s_barrier
	v_mfma_f32_16x16x16bf16_1k v[2:5], v[2:3], v[18:19], v[6:9]
	s_nop 7
	s_nop 2
	v_pk_mul_f32 v[4:5], v[4:5], s[8:9] op_sel_hi:[1,0]
	v_pk_mul_f32 v[2:3], v[2:3], s[8:9] op_sel_hi:[1,0]
	v_bfe_u32 v6, v3, 16, 1
	v_bfe_u32 v7, v2, 16, 1
	;; [unrolled: 1-line block ×4, first 2 shown]
	v_add3_u32 v2, v2, v7, s9
	v_add3_u32 v3, v3, v6, s9
	;; [unrolled: 1-line block ×4, first 2 shown]
	v_perm_b32 v2, v3, v2, s7
	v_perm_b32 v3, v5, v4, s7
	ds_write_b64 v26, v[2:3]
	s_waitcnt lgkmcnt(0)
	s_barrier
	s_and_saveexec_b64 s[8:9], s[0:1]
	s_cbranch_execz .LBB838_788
; %bb.786:
	s_load_dwordx2 s[4:5], s[4:5], 0x68
	s_lshl_b32 s0, s44, 6
	s_mul_i32 s1, s14, s6
	s_mul_hi_u32 s9, s1, s0
	s_mul_i32 s8, s1, s0
	s_lshl_b64 s[8:9], s[8:9], 1
	s_waitcnt lgkmcnt(0)
	s_add_u32 s1, s4, s8
	v_lshlrev_b32_e32 v0, 10, v0
	s_mov_b32 s7, 0
	s_addc_u32 s8, s5, s9
	s_lshl_b32 s6, s24, 6
	v_and_b32_e32 v0, 0x1800, v0
	v_lshlrev_b32_e32 v2, 5, v1
	v_and_b32_e32 v3, 16, v47
	s_lshl_b64 s[4:5], s[6:7], 1
	v_or3_b32 v0, v0, v2, v3
	s_add_u32 s1, s1, s4
	s_addc_u32 s4, s8, s5
	ds_read_b128 v[4:7], v0 offset:128
	ds_read_b128 v[8:11], v0
	v_add_u32_e32 v14, s25, v1
	v_mov_b32_e32 v3, s4
	v_add_co_u32_e32 v2, vcc, s1, v46
	v_mad_u64_u32 v[12:13], s[4:5], v14, s0, 0
	v_addc_co_u32_e32 v3, vcc, 0, v3, vcc
	v_lshlrev_b64 v[12:13], 1, v[12:13]
	v_add_co_u32_e32 v12, vcc, v2, v12
	v_addc_co_u32_e32 v13, vcc, v3, v13, vcc
	s_waitcnt lgkmcnt(0)
	global_store_dwordx4 v[12:13], v[8:11], off
	s_nop 0
	v_add_u32_e32 v8, 4, v14
	v_mad_u64_u32 v[8:9], s[4:5], v8, s0, 0
	v_lshlrev_b64 v[8:9], 1, v[8:9]
	v_add_co_u32_e32 v8, vcc, v2, v8
	v_addc_co_u32_e32 v9, vcc, v3, v9, vcc
	global_store_dwordx4 v[8:9], v[4:7], off
	s_and_b64 exec, exec, s[2:3]
	s_cbranch_execz .LBB838_788
; %bb.787:
	ds_read_b128 v[4:7], v0 offset:256
	v_add3_u32 v0, s25, v1, 8
	v_mad_u64_u32 v[0:1], s[0:1], v0, s0, 0
	v_lshlrev_b64 v[0:1], 1, v[0:1]
	v_add_co_u32_e32 v0, vcc, v2, v0
	v_addc_co_u32_e32 v1, vcc, v3, v1, vcc
	s_waitcnt lgkmcnt(0)
	global_store_dwordx4 v[0:1], v[4:7], off
.LBB838_788:
	s_endpgm
	.section	.rodata,"a",@progbits
	.p2align	6, 0x0
	.amdhsa_kernel _Z39paged_attention_ll4mi_QKV_mfma16_kernelI14__hip_bfloat16hLN4vllm18Fp8KVCacheDataTypeE1ES0_Li16ELi64ELi256ELb1ELi9EL8MFMAType0EEvPKT_PKT0_S9_ifPKiSB_SB_iPKfiiiPfSE_PS4_PT2_iSD_SD_
		.amdhsa_group_segment_fixed_size 8192
		.amdhsa_private_segment_fixed_size 0
		.amdhsa_kernarg_size 400
		.amdhsa_user_sgpr_count 6
		.amdhsa_user_sgpr_private_segment_buffer 1
		.amdhsa_user_sgpr_dispatch_ptr 0
		.amdhsa_user_sgpr_queue_ptr 0
		.amdhsa_user_sgpr_kernarg_segment_ptr 1
		.amdhsa_user_sgpr_dispatch_id 0
		.amdhsa_user_sgpr_flat_scratch_init 0
		.amdhsa_user_sgpr_kernarg_preload_length 0
		.amdhsa_user_sgpr_kernarg_preload_offset 0
		.amdhsa_user_sgpr_private_segment_size 0
		.amdhsa_uses_dynamic_stack 0
		.amdhsa_system_sgpr_private_segment_wavefront_offset 0
		.amdhsa_system_sgpr_workgroup_id_x 1
		.amdhsa_system_sgpr_workgroup_id_y 1
		.amdhsa_system_sgpr_workgroup_id_z 1
		.amdhsa_system_sgpr_workgroup_info 0
		.amdhsa_system_vgpr_workitem_id 0
		.amdhsa_next_free_vgpr 62
		.amdhsa_next_free_sgpr 47
		.amdhsa_accum_offset 64
		.amdhsa_reserve_vcc 1
		.amdhsa_reserve_flat_scratch 0
		.amdhsa_float_round_mode_32 0
		.amdhsa_float_round_mode_16_64 0
		.amdhsa_float_denorm_mode_32 3
		.amdhsa_float_denorm_mode_16_64 3
		.amdhsa_dx10_clamp 1
		.amdhsa_ieee_mode 1
		.amdhsa_fp16_overflow 0
		.amdhsa_tg_split 0
		.amdhsa_exception_fp_ieee_invalid_op 0
		.amdhsa_exception_fp_denorm_src 0
		.amdhsa_exception_fp_ieee_div_zero 0
		.amdhsa_exception_fp_ieee_overflow 0
		.amdhsa_exception_fp_ieee_underflow 0
		.amdhsa_exception_fp_ieee_inexact 0
		.amdhsa_exception_int_div_zero 0
	.end_amdhsa_kernel
	.section	.text._Z39paged_attention_ll4mi_QKV_mfma16_kernelI14__hip_bfloat16hLN4vllm18Fp8KVCacheDataTypeE1ES0_Li16ELi64ELi256ELb1ELi9EL8MFMAType0EEvPKT_PKT0_S9_ifPKiSB_SB_iPKfiiiPfSE_PS4_PT2_iSD_SD_,"axG",@progbits,_Z39paged_attention_ll4mi_QKV_mfma16_kernelI14__hip_bfloat16hLN4vllm18Fp8KVCacheDataTypeE1ES0_Li16ELi64ELi256ELb1ELi9EL8MFMAType0EEvPKT_PKT0_S9_ifPKiSB_SB_iPKfiiiPfSE_PS4_PT2_iSD_SD_,comdat
.Lfunc_end838:
	.size	_Z39paged_attention_ll4mi_QKV_mfma16_kernelI14__hip_bfloat16hLN4vllm18Fp8KVCacheDataTypeE1ES0_Li16ELi64ELi256ELb1ELi9EL8MFMAType0EEvPKT_PKT0_S9_ifPKiSB_SB_iPKfiiiPfSE_PS4_PT2_iSD_SD_, .Lfunc_end838-_Z39paged_attention_ll4mi_QKV_mfma16_kernelI14__hip_bfloat16hLN4vllm18Fp8KVCacheDataTypeE1ES0_Li16ELi64ELi256ELb1ELi9EL8MFMAType0EEvPKT_PKT0_S9_ifPKiSB_SB_iPKfiiiPfSE_PS4_PT2_iSD_SD_
                                        ; -- End function
	.section	.AMDGPU.csdata,"",@progbits
; Kernel info:
; codeLenInByte = 28664
; NumSgprs: 51
; NumVgprs: 62
; NumAgprs: 0
; TotalNumVgprs: 62
; ScratchSize: 0
; MemoryBound: 0
; FloatMode: 240
; IeeeMode: 1
; LDSByteSize: 8192 bytes/workgroup (compile time only)
; SGPRBlocks: 6
; VGPRBlocks: 7
; NumSGPRsForWavesPerEU: 51
; NumVGPRsForWavesPerEU: 62
; AccumOffset: 64
; Occupancy: 8
; WaveLimiterHint : 1
; COMPUTE_PGM_RSRC2:SCRATCH_EN: 0
; COMPUTE_PGM_RSRC2:USER_SGPR: 6
; COMPUTE_PGM_RSRC2:TRAP_HANDLER: 0
; COMPUTE_PGM_RSRC2:TGID_X_EN: 1
; COMPUTE_PGM_RSRC2:TGID_Y_EN: 1
; COMPUTE_PGM_RSRC2:TGID_Z_EN: 1
; COMPUTE_PGM_RSRC2:TIDIG_COMP_CNT: 0
; COMPUTE_PGM_RSRC3_GFX90A:ACCUM_OFFSET: 15
; COMPUTE_PGM_RSRC3_GFX90A:TG_SPLIT: 0
	.section	.text._Z39paged_attention_ll4mi_QKV_mfma16_kernelI14__hip_bfloat16hLN4vllm18Fp8KVCacheDataTypeE1ES0_Li16ELi64ELi256ELb1ELi10EL8MFMAType0EEvPKT_PKT0_S9_ifPKiSB_SB_iPKfiiiPfSE_PS4_PT2_iSD_SD_,"axG",@progbits,_Z39paged_attention_ll4mi_QKV_mfma16_kernelI14__hip_bfloat16hLN4vllm18Fp8KVCacheDataTypeE1ES0_Li16ELi64ELi256ELb1ELi10EL8MFMAType0EEvPKT_PKT0_S9_ifPKiSB_SB_iPKfiiiPfSE_PS4_PT2_iSD_SD_,comdat
	.protected	_Z39paged_attention_ll4mi_QKV_mfma16_kernelI14__hip_bfloat16hLN4vllm18Fp8KVCacheDataTypeE1ES0_Li16ELi64ELi256ELb1ELi10EL8MFMAType0EEvPKT_PKT0_S9_ifPKiSB_SB_iPKfiiiPfSE_PS4_PT2_iSD_SD_ ; -- Begin function _Z39paged_attention_ll4mi_QKV_mfma16_kernelI14__hip_bfloat16hLN4vllm18Fp8KVCacheDataTypeE1ES0_Li16ELi64ELi256ELb1ELi10EL8MFMAType0EEvPKT_PKT0_S9_ifPKiSB_SB_iPKfiiiPfSE_PS4_PT2_iSD_SD_
	.globl	_Z39paged_attention_ll4mi_QKV_mfma16_kernelI14__hip_bfloat16hLN4vllm18Fp8KVCacheDataTypeE1ES0_Li16ELi64ELi256ELb1ELi10EL8MFMAType0EEvPKT_PKT0_S9_ifPKiSB_SB_iPKfiiiPfSE_PS4_PT2_iSD_SD_
	.p2align	8
	.type	_Z39paged_attention_ll4mi_QKV_mfma16_kernelI14__hip_bfloat16hLN4vllm18Fp8KVCacheDataTypeE1ES0_Li16ELi64ELi256ELb1ELi10EL8MFMAType0EEvPKT_PKT0_S9_ifPKiSB_SB_iPKfiiiPfSE_PS4_PT2_iSD_SD_,@function
_Z39paged_attention_ll4mi_QKV_mfma16_kernelI14__hip_bfloat16hLN4vllm18Fp8KVCacheDataTypeE1ES0_Li16ELi64ELi256ELb1ELi10EL8MFMAType0EEvPKT_PKT0_S9_ifPKiSB_SB_iPKfiiiPfSE_PS4_PT2_iSD_SD_: ; @_Z39paged_attention_ll4mi_QKV_mfma16_kernelI14__hip_bfloat16hLN4vllm18Fp8KVCacheDataTypeE1ES0_Li16ELi64ELi256ELb1ELi10EL8MFMAType0EEvPKT_PKT0_S9_ifPKiSB_SB_iPKfiiiPfSE_PS4_PT2_iSD_SD_
; %bb.0:
	s_load_dwordx2 s[0:1], s[4:5], 0x30
	s_mov_b32 s24, s7
	s_mov_b64 s[10:11], 0
	s_waitcnt lgkmcnt(0)
	s_cmp_lg_u64 s[0:1], 0
	s_cselect_b64 s[2:3], -1, 0
	s_and_b64 vcc, exec, s[2:3]
	s_cbranch_vccz .LBB839_7
; %bb.1:
	s_add_i32 s12, s6, 1
	s_mov_b32 s13, 0
	s_lshl_b64 s[14:15], s[12:13], 2
	s_add_u32 s14, s0, s14
	s_mov_b32 s7, s13
	s_addc_u32 s15, s1, s15
	s_lshl_b64 s[12:13], s[6:7], 2
	s_add_u32 s12, s0, s12
	s_addc_u32 s13, s1, s13
	s_load_dword s9, s[14:15], 0x0
	s_load_dword s16, s[12:13], 0x0
	s_waitcnt lgkmcnt(0)
	s_sub_i32 s9, s9, s16
	s_cmp_eq_u32 s9, 1
	s_cselect_b64 s[12:13], -1, 0
	s_andn2_b64 vcc, exec, s[10:11]
	s_cbranch_vccnz .LBB839_3
.LBB839_2:
	s_mov_b32 s7, 0
	s_mov_b64 s[12:13], -1
.LBB839_3:
	s_andn2_b64 vcc, exec, s[12:13]
	s_cbranch_vccnz .LBB839_788
; %bb.4:
	s_load_dwordx2 s[12:13], s[4:5], 0x28
	s_lshl_b64 s[10:11], s[6:7], 2
	s_waitcnt lgkmcnt(0)
	s_add_u32 s12, s12, s10
	s_addc_u32 s13, s13, s11
	s_load_dword s33, s[12:13], 0x0
	s_lshl_b32 s18, s24, 8
	s_waitcnt lgkmcnt(0)
	s_cmp_ge_i32 s18, s33
	s_cbranch_scc1 .LBB839_788
; %bb.5:
	s_add_i32 s14, s33, 15
	s_load_dwordx2 s[12:13], s[4:5], 0x20
	s_load_dword s9, s[4:5], 0x38
	s_ashr_i32 s15, s14, 31
	v_and_b32_e32 v1, 0xcf, v0
	s_lshr_b32 s15, s15, 28
	v_add_u32_e32 v1, s18, v1
	s_add_i32 s14, s14, s15
	v_ashrrev_i32_e32 v2, 31, v1
	s_ashr_i32 s21, s14, 4
	v_lshrrev_b32_e32 v4, 28, v2
	s_add_i32 s21, s21, -1
	v_add_u32_e32 v2, v1, v4
	s_waitcnt lgkmcnt(0)
	s_mul_i32 s14, s6, s9
	s_mov_b32 s15, 0
	v_ashrrev_i32_e32 v2, 4, v2
	v_mov_b32_e32 v5, s21
	v_cmp_gt_i32_e32 vcc, s33, v1
	s_lshl_b64 s[14:15], s[14:15], 2
	v_cndmask_b32_e32 v2, v5, v2, vcc
	s_add_u32 s19, s12, s14
	v_ashrrev_i32_e32 v3, 31, v2
	s_addc_u32 s20, s13, s15
	v_lshlrev_b64 v[2:3], 2, v[2:3]
	v_mov_b32_e32 v7, s20
	v_add_co_u32_e32 v6, vcc, s19, v2
	v_or_b32_e32 v2, 16, v1
	v_addc_co_u32_e32 v7, vcc, v7, v3, vcc
	v_add_u32_e32 v3, v2, v4
	v_ashrrev_i32_e32 v3, 4, v3
	v_cmp_gt_i32_e32 vcc, s33, v2
	v_cndmask_b32_e32 v2, v5, v3, vcc
	v_ashrrev_i32_e32 v3, 31, v2
	v_lshlrev_b64 v[2:3], 2, v[2:3]
	v_mov_b32_e32 v9, s20
	v_add_co_u32_e32 v8, vcc, s19, v2
	v_or_b32_e32 v2, 32, v1
	v_addc_co_u32_e32 v9, vcc, v9, v3, vcc
	v_add_u32_e32 v3, v2, v4
	v_ashrrev_i32_e32 v3, 4, v3
	v_cmp_gt_i32_e32 vcc, s33, v2
	v_cndmask_b32_e32 v2, v5, v3, vcc
	v_ashrrev_i32_e32 v3, 31, v2
	;; [unrolled: 10-line block ×3, first 2 shown]
	v_lshlrev_b64 v[2:3], 2, v[2:3]
	v_mov_b32_e32 v1, s20
	v_add_co_u32_e32 v12, vcc, s19, v2
	v_addc_co_u32_e32 v13, vcc, v1, v3, vcc
	global_load_dword v5, v[6:7], off
	global_load_dword v4, v[8:9], off
	;; [unrolled: 1-line block ×4, first 2 shown]
	s_load_dwordx2 s[16:17], s[4:5], 0x8
	s_andn2_b64 vcc, exec, s[2:3]
	s_cbranch_vccnz .LBB839_8
; %bb.6:
	s_add_u32 s0, s0, s10
	s_addc_u32 s1, s1, s11
	s_load_dword s9, s[0:1], 0x0
	s_branch .LBB839_9
.LBB839_7:
	s_mov_b64 s[12:13], 0
	s_branch .LBB839_2
.LBB839_8:
	s_mov_b32 s9, s6
.LBB839_9:
	s_load_dwordx2 s[2:3], s[4:5], 0x10
	s_load_dwordx4 s[12:15], s[4:5], 0x48
	v_lshrrev_b32_e32 v49, 6, v0
	v_bfe_u32 v1, v0, 4, 2
	v_lshl_or_b32 v6, v49, 2, v1
	v_and_b32_e32 v48, 15, v0
	v_lshlrev_b32_e32 v7, 3, v48
	v_cmp_gt_u32_e32 vcc, 10, v6
	v_cmp_gt_u32_e64 s[0:1], 8, v48
	s_mul_i32 s25, s8, 10
	s_and_b64 s[22:23], s[0:1], vcc
	v_lshlrev_b32_e32 v46, 1, v7
	v_lshlrev_b32_e32 v47, 4, v0
	s_and_saveexec_b64 s[10:11], s[22:23]
	s_cbranch_execz .LBB839_11
; %bb.10:
	s_load_dwordx2 s[22:23], s[4:5], 0x0
	s_waitcnt lgkmcnt(0)
	s_ashr_i32 s15, s12, 31
	s_mul_hi_u32 s26, s9, s12
	s_mul_i32 s15, s9, s15
	s_add_i32 s27, s26, s15
	s_mul_i32 s26, s9, s12
	s_lshl_b64 s[26:27], s[26:27], 1
	v_add_lshl_u32 v8, v6, s25, 6
	s_add_u32 s9, s22, s26
	v_ashrrev_i32_e32 v9, 31, v8
	s_addc_u32 s12, s23, s27
	v_lshlrev_b64 v[8:9], 1, v[8:9]
	v_mov_b32_e32 v7, s12
	v_add_co_u32_e32 v8, vcc, s9, v8
	v_addc_co_u32_e32 v7, vcc, v7, v9, vcc
	v_add_co_u32_e32 v8, vcc, v8, v46
	v_addc_co_u32_e32 v9, vcc, 0, v7, vcc
	global_load_dwordx4 v[8:11], v[8:9], off
	v_lshlrev_b32_e32 v12, 8, v48
	v_lshlrev_b32_e32 v6, 5, v6
	v_and_b32_e32 v7, 16, v47
	v_and_b32_e32 v12, 0xe00, v12
	v_or3_b32 v6, v12, v6, v7
	s_waitcnt vmcnt(0)
	ds_write_b128 v6, v[8:11]
.LBB839_11:
	s_or_b64 exec, exec, s[10:11]
	s_waitcnt lgkmcnt(0)
	s_mul_i32 s10, s8, s14
	s_add_u32 s8, s16, s10
	s_addc_u32 s9, s17, 0
	v_and_b32_e32 v7, 0xf0, v47
	v_and_b32_e32 v6, 48, v0
	v_mov_b32_e32 v8, s9
	v_add_co_u32_e32 v7, vcc, s8, v7
	v_addc_co_u32_e32 v9, vcc, 0, v8, vcc
	v_lshlrev_b32_e32 v8, 4, v6
	v_add_co_u32_e32 v8, vcc, v7, v8
	v_addc_co_u32_e32 v9, vcc, 0, v9, vcc
	s_waitcnt vmcnt(3)
	v_mad_i64_i32 v[10:11], s[8:9], v5, s13, v[8:9]
	s_waitcnt vmcnt(2)
	v_mad_i64_i32 v[4:5], s[8:9], v4, s13, v[8:9]
	s_barrier
	global_load_dwordx4 v[34:37], v[10:11], off
	global_load_dwordx4 v[38:41], v[4:5], off
	s_waitcnt vmcnt(3)
	v_mad_i64_i32 v[4:5], s[8:9], v2, s13, v[8:9]
	s_waitcnt vmcnt(2)
	v_mad_i64_i32 v[2:3], s[8:9], v3, s13, v[8:9]
	global_load_dwordx4 v[30:33], v[4:5], off
	global_load_dwordx4 v[22:25], v[2:3], off
	v_add_u32_e32 v2, -10, v48
	v_cmp_gt_u32_e32 vcc, 10, v48
	v_cndmask_b32_e32 v2, v2, v48, vcc
	v_lshlrev_b32_e32 v2, 5, v2
	v_lshl_add_u32 v2, v1, 9, v2
	ds_read_b128 v[26:29], v2
	ds_read_b128 v[18:21], v2 offset:16
	v_mov_b32_e32 v43, 0
	v_mov_b32_e32 v50, 0
	s_and_saveexec_b64 s[8:9], vcc
	s_cbranch_execz .LBB839_13
; %bb.12:
	s_load_dwordx2 s[14:15], s[4:5], 0x40
	v_add_u32_e32 v2, s25, v48
	v_ashrrev_i32_e32 v3, 31, v2
	v_lshlrev_b64 v[2:3], 2, v[2:3]
	s_waitcnt lgkmcnt(0)
	v_mov_b32_e32 v4, s15
	v_add_co_u32_e32 v2, vcc, s14, v2
	v_addc_co_u32_e32 v3, vcc, v4, v3, vcc
	global_load_dword v50, v[2:3], off
.LBB839_13:
	s_or_b64 exec, exec, s[8:9]
	v_or_b32_e32 v8, s18, v6
	v_ashrrev_i32_e32 v2, 4, v8
	v_mov_b32_e32 v9, s21
	v_cmp_gt_i32_e32 vcc, s33, v8
	v_cndmask_b32_e32 v2, v9, v2, vcc
	v_ashrrev_i32_e32 v3, 31, v2
	v_lshlrev_b64 v[2:3], 2, v[2:3]
	v_mov_b32_e32 v4, s20
	v_add_co_u32_e32 v2, vcc, s19, v2
	v_addc_co_u32_e32 v3, vcc, v4, v3, vcc
	v_or_b32_e32 v4, 64, v8
	v_ashrrev_i32_e32 v5, 4, v4
	v_cmp_gt_i32_e32 vcc, s33, v4
	v_cndmask_b32_e32 v4, v9, v5, vcc
	v_ashrrev_i32_e32 v5, 31, v4
	v_lshlrev_b64 v[4:5], 2, v[4:5]
	v_mov_b32_e32 v6, s20
	v_add_co_u32_e32 v4, vcc, s19, v4
	v_addc_co_u32_e32 v5, vcc, v6, v5, vcc
	v_or_b32_e32 v6, 0x80, v8
	v_ashrrev_i32_e32 v7, 4, v6
	v_cmp_gt_i32_e32 vcc, s33, v6
	v_cndmask_b32_e32 v6, v9, v7, vcc
	v_ashrrev_i32_e32 v7, 31, v6
	v_lshlrev_b64 v[6:7], 2, v[6:7]
	v_mov_b32_e32 v10, s20
	v_add_co_u32_e32 v6, vcc, s19, v6
	v_addc_co_u32_e32 v7, vcc, v10, v7, vcc
	global_load_dword v10, v[2:3], off
	global_load_dword v11, v[4:5], off
	;; [unrolled: 1-line block ×3, first 2 shown]
	v_or_b32_e32 v2, 0xc0, v8
	v_ashrrev_i32_e32 v3, 4, v2
	v_cmp_gt_i32_e32 vcc, s33, v2
	v_cndmask_b32_e32 v2, v9, v3, vcc
	v_ashrrev_i32_e32 v3, 31, v2
	v_lshlrev_b64 v[2:3], 2, v[2:3]
	v_mov_b32_e32 v4, s20
	v_add_co_u32_e32 v2, vcc, s19, v2
	v_addc_co_u32_e32 v3, vcc, v4, v3, vcc
	global_load_dword v13, v[2:3], off
	s_add_u32 s2, s2, s10
	v_lshlrev_b32_e32 v2, 4, v48
	s_addc_u32 s3, s3, 0
	v_lshl_or_b32 v2, v49, 8, v2
	v_mov_b32_e32 v3, s3
	v_add_co_u32_e32 v2, vcc, s2, v2
	v_addc_co_u32_e32 v3, vcc, 0, v3, vcc
	s_movk_i32 s8, 0x80
	s_waitcnt vmcnt(7)
	v_cmp_ne_u16_sdwa s[10:11], v34, v43 src0_sel:BYTE_0 src1_sel:DWORD
	s_waitcnt vmcnt(3)
	v_mad_i64_i32 v[4:5], s[2:3], v10, s13, v[2:3]
	s_waitcnt vmcnt(2)
	v_mad_i64_i32 v[6:7], s[2:3], v11, s13, v[2:3]
	;; [unrolled: 2-line block ×4, first 2 shown]
	global_load_dwordx4 v[14:17], v[4:5], off
	global_load_dwordx4 v[10:13], v[6:7], off
                                        ; kill: killed $vgpr6_vgpr7
                                        ; kill: killed $vgpr4_vgpr5
	s_nop 0
	global_load_dwordx4 v[6:9], v[8:9], off
	s_nop 0
	global_load_dwordx4 v[2:5], v[2:3], off
	s_load_dwordx4 s[40:43], s[4:5], 0x80
	s_load_dwordx2 s[44:45], s[4:5], 0x94
                                        ; kill: killed $sgpr40_sgpr41
	s_waitcnt lgkmcnt(0)
	s_load_dword s12, s[40:41], 0x0
	s_and_saveexec_b64 s[2:3], s[10:11]
	s_cbranch_execz .LBB839_19
; %bb.14:
	v_cmp_ne_u16_sdwa s[10:11], v34, s8 src0_sel:BYTE_0 src1_sel:DWORD
	v_mov_b32_e32 v43, 0xffff8000
	s_and_saveexec_b64 s[8:9], s[10:11]
	s_cbranch_execz .LBB839_18
; %bb.15:
	s_movk_i32 s10, 0x7f
	v_and_b32_e32 v42, 0x7f, v34
	v_cmp_ne_u32_e32 vcc, s10, v42
	v_mov_b32_e32 v43, 0x7f80
	s_and_saveexec_b64 s[10:11], vcc
	s_cbranch_execz .LBB839_17
; %bb.16:
	v_and_b32_e32 v43, 7, v34
	v_ffbh_u32_e32 v44, v43
	v_min_u32_e32 v52, 32, v44
	v_subrev_u32_e32 v44, 28, v52
	v_lshlrev_b64 v[44:45], v44, v[34:35]
	v_lshrrev_b32_e32 v51, 3, v42
	v_sub_u32_e32 v45, 29, v52
	v_and_b32_e32 v44, 7, v44
	v_cmp_gt_u32_e32 vcc, 8, v42
	v_cndmask_b32_e32 v42, v51, v45, vcc
	v_cndmask_b32_e32 v43, v43, v44, vcc
	v_lshlrev_b32_e32 v44, 24, v34
	v_bfrev_b32_e32 v45, 60
	v_lshlrev_b32_e32 v43, 20, v43
	v_and_b32_e32 v44, 0x80000000, v44
	v_lshl_add_u32 v42, v42, 23, v45
	v_or3_b32 v42, v44, v42, v43
	v_lshrrev_b32_e32 v43, 16, v42
.LBB839_17:
	s_or_b64 exec, exec, s[10:11]
.LBB839_18:
	s_or_b64 exec, exec, s[8:9]
.LBB839_19:
	s_or_b64 exec, exec, s[2:3]
	v_lshrrev_b16_e32 v42, 8, v34
	v_cmp_ne_u16_e32 vcc, 0, v42
	v_mov_b32_e32 v45, 0
	v_mov_b32_e32 v44, 0
	s_and_saveexec_b64 s[2:3], vcc
	s_cbranch_execz .LBB839_25
; %bb.20:
	s_movk_i32 s8, 0x80
	v_cmp_ne_u16_sdwa s[10:11], v34, s8 src0_sel:BYTE_1 src1_sel:DWORD
	v_mov_b32_e32 v44, 0xffff8000
	s_and_saveexec_b64 s[8:9], s[10:11]
	s_cbranch_execz .LBB839_24
; %bb.21:
	s_movk_i32 s10, 0x7f
	v_and_b32_e32 v51, 0x7f, v42
	v_cmp_ne_u32_e32 vcc, s10, v51
	v_mov_b32_e32 v44, 0x7f80
	s_and_saveexec_b64 s[10:11], vcc
	s_cbranch_execz .LBB839_23
; %bb.22:
	v_and_b32_e32 v44, 7, v42
	v_ffbh_u32_e32 v52, v44
	v_min_u32_e32 v55, 32, v52
	v_subrev_u32_e32 v52, 28, v55
	v_lshlrev_b64 v[52:53], v52, v[42:43]
	v_lshrrev_b32_e32 v54, 3, v51
	v_sub_u32_e32 v42, 29, v55
	v_and_b32_e32 v52, 7, v52
	v_cmp_gt_u32_e32 vcc, 8, v51
	v_cndmask_b32_e32 v42, v54, v42, vcc
	v_cndmask_b32_e32 v44, v44, v52, vcc
	v_lshlrev_b32_e32 v51, 16, v34
	v_bfrev_b32_e32 v52, 60
	v_lshlrev_b32_e32 v44, 20, v44
	v_and_b32_e32 v51, 0x80000000, v51
	v_lshl_add_u32 v42, v42, 23, v52
	v_or3_b32 v42, v51, v42, v44
	v_lshrrev_b32_e32 v44, 16, v42
.LBB839_23:
	s_or_b64 exec, exec, s[10:11]
.LBB839_24:
	s_or_b64 exec, exec, s[8:9]
.LBB839_25:
	s_or_b64 exec, exec, s[2:3]
	s_movk_i32 s2, 0xff
	v_and_b32_sdwa v51, v34, s2 dst_sel:DWORD dst_unused:UNUSED_PAD src0_sel:WORD_1 src1_sel:DWORD
	v_lshrrev_b32_e32 v42, 16, v34
	v_cmp_ne_u16_e32 vcc, 0, v51
	s_and_saveexec_b64 s[2:3], vcc
	s_cbranch_execz .LBB839_31
; %bb.26:
	s_movk_i32 s8, 0x80
	v_cmp_ne_u16_e32 vcc, s8, v51
	v_mov_b32_e32 v45, 0xffff8000
	s_and_saveexec_b64 s[8:9], vcc
	s_cbranch_execz .LBB839_30
; %bb.27:
	v_bfe_u32 v51, v34, 16, 7
	s_movk_i32 s10, 0x7f
	v_cmp_ne_u32_e32 vcc, s10, v51
	v_mov_b32_e32 v45, 0x7f80
	s_and_saveexec_b64 s[10:11], vcc
	s_cbranch_execz .LBB839_29
; %bb.28:
	v_and_b32_e32 v45, 7, v42
	v_ffbh_u32_e32 v52, v45
	v_min_u32_e32 v55, 32, v52
	v_subrev_u32_e32 v52, 28, v55
	v_lshlrev_b64 v[52:53], v52, v[42:43]
	v_lshrrev_b32_e32 v54, 3, v51
	v_sub_u32_e32 v42, 29, v55
	v_and_b32_e32 v52, 7, v52
	v_cmp_gt_u32_e32 vcc, 8, v51
	v_mov_b32_e32 v51, 24
	v_cndmask_b32_e32 v42, v54, v42, vcc
	v_cndmask_b32_e32 v45, v45, v52, vcc
	v_lshlrev_b32_sdwa v51, v51, v34 dst_sel:DWORD dst_unused:UNUSED_PAD src0_sel:DWORD src1_sel:WORD_1
	v_bfrev_b32_e32 v52, 60
	v_lshlrev_b32_e32 v45, 20, v45
	v_and_b32_e32 v51, 0x80000000, v51
	v_lshl_add_u32 v42, v42, 23, v52
	v_or3_b32 v42, v51, v42, v45
	v_lshrrev_b32_e32 v45, 16, v42
.LBB839_29:
	s_or_b64 exec, exec, s[10:11]
.LBB839_30:
	s_or_b64 exec, exec, s[8:9]
.LBB839_31:
	s_or_b64 exec, exec, s[2:3]
	s_mov_b32 s2, 0xffffff
	v_cmp_lt_u32_e32 vcc, s2, v34
	v_mov_b32_e32 v52, 0
	v_mov_b32_e32 v53, 0
	s_and_saveexec_b64 s[2:3], vcc
	s_cbranch_execz .LBB839_37
; %bb.32:
	v_lshrrev_b32_e32 v42, 24, v34
	s_movk_i32 s8, 0x80
	v_cmp_ne_u32_e32 vcc, s8, v42
	v_mov_b32_e32 v53, 0xffff8000
	s_and_saveexec_b64 s[8:9], vcc
	s_cbranch_execz .LBB839_36
; %bb.33:
	v_bfe_u32 v34, v34, 24, 7
	s_movk_i32 s10, 0x7f
	v_cmp_ne_u32_e32 vcc, s10, v34
	v_mov_b32_e32 v53, 0x7f80
	s_and_saveexec_b64 s[10:11], vcc
	s_cbranch_execz .LBB839_35
; %bb.34:
	v_and_b32_e32 v51, 7, v42
	v_ffbh_u32_e32 v54, v51
	v_min_u32_e32 v56, 32, v54
	v_subrev_u32_e32 v54, 28, v56
	v_lshlrev_b64 v[54:55], v54, v[42:43]
	v_lshrrev_b32_e32 v53, 3, v34
	v_sub_u32_e32 v55, 29, v56
	v_and_b32_e32 v54, 7, v54
	v_cmp_gt_u32_e32 vcc, 8, v34
	v_cndmask_b32_e32 v34, v53, v55, vcc
	v_cndmask_b32_e32 v51, v51, v54, vcc
	v_lshlrev_b32_e32 v42, 24, v42
	v_bfrev_b32_e32 v53, 60
	v_lshlrev_b32_e32 v51, 20, v51
	v_and_b32_e32 v42, 0x80000000, v42
	v_lshl_add_u32 v34, v34, 23, v53
	v_or3_b32 v34, v42, v34, v51
	v_lshrrev_b32_e32 v53, 16, v34
.LBB839_35:
	s_or_b64 exec, exec, s[10:11]
.LBB839_36:
	s_or_b64 exec, exec, s[8:9]
.LBB839_37:
	s_or_b64 exec, exec, s[2:3]
	v_cmp_ne_u16_sdwa s[8:9], v35, v52 src0_sel:BYTE_0 src1_sel:DWORD
	s_and_saveexec_b64 s[2:3], s[8:9]
	s_cbranch_execz .LBB839_43
; %bb.38:
	s_movk_i32 s8, 0x80
	v_cmp_ne_u16_sdwa s[10:11], v35, s8 src0_sel:BYTE_0 src1_sel:DWORD
	v_mov_b32_e32 v52, 0xffff8000
	s_and_saveexec_b64 s[8:9], s[10:11]
	s_cbranch_execz .LBB839_42
; %bb.39:
	s_movk_i32 s10, 0x7f
	v_and_b32_e32 v34, 0x7f, v35
	v_cmp_ne_u32_e32 vcc, s10, v34
	v_mov_b32_e32 v52, 0x7f80
	s_and_saveexec_b64 s[10:11], vcc
	s_cbranch_execz .LBB839_41
; %bb.40:
	v_and_b32_e32 v51, 7, v35
	v_ffbh_u32_e32 v54, v51
	v_min_u32_e32 v56, 32, v54
	v_mov_b32_e32 v42, v35
	v_subrev_u32_e32 v54, 28, v56
	v_lshlrev_b64 v[54:55], v54, v[42:43]
	v_lshrrev_b32_e32 v52, 3, v34
	v_sub_u32_e32 v42, 29, v56
	v_and_b32_e32 v54, 7, v54
	v_cmp_gt_u32_e32 vcc, 8, v34
	v_cndmask_b32_e32 v34, v52, v42, vcc
	v_cndmask_b32_e32 v42, v51, v54, vcc
	v_lshlrev_b32_e32 v51, 24, v35
	v_bfrev_b32_e32 v52, 60
	v_lshlrev_b32_e32 v42, 20, v42
	v_and_b32_e32 v51, 0x80000000, v51
	v_lshl_add_u32 v34, v34, 23, v52
	v_or3_b32 v34, v51, v34, v42
	v_lshrrev_b32_e32 v52, 16, v34
.LBB839_41:
	s_or_b64 exec, exec, s[10:11]
.LBB839_42:
	s_or_b64 exec, exec, s[8:9]
.LBB839_43:
	s_or_b64 exec, exec, s[2:3]
	v_lshrrev_b16_e32 v34, 8, v35
	v_cmp_ne_u16_e32 vcc, 0, v34
	v_mov_b32_e32 v54, 0
	v_mov_b32_e32 v42, 0
	s_and_saveexec_b64 s[2:3], vcc
	s_cbranch_execz .LBB839_49
; %bb.44:
	s_movk_i32 s8, 0x80
	v_cmp_ne_u16_e32 vcc, s8, v34
	v_mov_b32_e32 v42, 0xffff8000
	s_and_saveexec_b64 s[8:9], vcc
	s_cbranch_execz .LBB839_48
; %bb.45:
	s_movk_i32 s10, 0x7f
	v_and_b32_e32 v51, 0x7f, v34
	v_cmp_ne_u32_e32 vcc, s10, v51
	v_mov_b32_e32 v42, 0x7f80
	s_and_saveexec_b64 s[10:11], vcc
	s_cbranch_execz .LBB839_47
; %bb.46:
	v_and_b32_e32 v42, 7, v34
	v_ffbh_u32_e32 v56, v42
	v_min_u32_e32 v58, 32, v56
	v_subrev_u32_e32 v56, 28, v58
	v_lshlrev_b64 v[56:57], v56, v[34:35]
	v_lshrrev_b32_e32 v55, 3, v51
	v_sub_u32_e32 v34, 29, v58
	v_and_b32_e32 v56, 7, v56
	v_cmp_gt_u32_e32 vcc, 8, v51
	v_cndmask_b32_e32 v34, v55, v34, vcc
	v_cndmask_b32_e32 v42, v42, v56, vcc
	v_lshlrev_b32_e32 v51, 16, v35
	v_bfrev_b32_e32 v55, 60
	v_lshlrev_b32_e32 v42, 20, v42
	v_and_b32_e32 v51, 0x80000000, v51
	v_lshl_add_u32 v34, v34, 23, v55
	v_or3_b32 v34, v51, v34, v42
	v_lshrrev_b32_e32 v42, 16, v34
.LBB839_47:
	s_or_b64 exec, exec, s[10:11]
.LBB839_48:
	s_or_b64 exec, exec, s[8:9]
.LBB839_49:
	s_or_b64 exec, exec, s[2:3]
	s_movk_i32 s2, 0xff
	v_and_b32_sdwa v51, v35, s2 dst_sel:DWORD dst_unused:UNUSED_PAD src0_sel:WORD_1 src1_sel:DWORD
	v_lshrrev_b32_e32 v34, 16, v35
	v_cmp_ne_u16_e32 vcc, 0, v51
	s_and_saveexec_b64 s[2:3], vcc
	s_cbranch_execz .LBB839_55
; %bb.50:
	s_movk_i32 s8, 0x80
	v_cmp_ne_u16_e32 vcc, s8, v51
	v_mov_b32_e32 v54, 0xffff8000
	s_and_saveexec_b64 s[8:9], vcc
	s_cbranch_execz .LBB839_54
; %bb.51:
	v_bfe_u32 v51, v35, 16, 7
	s_movk_i32 s10, 0x7f
	v_cmp_ne_u32_e32 vcc, s10, v51
	v_mov_b32_e32 v54, 0x7f80
	s_and_saveexec_b64 s[10:11], vcc
	s_cbranch_execz .LBB839_53
; %bb.52:
	v_and_b32_e32 v56, 7, v34
	v_ffbh_u32_e32 v54, v56
	v_min_u32_e32 v58, 32, v54
	v_subrev_u32_e32 v54, 28, v58
	v_lshlrev_b64 v[54:55], v54, v[34:35]
	v_and_b32_e32 v54, 7, v54
	v_cmp_gt_u32_e32 vcc, 8, v51
	v_lshrrev_b32_e32 v57, 3, v51
	v_sub_u32_e32 v34, 29, v58
	v_cndmask_b32_e32 v51, v56, v54, vcc
	v_mov_b32_e32 v54, 24
	v_cndmask_b32_e32 v34, v57, v34, vcc
	v_lshlrev_b32_sdwa v54, v54, v35 dst_sel:DWORD dst_unused:UNUSED_PAD src0_sel:DWORD src1_sel:WORD_1
	v_bfrev_b32_e32 v55, 60
	v_lshlrev_b32_e32 v51, 20, v51
	v_and_b32_e32 v54, 0x80000000, v54
	v_lshl_add_u32 v34, v34, 23, v55
	v_or3_b32 v34, v54, v34, v51
	v_lshrrev_b32_e32 v54, 16, v34
.LBB839_53:
	s_or_b64 exec, exec, s[10:11]
.LBB839_54:
	s_or_b64 exec, exec, s[8:9]
.LBB839_55:
	s_or_b64 exec, exec, s[2:3]
	s_mov_b32 s2, 0xffffff
	v_cmp_lt_u32_e32 vcc, s2, v35
	v_mov_b32_e32 v51, 0
	v_mov_b32_e32 v55, 0
	s_and_saveexec_b64 s[2:3], vcc
	s_cbranch_execz .LBB839_61
; %bb.56:
	v_lshrrev_b32_e32 v34, 24, v35
	s_movk_i32 s8, 0x80
	v_cmp_ne_u32_e32 vcc, s8, v34
	v_mov_b32_e32 v55, 0xffff8000
	s_and_saveexec_b64 s[8:9], vcc
	s_cbranch_execz .LBB839_60
; %bb.57:
	v_bfe_u32 v35, v35, 24, 7
	s_movk_i32 s10, 0x7f
	v_cmp_ne_u32_e32 vcc, s10, v35
	v_mov_b32_e32 v55, 0x7f80
	s_and_saveexec_b64 s[10:11], vcc
	s_cbranch_execz .LBB839_59
; %bb.58:
	v_and_b32_e32 v55, 7, v34
	v_ffbh_u32_e32 v56, v55
	v_min_u32_e32 v59, 32, v56
	v_subrev_u32_e32 v56, 28, v59
	v_lshlrev_b64 v[56:57], v56, v[34:35]
	v_lshrrev_b32_e32 v58, 3, v35
	v_sub_u32_e32 v57, 29, v59
	v_and_b32_e32 v56, 7, v56
	v_cmp_gt_u32_e32 vcc, 8, v35
	v_cndmask_b32_e32 v35, v58, v57, vcc
	v_cndmask_b32_e32 v55, v55, v56, vcc
	v_lshlrev_b32_e32 v34, 24, v34
	v_bfrev_b32_e32 v56, 60
	v_lshlrev_b32_e32 v55, 20, v55
	v_and_b32_e32 v34, 0x80000000, v34
	v_lshl_add_u32 v35, v35, 23, v56
	v_or3_b32 v34, v34, v35, v55
	v_lshrrev_b32_e32 v55, 16, v34
.LBB839_59:
	s_or_b64 exec, exec, s[10:11]
.LBB839_60:
	s_or_b64 exec, exec, s[8:9]
.LBB839_61:
	s_or_b64 exec, exec, s[2:3]
	s_mov_b32 s2, 0x5040100
	v_perm_b32 v35, v53, v45, s2
	v_perm_b32 v34, v44, v43, s2
	v_cmp_ne_u16_sdwa s[8:9], v36, v51 src0_sel:BYTE_0 src1_sel:DWORD
	s_nop 0
	v_mfma_f32_16x16x16bf16_1k v[56:59], v[34:35], v[26:27], 0
	v_perm_b32 v35, v55, v54, s2
	v_perm_b32 v34, v42, v52, s2
	s_nop 1
	v_mfma_f32_16x16x16bf16_1k v[42:45], v[34:35], v[28:29], v[56:59]
	s_and_saveexec_b64 s[2:3], s[8:9]
	s_cbranch_execz .LBB839_67
; %bb.62:
	s_movk_i32 s8, 0x80
	v_cmp_ne_u16_sdwa s[10:11], v36, s8 src0_sel:BYTE_0 src1_sel:DWORD
	v_mov_b32_e32 v51, 0xffff8000
	s_and_saveexec_b64 s[8:9], s[10:11]
	s_cbranch_execz .LBB839_66
; %bb.63:
	s_movk_i32 s10, 0x7f
	v_and_b32_e32 v34, 0x7f, v36
	v_cmp_ne_u32_e32 vcc, s10, v34
	v_mov_b32_e32 v51, 0x7f80
	s_and_saveexec_b64 s[10:11], vcc
	s_cbranch_execz .LBB839_65
; %bb.64:
	v_and_b32_e32 v35, 7, v36
	v_ffbh_u32_e32 v52, v35
	v_min_u32_e32 v54, 32, v52
	v_subrev_u32_e32 v52, 28, v54
	v_lshlrev_b64 v[52:53], v52, v[36:37]
	v_lshrrev_b32_e32 v51, 3, v34
	v_sub_u32_e32 v53, 29, v54
	v_and_b32_e32 v52, 7, v52
	v_cmp_gt_u32_e32 vcc, 8, v34
	v_cndmask_b32_e32 v34, v51, v53, vcc
	v_cndmask_b32_e32 v35, v35, v52, vcc
	v_lshlrev_b32_e32 v51, 24, v36
	v_bfrev_b32_e32 v52, 60
	v_lshlrev_b32_e32 v35, 20, v35
	v_and_b32_e32 v51, 0x80000000, v51
	v_lshl_add_u32 v34, v34, 23, v52
	v_or3_b32 v34, v51, v34, v35
	v_lshrrev_b32_e32 v51, 16, v34
.LBB839_65:
	s_or_b64 exec, exec, s[10:11]
.LBB839_66:
	s_or_b64 exec, exec, s[8:9]
.LBB839_67:
	s_or_b64 exec, exec, s[2:3]
	v_lshrrev_b16_e32 v34, 8, v36
	v_cmp_ne_u16_e32 vcc, 0, v34
	v_mov_b32_e32 v53, 0
	v_mov_b32_e32 v35, 0
	s_and_saveexec_b64 s[2:3], vcc
	s_cbranch_execz .LBB839_73
; %bb.68:
	s_movk_i32 s8, 0x80
	v_cmp_ne_u16_e32 vcc, s8, v34
	v_mov_b32_e32 v35, 0xffff8000
	s_and_saveexec_b64 s[8:9], vcc
	s_cbranch_execz .LBB839_72
; %bb.69:
	s_movk_i32 s10, 0x7f
	v_and_b32_e32 v52, 0x7f, v34
	v_cmp_ne_u32_e32 vcc, s10, v52
	v_mov_b32_e32 v35, 0x7f80
	s_and_saveexec_b64 s[10:11], vcc
	s_cbranch_execz .LBB839_71
; %bb.70:
	v_and_b32_e32 v54, 7, v34
	v_ffbh_u32_e32 v35, v54
	v_min_u32_e32 v56, 32, v35
	v_subrev_u32_e32 v35, 28, v56
	v_lshlrev_b64 v[34:35], v35, v[34:35]
	v_lshrrev_b32_e32 v55, 3, v52
	v_sub_u32_e32 v35, 29, v56
	v_and_b32_e32 v34, 7, v34
	v_cmp_gt_u32_e32 vcc, 8, v52
	v_cndmask_b32_e32 v35, v55, v35, vcc
	v_cndmask_b32_e32 v34, v54, v34, vcc
	v_lshlrev_b32_e32 v52, 16, v36
	v_bfrev_b32_e32 v54, 60
	v_lshlrev_b32_e32 v34, 20, v34
	v_and_b32_e32 v52, 0x80000000, v52
	v_lshl_add_u32 v35, v35, 23, v54
	v_or3_b32 v34, v52, v35, v34
	v_lshrrev_b32_e32 v35, 16, v34
.LBB839_71:
	s_or_b64 exec, exec, s[10:11]
.LBB839_72:
	s_or_b64 exec, exec, s[8:9]
.LBB839_73:
	s_or_b64 exec, exec, s[2:3]
	s_movk_i32 s2, 0xff
	v_and_b32_sdwa v52, v36, s2 dst_sel:DWORD dst_unused:UNUSED_PAD src0_sel:WORD_1 src1_sel:DWORD
	v_lshrrev_b32_e32 v34, 16, v36
	v_cmp_ne_u16_e32 vcc, 0, v52
	s_and_saveexec_b64 s[2:3], vcc
	s_cbranch_execz .LBB839_79
; %bb.74:
	s_movk_i32 s8, 0x80
	v_cmp_ne_u16_e32 vcc, s8, v52
	v_mov_b32_e32 v53, 0xffff8000
	s_and_saveexec_b64 s[8:9], vcc
	s_cbranch_execz .LBB839_78
; %bb.75:
	v_bfe_u32 v52, v36, 16, 7
	s_movk_i32 s10, 0x7f
	v_cmp_ne_u32_e32 vcc, s10, v52
	v_mov_b32_e32 v53, 0x7f80
	s_and_saveexec_b64 s[10:11], vcc
	s_cbranch_execz .LBB839_77
; %bb.76:
	v_and_b32_e32 v53, 7, v34
	v_ffbh_u32_e32 v54, v53
	v_min_u32_e32 v57, 32, v54
	v_subrev_u32_e32 v54, 28, v57
	v_lshlrev_b64 v[54:55], v54, v[34:35]
	v_and_b32_e32 v54, 7, v54
	v_cmp_gt_u32_e32 vcc, 8, v52
	v_lshrrev_b32_e32 v56, 3, v52
	v_sub_u32_e32 v34, 29, v57
	v_cndmask_b32_e32 v52, v53, v54, vcc
	v_mov_b32_e32 v53, 24
	v_cndmask_b32_e32 v34, v56, v34, vcc
	v_lshlrev_b32_sdwa v53, v53, v36 dst_sel:DWORD dst_unused:UNUSED_PAD src0_sel:DWORD src1_sel:WORD_1
	v_bfrev_b32_e32 v54, 60
	v_lshlrev_b32_e32 v52, 20, v52
	v_and_b32_e32 v53, 0x80000000, v53
	v_lshl_add_u32 v34, v34, 23, v54
	v_or3_b32 v34, v53, v34, v52
	v_lshrrev_b32_e32 v53, 16, v34
.LBB839_77:
	s_or_b64 exec, exec, s[10:11]
.LBB839_78:
	s_or_b64 exec, exec, s[8:9]
.LBB839_79:
	s_or_b64 exec, exec, s[2:3]
	s_mov_b32 s2, 0xffffff
	v_cmp_lt_u32_e32 vcc, s2, v36
	v_mov_b32_e32 v54, 0
	v_mov_b32_e32 v55, 0
	s_and_saveexec_b64 s[2:3], vcc
	s_cbranch_execz .LBB839_85
; %bb.80:
	v_lshrrev_b32_e32 v34, 24, v36
	s_movk_i32 s8, 0x80
	v_cmp_ne_u32_e32 vcc, s8, v34
	v_mov_b32_e32 v55, 0xffff8000
	s_and_saveexec_b64 s[8:9], vcc
	s_cbranch_execz .LBB839_84
; %bb.81:
	v_bfe_u32 v36, v36, 24, 7
	s_movk_i32 s10, 0x7f
	v_cmp_ne_u32_e32 vcc, s10, v36
	v_mov_b32_e32 v55, 0x7f80
	s_and_saveexec_b64 s[10:11], vcc
	s_cbranch_execz .LBB839_83
; %bb.82:
	v_and_b32_e32 v52, 7, v34
	v_ffbh_u32_e32 v56, v52
	v_min_u32_e32 v58, 32, v56
	v_subrev_u32_e32 v56, 28, v58
	v_lshlrev_b64 v[56:57], v56, v[34:35]
	v_lshrrev_b32_e32 v55, 3, v36
	v_sub_u32_e32 v57, 29, v58
	v_and_b32_e32 v56, 7, v56
	v_cmp_gt_u32_e32 vcc, 8, v36
	v_cndmask_b32_e32 v36, v55, v57, vcc
	v_cndmask_b32_e32 v52, v52, v56, vcc
	v_lshlrev_b32_e32 v34, 24, v34
	v_bfrev_b32_e32 v55, 60
	v_lshlrev_b32_e32 v52, 20, v52
	v_and_b32_e32 v34, 0x80000000, v34
	v_lshl_add_u32 v36, v36, 23, v55
	v_or3_b32 v34, v34, v36, v52
	v_lshrrev_b32_e32 v55, 16, v34
.LBB839_83:
	s_or_b64 exec, exec, s[10:11]
.LBB839_84:
	s_or_b64 exec, exec, s[8:9]
.LBB839_85:
	s_or_b64 exec, exec, s[2:3]
	v_cmp_ne_u16_sdwa s[8:9], v37, v54 src0_sel:BYTE_0 src1_sel:DWORD
	s_and_saveexec_b64 s[2:3], s[8:9]
	s_cbranch_execz .LBB839_91
; %bb.86:
	s_movk_i32 s8, 0x80
	v_cmp_ne_u16_sdwa s[10:11], v37, s8 src0_sel:BYTE_0 src1_sel:DWORD
	v_mov_b32_e32 v54, 0xffff8000
	s_and_saveexec_b64 s[8:9], s[10:11]
	s_cbranch_execz .LBB839_90
; %bb.87:
	s_movk_i32 s10, 0x7f
	v_and_b32_e32 v34, 0x7f, v37
	v_cmp_ne_u32_e32 vcc, s10, v34
	v_mov_b32_e32 v54, 0x7f80
	s_and_saveexec_b64 s[10:11], vcc
	s_cbranch_execz .LBB839_89
; %bb.88:
	v_and_b32_e32 v52, 7, v37
	v_ffbh_u32_e32 v56, v52
	v_min_u32_e32 v58, 32, v56
	v_mov_b32_e32 v36, v37
	v_subrev_u32_e32 v56, 28, v58
	v_lshlrev_b64 v[56:57], v56, v[36:37]
	v_lshrrev_b32_e32 v54, 3, v34
	v_sub_u32_e32 v36, 29, v58
	v_and_b32_e32 v56, 7, v56
	v_cmp_gt_u32_e32 vcc, 8, v34
	v_cndmask_b32_e32 v34, v54, v36, vcc
	v_cndmask_b32_e32 v36, v52, v56, vcc
	v_lshlrev_b32_e32 v52, 24, v37
	v_bfrev_b32_e32 v54, 60
	v_lshlrev_b32_e32 v36, 20, v36
	v_and_b32_e32 v52, 0x80000000, v52
	v_lshl_add_u32 v34, v34, 23, v54
	v_or3_b32 v34, v52, v34, v36
	v_lshrrev_b32_e32 v54, 16, v34
.LBB839_89:
	s_or_b64 exec, exec, s[10:11]
.LBB839_90:
	s_or_b64 exec, exec, s[8:9]
.LBB839_91:
	s_or_b64 exec, exec, s[2:3]
	v_lshrrev_b16_e32 v34, 8, v37
	v_cmp_ne_u16_e32 vcc, 0, v34
	v_mov_b32_e32 v56, 0
	v_mov_b32_e32 v36, 0
	s_and_saveexec_b64 s[2:3], vcc
	s_cbranch_execz .LBB839_97
; %bb.92:
	s_movk_i32 s8, 0x80
	v_cmp_ne_u16_e32 vcc, s8, v34
	v_mov_b32_e32 v36, 0xffff8000
	s_and_saveexec_b64 s[8:9], vcc
	s_cbranch_execz .LBB839_96
; %bb.93:
	s_movk_i32 s10, 0x7f
	v_and_b32_e32 v52, 0x7f, v34
	v_cmp_ne_u32_e32 vcc, s10, v52
	v_mov_b32_e32 v36, 0x7f80
	s_and_saveexec_b64 s[10:11], vcc
	s_cbranch_execz .LBB839_95
; %bb.94:
	v_and_b32_e32 v36, 7, v34
	v_ffbh_u32_e32 v58, v36
	v_min_u32_e32 v60, 32, v58
	v_subrev_u32_e32 v58, 28, v60
	v_lshlrev_b64 v[58:59], v58, v[34:35]
	v_lshrrev_b32_e32 v57, 3, v52
	v_sub_u32_e32 v34, 29, v60
	v_and_b32_e32 v58, 7, v58
	v_cmp_gt_u32_e32 vcc, 8, v52
	v_cndmask_b32_e32 v34, v57, v34, vcc
	v_cndmask_b32_e32 v36, v36, v58, vcc
	v_lshlrev_b32_e32 v52, 16, v37
	v_bfrev_b32_e32 v57, 60
	v_lshlrev_b32_e32 v36, 20, v36
	v_and_b32_e32 v52, 0x80000000, v52
	v_lshl_add_u32 v34, v34, 23, v57
	v_or3_b32 v34, v52, v34, v36
	v_lshrrev_b32_e32 v36, 16, v34
.LBB839_95:
	s_or_b64 exec, exec, s[10:11]
.LBB839_96:
	s_or_b64 exec, exec, s[8:9]
.LBB839_97:
	s_or_b64 exec, exec, s[2:3]
	s_movk_i32 s2, 0xff
	v_and_b32_sdwa v52, v37, s2 dst_sel:DWORD dst_unused:UNUSED_PAD src0_sel:WORD_1 src1_sel:DWORD
	v_lshrrev_b32_e32 v34, 16, v37
	v_cmp_ne_u16_e32 vcc, 0, v52
	s_and_saveexec_b64 s[2:3], vcc
	s_cbranch_execz .LBB839_103
; %bb.98:
	s_movk_i32 s8, 0x80
	v_cmp_ne_u16_e32 vcc, s8, v52
	v_mov_b32_e32 v56, 0xffff8000
	s_and_saveexec_b64 s[8:9], vcc
	s_cbranch_execz .LBB839_102
; %bb.99:
	v_bfe_u32 v52, v37, 16, 7
	s_movk_i32 s10, 0x7f
	v_cmp_ne_u32_e32 vcc, s10, v52
	v_mov_b32_e32 v56, 0x7f80
	s_and_saveexec_b64 s[10:11], vcc
	s_cbranch_execz .LBB839_101
; %bb.100:
	v_and_b32_e32 v58, 7, v34
	v_ffbh_u32_e32 v56, v58
	v_min_u32_e32 v60, 32, v56
	v_subrev_u32_e32 v56, 28, v60
	v_lshlrev_b64 v[56:57], v56, v[34:35]
	v_and_b32_e32 v56, 7, v56
	v_cmp_gt_u32_e32 vcc, 8, v52
	v_lshrrev_b32_e32 v59, 3, v52
	v_sub_u32_e32 v34, 29, v60
	v_cndmask_b32_e32 v52, v58, v56, vcc
	v_mov_b32_e32 v56, 24
	v_cndmask_b32_e32 v34, v59, v34, vcc
	v_lshlrev_b32_sdwa v56, v56, v37 dst_sel:DWORD dst_unused:UNUSED_PAD src0_sel:DWORD src1_sel:WORD_1
	v_bfrev_b32_e32 v57, 60
	v_lshlrev_b32_e32 v52, 20, v52
	v_and_b32_e32 v56, 0x80000000, v56
	v_lshl_add_u32 v34, v34, 23, v57
	v_or3_b32 v34, v56, v34, v52
	v_lshrrev_b32_e32 v56, 16, v34
.LBB839_101:
	s_or_b64 exec, exec, s[10:11]
.LBB839_102:
	s_or_b64 exec, exec, s[8:9]
.LBB839_103:
	s_or_b64 exec, exec, s[2:3]
	s_mov_b32 s2, 0xffffff
	v_cmp_lt_u32_e32 vcc, s2, v37
	v_mov_b32_e32 v52, 0
	v_mov_b32_e32 v57, 0
	s_and_saveexec_b64 s[2:3], vcc
	s_cbranch_execz .LBB839_109
; %bb.104:
	v_lshrrev_b32_e32 v34, 24, v37
	s_movk_i32 s8, 0x80
	v_cmp_ne_u32_e32 vcc, s8, v34
	v_mov_b32_e32 v57, 0xffff8000
	s_and_saveexec_b64 s[8:9], vcc
	s_cbranch_execz .LBB839_108
; %bb.105:
	v_bfe_u32 v37, v37, 24, 7
	s_movk_i32 s10, 0x7f
	v_cmp_ne_u32_e32 vcc, s10, v37
	v_mov_b32_e32 v57, 0x7f80
	s_and_saveexec_b64 s[10:11], vcc
	s_cbranch_execz .LBB839_107
; %bb.106:
	v_and_b32_e32 v57, 7, v34
	v_ffbh_u32_e32 v58, v57
	v_min_u32_e32 v61, 32, v58
	v_subrev_u32_e32 v58, 28, v61
	v_lshlrev_b64 v[58:59], v58, v[34:35]
	v_lshrrev_b32_e32 v60, 3, v37
	v_sub_u32_e32 v59, 29, v61
	v_and_b32_e32 v58, 7, v58
	v_cmp_gt_u32_e32 vcc, 8, v37
	v_cndmask_b32_e32 v37, v60, v59, vcc
	v_cndmask_b32_e32 v57, v57, v58, vcc
	v_lshlrev_b32_e32 v34, 24, v34
	v_bfrev_b32_e32 v58, 60
	v_lshlrev_b32_e32 v57, 20, v57
	v_and_b32_e32 v34, 0x80000000, v34
	v_lshl_add_u32 v37, v37, 23, v58
	v_or3_b32 v34, v34, v37, v57
	v_lshrrev_b32_e32 v57, 16, v34
.LBB839_107:
	s_or_b64 exec, exec, s[10:11]
.LBB839_108:
	s_or_b64 exec, exec, s[8:9]
.LBB839_109:
	s_or_b64 exec, exec, s[2:3]
	s_mov_b32 s2, 0x5040100
	v_perm_b32 v59, v55, v53, s2
	v_perm_b32 v58, v35, v51, s2
	;; [unrolled: 1-line block ×4, first 2 shown]
	v_cmp_ne_u16_sdwa s[8:9], v38, v52 src0_sel:BYTE_0 src1_sel:DWORD
	v_mfma_f32_16x16x16bf16_1k v[42:45], v[58:59], v[18:19], v[42:45]
	v_mfma_f32_16x16x16bf16_1k v[34:37], v[34:35], v[20:21], v[42:45]
	s_and_saveexec_b64 s[2:3], s[8:9]
	s_cbranch_execz .LBB839_115
; %bb.110:
	s_movk_i32 s8, 0x80
	v_cmp_ne_u16_sdwa s[10:11], v38, s8 src0_sel:BYTE_0 src1_sel:DWORD
	v_mov_b32_e32 v52, 0xffff8000
	s_and_saveexec_b64 s[8:9], s[10:11]
	s_cbranch_execz .LBB839_114
; %bb.111:
	s_movk_i32 s10, 0x7f
	s_nop 1
	v_and_b32_e32 v42, 0x7f, v38
	v_cmp_ne_u32_e32 vcc, s10, v42
	v_mov_b32_e32 v52, 0x7f80
	s_and_saveexec_b64 s[10:11], vcc
	s_cbranch_execz .LBB839_113
; %bb.112:
	v_and_b32_e32 v43, 7, v38
	v_ffbh_u32_e32 v44, v43
	v_min_u32_e32 v52, 32, v44
	v_subrev_u32_e32 v44, 28, v52
	v_lshlrev_b64 v[44:45], v44, v[38:39]
	v_lshrrev_b32_e32 v51, 3, v42
	v_sub_u32_e32 v45, 29, v52
	v_and_b32_e32 v44, 7, v44
	v_cmp_gt_u32_e32 vcc, 8, v42
	v_cndmask_b32_e32 v42, v51, v45, vcc
	v_cndmask_b32_e32 v43, v43, v44, vcc
	v_lshlrev_b32_e32 v44, 24, v38
	v_bfrev_b32_e32 v45, 60
	v_lshlrev_b32_e32 v43, 20, v43
	v_and_b32_e32 v44, 0x80000000, v44
	v_lshl_add_u32 v42, v42, 23, v45
	v_or3_b32 v42, v44, v42, v43
	v_lshrrev_b32_e32 v52, 16, v42
.LBB839_113:
	s_or_b64 exec, exec, s[10:11]
.LBB839_114:
	s_or_b64 exec, exec, s[8:9]
.LBB839_115:
	s_or_b64 exec, exec, s[2:3]
	s_nop 6
	v_lshrrev_b16_e32 v42, 8, v38
	v_cmp_ne_u16_e32 vcc, 0, v42
	v_mov_b32_e32 v44, 0
	v_mov_b32_e32 v43, 0
	s_and_saveexec_b64 s[2:3], vcc
	s_cbranch_execz .LBB839_121
; %bb.116:
	s_movk_i32 s8, 0x80
	v_cmp_ne_u16_e32 vcc, s8, v42
	v_mov_b32_e32 v43, 0xffff8000
	s_and_saveexec_b64 s[8:9], vcc
	s_cbranch_execz .LBB839_120
; %bb.117:
	s_movk_i32 s10, 0x7f
	v_and_b32_e32 v45, 0x7f, v42
	v_cmp_ne_u32_e32 vcc, s10, v45
	v_mov_b32_e32 v43, 0x7f80
	s_and_saveexec_b64 s[10:11], vcc
	s_cbranch_execz .LBB839_119
; %bb.118:
	v_and_b32_e32 v51, 7, v42
	v_ffbh_u32_e32 v43, v51
	v_min_u32_e32 v54, 32, v43
	v_subrev_u32_e32 v43, 28, v54
	v_lshlrev_b64 v[42:43], v43, v[42:43]
	v_lshrrev_b32_e32 v53, 3, v45
	v_sub_u32_e32 v43, 29, v54
	v_and_b32_e32 v42, 7, v42
	v_cmp_gt_u32_e32 vcc, 8, v45
	v_cndmask_b32_e32 v43, v53, v43, vcc
	v_cndmask_b32_e32 v42, v51, v42, vcc
	v_lshlrev_b32_e32 v45, 16, v38
	v_bfrev_b32_e32 v51, 60
	v_lshlrev_b32_e32 v42, 20, v42
	v_and_b32_e32 v45, 0x80000000, v45
	v_lshl_add_u32 v43, v43, 23, v51
	v_or3_b32 v42, v45, v43, v42
	v_lshrrev_b32_e32 v43, 16, v42
.LBB839_119:
	s_or_b64 exec, exec, s[10:11]
.LBB839_120:
	s_or_b64 exec, exec, s[8:9]
.LBB839_121:
	s_or_b64 exec, exec, s[2:3]
	s_movk_i32 s2, 0xff
	v_and_b32_sdwa v45, v38, s2 dst_sel:DWORD dst_unused:UNUSED_PAD src0_sel:WORD_1 src1_sel:DWORD
	v_lshrrev_b32_e32 v42, 16, v38
	v_cmp_ne_u16_e32 vcc, 0, v45
	s_and_saveexec_b64 s[2:3], vcc
	s_cbranch_execz .LBB839_127
; %bb.122:
	s_movk_i32 s8, 0x80
	v_cmp_ne_u16_e32 vcc, s8, v45
	v_mov_b32_e32 v44, 0xffff8000
	s_and_saveexec_b64 s[8:9], vcc
	s_cbranch_execz .LBB839_126
; %bb.123:
	v_bfe_u32 v45, v38, 16, 7
	s_movk_i32 s10, 0x7f
	v_cmp_ne_u32_e32 vcc, s10, v45
	v_mov_b32_e32 v44, 0x7f80
	s_and_saveexec_b64 s[10:11], vcc
	s_cbranch_execz .LBB839_125
; %bb.124:
	v_and_b32_e32 v44, 7, v42
	v_ffbh_u32_e32 v53, v44
	v_min_u32_e32 v53, 32, v53
	v_subrev_u32_e32 v54, 28, v53
	v_lshlrev_b64 v[54:55], v54, v[42:43]
	v_lshrrev_b32_e32 v51, 3, v45
	v_sub_u32_e32 v42, 29, v53
	v_and_b32_e32 v53, 7, v54
	v_cmp_gt_u32_e32 vcc, 8, v45
	v_mov_b32_e32 v45, 24
	v_cndmask_b32_e32 v42, v51, v42, vcc
	v_cndmask_b32_e32 v44, v44, v53, vcc
	v_lshlrev_b32_sdwa v45, v45, v38 dst_sel:DWORD dst_unused:UNUSED_PAD src0_sel:DWORD src1_sel:WORD_1
	v_bfrev_b32_e32 v51, 60
	v_lshlrev_b32_e32 v44, 20, v44
	v_and_b32_e32 v45, 0x80000000, v45
	v_lshl_add_u32 v42, v42, 23, v51
	v_or3_b32 v42, v45, v42, v44
	v_lshrrev_b32_e32 v44, 16, v42
.LBB839_125:
	s_or_b64 exec, exec, s[10:11]
.LBB839_126:
	s_or_b64 exec, exec, s[8:9]
.LBB839_127:
	s_or_b64 exec, exec, s[2:3]
	s_mov_b32 s2, 0xffffff
	v_cmp_lt_u32_e32 vcc, s2, v38
	v_mov_b32_e32 v45, 0
	v_mov_b32_e32 v53, 0
	s_and_saveexec_b64 s[2:3], vcc
	s_cbranch_execz .LBB839_133
; %bb.128:
	v_lshrrev_b32_e32 v42, 24, v38
	s_movk_i32 s8, 0x80
	v_cmp_ne_u32_e32 vcc, s8, v42
	v_mov_b32_e32 v53, 0xffff8000
	s_and_saveexec_b64 s[8:9], vcc
	s_cbranch_execz .LBB839_132
; %bb.129:
	v_bfe_u32 v38, v38, 24, 7
	s_movk_i32 s10, 0x7f
	v_cmp_ne_u32_e32 vcc, s10, v38
	v_mov_b32_e32 v53, 0x7f80
	s_and_saveexec_b64 s[10:11], vcc
	s_cbranch_execz .LBB839_131
; %bb.130:
	v_and_b32_e32 v51, 7, v42
	v_ffbh_u32_e32 v54, v51
	v_min_u32_e32 v56, 32, v54
	v_subrev_u32_e32 v54, 28, v56
	v_lshlrev_b64 v[54:55], v54, v[42:43]
	v_lshrrev_b32_e32 v53, 3, v38
	v_sub_u32_e32 v55, 29, v56
	v_and_b32_e32 v54, 7, v54
	v_cmp_gt_u32_e32 vcc, 8, v38
	v_cndmask_b32_e32 v38, v53, v55, vcc
	v_cndmask_b32_e32 v51, v51, v54, vcc
	v_lshlrev_b32_e32 v42, 24, v42
	v_bfrev_b32_e32 v53, 60
	v_lshlrev_b32_e32 v51, 20, v51
	v_and_b32_e32 v42, 0x80000000, v42
	v_lshl_add_u32 v38, v38, 23, v53
	v_or3_b32 v38, v42, v38, v51
	v_lshrrev_b32_e32 v53, 16, v38
.LBB839_131:
	s_or_b64 exec, exec, s[10:11]
.LBB839_132:
	s_or_b64 exec, exec, s[8:9]
.LBB839_133:
	s_or_b64 exec, exec, s[2:3]
	v_cmp_ne_u16_sdwa s[8:9], v39, v45 src0_sel:BYTE_0 src1_sel:DWORD
	s_and_saveexec_b64 s[2:3], s[8:9]
	s_cbranch_execz .LBB839_139
; %bb.134:
	s_movk_i32 s8, 0x80
	v_cmp_ne_u16_sdwa s[10:11], v39, s8 src0_sel:BYTE_0 src1_sel:DWORD
	v_mov_b32_e32 v45, 0xffff8000
	s_and_saveexec_b64 s[8:9], s[10:11]
	s_cbranch_execz .LBB839_138
; %bb.135:
	s_movk_i32 s10, 0x7f
	v_and_b32_e32 v38, 0x7f, v39
	v_cmp_ne_u32_e32 vcc, s10, v38
	v_mov_b32_e32 v45, 0x7f80
	s_and_saveexec_b64 s[10:11], vcc
	s_cbranch_execz .LBB839_137
; %bb.136:
	v_and_b32_e32 v45, 7, v39
	v_ffbh_u32_e32 v54, v45
	v_min_u32_e32 v56, 32, v54
	v_mov_b32_e32 v42, v39
	v_subrev_u32_e32 v54, 28, v56
	v_lshlrev_b64 v[54:55], v54, v[42:43]
	v_lshrrev_b32_e32 v51, 3, v38
	v_sub_u32_e32 v42, 29, v56
	v_and_b32_e32 v54, 7, v54
	v_cmp_gt_u32_e32 vcc, 8, v38
	v_cndmask_b32_e32 v38, v51, v42, vcc
	v_cndmask_b32_e32 v42, v45, v54, vcc
	v_lshlrev_b32_e32 v45, 24, v39
	v_bfrev_b32_e32 v51, 60
	v_lshlrev_b32_e32 v42, 20, v42
	v_and_b32_e32 v45, 0x80000000, v45
	v_lshl_add_u32 v38, v38, 23, v51
	v_or3_b32 v38, v45, v38, v42
	v_lshrrev_b32_e32 v45, 16, v38
.LBB839_137:
	s_or_b64 exec, exec, s[10:11]
.LBB839_138:
	s_or_b64 exec, exec, s[8:9]
.LBB839_139:
	s_or_b64 exec, exec, s[2:3]
	v_lshrrev_b16_e32 v38, 8, v39
	v_cmp_ne_u16_e32 vcc, 0, v38
	v_mov_b32_e32 v54, 0
	v_mov_b32_e32 v42, 0
	s_and_saveexec_b64 s[2:3], vcc
	s_cbranch_execz .LBB839_145
; %bb.140:
	s_movk_i32 s8, 0x80
	v_cmp_ne_u16_e32 vcc, s8, v38
	v_mov_b32_e32 v42, 0xffff8000
	s_and_saveexec_b64 s[8:9], vcc
	s_cbranch_execz .LBB839_144
; %bb.141:
	s_movk_i32 s10, 0x7f
	v_and_b32_e32 v51, 0x7f, v38
	v_cmp_ne_u32_e32 vcc, s10, v51
	v_mov_b32_e32 v42, 0x7f80
	s_and_saveexec_b64 s[10:11], vcc
	s_cbranch_execz .LBB839_143
; %bb.142:
	v_and_b32_e32 v42, 7, v38
	v_ffbh_u32_e32 v56, v42
	v_min_u32_e32 v58, 32, v56
	v_subrev_u32_e32 v56, 28, v58
	v_lshlrev_b64 v[56:57], v56, v[38:39]
	v_lshrrev_b32_e32 v55, 3, v51
	v_sub_u32_e32 v38, 29, v58
	v_and_b32_e32 v56, 7, v56
	v_cmp_gt_u32_e32 vcc, 8, v51
	v_cndmask_b32_e32 v38, v55, v38, vcc
	v_cndmask_b32_e32 v42, v42, v56, vcc
	v_lshlrev_b32_e32 v51, 16, v39
	v_bfrev_b32_e32 v55, 60
	v_lshlrev_b32_e32 v42, 20, v42
	v_and_b32_e32 v51, 0x80000000, v51
	v_lshl_add_u32 v38, v38, 23, v55
	v_or3_b32 v38, v51, v38, v42
	v_lshrrev_b32_e32 v42, 16, v38
.LBB839_143:
	s_or_b64 exec, exec, s[10:11]
.LBB839_144:
	s_or_b64 exec, exec, s[8:9]
.LBB839_145:
	s_or_b64 exec, exec, s[2:3]
	s_movk_i32 s2, 0xff
	v_and_b32_sdwa v51, v39, s2 dst_sel:DWORD dst_unused:UNUSED_PAD src0_sel:WORD_1 src1_sel:DWORD
	v_lshrrev_b32_e32 v38, 16, v39
	v_cmp_ne_u16_e32 vcc, 0, v51
	s_and_saveexec_b64 s[2:3], vcc
	s_cbranch_execz .LBB839_151
; %bb.146:
	s_movk_i32 s8, 0x80
	v_cmp_ne_u16_e32 vcc, s8, v51
	v_mov_b32_e32 v54, 0xffff8000
	s_and_saveexec_b64 s[8:9], vcc
	s_cbranch_execz .LBB839_150
; %bb.147:
	v_bfe_u32 v51, v39, 16, 7
	s_movk_i32 s10, 0x7f
	v_cmp_ne_u32_e32 vcc, s10, v51
	v_mov_b32_e32 v54, 0x7f80
	s_and_saveexec_b64 s[10:11], vcc
	s_cbranch_execz .LBB839_149
; %bb.148:
	v_and_b32_e32 v56, 7, v38
	v_ffbh_u32_e32 v54, v56
	v_min_u32_e32 v58, 32, v54
	v_subrev_u32_e32 v54, 28, v58
	v_lshlrev_b64 v[54:55], v54, v[38:39]
	v_and_b32_e32 v54, 7, v54
	v_cmp_gt_u32_e32 vcc, 8, v51
	v_lshrrev_b32_e32 v57, 3, v51
	v_sub_u32_e32 v38, 29, v58
	v_cndmask_b32_e32 v51, v56, v54, vcc
	v_mov_b32_e32 v54, 24
	v_cndmask_b32_e32 v38, v57, v38, vcc
	v_lshlrev_b32_sdwa v54, v54, v39 dst_sel:DWORD dst_unused:UNUSED_PAD src0_sel:DWORD src1_sel:WORD_1
	v_bfrev_b32_e32 v55, 60
	v_lshlrev_b32_e32 v51, 20, v51
	v_and_b32_e32 v54, 0x80000000, v54
	v_lshl_add_u32 v38, v38, 23, v55
	v_or3_b32 v38, v54, v38, v51
	v_lshrrev_b32_e32 v54, 16, v38
.LBB839_149:
	s_or_b64 exec, exec, s[10:11]
.LBB839_150:
	s_or_b64 exec, exec, s[8:9]
.LBB839_151:
	s_or_b64 exec, exec, s[2:3]
	s_mov_b32 s2, 0xffffff
	v_cmp_lt_u32_e32 vcc, s2, v39
	v_mov_b32_e32 v51, 0
	v_mov_b32_e32 v55, 0
	s_and_saveexec_b64 s[2:3], vcc
	s_cbranch_execz .LBB839_157
; %bb.152:
	v_lshrrev_b32_e32 v38, 24, v39
	s_movk_i32 s8, 0x80
	v_cmp_ne_u32_e32 vcc, s8, v38
	v_mov_b32_e32 v55, 0xffff8000
	s_and_saveexec_b64 s[8:9], vcc
	s_cbranch_execz .LBB839_156
; %bb.153:
	v_bfe_u32 v39, v39, 24, 7
	s_movk_i32 s10, 0x7f
	v_cmp_ne_u32_e32 vcc, s10, v39
	v_mov_b32_e32 v55, 0x7f80
	s_and_saveexec_b64 s[10:11], vcc
	s_cbranch_execz .LBB839_155
; %bb.154:
	v_and_b32_e32 v55, 7, v38
	v_ffbh_u32_e32 v56, v55
	v_min_u32_e32 v59, 32, v56
	v_subrev_u32_e32 v56, 28, v59
	v_lshlrev_b64 v[56:57], v56, v[38:39]
	v_lshrrev_b32_e32 v58, 3, v39
	v_sub_u32_e32 v57, 29, v59
	v_and_b32_e32 v56, 7, v56
	v_cmp_gt_u32_e32 vcc, 8, v39
	v_cndmask_b32_e32 v39, v58, v57, vcc
	v_cndmask_b32_e32 v55, v55, v56, vcc
	v_lshlrev_b32_e32 v38, 24, v38
	v_bfrev_b32_e32 v56, 60
	v_lshlrev_b32_e32 v55, 20, v55
	v_and_b32_e32 v38, 0x80000000, v38
	v_lshl_add_u32 v39, v39, 23, v56
	v_or3_b32 v38, v38, v39, v55
	v_lshrrev_b32_e32 v55, 16, v38
.LBB839_155:
	s_or_b64 exec, exec, s[10:11]
.LBB839_156:
	s_or_b64 exec, exec, s[8:9]
.LBB839_157:
	s_or_b64 exec, exec, s[2:3]
	s_mov_b32 s2, 0x5040100
	v_perm_b32 v39, v53, v44, s2
	v_perm_b32 v38, v43, v52, s2
	v_cmp_ne_u16_sdwa s[8:9], v40, v51 src0_sel:BYTE_0 src1_sel:DWORD
	s_nop 0
	v_mfma_f32_16x16x16bf16_1k v[56:59], v[38:39], v[26:27], 0
	v_perm_b32 v39, v55, v54, s2
	v_perm_b32 v38, v42, v45, s2
	s_nop 1
	v_mfma_f32_16x16x16bf16_1k v[42:45], v[38:39], v[28:29], v[56:59]
	s_and_saveexec_b64 s[2:3], s[8:9]
	s_cbranch_execz .LBB839_163
; %bb.158:
	s_movk_i32 s8, 0x80
	v_cmp_ne_u16_sdwa s[10:11], v40, s8 src0_sel:BYTE_0 src1_sel:DWORD
	v_mov_b32_e32 v51, 0xffff8000
	s_and_saveexec_b64 s[8:9], s[10:11]
	s_cbranch_execz .LBB839_162
; %bb.159:
	s_movk_i32 s10, 0x7f
	v_and_b32_e32 v38, 0x7f, v40
	v_cmp_ne_u32_e32 vcc, s10, v38
	v_mov_b32_e32 v51, 0x7f80
	s_and_saveexec_b64 s[10:11], vcc
	s_cbranch_execz .LBB839_161
; %bb.160:
	v_and_b32_e32 v39, 7, v40
	v_ffbh_u32_e32 v52, v39
	v_min_u32_e32 v54, 32, v52
	v_subrev_u32_e32 v52, 28, v54
	v_lshlrev_b64 v[52:53], v52, v[40:41]
	v_lshrrev_b32_e32 v51, 3, v38
	v_sub_u32_e32 v53, 29, v54
	v_and_b32_e32 v52, 7, v52
	v_cmp_gt_u32_e32 vcc, 8, v38
	v_cndmask_b32_e32 v38, v51, v53, vcc
	v_cndmask_b32_e32 v39, v39, v52, vcc
	v_lshlrev_b32_e32 v51, 24, v40
	v_bfrev_b32_e32 v52, 60
	v_lshlrev_b32_e32 v39, 20, v39
	v_and_b32_e32 v51, 0x80000000, v51
	v_lshl_add_u32 v38, v38, 23, v52
	v_or3_b32 v38, v51, v38, v39
	v_lshrrev_b32_e32 v51, 16, v38
.LBB839_161:
	s_or_b64 exec, exec, s[10:11]
.LBB839_162:
	s_or_b64 exec, exec, s[8:9]
.LBB839_163:
	s_or_b64 exec, exec, s[2:3]
	v_lshrrev_b16_e32 v38, 8, v40
	v_cmp_ne_u16_e32 vcc, 0, v38
	v_mov_b32_e32 v53, 0
	v_mov_b32_e32 v39, 0
	s_and_saveexec_b64 s[2:3], vcc
	s_cbranch_execz .LBB839_169
; %bb.164:
	s_movk_i32 s8, 0x80
	v_cmp_ne_u16_e32 vcc, s8, v38
	v_mov_b32_e32 v39, 0xffff8000
	s_and_saveexec_b64 s[8:9], vcc
	s_cbranch_execz .LBB839_168
; %bb.165:
	s_movk_i32 s10, 0x7f
	v_and_b32_e32 v52, 0x7f, v38
	v_cmp_ne_u32_e32 vcc, s10, v52
	v_mov_b32_e32 v39, 0x7f80
	s_and_saveexec_b64 s[10:11], vcc
	s_cbranch_execz .LBB839_167
; %bb.166:
	v_and_b32_e32 v54, 7, v38
	v_ffbh_u32_e32 v39, v54
	v_min_u32_e32 v56, 32, v39
	v_subrev_u32_e32 v39, 28, v56
	v_lshlrev_b64 v[38:39], v39, v[38:39]
	v_lshrrev_b32_e32 v55, 3, v52
	v_sub_u32_e32 v39, 29, v56
	v_and_b32_e32 v38, 7, v38
	v_cmp_gt_u32_e32 vcc, 8, v52
	v_cndmask_b32_e32 v39, v55, v39, vcc
	v_cndmask_b32_e32 v38, v54, v38, vcc
	v_lshlrev_b32_e32 v52, 16, v40
	v_bfrev_b32_e32 v54, 60
	v_lshlrev_b32_e32 v38, 20, v38
	v_and_b32_e32 v52, 0x80000000, v52
	v_lshl_add_u32 v39, v39, 23, v54
	v_or3_b32 v38, v52, v39, v38
	v_lshrrev_b32_e32 v39, 16, v38
.LBB839_167:
	s_or_b64 exec, exec, s[10:11]
.LBB839_168:
	s_or_b64 exec, exec, s[8:9]
.LBB839_169:
	s_or_b64 exec, exec, s[2:3]
	s_movk_i32 s2, 0xff
	v_and_b32_sdwa v52, v40, s2 dst_sel:DWORD dst_unused:UNUSED_PAD src0_sel:WORD_1 src1_sel:DWORD
	v_lshrrev_b32_e32 v38, 16, v40
	v_cmp_ne_u16_e32 vcc, 0, v52
	s_and_saveexec_b64 s[2:3], vcc
	s_cbranch_execz .LBB839_175
; %bb.170:
	s_movk_i32 s8, 0x80
	v_cmp_ne_u16_e32 vcc, s8, v52
	v_mov_b32_e32 v53, 0xffff8000
	s_and_saveexec_b64 s[8:9], vcc
	s_cbranch_execz .LBB839_174
; %bb.171:
	v_bfe_u32 v52, v40, 16, 7
	s_movk_i32 s10, 0x7f
	v_cmp_ne_u32_e32 vcc, s10, v52
	v_mov_b32_e32 v53, 0x7f80
	s_and_saveexec_b64 s[10:11], vcc
	s_cbranch_execz .LBB839_173
; %bb.172:
	v_and_b32_e32 v53, 7, v38
	v_ffbh_u32_e32 v54, v53
	v_min_u32_e32 v57, 32, v54
	v_subrev_u32_e32 v54, 28, v57
	v_lshlrev_b64 v[54:55], v54, v[38:39]
	v_and_b32_e32 v54, 7, v54
	v_cmp_gt_u32_e32 vcc, 8, v52
	v_lshrrev_b32_e32 v56, 3, v52
	v_sub_u32_e32 v38, 29, v57
	v_cndmask_b32_e32 v52, v53, v54, vcc
	v_mov_b32_e32 v53, 24
	v_cndmask_b32_e32 v38, v56, v38, vcc
	v_lshlrev_b32_sdwa v53, v53, v40 dst_sel:DWORD dst_unused:UNUSED_PAD src0_sel:DWORD src1_sel:WORD_1
	v_bfrev_b32_e32 v54, 60
	v_lshlrev_b32_e32 v52, 20, v52
	v_and_b32_e32 v53, 0x80000000, v53
	v_lshl_add_u32 v38, v38, 23, v54
	v_or3_b32 v38, v53, v38, v52
	v_lshrrev_b32_e32 v53, 16, v38
.LBB839_173:
	s_or_b64 exec, exec, s[10:11]
.LBB839_174:
	s_or_b64 exec, exec, s[8:9]
.LBB839_175:
	s_or_b64 exec, exec, s[2:3]
	s_mov_b32 s2, 0xffffff
	v_cmp_lt_u32_e32 vcc, s2, v40
	v_mov_b32_e32 v54, 0
	v_mov_b32_e32 v55, 0
	s_and_saveexec_b64 s[2:3], vcc
	s_cbranch_execz .LBB839_181
; %bb.176:
	v_lshrrev_b32_e32 v38, 24, v40
	s_movk_i32 s8, 0x80
	v_cmp_ne_u32_e32 vcc, s8, v38
	v_mov_b32_e32 v55, 0xffff8000
	s_and_saveexec_b64 s[8:9], vcc
	s_cbranch_execz .LBB839_180
; %bb.177:
	v_bfe_u32 v40, v40, 24, 7
	s_movk_i32 s10, 0x7f
	v_cmp_ne_u32_e32 vcc, s10, v40
	v_mov_b32_e32 v55, 0x7f80
	s_and_saveexec_b64 s[10:11], vcc
	s_cbranch_execz .LBB839_179
; %bb.178:
	v_and_b32_e32 v52, 7, v38
	v_ffbh_u32_e32 v56, v52
	v_min_u32_e32 v58, 32, v56
	v_subrev_u32_e32 v56, 28, v58
	v_lshlrev_b64 v[56:57], v56, v[38:39]
	v_lshrrev_b32_e32 v55, 3, v40
	v_sub_u32_e32 v57, 29, v58
	v_and_b32_e32 v56, 7, v56
	v_cmp_gt_u32_e32 vcc, 8, v40
	v_cndmask_b32_e32 v40, v55, v57, vcc
	v_cndmask_b32_e32 v52, v52, v56, vcc
	v_lshlrev_b32_e32 v38, 24, v38
	v_bfrev_b32_e32 v55, 60
	v_lshlrev_b32_e32 v52, 20, v52
	v_and_b32_e32 v38, 0x80000000, v38
	v_lshl_add_u32 v40, v40, 23, v55
	v_or3_b32 v38, v38, v40, v52
	v_lshrrev_b32_e32 v55, 16, v38
.LBB839_179:
	s_or_b64 exec, exec, s[10:11]
.LBB839_180:
	s_or_b64 exec, exec, s[8:9]
.LBB839_181:
	s_or_b64 exec, exec, s[2:3]
	v_cmp_ne_u16_sdwa s[8:9], v41, v54 src0_sel:BYTE_0 src1_sel:DWORD
	s_and_saveexec_b64 s[2:3], s[8:9]
	s_cbranch_execz .LBB839_187
; %bb.182:
	s_movk_i32 s8, 0x80
	v_cmp_ne_u16_sdwa s[10:11], v41, s8 src0_sel:BYTE_0 src1_sel:DWORD
	v_mov_b32_e32 v54, 0xffff8000
	s_and_saveexec_b64 s[8:9], s[10:11]
	s_cbranch_execz .LBB839_186
; %bb.183:
	s_movk_i32 s10, 0x7f
	v_and_b32_e32 v38, 0x7f, v41
	v_cmp_ne_u32_e32 vcc, s10, v38
	v_mov_b32_e32 v54, 0x7f80
	s_and_saveexec_b64 s[10:11], vcc
	s_cbranch_execz .LBB839_185
; %bb.184:
	v_and_b32_e32 v52, 7, v41
	v_ffbh_u32_e32 v56, v52
	v_min_u32_e32 v58, 32, v56
	v_mov_b32_e32 v40, v41
	v_subrev_u32_e32 v56, 28, v58
	v_lshlrev_b64 v[56:57], v56, v[40:41]
	v_lshrrev_b32_e32 v54, 3, v38
	v_sub_u32_e32 v40, 29, v58
	v_and_b32_e32 v56, 7, v56
	v_cmp_gt_u32_e32 vcc, 8, v38
	v_cndmask_b32_e32 v38, v54, v40, vcc
	v_cndmask_b32_e32 v40, v52, v56, vcc
	v_lshlrev_b32_e32 v52, 24, v41
	v_bfrev_b32_e32 v54, 60
	v_lshlrev_b32_e32 v40, 20, v40
	v_and_b32_e32 v52, 0x80000000, v52
	v_lshl_add_u32 v38, v38, 23, v54
	v_or3_b32 v38, v52, v38, v40
	v_lshrrev_b32_e32 v54, 16, v38
.LBB839_185:
	s_or_b64 exec, exec, s[10:11]
.LBB839_186:
	s_or_b64 exec, exec, s[8:9]
.LBB839_187:
	s_or_b64 exec, exec, s[2:3]
	v_lshrrev_b16_e32 v38, 8, v41
	v_cmp_ne_u16_e32 vcc, 0, v38
	v_mov_b32_e32 v56, 0
	v_mov_b32_e32 v40, 0
	s_and_saveexec_b64 s[2:3], vcc
	s_cbranch_execz .LBB839_193
; %bb.188:
	s_movk_i32 s8, 0x80
	v_cmp_ne_u16_e32 vcc, s8, v38
	v_mov_b32_e32 v40, 0xffff8000
	s_and_saveexec_b64 s[8:9], vcc
	s_cbranch_execz .LBB839_192
; %bb.189:
	s_movk_i32 s10, 0x7f
	v_and_b32_e32 v52, 0x7f, v38
	v_cmp_ne_u32_e32 vcc, s10, v52
	v_mov_b32_e32 v40, 0x7f80
	s_and_saveexec_b64 s[10:11], vcc
	s_cbranch_execz .LBB839_191
; %bb.190:
	v_and_b32_e32 v40, 7, v38
	v_ffbh_u32_e32 v58, v40
	v_min_u32_e32 v60, 32, v58
	v_subrev_u32_e32 v58, 28, v60
	v_lshlrev_b64 v[58:59], v58, v[38:39]
	v_lshrrev_b32_e32 v57, 3, v52
	v_sub_u32_e32 v38, 29, v60
	v_and_b32_e32 v58, 7, v58
	v_cmp_gt_u32_e32 vcc, 8, v52
	v_cndmask_b32_e32 v38, v57, v38, vcc
	v_cndmask_b32_e32 v40, v40, v58, vcc
	v_lshlrev_b32_e32 v52, 16, v41
	v_bfrev_b32_e32 v57, 60
	v_lshlrev_b32_e32 v40, 20, v40
	v_and_b32_e32 v52, 0x80000000, v52
	v_lshl_add_u32 v38, v38, 23, v57
	v_or3_b32 v38, v52, v38, v40
	v_lshrrev_b32_e32 v40, 16, v38
.LBB839_191:
	s_or_b64 exec, exec, s[10:11]
.LBB839_192:
	s_or_b64 exec, exec, s[8:9]
.LBB839_193:
	s_or_b64 exec, exec, s[2:3]
	s_movk_i32 s2, 0xff
	v_and_b32_sdwa v52, v41, s2 dst_sel:DWORD dst_unused:UNUSED_PAD src0_sel:WORD_1 src1_sel:DWORD
	v_lshrrev_b32_e32 v38, 16, v41
	v_cmp_ne_u16_e32 vcc, 0, v52
	s_and_saveexec_b64 s[2:3], vcc
	s_cbranch_execz .LBB839_199
; %bb.194:
	s_movk_i32 s8, 0x80
	v_cmp_ne_u16_e32 vcc, s8, v52
	v_mov_b32_e32 v56, 0xffff8000
	s_and_saveexec_b64 s[8:9], vcc
	s_cbranch_execz .LBB839_198
; %bb.195:
	v_bfe_u32 v52, v41, 16, 7
	s_movk_i32 s10, 0x7f
	v_cmp_ne_u32_e32 vcc, s10, v52
	v_mov_b32_e32 v56, 0x7f80
	s_and_saveexec_b64 s[10:11], vcc
	s_cbranch_execz .LBB839_197
; %bb.196:
	v_and_b32_e32 v58, 7, v38
	v_ffbh_u32_e32 v56, v58
	v_min_u32_e32 v60, 32, v56
	v_subrev_u32_e32 v56, 28, v60
	v_lshlrev_b64 v[56:57], v56, v[38:39]
	v_and_b32_e32 v56, 7, v56
	v_cmp_gt_u32_e32 vcc, 8, v52
	v_lshrrev_b32_e32 v59, 3, v52
	v_sub_u32_e32 v38, 29, v60
	v_cndmask_b32_e32 v52, v58, v56, vcc
	v_mov_b32_e32 v56, 24
	v_cndmask_b32_e32 v38, v59, v38, vcc
	v_lshlrev_b32_sdwa v56, v56, v41 dst_sel:DWORD dst_unused:UNUSED_PAD src0_sel:DWORD src1_sel:WORD_1
	v_bfrev_b32_e32 v57, 60
	v_lshlrev_b32_e32 v52, 20, v52
	v_and_b32_e32 v56, 0x80000000, v56
	v_lshl_add_u32 v38, v38, 23, v57
	v_or3_b32 v38, v56, v38, v52
	v_lshrrev_b32_e32 v56, 16, v38
.LBB839_197:
	s_or_b64 exec, exec, s[10:11]
.LBB839_198:
	s_or_b64 exec, exec, s[8:9]
.LBB839_199:
	s_or_b64 exec, exec, s[2:3]
	s_mov_b32 s2, 0xffffff
	v_cmp_lt_u32_e32 vcc, s2, v41
	v_mov_b32_e32 v52, 0
	v_mov_b32_e32 v57, 0
	s_and_saveexec_b64 s[2:3], vcc
	s_cbranch_execz .LBB839_205
; %bb.200:
	v_lshrrev_b32_e32 v38, 24, v41
	s_movk_i32 s8, 0x80
	v_cmp_ne_u32_e32 vcc, s8, v38
	v_mov_b32_e32 v57, 0xffff8000
	s_and_saveexec_b64 s[8:9], vcc
	s_cbranch_execz .LBB839_204
; %bb.201:
	v_bfe_u32 v41, v41, 24, 7
	s_movk_i32 s10, 0x7f
	v_cmp_ne_u32_e32 vcc, s10, v41
	v_mov_b32_e32 v57, 0x7f80
	s_and_saveexec_b64 s[10:11], vcc
	s_cbranch_execz .LBB839_203
; %bb.202:
	v_and_b32_e32 v57, 7, v38
	v_ffbh_u32_e32 v58, v57
	v_min_u32_e32 v61, 32, v58
	v_subrev_u32_e32 v58, 28, v61
	v_lshlrev_b64 v[58:59], v58, v[38:39]
	v_lshrrev_b32_e32 v60, 3, v41
	v_sub_u32_e32 v59, 29, v61
	v_and_b32_e32 v58, 7, v58
	v_cmp_gt_u32_e32 vcc, 8, v41
	v_cndmask_b32_e32 v41, v60, v59, vcc
	v_cndmask_b32_e32 v57, v57, v58, vcc
	v_lshlrev_b32_e32 v38, 24, v38
	v_bfrev_b32_e32 v58, 60
	v_lshlrev_b32_e32 v57, 20, v57
	v_and_b32_e32 v38, 0x80000000, v38
	v_lshl_add_u32 v41, v41, 23, v58
	v_or3_b32 v38, v38, v41, v57
	v_lshrrev_b32_e32 v57, 16, v38
.LBB839_203:
	s_or_b64 exec, exec, s[10:11]
.LBB839_204:
	s_or_b64 exec, exec, s[8:9]
.LBB839_205:
	s_or_b64 exec, exec, s[2:3]
	s_mov_b32 s2, 0x5040100
	v_perm_b32 v59, v55, v53, s2
	v_perm_b32 v58, v39, v51, s2
	;; [unrolled: 1-line block ×4, first 2 shown]
	v_cmp_ne_u16_sdwa s[8:9], v30, v52 src0_sel:BYTE_0 src1_sel:DWORD
	v_mfma_f32_16x16x16bf16_1k v[42:45], v[58:59], v[18:19], v[42:45]
	v_mfma_f32_16x16x16bf16_1k v[38:41], v[38:39], v[20:21], v[42:45]
	s_and_saveexec_b64 s[2:3], s[8:9]
	s_cbranch_execz .LBB839_211
; %bb.206:
	s_movk_i32 s8, 0x80
	v_cmp_ne_u16_sdwa s[10:11], v30, s8 src0_sel:BYTE_0 src1_sel:DWORD
	v_mov_b32_e32 v52, 0xffff8000
	s_and_saveexec_b64 s[8:9], s[10:11]
	s_cbranch_execz .LBB839_210
; %bb.207:
	s_movk_i32 s10, 0x7f
	s_nop 1
	v_and_b32_e32 v42, 0x7f, v30
	v_cmp_ne_u32_e32 vcc, s10, v42
	v_mov_b32_e32 v52, 0x7f80
	s_and_saveexec_b64 s[10:11], vcc
	s_cbranch_execz .LBB839_209
; %bb.208:
	v_and_b32_e32 v43, 7, v30
	v_ffbh_u32_e32 v44, v43
	v_min_u32_e32 v52, 32, v44
	v_subrev_u32_e32 v44, 28, v52
	v_lshlrev_b64 v[44:45], v44, v[30:31]
	v_lshrrev_b32_e32 v51, 3, v42
	v_sub_u32_e32 v45, 29, v52
	v_and_b32_e32 v44, 7, v44
	v_cmp_gt_u32_e32 vcc, 8, v42
	v_cndmask_b32_e32 v42, v51, v45, vcc
	v_cndmask_b32_e32 v43, v43, v44, vcc
	v_lshlrev_b32_e32 v44, 24, v30
	v_bfrev_b32_e32 v45, 60
	v_lshlrev_b32_e32 v43, 20, v43
	v_and_b32_e32 v44, 0x80000000, v44
	v_lshl_add_u32 v42, v42, 23, v45
	v_or3_b32 v42, v44, v42, v43
	v_lshrrev_b32_e32 v52, 16, v42
.LBB839_209:
	s_or_b64 exec, exec, s[10:11]
.LBB839_210:
	s_or_b64 exec, exec, s[8:9]
.LBB839_211:
	s_or_b64 exec, exec, s[2:3]
	s_nop 6
	v_lshrrev_b16_e32 v42, 8, v30
	v_cmp_ne_u16_e32 vcc, 0, v42
	v_mov_b32_e32 v44, 0
	v_mov_b32_e32 v43, 0
	s_and_saveexec_b64 s[2:3], vcc
	s_cbranch_execz .LBB839_217
; %bb.212:
	s_movk_i32 s8, 0x80
	v_cmp_ne_u16_e32 vcc, s8, v42
	v_mov_b32_e32 v43, 0xffff8000
	s_and_saveexec_b64 s[8:9], vcc
	s_cbranch_execz .LBB839_216
; %bb.213:
	s_movk_i32 s10, 0x7f
	v_and_b32_e32 v45, 0x7f, v42
	v_cmp_ne_u32_e32 vcc, s10, v45
	v_mov_b32_e32 v43, 0x7f80
	s_and_saveexec_b64 s[10:11], vcc
	s_cbranch_execz .LBB839_215
; %bb.214:
	v_and_b32_e32 v51, 7, v42
	v_ffbh_u32_e32 v43, v51
	v_min_u32_e32 v54, 32, v43
	v_subrev_u32_e32 v43, 28, v54
	v_lshlrev_b64 v[42:43], v43, v[42:43]
	v_lshrrev_b32_e32 v53, 3, v45
	v_sub_u32_e32 v43, 29, v54
	v_and_b32_e32 v42, 7, v42
	v_cmp_gt_u32_e32 vcc, 8, v45
	v_cndmask_b32_e32 v43, v53, v43, vcc
	v_cndmask_b32_e32 v42, v51, v42, vcc
	v_lshlrev_b32_e32 v45, 16, v30
	v_bfrev_b32_e32 v51, 60
	v_lshlrev_b32_e32 v42, 20, v42
	v_and_b32_e32 v45, 0x80000000, v45
	v_lshl_add_u32 v43, v43, 23, v51
	v_or3_b32 v42, v45, v43, v42
	v_lshrrev_b32_e32 v43, 16, v42
.LBB839_215:
	s_or_b64 exec, exec, s[10:11]
.LBB839_216:
	s_or_b64 exec, exec, s[8:9]
.LBB839_217:
	s_or_b64 exec, exec, s[2:3]
	s_movk_i32 s2, 0xff
	v_and_b32_sdwa v45, v30, s2 dst_sel:DWORD dst_unused:UNUSED_PAD src0_sel:WORD_1 src1_sel:DWORD
	v_lshrrev_b32_e32 v42, 16, v30
	v_cmp_ne_u16_e32 vcc, 0, v45
	s_and_saveexec_b64 s[2:3], vcc
	s_cbranch_execz .LBB839_223
; %bb.218:
	s_movk_i32 s8, 0x80
	v_cmp_ne_u16_e32 vcc, s8, v45
	v_mov_b32_e32 v44, 0xffff8000
	s_and_saveexec_b64 s[8:9], vcc
	s_cbranch_execz .LBB839_222
; %bb.219:
	v_bfe_u32 v45, v30, 16, 7
	s_movk_i32 s10, 0x7f
	v_cmp_ne_u32_e32 vcc, s10, v45
	v_mov_b32_e32 v44, 0x7f80
	s_and_saveexec_b64 s[10:11], vcc
	s_cbranch_execz .LBB839_221
; %bb.220:
	v_and_b32_e32 v44, 7, v42
	v_ffbh_u32_e32 v53, v44
	v_min_u32_e32 v53, 32, v53
	v_subrev_u32_e32 v54, 28, v53
	v_lshlrev_b64 v[54:55], v54, v[42:43]
	v_lshrrev_b32_e32 v51, 3, v45
	v_sub_u32_e32 v42, 29, v53
	v_and_b32_e32 v53, 7, v54
	v_cmp_gt_u32_e32 vcc, 8, v45
	v_mov_b32_e32 v45, 24
	v_cndmask_b32_e32 v42, v51, v42, vcc
	v_cndmask_b32_e32 v44, v44, v53, vcc
	v_lshlrev_b32_sdwa v45, v45, v30 dst_sel:DWORD dst_unused:UNUSED_PAD src0_sel:DWORD src1_sel:WORD_1
	v_bfrev_b32_e32 v51, 60
	v_lshlrev_b32_e32 v44, 20, v44
	v_and_b32_e32 v45, 0x80000000, v45
	v_lshl_add_u32 v42, v42, 23, v51
	v_or3_b32 v42, v45, v42, v44
	v_lshrrev_b32_e32 v44, 16, v42
.LBB839_221:
	s_or_b64 exec, exec, s[10:11]
.LBB839_222:
	s_or_b64 exec, exec, s[8:9]
.LBB839_223:
	s_or_b64 exec, exec, s[2:3]
	s_mov_b32 s2, 0xffffff
	v_cmp_lt_u32_e32 vcc, s2, v30
	v_mov_b32_e32 v45, 0
	v_mov_b32_e32 v53, 0
	s_and_saveexec_b64 s[2:3], vcc
	s_cbranch_execz .LBB839_229
; %bb.224:
	v_lshrrev_b32_e32 v42, 24, v30
	s_movk_i32 s8, 0x80
	v_cmp_ne_u32_e32 vcc, s8, v42
	v_mov_b32_e32 v53, 0xffff8000
	s_and_saveexec_b64 s[8:9], vcc
	s_cbranch_execz .LBB839_228
; %bb.225:
	v_bfe_u32 v30, v30, 24, 7
	s_movk_i32 s10, 0x7f
	v_cmp_ne_u32_e32 vcc, s10, v30
	v_mov_b32_e32 v53, 0x7f80
	s_and_saveexec_b64 s[10:11], vcc
	s_cbranch_execz .LBB839_227
; %bb.226:
	v_and_b32_e32 v51, 7, v42
	v_ffbh_u32_e32 v54, v51
	v_min_u32_e32 v56, 32, v54
	v_subrev_u32_e32 v54, 28, v56
	v_lshlrev_b64 v[54:55], v54, v[42:43]
	v_lshrrev_b32_e32 v53, 3, v30
	v_sub_u32_e32 v55, 29, v56
	v_and_b32_e32 v54, 7, v54
	v_cmp_gt_u32_e32 vcc, 8, v30
	v_cndmask_b32_e32 v30, v53, v55, vcc
	v_cndmask_b32_e32 v51, v51, v54, vcc
	v_lshlrev_b32_e32 v42, 24, v42
	v_bfrev_b32_e32 v53, 60
	v_lshlrev_b32_e32 v51, 20, v51
	v_and_b32_e32 v42, 0x80000000, v42
	v_lshl_add_u32 v30, v30, 23, v53
	v_or3_b32 v30, v42, v30, v51
	v_lshrrev_b32_e32 v53, 16, v30
.LBB839_227:
	s_or_b64 exec, exec, s[10:11]
.LBB839_228:
	s_or_b64 exec, exec, s[8:9]
.LBB839_229:
	s_or_b64 exec, exec, s[2:3]
	v_cmp_ne_u16_sdwa s[8:9], v31, v45 src0_sel:BYTE_0 src1_sel:DWORD
	s_and_saveexec_b64 s[2:3], s[8:9]
	s_cbranch_execz .LBB839_235
; %bb.230:
	s_movk_i32 s8, 0x80
	v_cmp_ne_u16_sdwa s[10:11], v31, s8 src0_sel:BYTE_0 src1_sel:DWORD
	v_mov_b32_e32 v45, 0xffff8000
	s_and_saveexec_b64 s[8:9], s[10:11]
	s_cbranch_execz .LBB839_234
; %bb.231:
	s_movk_i32 s10, 0x7f
	v_and_b32_e32 v30, 0x7f, v31
	v_cmp_ne_u32_e32 vcc, s10, v30
	v_mov_b32_e32 v45, 0x7f80
	s_and_saveexec_b64 s[10:11], vcc
	s_cbranch_execz .LBB839_233
; %bb.232:
	v_and_b32_e32 v45, 7, v31
	v_ffbh_u32_e32 v54, v45
	v_min_u32_e32 v56, 32, v54
	v_mov_b32_e32 v42, v31
	v_subrev_u32_e32 v54, 28, v56
	v_lshlrev_b64 v[54:55], v54, v[42:43]
	v_lshrrev_b32_e32 v51, 3, v30
	v_sub_u32_e32 v42, 29, v56
	v_and_b32_e32 v54, 7, v54
	v_cmp_gt_u32_e32 vcc, 8, v30
	v_cndmask_b32_e32 v30, v51, v42, vcc
	v_cndmask_b32_e32 v42, v45, v54, vcc
	v_lshlrev_b32_e32 v45, 24, v31
	v_bfrev_b32_e32 v51, 60
	v_lshlrev_b32_e32 v42, 20, v42
	v_and_b32_e32 v45, 0x80000000, v45
	v_lshl_add_u32 v30, v30, 23, v51
	v_or3_b32 v30, v45, v30, v42
	v_lshrrev_b32_e32 v45, 16, v30
.LBB839_233:
	s_or_b64 exec, exec, s[10:11]
.LBB839_234:
	s_or_b64 exec, exec, s[8:9]
.LBB839_235:
	s_or_b64 exec, exec, s[2:3]
	v_lshrrev_b16_e32 v30, 8, v31
	v_cmp_ne_u16_e32 vcc, 0, v30
	v_mov_b32_e32 v54, 0
	v_mov_b32_e32 v42, 0
	s_and_saveexec_b64 s[2:3], vcc
	s_cbranch_execz .LBB839_241
; %bb.236:
	s_movk_i32 s8, 0x80
	v_cmp_ne_u16_e32 vcc, s8, v30
	v_mov_b32_e32 v42, 0xffff8000
	s_and_saveexec_b64 s[8:9], vcc
	s_cbranch_execz .LBB839_240
; %bb.237:
	s_movk_i32 s10, 0x7f
	v_and_b32_e32 v51, 0x7f, v30
	v_cmp_ne_u32_e32 vcc, s10, v51
	v_mov_b32_e32 v42, 0x7f80
	s_and_saveexec_b64 s[10:11], vcc
	s_cbranch_execz .LBB839_239
; %bb.238:
	v_and_b32_e32 v42, 7, v30
	v_ffbh_u32_e32 v56, v42
	v_min_u32_e32 v58, 32, v56
	v_subrev_u32_e32 v56, 28, v58
	v_lshlrev_b64 v[56:57], v56, v[30:31]
	v_lshrrev_b32_e32 v55, 3, v51
	v_sub_u32_e32 v30, 29, v58
	v_and_b32_e32 v56, 7, v56
	v_cmp_gt_u32_e32 vcc, 8, v51
	v_cndmask_b32_e32 v30, v55, v30, vcc
	v_cndmask_b32_e32 v42, v42, v56, vcc
	v_lshlrev_b32_e32 v51, 16, v31
	v_bfrev_b32_e32 v55, 60
	v_lshlrev_b32_e32 v42, 20, v42
	v_and_b32_e32 v51, 0x80000000, v51
	v_lshl_add_u32 v30, v30, 23, v55
	v_or3_b32 v30, v51, v30, v42
	v_lshrrev_b32_e32 v42, 16, v30
.LBB839_239:
	s_or_b64 exec, exec, s[10:11]
.LBB839_240:
	s_or_b64 exec, exec, s[8:9]
.LBB839_241:
	s_or_b64 exec, exec, s[2:3]
	s_movk_i32 s2, 0xff
	v_and_b32_sdwa v51, v31, s2 dst_sel:DWORD dst_unused:UNUSED_PAD src0_sel:WORD_1 src1_sel:DWORD
	v_lshrrev_b32_e32 v30, 16, v31
	v_cmp_ne_u16_e32 vcc, 0, v51
	s_and_saveexec_b64 s[2:3], vcc
	s_cbranch_execz .LBB839_247
; %bb.242:
	s_movk_i32 s8, 0x80
	v_cmp_ne_u16_e32 vcc, s8, v51
	v_mov_b32_e32 v54, 0xffff8000
	s_and_saveexec_b64 s[8:9], vcc
	s_cbranch_execz .LBB839_246
; %bb.243:
	v_bfe_u32 v51, v31, 16, 7
	s_movk_i32 s10, 0x7f
	v_cmp_ne_u32_e32 vcc, s10, v51
	v_mov_b32_e32 v54, 0x7f80
	s_and_saveexec_b64 s[10:11], vcc
	s_cbranch_execz .LBB839_245
; %bb.244:
	v_and_b32_e32 v56, 7, v30
	v_ffbh_u32_e32 v54, v56
	v_min_u32_e32 v58, 32, v54
	v_subrev_u32_e32 v54, 28, v58
	v_lshlrev_b64 v[54:55], v54, v[30:31]
	v_and_b32_e32 v54, 7, v54
	v_cmp_gt_u32_e32 vcc, 8, v51
	v_lshrrev_b32_e32 v57, 3, v51
	v_sub_u32_e32 v30, 29, v58
	v_cndmask_b32_e32 v51, v56, v54, vcc
	v_mov_b32_e32 v54, 24
	v_cndmask_b32_e32 v30, v57, v30, vcc
	v_lshlrev_b32_sdwa v54, v54, v31 dst_sel:DWORD dst_unused:UNUSED_PAD src0_sel:DWORD src1_sel:WORD_1
	v_bfrev_b32_e32 v55, 60
	v_lshlrev_b32_e32 v51, 20, v51
	v_and_b32_e32 v54, 0x80000000, v54
	v_lshl_add_u32 v30, v30, 23, v55
	v_or3_b32 v30, v54, v30, v51
	v_lshrrev_b32_e32 v54, 16, v30
.LBB839_245:
	s_or_b64 exec, exec, s[10:11]
.LBB839_246:
	s_or_b64 exec, exec, s[8:9]
.LBB839_247:
	s_or_b64 exec, exec, s[2:3]
	s_mov_b32 s2, 0xffffff
	v_cmp_lt_u32_e32 vcc, s2, v31
	v_mov_b32_e32 v51, 0
	v_mov_b32_e32 v55, 0
	s_and_saveexec_b64 s[2:3], vcc
	s_cbranch_execz .LBB839_253
; %bb.248:
	v_lshrrev_b32_e32 v30, 24, v31
	s_movk_i32 s8, 0x80
	v_cmp_ne_u32_e32 vcc, s8, v30
	v_mov_b32_e32 v55, 0xffff8000
	s_and_saveexec_b64 s[8:9], vcc
	s_cbranch_execz .LBB839_252
; %bb.249:
	v_bfe_u32 v31, v31, 24, 7
	s_movk_i32 s10, 0x7f
	v_cmp_ne_u32_e32 vcc, s10, v31
	v_mov_b32_e32 v55, 0x7f80
	s_and_saveexec_b64 s[10:11], vcc
	s_cbranch_execz .LBB839_251
; %bb.250:
	v_and_b32_e32 v55, 7, v30
	v_ffbh_u32_e32 v56, v55
	v_min_u32_e32 v59, 32, v56
	v_subrev_u32_e32 v56, 28, v59
	v_lshlrev_b64 v[56:57], v56, v[30:31]
	v_lshrrev_b32_e32 v58, 3, v31
	v_sub_u32_e32 v57, 29, v59
	v_and_b32_e32 v56, 7, v56
	v_cmp_gt_u32_e32 vcc, 8, v31
	v_cndmask_b32_e32 v31, v58, v57, vcc
	v_cndmask_b32_e32 v55, v55, v56, vcc
	v_lshlrev_b32_e32 v30, 24, v30
	v_bfrev_b32_e32 v56, 60
	v_lshlrev_b32_e32 v55, 20, v55
	v_and_b32_e32 v30, 0x80000000, v30
	v_lshl_add_u32 v31, v31, 23, v56
	v_or3_b32 v30, v30, v31, v55
	v_lshrrev_b32_e32 v55, 16, v30
.LBB839_251:
	s_or_b64 exec, exec, s[10:11]
.LBB839_252:
	s_or_b64 exec, exec, s[8:9]
.LBB839_253:
	s_or_b64 exec, exec, s[2:3]
	s_mov_b32 s2, 0x5040100
	v_perm_b32 v31, v53, v44, s2
	v_perm_b32 v30, v43, v52, s2
	v_cmp_ne_u16_sdwa s[8:9], v32, v51 src0_sel:BYTE_0 src1_sel:DWORD
	s_nop 0
	v_mfma_f32_16x16x16bf16_1k v[56:59], v[30:31], v[26:27], 0
	v_perm_b32 v31, v55, v54, s2
	v_perm_b32 v30, v42, v45, s2
	s_nop 1
	v_mfma_f32_16x16x16bf16_1k v[42:45], v[30:31], v[28:29], v[56:59]
	s_and_saveexec_b64 s[2:3], s[8:9]
	s_cbranch_execz .LBB839_259
; %bb.254:
	s_movk_i32 s8, 0x80
	v_cmp_ne_u16_sdwa s[10:11], v32, s8 src0_sel:BYTE_0 src1_sel:DWORD
	v_mov_b32_e32 v51, 0xffff8000
	s_and_saveexec_b64 s[8:9], s[10:11]
	s_cbranch_execz .LBB839_258
; %bb.255:
	s_movk_i32 s10, 0x7f
	v_and_b32_e32 v30, 0x7f, v32
	v_cmp_ne_u32_e32 vcc, s10, v30
	v_mov_b32_e32 v51, 0x7f80
	s_and_saveexec_b64 s[10:11], vcc
	s_cbranch_execz .LBB839_257
; %bb.256:
	v_and_b32_e32 v31, 7, v32
	v_ffbh_u32_e32 v52, v31
	v_min_u32_e32 v54, 32, v52
	v_subrev_u32_e32 v52, 28, v54
	v_lshlrev_b64 v[52:53], v52, v[32:33]
	v_lshrrev_b32_e32 v51, 3, v30
	v_sub_u32_e32 v53, 29, v54
	v_and_b32_e32 v52, 7, v52
	v_cmp_gt_u32_e32 vcc, 8, v30
	v_cndmask_b32_e32 v30, v51, v53, vcc
	v_cndmask_b32_e32 v31, v31, v52, vcc
	v_lshlrev_b32_e32 v51, 24, v32
	v_bfrev_b32_e32 v52, 60
	v_lshlrev_b32_e32 v31, 20, v31
	v_and_b32_e32 v51, 0x80000000, v51
	v_lshl_add_u32 v30, v30, 23, v52
	v_or3_b32 v30, v51, v30, v31
	v_lshrrev_b32_e32 v51, 16, v30
.LBB839_257:
	s_or_b64 exec, exec, s[10:11]
.LBB839_258:
	s_or_b64 exec, exec, s[8:9]
.LBB839_259:
	s_or_b64 exec, exec, s[2:3]
	v_lshrrev_b16_e32 v30, 8, v32
	v_cmp_ne_u16_e32 vcc, 0, v30
	v_mov_b32_e32 v53, 0
	v_mov_b32_e32 v31, 0
	s_and_saveexec_b64 s[2:3], vcc
	s_cbranch_execz .LBB839_265
; %bb.260:
	s_movk_i32 s8, 0x80
	v_cmp_ne_u16_e32 vcc, s8, v30
	v_mov_b32_e32 v31, 0xffff8000
	s_and_saveexec_b64 s[8:9], vcc
	s_cbranch_execz .LBB839_264
; %bb.261:
	s_movk_i32 s10, 0x7f
	v_and_b32_e32 v52, 0x7f, v30
	v_cmp_ne_u32_e32 vcc, s10, v52
	v_mov_b32_e32 v31, 0x7f80
	s_and_saveexec_b64 s[10:11], vcc
	s_cbranch_execz .LBB839_263
; %bb.262:
	v_and_b32_e32 v54, 7, v30
	v_ffbh_u32_e32 v31, v54
	v_min_u32_e32 v56, 32, v31
	v_subrev_u32_e32 v31, 28, v56
	v_lshlrev_b64 v[30:31], v31, v[30:31]
	v_lshrrev_b32_e32 v55, 3, v52
	v_sub_u32_e32 v31, 29, v56
	v_and_b32_e32 v30, 7, v30
	v_cmp_gt_u32_e32 vcc, 8, v52
	v_cndmask_b32_e32 v31, v55, v31, vcc
	v_cndmask_b32_e32 v30, v54, v30, vcc
	v_lshlrev_b32_e32 v52, 16, v32
	v_bfrev_b32_e32 v54, 60
	v_lshlrev_b32_e32 v30, 20, v30
	v_and_b32_e32 v52, 0x80000000, v52
	v_lshl_add_u32 v31, v31, 23, v54
	v_or3_b32 v30, v52, v31, v30
	v_lshrrev_b32_e32 v31, 16, v30
.LBB839_263:
	s_or_b64 exec, exec, s[10:11]
.LBB839_264:
	s_or_b64 exec, exec, s[8:9]
.LBB839_265:
	s_or_b64 exec, exec, s[2:3]
	s_movk_i32 s2, 0xff
	v_and_b32_sdwa v52, v32, s2 dst_sel:DWORD dst_unused:UNUSED_PAD src0_sel:WORD_1 src1_sel:DWORD
	v_lshrrev_b32_e32 v30, 16, v32
	v_cmp_ne_u16_e32 vcc, 0, v52
	s_and_saveexec_b64 s[2:3], vcc
	s_cbranch_execz .LBB839_271
; %bb.266:
	s_movk_i32 s8, 0x80
	v_cmp_ne_u16_e32 vcc, s8, v52
	v_mov_b32_e32 v53, 0xffff8000
	s_and_saveexec_b64 s[8:9], vcc
	s_cbranch_execz .LBB839_270
; %bb.267:
	v_bfe_u32 v52, v32, 16, 7
	s_movk_i32 s10, 0x7f
	v_cmp_ne_u32_e32 vcc, s10, v52
	v_mov_b32_e32 v53, 0x7f80
	s_and_saveexec_b64 s[10:11], vcc
	s_cbranch_execz .LBB839_269
; %bb.268:
	v_and_b32_e32 v53, 7, v30
	v_ffbh_u32_e32 v54, v53
	v_min_u32_e32 v57, 32, v54
	v_subrev_u32_e32 v54, 28, v57
	v_lshlrev_b64 v[54:55], v54, v[30:31]
	v_and_b32_e32 v54, 7, v54
	v_cmp_gt_u32_e32 vcc, 8, v52
	v_lshrrev_b32_e32 v56, 3, v52
	v_sub_u32_e32 v30, 29, v57
	v_cndmask_b32_e32 v52, v53, v54, vcc
	v_mov_b32_e32 v53, 24
	v_cndmask_b32_e32 v30, v56, v30, vcc
	v_lshlrev_b32_sdwa v53, v53, v32 dst_sel:DWORD dst_unused:UNUSED_PAD src0_sel:DWORD src1_sel:WORD_1
	v_bfrev_b32_e32 v54, 60
	v_lshlrev_b32_e32 v52, 20, v52
	v_and_b32_e32 v53, 0x80000000, v53
	v_lshl_add_u32 v30, v30, 23, v54
	v_or3_b32 v30, v53, v30, v52
	v_lshrrev_b32_e32 v53, 16, v30
.LBB839_269:
	s_or_b64 exec, exec, s[10:11]
.LBB839_270:
	s_or_b64 exec, exec, s[8:9]
.LBB839_271:
	s_or_b64 exec, exec, s[2:3]
	s_mov_b32 s2, 0xffffff
	v_cmp_lt_u32_e32 vcc, s2, v32
	v_mov_b32_e32 v54, 0
	v_mov_b32_e32 v55, 0
	s_and_saveexec_b64 s[2:3], vcc
	s_cbranch_execz .LBB839_277
; %bb.272:
	v_lshrrev_b32_e32 v30, 24, v32
	s_movk_i32 s8, 0x80
	v_cmp_ne_u32_e32 vcc, s8, v30
	v_mov_b32_e32 v55, 0xffff8000
	s_and_saveexec_b64 s[8:9], vcc
	s_cbranch_execz .LBB839_276
; %bb.273:
	v_bfe_u32 v32, v32, 24, 7
	s_movk_i32 s10, 0x7f
	v_cmp_ne_u32_e32 vcc, s10, v32
	v_mov_b32_e32 v55, 0x7f80
	s_and_saveexec_b64 s[10:11], vcc
	s_cbranch_execz .LBB839_275
; %bb.274:
	v_and_b32_e32 v52, 7, v30
	v_ffbh_u32_e32 v56, v52
	v_min_u32_e32 v58, 32, v56
	v_subrev_u32_e32 v56, 28, v58
	v_lshlrev_b64 v[56:57], v56, v[30:31]
	v_lshrrev_b32_e32 v55, 3, v32
	v_sub_u32_e32 v57, 29, v58
	v_and_b32_e32 v56, 7, v56
	v_cmp_gt_u32_e32 vcc, 8, v32
	v_cndmask_b32_e32 v32, v55, v57, vcc
	v_cndmask_b32_e32 v52, v52, v56, vcc
	v_lshlrev_b32_e32 v30, 24, v30
	v_bfrev_b32_e32 v55, 60
	v_lshlrev_b32_e32 v52, 20, v52
	v_and_b32_e32 v30, 0x80000000, v30
	v_lshl_add_u32 v32, v32, 23, v55
	v_or3_b32 v30, v30, v32, v52
	v_lshrrev_b32_e32 v55, 16, v30
.LBB839_275:
	s_or_b64 exec, exec, s[10:11]
.LBB839_276:
	s_or_b64 exec, exec, s[8:9]
.LBB839_277:
	s_or_b64 exec, exec, s[2:3]
	v_cmp_ne_u16_sdwa s[8:9], v33, v54 src0_sel:BYTE_0 src1_sel:DWORD
	s_and_saveexec_b64 s[2:3], s[8:9]
	s_cbranch_execz .LBB839_283
; %bb.278:
	s_movk_i32 s8, 0x80
	v_cmp_ne_u16_sdwa s[10:11], v33, s8 src0_sel:BYTE_0 src1_sel:DWORD
	v_mov_b32_e32 v54, 0xffff8000
	s_and_saveexec_b64 s[8:9], s[10:11]
	s_cbranch_execz .LBB839_282
; %bb.279:
	s_movk_i32 s10, 0x7f
	v_and_b32_e32 v30, 0x7f, v33
	v_cmp_ne_u32_e32 vcc, s10, v30
	v_mov_b32_e32 v54, 0x7f80
	s_and_saveexec_b64 s[10:11], vcc
	s_cbranch_execz .LBB839_281
; %bb.280:
	v_and_b32_e32 v52, 7, v33
	v_ffbh_u32_e32 v56, v52
	v_min_u32_e32 v58, 32, v56
	v_mov_b32_e32 v32, v33
	v_subrev_u32_e32 v56, 28, v58
	v_lshlrev_b64 v[56:57], v56, v[32:33]
	v_lshrrev_b32_e32 v54, 3, v30
	v_sub_u32_e32 v32, 29, v58
	v_and_b32_e32 v56, 7, v56
	v_cmp_gt_u32_e32 vcc, 8, v30
	v_cndmask_b32_e32 v30, v54, v32, vcc
	v_cndmask_b32_e32 v32, v52, v56, vcc
	v_lshlrev_b32_e32 v52, 24, v33
	v_bfrev_b32_e32 v54, 60
	v_lshlrev_b32_e32 v32, 20, v32
	v_and_b32_e32 v52, 0x80000000, v52
	v_lshl_add_u32 v30, v30, 23, v54
	v_or3_b32 v30, v52, v30, v32
	v_lshrrev_b32_e32 v54, 16, v30
.LBB839_281:
	s_or_b64 exec, exec, s[10:11]
.LBB839_282:
	s_or_b64 exec, exec, s[8:9]
.LBB839_283:
	s_or_b64 exec, exec, s[2:3]
	v_lshrrev_b16_e32 v30, 8, v33
	v_cmp_ne_u16_e32 vcc, 0, v30
	v_mov_b32_e32 v56, 0
	v_mov_b32_e32 v32, 0
	s_and_saveexec_b64 s[2:3], vcc
	s_cbranch_execz .LBB839_289
; %bb.284:
	s_movk_i32 s8, 0x80
	v_cmp_ne_u16_e32 vcc, s8, v30
	v_mov_b32_e32 v32, 0xffff8000
	s_and_saveexec_b64 s[8:9], vcc
	s_cbranch_execz .LBB839_288
; %bb.285:
	s_movk_i32 s10, 0x7f
	v_and_b32_e32 v52, 0x7f, v30
	v_cmp_ne_u32_e32 vcc, s10, v52
	v_mov_b32_e32 v32, 0x7f80
	s_and_saveexec_b64 s[10:11], vcc
	s_cbranch_execz .LBB839_287
; %bb.286:
	v_and_b32_e32 v32, 7, v30
	v_ffbh_u32_e32 v58, v32
	v_min_u32_e32 v60, 32, v58
	v_subrev_u32_e32 v58, 28, v60
	v_lshlrev_b64 v[58:59], v58, v[30:31]
	v_lshrrev_b32_e32 v57, 3, v52
	v_sub_u32_e32 v30, 29, v60
	v_and_b32_e32 v58, 7, v58
	v_cmp_gt_u32_e32 vcc, 8, v52
	v_cndmask_b32_e32 v30, v57, v30, vcc
	v_cndmask_b32_e32 v32, v32, v58, vcc
	v_lshlrev_b32_e32 v52, 16, v33
	v_bfrev_b32_e32 v57, 60
	v_lshlrev_b32_e32 v32, 20, v32
	v_and_b32_e32 v52, 0x80000000, v52
	v_lshl_add_u32 v30, v30, 23, v57
	v_or3_b32 v30, v52, v30, v32
	v_lshrrev_b32_e32 v32, 16, v30
.LBB839_287:
	s_or_b64 exec, exec, s[10:11]
.LBB839_288:
	s_or_b64 exec, exec, s[8:9]
.LBB839_289:
	s_or_b64 exec, exec, s[2:3]
	s_movk_i32 s2, 0xff
	v_and_b32_sdwa v52, v33, s2 dst_sel:DWORD dst_unused:UNUSED_PAD src0_sel:WORD_1 src1_sel:DWORD
	v_lshrrev_b32_e32 v30, 16, v33
	v_cmp_ne_u16_e32 vcc, 0, v52
	s_and_saveexec_b64 s[2:3], vcc
	s_cbranch_execz .LBB839_295
; %bb.290:
	s_movk_i32 s8, 0x80
	v_cmp_ne_u16_e32 vcc, s8, v52
	v_mov_b32_e32 v56, 0xffff8000
	s_and_saveexec_b64 s[8:9], vcc
	s_cbranch_execz .LBB839_294
; %bb.291:
	v_bfe_u32 v52, v33, 16, 7
	s_movk_i32 s10, 0x7f
	v_cmp_ne_u32_e32 vcc, s10, v52
	v_mov_b32_e32 v56, 0x7f80
	s_and_saveexec_b64 s[10:11], vcc
	s_cbranch_execz .LBB839_293
; %bb.292:
	v_and_b32_e32 v58, 7, v30
	v_ffbh_u32_e32 v56, v58
	v_min_u32_e32 v60, 32, v56
	v_subrev_u32_e32 v56, 28, v60
	v_lshlrev_b64 v[56:57], v56, v[30:31]
	v_and_b32_e32 v56, 7, v56
	v_cmp_gt_u32_e32 vcc, 8, v52
	v_lshrrev_b32_e32 v59, 3, v52
	v_sub_u32_e32 v30, 29, v60
	v_cndmask_b32_e32 v52, v58, v56, vcc
	v_mov_b32_e32 v56, 24
	v_cndmask_b32_e32 v30, v59, v30, vcc
	v_lshlrev_b32_sdwa v56, v56, v33 dst_sel:DWORD dst_unused:UNUSED_PAD src0_sel:DWORD src1_sel:WORD_1
	v_bfrev_b32_e32 v57, 60
	v_lshlrev_b32_e32 v52, 20, v52
	v_and_b32_e32 v56, 0x80000000, v56
	v_lshl_add_u32 v30, v30, 23, v57
	v_or3_b32 v30, v56, v30, v52
	v_lshrrev_b32_e32 v56, 16, v30
.LBB839_293:
	s_or_b64 exec, exec, s[10:11]
.LBB839_294:
	s_or_b64 exec, exec, s[8:9]
.LBB839_295:
	s_or_b64 exec, exec, s[2:3]
	s_mov_b32 s2, 0xffffff
	v_cmp_lt_u32_e32 vcc, s2, v33
	v_mov_b32_e32 v52, 0
	v_mov_b32_e32 v57, 0
	s_and_saveexec_b64 s[2:3], vcc
	s_cbranch_execz .LBB839_301
; %bb.296:
	v_lshrrev_b32_e32 v30, 24, v33
	s_movk_i32 s8, 0x80
	v_cmp_ne_u32_e32 vcc, s8, v30
	v_mov_b32_e32 v57, 0xffff8000
	s_and_saveexec_b64 s[8:9], vcc
	s_cbranch_execz .LBB839_300
; %bb.297:
	v_bfe_u32 v33, v33, 24, 7
	s_movk_i32 s10, 0x7f
	v_cmp_ne_u32_e32 vcc, s10, v33
	v_mov_b32_e32 v57, 0x7f80
	s_and_saveexec_b64 s[10:11], vcc
	s_cbranch_execz .LBB839_299
; %bb.298:
	v_and_b32_e32 v57, 7, v30
	v_ffbh_u32_e32 v58, v57
	v_min_u32_e32 v61, 32, v58
	v_subrev_u32_e32 v58, 28, v61
	v_lshlrev_b64 v[58:59], v58, v[30:31]
	v_lshrrev_b32_e32 v60, 3, v33
	v_sub_u32_e32 v59, 29, v61
	v_and_b32_e32 v58, 7, v58
	v_cmp_gt_u32_e32 vcc, 8, v33
	v_cndmask_b32_e32 v33, v60, v59, vcc
	v_cndmask_b32_e32 v57, v57, v58, vcc
	v_lshlrev_b32_e32 v30, 24, v30
	v_bfrev_b32_e32 v58, 60
	v_lshlrev_b32_e32 v57, 20, v57
	v_and_b32_e32 v30, 0x80000000, v30
	v_lshl_add_u32 v33, v33, 23, v58
	v_or3_b32 v30, v30, v33, v57
	v_lshrrev_b32_e32 v57, 16, v30
.LBB839_299:
	s_or_b64 exec, exec, s[10:11]
.LBB839_300:
	s_or_b64 exec, exec, s[8:9]
.LBB839_301:
	s_or_b64 exec, exec, s[2:3]
	s_mov_b32 s2, 0x5040100
	v_perm_b32 v59, v55, v53, s2
	v_perm_b32 v58, v31, v51, s2
	;; [unrolled: 1-line block ×4, first 2 shown]
	v_cmp_ne_u16_sdwa s[8:9], v22, v52 src0_sel:BYTE_0 src1_sel:DWORD
	v_mfma_f32_16x16x16bf16_1k v[42:45], v[58:59], v[18:19], v[42:45]
	v_mfma_f32_16x16x16bf16_1k v[30:33], v[30:31], v[20:21], v[42:45]
	s_and_saveexec_b64 s[2:3], s[8:9]
	s_cbranch_execz .LBB839_307
; %bb.302:
	s_movk_i32 s8, 0x80
	v_cmp_ne_u16_sdwa s[10:11], v22, s8 src0_sel:BYTE_0 src1_sel:DWORD
	v_mov_b32_e32 v52, 0xffff8000
	s_and_saveexec_b64 s[8:9], s[10:11]
	s_cbranch_execz .LBB839_306
; %bb.303:
	s_movk_i32 s10, 0x7f
	s_nop 1
	v_and_b32_e32 v42, 0x7f, v22
	v_cmp_ne_u32_e32 vcc, s10, v42
	v_mov_b32_e32 v52, 0x7f80
	s_and_saveexec_b64 s[10:11], vcc
	s_cbranch_execz .LBB839_305
; %bb.304:
	v_and_b32_e32 v43, 7, v22
	v_ffbh_u32_e32 v44, v43
	v_min_u32_e32 v52, 32, v44
	v_subrev_u32_e32 v44, 28, v52
	v_lshlrev_b64 v[44:45], v44, v[22:23]
	v_lshrrev_b32_e32 v51, 3, v42
	v_sub_u32_e32 v45, 29, v52
	v_and_b32_e32 v44, 7, v44
	v_cmp_gt_u32_e32 vcc, 8, v42
	v_cndmask_b32_e32 v42, v51, v45, vcc
	v_cndmask_b32_e32 v43, v43, v44, vcc
	v_lshlrev_b32_e32 v44, 24, v22
	v_bfrev_b32_e32 v45, 60
	v_lshlrev_b32_e32 v43, 20, v43
	v_and_b32_e32 v44, 0x80000000, v44
	v_lshl_add_u32 v42, v42, 23, v45
	v_or3_b32 v42, v44, v42, v43
	v_lshrrev_b32_e32 v52, 16, v42
.LBB839_305:
	s_or_b64 exec, exec, s[10:11]
.LBB839_306:
	s_or_b64 exec, exec, s[8:9]
.LBB839_307:
	s_or_b64 exec, exec, s[2:3]
	s_nop 6
	v_lshrrev_b16_e32 v42, 8, v22
	v_cmp_ne_u16_e32 vcc, 0, v42
	v_mov_b32_e32 v44, 0
	v_mov_b32_e32 v43, 0
	s_and_saveexec_b64 s[2:3], vcc
	s_cbranch_execz .LBB839_313
; %bb.308:
	s_movk_i32 s8, 0x80
	v_cmp_ne_u16_e32 vcc, s8, v42
	v_mov_b32_e32 v43, 0xffff8000
	s_and_saveexec_b64 s[8:9], vcc
	s_cbranch_execz .LBB839_312
; %bb.309:
	s_movk_i32 s10, 0x7f
	v_and_b32_e32 v45, 0x7f, v42
	v_cmp_ne_u32_e32 vcc, s10, v45
	v_mov_b32_e32 v43, 0x7f80
	s_and_saveexec_b64 s[10:11], vcc
	s_cbranch_execz .LBB839_311
; %bb.310:
	v_and_b32_e32 v51, 7, v42
	v_ffbh_u32_e32 v43, v51
	v_min_u32_e32 v54, 32, v43
	v_subrev_u32_e32 v43, 28, v54
	v_lshlrev_b64 v[42:43], v43, v[42:43]
	v_lshrrev_b32_e32 v53, 3, v45
	v_sub_u32_e32 v43, 29, v54
	v_and_b32_e32 v42, 7, v42
	v_cmp_gt_u32_e32 vcc, 8, v45
	v_cndmask_b32_e32 v43, v53, v43, vcc
	v_cndmask_b32_e32 v42, v51, v42, vcc
	v_lshlrev_b32_e32 v45, 16, v22
	v_bfrev_b32_e32 v51, 60
	v_lshlrev_b32_e32 v42, 20, v42
	v_and_b32_e32 v45, 0x80000000, v45
	v_lshl_add_u32 v43, v43, 23, v51
	v_or3_b32 v42, v45, v43, v42
	v_lshrrev_b32_e32 v43, 16, v42
.LBB839_311:
	s_or_b64 exec, exec, s[10:11]
.LBB839_312:
	s_or_b64 exec, exec, s[8:9]
.LBB839_313:
	s_or_b64 exec, exec, s[2:3]
	s_movk_i32 s2, 0xff
	v_and_b32_sdwa v45, v22, s2 dst_sel:DWORD dst_unused:UNUSED_PAD src0_sel:WORD_1 src1_sel:DWORD
	v_lshrrev_b32_e32 v42, 16, v22
	v_cmp_ne_u16_e32 vcc, 0, v45
	s_and_saveexec_b64 s[2:3], vcc
	s_cbranch_execz .LBB839_319
; %bb.314:
	s_movk_i32 s8, 0x80
	v_cmp_ne_u16_e32 vcc, s8, v45
	v_mov_b32_e32 v44, 0xffff8000
	s_and_saveexec_b64 s[8:9], vcc
	s_cbranch_execz .LBB839_318
; %bb.315:
	v_bfe_u32 v45, v22, 16, 7
	s_movk_i32 s10, 0x7f
	v_cmp_ne_u32_e32 vcc, s10, v45
	v_mov_b32_e32 v44, 0x7f80
	s_and_saveexec_b64 s[10:11], vcc
	s_cbranch_execz .LBB839_317
; %bb.316:
	v_and_b32_e32 v44, 7, v42
	v_ffbh_u32_e32 v53, v44
	v_min_u32_e32 v53, 32, v53
	v_subrev_u32_e32 v54, 28, v53
	v_lshlrev_b64 v[54:55], v54, v[42:43]
	v_lshrrev_b32_e32 v51, 3, v45
	v_sub_u32_e32 v42, 29, v53
	v_and_b32_e32 v53, 7, v54
	v_cmp_gt_u32_e32 vcc, 8, v45
	v_mov_b32_e32 v45, 24
	v_cndmask_b32_e32 v42, v51, v42, vcc
	v_cndmask_b32_e32 v44, v44, v53, vcc
	v_lshlrev_b32_sdwa v45, v45, v22 dst_sel:DWORD dst_unused:UNUSED_PAD src0_sel:DWORD src1_sel:WORD_1
	v_bfrev_b32_e32 v51, 60
	v_lshlrev_b32_e32 v44, 20, v44
	v_and_b32_e32 v45, 0x80000000, v45
	v_lshl_add_u32 v42, v42, 23, v51
	v_or3_b32 v42, v45, v42, v44
	v_lshrrev_b32_e32 v44, 16, v42
.LBB839_317:
	s_or_b64 exec, exec, s[10:11]
.LBB839_318:
	s_or_b64 exec, exec, s[8:9]
.LBB839_319:
	s_or_b64 exec, exec, s[2:3]
	s_mov_b32 s2, 0xffffff
	v_cmp_lt_u32_e32 vcc, s2, v22
	v_mov_b32_e32 v45, 0
	v_mov_b32_e32 v51, 0
	s_and_saveexec_b64 s[2:3], vcc
	s_cbranch_execz .LBB839_325
; %bb.320:
	v_lshrrev_b32_e32 v42, 24, v22
	s_movk_i32 s8, 0x80
	v_cmp_ne_u32_e32 vcc, s8, v42
	v_mov_b32_e32 v51, 0xffff8000
	s_and_saveexec_b64 s[8:9], vcc
	s_cbranch_execz .LBB839_324
; %bb.321:
	v_bfe_u32 v22, v22, 24, 7
	s_movk_i32 s10, 0x7f
	v_cmp_ne_u32_e32 vcc, s10, v22
	v_mov_b32_e32 v51, 0x7f80
	s_and_saveexec_b64 s[10:11], vcc
	s_cbranch_execz .LBB839_323
; %bb.322:
	v_and_b32_e32 v51, 7, v42
	v_ffbh_u32_e32 v54, v51
	v_min_u32_e32 v56, 32, v54
	v_subrev_u32_e32 v54, 28, v56
	v_lshlrev_b64 v[54:55], v54, v[42:43]
	v_lshrrev_b32_e32 v53, 3, v22
	v_sub_u32_e32 v55, 29, v56
	v_and_b32_e32 v54, 7, v54
	v_cmp_gt_u32_e32 vcc, 8, v22
	v_cndmask_b32_e32 v22, v53, v55, vcc
	v_cndmask_b32_e32 v51, v51, v54, vcc
	v_lshlrev_b32_e32 v42, 24, v42
	v_bfrev_b32_e32 v53, 60
	v_lshlrev_b32_e32 v51, 20, v51
	v_and_b32_e32 v42, 0x80000000, v42
	v_lshl_add_u32 v22, v22, 23, v53
	v_or3_b32 v22, v42, v22, v51
	v_lshrrev_b32_e32 v51, 16, v22
.LBB839_323:
	s_or_b64 exec, exec, s[10:11]
.LBB839_324:
	s_or_b64 exec, exec, s[8:9]
.LBB839_325:
	s_or_b64 exec, exec, s[2:3]
	v_cmp_ne_u16_sdwa s[8:9], v23, v45 src0_sel:BYTE_0 src1_sel:DWORD
	s_and_saveexec_b64 s[2:3], s[8:9]
	s_cbranch_execz .LBB839_331
; %bb.326:
	s_movk_i32 s8, 0x80
	v_cmp_ne_u16_sdwa s[10:11], v23, s8 src0_sel:BYTE_0 src1_sel:DWORD
	v_mov_b32_e32 v45, 0xffff8000
	s_and_saveexec_b64 s[8:9], s[10:11]
	s_cbranch_execz .LBB839_330
; %bb.327:
	s_movk_i32 s10, 0x7f
	v_and_b32_e32 v22, 0x7f, v23
	v_cmp_ne_u32_e32 vcc, s10, v22
	v_mov_b32_e32 v45, 0x7f80
	s_and_saveexec_b64 s[10:11], vcc
	s_cbranch_execz .LBB839_329
; %bb.328:
	v_and_b32_e32 v45, 7, v23
	v_ffbh_u32_e32 v54, v45
	v_min_u32_e32 v56, 32, v54
	v_mov_b32_e32 v42, v23
	v_subrev_u32_e32 v54, 28, v56
	v_lshlrev_b64 v[54:55], v54, v[42:43]
	v_lshrrev_b32_e32 v53, 3, v22
	v_sub_u32_e32 v42, 29, v56
	v_and_b32_e32 v54, 7, v54
	v_cmp_gt_u32_e32 vcc, 8, v22
	v_cndmask_b32_e32 v22, v53, v42, vcc
	v_cndmask_b32_e32 v42, v45, v54, vcc
	v_lshlrev_b32_e32 v45, 24, v23
	v_bfrev_b32_e32 v53, 60
	v_lshlrev_b32_e32 v42, 20, v42
	v_and_b32_e32 v45, 0x80000000, v45
	v_lshl_add_u32 v22, v22, 23, v53
	v_or3_b32 v22, v45, v22, v42
	v_lshrrev_b32_e32 v45, 16, v22
.LBB839_329:
	s_or_b64 exec, exec, s[10:11]
.LBB839_330:
	s_or_b64 exec, exec, s[8:9]
.LBB839_331:
	s_or_b64 exec, exec, s[2:3]
	v_lshrrev_b16_e32 v22, 8, v23
	v_cmp_ne_u16_e32 vcc, 0, v22
	v_mov_b32_e32 v54, 0
	v_mov_b32_e32 v53, 0
	s_and_saveexec_b64 s[2:3], vcc
	s_cbranch_execz .LBB839_337
; %bb.332:
	s_movk_i32 s8, 0x80
	v_cmp_ne_u16_e32 vcc, s8, v22
	v_mov_b32_e32 v53, 0xffff8000
	s_and_saveexec_b64 s[8:9], vcc
	s_cbranch_execz .LBB839_336
; %bb.333:
	s_movk_i32 s10, 0x7f
	v_and_b32_e32 v42, 0x7f, v22
	v_cmp_ne_u32_e32 vcc, s10, v42
	v_mov_b32_e32 v53, 0x7f80
	s_and_saveexec_b64 s[10:11], vcc
	s_cbranch_execz .LBB839_335
; %bb.334:
	v_and_b32_e32 v53, 7, v22
	v_ffbh_u32_e32 v56, v53
	v_min_u32_e32 v58, 32, v56
	v_subrev_u32_e32 v56, 28, v58
	v_lshlrev_b64 v[56:57], v56, v[22:23]
	v_lshrrev_b32_e32 v55, 3, v42
	v_sub_u32_e32 v22, 29, v58
	v_and_b32_e32 v56, 7, v56
	v_cmp_gt_u32_e32 vcc, 8, v42
	v_cndmask_b32_e32 v22, v55, v22, vcc
	v_cndmask_b32_e32 v42, v53, v56, vcc
	v_lshlrev_b32_e32 v53, 16, v23
	v_bfrev_b32_e32 v55, 60
	v_lshlrev_b32_e32 v42, 20, v42
	v_and_b32_e32 v53, 0x80000000, v53
	v_lshl_add_u32 v22, v22, 23, v55
	v_or3_b32 v22, v53, v22, v42
	v_lshrrev_b32_e32 v53, 16, v22
.LBB839_335:
	s_or_b64 exec, exec, s[10:11]
.LBB839_336:
	s_or_b64 exec, exec, s[8:9]
.LBB839_337:
	s_or_b64 exec, exec, s[2:3]
	s_movk_i32 s2, 0xff
	v_and_b32_sdwa v42, v23, s2 dst_sel:DWORD dst_unused:UNUSED_PAD src0_sel:WORD_1 src1_sel:DWORD
	v_lshrrev_b32_e32 v22, 16, v23
	v_cmp_ne_u16_e32 vcc, 0, v42
	s_and_saveexec_b64 s[2:3], vcc
	s_cbranch_execz .LBB839_343
; %bb.338:
	s_movk_i32 s8, 0x80
	v_cmp_ne_u16_e32 vcc, s8, v42
	v_mov_b32_e32 v54, 0xffff8000
	s_and_saveexec_b64 s[8:9], vcc
	s_cbranch_execz .LBB839_342
; %bb.339:
	v_bfe_u32 v42, v23, 16, 7
	s_movk_i32 s10, 0x7f
	v_cmp_ne_u32_e32 vcc, s10, v42
	v_mov_b32_e32 v54, 0x7f80
	s_and_saveexec_b64 s[10:11], vcc
	s_cbranch_execz .LBB839_341
; %bb.340:
	v_and_b32_e32 v56, 7, v22
	v_ffbh_u32_e32 v54, v56
	v_min_u32_e32 v58, 32, v54
	v_subrev_u32_e32 v54, 28, v58
	v_lshlrev_b64 v[54:55], v54, v[22:23]
	v_and_b32_e32 v54, 7, v54
	v_cmp_gt_u32_e32 vcc, 8, v42
	v_lshrrev_b32_e32 v57, 3, v42
	v_sub_u32_e32 v22, 29, v58
	v_cndmask_b32_e32 v42, v56, v54, vcc
	v_mov_b32_e32 v54, 24
	v_cndmask_b32_e32 v22, v57, v22, vcc
	v_lshlrev_b32_sdwa v54, v54, v23 dst_sel:DWORD dst_unused:UNUSED_PAD src0_sel:DWORD src1_sel:WORD_1
	v_bfrev_b32_e32 v55, 60
	v_lshlrev_b32_e32 v42, 20, v42
	v_and_b32_e32 v54, 0x80000000, v54
	v_lshl_add_u32 v22, v22, 23, v55
	v_or3_b32 v22, v54, v22, v42
	v_lshrrev_b32_e32 v54, 16, v22
.LBB839_341:
	s_or_b64 exec, exec, s[10:11]
.LBB839_342:
	s_or_b64 exec, exec, s[8:9]
.LBB839_343:
	s_or_b64 exec, exec, s[2:3]
	s_mov_b32 s2, 0xffffff
	v_cmp_lt_u32_e32 vcc, s2, v23
	v_mov_b32_e32 v42, 0
	v_mov_b32_e32 v55, 0
	s_and_saveexec_b64 s[2:3], vcc
	s_cbranch_execz .LBB839_349
; %bb.344:
	v_lshrrev_b32_e32 v22, 24, v23
	s_movk_i32 s8, 0x80
	v_cmp_ne_u32_e32 vcc, s8, v22
	v_mov_b32_e32 v55, 0xffff8000
	s_and_saveexec_b64 s[8:9], vcc
	s_cbranch_execz .LBB839_348
; %bb.345:
	v_bfe_u32 v23, v23, 24, 7
	s_movk_i32 s10, 0x7f
	v_cmp_ne_u32_e32 vcc, s10, v23
	v_mov_b32_e32 v55, 0x7f80
	s_and_saveexec_b64 s[10:11], vcc
	s_cbranch_execz .LBB839_347
; %bb.346:
	v_and_b32_e32 v55, 7, v22
	v_ffbh_u32_e32 v56, v55
	v_min_u32_e32 v59, 32, v56
	v_subrev_u32_e32 v56, 28, v59
	v_lshlrev_b64 v[56:57], v56, v[22:23]
	v_lshrrev_b32_e32 v58, 3, v23
	v_sub_u32_e32 v57, 29, v59
	v_and_b32_e32 v56, 7, v56
	v_cmp_gt_u32_e32 vcc, 8, v23
	v_cndmask_b32_e32 v23, v58, v57, vcc
	v_cndmask_b32_e32 v55, v55, v56, vcc
	v_lshlrev_b32_e32 v22, 24, v22
	v_bfrev_b32_e32 v56, 60
	v_lshlrev_b32_e32 v55, 20, v55
	v_and_b32_e32 v22, 0x80000000, v22
	v_lshl_add_u32 v23, v23, 23, v56
	v_or3_b32 v22, v22, v23, v55
	v_lshrrev_b32_e32 v55, 16, v22
.LBB839_347:
	s_or_b64 exec, exec, s[10:11]
.LBB839_348:
	s_or_b64 exec, exec, s[8:9]
.LBB839_349:
	s_or_b64 exec, exec, s[2:3]
	s_mov_b32 s2, 0x5040100
	v_perm_b32 v23, v51, v44, s2
	v_perm_b32 v22, v43, v52, s2
	v_cmp_ne_u16_sdwa s[8:9], v24, v42 src0_sel:BYTE_0 src1_sel:DWORD
	s_nop 0
	v_mfma_f32_16x16x16bf16_1k v[56:59], v[22:23], v[26:27], 0
	v_perm_b32 v23, v55, v54, s2
	v_perm_b32 v22, v53, v45, s2
	s_nop 1
	v_mfma_f32_16x16x16bf16_1k v[26:29], v[22:23], v[28:29], v[56:59]
	s_and_saveexec_b64 s[2:3], s[8:9]
	s_cbranch_execz .LBB839_355
; %bb.350:
	s_movk_i32 s8, 0x80
	v_cmp_ne_u16_sdwa s[10:11], v24, s8 src0_sel:BYTE_0 src1_sel:DWORD
	v_mov_b32_e32 v42, 0xffff8000
	s_and_saveexec_b64 s[8:9], s[10:11]
	s_cbranch_execz .LBB839_354
; %bb.351:
	s_movk_i32 s10, 0x7f
	v_and_b32_e32 v22, 0x7f, v24
	v_cmp_ne_u32_e32 vcc, s10, v22
	v_mov_b32_e32 v42, 0x7f80
	s_and_saveexec_b64 s[10:11], vcc
	s_cbranch_execz .LBB839_353
; %bb.352:
	v_and_b32_e32 v23, 7, v24
	v_ffbh_u32_e32 v42, v23
	v_min_u32_e32 v45, 32, v42
	v_subrev_u32_e32 v42, 28, v45
	v_lshlrev_b64 v[42:43], v42, v[24:25]
	v_lshrrev_b32_e32 v44, 3, v22
	v_sub_u32_e32 v43, 29, v45
	v_and_b32_e32 v42, 7, v42
	v_cmp_gt_u32_e32 vcc, 8, v22
	v_cndmask_b32_e32 v22, v44, v43, vcc
	v_cndmask_b32_e32 v23, v23, v42, vcc
	v_lshlrev_b32_e32 v42, 24, v24
	v_bfrev_b32_e32 v43, 60
	v_lshlrev_b32_e32 v23, 20, v23
	v_and_b32_e32 v42, 0x80000000, v42
	v_lshl_add_u32 v22, v22, 23, v43
	v_or3_b32 v22, v42, v22, v23
	v_lshrrev_b32_e32 v42, 16, v22
.LBB839_353:
	s_or_b64 exec, exec, s[10:11]
.LBB839_354:
	s_or_b64 exec, exec, s[8:9]
.LBB839_355:
	s_or_b64 exec, exec, s[2:3]
	v_lshrrev_b16_e32 v22, 8, v24
	v_cmp_ne_u16_e32 vcc, 0, v22
	v_mov_b32_e32 v43, 0
	v_mov_b32_e32 v23, 0
	s_and_saveexec_b64 s[2:3], vcc
	s_cbranch_execz .LBB839_361
; %bb.356:
	s_movk_i32 s8, 0x80
	v_cmp_ne_u16_e32 vcc, s8, v22
	v_mov_b32_e32 v23, 0xffff8000
	s_and_saveexec_b64 s[8:9], vcc
	s_cbranch_execz .LBB839_360
; %bb.357:
	s_movk_i32 s10, 0x7f
	v_and_b32_e32 v44, 0x7f, v22
	v_cmp_ne_u32_e32 vcc, s10, v44
	v_mov_b32_e32 v23, 0x7f80
	s_and_saveexec_b64 s[10:11], vcc
	s_cbranch_execz .LBB839_359
; %bb.358:
	v_and_b32_e32 v45, 7, v22
	v_ffbh_u32_e32 v23, v45
	v_min_u32_e32 v52, 32, v23
	v_subrev_u32_e32 v23, 28, v52
	v_lshlrev_b64 v[22:23], v23, v[22:23]
	v_lshrrev_b32_e32 v51, 3, v44
	v_sub_u32_e32 v23, 29, v52
	v_and_b32_e32 v22, 7, v22
	v_cmp_gt_u32_e32 vcc, 8, v44
	v_cndmask_b32_e32 v23, v51, v23, vcc
	v_cndmask_b32_e32 v22, v45, v22, vcc
	v_lshlrev_b32_e32 v44, 16, v24
	v_bfrev_b32_e32 v45, 60
	v_lshlrev_b32_e32 v22, 20, v22
	v_and_b32_e32 v44, 0x80000000, v44
	v_lshl_add_u32 v23, v23, 23, v45
	v_or3_b32 v22, v44, v23, v22
	v_lshrrev_b32_e32 v23, 16, v22
.LBB839_359:
	s_or_b64 exec, exec, s[10:11]
.LBB839_360:
	s_or_b64 exec, exec, s[8:9]
.LBB839_361:
	s_or_b64 exec, exec, s[2:3]
	s_movk_i32 s2, 0xff
	v_and_b32_sdwa v44, v24, s2 dst_sel:DWORD dst_unused:UNUSED_PAD src0_sel:WORD_1 src1_sel:DWORD
	v_lshrrev_b32_e32 v22, 16, v24
	v_cmp_ne_u16_e32 vcc, 0, v44
	s_and_saveexec_b64 s[2:3], vcc
	s_cbranch_execz .LBB839_367
; %bb.362:
	s_movk_i32 s8, 0x80
	v_cmp_ne_u16_e32 vcc, s8, v44
	v_mov_b32_e32 v43, 0xffff8000
	s_and_saveexec_b64 s[8:9], vcc
	s_cbranch_execz .LBB839_366
; %bb.363:
	v_bfe_u32 v44, v24, 16, 7
	s_movk_i32 s10, 0x7f
	v_cmp_ne_u32_e32 vcc, s10, v44
	v_mov_b32_e32 v43, 0x7f80
	s_and_saveexec_b64 s[10:11], vcc
	s_cbranch_execz .LBB839_365
; %bb.364:
	v_and_b32_e32 v43, 7, v22
	v_ffbh_u32_e32 v51, v43
	v_min_u32_e32 v51, 32, v51
	v_subrev_u32_e32 v52, 28, v51
	v_lshlrev_b64 v[52:53], v52, v[22:23]
	v_lshrrev_b32_e32 v45, 3, v44
	v_sub_u32_e32 v22, 29, v51
	v_and_b32_e32 v51, 7, v52
	v_cmp_gt_u32_e32 vcc, 8, v44
	v_mov_b32_e32 v44, 24
	v_cndmask_b32_e32 v22, v45, v22, vcc
	v_cndmask_b32_e32 v43, v43, v51, vcc
	v_lshlrev_b32_sdwa v44, v44, v24 dst_sel:DWORD dst_unused:UNUSED_PAD src0_sel:DWORD src1_sel:WORD_1
	v_bfrev_b32_e32 v45, 60
	v_lshlrev_b32_e32 v43, 20, v43
	v_and_b32_e32 v44, 0x80000000, v44
	v_lshl_add_u32 v22, v22, 23, v45
	v_or3_b32 v22, v44, v22, v43
	v_lshrrev_b32_e32 v43, 16, v22
.LBB839_365:
	s_or_b64 exec, exec, s[10:11]
.LBB839_366:
	s_or_b64 exec, exec, s[8:9]
.LBB839_367:
	s_or_b64 exec, exec, s[2:3]
	s_mov_b32 s2, 0xffffff
	v_cmp_lt_u32_e32 vcc, s2, v24
	v_mov_b32_e32 v45, 0
	v_mov_b32_e32 v51, 0
	s_and_saveexec_b64 s[2:3], vcc
	s_cbranch_execz .LBB839_373
; %bb.368:
	v_lshrrev_b32_e32 v22, 24, v24
	s_movk_i32 s8, 0x80
	v_cmp_ne_u32_e32 vcc, s8, v22
	v_mov_b32_e32 v51, 0xffff8000
	s_and_saveexec_b64 s[8:9], vcc
	s_cbranch_execz .LBB839_372
; %bb.369:
	v_bfe_u32 v24, v24, 24, 7
	s_movk_i32 s10, 0x7f
	v_cmp_ne_u32_e32 vcc, s10, v24
	v_mov_b32_e32 v51, 0x7f80
	s_and_saveexec_b64 s[10:11], vcc
	s_cbranch_execz .LBB839_371
; %bb.370:
	v_and_b32_e32 v44, 7, v22
	v_ffbh_u32_e32 v52, v44
	v_min_u32_e32 v54, 32, v52
	v_subrev_u32_e32 v52, 28, v54
	v_lshlrev_b64 v[52:53], v52, v[22:23]
	v_lshrrev_b32_e32 v51, 3, v24
	v_sub_u32_e32 v53, 29, v54
	v_and_b32_e32 v52, 7, v52
	v_cmp_gt_u32_e32 vcc, 8, v24
	v_cndmask_b32_e32 v24, v51, v53, vcc
	v_cndmask_b32_e32 v44, v44, v52, vcc
	v_lshlrev_b32_e32 v22, 24, v22
	v_bfrev_b32_e32 v51, 60
	v_lshlrev_b32_e32 v44, 20, v44
	v_and_b32_e32 v22, 0x80000000, v22
	v_lshl_add_u32 v24, v24, 23, v51
	v_or3_b32 v22, v22, v24, v44
	v_lshrrev_b32_e32 v51, 16, v22
.LBB839_371:
	s_or_b64 exec, exec, s[10:11]
.LBB839_372:
	s_or_b64 exec, exec, s[8:9]
.LBB839_373:
	s_or_b64 exec, exec, s[2:3]
	v_cmp_ne_u16_sdwa s[8:9], v25, v45 src0_sel:BYTE_0 src1_sel:DWORD
	s_and_saveexec_b64 s[2:3], s[8:9]
	s_cbranch_execz .LBB839_379
; %bb.374:
	s_movk_i32 s8, 0x80
	v_cmp_ne_u16_sdwa s[10:11], v25, s8 src0_sel:BYTE_0 src1_sel:DWORD
	v_mov_b32_e32 v45, 0xffff8000
	s_and_saveexec_b64 s[8:9], s[10:11]
	s_cbranch_execz .LBB839_378
; %bb.375:
	s_movk_i32 s10, 0x7f
	v_and_b32_e32 v22, 0x7f, v25
	v_cmp_ne_u32_e32 vcc, s10, v22
	v_mov_b32_e32 v45, 0x7f80
	s_and_saveexec_b64 s[10:11], vcc
	s_cbranch_execz .LBB839_377
; %bb.376:
	v_and_b32_e32 v52, 7, v25
	v_ffbh_u32_e32 v44, v52
	v_min_u32_e32 v54, 32, v44
	v_mov_b32_e32 v24, v25
	v_subrev_u32_e32 v44, 28, v54
	v_lshlrev_b64 v[44:45], v44, v[24:25]
	v_lshrrev_b32_e32 v53, 3, v22
	v_sub_u32_e32 v24, 29, v54
	v_and_b32_e32 v44, 7, v44
	v_cmp_gt_u32_e32 vcc, 8, v22
	v_cndmask_b32_e32 v22, v53, v24, vcc
	v_cndmask_b32_e32 v24, v52, v44, vcc
	v_lshlrev_b32_e32 v44, 24, v25
	v_bfrev_b32_e32 v45, 60
	v_lshlrev_b32_e32 v24, 20, v24
	v_and_b32_e32 v44, 0x80000000, v44
	v_lshl_add_u32 v22, v22, 23, v45
	v_or3_b32 v22, v44, v22, v24
	v_lshrrev_b32_e32 v45, 16, v22
.LBB839_377:
	s_or_b64 exec, exec, s[10:11]
.LBB839_378:
	s_or_b64 exec, exec, s[8:9]
.LBB839_379:
	s_or_b64 exec, exec, s[2:3]
	v_lshrrev_b16_e32 v22, 8, v25
	v_cmp_ne_u16_e32 vcc, 0, v22
	v_mov_b32_e32 v53, 0
	v_mov_b32_e32 v52, 0
	s_and_saveexec_b64 s[2:3], vcc
	s_cbranch_execz .LBB839_385
; %bb.380:
	s_movk_i32 s8, 0x80
	v_cmp_ne_u16_e32 vcc, s8, v22
	v_mov_b32_e32 v52, 0xffff8000
	s_and_saveexec_b64 s[8:9], vcc
	s_cbranch_execz .LBB839_384
; %bb.381:
	s_movk_i32 s10, 0x7f
	v_and_b32_e32 v24, 0x7f, v22
	v_cmp_ne_u32_e32 vcc, s10, v24
	v_mov_b32_e32 v52, 0x7f80
	s_and_saveexec_b64 s[10:11], vcc
	s_cbranch_execz .LBB839_383
; %bb.382:
	v_and_b32_e32 v44, 7, v22
	v_ffbh_u32_e32 v54, v44
	v_min_u32_e32 v56, 32, v54
	v_subrev_u32_e32 v54, 28, v56
	v_lshlrev_b64 v[54:55], v54, v[22:23]
	v_lshrrev_b32_e32 v52, 3, v24
	v_sub_u32_e32 v22, 29, v56
	v_and_b32_e32 v54, 7, v54
	v_cmp_gt_u32_e32 vcc, 8, v24
	v_cndmask_b32_e32 v22, v52, v22, vcc
	v_cndmask_b32_e32 v24, v44, v54, vcc
	v_lshlrev_b32_e32 v44, 16, v25
	v_bfrev_b32_e32 v52, 60
	v_lshlrev_b32_e32 v24, 20, v24
	v_and_b32_e32 v44, 0x80000000, v44
	v_lshl_add_u32 v22, v22, 23, v52
	v_or3_b32 v22, v44, v22, v24
	v_lshrrev_b32_e32 v52, 16, v22
.LBB839_383:
	s_or_b64 exec, exec, s[10:11]
.LBB839_384:
	s_or_b64 exec, exec, s[8:9]
.LBB839_385:
	s_or_b64 exec, exec, s[2:3]
	s_movk_i32 s2, 0xff
	v_and_b32_sdwa v24, v25, s2 dst_sel:DWORD dst_unused:UNUSED_PAD src0_sel:WORD_1 src1_sel:DWORD
	v_lshrrev_b32_e32 v22, 16, v25
	v_cmp_ne_u16_e32 vcc, 0, v24
	s_and_saveexec_b64 s[2:3], vcc
	s_cbranch_execz .LBB839_391
; %bb.386:
	s_movk_i32 s8, 0x80
	v_cmp_ne_u16_e32 vcc, s8, v24
	v_mov_b32_e32 v53, 0xffff8000
	s_and_saveexec_b64 s[8:9], vcc
	s_cbranch_execz .LBB839_390
; %bb.387:
	v_bfe_u32 v24, v25, 16, 7
	s_movk_i32 s10, 0x7f
	v_cmp_ne_u32_e32 vcc, s10, v24
	v_mov_b32_e32 v53, 0x7f80
	s_and_saveexec_b64 s[10:11], vcc
	s_cbranch_execz .LBB839_389
; %bb.388:
	v_and_b32_e32 v44, 7, v22
	v_ffbh_u32_e32 v54, v44
	v_min_u32_e32 v56, 32, v54
	v_subrev_u32_e32 v54, 28, v56
	v_lshlrev_b64 v[54:55], v54, v[22:23]
	v_and_b32_e32 v54, 7, v54
	v_cmp_gt_u32_e32 vcc, 8, v24
	v_lshrrev_b32_e32 v53, 3, v24
	v_sub_u32_e32 v22, 29, v56
	v_cndmask_b32_e32 v24, v44, v54, vcc
	v_mov_b32_e32 v44, 24
	v_cndmask_b32_e32 v22, v53, v22, vcc
	v_lshlrev_b32_sdwa v44, v44, v25 dst_sel:DWORD dst_unused:UNUSED_PAD src0_sel:DWORD src1_sel:WORD_1
	v_bfrev_b32_e32 v53, 60
	v_lshlrev_b32_e32 v24, 20, v24
	v_and_b32_e32 v44, 0x80000000, v44
	v_lshl_add_u32 v22, v22, 23, v53
	v_or3_b32 v22, v44, v22, v24
	v_lshrrev_b32_e32 v53, 16, v22
.LBB839_389:
	s_or_b64 exec, exec, s[10:11]
.LBB839_390:
	s_or_b64 exec, exec, s[8:9]
.LBB839_391:
	s_or_b64 exec, exec, s[2:3]
	s_mov_b32 s2, 0xffffff
	v_and_b32_e32 v44, 63, v0
	v_cmp_lt_u32_e32 vcc, s2, v25
	v_mov_b32_e32 v54, 0
	s_and_saveexec_b64 s[2:3], vcc
	s_cbranch_execz .LBB839_397
; %bb.392:
	v_lshrrev_b32_e32 v22, 24, v25
	s_movk_i32 s8, 0x80
	v_cmp_ne_u32_e32 vcc, s8, v22
	v_mov_b32_e32 v54, 0xffff8000
	s_and_saveexec_b64 s[8:9], vcc
	s_cbranch_execz .LBB839_396
; %bb.393:
	v_bfe_u32 v24, v25, 24, 7
	s_movk_i32 s10, 0x7f
	v_cmp_ne_u32_e32 vcc, s10, v24
	v_mov_b32_e32 v54, 0x7f80
	s_and_saveexec_b64 s[10:11], vcc
	s_cbranch_execz .LBB839_395
; %bb.394:
	v_and_b32_e32 v25, 7, v22
	v_ffbh_u32_e32 v54, v25
	v_min_u32_e32 v57, 32, v54
	v_subrev_u32_e32 v54, 28, v57
	v_lshlrev_b64 v[54:55], v54, v[22:23]
	v_lshrrev_b32_e32 v56, 3, v24
	v_sub_u32_e32 v55, 29, v57
	v_and_b32_e32 v54, 7, v54
	v_cmp_gt_u32_e32 vcc, 8, v24
	v_cndmask_b32_e32 v24, v56, v55, vcc
	v_cndmask_b32_e32 v25, v25, v54, vcc
	v_lshlrev_b32_e32 v22, 24, v22
	v_bfrev_b32_e32 v54, 60
	v_lshlrev_b32_e32 v25, 20, v25
	v_and_b32_e32 v22, 0x80000000, v22
	v_lshl_add_u32 v24, v24, 23, v54
	v_or3_b32 v22, v22, v24, v25
	v_lshrrev_b32_e32 v54, 16, v22
.LBB839_395:
	s_or_b64 exec, exec, s[10:11]
.LBB839_396:
	s_or_b64 exec, exec, s[8:9]
.LBB839_397:
	s_or_b64 exec, exec, s[2:3]
	s_mov_b32 s3, 0x5040100
	v_perm_b32 v43, v51, v43, s3
	v_perm_b32 v42, v23, v42, s3
	s_load_dword s2, s[4:5], 0x1c
	s_mov_b32 s46, 0xff7fffff
	s_waitcnt lgkmcnt(0)
	v_mfma_f32_16x16x16bf16_1k v[26:29], v[42:43], v[18:19], v[26:29]
	v_perm_b32 v19, v54, v53, s3
	v_perm_b32 v18, v52, v45, s3
	v_mov_b32_e32 v22, s2
	v_mul_f32_e32 v56, s12, v22
	v_pk_mul_f32 v[22:23], v[56:57], v[32:33] op_sel_hi:[0,1]
	v_pk_mul_f32 v[32:33], v[56:57], v[38:39] op_sel_hi:[0,1]
	v_and_b32_e32 v38, 0xc0, v0
	v_mfma_f32_16x16x16bf16_1k v[26:29], v[18:19], v[20:21], v[26:29]
	v_add_u32_e32 v38, s18, v38
	v_lshl_or_b32 v38, v1, 2, v38
	v_or_b32_e32 v39, 1, v38
	v_pk_mul_f32 v[24:25], v[56:57], v[30:31] op_sel_hi:[0,1]
	v_pk_mul_f32 v[30:31], v[56:57], v[40:41] op_sel_hi:[0,1]
	v_subrev_u32_e32 v40, s33, v39
	v_pk_mul_f32 v[34:35], v[56:57], v[34:35] op_sel_hi:[0,1]
	s_nop 3
	v_pk_mul_f32 v[20:21], v[56:57], v[26:27] op_sel_hi:[0,1]
	v_add_u32_e32 v27, 1, v40
	v_pk_mul_f32 v[18:19], v[56:57], v[28:29] op_sel_hi:[0,1]
	v_cvt_f32_i32_e32 v27, v27
	v_add_u32_e32 v29, 3, v40
	v_cvt_f32_i32_e32 v29, v29
	v_cvt_f32_i32_e32 v26, v40
	v_pk_mul_f32 v[36:37], v[56:57], v[36:37] op_sel_hi:[0,1]
	v_fmac_f32_e32 v35, v50, v27
	v_add_u32_e32 v27, 16, v40
	v_fmac_f32_e32 v37, v50, v29
	v_cvt_f32_i32_e32 v27, v27
	v_add_u32_e32 v29, 17, v40
	v_fma_f32 v26, v50, v26, v34
	v_cvt_f32_i32_e32 v29, v29
	v_add_u32_e32 v34, 18, v40
	v_cvt_f32_i32_e32 v34, v34
	v_fma_f32 v41, v50, v27, v32
	v_add_u32_e32 v27, 32, v40
	v_fmac_f32_e32 v33, v50, v29
	v_cvt_f32_i32_e32 v27, v27
	v_add_u32_e32 v29, 33, v40
	v_add_u32_e32 v32, 34, v40
	v_fma_f32 v30, v50, v34, v30
	v_cvt_f32_i32_e32 v29, v29
	v_cvt_f32_i32_e32 v32, v32
	v_add_u32_e32 v34, 35, v40
	v_cvt_f32_i32_e32 v34, v34
	v_fma_f32 v24, v50, v27, v24
	v_add_u32_e32 v27, 48, v40
	v_fmac_f32_e32 v25, v50, v29
	v_fma_f32 v22, v50, v32, v22
	v_cvt_f32_i32_e32 v27, v27
	v_add_u32_e32 v29, 49, v40
	v_add_u32_e32 v32, 50, v40
	v_fmac_f32_e32 v23, v50, v34
	v_cvt_f32_i32_e32 v29, v29
	v_cvt_f32_i32_e32 v32, v32
	v_add_u32_e32 v34, 51, v40
	v_add_u32_e32 v28, 2, v40
	v_cvt_f32_i32_e32 v34, v34
	v_cvt_f32_i32_e32 v28, v28
	v_fma_f32 v20, v50, v27, v20
	v_mov_b32_e32 v27, 0xff7fffff
	v_cmp_gt_i32_e64 s[26:27], s33, v38
	v_cmp_gt_i32_e64 s[28:29], s33, v39
	v_fmac_f32_e32 v21, v50, v29
	v_fma_f32 v18, v50, v32, v18
	v_cndmask_b32_e64 v29, v27, v26, s[26:27]
	v_cndmask_b32_e64 v32, v27, v35, s[28:29]
	v_fmac_f32_e32 v19, v50, v34
	v_max3_f32 v29, v29, s46, v32
	v_or_b32_e32 v32, 2, v38
	v_or_b32_e32 v34, 3, v38
	v_fma_f32 v28, v50, v28, v36
	v_cmp_gt_i32_e64 s[30:31], s33, v32
	v_cmp_gt_i32_e64 s[34:35], s33, v34
	v_add_u32_e32 v36, 19, v40
	v_cndmask_b32_e64 v32, v27, v28, s[30:31]
	v_cndmask_b32_e64 v34, v27, v37, s[34:35]
	v_cvt_f32_i32_e32 v36, v36
	v_max3_f32 v29, v29, v32, v34
	v_or_b32_e32 v32, 16, v38
	v_or_b32_e32 v34, 17, v38
	v_cmp_gt_i32_e64 s[36:37], s33, v32
	v_cmp_gt_i32_e64 s[38:39], s33, v34
	v_cndmask_b32_e64 v32, v27, v41, s[36:37]
	v_cndmask_b32_e64 v34, v27, v33, s[38:39]
	v_max3_f32 v29, v29, v32, v34
	v_or_b32_e32 v32, 18, v38
	v_or_b32_e32 v34, 19, v38
	v_fmac_f32_e32 v31, v50, v36
	v_cmp_gt_i32_e64 s[20:21], s33, v32
	v_cmp_gt_i32_e64 s[22:23], s33, v34
	v_cndmask_b32_e64 v32, v27, v30, s[20:21]
	v_cndmask_b32_e64 v34, v27, v31, s[22:23]
	v_max3_f32 v29, v29, v32, v34
	v_or_b32_e32 v32, 32, v38
	v_or_b32_e32 v34, 33, v38
	v_cmp_gt_i32_e64 s[16:17], s33, v32
	v_cmp_gt_i32_e64 s[18:19], s33, v34
	v_cndmask_b32_e64 v32, v27, v24, s[16:17]
	v_cndmask_b32_e64 v34, v27, v25, s[18:19]
	v_max3_f32 v29, v29, v32, v34
	v_or_b32_e32 v32, 34, v38
	v_or_b32_e32 v34, 35, v38
	v_cmp_gt_i32_e64 s[12:13], s33, v32
	v_cmp_gt_i32_e64 s[14:15], s33, v34
	v_cndmask_b32_e64 v32, v27, v22, s[12:13]
	v_cndmask_b32_e64 v34, v27, v23, s[14:15]
	v_max3_f32 v29, v29, v32, v34
	v_or_b32_e32 v32, 48, v38
	v_or_b32_e32 v34, 49, v38
	v_cmp_gt_i32_e64 s[8:9], s33, v32
	v_cmp_gt_i32_e64 s[10:11], s33, v34
	v_cndmask_b32_e64 v32, v27, v20, s[8:9]
	v_cndmask_b32_e64 v34, v27, v21, s[10:11]
	v_max3_f32 v29, v29, v32, v34
	v_or_b32_e32 v32, 50, v38
	v_or_b32_e32 v34, 51, v38
	v_cmp_gt_i32_e32 vcc, s33, v32
	v_cmp_gt_i32_e64 s[2:3], s33, v34
	v_cndmask_b32_e32 v32, v27, v18, vcc
	v_cndmask_b32_e64 v27, v27, v19, s[2:3]
	v_max3_f32 v27, v29, v32, v27
	v_mbcnt_lo_u32_b32 v29, -1, 0
	v_mbcnt_hi_u32_b32 v29, -1, v29
	v_and_b32_e32 v32, 64, v29
	v_add_u32_e32 v32, 64, v32
	v_xor_b32_e32 v34, 32, v29
	v_cmp_lt_i32_e64 s[40:41], v34, v32
	v_cndmask_b32_e64 v34, v29, v34, s[40:41]
	v_lshlrev_b32_e32 v36, 2, v34
	ds_bpermute_b32 v34, v36, v27
	s_barrier
	s_waitcnt lgkmcnt(0)
	v_max_f32_e32 v34, v34, v34
	v_max_f32_e32 v27, v27, v34
	v_xor_b32_e32 v34, 16, v29
	v_cmp_lt_i32_e64 s[40:41], v34, v32
	v_cndmask_b32_e64 v29, v29, v34, s[40:41]
	v_lshlrev_b32_e32 v38, 2, v29
	ds_bpermute_b32 v29, v38, v27
	s_waitcnt lgkmcnt(0)
	v_max_f32_e32 v29, v29, v29
	v_max_f32_e32 v32, v27, v29
	v_sub_f32_e32 v26, v26, v32
	v_mul_f32_e32 v26, 0x3fb8aa3b, v26
	v_sub_f32_e32 v27, v35, v32
	v_exp_f32_e32 v26, v26
	v_mul_f32_e32 v27, 0x3fb8aa3b, v27
	v_sub_f32_e32 v28, v28, v32
	v_exp_f32_e32 v27, v27
	v_mul_f32_e32 v28, 0x3fb8aa3b, v28
	v_exp_f32_e32 v28, v28
	v_cndmask_b32_e64 v26, 0, v26, s[26:27]
	v_sub_f32_e32 v34, v37, v32
	v_add_f32_e32 v29, 0, v26
	v_cndmask_b32_e64 v27, 0, v27, s[28:29]
	v_mul_f32_e32 v34, 0x3fb8aa3b, v34
	v_exp_f32_e32 v35, v34
	v_add_f32_e32 v29, v29, v27
	v_cndmask_b32_e64 v34, 0, v28, s[30:31]
	v_add_f32_e32 v28, v29, v34
	v_sub_f32_e32 v29, v41, v32
	v_mul_f32_e32 v29, 0x3fb8aa3b, v29
	v_sub_f32_e32 v33, v33, v32
	v_exp_f32_e32 v29, v29
	v_mul_f32_e32 v33, 0x3fb8aa3b, v33
	v_sub_f32_e32 v30, v30, v32
	v_exp_f32_e32 v33, v33
	;; [unrolled: 3-line block ×3, first 2 shown]
	v_mul_f32_e32 v31, 0x3fb8aa3b, v31
	v_sub_f32_e32 v24, v24, v32
	v_cndmask_b32_e64 v35, 0, v35, s[34:35]
	v_exp_f32_e32 v31, v31
	v_mul_f32_e32 v24, 0x3fb8aa3b, v24
	v_sub_f32_e32 v25, v25, v32
	v_add_f32_e32 v37, v28, v35
	v_cndmask_b32_e64 v28, 0, v29, s[36:37]
	v_exp_f32_e32 v24, v24
	v_mul_f32_e32 v25, 0x3fb8aa3b, v25
	v_sub_f32_e32 v22, v22, v32
	v_add_f32_e32 v37, v37, v28
	;; [unrolled: 5-line block ×7, first 2 shown]
	v_cndmask_b32_e64 v22, 0, v22, s[12:13]
	v_exp_f32_e32 v18, v18
	v_mul_f32_e32 v19, 0x3fb8aa3b, v19
	v_add_f32_e32 v33, v33, v22
	v_cndmask_b32_e64 v23, 0, v23, s[14:15]
	v_exp_f32_e32 v19, v19
	v_add_f32_e32 v33, v33, v23
	v_cndmask_b32_e64 v20, 0, v20, s[8:9]
	v_add_f32_e32 v33, v33, v20
	v_cndmask_b32_e64 v21, 0, v21, s[10:11]
	v_add_f32_e32 v33, v33, v21
	v_cndmask_b32_e32 v18, 0, v18, vcc
	v_add_f32_e32 v33, v33, v18
	v_cndmask_b32_e64 v19, 0, v19, s[2:3]
	v_add_f32_e32 v33, v33, v19
	ds_bpermute_b32 v36, v36, v33
	v_cmp_gt_u32_e32 vcc, 16, v44
	s_waitcnt lgkmcnt(0)
	v_add_f32_e32 v36, v33, v36
	ds_bpermute_b32 v37, v38, v36
	v_lshlrev_b32_e32 v33, 2, v48
	s_and_saveexec_b64 s[2:3], vcc
	s_cbranch_execz .LBB839_399
; %bb.398:
	s_waitcnt lgkmcnt(0)
	v_add_f32_e32 v36, v36, v37
	v_lshl_or_b32 v37, v49, 6, v33
	ds_write2st64_b32 v37, v32, v36 offset1:1
.LBB839_399:
	s_or_b64 exec, exec, s[2:3]
	s_waitcnt lgkmcnt(0)
	s_barrier
	ds_read2_b32 v[36:37], v33 offset1:16
	ds_read2_b32 v[38:39], v33 offset0:32 offset1:48
	ds_read2_b32 v[40:41], v33 offset0:64 offset1:80
	s_mul_i32 s12, s45, 10
	s_waitcnt lgkmcnt(2)
	v_max3_f32 v32, v36, s46, v37
	s_waitcnt lgkmcnt(1)
	v_max3_f32 v32, v32, v38, v39
	v_sub_f32_e32 v36, v36, v32
	v_mul_f32_e32 v36, 0x3fb8aa3b, v36
	v_exp_f32_e32 v42, v36
	v_sub_f32_e32 v36, v37, v32
	v_mul_f32_e32 v36, 0x3fb8aa3b, v36
	v_exp_f32_e32 v43, v36
	;; [unrolled: 3-line block ×3, first 2 shown]
	ds_read2_b32 v[36:37], v33 offset0:96 offset1:112
	v_sub_f32_e32 v33, v39, v32
	v_mul_f32_e32 v33, 0x3fb8aa3b, v33
	v_exp_f32_e32 v39, v33
	s_waitcnt lgkmcnt(1)
	v_fma_f32 v33, v42, v40, 0
	v_fmac_f32_e32 v33, v43, v41
	s_waitcnt lgkmcnt(0)
	v_fmac_f32_e32 v33, v38, v36
	v_fmac_f32_e32 v33, v39, v37
	v_add_f32_e32 v36, 0x358637bd, v33
	v_div_scale_f32 v37, s[2:3], v36, v36, 1.0
	v_rcp_f32_e32 v40, v37
	s_movk_i32 s2, 0x7fff
	s_mov_b32 s3, 0x7060302
	v_fma_f32 v41, -v37, v40, 1.0
	v_fmac_f32_e32 v40, v41, v40
	v_div_scale_f32 v41, vcc, 1.0, v36, 1.0
	v_mul_f32_e32 v44, v41, v40
	v_fma_f32 v45, -v37, v44, v41
	v_fmac_f32_e32 v44, v45, v40
	v_fma_f32 v37, -v37, v44, v41
	v_div_fmas_f32 v37, v37, v40, v44
	v_cmp_eq_u32_e32 vcc, 1, v49
	v_div_fixup_f32 v36, v37, v36, 1.0
	v_cndmask_b32_e32 v37, v42, v43, vcc
	v_cmp_eq_u32_e32 vcc, 2, v49
	v_cndmask_b32_e32 v37, v37, v38, vcc
	v_cmp_eq_u32_e32 vcc, 3, v49
	v_cndmask_b32_e32 v37, v37, v39, vcc
	v_mul_f32_e32 v36, v37, v36
	v_pk_mul_f32 v[26:27], v[36:37], v[26:27] op_sel_hi:[0,1]
	v_pk_mul_f32 v[34:35], v[36:37], v[34:35] op_sel_hi:[0,1]
	v_bfe_u32 v37, v27, 16, 1
	v_bfe_u32 v38, v26, 16, 1
	v_add3_u32 v26, v26, v38, s2
	v_add3_u32 v27, v27, v37, s2
	v_perm_b32 v38, v27, v26, s3
	v_bfe_u32 v26, v35, 16, 1
	v_bfe_u32 v27, v34, 16, 1
	v_add3_u32 v27, v34, v27, s2
	v_add3_u32 v26, v35, v26, s2
	v_perm_b32 v39, v26, v27, s3
	v_lshlrev_b32_e32 v26, 3, v1
	v_lshlrev_b32_e32 v27, 5, v48
	;; [unrolled: 1-line block ×3, first 2 shown]
	v_pk_mul_f32 v[28:29], v[36:37], v[28:29] op_sel_hi:[0,1]
	v_or3_b32 v26, v34, v27, v26
	v_bfe_u32 v34, v29, 16, 1
	v_bfe_u32 v35, v28, 16, 1
	v_pk_mul_f32 v[30:31], v[36:37], v[30:31] op_sel_hi:[0,1]
	v_add3_u32 v28, v28, v35, s2
	v_add3_u32 v29, v29, v34, s2
	v_perm_b32 v28, v29, v28, s3
	v_bfe_u32 v29, v31, 16, 1
	v_bfe_u32 v34, v30, 16, 1
	v_add3_u32 v30, v30, v34, s2
	v_add3_u32 v29, v31, v29, s2
	v_perm_b32 v29, v29, v30, s3
	v_pk_mul_f32 v[24:25], v[36:37], v[24:25] op_sel_hi:[0,1]
	s_barrier
	ds_write2st64_b64 v26, v[38:39], v[28:29] offset1:1
	v_bfe_u32 v28, v25, 16, 1
	v_bfe_u32 v29, v24, 16, 1
	v_pk_mul_f32 v[22:23], v[36:37], v[22:23] op_sel_hi:[0,1]
	v_add3_u32 v24, v24, v29, s2
	v_add3_u32 v25, v25, v28, s2
	v_perm_b32 v24, v25, v24, s3
	v_bfe_u32 v25, v23, 16, 1
	v_bfe_u32 v28, v22, 16, 1
	v_add3_u32 v22, v22, v28, s2
	v_add3_u32 v23, v23, v25, s2
	v_pk_mul_f32 v[20:21], v[36:37], v[20:21] op_sel_hi:[0,1]
	v_perm_b32 v25, v23, v22, s3
	v_bfe_u32 v22, v21, 16, 1
	v_bfe_u32 v23, v20, 16, 1
	v_pk_mul_f32 v[18:19], v[36:37], v[18:19] op_sel_hi:[0,1]
	v_add3_u32 v20, v20, v23, s2
	v_add3_u32 v21, v21, v22, s2
	v_perm_b32 v20, v21, v20, s3
	v_bfe_u32 v21, v19, 16, 1
	v_bfe_u32 v22, v18, 16, 1
	v_add3_u32 v18, v18, v22, s2
	v_add3_u32 v19, v19, v21, s2
	v_perm_b32 v21, v19, v18, s3
	v_cmp_gt_u32_e32 vcc, 10, v0
	ds_write2st64_b64 v26, v[24:25], v[20:21] offset0:2 offset1:3
	s_and_saveexec_b64 s[2:3], vcc
	s_cbranch_execz .LBB839_401
; %bb.400:
	v_add_co_u32_e32 v20, vcc, s25, v48
	v_addc_co_u32_e64 v21, s[14:15], 0, 0, vcc
	v_mov_b32_e32 v18, s12
	v_mov_b32_e32 v19, 0
	v_mad_u64_u32 v[20:21], s[14:15], s6, v18, v[20:21]
	v_mov_b32_e32 v18, s24
	s_load_dwordx4 s[8:11], s[4:5], 0x58
	s_mul_i32 s7, s7, s12
	v_mad_u64_u32 v[18:19], s[14:15], v20, s44, v[18:19]
	v_add_u32_e32 v21, s7, v21
	v_mov_b32_e32 v20, v19
	v_mad_u64_u32 v[20:21], s[14:15], v21, s44, v[20:21]
	v_mov_b32_e32 v19, v20
	v_lshlrev_b64 v[18:19], 2, v[18:19]
	s_waitcnt lgkmcnt(0)
	v_mov_b32_e32 v21, s11
	v_add_co_u32_e32 v20, vcc, s10, v18
	v_addc_co_u32_e32 v21, vcc, v21, v19, vcc
	global_store_dword v[20:21], v32, off
	v_mov_b32_e32 v20, s9
	v_add_co_u32_e32 v18, vcc, s8, v18
	v_addc_co_u32_e32 v19, vcc, v20, v19, vcc
	global_store_dword v[18:19], v33, off
.LBB839_401:
	s_or_b64 exec, exec, s[2:3]
	v_mov_b32_e32 v19, 0
	s_waitcnt vmcnt(3)
	v_cmp_ne_u16_sdwa s[8:9], v14, v19 src0_sel:BYTE_0 src1_sel:DWORD
	v_mov_b32_e32 v20, 0
	s_waitcnt lgkmcnt(0)
	s_barrier
	s_and_saveexec_b64 s[2:3], s[8:9]
	s_cbranch_execz .LBB839_407
; %bb.402:
	s_movk_i32 s7, 0x80
	v_cmp_ne_u16_sdwa s[10:11], v14, s7 src0_sel:BYTE_0 src1_sel:DWORD
	v_mov_b32_e32 v20, 0xffff8000
	s_and_saveexec_b64 s[8:9], s[10:11]
	s_cbranch_execz .LBB839_406
; %bb.403:
	s_movk_i32 s7, 0x7f
	v_and_b32_e32 v18, 0x7f, v14
	v_cmp_ne_u32_e32 vcc, s7, v18
	v_mov_b32_e32 v20, 0x7f80
	s_and_saveexec_b64 s[10:11], vcc
	s_cbranch_execz .LBB839_405
; %bb.404:
	v_and_b32_e32 v22, 7, v14
	v_ffbh_u32_e32 v20, v22
	v_min_u32_e32 v24, 32, v20
	v_subrev_u32_e32 v20, 28, v24
	v_lshlrev_b64 v[20:21], v20, v[14:15]
	v_lshrrev_b32_e32 v23, 3, v18
	v_sub_u32_e32 v21, 29, v24
	v_and_b32_e32 v20, 7, v20
	v_cmp_gt_u32_e32 vcc, 8, v18
	v_cndmask_b32_e32 v18, v23, v21, vcc
	v_cndmask_b32_e32 v20, v22, v20, vcc
	v_lshlrev_b32_e32 v21, 24, v14
	v_bfrev_b32_e32 v22, 60
	v_lshlrev_b32_e32 v20, 20, v20
	v_and_b32_e32 v21, 0x80000000, v21
	v_lshl_add_u32 v18, v18, 23, v22
	v_or3_b32 v18, v21, v18, v20
	v_lshrrev_b32_e32 v20, 16, v18
.LBB839_405:
	s_or_b64 exec, exec, s[10:11]
.LBB839_406:
	s_or_b64 exec, exec, s[8:9]
.LBB839_407:
	s_or_b64 exec, exec, s[2:3]
	v_lshrrev_b16_e32 v18, 8, v14
	v_cmp_ne_u16_e32 vcc, 0, v18
	s_and_saveexec_b64 s[2:3], vcc
	s_cbranch_execz .LBB839_413
; %bb.408:
	s_movk_i32 s7, 0x80
	v_cmp_ne_u16_e32 vcc, s7, v18
	v_mov_b32_e32 v19, 0xffff8000
	s_and_saveexec_b64 s[8:9], vcc
	s_cbranch_execz .LBB839_412
; %bb.409:
	s_movk_i32 s7, 0x7f
	v_and_b32_e32 v21, 0x7f, v18
	v_cmp_ne_u32_e32 vcc, s7, v21
	v_mov_b32_e32 v19, 0x7f80
	s_and_saveexec_b64 s[10:11], vcc
	s_cbranch_execz .LBB839_411
; %bb.410:
	v_and_b32_e32 v22, 7, v18
	v_ffbh_u32_e32 v19, v22
	v_min_u32_e32 v24, 32, v19
	v_subrev_u32_e32 v19, 28, v24
	v_lshlrev_b64 v[18:19], v19, v[18:19]
	v_lshrrev_b32_e32 v23, 3, v21
	v_sub_u32_e32 v19, 29, v24
	v_and_b32_e32 v18, 7, v18
	v_cmp_gt_u32_e32 vcc, 8, v21
	v_cndmask_b32_e32 v19, v23, v19, vcc
	v_cndmask_b32_e32 v18, v22, v18, vcc
	v_lshlrev_b32_e32 v21, 16, v14
	v_bfrev_b32_e32 v22, 60
	v_lshlrev_b32_e32 v18, 20, v18
	v_and_b32_e32 v21, 0x80000000, v21
	v_lshl_add_u32 v19, v19, 23, v22
	v_or3_b32 v18, v21, v19, v18
	v_lshrrev_b32_e32 v19, 16, v18
.LBB839_411:
	s_or_b64 exec, exec, s[10:11]
.LBB839_412:
	s_or_b64 exec, exec, s[8:9]
.LBB839_413:
	s_or_b64 exec, exec, s[2:3]
	s_movk_i32 s2, 0xff
	v_and_b32_sdwa v23, v14, s2 dst_sel:DWORD dst_unused:UNUSED_PAD src0_sel:WORD_1 src1_sel:DWORD
	v_lshrrev_b32_e32 v18, 16, v14
	v_cmp_ne_u16_e32 vcc, 0, v23
	v_mov_b32_e32 v21, 0
	v_mov_b32_e32 v22, 0
	s_and_saveexec_b64 s[2:3], vcc
	s_cbranch_execz .LBB839_419
; %bb.414:
	s_movk_i32 s7, 0x80
	v_cmp_ne_u16_e32 vcc, s7, v23
	v_mov_b32_e32 v22, 0xffff8000
	s_and_saveexec_b64 s[8:9], vcc
	s_cbranch_execz .LBB839_418
; %bb.415:
	v_bfe_u32 v23, v14, 16, 7
	s_movk_i32 s7, 0x7f
	v_cmp_ne_u32_e32 vcc, s7, v23
	v_mov_b32_e32 v22, 0x7f80
	s_and_saveexec_b64 s[10:11], vcc
	s_cbranch_execz .LBB839_417
; %bb.416:
	v_and_b32_e32 v22, 7, v18
	v_ffbh_u32_e32 v24, v22
	v_min_u32_e32 v29, 32, v24
	v_subrev_u32_e32 v24, 28, v29
	v_lshlrev_b64 v[24:25], v24, v[18:19]
	v_lshrrev_b32_e32 v28, 3, v23
	v_sub_u32_e32 v18, 29, v29
	v_and_b32_e32 v24, 7, v24
	v_cmp_gt_u32_e32 vcc, 8, v23
	v_mov_b32_e32 v23, 24
	v_cndmask_b32_e32 v18, v28, v18, vcc
	v_cndmask_b32_e32 v22, v22, v24, vcc
	v_lshlrev_b32_sdwa v23, v23, v14 dst_sel:DWORD dst_unused:UNUSED_PAD src0_sel:DWORD src1_sel:WORD_1
	v_bfrev_b32_e32 v24, 60
	v_lshlrev_b32_e32 v22, 20, v22
	v_and_b32_e32 v23, 0x80000000, v23
	v_lshl_add_u32 v18, v18, 23, v24
	v_or3_b32 v18, v23, v18, v22
	v_lshrrev_b32_e32 v22, 16, v18
.LBB839_417:
	s_or_b64 exec, exec, s[10:11]
.LBB839_418:
	s_or_b64 exec, exec, s[8:9]
.LBB839_419:
	s_or_b64 exec, exec, s[2:3]
	s_mov_b32 s2, 0xffffff
	v_cmp_lt_u32_e32 vcc, s2, v14
	s_and_saveexec_b64 s[2:3], vcc
	s_cbranch_execz .LBB839_425
; %bb.420:
	v_lshrrev_b32_e32 v18, 24, v14
	s_movk_i32 s7, 0x80
	v_cmp_ne_u32_e32 vcc, s7, v18
	v_mov_b32_e32 v21, 0xffff8000
	s_and_saveexec_b64 s[8:9], vcc
	s_cbranch_execz .LBB839_424
; %bb.421:
	v_bfe_u32 v14, v14, 24, 7
	s_movk_i32 s7, 0x7f
	v_cmp_ne_u32_e32 vcc, s7, v14
	v_mov_b32_e32 v21, 0x7f80
	s_and_saveexec_b64 s[10:11], vcc
	s_cbranch_execz .LBB839_423
; %bb.422:
	v_and_b32_e32 v21, 7, v18
	v_ffbh_u32_e32 v24, v21
	v_min_u32_e32 v28, 32, v24
	v_subrev_u32_e32 v24, 28, v28
	v_lshlrev_b64 v[24:25], v24, v[18:19]
	v_lshrrev_b32_e32 v23, 3, v14
	v_sub_u32_e32 v25, 29, v28
	v_and_b32_e32 v24, 7, v24
	v_cmp_gt_u32_e32 vcc, 8, v14
	v_cndmask_b32_e32 v14, v23, v25, vcc
	v_cndmask_b32_e32 v21, v21, v24, vcc
	v_lshlrev_b32_e32 v18, 24, v18
	v_bfrev_b32_e32 v23, 60
	v_lshlrev_b32_e32 v21, 20, v21
	v_and_b32_e32 v18, 0x80000000, v18
	v_lshl_add_u32 v14, v14, 23, v23
	v_or3_b32 v14, v18, v14, v21
	v_lshrrev_b32_e32 v21, 16, v14
.LBB839_423:
	s_or_b64 exec, exec, s[10:11]
.LBB839_424:
	s_or_b64 exec, exec, s[8:9]
.LBB839_425:
	s_or_b64 exec, exec, s[2:3]
	v_mov_b32_e32 v18, 0
	v_cmp_ne_u16_sdwa s[8:9], v15, v18 src0_sel:BYTE_0 src1_sel:DWORD
	v_mov_b32_e32 v23, 0
	s_and_saveexec_b64 s[2:3], s[8:9]
	s_cbranch_execz .LBB839_431
; %bb.426:
	s_movk_i32 s7, 0x80
	v_cmp_ne_u16_sdwa s[10:11], v15, s7 src0_sel:BYTE_0 src1_sel:DWORD
	v_mov_b32_e32 v23, 0xffff8000
	s_and_saveexec_b64 s[8:9], s[10:11]
	s_cbranch_execz .LBB839_430
; %bb.427:
	s_movk_i32 s7, 0x7f
	v_and_b32_e32 v14, 0x7f, v15
	v_cmp_ne_u32_e32 vcc, s7, v14
	v_mov_b32_e32 v23, 0x7f80
	s_and_saveexec_b64 s[10:11], vcc
	s_cbranch_execz .LBB839_429
; %bb.428:
	v_and_b32_e32 v23, 7, v15
	v_ffbh_u32_e32 v25, v23
	v_min_u32_e32 v29, 32, v25
	v_mov_b32_e32 v24, v15
	v_subrev_u32_e32 v25, 28, v29
	v_lshlrev_b64 v[24:25], v25, v[24:25]
	v_lshrrev_b32_e32 v28, 3, v14
	v_sub_u32_e32 v25, 29, v29
	v_and_b32_e32 v24, 7, v24
	v_cmp_gt_u32_e32 vcc, 8, v14
	v_cndmask_b32_e32 v14, v28, v25, vcc
	v_cndmask_b32_e32 v23, v23, v24, vcc
	v_lshlrev_b32_e32 v24, 24, v15
	v_bfrev_b32_e32 v25, 60
	v_lshlrev_b32_e32 v23, 20, v23
	v_and_b32_e32 v24, 0x80000000, v24
	v_lshl_add_u32 v14, v14, 23, v25
	v_or3_b32 v14, v24, v14, v23
	v_lshrrev_b32_e32 v23, 16, v14
.LBB839_429:
	s_or_b64 exec, exec, s[10:11]
.LBB839_430:
	s_or_b64 exec, exec, s[8:9]
.LBB839_431:
	s_or_b64 exec, exec, s[2:3]
	v_lshrrev_b16_e32 v14, 8, v15
	v_cmp_ne_u16_e32 vcc, 0, v14
	s_and_saveexec_b64 s[2:3], vcc
	s_cbranch_execz .LBB839_437
; %bb.432:
	s_movk_i32 s7, 0x80
	v_cmp_ne_u16_e32 vcc, s7, v14
	v_mov_b32_e32 v18, 0xffff8000
	s_and_saveexec_b64 s[8:9], vcc
	s_cbranch_execz .LBB839_436
; %bb.433:
	s_movk_i32 s7, 0x7f
	v_and_b32_e32 v24, 0x7f, v14
	v_cmp_ne_u32_e32 vcc, s7, v24
	v_mov_b32_e32 v18, 0x7f80
	s_and_saveexec_b64 s[10:11], vcc
	s_cbranch_execz .LBB839_435
; %bb.434:
	v_and_b32_e32 v18, 7, v14
	v_ffbh_u32_e32 v28, v18
	v_min_u32_e32 v30, 32, v28
	v_subrev_u32_e32 v28, 28, v30
	v_lshlrev_b64 v[28:29], v28, v[14:15]
	v_lshrrev_b32_e32 v25, 3, v24
	v_sub_u32_e32 v14, 29, v30
	v_and_b32_e32 v28, 7, v28
	v_cmp_gt_u32_e32 vcc, 8, v24
	v_cndmask_b32_e32 v14, v25, v14, vcc
	v_cndmask_b32_e32 v18, v18, v28, vcc
	v_lshlrev_b32_e32 v24, 16, v15
	v_bfrev_b32_e32 v25, 60
	v_lshlrev_b32_e32 v18, 20, v18
	v_and_b32_e32 v24, 0x80000000, v24
	v_lshl_add_u32 v14, v14, 23, v25
	v_or3_b32 v14, v24, v14, v18
	v_lshrrev_b32_e32 v18, 16, v14
.LBB839_435:
	s_or_b64 exec, exec, s[10:11]
.LBB839_436:
	s_or_b64 exec, exec, s[8:9]
.LBB839_437:
	s_or_b64 exec, exec, s[2:3]
	s_movk_i32 s2, 0xff
	v_and_b32_sdwa v28, v15, s2 dst_sel:DWORD dst_unused:UNUSED_PAD src0_sel:WORD_1 src1_sel:DWORD
	v_lshrrev_b32_e32 v14, 16, v15
	v_cmp_ne_u16_e32 vcc, 0, v28
	v_mov_b32_e32 v24, 0
	v_mov_b32_e32 v25, 0
	s_and_saveexec_b64 s[2:3], vcc
	s_cbranch_execz .LBB839_443
; %bb.438:
	s_movk_i32 s7, 0x80
	v_cmp_ne_u16_e32 vcc, s7, v28
	v_mov_b32_e32 v25, 0xffff8000
	s_and_saveexec_b64 s[8:9], vcc
	s_cbranch_execz .LBB839_442
; %bb.439:
	v_bfe_u32 v28, v15, 16, 7
	s_movk_i32 s7, 0x7f
	v_cmp_ne_u32_e32 vcc, s7, v28
	v_mov_b32_e32 v25, 0x7f80
	s_and_saveexec_b64 s[10:11], vcc
	s_cbranch_execz .LBB839_441
; %bb.440:
	v_and_b32_e32 v25, 7, v14
	v_ffbh_u32_e32 v30, v25
	v_min_u32_e32 v32, 32, v30
	v_subrev_u32_e32 v30, 28, v32
	v_lshlrev_b64 v[30:31], v30, v[14:15]
	v_lshrrev_b32_e32 v29, 3, v28
	v_sub_u32_e32 v14, 29, v32
	v_and_b32_e32 v30, 7, v30
	v_cmp_gt_u32_e32 vcc, 8, v28
	v_mov_b32_e32 v28, 24
	v_cndmask_b32_e32 v14, v29, v14, vcc
	v_cndmask_b32_e32 v25, v25, v30, vcc
	v_lshlrev_b32_sdwa v28, v28, v15 dst_sel:DWORD dst_unused:UNUSED_PAD src0_sel:DWORD src1_sel:WORD_1
	v_bfrev_b32_e32 v29, 60
	v_lshlrev_b32_e32 v25, 20, v25
	v_and_b32_e32 v28, 0x80000000, v28
	v_lshl_add_u32 v14, v14, 23, v29
	v_or3_b32 v14, v28, v14, v25
	v_lshrrev_b32_e32 v25, 16, v14
.LBB839_441:
	s_or_b64 exec, exec, s[10:11]
.LBB839_442:
	s_or_b64 exec, exec, s[8:9]
.LBB839_443:
	s_or_b64 exec, exec, s[2:3]
	s_mov_b32 s2, 0xffffff
	v_cmp_lt_u32_e32 vcc, s2, v15
	s_and_saveexec_b64 s[2:3], vcc
	s_cbranch_execz .LBB839_449
; %bb.444:
	v_lshrrev_b32_e32 v14, 24, v15
	s_movk_i32 s7, 0x80
	v_cmp_ne_u32_e32 vcc, s7, v14
	v_mov_b32_e32 v24, 0xffff8000
	s_and_saveexec_b64 s[8:9], vcc
	s_cbranch_execz .LBB839_448
; %bb.445:
	v_bfe_u32 v15, v15, 24, 7
	s_movk_i32 s7, 0x7f
	v_cmp_ne_u32_e32 vcc, s7, v15
	v_mov_b32_e32 v24, 0x7f80
	s_and_saveexec_b64 s[10:11], vcc
	s_cbranch_execz .LBB839_447
; %bb.446:
	v_and_b32_e32 v24, 7, v14
	v_ffbh_u32_e32 v28, v24
	v_min_u32_e32 v31, 32, v28
	v_subrev_u32_e32 v28, 28, v31
	v_lshlrev_b64 v[28:29], v28, v[14:15]
	v_lshrrev_b32_e32 v30, 3, v15
	v_sub_u32_e32 v29, 29, v31
	v_and_b32_e32 v28, 7, v28
	v_cmp_gt_u32_e32 vcc, 8, v15
	v_cndmask_b32_e32 v15, v30, v29, vcc
	v_cndmask_b32_e32 v24, v24, v28, vcc
	v_lshlrev_b32_e32 v14, 24, v14
	v_bfrev_b32_e32 v28, 60
	v_lshlrev_b32_e32 v24, 20, v24
	v_and_b32_e32 v14, 0x80000000, v14
	v_lshl_add_u32 v15, v15, 23, v28
	v_or3_b32 v14, v14, v15, v24
	v_lshrrev_b32_e32 v24, 16, v14
.LBB839_447:
	s_or_b64 exec, exec, s[10:11]
.LBB839_448:
	s_or_b64 exec, exec, s[8:9]
.LBB839_449:
	s_or_b64 exec, exec, s[2:3]
	s_mov_b32 s2, 0x5040100
	v_perm_b32 v15, v21, v22, s2
	v_lshl_or_b32 v22, v1, 9, v27
	v_perm_b32 v14, v19, v20, s2
	ds_read_b128 v[28:31], v22
	v_perm_b32 v19, v24, v25, s2
	v_perm_b32 v18, v18, v23, s2
	s_waitcnt lgkmcnt(0)
	v_mfma_f32_16x16x16bf16_1k v[32:35], v[14:15], v[28:29], 0
	v_mov_b32_e32 v15, 0
	v_cmp_ne_u16_sdwa s[8:9], v16, v15 src0_sel:BYTE_0 src1_sel:DWORD
	v_mov_b32_e32 v23, 0
	v_mfma_f32_16x16x16bf16_1k v[18:21], v[18:19], v[30:31], v[32:35]
	s_and_saveexec_b64 s[2:3], s[8:9]
	s_cbranch_execz .LBB839_455
; %bb.450:
	s_movk_i32 s7, 0x80
	v_cmp_ne_u16_sdwa s[10:11], v16, s7 src0_sel:BYTE_0 src1_sel:DWORD
	v_mov_b32_e32 v23, 0xffff8000
	s_and_saveexec_b64 s[8:9], s[10:11]
	s_cbranch_execz .LBB839_454
; %bb.451:
	s_movk_i32 s7, 0x7f
	v_and_b32_e32 v14, 0x7f, v16
	v_cmp_ne_u32_e32 vcc, s7, v14
	v_mov_b32_e32 v23, 0x7f80
	s_and_saveexec_b64 s[10:11], vcc
	s_cbranch_execz .LBB839_453
; %bb.452:
	v_and_b32_e32 v23, 7, v16
	v_ffbh_u32_e32 v24, v23
	v_min_u32_e32 v28, 32, v24
	v_subrev_u32_e32 v24, 28, v28
	v_lshlrev_b64 v[24:25], v24, v[16:17]
	v_lshrrev_b32_e32 v27, 3, v14
	v_sub_u32_e32 v25, 29, v28
	v_and_b32_e32 v24, 7, v24
	v_cmp_gt_u32_e32 vcc, 8, v14
	v_cndmask_b32_e32 v14, v27, v25, vcc
	v_cndmask_b32_e32 v23, v23, v24, vcc
	v_lshlrev_b32_e32 v24, 24, v16
	v_bfrev_b32_e32 v25, 60
	v_lshlrev_b32_e32 v23, 20, v23
	v_and_b32_e32 v24, 0x80000000, v24
	v_lshl_add_u32 v14, v14, 23, v25
	v_or3_b32 v14, v24, v14, v23
	v_lshrrev_b32_e32 v23, 16, v14
.LBB839_453:
	s_or_b64 exec, exec, s[10:11]
.LBB839_454:
	s_or_b64 exec, exec, s[8:9]
.LBB839_455:
	s_or_b64 exec, exec, s[2:3]
	v_lshrrev_b16_e32 v14, 8, v16
	v_cmp_ne_u16_e32 vcc, 0, v14
	s_and_saveexec_b64 s[2:3], vcc
	s_cbranch_execz .LBB839_461
; %bb.456:
	s_movk_i32 s7, 0x80
	v_cmp_ne_u16_e32 vcc, s7, v14
	v_mov_b32_e32 v15, 0xffff8000
	s_and_saveexec_b64 s[8:9], vcc
	s_cbranch_execz .LBB839_460
; %bb.457:
	s_movk_i32 s7, 0x7f
	v_and_b32_e32 v24, 0x7f, v14
	v_cmp_ne_u32_e32 vcc, s7, v24
	v_mov_b32_e32 v15, 0x7f80
	s_and_saveexec_b64 s[10:11], vcc
	s_cbranch_execz .LBB839_459
; %bb.458:
	v_and_b32_e32 v25, 7, v14
	v_ffbh_u32_e32 v15, v25
	v_min_u32_e32 v28, 32, v15
	v_subrev_u32_e32 v15, 28, v28
	v_lshlrev_b64 v[14:15], v15, v[14:15]
	v_lshrrev_b32_e32 v27, 3, v24
	v_sub_u32_e32 v15, 29, v28
	v_and_b32_e32 v14, 7, v14
	v_cmp_gt_u32_e32 vcc, 8, v24
	v_cndmask_b32_e32 v15, v27, v15, vcc
	v_cndmask_b32_e32 v14, v25, v14, vcc
	v_lshlrev_b32_e32 v24, 16, v16
	v_bfrev_b32_e32 v25, 60
	v_lshlrev_b32_e32 v14, 20, v14
	v_and_b32_e32 v24, 0x80000000, v24
	v_lshl_add_u32 v15, v15, 23, v25
	v_or3_b32 v14, v24, v15, v14
	v_lshrrev_b32_e32 v15, 16, v14
.LBB839_459:
	s_or_b64 exec, exec, s[10:11]
.LBB839_460:
	s_or_b64 exec, exec, s[8:9]
.LBB839_461:
	s_or_b64 exec, exec, s[2:3]
	s_movk_i32 s2, 0xff
	v_and_b32_sdwa v27, v16, s2 dst_sel:DWORD dst_unused:UNUSED_PAD src0_sel:WORD_1 src1_sel:DWORD
	v_lshrrev_b32_e32 v14, 16, v16
	v_cmp_ne_u16_e32 vcc, 0, v27
	v_mov_b32_e32 v24, 0
	v_mov_b32_e32 v25, 0
	s_and_saveexec_b64 s[2:3], vcc
	s_cbranch_execz .LBB839_467
; %bb.462:
	s_movk_i32 s7, 0x80
	v_cmp_ne_u16_e32 vcc, s7, v27
	v_mov_b32_e32 v25, 0xffff8000
	s_and_saveexec_b64 s[8:9], vcc
	s_cbranch_execz .LBB839_466
; %bb.463:
	v_bfe_u32 v27, v16, 16, 7
	s_movk_i32 s7, 0x7f
	v_cmp_ne_u32_e32 vcc, s7, v27
	v_mov_b32_e32 v25, 0x7f80
	s_and_saveexec_b64 s[10:11], vcc
	s_cbranch_execz .LBB839_465
; %bb.464:
	v_and_b32_e32 v25, 7, v14
	v_ffbh_u32_e32 v28, v25
	v_min_u32_e32 v31, 32, v28
	v_subrev_u32_e32 v28, 28, v31
	v_lshlrev_b64 v[28:29], v28, v[14:15]
	v_lshrrev_b32_e32 v30, 3, v27
	v_sub_u32_e32 v14, 29, v31
	v_and_b32_e32 v28, 7, v28
	v_cmp_gt_u32_e32 vcc, 8, v27
	v_mov_b32_e32 v27, 24
	v_cndmask_b32_e32 v14, v30, v14, vcc
	v_cndmask_b32_e32 v25, v25, v28, vcc
	v_lshlrev_b32_sdwa v27, v27, v16 dst_sel:DWORD dst_unused:UNUSED_PAD src0_sel:DWORD src1_sel:WORD_1
	v_bfrev_b32_e32 v28, 60
	v_lshlrev_b32_e32 v25, 20, v25
	v_and_b32_e32 v27, 0x80000000, v27
	v_lshl_add_u32 v14, v14, 23, v28
	v_or3_b32 v14, v27, v14, v25
	v_lshrrev_b32_e32 v25, 16, v14
.LBB839_465:
	s_or_b64 exec, exec, s[10:11]
.LBB839_466:
	s_or_b64 exec, exec, s[8:9]
.LBB839_467:
	s_or_b64 exec, exec, s[2:3]
	s_mov_b32 s2, 0xffffff
	v_cmp_lt_u32_e32 vcc, s2, v16
	s_and_saveexec_b64 s[2:3], vcc
	s_cbranch_execz .LBB839_473
; %bb.468:
	v_lshrrev_b32_e32 v14, 24, v16
	s_movk_i32 s7, 0x80
	v_cmp_ne_u32_e32 vcc, s7, v14
	v_mov_b32_e32 v24, 0xffff8000
	s_and_saveexec_b64 s[8:9], vcc
	s_cbranch_execz .LBB839_472
; %bb.469:
	v_bfe_u32 v16, v16, 24, 7
	s_movk_i32 s7, 0x7f
	v_cmp_ne_u32_e32 vcc, s7, v16
	v_mov_b32_e32 v24, 0x7f80
	s_and_saveexec_b64 s[10:11], vcc
	s_cbranch_execz .LBB839_471
; %bb.470:
	v_and_b32_e32 v24, 7, v14
	v_ffbh_u32_e32 v28, v24
	v_min_u32_e32 v30, 32, v28
	v_subrev_u32_e32 v28, 28, v30
	v_lshlrev_b64 v[28:29], v28, v[14:15]
	v_lshrrev_b32_e32 v27, 3, v16
	v_sub_u32_e32 v29, 29, v30
	v_and_b32_e32 v28, 7, v28
	v_cmp_gt_u32_e32 vcc, 8, v16
	v_cndmask_b32_e32 v16, v27, v29, vcc
	v_cndmask_b32_e32 v24, v24, v28, vcc
	v_lshlrev_b32_e32 v14, 24, v14
	v_bfrev_b32_e32 v27, 60
	v_lshlrev_b32_e32 v24, 20, v24
	v_and_b32_e32 v14, 0x80000000, v14
	v_lshl_add_u32 v16, v16, 23, v27
	v_or3_b32 v14, v14, v16, v24
	v_lshrrev_b32_e32 v24, 16, v14
.LBB839_471:
	s_or_b64 exec, exec, s[10:11]
.LBB839_472:
	s_or_b64 exec, exec, s[8:9]
.LBB839_473:
	s_or_b64 exec, exec, s[2:3]
	v_mov_b32_e32 v16, 0
	v_cmp_ne_u16_sdwa s[8:9], v17, v16 src0_sel:BYTE_0 src1_sel:DWORD
	v_mov_b32_e32 v27, 0
	s_and_saveexec_b64 s[2:3], s[8:9]
	s_cbranch_execz .LBB839_479
; %bb.474:
	s_movk_i32 s7, 0x80
	v_cmp_ne_u16_sdwa s[10:11], v17, s7 src0_sel:BYTE_0 src1_sel:DWORD
	v_mov_b32_e32 v27, 0xffff8000
	s_and_saveexec_b64 s[8:9], s[10:11]
	s_cbranch_execz .LBB839_478
; %bb.475:
	s_movk_i32 s7, 0x7f
	v_and_b32_e32 v14, 0x7f, v17
	v_cmp_ne_u32_e32 vcc, s7, v14
	v_mov_b32_e32 v27, 0x7f80
	s_and_saveexec_b64 s[10:11], vcc
	s_cbranch_execz .LBB839_477
; %bb.476:
	v_and_b32_e32 v27, 7, v17
	v_ffbh_u32_e32 v29, v27
	v_min_u32_e32 v31, 32, v29
	v_mov_b32_e32 v28, v17
	v_subrev_u32_e32 v29, 28, v31
	v_lshlrev_b64 v[28:29], v29, v[28:29]
	v_lshrrev_b32_e32 v30, 3, v14
	v_sub_u32_e32 v29, 29, v31
	v_and_b32_e32 v28, 7, v28
	v_cmp_gt_u32_e32 vcc, 8, v14
	v_cndmask_b32_e32 v14, v30, v29, vcc
	v_cndmask_b32_e32 v27, v27, v28, vcc
	v_lshlrev_b32_e32 v28, 24, v17
	v_bfrev_b32_e32 v29, 60
	v_lshlrev_b32_e32 v27, 20, v27
	v_and_b32_e32 v28, 0x80000000, v28
	v_lshl_add_u32 v14, v14, 23, v29
	v_or3_b32 v14, v28, v14, v27
	v_lshrrev_b32_e32 v27, 16, v14
.LBB839_477:
	s_or_b64 exec, exec, s[10:11]
.LBB839_478:
	s_or_b64 exec, exec, s[8:9]
.LBB839_479:
	s_or_b64 exec, exec, s[2:3]
	v_lshrrev_b16_e32 v14, 8, v17
	v_cmp_ne_u16_e32 vcc, 0, v14
	s_and_saveexec_b64 s[2:3], vcc
	s_cbranch_execz .LBB839_485
; %bb.480:
	s_movk_i32 s7, 0x80
	v_cmp_ne_u16_e32 vcc, s7, v14
	v_mov_b32_e32 v16, 0xffff8000
	s_and_saveexec_b64 s[8:9], vcc
	s_cbranch_execz .LBB839_484
; %bb.481:
	s_movk_i32 s7, 0x7f
	v_and_b32_e32 v28, 0x7f, v14
	v_cmp_ne_u32_e32 vcc, s7, v28
	v_mov_b32_e32 v16, 0x7f80
	s_and_saveexec_b64 s[10:11], vcc
	s_cbranch_execz .LBB839_483
; %bb.482:
	v_and_b32_e32 v16, 7, v14
	v_ffbh_u32_e32 v30, v16
	v_min_u32_e32 v32, 32, v30
	v_subrev_u32_e32 v30, 28, v32
	v_lshlrev_b64 v[30:31], v30, v[14:15]
	v_lshrrev_b32_e32 v29, 3, v28
	v_sub_u32_e32 v14, 29, v32
	v_and_b32_e32 v30, 7, v30
	v_cmp_gt_u32_e32 vcc, 8, v28
	v_cndmask_b32_e32 v14, v29, v14, vcc
	v_cndmask_b32_e32 v16, v16, v30, vcc
	v_lshlrev_b32_e32 v28, 16, v17
	v_bfrev_b32_e32 v29, 60
	v_lshlrev_b32_e32 v16, 20, v16
	v_and_b32_e32 v28, 0x80000000, v28
	v_lshl_add_u32 v14, v14, 23, v29
	v_or3_b32 v14, v28, v14, v16
	v_lshrrev_b32_e32 v16, 16, v14
.LBB839_483:
	s_or_b64 exec, exec, s[10:11]
.LBB839_484:
	s_or_b64 exec, exec, s[8:9]
.LBB839_485:
	s_or_b64 exec, exec, s[2:3]
	s_movk_i32 s2, 0xff
	v_and_b32_sdwa v30, v17, s2 dst_sel:DWORD dst_unused:UNUSED_PAD src0_sel:WORD_1 src1_sel:DWORD
	v_lshrrev_b32_e32 v14, 16, v17
	v_cmp_ne_u16_e32 vcc, 0, v30
	v_mov_b32_e32 v28, 0
	v_mov_b32_e32 v29, 0
	s_and_saveexec_b64 s[2:3], vcc
	s_cbranch_execz .LBB839_491
; %bb.486:
	s_movk_i32 s7, 0x80
	v_cmp_ne_u16_e32 vcc, s7, v30
	v_mov_b32_e32 v29, 0xffff8000
	s_and_saveexec_b64 s[8:9], vcc
	s_cbranch_execz .LBB839_490
; %bb.487:
	v_bfe_u32 v30, v17, 16, 7
	s_movk_i32 s7, 0x7f
	v_cmp_ne_u32_e32 vcc, s7, v30
	v_mov_b32_e32 v29, 0x7f80
	s_and_saveexec_b64 s[10:11], vcc
	s_cbranch_execz .LBB839_489
; %bb.488:
	v_and_b32_e32 v29, 7, v14
	v_ffbh_u32_e32 v32, v29
	v_min_u32_e32 v34, 32, v32
	v_subrev_u32_e32 v32, 28, v34
	v_lshlrev_b64 v[32:33], v32, v[14:15]
	v_lshrrev_b32_e32 v31, 3, v30
	v_sub_u32_e32 v14, 29, v34
	v_and_b32_e32 v32, 7, v32
	v_cmp_gt_u32_e32 vcc, 8, v30
	v_mov_b32_e32 v30, 24
	v_cndmask_b32_e32 v14, v31, v14, vcc
	v_cndmask_b32_e32 v29, v29, v32, vcc
	v_lshlrev_b32_sdwa v30, v30, v17 dst_sel:DWORD dst_unused:UNUSED_PAD src0_sel:DWORD src1_sel:WORD_1
	v_bfrev_b32_e32 v31, 60
	v_lshlrev_b32_e32 v29, 20, v29
	v_and_b32_e32 v30, 0x80000000, v30
	v_lshl_add_u32 v14, v14, 23, v31
	v_or3_b32 v14, v30, v14, v29
	v_lshrrev_b32_e32 v29, 16, v14
.LBB839_489:
	s_or_b64 exec, exec, s[10:11]
.LBB839_490:
	s_or_b64 exec, exec, s[8:9]
.LBB839_491:
	s_or_b64 exec, exec, s[2:3]
	s_mov_b32 s2, 0xffffff
	v_cmp_lt_u32_e32 vcc, s2, v17
	s_and_saveexec_b64 s[2:3], vcc
	s_cbranch_execz .LBB839_497
; %bb.492:
	v_lshrrev_b32_e32 v14, 24, v17
	s_movk_i32 s7, 0x80
	v_cmp_ne_u32_e32 vcc, s7, v14
	v_mov_b32_e32 v28, 0xffff8000
	s_and_saveexec_b64 s[8:9], vcc
	s_cbranch_execz .LBB839_496
; %bb.493:
	v_bfe_u32 v17, v17, 24, 7
	s_movk_i32 s7, 0x7f
	v_cmp_ne_u32_e32 vcc, s7, v17
	v_mov_b32_e32 v28, 0x7f80
	s_and_saveexec_b64 s[10:11], vcc
	s_cbranch_execz .LBB839_495
; %bb.494:
	v_and_b32_e32 v28, 7, v14
	v_ffbh_u32_e32 v30, v28
	v_min_u32_e32 v33, 32, v30
	v_subrev_u32_e32 v30, 28, v33
	v_lshlrev_b64 v[30:31], v30, v[14:15]
	v_lshrrev_b32_e32 v32, 3, v17
	v_sub_u32_e32 v31, 29, v33
	v_and_b32_e32 v30, 7, v30
	v_cmp_gt_u32_e32 vcc, 8, v17
	v_cndmask_b32_e32 v17, v32, v31, vcc
	v_cndmask_b32_e32 v28, v28, v30, vcc
	v_lshlrev_b32_e32 v14, 24, v14
	v_bfrev_b32_e32 v30, 60
	v_lshlrev_b32_e32 v28, 20, v28
	v_and_b32_e32 v14, 0x80000000, v14
	v_lshl_add_u32 v17, v17, 23, v30
	v_or3_b32 v14, v14, v17, v28
	v_lshrrev_b32_e32 v28, 16, v14
.LBB839_495:
	s_or_b64 exec, exec, s[10:11]
.LBB839_496:
	s_or_b64 exec, exec, s[8:9]
.LBB839_497:
	s_or_b64 exec, exec, s[2:3]
	s_mov_b32 s2, 0x5040100
	v_perm_b32 v25, v24, v25, s2
	v_perm_b32 v24, v15, v23, s2
	ds_read_b128 v[30:33], v22 offset:16
	v_perm_b32 v15, v28, v29, s2
	v_perm_b32 v14, v16, v27, s2
	s_waitcnt lgkmcnt(0)
	v_mfma_f32_16x16x16bf16_1k v[34:37], v[24:25], v[30:31], v[18:21]
	s_nop 6
	v_mov_b32_e32 v19, 0
	s_waitcnt vmcnt(2)
	v_cmp_ne_u16_sdwa s[8:9], v10, v19 src0_sel:BYTE_0 src1_sel:DWORD
	v_mfma_f32_16x16x16bf16_1k v[14:17], v[14:15], v[32:33], v[34:37]
	v_mov_b32_e32 v20, 0
	s_and_saveexec_b64 s[2:3], s[8:9]
	s_cbranch_execz .LBB839_503
; %bb.498:
	s_movk_i32 s7, 0x80
	v_cmp_ne_u16_sdwa s[10:11], v10, s7 src0_sel:BYTE_0 src1_sel:DWORD
	v_mov_b32_e32 v20, 0xffff8000
	s_and_saveexec_b64 s[8:9], s[10:11]
	s_cbranch_execz .LBB839_502
; %bb.499:
	s_movk_i32 s7, 0x7f
	v_and_b32_e32 v18, 0x7f, v10
	v_cmp_ne_u32_e32 vcc, s7, v18
	v_mov_b32_e32 v20, 0x7f80
	s_and_saveexec_b64 s[10:11], vcc
	s_cbranch_execz .LBB839_501
; %bb.500:
	v_and_b32_e32 v23, 7, v10
	v_ffbh_u32_e32 v20, v23
	v_min_u32_e32 v25, 32, v20
	v_subrev_u32_e32 v20, 28, v25
	v_lshlrev_b64 v[20:21], v20, v[10:11]
	v_lshrrev_b32_e32 v24, 3, v18
	v_sub_u32_e32 v21, 29, v25
	v_and_b32_e32 v20, 7, v20
	v_cmp_gt_u32_e32 vcc, 8, v18
	v_cndmask_b32_e32 v18, v24, v21, vcc
	v_cndmask_b32_e32 v20, v23, v20, vcc
	v_lshlrev_b32_e32 v21, 24, v10
	v_bfrev_b32_e32 v23, 60
	v_lshlrev_b32_e32 v20, 20, v20
	v_and_b32_e32 v21, 0x80000000, v21
	v_lshl_add_u32 v18, v18, 23, v23
	v_or3_b32 v18, v21, v18, v20
	v_lshrrev_b32_e32 v20, 16, v18
.LBB839_501:
	s_or_b64 exec, exec, s[10:11]
.LBB839_502:
	s_or_b64 exec, exec, s[8:9]
.LBB839_503:
	s_or_b64 exec, exec, s[2:3]
	v_lshrrev_b16_e32 v18, 8, v10
	v_cmp_ne_u16_e32 vcc, 0, v18
	s_and_saveexec_b64 s[2:3], vcc
	s_cbranch_execz .LBB839_509
; %bb.504:
	s_movk_i32 s7, 0x80
	v_cmp_ne_u16_e32 vcc, s7, v18
	v_mov_b32_e32 v19, 0xffff8000
	s_and_saveexec_b64 s[8:9], vcc
	s_cbranch_execz .LBB839_508
; %bb.505:
	s_movk_i32 s7, 0x7f
	v_and_b32_e32 v21, 0x7f, v18
	v_cmp_ne_u32_e32 vcc, s7, v21
	v_mov_b32_e32 v19, 0x7f80
	s_and_saveexec_b64 s[10:11], vcc
	s_cbranch_execz .LBB839_507
; %bb.506:
	v_and_b32_e32 v23, 7, v18
	v_ffbh_u32_e32 v19, v23
	v_min_u32_e32 v25, 32, v19
	v_subrev_u32_e32 v19, 28, v25
	v_lshlrev_b64 v[18:19], v19, v[18:19]
	v_lshrrev_b32_e32 v24, 3, v21
	v_sub_u32_e32 v19, 29, v25
	v_and_b32_e32 v18, 7, v18
	v_cmp_gt_u32_e32 vcc, 8, v21
	v_cndmask_b32_e32 v19, v24, v19, vcc
	v_cndmask_b32_e32 v18, v23, v18, vcc
	v_lshlrev_b32_e32 v21, 16, v10
	v_bfrev_b32_e32 v23, 60
	v_lshlrev_b32_e32 v18, 20, v18
	v_and_b32_e32 v21, 0x80000000, v21
	v_lshl_add_u32 v19, v19, 23, v23
	v_or3_b32 v18, v21, v19, v18
	v_lshrrev_b32_e32 v19, 16, v18
.LBB839_507:
	s_or_b64 exec, exec, s[10:11]
.LBB839_508:
	s_or_b64 exec, exec, s[8:9]
.LBB839_509:
	s_or_b64 exec, exec, s[2:3]
	s_movk_i32 s2, 0xff
	v_and_b32_sdwa v24, v10, s2 dst_sel:DWORD dst_unused:UNUSED_PAD src0_sel:WORD_1 src1_sel:DWORD
	v_lshrrev_b32_e32 v18, 16, v10
	v_cmp_ne_u16_e32 vcc, 0, v24
	v_mov_b32_e32 v21, 0
	v_mov_b32_e32 v23, 0
	s_and_saveexec_b64 s[2:3], vcc
	s_cbranch_execz .LBB839_515
; %bb.510:
	s_movk_i32 s7, 0x80
	v_cmp_ne_u16_e32 vcc, s7, v24
	v_mov_b32_e32 v23, 0xffff8000
	s_and_saveexec_b64 s[8:9], vcc
	s_cbranch_execz .LBB839_514
; %bb.511:
	v_bfe_u32 v24, v10, 16, 7
	s_movk_i32 s7, 0x7f
	v_cmp_ne_u32_e32 vcc, s7, v24
	v_mov_b32_e32 v23, 0x7f80
	s_and_saveexec_b64 s[10:11], vcc
	s_cbranch_execz .LBB839_513
; %bb.512:
	v_and_b32_e32 v23, 7, v18
	v_ffbh_u32_e32 v27, v23
	v_min_u32_e32 v27, 32, v27
	v_subrev_u32_e32 v28, 28, v27
	v_lshlrev_b64 v[28:29], v28, v[18:19]
	v_lshrrev_b32_e32 v25, 3, v24
	v_sub_u32_e32 v18, 29, v27
	v_and_b32_e32 v27, 7, v28
	v_cmp_gt_u32_e32 vcc, 8, v24
	v_mov_b32_e32 v24, 24
	v_cndmask_b32_e32 v18, v25, v18, vcc
	v_cndmask_b32_e32 v23, v23, v27, vcc
	v_lshlrev_b32_sdwa v24, v24, v10 dst_sel:DWORD dst_unused:UNUSED_PAD src0_sel:DWORD src1_sel:WORD_1
	v_bfrev_b32_e32 v25, 60
	v_lshlrev_b32_e32 v23, 20, v23
	v_and_b32_e32 v24, 0x80000000, v24
	v_lshl_add_u32 v18, v18, 23, v25
	v_or3_b32 v18, v24, v18, v23
	v_lshrrev_b32_e32 v23, 16, v18
.LBB839_513:
	s_or_b64 exec, exec, s[10:11]
.LBB839_514:
	s_or_b64 exec, exec, s[8:9]
.LBB839_515:
	s_or_b64 exec, exec, s[2:3]
	s_mov_b32 s2, 0xffffff
	v_cmp_lt_u32_e32 vcc, s2, v10
	s_and_saveexec_b64 s[2:3], vcc
	s_cbranch_execz .LBB839_521
; %bb.516:
	v_lshrrev_b32_e32 v18, 24, v10
	s_movk_i32 s7, 0x80
	v_cmp_ne_u32_e32 vcc, s7, v18
	v_mov_b32_e32 v21, 0xffff8000
	s_and_saveexec_b64 s[8:9], vcc
	s_cbranch_execz .LBB839_520
; %bb.517:
	v_bfe_u32 v10, v10, 24, 7
	s_movk_i32 s7, 0x7f
	v_cmp_ne_u32_e32 vcc, s7, v10
	v_mov_b32_e32 v21, 0x7f80
	s_and_saveexec_b64 s[10:11], vcc
	s_cbranch_execz .LBB839_519
; %bb.518:
	v_and_b32_e32 v21, 7, v18
	v_ffbh_u32_e32 v24, v21
	v_min_u32_e32 v28, 32, v24
	v_subrev_u32_e32 v24, 28, v28
	v_lshlrev_b64 v[24:25], v24, v[18:19]
	v_lshrrev_b32_e32 v27, 3, v10
	v_sub_u32_e32 v25, 29, v28
	v_and_b32_e32 v24, 7, v24
	v_cmp_gt_u32_e32 vcc, 8, v10
	v_cndmask_b32_e32 v10, v27, v25, vcc
	v_cndmask_b32_e32 v21, v21, v24, vcc
	v_lshlrev_b32_e32 v18, 24, v18
	v_bfrev_b32_e32 v24, 60
	v_lshlrev_b32_e32 v21, 20, v21
	v_and_b32_e32 v18, 0x80000000, v18
	v_lshl_add_u32 v10, v10, 23, v24
	v_or3_b32 v10, v18, v10, v21
	v_lshrrev_b32_e32 v21, 16, v10
.LBB839_519:
	s_or_b64 exec, exec, s[10:11]
.LBB839_520:
	s_or_b64 exec, exec, s[8:9]
.LBB839_521:
	s_or_b64 exec, exec, s[2:3]
	v_mov_b32_e32 v18, 0
	v_cmp_ne_u16_sdwa s[8:9], v11, v18 src0_sel:BYTE_0 src1_sel:DWORD
	v_mov_b32_e32 v24, 0
	s_and_saveexec_b64 s[2:3], s[8:9]
	s_cbranch_execz .LBB839_527
; %bb.522:
	s_movk_i32 s7, 0x80
	v_cmp_ne_u16_sdwa s[10:11], v11, s7 src0_sel:BYTE_0 src1_sel:DWORD
	v_mov_b32_e32 v24, 0xffff8000
	s_and_saveexec_b64 s[8:9], s[10:11]
	s_cbranch_execz .LBB839_526
; %bb.523:
	s_movk_i32 s7, 0x7f
	v_and_b32_e32 v10, 0x7f, v11
	v_cmp_ne_u32_e32 vcc, s7, v10
	v_mov_b32_e32 v24, 0x7f80
	s_and_saveexec_b64 s[10:11], vcc
	s_cbranch_execz .LBB839_525
; %bb.524:
	v_and_b32_e32 v27, 7, v11
	v_ffbh_u32_e32 v25, v27
	v_min_u32_e32 v29, 32, v25
	v_mov_b32_e32 v24, v11
	v_subrev_u32_e32 v25, 28, v29
	v_lshlrev_b64 v[24:25], v25, v[24:25]
	v_lshrrev_b32_e32 v28, 3, v10
	v_sub_u32_e32 v25, 29, v29
	v_and_b32_e32 v24, 7, v24
	v_cmp_gt_u32_e32 vcc, 8, v10
	v_cndmask_b32_e32 v10, v28, v25, vcc
	v_cndmask_b32_e32 v24, v27, v24, vcc
	v_lshlrev_b32_e32 v25, 24, v11
	v_bfrev_b32_e32 v27, 60
	v_lshlrev_b32_e32 v24, 20, v24
	v_and_b32_e32 v25, 0x80000000, v25
	v_lshl_add_u32 v10, v10, 23, v27
	v_or3_b32 v10, v25, v10, v24
	v_lshrrev_b32_e32 v24, 16, v10
.LBB839_525:
	s_or_b64 exec, exec, s[10:11]
.LBB839_526:
	s_or_b64 exec, exec, s[8:9]
.LBB839_527:
	s_or_b64 exec, exec, s[2:3]
	v_lshrrev_b16_e32 v10, 8, v11
	v_cmp_ne_u16_e32 vcc, 0, v10
	s_and_saveexec_b64 s[2:3], vcc
	s_cbranch_execz .LBB839_533
; %bb.528:
	s_movk_i32 s7, 0x80
	v_cmp_ne_u16_e32 vcc, s7, v10
	v_mov_b32_e32 v18, 0xffff8000
	s_and_saveexec_b64 s[8:9], vcc
	s_cbranch_execz .LBB839_532
; %bb.529:
	s_movk_i32 s7, 0x7f
	v_and_b32_e32 v25, 0x7f, v10
	v_cmp_ne_u32_e32 vcc, s7, v25
	v_mov_b32_e32 v18, 0x7f80
	s_and_saveexec_b64 s[10:11], vcc
	s_cbranch_execz .LBB839_531
; %bb.530:
	v_and_b32_e32 v18, 7, v10
	v_ffbh_u32_e32 v28, v18
	v_min_u32_e32 v30, 32, v28
	v_subrev_u32_e32 v28, 28, v30
	v_lshlrev_b64 v[28:29], v28, v[10:11]
	v_lshrrev_b32_e32 v27, 3, v25
	v_sub_u32_e32 v10, 29, v30
	v_and_b32_e32 v28, 7, v28
	v_cmp_gt_u32_e32 vcc, 8, v25
	v_cndmask_b32_e32 v10, v27, v10, vcc
	v_cndmask_b32_e32 v18, v18, v28, vcc
	v_lshlrev_b32_e32 v25, 16, v11
	v_bfrev_b32_e32 v27, 60
	v_lshlrev_b32_e32 v18, 20, v18
	v_and_b32_e32 v25, 0x80000000, v25
	v_lshl_add_u32 v10, v10, 23, v27
	v_or3_b32 v10, v25, v10, v18
	v_lshrrev_b32_e32 v18, 16, v10
.LBB839_531:
	s_or_b64 exec, exec, s[10:11]
.LBB839_532:
	s_or_b64 exec, exec, s[8:9]
.LBB839_533:
	s_or_b64 exec, exec, s[2:3]
	s_movk_i32 s2, 0xff
	v_and_b32_sdwa v28, v11, s2 dst_sel:DWORD dst_unused:UNUSED_PAD src0_sel:WORD_1 src1_sel:DWORD
	v_lshrrev_b32_e32 v10, 16, v11
	v_cmp_ne_u16_e32 vcc, 0, v28
	v_mov_b32_e32 v25, 0
	v_mov_b32_e32 v27, 0
	s_and_saveexec_b64 s[2:3], vcc
	s_cbranch_execz .LBB839_539
; %bb.534:
	s_movk_i32 s7, 0x80
	v_cmp_ne_u16_e32 vcc, s7, v28
	v_mov_b32_e32 v27, 0xffff8000
	s_and_saveexec_b64 s[8:9], vcc
	s_cbranch_execz .LBB839_538
; %bb.535:
	v_bfe_u32 v28, v11, 16, 7
	s_movk_i32 s7, 0x7f
	v_cmp_ne_u32_e32 vcc, s7, v28
	v_mov_b32_e32 v27, 0x7f80
	s_and_saveexec_b64 s[10:11], vcc
	s_cbranch_execz .LBB839_537
; %bb.536:
	v_and_b32_e32 v27, 7, v10
	v_ffbh_u32_e32 v30, v27
	v_min_u32_e32 v32, 32, v30
	v_subrev_u32_e32 v30, 28, v32
	v_lshlrev_b64 v[30:31], v30, v[10:11]
	v_lshrrev_b32_e32 v29, 3, v28
	v_sub_u32_e32 v10, 29, v32
	v_and_b32_e32 v30, 7, v30
	v_cmp_gt_u32_e32 vcc, 8, v28
	v_mov_b32_e32 v28, 24
	v_cndmask_b32_e32 v10, v29, v10, vcc
	v_cndmask_b32_e32 v27, v27, v30, vcc
	v_lshlrev_b32_sdwa v28, v28, v11 dst_sel:DWORD dst_unused:UNUSED_PAD src0_sel:DWORD src1_sel:WORD_1
	v_bfrev_b32_e32 v29, 60
	v_lshlrev_b32_e32 v27, 20, v27
	v_and_b32_e32 v28, 0x80000000, v28
	v_lshl_add_u32 v10, v10, 23, v29
	v_or3_b32 v10, v28, v10, v27
	v_lshrrev_b32_e32 v27, 16, v10
.LBB839_537:
	s_or_b64 exec, exec, s[10:11]
.LBB839_538:
	s_or_b64 exec, exec, s[8:9]
.LBB839_539:
	s_or_b64 exec, exec, s[2:3]
	s_mov_b32 s2, 0xffffff
	v_cmp_lt_u32_e32 vcc, s2, v11
	s_and_saveexec_b64 s[2:3], vcc
	s_cbranch_execz .LBB839_545
; %bb.540:
	v_lshrrev_b32_e32 v10, 24, v11
	s_movk_i32 s7, 0x80
	v_cmp_ne_u32_e32 vcc, s7, v10
	v_mov_b32_e32 v25, 0xffff8000
	s_and_saveexec_b64 s[8:9], vcc
	s_cbranch_execz .LBB839_544
; %bb.541:
	v_bfe_u32 v11, v11, 24, 7
	s_movk_i32 s7, 0x7f
	v_cmp_ne_u32_e32 vcc, s7, v11
	v_mov_b32_e32 v25, 0x7f80
	s_and_saveexec_b64 s[10:11], vcc
	s_cbranch_execz .LBB839_543
; %bb.542:
	v_and_b32_e32 v25, 7, v10
	v_ffbh_u32_e32 v28, v25
	v_min_u32_e32 v31, 32, v28
	v_subrev_u32_e32 v28, 28, v31
	v_lshlrev_b64 v[28:29], v28, v[10:11]
	v_lshrrev_b32_e32 v30, 3, v11
	v_sub_u32_e32 v29, 29, v31
	v_and_b32_e32 v28, 7, v28
	v_cmp_gt_u32_e32 vcc, 8, v11
	v_cndmask_b32_e32 v11, v30, v29, vcc
	v_cndmask_b32_e32 v25, v25, v28, vcc
	v_lshlrev_b32_e32 v10, 24, v10
	v_bfrev_b32_e32 v28, 60
	v_lshlrev_b32_e32 v25, 20, v25
	v_and_b32_e32 v10, 0x80000000, v10
	v_lshl_add_u32 v11, v11, 23, v28
	v_or3_b32 v10, v10, v11, v25
	v_lshrrev_b32_e32 v25, 16, v10
.LBB839_543:
	s_or_b64 exec, exec, s[10:11]
.LBB839_544:
	s_or_b64 exec, exec, s[8:9]
.LBB839_545:
	s_or_b64 exec, exec, s[2:3]
	s_mov_b32 s2, 0x5040100
	v_perm_b32 v11, v21, v23, s2
	v_perm_b32 v10, v19, v20, s2
	ds_read_b128 v[28:31], v22 offset:2048
	v_perm_b32 v21, v25, v27, s2
	v_perm_b32 v20, v18, v24, s2
	s_waitcnt lgkmcnt(0)
	v_mfma_f32_16x16x16bf16_1k v[14:17], v[10:11], v[28:29], v[14:17]
	v_mov_b32_e32 v11, 0
	v_cmp_ne_u16_sdwa s[8:9], v12, v11 src0_sel:BYTE_0 src1_sel:DWORD
	v_mov_b32_e32 v18, 0
	v_mfma_f32_16x16x16bf16_1k v[14:17], v[20:21], v[30:31], v[14:17]
	s_and_saveexec_b64 s[2:3], s[8:9]
	s_cbranch_execz .LBB839_551
; %bb.546:
	s_movk_i32 s7, 0x80
	v_cmp_ne_u16_sdwa s[10:11], v12, s7 src0_sel:BYTE_0 src1_sel:DWORD
	v_mov_b32_e32 v18, 0xffff8000
	s_and_saveexec_b64 s[8:9], s[10:11]
	s_cbranch_execz .LBB839_550
; %bb.547:
	s_movk_i32 s7, 0x7f
	v_and_b32_e32 v10, 0x7f, v12
	v_cmp_ne_u32_e32 vcc, s7, v10
	v_mov_b32_e32 v18, 0x7f80
	s_and_saveexec_b64 s[10:11], vcc
	s_cbranch_execz .LBB839_549
; %bb.548:
	v_and_b32_e32 v20, 7, v12
	v_ffbh_u32_e32 v18, v20
	v_min_u32_e32 v23, 32, v18
	v_subrev_u32_e32 v18, 28, v23
	v_lshlrev_b64 v[18:19], v18, v[12:13]
	v_lshrrev_b32_e32 v21, 3, v10
	v_sub_u32_e32 v19, 29, v23
	v_and_b32_e32 v18, 7, v18
	v_cmp_gt_u32_e32 vcc, 8, v10
	v_cndmask_b32_e32 v10, v21, v19, vcc
	v_cndmask_b32_e32 v18, v20, v18, vcc
	v_lshlrev_b32_e32 v19, 24, v12
	v_bfrev_b32_e32 v20, 60
	v_lshlrev_b32_e32 v18, 20, v18
	v_and_b32_e32 v19, 0x80000000, v19
	v_lshl_add_u32 v10, v10, 23, v20
	v_or3_b32 v10, v19, v10, v18
	v_lshrrev_b32_e32 v18, 16, v10
.LBB839_549:
	s_or_b64 exec, exec, s[10:11]
.LBB839_550:
	s_or_b64 exec, exec, s[8:9]
.LBB839_551:
	s_or_b64 exec, exec, s[2:3]
	v_lshrrev_b16_e32 v10, 8, v12
	v_cmp_ne_u16_e32 vcc, 0, v10
	s_and_saveexec_b64 s[2:3], vcc
	s_cbranch_execz .LBB839_557
; %bb.552:
	s_movk_i32 s7, 0x80
	v_cmp_ne_u16_e32 vcc, s7, v10
	v_mov_b32_e32 v11, 0xffff8000
	s_and_saveexec_b64 s[8:9], vcc
	s_cbranch_execz .LBB839_556
; %bb.553:
	s_movk_i32 s7, 0x7f
	v_and_b32_e32 v19, 0x7f, v10
	v_cmp_ne_u32_e32 vcc, s7, v19
	v_mov_b32_e32 v11, 0x7f80
	s_and_saveexec_b64 s[10:11], vcc
	s_cbranch_execz .LBB839_555
; %bb.554:
	v_and_b32_e32 v20, 7, v10
	v_ffbh_u32_e32 v11, v20
	v_min_u32_e32 v23, 32, v11
	v_subrev_u32_e32 v11, 28, v23
	v_lshlrev_b64 v[10:11], v11, v[10:11]
	v_lshrrev_b32_e32 v21, 3, v19
	v_sub_u32_e32 v11, 29, v23
	v_and_b32_e32 v10, 7, v10
	v_cmp_gt_u32_e32 vcc, 8, v19
	v_cndmask_b32_e32 v11, v21, v11, vcc
	v_cndmask_b32_e32 v10, v20, v10, vcc
	v_lshlrev_b32_e32 v19, 16, v12
	v_bfrev_b32_e32 v20, 60
	v_lshlrev_b32_e32 v10, 20, v10
	v_and_b32_e32 v19, 0x80000000, v19
	v_lshl_add_u32 v11, v11, 23, v20
	v_or3_b32 v10, v19, v11, v10
	v_lshrrev_b32_e32 v11, 16, v10
.LBB839_555:
	s_or_b64 exec, exec, s[10:11]
.LBB839_556:
	s_or_b64 exec, exec, s[8:9]
.LBB839_557:
	s_or_b64 exec, exec, s[2:3]
	s_movk_i32 s2, 0xff
	v_and_b32_sdwa v21, v12, s2 dst_sel:DWORD dst_unused:UNUSED_PAD src0_sel:WORD_1 src1_sel:DWORD
	v_lshrrev_b32_e32 v10, 16, v12
	v_cmp_ne_u16_e32 vcc, 0, v21
	v_mov_b32_e32 v19, 0
	v_mov_b32_e32 v20, 0
	s_and_saveexec_b64 s[2:3], vcc
	s_cbranch_execz .LBB839_563
; %bb.558:
	s_movk_i32 s7, 0x80
	v_cmp_ne_u16_e32 vcc, s7, v21
	v_mov_b32_e32 v20, 0xffff8000
	s_and_saveexec_b64 s[8:9], vcc
	s_cbranch_execz .LBB839_562
; %bb.559:
	v_bfe_u32 v21, v12, 16, 7
	s_movk_i32 s7, 0x7f
	v_cmp_ne_u32_e32 vcc, s7, v21
	v_mov_b32_e32 v20, 0x7f80
	s_and_saveexec_b64 s[10:11], vcc
	s_cbranch_execz .LBB839_561
; %bb.560:
	v_and_b32_e32 v20, 7, v10
	v_ffbh_u32_e32 v24, v20
	v_min_u32_e32 v27, 32, v24
	v_subrev_u32_e32 v24, 28, v27
	v_lshlrev_b64 v[24:25], v24, v[10:11]
	v_lshrrev_b32_e32 v23, 3, v21
	v_sub_u32_e32 v10, 29, v27
	v_and_b32_e32 v24, 7, v24
	v_cmp_gt_u32_e32 vcc, 8, v21
	v_mov_b32_e32 v21, 24
	v_cndmask_b32_e32 v10, v23, v10, vcc
	v_cndmask_b32_e32 v20, v20, v24, vcc
	v_lshlrev_b32_sdwa v21, v21, v12 dst_sel:DWORD dst_unused:UNUSED_PAD src0_sel:DWORD src1_sel:WORD_1
	v_bfrev_b32_e32 v23, 60
	v_lshlrev_b32_e32 v20, 20, v20
	v_and_b32_e32 v21, 0x80000000, v21
	v_lshl_add_u32 v10, v10, 23, v23
	v_or3_b32 v10, v21, v10, v20
	v_lshrrev_b32_e32 v20, 16, v10
.LBB839_561:
	s_or_b64 exec, exec, s[10:11]
.LBB839_562:
	s_or_b64 exec, exec, s[8:9]
.LBB839_563:
	s_or_b64 exec, exec, s[2:3]
	s_mov_b32 s2, 0xffffff
	v_cmp_lt_u32_e32 vcc, s2, v12
	s_and_saveexec_b64 s[2:3], vcc
	s_cbranch_execz .LBB839_569
; %bb.564:
	v_lshrrev_b32_e32 v10, 24, v12
	s_movk_i32 s7, 0x80
	v_cmp_ne_u32_e32 vcc, s7, v10
	v_mov_b32_e32 v19, 0xffff8000
	s_and_saveexec_b64 s[8:9], vcc
	s_cbranch_execz .LBB839_568
; %bb.565:
	v_bfe_u32 v12, v12, 24, 7
	s_movk_i32 s7, 0x7f
	v_cmp_ne_u32_e32 vcc, s7, v12
	v_mov_b32_e32 v19, 0x7f80
	s_and_saveexec_b64 s[10:11], vcc
	s_cbranch_execz .LBB839_567
; %bb.566:
	v_and_b32_e32 v19, 7, v10
	v_ffbh_u32_e32 v23, v19
	v_min_u32_e32 v23, 32, v23
	v_subrev_u32_e32 v24, 28, v23
	v_lshlrev_b64 v[24:25], v24, v[10:11]
	v_lshrrev_b32_e32 v21, 3, v12
	v_sub_u32_e32 v23, 29, v23
	v_and_b32_e32 v24, 7, v24
	v_cmp_gt_u32_e32 vcc, 8, v12
	v_cndmask_b32_e32 v12, v21, v23, vcc
	v_cndmask_b32_e32 v19, v19, v24, vcc
	v_lshlrev_b32_e32 v10, 24, v10
	v_bfrev_b32_e32 v21, 60
	v_lshlrev_b32_e32 v19, 20, v19
	v_and_b32_e32 v10, 0x80000000, v10
	v_lshl_add_u32 v12, v12, 23, v21
	v_or3_b32 v10, v10, v12, v19
	v_lshrrev_b32_e32 v19, 16, v10
.LBB839_567:
	s_or_b64 exec, exec, s[10:11]
.LBB839_568:
	s_or_b64 exec, exec, s[8:9]
.LBB839_569:
	s_or_b64 exec, exec, s[2:3]
	v_mov_b32_e32 v12, 0
	v_cmp_ne_u16_sdwa s[8:9], v13, v12 src0_sel:BYTE_0 src1_sel:DWORD
	v_mov_b32_e32 v21, 0
	s_and_saveexec_b64 s[2:3], s[8:9]
	s_cbranch_execz .LBB839_575
; %bb.570:
	s_movk_i32 s7, 0x80
	v_cmp_ne_u16_sdwa s[10:11], v13, s7 src0_sel:BYTE_0 src1_sel:DWORD
	v_mov_b32_e32 v21, 0xffff8000
	s_and_saveexec_b64 s[8:9], s[10:11]
	s_cbranch_execz .LBB839_574
; %bb.571:
	s_movk_i32 s7, 0x7f
	v_and_b32_e32 v10, 0x7f, v13
	v_cmp_ne_u32_e32 vcc, s7, v10
	v_mov_b32_e32 v21, 0x7f80
	s_and_saveexec_b64 s[10:11], vcc
	s_cbranch_execz .LBB839_573
; %bb.572:
	v_and_b32_e32 v21, 7, v13
	v_ffbh_u32_e32 v25, v21
	v_min_u32_e32 v27, 32, v25
	v_mov_b32_e32 v24, v13
	v_subrev_u32_e32 v25, 28, v27
	v_lshlrev_b64 v[24:25], v25, v[24:25]
	v_lshrrev_b32_e32 v23, 3, v10
	v_sub_u32_e32 v25, 29, v27
	v_and_b32_e32 v24, 7, v24
	v_cmp_gt_u32_e32 vcc, 8, v10
	v_cndmask_b32_e32 v10, v23, v25, vcc
	v_cndmask_b32_e32 v21, v21, v24, vcc
	v_lshlrev_b32_e32 v23, 24, v13
	v_bfrev_b32_e32 v24, 60
	v_lshlrev_b32_e32 v21, 20, v21
	v_and_b32_e32 v23, 0x80000000, v23
	v_lshl_add_u32 v10, v10, 23, v24
	v_or3_b32 v10, v23, v10, v21
	v_lshrrev_b32_e32 v21, 16, v10
.LBB839_573:
	s_or_b64 exec, exec, s[10:11]
.LBB839_574:
	s_or_b64 exec, exec, s[8:9]
.LBB839_575:
	s_or_b64 exec, exec, s[2:3]
	v_lshrrev_b16_e32 v10, 8, v13
	v_cmp_ne_u16_e32 vcc, 0, v10
	s_and_saveexec_b64 s[2:3], vcc
	s_cbranch_execz .LBB839_581
; %bb.576:
	s_movk_i32 s7, 0x80
	v_cmp_ne_u16_e32 vcc, s7, v10
	v_mov_b32_e32 v12, 0xffff8000
	s_and_saveexec_b64 s[8:9], vcc
	s_cbranch_execz .LBB839_580
; %bb.577:
	s_movk_i32 s7, 0x7f
	v_and_b32_e32 v23, 0x7f, v10
	v_cmp_ne_u32_e32 vcc, s7, v23
	v_mov_b32_e32 v12, 0x7f80
	s_and_saveexec_b64 s[10:11], vcc
	s_cbranch_execz .LBB839_579
; %bb.578:
	v_and_b32_e32 v12, 7, v10
	v_ffbh_u32_e32 v24, v12
	v_min_u32_e32 v28, 32, v24
	v_subrev_u32_e32 v24, 28, v28
	v_lshlrev_b64 v[24:25], v24, v[10:11]
	v_lshrrev_b32_e32 v27, 3, v23
	v_sub_u32_e32 v10, 29, v28
	v_and_b32_e32 v24, 7, v24
	v_cmp_gt_u32_e32 vcc, 8, v23
	v_cndmask_b32_e32 v10, v27, v10, vcc
	v_cndmask_b32_e32 v12, v12, v24, vcc
	v_lshlrev_b32_e32 v23, 16, v13
	v_bfrev_b32_e32 v24, 60
	v_lshlrev_b32_e32 v12, 20, v12
	v_and_b32_e32 v23, 0x80000000, v23
	v_lshl_add_u32 v10, v10, 23, v24
	v_or3_b32 v10, v23, v10, v12
	v_lshrrev_b32_e32 v12, 16, v10
.LBB839_579:
	s_or_b64 exec, exec, s[10:11]
.LBB839_580:
	s_or_b64 exec, exec, s[8:9]
.LBB839_581:
	s_or_b64 exec, exec, s[2:3]
	s_movk_i32 s2, 0xff
	v_and_b32_sdwa v25, v13, s2 dst_sel:DWORD dst_unused:UNUSED_PAD src0_sel:WORD_1 src1_sel:DWORD
	v_lshrrev_b32_e32 v10, 16, v13
	v_cmp_ne_u16_e32 vcc, 0, v25
	v_mov_b32_e32 v23, 0
	v_mov_b32_e32 v24, 0
	s_and_saveexec_b64 s[2:3], vcc
	s_cbranch_execz .LBB839_587
; %bb.582:
	s_movk_i32 s7, 0x80
	v_cmp_ne_u16_e32 vcc, s7, v25
	v_mov_b32_e32 v24, 0xffff8000
	s_and_saveexec_b64 s[8:9], vcc
	s_cbranch_execz .LBB839_586
; %bb.583:
	v_bfe_u32 v25, v13, 16, 7
	s_movk_i32 s7, 0x7f
	v_cmp_ne_u32_e32 vcc, s7, v25
	v_mov_b32_e32 v24, 0x7f80
	s_and_saveexec_b64 s[10:11], vcc
	s_cbranch_execz .LBB839_585
; %bb.584:
	v_and_b32_e32 v24, 7, v10
	v_ffbh_u32_e32 v28, v24
	v_min_u32_e32 v30, 32, v28
	v_subrev_u32_e32 v28, 28, v30
	v_lshlrev_b64 v[28:29], v28, v[10:11]
	v_lshrrev_b32_e32 v27, 3, v25
	v_sub_u32_e32 v10, 29, v30
	v_and_b32_e32 v28, 7, v28
	v_cmp_gt_u32_e32 vcc, 8, v25
	v_mov_b32_e32 v25, 24
	v_cndmask_b32_e32 v10, v27, v10, vcc
	v_cndmask_b32_e32 v24, v24, v28, vcc
	v_lshlrev_b32_sdwa v25, v25, v13 dst_sel:DWORD dst_unused:UNUSED_PAD src0_sel:DWORD src1_sel:WORD_1
	v_bfrev_b32_e32 v27, 60
	v_lshlrev_b32_e32 v24, 20, v24
	v_and_b32_e32 v25, 0x80000000, v25
	v_lshl_add_u32 v10, v10, 23, v27
	v_or3_b32 v10, v25, v10, v24
	v_lshrrev_b32_e32 v24, 16, v10
.LBB839_585:
	s_or_b64 exec, exec, s[10:11]
.LBB839_586:
	s_or_b64 exec, exec, s[8:9]
.LBB839_587:
	s_or_b64 exec, exec, s[2:3]
	s_mov_b32 s2, 0xffffff
	v_cmp_lt_u32_e32 vcc, s2, v13
	s_and_saveexec_b64 s[2:3], vcc
	s_cbranch_execz .LBB839_593
; %bb.588:
	v_lshrrev_b32_e32 v10, 24, v13
	s_movk_i32 s7, 0x80
	v_cmp_ne_u32_e32 vcc, s7, v10
	v_mov_b32_e32 v23, 0xffff8000
	s_and_saveexec_b64 s[8:9], vcc
	s_cbranch_execz .LBB839_592
; %bb.589:
	v_bfe_u32 v13, v13, 24, 7
	s_movk_i32 s7, 0x7f
	v_cmp_ne_u32_e32 vcc, s7, v13
	v_mov_b32_e32 v23, 0x7f80
	s_and_saveexec_b64 s[10:11], vcc
	s_cbranch_execz .LBB839_591
; %bb.590:
	v_and_b32_e32 v23, 7, v10
	v_ffbh_u32_e32 v27, v23
	v_min_u32_e32 v27, 32, v27
	v_subrev_u32_e32 v28, 28, v27
	v_lshlrev_b64 v[28:29], v28, v[10:11]
	v_lshrrev_b32_e32 v25, 3, v13
	v_sub_u32_e32 v27, 29, v27
	v_and_b32_e32 v28, 7, v28
	v_cmp_gt_u32_e32 vcc, 8, v13
	v_cndmask_b32_e32 v13, v25, v27, vcc
	v_cndmask_b32_e32 v23, v23, v28, vcc
	v_lshlrev_b32_e32 v10, 24, v10
	v_bfrev_b32_e32 v25, 60
	v_lshlrev_b32_e32 v23, 20, v23
	v_and_b32_e32 v10, 0x80000000, v10
	v_lshl_add_u32 v13, v13, 23, v25
	v_or3_b32 v10, v10, v13, v23
	v_lshrrev_b32_e32 v23, 16, v10
.LBB839_591:
	s_or_b64 exec, exec, s[10:11]
.LBB839_592:
	s_or_b64 exec, exec, s[8:9]
.LBB839_593:
	s_or_b64 exec, exec, s[2:3]
	s_mov_b32 s2, 0x5040100
	v_perm_b32 v19, v19, v20, s2
	v_perm_b32 v18, v11, v18, s2
	ds_read_b128 v[28:31], v22 offset:2064
	v_perm_b32 v11, v23, v24, s2
	v_perm_b32 v10, v12, v21, s2
	s_waitcnt lgkmcnt(0)
	v_mfma_f32_16x16x16bf16_1k v[32:35], v[18:19], v[28:29], v[14:17]
	s_nop 6
	v_mov_b32_e32 v15, 0
	s_waitcnt vmcnt(1)
	v_cmp_ne_u16_sdwa s[8:9], v6, v15 src0_sel:BYTE_0 src1_sel:DWORD
	v_mfma_f32_16x16x16bf16_1k v[10:13], v[10:11], v[30:31], v[32:35]
	v_mov_b32_e32 v16, 0
	s_and_saveexec_b64 s[2:3], s[8:9]
	s_cbranch_execz .LBB839_599
; %bb.594:
	s_movk_i32 s7, 0x80
	v_cmp_ne_u16_sdwa s[10:11], v6, s7 src0_sel:BYTE_0 src1_sel:DWORD
	v_mov_b32_e32 v16, 0xffff8000
	s_and_saveexec_b64 s[8:9], s[10:11]
	s_cbranch_execz .LBB839_598
; %bb.595:
	s_movk_i32 s7, 0x7f
	v_and_b32_e32 v14, 0x7f, v6
	v_cmp_ne_u32_e32 vcc, s7, v14
	v_mov_b32_e32 v16, 0x7f80
	s_and_saveexec_b64 s[10:11], vcc
	s_cbranch_execz .LBB839_597
; %bb.596:
	v_and_b32_e32 v18, 7, v6
	v_ffbh_u32_e32 v16, v18
	v_min_u32_e32 v20, 32, v16
	v_subrev_u32_e32 v16, 28, v20
	v_lshlrev_b64 v[16:17], v16, v[6:7]
	v_lshrrev_b32_e32 v19, 3, v14
	v_sub_u32_e32 v17, 29, v20
	v_and_b32_e32 v16, 7, v16
	v_cmp_gt_u32_e32 vcc, 8, v14
	v_cndmask_b32_e32 v14, v19, v17, vcc
	v_cndmask_b32_e32 v16, v18, v16, vcc
	v_lshlrev_b32_e32 v17, 24, v6
	v_bfrev_b32_e32 v18, 60
	v_lshlrev_b32_e32 v16, 20, v16
	v_and_b32_e32 v17, 0x80000000, v17
	v_lshl_add_u32 v14, v14, 23, v18
	v_or3_b32 v14, v17, v14, v16
	v_lshrrev_b32_e32 v16, 16, v14
.LBB839_597:
	s_or_b64 exec, exec, s[10:11]
.LBB839_598:
	s_or_b64 exec, exec, s[8:9]
.LBB839_599:
	s_or_b64 exec, exec, s[2:3]
	v_lshrrev_b16_e32 v14, 8, v6
	v_cmp_ne_u16_e32 vcc, 0, v14
	s_and_saveexec_b64 s[2:3], vcc
	s_cbranch_execz .LBB839_605
; %bb.600:
	s_movk_i32 s7, 0x80
	v_cmp_ne_u16_e32 vcc, s7, v14
	v_mov_b32_e32 v15, 0xffff8000
	s_and_saveexec_b64 s[8:9], vcc
	s_cbranch_execz .LBB839_604
; %bb.601:
	s_movk_i32 s7, 0x7f
	v_and_b32_e32 v17, 0x7f, v14
	v_cmp_ne_u32_e32 vcc, s7, v17
	v_mov_b32_e32 v15, 0x7f80
	s_and_saveexec_b64 s[10:11], vcc
	s_cbranch_execz .LBB839_603
; %bb.602:
	v_and_b32_e32 v18, 7, v14
	v_ffbh_u32_e32 v15, v18
	v_min_u32_e32 v20, 32, v15
	v_subrev_u32_e32 v15, 28, v20
	v_lshlrev_b64 v[14:15], v15, v[14:15]
	v_lshrrev_b32_e32 v19, 3, v17
	v_sub_u32_e32 v15, 29, v20
	v_and_b32_e32 v14, 7, v14
	v_cmp_gt_u32_e32 vcc, 8, v17
	v_cndmask_b32_e32 v15, v19, v15, vcc
	v_cndmask_b32_e32 v14, v18, v14, vcc
	v_lshlrev_b32_e32 v17, 16, v6
	v_bfrev_b32_e32 v18, 60
	v_lshlrev_b32_e32 v14, 20, v14
	v_and_b32_e32 v17, 0x80000000, v17
	v_lshl_add_u32 v15, v15, 23, v18
	v_or3_b32 v14, v17, v15, v14
	v_lshrrev_b32_e32 v15, 16, v14
.LBB839_603:
	s_or_b64 exec, exec, s[10:11]
.LBB839_604:
	s_or_b64 exec, exec, s[8:9]
.LBB839_605:
	s_or_b64 exec, exec, s[2:3]
	s_movk_i32 s2, 0xff
	v_and_b32_sdwa v19, v6, s2 dst_sel:DWORD dst_unused:UNUSED_PAD src0_sel:WORD_1 src1_sel:DWORD
	v_lshrrev_b32_e32 v14, 16, v6
	v_cmp_ne_u16_e32 vcc, 0, v19
	v_mov_b32_e32 v17, 0
	v_mov_b32_e32 v18, 0
	s_and_saveexec_b64 s[2:3], vcc
	s_cbranch_execz .LBB839_611
; %bb.606:
	s_movk_i32 s7, 0x80
	v_cmp_ne_u16_e32 vcc, s7, v19
	v_mov_b32_e32 v18, 0xffff8000
	s_and_saveexec_b64 s[8:9], vcc
	s_cbranch_execz .LBB839_610
; %bb.607:
	v_bfe_u32 v19, v6, 16, 7
	s_movk_i32 s7, 0x7f
	v_cmp_ne_u32_e32 vcc, s7, v19
	v_mov_b32_e32 v18, 0x7f80
	s_and_saveexec_b64 s[10:11], vcc
	s_cbranch_execz .LBB839_609
; %bb.608:
	v_and_b32_e32 v18, 7, v14
	v_ffbh_u32_e32 v20, v18
	v_min_u32_e32 v24, 32, v20
	v_subrev_u32_e32 v20, 28, v24
	v_lshlrev_b64 v[20:21], v20, v[14:15]
	v_lshrrev_b32_e32 v23, 3, v19
	v_sub_u32_e32 v14, 29, v24
	v_and_b32_e32 v20, 7, v20
	v_cmp_gt_u32_e32 vcc, 8, v19
	v_mov_b32_e32 v19, 24
	v_cndmask_b32_e32 v14, v23, v14, vcc
	v_cndmask_b32_e32 v18, v18, v20, vcc
	v_lshlrev_b32_sdwa v19, v19, v6 dst_sel:DWORD dst_unused:UNUSED_PAD src0_sel:DWORD src1_sel:WORD_1
	v_bfrev_b32_e32 v20, 60
	v_lshlrev_b32_e32 v18, 20, v18
	v_and_b32_e32 v19, 0x80000000, v19
	v_lshl_add_u32 v14, v14, 23, v20
	v_or3_b32 v14, v19, v14, v18
	v_lshrrev_b32_e32 v18, 16, v14
.LBB839_609:
	s_or_b64 exec, exec, s[10:11]
.LBB839_610:
	s_or_b64 exec, exec, s[8:9]
.LBB839_611:
	s_or_b64 exec, exec, s[2:3]
	s_mov_b32 s2, 0xffffff
	v_cmp_lt_u32_e32 vcc, s2, v6
	s_and_saveexec_b64 s[2:3], vcc
	s_cbranch_execz .LBB839_617
; %bb.612:
	v_lshrrev_b32_e32 v14, 24, v6
	s_movk_i32 s7, 0x80
	v_cmp_ne_u32_e32 vcc, s7, v14
	v_mov_b32_e32 v17, 0xffff8000
	s_and_saveexec_b64 s[8:9], vcc
	s_cbranch_execz .LBB839_616
; %bb.613:
	v_bfe_u32 v6, v6, 24, 7
	s_movk_i32 s7, 0x7f
	v_cmp_ne_u32_e32 vcc, s7, v6
	v_mov_b32_e32 v17, 0x7f80
	s_and_saveexec_b64 s[10:11], vcc
	s_cbranch_execz .LBB839_615
; %bb.614:
	v_and_b32_e32 v17, 7, v14
	v_ffbh_u32_e32 v20, v17
	v_min_u32_e32 v23, 32, v20
	v_subrev_u32_e32 v20, 28, v23
	v_lshlrev_b64 v[20:21], v20, v[14:15]
	v_lshrrev_b32_e32 v19, 3, v6
	v_sub_u32_e32 v21, 29, v23
	v_and_b32_e32 v20, 7, v20
	v_cmp_gt_u32_e32 vcc, 8, v6
	v_cndmask_b32_e32 v6, v19, v21, vcc
	v_cndmask_b32_e32 v17, v17, v20, vcc
	v_lshlrev_b32_e32 v14, 24, v14
	v_bfrev_b32_e32 v19, 60
	v_lshlrev_b32_e32 v17, 20, v17
	v_and_b32_e32 v14, 0x80000000, v14
	v_lshl_add_u32 v6, v6, 23, v19
	v_or3_b32 v6, v14, v6, v17
	v_lshrrev_b32_e32 v17, 16, v6
.LBB839_615:
	s_or_b64 exec, exec, s[10:11]
.LBB839_616:
	s_or_b64 exec, exec, s[8:9]
.LBB839_617:
	s_or_b64 exec, exec, s[2:3]
	v_mov_b32_e32 v14, 0
	v_cmp_ne_u16_sdwa s[8:9], v7, v14 src0_sel:BYTE_0 src1_sel:DWORD
	v_mov_b32_e32 v19, 0
	s_and_saveexec_b64 s[2:3], s[8:9]
	s_cbranch_execz .LBB839_623
; %bb.618:
	s_movk_i32 s7, 0x80
	v_cmp_ne_u16_sdwa s[10:11], v7, s7 src0_sel:BYTE_0 src1_sel:DWORD
	v_mov_b32_e32 v19, 0xffff8000
	s_and_saveexec_b64 s[8:9], s[10:11]
	s_cbranch_execz .LBB839_622
; %bb.619:
	s_movk_i32 s7, 0x7f
	v_and_b32_e32 v6, 0x7f, v7
	v_cmp_ne_u32_e32 vcc, s7, v6
	v_mov_b32_e32 v19, 0x7f80
	s_and_saveexec_b64 s[10:11], vcc
	s_cbranch_execz .LBB839_621
; %bb.620:
	v_and_b32_e32 v19, 7, v7
	v_ffbh_u32_e32 v21, v19
	v_min_u32_e32 v24, 32, v21
	v_mov_b32_e32 v20, v7
	v_subrev_u32_e32 v21, 28, v24
	v_lshlrev_b64 v[20:21], v21, v[20:21]
	v_lshrrev_b32_e32 v23, 3, v6
	v_sub_u32_e32 v21, 29, v24
	v_and_b32_e32 v20, 7, v20
	v_cmp_gt_u32_e32 vcc, 8, v6
	v_cndmask_b32_e32 v6, v23, v21, vcc
	v_cndmask_b32_e32 v19, v19, v20, vcc
	v_lshlrev_b32_e32 v20, 24, v7
	v_bfrev_b32_e32 v21, 60
	v_lshlrev_b32_e32 v19, 20, v19
	v_and_b32_e32 v20, 0x80000000, v20
	v_lshl_add_u32 v6, v6, 23, v21
	v_or3_b32 v6, v20, v6, v19
	v_lshrrev_b32_e32 v19, 16, v6
.LBB839_621:
	s_or_b64 exec, exec, s[10:11]
.LBB839_622:
	s_or_b64 exec, exec, s[8:9]
.LBB839_623:
	s_or_b64 exec, exec, s[2:3]
	v_lshrrev_b16_e32 v6, 8, v7
	v_cmp_ne_u16_e32 vcc, 0, v6
	s_and_saveexec_b64 s[2:3], vcc
	s_cbranch_execz .LBB839_629
; %bb.624:
	s_movk_i32 s7, 0x80
	v_cmp_ne_u16_e32 vcc, s7, v6
	v_mov_b32_e32 v14, 0xffff8000
	s_and_saveexec_b64 s[8:9], vcc
	s_cbranch_execz .LBB839_628
; %bb.625:
	s_movk_i32 s7, 0x7f
	v_and_b32_e32 v20, 0x7f, v6
	v_cmp_ne_u32_e32 vcc, s7, v20
	v_mov_b32_e32 v14, 0x7f80
	s_and_saveexec_b64 s[10:11], vcc
	s_cbranch_execz .LBB839_627
; %bb.626:
	v_and_b32_e32 v14, 7, v6
	v_ffbh_u32_e32 v23, v14
	v_min_u32_e32 v23, 32, v23
	v_subrev_u32_e32 v24, 28, v23
	v_lshlrev_b64 v[24:25], v24, v[6:7]
	v_lshrrev_b32_e32 v21, 3, v20
	v_sub_u32_e32 v6, 29, v23
	v_and_b32_e32 v23, 7, v24
	v_cmp_gt_u32_e32 vcc, 8, v20
	v_cndmask_b32_e32 v6, v21, v6, vcc
	v_cndmask_b32_e32 v14, v14, v23, vcc
	v_lshlrev_b32_e32 v20, 16, v7
	v_bfrev_b32_e32 v21, 60
	v_lshlrev_b32_e32 v14, 20, v14
	v_and_b32_e32 v20, 0x80000000, v20
	v_lshl_add_u32 v6, v6, 23, v21
	v_or3_b32 v6, v20, v6, v14
	v_lshrrev_b32_e32 v14, 16, v6
.LBB839_627:
	s_or_b64 exec, exec, s[10:11]
.LBB839_628:
	s_or_b64 exec, exec, s[8:9]
.LBB839_629:
	s_or_b64 exec, exec, s[2:3]
	s_movk_i32 s2, 0xff
	v_and_b32_sdwa v23, v7, s2 dst_sel:DWORD dst_unused:UNUSED_PAD src0_sel:WORD_1 src1_sel:DWORD
	v_lshrrev_b32_e32 v6, 16, v7
	v_cmp_ne_u16_e32 vcc, 0, v23
	v_mov_b32_e32 v20, 0
	v_mov_b32_e32 v21, 0
	s_and_saveexec_b64 s[2:3], vcc
	s_cbranch_execz .LBB839_635
; %bb.630:
	s_movk_i32 s7, 0x80
	v_cmp_ne_u16_e32 vcc, s7, v23
	v_mov_b32_e32 v21, 0xffff8000
	s_and_saveexec_b64 s[8:9], vcc
	s_cbranch_execz .LBB839_634
; %bb.631:
	v_bfe_u32 v23, v7, 16, 7
	s_movk_i32 s7, 0x7f
	v_cmp_ne_u32_e32 vcc, s7, v23
	v_mov_b32_e32 v21, 0x7f80
	s_and_saveexec_b64 s[10:11], vcc
	s_cbranch_execz .LBB839_633
; %bb.632:
	v_and_b32_e32 v21, 7, v6
	v_ffbh_u32_e32 v24, v21
	v_min_u32_e32 v28, 32, v24
	v_subrev_u32_e32 v24, 28, v28
	v_lshlrev_b64 v[24:25], v24, v[6:7]
	v_lshrrev_b32_e32 v27, 3, v23
	v_sub_u32_e32 v6, 29, v28
	v_and_b32_e32 v24, 7, v24
	v_cmp_gt_u32_e32 vcc, 8, v23
	v_mov_b32_e32 v23, 24
	v_cndmask_b32_e32 v6, v27, v6, vcc
	v_cndmask_b32_e32 v21, v21, v24, vcc
	v_lshlrev_b32_sdwa v23, v23, v7 dst_sel:DWORD dst_unused:UNUSED_PAD src0_sel:DWORD src1_sel:WORD_1
	v_bfrev_b32_e32 v24, 60
	v_lshlrev_b32_e32 v21, 20, v21
	v_and_b32_e32 v23, 0x80000000, v23
	v_lshl_add_u32 v6, v6, 23, v24
	v_or3_b32 v6, v23, v6, v21
	v_lshrrev_b32_e32 v21, 16, v6
.LBB839_633:
	s_or_b64 exec, exec, s[10:11]
.LBB839_634:
	s_or_b64 exec, exec, s[8:9]
.LBB839_635:
	s_or_b64 exec, exec, s[2:3]
	s_mov_b32 s2, 0xffffff
	v_cmp_lt_u32_e32 vcc, s2, v7
	s_and_saveexec_b64 s[2:3], vcc
	s_cbranch_execz .LBB839_641
; %bb.636:
	v_lshrrev_b32_e32 v6, 24, v7
	s_movk_i32 s7, 0x80
	v_cmp_ne_u32_e32 vcc, s7, v6
	v_mov_b32_e32 v20, 0xffff8000
	s_and_saveexec_b64 s[8:9], vcc
	s_cbranch_execz .LBB839_640
; %bb.637:
	v_bfe_u32 v7, v7, 24, 7
	s_movk_i32 s7, 0x7f
	v_cmp_ne_u32_e32 vcc, s7, v7
	v_mov_b32_e32 v20, 0x7f80
	s_and_saveexec_b64 s[10:11], vcc
	s_cbranch_execz .LBB839_639
; %bb.638:
	v_and_b32_e32 v20, 7, v6
	v_ffbh_u32_e32 v24, v20
	v_min_u32_e32 v27, 32, v24
	v_subrev_u32_e32 v24, 28, v27
	v_lshlrev_b64 v[24:25], v24, v[6:7]
	v_lshrrev_b32_e32 v23, 3, v7
	v_sub_u32_e32 v25, 29, v27
	v_and_b32_e32 v24, 7, v24
	v_cmp_gt_u32_e32 vcc, 8, v7
	v_cndmask_b32_e32 v7, v23, v25, vcc
	v_cndmask_b32_e32 v20, v20, v24, vcc
	v_lshlrev_b32_e32 v6, 24, v6
	v_bfrev_b32_e32 v23, 60
	v_lshlrev_b32_e32 v20, 20, v20
	v_and_b32_e32 v6, 0x80000000, v6
	v_lshl_add_u32 v7, v7, 23, v23
	v_or3_b32 v6, v6, v7, v20
	v_lshrrev_b32_e32 v20, 16, v6
.LBB839_639:
	s_or_b64 exec, exec, s[10:11]
.LBB839_640:
	s_or_b64 exec, exec, s[8:9]
.LBB839_641:
	s_or_b64 exec, exec, s[2:3]
	s_mov_b32 s2, 0x5040100
	v_perm_b32 v7, v17, v18, s2
	v_perm_b32 v6, v15, v16, s2
	ds_read_b128 v[28:31], v22 offset:4096
	v_perm_b32 v17, v20, v21, s2
	v_perm_b32 v16, v14, v19, s2
	s_waitcnt lgkmcnt(0)
	v_mfma_f32_16x16x16bf16_1k v[10:13], v[6:7], v[28:29], v[10:13]
	v_mov_b32_e32 v7, 0
	v_cmp_ne_u16_sdwa s[8:9], v8, v7 src0_sel:BYTE_0 src1_sel:DWORD
	v_mov_b32_e32 v14, 0
	v_mfma_f32_16x16x16bf16_1k v[10:13], v[16:17], v[30:31], v[10:13]
	s_and_saveexec_b64 s[2:3], s[8:9]
	s_cbranch_execz .LBB839_647
; %bb.642:
	s_movk_i32 s7, 0x80
	v_cmp_ne_u16_sdwa s[10:11], v8, s7 src0_sel:BYTE_0 src1_sel:DWORD
	v_mov_b32_e32 v14, 0xffff8000
	s_and_saveexec_b64 s[8:9], s[10:11]
	s_cbranch_execz .LBB839_646
; %bb.643:
	s_movk_i32 s7, 0x7f
	v_and_b32_e32 v6, 0x7f, v8
	v_cmp_ne_u32_e32 vcc, s7, v6
	v_mov_b32_e32 v14, 0x7f80
	s_and_saveexec_b64 s[10:11], vcc
	s_cbranch_execz .LBB839_645
; %bb.644:
	v_and_b32_e32 v16, 7, v8
	v_ffbh_u32_e32 v14, v16
	v_min_u32_e32 v18, 32, v14
	v_subrev_u32_e32 v14, 28, v18
	v_lshlrev_b64 v[14:15], v14, v[8:9]
	v_lshrrev_b32_e32 v17, 3, v6
	v_sub_u32_e32 v15, 29, v18
	v_and_b32_e32 v14, 7, v14
	v_cmp_gt_u32_e32 vcc, 8, v6
	v_cndmask_b32_e32 v6, v17, v15, vcc
	v_cndmask_b32_e32 v14, v16, v14, vcc
	v_lshlrev_b32_e32 v15, 24, v8
	v_bfrev_b32_e32 v16, 60
	v_lshlrev_b32_e32 v14, 20, v14
	v_and_b32_e32 v15, 0x80000000, v15
	v_lshl_add_u32 v6, v6, 23, v16
	v_or3_b32 v6, v15, v6, v14
	v_lshrrev_b32_e32 v14, 16, v6
.LBB839_645:
	s_or_b64 exec, exec, s[10:11]
.LBB839_646:
	s_or_b64 exec, exec, s[8:9]
.LBB839_647:
	s_or_b64 exec, exec, s[2:3]
	v_lshrrev_b16_e32 v6, 8, v8
	v_cmp_ne_u16_e32 vcc, 0, v6
	s_and_saveexec_b64 s[2:3], vcc
	s_cbranch_execz .LBB839_653
; %bb.648:
	s_movk_i32 s7, 0x80
	v_cmp_ne_u16_e32 vcc, s7, v6
	v_mov_b32_e32 v7, 0xffff8000
	s_and_saveexec_b64 s[8:9], vcc
	s_cbranch_execz .LBB839_652
; %bb.649:
	s_movk_i32 s7, 0x7f
	v_and_b32_e32 v15, 0x7f, v6
	v_cmp_ne_u32_e32 vcc, s7, v15
	v_mov_b32_e32 v7, 0x7f80
	s_and_saveexec_b64 s[10:11], vcc
	s_cbranch_execz .LBB839_651
; %bb.650:
	v_and_b32_e32 v16, 7, v6
	v_ffbh_u32_e32 v7, v16
	v_min_u32_e32 v18, 32, v7
	v_subrev_u32_e32 v7, 28, v18
	v_lshlrev_b64 v[6:7], v7, v[6:7]
	v_lshrrev_b32_e32 v17, 3, v15
	v_sub_u32_e32 v7, 29, v18
	v_and_b32_e32 v6, 7, v6
	v_cmp_gt_u32_e32 vcc, 8, v15
	v_cndmask_b32_e32 v7, v17, v7, vcc
	v_cndmask_b32_e32 v6, v16, v6, vcc
	v_lshlrev_b32_e32 v15, 16, v8
	v_bfrev_b32_e32 v16, 60
	v_lshlrev_b32_e32 v6, 20, v6
	v_and_b32_e32 v15, 0x80000000, v15
	v_lshl_add_u32 v7, v7, 23, v16
	v_or3_b32 v6, v15, v7, v6
	v_lshrrev_b32_e32 v7, 16, v6
.LBB839_651:
	s_or_b64 exec, exec, s[10:11]
.LBB839_652:
	s_or_b64 exec, exec, s[8:9]
.LBB839_653:
	s_or_b64 exec, exec, s[2:3]
	s_movk_i32 s2, 0xff
	v_and_b32_sdwa v17, v8, s2 dst_sel:DWORD dst_unused:UNUSED_PAD src0_sel:WORD_1 src1_sel:DWORD
	v_lshrrev_b32_e32 v6, 16, v8
	v_cmp_ne_u16_e32 vcc, 0, v17
	v_mov_b32_e32 v15, 0
	v_mov_b32_e32 v16, 0
	s_and_saveexec_b64 s[2:3], vcc
	s_cbranch_execz .LBB839_659
; %bb.654:
	s_movk_i32 s7, 0x80
	v_cmp_ne_u16_e32 vcc, s7, v17
	v_mov_b32_e32 v16, 0xffff8000
	s_and_saveexec_b64 s[8:9], vcc
	s_cbranch_execz .LBB839_658
; %bb.655:
	v_bfe_u32 v17, v8, 16, 7
	s_movk_i32 s7, 0x7f
	v_cmp_ne_u32_e32 vcc, s7, v17
	v_mov_b32_e32 v16, 0x7f80
	s_and_saveexec_b64 s[10:11], vcc
	s_cbranch_execz .LBB839_657
; %bb.656:
	v_and_b32_e32 v16, 7, v6
	v_ffbh_u32_e32 v18, v16
	v_min_u32_e32 v21, 32, v18
	v_subrev_u32_e32 v18, 28, v21
	v_lshlrev_b64 v[18:19], v18, v[6:7]
	v_lshrrev_b32_e32 v20, 3, v17
	v_sub_u32_e32 v6, 29, v21
	v_and_b32_e32 v18, 7, v18
	v_cmp_gt_u32_e32 vcc, 8, v17
	v_mov_b32_e32 v17, 24
	v_cndmask_b32_e32 v6, v20, v6, vcc
	v_cndmask_b32_e32 v16, v16, v18, vcc
	v_lshlrev_b32_sdwa v17, v17, v8 dst_sel:DWORD dst_unused:UNUSED_PAD src0_sel:DWORD src1_sel:WORD_1
	v_bfrev_b32_e32 v18, 60
	v_lshlrev_b32_e32 v16, 20, v16
	v_and_b32_e32 v17, 0x80000000, v17
	v_lshl_add_u32 v6, v6, 23, v18
	v_or3_b32 v6, v17, v6, v16
	v_lshrrev_b32_e32 v16, 16, v6
.LBB839_657:
	s_or_b64 exec, exec, s[10:11]
.LBB839_658:
	s_or_b64 exec, exec, s[8:9]
.LBB839_659:
	s_or_b64 exec, exec, s[2:3]
	s_mov_b32 s2, 0xffffff
	v_cmp_lt_u32_e32 vcc, s2, v8
	s_and_saveexec_b64 s[2:3], vcc
	s_cbranch_execz .LBB839_665
; %bb.660:
	v_lshrrev_b32_e32 v6, 24, v8
	s_movk_i32 s7, 0x80
	v_cmp_ne_u32_e32 vcc, s7, v6
	v_mov_b32_e32 v15, 0xffff8000
	s_and_saveexec_b64 s[8:9], vcc
	s_cbranch_execz .LBB839_664
; %bb.661:
	v_bfe_u32 v8, v8, 24, 7
	s_movk_i32 s7, 0x7f
	v_cmp_ne_u32_e32 vcc, s7, v8
	v_mov_b32_e32 v15, 0x7f80
	s_and_saveexec_b64 s[10:11], vcc
	s_cbranch_execz .LBB839_663
; %bb.662:
	v_and_b32_e32 v15, 7, v6
	v_ffbh_u32_e32 v18, v15
	v_min_u32_e32 v20, 32, v18
	v_subrev_u32_e32 v18, 28, v20
	v_lshlrev_b64 v[18:19], v18, v[6:7]
	v_lshrrev_b32_e32 v17, 3, v8
	v_sub_u32_e32 v19, 29, v20
	v_and_b32_e32 v18, 7, v18
	v_cmp_gt_u32_e32 vcc, 8, v8
	v_cndmask_b32_e32 v8, v17, v19, vcc
	v_cndmask_b32_e32 v15, v15, v18, vcc
	v_lshlrev_b32_e32 v6, 24, v6
	v_bfrev_b32_e32 v17, 60
	v_lshlrev_b32_e32 v15, 20, v15
	v_and_b32_e32 v6, 0x80000000, v6
	v_lshl_add_u32 v8, v8, 23, v17
	v_or3_b32 v6, v6, v8, v15
	v_lshrrev_b32_e32 v15, 16, v6
.LBB839_663:
	s_or_b64 exec, exec, s[10:11]
.LBB839_664:
	s_or_b64 exec, exec, s[8:9]
.LBB839_665:
	s_or_b64 exec, exec, s[2:3]
	v_mov_b32_e32 v8, 0
	v_cmp_ne_u16_sdwa s[8:9], v9, v8 src0_sel:BYTE_0 src1_sel:DWORD
	v_mov_b32_e32 v17, 0
	s_and_saveexec_b64 s[2:3], s[8:9]
	s_cbranch_execz .LBB839_671
; %bb.666:
	s_movk_i32 s7, 0x80
	v_cmp_ne_u16_sdwa s[10:11], v9, s7 src0_sel:BYTE_0 src1_sel:DWORD
	v_mov_b32_e32 v17, 0xffff8000
	s_and_saveexec_b64 s[8:9], s[10:11]
	s_cbranch_execz .LBB839_670
; %bb.667:
	s_movk_i32 s7, 0x7f
	v_and_b32_e32 v6, 0x7f, v9
	v_cmp_ne_u32_e32 vcc, s7, v6
	v_mov_b32_e32 v17, 0x7f80
	s_and_saveexec_b64 s[10:11], vcc
	s_cbranch_execz .LBB839_669
; %bb.668:
	v_and_b32_e32 v17, 7, v9
	v_ffbh_u32_e32 v19, v17
	v_min_u32_e32 v21, 32, v19
	v_mov_b32_e32 v18, v9
	v_subrev_u32_e32 v19, 28, v21
	v_lshlrev_b64 v[18:19], v19, v[18:19]
	v_lshrrev_b32_e32 v20, 3, v6
	v_sub_u32_e32 v19, 29, v21
	v_and_b32_e32 v18, 7, v18
	v_cmp_gt_u32_e32 vcc, 8, v6
	v_cndmask_b32_e32 v6, v20, v19, vcc
	v_cndmask_b32_e32 v17, v17, v18, vcc
	v_lshlrev_b32_e32 v18, 24, v9
	v_bfrev_b32_e32 v19, 60
	v_lshlrev_b32_e32 v17, 20, v17
	v_and_b32_e32 v18, 0x80000000, v18
	v_lshl_add_u32 v6, v6, 23, v19
	v_or3_b32 v6, v18, v6, v17
	v_lshrrev_b32_e32 v17, 16, v6
.LBB839_669:
	s_or_b64 exec, exec, s[10:11]
.LBB839_670:
	s_or_b64 exec, exec, s[8:9]
.LBB839_671:
	s_or_b64 exec, exec, s[2:3]
	v_lshrrev_b16_e32 v6, 8, v9
	v_cmp_ne_u16_e32 vcc, 0, v6
	s_and_saveexec_b64 s[2:3], vcc
	s_cbranch_execz .LBB839_677
; %bb.672:
	s_movk_i32 s7, 0x80
	v_cmp_ne_u16_e32 vcc, s7, v6
	v_mov_b32_e32 v8, 0xffff8000
	s_and_saveexec_b64 s[8:9], vcc
	s_cbranch_execz .LBB839_676
; %bb.673:
	s_movk_i32 s7, 0x7f
	v_and_b32_e32 v18, 0x7f, v6
	v_cmp_ne_u32_e32 vcc, s7, v18
	v_mov_b32_e32 v8, 0x7f80
	s_and_saveexec_b64 s[10:11], vcc
	s_cbranch_execz .LBB839_675
; %bb.674:
	v_and_b32_e32 v8, 7, v6
	v_ffbh_u32_e32 v20, v8
	v_min_u32_e32 v23, 32, v20
	v_subrev_u32_e32 v20, 28, v23
	v_lshlrev_b64 v[20:21], v20, v[6:7]
	v_lshrrev_b32_e32 v19, 3, v18
	v_sub_u32_e32 v6, 29, v23
	v_and_b32_e32 v20, 7, v20
	v_cmp_gt_u32_e32 vcc, 8, v18
	v_cndmask_b32_e32 v6, v19, v6, vcc
	v_cndmask_b32_e32 v8, v8, v20, vcc
	v_lshlrev_b32_e32 v18, 16, v9
	v_bfrev_b32_e32 v19, 60
	v_lshlrev_b32_e32 v8, 20, v8
	v_and_b32_e32 v18, 0x80000000, v18
	v_lshl_add_u32 v6, v6, 23, v19
	v_or3_b32 v6, v18, v6, v8
	v_lshrrev_b32_e32 v8, 16, v6
.LBB839_675:
	s_or_b64 exec, exec, s[10:11]
.LBB839_676:
	s_or_b64 exec, exec, s[8:9]
.LBB839_677:
	s_or_b64 exec, exec, s[2:3]
	s_movk_i32 s2, 0xff
	v_and_b32_sdwa v20, v9, s2 dst_sel:DWORD dst_unused:UNUSED_PAD src0_sel:WORD_1 src1_sel:DWORD
	v_lshrrev_b32_e32 v6, 16, v9
	v_cmp_ne_u16_e32 vcc, 0, v20
	v_mov_b32_e32 v18, 0
	v_mov_b32_e32 v19, 0
	s_and_saveexec_b64 s[2:3], vcc
	s_cbranch_execz .LBB839_683
; %bb.678:
	s_movk_i32 s7, 0x80
	v_cmp_ne_u16_e32 vcc, s7, v20
	v_mov_b32_e32 v19, 0xffff8000
	s_and_saveexec_b64 s[8:9], vcc
	s_cbranch_execz .LBB839_682
; %bb.679:
	v_bfe_u32 v20, v9, 16, 7
	s_movk_i32 s7, 0x7f
	v_cmp_ne_u32_e32 vcc, s7, v20
	v_mov_b32_e32 v19, 0x7f80
	s_and_saveexec_b64 s[10:11], vcc
	s_cbranch_execz .LBB839_681
; %bb.680:
	v_and_b32_e32 v19, 7, v6
	v_ffbh_u32_e32 v23, v19
	v_min_u32_e32 v23, 32, v23
	v_subrev_u32_e32 v24, 28, v23
	v_lshlrev_b64 v[24:25], v24, v[6:7]
	v_lshrrev_b32_e32 v21, 3, v20
	v_sub_u32_e32 v6, 29, v23
	v_and_b32_e32 v23, 7, v24
	v_cmp_gt_u32_e32 vcc, 8, v20
	v_mov_b32_e32 v20, 24
	v_cndmask_b32_e32 v6, v21, v6, vcc
	v_cndmask_b32_e32 v19, v19, v23, vcc
	v_lshlrev_b32_sdwa v20, v20, v9 dst_sel:DWORD dst_unused:UNUSED_PAD src0_sel:DWORD src1_sel:WORD_1
	v_bfrev_b32_e32 v21, 60
	v_lshlrev_b32_e32 v19, 20, v19
	v_and_b32_e32 v20, 0x80000000, v20
	v_lshl_add_u32 v6, v6, 23, v21
	v_or3_b32 v6, v20, v6, v19
	v_lshrrev_b32_e32 v19, 16, v6
.LBB839_681:
	s_or_b64 exec, exec, s[10:11]
.LBB839_682:
	s_or_b64 exec, exec, s[8:9]
.LBB839_683:
	s_or_b64 exec, exec, s[2:3]
	s_mov_b32 s2, 0xffffff
	v_cmp_lt_u32_e32 vcc, s2, v9
	s_and_saveexec_b64 s[2:3], vcc
	s_cbranch_execz .LBB839_689
; %bb.684:
	v_lshrrev_b32_e32 v6, 24, v9
	s_movk_i32 s7, 0x80
	v_cmp_ne_u32_e32 vcc, s7, v6
	v_mov_b32_e32 v18, 0xffff8000
	s_and_saveexec_b64 s[8:9], vcc
	s_cbranch_execz .LBB839_688
; %bb.685:
	v_bfe_u32 v9, v9, 24, 7
	s_movk_i32 s7, 0x7f
	v_cmp_ne_u32_e32 vcc, s7, v9
	v_mov_b32_e32 v18, 0x7f80
	s_and_saveexec_b64 s[10:11], vcc
	s_cbranch_execz .LBB839_687
; %bb.686:
	v_and_b32_e32 v18, 7, v6
	v_ffbh_u32_e32 v20, v18
	v_min_u32_e32 v24, 32, v20
	v_subrev_u32_e32 v20, 28, v24
	v_lshlrev_b64 v[20:21], v20, v[6:7]
	v_lshrrev_b32_e32 v23, 3, v9
	v_sub_u32_e32 v21, 29, v24
	v_and_b32_e32 v20, 7, v20
	v_cmp_gt_u32_e32 vcc, 8, v9
	v_cndmask_b32_e32 v9, v23, v21, vcc
	v_cndmask_b32_e32 v18, v18, v20, vcc
	v_lshlrev_b32_e32 v6, 24, v6
	v_bfrev_b32_e32 v20, 60
	v_lshlrev_b32_e32 v18, 20, v18
	v_and_b32_e32 v6, 0x80000000, v6
	v_lshl_add_u32 v9, v9, 23, v20
	v_or3_b32 v6, v6, v9, v18
	v_lshrrev_b32_e32 v18, 16, v6
.LBB839_687:
	s_or_b64 exec, exec, s[10:11]
.LBB839_688:
	s_or_b64 exec, exec, s[8:9]
.LBB839_689:
	s_or_b64 exec, exec, s[2:3]
	s_mov_b32 s2, 0x5040100
	v_perm_b32 v15, v15, v16, s2
	v_perm_b32 v14, v7, v14, s2
	ds_read_b128 v[28:31], v22 offset:4112
	v_perm_b32 v7, v18, v19, s2
	v_perm_b32 v6, v8, v17, s2
	s_waitcnt lgkmcnt(0)
	v_mfma_f32_16x16x16bf16_1k v[32:35], v[14:15], v[28:29], v[10:13]
	s_nop 6
	v_mov_b32_e32 v11, 0
	s_waitcnt vmcnt(0)
	v_cmp_ne_u16_sdwa s[8:9], v2, v11 src0_sel:BYTE_0 src1_sel:DWORD
	v_mfma_f32_16x16x16bf16_1k v[6:9], v[6:7], v[30:31], v[32:35]
	v_mov_b32_e32 v12, 0
	s_and_saveexec_b64 s[2:3], s[8:9]
	s_cbranch_execz .LBB839_695
; %bb.690:
	s_movk_i32 s7, 0x80
	v_cmp_ne_u16_sdwa s[10:11], v2, s7 src0_sel:BYTE_0 src1_sel:DWORD
	v_mov_b32_e32 v12, 0xffff8000
	s_and_saveexec_b64 s[8:9], s[10:11]
	s_cbranch_execz .LBB839_694
; %bb.691:
	s_movk_i32 s7, 0x7f
	v_and_b32_e32 v10, 0x7f, v2
	v_cmp_ne_u32_e32 vcc, s7, v10
	v_mov_b32_e32 v12, 0x7f80
	s_and_saveexec_b64 s[10:11], vcc
	s_cbranch_execz .LBB839_693
; %bb.692:
	v_and_b32_e32 v14, 7, v2
	v_ffbh_u32_e32 v12, v14
	v_min_u32_e32 v16, 32, v12
	v_subrev_u32_e32 v12, 28, v16
	v_lshlrev_b64 v[12:13], v12, v[2:3]
	v_lshrrev_b32_e32 v15, 3, v10
	v_sub_u32_e32 v13, 29, v16
	v_and_b32_e32 v12, 7, v12
	v_cmp_gt_u32_e32 vcc, 8, v10
	v_cndmask_b32_e32 v10, v15, v13, vcc
	v_cndmask_b32_e32 v12, v14, v12, vcc
	v_lshlrev_b32_e32 v13, 24, v2
	v_bfrev_b32_e32 v14, 60
	v_lshlrev_b32_e32 v12, 20, v12
	v_and_b32_e32 v13, 0x80000000, v13
	v_lshl_add_u32 v10, v10, 23, v14
	v_or3_b32 v10, v13, v10, v12
	v_lshrrev_b32_e32 v12, 16, v10
.LBB839_693:
	s_or_b64 exec, exec, s[10:11]
.LBB839_694:
	s_or_b64 exec, exec, s[8:9]
.LBB839_695:
	s_or_b64 exec, exec, s[2:3]
	v_lshrrev_b16_e32 v10, 8, v2
	v_cmp_ne_u16_e32 vcc, 0, v10
	s_and_saveexec_b64 s[2:3], vcc
	s_cbranch_execz .LBB839_701
; %bb.696:
	s_movk_i32 s7, 0x80
	v_cmp_ne_u16_e32 vcc, s7, v10
	v_mov_b32_e32 v11, 0xffff8000
	s_and_saveexec_b64 s[8:9], vcc
	s_cbranch_execz .LBB839_700
; %bb.697:
	s_movk_i32 s7, 0x7f
	v_and_b32_e32 v13, 0x7f, v10
	v_cmp_ne_u32_e32 vcc, s7, v13
	v_mov_b32_e32 v11, 0x7f80
	s_and_saveexec_b64 s[10:11], vcc
	s_cbranch_execz .LBB839_699
; %bb.698:
	v_and_b32_e32 v14, 7, v10
	v_ffbh_u32_e32 v11, v14
	v_min_u32_e32 v16, 32, v11
	v_subrev_u32_e32 v11, 28, v16
	v_lshlrev_b64 v[10:11], v11, v[10:11]
	v_lshrrev_b32_e32 v15, 3, v13
	v_sub_u32_e32 v11, 29, v16
	v_and_b32_e32 v10, 7, v10
	v_cmp_gt_u32_e32 vcc, 8, v13
	v_cndmask_b32_e32 v11, v15, v11, vcc
	v_cndmask_b32_e32 v10, v14, v10, vcc
	v_lshlrev_b32_e32 v13, 16, v2
	v_bfrev_b32_e32 v14, 60
	v_lshlrev_b32_e32 v10, 20, v10
	v_and_b32_e32 v13, 0x80000000, v13
	v_lshl_add_u32 v11, v11, 23, v14
	v_or3_b32 v10, v13, v11, v10
	v_lshrrev_b32_e32 v11, 16, v10
.LBB839_699:
	s_or_b64 exec, exec, s[10:11]
.LBB839_700:
	s_or_b64 exec, exec, s[8:9]
.LBB839_701:
	s_or_b64 exec, exec, s[2:3]
	s_movk_i32 s2, 0xff
	v_and_b32_sdwa v15, v2, s2 dst_sel:DWORD dst_unused:UNUSED_PAD src0_sel:WORD_1 src1_sel:DWORD
	v_lshrrev_b32_e32 v10, 16, v2
	v_cmp_ne_u16_e32 vcc, 0, v15
	v_mov_b32_e32 v13, 0
	v_mov_b32_e32 v14, 0
	s_and_saveexec_b64 s[2:3], vcc
	s_cbranch_execz .LBB839_707
; %bb.702:
	s_movk_i32 s7, 0x80
	v_cmp_ne_u16_e32 vcc, s7, v15
	v_mov_b32_e32 v14, 0xffff8000
	s_and_saveexec_b64 s[8:9], vcc
	s_cbranch_execz .LBB839_706
; %bb.703:
	v_bfe_u32 v15, v2, 16, 7
	s_movk_i32 s7, 0x7f
	v_cmp_ne_u32_e32 vcc, s7, v15
	v_mov_b32_e32 v14, 0x7f80
	s_and_saveexec_b64 s[10:11], vcc
	s_cbranch_execz .LBB839_705
; %bb.704:
	v_and_b32_e32 v14, 7, v10
	v_ffbh_u32_e32 v16, v14
	v_min_u32_e32 v19, 32, v16
	v_subrev_u32_e32 v16, 28, v19
	v_lshlrev_b64 v[16:17], v16, v[10:11]
	v_lshrrev_b32_e32 v18, 3, v15
	v_sub_u32_e32 v10, 29, v19
	v_and_b32_e32 v16, 7, v16
	v_cmp_gt_u32_e32 vcc, 8, v15
	v_mov_b32_e32 v15, 24
	v_cndmask_b32_e32 v10, v18, v10, vcc
	v_cndmask_b32_e32 v14, v14, v16, vcc
	v_lshlrev_b32_sdwa v15, v15, v2 dst_sel:DWORD dst_unused:UNUSED_PAD src0_sel:DWORD src1_sel:WORD_1
	v_bfrev_b32_e32 v16, 60
	v_lshlrev_b32_e32 v14, 20, v14
	v_and_b32_e32 v15, 0x80000000, v15
	v_lshl_add_u32 v10, v10, 23, v16
	v_or3_b32 v10, v15, v10, v14
	v_lshrrev_b32_e32 v14, 16, v10
.LBB839_705:
	s_or_b64 exec, exec, s[10:11]
.LBB839_706:
	s_or_b64 exec, exec, s[8:9]
.LBB839_707:
	s_or_b64 exec, exec, s[2:3]
	s_mov_b32 s2, 0xffffff
	v_cmp_lt_u32_e32 vcc, s2, v2
	s_and_saveexec_b64 s[2:3], vcc
	s_cbranch_execz .LBB839_713
; %bb.708:
	v_lshrrev_b32_e32 v10, 24, v2
	s_movk_i32 s7, 0x80
	v_cmp_ne_u32_e32 vcc, s7, v10
	v_mov_b32_e32 v13, 0xffff8000
	s_and_saveexec_b64 s[8:9], vcc
	s_cbranch_execz .LBB839_712
; %bb.709:
	v_bfe_u32 v2, v2, 24, 7
	s_movk_i32 s7, 0x7f
	v_cmp_ne_u32_e32 vcc, s7, v2
	v_mov_b32_e32 v13, 0x7f80
	s_and_saveexec_b64 s[10:11], vcc
	s_cbranch_execz .LBB839_711
; %bb.710:
	v_and_b32_e32 v13, 7, v10
	v_ffbh_u32_e32 v16, v13
	v_min_u32_e32 v18, 32, v16
	v_subrev_u32_e32 v16, 28, v18
	v_lshlrev_b64 v[16:17], v16, v[10:11]
	v_lshrrev_b32_e32 v15, 3, v2
	v_sub_u32_e32 v17, 29, v18
	v_and_b32_e32 v16, 7, v16
	v_cmp_gt_u32_e32 vcc, 8, v2
	v_cndmask_b32_e32 v2, v15, v17, vcc
	v_cndmask_b32_e32 v13, v13, v16, vcc
	v_lshlrev_b32_e32 v10, 24, v10
	v_bfrev_b32_e32 v15, 60
	v_lshlrev_b32_e32 v13, 20, v13
	v_and_b32_e32 v10, 0x80000000, v10
	v_lshl_add_u32 v2, v2, 23, v15
	v_or3_b32 v2, v10, v2, v13
	v_lshrrev_b32_e32 v13, 16, v2
.LBB839_711:
	s_or_b64 exec, exec, s[10:11]
.LBB839_712:
	s_or_b64 exec, exec, s[8:9]
.LBB839_713:
	s_or_b64 exec, exec, s[2:3]
	v_mov_b32_e32 v10, 0
	v_cmp_ne_u16_sdwa s[8:9], v3, v10 src0_sel:BYTE_0 src1_sel:DWORD
	v_mov_b32_e32 v15, 0
	s_and_saveexec_b64 s[2:3], s[8:9]
	s_cbranch_execz .LBB839_719
; %bb.714:
	s_movk_i32 s7, 0x80
	v_cmp_ne_u16_sdwa s[10:11], v3, s7 src0_sel:BYTE_0 src1_sel:DWORD
	v_mov_b32_e32 v15, 0xffff8000
	s_and_saveexec_b64 s[8:9], s[10:11]
	s_cbranch_execz .LBB839_718
; %bb.715:
	s_movk_i32 s7, 0x7f
	v_and_b32_e32 v2, 0x7f, v3
	v_cmp_ne_u32_e32 vcc, s7, v2
	v_mov_b32_e32 v15, 0x7f80
	s_and_saveexec_b64 s[10:11], vcc
	s_cbranch_execz .LBB839_717
; %bb.716:
	v_and_b32_e32 v15, 7, v3
	v_ffbh_u32_e32 v17, v15
	v_min_u32_e32 v19, 32, v17
	v_mov_b32_e32 v16, v3
	v_subrev_u32_e32 v17, 28, v19
	v_lshlrev_b64 v[16:17], v17, v[16:17]
	v_lshrrev_b32_e32 v18, 3, v2
	v_sub_u32_e32 v17, 29, v19
	v_and_b32_e32 v16, 7, v16
	v_cmp_gt_u32_e32 vcc, 8, v2
	v_cndmask_b32_e32 v2, v18, v17, vcc
	v_cndmask_b32_e32 v15, v15, v16, vcc
	v_lshlrev_b32_e32 v16, 24, v3
	v_bfrev_b32_e32 v17, 60
	v_lshlrev_b32_e32 v15, 20, v15
	v_and_b32_e32 v16, 0x80000000, v16
	v_lshl_add_u32 v2, v2, 23, v17
	v_or3_b32 v2, v16, v2, v15
	v_lshrrev_b32_e32 v15, 16, v2
.LBB839_717:
	s_or_b64 exec, exec, s[10:11]
.LBB839_718:
	s_or_b64 exec, exec, s[8:9]
.LBB839_719:
	s_or_b64 exec, exec, s[2:3]
	v_lshrrev_b16_e32 v2, 8, v3
	v_cmp_ne_u16_e32 vcc, 0, v2
	s_and_saveexec_b64 s[2:3], vcc
	s_cbranch_execz .LBB839_725
; %bb.720:
	s_movk_i32 s7, 0x80
	v_cmp_ne_u16_e32 vcc, s7, v2
	v_mov_b32_e32 v10, 0xffff8000
	s_and_saveexec_b64 s[8:9], vcc
	s_cbranch_execz .LBB839_724
; %bb.721:
	s_movk_i32 s7, 0x7f
	v_and_b32_e32 v16, 0x7f, v2
	v_cmp_ne_u32_e32 vcc, s7, v16
	v_mov_b32_e32 v10, 0x7f80
	s_and_saveexec_b64 s[10:11], vcc
	s_cbranch_execz .LBB839_723
; %bb.722:
	v_and_b32_e32 v10, 7, v2
	v_ffbh_u32_e32 v18, v10
	v_min_u32_e32 v20, 32, v18
	v_subrev_u32_e32 v18, 28, v20
	v_lshlrev_b64 v[18:19], v18, v[2:3]
	v_lshrrev_b32_e32 v17, 3, v16
	v_sub_u32_e32 v2, 29, v20
	v_and_b32_e32 v18, 7, v18
	v_cmp_gt_u32_e32 vcc, 8, v16
	v_cndmask_b32_e32 v2, v17, v2, vcc
	v_cndmask_b32_e32 v10, v10, v18, vcc
	v_lshlrev_b32_e32 v16, 16, v3
	v_bfrev_b32_e32 v17, 60
	v_lshlrev_b32_e32 v10, 20, v10
	v_and_b32_e32 v16, 0x80000000, v16
	v_lshl_add_u32 v2, v2, 23, v17
	v_or3_b32 v2, v16, v2, v10
	v_lshrrev_b32_e32 v10, 16, v2
.LBB839_723:
	s_or_b64 exec, exec, s[10:11]
.LBB839_724:
	s_or_b64 exec, exec, s[8:9]
.LBB839_725:
	s_or_b64 exec, exec, s[2:3]
	s_movk_i32 s2, 0xff
	v_and_b32_sdwa v18, v3, s2 dst_sel:DWORD dst_unused:UNUSED_PAD src0_sel:WORD_1 src1_sel:DWORD
	v_lshrrev_b32_e32 v2, 16, v3
	v_cmp_ne_u16_e32 vcc, 0, v18
	v_mov_b32_e32 v16, 0
	v_mov_b32_e32 v17, 0
	s_and_saveexec_b64 s[2:3], vcc
	s_cbranch_execz .LBB839_731
; %bb.726:
	s_movk_i32 s7, 0x80
	v_cmp_ne_u16_e32 vcc, s7, v18
	v_mov_b32_e32 v17, 0xffff8000
	s_and_saveexec_b64 s[8:9], vcc
	s_cbranch_execz .LBB839_730
; %bb.727:
	v_bfe_u32 v18, v3, 16, 7
	s_movk_i32 s7, 0x7f
	v_cmp_ne_u32_e32 vcc, s7, v18
	v_mov_b32_e32 v17, 0x7f80
	s_and_saveexec_b64 s[10:11], vcc
	s_cbranch_execz .LBB839_729
; %bb.728:
	v_and_b32_e32 v17, 7, v2
	v_ffbh_u32_e32 v20, v17
	v_min_u32_e32 v23, 32, v20
	v_subrev_u32_e32 v20, 28, v23
	v_lshlrev_b64 v[20:21], v20, v[2:3]
	v_lshrrev_b32_e32 v19, 3, v18
	v_sub_u32_e32 v2, 29, v23
	v_and_b32_e32 v20, 7, v20
	v_cmp_gt_u32_e32 vcc, 8, v18
	v_mov_b32_e32 v18, 24
	v_cndmask_b32_e32 v2, v19, v2, vcc
	v_cndmask_b32_e32 v17, v17, v20, vcc
	v_lshlrev_b32_sdwa v18, v18, v3 dst_sel:DWORD dst_unused:UNUSED_PAD src0_sel:DWORD src1_sel:WORD_1
	v_bfrev_b32_e32 v19, 60
	v_lshlrev_b32_e32 v17, 20, v17
	v_and_b32_e32 v18, 0x80000000, v18
	v_lshl_add_u32 v2, v2, 23, v19
	v_or3_b32 v2, v18, v2, v17
	v_lshrrev_b32_e32 v17, 16, v2
.LBB839_729:
	s_or_b64 exec, exec, s[10:11]
.LBB839_730:
	s_or_b64 exec, exec, s[8:9]
.LBB839_731:
	s_or_b64 exec, exec, s[2:3]
	s_mov_b32 s2, 0xffffff
	v_cmp_lt_u32_e32 vcc, s2, v3
	s_and_saveexec_b64 s[2:3], vcc
	s_cbranch_execz .LBB839_737
; %bb.732:
	v_lshrrev_b32_e32 v2, 24, v3
	s_movk_i32 s7, 0x80
	v_cmp_ne_u32_e32 vcc, s7, v2
	v_mov_b32_e32 v16, 0xffff8000
	s_and_saveexec_b64 s[8:9], vcc
	s_cbranch_execz .LBB839_736
; %bb.733:
	v_bfe_u32 v3, v3, 24, 7
	s_movk_i32 s7, 0x7f
	v_cmp_ne_u32_e32 vcc, s7, v3
	v_mov_b32_e32 v16, 0x7f80
	s_and_saveexec_b64 s[10:11], vcc
	s_cbranch_execz .LBB839_735
; %bb.734:
	v_and_b32_e32 v16, 7, v2
	v_ffbh_u32_e32 v18, v16
	v_min_u32_e32 v21, 32, v18
	v_subrev_u32_e32 v18, 28, v21
	v_lshlrev_b64 v[18:19], v18, v[2:3]
	v_lshrrev_b32_e32 v20, 3, v3
	v_sub_u32_e32 v19, 29, v21
	v_and_b32_e32 v18, 7, v18
	v_cmp_gt_u32_e32 vcc, 8, v3
	v_cndmask_b32_e32 v3, v20, v19, vcc
	v_cndmask_b32_e32 v16, v16, v18, vcc
	v_lshlrev_b32_e32 v2, 24, v2
	v_bfrev_b32_e32 v18, 60
	v_lshlrev_b32_e32 v16, 20, v16
	v_and_b32_e32 v2, 0x80000000, v2
	v_lshl_add_u32 v3, v3, 23, v18
	v_or3_b32 v2, v2, v3, v16
	v_lshrrev_b32_e32 v16, 16, v2
.LBB839_735:
	s_or_b64 exec, exec, s[10:11]
.LBB839_736:
	s_or_b64 exec, exec, s[8:9]
.LBB839_737:
	s_or_b64 exec, exec, s[2:3]
	s_mov_b32 s2, 0x5040100
	v_perm_b32 v3, v13, v14, s2
	v_perm_b32 v2, v11, v12, s2
	ds_read_b128 v[18:21], v22 offset:6144
	v_perm_b32 v13, v16, v17, s2
	v_perm_b32 v12, v10, v15, s2
	s_waitcnt lgkmcnt(0)
	v_mfma_f32_16x16x16bf16_1k v[6:9], v[2:3], v[18:19], v[6:9]
	v_mov_b32_e32 v3, 0
	v_cmp_ne_u16_sdwa s[8:9], v4, v3 src0_sel:BYTE_0 src1_sel:DWORD
	v_mov_b32_e32 v10, 0
	v_mfma_f32_16x16x16bf16_1k v[6:9], v[12:13], v[20:21], v[6:9]
	s_and_saveexec_b64 s[2:3], s[8:9]
	s_cbranch_execz .LBB839_743
; %bb.738:
	s_movk_i32 s7, 0x80
	v_cmp_ne_u16_sdwa s[10:11], v4, s7 src0_sel:BYTE_0 src1_sel:DWORD
	v_mov_b32_e32 v10, 0xffff8000
	s_and_saveexec_b64 s[8:9], s[10:11]
	s_cbranch_execz .LBB839_742
; %bb.739:
	s_movk_i32 s7, 0x7f
	v_and_b32_e32 v2, 0x7f, v4
	v_cmp_ne_u32_e32 vcc, s7, v2
	v_mov_b32_e32 v10, 0x7f80
	s_and_saveexec_b64 s[10:11], vcc
	s_cbranch_execz .LBB839_741
; %bb.740:
	v_and_b32_e32 v12, 7, v4
	v_ffbh_u32_e32 v10, v12
	v_min_u32_e32 v14, 32, v10
	v_subrev_u32_e32 v10, 28, v14
	v_lshlrev_b64 v[10:11], v10, v[4:5]
	v_lshrrev_b32_e32 v13, 3, v2
	v_sub_u32_e32 v11, 29, v14
	v_and_b32_e32 v10, 7, v10
	v_cmp_gt_u32_e32 vcc, 8, v2
	v_cndmask_b32_e32 v2, v13, v11, vcc
	v_cndmask_b32_e32 v10, v12, v10, vcc
	v_lshlrev_b32_e32 v11, 24, v4
	v_bfrev_b32_e32 v12, 60
	v_lshlrev_b32_e32 v10, 20, v10
	v_and_b32_e32 v11, 0x80000000, v11
	v_lshl_add_u32 v2, v2, 23, v12
	v_or3_b32 v2, v11, v2, v10
	v_lshrrev_b32_e32 v10, 16, v2
.LBB839_741:
	s_or_b64 exec, exec, s[10:11]
.LBB839_742:
	s_or_b64 exec, exec, s[8:9]
.LBB839_743:
	s_or_b64 exec, exec, s[2:3]
	v_lshrrev_b16_e32 v2, 8, v4
	v_cmp_ne_u16_e32 vcc, 0, v2
	s_and_saveexec_b64 s[2:3], vcc
	s_cbranch_execz .LBB839_749
; %bb.744:
	s_movk_i32 s7, 0x80
	v_cmp_ne_u16_e32 vcc, s7, v2
	v_mov_b32_e32 v3, 0xffff8000
	s_and_saveexec_b64 s[8:9], vcc
	s_cbranch_execz .LBB839_748
; %bb.745:
	s_movk_i32 s7, 0x7f
	v_and_b32_e32 v11, 0x7f, v2
	v_cmp_ne_u32_e32 vcc, s7, v11
	v_mov_b32_e32 v3, 0x7f80
	s_and_saveexec_b64 s[10:11], vcc
	s_cbranch_execz .LBB839_747
; %bb.746:
	v_and_b32_e32 v12, 7, v2
	v_ffbh_u32_e32 v3, v12
	v_min_u32_e32 v14, 32, v3
	v_subrev_u32_e32 v3, 28, v14
	v_lshlrev_b64 v[2:3], v3, v[2:3]
	v_lshrrev_b32_e32 v13, 3, v11
	v_sub_u32_e32 v3, 29, v14
	v_and_b32_e32 v2, 7, v2
	v_cmp_gt_u32_e32 vcc, 8, v11
	v_cndmask_b32_e32 v3, v13, v3, vcc
	v_cndmask_b32_e32 v2, v12, v2, vcc
	v_lshlrev_b32_e32 v11, 16, v4
	v_bfrev_b32_e32 v12, 60
	v_lshlrev_b32_e32 v2, 20, v2
	v_and_b32_e32 v11, 0x80000000, v11
	v_lshl_add_u32 v3, v3, 23, v12
	v_or3_b32 v2, v11, v3, v2
	v_lshrrev_b32_e32 v3, 16, v2
.LBB839_747:
	s_or_b64 exec, exec, s[10:11]
.LBB839_748:
	s_or_b64 exec, exec, s[8:9]
.LBB839_749:
	s_or_b64 exec, exec, s[2:3]
	s_movk_i32 s2, 0xff
	v_and_b32_sdwa v13, v4, s2 dst_sel:DWORD dst_unused:UNUSED_PAD src0_sel:WORD_1 src1_sel:DWORD
	v_lshrrev_b32_e32 v2, 16, v4
	v_cmp_ne_u16_e32 vcc, 0, v13
	v_mov_b32_e32 v11, 0
	v_mov_b32_e32 v12, 0
	s_and_saveexec_b64 s[2:3], vcc
	s_cbranch_execz .LBB839_755
; %bb.750:
	s_movk_i32 s7, 0x80
	v_cmp_ne_u16_e32 vcc, s7, v13
	v_mov_b32_e32 v12, 0xffff8000
	s_and_saveexec_b64 s[8:9], vcc
	s_cbranch_execz .LBB839_754
; %bb.751:
	v_bfe_u32 v13, v4, 16, 7
	s_movk_i32 s7, 0x7f
	v_cmp_ne_u32_e32 vcc, s7, v13
	v_mov_b32_e32 v12, 0x7f80
	s_and_saveexec_b64 s[10:11], vcc
	s_cbranch_execz .LBB839_753
; %bb.752:
	v_and_b32_e32 v12, 7, v2
	v_ffbh_u32_e32 v14, v12
	v_min_u32_e32 v17, 32, v14
	v_subrev_u32_e32 v14, 28, v17
	v_lshlrev_b64 v[14:15], v14, v[2:3]
	v_lshrrev_b32_e32 v16, 3, v13
	v_sub_u32_e32 v2, 29, v17
	v_and_b32_e32 v14, 7, v14
	v_cmp_gt_u32_e32 vcc, 8, v13
	v_mov_b32_e32 v13, 24
	v_cndmask_b32_e32 v2, v16, v2, vcc
	v_cndmask_b32_e32 v12, v12, v14, vcc
	v_lshlrev_b32_sdwa v13, v13, v4 dst_sel:DWORD dst_unused:UNUSED_PAD src0_sel:DWORD src1_sel:WORD_1
	v_bfrev_b32_e32 v14, 60
	v_lshlrev_b32_e32 v12, 20, v12
	v_and_b32_e32 v13, 0x80000000, v13
	v_lshl_add_u32 v2, v2, 23, v14
	v_or3_b32 v2, v13, v2, v12
	v_lshrrev_b32_e32 v12, 16, v2
.LBB839_753:
	s_or_b64 exec, exec, s[10:11]
.LBB839_754:
	s_or_b64 exec, exec, s[8:9]
.LBB839_755:
	s_or_b64 exec, exec, s[2:3]
	s_mov_b32 s2, 0xffffff
	v_cmp_lt_u32_e32 vcc, s2, v4
	s_and_saveexec_b64 s[2:3], vcc
	s_cbranch_execz .LBB839_761
; %bb.756:
	v_lshrrev_b32_e32 v2, 24, v4
	s_movk_i32 s7, 0x80
	v_cmp_ne_u32_e32 vcc, s7, v2
	v_mov_b32_e32 v11, 0xffff8000
	s_and_saveexec_b64 s[8:9], vcc
	s_cbranch_execz .LBB839_760
; %bb.757:
	v_bfe_u32 v4, v4, 24, 7
	s_movk_i32 s7, 0x7f
	v_cmp_ne_u32_e32 vcc, s7, v4
	v_mov_b32_e32 v11, 0x7f80
	s_and_saveexec_b64 s[10:11], vcc
	s_cbranch_execz .LBB839_759
; %bb.758:
	v_and_b32_e32 v11, 7, v2
	v_ffbh_u32_e32 v14, v11
	v_min_u32_e32 v16, 32, v14
	v_subrev_u32_e32 v14, 28, v16
	v_lshlrev_b64 v[14:15], v14, v[2:3]
	v_lshrrev_b32_e32 v13, 3, v4
	v_sub_u32_e32 v15, 29, v16
	v_and_b32_e32 v14, 7, v14
	v_cmp_gt_u32_e32 vcc, 8, v4
	v_cndmask_b32_e32 v4, v13, v15, vcc
	v_cndmask_b32_e32 v11, v11, v14, vcc
	v_lshlrev_b32_e32 v2, 24, v2
	v_bfrev_b32_e32 v13, 60
	v_lshlrev_b32_e32 v11, 20, v11
	v_and_b32_e32 v2, 0x80000000, v2
	v_lshl_add_u32 v4, v4, 23, v13
	v_or3_b32 v2, v2, v4, v11
	v_lshrrev_b32_e32 v11, 16, v2
.LBB839_759:
	s_or_b64 exec, exec, s[10:11]
.LBB839_760:
	s_or_b64 exec, exec, s[8:9]
.LBB839_761:
	s_or_b64 exec, exec, s[2:3]
	v_mov_b32_e32 v4, 0
	v_cmp_ne_u16_sdwa s[8:9], v5, v4 src0_sel:BYTE_0 src1_sel:DWORD
	v_mov_b32_e32 v13, 0
	s_and_saveexec_b64 s[2:3], s[8:9]
	s_cbranch_execz .LBB839_767
; %bb.762:
	s_movk_i32 s7, 0x80
	v_cmp_ne_u16_sdwa s[10:11], v5, s7 src0_sel:BYTE_0 src1_sel:DWORD
	v_mov_b32_e32 v13, 0xffff8000
	s_and_saveexec_b64 s[8:9], s[10:11]
	s_cbranch_execz .LBB839_766
; %bb.763:
	s_movk_i32 s7, 0x7f
	v_and_b32_e32 v2, 0x7f, v5
	v_cmp_ne_u32_e32 vcc, s7, v2
	v_mov_b32_e32 v13, 0x7f80
	s_and_saveexec_b64 s[10:11], vcc
	s_cbranch_execz .LBB839_765
; %bb.764:
	v_and_b32_e32 v13, 7, v5
	v_ffbh_u32_e32 v15, v13
	v_min_u32_e32 v17, 32, v15
	v_mov_b32_e32 v14, v5
	v_subrev_u32_e32 v15, 28, v17
	v_lshlrev_b64 v[14:15], v15, v[14:15]
	v_lshrrev_b32_e32 v16, 3, v2
	v_sub_u32_e32 v15, 29, v17
	v_and_b32_e32 v14, 7, v14
	v_cmp_gt_u32_e32 vcc, 8, v2
	v_cndmask_b32_e32 v2, v16, v15, vcc
	v_cndmask_b32_e32 v13, v13, v14, vcc
	v_lshlrev_b32_e32 v14, 24, v5
	v_bfrev_b32_e32 v15, 60
	v_lshlrev_b32_e32 v13, 20, v13
	v_and_b32_e32 v14, 0x80000000, v14
	v_lshl_add_u32 v2, v2, 23, v15
	v_or3_b32 v2, v14, v2, v13
	v_lshrrev_b32_e32 v13, 16, v2
.LBB839_765:
	s_or_b64 exec, exec, s[10:11]
.LBB839_766:
	s_or_b64 exec, exec, s[8:9]
.LBB839_767:
	s_or_b64 exec, exec, s[2:3]
	v_lshrrev_b16_e32 v2, 8, v5
	v_cmp_ne_u16_e32 vcc, 0, v2
	s_and_saveexec_b64 s[2:3], vcc
	s_cbranch_execz .LBB839_773
; %bb.768:
	s_movk_i32 s7, 0x80
	v_cmp_ne_u16_e32 vcc, s7, v2
	v_mov_b32_e32 v4, 0xffff8000
	s_and_saveexec_b64 s[8:9], vcc
	s_cbranch_execz .LBB839_772
; %bb.769:
	s_movk_i32 s7, 0x7f
	v_and_b32_e32 v14, 0x7f, v2
	v_cmp_ne_u32_e32 vcc, s7, v14
	v_mov_b32_e32 v4, 0x7f80
	s_and_saveexec_b64 s[10:11], vcc
	s_cbranch_execz .LBB839_771
; %bb.770:
	v_and_b32_e32 v4, 7, v2
	v_ffbh_u32_e32 v16, v4
	v_min_u32_e32 v18, 32, v16
	v_subrev_u32_e32 v16, 28, v18
	v_lshlrev_b64 v[16:17], v16, v[2:3]
	v_lshrrev_b32_e32 v15, 3, v14
	v_sub_u32_e32 v2, 29, v18
	v_and_b32_e32 v16, 7, v16
	v_cmp_gt_u32_e32 vcc, 8, v14
	v_cndmask_b32_e32 v2, v15, v2, vcc
	v_cndmask_b32_e32 v4, v4, v16, vcc
	v_lshlrev_b32_e32 v14, 16, v5
	v_bfrev_b32_e32 v15, 60
	v_lshlrev_b32_e32 v4, 20, v4
	v_and_b32_e32 v14, 0x80000000, v14
	v_lshl_add_u32 v2, v2, 23, v15
	v_or3_b32 v2, v14, v2, v4
	v_lshrrev_b32_e32 v4, 16, v2
.LBB839_771:
	s_or_b64 exec, exec, s[10:11]
.LBB839_772:
	s_or_b64 exec, exec, s[8:9]
.LBB839_773:
	s_or_b64 exec, exec, s[2:3]
	s_movk_i32 s2, 0xff
	v_and_b32_sdwa v16, v5, s2 dst_sel:DWORD dst_unused:UNUSED_PAD src0_sel:WORD_1 src1_sel:DWORD
	v_lshrrev_b32_e32 v2, 16, v5
	v_cmp_ne_u16_e32 vcc, 0, v16
	v_mov_b32_e32 v14, 0
	v_mov_b32_e32 v15, 0
	s_and_saveexec_b64 s[2:3], vcc
	s_cbranch_execz .LBB839_779
; %bb.774:
	s_movk_i32 s7, 0x80
	v_cmp_ne_u16_e32 vcc, s7, v16
	v_mov_b32_e32 v15, 0xffff8000
	s_and_saveexec_b64 s[8:9], vcc
	s_cbranch_execz .LBB839_778
; %bb.775:
	v_bfe_u32 v16, v5, 16, 7
	s_movk_i32 s7, 0x7f
	v_cmp_ne_u32_e32 vcc, s7, v16
	v_mov_b32_e32 v15, 0x7f80
	s_and_saveexec_b64 s[10:11], vcc
	s_cbranch_execz .LBB839_777
; %bb.776:
	v_and_b32_e32 v15, 7, v2
	v_ffbh_u32_e32 v18, v15
	v_min_u32_e32 v20, 32, v18
	v_subrev_u32_e32 v18, 28, v20
	v_lshlrev_b64 v[18:19], v18, v[2:3]
	v_lshrrev_b32_e32 v17, 3, v16
	v_sub_u32_e32 v2, 29, v20
	v_and_b32_e32 v18, 7, v18
	v_cmp_gt_u32_e32 vcc, 8, v16
	v_mov_b32_e32 v16, 24
	v_cndmask_b32_e32 v2, v17, v2, vcc
	v_cndmask_b32_e32 v15, v15, v18, vcc
	v_lshlrev_b32_sdwa v16, v16, v5 dst_sel:DWORD dst_unused:UNUSED_PAD src0_sel:DWORD src1_sel:WORD_1
	v_bfrev_b32_e32 v17, 60
	v_lshlrev_b32_e32 v15, 20, v15
	v_and_b32_e32 v16, 0x80000000, v16
	v_lshl_add_u32 v2, v2, 23, v17
	v_or3_b32 v2, v16, v2, v15
	v_lshrrev_b32_e32 v15, 16, v2
.LBB839_777:
	s_or_b64 exec, exec, s[10:11]
.LBB839_778:
	s_or_b64 exec, exec, s[8:9]
.LBB839_779:
	s_or_b64 exec, exec, s[2:3]
	s_mov_b32 s2, 0xffffff
	v_cmp_lt_u32_e32 vcc, s2, v5
	s_and_saveexec_b64 s[2:3], vcc
	s_cbranch_execz .LBB839_785
; %bb.780:
	v_lshrrev_b32_e32 v2, 24, v5
	s_movk_i32 s7, 0x80
	v_cmp_ne_u32_e32 vcc, s7, v2
	v_mov_b32_e32 v14, 0xffff8000
	s_and_saveexec_b64 s[8:9], vcc
	s_cbranch_execz .LBB839_784
; %bb.781:
	v_bfe_u32 v5, v5, 24, 7
	s_movk_i32 s7, 0x7f
	v_cmp_ne_u32_e32 vcc, s7, v5
	v_mov_b32_e32 v14, 0x7f80
	s_and_saveexec_b64 s[10:11], vcc
	s_cbranch_execz .LBB839_783
; %bb.782:
	v_and_b32_e32 v14, 7, v2
	v_ffbh_u32_e32 v16, v14
	v_min_u32_e32 v19, 32, v16
	v_subrev_u32_e32 v16, 28, v19
	v_lshlrev_b64 v[16:17], v16, v[2:3]
	v_lshrrev_b32_e32 v18, 3, v5
	v_sub_u32_e32 v17, 29, v19
	v_and_b32_e32 v16, 7, v16
	v_cmp_gt_u32_e32 vcc, 8, v5
	v_cndmask_b32_e32 v5, v18, v17, vcc
	v_cndmask_b32_e32 v14, v14, v16, vcc
	v_lshlrev_b32_e32 v2, 24, v2
	v_bfrev_b32_e32 v16, 60
	v_lshlrev_b32_e32 v14, 20, v14
	v_and_b32_e32 v2, 0x80000000, v2
	v_lshl_add_u32 v5, v5, 23, v16
	v_or3_b32 v2, v2, v5, v14
	v_lshrrev_b32_e32 v14, 16, v2
.LBB839_783:
	s_or_b64 exec, exec, s[10:11]
.LBB839_784:
	s_or_b64 exec, exec, s[8:9]
.LBB839_785:
	s_or_b64 exec, exec, s[2:3]
	s_mov_b32 s3, 0x5040100
	v_perm_b32 v11, v11, v12, s3
	ds_read_b128 v[16:19], v22 offset:6160
	v_perm_b32 v10, v3, v10, s3
	v_perm_b32 v3, v14, v15, s3
	;; [unrolled: 1-line block ×3, first 2 shown]
	s_waitcnt lgkmcnt(0)
	v_mfma_f32_16x16x16bf16_1k v[6:9], v[10:11], v[16:17], v[6:9]
	s_load_dword s2, s[42:43], 0x0
	s_mov_b32 s3, 0x7060302
	s_movk_i32 s7, 0x7fff
	v_cmp_gt_u32_e32 vcc, 64, v0
	s_and_b64 s[0:1], vcc, s[0:1]
	s_waitcnt lgkmcnt(0)
	s_barrier
	v_mfma_f32_16x16x16bf16_1k v[2:5], v[2:3], v[18:19], v[6:9]
	s_nop 7
	s_nop 2
	v_pk_mul_f32 v[4:5], v[4:5], s[2:3] op_sel_hi:[1,0]
	v_pk_mul_f32 v[2:3], v[2:3], s[2:3] op_sel_hi:[1,0]
	v_bfe_u32 v6, v3, 16, 1
	v_bfe_u32 v7, v2, 16, 1
	v_bfe_u32 v8, v5, 16, 1
	v_bfe_u32 v9, v4, 16, 1
	v_add3_u32 v2, v2, v7, s7
	v_add3_u32 v3, v3, v6, s7
	;; [unrolled: 1-line block ×4, first 2 shown]
	v_perm_b32 v2, v3, v2, s3
	v_perm_b32 v3, v5, v4, s3
	ds_write_b64 v26, v[2:3]
	s_waitcnt lgkmcnt(0)
	s_barrier
	s_and_saveexec_b64 s[2:3], s[0:1]
	s_cbranch_execz .LBB839_788
; %bb.786:
	s_load_dwordx2 s[2:3], s[4:5], 0x68
	s_lshl_b32 s0, s44, 6
	s_mul_i32 s1, s12, s6
	s_mul_hi_u32 s7, s1, s0
	s_mul_i32 s6, s1, s0
	s_lshl_b64 s[6:7], s[6:7], 1
	s_waitcnt lgkmcnt(0)
	s_add_u32 s1, s2, s6
	v_lshlrev_b32_e32 v0, 10, v0
	s_mov_b32 s5, 0
	s_addc_u32 s6, s3, s7
	s_lshl_b32 s4, s24, 6
	v_and_b32_e32 v0, 0x1800, v0
	v_lshlrev_b32_e32 v2, 5, v1
	v_and_b32_e32 v3, 16, v47
	s_lshl_b64 s[2:3], s[4:5], 1
	v_or3_b32 v0, v0, v2, v3
	s_add_u32 s1, s1, s2
	v_or_b32_e32 v2, 8, v1
	s_addc_u32 s2, s6, s3
	ds_read_b128 v[6:9], v0 offset:128
	ds_read_b128 v[10:13], v0
	v_add_u32_e32 v1, s25, v1
	v_mov_b32_e32 v4, s2
	v_add_co_u32_e32 v3, vcc, s1, v46
	v_mad_u64_u32 v[14:15], s[2:3], v1, s0, 0
	v_addc_co_u32_e32 v4, vcc, 0, v4, vcc
	v_lshlrev_b64 v[14:15], 1, v[14:15]
	v_add_co_u32_e32 v14, vcc, v3, v14
	v_addc_co_u32_e32 v15, vcc, v4, v15, vcc
	v_add_u32_e32 v1, 4, v1
	s_waitcnt lgkmcnt(0)
	global_store_dwordx4 v[14:15], v[10:13], off
	s_nop 0
	v_mad_u64_u32 v[10:11], s[2:3], v1, s0, 0
	v_lshlrev_b64 v[10:11], 1, v[10:11]
	v_add_co_u32_e32 v10, vcc, v3, v10
	v_addc_co_u32_e32 v11, vcc, v4, v11, vcc
	v_cmp_gt_u32_e32 vcc, 10, v2
	global_store_dwordx4 v[10:11], v[6:9], off
	s_and_b64 exec, exec, vcc
	s_cbranch_execz .LBB839_788
; %bb.787:
	ds_read_b128 v[6:9], v0 offset:256
	v_add_u32_e32 v0, s25, v2
	v_mad_u64_u32 v[0:1], s[0:1], v0, s0, 0
	v_lshlrev_b64 v[0:1], 1, v[0:1]
	v_add_co_u32_e32 v0, vcc, v3, v0
	v_addc_co_u32_e32 v1, vcc, v4, v1, vcc
	s_waitcnt lgkmcnt(0)
	global_store_dwordx4 v[0:1], v[6:9], off
.LBB839_788:
	s_endpgm
	.section	.rodata,"a",@progbits
	.p2align	6, 0x0
	.amdhsa_kernel _Z39paged_attention_ll4mi_QKV_mfma16_kernelI14__hip_bfloat16hLN4vllm18Fp8KVCacheDataTypeE1ES0_Li16ELi64ELi256ELb1ELi10EL8MFMAType0EEvPKT_PKT0_S9_ifPKiSB_SB_iPKfiiiPfSE_PS4_PT2_iSD_SD_
		.amdhsa_group_segment_fixed_size 8192
		.amdhsa_private_segment_fixed_size 0
		.amdhsa_kernarg_size 400
		.amdhsa_user_sgpr_count 6
		.amdhsa_user_sgpr_private_segment_buffer 1
		.amdhsa_user_sgpr_dispatch_ptr 0
		.amdhsa_user_sgpr_queue_ptr 0
		.amdhsa_user_sgpr_kernarg_segment_ptr 1
		.amdhsa_user_sgpr_dispatch_id 0
		.amdhsa_user_sgpr_flat_scratch_init 0
		.amdhsa_user_sgpr_kernarg_preload_length 0
		.amdhsa_user_sgpr_kernarg_preload_offset 0
		.amdhsa_user_sgpr_private_segment_size 0
		.amdhsa_uses_dynamic_stack 0
		.amdhsa_system_sgpr_private_segment_wavefront_offset 0
		.amdhsa_system_sgpr_workgroup_id_x 1
		.amdhsa_system_sgpr_workgroup_id_y 1
		.amdhsa_system_sgpr_workgroup_id_z 1
		.amdhsa_system_sgpr_workgroup_info 0
		.amdhsa_system_vgpr_workitem_id 0
		.amdhsa_next_free_vgpr 62
		.amdhsa_next_free_sgpr 47
		.amdhsa_accum_offset 64
		.amdhsa_reserve_vcc 1
		.amdhsa_reserve_flat_scratch 0
		.amdhsa_float_round_mode_32 0
		.amdhsa_float_round_mode_16_64 0
		.amdhsa_float_denorm_mode_32 3
		.amdhsa_float_denorm_mode_16_64 3
		.amdhsa_dx10_clamp 1
		.amdhsa_ieee_mode 1
		.amdhsa_fp16_overflow 0
		.amdhsa_tg_split 0
		.amdhsa_exception_fp_ieee_invalid_op 0
		.amdhsa_exception_fp_denorm_src 0
		.amdhsa_exception_fp_ieee_div_zero 0
		.amdhsa_exception_fp_ieee_overflow 0
		.amdhsa_exception_fp_ieee_underflow 0
		.amdhsa_exception_fp_ieee_inexact 0
		.amdhsa_exception_int_div_zero 0
	.end_amdhsa_kernel
	.section	.text._Z39paged_attention_ll4mi_QKV_mfma16_kernelI14__hip_bfloat16hLN4vllm18Fp8KVCacheDataTypeE1ES0_Li16ELi64ELi256ELb1ELi10EL8MFMAType0EEvPKT_PKT0_S9_ifPKiSB_SB_iPKfiiiPfSE_PS4_PT2_iSD_SD_,"axG",@progbits,_Z39paged_attention_ll4mi_QKV_mfma16_kernelI14__hip_bfloat16hLN4vllm18Fp8KVCacheDataTypeE1ES0_Li16ELi64ELi256ELb1ELi10EL8MFMAType0EEvPKT_PKT0_S9_ifPKiSB_SB_iPKfiiiPfSE_PS4_PT2_iSD_SD_,comdat
.Lfunc_end839:
	.size	_Z39paged_attention_ll4mi_QKV_mfma16_kernelI14__hip_bfloat16hLN4vllm18Fp8KVCacheDataTypeE1ES0_Li16ELi64ELi256ELb1ELi10EL8MFMAType0EEvPKT_PKT0_S9_ifPKiSB_SB_iPKfiiiPfSE_PS4_PT2_iSD_SD_, .Lfunc_end839-_Z39paged_attention_ll4mi_QKV_mfma16_kernelI14__hip_bfloat16hLN4vllm18Fp8KVCacheDataTypeE1ES0_Li16ELi64ELi256ELb1ELi10EL8MFMAType0EEvPKT_PKT0_S9_ifPKiSB_SB_iPKfiiiPfSE_PS4_PT2_iSD_SD_
                                        ; -- End function
	.section	.AMDGPU.csdata,"",@progbits
; Kernel info:
; codeLenInByte = 28664
; NumSgprs: 51
; NumVgprs: 62
; NumAgprs: 0
; TotalNumVgprs: 62
; ScratchSize: 0
; MemoryBound: 0
; FloatMode: 240
; IeeeMode: 1
; LDSByteSize: 8192 bytes/workgroup (compile time only)
; SGPRBlocks: 6
; VGPRBlocks: 7
; NumSGPRsForWavesPerEU: 51
; NumVGPRsForWavesPerEU: 62
; AccumOffset: 64
; Occupancy: 8
; WaveLimiterHint : 1
; COMPUTE_PGM_RSRC2:SCRATCH_EN: 0
; COMPUTE_PGM_RSRC2:USER_SGPR: 6
; COMPUTE_PGM_RSRC2:TRAP_HANDLER: 0
; COMPUTE_PGM_RSRC2:TGID_X_EN: 1
; COMPUTE_PGM_RSRC2:TGID_Y_EN: 1
; COMPUTE_PGM_RSRC2:TGID_Z_EN: 1
; COMPUTE_PGM_RSRC2:TIDIG_COMP_CNT: 0
; COMPUTE_PGM_RSRC3_GFX90A:ACCUM_OFFSET: 15
; COMPUTE_PGM_RSRC3_GFX90A:TG_SPLIT: 0
	.section	.text._Z39paged_attention_ll4mi_QKV_mfma16_kernelI14__hip_bfloat16hLN4vllm18Fp8KVCacheDataTypeE1ES0_Li16ELi64ELi256ELb1ELi11EL8MFMAType0EEvPKT_PKT0_S9_ifPKiSB_SB_iPKfiiiPfSE_PS4_PT2_iSD_SD_,"axG",@progbits,_Z39paged_attention_ll4mi_QKV_mfma16_kernelI14__hip_bfloat16hLN4vllm18Fp8KVCacheDataTypeE1ES0_Li16ELi64ELi256ELb1ELi11EL8MFMAType0EEvPKT_PKT0_S9_ifPKiSB_SB_iPKfiiiPfSE_PS4_PT2_iSD_SD_,comdat
	.protected	_Z39paged_attention_ll4mi_QKV_mfma16_kernelI14__hip_bfloat16hLN4vllm18Fp8KVCacheDataTypeE1ES0_Li16ELi64ELi256ELb1ELi11EL8MFMAType0EEvPKT_PKT0_S9_ifPKiSB_SB_iPKfiiiPfSE_PS4_PT2_iSD_SD_ ; -- Begin function _Z39paged_attention_ll4mi_QKV_mfma16_kernelI14__hip_bfloat16hLN4vllm18Fp8KVCacheDataTypeE1ES0_Li16ELi64ELi256ELb1ELi11EL8MFMAType0EEvPKT_PKT0_S9_ifPKiSB_SB_iPKfiiiPfSE_PS4_PT2_iSD_SD_
	.globl	_Z39paged_attention_ll4mi_QKV_mfma16_kernelI14__hip_bfloat16hLN4vllm18Fp8KVCacheDataTypeE1ES0_Li16ELi64ELi256ELb1ELi11EL8MFMAType0EEvPKT_PKT0_S9_ifPKiSB_SB_iPKfiiiPfSE_PS4_PT2_iSD_SD_
	.p2align	8
	.type	_Z39paged_attention_ll4mi_QKV_mfma16_kernelI14__hip_bfloat16hLN4vllm18Fp8KVCacheDataTypeE1ES0_Li16ELi64ELi256ELb1ELi11EL8MFMAType0EEvPKT_PKT0_S9_ifPKiSB_SB_iPKfiiiPfSE_PS4_PT2_iSD_SD_,@function
_Z39paged_attention_ll4mi_QKV_mfma16_kernelI14__hip_bfloat16hLN4vllm18Fp8KVCacheDataTypeE1ES0_Li16ELi64ELi256ELb1ELi11EL8MFMAType0EEvPKT_PKT0_S9_ifPKiSB_SB_iPKfiiiPfSE_PS4_PT2_iSD_SD_: ; @_Z39paged_attention_ll4mi_QKV_mfma16_kernelI14__hip_bfloat16hLN4vllm18Fp8KVCacheDataTypeE1ES0_Li16ELi64ELi256ELb1ELi11EL8MFMAType0EEvPKT_PKT0_S9_ifPKiSB_SB_iPKfiiiPfSE_PS4_PT2_iSD_SD_
; %bb.0:
	s_load_dwordx2 s[0:1], s[4:5], 0x30
	s_mov_b32 s24, s7
	s_mov_b64 s[10:11], 0
	s_waitcnt lgkmcnt(0)
	s_cmp_lg_u64 s[0:1], 0
	s_cselect_b64 s[2:3], -1, 0
	s_and_b64 vcc, exec, s[2:3]
	s_cbranch_vccz .LBB840_7
; %bb.1:
	s_add_i32 s12, s6, 1
	s_mov_b32 s13, 0
	s_lshl_b64 s[14:15], s[12:13], 2
	s_add_u32 s14, s0, s14
	s_mov_b32 s7, s13
	s_addc_u32 s15, s1, s15
	s_lshl_b64 s[12:13], s[6:7], 2
	s_add_u32 s12, s0, s12
	s_addc_u32 s13, s1, s13
	s_load_dword s9, s[14:15], 0x0
	s_load_dword s16, s[12:13], 0x0
	s_waitcnt lgkmcnt(0)
	s_sub_i32 s9, s9, s16
	s_cmp_eq_u32 s9, 1
	s_cselect_b64 s[12:13], -1, 0
	s_andn2_b64 vcc, exec, s[10:11]
	s_cbranch_vccnz .LBB840_3
.LBB840_2:
	s_mov_b32 s7, 0
	s_mov_b64 s[12:13], -1
.LBB840_3:
	s_andn2_b64 vcc, exec, s[12:13]
	s_cbranch_vccnz .LBB840_788
; %bb.4:
	s_load_dwordx2 s[12:13], s[4:5], 0x28
	s_lshl_b64 s[10:11], s[6:7], 2
	s_waitcnt lgkmcnt(0)
	s_add_u32 s12, s12, s10
	s_addc_u32 s13, s13, s11
	s_load_dword s33, s[12:13], 0x0
	s_lshl_b32 s18, s24, 8
	s_waitcnt lgkmcnt(0)
	s_cmp_ge_i32 s18, s33
	s_cbranch_scc1 .LBB840_788
; %bb.5:
	s_add_i32 s14, s33, 15
	s_load_dwordx2 s[12:13], s[4:5], 0x20
	s_load_dword s9, s[4:5], 0x38
	s_ashr_i32 s15, s14, 31
	v_and_b32_e32 v1, 0xcf, v0
	s_lshr_b32 s15, s15, 28
	v_add_u32_e32 v1, s18, v1
	s_add_i32 s14, s14, s15
	v_ashrrev_i32_e32 v2, 31, v1
	s_ashr_i32 s21, s14, 4
	v_lshrrev_b32_e32 v4, 28, v2
	s_add_i32 s21, s21, -1
	v_add_u32_e32 v2, v1, v4
	s_waitcnt lgkmcnt(0)
	s_mul_i32 s14, s6, s9
	s_mov_b32 s15, 0
	v_ashrrev_i32_e32 v2, 4, v2
	v_mov_b32_e32 v5, s21
	v_cmp_gt_i32_e32 vcc, s33, v1
	s_lshl_b64 s[14:15], s[14:15], 2
	v_cndmask_b32_e32 v2, v5, v2, vcc
	s_add_u32 s19, s12, s14
	v_ashrrev_i32_e32 v3, 31, v2
	s_addc_u32 s20, s13, s15
	v_lshlrev_b64 v[2:3], 2, v[2:3]
	v_mov_b32_e32 v7, s20
	v_add_co_u32_e32 v6, vcc, s19, v2
	v_or_b32_e32 v2, 16, v1
	v_addc_co_u32_e32 v7, vcc, v7, v3, vcc
	v_add_u32_e32 v3, v2, v4
	v_ashrrev_i32_e32 v3, 4, v3
	v_cmp_gt_i32_e32 vcc, s33, v2
	v_cndmask_b32_e32 v2, v5, v3, vcc
	v_ashrrev_i32_e32 v3, 31, v2
	v_lshlrev_b64 v[2:3], 2, v[2:3]
	v_mov_b32_e32 v9, s20
	v_add_co_u32_e32 v8, vcc, s19, v2
	v_or_b32_e32 v2, 32, v1
	v_addc_co_u32_e32 v9, vcc, v9, v3, vcc
	v_add_u32_e32 v3, v2, v4
	v_ashrrev_i32_e32 v3, 4, v3
	v_cmp_gt_i32_e32 vcc, s33, v2
	v_cndmask_b32_e32 v2, v5, v3, vcc
	v_ashrrev_i32_e32 v3, 31, v2
	;; [unrolled: 10-line block ×3, first 2 shown]
	v_lshlrev_b64 v[2:3], 2, v[2:3]
	v_mov_b32_e32 v1, s20
	v_add_co_u32_e32 v12, vcc, s19, v2
	v_addc_co_u32_e32 v13, vcc, v1, v3, vcc
	global_load_dword v5, v[6:7], off
	global_load_dword v4, v[8:9], off
	;; [unrolled: 1-line block ×4, first 2 shown]
	s_load_dwordx2 s[16:17], s[4:5], 0x8
	s_andn2_b64 vcc, exec, s[2:3]
	s_cbranch_vccnz .LBB840_8
; %bb.6:
	s_add_u32 s0, s0, s10
	s_addc_u32 s1, s1, s11
	s_load_dword s9, s[0:1], 0x0
	s_branch .LBB840_9
.LBB840_7:
	s_mov_b64 s[12:13], 0
	s_branch .LBB840_2
.LBB840_8:
	s_mov_b32 s9, s6
.LBB840_9:
	s_load_dwordx2 s[2:3], s[4:5], 0x10
	s_load_dwordx4 s[12:15], s[4:5], 0x48
	v_lshrrev_b32_e32 v49, 6, v0
	v_bfe_u32 v1, v0, 4, 2
	v_lshl_or_b32 v6, v49, 2, v1
	v_and_b32_e32 v48, 15, v0
	v_lshlrev_b32_e32 v7, 3, v48
	v_cmp_gt_u32_e32 vcc, 11, v6
	v_cmp_gt_u32_e64 s[0:1], 8, v48
	s_mul_i32 s25, s8, 11
	s_and_b64 s[22:23], s[0:1], vcc
	v_lshlrev_b32_e32 v46, 1, v7
	v_lshlrev_b32_e32 v47, 4, v0
	s_and_saveexec_b64 s[10:11], s[22:23]
	s_cbranch_execz .LBB840_11
; %bb.10:
	s_load_dwordx2 s[22:23], s[4:5], 0x0
	s_waitcnt lgkmcnt(0)
	s_ashr_i32 s15, s12, 31
	s_mul_hi_u32 s26, s9, s12
	s_mul_i32 s15, s9, s15
	s_add_i32 s27, s26, s15
	s_mul_i32 s26, s9, s12
	s_lshl_b64 s[26:27], s[26:27], 1
	v_add_lshl_u32 v8, v6, s25, 6
	s_add_u32 s9, s22, s26
	v_ashrrev_i32_e32 v9, 31, v8
	s_addc_u32 s12, s23, s27
	v_lshlrev_b64 v[8:9], 1, v[8:9]
	v_mov_b32_e32 v7, s12
	v_add_co_u32_e32 v8, vcc, s9, v8
	v_addc_co_u32_e32 v7, vcc, v7, v9, vcc
	v_add_co_u32_e32 v8, vcc, v8, v46
	v_addc_co_u32_e32 v9, vcc, 0, v7, vcc
	global_load_dwordx4 v[8:11], v[8:9], off
	v_lshlrev_b32_e32 v12, 8, v48
	v_lshlrev_b32_e32 v6, 5, v6
	v_and_b32_e32 v7, 16, v47
	v_and_b32_e32 v12, 0xe00, v12
	v_or3_b32 v6, v12, v6, v7
	s_waitcnt vmcnt(0)
	ds_write_b128 v6, v[8:11]
.LBB840_11:
	s_or_b64 exec, exec, s[10:11]
	s_waitcnt lgkmcnt(0)
	s_mul_i32 s10, s8, s14
	s_add_u32 s8, s16, s10
	s_addc_u32 s9, s17, 0
	v_and_b32_e32 v7, 0xf0, v47
	v_and_b32_e32 v6, 48, v0
	v_mov_b32_e32 v8, s9
	v_add_co_u32_e32 v7, vcc, s8, v7
	v_addc_co_u32_e32 v9, vcc, 0, v8, vcc
	v_lshlrev_b32_e32 v8, 4, v6
	v_add_co_u32_e32 v8, vcc, v7, v8
	v_addc_co_u32_e32 v9, vcc, 0, v9, vcc
	s_waitcnt vmcnt(3)
	v_mad_i64_i32 v[10:11], s[8:9], v5, s13, v[8:9]
	s_waitcnt vmcnt(2)
	v_mad_i64_i32 v[4:5], s[8:9], v4, s13, v[8:9]
	s_barrier
	global_load_dwordx4 v[34:37], v[10:11], off
	global_load_dwordx4 v[38:41], v[4:5], off
	s_waitcnt vmcnt(3)
	v_mad_i64_i32 v[4:5], s[8:9], v2, s13, v[8:9]
	s_waitcnt vmcnt(2)
	v_mad_i64_i32 v[2:3], s[8:9], v3, s13, v[8:9]
	global_load_dwordx4 v[30:33], v[4:5], off
	global_load_dwordx4 v[22:25], v[2:3], off
	v_add_u32_e32 v2, -11, v48
	v_cmp_gt_u32_e32 vcc, 11, v48
	v_cndmask_b32_e32 v2, v2, v48, vcc
	v_lshlrev_b32_e32 v2, 5, v2
	v_lshl_add_u32 v2, v1, 9, v2
	ds_read_b128 v[26:29], v2
	ds_read_b128 v[18:21], v2 offset:16
	v_mov_b32_e32 v43, 0
	v_mov_b32_e32 v50, 0
	s_and_saveexec_b64 s[8:9], vcc
	s_cbranch_execz .LBB840_13
; %bb.12:
	s_load_dwordx2 s[14:15], s[4:5], 0x40
	v_add_u32_e32 v2, s25, v48
	v_ashrrev_i32_e32 v3, 31, v2
	v_lshlrev_b64 v[2:3], 2, v[2:3]
	s_waitcnt lgkmcnt(0)
	v_mov_b32_e32 v4, s15
	v_add_co_u32_e32 v2, vcc, s14, v2
	v_addc_co_u32_e32 v3, vcc, v4, v3, vcc
	global_load_dword v50, v[2:3], off
.LBB840_13:
	s_or_b64 exec, exec, s[8:9]
	v_or_b32_e32 v8, s18, v6
	v_ashrrev_i32_e32 v2, 4, v8
	v_mov_b32_e32 v9, s21
	v_cmp_gt_i32_e32 vcc, s33, v8
	v_cndmask_b32_e32 v2, v9, v2, vcc
	v_ashrrev_i32_e32 v3, 31, v2
	v_lshlrev_b64 v[2:3], 2, v[2:3]
	v_mov_b32_e32 v4, s20
	v_add_co_u32_e32 v2, vcc, s19, v2
	v_addc_co_u32_e32 v3, vcc, v4, v3, vcc
	v_or_b32_e32 v4, 64, v8
	v_ashrrev_i32_e32 v5, 4, v4
	v_cmp_gt_i32_e32 vcc, s33, v4
	v_cndmask_b32_e32 v4, v9, v5, vcc
	v_ashrrev_i32_e32 v5, 31, v4
	v_lshlrev_b64 v[4:5], 2, v[4:5]
	v_mov_b32_e32 v6, s20
	v_add_co_u32_e32 v4, vcc, s19, v4
	v_addc_co_u32_e32 v5, vcc, v6, v5, vcc
	v_or_b32_e32 v6, 0x80, v8
	v_ashrrev_i32_e32 v7, 4, v6
	v_cmp_gt_i32_e32 vcc, s33, v6
	v_cndmask_b32_e32 v6, v9, v7, vcc
	v_ashrrev_i32_e32 v7, 31, v6
	v_lshlrev_b64 v[6:7], 2, v[6:7]
	v_mov_b32_e32 v10, s20
	v_add_co_u32_e32 v6, vcc, s19, v6
	v_addc_co_u32_e32 v7, vcc, v10, v7, vcc
	global_load_dword v10, v[2:3], off
	global_load_dword v11, v[4:5], off
	;; [unrolled: 1-line block ×3, first 2 shown]
	v_or_b32_e32 v2, 0xc0, v8
	v_ashrrev_i32_e32 v3, 4, v2
	v_cmp_gt_i32_e32 vcc, s33, v2
	v_cndmask_b32_e32 v2, v9, v3, vcc
	v_ashrrev_i32_e32 v3, 31, v2
	v_lshlrev_b64 v[2:3], 2, v[2:3]
	v_mov_b32_e32 v4, s20
	v_add_co_u32_e32 v2, vcc, s19, v2
	v_addc_co_u32_e32 v3, vcc, v4, v3, vcc
	global_load_dword v13, v[2:3], off
	s_add_u32 s2, s2, s10
	v_lshlrev_b32_e32 v2, 4, v48
	s_addc_u32 s3, s3, 0
	v_lshl_or_b32 v2, v49, 8, v2
	v_mov_b32_e32 v3, s3
	v_add_co_u32_e32 v2, vcc, s2, v2
	v_addc_co_u32_e32 v3, vcc, 0, v3, vcc
	s_movk_i32 s8, 0x80
	s_waitcnt vmcnt(7)
	v_cmp_ne_u16_sdwa s[10:11], v34, v43 src0_sel:BYTE_0 src1_sel:DWORD
	s_waitcnt vmcnt(3)
	v_mad_i64_i32 v[4:5], s[2:3], v10, s13, v[2:3]
	s_waitcnt vmcnt(2)
	v_mad_i64_i32 v[6:7], s[2:3], v11, s13, v[2:3]
	;; [unrolled: 2-line block ×4, first 2 shown]
	global_load_dwordx4 v[14:17], v[4:5], off
	global_load_dwordx4 v[10:13], v[6:7], off
                                        ; kill: killed $vgpr6_vgpr7
                                        ; kill: killed $vgpr4_vgpr5
	s_nop 0
	global_load_dwordx4 v[6:9], v[8:9], off
	s_nop 0
	global_load_dwordx4 v[2:5], v[2:3], off
	s_load_dwordx4 s[40:43], s[4:5], 0x80
	s_load_dwordx2 s[44:45], s[4:5], 0x94
                                        ; kill: killed $sgpr40_sgpr41
	s_waitcnt lgkmcnt(0)
	s_load_dword s12, s[40:41], 0x0
	s_and_saveexec_b64 s[2:3], s[10:11]
	s_cbranch_execz .LBB840_19
; %bb.14:
	v_cmp_ne_u16_sdwa s[10:11], v34, s8 src0_sel:BYTE_0 src1_sel:DWORD
	v_mov_b32_e32 v43, 0xffff8000
	s_and_saveexec_b64 s[8:9], s[10:11]
	s_cbranch_execz .LBB840_18
; %bb.15:
	s_movk_i32 s10, 0x7f
	v_and_b32_e32 v42, 0x7f, v34
	v_cmp_ne_u32_e32 vcc, s10, v42
	v_mov_b32_e32 v43, 0x7f80
	s_and_saveexec_b64 s[10:11], vcc
	s_cbranch_execz .LBB840_17
; %bb.16:
	v_and_b32_e32 v43, 7, v34
	v_ffbh_u32_e32 v44, v43
	v_min_u32_e32 v52, 32, v44
	v_subrev_u32_e32 v44, 28, v52
	v_lshlrev_b64 v[44:45], v44, v[34:35]
	v_lshrrev_b32_e32 v51, 3, v42
	v_sub_u32_e32 v45, 29, v52
	v_and_b32_e32 v44, 7, v44
	v_cmp_gt_u32_e32 vcc, 8, v42
	v_cndmask_b32_e32 v42, v51, v45, vcc
	v_cndmask_b32_e32 v43, v43, v44, vcc
	v_lshlrev_b32_e32 v44, 24, v34
	v_bfrev_b32_e32 v45, 60
	v_lshlrev_b32_e32 v43, 20, v43
	v_and_b32_e32 v44, 0x80000000, v44
	v_lshl_add_u32 v42, v42, 23, v45
	v_or3_b32 v42, v44, v42, v43
	v_lshrrev_b32_e32 v43, 16, v42
.LBB840_17:
	s_or_b64 exec, exec, s[10:11]
.LBB840_18:
	s_or_b64 exec, exec, s[8:9]
.LBB840_19:
	s_or_b64 exec, exec, s[2:3]
	v_lshrrev_b16_e32 v42, 8, v34
	v_cmp_ne_u16_e32 vcc, 0, v42
	v_mov_b32_e32 v45, 0
	v_mov_b32_e32 v44, 0
	s_and_saveexec_b64 s[2:3], vcc
	s_cbranch_execz .LBB840_25
; %bb.20:
	s_movk_i32 s8, 0x80
	v_cmp_ne_u16_sdwa s[10:11], v34, s8 src0_sel:BYTE_1 src1_sel:DWORD
	v_mov_b32_e32 v44, 0xffff8000
	s_and_saveexec_b64 s[8:9], s[10:11]
	s_cbranch_execz .LBB840_24
; %bb.21:
	s_movk_i32 s10, 0x7f
	v_and_b32_e32 v51, 0x7f, v42
	v_cmp_ne_u32_e32 vcc, s10, v51
	v_mov_b32_e32 v44, 0x7f80
	s_and_saveexec_b64 s[10:11], vcc
	s_cbranch_execz .LBB840_23
; %bb.22:
	v_and_b32_e32 v44, 7, v42
	v_ffbh_u32_e32 v52, v44
	v_min_u32_e32 v55, 32, v52
	v_subrev_u32_e32 v52, 28, v55
	v_lshlrev_b64 v[52:53], v52, v[42:43]
	v_lshrrev_b32_e32 v54, 3, v51
	v_sub_u32_e32 v42, 29, v55
	v_and_b32_e32 v52, 7, v52
	v_cmp_gt_u32_e32 vcc, 8, v51
	v_cndmask_b32_e32 v42, v54, v42, vcc
	v_cndmask_b32_e32 v44, v44, v52, vcc
	v_lshlrev_b32_e32 v51, 16, v34
	v_bfrev_b32_e32 v52, 60
	v_lshlrev_b32_e32 v44, 20, v44
	v_and_b32_e32 v51, 0x80000000, v51
	v_lshl_add_u32 v42, v42, 23, v52
	v_or3_b32 v42, v51, v42, v44
	v_lshrrev_b32_e32 v44, 16, v42
.LBB840_23:
	s_or_b64 exec, exec, s[10:11]
.LBB840_24:
	s_or_b64 exec, exec, s[8:9]
.LBB840_25:
	s_or_b64 exec, exec, s[2:3]
	s_movk_i32 s2, 0xff
	v_and_b32_sdwa v51, v34, s2 dst_sel:DWORD dst_unused:UNUSED_PAD src0_sel:WORD_1 src1_sel:DWORD
	v_lshrrev_b32_e32 v42, 16, v34
	v_cmp_ne_u16_e32 vcc, 0, v51
	s_and_saveexec_b64 s[2:3], vcc
	s_cbranch_execz .LBB840_31
; %bb.26:
	s_movk_i32 s8, 0x80
	v_cmp_ne_u16_e32 vcc, s8, v51
	v_mov_b32_e32 v45, 0xffff8000
	s_and_saveexec_b64 s[8:9], vcc
	s_cbranch_execz .LBB840_30
; %bb.27:
	v_bfe_u32 v51, v34, 16, 7
	s_movk_i32 s10, 0x7f
	v_cmp_ne_u32_e32 vcc, s10, v51
	v_mov_b32_e32 v45, 0x7f80
	s_and_saveexec_b64 s[10:11], vcc
	s_cbranch_execz .LBB840_29
; %bb.28:
	v_and_b32_e32 v45, 7, v42
	v_ffbh_u32_e32 v52, v45
	v_min_u32_e32 v55, 32, v52
	v_subrev_u32_e32 v52, 28, v55
	v_lshlrev_b64 v[52:53], v52, v[42:43]
	v_lshrrev_b32_e32 v54, 3, v51
	v_sub_u32_e32 v42, 29, v55
	v_and_b32_e32 v52, 7, v52
	v_cmp_gt_u32_e32 vcc, 8, v51
	v_mov_b32_e32 v51, 24
	v_cndmask_b32_e32 v42, v54, v42, vcc
	v_cndmask_b32_e32 v45, v45, v52, vcc
	v_lshlrev_b32_sdwa v51, v51, v34 dst_sel:DWORD dst_unused:UNUSED_PAD src0_sel:DWORD src1_sel:WORD_1
	v_bfrev_b32_e32 v52, 60
	v_lshlrev_b32_e32 v45, 20, v45
	v_and_b32_e32 v51, 0x80000000, v51
	v_lshl_add_u32 v42, v42, 23, v52
	v_or3_b32 v42, v51, v42, v45
	v_lshrrev_b32_e32 v45, 16, v42
.LBB840_29:
	s_or_b64 exec, exec, s[10:11]
.LBB840_30:
	s_or_b64 exec, exec, s[8:9]
.LBB840_31:
	s_or_b64 exec, exec, s[2:3]
	s_mov_b32 s2, 0xffffff
	v_cmp_lt_u32_e32 vcc, s2, v34
	v_mov_b32_e32 v52, 0
	v_mov_b32_e32 v53, 0
	s_and_saveexec_b64 s[2:3], vcc
	s_cbranch_execz .LBB840_37
; %bb.32:
	v_lshrrev_b32_e32 v42, 24, v34
	s_movk_i32 s8, 0x80
	v_cmp_ne_u32_e32 vcc, s8, v42
	v_mov_b32_e32 v53, 0xffff8000
	s_and_saveexec_b64 s[8:9], vcc
	s_cbranch_execz .LBB840_36
; %bb.33:
	v_bfe_u32 v34, v34, 24, 7
	s_movk_i32 s10, 0x7f
	v_cmp_ne_u32_e32 vcc, s10, v34
	v_mov_b32_e32 v53, 0x7f80
	s_and_saveexec_b64 s[10:11], vcc
	s_cbranch_execz .LBB840_35
; %bb.34:
	v_and_b32_e32 v51, 7, v42
	v_ffbh_u32_e32 v54, v51
	v_min_u32_e32 v56, 32, v54
	v_subrev_u32_e32 v54, 28, v56
	v_lshlrev_b64 v[54:55], v54, v[42:43]
	v_lshrrev_b32_e32 v53, 3, v34
	v_sub_u32_e32 v55, 29, v56
	v_and_b32_e32 v54, 7, v54
	v_cmp_gt_u32_e32 vcc, 8, v34
	v_cndmask_b32_e32 v34, v53, v55, vcc
	v_cndmask_b32_e32 v51, v51, v54, vcc
	v_lshlrev_b32_e32 v42, 24, v42
	v_bfrev_b32_e32 v53, 60
	v_lshlrev_b32_e32 v51, 20, v51
	v_and_b32_e32 v42, 0x80000000, v42
	v_lshl_add_u32 v34, v34, 23, v53
	v_or3_b32 v34, v42, v34, v51
	v_lshrrev_b32_e32 v53, 16, v34
.LBB840_35:
	s_or_b64 exec, exec, s[10:11]
.LBB840_36:
	s_or_b64 exec, exec, s[8:9]
.LBB840_37:
	s_or_b64 exec, exec, s[2:3]
	v_cmp_ne_u16_sdwa s[8:9], v35, v52 src0_sel:BYTE_0 src1_sel:DWORD
	s_and_saveexec_b64 s[2:3], s[8:9]
	s_cbranch_execz .LBB840_43
; %bb.38:
	s_movk_i32 s8, 0x80
	v_cmp_ne_u16_sdwa s[10:11], v35, s8 src0_sel:BYTE_0 src1_sel:DWORD
	v_mov_b32_e32 v52, 0xffff8000
	s_and_saveexec_b64 s[8:9], s[10:11]
	s_cbranch_execz .LBB840_42
; %bb.39:
	s_movk_i32 s10, 0x7f
	v_and_b32_e32 v34, 0x7f, v35
	v_cmp_ne_u32_e32 vcc, s10, v34
	v_mov_b32_e32 v52, 0x7f80
	s_and_saveexec_b64 s[10:11], vcc
	s_cbranch_execz .LBB840_41
; %bb.40:
	v_and_b32_e32 v51, 7, v35
	v_ffbh_u32_e32 v54, v51
	v_min_u32_e32 v56, 32, v54
	v_mov_b32_e32 v42, v35
	v_subrev_u32_e32 v54, 28, v56
	v_lshlrev_b64 v[54:55], v54, v[42:43]
	v_lshrrev_b32_e32 v52, 3, v34
	v_sub_u32_e32 v42, 29, v56
	v_and_b32_e32 v54, 7, v54
	v_cmp_gt_u32_e32 vcc, 8, v34
	v_cndmask_b32_e32 v34, v52, v42, vcc
	v_cndmask_b32_e32 v42, v51, v54, vcc
	v_lshlrev_b32_e32 v51, 24, v35
	v_bfrev_b32_e32 v52, 60
	v_lshlrev_b32_e32 v42, 20, v42
	v_and_b32_e32 v51, 0x80000000, v51
	v_lshl_add_u32 v34, v34, 23, v52
	v_or3_b32 v34, v51, v34, v42
	v_lshrrev_b32_e32 v52, 16, v34
.LBB840_41:
	s_or_b64 exec, exec, s[10:11]
.LBB840_42:
	s_or_b64 exec, exec, s[8:9]
.LBB840_43:
	s_or_b64 exec, exec, s[2:3]
	v_lshrrev_b16_e32 v34, 8, v35
	v_cmp_ne_u16_e32 vcc, 0, v34
	v_mov_b32_e32 v54, 0
	v_mov_b32_e32 v42, 0
	s_and_saveexec_b64 s[2:3], vcc
	s_cbranch_execz .LBB840_49
; %bb.44:
	s_movk_i32 s8, 0x80
	v_cmp_ne_u16_e32 vcc, s8, v34
	v_mov_b32_e32 v42, 0xffff8000
	s_and_saveexec_b64 s[8:9], vcc
	s_cbranch_execz .LBB840_48
; %bb.45:
	s_movk_i32 s10, 0x7f
	v_and_b32_e32 v51, 0x7f, v34
	v_cmp_ne_u32_e32 vcc, s10, v51
	v_mov_b32_e32 v42, 0x7f80
	s_and_saveexec_b64 s[10:11], vcc
	s_cbranch_execz .LBB840_47
; %bb.46:
	v_and_b32_e32 v42, 7, v34
	v_ffbh_u32_e32 v56, v42
	v_min_u32_e32 v58, 32, v56
	v_subrev_u32_e32 v56, 28, v58
	v_lshlrev_b64 v[56:57], v56, v[34:35]
	v_lshrrev_b32_e32 v55, 3, v51
	v_sub_u32_e32 v34, 29, v58
	v_and_b32_e32 v56, 7, v56
	v_cmp_gt_u32_e32 vcc, 8, v51
	v_cndmask_b32_e32 v34, v55, v34, vcc
	v_cndmask_b32_e32 v42, v42, v56, vcc
	v_lshlrev_b32_e32 v51, 16, v35
	v_bfrev_b32_e32 v55, 60
	v_lshlrev_b32_e32 v42, 20, v42
	v_and_b32_e32 v51, 0x80000000, v51
	v_lshl_add_u32 v34, v34, 23, v55
	v_or3_b32 v34, v51, v34, v42
	v_lshrrev_b32_e32 v42, 16, v34
.LBB840_47:
	s_or_b64 exec, exec, s[10:11]
.LBB840_48:
	s_or_b64 exec, exec, s[8:9]
.LBB840_49:
	s_or_b64 exec, exec, s[2:3]
	s_movk_i32 s2, 0xff
	v_and_b32_sdwa v51, v35, s2 dst_sel:DWORD dst_unused:UNUSED_PAD src0_sel:WORD_1 src1_sel:DWORD
	v_lshrrev_b32_e32 v34, 16, v35
	v_cmp_ne_u16_e32 vcc, 0, v51
	s_and_saveexec_b64 s[2:3], vcc
	s_cbranch_execz .LBB840_55
; %bb.50:
	s_movk_i32 s8, 0x80
	v_cmp_ne_u16_e32 vcc, s8, v51
	v_mov_b32_e32 v54, 0xffff8000
	s_and_saveexec_b64 s[8:9], vcc
	s_cbranch_execz .LBB840_54
; %bb.51:
	v_bfe_u32 v51, v35, 16, 7
	s_movk_i32 s10, 0x7f
	v_cmp_ne_u32_e32 vcc, s10, v51
	v_mov_b32_e32 v54, 0x7f80
	s_and_saveexec_b64 s[10:11], vcc
	s_cbranch_execz .LBB840_53
; %bb.52:
	v_and_b32_e32 v56, 7, v34
	v_ffbh_u32_e32 v54, v56
	v_min_u32_e32 v58, 32, v54
	v_subrev_u32_e32 v54, 28, v58
	v_lshlrev_b64 v[54:55], v54, v[34:35]
	v_and_b32_e32 v54, 7, v54
	v_cmp_gt_u32_e32 vcc, 8, v51
	v_lshrrev_b32_e32 v57, 3, v51
	v_sub_u32_e32 v34, 29, v58
	v_cndmask_b32_e32 v51, v56, v54, vcc
	v_mov_b32_e32 v54, 24
	v_cndmask_b32_e32 v34, v57, v34, vcc
	v_lshlrev_b32_sdwa v54, v54, v35 dst_sel:DWORD dst_unused:UNUSED_PAD src0_sel:DWORD src1_sel:WORD_1
	v_bfrev_b32_e32 v55, 60
	v_lshlrev_b32_e32 v51, 20, v51
	v_and_b32_e32 v54, 0x80000000, v54
	v_lshl_add_u32 v34, v34, 23, v55
	v_or3_b32 v34, v54, v34, v51
	v_lshrrev_b32_e32 v54, 16, v34
.LBB840_53:
	s_or_b64 exec, exec, s[10:11]
.LBB840_54:
	s_or_b64 exec, exec, s[8:9]
.LBB840_55:
	s_or_b64 exec, exec, s[2:3]
	s_mov_b32 s2, 0xffffff
	v_cmp_lt_u32_e32 vcc, s2, v35
	v_mov_b32_e32 v51, 0
	v_mov_b32_e32 v55, 0
	s_and_saveexec_b64 s[2:3], vcc
	s_cbranch_execz .LBB840_61
; %bb.56:
	v_lshrrev_b32_e32 v34, 24, v35
	s_movk_i32 s8, 0x80
	v_cmp_ne_u32_e32 vcc, s8, v34
	v_mov_b32_e32 v55, 0xffff8000
	s_and_saveexec_b64 s[8:9], vcc
	s_cbranch_execz .LBB840_60
; %bb.57:
	v_bfe_u32 v35, v35, 24, 7
	s_movk_i32 s10, 0x7f
	v_cmp_ne_u32_e32 vcc, s10, v35
	v_mov_b32_e32 v55, 0x7f80
	s_and_saveexec_b64 s[10:11], vcc
	s_cbranch_execz .LBB840_59
; %bb.58:
	v_and_b32_e32 v55, 7, v34
	v_ffbh_u32_e32 v56, v55
	v_min_u32_e32 v59, 32, v56
	v_subrev_u32_e32 v56, 28, v59
	v_lshlrev_b64 v[56:57], v56, v[34:35]
	v_lshrrev_b32_e32 v58, 3, v35
	v_sub_u32_e32 v57, 29, v59
	v_and_b32_e32 v56, 7, v56
	v_cmp_gt_u32_e32 vcc, 8, v35
	v_cndmask_b32_e32 v35, v58, v57, vcc
	v_cndmask_b32_e32 v55, v55, v56, vcc
	v_lshlrev_b32_e32 v34, 24, v34
	v_bfrev_b32_e32 v56, 60
	v_lshlrev_b32_e32 v55, 20, v55
	v_and_b32_e32 v34, 0x80000000, v34
	v_lshl_add_u32 v35, v35, 23, v56
	v_or3_b32 v34, v34, v35, v55
	v_lshrrev_b32_e32 v55, 16, v34
.LBB840_59:
	s_or_b64 exec, exec, s[10:11]
.LBB840_60:
	s_or_b64 exec, exec, s[8:9]
.LBB840_61:
	s_or_b64 exec, exec, s[2:3]
	s_mov_b32 s2, 0x5040100
	v_perm_b32 v35, v53, v45, s2
	v_perm_b32 v34, v44, v43, s2
	v_cmp_ne_u16_sdwa s[8:9], v36, v51 src0_sel:BYTE_0 src1_sel:DWORD
	s_nop 0
	v_mfma_f32_16x16x16bf16_1k v[56:59], v[34:35], v[26:27], 0
	v_perm_b32 v35, v55, v54, s2
	v_perm_b32 v34, v42, v52, s2
	s_nop 1
	v_mfma_f32_16x16x16bf16_1k v[42:45], v[34:35], v[28:29], v[56:59]
	s_and_saveexec_b64 s[2:3], s[8:9]
	s_cbranch_execz .LBB840_67
; %bb.62:
	s_movk_i32 s8, 0x80
	v_cmp_ne_u16_sdwa s[10:11], v36, s8 src0_sel:BYTE_0 src1_sel:DWORD
	v_mov_b32_e32 v51, 0xffff8000
	s_and_saveexec_b64 s[8:9], s[10:11]
	s_cbranch_execz .LBB840_66
; %bb.63:
	s_movk_i32 s10, 0x7f
	v_and_b32_e32 v34, 0x7f, v36
	v_cmp_ne_u32_e32 vcc, s10, v34
	v_mov_b32_e32 v51, 0x7f80
	s_and_saveexec_b64 s[10:11], vcc
	s_cbranch_execz .LBB840_65
; %bb.64:
	v_and_b32_e32 v35, 7, v36
	v_ffbh_u32_e32 v52, v35
	v_min_u32_e32 v54, 32, v52
	v_subrev_u32_e32 v52, 28, v54
	v_lshlrev_b64 v[52:53], v52, v[36:37]
	v_lshrrev_b32_e32 v51, 3, v34
	v_sub_u32_e32 v53, 29, v54
	v_and_b32_e32 v52, 7, v52
	v_cmp_gt_u32_e32 vcc, 8, v34
	v_cndmask_b32_e32 v34, v51, v53, vcc
	v_cndmask_b32_e32 v35, v35, v52, vcc
	v_lshlrev_b32_e32 v51, 24, v36
	v_bfrev_b32_e32 v52, 60
	v_lshlrev_b32_e32 v35, 20, v35
	v_and_b32_e32 v51, 0x80000000, v51
	v_lshl_add_u32 v34, v34, 23, v52
	v_or3_b32 v34, v51, v34, v35
	v_lshrrev_b32_e32 v51, 16, v34
.LBB840_65:
	s_or_b64 exec, exec, s[10:11]
.LBB840_66:
	s_or_b64 exec, exec, s[8:9]
.LBB840_67:
	s_or_b64 exec, exec, s[2:3]
	v_lshrrev_b16_e32 v34, 8, v36
	v_cmp_ne_u16_e32 vcc, 0, v34
	v_mov_b32_e32 v53, 0
	v_mov_b32_e32 v35, 0
	s_and_saveexec_b64 s[2:3], vcc
	s_cbranch_execz .LBB840_73
; %bb.68:
	s_movk_i32 s8, 0x80
	v_cmp_ne_u16_e32 vcc, s8, v34
	v_mov_b32_e32 v35, 0xffff8000
	s_and_saveexec_b64 s[8:9], vcc
	s_cbranch_execz .LBB840_72
; %bb.69:
	s_movk_i32 s10, 0x7f
	v_and_b32_e32 v52, 0x7f, v34
	v_cmp_ne_u32_e32 vcc, s10, v52
	v_mov_b32_e32 v35, 0x7f80
	s_and_saveexec_b64 s[10:11], vcc
	s_cbranch_execz .LBB840_71
; %bb.70:
	v_and_b32_e32 v54, 7, v34
	v_ffbh_u32_e32 v35, v54
	v_min_u32_e32 v56, 32, v35
	v_subrev_u32_e32 v35, 28, v56
	v_lshlrev_b64 v[34:35], v35, v[34:35]
	v_lshrrev_b32_e32 v55, 3, v52
	v_sub_u32_e32 v35, 29, v56
	v_and_b32_e32 v34, 7, v34
	v_cmp_gt_u32_e32 vcc, 8, v52
	v_cndmask_b32_e32 v35, v55, v35, vcc
	v_cndmask_b32_e32 v34, v54, v34, vcc
	v_lshlrev_b32_e32 v52, 16, v36
	v_bfrev_b32_e32 v54, 60
	v_lshlrev_b32_e32 v34, 20, v34
	v_and_b32_e32 v52, 0x80000000, v52
	v_lshl_add_u32 v35, v35, 23, v54
	v_or3_b32 v34, v52, v35, v34
	v_lshrrev_b32_e32 v35, 16, v34
.LBB840_71:
	s_or_b64 exec, exec, s[10:11]
.LBB840_72:
	s_or_b64 exec, exec, s[8:9]
.LBB840_73:
	s_or_b64 exec, exec, s[2:3]
	s_movk_i32 s2, 0xff
	v_and_b32_sdwa v52, v36, s2 dst_sel:DWORD dst_unused:UNUSED_PAD src0_sel:WORD_1 src1_sel:DWORD
	v_lshrrev_b32_e32 v34, 16, v36
	v_cmp_ne_u16_e32 vcc, 0, v52
	s_and_saveexec_b64 s[2:3], vcc
	s_cbranch_execz .LBB840_79
; %bb.74:
	s_movk_i32 s8, 0x80
	v_cmp_ne_u16_e32 vcc, s8, v52
	v_mov_b32_e32 v53, 0xffff8000
	s_and_saveexec_b64 s[8:9], vcc
	s_cbranch_execz .LBB840_78
; %bb.75:
	v_bfe_u32 v52, v36, 16, 7
	s_movk_i32 s10, 0x7f
	v_cmp_ne_u32_e32 vcc, s10, v52
	v_mov_b32_e32 v53, 0x7f80
	s_and_saveexec_b64 s[10:11], vcc
	s_cbranch_execz .LBB840_77
; %bb.76:
	v_and_b32_e32 v53, 7, v34
	v_ffbh_u32_e32 v54, v53
	v_min_u32_e32 v57, 32, v54
	v_subrev_u32_e32 v54, 28, v57
	v_lshlrev_b64 v[54:55], v54, v[34:35]
	v_and_b32_e32 v54, 7, v54
	v_cmp_gt_u32_e32 vcc, 8, v52
	v_lshrrev_b32_e32 v56, 3, v52
	v_sub_u32_e32 v34, 29, v57
	v_cndmask_b32_e32 v52, v53, v54, vcc
	v_mov_b32_e32 v53, 24
	v_cndmask_b32_e32 v34, v56, v34, vcc
	v_lshlrev_b32_sdwa v53, v53, v36 dst_sel:DWORD dst_unused:UNUSED_PAD src0_sel:DWORD src1_sel:WORD_1
	v_bfrev_b32_e32 v54, 60
	v_lshlrev_b32_e32 v52, 20, v52
	v_and_b32_e32 v53, 0x80000000, v53
	v_lshl_add_u32 v34, v34, 23, v54
	v_or3_b32 v34, v53, v34, v52
	v_lshrrev_b32_e32 v53, 16, v34
.LBB840_77:
	s_or_b64 exec, exec, s[10:11]
.LBB840_78:
	s_or_b64 exec, exec, s[8:9]
.LBB840_79:
	s_or_b64 exec, exec, s[2:3]
	s_mov_b32 s2, 0xffffff
	v_cmp_lt_u32_e32 vcc, s2, v36
	v_mov_b32_e32 v54, 0
	v_mov_b32_e32 v55, 0
	s_and_saveexec_b64 s[2:3], vcc
	s_cbranch_execz .LBB840_85
; %bb.80:
	v_lshrrev_b32_e32 v34, 24, v36
	s_movk_i32 s8, 0x80
	v_cmp_ne_u32_e32 vcc, s8, v34
	v_mov_b32_e32 v55, 0xffff8000
	s_and_saveexec_b64 s[8:9], vcc
	s_cbranch_execz .LBB840_84
; %bb.81:
	v_bfe_u32 v36, v36, 24, 7
	s_movk_i32 s10, 0x7f
	v_cmp_ne_u32_e32 vcc, s10, v36
	v_mov_b32_e32 v55, 0x7f80
	s_and_saveexec_b64 s[10:11], vcc
	s_cbranch_execz .LBB840_83
; %bb.82:
	v_and_b32_e32 v52, 7, v34
	v_ffbh_u32_e32 v56, v52
	v_min_u32_e32 v58, 32, v56
	v_subrev_u32_e32 v56, 28, v58
	v_lshlrev_b64 v[56:57], v56, v[34:35]
	v_lshrrev_b32_e32 v55, 3, v36
	v_sub_u32_e32 v57, 29, v58
	v_and_b32_e32 v56, 7, v56
	v_cmp_gt_u32_e32 vcc, 8, v36
	v_cndmask_b32_e32 v36, v55, v57, vcc
	v_cndmask_b32_e32 v52, v52, v56, vcc
	v_lshlrev_b32_e32 v34, 24, v34
	v_bfrev_b32_e32 v55, 60
	v_lshlrev_b32_e32 v52, 20, v52
	v_and_b32_e32 v34, 0x80000000, v34
	v_lshl_add_u32 v36, v36, 23, v55
	v_or3_b32 v34, v34, v36, v52
	v_lshrrev_b32_e32 v55, 16, v34
.LBB840_83:
	s_or_b64 exec, exec, s[10:11]
.LBB840_84:
	s_or_b64 exec, exec, s[8:9]
.LBB840_85:
	s_or_b64 exec, exec, s[2:3]
	v_cmp_ne_u16_sdwa s[8:9], v37, v54 src0_sel:BYTE_0 src1_sel:DWORD
	s_and_saveexec_b64 s[2:3], s[8:9]
	s_cbranch_execz .LBB840_91
; %bb.86:
	s_movk_i32 s8, 0x80
	v_cmp_ne_u16_sdwa s[10:11], v37, s8 src0_sel:BYTE_0 src1_sel:DWORD
	v_mov_b32_e32 v54, 0xffff8000
	s_and_saveexec_b64 s[8:9], s[10:11]
	s_cbranch_execz .LBB840_90
; %bb.87:
	s_movk_i32 s10, 0x7f
	v_and_b32_e32 v34, 0x7f, v37
	v_cmp_ne_u32_e32 vcc, s10, v34
	v_mov_b32_e32 v54, 0x7f80
	s_and_saveexec_b64 s[10:11], vcc
	s_cbranch_execz .LBB840_89
; %bb.88:
	v_and_b32_e32 v52, 7, v37
	v_ffbh_u32_e32 v56, v52
	v_min_u32_e32 v58, 32, v56
	v_mov_b32_e32 v36, v37
	v_subrev_u32_e32 v56, 28, v58
	v_lshlrev_b64 v[56:57], v56, v[36:37]
	v_lshrrev_b32_e32 v54, 3, v34
	v_sub_u32_e32 v36, 29, v58
	v_and_b32_e32 v56, 7, v56
	v_cmp_gt_u32_e32 vcc, 8, v34
	v_cndmask_b32_e32 v34, v54, v36, vcc
	v_cndmask_b32_e32 v36, v52, v56, vcc
	v_lshlrev_b32_e32 v52, 24, v37
	v_bfrev_b32_e32 v54, 60
	v_lshlrev_b32_e32 v36, 20, v36
	v_and_b32_e32 v52, 0x80000000, v52
	v_lshl_add_u32 v34, v34, 23, v54
	v_or3_b32 v34, v52, v34, v36
	v_lshrrev_b32_e32 v54, 16, v34
.LBB840_89:
	s_or_b64 exec, exec, s[10:11]
.LBB840_90:
	s_or_b64 exec, exec, s[8:9]
.LBB840_91:
	s_or_b64 exec, exec, s[2:3]
	v_lshrrev_b16_e32 v34, 8, v37
	v_cmp_ne_u16_e32 vcc, 0, v34
	v_mov_b32_e32 v56, 0
	v_mov_b32_e32 v36, 0
	s_and_saveexec_b64 s[2:3], vcc
	s_cbranch_execz .LBB840_97
; %bb.92:
	s_movk_i32 s8, 0x80
	v_cmp_ne_u16_e32 vcc, s8, v34
	v_mov_b32_e32 v36, 0xffff8000
	s_and_saveexec_b64 s[8:9], vcc
	s_cbranch_execz .LBB840_96
; %bb.93:
	s_movk_i32 s10, 0x7f
	v_and_b32_e32 v52, 0x7f, v34
	v_cmp_ne_u32_e32 vcc, s10, v52
	v_mov_b32_e32 v36, 0x7f80
	s_and_saveexec_b64 s[10:11], vcc
	s_cbranch_execz .LBB840_95
; %bb.94:
	v_and_b32_e32 v36, 7, v34
	v_ffbh_u32_e32 v58, v36
	v_min_u32_e32 v60, 32, v58
	v_subrev_u32_e32 v58, 28, v60
	v_lshlrev_b64 v[58:59], v58, v[34:35]
	v_lshrrev_b32_e32 v57, 3, v52
	v_sub_u32_e32 v34, 29, v60
	v_and_b32_e32 v58, 7, v58
	v_cmp_gt_u32_e32 vcc, 8, v52
	v_cndmask_b32_e32 v34, v57, v34, vcc
	v_cndmask_b32_e32 v36, v36, v58, vcc
	v_lshlrev_b32_e32 v52, 16, v37
	v_bfrev_b32_e32 v57, 60
	v_lshlrev_b32_e32 v36, 20, v36
	v_and_b32_e32 v52, 0x80000000, v52
	v_lshl_add_u32 v34, v34, 23, v57
	v_or3_b32 v34, v52, v34, v36
	v_lshrrev_b32_e32 v36, 16, v34
.LBB840_95:
	s_or_b64 exec, exec, s[10:11]
.LBB840_96:
	s_or_b64 exec, exec, s[8:9]
.LBB840_97:
	s_or_b64 exec, exec, s[2:3]
	s_movk_i32 s2, 0xff
	v_and_b32_sdwa v52, v37, s2 dst_sel:DWORD dst_unused:UNUSED_PAD src0_sel:WORD_1 src1_sel:DWORD
	v_lshrrev_b32_e32 v34, 16, v37
	v_cmp_ne_u16_e32 vcc, 0, v52
	s_and_saveexec_b64 s[2:3], vcc
	s_cbranch_execz .LBB840_103
; %bb.98:
	s_movk_i32 s8, 0x80
	v_cmp_ne_u16_e32 vcc, s8, v52
	v_mov_b32_e32 v56, 0xffff8000
	s_and_saveexec_b64 s[8:9], vcc
	s_cbranch_execz .LBB840_102
; %bb.99:
	v_bfe_u32 v52, v37, 16, 7
	s_movk_i32 s10, 0x7f
	v_cmp_ne_u32_e32 vcc, s10, v52
	v_mov_b32_e32 v56, 0x7f80
	s_and_saveexec_b64 s[10:11], vcc
	s_cbranch_execz .LBB840_101
; %bb.100:
	v_and_b32_e32 v58, 7, v34
	v_ffbh_u32_e32 v56, v58
	v_min_u32_e32 v60, 32, v56
	v_subrev_u32_e32 v56, 28, v60
	v_lshlrev_b64 v[56:57], v56, v[34:35]
	v_and_b32_e32 v56, 7, v56
	v_cmp_gt_u32_e32 vcc, 8, v52
	v_lshrrev_b32_e32 v59, 3, v52
	v_sub_u32_e32 v34, 29, v60
	v_cndmask_b32_e32 v52, v58, v56, vcc
	v_mov_b32_e32 v56, 24
	v_cndmask_b32_e32 v34, v59, v34, vcc
	v_lshlrev_b32_sdwa v56, v56, v37 dst_sel:DWORD dst_unused:UNUSED_PAD src0_sel:DWORD src1_sel:WORD_1
	v_bfrev_b32_e32 v57, 60
	v_lshlrev_b32_e32 v52, 20, v52
	v_and_b32_e32 v56, 0x80000000, v56
	v_lshl_add_u32 v34, v34, 23, v57
	v_or3_b32 v34, v56, v34, v52
	v_lshrrev_b32_e32 v56, 16, v34
.LBB840_101:
	s_or_b64 exec, exec, s[10:11]
.LBB840_102:
	s_or_b64 exec, exec, s[8:9]
.LBB840_103:
	s_or_b64 exec, exec, s[2:3]
	s_mov_b32 s2, 0xffffff
	v_cmp_lt_u32_e32 vcc, s2, v37
	v_mov_b32_e32 v52, 0
	v_mov_b32_e32 v57, 0
	s_and_saveexec_b64 s[2:3], vcc
	s_cbranch_execz .LBB840_109
; %bb.104:
	v_lshrrev_b32_e32 v34, 24, v37
	s_movk_i32 s8, 0x80
	v_cmp_ne_u32_e32 vcc, s8, v34
	v_mov_b32_e32 v57, 0xffff8000
	s_and_saveexec_b64 s[8:9], vcc
	s_cbranch_execz .LBB840_108
; %bb.105:
	v_bfe_u32 v37, v37, 24, 7
	s_movk_i32 s10, 0x7f
	v_cmp_ne_u32_e32 vcc, s10, v37
	v_mov_b32_e32 v57, 0x7f80
	s_and_saveexec_b64 s[10:11], vcc
	s_cbranch_execz .LBB840_107
; %bb.106:
	v_and_b32_e32 v57, 7, v34
	v_ffbh_u32_e32 v58, v57
	v_min_u32_e32 v61, 32, v58
	v_subrev_u32_e32 v58, 28, v61
	v_lshlrev_b64 v[58:59], v58, v[34:35]
	v_lshrrev_b32_e32 v60, 3, v37
	v_sub_u32_e32 v59, 29, v61
	v_and_b32_e32 v58, 7, v58
	v_cmp_gt_u32_e32 vcc, 8, v37
	v_cndmask_b32_e32 v37, v60, v59, vcc
	v_cndmask_b32_e32 v57, v57, v58, vcc
	v_lshlrev_b32_e32 v34, 24, v34
	v_bfrev_b32_e32 v58, 60
	v_lshlrev_b32_e32 v57, 20, v57
	v_and_b32_e32 v34, 0x80000000, v34
	v_lshl_add_u32 v37, v37, 23, v58
	v_or3_b32 v34, v34, v37, v57
	v_lshrrev_b32_e32 v57, 16, v34
.LBB840_107:
	s_or_b64 exec, exec, s[10:11]
.LBB840_108:
	s_or_b64 exec, exec, s[8:9]
.LBB840_109:
	s_or_b64 exec, exec, s[2:3]
	s_mov_b32 s2, 0x5040100
	v_perm_b32 v59, v55, v53, s2
	v_perm_b32 v58, v35, v51, s2
	;; [unrolled: 1-line block ×4, first 2 shown]
	v_cmp_ne_u16_sdwa s[8:9], v38, v52 src0_sel:BYTE_0 src1_sel:DWORD
	v_mfma_f32_16x16x16bf16_1k v[42:45], v[58:59], v[18:19], v[42:45]
	v_mfma_f32_16x16x16bf16_1k v[34:37], v[34:35], v[20:21], v[42:45]
	s_and_saveexec_b64 s[2:3], s[8:9]
	s_cbranch_execz .LBB840_115
; %bb.110:
	s_movk_i32 s8, 0x80
	v_cmp_ne_u16_sdwa s[10:11], v38, s8 src0_sel:BYTE_0 src1_sel:DWORD
	v_mov_b32_e32 v52, 0xffff8000
	s_and_saveexec_b64 s[8:9], s[10:11]
	s_cbranch_execz .LBB840_114
; %bb.111:
	s_movk_i32 s10, 0x7f
	s_nop 1
	v_and_b32_e32 v42, 0x7f, v38
	v_cmp_ne_u32_e32 vcc, s10, v42
	v_mov_b32_e32 v52, 0x7f80
	s_and_saveexec_b64 s[10:11], vcc
	s_cbranch_execz .LBB840_113
; %bb.112:
	v_and_b32_e32 v43, 7, v38
	v_ffbh_u32_e32 v44, v43
	v_min_u32_e32 v52, 32, v44
	v_subrev_u32_e32 v44, 28, v52
	v_lshlrev_b64 v[44:45], v44, v[38:39]
	v_lshrrev_b32_e32 v51, 3, v42
	v_sub_u32_e32 v45, 29, v52
	v_and_b32_e32 v44, 7, v44
	v_cmp_gt_u32_e32 vcc, 8, v42
	v_cndmask_b32_e32 v42, v51, v45, vcc
	v_cndmask_b32_e32 v43, v43, v44, vcc
	v_lshlrev_b32_e32 v44, 24, v38
	v_bfrev_b32_e32 v45, 60
	v_lshlrev_b32_e32 v43, 20, v43
	v_and_b32_e32 v44, 0x80000000, v44
	v_lshl_add_u32 v42, v42, 23, v45
	v_or3_b32 v42, v44, v42, v43
	v_lshrrev_b32_e32 v52, 16, v42
.LBB840_113:
	s_or_b64 exec, exec, s[10:11]
.LBB840_114:
	s_or_b64 exec, exec, s[8:9]
.LBB840_115:
	s_or_b64 exec, exec, s[2:3]
	s_nop 6
	v_lshrrev_b16_e32 v42, 8, v38
	v_cmp_ne_u16_e32 vcc, 0, v42
	v_mov_b32_e32 v44, 0
	v_mov_b32_e32 v43, 0
	s_and_saveexec_b64 s[2:3], vcc
	s_cbranch_execz .LBB840_121
; %bb.116:
	s_movk_i32 s8, 0x80
	v_cmp_ne_u16_e32 vcc, s8, v42
	v_mov_b32_e32 v43, 0xffff8000
	s_and_saveexec_b64 s[8:9], vcc
	s_cbranch_execz .LBB840_120
; %bb.117:
	s_movk_i32 s10, 0x7f
	v_and_b32_e32 v45, 0x7f, v42
	v_cmp_ne_u32_e32 vcc, s10, v45
	v_mov_b32_e32 v43, 0x7f80
	s_and_saveexec_b64 s[10:11], vcc
	s_cbranch_execz .LBB840_119
; %bb.118:
	v_and_b32_e32 v51, 7, v42
	v_ffbh_u32_e32 v43, v51
	v_min_u32_e32 v54, 32, v43
	v_subrev_u32_e32 v43, 28, v54
	v_lshlrev_b64 v[42:43], v43, v[42:43]
	v_lshrrev_b32_e32 v53, 3, v45
	v_sub_u32_e32 v43, 29, v54
	v_and_b32_e32 v42, 7, v42
	v_cmp_gt_u32_e32 vcc, 8, v45
	v_cndmask_b32_e32 v43, v53, v43, vcc
	v_cndmask_b32_e32 v42, v51, v42, vcc
	v_lshlrev_b32_e32 v45, 16, v38
	v_bfrev_b32_e32 v51, 60
	v_lshlrev_b32_e32 v42, 20, v42
	v_and_b32_e32 v45, 0x80000000, v45
	v_lshl_add_u32 v43, v43, 23, v51
	v_or3_b32 v42, v45, v43, v42
	v_lshrrev_b32_e32 v43, 16, v42
.LBB840_119:
	s_or_b64 exec, exec, s[10:11]
.LBB840_120:
	s_or_b64 exec, exec, s[8:9]
.LBB840_121:
	s_or_b64 exec, exec, s[2:3]
	s_movk_i32 s2, 0xff
	v_and_b32_sdwa v45, v38, s2 dst_sel:DWORD dst_unused:UNUSED_PAD src0_sel:WORD_1 src1_sel:DWORD
	v_lshrrev_b32_e32 v42, 16, v38
	v_cmp_ne_u16_e32 vcc, 0, v45
	s_and_saveexec_b64 s[2:3], vcc
	s_cbranch_execz .LBB840_127
; %bb.122:
	s_movk_i32 s8, 0x80
	v_cmp_ne_u16_e32 vcc, s8, v45
	v_mov_b32_e32 v44, 0xffff8000
	s_and_saveexec_b64 s[8:9], vcc
	s_cbranch_execz .LBB840_126
; %bb.123:
	v_bfe_u32 v45, v38, 16, 7
	s_movk_i32 s10, 0x7f
	v_cmp_ne_u32_e32 vcc, s10, v45
	v_mov_b32_e32 v44, 0x7f80
	s_and_saveexec_b64 s[10:11], vcc
	s_cbranch_execz .LBB840_125
; %bb.124:
	v_and_b32_e32 v44, 7, v42
	v_ffbh_u32_e32 v53, v44
	v_min_u32_e32 v53, 32, v53
	v_subrev_u32_e32 v54, 28, v53
	v_lshlrev_b64 v[54:55], v54, v[42:43]
	v_lshrrev_b32_e32 v51, 3, v45
	v_sub_u32_e32 v42, 29, v53
	v_and_b32_e32 v53, 7, v54
	v_cmp_gt_u32_e32 vcc, 8, v45
	v_mov_b32_e32 v45, 24
	v_cndmask_b32_e32 v42, v51, v42, vcc
	v_cndmask_b32_e32 v44, v44, v53, vcc
	v_lshlrev_b32_sdwa v45, v45, v38 dst_sel:DWORD dst_unused:UNUSED_PAD src0_sel:DWORD src1_sel:WORD_1
	v_bfrev_b32_e32 v51, 60
	v_lshlrev_b32_e32 v44, 20, v44
	v_and_b32_e32 v45, 0x80000000, v45
	v_lshl_add_u32 v42, v42, 23, v51
	v_or3_b32 v42, v45, v42, v44
	v_lshrrev_b32_e32 v44, 16, v42
.LBB840_125:
	s_or_b64 exec, exec, s[10:11]
.LBB840_126:
	s_or_b64 exec, exec, s[8:9]
.LBB840_127:
	s_or_b64 exec, exec, s[2:3]
	s_mov_b32 s2, 0xffffff
	v_cmp_lt_u32_e32 vcc, s2, v38
	v_mov_b32_e32 v45, 0
	v_mov_b32_e32 v53, 0
	s_and_saveexec_b64 s[2:3], vcc
	s_cbranch_execz .LBB840_133
; %bb.128:
	v_lshrrev_b32_e32 v42, 24, v38
	s_movk_i32 s8, 0x80
	v_cmp_ne_u32_e32 vcc, s8, v42
	v_mov_b32_e32 v53, 0xffff8000
	s_and_saveexec_b64 s[8:9], vcc
	s_cbranch_execz .LBB840_132
; %bb.129:
	v_bfe_u32 v38, v38, 24, 7
	s_movk_i32 s10, 0x7f
	v_cmp_ne_u32_e32 vcc, s10, v38
	v_mov_b32_e32 v53, 0x7f80
	s_and_saveexec_b64 s[10:11], vcc
	s_cbranch_execz .LBB840_131
; %bb.130:
	v_and_b32_e32 v51, 7, v42
	v_ffbh_u32_e32 v54, v51
	v_min_u32_e32 v56, 32, v54
	v_subrev_u32_e32 v54, 28, v56
	v_lshlrev_b64 v[54:55], v54, v[42:43]
	v_lshrrev_b32_e32 v53, 3, v38
	v_sub_u32_e32 v55, 29, v56
	v_and_b32_e32 v54, 7, v54
	v_cmp_gt_u32_e32 vcc, 8, v38
	v_cndmask_b32_e32 v38, v53, v55, vcc
	v_cndmask_b32_e32 v51, v51, v54, vcc
	v_lshlrev_b32_e32 v42, 24, v42
	v_bfrev_b32_e32 v53, 60
	v_lshlrev_b32_e32 v51, 20, v51
	v_and_b32_e32 v42, 0x80000000, v42
	v_lshl_add_u32 v38, v38, 23, v53
	v_or3_b32 v38, v42, v38, v51
	v_lshrrev_b32_e32 v53, 16, v38
.LBB840_131:
	s_or_b64 exec, exec, s[10:11]
.LBB840_132:
	s_or_b64 exec, exec, s[8:9]
.LBB840_133:
	s_or_b64 exec, exec, s[2:3]
	v_cmp_ne_u16_sdwa s[8:9], v39, v45 src0_sel:BYTE_0 src1_sel:DWORD
	s_and_saveexec_b64 s[2:3], s[8:9]
	s_cbranch_execz .LBB840_139
; %bb.134:
	s_movk_i32 s8, 0x80
	v_cmp_ne_u16_sdwa s[10:11], v39, s8 src0_sel:BYTE_0 src1_sel:DWORD
	v_mov_b32_e32 v45, 0xffff8000
	s_and_saveexec_b64 s[8:9], s[10:11]
	s_cbranch_execz .LBB840_138
; %bb.135:
	s_movk_i32 s10, 0x7f
	v_and_b32_e32 v38, 0x7f, v39
	v_cmp_ne_u32_e32 vcc, s10, v38
	v_mov_b32_e32 v45, 0x7f80
	s_and_saveexec_b64 s[10:11], vcc
	s_cbranch_execz .LBB840_137
; %bb.136:
	v_and_b32_e32 v45, 7, v39
	v_ffbh_u32_e32 v54, v45
	v_min_u32_e32 v56, 32, v54
	v_mov_b32_e32 v42, v39
	v_subrev_u32_e32 v54, 28, v56
	v_lshlrev_b64 v[54:55], v54, v[42:43]
	v_lshrrev_b32_e32 v51, 3, v38
	v_sub_u32_e32 v42, 29, v56
	v_and_b32_e32 v54, 7, v54
	v_cmp_gt_u32_e32 vcc, 8, v38
	v_cndmask_b32_e32 v38, v51, v42, vcc
	v_cndmask_b32_e32 v42, v45, v54, vcc
	v_lshlrev_b32_e32 v45, 24, v39
	v_bfrev_b32_e32 v51, 60
	v_lshlrev_b32_e32 v42, 20, v42
	v_and_b32_e32 v45, 0x80000000, v45
	v_lshl_add_u32 v38, v38, 23, v51
	v_or3_b32 v38, v45, v38, v42
	v_lshrrev_b32_e32 v45, 16, v38
.LBB840_137:
	s_or_b64 exec, exec, s[10:11]
.LBB840_138:
	s_or_b64 exec, exec, s[8:9]
.LBB840_139:
	s_or_b64 exec, exec, s[2:3]
	v_lshrrev_b16_e32 v38, 8, v39
	v_cmp_ne_u16_e32 vcc, 0, v38
	v_mov_b32_e32 v54, 0
	v_mov_b32_e32 v42, 0
	s_and_saveexec_b64 s[2:3], vcc
	s_cbranch_execz .LBB840_145
; %bb.140:
	s_movk_i32 s8, 0x80
	v_cmp_ne_u16_e32 vcc, s8, v38
	v_mov_b32_e32 v42, 0xffff8000
	s_and_saveexec_b64 s[8:9], vcc
	s_cbranch_execz .LBB840_144
; %bb.141:
	s_movk_i32 s10, 0x7f
	v_and_b32_e32 v51, 0x7f, v38
	v_cmp_ne_u32_e32 vcc, s10, v51
	v_mov_b32_e32 v42, 0x7f80
	s_and_saveexec_b64 s[10:11], vcc
	s_cbranch_execz .LBB840_143
; %bb.142:
	v_and_b32_e32 v42, 7, v38
	v_ffbh_u32_e32 v56, v42
	v_min_u32_e32 v58, 32, v56
	v_subrev_u32_e32 v56, 28, v58
	v_lshlrev_b64 v[56:57], v56, v[38:39]
	v_lshrrev_b32_e32 v55, 3, v51
	v_sub_u32_e32 v38, 29, v58
	v_and_b32_e32 v56, 7, v56
	v_cmp_gt_u32_e32 vcc, 8, v51
	v_cndmask_b32_e32 v38, v55, v38, vcc
	v_cndmask_b32_e32 v42, v42, v56, vcc
	v_lshlrev_b32_e32 v51, 16, v39
	v_bfrev_b32_e32 v55, 60
	v_lshlrev_b32_e32 v42, 20, v42
	v_and_b32_e32 v51, 0x80000000, v51
	v_lshl_add_u32 v38, v38, 23, v55
	v_or3_b32 v38, v51, v38, v42
	v_lshrrev_b32_e32 v42, 16, v38
.LBB840_143:
	s_or_b64 exec, exec, s[10:11]
.LBB840_144:
	s_or_b64 exec, exec, s[8:9]
.LBB840_145:
	s_or_b64 exec, exec, s[2:3]
	s_movk_i32 s2, 0xff
	v_and_b32_sdwa v51, v39, s2 dst_sel:DWORD dst_unused:UNUSED_PAD src0_sel:WORD_1 src1_sel:DWORD
	v_lshrrev_b32_e32 v38, 16, v39
	v_cmp_ne_u16_e32 vcc, 0, v51
	s_and_saveexec_b64 s[2:3], vcc
	s_cbranch_execz .LBB840_151
; %bb.146:
	s_movk_i32 s8, 0x80
	v_cmp_ne_u16_e32 vcc, s8, v51
	v_mov_b32_e32 v54, 0xffff8000
	s_and_saveexec_b64 s[8:9], vcc
	s_cbranch_execz .LBB840_150
; %bb.147:
	v_bfe_u32 v51, v39, 16, 7
	s_movk_i32 s10, 0x7f
	v_cmp_ne_u32_e32 vcc, s10, v51
	v_mov_b32_e32 v54, 0x7f80
	s_and_saveexec_b64 s[10:11], vcc
	s_cbranch_execz .LBB840_149
; %bb.148:
	v_and_b32_e32 v56, 7, v38
	v_ffbh_u32_e32 v54, v56
	v_min_u32_e32 v58, 32, v54
	v_subrev_u32_e32 v54, 28, v58
	v_lshlrev_b64 v[54:55], v54, v[38:39]
	v_and_b32_e32 v54, 7, v54
	v_cmp_gt_u32_e32 vcc, 8, v51
	v_lshrrev_b32_e32 v57, 3, v51
	v_sub_u32_e32 v38, 29, v58
	v_cndmask_b32_e32 v51, v56, v54, vcc
	v_mov_b32_e32 v54, 24
	v_cndmask_b32_e32 v38, v57, v38, vcc
	v_lshlrev_b32_sdwa v54, v54, v39 dst_sel:DWORD dst_unused:UNUSED_PAD src0_sel:DWORD src1_sel:WORD_1
	v_bfrev_b32_e32 v55, 60
	v_lshlrev_b32_e32 v51, 20, v51
	v_and_b32_e32 v54, 0x80000000, v54
	v_lshl_add_u32 v38, v38, 23, v55
	v_or3_b32 v38, v54, v38, v51
	v_lshrrev_b32_e32 v54, 16, v38
.LBB840_149:
	s_or_b64 exec, exec, s[10:11]
.LBB840_150:
	s_or_b64 exec, exec, s[8:9]
.LBB840_151:
	s_or_b64 exec, exec, s[2:3]
	s_mov_b32 s2, 0xffffff
	v_cmp_lt_u32_e32 vcc, s2, v39
	v_mov_b32_e32 v51, 0
	v_mov_b32_e32 v55, 0
	s_and_saveexec_b64 s[2:3], vcc
	s_cbranch_execz .LBB840_157
; %bb.152:
	v_lshrrev_b32_e32 v38, 24, v39
	s_movk_i32 s8, 0x80
	v_cmp_ne_u32_e32 vcc, s8, v38
	v_mov_b32_e32 v55, 0xffff8000
	s_and_saveexec_b64 s[8:9], vcc
	s_cbranch_execz .LBB840_156
; %bb.153:
	v_bfe_u32 v39, v39, 24, 7
	s_movk_i32 s10, 0x7f
	v_cmp_ne_u32_e32 vcc, s10, v39
	v_mov_b32_e32 v55, 0x7f80
	s_and_saveexec_b64 s[10:11], vcc
	s_cbranch_execz .LBB840_155
; %bb.154:
	v_and_b32_e32 v55, 7, v38
	v_ffbh_u32_e32 v56, v55
	v_min_u32_e32 v59, 32, v56
	v_subrev_u32_e32 v56, 28, v59
	v_lshlrev_b64 v[56:57], v56, v[38:39]
	v_lshrrev_b32_e32 v58, 3, v39
	v_sub_u32_e32 v57, 29, v59
	v_and_b32_e32 v56, 7, v56
	v_cmp_gt_u32_e32 vcc, 8, v39
	v_cndmask_b32_e32 v39, v58, v57, vcc
	v_cndmask_b32_e32 v55, v55, v56, vcc
	v_lshlrev_b32_e32 v38, 24, v38
	v_bfrev_b32_e32 v56, 60
	v_lshlrev_b32_e32 v55, 20, v55
	v_and_b32_e32 v38, 0x80000000, v38
	v_lshl_add_u32 v39, v39, 23, v56
	v_or3_b32 v38, v38, v39, v55
	v_lshrrev_b32_e32 v55, 16, v38
.LBB840_155:
	s_or_b64 exec, exec, s[10:11]
.LBB840_156:
	s_or_b64 exec, exec, s[8:9]
.LBB840_157:
	s_or_b64 exec, exec, s[2:3]
	s_mov_b32 s2, 0x5040100
	v_perm_b32 v39, v53, v44, s2
	v_perm_b32 v38, v43, v52, s2
	v_cmp_ne_u16_sdwa s[8:9], v40, v51 src0_sel:BYTE_0 src1_sel:DWORD
	s_nop 0
	v_mfma_f32_16x16x16bf16_1k v[56:59], v[38:39], v[26:27], 0
	v_perm_b32 v39, v55, v54, s2
	v_perm_b32 v38, v42, v45, s2
	s_nop 1
	v_mfma_f32_16x16x16bf16_1k v[42:45], v[38:39], v[28:29], v[56:59]
	s_and_saveexec_b64 s[2:3], s[8:9]
	s_cbranch_execz .LBB840_163
; %bb.158:
	s_movk_i32 s8, 0x80
	v_cmp_ne_u16_sdwa s[10:11], v40, s8 src0_sel:BYTE_0 src1_sel:DWORD
	v_mov_b32_e32 v51, 0xffff8000
	s_and_saveexec_b64 s[8:9], s[10:11]
	s_cbranch_execz .LBB840_162
; %bb.159:
	s_movk_i32 s10, 0x7f
	v_and_b32_e32 v38, 0x7f, v40
	v_cmp_ne_u32_e32 vcc, s10, v38
	v_mov_b32_e32 v51, 0x7f80
	s_and_saveexec_b64 s[10:11], vcc
	s_cbranch_execz .LBB840_161
; %bb.160:
	v_and_b32_e32 v39, 7, v40
	v_ffbh_u32_e32 v52, v39
	v_min_u32_e32 v54, 32, v52
	v_subrev_u32_e32 v52, 28, v54
	v_lshlrev_b64 v[52:53], v52, v[40:41]
	v_lshrrev_b32_e32 v51, 3, v38
	v_sub_u32_e32 v53, 29, v54
	v_and_b32_e32 v52, 7, v52
	v_cmp_gt_u32_e32 vcc, 8, v38
	v_cndmask_b32_e32 v38, v51, v53, vcc
	v_cndmask_b32_e32 v39, v39, v52, vcc
	v_lshlrev_b32_e32 v51, 24, v40
	v_bfrev_b32_e32 v52, 60
	v_lshlrev_b32_e32 v39, 20, v39
	v_and_b32_e32 v51, 0x80000000, v51
	v_lshl_add_u32 v38, v38, 23, v52
	v_or3_b32 v38, v51, v38, v39
	v_lshrrev_b32_e32 v51, 16, v38
.LBB840_161:
	s_or_b64 exec, exec, s[10:11]
.LBB840_162:
	s_or_b64 exec, exec, s[8:9]
.LBB840_163:
	s_or_b64 exec, exec, s[2:3]
	v_lshrrev_b16_e32 v38, 8, v40
	v_cmp_ne_u16_e32 vcc, 0, v38
	v_mov_b32_e32 v53, 0
	v_mov_b32_e32 v39, 0
	s_and_saveexec_b64 s[2:3], vcc
	s_cbranch_execz .LBB840_169
; %bb.164:
	s_movk_i32 s8, 0x80
	v_cmp_ne_u16_e32 vcc, s8, v38
	v_mov_b32_e32 v39, 0xffff8000
	s_and_saveexec_b64 s[8:9], vcc
	s_cbranch_execz .LBB840_168
; %bb.165:
	s_movk_i32 s10, 0x7f
	v_and_b32_e32 v52, 0x7f, v38
	v_cmp_ne_u32_e32 vcc, s10, v52
	v_mov_b32_e32 v39, 0x7f80
	s_and_saveexec_b64 s[10:11], vcc
	s_cbranch_execz .LBB840_167
; %bb.166:
	v_and_b32_e32 v54, 7, v38
	v_ffbh_u32_e32 v39, v54
	v_min_u32_e32 v56, 32, v39
	v_subrev_u32_e32 v39, 28, v56
	v_lshlrev_b64 v[38:39], v39, v[38:39]
	v_lshrrev_b32_e32 v55, 3, v52
	v_sub_u32_e32 v39, 29, v56
	v_and_b32_e32 v38, 7, v38
	v_cmp_gt_u32_e32 vcc, 8, v52
	v_cndmask_b32_e32 v39, v55, v39, vcc
	v_cndmask_b32_e32 v38, v54, v38, vcc
	v_lshlrev_b32_e32 v52, 16, v40
	v_bfrev_b32_e32 v54, 60
	v_lshlrev_b32_e32 v38, 20, v38
	v_and_b32_e32 v52, 0x80000000, v52
	v_lshl_add_u32 v39, v39, 23, v54
	v_or3_b32 v38, v52, v39, v38
	v_lshrrev_b32_e32 v39, 16, v38
.LBB840_167:
	s_or_b64 exec, exec, s[10:11]
.LBB840_168:
	s_or_b64 exec, exec, s[8:9]
.LBB840_169:
	s_or_b64 exec, exec, s[2:3]
	s_movk_i32 s2, 0xff
	v_and_b32_sdwa v52, v40, s2 dst_sel:DWORD dst_unused:UNUSED_PAD src0_sel:WORD_1 src1_sel:DWORD
	v_lshrrev_b32_e32 v38, 16, v40
	v_cmp_ne_u16_e32 vcc, 0, v52
	s_and_saveexec_b64 s[2:3], vcc
	s_cbranch_execz .LBB840_175
; %bb.170:
	s_movk_i32 s8, 0x80
	v_cmp_ne_u16_e32 vcc, s8, v52
	v_mov_b32_e32 v53, 0xffff8000
	s_and_saveexec_b64 s[8:9], vcc
	s_cbranch_execz .LBB840_174
; %bb.171:
	v_bfe_u32 v52, v40, 16, 7
	s_movk_i32 s10, 0x7f
	v_cmp_ne_u32_e32 vcc, s10, v52
	v_mov_b32_e32 v53, 0x7f80
	s_and_saveexec_b64 s[10:11], vcc
	s_cbranch_execz .LBB840_173
; %bb.172:
	v_and_b32_e32 v53, 7, v38
	v_ffbh_u32_e32 v54, v53
	v_min_u32_e32 v57, 32, v54
	v_subrev_u32_e32 v54, 28, v57
	v_lshlrev_b64 v[54:55], v54, v[38:39]
	v_and_b32_e32 v54, 7, v54
	v_cmp_gt_u32_e32 vcc, 8, v52
	v_lshrrev_b32_e32 v56, 3, v52
	v_sub_u32_e32 v38, 29, v57
	v_cndmask_b32_e32 v52, v53, v54, vcc
	v_mov_b32_e32 v53, 24
	v_cndmask_b32_e32 v38, v56, v38, vcc
	v_lshlrev_b32_sdwa v53, v53, v40 dst_sel:DWORD dst_unused:UNUSED_PAD src0_sel:DWORD src1_sel:WORD_1
	v_bfrev_b32_e32 v54, 60
	v_lshlrev_b32_e32 v52, 20, v52
	v_and_b32_e32 v53, 0x80000000, v53
	v_lshl_add_u32 v38, v38, 23, v54
	v_or3_b32 v38, v53, v38, v52
	v_lshrrev_b32_e32 v53, 16, v38
.LBB840_173:
	s_or_b64 exec, exec, s[10:11]
.LBB840_174:
	s_or_b64 exec, exec, s[8:9]
.LBB840_175:
	s_or_b64 exec, exec, s[2:3]
	s_mov_b32 s2, 0xffffff
	v_cmp_lt_u32_e32 vcc, s2, v40
	v_mov_b32_e32 v54, 0
	v_mov_b32_e32 v55, 0
	s_and_saveexec_b64 s[2:3], vcc
	s_cbranch_execz .LBB840_181
; %bb.176:
	v_lshrrev_b32_e32 v38, 24, v40
	s_movk_i32 s8, 0x80
	v_cmp_ne_u32_e32 vcc, s8, v38
	v_mov_b32_e32 v55, 0xffff8000
	s_and_saveexec_b64 s[8:9], vcc
	s_cbranch_execz .LBB840_180
; %bb.177:
	v_bfe_u32 v40, v40, 24, 7
	s_movk_i32 s10, 0x7f
	v_cmp_ne_u32_e32 vcc, s10, v40
	v_mov_b32_e32 v55, 0x7f80
	s_and_saveexec_b64 s[10:11], vcc
	s_cbranch_execz .LBB840_179
; %bb.178:
	v_and_b32_e32 v52, 7, v38
	v_ffbh_u32_e32 v56, v52
	v_min_u32_e32 v58, 32, v56
	v_subrev_u32_e32 v56, 28, v58
	v_lshlrev_b64 v[56:57], v56, v[38:39]
	v_lshrrev_b32_e32 v55, 3, v40
	v_sub_u32_e32 v57, 29, v58
	v_and_b32_e32 v56, 7, v56
	v_cmp_gt_u32_e32 vcc, 8, v40
	v_cndmask_b32_e32 v40, v55, v57, vcc
	v_cndmask_b32_e32 v52, v52, v56, vcc
	v_lshlrev_b32_e32 v38, 24, v38
	v_bfrev_b32_e32 v55, 60
	v_lshlrev_b32_e32 v52, 20, v52
	v_and_b32_e32 v38, 0x80000000, v38
	v_lshl_add_u32 v40, v40, 23, v55
	v_or3_b32 v38, v38, v40, v52
	v_lshrrev_b32_e32 v55, 16, v38
.LBB840_179:
	s_or_b64 exec, exec, s[10:11]
.LBB840_180:
	s_or_b64 exec, exec, s[8:9]
.LBB840_181:
	s_or_b64 exec, exec, s[2:3]
	v_cmp_ne_u16_sdwa s[8:9], v41, v54 src0_sel:BYTE_0 src1_sel:DWORD
	s_and_saveexec_b64 s[2:3], s[8:9]
	s_cbranch_execz .LBB840_187
; %bb.182:
	s_movk_i32 s8, 0x80
	v_cmp_ne_u16_sdwa s[10:11], v41, s8 src0_sel:BYTE_0 src1_sel:DWORD
	v_mov_b32_e32 v54, 0xffff8000
	s_and_saveexec_b64 s[8:9], s[10:11]
	s_cbranch_execz .LBB840_186
; %bb.183:
	s_movk_i32 s10, 0x7f
	v_and_b32_e32 v38, 0x7f, v41
	v_cmp_ne_u32_e32 vcc, s10, v38
	v_mov_b32_e32 v54, 0x7f80
	s_and_saveexec_b64 s[10:11], vcc
	s_cbranch_execz .LBB840_185
; %bb.184:
	v_and_b32_e32 v52, 7, v41
	v_ffbh_u32_e32 v56, v52
	v_min_u32_e32 v58, 32, v56
	v_mov_b32_e32 v40, v41
	v_subrev_u32_e32 v56, 28, v58
	v_lshlrev_b64 v[56:57], v56, v[40:41]
	v_lshrrev_b32_e32 v54, 3, v38
	v_sub_u32_e32 v40, 29, v58
	v_and_b32_e32 v56, 7, v56
	v_cmp_gt_u32_e32 vcc, 8, v38
	v_cndmask_b32_e32 v38, v54, v40, vcc
	v_cndmask_b32_e32 v40, v52, v56, vcc
	v_lshlrev_b32_e32 v52, 24, v41
	v_bfrev_b32_e32 v54, 60
	v_lshlrev_b32_e32 v40, 20, v40
	v_and_b32_e32 v52, 0x80000000, v52
	v_lshl_add_u32 v38, v38, 23, v54
	v_or3_b32 v38, v52, v38, v40
	v_lshrrev_b32_e32 v54, 16, v38
.LBB840_185:
	s_or_b64 exec, exec, s[10:11]
.LBB840_186:
	s_or_b64 exec, exec, s[8:9]
.LBB840_187:
	s_or_b64 exec, exec, s[2:3]
	v_lshrrev_b16_e32 v38, 8, v41
	v_cmp_ne_u16_e32 vcc, 0, v38
	v_mov_b32_e32 v56, 0
	v_mov_b32_e32 v40, 0
	s_and_saveexec_b64 s[2:3], vcc
	s_cbranch_execz .LBB840_193
; %bb.188:
	s_movk_i32 s8, 0x80
	v_cmp_ne_u16_e32 vcc, s8, v38
	v_mov_b32_e32 v40, 0xffff8000
	s_and_saveexec_b64 s[8:9], vcc
	s_cbranch_execz .LBB840_192
; %bb.189:
	s_movk_i32 s10, 0x7f
	v_and_b32_e32 v52, 0x7f, v38
	v_cmp_ne_u32_e32 vcc, s10, v52
	v_mov_b32_e32 v40, 0x7f80
	s_and_saveexec_b64 s[10:11], vcc
	s_cbranch_execz .LBB840_191
; %bb.190:
	v_and_b32_e32 v40, 7, v38
	v_ffbh_u32_e32 v58, v40
	v_min_u32_e32 v60, 32, v58
	v_subrev_u32_e32 v58, 28, v60
	v_lshlrev_b64 v[58:59], v58, v[38:39]
	v_lshrrev_b32_e32 v57, 3, v52
	v_sub_u32_e32 v38, 29, v60
	v_and_b32_e32 v58, 7, v58
	v_cmp_gt_u32_e32 vcc, 8, v52
	v_cndmask_b32_e32 v38, v57, v38, vcc
	v_cndmask_b32_e32 v40, v40, v58, vcc
	v_lshlrev_b32_e32 v52, 16, v41
	v_bfrev_b32_e32 v57, 60
	v_lshlrev_b32_e32 v40, 20, v40
	v_and_b32_e32 v52, 0x80000000, v52
	v_lshl_add_u32 v38, v38, 23, v57
	v_or3_b32 v38, v52, v38, v40
	v_lshrrev_b32_e32 v40, 16, v38
.LBB840_191:
	s_or_b64 exec, exec, s[10:11]
.LBB840_192:
	s_or_b64 exec, exec, s[8:9]
.LBB840_193:
	s_or_b64 exec, exec, s[2:3]
	s_movk_i32 s2, 0xff
	v_and_b32_sdwa v52, v41, s2 dst_sel:DWORD dst_unused:UNUSED_PAD src0_sel:WORD_1 src1_sel:DWORD
	v_lshrrev_b32_e32 v38, 16, v41
	v_cmp_ne_u16_e32 vcc, 0, v52
	s_and_saveexec_b64 s[2:3], vcc
	s_cbranch_execz .LBB840_199
; %bb.194:
	s_movk_i32 s8, 0x80
	v_cmp_ne_u16_e32 vcc, s8, v52
	v_mov_b32_e32 v56, 0xffff8000
	s_and_saveexec_b64 s[8:9], vcc
	s_cbranch_execz .LBB840_198
; %bb.195:
	v_bfe_u32 v52, v41, 16, 7
	s_movk_i32 s10, 0x7f
	v_cmp_ne_u32_e32 vcc, s10, v52
	v_mov_b32_e32 v56, 0x7f80
	s_and_saveexec_b64 s[10:11], vcc
	s_cbranch_execz .LBB840_197
; %bb.196:
	v_and_b32_e32 v58, 7, v38
	v_ffbh_u32_e32 v56, v58
	v_min_u32_e32 v60, 32, v56
	v_subrev_u32_e32 v56, 28, v60
	v_lshlrev_b64 v[56:57], v56, v[38:39]
	v_and_b32_e32 v56, 7, v56
	v_cmp_gt_u32_e32 vcc, 8, v52
	v_lshrrev_b32_e32 v59, 3, v52
	v_sub_u32_e32 v38, 29, v60
	v_cndmask_b32_e32 v52, v58, v56, vcc
	v_mov_b32_e32 v56, 24
	v_cndmask_b32_e32 v38, v59, v38, vcc
	v_lshlrev_b32_sdwa v56, v56, v41 dst_sel:DWORD dst_unused:UNUSED_PAD src0_sel:DWORD src1_sel:WORD_1
	v_bfrev_b32_e32 v57, 60
	v_lshlrev_b32_e32 v52, 20, v52
	v_and_b32_e32 v56, 0x80000000, v56
	v_lshl_add_u32 v38, v38, 23, v57
	v_or3_b32 v38, v56, v38, v52
	v_lshrrev_b32_e32 v56, 16, v38
.LBB840_197:
	s_or_b64 exec, exec, s[10:11]
.LBB840_198:
	s_or_b64 exec, exec, s[8:9]
.LBB840_199:
	s_or_b64 exec, exec, s[2:3]
	s_mov_b32 s2, 0xffffff
	v_cmp_lt_u32_e32 vcc, s2, v41
	v_mov_b32_e32 v52, 0
	v_mov_b32_e32 v57, 0
	s_and_saveexec_b64 s[2:3], vcc
	s_cbranch_execz .LBB840_205
; %bb.200:
	v_lshrrev_b32_e32 v38, 24, v41
	s_movk_i32 s8, 0x80
	v_cmp_ne_u32_e32 vcc, s8, v38
	v_mov_b32_e32 v57, 0xffff8000
	s_and_saveexec_b64 s[8:9], vcc
	s_cbranch_execz .LBB840_204
; %bb.201:
	v_bfe_u32 v41, v41, 24, 7
	s_movk_i32 s10, 0x7f
	v_cmp_ne_u32_e32 vcc, s10, v41
	v_mov_b32_e32 v57, 0x7f80
	s_and_saveexec_b64 s[10:11], vcc
	s_cbranch_execz .LBB840_203
; %bb.202:
	v_and_b32_e32 v57, 7, v38
	v_ffbh_u32_e32 v58, v57
	v_min_u32_e32 v61, 32, v58
	v_subrev_u32_e32 v58, 28, v61
	v_lshlrev_b64 v[58:59], v58, v[38:39]
	v_lshrrev_b32_e32 v60, 3, v41
	v_sub_u32_e32 v59, 29, v61
	v_and_b32_e32 v58, 7, v58
	v_cmp_gt_u32_e32 vcc, 8, v41
	v_cndmask_b32_e32 v41, v60, v59, vcc
	v_cndmask_b32_e32 v57, v57, v58, vcc
	v_lshlrev_b32_e32 v38, 24, v38
	v_bfrev_b32_e32 v58, 60
	v_lshlrev_b32_e32 v57, 20, v57
	v_and_b32_e32 v38, 0x80000000, v38
	v_lshl_add_u32 v41, v41, 23, v58
	v_or3_b32 v38, v38, v41, v57
	v_lshrrev_b32_e32 v57, 16, v38
.LBB840_203:
	s_or_b64 exec, exec, s[10:11]
.LBB840_204:
	s_or_b64 exec, exec, s[8:9]
.LBB840_205:
	s_or_b64 exec, exec, s[2:3]
	s_mov_b32 s2, 0x5040100
	v_perm_b32 v59, v55, v53, s2
	v_perm_b32 v58, v39, v51, s2
	;; [unrolled: 1-line block ×4, first 2 shown]
	v_cmp_ne_u16_sdwa s[8:9], v30, v52 src0_sel:BYTE_0 src1_sel:DWORD
	v_mfma_f32_16x16x16bf16_1k v[42:45], v[58:59], v[18:19], v[42:45]
	v_mfma_f32_16x16x16bf16_1k v[38:41], v[38:39], v[20:21], v[42:45]
	s_and_saveexec_b64 s[2:3], s[8:9]
	s_cbranch_execz .LBB840_211
; %bb.206:
	s_movk_i32 s8, 0x80
	v_cmp_ne_u16_sdwa s[10:11], v30, s8 src0_sel:BYTE_0 src1_sel:DWORD
	v_mov_b32_e32 v52, 0xffff8000
	s_and_saveexec_b64 s[8:9], s[10:11]
	s_cbranch_execz .LBB840_210
; %bb.207:
	s_movk_i32 s10, 0x7f
	s_nop 1
	v_and_b32_e32 v42, 0x7f, v30
	v_cmp_ne_u32_e32 vcc, s10, v42
	v_mov_b32_e32 v52, 0x7f80
	s_and_saveexec_b64 s[10:11], vcc
	s_cbranch_execz .LBB840_209
; %bb.208:
	v_and_b32_e32 v43, 7, v30
	v_ffbh_u32_e32 v44, v43
	v_min_u32_e32 v52, 32, v44
	v_subrev_u32_e32 v44, 28, v52
	v_lshlrev_b64 v[44:45], v44, v[30:31]
	v_lshrrev_b32_e32 v51, 3, v42
	v_sub_u32_e32 v45, 29, v52
	v_and_b32_e32 v44, 7, v44
	v_cmp_gt_u32_e32 vcc, 8, v42
	v_cndmask_b32_e32 v42, v51, v45, vcc
	v_cndmask_b32_e32 v43, v43, v44, vcc
	v_lshlrev_b32_e32 v44, 24, v30
	v_bfrev_b32_e32 v45, 60
	v_lshlrev_b32_e32 v43, 20, v43
	v_and_b32_e32 v44, 0x80000000, v44
	v_lshl_add_u32 v42, v42, 23, v45
	v_or3_b32 v42, v44, v42, v43
	v_lshrrev_b32_e32 v52, 16, v42
.LBB840_209:
	s_or_b64 exec, exec, s[10:11]
.LBB840_210:
	s_or_b64 exec, exec, s[8:9]
.LBB840_211:
	s_or_b64 exec, exec, s[2:3]
	s_nop 6
	v_lshrrev_b16_e32 v42, 8, v30
	v_cmp_ne_u16_e32 vcc, 0, v42
	v_mov_b32_e32 v44, 0
	v_mov_b32_e32 v43, 0
	s_and_saveexec_b64 s[2:3], vcc
	s_cbranch_execz .LBB840_217
; %bb.212:
	s_movk_i32 s8, 0x80
	v_cmp_ne_u16_e32 vcc, s8, v42
	v_mov_b32_e32 v43, 0xffff8000
	s_and_saveexec_b64 s[8:9], vcc
	s_cbranch_execz .LBB840_216
; %bb.213:
	s_movk_i32 s10, 0x7f
	v_and_b32_e32 v45, 0x7f, v42
	v_cmp_ne_u32_e32 vcc, s10, v45
	v_mov_b32_e32 v43, 0x7f80
	s_and_saveexec_b64 s[10:11], vcc
	s_cbranch_execz .LBB840_215
; %bb.214:
	v_and_b32_e32 v51, 7, v42
	v_ffbh_u32_e32 v43, v51
	v_min_u32_e32 v54, 32, v43
	v_subrev_u32_e32 v43, 28, v54
	v_lshlrev_b64 v[42:43], v43, v[42:43]
	v_lshrrev_b32_e32 v53, 3, v45
	v_sub_u32_e32 v43, 29, v54
	v_and_b32_e32 v42, 7, v42
	v_cmp_gt_u32_e32 vcc, 8, v45
	v_cndmask_b32_e32 v43, v53, v43, vcc
	v_cndmask_b32_e32 v42, v51, v42, vcc
	v_lshlrev_b32_e32 v45, 16, v30
	v_bfrev_b32_e32 v51, 60
	v_lshlrev_b32_e32 v42, 20, v42
	v_and_b32_e32 v45, 0x80000000, v45
	v_lshl_add_u32 v43, v43, 23, v51
	v_or3_b32 v42, v45, v43, v42
	v_lshrrev_b32_e32 v43, 16, v42
.LBB840_215:
	s_or_b64 exec, exec, s[10:11]
.LBB840_216:
	s_or_b64 exec, exec, s[8:9]
.LBB840_217:
	s_or_b64 exec, exec, s[2:3]
	s_movk_i32 s2, 0xff
	v_and_b32_sdwa v45, v30, s2 dst_sel:DWORD dst_unused:UNUSED_PAD src0_sel:WORD_1 src1_sel:DWORD
	v_lshrrev_b32_e32 v42, 16, v30
	v_cmp_ne_u16_e32 vcc, 0, v45
	s_and_saveexec_b64 s[2:3], vcc
	s_cbranch_execz .LBB840_223
; %bb.218:
	s_movk_i32 s8, 0x80
	v_cmp_ne_u16_e32 vcc, s8, v45
	v_mov_b32_e32 v44, 0xffff8000
	s_and_saveexec_b64 s[8:9], vcc
	s_cbranch_execz .LBB840_222
; %bb.219:
	v_bfe_u32 v45, v30, 16, 7
	s_movk_i32 s10, 0x7f
	v_cmp_ne_u32_e32 vcc, s10, v45
	v_mov_b32_e32 v44, 0x7f80
	s_and_saveexec_b64 s[10:11], vcc
	s_cbranch_execz .LBB840_221
; %bb.220:
	v_and_b32_e32 v44, 7, v42
	v_ffbh_u32_e32 v53, v44
	v_min_u32_e32 v53, 32, v53
	v_subrev_u32_e32 v54, 28, v53
	v_lshlrev_b64 v[54:55], v54, v[42:43]
	v_lshrrev_b32_e32 v51, 3, v45
	v_sub_u32_e32 v42, 29, v53
	v_and_b32_e32 v53, 7, v54
	v_cmp_gt_u32_e32 vcc, 8, v45
	v_mov_b32_e32 v45, 24
	v_cndmask_b32_e32 v42, v51, v42, vcc
	v_cndmask_b32_e32 v44, v44, v53, vcc
	v_lshlrev_b32_sdwa v45, v45, v30 dst_sel:DWORD dst_unused:UNUSED_PAD src0_sel:DWORD src1_sel:WORD_1
	v_bfrev_b32_e32 v51, 60
	v_lshlrev_b32_e32 v44, 20, v44
	v_and_b32_e32 v45, 0x80000000, v45
	v_lshl_add_u32 v42, v42, 23, v51
	v_or3_b32 v42, v45, v42, v44
	v_lshrrev_b32_e32 v44, 16, v42
.LBB840_221:
	s_or_b64 exec, exec, s[10:11]
.LBB840_222:
	s_or_b64 exec, exec, s[8:9]
.LBB840_223:
	s_or_b64 exec, exec, s[2:3]
	s_mov_b32 s2, 0xffffff
	v_cmp_lt_u32_e32 vcc, s2, v30
	v_mov_b32_e32 v45, 0
	v_mov_b32_e32 v53, 0
	s_and_saveexec_b64 s[2:3], vcc
	s_cbranch_execz .LBB840_229
; %bb.224:
	v_lshrrev_b32_e32 v42, 24, v30
	s_movk_i32 s8, 0x80
	v_cmp_ne_u32_e32 vcc, s8, v42
	v_mov_b32_e32 v53, 0xffff8000
	s_and_saveexec_b64 s[8:9], vcc
	s_cbranch_execz .LBB840_228
; %bb.225:
	v_bfe_u32 v30, v30, 24, 7
	s_movk_i32 s10, 0x7f
	v_cmp_ne_u32_e32 vcc, s10, v30
	v_mov_b32_e32 v53, 0x7f80
	s_and_saveexec_b64 s[10:11], vcc
	s_cbranch_execz .LBB840_227
; %bb.226:
	v_and_b32_e32 v51, 7, v42
	v_ffbh_u32_e32 v54, v51
	v_min_u32_e32 v56, 32, v54
	v_subrev_u32_e32 v54, 28, v56
	v_lshlrev_b64 v[54:55], v54, v[42:43]
	v_lshrrev_b32_e32 v53, 3, v30
	v_sub_u32_e32 v55, 29, v56
	v_and_b32_e32 v54, 7, v54
	v_cmp_gt_u32_e32 vcc, 8, v30
	v_cndmask_b32_e32 v30, v53, v55, vcc
	v_cndmask_b32_e32 v51, v51, v54, vcc
	v_lshlrev_b32_e32 v42, 24, v42
	v_bfrev_b32_e32 v53, 60
	v_lshlrev_b32_e32 v51, 20, v51
	v_and_b32_e32 v42, 0x80000000, v42
	v_lshl_add_u32 v30, v30, 23, v53
	v_or3_b32 v30, v42, v30, v51
	v_lshrrev_b32_e32 v53, 16, v30
.LBB840_227:
	s_or_b64 exec, exec, s[10:11]
.LBB840_228:
	s_or_b64 exec, exec, s[8:9]
.LBB840_229:
	s_or_b64 exec, exec, s[2:3]
	v_cmp_ne_u16_sdwa s[8:9], v31, v45 src0_sel:BYTE_0 src1_sel:DWORD
	s_and_saveexec_b64 s[2:3], s[8:9]
	s_cbranch_execz .LBB840_235
; %bb.230:
	s_movk_i32 s8, 0x80
	v_cmp_ne_u16_sdwa s[10:11], v31, s8 src0_sel:BYTE_0 src1_sel:DWORD
	v_mov_b32_e32 v45, 0xffff8000
	s_and_saveexec_b64 s[8:9], s[10:11]
	s_cbranch_execz .LBB840_234
; %bb.231:
	s_movk_i32 s10, 0x7f
	v_and_b32_e32 v30, 0x7f, v31
	v_cmp_ne_u32_e32 vcc, s10, v30
	v_mov_b32_e32 v45, 0x7f80
	s_and_saveexec_b64 s[10:11], vcc
	s_cbranch_execz .LBB840_233
; %bb.232:
	v_and_b32_e32 v45, 7, v31
	v_ffbh_u32_e32 v54, v45
	v_min_u32_e32 v56, 32, v54
	v_mov_b32_e32 v42, v31
	v_subrev_u32_e32 v54, 28, v56
	v_lshlrev_b64 v[54:55], v54, v[42:43]
	v_lshrrev_b32_e32 v51, 3, v30
	v_sub_u32_e32 v42, 29, v56
	v_and_b32_e32 v54, 7, v54
	v_cmp_gt_u32_e32 vcc, 8, v30
	v_cndmask_b32_e32 v30, v51, v42, vcc
	v_cndmask_b32_e32 v42, v45, v54, vcc
	v_lshlrev_b32_e32 v45, 24, v31
	v_bfrev_b32_e32 v51, 60
	v_lshlrev_b32_e32 v42, 20, v42
	v_and_b32_e32 v45, 0x80000000, v45
	v_lshl_add_u32 v30, v30, 23, v51
	v_or3_b32 v30, v45, v30, v42
	v_lshrrev_b32_e32 v45, 16, v30
.LBB840_233:
	s_or_b64 exec, exec, s[10:11]
.LBB840_234:
	s_or_b64 exec, exec, s[8:9]
.LBB840_235:
	s_or_b64 exec, exec, s[2:3]
	v_lshrrev_b16_e32 v30, 8, v31
	v_cmp_ne_u16_e32 vcc, 0, v30
	v_mov_b32_e32 v54, 0
	v_mov_b32_e32 v42, 0
	s_and_saveexec_b64 s[2:3], vcc
	s_cbranch_execz .LBB840_241
; %bb.236:
	s_movk_i32 s8, 0x80
	v_cmp_ne_u16_e32 vcc, s8, v30
	v_mov_b32_e32 v42, 0xffff8000
	s_and_saveexec_b64 s[8:9], vcc
	s_cbranch_execz .LBB840_240
; %bb.237:
	s_movk_i32 s10, 0x7f
	v_and_b32_e32 v51, 0x7f, v30
	v_cmp_ne_u32_e32 vcc, s10, v51
	v_mov_b32_e32 v42, 0x7f80
	s_and_saveexec_b64 s[10:11], vcc
	s_cbranch_execz .LBB840_239
; %bb.238:
	v_and_b32_e32 v42, 7, v30
	v_ffbh_u32_e32 v56, v42
	v_min_u32_e32 v58, 32, v56
	v_subrev_u32_e32 v56, 28, v58
	v_lshlrev_b64 v[56:57], v56, v[30:31]
	v_lshrrev_b32_e32 v55, 3, v51
	v_sub_u32_e32 v30, 29, v58
	v_and_b32_e32 v56, 7, v56
	v_cmp_gt_u32_e32 vcc, 8, v51
	v_cndmask_b32_e32 v30, v55, v30, vcc
	v_cndmask_b32_e32 v42, v42, v56, vcc
	v_lshlrev_b32_e32 v51, 16, v31
	v_bfrev_b32_e32 v55, 60
	v_lshlrev_b32_e32 v42, 20, v42
	v_and_b32_e32 v51, 0x80000000, v51
	v_lshl_add_u32 v30, v30, 23, v55
	v_or3_b32 v30, v51, v30, v42
	v_lshrrev_b32_e32 v42, 16, v30
.LBB840_239:
	s_or_b64 exec, exec, s[10:11]
.LBB840_240:
	s_or_b64 exec, exec, s[8:9]
.LBB840_241:
	s_or_b64 exec, exec, s[2:3]
	s_movk_i32 s2, 0xff
	v_and_b32_sdwa v51, v31, s2 dst_sel:DWORD dst_unused:UNUSED_PAD src0_sel:WORD_1 src1_sel:DWORD
	v_lshrrev_b32_e32 v30, 16, v31
	v_cmp_ne_u16_e32 vcc, 0, v51
	s_and_saveexec_b64 s[2:3], vcc
	s_cbranch_execz .LBB840_247
; %bb.242:
	s_movk_i32 s8, 0x80
	v_cmp_ne_u16_e32 vcc, s8, v51
	v_mov_b32_e32 v54, 0xffff8000
	s_and_saveexec_b64 s[8:9], vcc
	s_cbranch_execz .LBB840_246
; %bb.243:
	v_bfe_u32 v51, v31, 16, 7
	s_movk_i32 s10, 0x7f
	v_cmp_ne_u32_e32 vcc, s10, v51
	v_mov_b32_e32 v54, 0x7f80
	s_and_saveexec_b64 s[10:11], vcc
	s_cbranch_execz .LBB840_245
; %bb.244:
	v_and_b32_e32 v56, 7, v30
	v_ffbh_u32_e32 v54, v56
	v_min_u32_e32 v58, 32, v54
	v_subrev_u32_e32 v54, 28, v58
	v_lshlrev_b64 v[54:55], v54, v[30:31]
	v_and_b32_e32 v54, 7, v54
	v_cmp_gt_u32_e32 vcc, 8, v51
	v_lshrrev_b32_e32 v57, 3, v51
	v_sub_u32_e32 v30, 29, v58
	v_cndmask_b32_e32 v51, v56, v54, vcc
	v_mov_b32_e32 v54, 24
	v_cndmask_b32_e32 v30, v57, v30, vcc
	v_lshlrev_b32_sdwa v54, v54, v31 dst_sel:DWORD dst_unused:UNUSED_PAD src0_sel:DWORD src1_sel:WORD_1
	v_bfrev_b32_e32 v55, 60
	v_lshlrev_b32_e32 v51, 20, v51
	v_and_b32_e32 v54, 0x80000000, v54
	v_lshl_add_u32 v30, v30, 23, v55
	v_or3_b32 v30, v54, v30, v51
	v_lshrrev_b32_e32 v54, 16, v30
.LBB840_245:
	s_or_b64 exec, exec, s[10:11]
.LBB840_246:
	s_or_b64 exec, exec, s[8:9]
.LBB840_247:
	s_or_b64 exec, exec, s[2:3]
	s_mov_b32 s2, 0xffffff
	v_cmp_lt_u32_e32 vcc, s2, v31
	v_mov_b32_e32 v51, 0
	v_mov_b32_e32 v55, 0
	s_and_saveexec_b64 s[2:3], vcc
	s_cbranch_execz .LBB840_253
; %bb.248:
	v_lshrrev_b32_e32 v30, 24, v31
	s_movk_i32 s8, 0x80
	v_cmp_ne_u32_e32 vcc, s8, v30
	v_mov_b32_e32 v55, 0xffff8000
	s_and_saveexec_b64 s[8:9], vcc
	s_cbranch_execz .LBB840_252
; %bb.249:
	v_bfe_u32 v31, v31, 24, 7
	s_movk_i32 s10, 0x7f
	v_cmp_ne_u32_e32 vcc, s10, v31
	v_mov_b32_e32 v55, 0x7f80
	s_and_saveexec_b64 s[10:11], vcc
	s_cbranch_execz .LBB840_251
; %bb.250:
	v_and_b32_e32 v55, 7, v30
	v_ffbh_u32_e32 v56, v55
	v_min_u32_e32 v59, 32, v56
	v_subrev_u32_e32 v56, 28, v59
	v_lshlrev_b64 v[56:57], v56, v[30:31]
	v_lshrrev_b32_e32 v58, 3, v31
	v_sub_u32_e32 v57, 29, v59
	v_and_b32_e32 v56, 7, v56
	v_cmp_gt_u32_e32 vcc, 8, v31
	v_cndmask_b32_e32 v31, v58, v57, vcc
	v_cndmask_b32_e32 v55, v55, v56, vcc
	v_lshlrev_b32_e32 v30, 24, v30
	v_bfrev_b32_e32 v56, 60
	v_lshlrev_b32_e32 v55, 20, v55
	v_and_b32_e32 v30, 0x80000000, v30
	v_lshl_add_u32 v31, v31, 23, v56
	v_or3_b32 v30, v30, v31, v55
	v_lshrrev_b32_e32 v55, 16, v30
.LBB840_251:
	s_or_b64 exec, exec, s[10:11]
.LBB840_252:
	s_or_b64 exec, exec, s[8:9]
.LBB840_253:
	s_or_b64 exec, exec, s[2:3]
	s_mov_b32 s2, 0x5040100
	v_perm_b32 v31, v53, v44, s2
	v_perm_b32 v30, v43, v52, s2
	v_cmp_ne_u16_sdwa s[8:9], v32, v51 src0_sel:BYTE_0 src1_sel:DWORD
	s_nop 0
	v_mfma_f32_16x16x16bf16_1k v[56:59], v[30:31], v[26:27], 0
	v_perm_b32 v31, v55, v54, s2
	v_perm_b32 v30, v42, v45, s2
	s_nop 1
	v_mfma_f32_16x16x16bf16_1k v[42:45], v[30:31], v[28:29], v[56:59]
	s_and_saveexec_b64 s[2:3], s[8:9]
	s_cbranch_execz .LBB840_259
; %bb.254:
	s_movk_i32 s8, 0x80
	v_cmp_ne_u16_sdwa s[10:11], v32, s8 src0_sel:BYTE_0 src1_sel:DWORD
	v_mov_b32_e32 v51, 0xffff8000
	s_and_saveexec_b64 s[8:9], s[10:11]
	s_cbranch_execz .LBB840_258
; %bb.255:
	s_movk_i32 s10, 0x7f
	v_and_b32_e32 v30, 0x7f, v32
	v_cmp_ne_u32_e32 vcc, s10, v30
	v_mov_b32_e32 v51, 0x7f80
	s_and_saveexec_b64 s[10:11], vcc
	s_cbranch_execz .LBB840_257
; %bb.256:
	v_and_b32_e32 v31, 7, v32
	v_ffbh_u32_e32 v52, v31
	v_min_u32_e32 v54, 32, v52
	v_subrev_u32_e32 v52, 28, v54
	v_lshlrev_b64 v[52:53], v52, v[32:33]
	v_lshrrev_b32_e32 v51, 3, v30
	v_sub_u32_e32 v53, 29, v54
	v_and_b32_e32 v52, 7, v52
	v_cmp_gt_u32_e32 vcc, 8, v30
	v_cndmask_b32_e32 v30, v51, v53, vcc
	v_cndmask_b32_e32 v31, v31, v52, vcc
	v_lshlrev_b32_e32 v51, 24, v32
	v_bfrev_b32_e32 v52, 60
	v_lshlrev_b32_e32 v31, 20, v31
	v_and_b32_e32 v51, 0x80000000, v51
	v_lshl_add_u32 v30, v30, 23, v52
	v_or3_b32 v30, v51, v30, v31
	v_lshrrev_b32_e32 v51, 16, v30
.LBB840_257:
	s_or_b64 exec, exec, s[10:11]
.LBB840_258:
	s_or_b64 exec, exec, s[8:9]
.LBB840_259:
	s_or_b64 exec, exec, s[2:3]
	v_lshrrev_b16_e32 v30, 8, v32
	v_cmp_ne_u16_e32 vcc, 0, v30
	v_mov_b32_e32 v53, 0
	v_mov_b32_e32 v31, 0
	s_and_saveexec_b64 s[2:3], vcc
	s_cbranch_execz .LBB840_265
; %bb.260:
	s_movk_i32 s8, 0x80
	v_cmp_ne_u16_e32 vcc, s8, v30
	v_mov_b32_e32 v31, 0xffff8000
	s_and_saveexec_b64 s[8:9], vcc
	s_cbranch_execz .LBB840_264
; %bb.261:
	s_movk_i32 s10, 0x7f
	v_and_b32_e32 v52, 0x7f, v30
	v_cmp_ne_u32_e32 vcc, s10, v52
	v_mov_b32_e32 v31, 0x7f80
	s_and_saveexec_b64 s[10:11], vcc
	s_cbranch_execz .LBB840_263
; %bb.262:
	v_and_b32_e32 v54, 7, v30
	v_ffbh_u32_e32 v31, v54
	v_min_u32_e32 v56, 32, v31
	v_subrev_u32_e32 v31, 28, v56
	v_lshlrev_b64 v[30:31], v31, v[30:31]
	v_lshrrev_b32_e32 v55, 3, v52
	v_sub_u32_e32 v31, 29, v56
	v_and_b32_e32 v30, 7, v30
	v_cmp_gt_u32_e32 vcc, 8, v52
	v_cndmask_b32_e32 v31, v55, v31, vcc
	v_cndmask_b32_e32 v30, v54, v30, vcc
	v_lshlrev_b32_e32 v52, 16, v32
	v_bfrev_b32_e32 v54, 60
	v_lshlrev_b32_e32 v30, 20, v30
	v_and_b32_e32 v52, 0x80000000, v52
	v_lshl_add_u32 v31, v31, 23, v54
	v_or3_b32 v30, v52, v31, v30
	v_lshrrev_b32_e32 v31, 16, v30
.LBB840_263:
	s_or_b64 exec, exec, s[10:11]
.LBB840_264:
	s_or_b64 exec, exec, s[8:9]
.LBB840_265:
	s_or_b64 exec, exec, s[2:3]
	s_movk_i32 s2, 0xff
	v_and_b32_sdwa v52, v32, s2 dst_sel:DWORD dst_unused:UNUSED_PAD src0_sel:WORD_1 src1_sel:DWORD
	v_lshrrev_b32_e32 v30, 16, v32
	v_cmp_ne_u16_e32 vcc, 0, v52
	s_and_saveexec_b64 s[2:3], vcc
	s_cbranch_execz .LBB840_271
; %bb.266:
	s_movk_i32 s8, 0x80
	v_cmp_ne_u16_e32 vcc, s8, v52
	v_mov_b32_e32 v53, 0xffff8000
	s_and_saveexec_b64 s[8:9], vcc
	s_cbranch_execz .LBB840_270
; %bb.267:
	v_bfe_u32 v52, v32, 16, 7
	s_movk_i32 s10, 0x7f
	v_cmp_ne_u32_e32 vcc, s10, v52
	v_mov_b32_e32 v53, 0x7f80
	s_and_saveexec_b64 s[10:11], vcc
	s_cbranch_execz .LBB840_269
; %bb.268:
	v_and_b32_e32 v53, 7, v30
	v_ffbh_u32_e32 v54, v53
	v_min_u32_e32 v57, 32, v54
	v_subrev_u32_e32 v54, 28, v57
	v_lshlrev_b64 v[54:55], v54, v[30:31]
	v_and_b32_e32 v54, 7, v54
	v_cmp_gt_u32_e32 vcc, 8, v52
	v_lshrrev_b32_e32 v56, 3, v52
	v_sub_u32_e32 v30, 29, v57
	v_cndmask_b32_e32 v52, v53, v54, vcc
	v_mov_b32_e32 v53, 24
	v_cndmask_b32_e32 v30, v56, v30, vcc
	v_lshlrev_b32_sdwa v53, v53, v32 dst_sel:DWORD dst_unused:UNUSED_PAD src0_sel:DWORD src1_sel:WORD_1
	v_bfrev_b32_e32 v54, 60
	v_lshlrev_b32_e32 v52, 20, v52
	v_and_b32_e32 v53, 0x80000000, v53
	v_lshl_add_u32 v30, v30, 23, v54
	v_or3_b32 v30, v53, v30, v52
	v_lshrrev_b32_e32 v53, 16, v30
.LBB840_269:
	s_or_b64 exec, exec, s[10:11]
.LBB840_270:
	s_or_b64 exec, exec, s[8:9]
.LBB840_271:
	s_or_b64 exec, exec, s[2:3]
	s_mov_b32 s2, 0xffffff
	v_cmp_lt_u32_e32 vcc, s2, v32
	v_mov_b32_e32 v54, 0
	v_mov_b32_e32 v55, 0
	s_and_saveexec_b64 s[2:3], vcc
	s_cbranch_execz .LBB840_277
; %bb.272:
	v_lshrrev_b32_e32 v30, 24, v32
	s_movk_i32 s8, 0x80
	v_cmp_ne_u32_e32 vcc, s8, v30
	v_mov_b32_e32 v55, 0xffff8000
	s_and_saveexec_b64 s[8:9], vcc
	s_cbranch_execz .LBB840_276
; %bb.273:
	v_bfe_u32 v32, v32, 24, 7
	s_movk_i32 s10, 0x7f
	v_cmp_ne_u32_e32 vcc, s10, v32
	v_mov_b32_e32 v55, 0x7f80
	s_and_saveexec_b64 s[10:11], vcc
	s_cbranch_execz .LBB840_275
; %bb.274:
	v_and_b32_e32 v52, 7, v30
	v_ffbh_u32_e32 v56, v52
	v_min_u32_e32 v58, 32, v56
	v_subrev_u32_e32 v56, 28, v58
	v_lshlrev_b64 v[56:57], v56, v[30:31]
	v_lshrrev_b32_e32 v55, 3, v32
	v_sub_u32_e32 v57, 29, v58
	v_and_b32_e32 v56, 7, v56
	v_cmp_gt_u32_e32 vcc, 8, v32
	v_cndmask_b32_e32 v32, v55, v57, vcc
	v_cndmask_b32_e32 v52, v52, v56, vcc
	v_lshlrev_b32_e32 v30, 24, v30
	v_bfrev_b32_e32 v55, 60
	v_lshlrev_b32_e32 v52, 20, v52
	v_and_b32_e32 v30, 0x80000000, v30
	v_lshl_add_u32 v32, v32, 23, v55
	v_or3_b32 v30, v30, v32, v52
	v_lshrrev_b32_e32 v55, 16, v30
.LBB840_275:
	s_or_b64 exec, exec, s[10:11]
.LBB840_276:
	s_or_b64 exec, exec, s[8:9]
.LBB840_277:
	s_or_b64 exec, exec, s[2:3]
	v_cmp_ne_u16_sdwa s[8:9], v33, v54 src0_sel:BYTE_0 src1_sel:DWORD
	s_and_saveexec_b64 s[2:3], s[8:9]
	s_cbranch_execz .LBB840_283
; %bb.278:
	s_movk_i32 s8, 0x80
	v_cmp_ne_u16_sdwa s[10:11], v33, s8 src0_sel:BYTE_0 src1_sel:DWORD
	v_mov_b32_e32 v54, 0xffff8000
	s_and_saveexec_b64 s[8:9], s[10:11]
	s_cbranch_execz .LBB840_282
; %bb.279:
	s_movk_i32 s10, 0x7f
	v_and_b32_e32 v30, 0x7f, v33
	v_cmp_ne_u32_e32 vcc, s10, v30
	v_mov_b32_e32 v54, 0x7f80
	s_and_saveexec_b64 s[10:11], vcc
	s_cbranch_execz .LBB840_281
; %bb.280:
	v_and_b32_e32 v52, 7, v33
	v_ffbh_u32_e32 v56, v52
	v_min_u32_e32 v58, 32, v56
	v_mov_b32_e32 v32, v33
	v_subrev_u32_e32 v56, 28, v58
	v_lshlrev_b64 v[56:57], v56, v[32:33]
	v_lshrrev_b32_e32 v54, 3, v30
	v_sub_u32_e32 v32, 29, v58
	v_and_b32_e32 v56, 7, v56
	v_cmp_gt_u32_e32 vcc, 8, v30
	v_cndmask_b32_e32 v30, v54, v32, vcc
	v_cndmask_b32_e32 v32, v52, v56, vcc
	v_lshlrev_b32_e32 v52, 24, v33
	v_bfrev_b32_e32 v54, 60
	v_lshlrev_b32_e32 v32, 20, v32
	v_and_b32_e32 v52, 0x80000000, v52
	v_lshl_add_u32 v30, v30, 23, v54
	v_or3_b32 v30, v52, v30, v32
	v_lshrrev_b32_e32 v54, 16, v30
.LBB840_281:
	s_or_b64 exec, exec, s[10:11]
.LBB840_282:
	s_or_b64 exec, exec, s[8:9]
.LBB840_283:
	s_or_b64 exec, exec, s[2:3]
	v_lshrrev_b16_e32 v30, 8, v33
	v_cmp_ne_u16_e32 vcc, 0, v30
	v_mov_b32_e32 v56, 0
	v_mov_b32_e32 v32, 0
	s_and_saveexec_b64 s[2:3], vcc
	s_cbranch_execz .LBB840_289
; %bb.284:
	s_movk_i32 s8, 0x80
	v_cmp_ne_u16_e32 vcc, s8, v30
	v_mov_b32_e32 v32, 0xffff8000
	s_and_saveexec_b64 s[8:9], vcc
	s_cbranch_execz .LBB840_288
; %bb.285:
	s_movk_i32 s10, 0x7f
	v_and_b32_e32 v52, 0x7f, v30
	v_cmp_ne_u32_e32 vcc, s10, v52
	v_mov_b32_e32 v32, 0x7f80
	s_and_saveexec_b64 s[10:11], vcc
	s_cbranch_execz .LBB840_287
; %bb.286:
	v_and_b32_e32 v32, 7, v30
	v_ffbh_u32_e32 v58, v32
	v_min_u32_e32 v60, 32, v58
	v_subrev_u32_e32 v58, 28, v60
	v_lshlrev_b64 v[58:59], v58, v[30:31]
	v_lshrrev_b32_e32 v57, 3, v52
	v_sub_u32_e32 v30, 29, v60
	v_and_b32_e32 v58, 7, v58
	v_cmp_gt_u32_e32 vcc, 8, v52
	v_cndmask_b32_e32 v30, v57, v30, vcc
	v_cndmask_b32_e32 v32, v32, v58, vcc
	v_lshlrev_b32_e32 v52, 16, v33
	v_bfrev_b32_e32 v57, 60
	v_lshlrev_b32_e32 v32, 20, v32
	v_and_b32_e32 v52, 0x80000000, v52
	v_lshl_add_u32 v30, v30, 23, v57
	v_or3_b32 v30, v52, v30, v32
	v_lshrrev_b32_e32 v32, 16, v30
.LBB840_287:
	s_or_b64 exec, exec, s[10:11]
.LBB840_288:
	s_or_b64 exec, exec, s[8:9]
.LBB840_289:
	s_or_b64 exec, exec, s[2:3]
	s_movk_i32 s2, 0xff
	v_and_b32_sdwa v52, v33, s2 dst_sel:DWORD dst_unused:UNUSED_PAD src0_sel:WORD_1 src1_sel:DWORD
	v_lshrrev_b32_e32 v30, 16, v33
	v_cmp_ne_u16_e32 vcc, 0, v52
	s_and_saveexec_b64 s[2:3], vcc
	s_cbranch_execz .LBB840_295
; %bb.290:
	s_movk_i32 s8, 0x80
	v_cmp_ne_u16_e32 vcc, s8, v52
	v_mov_b32_e32 v56, 0xffff8000
	s_and_saveexec_b64 s[8:9], vcc
	s_cbranch_execz .LBB840_294
; %bb.291:
	v_bfe_u32 v52, v33, 16, 7
	s_movk_i32 s10, 0x7f
	v_cmp_ne_u32_e32 vcc, s10, v52
	v_mov_b32_e32 v56, 0x7f80
	s_and_saveexec_b64 s[10:11], vcc
	s_cbranch_execz .LBB840_293
; %bb.292:
	v_and_b32_e32 v58, 7, v30
	v_ffbh_u32_e32 v56, v58
	v_min_u32_e32 v60, 32, v56
	v_subrev_u32_e32 v56, 28, v60
	v_lshlrev_b64 v[56:57], v56, v[30:31]
	v_and_b32_e32 v56, 7, v56
	v_cmp_gt_u32_e32 vcc, 8, v52
	v_lshrrev_b32_e32 v59, 3, v52
	v_sub_u32_e32 v30, 29, v60
	v_cndmask_b32_e32 v52, v58, v56, vcc
	v_mov_b32_e32 v56, 24
	v_cndmask_b32_e32 v30, v59, v30, vcc
	v_lshlrev_b32_sdwa v56, v56, v33 dst_sel:DWORD dst_unused:UNUSED_PAD src0_sel:DWORD src1_sel:WORD_1
	v_bfrev_b32_e32 v57, 60
	v_lshlrev_b32_e32 v52, 20, v52
	v_and_b32_e32 v56, 0x80000000, v56
	v_lshl_add_u32 v30, v30, 23, v57
	v_or3_b32 v30, v56, v30, v52
	v_lshrrev_b32_e32 v56, 16, v30
.LBB840_293:
	s_or_b64 exec, exec, s[10:11]
.LBB840_294:
	s_or_b64 exec, exec, s[8:9]
.LBB840_295:
	s_or_b64 exec, exec, s[2:3]
	s_mov_b32 s2, 0xffffff
	v_cmp_lt_u32_e32 vcc, s2, v33
	v_mov_b32_e32 v52, 0
	v_mov_b32_e32 v57, 0
	s_and_saveexec_b64 s[2:3], vcc
	s_cbranch_execz .LBB840_301
; %bb.296:
	v_lshrrev_b32_e32 v30, 24, v33
	s_movk_i32 s8, 0x80
	v_cmp_ne_u32_e32 vcc, s8, v30
	v_mov_b32_e32 v57, 0xffff8000
	s_and_saveexec_b64 s[8:9], vcc
	s_cbranch_execz .LBB840_300
; %bb.297:
	v_bfe_u32 v33, v33, 24, 7
	s_movk_i32 s10, 0x7f
	v_cmp_ne_u32_e32 vcc, s10, v33
	v_mov_b32_e32 v57, 0x7f80
	s_and_saveexec_b64 s[10:11], vcc
	s_cbranch_execz .LBB840_299
; %bb.298:
	v_and_b32_e32 v57, 7, v30
	v_ffbh_u32_e32 v58, v57
	v_min_u32_e32 v61, 32, v58
	v_subrev_u32_e32 v58, 28, v61
	v_lshlrev_b64 v[58:59], v58, v[30:31]
	v_lshrrev_b32_e32 v60, 3, v33
	v_sub_u32_e32 v59, 29, v61
	v_and_b32_e32 v58, 7, v58
	v_cmp_gt_u32_e32 vcc, 8, v33
	v_cndmask_b32_e32 v33, v60, v59, vcc
	v_cndmask_b32_e32 v57, v57, v58, vcc
	v_lshlrev_b32_e32 v30, 24, v30
	v_bfrev_b32_e32 v58, 60
	v_lshlrev_b32_e32 v57, 20, v57
	v_and_b32_e32 v30, 0x80000000, v30
	v_lshl_add_u32 v33, v33, 23, v58
	v_or3_b32 v30, v30, v33, v57
	v_lshrrev_b32_e32 v57, 16, v30
.LBB840_299:
	s_or_b64 exec, exec, s[10:11]
.LBB840_300:
	s_or_b64 exec, exec, s[8:9]
.LBB840_301:
	s_or_b64 exec, exec, s[2:3]
	s_mov_b32 s2, 0x5040100
	v_perm_b32 v59, v55, v53, s2
	v_perm_b32 v58, v31, v51, s2
	;; [unrolled: 1-line block ×4, first 2 shown]
	v_cmp_ne_u16_sdwa s[8:9], v22, v52 src0_sel:BYTE_0 src1_sel:DWORD
	v_mfma_f32_16x16x16bf16_1k v[42:45], v[58:59], v[18:19], v[42:45]
	v_mfma_f32_16x16x16bf16_1k v[30:33], v[30:31], v[20:21], v[42:45]
	s_and_saveexec_b64 s[2:3], s[8:9]
	s_cbranch_execz .LBB840_307
; %bb.302:
	s_movk_i32 s8, 0x80
	v_cmp_ne_u16_sdwa s[10:11], v22, s8 src0_sel:BYTE_0 src1_sel:DWORD
	v_mov_b32_e32 v52, 0xffff8000
	s_and_saveexec_b64 s[8:9], s[10:11]
	s_cbranch_execz .LBB840_306
; %bb.303:
	s_movk_i32 s10, 0x7f
	s_nop 1
	v_and_b32_e32 v42, 0x7f, v22
	v_cmp_ne_u32_e32 vcc, s10, v42
	v_mov_b32_e32 v52, 0x7f80
	s_and_saveexec_b64 s[10:11], vcc
	s_cbranch_execz .LBB840_305
; %bb.304:
	v_and_b32_e32 v43, 7, v22
	v_ffbh_u32_e32 v44, v43
	v_min_u32_e32 v52, 32, v44
	v_subrev_u32_e32 v44, 28, v52
	v_lshlrev_b64 v[44:45], v44, v[22:23]
	v_lshrrev_b32_e32 v51, 3, v42
	v_sub_u32_e32 v45, 29, v52
	v_and_b32_e32 v44, 7, v44
	v_cmp_gt_u32_e32 vcc, 8, v42
	v_cndmask_b32_e32 v42, v51, v45, vcc
	v_cndmask_b32_e32 v43, v43, v44, vcc
	v_lshlrev_b32_e32 v44, 24, v22
	v_bfrev_b32_e32 v45, 60
	v_lshlrev_b32_e32 v43, 20, v43
	v_and_b32_e32 v44, 0x80000000, v44
	v_lshl_add_u32 v42, v42, 23, v45
	v_or3_b32 v42, v44, v42, v43
	v_lshrrev_b32_e32 v52, 16, v42
.LBB840_305:
	s_or_b64 exec, exec, s[10:11]
.LBB840_306:
	s_or_b64 exec, exec, s[8:9]
.LBB840_307:
	s_or_b64 exec, exec, s[2:3]
	s_nop 6
	v_lshrrev_b16_e32 v42, 8, v22
	v_cmp_ne_u16_e32 vcc, 0, v42
	v_mov_b32_e32 v44, 0
	v_mov_b32_e32 v43, 0
	s_and_saveexec_b64 s[2:3], vcc
	s_cbranch_execz .LBB840_313
; %bb.308:
	s_movk_i32 s8, 0x80
	v_cmp_ne_u16_e32 vcc, s8, v42
	v_mov_b32_e32 v43, 0xffff8000
	s_and_saveexec_b64 s[8:9], vcc
	s_cbranch_execz .LBB840_312
; %bb.309:
	s_movk_i32 s10, 0x7f
	v_and_b32_e32 v45, 0x7f, v42
	v_cmp_ne_u32_e32 vcc, s10, v45
	v_mov_b32_e32 v43, 0x7f80
	s_and_saveexec_b64 s[10:11], vcc
	s_cbranch_execz .LBB840_311
; %bb.310:
	v_and_b32_e32 v51, 7, v42
	v_ffbh_u32_e32 v43, v51
	v_min_u32_e32 v54, 32, v43
	v_subrev_u32_e32 v43, 28, v54
	v_lshlrev_b64 v[42:43], v43, v[42:43]
	v_lshrrev_b32_e32 v53, 3, v45
	v_sub_u32_e32 v43, 29, v54
	v_and_b32_e32 v42, 7, v42
	v_cmp_gt_u32_e32 vcc, 8, v45
	v_cndmask_b32_e32 v43, v53, v43, vcc
	v_cndmask_b32_e32 v42, v51, v42, vcc
	v_lshlrev_b32_e32 v45, 16, v22
	v_bfrev_b32_e32 v51, 60
	v_lshlrev_b32_e32 v42, 20, v42
	v_and_b32_e32 v45, 0x80000000, v45
	v_lshl_add_u32 v43, v43, 23, v51
	v_or3_b32 v42, v45, v43, v42
	v_lshrrev_b32_e32 v43, 16, v42
.LBB840_311:
	s_or_b64 exec, exec, s[10:11]
.LBB840_312:
	s_or_b64 exec, exec, s[8:9]
.LBB840_313:
	s_or_b64 exec, exec, s[2:3]
	s_movk_i32 s2, 0xff
	v_and_b32_sdwa v45, v22, s2 dst_sel:DWORD dst_unused:UNUSED_PAD src0_sel:WORD_1 src1_sel:DWORD
	v_lshrrev_b32_e32 v42, 16, v22
	v_cmp_ne_u16_e32 vcc, 0, v45
	s_and_saveexec_b64 s[2:3], vcc
	s_cbranch_execz .LBB840_319
; %bb.314:
	s_movk_i32 s8, 0x80
	v_cmp_ne_u16_e32 vcc, s8, v45
	v_mov_b32_e32 v44, 0xffff8000
	s_and_saveexec_b64 s[8:9], vcc
	s_cbranch_execz .LBB840_318
; %bb.315:
	v_bfe_u32 v45, v22, 16, 7
	s_movk_i32 s10, 0x7f
	v_cmp_ne_u32_e32 vcc, s10, v45
	v_mov_b32_e32 v44, 0x7f80
	s_and_saveexec_b64 s[10:11], vcc
	s_cbranch_execz .LBB840_317
; %bb.316:
	v_and_b32_e32 v44, 7, v42
	v_ffbh_u32_e32 v53, v44
	v_min_u32_e32 v53, 32, v53
	v_subrev_u32_e32 v54, 28, v53
	v_lshlrev_b64 v[54:55], v54, v[42:43]
	v_lshrrev_b32_e32 v51, 3, v45
	v_sub_u32_e32 v42, 29, v53
	v_and_b32_e32 v53, 7, v54
	v_cmp_gt_u32_e32 vcc, 8, v45
	v_mov_b32_e32 v45, 24
	v_cndmask_b32_e32 v42, v51, v42, vcc
	v_cndmask_b32_e32 v44, v44, v53, vcc
	v_lshlrev_b32_sdwa v45, v45, v22 dst_sel:DWORD dst_unused:UNUSED_PAD src0_sel:DWORD src1_sel:WORD_1
	v_bfrev_b32_e32 v51, 60
	v_lshlrev_b32_e32 v44, 20, v44
	v_and_b32_e32 v45, 0x80000000, v45
	v_lshl_add_u32 v42, v42, 23, v51
	v_or3_b32 v42, v45, v42, v44
	v_lshrrev_b32_e32 v44, 16, v42
.LBB840_317:
	s_or_b64 exec, exec, s[10:11]
.LBB840_318:
	s_or_b64 exec, exec, s[8:9]
.LBB840_319:
	s_or_b64 exec, exec, s[2:3]
	s_mov_b32 s2, 0xffffff
	v_cmp_lt_u32_e32 vcc, s2, v22
	v_mov_b32_e32 v45, 0
	v_mov_b32_e32 v51, 0
	s_and_saveexec_b64 s[2:3], vcc
	s_cbranch_execz .LBB840_325
; %bb.320:
	v_lshrrev_b32_e32 v42, 24, v22
	s_movk_i32 s8, 0x80
	v_cmp_ne_u32_e32 vcc, s8, v42
	v_mov_b32_e32 v51, 0xffff8000
	s_and_saveexec_b64 s[8:9], vcc
	s_cbranch_execz .LBB840_324
; %bb.321:
	v_bfe_u32 v22, v22, 24, 7
	s_movk_i32 s10, 0x7f
	v_cmp_ne_u32_e32 vcc, s10, v22
	v_mov_b32_e32 v51, 0x7f80
	s_and_saveexec_b64 s[10:11], vcc
	s_cbranch_execz .LBB840_323
; %bb.322:
	v_and_b32_e32 v51, 7, v42
	v_ffbh_u32_e32 v54, v51
	v_min_u32_e32 v56, 32, v54
	v_subrev_u32_e32 v54, 28, v56
	v_lshlrev_b64 v[54:55], v54, v[42:43]
	v_lshrrev_b32_e32 v53, 3, v22
	v_sub_u32_e32 v55, 29, v56
	v_and_b32_e32 v54, 7, v54
	v_cmp_gt_u32_e32 vcc, 8, v22
	v_cndmask_b32_e32 v22, v53, v55, vcc
	v_cndmask_b32_e32 v51, v51, v54, vcc
	v_lshlrev_b32_e32 v42, 24, v42
	v_bfrev_b32_e32 v53, 60
	v_lshlrev_b32_e32 v51, 20, v51
	v_and_b32_e32 v42, 0x80000000, v42
	v_lshl_add_u32 v22, v22, 23, v53
	v_or3_b32 v22, v42, v22, v51
	v_lshrrev_b32_e32 v51, 16, v22
.LBB840_323:
	s_or_b64 exec, exec, s[10:11]
.LBB840_324:
	s_or_b64 exec, exec, s[8:9]
.LBB840_325:
	s_or_b64 exec, exec, s[2:3]
	v_cmp_ne_u16_sdwa s[8:9], v23, v45 src0_sel:BYTE_0 src1_sel:DWORD
	s_and_saveexec_b64 s[2:3], s[8:9]
	s_cbranch_execz .LBB840_331
; %bb.326:
	s_movk_i32 s8, 0x80
	v_cmp_ne_u16_sdwa s[10:11], v23, s8 src0_sel:BYTE_0 src1_sel:DWORD
	v_mov_b32_e32 v45, 0xffff8000
	s_and_saveexec_b64 s[8:9], s[10:11]
	s_cbranch_execz .LBB840_330
; %bb.327:
	s_movk_i32 s10, 0x7f
	v_and_b32_e32 v22, 0x7f, v23
	v_cmp_ne_u32_e32 vcc, s10, v22
	v_mov_b32_e32 v45, 0x7f80
	s_and_saveexec_b64 s[10:11], vcc
	s_cbranch_execz .LBB840_329
; %bb.328:
	v_and_b32_e32 v45, 7, v23
	v_ffbh_u32_e32 v54, v45
	v_min_u32_e32 v56, 32, v54
	v_mov_b32_e32 v42, v23
	v_subrev_u32_e32 v54, 28, v56
	v_lshlrev_b64 v[54:55], v54, v[42:43]
	v_lshrrev_b32_e32 v53, 3, v22
	v_sub_u32_e32 v42, 29, v56
	v_and_b32_e32 v54, 7, v54
	v_cmp_gt_u32_e32 vcc, 8, v22
	v_cndmask_b32_e32 v22, v53, v42, vcc
	v_cndmask_b32_e32 v42, v45, v54, vcc
	v_lshlrev_b32_e32 v45, 24, v23
	v_bfrev_b32_e32 v53, 60
	v_lshlrev_b32_e32 v42, 20, v42
	v_and_b32_e32 v45, 0x80000000, v45
	v_lshl_add_u32 v22, v22, 23, v53
	v_or3_b32 v22, v45, v22, v42
	v_lshrrev_b32_e32 v45, 16, v22
.LBB840_329:
	s_or_b64 exec, exec, s[10:11]
.LBB840_330:
	s_or_b64 exec, exec, s[8:9]
.LBB840_331:
	s_or_b64 exec, exec, s[2:3]
	v_lshrrev_b16_e32 v22, 8, v23
	v_cmp_ne_u16_e32 vcc, 0, v22
	v_mov_b32_e32 v54, 0
	v_mov_b32_e32 v53, 0
	s_and_saveexec_b64 s[2:3], vcc
	s_cbranch_execz .LBB840_337
; %bb.332:
	s_movk_i32 s8, 0x80
	v_cmp_ne_u16_e32 vcc, s8, v22
	v_mov_b32_e32 v53, 0xffff8000
	s_and_saveexec_b64 s[8:9], vcc
	s_cbranch_execz .LBB840_336
; %bb.333:
	s_movk_i32 s10, 0x7f
	v_and_b32_e32 v42, 0x7f, v22
	v_cmp_ne_u32_e32 vcc, s10, v42
	v_mov_b32_e32 v53, 0x7f80
	s_and_saveexec_b64 s[10:11], vcc
	s_cbranch_execz .LBB840_335
; %bb.334:
	v_and_b32_e32 v53, 7, v22
	v_ffbh_u32_e32 v56, v53
	v_min_u32_e32 v58, 32, v56
	v_subrev_u32_e32 v56, 28, v58
	v_lshlrev_b64 v[56:57], v56, v[22:23]
	v_lshrrev_b32_e32 v55, 3, v42
	v_sub_u32_e32 v22, 29, v58
	v_and_b32_e32 v56, 7, v56
	v_cmp_gt_u32_e32 vcc, 8, v42
	v_cndmask_b32_e32 v22, v55, v22, vcc
	v_cndmask_b32_e32 v42, v53, v56, vcc
	v_lshlrev_b32_e32 v53, 16, v23
	v_bfrev_b32_e32 v55, 60
	v_lshlrev_b32_e32 v42, 20, v42
	v_and_b32_e32 v53, 0x80000000, v53
	v_lshl_add_u32 v22, v22, 23, v55
	v_or3_b32 v22, v53, v22, v42
	v_lshrrev_b32_e32 v53, 16, v22
.LBB840_335:
	s_or_b64 exec, exec, s[10:11]
.LBB840_336:
	s_or_b64 exec, exec, s[8:9]
.LBB840_337:
	s_or_b64 exec, exec, s[2:3]
	s_movk_i32 s2, 0xff
	v_and_b32_sdwa v42, v23, s2 dst_sel:DWORD dst_unused:UNUSED_PAD src0_sel:WORD_1 src1_sel:DWORD
	v_lshrrev_b32_e32 v22, 16, v23
	v_cmp_ne_u16_e32 vcc, 0, v42
	s_and_saveexec_b64 s[2:3], vcc
	s_cbranch_execz .LBB840_343
; %bb.338:
	s_movk_i32 s8, 0x80
	v_cmp_ne_u16_e32 vcc, s8, v42
	v_mov_b32_e32 v54, 0xffff8000
	s_and_saveexec_b64 s[8:9], vcc
	s_cbranch_execz .LBB840_342
; %bb.339:
	v_bfe_u32 v42, v23, 16, 7
	s_movk_i32 s10, 0x7f
	v_cmp_ne_u32_e32 vcc, s10, v42
	v_mov_b32_e32 v54, 0x7f80
	s_and_saveexec_b64 s[10:11], vcc
	s_cbranch_execz .LBB840_341
; %bb.340:
	v_and_b32_e32 v56, 7, v22
	v_ffbh_u32_e32 v54, v56
	v_min_u32_e32 v58, 32, v54
	v_subrev_u32_e32 v54, 28, v58
	v_lshlrev_b64 v[54:55], v54, v[22:23]
	v_and_b32_e32 v54, 7, v54
	v_cmp_gt_u32_e32 vcc, 8, v42
	v_lshrrev_b32_e32 v57, 3, v42
	v_sub_u32_e32 v22, 29, v58
	v_cndmask_b32_e32 v42, v56, v54, vcc
	v_mov_b32_e32 v54, 24
	v_cndmask_b32_e32 v22, v57, v22, vcc
	v_lshlrev_b32_sdwa v54, v54, v23 dst_sel:DWORD dst_unused:UNUSED_PAD src0_sel:DWORD src1_sel:WORD_1
	v_bfrev_b32_e32 v55, 60
	v_lshlrev_b32_e32 v42, 20, v42
	v_and_b32_e32 v54, 0x80000000, v54
	v_lshl_add_u32 v22, v22, 23, v55
	v_or3_b32 v22, v54, v22, v42
	v_lshrrev_b32_e32 v54, 16, v22
.LBB840_341:
	s_or_b64 exec, exec, s[10:11]
.LBB840_342:
	s_or_b64 exec, exec, s[8:9]
.LBB840_343:
	s_or_b64 exec, exec, s[2:3]
	s_mov_b32 s2, 0xffffff
	v_cmp_lt_u32_e32 vcc, s2, v23
	v_mov_b32_e32 v42, 0
	v_mov_b32_e32 v55, 0
	s_and_saveexec_b64 s[2:3], vcc
	s_cbranch_execz .LBB840_349
; %bb.344:
	v_lshrrev_b32_e32 v22, 24, v23
	s_movk_i32 s8, 0x80
	v_cmp_ne_u32_e32 vcc, s8, v22
	v_mov_b32_e32 v55, 0xffff8000
	s_and_saveexec_b64 s[8:9], vcc
	s_cbranch_execz .LBB840_348
; %bb.345:
	v_bfe_u32 v23, v23, 24, 7
	s_movk_i32 s10, 0x7f
	v_cmp_ne_u32_e32 vcc, s10, v23
	v_mov_b32_e32 v55, 0x7f80
	s_and_saveexec_b64 s[10:11], vcc
	s_cbranch_execz .LBB840_347
; %bb.346:
	v_and_b32_e32 v55, 7, v22
	v_ffbh_u32_e32 v56, v55
	v_min_u32_e32 v59, 32, v56
	v_subrev_u32_e32 v56, 28, v59
	v_lshlrev_b64 v[56:57], v56, v[22:23]
	v_lshrrev_b32_e32 v58, 3, v23
	v_sub_u32_e32 v57, 29, v59
	v_and_b32_e32 v56, 7, v56
	v_cmp_gt_u32_e32 vcc, 8, v23
	v_cndmask_b32_e32 v23, v58, v57, vcc
	v_cndmask_b32_e32 v55, v55, v56, vcc
	v_lshlrev_b32_e32 v22, 24, v22
	v_bfrev_b32_e32 v56, 60
	v_lshlrev_b32_e32 v55, 20, v55
	v_and_b32_e32 v22, 0x80000000, v22
	v_lshl_add_u32 v23, v23, 23, v56
	v_or3_b32 v22, v22, v23, v55
	v_lshrrev_b32_e32 v55, 16, v22
.LBB840_347:
	s_or_b64 exec, exec, s[10:11]
.LBB840_348:
	s_or_b64 exec, exec, s[8:9]
.LBB840_349:
	s_or_b64 exec, exec, s[2:3]
	s_mov_b32 s2, 0x5040100
	v_perm_b32 v23, v51, v44, s2
	v_perm_b32 v22, v43, v52, s2
	v_cmp_ne_u16_sdwa s[8:9], v24, v42 src0_sel:BYTE_0 src1_sel:DWORD
	s_nop 0
	v_mfma_f32_16x16x16bf16_1k v[56:59], v[22:23], v[26:27], 0
	v_perm_b32 v23, v55, v54, s2
	v_perm_b32 v22, v53, v45, s2
	s_nop 1
	v_mfma_f32_16x16x16bf16_1k v[26:29], v[22:23], v[28:29], v[56:59]
	s_and_saveexec_b64 s[2:3], s[8:9]
	s_cbranch_execz .LBB840_355
; %bb.350:
	s_movk_i32 s8, 0x80
	v_cmp_ne_u16_sdwa s[10:11], v24, s8 src0_sel:BYTE_0 src1_sel:DWORD
	v_mov_b32_e32 v42, 0xffff8000
	s_and_saveexec_b64 s[8:9], s[10:11]
	s_cbranch_execz .LBB840_354
; %bb.351:
	s_movk_i32 s10, 0x7f
	v_and_b32_e32 v22, 0x7f, v24
	v_cmp_ne_u32_e32 vcc, s10, v22
	v_mov_b32_e32 v42, 0x7f80
	s_and_saveexec_b64 s[10:11], vcc
	s_cbranch_execz .LBB840_353
; %bb.352:
	v_and_b32_e32 v23, 7, v24
	v_ffbh_u32_e32 v42, v23
	v_min_u32_e32 v45, 32, v42
	v_subrev_u32_e32 v42, 28, v45
	v_lshlrev_b64 v[42:43], v42, v[24:25]
	v_lshrrev_b32_e32 v44, 3, v22
	v_sub_u32_e32 v43, 29, v45
	v_and_b32_e32 v42, 7, v42
	v_cmp_gt_u32_e32 vcc, 8, v22
	v_cndmask_b32_e32 v22, v44, v43, vcc
	v_cndmask_b32_e32 v23, v23, v42, vcc
	v_lshlrev_b32_e32 v42, 24, v24
	v_bfrev_b32_e32 v43, 60
	v_lshlrev_b32_e32 v23, 20, v23
	v_and_b32_e32 v42, 0x80000000, v42
	v_lshl_add_u32 v22, v22, 23, v43
	v_or3_b32 v22, v42, v22, v23
	v_lshrrev_b32_e32 v42, 16, v22
.LBB840_353:
	s_or_b64 exec, exec, s[10:11]
.LBB840_354:
	s_or_b64 exec, exec, s[8:9]
.LBB840_355:
	s_or_b64 exec, exec, s[2:3]
	v_lshrrev_b16_e32 v22, 8, v24
	v_cmp_ne_u16_e32 vcc, 0, v22
	v_mov_b32_e32 v43, 0
	v_mov_b32_e32 v23, 0
	s_and_saveexec_b64 s[2:3], vcc
	s_cbranch_execz .LBB840_361
; %bb.356:
	s_movk_i32 s8, 0x80
	v_cmp_ne_u16_e32 vcc, s8, v22
	v_mov_b32_e32 v23, 0xffff8000
	s_and_saveexec_b64 s[8:9], vcc
	s_cbranch_execz .LBB840_360
; %bb.357:
	s_movk_i32 s10, 0x7f
	v_and_b32_e32 v44, 0x7f, v22
	v_cmp_ne_u32_e32 vcc, s10, v44
	v_mov_b32_e32 v23, 0x7f80
	s_and_saveexec_b64 s[10:11], vcc
	s_cbranch_execz .LBB840_359
; %bb.358:
	v_and_b32_e32 v45, 7, v22
	v_ffbh_u32_e32 v23, v45
	v_min_u32_e32 v52, 32, v23
	v_subrev_u32_e32 v23, 28, v52
	v_lshlrev_b64 v[22:23], v23, v[22:23]
	v_lshrrev_b32_e32 v51, 3, v44
	v_sub_u32_e32 v23, 29, v52
	v_and_b32_e32 v22, 7, v22
	v_cmp_gt_u32_e32 vcc, 8, v44
	v_cndmask_b32_e32 v23, v51, v23, vcc
	v_cndmask_b32_e32 v22, v45, v22, vcc
	v_lshlrev_b32_e32 v44, 16, v24
	v_bfrev_b32_e32 v45, 60
	v_lshlrev_b32_e32 v22, 20, v22
	v_and_b32_e32 v44, 0x80000000, v44
	v_lshl_add_u32 v23, v23, 23, v45
	v_or3_b32 v22, v44, v23, v22
	v_lshrrev_b32_e32 v23, 16, v22
.LBB840_359:
	s_or_b64 exec, exec, s[10:11]
.LBB840_360:
	s_or_b64 exec, exec, s[8:9]
.LBB840_361:
	s_or_b64 exec, exec, s[2:3]
	s_movk_i32 s2, 0xff
	v_and_b32_sdwa v44, v24, s2 dst_sel:DWORD dst_unused:UNUSED_PAD src0_sel:WORD_1 src1_sel:DWORD
	v_lshrrev_b32_e32 v22, 16, v24
	v_cmp_ne_u16_e32 vcc, 0, v44
	s_and_saveexec_b64 s[2:3], vcc
	s_cbranch_execz .LBB840_367
; %bb.362:
	s_movk_i32 s8, 0x80
	v_cmp_ne_u16_e32 vcc, s8, v44
	v_mov_b32_e32 v43, 0xffff8000
	s_and_saveexec_b64 s[8:9], vcc
	s_cbranch_execz .LBB840_366
; %bb.363:
	v_bfe_u32 v44, v24, 16, 7
	s_movk_i32 s10, 0x7f
	v_cmp_ne_u32_e32 vcc, s10, v44
	v_mov_b32_e32 v43, 0x7f80
	s_and_saveexec_b64 s[10:11], vcc
	s_cbranch_execz .LBB840_365
; %bb.364:
	v_and_b32_e32 v43, 7, v22
	v_ffbh_u32_e32 v51, v43
	v_min_u32_e32 v51, 32, v51
	v_subrev_u32_e32 v52, 28, v51
	v_lshlrev_b64 v[52:53], v52, v[22:23]
	v_lshrrev_b32_e32 v45, 3, v44
	v_sub_u32_e32 v22, 29, v51
	v_and_b32_e32 v51, 7, v52
	v_cmp_gt_u32_e32 vcc, 8, v44
	v_mov_b32_e32 v44, 24
	v_cndmask_b32_e32 v22, v45, v22, vcc
	v_cndmask_b32_e32 v43, v43, v51, vcc
	v_lshlrev_b32_sdwa v44, v44, v24 dst_sel:DWORD dst_unused:UNUSED_PAD src0_sel:DWORD src1_sel:WORD_1
	v_bfrev_b32_e32 v45, 60
	v_lshlrev_b32_e32 v43, 20, v43
	v_and_b32_e32 v44, 0x80000000, v44
	v_lshl_add_u32 v22, v22, 23, v45
	v_or3_b32 v22, v44, v22, v43
	v_lshrrev_b32_e32 v43, 16, v22
.LBB840_365:
	s_or_b64 exec, exec, s[10:11]
.LBB840_366:
	s_or_b64 exec, exec, s[8:9]
.LBB840_367:
	s_or_b64 exec, exec, s[2:3]
	s_mov_b32 s2, 0xffffff
	v_cmp_lt_u32_e32 vcc, s2, v24
	v_mov_b32_e32 v45, 0
	v_mov_b32_e32 v51, 0
	s_and_saveexec_b64 s[2:3], vcc
	s_cbranch_execz .LBB840_373
; %bb.368:
	v_lshrrev_b32_e32 v22, 24, v24
	s_movk_i32 s8, 0x80
	v_cmp_ne_u32_e32 vcc, s8, v22
	v_mov_b32_e32 v51, 0xffff8000
	s_and_saveexec_b64 s[8:9], vcc
	s_cbranch_execz .LBB840_372
; %bb.369:
	v_bfe_u32 v24, v24, 24, 7
	s_movk_i32 s10, 0x7f
	v_cmp_ne_u32_e32 vcc, s10, v24
	v_mov_b32_e32 v51, 0x7f80
	s_and_saveexec_b64 s[10:11], vcc
	s_cbranch_execz .LBB840_371
; %bb.370:
	v_and_b32_e32 v44, 7, v22
	v_ffbh_u32_e32 v52, v44
	v_min_u32_e32 v54, 32, v52
	v_subrev_u32_e32 v52, 28, v54
	v_lshlrev_b64 v[52:53], v52, v[22:23]
	v_lshrrev_b32_e32 v51, 3, v24
	v_sub_u32_e32 v53, 29, v54
	v_and_b32_e32 v52, 7, v52
	v_cmp_gt_u32_e32 vcc, 8, v24
	v_cndmask_b32_e32 v24, v51, v53, vcc
	v_cndmask_b32_e32 v44, v44, v52, vcc
	v_lshlrev_b32_e32 v22, 24, v22
	v_bfrev_b32_e32 v51, 60
	v_lshlrev_b32_e32 v44, 20, v44
	v_and_b32_e32 v22, 0x80000000, v22
	v_lshl_add_u32 v24, v24, 23, v51
	v_or3_b32 v22, v22, v24, v44
	v_lshrrev_b32_e32 v51, 16, v22
.LBB840_371:
	s_or_b64 exec, exec, s[10:11]
.LBB840_372:
	s_or_b64 exec, exec, s[8:9]
.LBB840_373:
	s_or_b64 exec, exec, s[2:3]
	v_cmp_ne_u16_sdwa s[8:9], v25, v45 src0_sel:BYTE_0 src1_sel:DWORD
	s_and_saveexec_b64 s[2:3], s[8:9]
	s_cbranch_execz .LBB840_379
; %bb.374:
	s_movk_i32 s8, 0x80
	v_cmp_ne_u16_sdwa s[10:11], v25, s8 src0_sel:BYTE_0 src1_sel:DWORD
	v_mov_b32_e32 v45, 0xffff8000
	s_and_saveexec_b64 s[8:9], s[10:11]
	s_cbranch_execz .LBB840_378
; %bb.375:
	s_movk_i32 s10, 0x7f
	v_and_b32_e32 v22, 0x7f, v25
	v_cmp_ne_u32_e32 vcc, s10, v22
	v_mov_b32_e32 v45, 0x7f80
	s_and_saveexec_b64 s[10:11], vcc
	s_cbranch_execz .LBB840_377
; %bb.376:
	v_and_b32_e32 v52, 7, v25
	v_ffbh_u32_e32 v44, v52
	v_min_u32_e32 v54, 32, v44
	v_mov_b32_e32 v24, v25
	v_subrev_u32_e32 v44, 28, v54
	v_lshlrev_b64 v[44:45], v44, v[24:25]
	v_lshrrev_b32_e32 v53, 3, v22
	v_sub_u32_e32 v24, 29, v54
	v_and_b32_e32 v44, 7, v44
	v_cmp_gt_u32_e32 vcc, 8, v22
	v_cndmask_b32_e32 v22, v53, v24, vcc
	v_cndmask_b32_e32 v24, v52, v44, vcc
	v_lshlrev_b32_e32 v44, 24, v25
	v_bfrev_b32_e32 v45, 60
	v_lshlrev_b32_e32 v24, 20, v24
	v_and_b32_e32 v44, 0x80000000, v44
	v_lshl_add_u32 v22, v22, 23, v45
	v_or3_b32 v22, v44, v22, v24
	v_lshrrev_b32_e32 v45, 16, v22
.LBB840_377:
	s_or_b64 exec, exec, s[10:11]
.LBB840_378:
	s_or_b64 exec, exec, s[8:9]
.LBB840_379:
	s_or_b64 exec, exec, s[2:3]
	v_lshrrev_b16_e32 v22, 8, v25
	v_cmp_ne_u16_e32 vcc, 0, v22
	v_mov_b32_e32 v53, 0
	v_mov_b32_e32 v52, 0
	s_and_saveexec_b64 s[2:3], vcc
	s_cbranch_execz .LBB840_385
; %bb.380:
	s_movk_i32 s8, 0x80
	v_cmp_ne_u16_e32 vcc, s8, v22
	v_mov_b32_e32 v52, 0xffff8000
	s_and_saveexec_b64 s[8:9], vcc
	s_cbranch_execz .LBB840_384
; %bb.381:
	s_movk_i32 s10, 0x7f
	v_and_b32_e32 v24, 0x7f, v22
	v_cmp_ne_u32_e32 vcc, s10, v24
	v_mov_b32_e32 v52, 0x7f80
	s_and_saveexec_b64 s[10:11], vcc
	s_cbranch_execz .LBB840_383
; %bb.382:
	v_and_b32_e32 v44, 7, v22
	v_ffbh_u32_e32 v54, v44
	v_min_u32_e32 v56, 32, v54
	v_subrev_u32_e32 v54, 28, v56
	v_lshlrev_b64 v[54:55], v54, v[22:23]
	v_lshrrev_b32_e32 v52, 3, v24
	v_sub_u32_e32 v22, 29, v56
	v_and_b32_e32 v54, 7, v54
	v_cmp_gt_u32_e32 vcc, 8, v24
	v_cndmask_b32_e32 v22, v52, v22, vcc
	v_cndmask_b32_e32 v24, v44, v54, vcc
	v_lshlrev_b32_e32 v44, 16, v25
	v_bfrev_b32_e32 v52, 60
	v_lshlrev_b32_e32 v24, 20, v24
	v_and_b32_e32 v44, 0x80000000, v44
	v_lshl_add_u32 v22, v22, 23, v52
	v_or3_b32 v22, v44, v22, v24
	v_lshrrev_b32_e32 v52, 16, v22
.LBB840_383:
	s_or_b64 exec, exec, s[10:11]
.LBB840_384:
	s_or_b64 exec, exec, s[8:9]
.LBB840_385:
	s_or_b64 exec, exec, s[2:3]
	s_movk_i32 s2, 0xff
	v_and_b32_sdwa v24, v25, s2 dst_sel:DWORD dst_unused:UNUSED_PAD src0_sel:WORD_1 src1_sel:DWORD
	v_lshrrev_b32_e32 v22, 16, v25
	v_cmp_ne_u16_e32 vcc, 0, v24
	s_and_saveexec_b64 s[2:3], vcc
	s_cbranch_execz .LBB840_391
; %bb.386:
	s_movk_i32 s8, 0x80
	v_cmp_ne_u16_e32 vcc, s8, v24
	v_mov_b32_e32 v53, 0xffff8000
	s_and_saveexec_b64 s[8:9], vcc
	s_cbranch_execz .LBB840_390
; %bb.387:
	v_bfe_u32 v24, v25, 16, 7
	s_movk_i32 s10, 0x7f
	v_cmp_ne_u32_e32 vcc, s10, v24
	v_mov_b32_e32 v53, 0x7f80
	s_and_saveexec_b64 s[10:11], vcc
	s_cbranch_execz .LBB840_389
; %bb.388:
	v_and_b32_e32 v44, 7, v22
	v_ffbh_u32_e32 v54, v44
	v_min_u32_e32 v56, 32, v54
	v_subrev_u32_e32 v54, 28, v56
	v_lshlrev_b64 v[54:55], v54, v[22:23]
	v_and_b32_e32 v54, 7, v54
	v_cmp_gt_u32_e32 vcc, 8, v24
	v_lshrrev_b32_e32 v53, 3, v24
	v_sub_u32_e32 v22, 29, v56
	v_cndmask_b32_e32 v24, v44, v54, vcc
	v_mov_b32_e32 v44, 24
	v_cndmask_b32_e32 v22, v53, v22, vcc
	v_lshlrev_b32_sdwa v44, v44, v25 dst_sel:DWORD dst_unused:UNUSED_PAD src0_sel:DWORD src1_sel:WORD_1
	v_bfrev_b32_e32 v53, 60
	v_lshlrev_b32_e32 v24, 20, v24
	v_and_b32_e32 v44, 0x80000000, v44
	v_lshl_add_u32 v22, v22, 23, v53
	v_or3_b32 v22, v44, v22, v24
	v_lshrrev_b32_e32 v53, 16, v22
.LBB840_389:
	s_or_b64 exec, exec, s[10:11]
.LBB840_390:
	s_or_b64 exec, exec, s[8:9]
.LBB840_391:
	s_or_b64 exec, exec, s[2:3]
	s_mov_b32 s2, 0xffffff
	v_and_b32_e32 v44, 63, v0
	v_cmp_lt_u32_e32 vcc, s2, v25
	v_mov_b32_e32 v54, 0
	s_and_saveexec_b64 s[2:3], vcc
	s_cbranch_execz .LBB840_397
; %bb.392:
	v_lshrrev_b32_e32 v22, 24, v25
	s_movk_i32 s8, 0x80
	v_cmp_ne_u32_e32 vcc, s8, v22
	v_mov_b32_e32 v54, 0xffff8000
	s_and_saveexec_b64 s[8:9], vcc
	s_cbranch_execz .LBB840_396
; %bb.393:
	v_bfe_u32 v24, v25, 24, 7
	s_movk_i32 s10, 0x7f
	v_cmp_ne_u32_e32 vcc, s10, v24
	v_mov_b32_e32 v54, 0x7f80
	s_and_saveexec_b64 s[10:11], vcc
	s_cbranch_execz .LBB840_395
; %bb.394:
	v_and_b32_e32 v25, 7, v22
	v_ffbh_u32_e32 v54, v25
	v_min_u32_e32 v57, 32, v54
	v_subrev_u32_e32 v54, 28, v57
	v_lshlrev_b64 v[54:55], v54, v[22:23]
	v_lshrrev_b32_e32 v56, 3, v24
	v_sub_u32_e32 v55, 29, v57
	v_and_b32_e32 v54, 7, v54
	v_cmp_gt_u32_e32 vcc, 8, v24
	v_cndmask_b32_e32 v24, v56, v55, vcc
	v_cndmask_b32_e32 v25, v25, v54, vcc
	v_lshlrev_b32_e32 v22, 24, v22
	v_bfrev_b32_e32 v54, 60
	v_lshlrev_b32_e32 v25, 20, v25
	v_and_b32_e32 v22, 0x80000000, v22
	v_lshl_add_u32 v24, v24, 23, v54
	v_or3_b32 v22, v22, v24, v25
	v_lshrrev_b32_e32 v54, 16, v22
.LBB840_395:
	s_or_b64 exec, exec, s[10:11]
.LBB840_396:
	s_or_b64 exec, exec, s[8:9]
.LBB840_397:
	s_or_b64 exec, exec, s[2:3]
	s_mov_b32 s3, 0x5040100
	v_perm_b32 v43, v51, v43, s3
	v_perm_b32 v42, v23, v42, s3
	s_load_dword s2, s[4:5], 0x1c
	s_mov_b32 s46, 0xff7fffff
	s_waitcnt lgkmcnt(0)
	v_mfma_f32_16x16x16bf16_1k v[26:29], v[42:43], v[18:19], v[26:29]
	v_perm_b32 v19, v54, v53, s3
	v_perm_b32 v18, v52, v45, s3
	v_mov_b32_e32 v22, s2
	v_mul_f32_e32 v56, s12, v22
	v_pk_mul_f32 v[22:23], v[56:57], v[32:33] op_sel_hi:[0,1]
	v_pk_mul_f32 v[32:33], v[56:57], v[38:39] op_sel_hi:[0,1]
	v_and_b32_e32 v38, 0xc0, v0
	v_mfma_f32_16x16x16bf16_1k v[26:29], v[18:19], v[20:21], v[26:29]
	v_add_u32_e32 v38, s18, v38
	v_lshl_or_b32 v38, v1, 2, v38
	v_or_b32_e32 v39, 1, v38
	v_pk_mul_f32 v[24:25], v[56:57], v[30:31] op_sel_hi:[0,1]
	v_pk_mul_f32 v[30:31], v[56:57], v[40:41] op_sel_hi:[0,1]
	v_subrev_u32_e32 v40, s33, v39
	v_pk_mul_f32 v[34:35], v[56:57], v[34:35] op_sel_hi:[0,1]
	s_nop 3
	v_pk_mul_f32 v[20:21], v[56:57], v[26:27] op_sel_hi:[0,1]
	v_add_u32_e32 v27, 1, v40
	v_pk_mul_f32 v[18:19], v[56:57], v[28:29] op_sel_hi:[0,1]
	v_cvt_f32_i32_e32 v27, v27
	v_add_u32_e32 v29, 3, v40
	v_cvt_f32_i32_e32 v29, v29
	v_cvt_f32_i32_e32 v26, v40
	v_pk_mul_f32 v[36:37], v[56:57], v[36:37] op_sel_hi:[0,1]
	v_fmac_f32_e32 v35, v50, v27
	v_add_u32_e32 v27, 16, v40
	v_fmac_f32_e32 v37, v50, v29
	v_cvt_f32_i32_e32 v27, v27
	v_add_u32_e32 v29, 17, v40
	v_fma_f32 v26, v50, v26, v34
	v_cvt_f32_i32_e32 v29, v29
	v_add_u32_e32 v34, 18, v40
	v_cvt_f32_i32_e32 v34, v34
	v_fma_f32 v41, v50, v27, v32
	v_add_u32_e32 v27, 32, v40
	v_fmac_f32_e32 v33, v50, v29
	v_cvt_f32_i32_e32 v27, v27
	v_add_u32_e32 v29, 33, v40
	v_add_u32_e32 v32, 34, v40
	v_fma_f32 v30, v50, v34, v30
	v_cvt_f32_i32_e32 v29, v29
	v_cvt_f32_i32_e32 v32, v32
	v_add_u32_e32 v34, 35, v40
	v_cvt_f32_i32_e32 v34, v34
	v_fma_f32 v24, v50, v27, v24
	v_add_u32_e32 v27, 48, v40
	v_fmac_f32_e32 v25, v50, v29
	v_fma_f32 v22, v50, v32, v22
	v_cvt_f32_i32_e32 v27, v27
	v_add_u32_e32 v29, 49, v40
	v_add_u32_e32 v32, 50, v40
	v_fmac_f32_e32 v23, v50, v34
	v_cvt_f32_i32_e32 v29, v29
	v_cvt_f32_i32_e32 v32, v32
	v_add_u32_e32 v34, 51, v40
	v_add_u32_e32 v28, 2, v40
	v_cvt_f32_i32_e32 v34, v34
	v_cvt_f32_i32_e32 v28, v28
	v_fma_f32 v20, v50, v27, v20
	v_mov_b32_e32 v27, 0xff7fffff
	v_cmp_gt_i32_e64 s[26:27], s33, v38
	v_cmp_gt_i32_e64 s[28:29], s33, v39
	v_fmac_f32_e32 v21, v50, v29
	v_fma_f32 v18, v50, v32, v18
	v_cndmask_b32_e64 v29, v27, v26, s[26:27]
	v_cndmask_b32_e64 v32, v27, v35, s[28:29]
	v_fmac_f32_e32 v19, v50, v34
	v_max3_f32 v29, v29, s46, v32
	v_or_b32_e32 v32, 2, v38
	v_or_b32_e32 v34, 3, v38
	v_fma_f32 v28, v50, v28, v36
	v_cmp_gt_i32_e64 s[30:31], s33, v32
	v_cmp_gt_i32_e64 s[34:35], s33, v34
	v_add_u32_e32 v36, 19, v40
	v_cndmask_b32_e64 v32, v27, v28, s[30:31]
	v_cndmask_b32_e64 v34, v27, v37, s[34:35]
	v_cvt_f32_i32_e32 v36, v36
	v_max3_f32 v29, v29, v32, v34
	v_or_b32_e32 v32, 16, v38
	v_or_b32_e32 v34, 17, v38
	v_cmp_gt_i32_e64 s[36:37], s33, v32
	v_cmp_gt_i32_e64 s[38:39], s33, v34
	v_cndmask_b32_e64 v32, v27, v41, s[36:37]
	v_cndmask_b32_e64 v34, v27, v33, s[38:39]
	v_max3_f32 v29, v29, v32, v34
	v_or_b32_e32 v32, 18, v38
	v_or_b32_e32 v34, 19, v38
	v_fmac_f32_e32 v31, v50, v36
	v_cmp_gt_i32_e64 s[20:21], s33, v32
	v_cmp_gt_i32_e64 s[22:23], s33, v34
	v_cndmask_b32_e64 v32, v27, v30, s[20:21]
	v_cndmask_b32_e64 v34, v27, v31, s[22:23]
	v_max3_f32 v29, v29, v32, v34
	v_or_b32_e32 v32, 32, v38
	v_or_b32_e32 v34, 33, v38
	v_cmp_gt_i32_e64 s[16:17], s33, v32
	v_cmp_gt_i32_e64 s[18:19], s33, v34
	v_cndmask_b32_e64 v32, v27, v24, s[16:17]
	v_cndmask_b32_e64 v34, v27, v25, s[18:19]
	v_max3_f32 v29, v29, v32, v34
	v_or_b32_e32 v32, 34, v38
	v_or_b32_e32 v34, 35, v38
	v_cmp_gt_i32_e64 s[12:13], s33, v32
	v_cmp_gt_i32_e64 s[14:15], s33, v34
	v_cndmask_b32_e64 v32, v27, v22, s[12:13]
	v_cndmask_b32_e64 v34, v27, v23, s[14:15]
	v_max3_f32 v29, v29, v32, v34
	v_or_b32_e32 v32, 48, v38
	v_or_b32_e32 v34, 49, v38
	v_cmp_gt_i32_e64 s[8:9], s33, v32
	v_cmp_gt_i32_e64 s[10:11], s33, v34
	v_cndmask_b32_e64 v32, v27, v20, s[8:9]
	v_cndmask_b32_e64 v34, v27, v21, s[10:11]
	v_max3_f32 v29, v29, v32, v34
	v_or_b32_e32 v32, 50, v38
	v_or_b32_e32 v34, 51, v38
	v_cmp_gt_i32_e32 vcc, s33, v32
	v_cmp_gt_i32_e64 s[2:3], s33, v34
	v_cndmask_b32_e32 v32, v27, v18, vcc
	v_cndmask_b32_e64 v27, v27, v19, s[2:3]
	v_max3_f32 v27, v29, v32, v27
	v_mbcnt_lo_u32_b32 v29, -1, 0
	v_mbcnt_hi_u32_b32 v29, -1, v29
	v_and_b32_e32 v32, 64, v29
	v_add_u32_e32 v32, 64, v32
	v_xor_b32_e32 v34, 32, v29
	v_cmp_lt_i32_e64 s[40:41], v34, v32
	v_cndmask_b32_e64 v34, v29, v34, s[40:41]
	v_lshlrev_b32_e32 v36, 2, v34
	ds_bpermute_b32 v34, v36, v27
	s_barrier
	s_waitcnt lgkmcnt(0)
	v_max_f32_e32 v34, v34, v34
	v_max_f32_e32 v27, v27, v34
	v_xor_b32_e32 v34, 16, v29
	v_cmp_lt_i32_e64 s[40:41], v34, v32
	v_cndmask_b32_e64 v29, v29, v34, s[40:41]
	v_lshlrev_b32_e32 v38, 2, v29
	ds_bpermute_b32 v29, v38, v27
	s_waitcnt lgkmcnt(0)
	v_max_f32_e32 v29, v29, v29
	v_max_f32_e32 v32, v27, v29
	v_sub_f32_e32 v26, v26, v32
	v_mul_f32_e32 v26, 0x3fb8aa3b, v26
	v_sub_f32_e32 v27, v35, v32
	v_exp_f32_e32 v26, v26
	v_mul_f32_e32 v27, 0x3fb8aa3b, v27
	v_sub_f32_e32 v28, v28, v32
	v_exp_f32_e32 v27, v27
	v_mul_f32_e32 v28, 0x3fb8aa3b, v28
	v_exp_f32_e32 v28, v28
	v_cndmask_b32_e64 v26, 0, v26, s[26:27]
	v_sub_f32_e32 v34, v37, v32
	v_add_f32_e32 v29, 0, v26
	v_cndmask_b32_e64 v27, 0, v27, s[28:29]
	v_mul_f32_e32 v34, 0x3fb8aa3b, v34
	v_exp_f32_e32 v35, v34
	v_add_f32_e32 v29, v29, v27
	v_cndmask_b32_e64 v34, 0, v28, s[30:31]
	v_add_f32_e32 v28, v29, v34
	v_sub_f32_e32 v29, v41, v32
	v_mul_f32_e32 v29, 0x3fb8aa3b, v29
	v_sub_f32_e32 v33, v33, v32
	v_exp_f32_e32 v29, v29
	v_mul_f32_e32 v33, 0x3fb8aa3b, v33
	v_sub_f32_e32 v30, v30, v32
	v_exp_f32_e32 v33, v33
	;; [unrolled: 3-line block ×3, first 2 shown]
	v_mul_f32_e32 v31, 0x3fb8aa3b, v31
	v_sub_f32_e32 v24, v24, v32
	v_cndmask_b32_e64 v35, 0, v35, s[34:35]
	v_exp_f32_e32 v31, v31
	v_mul_f32_e32 v24, 0x3fb8aa3b, v24
	v_sub_f32_e32 v25, v25, v32
	v_add_f32_e32 v37, v28, v35
	v_cndmask_b32_e64 v28, 0, v29, s[36:37]
	v_exp_f32_e32 v24, v24
	v_mul_f32_e32 v25, 0x3fb8aa3b, v25
	v_sub_f32_e32 v22, v22, v32
	v_add_f32_e32 v37, v37, v28
	;; [unrolled: 5-line block ×7, first 2 shown]
	v_cndmask_b32_e64 v22, 0, v22, s[12:13]
	v_exp_f32_e32 v18, v18
	v_mul_f32_e32 v19, 0x3fb8aa3b, v19
	v_add_f32_e32 v33, v33, v22
	v_cndmask_b32_e64 v23, 0, v23, s[14:15]
	v_exp_f32_e32 v19, v19
	v_add_f32_e32 v33, v33, v23
	v_cndmask_b32_e64 v20, 0, v20, s[8:9]
	v_add_f32_e32 v33, v33, v20
	v_cndmask_b32_e64 v21, 0, v21, s[10:11]
	v_add_f32_e32 v33, v33, v21
	v_cndmask_b32_e32 v18, 0, v18, vcc
	v_add_f32_e32 v33, v33, v18
	v_cndmask_b32_e64 v19, 0, v19, s[2:3]
	v_add_f32_e32 v33, v33, v19
	ds_bpermute_b32 v36, v36, v33
	v_cmp_gt_u32_e32 vcc, 16, v44
	s_waitcnt lgkmcnt(0)
	v_add_f32_e32 v36, v33, v36
	ds_bpermute_b32 v37, v38, v36
	v_lshlrev_b32_e32 v33, 2, v48
	s_and_saveexec_b64 s[2:3], vcc
	s_cbranch_execz .LBB840_399
; %bb.398:
	s_waitcnt lgkmcnt(0)
	v_add_f32_e32 v36, v36, v37
	v_lshl_or_b32 v37, v49, 6, v33
	ds_write2st64_b32 v37, v32, v36 offset1:1
.LBB840_399:
	s_or_b64 exec, exec, s[2:3]
	s_waitcnt lgkmcnt(0)
	s_barrier
	ds_read2_b32 v[36:37], v33 offset1:16
	ds_read2_b32 v[38:39], v33 offset0:32 offset1:48
	ds_read2_b32 v[40:41], v33 offset0:64 offset1:80
	s_mul_i32 s12, s45, 11
	s_waitcnt lgkmcnt(2)
	v_max3_f32 v32, v36, s46, v37
	s_waitcnt lgkmcnt(1)
	v_max3_f32 v32, v32, v38, v39
	v_sub_f32_e32 v36, v36, v32
	v_mul_f32_e32 v36, 0x3fb8aa3b, v36
	v_exp_f32_e32 v42, v36
	v_sub_f32_e32 v36, v37, v32
	v_mul_f32_e32 v36, 0x3fb8aa3b, v36
	v_exp_f32_e32 v43, v36
	;; [unrolled: 3-line block ×3, first 2 shown]
	ds_read2_b32 v[36:37], v33 offset0:96 offset1:112
	v_sub_f32_e32 v33, v39, v32
	v_mul_f32_e32 v33, 0x3fb8aa3b, v33
	v_exp_f32_e32 v39, v33
	s_waitcnt lgkmcnt(1)
	v_fma_f32 v33, v42, v40, 0
	v_fmac_f32_e32 v33, v43, v41
	s_waitcnt lgkmcnt(0)
	v_fmac_f32_e32 v33, v38, v36
	v_fmac_f32_e32 v33, v39, v37
	v_add_f32_e32 v36, 0x358637bd, v33
	v_div_scale_f32 v37, s[2:3], v36, v36, 1.0
	v_rcp_f32_e32 v40, v37
	s_movk_i32 s2, 0x7fff
	s_mov_b32 s3, 0x7060302
	v_fma_f32 v41, -v37, v40, 1.0
	v_fmac_f32_e32 v40, v41, v40
	v_div_scale_f32 v41, vcc, 1.0, v36, 1.0
	v_mul_f32_e32 v44, v41, v40
	v_fma_f32 v45, -v37, v44, v41
	v_fmac_f32_e32 v44, v45, v40
	v_fma_f32 v37, -v37, v44, v41
	v_div_fmas_f32 v37, v37, v40, v44
	v_cmp_eq_u32_e32 vcc, 1, v49
	v_div_fixup_f32 v36, v37, v36, 1.0
	v_cndmask_b32_e32 v37, v42, v43, vcc
	v_cmp_eq_u32_e32 vcc, 2, v49
	v_cndmask_b32_e32 v37, v37, v38, vcc
	v_cmp_eq_u32_e32 vcc, 3, v49
	v_cndmask_b32_e32 v37, v37, v39, vcc
	v_mul_f32_e32 v36, v37, v36
	v_pk_mul_f32 v[26:27], v[36:37], v[26:27] op_sel_hi:[0,1]
	v_pk_mul_f32 v[34:35], v[36:37], v[34:35] op_sel_hi:[0,1]
	v_bfe_u32 v37, v27, 16, 1
	v_bfe_u32 v38, v26, 16, 1
	v_add3_u32 v26, v26, v38, s2
	v_add3_u32 v27, v27, v37, s2
	v_perm_b32 v38, v27, v26, s3
	v_bfe_u32 v26, v35, 16, 1
	v_bfe_u32 v27, v34, 16, 1
	v_add3_u32 v27, v34, v27, s2
	v_add3_u32 v26, v35, v26, s2
	v_perm_b32 v39, v26, v27, s3
	v_lshlrev_b32_e32 v26, 3, v1
	v_lshlrev_b32_e32 v27, 5, v48
	;; [unrolled: 1-line block ×3, first 2 shown]
	v_pk_mul_f32 v[28:29], v[36:37], v[28:29] op_sel_hi:[0,1]
	v_or3_b32 v26, v34, v27, v26
	v_bfe_u32 v34, v29, 16, 1
	v_bfe_u32 v35, v28, 16, 1
	v_pk_mul_f32 v[30:31], v[36:37], v[30:31] op_sel_hi:[0,1]
	v_add3_u32 v28, v28, v35, s2
	v_add3_u32 v29, v29, v34, s2
	v_perm_b32 v28, v29, v28, s3
	v_bfe_u32 v29, v31, 16, 1
	v_bfe_u32 v34, v30, 16, 1
	v_add3_u32 v30, v30, v34, s2
	v_add3_u32 v29, v31, v29, s2
	v_perm_b32 v29, v29, v30, s3
	v_pk_mul_f32 v[24:25], v[36:37], v[24:25] op_sel_hi:[0,1]
	s_barrier
	ds_write2st64_b64 v26, v[38:39], v[28:29] offset1:1
	v_bfe_u32 v28, v25, 16, 1
	v_bfe_u32 v29, v24, 16, 1
	v_pk_mul_f32 v[22:23], v[36:37], v[22:23] op_sel_hi:[0,1]
	v_add3_u32 v24, v24, v29, s2
	v_add3_u32 v25, v25, v28, s2
	v_perm_b32 v24, v25, v24, s3
	v_bfe_u32 v25, v23, 16, 1
	v_bfe_u32 v28, v22, 16, 1
	v_add3_u32 v22, v22, v28, s2
	v_add3_u32 v23, v23, v25, s2
	v_pk_mul_f32 v[20:21], v[36:37], v[20:21] op_sel_hi:[0,1]
	v_perm_b32 v25, v23, v22, s3
	v_bfe_u32 v22, v21, 16, 1
	v_bfe_u32 v23, v20, 16, 1
	v_pk_mul_f32 v[18:19], v[36:37], v[18:19] op_sel_hi:[0,1]
	v_add3_u32 v20, v20, v23, s2
	v_add3_u32 v21, v21, v22, s2
	v_perm_b32 v20, v21, v20, s3
	v_bfe_u32 v21, v19, 16, 1
	v_bfe_u32 v22, v18, 16, 1
	v_add3_u32 v18, v18, v22, s2
	v_add3_u32 v19, v19, v21, s2
	v_perm_b32 v21, v19, v18, s3
	v_cmp_gt_u32_e32 vcc, 11, v0
	ds_write2st64_b64 v26, v[24:25], v[20:21] offset0:2 offset1:3
	s_and_saveexec_b64 s[2:3], vcc
	s_cbranch_execz .LBB840_401
; %bb.400:
	v_add_co_u32_e32 v20, vcc, s25, v48
	v_addc_co_u32_e64 v21, s[14:15], 0, 0, vcc
	v_mov_b32_e32 v18, s12
	v_mov_b32_e32 v19, 0
	v_mad_u64_u32 v[20:21], s[14:15], s6, v18, v[20:21]
	v_mov_b32_e32 v18, s24
	s_load_dwordx4 s[8:11], s[4:5], 0x58
	s_mul_i32 s7, s7, s12
	v_mad_u64_u32 v[18:19], s[14:15], v20, s44, v[18:19]
	v_add_u32_e32 v21, s7, v21
	v_mov_b32_e32 v20, v19
	v_mad_u64_u32 v[20:21], s[14:15], v21, s44, v[20:21]
	v_mov_b32_e32 v19, v20
	v_lshlrev_b64 v[18:19], 2, v[18:19]
	s_waitcnt lgkmcnt(0)
	v_mov_b32_e32 v21, s11
	v_add_co_u32_e32 v20, vcc, s10, v18
	v_addc_co_u32_e32 v21, vcc, v21, v19, vcc
	global_store_dword v[20:21], v32, off
	v_mov_b32_e32 v20, s9
	v_add_co_u32_e32 v18, vcc, s8, v18
	v_addc_co_u32_e32 v19, vcc, v20, v19, vcc
	global_store_dword v[18:19], v33, off
.LBB840_401:
	s_or_b64 exec, exec, s[2:3]
	v_mov_b32_e32 v19, 0
	s_waitcnt vmcnt(3)
	v_cmp_ne_u16_sdwa s[8:9], v14, v19 src0_sel:BYTE_0 src1_sel:DWORD
	v_mov_b32_e32 v20, 0
	s_waitcnt lgkmcnt(0)
	s_barrier
	s_and_saveexec_b64 s[2:3], s[8:9]
	s_cbranch_execz .LBB840_407
; %bb.402:
	s_movk_i32 s7, 0x80
	v_cmp_ne_u16_sdwa s[10:11], v14, s7 src0_sel:BYTE_0 src1_sel:DWORD
	v_mov_b32_e32 v20, 0xffff8000
	s_and_saveexec_b64 s[8:9], s[10:11]
	s_cbranch_execz .LBB840_406
; %bb.403:
	s_movk_i32 s7, 0x7f
	v_and_b32_e32 v18, 0x7f, v14
	v_cmp_ne_u32_e32 vcc, s7, v18
	v_mov_b32_e32 v20, 0x7f80
	s_and_saveexec_b64 s[10:11], vcc
	s_cbranch_execz .LBB840_405
; %bb.404:
	v_and_b32_e32 v22, 7, v14
	v_ffbh_u32_e32 v20, v22
	v_min_u32_e32 v24, 32, v20
	v_subrev_u32_e32 v20, 28, v24
	v_lshlrev_b64 v[20:21], v20, v[14:15]
	v_lshrrev_b32_e32 v23, 3, v18
	v_sub_u32_e32 v21, 29, v24
	v_and_b32_e32 v20, 7, v20
	v_cmp_gt_u32_e32 vcc, 8, v18
	v_cndmask_b32_e32 v18, v23, v21, vcc
	v_cndmask_b32_e32 v20, v22, v20, vcc
	v_lshlrev_b32_e32 v21, 24, v14
	v_bfrev_b32_e32 v22, 60
	v_lshlrev_b32_e32 v20, 20, v20
	v_and_b32_e32 v21, 0x80000000, v21
	v_lshl_add_u32 v18, v18, 23, v22
	v_or3_b32 v18, v21, v18, v20
	v_lshrrev_b32_e32 v20, 16, v18
.LBB840_405:
	s_or_b64 exec, exec, s[10:11]
.LBB840_406:
	s_or_b64 exec, exec, s[8:9]
.LBB840_407:
	s_or_b64 exec, exec, s[2:3]
	v_lshrrev_b16_e32 v18, 8, v14
	v_cmp_ne_u16_e32 vcc, 0, v18
	s_and_saveexec_b64 s[2:3], vcc
	s_cbranch_execz .LBB840_413
; %bb.408:
	s_movk_i32 s7, 0x80
	v_cmp_ne_u16_e32 vcc, s7, v18
	v_mov_b32_e32 v19, 0xffff8000
	s_and_saveexec_b64 s[8:9], vcc
	s_cbranch_execz .LBB840_412
; %bb.409:
	s_movk_i32 s7, 0x7f
	v_and_b32_e32 v21, 0x7f, v18
	v_cmp_ne_u32_e32 vcc, s7, v21
	v_mov_b32_e32 v19, 0x7f80
	s_and_saveexec_b64 s[10:11], vcc
	s_cbranch_execz .LBB840_411
; %bb.410:
	v_and_b32_e32 v22, 7, v18
	v_ffbh_u32_e32 v19, v22
	v_min_u32_e32 v24, 32, v19
	v_subrev_u32_e32 v19, 28, v24
	v_lshlrev_b64 v[18:19], v19, v[18:19]
	v_lshrrev_b32_e32 v23, 3, v21
	v_sub_u32_e32 v19, 29, v24
	v_and_b32_e32 v18, 7, v18
	v_cmp_gt_u32_e32 vcc, 8, v21
	v_cndmask_b32_e32 v19, v23, v19, vcc
	v_cndmask_b32_e32 v18, v22, v18, vcc
	v_lshlrev_b32_e32 v21, 16, v14
	v_bfrev_b32_e32 v22, 60
	v_lshlrev_b32_e32 v18, 20, v18
	v_and_b32_e32 v21, 0x80000000, v21
	v_lshl_add_u32 v19, v19, 23, v22
	v_or3_b32 v18, v21, v19, v18
	v_lshrrev_b32_e32 v19, 16, v18
.LBB840_411:
	s_or_b64 exec, exec, s[10:11]
.LBB840_412:
	s_or_b64 exec, exec, s[8:9]
.LBB840_413:
	s_or_b64 exec, exec, s[2:3]
	s_movk_i32 s2, 0xff
	v_and_b32_sdwa v23, v14, s2 dst_sel:DWORD dst_unused:UNUSED_PAD src0_sel:WORD_1 src1_sel:DWORD
	v_lshrrev_b32_e32 v18, 16, v14
	v_cmp_ne_u16_e32 vcc, 0, v23
	v_mov_b32_e32 v21, 0
	v_mov_b32_e32 v22, 0
	s_and_saveexec_b64 s[2:3], vcc
	s_cbranch_execz .LBB840_419
; %bb.414:
	s_movk_i32 s7, 0x80
	v_cmp_ne_u16_e32 vcc, s7, v23
	v_mov_b32_e32 v22, 0xffff8000
	s_and_saveexec_b64 s[8:9], vcc
	s_cbranch_execz .LBB840_418
; %bb.415:
	v_bfe_u32 v23, v14, 16, 7
	s_movk_i32 s7, 0x7f
	v_cmp_ne_u32_e32 vcc, s7, v23
	v_mov_b32_e32 v22, 0x7f80
	s_and_saveexec_b64 s[10:11], vcc
	s_cbranch_execz .LBB840_417
; %bb.416:
	v_and_b32_e32 v22, 7, v18
	v_ffbh_u32_e32 v24, v22
	v_min_u32_e32 v29, 32, v24
	v_subrev_u32_e32 v24, 28, v29
	v_lshlrev_b64 v[24:25], v24, v[18:19]
	v_lshrrev_b32_e32 v28, 3, v23
	v_sub_u32_e32 v18, 29, v29
	v_and_b32_e32 v24, 7, v24
	v_cmp_gt_u32_e32 vcc, 8, v23
	v_mov_b32_e32 v23, 24
	v_cndmask_b32_e32 v18, v28, v18, vcc
	v_cndmask_b32_e32 v22, v22, v24, vcc
	v_lshlrev_b32_sdwa v23, v23, v14 dst_sel:DWORD dst_unused:UNUSED_PAD src0_sel:DWORD src1_sel:WORD_1
	v_bfrev_b32_e32 v24, 60
	v_lshlrev_b32_e32 v22, 20, v22
	v_and_b32_e32 v23, 0x80000000, v23
	v_lshl_add_u32 v18, v18, 23, v24
	v_or3_b32 v18, v23, v18, v22
	v_lshrrev_b32_e32 v22, 16, v18
.LBB840_417:
	s_or_b64 exec, exec, s[10:11]
.LBB840_418:
	s_or_b64 exec, exec, s[8:9]
.LBB840_419:
	s_or_b64 exec, exec, s[2:3]
	s_mov_b32 s2, 0xffffff
	v_cmp_lt_u32_e32 vcc, s2, v14
	s_and_saveexec_b64 s[2:3], vcc
	s_cbranch_execz .LBB840_425
; %bb.420:
	v_lshrrev_b32_e32 v18, 24, v14
	s_movk_i32 s7, 0x80
	v_cmp_ne_u32_e32 vcc, s7, v18
	v_mov_b32_e32 v21, 0xffff8000
	s_and_saveexec_b64 s[8:9], vcc
	s_cbranch_execz .LBB840_424
; %bb.421:
	v_bfe_u32 v14, v14, 24, 7
	s_movk_i32 s7, 0x7f
	v_cmp_ne_u32_e32 vcc, s7, v14
	v_mov_b32_e32 v21, 0x7f80
	s_and_saveexec_b64 s[10:11], vcc
	s_cbranch_execz .LBB840_423
; %bb.422:
	v_and_b32_e32 v21, 7, v18
	v_ffbh_u32_e32 v24, v21
	v_min_u32_e32 v28, 32, v24
	v_subrev_u32_e32 v24, 28, v28
	v_lshlrev_b64 v[24:25], v24, v[18:19]
	v_lshrrev_b32_e32 v23, 3, v14
	v_sub_u32_e32 v25, 29, v28
	v_and_b32_e32 v24, 7, v24
	v_cmp_gt_u32_e32 vcc, 8, v14
	v_cndmask_b32_e32 v14, v23, v25, vcc
	v_cndmask_b32_e32 v21, v21, v24, vcc
	v_lshlrev_b32_e32 v18, 24, v18
	v_bfrev_b32_e32 v23, 60
	v_lshlrev_b32_e32 v21, 20, v21
	v_and_b32_e32 v18, 0x80000000, v18
	v_lshl_add_u32 v14, v14, 23, v23
	v_or3_b32 v14, v18, v14, v21
	v_lshrrev_b32_e32 v21, 16, v14
.LBB840_423:
	s_or_b64 exec, exec, s[10:11]
.LBB840_424:
	s_or_b64 exec, exec, s[8:9]
.LBB840_425:
	s_or_b64 exec, exec, s[2:3]
	v_mov_b32_e32 v18, 0
	v_cmp_ne_u16_sdwa s[8:9], v15, v18 src0_sel:BYTE_0 src1_sel:DWORD
	v_mov_b32_e32 v23, 0
	s_and_saveexec_b64 s[2:3], s[8:9]
	s_cbranch_execz .LBB840_431
; %bb.426:
	s_movk_i32 s7, 0x80
	v_cmp_ne_u16_sdwa s[10:11], v15, s7 src0_sel:BYTE_0 src1_sel:DWORD
	v_mov_b32_e32 v23, 0xffff8000
	s_and_saveexec_b64 s[8:9], s[10:11]
	s_cbranch_execz .LBB840_430
; %bb.427:
	s_movk_i32 s7, 0x7f
	v_and_b32_e32 v14, 0x7f, v15
	v_cmp_ne_u32_e32 vcc, s7, v14
	v_mov_b32_e32 v23, 0x7f80
	s_and_saveexec_b64 s[10:11], vcc
	s_cbranch_execz .LBB840_429
; %bb.428:
	v_and_b32_e32 v23, 7, v15
	v_ffbh_u32_e32 v25, v23
	v_min_u32_e32 v29, 32, v25
	v_mov_b32_e32 v24, v15
	v_subrev_u32_e32 v25, 28, v29
	v_lshlrev_b64 v[24:25], v25, v[24:25]
	v_lshrrev_b32_e32 v28, 3, v14
	v_sub_u32_e32 v25, 29, v29
	v_and_b32_e32 v24, 7, v24
	v_cmp_gt_u32_e32 vcc, 8, v14
	v_cndmask_b32_e32 v14, v28, v25, vcc
	v_cndmask_b32_e32 v23, v23, v24, vcc
	v_lshlrev_b32_e32 v24, 24, v15
	v_bfrev_b32_e32 v25, 60
	v_lshlrev_b32_e32 v23, 20, v23
	v_and_b32_e32 v24, 0x80000000, v24
	v_lshl_add_u32 v14, v14, 23, v25
	v_or3_b32 v14, v24, v14, v23
	v_lshrrev_b32_e32 v23, 16, v14
.LBB840_429:
	s_or_b64 exec, exec, s[10:11]
.LBB840_430:
	s_or_b64 exec, exec, s[8:9]
.LBB840_431:
	s_or_b64 exec, exec, s[2:3]
	v_lshrrev_b16_e32 v14, 8, v15
	v_cmp_ne_u16_e32 vcc, 0, v14
	s_and_saveexec_b64 s[2:3], vcc
	s_cbranch_execz .LBB840_437
; %bb.432:
	s_movk_i32 s7, 0x80
	v_cmp_ne_u16_e32 vcc, s7, v14
	v_mov_b32_e32 v18, 0xffff8000
	s_and_saveexec_b64 s[8:9], vcc
	s_cbranch_execz .LBB840_436
; %bb.433:
	s_movk_i32 s7, 0x7f
	v_and_b32_e32 v24, 0x7f, v14
	v_cmp_ne_u32_e32 vcc, s7, v24
	v_mov_b32_e32 v18, 0x7f80
	s_and_saveexec_b64 s[10:11], vcc
	s_cbranch_execz .LBB840_435
; %bb.434:
	v_and_b32_e32 v18, 7, v14
	v_ffbh_u32_e32 v28, v18
	v_min_u32_e32 v30, 32, v28
	v_subrev_u32_e32 v28, 28, v30
	v_lshlrev_b64 v[28:29], v28, v[14:15]
	v_lshrrev_b32_e32 v25, 3, v24
	v_sub_u32_e32 v14, 29, v30
	v_and_b32_e32 v28, 7, v28
	v_cmp_gt_u32_e32 vcc, 8, v24
	v_cndmask_b32_e32 v14, v25, v14, vcc
	v_cndmask_b32_e32 v18, v18, v28, vcc
	v_lshlrev_b32_e32 v24, 16, v15
	v_bfrev_b32_e32 v25, 60
	v_lshlrev_b32_e32 v18, 20, v18
	v_and_b32_e32 v24, 0x80000000, v24
	v_lshl_add_u32 v14, v14, 23, v25
	v_or3_b32 v14, v24, v14, v18
	v_lshrrev_b32_e32 v18, 16, v14
.LBB840_435:
	s_or_b64 exec, exec, s[10:11]
.LBB840_436:
	s_or_b64 exec, exec, s[8:9]
.LBB840_437:
	s_or_b64 exec, exec, s[2:3]
	s_movk_i32 s2, 0xff
	v_and_b32_sdwa v28, v15, s2 dst_sel:DWORD dst_unused:UNUSED_PAD src0_sel:WORD_1 src1_sel:DWORD
	v_lshrrev_b32_e32 v14, 16, v15
	v_cmp_ne_u16_e32 vcc, 0, v28
	v_mov_b32_e32 v24, 0
	v_mov_b32_e32 v25, 0
	s_and_saveexec_b64 s[2:3], vcc
	s_cbranch_execz .LBB840_443
; %bb.438:
	s_movk_i32 s7, 0x80
	v_cmp_ne_u16_e32 vcc, s7, v28
	v_mov_b32_e32 v25, 0xffff8000
	s_and_saveexec_b64 s[8:9], vcc
	s_cbranch_execz .LBB840_442
; %bb.439:
	v_bfe_u32 v28, v15, 16, 7
	s_movk_i32 s7, 0x7f
	v_cmp_ne_u32_e32 vcc, s7, v28
	v_mov_b32_e32 v25, 0x7f80
	s_and_saveexec_b64 s[10:11], vcc
	s_cbranch_execz .LBB840_441
; %bb.440:
	v_and_b32_e32 v25, 7, v14
	v_ffbh_u32_e32 v30, v25
	v_min_u32_e32 v32, 32, v30
	v_subrev_u32_e32 v30, 28, v32
	v_lshlrev_b64 v[30:31], v30, v[14:15]
	v_lshrrev_b32_e32 v29, 3, v28
	v_sub_u32_e32 v14, 29, v32
	v_and_b32_e32 v30, 7, v30
	v_cmp_gt_u32_e32 vcc, 8, v28
	v_mov_b32_e32 v28, 24
	v_cndmask_b32_e32 v14, v29, v14, vcc
	v_cndmask_b32_e32 v25, v25, v30, vcc
	v_lshlrev_b32_sdwa v28, v28, v15 dst_sel:DWORD dst_unused:UNUSED_PAD src0_sel:DWORD src1_sel:WORD_1
	v_bfrev_b32_e32 v29, 60
	v_lshlrev_b32_e32 v25, 20, v25
	v_and_b32_e32 v28, 0x80000000, v28
	v_lshl_add_u32 v14, v14, 23, v29
	v_or3_b32 v14, v28, v14, v25
	v_lshrrev_b32_e32 v25, 16, v14
.LBB840_441:
	s_or_b64 exec, exec, s[10:11]
.LBB840_442:
	s_or_b64 exec, exec, s[8:9]
.LBB840_443:
	s_or_b64 exec, exec, s[2:3]
	s_mov_b32 s2, 0xffffff
	v_cmp_lt_u32_e32 vcc, s2, v15
	s_and_saveexec_b64 s[2:3], vcc
	s_cbranch_execz .LBB840_449
; %bb.444:
	v_lshrrev_b32_e32 v14, 24, v15
	s_movk_i32 s7, 0x80
	v_cmp_ne_u32_e32 vcc, s7, v14
	v_mov_b32_e32 v24, 0xffff8000
	s_and_saveexec_b64 s[8:9], vcc
	s_cbranch_execz .LBB840_448
; %bb.445:
	v_bfe_u32 v15, v15, 24, 7
	s_movk_i32 s7, 0x7f
	v_cmp_ne_u32_e32 vcc, s7, v15
	v_mov_b32_e32 v24, 0x7f80
	s_and_saveexec_b64 s[10:11], vcc
	s_cbranch_execz .LBB840_447
; %bb.446:
	v_and_b32_e32 v24, 7, v14
	v_ffbh_u32_e32 v28, v24
	v_min_u32_e32 v31, 32, v28
	v_subrev_u32_e32 v28, 28, v31
	v_lshlrev_b64 v[28:29], v28, v[14:15]
	v_lshrrev_b32_e32 v30, 3, v15
	v_sub_u32_e32 v29, 29, v31
	v_and_b32_e32 v28, 7, v28
	v_cmp_gt_u32_e32 vcc, 8, v15
	v_cndmask_b32_e32 v15, v30, v29, vcc
	v_cndmask_b32_e32 v24, v24, v28, vcc
	v_lshlrev_b32_e32 v14, 24, v14
	v_bfrev_b32_e32 v28, 60
	v_lshlrev_b32_e32 v24, 20, v24
	v_and_b32_e32 v14, 0x80000000, v14
	v_lshl_add_u32 v15, v15, 23, v28
	v_or3_b32 v14, v14, v15, v24
	v_lshrrev_b32_e32 v24, 16, v14
.LBB840_447:
	s_or_b64 exec, exec, s[10:11]
.LBB840_448:
	s_or_b64 exec, exec, s[8:9]
.LBB840_449:
	s_or_b64 exec, exec, s[2:3]
	s_mov_b32 s2, 0x5040100
	v_perm_b32 v15, v21, v22, s2
	v_lshl_or_b32 v22, v1, 9, v27
	v_perm_b32 v14, v19, v20, s2
	ds_read_b128 v[28:31], v22
	v_perm_b32 v19, v24, v25, s2
	v_perm_b32 v18, v18, v23, s2
	s_waitcnt lgkmcnt(0)
	v_mfma_f32_16x16x16bf16_1k v[32:35], v[14:15], v[28:29], 0
	v_mov_b32_e32 v15, 0
	v_cmp_ne_u16_sdwa s[8:9], v16, v15 src0_sel:BYTE_0 src1_sel:DWORD
	v_mov_b32_e32 v23, 0
	v_mfma_f32_16x16x16bf16_1k v[18:21], v[18:19], v[30:31], v[32:35]
	s_and_saveexec_b64 s[2:3], s[8:9]
	s_cbranch_execz .LBB840_455
; %bb.450:
	s_movk_i32 s7, 0x80
	v_cmp_ne_u16_sdwa s[10:11], v16, s7 src0_sel:BYTE_0 src1_sel:DWORD
	v_mov_b32_e32 v23, 0xffff8000
	s_and_saveexec_b64 s[8:9], s[10:11]
	s_cbranch_execz .LBB840_454
; %bb.451:
	s_movk_i32 s7, 0x7f
	v_and_b32_e32 v14, 0x7f, v16
	v_cmp_ne_u32_e32 vcc, s7, v14
	v_mov_b32_e32 v23, 0x7f80
	s_and_saveexec_b64 s[10:11], vcc
	s_cbranch_execz .LBB840_453
; %bb.452:
	v_and_b32_e32 v23, 7, v16
	v_ffbh_u32_e32 v24, v23
	v_min_u32_e32 v28, 32, v24
	v_subrev_u32_e32 v24, 28, v28
	v_lshlrev_b64 v[24:25], v24, v[16:17]
	v_lshrrev_b32_e32 v27, 3, v14
	v_sub_u32_e32 v25, 29, v28
	v_and_b32_e32 v24, 7, v24
	v_cmp_gt_u32_e32 vcc, 8, v14
	v_cndmask_b32_e32 v14, v27, v25, vcc
	v_cndmask_b32_e32 v23, v23, v24, vcc
	v_lshlrev_b32_e32 v24, 24, v16
	v_bfrev_b32_e32 v25, 60
	v_lshlrev_b32_e32 v23, 20, v23
	v_and_b32_e32 v24, 0x80000000, v24
	v_lshl_add_u32 v14, v14, 23, v25
	v_or3_b32 v14, v24, v14, v23
	v_lshrrev_b32_e32 v23, 16, v14
.LBB840_453:
	s_or_b64 exec, exec, s[10:11]
.LBB840_454:
	s_or_b64 exec, exec, s[8:9]
.LBB840_455:
	s_or_b64 exec, exec, s[2:3]
	v_lshrrev_b16_e32 v14, 8, v16
	v_cmp_ne_u16_e32 vcc, 0, v14
	s_and_saveexec_b64 s[2:3], vcc
	s_cbranch_execz .LBB840_461
; %bb.456:
	s_movk_i32 s7, 0x80
	v_cmp_ne_u16_e32 vcc, s7, v14
	v_mov_b32_e32 v15, 0xffff8000
	s_and_saveexec_b64 s[8:9], vcc
	s_cbranch_execz .LBB840_460
; %bb.457:
	s_movk_i32 s7, 0x7f
	v_and_b32_e32 v24, 0x7f, v14
	v_cmp_ne_u32_e32 vcc, s7, v24
	v_mov_b32_e32 v15, 0x7f80
	s_and_saveexec_b64 s[10:11], vcc
	s_cbranch_execz .LBB840_459
; %bb.458:
	v_and_b32_e32 v25, 7, v14
	v_ffbh_u32_e32 v15, v25
	v_min_u32_e32 v28, 32, v15
	v_subrev_u32_e32 v15, 28, v28
	v_lshlrev_b64 v[14:15], v15, v[14:15]
	v_lshrrev_b32_e32 v27, 3, v24
	v_sub_u32_e32 v15, 29, v28
	v_and_b32_e32 v14, 7, v14
	v_cmp_gt_u32_e32 vcc, 8, v24
	v_cndmask_b32_e32 v15, v27, v15, vcc
	v_cndmask_b32_e32 v14, v25, v14, vcc
	v_lshlrev_b32_e32 v24, 16, v16
	v_bfrev_b32_e32 v25, 60
	v_lshlrev_b32_e32 v14, 20, v14
	v_and_b32_e32 v24, 0x80000000, v24
	v_lshl_add_u32 v15, v15, 23, v25
	v_or3_b32 v14, v24, v15, v14
	v_lshrrev_b32_e32 v15, 16, v14
.LBB840_459:
	s_or_b64 exec, exec, s[10:11]
.LBB840_460:
	s_or_b64 exec, exec, s[8:9]
.LBB840_461:
	s_or_b64 exec, exec, s[2:3]
	s_movk_i32 s2, 0xff
	v_and_b32_sdwa v27, v16, s2 dst_sel:DWORD dst_unused:UNUSED_PAD src0_sel:WORD_1 src1_sel:DWORD
	v_lshrrev_b32_e32 v14, 16, v16
	v_cmp_ne_u16_e32 vcc, 0, v27
	v_mov_b32_e32 v24, 0
	v_mov_b32_e32 v25, 0
	s_and_saveexec_b64 s[2:3], vcc
	s_cbranch_execz .LBB840_467
; %bb.462:
	s_movk_i32 s7, 0x80
	v_cmp_ne_u16_e32 vcc, s7, v27
	v_mov_b32_e32 v25, 0xffff8000
	s_and_saveexec_b64 s[8:9], vcc
	s_cbranch_execz .LBB840_466
; %bb.463:
	v_bfe_u32 v27, v16, 16, 7
	s_movk_i32 s7, 0x7f
	v_cmp_ne_u32_e32 vcc, s7, v27
	v_mov_b32_e32 v25, 0x7f80
	s_and_saveexec_b64 s[10:11], vcc
	s_cbranch_execz .LBB840_465
; %bb.464:
	v_and_b32_e32 v25, 7, v14
	v_ffbh_u32_e32 v28, v25
	v_min_u32_e32 v31, 32, v28
	v_subrev_u32_e32 v28, 28, v31
	v_lshlrev_b64 v[28:29], v28, v[14:15]
	v_lshrrev_b32_e32 v30, 3, v27
	v_sub_u32_e32 v14, 29, v31
	v_and_b32_e32 v28, 7, v28
	v_cmp_gt_u32_e32 vcc, 8, v27
	v_mov_b32_e32 v27, 24
	v_cndmask_b32_e32 v14, v30, v14, vcc
	v_cndmask_b32_e32 v25, v25, v28, vcc
	v_lshlrev_b32_sdwa v27, v27, v16 dst_sel:DWORD dst_unused:UNUSED_PAD src0_sel:DWORD src1_sel:WORD_1
	v_bfrev_b32_e32 v28, 60
	v_lshlrev_b32_e32 v25, 20, v25
	v_and_b32_e32 v27, 0x80000000, v27
	v_lshl_add_u32 v14, v14, 23, v28
	v_or3_b32 v14, v27, v14, v25
	v_lshrrev_b32_e32 v25, 16, v14
.LBB840_465:
	s_or_b64 exec, exec, s[10:11]
.LBB840_466:
	s_or_b64 exec, exec, s[8:9]
.LBB840_467:
	s_or_b64 exec, exec, s[2:3]
	s_mov_b32 s2, 0xffffff
	v_cmp_lt_u32_e32 vcc, s2, v16
	s_and_saveexec_b64 s[2:3], vcc
	s_cbranch_execz .LBB840_473
; %bb.468:
	v_lshrrev_b32_e32 v14, 24, v16
	s_movk_i32 s7, 0x80
	v_cmp_ne_u32_e32 vcc, s7, v14
	v_mov_b32_e32 v24, 0xffff8000
	s_and_saveexec_b64 s[8:9], vcc
	s_cbranch_execz .LBB840_472
; %bb.469:
	v_bfe_u32 v16, v16, 24, 7
	s_movk_i32 s7, 0x7f
	v_cmp_ne_u32_e32 vcc, s7, v16
	v_mov_b32_e32 v24, 0x7f80
	s_and_saveexec_b64 s[10:11], vcc
	s_cbranch_execz .LBB840_471
; %bb.470:
	v_and_b32_e32 v24, 7, v14
	v_ffbh_u32_e32 v28, v24
	v_min_u32_e32 v30, 32, v28
	v_subrev_u32_e32 v28, 28, v30
	v_lshlrev_b64 v[28:29], v28, v[14:15]
	v_lshrrev_b32_e32 v27, 3, v16
	v_sub_u32_e32 v29, 29, v30
	v_and_b32_e32 v28, 7, v28
	v_cmp_gt_u32_e32 vcc, 8, v16
	v_cndmask_b32_e32 v16, v27, v29, vcc
	v_cndmask_b32_e32 v24, v24, v28, vcc
	v_lshlrev_b32_e32 v14, 24, v14
	v_bfrev_b32_e32 v27, 60
	v_lshlrev_b32_e32 v24, 20, v24
	v_and_b32_e32 v14, 0x80000000, v14
	v_lshl_add_u32 v16, v16, 23, v27
	v_or3_b32 v14, v14, v16, v24
	v_lshrrev_b32_e32 v24, 16, v14
.LBB840_471:
	s_or_b64 exec, exec, s[10:11]
.LBB840_472:
	s_or_b64 exec, exec, s[8:9]
.LBB840_473:
	s_or_b64 exec, exec, s[2:3]
	v_mov_b32_e32 v16, 0
	v_cmp_ne_u16_sdwa s[8:9], v17, v16 src0_sel:BYTE_0 src1_sel:DWORD
	v_mov_b32_e32 v27, 0
	s_and_saveexec_b64 s[2:3], s[8:9]
	s_cbranch_execz .LBB840_479
; %bb.474:
	s_movk_i32 s7, 0x80
	v_cmp_ne_u16_sdwa s[10:11], v17, s7 src0_sel:BYTE_0 src1_sel:DWORD
	v_mov_b32_e32 v27, 0xffff8000
	s_and_saveexec_b64 s[8:9], s[10:11]
	s_cbranch_execz .LBB840_478
; %bb.475:
	s_movk_i32 s7, 0x7f
	v_and_b32_e32 v14, 0x7f, v17
	v_cmp_ne_u32_e32 vcc, s7, v14
	v_mov_b32_e32 v27, 0x7f80
	s_and_saveexec_b64 s[10:11], vcc
	s_cbranch_execz .LBB840_477
; %bb.476:
	v_and_b32_e32 v27, 7, v17
	v_ffbh_u32_e32 v29, v27
	v_min_u32_e32 v31, 32, v29
	v_mov_b32_e32 v28, v17
	v_subrev_u32_e32 v29, 28, v31
	v_lshlrev_b64 v[28:29], v29, v[28:29]
	v_lshrrev_b32_e32 v30, 3, v14
	v_sub_u32_e32 v29, 29, v31
	v_and_b32_e32 v28, 7, v28
	v_cmp_gt_u32_e32 vcc, 8, v14
	v_cndmask_b32_e32 v14, v30, v29, vcc
	v_cndmask_b32_e32 v27, v27, v28, vcc
	v_lshlrev_b32_e32 v28, 24, v17
	v_bfrev_b32_e32 v29, 60
	v_lshlrev_b32_e32 v27, 20, v27
	v_and_b32_e32 v28, 0x80000000, v28
	v_lshl_add_u32 v14, v14, 23, v29
	v_or3_b32 v14, v28, v14, v27
	v_lshrrev_b32_e32 v27, 16, v14
.LBB840_477:
	s_or_b64 exec, exec, s[10:11]
.LBB840_478:
	s_or_b64 exec, exec, s[8:9]
.LBB840_479:
	s_or_b64 exec, exec, s[2:3]
	v_lshrrev_b16_e32 v14, 8, v17
	v_cmp_ne_u16_e32 vcc, 0, v14
	s_and_saveexec_b64 s[2:3], vcc
	s_cbranch_execz .LBB840_485
; %bb.480:
	s_movk_i32 s7, 0x80
	v_cmp_ne_u16_e32 vcc, s7, v14
	v_mov_b32_e32 v16, 0xffff8000
	s_and_saveexec_b64 s[8:9], vcc
	s_cbranch_execz .LBB840_484
; %bb.481:
	s_movk_i32 s7, 0x7f
	v_and_b32_e32 v28, 0x7f, v14
	v_cmp_ne_u32_e32 vcc, s7, v28
	v_mov_b32_e32 v16, 0x7f80
	s_and_saveexec_b64 s[10:11], vcc
	s_cbranch_execz .LBB840_483
; %bb.482:
	v_and_b32_e32 v16, 7, v14
	v_ffbh_u32_e32 v30, v16
	v_min_u32_e32 v32, 32, v30
	v_subrev_u32_e32 v30, 28, v32
	v_lshlrev_b64 v[30:31], v30, v[14:15]
	v_lshrrev_b32_e32 v29, 3, v28
	v_sub_u32_e32 v14, 29, v32
	v_and_b32_e32 v30, 7, v30
	v_cmp_gt_u32_e32 vcc, 8, v28
	v_cndmask_b32_e32 v14, v29, v14, vcc
	v_cndmask_b32_e32 v16, v16, v30, vcc
	v_lshlrev_b32_e32 v28, 16, v17
	v_bfrev_b32_e32 v29, 60
	v_lshlrev_b32_e32 v16, 20, v16
	v_and_b32_e32 v28, 0x80000000, v28
	v_lshl_add_u32 v14, v14, 23, v29
	v_or3_b32 v14, v28, v14, v16
	v_lshrrev_b32_e32 v16, 16, v14
.LBB840_483:
	s_or_b64 exec, exec, s[10:11]
.LBB840_484:
	s_or_b64 exec, exec, s[8:9]
.LBB840_485:
	s_or_b64 exec, exec, s[2:3]
	s_movk_i32 s2, 0xff
	v_and_b32_sdwa v30, v17, s2 dst_sel:DWORD dst_unused:UNUSED_PAD src0_sel:WORD_1 src1_sel:DWORD
	v_lshrrev_b32_e32 v14, 16, v17
	v_cmp_ne_u16_e32 vcc, 0, v30
	v_mov_b32_e32 v28, 0
	v_mov_b32_e32 v29, 0
	s_and_saveexec_b64 s[2:3], vcc
	s_cbranch_execz .LBB840_491
; %bb.486:
	s_movk_i32 s7, 0x80
	v_cmp_ne_u16_e32 vcc, s7, v30
	v_mov_b32_e32 v29, 0xffff8000
	s_and_saveexec_b64 s[8:9], vcc
	s_cbranch_execz .LBB840_490
; %bb.487:
	v_bfe_u32 v30, v17, 16, 7
	s_movk_i32 s7, 0x7f
	v_cmp_ne_u32_e32 vcc, s7, v30
	v_mov_b32_e32 v29, 0x7f80
	s_and_saveexec_b64 s[10:11], vcc
	s_cbranch_execz .LBB840_489
; %bb.488:
	v_and_b32_e32 v29, 7, v14
	v_ffbh_u32_e32 v32, v29
	v_min_u32_e32 v34, 32, v32
	v_subrev_u32_e32 v32, 28, v34
	v_lshlrev_b64 v[32:33], v32, v[14:15]
	v_lshrrev_b32_e32 v31, 3, v30
	v_sub_u32_e32 v14, 29, v34
	v_and_b32_e32 v32, 7, v32
	v_cmp_gt_u32_e32 vcc, 8, v30
	v_mov_b32_e32 v30, 24
	v_cndmask_b32_e32 v14, v31, v14, vcc
	v_cndmask_b32_e32 v29, v29, v32, vcc
	v_lshlrev_b32_sdwa v30, v30, v17 dst_sel:DWORD dst_unused:UNUSED_PAD src0_sel:DWORD src1_sel:WORD_1
	v_bfrev_b32_e32 v31, 60
	v_lshlrev_b32_e32 v29, 20, v29
	v_and_b32_e32 v30, 0x80000000, v30
	v_lshl_add_u32 v14, v14, 23, v31
	v_or3_b32 v14, v30, v14, v29
	v_lshrrev_b32_e32 v29, 16, v14
.LBB840_489:
	s_or_b64 exec, exec, s[10:11]
.LBB840_490:
	s_or_b64 exec, exec, s[8:9]
.LBB840_491:
	s_or_b64 exec, exec, s[2:3]
	s_mov_b32 s2, 0xffffff
	v_cmp_lt_u32_e32 vcc, s2, v17
	s_and_saveexec_b64 s[2:3], vcc
	s_cbranch_execz .LBB840_497
; %bb.492:
	v_lshrrev_b32_e32 v14, 24, v17
	s_movk_i32 s7, 0x80
	v_cmp_ne_u32_e32 vcc, s7, v14
	v_mov_b32_e32 v28, 0xffff8000
	s_and_saveexec_b64 s[8:9], vcc
	s_cbranch_execz .LBB840_496
; %bb.493:
	v_bfe_u32 v17, v17, 24, 7
	s_movk_i32 s7, 0x7f
	v_cmp_ne_u32_e32 vcc, s7, v17
	v_mov_b32_e32 v28, 0x7f80
	s_and_saveexec_b64 s[10:11], vcc
	s_cbranch_execz .LBB840_495
; %bb.494:
	v_and_b32_e32 v28, 7, v14
	v_ffbh_u32_e32 v30, v28
	v_min_u32_e32 v33, 32, v30
	v_subrev_u32_e32 v30, 28, v33
	v_lshlrev_b64 v[30:31], v30, v[14:15]
	v_lshrrev_b32_e32 v32, 3, v17
	v_sub_u32_e32 v31, 29, v33
	v_and_b32_e32 v30, 7, v30
	v_cmp_gt_u32_e32 vcc, 8, v17
	v_cndmask_b32_e32 v17, v32, v31, vcc
	v_cndmask_b32_e32 v28, v28, v30, vcc
	v_lshlrev_b32_e32 v14, 24, v14
	v_bfrev_b32_e32 v30, 60
	v_lshlrev_b32_e32 v28, 20, v28
	v_and_b32_e32 v14, 0x80000000, v14
	v_lshl_add_u32 v17, v17, 23, v30
	v_or3_b32 v14, v14, v17, v28
	v_lshrrev_b32_e32 v28, 16, v14
.LBB840_495:
	s_or_b64 exec, exec, s[10:11]
.LBB840_496:
	s_or_b64 exec, exec, s[8:9]
.LBB840_497:
	s_or_b64 exec, exec, s[2:3]
	s_mov_b32 s2, 0x5040100
	v_perm_b32 v25, v24, v25, s2
	v_perm_b32 v24, v15, v23, s2
	ds_read_b128 v[30:33], v22 offset:16
	v_perm_b32 v15, v28, v29, s2
	v_perm_b32 v14, v16, v27, s2
	s_waitcnt lgkmcnt(0)
	v_mfma_f32_16x16x16bf16_1k v[34:37], v[24:25], v[30:31], v[18:21]
	s_nop 6
	v_mov_b32_e32 v19, 0
	s_waitcnt vmcnt(2)
	v_cmp_ne_u16_sdwa s[8:9], v10, v19 src0_sel:BYTE_0 src1_sel:DWORD
	v_mfma_f32_16x16x16bf16_1k v[14:17], v[14:15], v[32:33], v[34:37]
	v_mov_b32_e32 v20, 0
	s_and_saveexec_b64 s[2:3], s[8:9]
	s_cbranch_execz .LBB840_503
; %bb.498:
	s_movk_i32 s7, 0x80
	v_cmp_ne_u16_sdwa s[10:11], v10, s7 src0_sel:BYTE_0 src1_sel:DWORD
	v_mov_b32_e32 v20, 0xffff8000
	s_and_saveexec_b64 s[8:9], s[10:11]
	s_cbranch_execz .LBB840_502
; %bb.499:
	s_movk_i32 s7, 0x7f
	v_and_b32_e32 v18, 0x7f, v10
	v_cmp_ne_u32_e32 vcc, s7, v18
	v_mov_b32_e32 v20, 0x7f80
	s_and_saveexec_b64 s[10:11], vcc
	s_cbranch_execz .LBB840_501
; %bb.500:
	v_and_b32_e32 v23, 7, v10
	v_ffbh_u32_e32 v20, v23
	v_min_u32_e32 v25, 32, v20
	v_subrev_u32_e32 v20, 28, v25
	v_lshlrev_b64 v[20:21], v20, v[10:11]
	v_lshrrev_b32_e32 v24, 3, v18
	v_sub_u32_e32 v21, 29, v25
	v_and_b32_e32 v20, 7, v20
	v_cmp_gt_u32_e32 vcc, 8, v18
	v_cndmask_b32_e32 v18, v24, v21, vcc
	v_cndmask_b32_e32 v20, v23, v20, vcc
	v_lshlrev_b32_e32 v21, 24, v10
	v_bfrev_b32_e32 v23, 60
	v_lshlrev_b32_e32 v20, 20, v20
	v_and_b32_e32 v21, 0x80000000, v21
	v_lshl_add_u32 v18, v18, 23, v23
	v_or3_b32 v18, v21, v18, v20
	v_lshrrev_b32_e32 v20, 16, v18
.LBB840_501:
	s_or_b64 exec, exec, s[10:11]
.LBB840_502:
	s_or_b64 exec, exec, s[8:9]
.LBB840_503:
	s_or_b64 exec, exec, s[2:3]
	v_lshrrev_b16_e32 v18, 8, v10
	v_cmp_ne_u16_e32 vcc, 0, v18
	s_and_saveexec_b64 s[2:3], vcc
	s_cbranch_execz .LBB840_509
; %bb.504:
	s_movk_i32 s7, 0x80
	v_cmp_ne_u16_e32 vcc, s7, v18
	v_mov_b32_e32 v19, 0xffff8000
	s_and_saveexec_b64 s[8:9], vcc
	s_cbranch_execz .LBB840_508
; %bb.505:
	s_movk_i32 s7, 0x7f
	v_and_b32_e32 v21, 0x7f, v18
	v_cmp_ne_u32_e32 vcc, s7, v21
	v_mov_b32_e32 v19, 0x7f80
	s_and_saveexec_b64 s[10:11], vcc
	s_cbranch_execz .LBB840_507
; %bb.506:
	v_and_b32_e32 v23, 7, v18
	v_ffbh_u32_e32 v19, v23
	v_min_u32_e32 v25, 32, v19
	v_subrev_u32_e32 v19, 28, v25
	v_lshlrev_b64 v[18:19], v19, v[18:19]
	v_lshrrev_b32_e32 v24, 3, v21
	v_sub_u32_e32 v19, 29, v25
	v_and_b32_e32 v18, 7, v18
	v_cmp_gt_u32_e32 vcc, 8, v21
	v_cndmask_b32_e32 v19, v24, v19, vcc
	v_cndmask_b32_e32 v18, v23, v18, vcc
	v_lshlrev_b32_e32 v21, 16, v10
	v_bfrev_b32_e32 v23, 60
	v_lshlrev_b32_e32 v18, 20, v18
	v_and_b32_e32 v21, 0x80000000, v21
	v_lshl_add_u32 v19, v19, 23, v23
	v_or3_b32 v18, v21, v19, v18
	v_lshrrev_b32_e32 v19, 16, v18
.LBB840_507:
	s_or_b64 exec, exec, s[10:11]
.LBB840_508:
	s_or_b64 exec, exec, s[8:9]
.LBB840_509:
	s_or_b64 exec, exec, s[2:3]
	s_movk_i32 s2, 0xff
	v_and_b32_sdwa v24, v10, s2 dst_sel:DWORD dst_unused:UNUSED_PAD src0_sel:WORD_1 src1_sel:DWORD
	v_lshrrev_b32_e32 v18, 16, v10
	v_cmp_ne_u16_e32 vcc, 0, v24
	v_mov_b32_e32 v21, 0
	v_mov_b32_e32 v23, 0
	s_and_saveexec_b64 s[2:3], vcc
	s_cbranch_execz .LBB840_515
; %bb.510:
	s_movk_i32 s7, 0x80
	v_cmp_ne_u16_e32 vcc, s7, v24
	v_mov_b32_e32 v23, 0xffff8000
	s_and_saveexec_b64 s[8:9], vcc
	s_cbranch_execz .LBB840_514
; %bb.511:
	v_bfe_u32 v24, v10, 16, 7
	s_movk_i32 s7, 0x7f
	v_cmp_ne_u32_e32 vcc, s7, v24
	v_mov_b32_e32 v23, 0x7f80
	s_and_saveexec_b64 s[10:11], vcc
	s_cbranch_execz .LBB840_513
; %bb.512:
	v_and_b32_e32 v23, 7, v18
	v_ffbh_u32_e32 v27, v23
	v_min_u32_e32 v27, 32, v27
	v_subrev_u32_e32 v28, 28, v27
	v_lshlrev_b64 v[28:29], v28, v[18:19]
	v_lshrrev_b32_e32 v25, 3, v24
	v_sub_u32_e32 v18, 29, v27
	v_and_b32_e32 v27, 7, v28
	v_cmp_gt_u32_e32 vcc, 8, v24
	v_mov_b32_e32 v24, 24
	v_cndmask_b32_e32 v18, v25, v18, vcc
	v_cndmask_b32_e32 v23, v23, v27, vcc
	v_lshlrev_b32_sdwa v24, v24, v10 dst_sel:DWORD dst_unused:UNUSED_PAD src0_sel:DWORD src1_sel:WORD_1
	v_bfrev_b32_e32 v25, 60
	v_lshlrev_b32_e32 v23, 20, v23
	v_and_b32_e32 v24, 0x80000000, v24
	v_lshl_add_u32 v18, v18, 23, v25
	v_or3_b32 v18, v24, v18, v23
	v_lshrrev_b32_e32 v23, 16, v18
.LBB840_513:
	s_or_b64 exec, exec, s[10:11]
.LBB840_514:
	s_or_b64 exec, exec, s[8:9]
.LBB840_515:
	s_or_b64 exec, exec, s[2:3]
	s_mov_b32 s2, 0xffffff
	v_cmp_lt_u32_e32 vcc, s2, v10
	s_and_saveexec_b64 s[2:3], vcc
	s_cbranch_execz .LBB840_521
; %bb.516:
	v_lshrrev_b32_e32 v18, 24, v10
	s_movk_i32 s7, 0x80
	v_cmp_ne_u32_e32 vcc, s7, v18
	v_mov_b32_e32 v21, 0xffff8000
	s_and_saveexec_b64 s[8:9], vcc
	s_cbranch_execz .LBB840_520
; %bb.517:
	v_bfe_u32 v10, v10, 24, 7
	s_movk_i32 s7, 0x7f
	v_cmp_ne_u32_e32 vcc, s7, v10
	v_mov_b32_e32 v21, 0x7f80
	s_and_saveexec_b64 s[10:11], vcc
	s_cbranch_execz .LBB840_519
; %bb.518:
	v_and_b32_e32 v21, 7, v18
	v_ffbh_u32_e32 v24, v21
	v_min_u32_e32 v28, 32, v24
	v_subrev_u32_e32 v24, 28, v28
	v_lshlrev_b64 v[24:25], v24, v[18:19]
	v_lshrrev_b32_e32 v27, 3, v10
	v_sub_u32_e32 v25, 29, v28
	v_and_b32_e32 v24, 7, v24
	v_cmp_gt_u32_e32 vcc, 8, v10
	v_cndmask_b32_e32 v10, v27, v25, vcc
	v_cndmask_b32_e32 v21, v21, v24, vcc
	v_lshlrev_b32_e32 v18, 24, v18
	v_bfrev_b32_e32 v24, 60
	v_lshlrev_b32_e32 v21, 20, v21
	v_and_b32_e32 v18, 0x80000000, v18
	v_lshl_add_u32 v10, v10, 23, v24
	v_or3_b32 v10, v18, v10, v21
	v_lshrrev_b32_e32 v21, 16, v10
.LBB840_519:
	s_or_b64 exec, exec, s[10:11]
.LBB840_520:
	s_or_b64 exec, exec, s[8:9]
.LBB840_521:
	s_or_b64 exec, exec, s[2:3]
	v_mov_b32_e32 v18, 0
	v_cmp_ne_u16_sdwa s[8:9], v11, v18 src0_sel:BYTE_0 src1_sel:DWORD
	v_mov_b32_e32 v24, 0
	s_and_saveexec_b64 s[2:3], s[8:9]
	s_cbranch_execz .LBB840_527
; %bb.522:
	s_movk_i32 s7, 0x80
	v_cmp_ne_u16_sdwa s[10:11], v11, s7 src0_sel:BYTE_0 src1_sel:DWORD
	v_mov_b32_e32 v24, 0xffff8000
	s_and_saveexec_b64 s[8:9], s[10:11]
	s_cbranch_execz .LBB840_526
; %bb.523:
	s_movk_i32 s7, 0x7f
	v_and_b32_e32 v10, 0x7f, v11
	v_cmp_ne_u32_e32 vcc, s7, v10
	v_mov_b32_e32 v24, 0x7f80
	s_and_saveexec_b64 s[10:11], vcc
	s_cbranch_execz .LBB840_525
; %bb.524:
	v_and_b32_e32 v27, 7, v11
	v_ffbh_u32_e32 v25, v27
	v_min_u32_e32 v29, 32, v25
	v_mov_b32_e32 v24, v11
	v_subrev_u32_e32 v25, 28, v29
	v_lshlrev_b64 v[24:25], v25, v[24:25]
	v_lshrrev_b32_e32 v28, 3, v10
	v_sub_u32_e32 v25, 29, v29
	v_and_b32_e32 v24, 7, v24
	v_cmp_gt_u32_e32 vcc, 8, v10
	v_cndmask_b32_e32 v10, v28, v25, vcc
	v_cndmask_b32_e32 v24, v27, v24, vcc
	v_lshlrev_b32_e32 v25, 24, v11
	v_bfrev_b32_e32 v27, 60
	v_lshlrev_b32_e32 v24, 20, v24
	v_and_b32_e32 v25, 0x80000000, v25
	v_lshl_add_u32 v10, v10, 23, v27
	v_or3_b32 v10, v25, v10, v24
	v_lshrrev_b32_e32 v24, 16, v10
.LBB840_525:
	s_or_b64 exec, exec, s[10:11]
.LBB840_526:
	s_or_b64 exec, exec, s[8:9]
.LBB840_527:
	s_or_b64 exec, exec, s[2:3]
	v_lshrrev_b16_e32 v10, 8, v11
	v_cmp_ne_u16_e32 vcc, 0, v10
	s_and_saveexec_b64 s[2:3], vcc
	s_cbranch_execz .LBB840_533
; %bb.528:
	s_movk_i32 s7, 0x80
	v_cmp_ne_u16_e32 vcc, s7, v10
	v_mov_b32_e32 v18, 0xffff8000
	s_and_saveexec_b64 s[8:9], vcc
	s_cbranch_execz .LBB840_532
; %bb.529:
	s_movk_i32 s7, 0x7f
	v_and_b32_e32 v25, 0x7f, v10
	v_cmp_ne_u32_e32 vcc, s7, v25
	v_mov_b32_e32 v18, 0x7f80
	s_and_saveexec_b64 s[10:11], vcc
	s_cbranch_execz .LBB840_531
; %bb.530:
	v_and_b32_e32 v18, 7, v10
	v_ffbh_u32_e32 v28, v18
	v_min_u32_e32 v30, 32, v28
	v_subrev_u32_e32 v28, 28, v30
	v_lshlrev_b64 v[28:29], v28, v[10:11]
	v_lshrrev_b32_e32 v27, 3, v25
	v_sub_u32_e32 v10, 29, v30
	v_and_b32_e32 v28, 7, v28
	v_cmp_gt_u32_e32 vcc, 8, v25
	v_cndmask_b32_e32 v10, v27, v10, vcc
	v_cndmask_b32_e32 v18, v18, v28, vcc
	v_lshlrev_b32_e32 v25, 16, v11
	v_bfrev_b32_e32 v27, 60
	v_lshlrev_b32_e32 v18, 20, v18
	v_and_b32_e32 v25, 0x80000000, v25
	v_lshl_add_u32 v10, v10, 23, v27
	v_or3_b32 v10, v25, v10, v18
	v_lshrrev_b32_e32 v18, 16, v10
.LBB840_531:
	s_or_b64 exec, exec, s[10:11]
.LBB840_532:
	s_or_b64 exec, exec, s[8:9]
.LBB840_533:
	s_or_b64 exec, exec, s[2:3]
	s_movk_i32 s2, 0xff
	v_and_b32_sdwa v28, v11, s2 dst_sel:DWORD dst_unused:UNUSED_PAD src0_sel:WORD_1 src1_sel:DWORD
	v_lshrrev_b32_e32 v10, 16, v11
	v_cmp_ne_u16_e32 vcc, 0, v28
	v_mov_b32_e32 v25, 0
	v_mov_b32_e32 v27, 0
	s_and_saveexec_b64 s[2:3], vcc
	s_cbranch_execz .LBB840_539
; %bb.534:
	s_movk_i32 s7, 0x80
	v_cmp_ne_u16_e32 vcc, s7, v28
	v_mov_b32_e32 v27, 0xffff8000
	s_and_saveexec_b64 s[8:9], vcc
	s_cbranch_execz .LBB840_538
; %bb.535:
	v_bfe_u32 v28, v11, 16, 7
	s_movk_i32 s7, 0x7f
	v_cmp_ne_u32_e32 vcc, s7, v28
	v_mov_b32_e32 v27, 0x7f80
	s_and_saveexec_b64 s[10:11], vcc
	s_cbranch_execz .LBB840_537
; %bb.536:
	v_and_b32_e32 v27, 7, v10
	v_ffbh_u32_e32 v30, v27
	v_min_u32_e32 v32, 32, v30
	v_subrev_u32_e32 v30, 28, v32
	v_lshlrev_b64 v[30:31], v30, v[10:11]
	v_lshrrev_b32_e32 v29, 3, v28
	v_sub_u32_e32 v10, 29, v32
	v_and_b32_e32 v30, 7, v30
	v_cmp_gt_u32_e32 vcc, 8, v28
	v_mov_b32_e32 v28, 24
	v_cndmask_b32_e32 v10, v29, v10, vcc
	v_cndmask_b32_e32 v27, v27, v30, vcc
	v_lshlrev_b32_sdwa v28, v28, v11 dst_sel:DWORD dst_unused:UNUSED_PAD src0_sel:DWORD src1_sel:WORD_1
	v_bfrev_b32_e32 v29, 60
	v_lshlrev_b32_e32 v27, 20, v27
	v_and_b32_e32 v28, 0x80000000, v28
	v_lshl_add_u32 v10, v10, 23, v29
	v_or3_b32 v10, v28, v10, v27
	v_lshrrev_b32_e32 v27, 16, v10
.LBB840_537:
	s_or_b64 exec, exec, s[10:11]
.LBB840_538:
	s_or_b64 exec, exec, s[8:9]
.LBB840_539:
	s_or_b64 exec, exec, s[2:3]
	s_mov_b32 s2, 0xffffff
	v_cmp_lt_u32_e32 vcc, s2, v11
	s_and_saveexec_b64 s[2:3], vcc
	s_cbranch_execz .LBB840_545
; %bb.540:
	v_lshrrev_b32_e32 v10, 24, v11
	s_movk_i32 s7, 0x80
	v_cmp_ne_u32_e32 vcc, s7, v10
	v_mov_b32_e32 v25, 0xffff8000
	s_and_saveexec_b64 s[8:9], vcc
	s_cbranch_execz .LBB840_544
; %bb.541:
	v_bfe_u32 v11, v11, 24, 7
	s_movk_i32 s7, 0x7f
	v_cmp_ne_u32_e32 vcc, s7, v11
	v_mov_b32_e32 v25, 0x7f80
	s_and_saveexec_b64 s[10:11], vcc
	s_cbranch_execz .LBB840_543
; %bb.542:
	v_and_b32_e32 v25, 7, v10
	v_ffbh_u32_e32 v28, v25
	v_min_u32_e32 v31, 32, v28
	v_subrev_u32_e32 v28, 28, v31
	v_lshlrev_b64 v[28:29], v28, v[10:11]
	v_lshrrev_b32_e32 v30, 3, v11
	v_sub_u32_e32 v29, 29, v31
	v_and_b32_e32 v28, 7, v28
	v_cmp_gt_u32_e32 vcc, 8, v11
	v_cndmask_b32_e32 v11, v30, v29, vcc
	v_cndmask_b32_e32 v25, v25, v28, vcc
	v_lshlrev_b32_e32 v10, 24, v10
	v_bfrev_b32_e32 v28, 60
	v_lshlrev_b32_e32 v25, 20, v25
	v_and_b32_e32 v10, 0x80000000, v10
	v_lshl_add_u32 v11, v11, 23, v28
	v_or3_b32 v10, v10, v11, v25
	v_lshrrev_b32_e32 v25, 16, v10
.LBB840_543:
	s_or_b64 exec, exec, s[10:11]
.LBB840_544:
	s_or_b64 exec, exec, s[8:9]
.LBB840_545:
	s_or_b64 exec, exec, s[2:3]
	s_mov_b32 s2, 0x5040100
	v_perm_b32 v11, v21, v23, s2
	v_perm_b32 v10, v19, v20, s2
	ds_read_b128 v[28:31], v22 offset:2048
	v_perm_b32 v21, v25, v27, s2
	v_perm_b32 v20, v18, v24, s2
	s_waitcnt lgkmcnt(0)
	v_mfma_f32_16x16x16bf16_1k v[14:17], v[10:11], v[28:29], v[14:17]
	v_mov_b32_e32 v11, 0
	v_cmp_ne_u16_sdwa s[8:9], v12, v11 src0_sel:BYTE_0 src1_sel:DWORD
	v_mov_b32_e32 v18, 0
	v_mfma_f32_16x16x16bf16_1k v[14:17], v[20:21], v[30:31], v[14:17]
	s_and_saveexec_b64 s[2:3], s[8:9]
	s_cbranch_execz .LBB840_551
; %bb.546:
	s_movk_i32 s7, 0x80
	v_cmp_ne_u16_sdwa s[10:11], v12, s7 src0_sel:BYTE_0 src1_sel:DWORD
	v_mov_b32_e32 v18, 0xffff8000
	s_and_saveexec_b64 s[8:9], s[10:11]
	s_cbranch_execz .LBB840_550
; %bb.547:
	s_movk_i32 s7, 0x7f
	v_and_b32_e32 v10, 0x7f, v12
	v_cmp_ne_u32_e32 vcc, s7, v10
	v_mov_b32_e32 v18, 0x7f80
	s_and_saveexec_b64 s[10:11], vcc
	s_cbranch_execz .LBB840_549
; %bb.548:
	v_and_b32_e32 v20, 7, v12
	v_ffbh_u32_e32 v18, v20
	v_min_u32_e32 v23, 32, v18
	v_subrev_u32_e32 v18, 28, v23
	v_lshlrev_b64 v[18:19], v18, v[12:13]
	v_lshrrev_b32_e32 v21, 3, v10
	v_sub_u32_e32 v19, 29, v23
	v_and_b32_e32 v18, 7, v18
	v_cmp_gt_u32_e32 vcc, 8, v10
	v_cndmask_b32_e32 v10, v21, v19, vcc
	v_cndmask_b32_e32 v18, v20, v18, vcc
	v_lshlrev_b32_e32 v19, 24, v12
	v_bfrev_b32_e32 v20, 60
	v_lshlrev_b32_e32 v18, 20, v18
	v_and_b32_e32 v19, 0x80000000, v19
	v_lshl_add_u32 v10, v10, 23, v20
	v_or3_b32 v10, v19, v10, v18
	v_lshrrev_b32_e32 v18, 16, v10
.LBB840_549:
	s_or_b64 exec, exec, s[10:11]
.LBB840_550:
	s_or_b64 exec, exec, s[8:9]
.LBB840_551:
	s_or_b64 exec, exec, s[2:3]
	v_lshrrev_b16_e32 v10, 8, v12
	v_cmp_ne_u16_e32 vcc, 0, v10
	s_and_saveexec_b64 s[2:3], vcc
	s_cbranch_execz .LBB840_557
; %bb.552:
	s_movk_i32 s7, 0x80
	v_cmp_ne_u16_e32 vcc, s7, v10
	v_mov_b32_e32 v11, 0xffff8000
	s_and_saveexec_b64 s[8:9], vcc
	s_cbranch_execz .LBB840_556
; %bb.553:
	s_movk_i32 s7, 0x7f
	v_and_b32_e32 v19, 0x7f, v10
	v_cmp_ne_u32_e32 vcc, s7, v19
	v_mov_b32_e32 v11, 0x7f80
	s_and_saveexec_b64 s[10:11], vcc
	s_cbranch_execz .LBB840_555
; %bb.554:
	v_and_b32_e32 v20, 7, v10
	v_ffbh_u32_e32 v11, v20
	v_min_u32_e32 v23, 32, v11
	v_subrev_u32_e32 v11, 28, v23
	v_lshlrev_b64 v[10:11], v11, v[10:11]
	v_lshrrev_b32_e32 v21, 3, v19
	v_sub_u32_e32 v11, 29, v23
	v_and_b32_e32 v10, 7, v10
	v_cmp_gt_u32_e32 vcc, 8, v19
	v_cndmask_b32_e32 v11, v21, v11, vcc
	v_cndmask_b32_e32 v10, v20, v10, vcc
	v_lshlrev_b32_e32 v19, 16, v12
	v_bfrev_b32_e32 v20, 60
	v_lshlrev_b32_e32 v10, 20, v10
	v_and_b32_e32 v19, 0x80000000, v19
	v_lshl_add_u32 v11, v11, 23, v20
	v_or3_b32 v10, v19, v11, v10
	v_lshrrev_b32_e32 v11, 16, v10
.LBB840_555:
	s_or_b64 exec, exec, s[10:11]
.LBB840_556:
	s_or_b64 exec, exec, s[8:9]
.LBB840_557:
	s_or_b64 exec, exec, s[2:3]
	s_movk_i32 s2, 0xff
	v_and_b32_sdwa v21, v12, s2 dst_sel:DWORD dst_unused:UNUSED_PAD src0_sel:WORD_1 src1_sel:DWORD
	v_lshrrev_b32_e32 v10, 16, v12
	v_cmp_ne_u16_e32 vcc, 0, v21
	v_mov_b32_e32 v19, 0
	v_mov_b32_e32 v20, 0
	s_and_saveexec_b64 s[2:3], vcc
	s_cbranch_execz .LBB840_563
; %bb.558:
	s_movk_i32 s7, 0x80
	v_cmp_ne_u16_e32 vcc, s7, v21
	v_mov_b32_e32 v20, 0xffff8000
	s_and_saveexec_b64 s[8:9], vcc
	s_cbranch_execz .LBB840_562
; %bb.559:
	v_bfe_u32 v21, v12, 16, 7
	s_movk_i32 s7, 0x7f
	v_cmp_ne_u32_e32 vcc, s7, v21
	v_mov_b32_e32 v20, 0x7f80
	s_and_saveexec_b64 s[10:11], vcc
	s_cbranch_execz .LBB840_561
; %bb.560:
	v_and_b32_e32 v20, 7, v10
	v_ffbh_u32_e32 v24, v20
	v_min_u32_e32 v27, 32, v24
	v_subrev_u32_e32 v24, 28, v27
	v_lshlrev_b64 v[24:25], v24, v[10:11]
	v_lshrrev_b32_e32 v23, 3, v21
	v_sub_u32_e32 v10, 29, v27
	v_and_b32_e32 v24, 7, v24
	v_cmp_gt_u32_e32 vcc, 8, v21
	v_mov_b32_e32 v21, 24
	v_cndmask_b32_e32 v10, v23, v10, vcc
	v_cndmask_b32_e32 v20, v20, v24, vcc
	v_lshlrev_b32_sdwa v21, v21, v12 dst_sel:DWORD dst_unused:UNUSED_PAD src0_sel:DWORD src1_sel:WORD_1
	v_bfrev_b32_e32 v23, 60
	v_lshlrev_b32_e32 v20, 20, v20
	v_and_b32_e32 v21, 0x80000000, v21
	v_lshl_add_u32 v10, v10, 23, v23
	v_or3_b32 v10, v21, v10, v20
	v_lshrrev_b32_e32 v20, 16, v10
.LBB840_561:
	s_or_b64 exec, exec, s[10:11]
.LBB840_562:
	s_or_b64 exec, exec, s[8:9]
.LBB840_563:
	s_or_b64 exec, exec, s[2:3]
	s_mov_b32 s2, 0xffffff
	v_cmp_lt_u32_e32 vcc, s2, v12
	s_and_saveexec_b64 s[2:3], vcc
	s_cbranch_execz .LBB840_569
; %bb.564:
	v_lshrrev_b32_e32 v10, 24, v12
	s_movk_i32 s7, 0x80
	v_cmp_ne_u32_e32 vcc, s7, v10
	v_mov_b32_e32 v19, 0xffff8000
	s_and_saveexec_b64 s[8:9], vcc
	s_cbranch_execz .LBB840_568
; %bb.565:
	v_bfe_u32 v12, v12, 24, 7
	s_movk_i32 s7, 0x7f
	v_cmp_ne_u32_e32 vcc, s7, v12
	v_mov_b32_e32 v19, 0x7f80
	s_and_saveexec_b64 s[10:11], vcc
	s_cbranch_execz .LBB840_567
; %bb.566:
	v_and_b32_e32 v19, 7, v10
	v_ffbh_u32_e32 v23, v19
	v_min_u32_e32 v23, 32, v23
	v_subrev_u32_e32 v24, 28, v23
	v_lshlrev_b64 v[24:25], v24, v[10:11]
	v_lshrrev_b32_e32 v21, 3, v12
	v_sub_u32_e32 v23, 29, v23
	v_and_b32_e32 v24, 7, v24
	v_cmp_gt_u32_e32 vcc, 8, v12
	v_cndmask_b32_e32 v12, v21, v23, vcc
	v_cndmask_b32_e32 v19, v19, v24, vcc
	v_lshlrev_b32_e32 v10, 24, v10
	v_bfrev_b32_e32 v21, 60
	v_lshlrev_b32_e32 v19, 20, v19
	v_and_b32_e32 v10, 0x80000000, v10
	v_lshl_add_u32 v12, v12, 23, v21
	v_or3_b32 v10, v10, v12, v19
	v_lshrrev_b32_e32 v19, 16, v10
.LBB840_567:
	s_or_b64 exec, exec, s[10:11]
.LBB840_568:
	s_or_b64 exec, exec, s[8:9]
.LBB840_569:
	s_or_b64 exec, exec, s[2:3]
	v_mov_b32_e32 v12, 0
	v_cmp_ne_u16_sdwa s[8:9], v13, v12 src0_sel:BYTE_0 src1_sel:DWORD
	v_mov_b32_e32 v21, 0
	s_and_saveexec_b64 s[2:3], s[8:9]
	s_cbranch_execz .LBB840_575
; %bb.570:
	s_movk_i32 s7, 0x80
	v_cmp_ne_u16_sdwa s[10:11], v13, s7 src0_sel:BYTE_0 src1_sel:DWORD
	v_mov_b32_e32 v21, 0xffff8000
	s_and_saveexec_b64 s[8:9], s[10:11]
	s_cbranch_execz .LBB840_574
; %bb.571:
	s_movk_i32 s7, 0x7f
	v_and_b32_e32 v10, 0x7f, v13
	v_cmp_ne_u32_e32 vcc, s7, v10
	v_mov_b32_e32 v21, 0x7f80
	s_and_saveexec_b64 s[10:11], vcc
	s_cbranch_execz .LBB840_573
; %bb.572:
	v_and_b32_e32 v21, 7, v13
	v_ffbh_u32_e32 v25, v21
	v_min_u32_e32 v27, 32, v25
	v_mov_b32_e32 v24, v13
	v_subrev_u32_e32 v25, 28, v27
	v_lshlrev_b64 v[24:25], v25, v[24:25]
	v_lshrrev_b32_e32 v23, 3, v10
	v_sub_u32_e32 v25, 29, v27
	v_and_b32_e32 v24, 7, v24
	v_cmp_gt_u32_e32 vcc, 8, v10
	v_cndmask_b32_e32 v10, v23, v25, vcc
	v_cndmask_b32_e32 v21, v21, v24, vcc
	v_lshlrev_b32_e32 v23, 24, v13
	v_bfrev_b32_e32 v24, 60
	v_lshlrev_b32_e32 v21, 20, v21
	v_and_b32_e32 v23, 0x80000000, v23
	v_lshl_add_u32 v10, v10, 23, v24
	v_or3_b32 v10, v23, v10, v21
	v_lshrrev_b32_e32 v21, 16, v10
.LBB840_573:
	s_or_b64 exec, exec, s[10:11]
.LBB840_574:
	s_or_b64 exec, exec, s[8:9]
.LBB840_575:
	s_or_b64 exec, exec, s[2:3]
	v_lshrrev_b16_e32 v10, 8, v13
	v_cmp_ne_u16_e32 vcc, 0, v10
	s_and_saveexec_b64 s[2:3], vcc
	s_cbranch_execz .LBB840_581
; %bb.576:
	s_movk_i32 s7, 0x80
	v_cmp_ne_u16_e32 vcc, s7, v10
	v_mov_b32_e32 v12, 0xffff8000
	s_and_saveexec_b64 s[8:9], vcc
	s_cbranch_execz .LBB840_580
; %bb.577:
	s_movk_i32 s7, 0x7f
	v_and_b32_e32 v23, 0x7f, v10
	v_cmp_ne_u32_e32 vcc, s7, v23
	v_mov_b32_e32 v12, 0x7f80
	s_and_saveexec_b64 s[10:11], vcc
	s_cbranch_execz .LBB840_579
; %bb.578:
	v_and_b32_e32 v12, 7, v10
	v_ffbh_u32_e32 v24, v12
	v_min_u32_e32 v28, 32, v24
	v_subrev_u32_e32 v24, 28, v28
	v_lshlrev_b64 v[24:25], v24, v[10:11]
	v_lshrrev_b32_e32 v27, 3, v23
	v_sub_u32_e32 v10, 29, v28
	v_and_b32_e32 v24, 7, v24
	v_cmp_gt_u32_e32 vcc, 8, v23
	v_cndmask_b32_e32 v10, v27, v10, vcc
	v_cndmask_b32_e32 v12, v12, v24, vcc
	v_lshlrev_b32_e32 v23, 16, v13
	v_bfrev_b32_e32 v24, 60
	v_lshlrev_b32_e32 v12, 20, v12
	v_and_b32_e32 v23, 0x80000000, v23
	v_lshl_add_u32 v10, v10, 23, v24
	v_or3_b32 v10, v23, v10, v12
	v_lshrrev_b32_e32 v12, 16, v10
.LBB840_579:
	s_or_b64 exec, exec, s[10:11]
.LBB840_580:
	s_or_b64 exec, exec, s[8:9]
.LBB840_581:
	s_or_b64 exec, exec, s[2:3]
	s_movk_i32 s2, 0xff
	v_and_b32_sdwa v25, v13, s2 dst_sel:DWORD dst_unused:UNUSED_PAD src0_sel:WORD_1 src1_sel:DWORD
	v_lshrrev_b32_e32 v10, 16, v13
	v_cmp_ne_u16_e32 vcc, 0, v25
	v_mov_b32_e32 v23, 0
	v_mov_b32_e32 v24, 0
	s_and_saveexec_b64 s[2:3], vcc
	s_cbranch_execz .LBB840_587
; %bb.582:
	s_movk_i32 s7, 0x80
	v_cmp_ne_u16_e32 vcc, s7, v25
	v_mov_b32_e32 v24, 0xffff8000
	s_and_saveexec_b64 s[8:9], vcc
	s_cbranch_execz .LBB840_586
; %bb.583:
	v_bfe_u32 v25, v13, 16, 7
	s_movk_i32 s7, 0x7f
	v_cmp_ne_u32_e32 vcc, s7, v25
	v_mov_b32_e32 v24, 0x7f80
	s_and_saveexec_b64 s[10:11], vcc
	s_cbranch_execz .LBB840_585
; %bb.584:
	v_and_b32_e32 v24, 7, v10
	v_ffbh_u32_e32 v28, v24
	v_min_u32_e32 v30, 32, v28
	v_subrev_u32_e32 v28, 28, v30
	v_lshlrev_b64 v[28:29], v28, v[10:11]
	v_lshrrev_b32_e32 v27, 3, v25
	v_sub_u32_e32 v10, 29, v30
	v_and_b32_e32 v28, 7, v28
	v_cmp_gt_u32_e32 vcc, 8, v25
	v_mov_b32_e32 v25, 24
	v_cndmask_b32_e32 v10, v27, v10, vcc
	v_cndmask_b32_e32 v24, v24, v28, vcc
	v_lshlrev_b32_sdwa v25, v25, v13 dst_sel:DWORD dst_unused:UNUSED_PAD src0_sel:DWORD src1_sel:WORD_1
	v_bfrev_b32_e32 v27, 60
	v_lshlrev_b32_e32 v24, 20, v24
	v_and_b32_e32 v25, 0x80000000, v25
	v_lshl_add_u32 v10, v10, 23, v27
	v_or3_b32 v10, v25, v10, v24
	v_lshrrev_b32_e32 v24, 16, v10
.LBB840_585:
	s_or_b64 exec, exec, s[10:11]
.LBB840_586:
	s_or_b64 exec, exec, s[8:9]
.LBB840_587:
	s_or_b64 exec, exec, s[2:3]
	s_mov_b32 s2, 0xffffff
	v_cmp_lt_u32_e32 vcc, s2, v13
	s_and_saveexec_b64 s[2:3], vcc
	s_cbranch_execz .LBB840_593
; %bb.588:
	v_lshrrev_b32_e32 v10, 24, v13
	s_movk_i32 s7, 0x80
	v_cmp_ne_u32_e32 vcc, s7, v10
	v_mov_b32_e32 v23, 0xffff8000
	s_and_saveexec_b64 s[8:9], vcc
	s_cbranch_execz .LBB840_592
; %bb.589:
	v_bfe_u32 v13, v13, 24, 7
	s_movk_i32 s7, 0x7f
	v_cmp_ne_u32_e32 vcc, s7, v13
	v_mov_b32_e32 v23, 0x7f80
	s_and_saveexec_b64 s[10:11], vcc
	s_cbranch_execz .LBB840_591
; %bb.590:
	v_and_b32_e32 v23, 7, v10
	v_ffbh_u32_e32 v27, v23
	v_min_u32_e32 v27, 32, v27
	v_subrev_u32_e32 v28, 28, v27
	v_lshlrev_b64 v[28:29], v28, v[10:11]
	v_lshrrev_b32_e32 v25, 3, v13
	v_sub_u32_e32 v27, 29, v27
	v_and_b32_e32 v28, 7, v28
	v_cmp_gt_u32_e32 vcc, 8, v13
	v_cndmask_b32_e32 v13, v25, v27, vcc
	v_cndmask_b32_e32 v23, v23, v28, vcc
	v_lshlrev_b32_e32 v10, 24, v10
	v_bfrev_b32_e32 v25, 60
	v_lshlrev_b32_e32 v23, 20, v23
	v_and_b32_e32 v10, 0x80000000, v10
	v_lshl_add_u32 v13, v13, 23, v25
	v_or3_b32 v10, v10, v13, v23
	v_lshrrev_b32_e32 v23, 16, v10
.LBB840_591:
	s_or_b64 exec, exec, s[10:11]
.LBB840_592:
	s_or_b64 exec, exec, s[8:9]
.LBB840_593:
	s_or_b64 exec, exec, s[2:3]
	s_mov_b32 s2, 0x5040100
	v_perm_b32 v19, v19, v20, s2
	v_perm_b32 v18, v11, v18, s2
	ds_read_b128 v[28:31], v22 offset:2064
	v_perm_b32 v11, v23, v24, s2
	v_perm_b32 v10, v12, v21, s2
	s_waitcnt lgkmcnt(0)
	v_mfma_f32_16x16x16bf16_1k v[32:35], v[18:19], v[28:29], v[14:17]
	s_nop 6
	v_mov_b32_e32 v15, 0
	s_waitcnt vmcnt(1)
	v_cmp_ne_u16_sdwa s[8:9], v6, v15 src0_sel:BYTE_0 src1_sel:DWORD
	v_mfma_f32_16x16x16bf16_1k v[10:13], v[10:11], v[30:31], v[32:35]
	v_mov_b32_e32 v16, 0
	s_and_saveexec_b64 s[2:3], s[8:9]
	s_cbranch_execz .LBB840_599
; %bb.594:
	s_movk_i32 s7, 0x80
	v_cmp_ne_u16_sdwa s[10:11], v6, s7 src0_sel:BYTE_0 src1_sel:DWORD
	v_mov_b32_e32 v16, 0xffff8000
	s_and_saveexec_b64 s[8:9], s[10:11]
	s_cbranch_execz .LBB840_598
; %bb.595:
	s_movk_i32 s7, 0x7f
	v_and_b32_e32 v14, 0x7f, v6
	v_cmp_ne_u32_e32 vcc, s7, v14
	v_mov_b32_e32 v16, 0x7f80
	s_and_saveexec_b64 s[10:11], vcc
	s_cbranch_execz .LBB840_597
; %bb.596:
	v_and_b32_e32 v18, 7, v6
	v_ffbh_u32_e32 v16, v18
	v_min_u32_e32 v20, 32, v16
	v_subrev_u32_e32 v16, 28, v20
	v_lshlrev_b64 v[16:17], v16, v[6:7]
	v_lshrrev_b32_e32 v19, 3, v14
	v_sub_u32_e32 v17, 29, v20
	v_and_b32_e32 v16, 7, v16
	v_cmp_gt_u32_e32 vcc, 8, v14
	v_cndmask_b32_e32 v14, v19, v17, vcc
	v_cndmask_b32_e32 v16, v18, v16, vcc
	v_lshlrev_b32_e32 v17, 24, v6
	v_bfrev_b32_e32 v18, 60
	v_lshlrev_b32_e32 v16, 20, v16
	v_and_b32_e32 v17, 0x80000000, v17
	v_lshl_add_u32 v14, v14, 23, v18
	v_or3_b32 v14, v17, v14, v16
	v_lshrrev_b32_e32 v16, 16, v14
.LBB840_597:
	s_or_b64 exec, exec, s[10:11]
.LBB840_598:
	s_or_b64 exec, exec, s[8:9]
.LBB840_599:
	s_or_b64 exec, exec, s[2:3]
	v_lshrrev_b16_e32 v14, 8, v6
	v_cmp_ne_u16_e32 vcc, 0, v14
	s_and_saveexec_b64 s[2:3], vcc
	s_cbranch_execz .LBB840_605
; %bb.600:
	s_movk_i32 s7, 0x80
	v_cmp_ne_u16_e32 vcc, s7, v14
	v_mov_b32_e32 v15, 0xffff8000
	s_and_saveexec_b64 s[8:9], vcc
	s_cbranch_execz .LBB840_604
; %bb.601:
	s_movk_i32 s7, 0x7f
	v_and_b32_e32 v17, 0x7f, v14
	v_cmp_ne_u32_e32 vcc, s7, v17
	v_mov_b32_e32 v15, 0x7f80
	s_and_saveexec_b64 s[10:11], vcc
	s_cbranch_execz .LBB840_603
; %bb.602:
	v_and_b32_e32 v18, 7, v14
	v_ffbh_u32_e32 v15, v18
	v_min_u32_e32 v20, 32, v15
	v_subrev_u32_e32 v15, 28, v20
	v_lshlrev_b64 v[14:15], v15, v[14:15]
	v_lshrrev_b32_e32 v19, 3, v17
	v_sub_u32_e32 v15, 29, v20
	v_and_b32_e32 v14, 7, v14
	v_cmp_gt_u32_e32 vcc, 8, v17
	v_cndmask_b32_e32 v15, v19, v15, vcc
	v_cndmask_b32_e32 v14, v18, v14, vcc
	v_lshlrev_b32_e32 v17, 16, v6
	v_bfrev_b32_e32 v18, 60
	v_lshlrev_b32_e32 v14, 20, v14
	v_and_b32_e32 v17, 0x80000000, v17
	v_lshl_add_u32 v15, v15, 23, v18
	v_or3_b32 v14, v17, v15, v14
	v_lshrrev_b32_e32 v15, 16, v14
.LBB840_603:
	s_or_b64 exec, exec, s[10:11]
.LBB840_604:
	s_or_b64 exec, exec, s[8:9]
.LBB840_605:
	s_or_b64 exec, exec, s[2:3]
	s_movk_i32 s2, 0xff
	v_and_b32_sdwa v19, v6, s2 dst_sel:DWORD dst_unused:UNUSED_PAD src0_sel:WORD_1 src1_sel:DWORD
	v_lshrrev_b32_e32 v14, 16, v6
	v_cmp_ne_u16_e32 vcc, 0, v19
	v_mov_b32_e32 v17, 0
	v_mov_b32_e32 v18, 0
	s_and_saveexec_b64 s[2:3], vcc
	s_cbranch_execz .LBB840_611
; %bb.606:
	s_movk_i32 s7, 0x80
	v_cmp_ne_u16_e32 vcc, s7, v19
	v_mov_b32_e32 v18, 0xffff8000
	s_and_saveexec_b64 s[8:9], vcc
	s_cbranch_execz .LBB840_610
; %bb.607:
	v_bfe_u32 v19, v6, 16, 7
	s_movk_i32 s7, 0x7f
	v_cmp_ne_u32_e32 vcc, s7, v19
	v_mov_b32_e32 v18, 0x7f80
	s_and_saveexec_b64 s[10:11], vcc
	s_cbranch_execz .LBB840_609
; %bb.608:
	v_and_b32_e32 v18, 7, v14
	v_ffbh_u32_e32 v20, v18
	v_min_u32_e32 v24, 32, v20
	v_subrev_u32_e32 v20, 28, v24
	v_lshlrev_b64 v[20:21], v20, v[14:15]
	v_lshrrev_b32_e32 v23, 3, v19
	v_sub_u32_e32 v14, 29, v24
	v_and_b32_e32 v20, 7, v20
	v_cmp_gt_u32_e32 vcc, 8, v19
	v_mov_b32_e32 v19, 24
	v_cndmask_b32_e32 v14, v23, v14, vcc
	v_cndmask_b32_e32 v18, v18, v20, vcc
	v_lshlrev_b32_sdwa v19, v19, v6 dst_sel:DWORD dst_unused:UNUSED_PAD src0_sel:DWORD src1_sel:WORD_1
	v_bfrev_b32_e32 v20, 60
	v_lshlrev_b32_e32 v18, 20, v18
	v_and_b32_e32 v19, 0x80000000, v19
	v_lshl_add_u32 v14, v14, 23, v20
	v_or3_b32 v14, v19, v14, v18
	v_lshrrev_b32_e32 v18, 16, v14
.LBB840_609:
	s_or_b64 exec, exec, s[10:11]
.LBB840_610:
	s_or_b64 exec, exec, s[8:9]
.LBB840_611:
	s_or_b64 exec, exec, s[2:3]
	s_mov_b32 s2, 0xffffff
	v_cmp_lt_u32_e32 vcc, s2, v6
	s_and_saveexec_b64 s[2:3], vcc
	s_cbranch_execz .LBB840_617
; %bb.612:
	v_lshrrev_b32_e32 v14, 24, v6
	s_movk_i32 s7, 0x80
	v_cmp_ne_u32_e32 vcc, s7, v14
	v_mov_b32_e32 v17, 0xffff8000
	s_and_saveexec_b64 s[8:9], vcc
	s_cbranch_execz .LBB840_616
; %bb.613:
	v_bfe_u32 v6, v6, 24, 7
	s_movk_i32 s7, 0x7f
	v_cmp_ne_u32_e32 vcc, s7, v6
	v_mov_b32_e32 v17, 0x7f80
	s_and_saveexec_b64 s[10:11], vcc
	s_cbranch_execz .LBB840_615
; %bb.614:
	v_and_b32_e32 v17, 7, v14
	v_ffbh_u32_e32 v20, v17
	v_min_u32_e32 v23, 32, v20
	v_subrev_u32_e32 v20, 28, v23
	v_lshlrev_b64 v[20:21], v20, v[14:15]
	v_lshrrev_b32_e32 v19, 3, v6
	v_sub_u32_e32 v21, 29, v23
	v_and_b32_e32 v20, 7, v20
	v_cmp_gt_u32_e32 vcc, 8, v6
	v_cndmask_b32_e32 v6, v19, v21, vcc
	v_cndmask_b32_e32 v17, v17, v20, vcc
	v_lshlrev_b32_e32 v14, 24, v14
	v_bfrev_b32_e32 v19, 60
	v_lshlrev_b32_e32 v17, 20, v17
	v_and_b32_e32 v14, 0x80000000, v14
	v_lshl_add_u32 v6, v6, 23, v19
	v_or3_b32 v6, v14, v6, v17
	v_lshrrev_b32_e32 v17, 16, v6
.LBB840_615:
	s_or_b64 exec, exec, s[10:11]
.LBB840_616:
	s_or_b64 exec, exec, s[8:9]
.LBB840_617:
	s_or_b64 exec, exec, s[2:3]
	v_mov_b32_e32 v14, 0
	v_cmp_ne_u16_sdwa s[8:9], v7, v14 src0_sel:BYTE_0 src1_sel:DWORD
	v_mov_b32_e32 v19, 0
	s_and_saveexec_b64 s[2:3], s[8:9]
	s_cbranch_execz .LBB840_623
; %bb.618:
	s_movk_i32 s7, 0x80
	v_cmp_ne_u16_sdwa s[10:11], v7, s7 src0_sel:BYTE_0 src1_sel:DWORD
	v_mov_b32_e32 v19, 0xffff8000
	s_and_saveexec_b64 s[8:9], s[10:11]
	s_cbranch_execz .LBB840_622
; %bb.619:
	s_movk_i32 s7, 0x7f
	v_and_b32_e32 v6, 0x7f, v7
	v_cmp_ne_u32_e32 vcc, s7, v6
	v_mov_b32_e32 v19, 0x7f80
	s_and_saveexec_b64 s[10:11], vcc
	s_cbranch_execz .LBB840_621
; %bb.620:
	v_and_b32_e32 v19, 7, v7
	v_ffbh_u32_e32 v21, v19
	v_min_u32_e32 v24, 32, v21
	v_mov_b32_e32 v20, v7
	v_subrev_u32_e32 v21, 28, v24
	v_lshlrev_b64 v[20:21], v21, v[20:21]
	v_lshrrev_b32_e32 v23, 3, v6
	v_sub_u32_e32 v21, 29, v24
	v_and_b32_e32 v20, 7, v20
	v_cmp_gt_u32_e32 vcc, 8, v6
	v_cndmask_b32_e32 v6, v23, v21, vcc
	v_cndmask_b32_e32 v19, v19, v20, vcc
	v_lshlrev_b32_e32 v20, 24, v7
	v_bfrev_b32_e32 v21, 60
	v_lshlrev_b32_e32 v19, 20, v19
	v_and_b32_e32 v20, 0x80000000, v20
	v_lshl_add_u32 v6, v6, 23, v21
	v_or3_b32 v6, v20, v6, v19
	v_lshrrev_b32_e32 v19, 16, v6
.LBB840_621:
	s_or_b64 exec, exec, s[10:11]
.LBB840_622:
	s_or_b64 exec, exec, s[8:9]
.LBB840_623:
	s_or_b64 exec, exec, s[2:3]
	v_lshrrev_b16_e32 v6, 8, v7
	v_cmp_ne_u16_e32 vcc, 0, v6
	s_and_saveexec_b64 s[2:3], vcc
	s_cbranch_execz .LBB840_629
; %bb.624:
	s_movk_i32 s7, 0x80
	v_cmp_ne_u16_e32 vcc, s7, v6
	v_mov_b32_e32 v14, 0xffff8000
	s_and_saveexec_b64 s[8:9], vcc
	s_cbranch_execz .LBB840_628
; %bb.625:
	s_movk_i32 s7, 0x7f
	v_and_b32_e32 v20, 0x7f, v6
	v_cmp_ne_u32_e32 vcc, s7, v20
	v_mov_b32_e32 v14, 0x7f80
	s_and_saveexec_b64 s[10:11], vcc
	s_cbranch_execz .LBB840_627
; %bb.626:
	v_and_b32_e32 v14, 7, v6
	v_ffbh_u32_e32 v23, v14
	v_min_u32_e32 v23, 32, v23
	v_subrev_u32_e32 v24, 28, v23
	v_lshlrev_b64 v[24:25], v24, v[6:7]
	v_lshrrev_b32_e32 v21, 3, v20
	v_sub_u32_e32 v6, 29, v23
	v_and_b32_e32 v23, 7, v24
	v_cmp_gt_u32_e32 vcc, 8, v20
	v_cndmask_b32_e32 v6, v21, v6, vcc
	v_cndmask_b32_e32 v14, v14, v23, vcc
	v_lshlrev_b32_e32 v20, 16, v7
	v_bfrev_b32_e32 v21, 60
	v_lshlrev_b32_e32 v14, 20, v14
	v_and_b32_e32 v20, 0x80000000, v20
	v_lshl_add_u32 v6, v6, 23, v21
	v_or3_b32 v6, v20, v6, v14
	v_lshrrev_b32_e32 v14, 16, v6
.LBB840_627:
	s_or_b64 exec, exec, s[10:11]
.LBB840_628:
	s_or_b64 exec, exec, s[8:9]
.LBB840_629:
	s_or_b64 exec, exec, s[2:3]
	s_movk_i32 s2, 0xff
	v_and_b32_sdwa v23, v7, s2 dst_sel:DWORD dst_unused:UNUSED_PAD src0_sel:WORD_1 src1_sel:DWORD
	v_lshrrev_b32_e32 v6, 16, v7
	v_cmp_ne_u16_e32 vcc, 0, v23
	v_mov_b32_e32 v20, 0
	v_mov_b32_e32 v21, 0
	s_and_saveexec_b64 s[2:3], vcc
	s_cbranch_execz .LBB840_635
; %bb.630:
	s_movk_i32 s7, 0x80
	v_cmp_ne_u16_e32 vcc, s7, v23
	v_mov_b32_e32 v21, 0xffff8000
	s_and_saveexec_b64 s[8:9], vcc
	s_cbranch_execz .LBB840_634
; %bb.631:
	v_bfe_u32 v23, v7, 16, 7
	s_movk_i32 s7, 0x7f
	v_cmp_ne_u32_e32 vcc, s7, v23
	v_mov_b32_e32 v21, 0x7f80
	s_and_saveexec_b64 s[10:11], vcc
	s_cbranch_execz .LBB840_633
; %bb.632:
	v_and_b32_e32 v21, 7, v6
	v_ffbh_u32_e32 v24, v21
	v_min_u32_e32 v28, 32, v24
	v_subrev_u32_e32 v24, 28, v28
	v_lshlrev_b64 v[24:25], v24, v[6:7]
	v_lshrrev_b32_e32 v27, 3, v23
	v_sub_u32_e32 v6, 29, v28
	v_and_b32_e32 v24, 7, v24
	v_cmp_gt_u32_e32 vcc, 8, v23
	v_mov_b32_e32 v23, 24
	v_cndmask_b32_e32 v6, v27, v6, vcc
	v_cndmask_b32_e32 v21, v21, v24, vcc
	v_lshlrev_b32_sdwa v23, v23, v7 dst_sel:DWORD dst_unused:UNUSED_PAD src0_sel:DWORD src1_sel:WORD_1
	v_bfrev_b32_e32 v24, 60
	v_lshlrev_b32_e32 v21, 20, v21
	v_and_b32_e32 v23, 0x80000000, v23
	v_lshl_add_u32 v6, v6, 23, v24
	v_or3_b32 v6, v23, v6, v21
	v_lshrrev_b32_e32 v21, 16, v6
.LBB840_633:
	s_or_b64 exec, exec, s[10:11]
.LBB840_634:
	s_or_b64 exec, exec, s[8:9]
.LBB840_635:
	s_or_b64 exec, exec, s[2:3]
	s_mov_b32 s2, 0xffffff
	v_cmp_lt_u32_e32 vcc, s2, v7
	s_and_saveexec_b64 s[2:3], vcc
	s_cbranch_execz .LBB840_641
; %bb.636:
	v_lshrrev_b32_e32 v6, 24, v7
	s_movk_i32 s7, 0x80
	v_cmp_ne_u32_e32 vcc, s7, v6
	v_mov_b32_e32 v20, 0xffff8000
	s_and_saveexec_b64 s[8:9], vcc
	s_cbranch_execz .LBB840_640
; %bb.637:
	v_bfe_u32 v7, v7, 24, 7
	s_movk_i32 s7, 0x7f
	v_cmp_ne_u32_e32 vcc, s7, v7
	v_mov_b32_e32 v20, 0x7f80
	s_and_saveexec_b64 s[10:11], vcc
	s_cbranch_execz .LBB840_639
; %bb.638:
	v_and_b32_e32 v20, 7, v6
	v_ffbh_u32_e32 v24, v20
	v_min_u32_e32 v27, 32, v24
	v_subrev_u32_e32 v24, 28, v27
	v_lshlrev_b64 v[24:25], v24, v[6:7]
	v_lshrrev_b32_e32 v23, 3, v7
	v_sub_u32_e32 v25, 29, v27
	v_and_b32_e32 v24, 7, v24
	v_cmp_gt_u32_e32 vcc, 8, v7
	v_cndmask_b32_e32 v7, v23, v25, vcc
	v_cndmask_b32_e32 v20, v20, v24, vcc
	v_lshlrev_b32_e32 v6, 24, v6
	v_bfrev_b32_e32 v23, 60
	v_lshlrev_b32_e32 v20, 20, v20
	v_and_b32_e32 v6, 0x80000000, v6
	v_lshl_add_u32 v7, v7, 23, v23
	v_or3_b32 v6, v6, v7, v20
	v_lshrrev_b32_e32 v20, 16, v6
.LBB840_639:
	s_or_b64 exec, exec, s[10:11]
.LBB840_640:
	s_or_b64 exec, exec, s[8:9]
.LBB840_641:
	s_or_b64 exec, exec, s[2:3]
	s_mov_b32 s2, 0x5040100
	v_perm_b32 v7, v17, v18, s2
	v_perm_b32 v6, v15, v16, s2
	ds_read_b128 v[28:31], v22 offset:4096
	v_perm_b32 v17, v20, v21, s2
	v_perm_b32 v16, v14, v19, s2
	s_waitcnt lgkmcnt(0)
	v_mfma_f32_16x16x16bf16_1k v[10:13], v[6:7], v[28:29], v[10:13]
	v_mov_b32_e32 v7, 0
	v_cmp_ne_u16_sdwa s[8:9], v8, v7 src0_sel:BYTE_0 src1_sel:DWORD
	v_mov_b32_e32 v14, 0
	v_mfma_f32_16x16x16bf16_1k v[10:13], v[16:17], v[30:31], v[10:13]
	s_and_saveexec_b64 s[2:3], s[8:9]
	s_cbranch_execz .LBB840_647
; %bb.642:
	s_movk_i32 s7, 0x80
	v_cmp_ne_u16_sdwa s[10:11], v8, s7 src0_sel:BYTE_0 src1_sel:DWORD
	v_mov_b32_e32 v14, 0xffff8000
	s_and_saveexec_b64 s[8:9], s[10:11]
	s_cbranch_execz .LBB840_646
; %bb.643:
	s_movk_i32 s7, 0x7f
	v_and_b32_e32 v6, 0x7f, v8
	v_cmp_ne_u32_e32 vcc, s7, v6
	v_mov_b32_e32 v14, 0x7f80
	s_and_saveexec_b64 s[10:11], vcc
	s_cbranch_execz .LBB840_645
; %bb.644:
	v_and_b32_e32 v16, 7, v8
	v_ffbh_u32_e32 v14, v16
	v_min_u32_e32 v18, 32, v14
	v_subrev_u32_e32 v14, 28, v18
	v_lshlrev_b64 v[14:15], v14, v[8:9]
	v_lshrrev_b32_e32 v17, 3, v6
	v_sub_u32_e32 v15, 29, v18
	v_and_b32_e32 v14, 7, v14
	v_cmp_gt_u32_e32 vcc, 8, v6
	v_cndmask_b32_e32 v6, v17, v15, vcc
	v_cndmask_b32_e32 v14, v16, v14, vcc
	v_lshlrev_b32_e32 v15, 24, v8
	v_bfrev_b32_e32 v16, 60
	v_lshlrev_b32_e32 v14, 20, v14
	v_and_b32_e32 v15, 0x80000000, v15
	v_lshl_add_u32 v6, v6, 23, v16
	v_or3_b32 v6, v15, v6, v14
	v_lshrrev_b32_e32 v14, 16, v6
.LBB840_645:
	s_or_b64 exec, exec, s[10:11]
.LBB840_646:
	s_or_b64 exec, exec, s[8:9]
.LBB840_647:
	s_or_b64 exec, exec, s[2:3]
	v_lshrrev_b16_e32 v6, 8, v8
	v_cmp_ne_u16_e32 vcc, 0, v6
	s_and_saveexec_b64 s[2:3], vcc
	s_cbranch_execz .LBB840_653
; %bb.648:
	s_movk_i32 s7, 0x80
	v_cmp_ne_u16_e32 vcc, s7, v6
	v_mov_b32_e32 v7, 0xffff8000
	s_and_saveexec_b64 s[8:9], vcc
	s_cbranch_execz .LBB840_652
; %bb.649:
	s_movk_i32 s7, 0x7f
	v_and_b32_e32 v15, 0x7f, v6
	v_cmp_ne_u32_e32 vcc, s7, v15
	v_mov_b32_e32 v7, 0x7f80
	s_and_saveexec_b64 s[10:11], vcc
	s_cbranch_execz .LBB840_651
; %bb.650:
	v_and_b32_e32 v16, 7, v6
	v_ffbh_u32_e32 v7, v16
	v_min_u32_e32 v18, 32, v7
	v_subrev_u32_e32 v7, 28, v18
	v_lshlrev_b64 v[6:7], v7, v[6:7]
	v_lshrrev_b32_e32 v17, 3, v15
	v_sub_u32_e32 v7, 29, v18
	v_and_b32_e32 v6, 7, v6
	v_cmp_gt_u32_e32 vcc, 8, v15
	v_cndmask_b32_e32 v7, v17, v7, vcc
	v_cndmask_b32_e32 v6, v16, v6, vcc
	v_lshlrev_b32_e32 v15, 16, v8
	v_bfrev_b32_e32 v16, 60
	v_lshlrev_b32_e32 v6, 20, v6
	v_and_b32_e32 v15, 0x80000000, v15
	v_lshl_add_u32 v7, v7, 23, v16
	v_or3_b32 v6, v15, v7, v6
	v_lshrrev_b32_e32 v7, 16, v6
.LBB840_651:
	s_or_b64 exec, exec, s[10:11]
.LBB840_652:
	s_or_b64 exec, exec, s[8:9]
.LBB840_653:
	s_or_b64 exec, exec, s[2:3]
	s_movk_i32 s2, 0xff
	v_and_b32_sdwa v17, v8, s2 dst_sel:DWORD dst_unused:UNUSED_PAD src0_sel:WORD_1 src1_sel:DWORD
	v_lshrrev_b32_e32 v6, 16, v8
	v_cmp_ne_u16_e32 vcc, 0, v17
	v_mov_b32_e32 v15, 0
	v_mov_b32_e32 v16, 0
	s_and_saveexec_b64 s[2:3], vcc
	s_cbranch_execz .LBB840_659
; %bb.654:
	s_movk_i32 s7, 0x80
	v_cmp_ne_u16_e32 vcc, s7, v17
	v_mov_b32_e32 v16, 0xffff8000
	s_and_saveexec_b64 s[8:9], vcc
	s_cbranch_execz .LBB840_658
; %bb.655:
	v_bfe_u32 v17, v8, 16, 7
	s_movk_i32 s7, 0x7f
	v_cmp_ne_u32_e32 vcc, s7, v17
	v_mov_b32_e32 v16, 0x7f80
	s_and_saveexec_b64 s[10:11], vcc
	s_cbranch_execz .LBB840_657
; %bb.656:
	v_and_b32_e32 v16, 7, v6
	v_ffbh_u32_e32 v18, v16
	v_min_u32_e32 v21, 32, v18
	v_subrev_u32_e32 v18, 28, v21
	v_lshlrev_b64 v[18:19], v18, v[6:7]
	v_lshrrev_b32_e32 v20, 3, v17
	v_sub_u32_e32 v6, 29, v21
	v_and_b32_e32 v18, 7, v18
	v_cmp_gt_u32_e32 vcc, 8, v17
	v_mov_b32_e32 v17, 24
	v_cndmask_b32_e32 v6, v20, v6, vcc
	v_cndmask_b32_e32 v16, v16, v18, vcc
	v_lshlrev_b32_sdwa v17, v17, v8 dst_sel:DWORD dst_unused:UNUSED_PAD src0_sel:DWORD src1_sel:WORD_1
	v_bfrev_b32_e32 v18, 60
	v_lshlrev_b32_e32 v16, 20, v16
	v_and_b32_e32 v17, 0x80000000, v17
	v_lshl_add_u32 v6, v6, 23, v18
	v_or3_b32 v6, v17, v6, v16
	v_lshrrev_b32_e32 v16, 16, v6
.LBB840_657:
	s_or_b64 exec, exec, s[10:11]
.LBB840_658:
	s_or_b64 exec, exec, s[8:9]
.LBB840_659:
	s_or_b64 exec, exec, s[2:3]
	s_mov_b32 s2, 0xffffff
	v_cmp_lt_u32_e32 vcc, s2, v8
	s_and_saveexec_b64 s[2:3], vcc
	s_cbranch_execz .LBB840_665
; %bb.660:
	v_lshrrev_b32_e32 v6, 24, v8
	s_movk_i32 s7, 0x80
	v_cmp_ne_u32_e32 vcc, s7, v6
	v_mov_b32_e32 v15, 0xffff8000
	s_and_saveexec_b64 s[8:9], vcc
	s_cbranch_execz .LBB840_664
; %bb.661:
	v_bfe_u32 v8, v8, 24, 7
	s_movk_i32 s7, 0x7f
	v_cmp_ne_u32_e32 vcc, s7, v8
	v_mov_b32_e32 v15, 0x7f80
	s_and_saveexec_b64 s[10:11], vcc
	s_cbranch_execz .LBB840_663
; %bb.662:
	v_and_b32_e32 v15, 7, v6
	v_ffbh_u32_e32 v18, v15
	v_min_u32_e32 v20, 32, v18
	v_subrev_u32_e32 v18, 28, v20
	v_lshlrev_b64 v[18:19], v18, v[6:7]
	v_lshrrev_b32_e32 v17, 3, v8
	v_sub_u32_e32 v19, 29, v20
	v_and_b32_e32 v18, 7, v18
	v_cmp_gt_u32_e32 vcc, 8, v8
	v_cndmask_b32_e32 v8, v17, v19, vcc
	v_cndmask_b32_e32 v15, v15, v18, vcc
	v_lshlrev_b32_e32 v6, 24, v6
	v_bfrev_b32_e32 v17, 60
	v_lshlrev_b32_e32 v15, 20, v15
	v_and_b32_e32 v6, 0x80000000, v6
	v_lshl_add_u32 v8, v8, 23, v17
	v_or3_b32 v6, v6, v8, v15
	v_lshrrev_b32_e32 v15, 16, v6
.LBB840_663:
	s_or_b64 exec, exec, s[10:11]
.LBB840_664:
	s_or_b64 exec, exec, s[8:9]
.LBB840_665:
	s_or_b64 exec, exec, s[2:3]
	v_mov_b32_e32 v8, 0
	v_cmp_ne_u16_sdwa s[8:9], v9, v8 src0_sel:BYTE_0 src1_sel:DWORD
	v_mov_b32_e32 v17, 0
	s_and_saveexec_b64 s[2:3], s[8:9]
	s_cbranch_execz .LBB840_671
; %bb.666:
	s_movk_i32 s7, 0x80
	v_cmp_ne_u16_sdwa s[10:11], v9, s7 src0_sel:BYTE_0 src1_sel:DWORD
	v_mov_b32_e32 v17, 0xffff8000
	s_and_saveexec_b64 s[8:9], s[10:11]
	s_cbranch_execz .LBB840_670
; %bb.667:
	s_movk_i32 s7, 0x7f
	v_and_b32_e32 v6, 0x7f, v9
	v_cmp_ne_u32_e32 vcc, s7, v6
	v_mov_b32_e32 v17, 0x7f80
	s_and_saveexec_b64 s[10:11], vcc
	s_cbranch_execz .LBB840_669
; %bb.668:
	v_and_b32_e32 v17, 7, v9
	v_ffbh_u32_e32 v19, v17
	v_min_u32_e32 v21, 32, v19
	v_mov_b32_e32 v18, v9
	v_subrev_u32_e32 v19, 28, v21
	v_lshlrev_b64 v[18:19], v19, v[18:19]
	v_lshrrev_b32_e32 v20, 3, v6
	v_sub_u32_e32 v19, 29, v21
	v_and_b32_e32 v18, 7, v18
	v_cmp_gt_u32_e32 vcc, 8, v6
	v_cndmask_b32_e32 v6, v20, v19, vcc
	v_cndmask_b32_e32 v17, v17, v18, vcc
	v_lshlrev_b32_e32 v18, 24, v9
	v_bfrev_b32_e32 v19, 60
	v_lshlrev_b32_e32 v17, 20, v17
	v_and_b32_e32 v18, 0x80000000, v18
	v_lshl_add_u32 v6, v6, 23, v19
	v_or3_b32 v6, v18, v6, v17
	v_lshrrev_b32_e32 v17, 16, v6
.LBB840_669:
	s_or_b64 exec, exec, s[10:11]
.LBB840_670:
	s_or_b64 exec, exec, s[8:9]
.LBB840_671:
	s_or_b64 exec, exec, s[2:3]
	v_lshrrev_b16_e32 v6, 8, v9
	v_cmp_ne_u16_e32 vcc, 0, v6
	s_and_saveexec_b64 s[2:3], vcc
	s_cbranch_execz .LBB840_677
; %bb.672:
	s_movk_i32 s7, 0x80
	v_cmp_ne_u16_e32 vcc, s7, v6
	v_mov_b32_e32 v8, 0xffff8000
	s_and_saveexec_b64 s[8:9], vcc
	s_cbranch_execz .LBB840_676
; %bb.673:
	s_movk_i32 s7, 0x7f
	v_and_b32_e32 v18, 0x7f, v6
	v_cmp_ne_u32_e32 vcc, s7, v18
	v_mov_b32_e32 v8, 0x7f80
	s_and_saveexec_b64 s[10:11], vcc
	s_cbranch_execz .LBB840_675
; %bb.674:
	v_and_b32_e32 v8, 7, v6
	v_ffbh_u32_e32 v20, v8
	v_min_u32_e32 v23, 32, v20
	v_subrev_u32_e32 v20, 28, v23
	v_lshlrev_b64 v[20:21], v20, v[6:7]
	v_lshrrev_b32_e32 v19, 3, v18
	v_sub_u32_e32 v6, 29, v23
	v_and_b32_e32 v20, 7, v20
	v_cmp_gt_u32_e32 vcc, 8, v18
	v_cndmask_b32_e32 v6, v19, v6, vcc
	v_cndmask_b32_e32 v8, v8, v20, vcc
	v_lshlrev_b32_e32 v18, 16, v9
	v_bfrev_b32_e32 v19, 60
	v_lshlrev_b32_e32 v8, 20, v8
	v_and_b32_e32 v18, 0x80000000, v18
	v_lshl_add_u32 v6, v6, 23, v19
	v_or3_b32 v6, v18, v6, v8
	v_lshrrev_b32_e32 v8, 16, v6
.LBB840_675:
	s_or_b64 exec, exec, s[10:11]
.LBB840_676:
	s_or_b64 exec, exec, s[8:9]
.LBB840_677:
	s_or_b64 exec, exec, s[2:3]
	s_movk_i32 s2, 0xff
	v_and_b32_sdwa v20, v9, s2 dst_sel:DWORD dst_unused:UNUSED_PAD src0_sel:WORD_1 src1_sel:DWORD
	v_lshrrev_b32_e32 v6, 16, v9
	v_cmp_ne_u16_e32 vcc, 0, v20
	v_mov_b32_e32 v18, 0
	v_mov_b32_e32 v19, 0
	s_and_saveexec_b64 s[2:3], vcc
	s_cbranch_execz .LBB840_683
; %bb.678:
	s_movk_i32 s7, 0x80
	v_cmp_ne_u16_e32 vcc, s7, v20
	v_mov_b32_e32 v19, 0xffff8000
	s_and_saveexec_b64 s[8:9], vcc
	s_cbranch_execz .LBB840_682
; %bb.679:
	v_bfe_u32 v20, v9, 16, 7
	s_movk_i32 s7, 0x7f
	v_cmp_ne_u32_e32 vcc, s7, v20
	v_mov_b32_e32 v19, 0x7f80
	s_and_saveexec_b64 s[10:11], vcc
	s_cbranch_execz .LBB840_681
; %bb.680:
	v_and_b32_e32 v19, 7, v6
	v_ffbh_u32_e32 v23, v19
	v_min_u32_e32 v23, 32, v23
	v_subrev_u32_e32 v24, 28, v23
	v_lshlrev_b64 v[24:25], v24, v[6:7]
	v_lshrrev_b32_e32 v21, 3, v20
	v_sub_u32_e32 v6, 29, v23
	v_and_b32_e32 v23, 7, v24
	v_cmp_gt_u32_e32 vcc, 8, v20
	v_mov_b32_e32 v20, 24
	v_cndmask_b32_e32 v6, v21, v6, vcc
	v_cndmask_b32_e32 v19, v19, v23, vcc
	v_lshlrev_b32_sdwa v20, v20, v9 dst_sel:DWORD dst_unused:UNUSED_PAD src0_sel:DWORD src1_sel:WORD_1
	v_bfrev_b32_e32 v21, 60
	v_lshlrev_b32_e32 v19, 20, v19
	v_and_b32_e32 v20, 0x80000000, v20
	v_lshl_add_u32 v6, v6, 23, v21
	v_or3_b32 v6, v20, v6, v19
	v_lshrrev_b32_e32 v19, 16, v6
.LBB840_681:
	s_or_b64 exec, exec, s[10:11]
.LBB840_682:
	s_or_b64 exec, exec, s[8:9]
.LBB840_683:
	s_or_b64 exec, exec, s[2:3]
	s_mov_b32 s2, 0xffffff
	v_cmp_lt_u32_e32 vcc, s2, v9
	s_and_saveexec_b64 s[2:3], vcc
	s_cbranch_execz .LBB840_689
; %bb.684:
	v_lshrrev_b32_e32 v6, 24, v9
	s_movk_i32 s7, 0x80
	v_cmp_ne_u32_e32 vcc, s7, v6
	v_mov_b32_e32 v18, 0xffff8000
	s_and_saveexec_b64 s[8:9], vcc
	s_cbranch_execz .LBB840_688
; %bb.685:
	v_bfe_u32 v9, v9, 24, 7
	s_movk_i32 s7, 0x7f
	v_cmp_ne_u32_e32 vcc, s7, v9
	v_mov_b32_e32 v18, 0x7f80
	s_and_saveexec_b64 s[10:11], vcc
	s_cbranch_execz .LBB840_687
; %bb.686:
	v_and_b32_e32 v18, 7, v6
	v_ffbh_u32_e32 v20, v18
	v_min_u32_e32 v24, 32, v20
	v_subrev_u32_e32 v20, 28, v24
	v_lshlrev_b64 v[20:21], v20, v[6:7]
	v_lshrrev_b32_e32 v23, 3, v9
	v_sub_u32_e32 v21, 29, v24
	v_and_b32_e32 v20, 7, v20
	v_cmp_gt_u32_e32 vcc, 8, v9
	v_cndmask_b32_e32 v9, v23, v21, vcc
	v_cndmask_b32_e32 v18, v18, v20, vcc
	v_lshlrev_b32_e32 v6, 24, v6
	v_bfrev_b32_e32 v20, 60
	v_lshlrev_b32_e32 v18, 20, v18
	v_and_b32_e32 v6, 0x80000000, v6
	v_lshl_add_u32 v9, v9, 23, v20
	v_or3_b32 v6, v6, v9, v18
	v_lshrrev_b32_e32 v18, 16, v6
.LBB840_687:
	s_or_b64 exec, exec, s[10:11]
.LBB840_688:
	s_or_b64 exec, exec, s[8:9]
.LBB840_689:
	s_or_b64 exec, exec, s[2:3]
	s_mov_b32 s2, 0x5040100
	v_perm_b32 v15, v15, v16, s2
	v_perm_b32 v14, v7, v14, s2
	ds_read_b128 v[28:31], v22 offset:4112
	v_perm_b32 v7, v18, v19, s2
	v_perm_b32 v6, v8, v17, s2
	s_waitcnt lgkmcnt(0)
	v_mfma_f32_16x16x16bf16_1k v[32:35], v[14:15], v[28:29], v[10:13]
	s_nop 6
	v_mov_b32_e32 v11, 0
	s_waitcnt vmcnt(0)
	v_cmp_ne_u16_sdwa s[8:9], v2, v11 src0_sel:BYTE_0 src1_sel:DWORD
	v_mfma_f32_16x16x16bf16_1k v[6:9], v[6:7], v[30:31], v[32:35]
	v_mov_b32_e32 v12, 0
	s_and_saveexec_b64 s[2:3], s[8:9]
	s_cbranch_execz .LBB840_695
; %bb.690:
	s_movk_i32 s7, 0x80
	v_cmp_ne_u16_sdwa s[10:11], v2, s7 src0_sel:BYTE_0 src1_sel:DWORD
	v_mov_b32_e32 v12, 0xffff8000
	s_and_saveexec_b64 s[8:9], s[10:11]
	s_cbranch_execz .LBB840_694
; %bb.691:
	s_movk_i32 s7, 0x7f
	v_and_b32_e32 v10, 0x7f, v2
	v_cmp_ne_u32_e32 vcc, s7, v10
	v_mov_b32_e32 v12, 0x7f80
	s_and_saveexec_b64 s[10:11], vcc
	s_cbranch_execz .LBB840_693
; %bb.692:
	v_and_b32_e32 v14, 7, v2
	v_ffbh_u32_e32 v12, v14
	v_min_u32_e32 v16, 32, v12
	v_subrev_u32_e32 v12, 28, v16
	v_lshlrev_b64 v[12:13], v12, v[2:3]
	v_lshrrev_b32_e32 v15, 3, v10
	v_sub_u32_e32 v13, 29, v16
	v_and_b32_e32 v12, 7, v12
	v_cmp_gt_u32_e32 vcc, 8, v10
	v_cndmask_b32_e32 v10, v15, v13, vcc
	v_cndmask_b32_e32 v12, v14, v12, vcc
	v_lshlrev_b32_e32 v13, 24, v2
	v_bfrev_b32_e32 v14, 60
	v_lshlrev_b32_e32 v12, 20, v12
	v_and_b32_e32 v13, 0x80000000, v13
	v_lshl_add_u32 v10, v10, 23, v14
	v_or3_b32 v10, v13, v10, v12
	v_lshrrev_b32_e32 v12, 16, v10
.LBB840_693:
	s_or_b64 exec, exec, s[10:11]
.LBB840_694:
	s_or_b64 exec, exec, s[8:9]
.LBB840_695:
	s_or_b64 exec, exec, s[2:3]
	v_lshrrev_b16_e32 v10, 8, v2
	v_cmp_ne_u16_e32 vcc, 0, v10
	s_and_saveexec_b64 s[2:3], vcc
	s_cbranch_execz .LBB840_701
; %bb.696:
	s_movk_i32 s7, 0x80
	v_cmp_ne_u16_e32 vcc, s7, v10
	v_mov_b32_e32 v11, 0xffff8000
	s_and_saveexec_b64 s[8:9], vcc
	s_cbranch_execz .LBB840_700
; %bb.697:
	s_movk_i32 s7, 0x7f
	v_and_b32_e32 v13, 0x7f, v10
	v_cmp_ne_u32_e32 vcc, s7, v13
	v_mov_b32_e32 v11, 0x7f80
	s_and_saveexec_b64 s[10:11], vcc
	s_cbranch_execz .LBB840_699
; %bb.698:
	v_and_b32_e32 v14, 7, v10
	v_ffbh_u32_e32 v11, v14
	v_min_u32_e32 v16, 32, v11
	v_subrev_u32_e32 v11, 28, v16
	v_lshlrev_b64 v[10:11], v11, v[10:11]
	v_lshrrev_b32_e32 v15, 3, v13
	v_sub_u32_e32 v11, 29, v16
	v_and_b32_e32 v10, 7, v10
	v_cmp_gt_u32_e32 vcc, 8, v13
	v_cndmask_b32_e32 v11, v15, v11, vcc
	v_cndmask_b32_e32 v10, v14, v10, vcc
	v_lshlrev_b32_e32 v13, 16, v2
	v_bfrev_b32_e32 v14, 60
	v_lshlrev_b32_e32 v10, 20, v10
	v_and_b32_e32 v13, 0x80000000, v13
	v_lshl_add_u32 v11, v11, 23, v14
	v_or3_b32 v10, v13, v11, v10
	v_lshrrev_b32_e32 v11, 16, v10
.LBB840_699:
	s_or_b64 exec, exec, s[10:11]
.LBB840_700:
	s_or_b64 exec, exec, s[8:9]
.LBB840_701:
	s_or_b64 exec, exec, s[2:3]
	s_movk_i32 s2, 0xff
	v_and_b32_sdwa v15, v2, s2 dst_sel:DWORD dst_unused:UNUSED_PAD src0_sel:WORD_1 src1_sel:DWORD
	v_lshrrev_b32_e32 v10, 16, v2
	v_cmp_ne_u16_e32 vcc, 0, v15
	v_mov_b32_e32 v13, 0
	v_mov_b32_e32 v14, 0
	s_and_saveexec_b64 s[2:3], vcc
	s_cbranch_execz .LBB840_707
; %bb.702:
	s_movk_i32 s7, 0x80
	v_cmp_ne_u16_e32 vcc, s7, v15
	v_mov_b32_e32 v14, 0xffff8000
	s_and_saveexec_b64 s[8:9], vcc
	s_cbranch_execz .LBB840_706
; %bb.703:
	v_bfe_u32 v15, v2, 16, 7
	s_movk_i32 s7, 0x7f
	v_cmp_ne_u32_e32 vcc, s7, v15
	v_mov_b32_e32 v14, 0x7f80
	s_and_saveexec_b64 s[10:11], vcc
	s_cbranch_execz .LBB840_705
; %bb.704:
	v_and_b32_e32 v14, 7, v10
	v_ffbh_u32_e32 v16, v14
	v_min_u32_e32 v19, 32, v16
	v_subrev_u32_e32 v16, 28, v19
	v_lshlrev_b64 v[16:17], v16, v[10:11]
	v_lshrrev_b32_e32 v18, 3, v15
	v_sub_u32_e32 v10, 29, v19
	v_and_b32_e32 v16, 7, v16
	v_cmp_gt_u32_e32 vcc, 8, v15
	v_mov_b32_e32 v15, 24
	v_cndmask_b32_e32 v10, v18, v10, vcc
	v_cndmask_b32_e32 v14, v14, v16, vcc
	v_lshlrev_b32_sdwa v15, v15, v2 dst_sel:DWORD dst_unused:UNUSED_PAD src0_sel:DWORD src1_sel:WORD_1
	v_bfrev_b32_e32 v16, 60
	v_lshlrev_b32_e32 v14, 20, v14
	v_and_b32_e32 v15, 0x80000000, v15
	v_lshl_add_u32 v10, v10, 23, v16
	v_or3_b32 v10, v15, v10, v14
	v_lshrrev_b32_e32 v14, 16, v10
.LBB840_705:
	s_or_b64 exec, exec, s[10:11]
.LBB840_706:
	s_or_b64 exec, exec, s[8:9]
.LBB840_707:
	s_or_b64 exec, exec, s[2:3]
	s_mov_b32 s2, 0xffffff
	v_cmp_lt_u32_e32 vcc, s2, v2
	s_and_saveexec_b64 s[2:3], vcc
	s_cbranch_execz .LBB840_713
; %bb.708:
	v_lshrrev_b32_e32 v10, 24, v2
	s_movk_i32 s7, 0x80
	v_cmp_ne_u32_e32 vcc, s7, v10
	v_mov_b32_e32 v13, 0xffff8000
	s_and_saveexec_b64 s[8:9], vcc
	s_cbranch_execz .LBB840_712
; %bb.709:
	v_bfe_u32 v2, v2, 24, 7
	s_movk_i32 s7, 0x7f
	v_cmp_ne_u32_e32 vcc, s7, v2
	v_mov_b32_e32 v13, 0x7f80
	s_and_saveexec_b64 s[10:11], vcc
	s_cbranch_execz .LBB840_711
; %bb.710:
	v_and_b32_e32 v13, 7, v10
	v_ffbh_u32_e32 v16, v13
	v_min_u32_e32 v18, 32, v16
	v_subrev_u32_e32 v16, 28, v18
	v_lshlrev_b64 v[16:17], v16, v[10:11]
	v_lshrrev_b32_e32 v15, 3, v2
	v_sub_u32_e32 v17, 29, v18
	v_and_b32_e32 v16, 7, v16
	v_cmp_gt_u32_e32 vcc, 8, v2
	v_cndmask_b32_e32 v2, v15, v17, vcc
	v_cndmask_b32_e32 v13, v13, v16, vcc
	v_lshlrev_b32_e32 v10, 24, v10
	v_bfrev_b32_e32 v15, 60
	v_lshlrev_b32_e32 v13, 20, v13
	v_and_b32_e32 v10, 0x80000000, v10
	v_lshl_add_u32 v2, v2, 23, v15
	v_or3_b32 v2, v10, v2, v13
	v_lshrrev_b32_e32 v13, 16, v2
.LBB840_711:
	s_or_b64 exec, exec, s[10:11]
.LBB840_712:
	s_or_b64 exec, exec, s[8:9]
.LBB840_713:
	s_or_b64 exec, exec, s[2:3]
	v_mov_b32_e32 v10, 0
	v_cmp_ne_u16_sdwa s[8:9], v3, v10 src0_sel:BYTE_0 src1_sel:DWORD
	v_mov_b32_e32 v15, 0
	s_and_saveexec_b64 s[2:3], s[8:9]
	s_cbranch_execz .LBB840_719
; %bb.714:
	s_movk_i32 s7, 0x80
	v_cmp_ne_u16_sdwa s[10:11], v3, s7 src0_sel:BYTE_0 src1_sel:DWORD
	v_mov_b32_e32 v15, 0xffff8000
	s_and_saveexec_b64 s[8:9], s[10:11]
	s_cbranch_execz .LBB840_718
; %bb.715:
	s_movk_i32 s7, 0x7f
	v_and_b32_e32 v2, 0x7f, v3
	v_cmp_ne_u32_e32 vcc, s7, v2
	v_mov_b32_e32 v15, 0x7f80
	s_and_saveexec_b64 s[10:11], vcc
	s_cbranch_execz .LBB840_717
; %bb.716:
	v_and_b32_e32 v15, 7, v3
	v_ffbh_u32_e32 v17, v15
	v_min_u32_e32 v19, 32, v17
	v_mov_b32_e32 v16, v3
	v_subrev_u32_e32 v17, 28, v19
	v_lshlrev_b64 v[16:17], v17, v[16:17]
	v_lshrrev_b32_e32 v18, 3, v2
	v_sub_u32_e32 v17, 29, v19
	v_and_b32_e32 v16, 7, v16
	v_cmp_gt_u32_e32 vcc, 8, v2
	v_cndmask_b32_e32 v2, v18, v17, vcc
	v_cndmask_b32_e32 v15, v15, v16, vcc
	v_lshlrev_b32_e32 v16, 24, v3
	v_bfrev_b32_e32 v17, 60
	v_lshlrev_b32_e32 v15, 20, v15
	v_and_b32_e32 v16, 0x80000000, v16
	v_lshl_add_u32 v2, v2, 23, v17
	v_or3_b32 v2, v16, v2, v15
	v_lshrrev_b32_e32 v15, 16, v2
.LBB840_717:
	s_or_b64 exec, exec, s[10:11]
.LBB840_718:
	s_or_b64 exec, exec, s[8:9]
.LBB840_719:
	s_or_b64 exec, exec, s[2:3]
	v_lshrrev_b16_e32 v2, 8, v3
	v_cmp_ne_u16_e32 vcc, 0, v2
	s_and_saveexec_b64 s[2:3], vcc
	s_cbranch_execz .LBB840_725
; %bb.720:
	s_movk_i32 s7, 0x80
	v_cmp_ne_u16_e32 vcc, s7, v2
	v_mov_b32_e32 v10, 0xffff8000
	s_and_saveexec_b64 s[8:9], vcc
	s_cbranch_execz .LBB840_724
; %bb.721:
	s_movk_i32 s7, 0x7f
	v_and_b32_e32 v16, 0x7f, v2
	v_cmp_ne_u32_e32 vcc, s7, v16
	v_mov_b32_e32 v10, 0x7f80
	s_and_saveexec_b64 s[10:11], vcc
	s_cbranch_execz .LBB840_723
; %bb.722:
	v_and_b32_e32 v10, 7, v2
	v_ffbh_u32_e32 v18, v10
	v_min_u32_e32 v20, 32, v18
	v_subrev_u32_e32 v18, 28, v20
	v_lshlrev_b64 v[18:19], v18, v[2:3]
	v_lshrrev_b32_e32 v17, 3, v16
	v_sub_u32_e32 v2, 29, v20
	v_and_b32_e32 v18, 7, v18
	v_cmp_gt_u32_e32 vcc, 8, v16
	v_cndmask_b32_e32 v2, v17, v2, vcc
	v_cndmask_b32_e32 v10, v10, v18, vcc
	v_lshlrev_b32_e32 v16, 16, v3
	v_bfrev_b32_e32 v17, 60
	v_lshlrev_b32_e32 v10, 20, v10
	v_and_b32_e32 v16, 0x80000000, v16
	v_lshl_add_u32 v2, v2, 23, v17
	v_or3_b32 v2, v16, v2, v10
	v_lshrrev_b32_e32 v10, 16, v2
.LBB840_723:
	s_or_b64 exec, exec, s[10:11]
.LBB840_724:
	s_or_b64 exec, exec, s[8:9]
.LBB840_725:
	s_or_b64 exec, exec, s[2:3]
	s_movk_i32 s2, 0xff
	v_and_b32_sdwa v18, v3, s2 dst_sel:DWORD dst_unused:UNUSED_PAD src0_sel:WORD_1 src1_sel:DWORD
	v_lshrrev_b32_e32 v2, 16, v3
	v_cmp_ne_u16_e32 vcc, 0, v18
	v_mov_b32_e32 v16, 0
	v_mov_b32_e32 v17, 0
	s_and_saveexec_b64 s[2:3], vcc
	s_cbranch_execz .LBB840_731
; %bb.726:
	s_movk_i32 s7, 0x80
	v_cmp_ne_u16_e32 vcc, s7, v18
	v_mov_b32_e32 v17, 0xffff8000
	s_and_saveexec_b64 s[8:9], vcc
	s_cbranch_execz .LBB840_730
; %bb.727:
	v_bfe_u32 v18, v3, 16, 7
	s_movk_i32 s7, 0x7f
	v_cmp_ne_u32_e32 vcc, s7, v18
	v_mov_b32_e32 v17, 0x7f80
	s_and_saveexec_b64 s[10:11], vcc
	s_cbranch_execz .LBB840_729
; %bb.728:
	v_and_b32_e32 v17, 7, v2
	v_ffbh_u32_e32 v20, v17
	v_min_u32_e32 v23, 32, v20
	v_subrev_u32_e32 v20, 28, v23
	v_lshlrev_b64 v[20:21], v20, v[2:3]
	v_lshrrev_b32_e32 v19, 3, v18
	v_sub_u32_e32 v2, 29, v23
	v_and_b32_e32 v20, 7, v20
	v_cmp_gt_u32_e32 vcc, 8, v18
	v_mov_b32_e32 v18, 24
	v_cndmask_b32_e32 v2, v19, v2, vcc
	v_cndmask_b32_e32 v17, v17, v20, vcc
	v_lshlrev_b32_sdwa v18, v18, v3 dst_sel:DWORD dst_unused:UNUSED_PAD src0_sel:DWORD src1_sel:WORD_1
	v_bfrev_b32_e32 v19, 60
	v_lshlrev_b32_e32 v17, 20, v17
	v_and_b32_e32 v18, 0x80000000, v18
	v_lshl_add_u32 v2, v2, 23, v19
	v_or3_b32 v2, v18, v2, v17
	v_lshrrev_b32_e32 v17, 16, v2
.LBB840_729:
	s_or_b64 exec, exec, s[10:11]
.LBB840_730:
	s_or_b64 exec, exec, s[8:9]
.LBB840_731:
	s_or_b64 exec, exec, s[2:3]
	s_mov_b32 s2, 0xffffff
	v_cmp_lt_u32_e32 vcc, s2, v3
	s_and_saveexec_b64 s[2:3], vcc
	s_cbranch_execz .LBB840_737
; %bb.732:
	v_lshrrev_b32_e32 v2, 24, v3
	s_movk_i32 s7, 0x80
	v_cmp_ne_u32_e32 vcc, s7, v2
	v_mov_b32_e32 v16, 0xffff8000
	s_and_saveexec_b64 s[8:9], vcc
	s_cbranch_execz .LBB840_736
; %bb.733:
	v_bfe_u32 v3, v3, 24, 7
	s_movk_i32 s7, 0x7f
	v_cmp_ne_u32_e32 vcc, s7, v3
	v_mov_b32_e32 v16, 0x7f80
	s_and_saveexec_b64 s[10:11], vcc
	s_cbranch_execz .LBB840_735
; %bb.734:
	v_and_b32_e32 v16, 7, v2
	v_ffbh_u32_e32 v18, v16
	v_min_u32_e32 v21, 32, v18
	v_subrev_u32_e32 v18, 28, v21
	v_lshlrev_b64 v[18:19], v18, v[2:3]
	v_lshrrev_b32_e32 v20, 3, v3
	v_sub_u32_e32 v19, 29, v21
	v_and_b32_e32 v18, 7, v18
	v_cmp_gt_u32_e32 vcc, 8, v3
	v_cndmask_b32_e32 v3, v20, v19, vcc
	v_cndmask_b32_e32 v16, v16, v18, vcc
	v_lshlrev_b32_e32 v2, 24, v2
	v_bfrev_b32_e32 v18, 60
	v_lshlrev_b32_e32 v16, 20, v16
	v_and_b32_e32 v2, 0x80000000, v2
	v_lshl_add_u32 v3, v3, 23, v18
	v_or3_b32 v2, v2, v3, v16
	v_lshrrev_b32_e32 v16, 16, v2
.LBB840_735:
	s_or_b64 exec, exec, s[10:11]
.LBB840_736:
	s_or_b64 exec, exec, s[8:9]
.LBB840_737:
	s_or_b64 exec, exec, s[2:3]
	s_mov_b32 s2, 0x5040100
	v_perm_b32 v3, v13, v14, s2
	v_perm_b32 v2, v11, v12, s2
	ds_read_b128 v[18:21], v22 offset:6144
	v_perm_b32 v13, v16, v17, s2
	v_perm_b32 v12, v10, v15, s2
	s_waitcnt lgkmcnt(0)
	v_mfma_f32_16x16x16bf16_1k v[6:9], v[2:3], v[18:19], v[6:9]
	v_mov_b32_e32 v3, 0
	v_cmp_ne_u16_sdwa s[8:9], v4, v3 src0_sel:BYTE_0 src1_sel:DWORD
	v_mov_b32_e32 v10, 0
	v_mfma_f32_16x16x16bf16_1k v[6:9], v[12:13], v[20:21], v[6:9]
	s_and_saveexec_b64 s[2:3], s[8:9]
	s_cbranch_execz .LBB840_743
; %bb.738:
	s_movk_i32 s7, 0x80
	v_cmp_ne_u16_sdwa s[10:11], v4, s7 src0_sel:BYTE_0 src1_sel:DWORD
	v_mov_b32_e32 v10, 0xffff8000
	s_and_saveexec_b64 s[8:9], s[10:11]
	s_cbranch_execz .LBB840_742
; %bb.739:
	s_movk_i32 s7, 0x7f
	v_and_b32_e32 v2, 0x7f, v4
	v_cmp_ne_u32_e32 vcc, s7, v2
	v_mov_b32_e32 v10, 0x7f80
	s_and_saveexec_b64 s[10:11], vcc
	s_cbranch_execz .LBB840_741
; %bb.740:
	v_and_b32_e32 v12, 7, v4
	v_ffbh_u32_e32 v10, v12
	v_min_u32_e32 v14, 32, v10
	v_subrev_u32_e32 v10, 28, v14
	v_lshlrev_b64 v[10:11], v10, v[4:5]
	v_lshrrev_b32_e32 v13, 3, v2
	v_sub_u32_e32 v11, 29, v14
	v_and_b32_e32 v10, 7, v10
	v_cmp_gt_u32_e32 vcc, 8, v2
	v_cndmask_b32_e32 v2, v13, v11, vcc
	v_cndmask_b32_e32 v10, v12, v10, vcc
	v_lshlrev_b32_e32 v11, 24, v4
	v_bfrev_b32_e32 v12, 60
	v_lshlrev_b32_e32 v10, 20, v10
	v_and_b32_e32 v11, 0x80000000, v11
	v_lshl_add_u32 v2, v2, 23, v12
	v_or3_b32 v2, v11, v2, v10
	v_lshrrev_b32_e32 v10, 16, v2
.LBB840_741:
	s_or_b64 exec, exec, s[10:11]
.LBB840_742:
	s_or_b64 exec, exec, s[8:9]
.LBB840_743:
	s_or_b64 exec, exec, s[2:3]
	v_lshrrev_b16_e32 v2, 8, v4
	v_cmp_ne_u16_e32 vcc, 0, v2
	s_and_saveexec_b64 s[2:3], vcc
	s_cbranch_execz .LBB840_749
; %bb.744:
	s_movk_i32 s7, 0x80
	v_cmp_ne_u16_e32 vcc, s7, v2
	v_mov_b32_e32 v3, 0xffff8000
	s_and_saveexec_b64 s[8:9], vcc
	s_cbranch_execz .LBB840_748
; %bb.745:
	s_movk_i32 s7, 0x7f
	v_and_b32_e32 v11, 0x7f, v2
	v_cmp_ne_u32_e32 vcc, s7, v11
	v_mov_b32_e32 v3, 0x7f80
	s_and_saveexec_b64 s[10:11], vcc
	s_cbranch_execz .LBB840_747
; %bb.746:
	v_and_b32_e32 v12, 7, v2
	v_ffbh_u32_e32 v3, v12
	v_min_u32_e32 v14, 32, v3
	v_subrev_u32_e32 v3, 28, v14
	v_lshlrev_b64 v[2:3], v3, v[2:3]
	v_lshrrev_b32_e32 v13, 3, v11
	v_sub_u32_e32 v3, 29, v14
	v_and_b32_e32 v2, 7, v2
	v_cmp_gt_u32_e32 vcc, 8, v11
	v_cndmask_b32_e32 v3, v13, v3, vcc
	v_cndmask_b32_e32 v2, v12, v2, vcc
	v_lshlrev_b32_e32 v11, 16, v4
	v_bfrev_b32_e32 v12, 60
	v_lshlrev_b32_e32 v2, 20, v2
	v_and_b32_e32 v11, 0x80000000, v11
	v_lshl_add_u32 v3, v3, 23, v12
	v_or3_b32 v2, v11, v3, v2
	v_lshrrev_b32_e32 v3, 16, v2
.LBB840_747:
	s_or_b64 exec, exec, s[10:11]
.LBB840_748:
	s_or_b64 exec, exec, s[8:9]
.LBB840_749:
	s_or_b64 exec, exec, s[2:3]
	s_movk_i32 s2, 0xff
	v_and_b32_sdwa v13, v4, s2 dst_sel:DWORD dst_unused:UNUSED_PAD src0_sel:WORD_1 src1_sel:DWORD
	v_lshrrev_b32_e32 v2, 16, v4
	v_cmp_ne_u16_e32 vcc, 0, v13
	v_mov_b32_e32 v11, 0
	v_mov_b32_e32 v12, 0
	s_and_saveexec_b64 s[2:3], vcc
	s_cbranch_execz .LBB840_755
; %bb.750:
	s_movk_i32 s7, 0x80
	v_cmp_ne_u16_e32 vcc, s7, v13
	v_mov_b32_e32 v12, 0xffff8000
	s_and_saveexec_b64 s[8:9], vcc
	s_cbranch_execz .LBB840_754
; %bb.751:
	v_bfe_u32 v13, v4, 16, 7
	s_movk_i32 s7, 0x7f
	v_cmp_ne_u32_e32 vcc, s7, v13
	v_mov_b32_e32 v12, 0x7f80
	s_and_saveexec_b64 s[10:11], vcc
	s_cbranch_execz .LBB840_753
; %bb.752:
	v_and_b32_e32 v12, 7, v2
	v_ffbh_u32_e32 v14, v12
	v_min_u32_e32 v17, 32, v14
	v_subrev_u32_e32 v14, 28, v17
	v_lshlrev_b64 v[14:15], v14, v[2:3]
	v_lshrrev_b32_e32 v16, 3, v13
	v_sub_u32_e32 v2, 29, v17
	v_and_b32_e32 v14, 7, v14
	v_cmp_gt_u32_e32 vcc, 8, v13
	v_mov_b32_e32 v13, 24
	v_cndmask_b32_e32 v2, v16, v2, vcc
	v_cndmask_b32_e32 v12, v12, v14, vcc
	v_lshlrev_b32_sdwa v13, v13, v4 dst_sel:DWORD dst_unused:UNUSED_PAD src0_sel:DWORD src1_sel:WORD_1
	v_bfrev_b32_e32 v14, 60
	v_lshlrev_b32_e32 v12, 20, v12
	v_and_b32_e32 v13, 0x80000000, v13
	v_lshl_add_u32 v2, v2, 23, v14
	v_or3_b32 v2, v13, v2, v12
	v_lshrrev_b32_e32 v12, 16, v2
.LBB840_753:
	s_or_b64 exec, exec, s[10:11]
.LBB840_754:
	s_or_b64 exec, exec, s[8:9]
.LBB840_755:
	s_or_b64 exec, exec, s[2:3]
	s_mov_b32 s2, 0xffffff
	v_cmp_lt_u32_e32 vcc, s2, v4
	s_and_saveexec_b64 s[2:3], vcc
	s_cbranch_execz .LBB840_761
; %bb.756:
	v_lshrrev_b32_e32 v2, 24, v4
	s_movk_i32 s7, 0x80
	v_cmp_ne_u32_e32 vcc, s7, v2
	v_mov_b32_e32 v11, 0xffff8000
	s_and_saveexec_b64 s[8:9], vcc
	s_cbranch_execz .LBB840_760
; %bb.757:
	v_bfe_u32 v4, v4, 24, 7
	s_movk_i32 s7, 0x7f
	v_cmp_ne_u32_e32 vcc, s7, v4
	v_mov_b32_e32 v11, 0x7f80
	s_and_saveexec_b64 s[10:11], vcc
	s_cbranch_execz .LBB840_759
; %bb.758:
	v_and_b32_e32 v11, 7, v2
	v_ffbh_u32_e32 v14, v11
	v_min_u32_e32 v16, 32, v14
	v_subrev_u32_e32 v14, 28, v16
	v_lshlrev_b64 v[14:15], v14, v[2:3]
	v_lshrrev_b32_e32 v13, 3, v4
	v_sub_u32_e32 v15, 29, v16
	v_and_b32_e32 v14, 7, v14
	v_cmp_gt_u32_e32 vcc, 8, v4
	v_cndmask_b32_e32 v4, v13, v15, vcc
	v_cndmask_b32_e32 v11, v11, v14, vcc
	v_lshlrev_b32_e32 v2, 24, v2
	v_bfrev_b32_e32 v13, 60
	v_lshlrev_b32_e32 v11, 20, v11
	v_and_b32_e32 v2, 0x80000000, v2
	v_lshl_add_u32 v4, v4, 23, v13
	v_or3_b32 v2, v2, v4, v11
	v_lshrrev_b32_e32 v11, 16, v2
.LBB840_759:
	s_or_b64 exec, exec, s[10:11]
.LBB840_760:
	s_or_b64 exec, exec, s[8:9]
.LBB840_761:
	s_or_b64 exec, exec, s[2:3]
	v_mov_b32_e32 v4, 0
	v_cmp_ne_u16_sdwa s[8:9], v5, v4 src0_sel:BYTE_0 src1_sel:DWORD
	v_mov_b32_e32 v13, 0
	s_and_saveexec_b64 s[2:3], s[8:9]
	s_cbranch_execz .LBB840_767
; %bb.762:
	s_movk_i32 s7, 0x80
	v_cmp_ne_u16_sdwa s[10:11], v5, s7 src0_sel:BYTE_0 src1_sel:DWORD
	v_mov_b32_e32 v13, 0xffff8000
	s_and_saveexec_b64 s[8:9], s[10:11]
	s_cbranch_execz .LBB840_766
; %bb.763:
	s_movk_i32 s7, 0x7f
	v_and_b32_e32 v2, 0x7f, v5
	v_cmp_ne_u32_e32 vcc, s7, v2
	v_mov_b32_e32 v13, 0x7f80
	s_and_saveexec_b64 s[10:11], vcc
	s_cbranch_execz .LBB840_765
; %bb.764:
	v_and_b32_e32 v13, 7, v5
	v_ffbh_u32_e32 v15, v13
	v_min_u32_e32 v17, 32, v15
	v_mov_b32_e32 v14, v5
	v_subrev_u32_e32 v15, 28, v17
	v_lshlrev_b64 v[14:15], v15, v[14:15]
	v_lshrrev_b32_e32 v16, 3, v2
	v_sub_u32_e32 v15, 29, v17
	v_and_b32_e32 v14, 7, v14
	v_cmp_gt_u32_e32 vcc, 8, v2
	v_cndmask_b32_e32 v2, v16, v15, vcc
	v_cndmask_b32_e32 v13, v13, v14, vcc
	v_lshlrev_b32_e32 v14, 24, v5
	v_bfrev_b32_e32 v15, 60
	v_lshlrev_b32_e32 v13, 20, v13
	v_and_b32_e32 v14, 0x80000000, v14
	v_lshl_add_u32 v2, v2, 23, v15
	v_or3_b32 v2, v14, v2, v13
	v_lshrrev_b32_e32 v13, 16, v2
.LBB840_765:
	s_or_b64 exec, exec, s[10:11]
.LBB840_766:
	s_or_b64 exec, exec, s[8:9]
.LBB840_767:
	s_or_b64 exec, exec, s[2:3]
	v_lshrrev_b16_e32 v2, 8, v5
	v_cmp_ne_u16_e32 vcc, 0, v2
	s_and_saveexec_b64 s[2:3], vcc
	s_cbranch_execz .LBB840_773
; %bb.768:
	s_movk_i32 s7, 0x80
	v_cmp_ne_u16_e32 vcc, s7, v2
	v_mov_b32_e32 v4, 0xffff8000
	s_and_saveexec_b64 s[8:9], vcc
	s_cbranch_execz .LBB840_772
; %bb.769:
	s_movk_i32 s7, 0x7f
	v_and_b32_e32 v14, 0x7f, v2
	v_cmp_ne_u32_e32 vcc, s7, v14
	v_mov_b32_e32 v4, 0x7f80
	s_and_saveexec_b64 s[10:11], vcc
	s_cbranch_execz .LBB840_771
; %bb.770:
	v_and_b32_e32 v4, 7, v2
	v_ffbh_u32_e32 v16, v4
	v_min_u32_e32 v18, 32, v16
	v_subrev_u32_e32 v16, 28, v18
	v_lshlrev_b64 v[16:17], v16, v[2:3]
	v_lshrrev_b32_e32 v15, 3, v14
	v_sub_u32_e32 v2, 29, v18
	v_and_b32_e32 v16, 7, v16
	v_cmp_gt_u32_e32 vcc, 8, v14
	v_cndmask_b32_e32 v2, v15, v2, vcc
	v_cndmask_b32_e32 v4, v4, v16, vcc
	v_lshlrev_b32_e32 v14, 16, v5
	v_bfrev_b32_e32 v15, 60
	v_lshlrev_b32_e32 v4, 20, v4
	v_and_b32_e32 v14, 0x80000000, v14
	v_lshl_add_u32 v2, v2, 23, v15
	v_or3_b32 v2, v14, v2, v4
	v_lshrrev_b32_e32 v4, 16, v2
.LBB840_771:
	s_or_b64 exec, exec, s[10:11]
.LBB840_772:
	s_or_b64 exec, exec, s[8:9]
.LBB840_773:
	s_or_b64 exec, exec, s[2:3]
	s_movk_i32 s2, 0xff
	v_and_b32_sdwa v16, v5, s2 dst_sel:DWORD dst_unused:UNUSED_PAD src0_sel:WORD_1 src1_sel:DWORD
	v_lshrrev_b32_e32 v2, 16, v5
	v_cmp_ne_u16_e32 vcc, 0, v16
	v_mov_b32_e32 v14, 0
	v_mov_b32_e32 v15, 0
	s_and_saveexec_b64 s[2:3], vcc
	s_cbranch_execz .LBB840_779
; %bb.774:
	s_movk_i32 s7, 0x80
	v_cmp_ne_u16_e32 vcc, s7, v16
	v_mov_b32_e32 v15, 0xffff8000
	s_and_saveexec_b64 s[8:9], vcc
	s_cbranch_execz .LBB840_778
; %bb.775:
	v_bfe_u32 v16, v5, 16, 7
	s_movk_i32 s7, 0x7f
	v_cmp_ne_u32_e32 vcc, s7, v16
	v_mov_b32_e32 v15, 0x7f80
	s_and_saveexec_b64 s[10:11], vcc
	s_cbranch_execz .LBB840_777
; %bb.776:
	v_and_b32_e32 v15, 7, v2
	v_ffbh_u32_e32 v18, v15
	v_min_u32_e32 v20, 32, v18
	v_subrev_u32_e32 v18, 28, v20
	v_lshlrev_b64 v[18:19], v18, v[2:3]
	v_lshrrev_b32_e32 v17, 3, v16
	v_sub_u32_e32 v2, 29, v20
	v_and_b32_e32 v18, 7, v18
	v_cmp_gt_u32_e32 vcc, 8, v16
	v_mov_b32_e32 v16, 24
	v_cndmask_b32_e32 v2, v17, v2, vcc
	v_cndmask_b32_e32 v15, v15, v18, vcc
	v_lshlrev_b32_sdwa v16, v16, v5 dst_sel:DWORD dst_unused:UNUSED_PAD src0_sel:DWORD src1_sel:WORD_1
	v_bfrev_b32_e32 v17, 60
	v_lshlrev_b32_e32 v15, 20, v15
	v_and_b32_e32 v16, 0x80000000, v16
	v_lshl_add_u32 v2, v2, 23, v17
	v_or3_b32 v2, v16, v2, v15
	v_lshrrev_b32_e32 v15, 16, v2
.LBB840_777:
	s_or_b64 exec, exec, s[10:11]
.LBB840_778:
	s_or_b64 exec, exec, s[8:9]
.LBB840_779:
	s_or_b64 exec, exec, s[2:3]
	s_mov_b32 s2, 0xffffff
	v_cmp_lt_u32_e32 vcc, s2, v5
	s_and_saveexec_b64 s[2:3], vcc
	s_cbranch_execz .LBB840_785
; %bb.780:
	v_lshrrev_b32_e32 v2, 24, v5
	s_movk_i32 s7, 0x80
	v_cmp_ne_u32_e32 vcc, s7, v2
	v_mov_b32_e32 v14, 0xffff8000
	s_and_saveexec_b64 s[8:9], vcc
	s_cbranch_execz .LBB840_784
; %bb.781:
	v_bfe_u32 v5, v5, 24, 7
	s_movk_i32 s7, 0x7f
	v_cmp_ne_u32_e32 vcc, s7, v5
	v_mov_b32_e32 v14, 0x7f80
	s_and_saveexec_b64 s[10:11], vcc
	s_cbranch_execz .LBB840_783
; %bb.782:
	v_and_b32_e32 v14, 7, v2
	v_ffbh_u32_e32 v16, v14
	v_min_u32_e32 v19, 32, v16
	v_subrev_u32_e32 v16, 28, v19
	v_lshlrev_b64 v[16:17], v16, v[2:3]
	v_lshrrev_b32_e32 v18, 3, v5
	v_sub_u32_e32 v17, 29, v19
	v_and_b32_e32 v16, 7, v16
	v_cmp_gt_u32_e32 vcc, 8, v5
	v_cndmask_b32_e32 v5, v18, v17, vcc
	v_cndmask_b32_e32 v14, v14, v16, vcc
	v_lshlrev_b32_e32 v2, 24, v2
	v_bfrev_b32_e32 v16, 60
	v_lshlrev_b32_e32 v14, 20, v14
	v_and_b32_e32 v2, 0x80000000, v2
	v_lshl_add_u32 v5, v5, 23, v16
	v_or3_b32 v2, v2, v5, v14
	v_lshrrev_b32_e32 v14, 16, v2
.LBB840_783:
	s_or_b64 exec, exec, s[10:11]
.LBB840_784:
	s_or_b64 exec, exec, s[8:9]
.LBB840_785:
	s_or_b64 exec, exec, s[2:3]
	s_mov_b32 s3, 0x5040100
	v_perm_b32 v11, v11, v12, s3
	ds_read_b128 v[16:19], v22 offset:6160
	v_perm_b32 v10, v3, v10, s3
	v_perm_b32 v3, v14, v15, s3
	;; [unrolled: 1-line block ×3, first 2 shown]
	s_waitcnt lgkmcnt(0)
	v_mfma_f32_16x16x16bf16_1k v[6:9], v[10:11], v[16:17], v[6:9]
	s_load_dword s2, s[42:43], 0x0
	s_mov_b32 s3, 0x7060302
	s_movk_i32 s7, 0x7fff
	v_cmp_gt_u32_e32 vcc, 64, v0
	s_and_b64 s[0:1], vcc, s[0:1]
	s_waitcnt lgkmcnt(0)
	s_barrier
	v_mfma_f32_16x16x16bf16_1k v[2:5], v[2:3], v[18:19], v[6:9]
	s_nop 7
	s_nop 2
	v_pk_mul_f32 v[4:5], v[4:5], s[2:3] op_sel_hi:[1,0]
	v_pk_mul_f32 v[2:3], v[2:3], s[2:3] op_sel_hi:[1,0]
	v_bfe_u32 v6, v3, 16, 1
	v_bfe_u32 v7, v2, 16, 1
	;; [unrolled: 1-line block ×4, first 2 shown]
	v_add3_u32 v2, v2, v7, s7
	v_add3_u32 v3, v3, v6, s7
	;; [unrolled: 1-line block ×4, first 2 shown]
	v_perm_b32 v2, v3, v2, s3
	v_perm_b32 v3, v5, v4, s3
	ds_write_b64 v26, v[2:3]
	s_waitcnt lgkmcnt(0)
	s_barrier
	s_and_saveexec_b64 s[2:3], s[0:1]
	s_cbranch_execz .LBB840_788
; %bb.786:
	s_load_dwordx2 s[2:3], s[4:5], 0x68
	s_lshl_b32 s0, s44, 6
	s_mul_i32 s1, s12, s6
	s_mul_hi_u32 s7, s1, s0
	s_mul_i32 s6, s1, s0
	s_lshl_b64 s[6:7], s[6:7], 1
	s_waitcnt lgkmcnt(0)
	s_add_u32 s1, s2, s6
	v_lshlrev_b32_e32 v0, 10, v0
	s_mov_b32 s5, 0
	s_addc_u32 s6, s3, s7
	s_lshl_b32 s4, s24, 6
	v_and_b32_e32 v0, 0x1800, v0
	v_lshlrev_b32_e32 v2, 5, v1
	v_and_b32_e32 v3, 16, v47
	s_lshl_b64 s[2:3], s[4:5], 1
	v_or3_b32 v0, v0, v2, v3
	s_add_u32 s1, s1, s2
	s_addc_u32 s2, s6, s3
	ds_read_b128 v[4:7], v0 offset:128
	ds_read_b128 v[8:11], v0
	v_add_u32_e32 v14, s25, v1
	v_mov_b32_e32 v3, s2
	v_add_co_u32_e32 v2, vcc, s1, v46
	v_mad_u64_u32 v[12:13], s[2:3], v14, s0, 0
	v_addc_co_u32_e32 v3, vcc, 0, v3, vcc
	v_lshlrev_b64 v[12:13], 1, v[12:13]
	v_add_co_u32_e32 v12, vcc, v2, v12
	v_addc_co_u32_e32 v13, vcc, v3, v13, vcc
	s_waitcnt lgkmcnt(0)
	global_store_dwordx4 v[12:13], v[8:11], off
	s_nop 0
	v_add_u32_e32 v8, 4, v14
	v_mad_u64_u32 v[8:9], s[2:3], v8, s0, 0
	v_lshlrev_b64 v[8:9], 1, v[8:9]
	v_add_co_u32_e32 v8, vcc, v2, v8
	v_addc_co_u32_e32 v9, vcc, v3, v9, vcc
	v_cmp_ne_u32_e32 vcc, 3, v1
	global_store_dwordx4 v[8:9], v[4:7], off
	s_and_b64 exec, exec, vcc
	s_cbranch_execz .LBB840_788
; %bb.787:
	ds_read_b128 v[4:7], v0 offset:256
	v_add3_u32 v0, s25, v1, 8
	v_mad_u64_u32 v[0:1], s[0:1], v0, s0, 0
	v_lshlrev_b64 v[0:1], 1, v[0:1]
	v_add_co_u32_e32 v0, vcc, v2, v0
	v_addc_co_u32_e32 v1, vcc, v3, v1, vcc
	s_waitcnt lgkmcnt(0)
	global_store_dwordx4 v[0:1], v[4:7], off
.LBB840_788:
	s_endpgm
	.section	.rodata,"a",@progbits
	.p2align	6, 0x0
	.amdhsa_kernel _Z39paged_attention_ll4mi_QKV_mfma16_kernelI14__hip_bfloat16hLN4vllm18Fp8KVCacheDataTypeE1ES0_Li16ELi64ELi256ELb1ELi11EL8MFMAType0EEvPKT_PKT0_S9_ifPKiSB_SB_iPKfiiiPfSE_PS4_PT2_iSD_SD_
		.amdhsa_group_segment_fixed_size 8192
		.amdhsa_private_segment_fixed_size 0
		.amdhsa_kernarg_size 400
		.amdhsa_user_sgpr_count 6
		.amdhsa_user_sgpr_private_segment_buffer 1
		.amdhsa_user_sgpr_dispatch_ptr 0
		.amdhsa_user_sgpr_queue_ptr 0
		.amdhsa_user_sgpr_kernarg_segment_ptr 1
		.amdhsa_user_sgpr_dispatch_id 0
		.amdhsa_user_sgpr_flat_scratch_init 0
		.amdhsa_user_sgpr_kernarg_preload_length 0
		.amdhsa_user_sgpr_kernarg_preload_offset 0
		.amdhsa_user_sgpr_private_segment_size 0
		.amdhsa_uses_dynamic_stack 0
		.amdhsa_system_sgpr_private_segment_wavefront_offset 0
		.amdhsa_system_sgpr_workgroup_id_x 1
		.amdhsa_system_sgpr_workgroup_id_y 1
		.amdhsa_system_sgpr_workgroup_id_z 1
		.amdhsa_system_sgpr_workgroup_info 0
		.amdhsa_system_vgpr_workitem_id 0
		.amdhsa_next_free_vgpr 62
		.amdhsa_next_free_sgpr 47
		.amdhsa_accum_offset 64
		.amdhsa_reserve_vcc 1
		.amdhsa_reserve_flat_scratch 0
		.amdhsa_float_round_mode_32 0
		.amdhsa_float_round_mode_16_64 0
		.amdhsa_float_denorm_mode_32 3
		.amdhsa_float_denorm_mode_16_64 3
		.amdhsa_dx10_clamp 1
		.amdhsa_ieee_mode 1
		.amdhsa_fp16_overflow 0
		.amdhsa_tg_split 0
		.amdhsa_exception_fp_ieee_invalid_op 0
		.amdhsa_exception_fp_denorm_src 0
		.amdhsa_exception_fp_ieee_div_zero 0
		.amdhsa_exception_fp_ieee_overflow 0
		.amdhsa_exception_fp_ieee_underflow 0
		.amdhsa_exception_fp_ieee_inexact 0
		.amdhsa_exception_int_div_zero 0
	.end_amdhsa_kernel
	.section	.text._Z39paged_attention_ll4mi_QKV_mfma16_kernelI14__hip_bfloat16hLN4vllm18Fp8KVCacheDataTypeE1ES0_Li16ELi64ELi256ELb1ELi11EL8MFMAType0EEvPKT_PKT0_S9_ifPKiSB_SB_iPKfiiiPfSE_PS4_PT2_iSD_SD_,"axG",@progbits,_Z39paged_attention_ll4mi_QKV_mfma16_kernelI14__hip_bfloat16hLN4vllm18Fp8KVCacheDataTypeE1ES0_Li16ELi64ELi256ELb1ELi11EL8MFMAType0EEvPKT_PKT0_S9_ifPKiSB_SB_iPKfiiiPfSE_PS4_PT2_iSD_SD_,comdat
.Lfunc_end840:
	.size	_Z39paged_attention_ll4mi_QKV_mfma16_kernelI14__hip_bfloat16hLN4vllm18Fp8KVCacheDataTypeE1ES0_Li16ELi64ELi256ELb1ELi11EL8MFMAType0EEvPKT_PKT0_S9_ifPKiSB_SB_iPKfiiiPfSE_PS4_PT2_iSD_SD_, .Lfunc_end840-_Z39paged_attention_ll4mi_QKV_mfma16_kernelI14__hip_bfloat16hLN4vllm18Fp8KVCacheDataTypeE1ES0_Li16ELi64ELi256ELb1ELi11EL8MFMAType0EEvPKT_PKT0_S9_ifPKiSB_SB_iPKfiiiPfSE_PS4_PT2_iSD_SD_
                                        ; -- End function
	.section	.AMDGPU.csdata,"",@progbits
; Kernel info:
; codeLenInByte = 28664
; NumSgprs: 51
; NumVgprs: 62
; NumAgprs: 0
; TotalNumVgprs: 62
; ScratchSize: 0
; MemoryBound: 0
; FloatMode: 240
; IeeeMode: 1
; LDSByteSize: 8192 bytes/workgroup (compile time only)
; SGPRBlocks: 6
; VGPRBlocks: 7
; NumSGPRsForWavesPerEU: 51
; NumVGPRsForWavesPerEU: 62
; AccumOffset: 64
; Occupancy: 8
; WaveLimiterHint : 1
; COMPUTE_PGM_RSRC2:SCRATCH_EN: 0
; COMPUTE_PGM_RSRC2:USER_SGPR: 6
; COMPUTE_PGM_RSRC2:TRAP_HANDLER: 0
; COMPUTE_PGM_RSRC2:TGID_X_EN: 1
; COMPUTE_PGM_RSRC2:TGID_Y_EN: 1
; COMPUTE_PGM_RSRC2:TGID_Z_EN: 1
; COMPUTE_PGM_RSRC2:TIDIG_COMP_CNT: 0
; COMPUTE_PGM_RSRC3_GFX90A:ACCUM_OFFSET: 15
; COMPUTE_PGM_RSRC3_GFX90A:TG_SPLIT: 0
	.section	.text._Z39paged_attention_ll4mi_QKV_mfma16_kernelI14__hip_bfloat16hLN4vllm18Fp8KVCacheDataTypeE1ES0_Li16ELi64ELi256ELb1ELi12EL8MFMAType0EEvPKT_PKT0_S9_ifPKiSB_SB_iPKfiiiPfSE_PS4_PT2_iSD_SD_,"axG",@progbits,_Z39paged_attention_ll4mi_QKV_mfma16_kernelI14__hip_bfloat16hLN4vllm18Fp8KVCacheDataTypeE1ES0_Li16ELi64ELi256ELb1ELi12EL8MFMAType0EEvPKT_PKT0_S9_ifPKiSB_SB_iPKfiiiPfSE_PS4_PT2_iSD_SD_,comdat
	.protected	_Z39paged_attention_ll4mi_QKV_mfma16_kernelI14__hip_bfloat16hLN4vllm18Fp8KVCacheDataTypeE1ES0_Li16ELi64ELi256ELb1ELi12EL8MFMAType0EEvPKT_PKT0_S9_ifPKiSB_SB_iPKfiiiPfSE_PS4_PT2_iSD_SD_ ; -- Begin function _Z39paged_attention_ll4mi_QKV_mfma16_kernelI14__hip_bfloat16hLN4vllm18Fp8KVCacheDataTypeE1ES0_Li16ELi64ELi256ELb1ELi12EL8MFMAType0EEvPKT_PKT0_S9_ifPKiSB_SB_iPKfiiiPfSE_PS4_PT2_iSD_SD_
	.globl	_Z39paged_attention_ll4mi_QKV_mfma16_kernelI14__hip_bfloat16hLN4vllm18Fp8KVCacheDataTypeE1ES0_Li16ELi64ELi256ELb1ELi12EL8MFMAType0EEvPKT_PKT0_S9_ifPKiSB_SB_iPKfiiiPfSE_PS4_PT2_iSD_SD_
	.p2align	8
	.type	_Z39paged_attention_ll4mi_QKV_mfma16_kernelI14__hip_bfloat16hLN4vllm18Fp8KVCacheDataTypeE1ES0_Li16ELi64ELi256ELb1ELi12EL8MFMAType0EEvPKT_PKT0_S9_ifPKiSB_SB_iPKfiiiPfSE_PS4_PT2_iSD_SD_,@function
_Z39paged_attention_ll4mi_QKV_mfma16_kernelI14__hip_bfloat16hLN4vllm18Fp8KVCacheDataTypeE1ES0_Li16ELi64ELi256ELb1ELi12EL8MFMAType0EEvPKT_PKT0_S9_ifPKiSB_SB_iPKfiiiPfSE_PS4_PT2_iSD_SD_: ; @_Z39paged_attention_ll4mi_QKV_mfma16_kernelI14__hip_bfloat16hLN4vllm18Fp8KVCacheDataTypeE1ES0_Li16ELi64ELi256ELb1ELi12EL8MFMAType0EEvPKT_PKT0_S9_ifPKiSB_SB_iPKfiiiPfSE_PS4_PT2_iSD_SD_
; %bb.0:
	s_load_dwordx2 s[0:1], s[4:5], 0x30
	s_mov_b32 s24, s7
	s_mov_b64 s[10:11], 0
	s_waitcnt lgkmcnt(0)
	s_cmp_lg_u64 s[0:1], 0
	s_cselect_b64 s[2:3], -1, 0
	s_and_b64 vcc, exec, s[2:3]
	s_cbranch_vccz .LBB841_7
; %bb.1:
	s_add_i32 s12, s6, 1
	s_mov_b32 s13, 0
	s_lshl_b64 s[14:15], s[12:13], 2
	s_add_u32 s14, s0, s14
	s_mov_b32 s7, s13
	s_addc_u32 s15, s1, s15
	s_lshl_b64 s[12:13], s[6:7], 2
	s_add_u32 s12, s0, s12
	s_addc_u32 s13, s1, s13
	s_load_dword s9, s[14:15], 0x0
	s_load_dword s16, s[12:13], 0x0
	s_waitcnt lgkmcnt(0)
	s_sub_i32 s9, s9, s16
	s_cmp_eq_u32 s9, 1
	s_cselect_b64 s[12:13], -1, 0
	s_andn2_b64 vcc, exec, s[10:11]
	s_cbranch_vccnz .LBB841_3
.LBB841_2:
	s_mov_b32 s7, 0
	s_mov_b64 s[12:13], -1
.LBB841_3:
	s_andn2_b64 vcc, exec, s[12:13]
	s_cbranch_vccnz .LBB841_787
; %bb.4:
	s_load_dwordx2 s[12:13], s[4:5], 0x28
	s_lshl_b64 s[10:11], s[6:7], 2
	s_waitcnt lgkmcnt(0)
	s_add_u32 s12, s12, s10
	s_addc_u32 s13, s13, s11
	s_load_dword s33, s[12:13], 0x0
	s_lshl_b32 s18, s24, 8
	s_waitcnt lgkmcnt(0)
	s_cmp_ge_i32 s18, s33
	s_cbranch_scc1 .LBB841_787
; %bb.5:
	s_add_i32 s14, s33, 15
	s_load_dwordx2 s[12:13], s[4:5], 0x20
	s_load_dword s9, s[4:5], 0x38
	s_ashr_i32 s15, s14, 31
	v_and_b32_e32 v1, 0xcf, v0
	s_lshr_b32 s15, s15, 28
	v_add_u32_e32 v1, s18, v1
	s_add_i32 s14, s14, s15
	v_ashrrev_i32_e32 v2, 31, v1
	s_ashr_i32 s21, s14, 4
	v_lshrrev_b32_e32 v4, 28, v2
	s_add_i32 s21, s21, -1
	v_add_u32_e32 v2, v1, v4
	s_waitcnt lgkmcnt(0)
	s_mul_i32 s14, s6, s9
	s_mov_b32 s15, 0
	v_ashrrev_i32_e32 v2, 4, v2
	v_mov_b32_e32 v5, s21
	v_cmp_gt_i32_e32 vcc, s33, v1
	s_lshl_b64 s[14:15], s[14:15], 2
	v_cndmask_b32_e32 v2, v5, v2, vcc
	s_add_u32 s19, s12, s14
	v_ashrrev_i32_e32 v3, 31, v2
	s_addc_u32 s20, s13, s15
	v_lshlrev_b64 v[2:3], 2, v[2:3]
	v_mov_b32_e32 v7, s20
	v_add_co_u32_e32 v6, vcc, s19, v2
	v_or_b32_e32 v2, 16, v1
	v_addc_co_u32_e32 v7, vcc, v7, v3, vcc
	v_add_u32_e32 v3, v2, v4
	v_ashrrev_i32_e32 v3, 4, v3
	v_cmp_gt_i32_e32 vcc, s33, v2
	v_cndmask_b32_e32 v2, v5, v3, vcc
	v_ashrrev_i32_e32 v3, 31, v2
	v_lshlrev_b64 v[2:3], 2, v[2:3]
	v_mov_b32_e32 v9, s20
	v_add_co_u32_e32 v8, vcc, s19, v2
	v_or_b32_e32 v2, 32, v1
	v_addc_co_u32_e32 v9, vcc, v9, v3, vcc
	v_add_u32_e32 v3, v2, v4
	v_ashrrev_i32_e32 v3, 4, v3
	v_cmp_gt_i32_e32 vcc, s33, v2
	v_cndmask_b32_e32 v2, v5, v3, vcc
	v_ashrrev_i32_e32 v3, 31, v2
	;; [unrolled: 10-line block ×3, first 2 shown]
	v_lshlrev_b64 v[2:3], 2, v[2:3]
	v_mov_b32_e32 v1, s20
	v_add_co_u32_e32 v12, vcc, s19, v2
	v_addc_co_u32_e32 v13, vcc, v1, v3, vcc
	global_load_dword v5, v[6:7], off
	global_load_dword v4, v[8:9], off
	;; [unrolled: 1-line block ×4, first 2 shown]
	s_load_dwordx2 s[16:17], s[4:5], 0x8
	s_andn2_b64 vcc, exec, s[2:3]
	s_cbranch_vccnz .LBB841_8
; %bb.6:
	s_add_u32 s0, s0, s10
	s_addc_u32 s1, s1, s11
	s_load_dword s9, s[0:1], 0x0
	s_branch .LBB841_9
.LBB841_7:
	s_mov_b64 s[12:13], 0
	s_branch .LBB841_2
.LBB841_8:
	s_mov_b32 s9, s6
.LBB841_9:
	s_load_dwordx2 s[2:3], s[4:5], 0x10
	s_load_dwordx4 s[12:15], s[4:5], 0x48
	v_and_b32_e32 v48, 15, v0
	s_movk_i32 s0, 0xc0
	v_lshlrev_b32_e32 v6, 3, v48
	v_cmp_gt_u32_e32 vcc, s0, v0
	v_cmp_gt_u32_e64 s[0:1], 8, v48
	v_lshrrev_b32_e32 v49, 6, v0
	v_bfe_u32 v1, v0, 4, 2
	s_mul_i32 s25, s8, 12
	s_and_b64 s[22:23], vcc, s[0:1]
	v_lshlrev_b32_e32 v46, 1, v6
	v_lshlrev_b32_e32 v47, 4, v0
	s_and_saveexec_b64 s[10:11], s[22:23]
	s_cbranch_execz .LBB841_11
; %bb.10:
	s_load_dwordx2 s[22:23], s[4:5], 0x0
	s_waitcnt lgkmcnt(0)
	s_ashr_i32 s15, s12, 31
	s_mul_hi_u32 s26, s9, s12
	s_mul_i32 s15, s9, s15
	v_lshl_or_b32 v10, v49, 2, v1
	s_add_i32 s27, s26, s15
	s_mul_i32 s26, s9, s12
	s_lshl_b64 s[26:27], s[26:27], 1
	v_add_lshl_u32 v6, v10, s25, 6
	s_add_u32 s9, s22, s26
	v_ashrrev_i32_e32 v7, 31, v6
	s_addc_u32 s12, s23, s27
	v_lshlrev_b64 v[6:7], 1, v[6:7]
	v_mov_b32_e32 v8, s12
	v_add_co_u32_e32 v6, vcc, s9, v6
	v_addc_co_u32_e32 v7, vcc, v8, v7, vcc
	v_add_co_u32_e32 v6, vcc, v6, v46
	v_addc_co_u32_e32 v7, vcc, 0, v7, vcc
	global_load_dwordx4 v[6:9], v[6:7], off
	v_lshlrev_b32_e32 v12, 8, v48
	v_lshlrev_b32_e32 v10, 5, v10
	v_and_b32_e32 v11, 16, v47
	v_and_b32_e32 v12, 0xe00, v12
	v_or3_b32 v10, v12, v10, v11
	s_waitcnt vmcnt(0)
	ds_write_b128 v10, v[6:9]
.LBB841_11:
	s_or_b64 exec, exec, s[10:11]
	s_waitcnt lgkmcnt(0)
	s_mul_i32 s10, s8, s14
	s_add_u32 s8, s16, s10
	s_addc_u32 s9, s17, 0
	v_and_b32_e32 v7, 0xf0, v47
	v_and_b32_e32 v6, 48, v0
	v_mov_b32_e32 v8, s9
	v_add_co_u32_e32 v7, vcc, s8, v7
	v_addc_co_u32_e32 v9, vcc, 0, v8, vcc
	v_lshlrev_b32_e32 v8, 4, v6
	v_add_co_u32_e32 v8, vcc, v7, v8
	v_addc_co_u32_e32 v9, vcc, 0, v9, vcc
	s_waitcnt vmcnt(3)
	v_mad_i64_i32 v[10:11], s[8:9], v5, s13, v[8:9]
	s_waitcnt vmcnt(2)
	v_mad_i64_i32 v[4:5], s[8:9], v4, s13, v[8:9]
	s_barrier
	global_load_dwordx4 v[34:37], v[10:11], off
	global_load_dwordx4 v[38:41], v[4:5], off
	s_waitcnt vmcnt(3)
	v_mad_i64_i32 v[4:5], s[8:9], v2, s13, v[8:9]
	s_waitcnt vmcnt(2)
	v_mad_i64_i32 v[2:3], s[8:9], v3, s13, v[8:9]
	global_load_dwordx4 v[30:33], v[4:5], off
	global_load_dwordx4 v[22:25], v[2:3], off
	v_add_u32_e32 v2, -12, v48
	v_cmp_gt_u32_e32 vcc, 12, v48
	v_cndmask_b32_e32 v2, v2, v48, vcc
	v_lshlrev_b32_e32 v2, 5, v2
	v_lshl_add_u32 v2, v1, 9, v2
	ds_read_b128 v[26:29], v2
	ds_read_b128 v[18:21], v2 offset:16
	v_mov_b32_e32 v43, 0
	v_mov_b32_e32 v50, 0
	s_and_saveexec_b64 s[8:9], vcc
	s_cbranch_execz .LBB841_13
; %bb.12:
	s_load_dwordx2 s[14:15], s[4:5], 0x40
	v_add_u32_e32 v2, s25, v48
	v_ashrrev_i32_e32 v3, 31, v2
	v_lshlrev_b64 v[2:3], 2, v[2:3]
	s_waitcnt lgkmcnt(0)
	v_mov_b32_e32 v4, s15
	v_add_co_u32_e32 v2, vcc, s14, v2
	v_addc_co_u32_e32 v3, vcc, v4, v3, vcc
	global_load_dword v50, v[2:3], off
.LBB841_13:
	s_or_b64 exec, exec, s[8:9]
	v_or_b32_e32 v8, s18, v6
	v_ashrrev_i32_e32 v2, 4, v8
	v_mov_b32_e32 v9, s21
	v_cmp_gt_i32_e32 vcc, s33, v8
	v_cndmask_b32_e32 v2, v9, v2, vcc
	v_ashrrev_i32_e32 v3, 31, v2
	v_lshlrev_b64 v[2:3], 2, v[2:3]
	v_mov_b32_e32 v4, s20
	v_add_co_u32_e32 v2, vcc, s19, v2
	v_addc_co_u32_e32 v3, vcc, v4, v3, vcc
	v_or_b32_e32 v4, 64, v8
	v_ashrrev_i32_e32 v5, 4, v4
	v_cmp_gt_i32_e32 vcc, s33, v4
	v_cndmask_b32_e32 v4, v9, v5, vcc
	v_ashrrev_i32_e32 v5, 31, v4
	v_lshlrev_b64 v[4:5], 2, v[4:5]
	v_mov_b32_e32 v6, s20
	v_add_co_u32_e32 v4, vcc, s19, v4
	v_addc_co_u32_e32 v5, vcc, v6, v5, vcc
	v_or_b32_e32 v6, 0x80, v8
	v_ashrrev_i32_e32 v7, 4, v6
	v_cmp_gt_i32_e32 vcc, s33, v6
	v_cndmask_b32_e32 v6, v9, v7, vcc
	v_ashrrev_i32_e32 v7, 31, v6
	v_lshlrev_b64 v[6:7], 2, v[6:7]
	v_mov_b32_e32 v10, s20
	v_add_co_u32_e32 v6, vcc, s19, v6
	v_addc_co_u32_e32 v7, vcc, v10, v7, vcc
	global_load_dword v10, v[2:3], off
	global_load_dword v11, v[4:5], off
	;; [unrolled: 1-line block ×3, first 2 shown]
	v_or_b32_e32 v2, 0xc0, v8
	v_ashrrev_i32_e32 v3, 4, v2
	v_cmp_gt_i32_e32 vcc, s33, v2
	v_cndmask_b32_e32 v2, v9, v3, vcc
	v_ashrrev_i32_e32 v3, 31, v2
	v_lshlrev_b64 v[2:3], 2, v[2:3]
	v_mov_b32_e32 v4, s20
	v_add_co_u32_e32 v2, vcc, s19, v2
	v_addc_co_u32_e32 v3, vcc, v4, v3, vcc
	global_load_dword v13, v[2:3], off
	s_add_u32 s2, s2, s10
	v_lshlrev_b32_e32 v2, 4, v48
	s_addc_u32 s3, s3, 0
	v_lshl_or_b32 v2, v49, 8, v2
	v_mov_b32_e32 v3, s3
	v_add_co_u32_e32 v2, vcc, s2, v2
	v_addc_co_u32_e32 v3, vcc, 0, v3, vcc
	s_movk_i32 s8, 0x80
	s_waitcnt vmcnt(7)
	v_cmp_ne_u16_sdwa s[10:11], v34, v43 src0_sel:BYTE_0 src1_sel:DWORD
	s_waitcnt vmcnt(3)
	v_mad_i64_i32 v[4:5], s[2:3], v10, s13, v[2:3]
	s_waitcnt vmcnt(2)
	v_mad_i64_i32 v[6:7], s[2:3], v11, s13, v[2:3]
	;; [unrolled: 2-line block ×4, first 2 shown]
	global_load_dwordx4 v[14:17], v[4:5], off
	global_load_dwordx4 v[10:13], v[6:7], off
                                        ; kill: killed $vgpr6_vgpr7
                                        ; kill: killed $vgpr4_vgpr5
	s_nop 0
	global_load_dwordx4 v[6:9], v[8:9], off
	s_nop 0
	global_load_dwordx4 v[2:5], v[2:3], off
	s_load_dwordx4 s[40:43], s[4:5], 0x80
	s_load_dwordx2 s[44:45], s[4:5], 0x94
                                        ; kill: killed $sgpr40_sgpr41
	s_waitcnt lgkmcnt(0)
	s_load_dword s12, s[40:41], 0x0
	s_and_saveexec_b64 s[2:3], s[10:11]
	s_cbranch_execz .LBB841_19
; %bb.14:
	v_cmp_ne_u16_sdwa s[10:11], v34, s8 src0_sel:BYTE_0 src1_sel:DWORD
	v_mov_b32_e32 v43, 0xffff8000
	s_and_saveexec_b64 s[8:9], s[10:11]
	s_cbranch_execz .LBB841_18
; %bb.15:
	s_movk_i32 s10, 0x7f
	v_and_b32_e32 v42, 0x7f, v34
	v_cmp_ne_u32_e32 vcc, s10, v42
	v_mov_b32_e32 v43, 0x7f80
	s_and_saveexec_b64 s[10:11], vcc
	s_cbranch_execz .LBB841_17
; %bb.16:
	v_and_b32_e32 v43, 7, v34
	v_ffbh_u32_e32 v44, v43
	v_min_u32_e32 v52, 32, v44
	v_subrev_u32_e32 v44, 28, v52
	v_lshlrev_b64 v[44:45], v44, v[34:35]
	v_lshrrev_b32_e32 v51, 3, v42
	v_sub_u32_e32 v45, 29, v52
	v_and_b32_e32 v44, 7, v44
	v_cmp_gt_u32_e32 vcc, 8, v42
	v_cndmask_b32_e32 v42, v51, v45, vcc
	v_cndmask_b32_e32 v43, v43, v44, vcc
	v_lshlrev_b32_e32 v44, 24, v34
	v_bfrev_b32_e32 v45, 60
	v_lshlrev_b32_e32 v43, 20, v43
	v_and_b32_e32 v44, 0x80000000, v44
	v_lshl_add_u32 v42, v42, 23, v45
	v_or3_b32 v42, v44, v42, v43
	v_lshrrev_b32_e32 v43, 16, v42
.LBB841_17:
	s_or_b64 exec, exec, s[10:11]
.LBB841_18:
	s_or_b64 exec, exec, s[8:9]
.LBB841_19:
	s_or_b64 exec, exec, s[2:3]
	v_lshrrev_b16_e32 v42, 8, v34
	v_cmp_ne_u16_e32 vcc, 0, v42
	v_mov_b32_e32 v45, 0
	v_mov_b32_e32 v44, 0
	s_and_saveexec_b64 s[2:3], vcc
	s_cbranch_execz .LBB841_25
; %bb.20:
	s_movk_i32 s8, 0x80
	v_cmp_ne_u16_sdwa s[10:11], v34, s8 src0_sel:BYTE_1 src1_sel:DWORD
	v_mov_b32_e32 v44, 0xffff8000
	s_and_saveexec_b64 s[8:9], s[10:11]
	s_cbranch_execz .LBB841_24
; %bb.21:
	s_movk_i32 s10, 0x7f
	v_and_b32_e32 v51, 0x7f, v42
	v_cmp_ne_u32_e32 vcc, s10, v51
	v_mov_b32_e32 v44, 0x7f80
	s_and_saveexec_b64 s[10:11], vcc
	s_cbranch_execz .LBB841_23
; %bb.22:
	v_and_b32_e32 v44, 7, v42
	v_ffbh_u32_e32 v52, v44
	v_min_u32_e32 v55, 32, v52
	v_subrev_u32_e32 v52, 28, v55
	v_lshlrev_b64 v[52:53], v52, v[42:43]
	v_lshrrev_b32_e32 v54, 3, v51
	v_sub_u32_e32 v42, 29, v55
	v_and_b32_e32 v52, 7, v52
	v_cmp_gt_u32_e32 vcc, 8, v51
	v_cndmask_b32_e32 v42, v54, v42, vcc
	v_cndmask_b32_e32 v44, v44, v52, vcc
	v_lshlrev_b32_e32 v51, 16, v34
	v_bfrev_b32_e32 v52, 60
	v_lshlrev_b32_e32 v44, 20, v44
	v_and_b32_e32 v51, 0x80000000, v51
	v_lshl_add_u32 v42, v42, 23, v52
	v_or3_b32 v42, v51, v42, v44
	v_lshrrev_b32_e32 v44, 16, v42
.LBB841_23:
	s_or_b64 exec, exec, s[10:11]
.LBB841_24:
	s_or_b64 exec, exec, s[8:9]
.LBB841_25:
	s_or_b64 exec, exec, s[2:3]
	s_movk_i32 s2, 0xff
	v_and_b32_sdwa v51, v34, s2 dst_sel:DWORD dst_unused:UNUSED_PAD src0_sel:WORD_1 src1_sel:DWORD
	v_lshrrev_b32_e32 v42, 16, v34
	v_cmp_ne_u16_e32 vcc, 0, v51
	s_and_saveexec_b64 s[2:3], vcc
	s_cbranch_execz .LBB841_31
; %bb.26:
	s_movk_i32 s8, 0x80
	v_cmp_ne_u16_e32 vcc, s8, v51
	v_mov_b32_e32 v45, 0xffff8000
	s_and_saveexec_b64 s[8:9], vcc
	s_cbranch_execz .LBB841_30
; %bb.27:
	v_bfe_u32 v51, v34, 16, 7
	s_movk_i32 s10, 0x7f
	v_cmp_ne_u32_e32 vcc, s10, v51
	v_mov_b32_e32 v45, 0x7f80
	s_and_saveexec_b64 s[10:11], vcc
	s_cbranch_execz .LBB841_29
; %bb.28:
	v_and_b32_e32 v45, 7, v42
	v_ffbh_u32_e32 v52, v45
	v_min_u32_e32 v55, 32, v52
	v_subrev_u32_e32 v52, 28, v55
	v_lshlrev_b64 v[52:53], v52, v[42:43]
	v_lshrrev_b32_e32 v54, 3, v51
	v_sub_u32_e32 v42, 29, v55
	v_and_b32_e32 v52, 7, v52
	v_cmp_gt_u32_e32 vcc, 8, v51
	v_mov_b32_e32 v51, 24
	v_cndmask_b32_e32 v42, v54, v42, vcc
	v_cndmask_b32_e32 v45, v45, v52, vcc
	v_lshlrev_b32_sdwa v51, v51, v34 dst_sel:DWORD dst_unused:UNUSED_PAD src0_sel:DWORD src1_sel:WORD_1
	v_bfrev_b32_e32 v52, 60
	v_lshlrev_b32_e32 v45, 20, v45
	v_and_b32_e32 v51, 0x80000000, v51
	v_lshl_add_u32 v42, v42, 23, v52
	v_or3_b32 v42, v51, v42, v45
	v_lshrrev_b32_e32 v45, 16, v42
.LBB841_29:
	s_or_b64 exec, exec, s[10:11]
.LBB841_30:
	s_or_b64 exec, exec, s[8:9]
.LBB841_31:
	s_or_b64 exec, exec, s[2:3]
	s_mov_b32 s2, 0xffffff
	v_cmp_lt_u32_e32 vcc, s2, v34
	v_mov_b32_e32 v52, 0
	v_mov_b32_e32 v53, 0
	s_and_saveexec_b64 s[2:3], vcc
	s_cbranch_execz .LBB841_37
; %bb.32:
	v_lshrrev_b32_e32 v42, 24, v34
	s_movk_i32 s8, 0x80
	v_cmp_ne_u32_e32 vcc, s8, v42
	v_mov_b32_e32 v53, 0xffff8000
	s_and_saveexec_b64 s[8:9], vcc
	s_cbranch_execz .LBB841_36
; %bb.33:
	v_bfe_u32 v34, v34, 24, 7
	s_movk_i32 s10, 0x7f
	v_cmp_ne_u32_e32 vcc, s10, v34
	v_mov_b32_e32 v53, 0x7f80
	s_and_saveexec_b64 s[10:11], vcc
	s_cbranch_execz .LBB841_35
; %bb.34:
	v_and_b32_e32 v51, 7, v42
	v_ffbh_u32_e32 v54, v51
	v_min_u32_e32 v56, 32, v54
	v_subrev_u32_e32 v54, 28, v56
	v_lshlrev_b64 v[54:55], v54, v[42:43]
	v_lshrrev_b32_e32 v53, 3, v34
	v_sub_u32_e32 v55, 29, v56
	v_and_b32_e32 v54, 7, v54
	v_cmp_gt_u32_e32 vcc, 8, v34
	v_cndmask_b32_e32 v34, v53, v55, vcc
	v_cndmask_b32_e32 v51, v51, v54, vcc
	v_lshlrev_b32_e32 v42, 24, v42
	v_bfrev_b32_e32 v53, 60
	v_lshlrev_b32_e32 v51, 20, v51
	v_and_b32_e32 v42, 0x80000000, v42
	v_lshl_add_u32 v34, v34, 23, v53
	v_or3_b32 v34, v42, v34, v51
	v_lshrrev_b32_e32 v53, 16, v34
.LBB841_35:
	s_or_b64 exec, exec, s[10:11]
.LBB841_36:
	s_or_b64 exec, exec, s[8:9]
.LBB841_37:
	s_or_b64 exec, exec, s[2:3]
	v_cmp_ne_u16_sdwa s[8:9], v35, v52 src0_sel:BYTE_0 src1_sel:DWORD
	s_and_saveexec_b64 s[2:3], s[8:9]
	s_cbranch_execz .LBB841_43
; %bb.38:
	s_movk_i32 s8, 0x80
	v_cmp_ne_u16_sdwa s[10:11], v35, s8 src0_sel:BYTE_0 src1_sel:DWORD
	v_mov_b32_e32 v52, 0xffff8000
	s_and_saveexec_b64 s[8:9], s[10:11]
	s_cbranch_execz .LBB841_42
; %bb.39:
	s_movk_i32 s10, 0x7f
	v_and_b32_e32 v34, 0x7f, v35
	v_cmp_ne_u32_e32 vcc, s10, v34
	v_mov_b32_e32 v52, 0x7f80
	s_and_saveexec_b64 s[10:11], vcc
	s_cbranch_execz .LBB841_41
; %bb.40:
	v_and_b32_e32 v51, 7, v35
	v_ffbh_u32_e32 v54, v51
	v_min_u32_e32 v56, 32, v54
	v_mov_b32_e32 v42, v35
	v_subrev_u32_e32 v54, 28, v56
	v_lshlrev_b64 v[54:55], v54, v[42:43]
	v_lshrrev_b32_e32 v52, 3, v34
	v_sub_u32_e32 v42, 29, v56
	v_and_b32_e32 v54, 7, v54
	v_cmp_gt_u32_e32 vcc, 8, v34
	v_cndmask_b32_e32 v34, v52, v42, vcc
	v_cndmask_b32_e32 v42, v51, v54, vcc
	v_lshlrev_b32_e32 v51, 24, v35
	v_bfrev_b32_e32 v52, 60
	v_lshlrev_b32_e32 v42, 20, v42
	v_and_b32_e32 v51, 0x80000000, v51
	v_lshl_add_u32 v34, v34, 23, v52
	v_or3_b32 v34, v51, v34, v42
	v_lshrrev_b32_e32 v52, 16, v34
.LBB841_41:
	s_or_b64 exec, exec, s[10:11]
.LBB841_42:
	s_or_b64 exec, exec, s[8:9]
.LBB841_43:
	s_or_b64 exec, exec, s[2:3]
	v_lshrrev_b16_e32 v34, 8, v35
	v_cmp_ne_u16_e32 vcc, 0, v34
	v_mov_b32_e32 v54, 0
	v_mov_b32_e32 v42, 0
	s_and_saveexec_b64 s[2:3], vcc
	s_cbranch_execz .LBB841_49
; %bb.44:
	s_movk_i32 s8, 0x80
	v_cmp_ne_u16_e32 vcc, s8, v34
	v_mov_b32_e32 v42, 0xffff8000
	s_and_saveexec_b64 s[8:9], vcc
	s_cbranch_execz .LBB841_48
; %bb.45:
	s_movk_i32 s10, 0x7f
	v_and_b32_e32 v51, 0x7f, v34
	v_cmp_ne_u32_e32 vcc, s10, v51
	v_mov_b32_e32 v42, 0x7f80
	s_and_saveexec_b64 s[10:11], vcc
	s_cbranch_execz .LBB841_47
; %bb.46:
	v_and_b32_e32 v42, 7, v34
	v_ffbh_u32_e32 v56, v42
	v_min_u32_e32 v58, 32, v56
	v_subrev_u32_e32 v56, 28, v58
	v_lshlrev_b64 v[56:57], v56, v[34:35]
	v_lshrrev_b32_e32 v55, 3, v51
	v_sub_u32_e32 v34, 29, v58
	v_and_b32_e32 v56, 7, v56
	v_cmp_gt_u32_e32 vcc, 8, v51
	v_cndmask_b32_e32 v34, v55, v34, vcc
	v_cndmask_b32_e32 v42, v42, v56, vcc
	v_lshlrev_b32_e32 v51, 16, v35
	v_bfrev_b32_e32 v55, 60
	v_lshlrev_b32_e32 v42, 20, v42
	v_and_b32_e32 v51, 0x80000000, v51
	v_lshl_add_u32 v34, v34, 23, v55
	v_or3_b32 v34, v51, v34, v42
	v_lshrrev_b32_e32 v42, 16, v34
.LBB841_47:
	s_or_b64 exec, exec, s[10:11]
.LBB841_48:
	s_or_b64 exec, exec, s[8:9]
.LBB841_49:
	s_or_b64 exec, exec, s[2:3]
	s_movk_i32 s2, 0xff
	v_and_b32_sdwa v51, v35, s2 dst_sel:DWORD dst_unused:UNUSED_PAD src0_sel:WORD_1 src1_sel:DWORD
	v_lshrrev_b32_e32 v34, 16, v35
	v_cmp_ne_u16_e32 vcc, 0, v51
	s_and_saveexec_b64 s[2:3], vcc
	s_cbranch_execz .LBB841_55
; %bb.50:
	s_movk_i32 s8, 0x80
	v_cmp_ne_u16_e32 vcc, s8, v51
	v_mov_b32_e32 v54, 0xffff8000
	s_and_saveexec_b64 s[8:9], vcc
	s_cbranch_execz .LBB841_54
; %bb.51:
	v_bfe_u32 v51, v35, 16, 7
	s_movk_i32 s10, 0x7f
	v_cmp_ne_u32_e32 vcc, s10, v51
	v_mov_b32_e32 v54, 0x7f80
	s_and_saveexec_b64 s[10:11], vcc
	s_cbranch_execz .LBB841_53
; %bb.52:
	v_and_b32_e32 v56, 7, v34
	v_ffbh_u32_e32 v54, v56
	v_min_u32_e32 v58, 32, v54
	v_subrev_u32_e32 v54, 28, v58
	v_lshlrev_b64 v[54:55], v54, v[34:35]
	v_and_b32_e32 v54, 7, v54
	v_cmp_gt_u32_e32 vcc, 8, v51
	v_lshrrev_b32_e32 v57, 3, v51
	v_sub_u32_e32 v34, 29, v58
	v_cndmask_b32_e32 v51, v56, v54, vcc
	v_mov_b32_e32 v54, 24
	v_cndmask_b32_e32 v34, v57, v34, vcc
	v_lshlrev_b32_sdwa v54, v54, v35 dst_sel:DWORD dst_unused:UNUSED_PAD src0_sel:DWORD src1_sel:WORD_1
	v_bfrev_b32_e32 v55, 60
	v_lshlrev_b32_e32 v51, 20, v51
	v_and_b32_e32 v54, 0x80000000, v54
	v_lshl_add_u32 v34, v34, 23, v55
	v_or3_b32 v34, v54, v34, v51
	v_lshrrev_b32_e32 v54, 16, v34
.LBB841_53:
	s_or_b64 exec, exec, s[10:11]
.LBB841_54:
	s_or_b64 exec, exec, s[8:9]
.LBB841_55:
	s_or_b64 exec, exec, s[2:3]
	s_mov_b32 s2, 0xffffff
	v_cmp_lt_u32_e32 vcc, s2, v35
	v_mov_b32_e32 v51, 0
	v_mov_b32_e32 v55, 0
	s_and_saveexec_b64 s[2:3], vcc
	s_cbranch_execz .LBB841_61
; %bb.56:
	v_lshrrev_b32_e32 v34, 24, v35
	s_movk_i32 s8, 0x80
	v_cmp_ne_u32_e32 vcc, s8, v34
	v_mov_b32_e32 v55, 0xffff8000
	s_and_saveexec_b64 s[8:9], vcc
	s_cbranch_execz .LBB841_60
; %bb.57:
	v_bfe_u32 v35, v35, 24, 7
	s_movk_i32 s10, 0x7f
	v_cmp_ne_u32_e32 vcc, s10, v35
	v_mov_b32_e32 v55, 0x7f80
	s_and_saveexec_b64 s[10:11], vcc
	s_cbranch_execz .LBB841_59
; %bb.58:
	v_and_b32_e32 v55, 7, v34
	v_ffbh_u32_e32 v56, v55
	v_min_u32_e32 v59, 32, v56
	v_subrev_u32_e32 v56, 28, v59
	v_lshlrev_b64 v[56:57], v56, v[34:35]
	v_lshrrev_b32_e32 v58, 3, v35
	v_sub_u32_e32 v57, 29, v59
	v_and_b32_e32 v56, 7, v56
	v_cmp_gt_u32_e32 vcc, 8, v35
	v_cndmask_b32_e32 v35, v58, v57, vcc
	v_cndmask_b32_e32 v55, v55, v56, vcc
	v_lshlrev_b32_e32 v34, 24, v34
	v_bfrev_b32_e32 v56, 60
	v_lshlrev_b32_e32 v55, 20, v55
	v_and_b32_e32 v34, 0x80000000, v34
	v_lshl_add_u32 v35, v35, 23, v56
	v_or3_b32 v34, v34, v35, v55
	v_lshrrev_b32_e32 v55, 16, v34
.LBB841_59:
	s_or_b64 exec, exec, s[10:11]
.LBB841_60:
	s_or_b64 exec, exec, s[8:9]
.LBB841_61:
	s_or_b64 exec, exec, s[2:3]
	s_mov_b32 s2, 0x5040100
	v_perm_b32 v35, v53, v45, s2
	v_perm_b32 v34, v44, v43, s2
	v_cmp_ne_u16_sdwa s[8:9], v36, v51 src0_sel:BYTE_0 src1_sel:DWORD
	s_nop 0
	v_mfma_f32_16x16x16bf16_1k v[56:59], v[34:35], v[26:27], 0
	v_perm_b32 v35, v55, v54, s2
	v_perm_b32 v34, v42, v52, s2
	s_nop 1
	v_mfma_f32_16x16x16bf16_1k v[42:45], v[34:35], v[28:29], v[56:59]
	s_and_saveexec_b64 s[2:3], s[8:9]
	s_cbranch_execz .LBB841_67
; %bb.62:
	s_movk_i32 s8, 0x80
	v_cmp_ne_u16_sdwa s[10:11], v36, s8 src0_sel:BYTE_0 src1_sel:DWORD
	v_mov_b32_e32 v51, 0xffff8000
	s_and_saveexec_b64 s[8:9], s[10:11]
	s_cbranch_execz .LBB841_66
; %bb.63:
	s_movk_i32 s10, 0x7f
	v_and_b32_e32 v34, 0x7f, v36
	v_cmp_ne_u32_e32 vcc, s10, v34
	v_mov_b32_e32 v51, 0x7f80
	s_and_saveexec_b64 s[10:11], vcc
	s_cbranch_execz .LBB841_65
; %bb.64:
	v_and_b32_e32 v35, 7, v36
	v_ffbh_u32_e32 v52, v35
	v_min_u32_e32 v54, 32, v52
	v_subrev_u32_e32 v52, 28, v54
	v_lshlrev_b64 v[52:53], v52, v[36:37]
	v_lshrrev_b32_e32 v51, 3, v34
	v_sub_u32_e32 v53, 29, v54
	v_and_b32_e32 v52, 7, v52
	v_cmp_gt_u32_e32 vcc, 8, v34
	v_cndmask_b32_e32 v34, v51, v53, vcc
	v_cndmask_b32_e32 v35, v35, v52, vcc
	v_lshlrev_b32_e32 v51, 24, v36
	v_bfrev_b32_e32 v52, 60
	v_lshlrev_b32_e32 v35, 20, v35
	v_and_b32_e32 v51, 0x80000000, v51
	v_lshl_add_u32 v34, v34, 23, v52
	v_or3_b32 v34, v51, v34, v35
	v_lshrrev_b32_e32 v51, 16, v34
.LBB841_65:
	s_or_b64 exec, exec, s[10:11]
.LBB841_66:
	s_or_b64 exec, exec, s[8:9]
.LBB841_67:
	s_or_b64 exec, exec, s[2:3]
	v_lshrrev_b16_e32 v34, 8, v36
	v_cmp_ne_u16_e32 vcc, 0, v34
	v_mov_b32_e32 v53, 0
	v_mov_b32_e32 v35, 0
	s_and_saveexec_b64 s[2:3], vcc
	s_cbranch_execz .LBB841_73
; %bb.68:
	s_movk_i32 s8, 0x80
	v_cmp_ne_u16_e32 vcc, s8, v34
	v_mov_b32_e32 v35, 0xffff8000
	s_and_saveexec_b64 s[8:9], vcc
	s_cbranch_execz .LBB841_72
; %bb.69:
	s_movk_i32 s10, 0x7f
	v_and_b32_e32 v52, 0x7f, v34
	v_cmp_ne_u32_e32 vcc, s10, v52
	v_mov_b32_e32 v35, 0x7f80
	s_and_saveexec_b64 s[10:11], vcc
	s_cbranch_execz .LBB841_71
; %bb.70:
	v_and_b32_e32 v54, 7, v34
	v_ffbh_u32_e32 v35, v54
	v_min_u32_e32 v56, 32, v35
	v_subrev_u32_e32 v35, 28, v56
	v_lshlrev_b64 v[34:35], v35, v[34:35]
	v_lshrrev_b32_e32 v55, 3, v52
	v_sub_u32_e32 v35, 29, v56
	v_and_b32_e32 v34, 7, v34
	v_cmp_gt_u32_e32 vcc, 8, v52
	v_cndmask_b32_e32 v35, v55, v35, vcc
	v_cndmask_b32_e32 v34, v54, v34, vcc
	v_lshlrev_b32_e32 v52, 16, v36
	v_bfrev_b32_e32 v54, 60
	v_lshlrev_b32_e32 v34, 20, v34
	v_and_b32_e32 v52, 0x80000000, v52
	v_lshl_add_u32 v35, v35, 23, v54
	v_or3_b32 v34, v52, v35, v34
	v_lshrrev_b32_e32 v35, 16, v34
.LBB841_71:
	s_or_b64 exec, exec, s[10:11]
.LBB841_72:
	s_or_b64 exec, exec, s[8:9]
.LBB841_73:
	s_or_b64 exec, exec, s[2:3]
	s_movk_i32 s2, 0xff
	v_and_b32_sdwa v52, v36, s2 dst_sel:DWORD dst_unused:UNUSED_PAD src0_sel:WORD_1 src1_sel:DWORD
	v_lshrrev_b32_e32 v34, 16, v36
	v_cmp_ne_u16_e32 vcc, 0, v52
	s_and_saveexec_b64 s[2:3], vcc
	s_cbranch_execz .LBB841_79
; %bb.74:
	s_movk_i32 s8, 0x80
	v_cmp_ne_u16_e32 vcc, s8, v52
	v_mov_b32_e32 v53, 0xffff8000
	s_and_saveexec_b64 s[8:9], vcc
	s_cbranch_execz .LBB841_78
; %bb.75:
	v_bfe_u32 v52, v36, 16, 7
	s_movk_i32 s10, 0x7f
	v_cmp_ne_u32_e32 vcc, s10, v52
	v_mov_b32_e32 v53, 0x7f80
	s_and_saveexec_b64 s[10:11], vcc
	s_cbranch_execz .LBB841_77
; %bb.76:
	v_and_b32_e32 v53, 7, v34
	v_ffbh_u32_e32 v54, v53
	v_min_u32_e32 v57, 32, v54
	v_subrev_u32_e32 v54, 28, v57
	v_lshlrev_b64 v[54:55], v54, v[34:35]
	v_and_b32_e32 v54, 7, v54
	v_cmp_gt_u32_e32 vcc, 8, v52
	v_lshrrev_b32_e32 v56, 3, v52
	v_sub_u32_e32 v34, 29, v57
	v_cndmask_b32_e32 v52, v53, v54, vcc
	v_mov_b32_e32 v53, 24
	v_cndmask_b32_e32 v34, v56, v34, vcc
	v_lshlrev_b32_sdwa v53, v53, v36 dst_sel:DWORD dst_unused:UNUSED_PAD src0_sel:DWORD src1_sel:WORD_1
	v_bfrev_b32_e32 v54, 60
	v_lshlrev_b32_e32 v52, 20, v52
	v_and_b32_e32 v53, 0x80000000, v53
	v_lshl_add_u32 v34, v34, 23, v54
	v_or3_b32 v34, v53, v34, v52
	v_lshrrev_b32_e32 v53, 16, v34
.LBB841_77:
	s_or_b64 exec, exec, s[10:11]
.LBB841_78:
	s_or_b64 exec, exec, s[8:9]
.LBB841_79:
	s_or_b64 exec, exec, s[2:3]
	s_mov_b32 s2, 0xffffff
	v_cmp_lt_u32_e32 vcc, s2, v36
	v_mov_b32_e32 v54, 0
	v_mov_b32_e32 v55, 0
	s_and_saveexec_b64 s[2:3], vcc
	s_cbranch_execz .LBB841_85
; %bb.80:
	v_lshrrev_b32_e32 v34, 24, v36
	s_movk_i32 s8, 0x80
	v_cmp_ne_u32_e32 vcc, s8, v34
	v_mov_b32_e32 v55, 0xffff8000
	s_and_saveexec_b64 s[8:9], vcc
	s_cbranch_execz .LBB841_84
; %bb.81:
	v_bfe_u32 v36, v36, 24, 7
	s_movk_i32 s10, 0x7f
	v_cmp_ne_u32_e32 vcc, s10, v36
	v_mov_b32_e32 v55, 0x7f80
	s_and_saveexec_b64 s[10:11], vcc
	s_cbranch_execz .LBB841_83
; %bb.82:
	v_and_b32_e32 v52, 7, v34
	v_ffbh_u32_e32 v56, v52
	v_min_u32_e32 v58, 32, v56
	v_subrev_u32_e32 v56, 28, v58
	v_lshlrev_b64 v[56:57], v56, v[34:35]
	v_lshrrev_b32_e32 v55, 3, v36
	v_sub_u32_e32 v57, 29, v58
	v_and_b32_e32 v56, 7, v56
	v_cmp_gt_u32_e32 vcc, 8, v36
	v_cndmask_b32_e32 v36, v55, v57, vcc
	v_cndmask_b32_e32 v52, v52, v56, vcc
	v_lshlrev_b32_e32 v34, 24, v34
	v_bfrev_b32_e32 v55, 60
	v_lshlrev_b32_e32 v52, 20, v52
	v_and_b32_e32 v34, 0x80000000, v34
	v_lshl_add_u32 v36, v36, 23, v55
	v_or3_b32 v34, v34, v36, v52
	v_lshrrev_b32_e32 v55, 16, v34
.LBB841_83:
	s_or_b64 exec, exec, s[10:11]
.LBB841_84:
	s_or_b64 exec, exec, s[8:9]
.LBB841_85:
	s_or_b64 exec, exec, s[2:3]
	v_cmp_ne_u16_sdwa s[8:9], v37, v54 src0_sel:BYTE_0 src1_sel:DWORD
	s_and_saveexec_b64 s[2:3], s[8:9]
	s_cbranch_execz .LBB841_91
; %bb.86:
	s_movk_i32 s8, 0x80
	v_cmp_ne_u16_sdwa s[10:11], v37, s8 src0_sel:BYTE_0 src1_sel:DWORD
	v_mov_b32_e32 v54, 0xffff8000
	s_and_saveexec_b64 s[8:9], s[10:11]
	s_cbranch_execz .LBB841_90
; %bb.87:
	s_movk_i32 s10, 0x7f
	v_and_b32_e32 v34, 0x7f, v37
	v_cmp_ne_u32_e32 vcc, s10, v34
	v_mov_b32_e32 v54, 0x7f80
	s_and_saveexec_b64 s[10:11], vcc
	s_cbranch_execz .LBB841_89
; %bb.88:
	v_and_b32_e32 v52, 7, v37
	v_ffbh_u32_e32 v56, v52
	v_min_u32_e32 v58, 32, v56
	v_mov_b32_e32 v36, v37
	v_subrev_u32_e32 v56, 28, v58
	v_lshlrev_b64 v[56:57], v56, v[36:37]
	v_lshrrev_b32_e32 v54, 3, v34
	v_sub_u32_e32 v36, 29, v58
	v_and_b32_e32 v56, 7, v56
	v_cmp_gt_u32_e32 vcc, 8, v34
	v_cndmask_b32_e32 v34, v54, v36, vcc
	v_cndmask_b32_e32 v36, v52, v56, vcc
	v_lshlrev_b32_e32 v52, 24, v37
	v_bfrev_b32_e32 v54, 60
	v_lshlrev_b32_e32 v36, 20, v36
	v_and_b32_e32 v52, 0x80000000, v52
	v_lshl_add_u32 v34, v34, 23, v54
	v_or3_b32 v34, v52, v34, v36
	v_lshrrev_b32_e32 v54, 16, v34
.LBB841_89:
	s_or_b64 exec, exec, s[10:11]
.LBB841_90:
	s_or_b64 exec, exec, s[8:9]
.LBB841_91:
	s_or_b64 exec, exec, s[2:3]
	v_lshrrev_b16_e32 v34, 8, v37
	v_cmp_ne_u16_e32 vcc, 0, v34
	v_mov_b32_e32 v56, 0
	v_mov_b32_e32 v36, 0
	s_and_saveexec_b64 s[2:3], vcc
	s_cbranch_execz .LBB841_97
; %bb.92:
	s_movk_i32 s8, 0x80
	v_cmp_ne_u16_e32 vcc, s8, v34
	v_mov_b32_e32 v36, 0xffff8000
	s_and_saveexec_b64 s[8:9], vcc
	s_cbranch_execz .LBB841_96
; %bb.93:
	s_movk_i32 s10, 0x7f
	v_and_b32_e32 v52, 0x7f, v34
	v_cmp_ne_u32_e32 vcc, s10, v52
	v_mov_b32_e32 v36, 0x7f80
	s_and_saveexec_b64 s[10:11], vcc
	s_cbranch_execz .LBB841_95
; %bb.94:
	v_and_b32_e32 v36, 7, v34
	v_ffbh_u32_e32 v58, v36
	v_min_u32_e32 v60, 32, v58
	v_subrev_u32_e32 v58, 28, v60
	v_lshlrev_b64 v[58:59], v58, v[34:35]
	v_lshrrev_b32_e32 v57, 3, v52
	v_sub_u32_e32 v34, 29, v60
	v_and_b32_e32 v58, 7, v58
	v_cmp_gt_u32_e32 vcc, 8, v52
	v_cndmask_b32_e32 v34, v57, v34, vcc
	v_cndmask_b32_e32 v36, v36, v58, vcc
	v_lshlrev_b32_e32 v52, 16, v37
	v_bfrev_b32_e32 v57, 60
	v_lshlrev_b32_e32 v36, 20, v36
	v_and_b32_e32 v52, 0x80000000, v52
	v_lshl_add_u32 v34, v34, 23, v57
	v_or3_b32 v34, v52, v34, v36
	v_lshrrev_b32_e32 v36, 16, v34
.LBB841_95:
	s_or_b64 exec, exec, s[10:11]
.LBB841_96:
	s_or_b64 exec, exec, s[8:9]
.LBB841_97:
	s_or_b64 exec, exec, s[2:3]
	s_movk_i32 s2, 0xff
	v_and_b32_sdwa v52, v37, s2 dst_sel:DWORD dst_unused:UNUSED_PAD src0_sel:WORD_1 src1_sel:DWORD
	v_lshrrev_b32_e32 v34, 16, v37
	v_cmp_ne_u16_e32 vcc, 0, v52
	s_and_saveexec_b64 s[2:3], vcc
	s_cbranch_execz .LBB841_103
; %bb.98:
	s_movk_i32 s8, 0x80
	v_cmp_ne_u16_e32 vcc, s8, v52
	v_mov_b32_e32 v56, 0xffff8000
	s_and_saveexec_b64 s[8:9], vcc
	s_cbranch_execz .LBB841_102
; %bb.99:
	v_bfe_u32 v52, v37, 16, 7
	s_movk_i32 s10, 0x7f
	v_cmp_ne_u32_e32 vcc, s10, v52
	v_mov_b32_e32 v56, 0x7f80
	s_and_saveexec_b64 s[10:11], vcc
	s_cbranch_execz .LBB841_101
; %bb.100:
	v_and_b32_e32 v58, 7, v34
	v_ffbh_u32_e32 v56, v58
	v_min_u32_e32 v60, 32, v56
	v_subrev_u32_e32 v56, 28, v60
	v_lshlrev_b64 v[56:57], v56, v[34:35]
	v_and_b32_e32 v56, 7, v56
	v_cmp_gt_u32_e32 vcc, 8, v52
	v_lshrrev_b32_e32 v59, 3, v52
	v_sub_u32_e32 v34, 29, v60
	v_cndmask_b32_e32 v52, v58, v56, vcc
	v_mov_b32_e32 v56, 24
	v_cndmask_b32_e32 v34, v59, v34, vcc
	v_lshlrev_b32_sdwa v56, v56, v37 dst_sel:DWORD dst_unused:UNUSED_PAD src0_sel:DWORD src1_sel:WORD_1
	v_bfrev_b32_e32 v57, 60
	v_lshlrev_b32_e32 v52, 20, v52
	v_and_b32_e32 v56, 0x80000000, v56
	v_lshl_add_u32 v34, v34, 23, v57
	v_or3_b32 v34, v56, v34, v52
	v_lshrrev_b32_e32 v56, 16, v34
.LBB841_101:
	s_or_b64 exec, exec, s[10:11]
.LBB841_102:
	s_or_b64 exec, exec, s[8:9]
.LBB841_103:
	s_or_b64 exec, exec, s[2:3]
	s_mov_b32 s2, 0xffffff
	v_cmp_lt_u32_e32 vcc, s2, v37
	v_mov_b32_e32 v52, 0
	v_mov_b32_e32 v57, 0
	s_and_saveexec_b64 s[2:3], vcc
	s_cbranch_execz .LBB841_109
; %bb.104:
	v_lshrrev_b32_e32 v34, 24, v37
	s_movk_i32 s8, 0x80
	v_cmp_ne_u32_e32 vcc, s8, v34
	v_mov_b32_e32 v57, 0xffff8000
	s_and_saveexec_b64 s[8:9], vcc
	s_cbranch_execz .LBB841_108
; %bb.105:
	v_bfe_u32 v37, v37, 24, 7
	s_movk_i32 s10, 0x7f
	v_cmp_ne_u32_e32 vcc, s10, v37
	v_mov_b32_e32 v57, 0x7f80
	s_and_saveexec_b64 s[10:11], vcc
	s_cbranch_execz .LBB841_107
; %bb.106:
	v_and_b32_e32 v57, 7, v34
	v_ffbh_u32_e32 v58, v57
	v_min_u32_e32 v61, 32, v58
	v_subrev_u32_e32 v58, 28, v61
	v_lshlrev_b64 v[58:59], v58, v[34:35]
	v_lshrrev_b32_e32 v60, 3, v37
	v_sub_u32_e32 v59, 29, v61
	v_and_b32_e32 v58, 7, v58
	v_cmp_gt_u32_e32 vcc, 8, v37
	v_cndmask_b32_e32 v37, v60, v59, vcc
	v_cndmask_b32_e32 v57, v57, v58, vcc
	v_lshlrev_b32_e32 v34, 24, v34
	v_bfrev_b32_e32 v58, 60
	v_lshlrev_b32_e32 v57, 20, v57
	v_and_b32_e32 v34, 0x80000000, v34
	v_lshl_add_u32 v37, v37, 23, v58
	v_or3_b32 v34, v34, v37, v57
	v_lshrrev_b32_e32 v57, 16, v34
.LBB841_107:
	s_or_b64 exec, exec, s[10:11]
.LBB841_108:
	s_or_b64 exec, exec, s[8:9]
.LBB841_109:
	s_or_b64 exec, exec, s[2:3]
	s_mov_b32 s2, 0x5040100
	v_perm_b32 v59, v55, v53, s2
	v_perm_b32 v58, v35, v51, s2
	;; [unrolled: 1-line block ×4, first 2 shown]
	v_cmp_ne_u16_sdwa s[8:9], v38, v52 src0_sel:BYTE_0 src1_sel:DWORD
	v_mfma_f32_16x16x16bf16_1k v[42:45], v[58:59], v[18:19], v[42:45]
	v_mfma_f32_16x16x16bf16_1k v[34:37], v[34:35], v[20:21], v[42:45]
	s_and_saveexec_b64 s[2:3], s[8:9]
	s_cbranch_execz .LBB841_115
; %bb.110:
	s_movk_i32 s8, 0x80
	v_cmp_ne_u16_sdwa s[10:11], v38, s8 src0_sel:BYTE_0 src1_sel:DWORD
	v_mov_b32_e32 v52, 0xffff8000
	s_and_saveexec_b64 s[8:9], s[10:11]
	s_cbranch_execz .LBB841_114
; %bb.111:
	s_movk_i32 s10, 0x7f
	s_nop 1
	v_and_b32_e32 v42, 0x7f, v38
	v_cmp_ne_u32_e32 vcc, s10, v42
	v_mov_b32_e32 v52, 0x7f80
	s_and_saveexec_b64 s[10:11], vcc
	s_cbranch_execz .LBB841_113
; %bb.112:
	v_and_b32_e32 v43, 7, v38
	v_ffbh_u32_e32 v44, v43
	v_min_u32_e32 v52, 32, v44
	v_subrev_u32_e32 v44, 28, v52
	v_lshlrev_b64 v[44:45], v44, v[38:39]
	v_lshrrev_b32_e32 v51, 3, v42
	v_sub_u32_e32 v45, 29, v52
	v_and_b32_e32 v44, 7, v44
	v_cmp_gt_u32_e32 vcc, 8, v42
	v_cndmask_b32_e32 v42, v51, v45, vcc
	v_cndmask_b32_e32 v43, v43, v44, vcc
	v_lshlrev_b32_e32 v44, 24, v38
	v_bfrev_b32_e32 v45, 60
	v_lshlrev_b32_e32 v43, 20, v43
	v_and_b32_e32 v44, 0x80000000, v44
	v_lshl_add_u32 v42, v42, 23, v45
	v_or3_b32 v42, v44, v42, v43
	v_lshrrev_b32_e32 v52, 16, v42
.LBB841_113:
	s_or_b64 exec, exec, s[10:11]
.LBB841_114:
	s_or_b64 exec, exec, s[8:9]
.LBB841_115:
	s_or_b64 exec, exec, s[2:3]
	s_nop 6
	v_lshrrev_b16_e32 v42, 8, v38
	v_cmp_ne_u16_e32 vcc, 0, v42
	v_mov_b32_e32 v44, 0
	v_mov_b32_e32 v43, 0
	s_and_saveexec_b64 s[2:3], vcc
	s_cbranch_execz .LBB841_121
; %bb.116:
	s_movk_i32 s8, 0x80
	v_cmp_ne_u16_e32 vcc, s8, v42
	v_mov_b32_e32 v43, 0xffff8000
	s_and_saveexec_b64 s[8:9], vcc
	s_cbranch_execz .LBB841_120
; %bb.117:
	s_movk_i32 s10, 0x7f
	v_and_b32_e32 v45, 0x7f, v42
	v_cmp_ne_u32_e32 vcc, s10, v45
	v_mov_b32_e32 v43, 0x7f80
	s_and_saveexec_b64 s[10:11], vcc
	s_cbranch_execz .LBB841_119
; %bb.118:
	v_and_b32_e32 v51, 7, v42
	v_ffbh_u32_e32 v43, v51
	v_min_u32_e32 v54, 32, v43
	v_subrev_u32_e32 v43, 28, v54
	v_lshlrev_b64 v[42:43], v43, v[42:43]
	v_lshrrev_b32_e32 v53, 3, v45
	v_sub_u32_e32 v43, 29, v54
	v_and_b32_e32 v42, 7, v42
	v_cmp_gt_u32_e32 vcc, 8, v45
	v_cndmask_b32_e32 v43, v53, v43, vcc
	v_cndmask_b32_e32 v42, v51, v42, vcc
	v_lshlrev_b32_e32 v45, 16, v38
	v_bfrev_b32_e32 v51, 60
	v_lshlrev_b32_e32 v42, 20, v42
	v_and_b32_e32 v45, 0x80000000, v45
	v_lshl_add_u32 v43, v43, 23, v51
	v_or3_b32 v42, v45, v43, v42
	v_lshrrev_b32_e32 v43, 16, v42
.LBB841_119:
	s_or_b64 exec, exec, s[10:11]
.LBB841_120:
	s_or_b64 exec, exec, s[8:9]
.LBB841_121:
	s_or_b64 exec, exec, s[2:3]
	s_movk_i32 s2, 0xff
	v_and_b32_sdwa v45, v38, s2 dst_sel:DWORD dst_unused:UNUSED_PAD src0_sel:WORD_1 src1_sel:DWORD
	v_lshrrev_b32_e32 v42, 16, v38
	v_cmp_ne_u16_e32 vcc, 0, v45
	s_and_saveexec_b64 s[2:3], vcc
	s_cbranch_execz .LBB841_127
; %bb.122:
	s_movk_i32 s8, 0x80
	v_cmp_ne_u16_e32 vcc, s8, v45
	v_mov_b32_e32 v44, 0xffff8000
	s_and_saveexec_b64 s[8:9], vcc
	s_cbranch_execz .LBB841_126
; %bb.123:
	v_bfe_u32 v45, v38, 16, 7
	s_movk_i32 s10, 0x7f
	v_cmp_ne_u32_e32 vcc, s10, v45
	v_mov_b32_e32 v44, 0x7f80
	s_and_saveexec_b64 s[10:11], vcc
	s_cbranch_execz .LBB841_125
; %bb.124:
	v_and_b32_e32 v44, 7, v42
	v_ffbh_u32_e32 v53, v44
	v_min_u32_e32 v53, 32, v53
	v_subrev_u32_e32 v54, 28, v53
	v_lshlrev_b64 v[54:55], v54, v[42:43]
	v_lshrrev_b32_e32 v51, 3, v45
	v_sub_u32_e32 v42, 29, v53
	v_and_b32_e32 v53, 7, v54
	v_cmp_gt_u32_e32 vcc, 8, v45
	v_mov_b32_e32 v45, 24
	v_cndmask_b32_e32 v42, v51, v42, vcc
	v_cndmask_b32_e32 v44, v44, v53, vcc
	v_lshlrev_b32_sdwa v45, v45, v38 dst_sel:DWORD dst_unused:UNUSED_PAD src0_sel:DWORD src1_sel:WORD_1
	v_bfrev_b32_e32 v51, 60
	v_lshlrev_b32_e32 v44, 20, v44
	v_and_b32_e32 v45, 0x80000000, v45
	v_lshl_add_u32 v42, v42, 23, v51
	v_or3_b32 v42, v45, v42, v44
	v_lshrrev_b32_e32 v44, 16, v42
.LBB841_125:
	s_or_b64 exec, exec, s[10:11]
.LBB841_126:
	s_or_b64 exec, exec, s[8:9]
.LBB841_127:
	s_or_b64 exec, exec, s[2:3]
	s_mov_b32 s2, 0xffffff
	v_cmp_lt_u32_e32 vcc, s2, v38
	v_mov_b32_e32 v45, 0
	v_mov_b32_e32 v53, 0
	s_and_saveexec_b64 s[2:3], vcc
	s_cbranch_execz .LBB841_133
; %bb.128:
	v_lshrrev_b32_e32 v42, 24, v38
	s_movk_i32 s8, 0x80
	v_cmp_ne_u32_e32 vcc, s8, v42
	v_mov_b32_e32 v53, 0xffff8000
	s_and_saveexec_b64 s[8:9], vcc
	s_cbranch_execz .LBB841_132
; %bb.129:
	v_bfe_u32 v38, v38, 24, 7
	s_movk_i32 s10, 0x7f
	v_cmp_ne_u32_e32 vcc, s10, v38
	v_mov_b32_e32 v53, 0x7f80
	s_and_saveexec_b64 s[10:11], vcc
	s_cbranch_execz .LBB841_131
; %bb.130:
	v_and_b32_e32 v51, 7, v42
	v_ffbh_u32_e32 v54, v51
	v_min_u32_e32 v56, 32, v54
	v_subrev_u32_e32 v54, 28, v56
	v_lshlrev_b64 v[54:55], v54, v[42:43]
	v_lshrrev_b32_e32 v53, 3, v38
	v_sub_u32_e32 v55, 29, v56
	v_and_b32_e32 v54, 7, v54
	v_cmp_gt_u32_e32 vcc, 8, v38
	v_cndmask_b32_e32 v38, v53, v55, vcc
	v_cndmask_b32_e32 v51, v51, v54, vcc
	v_lshlrev_b32_e32 v42, 24, v42
	v_bfrev_b32_e32 v53, 60
	v_lshlrev_b32_e32 v51, 20, v51
	v_and_b32_e32 v42, 0x80000000, v42
	v_lshl_add_u32 v38, v38, 23, v53
	v_or3_b32 v38, v42, v38, v51
	v_lshrrev_b32_e32 v53, 16, v38
.LBB841_131:
	s_or_b64 exec, exec, s[10:11]
.LBB841_132:
	s_or_b64 exec, exec, s[8:9]
.LBB841_133:
	s_or_b64 exec, exec, s[2:3]
	v_cmp_ne_u16_sdwa s[8:9], v39, v45 src0_sel:BYTE_0 src1_sel:DWORD
	s_and_saveexec_b64 s[2:3], s[8:9]
	s_cbranch_execz .LBB841_139
; %bb.134:
	s_movk_i32 s8, 0x80
	v_cmp_ne_u16_sdwa s[10:11], v39, s8 src0_sel:BYTE_0 src1_sel:DWORD
	v_mov_b32_e32 v45, 0xffff8000
	s_and_saveexec_b64 s[8:9], s[10:11]
	s_cbranch_execz .LBB841_138
; %bb.135:
	s_movk_i32 s10, 0x7f
	v_and_b32_e32 v38, 0x7f, v39
	v_cmp_ne_u32_e32 vcc, s10, v38
	v_mov_b32_e32 v45, 0x7f80
	s_and_saveexec_b64 s[10:11], vcc
	s_cbranch_execz .LBB841_137
; %bb.136:
	v_and_b32_e32 v45, 7, v39
	v_ffbh_u32_e32 v54, v45
	v_min_u32_e32 v56, 32, v54
	v_mov_b32_e32 v42, v39
	v_subrev_u32_e32 v54, 28, v56
	v_lshlrev_b64 v[54:55], v54, v[42:43]
	v_lshrrev_b32_e32 v51, 3, v38
	v_sub_u32_e32 v42, 29, v56
	v_and_b32_e32 v54, 7, v54
	v_cmp_gt_u32_e32 vcc, 8, v38
	v_cndmask_b32_e32 v38, v51, v42, vcc
	v_cndmask_b32_e32 v42, v45, v54, vcc
	v_lshlrev_b32_e32 v45, 24, v39
	v_bfrev_b32_e32 v51, 60
	v_lshlrev_b32_e32 v42, 20, v42
	v_and_b32_e32 v45, 0x80000000, v45
	v_lshl_add_u32 v38, v38, 23, v51
	v_or3_b32 v38, v45, v38, v42
	v_lshrrev_b32_e32 v45, 16, v38
.LBB841_137:
	s_or_b64 exec, exec, s[10:11]
.LBB841_138:
	s_or_b64 exec, exec, s[8:9]
.LBB841_139:
	s_or_b64 exec, exec, s[2:3]
	v_lshrrev_b16_e32 v38, 8, v39
	v_cmp_ne_u16_e32 vcc, 0, v38
	v_mov_b32_e32 v54, 0
	v_mov_b32_e32 v42, 0
	s_and_saveexec_b64 s[2:3], vcc
	s_cbranch_execz .LBB841_145
; %bb.140:
	s_movk_i32 s8, 0x80
	v_cmp_ne_u16_e32 vcc, s8, v38
	v_mov_b32_e32 v42, 0xffff8000
	s_and_saveexec_b64 s[8:9], vcc
	s_cbranch_execz .LBB841_144
; %bb.141:
	s_movk_i32 s10, 0x7f
	v_and_b32_e32 v51, 0x7f, v38
	v_cmp_ne_u32_e32 vcc, s10, v51
	v_mov_b32_e32 v42, 0x7f80
	s_and_saveexec_b64 s[10:11], vcc
	s_cbranch_execz .LBB841_143
; %bb.142:
	v_and_b32_e32 v42, 7, v38
	v_ffbh_u32_e32 v56, v42
	v_min_u32_e32 v58, 32, v56
	v_subrev_u32_e32 v56, 28, v58
	v_lshlrev_b64 v[56:57], v56, v[38:39]
	v_lshrrev_b32_e32 v55, 3, v51
	v_sub_u32_e32 v38, 29, v58
	v_and_b32_e32 v56, 7, v56
	v_cmp_gt_u32_e32 vcc, 8, v51
	v_cndmask_b32_e32 v38, v55, v38, vcc
	v_cndmask_b32_e32 v42, v42, v56, vcc
	v_lshlrev_b32_e32 v51, 16, v39
	v_bfrev_b32_e32 v55, 60
	v_lshlrev_b32_e32 v42, 20, v42
	v_and_b32_e32 v51, 0x80000000, v51
	v_lshl_add_u32 v38, v38, 23, v55
	v_or3_b32 v38, v51, v38, v42
	v_lshrrev_b32_e32 v42, 16, v38
.LBB841_143:
	s_or_b64 exec, exec, s[10:11]
.LBB841_144:
	s_or_b64 exec, exec, s[8:9]
.LBB841_145:
	s_or_b64 exec, exec, s[2:3]
	s_movk_i32 s2, 0xff
	v_and_b32_sdwa v51, v39, s2 dst_sel:DWORD dst_unused:UNUSED_PAD src0_sel:WORD_1 src1_sel:DWORD
	v_lshrrev_b32_e32 v38, 16, v39
	v_cmp_ne_u16_e32 vcc, 0, v51
	s_and_saveexec_b64 s[2:3], vcc
	s_cbranch_execz .LBB841_151
; %bb.146:
	s_movk_i32 s8, 0x80
	v_cmp_ne_u16_e32 vcc, s8, v51
	v_mov_b32_e32 v54, 0xffff8000
	s_and_saveexec_b64 s[8:9], vcc
	s_cbranch_execz .LBB841_150
; %bb.147:
	v_bfe_u32 v51, v39, 16, 7
	s_movk_i32 s10, 0x7f
	v_cmp_ne_u32_e32 vcc, s10, v51
	v_mov_b32_e32 v54, 0x7f80
	s_and_saveexec_b64 s[10:11], vcc
	s_cbranch_execz .LBB841_149
; %bb.148:
	v_and_b32_e32 v56, 7, v38
	v_ffbh_u32_e32 v54, v56
	v_min_u32_e32 v58, 32, v54
	v_subrev_u32_e32 v54, 28, v58
	v_lshlrev_b64 v[54:55], v54, v[38:39]
	v_and_b32_e32 v54, 7, v54
	v_cmp_gt_u32_e32 vcc, 8, v51
	v_lshrrev_b32_e32 v57, 3, v51
	v_sub_u32_e32 v38, 29, v58
	v_cndmask_b32_e32 v51, v56, v54, vcc
	v_mov_b32_e32 v54, 24
	v_cndmask_b32_e32 v38, v57, v38, vcc
	v_lshlrev_b32_sdwa v54, v54, v39 dst_sel:DWORD dst_unused:UNUSED_PAD src0_sel:DWORD src1_sel:WORD_1
	v_bfrev_b32_e32 v55, 60
	v_lshlrev_b32_e32 v51, 20, v51
	v_and_b32_e32 v54, 0x80000000, v54
	v_lshl_add_u32 v38, v38, 23, v55
	v_or3_b32 v38, v54, v38, v51
	v_lshrrev_b32_e32 v54, 16, v38
.LBB841_149:
	s_or_b64 exec, exec, s[10:11]
.LBB841_150:
	s_or_b64 exec, exec, s[8:9]
.LBB841_151:
	s_or_b64 exec, exec, s[2:3]
	s_mov_b32 s2, 0xffffff
	v_cmp_lt_u32_e32 vcc, s2, v39
	v_mov_b32_e32 v51, 0
	v_mov_b32_e32 v55, 0
	s_and_saveexec_b64 s[2:3], vcc
	s_cbranch_execz .LBB841_157
; %bb.152:
	v_lshrrev_b32_e32 v38, 24, v39
	s_movk_i32 s8, 0x80
	v_cmp_ne_u32_e32 vcc, s8, v38
	v_mov_b32_e32 v55, 0xffff8000
	s_and_saveexec_b64 s[8:9], vcc
	s_cbranch_execz .LBB841_156
; %bb.153:
	v_bfe_u32 v39, v39, 24, 7
	s_movk_i32 s10, 0x7f
	v_cmp_ne_u32_e32 vcc, s10, v39
	v_mov_b32_e32 v55, 0x7f80
	s_and_saveexec_b64 s[10:11], vcc
	s_cbranch_execz .LBB841_155
; %bb.154:
	v_and_b32_e32 v55, 7, v38
	v_ffbh_u32_e32 v56, v55
	v_min_u32_e32 v59, 32, v56
	v_subrev_u32_e32 v56, 28, v59
	v_lshlrev_b64 v[56:57], v56, v[38:39]
	v_lshrrev_b32_e32 v58, 3, v39
	v_sub_u32_e32 v57, 29, v59
	v_and_b32_e32 v56, 7, v56
	v_cmp_gt_u32_e32 vcc, 8, v39
	v_cndmask_b32_e32 v39, v58, v57, vcc
	v_cndmask_b32_e32 v55, v55, v56, vcc
	v_lshlrev_b32_e32 v38, 24, v38
	v_bfrev_b32_e32 v56, 60
	v_lshlrev_b32_e32 v55, 20, v55
	v_and_b32_e32 v38, 0x80000000, v38
	v_lshl_add_u32 v39, v39, 23, v56
	v_or3_b32 v38, v38, v39, v55
	v_lshrrev_b32_e32 v55, 16, v38
.LBB841_155:
	s_or_b64 exec, exec, s[10:11]
.LBB841_156:
	s_or_b64 exec, exec, s[8:9]
.LBB841_157:
	s_or_b64 exec, exec, s[2:3]
	s_mov_b32 s2, 0x5040100
	v_perm_b32 v39, v53, v44, s2
	v_perm_b32 v38, v43, v52, s2
	v_cmp_ne_u16_sdwa s[8:9], v40, v51 src0_sel:BYTE_0 src1_sel:DWORD
	s_nop 0
	v_mfma_f32_16x16x16bf16_1k v[56:59], v[38:39], v[26:27], 0
	v_perm_b32 v39, v55, v54, s2
	v_perm_b32 v38, v42, v45, s2
	s_nop 1
	v_mfma_f32_16x16x16bf16_1k v[42:45], v[38:39], v[28:29], v[56:59]
	s_and_saveexec_b64 s[2:3], s[8:9]
	s_cbranch_execz .LBB841_163
; %bb.158:
	s_movk_i32 s8, 0x80
	v_cmp_ne_u16_sdwa s[10:11], v40, s8 src0_sel:BYTE_0 src1_sel:DWORD
	v_mov_b32_e32 v51, 0xffff8000
	s_and_saveexec_b64 s[8:9], s[10:11]
	s_cbranch_execz .LBB841_162
; %bb.159:
	s_movk_i32 s10, 0x7f
	v_and_b32_e32 v38, 0x7f, v40
	v_cmp_ne_u32_e32 vcc, s10, v38
	v_mov_b32_e32 v51, 0x7f80
	s_and_saveexec_b64 s[10:11], vcc
	s_cbranch_execz .LBB841_161
; %bb.160:
	v_and_b32_e32 v39, 7, v40
	v_ffbh_u32_e32 v52, v39
	v_min_u32_e32 v54, 32, v52
	v_subrev_u32_e32 v52, 28, v54
	v_lshlrev_b64 v[52:53], v52, v[40:41]
	v_lshrrev_b32_e32 v51, 3, v38
	v_sub_u32_e32 v53, 29, v54
	v_and_b32_e32 v52, 7, v52
	v_cmp_gt_u32_e32 vcc, 8, v38
	v_cndmask_b32_e32 v38, v51, v53, vcc
	v_cndmask_b32_e32 v39, v39, v52, vcc
	v_lshlrev_b32_e32 v51, 24, v40
	v_bfrev_b32_e32 v52, 60
	v_lshlrev_b32_e32 v39, 20, v39
	v_and_b32_e32 v51, 0x80000000, v51
	v_lshl_add_u32 v38, v38, 23, v52
	v_or3_b32 v38, v51, v38, v39
	v_lshrrev_b32_e32 v51, 16, v38
.LBB841_161:
	s_or_b64 exec, exec, s[10:11]
.LBB841_162:
	s_or_b64 exec, exec, s[8:9]
.LBB841_163:
	s_or_b64 exec, exec, s[2:3]
	v_lshrrev_b16_e32 v38, 8, v40
	v_cmp_ne_u16_e32 vcc, 0, v38
	v_mov_b32_e32 v53, 0
	v_mov_b32_e32 v39, 0
	s_and_saveexec_b64 s[2:3], vcc
	s_cbranch_execz .LBB841_169
; %bb.164:
	s_movk_i32 s8, 0x80
	v_cmp_ne_u16_e32 vcc, s8, v38
	v_mov_b32_e32 v39, 0xffff8000
	s_and_saveexec_b64 s[8:9], vcc
	s_cbranch_execz .LBB841_168
; %bb.165:
	s_movk_i32 s10, 0x7f
	v_and_b32_e32 v52, 0x7f, v38
	v_cmp_ne_u32_e32 vcc, s10, v52
	v_mov_b32_e32 v39, 0x7f80
	s_and_saveexec_b64 s[10:11], vcc
	s_cbranch_execz .LBB841_167
; %bb.166:
	v_and_b32_e32 v54, 7, v38
	v_ffbh_u32_e32 v39, v54
	v_min_u32_e32 v56, 32, v39
	v_subrev_u32_e32 v39, 28, v56
	v_lshlrev_b64 v[38:39], v39, v[38:39]
	v_lshrrev_b32_e32 v55, 3, v52
	v_sub_u32_e32 v39, 29, v56
	v_and_b32_e32 v38, 7, v38
	v_cmp_gt_u32_e32 vcc, 8, v52
	v_cndmask_b32_e32 v39, v55, v39, vcc
	v_cndmask_b32_e32 v38, v54, v38, vcc
	v_lshlrev_b32_e32 v52, 16, v40
	v_bfrev_b32_e32 v54, 60
	v_lshlrev_b32_e32 v38, 20, v38
	v_and_b32_e32 v52, 0x80000000, v52
	v_lshl_add_u32 v39, v39, 23, v54
	v_or3_b32 v38, v52, v39, v38
	v_lshrrev_b32_e32 v39, 16, v38
.LBB841_167:
	s_or_b64 exec, exec, s[10:11]
.LBB841_168:
	s_or_b64 exec, exec, s[8:9]
.LBB841_169:
	s_or_b64 exec, exec, s[2:3]
	s_movk_i32 s2, 0xff
	v_and_b32_sdwa v52, v40, s2 dst_sel:DWORD dst_unused:UNUSED_PAD src0_sel:WORD_1 src1_sel:DWORD
	v_lshrrev_b32_e32 v38, 16, v40
	v_cmp_ne_u16_e32 vcc, 0, v52
	s_and_saveexec_b64 s[2:3], vcc
	s_cbranch_execz .LBB841_175
; %bb.170:
	s_movk_i32 s8, 0x80
	v_cmp_ne_u16_e32 vcc, s8, v52
	v_mov_b32_e32 v53, 0xffff8000
	s_and_saveexec_b64 s[8:9], vcc
	s_cbranch_execz .LBB841_174
; %bb.171:
	v_bfe_u32 v52, v40, 16, 7
	s_movk_i32 s10, 0x7f
	v_cmp_ne_u32_e32 vcc, s10, v52
	v_mov_b32_e32 v53, 0x7f80
	s_and_saveexec_b64 s[10:11], vcc
	s_cbranch_execz .LBB841_173
; %bb.172:
	v_and_b32_e32 v53, 7, v38
	v_ffbh_u32_e32 v54, v53
	v_min_u32_e32 v57, 32, v54
	v_subrev_u32_e32 v54, 28, v57
	v_lshlrev_b64 v[54:55], v54, v[38:39]
	v_and_b32_e32 v54, 7, v54
	v_cmp_gt_u32_e32 vcc, 8, v52
	v_lshrrev_b32_e32 v56, 3, v52
	v_sub_u32_e32 v38, 29, v57
	v_cndmask_b32_e32 v52, v53, v54, vcc
	v_mov_b32_e32 v53, 24
	v_cndmask_b32_e32 v38, v56, v38, vcc
	v_lshlrev_b32_sdwa v53, v53, v40 dst_sel:DWORD dst_unused:UNUSED_PAD src0_sel:DWORD src1_sel:WORD_1
	v_bfrev_b32_e32 v54, 60
	v_lshlrev_b32_e32 v52, 20, v52
	v_and_b32_e32 v53, 0x80000000, v53
	v_lshl_add_u32 v38, v38, 23, v54
	v_or3_b32 v38, v53, v38, v52
	v_lshrrev_b32_e32 v53, 16, v38
.LBB841_173:
	s_or_b64 exec, exec, s[10:11]
.LBB841_174:
	s_or_b64 exec, exec, s[8:9]
.LBB841_175:
	s_or_b64 exec, exec, s[2:3]
	s_mov_b32 s2, 0xffffff
	v_cmp_lt_u32_e32 vcc, s2, v40
	v_mov_b32_e32 v54, 0
	v_mov_b32_e32 v55, 0
	s_and_saveexec_b64 s[2:3], vcc
	s_cbranch_execz .LBB841_181
; %bb.176:
	v_lshrrev_b32_e32 v38, 24, v40
	s_movk_i32 s8, 0x80
	v_cmp_ne_u32_e32 vcc, s8, v38
	v_mov_b32_e32 v55, 0xffff8000
	s_and_saveexec_b64 s[8:9], vcc
	s_cbranch_execz .LBB841_180
; %bb.177:
	v_bfe_u32 v40, v40, 24, 7
	s_movk_i32 s10, 0x7f
	v_cmp_ne_u32_e32 vcc, s10, v40
	v_mov_b32_e32 v55, 0x7f80
	s_and_saveexec_b64 s[10:11], vcc
	s_cbranch_execz .LBB841_179
; %bb.178:
	v_and_b32_e32 v52, 7, v38
	v_ffbh_u32_e32 v56, v52
	v_min_u32_e32 v58, 32, v56
	v_subrev_u32_e32 v56, 28, v58
	v_lshlrev_b64 v[56:57], v56, v[38:39]
	v_lshrrev_b32_e32 v55, 3, v40
	v_sub_u32_e32 v57, 29, v58
	v_and_b32_e32 v56, 7, v56
	v_cmp_gt_u32_e32 vcc, 8, v40
	v_cndmask_b32_e32 v40, v55, v57, vcc
	v_cndmask_b32_e32 v52, v52, v56, vcc
	v_lshlrev_b32_e32 v38, 24, v38
	v_bfrev_b32_e32 v55, 60
	v_lshlrev_b32_e32 v52, 20, v52
	v_and_b32_e32 v38, 0x80000000, v38
	v_lshl_add_u32 v40, v40, 23, v55
	v_or3_b32 v38, v38, v40, v52
	v_lshrrev_b32_e32 v55, 16, v38
.LBB841_179:
	s_or_b64 exec, exec, s[10:11]
.LBB841_180:
	s_or_b64 exec, exec, s[8:9]
.LBB841_181:
	s_or_b64 exec, exec, s[2:3]
	v_cmp_ne_u16_sdwa s[8:9], v41, v54 src0_sel:BYTE_0 src1_sel:DWORD
	s_and_saveexec_b64 s[2:3], s[8:9]
	s_cbranch_execz .LBB841_187
; %bb.182:
	s_movk_i32 s8, 0x80
	v_cmp_ne_u16_sdwa s[10:11], v41, s8 src0_sel:BYTE_0 src1_sel:DWORD
	v_mov_b32_e32 v54, 0xffff8000
	s_and_saveexec_b64 s[8:9], s[10:11]
	s_cbranch_execz .LBB841_186
; %bb.183:
	s_movk_i32 s10, 0x7f
	v_and_b32_e32 v38, 0x7f, v41
	v_cmp_ne_u32_e32 vcc, s10, v38
	v_mov_b32_e32 v54, 0x7f80
	s_and_saveexec_b64 s[10:11], vcc
	s_cbranch_execz .LBB841_185
; %bb.184:
	v_and_b32_e32 v52, 7, v41
	v_ffbh_u32_e32 v56, v52
	v_min_u32_e32 v58, 32, v56
	v_mov_b32_e32 v40, v41
	v_subrev_u32_e32 v56, 28, v58
	v_lshlrev_b64 v[56:57], v56, v[40:41]
	v_lshrrev_b32_e32 v54, 3, v38
	v_sub_u32_e32 v40, 29, v58
	v_and_b32_e32 v56, 7, v56
	v_cmp_gt_u32_e32 vcc, 8, v38
	v_cndmask_b32_e32 v38, v54, v40, vcc
	v_cndmask_b32_e32 v40, v52, v56, vcc
	v_lshlrev_b32_e32 v52, 24, v41
	v_bfrev_b32_e32 v54, 60
	v_lshlrev_b32_e32 v40, 20, v40
	v_and_b32_e32 v52, 0x80000000, v52
	v_lshl_add_u32 v38, v38, 23, v54
	v_or3_b32 v38, v52, v38, v40
	v_lshrrev_b32_e32 v54, 16, v38
.LBB841_185:
	s_or_b64 exec, exec, s[10:11]
.LBB841_186:
	s_or_b64 exec, exec, s[8:9]
.LBB841_187:
	s_or_b64 exec, exec, s[2:3]
	v_lshrrev_b16_e32 v38, 8, v41
	v_cmp_ne_u16_e32 vcc, 0, v38
	v_mov_b32_e32 v56, 0
	v_mov_b32_e32 v40, 0
	s_and_saveexec_b64 s[2:3], vcc
	s_cbranch_execz .LBB841_193
; %bb.188:
	s_movk_i32 s8, 0x80
	v_cmp_ne_u16_e32 vcc, s8, v38
	v_mov_b32_e32 v40, 0xffff8000
	s_and_saveexec_b64 s[8:9], vcc
	s_cbranch_execz .LBB841_192
; %bb.189:
	s_movk_i32 s10, 0x7f
	v_and_b32_e32 v52, 0x7f, v38
	v_cmp_ne_u32_e32 vcc, s10, v52
	v_mov_b32_e32 v40, 0x7f80
	s_and_saveexec_b64 s[10:11], vcc
	s_cbranch_execz .LBB841_191
; %bb.190:
	v_and_b32_e32 v40, 7, v38
	v_ffbh_u32_e32 v58, v40
	v_min_u32_e32 v60, 32, v58
	v_subrev_u32_e32 v58, 28, v60
	v_lshlrev_b64 v[58:59], v58, v[38:39]
	v_lshrrev_b32_e32 v57, 3, v52
	v_sub_u32_e32 v38, 29, v60
	v_and_b32_e32 v58, 7, v58
	v_cmp_gt_u32_e32 vcc, 8, v52
	v_cndmask_b32_e32 v38, v57, v38, vcc
	v_cndmask_b32_e32 v40, v40, v58, vcc
	v_lshlrev_b32_e32 v52, 16, v41
	v_bfrev_b32_e32 v57, 60
	v_lshlrev_b32_e32 v40, 20, v40
	v_and_b32_e32 v52, 0x80000000, v52
	v_lshl_add_u32 v38, v38, 23, v57
	v_or3_b32 v38, v52, v38, v40
	v_lshrrev_b32_e32 v40, 16, v38
.LBB841_191:
	s_or_b64 exec, exec, s[10:11]
.LBB841_192:
	s_or_b64 exec, exec, s[8:9]
.LBB841_193:
	s_or_b64 exec, exec, s[2:3]
	s_movk_i32 s2, 0xff
	v_and_b32_sdwa v52, v41, s2 dst_sel:DWORD dst_unused:UNUSED_PAD src0_sel:WORD_1 src1_sel:DWORD
	v_lshrrev_b32_e32 v38, 16, v41
	v_cmp_ne_u16_e32 vcc, 0, v52
	s_and_saveexec_b64 s[2:3], vcc
	s_cbranch_execz .LBB841_199
; %bb.194:
	s_movk_i32 s8, 0x80
	v_cmp_ne_u16_e32 vcc, s8, v52
	v_mov_b32_e32 v56, 0xffff8000
	s_and_saveexec_b64 s[8:9], vcc
	s_cbranch_execz .LBB841_198
; %bb.195:
	v_bfe_u32 v52, v41, 16, 7
	s_movk_i32 s10, 0x7f
	v_cmp_ne_u32_e32 vcc, s10, v52
	v_mov_b32_e32 v56, 0x7f80
	s_and_saveexec_b64 s[10:11], vcc
	s_cbranch_execz .LBB841_197
; %bb.196:
	v_and_b32_e32 v58, 7, v38
	v_ffbh_u32_e32 v56, v58
	v_min_u32_e32 v60, 32, v56
	v_subrev_u32_e32 v56, 28, v60
	v_lshlrev_b64 v[56:57], v56, v[38:39]
	v_and_b32_e32 v56, 7, v56
	v_cmp_gt_u32_e32 vcc, 8, v52
	v_lshrrev_b32_e32 v59, 3, v52
	v_sub_u32_e32 v38, 29, v60
	v_cndmask_b32_e32 v52, v58, v56, vcc
	v_mov_b32_e32 v56, 24
	v_cndmask_b32_e32 v38, v59, v38, vcc
	v_lshlrev_b32_sdwa v56, v56, v41 dst_sel:DWORD dst_unused:UNUSED_PAD src0_sel:DWORD src1_sel:WORD_1
	v_bfrev_b32_e32 v57, 60
	v_lshlrev_b32_e32 v52, 20, v52
	v_and_b32_e32 v56, 0x80000000, v56
	v_lshl_add_u32 v38, v38, 23, v57
	v_or3_b32 v38, v56, v38, v52
	v_lshrrev_b32_e32 v56, 16, v38
.LBB841_197:
	s_or_b64 exec, exec, s[10:11]
.LBB841_198:
	s_or_b64 exec, exec, s[8:9]
.LBB841_199:
	s_or_b64 exec, exec, s[2:3]
	s_mov_b32 s2, 0xffffff
	v_cmp_lt_u32_e32 vcc, s2, v41
	v_mov_b32_e32 v52, 0
	v_mov_b32_e32 v57, 0
	s_and_saveexec_b64 s[2:3], vcc
	s_cbranch_execz .LBB841_205
; %bb.200:
	v_lshrrev_b32_e32 v38, 24, v41
	s_movk_i32 s8, 0x80
	v_cmp_ne_u32_e32 vcc, s8, v38
	v_mov_b32_e32 v57, 0xffff8000
	s_and_saveexec_b64 s[8:9], vcc
	s_cbranch_execz .LBB841_204
; %bb.201:
	v_bfe_u32 v41, v41, 24, 7
	s_movk_i32 s10, 0x7f
	v_cmp_ne_u32_e32 vcc, s10, v41
	v_mov_b32_e32 v57, 0x7f80
	s_and_saveexec_b64 s[10:11], vcc
	s_cbranch_execz .LBB841_203
; %bb.202:
	v_and_b32_e32 v57, 7, v38
	v_ffbh_u32_e32 v58, v57
	v_min_u32_e32 v61, 32, v58
	v_subrev_u32_e32 v58, 28, v61
	v_lshlrev_b64 v[58:59], v58, v[38:39]
	v_lshrrev_b32_e32 v60, 3, v41
	v_sub_u32_e32 v59, 29, v61
	v_and_b32_e32 v58, 7, v58
	v_cmp_gt_u32_e32 vcc, 8, v41
	v_cndmask_b32_e32 v41, v60, v59, vcc
	v_cndmask_b32_e32 v57, v57, v58, vcc
	v_lshlrev_b32_e32 v38, 24, v38
	v_bfrev_b32_e32 v58, 60
	v_lshlrev_b32_e32 v57, 20, v57
	v_and_b32_e32 v38, 0x80000000, v38
	v_lshl_add_u32 v41, v41, 23, v58
	v_or3_b32 v38, v38, v41, v57
	v_lshrrev_b32_e32 v57, 16, v38
.LBB841_203:
	s_or_b64 exec, exec, s[10:11]
.LBB841_204:
	s_or_b64 exec, exec, s[8:9]
.LBB841_205:
	s_or_b64 exec, exec, s[2:3]
	s_mov_b32 s2, 0x5040100
	v_perm_b32 v59, v55, v53, s2
	v_perm_b32 v58, v39, v51, s2
	;; [unrolled: 1-line block ×4, first 2 shown]
	v_cmp_ne_u16_sdwa s[8:9], v30, v52 src0_sel:BYTE_0 src1_sel:DWORD
	v_mfma_f32_16x16x16bf16_1k v[42:45], v[58:59], v[18:19], v[42:45]
	v_mfma_f32_16x16x16bf16_1k v[38:41], v[38:39], v[20:21], v[42:45]
	s_and_saveexec_b64 s[2:3], s[8:9]
	s_cbranch_execz .LBB841_211
; %bb.206:
	s_movk_i32 s8, 0x80
	v_cmp_ne_u16_sdwa s[10:11], v30, s8 src0_sel:BYTE_0 src1_sel:DWORD
	v_mov_b32_e32 v52, 0xffff8000
	s_and_saveexec_b64 s[8:9], s[10:11]
	s_cbranch_execz .LBB841_210
; %bb.207:
	s_movk_i32 s10, 0x7f
	s_nop 1
	v_and_b32_e32 v42, 0x7f, v30
	v_cmp_ne_u32_e32 vcc, s10, v42
	v_mov_b32_e32 v52, 0x7f80
	s_and_saveexec_b64 s[10:11], vcc
	s_cbranch_execz .LBB841_209
; %bb.208:
	v_and_b32_e32 v43, 7, v30
	v_ffbh_u32_e32 v44, v43
	v_min_u32_e32 v52, 32, v44
	v_subrev_u32_e32 v44, 28, v52
	v_lshlrev_b64 v[44:45], v44, v[30:31]
	v_lshrrev_b32_e32 v51, 3, v42
	v_sub_u32_e32 v45, 29, v52
	v_and_b32_e32 v44, 7, v44
	v_cmp_gt_u32_e32 vcc, 8, v42
	v_cndmask_b32_e32 v42, v51, v45, vcc
	v_cndmask_b32_e32 v43, v43, v44, vcc
	v_lshlrev_b32_e32 v44, 24, v30
	v_bfrev_b32_e32 v45, 60
	v_lshlrev_b32_e32 v43, 20, v43
	v_and_b32_e32 v44, 0x80000000, v44
	v_lshl_add_u32 v42, v42, 23, v45
	v_or3_b32 v42, v44, v42, v43
	v_lshrrev_b32_e32 v52, 16, v42
.LBB841_209:
	s_or_b64 exec, exec, s[10:11]
.LBB841_210:
	s_or_b64 exec, exec, s[8:9]
.LBB841_211:
	s_or_b64 exec, exec, s[2:3]
	s_nop 6
	v_lshrrev_b16_e32 v42, 8, v30
	v_cmp_ne_u16_e32 vcc, 0, v42
	v_mov_b32_e32 v44, 0
	v_mov_b32_e32 v43, 0
	s_and_saveexec_b64 s[2:3], vcc
	s_cbranch_execz .LBB841_217
; %bb.212:
	s_movk_i32 s8, 0x80
	v_cmp_ne_u16_e32 vcc, s8, v42
	v_mov_b32_e32 v43, 0xffff8000
	s_and_saveexec_b64 s[8:9], vcc
	s_cbranch_execz .LBB841_216
; %bb.213:
	s_movk_i32 s10, 0x7f
	v_and_b32_e32 v45, 0x7f, v42
	v_cmp_ne_u32_e32 vcc, s10, v45
	v_mov_b32_e32 v43, 0x7f80
	s_and_saveexec_b64 s[10:11], vcc
	s_cbranch_execz .LBB841_215
; %bb.214:
	v_and_b32_e32 v51, 7, v42
	v_ffbh_u32_e32 v43, v51
	v_min_u32_e32 v54, 32, v43
	v_subrev_u32_e32 v43, 28, v54
	v_lshlrev_b64 v[42:43], v43, v[42:43]
	v_lshrrev_b32_e32 v53, 3, v45
	v_sub_u32_e32 v43, 29, v54
	v_and_b32_e32 v42, 7, v42
	v_cmp_gt_u32_e32 vcc, 8, v45
	v_cndmask_b32_e32 v43, v53, v43, vcc
	v_cndmask_b32_e32 v42, v51, v42, vcc
	v_lshlrev_b32_e32 v45, 16, v30
	v_bfrev_b32_e32 v51, 60
	v_lshlrev_b32_e32 v42, 20, v42
	v_and_b32_e32 v45, 0x80000000, v45
	v_lshl_add_u32 v43, v43, 23, v51
	v_or3_b32 v42, v45, v43, v42
	v_lshrrev_b32_e32 v43, 16, v42
.LBB841_215:
	s_or_b64 exec, exec, s[10:11]
.LBB841_216:
	s_or_b64 exec, exec, s[8:9]
.LBB841_217:
	s_or_b64 exec, exec, s[2:3]
	s_movk_i32 s2, 0xff
	v_and_b32_sdwa v45, v30, s2 dst_sel:DWORD dst_unused:UNUSED_PAD src0_sel:WORD_1 src1_sel:DWORD
	v_lshrrev_b32_e32 v42, 16, v30
	v_cmp_ne_u16_e32 vcc, 0, v45
	s_and_saveexec_b64 s[2:3], vcc
	s_cbranch_execz .LBB841_223
; %bb.218:
	s_movk_i32 s8, 0x80
	v_cmp_ne_u16_e32 vcc, s8, v45
	v_mov_b32_e32 v44, 0xffff8000
	s_and_saveexec_b64 s[8:9], vcc
	s_cbranch_execz .LBB841_222
; %bb.219:
	v_bfe_u32 v45, v30, 16, 7
	s_movk_i32 s10, 0x7f
	v_cmp_ne_u32_e32 vcc, s10, v45
	v_mov_b32_e32 v44, 0x7f80
	s_and_saveexec_b64 s[10:11], vcc
	s_cbranch_execz .LBB841_221
; %bb.220:
	v_and_b32_e32 v44, 7, v42
	v_ffbh_u32_e32 v53, v44
	v_min_u32_e32 v53, 32, v53
	v_subrev_u32_e32 v54, 28, v53
	v_lshlrev_b64 v[54:55], v54, v[42:43]
	v_lshrrev_b32_e32 v51, 3, v45
	v_sub_u32_e32 v42, 29, v53
	v_and_b32_e32 v53, 7, v54
	v_cmp_gt_u32_e32 vcc, 8, v45
	v_mov_b32_e32 v45, 24
	v_cndmask_b32_e32 v42, v51, v42, vcc
	v_cndmask_b32_e32 v44, v44, v53, vcc
	v_lshlrev_b32_sdwa v45, v45, v30 dst_sel:DWORD dst_unused:UNUSED_PAD src0_sel:DWORD src1_sel:WORD_1
	v_bfrev_b32_e32 v51, 60
	v_lshlrev_b32_e32 v44, 20, v44
	v_and_b32_e32 v45, 0x80000000, v45
	v_lshl_add_u32 v42, v42, 23, v51
	v_or3_b32 v42, v45, v42, v44
	v_lshrrev_b32_e32 v44, 16, v42
.LBB841_221:
	s_or_b64 exec, exec, s[10:11]
.LBB841_222:
	s_or_b64 exec, exec, s[8:9]
.LBB841_223:
	s_or_b64 exec, exec, s[2:3]
	s_mov_b32 s2, 0xffffff
	v_cmp_lt_u32_e32 vcc, s2, v30
	v_mov_b32_e32 v45, 0
	v_mov_b32_e32 v53, 0
	s_and_saveexec_b64 s[2:3], vcc
	s_cbranch_execz .LBB841_229
; %bb.224:
	v_lshrrev_b32_e32 v42, 24, v30
	s_movk_i32 s8, 0x80
	v_cmp_ne_u32_e32 vcc, s8, v42
	v_mov_b32_e32 v53, 0xffff8000
	s_and_saveexec_b64 s[8:9], vcc
	s_cbranch_execz .LBB841_228
; %bb.225:
	v_bfe_u32 v30, v30, 24, 7
	s_movk_i32 s10, 0x7f
	v_cmp_ne_u32_e32 vcc, s10, v30
	v_mov_b32_e32 v53, 0x7f80
	s_and_saveexec_b64 s[10:11], vcc
	s_cbranch_execz .LBB841_227
; %bb.226:
	v_and_b32_e32 v51, 7, v42
	v_ffbh_u32_e32 v54, v51
	v_min_u32_e32 v56, 32, v54
	v_subrev_u32_e32 v54, 28, v56
	v_lshlrev_b64 v[54:55], v54, v[42:43]
	v_lshrrev_b32_e32 v53, 3, v30
	v_sub_u32_e32 v55, 29, v56
	v_and_b32_e32 v54, 7, v54
	v_cmp_gt_u32_e32 vcc, 8, v30
	v_cndmask_b32_e32 v30, v53, v55, vcc
	v_cndmask_b32_e32 v51, v51, v54, vcc
	v_lshlrev_b32_e32 v42, 24, v42
	v_bfrev_b32_e32 v53, 60
	v_lshlrev_b32_e32 v51, 20, v51
	v_and_b32_e32 v42, 0x80000000, v42
	v_lshl_add_u32 v30, v30, 23, v53
	v_or3_b32 v30, v42, v30, v51
	v_lshrrev_b32_e32 v53, 16, v30
.LBB841_227:
	s_or_b64 exec, exec, s[10:11]
.LBB841_228:
	s_or_b64 exec, exec, s[8:9]
.LBB841_229:
	s_or_b64 exec, exec, s[2:3]
	v_cmp_ne_u16_sdwa s[8:9], v31, v45 src0_sel:BYTE_0 src1_sel:DWORD
	s_and_saveexec_b64 s[2:3], s[8:9]
	s_cbranch_execz .LBB841_235
; %bb.230:
	s_movk_i32 s8, 0x80
	v_cmp_ne_u16_sdwa s[10:11], v31, s8 src0_sel:BYTE_0 src1_sel:DWORD
	v_mov_b32_e32 v45, 0xffff8000
	s_and_saveexec_b64 s[8:9], s[10:11]
	s_cbranch_execz .LBB841_234
; %bb.231:
	s_movk_i32 s10, 0x7f
	v_and_b32_e32 v30, 0x7f, v31
	v_cmp_ne_u32_e32 vcc, s10, v30
	v_mov_b32_e32 v45, 0x7f80
	s_and_saveexec_b64 s[10:11], vcc
	s_cbranch_execz .LBB841_233
; %bb.232:
	v_and_b32_e32 v45, 7, v31
	v_ffbh_u32_e32 v54, v45
	v_min_u32_e32 v56, 32, v54
	v_mov_b32_e32 v42, v31
	v_subrev_u32_e32 v54, 28, v56
	v_lshlrev_b64 v[54:55], v54, v[42:43]
	v_lshrrev_b32_e32 v51, 3, v30
	v_sub_u32_e32 v42, 29, v56
	v_and_b32_e32 v54, 7, v54
	v_cmp_gt_u32_e32 vcc, 8, v30
	v_cndmask_b32_e32 v30, v51, v42, vcc
	v_cndmask_b32_e32 v42, v45, v54, vcc
	v_lshlrev_b32_e32 v45, 24, v31
	v_bfrev_b32_e32 v51, 60
	v_lshlrev_b32_e32 v42, 20, v42
	v_and_b32_e32 v45, 0x80000000, v45
	v_lshl_add_u32 v30, v30, 23, v51
	v_or3_b32 v30, v45, v30, v42
	v_lshrrev_b32_e32 v45, 16, v30
.LBB841_233:
	s_or_b64 exec, exec, s[10:11]
.LBB841_234:
	s_or_b64 exec, exec, s[8:9]
.LBB841_235:
	s_or_b64 exec, exec, s[2:3]
	v_lshrrev_b16_e32 v30, 8, v31
	v_cmp_ne_u16_e32 vcc, 0, v30
	v_mov_b32_e32 v54, 0
	v_mov_b32_e32 v42, 0
	s_and_saveexec_b64 s[2:3], vcc
	s_cbranch_execz .LBB841_241
; %bb.236:
	s_movk_i32 s8, 0x80
	v_cmp_ne_u16_e32 vcc, s8, v30
	v_mov_b32_e32 v42, 0xffff8000
	s_and_saveexec_b64 s[8:9], vcc
	s_cbranch_execz .LBB841_240
; %bb.237:
	s_movk_i32 s10, 0x7f
	v_and_b32_e32 v51, 0x7f, v30
	v_cmp_ne_u32_e32 vcc, s10, v51
	v_mov_b32_e32 v42, 0x7f80
	s_and_saveexec_b64 s[10:11], vcc
	s_cbranch_execz .LBB841_239
; %bb.238:
	v_and_b32_e32 v42, 7, v30
	v_ffbh_u32_e32 v56, v42
	v_min_u32_e32 v58, 32, v56
	v_subrev_u32_e32 v56, 28, v58
	v_lshlrev_b64 v[56:57], v56, v[30:31]
	v_lshrrev_b32_e32 v55, 3, v51
	v_sub_u32_e32 v30, 29, v58
	v_and_b32_e32 v56, 7, v56
	v_cmp_gt_u32_e32 vcc, 8, v51
	v_cndmask_b32_e32 v30, v55, v30, vcc
	v_cndmask_b32_e32 v42, v42, v56, vcc
	v_lshlrev_b32_e32 v51, 16, v31
	v_bfrev_b32_e32 v55, 60
	v_lshlrev_b32_e32 v42, 20, v42
	v_and_b32_e32 v51, 0x80000000, v51
	v_lshl_add_u32 v30, v30, 23, v55
	v_or3_b32 v30, v51, v30, v42
	v_lshrrev_b32_e32 v42, 16, v30
.LBB841_239:
	s_or_b64 exec, exec, s[10:11]
.LBB841_240:
	s_or_b64 exec, exec, s[8:9]
.LBB841_241:
	s_or_b64 exec, exec, s[2:3]
	s_movk_i32 s2, 0xff
	v_and_b32_sdwa v51, v31, s2 dst_sel:DWORD dst_unused:UNUSED_PAD src0_sel:WORD_1 src1_sel:DWORD
	v_lshrrev_b32_e32 v30, 16, v31
	v_cmp_ne_u16_e32 vcc, 0, v51
	s_and_saveexec_b64 s[2:3], vcc
	s_cbranch_execz .LBB841_247
; %bb.242:
	s_movk_i32 s8, 0x80
	v_cmp_ne_u16_e32 vcc, s8, v51
	v_mov_b32_e32 v54, 0xffff8000
	s_and_saveexec_b64 s[8:9], vcc
	s_cbranch_execz .LBB841_246
; %bb.243:
	v_bfe_u32 v51, v31, 16, 7
	s_movk_i32 s10, 0x7f
	v_cmp_ne_u32_e32 vcc, s10, v51
	v_mov_b32_e32 v54, 0x7f80
	s_and_saveexec_b64 s[10:11], vcc
	s_cbranch_execz .LBB841_245
; %bb.244:
	v_and_b32_e32 v56, 7, v30
	v_ffbh_u32_e32 v54, v56
	v_min_u32_e32 v58, 32, v54
	v_subrev_u32_e32 v54, 28, v58
	v_lshlrev_b64 v[54:55], v54, v[30:31]
	v_and_b32_e32 v54, 7, v54
	v_cmp_gt_u32_e32 vcc, 8, v51
	v_lshrrev_b32_e32 v57, 3, v51
	v_sub_u32_e32 v30, 29, v58
	v_cndmask_b32_e32 v51, v56, v54, vcc
	v_mov_b32_e32 v54, 24
	v_cndmask_b32_e32 v30, v57, v30, vcc
	v_lshlrev_b32_sdwa v54, v54, v31 dst_sel:DWORD dst_unused:UNUSED_PAD src0_sel:DWORD src1_sel:WORD_1
	v_bfrev_b32_e32 v55, 60
	v_lshlrev_b32_e32 v51, 20, v51
	v_and_b32_e32 v54, 0x80000000, v54
	v_lshl_add_u32 v30, v30, 23, v55
	v_or3_b32 v30, v54, v30, v51
	v_lshrrev_b32_e32 v54, 16, v30
.LBB841_245:
	s_or_b64 exec, exec, s[10:11]
.LBB841_246:
	s_or_b64 exec, exec, s[8:9]
.LBB841_247:
	s_or_b64 exec, exec, s[2:3]
	s_mov_b32 s2, 0xffffff
	v_cmp_lt_u32_e32 vcc, s2, v31
	v_mov_b32_e32 v51, 0
	v_mov_b32_e32 v55, 0
	s_and_saveexec_b64 s[2:3], vcc
	s_cbranch_execz .LBB841_253
; %bb.248:
	v_lshrrev_b32_e32 v30, 24, v31
	s_movk_i32 s8, 0x80
	v_cmp_ne_u32_e32 vcc, s8, v30
	v_mov_b32_e32 v55, 0xffff8000
	s_and_saveexec_b64 s[8:9], vcc
	s_cbranch_execz .LBB841_252
; %bb.249:
	v_bfe_u32 v31, v31, 24, 7
	s_movk_i32 s10, 0x7f
	v_cmp_ne_u32_e32 vcc, s10, v31
	v_mov_b32_e32 v55, 0x7f80
	s_and_saveexec_b64 s[10:11], vcc
	s_cbranch_execz .LBB841_251
; %bb.250:
	v_and_b32_e32 v55, 7, v30
	v_ffbh_u32_e32 v56, v55
	v_min_u32_e32 v59, 32, v56
	v_subrev_u32_e32 v56, 28, v59
	v_lshlrev_b64 v[56:57], v56, v[30:31]
	v_lshrrev_b32_e32 v58, 3, v31
	v_sub_u32_e32 v57, 29, v59
	v_and_b32_e32 v56, 7, v56
	v_cmp_gt_u32_e32 vcc, 8, v31
	v_cndmask_b32_e32 v31, v58, v57, vcc
	v_cndmask_b32_e32 v55, v55, v56, vcc
	v_lshlrev_b32_e32 v30, 24, v30
	v_bfrev_b32_e32 v56, 60
	v_lshlrev_b32_e32 v55, 20, v55
	v_and_b32_e32 v30, 0x80000000, v30
	v_lshl_add_u32 v31, v31, 23, v56
	v_or3_b32 v30, v30, v31, v55
	v_lshrrev_b32_e32 v55, 16, v30
.LBB841_251:
	s_or_b64 exec, exec, s[10:11]
.LBB841_252:
	s_or_b64 exec, exec, s[8:9]
.LBB841_253:
	s_or_b64 exec, exec, s[2:3]
	s_mov_b32 s2, 0x5040100
	v_perm_b32 v31, v53, v44, s2
	v_perm_b32 v30, v43, v52, s2
	v_cmp_ne_u16_sdwa s[8:9], v32, v51 src0_sel:BYTE_0 src1_sel:DWORD
	s_nop 0
	v_mfma_f32_16x16x16bf16_1k v[56:59], v[30:31], v[26:27], 0
	v_perm_b32 v31, v55, v54, s2
	v_perm_b32 v30, v42, v45, s2
	s_nop 1
	v_mfma_f32_16x16x16bf16_1k v[42:45], v[30:31], v[28:29], v[56:59]
	s_and_saveexec_b64 s[2:3], s[8:9]
	s_cbranch_execz .LBB841_259
; %bb.254:
	s_movk_i32 s8, 0x80
	v_cmp_ne_u16_sdwa s[10:11], v32, s8 src0_sel:BYTE_0 src1_sel:DWORD
	v_mov_b32_e32 v51, 0xffff8000
	s_and_saveexec_b64 s[8:9], s[10:11]
	s_cbranch_execz .LBB841_258
; %bb.255:
	s_movk_i32 s10, 0x7f
	v_and_b32_e32 v30, 0x7f, v32
	v_cmp_ne_u32_e32 vcc, s10, v30
	v_mov_b32_e32 v51, 0x7f80
	s_and_saveexec_b64 s[10:11], vcc
	s_cbranch_execz .LBB841_257
; %bb.256:
	v_and_b32_e32 v31, 7, v32
	v_ffbh_u32_e32 v52, v31
	v_min_u32_e32 v54, 32, v52
	v_subrev_u32_e32 v52, 28, v54
	v_lshlrev_b64 v[52:53], v52, v[32:33]
	v_lshrrev_b32_e32 v51, 3, v30
	v_sub_u32_e32 v53, 29, v54
	v_and_b32_e32 v52, 7, v52
	v_cmp_gt_u32_e32 vcc, 8, v30
	v_cndmask_b32_e32 v30, v51, v53, vcc
	v_cndmask_b32_e32 v31, v31, v52, vcc
	v_lshlrev_b32_e32 v51, 24, v32
	v_bfrev_b32_e32 v52, 60
	v_lshlrev_b32_e32 v31, 20, v31
	v_and_b32_e32 v51, 0x80000000, v51
	v_lshl_add_u32 v30, v30, 23, v52
	v_or3_b32 v30, v51, v30, v31
	v_lshrrev_b32_e32 v51, 16, v30
.LBB841_257:
	s_or_b64 exec, exec, s[10:11]
.LBB841_258:
	s_or_b64 exec, exec, s[8:9]
.LBB841_259:
	s_or_b64 exec, exec, s[2:3]
	v_lshrrev_b16_e32 v30, 8, v32
	v_cmp_ne_u16_e32 vcc, 0, v30
	v_mov_b32_e32 v53, 0
	v_mov_b32_e32 v31, 0
	s_and_saveexec_b64 s[2:3], vcc
	s_cbranch_execz .LBB841_265
; %bb.260:
	s_movk_i32 s8, 0x80
	v_cmp_ne_u16_e32 vcc, s8, v30
	v_mov_b32_e32 v31, 0xffff8000
	s_and_saveexec_b64 s[8:9], vcc
	s_cbranch_execz .LBB841_264
; %bb.261:
	s_movk_i32 s10, 0x7f
	v_and_b32_e32 v52, 0x7f, v30
	v_cmp_ne_u32_e32 vcc, s10, v52
	v_mov_b32_e32 v31, 0x7f80
	s_and_saveexec_b64 s[10:11], vcc
	s_cbranch_execz .LBB841_263
; %bb.262:
	v_and_b32_e32 v54, 7, v30
	v_ffbh_u32_e32 v31, v54
	v_min_u32_e32 v56, 32, v31
	v_subrev_u32_e32 v31, 28, v56
	v_lshlrev_b64 v[30:31], v31, v[30:31]
	v_lshrrev_b32_e32 v55, 3, v52
	v_sub_u32_e32 v31, 29, v56
	v_and_b32_e32 v30, 7, v30
	v_cmp_gt_u32_e32 vcc, 8, v52
	v_cndmask_b32_e32 v31, v55, v31, vcc
	v_cndmask_b32_e32 v30, v54, v30, vcc
	v_lshlrev_b32_e32 v52, 16, v32
	v_bfrev_b32_e32 v54, 60
	v_lshlrev_b32_e32 v30, 20, v30
	v_and_b32_e32 v52, 0x80000000, v52
	v_lshl_add_u32 v31, v31, 23, v54
	v_or3_b32 v30, v52, v31, v30
	v_lshrrev_b32_e32 v31, 16, v30
.LBB841_263:
	s_or_b64 exec, exec, s[10:11]
.LBB841_264:
	s_or_b64 exec, exec, s[8:9]
.LBB841_265:
	s_or_b64 exec, exec, s[2:3]
	s_movk_i32 s2, 0xff
	v_and_b32_sdwa v52, v32, s2 dst_sel:DWORD dst_unused:UNUSED_PAD src0_sel:WORD_1 src1_sel:DWORD
	v_lshrrev_b32_e32 v30, 16, v32
	v_cmp_ne_u16_e32 vcc, 0, v52
	s_and_saveexec_b64 s[2:3], vcc
	s_cbranch_execz .LBB841_271
; %bb.266:
	s_movk_i32 s8, 0x80
	v_cmp_ne_u16_e32 vcc, s8, v52
	v_mov_b32_e32 v53, 0xffff8000
	s_and_saveexec_b64 s[8:9], vcc
	s_cbranch_execz .LBB841_270
; %bb.267:
	v_bfe_u32 v52, v32, 16, 7
	s_movk_i32 s10, 0x7f
	v_cmp_ne_u32_e32 vcc, s10, v52
	v_mov_b32_e32 v53, 0x7f80
	s_and_saveexec_b64 s[10:11], vcc
	s_cbranch_execz .LBB841_269
; %bb.268:
	v_and_b32_e32 v53, 7, v30
	v_ffbh_u32_e32 v54, v53
	v_min_u32_e32 v57, 32, v54
	v_subrev_u32_e32 v54, 28, v57
	v_lshlrev_b64 v[54:55], v54, v[30:31]
	v_and_b32_e32 v54, 7, v54
	v_cmp_gt_u32_e32 vcc, 8, v52
	v_lshrrev_b32_e32 v56, 3, v52
	v_sub_u32_e32 v30, 29, v57
	v_cndmask_b32_e32 v52, v53, v54, vcc
	v_mov_b32_e32 v53, 24
	v_cndmask_b32_e32 v30, v56, v30, vcc
	v_lshlrev_b32_sdwa v53, v53, v32 dst_sel:DWORD dst_unused:UNUSED_PAD src0_sel:DWORD src1_sel:WORD_1
	v_bfrev_b32_e32 v54, 60
	v_lshlrev_b32_e32 v52, 20, v52
	v_and_b32_e32 v53, 0x80000000, v53
	v_lshl_add_u32 v30, v30, 23, v54
	v_or3_b32 v30, v53, v30, v52
	v_lshrrev_b32_e32 v53, 16, v30
.LBB841_269:
	s_or_b64 exec, exec, s[10:11]
.LBB841_270:
	s_or_b64 exec, exec, s[8:9]
.LBB841_271:
	s_or_b64 exec, exec, s[2:3]
	s_mov_b32 s2, 0xffffff
	v_cmp_lt_u32_e32 vcc, s2, v32
	v_mov_b32_e32 v54, 0
	v_mov_b32_e32 v55, 0
	s_and_saveexec_b64 s[2:3], vcc
	s_cbranch_execz .LBB841_277
; %bb.272:
	v_lshrrev_b32_e32 v30, 24, v32
	s_movk_i32 s8, 0x80
	v_cmp_ne_u32_e32 vcc, s8, v30
	v_mov_b32_e32 v55, 0xffff8000
	s_and_saveexec_b64 s[8:9], vcc
	s_cbranch_execz .LBB841_276
; %bb.273:
	v_bfe_u32 v32, v32, 24, 7
	s_movk_i32 s10, 0x7f
	v_cmp_ne_u32_e32 vcc, s10, v32
	v_mov_b32_e32 v55, 0x7f80
	s_and_saveexec_b64 s[10:11], vcc
	s_cbranch_execz .LBB841_275
; %bb.274:
	v_and_b32_e32 v52, 7, v30
	v_ffbh_u32_e32 v56, v52
	v_min_u32_e32 v58, 32, v56
	v_subrev_u32_e32 v56, 28, v58
	v_lshlrev_b64 v[56:57], v56, v[30:31]
	v_lshrrev_b32_e32 v55, 3, v32
	v_sub_u32_e32 v57, 29, v58
	v_and_b32_e32 v56, 7, v56
	v_cmp_gt_u32_e32 vcc, 8, v32
	v_cndmask_b32_e32 v32, v55, v57, vcc
	v_cndmask_b32_e32 v52, v52, v56, vcc
	v_lshlrev_b32_e32 v30, 24, v30
	v_bfrev_b32_e32 v55, 60
	v_lshlrev_b32_e32 v52, 20, v52
	v_and_b32_e32 v30, 0x80000000, v30
	v_lshl_add_u32 v32, v32, 23, v55
	v_or3_b32 v30, v30, v32, v52
	v_lshrrev_b32_e32 v55, 16, v30
.LBB841_275:
	s_or_b64 exec, exec, s[10:11]
.LBB841_276:
	s_or_b64 exec, exec, s[8:9]
.LBB841_277:
	s_or_b64 exec, exec, s[2:3]
	v_cmp_ne_u16_sdwa s[8:9], v33, v54 src0_sel:BYTE_0 src1_sel:DWORD
	s_and_saveexec_b64 s[2:3], s[8:9]
	s_cbranch_execz .LBB841_283
; %bb.278:
	s_movk_i32 s8, 0x80
	v_cmp_ne_u16_sdwa s[10:11], v33, s8 src0_sel:BYTE_0 src1_sel:DWORD
	v_mov_b32_e32 v54, 0xffff8000
	s_and_saveexec_b64 s[8:9], s[10:11]
	s_cbranch_execz .LBB841_282
; %bb.279:
	s_movk_i32 s10, 0x7f
	v_and_b32_e32 v30, 0x7f, v33
	v_cmp_ne_u32_e32 vcc, s10, v30
	v_mov_b32_e32 v54, 0x7f80
	s_and_saveexec_b64 s[10:11], vcc
	s_cbranch_execz .LBB841_281
; %bb.280:
	v_and_b32_e32 v52, 7, v33
	v_ffbh_u32_e32 v56, v52
	v_min_u32_e32 v58, 32, v56
	v_mov_b32_e32 v32, v33
	v_subrev_u32_e32 v56, 28, v58
	v_lshlrev_b64 v[56:57], v56, v[32:33]
	v_lshrrev_b32_e32 v54, 3, v30
	v_sub_u32_e32 v32, 29, v58
	v_and_b32_e32 v56, 7, v56
	v_cmp_gt_u32_e32 vcc, 8, v30
	v_cndmask_b32_e32 v30, v54, v32, vcc
	v_cndmask_b32_e32 v32, v52, v56, vcc
	v_lshlrev_b32_e32 v52, 24, v33
	v_bfrev_b32_e32 v54, 60
	v_lshlrev_b32_e32 v32, 20, v32
	v_and_b32_e32 v52, 0x80000000, v52
	v_lshl_add_u32 v30, v30, 23, v54
	v_or3_b32 v30, v52, v30, v32
	v_lshrrev_b32_e32 v54, 16, v30
.LBB841_281:
	s_or_b64 exec, exec, s[10:11]
.LBB841_282:
	s_or_b64 exec, exec, s[8:9]
.LBB841_283:
	s_or_b64 exec, exec, s[2:3]
	v_lshrrev_b16_e32 v30, 8, v33
	v_cmp_ne_u16_e32 vcc, 0, v30
	v_mov_b32_e32 v56, 0
	v_mov_b32_e32 v32, 0
	s_and_saveexec_b64 s[2:3], vcc
	s_cbranch_execz .LBB841_289
; %bb.284:
	s_movk_i32 s8, 0x80
	v_cmp_ne_u16_e32 vcc, s8, v30
	v_mov_b32_e32 v32, 0xffff8000
	s_and_saveexec_b64 s[8:9], vcc
	s_cbranch_execz .LBB841_288
; %bb.285:
	s_movk_i32 s10, 0x7f
	v_and_b32_e32 v52, 0x7f, v30
	v_cmp_ne_u32_e32 vcc, s10, v52
	v_mov_b32_e32 v32, 0x7f80
	s_and_saveexec_b64 s[10:11], vcc
	s_cbranch_execz .LBB841_287
; %bb.286:
	v_and_b32_e32 v32, 7, v30
	v_ffbh_u32_e32 v58, v32
	v_min_u32_e32 v60, 32, v58
	v_subrev_u32_e32 v58, 28, v60
	v_lshlrev_b64 v[58:59], v58, v[30:31]
	v_lshrrev_b32_e32 v57, 3, v52
	v_sub_u32_e32 v30, 29, v60
	v_and_b32_e32 v58, 7, v58
	v_cmp_gt_u32_e32 vcc, 8, v52
	v_cndmask_b32_e32 v30, v57, v30, vcc
	v_cndmask_b32_e32 v32, v32, v58, vcc
	v_lshlrev_b32_e32 v52, 16, v33
	v_bfrev_b32_e32 v57, 60
	v_lshlrev_b32_e32 v32, 20, v32
	v_and_b32_e32 v52, 0x80000000, v52
	v_lshl_add_u32 v30, v30, 23, v57
	v_or3_b32 v30, v52, v30, v32
	v_lshrrev_b32_e32 v32, 16, v30
.LBB841_287:
	s_or_b64 exec, exec, s[10:11]
.LBB841_288:
	s_or_b64 exec, exec, s[8:9]
.LBB841_289:
	s_or_b64 exec, exec, s[2:3]
	s_movk_i32 s2, 0xff
	v_and_b32_sdwa v52, v33, s2 dst_sel:DWORD dst_unused:UNUSED_PAD src0_sel:WORD_1 src1_sel:DWORD
	v_lshrrev_b32_e32 v30, 16, v33
	v_cmp_ne_u16_e32 vcc, 0, v52
	s_and_saveexec_b64 s[2:3], vcc
	s_cbranch_execz .LBB841_295
; %bb.290:
	s_movk_i32 s8, 0x80
	v_cmp_ne_u16_e32 vcc, s8, v52
	v_mov_b32_e32 v56, 0xffff8000
	s_and_saveexec_b64 s[8:9], vcc
	s_cbranch_execz .LBB841_294
; %bb.291:
	v_bfe_u32 v52, v33, 16, 7
	s_movk_i32 s10, 0x7f
	v_cmp_ne_u32_e32 vcc, s10, v52
	v_mov_b32_e32 v56, 0x7f80
	s_and_saveexec_b64 s[10:11], vcc
	s_cbranch_execz .LBB841_293
; %bb.292:
	v_and_b32_e32 v58, 7, v30
	v_ffbh_u32_e32 v56, v58
	v_min_u32_e32 v60, 32, v56
	v_subrev_u32_e32 v56, 28, v60
	v_lshlrev_b64 v[56:57], v56, v[30:31]
	v_and_b32_e32 v56, 7, v56
	v_cmp_gt_u32_e32 vcc, 8, v52
	v_lshrrev_b32_e32 v59, 3, v52
	v_sub_u32_e32 v30, 29, v60
	v_cndmask_b32_e32 v52, v58, v56, vcc
	v_mov_b32_e32 v56, 24
	v_cndmask_b32_e32 v30, v59, v30, vcc
	v_lshlrev_b32_sdwa v56, v56, v33 dst_sel:DWORD dst_unused:UNUSED_PAD src0_sel:DWORD src1_sel:WORD_1
	v_bfrev_b32_e32 v57, 60
	v_lshlrev_b32_e32 v52, 20, v52
	v_and_b32_e32 v56, 0x80000000, v56
	v_lshl_add_u32 v30, v30, 23, v57
	v_or3_b32 v30, v56, v30, v52
	v_lshrrev_b32_e32 v56, 16, v30
.LBB841_293:
	s_or_b64 exec, exec, s[10:11]
.LBB841_294:
	s_or_b64 exec, exec, s[8:9]
.LBB841_295:
	s_or_b64 exec, exec, s[2:3]
	s_mov_b32 s2, 0xffffff
	v_cmp_lt_u32_e32 vcc, s2, v33
	v_mov_b32_e32 v52, 0
	v_mov_b32_e32 v57, 0
	s_and_saveexec_b64 s[2:3], vcc
	s_cbranch_execz .LBB841_301
; %bb.296:
	v_lshrrev_b32_e32 v30, 24, v33
	s_movk_i32 s8, 0x80
	v_cmp_ne_u32_e32 vcc, s8, v30
	v_mov_b32_e32 v57, 0xffff8000
	s_and_saveexec_b64 s[8:9], vcc
	s_cbranch_execz .LBB841_300
; %bb.297:
	v_bfe_u32 v33, v33, 24, 7
	s_movk_i32 s10, 0x7f
	v_cmp_ne_u32_e32 vcc, s10, v33
	v_mov_b32_e32 v57, 0x7f80
	s_and_saveexec_b64 s[10:11], vcc
	s_cbranch_execz .LBB841_299
; %bb.298:
	v_and_b32_e32 v57, 7, v30
	v_ffbh_u32_e32 v58, v57
	v_min_u32_e32 v61, 32, v58
	v_subrev_u32_e32 v58, 28, v61
	v_lshlrev_b64 v[58:59], v58, v[30:31]
	v_lshrrev_b32_e32 v60, 3, v33
	v_sub_u32_e32 v59, 29, v61
	v_and_b32_e32 v58, 7, v58
	v_cmp_gt_u32_e32 vcc, 8, v33
	v_cndmask_b32_e32 v33, v60, v59, vcc
	v_cndmask_b32_e32 v57, v57, v58, vcc
	v_lshlrev_b32_e32 v30, 24, v30
	v_bfrev_b32_e32 v58, 60
	v_lshlrev_b32_e32 v57, 20, v57
	v_and_b32_e32 v30, 0x80000000, v30
	v_lshl_add_u32 v33, v33, 23, v58
	v_or3_b32 v30, v30, v33, v57
	v_lshrrev_b32_e32 v57, 16, v30
.LBB841_299:
	s_or_b64 exec, exec, s[10:11]
.LBB841_300:
	s_or_b64 exec, exec, s[8:9]
.LBB841_301:
	s_or_b64 exec, exec, s[2:3]
	s_mov_b32 s2, 0x5040100
	v_perm_b32 v59, v55, v53, s2
	v_perm_b32 v58, v31, v51, s2
	;; [unrolled: 1-line block ×4, first 2 shown]
	v_cmp_ne_u16_sdwa s[8:9], v22, v52 src0_sel:BYTE_0 src1_sel:DWORD
	v_mfma_f32_16x16x16bf16_1k v[42:45], v[58:59], v[18:19], v[42:45]
	v_mfma_f32_16x16x16bf16_1k v[30:33], v[30:31], v[20:21], v[42:45]
	s_and_saveexec_b64 s[2:3], s[8:9]
	s_cbranch_execz .LBB841_307
; %bb.302:
	s_movk_i32 s8, 0x80
	v_cmp_ne_u16_sdwa s[10:11], v22, s8 src0_sel:BYTE_0 src1_sel:DWORD
	v_mov_b32_e32 v52, 0xffff8000
	s_and_saveexec_b64 s[8:9], s[10:11]
	s_cbranch_execz .LBB841_306
; %bb.303:
	s_movk_i32 s10, 0x7f
	s_nop 1
	v_and_b32_e32 v42, 0x7f, v22
	v_cmp_ne_u32_e32 vcc, s10, v42
	v_mov_b32_e32 v52, 0x7f80
	s_and_saveexec_b64 s[10:11], vcc
	s_cbranch_execz .LBB841_305
; %bb.304:
	v_and_b32_e32 v43, 7, v22
	v_ffbh_u32_e32 v44, v43
	v_min_u32_e32 v52, 32, v44
	v_subrev_u32_e32 v44, 28, v52
	v_lshlrev_b64 v[44:45], v44, v[22:23]
	v_lshrrev_b32_e32 v51, 3, v42
	v_sub_u32_e32 v45, 29, v52
	v_and_b32_e32 v44, 7, v44
	v_cmp_gt_u32_e32 vcc, 8, v42
	v_cndmask_b32_e32 v42, v51, v45, vcc
	v_cndmask_b32_e32 v43, v43, v44, vcc
	v_lshlrev_b32_e32 v44, 24, v22
	v_bfrev_b32_e32 v45, 60
	v_lshlrev_b32_e32 v43, 20, v43
	v_and_b32_e32 v44, 0x80000000, v44
	v_lshl_add_u32 v42, v42, 23, v45
	v_or3_b32 v42, v44, v42, v43
	v_lshrrev_b32_e32 v52, 16, v42
.LBB841_305:
	s_or_b64 exec, exec, s[10:11]
.LBB841_306:
	s_or_b64 exec, exec, s[8:9]
.LBB841_307:
	s_or_b64 exec, exec, s[2:3]
	s_nop 6
	v_lshrrev_b16_e32 v42, 8, v22
	v_cmp_ne_u16_e32 vcc, 0, v42
	v_mov_b32_e32 v44, 0
	v_mov_b32_e32 v43, 0
	s_and_saveexec_b64 s[2:3], vcc
	s_cbranch_execz .LBB841_313
; %bb.308:
	s_movk_i32 s8, 0x80
	v_cmp_ne_u16_e32 vcc, s8, v42
	v_mov_b32_e32 v43, 0xffff8000
	s_and_saveexec_b64 s[8:9], vcc
	s_cbranch_execz .LBB841_312
; %bb.309:
	s_movk_i32 s10, 0x7f
	v_and_b32_e32 v45, 0x7f, v42
	v_cmp_ne_u32_e32 vcc, s10, v45
	v_mov_b32_e32 v43, 0x7f80
	s_and_saveexec_b64 s[10:11], vcc
	s_cbranch_execz .LBB841_311
; %bb.310:
	v_and_b32_e32 v51, 7, v42
	v_ffbh_u32_e32 v43, v51
	v_min_u32_e32 v54, 32, v43
	v_subrev_u32_e32 v43, 28, v54
	v_lshlrev_b64 v[42:43], v43, v[42:43]
	v_lshrrev_b32_e32 v53, 3, v45
	v_sub_u32_e32 v43, 29, v54
	v_and_b32_e32 v42, 7, v42
	v_cmp_gt_u32_e32 vcc, 8, v45
	v_cndmask_b32_e32 v43, v53, v43, vcc
	v_cndmask_b32_e32 v42, v51, v42, vcc
	v_lshlrev_b32_e32 v45, 16, v22
	v_bfrev_b32_e32 v51, 60
	v_lshlrev_b32_e32 v42, 20, v42
	v_and_b32_e32 v45, 0x80000000, v45
	v_lshl_add_u32 v43, v43, 23, v51
	v_or3_b32 v42, v45, v43, v42
	v_lshrrev_b32_e32 v43, 16, v42
.LBB841_311:
	s_or_b64 exec, exec, s[10:11]
.LBB841_312:
	s_or_b64 exec, exec, s[8:9]
.LBB841_313:
	s_or_b64 exec, exec, s[2:3]
	s_movk_i32 s2, 0xff
	v_and_b32_sdwa v45, v22, s2 dst_sel:DWORD dst_unused:UNUSED_PAD src0_sel:WORD_1 src1_sel:DWORD
	v_lshrrev_b32_e32 v42, 16, v22
	v_cmp_ne_u16_e32 vcc, 0, v45
	s_and_saveexec_b64 s[2:3], vcc
	s_cbranch_execz .LBB841_319
; %bb.314:
	s_movk_i32 s8, 0x80
	v_cmp_ne_u16_e32 vcc, s8, v45
	v_mov_b32_e32 v44, 0xffff8000
	s_and_saveexec_b64 s[8:9], vcc
	s_cbranch_execz .LBB841_318
; %bb.315:
	v_bfe_u32 v45, v22, 16, 7
	s_movk_i32 s10, 0x7f
	v_cmp_ne_u32_e32 vcc, s10, v45
	v_mov_b32_e32 v44, 0x7f80
	s_and_saveexec_b64 s[10:11], vcc
	s_cbranch_execz .LBB841_317
; %bb.316:
	v_and_b32_e32 v44, 7, v42
	v_ffbh_u32_e32 v53, v44
	v_min_u32_e32 v53, 32, v53
	v_subrev_u32_e32 v54, 28, v53
	v_lshlrev_b64 v[54:55], v54, v[42:43]
	v_lshrrev_b32_e32 v51, 3, v45
	v_sub_u32_e32 v42, 29, v53
	v_and_b32_e32 v53, 7, v54
	v_cmp_gt_u32_e32 vcc, 8, v45
	v_mov_b32_e32 v45, 24
	v_cndmask_b32_e32 v42, v51, v42, vcc
	v_cndmask_b32_e32 v44, v44, v53, vcc
	v_lshlrev_b32_sdwa v45, v45, v22 dst_sel:DWORD dst_unused:UNUSED_PAD src0_sel:DWORD src1_sel:WORD_1
	v_bfrev_b32_e32 v51, 60
	v_lshlrev_b32_e32 v44, 20, v44
	v_and_b32_e32 v45, 0x80000000, v45
	v_lshl_add_u32 v42, v42, 23, v51
	v_or3_b32 v42, v45, v42, v44
	v_lshrrev_b32_e32 v44, 16, v42
.LBB841_317:
	s_or_b64 exec, exec, s[10:11]
.LBB841_318:
	s_or_b64 exec, exec, s[8:9]
.LBB841_319:
	s_or_b64 exec, exec, s[2:3]
	s_mov_b32 s2, 0xffffff
	v_cmp_lt_u32_e32 vcc, s2, v22
	v_mov_b32_e32 v45, 0
	v_mov_b32_e32 v51, 0
	s_and_saveexec_b64 s[2:3], vcc
	s_cbranch_execz .LBB841_325
; %bb.320:
	v_lshrrev_b32_e32 v42, 24, v22
	s_movk_i32 s8, 0x80
	v_cmp_ne_u32_e32 vcc, s8, v42
	v_mov_b32_e32 v51, 0xffff8000
	s_and_saveexec_b64 s[8:9], vcc
	s_cbranch_execz .LBB841_324
; %bb.321:
	v_bfe_u32 v22, v22, 24, 7
	s_movk_i32 s10, 0x7f
	v_cmp_ne_u32_e32 vcc, s10, v22
	v_mov_b32_e32 v51, 0x7f80
	s_and_saveexec_b64 s[10:11], vcc
	s_cbranch_execz .LBB841_323
; %bb.322:
	v_and_b32_e32 v51, 7, v42
	v_ffbh_u32_e32 v54, v51
	v_min_u32_e32 v56, 32, v54
	v_subrev_u32_e32 v54, 28, v56
	v_lshlrev_b64 v[54:55], v54, v[42:43]
	v_lshrrev_b32_e32 v53, 3, v22
	v_sub_u32_e32 v55, 29, v56
	v_and_b32_e32 v54, 7, v54
	v_cmp_gt_u32_e32 vcc, 8, v22
	v_cndmask_b32_e32 v22, v53, v55, vcc
	v_cndmask_b32_e32 v51, v51, v54, vcc
	v_lshlrev_b32_e32 v42, 24, v42
	v_bfrev_b32_e32 v53, 60
	v_lshlrev_b32_e32 v51, 20, v51
	v_and_b32_e32 v42, 0x80000000, v42
	v_lshl_add_u32 v22, v22, 23, v53
	v_or3_b32 v22, v42, v22, v51
	v_lshrrev_b32_e32 v51, 16, v22
.LBB841_323:
	s_or_b64 exec, exec, s[10:11]
.LBB841_324:
	s_or_b64 exec, exec, s[8:9]
.LBB841_325:
	s_or_b64 exec, exec, s[2:3]
	v_cmp_ne_u16_sdwa s[8:9], v23, v45 src0_sel:BYTE_0 src1_sel:DWORD
	s_and_saveexec_b64 s[2:3], s[8:9]
	s_cbranch_execz .LBB841_331
; %bb.326:
	s_movk_i32 s8, 0x80
	v_cmp_ne_u16_sdwa s[10:11], v23, s8 src0_sel:BYTE_0 src1_sel:DWORD
	v_mov_b32_e32 v45, 0xffff8000
	s_and_saveexec_b64 s[8:9], s[10:11]
	s_cbranch_execz .LBB841_330
; %bb.327:
	s_movk_i32 s10, 0x7f
	v_and_b32_e32 v22, 0x7f, v23
	v_cmp_ne_u32_e32 vcc, s10, v22
	v_mov_b32_e32 v45, 0x7f80
	s_and_saveexec_b64 s[10:11], vcc
	s_cbranch_execz .LBB841_329
; %bb.328:
	v_and_b32_e32 v45, 7, v23
	v_ffbh_u32_e32 v54, v45
	v_min_u32_e32 v56, 32, v54
	v_mov_b32_e32 v42, v23
	v_subrev_u32_e32 v54, 28, v56
	v_lshlrev_b64 v[54:55], v54, v[42:43]
	v_lshrrev_b32_e32 v53, 3, v22
	v_sub_u32_e32 v42, 29, v56
	v_and_b32_e32 v54, 7, v54
	v_cmp_gt_u32_e32 vcc, 8, v22
	v_cndmask_b32_e32 v22, v53, v42, vcc
	v_cndmask_b32_e32 v42, v45, v54, vcc
	v_lshlrev_b32_e32 v45, 24, v23
	v_bfrev_b32_e32 v53, 60
	v_lshlrev_b32_e32 v42, 20, v42
	v_and_b32_e32 v45, 0x80000000, v45
	v_lshl_add_u32 v22, v22, 23, v53
	v_or3_b32 v22, v45, v22, v42
	v_lshrrev_b32_e32 v45, 16, v22
.LBB841_329:
	s_or_b64 exec, exec, s[10:11]
.LBB841_330:
	s_or_b64 exec, exec, s[8:9]
.LBB841_331:
	s_or_b64 exec, exec, s[2:3]
	v_lshrrev_b16_e32 v22, 8, v23
	v_cmp_ne_u16_e32 vcc, 0, v22
	v_mov_b32_e32 v54, 0
	v_mov_b32_e32 v53, 0
	s_and_saveexec_b64 s[2:3], vcc
	s_cbranch_execz .LBB841_337
; %bb.332:
	s_movk_i32 s8, 0x80
	v_cmp_ne_u16_e32 vcc, s8, v22
	v_mov_b32_e32 v53, 0xffff8000
	s_and_saveexec_b64 s[8:9], vcc
	s_cbranch_execz .LBB841_336
; %bb.333:
	s_movk_i32 s10, 0x7f
	v_and_b32_e32 v42, 0x7f, v22
	v_cmp_ne_u32_e32 vcc, s10, v42
	v_mov_b32_e32 v53, 0x7f80
	s_and_saveexec_b64 s[10:11], vcc
	s_cbranch_execz .LBB841_335
; %bb.334:
	v_and_b32_e32 v53, 7, v22
	v_ffbh_u32_e32 v56, v53
	v_min_u32_e32 v58, 32, v56
	v_subrev_u32_e32 v56, 28, v58
	v_lshlrev_b64 v[56:57], v56, v[22:23]
	v_lshrrev_b32_e32 v55, 3, v42
	v_sub_u32_e32 v22, 29, v58
	v_and_b32_e32 v56, 7, v56
	v_cmp_gt_u32_e32 vcc, 8, v42
	v_cndmask_b32_e32 v22, v55, v22, vcc
	v_cndmask_b32_e32 v42, v53, v56, vcc
	v_lshlrev_b32_e32 v53, 16, v23
	v_bfrev_b32_e32 v55, 60
	v_lshlrev_b32_e32 v42, 20, v42
	v_and_b32_e32 v53, 0x80000000, v53
	v_lshl_add_u32 v22, v22, 23, v55
	v_or3_b32 v22, v53, v22, v42
	v_lshrrev_b32_e32 v53, 16, v22
.LBB841_335:
	s_or_b64 exec, exec, s[10:11]
.LBB841_336:
	s_or_b64 exec, exec, s[8:9]
.LBB841_337:
	s_or_b64 exec, exec, s[2:3]
	s_movk_i32 s2, 0xff
	v_and_b32_sdwa v42, v23, s2 dst_sel:DWORD dst_unused:UNUSED_PAD src0_sel:WORD_1 src1_sel:DWORD
	v_lshrrev_b32_e32 v22, 16, v23
	v_cmp_ne_u16_e32 vcc, 0, v42
	s_and_saveexec_b64 s[2:3], vcc
	s_cbranch_execz .LBB841_343
; %bb.338:
	s_movk_i32 s8, 0x80
	v_cmp_ne_u16_e32 vcc, s8, v42
	v_mov_b32_e32 v54, 0xffff8000
	s_and_saveexec_b64 s[8:9], vcc
	s_cbranch_execz .LBB841_342
; %bb.339:
	v_bfe_u32 v42, v23, 16, 7
	s_movk_i32 s10, 0x7f
	v_cmp_ne_u32_e32 vcc, s10, v42
	v_mov_b32_e32 v54, 0x7f80
	s_and_saveexec_b64 s[10:11], vcc
	s_cbranch_execz .LBB841_341
; %bb.340:
	v_and_b32_e32 v56, 7, v22
	v_ffbh_u32_e32 v54, v56
	v_min_u32_e32 v58, 32, v54
	v_subrev_u32_e32 v54, 28, v58
	v_lshlrev_b64 v[54:55], v54, v[22:23]
	v_and_b32_e32 v54, 7, v54
	v_cmp_gt_u32_e32 vcc, 8, v42
	v_lshrrev_b32_e32 v57, 3, v42
	v_sub_u32_e32 v22, 29, v58
	v_cndmask_b32_e32 v42, v56, v54, vcc
	v_mov_b32_e32 v54, 24
	v_cndmask_b32_e32 v22, v57, v22, vcc
	v_lshlrev_b32_sdwa v54, v54, v23 dst_sel:DWORD dst_unused:UNUSED_PAD src0_sel:DWORD src1_sel:WORD_1
	v_bfrev_b32_e32 v55, 60
	v_lshlrev_b32_e32 v42, 20, v42
	v_and_b32_e32 v54, 0x80000000, v54
	v_lshl_add_u32 v22, v22, 23, v55
	v_or3_b32 v22, v54, v22, v42
	v_lshrrev_b32_e32 v54, 16, v22
.LBB841_341:
	s_or_b64 exec, exec, s[10:11]
.LBB841_342:
	s_or_b64 exec, exec, s[8:9]
.LBB841_343:
	s_or_b64 exec, exec, s[2:3]
	s_mov_b32 s2, 0xffffff
	v_cmp_lt_u32_e32 vcc, s2, v23
	v_mov_b32_e32 v42, 0
	v_mov_b32_e32 v55, 0
	s_and_saveexec_b64 s[2:3], vcc
	s_cbranch_execz .LBB841_349
; %bb.344:
	v_lshrrev_b32_e32 v22, 24, v23
	s_movk_i32 s8, 0x80
	v_cmp_ne_u32_e32 vcc, s8, v22
	v_mov_b32_e32 v55, 0xffff8000
	s_and_saveexec_b64 s[8:9], vcc
	s_cbranch_execz .LBB841_348
; %bb.345:
	v_bfe_u32 v23, v23, 24, 7
	s_movk_i32 s10, 0x7f
	v_cmp_ne_u32_e32 vcc, s10, v23
	v_mov_b32_e32 v55, 0x7f80
	s_and_saveexec_b64 s[10:11], vcc
	s_cbranch_execz .LBB841_347
; %bb.346:
	v_and_b32_e32 v55, 7, v22
	v_ffbh_u32_e32 v56, v55
	v_min_u32_e32 v59, 32, v56
	v_subrev_u32_e32 v56, 28, v59
	v_lshlrev_b64 v[56:57], v56, v[22:23]
	v_lshrrev_b32_e32 v58, 3, v23
	v_sub_u32_e32 v57, 29, v59
	v_and_b32_e32 v56, 7, v56
	v_cmp_gt_u32_e32 vcc, 8, v23
	v_cndmask_b32_e32 v23, v58, v57, vcc
	v_cndmask_b32_e32 v55, v55, v56, vcc
	v_lshlrev_b32_e32 v22, 24, v22
	v_bfrev_b32_e32 v56, 60
	v_lshlrev_b32_e32 v55, 20, v55
	v_and_b32_e32 v22, 0x80000000, v22
	v_lshl_add_u32 v23, v23, 23, v56
	v_or3_b32 v22, v22, v23, v55
	v_lshrrev_b32_e32 v55, 16, v22
.LBB841_347:
	s_or_b64 exec, exec, s[10:11]
.LBB841_348:
	s_or_b64 exec, exec, s[8:9]
.LBB841_349:
	s_or_b64 exec, exec, s[2:3]
	s_mov_b32 s2, 0x5040100
	v_perm_b32 v23, v51, v44, s2
	v_perm_b32 v22, v43, v52, s2
	v_cmp_ne_u16_sdwa s[8:9], v24, v42 src0_sel:BYTE_0 src1_sel:DWORD
	s_nop 0
	v_mfma_f32_16x16x16bf16_1k v[56:59], v[22:23], v[26:27], 0
	v_perm_b32 v23, v55, v54, s2
	v_perm_b32 v22, v53, v45, s2
	s_nop 1
	v_mfma_f32_16x16x16bf16_1k v[26:29], v[22:23], v[28:29], v[56:59]
	s_and_saveexec_b64 s[2:3], s[8:9]
	s_cbranch_execz .LBB841_355
; %bb.350:
	s_movk_i32 s8, 0x80
	v_cmp_ne_u16_sdwa s[10:11], v24, s8 src0_sel:BYTE_0 src1_sel:DWORD
	v_mov_b32_e32 v42, 0xffff8000
	s_and_saveexec_b64 s[8:9], s[10:11]
	s_cbranch_execz .LBB841_354
; %bb.351:
	s_movk_i32 s10, 0x7f
	v_and_b32_e32 v22, 0x7f, v24
	v_cmp_ne_u32_e32 vcc, s10, v22
	v_mov_b32_e32 v42, 0x7f80
	s_and_saveexec_b64 s[10:11], vcc
	s_cbranch_execz .LBB841_353
; %bb.352:
	v_and_b32_e32 v23, 7, v24
	v_ffbh_u32_e32 v42, v23
	v_min_u32_e32 v45, 32, v42
	v_subrev_u32_e32 v42, 28, v45
	v_lshlrev_b64 v[42:43], v42, v[24:25]
	v_lshrrev_b32_e32 v44, 3, v22
	v_sub_u32_e32 v43, 29, v45
	v_and_b32_e32 v42, 7, v42
	v_cmp_gt_u32_e32 vcc, 8, v22
	v_cndmask_b32_e32 v22, v44, v43, vcc
	v_cndmask_b32_e32 v23, v23, v42, vcc
	v_lshlrev_b32_e32 v42, 24, v24
	v_bfrev_b32_e32 v43, 60
	v_lshlrev_b32_e32 v23, 20, v23
	v_and_b32_e32 v42, 0x80000000, v42
	v_lshl_add_u32 v22, v22, 23, v43
	v_or3_b32 v22, v42, v22, v23
	v_lshrrev_b32_e32 v42, 16, v22
.LBB841_353:
	s_or_b64 exec, exec, s[10:11]
.LBB841_354:
	s_or_b64 exec, exec, s[8:9]
.LBB841_355:
	s_or_b64 exec, exec, s[2:3]
	v_lshrrev_b16_e32 v22, 8, v24
	v_cmp_ne_u16_e32 vcc, 0, v22
	v_mov_b32_e32 v43, 0
	v_mov_b32_e32 v23, 0
	s_and_saveexec_b64 s[2:3], vcc
	s_cbranch_execz .LBB841_361
; %bb.356:
	s_movk_i32 s8, 0x80
	v_cmp_ne_u16_e32 vcc, s8, v22
	v_mov_b32_e32 v23, 0xffff8000
	s_and_saveexec_b64 s[8:9], vcc
	s_cbranch_execz .LBB841_360
; %bb.357:
	s_movk_i32 s10, 0x7f
	v_and_b32_e32 v44, 0x7f, v22
	v_cmp_ne_u32_e32 vcc, s10, v44
	v_mov_b32_e32 v23, 0x7f80
	s_and_saveexec_b64 s[10:11], vcc
	s_cbranch_execz .LBB841_359
; %bb.358:
	v_and_b32_e32 v45, 7, v22
	v_ffbh_u32_e32 v23, v45
	v_min_u32_e32 v52, 32, v23
	v_subrev_u32_e32 v23, 28, v52
	v_lshlrev_b64 v[22:23], v23, v[22:23]
	v_lshrrev_b32_e32 v51, 3, v44
	v_sub_u32_e32 v23, 29, v52
	v_and_b32_e32 v22, 7, v22
	v_cmp_gt_u32_e32 vcc, 8, v44
	v_cndmask_b32_e32 v23, v51, v23, vcc
	v_cndmask_b32_e32 v22, v45, v22, vcc
	v_lshlrev_b32_e32 v44, 16, v24
	v_bfrev_b32_e32 v45, 60
	v_lshlrev_b32_e32 v22, 20, v22
	v_and_b32_e32 v44, 0x80000000, v44
	v_lshl_add_u32 v23, v23, 23, v45
	v_or3_b32 v22, v44, v23, v22
	v_lshrrev_b32_e32 v23, 16, v22
.LBB841_359:
	s_or_b64 exec, exec, s[10:11]
.LBB841_360:
	s_or_b64 exec, exec, s[8:9]
.LBB841_361:
	s_or_b64 exec, exec, s[2:3]
	s_movk_i32 s2, 0xff
	v_and_b32_sdwa v44, v24, s2 dst_sel:DWORD dst_unused:UNUSED_PAD src0_sel:WORD_1 src1_sel:DWORD
	v_lshrrev_b32_e32 v22, 16, v24
	v_cmp_ne_u16_e32 vcc, 0, v44
	s_and_saveexec_b64 s[2:3], vcc
	s_cbranch_execz .LBB841_367
; %bb.362:
	s_movk_i32 s8, 0x80
	v_cmp_ne_u16_e32 vcc, s8, v44
	v_mov_b32_e32 v43, 0xffff8000
	s_and_saveexec_b64 s[8:9], vcc
	s_cbranch_execz .LBB841_366
; %bb.363:
	v_bfe_u32 v44, v24, 16, 7
	s_movk_i32 s10, 0x7f
	v_cmp_ne_u32_e32 vcc, s10, v44
	v_mov_b32_e32 v43, 0x7f80
	s_and_saveexec_b64 s[10:11], vcc
	s_cbranch_execz .LBB841_365
; %bb.364:
	v_and_b32_e32 v43, 7, v22
	v_ffbh_u32_e32 v51, v43
	v_min_u32_e32 v51, 32, v51
	v_subrev_u32_e32 v52, 28, v51
	v_lshlrev_b64 v[52:53], v52, v[22:23]
	v_lshrrev_b32_e32 v45, 3, v44
	v_sub_u32_e32 v22, 29, v51
	v_and_b32_e32 v51, 7, v52
	v_cmp_gt_u32_e32 vcc, 8, v44
	v_mov_b32_e32 v44, 24
	v_cndmask_b32_e32 v22, v45, v22, vcc
	v_cndmask_b32_e32 v43, v43, v51, vcc
	v_lshlrev_b32_sdwa v44, v44, v24 dst_sel:DWORD dst_unused:UNUSED_PAD src0_sel:DWORD src1_sel:WORD_1
	v_bfrev_b32_e32 v45, 60
	v_lshlrev_b32_e32 v43, 20, v43
	v_and_b32_e32 v44, 0x80000000, v44
	v_lshl_add_u32 v22, v22, 23, v45
	v_or3_b32 v22, v44, v22, v43
	v_lshrrev_b32_e32 v43, 16, v22
.LBB841_365:
	s_or_b64 exec, exec, s[10:11]
.LBB841_366:
	s_or_b64 exec, exec, s[8:9]
.LBB841_367:
	s_or_b64 exec, exec, s[2:3]
	s_mov_b32 s2, 0xffffff
	v_cmp_lt_u32_e32 vcc, s2, v24
	v_mov_b32_e32 v45, 0
	v_mov_b32_e32 v51, 0
	s_and_saveexec_b64 s[2:3], vcc
	s_cbranch_execz .LBB841_373
; %bb.368:
	v_lshrrev_b32_e32 v22, 24, v24
	s_movk_i32 s8, 0x80
	v_cmp_ne_u32_e32 vcc, s8, v22
	v_mov_b32_e32 v51, 0xffff8000
	s_and_saveexec_b64 s[8:9], vcc
	s_cbranch_execz .LBB841_372
; %bb.369:
	v_bfe_u32 v24, v24, 24, 7
	s_movk_i32 s10, 0x7f
	v_cmp_ne_u32_e32 vcc, s10, v24
	v_mov_b32_e32 v51, 0x7f80
	s_and_saveexec_b64 s[10:11], vcc
	s_cbranch_execz .LBB841_371
; %bb.370:
	v_and_b32_e32 v44, 7, v22
	v_ffbh_u32_e32 v52, v44
	v_min_u32_e32 v54, 32, v52
	v_subrev_u32_e32 v52, 28, v54
	v_lshlrev_b64 v[52:53], v52, v[22:23]
	v_lshrrev_b32_e32 v51, 3, v24
	v_sub_u32_e32 v53, 29, v54
	v_and_b32_e32 v52, 7, v52
	v_cmp_gt_u32_e32 vcc, 8, v24
	v_cndmask_b32_e32 v24, v51, v53, vcc
	v_cndmask_b32_e32 v44, v44, v52, vcc
	v_lshlrev_b32_e32 v22, 24, v22
	v_bfrev_b32_e32 v51, 60
	v_lshlrev_b32_e32 v44, 20, v44
	v_and_b32_e32 v22, 0x80000000, v22
	v_lshl_add_u32 v24, v24, 23, v51
	v_or3_b32 v22, v22, v24, v44
	v_lshrrev_b32_e32 v51, 16, v22
.LBB841_371:
	s_or_b64 exec, exec, s[10:11]
.LBB841_372:
	s_or_b64 exec, exec, s[8:9]
.LBB841_373:
	s_or_b64 exec, exec, s[2:3]
	v_cmp_ne_u16_sdwa s[8:9], v25, v45 src0_sel:BYTE_0 src1_sel:DWORD
	s_and_saveexec_b64 s[2:3], s[8:9]
	s_cbranch_execz .LBB841_379
; %bb.374:
	s_movk_i32 s8, 0x80
	v_cmp_ne_u16_sdwa s[10:11], v25, s8 src0_sel:BYTE_0 src1_sel:DWORD
	v_mov_b32_e32 v45, 0xffff8000
	s_and_saveexec_b64 s[8:9], s[10:11]
	s_cbranch_execz .LBB841_378
; %bb.375:
	s_movk_i32 s10, 0x7f
	v_and_b32_e32 v22, 0x7f, v25
	v_cmp_ne_u32_e32 vcc, s10, v22
	v_mov_b32_e32 v45, 0x7f80
	s_and_saveexec_b64 s[10:11], vcc
	s_cbranch_execz .LBB841_377
; %bb.376:
	v_and_b32_e32 v52, 7, v25
	v_ffbh_u32_e32 v44, v52
	v_min_u32_e32 v54, 32, v44
	v_mov_b32_e32 v24, v25
	v_subrev_u32_e32 v44, 28, v54
	v_lshlrev_b64 v[44:45], v44, v[24:25]
	v_lshrrev_b32_e32 v53, 3, v22
	v_sub_u32_e32 v24, 29, v54
	v_and_b32_e32 v44, 7, v44
	v_cmp_gt_u32_e32 vcc, 8, v22
	v_cndmask_b32_e32 v22, v53, v24, vcc
	v_cndmask_b32_e32 v24, v52, v44, vcc
	v_lshlrev_b32_e32 v44, 24, v25
	v_bfrev_b32_e32 v45, 60
	v_lshlrev_b32_e32 v24, 20, v24
	v_and_b32_e32 v44, 0x80000000, v44
	v_lshl_add_u32 v22, v22, 23, v45
	v_or3_b32 v22, v44, v22, v24
	v_lshrrev_b32_e32 v45, 16, v22
.LBB841_377:
	s_or_b64 exec, exec, s[10:11]
.LBB841_378:
	s_or_b64 exec, exec, s[8:9]
.LBB841_379:
	s_or_b64 exec, exec, s[2:3]
	v_lshrrev_b16_e32 v22, 8, v25
	v_cmp_ne_u16_e32 vcc, 0, v22
	v_mov_b32_e32 v53, 0
	v_mov_b32_e32 v52, 0
	s_and_saveexec_b64 s[2:3], vcc
	s_cbranch_execz .LBB841_385
; %bb.380:
	s_movk_i32 s8, 0x80
	v_cmp_ne_u16_e32 vcc, s8, v22
	v_mov_b32_e32 v52, 0xffff8000
	s_and_saveexec_b64 s[8:9], vcc
	s_cbranch_execz .LBB841_384
; %bb.381:
	s_movk_i32 s10, 0x7f
	v_and_b32_e32 v24, 0x7f, v22
	v_cmp_ne_u32_e32 vcc, s10, v24
	v_mov_b32_e32 v52, 0x7f80
	s_and_saveexec_b64 s[10:11], vcc
	s_cbranch_execz .LBB841_383
; %bb.382:
	v_and_b32_e32 v44, 7, v22
	v_ffbh_u32_e32 v54, v44
	v_min_u32_e32 v56, 32, v54
	v_subrev_u32_e32 v54, 28, v56
	v_lshlrev_b64 v[54:55], v54, v[22:23]
	v_lshrrev_b32_e32 v52, 3, v24
	v_sub_u32_e32 v22, 29, v56
	v_and_b32_e32 v54, 7, v54
	v_cmp_gt_u32_e32 vcc, 8, v24
	v_cndmask_b32_e32 v22, v52, v22, vcc
	v_cndmask_b32_e32 v24, v44, v54, vcc
	v_lshlrev_b32_e32 v44, 16, v25
	v_bfrev_b32_e32 v52, 60
	v_lshlrev_b32_e32 v24, 20, v24
	v_and_b32_e32 v44, 0x80000000, v44
	v_lshl_add_u32 v22, v22, 23, v52
	v_or3_b32 v22, v44, v22, v24
	v_lshrrev_b32_e32 v52, 16, v22
.LBB841_383:
	s_or_b64 exec, exec, s[10:11]
.LBB841_384:
	s_or_b64 exec, exec, s[8:9]
.LBB841_385:
	s_or_b64 exec, exec, s[2:3]
	s_movk_i32 s2, 0xff
	v_and_b32_sdwa v24, v25, s2 dst_sel:DWORD dst_unused:UNUSED_PAD src0_sel:WORD_1 src1_sel:DWORD
	v_lshrrev_b32_e32 v22, 16, v25
	v_cmp_ne_u16_e32 vcc, 0, v24
	s_and_saveexec_b64 s[2:3], vcc
	s_cbranch_execz .LBB841_391
; %bb.386:
	s_movk_i32 s8, 0x80
	v_cmp_ne_u16_e32 vcc, s8, v24
	v_mov_b32_e32 v53, 0xffff8000
	s_and_saveexec_b64 s[8:9], vcc
	s_cbranch_execz .LBB841_390
; %bb.387:
	v_bfe_u32 v24, v25, 16, 7
	s_movk_i32 s10, 0x7f
	v_cmp_ne_u32_e32 vcc, s10, v24
	v_mov_b32_e32 v53, 0x7f80
	s_and_saveexec_b64 s[10:11], vcc
	s_cbranch_execz .LBB841_389
; %bb.388:
	v_and_b32_e32 v44, 7, v22
	v_ffbh_u32_e32 v54, v44
	v_min_u32_e32 v56, 32, v54
	v_subrev_u32_e32 v54, 28, v56
	v_lshlrev_b64 v[54:55], v54, v[22:23]
	v_and_b32_e32 v54, 7, v54
	v_cmp_gt_u32_e32 vcc, 8, v24
	v_lshrrev_b32_e32 v53, 3, v24
	v_sub_u32_e32 v22, 29, v56
	v_cndmask_b32_e32 v24, v44, v54, vcc
	v_mov_b32_e32 v44, 24
	v_cndmask_b32_e32 v22, v53, v22, vcc
	v_lshlrev_b32_sdwa v44, v44, v25 dst_sel:DWORD dst_unused:UNUSED_PAD src0_sel:DWORD src1_sel:WORD_1
	v_bfrev_b32_e32 v53, 60
	v_lshlrev_b32_e32 v24, 20, v24
	v_and_b32_e32 v44, 0x80000000, v44
	v_lshl_add_u32 v22, v22, 23, v53
	v_or3_b32 v22, v44, v22, v24
	v_lshrrev_b32_e32 v53, 16, v22
.LBB841_389:
	s_or_b64 exec, exec, s[10:11]
.LBB841_390:
	s_or_b64 exec, exec, s[8:9]
.LBB841_391:
	s_or_b64 exec, exec, s[2:3]
	s_mov_b32 s2, 0xffffff
	v_and_b32_e32 v44, 63, v0
	v_cmp_lt_u32_e32 vcc, s2, v25
	v_mov_b32_e32 v54, 0
	s_and_saveexec_b64 s[2:3], vcc
	s_cbranch_execz .LBB841_397
; %bb.392:
	v_lshrrev_b32_e32 v22, 24, v25
	s_movk_i32 s8, 0x80
	v_cmp_ne_u32_e32 vcc, s8, v22
	v_mov_b32_e32 v54, 0xffff8000
	s_and_saveexec_b64 s[8:9], vcc
	s_cbranch_execz .LBB841_396
; %bb.393:
	v_bfe_u32 v24, v25, 24, 7
	s_movk_i32 s10, 0x7f
	v_cmp_ne_u32_e32 vcc, s10, v24
	v_mov_b32_e32 v54, 0x7f80
	s_and_saveexec_b64 s[10:11], vcc
	s_cbranch_execz .LBB841_395
; %bb.394:
	v_and_b32_e32 v25, 7, v22
	v_ffbh_u32_e32 v54, v25
	v_min_u32_e32 v57, 32, v54
	v_subrev_u32_e32 v54, 28, v57
	v_lshlrev_b64 v[54:55], v54, v[22:23]
	v_lshrrev_b32_e32 v56, 3, v24
	v_sub_u32_e32 v55, 29, v57
	v_and_b32_e32 v54, 7, v54
	v_cmp_gt_u32_e32 vcc, 8, v24
	v_cndmask_b32_e32 v24, v56, v55, vcc
	v_cndmask_b32_e32 v25, v25, v54, vcc
	v_lshlrev_b32_e32 v22, 24, v22
	v_bfrev_b32_e32 v54, 60
	v_lshlrev_b32_e32 v25, 20, v25
	v_and_b32_e32 v22, 0x80000000, v22
	v_lshl_add_u32 v24, v24, 23, v54
	v_or3_b32 v22, v22, v24, v25
	v_lshrrev_b32_e32 v54, 16, v22
.LBB841_395:
	s_or_b64 exec, exec, s[10:11]
.LBB841_396:
	s_or_b64 exec, exec, s[8:9]
.LBB841_397:
	s_or_b64 exec, exec, s[2:3]
	s_mov_b32 s3, 0x5040100
	v_perm_b32 v43, v51, v43, s3
	v_perm_b32 v42, v23, v42, s3
	s_load_dword s2, s[4:5], 0x1c
	s_mov_b32 s46, 0xff7fffff
	s_waitcnt lgkmcnt(0)
	v_mfma_f32_16x16x16bf16_1k v[26:29], v[42:43], v[18:19], v[26:29]
	v_perm_b32 v19, v54, v53, s3
	v_perm_b32 v18, v52, v45, s3
	v_mov_b32_e32 v22, s2
	v_mul_f32_e32 v56, s12, v22
	v_pk_mul_f32 v[22:23], v[56:57], v[32:33] op_sel_hi:[0,1]
	v_pk_mul_f32 v[32:33], v[56:57], v[38:39] op_sel_hi:[0,1]
	v_and_b32_e32 v38, 0xc0, v0
	v_mfma_f32_16x16x16bf16_1k v[26:29], v[18:19], v[20:21], v[26:29]
	v_add_u32_e32 v38, s18, v38
	v_lshl_or_b32 v38, v1, 2, v38
	v_or_b32_e32 v39, 1, v38
	v_pk_mul_f32 v[24:25], v[56:57], v[30:31] op_sel_hi:[0,1]
	v_pk_mul_f32 v[30:31], v[56:57], v[40:41] op_sel_hi:[0,1]
	v_subrev_u32_e32 v40, s33, v39
	v_pk_mul_f32 v[34:35], v[56:57], v[34:35] op_sel_hi:[0,1]
	s_nop 3
	v_pk_mul_f32 v[20:21], v[56:57], v[26:27] op_sel_hi:[0,1]
	v_add_u32_e32 v27, 1, v40
	v_pk_mul_f32 v[18:19], v[56:57], v[28:29] op_sel_hi:[0,1]
	v_cvt_f32_i32_e32 v27, v27
	v_add_u32_e32 v29, 3, v40
	v_cvt_f32_i32_e32 v29, v29
	v_cvt_f32_i32_e32 v26, v40
	v_pk_mul_f32 v[36:37], v[56:57], v[36:37] op_sel_hi:[0,1]
	v_fmac_f32_e32 v35, v50, v27
	v_add_u32_e32 v27, 16, v40
	v_fmac_f32_e32 v37, v50, v29
	v_cvt_f32_i32_e32 v27, v27
	v_add_u32_e32 v29, 17, v40
	v_fma_f32 v26, v50, v26, v34
	v_cvt_f32_i32_e32 v29, v29
	v_add_u32_e32 v34, 18, v40
	v_cvt_f32_i32_e32 v34, v34
	v_fma_f32 v41, v50, v27, v32
	v_add_u32_e32 v27, 32, v40
	v_fmac_f32_e32 v33, v50, v29
	v_cvt_f32_i32_e32 v27, v27
	v_add_u32_e32 v29, 33, v40
	v_add_u32_e32 v32, 34, v40
	v_fma_f32 v30, v50, v34, v30
	v_cvt_f32_i32_e32 v29, v29
	v_cvt_f32_i32_e32 v32, v32
	v_add_u32_e32 v34, 35, v40
	v_cvt_f32_i32_e32 v34, v34
	v_fma_f32 v24, v50, v27, v24
	v_add_u32_e32 v27, 48, v40
	v_fmac_f32_e32 v25, v50, v29
	v_fma_f32 v22, v50, v32, v22
	v_cvt_f32_i32_e32 v27, v27
	v_add_u32_e32 v29, 49, v40
	v_add_u32_e32 v32, 50, v40
	v_fmac_f32_e32 v23, v50, v34
	v_cvt_f32_i32_e32 v29, v29
	v_cvt_f32_i32_e32 v32, v32
	v_add_u32_e32 v34, 51, v40
	v_add_u32_e32 v28, 2, v40
	v_cvt_f32_i32_e32 v34, v34
	v_cvt_f32_i32_e32 v28, v28
	v_fma_f32 v20, v50, v27, v20
	v_mov_b32_e32 v27, 0xff7fffff
	v_cmp_gt_i32_e64 s[26:27], s33, v38
	v_cmp_gt_i32_e64 s[28:29], s33, v39
	v_fmac_f32_e32 v21, v50, v29
	v_fma_f32 v18, v50, v32, v18
	v_cndmask_b32_e64 v29, v27, v26, s[26:27]
	v_cndmask_b32_e64 v32, v27, v35, s[28:29]
	v_fmac_f32_e32 v19, v50, v34
	v_max3_f32 v29, v29, s46, v32
	v_or_b32_e32 v32, 2, v38
	v_or_b32_e32 v34, 3, v38
	v_fma_f32 v28, v50, v28, v36
	v_cmp_gt_i32_e64 s[30:31], s33, v32
	v_cmp_gt_i32_e64 s[34:35], s33, v34
	v_add_u32_e32 v36, 19, v40
	v_cndmask_b32_e64 v32, v27, v28, s[30:31]
	v_cndmask_b32_e64 v34, v27, v37, s[34:35]
	v_cvt_f32_i32_e32 v36, v36
	v_max3_f32 v29, v29, v32, v34
	v_or_b32_e32 v32, 16, v38
	v_or_b32_e32 v34, 17, v38
	v_cmp_gt_i32_e64 s[36:37], s33, v32
	v_cmp_gt_i32_e64 s[38:39], s33, v34
	v_cndmask_b32_e64 v32, v27, v41, s[36:37]
	v_cndmask_b32_e64 v34, v27, v33, s[38:39]
	v_max3_f32 v29, v29, v32, v34
	v_or_b32_e32 v32, 18, v38
	v_or_b32_e32 v34, 19, v38
	v_fmac_f32_e32 v31, v50, v36
	v_cmp_gt_i32_e64 s[20:21], s33, v32
	v_cmp_gt_i32_e64 s[22:23], s33, v34
	v_cndmask_b32_e64 v32, v27, v30, s[20:21]
	v_cndmask_b32_e64 v34, v27, v31, s[22:23]
	v_max3_f32 v29, v29, v32, v34
	v_or_b32_e32 v32, 32, v38
	v_or_b32_e32 v34, 33, v38
	v_cmp_gt_i32_e64 s[16:17], s33, v32
	v_cmp_gt_i32_e64 s[18:19], s33, v34
	v_cndmask_b32_e64 v32, v27, v24, s[16:17]
	v_cndmask_b32_e64 v34, v27, v25, s[18:19]
	v_max3_f32 v29, v29, v32, v34
	v_or_b32_e32 v32, 34, v38
	v_or_b32_e32 v34, 35, v38
	;; [unrolled: 7-line block ×4, first 2 shown]
	v_cmp_gt_i32_e32 vcc, s33, v32
	v_cmp_gt_i32_e64 s[2:3], s33, v34
	v_cndmask_b32_e32 v32, v27, v18, vcc
	v_cndmask_b32_e64 v27, v27, v19, s[2:3]
	v_max3_f32 v27, v29, v32, v27
	v_mbcnt_lo_u32_b32 v29, -1, 0
	v_mbcnt_hi_u32_b32 v29, -1, v29
	v_and_b32_e32 v32, 64, v29
	v_add_u32_e32 v32, 64, v32
	v_xor_b32_e32 v34, 32, v29
	v_cmp_lt_i32_e64 s[40:41], v34, v32
	v_cndmask_b32_e64 v34, v29, v34, s[40:41]
	v_lshlrev_b32_e32 v36, 2, v34
	ds_bpermute_b32 v34, v36, v27
	s_barrier
	s_waitcnt lgkmcnt(0)
	v_max_f32_e32 v34, v34, v34
	v_max_f32_e32 v27, v27, v34
	v_xor_b32_e32 v34, 16, v29
	v_cmp_lt_i32_e64 s[40:41], v34, v32
	v_cndmask_b32_e64 v29, v29, v34, s[40:41]
	v_lshlrev_b32_e32 v38, 2, v29
	ds_bpermute_b32 v29, v38, v27
	s_waitcnt lgkmcnt(0)
	v_max_f32_e32 v29, v29, v29
	v_max_f32_e32 v32, v27, v29
	v_sub_f32_e32 v26, v26, v32
	v_mul_f32_e32 v26, 0x3fb8aa3b, v26
	v_sub_f32_e32 v27, v35, v32
	v_exp_f32_e32 v26, v26
	v_mul_f32_e32 v27, 0x3fb8aa3b, v27
	v_sub_f32_e32 v28, v28, v32
	v_exp_f32_e32 v27, v27
	v_mul_f32_e32 v28, 0x3fb8aa3b, v28
	v_exp_f32_e32 v28, v28
	v_cndmask_b32_e64 v26, 0, v26, s[26:27]
	v_sub_f32_e32 v34, v37, v32
	v_add_f32_e32 v29, 0, v26
	v_cndmask_b32_e64 v27, 0, v27, s[28:29]
	v_mul_f32_e32 v34, 0x3fb8aa3b, v34
	v_exp_f32_e32 v35, v34
	v_add_f32_e32 v29, v29, v27
	v_cndmask_b32_e64 v34, 0, v28, s[30:31]
	v_add_f32_e32 v28, v29, v34
	v_sub_f32_e32 v29, v41, v32
	v_mul_f32_e32 v29, 0x3fb8aa3b, v29
	v_sub_f32_e32 v33, v33, v32
	v_exp_f32_e32 v29, v29
	v_mul_f32_e32 v33, 0x3fb8aa3b, v33
	v_sub_f32_e32 v30, v30, v32
	v_exp_f32_e32 v33, v33
	v_mul_f32_e32 v30, 0x3fb8aa3b, v30
	v_sub_f32_e32 v31, v31, v32
	v_exp_f32_e32 v30, v30
	v_mul_f32_e32 v31, 0x3fb8aa3b, v31
	v_sub_f32_e32 v24, v24, v32
	v_cndmask_b32_e64 v35, 0, v35, s[34:35]
	v_exp_f32_e32 v31, v31
	v_mul_f32_e32 v24, 0x3fb8aa3b, v24
	v_sub_f32_e32 v25, v25, v32
	v_add_f32_e32 v37, v28, v35
	v_cndmask_b32_e64 v28, 0, v29, s[36:37]
	v_exp_f32_e32 v24, v24
	v_mul_f32_e32 v25, 0x3fb8aa3b, v25
	v_sub_f32_e32 v22, v22, v32
	v_add_f32_e32 v37, v37, v28
	;; [unrolled: 5-line block ×7, first 2 shown]
	v_cndmask_b32_e64 v22, 0, v22, s[12:13]
	v_exp_f32_e32 v18, v18
	v_mul_f32_e32 v19, 0x3fb8aa3b, v19
	v_add_f32_e32 v33, v33, v22
	v_cndmask_b32_e64 v23, 0, v23, s[14:15]
	v_exp_f32_e32 v19, v19
	v_add_f32_e32 v33, v33, v23
	v_cndmask_b32_e64 v20, 0, v20, s[8:9]
	v_add_f32_e32 v33, v33, v20
	v_cndmask_b32_e64 v21, 0, v21, s[10:11]
	v_add_f32_e32 v33, v33, v21
	v_cndmask_b32_e32 v18, 0, v18, vcc
	v_add_f32_e32 v33, v33, v18
	v_cndmask_b32_e64 v19, 0, v19, s[2:3]
	v_add_f32_e32 v33, v33, v19
	ds_bpermute_b32 v36, v36, v33
	v_cmp_gt_u32_e32 vcc, 16, v44
	s_waitcnt lgkmcnt(0)
	v_add_f32_e32 v36, v33, v36
	ds_bpermute_b32 v37, v38, v36
	v_lshlrev_b32_e32 v33, 2, v48
	s_and_saveexec_b64 s[2:3], vcc
	s_cbranch_execz .LBB841_399
; %bb.398:
	s_waitcnt lgkmcnt(0)
	v_add_f32_e32 v36, v36, v37
	v_lshl_or_b32 v37, v49, 6, v33
	ds_write2st64_b32 v37, v32, v36 offset1:1
.LBB841_399:
	s_or_b64 exec, exec, s[2:3]
	s_waitcnt lgkmcnt(0)
	s_barrier
	ds_read2_b32 v[36:37], v33 offset1:16
	ds_read2_b32 v[38:39], v33 offset0:32 offset1:48
	ds_read2_b32 v[40:41], v33 offset0:64 offset1:80
	s_mul_i32 s12, s45, 12
	s_waitcnt lgkmcnt(2)
	v_max3_f32 v32, v36, s46, v37
	s_waitcnt lgkmcnt(1)
	v_max3_f32 v32, v32, v38, v39
	v_sub_f32_e32 v36, v36, v32
	v_mul_f32_e32 v36, 0x3fb8aa3b, v36
	v_exp_f32_e32 v42, v36
	v_sub_f32_e32 v36, v37, v32
	v_mul_f32_e32 v36, 0x3fb8aa3b, v36
	v_exp_f32_e32 v43, v36
	;; [unrolled: 3-line block ×3, first 2 shown]
	ds_read2_b32 v[36:37], v33 offset0:96 offset1:112
	v_sub_f32_e32 v33, v39, v32
	v_mul_f32_e32 v33, 0x3fb8aa3b, v33
	v_exp_f32_e32 v39, v33
	s_waitcnt lgkmcnt(1)
	v_fma_f32 v33, v42, v40, 0
	v_fmac_f32_e32 v33, v43, v41
	s_waitcnt lgkmcnt(0)
	v_fmac_f32_e32 v33, v38, v36
	v_fmac_f32_e32 v33, v39, v37
	v_add_f32_e32 v36, 0x358637bd, v33
	v_div_scale_f32 v37, s[2:3], v36, v36, 1.0
	v_rcp_f32_e32 v40, v37
	s_movk_i32 s2, 0x7fff
	s_mov_b32 s3, 0x7060302
	v_fma_f32 v41, -v37, v40, 1.0
	v_fmac_f32_e32 v40, v41, v40
	v_div_scale_f32 v41, vcc, 1.0, v36, 1.0
	v_mul_f32_e32 v44, v41, v40
	v_fma_f32 v45, -v37, v44, v41
	v_fmac_f32_e32 v44, v45, v40
	v_fma_f32 v37, -v37, v44, v41
	v_div_fmas_f32 v37, v37, v40, v44
	v_cmp_eq_u32_e32 vcc, 1, v49
	v_div_fixup_f32 v36, v37, v36, 1.0
	v_cndmask_b32_e32 v37, v42, v43, vcc
	v_cmp_eq_u32_e32 vcc, 2, v49
	v_cndmask_b32_e32 v37, v37, v38, vcc
	v_cmp_eq_u32_e32 vcc, 3, v49
	v_cndmask_b32_e32 v37, v37, v39, vcc
	v_mul_f32_e32 v36, v37, v36
	v_pk_mul_f32 v[26:27], v[36:37], v[26:27] op_sel_hi:[0,1]
	v_pk_mul_f32 v[34:35], v[36:37], v[34:35] op_sel_hi:[0,1]
	v_bfe_u32 v37, v27, 16, 1
	v_bfe_u32 v38, v26, 16, 1
	v_add3_u32 v26, v26, v38, s2
	v_add3_u32 v27, v27, v37, s2
	v_perm_b32 v38, v27, v26, s3
	v_bfe_u32 v26, v35, 16, 1
	v_bfe_u32 v27, v34, 16, 1
	v_add3_u32 v27, v34, v27, s2
	v_add3_u32 v26, v35, v26, s2
	v_perm_b32 v39, v26, v27, s3
	v_lshlrev_b32_e32 v26, 3, v1
	v_lshlrev_b32_e32 v27, 5, v48
	v_lshlrev_b32_e32 v34, 11, v49
	v_pk_mul_f32 v[28:29], v[36:37], v[28:29] op_sel_hi:[0,1]
	v_or3_b32 v26, v34, v27, v26
	v_bfe_u32 v34, v29, 16, 1
	v_bfe_u32 v35, v28, 16, 1
	v_pk_mul_f32 v[30:31], v[36:37], v[30:31] op_sel_hi:[0,1]
	v_add3_u32 v28, v28, v35, s2
	v_add3_u32 v29, v29, v34, s2
	v_perm_b32 v28, v29, v28, s3
	v_bfe_u32 v29, v31, 16, 1
	v_bfe_u32 v34, v30, 16, 1
	v_add3_u32 v30, v30, v34, s2
	v_add3_u32 v29, v31, v29, s2
	v_perm_b32 v29, v29, v30, s3
	v_pk_mul_f32 v[24:25], v[36:37], v[24:25] op_sel_hi:[0,1]
	s_barrier
	ds_write2st64_b64 v26, v[38:39], v[28:29] offset1:1
	v_bfe_u32 v28, v25, 16, 1
	v_bfe_u32 v29, v24, 16, 1
	v_pk_mul_f32 v[22:23], v[36:37], v[22:23] op_sel_hi:[0,1]
	v_add3_u32 v24, v24, v29, s2
	v_add3_u32 v25, v25, v28, s2
	v_perm_b32 v24, v25, v24, s3
	v_bfe_u32 v25, v23, 16, 1
	v_bfe_u32 v28, v22, 16, 1
	v_add3_u32 v22, v22, v28, s2
	v_add3_u32 v23, v23, v25, s2
	v_pk_mul_f32 v[20:21], v[36:37], v[20:21] op_sel_hi:[0,1]
	v_perm_b32 v25, v23, v22, s3
	v_bfe_u32 v22, v21, 16, 1
	v_bfe_u32 v23, v20, 16, 1
	v_pk_mul_f32 v[18:19], v[36:37], v[18:19] op_sel_hi:[0,1]
	v_add3_u32 v20, v20, v23, s2
	v_add3_u32 v21, v21, v22, s2
	v_perm_b32 v20, v21, v20, s3
	v_bfe_u32 v21, v19, 16, 1
	v_bfe_u32 v22, v18, 16, 1
	v_add3_u32 v18, v18, v22, s2
	v_add3_u32 v19, v19, v21, s2
	v_perm_b32 v21, v19, v18, s3
	v_cmp_gt_u32_e32 vcc, 12, v0
	ds_write2st64_b64 v26, v[24:25], v[20:21] offset0:2 offset1:3
	s_and_saveexec_b64 s[2:3], vcc
	s_cbranch_execz .LBB841_401
; %bb.400:
	v_add_co_u32_e32 v20, vcc, s25, v48
	v_addc_co_u32_e64 v21, s[14:15], 0, 0, vcc
	v_mov_b32_e32 v18, s12
	v_mov_b32_e32 v19, 0
	v_mad_u64_u32 v[20:21], s[14:15], s6, v18, v[20:21]
	v_mov_b32_e32 v18, s24
	s_load_dwordx4 s[8:11], s[4:5], 0x58
	s_mul_i32 s7, s7, s12
	v_mad_u64_u32 v[18:19], s[14:15], v20, s44, v[18:19]
	v_add_u32_e32 v21, s7, v21
	v_mov_b32_e32 v20, v19
	v_mad_u64_u32 v[20:21], s[14:15], v21, s44, v[20:21]
	v_mov_b32_e32 v19, v20
	v_lshlrev_b64 v[18:19], 2, v[18:19]
	s_waitcnt lgkmcnt(0)
	v_mov_b32_e32 v21, s11
	v_add_co_u32_e32 v20, vcc, s10, v18
	v_addc_co_u32_e32 v21, vcc, v21, v19, vcc
	global_store_dword v[20:21], v32, off
	v_mov_b32_e32 v20, s9
	v_add_co_u32_e32 v18, vcc, s8, v18
	v_addc_co_u32_e32 v19, vcc, v20, v19, vcc
	global_store_dword v[18:19], v33, off
.LBB841_401:
	s_or_b64 exec, exec, s[2:3]
	v_mov_b32_e32 v19, 0
	s_waitcnt vmcnt(3)
	v_cmp_ne_u16_sdwa s[8:9], v14, v19 src0_sel:BYTE_0 src1_sel:DWORD
	v_mov_b32_e32 v20, 0
	s_waitcnt lgkmcnt(0)
	s_barrier
	s_and_saveexec_b64 s[2:3], s[8:9]
	s_cbranch_execz .LBB841_407
; %bb.402:
	s_movk_i32 s7, 0x80
	v_cmp_ne_u16_sdwa s[10:11], v14, s7 src0_sel:BYTE_0 src1_sel:DWORD
	v_mov_b32_e32 v20, 0xffff8000
	s_and_saveexec_b64 s[8:9], s[10:11]
	s_cbranch_execz .LBB841_406
; %bb.403:
	s_movk_i32 s7, 0x7f
	v_and_b32_e32 v18, 0x7f, v14
	v_cmp_ne_u32_e32 vcc, s7, v18
	v_mov_b32_e32 v20, 0x7f80
	s_and_saveexec_b64 s[10:11], vcc
	s_cbranch_execz .LBB841_405
; %bb.404:
	v_and_b32_e32 v22, 7, v14
	v_ffbh_u32_e32 v20, v22
	v_min_u32_e32 v24, 32, v20
	v_subrev_u32_e32 v20, 28, v24
	v_lshlrev_b64 v[20:21], v20, v[14:15]
	v_lshrrev_b32_e32 v23, 3, v18
	v_sub_u32_e32 v21, 29, v24
	v_and_b32_e32 v20, 7, v20
	v_cmp_gt_u32_e32 vcc, 8, v18
	v_cndmask_b32_e32 v18, v23, v21, vcc
	v_cndmask_b32_e32 v20, v22, v20, vcc
	v_lshlrev_b32_e32 v21, 24, v14
	v_bfrev_b32_e32 v22, 60
	v_lshlrev_b32_e32 v20, 20, v20
	v_and_b32_e32 v21, 0x80000000, v21
	v_lshl_add_u32 v18, v18, 23, v22
	v_or3_b32 v18, v21, v18, v20
	v_lshrrev_b32_e32 v20, 16, v18
.LBB841_405:
	s_or_b64 exec, exec, s[10:11]
.LBB841_406:
	s_or_b64 exec, exec, s[8:9]
.LBB841_407:
	s_or_b64 exec, exec, s[2:3]
	v_lshrrev_b16_e32 v18, 8, v14
	v_cmp_ne_u16_e32 vcc, 0, v18
	s_and_saveexec_b64 s[2:3], vcc
	s_cbranch_execz .LBB841_413
; %bb.408:
	s_movk_i32 s7, 0x80
	v_cmp_ne_u16_e32 vcc, s7, v18
	v_mov_b32_e32 v19, 0xffff8000
	s_and_saveexec_b64 s[8:9], vcc
	s_cbranch_execz .LBB841_412
; %bb.409:
	s_movk_i32 s7, 0x7f
	v_and_b32_e32 v21, 0x7f, v18
	v_cmp_ne_u32_e32 vcc, s7, v21
	v_mov_b32_e32 v19, 0x7f80
	s_and_saveexec_b64 s[10:11], vcc
	s_cbranch_execz .LBB841_411
; %bb.410:
	v_and_b32_e32 v22, 7, v18
	v_ffbh_u32_e32 v19, v22
	v_min_u32_e32 v24, 32, v19
	v_subrev_u32_e32 v19, 28, v24
	v_lshlrev_b64 v[18:19], v19, v[18:19]
	v_lshrrev_b32_e32 v23, 3, v21
	v_sub_u32_e32 v19, 29, v24
	v_and_b32_e32 v18, 7, v18
	v_cmp_gt_u32_e32 vcc, 8, v21
	v_cndmask_b32_e32 v19, v23, v19, vcc
	v_cndmask_b32_e32 v18, v22, v18, vcc
	v_lshlrev_b32_e32 v21, 16, v14
	v_bfrev_b32_e32 v22, 60
	v_lshlrev_b32_e32 v18, 20, v18
	v_and_b32_e32 v21, 0x80000000, v21
	v_lshl_add_u32 v19, v19, 23, v22
	v_or3_b32 v18, v21, v19, v18
	v_lshrrev_b32_e32 v19, 16, v18
.LBB841_411:
	s_or_b64 exec, exec, s[10:11]
.LBB841_412:
	s_or_b64 exec, exec, s[8:9]
.LBB841_413:
	s_or_b64 exec, exec, s[2:3]
	s_movk_i32 s2, 0xff
	v_and_b32_sdwa v23, v14, s2 dst_sel:DWORD dst_unused:UNUSED_PAD src0_sel:WORD_1 src1_sel:DWORD
	v_lshrrev_b32_e32 v18, 16, v14
	v_cmp_ne_u16_e32 vcc, 0, v23
	v_mov_b32_e32 v21, 0
	v_mov_b32_e32 v22, 0
	s_and_saveexec_b64 s[2:3], vcc
	s_cbranch_execz .LBB841_419
; %bb.414:
	s_movk_i32 s7, 0x80
	v_cmp_ne_u16_e32 vcc, s7, v23
	v_mov_b32_e32 v22, 0xffff8000
	s_and_saveexec_b64 s[8:9], vcc
	s_cbranch_execz .LBB841_418
; %bb.415:
	v_bfe_u32 v23, v14, 16, 7
	s_movk_i32 s7, 0x7f
	v_cmp_ne_u32_e32 vcc, s7, v23
	v_mov_b32_e32 v22, 0x7f80
	s_and_saveexec_b64 s[10:11], vcc
	s_cbranch_execz .LBB841_417
; %bb.416:
	v_and_b32_e32 v22, 7, v18
	v_ffbh_u32_e32 v24, v22
	v_min_u32_e32 v29, 32, v24
	v_subrev_u32_e32 v24, 28, v29
	v_lshlrev_b64 v[24:25], v24, v[18:19]
	v_lshrrev_b32_e32 v28, 3, v23
	v_sub_u32_e32 v18, 29, v29
	v_and_b32_e32 v24, 7, v24
	v_cmp_gt_u32_e32 vcc, 8, v23
	v_mov_b32_e32 v23, 24
	v_cndmask_b32_e32 v18, v28, v18, vcc
	v_cndmask_b32_e32 v22, v22, v24, vcc
	v_lshlrev_b32_sdwa v23, v23, v14 dst_sel:DWORD dst_unused:UNUSED_PAD src0_sel:DWORD src1_sel:WORD_1
	v_bfrev_b32_e32 v24, 60
	v_lshlrev_b32_e32 v22, 20, v22
	v_and_b32_e32 v23, 0x80000000, v23
	v_lshl_add_u32 v18, v18, 23, v24
	v_or3_b32 v18, v23, v18, v22
	v_lshrrev_b32_e32 v22, 16, v18
.LBB841_417:
	s_or_b64 exec, exec, s[10:11]
.LBB841_418:
	s_or_b64 exec, exec, s[8:9]
.LBB841_419:
	s_or_b64 exec, exec, s[2:3]
	s_mov_b32 s2, 0xffffff
	v_cmp_lt_u32_e32 vcc, s2, v14
	s_and_saveexec_b64 s[2:3], vcc
	s_cbranch_execz .LBB841_425
; %bb.420:
	v_lshrrev_b32_e32 v18, 24, v14
	s_movk_i32 s7, 0x80
	v_cmp_ne_u32_e32 vcc, s7, v18
	v_mov_b32_e32 v21, 0xffff8000
	s_and_saveexec_b64 s[8:9], vcc
	s_cbranch_execz .LBB841_424
; %bb.421:
	v_bfe_u32 v14, v14, 24, 7
	s_movk_i32 s7, 0x7f
	v_cmp_ne_u32_e32 vcc, s7, v14
	v_mov_b32_e32 v21, 0x7f80
	s_and_saveexec_b64 s[10:11], vcc
	s_cbranch_execz .LBB841_423
; %bb.422:
	v_and_b32_e32 v21, 7, v18
	v_ffbh_u32_e32 v24, v21
	v_min_u32_e32 v28, 32, v24
	v_subrev_u32_e32 v24, 28, v28
	v_lshlrev_b64 v[24:25], v24, v[18:19]
	v_lshrrev_b32_e32 v23, 3, v14
	v_sub_u32_e32 v25, 29, v28
	v_and_b32_e32 v24, 7, v24
	v_cmp_gt_u32_e32 vcc, 8, v14
	v_cndmask_b32_e32 v14, v23, v25, vcc
	v_cndmask_b32_e32 v21, v21, v24, vcc
	v_lshlrev_b32_e32 v18, 24, v18
	v_bfrev_b32_e32 v23, 60
	v_lshlrev_b32_e32 v21, 20, v21
	v_and_b32_e32 v18, 0x80000000, v18
	v_lshl_add_u32 v14, v14, 23, v23
	v_or3_b32 v14, v18, v14, v21
	v_lshrrev_b32_e32 v21, 16, v14
.LBB841_423:
	s_or_b64 exec, exec, s[10:11]
.LBB841_424:
	s_or_b64 exec, exec, s[8:9]
.LBB841_425:
	s_or_b64 exec, exec, s[2:3]
	v_mov_b32_e32 v18, 0
	v_cmp_ne_u16_sdwa s[8:9], v15, v18 src0_sel:BYTE_0 src1_sel:DWORD
	v_mov_b32_e32 v23, 0
	s_and_saveexec_b64 s[2:3], s[8:9]
	s_cbranch_execz .LBB841_431
; %bb.426:
	s_movk_i32 s7, 0x80
	v_cmp_ne_u16_sdwa s[10:11], v15, s7 src0_sel:BYTE_0 src1_sel:DWORD
	v_mov_b32_e32 v23, 0xffff8000
	s_and_saveexec_b64 s[8:9], s[10:11]
	s_cbranch_execz .LBB841_430
; %bb.427:
	s_movk_i32 s7, 0x7f
	v_and_b32_e32 v14, 0x7f, v15
	v_cmp_ne_u32_e32 vcc, s7, v14
	v_mov_b32_e32 v23, 0x7f80
	s_and_saveexec_b64 s[10:11], vcc
	s_cbranch_execz .LBB841_429
; %bb.428:
	v_and_b32_e32 v23, 7, v15
	v_ffbh_u32_e32 v25, v23
	v_min_u32_e32 v29, 32, v25
	v_mov_b32_e32 v24, v15
	v_subrev_u32_e32 v25, 28, v29
	v_lshlrev_b64 v[24:25], v25, v[24:25]
	v_lshrrev_b32_e32 v28, 3, v14
	v_sub_u32_e32 v25, 29, v29
	v_and_b32_e32 v24, 7, v24
	v_cmp_gt_u32_e32 vcc, 8, v14
	v_cndmask_b32_e32 v14, v28, v25, vcc
	v_cndmask_b32_e32 v23, v23, v24, vcc
	v_lshlrev_b32_e32 v24, 24, v15
	v_bfrev_b32_e32 v25, 60
	v_lshlrev_b32_e32 v23, 20, v23
	v_and_b32_e32 v24, 0x80000000, v24
	v_lshl_add_u32 v14, v14, 23, v25
	v_or3_b32 v14, v24, v14, v23
	v_lshrrev_b32_e32 v23, 16, v14
.LBB841_429:
	s_or_b64 exec, exec, s[10:11]
.LBB841_430:
	s_or_b64 exec, exec, s[8:9]
.LBB841_431:
	s_or_b64 exec, exec, s[2:3]
	v_lshrrev_b16_e32 v14, 8, v15
	v_cmp_ne_u16_e32 vcc, 0, v14
	s_and_saveexec_b64 s[2:3], vcc
	s_cbranch_execz .LBB841_437
; %bb.432:
	s_movk_i32 s7, 0x80
	v_cmp_ne_u16_e32 vcc, s7, v14
	v_mov_b32_e32 v18, 0xffff8000
	s_and_saveexec_b64 s[8:9], vcc
	s_cbranch_execz .LBB841_436
; %bb.433:
	s_movk_i32 s7, 0x7f
	v_and_b32_e32 v24, 0x7f, v14
	v_cmp_ne_u32_e32 vcc, s7, v24
	v_mov_b32_e32 v18, 0x7f80
	s_and_saveexec_b64 s[10:11], vcc
	s_cbranch_execz .LBB841_435
; %bb.434:
	v_and_b32_e32 v18, 7, v14
	v_ffbh_u32_e32 v28, v18
	v_min_u32_e32 v30, 32, v28
	v_subrev_u32_e32 v28, 28, v30
	v_lshlrev_b64 v[28:29], v28, v[14:15]
	v_lshrrev_b32_e32 v25, 3, v24
	v_sub_u32_e32 v14, 29, v30
	v_and_b32_e32 v28, 7, v28
	v_cmp_gt_u32_e32 vcc, 8, v24
	v_cndmask_b32_e32 v14, v25, v14, vcc
	v_cndmask_b32_e32 v18, v18, v28, vcc
	v_lshlrev_b32_e32 v24, 16, v15
	v_bfrev_b32_e32 v25, 60
	v_lshlrev_b32_e32 v18, 20, v18
	v_and_b32_e32 v24, 0x80000000, v24
	v_lshl_add_u32 v14, v14, 23, v25
	v_or3_b32 v14, v24, v14, v18
	v_lshrrev_b32_e32 v18, 16, v14
.LBB841_435:
	s_or_b64 exec, exec, s[10:11]
.LBB841_436:
	s_or_b64 exec, exec, s[8:9]
.LBB841_437:
	s_or_b64 exec, exec, s[2:3]
	s_movk_i32 s2, 0xff
	v_and_b32_sdwa v28, v15, s2 dst_sel:DWORD dst_unused:UNUSED_PAD src0_sel:WORD_1 src1_sel:DWORD
	v_lshrrev_b32_e32 v14, 16, v15
	v_cmp_ne_u16_e32 vcc, 0, v28
	v_mov_b32_e32 v24, 0
	v_mov_b32_e32 v25, 0
	s_and_saveexec_b64 s[2:3], vcc
	s_cbranch_execz .LBB841_443
; %bb.438:
	s_movk_i32 s7, 0x80
	v_cmp_ne_u16_e32 vcc, s7, v28
	v_mov_b32_e32 v25, 0xffff8000
	s_and_saveexec_b64 s[8:9], vcc
	s_cbranch_execz .LBB841_442
; %bb.439:
	v_bfe_u32 v28, v15, 16, 7
	s_movk_i32 s7, 0x7f
	v_cmp_ne_u32_e32 vcc, s7, v28
	v_mov_b32_e32 v25, 0x7f80
	s_and_saveexec_b64 s[10:11], vcc
	s_cbranch_execz .LBB841_441
; %bb.440:
	v_and_b32_e32 v25, 7, v14
	v_ffbh_u32_e32 v30, v25
	v_min_u32_e32 v32, 32, v30
	v_subrev_u32_e32 v30, 28, v32
	v_lshlrev_b64 v[30:31], v30, v[14:15]
	v_lshrrev_b32_e32 v29, 3, v28
	v_sub_u32_e32 v14, 29, v32
	v_and_b32_e32 v30, 7, v30
	v_cmp_gt_u32_e32 vcc, 8, v28
	v_mov_b32_e32 v28, 24
	v_cndmask_b32_e32 v14, v29, v14, vcc
	v_cndmask_b32_e32 v25, v25, v30, vcc
	v_lshlrev_b32_sdwa v28, v28, v15 dst_sel:DWORD dst_unused:UNUSED_PAD src0_sel:DWORD src1_sel:WORD_1
	v_bfrev_b32_e32 v29, 60
	v_lshlrev_b32_e32 v25, 20, v25
	v_and_b32_e32 v28, 0x80000000, v28
	v_lshl_add_u32 v14, v14, 23, v29
	v_or3_b32 v14, v28, v14, v25
	v_lshrrev_b32_e32 v25, 16, v14
.LBB841_441:
	s_or_b64 exec, exec, s[10:11]
.LBB841_442:
	s_or_b64 exec, exec, s[8:9]
.LBB841_443:
	s_or_b64 exec, exec, s[2:3]
	s_mov_b32 s2, 0xffffff
	v_cmp_lt_u32_e32 vcc, s2, v15
	s_and_saveexec_b64 s[2:3], vcc
	s_cbranch_execz .LBB841_449
; %bb.444:
	v_lshrrev_b32_e32 v14, 24, v15
	s_movk_i32 s7, 0x80
	v_cmp_ne_u32_e32 vcc, s7, v14
	v_mov_b32_e32 v24, 0xffff8000
	s_and_saveexec_b64 s[8:9], vcc
	s_cbranch_execz .LBB841_448
; %bb.445:
	v_bfe_u32 v15, v15, 24, 7
	s_movk_i32 s7, 0x7f
	v_cmp_ne_u32_e32 vcc, s7, v15
	v_mov_b32_e32 v24, 0x7f80
	s_and_saveexec_b64 s[10:11], vcc
	s_cbranch_execz .LBB841_447
; %bb.446:
	v_and_b32_e32 v24, 7, v14
	v_ffbh_u32_e32 v28, v24
	v_min_u32_e32 v31, 32, v28
	v_subrev_u32_e32 v28, 28, v31
	v_lshlrev_b64 v[28:29], v28, v[14:15]
	v_lshrrev_b32_e32 v30, 3, v15
	v_sub_u32_e32 v29, 29, v31
	v_and_b32_e32 v28, 7, v28
	v_cmp_gt_u32_e32 vcc, 8, v15
	v_cndmask_b32_e32 v15, v30, v29, vcc
	v_cndmask_b32_e32 v24, v24, v28, vcc
	v_lshlrev_b32_e32 v14, 24, v14
	v_bfrev_b32_e32 v28, 60
	v_lshlrev_b32_e32 v24, 20, v24
	v_and_b32_e32 v14, 0x80000000, v14
	v_lshl_add_u32 v15, v15, 23, v28
	v_or3_b32 v14, v14, v15, v24
	v_lshrrev_b32_e32 v24, 16, v14
.LBB841_447:
	s_or_b64 exec, exec, s[10:11]
.LBB841_448:
	s_or_b64 exec, exec, s[8:9]
.LBB841_449:
	s_or_b64 exec, exec, s[2:3]
	s_mov_b32 s2, 0x5040100
	v_perm_b32 v15, v21, v22, s2
	v_lshl_or_b32 v22, v1, 9, v27
	v_perm_b32 v14, v19, v20, s2
	ds_read_b128 v[28:31], v22
	v_perm_b32 v19, v24, v25, s2
	v_perm_b32 v18, v18, v23, s2
	s_waitcnt lgkmcnt(0)
	v_mfma_f32_16x16x16bf16_1k v[32:35], v[14:15], v[28:29], 0
	v_mov_b32_e32 v15, 0
	v_cmp_ne_u16_sdwa s[8:9], v16, v15 src0_sel:BYTE_0 src1_sel:DWORD
	v_mov_b32_e32 v23, 0
	v_mfma_f32_16x16x16bf16_1k v[18:21], v[18:19], v[30:31], v[32:35]
	s_and_saveexec_b64 s[2:3], s[8:9]
	s_cbranch_execz .LBB841_455
; %bb.450:
	s_movk_i32 s7, 0x80
	v_cmp_ne_u16_sdwa s[10:11], v16, s7 src0_sel:BYTE_0 src1_sel:DWORD
	v_mov_b32_e32 v23, 0xffff8000
	s_and_saveexec_b64 s[8:9], s[10:11]
	s_cbranch_execz .LBB841_454
; %bb.451:
	s_movk_i32 s7, 0x7f
	v_and_b32_e32 v14, 0x7f, v16
	v_cmp_ne_u32_e32 vcc, s7, v14
	v_mov_b32_e32 v23, 0x7f80
	s_and_saveexec_b64 s[10:11], vcc
	s_cbranch_execz .LBB841_453
; %bb.452:
	v_and_b32_e32 v23, 7, v16
	v_ffbh_u32_e32 v24, v23
	v_min_u32_e32 v28, 32, v24
	v_subrev_u32_e32 v24, 28, v28
	v_lshlrev_b64 v[24:25], v24, v[16:17]
	v_lshrrev_b32_e32 v27, 3, v14
	v_sub_u32_e32 v25, 29, v28
	v_and_b32_e32 v24, 7, v24
	v_cmp_gt_u32_e32 vcc, 8, v14
	v_cndmask_b32_e32 v14, v27, v25, vcc
	v_cndmask_b32_e32 v23, v23, v24, vcc
	v_lshlrev_b32_e32 v24, 24, v16
	v_bfrev_b32_e32 v25, 60
	v_lshlrev_b32_e32 v23, 20, v23
	v_and_b32_e32 v24, 0x80000000, v24
	v_lshl_add_u32 v14, v14, 23, v25
	v_or3_b32 v14, v24, v14, v23
	v_lshrrev_b32_e32 v23, 16, v14
.LBB841_453:
	s_or_b64 exec, exec, s[10:11]
.LBB841_454:
	s_or_b64 exec, exec, s[8:9]
.LBB841_455:
	s_or_b64 exec, exec, s[2:3]
	v_lshrrev_b16_e32 v14, 8, v16
	v_cmp_ne_u16_e32 vcc, 0, v14
	s_and_saveexec_b64 s[2:3], vcc
	s_cbranch_execz .LBB841_461
; %bb.456:
	s_movk_i32 s7, 0x80
	v_cmp_ne_u16_e32 vcc, s7, v14
	v_mov_b32_e32 v15, 0xffff8000
	s_and_saveexec_b64 s[8:9], vcc
	s_cbranch_execz .LBB841_460
; %bb.457:
	s_movk_i32 s7, 0x7f
	v_and_b32_e32 v24, 0x7f, v14
	v_cmp_ne_u32_e32 vcc, s7, v24
	v_mov_b32_e32 v15, 0x7f80
	s_and_saveexec_b64 s[10:11], vcc
	s_cbranch_execz .LBB841_459
; %bb.458:
	v_and_b32_e32 v25, 7, v14
	v_ffbh_u32_e32 v15, v25
	v_min_u32_e32 v28, 32, v15
	v_subrev_u32_e32 v15, 28, v28
	v_lshlrev_b64 v[14:15], v15, v[14:15]
	v_lshrrev_b32_e32 v27, 3, v24
	v_sub_u32_e32 v15, 29, v28
	v_and_b32_e32 v14, 7, v14
	v_cmp_gt_u32_e32 vcc, 8, v24
	v_cndmask_b32_e32 v15, v27, v15, vcc
	v_cndmask_b32_e32 v14, v25, v14, vcc
	v_lshlrev_b32_e32 v24, 16, v16
	v_bfrev_b32_e32 v25, 60
	v_lshlrev_b32_e32 v14, 20, v14
	v_and_b32_e32 v24, 0x80000000, v24
	v_lshl_add_u32 v15, v15, 23, v25
	v_or3_b32 v14, v24, v15, v14
	v_lshrrev_b32_e32 v15, 16, v14
.LBB841_459:
	s_or_b64 exec, exec, s[10:11]
.LBB841_460:
	s_or_b64 exec, exec, s[8:9]
.LBB841_461:
	s_or_b64 exec, exec, s[2:3]
	s_movk_i32 s2, 0xff
	v_and_b32_sdwa v27, v16, s2 dst_sel:DWORD dst_unused:UNUSED_PAD src0_sel:WORD_1 src1_sel:DWORD
	v_lshrrev_b32_e32 v14, 16, v16
	v_cmp_ne_u16_e32 vcc, 0, v27
	v_mov_b32_e32 v24, 0
	v_mov_b32_e32 v25, 0
	s_and_saveexec_b64 s[2:3], vcc
	s_cbranch_execz .LBB841_467
; %bb.462:
	s_movk_i32 s7, 0x80
	v_cmp_ne_u16_e32 vcc, s7, v27
	v_mov_b32_e32 v25, 0xffff8000
	s_and_saveexec_b64 s[8:9], vcc
	s_cbranch_execz .LBB841_466
; %bb.463:
	v_bfe_u32 v27, v16, 16, 7
	s_movk_i32 s7, 0x7f
	v_cmp_ne_u32_e32 vcc, s7, v27
	v_mov_b32_e32 v25, 0x7f80
	s_and_saveexec_b64 s[10:11], vcc
	s_cbranch_execz .LBB841_465
; %bb.464:
	v_and_b32_e32 v25, 7, v14
	v_ffbh_u32_e32 v28, v25
	v_min_u32_e32 v31, 32, v28
	v_subrev_u32_e32 v28, 28, v31
	v_lshlrev_b64 v[28:29], v28, v[14:15]
	v_lshrrev_b32_e32 v30, 3, v27
	v_sub_u32_e32 v14, 29, v31
	v_and_b32_e32 v28, 7, v28
	v_cmp_gt_u32_e32 vcc, 8, v27
	v_mov_b32_e32 v27, 24
	v_cndmask_b32_e32 v14, v30, v14, vcc
	v_cndmask_b32_e32 v25, v25, v28, vcc
	v_lshlrev_b32_sdwa v27, v27, v16 dst_sel:DWORD dst_unused:UNUSED_PAD src0_sel:DWORD src1_sel:WORD_1
	v_bfrev_b32_e32 v28, 60
	v_lshlrev_b32_e32 v25, 20, v25
	v_and_b32_e32 v27, 0x80000000, v27
	v_lshl_add_u32 v14, v14, 23, v28
	v_or3_b32 v14, v27, v14, v25
	v_lshrrev_b32_e32 v25, 16, v14
.LBB841_465:
	s_or_b64 exec, exec, s[10:11]
.LBB841_466:
	s_or_b64 exec, exec, s[8:9]
.LBB841_467:
	s_or_b64 exec, exec, s[2:3]
	s_mov_b32 s2, 0xffffff
	v_cmp_lt_u32_e32 vcc, s2, v16
	s_and_saveexec_b64 s[2:3], vcc
	s_cbranch_execz .LBB841_473
; %bb.468:
	v_lshrrev_b32_e32 v14, 24, v16
	s_movk_i32 s7, 0x80
	v_cmp_ne_u32_e32 vcc, s7, v14
	v_mov_b32_e32 v24, 0xffff8000
	s_and_saveexec_b64 s[8:9], vcc
	s_cbranch_execz .LBB841_472
; %bb.469:
	v_bfe_u32 v16, v16, 24, 7
	s_movk_i32 s7, 0x7f
	v_cmp_ne_u32_e32 vcc, s7, v16
	v_mov_b32_e32 v24, 0x7f80
	s_and_saveexec_b64 s[10:11], vcc
	s_cbranch_execz .LBB841_471
; %bb.470:
	v_and_b32_e32 v24, 7, v14
	v_ffbh_u32_e32 v28, v24
	v_min_u32_e32 v30, 32, v28
	v_subrev_u32_e32 v28, 28, v30
	v_lshlrev_b64 v[28:29], v28, v[14:15]
	v_lshrrev_b32_e32 v27, 3, v16
	v_sub_u32_e32 v29, 29, v30
	v_and_b32_e32 v28, 7, v28
	v_cmp_gt_u32_e32 vcc, 8, v16
	v_cndmask_b32_e32 v16, v27, v29, vcc
	v_cndmask_b32_e32 v24, v24, v28, vcc
	v_lshlrev_b32_e32 v14, 24, v14
	v_bfrev_b32_e32 v27, 60
	v_lshlrev_b32_e32 v24, 20, v24
	v_and_b32_e32 v14, 0x80000000, v14
	v_lshl_add_u32 v16, v16, 23, v27
	v_or3_b32 v14, v14, v16, v24
	v_lshrrev_b32_e32 v24, 16, v14
.LBB841_471:
	s_or_b64 exec, exec, s[10:11]
.LBB841_472:
	s_or_b64 exec, exec, s[8:9]
.LBB841_473:
	s_or_b64 exec, exec, s[2:3]
	v_mov_b32_e32 v16, 0
	v_cmp_ne_u16_sdwa s[8:9], v17, v16 src0_sel:BYTE_0 src1_sel:DWORD
	v_mov_b32_e32 v27, 0
	s_and_saveexec_b64 s[2:3], s[8:9]
	s_cbranch_execz .LBB841_479
; %bb.474:
	s_movk_i32 s7, 0x80
	v_cmp_ne_u16_sdwa s[10:11], v17, s7 src0_sel:BYTE_0 src1_sel:DWORD
	v_mov_b32_e32 v27, 0xffff8000
	s_and_saveexec_b64 s[8:9], s[10:11]
	s_cbranch_execz .LBB841_478
; %bb.475:
	s_movk_i32 s7, 0x7f
	v_and_b32_e32 v14, 0x7f, v17
	v_cmp_ne_u32_e32 vcc, s7, v14
	v_mov_b32_e32 v27, 0x7f80
	s_and_saveexec_b64 s[10:11], vcc
	s_cbranch_execz .LBB841_477
; %bb.476:
	v_and_b32_e32 v27, 7, v17
	v_ffbh_u32_e32 v29, v27
	v_min_u32_e32 v31, 32, v29
	v_mov_b32_e32 v28, v17
	v_subrev_u32_e32 v29, 28, v31
	v_lshlrev_b64 v[28:29], v29, v[28:29]
	v_lshrrev_b32_e32 v30, 3, v14
	v_sub_u32_e32 v29, 29, v31
	v_and_b32_e32 v28, 7, v28
	v_cmp_gt_u32_e32 vcc, 8, v14
	v_cndmask_b32_e32 v14, v30, v29, vcc
	v_cndmask_b32_e32 v27, v27, v28, vcc
	v_lshlrev_b32_e32 v28, 24, v17
	v_bfrev_b32_e32 v29, 60
	v_lshlrev_b32_e32 v27, 20, v27
	v_and_b32_e32 v28, 0x80000000, v28
	v_lshl_add_u32 v14, v14, 23, v29
	v_or3_b32 v14, v28, v14, v27
	v_lshrrev_b32_e32 v27, 16, v14
.LBB841_477:
	s_or_b64 exec, exec, s[10:11]
.LBB841_478:
	s_or_b64 exec, exec, s[8:9]
.LBB841_479:
	s_or_b64 exec, exec, s[2:3]
	v_lshrrev_b16_e32 v14, 8, v17
	v_cmp_ne_u16_e32 vcc, 0, v14
	s_and_saveexec_b64 s[2:3], vcc
	s_cbranch_execz .LBB841_485
; %bb.480:
	s_movk_i32 s7, 0x80
	v_cmp_ne_u16_e32 vcc, s7, v14
	v_mov_b32_e32 v16, 0xffff8000
	s_and_saveexec_b64 s[8:9], vcc
	s_cbranch_execz .LBB841_484
; %bb.481:
	s_movk_i32 s7, 0x7f
	v_and_b32_e32 v28, 0x7f, v14
	v_cmp_ne_u32_e32 vcc, s7, v28
	v_mov_b32_e32 v16, 0x7f80
	s_and_saveexec_b64 s[10:11], vcc
	s_cbranch_execz .LBB841_483
; %bb.482:
	v_and_b32_e32 v16, 7, v14
	v_ffbh_u32_e32 v30, v16
	v_min_u32_e32 v32, 32, v30
	v_subrev_u32_e32 v30, 28, v32
	v_lshlrev_b64 v[30:31], v30, v[14:15]
	v_lshrrev_b32_e32 v29, 3, v28
	v_sub_u32_e32 v14, 29, v32
	v_and_b32_e32 v30, 7, v30
	v_cmp_gt_u32_e32 vcc, 8, v28
	v_cndmask_b32_e32 v14, v29, v14, vcc
	v_cndmask_b32_e32 v16, v16, v30, vcc
	v_lshlrev_b32_e32 v28, 16, v17
	v_bfrev_b32_e32 v29, 60
	v_lshlrev_b32_e32 v16, 20, v16
	v_and_b32_e32 v28, 0x80000000, v28
	v_lshl_add_u32 v14, v14, 23, v29
	v_or3_b32 v14, v28, v14, v16
	v_lshrrev_b32_e32 v16, 16, v14
.LBB841_483:
	s_or_b64 exec, exec, s[10:11]
.LBB841_484:
	s_or_b64 exec, exec, s[8:9]
.LBB841_485:
	s_or_b64 exec, exec, s[2:3]
	s_movk_i32 s2, 0xff
	v_and_b32_sdwa v30, v17, s2 dst_sel:DWORD dst_unused:UNUSED_PAD src0_sel:WORD_1 src1_sel:DWORD
	v_lshrrev_b32_e32 v14, 16, v17
	v_cmp_ne_u16_e32 vcc, 0, v30
	v_mov_b32_e32 v28, 0
	v_mov_b32_e32 v29, 0
	s_and_saveexec_b64 s[2:3], vcc
	s_cbranch_execz .LBB841_491
; %bb.486:
	s_movk_i32 s7, 0x80
	v_cmp_ne_u16_e32 vcc, s7, v30
	v_mov_b32_e32 v29, 0xffff8000
	s_and_saveexec_b64 s[8:9], vcc
	s_cbranch_execz .LBB841_490
; %bb.487:
	v_bfe_u32 v30, v17, 16, 7
	s_movk_i32 s7, 0x7f
	v_cmp_ne_u32_e32 vcc, s7, v30
	v_mov_b32_e32 v29, 0x7f80
	s_and_saveexec_b64 s[10:11], vcc
	s_cbranch_execz .LBB841_489
; %bb.488:
	v_and_b32_e32 v29, 7, v14
	v_ffbh_u32_e32 v32, v29
	v_min_u32_e32 v34, 32, v32
	v_subrev_u32_e32 v32, 28, v34
	v_lshlrev_b64 v[32:33], v32, v[14:15]
	v_lshrrev_b32_e32 v31, 3, v30
	v_sub_u32_e32 v14, 29, v34
	v_and_b32_e32 v32, 7, v32
	v_cmp_gt_u32_e32 vcc, 8, v30
	v_mov_b32_e32 v30, 24
	v_cndmask_b32_e32 v14, v31, v14, vcc
	v_cndmask_b32_e32 v29, v29, v32, vcc
	v_lshlrev_b32_sdwa v30, v30, v17 dst_sel:DWORD dst_unused:UNUSED_PAD src0_sel:DWORD src1_sel:WORD_1
	v_bfrev_b32_e32 v31, 60
	v_lshlrev_b32_e32 v29, 20, v29
	v_and_b32_e32 v30, 0x80000000, v30
	v_lshl_add_u32 v14, v14, 23, v31
	v_or3_b32 v14, v30, v14, v29
	v_lshrrev_b32_e32 v29, 16, v14
.LBB841_489:
	s_or_b64 exec, exec, s[10:11]
.LBB841_490:
	s_or_b64 exec, exec, s[8:9]
.LBB841_491:
	s_or_b64 exec, exec, s[2:3]
	s_mov_b32 s2, 0xffffff
	v_cmp_lt_u32_e32 vcc, s2, v17
	s_and_saveexec_b64 s[2:3], vcc
	s_cbranch_execz .LBB841_497
; %bb.492:
	v_lshrrev_b32_e32 v14, 24, v17
	s_movk_i32 s7, 0x80
	v_cmp_ne_u32_e32 vcc, s7, v14
	v_mov_b32_e32 v28, 0xffff8000
	s_and_saveexec_b64 s[8:9], vcc
	s_cbranch_execz .LBB841_496
; %bb.493:
	v_bfe_u32 v17, v17, 24, 7
	s_movk_i32 s7, 0x7f
	v_cmp_ne_u32_e32 vcc, s7, v17
	v_mov_b32_e32 v28, 0x7f80
	s_and_saveexec_b64 s[10:11], vcc
	s_cbranch_execz .LBB841_495
; %bb.494:
	v_and_b32_e32 v28, 7, v14
	v_ffbh_u32_e32 v30, v28
	v_min_u32_e32 v33, 32, v30
	v_subrev_u32_e32 v30, 28, v33
	v_lshlrev_b64 v[30:31], v30, v[14:15]
	v_lshrrev_b32_e32 v32, 3, v17
	v_sub_u32_e32 v31, 29, v33
	v_and_b32_e32 v30, 7, v30
	v_cmp_gt_u32_e32 vcc, 8, v17
	v_cndmask_b32_e32 v17, v32, v31, vcc
	v_cndmask_b32_e32 v28, v28, v30, vcc
	v_lshlrev_b32_e32 v14, 24, v14
	v_bfrev_b32_e32 v30, 60
	v_lshlrev_b32_e32 v28, 20, v28
	v_and_b32_e32 v14, 0x80000000, v14
	v_lshl_add_u32 v17, v17, 23, v30
	v_or3_b32 v14, v14, v17, v28
	v_lshrrev_b32_e32 v28, 16, v14
.LBB841_495:
	s_or_b64 exec, exec, s[10:11]
.LBB841_496:
	s_or_b64 exec, exec, s[8:9]
.LBB841_497:
	s_or_b64 exec, exec, s[2:3]
	s_mov_b32 s2, 0x5040100
	v_perm_b32 v25, v24, v25, s2
	v_perm_b32 v24, v15, v23, s2
	ds_read_b128 v[30:33], v22 offset:16
	v_perm_b32 v15, v28, v29, s2
	v_perm_b32 v14, v16, v27, s2
	s_waitcnt lgkmcnt(0)
	v_mfma_f32_16x16x16bf16_1k v[34:37], v[24:25], v[30:31], v[18:21]
	s_nop 6
	v_mov_b32_e32 v19, 0
	s_waitcnt vmcnt(2)
	v_cmp_ne_u16_sdwa s[8:9], v10, v19 src0_sel:BYTE_0 src1_sel:DWORD
	v_mfma_f32_16x16x16bf16_1k v[14:17], v[14:15], v[32:33], v[34:37]
	v_mov_b32_e32 v20, 0
	s_and_saveexec_b64 s[2:3], s[8:9]
	s_cbranch_execz .LBB841_503
; %bb.498:
	s_movk_i32 s7, 0x80
	v_cmp_ne_u16_sdwa s[10:11], v10, s7 src0_sel:BYTE_0 src1_sel:DWORD
	v_mov_b32_e32 v20, 0xffff8000
	s_and_saveexec_b64 s[8:9], s[10:11]
	s_cbranch_execz .LBB841_502
; %bb.499:
	s_movk_i32 s7, 0x7f
	v_and_b32_e32 v18, 0x7f, v10
	v_cmp_ne_u32_e32 vcc, s7, v18
	v_mov_b32_e32 v20, 0x7f80
	s_and_saveexec_b64 s[10:11], vcc
	s_cbranch_execz .LBB841_501
; %bb.500:
	v_and_b32_e32 v23, 7, v10
	v_ffbh_u32_e32 v20, v23
	v_min_u32_e32 v25, 32, v20
	v_subrev_u32_e32 v20, 28, v25
	v_lshlrev_b64 v[20:21], v20, v[10:11]
	v_lshrrev_b32_e32 v24, 3, v18
	v_sub_u32_e32 v21, 29, v25
	v_and_b32_e32 v20, 7, v20
	v_cmp_gt_u32_e32 vcc, 8, v18
	v_cndmask_b32_e32 v18, v24, v21, vcc
	v_cndmask_b32_e32 v20, v23, v20, vcc
	v_lshlrev_b32_e32 v21, 24, v10
	v_bfrev_b32_e32 v23, 60
	v_lshlrev_b32_e32 v20, 20, v20
	v_and_b32_e32 v21, 0x80000000, v21
	v_lshl_add_u32 v18, v18, 23, v23
	v_or3_b32 v18, v21, v18, v20
	v_lshrrev_b32_e32 v20, 16, v18
.LBB841_501:
	s_or_b64 exec, exec, s[10:11]
.LBB841_502:
	s_or_b64 exec, exec, s[8:9]
.LBB841_503:
	s_or_b64 exec, exec, s[2:3]
	v_lshrrev_b16_e32 v18, 8, v10
	v_cmp_ne_u16_e32 vcc, 0, v18
	s_and_saveexec_b64 s[2:3], vcc
	s_cbranch_execz .LBB841_509
; %bb.504:
	s_movk_i32 s7, 0x80
	v_cmp_ne_u16_e32 vcc, s7, v18
	v_mov_b32_e32 v19, 0xffff8000
	s_and_saveexec_b64 s[8:9], vcc
	s_cbranch_execz .LBB841_508
; %bb.505:
	s_movk_i32 s7, 0x7f
	v_and_b32_e32 v21, 0x7f, v18
	v_cmp_ne_u32_e32 vcc, s7, v21
	v_mov_b32_e32 v19, 0x7f80
	s_and_saveexec_b64 s[10:11], vcc
	s_cbranch_execz .LBB841_507
; %bb.506:
	v_and_b32_e32 v23, 7, v18
	v_ffbh_u32_e32 v19, v23
	v_min_u32_e32 v25, 32, v19
	v_subrev_u32_e32 v19, 28, v25
	v_lshlrev_b64 v[18:19], v19, v[18:19]
	v_lshrrev_b32_e32 v24, 3, v21
	v_sub_u32_e32 v19, 29, v25
	v_and_b32_e32 v18, 7, v18
	v_cmp_gt_u32_e32 vcc, 8, v21
	v_cndmask_b32_e32 v19, v24, v19, vcc
	v_cndmask_b32_e32 v18, v23, v18, vcc
	v_lshlrev_b32_e32 v21, 16, v10
	v_bfrev_b32_e32 v23, 60
	v_lshlrev_b32_e32 v18, 20, v18
	v_and_b32_e32 v21, 0x80000000, v21
	v_lshl_add_u32 v19, v19, 23, v23
	v_or3_b32 v18, v21, v19, v18
	v_lshrrev_b32_e32 v19, 16, v18
.LBB841_507:
	s_or_b64 exec, exec, s[10:11]
.LBB841_508:
	s_or_b64 exec, exec, s[8:9]
.LBB841_509:
	s_or_b64 exec, exec, s[2:3]
	s_movk_i32 s2, 0xff
	v_and_b32_sdwa v24, v10, s2 dst_sel:DWORD dst_unused:UNUSED_PAD src0_sel:WORD_1 src1_sel:DWORD
	v_lshrrev_b32_e32 v18, 16, v10
	v_cmp_ne_u16_e32 vcc, 0, v24
	v_mov_b32_e32 v21, 0
	v_mov_b32_e32 v23, 0
	s_and_saveexec_b64 s[2:3], vcc
	s_cbranch_execz .LBB841_515
; %bb.510:
	s_movk_i32 s7, 0x80
	v_cmp_ne_u16_e32 vcc, s7, v24
	v_mov_b32_e32 v23, 0xffff8000
	s_and_saveexec_b64 s[8:9], vcc
	s_cbranch_execz .LBB841_514
; %bb.511:
	v_bfe_u32 v24, v10, 16, 7
	s_movk_i32 s7, 0x7f
	v_cmp_ne_u32_e32 vcc, s7, v24
	v_mov_b32_e32 v23, 0x7f80
	s_and_saveexec_b64 s[10:11], vcc
	s_cbranch_execz .LBB841_513
; %bb.512:
	v_and_b32_e32 v23, 7, v18
	v_ffbh_u32_e32 v27, v23
	v_min_u32_e32 v27, 32, v27
	v_subrev_u32_e32 v28, 28, v27
	v_lshlrev_b64 v[28:29], v28, v[18:19]
	v_lshrrev_b32_e32 v25, 3, v24
	v_sub_u32_e32 v18, 29, v27
	v_and_b32_e32 v27, 7, v28
	v_cmp_gt_u32_e32 vcc, 8, v24
	v_mov_b32_e32 v24, 24
	v_cndmask_b32_e32 v18, v25, v18, vcc
	v_cndmask_b32_e32 v23, v23, v27, vcc
	v_lshlrev_b32_sdwa v24, v24, v10 dst_sel:DWORD dst_unused:UNUSED_PAD src0_sel:DWORD src1_sel:WORD_1
	v_bfrev_b32_e32 v25, 60
	v_lshlrev_b32_e32 v23, 20, v23
	v_and_b32_e32 v24, 0x80000000, v24
	v_lshl_add_u32 v18, v18, 23, v25
	v_or3_b32 v18, v24, v18, v23
	v_lshrrev_b32_e32 v23, 16, v18
.LBB841_513:
	s_or_b64 exec, exec, s[10:11]
.LBB841_514:
	s_or_b64 exec, exec, s[8:9]
.LBB841_515:
	s_or_b64 exec, exec, s[2:3]
	s_mov_b32 s2, 0xffffff
	v_cmp_lt_u32_e32 vcc, s2, v10
	s_and_saveexec_b64 s[2:3], vcc
	s_cbranch_execz .LBB841_521
; %bb.516:
	v_lshrrev_b32_e32 v18, 24, v10
	s_movk_i32 s7, 0x80
	v_cmp_ne_u32_e32 vcc, s7, v18
	v_mov_b32_e32 v21, 0xffff8000
	s_and_saveexec_b64 s[8:9], vcc
	s_cbranch_execz .LBB841_520
; %bb.517:
	v_bfe_u32 v10, v10, 24, 7
	s_movk_i32 s7, 0x7f
	v_cmp_ne_u32_e32 vcc, s7, v10
	v_mov_b32_e32 v21, 0x7f80
	s_and_saveexec_b64 s[10:11], vcc
	s_cbranch_execz .LBB841_519
; %bb.518:
	v_and_b32_e32 v21, 7, v18
	v_ffbh_u32_e32 v24, v21
	v_min_u32_e32 v28, 32, v24
	v_subrev_u32_e32 v24, 28, v28
	v_lshlrev_b64 v[24:25], v24, v[18:19]
	v_lshrrev_b32_e32 v27, 3, v10
	v_sub_u32_e32 v25, 29, v28
	v_and_b32_e32 v24, 7, v24
	v_cmp_gt_u32_e32 vcc, 8, v10
	v_cndmask_b32_e32 v10, v27, v25, vcc
	v_cndmask_b32_e32 v21, v21, v24, vcc
	v_lshlrev_b32_e32 v18, 24, v18
	v_bfrev_b32_e32 v24, 60
	v_lshlrev_b32_e32 v21, 20, v21
	v_and_b32_e32 v18, 0x80000000, v18
	v_lshl_add_u32 v10, v10, 23, v24
	v_or3_b32 v10, v18, v10, v21
	v_lshrrev_b32_e32 v21, 16, v10
.LBB841_519:
	s_or_b64 exec, exec, s[10:11]
.LBB841_520:
	s_or_b64 exec, exec, s[8:9]
.LBB841_521:
	s_or_b64 exec, exec, s[2:3]
	v_mov_b32_e32 v18, 0
	v_cmp_ne_u16_sdwa s[8:9], v11, v18 src0_sel:BYTE_0 src1_sel:DWORD
	v_mov_b32_e32 v24, 0
	s_and_saveexec_b64 s[2:3], s[8:9]
	s_cbranch_execz .LBB841_527
; %bb.522:
	s_movk_i32 s7, 0x80
	v_cmp_ne_u16_sdwa s[10:11], v11, s7 src0_sel:BYTE_0 src1_sel:DWORD
	v_mov_b32_e32 v24, 0xffff8000
	s_and_saveexec_b64 s[8:9], s[10:11]
	s_cbranch_execz .LBB841_526
; %bb.523:
	s_movk_i32 s7, 0x7f
	v_and_b32_e32 v10, 0x7f, v11
	v_cmp_ne_u32_e32 vcc, s7, v10
	v_mov_b32_e32 v24, 0x7f80
	s_and_saveexec_b64 s[10:11], vcc
	s_cbranch_execz .LBB841_525
; %bb.524:
	v_and_b32_e32 v27, 7, v11
	v_ffbh_u32_e32 v25, v27
	v_min_u32_e32 v29, 32, v25
	v_mov_b32_e32 v24, v11
	v_subrev_u32_e32 v25, 28, v29
	v_lshlrev_b64 v[24:25], v25, v[24:25]
	v_lshrrev_b32_e32 v28, 3, v10
	v_sub_u32_e32 v25, 29, v29
	v_and_b32_e32 v24, 7, v24
	v_cmp_gt_u32_e32 vcc, 8, v10
	v_cndmask_b32_e32 v10, v28, v25, vcc
	v_cndmask_b32_e32 v24, v27, v24, vcc
	v_lshlrev_b32_e32 v25, 24, v11
	v_bfrev_b32_e32 v27, 60
	v_lshlrev_b32_e32 v24, 20, v24
	v_and_b32_e32 v25, 0x80000000, v25
	v_lshl_add_u32 v10, v10, 23, v27
	v_or3_b32 v10, v25, v10, v24
	v_lshrrev_b32_e32 v24, 16, v10
.LBB841_525:
	s_or_b64 exec, exec, s[10:11]
.LBB841_526:
	s_or_b64 exec, exec, s[8:9]
.LBB841_527:
	s_or_b64 exec, exec, s[2:3]
	v_lshrrev_b16_e32 v10, 8, v11
	v_cmp_ne_u16_e32 vcc, 0, v10
	s_and_saveexec_b64 s[2:3], vcc
	s_cbranch_execz .LBB841_533
; %bb.528:
	s_movk_i32 s7, 0x80
	v_cmp_ne_u16_e32 vcc, s7, v10
	v_mov_b32_e32 v18, 0xffff8000
	s_and_saveexec_b64 s[8:9], vcc
	s_cbranch_execz .LBB841_532
; %bb.529:
	s_movk_i32 s7, 0x7f
	v_and_b32_e32 v25, 0x7f, v10
	v_cmp_ne_u32_e32 vcc, s7, v25
	v_mov_b32_e32 v18, 0x7f80
	s_and_saveexec_b64 s[10:11], vcc
	s_cbranch_execz .LBB841_531
; %bb.530:
	v_and_b32_e32 v18, 7, v10
	v_ffbh_u32_e32 v28, v18
	v_min_u32_e32 v30, 32, v28
	v_subrev_u32_e32 v28, 28, v30
	v_lshlrev_b64 v[28:29], v28, v[10:11]
	v_lshrrev_b32_e32 v27, 3, v25
	v_sub_u32_e32 v10, 29, v30
	v_and_b32_e32 v28, 7, v28
	v_cmp_gt_u32_e32 vcc, 8, v25
	v_cndmask_b32_e32 v10, v27, v10, vcc
	v_cndmask_b32_e32 v18, v18, v28, vcc
	v_lshlrev_b32_e32 v25, 16, v11
	v_bfrev_b32_e32 v27, 60
	v_lshlrev_b32_e32 v18, 20, v18
	v_and_b32_e32 v25, 0x80000000, v25
	v_lshl_add_u32 v10, v10, 23, v27
	v_or3_b32 v10, v25, v10, v18
	v_lshrrev_b32_e32 v18, 16, v10
.LBB841_531:
	s_or_b64 exec, exec, s[10:11]
.LBB841_532:
	s_or_b64 exec, exec, s[8:9]
.LBB841_533:
	s_or_b64 exec, exec, s[2:3]
	s_movk_i32 s2, 0xff
	v_and_b32_sdwa v28, v11, s2 dst_sel:DWORD dst_unused:UNUSED_PAD src0_sel:WORD_1 src1_sel:DWORD
	v_lshrrev_b32_e32 v10, 16, v11
	v_cmp_ne_u16_e32 vcc, 0, v28
	v_mov_b32_e32 v25, 0
	v_mov_b32_e32 v27, 0
	s_and_saveexec_b64 s[2:3], vcc
	s_cbranch_execz .LBB841_539
; %bb.534:
	s_movk_i32 s7, 0x80
	v_cmp_ne_u16_e32 vcc, s7, v28
	v_mov_b32_e32 v27, 0xffff8000
	s_and_saveexec_b64 s[8:9], vcc
	s_cbranch_execz .LBB841_538
; %bb.535:
	v_bfe_u32 v28, v11, 16, 7
	s_movk_i32 s7, 0x7f
	v_cmp_ne_u32_e32 vcc, s7, v28
	v_mov_b32_e32 v27, 0x7f80
	s_and_saveexec_b64 s[10:11], vcc
	s_cbranch_execz .LBB841_537
; %bb.536:
	v_and_b32_e32 v27, 7, v10
	v_ffbh_u32_e32 v30, v27
	v_min_u32_e32 v32, 32, v30
	v_subrev_u32_e32 v30, 28, v32
	v_lshlrev_b64 v[30:31], v30, v[10:11]
	v_lshrrev_b32_e32 v29, 3, v28
	v_sub_u32_e32 v10, 29, v32
	v_and_b32_e32 v30, 7, v30
	v_cmp_gt_u32_e32 vcc, 8, v28
	v_mov_b32_e32 v28, 24
	v_cndmask_b32_e32 v10, v29, v10, vcc
	v_cndmask_b32_e32 v27, v27, v30, vcc
	v_lshlrev_b32_sdwa v28, v28, v11 dst_sel:DWORD dst_unused:UNUSED_PAD src0_sel:DWORD src1_sel:WORD_1
	v_bfrev_b32_e32 v29, 60
	v_lshlrev_b32_e32 v27, 20, v27
	v_and_b32_e32 v28, 0x80000000, v28
	v_lshl_add_u32 v10, v10, 23, v29
	v_or3_b32 v10, v28, v10, v27
	v_lshrrev_b32_e32 v27, 16, v10
.LBB841_537:
	s_or_b64 exec, exec, s[10:11]
.LBB841_538:
	s_or_b64 exec, exec, s[8:9]
.LBB841_539:
	s_or_b64 exec, exec, s[2:3]
	s_mov_b32 s2, 0xffffff
	v_cmp_lt_u32_e32 vcc, s2, v11
	s_and_saveexec_b64 s[2:3], vcc
	s_cbranch_execz .LBB841_545
; %bb.540:
	v_lshrrev_b32_e32 v10, 24, v11
	s_movk_i32 s7, 0x80
	v_cmp_ne_u32_e32 vcc, s7, v10
	v_mov_b32_e32 v25, 0xffff8000
	s_and_saveexec_b64 s[8:9], vcc
	s_cbranch_execz .LBB841_544
; %bb.541:
	v_bfe_u32 v11, v11, 24, 7
	s_movk_i32 s7, 0x7f
	v_cmp_ne_u32_e32 vcc, s7, v11
	v_mov_b32_e32 v25, 0x7f80
	s_and_saveexec_b64 s[10:11], vcc
	s_cbranch_execz .LBB841_543
; %bb.542:
	v_and_b32_e32 v25, 7, v10
	v_ffbh_u32_e32 v28, v25
	v_min_u32_e32 v31, 32, v28
	v_subrev_u32_e32 v28, 28, v31
	v_lshlrev_b64 v[28:29], v28, v[10:11]
	v_lshrrev_b32_e32 v30, 3, v11
	v_sub_u32_e32 v29, 29, v31
	v_and_b32_e32 v28, 7, v28
	v_cmp_gt_u32_e32 vcc, 8, v11
	v_cndmask_b32_e32 v11, v30, v29, vcc
	v_cndmask_b32_e32 v25, v25, v28, vcc
	v_lshlrev_b32_e32 v10, 24, v10
	v_bfrev_b32_e32 v28, 60
	v_lshlrev_b32_e32 v25, 20, v25
	v_and_b32_e32 v10, 0x80000000, v10
	v_lshl_add_u32 v11, v11, 23, v28
	v_or3_b32 v10, v10, v11, v25
	v_lshrrev_b32_e32 v25, 16, v10
.LBB841_543:
	s_or_b64 exec, exec, s[10:11]
.LBB841_544:
	s_or_b64 exec, exec, s[8:9]
.LBB841_545:
	s_or_b64 exec, exec, s[2:3]
	s_mov_b32 s2, 0x5040100
	v_perm_b32 v11, v21, v23, s2
	v_perm_b32 v10, v19, v20, s2
	ds_read_b128 v[28:31], v22 offset:2048
	v_perm_b32 v21, v25, v27, s2
	v_perm_b32 v20, v18, v24, s2
	s_waitcnt lgkmcnt(0)
	v_mfma_f32_16x16x16bf16_1k v[14:17], v[10:11], v[28:29], v[14:17]
	v_mov_b32_e32 v11, 0
	v_cmp_ne_u16_sdwa s[8:9], v12, v11 src0_sel:BYTE_0 src1_sel:DWORD
	v_mov_b32_e32 v18, 0
	v_mfma_f32_16x16x16bf16_1k v[14:17], v[20:21], v[30:31], v[14:17]
	s_and_saveexec_b64 s[2:3], s[8:9]
	s_cbranch_execz .LBB841_551
; %bb.546:
	s_movk_i32 s7, 0x80
	v_cmp_ne_u16_sdwa s[10:11], v12, s7 src0_sel:BYTE_0 src1_sel:DWORD
	v_mov_b32_e32 v18, 0xffff8000
	s_and_saveexec_b64 s[8:9], s[10:11]
	s_cbranch_execz .LBB841_550
; %bb.547:
	s_movk_i32 s7, 0x7f
	v_and_b32_e32 v10, 0x7f, v12
	v_cmp_ne_u32_e32 vcc, s7, v10
	v_mov_b32_e32 v18, 0x7f80
	s_and_saveexec_b64 s[10:11], vcc
	s_cbranch_execz .LBB841_549
; %bb.548:
	v_and_b32_e32 v20, 7, v12
	v_ffbh_u32_e32 v18, v20
	v_min_u32_e32 v23, 32, v18
	v_subrev_u32_e32 v18, 28, v23
	v_lshlrev_b64 v[18:19], v18, v[12:13]
	v_lshrrev_b32_e32 v21, 3, v10
	v_sub_u32_e32 v19, 29, v23
	v_and_b32_e32 v18, 7, v18
	v_cmp_gt_u32_e32 vcc, 8, v10
	v_cndmask_b32_e32 v10, v21, v19, vcc
	v_cndmask_b32_e32 v18, v20, v18, vcc
	v_lshlrev_b32_e32 v19, 24, v12
	v_bfrev_b32_e32 v20, 60
	v_lshlrev_b32_e32 v18, 20, v18
	v_and_b32_e32 v19, 0x80000000, v19
	v_lshl_add_u32 v10, v10, 23, v20
	v_or3_b32 v10, v19, v10, v18
	v_lshrrev_b32_e32 v18, 16, v10
.LBB841_549:
	s_or_b64 exec, exec, s[10:11]
.LBB841_550:
	s_or_b64 exec, exec, s[8:9]
.LBB841_551:
	s_or_b64 exec, exec, s[2:3]
	v_lshrrev_b16_e32 v10, 8, v12
	v_cmp_ne_u16_e32 vcc, 0, v10
	s_and_saveexec_b64 s[2:3], vcc
	s_cbranch_execz .LBB841_557
; %bb.552:
	s_movk_i32 s7, 0x80
	v_cmp_ne_u16_e32 vcc, s7, v10
	v_mov_b32_e32 v11, 0xffff8000
	s_and_saveexec_b64 s[8:9], vcc
	s_cbranch_execz .LBB841_556
; %bb.553:
	s_movk_i32 s7, 0x7f
	v_and_b32_e32 v19, 0x7f, v10
	v_cmp_ne_u32_e32 vcc, s7, v19
	v_mov_b32_e32 v11, 0x7f80
	s_and_saveexec_b64 s[10:11], vcc
	s_cbranch_execz .LBB841_555
; %bb.554:
	v_and_b32_e32 v20, 7, v10
	v_ffbh_u32_e32 v11, v20
	v_min_u32_e32 v23, 32, v11
	v_subrev_u32_e32 v11, 28, v23
	v_lshlrev_b64 v[10:11], v11, v[10:11]
	v_lshrrev_b32_e32 v21, 3, v19
	v_sub_u32_e32 v11, 29, v23
	v_and_b32_e32 v10, 7, v10
	v_cmp_gt_u32_e32 vcc, 8, v19
	v_cndmask_b32_e32 v11, v21, v11, vcc
	v_cndmask_b32_e32 v10, v20, v10, vcc
	v_lshlrev_b32_e32 v19, 16, v12
	v_bfrev_b32_e32 v20, 60
	v_lshlrev_b32_e32 v10, 20, v10
	v_and_b32_e32 v19, 0x80000000, v19
	v_lshl_add_u32 v11, v11, 23, v20
	v_or3_b32 v10, v19, v11, v10
	v_lshrrev_b32_e32 v11, 16, v10
.LBB841_555:
	s_or_b64 exec, exec, s[10:11]
.LBB841_556:
	s_or_b64 exec, exec, s[8:9]
.LBB841_557:
	s_or_b64 exec, exec, s[2:3]
	s_movk_i32 s2, 0xff
	v_and_b32_sdwa v21, v12, s2 dst_sel:DWORD dst_unused:UNUSED_PAD src0_sel:WORD_1 src1_sel:DWORD
	v_lshrrev_b32_e32 v10, 16, v12
	v_cmp_ne_u16_e32 vcc, 0, v21
	v_mov_b32_e32 v19, 0
	v_mov_b32_e32 v20, 0
	s_and_saveexec_b64 s[2:3], vcc
	s_cbranch_execz .LBB841_563
; %bb.558:
	s_movk_i32 s7, 0x80
	v_cmp_ne_u16_e32 vcc, s7, v21
	v_mov_b32_e32 v20, 0xffff8000
	s_and_saveexec_b64 s[8:9], vcc
	s_cbranch_execz .LBB841_562
; %bb.559:
	v_bfe_u32 v21, v12, 16, 7
	s_movk_i32 s7, 0x7f
	v_cmp_ne_u32_e32 vcc, s7, v21
	v_mov_b32_e32 v20, 0x7f80
	s_and_saveexec_b64 s[10:11], vcc
	s_cbranch_execz .LBB841_561
; %bb.560:
	v_and_b32_e32 v20, 7, v10
	v_ffbh_u32_e32 v24, v20
	v_min_u32_e32 v27, 32, v24
	v_subrev_u32_e32 v24, 28, v27
	v_lshlrev_b64 v[24:25], v24, v[10:11]
	v_lshrrev_b32_e32 v23, 3, v21
	v_sub_u32_e32 v10, 29, v27
	v_and_b32_e32 v24, 7, v24
	v_cmp_gt_u32_e32 vcc, 8, v21
	v_mov_b32_e32 v21, 24
	v_cndmask_b32_e32 v10, v23, v10, vcc
	v_cndmask_b32_e32 v20, v20, v24, vcc
	v_lshlrev_b32_sdwa v21, v21, v12 dst_sel:DWORD dst_unused:UNUSED_PAD src0_sel:DWORD src1_sel:WORD_1
	v_bfrev_b32_e32 v23, 60
	v_lshlrev_b32_e32 v20, 20, v20
	v_and_b32_e32 v21, 0x80000000, v21
	v_lshl_add_u32 v10, v10, 23, v23
	v_or3_b32 v10, v21, v10, v20
	v_lshrrev_b32_e32 v20, 16, v10
.LBB841_561:
	s_or_b64 exec, exec, s[10:11]
.LBB841_562:
	s_or_b64 exec, exec, s[8:9]
.LBB841_563:
	s_or_b64 exec, exec, s[2:3]
	s_mov_b32 s2, 0xffffff
	v_cmp_lt_u32_e32 vcc, s2, v12
	s_and_saveexec_b64 s[2:3], vcc
	s_cbranch_execz .LBB841_569
; %bb.564:
	v_lshrrev_b32_e32 v10, 24, v12
	s_movk_i32 s7, 0x80
	v_cmp_ne_u32_e32 vcc, s7, v10
	v_mov_b32_e32 v19, 0xffff8000
	s_and_saveexec_b64 s[8:9], vcc
	s_cbranch_execz .LBB841_568
; %bb.565:
	v_bfe_u32 v12, v12, 24, 7
	s_movk_i32 s7, 0x7f
	v_cmp_ne_u32_e32 vcc, s7, v12
	v_mov_b32_e32 v19, 0x7f80
	s_and_saveexec_b64 s[10:11], vcc
	s_cbranch_execz .LBB841_567
; %bb.566:
	v_and_b32_e32 v19, 7, v10
	v_ffbh_u32_e32 v23, v19
	v_min_u32_e32 v23, 32, v23
	v_subrev_u32_e32 v24, 28, v23
	v_lshlrev_b64 v[24:25], v24, v[10:11]
	v_lshrrev_b32_e32 v21, 3, v12
	v_sub_u32_e32 v23, 29, v23
	v_and_b32_e32 v24, 7, v24
	v_cmp_gt_u32_e32 vcc, 8, v12
	v_cndmask_b32_e32 v12, v21, v23, vcc
	v_cndmask_b32_e32 v19, v19, v24, vcc
	v_lshlrev_b32_e32 v10, 24, v10
	v_bfrev_b32_e32 v21, 60
	v_lshlrev_b32_e32 v19, 20, v19
	v_and_b32_e32 v10, 0x80000000, v10
	v_lshl_add_u32 v12, v12, 23, v21
	v_or3_b32 v10, v10, v12, v19
	v_lshrrev_b32_e32 v19, 16, v10
.LBB841_567:
	s_or_b64 exec, exec, s[10:11]
.LBB841_568:
	s_or_b64 exec, exec, s[8:9]
.LBB841_569:
	s_or_b64 exec, exec, s[2:3]
	v_mov_b32_e32 v12, 0
	v_cmp_ne_u16_sdwa s[8:9], v13, v12 src0_sel:BYTE_0 src1_sel:DWORD
	v_mov_b32_e32 v21, 0
	s_and_saveexec_b64 s[2:3], s[8:9]
	s_cbranch_execz .LBB841_575
; %bb.570:
	s_movk_i32 s7, 0x80
	v_cmp_ne_u16_sdwa s[10:11], v13, s7 src0_sel:BYTE_0 src1_sel:DWORD
	v_mov_b32_e32 v21, 0xffff8000
	s_and_saveexec_b64 s[8:9], s[10:11]
	s_cbranch_execz .LBB841_574
; %bb.571:
	s_movk_i32 s7, 0x7f
	v_and_b32_e32 v10, 0x7f, v13
	v_cmp_ne_u32_e32 vcc, s7, v10
	v_mov_b32_e32 v21, 0x7f80
	s_and_saveexec_b64 s[10:11], vcc
	s_cbranch_execz .LBB841_573
; %bb.572:
	v_and_b32_e32 v21, 7, v13
	v_ffbh_u32_e32 v25, v21
	v_min_u32_e32 v27, 32, v25
	v_mov_b32_e32 v24, v13
	v_subrev_u32_e32 v25, 28, v27
	v_lshlrev_b64 v[24:25], v25, v[24:25]
	v_lshrrev_b32_e32 v23, 3, v10
	v_sub_u32_e32 v25, 29, v27
	v_and_b32_e32 v24, 7, v24
	v_cmp_gt_u32_e32 vcc, 8, v10
	v_cndmask_b32_e32 v10, v23, v25, vcc
	v_cndmask_b32_e32 v21, v21, v24, vcc
	v_lshlrev_b32_e32 v23, 24, v13
	v_bfrev_b32_e32 v24, 60
	v_lshlrev_b32_e32 v21, 20, v21
	v_and_b32_e32 v23, 0x80000000, v23
	v_lshl_add_u32 v10, v10, 23, v24
	v_or3_b32 v10, v23, v10, v21
	v_lshrrev_b32_e32 v21, 16, v10
.LBB841_573:
	s_or_b64 exec, exec, s[10:11]
.LBB841_574:
	s_or_b64 exec, exec, s[8:9]
.LBB841_575:
	s_or_b64 exec, exec, s[2:3]
	v_lshrrev_b16_e32 v10, 8, v13
	v_cmp_ne_u16_e32 vcc, 0, v10
	s_and_saveexec_b64 s[2:3], vcc
	s_cbranch_execz .LBB841_581
; %bb.576:
	s_movk_i32 s7, 0x80
	v_cmp_ne_u16_e32 vcc, s7, v10
	v_mov_b32_e32 v12, 0xffff8000
	s_and_saveexec_b64 s[8:9], vcc
	s_cbranch_execz .LBB841_580
; %bb.577:
	s_movk_i32 s7, 0x7f
	v_and_b32_e32 v23, 0x7f, v10
	v_cmp_ne_u32_e32 vcc, s7, v23
	v_mov_b32_e32 v12, 0x7f80
	s_and_saveexec_b64 s[10:11], vcc
	s_cbranch_execz .LBB841_579
; %bb.578:
	v_and_b32_e32 v12, 7, v10
	v_ffbh_u32_e32 v24, v12
	v_min_u32_e32 v28, 32, v24
	v_subrev_u32_e32 v24, 28, v28
	v_lshlrev_b64 v[24:25], v24, v[10:11]
	v_lshrrev_b32_e32 v27, 3, v23
	v_sub_u32_e32 v10, 29, v28
	v_and_b32_e32 v24, 7, v24
	v_cmp_gt_u32_e32 vcc, 8, v23
	v_cndmask_b32_e32 v10, v27, v10, vcc
	v_cndmask_b32_e32 v12, v12, v24, vcc
	v_lshlrev_b32_e32 v23, 16, v13
	v_bfrev_b32_e32 v24, 60
	v_lshlrev_b32_e32 v12, 20, v12
	v_and_b32_e32 v23, 0x80000000, v23
	v_lshl_add_u32 v10, v10, 23, v24
	v_or3_b32 v10, v23, v10, v12
	v_lshrrev_b32_e32 v12, 16, v10
.LBB841_579:
	s_or_b64 exec, exec, s[10:11]
.LBB841_580:
	s_or_b64 exec, exec, s[8:9]
.LBB841_581:
	s_or_b64 exec, exec, s[2:3]
	s_movk_i32 s2, 0xff
	v_and_b32_sdwa v25, v13, s2 dst_sel:DWORD dst_unused:UNUSED_PAD src0_sel:WORD_1 src1_sel:DWORD
	v_lshrrev_b32_e32 v10, 16, v13
	v_cmp_ne_u16_e32 vcc, 0, v25
	v_mov_b32_e32 v23, 0
	v_mov_b32_e32 v24, 0
	s_and_saveexec_b64 s[2:3], vcc
	s_cbranch_execz .LBB841_587
; %bb.582:
	s_movk_i32 s7, 0x80
	v_cmp_ne_u16_e32 vcc, s7, v25
	v_mov_b32_e32 v24, 0xffff8000
	s_and_saveexec_b64 s[8:9], vcc
	s_cbranch_execz .LBB841_586
; %bb.583:
	v_bfe_u32 v25, v13, 16, 7
	s_movk_i32 s7, 0x7f
	v_cmp_ne_u32_e32 vcc, s7, v25
	v_mov_b32_e32 v24, 0x7f80
	s_and_saveexec_b64 s[10:11], vcc
	s_cbranch_execz .LBB841_585
; %bb.584:
	v_and_b32_e32 v24, 7, v10
	v_ffbh_u32_e32 v28, v24
	v_min_u32_e32 v30, 32, v28
	v_subrev_u32_e32 v28, 28, v30
	v_lshlrev_b64 v[28:29], v28, v[10:11]
	v_lshrrev_b32_e32 v27, 3, v25
	v_sub_u32_e32 v10, 29, v30
	v_and_b32_e32 v28, 7, v28
	v_cmp_gt_u32_e32 vcc, 8, v25
	v_mov_b32_e32 v25, 24
	v_cndmask_b32_e32 v10, v27, v10, vcc
	v_cndmask_b32_e32 v24, v24, v28, vcc
	v_lshlrev_b32_sdwa v25, v25, v13 dst_sel:DWORD dst_unused:UNUSED_PAD src0_sel:DWORD src1_sel:WORD_1
	v_bfrev_b32_e32 v27, 60
	v_lshlrev_b32_e32 v24, 20, v24
	v_and_b32_e32 v25, 0x80000000, v25
	v_lshl_add_u32 v10, v10, 23, v27
	v_or3_b32 v10, v25, v10, v24
	v_lshrrev_b32_e32 v24, 16, v10
.LBB841_585:
	s_or_b64 exec, exec, s[10:11]
.LBB841_586:
	s_or_b64 exec, exec, s[8:9]
.LBB841_587:
	s_or_b64 exec, exec, s[2:3]
	s_mov_b32 s2, 0xffffff
	v_cmp_lt_u32_e32 vcc, s2, v13
	s_and_saveexec_b64 s[2:3], vcc
	s_cbranch_execz .LBB841_593
; %bb.588:
	v_lshrrev_b32_e32 v10, 24, v13
	s_movk_i32 s7, 0x80
	v_cmp_ne_u32_e32 vcc, s7, v10
	v_mov_b32_e32 v23, 0xffff8000
	s_and_saveexec_b64 s[8:9], vcc
	s_cbranch_execz .LBB841_592
; %bb.589:
	v_bfe_u32 v13, v13, 24, 7
	s_movk_i32 s7, 0x7f
	v_cmp_ne_u32_e32 vcc, s7, v13
	v_mov_b32_e32 v23, 0x7f80
	s_and_saveexec_b64 s[10:11], vcc
	s_cbranch_execz .LBB841_591
; %bb.590:
	v_and_b32_e32 v23, 7, v10
	v_ffbh_u32_e32 v27, v23
	v_min_u32_e32 v27, 32, v27
	v_subrev_u32_e32 v28, 28, v27
	v_lshlrev_b64 v[28:29], v28, v[10:11]
	v_lshrrev_b32_e32 v25, 3, v13
	v_sub_u32_e32 v27, 29, v27
	v_and_b32_e32 v28, 7, v28
	v_cmp_gt_u32_e32 vcc, 8, v13
	v_cndmask_b32_e32 v13, v25, v27, vcc
	v_cndmask_b32_e32 v23, v23, v28, vcc
	v_lshlrev_b32_e32 v10, 24, v10
	v_bfrev_b32_e32 v25, 60
	v_lshlrev_b32_e32 v23, 20, v23
	v_and_b32_e32 v10, 0x80000000, v10
	v_lshl_add_u32 v13, v13, 23, v25
	v_or3_b32 v10, v10, v13, v23
	v_lshrrev_b32_e32 v23, 16, v10
.LBB841_591:
	s_or_b64 exec, exec, s[10:11]
.LBB841_592:
	s_or_b64 exec, exec, s[8:9]
.LBB841_593:
	s_or_b64 exec, exec, s[2:3]
	s_mov_b32 s2, 0x5040100
	v_perm_b32 v19, v19, v20, s2
	v_perm_b32 v18, v11, v18, s2
	ds_read_b128 v[28:31], v22 offset:2064
	v_perm_b32 v11, v23, v24, s2
	v_perm_b32 v10, v12, v21, s2
	s_waitcnt lgkmcnt(0)
	v_mfma_f32_16x16x16bf16_1k v[32:35], v[18:19], v[28:29], v[14:17]
	s_nop 6
	v_mov_b32_e32 v15, 0
	s_waitcnt vmcnt(1)
	v_cmp_ne_u16_sdwa s[8:9], v6, v15 src0_sel:BYTE_0 src1_sel:DWORD
	v_mfma_f32_16x16x16bf16_1k v[10:13], v[10:11], v[30:31], v[32:35]
	v_mov_b32_e32 v16, 0
	s_and_saveexec_b64 s[2:3], s[8:9]
	s_cbranch_execz .LBB841_599
; %bb.594:
	s_movk_i32 s7, 0x80
	v_cmp_ne_u16_sdwa s[10:11], v6, s7 src0_sel:BYTE_0 src1_sel:DWORD
	v_mov_b32_e32 v16, 0xffff8000
	s_and_saveexec_b64 s[8:9], s[10:11]
	s_cbranch_execz .LBB841_598
; %bb.595:
	s_movk_i32 s7, 0x7f
	v_and_b32_e32 v14, 0x7f, v6
	v_cmp_ne_u32_e32 vcc, s7, v14
	v_mov_b32_e32 v16, 0x7f80
	s_and_saveexec_b64 s[10:11], vcc
	s_cbranch_execz .LBB841_597
; %bb.596:
	v_and_b32_e32 v18, 7, v6
	v_ffbh_u32_e32 v16, v18
	v_min_u32_e32 v20, 32, v16
	v_subrev_u32_e32 v16, 28, v20
	v_lshlrev_b64 v[16:17], v16, v[6:7]
	v_lshrrev_b32_e32 v19, 3, v14
	v_sub_u32_e32 v17, 29, v20
	v_and_b32_e32 v16, 7, v16
	v_cmp_gt_u32_e32 vcc, 8, v14
	v_cndmask_b32_e32 v14, v19, v17, vcc
	v_cndmask_b32_e32 v16, v18, v16, vcc
	v_lshlrev_b32_e32 v17, 24, v6
	v_bfrev_b32_e32 v18, 60
	v_lshlrev_b32_e32 v16, 20, v16
	v_and_b32_e32 v17, 0x80000000, v17
	v_lshl_add_u32 v14, v14, 23, v18
	v_or3_b32 v14, v17, v14, v16
	v_lshrrev_b32_e32 v16, 16, v14
.LBB841_597:
	s_or_b64 exec, exec, s[10:11]
.LBB841_598:
	s_or_b64 exec, exec, s[8:9]
.LBB841_599:
	s_or_b64 exec, exec, s[2:3]
	v_lshrrev_b16_e32 v14, 8, v6
	v_cmp_ne_u16_e32 vcc, 0, v14
	s_and_saveexec_b64 s[2:3], vcc
	s_cbranch_execz .LBB841_605
; %bb.600:
	s_movk_i32 s7, 0x80
	v_cmp_ne_u16_e32 vcc, s7, v14
	v_mov_b32_e32 v15, 0xffff8000
	s_and_saveexec_b64 s[8:9], vcc
	s_cbranch_execz .LBB841_604
; %bb.601:
	s_movk_i32 s7, 0x7f
	v_and_b32_e32 v17, 0x7f, v14
	v_cmp_ne_u32_e32 vcc, s7, v17
	v_mov_b32_e32 v15, 0x7f80
	s_and_saveexec_b64 s[10:11], vcc
	s_cbranch_execz .LBB841_603
; %bb.602:
	v_and_b32_e32 v18, 7, v14
	v_ffbh_u32_e32 v15, v18
	v_min_u32_e32 v20, 32, v15
	v_subrev_u32_e32 v15, 28, v20
	v_lshlrev_b64 v[14:15], v15, v[14:15]
	v_lshrrev_b32_e32 v19, 3, v17
	v_sub_u32_e32 v15, 29, v20
	v_and_b32_e32 v14, 7, v14
	v_cmp_gt_u32_e32 vcc, 8, v17
	v_cndmask_b32_e32 v15, v19, v15, vcc
	v_cndmask_b32_e32 v14, v18, v14, vcc
	v_lshlrev_b32_e32 v17, 16, v6
	v_bfrev_b32_e32 v18, 60
	v_lshlrev_b32_e32 v14, 20, v14
	v_and_b32_e32 v17, 0x80000000, v17
	v_lshl_add_u32 v15, v15, 23, v18
	v_or3_b32 v14, v17, v15, v14
	v_lshrrev_b32_e32 v15, 16, v14
.LBB841_603:
	s_or_b64 exec, exec, s[10:11]
.LBB841_604:
	s_or_b64 exec, exec, s[8:9]
.LBB841_605:
	s_or_b64 exec, exec, s[2:3]
	s_movk_i32 s2, 0xff
	v_and_b32_sdwa v19, v6, s2 dst_sel:DWORD dst_unused:UNUSED_PAD src0_sel:WORD_1 src1_sel:DWORD
	v_lshrrev_b32_e32 v14, 16, v6
	v_cmp_ne_u16_e32 vcc, 0, v19
	v_mov_b32_e32 v17, 0
	v_mov_b32_e32 v18, 0
	s_and_saveexec_b64 s[2:3], vcc
	s_cbranch_execz .LBB841_611
; %bb.606:
	s_movk_i32 s7, 0x80
	v_cmp_ne_u16_e32 vcc, s7, v19
	v_mov_b32_e32 v18, 0xffff8000
	s_and_saveexec_b64 s[8:9], vcc
	s_cbranch_execz .LBB841_610
; %bb.607:
	v_bfe_u32 v19, v6, 16, 7
	s_movk_i32 s7, 0x7f
	v_cmp_ne_u32_e32 vcc, s7, v19
	v_mov_b32_e32 v18, 0x7f80
	s_and_saveexec_b64 s[10:11], vcc
	s_cbranch_execz .LBB841_609
; %bb.608:
	v_and_b32_e32 v18, 7, v14
	v_ffbh_u32_e32 v20, v18
	v_min_u32_e32 v24, 32, v20
	v_subrev_u32_e32 v20, 28, v24
	v_lshlrev_b64 v[20:21], v20, v[14:15]
	v_lshrrev_b32_e32 v23, 3, v19
	v_sub_u32_e32 v14, 29, v24
	v_and_b32_e32 v20, 7, v20
	v_cmp_gt_u32_e32 vcc, 8, v19
	v_mov_b32_e32 v19, 24
	v_cndmask_b32_e32 v14, v23, v14, vcc
	v_cndmask_b32_e32 v18, v18, v20, vcc
	v_lshlrev_b32_sdwa v19, v19, v6 dst_sel:DWORD dst_unused:UNUSED_PAD src0_sel:DWORD src1_sel:WORD_1
	v_bfrev_b32_e32 v20, 60
	v_lshlrev_b32_e32 v18, 20, v18
	v_and_b32_e32 v19, 0x80000000, v19
	v_lshl_add_u32 v14, v14, 23, v20
	v_or3_b32 v14, v19, v14, v18
	v_lshrrev_b32_e32 v18, 16, v14
.LBB841_609:
	s_or_b64 exec, exec, s[10:11]
.LBB841_610:
	s_or_b64 exec, exec, s[8:9]
.LBB841_611:
	s_or_b64 exec, exec, s[2:3]
	s_mov_b32 s2, 0xffffff
	v_cmp_lt_u32_e32 vcc, s2, v6
	s_and_saveexec_b64 s[2:3], vcc
	s_cbranch_execz .LBB841_617
; %bb.612:
	v_lshrrev_b32_e32 v14, 24, v6
	s_movk_i32 s7, 0x80
	v_cmp_ne_u32_e32 vcc, s7, v14
	v_mov_b32_e32 v17, 0xffff8000
	s_and_saveexec_b64 s[8:9], vcc
	s_cbranch_execz .LBB841_616
; %bb.613:
	v_bfe_u32 v6, v6, 24, 7
	s_movk_i32 s7, 0x7f
	v_cmp_ne_u32_e32 vcc, s7, v6
	v_mov_b32_e32 v17, 0x7f80
	s_and_saveexec_b64 s[10:11], vcc
	s_cbranch_execz .LBB841_615
; %bb.614:
	v_and_b32_e32 v17, 7, v14
	v_ffbh_u32_e32 v20, v17
	v_min_u32_e32 v23, 32, v20
	v_subrev_u32_e32 v20, 28, v23
	v_lshlrev_b64 v[20:21], v20, v[14:15]
	v_lshrrev_b32_e32 v19, 3, v6
	v_sub_u32_e32 v21, 29, v23
	v_and_b32_e32 v20, 7, v20
	v_cmp_gt_u32_e32 vcc, 8, v6
	v_cndmask_b32_e32 v6, v19, v21, vcc
	v_cndmask_b32_e32 v17, v17, v20, vcc
	v_lshlrev_b32_e32 v14, 24, v14
	v_bfrev_b32_e32 v19, 60
	v_lshlrev_b32_e32 v17, 20, v17
	v_and_b32_e32 v14, 0x80000000, v14
	v_lshl_add_u32 v6, v6, 23, v19
	v_or3_b32 v6, v14, v6, v17
	v_lshrrev_b32_e32 v17, 16, v6
.LBB841_615:
	s_or_b64 exec, exec, s[10:11]
.LBB841_616:
	s_or_b64 exec, exec, s[8:9]
.LBB841_617:
	s_or_b64 exec, exec, s[2:3]
	v_mov_b32_e32 v14, 0
	v_cmp_ne_u16_sdwa s[8:9], v7, v14 src0_sel:BYTE_0 src1_sel:DWORD
	v_mov_b32_e32 v19, 0
	s_and_saveexec_b64 s[2:3], s[8:9]
	s_cbranch_execz .LBB841_623
; %bb.618:
	s_movk_i32 s7, 0x80
	v_cmp_ne_u16_sdwa s[10:11], v7, s7 src0_sel:BYTE_0 src1_sel:DWORD
	v_mov_b32_e32 v19, 0xffff8000
	s_and_saveexec_b64 s[8:9], s[10:11]
	s_cbranch_execz .LBB841_622
; %bb.619:
	s_movk_i32 s7, 0x7f
	v_and_b32_e32 v6, 0x7f, v7
	v_cmp_ne_u32_e32 vcc, s7, v6
	v_mov_b32_e32 v19, 0x7f80
	s_and_saveexec_b64 s[10:11], vcc
	s_cbranch_execz .LBB841_621
; %bb.620:
	v_and_b32_e32 v19, 7, v7
	v_ffbh_u32_e32 v21, v19
	v_min_u32_e32 v24, 32, v21
	v_mov_b32_e32 v20, v7
	v_subrev_u32_e32 v21, 28, v24
	v_lshlrev_b64 v[20:21], v21, v[20:21]
	v_lshrrev_b32_e32 v23, 3, v6
	v_sub_u32_e32 v21, 29, v24
	v_and_b32_e32 v20, 7, v20
	v_cmp_gt_u32_e32 vcc, 8, v6
	v_cndmask_b32_e32 v6, v23, v21, vcc
	v_cndmask_b32_e32 v19, v19, v20, vcc
	v_lshlrev_b32_e32 v20, 24, v7
	v_bfrev_b32_e32 v21, 60
	v_lshlrev_b32_e32 v19, 20, v19
	v_and_b32_e32 v20, 0x80000000, v20
	v_lshl_add_u32 v6, v6, 23, v21
	v_or3_b32 v6, v20, v6, v19
	v_lshrrev_b32_e32 v19, 16, v6
.LBB841_621:
	s_or_b64 exec, exec, s[10:11]
.LBB841_622:
	s_or_b64 exec, exec, s[8:9]
.LBB841_623:
	s_or_b64 exec, exec, s[2:3]
	v_lshrrev_b16_e32 v6, 8, v7
	v_cmp_ne_u16_e32 vcc, 0, v6
	s_and_saveexec_b64 s[2:3], vcc
	s_cbranch_execz .LBB841_629
; %bb.624:
	s_movk_i32 s7, 0x80
	v_cmp_ne_u16_e32 vcc, s7, v6
	v_mov_b32_e32 v14, 0xffff8000
	s_and_saveexec_b64 s[8:9], vcc
	s_cbranch_execz .LBB841_628
; %bb.625:
	s_movk_i32 s7, 0x7f
	v_and_b32_e32 v20, 0x7f, v6
	v_cmp_ne_u32_e32 vcc, s7, v20
	v_mov_b32_e32 v14, 0x7f80
	s_and_saveexec_b64 s[10:11], vcc
	s_cbranch_execz .LBB841_627
; %bb.626:
	v_and_b32_e32 v14, 7, v6
	v_ffbh_u32_e32 v23, v14
	v_min_u32_e32 v23, 32, v23
	v_subrev_u32_e32 v24, 28, v23
	v_lshlrev_b64 v[24:25], v24, v[6:7]
	v_lshrrev_b32_e32 v21, 3, v20
	v_sub_u32_e32 v6, 29, v23
	v_and_b32_e32 v23, 7, v24
	v_cmp_gt_u32_e32 vcc, 8, v20
	v_cndmask_b32_e32 v6, v21, v6, vcc
	v_cndmask_b32_e32 v14, v14, v23, vcc
	v_lshlrev_b32_e32 v20, 16, v7
	v_bfrev_b32_e32 v21, 60
	v_lshlrev_b32_e32 v14, 20, v14
	v_and_b32_e32 v20, 0x80000000, v20
	v_lshl_add_u32 v6, v6, 23, v21
	v_or3_b32 v6, v20, v6, v14
	v_lshrrev_b32_e32 v14, 16, v6
.LBB841_627:
	s_or_b64 exec, exec, s[10:11]
.LBB841_628:
	s_or_b64 exec, exec, s[8:9]
.LBB841_629:
	s_or_b64 exec, exec, s[2:3]
	s_movk_i32 s2, 0xff
	v_and_b32_sdwa v23, v7, s2 dst_sel:DWORD dst_unused:UNUSED_PAD src0_sel:WORD_1 src1_sel:DWORD
	v_lshrrev_b32_e32 v6, 16, v7
	v_cmp_ne_u16_e32 vcc, 0, v23
	v_mov_b32_e32 v20, 0
	v_mov_b32_e32 v21, 0
	s_and_saveexec_b64 s[2:3], vcc
	s_cbranch_execz .LBB841_635
; %bb.630:
	s_movk_i32 s7, 0x80
	v_cmp_ne_u16_e32 vcc, s7, v23
	v_mov_b32_e32 v21, 0xffff8000
	s_and_saveexec_b64 s[8:9], vcc
	s_cbranch_execz .LBB841_634
; %bb.631:
	v_bfe_u32 v23, v7, 16, 7
	s_movk_i32 s7, 0x7f
	v_cmp_ne_u32_e32 vcc, s7, v23
	v_mov_b32_e32 v21, 0x7f80
	s_and_saveexec_b64 s[10:11], vcc
	s_cbranch_execz .LBB841_633
; %bb.632:
	v_and_b32_e32 v21, 7, v6
	v_ffbh_u32_e32 v24, v21
	v_min_u32_e32 v28, 32, v24
	v_subrev_u32_e32 v24, 28, v28
	v_lshlrev_b64 v[24:25], v24, v[6:7]
	v_lshrrev_b32_e32 v27, 3, v23
	v_sub_u32_e32 v6, 29, v28
	v_and_b32_e32 v24, 7, v24
	v_cmp_gt_u32_e32 vcc, 8, v23
	v_mov_b32_e32 v23, 24
	v_cndmask_b32_e32 v6, v27, v6, vcc
	v_cndmask_b32_e32 v21, v21, v24, vcc
	v_lshlrev_b32_sdwa v23, v23, v7 dst_sel:DWORD dst_unused:UNUSED_PAD src0_sel:DWORD src1_sel:WORD_1
	v_bfrev_b32_e32 v24, 60
	v_lshlrev_b32_e32 v21, 20, v21
	v_and_b32_e32 v23, 0x80000000, v23
	v_lshl_add_u32 v6, v6, 23, v24
	v_or3_b32 v6, v23, v6, v21
	v_lshrrev_b32_e32 v21, 16, v6
.LBB841_633:
	s_or_b64 exec, exec, s[10:11]
.LBB841_634:
	s_or_b64 exec, exec, s[8:9]
.LBB841_635:
	s_or_b64 exec, exec, s[2:3]
	s_mov_b32 s2, 0xffffff
	v_cmp_lt_u32_e32 vcc, s2, v7
	s_and_saveexec_b64 s[2:3], vcc
	s_cbranch_execz .LBB841_641
; %bb.636:
	v_lshrrev_b32_e32 v6, 24, v7
	s_movk_i32 s7, 0x80
	v_cmp_ne_u32_e32 vcc, s7, v6
	v_mov_b32_e32 v20, 0xffff8000
	s_and_saveexec_b64 s[8:9], vcc
	s_cbranch_execz .LBB841_640
; %bb.637:
	v_bfe_u32 v7, v7, 24, 7
	s_movk_i32 s7, 0x7f
	v_cmp_ne_u32_e32 vcc, s7, v7
	v_mov_b32_e32 v20, 0x7f80
	s_and_saveexec_b64 s[10:11], vcc
	s_cbranch_execz .LBB841_639
; %bb.638:
	v_and_b32_e32 v20, 7, v6
	v_ffbh_u32_e32 v24, v20
	v_min_u32_e32 v27, 32, v24
	v_subrev_u32_e32 v24, 28, v27
	v_lshlrev_b64 v[24:25], v24, v[6:7]
	v_lshrrev_b32_e32 v23, 3, v7
	v_sub_u32_e32 v25, 29, v27
	v_and_b32_e32 v24, 7, v24
	v_cmp_gt_u32_e32 vcc, 8, v7
	v_cndmask_b32_e32 v7, v23, v25, vcc
	v_cndmask_b32_e32 v20, v20, v24, vcc
	v_lshlrev_b32_e32 v6, 24, v6
	v_bfrev_b32_e32 v23, 60
	v_lshlrev_b32_e32 v20, 20, v20
	v_and_b32_e32 v6, 0x80000000, v6
	v_lshl_add_u32 v7, v7, 23, v23
	v_or3_b32 v6, v6, v7, v20
	v_lshrrev_b32_e32 v20, 16, v6
.LBB841_639:
	s_or_b64 exec, exec, s[10:11]
.LBB841_640:
	s_or_b64 exec, exec, s[8:9]
.LBB841_641:
	s_or_b64 exec, exec, s[2:3]
	s_mov_b32 s2, 0x5040100
	v_perm_b32 v7, v17, v18, s2
	v_perm_b32 v6, v15, v16, s2
	ds_read_b128 v[28:31], v22 offset:4096
	v_perm_b32 v17, v20, v21, s2
	v_perm_b32 v16, v14, v19, s2
	s_waitcnt lgkmcnt(0)
	v_mfma_f32_16x16x16bf16_1k v[10:13], v[6:7], v[28:29], v[10:13]
	v_mov_b32_e32 v7, 0
	v_cmp_ne_u16_sdwa s[8:9], v8, v7 src0_sel:BYTE_0 src1_sel:DWORD
	v_mov_b32_e32 v14, 0
	v_mfma_f32_16x16x16bf16_1k v[10:13], v[16:17], v[30:31], v[10:13]
	s_and_saveexec_b64 s[2:3], s[8:9]
	s_cbranch_execz .LBB841_647
; %bb.642:
	s_movk_i32 s7, 0x80
	v_cmp_ne_u16_sdwa s[10:11], v8, s7 src0_sel:BYTE_0 src1_sel:DWORD
	v_mov_b32_e32 v14, 0xffff8000
	s_and_saveexec_b64 s[8:9], s[10:11]
	s_cbranch_execz .LBB841_646
; %bb.643:
	s_movk_i32 s7, 0x7f
	v_and_b32_e32 v6, 0x7f, v8
	v_cmp_ne_u32_e32 vcc, s7, v6
	v_mov_b32_e32 v14, 0x7f80
	s_and_saveexec_b64 s[10:11], vcc
	s_cbranch_execz .LBB841_645
; %bb.644:
	v_and_b32_e32 v16, 7, v8
	v_ffbh_u32_e32 v14, v16
	v_min_u32_e32 v18, 32, v14
	v_subrev_u32_e32 v14, 28, v18
	v_lshlrev_b64 v[14:15], v14, v[8:9]
	v_lshrrev_b32_e32 v17, 3, v6
	v_sub_u32_e32 v15, 29, v18
	v_and_b32_e32 v14, 7, v14
	v_cmp_gt_u32_e32 vcc, 8, v6
	v_cndmask_b32_e32 v6, v17, v15, vcc
	v_cndmask_b32_e32 v14, v16, v14, vcc
	v_lshlrev_b32_e32 v15, 24, v8
	v_bfrev_b32_e32 v16, 60
	v_lshlrev_b32_e32 v14, 20, v14
	v_and_b32_e32 v15, 0x80000000, v15
	v_lshl_add_u32 v6, v6, 23, v16
	v_or3_b32 v6, v15, v6, v14
	v_lshrrev_b32_e32 v14, 16, v6
.LBB841_645:
	s_or_b64 exec, exec, s[10:11]
.LBB841_646:
	s_or_b64 exec, exec, s[8:9]
.LBB841_647:
	s_or_b64 exec, exec, s[2:3]
	v_lshrrev_b16_e32 v6, 8, v8
	v_cmp_ne_u16_e32 vcc, 0, v6
	s_and_saveexec_b64 s[2:3], vcc
	s_cbranch_execz .LBB841_653
; %bb.648:
	s_movk_i32 s7, 0x80
	v_cmp_ne_u16_e32 vcc, s7, v6
	v_mov_b32_e32 v7, 0xffff8000
	s_and_saveexec_b64 s[8:9], vcc
	s_cbranch_execz .LBB841_652
; %bb.649:
	s_movk_i32 s7, 0x7f
	v_and_b32_e32 v15, 0x7f, v6
	v_cmp_ne_u32_e32 vcc, s7, v15
	v_mov_b32_e32 v7, 0x7f80
	s_and_saveexec_b64 s[10:11], vcc
	s_cbranch_execz .LBB841_651
; %bb.650:
	v_and_b32_e32 v16, 7, v6
	v_ffbh_u32_e32 v7, v16
	v_min_u32_e32 v18, 32, v7
	v_subrev_u32_e32 v7, 28, v18
	v_lshlrev_b64 v[6:7], v7, v[6:7]
	v_lshrrev_b32_e32 v17, 3, v15
	v_sub_u32_e32 v7, 29, v18
	v_and_b32_e32 v6, 7, v6
	v_cmp_gt_u32_e32 vcc, 8, v15
	v_cndmask_b32_e32 v7, v17, v7, vcc
	v_cndmask_b32_e32 v6, v16, v6, vcc
	v_lshlrev_b32_e32 v15, 16, v8
	v_bfrev_b32_e32 v16, 60
	v_lshlrev_b32_e32 v6, 20, v6
	v_and_b32_e32 v15, 0x80000000, v15
	v_lshl_add_u32 v7, v7, 23, v16
	v_or3_b32 v6, v15, v7, v6
	v_lshrrev_b32_e32 v7, 16, v6
.LBB841_651:
	s_or_b64 exec, exec, s[10:11]
.LBB841_652:
	s_or_b64 exec, exec, s[8:9]
.LBB841_653:
	s_or_b64 exec, exec, s[2:3]
	s_movk_i32 s2, 0xff
	v_and_b32_sdwa v17, v8, s2 dst_sel:DWORD dst_unused:UNUSED_PAD src0_sel:WORD_1 src1_sel:DWORD
	v_lshrrev_b32_e32 v6, 16, v8
	v_cmp_ne_u16_e32 vcc, 0, v17
	v_mov_b32_e32 v15, 0
	v_mov_b32_e32 v16, 0
	s_and_saveexec_b64 s[2:3], vcc
	s_cbranch_execz .LBB841_659
; %bb.654:
	s_movk_i32 s7, 0x80
	v_cmp_ne_u16_e32 vcc, s7, v17
	v_mov_b32_e32 v16, 0xffff8000
	s_and_saveexec_b64 s[8:9], vcc
	s_cbranch_execz .LBB841_658
; %bb.655:
	v_bfe_u32 v17, v8, 16, 7
	s_movk_i32 s7, 0x7f
	v_cmp_ne_u32_e32 vcc, s7, v17
	v_mov_b32_e32 v16, 0x7f80
	s_and_saveexec_b64 s[10:11], vcc
	s_cbranch_execz .LBB841_657
; %bb.656:
	v_and_b32_e32 v16, 7, v6
	v_ffbh_u32_e32 v18, v16
	v_min_u32_e32 v21, 32, v18
	v_subrev_u32_e32 v18, 28, v21
	v_lshlrev_b64 v[18:19], v18, v[6:7]
	v_lshrrev_b32_e32 v20, 3, v17
	v_sub_u32_e32 v6, 29, v21
	v_and_b32_e32 v18, 7, v18
	v_cmp_gt_u32_e32 vcc, 8, v17
	v_mov_b32_e32 v17, 24
	v_cndmask_b32_e32 v6, v20, v6, vcc
	v_cndmask_b32_e32 v16, v16, v18, vcc
	v_lshlrev_b32_sdwa v17, v17, v8 dst_sel:DWORD dst_unused:UNUSED_PAD src0_sel:DWORD src1_sel:WORD_1
	v_bfrev_b32_e32 v18, 60
	v_lshlrev_b32_e32 v16, 20, v16
	v_and_b32_e32 v17, 0x80000000, v17
	v_lshl_add_u32 v6, v6, 23, v18
	v_or3_b32 v6, v17, v6, v16
	v_lshrrev_b32_e32 v16, 16, v6
.LBB841_657:
	s_or_b64 exec, exec, s[10:11]
.LBB841_658:
	s_or_b64 exec, exec, s[8:9]
.LBB841_659:
	s_or_b64 exec, exec, s[2:3]
	s_mov_b32 s2, 0xffffff
	v_cmp_lt_u32_e32 vcc, s2, v8
	s_and_saveexec_b64 s[2:3], vcc
	s_cbranch_execz .LBB841_665
; %bb.660:
	v_lshrrev_b32_e32 v6, 24, v8
	s_movk_i32 s7, 0x80
	v_cmp_ne_u32_e32 vcc, s7, v6
	v_mov_b32_e32 v15, 0xffff8000
	s_and_saveexec_b64 s[8:9], vcc
	s_cbranch_execz .LBB841_664
; %bb.661:
	v_bfe_u32 v8, v8, 24, 7
	s_movk_i32 s7, 0x7f
	v_cmp_ne_u32_e32 vcc, s7, v8
	v_mov_b32_e32 v15, 0x7f80
	s_and_saveexec_b64 s[10:11], vcc
	s_cbranch_execz .LBB841_663
; %bb.662:
	v_and_b32_e32 v15, 7, v6
	v_ffbh_u32_e32 v18, v15
	v_min_u32_e32 v20, 32, v18
	v_subrev_u32_e32 v18, 28, v20
	v_lshlrev_b64 v[18:19], v18, v[6:7]
	v_lshrrev_b32_e32 v17, 3, v8
	v_sub_u32_e32 v19, 29, v20
	v_and_b32_e32 v18, 7, v18
	v_cmp_gt_u32_e32 vcc, 8, v8
	v_cndmask_b32_e32 v8, v17, v19, vcc
	v_cndmask_b32_e32 v15, v15, v18, vcc
	v_lshlrev_b32_e32 v6, 24, v6
	v_bfrev_b32_e32 v17, 60
	v_lshlrev_b32_e32 v15, 20, v15
	v_and_b32_e32 v6, 0x80000000, v6
	v_lshl_add_u32 v8, v8, 23, v17
	v_or3_b32 v6, v6, v8, v15
	v_lshrrev_b32_e32 v15, 16, v6
.LBB841_663:
	s_or_b64 exec, exec, s[10:11]
.LBB841_664:
	s_or_b64 exec, exec, s[8:9]
.LBB841_665:
	s_or_b64 exec, exec, s[2:3]
	v_mov_b32_e32 v8, 0
	v_cmp_ne_u16_sdwa s[8:9], v9, v8 src0_sel:BYTE_0 src1_sel:DWORD
	v_mov_b32_e32 v17, 0
	s_and_saveexec_b64 s[2:3], s[8:9]
	s_cbranch_execz .LBB841_671
; %bb.666:
	s_movk_i32 s7, 0x80
	v_cmp_ne_u16_sdwa s[10:11], v9, s7 src0_sel:BYTE_0 src1_sel:DWORD
	v_mov_b32_e32 v17, 0xffff8000
	s_and_saveexec_b64 s[8:9], s[10:11]
	s_cbranch_execz .LBB841_670
; %bb.667:
	s_movk_i32 s7, 0x7f
	v_and_b32_e32 v6, 0x7f, v9
	v_cmp_ne_u32_e32 vcc, s7, v6
	v_mov_b32_e32 v17, 0x7f80
	s_and_saveexec_b64 s[10:11], vcc
	s_cbranch_execz .LBB841_669
; %bb.668:
	v_and_b32_e32 v17, 7, v9
	v_ffbh_u32_e32 v19, v17
	v_min_u32_e32 v21, 32, v19
	v_mov_b32_e32 v18, v9
	v_subrev_u32_e32 v19, 28, v21
	v_lshlrev_b64 v[18:19], v19, v[18:19]
	v_lshrrev_b32_e32 v20, 3, v6
	v_sub_u32_e32 v19, 29, v21
	v_and_b32_e32 v18, 7, v18
	v_cmp_gt_u32_e32 vcc, 8, v6
	v_cndmask_b32_e32 v6, v20, v19, vcc
	v_cndmask_b32_e32 v17, v17, v18, vcc
	v_lshlrev_b32_e32 v18, 24, v9
	v_bfrev_b32_e32 v19, 60
	v_lshlrev_b32_e32 v17, 20, v17
	v_and_b32_e32 v18, 0x80000000, v18
	v_lshl_add_u32 v6, v6, 23, v19
	v_or3_b32 v6, v18, v6, v17
	v_lshrrev_b32_e32 v17, 16, v6
.LBB841_669:
	s_or_b64 exec, exec, s[10:11]
.LBB841_670:
	s_or_b64 exec, exec, s[8:9]
.LBB841_671:
	s_or_b64 exec, exec, s[2:3]
	v_lshrrev_b16_e32 v6, 8, v9
	v_cmp_ne_u16_e32 vcc, 0, v6
	s_and_saveexec_b64 s[2:3], vcc
	s_cbranch_execz .LBB841_677
; %bb.672:
	s_movk_i32 s7, 0x80
	v_cmp_ne_u16_e32 vcc, s7, v6
	v_mov_b32_e32 v8, 0xffff8000
	s_and_saveexec_b64 s[8:9], vcc
	s_cbranch_execz .LBB841_676
; %bb.673:
	s_movk_i32 s7, 0x7f
	v_and_b32_e32 v18, 0x7f, v6
	v_cmp_ne_u32_e32 vcc, s7, v18
	v_mov_b32_e32 v8, 0x7f80
	s_and_saveexec_b64 s[10:11], vcc
	s_cbranch_execz .LBB841_675
; %bb.674:
	v_and_b32_e32 v8, 7, v6
	v_ffbh_u32_e32 v20, v8
	v_min_u32_e32 v23, 32, v20
	v_subrev_u32_e32 v20, 28, v23
	v_lshlrev_b64 v[20:21], v20, v[6:7]
	v_lshrrev_b32_e32 v19, 3, v18
	v_sub_u32_e32 v6, 29, v23
	v_and_b32_e32 v20, 7, v20
	v_cmp_gt_u32_e32 vcc, 8, v18
	v_cndmask_b32_e32 v6, v19, v6, vcc
	v_cndmask_b32_e32 v8, v8, v20, vcc
	v_lshlrev_b32_e32 v18, 16, v9
	v_bfrev_b32_e32 v19, 60
	v_lshlrev_b32_e32 v8, 20, v8
	v_and_b32_e32 v18, 0x80000000, v18
	v_lshl_add_u32 v6, v6, 23, v19
	v_or3_b32 v6, v18, v6, v8
	v_lshrrev_b32_e32 v8, 16, v6
.LBB841_675:
	s_or_b64 exec, exec, s[10:11]
.LBB841_676:
	s_or_b64 exec, exec, s[8:9]
.LBB841_677:
	s_or_b64 exec, exec, s[2:3]
	s_movk_i32 s2, 0xff
	v_and_b32_sdwa v20, v9, s2 dst_sel:DWORD dst_unused:UNUSED_PAD src0_sel:WORD_1 src1_sel:DWORD
	v_lshrrev_b32_e32 v6, 16, v9
	v_cmp_ne_u16_e32 vcc, 0, v20
	v_mov_b32_e32 v18, 0
	v_mov_b32_e32 v19, 0
	s_and_saveexec_b64 s[2:3], vcc
	s_cbranch_execz .LBB841_683
; %bb.678:
	s_movk_i32 s7, 0x80
	v_cmp_ne_u16_e32 vcc, s7, v20
	v_mov_b32_e32 v19, 0xffff8000
	s_and_saveexec_b64 s[8:9], vcc
	s_cbranch_execz .LBB841_682
; %bb.679:
	v_bfe_u32 v20, v9, 16, 7
	s_movk_i32 s7, 0x7f
	v_cmp_ne_u32_e32 vcc, s7, v20
	v_mov_b32_e32 v19, 0x7f80
	s_and_saveexec_b64 s[10:11], vcc
	s_cbranch_execz .LBB841_681
; %bb.680:
	v_and_b32_e32 v19, 7, v6
	v_ffbh_u32_e32 v23, v19
	v_min_u32_e32 v23, 32, v23
	v_subrev_u32_e32 v24, 28, v23
	v_lshlrev_b64 v[24:25], v24, v[6:7]
	v_lshrrev_b32_e32 v21, 3, v20
	v_sub_u32_e32 v6, 29, v23
	v_and_b32_e32 v23, 7, v24
	v_cmp_gt_u32_e32 vcc, 8, v20
	v_mov_b32_e32 v20, 24
	v_cndmask_b32_e32 v6, v21, v6, vcc
	v_cndmask_b32_e32 v19, v19, v23, vcc
	v_lshlrev_b32_sdwa v20, v20, v9 dst_sel:DWORD dst_unused:UNUSED_PAD src0_sel:DWORD src1_sel:WORD_1
	v_bfrev_b32_e32 v21, 60
	v_lshlrev_b32_e32 v19, 20, v19
	v_and_b32_e32 v20, 0x80000000, v20
	v_lshl_add_u32 v6, v6, 23, v21
	v_or3_b32 v6, v20, v6, v19
	v_lshrrev_b32_e32 v19, 16, v6
.LBB841_681:
	s_or_b64 exec, exec, s[10:11]
.LBB841_682:
	s_or_b64 exec, exec, s[8:9]
.LBB841_683:
	s_or_b64 exec, exec, s[2:3]
	s_mov_b32 s2, 0xffffff
	v_cmp_lt_u32_e32 vcc, s2, v9
	s_and_saveexec_b64 s[2:3], vcc
	s_cbranch_execz .LBB841_689
; %bb.684:
	v_lshrrev_b32_e32 v6, 24, v9
	s_movk_i32 s7, 0x80
	v_cmp_ne_u32_e32 vcc, s7, v6
	v_mov_b32_e32 v18, 0xffff8000
	s_and_saveexec_b64 s[8:9], vcc
	s_cbranch_execz .LBB841_688
; %bb.685:
	v_bfe_u32 v9, v9, 24, 7
	s_movk_i32 s7, 0x7f
	v_cmp_ne_u32_e32 vcc, s7, v9
	v_mov_b32_e32 v18, 0x7f80
	s_and_saveexec_b64 s[10:11], vcc
	s_cbranch_execz .LBB841_687
; %bb.686:
	v_and_b32_e32 v18, 7, v6
	v_ffbh_u32_e32 v20, v18
	v_min_u32_e32 v24, 32, v20
	v_subrev_u32_e32 v20, 28, v24
	v_lshlrev_b64 v[20:21], v20, v[6:7]
	v_lshrrev_b32_e32 v23, 3, v9
	v_sub_u32_e32 v21, 29, v24
	v_and_b32_e32 v20, 7, v20
	v_cmp_gt_u32_e32 vcc, 8, v9
	v_cndmask_b32_e32 v9, v23, v21, vcc
	v_cndmask_b32_e32 v18, v18, v20, vcc
	v_lshlrev_b32_e32 v6, 24, v6
	v_bfrev_b32_e32 v20, 60
	v_lshlrev_b32_e32 v18, 20, v18
	v_and_b32_e32 v6, 0x80000000, v6
	v_lshl_add_u32 v9, v9, 23, v20
	v_or3_b32 v6, v6, v9, v18
	v_lshrrev_b32_e32 v18, 16, v6
.LBB841_687:
	s_or_b64 exec, exec, s[10:11]
.LBB841_688:
	s_or_b64 exec, exec, s[8:9]
.LBB841_689:
	s_or_b64 exec, exec, s[2:3]
	s_mov_b32 s2, 0x5040100
	v_perm_b32 v15, v15, v16, s2
	v_perm_b32 v14, v7, v14, s2
	ds_read_b128 v[28:31], v22 offset:4112
	v_perm_b32 v7, v18, v19, s2
	v_perm_b32 v6, v8, v17, s2
	s_waitcnt lgkmcnt(0)
	v_mfma_f32_16x16x16bf16_1k v[32:35], v[14:15], v[28:29], v[10:13]
	s_nop 6
	v_mov_b32_e32 v11, 0
	s_waitcnt vmcnt(0)
	v_cmp_ne_u16_sdwa s[8:9], v2, v11 src0_sel:BYTE_0 src1_sel:DWORD
	v_mfma_f32_16x16x16bf16_1k v[6:9], v[6:7], v[30:31], v[32:35]
	v_mov_b32_e32 v12, 0
	s_and_saveexec_b64 s[2:3], s[8:9]
	s_cbranch_execz .LBB841_695
; %bb.690:
	s_movk_i32 s7, 0x80
	v_cmp_ne_u16_sdwa s[10:11], v2, s7 src0_sel:BYTE_0 src1_sel:DWORD
	v_mov_b32_e32 v12, 0xffff8000
	s_and_saveexec_b64 s[8:9], s[10:11]
	s_cbranch_execz .LBB841_694
; %bb.691:
	s_movk_i32 s7, 0x7f
	v_and_b32_e32 v10, 0x7f, v2
	v_cmp_ne_u32_e32 vcc, s7, v10
	v_mov_b32_e32 v12, 0x7f80
	s_and_saveexec_b64 s[10:11], vcc
	s_cbranch_execz .LBB841_693
; %bb.692:
	v_and_b32_e32 v14, 7, v2
	v_ffbh_u32_e32 v12, v14
	v_min_u32_e32 v16, 32, v12
	v_subrev_u32_e32 v12, 28, v16
	v_lshlrev_b64 v[12:13], v12, v[2:3]
	v_lshrrev_b32_e32 v15, 3, v10
	v_sub_u32_e32 v13, 29, v16
	v_and_b32_e32 v12, 7, v12
	v_cmp_gt_u32_e32 vcc, 8, v10
	v_cndmask_b32_e32 v10, v15, v13, vcc
	v_cndmask_b32_e32 v12, v14, v12, vcc
	v_lshlrev_b32_e32 v13, 24, v2
	v_bfrev_b32_e32 v14, 60
	v_lshlrev_b32_e32 v12, 20, v12
	v_and_b32_e32 v13, 0x80000000, v13
	v_lshl_add_u32 v10, v10, 23, v14
	v_or3_b32 v10, v13, v10, v12
	v_lshrrev_b32_e32 v12, 16, v10
.LBB841_693:
	s_or_b64 exec, exec, s[10:11]
.LBB841_694:
	s_or_b64 exec, exec, s[8:9]
.LBB841_695:
	s_or_b64 exec, exec, s[2:3]
	v_lshrrev_b16_e32 v10, 8, v2
	v_cmp_ne_u16_e32 vcc, 0, v10
	s_and_saveexec_b64 s[2:3], vcc
	s_cbranch_execz .LBB841_701
; %bb.696:
	s_movk_i32 s7, 0x80
	v_cmp_ne_u16_e32 vcc, s7, v10
	v_mov_b32_e32 v11, 0xffff8000
	s_and_saveexec_b64 s[8:9], vcc
	s_cbranch_execz .LBB841_700
; %bb.697:
	s_movk_i32 s7, 0x7f
	v_and_b32_e32 v13, 0x7f, v10
	v_cmp_ne_u32_e32 vcc, s7, v13
	v_mov_b32_e32 v11, 0x7f80
	s_and_saveexec_b64 s[10:11], vcc
	s_cbranch_execz .LBB841_699
; %bb.698:
	v_and_b32_e32 v14, 7, v10
	v_ffbh_u32_e32 v11, v14
	v_min_u32_e32 v16, 32, v11
	v_subrev_u32_e32 v11, 28, v16
	v_lshlrev_b64 v[10:11], v11, v[10:11]
	v_lshrrev_b32_e32 v15, 3, v13
	v_sub_u32_e32 v11, 29, v16
	v_and_b32_e32 v10, 7, v10
	v_cmp_gt_u32_e32 vcc, 8, v13
	v_cndmask_b32_e32 v11, v15, v11, vcc
	v_cndmask_b32_e32 v10, v14, v10, vcc
	v_lshlrev_b32_e32 v13, 16, v2
	v_bfrev_b32_e32 v14, 60
	v_lshlrev_b32_e32 v10, 20, v10
	v_and_b32_e32 v13, 0x80000000, v13
	v_lshl_add_u32 v11, v11, 23, v14
	v_or3_b32 v10, v13, v11, v10
	v_lshrrev_b32_e32 v11, 16, v10
.LBB841_699:
	s_or_b64 exec, exec, s[10:11]
.LBB841_700:
	s_or_b64 exec, exec, s[8:9]
.LBB841_701:
	s_or_b64 exec, exec, s[2:3]
	s_movk_i32 s2, 0xff
	v_and_b32_sdwa v15, v2, s2 dst_sel:DWORD dst_unused:UNUSED_PAD src0_sel:WORD_1 src1_sel:DWORD
	v_lshrrev_b32_e32 v10, 16, v2
	v_cmp_ne_u16_e32 vcc, 0, v15
	v_mov_b32_e32 v13, 0
	v_mov_b32_e32 v14, 0
	s_and_saveexec_b64 s[2:3], vcc
	s_cbranch_execz .LBB841_707
; %bb.702:
	s_movk_i32 s7, 0x80
	v_cmp_ne_u16_e32 vcc, s7, v15
	v_mov_b32_e32 v14, 0xffff8000
	s_and_saveexec_b64 s[8:9], vcc
	s_cbranch_execz .LBB841_706
; %bb.703:
	v_bfe_u32 v15, v2, 16, 7
	s_movk_i32 s7, 0x7f
	v_cmp_ne_u32_e32 vcc, s7, v15
	v_mov_b32_e32 v14, 0x7f80
	s_and_saveexec_b64 s[10:11], vcc
	s_cbranch_execz .LBB841_705
; %bb.704:
	v_and_b32_e32 v14, 7, v10
	v_ffbh_u32_e32 v16, v14
	v_min_u32_e32 v19, 32, v16
	v_subrev_u32_e32 v16, 28, v19
	v_lshlrev_b64 v[16:17], v16, v[10:11]
	v_lshrrev_b32_e32 v18, 3, v15
	v_sub_u32_e32 v10, 29, v19
	v_and_b32_e32 v16, 7, v16
	v_cmp_gt_u32_e32 vcc, 8, v15
	v_mov_b32_e32 v15, 24
	v_cndmask_b32_e32 v10, v18, v10, vcc
	v_cndmask_b32_e32 v14, v14, v16, vcc
	v_lshlrev_b32_sdwa v15, v15, v2 dst_sel:DWORD dst_unused:UNUSED_PAD src0_sel:DWORD src1_sel:WORD_1
	v_bfrev_b32_e32 v16, 60
	v_lshlrev_b32_e32 v14, 20, v14
	v_and_b32_e32 v15, 0x80000000, v15
	v_lshl_add_u32 v10, v10, 23, v16
	v_or3_b32 v10, v15, v10, v14
	v_lshrrev_b32_e32 v14, 16, v10
.LBB841_705:
	s_or_b64 exec, exec, s[10:11]
.LBB841_706:
	s_or_b64 exec, exec, s[8:9]
.LBB841_707:
	s_or_b64 exec, exec, s[2:3]
	s_mov_b32 s2, 0xffffff
	v_cmp_lt_u32_e32 vcc, s2, v2
	s_and_saveexec_b64 s[2:3], vcc
	s_cbranch_execz .LBB841_713
; %bb.708:
	v_lshrrev_b32_e32 v10, 24, v2
	s_movk_i32 s7, 0x80
	v_cmp_ne_u32_e32 vcc, s7, v10
	v_mov_b32_e32 v13, 0xffff8000
	s_and_saveexec_b64 s[8:9], vcc
	s_cbranch_execz .LBB841_712
; %bb.709:
	v_bfe_u32 v2, v2, 24, 7
	s_movk_i32 s7, 0x7f
	v_cmp_ne_u32_e32 vcc, s7, v2
	v_mov_b32_e32 v13, 0x7f80
	s_and_saveexec_b64 s[10:11], vcc
	s_cbranch_execz .LBB841_711
; %bb.710:
	v_and_b32_e32 v13, 7, v10
	v_ffbh_u32_e32 v16, v13
	v_min_u32_e32 v18, 32, v16
	v_subrev_u32_e32 v16, 28, v18
	v_lshlrev_b64 v[16:17], v16, v[10:11]
	v_lshrrev_b32_e32 v15, 3, v2
	v_sub_u32_e32 v17, 29, v18
	v_and_b32_e32 v16, 7, v16
	v_cmp_gt_u32_e32 vcc, 8, v2
	v_cndmask_b32_e32 v2, v15, v17, vcc
	v_cndmask_b32_e32 v13, v13, v16, vcc
	v_lshlrev_b32_e32 v10, 24, v10
	v_bfrev_b32_e32 v15, 60
	v_lshlrev_b32_e32 v13, 20, v13
	v_and_b32_e32 v10, 0x80000000, v10
	v_lshl_add_u32 v2, v2, 23, v15
	v_or3_b32 v2, v10, v2, v13
	v_lshrrev_b32_e32 v13, 16, v2
.LBB841_711:
	s_or_b64 exec, exec, s[10:11]
.LBB841_712:
	s_or_b64 exec, exec, s[8:9]
.LBB841_713:
	s_or_b64 exec, exec, s[2:3]
	v_mov_b32_e32 v10, 0
	v_cmp_ne_u16_sdwa s[8:9], v3, v10 src0_sel:BYTE_0 src1_sel:DWORD
	v_mov_b32_e32 v15, 0
	s_and_saveexec_b64 s[2:3], s[8:9]
	s_cbranch_execz .LBB841_719
; %bb.714:
	s_movk_i32 s7, 0x80
	v_cmp_ne_u16_sdwa s[10:11], v3, s7 src0_sel:BYTE_0 src1_sel:DWORD
	v_mov_b32_e32 v15, 0xffff8000
	s_and_saveexec_b64 s[8:9], s[10:11]
	s_cbranch_execz .LBB841_718
; %bb.715:
	s_movk_i32 s7, 0x7f
	v_and_b32_e32 v2, 0x7f, v3
	v_cmp_ne_u32_e32 vcc, s7, v2
	v_mov_b32_e32 v15, 0x7f80
	s_and_saveexec_b64 s[10:11], vcc
	s_cbranch_execz .LBB841_717
; %bb.716:
	v_and_b32_e32 v15, 7, v3
	v_ffbh_u32_e32 v17, v15
	v_min_u32_e32 v19, 32, v17
	v_mov_b32_e32 v16, v3
	v_subrev_u32_e32 v17, 28, v19
	v_lshlrev_b64 v[16:17], v17, v[16:17]
	v_lshrrev_b32_e32 v18, 3, v2
	v_sub_u32_e32 v17, 29, v19
	v_and_b32_e32 v16, 7, v16
	v_cmp_gt_u32_e32 vcc, 8, v2
	v_cndmask_b32_e32 v2, v18, v17, vcc
	v_cndmask_b32_e32 v15, v15, v16, vcc
	v_lshlrev_b32_e32 v16, 24, v3
	v_bfrev_b32_e32 v17, 60
	v_lshlrev_b32_e32 v15, 20, v15
	v_and_b32_e32 v16, 0x80000000, v16
	v_lshl_add_u32 v2, v2, 23, v17
	v_or3_b32 v2, v16, v2, v15
	v_lshrrev_b32_e32 v15, 16, v2
.LBB841_717:
	s_or_b64 exec, exec, s[10:11]
.LBB841_718:
	s_or_b64 exec, exec, s[8:9]
.LBB841_719:
	s_or_b64 exec, exec, s[2:3]
	v_lshrrev_b16_e32 v2, 8, v3
	v_cmp_ne_u16_e32 vcc, 0, v2
	s_and_saveexec_b64 s[2:3], vcc
	s_cbranch_execz .LBB841_725
; %bb.720:
	s_movk_i32 s7, 0x80
	v_cmp_ne_u16_e32 vcc, s7, v2
	v_mov_b32_e32 v10, 0xffff8000
	s_and_saveexec_b64 s[8:9], vcc
	s_cbranch_execz .LBB841_724
; %bb.721:
	s_movk_i32 s7, 0x7f
	v_and_b32_e32 v16, 0x7f, v2
	v_cmp_ne_u32_e32 vcc, s7, v16
	v_mov_b32_e32 v10, 0x7f80
	s_and_saveexec_b64 s[10:11], vcc
	s_cbranch_execz .LBB841_723
; %bb.722:
	v_and_b32_e32 v10, 7, v2
	v_ffbh_u32_e32 v18, v10
	v_min_u32_e32 v20, 32, v18
	v_subrev_u32_e32 v18, 28, v20
	v_lshlrev_b64 v[18:19], v18, v[2:3]
	v_lshrrev_b32_e32 v17, 3, v16
	v_sub_u32_e32 v2, 29, v20
	v_and_b32_e32 v18, 7, v18
	v_cmp_gt_u32_e32 vcc, 8, v16
	v_cndmask_b32_e32 v2, v17, v2, vcc
	v_cndmask_b32_e32 v10, v10, v18, vcc
	v_lshlrev_b32_e32 v16, 16, v3
	v_bfrev_b32_e32 v17, 60
	v_lshlrev_b32_e32 v10, 20, v10
	v_and_b32_e32 v16, 0x80000000, v16
	v_lshl_add_u32 v2, v2, 23, v17
	v_or3_b32 v2, v16, v2, v10
	v_lshrrev_b32_e32 v10, 16, v2
.LBB841_723:
	s_or_b64 exec, exec, s[10:11]
.LBB841_724:
	s_or_b64 exec, exec, s[8:9]
.LBB841_725:
	s_or_b64 exec, exec, s[2:3]
	s_movk_i32 s2, 0xff
	v_and_b32_sdwa v18, v3, s2 dst_sel:DWORD dst_unused:UNUSED_PAD src0_sel:WORD_1 src1_sel:DWORD
	v_lshrrev_b32_e32 v2, 16, v3
	v_cmp_ne_u16_e32 vcc, 0, v18
	v_mov_b32_e32 v16, 0
	v_mov_b32_e32 v17, 0
	s_and_saveexec_b64 s[2:3], vcc
	s_cbranch_execz .LBB841_731
; %bb.726:
	s_movk_i32 s7, 0x80
	v_cmp_ne_u16_e32 vcc, s7, v18
	v_mov_b32_e32 v17, 0xffff8000
	s_and_saveexec_b64 s[8:9], vcc
	s_cbranch_execz .LBB841_730
; %bb.727:
	v_bfe_u32 v18, v3, 16, 7
	s_movk_i32 s7, 0x7f
	v_cmp_ne_u32_e32 vcc, s7, v18
	v_mov_b32_e32 v17, 0x7f80
	s_and_saveexec_b64 s[10:11], vcc
	s_cbranch_execz .LBB841_729
; %bb.728:
	v_and_b32_e32 v17, 7, v2
	v_ffbh_u32_e32 v20, v17
	v_min_u32_e32 v23, 32, v20
	v_subrev_u32_e32 v20, 28, v23
	v_lshlrev_b64 v[20:21], v20, v[2:3]
	v_lshrrev_b32_e32 v19, 3, v18
	v_sub_u32_e32 v2, 29, v23
	v_and_b32_e32 v20, 7, v20
	v_cmp_gt_u32_e32 vcc, 8, v18
	v_mov_b32_e32 v18, 24
	v_cndmask_b32_e32 v2, v19, v2, vcc
	v_cndmask_b32_e32 v17, v17, v20, vcc
	v_lshlrev_b32_sdwa v18, v18, v3 dst_sel:DWORD dst_unused:UNUSED_PAD src0_sel:DWORD src1_sel:WORD_1
	v_bfrev_b32_e32 v19, 60
	v_lshlrev_b32_e32 v17, 20, v17
	v_and_b32_e32 v18, 0x80000000, v18
	v_lshl_add_u32 v2, v2, 23, v19
	v_or3_b32 v2, v18, v2, v17
	v_lshrrev_b32_e32 v17, 16, v2
.LBB841_729:
	s_or_b64 exec, exec, s[10:11]
.LBB841_730:
	s_or_b64 exec, exec, s[8:9]
.LBB841_731:
	s_or_b64 exec, exec, s[2:3]
	s_mov_b32 s2, 0xffffff
	v_cmp_lt_u32_e32 vcc, s2, v3
	s_and_saveexec_b64 s[2:3], vcc
	s_cbranch_execz .LBB841_737
; %bb.732:
	v_lshrrev_b32_e32 v2, 24, v3
	s_movk_i32 s7, 0x80
	v_cmp_ne_u32_e32 vcc, s7, v2
	v_mov_b32_e32 v16, 0xffff8000
	s_and_saveexec_b64 s[8:9], vcc
	s_cbranch_execz .LBB841_736
; %bb.733:
	v_bfe_u32 v3, v3, 24, 7
	s_movk_i32 s7, 0x7f
	v_cmp_ne_u32_e32 vcc, s7, v3
	v_mov_b32_e32 v16, 0x7f80
	s_and_saveexec_b64 s[10:11], vcc
	s_cbranch_execz .LBB841_735
; %bb.734:
	v_and_b32_e32 v16, 7, v2
	v_ffbh_u32_e32 v18, v16
	v_min_u32_e32 v21, 32, v18
	v_subrev_u32_e32 v18, 28, v21
	v_lshlrev_b64 v[18:19], v18, v[2:3]
	v_lshrrev_b32_e32 v20, 3, v3
	v_sub_u32_e32 v19, 29, v21
	v_and_b32_e32 v18, 7, v18
	v_cmp_gt_u32_e32 vcc, 8, v3
	v_cndmask_b32_e32 v3, v20, v19, vcc
	v_cndmask_b32_e32 v16, v16, v18, vcc
	v_lshlrev_b32_e32 v2, 24, v2
	v_bfrev_b32_e32 v18, 60
	v_lshlrev_b32_e32 v16, 20, v16
	v_and_b32_e32 v2, 0x80000000, v2
	v_lshl_add_u32 v3, v3, 23, v18
	v_or3_b32 v2, v2, v3, v16
	v_lshrrev_b32_e32 v16, 16, v2
.LBB841_735:
	s_or_b64 exec, exec, s[10:11]
.LBB841_736:
	s_or_b64 exec, exec, s[8:9]
.LBB841_737:
	s_or_b64 exec, exec, s[2:3]
	s_mov_b32 s2, 0x5040100
	v_perm_b32 v3, v13, v14, s2
	v_perm_b32 v2, v11, v12, s2
	ds_read_b128 v[18:21], v22 offset:6144
	v_perm_b32 v13, v16, v17, s2
	v_perm_b32 v12, v10, v15, s2
	s_waitcnt lgkmcnt(0)
	v_mfma_f32_16x16x16bf16_1k v[6:9], v[2:3], v[18:19], v[6:9]
	v_mov_b32_e32 v3, 0
	v_cmp_ne_u16_sdwa s[8:9], v4, v3 src0_sel:BYTE_0 src1_sel:DWORD
	v_mov_b32_e32 v10, 0
	v_mfma_f32_16x16x16bf16_1k v[6:9], v[12:13], v[20:21], v[6:9]
	s_and_saveexec_b64 s[2:3], s[8:9]
	s_cbranch_execz .LBB841_743
; %bb.738:
	s_movk_i32 s7, 0x80
	v_cmp_ne_u16_sdwa s[10:11], v4, s7 src0_sel:BYTE_0 src1_sel:DWORD
	v_mov_b32_e32 v10, 0xffff8000
	s_and_saveexec_b64 s[8:9], s[10:11]
	s_cbranch_execz .LBB841_742
; %bb.739:
	s_movk_i32 s7, 0x7f
	v_and_b32_e32 v2, 0x7f, v4
	v_cmp_ne_u32_e32 vcc, s7, v2
	v_mov_b32_e32 v10, 0x7f80
	s_and_saveexec_b64 s[10:11], vcc
	s_cbranch_execz .LBB841_741
; %bb.740:
	v_and_b32_e32 v12, 7, v4
	v_ffbh_u32_e32 v10, v12
	v_min_u32_e32 v14, 32, v10
	v_subrev_u32_e32 v10, 28, v14
	v_lshlrev_b64 v[10:11], v10, v[4:5]
	v_lshrrev_b32_e32 v13, 3, v2
	v_sub_u32_e32 v11, 29, v14
	v_and_b32_e32 v10, 7, v10
	v_cmp_gt_u32_e32 vcc, 8, v2
	v_cndmask_b32_e32 v2, v13, v11, vcc
	v_cndmask_b32_e32 v10, v12, v10, vcc
	v_lshlrev_b32_e32 v11, 24, v4
	v_bfrev_b32_e32 v12, 60
	v_lshlrev_b32_e32 v10, 20, v10
	v_and_b32_e32 v11, 0x80000000, v11
	v_lshl_add_u32 v2, v2, 23, v12
	v_or3_b32 v2, v11, v2, v10
	v_lshrrev_b32_e32 v10, 16, v2
.LBB841_741:
	s_or_b64 exec, exec, s[10:11]
.LBB841_742:
	s_or_b64 exec, exec, s[8:9]
.LBB841_743:
	s_or_b64 exec, exec, s[2:3]
	v_lshrrev_b16_e32 v2, 8, v4
	v_cmp_ne_u16_e32 vcc, 0, v2
	s_and_saveexec_b64 s[2:3], vcc
	s_cbranch_execz .LBB841_749
; %bb.744:
	s_movk_i32 s7, 0x80
	v_cmp_ne_u16_e32 vcc, s7, v2
	v_mov_b32_e32 v3, 0xffff8000
	s_and_saveexec_b64 s[8:9], vcc
	s_cbranch_execz .LBB841_748
; %bb.745:
	s_movk_i32 s7, 0x7f
	v_and_b32_e32 v11, 0x7f, v2
	v_cmp_ne_u32_e32 vcc, s7, v11
	v_mov_b32_e32 v3, 0x7f80
	s_and_saveexec_b64 s[10:11], vcc
	s_cbranch_execz .LBB841_747
; %bb.746:
	v_and_b32_e32 v12, 7, v2
	v_ffbh_u32_e32 v3, v12
	v_min_u32_e32 v14, 32, v3
	v_subrev_u32_e32 v3, 28, v14
	v_lshlrev_b64 v[2:3], v3, v[2:3]
	v_lshrrev_b32_e32 v13, 3, v11
	v_sub_u32_e32 v3, 29, v14
	v_and_b32_e32 v2, 7, v2
	v_cmp_gt_u32_e32 vcc, 8, v11
	v_cndmask_b32_e32 v3, v13, v3, vcc
	v_cndmask_b32_e32 v2, v12, v2, vcc
	v_lshlrev_b32_e32 v11, 16, v4
	v_bfrev_b32_e32 v12, 60
	v_lshlrev_b32_e32 v2, 20, v2
	v_and_b32_e32 v11, 0x80000000, v11
	v_lshl_add_u32 v3, v3, 23, v12
	v_or3_b32 v2, v11, v3, v2
	v_lshrrev_b32_e32 v3, 16, v2
.LBB841_747:
	s_or_b64 exec, exec, s[10:11]
.LBB841_748:
	s_or_b64 exec, exec, s[8:9]
.LBB841_749:
	s_or_b64 exec, exec, s[2:3]
	s_movk_i32 s2, 0xff
	v_and_b32_sdwa v13, v4, s2 dst_sel:DWORD dst_unused:UNUSED_PAD src0_sel:WORD_1 src1_sel:DWORD
	v_lshrrev_b32_e32 v2, 16, v4
	v_cmp_ne_u16_e32 vcc, 0, v13
	v_mov_b32_e32 v11, 0
	v_mov_b32_e32 v12, 0
	s_and_saveexec_b64 s[2:3], vcc
	s_cbranch_execz .LBB841_755
; %bb.750:
	s_movk_i32 s7, 0x80
	v_cmp_ne_u16_e32 vcc, s7, v13
	v_mov_b32_e32 v12, 0xffff8000
	s_and_saveexec_b64 s[8:9], vcc
	s_cbranch_execz .LBB841_754
; %bb.751:
	v_bfe_u32 v13, v4, 16, 7
	s_movk_i32 s7, 0x7f
	v_cmp_ne_u32_e32 vcc, s7, v13
	v_mov_b32_e32 v12, 0x7f80
	s_and_saveexec_b64 s[10:11], vcc
	s_cbranch_execz .LBB841_753
; %bb.752:
	v_and_b32_e32 v12, 7, v2
	v_ffbh_u32_e32 v14, v12
	v_min_u32_e32 v17, 32, v14
	v_subrev_u32_e32 v14, 28, v17
	v_lshlrev_b64 v[14:15], v14, v[2:3]
	v_lshrrev_b32_e32 v16, 3, v13
	v_sub_u32_e32 v2, 29, v17
	v_and_b32_e32 v14, 7, v14
	v_cmp_gt_u32_e32 vcc, 8, v13
	v_mov_b32_e32 v13, 24
	v_cndmask_b32_e32 v2, v16, v2, vcc
	v_cndmask_b32_e32 v12, v12, v14, vcc
	v_lshlrev_b32_sdwa v13, v13, v4 dst_sel:DWORD dst_unused:UNUSED_PAD src0_sel:DWORD src1_sel:WORD_1
	v_bfrev_b32_e32 v14, 60
	v_lshlrev_b32_e32 v12, 20, v12
	v_and_b32_e32 v13, 0x80000000, v13
	v_lshl_add_u32 v2, v2, 23, v14
	v_or3_b32 v2, v13, v2, v12
	v_lshrrev_b32_e32 v12, 16, v2
.LBB841_753:
	s_or_b64 exec, exec, s[10:11]
.LBB841_754:
	s_or_b64 exec, exec, s[8:9]
.LBB841_755:
	s_or_b64 exec, exec, s[2:3]
	s_mov_b32 s2, 0xffffff
	v_cmp_lt_u32_e32 vcc, s2, v4
	s_and_saveexec_b64 s[2:3], vcc
	s_cbranch_execz .LBB841_761
; %bb.756:
	v_lshrrev_b32_e32 v2, 24, v4
	s_movk_i32 s7, 0x80
	v_cmp_ne_u32_e32 vcc, s7, v2
	v_mov_b32_e32 v11, 0xffff8000
	s_and_saveexec_b64 s[8:9], vcc
	s_cbranch_execz .LBB841_760
; %bb.757:
	v_bfe_u32 v4, v4, 24, 7
	s_movk_i32 s7, 0x7f
	v_cmp_ne_u32_e32 vcc, s7, v4
	v_mov_b32_e32 v11, 0x7f80
	s_and_saveexec_b64 s[10:11], vcc
	s_cbranch_execz .LBB841_759
; %bb.758:
	v_and_b32_e32 v11, 7, v2
	v_ffbh_u32_e32 v14, v11
	v_min_u32_e32 v16, 32, v14
	v_subrev_u32_e32 v14, 28, v16
	v_lshlrev_b64 v[14:15], v14, v[2:3]
	v_lshrrev_b32_e32 v13, 3, v4
	v_sub_u32_e32 v15, 29, v16
	v_and_b32_e32 v14, 7, v14
	v_cmp_gt_u32_e32 vcc, 8, v4
	v_cndmask_b32_e32 v4, v13, v15, vcc
	v_cndmask_b32_e32 v11, v11, v14, vcc
	v_lshlrev_b32_e32 v2, 24, v2
	v_bfrev_b32_e32 v13, 60
	v_lshlrev_b32_e32 v11, 20, v11
	v_and_b32_e32 v2, 0x80000000, v2
	v_lshl_add_u32 v4, v4, 23, v13
	v_or3_b32 v2, v2, v4, v11
	v_lshrrev_b32_e32 v11, 16, v2
.LBB841_759:
	s_or_b64 exec, exec, s[10:11]
.LBB841_760:
	s_or_b64 exec, exec, s[8:9]
.LBB841_761:
	s_or_b64 exec, exec, s[2:3]
	v_mov_b32_e32 v4, 0
	v_cmp_ne_u16_sdwa s[8:9], v5, v4 src0_sel:BYTE_0 src1_sel:DWORD
	v_mov_b32_e32 v13, 0
	s_and_saveexec_b64 s[2:3], s[8:9]
	s_cbranch_execz .LBB841_767
; %bb.762:
	s_movk_i32 s7, 0x80
	v_cmp_ne_u16_sdwa s[10:11], v5, s7 src0_sel:BYTE_0 src1_sel:DWORD
	v_mov_b32_e32 v13, 0xffff8000
	s_and_saveexec_b64 s[8:9], s[10:11]
	s_cbranch_execz .LBB841_766
; %bb.763:
	s_movk_i32 s7, 0x7f
	v_and_b32_e32 v2, 0x7f, v5
	v_cmp_ne_u32_e32 vcc, s7, v2
	v_mov_b32_e32 v13, 0x7f80
	s_and_saveexec_b64 s[10:11], vcc
	s_cbranch_execz .LBB841_765
; %bb.764:
	v_and_b32_e32 v13, 7, v5
	v_ffbh_u32_e32 v15, v13
	v_min_u32_e32 v17, 32, v15
	v_mov_b32_e32 v14, v5
	v_subrev_u32_e32 v15, 28, v17
	v_lshlrev_b64 v[14:15], v15, v[14:15]
	v_lshrrev_b32_e32 v16, 3, v2
	v_sub_u32_e32 v15, 29, v17
	v_and_b32_e32 v14, 7, v14
	v_cmp_gt_u32_e32 vcc, 8, v2
	v_cndmask_b32_e32 v2, v16, v15, vcc
	v_cndmask_b32_e32 v13, v13, v14, vcc
	v_lshlrev_b32_e32 v14, 24, v5
	v_bfrev_b32_e32 v15, 60
	v_lshlrev_b32_e32 v13, 20, v13
	v_and_b32_e32 v14, 0x80000000, v14
	v_lshl_add_u32 v2, v2, 23, v15
	v_or3_b32 v2, v14, v2, v13
	v_lshrrev_b32_e32 v13, 16, v2
.LBB841_765:
	s_or_b64 exec, exec, s[10:11]
.LBB841_766:
	s_or_b64 exec, exec, s[8:9]
.LBB841_767:
	s_or_b64 exec, exec, s[2:3]
	v_lshrrev_b16_e32 v2, 8, v5
	v_cmp_ne_u16_e32 vcc, 0, v2
	s_and_saveexec_b64 s[2:3], vcc
	s_cbranch_execz .LBB841_773
; %bb.768:
	s_movk_i32 s7, 0x80
	v_cmp_ne_u16_e32 vcc, s7, v2
	v_mov_b32_e32 v4, 0xffff8000
	s_and_saveexec_b64 s[8:9], vcc
	s_cbranch_execz .LBB841_772
; %bb.769:
	s_movk_i32 s7, 0x7f
	v_and_b32_e32 v14, 0x7f, v2
	v_cmp_ne_u32_e32 vcc, s7, v14
	v_mov_b32_e32 v4, 0x7f80
	s_and_saveexec_b64 s[10:11], vcc
	s_cbranch_execz .LBB841_771
; %bb.770:
	v_and_b32_e32 v4, 7, v2
	v_ffbh_u32_e32 v16, v4
	v_min_u32_e32 v18, 32, v16
	v_subrev_u32_e32 v16, 28, v18
	v_lshlrev_b64 v[16:17], v16, v[2:3]
	v_lshrrev_b32_e32 v15, 3, v14
	v_sub_u32_e32 v2, 29, v18
	v_and_b32_e32 v16, 7, v16
	v_cmp_gt_u32_e32 vcc, 8, v14
	v_cndmask_b32_e32 v2, v15, v2, vcc
	v_cndmask_b32_e32 v4, v4, v16, vcc
	v_lshlrev_b32_e32 v14, 16, v5
	v_bfrev_b32_e32 v15, 60
	v_lshlrev_b32_e32 v4, 20, v4
	v_and_b32_e32 v14, 0x80000000, v14
	v_lshl_add_u32 v2, v2, 23, v15
	v_or3_b32 v2, v14, v2, v4
	v_lshrrev_b32_e32 v4, 16, v2
.LBB841_771:
	s_or_b64 exec, exec, s[10:11]
.LBB841_772:
	s_or_b64 exec, exec, s[8:9]
.LBB841_773:
	s_or_b64 exec, exec, s[2:3]
	s_movk_i32 s2, 0xff
	v_and_b32_sdwa v16, v5, s2 dst_sel:DWORD dst_unused:UNUSED_PAD src0_sel:WORD_1 src1_sel:DWORD
	v_lshrrev_b32_e32 v2, 16, v5
	v_cmp_ne_u16_e32 vcc, 0, v16
	v_mov_b32_e32 v14, 0
	v_mov_b32_e32 v15, 0
	s_and_saveexec_b64 s[2:3], vcc
	s_cbranch_execz .LBB841_779
; %bb.774:
	s_movk_i32 s7, 0x80
	v_cmp_ne_u16_e32 vcc, s7, v16
	v_mov_b32_e32 v15, 0xffff8000
	s_and_saveexec_b64 s[8:9], vcc
	s_cbranch_execz .LBB841_778
; %bb.775:
	v_bfe_u32 v16, v5, 16, 7
	s_movk_i32 s7, 0x7f
	v_cmp_ne_u32_e32 vcc, s7, v16
	v_mov_b32_e32 v15, 0x7f80
	s_and_saveexec_b64 s[10:11], vcc
	s_cbranch_execz .LBB841_777
; %bb.776:
	v_and_b32_e32 v15, 7, v2
	v_ffbh_u32_e32 v18, v15
	v_min_u32_e32 v20, 32, v18
	v_subrev_u32_e32 v18, 28, v20
	v_lshlrev_b64 v[18:19], v18, v[2:3]
	v_lshrrev_b32_e32 v17, 3, v16
	v_sub_u32_e32 v2, 29, v20
	v_and_b32_e32 v18, 7, v18
	v_cmp_gt_u32_e32 vcc, 8, v16
	v_mov_b32_e32 v16, 24
	v_cndmask_b32_e32 v2, v17, v2, vcc
	v_cndmask_b32_e32 v15, v15, v18, vcc
	v_lshlrev_b32_sdwa v16, v16, v5 dst_sel:DWORD dst_unused:UNUSED_PAD src0_sel:DWORD src1_sel:WORD_1
	v_bfrev_b32_e32 v17, 60
	v_lshlrev_b32_e32 v15, 20, v15
	v_and_b32_e32 v16, 0x80000000, v16
	v_lshl_add_u32 v2, v2, 23, v17
	v_or3_b32 v2, v16, v2, v15
	v_lshrrev_b32_e32 v15, 16, v2
.LBB841_777:
	s_or_b64 exec, exec, s[10:11]
.LBB841_778:
	s_or_b64 exec, exec, s[8:9]
.LBB841_779:
	s_or_b64 exec, exec, s[2:3]
	s_mov_b32 s2, 0xffffff
	v_cmp_lt_u32_e32 vcc, s2, v5
	s_and_saveexec_b64 s[2:3], vcc
	s_cbranch_execz .LBB841_785
; %bb.780:
	v_lshrrev_b32_e32 v2, 24, v5
	s_movk_i32 s7, 0x80
	v_cmp_ne_u32_e32 vcc, s7, v2
	v_mov_b32_e32 v14, 0xffff8000
	s_and_saveexec_b64 s[8:9], vcc
	s_cbranch_execz .LBB841_784
; %bb.781:
	v_bfe_u32 v5, v5, 24, 7
	s_movk_i32 s7, 0x7f
	v_cmp_ne_u32_e32 vcc, s7, v5
	v_mov_b32_e32 v14, 0x7f80
	s_and_saveexec_b64 s[10:11], vcc
	s_cbranch_execz .LBB841_783
; %bb.782:
	v_and_b32_e32 v14, 7, v2
	v_ffbh_u32_e32 v16, v14
	v_min_u32_e32 v19, 32, v16
	v_subrev_u32_e32 v16, 28, v19
	v_lshlrev_b64 v[16:17], v16, v[2:3]
	v_lshrrev_b32_e32 v18, 3, v5
	v_sub_u32_e32 v17, 29, v19
	v_and_b32_e32 v16, 7, v16
	v_cmp_gt_u32_e32 vcc, 8, v5
	v_cndmask_b32_e32 v5, v18, v17, vcc
	v_cndmask_b32_e32 v14, v14, v16, vcc
	v_lshlrev_b32_e32 v2, 24, v2
	v_bfrev_b32_e32 v16, 60
	v_lshlrev_b32_e32 v14, 20, v14
	v_and_b32_e32 v2, 0x80000000, v2
	v_lshl_add_u32 v5, v5, 23, v16
	v_or3_b32 v2, v2, v5, v14
	v_lshrrev_b32_e32 v14, 16, v2
.LBB841_783:
	s_or_b64 exec, exec, s[10:11]
.LBB841_784:
	s_or_b64 exec, exec, s[8:9]
.LBB841_785:
	s_or_b64 exec, exec, s[2:3]
	s_mov_b32 s3, 0x5040100
	v_perm_b32 v11, v11, v12, s3
	ds_read_b128 v[16:19], v22 offset:6160
	v_perm_b32 v10, v3, v10, s3
	v_perm_b32 v3, v14, v15, s3
	;; [unrolled: 1-line block ×3, first 2 shown]
	s_waitcnt lgkmcnt(0)
	v_mfma_f32_16x16x16bf16_1k v[6:9], v[10:11], v[16:17], v[6:9]
	s_load_dword s2, s[42:43], 0x0
	s_mov_b32 s3, 0x7060302
	s_movk_i32 s7, 0x7fff
	v_cmp_gt_u32_e32 vcc, 64, v0
	s_and_b64 s[0:1], vcc, s[0:1]
	s_waitcnt lgkmcnt(0)
	s_barrier
	v_mfma_f32_16x16x16bf16_1k v[2:5], v[2:3], v[18:19], v[6:9]
	s_nop 7
	s_nop 2
	v_pk_mul_f32 v[4:5], v[4:5], s[2:3] op_sel_hi:[1,0]
	v_pk_mul_f32 v[2:3], v[2:3], s[2:3] op_sel_hi:[1,0]
	v_bfe_u32 v6, v3, 16, 1
	v_bfe_u32 v7, v2, 16, 1
	v_bfe_u32 v8, v5, 16, 1
	v_bfe_u32 v9, v4, 16, 1
	v_add3_u32 v2, v2, v7, s7
	v_add3_u32 v3, v3, v6, s7
	;; [unrolled: 1-line block ×4, first 2 shown]
	v_perm_b32 v2, v3, v2, s3
	v_perm_b32 v3, v5, v4, s3
	ds_write_b64 v26, v[2:3]
	s_waitcnt lgkmcnt(0)
	s_barrier
	s_and_saveexec_b64 s[2:3], s[0:1]
	s_cbranch_execz .LBB841_787
; %bb.786:
	s_load_dwordx2 s[0:1], s[4:5], 0x68
	s_lshl_b32 s4, s44, 6
	s_mul_i32 s2, s12, s6
	s_mul_hi_u32 s3, s2, s4
	s_mul_i32 s2, s2, s4
	s_lshl_b64 s[2:3], s[2:3], 1
	s_waitcnt lgkmcnt(0)
	s_add_u32 s2, s0, s2
	s_addc_u32 s3, s1, s3
	s_lshl_b32 s0, s24, 6
	s_mov_b32 s1, 0
	v_lshlrev_b32_e32 v0, 10, v0
	s_lshl_b64 s[0:1], s[0:1], 1
	v_and_b32_e32 v0, 0x1800, v0
	v_lshlrev_b32_e32 v2, 5, v1
	v_and_b32_e32 v3, 16, v47
	s_add_u32 s0, s2, s0
	v_or3_b32 v0, v0, v2, v3
	s_addc_u32 s1, s3, s1
	ds_read_b128 v[2:5], v0
	ds_read_b128 v[6:9], v0 offset:128
	ds_read_b128 v[10:13], v0 offset:256
	v_or_b32_e32 v14, s25, v1
	v_mov_b32_e32 v0, s1
	v_add_co_u32_e32 v15, vcc, s0, v46
	v_addc_co_u32_e32 v16, vcc, 0, v0, vcc
	v_mad_u64_u32 v[0:1], s[0:1], v14, s4, 0
	v_lshlrev_b64 v[0:1], 1, v[0:1]
	v_add_co_u32_e32 v0, vcc, v15, v0
	v_addc_co_u32_e32 v1, vcc, v16, v1, vcc
	s_waitcnt lgkmcnt(2)
	global_store_dwordx4 v[0:1], v[2:5], off
	v_add_u32_e32 v0, 4, v14
	v_mad_u64_u32 v[0:1], s[0:1], v0, s4, 0
	v_lshlrev_b64 v[0:1], 1, v[0:1]
	v_add_co_u32_e32 v0, vcc, v15, v0
	v_addc_co_u32_e32 v1, vcc, v16, v1, vcc
	s_waitcnt lgkmcnt(1)
	global_store_dwordx4 v[0:1], v[6:9], off
	v_add_u32_e32 v0, 8, v14
	v_mad_u64_u32 v[0:1], s[0:1], v0, s4, 0
	v_lshlrev_b64 v[0:1], 1, v[0:1]
	v_add_co_u32_e32 v0, vcc, v15, v0
	v_addc_co_u32_e32 v1, vcc, v16, v1, vcc
	s_waitcnt lgkmcnt(0)
	global_store_dwordx4 v[0:1], v[10:13], off
.LBB841_787:
	s_endpgm
	.section	.rodata,"a",@progbits
	.p2align	6, 0x0
	.amdhsa_kernel _Z39paged_attention_ll4mi_QKV_mfma16_kernelI14__hip_bfloat16hLN4vllm18Fp8KVCacheDataTypeE1ES0_Li16ELi64ELi256ELb1ELi12EL8MFMAType0EEvPKT_PKT0_S9_ifPKiSB_SB_iPKfiiiPfSE_PS4_PT2_iSD_SD_
		.amdhsa_group_segment_fixed_size 8192
		.amdhsa_private_segment_fixed_size 0
		.amdhsa_kernarg_size 400
		.amdhsa_user_sgpr_count 6
		.amdhsa_user_sgpr_private_segment_buffer 1
		.amdhsa_user_sgpr_dispatch_ptr 0
		.amdhsa_user_sgpr_queue_ptr 0
		.amdhsa_user_sgpr_kernarg_segment_ptr 1
		.amdhsa_user_sgpr_dispatch_id 0
		.amdhsa_user_sgpr_flat_scratch_init 0
		.amdhsa_user_sgpr_kernarg_preload_length 0
		.amdhsa_user_sgpr_kernarg_preload_offset 0
		.amdhsa_user_sgpr_private_segment_size 0
		.amdhsa_uses_dynamic_stack 0
		.amdhsa_system_sgpr_private_segment_wavefront_offset 0
		.amdhsa_system_sgpr_workgroup_id_x 1
		.amdhsa_system_sgpr_workgroup_id_y 1
		.amdhsa_system_sgpr_workgroup_id_z 1
		.amdhsa_system_sgpr_workgroup_info 0
		.amdhsa_system_vgpr_workitem_id 0
		.amdhsa_next_free_vgpr 62
		.amdhsa_next_free_sgpr 47
		.amdhsa_accum_offset 64
		.amdhsa_reserve_vcc 1
		.amdhsa_reserve_flat_scratch 0
		.amdhsa_float_round_mode_32 0
		.amdhsa_float_round_mode_16_64 0
		.amdhsa_float_denorm_mode_32 3
		.amdhsa_float_denorm_mode_16_64 3
		.amdhsa_dx10_clamp 1
		.amdhsa_ieee_mode 1
		.amdhsa_fp16_overflow 0
		.amdhsa_tg_split 0
		.amdhsa_exception_fp_ieee_invalid_op 0
		.amdhsa_exception_fp_denorm_src 0
		.amdhsa_exception_fp_ieee_div_zero 0
		.amdhsa_exception_fp_ieee_overflow 0
		.amdhsa_exception_fp_ieee_underflow 0
		.amdhsa_exception_fp_ieee_inexact 0
		.amdhsa_exception_int_div_zero 0
	.end_amdhsa_kernel
	.section	.text._Z39paged_attention_ll4mi_QKV_mfma16_kernelI14__hip_bfloat16hLN4vllm18Fp8KVCacheDataTypeE1ES0_Li16ELi64ELi256ELb1ELi12EL8MFMAType0EEvPKT_PKT0_S9_ifPKiSB_SB_iPKfiiiPfSE_PS4_PT2_iSD_SD_,"axG",@progbits,_Z39paged_attention_ll4mi_QKV_mfma16_kernelI14__hip_bfloat16hLN4vllm18Fp8KVCacheDataTypeE1ES0_Li16ELi64ELi256ELb1ELi12EL8MFMAType0EEvPKT_PKT0_S9_ifPKiSB_SB_iPKfiiiPfSE_PS4_PT2_iSD_SD_,comdat
.Lfunc_end841:
	.size	_Z39paged_attention_ll4mi_QKV_mfma16_kernelI14__hip_bfloat16hLN4vllm18Fp8KVCacheDataTypeE1ES0_Li16ELi64ELi256ELb1ELi12EL8MFMAType0EEvPKT_PKT0_S9_ifPKiSB_SB_iPKfiiiPfSE_PS4_PT2_iSD_SD_, .Lfunc_end841-_Z39paged_attention_ll4mi_QKV_mfma16_kernelI14__hip_bfloat16hLN4vllm18Fp8KVCacheDataTypeE1ES0_Li16ELi64ELi256ELb1ELi12EL8MFMAType0EEvPKT_PKT0_S9_ifPKiSB_SB_iPKfiiiPfSE_PS4_PT2_iSD_SD_
                                        ; -- End function
	.section	.AMDGPU.csdata,"",@progbits
; Kernel info:
; codeLenInByte = 28652
; NumSgprs: 51
; NumVgprs: 62
; NumAgprs: 0
; TotalNumVgprs: 62
; ScratchSize: 0
; MemoryBound: 0
; FloatMode: 240
; IeeeMode: 1
; LDSByteSize: 8192 bytes/workgroup (compile time only)
; SGPRBlocks: 6
; VGPRBlocks: 7
; NumSGPRsForWavesPerEU: 51
; NumVGPRsForWavesPerEU: 62
; AccumOffset: 64
; Occupancy: 8
; WaveLimiterHint : 1
; COMPUTE_PGM_RSRC2:SCRATCH_EN: 0
; COMPUTE_PGM_RSRC2:USER_SGPR: 6
; COMPUTE_PGM_RSRC2:TRAP_HANDLER: 0
; COMPUTE_PGM_RSRC2:TGID_X_EN: 1
; COMPUTE_PGM_RSRC2:TGID_Y_EN: 1
; COMPUTE_PGM_RSRC2:TGID_Z_EN: 1
; COMPUTE_PGM_RSRC2:TIDIG_COMP_CNT: 0
; COMPUTE_PGM_RSRC3_GFX90A:ACCUM_OFFSET: 15
; COMPUTE_PGM_RSRC3_GFX90A:TG_SPLIT: 0
	.section	.text._Z39paged_attention_ll4mi_QKV_mfma16_kernelI14__hip_bfloat16hLN4vllm18Fp8KVCacheDataTypeE1ES0_Li16ELi64ELi256ELb1ELi13EL8MFMAType0EEvPKT_PKT0_S9_ifPKiSB_SB_iPKfiiiPfSE_PS4_PT2_iSD_SD_,"axG",@progbits,_Z39paged_attention_ll4mi_QKV_mfma16_kernelI14__hip_bfloat16hLN4vllm18Fp8KVCacheDataTypeE1ES0_Li16ELi64ELi256ELb1ELi13EL8MFMAType0EEvPKT_PKT0_S9_ifPKiSB_SB_iPKfiiiPfSE_PS4_PT2_iSD_SD_,comdat
	.protected	_Z39paged_attention_ll4mi_QKV_mfma16_kernelI14__hip_bfloat16hLN4vllm18Fp8KVCacheDataTypeE1ES0_Li16ELi64ELi256ELb1ELi13EL8MFMAType0EEvPKT_PKT0_S9_ifPKiSB_SB_iPKfiiiPfSE_PS4_PT2_iSD_SD_ ; -- Begin function _Z39paged_attention_ll4mi_QKV_mfma16_kernelI14__hip_bfloat16hLN4vllm18Fp8KVCacheDataTypeE1ES0_Li16ELi64ELi256ELb1ELi13EL8MFMAType0EEvPKT_PKT0_S9_ifPKiSB_SB_iPKfiiiPfSE_PS4_PT2_iSD_SD_
	.globl	_Z39paged_attention_ll4mi_QKV_mfma16_kernelI14__hip_bfloat16hLN4vllm18Fp8KVCacheDataTypeE1ES0_Li16ELi64ELi256ELb1ELi13EL8MFMAType0EEvPKT_PKT0_S9_ifPKiSB_SB_iPKfiiiPfSE_PS4_PT2_iSD_SD_
	.p2align	8
	.type	_Z39paged_attention_ll4mi_QKV_mfma16_kernelI14__hip_bfloat16hLN4vllm18Fp8KVCacheDataTypeE1ES0_Li16ELi64ELi256ELb1ELi13EL8MFMAType0EEvPKT_PKT0_S9_ifPKiSB_SB_iPKfiiiPfSE_PS4_PT2_iSD_SD_,@function
_Z39paged_attention_ll4mi_QKV_mfma16_kernelI14__hip_bfloat16hLN4vllm18Fp8KVCacheDataTypeE1ES0_Li16ELi64ELi256ELb1ELi13EL8MFMAType0EEvPKT_PKT0_S9_ifPKiSB_SB_iPKfiiiPfSE_PS4_PT2_iSD_SD_: ; @_Z39paged_attention_ll4mi_QKV_mfma16_kernelI14__hip_bfloat16hLN4vllm18Fp8KVCacheDataTypeE1ES0_Li16ELi64ELi256ELb1ELi13EL8MFMAType0EEvPKT_PKT0_S9_ifPKiSB_SB_iPKfiiiPfSE_PS4_PT2_iSD_SD_
; %bb.0:
	s_load_dwordx2 s[0:1], s[4:5], 0x30
	s_mov_b32 s24, s7
	s_mov_b64 s[10:11], 0
	s_waitcnt lgkmcnt(0)
	s_cmp_lg_u64 s[0:1], 0
	s_cselect_b64 s[2:3], -1, 0
	s_and_b64 vcc, exec, s[2:3]
	s_cbranch_vccz .LBB842_7
; %bb.1:
	s_add_i32 s12, s6, 1
	s_mov_b32 s13, 0
	s_lshl_b64 s[14:15], s[12:13], 2
	s_add_u32 s14, s0, s14
	s_mov_b32 s7, s13
	s_addc_u32 s15, s1, s15
	s_lshl_b64 s[12:13], s[6:7], 2
	s_add_u32 s12, s0, s12
	s_addc_u32 s13, s1, s13
	s_load_dword s9, s[14:15], 0x0
	s_load_dword s16, s[12:13], 0x0
	s_waitcnt lgkmcnt(0)
	s_sub_i32 s9, s9, s16
	s_cmp_eq_u32 s9, 1
	s_cselect_b64 s[12:13], -1, 0
	s_andn2_b64 vcc, exec, s[10:11]
	s_cbranch_vccnz .LBB842_3
.LBB842_2:
	s_mov_b32 s7, 0
	s_mov_b64 s[12:13], -1
.LBB842_3:
	s_andn2_b64 vcc, exec, s[12:13]
	s_cbranch_vccnz .LBB842_788
; %bb.4:
	s_load_dwordx2 s[12:13], s[4:5], 0x28
	s_lshl_b64 s[10:11], s[6:7], 2
	s_waitcnt lgkmcnt(0)
	s_add_u32 s12, s12, s10
	s_addc_u32 s13, s13, s11
	s_load_dword s33, s[12:13], 0x0
	s_lshl_b32 s18, s24, 8
	s_waitcnt lgkmcnt(0)
	s_cmp_ge_i32 s18, s33
	s_cbranch_scc1 .LBB842_788
; %bb.5:
	s_add_i32 s14, s33, 15
	s_load_dwordx2 s[12:13], s[4:5], 0x20
	s_load_dword s9, s[4:5], 0x38
	s_ashr_i32 s15, s14, 31
	v_and_b32_e32 v1, 0xcf, v0
	s_lshr_b32 s15, s15, 28
	v_add_u32_e32 v1, s18, v1
	s_add_i32 s14, s14, s15
	v_ashrrev_i32_e32 v2, 31, v1
	s_ashr_i32 s21, s14, 4
	v_lshrrev_b32_e32 v4, 28, v2
	s_add_i32 s21, s21, -1
	v_add_u32_e32 v2, v1, v4
	s_waitcnt lgkmcnt(0)
	s_mul_i32 s14, s6, s9
	s_mov_b32 s15, 0
	v_ashrrev_i32_e32 v2, 4, v2
	v_mov_b32_e32 v5, s21
	v_cmp_gt_i32_e32 vcc, s33, v1
	s_lshl_b64 s[14:15], s[14:15], 2
	v_cndmask_b32_e32 v2, v5, v2, vcc
	s_add_u32 s19, s12, s14
	v_ashrrev_i32_e32 v3, 31, v2
	s_addc_u32 s20, s13, s15
	v_lshlrev_b64 v[2:3], 2, v[2:3]
	v_mov_b32_e32 v7, s20
	v_add_co_u32_e32 v6, vcc, s19, v2
	v_or_b32_e32 v2, 16, v1
	v_addc_co_u32_e32 v7, vcc, v7, v3, vcc
	v_add_u32_e32 v3, v2, v4
	v_ashrrev_i32_e32 v3, 4, v3
	v_cmp_gt_i32_e32 vcc, s33, v2
	v_cndmask_b32_e32 v2, v5, v3, vcc
	v_ashrrev_i32_e32 v3, 31, v2
	v_lshlrev_b64 v[2:3], 2, v[2:3]
	v_mov_b32_e32 v9, s20
	v_add_co_u32_e32 v8, vcc, s19, v2
	v_or_b32_e32 v2, 32, v1
	v_addc_co_u32_e32 v9, vcc, v9, v3, vcc
	v_add_u32_e32 v3, v2, v4
	v_ashrrev_i32_e32 v3, 4, v3
	v_cmp_gt_i32_e32 vcc, s33, v2
	v_cndmask_b32_e32 v2, v5, v3, vcc
	v_ashrrev_i32_e32 v3, 31, v2
	;; [unrolled: 10-line block ×3, first 2 shown]
	v_lshlrev_b64 v[2:3], 2, v[2:3]
	v_mov_b32_e32 v1, s20
	v_add_co_u32_e32 v12, vcc, s19, v2
	v_addc_co_u32_e32 v13, vcc, v1, v3, vcc
	global_load_dword v5, v[6:7], off
	global_load_dword v4, v[8:9], off
	;; [unrolled: 1-line block ×4, first 2 shown]
	s_load_dwordx2 s[16:17], s[4:5], 0x8
	s_andn2_b64 vcc, exec, s[2:3]
	s_cbranch_vccnz .LBB842_8
; %bb.6:
	s_add_u32 s0, s0, s10
	s_addc_u32 s1, s1, s11
	s_load_dword s9, s[0:1], 0x0
	s_branch .LBB842_9
.LBB842_7:
	s_mov_b64 s[12:13], 0
	s_branch .LBB842_2
.LBB842_8:
	s_mov_b32 s9, s6
.LBB842_9:
	s_load_dwordx2 s[2:3], s[4:5], 0x10
	s_load_dwordx4 s[12:15], s[4:5], 0x48
	v_lshrrev_b32_e32 v49, 6, v0
	v_bfe_u32 v1, v0, 4, 2
	v_lshl_or_b32 v6, v49, 2, v1
	v_and_b32_e32 v48, 15, v0
	v_lshlrev_b32_e32 v7, 3, v48
	v_cmp_gt_u32_e32 vcc, 13, v6
	v_cmp_gt_u32_e64 s[0:1], 8, v48
	s_mul_i32 s25, s8, 13
	s_and_b64 s[22:23], s[0:1], vcc
	v_lshlrev_b32_e32 v46, 1, v7
	v_lshlrev_b32_e32 v47, 4, v0
	s_and_saveexec_b64 s[10:11], s[22:23]
	s_cbranch_execz .LBB842_11
; %bb.10:
	s_load_dwordx2 s[22:23], s[4:5], 0x0
	s_waitcnt lgkmcnt(0)
	s_ashr_i32 s15, s12, 31
	s_mul_hi_u32 s26, s9, s12
	s_mul_i32 s15, s9, s15
	s_add_i32 s27, s26, s15
	s_mul_i32 s26, s9, s12
	s_lshl_b64 s[26:27], s[26:27], 1
	v_add_lshl_u32 v8, v6, s25, 6
	s_add_u32 s9, s22, s26
	v_ashrrev_i32_e32 v9, 31, v8
	s_addc_u32 s12, s23, s27
	v_lshlrev_b64 v[8:9], 1, v[8:9]
	v_mov_b32_e32 v7, s12
	v_add_co_u32_e32 v8, vcc, s9, v8
	v_addc_co_u32_e32 v7, vcc, v7, v9, vcc
	v_add_co_u32_e32 v8, vcc, v8, v46
	v_addc_co_u32_e32 v9, vcc, 0, v7, vcc
	global_load_dwordx4 v[8:11], v[8:9], off
	v_lshlrev_b32_e32 v12, 8, v48
	v_lshlrev_b32_e32 v6, 5, v6
	v_and_b32_e32 v7, 16, v47
	v_and_b32_e32 v12, 0xe00, v12
	v_or3_b32 v6, v12, v6, v7
	s_waitcnt vmcnt(0)
	ds_write_b128 v6, v[8:11]
.LBB842_11:
	s_or_b64 exec, exec, s[10:11]
	s_waitcnt lgkmcnt(0)
	s_mul_i32 s10, s8, s14
	s_add_u32 s8, s16, s10
	s_addc_u32 s9, s17, 0
	v_and_b32_e32 v7, 0xf0, v47
	v_and_b32_e32 v6, 48, v0
	v_mov_b32_e32 v8, s9
	v_add_co_u32_e32 v7, vcc, s8, v7
	v_addc_co_u32_e32 v9, vcc, 0, v8, vcc
	v_lshlrev_b32_e32 v8, 4, v6
	v_add_co_u32_e32 v8, vcc, v7, v8
	v_addc_co_u32_e32 v9, vcc, 0, v9, vcc
	s_waitcnt vmcnt(3)
	v_mad_i64_i32 v[10:11], s[8:9], v5, s13, v[8:9]
	s_waitcnt vmcnt(2)
	v_mad_i64_i32 v[4:5], s[8:9], v4, s13, v[8:9]
	s_barrier
	global_load_dwordx4 v[34:37], v[10:11], off
	global_load_dwordx4 v[38:41], v[4:5], off
	s_waitcnt vmcnt(3)
	v_mad_i64_i32 v[4:5], s[8:9], v2, s13, v[8:9]
	s_waitcnt vmcnt(2)
	v_mad_i64_i32 v[2:3], s[8:9], v3, s13, v[8:9]
	global_load_dwordx4 v[30:33], v[4:5], off
	global_load_dwordx4 v[22:25], v[2:3], off
	v_add_u32_e32 v2, -13, v48
	v_cmp_gt_u32_e32 vcc, 13, v48
	v_cndmask_b32_e32 v2, v2, v48, vcc
	v_lshlrev_b32_e32 v2, 5, v2
	v_lshl_add_u32 v2, v1, 9, v2
	ds_read_b128 v[26:29], v2
	ds_read_b128 v[18:21], v2 offset:16
	v_mov_b32_e32 v43, 0
	v_mov_b32_e32 v50, 0
	s_and_saveexec_b64 s[8:9], vcc
	s_cbranch_execz .LBB842_13
; %bb.12:
	s_load_dwordx2 s[14:15], s[4:5], 0x40
	v_add_u32_e32 v2, s25, v48
	v_ashrrev_i32_e32 v3, 31, v2
	v_lshlrev_b64 v[2:3], 2, v[2:3]
	s_waitcnt lgkmcnt(0)
	v_mov_b32_e32 v4, s15
	v_add_co_u32_e32 v2, vcc, s14, v2
	v_addc_co_u32_e32 v3, vcc, v4, v3, vcc
	global_load_dword v50, v[2:3], off
.LBB842_13:
	s_or_b64 exec, exec, s[8:9]
	v_or_b32_e32 v8, s18, v6
	v_ashrrev_i32_e32 v2, 4, v8
	v_mov_b32_e32 v9, s21
	v_cmp_gt_i32_e32 vcc, s33, v8
	v_cndmask_b32_e32 v2, v9, v2, vcc
	v_ashrrev_i32_e32 v3, 31, v2
	v_lshlrev_b64 v[2:3], 2, v[2:3]
	v_mov_b32_e32 v4, s20
	v_add_co_u32_e32 v2, vcc, s19, v2
	v_addc_co_u32_e32 v3, vcc, v4, v3, vcc
	v_or_b32_e32 v4, 64, v8
	v_ashrrev_i32_e32 v5, 4, v4
	v_cmp_gt_i32_e32 vcc, s33, v4
	v_cndmask_b32_e32 v4, v9, v5, vcc
	v_ashrrev_i32_e32 v5, 31, v4
	v_lshlrev_b64 v[4:5], 2, v[4:5]
	v_mov_b32_e32 v6, s20
	v_add_co_u32_e32 v4, vcc, s19, v4
	v_addc_co_u32_e32 v5, vcc, v6, v5, vcc
	v_or_b32_e32 v6, 0x80, v8
	v_ashrrev_i32_e32 v7, 4, v6
	v_cmp_gt_i32_e32 vcc, s33, v6
	v_cndmask_b32_e32 v6, v9, v7, vcc
	v_ashrrev_i32_e32 v7, 31, v6
	v_lshlrev_b64 v[6:7], 2, v[6:7]
	v_mov_b32_e32 v10, s20
	v_add_co_u32_e32 v6, vcc, s19, v6
	v_addc_co_u32_e32 v7, vcc, v10, v7, vcc
	global_load_dword v10, v[2:3], off
	global_load_dword v11, v[4:5], off
	;; [unrolled: 1-line block ×3, first 2 shown]
	v_or_b32_e32 v2, 0xc0, v8
	v_ashrrev_i32_e32 v3, 4, v2
	v_cmp_gt_i32_e32 vcc, s33, v2
	v_cndmask_b32_e32 v2, v9, v3, vcc
	v_ashrrev_i32_e32 v3, 31, v2
	v_lshlrev_b64 v[2:3], 2, v[2:3]
	v_mov_b32_e32 v4, s20
	v_add_co_u32_e32 v2, vcc, s19, v2
	v_addc_co_u32_e32 v3, vcc, v4, v3, vcc
	global_load_dword v13, v[2:3], off
	s_add_u32 s2, s2, s10
	v_lshlrev_b32_e32 v2, 4, v48
	s_addc_u32 s3, s3, 0
	v_lshl_or_b32 v2, v49, 8, v2
	v_mov_b32_e32 v3, s3
	v_add_co_u32_e32 v2, vcc, s2, v2
	v_addc_co_u32_e32 v3, vcc, 0, v3, vcc
	s_movk_i32 s8, 0x80
	s_waitcnt vmcnt(7)
	v_cmp_ne_u16_sdwa s[10:11], v34, v43 src0_sel:BYTE_0 src1_sel:DWORD
	s_waitcnt vmcnt(3)
	v_mad_i64_i32 v[4:5], s[2:3], v10, s13, v[2:3]
	s_waitcnt vmcnt(2)
	v_mad_i64_i32 v[6:7], s[2:3], v11, s13, v[2:3]
	;; [unrolled: 2-line block ×4, first 2 shown]
	global_load_dwordx4 v[14:17], v[4:5], off
	global_load_dwordx4 v[10:13], v[6:7], off
                                        ; kill: killed $vgpr6_vgpr7
                                        ; kill: killed $vgpr4_vgpr5
	s_nop 0
	global_load_dwordx4 v[6:9], v[8:9], off
	s_nop 0
	global_load_dwordx4 v[2:5], v[2:3], off
	s_load_dwordx4 s[40:43], s[4:5], 0x80
	s_load_dwordx2 s[44:45], s[4:5], 0x94
                                        ; kill: killed $sgpr40_sgpr41
	s_waitcnt lgkmcnt(0)
	s_load_dword s12, s[40:41], 0x0
	s_and_saveexec_b64 s[2:3], s[10:11]
	s_cbranch_execz .LBB842_19
; %bb.14:
	v_cmp_ne_u16_sdwa s[10:11], v34, s8 src0_sel:BYTE_0 src1_sel:DWORD
	v_mov_b32_e32 v43, 0xffff8000
	s_and_saveexec_b64 s[8:9], s[10:11]
	s_cbranch_execz .LBB842_18
; %bb.15:
	s_movk_i32 s10, 0x7f
	v_and_b32_e32 v42, 0x7f, v34
	v_cmp_ne_u32_e32 vcc, s10, v42
	v_mov_b32_e32 v43, 0x7f80
	s_and_saveexec_b64 s[10:11], vcc
	s_cbranch_execz .LBB842_17
; %bb.16:
	v_and_b32_e32 v43, 7, v34
	v_ffbh_u32_e32 v44, v43
	v_min_u32_e32 v52, 32, v44
	v_subrev_u32_e32 v44, 28, v52
	v_lshlrev_b64 v[44:45], v44, v[34:35]
	v_lshrrev_b32_e32 v51, 3, v42
	v_sub_u32_e32 v45, 29, v52
	v_and_b32_e32 v44, 7, v44
	v_cmp_gt_u32_e32 vcc, 8, v42
	v_cndmask_b32_e32 v42, v51, v45, vcc
	v_cndmask_b32_e32 v43, v43, v44, vcc
	v_lshlrev_b32_e32 v44, 24, v34
	v_bfrev_b32_e32 v45, 60
	v_lshlrev_b32_e32 v43, 20, v43
	v_and_b32_e32 v44, 0x80000000, v44
	v_lshl_add_u32 v42, v42, 23, v45
	v_or3_b32 v42, v44, v42, v43
	v_lshrrev_b32_e32 v43, 16, v42
.LBB842_17:
	s_or_b64 exec, exec, s[10:11]
.LBB842_18:
	s_or_b64 exec, exec, s[8:9]
.LBB842_19:
	s_or_b64 exec, exec, s[2:3]
	v_lshrrev_b16_e32 v42, 8, v34
	v_cmp_ne_u16_e32 vcc, 0, v42
	v_mov_b32_e32 v45, 0
	v_mov_b32_e32 v44, 0
	s_and_saveexec_b64 s[2:3], vcc
	s_cbranch_execz .LBB842_25
; %bb.20:
	s_movk_i32 s8, 0x80
	v_cmp_ne_u16_sdwa s[10:11], v34, s8 src0_sel:BYTE_1 src1_sel:DWORD
	v_mov_b32_e32 v44, 0xffff8000
	s_and_saveexec_b64 s[8:9], s[10:11]
	s_cbranch_execz .LBB842_24
; %bb.21:
	s_movk_i32 s10, 0x7f
	v_and_b32_e32 v51, 0x7f, v42
	v_cmp_ne_u32_e32 vcc, s10, v51
	v_mov_b32_e32 v44, 0x7f80
	s_and_saveexec_b64 s[10:11], vcc
	s_cbranch_execz .LBB842_23
; %bb.22:
	v_and_b32_e32 v44, 7, v42
	v_ffbh_u32_e32 v52, v44
	v_min_u32_e32 v55, 32, v52
	v_subrev_u32_e32 v52, 28, v55
	v_lshlrev_b64 v[52:53], v52, v[42:43]
	v_lshrrev_b32_e32 v54, 3, v51
	v_sub_u32_e32 v42, 29, v55
	v_and_b32_e32 v52, 7, v52
	v_cmp_gt_u32_e32 vcc, 8, v51
	v_cndmask_b32_e32 v42, v54, v42, vcc
	v_cndmask_b32_e32 v44, v44, v52, vcc
	v_lshlrev_b32_e32 v51, 16, v34
	v_bfrev_b32_e32 v52, 60
	v_lshlrev_b32_e32 v44, 20, v44
	v_and_b32_e32 v51, 0x80000000, v51
	v_lshl_add_u32 v42, v42, 23, v52
	v_or3_b32 v42, v51, v42, v44
	v_lshrrev_b32_e32 v44, 16, v42
.LBB842_23:
	s_or_b64 exec, exec, s[10:11]
.LBB842_24:
	s_or_b64 exec, exec, s[8:9]
.LBB842_25:
	s_or_b64 exec, exec, s[2:3]
	s_movk_i32 s2, 0xff
	v_and_b32_sdwa v51, v34, s2 dst_sel:DWORD dst_unused:UNUSED_PAD src0_sel:WORD_1 src1_sel:DWORD
	v_lshrrev_b32_e32 v42, 16, v34
	v_cmp_ne_u16_e32 vcc, 0, v51
	s_and_saveexec_b64 s[2:3], vcc
	s_cbranch_execz .LBB842_31
; %bb.26:
	s_movk_i32 s8, 0x80
	v_cmp_ne_u16_e32 vcc, s8, v51
	v_mov_b32_e32 v45, 0xffff8000
	s_and_saveexec_b64 s[8:9], vcc
	s_cbranch_execz .LBB842_30
; %bb.27:
	v_bfe_u32 v51, v34, 16, 7
	s_movk_i32 s10, 0x7f
	v_cmp_ne_u32_e32 vcc, s10, v51
	v_mov_b32_e32 v45, 0x7f80
	s_and_saveexec_b64 s[10:11], vcc
	s_cbranch_execz .LBB842_29
; %bb.28:
	v_and_b32_e32 v45, 7, v42
	v_ffbh_u32_e32 v52, v45
	v_min_u32_e32 v55, 32, v52
	v_subrev_u32_e32 v52, 28, v55
	v_lshlrev_b64 v[52:53], v52, v[42:43]
	v_lshrrev_b32_e32 v54, 3, v51
	v_sub_u32_e32 v42, 29, v55
	v_and_b32_e32 v52, 7, v52
	v_cmp_gt_u32_e32 vcc, 8, v51
	v_mov_b32_e32 v51, 24
	v_cndmask_b32_e32 v42, v54, v42, vcc
	v_cndmask_b32_e32 v45, v45, v52, vcc
	v_lshlrev_b32_sdwa v51, v51, v34 dst_sel:DWORD dst_unused:UNUSED_PAD src0_sel:DWORD src1_sel:WORD_1
	v_bfrev_b32_e32 v52, 60
	v_lshlrev_b32_e32 v45, 20, v45
	v_and_b32_e32 v51, 0x80000000, v51
	v_lshl_add_u32 v42, v42, 23, v52
	v_or3_b32 v42, v51, v42, v45
	v_lshrrev_b32_e32 v45, 16, v42
.LBB842_29:
	s_or_b64 exec, exec, s[10:11]
.LBB842_30:
	s_or_b64 exec, exec, s[8:9]
.LBB842_31:
	s_or_b64 exec, exec, s[2:3]
	s_mov_b32 s2, 0xffffff
	v_cmp_lt_u32_e32 vcc, s2, v34
	v_mov_b32_e32 v52, 0
	v_mov_b32_e32 v53, 0
	s_and_saveexec_b64 s[2:3], vcc
	s_cbranch_execz .LBB842_37
; %bb.32:
	v_lshrrev_b32_e32 v42, 24, v34
	s_movk_i32 s8, 0x80
	v_cmp_ne_u32_e32 vcc, s8, v42
	v_mov_b32_e32 v53, 0xffff8000
	s_and_saveexec_b64 s[8:9], vcc
	s_cbranch_execz .LBB842_36
; %bb.33:
	v_bfe_u32 v34, v34, 24, 7
	s_movk_i32 s10, 0x7f
	v_cmp_ne_u32_e32 vcc, s10, v34
	v_mov_b32_e32 v53, 0x7f80
	s_and_saveexec_b64 s[10:11], vcc
	s_cbranch_execz .LBB842_35
; %bb.34:
	v_and_b32_e32 v51, 7, v42
	v_ffbh_u32_e32 v54, v51
	v_min_u32_e32 v56, 32, v54
	v_subrev_u32_e32 v54, 28, v56
	v_lshlrev_b64 v[54:55], v54, v[42:43]
	v_lshrrev_b32_e32 v53, 3, v34
	v_sub_u32_e32 v55, 29, v56
	v_and_b32_e32 v54, 7, v54
	v_cmp_gt_u32_e32 vcc, 8, v34
	v_cndmask_b32_e32 v34, v53, v55, vcc
	v_cndmask_b32_e32 v51, v51, v54, vcc
	v_lshlrev_b32_e32 v42, 24, v42
	v_bfrev_b32_e32 v53, 60
	v_lshlrev_b32_e32 v51, 20, v51
	v_and_b32_e32 v42, 0x80000000, v42
	v_lshl_add_u32 v34, v34, 23, v53
	v_or3_b32 v34, v42, v34, v51
	v_lshrrev_b32_e32 v53, 16, v34
.LBB842_35:
	s_or_b64 exec, exec, s[10:11]
.LBB842_36:
	s_or_b64 exec, exec, s[8:9]
.LBB842_37:
	s_or_b64 exec, exec, s[2:3]
	v_cmp_ne_u16_sdwa s[8:9], v35, v52 src0_sel:BYTE_0 src1_sel:DWORD
	s_and_saveexec_b64 s[2:3], s[8:9]
	s_cbranch_execz .LBB842_43
; %bb.38:
	s_movk_i32 s8, 0x80
	v_cmp_ne_u16_sdwa s[10:11], v35, s8 src0_sel:BYTE_0 src1_sel:DWORD
	v_mov_b32_e32 v52, 0xffff8000
	s_and_saveexec_b64 s[8:9], s[10:11]
	s_cbranch_execz .LBB842_42
; %bb.39:
	s_movk_i32 s10, 0x7f
	v_and_b32_e32 v34, 0x7f, v35
	v_cmp_ne_u32_e32 vcc, s10, v34
	v_mov_b32_e32 v52, 0x7f80
	s_and_saveexec_b64 s[10:11], vcc
	s_cbranch_execz .LBB842_41
; %bb.40:
	v_and_b32_e32 v51, 7, v35
	v_ffbh_u32_e32 v54, v51
	v_min_u32_e32 v56, 32, v54
	v_mov_b32_e32 v42, v35
	v_subrev_u32_e32 v54, 28, v56
	v_lshlrev_b64 v[54:55], v54, v[42:43]
	v_lshrrev_b32_e32 v52, 3, v34
	v_sub_u32_e32 v42, 29, v56
	v_and_b32_e32 v54, 7, v54
	v_cmp_gt_u32_e32 vcc, 8, v34
	v_cndmask_b32_e32 v34, v52, v42, vcc
	v_cndmask_b32_e32 v42, v51, v54, vcc
	v_lshlrev_b32_e32 v51, 24, v35
	v_bfrev_b32_e32 v52, 60
	v_lshlrev_b32_e32 v42, 20, v42
	v_and_b32_e32 v51, 0x80000000, v51
	v_lshl_add_u32 v34, v34, 23, v52
	v_or3_b32 v34, v51, v34, v42
	v_lshrrev_b32_e32 v52, 16, v34
.LBB842_41:
	s_or_b64 exec, exec, s[10:11]
.LBB842_42:
	s_or_b64 exec, exec, s[8:9]
.LBB842_43:
	s_or_b64 exec, exec, s[2:3]
	v_lshrrev_b16_e32 v34, 8, v35
	v_cmp_ne_u16_e32 vcc, 0, v34
	v_mov_b32_e32 v54, 0
	v_mov_b32_e32 v42, 0
	s_and_saveexec_b64 s[2:3], vcc
	s_cbranch_execz .LBB842_49
; %bb.44:
	s_movk_i32 s8, 0x80
	v_cmp_ne_u16_e32 vcc, s8, v34
	v_mov_b32_e32 v42, 0xffff8000
	s_and_saveexec_b64 s[8:9], vcc
	s_cbranch_execz .LBB842_48
; %bb.45:
	s_movk_i32 s10, 0x7f
	v_and_b32_e32 v51, 0x7f, v34
	v_cmp_ne_u32_e32 vcc, s10, v51
	v_mov_b32_e32 v42, 0x7f80
	s_and_saveexec_b64 s[10:11], vcc
	s_cbranch_execz .LBB842_47
; %bb.46:
	v_and_b32_e32 v42, 7, v34
	v_ffbh_u32_e32 v56, v42
	v_min_u32_e32 v58, 32, v56
	v_subrev_u32_e32 v56, 28, v58
	v_lshlrev_b64 v[56:57], v56, v[34:35]
	v_lshrrev_b32_e32 v55, 3, v51
	v_sub_u32_e32 v34, 29, v58
	v_and_b32_e32 v56, 7, v56
	v_cmp_gt_u32_e32 vcc, 8, v51
	v_cndmask_b32_e32 v34, v55, v34, vcc
	v_cndmask_b32_e32 v42, v42, v56, vcc
	v_lshlrev_b32_e32 v51, 16, v35
	v_bfrev_b32_e32 v55, 60
	v_lshlrev_b32_e32 v42, 20, v42
	v_and_b32_e32 v51, 0x80000000, v51
	v_lshl_add_u32 v34, v34, 23, v55
	v_or3_b32 v34, v51, v34, v42
	v_lshrrev_b32_e32 v42, 16, v34
.LBB842_47:
	s_or_b64 exec, exec, s[10:11]
.LBB842_48:
	s_or_b64 exec, exec, s[8:9]
.LBB842_49:
	s_or_b64 exec, exec, s[2:3]
	s_movk_i32 s2, 0xff
	v_and_b32_sdwa v51, v35, s2 dst_sel:DWORD dst_unused:UNUSED_PAD src0_sel:WORD_1 src1_sel:DWORD
	v_lshrrev_b32_e32 v34, 16, v35
	v_cmp_ne_u16_e32 vcc, 0, v51
	s_and_saveexec_b64 s[2:3], vcc
	s_cbranch_execz .LBB842_55
; %bb.50:
	s_movk_i32 s8, 0x80
	v_cmp_ne_u16_e32 vcc, s8, v51
	v_mov_b32_e32 v54, 0xffff8000
	s_and_saveexec_b64 s[8:9], vcc
	s_cbranch_execz .LBB842_54
; %bb.51:
	v_bfe_u32 v51, v35, 16, 7
	s_movk_i32 s10, 0x7f
	v_cmp_ne_u32_e32 vcc, s10, v51
	v_mov_b32_e32 v54, 0x7f80
	s_and_saveexec_b64 s[10:11], vcc
	s_cbranch_execz .LBB842_53
; %bb.52:
	v_and_b32_e32 v56, 7, v34
	v_ffbh_u32_e32 v54, v56
	v_min_u32_e32 v58, 32, v54
	v_subrev_u32_e32 v54, 28, v58
	v_lshlrev_b64 v[54:55], v54, v[34:35]
	v_and_b32_e32 v54, 7, v54
	v_cmp_gt_u32_e32 vcc, 8, v51
	v_lshrrev_b32_e32 v57, 3, v51
	v_sub_u32_e32 v34, 29, v58
	v_cndmask_b32_e32 v51, v56, v54, vcc
	v_mov_b32_e32 v54, 24
	v_cndmask_b32_e32 v34, v57, v34, vcc
	v_lshlrev_b32_sdwa v54, v54, v35 dst_sel:DWORD dst_unused:UNUSED_PAD src0_sel:DWORD src1_sel:WORD_1
	v_bfrev_b32_e32 v55, 60
	v_lshlrev_b32_e32 v51, 20, v51
	v_and_b32_e32 v54, 0x80000000, v54
	v_lshl_add_u32 v34, v34, 23, v55
	v_or3_b32 v34, v54, v34, v51
	v_lshrrev_b32_e32 v54, 16, v34
.LBB842_53:
	s_or_b64 exec, exec, s[10:11]
.LBB842_54:
	s_or_b64 exec, exec, s[8:9]
.LBB842_55:
	s_or_b64 exec, exec, s[2:3]
	s_mov_b32 s2, 0xffffff
	v_cmp_lt_u32_e32 vcc, s2, v35
	v_mov_b32_e32 v51, 0
	v_mov_b32_e32 v55, 0
	s_and_saveexec_b64 s[2:3], vcc
	s_cbranch_execz .LBB842_61
; %bb.56:
	v_lshrrev_b32_e32 v34, 24, v35
	s_movk_i32 s8, 0x80
	v_cmp_ne_u32_e32 vcc, s8, v34
	v_mov_b32_e32 v55, 0xffff8000
	s_and_saveexec_b64 s[8:9], vcc
	s_cbranch_execz .LBB842_60
; %bb.57:
	v_bfe_u32 v35, v35, 24, 7
	s_movk_i32 s10, 0x7f
	v_cmp_ne_u32_e32 vcc, s10, v35
	v_mov_b32_e32 v55, 0x7f80
	s_and_saveexec_b64 s[10:11], vcc
	s_cbranch_execz .LBB842_59
; %bb.58:
	v_and_b32_e32 v55, 7, v34
	v_ffbh_u32_e32 v56, v55
	v_min_u32_e32 v59, 32, v56
	v_subrev_u32_e32 v56, 28, v59
	v_lshlrev_b64 v[56:57], v56, v[34:35]
	v_lshrrev_b32_e32 v58, 3, v35
	v_sub_u32_e32 v57, 29, v59
	v_and_b32_e32 v56, 7, v56
	v_cmp_gt_u32_e32 vcc, 8, v35
	v_cndmask_b32_e32 v35, v58, v57, vcc
	v_cndmask_b32_e32 v55, v55, v56, vcc
	v_lshlrev_b32_e32 v34, 24, v34
	v_bfrev_b32_e32 v56, 60
	v_lshlrev_b32_e32 v55, 20, v55
	v_and_b32_e32 v34, 0x80000000, v34
	v_lshl_add_u32 v35, v35, 23, v56
	v_or3_b32 v34, v34, v35, v55
	v_lshrrev_b32_e32 v55, 16, v34
.LBB842_59:
	s_or_b64 exec, exec, s[10:11]
.LBB842_60:
	s_or_b64 exec, exec, s[8:9]
.LBB842_61:
	s_or_b64 exec, exec, s[2:3]
	s_mov_b32 s2, 0x5040100
	v_perm_b32 v35, v53, v45, s2
	v_perm_b32 v34, v44, v43, s2
	v_cmp_ne_u16_sdwa s[8:9], v36, v51 src0_sel:BYTE_0 src1_sel:DWORD
	s_nop 0
	v_mfma_f32_16x16x16bf16_1k v[56:59], v[34:35], v[26:27], 0
	v_perm_b32 v35, v55, v54, s2
	v_perm_b32 v34, v42, v52, s2
	s_nop 1
	v_mfma_f32_16x16x16bf16_1k v[42:45], v[34:35], v[28:29], v[56:59]
	s_and_saveexec_b64 s[2:3], s[8:9]
	s_cbranch_execz .LBB842_67
; %bb.62:
	s_movk_i32 s8, 0x80
	v_cmp_ne_u16_sdwa s[10:11], v36, s8 src0_sel:BYTE_0 src1_sel:DWORD
	v_mov_b32_e32 v51, 0xffff8000
	s_and_saveexec_b64 s[8:9], s[10:11]
	s_cbranch_execz .LBB842_66
; %bb.63:
	s_movk_i32 s10, 0x7f
	v_and_b32_e32 v34, 0x7f, v36
	v_cmp_ne_u32_e32 vcc, s10, v34
	v_mov_b32_e32 v51, 0x7f80
	s_and_saveexec_b64 s[10:11], vcc
	s_cbranch_execz .LBB842_65
; %bb.64:
	v_and_b32_e32 v35, 7, v36
	v_ffbh_u32_e32 v52, v35
	v_min_u32_e32 v54, 32, v52
	v_subrev_u32_e32 v52, 28, v54
	v_lshlrev_b64 v[52:53], v52, v[36:37]
	v_lshrrev_b32_e32 v51, 3, v34
	v_sub_u32_e32 v53, 29, v54
	v_and_b32_e32 v52, 7, v52
	v_cmp_gt_u32_e32 vcc, 8, v34
	v_cndmask_b32_e32 v34, v51, v53, vcc
	v_cndmask_b32_e32 v35, v35, v52, vcc
	v_lshlrev_b32_e32 v51, 24, v36
	v_bfrev_b32_e32 v52, 60
	v_lshlrev_b32_e32 v35, 20, v35
	v_and_b32_e32 v51, 0x80000000, v51
	v_lshl_add_u32 v34, v34, 23, v52
	v_or3_b32 v34, v51, v34, v35
	v_lshrrev_b32_e32 v51, 16, v34
.LBB842_65:
	s_or_b64 exec, exec, s[10:11]
.LBB842_66:
	s_or_b64 exec, exec, s[8:9]
.LBB842_67:
	s_or_b64 exec, exec, s[2:3]
	v_lshrrev_b16_e32 v34, 8, v36
	v_cmp_ne_u16_e32 vcc, 0, v34
	v_mov_b32_e32 v53, 0
	v_mov_b32_e32 v35, 0
	s_and_saveexec_b64 s[2:3], vcc
	s_cbranch_execz .LBB842_73
; %bb.68:
	s_movk_i32 s8, 0x80
	v_cmp_ne_u16_e32 vcc, s8, v34
	v_mov_b32_e32 v35, 0xffff8000
	s_and_saveexec_b64 s[8:9], vcc
	s_cbranch_execz .LBB842_72
; %bb.69:
	s_movk_i32 s10, 0x7f
	v_and_b32_e32 v52, 0x7f, v34
	v_cmp_ne_u32_e32 vcc, s10, v52
	v_mov_b32_e32 v35, 0x7f80
	s_and_saveexec_b64 s[10:11], vcc
	s_cbranch_execz .LBB842_71
; %bb.70:
	v_and_b32_e32 v54, 7, v34
	v_ffbh_u32_e32 v35, v54
	v_min_u32_e32 v56, 32, v35
	v_subrev_u32_e32 v35, 28, v56
	v_lshlrev_b64 v[34:35], v35, v[34:35]
	v_lshrrev_b32_e32 v55, 3, v52
	v_sub_u32_e32 v35, 29, v56
	v_and_b32_e32 v34, 7, v34
	v_cmp_gt_u32_e32 vcc, 8, v52
	v_cndmask_b32_e32 v35, v55, v35, vcc
	v_cndmask_b32_e32 v34, v54, v34, vcc
	v_lshlrev_b32_e32 v52, 16, v36
	v_bfrev_b32_e32 v54, 60
	v_lshlrev_b32_e32 v34, 20, v34
	v_and_b32_e32 v52, 0x80000000, v52
	v_lshl_add_u32 v35, v35, 23, v54
	v_or3_b32 v34, v52, v35, v34
	v_lshrrev_b32_e32 v35, 16, v34
.LBB842_71:
	s_or_b64 exec, exec, s[10:11]
.LBB842_72:
	s_or_b64 exec, exec, s[8:9]
.LBB842_73:
	s_or_b64 exec, exec, s[2:3]
	s_movk_i32 s2, 0xff
	v_and_b32_sdwa v52, v36, s2 dst_sel:DWORD dst_unused:UNUSED_PAD src0_sel:WORD_1 src1_sel:DWORD
	v_lshrrev_b32_e32 v34, 16, v36
	v_cmp_ne_u16_e32 vcc, 0, v52
	s_and_saveexec_b64 s[2:3], vcc
	s_cbranch_execz .LBB842_79
; %bb.74:
	s_movk_i32 s8, 0x80
	v_cmp_ne_u16_e32 vcc, s8, v52
	v_mov_b32_e32 v53, 0xffff8000
	s_and_saveexec_b64 s[8:9], vcc
	s_cbranch_execz .LBB842_78
; %bb.75:
	v_bfe_u32 v52, v36, 16, 7
	s_movk_i32 s10, 0x7f
	v_cmp_ne_u32_e32 vcc, s10, v52
	v_mov_b32_e32 v53, 0x7f80
	s_and_saveexec_b64 s[10:11], vcc
	s_cbranch_execz .LBB842_77
; %bb.76:
	v_and_b32_e32 v53, 7, v34
	v_ffbh_u32_e32 v54, v53
	v_min_u32_e32 v57, 32, v54
	v_subrev_u32_e32 v54, 28, v57
	v_lshlrev_b64 v[54:55], v54, v[34:35]
	v_and_b32_e32 v54, 7, v54
	v_cmp_gt_u32_e32 vcc, 8, v52
	v_lshrrev_b32_e32 v56, 3, v52
	v_sub_u32_e32 v34, 29, v57
	v_cndmask_b32_e32 v52, v53, v54, vcc
	v_mov_b32_e32 v53, 24
	v_cndmask_b32_e32 v34, v56, v34, vcc
	v_lshlrev_b32_sdwa v53, v53, v36 dst_sel:DWORD dst_unused:UNUSED_PAD src0_sel:DWORD src1_sel:WORD_1
	v_bfrev_b32_e32 v54, 60
	v_lshlrev_b32_e32 v52, 20, v52
	v_and_b32_e32 v53, 0x80000000, v53
	v_lshl_add_u32 v34, v34, 23, v54
	v_or3_b32 v34, v53, v34, v52
	v_lshrrev_b32_e32 v53, 16, v34
.LBB842_77:
	s_or_b64 exec, exec, s[10:11]
.LBB842_78:
	s_or_b64 exec, exec, s[8:9]
.LBB842_79:
	s_or_b64 exec, exec, s[2:3]
	s_mov_b32 s2, 0xffffff
	v_cmp_lt_u32_e32 vcc, s2, v36
	v_mov_b32_e32 v54, 0
	v_mov_b32_e32 v55, 0
	s_and_saveexec_b64 s[2:3], vcc
	s_cbranch_execz .LBB842_85
; %bb.80:
	v_lshrrev_b32_e32 v34, 24, v36
	s_movk_i32 s8, 0x80
	v_cmp_ne_u32_e32 vcc, s8, v34
	v_mov_b32_e32 v55, 0xffff8000
	s_and_saveexec_b64 s[8:9], vcc
	s_cbranch_execz .LBB842_84
; %bb.81:
	v_bfe_u32 v36, v36, 24, 7
	s_movk_i32 s10, 0x7f
	v_cmp_ne_u32_e32 vcc, s10, v36
	v_mov_b32_e32 v55, 0x7f80
	s_and_saveexec_b64 s[10:11], vcc
	s_cbranch_execz .LBB842_83
; %bb.82:
	v_and_b32_e32 v52, 7, v34
	v_ffbh_u32_e32 v56, v52
	v_min_u32_e32 v58, 32, v56
	v_subrev_u32_e32 v56, 28, v58
	v_lshlrev_b64 v[56:57], v56, v[34:35]
	v_lshrrev_b32_e32 v55, 3, v36
	v_sub_u32_e32 v57, 29, v58
	v_and_b32_e32 v56, 7, v56
	v_cmp_gt_u32_e32 vcc, 8, v36
	v_cndmask_b32_e32 v36, v55, v57, vcc
	v_cndmask_b32_e32 v52, v52, v56, vcc
	v_lshlrev_b32_e32 v34, 24, v34
	v_bfrev_b32_e32 v55, 60
	v_lshlrev_b32_e32 v52, 20, v52
	v_and_b32_e32 v34, 0x80000000, v34
	v_lshl_add_u32 v36, v36, 23, v55
	v_or3_b32 v34, v34, v36, v52
	v_lshrrev_b32_e32 v55, 16, v34
.LBB842_83:
	s_or_b64 exec, exec, s[10:11]
.LBB842_84:
	s_or_b64 exec, exec, s[8:9]
.LBB842_85:
	s_or_b64 exec, exec, s[2:3]
	v_cmp_ne_u16_sdwa s[8:9], v37, v54 src0_sel:BYTE_0 src1_sel:DWORD
	s_and_saveexec_b64 s[2:3], s[8:9]
	s_cbranch_execz .LBB842_91
; %bb.86:
	s_movk_i32 s8, 0x80
	v_cmp_ne_u16_sdwa s[10:11], v37, s8 src0_sel:BYTE_0 src1_sel:DWORD
	v_mov_b32_e32 v54, 0xffff8000
	s_and_saveexec_b64 s[8:9], s[10:11]
	s_cbranch_execz .LBB842_90
; %bb.87:
	s_movk_i32 s10, 0x7f
	v_and_b32_e32 v34, 0x7f, v37
	v_cmp_ne_u32_e32 vcc, s10, v34
	v_mov_b32_e32 v54, 0x7f80
	s_and_saveexec_b64 s[10:11], vcc
	s_cbranch_execz .LBB842_89
; %bb.88:
	v_and_b32_e32 v52, 7, v37
	v_ffbh_u32_e32 v56, v52
	v_min_u32_e32 v58, 32, v56
	v_mov_b32_e32 v36, v37
	v_subrev_u32_e32 v56, 28, v58
	v_lshlrev_b64 v[56:57], v56, v[36:37]
	v_lshrrev_b32_e32 v54, 3, v34
	v_sub_u32_e32 v36, 29, v58
	v_and_b32_e32 v56, 7, v56
	v_cmp_gt_u32_e32 vcc, 8, v34
	v_cndmask_b32_e32 v34, v54, v36, vcc
	v_cndmask_b32_e32 v36, v52, v56, vcc
	v_lshlrev_b32_e32 v52, 24, v37
	v_bfrev_b32_e32 v54, 60
	v_lshlrev_b32_e32 v36, 20, v36
	v_and_b32_e32 v52, 0x80000000, v52
	v_lshl_add_u32 v34, v34, 23, v54
	v_or3_b32 v34, v52, v34, v36
	v_lshrrev_b32_e32 v54, 16, v34
.LBB842_89:
	s_or_b64 exec, exec, s[10:11]
.LBB842_90:
	s_or_b64 exec, exec, s[8:9]
.LBB842_91:
	s_or_b64 exec, exec, s[2:3]
	v_lshrrev_b16_e32 v34, 8, v37
	v_cmp_ne_u16_e32 vcc, 0, v34
	v_mov_b32_e32 v56, 0
	v_mov_b32_e32 v36, 0
	s_and_saveexec_b64 s[2:3], vcc
	s_cbranch_execz .LBB842_97
; %bb.92:
	s_movk_i32 s8, 0x80
	v_cmp_ne_u16_e32 vcc, s8, v34
	v_mov_b32_e32 v36, 0xffff8000
	s_and_saveexec_b64 s[8:9], vcc
	s_cbranch_execz .LBB842_96
; %bb.93:
	s_movk_i32 s10, 0x7f
	v_and_b32_e32 v52, 0x7f, v34
	v_cmp_ne_u32_e32 vcc, s10, v52
	v_mov_b32_e32 v36, 0x7f80
	s_and_saveexec_b64 s[10:11], vcc
	s_cbranch_execz .LBB842_95
; %bb.94:
	v_and_b32_e32 v36, 7, v34
	v_ffbh_u32_e32 v58, v36
	v_min_u32_e32 v60, 32, v58
	v_subrev_u32_e32 v58, 28, v60
	v_lshlrev_b64 v[58:59], v58, v[34:35]
	v_lshrrev_b32_e32 v57, 3, v52
	v_sub_u32_e32 v34, 29, v60
	v_and_b32_e32 v58, 7, v58
	v_cmp_gt_u32_e32 vcc, 8, v52
	v_cndmask_b32_e32 v34, v57, v34, vcc
	v_cndmask_b32_e32 v36, v36, v58, vcc
	v_lshlrev_b32_e32 v52, 16, v37
	v_bfrev_b32_e32 v57, 60
	v_lshlrev_b32_e32 v36, 20, v36
	v_and_b32_e32 v52, 0x80000000, v52
	v_lshl_add_u32 v34, v34, 23, v57
	v_or3_b32 v34, v52, v34, v36
	v_lshrrev_b32_e32 v36, 16, v34
.LBB842_95:
	s_or_b64 exec, exec, s[10:11]
.LBB842_96:
	s_or_b64 exec, exec, s[8:9]
.LBB842_97:
	s_or_b64 exec, exec, s[2:3]
	s_movk_i32 s2, 0xff
	v_and_b32_sdwa v52, v37, s2 dst_sel:DWORD dst_unused:UNUSED_PAD src0_sel:WORD_1 src1_sel:DWORD
	v_lshrrev_b32_e32 v34, 16, v37
	v_cmp_ne_u16_e32 vcc, 0, v52
	s_and_saveexec_b64 s[2:3], vcc
	s_cbranch_execz .LBB842_103
; %bb.98:
	s_movk_i32 s8, 0x80
	v_cmp_ne_u16_e32 vcc, s8, v52
	v_mov_b32_e32 v56, 0xffff8000
	s_and_saveexec_b64 s[8:9], vcc
	s_cbranch_execz .LBB842_102
; %bb.99:
	v_bfe_u32 v52, v37, 16, 7
	s_movk_i32 s10, 0x7f
	v_cmp_ne_u32_e32 vcc, s10, v52
	v_mov_b32_e32 v56, 0x7f80
	s_and_saveexec_b64 s[10:11], vcc
	s_cbranch_execz .LBB842_101
; %bb.100:
	v_and_b32_e32 v58, 7, v34
	v_ffbh_u32_e32 v56, v58
	v_min_u32_e32 v60, 32, v56
	v_subrev_u32_e32 v56, 28, v60
	v_lshlrev_b64 v[56:57], v56, v[34:35]
	v_and_b32_e32 v56, 7, v56
	v_cmp_gt_u32_e32 vcc, 8, v52
	v_lshrrev_b32_e32 v59, 3, v52
	v_sub_u32_e32 v34, 29, v60
	v_cndmask_b32_e32 v52, v58, v56, vcc
	v_mov_b32_e32 v56, 24
	v_cndmask_b32_e32 v34, v59, v34, vcc
	v_lshlrev_b32_sdwa v56, v56, v37 dst_sel:DWORD dst_unused:UNUSED_PAD src0_sel:DWORD src1_sel:WORD_1
	v_bfrev_b32_e32 v57, 60
	v_lshlrev_b32_e32 v52, 20, v52
	v_and_b32_e32 v56, 0x80000000, v56
	v_lshl_add_u32 v34, v34, 23, v57
	v_or3_b32 v34, v56, v34, v52
	v_lshrrev_b32_e32 v56, 16, v34
.LBB842_101:
	s_or_b64 exec, exec, s[10:11]
.LBB842_102:
	s_or_b64 exec, exec, s[8:9]
.LBB842_103:
	s_or_b64 exec, exec, s[2:3]
	s_mov_b32 s2, 0xffffff
	v_cmp_lt_u32_e32 vcc, s2, v37
	v_mov_b32_e32 v52, 0
	v_mov_b32_e32 v57, 0
	s_and_saveexec_b64 s[2:3], vcc
	s_cbranch_execz .LBB842_109
; %bb.104:
	v_lshrrev_b32_e32 v34, 24, v37
	s_movk_i32 s8, 0x80
	v_cmp_ne_u32_e32 vcc, s8, v34
	v_mov_b32_e32 v57, 0xffff8000
	s_and_saveexec_b64 s[8:9], vcc
	s_cbranch_execz .LBB842_108
; %bb.105:
	v_bfe_u32 v37, v37, 24, 7
	s_movk_i32 s10, 0x7f
	v_cmp_ne_u32_e32 vcc, s10, v37
	v_mov_b32_e32 v57, 0x7f80
	s_and_saveexec_b64 s[10:11], vcc
	s_cbranch_execz .LBB842_107
; %bb.106:
	v_and_b32_e32 v57, 7, v34
	v_ffbh_u32_e32 v58, v57
	v_min_u32_e32 v61, 32, v58
	v_subrev_u32_e32 v58, 28, v61
	v_lshlrev_b64 v[58:59], v58, v[34:35]
	v_lshrrev_b32_e32 v60, 3, v37
	v_sub_u32_e32 v59, 29, v61
	v_and_b32_e32 v58, 7, v58
	v_cmp_gt_u32_e32 vcc, 8, v37
	v_cndmask_b32_e32 v37, v60, v59, vcc
	v_cndmask_b32_e32 v57, v57, v58, vcc
	v_lshlrev_b32_e32 v34, 24, v34
	v_bfrev_b32_e32 v58, 60
	v_lshlrev_b32_e32 v57, 20, v57
	v_and_b32_e32 v34, 0x80000000, v34
	v_lshl_add_u32 v37, v37, 23, v58
	v_or3_b32 v34, v34, v37, v57
	v_lshrrev_b32_e32 v57, 16, v34
.LBB842_107:
	s_or_b64 exec, exec, s[10:11]
.LBB842_108:
	s_or_b64 exec, exec, s[8:9]
.LBB842_109:
	s_or_b64 exec, exec, s[2:3]
	s_mov_b32 s2, 0x5040100
	v_perm_b32 v59, v55, v53, s2
	v_perm_b32 v58, v35, v51, s2
	;; [unrolled: 1-line block ×4, first 2 shown]
	v_cmp_ne_u16_sdwa s[8:9], v38, v52 src0_sel:BYTE_0 src1_sel:DWORD
	v_mfma_f32_16x16x16bf16_1k v[42:45], v[58:59], v[18:19], v[42:45]
	v_mfma_f32_16x16x16bf16_1k v[34:37], v[34:35], v[20:21], v[42:45]
	s_and_saveexec_b64 s[2:3], s[8:9]
	s_cbranch_execz .LBB842_115
; %bb.110:
	s_movk_i32 s8, 0x80
	v_cmp_ne_u16_sdwa s[10:11], v38, s8 src0_sel:BYTE_0 src1_sel:DWORD
	v_mov_b32_e32 v52, 0xffff8000
	s_and_saveexec_b64 s[8:9], s[10:11]
	s_cbranch_execz .LBB842_114
; %bb.111:
	s_movk_i32 s10, 0x7f
	s_nop 1
	v_and_b32_e32 v42, 0x7f, v38
	v_cmp_ne_u32_e32 vcc, s10, v42
	v_mov_b32_e32 v52, 0x7f80
	s_and_saveexec_b64 s[10:11], vcc
	s_cbranch_execz .LBB842_113
; %bb.112:
	v_and_b32_e32 v43, 7, v38
	v_ffbh_u32_e32 v44, v43
	v_min_u32_e32 v52, 32, v44
	v_subrev_u32_e32 v44, 28, v52
	v_lshlrev_b64 v[44:45], v44, v[38:39]
	v_lshrrev_b32_e32 v51, 3, v42
	v_sub_u32_e32 v45, 29, v52
	v_and_b32_e32 v44, 7, v44
	v_cmp_gt_u32_e32 vcc, 8, v42
	v_cndmask_b32_e32 v42, v51, v45, vcc
	v_cndmask_b32_e32 v43, v43, v44, vcc
	v_lshlrev_b32_e32 v44, 24, v38
	v_bfrev_b32_e32 v45, 60
	v_lshlrev_b32_e32 v43, 20, v43
	v_and_b32_e32 v44, 0x80000000, v44
	v_lshl_add_u32 v42, v42, 23, v45
	v_or3_b32 v42, v44, v42, v43
	v_lshrrev_b32_e32 v52, 16, v42
.LBB842_113:
	s_or_b64 exec, exec, s[10:11]
.LBB842_114:
	s_or_b64 exec, exec, s[8:9]
.LBB842_115:
	s_or_b64 exec, exec, s[2:3]
	s_nop 6
	v_lshrrev_b16_e32 v42, 8, v38
	v_cmp_ne_u16_e32 vcc, 0, v42
	v_mov_b32_e32 v44, 0
	v_mov_b32_e32 v43, 0
	s_and_saveexec_b64 s[2:3], vcc
	s_cbranch_execz .LBB842_121
; %bb.116:
	s_movk_i32 s8, 0x80
	v_cmp_ne_u16_e32 vcc, s8, v42
	v_mov_b32_e32 v43, 0xffff8000
	s_and_saveexec_b64 s[8:9], vcc
	s_cbranch_execz .LBB842_120
; %bb.117:
	s_movk_i32 s10, 0x7f
	v_and_b32_e32 v45, 0x7f, v42
	v_cmp_ne_u32_e32 vcc, s10, v45
	v_mov_b32_e32 v43, 0x7f80
	s_and_saveexec_b64 s[10:11], vcc
	s_cbranch_execz .LBB842_119
; %bb.118:
	v_and_b32_e32 v51, 7, v42
	v_ffbh_u32_e32 v43, v51
	v_min_u32_e32 v54, 32, v43
	v_subrev_u32_e32 v43, 28, v54
	v_lshlrev_b64 v[42:43], v43, v[42:43]
	v_lshrrev_b32_e32 v53, 3, v45
	v_sub_u32_e32 v43, 29, v54
	v_and_b32_e32 v42, 7, v42
	v_cmp_gt_u32_e32 vcc, 8, v45
	v_cndmask_b32_e32 v43, v53, v43, vcc
	v_cndmask_b32_e32 v42, v51, v42, vcc
	v_lshlrev_b32_e32 v45, 16, v38
	v_bfrev_b32_e32 v51, 60
	v_lshlrev_b32_e32 v42, 20, v42
	v_and_b32_e32 v45, 0x80000000, v45
	v_lshl_add_u32 v43, v43, 23, v51
	v_or3_b32 v42, v45, v43, v42
	v_lshrrev_b32_e32 v43, 16, v42
.LBB842_119:
	s_or_b64 exec, exec, s[10:11]
.LBB842_120:
	s_or_b64 exec, exec, s[8:9]
.LBB842_121:
	s_or_b64 exec, exec, s[2:3]
	s_movk_i32 s2, 0xff
	v_and_b32_sdwa v45, v38, s2 dst_sel:DWORD dst_unused:UNUSED_PAD src0_sel:WORD_1 src1_sel:DWORD
	v_lshrrev_b32_e32 v42, 16, v38
	v_cmp_ne_u16_e32 vcc, 0, v45
	s_and_saveexec_b64 s[2:3], vcc
	s_cbranch_execz .LBB842_127
; %bb.122:
	s_movk_i32 s8, 0x80
	v_cmp_ne_u16_e32 vcc, s8, v45
	v_mov_b32_e32 v44, 0xffff8000
	s_and_saveexec_b64 s[8:9], vcc
	s_cbranch_execz .LBB842_126
; %bb.123:
	v_bfe_u32 v45, v38, 16, 7
	s_movk_i32 s10, 0x7f
	v_cmp_ne_u32_e32 vcc, s10, v45
	v_mov_b32_e32 v44, 0x7f80
	s_and_saveexec_b64 s[10:11], vcc
	s_cbranch_execz .LBB842_125
; %bb.124:
	v_and_b32_e32 v44, 7, v42
	v_ffbh_u32_e32 v53, v44
	v_min_u32_e32 v53, 32, v53
	v_subrev_u32_e32 v54, 28, v53
	v_lshlrev_b64 v[54:55], v54, v[42:43]
	v_lshrrev_b32_e32 v51, 3, v45
	v_sub_u32_e32 v42, 29, v53
	v_and_b32_e32 v53, 7, v54
	v_cmp_gt_u32_e32 vcc, 8, v45
	v_mov_b32_e32 v45, 24
	v_cndmask_b32_e32 v42, v51, v42, vcc
	v_cndmask_b32_e32 v44, v44, v53, vcc
	v_lshlrev_b32_sdwa v45, v45, v38 dst_sel:DWORD dst_unused:UNUSED_PAD src0_sel:DWORD src1_sel:WORD_1
	v_bfrev_b32_e32 v51, 60
	v_lshlrev_b32_e32 v44, 20, v44
	v_and_b32_e32 v45, 0x80000000, v45
	v_lshl_add_u32 v42, v42, 23, v51
	v_or3_b32 v42, v45, v42, v44
	v_lshrrev_b32_e32 v44, 16, v42
.LBB842_125:
	s_or_b64 exec, exec, s[10:11]
.LBB842_126:
	s_or_b64 exec, exec, s[8:9]
.LBB842_127:
	s_or_b64 exec, exec, s[2:3]
	s_mov_b32 s2, 0xffffff
	v_cmp_lt_u32_e32 vcc, s2, v38
	v_mov_b32_e32 v45, 0
	v_mov_b32_e32 v53, 0
	s_and_saveexec_b64 s[2:3], vcc
	s_cbranch_execz .LBB842_133
; %bb.128:
	v_lshrrev_b32_e32 v42, 24, v38
	s_movk_i32 s8, 0x80
	v_cmp_ne_u32_e32 vcc, s8, v42
	v_mov_b32_e32 v53, 0xffff8000
	s_and_saveexec_b64 s[8:9], vcc
	s_cbranch_execz .LBB842_132
; %bb.129:
	v_bfe_u32 v38, v38, 24, 7
	s_movk_i32 s10, 0x7f
	v_cmp_ne_u32_e32 vcc, s10, v38
	v_mov_b32_e32 v53, 0x7f80
	s_and_saveexec_b64 s[10:11], vcc
	s_cbranch_execz .LBB842_131
; %bb.130:
	v_and_b32_e32 v51, 7, v42
	v_ffbh_u32_e32 v54, v51
	v_min_u32_e32 v56, 32, v54
	v_subrev_u32_e32 v54, 28, v56
	v_lshlrev_b64 v[54:55], v54, v[42:43]
	v_lshrrev_b32_e32 v53, 3, v38
	v_sub_u32_e32 v55, 29, v56
	v_and_b32_e32 v54, 7, v54
	v_cmp_gt_u32_e32 vcc, 8, v38
	v_cndmask_b32_e32 v38, v53, v55, vcc
	v_cndmask_b32_e32 v51, v51, v54, vcc
	v_lshlrev_b32_e32 v42, 24, v42
	v_bfrev_b32_e32 v53, 60
	v_lshlrev_b32_e32 v51, 20, v51
	v_and_b32_e32 v42, 0x80000000, v42
	v_lshl_add_u32 v38, v38, 23, v53
	v_or3_b32 v38, v42, v38, v51
	v_lshrrev_b32_e32 v53, 16, v38
.LBB842_131:
	s_or_b64 exec, exec, s[10:11]
.LBB842_132:
	s_or_b64 exec, exec, s[8:9]
.LBB842_133:
	s_or_b64 exec, exec, s[2:3]
	v_cmp_ne_u16_sdwa s[8:9], v39, v45 src0_sel:BYTE_0 src1_sel:DWORD
	s_and_saveexec_b64 s[2:3], s[8:9]
	s_cbranch_execz .LBB842_139
; %bb.134:
	s_movk_i32 s8, 0x80
	v_cmp_ne_u16_sdwa s[10:11], v39, s8 src0_sel:BYTE_0 src1_sel:DWORD
	v_mov_b32_e32 v45, 0xffff8000
	s_and_saveexec_b64 s[8:9], s[10:11]
	s_cbranch_execz .LBB842_138
; %bb.135:
	s_movk_i32 s10, 0x7f
	v_and_b32_e32 v38, 0x7f, v39
	v_cmp_ne_u32_e32 vcc, s10, v38
	v_mov_b32_e32 v45, 0x7f80
	s_and_saveexec_b64 s[10:11], vcc
	s_cbranch_execz .LBB842_137
; %bb.136:
	v_and_b32_e32 v45, 7, v39
	v_ffbh_u32_e32 v54, v45
	v_min_u32_e32 v56, 32, v54
	v_mov_b32_e32 v42, v39
	v_subrev_u32_e32 v54, 28, v56
	v_lshlrev_b64 v[54:55], v54, v[42:43]
	v_lshrrev_b32_e32 v51, 3, v38
	v_sub_u32_e32 v42, 29, v56
	v_and_b32_e32 v54, 7, v54
	v_cmp_gt_u32_e32 vcc, 8, v38
	v_cndmask_b32_e32 v38, v51, v42, vcc
	v_cndmask_b32_e32 v42, v45, v54, vcc
	v_lshlrev_b32_e32 v45, 24, v39
	v_bfrev_b32_e32 v51, 60
	v_lshlrev_b32_e32 v42, 20, v42
	v_and_b32_e32 v45, 0x80000000, v45
	v_lshl_add_u32 v38, v38, 23, v51
	v_or3_b32 v38, v45, v38, v42
	v_lshrrev_b32_e32 v45, 16, v38
.LBB842_137:
	s_or_b64 exec, exec, s[10:11]
.LBB842_138:
	s_or_b64 exec, exec, s[8:9]
.LBB842_139:
	s_or_b64 exec, exec, s[2:3]
	v_lshrrev_b16_e32 v38, 8, v39
	v_cmp_ne_u16_e32 vcc, 0, v38
	v_mov_b32_e32 v54, 0
	v_mov_b32_e32 v42, 0
	s_and_saveexec_b64 s[2:3], vcc
	s_cbranch_execz .LBB842_145
; %bb.140:
	s_movk_i32 s8, 0x80
	v_cmp_ne_u16_e32 vcc, s8, v38
	v_mov_b32_e32 v42, 0xffff8000
	s_and_saveexec_b64 s[8:9], vcc
	s_cbranch_execz .LBB842_144
; %bb.141:
	s_movk_i32 s10, 0x7f
	v_and_b32_e32 v51, 0x7f, v38
	v_cmp_ne_u32_e32 vcc, s10, v51
	v_mov_b32_e32 v42, 0x7f80
	s_and_saveexec_b64 s[10:11], vcc
	s_cbranch_execz .LBB842_143
; %bb.142:
	v_and_b32_e32 v42, 7, v38
	v_ffbh_u32_e32 v56, v42
	v_min_u32_e32 v58, 32, v56
	v_subrev_u32_e32 v56, 28, v58
	v_lshlrev_b64 v[56:57], v56, v[38:39]
	v_lshrrev_b32_e32 v55, 3, v51
	v_sub_u32_e32 v38, 29, v58
	v_and_b32_e32 v56, 7, v56
	v_cmp_gt_u32_e32 vcc, 8, v51
	v_cndmask_b32_e32 v38, v55, v38, vcc
	v_cndmask_b32_e32 v42, v42, v56, vcc
	v_lshlrev_b32_e32 v51, 16, v39
	v_bfrev_b32_e32 v55, 60
	v_lshlrev_b32_e32 v42, 20, v42
	v_and_b32_e32 v51, 0x80000000, v51
	v_lshl_add_u32 v38, v38, 23, v55
	v_or3_b32 v38, v51, v38, v42
	v_lshrrev_b32_e32 v42, 16, v38
.LBB842_143:
	s_or_b64 exec, exec, s[10:11]
.LBB842_144:
	s_or_b64 exec, exec, s[8:9]
.LBB842_145:
	s_or_b64 exec, exec, s[2:3]
	s_movk_i32 s2, 0xff
	v_and_b32_sdwa v51, v39, s2 dst_sel:DWORD dst_unused:UNUSED_PAD src0_sel:WORD_1 src1_sel:DWORD
	v_lshrrev_b32_e32 v38, 16, v39
	v_cmp_ne_u16_e32 vcc, 0, v51
	s_and_saveexec_b64 s[2:3], vcc
	s_cbranch_execz .LBB842_151
; %bb.146:
	s_movk_i32 s8, 0x80
	v_cmp_ne_u16_e32 vcc, s8, v51
	v_mov_b32_e32 v54, 0xffff8000
	s_and_saveexec_b64 s[8:9], vcc
	s_cbranch_execz .LBB842_150
; %bb.147:
	v_bfe_u32 v51, v39, 16, 7
	s_movk_i32 s10, 0x7f
	v_cmp_ne_u32_e32 vcc, s10, v51
	v_mov_b32_e32 v54, 0x7f80
	s_and_saveexec_b64 s[10:11], vcc
	s_cbranch_execz .LBB842_149
; %bb.148:
	v_and_b32_e32 v56, 7, v38
	v_ffbh_u32_e32 v54, v56
	v_min_u32_e32 v58, 32, v54
	v_subrev_u32_e32 v54, 28, v58
	v_lshlrev_b64 v[54:55], v54, v[38:39]
	v_and_b32_e32 v54, 7, v54
	v_cmp_gt_u32_e32 vcc, 8, v51
	v_lshrrev_b32_e32 v57, 3, v51
	v_sub_u32_e32 v38, 29, v58
	v_cndmask_b32_e32 v51, v56, v54, vcc
	v_mov_b32_e32 v54, 24
	v_cndmask_b32_e32 v38, v57, v38, vcc
	v_lshlrev_b32_sdwa v54, v54, v39 dst_sel:DWORD dst_unused:UNUSED_PAD src0_sel:DWORD src1_sel:WORD_1
	v_bfrev_b32_e32 v55, 60
	v_lshlrev_b32_e32 v51, 20, v51
	v_and_b32_e32 v54, 0x80000000, v54
	v_lshl_add_u32 v38, v38, 23, v55
	v_or3_b32 v38, v54, v38, v51
	v_lshrrev_b32_e32 v54, 16, v38
.LBB842_149:
	s_or_b64 exec, exec, s[10:11]
.LBB842_150:
	s_or_b64 exec, exec, s[8:9]
.LBB842_151:
	s_or_b64 exec, exec, s[2:3]
	s_mov_b32 s2, 0xffffff
	v_cmp_lt_u32_e32 vcc, s2, v39
	v_mov_b32_e32 v51, 0
	v_mov_b32_e32 v55, 0
	s_and_saveexec_b64 s[2:3], vcc
	s_cbranch_execz .LBB842_157
; %bb.152:
	v_lshrrev_b32_e32 v38, 24, v39
	s_movk_i32 s8, 0x80
	v_cmp_ne_u32_e32 vcc, s8, v38
	v_mov_b32_e32 v55, 0xffff8000
	s_and_saveexec_b64 s[8:9], vcc
	s_cbranch_execz .LBB842_156
; %bb.153:
	v_bfe_u32 v39, v39, 24, 7
	s_movk_i32 s10, 0x7f
	v_cmp_ne_u32_e32 vcc, s10, v39
	v_mov_b32_e32 v55, 0x7f80
	s_and_saveexec_b64 s[10:11], vcc
	s_cbranch_execz .LBB842_155
; %bb.154:
	v_and_b32_e32 v55, 7, v38
	v_ffbh_u32_e32 v56, v55
	v_min_u32_e32 v59, 32, v56
	v_subrev_u32_e32 v56, 28, v59
	v_lshlrev_b64 v[56:57], v56, v[38:39]
	v_lshrrev_b32_e32 v58, 3, v39
	v_sub_u32_e32 v57, 29, v59
	v_and_b32_e32 v56, 7, v56
	v_cmp_gt_u32_e32 vcc, 8, v39
	v_cndmask_b32_e32 v39, v58, v57, vcc
	v_cndmask_b32_e32 v55, v55, v56, vcc
	v_lshlrev_b32_e32 v38, 24, v38
	v_bfrev_b32_e32 v56, 60
	v_lshlrev_b32_e32 v55, 20, v55
	v_and_b32_e32 v38, 0x80000000, v38
	v_lshl_add_u32 v39, v39, 23, v56
	v_or3_b32 v38, v38, v39, v55
	v_lshrrev_b32_e32 v55, 16, v38
.LBB842_155:
	s_or_b64 exec, exec, s[10:11]
.LBB842_156:
	s_or_b64 exec, exec, s[8:9]
.LBB842_157:
	s_or_b64 exec, exec, s[2:3]
	s_mov_b32 s2, 0x5040100
	v_perm_b32 v39, v53, v44, s2
	v_perm_b32 v38, v43, v52, s2
	v_cmp_ne_u16_sdwa s[8:9], v40, v51 src0_sel:BYTE_0 src1_sel:DWORD
	s_nop 0
	v_mfma_f32_16x16x16bf16_1k v[56:59], v[38:39], v[26:27], 0
	v_perm_b32 v39, v55, v54, s2
	v_perm_b32 v38, v42, v45, s2
	s_nop 1
	v_mfma_f32_16x16x16bf16_1k v[42:45], v[38:39], v[28:29], v[56:59]
	s_and_saveexec_b64 s[2:3], s[8:9]
	s_cbranch_execz .LBB842_163
; %bb.158:
	s_movk_i32 s8, 0x80
	v_cmp_ne_u16_sdwa s[10:11], v40, s8 src0_sel:BYTE_0 src1_sel:DWORD
	v_mov_b32_e32 v51, 0xffff8000
	s_and_saveexec_b64 s[8:9], s[10:11]
	s_cbranch_execz .LBB842_162
; %bb.159:
	s_movk_i32 s10, 0x7f
	v_and_b32_e32 v38, 0x7f, v40
	v_cmp_ne_u32_e32 vcc, s10, v38
	v_mov_b32_e32 v51, 0x7f80
	s_and_saveexec_b64 s[10:11], vcc
	s_cbranch_execz .LBB842_161
; %bb.160:
	v_and_b32_e32 v39, 7, v40
	v_ffbh_u32_e32 v52, v39
	v_min_u32_e32 v54, 32, v52
	v_subrev_u32_e32 v52, 28, v54
	v_lshlrev_b64 v[52:53], v52, v[40:41]
	v_lshrrev_b32_e32 v51, 3, v38
	v_sub_u32_e32 v53, 29, v54
	v_and_b32_e32 v52, 7, v52
	v_cmp_gt_u32_e32 vcc, 8, v38
	v_cndmask_b32_e32 v38, v51, v53, vcc
	v_cndmask_b32_e32 v39, v39, v52, vcc
	v_lshlrev_b32_e32 v51, 24, v40
	v_bfrev_b32_e32 v52, 60
	v_lshlrev_b32_e32 v39, 20, v39
	v_and_b32_e32 v51, 0x80000000, v51
	v_lshl_add_u32 v38, v38, 23, v52
	v_or3_b32 v38, v51, v38, v39
	v_lshrrev_b32_e32 v51, 16, v38
.LBB842_161:
	s_or_b64 exec, exec, s[10:11]
.LBB842_162:
	s_or_b64 exec, exec, s[8:9]
.LBB842_163:
	s_or_b64 exec, exec, s[2:3]
	v_lshrrev_b16_e32 v38, 8, v40
	v_cmp_ne_u16_e32 vcc, 0, v38
	v_mov_b32_e32 v53, 0
	v_mov_b32_e32 v39, 0
	s_and_saveexec_b64 s[2:3], vcc
	s_cbranch_execz .LBB842_169
; %bb.164:
	s_movk_i32 s8, 0x80
	v_cmp_ne_u16_e32 vcc, s8, v38
	v_mov_b32_e32 v39, 0xffff8000
	s_and_saveexec_b64 s[8:9], vcc
	s_cbranch_execz .LBB842_168
; %bb.165:
	s_movk_i32 s10, 0x7f
	v_and_b32_e32 v52, 0x7f, v38
	v_cmp_ne_u32_e32 vcc, s10, v52
	v_mov_b32_e32 v39, 0x7f80
	s_and_saveexec_b64 s[10:11], vcc
	s_cbranch_execz .LBB842_167
; %bb.166:
	v_and_b32_e32 v54, 7, v38
	v_ffbh_u32_e32 v39, v54
	v_min_u32_e32 v56, 32, v39
	v_subrev_u32_e32 v39, 28, v56
	v_lshlrev_b64 v[38:39], v39, v[38:39]
	v_lshrrev_b32_e32 v55, 3, v52
	v_sub_u32_e32 v39, 29, v56
	v_and_b32_e32 v38, 7, v38
	v_cmp_gt_u32_e32 vcc, 8, v52
	v_cndmask_b32_e32 v39, v55, v39, vcc
	v_cndmask_b32_e32 v38, v54, v38, vcc
	v_lshlrev_b32_e32 v52, 16, v40
	v_bfrev_b32_e32 v54, 60
	v_lshlrev_b32_e32 v38, 20, v38
	v_and_b32_e32 v52, 0x80000000, v52
	v_lshl_add_u32 v39, v39, 23, v54
	v_or3_b32 v38, v52, v39, v38
	v_lshrrev_b32_e32 v39, 16, v38
.LBB842_167:
	s_or_b64 exec, exec, s[10:11]
.LBB842_168:
	s_or_b64 exec, exec, s[8:9]
.LBB842_169:
	s_or_b64 exec, exec, s[2:3]
	s_movk_i32 s2, 0xff
	v_and_b32_sdwa v52, v40, s2 dst_sel:DWORD dst_unused:UNUSED_PAD src0_sel:WORD_1 src1_sel:DWORD
	v_lshrrev_b32_e32 v38, 16, v40
	v_cmp_ne_u16_e32 vcc, 0, v52
	s_and_saveexec_b64 s[2:3], vcc
	s_cbranch_execz .LBB842_175
; %bb.170:
	s_movk_i32 s8, 0x80
	v_cmp_ne_u16_e32 vcc, s8, v52
	v_mov_b32_e32 v53, 0xffff8000
	s_and_saveexec_b64 s[8:9], vcc
	s_cbranch_execz .LBB842_174
; %bb.171:
	v_bfe_u32 v52, v40, 16, 7
	s_movk_i32 s10, 0x7f
	v_cmp_ne_u32_e32 vcc, s10, v52
	v_mov_b32_e32 v53, 0x7f80
	s_and_saveexec_b64 s[10:11], vcc
	s_cbranch_execz .LBB842_173
; %bb.172:
	v_and_b32_e32 v53, 7, v38
	v_ffbh_u32_e32 v54, v53
	v_min_u32_e32 v57, 32, v54
	v_subrev_u32_e32 v54, 28, v57
	v_lshlrev_b64 v[54:55], v54, v[38:39]
	v_and_b32_e32 v54, 7, v54
	v_cmp_gt_u32_e32 vcc, 8, v52
	v_lshrrev_b32_e32 v56, 3, v52
	v_sub_u32_e32 v38, 29, v57
	v_cndmask_b32_e32 v52, v53, v54, vcc
	v_mov_b32_e32 v53, 24
	v_cndmask_b32_e32 v38, v56, v38, vcc
	v_lshlrev_b32_sdwa v53, v53, v40 dst_sel:DWORD dst_unused:UNUSED_PAD src0_sel:DWORD src1_sel:WORD_1
	v_bfrev_b32_e32 v54, 60
	v_lshlrev_b32_e32 v52, 20, v52
	v_and_b32_e32 v53, 0x80000000, v53
	v_lshl_add_u32 v38, v38, 23, v54
	v_or3_b32 v38, v53, v38, v52
	v_lshrrev_b32_e32 v53, 16, v38
.LBB842_173:
	s_or_b64 exec, exec, s[10:11]
.LBB842_174:
	s_or_b64 exec, exec, s[8:9]
.LBB842_175:
	s_or_b64 exec, exec, s[2:3]
	s_mov_b32 s2, 0xffffff
	v_cmp_lt_u32_e32 vcc, s2, v40
	v_mov_b32_e32 v54, 0
	v_mov_b32_e32 v55, 0
	s_and_saveexec_b64 s[2:3], vcc
	s_cbranch_execz .LBB842_181
; %bb.176:
	v_lshrrev_b32_e32 v38, 24, v40
	s_movk_i32 s8, 0x80
	v_cmp_ne_u32_e32 vcc, s8, v38
	v_mov_b32_e32 v55, 0xffff8000
	s_and_saveexec_b64 s[8:9], vcc
	s_cbranch_execz .LBB842_180
; %bb.177:
	v_bfe_u32 v40, v40, 24, 7
	s_movk_i32 s10, 0x7f
	v_cmp_ne_u32_e32 vcc, s10, v40
	v_mov_b32_e32 v55, 0x7f80
	s_and_saveexec_b64 s[10:11], vcc
	s_cbranch_execz .LBB842_179
; %bb.178:
	v_and_b32_e32 v52, 7, v38
	v_ffbh_u32_e32 v56, v52
	v_min_u32_e32 v58, 32, v56
	v_subrev_u32_e32 v56, 28, v58
	v_lshlrev_b64 v[56:57], v56, v[38:39]
	v_lshrrev_b32_e32 v55, 3, v40
	v_sub_u32_e32 v57, 29, v58
	v_and_b32_e32 v56, 7, v56
	v_cmp_gt_u32_e32 vcc, 8, v40
	v_cndmask_b32_e32 v40, v55, v57, vcc
	v_cndmask_b32_e32 v52, v52, v56, vcc
	v_lshlrev_b32_e32 v38, 24, v38
	v_bfrev_b32_e32 v55, 60
	v_lshlrev_b32_e32 v52, 20, v52
	v_and_b32_e32 v38, 0x80000000, v38
	v_lshl_add_u32 v40, v40, 23, v55
	v_or3_b32 v38, v38, v40, v52
	v_lshrrev_b32_e32 v55, 16, v38
.LBB842_179:
	s_or_b64 exec, exec, s[10:11]
.LBB842_180:
	s_or_b64 exec, exec, s[8:9]
.LBB842_181:
	s_or_b64 exec, exec, s[2:3]
	v_cmp_ne_u16_sdwa s[8:9], v41, v54 src0_sel:BYTE_0 src1_sel:DWORD
	s_and_saveexec_b64 s[2:3], s[8:9]
	s_cbranch_execz .LBB842_187
; %bb.182:
	s_movk_i32 s8, 0x80
	v_cmp_ne_u16_sdwa s[10:11], v41, s8 src0_sel:BYTE_0 src1_sel:DWORD
	v_mov_b32_e32 v54, 0xffff8000
	s_and_saveexec_b64 s[8:9], s[10:11]
	s_cbranch_execz .LBB842_186
; %bb.183:
	s_movk_i32 s10, 0x7f
	v_and_b32_e32 v38, 0x7f, v41
	v_cmp_ne_u32_e32 vcc, s10, v38
	v_mov_b32_e32 v54, 0x7f80
	s_and_saveexec_b64 s[10:11], vcc
	s_cbranch_execz .LBB842_185
; %bb.184:
	v_and_b32_e32 v52, 7, v41
	v_ffbh_u32_e32 v56, v52
	v_min_u32_e32 v58, 32, v56
	v_mov_b32_e32 v40, v41
	v_subrev_u32_e32 v56, 28, v58
	v_lshlrev_b64 v[56:57], v56, v[40:41]
	v_lshrrev_b32_e32 v54, 3, v38
	v_sub_u32_e32 v40, 29, v58
	v_and_b32_e32 v56, 7, v56
	v_cmp_gt_u32_e32 vcc, 8, v38
	v_cndmask_b32_e32 v38, v54, v40, vcc
	v_cndmask_b32_e32 v40, v52, v56, vcc
	v_lshlrev_b32_e32 v52, 24, v41
	v_bfrev_b32_e32 v54, 60
	v_lshlrev_b32_e32 v40, 20, v40
	v_and_b32_e32 v52, 0x80000000, v52
	v_lshl_add_u32 v38, v38, 23, v54
	v_or3_b32 v38, v52, v38, v40
	v_lshrrev_b32_e32 v54, 16, v38
.LBB842_185:
	s_or_b64 exec, exec, s[10:11]
.LBB842_186:
	s_or_b64 exec, exec, s[8:9]
.LBB842_187:
	s_or_b64 exec, exec, s[2:3]
	v_lshrrev_b16_e32 v38, 8, v41
	v_cmp_ne_u16_e32 vcc, 0, v38
	v_mov_b32_e32 v56, 0
	v_mov_b32_e32 v40, 0
	s_and_saveexec_b64 s[2:3], vcc
	s_cbranch_execz .LBB842_193
; %bb.188:
	s_movk_i32 s8, 0x80
	v_cmp_ne_u16_e32 vcc, s8, v38
	v_mov_b32_e32 v40, 0xffff8000
	s_and_saveexec_b64 s[8:9], vcc
	s_cbranch_execz .LBB842_192
; %bb.189:
	s_movk_i32 s10, 0x7f
	v_and_b32_e32 v52, 0x7f, v38
	v_cmp_ne_u32_e32 vcc, s10, v52
	v_mov_b32_e32 v40, 0x7f80
	s_and_saveexec_b64 s[10:11], vcc
	s_cbranch_execz .LBB842_191
; %bb.190:
	v_and_b32_e32 v40, 7, v38
	v_ffbh_u32_e32 v58, v40
	v_min_u32_e32 v60, 32, v58
	v_subrev_u32_e32 v58, 28, v60
	v_lshlrev_b64 v[58:59], v58, v[38:39]
	v_lshrrev_b32_e32 v57, 3, v52
	v_sub_u32_e32 v38, 29, v60
	v_and_b32_e32 v58, 7, v58
	v_cmp_gt_u32_e32 vcc, 8, v52
	v_cndmask_b32_e32 v38, v57, v38, vcc
	v_cndmask_b32_e32 v40, v40, v58, vcc
	v_lshlrev_b32_e32 v52, 16, v41
	v_bfrev_b32_e32 v57, 60
	v_lshlrev_b32_e32 v40, 20, v40
	v_and_b32_e32 v52, 0x80000000, v52
	v_lshl_add_u32 v38, v38, 23, v57
	v_or3_b32 v38, v52, v38, v40
	v_lshrrev_b32_e32 v40, 16, v38
.LBB842_191:
	s_or_b64 exec, exec, s[10:11]
.LBB842_192:
	s_or_b64 exec, exec, s[8:9]
.LBB842_193:
	s_or_b64 exec, exec, s[2:3]
	s_movk_i32 s2, 0xff
	v_and_b32_sdwa v52, v41, s2 dst_sel:DWORD dst_unused:UNUSED_PAD src0_sel:WORD_1 src1_sel:DWORD
	v_lshrrev_b32_e32 v38, 16, v41
	v_cmp_ne_u16_e32 vcc, 0, v52
	s_and_saveexec_b64 s[2:3], vcc
	s_cbranch_execz .LBB842_199
; %bb.194:
	s_movk_i32 s8, 0x80
	v_cmp_ne_u16_e32 vcc, s8, v52
	v_mov_b32_e32 v56, 0xffff8000
	s_and_saveexec_b64 s[8:9], vcc
	s_cbranch_execz .LBB842_198
; %bb.195:
	v_bfe_u32 v52, v41, 16, 7
	s_movk_i32 s10, 0x7f
	v_cmp_ne_u32_e32 vcc, s10, v52
	v_mov_b32_e32 v56, 0x7f80
	s_and_saveexec_b64 s[10:11], vcc
	s_cbranch_execz .LBB842_197
; %bb.196:
	v_and_b32_e32 v58, 7, v38
	v_ffbh_u32_e32 v56, v58
	v_min_u32_e32 v60, 32, v56
	v_subrev_u32_e32 v56, 28, v60
	v_lshlrev_b64 v[56:57], v56, v[38:39]
	v_and_b32_e32 v56, 7, v56
	v_cmp_gt_u32_e32 vcc, 8, v52
	v_lshrrev_b32_e32 v59, 3, v52
	v_sub_u32_e32 v38, 29, v60
	v_cndmask_b32_e32 v52, v58, v56, vcc
	v_mov_b32_e32 v56, 24
	v_cndmask_b32_e32 v38, v59, v38, vcc
	v_lshlrev_b32_sdwa v56, v56, v41 dst_sel:DWORD dst_unused:UNUSED_PAD src0_sel:DWORD src1_sel:WORD_1
	v_bfrev_b32_e32 v57, 60
	v_lshlrev_b32_e32 v52, 20, v52
	v_and_b32_e32 v56, 0x80000000, v56
	v_lshl_add_u32 v38, v38, 23, v57
	v_or3_b32 v38, v56, v38, v52
	v_lshrrev_b32_e32 v56, 16, v38
.LBB842_197:
	s_or_b64 exec, exec, s[10:11]
.LBB842_198:
	s_or_b64 exec, exec, s[8:9]
.LBB842_199:
	s_or_b64 exec, exec, s[2:3]
	s_mov_b32 s2, 0xffffff
	v_cmp_lt_u32_e32 vcc, s2, v41
	v_mov_b32_e32 v52, 0
	v_mov_b32_e32 v57, 0
	s_and_saveexec_b64 s[2:3], vcc
	s_cbranch_execz .LBB842_205
; %bb.200:
	v_lshrrev_b32_e32 v38, 24, v41
	s_movk_i32 s8, 0x80
	v_cmp_ne_u32_e32 vcc, s8, v38
	v_mov_b32_e32 v57, 0xffff8000
	s_and_saveexec_b64 s[8:9], vcc
	s_cbranch_execz .LBB842_204
; %bb.201:
	v_bfe_u32 v41, v41, 24, 7
	s_movk_i32 s10, 0x7f
	v_cmp_ne_u32_e32 vcc, s10, v41
	v_mov_b32_e32 v57, 0x7f80
	s_and_saveexec_b64 s[10:11], vcc
	s_cbranch_execz .LBB842_203
; %bb.202:
	v_and_b32_e32 v57, 7, v38
	v_ffbh_u32_e32 v58, v57
	v_min_u32_e32 v61, 32, v58
	v_subrev_u32_e32 v58, 28, v61
	v_lshlrev_b64 v[58:59], v58, v[38:39]
	v_lshrrev_b32_e32 v60, 3, v41
	v_sub_u32_e32 v59, 29, v61
	v_and_b32_e32 v58, 7, v58
	v_cmp_gt_u32_e32 vcc, 8, v41
	v_cndmask_b32_e32 v41, v60, v59, vcc
	v_cndmask_b32_e32 v57, v57, v58, vcc
	v_lshlrev_b32_e32 v38, 24, v38
	v_bfrev_b32_e32 v58, 60
	v_lshlrev_b32_e32 v57, 20, v57
	v_and_b32_e32 v38, 0x80000000, v38
	v_lshl_add_u32 v41, v41, 23, v58
	v_or3_b32 v38, v38, v41, v57
	v_lshrrev_b32_e32 v57, 16, v38
.LBB842_203:
	s_or_b64 exec, exec, s[10:11]
.LBB842_204:
	s_or_b64 exec, exec, s[8:9]
.LBB842_205:
	s_or_b64 exec, exec, s[2:3]
	s_mov_b32 s2, 0x5040100
	v_perm_b32 v59, v55, v53, s2
	v_perm_b32 v58, v39, v51, s2
	;; [unrolled: 1-line block ×4, first 2 shown]
	v_cmp_ne_u16_sdwa s[8:9], v30, v52 src0_sel:BYTE_0 src1_sel:DWORD
	v_mfma_f32_16x16x16bf16_1k v[42:45], v[58:59], v[18:19], v[42:45]
	v_mfma_f32_16x16x16bf16_1k v[38:41], v[38:39], v[20:21], v[42:45]
	s_and_saveexec_b64 s[2:3], s[8:9]
	s_cbranch_execz .LBB842_211
; %bb.206:
	s_movk_i32 s8, 0x80
	v_cmp_ne_u16_sdwa s[10:11], v30, s8 src0_sel:BYTE_0 src1_sel:DWORD
	v_mov_b32_e32 v52, 0xffff8000
	s_and_saveexec_b64 s[8:9], s[10:11]
	s_cbranch_execz .LBB842_210
; %bb.207:
	s_movk_i32 s10, 0x7f
	s_nop 1
	v_and_b32_e32 v42, 0x7f, v30
	v_cmp_ne_u32_e32 vcc, s10, v42
	v_mov_b32_e32 v52, 0x7f80
	s_and_saveexec_b64 s[10:11], vcc
	s_cbranch_execz .LBB842_209
; %bb.208:
	v_and_b32_e32 v43, 7, v30
	v_ffbh_u32_e32 v44, v43
	v_min_u32_e32 v52, 32, v44
	v_subrev_u32_e32 v44, 28, v52
	v_lshlrev_b64 v[44:45], v44, v[30:31]
	v_lshrrev_b32_e32 v51, 3, v42
	v_sub_u32_e32 v45, 29, v52
	v_and_b32_e32 v44, 7, v44
	v_cmp_gt_u32_e32 vcc, 8, v42
	v_cndmask_b32_e32 v42, v51, v45, vcc
	v_cndmask_b32_e32 v43, v43, v44, vcc
	v_lshlrev_b32_e32 v44, 24, v30
	v_bfrev_b32_e32 v45, 60
	v_lshlrev_b32_e32 v43, 20, v43
	v_and_b32_e32 v44, 0x80000000, v44
	v_lshl_add_u32 v42, v42, 23, v45
	v_or3_b32 v42, v44, v42, v43
	v_lshrrev_b32_e32 v52, 16, v42
.LBB842_209:
	s_or_b64 exec, exec, s[10:11]
.LBB842_210:
	s_or_b64 exec, exec, s[8:9]
.LBB842_211:
	s_or_b64 exec, exec, s[2:3]
	s_nop 6
	v_lshrrev_b16_e32 v42, 8, v30
	v_cmp_ne_u16_e32 vcc, 0, v42
	v_mov_b32_e32 v44, 0
	v_mov_b32_e32 v43, 0
	s_and_saveexec_b64 s[2:3], vcc
	s_cbranch_execz .LBB842_217
; %bb.212:
	s_movk_i32 s8, 0x80
	v_cmp_ne_u16_e32 vcc, s8, v42
	v_mov_b32_e32 v43, 0xffff8000
	s_and_saveexec_b64 s[8:9], vcc
	s_cbranch_execz .LBB842_216
; %bb.213:
	s_movk_i32 s10, 0x7f
	v_and_b32_e32 v45, 0x7f, v42
	v_cmp_ne_u32_e32 vcc, s10, v45
	v_mov_b32_e32 v43, 0x7f80
	s_and_saveexec_b64 s[10:11], vcc
	s_cbranch_execz .LBB842_215
; %bb.214:
	v_and_b32_e32 v51, 7, v42
	v_ffbh_u32_e32 v43, v51
	v_min_u32_e32 v54, 32, v43
	v_subrev_u32_e32 v43, 28, v54
	v_lshlrev_b64 v[42:43], v43, v[42:43]
	v_lshrrev_b32_e32 v53, 3, v45
	v_sub_u32_e32 v43, 29, v54
	v_and_b32_e32 v42, 7, v42
	v_cmp_gt_u32_e32 vcc, 8, v45
	v_cndmask_b32_e32 v43, v53, v43, vcc
	v_cndmask_b32_e32 v42, v51, v42, vcc
	v_lshlrev_b32_e32 v45, 16, v30
	v_bfrev_b32_e32 v51, 60
	v_lshlrev_b32_e32 v42, 20, v42
	v_and_b32_e32 v45, 0x80000000, v45
	v_lshl_add_u32 v43, v43, 23, v51
	v_or3_b32 v42, v45, v43, v42
	v_lshrrev_b32_e32 v43, 16, v42
.LBB842_215:
	s_or_b64 exec, exec, s[10:11]
.LBB842_216:
	s_or_b64 exec, exec, s[8:9]
.LBB842_217:
	s_or_b64 exec, exec, s[2:3]
	s_movk_i32 s2, 0xff
	v_and_b32_sdwa v45, v30, s2 dst_sel:DWORD dst_unused:UNUSED_PAD src0_sel:WORD_1 src1_sel:DWORD
	v_lshrrev_b32_e32 v42, 16, v30
	v_cmp_ne_u16_e32 vcc, 0, v45
	s_and_saveexec_b64 s[2:3], vcc
	s_cbranch_execz .LBB842_223
; %bb.218:
	s_movk_i32 s8, 0x80
	v_cmp_ne_u16_e32 vcc, s8, v45
	v_mov_b32_e32 v44, 0xffff8000
	s_and_saveexec_b64 s[8:9], vcc
	s_cbranch_execz .LBB842_222
; %bb.219:
	v_bfe_u32 v45, v30, 16, 7
	s_movk_i32 s10, 0x7f
	v_cmp_ne_u32_e32 vcc, s10, v45
	v_mov_b32_e32 v44, 0x7f80
	s_and_saveexec_b64 s[10:11], vcc
	s_cbranch_execz .LBB842_221
; %bb.220:
	v_and_b32_e32 v44, 7, v42
	v_ffbh_u32_e32 v53, v44
	v_min_u32_e32 v53, 32, v53
	v_subrev_u32_e32 v54, 28, v53
	v_lshlrev_b64 v[54:55], v54, v[42:43]
	v_lshrrev_b32_e32 v51, 3, v45
	v_sub_u32_e32 v42, 29, v53
	v_and_b32_e32 v53, 7, v54
	v_cmp_gt_u32_e32 vcc, 8, v45
	v_mov_b32_e32 v45, 24
	v_cndmask_b32_e32 v42, v51, v42, vcc
	v_cndmask_b32_e32 v44, v44, v53, vcc
	v_lshlrev_b32_sdwa v45, v45, v30 dst_sel:DWORD dst_unused:UNUSED_PAD src0_sel:DWORD src1_sel:WORD_1
	v_bfrev_b32_e32 v51, 60
	v_lshlrev_b32_e32 v44, 20, v44
	v_and_b32_e32 v45, 0x80000000, v45
	v_lshl_add_u32 v42, v42, 23, v51
	v_or3_b32 v42, v45, v42, v44
	v_lshrrev_b32_e32 v44, 16, v42
.LBB842_221:
	s_or_b64 exec, exec, s[10:11]
.LBB842_222:
	s_or_b64 exec, exec, s[8:9]
.LBB842_223:
	s_or_b64 exec, exec, s[2:3]
	s_mov_b32 s2, 0xffffff
	v_cmp_lt_u32_e32 vcc, s2, v30
	v_mov_b32_e32 v45, 0
	v_mov_b32_e32 v53, 0
	s_and_saveexec_b64 s[2:3], vcc
	s_cbranch_execz .LBB842_229
; %bb.224:
	v_lshrrev_b32_e32 v42, 24, v30
	s_movk_i32 s8, 0x80
	v_cmp_ne_u32_e32 vcc, s8, v42
	v_mov_b32_e32 v53, 0xffff8000
	s_and_saveexec_b64 s[8:9], vcc
	s_cbranch_execz .LBB842_228
; %bb.225:
	v_bfe_u32 v30, v30, 24, 7
	s_movk_i32 s10, 0x7f
	v_cmp_ne_u32_e32 vcc, s10, v30
	v_mov_b32_e32 v53, 0x7f80
	s_and_saveexec_b64 s[10:11], vcc
	s_cbranch_execz .LBB842_227
; %bb.226:
	v_and_b32_e32 v51, 7, v42
	v_ffbh_u32_e32 v54, v51
	v_min_u32_e32 v56, 32, v54
	v_subrev_u32_e32 v54, 28, v56
	v_lshlrev_b64 v[54:55], v54, v[42:43]
	v_lshrrev_b32_e32 v53, 3, v30
	v_sub_u32_e32 v55, 29, v56
	v_and_b32_e32 v54, 7, v54
	v_cmp_gt_u32_e32 vcc, 8, v30
	v_cndmask_b32_e32 v30, v53, v55, vcc
	v_cndmask_b32_e32 v51, v51, v54, vcc
	v_lshlrev_b32_e32 v42, 24, v42
	v_bfrev_b32_e32 v53, 60
	v_lshlrev_b32_e32 v51, 20, v51
	v_and_b32_e32 v42, 0x80000000, v42
	v_lshl_add_u32 v30, v30, 23, v53
	v_or3_b32 v30, v42, v30, v51
	v_lshrrev_b32_e32 v53, 16, v30
.LBB842_227:
	s_or_b64 exec, exec, s[10:11]
.LBB842_228:
	s_or_b64 exec, exec, s[8:9]
.LBB842_229:
	s_or_b64 exec, exec, s[2:3]
	v_cmp_ne_u16_sdwa s[8:9], v31, v45 src0_sel:BYTE_0 src1_sel:DWORD
	s_and_saveexec_b64 s[2:3], s[8:9]
	s_cbranch_execz .LBB842_235
; %bb.230:
	s_movk_i32 s8, 0x80
	v_cmp_ne_u16_sdwa s[10:11], v31, s8 src0_sel:BYTE_0 src1_sel:DWORD
	v_mov_b32_e32 v45, 0xffff8000
	s_and_saveexec_b64 s[8:9], s[10:11]
	s_cbranch_execz .LBB842_234
; %bb.231:
	s_movk_i32 s10, 0x7f
	v_and_b32_e32 v30, 0x7f, v31
	v_cmp_ne_u32_e32 vcc, s10, v30
	v_mov_b32_e32 v45, 0x7f80
	s_and_saveexec_b64 s[10:11], vcc
	s_cbranch_execz .LBB842_233
; %bb.232:
	v_and_b32_e32 v45, 7, v31
	v_ffbh_u32_e32 v54, v45
	v_min_u32_e32 v56, 32, v54
	v_mov_b32_e32 v42, v31
	v_subrev_u32_e32 v54, 28, v56
	v_lshlrev_b64 v[54:55], v54, v[42:43]
	v_lshrrev_b32_e32 v51, 3, v30
	v_sub_u32_e32 v42, 29, v56
	v_and_b32_e32 v54, 7, v54
	v_cmp_gt_u32_e32 vcc, 8, v30
	v_cndmask_b32_e32 v30, v51, v42, vcc
	v_cndmask_b32_e32 v42, v45, v54, vcc
	v_lshlrev_b32_e32 v45, 24, v31
	v_bfrev_b32_e32 v51, 60
	v_lshlrev_b32_e32 v42, 20, v42
	v_and_b32_e32 v45, 0x80000000, v45
	v_lshl_add_u32 v30, v30, 23, v51
	v_or3_b32 v30, v45, v30, v42
	v_lshrrev_b32_e32 v45, 16, v30
.LBB842_233:
	s_or_b64 exec, exec, s[10:11]
.LBB842_234:
	s_or_b64 exec, exec, s[8:9]
.LBB842_235:
	s_or_b64 exec, exec, s[2:3]
	v_lshrrev_b16_e32 v30, 8, v31
	v_cmp_ne_u16_e32 vcc, 0, v30
	v_mov_b32_e32 v54, 0
	v_mov_b32_e32 v42, 0
	s_and_saveexec_b64 s[2:3], vcc
	s_cbranch_execz .LBB842_241
; %bb.236:
	s_movk_i32 s8, 0x80
	v_cmp_ne_u16_e32 vcc, s8, v30
	v_mov_b32_e32 v42, 0xffff8000
	s_and_saveexec_b64 s[8:9], vcc
	s_cbranch_execz .LBB842_240
; %bb.237:
	s_movk_i32 s10, 0x7f
	v_and_b32_e32 v51, 0x7f, v30
	v_cmp_ne_u32_e32 vcc, s10, v51
	v_mov_b32_e32 v42, 0x7f80
	s_and_saveexec_b64 s[10:11], vcc
	s_cbranch_execz .LBB842_239
; %bb.238:
	v_and_b32_e32 v42, 7, v30
	v_ffbh_u32_e32 v56, v42
	v_min_u32_e32 v58, 32, v56
	v_subrev_u32_e32 v56, 28, v58
	v_lshlrev_b64 v[56:57], v56, v[30:31]
	v_lshrrev_b32_e32 v55, 3, v51
	v_sub_u32_e32 v30, 29, v58
	v_and_b32_e32 v56, 7, v56
	v_cmp_gt_u32_e32 vcc, 8, v51
	v_cndmask_b32_e32 v30, v55, v30, vcc
	v_cndmask_b32_e32 v42, v42, v56, vcc
	v_lshlrev_b32_e32 v51, 16, v31
	v_bfrev_b32_e32 v55, 60
	v_lshlrev_b32_e32 v42, 20, v42
	v_and_b32_e32 v51, 0x80000000, v51
	v_lshl_add_u32 v30, v30, 23, v55
	v_or3_b32 v30, v51, v30, v42
	v_lshrrev_b32_e32 v42, 16, v30
.LBB842_239:
	s_or_b64 exec, exec, s[10:11]
.LBB842_240:
	s_or_b64 exec, exec, s[8:9]
.LBB842_241:
	s_or_b64 exec, exec, s[2:3]
	s_movk_i32 s2, 0xff
	v_and_b32_sdwa v51, v31, s2 dst_sel:DWORD dst_unused:UNUSED_PAD src0_sel:WORD_1 src1_sel:DWORD
	v_lshrrev_b32_e32 v30, 16, v31
	v_cmp_ne_u16_e32 vcc, 0, v51
	s_and_saveexec_b64 s[2:3], vcc
	s_cbranch_execz .LBB842_247
; %bb.242:
	s_movk_i32 s8, 0x80
	v_cmp_ne_u16_e32 vcc, s8, v51
	v_mov_b32_e32 v54, 0xffff8000
	s_and_saveexec_b64 s[8:9], vcc
	s_cbranch_execz .LBB842_246
; %bb.243:
	v_bfe_u32 v51, v31, 16, 7
	s_movk_i32 s10, 0x7f
	v_cmp_ne_u32_e32 vcc, s10, v51
	v_mov_b32_e32 v54, 0x7f80
	s_and_saveexec_b64 s[10:11], vcc
	s_cbranch_execz .LBB842_245
; %bb.244:
	v_and_b32_e32 v56, 7, v30
	v_ffbh_u32_e32 v54, v56
	v_min_u32_e32 v58, 32, v54
	v_subrev_u32_e32 v54, 28, v58
	v_lshlrev_b64 v[54:55], v54, v[30:31]
	v_and_b32_e32 v54, 7, v54
	v_cmp_gt_u32_e32 vcc, 8, v51
	v_lshrrev_b32_e32 v57, 3, v51
	v_sub_u32_e32 v30, 29, v58
	v_cndmask_b32_e32 v51, v56, v54, vcc
	v_mov_b32_e32 v54, 24
	v_cndmask_b32_e32 v30, v57, v30, vcc
	v_lshlrev_b32_sdwa v54, v54, v31 dst_sel:DWORD dst_unused:UNUSED_PAD src0_sel:DWORD src1_sel:WORD_1
	v_bfrev_b32_e32 v55, 60
	v_lshlrev_b32_e32 v51, 20, v51
	v_and_b32_e32 v54, 0x80000000, v54
	v_lshl_add_u32 v30, v30, 23, v55
	v_or3_b32 v30, v54, v30, v51
	v_lshrrev_b32_e32 v54, 16, v30
.LBB842_245:
	s_or_b64 exec, exec, s[10:11]
.LBB842_246:
	s_or_b64 exec, exec, s[8:9]
.LBB842_247:
	s_or_b64 exec, exec, s[2:3]
	s_mov_b32 s2, 0xffffff
	v_cmp_lt_u32_e32 vcc, s2, v31
	v_mov_b32_e32 v51, 0
	v_mov_b32_e32 v55, 0
	s_and_saveexec_b64 s[2:3], vcc
	s_cbranch_execz .LBB842_253
; %bb.248:
	v_lshrrev_b32_e32 v30, 24, v31
	s_movk_i32 s8, 0x80
	v_cmp_ne_u32_e32 vcc, s8, v30
	v_mov_b32_e32 v55, 0xffff8000
	s_and_saveexec_b64 s[8:9], vcc
	s_cbranch_execz .LBB842_252
; %bb.249:
	v_bfe_u32 v31, v31, 24, 7
	s_movk_i32 s10, 0x7f
	v_cmp_ne_u32_e32 vcc, s10, v31
	v_mov_b32_e32 v55, 0x7f80
	s_and_saveexec_b64 s[10:11], vcc
	s_cbranch_execz .LBB842_251
; %bb.250:
	v_and_b32_e32 v55, 7, v30
	v_ffbh_u32_e32 v56, v55
	v_min_u32_e32 v59, 32, v56
	v_subrev_u32_e32 v56, 28, v59
	v_lshlrev_b64 v[56:57], v56, v[30:31]
	v_lshrrev_b32_e32 v58, 3, v31
	v_sub_u32_e32 v57, 29, v59
	v_and_b32_e32 v56, 7, v56
	v_cmp_gt_u32_e32 vcc, 8, v31
	v_cndmask_b32_e32 v31, v58, v57, vcc
	v_cndmask_b32_e32 v55, v55, v56, vcc
	v_lshlrev_b32_e32 v30, 24, v30
	v_bfrev_b32_e32 v56, 60
	v_lshlrev_b32_e32 v55, 20, v55
	v_and_b32_e32 v30, 0x80000000, v30
	v_lshl_add_u32 v31, v31, 23, v56
	v_or3_b32 v30, v30, v31, v55
	v_lshrrev_b32_e32 v55, 16, v30
.LBB842_251:
	s_or_b64 exec, exec, s[10:11]
.LBB842_252:
	s_or_b64 exec, exec, s[8:9]
.LBB842_253:
	s_or_b64 exec, exec, s[2:3]
	s_mov_b32 s2, 0x5040100
	v_perm_b32 v31, v53, v44, s2
	v_perm_b32 v30, v43, v52, s2
	v_cmp_ne_u16_sdwa s[8:9], v32, v51 src0_sel:BYTE_0 src1_sel:DWORD
	s_nop 0
	v_mfma_f32_16x16x16bf16_1k v[56:59], v[30:31], v[26:27], 0
	v_perm_b32 v31, v55, v54, s2
	v_perm_b32 v30, v42, v45, s2
	s_nop 1
	v_mfma_f32_16x16x16bf16_1k v[42:45], v[30:31], v[28:29], v[56:59]
	s_and_saveexec_b64 s[2:3], s[8:9]
	s_cbranch_execz .LBB842_259
; %bb.254:
	s_movk_i32 s8, 0x80
	v_cmp_ne_u16_sdwa s[10:11], v32, s8 src0_sel:BYTE_0 src1_sel:DWORD
	v_mov_b32_e32 v51, 0xffff8000
	s_and_saveexec_b64 s[8:9], s[10:11]
	s_cbranch_execz .LBB842_258
; %bb.255:
	s_movk_i32 s10, 0x7f
	v_and_b32_e32 v30, 0x7f, v32
	v_cmp_ne_u32_e32 vcc, s10, v30
	v_mov_b32_e32 v51, 0x7f80
	s_and_saveexec_b64 s[10:11], vcc
	s_cbranch_execz .LBB842_257
; %bb.256:
	v_and_b32_e32 v31, 7, v32
	v_ffbh_u32_e32 v52, v31
	v_min_u32_e32 v54, 32, v52
	v_subrev_u32_e32 v52, 28, v54
	v_lshlrev_b64 v[52:53], v52, v[32:33]
	v_lshrrev_b32_e32 v51, 3, v30
	v_sub_u32_e32 v53, 29, v54
	v_and_b32_e32 v52, 7, v52
	v_cmp_gt_u32_e32 vcc, 8, v30
	v_cndmask_b32_e32 v30, v51, v53, vcc
	v_cndmask_b32_e32 v31, v31, v52, vcc
	v_lshlrev_b32_e32 v51, 24, v32
	v_bfrev_b32_e32 v52, 60
	v_lshlrev_b32_e32 v31, 20, v31
	v_and_b32_e32 v51, 0x80000000, v51
	v_lshl_add_u32 v30, v30, 23, v52
	v_or3_b32 v30, v51, v30, v31
	v_lshrrev_b32_e32 v51, 16, v30
.LBB842_257:
	s_or_b64 exec, exec, s[10:11]
.LBB842_258:
	s_or_b64 exec, exec, s[8:9]
.LBB842_259:
	s_or_b64 exec, exec, s[2:3]
	v_lshrrev_b16_e32 v30, 8, v32
	v_cmp_ne_u16_e32 vcc, 0, v30
	v_mov_b32_e32 v53, 0
	v_mov_b32_e32 v31, 0
	s_and_saveexec_b64 s[2:3], vcc
	s_cbranch_execz .LBB842_265
; %bb.260:
	s_movk_i32 s8, 0x80
	v_cmp_ne_u16_e32 vcc, s8, v30
	v_mov_b32_e32 v31, 0xffff8000
	s_and_saveexec_b64 s[8:9], vcc
	s_cbranch_execz .LBB842_264
; %bb.261:
	s_movk_i32 s10, 0x7f
	v_and_b32_e32 v52, 0x7f, v30
	v_cmp_ne_u32_e32 vcc, s10, v52
	v_mov_b32_e32 v31, 0x7f80
	s_and_saveexec_b64 s[10:11], vcc
	s_cbranch_execz .LBB842_263
; %bb.262:
	v_and_b32_e32 v54, 7, v30
	v_ffbh_u32_e32 v31, v54
	v_min_u32_e32 v56, 32, v31
	v_subrev_u32_e32 v31, 28, v56
	v_lshlrev_b64 v[30:31], v31, v[30:31]
	v_lshrrev_b32_e32 v55, 3, v52
	v_sub_u32_e32 v31, 29, v56
	v_and_b32_e32 v30, 7, v30
	v_cmp_gt_u32_e32 vcc, 8, v52
	v_cndmask_b32_e32 v31, v55, v31, vcc
	v_cndmask_b32_e32 v30, v54, v30, vcc
	v_lshlrev_b32_e32 v52, 16, v32
	v_bfrev_b32_e32 v54, 60
	v_lshlrev_b32_e32 v30, 20, v30
	v_and_b32_e32 v52, 0x80000000, v52
	v_lshl_add_u32 v31, v31, 23, v54
	v_or3_b32 v30, v52, v31, v30
	v_lshrrev_b32_e32 v31, 16, v30
.LBB842_263:
	s_or_b64 exec, exec, s[10:11]
.LBB842_264:
	s_or_b64 exec, exec, s[8:9]
.LBB842_265:
	s_or_b64 exec, exec, s[2:3]
	s_movk_i32 s2, 0xff
	v_and_b32_sdwa v52, v32, s2 dst_sel:DWORD dst_unused:UNUSED_PAD src0_sel:WORD_1 src1_sel:DWORD
	v_lshrrev_b32_e32 v30, 16, v32
	v_cmp_ne_u16_e32 vcc, 0, v52
	s_and_saveexec_b64 s[2:3], vcc
	s_cbranch_execz .LBB842_271
; %bb.266:
	s_movk_i32 s8, 0x80
	v_cmp_ne_u16_e32 vcc, s8, v52
	v_mov_b32_e32 v53, 0xffff8000
	s_and_saveexec_b64 s[8:9], vcc
	s_cbranch_execz .LBB842_270
; %bb.267:
	v_bfe_u32 v52, v32, 16, 7
	s_movk_i32 s10, 0x7f
	v_cmp_ne_u32_e32 vcc, s10, v52
	v_mov_b32_e32 v53, 0x7f80
	s_and_saveexec_b64 s[10:11], vcc
	s_cbranch_execz .LBB842_269
; %bb.268:
	v_and_b32_e32 v53, 7, v30
	v_ffbh_u32_e32 v54, v53
	v_min_u32_e32 v57, 32, v54
	v_subrev_u32_e32 v54, 28, v57
	v_lshlrev_b64 v[54:55], v54, v[30:31]
	v_and_b32_e32 v54, 7, v54
	v_cmp_gt_u32_e32 vcc, 8, v52
	v_lshrrev_b32_e32 v56, 3, v52
	v_sub_u32_e32 v30, 29, v57
	v_cndmask_b32_e32 v52, v53, v54, vcc
	v_mov_b32_e32 v53, 24
	v_cndmask_b32_e32 v30, v56, v30, vcc
	v_lshlrev_b32_sdwa v53, v53, v32 dst_sel:DWORD dst_unused:UNUSED_PAD src0_sel:DWORD src1_sel:WORD_1
	v_bfrev_b32_e32 v54, 60
	v_lshlrev_b32_e32 v52, 20, v52
	v_and_b32_e32 v53, 0x80000000, v53
	v_lshl_add_u32 v30, v30, 23, v54
	v_or3_b32 v30, v53, v30, v52
	v_lshrrev_b32_e32 v53, 16, v30
.LBB842_269:
	s_or_b64 exec, exec, s[10:11]
.LBB842_270:
	s_or_b64 exec, exec, s[8:9]
.LBB842_271:
	s_or_b64 exec, exec, s[2:3]
	s_mov_b32 s2, 0xffffff
	v_cmp_lt_u32_e32 vcc, s2, v32
	v_mov_b32_e32 v54, 0
	v_mov_b32_e32 v55, 0
	s_and_saveexec_b64 s[2:3], vcc
	s_cbranch_execz .LBB842_277
; %bb.272:
	v_lshrrev_b32_e32 v30, 24, v32
	s_movk_i32 s8, 0x80
	v_cmp_ne_u32_e32 vcc, s8, v30
	v_mov_b32_e32 v55, 0xffff8000
	s_and_saveexec_b64 s[8:9], vcc
	s_cbranch_execz .LBB842_276
; %bb.273:
	v_bfe_u32 v32, v32, 24, 7
	s_movk_i32 s10, 0x7f
	v_cmp_ne_u32_e32 vcc, s10, v32
	v_mov_b32_e32 v55, 0x7f80
	s_and_saveexec_b64 s[10:11], vcc
	s_cbranch_execz .LBB842_275
; %bb.274:
	v_and_b32_e32 v52, 7, v30
	v_ffbh_u32_e32 v56, v52
	v_min_u32_e32 v58, 32, v56
	v_subrev_u32_e32 v56, 28, v58
	v_lshlrev_b64 v[56:57], v56, v[30:31]
	v_lshrrev_b32_e32 v55, 3, v32
	v_sub_u32_e32 v57, 29, v58
	v_and_b32_e32 v56, 7, v56
	v_cmp_gt_u32_e32 vcc, 8, v32
	v_cndmask_b32_e32 v32, v55, v57, vcc
	v_cndmask_b32_e32 v52, v52, v56, vcc
	v_lshlrev_b32_e32 v30, 24, v30
	v_bfrev_b32_e32 v55, 60
	v_lshlrev_b32_e32 v52, 20, v52
	v_and_b32_e32 v30, 0x80000000, v30
	v_lshl_add_u32 v32, v32, 23, v55
	v_or3_b32 v30, v30, v32, v52
	v_lshrrev_b32_e32 v55, 16, v30
.LBB842_275:
	s_or_b64 exec, exec, s[10:11]
.LBB842_276:
	s_or_b64 exec, exec, s[8:9]
.LBB842_277:
	s_or_b64 exec, exec, s[2:3]
	v_cmp_ne_u16_sdwa s[8:9], v33, v54 src0_sel:BYTE_0 src1_sel:DWORD
	s_and_saveexec_b64 s[2:3], s[8:9]
	s_cbranch_execz .LBB842_283
; %bb.278:
	s_movk_i32 s8, 0x80
	v_cmp_ne_u16_sdwa s[10:11], v33, s8 src0_sel:BYTE_0 src1_sel:DWORD
	v_mov_b32_e32 v54, 0xffff8000
	s_and_saveexec_b64 s[8:9], s[10:11]
	s_cbranch_execz .LBB842_282
; %bb.279:
	s_movk_i32 s10, 0x7f
	v_and_b32_e32 v30, 0x7f, v33
	v_cmp_ne_u32_e32 vcc, s10, v30
	v_mov_b32_e32 v54, 0x7f80
	s_and_saveexec_b64 s[10:11], vcc
	s_cbranch_execz .LBB842_281
; %bb.280:
	v_and_b32_e32 v52, 7, v33
	v_ffbh_u32_e32 v56, v52
	v_min_u32_e32 v58, 32, v56
	v_mov_b32_e32 v32, v33
	v_subrev_u32_e32 v56, 28, v58
	v_lshlrev_b64 v[56:57], v56, v[32:33]
	v_lshrrev_b32_e32 v54, 3, v30
	v_sub_u32_e32 v32, 29, v58
	v_and_b32_e32 v56, 7, v56
	v_cmp_gt_u32_e32 vcc, 8, v30
	v_cndmask_b32_e32 v30, v54, v32, vcc
	v_cndmask_b32_e32 v32, v52, v56, vcc
	v_lshlrev_b32_e32 v52, 24, v33
	v_bfrev_b32_e32 v54, 60
	v_lshlrev_b32_e32 v32, 20, v32
	v_and_b32_e32 v52, 0x80000000, v52
	v_lshl_add_u32 v30, v30, 23, v54
	v_or3_b32 v30, v52, v30, v32
	v_lshrrev_b32_e32 v54, 16, v30
.LBB842_281:
	s_or_b64 exec, exec, s[10:11]
.LBB842_282:
	s_or_b64 exec, exec, s[8:9]
.LBB842_283:
	s_or_b64 exec, exec, s[2:3]
	v_lshrrev_b16_e32 v30, 8, v33
	v_cmp_ne_u16_e32 vcc, 0, v30
	v_mov_b32_e32 v56, 0
	v_mov_b32_e32 v32, 0
	s_and_saveexec_b64 s[2:3], vcc
	s_cbranch_execz .LBB842_289
; %bb.284:
	s_movk_i32 s8, 0x80
	v_cmp_ne_u16_e32 vcc, s8, v30
	v_mov_b32_e32 v32, 0xffff8000
	s_and_saveexec_b64 s[8:9], vcc
	s_cbranch_execz .LBB842_288
; %bb.285:
	s_movk_i32 s10, 0x7f
	v_and_b32_e32 v52, 0x7f, v30
	v_cmp_ne_u32_e32 vcc, s10, v52
	v_mov_b32_e32 v32, 0x7f80
	s_and_saveexec_b64 s[10:11], vcc
	s_cbranch_execz .LBB842_287
; %bb.286:
	v_and_b32_e32 v32, 7, v30
	v_ffbh_u32_e32 v58, v32
	v_min_u32_e32 v60, 32, v58
	v_subrev_u32_e32 v58, 28, v60
	v_lshlrev_b64 v[58:59], v58, v[30:31]
	v_lshrrev_b32_e32 v57, 3, v52
	v_sub_u32_e32 v30, 29, v60
	v_and_b32_e32 v58, 7, v58
	v_cmp_gt_u32_e32 vcc, 8, v52
	v_cndmask_b32_e32 v30, v57, v30, vcc
	v_cndmask_b32_e32 v32, v32, v58, vcc
	v_lshlrev_b32_e32 v52, 16, v33
	v_bfrev_b32_e32 v57, 60
	v_lshlrev_b32_e32 v32, 20, v32
	v_and_b32_e32 v52, 0x80000000, v52
	v_lshl_add_u32 v30, v30, 23, v57
	v_or3_b32 v30, v52, v30, v32
	v_lshrrev_b32_e32 v32, 16, v30
.LBB842_287:
	s_or_b64 exec, exec, s[10:11]
.LBB842_288:
	s_or_b64 exec, exec, s[8:9]
.LBB842_289:
	s_or_b64 exec, exec, s[2:3]
	s_movk_i32 s2, 0xff
	v_and_b32_sdwa v52, v33, s2 dst_sel:DWORD dst_unused:UNUSED_PAD src0_sel:WORD_1 src1_sel:DWORD
	v_lshrrev_b32_e32 v30, 16, v33
	v_cmp_ne_u16_e32 vcc, 0, v52
	s_and_saveexec_b64 s[2:3], vcc
	s_cbranch_execz .LBB842_295
; %bb.290:
	s_movk_i32 s8, 0x80
	v_cmp_ne_u16_e32 vcc, s8, v52
	v_mov_b32_e32 v56, 0xffff8000
	s_and_saveexec_b64 s[8:9], vcc
	s_cbranch_execz .LBB842_294
; %bb.291:
	v_bfe_u32 v52, v33, 16, 7
	s_movk_i32 s10, 0x7f
	v_cmp_ne_u32_e32 vcc, s10, v52
	v_mov_b32_e32 v56, 0x7f80
	s_and_saveexec_b64 s[10:11], vcc
	s_cbranch_execz .LBB842_293
; %bb.292:
	v_and_b32_e32 v58, 7, v30
	v_ffbh_u32_e32 v56, v58
	v_min_u32_e32 v60, 32, v56
	v_subrev_u32_e32 v56, 28, v60
	v_lshlrev_b64 v[56:57], v56, v[30:31]
	v_and_b32_e32 v56, 7, v56
	v_cmp_gt_u32_e32 vcc, 8, v52
	v_lshrrev_b32_e32 v59, 3, v52
	v_sub_u32_e32 v30, 29, v60
	v_cndmask_b32_e32 v52, v58, v56, vcc
	v_mov_b32_e32 v56, 24
	v_cndmask_b32_e32 v30, v59, v30, vcc
	v_lshlrev_b32_sdwa v56, v56, v33 dst_sel:DWORD dst_unused:UNUSED_PAD src0_sel:DWORD src1_sel:WORD_1
	v_bfrev_b32_e32 v57, 60
	v_lshlrev_b32_e32 v52, 20, v52
	v_and_b32_e32 v56, 0x80000000, v56
	v_lshl_add_u32 v30, v30, 23, v57
	v_or3_b32 v30, v56, v30, v52
	v_lshrrev_b32_e32 v56, 16, v30
.LBB842_293:
	s_or_b64 exec, exec, s[10:11]
.LBB842_294:
	s_or_b64 exec, exec, s[8:9]
.LBB842_295:
	s_or_b64 exec, exec, s[2:3]
	s_mov_b32 s2, 0xffffff
	v_cmp_lt_u32_e32 vcc, s2, v33
	v_mov_b32_e32 v52, 0
	v_mov_b32_e32 v57, 0
	s_and_saveexec_b64 s[2:3], vcc
	s_cbranch_execz .LBB842_301
; %bb.296:
	v_lshrrev_b32_e32 v30, 24, v33
	s_movk_i32 s8, 0x80
	v_cmp_ne_u32_e32 vcc, s8, v30
	v_mov_b32_e32 v57, 0xffff8000
	s_and_saveexec_b64 s[8:9], vcc
	s_cbranch_execz .LBB842_300
; %bb.297:
	v_bfe_u32 v33, v33, 24, 7
	s_movk_i32 s10, 0x7f
	v_cmp_ne_u32_e32 vcc, s10, v33
	v_mov_b32_e32 v57, 0x7f80
	s_and_saveexec_b64 s[10:11], vcc
	s_cbranch_execz .LBB842_299
; %bb.298:
	v_and_b32_e32 v57, 7, v30
	v_ffbh_u32_e32 v58, v57
	v_min_u32_e32 v61, 32, v58
	v_subrev_u32_e32 v58, 28, v61
	v_lshlrev_b64 v[58:59], v58, v[30:31]
	v_lshrrev_b32_e32 v60, 3, v33
	v_sub_u32_e32 v59, 29, v61
	v_and_b32_e32 v58, 7, v58
	v_cmp_gt_u32_e32 vcc, 8, v33
	v_cndmask_b32_e32 v33, v60, v59, vcc
	v_cndmask_b32_e32 v57, v57, v58, vcc
	v_lshlrev_b32_e32 v30, 24, v30
	v_bfrev_b32_e32 v58, 60
	v_lshlrev_b32_e32 v57, 20, v57
	v_and_b32_e32 v30, 0x80000000, v30
	v_lshl_add_u32 v33, v33, 23, v58
	v_or3_b32 v30, v30, v33, v57
	v_lshrrev_b32_e32 v57, 16, v30
.LBB842_299:
	s_or_b64 exec, exec, s[10:11]
.LBB842_300:
	s_or_b64 exec, exec, s[8:9]
.LBB842_301:
	s_or_b64 exec, exec, s[2:3]
	s_mov_b32 s2, 0x5040100
	v_perm_b32 v59, v55, v53, s2
	v_perm_b32 v58, v31, v51, s2
	;; [unrolled: 1-line block ×4, first 2 shown]
	v_cmp_ne_u16_sdwa s[8:9], v22, v52 src0_sel:BYTE_0 src1_sel:DWORD
	v_mfma_f32_16x16x16bf16_1k v[42:45], v[58:59], v[18:19], v[42:45]
	v_mfma_f32_16x16x16bf16_1k v[30:33], v[30:31], v[20:21], v[42:45]
	s_and_saveexec_b64 s[2:3], s[8:9]
	s_cbranch_execz .LBB842_307
; %bb.302:
	s_movk_i32 s8, 0x80
	v_cmp_ne_u16_sdwa s[10:11], v22, s8 src0_sel:BYTE_0 src1_sel:DWORD
	v_mov_b32_e32 v52, 0xffff8000
	s_and_saveexec_b64 s[8:9], s[10:11]
	s_cbranch_execz .LBB842_306
; %bb.303:
	s_movk_i32 s10, 0x7f
	s_nop 1
	v_and_b32_e32 v42, 0x7f, v22
	v_cmp_ne_u32_e32 vcc, s10, v42
	v_mov_b32_e32 v52, 0x7f80
	s_and_saveexec_b64 s[10:11], vcc
	s_cbranch_execz .LBB842_305
; %bb.304:
	v_and_b32_e32 v43, 7, v22
	v_ffbh_u32_e32 v44, v43
	v_min_u32_e32 v52, 32, v44
	v_subrev_u32_e32 v44, 28, v52
	v_lshlrev_b64 v[44:45], v44, v[22:23]
	v_lshrrev_b32_e32 v51, 3, v42
	v_sub_u32_e32 v45, 29, v52
	v_and_b32_e32 v44, 7, v44
	v_cmp_gt_u32_e32 vcc, 8, v42
	v_cndmask_b32_e32 v42, v51, v45, vcc
	v_cndmask_b32_e32 v43, v43, v44, vcc
	v_lshlrev_b32_e32 v44, 24, v22
	v_bfrev_b32_e32 v45, 60
	v_lshlrev_b32_e32 v43, 20, v43
	v_and_b32_e32 v44, 0x80000000, v44
	v_lshl_add_u32 v42, v42, 23, v45
	v_or3_b32 v42, v44, v42, v43
	v_lshrrev_b32_e32 v52, 16, v42
.LBB842_305:
	s_or_b64 exec, exec, s[10:11]
.LBB842_306:
	s_or_b64 exec, exec, s[8:9]
.LBB842_307:
	s_or_b64 exec, exec, s[2:3]
	s_nop 6
	v_lshrrev_b16_e32 v42, 8, v22
	v_cmp_ne_u16_e32 vcc, 0, v42
	v_mov_b32_e32 v44, 0
	v_mov_b32_e32 v43, 0
	s_and_saveexec_b64 s[2:3], vcc
	s_cbranch_execz .LBB842_313
; %bb.308:
	s_movk_i32 s8, 0x80
	v_cmp_ne_u16_e32 vcc, s8, v42
	v_mov_b32_e32 v43, 0xffff8000
	s_and_saveexec_b64 s[8:9], vcc
	s_cbranch_execz .LBB842_312
; %bb.309:
	s_movk_i32 s10, 0x7f
	v_and_b32_e32 v45, 0x7f, v42
	v_cmp_ne_u32_e32 vcc, s10, v45
	v_mov_b32_e32 v43, 0x7f80
	s_and_saveexec_b64 s[10:11], vcc
	s_cbranch_execz .LBB842_311
; %bb.310:
	v_and_b32_e32 v51, 7, v42
	v_ffbh_u32_e32 v43, v51
	v_min_u32_e32 v54, 32, v43
	v_subrev_u32_e32 v43, 28, v54
	v_lshlrev_b64 v[42:43], v43, v[42:43]
	v_lshrrev_b32_e32 v53, 3, v45
	v_sub_u32_e32 v43, 29, v54
	v_and_b32_e32 v42, 7, v42
	v_cmp_gt_u32_e32 vcc, 8, v45
	v_cndmask_b32_e32 v43, v53, v43, vcc
	v_cndmask_b32_e32 v42, v51, v42, vcc
	v_lshlrev_b32_e32 v45, 16, v22
	v_bfrev_b32_e32 v51, 60
	v_lshlrev_b32_e32 v42, 20, v42
	v_and_b32_e32 v45, 0x80000000, v45
	v_lshl_add_u32 v43, v43, 23, v51
	v_or3_b32 v42, v45, v43, v42
	v_lshrrev_b32_e32 v43, 16, v42
.LBB842_311:
	s_or_b64 exec, exec, s[10:11]
.LBB842_312:
	s_or_b64 exec, exec, s[8:9]
.LBB842_313:
	s_or_b64 exec, exec, s[2:3]
	s_movk_i32 s2, 0xff
	v_and_b32_sdwa v45, v22, s2 dst_sel:DWORD dst_unused:UNUSED_PAD src0_sel:WORD_1 src1_sel:DWORD
	v_lshrrev_b32_e32 v42, 16, v22
	v_cmp_ne_u16_e32 vcc, 0, v45
	s_and_saveexec_b64 s[2:3], vcc
	s_cbranch_execz .LBB842_319
; %bb.314:
	s_movk_i32 s8, 0x80
	v_cmp_ne_u16_e32 vcc, s8, v45
	v_mov_b32_e32 v44, 0xffff8000
	s_and_saveexec_b64 s[8:9], vcc
	s_cbranch_execz .LBB842_318
; %bb.315:
	v_bfe_u32 v45, v22, 16, 7
	s_movk_i32 s10, 0x7f
	v_cmp_ne_u32_e32 vcc, s10, v45
	v_mov_b32_e32 v44, 0x7f80
	s_and_saveexec_b64 s[10:11], vcc
	s_cbranch_execz .LBB842_317
; %bb.316:
	v_and_b32_e32 v44, 7, v42
	v_ffbh_u32_e32 v53, v44
	v_min_u32_e32 v53, 32, v53
	v_subrev_u32_e32 v54, 28, v53
	v_lshlrev_b64 v[54:55], v54, v[42:43]
	v_lshrrev_b32_e32 v51, 3, v45
	v_sub_u32_e32 v42, 29, v53
	v_and_b32_e32 v53, 7, v54
	v_cmp_gt_u32_e32 vcc, 8, v45
	v_mov_b32_e32 v45, 24
	v_cndmask_b32_e32 v42, v51, v42, vcc
	v_cndmask_b32_e32 v44, v44, v53, vcc
	v_lshlrev_b32_sdwa v45, v45, v22 dst_sel:DWORD dst_unused:UNUSED_PAD src0_sel:DWORD src1_sel:WORD_1
	v_bfrev_b32_e32 v51, 60
	v_lshlrev_b32_e32 v44, 20, v44
	v_and_b32_e32 v45, 0x80000000, v45
	v_lshl_add_u32 v42, v42, 23, v51
	v_or3_b32 v42, v45, v42, v44
	v_lshrrev_b32_e32 v44, 16, v42
.LBB842_317:
	s_or_b64 exec, exec, s[10:11]
.LBB842_318:
	s_or_b64 exec, exec, s[8:9]
.LBB842_319:
	s_or_b64 exec, exec, s[2:3]
	s_mov_b32 s2, 0xffffff
	v_cmp_lt_u32_e32 vcc, s2, v22
	v_mov_b32_e32 v45, 0
	v_mov_b32_e32 v51, 0
	s_and_saveexec_b64 s[2:3], vcc
	s_cbranch_execz .LBB842_325
; %bb.320:
	v_lshrrev_b32_e32 v42, 24, v22
	s_movk_i32 s8, 0x80
	v_cmp_ne_u32_e32 vcc, s8, v42
	v_mov_b32_e32 v51, 0xffff8000
	s_and_saveexec_b64 s[8:9], vcc
	s_cbranch_execz .LBB842_324
; %bb.321:
	v_bfe_u32 v22, v22, 24, 7
	s_movk_i32 s10, 0x7f
	v_cmp_ne_u32_e32 vcc, s10, v22
	v_mov_b32_e32 v51, 0x7f80
	s_and_saveexec_b64 s[10:11], vcc
	s_cbranch_execz .LBB842_323
; %bb.322:
	v_and_b32_e32 v51, 7, v42
	v_ffbh_u32_e32 v54, v51
	v_min_u32_e32 v56, 32, v54
	v_subrev_u32_e32 v54, 28, v56
	v_lshlrev_b64 v[54:55], v54, v[42:43]
	v_lshrrev_b32_e32 v53, 3, v22
	v_sub_u32_e32 v55, 29, v56
	v_and_b32_e32 v54, 7, v54
	v_cmp_gt_u32_e32 vcc, 8, v22
	v_cndmask_b32_e32 v22, v53, v55, vcc
	v_cndmask_b32_e32 v51, v51, v54, vcc
	v_lshlrev_b32_e32 v42, 24, v42
	v_bfrev_b32_e32 v53, 60
	v_lshlrev_b32_e32 v51, 20, v51
	v_and_b32_e32 v42, 0x80000000, v42
	v_lshl_add_u32 v22, v22, 23, v53
	v_or3_b32 v22, v42, v22, v51
	v_lshrrev_b32_e32 v51, 16, v22
.LBB842_323:
	s_or_b64 exec, exec, s[10:11]
.LBB842_324:
	s_or_b64 exec, exec, s[8:9]
.LBB842_325:
	s_or_b64 exec, exec, s[2:3]
	v_cmp_ne_u16_sdwa s[8:9], v23, v45 src0_sel:BYTE_0 src1_sel:DWORD
	s_and_saveexec_b64 s[2:3], s[8:9]
	s_cbranch_execz .LBB842_331
; %bb.326:
	s_movk_i32 s8, 0x80
	v_cmp_ne_u16_sdwa s[10:11], v23, s8 src0_sel:BYTE_0 src1_sel:DWORD
	v_mov_b32_e32 v45, 0xffff8000
	s_and_saveexec_b64 s[8:9], s[10:11]
	s_cbranch_execz .LBB842_330
; %bb.327:
	s_movk_i32 s10, 0x7f
	v_and_b32_e32 v22, 0x7f, v23
	v_cmp_ne_u32_e32 vcc, s10, v22
	v_mov_b32_e32 v45, 0x7f80
	s_and_saveexec_b64 s[10:11], vcc
	s_cbranch_execz .LBB842_329
; %bb.328:
	v_and_b32_e32 v45, 7, v23
	v_ffbh_u32_e32 v54, v45
	v_min_u32_e32 v56, 32, v54
	v_mov_b32_e32 v42, v23
	v_subrev_u32_e32 v54, 28, v56
	v_lshlrev_b64 v[54:55], v54, v[42:43]
	v_lshrrev_b32_e32 v53, 3, v22
	v_sub_u32_e32 v42, 29, v56
	v_and_b32_e32 v54, 7, v54
	v_cmp_gt_u32_e32 vcc, 8, v22
	v_cndmask_b32_e32 v22, v53, v42, vcc
	v_cndmask_b32_e32 v42, v45, v54, vcc
	v_lshlrev_b32_e32 v45, 24, v23
	v_bfrev_b32_e32 v53, 60
	v_lshlrev_b32_e32 v42, 20, v42
	v_and_b32_e32 v45, 0x80000000, v45
	v_lshl_add_u32 v22, v22, 23, v53
	v_or3_b32 v22, v45, v22, v42
	v_lshrrev_b32_e32 v45, 16, v22
.LBB842_329:
	s_or_b64 exec, exec, s[10:11]
.LBB842_330:
	s_or_b64 exec, exec, s[8:9]
.LBB842_331:
	s_or_b64 exec, exec, s[2:3]
	v_lshrrev_b16_e32 v22, 8, v23
	v_cmp_ne_u16_e32 vcc, 0, v22
	v_mov_b32_e32 v54, 0
	v_mov_b32_e32 v53, 0
	s_and_saveexec_b64 s[2:3], vcc
	s_cbranch_execz .LBB842_337
; %bb.332:
	s_movk_i32 s8, 0x80
	v_cmp_ne_u16_e32 vcc, s8, v22
	v_mov_b32_e32 v53, 0xffff8000
	s_and_saveexec_b64 s[8:9], vcc
	s_cbranch_execz .LBB842_336
; %bb.333:
	s_movk_i32 s10, 0x7f
	v_and_b32_e32 v42, 0x7f, v22
	v_cmp_ne_u32_e32 vcc, s10, v42
	v_mov_b32_e32 v53, 0x7f80
	s_and_saveexec_b64 s[10:11], vcc
	s_cbranch_execz .LBB842_335
; %bb.334:
	v_and_b32_e32 v53, 7, v22
	v_ffbh_u32_e32 v56, v53
	v_min_u32_e32 v58, 32, v56
	v_subrev_u32_e32 v56, 28, v58
	v_lshlrev_b64 v[56:57], v56, v[22:23]
	v_lshrrev_b32_e32 v55, 3, v42
	v_sub_u32_e32 v22, 29, v58
	v_and_b32_e32 v56, 7, v56
	v_cmp_gt_u32_e32 vcc, 8, v42
	v_cndmask_b32_e32 v22, v55, v22, vcc
	v_cndmask_b32_e32 v42, v53, v56, vcc
	v_lshlrev_b32_e32 v53, 16, v23
	v_bfrev_b32_e32 v55, 60
	v_lshlrev_b32_e32 v42, 20, v42
	v_and_b32_e32 v53, 0x80000000, v53
	v_lshl_add_u32 v22, v22, 23, v55
	v_or3_b32 v22, v53, v22, v42
	v_lshrrev_b32_e32 v53, 16, v22
.LBB842_335:
	s_or_b64 exec, exec, s[10:11]
.LBB842_336:
	s_or_b64 exec, exec, s[8:9]
.LBB842_337:
	s_or_b64 exec, exec, s[2:3]
	s_movk_i32 s2, 0xff
	v_and_b32_sdwa v42, v23, s2 dst_sel:DWORD dst_unused:UNUSED_PAD src0_sel:WORD_1 src1_sel:DWORD
	v_lshrrev_b32_e32 v22, 16, v23
	v_cmp_ne_u16_e32 vcc, 0, v42
	s_and_saveexec_b64 s[2:3], vcc
	s_cbranch_execz .LBB842_343
; %bb.338:
	s_movk_i32 s8, 0x80
	v_cmp_ne_u16_e32 vcc, s8, v42
	v_mov_b32_e32 v54, 0xffff8000
	s_and_saveexec_b64 s[8:9], vcc
	s_cbranch_execz .LBB842_342
; %bb.339:
	v_bfe_u32 v42, v23, 16, 7
	s_movk_i32 s10, 0x7f
	v_cmp_ne_u32_e32 vcc, s10, v42
	v_mov_b32_e32 v54, 0x7f80
	s_and_saveexec_b64 s[10:11], vcc
	s_cbranch_execz .LBB842_341
; %bb.340:
	v_and_b32_e32 v56, 7, v22
	v_ffbh_u32_e32 v54, v56
	v_min_u32_e32 v58, 32, v54
	v_subrev_u32_e32 v54, 28, v58
	v_lshlrev_b64 v[54:55], v54, v[22:23]
	v_and_b32_e32 v54, 7, v54
	v_cmp_gt_u32_e32 vcc, 8, v42
	v_lshrrev_b32_e32 v57, 3, v42
	v_sub_u32_e32 v22, 29, v58
	v_cndmask_b32_e32 v42, v56, v54, vcc
	v_mov_b32_e32 v54, 24
	v_cndmask_b32_e32 v22, v57, v22, vcc
	v_lshlrev_b32_sdwa v54, v54, v23 dst_sel:DWORD dst_unused:UNUSED_PAD src0_sel:DWORD src1_sel:WORD_1
	v_bfrev_b32_e32 v55, 60
	v_lshlrev_b32_e32 v42, 20, v42
	v_and_b32_e32 v54, 0x80000000, v54
	v_lshl_add_u32 v22, v22, 23, v55
	v_or3_b32 v22, v54, v22, v42
	v_lshrrev_b32_e32 v54, 16, v22
.LBB842_341:
	s_or_b64 exec, exec, s[10:11]
.LBB842_342:
	s_or_b64 exec, exec, s[8:9]
.LBB842_343:
	s_or_b64 exec, exec, s[2:3]
	s_mov_b32 s2, 0xffffff
	v_cmp_lt_u32_e32 vcc, s2, v23
	v_mov_b32_e32 v42, 0
	v_mov_b32_e32 v55, 0
	s_and_saveexec_b64 s[2:3], vcc
	s_cbranch_execz .LBB842_349
; %bb.344:
	v_lshrrev_b32_e32 v22, 24, v23
	s_movk_i32 s8, 0x80
	v_cmp_ne_u32_e32 vcc, s8, v22
	v_mov_b32_e32 v55, 0xffff8000
	s_and_saveexec_b64 s[8:9], vcc
	s_cbranch_execz .LBB842_348
; %bb.345:
	v_bfe_u32 v23, v23, 24, 7
	s_movk_i32 s10, 0x7f
	v_cmp_ne_u32_e32 vcc, s10, v23
	v_mov_b32_e32 v55, 0x7f80
	s_and_saveexec_b64 s[10:11], vcc
	s_cbranch_execz .LBB842_347
; %bb.346:
	v_and_b32_e32 v55, 7, v22
	v_ffbh_u32_e32 v56, v55
	v_min_u32_e32 v59, 32, v56
	v_subrev_u32_e32 v56, 28, v59
	v_lshlrev_b64 v[56:57], v56, v[22:23]
	v_lshrrev_b32_e32 v58, 3, v23
	v_sub_u32_e32 v57, 29, v59
	v_and_b32_e32 v56, 7, v56
	v_cmp_gt_u32_e32 vcc, 8, v23
	v_cndmask_b32_e32 v23, v58, v57, vcc
	v_cndmask_b32_e32 v55, v55, v56, vcc
	v_lshlrev_b32_e32 v22, 24, v22
	v_bfrev_b32_e32 v56, 60
	v_lshlrev_b32_e32 v55, 20, v55
	v_and_b32_e32 v22, 0x80000000, v22
	v_lshl_add_u32 v23, v23, 23, v56
	v_or3_b32 v22, v22, v23, v55
	v_lshrrev_b32_e32 v55, 16, v22
.LBB842_347:
	s_or_b64 exec, exec, s[10:11]
.LBB842_348:
	s_or_b64 exec, exec, s[8:9]
.LBB842_349:
	s_or_b64 exec, exec, s[2:3]
	s_mov_b32 s2, 0x5040100
	v_perm_b32 v23, v51, v44, s2
	v_perm_b32 v22, v43, v52, s2
	v_cmp_ne_u16_sdwa s[8:9], v24, v42 src0_sel:BYTE_0 src1_sel:DWORD
	s_nop 0
	v_mfma_f32_16x16x16bf16_1k v[56:59], v[22:23], v[26:27], 0
	v_perm_b32 v23, v55, v54, s2
	v_perm_b32 v22, v53, v45, s2
	s_nop 1
	v_mfma_f32_16x16x16bf16_1k v[26:29], v[22:23], v[28:29], v[56:59]
	s_and_saveexec_b64 s[2:3], s[8:9]
	s_cbranch_execz .LBB842_355
; %bb.350:
	s_movk_i32 s8, 0x80
	v_cmp_ne_u16_sdwa s[10:11], v24, s8 src0_sel:BYTE_0 src1_sel:DWORD
	v_mov_b32_e32 v42, 0xffff8000
	s_and_saveexec_b64 s[8:9], s[10:11]
	s_cbranch_execz .LBB842_354
; %bb.351:
	s_movk_i32 s10, 0x7f
	v_and_b32_e32 v22, 0x7f, v24
	v_cmp_ne_u32_e32 vcc, s10, v22
	v_mov_b32_e32 v42, 0x7f80
	s_and_saveexec_b64 s[10:11], vcc
	s_cbranch_execz .LBB842_353
; %bb.352:
	v_and_b32_e32 v23, 7, v24
	v_ffbh_u32_e32 v42, v23
	v_min_u32_e32 v45, 32, v42
	v_subrev_u32_e32 v42, 28, v45
	v_lshlrev_b64 v[42:43], v42, v[24:25]
	v_lshrrev_b32_e32 v44, 3, v22
	v_sub_u32_e32 v43, 29, v45
	v_and_b32_e32 v42, 7, v42
	v_cmp_gt_u32_e32 vcc, 8, v22
	v_cndmask_b32_e32 v22, v44, v43, vcc
	v_cndmask_b32_e32 v23, v23, v42, vcc
	v_lshlrev_b32_e32 v42, 24, v24
	v_bfrev_b32_e32 v43, 60
	v_lshlrev_b32_e32 v23, 20, v23
	v_and_b32_e32 v42, 0x80000000, v42
	v_lshl_add_u32 v22, v22, 23, v43
	v_or3_b32 v22, v42, v22, v23
	v_lshrrev_b32_e32 v42, 16, v22
.LBB842_353:
	s_or_b64 exec, exec, s[10:11]
.LBB842_354:
	s_or_b64 exec, exec, s[8:9]
.LBB842_355:
	s_or_b64 exec, exec, s[2:3]
	v_lshrrev_b16_e32 v22, 8, v24
	v_cmp_ne_u16_e32 vcc, 0, v22
	v_mov_b32_e32 v43, 0
	v_mov_b32_e32 v23, 0
	s_and_saveexec_b64 s[2:3], vcc
	s_cbranch_execz .LBB842_361
; %bb.356:
	s_movk_i32 s8, 0x80
	v_cmp_ne_u16_e32 vcc, s8, v22
	v_mov_b32_e32 v23, 0xffff8000
	s_and_saveexec_b64 s[8:9], vcc
	s_cbranch_execz .LBB842_360
; %bb.357:
	s_movk_i32 s10, 0x7f
	v_and_b32_e32 v44, 0x7f, v22
	v_cmp_ne_u32_e32 vcc, s10, v44
	v_mov_b32_e32 v23, 0x7f80
	s_and_saveexec_b64 s[10:11], vcc
	s_cbranch_execz .LBB842_359
; %bb.358:
	v_and_b32_e32 v45, 7, v22
	v_ffbh_u32_e32 v23, v45
	v_min_u32_e32 v52, 32, v23
	v_subrev_u32_e32 v23, 28, v52
	v_lshlrev_b64 v[22:23], v23, v[22:23]
	v_lshrrev_b32_e32 v51, 3, v44
	v_sub_u32_e32 v23, 29, v52
	v_and_b32_e32 v22, 7, v22
	v_cmp_gt_u32_e32 vcc, 8, v44
	v_cndmask_b32_e32 v23, v51, v23, vcc
	v_cndmask_b32_e32 v22, v45, v22, vcc
	v_lshlrev_b32_e32 v44, 16, v24
	v_bfrev_b32_e32 v45, 60
	v_lshlrev_b32_e32 v22, 20, v22
	v_and_b32_e32 v44, 0x80000000, v44
	v_lshl_add_u32 v23, v23, 23, v45
	v_or3_b32 v22, v44, v23, v22
	v_lshrrev_b32_e32 v23, 16, v22
.LBB842_359:
	s_or_b64 exec, exec, s[10:11]
.LBB842_360:
	s_or_b64 exec, exec, s[8:9]
.LBB842_361:
	s_or_b64 exec, exec, s[2:3]
	s_movk_i32 s2, 0xff
	v_and_b32_sdwa v44, v24, s2 dst_sel:DWORD dst_unused:UNUSED_PAD src0_sel:WORD_1 src1_sel:DWORD
	v_lshrrev_b32_e32 v22, 16, v24
	v_cmp_ne_u16_e32 vcc, 0, v44
	s_and_saveexec_b64 s[2:3], vcc
	s_cbranch_execz .LBB842_367
; %bb.362:
	s_movk_i32 s8, 0x80
	v_cmp_ne_u16_e32 vcc, s8, v44
	v_mov_b32_e32 v43, 0xffff8000
	s_and_saveexec_b64 s[8:9], vcc
	s_cbranch_execz .LBB842_366
; %bb.363:
	v_bfe_u32 v44, v24, 16, 7
	s_movk_i32 s10, 0x7f
	v_cmp_ne_u32_e32 vcc, s10, v44
	v_mov_b32_e32 v43, 0x7f80
	s_and_saveexec_b64 s[10:11], vcc
	s_cbranch_execz .LBB842_365
; %bb.364:
	v_and_b32_e32 v43, 7, v22
	v_ffbh_u32_e32 v51, v43
	v_min_u32_e32 v51, 32, v51
	v_subrev_u32_e32 v52, 28, v51
	v_lshlrev_b64 v[52:53], v52, v[22:23]
	v_lshrrev_b32_e32 v45, 3, v44
	v_sub_u32_e32 v22, 29, v51
	v_and_b32_e32 v51, 7, v52
	v_cmp_gt_u32_e32 vcc, 8, v44
	v_mov_b32_e32 v44, 24
	v_cndmask_b32_e32 v22, v45, v22, vcc
	v_cndmask_b32_e32 v43, v43, v51, vcc
	v_lshlrev_b32_sdwa v44, v44, v24 dst_sel:DWORD dst_unused:UNUSED_PAD src0_sel:DWORD src1_sel:WORD_1
	v_bfrev_b32_e32 v45, 60
	v_lshlrev_b32_e32 v43, 20, v43
	v_and_b32_e32 v44, 0x80000000, v44
	v_lshl_add_u32 v22, v22, 23, v45
	v_or3_b32 v22, v44, v22, v43
	v_lshrrev_b32_e32 v43, 16, v22
.LBB842_365:
	s_or_b64 exec, exec, s[10:11]
.LBB842_366:
	s_or_b64 exec, exec, s[8:9]
.LBB842_367:
	s_or_b64 exec, exec, s[2:3]
	s_mov_b32 s2, 0xffffff
	v_cmp_lt_u32_e32 vcc, s2, v24
	v_mov_b32_e32 v45, 0
	v_mov_b32_e32 v51, 0
	s_and_saveexec_b64 s[2:3], vcc
	s_cbranch_execz .LBB842_373
; %bb.368:
	v_lshrrev_b32_e32 v22, 24, v24
	s_movk_i32 s8, 0x80
	v_cmp_ne_u32_e32 vcc, s8, v22
	v_mov_b32_e32 v51, 0xffff8000
	s_and_saveexec_b64 s[8:9], vcc
	s_cbranch_execz .LBB842_372
; %bb.369:
	v_bfe_u32 v24, v24, 24, 7
	s_movk_i32 s10, 0x7f
	v_cmp_ne_u32_e32 vcc, s10, v24
	v_mov_b32_e32 v51, 0x7f80
	s_and_saveexec_b64 s[10:11], vcc
	s_cbranch_execz .LBB842_371
; %bb.370:
	v_and_b32_e32 v44, 7, v22
	v_ffbh_u32_e32 v52, v44
	v_min_u32_e32 v54, 32, v52
	v_subrev_u32_e32 v52, 28, v54
	v_lshlrev_b64 v[52:53], v52, v[22:23]
	v_lshrrev_b32_e32 v51, 3, v24
	v_sub_u32_e32 v53, 29, v54
	v_and_b32_e32 v52, 7, v52
	v_cmp_gt_u32_e32 vcc, 8, v24
	v_cndmask_b32_e32 v24, v51, v53, vcc
	v_cndmask_b32_e32 v44, v44, v52, vcc
	v_lshlrev_b32_e32 v22, 24, v22
	v_bfrev_b32_e32 v51, 60
	v_lshlrev_b32_e32 v44, 20, v44
	v_and_b32_e32 v22, 0x80000000, v22
	v_lshl_add_u32 v24, v24, 23, v51
	v_or3_b32 v22, v22, v24, v44
	v_lshrrev_b32_e32 v51, 16, v22
.LBB842_371:
	s_or_b64 exec, exec, s[10:11]
.LBB842_372:
	s_or_b64 exec, exec, s[8:9]
.LBB842_373:
	s_or_b64 exec, exec, s[2:3]
	v_cmp_ne_u16_sdwa s[8:9], v25, v45 src0_sel:BYTE_0 src1_sel:DWORD
	s_and_saveexec_b64 s[2:3], s[8:9]
	s_cbranch_execz .LBB842_379
; %bb.374:
	s_movk_i32 s8, 0x80
	v_cmp_ne_u16_sdwa s[10:11], v25, s8 src0_sel:BYTE_0 src1_sel:DWORD
	v_mov_b32_e32 v45, 0xffff8000
	s_and_saveexec_b64 s[8:9], s[10:11]
	s_cbranch_execz .LBB842_378
; %bb.375:
	s_movk_i32 s10, 0x7f
	v_and_b32_e32 v22, 0x7f, v25
	v_cmp_ne_u32_e32 vcc, s10, v22
	v_mov_b32_e32 v45, 0x7f80
	s_and_saveexec_b64 s[10:11], vcc
	s_cbranch_execz .LBB842_377
; %bb.376:
	v_and_b32_e32 v52, 7, v25
	v_ffbh_u32_e32 v44, v52
	v_min_u32_e32 v54, 32, v44
	v_mov_b32_e32 v24, v25
	v_subrev_u32_e32 v44, 28, v54
	v_lshlrev_b64 v[44:45], v44, v[24:25]
	v_lshrrev_b32_e32 v53, 3, v22
	v_sub_u32_e32 v24, 29, v54
	v_and_b32_e32 v44, 7, v44
	v_cmp_gt_u32_e32 vcc, 8, v22
	v_cndmask_b32_e32 v22, v53, v24, vcc
	v_cndmask_b32_e32 v24, v52, v44, vcc
	v_lshlrev_b32_e32 v44, 24, v25
	v_bfrev_b32_e32 v45, 60
	v_lshlrev_b32_e32 v24, 20, v24
	v_and_b32_e32 v44, 0x80000000, v44
	v_lshl_add_u32 v22, v22, 23, v45
	v_or3_b32 v22, v44, v22, v24
	v_lshrrev_b32_e32 v45, 16, v22
.LBB842_377:
	s_or_b64 exec, exec, s[10:11]
.LBB842_378:
	s_or_b64 exec, exec, s[8:9]
.LBB842_379:
	s_or_b64 exec, exec, s[2:3]
	v_lshrrev_b16_e32 v22, 8, v25
	v_cmp_ne_u16_e32 vcc, 0, v22
	v_mov_b32_e32 v53, 0
	v_mov_b32_e32 v52, 0
	s_and_saveexec_b64 s[2:3], vcc
	s_cbranch_execz .LBB842_385
; %bb.380:
	s_movk_i32 s8, 0x80
	v_cmp_ne_u16_e32 vcc, s8, v22
	v_mov_b32_e32 v52, 0xffff8000
	s_and_saveexec_b64 s[8:9], vcc
	s_cbranch_execz .LBB842_384
; %bb.381:
	s_movk_i32 s10, 0x7f
	v_and_b32_e32 v24, 0x7f, v22
	v_cmp_ne_u32_e32 vcc, s10, v24
	v_mov_b32_e32 v52, 0x7f80
	s_and_saveexec_b64 s[10:11], vcc
	s_cbranch_execz .LBB842_383
; %bb.382:
	v_and_b32_e32 v44, 7, v22
	v_ffbh_u32_e32 v54, v44
	v_min_u32_e32 v56, 32, v54
	v_subrev_u32_e32 v54, 28, v56
	v_lshlrev_b64 v[54:55], v54, v[22:23]
	v_lshrrev_b32_e32 v52, 3, v24
	v_sub_u32_e32 v22, 29, v56
	v_and_b32_e32 v54, 7, v54
	v_cmp_gt_u32_e32 vcc, 8, v24
	v_cndmask_b32_e32 v22, v52, v22, vcc
	v_cndmask_b32_e32 v24, v44, v54, vcc
	v_lshlrev_b32_e32 v44, 16, v25
	v_bfrev_b32_e32 v52, 60
	v_lshlrev_b32_e32 v24, 20, v24
	v_and_b32_e32 v44, 0x80000000, v44
	v_lshl_add_u32 v22, v22, 23, v52
	v_or3_b32 v22, v44, v22, v24
	v_lshrrev_b32_e32 v52, 16, v22
.LBB842_383:
	s_or_b64 exec, exec, s[10:11]
.LBB842_384:
	s_or_b64 exec, exec, s[8:9]
.LBB842_385:
	s_or_b64 exec, exec, s[2:3]
	s_movk_i32 s2, 0xff
	v_and_b32_sdwa v24, v25, s2 dst_sel:DWORD dst_unused:UNUSED_PAD src0_sel:WORD_1 src1_sel:DWORD
	v_lshrrev_b32_e32 v22, 16, v25
	v_cmp_ne_u16_e32 vcc, 0, v24
	s_and_saveexec_b64 s[2:3], vcc
	s_cbranch_execz .LBB842_391
; %bb.386:
	s_movk_i32 s8, 0x80
	v_cmp_ne_u16_e32 vcc, s8, v24
	v_mov_b32_e32 v53, 0xffff8000
	s_and_saveexec_b64 s[8:9], vcc
	s_cbranch_execz .LBB842_390
; %bb.387:
	v_bfe_u32 v24, v25, 16, 7
	s_movk_i32 s10, 0x7f
	v_cmp_ne_u32_e32 vcc, s10, v24
	v_mov_b32_e32 v53, 0x7f80
	s_and_saveexec_b64 s[10:11], vcc
	s_cbranch_execz .LBB842_389
; %bb.388:
	v_and_b32_e32 v44, 7, v22
	v_ffbh_u32_e32 v54, v44
	v_min_u32_e32 v56, 32, v54
	v_subrev_u32_e32 v54, 28, v56
	v_lshlrev_b64 v[54:55], v54, v[22:23]
	v_and_b32_e32 v54, 7, v54
	v_cmp_gt_u32_e32 vcc, 8, v24
	v_lshrrev_b32_e32 v53, 3, v24
	v_sub_u32_e32 v22, 29, v56
	v_cndmask_b32_e32 v24, v44, v54, vcc
	v_mov_b32_e32 v44, 24
	v_cndmask_b32_e32 v22, v53, v22, vcc
	v_lshlrev_b32_sdwa v44, v44, v25 dst_sel:DWORD dst_unused:UNUSED_PAD src0_sel:DWORD src1_sel:WORD_1
	v_bfrev_b32_e32 v53, 60
	v_lshlrev_b32_e32 v24, 20, v24
	v_and_b32_e32 v44, 0x80000000, v44
	v_lshl_add_u32 v22, v22, 23, v53
	v_or3_b32 v22, v44, v22, v24
	v_lshrrev_b32_e32 v53, 16, v22
.LBB842_389:
	s_or_b64 exec, exec, s[10:11]
.LBB842_390:
	s_or_b64 exec, exec, s[8:9]
.LBB842_391:
	s_or_b64 exec, exec, s[2:3]
	s_mov_b32 s2, 0xffffff
	v_and_b32_e32 v44, 63, v0
	v_cmp_lt_u32_e32 vcc, s2, v25
	v_mov_b32_e32 v54, 0
	s_and_saveexec_b64 s[2:3], vcc
	s_cbranch_execz .LBB842_397
; %bb.392:
	v_lshrrev_b32_e32 v22, 24, v25
	s_movk_i32 s8, 0x80
	v_cmp_ne_u32_e32 vcc, s8, v22
	v_mov_b32_e32 v54, 0xffff8000
	s_and_saveexec_b64 s[8:9], vcc
	s_cbranch_execz .LBB842_396
; %bb.393:
	v_bfe_u32 v24, v25, 24, 7
	s_movk_i32 s10, 0x7f
	v_cmp_ne_u32_e32 vcc, s10, v24
	v_mov_b32_e32 v54, 0x7f80
	s_and_saveexec_b64 s[10:11], vcc
	s_cbranch_execz .LBB842_395
; %bb.394:
	v_and_b32_e32 v25, 7, v22
	v_ffbh_u32_e32 v54, v25
	v_min_u32_e32 v57, 32, v54
	v_subrev_u32_e32 v54, 28, v57
	v_lshlrev_b64 v[54:55], v54, v[22:23]
	v_lshrrev_b32_e32 v56, 3, v24
	v_sub_u32_e32 v55, 29, v57
	v_and_b32_e32 v54, 7, v54
	v_cmp_gt_u32_e32 vcc, 8, v24
	v_cndmask_b32_e32 v24, v56, v55, vcc
	v_cndmask_b32_e32 v25, v25, v54, vcc
	v_lshlrev_b32_e32 v22, 24, v22
	v_bfrev_b32_e32 v54, 60
	v_lshlrev_b32_e32 v25, 20, v25
	v_and_b32_e32 v22, 0x80000000, v22
	v_lshl_add_u32 v24, v24, 23, v54
	v_or3_b32 v22, v22, v24, v25
	v_lshrrev_b32_e32 v54, 16, v22
.LBB842_395:
	s_or_b64 exec, exec, s[10:11]
.LBB842_396:
	s_or_b64 exec, exec, s[8:9]
.LBB842_397:
	s_or_b64 exec, exec, s[2:3]
	s_mov_b32 s3, 0x5040100
	v_perm_b32 v43, v51, v43, s3
	v_perm_b32 v42, v23, v42, s3
	s_load_dword s2, s[4:5], 0x1c
	s_mov_b32 s46, 0xff7fffff
	s_waitcnt lgkmcnt(0)
	v_mfma_f32_16x16x16bf16_1k v[26:29], v[42:43], v[18:19], v[26:29]
	v_perm_b32 v19, v54, v53, s3
	v_perm_b32 v18, v52, v45, s3
	v_mov_b32_e32 v22, s2
	v_mul_f32_e32 v56, s12, v22
	v_pk_mul_f32 v[22:23], v[56:57], v[32:33] op_sel_hi:[0,1]
	v_pk_mul_f32 v[32:33], v[56:57], v[38:39] op_sel_hi:[0,1]
	v_and_b32_e32 v38, 0xc0, v0
	v_mfma_f32_16x16x16bf16_1k v[26:29], v[18:19], v[20:21], v[26:29]
	v_add_u32_e32 v38, s18, v38
	v_lshl_or_b32 v38, v1, 2, v38
	v_or_b32_e32 v39, 1, v38
	v_pk_mul_f32 v[24:25], v[56:57], v[30:31] op_sel_hi:[0,1]
	v_pk_mul_f32 v[30:31], v[56:57], v[40:41] op_sel_hi:[0,1]
	v_subrev_u32_e32 v40, s33, v39
	v_pk_mul_f32 v[34:35], v[56:57], v[34:35] op_sel_hi:[0,1]
	s_nop 3
	v_pk_mul_f32 v[20:21], v[56:57], v[26:27] op_sel_hi:[0,1]
	v_add_u32_e32 v27, 1, v40
	v_pk_mul_f32 v[18:19], v[56:57], v[28:29] op_sel_hi:[0,1]
	v_cvt_f32_i32_e32 v27, v27
	v_add_u32_e32 v29, 3, v40
	v_cvt_f32_i32_e32 v29, v29
	v_cvt_f32_i32_e32 v26, v40
	v_pk_mul_f32 v[36:37], v[56:57], v[36:37] op_sel_hi:[0,1]
	v_fmac_f32_e32 v35, v50, v27
	v_add_u32_e32 v27, 16, v40
	v_fmac_f32_e32 v37, v50, v29
	v_cvt_f32_i32_e32 v27, v27
	v_add_u32_e32 v29, 17, v40
	v_fma_f32 v26, v50, v26, v34
	v_cvt_f32_i32_e32 v29, v29
	v_add_u32_e32 v34, 18, v40
	v_cvt_f32_i32_e32 v34, v34
	v_fma_f32 v41, v50, v27, v32
	v_add_u32_e32 v27, 32, v40
	v_fmac_f32_e32 v33, v50, v29
	v_cvt_f32_i32_e32 v27, v27
	v_add_u32_e32 v29, 33, v40
	v_add_u32_e32 v32, 34, v40
	v_fma_f32 v30, v50, v34, v30
	v_cvt_f32_i32_e32 v29, v29
	v_cvt_f32_i32_e32 v32, v32
	v_add_u32_e32 v34, 35, v40
	v_cvt_f32_i32_e32 v34, v34
	v_fma_f32 v24, v50, v27, v24
	v_add_u32_e32 v27, 48, v40
	v_fmac_f32_e32 v25, v50, v29
	v_fma_f32 v22, v50, v32, v22
	v_cvt_f32_i32_e32 v27, v27
	v_add_u32_e32 v29, 49, v40
	v_add_u32_e32 v32, 50, v40
	v_fmac_f32_e32 v23, v50, v34
	v_cvt_f32_i32_e32 v29, v29
	v_cvt_f32_i32_e32 v32, v32
	v_add_u32_e32 v34, 51, v40
	v_add_u32_e32 v28, 2, v40
	v_cvt_f32_i32_e32 v34, v34
	v_cvt_f32_i32_e32 v28, v28
	v_fma_f32 v20, v50, v27, v20
	v_mov_b32_e32 v27, 0xff7fffff
	v_cmp_gt_i32_e64 s[26:27], s33, v38
	v_cmp_gt_i32_e64 s[28:29], s33, v39
	v_fmac_f32_e32 v21, v50, v29
	v_fma_f32 v18, v50, v32, v18
	v_cndmask_b32_e64 v29, v27, v26, s[26:27]
	v_cndmask_b32_e64 v32, v27, v35, s[28:29]
	v_fmac_f32_e32 v19, v50, v34
	v_max3_f32 v29, v29, s46, v32
	v_or_b32_e32 v32, 2, v38
	v_or_b32_e32 v34, 3, v38
	v_fma_f32 v28, v50, v28, v36
	v_cmp_gt_i32_e64 s[30:31], s33, v32
	v_cmp_gt_i32_e64 s[34:35], s33, v34
	v_add_u32_e32 v36, 19, v40
	v_cndmask_b32_e64 v32, v27, v28, s[30:31]
	v_cndmask_b32_e64 v34, v27, v37, s[34:35]
	v_cvt_f32_i32_e32 v36, v36
	v_max3_f32 v29, v29, v32, v34
	v_or_b32_e32 v32, 16, v38
	v_or_b32_e32 v34, 17, v38
	v_cmp_gt_i32_e64 s[36:37], s33, v32
	v_cmp_gt_i32_e64 s[38:39], s33, v34
	v_cndmask_b32_e64 v32, v27, v41, s[36:37]
	v_cndmask_b32_e64 v34, v27, v33, s[38:39]
	v_max3_f32 v29, v29, v32, v34
	v_or_b32_e32 v32, 18, v38
	v_or_b32_e32 v34, 19, v38
	v_fmac_f32_e32 v31, v50, v36
	v_cmp_gt_i32_e64 s[20:21], s33, v32
	v_cmp_gt_i32_e64 s[22:23], s33, v34
	v_cndmask_b32_e64 v32, v27, v30, s[20:21]
	v_cndmask_b32_e64 v34, v27, v31, s[22:23]
	v_max3_f32 v29, v29, v32, v34
	v_or_b32_e32 v32, 32, v38
	v_or_b32_e32 v34, 33, v38
	v_cmp_gt_i32_e64 s[16:17], s33, v32
	v_cmp_gt_i32_e64 s[18:19], s33, v34
	v_cndmask_b32_e64 v32, v27, v24, s[16:17]
	v_cndmask_b32_e64 v34, v27, v25, s[18:19]
	v_max3_f32 v29, v29, v32, v34
	v_or_b32_e32 v32, 34, v38
	v_or_b32_e32 v34, 35, v38
	;; [unrolled: 7-line block ×4, first 2 shown]
	v_cmp_gt_i32_e32 vcc, s33, v32
	v_cmp_gt_i32_e64 s[2:3], s33, v34
	v_cndmask_b32_e32 v32, v27, v18, vcc
	v_cndmask_b32_e64 v27, v27, v19, s[2:3]
	v_max3_f32 v27, v29, v32, v27
	v_mbcnt_lo_u32_b32 v29, -1, 0
	v_mbcnt_hi_u32_b32 v29, -1, v29
	v_and_b32_e32 v32, 64, v29
	v_add_u32_e32 v32, 64, v32
	v_xor_b32_e32 v34, 32, v29
	v_cmp_lt_i32_e64 s[40:41], v34, v32
	v_cndmask_b32_e64 v34, v29, v34, s[40:41]
	v_lshlrev_b32_e32 v36, 2, v34
	ds_bpermute_b32 v34, v36, v27
	s_barrier
	s_waitcnt lgkmcnt(0)
	v_max_f32_e32 v34, v34, v34
	v_max_f32_e32 v27, v27, v34
	v_xor_b32_e32 v34, 16, v29
	v_cmp_lt_i32_e64 s[40:41], v34, v32
	v_cndmask_b32_e64 v29, v29, v34, s[40:41]
	v_lshlrev_b32_e32 v38, 2, v29
	ds_bpermute_b32 v29, v38, v27
	s_waitcnt lgkmcnt(0)
	v_max_f32_e32 v29, v29, v29
	v_max_f32_e32 v32, v27, v29
	v_sub_f32_e32 v26, v26, v32
	v_mul_f32_e32 v26, 0x3fb8aa3b, v26
	v_sub_f32_e32 v27, v35, v32
	v_exp_f32_e32 v26, v26
	v_mul_f32_e32 v27, 0x3fb8aa3b, v27
	v_sub_f32_e32 v28, v28, v32
	v_exp_f32_e32 v27, v27
	v_mul_f32_e32 v28, 0x3fb8aa3b, v28
	v_exp_f32_e32 v28, v28
	v_cndmask_b32_e64 v26, 0, v26, s[26:27]
	v_sub_f32_e32 v34, v37, v32
	v_add_f32_e32 v29, 0, v26
	v_cndmask_b32_e64 v27, 0, v27, s[28:29]
	v_mul_f32_e32 v34, 0x3fb8aa3b, v34
	v_exp_f32_e32 v35, v34
	v_add_f32_e32 v29, v29, v27
	v_cndmask_b32_e64 v34, 0, v28, s[30:31]
	v_add_f32_e32 v28, v29, v34
	v_sub_f32_e32 v29, v41, v32
	v_mul_f32_e32 v29, 0x3fb8aa3b, v29
	v_sub_f32_e32 v33, v33, v32
	v_exp_f32_e32 v29, v29
	v_mul_f32_e32 v33, 0x3fb8aa3b, v33
	v_sub_f32_e32 v30, v30, v32
	v_exp_f32_e32 v33, v33
	;; [unrolled: 3-line block ×3, first 2 shown]
	v_mul_f32_e32 v31, 0x3fb8aa3b, v31
	v_sub_f32_e32 v24, v24, v32
	v_cndmask_b32_e64 v35, 0, v35, s[34:35]
	v_exp_f32_e32 v31, v31
	v_mul_f32_e32 v24, 0x3fb8aa3b, v24
	v_sub_f32_e32 v25, v25, v32
	v_add_f32_e32 v37, v28, v35
	v_cndmask_b32_e64 v28, 0, v29, s[36:37]
	v_exp_f32_e32 v24, v24
	v_mul_f32_e32 v25, 0x3fb8aa3b, v25
	v_sub_f32_e32 v22, v22, v32
	v_add_f32_e32 v37, v37, v28
	;; [unrolled: 5-line block ×7, first 2 shown]
	v_cndmask_b32_e64 v22, 0, v22, s[12:13]
	v_exp_f32_e32 v18, v18
	v_mul_f32_e32 v19, 0x3fb8aa3b, v19
	v_add_f32_e32 v33, v33, v22
	v_cndmask_b32_e64 v23, 0, v23, s[14:15]
	v_exp_f32_e32 v19, v19
	v_add_f32_e32 v33, v33, v23
	v_cndmask_b32_e64 v20, 0, v20, s[8:9]
	v_add_f32_e32 v33, v33, v20
	v_cndmask_b32_e64 v21, 0, v21, s[10:11]
	v_add_f32_e32 v33, v33, v21
	v_cndmask_b32_e32 v18, 0, v18, vcc
	v_add_f32_e32 v33, v33, v18
	v_cndmask_b32_e64 v19, 0, v19, s[2:3]
	v_add_f32_e32 v33, v33, v19
	ds_bpermute_b32 v36, v36, v33
	v_cmp_gt_u32_e64 s[2:3], 16, v44
	s_waitcnt lgkmcnt(0)
	v_add_f32_e32 v36, v33, v36
	ds_bpermute_b32 v37, v38, v36
	v_lshlrev_b32_e32 v33, 2, v48
	s_and_saveexec_b64 s[8:9], s[2:3]
	s_cbranch_execz .LBB842_399
; %bb.398:
	s_waitcnt lgkmcnt(0)
	v_add_f32_e32 v36, v36, v37
	v_lshl_or_b32 v37, v49, 6, v33
	ds_write2st64_b32 v37, v32, v36 offset1:1
.LBB842_399:
	s_or_b64 exec, exec, s[8:9]
	s_waitcnt lgkmcnt(0)
	s_barrier
	ds_read2_b32 v[36:37], v33 offset1:16
	ds_read2_b32 v[38:39], v33 offset0:32 offset1:48
	ds_read2_b32 v[40:41], v33 offset0:64 offset1:80
	s_mul_i32 s14, s45, 13
	s_waitcnt lgkmcnt(2)
	v_max3_f32 v32, v36, s46, v37
	s_waitcnt lgkmcnt(1)
	v_max3_f32 v32, v32, v38, v39
	v_sub_f32_e32 v36, v36, v32
	v_mul_f32_e32 v36, 0x3fb8aa3b, v36
	v_exp_f32_e32 v42, v36
	v_sub_f32_e32 v36, v37, v32
	v_mul_f32_e32 v36, 0x3fb8aa3b, v36
	v_exp_f32_e32 v43, v36
	;; [unrolled: 3-line block ×3, first 2 shown]
	ds_read2_b32 v[36:37], v33 offset0:96 offset1:112
	v_sub_f32_e32 v33, v39, v32
	v_mul_f32_e32 v33, 0x3fb8aa3b, v33
	v_exp_f32_e32 v39, v33
	s_waitcnt lgkmcnt(1)
	v_fma_f32 v33, v42, v40, 0
	v_fmac_f32_e32 v33, v43, v41
	s_waitcnt lgkmcnt(0)
	v_fmac_f32_e32 v33, v38, v36
	v_fmac_f32_e32 v33, v39, v37
	v_add_f32_e32 v36, 0x358637bd, v33
	v_div_scale_f32 v37, s[8:9], v36, v36, 1.0
	v_rcp_f32_e32 v40, v37
	s_movk_i32 s8, 0x7fff
	s_mov_b32 s9, 0x7060302
	v_fma_f32 v41, -v37, v40, 1.0
	v_fmac_f32_e32 v40, v41, v40
	v_div_scale_f32 v41, vcc, 1.0, v36, 1.0
	v_mul_f32_e32 v44, v41, v40
	v_fma_f32 v45, -v37, v44, v41
	v_fmac_f32_e32 v44, v45, v40
	v_fma_f32 v37, -v37, v44, v41
	v_div_fmas_f32 v37, v37, v40, v44
	v_cmp_eq_u32_e32 vcc, 1, v49
	v_div_fixup_f32 v36, v37, v36, 1.0
	v_cndmask_b32_e32 v37, v42, v43, vcc
	v_cmp_eq_u32_e32 vcc, 2, v49
	v_cndmask_b32_e32 v37, v37, v38, vcc
	v_cmp_eq_u32_e32 vcc, 3, v49
	v_cndmask_b32_e32 v37, v37, v39, vcc
	v_mul_f32_e32 v36, v37, v36
	v_pk_mul_f32 v[26:27], v[36:37], v[26:27] op_sel_hi:[0,1]
	v_pk_mul_f32 v[34:35], v[36:37], v[34:35] op_sel_hi:[0,1]
	v_bfe_u32 v37, v27, 16, 1
	v_bfe_u32 v38, v26, 16, 1
	v_add3_u32 v26, v26, v38, s8
	v_add3_u32 v27, v27, v37, s8
	v_perm_b32 v38, v27, v26, s9
	v_bfe_u32 v26, v35, 16, 1
	v_bfe_u32 v27, v34, 16, 1
	v_add3_u32 v27, v34, v27, s8
	v_add3_u32 v26, v35, v26, s8
	v_perm_b32 v39, v26, v27, s9
	v_lshlrev_b32_e32 v26, 3, v1
	v_lshlrev_b32_e32 v27, 5, v48
	;; [unrolled: 1-line block ×3, first 2 shown]
	v_pk_mul_f32 v[28:29], v[36:37], v[28:29] op_sel_hi:[0,1]
	v_or3_b32 v26, v34, v27, v26
	v_bfe_u32 v34, v29, 16, 1
	v_bfe_u32 v35, v28, 16, 1
	v_pk_mul_f32 v[30:31], v[36:37], v[30:31] op_sel_hi:[0,1]
	v_add3_u32 v28, v28, v35, s8
	v_add3_u32 v29, v29, v34, s8
	v_perm_b32 v28, v29, v28, s9
	v_bfe_u32 v29, v31, 16, 1
	v_bfe_u32 v34, v30, 16, 1
	v_add3_u32 v30, v30, v34, s8
	v_add3_u32 v29, v31, v29, s8
	v_perm_b32 v29, v29, v30, s9
	v_pk_mul_f32 v[24:25], v[36:37], v[24:25] op_sel_hi:[0,1]
	s_barrier
	ds_write2st64_b64 v26, v[38:39], v[28:29] offset1:1
	v_bfe_u32 v28, v25, 16, 1
	v_bfe_u32 v29, v24, 16, 1
	v_pk_mul_f32 v[22:23], v[36:37], v[22:23] op_sel_hi:[0,1]
	v_add3_u32 v24, v24, v29, s8
	v_add3_u32 v25, v25, v28, s8
	v_perm_b32 v24, v25, v24, s9
	v_bfe_u32 v25, v23, 16, 1
	v_bfe_u32 v28, v22, 16, 1
	v_add3_u32 v22, v22, v28, s8
	v_add3_u32 v23, v23, v25, s8
	v_pk_mul_f32 v[20:21], v[36:37], v[20:21] op_sel_hi:[0,1]
	v_perm_b32 v25, v23, v22, s9
	v_bfe_u32 v22, v21, 16, 1
	v_bfe_u32 v23, v20, 16, 1
	v_pk_mul_f32 v[18:19], v[36:37], v[18:19] op_sel_hi:[0,1]
	v_add3_u32 v20, v20, v23, s8
	v_add3_u32 v21, v21, v22, s8
	v_perm_b32 v20, v21, v20, s9
	v_bfe_u32 v21, v19, 16, 1
	v_bfe_u32 v22, v18, 16, 1
	v_add3_u32 v18, v18, v22, s8
	v_add3_u32 v19, v19, v21, s8
	v_perm_b32 v21, v19, v18, s9
	v_cmp_gt_u32_e32 vcc, 13, v0
	ds_write2st64_b64 v26, v[24:25], v[20:21] offset0:2 offset1:3
	s_and_saveexec_b64 s[8:9], vcc
	s_cbranch_execz .LBB842_401
; %bb.400:
	v_add_co_u32_e32 v20, vcc, s25, v48
	v_addc_co_u32_e64 v21, s[10:11], 0, 0, vcc
	v_mov_b32_e32 v18, s14
	v_mov_b32_e32 v19, 0
	v_mad_u64_u32 v[20:21], s[10:11], s6, v18, v[20:21]
	v_mov_b32_e32 v18, s24
	s_load_dwordx4 s[16:19], s[4:5], 0x58
	s_mul_i32 s7, s7, s14
	v_mad_u64_u32 v[18:19], s[10:11], v20, s44, v[18:19]
	v_add_u32_e32 v21, s7, v21
	v_mov_b32_e32 v20, v19
	v_mad_u64_u32 v[20:21], s[10:11], v21, s44, v[20:21]
	v_mov_b32_e32 v19, v20
	v_lshlrev_b64 v[18:19], 2, v[18:19]
	s_waitcnt lgkmcnt(0)
	v_mov_b32_e32 v21, s19
	v_add_co_u32_e32 v20, vcc, s18, v18
	v_addc_co_u32_e32 v21, vcc, v21, v19, vcc
	global_store_dword v[20:21], v32, off
	v_mov_b32_e32 v20, s17
	v_add_co_u32_e32 v18, vcc, s16, v18
	v_addc_co_u32_e32 v19, vcc, v20, v19, vcc
	global_store_dword v[18:19], v33, off
.LBB842_401:
	s_or_b64 exec, exec, s[8:9]
	v_mov_b32_e32 v19, 0
	s_waitcnt vmcnt(3)
	v_cmp_ne_u16_sdwa s[10:11], v14, v19 src0_sel:BYTE_0 src1_sel:DWORD
	v_mov_b32_e32 v20, 0
	s_waitcnt lgkmcnt(0)
	s_barrier
	s_and_saveexec_b64 s[8:9], s[10:11]
	s_cbranch_execz .LBB842_407
; %bb.402:
	s_movk_i32 s7, 0x80
	v_cmp_ne_u16_sdwa s[12:13], v14, s7 src0_sel:BYTE_0 src1_sel:DWORD
	v_mov_b32_e32 v20, 0xffff8000
	s_and_saveexec_b64 s[10:11], s[12:13]
	s_cbranch_execz .LBB842_406
; %bb.403:
	s_movk_i32 s7, 0x7f
	v_and_b32_e32 v18, 0x7f, v14
	v_cmp_ne_u32_e32 vcc, s7, v18
	v_mov_b32_e32 v20, 0x7f80
	s_and_saveexec_b64 s[12:13], vcc
	s_cbranch_execz .LBB842_405
; %bb.404:
	v_and_b32_e32 v22, 7, v14
	v_ffbh_u32_e32 v20, v22
	v_min_u32_e32 v24, 32, v20
	v_subrev_u32_e32 v20, 28, v24
	v_lshlrev_b64 v[20:21], v20, v[14:15]
	v_lshrrev_b32_e32 v23, 3, v18
	v_sub_u32_e32 v21, 29, v24
	v_and_b32_e32 v20, 7, v20
	v_cmp_gt_u32_e32 vcc, 8, v18
	v_cndmask_b32_e32 v18, v23, v21, vcc
	v_cndmask_b32_e32 v20, v22, v20, vcc
	v_lshlrev_b32_e32 v21, 24, v14
	v_bfrev_b32_e32 v22, 60
	v_lshlrev_b32_e32 v20, 20, v20
	v_and_b32_e32 v21, 0x80000000, v21
	v_lshl_add_u32 v18, v18, 23, v22
	v_or3_b32 v18, v21, v18, v20
	v_lshrrev_b32_e32 v20, 16, v18
.LBB842_405:
	s_or_b64 exec, exec, s[12:13]
.LBB842_406:
	s_or_b64 exec, exec, s[10:11]
.LBB842_407:
	s_or_b64 exec, exec, s[8:9]
	v_lshrrev_b16_e32 v18, 8, v14
	v_cmp_ne_u16_e32 vcc, 0, v18
	s_and_saveexec_b64 s[8:9], vcc
	s_cbranch_execz .LBB842_413
; %bb.408:
	s_movk_i32 s7, 0x80
	v_cmp_ne_u16_e32 vcc, s7, v18
	v_mov_b32_e32 v19, 0xffff8000
	s_and_saveexec_b64 s[10:11], vcc
	s_cbranch_execz .LBB842_412
; %bb.409:
	s_movk_i32 s7, 0x7f
	v_and_b32_e32 v21, 0x7f, v18
	v_cmp_ne_u32_e32 vcc, s7, v21
	v_mov_b32_e32 v19, 0x7f80
	s_and_saveexec_b64 s[12:13], vcc
	s_cbranch_execz .LBB842_411
; %bb.410:
	v_and_b32_e32 v22, 7, v18
	v_ffbh_u32_e32 v19, v22
	v_min_u32_e32 v24, 32, v19
	v_subrev_u32_e32 v19, 28, v24
	v_lshlrev_b64 v[18:19], v19, v[18:19]
	v_lshrrev_b32_e32 v23, 3, v21
	v_sub_u32_e32 v19, 29, v24
	v_and_b32_e32 v18, 7, v18
	v_cmp_gt_u32_e32 vcc, 8, v21
	v_cndmask_b32_e32 v19, v23, v19, vcc
	v_cndmask_b32_e32 v18, v22, v18, vcc
	v_lshlrev_b32_e32 v21, 16, v14
	v_bfrev_b32_e32 v22, 60
	v_lshlrev_b32_e32 v18, 20, v18
	v_and_b32_e32 v21, 0x80000000, v21
	v_lshl_add_u32 v19, v19, 23, v22
	v_or3_b32 v18, v21, v19, v18
	v_lshrrev_b32_e32 v19, 16, v18
.LBB842_411:
	s_or_b64 exec, exec, s[12:13]
.LBB842_412:
	s_or_b64 exec, exec, s[10:11]
.LBB842_413:
	s_or_b64 exec, exec, s[8:9]
	s_movk_i32 s7, 0xff
	v_and_b32_sdwa v23, v14, s7 dst_sel:DWORD dst_unused:UNUSED_PAD src0_sel:WORD_1 src1_sel:DWORD
	v_lshrrev_b32_e32 v18, 16, v14
	v_cmp_ne_u16_e32 vcc, 0, v23
	v_mov_b32_e32 v21, 0
	v_mov_b32_e32 v22, 0
	s_and_saveexec_b64 s[8:9], vcc
	s_cbranch_execz .LBB842_419
; %bb.414:
	s_movk_i32 s7, 0x80
	v_cmp_ne_u16_e32 vcc, s7, v23
	v_mov_b32_e32 v22, 0xffff8000
	s_and_saveexec_b64 s[10:11], vcc
	s_cbranch_execz .LBB842_418
; %bb.415:
	v_bfe_u32 v23, v14, 16, 7
	s_movk_i32 s7, 0x7f
	v_cmp_ne_u32_e32 vcc, s7, v23
	v_mov_b32_e32 v22, 0x7f80
	s_and_saveexec_b64 s[12:13], vcc
	s_cbranch_execz .LBB842_417
; %bb.416:
	v_and_b32_e32 v22, 7, v18
	v_ffbh_u32_e32 v24, v22
	v_min_u32_e32 v29, 32, v24
	v_subrev_u32_e32 v24, 28, v29
	v_lshlrev_b64 v[24:25], v24, v[18:19]
	v_lshrrev_b32_e32 v28, 3, v23
	v_sub_u32_e32 v18, 29, v29
	v_and_b32_e32 v24, 7, v24
	v_cmp_gt_u32_e32 vcc, 8, v23
	v_mov_b32_e32 v23, 24
	v_cndmask_b32_e32 v18, v28, v18, vcc
	v_cndmask_b32_e32 v22, v22, v24, vcc
	v_lshlrev_b32_sdwa v23, v23, v14 dst_sel:DWORD dst_unused:UNUSED_PAD src0_sel:DWORD src1_sel:WORD_1
	v_bfrev_b32_e32 v24, 60
	v_lshlrev_b32_e32 v22, 20, v22
	v_and_b32_e32 v23, 0x80000000, v23
	v_lshl_add_u32 v18, v18, 23, v24
	v_or3_b32 v18, v23, v18, v22
	v_lshrrev_b32_e32 v22, 16, v18
.LBB842_417:
	s_or_b64 exec, exec, s[12:13]
.LBB842_418:
	s_or_b64 exec, exec, s[10:11]
.LBB842_419:
	s_or_b64 exec, exec, s[8:9]
	s_mov_b32 s7, 0xffffff
	v_cmp_lt_u32_e32 vcc, s7, v14
	s_and_saveexec_b64 s[8:9], vcc
	s_cbranch_execz .LBB842_425
; %bb.420:
	v_lshrrev_b32_e32 v18, 24, v14
	s_movk_i32 s7, 0x80
	v_cmp_ne_u32_e32 vcc, s7, v18
	v_mov_b32_e32 v21, 0xffff8000
	s_and_saveexec_b64 s[10:11], vcc
	s_cbranch_execz .LBB842_424
; %bb.421:
	v_bfe_u32 v14, v14, 24, 7
	s_movk_i32 s7, 0x7f
	v_cmp_ne_u32_e32 vcc, s7, v14
	v_mov_b32_e32 v21, 0x7f80
	s_and_saveexec_b64 s[12:13], vcc
	s_cbranch_execz .LBB842_423
; %bb.422:
	v_and_b32_e32 v21, 7, v18
	v_ffbh_u32_e32 v24, v21
	v_min_u32_e32 v28, 32, v24
	v_subrev_u32_e32 v24, 28, v28
	v_lshlrev_b64 v[24:25], v24, v[18:19]
	v_lshrrev_b32_e32 v23, 3, v14
	v_sub_u32_e32 v25, 29, v28
	v_and_b32_e32 v24, 7, v24
	v_cmp_gt_u32_e32 vcc, 8, v14
	v_cndmask_b32_e32 v14, v23, v25, vcc
	v_cndmask_b32_e32 v21, v21, v24, vcc
	v_lshlrev_b32_e32 v18, 24, v18
	v_bfrev_b32_e32 v23, 60
	v_lshlrev_b32_e32 v21, 20, v21
	v_and_b32_e32 v18, 0x80000000, v18
	v_lshl_add_u32 v14, v14, 23, v23
	v_or3_b32 v14, v18, v14, v21
	v_lshrrev_b32_e32 v21, 16, v14
.LBB842_423:
	s_or_b64 exec, exec, s[12:13]
.LBB842_424:
	s_or_b64 exec, exec, s[10:11]
.LBB842_425:
	s_or_b64 exec, exec, s[8:9]
	v_mov_b32_e32 v18, 0
	v_cmp_ne_u16_sdwa s[10:11], v15, v18 src0_sel:BYTE_0 src1_sel:DWORD
	v_mov_b32_e32 v23, 0
	s_and_saveexec_b64 s[8:9], s[10:11]
	s_cbranch_execz .LBB842_431
; %bb.426:
	s_movk_i32 s7, 0x80
	v_cmp_ne_u16_sdwa s[12:13], v15, s7 src0_sel:BYTE_0 src1_sel:DWORD
	v_mov_b32_e32 v23, 0xffff8000
	s_and_saveexec_b64 s[10:11], s[12:13]
	s_cbranch_execz .LBB842_430
; %bb.427:
	s_movk_i32 s7, 0x7f
	v_and_b32_e32 v14, 0x7f, v15
	v_cmp_ne_u32_e32 vcc, s7, v14
	v_mov_b32_e32 v23, 0x7f80
	s_and_saveexec_b64 s[12:13], vcc
	s_cbranch_execz .LBB842_429
; %bb.428:
	v_and_b32_e32 v23, 7, v15
	v_ffbh_u32_e32 v25, v23
	v_min_u32_e32 v29, 32, v25
	v_mov_b32_e32 v24, v15
	v_subrev_u32_e32 v25, 28, v29
	v_lshlrev_b64 v[24:25], v25, v[24:25]
	v_lshrrev_b32_e32 v28, 3, v14
	v_sub_u32_e32 v25, 29, v29
	v_and_b32_e32 v24, 7, v24
	v_cmp_gt_u32_e32 vcc, 8, v14
	v_cndmask_b32_e32 v14, v28, v25, vcc
	v_cndmask_b32_e32 v23, v23, v24, vcc
	v_lshlrev_b32_e32 v24, 24, v15
	v_bfrev_b32_e32 v25, 60
	v_lshlrev_b32_e32 v23, 20, v23
	v_and_b32_e32 v24, 0x80000000, v24
	v_lshl_add_u32 v14, v14, 23, v25
	v_or3_b32 v14, v24, v14, v23
	v_lshrrev_b32_e32 v23, 16, v14
.LBB842_429:
	s_or_b64 exec, exec, s[12:13]
.LBB842_430:
	s_or_b64 exec, exec, s[10:11]
.LBB842_431:
	s_or_b64 exec, exec, s[8:9]
	v_lshrrev_b16_e32 v14, 8, v15
	v_cmp_ne_u16_e32 vcc, 0, v14
	s_and_saveexec_b64 s[8:9], vcc
	s_cbranch_execz .LBB842_437
; %bb.432:
	s_movk_i32 s7, 0x80
	v_cmp_ne_u16_e32 vcc, s7, v14
	v_mov_b32_e32 v18, 0xffff8000
	s_and_saveexec_b64 s[10:11], vcc
	s_cbranch_execz .LBB842_436
; %bb.433:
	s_movk_i32 s7, 0x7f
	v_and_b32_e32 v24, 0x7f, v14
	v_cmp_ne_u32_e32 vcc, s7, v24
	v_mov_b32_e32 v18, 0x7f80
	s_and_saveexec_b64 s[12:13], vcc
	s_cbranch_execz .LBB842_435
; %bb.434:
	v_and_b32_e32 v18, 7, v14
	v_ffbh_u32_e32 v28, v18
	v_min_u32_e32 v30, 32, v28
	v_subrev_u32_e32 v28, 28, v30
	v_lshlrev_b64 v[28:29], v28, v[14:15]
	v_lshrrev_b32_e32 v25, 3, v24
	v_sub_u32_e32 v14, 29, v30
	v_and_b32_e32 v28, 7, v28
	v_cmp_gt_u32_e32 vcc, 8, v24
	v_cndmask_b32_e32 v14, v25, v14, vcc
	v_cndmask_b32_e32 v18, v18, v28, vcc
	v_lshlrev_b32_e32 v24, 16, v15
	v_bfrev_b32_e32 v25, 60
	v_lshlrev_b32_e32 v18, 20, v18
	v_and_b32_e32 v24, 0x80000000, v24
	v_lshl_add_u32 v14, v14, 23, v25
	v_or3_b32 v14, v24, v14, v18
	v_lshrrev_b32_e32 v18, 16, v14
.LBB842_435:
	s_or_b64 exec, exec, s[12:13]
.LBB842_436:
	s_or_b64 exec, exec, s[10:11]
.LBB842_437:
	s_or_b64 exec, exec, s[8:9]
	s_movk_i32 s7, 0xff
	v_and_b32_sdwa v28, v15, s7 dst_sel:DWORD dst_unused:UNUSED_PAD src0_sel:WORD_1 src1_sel:DWORD
	v_lshrrev_b32_e32 v14, 16, v15
	v_cmp_ne_u16_e32 vcc, 0, v28
	v_mov_b32_e32 v24, 0
	v_mov_b32_e32 v25, 0
	s_and_saveexec_b64 s[8:9], vcc
	s_cbranch_execz .LBB842_443
; %bb.438:
	s_movk_i32 s7, 0x80
	v_cmp_ne_u16_e32 vcc, s7, v28
	v_mov_b32_e32 v25, 0xffff8000
	s_and_saveexec_b64 s[10:11], vcc
	s_cbranch_execz .LBB842_442
; %bb.439:
	v_bfe_u32 v28, v15, 16, 7
	s_movk_i32 s7, 0x7f
	v_cmp_ne_u32_e32 vcc, s7, v28
	v_mov_b32_e32 v25, 0x7f80
	s_and_saveexec_b64 s[12:13], vcc
	s_cbranch_execz .LBB842_441
; %bb.440:
	v_and_b32_e32 v25, 7, v14
	v_ffbh_u32_e32 v30, v25
	v_min_u32_e32 v32, 32, v30
	v_subrev_u32_e32 v30, 28, v32
	v_lshlrev_b64 v[30:31], v30, v[14:15]
	v_lshrrev_b32_e32 v29, 3, v28
	v_sub_u32_e32 v14, 29, v32
	v_and_b32_e32 v30, 7, v30
	v_cmp_gt_u32_e32 vcc, 8, v28
	v_mov_b32_e32 v28, 24
	v_cndmask_b32_e32 v14, v29, v14, vcc
	v_cndmask_b32_e32 v25, v25, v30, vcc
	v_lshlrev_b32_sdwa v28, v28, v15 dst_sel:DWORD dst_unused:UNUSED_PAD src0_sel:DWORD src1_sel:WORD_1
	v_bfrev_b32_e32 v29, 60
	v_lshlrev_b32_e32 v25, 20, v25
	v_and_b32_e32 v28, 0x80000000, v28
	v_lshl_add_u32 v14, v14, 23, v29
	v_or3_b32 v14, v28, v14, v25
	v_lshrrev_b32_e32 v25, 16, v14
.LBB842_441:
	s_or_b64 exec, exec, s[12:13]
.LBB842_442:
	s_or_b64 exec, exec, s[10:11]
.LBB842_443:
	s_or_b64 exec, exec, s[8:9]
	s_mov_b32 s7, 0xffffff
	v_cmp_lt_u32_e32 vcc, s7, v15
	s_and_saveexec_b64 s[8:9], vcc
	s_cbranch_execz .LBB842_449
; %bb.444:
	v_lshrrev_b32_e32 v14, 24, v15
	s_movk_i32 s7, 0x80
	v_cmp_ne_u32_e32 vcc, s7, v14
	v_mov_b32_e32 v24, 0xffff8000
	s_and_saveexec_b64 s[10:11], vcc
	s_cbranch_execz .LBB842_448
; %bb.445:
	v_bfe_u32 v15, v15, 24, 7
	s_movk_i32 s7, 0x7f
	v_cmp_ne_u32_e32 vcc, s7, v15
	v_mov_b32_e32 v24, 0x7f80
	s_and_saveexec_b64 s[12:13], vcc
	s_cbranch_execz .LBB842_447
; %bb.446:
	v_and_b32_e32 v24, 7, v14
	v_ffbh_u32_e32 v28, v24
	v_min_u32_e32 v31, 32, v28
	v_subrev_u32_e32 v28, 28, v31
	v_lshlrev_b64 v[28:29], v28, v[14:15]
	v_lshrrev_b32_e32 v30, 3, v15
	v_sub_u32_e32 v29, 29, v31
	v_and_b32_e32 v28, 7, v28
	v_cmp_gt_u32_e32 vcc, 8, v15
	v_cndmask_b32_e32 v15, v30, v29, vcc
	v_cndmask_b32_e32 v24, v24, v28, vcc
	v_lshlrev_b32_e32 v14, 24, v14
	v_bfrev_b32_e32 v28, 60
	v_lshlrev_b32_e32 v24, 20, v24
	v_and_b32_e32 v14, 0x80000000, v14
	v_lshl_add_u32 v15, v15, 23, v28
	v_or3_b32 v14, v14, v15, v24
	v_lshrrev_b32_e32 v24, 16, v14
.LBB842_447:
	s_or_b64 exec, exec, s[12:13]
.LBB842_448:
	s_or_b64 exec, exec, s[10:11]
.LBB842_449:
	s_or_b64 exec, exec, s[8:9]
	s_mov_b32 s7, 0x5040100
	v_perm_b32 v15, v21, v22, s7
	v_lshl_or_b32 v22, v1, 9, v27
	v_perm_b32 v14, v19, v20, s7
	ds_read_b128 v[28:31], v22
	v_perm_b32 v19, v24, v25, s7
	v_perm_b32 v18, v18, v23, s7
	s_waitcnt lgkmcnt(0)
	v_mfma_f32_16x16x16bf16_1k v[32:35], v[14:15], v[28:29], 0
	v_mov_b32_e32 v15, 0
	v_cmp_ne_u16_sdwa s[10:11], v16, v15 src0_sel:BYTE_0 src1_sel:DWORD
	v_mov_b32_e32 v23, 0
	v_mfma_f32_16x16x16bf16_1k v[18:21], v[18:19], v[30:31], v[32:35]
	s_and_saveexec_b64 s[8:9], s[10:11]
	s_cbranch_execz .LBB842_455
; %bb.450:
	s_movk_i32 s7, 0x80
	v_cmp_ne_u16_sdwa s[12:13], v16, s7 src0_sel:BYTE_0 src1_sel:DWORD
	v_mov_b32_e32 v23, 0xffff8000
	s_and_saveexec_b64 s[10:11], s[12:13]
	s_cbranch_execz .LBB842_454
; %bb.451:
	s_movk_i32 s7, 0x7f
	v_and_b32_e32 v14, 0x7f, v16
	v_cmp_ne_u32_e32 vcc, s7, v14
	v_mov_b32_e32 v23, 0x7f80
	s_and_saveexec_b64 s[12:13], vcc
	s_cbranch_execz .LBB842_453
; %bb.452:
	v_and_b32_e32 v23, 7, v16
	v_ffbh_u32_e32 v24, v23
	v_min_u32_e32 v28, 32, v24
	v_subrev_u32_e32 v24, 28, v28
	v_lshlrev_b64 v[24:25], v24, v[16:17]
	v_lshrrev_b32_e32 v27, 3, v14
	v_sub_u32_e32 v25, 29, v28
	v_and_b32_e32 v24, 7, v24
	v_cmp_gt_u32_e32 vcc, 8, v14
	v_cndmask_b32_e32 v14, v27, v25, vcc
	v_cndmask_b32_e32 v23, v23, v24, vcc
	v_lshlrev_b32_e32 v24, 24, v16
	v_bfrev_b32_e32 v25, 60
	v_lshlrev_b32_e32 v23, 20, v23
	v_and_b32_e32 v24, 0x80000000, v24
	v_lshl_add_u32 v14, v14, 23, v25
	v_or3_b32 v14, v24, v14, v23
	v_lshrrev_b32_e32 v23, 16, v14
.LBB842_453:
	s_or_b64 exec, exec, s[12:13]
.LBB842_454:
	s_or_b64 exec, exec, s[10:11]
.LBB842_455:
	s_or_b64 exec, exec, s[8:9]
	v_lshrrev_b16_e32 v14, 8, v16
	v_cmp_ne_u16_e32 vcc, 0, v14
	s_and_saveexec_b64 s[8:9], vcc
	s_cbranch_execz .LBB842_461
; %bb.456:
	s_movk_i32 s7, 0x80
	v_cmp_ne_u16_e32 vcc, s7, v14
	v_mov_b32_e32 v15, 0xffff8000
	s_and_saveexec_b64 s[10:11], vcc
	s_cbranch_execz .LBB842_460
; %bb.457:
	s_movk_i32 s7, 0x7f
	v_and_b32_e32 v24, 0x7f, v14
	v_cmp_ne_u32_e32 vcc, s7, v24
	v_mov_b32_e32 v15, 0x7f80
	s_and_saveexec_b64 s[12:13], vcc
	s_cbranch_execz .LBB842_459
; %bb.458:
	v_and_b32_e32 v25, 7, v14
	v_ffbh_u32_e32 v15, v25
	v_min_u32_e32 v28, 32, v15
	v_subrev_u32_e32 v15, 28, v28
	v_lshlrev_b64 v[14:15], v15, v[14:15]
	v_lshrrev_b32_e32 v27, 3, v24
	v_sub_u32_e32 v15, 29, v28
	v_and_b32_e32 v14, 7, v14
	v_cmp_gt_u32_e32 vcc, 8, v24
	v_cndmask_b32_e32 v15, v27, v15, vcc
	v_cndmask_b32_e32 v14, v25, v14, vcc
	v_lshlrev_b32_e32 v24, 16, v16
	v_bfrev_b32_e32 v25, 60
	v_lshlrev_b32_e32 v14, 20, v14
	v_and_b32_e32 v24, 0x80000000, v24
	v_lshl_add_u32 v15, v15, 23, v25
	v_or3_b32 v14, v24, v15, v14
	v_lshrrev_b32_e32 v15, 16, v14
.LBB842_459:
	s_or_b64 exec, exec, s[12:13]
.LBB842_460:
	s_or_b64 exec, exec, s[10:11]
.LBB842_461:
	s_or_b64 exec, exec, s[8:9]
	s_movk_i32 s7, 0xff
	v_and_b32_sdwa v27, v16, s7 dst_sel:DWORD dst_unused:UNUSED_PAD src0_sel:WORD_1 src1_sel:DWORD
	v_lshrrev_b32_e32 v14, 16, v16
	v_cmp_ne_u16_e32 vcc, 0, v27
	v_mov_b32_e32 v24, 0
	v_mov_b32_e32 v25, 0
	s_and_saveexec_b64 s[8:9], vcc
	s_cbranch_execz .LBB842_467
; %bb.462:
	s_movk_i32 s7, 0x80
	v_cmp_ne_u16_e32 vcc, s7, v27
	v_mov_b32_e32 v25, 0xffff8000
	s_and_saveexec_b64 s[10:11], vcc
	s_cbranch_execz .LBB842_466
; %bb.463:
	v_bfe_u32 v27, v16, 16, 7
	s_movk_i32 s7, 0x7f
	v_cmp_ne_u32_e32 vcc, s7, v27
	v_mov_b32_e32 v25, 0x7f80
	s_and_saveexec_b64 s[12:13], vcc
	s_cbranch_execz .LBB842_465
; %bb.464:
	v_and_b32_e32 v25, 7, v14
	v_ffbh_u32_e32 v28, v25
	v_min_u32_e32 v31, 32, v28
	v_subrev_u32_e32 v28, 28, v31
	v_lshlrev_b64 v[28:29], v28, v[14:15]
	v_lshrrev_b32_e32 v30, 3, v27
	v_sub_u32_e32 v14, 29, v31
	v_and_b32_e32 v28, 7, v28
	v_cmp_gt_u32_e32 vcc, 8, v27
	v_mov_b32_e32 v27, 24
	v_cndmask_b32_e32 v14, v30, v14, vcc
	v_cndmask_b32_e32 v25, v25, v28, vcc
	v_lshlrev_b32_sdwa v27, v27, v16 dst_sel:DWORD dst_unused:UNUSED_PAD src0_sel:DWORD src1_sel:WORD_1
	v_bfrev_b32_e32 v28, 60
	v_lshlrev_b32_e32 v25, 20, v25
	v_and_b32_e32 v27, 0x80000000, v27
	v_lshl_add_u32 v14, v14, 23, v28
	v_or3_b32 v14, v27, v14, v25
	v_lshrrev_b32_e32 v25, 16, v14
.LBB842_465:
	s_or_b64 exec, exec, s[12:13]
.LBB842_466:
	s_or_b64 exec, exec, s[10:11]
.LBB842_467:
	s_or_b64 exec, exec, s[8:9]
	s_mov_b32 s7, 0xffffff
	v_cmp_lt_u32_e32 vcc, s7, v16
	s_and_saveexec_b64 s[8:9], vcc
	s_cbranch_execz .LBB842_473
; %bb.468:
	v_lshrrev_b32_e32 v14, 24, v16
	s_movk_i32 s7, 0x80
	v_cmp_ne_u32_e32 vcc, s7, v14
	v_mov_b32_e32 v24, 0xffff8000
	s_and_saveexec_b64 s[10:11], vcc
	s_cbranch_execz .LBB842_472
; %bb.469:
	v_bfe_u32 v16, v16, 24, 7
	s_movk_i32 s7, 0x7f
	v_cmp_ne_u32_e32 vcc, s7, v16
	v_mov_b32_e32 v24, 0x7f80
	s_and_saveexec_b64 s[12:13], vcc
	s_cbranch_execz .LBB842_471
; %bb.470:
	v_and_b32_e32 v24, 7, v14
	v_ffbh_u32_e32 v28, v24
	v_min_u32_e32 v30, 32, v28
	v_subrev_u32_e32 v28, 28, v30
	v_lshlrev_b64 v[28:29], v28, v[14:15]
	v_lshrrev_b32_e32 v27, 3, v16
	v_sub_u32_e32 v29, 29, v30
	v_and_b32_e32 v28, 7, v28
	v_cmp_gt_u32_e32 vcc, 8, v16
	v_cndmask_b32_e32 v16, v27, v29, vcc
	v_cndmask_b32_e32 v24, v24, v28, vcc
	v_lshlrev_b32_e32 v14, 24, v14
	v_bfrev_b32_e32 v27, 60
	v_lshlrev_b32_e32 v24, 20, v24
	v_and_b32_e32 v14, 0x80000000, v14
	v_lshl_add_u32 v16, v16, 23, v27
	v_or3_b32 v14, v14, v16, v24
	v_lshrrev_b32_e32 v24, 16, v14
.LBB842_471:
	s_or_b64 exec, exec, s[12:13]
.LBB842_472:
	s_or_b64 exec, exec, s[10:11]
.LBB842_473:
	s_or_b64 exec, exec, s[8:9]
	v_mov_b32_e32 v16, 0
	v_cmp_ne_u16_sdwa s[10:11], v17, v16 src0_sel:BYTE_0 src1_sel:DWORD
	v_mov_b32_e32 v27, 0
	s_and_saveexec_b64 s[8:9], s[10:11]
	s_cbranch_execz .LBB842_479
; %bb.474:
	s_movk_i32 s7, 0x80
	v_cmp_ne_u16_sdwa s[12:13], v17, s7 src0_sel:BYTE_0 src1_sel:DWORD
	v_mov_b32_e32 v27, 0xffff8000
	s_and_saveexec_b64 s[10:11], s[12:13]
	s_cbranch_execz .LBB842_478
; %bb.475:
	s_movk_i32 s7, 0x7f
	v_and_b32_e32 v14, 0x7f, v17
	v_cmp_ne_u32_e32 vcc, s7, v14
	v_mov_b32_e32 v27, 0x7f80
	s_and_saveexec_b64 s[12:13], vcc
	s_cbranch_execz .LBB842_477
; %bb.476:
	v_and_b32_e32 v27, 7, v17
	v_ffbh_u32_e32 v29, v27
	v_min_u32_e32 v31, 32, v29
	v_mov_b32_e32 v28, v17
	v_subrev_u32_e32 v29, 28, v31
	v_lshlrev_b64 v[28:29], v29, v[28:29]
	v_lshrrev_b32_e32 v30, 3, v14
	v_sub_u32_e32 v29, 29, v31
	v_and_b32_e32 v28, 7, v28
	v_cmp_gt_u32_e32 vcc, 8, v14
	v_cndmask_b32_e32 v14, v30, v29, vcc
	v_cndmask_b32_e32 v27, v27, v28, vcc
	v_lshlrev_b32_e32 v28, 24, v17
	v_bfrev_b32_e32 v29, 60
	v_lshlrev_b32_e32 v27, 20, v27
	v_and_b32_e32 v28, 0x80000000, v28
	v_lshl_add_u32 v14, v14, 23, v29
	v_or3_b32 v14, v28, v14, v27
	v_lshrrev_b32_e32 v27, 16, v14
.LBB842_477:
	s_or_b64 exec, exec, s[12:13]
.LBB842_478:
	s_or_b64 exec, exec, s[10:11]
.LBB842_479:
	s_or_b64 exec, exec, s[8:9]
	v_lshrrev_b16_e32 v14, 8, v17
	v_cmp_ne_u16_e32 vcc, 0, v14
	s_and_saveexec_b64 s[8:9], vcc
	s_cbranch_execz .LBB842_485
; %bb.480:
	s_movk_i32 s7, 0x80
	v_cmp_ne_u16_e32 vcc, s7, v14
	v_mov_b32_e32 v16, 0xffff8000
	s_and_saveexec_b64 s[10:11], vcc
	s_cbranch_execz .LBB842_484
; %bb.481:
	s_movk_i32 s7, 0x7f
	v_and_b32_e32 v28, 0x7f, v14
	v_cmp_ne_u32_e32 vcc, s7, v28
	v_mov_b32_e32 v16, 0x7f80
	s_and_saveexec_b64 s[12:13], vcc
	s_cbranch_execz .LBB842_483
; %bb.482:
	v_and_b32_e32 v16, 7, v14
	v_ffbh_u32_e32 v30, v16
	v_min_u32_e32 v32, 32, v30
	v_subrev_u32_e32 v30, 28, v32
	v_lshlrev_b64 v[30:31], v30, v[14:15]
	v_lshrrev_b32_e32 v29, 3, v28
	v_sub_u32_e32 v14, 29, v32
	v_and_b32_e32 v30, 7, v30
	v_cmp_gt_u32_e32 vcc, 8, v28
	v_cndmask_b32_e32 v14, v29, v14, vcc
	v_cndmask_b32_e32 v16, v16, v30, vcc
	v_lshlrev_b32_e32 v28, 16, v17
	v_bfrev_b32_e32 v29, 60
	v_lshlrev_b32_e32 v16, 20, v16
	v_and_b32_e32 v28, 0x80000000, v28
	v_lshl_add_u32 v14, v14, 23, v29
	v_or3_b32 v14, v28, v14, v16
	v_lshrrev_b32_e32 v16, 16, v14
.LBB842_483:
	s_or_b64 exec, exec, s[12:13]
.LBB842_484:
	s_or_b64 exec, exec, s[10:11]
.LBB842_485:
	s_or_b64 exec, exec, s[8:9]
	s_movk_i32 s7, 0xff
	v_and_b32_sdwa v30, v17, s7 dst_sel:DWORD dst_unused:UNUSED_PAD src0_sel:WORD_1 src1_sel:DWORD
	v_lshrrev_b32_e32 v14, 16, v17
	v_cmp_ne_u16_e32 vcc, 0, v30
	v_mov_b32_e32 v28, 0
	v_mov_b32_e32 v29, 0
	s_and_saveexec_b64 s[8:9], vcc
	s_cbranch_execz .LBB842_491
; %bb.486:
	s_movk_i32 s7, 0x80
	v_cmp_ne_u16_e32 vcc, s7, v30
	v_mov_b32_e32 v29, 0xffff8000
	s_and_saveexec_b64 s[10:11], vcc
	s_cbranch_execz .LBB842_490
; %bb.487:
	v_bfe_u32 v30, v17, 16, 7
	s_movk_i32 s7, 0x7f
	v_cmp_ne_u32_e32 vcc, s7, v30
	v_mov_b32_e32 v29, 0x7f80
	s_and_saveexec_b64 s[12:13], vcc
	s_cbranch_execz .LBB842_489
; %bb.488:
	v_and_b32_e32 v29, 7, v14
	v_ffbh_u32_e32 v32, v29
	v_min_u32_e32 v34, 32, v32
	v_subrev_u32_e32 v32, 28, v34
	v_lshlrev_b64 v[32:33], v32, v[14:15]
	v_lshrrev_b32_e32 v31, 3, v30
	v_sub_u32_e32 v14, 29, v34
	v_and_b32_e32 v32, 7, v32
	v_cmp_gt_u32_e32 vcc, 8, v30
	v_mov_b32_e32 v30, 24
	v_cndmask_b32_e32 v14, v31, v14, vcc
	v_cndmask_b32_e32 v29, v29, v32, vcc
	v_lshlrev_b32_sdwa v30, v30, v17 dst_sel:DWORD dst_unused:UNUSED_PAD src0_sel:DWORD src1_sel:WORD_1
	v_bfrev_b32_e32 v31, 60
	v_lshlrev_b32_e32 v29, 20, v29
	v_and_b32_e32 v30, 0x80000000, v30
	v_lshl_add_u32 v14, v14, 23, v31
	v_or3_b32 v14, v30, v14, v29
	v_lshrrev_b32_e32 v29, 16, v14
.LBB842_489:
	s_or_b64 exec, exec, s[12:13]
.LBB842_490:
	s_or_b64 exec, exec, s[10:11]
.LBB842_491:
	s_or_b64 exec, exec, s[8:9]
	s_mov_b32 s7, 0xffffff
	v_cmp_lt_u32_e32 vcc, s7, v17
	s_and_saveexec_b64 s[8:9], vcc
	s_cbranch_execz .LBB842_497
; %bb.492:
	v_lshrrev_b32_e32 v14, 24, v17
	s_movk_i32 s7, 0x80
	v_cmp_ne_u32_e32 vcc, s7, v14
	v_mov_b32_e32 v28, 0xffff8000
	s_and_saveexec_b64 s[10:11], vcc
	s_cbranch_execz .LBB842_496
; %bb.493:
	v_bfe_u32 v17, v17, 24, 7
	s_movk_i32 s7, 0x7f
	v_cmp_ne_u32_e32 vcc, s7, v17
	v_mov_b32_e32 v28, 0x7f80
	s_and_saveexec_b64 s[12:13], vcc
	s_cbranch_execz .LBB842_495
; %bb.494:
	v_and_b32_e32 v28, 7, v14
	v_ffbh_u32_e32 v30, v28
	v_min_u32_e32 v33, 32, v30
	v_subrev_u32_e32 v30, 28, v33
	v_lshlrev_b64 v[30:31], v30, v[14:15]
	v_lshrrev_b32_e32 v32, 3, v17
	v_sub_u32_e32 v31, 29, v33
	v_and_b32_e32 v30, 7, v30
	v_cmp_gt_u32_e32 vcc, 8, v17
	v_cndmask_b32_e32 v17, v32, v31, vcc
	v_cndmask_b32_e32 v28, v28, v30, vcc
	v_lshlrev_b32_e32 v14, 24, v14
	v_bfrev_b32_e32 v30, 60
	v_lshlrev_b32_e32 v28, 20, v28
	v_and_b32_e32 v14, 0x80000000, v14
	v_lshl_add_u32 v17, v17, 23, v30
	v_or3_b32 v14, v14, v17, v28
	v_lshrrev_b32_e32 v28, 16, v14
.LBB842_495:
	s_or_b64 exec, exec, s[12:13]
.LBB842_496:
	s_or_b64 exec, exec, s[10:11]
.LBB842_497:
	s_or_b64 exec, exec, s[8:9]
	s_mov_b32 s7, 0x5040100
	v_perm_b32 v25, v24, v25, s7
	v_perm_b32 v24, v15, v23, s7
	ds_read_b128 v[30:33], v22 offset:16
	v_perm_b32 v15, v28, v29, s7
	v_perm_b32 v14, v16, v27, s7
	s_waitcnt lgkmcnt(0)
	v_mfma_f32_16x16x16bf16_1k v[34:37], v[24:25], v[30:31], v[18:21]
	s_nop 6
	v_mov_b32_e32 v19, 0
	s_waitcnt vmcnt(2)
	v_cmp_ne_u16_sdwa s[10:11], v10, v19 src0_sel:BYTE_0 src1_sel:DWORD
	v_mfma_f32_16x16x16bf16_1k v[14:17], v[14:15], v[32:33], v[34:37]
	v_mov_b32_e32 v20, 0
	s_and_saveexec_b64 s[8:9], s[10:11]
	s_cbranch_execz .LBB842_503
; %bb.498:
	s_movk_i32 s7, 0x80
	v_cmp_ne_u16_sdwa s[12:13], v10, s7 src0_sel:BYTE_0 src1_sel:DWORD
	v_mov_b32_e32 v20, 0xffff8000
	s_and_saveexec_b64 s[10:11], s[12:13]
	s_cbranch_execz .LBB842_502
; %bb.499:
	s_movk_i32 s7, 0x7f
	v_and_b32_e32 v18, 0x7f, v10
	v_cmp_ne_u32_e32 vcc, s7, v18
	v_mov_b32_e32 v20, 0x7f80
	s_and_saveexec_b64 s[12:13], vcc
	s_cbranch_execz .LBB842_501
; %bb.500:
	v_and_b32_e32 v23, 7, v10
	v_ffbh_u32_e32 v20, v23
	v_min_u32_e32 v25, 32, v20
	v_subrev_u32_e32 v20, 28, v25
	v_lshlrev_b64 v[20:21], v20, v[10:11]
	v_lshrrev_b32_e32 v24, 3, v18
	v_sub_u32_e32 v21, 29, v25
	v_and_b32_e32 v20, 7, v20
	v_cmp_gt_u32_e32 vcc, 8, v18
	v_cndmask_b32_e32 v18, v24, v21, vcc
	v_cndmask_b32_e32 v20, v23, v20, vcc
	v_lshlrev_b32_e32 v21, 24, v10
	v_bfrev_b32_e32 v23, 60
	v_lshlrev_b32_e32 v20, 20, v20
	v_and_b32_e32 v21, 0x80000000, v21
	v_lshl_add_u32 v18, v18, 23, v23
	v_or3_b32 v18, v21, v18, v20
	v_lshrrev_b32_e32 v20, 16, v18
.LBB842_501:
	s_or_b64 exec, exec, s[12:13]
.LBB842_502:
	s_or_b64 exec, exec, s[10:11]
.LBB842_503:
	s_or_b64 exec, exec, s[8:9]
	v_lshrrev_b16_e32 v18, 8, v10
	v_cmp_ne_u16_e32 vcc, 0, v18
	s_and_saveexec_b64 s[8:9], vcc
	s_cbranch_execz .LBB842_509
; %bb.504:
	s_movk_i32 s7, 0x80
	v_cmp_ne_u16_e32 vcc, s7, v18
	v_mov_b32_e32 v19, 0xffff8000
	s_and_saveexec_b64 s[10:11], vcc
	s_cbranch_execz .LBB842_508
; %bb.505:
	s_movk_i32 s7, 0x7f
	v_and_b32_e32 v21, 0x7f, v18
	v_cmp_ne_u32_e32 vcc, s7, v21
	v_mov_b32_e32 v19, 0x7f80
	s_and_saveexec_b64 s[12:13], vcc
	s_cbranch_execz .LBB842_507
; %bb.506:
	v_and_b32_e32 v23, 7, v18
	v_ffbh_u32_e32 v19, v23
	v_min_u32_e32 v25, 32, v19
	v_subrev_u32_e32 v19, 28, v25
	v_lshlrev_b64 v[18:19], v19, v[18:19]
	v_lshrrev_b32_e32 v24, 3, v21
	v_sub_u32_e32 v19, 29, v25
	v_and_b32_e32 v18, 7, v18
	v_cmp_gt_u32_e32 vcc, 8, v21
	v_cndmask_b32_e32 v19, v24, v19, vcc
	v_cndmask_b32_e32 v18, v23, v18, vcc
	v_lshlrev_b32_e32 v21, 16, v10
	v_bfrev_b32_e32 v23, 60
	v_lshlrev_b32_e32 v18, 20, v18
	v_and_b32_e32 v21, 0x80000000, v21
	v_lshl_add_u32 v19, v19, 23, v23
	v_or3_b32 v18, v21, v19, v18
	v_lshrrev_b32_e32 v19, 16, v18
.LBB842_507:
	s_or_b64 exec, exec, s[12:13]
.LBB842_508:
	s_or_b64 exec, exec, s[10:11]
.LBB842_509:
	s_or_b64 exec, exec, s[8:9]
	s_movk_i32 s7, 0xff
	v_and_b32_sdwa v24, v10, s7 dst_sel:DWORD dst_unused:UNUSED_PAD src0_sel:WORD_1 src1_sel:DWORD
	v_lshrrev_b32_e32 v18, 16, v10
	v_cmp_ne_u16_e32 vcc, 0, v24
	v_mov_b32_e32 v21, 0
	v_mov_b32_e32 v23, 0
	s_and_saveexec_b64 s[8:9], vcc
	s_cbranch_execz .LBB842_515
; %bb.510:
	s_movk_i32 s7, 0x80
	v_cmp_ne_u16_e32 vcc, s7, v24
	v_mov_b32_e32 v23, 0xffff8000
	s_and_saveexec_b64 s[10:11], vcc
	s_cbranch_execz .LBB842_514
; %bb.511:
	v_bfe_u32 v24, v10, 16, 7
	s_movk_i32 s7, 0x7f
	v_cmp_ne_u32_e32 vcc, s7, v24
	v_mov_b32_e32 v23, 0x7f80
	s_and_saveexec_b64 s[12:13], vcc
	s_cbranch_execz .LBB842_513
; %bb.512:
	v_and_b32_e32 v23, 7, v18
	v_ffbh_u32_e32 v27, v23
	v_min_u32_e32 v27, 32, v27
	v_subrev_u32_e32 v28, 28, v27
	v_lshlrev_b64 v[28:29], v28, v[18:19]
	v_lshrrev_b32_e32 v25, 3, v24
	v_sub_u32_e32 v18, 29, v27
	v_and_b32_e32 v27, 7, v28
	v_cmp_gt_u32_e32 vcc, 8, v24
	v_mov_b32_e32 v24, 24
	v_cndmask_b32_e32 v18, v25, v18, vcc
	v_cndmask_b32_e32 v23, v23, v27, vcc
	v_lshlrev_b32_sdwa v24, v24, v10 dst_sel:DWORD dst_unused:UNUSED_PAD src0_sel:DWORD src1_sel:WORD_1
	v_bfrev_b32_e32 v25, 60
	v_lshlrev_b32_e32 v23, 20, v23
	v_and_b32_e32 v24, 0x80000000, v24
	v_lshl_add_u32 v18, v18, 23, v25
	v_or3_b32 v18, v24, v18, v23
	v_lshrrev_b32_e32 v23, 16, v18
.LBB842_513:
	s_or_b64 exec, exec, s[12:13]
.LBB842_514:
	s_or_b64 exec, exec, s[10:11]
.LBB842_515:
	s_or_b64 exec, exec, s[8:9]
	s_mov_b32 s7, 0xffffff
	v_cmp_lt_u32_e32 vcc, s7, v10
	s_and_saveexec_b64 s[8:9], vcc
	s_cbranch_execz .LBB842_521
; %bb.516:
	v_lshrrev_b32_e32 v18, 24, v10
	s_movk_i32 s7, 0x80
	v_cmp_ne_u32_e32 vcc, s7, v18
	v_mov_b32_e32 v21, 0xffff8000
	s_and_saveexec_b64 s[10:11], vcc
	s_cbranch_execz .LBB842_520
; %bb.517:
	v_bfe_u32 v10, v10, 24, 7
	s_movk_i32 s7, 0x7f
	v_cmp_ne_u32_e32 vcc, s7, v10
	v_mov_b32_e32 v21, 0x7f80
	s_and_saveexec_b64 s[12:13], vcc
	s_cbranch_execz .LBB842_519
; %bb.518:
	v_and_b32_e32 v21, 7, v18
	v_ffbh_u32_e32 v24, v21
	v_min_u32_e32 v28, 32, v24
	v_subrev_u32_e32 v24, 28, v28
	v_lshlrev_b64 v[24:25], v24, v[18:19]
	v_lshrrev_b32_e32 v27, 3, v10
	v_sub_u32_e32 v25, 29, v28
	v_and_b32_e32 v24, 7, v24
	v_cmp_gt_u32_e32 vcc, 8, v10
	v_cndmask_b32_e32 v10, v27, v25, vcc
	v_cndmask_b32_e32 v21, v21, v24, vcc
	v_lshlrev_b32_e32 v18, 24, v18
	v_bfrev_b32_e32 v24, 60
	v_lshlrev_b32_e32 v21, 20, v21
	v_and_b32_e32 v18, 0x80000000, v18
	v_lshl_add_u32 v10, v10, 23, v24
	v_or3_b32 v10, v18, v10, v21
	v_lshrrev_b32_e32 v21, 16, v10
.LBB842_519:
	s_or_b64 exec, exec, s[12:13]
.LBB842_520:
	s_or_b64 exec, exec, s[10:11]
.LBB842_521:
	s_or_b64 exec, exec, s[8:9]
	v_mov_b32_e32 v18, 0
	v_cmp_ne_u16_sdwa s[10:11], v11, v18 src0_sel:BYTE_0 src1_sel:DWORD
	v_mov_b32_e32 v24, 0
	s_and_saveexec_b64 s[8:9], s[10:11]
	s_cbranch_execz .LBB842_527
; %bb.522:
	s_movk_i32 s7, 0x80
	v_cmp_ne_u16_sdwa s[12:13], v11, s7 src0_sel:BYTE_0 src1_sel:DWORD
	v_mov_b32_e32 v24, 0xffff8000
	s_and_saveexec_b64 s[10:11], s[12:13]
	s_cbranch_execz .LBB842_526
; %bb.523:
	s_movk_i32 s7, 0x7f
	v_and_b32_e32 v10, 0x7f, v11
	v_cmp_ne_u32_e32 vcc, s7, v10
	v_mov_b32_e32 v24, 0x7f80
	s_and_saveexec_b64 s[12:13], vcc
	s_cbranch_execz .LBB842_525
; %bb.524:
	v_and_b32_e32 v27, 7, v11
	v_ffbh_u32_e32 v25, v27
	v_min_u32_e32 v29, 32, v25
	v_mov_b32_e32 v24, v11
	v_subrev_u32_e32 v25, 28, v29
	v_lshlrev_b64 v[24:25], v25, v[24:25]
	v_lshrrev_b32_e32 v28, 3, v10
	v_sub_u32_e32 v25, 29, v29
	v_and_b32_e32 v24, 7, v24
	v_cmp_gt_u32_e32 vcc, 8, v10
	v_cndmask_b32_e32 v10, v28, v25, vcc
	v_cndmask_b32_e32 v24, v27, v24, vcc
	v_lshlrev_b32_e32 v25, 24, v11
	v_bfrev_b32_e32 v27, 60
	v_lshlrev_b32_e32 v24, 20, v24
	v_and_b32_e32 v25, 0x80000000, v25
	v_lshl_add_u32 v10, v10, 23, v27
	v_or3_b32 v10, v25, v10, v24
	v_lshrrev_b32_e32 v24, 16, v10
.LBB842_525:
	s_or_b64 exec, exec, s[12:13]
.LBB842_526:
	s_or_b64 exec, exec, s[10:11]
.LBB842_527:
	s_or_b64 exec, exec, s[8:9]
	v_lshrrev_b16_e32 v10, 8, v11
	v_cmp_ne_u16_e32 vcc, 0, v10
	s_and_saveexec_b64 s[8:9], vcc
	s_cbranch_execz .LBB842_533
; %bb.528:
	s_movk_i32 s7, 0x80
	v_cmp_ne_u16_e32 vcc, s7, v10
	v_mov_b32_e32 v18, 0xffff8000
	s_and_saveexec_b64 s[10:11], vcc
	s_cbranch_execz .LBB842_532
; %bb.529:
	s_movk_i32 s7, 0x7f
	v_and_b32_e32 v25, 0x7f, v10
	v_cmp_ne_u32_e32 vcc, s7, v25
	v_mov_b32_e32 v18, 0x7f80
	s_and_saveexec_b64 s[12:13], vcc
	s_cbranch_execz .LBB842_531
; %bb.530:
	v_and_b32_e32 v18, 7, v10
	v_ffbh_u32_e32 v28, v18
	v_min_u32_e32 v30, 32, v28
	v_subrev_u32_e32 v28, 28, v30
	v_lshlrev_b64 v[28:29], v28, v[10:11]
	v_lshrrev_b32_e32 v27, 3, v25
	v_sub_u32_e32 v10, 29, v30
	v_and_b32_e32 v28, 7, v28
	v_cmp_gt_u32_e32 vcc, 8, v25
	v_cndmask_b32_e32 v10, v27, v10, vcc
	v_cndmask_b32_e32 v18, v18, v28, vcc
	v_lshlrev_b32_e32 v25, 16, v11
	v_bfrev_b32_e32 v27, 60
	v_lshlrev_b32_e32 v18, 20, v18
	v_and_b32_e32 v25, 0x80000000, v25
	v_lshl_add_u32 v10, v10, 23, v27
	v_or3_b32 v10, v25, v10, v18
	v_lshrrev_b32_e32 v18, 16, v10
.LBB842_531:
	s_or_b64 exec, exec, s[12:13]
.LBB842_532:
	s_or_b64 exec, exec, s[10:11]
.LBB842_533:
	s_or_b64 exec, exec, s[8:9]
	s_movk_i32 s7, 0xff
	v_and_b32_sdwa v28, v11, s7 dst_sel:DWORD dst_unused:UNUSED_PAD src0_sel:WORD_1 src1_sel:DWORD
	v_lshrrev_b32_e32 v10, 16, v11
	v_cmp_ne_u16_e32 vcc, 0, v28
	v_mov_b32_e32 v25, 0
	v_mov_b32_e32 v27, 0
	s_and_saveexec_b64 s[8:9], vcc
	s_cbranch_execz .LBB842_539
; %bb.534:
	s_movk_i32 s7, 0x80
	v_cmp_ne_u16_e32 vcc, s7, v28
	v_mov_b32_e32 v27, 0xffff8000
	s_and_saveexec_b64 s[10:11], vcc
	s_cbranch_execz .LBB842_538
; %bb.535:
	v_bfe_u32 v28, v11, 16, 7
	s_movk_i32 s7, 0x7f
	v_cmp_ne_u32_e32 vcc, s7, v28
	v_mov_b32_e32 v27, 0x7f80
	s_and_saveexec_b64 s[12:13], vcc
	s_cbranch_execz .LBB842_537
; %bb.536:
	v_and_b32_e32 v27, 7, v10
	v_ffbh_u32_e32 v30, v27
	v_min_u32_e32 v32, 32, v30
	v_subrev_u32_e32 v30, 28, v32
	v_lshlrev_b64 v[30:31], v30, v[10:11]
	v_lshrrev_b32_e32 v29, 3, v28
	v_sub_u32_e32 v10, 29, v32
	v_and_b32_e32 v30, 7, v30
	v_cmp_gt_u32_e32 vcc, 8, v28
	v_mov_b32_e32 v28, 24
	v_cndmask_b32_e32 v10, v29, v10, vcc
	v_cndmask_b32_e32 v27, v27, v30, vcc
	v_lshlrev_b32_sdwa v28, v28, v11 dst_sel:DWORD dst_unused:UNUSED_PAD src0_sel:DWORD src1_sel:WORD_1
	v_bfrev_b32_e32 v29, 60
	v_lshlrev_b32_e32 v27, 20, v27
	v_and_b32_e32 v28, 0x80000000, v28
	v_lshl_add_u32 v10, v10, 23, v29
	v_or3_b32 v10, v28, v10, v27
	v_lshrrev_b32_e32 v27, 16, v10
.LBB842_537:
	s_or_b64 exec, exec, s[12:13]
.LBB842_538:
	s_or_b64 exec, exec, s[10:11]
.LBB842_539:
	s_or_b64 exec, exec, s[8:9]
	s_mov_b32 s7, 0xffffff
	v_cmp_lt_u32_e32 vcc, s7, v11
	s_and_saveexec_b64 s[8:9], vcc
	s_cbranch_execz .LBB842_545
; %bb.540:
	v_lshrrev_b32_e32 v10, 24, v11
	s_movk_i32 s7, 0x80
	v_cmp_ne_u32_e32 vcc, s7, v10
	v_mov_b32_e32 v25, 0xffff8000
	s_and_saveexec_b64 s[10:11], vcc
	s_cbranch_execz .LBB842_544
; %bb.541:
	v_bfe_u32 v11, v11, 24, 7
	s_movk_i32 s7, 0x7f
	v_cmp_ne_u32_e32 vcc, s7, v11
	v_mov_b32_e32 v25, 0x7f80
	s_and_saveexec_b64 s[12:13], vcc
	s_cbranch_execz .LBB842_543
; %bb.542:
	v_and_b32_e32 v25, 7, v10
	v_ffbh_u32_e32 v28, v25
	v_min_u32_e32 v31, 32, v28
	v_subrev_u32_e32 v28, 28, v31
	v_lshlrev_b64 v[28:29], v28, v[10:11]
	v_lshrrev_b32_e32 v30, 3, v11
	v_sub_u32_e32 v29, 29, v31
	v_and_b32_e32 v28, 7, v28
	v_cmp_gt_u32_e32 vcc, 8, v11
	v_cndmask_b32_e32 v11, v30, v29, vcc
	v_cndmask_b32_e32 v25, v25, v28, vcc
	v_lshlrev_b32_e32 v10, 24, v10
	v_bfrev_b32_e32 v28, 60
	v_lshlrev_b32_e32 v25, 20, v25
	v_and_b32_e32 v10, 0x80000000, v10
	v_lshl_add_u32 v11, v11, 23, v28
	v_or3_b32 v10, v10, v11, v25
	v_lshrrev_b32_e32 v25, 16, v10
.LBB842_543:
	s_or_b64 exec, exec, s[12:13]
.LBB842_544:
	s_or_b64 exec, exec, s[10:11]
.LBB842_545:
	s_or_b64 exec, exec, s[8:9]
	s_mov_b32 s7, 0x5040100
	v_perm_b32 v11, v21, v23, s7
	v_perm_b32 v10, v19, v20, s7
	ds_read_b128 v[28:31], v22 offset:2048
	v_perm_b32 v21, v25, v27, s7
	v_perm_b32 v20, v18, v24, s7
	s_waitcnt lgkmcnt(0)
	v_mfma_f32_16x16x16bf16_1k v[14:17], v[10:11], v[28:29], v[14:17]
	v_mov_b32_e32 v11, 0
	v_cmp_ne_u16_sdwa s[10:11], v12, v11 src0_sel:BYTE_0 src1_sel:DWORD
	v_mov_b32_e32 v18, 0
	v_mfma_f32_16x16x16bf16_1k v[14:17], v[20:21], v[30:31], v[14:17]
	s_and_saveexec_b64 s[8:9], s[10:11]
	s_cbranch_execz .LBB842_551
; %bb.546:
	s_movk_i32 s7, 0x80
	v_cmp_ne_u16_sdwa s[12:13], v12, s7 src0_sel:BYTE_0 src1_sel:DWORD
	v_mov_b32_e32 v18, 0xffff8000
	s_and_saveexec_b64 s[10:11], s[12:13]
	s_cbranch_execz .LBB842_550
; %bb.547:
	s_movk_i32 s7, 0x7f
	v_and_b32_e32 v10, 0x7f, v12
	v_cmp_ne_u32_e32 vcc, s7, v10
	v_mov_b32_e32 v18, 0x7f80
	s_and_saveexec_b64 s[12:13], vcc
	s_cbranch_execz .LBB842_549
; %bb.548:
	v_and_b32_e32 v20, 7, v12
	v_ffbh_u32_e32 v18, v20
	v_min_u32_e32 v23, 32, v18
	v_subrev_u32_e32 v18, 28, v23
	v_lshlrev_b64 v[18:19], v18, v[12:13]
	v_lshrrev_b32_e32 v21, 3, v10
	v_sub_u32_e32 v19, 29, v23
	v_and_b32_e32 v18, 7, v18
	v_cmp_gt_u32_e32 vcc, 8, v10
	v_cndmask_b32_e32 v10, v21, v19, vcc
	v_cndmask_b32_e32 v18, v20, v18, vcc
	v_lshlrev_b32_e32 v19, 24, v12
	v_bfrev_b32_e32 v20, 60
	v_lshlrev_b32_e32 v18, 20, v18
	v_and_b32_e32 v19, 0x80000000, v19
	v_lshl_add_u32 v10, v10, 23, v20
	v_or3_b32 v10, v19, v10, v18
	v_lshrrev_b32_e32 v18, 16, v10
.LBB842_549:
	s_or_b64 exec, exec, s[12:13]
.LBB842_550:
	s_or_b64 exec, exec, s[10:11]
.LBB842_551:
	s_or_b64 exec, exec, s[8:9]
	v_lshrrev_b16_e32 v10, 8, v12
	v_cmp_ne_u16_e32 vcc, 0, v10
	s_and_saveexec_b64 s[8:9], vcc
	s_cbranch_execz .LBB842_557
; %bb.552:
	s_movk_i32 s7, 0x80
	v_cmp_ne_u16_e32 vcc, s7, v10
	v_mov_b32_e32 v11, 0xffff8000
	s_and_saveexec_b64 s[10:11], vcc
	s_cbranch_execz .LBB842_556
; %bb.553:
	s_movk_i32 s7, 0x7f
	v_and_b32_e32 v19, 0x7f, v10
	v_cmp_ne_u32_e32 vcc, s7, v19
	v_mov_b32_e32 v11, 0x7f80
	s_and_saveexec_b64 s[12:13], vcc
	s_cbranch_execz .LBB842_555
; %bb.554:
	v_and_b32_e32 v20, 7, v10
	v_ffbh_u32_e32 v11, v20
	v_min_u32_e32 v23, 32, v11
	v_subrev_u32_e32 v11, 28, v23
	v_lshlrev_b64 v[10:11], v11, v[10:11]
	v_lshrrev_b32_e32 v21, 3, v19
	v_sub_u32_e32 v11, 29, v23
	v_and_b32_e32 v10, 7, v10
	v_cmp_gt_u32_e32 vcc, 8, v19
	v_cndmask_b32_e32 v11, v21, v11, vcc
	v_cndmask_b32_e32 v10, v20, v10, vcc
	v_lshlrev_b32_e32 v19, 16, v12
	v_bfrev_b32_e32 v20, 60
	v_lshlrev_b32_e32 v10, 20, v10
	v_and_b32_e32 v19, 0x80000000, v19
	v_lshl_add_u32 v11, v11, 23, v20
	v_or3_b32 v10, v19, v11, v10
	v_lshrrev_b32_e32 v11, 16, v10
.LBB842_555:
	s_or_b64 exec, exec, s[12:13]
.LBB842_556:
	s_or_b64 exec, exec, s[10:11]
.LBB842_557:
	s_or_b64 exec, exec, s[8:9]
	s_movk_i32 s7, 0xff
	v_and_b32_sdwa v21, v12, s7 dst_sel:DWORD dst_unused:UNUSED_PAD src0_sel:WORD_1 src1_sel:DWORD
	v_lshrrev_b32_e32 v10, 16, v12
	v_cmp_ne_u16_e32 vcc, 0, v21
	v_mov_b32_e32 v19, 0
	v_mov_b32_e32 v20, 0
	s_and_saveexec_b64 s[8:9], vcc
	s_cbranch_execz .LBB842_563
; %bb.558:
	s_movk_i32 s7, 0x80
	v_cmp_ne_u16_e32 vcc, s7, v21
	v_mov_b32_e32 v20, 0xffff8000
	s_and_saveexec_b64 s[10:11], vcc
	s_cbranch_execz .LBB842_562
; %bb.559:
	v_bfe_u32 v21, v12, 16, 7
	s_movk_i32 s7, 0x7f
	v_cmp_ne_u32_e32 vcc, s7, v21
	v_mov_b32_e32 v20, 0x7f80
	s_and_saveexec_b64 s[12:13], vcc
	s_cbranch_execz .LBB842_561
; %bb.560:
	v_and_b32_e32 v20, 7, v10
	v_ffbh_u32_e32 v24, v20
	v_min_u32_e32 v27, 32, v24
	v_subrev_u32_e32 v24, 28, v27
	v_lshlrev_b64 v[24:25], v24, v[10:11]
	v_lshrrev_b32_e32 v23, 3, v21
	v_sub_u32_e32 v10, 29, v27
	v_and_b32_e32 v24, 7, v24
	v_cmp_gt_u32_e32 vcc, 8, v21
	v_mov_b32_e32 v21, 24
	v_cndmask_b32_e32 v10, v23, v10, vcc
	v_cndmask_b32_e32 v20, v20, v24, vcc
	v_lshlrev_b32_sdwa v21, v21, v12 dst_sel:DWORD dst_unused:UNUSED_PAD src0_sel:DWORD src1_sel:WORD_1
	v_bfrev_b32_e32 v23, 60
	v_lshlrev_b32_e32 v20, 20, v20
	v_and_b32_e32 v21, 0x80000000, v21
	v_lshl_add_u32 v10, v10, 23, v23
	v_or3_b32 v10, v21, v10, v20
	v_lshrrev_b32_e32 v20, 16, v10
.LBB842_561:
	s_or_b64 exec, exec, s[12:13]
.LBB842_562:
	s_or_b64 exec, exec, s[10:11]
.LBB842_563:
	s_or_b64 exec, exec, s[8:9]
	s_mov_b32 s7, 0xffffff
	v_cmp_lt_u32_e32 vcc, s7, v12
	s_and_saveexec_b64 s[8:9], vcc
	s_cbranch_execz .LBB842_569
; %bb.564:
	v_lshrrev_b32_e32 v10, 24, v12
	s_movk_i32 s7, 0x80
	v_cmp_ne_u32_e32 vcc, s7, v10
	v_mov_b32_e32 v19, 0xffff8000
	s_and_saveexec_b64 s[10:11], vcc
	s_cbranch_execz .LBB842_568
; %bb.565:
	v_bfe_u32 v12, v12, 24, 7
	s_movk_i32 s7, 0x7f
	v_cmp_ne_u32_e32 vcc, s7, v12
	v_mov_b32_e32 v19, 0x7f80
	s_and_saveexec_b64 s[12:13], vcc
	s_cbranch_execz .LBB842_567
; %bb.566:
	v_and_b32_e32 v19, 7, v10
	v_ffbh_u32_e32 v23, v19
	v_min_u32_e32 v23, 32, v23
	v_subrev_u32_e32 v24, 28, v23
	v_lshlrev_b64 v[24:25], v24, v[10:11]
	v_lshrrev_b32_e32 v21, 3, v12
	v_sub_u32_e32 v23, 29, v23
	v_and_b32_e32 v24, 7, v24
	v_cmp_gt_u32_e32 vcc, 8, v12
	v_cndmask_b32_e32 v12, v21, v23, vcc
	v_cndmask_b32_e32 v19, v19, v24, vcc
	v_lshlrev_b32_e32 v10, 24, v10
	v_bfrev_b32_e32 v21, 60
	v_lshlrev_b32_e32 v19, 20, v19
	v_and_b32_e32 v10, 0x80000000, v10
	v_lshl_add_u32 v12, v12, 23, v21
	v_or3_b32 v10, v10, v12, v19
	v_lshrrev_b32_e32 v19, 16, v10
.LBB842_567:
	s_or_b64 exec, exec, s[12:13]
.LBB842_568:
	s_or_b64 exec, exec, s[10:11]
.LBB842_569:
	s_or_b64 exec, exec, s[8:9]
	v_mov_b32_e32 v12, 0
	v_cmp_ne_u16_sdwa s[10:11], v13, v12 src0_sel:BYTE_0 src1_sel:DWORD
	v_mov_b32_e32 v21, 0
	s_and_saveexec_b64 s[8:9], s[10:11]
	s_cbranch_execz .LBB842_575
; %bb.570:
	s_movk_i32 s7, 0x80
	v_cmp_ne_u16_sdwa s[12:13], v13, s7 src0_sel:BYTE_0 src1_sel:DWORD
	v_mov_b32_e32 v21, 0xffff8000
	s_and_saveexec_b64 s[10:11], s[12:13]
	s_cbranch_execz .LBB842_574
; %bb.571:
	s_movk_i32 s7, 0x7f
	v_and_b32_e32 v10, 0x7f, v13
	v_cmp_ne_u32_e32 vcc, s7, v10
	v_mov_b32_e32 v21, 0x7f80
	s_and_saveexec_b64 s[12:13], vcc
	s_cbranch_execz .LBB842_573
; %bb.572:
	v_and_b32_e32 v21, 7, v13
	v_ffbh_u32_e32 v25, v21
	v_min_u32_e32 v27, 32, v25
	v_mov_b32_e32 v24, v13
	v_subrev_u32_e32 v25, 28, v27
	v_lshlrev_b64 v[24:25], v25, v[24:25]
	v_lshrrev_b32_e32 v23, 3, v10
	v_sub_u32_e32 v25, 29, v27
	v_and_b32_e32 v24, 7, v24
	v_cmp_gt_u32_e32 vcc, 8, v10
	v_cndmask_b32_e32 v10, v23, v25, vcc
	v_cndmask_b32_e32 v21, v21, v24, vcc
	v_lshlrev_b32_e32 v23, 24, v13
	v_bfrev_b32_e32 v24, 60
	v_lshlrev_b32_e32 v21, 20, v21
	v_and_b32_e32 v23, 0x80000000, v23
	v_lshl_add_u32 v10, v10, 23, v24
	v_or3_b32 v10, v23, v10, v21
	v_lshrrev_b32_e32 v21, 16, v10
.LBB842_573:
	s_or_b64 exec, exec, s[12:13]
.LBB842_574:
	s_or_b64 exec, exec, s[10:11]
.LBB842_575:
	s_or_b64 exec, exec, s[8:9]
	v_lshrrev_b16_e32 v10, 8, v13
	v_cmp_ne_u16_e32 vcc, 0, v10
	s_and_saveexec_b64 s[8:9], vcc
	s_cbranch_execz .LBB842_581
; %bb.576:
	s_movk_i32 s7, 0x80
	v_cmp_ne_u16_e32 vcc, s7, v10
	v_mov_b32_e32 v12, 0xffff8000
	s_and_saveexec_b64 s[10:11], vcc
	s_cbranch_execz .LBB842_580
; %bb.577:
	s_movk_i32 s7, 0x7f
	v_and_b32_e32 v23, 0x7f, v10
	v_cmp_ne_u32_e32 vcc, s7, v23
	v_mov_b32_e32 v12, 0x7f80
	s_and_saveexec_b64 s[12:13], vcc
	s_cbranch_execz .LBB842_579
; %bb.578:
	v_and_b32_e32 v12, 7, v10
	v_ffbh_u32_e32 v24, v12
	v_min_u32_e32 v28, 32, v24
	v_subrev_u32_e32 v24, 28, v28
	v_lshlrev_b64 v[24:25], v24, v[10:11]
	v_lshrrev_b32_e32 v27, 3, v23
	v_sub_u32_e32 v10, 29, v28
	v_and_b32_e32 v24, 7, v24
	v_cmp_gt_u32_e32 vcc, 8, v23
	v_cndmask_b32_e32 v10, v27, v10, vcc
	v_cndmask_b32_e32 v12, v12, v24, vcc
	v_lshlrev_b32_e32 v23, 16, v13
	v_bfrev_b32_e32 v24, 60
	v_lshlrev_b32_e32 v12, 20, v12
	v_and_b32_e32 v23, 0x80000000, v23
	v_lshl_add_u32 v10, v10, 23, v24
	v_or3_b32 v10, v23, v10, v12
	v_lshrrev_b32_e32 v12, 16, v10
.LBB842_579:
	s_or_b64 exec, exec, s[12:13]
.LBB842_580:
	s_or_b64 exec, exec, s[10:11]
.LBB842_581:
	s_or_b64 exec, exec, s[8:9]
	s_movk_i32 s7, 0xff
	v_and_b32_sdwa v25, v13, s7 dst_sel:DWORD dst_unused:UNUSED_PAD src0_sel:WORD_1 src1_sel:DWORD
	v_lshrrev_b32_e32 v10, 16, v13
	v_cmp_ne_u16_e32 vcc, 0, v25
	v_mov_b32_e32 v23, 0
	v_mov_b32_e32 v24, 0
	s_and_saveexec_b64 s[8:9], vcc
	s_cbranch_execz .LBB842_587
; %bb.582:
	s_movk_i32 s7, 0x80
	v_cmp_ne_u16_e32 vcc, s7, v25
	v_mov_b32_e32 v24, 0xffff8000
	s_and_saveexec_b64 s[10:11], vcc
	s_cbranch_execz .LBB842_586
; %bb.583:
	v_bfe_u32 v25, v13, 16, 7
	s_movk_i32 s7, 0x7f
	v_cmp_ne_u32_e32 vcc, s7, v25
	v_mov_b32_e32 v24, 0x7f80
	s_and_saveexec_b64 s[12:13], vcc
	s_cbranch_execz .LBB842_585
; %bb.584:
	v_and_b32_e32 v24, 7, v10
	v_ffbh_u32_e32 v28, v24
	v_min_u32_e32 v30, 32, v28
	v_subrev_u32_e32 v28, 28, v30
	v_lshlrev_b64 v[28:29], v28, v[10:11]
	v_lshrrev_b32_e32 v27, 3, v25
	v_sub_u32_e32 v10, 29, v30
	v_and_b32_e32 v28, 7, v28
	v_cmp_gt_u32_e32 vcc, 8, v25
	v_mov_b32_e32 v25, 24
	v_cndmask_b32_e32 v10, v27, v10, vcc
	v_cndmask_b32_e32 v24, v24, v28, vcc
	v_lshlrev_b32_sdwa v25, v25, v13 dst_sel:DWORD dst_unused:UNUSED_PAD src0_sel:DWORD src1_sel:WORD_1
	v_bfrev_b32_e32 v27, 60
	v_lshlrev_b32_e32 v24, 20, v24
	v_and_b32_e32 v25, 0x80000000, v25
	v_lshl_add_u32 v10, v10, 23, v27
	v_or3_b32 v10, v25, v10, v24
	v_lshrrev_b32_e32 v24, 16, v10
.LBB842_585:
	s_or_b64 exec, exec, s[12:13]
.LBB842_586:
	s_or_b64 exec, exec, s[10:11]
.LBB842_587:
	s_or_b64 exec, exec, s[8:9]
	s_mov_b32 s7, 0xffffff
	v_cmp_lt_u32_e32 vcc, s7, v13
	s_and_saveexec_b64 s[8:9], vcc
	s_cbranch_execz .LBB842_593
; %bb.588:
	v_lshrrev_b32_e32 v10, 24, v13
	s_movk_i32 s7, 0x80
	v_cmp_ne_u32_e32 vcc, s7, v10
	v_mov_b32_e32 v23, 0xffff8000
	s_and_saveexec_b64 s[10:11], vcc
	s_cbranch_execz .LBB842_592
; %bb.589:
	v_bfe_u32 v13, v13, 24, 7
	s_movk_i32 s7, 0x7f
	v_cmp_ne_u32_e32 vcc, s7, v13
	v_mov_b32_e32 v23, 0x7f80
	s_and_saveexec_b64 s[12:13], vcc
	s_cbranch_execz .LBB842_591
; %bb.590:
	v_and_b32_e32 v23, 7, v10
	v_ffbh_u32_e32 v27, v23
	v_min_u32_e32 v27, 32, v27
	v_subrev_u32_e32 v28, 28, v27
	v_lshlrev_b64 v[28:29], v28, v[10:11]
	v_lshrrev_b32_e32 v25, 3, v13
	v_sub_u32_e32 v27, 29, v27
	v_and_b32_e32 v28, 7, v28
	v_cmp_gt_u32_e32 vcc, 8, v13
	v_cndmask_b32_e32 v13, v25, v27, vcc
	v_cndmask_b32_e32 v23, v23, v28, vcc
	v_lshlrev_b32_e32 v10, 24, v10
	v_bfrev_b32_e32 v25, 60
	v_lshlrev_b32_e32 v23, 20, v23
	v_and_b32_e32 v10, 0x80000000, v10
	v_lshl_add_u32 v13, v13, 23, v25
	v_or3_b32 v10, v10, v13, v23
	v_lshrrev_b32_e32 v23, 16, v10
.LBB842_591:
	s_or_b64 exec, exec, s[12:13]
.LBB842_592:
	s_or_b64 exec, exec, s[10:11]
.LBB842_593:
	s_or_b64 exec, exec, s[8:9]
	s_mov_b32 s7, 0x5040100
	v_perm_b32 v19, v19, v20, s7
	v_perm_b32 v18, v11, v18, s7
	ds_read_b128 v[28:31], v22 offset:2064
	v_perm_b32 v11, v23, v24, s7
	v_perm_b32 v10, v12, v21, s7
	s_waitcnt lgkmcnt(0)
	v_mfma_f32_16x16x16bf16_1k v[32:35], v[18:19], v[28:29], v[14:17]
	s_nop 6
	v_mov_b32_e32 v15, 0
	s_waitcnt vmcnt(1)
	v_cmp_ne_u16_sdwa s[10:11], v6, v15 src0_sel:BYTE_0 src1_sel:DWORD
	v_mfma_f32_16x16x16bf16_1k v[10:13], v[10:11], v[30:31], v[32:35]
	v_mov_b32_e32 v16, 0
	s_and_saveexec_b64 s[8:9], s[10:11]
	s_cbranch_execz .LBB842_599
; %bb.594:
	s_movk_i32 s7, 0x80
	v_cmp_ne_u16_sdwa s[12:13], v6, s7 src0_sel:BYTE_0 src1_sel:DWORD
	v_mov_b32_e32 v16, 0xffff8000
	s_and_saveexec_b64 s[10:11], s[12:13]
	s_cbranch_execz .LBB842_598
; %bb.595:
	s_movk_i32 s7, 0x7f
	v_and_b32_e32 v14, 0x7f, v6
	v_cmp_ne_u32_e32 vcc, s7, v14
	v_mov_b32_e32 v16, 0x7f80
	s_and_saveexec_b64 s[12:13], vcc
	s_cbranch_execz .LBB842_597
; %bb.596:
	v_and_b32_e32 v18, 7, v6
	v_ffbh_u32_e32 v16, v18
	v_min_u32_e32 v20, 32, v16
	v_subrev_u32_e32 v16, 28, v20
	v_lshlrev_b64 v[16:17], v16, v[6:7]
	v_lshrrev_b32_e32 v19, 3, v14
	v_sub_u32_e32 v17, 29, v20
	v_and_b32_e32 v16, 7, v16
	v_cmp_gt_u32_e32 vcc, 8, v14
	v_cndmask_b32_e32 v14, v19, v17, vcc
	v_cndmask_b32_e32 v16, v18, v16, vcc
	v_lshlrev_b32_e32 v17, 24, v6
	v_bfrev_b32_e32 v18, 60
	v_lshlrev_b32_e32 v16, 20, v16
	v_and_b32_e32 v17, 0x80000000, v17
	v_lshl_add_u32 v14, v14, 23, v18
	v_or3_b32 v14, v17, v14, v16
	v_lshrrev_b32_e32 v16, 16, v14
.LBB842_597:
	s_or_b64 exec, exec, s[12:13]
.LBB842_598:
	s_or_b64 exec, exec, s[10:11]
.LBB842_599:
	s_or_b64 exec, exec, s[8:9]
	v_lshrrev_b16_e32 v14, 8, v6
	v_cmp_ne_u16_e32 vcc, 0, v14
	s_and_saveexec_b64 s[8:9], vcc
	s_cbranch_execz .LBB842_605
; %bb.600:
	s_movk_i32 s7, 0x80
	v_cmp_ne_u16_e32 vcc, s7, v14
	v_mov_b32_e32 v15, 0xffff8000
	s_and_saveexec_b64 s[10:11], vcc
	s_cbranch_execz .LBB842_604
; %bb.601:
	s_movk_i32 s7, 0x7f
	v_and_b32_e32 v17, 0x7f, v14
	v_cmp_ne_u32_e32 vcc, s7, v17
	v_mov_b32_e32 v15, 0x7f80
	s_and_saveexec_b64 s[12:13], vcc
	s_cbranch_execz .LBB842_603
; %bb.602:
	v_and_b32_e32 v18, 7, v14
	v_ffbh_u32_e32 v15, v18
	v_min_u32_e32 v20, 32, v15
	v_subrev_u32_e32 v15, 28, v20
	v_lshlrev_b64 v[14:15], v15, v[14:15]
	v_lshrrev_b32_e32 v19, 3, v17
	v_sub_u32_e32 v15, 29, v20
	v_and_b32_e32 v14, 7, v14
	v_cmp_gt_u32_e32 vcc, 8, v17
	v_cndmask_b32_e32 v15, v19, v15, vcc
	v_cndmask_b32_e32 v14, v18, v14, vcc
	v_lshlrev_b32_e32 v17, 16, v6
	v_bfrev_b32_e32 v18, 60
	v_lshlrev_b32_e32 v14, 20, v14
	v_and_b32_e32 v17, 0x80000000, v17
	v_lshl_add_u32 v15, v15, 23, v18
	v_or3_b32 v14, v17, v15, v14
	v_lshrrev_b32_e32 v15, 16, v14
.LBB842_603:
	s_or_b64 exec, exec, s[12:13]
.LBB842_604:
	s_or_b64 exec, exec, s[10:11]
.LBB842_605:
	s_or_b64 exec, exec, s[8:9]
	s_movk_i32 s7, 0xff
	v_and_b32_sdwa v19, v6, s7 dst_sel:DWORD dst_unused:UNUSED_PAD src0_sel:WORD_1 src1_sel:DWORD
	v_lshrrev_b32_e32 v14, 16, v6
	v_cmp_ne_u16_e32 vcc, 0, v19
	v_mov_b32_e32 v17, 0
	v_mov_b32_e32 v18, 0
	s_and_saveexec_b64 s[8:9], vcc
	s_cbranch_execz .LBB842_611
; %bb.606:
	s_movk_i32 s7, 0x80
	v_cmp_ne_u16_e32 vcc, s7, v19
	v_mov_b32_e32 v18, 0xffff8000
	s_and_saveexec_b64 s[10:11], vcc
	s_cbranch_execz .LBB842_610
; %bb.607:
	v_bfe_u32 v19, v6, 16, 7
	s_movk_i32 s7, 0x7f
	v_cmp_ne_u32_e32 vcc, s7, v19
	v_mov_b32_e32 v18, 0x7f80
	s_and_saveexec_b64 s[12:13], vcc
	s_cbranch_execz .LBB842_609
; %bb.608:
	v_and_b32_e32 v18, 7, v14
	v_ffbh_u32_e32 v20, v18
	v_min_u32_e32 v24, 32, v20
	v_subrev_u32_e32 v20, 28, v24
	v_lshlrev_b64 v[20:21], v20, v[14:15]
	v_lshrrev_b32_e32 v23, 3, v19
	v_sub_u32_e32 v14, 29, v24
	v_and_b32_e32 v20, 7, v20
	v_cmp_gt_u32_e32 vcc, 8, v19
	v_mov_b32_e32 v19, 24
	v_cndmask_b32_e32 v14, v23, v14, vcc
	v_cndmask_b32_e32 v18, v18, v20, vcc
	v_lshlrev_b32_sdwa v19, v19, v6 dst_sel:DWORD dst_unused:UNUSED_PAD src0_sel:DWORD src1_sel:WORD_1
	v_bfrev_b32_e32 v20, 60
	v_lshlrev_b32_e32 v18, 20, v18
	v_and_b32_e32 v19, 0x80000000, v19
	v_lshl_add_u32 v14, v14, 23, v20
	v_or3_b32 v14, v19, v14, v18
	v_lshrrev_b32_e32 v18, 16, v14
.LBB842_609:
	s_or_b64 exec, exec, s[12:13]
.LBB842_610:
	s_or_b64 exec, exec, s[10:11]
.LBB842_611:
	s_or_b64 exec, exec, s[8:9]
	s_mov_b32 s7, 0xffffff
	v_cmp_lt_u32_e32 vcc, s7, v6
	s_and_saveexec_b64 s[8:9], vcc
	s_cbranch_execz .LBB842_617
; %bb.612:
	v_lshrrev_b32_e32 v14, 24, v6
	s_movk_i32 s7, 0x80
	v_cmp_ne_u32_e32 vcc, s7, v14
	v_mov_b32_e32 v17, 0xffff8000
	s_and_saveexec_b64 s[10:11], vcc
	s_cbranch_execz .LBB842_616
; %bb.613:
	v_bfe_u32 v6, v6, 24, 7
	s_movk_i32 s7, 0x7f
	v_cmp_ne_u32_e32 vcc, s7, v6
	v_mov_b32_e32 v17, 0x7f80
	s_and_saveexec_b64 s[12:13], vcc
	s_cbranch_execz .LBB842_615
; %bb.614:
	v_and_b32_e32 v17, 7, v14
	v_ffbh_u32_e32 v20, v17
	v_min_u32_e32 v23, 32, v20
	v_subrev_u32_e32 v20, 28, v23
	v_lshlrev_b64 v[20:21], v20, v[14:15]
	v_lshrrev_b32_e32 v19, 3, v6
	v_sub_u32_e32 v21, 29, v23
	v_and_b32_e32 v20, 7, v20
	v_cmp_gt_u32_e32 vcc, 8, v6
	v_cndmask_b32_e32 v6, v19, v21, vcc
	v_cndmask_b32_e32 v17, v17, v20, vcc
	v_lshlrev_b32_e32 v14, 24, v14
	v_bfrev_b32_e32 v19, 60
	v_lshlrev_b32_e32 v17, 20, v17
	v_and_b32_e32 v14, 0x80000000, v14
	v_lshl_add_u32 v6, v6, 23, v19
	v_or3_b32 v6, v14, v6, v17
	v_lshrrev_b32_e32 v17, 16, v6
.LBB842_615:
	s_or_b64 exec, exec, s[12:13]
.LBB842_616:
	s_or_b64 exec, exec, s[10:11]
.LBB842_617:
	s_or_b64 exec, exec, s[8:9]
	v_mov_b32_e32 v14, 0
	v_cmp_ne_u16_sdwa s[10:11], v7, v14 src0_sel:BYTE_0 src1_sel:DWORD
	v_mov_b32_e32 v19, 0
	s_and_saveexec_b64 s[8:9], s[10:11]
	s_cbranch_execz .LBB842_623
; %bb.618:
	s_movk_i32 s7, 0x80
	v_cmp_ne_u16_sdwa s[12:13], v7, s7 src0_sel:BYTE_0 src1_sel:DWORD
	v_mov_b32_e32 v19, 0xffff8000
	s_and_saveexec_b64 s[10:11], s[12:13]
	s_cbranch_execz .LBB842_622
; %bb.619:
	s_movk_i32 s7, 0x7f
	v_and_b32_e32 v6, 0x7f, v7
	v_cmp_ne_u32_e32 vcc, s7, v6
	v_mov_b32_e32 v19, 0x7f80
	s_and_saveexec_b64 s[12:13], vcc
	s_cbranch_execz .LBB842_621
; %bb.620:
	v_and_b32_e32 v19, 7, v7
	v_ffbh_u32_e32 v21, v19
	v_min_u32_e32 v24, 32, v21
	v_mov_b32_e32 v20, v7
	v_subrev_u32_e32 v21, 28, v24
	v_lshlrev_b64 v[20:21], v21, v[20:21]
	v_lshrrev_b32_e32 v23, 3, v6
	v_sub_u32_e32 v21, 29, v24
	v_and_b32_e32 v20, 7, v20
	v_cmp_gt_u32_e32 vcc, 8, v6
	v_cndmask_b32_e32 v6, v23, v21, vcc
	v_cndmask_b32_e32 v19, v19, v20, vcc
	v_lshlrev_b32_e32 v20, 24, v7
	v_bfrev_b32_e32 v21, 60
	v_lshlrev_b32_e32 v19, 20, v19
	v_and_b32_e32 v20, 0x80000000, v20
	v_lshl_add_u32 v6, v6, 23, v21
	v_or3_b32 v6, v20, v6, v19
	v_lshrrev_b32_e32 v19, 16, v6
.LBB842_621:
	s_or_b64 exec, exec, s[12:13]
.LBB842_622:
	s_or_b64 exec, exec, s[10:11]
.LBB842_623:
	s_or_b64 exec, exec, s[8:9]
	v_lshrrev_b16_e32 v6, 8, v7
	v_cmp_ne_u16_e32 vcc, 0, v6
	s_and_saveexec_b64 s[8:9], vcc
	s_cbranch_execz .LBB842_629
; %bb.624:
	s_movk_i32 s7, 0x80
	v_cmp_ne_u16_e32 vcc, s7, v6
	v_mov_b32_e32 v14, 0xffff8000
	s_and_saveexec_b64 s[10:11], vcc
	s_cbranch_execz .LBB842_628
; %bb.625:
	s_movk_i32 s7, 0x7f
	v_and_b32_e32 v20, 0x7f, v6
	v_cmp_ne_u32_e32 vcc, s7, v20
	v_mov_b32_e32 v14, 0x7f80
	s_and_saveexec_b64 s[12:13], vcc
	s_cbranch_execz .LBB842_627
; %bb.626:
	v_and_b32_e32 v14, 7, v6
	v_ffbh_u32_e32 v23, v14
	v_min_u32_e32 v23, 32, v23
	v_subrev_u32_e32 v24, 28, v23
	v_lshlrev_b64 v[24:25], v24, v[6:7]
	v_lshrrev_b32_e32 v21, 3, v20
	v_sub_u32_e32 v6, 29, v23
	v_and_b32_e32 v23, 7, v24
	v_cmp_gt_u32_e32 vcc, 8, v20
	v_cndmask_b32_e32 v6, v21, v6, vcc
	v_cndmask_b32_e32 v14, v14, v23, vcc
	v_lshlrev_b32_e32 v20, 16, v7
	v_bfrev_b32_e32 v21, 60
	v_lshlrev_b32_e32 v14, 20, v14
	v_and_b32_e32 v20, 0x80000000, v20
	v_lshl_add_u32 v6, v6, 23, v21
	v_or3_b32 v6, v20, v6, v14
	v_lshrrev_b32_e32 v14, 16, v6
.LBB842_627:
	s_or_b64 exec, exec, s[12:13]
.LBB842_628:
	s_or_b64 exec, exec, s[10:11]
.LBB842_629:
	s_or_b64 exec, exec, s[8:9]
	s_movk_i32 s7, 0xff
	v_and_b32_sdwa v23, v7, s7 dst_sel:DWORD dst_unused:UNUSED_PAD src0_sel:WORD_1 src1_sel:DWORD
	v_lshrrev_b32_e32 v6, 16, v7
	v_cmp_ne_u16_e32 vcc, 0, v23
	v_mov_b32_e32 v20, 0
	v_mov_b32_e32 v21, 0
	s_and_saveexec_b64 s[8:9], vcc
	s_cbranch_execz .LBB842_635
; %bb.630:
	s_movk_i32 s7, 0x80
	v_cmp_ne_u16_e32 vcc, s7, v23
	v_mov_b32_e32 v21, 0xffff8000
	s_and_saveexec_b64 s[10:11], vcc
	s_cbranch_execz .LBB842_634
; %bb.631:
	v_bfe_u32 v23, v7, 16, 7
	s_movk_i32 s7, 0x7f
	v_cmp_ne_u32_e32 vcc, s7, v23
	v_mov_b32_e32 v21, 0x7f80
	s_and_saveexec_b64 s[12:13], vcc
	s_cbranch_execz .LBB842_633
; %bb.632:
	v_and_b32_e32 v21, 7, v6
	v_ffbh_u32_e32 v24, v21
	v_min_u32_e32 v28, 32, v24
	v_subrev_u32_e32 v24, 28, v28
	v_lshlrev_b64 v[24:25], v24, v[6:7]
	v_lshrrev_b32_e32 v27, 3, v23
	v_sub_u32_e32 v6, 29, v28
	v_and_b32_e32 v24, 7, v24
	v_cmp_gt_u32_e32 vcc, 8, v23
	v_mov_b32_e32 v23, 24
	v_cndmask_b32_e32 v6, v27, v6, vcc
	v_cndmask_b32_e32 v21, v21, v24, vcc
	v_lshlrev_b32_sdwa v23, v23, v7 dst_sel:DWORD dst_unused:UNUSED_PAD src0_sel:DWORD src1_sel:WORD_1
	v_bfrev_b32_e32 v24, 60
	v_lshlrev_b32_e32 v21, 20, v21
	v_and_b32_e32 v23, 0x80000000, v23
	v_lshl_add_u32 v6, v6, 23, v24
	v_or3_b32 v6, v23, v6, v21
	v_lshrrev_b32_e32 v21, 16, v6
.LBB842_633:
	s_or_b64 exec, exec, s[12:13]
.LBB842_634:
	s_or_b64 exec, exec, s[10:11]
.LBB842_635:
	s_or_b64 exec, exec, s[8:9]
	s_mov_b32 s7, 0xffffff
	v_cmp_lt_u32_e32 vcc, s7, v7
	s_and_saveexec_b64 s[8:9], vcc
	s_cbranch_execz .LBB842_641
; %bb.636:
	v_lshrrev_b32_e32 v6, 24, v7
	s_movk_i32 s7, 0x80
	v_cmp_ne_u32_e32 vcc, s7, v6
	v_mov_b32_e32 v20, 0xffff8000
	s_and_saveexec_b64 s[10:11], vcc
	s_cbranch_execz .LBB842_640
; %bb.637:
	v_bfe_u32 v7, v7, 24, 7
	s_movk_i32 s7, 0x7f
	v_cmp_ne_u32_e32 vcc, s7, v7
	v_mov_b32_e32 v20, 0x7f80
	s_and_saveexec_b64 s[12:13], vcc
	s_cbranch_execz .LBB842_639
; %bb.638:
	v_and_b32_e32 v20, 7, v6
	v_ffbh_u32_e32 v24, v20
	v_min_u32_e32 v27, 32, v24
	v_subrev_u32_e32 v24, 28, v27
	v_lshlrev_b64 v[24:25], v24, v[6:7]
	v_lshrrev_b32_e32 v23, 3, v7
	v_sub_u32_e32 v25, 29, v27
	v_and_b32_e32 v24, 7, v24
	v_cmp_gt_u32_e32 vcc, 8, v7
	v_cndmask_b32_e32 v7, v23, v25, vcc
	v_cndmask_b32_e32 v20, v20, v24, vcc
	v_lshlrev_b32_e32 v6, 24, v6
	v_bfrev_b32_e32 v23, 60
	v_lshlrev_b32_e32 v20, 20, v20
	v_and_b32_e32 v6, 0x80000000, v6
	v_lshl_add_u32 v7, v7, 23, v23
	v_or3_b32 v6, v6, v7, v20
	v_lshrrev_b32_e32 v20, 16, v6
.LBB842_639:
	s_or_b64 exec, exec, s[12:13]
.LBB842_640:
	s_or_b64 exec, exec, s[10:11]
.LBB842_641:
	s_or_b64 exec, exec, s[8:9]
	s_mov_b32 s7, 0x5040100
	v_perm_b32 v7, v17, v18, s7
	v_perm_b32 v6, v15, v16, s7
	ds_read_b128 v[28:31], v22 offset:4096
	v_perm_b32 v17, v20, v21, s7
	v_perm_b32 v16, v14, v19, s7
	s_waitcnt lgkmcnt(0)
	v_mfma_f32_16x16x16bf16_1k v[10:13], v[6:7], v[28:29], v[10:13]
	v_mov_b32_e32 v7, 0
	v_cmp_ne_u16_sdwa s[10:11], v8, v7 src0_sel:BYTE_0 src1_sel:DWORD
	v_mov_b32_e32 v14, 0
	v_mfma_f32_16x16x16bf16_1k v[10:13], v[16:17], v[30:31], v[10:13]
	s_and_saveexec_b64 s[8:9], s[10:11]
	s_cbranch_execz .LBB842_647
; %bb.642:
	s_movk_i32 s7, 0x80
	v_cmp_ne_u16_sdwa s[12:13], v8, s7 src0_sel:BYTE_0 src1_sel:DWORD
	v_mov_b32_e32 v14, 0xffff8000
	s_and_saveexec_b64 s[10:11], s[12:13]
	s_cbranch_execz .LBB842_646
; %bb.643:
	s_movk_i32 s7, 0x7f
	v_and_b32_e32 v6, 0x7f, v8
	v_cmp_ne_u32_e32 vcc, s7, v6
	v_mov_b32_e32 v14, 0x7f80
	s_and_saveexec_b64 s[12:13], vcc
	s_cbranch_execz .LBB842_645
; %bb.644:
	v_and_b32_e32 v16, 7, v8
	v_ffbh_u32_e32 v14, v16
	v_min_u32_e32 v18, 32, v14
	v_subrev_u32_e32 v14, 28, v18
	v_lshlrev_b64 v[14:15], v14, v[8:9]
	v_lshrrev_b32_e32 v17, 3, v6
	v_sub_u32_e32 v15, 29, v18
	v_and_b32_e32 v14, 7, v14
	v_cmp_gt_u32_e32 vcc, 8, v6
	v_cndmask_b32_e32 v6, v17, v15, vcc
	v_cndmask_b32_e32 v14, v16, v14, vcc
	v_lshlrev_b32_e32 v15, 24, v8
	v_bfrev_b32_e32 v16, 60
	v_lshlrev_b32_e32 v14, 20, v14
	v_and_b32_e32 v15, 0x80000000, v15
	v_lshl_add_u32 v6, v6, 23, v16
	v_or3_b32 v6, v15, v6, v14
	v_lshrrev_b32_e32 v14, 16, v6
.LBB842_645:
	s_or_b64 exec, exec, s[12:13]
.LBB842_646:
	s_or_b64 exec, exec, s[10:11]
.LBB842_647:
	s_or_b64 exec, exec, s[8:9]
	v_lshrrev_b16_e32 v6, 8, v8
	v_cmp_ne_u16_e32 vcc, 0, v6
	s_and_saveexec_b64 s[8:9], vcc
	s_cbranch_execz .LBB842_653
; %bb.648:
	s_movk_i32 s7, 0x80
	v_cmp_ne_u16_e32 vcc, s7, v6
	v_mov_b32_e32 v7, 0xffff8000
	s_and_saveexec_b64 s[10:11], vcc
	s_cbranch_execz .LBB842_652
; %bb.649:
	s_movk_i32 s7, 0x7f
	v_and_b32_e32 v15, 0x7f, v6
	v_cmp_ne_u32_e32 vcc, s7, v15
	v_mov_b32_e32 v7, 0x7f80
	s_and_saveexec_b64 s[12:13], vcc
	s_cbranch_execz .LBB842_651
; %bb.650:
	v_and_b32_e32 v16, 7, v6
	v_ffbh_u32_e32 v7, v16
	v_min_u32_e32 v18, 32, v7
	v_subrev_u32_e32 v7, 28, v18
	v_lshlrev_b64 v[6:7], v7, v[6:7]
	v_lshrrev_b32_e32 v17, 3, v15
	v_sub_u32_e32 v7, 29, v18
	v_and_b32_e32 v6, 7, v6
	v_cmp_gt_u32_e32 vcc, 8, v15
	v_cndmask_b32_e32 v7, v17, v7, vcc
	v_cndmask_b32_e32 v6, v16, v6, vcc
	v_lshlrev_b32_e32 v15, 16, v8
	v_bfrev_b32_e32 v16, 60
	v_lshlrev_b32_e32 v6, 20, v6
	v_and_b32_e32 v15, 0x80000000, v15
	v_lshl_add_u32 v7, v7, 23, v16
	v_or3_b32 v6, v15, v7, v6
	v_lshrrev_b32_e32 v7, 16, v6
.LBB842_651:
	s_or_b64 exec, exec, s[12:13]
.LBB842_652:
	s_or_b64 exec, exec, s[10:11]
.LBB842_653:
	s_or_b64 exec, exec, s[8:9]
	s_movk_i32 s7, 0xff
	v_and_b32_sdwa v17, v8, s7 dst_sel:DWORD dst_unused:UNUSED_PAD src0_sel:WORD_1 src1_sel:DWORD
	v_lshrrev_b32_e32 v6, 16, v8
	v_cmp_ne_u16_e32 vcc, 0, v17
	v_mov_b32_e32 v15, 0
	v_mov_b32_e32 v16, 0
	s_and_saveexec_b64 s[8:9], vcc
	s_cbranch_execz .LBB842_659
; %bb.654:
	s_movk_i32 s7, 0x80
	v_cmp_ne_u16_e32 vcc, s7, v17
	v_mov_b32_e32 v16, 0xffff8000
	s_and_saveexec_b64 s[10:11], vcc
	s_cbranch_execz .LBB842_658
; %bb.655:
	v_bfe_u32 v17, v8, 16, 7
	s_movk_i32 s7, 0x7f
	v_cmp_ne_u32_e32 vcc, s7, v17
	v_mov_b32_e32 v16, 0x7f80
	s_and_saveexec_b64 s[12:13], vcc
	s_cbranch_execz .LBB842_657
; %bb.656:
	v_and_b32_e32 v16, 7, v6
	v_ffbh_u32_e32 v18, v16
	v_min_u32_e32 v21, 32, v18
	v_subrev_u32_e32 v18, 28, v21
	v_lshlrev_b64 v[18:19], v18, v[6:7]
	v_lshrrev_b32_e32 v20, 3, v17
	v_sub_u32_e32 v6, 29, v21
	v_and_b32_e32 v18, 7, v18
	v_cmp_gt_u32_e32 vcc, 8, v17
	v_mov_b32_e32 v17, 24
	v_cndmask_b32_e32 v6, v20, v6, vcc
	v_cndmask_b32_e32 v16, v16, v18, vcc
	v_lshlrev_b32_sdwa v17, v17, v8 dst_sel:DWORD dst_unused:UNUSED_PAD src0_sel:DWORD src1_sel:WORD_1
	v_bfrev_b32_e32 v18, 60
	v_lshlrev_b32_e32 v16, 20, v16
	v_and_b32_e32 v17, 0x80000000, v17
	v_lshl_add_u32 v6, v6, 23, v18
	v_or3_b32 v6, v17, v6, v16
	v_lshrrev_b32_e32 v16, 16, v6
.LBB842_657:
	s_or_b64 exec, exec, s[12:13]
.LBB842_658:
	s_or_b64 exec, exec, s[10:11]
.LBB842_659:
	s_or_b64 exec, exec, s[8:9]
	s_mov_b32 s7, 0xffffff
	v_cmp_lt_u32_e32 vcc, s7, v8
	s_and_saveexec_b64 s[8:9], vcc
	s_cbranch_execz .LBB842_665
; %bb.660:
	v_lshrrev_b32_e32 v6, 24, v8
	s_movk_i32 s7, 0x80
	v_cmp_ne_u32_e32 vcc, s7, v6
	v_mov_b32_e32 v15, 0xffff8000
	s_and_saveexec_b64 s[10:11], vcc
	s_cbranch_execz .LBB842_664
; %bb.661:
	v_bfe_u32 v8, v8, 24, 7
	s_movk_i32 s7, 0x7f
	v_cmp_ne_u32_e32 vcc, s7, v8
	v_mov_b32_e32 v15, 0x7f80
	s_and_saveexec_b64 s[12:13], vcc
	s_cbranch_execz .LBB842_663
; %bb.662:
	v_and_b32_e32 v15, 7, v6
	v_ffbh_u32_e32 v18, v15
	v_min_u32_e32 v20, 32, v18
	v_subrev_u32_e32 v18, 28, v20
	v_lshlrev_b64 v[18:19], v18, v[6:7]
	v_lshrrev_b32_e32 v17, 3, v8
	v_sub_u32_e32 v19, 29, v20
	v_and_b32_e32 v18, 7, v18
	v_cmp_gt_u32_e32 vcc, 8, v8
	v_cndmask_b32_e32 v8, v17, v19, vcc
	v_cndmask_b32_e32 v15, v15, v18, vcc
	v_lshlrev_b32_e32 v6, 24, v6
	v_bfrev_b32_e32 v17, 60
	v_lshlrev_b32_e32 v15, 20, v15
	v_and_b32_e32 v6, 0x80000000, v6
	v_lshl_add_u32 v8, v8, 23, v17
	v_or3_b32 v6, v6, v8, v15
	v_lshrrev_b32_e32 v15, 16, v6
.LBB842_663:
	s_or_b64 exec, exec, s[12:13]
.LBB842_664:
	s_or_b64 exec, exec, s[10:11]
.LBB842_665:
	s_or_b64 exec, exec, s[8:9]
	v_mov_b32_e32 v8, 0
	v_cmp_ne_u16_sdwa s[10:11], v9, v8 src0_sel:BYTE_0 src1_sel:DWORD
	v_mov_b32_e32 v17, 0
	s_and_saveexec_b64 s[8:9], s[10:11]
	s_cbranch_execz .LBB842_671
; %bb.666:
	s_movk_i32 s7, 0x80
	v_cmp_ne_u16_sdwa s[12:13], v9, s7 src0_sel:BYTE_0 src1_sel:DWORD
	v_mov_b32_e32 v17, 0xffff8000
	s_and_saveexec_b64 s[10:11], s[12:13]
	s_cbranch_execz .LBB842_670
; %bb.667:
	s_movk_i32 s7, 0x7f
	v_and_b32_e32 v6, 0x7f, v9
	v_cmp_ne_u32_e32 vcc, s7, v6
	v_mov_b32_e32 v17, 0x7f80
	s_and_saveexec_b64 s[12:13], vcc
	s_cbranch_execz .LBB842_669
; %bb.668:
	v_and_b32_e32 v17, 7, v9
	v_ffbh_u32_e32 v19, v17
	v_min_u32_e32 v21, 32, v19
	v_mov_b32_e32 v18, v9
	v_subrev_u32_e32 v19, 28, v21
	v_lshlrev_b64 v[18:19], v19, v[18:19]
	v_lshrrev_b32_e32 v20, 3, v6
	v_sub_u32_e32 v19, 29, v21
	v_and_b32_e32 v18, 7, v18
	v_cmp_gt_u32_e32 vcc, 8, v6
	v_cndmask_b32_e32 v6, v20, v19, vcc
	v_cndmask_b32_e32 v17, v17, v18, vcc
	v_lshlrev_b32_e32 v18, 24, v9
	v_bfrev_b32_e32 v19, 60
	v_lshlrev_b32_e32 v17, 20, v17
	v_and_b32_e32 v18, 0x80000000, v18
	v_lshl_add_u32 v6, v6, 23, v19
	v_or3_b32 v6, v18, v6, v17
	v_lshrrev_b32_e32 v17, 16, v6
.LBB842_669:
	s_or_b64 exec, exec, s[12:13]
.LBB842_670:
	s_or_b64 exec, exec, s[10:11]
.LBB842_671:
	s_or_b64 exec, exec, s[8:9]
	v_lshrrev_b16_e32 v6, 8, v9
	v_cmp_ne_u16_e32 vcc, 0, v6
	s_and_saveexec_b64 s[8:9], vcc
	s_cbranch_execz .LBB842_677
; %bb.672:
	s_movk_i32 s7, 0x80
	v_cmp_ne_u16_e32 vcc, s7, v6
	v_mov_b32_e32 v8, 0xffff8000
	s_and_saveexec_b64 s[10:11], vcc
	s_cbranch_execz .LBB842_676
; %bb.673:
	s_movk_i32 s7, 0x7f
	v_and_b32_e32 v18, 0x7f, v6
	v_cmp_ne_u32_e32 vcc, s7, v18
	v_mov_b32_e32 v8, 0x7f80
	s_and_saveexec_b64 s[12:13], vcc
	s_cbranch_execz .LBB842_675
; %bb.674:
	v_and_b32_e32 v8, 7, v6
	v_ffbh_u32_e32 v20, v8
	v_min_u32_e32 v23, 32, v20
	v_subrev_u32_e32 v20, 28, v23
	v_lshlrev_b64 v[20:21], v20, v[6:7]
	v_lshrrev_b32_e32 v19, 3, v18
	v_sub_u32_e32 v6, 29, v23
	v_and_b32_e32 v20, 7, v20
	v_cmp_gt_u32_e32 vcc, 8, v18
	v_cndmask_b32_e32 v6, v19, v6, vcc
	v_cndmask_b32_e32 v8, v8, v20, vcc
	v_lshlrev_b32_e32 v18, 16, v9
	v_bfrev_b32_e32 v19, 60
	v_lshlrev_b32_e32 v8, 20, v8
	v_and_b32_e32 v18, 0x80000000, v18
	v_lshl_add_u32 v6, v6, 23, v19
	v_or3_b32 v6, v18, v6, v8
	v_lshrrev_b32_e32 v8, 16, v6
.LBB842_675:
	s_or_b64 exec, exec, s[12:13]
.LBB842_676:
	s_or_b64 exec, exec, s[10:11]
.LBB842_677:
	s_or_b64 exec, exec, s[8:9]
	s_movk_i32 s7, 0xff
	v_and_b32_sdwa v20, v9, s7 dst_sel:DWORD dst_unused:UNUSED_PAD src0_sel:WORD_1 src1_sel:DWORD
	v_lshrrev_b32_e32 v6, 16, v9
	v_cmp_ne_u16_e32 vcc, 0, v20
	v_mov_b32_e32 v18, 0
	v_mov_b32_e32 v19, 0
	s_and_saveexec_b64 s[8:9], vcc
	s_cbranch_execz .LBB842_683
; %bb.678:
	s_movk_i32 s7, 0x80
	v_cmp_ne_u16_e32 vcc, s7, v20
	v_mov_b32_e32 v19, 0xffff8000
	s_and_saveexec_b64 s[10:11], vcc
	s_cbranch_execz .LBB842_682
; %bb.679:
	v_bfe_u32 v20, v9, 16, 7
	s_movk_i32 s7, 0x7f
	v_cmp_ne_u32_e32 vcc, s7, v20
	v_mov_b32_e32 v19, 0x7f80
	s_and_saveexec_b64 s[12:13], vcc
	s_cbranch_execz .LBB842_681
; %bb.680:
	v_and_b32_e32 v19, 7, v6
	v_ffbh_u32_e32 v23, v19
	v_min_u32_e32 v23, 32, v23
	v_subrev_u32_e32 v24, 28, v23
	v_lshlrev_b64 v[24:25], v24, v[6:7]
	v_lshrrev_b32_e32 v21, 3, v20
	v_sub_u32_e32 v6, 29, v23
	v_and_b32_e32 v23, 7, v24
	v_cmp_gt_u32_e32 vcc, 8, v20
	v_mov_b32_e32 v20, 24
	v_cndmask_b32_e32 v6, v21, v6, vcc
	v_cndmask_b32_e32 v19, v19, v23, vcc
	v_lshlrev_b32_sdwa v20, v20, v9 dst_sel:DWORD dst_unused:UNUSED_PAD src0_sel:DWORD src1_sel:WORD_1
	v_bfrev_b32_e32 v21, 60
	v_lshlrev_b32_e32 v19, 20, v19
	v_and_b32_e32 v20, 0x80000000, v20
	v_lshl_add_u32 v6, v6, 23, v21
	v_or3_b32 v6, v20, v6, v19
	v_lshrrev_b32_e32 v19, 16, v6
.LBB842_681:
	s_or_b64 exec, exec, s[12:13]
.LBB842_682:
	s_or_b64 exec, exec, s[10:11]
.LBB842_683:
	s_or_b64 exec, exec, s[8:9]
	s_mov_b32 s7, 0xffffff
	v_cmp_lt_u32_e32 vcc, s7, v9
	s_and_saveexec_b64 s[8:9], vcc
	s_cbranch_execz .LBB842_689
; %bb.684:
	v_lshrrev_b32_e32 v6, 24, v9
	s_movk_i32 s7, 0x80
	v_cmp_ne_u32_e32 vcc, s7, v6
	v_mov_b32_e32 v18, 0xffff8000
	s_and_saveexec_b64 s[10:11], vcc
	s_cbranch_execz .LBB842_688
; %bb.685:
	v_bfe_u32 v9, v9, 24, 7
	s_movk_i32 s7, 0x7f
	v_cmp_ne_u32_e32 vcc, s7, v9
	v_mov_b32_e32 v18, 0x7f80
	s_and_saveexec_b64 s[12:13], vcc
	s_cbranch_execz .LBB842_687
; %bb.686:
	v_and_b32_e32 v18, 7, v6
	v_ffbh_u32_e32 v20, v18
	v_min_u32_e32 v24, 32, v20
	v_subrev_u32_e32 v20, 28, v24
	v_lshlrev_b64 v[20:21], v20, v[6:7]
	v_lshrrev_b32_e32 v23, 3, v9
	v_sub_u32_e32 v21, 29, v24
	v_and_b32_e32 v20, 7, v20
	v_cmp_gt_u32_e32 vcc, 8, v9
	v_cndmask_b32_e32 v9, v23, v21, vcc
	v_cndmask_b32_e32 v18, v18, v20, vcc
	v_lshlrev_b32_e32 v6, 24, v6
	v_bfrev_b32_e32 v20, 60
	v_lshlrev_b32_e32 v18, 20, v18
	v_and_b32_e32 v6, 0x80000000, v6
	v_lshl_add_u32 v9, v9, 23, v20
	v_or3_b32 v6, v6, v9, v18
	v_lshrrev_b32_e32 v18, 16, v6
.LBB842_687:
	s_or_b64 exec, exec, s[12:13]
.LBB842_688:
	s_or_b64 exec, exec, s[10:11]
.LBB842_689:
	s_or_b64 exec, exec, s[8:9]
	s_mov_b32 s7, 0x5040100
	v_perm_b32 v15, v15, v16, s7
	v_perm_b32 v14, v7, v14, s7
	ds_read_b128 v[28:31], v22 offset:4112
	v_perm_b32 v7, v18, v19, s7
	v_perm_b32 v6, v8, v17, s7
	s_waitcnt lgkmcnt(0)
	v_mfma_f32_16x16x16bf16_1k v[32:35], v[14:15], v[28:29], v[10:13]
	s_nop 6
	v_mov_b32_e32 v11, 0
	s_waitcnt vmcnt(0)
	v_cmp_ne_u16_sdwa s[10:11], v2, v11 src0_sel:BYTE_0 src1_sel:DWORD
	v_mfma_f32_16x16x16bf16_1k v[6:9], v[6:7], v[30:31], v[32:35]
	v_mov_b32_e32 v12, 0
	s_and_saveexec_b64 s[8:9], s[10:11]
	s_cbranch_execz .LBB842_695
; %bb.690:
	s_movk_i32 s7, 0x80
	v_cmp_ne_u16_sdwa s[12:13], v2, s7 src0_sel:BYTE_0 src1_sel:DWORD
	v_mov_b32_e32 v12, 0xffff8000
	s_and_saveexec_b64 s[10:11], s[12:13]
	s_cbranch_execz .LBB842_694
; %bb.691:
	s_movk_i32 s7, 0x7f
	v_and_b32_e32 v10, 0x7f, v2
	v_cmp_ne_u32_e32 vcc, s7, v10
	v_mov_b32_e32 v12, 0x7f80
	s_and_saveexec_b64 s[12:13], vcc
	s_cbranch_execz .LBB842_693
; %bb.692:
	v_and_b32_e32 v14, 7, v2
	v_ffbh_u32_e32 v12, v14
	v_min_u32_e32 v16, 32, v12
	v_subrev_u32_e32 v12, 28, v16
	v_lshlrev_b64 v[12:13], v12, v[2:3]
	v_lshrrev_b32_e32 v15, 3, v10
	v_sub_u32_e32 v13, 29, v16
	v_and_b32_e32 v12, 7, v12
	v_cmp_gt_u32_e32 vcc, 8, v10
	v_cndmask_b32_e32 v10, v15, v13, vcc
	v_cndmask_b32_e32 v12, v14, v12, vcc
	v_lshlrev_b32_e32 v13, 24, v2
	v_bfrev_b32_e32 v14, 60
	v_lshlrev_b32_e32 v12, 20, v12
	v_and_b32_e32 v13, 0x80000000, v13
	v_lshl_add_u32 v10, v10, 23, v14
	v_or3_b32 v10, v13, v10, v12
	v_lshrrev_b32_e32 v12, 16, v10
.LBB842_693:
	s_or_b64 exec, exec, s[12:13]
.LBB842_694:
	s_or_b64 exec, exec, s[10:11]
.LBB842_695:
	s_or_b64 exec, exec, s[8:9]
	v_lshrrev_b16_e32 v10, 8, v2
	v_cmp_ne_u16_e32 vcc, 0, v10
	s_and_saveexec_b64 s[8:9], vcc
	s_cbranch_execz .LBB842_701
; %bb.696:
	s_movk_i32 s7, 0x80
	v_cmp_ne_u16_e32 vcc, s7, v10
	v_mov_b32_e32 v11, 0xffff8000
	s_and_saveexec_b64 s[10:11], vcc
	s_cbranch_execz .LBB842_700
; %bb.697:
	s_movk_i32 s7, 0x7f
	v_and_b32_e32 v13, 0x7f, v10
	v_cmp_ne_u32_e32 vcc, s7, v13
	v_mov_b32_e32 v11, 0x7f80
	s_and_saveexec_b64 s[12:13], vcc
	s_cbranch_execz .LBB842_699
; %bb.698:
	v_and_b32_e32 v14, 7, v10
	v_ffbh_u32_e32 v11, v14
	v_min_u32_e32 v16, 32, v11
	v_subrev_u32_e32 v11, 28, v16
	v_lshlrev_b64 v[10:11], v11, v[10:11]
	v_lshrrev_b32_e32 v15, 3, v13
	v_sub_u32_e32 v11, 29, v16
	v_and_b32_e32 v10, 7, v10
	v_cmp_gt_u32_e32 vcc, 8, v13
	v_cndmask_b32_e32 v11, v15, v11, vcc
	v_cndmask_b32_e32 v10, v14, v10, vcc
	v_lshlrev_b32_e32 v13, 16, v2
	v_bfrev_b32_e32 v14, 60
	v_lshlrev_b32_e32 v10, 20, v10
	v_and_b32_e32 v13, 0x80000000, v13
	v_lshl_add_u32 v11, v11, 23, v14
	v_or3_b32 v10, v13, v11, v10
	v_lshrrev_b32_e32 v11, 16, v10
.LBB842_699:
	s_or_b64 exec, exec, s[12:13]
.LBB842_700:
	s_or_b64 exec, exec, s[10:11]
.LBB842_701:
	s_or_b64 exec, exec, s[8:9]
	s_movk_i32 s7, 0xff
	v_and_b32_sdwa v15, v2, s7 dst_sel:DWORD dst_unused:UNUSED_PAD src0_sel:WORD_1 src1_sel:DWORD
	v_lshrrev_b32_e32 v10, 16, v2
	v_cmp_ne_u16_e32 vcc, 0, v15
	v_mov_b32_e32 v13, 0
	v_mov_b32_e32 v14, 0
	s_and_saveexec_b64 s[8:9], vcc
	s_cbranch_execz .LBB842_707
; %bb.702:
	s_movk_i32 s7, 0x80
	v_cmp_ne_u16_e32 vcc, s7, v15
	v_mov_b32_e32 v14, 0xffff8000
	s_and_saveexec_b64 s[10:11], vcc
	s_cbranch_execz .LBB842_706
; %bb.703:
	v_bfe_u32 v15, v2, 16, 7
	s_movk_i32 s7, 0x7f
	v_cmp_ne_u32_e32 vcc, s7, v15
	v_mov_b32_e32 v14, 0x7f80
	s_and_saveexec_b64 s[12:13], vcc
	s_cbranch_execz .LBB842_705
; %bb.704:
	v_and_b32_e32 v14, 7, v10
	v_ffbh_u32_e32 v16, v14
	v_min_u32_e32 v19, 32, v16
	v_subrev_u32_e32 v16, 28, v19
	v_lshlrev_b64 v[16:17], v16, v[10:11]
	v_lshrrev_b32_e32 v18, 3, v15
	v_sub_u32_e32 v10, 29, v19
	v_and_b32_e32 v16, 7, v16
	v_cmp_gt_u32_e32 vcc, 8, v15
	v_mov_b32_e32 v15, 24
	v_cndmask_b32_e32 v10, v18, v10, vcc
	v_cndmask_b32_e32 v14, v14, v16, vcc
	v_lshlrev_b32_sdwa v15, v15, v2 dst_sel:DWORD dst_unused:UNUSED_PAD src0_sel:DWORD src1_sel:WORD_1
	v_bfrev_b32_e32 v16, 60
	v_lshlrev_b32_e32 v14, 20, v14
	v_and_b32_e32 v15, 0x80000000, v15
	v_lshl_add_u32 v10, v10, 23, v16
	v_or3_b32 v10, v15, v10, v14
	v_lshrrev_b32_e32 v14, 16, v10
.LBB842_705:
	s_or_b64 exec, exec, s[12:13]
.LBB842_706:
	s_or_b64 exec, exec, s[10:11]
.LBB842_707:
	s_or_b64 exec, exec, s[8:9]
	s_mov_b32 s7, 0xffffff
	v_cmp_lt_u32_e32 vcc, s7, v2
	s_and_saveexec_b64 s[8:9], vcc
	s_cbranch_execz .LBB842_713
; %bb.708:
	v_lshrrev_b32_e32 v10, 24, v2
	s_movk_i32 s7, 0x80
	v_cmp_ne_u32_e32 vcc, s7, v10
	v_mov_b32_e32 v13, 0xffff8000
	s_and_saveexec_b64 s[10:11], vcc
	s_cbranch_execz .LBB842_712
; %bb.709:
	v_bfe_u32 v2, v2, 24, 7
	s_movk_i32 s7, 0x7f
	v_cmp_ne_u32_e32 vcc, s7, v2
	v_mov_b32_e32 v13, 0x7f80
	s_and_saveexec_b64 s[12:13], vcc
	s_cbranch_execz .LBB842_711
; %bb.710:
	v_and_b32_e32 v13, 7, v10
	v_ffbh_u32_e32 v16, v13
	v_min_u32_e32 v18, 32, v16
	v_subrev_u32_e32 v16, 28, v18
	v_lshlrev_b64 v[16:17], v16, v[10:11]
	v_lshrrev_b32_e32 v15, 3, v2
	v_sub_u32_e32 v17, 29, v18
	v_and_b32_e32 v16, 7, v16
	v_cmp_gt_u32_e32 vcc, 8, v2
	v_cndmask_b32_e32 v2, v15, v17, vcc
	v_cndmask_b32_e32 v13, v13, v16, vcc
	v_lshlrev_b32_e32 v10, 24, v10
	v_bfrev_b32_e32 v15, 60
	v_lshlrev_b32_e32 v13, 20, v13
	v_and_b32_e32 v10, 0x80000000, v10
	v_lshl_add_u32 v2, v2, 23, v15
	v_or3_b32 v2, v10, v2, v13
	v_lshrrev_b32_e32 v13, 16, v2
.LBB842_711:
	s_or_b64 exec, exec, s[12:13]
.LBB842_712:
	s_or_b64 exec, exec, s[10:11]
.LBB842_713:
	s_or_b64 exec, exec, s[8:9]
	v_mov_b32_e32 v10, 0
	v_cmp_ne_u16_sdwa s[10:11], v3, v10 src0_sel:BYTE_0 src1_sel:DWORD
	v_mov_b32_e32 v15, 0
	s_and_saveexec_b64 s[8:9], s[10:11]
	s_cbranch_execz .LBB842_719
; %bb.714:
	s_movk_i32 s7, 0x80
	v_cmp_ne_u16_sdwa s[12:13], v3, s7 src0_sel:BYTE_0 src1_sel:DWORD
	v_mov_b32_e32 v15, 0xffff8000
	s_and_saveexec_b64 s[10:11], s[12:13]
	s_cbranch_execz .LBB842_718
; %bb.715:
	s_movk_i32 s7, 0x7f
	v_and_b32_e32 v2, 0x7f, v3
	v_cmp_ne_u32_e32 vcc, s7, v2
	v_mov_b32_e32 v15, 0x7f80
	s_and_saveexec_b64 s[12:13], vcc
	s_cbranch_execz .LBB842_717
; %bb.716:
	v_and_b32_e32 v15, 7, v3
	v_ffbh_u32_e32 v17, v15
	v_min_u32_e32 v19, 32, v17
	v_mov_b32_e32 v16, v3
	v_subrev_u32_e32 v17, 28, v19
	v_lshlrev_b64 v[16:17], v17, v[16:17]
	v_lshrrev_b32_e32 v18, 3, v2
	v_sub_u32_e32 v17, 29, v19
	v_and_b32_e32 v16, 7, v16
	v_cmp_gt_u32_e32 vcc, 8, v2
	v_cndmask_b32_e32 v2, v18, v17, vcc
	v_cndmask_b32_e32 v15, v15, v16, vcc
	v_lshlrev_b32_e32 v16, 24, v3
	v_bfrev_b32_e32 v17, 60
	v_lshlrev_b32_e32 v15, 20, v15
	v_and_b32_e32 v16, 0x80000000, v16
	v_lshl_add_u32 v2, v2, 23, v17
	v_or3_b32 v2, v16, v2, v15
	v_lshrrev_b32_e32 v15, 16, v2
.LBB842_717:
	s_or_b64 exec, exec, s[12:13]
.LBB842_718:
	s_or_b64 exec, exec, s[10:11]
.LBB842_719:
	s_or_b64 exec, exec, s[8:9]
	v_lshrrev_b16_e32 v2, 8, v3
	v_cmp_ne_u16_e32 vcc, 0, v2
	s_and_saveexec_b64 s[8:9], vcc
	s_cbranch_execz .LBB842_725
; %bb.720:
	s_movk_i32 s7, 0x80
	v_cmp_ne_u16_e32 vcc, s7, v2
	v_mov_b32_e32 v10, 0xffff8000
	s_and_saveexec_b64 s[10:11], vcc
	s_cbranch_execz .LBB842_724
; %bb.721:
	s_movk_i32 s7, 0x7f
	v_and_b32_e32 v16, 0x7f, v2
	v_cmp_ne_u32_e32 vcc, s7, v16
	v_mov_b32_e32 v10, 0x7f80
	s_and_saveexec_b64 s[12:13], vcc
	s_cbranch_execz .LBB842_723
; %bb.722:
	v_and_b32_e32 v10, 7, v2
	v_ffbh_u32_e32 v18, v10
	v_min_u32_e32 v20, 32, v18
	v_subrev_u32_e32 v18, 28, v20
	v_lshlrev_b64 v[18:19], v18, v[2:3]
	v_lshrrev_b32_e32 v17, 3, v16
	v_sub_u32_e32 v2, 29, v20
	v_and_b32_e32 v18, 7, v18
	v_cmp_gt_u32_e32 vcc, 8, v16
	v_cndmask_b32_e32 v2, v17, v2, vcc
	v_cndmask_b32_e32 v10, v10, v18, vcc
	v_lshlrev_b32_e32 v16, 16, v3
	v_bfrev_b32_e32 v17, 60
	v_lshlrev_b32_e32 v10, 20, v10
	v_and_b32_e32 v16, 0x80000000, v16
	v_lshl_add_u32 v2, v2, 23, v17
	v_or3_b32 v2, v16, v2, v10
	v_lshrrev_b32_e32 v10, 16, v2
.LBB842_723:
	s_or_b64 exec, exec, s[12:13]
.LBB842_724:
	s_or_b64 exec, exec, s[10:11]
.LBB842_725:
	s_or_b64 exec, exec, s[8:9]
	s_movk_i32 s7, 0xff
	v_and_b32_sdwa v18, v3, s7 dst_sel:DWORD dst_unused:UNUSED_PAD src0_sel:WORD_1 src1_sel:DWORD
	v_lshrrev_b32_e32 v2, 16, v3
	v_cmp_ne_u16_e32 vcc, 0, v18
	v_mov_b32_e32 v16, 0
	v_mov_b32_e32 v17, 0
	s_and_saveexec_b64 s[8:9], vcc
	s_cbranch_execz .LBB842_731
; %bb.726:
	s_movk_i32 s7, 0x80
	v_cmp_ne_u16_e32 vcc, s7, v18
	v_mov_b32_e32 v17, 0xffff8000
	s_and_saveexec_b64 s[10:11], vcc
	s_cbranch_execz .LBB842_730
; %bb.727:
	v_bfe_u32 v18, v3, 16, 7
	s_movk_i32 s7, 0x7f
	v_cmp_ne_u32_e32 vcc, s7, v18
	v_mov_b32_e32 v17, 0x7f80
	s_and_saveexec_b64 s[12:13], vcc
	s_cbranch_execz .LBB842_729
; %bb.728:
	v_and_b32_e32 v17, 7, v2
	v_ffbh_u32_e32 v20, v17
	v_min_u32_e32 v23, 32, v20
	v_subrev_u32_e32 v20, 28, v23
	v_lshlrev_b64 v[20:21], v20, v[2:3]
	v_lshrrev_b32_e32 v19, 3, v18
	v_sub_u32_e32 v2, 29, v23
	v_and_b32_e32 v20, 7, v20
	v_cmp_gt_u32_e32 vcc, 8, v18
	v_mov_b32_e32 v18, 24
	v_cndmask_b32_e32 v2, v19, v2, vcc
	v_cndmask_b32_e32 v17, v17, v20, vcc
	v_lshlrev_b32_sdwa v18, v18, v3 dst_sel:DWORD dst_unused:UNUSED_PAD src0_sel:DWORD src1_sel:WORD_1
	v_bfrev_b32_e32 v19, 60
	v_lshlrev_b32_e32 v17, 20, v17
	v_and_b32_e32 v18, 0x80000000, v18
	v_lshl_add_u32 v2, v2, 23, v19
	v_or3_b32 v2, v18, v2, v17
	v_lshrrev_b32_e32 v17, 16, v2
.LBB842_729:
	s_or_b64 exec, exec, s[12:13]
.LBB842_730:
	s_or_b64 exec, exec, s[10:11]
.LBB842_731:
	s_or_b64 exec, exec, s[8:9]
	s_mov_b32 s7, 0xffffff
	v_cmp_lt_u32_e32 vcc, s7, v3
	s_and_saveexec_b64 s[8:9], vcc
	s_cbranch_execz .LBB842_737
; %bb.732:
	v_lshrrev_b32_e32 v2, 24, v3
	s_movk_i32 s7, 0x80
	v_cmp_ne_u32_e32 vcc, s7, v2
	v_mov_b32_e32 v16, 0xffff8000
	s_and_saveexec_b64 s[10:11], vcc
	s_cbranch_execz .LBB842_736
; %bb.733:
	v_bfe_u32 v3, v3, 24, 7
	s_movk_i32 s7, 0x7f
	v_cmp_ne_u32_e32 vcc, s7, v3
	v_mov_b32_e32 v16, 0x7f80
	s_and_saveexec_b64 s[12:13], vcc
	s_cbranch_execz .LBB842_735
; %bb.734:
	v_and_b32_e32 v16, 7, v2
	v_ffbh_u32_e32 v18, v16
	v_min_u32_e32 v21, 32, v18
	v_subrev_u32_e32 v18, 28, v21
	v_lshlrev_b64 v[18:19], v18, v[2:3]
	v_lshrrev_b32_e32 v20, 3, v3
	v_sub_u32_e32 v19, 29, v21
	v_and_b32_e32 v18, 7, v18
	v_cmp_gt_u32_e32 vcc, 8, v3
	v_cndmask_b32_e32 v3, v20, v19, vcc
	v_cndmask_b32_e32 v16, v16, v18, vcc
	v_lshlrev_b32_e32 v2, 24, v2
	v_bfrev_b32_e32 v18, 60
	v_lshlrev_b32_e32 v16, 20, v16
	v_and_b32_e32 v2, 0x80000000, v2
	v_lshl_add_u32 v3, v3, 23, v18
	v_or3_b32 v2, v2, v3, v16
	v_lshrrev_b32_e32 v16, 16, v2
.LBB842_735:
	s_or_b64 exec, exec, s[12:13]
.LBB842_736:
	s_or_b64 exec, exec, s[10:11]
.LBB842_737:
	s_or_b64 exec, exec, s[8:9]
	s_mov_b32 s7, 0x5040100
	v_perm_b32 v3, v13, v14, s7
	v_perm_b32 v2, v11, v12, s7
	ds_read_b128 v[18:21], v22 offset:6144
	v_perm_b32 v13, v16, v17, s7
	v_perm_b32 v12, v10, v15, s7
	s_waitcnt lgkmcnt(0)
	v_mfma_f32_16x16x16bf16_1k v[6:9], v[2:3], v[18:19], v[6:9]
	v_mov_b32_e32 v3, 0
	v_cmp_ne_u16_sdwa s[10:11], v4, v3 src0_sel:BYTE_0 src1_sel:DWORD
	v_mov_b32_e32 v10, 0
	v_mfma_f32_16x16x16bf16_1k v[6:9], v[12:13], v[20:21], v[6:9]
	s_and_saveexec_b64 s[8:9], s[10:11]
	s_cbranch_execz .LBB842_743
; %bb.738:
	s_movk_i32 s7, 0x80
	v_cmp_ne_u16_sdwa s[12:13], v4, s7 src0_sel:BYTE_0 src1_sel:DWORD
	v_mov_b32_e32 v10, 0xffff8000
	s_and_saveexec_b64 s[10:11], s[12:13]
	s_cbranch_execz .LBB842_742
; %bb.739:
	s_movk_i32 s7, 0x7f
	v_and_b32_e32 v2, 0x7f, v4
	v_cmp_ne_u32_e32 vcc, s7, v2
	v_mov_b32_e32 v10, 0x7f80
	s_and_saveexec_b64 s[12:13], vcc
	s_cbranch_execz .LBB842_741
; %bb.740:
	v_and_b32_e32 v12, 7, v4
	v_ffbh_u32_e32 v10, v12
	v_min_u32_e32 v14, 32, v10
	v_subrev_u32_e32 v10, 28, v14
	v_lshlrev_b64 v[10:11], v10, v[4:5]
	v_lshrrev_b32_e32 v13, 3, v2
	v_sub_u32_e32 v11, 29, v14
	v_and_b32_e32 v10, 7, v10
	v_cmp_gt_u32_e32 vcc, 8, v2
	v_cndmask_b32_e32 v2, v13, v11, vcc
	v_cndmask_b32_e32 v10, v12, v10, vcc
	v_lshlrev_b32_e32 v11, 24, v4
	v_bfrev_b32_e32 v12, 60
	v_lshlrev_b32_e32 v10, 20, v10
	v_and_b32_e32 v11, 0x80000000, v11
	v_lshl_add_u32 v2, v2, 23, v12
	v_or3_b32 v2, v11, v2, v10
	v_lshrrev_b32_e32 v10, 16, v2
.LBB842_741:
	s_or_b64 exec, exec, s[12:13]
.LBB842_742:
	s_or_b64 exec, exec, s[10:11]
.LBB842_743:
	s_or_b64 exec, exec, s[8:9]
	v_lshrrev_b16_e32 v2, 8, v4
	v_cmp_ne_u16_e32 vcc, 0, v2
	s_and_saveexec_b64 s[8:9], vcc
	s_cbranch_execz .LBB842_749
; %bb.744:
	s_movk_i32 s7, 0x80
	v_cmp_ne_u16_e32 vcc, s7, v2
	v_mov_b32_e32 v3, 0xffff8000
	s_and_saveexec_b64 s[10:11], vcc
	s_cbranch_execz .LBB842_748
; %bb.745:
	s_movk_i32 s7, 0x7f
	v_and_b32_e32 v11, 0x7f, v2
	v_cmp_ne_u32_e32 vcc, s7, v11
	v_mov_b32_e32 v3, 0x7f80
	s_and_saveexec_b64 s[12:13], vcc
	s_cbranch_execz .LBB842_747
; %bb.746:
	v_and_b32_e32 v12, 7, v2
	v_ffbh_u32_e32 v3, v12
	v_min_u32_e32 v14, 32, v3
	v_subrev_u32_e32 v3, 28, v14
	v_lshlrev_b64 v[2:3], v3, v[2:3]
	v_lshrrev_b32_e32 v13, 3, v11
	v_sub_u32_e32 v3, 29, v14
	v_and_b32_e32 v2, 7, v2
	v_cmp_gt_u32_e32 vcc, 8, v11
	v_cndmask_b32_e32 v3, v13, v3, vcc
	v_cndmask_b32_e32 v2, v12, v2, vcc
	v_lshlrev_b32_e32 v11, 16, v4
	v_bfrev_b32_e32 v12, 60
	v_lshlrev_b32_e32 v2, 20, v2
	v_and_b32_e32 v11, 0x80000000, v11
	v_lshl_add_u32 v3, v3, 23, v12
	v_or3_b32 v2, v11, v3, v2
	v_lshrrev_b32_e32 v3, 16, v2
.LBB842_747:
	s_or_b64 exec, exec, s[12:13]
.LBB842_748:
	s_or_b64 exec, exec, s[10:11]
.LBB842_749:
	s_or_b64 exec, exec, s[8:9]
	s_movk_i32 s7, 0xff
	v_and_b32_sdwa v13, v4, s7 dst_sel:DWORD dst_unused:UNUSED_PAD src0_sel:WORD_1 src1_sel:DWORD
	v_lshrrev_b32_e32 v2, 16, v4
	v_cmp_ne_u16_e32 vcc, 0, v13
	v_mov_b32_e32 v11, 0
	v_mov_b32_e32 v12, 0
	s_and_saveexec_b64 s[8:9], vcc
	s_cbranch_execz .LBB842_755
; %bb.750:
	s_movk_i32 s7, 0x80
	v_cmp_ne_u16_e32 vcc, s7, v13
	v_mov_b32_e32 v12, 0xffff8000
	s_and_saveexec_b64 s[10:11], vcc
	s_cbranch_execz .LBB842_754
; %bb.751:
	v_bfe_u32 v13, v4, 16, 7
	s_movk_i32 s7, 0x7f
	v_cmp_ne_u32_e32 vcc, s7, v13
	v_mov_b32_e32 v12, 0x7f80
	s_and_saveexec_b64 s[12:13], vcc
	s_cbranch_execz .LBB842_753
; %bb.752:
	v_and_b32_e32 v12, 7, v2
	v_ffbh_u32_e32 v14, v12
	v_min_u32_e32 v17, 32, v14
	v_subrev_u32_e32 v14, 28, v17
	v_lshlrev_b64 v[14:15], v14, v[2:3]
	v_lshrrev_b32_e32 v16, 3, v13
	v_sub_u32_e32 v2, 29, v17
	v_and_b32_e32 v14, 7, v14
	v_cmp_gt_u32_e32 vcc, 8, v13
	v_mov_b32_e32 v13, 24
	v_cndmask_b32_e32 v2, v16, v2, vcc
	v_cndmask_b32_e32 v12, v12, v14, vcc
	v_lshlrev_b32_sdwa v13, v13, v4 dst_sel:DWORD dst_unused:UNUSED_PAD src0_sel:DWORD src1_sel:WORD_1
	v_bfrev_b32_e32 v14, 60
	v_lshlrev_b32_e32 v12, 20, v12
	v_and_b32_e32 v13, 0x80000000, v13
	v_lshl_add_u32 v2, v2, 23, v14
	v_or3_b32 v2, v13, v2, v12
	v_lshrrev_b32_e32 v12, 16, v2
.LBB842_753:
	s_or_b64 exec, exec, s[12:13]
.LBB842_754:
	s_or_b64 exec, exec, s[10:11]
.LBB842_755:
	s_or_b64 exec, exec, s[8:9]
	s_mov_b32 s7, 0xffffff
	v_cmp_lt_u32_e32 vcc, s7, v4
	s_and_saveexec_b64 s[8:9], vcc
	s_cbranch_execz .LBB842_761
; %bb.756:
	v_lshrrev_b32_e32 v2, 24, v4
	s_movk_i32 s7, 0x80
	v_cmp_ne_u32_e32 vcc, s7, v2
	v_mov_b32_e32 v11, 0xffff8000
	s_and_saveexec_b64 s[10:11], vcc
	s_cbranch_execz .LBB842_760
; %bb.757:
	v_bfe_u32 v4, v4, 24, 7
	s_movk_i32 s7, 0x7f
	v_cmp_ne_u32_e32 vcc, s7, v4
	v_mov_b32_e32 v11, 0x7f80
	s_and_saveexec_b64 s[12:13], vcc
	s_cbranch_execz .LBB842_759
; %bb.758:
	v_and_b32_e32 v11, 7, v2
	v_ffbh_u32_e32 v14, v11
	v_min_u32_e32 v16, 32, v14
	v_subrev_u32_e32 v14, 28, v16
	v_lshlrev_b64 v[14:15], v14, v[2:3]
	v_lshrrev_b32_e32 v13, 3, v4
	v_sub_u32_e32 v15, 29, v16
	v_and_b32_e32 v14, 7, v14
	v_cmp_gt_u32_e32 vcc, 8, v4
	v_cndmask_b32_e32 v4, v13, v15, vcc
	v_cndmask_b32_e32 v11, v11, v14, vcc
	v_lshlrev_b32_e32 v2, 24, v2
	v_bfrev_b32_e32 v13, 60
	v_lshlrev_b32_e32 v11, 20, v11
	v_and_b32_e32 v2, 0x80000000, v2
	v_lshl_add_u32 v4, v4, 23, v13
	v_or3_b32 v2, v2, v4, v11
	v_lshrrev_b32_e32 v11, 16, v2
.LBB842_759:
	s_or_b64 exec, exec, s[12:13]
.LBB842_760:
	s_or_b64 exec, exec, s[10:11]
.LBB842_761:
	s_or_b64 exec, exec, s[8:9]
	v_mov_b32_e32 v4, 0
	v_cmp_ne_u16_sdwa s[10:11], v5, v4 src0_sel:BYTE_0 src1_sel:DWORD
	v_mov_b32_e32 v13, 0
	s_and_saveexec_b64 s[8:9], s[10:11]
	s_cbranch_execz .LBB842_767
; %bb.762:
	s_movk_i32 s7, 0x80
	v_cmp_ne_u16_sdwa s[12:13], v5, s7 src0_sel:BYTE_0 src1_sel:DWORD
	v_mov_b32_e32 v13, 0xffff8000
	s_and_saveexec_b64 s[10:11], s[12:13]
	s_cbranch_execz .LBB842_766
; %bb.763:
	s_movk_i32 s7, 0x7f
	v_and_b32_e32 v2, 0x7f, v5
	v_cmp_ne_u32_e32 vcc, s7, v2
	v_mov_b32_e32 v13, 0x7f80
	s_and_saveexec_b64 s[12:13], vcc
	s_cbranch_execz .LBB842_765
; %bb.764:
	v_and_b32_e32 v13, 7, v5
	v_ffbh_u32_e32 v15, v13
	v_min_u32_e32 v17, 32, v15
	v_mov_b32_e32 v14, v5
	v_subrev_u32_e32 v15, 28, v17
	v_lshlrev_b64 v[14:15], v15, v[14:15]
	v_lshrrev_b32_e32 v16, 3, v2
	v_sub_u32_e32 v15, 29, v17
	v_and_b32_e32 v14, 7, v14
	v_cmp_gt_u32_e32 vcc, 8, v2
	v_cndmask_b32_e32 v2, v16, v15, vcc
	v_cndmask_b32_e32 v13, v13, v14, vcc
	v_lshlrev_b32_e32 v14, 24, v5
	v_bfrev_b32_e32 v15, 60
	v_lshlrev_b32_e32 v13, 20, v13
	v_and_b32_e32 v14, 0x80000000, v14
	v_lshl_add_u32 v2, v2, 23, v15
	v_or3_b32 v2, v14, v2, v13
	v_lshrrev_b32_e32 v13, 16, v2
.LBB842_765:
	s_or_b64 exec, exec, s[12:13]
.LBB842_766:
	s_or_b64 exec, exec, s[10:11]
.LBB842_767:
	s_or_b64 exec, exec, s[8:9]
	v_lshrrev_b16_e32 v2, 8, v5
	v_cmp_ne_u16_e32 vcc, 0, v2
	s_and_saveexec_b64 s[8:9], vcc
	s_cbranch_execz .LBB842_773
; %bb.768:
	s_movk_i32 s7, 0x80
	v_cmp_ne_u16_e32 vcc, s7, v2
	v_mov_b32_e32 v4, 0xffff8000
	s_and_saveexec_b64 s[10:11], vcc
	s_cbranch_execz .LBB842_772
; %bb.769:
	s_movk_i32 s7, 0x7f
	v_and_b32_e32 v14, 0x7f, v2
	v_cmp_ne_u32_e32 vcc, s7, v14
	v_mov_b32_e32 v4, 0x7f80
	s_and_saveexec_b64 s[12:13], vcc
	s_cbranch_execz .LBB842_771
; %bb.770:
	v_and_b32_e32 v4, 7, v2
	v_ffbh_u32_e32 v16, v4
	v_min_u32_e32 v18, 32, v16
	v_subrev_u32_e32 v16, 28, v18
	v_lshlrev_b64 v[16:17], v16, v[2:3]
	v_lshrrev_b32_e32 v15, 3, v14
	v_sub_u32_e32 v2, 29, v18
	v_and_b32_e32 v16, 7, v16
	v_cmp_gt_u32_e32 vcc, 8, v14
	v_cndmask_b32_e32 v2, v15, v2, vcc
	v_cndmask_b32_e32 v4, v4, v16, vcc
	v_lshlrev_b32_e32 v14, 16, v5
	v_bfrev_b32_e32 v15, 60
	v_lshlrev_b32_e32 v4, 20, v4
	v_and_b32_e32 v14, 0x80000000, v14
	v_lshl_add_u32 v2, v2, 23, v15
	v_or3_b32 v2, v14, v2, v4
	v_lshrrev_b32_e32 v4, 16, v2
.LBB842_771:
	s_or_b64 exec, exec, s[12:13]
.LBB842_772:
	s_or_b64 exec, exec, s[10:11]
.LBB842_773:
	s_or_b64 exec, exec, s[8:9]
	s_movk_i32 s7, 0xff
	v_and_b32_sdwa v16, v5, s7 dst_sel:DWORD dst_unused:UNUSED_PAD src0_sel:WORD_1 src1_sel:DWORD
	v_lshrrev_b32_e32 v2, 16, v5
	v_cmp_ne_u16_e32 vcc, 0, v16
	v_mov_b32_e32 v14, 0
	v_mov_b32_e32 v15, 0
	s_and_saveexec_b64 s[8:9], vcc
	s_cbranch_execz .LBB842_779
; %bb.774:
	s_movk_i32 s7, 0x80
	v_cmp_ne_u16_e32 vcc, s7, v16
	v_mov_b32_e32 v15, 0xffff8000
	s_and_saveexec_b64 s[10:11], vcc
	s_cbranch_execz .LBB842_778
; %bb.775:
	v_bfe_u32 v16, v5, 16, 7
	s_movk_i32 s7, 0x7f
	v_cmp_ne_u32_e32 vcc, s7, v16
	v_mov_b32_e32 v15, 0x7f80
	s_and_saveexec_b64 s[12:13], vcc
	s_cbranch_execz .LBB842_777
; %bb.776:
	v_and_b32_e32 v15, 7, v2
	v_ffbh_u32_e32 v18, v15
	v_min_u32_e32 v20, 32, v18
	v_subrev_u32_e32 v18, 28, v20
	v_lshlrev_b64 v[18:19], v18, v[2:3]
	v_lshrrev_b32_e32 v17, 3, v16
	v_sub_u32_e32 v2, 29, v20
	v_and_b32_e32 v18, 7, v18
	v_cmp_gt_u32_e32 vcc, 8, v16
	v_mov_b32_e32 v16, 24
	v_cndmask_b32_e32 v2, v17, v2, vcc
	v_cndmask_b32_e32 v15, v15, v18, vcc
	v_lshlrev_b32_sdwa v16, v16, v5 dst_sel:DWORD dst_unused:UNUSED_PAD src0_sel:DWORD src1_sel:WORD_1
	v_bfrev_b32_e32 v17, 60
	v_lshlrev_b32_e32 v15, 20, v15
	v_and_b32_e32 v16, 0x80000000, v16
	v_lshl_add_u32 v2, v2, 23, v17
	v_or3_b32 v2, v16, v2, v15
	v_lshrrev_b32_e32 v15, 16, v2
.LBB842_777:
	s_or_b64 exec, exec, s[12:13]
.LBB842_778:
	s_or_b64 exec, exec, s[10:11]
.LBB842_779:
	s_or_b64 exec, exec, s[8:9]
	s_mov_b32 s7, 0xffffff
	v_cmp_lt_u32_e32 vcc, s7, v5
	s_and_saveexec_b64 s[8:9], vcc
	s_cbranch_execz .LBB842_785
; %bb.780:
	v_lshrrev_b32_e32 v2, 24, v5
	s_movk_i32 s7, 0x80
	v_cmp_ne_u32_e32 vcc, s7, v2
	v_mov_b32_e32 v14, 0xffff8000
	s_and_saveexec_b64 s[10:11], vcc
	s_cbranch_execz .LBB842_784
; %bb.781:
	v_bfe_u32 v5, v5, 24, 7
	s_movk_i32 s7, 0x7f
	v_cmp_ne_u32_e32 vcc, s7, v5
	v_mov_b32_e32 v14, 0x7f80
	s_and_saveexec_b64 s[12:13], vcc
	s_cbranch_execz .LBB842_783
; %bb.782:
	v_and_b32_e32 v14, 7, v2
	v_ffbh_u32_e32 v16, v14
	v_min_u32_e32 v19, 32, v16
	v_subrev_u32_e32 v16, 28, v19
	v_lshlrev_b64 v[16:17], v16, v[2:3]
	v_lshrrev_b32_e32 v18, 3, v5
	v_sub_u32_e32 v17, 29, v19
	v_and_b32_e32 v16, 7, v16
	v_cmp_gt_u32_e32 vcc, 8, v5
	v_cndmask_b32_e32 v5, v18, v17, vcc
	v_cndmask_b32_e32 v14, v14, v16, vcc
	v_lshlrev_b32_e32 v2, 24, v2
	v_bfrev_b32_e32 v16, 60
	v_lshlrev_b32_e32 v14, 20, v14
	v_and_b32_e32 v2, 0x80000000, v2
	v_lshl_add_u32 v5, v5, 23, v16
	v_or3_b32 v2, v2, v5, v14
	v_lshrrev_b32_e32 v14, 16, v2
.LBB842_783:
	s_or_b64 exec, exec, s[12:13]
.LBB842_784:
	s_or_b64 exec, exec, s[10:11]
.LBB842_785:
	s_or_b64 exec, exec, s[8:9]
	s_mov_b32 s7, 0x5040100
	v_perm_b32 v11, v11, v12, s7
	ds_read_b128 v[16:19], v22 offset:6160
	v_perm_b32 v10, v3, v10, s7
	v_perm_b32 v3, v14, v15, s7
	;; [unrolled: 1-line block ×3, first 2 shown]
	s_waitcnt lgkmcnt(0)
	v_mfma_f32_16x16x16bf16_1k v[6:9], v[10:11], v[16:17], v[6:9]
	s_load_dword s8, s[42:43], 0x0
	s_movk_i32 s9, 0x7fff
	s_mov_b32 s7, 0x7060302
	v_cmp_gt_u32_e32 vcc, 64, v0
	s_and_b64 s[0:1], vcc, s[0:1]
	s_waitcnt lgkmcnt(0)
	s_barrier
	v_mfma_f32_16x16x16bf16_1k v[2:5], v[2:3], v[18:19], v[6:9]
	s_nop 7
	s_nop 2
	v_pk_mul_f32 v[4:5], v[4:5], s[8:9] op_sel_hi:[1,0]
	v_pk_mul_f32 v[2:3], v[2:3], s[8:9] op_sel_hi:[1,0]
	v_bfe_u32 v6, v3, 16, 1
	v_bfe_u32 v7, v2, 16, 1
	;; [unrolled: 1-line block ×4, first 2 shown]
	v_add3_u32 v2, v2, v7, s9
	v_add3_u32 v3, v3, v6, s9
	;; [unrolled: 1-line block ×4, first 2 shown]
	v_perm_b32 v2, v3, v2, s7
	v_perm_b32 v3, v5, v4, s7
	ds_write_b64 v26, v[2:3]
	s_waitcnt lgkmcnt(0)
	s_barrier
	s_and_saveexec_b64 s[8:9], s[0:1]
	s_cbranch_execz .LBB842_788
; %bb.786:
	s_load_dwordx2 s[4:5], s[4:5], 0x68
	s_lshl_b32 s0, s44, 6
	s_mul_i32 s1, s14, s6
	s_mul_hi_u32 s9, s1, s0
	s_mul_i32 s8, s1, s0
	s_lshl_b64 s[8:9], s[8:9], 1
	s_waitcnt lgkmcnt(0)
	s_add_u32 s1, s4, s8
	v_lshlrev_b32_e32 v0, 10, v0
	s_mov_b32 s7, 0
	s_addc_u32 s8, s5, s9
	s_lshl_b32 s6, s24, 6
	v_and_b32_e32 v0, 0x1800, v0
	v_lshlrev_b32_e32 v2, 5, v1
	v_and_b32_e32 v3, 16, v47
	s_lshl_b64 s[4:5], s[6:7], 1
	v_or3_b32 v0, v0, v2, v3
	s_add_u32 s1, s1, s4
	ds_read_b128 v[4:7], v0 offset:256
	s_addc_u32 s4, s8, s5
	ds_read_b128 v[8:11], v0 offset:128
	ds_read_b128 v[12:15], v0
	v_add_u32_e32 v18, s25, v1
	v_mov_b32_e32 v3, s4
	v_add_co_u32_e32 v2, vcc, s1, v46
	v_mad_u64_u32 v[16:17], s[4:5], v18, s0, 0
	v_addc_co_u32_e32 v3, vcc, 0, v3, vcc
	v_lshlrev_b64 v[16:17], 1, v[16:17]
	v_add_co_u32_e32 v16, vcc, v2, v16
	v_addc_co_u32_e32 v17, vcc, v3, v17, vcc
	s_waitcnt lgkmcnt(0)
	global_store_dwordx4 v[16:17], v[12:15], off
	s_nop 0
	v_add_u32_e32 v12, 4, v18
	v_mad_u64_u32 v[12:13], s[4:5], v12, s0, 0
	v_lshlrev_b64 v[12:13], 1, v[12:13]
	v_add_co_u32_e32 v12, vcc, v2, v12
	v_addc_co_u32_e32 v13, vcc, v3, v13, vcc
	global_store_dwordx4 v[12:13], v[8:11], off
	s_nop 0
	v_add_u32_e32 v8, 8, v18
	v_mad_u64_u32 v[8:9], s[4:5], v8, s0, 0
	v_lshlrev_b64 v[8:9], 1, v[8:9]
	v_add_co_u32_e32 v8, vcc, v2, v8
	v_addc_co_u32_e32 v9, vcc, v3, v9, vcc
	global_store_dwordx4 v[8:9], v[4:7], off
	s_and_b64 exec, exec, s[2:3]
	s_cbranch_execz .LBB842_788
; %bb.787:
	ds_read_b128 v[4:7], v0 offset:384
	v_add3_u32 v0, s25, v1, 12
	v_mad_u64_u32 v[0:1], s[0:1], v0, s0, 0
	v_lshlrev_b64 v[0:1], 1, v[0:1]
	v_add_co_u32_e32 v0, vcc, v2, v0
	v_addc_co_u32_e32 v1, vcc, v3, v1, vcc
	s_waitcnt lgkmcnt(0)
	global_store_dwordx4 v[0:1], v[4:7], off
.LBB842_788:
	s_endpgm
	.section	.rodata,"a",@progbits
	.p2align	6, 0x0
	.amdhsa_kernel _Z39paged_attention_ll4mi_QKV_mfma16_kernelI14__hip_bfloat16hLN4vllm18Fp8KVCacheDataTypeE1ES0_Li16ELi64ELi256ELb1ELi13EL8MFMAType0EEvPKT_PKT0_S9_ifPKiSB_SB_iPKfiiiPfSE_PS4_PT2_iSD_SD_
		.amdhsa_group_segment_fixed_size 8192
		.amdhsa_private_segment_fixed_size 0
		.amdhsa_kernarg_size 400
		.amdhsa_user_sgpr_count 6
		.amdhsa_user_sgpr_private_segment_buffer 1
		.amdhsa_user_sgpr_dispatch_ptr 0
		.amdhsa_user_sgpr_queue_ptr 0
		.amdhsa_user_sgpr_kernarg_segment_ptr 1
		.amdhsa_user_sgpr_dispatch_id 0
		.amdhsa_user_sgpr_flat_scratch_init 0
		.amdhsa_user_sgpr_kernarg_preload_length 0
		.amdhsa_user_sgpr_kernarg_preload_offset 0
		.amdhsa_user_sgpr_private_segment_size 0
		.amdhsa_uses_dynamic_stack 0
		.amdhsa_system_sgpr_private_segment_wavefront_offset 0
		.amdhsa_system_sgpr_workgroup_id_x 1
		.amdhsa_system_sgpr_workgroup_id_y 1
		.amdhsa_system_sgpr_workgroup_id_z 1
		.amdhsa_system_sgpr_workgroup_info 0
		.amdhsa_system_vgpr_workitem_id 0
		.amdhsa_next_free_vgpr 62
		.amdhsa_next_free_sgpr 47
		.amdhsa_accum_offset 64
		.amdhsa_reserve_vcc 1
		.amdhsa_reserve_flat_scratch 0
		.amdhsa_float_round_mode_32 0
		.amdhsa_float_round_mode_16_64 0
		.amdhsa_float_denorm_mode_32 3
		.amdhsa_float_denorm_mode_16_64 3
		.amdhsa_dx10_clamp 1
		.amdhsa_ieee_mode 1
		.amdhsa_fp16_overflow 0
		.amdhsa_tg_split 0
		.amdhsa_exception_fp_ieee_invalid_op 0
		.amdhsa_exception_fp_denorm_src 0
		.amdhsa_exception_fp_ieee_div_zero 0
		.amdhsa_exception_fp_ieee_overflow 0
		.amdhsa_exception_fp_ieee_underflow 0
		.amdhsa_exception_fp_ieee_inexact 0
		.amdhsa_exception_int_div_zero 0
	.end_amdhsa_kernel
	.section	.text._Z39paged_attention_ll4mi_QKV_mfma16_kernelI14__hip_bfloat16hLN4vllm18Fp8KVCacheDataTypeE1ES0_Li16ELi64ELi256ELb1ELi13EL8MFMAType0EEvPKT_PKT0_S9_ifPKiSB_SB_iPKfiiiPfSE_PS4_PT2_iSD_SD_,"axG",@progbits,_Z39paged_attention_ll4mi_QKV_mfma16_kernelI14__hip_bfloat16hLN4vllm18Fp8KVCacheDataTypeE1ES0_Li16ELi64ELi256ELb1ELi13EL8MFMAType0EEvPKT_PKT0_S9_ifPKiSB_SB_iPKfiiiPfSE_PS4_PT2_iSD_SD_,comdat
.Lfunc_end842:
	.size	_Z39paged_attention_ll4mi_QKV_mfma16_kernelI14__hip_bfloat16hLN4vllm18Fp8KVCacheDataTypeE1ES0_Li16ELi64ELi256ELb1ELi13EL8MFMAType0EEvPKT_PKT0_S9_ifPKiSB_SB_iPKfiiiPfSE_PS4_PT2_iSD_SD_, .Lfunc_end842-_Z39paged_attention_ll4mi_QKV_mfma16_kernelI14__hip_bfloat16hLN4vllm18Fp8KVCacheDataTypeE1ES0_Li16ELi64ELi256ELb1ELi13EL8MFMAType0EEvPKT_PKT0_S9_ifPKiSB_SB_iPKfiiiPfSE_PS4_PT2_iSD_SD_
                                        ; -- End function
	.section	.AMDGPU.csdata,"",@progbits
; Kernel info:
; codeLenInByte = 28712
; NumSgprs: 51
; NumVgprs: 62
; NumAgprs: 0
; TotalNumVgprs: 62
; ScratchSize: 0
; MemoryBound: 0
; FloatMode: 240
; IeeeMode: 1
; LDSByteSize: 8192 bytes/workgroup (compile time only)
; SGPRBlocks: 6
; VGPRBlocks: 7
; NumSGPRsForWavesPerEU: 51
; NumVGPRsForWavesPerEU: 62
; AccumOffset: 64
; Occupancy: 8
; WaveLimiterHint : 1
; COMPUTE_PGM_RSRC2:SCRATCH_EN: 0
; COMPUTE_PGM_RSRC2:USER_SGPR: 6
; COMPUTE_PGM_RSRC2:TRAP_HANDLER: 0
; COMPUTE_PGM_RSRC2:TGID_X_EN: 1
; COMPUTE_PGM_RSRC2:TGID_Y_EN: 1
; COMPUTE_PGM_RSRC2:TGID_Z_EN: 1
; COMPUTE_PGM_RSRC2:TIDIG_COMP_CNT: 0
; COMPUTE_PGM_RSRC3_GFX90A:ACCUM_OFFSET: 15
; COMPUTE_PGM_RSRC3_GFX90A:TG_SPLIT: 0
	.section	.text._Z39paged_attention_ll4mi_QKV_mfma16_kernelI14__hip_bfloat16hLN4vllm18Fp8KVCacheDataTypeE1ES0_Li16ELi64ELi256ELb1ELi14EL8MFMAType0EEvPKT_PKT0_S9_ifPKiSB_SB_iPKfiiiPfSE_PS4_PT2_iSD_SD_,"axG",@progbits,_Z39paged_attention_ll4mi_QKV_mfma16_kernelI14__hip_bfloat16hLN4vllm18Fp8KVCacheDataTypeE1ES0_Li16ELi64ELi256ELb1ELi14EL8MFMAType0EEvPKT_PKT0_S9_ifPKiSB_SB_iPKfiiiPfSE_PS4_PT2_iSD_SD_,comdat
	.protected	_Z39paged_attention_ll4mi_QKV_mfma16_kernelI14__hip_bfloat16hLN4vllm18Fp8KVCacheDataTypeE1ES0_Li16ELi64ELi256ELb1ELi14EL8MFMAType0EEvPKT_PKT0_S9_ifPKiSB_SB_iPKfiiiPfSE_PS4_PT2_iSD_SD_ ; -- Begin function _Z39paged_attention_ll4mi_QKV_mfma16_kernelI14__hip_bfloat16hLN4vllm18Fp8KVCacheDataTypeE1ES0_Li16ELi64ELi256ELb1ELi14EL8MFMAType0EEvPKT_PKT0_S9_ifPKiSB_SB_iPKfiiiPfSE_PS4_PT2_iSD_SD_
	.globl	_Z39paged_attention_ll4mi_QKV_mfma16_kernelI14__hip_bfloat16hLN4vllm18Fp8KVCacheDataTypeE1ES0_Li16ELi64ELi256ELb1ELi14EL8MFMAType0EEvPKT_PKT0_S9_ifPKiSB_SB_iPKfiiiPfSE_PS4_PT2_iSD_SD_
	.p2align	8
	.type	_Z39paged_attention_ll4mi_QKV_mfma16_kernelI14__hip_bfloat16hLN4vllm18Fp8KVCacheDataTypeE1ES0_Li16ELi64ELi256ELb1ELi14EL8MFMAType0EEvPKT_PKT0_S9_ifPKiSB_SB_iPKfiiiPfSE_PS4_PT2_iSD_SD_,@function
_Z39paged_attention_ll4mi_QKV_mfma16_kernelI14__hip_bfloat16hLN4vllm18Fp8KVCacheDataTypeE1ES0_Li16ELi64ELi256ELb1ELi14EL8MFMAType0EEvPKT_PKT0_S9_ifPKiSB_SB_iPKfiiiPfSE_PS4_PT2_iSD_SD_: ; @_Z39paged_attention_ll4mi_QKV_mfma16_kernelI14__hip_bfloat16hLN4vllm18Fp8KVCacheDataTypeE1ES0_Li16ELi64ELi256ELb1ELi14EL8MFMAType0EEvPKT_PKT0_S9_ifPKiSB_SB_iPKfiiiPfSE_PS4_PT2_iSD_SD_
; %bb.0:
	s_load_dwordx2 s[0:1], s[4:5], 0x30
	s_mov_b32 s24, s7
	s_mov_b64 s[10:11], 0
	s_waitcnt lgkmcnt(0)
	s_cmp_lg_u64 s[0:1], 0
	s_cselect_b64 s[2:3], -1, 0
	s_and_b64 vcc, exec, s[2:3]
	s_cbranch_vccz .LBB843_7
; %bb.1:
	s_add_i32 s12, s6, 1
	s_mov_b32 s13, 0
	s_lshl_b64 s[14:15], s[12:13], 2
	s_add_u32 s14, s0, s14
	s_mov_b32 s7, s13
	s_addc_u32 s15, s1, s15
	s_lshl_b64 s[12:13], s[6:7], 2
	s_add_u32 s12, s0, s12
	s_addc_u32 s13, s1, s13
	s_load_dword s9, s[14:15], 0x0
	s_load_dword s16, s[12:13], 0x0
	s_waitcnt lgkmcnt(0)
	s_sub_i32 s9, s9, s16
	s_cmp_eq_u32 s9, 1
	s_cselect_b64 s[12:13], -1, 0
	s_andn2_b64 vcc, exec, s[10:11]
	s_cbranch_vccnz .LBB843_3
.LBB843_2:
	s_mov_b32 s7, 0
	s_mov_b64 s[12:13], -1
.LBB843_3:
	s_andn2_b64 vcc, exec, s[12:13]
	s_cbranch_vccnz .LBB843_788
; %bb.4:
	s_load_dwordx2 s[12:13], s[4:5], 0x28
	s_lshl_b64 s[10:11], s[6:7], 2
	s_waitcnt lgkmcnt(0)
	s_add_u32 s12, s12, s10
	s_addc_u32 s13, s13, s11
	s_load_dword s33, s[12:13], 0x0
	s_lshl_b32 s18, s24, 8
	s_waitcnt lgkmcnt(0)
	s_cmp_ge_i32 s18, s33
	s_cbranch_scc1 .LBB843_788
; %bb.5:
	s_add_i32 s14, s33, 15
	s_load_dwordx2 s[12:13], s[4:5], 0x20
	s_load_dword s9, s[4:5], 0x38
	s_ashr_i32 s15, s14, 31
	v_and_b32_e32 v1, 0xcf, v0
	s_lshr_b32 s15, s15, 28
	v_add_u32_e32 v1, s18, v1
	s_add_i32 s14, s14, s15
	v_ashrrev_i32_e32 v2, 31, v1
	s_ashr_i32 s21, s14, 4
	v_lshrrev_b32_e32 v4, 28, v2
	s_add_i32 s21, s21, -1
	v_add_u32_e32 v2, v1, v4
	s_waitcnt lgkmcnt(0)
	s_mul_i32 s14, s6, s9
	s_mov_b32 s15, 0
	v_ashrrev_i32_e32 v2, 4, v2
	v_mov_b32_e32 v5, s21
	v_cmp_gt_i32_e32 vcc, s33, v1
	s_lshl_b64 s[14:15], s[14:15], 2
	v_cndmask_b32_e32 v2, v5, v2, vcc
	s_add_u32 s19, s12, s14
	v_ashrrev_i32_e32 v3, 31, v2
	s_addc_u32 s20, s13, s15
	v_lshlrev_b64 v[2:3], 2, v[2:3]
	v_mov_b32_e32 v7, s20
	v_add_co_u32_e32 v6, vcc, s19, v2
	v_or_b32_e32 v2, 16, v1
	v_addc_co_u32_e32 v7, vcc, v7, v3, vcc
	v_add_u32_e32 v3, v2, v4
	v_ashrrev_i32_e32 v3, 4, v3
	v_cmp_gt_i32_e32 vcc, s33, v2
	v_cndmask_b32_e32 v2, v5, v3, vcc
	v_ashrrev_i32_e32 v3, 31, v2
	v_lshlrev_b64 v[2:3], 2, v[2:3]
	v_mov_b32_e32 v9, s20
	v_add_co_u32_e32 v8, vcc, s19, v2
	v_or_b32_e32 v2, 32, v1
	v_addc_co_u32_e32 v9, vcc, v9, v3, vcc
	v_add_u32_e32 v3, v2, v4
	v_ashrrev_i32_e32 v3, 4, v3
	v_cmp_gt_i32_e32 vcc, s33, v2
	v_cndmask_b32_e32 v2, v5, v3, vcc
	v_ashrrev_i32_e32 v3, 31, v2
	;; [unrolled: 10-line block ×3, first 2 shown]
	v_lshlrev_b64 v[2:3], 2, v[2:3]
	v_mov_b32_e32 v1, s20
	v_add_co_u32_e32 v12, vcc, s19, v2
	v_addc_co_u32_e32 v13, vcc, v1, v3, vcc
	global_load_dword v5, v[6:7], off
	global_load_dword v4, v[8:9], off
	;; [unrolled: 1-line block ×4, first 2 shown]
	s_load_dwordx2 s[16:17], s[4:5], 0x8
	s_andn2_b64 vcc, exec, s[2:3]
	s_cbranch_vccnz .LBB843_8
; %bb.6:
	s_add_u32 s0, s0, s10
	s_addc_u32 s1, s1, s11
	s_load_dword s9, s[0:1], 0x0
	s_branch .LBB843_9
.LBB843_7:
	s_mov_b64 s[12:13], 0
	s_branch .LBB843_2
.LBB843_8:
	s_mov_b32 s9, s6
.LBB843_9:
	s_load_dwordx2 s[2:3], s[4:5], 0x10
	s_load_dwordx4 s[12:15], s[4:5], 0x48
	v_lshrrev_b32_e32 v49, 6, v0
	v_bfe_u32 v1, v0, 4, 2
	v_lshl_or_b32 v6, v49, 2, v1
	v_and_b32_e32 v48, 15, v0
	v_lshlrev_b32_e32 v7, 3, v48
	v_cmp_gt_u32_e32 vcc, 14, v6
	v_cmp_gt_u32_e64 s[0:1], 8, v48
	s_mul_i32 s25, s8, 14
	s_and_b64 s[22:23], s[0:1], vcc
	v_lshlrev_b32_e32 v46, 1, v7
	v_lshlrev_b32_e32 v47, 4, v0
	s_and_saveexec_b64 s[10:11], s[22:23]
	s_cbranch_execz .LBB843_11
; %bb.10:
	s_load_dwordx2 s[22:23], s[4:5], 0x0
	s_waitcnt lgkmcnt(0)
	s_ashr_i32 s15, s12, 31
	s_mul_hi_u32 s26, s9, s12
	s_mul_i32 s15, s9, s15
	s_add_i32 s27, s26, s15
	s_mul_i32 s26, s9, s12
	s_lshl_b64 s[26:27], s[26:27], 1
	v_add_lshl_u32 v8, v6, s25, 6
	s_add_u32 s9, s22, s26
	v_ashrrev_i32_e32 v9, 31, v8
	s_addc_u32 s12, s23, s27
	v_lshlrev_b64 v[8:9], 1, v[8:9]
	v_mov_b32_e32 v7, s12
	v_add_co_u32_e32 v8, vcc, s9, v8
	v_addc_co_u32_e32 v7, vcc, v7, v9, vcc
	v_add_co_u32_e32 v8, vcc, v8, v46
	v_addc_co_u32_e32 v9, vcc, 0, v7, vcc
	global_load_dwordx4 v[8:11], v[8:9], off
	v_lshlrev_b32_e32 v12, 8, v48
	v_lshlrev_b32_e32 v6, 5, v6
	v_and_b32_e32 v7, 16, v47
	v_and_b32_e32 v12, 0xe00, v12
	v_or3_b32 v6, v12, v6, v7
	s_waitcnt vmcnt(0)
	ds_write_b128 v6, v[8:11]
.LBB843_11:
	s_or_b64 exec, exec, s[10:11]
	s_waitcnt lgkmcnt(0)
	s_mul_i32 s10, s8, s14
	s_add_u32 s8, s16, s10
	s_addc_u32 s9, s17, 0
	v_and_b32_e32 v7, 0xf0, v47
	v_and_b32_e32 v6, 48, v0
	v_mov_b32_e32 v8, s9
	v_add_co_u32_e32 v7, vcc, s8, v7
	v_addc_co_u32_e32 v9, vcc, 0, v8, vcc
	v_lshlrev_b32_e32 v8, 4, v6
	v_add_co_u32_e32 v8, vcc, v7, v8
	v_addc_co_u32_e32 v9, vcc, 0, v9, vcc
	s_waitcnt vmcnt(3)
	v_mad_i64_i32 v[10:11], s[8:9], v5, s13, v[8:9]
	s_waitcnt vmcnt(2)
	v_mad_i64_i32 v[4:5], s[8:9], v4, s13, v[8:9]
	s_barrier
	global_load_dwordx4 v[34:37], v[10:11], off
	global_load_dwordx4 v[38:41], v[4:5], off
	s_waitcnt vmcnt(3)
	v_mad_i64_i32 v[4:5], s[8:9], v2, s13, v[8:9]
	s_waitcnt vmcnt(2)
	v_mad_i64_i32 v[2:3], s[8:9], v3, s13, v[8:9]
	global_load_dwordx4 v[30:33], v[4:5], off
	global_load_dwordx4 v[22:25], v[2:3], off
	v_add_u32_e32 v2, -14, v48
	v_cmp_gt_u32_e32 vcc, 14, v48
	v_cndmask_b32_e32 v2, v2, v48, vcc
	v_lshlrev_b32_e32 v2, 5, v2
	v_lshl_add_u32 v2, v1, 9, v2
	ds_read_b128 v[26:29], v2
	ds_read_b128 v[18:21], v2 offset:16
	v_mov_b32_e32 v43, 0
	v_mov_b32_e32 v50, 0
	s_and_saveexec_b64 s[8:9], vcc
	s_cbranch_execz .LBB843_13
; %bb.12:
	s_load_dwordx2 s[14:15], s[4:5], 0x40
	v_add_u32_e32 v2, s25, v48
	v_ashrrev_i32_e32 v3, 31, v2
	v_lshlrev_b64 v[2:3], 2, v[2:3]
	s_waitcnt lgkmcnt(0)
	v_mov_b32_e32 v4, s15
	v_add_co_u32_e32 v2, vcc, s14, v2
	v_addc_co_u32_e32 v3, vcc, v4, v3, vcc
	global_load_dword v50, v[2:3], off
.LBB843_13:
	s_or_b64 exec, exec, s[8:9]
	v_or_b32_e32 v8, s18, v6
	v_ashrrev_i32_e32 v2, 4, v8
	v_mov_b32_e32 v9, s21
	v_cmp_gt_i32_e32 vcc, s33, v8
	v_cndmask_b32_e32 v2, v9, v2, vcc
	v_ashrrev_i32_e32 v3, 31, v2
	v_lshlrev_b64 v[2:3], 2, v[2:3]
	v_mov_b32_e32 v4, s20
	v_add_co_u32_e32 v2, vcc, s19, v2
	v_addc_co_u32_e32 v3, vcc, v4, v3, vcc
	v_or_b32_e32 v4, 64, v8
	v_ashrrev_i32_e32 v5, 4, v4
	v_cmp_gt_i32_e32 vcc, s33, v4
	v_cndmask_b32_e32 v4, v9, v5, vcc
	v_ashrrev_i32_e32 v5, 31, v4
	v_lshlrev_b64 v[4:5], 2, v[4:5]
	v_mov_b32_e32 v6, s20
	v_add_co_u32_e32 v4, vcc, s19, v4
	v_addc_co_u32_e32 v5, vcc, v6, v5, vcc
	v_or_b32_e32 v6, 0x80, v8
	v_ashrrev_i32_e32 v7, 4, v6
	v_cmp_gt_i32_e32 vcc, s33, v6
	v_cndmask_b32_e32 v6, v9, v7, vcc
	v_ashrrev_i32_e32 v7, 31, v6
	v_lshlrev_b64 v[6:7], 2, v[6:7]
	v_mov_b32_e32 v10, s20
	v_add_co_u32_e32 v6, vcc, s19, v6
	v_addc_co_u32_e32 v7, vcc, v10, v7, vcc
	global_load_dword v10, v[2:3], off
	global_load_dword v11, v[4:5], off
	;; [unrolled: 1-line block ×3, first 2 shown]
	v_or_b32_e32 v2, 0xc0, v8
	v_ashrrev_i32_e32 v3, 4, v2
	v_cmp_gt_i32_e32 vcc, s33, v2
	v_cndmask_b32_e32 v2, v9, v3, vcc
	v_ashrrev_i32_e32 v3, 31, v2
	v_lshlrev_b64 v[2:3], 2, v[2:3]
	v_mov_b32_e32 v4, s20
	v_add_co_u32_e32 v2, vcc, s19, v2
	v_addc_co_u32_e32 v3, vcc, v4, v3, vcc
	global_load_dword v13, v[2:3], off
	s_add_u32 s2, s2, s10
	v_lshlrev_b32_e32 v2, 4, v48
	s_addc_u32 s3, s3, 0
	v_lshl_or_b32 v2, v49, 8, v2
	v_mov_b32_e32 v3, s3
	v_add_co_u32_e32 v2, vcc, s2, v2
	v_addc_co_u32_e32 v3, vcc, 0, v3, vcc
	s_movk_i32 s8, 0x80
	s_waitcnt vmcnt(7)
	v_cmp_ne_u16_sdwa s[10:11], v34, v43 src0_sel:BYTE_0 src1_sel:DWORD
	s_waitcnt vmcnt(3)
	v_mad_i64_i32 v[4:5], s[2:3], v10, s13, v[2:3]
	s_waitcnt vmcnt(2)
	v_mad_i64_i32 v[6:7], s[2:3], v11, s13, v[2:3]
	;; [unrolled: 2-line block ×4, first 2 shown]
	global_load_dwordx4 v[14:17], v[4:5], off
	global_load_dwordx4 v[10:13], v[6:7], off
                                        ; kill: killed $vgpr6_vgpr7
                                        ; kill: killed $vgpr4_vgpr5
	s_nop 0
	global_load_dwordx4 v[6:9], v[8:9], off
	s_nop 0
	global_load_dwordx4 v[2:5], v[2:3], off
	s_load_dwordx4 s[40:43], s[4:5], 0x80
	s_load_dwordx2 s[44:45], s[4:5], 0x94
                                        ; kill: killed $sgpr40_sgpr41
	s_waitcnt lgkmcnt(0)
	s_load_dword s12, s[40:41], 0x0
	s_and_saveexec_b64 s[2:3], s[10:11]
	s_cbranch_execz .LBB843_19
; %bb.14:
	v_cmp_ne_u16_sdwa s[10:11], v34, s8 src0_sel:BYTE_0 src1_sel:DWORD
	v_mov_b32_e32 v43, 0xffff8000
	s_and_saveexec_b64 s[8:9], s[10:11]
	s_cbranch_execz .LBB843_18
; %bb.15:
	s_movk_i32 s10, 0x7f
	v_and_b32_e32 v42, 0x7f, v34
	v_cmp_ne_u32_e32 vcc, s10, v42
	v_mov_b32_e32 v43, 0x7f80
	s_and_saveexec_b64 s[10:11], vcc
	s_cbranch_execz .LBB843_17
; %bb.16:
	v_and_b32_e32 v43, 7, v34
	v_ffbh_u32_e32 v44, v43
	v_min_u32_e32 v52, 32, v44
	v_subrev_u32_e32 v44, 28, v52
	v_lshlrev_b64 v[44:45], v44, v[34:35]
	v_lshrrev_b32_e32 v51, 3, v42
	v_sub_u32_e32 v45, 29, v52
	v_and_b32_e32 v44, 7, v44
	v_cmp_gt_u32_e32 vcc, 8, v42
	v_cndmask_b32_e32 v42, v51, v45, vcc
	v_cndmask_b32_e32 v43, v43, v44, vcc
	v_lshlrev_b32_e32 v44, 24, v34
	v_bfrev_b32_e32 v45, 60
	v_lshlrev_b32_e32 v43, 20, v43
	v_and_b32_e32 v44, 0x80000000, v44
	v_lshl_add_u32 v42, v42, 23, v45
	v_or3_b32 v42, v44, v42, v43
	v_lshrrev_b32_e32 v43, 16, v42
.LBB843_17:
	s_or_b64 exec, exec, s[10:11]
.LBB843_18:
	s_or_b64 exec, exec, s[8:9]
.LBB843_19:
	s_or_b64 exec, exec, s[2:3]
	v_lshrrev_b16_e32 v42, 8, v34
	v_cmp_ne_u16_e32 vcc, 0, v42
	v_mov_b32_e32 v45, 0
	v_mov_b32_e32 v44, 0
	s_and_saveexec_b64 s[2:3], vcc
	s_cbranch_execz .LBB843_25
; %bb.20:
	s_movk_i32 s8, 0x80
	v_cmp_ne_u16_sdwa s[10:11], v34, s8 src0_sel:BYTE_1 src1_sel:DWORD
	v_mov_b32_e32 v44, 0xffff8000
	s_and_saveexec_b64 s[8:9], s[10:11]
	s_cbranch_execz .LBB843_24
; %bb.21:
	s_movk_i32 s10, 0x7f
	v_and_b32_e32 v51, 0x7f, v42
	v_cmp_ne_u32_e32 vcc, s10, v51
	v_mov_b32_e32 v44, 0x7f80
	s_and_saveexec_b64 s[10:11], vcc
	s_cbranch_execz .LBB843_23
; %bb.22:
	v_and_b32_e32 v44, 7, v42
	v_ffbh_u32_e32 v52, v44
	v_min_u32_e32 v55, 32, v52
	v_subrev_u32_e32 v52, 28, v55
	v_lshlrev_b64 v[52:53], v52, v[42:43]
	v_lshrrev_b32_e32 v54, 3, v51
	v_sub_u32_e32 v42, 29, v55
	v_and_b32_e32 v52, 7, v52
	v_cmp_gt_u32_e32 vcc, 8, v51
	v_cndmask_b32_e32 v42, v54, v42, vcc
	v_cndmask_b32_e32 v44, v44, v52, vcc
	v_lshlrev_b32_e32 v51, 16, v34
	v_bfrev_b32_e32 v52, 60
	v_lshlrev_b32_e32 v44, 20, v44
	v_and_b32_e32 v51, 0x80000000, v51
	v_lshl_add_u32 v42, v42, 23, v52
	v_or3_b32 v42, v51, v42, v44
	v_lshrrev_b32_e32 v44, 16, v42
.LBB843_23:
	s_or_b64 exec, exec, s[10:11]
.LBB843_24:
	s_or_b64 exec, exec, s[8:9]
.LBB843_25:
	s_or_b64 exec, exec, s[2:3]
	s_movk_i32 s2, 0xff
	v_and_b32_sdwa v51, v34, s2 dst_sel:DWORD dst_unused:UNUSED_PAD src0_sel:WORD_1 src1_sel:DWORD
	v_lshrrev_b32_e32 v42, 16, v34
	v_cmp_ne_u16_e32 vcc, 0, v51
	s_and_saveexec_b64 s[2:3], vcc
	s_cbranch_execz .LBB843_31
; %bb.26:
	s_movk_i32 s8, 0x80
	v_cmp_ne_u16_e32 vcc, s8, v51
	v_mov_b32_e32 v45, 0xffff8000
	s_and_saveexec_b64 s[8:9], vcc
	s_cbranch_execz .LBB843_30
; %bb.27:
	v_bfe_u32 v51, v34, 16, 7
	s_movk_i32 s10, 0x7f
	v_cmp_ne_u32_e32 vcc, s10, v51
	v_mov_b32_e32 v45, 0x7f80
	s_and_saveexec_b64 s[10:11], vcc
	s_cbranch_execz .LBB843_29
; %bb.28:
	v_and_b32_e32 v45, 7, v42
	v_ffbh_u32_e32 v52, v45
	v_min_u32_e32 v55, 32, v52
	v_subrev_u32_e32 v52, 28, v55
	v_lshlrev_b64 v[52:53], v52, v[42:43]
	v_lshrrev_b32_e32 v54, 3, v51
	v_sub_u32_e32 v42, 29, v55
	v_and_b32_e32 v52, 7, v52
	v_cmp_gt_u32_e32 vcc, 8, v51
	v_mov_b32_e32 v51, 24
	v_cndmask_b32_e32 v42, v54, v42, vcc
	v_cndmask_b32_e32 v45, v45, v52, vcc
	v_lshlrev_b32_sdwa v51, v51, v34 dst_sel:DWORD dst_unused:UNUSED_PAD src0_sel:DWORD src1_sel:WORD_1
	v_bfrev_b32_e32 v52, 60
	v_lshlrev_b32_e32 v45, 20, v45
	v_and_b32_e32 v51, 0x80000000, v51
	v_lshl_add_u32 v42, v42, 23, v52
	v_or3_b32 v42, v51, v42, v45
	v_lshrrev_b32_e32 v45, 16, v42
.LBB843_29:
	s_or_b64 exec, exec, s[10:11]
.LBB843_30:
	s_or_b64 exec, exec, s[8:9]
.LBB843_31:
	s_or_b64 exec, exec, s[2:3]
	s_mov_b32 s2, 0xffffff
	v_cmp_lt_u32_e32 vcc, s2, v34
	v_mov_b32_e32 v52, 0
	v_mov_b32_e32 v53, 0
	s_and_saveexec_b64 s[2:3], vcc
	s_cbranch_execz .LBB843_37
; %bb.32:
	v_lshrrev_b32_e32 v42, 24, v34
	s_movk_i32 s8, 0x80
	v_cmp_ne_u32_e32 vcc, s8, v42
	v_mov_b32_e32 v53, 0xffff8000
	s_and_saveexec_b64 s[8:9], vcc
	s_cbranch_execz .LBB843_36
; %bb.33:
	v_bfe_u32 v34, v34, 24, 7
	s_movk_i32 s10, 0x7f
	v_cmp_ne_u32_e32 vcc, s10, v34
	v_mov_b32_e32 v53, 0x7f80
	s_and_saveexec_b64 s[10:11], vcc
	s_cbranch_execz .LBB843_35
; %bb.34:
	v_and_b32_e32 v51, 7, v42
	v_ffbh_u32_e32 v54, v51
	v_min_u32_e32 v56, 32, v54
	v_subrev_u32_e32 v54, 28, v56
	v_lshlrev_b64 v[54:55], v54, v[42:43]
	v_lshrrev_b32_e32 v53, 3, v34
	v_sub_u32_e32 v55, 29, v56
	v_and_b32_e32 v54, 7, v54
	v_cmp_gt_u32_e32 vcc, 8, v34
	v_cndmask_b32_e32 v34, v53, v55, vcc
	v_cndmask_b32_e32 v51, v51, v54, vcc
	v_lshlrev_b32_e32 v42, 24, v42
	v_bfrev_b32_e32 v53, 60
	v_lshlrev_b32_e32 v51, 20, v51
	v_and_b32_e32 v42, 0x80000000, v42
	v_lshl_add_u32 v34, v34, 23, v53
	v_or3_b32 v34, v42, v34, v51
	v_lshrrev_b32_e32 v53, 16, v34
.LBB843_35:
	s_or_b64 exec, exec, s[10:11]
.LBB843_36:
	s_or_b64 exec, exec, s[8:9]
.LBB843_37:
	s_or_b64 exec, exec, s[2:3]
	v_cmp_ne_u16_sdwa s[8:9], v35, v52 src0_sel:BYTE_0 src1_sel:DWORD
	s_and_saveexec_b64 s[2:3], s[8:9]
	s_cbranch_execz .LBB843_43
; %bb.38:
	s_movk_i32 s8, 0x80
	v_cmp_ne_u16_sdwa s[10:11], v35, s8 src0_sel:BYTE_0 src1_sel:DWORD
	v_mov_b32_e32 v52, 0xffff8000
	s_and_saveexec_b64 s[8:9], s[10:11]
	s_cbranch_execz .LBB843_42
; %bb.39:
	s_movk_i32 s10, 0x7f
	v_and_b32_e32 v34, 0x7f, v35
	v_cmp_ne_u32_e32 vcc, s10, v34
	v_mov_b32_e32 v52, 0x7f80
	s_and_saveexec_b64 s[10:11], vcc
	s_cbranch_execz .LBB843_41
; %bb.40:
	v_and_b32_e32 v51, 7, v35
	v_ffbh_u32_e32 v54, v51
	v_min_u32_e32 v56, 32, v54
	v_mov_b32_e32 v42, v35
	v_subrev_u32_e32 v54, 28, v56
	v_lshlrev_b64 v[54:55], v54, v[42:43]
	v_lshrrev_b32_e32 v52, 3, v34
	v_sub_u32_e32 v42, 29, v56
	v_and_b32_e32 v54, 7, v54
	v_cmp_gt_u32_e32 vcc, 8, v34
	v_cndmask_b32_e32 v34, v52, v42, vcc
	v_cndmask_b32_e32 v42, v51, v54, vcc
	v_lshlrev_b32_e32 v51, 24, v35
	v_bfrev_b32_e32 v52, 60
	v_lshlrev_b32_e32 v42, 20, v42
	v_and_b32_e32 v51, 0x80000000, v51
	v_lshl_add_u32 v34, v34, 23, v52
	v_or3_b32 v34, v51, v34, v42
	v_lshrrev_b32_e32 v52, 16, v34
.LBB843_41:
	s_or_b64 exec, exec, s[10:11]
.LBB843_42:
	s_or_b64 exec, exec, s[8:9]
.LBB843_43:
	s_or_b64 exec, exec, s[2:3]
	v_lshrrev_b16_e32 v34, 8, v35
	v_cmp_ne_u16_e32 vcc, 0, v34
	v_mov_b32_e32 v54, 0
	v_mov_b32_e32 v42, 0
	s_and_saveexec_b64 s[2:3], vcc
	s_cbranch_execz .LBB843_49
; %bb.44:
	s_movk_i32 s8, 0x80
	v_cmp_ne_u16_e32 vcc, s8, v34
	v_mov_b32_e32 v42, 0xffff8000
	s_and_saveexec_b64 s[8:9], vcc
	s_cbranch_execz .LBB843_48
; %bb.45:
	s_movk_i32 s10, 0x7f
	v_and_b32_e32 v51, 0x7f, v34
	v_cmp_ne_u32_e32 vcc, s10, v51
	v_mov_b32_e32 v42, 0x7f80
	s_and_saveexec_b64 s[10:11], vcc
	s_cbranch_execz .LBB843_47
; %bb.46:
	v_and_b32_e32 v42, 7, v34
	v_ffbh_u32_e32 v56, v42
	v_min_u32_e32 v58, 32, v56
	v_subrev_u32_e32 v56, 28, v58
	v_lshlrev_b64 v[56:57], v56, v[34:35]
	v_lshrrev_b32_e32 v55, 3, v51
	v_sub_u32_e32 v34, 29, v58
	v_and_b32_e32 v56, 7, v56
	v_cmp_gt_u32_e32 vcc, 8, v51
	v_cndmask_b32_e32 v34, v55, v34, vcc
	v_cndmask_b32_e32 v42, v42, v56, vcc
	v_lshlrev_b32_e32 v51, 16, v35
	v_bfrev_b32_e32 v55, 60
	v_lshlrev_b32_e32 v42, 20, v42
	v_and_b32_e32 v51, 0x80000000, v51
	v_lshl_add_u32 v34, v34, 23, v55
	v_or3_b32 v34, v51, v34, v42
	v_lshrrev_b32_e32 v42, 16, v34
.LBB843_47:
	s_or_b64 exec, exec, s[10:11]
.LBB843_48:
	s_or_b64 exec, exec, s[8:9]
.LBB843_49:
	s_or_b64 exec, exec, s[2:3]
	s_movk_i32 s2, 0xff
	v_and_b32_sdwa v51, v35, s2 dst_sel:DWORD dst_unused:UNUSED_PAD src0_sel:WORD_1 src1_sel:DWORD
	v_lshrrev_b32_e32 v34, 16, v35
	v_cmp_ne_u16_e32 vcc, 0, v51
	s_and_saveexec_b64 s[2:3], vcc
	s_cbranch_execz .LBB843_55
; %bb.50:
	s_movk_i32 s8, 0x80
	v_cmp_ne_u16_e32 vcc, s8, v51
	v_mov_b32_e32 v54, 0xffff8000
	s_and_saveexec_b64 s[8:9], vcc
	s_cbranch_execz .LBB843_54
; %bb.51:
	v_bfe_u32 v51, v35, 16, 7
	s_movk_i32 s10, 0x7f
	v_cmp_ne_u32_e32 vcc, s10, v51
	v_mov_b32_e32 v54, 0x7f80
	s_and_saveexec_b64 s[10:11], vcc
	s_cbranch_execz .LBB843_53
; %bb.52:
	v_and_b32_e32 v56, 7, v34
	v_ffbh_u32_e32 v54, v56
	v_min_u32_e32 v58, 32, v54
	v_subrev_u32_e32 v54, 28, v58
	v_lshlrev_b64 v[54:55], v54, v[34:35]
	v_and_b32_e32 v54, 7, v54
	v_cmp_gt_u32_e32 vcc, 8, v51
	v_lshrrev_b32_e32 v57, 3, v51
	v_sub_u32_e32 v34, 29, v58
	v_cndmask_b32_e32 v51, v56, v54, vcc
	v_mov_b32_e32 v54, 24
	v_cndmask_b32_e32 v34, v57, v34, vcc
	v_lshlrev_b32_sdwa v54, v54, v35 dst_sel:DWORD dst_unused:UNUSED_PAD src0_sel:DWORD src1_sel:WORD_1
	v_bfrev_b32_e32 v55, 60
	v_lshlrev_b32_e32 v51, 20, v51
	v_and_b32_e32 v54, 0x80000000, v54
	v_lshl_add_u32 v34, v34, 23, v55
	v_or3_b32 v34, v54, v34, v51
	v_lshrrev_b32_e32 v54, 16, v34
.LBB843_53:
	s_or_b64 exec, exec, s[10:11]
.LBB843_54:
	s_or_b64 exec, exec, s[8:9]
.LBB843_55:
	s_or_b64 exec, exec, s[2:3]
	s_mov_b32 s2, 0xffffff
	v_cmp_lt_u32_e32 vcc, s2, v35
	v_mov_b32_e32 v51, 0
	v_mov_b32_e32 v55, 0
	s_and_saveexec_b64 s[2:3], vcc
	s_cbranch_execz .LBB843_61
; %bb.56:
	v_lshrrev_b32_e32 v34, 24, v35
	s_movk_i32 s8, 0x80
	v_cmp_ne_u32_e32 vcc, s8, v34
	v_mov_b32_e32 v55, 0xffff8000
	s_and_saveexec_b64 s[8:9], vcc
	s_cbranch_execz .LBB843_60
; %bb.57:
	v_bfe_u32 v35, v35, 24, 7
	s_movk_i32 s10, 0x7f
	v_cmp_ne_u32_e32 vcc, s10, v35
	v_mov_b32_e32 v55, 0x7f80
	s_and_saveexec_b64 s[10:11], vcc
	s_cbranch_execz .LBB843_59
; %bb.58:
	v_and_b32_e32 v55, 7, v34
	v_ffbh_u32_e32 v56, v55
	v_min_u32_e32 v59, 32, v56
	v_subrev_u32_e32 v56, 28, v59
	v_lshlrev_b64 v[56:57], v56, v[34:35]
	v_lshrrev_b32_e32 v58, 3, v35
	v_sub_u32_e32 v57, 29, v59
	v_and_b32_e32 v56, 7, v56
	v_cmp_gt_u32_e32 vcc, 8, v35
	v_cndmask_b32_e32 v35, v58, v57, vcc
	v_cndmask_b32_e32 v55, v55, v56, vcc
	v_lshlrev_b32_e32 v34, 24, v34
	v_bfrev_b32_e32 v56, 60
	v_lshlrev_b32_e32 v55, 20, v55
	v_and_b32_e32 v34, 0x80000000, v34
	v_lshl_add_u32 v35, v35, 23, v56
	v_or3_b32 v34, v34, v35, v55
	v_lshrrev_b32_e32 v55, 16, v34
.LBB843_59:
	s_or_b64 exec, exec, s[10:11]
.LBB843_60:
	s_or_b64 exec, exec, s[8:9]
.LBB843_61:
	s_or_b64 exec, exec, s[2:3]
	s_mov_b32 s2, 0x5040100
	v_perm_b32 v35, v53, v45, s2
	v_perm_b32 v34, v44, v43, s2
	v_cmp_ne_u16_sdwa s[8:9], v36, v51 src0_sel:BYTE_0 src1_sel:DWORD
	s_nop 0
	v_mfma_f32_16x16x16bf16_1k v[56:59], v[34:35], v[26:27], 0
	v_perm_b32 v35, v55, v54, s2
	v_perm_b32 v34, v42, v52, s2
	s_nop 1
	v_mfma_f32_16x16x16bf16_1k v[42:45], v[34:35], v[28:29], v[56:59]
	s_and_saveexec_b64 s[2:3], s[8:9]
	s_cbranch_execz .LBB843_67
; %bb.62:
	s_movk_i32 s8, 0x80
	v_cmp_ne_u16_sdwa s[10:11], v36, s8 src0_sel:BYTE_0 src1_sel:DWORD
	v_mov_b32_e32 v51, 0xffff8000
	s_and_saveexec_b64 s[8:9], s[10:11]
	s_cbranch_execz .LBB843_66
; %bb.63:
	s_movk_i32 s10, 0x7f
	v_and_b32_e32 v34, 0x7f, v36
	v_cmp_ne_u32_e32 vcc, s10, v34
	v_mov_b32_e32 v51, 0x7f80
	s_and_saveexec_b64 s[10:11], vcc
	s_cbranch_execz .LBB843_65
; %bb.64:
	v_and_b32_e32 v35, 7, v36
	v_ffbh_u32_e32 v52, v35
	v_min_u32_e32 v54, 32, v52
	v_subrev_u32_e32 v52, 28, v54
	v_lshlrev_b64 v[52:53], v52, v[36:37]
	v_lshrrev_b32_e32 v51, 3, v34
	v_sub_u32_e32 v53, 29, v54
	v_and_b32_e32 v52, 7, v52
	v_cmp_gt_u32_e32 vcc, 8, v34
	v_cndmask_b32_e32 v34, v51, v53, vcc
	v_cndmask_b32_e32 v35, v35, v52, vcc
	v_lshlrev_b32_e32 v51, 24, v36
	v_bfrev_b32_e32 v52, 60
	v_lshlrev_b32_e32 v35, 20, v35
	v_and_b32_e32 v51, 0x80000000, v51
	v_lshl_add_u32 v34, v34, 23, v52
	v_or3_b32 v34, v51, v34, v35
	v_lshrrev_b32_e32 v51, 16, v34
.LBB843_65:
	s_or_b64 exec, exec, s[10:11]
.LBB843_66:
	s_or_b64 exec, exec, s[8:9]
.LBB843_67:
	s_or_b64 exec, exec, s[2:3]
	v_lshrrev_b16_e32 v34, 8, v36
	v_cmp_ne_u16_e32 vcc, 0, v34
	v_mov_b32_e32 v53, 0
	v_mov_b32_e32 v35, 0
	s_and_saveexec_b64 s[2:3], vcc
	s_cbranch_execz .LBB843_73
; %bb.68:
	s_movk_i32 s8, 0x80
	v_cmp_ne_u16_e32 vcc, s8, v34
	v_mov_b32_e32 v35, 0xffff8000
	s_and_saveexec_b64 s[8:9], vcc
	s_cbranch_execz .LBB843_72
; %bb.69:
	s_movk_i32 s10, 0x7f
	v_and_b32_e32 v52, 0x7f, v34
	v_cmp_ne_u32_e32 vcc, s10, v52
	v_mov_b32_e32 v35, 0x7f80
	s_and_saveexec_b64 s[10:11], vcc
	s_cbranch_execz .LBB843_71
; %bb.70:
	v_and_b32_e32 v54, 7, v34
	v_ffbh_u32_e32 v35, v54
	v_min_u32_e32 v56, 32, v35
	v_subrev_u32_e32 v35, 28, v56
	v_lshlrev_b64 v[34:35], v35, v[34:35]
	v_lshrrev_b32_e32 v55, 3, v52
	v_sub_u32_e32 v35, 29, v56
	v_and_b32_e32 v34, 7, v34
	v_cmp_gt_u32_e32 vcc, 8, v52
	v_cndmask_b32_e32 v35, v55, v35, vcc
	v_cndmask_b32_e32 v34, v54, v34, vcc
	v_lshlrev_b32_e32 v52, 16, v36
	v_bfrev_b32_e32 v54, 60
	v_lshlrev_b32_e32 v34, 20, v34
	v_and_b32_e32 v52, 0x80000000, v52
	v_lshl_add_u32 v35, v35, 23, v54
	v_or3_b32 v34, v52, v35, v34
	v_lshrrev_b32_e32 v35, 16, v34
.LBB843_71:
	s_or_b64 exec, exec, s[10:11]
.LBB843_72:
	s_or_b64 exec, exec, s[8:9]
.LBB843_73:
	s_or_b64 exec, exec, s[2:3]
	s_movk_i32 s2, 0xff
	v_and_b32_sdwa v52, v36, s2 dst_sel:DWORD dst_unused:UNUSED_PAD src0_sel:WORD_1 src1_sel:DWORD
	v_lshrrev_b32_e32 v34, 16, v36
	v_cmp_ne_u16_e32 vcc, 0, v52
	s_and_saveexec_b64 s[2:3], vcc
	s_cbranch_execz .LBB843_79
; %bb.74:
	s_movk_i32 s8, 0x80
	v_cmp_ne_u16_e32 vcc, s8, v52
	v_mov_b32_e32 v53, 0xffff8000
	s_and_saveexec_b64 s[8:9], vcc
	s_cbranch_execz .LBB843_78
; %bb.75:
	v_bfe_u32 v52, v36, 16, 7
	s_movk_i32 s10, 0x7f
	v_cmp_ne_u32_e32 vcc, s10, v52
	v_mov_b32_e32 v53, 0x7f80
	s_and_saveexec_b64 s[10:11], vcc
	s_cbranch_execz .LBB843_77
; %bb.76:
	v_and_b32_e32 v53, 7, v34
	v_ffbh_u32_e32 v54, v53
	v_min_u32_e32 v57, 32, v54
	v_subrev_u32_e32 v54, 28, v57
	v_lshlrev_b64 v[54:55], v54, v[34:35]
	v_and_b32_e32 v54, 7, v54
	v_cmp_gt_u32_e32 vcc, 8, v52
	v_lshrrev_b32_e32 v56, 3, v52
	v_sub_u32_e32 v34, 29, v57
	v_cndmask_b32_e32 v52, v53, v54, vcc
	v_mov_b32_e32 v53, 24
	v_cndmask_b32_e32 v34, v56, v34, vcc
	v_lshlrev_b32_sdwa v53, v53, v36 dst_sel:DWORD dst_unused:UNUSED_PAD src0_sel:DWORD src1_sel:WORD_1
	v_bfrev_b32_e32 v54, 60
	v_lshlrev_b32_e32 v52, 20, v52
	v_and_b32_e32 v53, 0x80000000, v53
	v_lshl_add_u32 v34, v34, 23, v54
	v_or3_b32 v34, v53, v34, v52
	v_lshrrev_b32_e32 v53, 16, v34
.LBB843_77:
	s_or_b64 exec, exec, s[10:11]
.LBB843_78:
	s_or_b64 exec, exec, s[8:9]
.LBB843_79:
	s_or_b64 exec, exec, s[2:3]
	s_mov_b32 s2, 0xffffff
	v_cmp_lt_u32_e32 vcc, s2, v36
	v_mov_b32_e32 v54, 0
	v_mov_b32_e32 v55, 0
	s_and_saveexec_b64 s[2:3], vcc
	s_cbranch_execz .LBB843_85
; %bb.80:
	v_lshrrev_b32_e32 v34, 24, v36
	s_movk_i32 s8, 0x80
	v_cmp_ne_u32_e32 vcc, s8, v34
	v_mov_b32_e32 v55, 0xffff8000
	s_and_saveexec_b64 s[8:9], vcc
	s_cbranch_execz .LBB843_84
; %bb.81:
	v_bfe_u32 v36, v36, 24, 7
	s_movk_i32 s10, 0x7f
	v_cmp_ne_u32_e32 vcc, s10, v36
	v_mov_b32_e32 v55, 0x7f80
	s_and_saveexec_b64 s[10:11], vcc
	s_cbranch_execz .LBB843_83
; %bb.82:
	v_and_b32_e32 v52, 7, v34
	v_ffbh_u32_e32 v56, v52
	v_min_u32_e32 v58, 32, v56
	v_subrev_u32_e32 v56, 28, v58
	v_lshlrev_b64 v[56:57], v56, v[34:35]
	v_lshrrev_b32_e32 v55, 3, v36
	v_sub_u32_e32 v57, 29, v58
	v_and_b32_e32 v56, 7, v56
	v_cmp_gt_u32_e32 vcc, 8, v36
	v_cndmask_b32_e32 v36, v55, v57, vcc
	v_cndmask_b32_e32 v52, v52, v56, vcc
	v_lshlrev_b32_e32 v34, 24, v34
	v_bfrev_b32_e32 v55, 60
	v_lshlrev_b32_e32 v52, 20, v52
	v_and_b32_e32 v34, 0x80000000, v34
	v_lshl_add_u32 v36, v36, 23, v55
	v_or3_b32 v34, v34, v36, v52
	v_lshrrev_b32_e32 v55, 16, v34
.LBB843_83:
	s_or_b64 exec, exec, s[10:11]
.LBB843_84:
	s_or_b64 exec, exec, s[8:9]
.LBB843_85:
	s_or_b64 exec, exec, s[2:3]
	v_cmp_ne_u16_sdwa s[8:9], v37, v54 src0_sel:BYTE_0 src1_sel:DWORD
	s_and_saveexec_b64 s[2:3], s[8:9]
	s_cbranch_execz .LBB843_91
; %bb.86:
	s_movk_i32 s8, 0x80
	v_cmp_ne_u16_sdwa s[10:11], v37, s8 src0_sel:BYTE_0 src1_sel:DWORD
	v_mov_b32_e32 v54, 0xffff8000
	s_and_saveexec_b64 s[8:9], s[10:11]
	s_cbranch_execz .LBB843_90
; %bb.87:
	s_movk_i32 s10, 0x7f
	v_and_b32_e32 v34, 0x7f, v37
	v_cmp_ne_u32_e32 vcc, s10, v34
	v_mov_b32_e32 v54, 0x7f80
	s_and_saveexec_b64 s[10:11], vcc
	s_cbranch_execz .LBB843_89
; %bb.88:
	v_and_b32_e32 v52, 7, v37
	v_ffbh_u32_e32 v56, v52
	v_min_u32_e32 v58, 32, v56
	v_mov_b32_e32 v36, v37
	v_subrev_u32_e32 v56, 28, v58
	v_lshlrev_b64 v[56:57], v56, v[36:37]
	v_lshrrev_b32_e32 v54, 3, v34
	v_sub_u32_e32 v36, 29, v58
	v_and_b32_e32 v56, 7, v56
	v_cmp_gt_u32_e32 vcc, 8, v34
	v_cndmask_b32_e32 v34, v54, v36, vcc
	v_cndmask_b32_e32 v36, v52, v56, vcc
	v_lshlrev_b32_e32 v52, 24, v37
	v_bfrev_b32_e32 v54, 60
	v_lshlrev_b32_e32 v36, 20, v36
	v_and_b32_e32 v52, 0x80000000, v52
	v_lshl_add_u32 v34, v34, 23, v54
	v_or3_b32 v34, v52, v34, v36
	v_lshrrev_b32_e32 v54, 16, v34
.LBB843_89:
	s_or_b64 exec, exec, s[10:11]
.LBB843_90:
	s_or_b64 exec, exec, s[8:9]
.LBB843_91:
	s_or_b64 exec, exec, s[2:3]
	v_lshrrev_b16_e32 v34, 8, v37
	v_cmp_ne_u16_e32 vcc, 0, v34
	v_mov_b32_e32 v56, 0
	v_mov_b32_e32 v36, 0
	s_and_saveexec_b64 s[2:3], vcc
	s_cbranch_execz .LBB843_97
; %bb.92:
	s_movk_i32 s8, 0x80
	v_cmp_ne_u16_e32 vcc, s8, v34
	v_mov_b32_e32 v36, 0xffff8000
	s_and_saveexec_b64 s[8:9], vcc
	s_cbranch_execz .LBB843_96
; %bb.93:
	s_movk_i32 s10, 0x7f
	v_and_b32_e32 v52, 0x7f, v34
	v_cmp_ne_u32_e32 vcc, s10, v52
	v_mov_b32_e32 v36, 0x7f80
	s_and_saveexec_b64 s[10:11], vcc
	s_cbranch_execz .LBB843_95
; %bb.94:
	v_and_b32_e32 v36, 7, v34
	v_ffbh_u32_e32 v58, v36
	v_min_u32_e32 v60, 32, v58
	v_subrev_u32_e32 v58, 28, v60
	v_lshlrev_b64 v[58:59], v58, v[34:35]
	v_lshrrev_b32_e32 v57, 3, v52
	v_sub_u32_e32 v34, 29, v60
	v_and_b32_e32 v58, 7, v58
	v_cmp_gt_u32_e32 vcc, 8, v52
	v_cndmask_b32_e32 v34, v57, v34, vcc
	v_cndmask_b32_e32 v36, v36, v58, vcc
	v_lshlrev_b32_e32 v52, 16, v37
	v_bfrev_b32_e32 v57, 60
	v_lshlrev_b32_e32 v36, 20, v36
	v_and_b32_e32 v52, 0x80000000, v52
	v_lshl_add_u32 v34, v34, 23, v57
	v_or3_b32 v34, v52, v34, v36
	v_lshrrev_b32_e32 v36, 16, v34
.LBB843_95:
	s_or_b64 exec, exec, s[10:11]
.LBB843_96:
	s_or_b64 exec, exec, s[8:9]
.LBB843_97:
	s_or_b64 exec, exec, s[2:3]
	s_movk_i32 s2, 0xff
	v_and_b32_sdwa v52, v37, s2 dst_sel:DWORD dst_unused:UNUSED_PAD src0_sel:WORD_1 src1_sel:DWORD
	v_lshrrev_b32_e32 v34, 16, v37
	v_cmp_ne_u16_e32 vcc, 0, v52
	s_and_saveexec_b64 s[2:3], vcc
	s_cbranch_execz .LBB843_103
; %bb.98:
	s_movk_i32 s8, 0x80
	v_cmp_ne_u16_e32 vcc, s8, v52
	v_mov_b32_e32 v56, 0xffff8000
	s_and_saveexec_b64 s[8:9], vcc
	s_cbranch_execz .LBB843_102
; %bb.99:
	v_bfe_u32 v52, v37, 16, 7
	s_movk_i32 s10, 0x7f
	v_cmp_ne_u32_e32 vcc, s10, v52
	v_mov_b32_e32 v56, 0x7f80
	s_and_saveexec_b64 s[10:11], vcc
	s_cbranch_execz .LBB843_101
; %bb.100:
	v_and_b32_e32 v58, 7, v34
	v_ffbh_u32_e32 v56, v58
	v_min_u32_e32 v60, 32, v56
	v_subrev_u32_e32 v56, 28, v60
	v_lshlrev_b64 v[56:57], v56, v[34:35]
	v_and_b32_e32 v56, 7, v56
	v_cmp_gt_u32_e32 vcc, 8, v52
	v_lshrrev_b32_e32 v59, 3, v52
	v_sub_u32_e32 v34, 29, v60
	v_cndmask_b32_e32 v52, v58, v56, vcc
	v_mov_b32_e32 v56, 24
	v_cndmask_b32_e32 v34, v59, v34, vcc
	v_lshlrev_b32_sdwa v56, v56, v37 dst_sel:DWORD dst_unused:UNUSED_PAD src0_sel:DWORD src1_sel:WORD_1
	v_bfrev_b32_e32 v57, 60
	v_lshlrev_b32_e32 v52, 20, v52
	v_and_b32_e32 v56, 0x80000000, v56
	v_lshl_add_u32 v34, v34, 23, v57
	v_or3_b32 v34, v56, v34, v52
	v_lshrrev_b32_e32 v56, 16, v34
.LBB843_101:
	s_or_b64 exec, exec, s[10:11]
.LBB843_102:
	s_or_b64 exec, exec, s[8:9]
.LBB843_103:
	s_or_b64 exec, exec, s[2:3]
	s_mov_b32 s2, 0xffffff
	v_cmp_lt_u32_e32 vcc, s2, v37
	v_mov_b32_e32 v52, 0
	v_mov_b32_e32 v57, 0
	s_and_saveexec_b64 s[2:3], vcc
	s_cbranch_execz .LBB843_109
; %bb.104:
	v_lshrrev_b32_e32 v34, 24, v37
	s_movk_i32 s8, 0x80
	v_cmp_ne_u32_e32 vcc, s8, v34
	v_mov_b32_e32 v57, 0xffff8000
	s_and_saveexec_b64 s[8:9], vcc
	s_cbranch_execz .LBB843_108
; %bb.105:
	v_bfe_u32 v37, v37, 24, 7
	s_movk_i32 s10, 0x7f
	v_cmp_ne_u32_e32 vcc, s10, v37
	v_mov_b32_e32 v57, 0x7f80
	s_and_saveexec_b64 s[10:11], vcc
	s_cbranch_execz .LBB843_107
; %bb.106:
	v_and_b32_e32 v57, 7, v34
	v_ffbh_u32_e32 v58, v57
	v_min_u32_e32 v61, 32, v58
	v_subrev_u32_e32 v58, 28, v61
	v_lshlrev_b64 v[58:59], v58, v[34:35]
	v_lshrrev_b32_e32 v60, 3, v37
	v_sub_u32_e32 v59, 29, v61
	v_and_b32_e32 v58, 7, v58
	v_cmp_gt_u32_e32 vcc, 8, v37
	v_cndmask_b32_e32 v37, v60, v59, vcc
	v_cndmask_b32_e32 v57, v57, v58, vcc
	v_lshlrev_b32_e32 v34, 24, v34
	v_bfrev_b32_e32 v58, 60
	v_lshlrev_b32_e32 v57, 20, v57
	v_and_b32_e32 v34, 0x80000000, v34
	v_lshl_add_u32 v37, v37, 23, v58
	v_or3_b32 v34, v34, v37, v57
	v_lshrrev_b32_e32 v57, 16, v34
.LBB843_107:
	s_or_b64 exec, exec, s[10:11]
.LBB843_108:
	s_or_b64 exec, exec, s[8:9]
.LBB843_109:
	s_or_b64 exec, exec, s[2:3]
	s_mov_b32 s2, 0x5040100
	v_perm_b32 v59, v55, v53, s2
	v_perm_b32 v58, v35, v51, s2
	;; [unrolled: 1-line block ×4, first 2 shown]
	v_cmp_ne_u16_sdwa s[8:9], v38, v52 src0_sel:BYTE_0 src1_sel:DWORD
	v_mfma_f32_16x16x16bf16_1k v[42:45], v[58:59], v[18:19], v[42:45]
	v_mfma_f32_16x16x16bf16_1k v[34:37], v[34:35], v[20:21], v[42:45]
	s_and_saveexec_b64 s[2:3], s[8:9]
	s_cbranch_execz .LBB843_115
; %bb.110:
	s_movk_i32 s8, 0x80
	v_cmp_ne_u16_sdwa s[10:11], v38, s8 src0_sel:BYTE_0 src1_sel:DWORD
	v_mov_b32_e32 v52, 0xffff8000
	s_and_saveexec_b64 s[8:9], s[10:11]
	s_cbranch_execz .LBB843_114
; %bb.111:
	s_movk_i32 s10, 0x7f
	s_nop 1
	v_and_b32_e32 v42, 0x7f, v38
	v_cmp_ne_u32_e32 vcc, s10, v42
	v_mov_b32_e32 v52, 0x7f80
	s_and_saveexec_b64 s[10:11], vcc
	s_cbranch_execz .LBB843_113
; %bb.112:
	v_and_b32_e32 v43, 7, v38
	v_ffbh_u32_e32 v44, v43
	v_min_u32_e32 v52, 32, v44
	v_subrev_u32_e32 v44, 28, v52
	v_lshlrev_b64 v[44:45], v44, v[38:39]
	v_lshrrev_b32_e32 v51, 3, v42
	v_sub_u32_e32 v45, 29, v52
	v_and_b32_e32 v44, 7, v44
	v_cmp_gt_u32_e32 vcc, 8, v42
	v_cndmask_b32_e32 v42, v51, v45, vcc
	v_cndmask_b32_e32 v43, v43, v44, vcc
	v_lshlrev_b32_e32 v44, 24, v38
	v_bfrev_b32_e32 v45, 60
	v_lshlrev_b32_e32 v43, 20, v43
	v_and_b32_e32 v44, 0x80000000, v44
	v_lshl_add_u32 v42, v42, 23, v45
	v_or3_b32 v42, v44, v42, v43
	v_lshrrev_b32_e32 v52, 16, v42
.LBB843_113:
	s_or_b64 exec, exec, s[10:11]
.LBB843_114:
	s_or_b64 exec, exec, s[8:9]
.LBB843_115:
	s_or_b64 exec, exec, s[2:3]
	s_nop 6
	v_lshrrev_b16_e32 v42, 8, v38
	v_cmp_ne_u16_e32 vcc, 0, v42
	v_mov_b32_e32 v44, 0
	v_mov_b32_e32 v43, 0
	s_and_saveexec_b64 s[2:3], vcc
	s_cbranch_execz .LBB843_121
; %bb.116:
	s_movk_i32 s8, 0x80
	v_cmp_ne_u16_e32 vcc, s8, v42
	v_mov_b32_e32 v43, 0xffff8000
	s_and_saveexec_b64 s[8:9], vcc
	s_cbranch_execz .LBB843_120
; %bb.117:
	s_movk_i32 s10, 0x7f
	v_and_b32_e32 v45, 0x7f, v42
	v_cmp_ne_u32_e32 vcc, s10, v45
	v_mov_b32_e32 v43, 0x7f80
	s_and_saveexec_b64 s[10:11], vcc
	s_cbranch_execz .LBB843_119
; %bb.118:
	v_and_b32_e32 v51, 7, v42
	v_ffbh_u32_e32 v43, v51
	v_min_u32_e32 v54, 32, v43
	v_subrev_u32_e32 v43, 28, v54
	v_lshlrev_b64 v[42:43], v43, v[42:43]
	v_lshrrev_b32_e32 v53, 3, v45
	v_sub_u32_e32 v43, 29, v54
	v_and_b32_e32 v42, 7, v42
	v_cmp_gt_u32_e32 vcc, 8, v45
	v_cndmask_b32_e32 v43, v53, v43, vcc
	v_cndmask_b32_e32 v42, v51, v42, vcc
	v_lshlrev_b32_e32 v45, 16, v38
	v_bfrev_b32_e32 v51, 60
	v_lshlrev_b32_e32 v42, 20, v42
	v_and_b32_e32 v45, 0x80000000, v45
	v_lshl_add_u32 v43, v43, 23, v51
	v_or3_b32 v42, v45, v43, v42
	v_lshrrev_b32_e32 v43, 16, v42
.LBB843_119:
	s_or_b64 exec, exec, s[10:11]
.LBB843_120:
	s_or_b64 exec, exec, s[8:9]
.LBB843_121:
	s_or_b64 exec, exec, s[2:3]
	s_movk_i32 s2, 0xff
	v_and_b32_sdwa v45, v38, s2 dst_sel:DWORD dst_unused:UNUSED_PAD src0_sel:WORD_1 src1_sel:DWORD
	v_lshrrev_b32_e32 v42, 16, v38
	v_cmp_ne_u16_e32 vcc, 0, v45
	s_and_saveexec_b64 s[2:3], vcc
	s_cbranch_execz .LBB843_127
; %bb.122:
	s_movk_i32 s8, 0x80
	v_cmp_ne_u16_e32 vcc, s8, v45
	v_mov_b32_e32 v44, 0xffff8000
	s_and_saveexec_b64 s[8:9], vcc
	s_cbranch_execz .LBB843_126
; %bb.123:
	v_bfe_u32 v45, v38, 16, 7
	s_movk_i32 s10, 0x7f
	v_cmp_ne_u32_e32 vcc, s10, v45
	v_mov_b32_e32 v44, 0x7f80
	s_and_saveexec_b64 s[10:11], vcc
	s_cbranch_execz .LBB843_125
; %bb.124:
	v_and_b32_e32 v44, 7, v42
	v_ffbh_u32_e32 v53, v44
	v_min_u32_e32 v53, 32, v53
	v_subrev_u32_e32 v54, 28, v53
	v_lshlrev_b64 v[54:55], v54, v[42:43]
	v_lshrrev_b32_e32 v51, 3, v45
	v_sub_u32_e32 v42, 29, v53
	v_and_b32_e32 v53, 7, v54
	v_cmp_gt_u32_e32 vcc, 8, v45
	v_mov_b32_e32 v45, 24
	v_cndmask_b32_e32 v42, v51, v42, vcc
	v_cndmask_b32_e32 v44, v44, v53, vcc
	v_lshlrev_b32_sdwa v45, v45, v38 dst_sel:DWORD dst_unused:UNUSED_PAD src0_sel:DWORD src1_sel:WORD_1
	v_bfrev_b32_e32 v51, 60
	v_lshlrev_b32_e32 v44, 20, v44
	v_and_b32_e32 v45, 0x80000000, v45
	v_lshl_add_u32 v42, v42, 23, v51
	v_or3_b32 v42, v45, v42, v44
	v_lshrrev_b32_e32 v44, 16, v42
.LBB843_125:
	s_or_b64 exec, exec, s[10:11]
.LBB843_126:
	s_or_b64 exec, exec, s[8:9]
.LBB843_127:
	s_or_b64 exec, exec, s[2:3]
	s_mov_b32 s2, 0xffffff
	v_cmp_lt_u32_e32 vcc, s2, v38
	v_mov_b32_e32 v45, 0
	v_mov_b32_e32 v53, 0
	s_and_saveexec_b64 s[2:3], vcc
	s_cbranch_execz .LBB843_133
; %bb.128:
	v_lshrrev_b32_e32 v42, 24, v38
	s_movk_i32 s8, 0x80
	v_cmp_ne_u32_e32 vcc, s8, v42
	v_mov_b32_e32 v53, 0xffff8000
	s_and_saveexec_b64 s[8:9], vcc
	s_cbranch_execz .LBB843_132
; %bb.129:
	v_bfe_u32 v38, v38, 24, 7
	s_movk_i32 s10, 0x7f
	v_cmp_ne_u32_e32 vcc, s10, v38
	v_mov_b32_e32 v53, 0x7f80
	s_and_saveexec_b64 s[10:11], vcc
	s_cbranch_execz .LBB843_131
; %bb.130:
	v_and_b32_e32 v51, 7, v42
	v_ffbh_u32_e32 v54, v51
	v_min_u32_e32 v56, 32, v54
	v_subrev_u32_e32 v54, 28, v56
	v_lshlrev_b64 v[54:55], v54, v[42:43]
	v_lshrrev_b32_e32 v53, 3, v38
	v_sub_u32_e32 v55, 29, v56
	v_and_b32_e32 v54, 7, v54
	v_cmp_gt_u32_e32 vcc, 8, v38
	v_cndmask_b32_e32 v38, v53, v55, vcc
	v_cndmask_b32_e32 v51, v51, v54, vcc
	v_lshlrev_b32_e32 v42, 24, v42
	v_bfrev_b32_e32 v53, 60
	v_lshlrev_b32_e32 v51, 20, v51
	v_and_b32_e32 v42, 0x80000000, v42
	v_lshl_add_u32 v38, v38, 23, v53
	v_or3_b32 v38, v42, v38, v51
	v_lshrrev_b32_e32 v53, 16, v38
.LBB843_131:
	s_or_b64 exec, exec, s[10:11]
.LBB843_132:
	s_or_b64 exec, exec, s[8:9]
.LBB843_133:
	s_or_b64 exec, exec, s[2:3]
	v_cmp_ne_u16_sdwa s[8:9], v39, v45 src0_sel:BYTE_0 src1_sel:DWORD
	s_and_saveexec_b64 s[2:3], s[8:9]
	s_cbranch_execz .LBB843_139
; %bb.134:
	s_movk_i32 s8, 0x80
	v_cmp_ne_u16_sdwa s[10:11], v39, s8 src0_sel:BYTE_0 src1_sel:DWORD
	v_mov_b32_e32 v45, 0xffff8000
	s_and_saveexec_b64 s[8:9], s[10:11]
	s_cbranch_execz .LBB843_138
; %bb.135:
	s_movk_i32 s10, 0x7f
	v_and_b32_e32 v38, 0x7f, v39
	v_cmp_ne_u32_e32 vcc, s10, v38
	v_mov_b32_e32 v45, 0x7f80
	s_and_saveexec_b64 s[10:11], vcc
	s_cbranch_execz .LBB843_137
; %bb.136:
	v_and_b32_e32 v45, 7, v39
	v_ffbh_u32_e32 v54, v45
	v_min_u32_e32 v56, 32, v54
	v_mov_b32_e32 v42, v39
	v_subrev_u32_e32 v54, 28, v56
	v_lshlrev_b64 v[54:55], v54, v[42:43]
	v_lshrrev_b32_e32 v51, 3, v38
	v_sub_u32_e32 v42, 29, v56
	v_and_b32_e32 v54, 7, v54
	v_cmp_gt_u32_e32 vcc, 8, v38
	v_cndmask_b32_e32 v38, v51, v42, vcc
	v_cndmask_b32_e32 v42, v45, v54, vcc
	v_lshlrev_b32_e32 v45, 24, v39
	v_bfrev_b32_e32 v51, 60
	v_lshlrev_b32_e32 v42, 20, v42
	v_and_b32_e32 v45, 0x80000000, v45
	v_lshl_add_u32 v38, v38, 23, v51
	v_or3_b32 v38, v45, v38, v42
	v_lshrrev_b32_e32 v45, 16, v38
.LBB843_137:
	s_or_b64 exec, exec, s[10:11]
.LBB843_138:
	s_or_b64 exec, exec, s[8:9]
.LBB843_139:
	s_or_b64 exec, exec, s[2:3]
	v_lshrrev_b16_e32 v38, 8, v39
	v_cmp_ne_u16_e32 vcc, 0, v38
	v_mov_b32_e32 v54, 0
	v_mov_b32_e32 v42, 0
	s_and_saveexec_b64 s[2:3], vcc
	s_cbranch_execz .LBB843_145
; %bb.140:
	s_movk_i32 s8, 0x80
	v_cmp_ne_u16_e32 vcc, s8, v38
	v_mov_b32_e32 v42, 0xffff8000
	s_and_saveexec_b64 s[8:9], vcc
	s_cbranch_execz .LBB843_144
; %bb.141:
	s_movk_i32 s10, 0x7f
	v_and_b32_e32 v51, 0x7f, v38
	v_cmp_ne_u32_e32 vcc, s10, v51
	v_mov_b32_e32 v42, 0x7f80
	s_and_saveexec_b64 s[10:11], vcc
	s_cbranch_execz .LBB843_143
; %bb.142:
	v_and_b32_e32 v42, 7, v38
	v_ffbh_u32_e32 v56, v42
	v_min_u32_e32 v58, 32, v56
	v_subrev_u32_e32 v56, 28, v58
	v_lshlrev_b64 v[56:57], v56, v[38:39]
	v_lshrrev_b32_e32 v55, 3, v51
	v_sub_u32_e32 v38, 29, v58
	v_and_b32_e32 v56, 7, v56
	v_cmp_gt_u32_e32 vcc, 8, v51
	v_cndmask_b32_e32 v38, v55, v38, vcc
	v_cndmask_b32_e32 v42, v42, v56, vcc
	v_lshlrev_b32_e32 v51, 16, v39
	v_bfrev_b32_e32 v55, 60
	v_lshlrev_b32_e32 v42, 20, v42
	v_and_b32_e32 v51, 0x80000000, v51
	v_lshl_add_u32 v38, v38, 23, v55
	v_or3_b32 v38, v51, v38, v42
	v_lshrrev_b32_e32 v42, 16, v38
.LBB843_143:
	s_or_b64 exec, exec, s[10:11]
.LBB843_144:
	s_or_b64 exec, exec, s[8:9]
.LBB843_145:
	s_or_b64 exec, exec, s[2:3]
	s_movk_i32 s2, 0xff
	v_and_b32_sdwa v51, v39, s2 dst_sel:DWORD dst_unused:UNUSED_PAD src0_sel:WORD_1 src1_sel:DWORD
	v_lshrrev_b32_e32 v38, 16, v39
	v_cmp_ne_u16_e32 vcc, 0, v51
	s_and_saveexec_b64 s[2:3], vcc
	s_cbranch_execz .LBB843_151
; %bb.146:
	s_movk_i32 s8, 0x80
	v_cmp_ne_u16_e32 vcc, s8, v51
	v_mov_b32_e32 v54, 0xffff8000
	s_and_saveexec_b64 s[8:9], vcc
	s_cbranch_execz .LBB843_150
; %bb.147:
	v_bfe_u32 v51, v39, 16, 7
	s_movk_i32 s10, 0x7f
	v_cmp_ne_u32_e32 vcc, s10, v51
	v_mov_b32_e32 v54, 0x7f80
	s_and_saveexec_b64 s[10:11], vcc
	s_cbranch_execz .LBB843_149
; %bb.148:
	v_and_b32_e32 v56, 7, v38
	v_ffbh_u32_e32 v54, v56
	v_min_u32_e32 v58, 32, v54
	v_subrev_u32_e32 v54, 28, v58
	v_lshlrev_b64 v[54:55], v54, v[38:39]
	v_and_b32_e32 v54, 7, v54
	v_cmp_gt_u32_e32 vcc, 8, v51
	v_lshrrev_b32_e32 v57, 3, v51
	v_sub_u32_e32 v38, 29, v58
	v_cndmask_b32_e32 v51, v56, v54, vcc
	v_mov_b32_e32 v54, 24
	v_cndmask_b32_e32 v38, v57, v38, vcc
	v_lshlrev_b32_sdwa v54, v54, v39 dst_sel:DWORD dst_unused:UNUSED_PAD src0_sel:DWORD src1_sel:WORD_1
	v_bfrev_b32_e32 v55, 60
	v_lshlrev_b32_e32 v51, 20, v51
	v_and_b32_e32 v54, 0x80000000, v54
	v_lshl_add_u32 v38, v38, 23, v55
	v_or3_b32 v38, v54, v38, v51
	v_lshrrev_b32_e32 v54, 16, v38
.LBB843_149:
	s_or_b64 exec, exec, s[10:11]
.LBB843_150:
	s_or_b64 exec, exec, s[8:9]
.LBB843_151:
	s_or_b64 exec, exec, s[2:3]
	s_mov_b32 s2, 0xffffff
	v_cmp_lt_u32_e32 vcc, s2, v39
	v_mov_b32_e32 v51, 0
	v_mov_b32_e32 v55, 0
	s_and_saveexec_b64 s[2:3], vcc
	s_cbranch_execz .LBB843_157
; %bb.152:
	v_lshrrev_b32_e32 v38, 24, v39
	s_movk_i32 s8, 0x80
	v_cmp_ne_u32_e32 vcc, s8, v38
	v_mov_b32_e32 v55, 0xffff8000
	s_and_saveexec_b64 s[8:9], vcc
	s_cbranch_execz .LBB843_156
; %bb.153:
	v_bfe_u32 v39, v39, 24, 7
	s_movk_i32 s10, 0x7f
	v_cmp_ne_u32_e32 vcc, s10, v39
	v_mov_b32_e32 v55, 0x7f80
	s_and_saveexec_b64 s[10:11], vcc
	s_cbranch_execz .LBB843_155
; %bb.154:
	v_and_b32_e32 v55, 7, v38
	v_ffbh_u32_e32 v56, v55
	v_min_u32_e32 v59, 32, v56
	v_subrev_u32_e32 v56, 28, v59
	v_lshlrev_b64 v[56:57], v56, v[38:39]
	v_lshrrev_b32_e32 v58, 3, v39
	v_sub_u32_e32 v57, 29, v59
	v_and_b32_e32 v56, 7, v56
	v_cmp_gt_u32_e32 vcc, 8, v39
	v_cndmask_b32_e32 v39, v58, v57, vcc
	v_cndmask_b32_e32 v55, v55, v56, vcc
	v_lshlrev_b32_e32 v38, 24, v38
	v_bfrev_b32_e32 v56, 60
	v_lshlrev_b32_e32 v55, 20, v55
	v_and_b32_e32 v38, 0x80000000, v38
	v_lshl_add_u32 v39, v39, 23, v56
	v_or3_b32 v38, v38, v39, v55
	v_lshrrev_b32_e32 v55, 16, v38
.LBB843_155:
	s_or_b64 exec, exec, s[10:11]
.LBB843_156:
	s_or_b64 exec, exec, s[8:9]
.LBB843_157:
	s_or_b64 exec, exec, s[2:3]
	s_mov_b32 s2, 0x5040100
	v_perm_b32 v39, v53, v44, s2
	v_perm_b32 v38, v43, v52, s2
	v_cmp_ne_u16_sdwa s[8:9], v40, v51 src0_sel:BYTE_0 src1_sel:DWORD
	s_nop 0
	v_mfma_f32_16x16x16bf16_1k v[56:59], v[38:39], v[26:27], 0
	v_perm_b32 v39, v55, v54, s2
	v_perm_b32 v38, v42, v45, s2
	s_nop 1
	v_mfma_f32_16x16x16bf16_1k v[42:45], v[38:39], v[28:29], v[56:59]
	s_and_saveexec_b64 s[2:3], s[8:9]
	s_cbranch_execz .LBB843_163
; %bb.158:
	s_movk_i32 s8, 0x80
	v_cmp_ne_u16_sdwa s[10:11], v40, s8 src0_sel:BYTE_0 src1_sel:DWORD
	v_mov_b32_e32 v51, 0xffff8000
	s_and_saveexec_b64 s[8:9], s[10:11]
	s_cbranch_execz .LBB843_162
; %bb.159:
	s_movk_i32 s10, 0x7f
	v_and_b32_e32 v38, 0x7f, v40
	v_cmp_ne_u32_e32 vcc, s10, v38
	v_mov_b32_e32 v51, 0x7f80
	s_and_saveexec_b64 s[10:11], vcc
	s_cbranch_execz .LBB843_161
; %bb.160:
	v_and_b32_e32 v39, 7, v40
	v_ffbh_u32_e32 v52, v39
	v_min_u32_e32 v54, 32, v52
	v_subrev_u32_e32 v52, 28, v54
	v_lshlrev_b64 v[52:53], v52, v[40:41]
	v_lshrrev_b32_e32 v51, 3, v38
	v_sub_u32_e32 v53, 29, v54
	v_and_b32_e32 v52, 7, v52
	v_cmp_gt_u32_e32 vcc, 8, v38
	v_cndmask_b32_e32 v38, v51, v53, vcc
	v_cndmask_b32_e32 v39, v39, v52, vcc
	v_lshlrev_b32_e32 v51, 24, v40
	v_bfrev_b32_e32 v52, 60
	v_lshlrev_b32_e32 v39, 20, v39
	v_and_b32_e32 v51, 0x80000000, v51
	v_lshl_add_u32 v38, v38, 23, v52
	v_or3_b32 v38, v51, v38, v39
	v_lshrrev_b32_e32 v51, 16, v38
.LBB843_161:
	s_or_b64 exec, exec, s[10:11]
.LBB843_162:
	s_or_b64 exec, exec, s[8:9]
.LBB843_163:
	s_or_b64 exec, exec, s[2:3]
	v_lshrrev_b16_e32 v38, 8, v40
	v_cmp_ne_u16_e32 vcc, 0, v38
	v_mov_b32_e32 v53, 0
	v_mov_b32_e32 v39, 0
	s_and_saveexec_b64 s[2:3], vcc
	s_cbranch_execz .LBB843_169
; %bb.164:
	s_movk_i32 s8, 0x80
	v_cmp_ne_u16_e32 vcc, s8, v38
	v_mov_b32_e32 v39, 0xffff8000
	s_and_saveexec_b64 s[8:9], vcc
	s_cbranch_execz .LBB843_168
; %bb.165:
	s_movk_i32 s10, 0x7f
	v_and_b32_e32 v52, 0x7f, v38
	v_cmp_ne_u32_e32 vcc, s10, v52
	v_mov_b32_e32 v39, 0x7f80
	s_and_saveexec_b64 s[10:11], vcc
	s_cbranch_execz .LBB843_167
; %bb.166:
	v_and_b32_e32 v54, 7, v38
	v_ffbh_u32_e32 v39, v54
	v_min_u32_e32 v56, 32, v39
	v_subrev_u32_e32 v39, 28, v56
	v_lshlrev_b64 v[38:39], v39, v[38:39]
	v_lshrrev_b32_e32 v55, 3, v52
	v_sub_u32_e32 v39, 29, v56
	v_and_b32_e32 v38, 7, v38
	v_cmp_gt_u32_e32 vcc, 8, v52
	v_cndmask_b32_e32 v39, v55, v39, vcc
	v_cndmask_b32_e32 v38, v54, v38, vcc
	v_lshlrev_b32_e32 v52, 16, v40
	v_bfrev_b32_e32 v54, 60
	v_lshlrev_b32_e32 v38, 20, v38
	v_and_b32_e32 v52, 0x80000000, v52
	v_lshl_add_u32 v39, v39, 23, v54
	v_or3_b32 v38, v52, v39, v38
	v_lshrrev_b32_e32 v39, 16, v38
.LBB843_167:
	s_or_b64 exec, exec, s[10:11]
.LBB843_168:
	s_or_b64 exec, exec, s[8:9]
.LBB843_169:
	s_or_b64 exec, exec, s[2:3]
	s_movk_i32 s2, 0xff
	v_and_b32_sdwa v52, v40, s2 dst_sel:DWORD dst_unused:UNUSED_PAD src0_sel:WORD_1 src1_sel:DWORD
	v_lshrrev_b32_e32 v38, 16, v40
	v_cmp_ne_u16_e32 vcc, 0, v52
	s_and_saveexec_b64 s[2:3], vcc
	s_cbranch_execz .LBB843_175
; %bb.170:
	s_movk_i32 s8, 0x80
	v_cmp_ne_u16_e32 vcc, s8, v52
	v_mov_b32_e32 v53, 0xffff8000
	s_and_saveexec_b64 s[8:9], vcc
	s_cbranch_execz .LBB843_174
; %bb.171:
	v_bfe_u32 v52, v40, 16, 7
	s_movk_i32 s10, 0x7f
	v_cmp_ne_u32_e32 vcc, s10, v52
	v_mov_b32_e32 v53, 0x7f80
	s_and_saveexec_b64 s[10:11], vcc
	s_cbranch_execz .LBB843_173
; %bb.172:
	v_and_b32_e32 v53, 7, v38
	v_ffbh_u32_e32 v54, v53
	v_min_u32_e32 v57, 32, v54
	v_subrev_u32_e32 v54, 28, v57
	v_lshlrev_b64 v[54:55], v54, v[38:39]
	v_and_b32_e32 v54, 7, v54
	v_cmp_gt_u32_e32 vcc, 8, v52
	v_lshrrev_b32_e32 v56, 3, v52
	v_sub_u32_e32 v38, 29, v57
	v_cndmask_b32_e32 v52, v53, v54, vcc
	v_mov_b32_e32 v53, 24
	v_cndmask_b32_e32 v38, v56, v38, vcc
	v_lshlrev_b32_sdwa v53, v53, v40 dst_sel:DWORD dst_unused:UNUSED_PAD src0_sel:DWORD src1_sel:WORD_1
	v_bfrev_b32_e32 v54, 60
	v_lshlrev_b32_e32 v52, 20, v52
	v_and_b32_e32 v53, 0x80000000, v53
	v_lshl_add_u32 v38, v38, 23, v54
	v_or3_b32 v38, v53, v38, v52
	v_lshrrev_b32_e32 v53, 16, v38
.LBB843_173:
	s_or_b64 exec, exec, s[10:11]
.LBB843_174:
	s_or_b64 exec, exec, s[8:9]
.LBB843_175:
	s_or_b64 exec, exec, s[2:3]
	s_mov_b32 s2, 0xffffff
	v_cmp_lt_u32_e32 vcc, s2, v40
	v_mov_b32_e32 v54, 0
	v_mov_b32_e32 v55, 0
	s_and_saveexec_b64 s[2:3], vcc
	s_cbranch_execz .LBB843_181
; %bb.176:
	v_lshrrev_b32_e32 v38, 24, v40
	s_movk_i32 s8, 0x80
	v_cmp_ne_u32_e32 vcc, s8, v38
	v_mov_b32_e32 v55, 0xffff8000
	s_and_saveexec_b64 s[8:9], vcc
	s_cbranch_execz .LBB843_180
; %bb.177:
	v_bfe_u32 v40, v40, 24, 7
	s_movk_i32 s10, 0x7f
	v_cmp_ne_u32_e32 vcc, s10, v40
	v_mov_b32_e32 v55, 0x7f80
	s_and_saveexec_b64 s[10:11], vcc
	s_cbranch_execz .LBB843_179
; %bb.178:
	v_and_b32_e32 v52, 7, v38
	v_ffbh_u32_e32 v56, v52
	v_min_u32_e32 v58, 32, v56
	v_subrev_u32_e32 v56, 28, v58
	v_lshlrev_b64 v[56:57], v56, v[38:39]
	v_lshrrev_b32_e32 v55, 3, v40
	v_sub_u32_e32 v57, 29, v58
	v_and_b32_e32 v56, 7, v56
	v_cmp_gt_u32_e32 vcc, 8, v40
	v_cndmask_b32_e32 v40, v55, v57, vcc
	v_cndmask_b32_e32 v52, v52, v56, vcc
	v_lshlrev_b32_e32 v38, 24, v38
	v_bfrev_b32_e32 v55, 60
	v_lshlrev_b32_e32 v52, 20, v52
	v_and_b32_e32 v38, 0x80000000, v38
	v_lshl_add_u32 v40, v40, 23, v55
	v_or3_b32 v38, v38, v40, v52
	v_lshrrev_b32_e32 v55, 16, v38
.LBB843_179:
	s_or_b64 exec, exec, s[10:11]
.LBB843_180:
	s_or_b64 exec, exec, s[8:9]
.LBB843_181:
	s_or_b64 exec, exec, s[2:3]
	v_cmp_ne_u16_sdwa s[8:9], v41, v54 src0_sel:BYTE_0 src1_sel:DWORD
	s_and_saveexec_b64 s[2:3], s[8:9]
	s_cbranch_execz .LBB843_187
; %bb.182:
	s_movk_i32 s8, 0x80
	v_cmp_ne_u16_sdwa s[10:11], v41, s8 src0_sel:BYTE_0 src1_sel:DWORD
	v_mov_b32_e32 v54, 0xffff8000
	s_and_saveexec_b64 s[8:9], s[10:11]
	s_cbranch_execz .LBB843_186
; %bb.183:
	s_movk_i32 s10, 0x7f
	v_and_b32_e32 v38, 0x7f, v41
	v_cmp_ne_u32_e32 vcc, s10, v38
	v_mov_b32_e32 v54, 0x7f80
	s_and_saveexec_b64 s[10:11], vcc
	s_cbranch_execz .LBB843_185
; %bb.184:
	v_and_b32_e32 v52, 7, v41
	v_ffbh_u32_e32 v56, v52
	v_min_u32_e32 v58, 32, v56
	v_mov_b32_e32 v40, v41
	v_subrev_u32_e32 v56, 28, v58
	v_lshlrev_b64 v[56:57], v56, v[40:41]
	v_lshrrev_b32_e32 v54, 3, v38
	v_sub_u32_e32 v40, 29, v58
	v_and_b32_e32 v56, 7, v56
	v_cmp_gt_u32_e32 vcc, 8, v38
	v_cndmask_b32_e32 v38, v54, v40, vcc
	v_cndmask_b32_e32 v40, v52, v56, vcc
	v_lshlrev_b32_e32 v52, 24, v41
	v_bfrev_b32_e32 v54, 60
	v_lshlrev_b32_e32 v40, 20, v40
	v_and_b32_e32 v52, 0x80000000, v52
	v_lshl_add_u32 v38, v38, 23, v54
	v_or3_b32 v38, v52, v38, v40
	v_lshrrev_b32_e32 v54, 16, v38
.LBB843_185:
	s_or_b64 exec, exec, s[10:11]
.LBB843_186:
	s_or_b64 exec, exec, s[8:9]
.LBB843_187:
	s_or_b64 exec, exec, s[2:3]
	v_lshrrev_b16_e32 v38, 8, v41
	v_cmp_ne_u16_e32 vcc, 0, v38
	v_mov_b32_e32 v56, 0
	v_mov_b32_e32 v40, 0
	s_and_saveexec_b64 s[2:3], vcc
	s_cbranch_execz .LBB843_193
; %bb.188:
	s_movk_i32 s8, 0x80
	v_cmp_ne_u16_e32 vcc, s8, v38
	v_mov_b32_e32 v40, 0xffff8000
	s_and_saveexec_b64 s[8:9], vcc
	s_cbranch_execz .LBB843_192
; %bb.189:
	s_movk_i32 s10, 0x7f
	v_and_b32_e32 v52, 0x7f, v38
	v_cmp_ne_u32_e32 vcc, s10, v52
	v_mov_b32_e32 v40, 0x7f80
	s_and_saveexec_b64 s[10:11], vcc
	s_cbranch_execz .LBB843_191
; %bb.190:
	v_and_b32_e32 v40, 7, v38
	v_ffbh_u32_e32 v58, v40
	v_min_u32_e32 v60, 32, v58
	v_subrev_u32_e32 v58, 28, v60
	v_lshlrev_b64 v[58:59], v58, v[38:39]
	v_lshrrev_b32_e32 v57, 3, v52
	v_sub_u32_e32 v38, 29, v60
	v_and_b32_e32 v58, 7, v58
	v_cmp_gt_u32_e32 vcc, 8, v52
	v_cndmask_b32_e32 v38, v57, v38, vcc
	v_cndmask_b32_e32 v40, v40, v58, vcc
	v_lshlrev_b32_e32 v52, 16, v41
	v_bfrev_b32_e32 v57, 60
	v_lshlrev_b32_e32 v40, 20, v40
	v_and_b32_e32 v52, 0x80000000, v52
	v_lshl_add_u32 v38, v38, 23, v57
	v_or3_b32 v38, v52, v38, v40
	v_lshrrev_b32_e32 v40, 16, v38
.LBB843_191:
	s_or_b64 exec, exec, s[10:11]
.LBB843_192:
	s_or_b64 exec, exec, s[8:9]
.LBB843_193:
	s_or_b64 exec, exec, s[2:3]
	s_movk_i32 s2, 0xff
	v_and_b32_sdwa v52, v41, s2 dst_sel:DWORD dst_unused:UNUSED_PAD src0_sel:WORD_1 src1_sel:DWORD
	v_lshrrev_b32_e32 v38, 16, v41
	v_cmp_ne_u16_e32 vcc, 0, v52
	s_and_saveexec_b64 s[2:3], vcc
	s_cbranch_execz .LBB843_199
; %bb.194:
	s_movk_i32 s8, 0x80
	v_cmp_ne_u16_e32 vcc, s8, v52
	v_mov_b32_e32 v56, 0xffff8000
	s_and_saveexec_b64 s[8:9], vcc
	s_cbranch_execz .LBB843_198
; %bb.195:
	v_bfe_u32 v52, v41, 16, 7
	s_movk_i32 s10, 0x7f
	v_cmp_ne_u32_e32 vcc, s10, v52
	v_mov_b32_e32 v56, 0x7f80
	s_and_saveexec_b64 s[10:11], vcc
	s_cbranch_execz .LBB843_197
; %bb.196:
	v_and_b32_e32 v58, 7, v38
	v_ffbh_u32_e32 v56, v58
	v_min_u32_e32 v60, 32, v56
	v_subrev_u32_e32 v56, 28, v60
	v_lshlrev_b64 v[56:57], v56, v[38:39]
	v_and_b32_e32 v56, 7, v56
	v_cmp_gt_u32_e32 vcc, 8, v52
	v_lshrrev_b32_e32 v59, 3, v52
	v_sub_u32_e32 v38, 29, v60
	v_cndmask_b32_e32 v52, v58, v56, vcc
	v_mov_b32_e32 v56, 24
	v_cndmask_b32_e32 v38, v59, v38, vcc
	v_lshlrev_b32_sdwa v56, v56, v41 dst_sel:DWORD dst_unused:UNUSED_PAD src0_sel:DWORD src1_sel:WORD_1
	v_bfrev_b32_e32 v57, 60
	v_lshlrev_b32_e32 v52, 20, v52
	v_and_b32_e32 v56, 0x80000000, v56
	v_lshl_add_u32 v38, v38, 23, v57
	v_or3_b32 v38, v56, v38, v52
	v_lshrrev_b32_e32 v56, 16, v38
.LBB843_197:
	s_or_b64 exec, exec, s[10:11]
.LBB843_198:
	s_or_b64 exec, exec, s[8:9]
.LBB843_199:
	s_or_b64 exec, exec, s[2:3]
	s_mov_b32 s2, 0xffffff
	v_cmp_lt_u32_e32 vcc, s2, v41
	v_mov_b32_e32 v52, 0
	v_mov_b32_e32 v57, 0
	s_and_saveexec_b64 s[2:3], vcc
	s_cbranch_execz .LBB843_205
; %bb.200:
	v_lshrrev_b32_e32 v38, 24, v41
	s_movk_i32 s8, 0x80
	v_cmp_ne_u32_e32 vcc, s8, v38
	v_mov_b32_e32 v57, 0xffff8000
	s_and_saveexec_b64 s[8:9], vcc
	s_cbranch_execz .LBB843_204
; %bb.201:
	v_bfe_u32 v41, v41, 24, 7
	s_movk_i32 s10, 0x7f
	v_cmp_ne_u32_e32 vcc, s10, v41
	v_mov_b32_e32 v57, 0x7f80
	s_and_saveexec_b64 s[10:11], vcc
	s_cbranch_execz .LBB843_203
; %bb.202:
	v_and_b32_e32 v57, 7, v38
	v_ffbh_u32_e32 v58, v57
	v_min_u32_e32 v61, 32, v58
	v_subrev_u32_e32 v58, 28, v61
	v_lshlrev_b64 v[58:59], v58, v[38:39]
	v_lshrrev_b32_e32 v60, 3, v41
	v_sub_u32_e32 v59, 29, v61
	v_and_b32_e32 v58, 7, v58
	v_cmp_gt_u32_e32 vcc, 8, v41
	v_cndmask_b32_e32 v41, v60, v59, vcc
	v_cndmask_b32_e32 v57, v57, v58, vcc
	v_lshlrev_b32_e32 v38, 24, v38
	v_bfrev_b32_e32 v58, 60
	v_lshlrev_b32_e32 v57, 20, v57
	v_and_b32_e32 v38, 0x80000000, v38
	v_lshl_add_u32 v41, v41, 23, v58
	v_or3_b32 v38, v38, v41, v57
	v_lshrrev_b32_e32 v57, 16, v38
.LBB843_203:
	s_or_b64 exec, exec, s[10:11]
.LBB843_204:
	s_or_b64 exec, exec, s[8:9]
.LBB843_205:
	s_or_b64 exec, exec, s[2:3]
	s_mov_b32 s2, 0x5040100
	v_perm_b32 v59, v55, v53, s2
	v_perm_b32 v58, v39, v51, s2
	;; [unrolled: 1-line block ×4, first 2 shown]
	v_cmp_ne_u16_sdwa s[8:9], v30, v52 src0_sel:BYTE_0 src1_sel:DWORD
	v_mfma_f32_16x16x16bf16_1k v[42:45], v[58:59], v[18:19], v[42:45]
	v_mfma_f32_16x16x16bf16_1k v[38:41], v[38:39], v[20:21], v[42:45]
	s_and_saveexec_b64 s[2:3], s[8:9]
	s_cbranch_execz .LBB843_211
; %bb.206:
	s_movk_i32 s8, 0x80
	v_cmp_ne_u16_sdwa s[10:11], v30, s8 src0_sel:BYTE_0 src1_sel:DWORD
	v_mov_b32_e32 v52, 0xffff8000
	s_and_saveexec_b64 s[8:9], s[10:11]
	s_cbranch_execz .LBB843_210
; %bb.207:
	s_movk_i32 s10, 0x7f
	s_nop 1
	v_and_b32_e32 v42, 0x7f, v30
	v_cmp_ne_u32_e32 vcc, s10, v42
	v_mov_b32_e32 v52, 0x7f80
	s_and_saveexec_b64 s[10:11], vcc
	s_cbranch_execz .LBB843_209
; %bb.208:
	v_and_b32_e32 v43, 7, v30
	v_ffbh_u32_e32 v44, v43
	v_min_u32_e32 v52, 32, v44
	v_subrev_u32_e32 v44, 28, v52
	v_lshlrev_b64 v[44:45], v44, v[30:31]
	v_lshrrev_b32_e32 v51, 3, v42
	v_sub_u32_e32 v45, 29, v52
	v_and_b32_e32 v44, 7, v44
	v_cmp_gt_u32_e32 vcc, 8, v42
	v_cndmask_b32_e32 v42, v51, v45, vcc
	v_cndmask_b32_e32 v43, v43, v44, vcc
	v_lshlrev_b32_e32 v44, 24, v30
	v_bfrev_b32_e32 v45, 60
	v_lshlrev_b32_e32 v43, 20, v43
	v_and_b32_e32 v44, 0x80000000, v44
	v_lshl_add_u32 v42, v42, 23, v45
	v_or3_b32 v42, v44, v42, v43
	v_lshrrev_b32_e32 v52, 16, v42
.LBB843_209:
	s_or_b64 exec, exec, s[10:11]
.LBB843_210:
	s_or_b64 exec, exec, s[8:9]
.LBB843_211:
	s_or_b64 exec, exec, s[2:3]
	s_nop 6
	v_lshrrev_b16_e32 v42, 8, v30
	v_cmp_ne_u16_e32 vcc, 0, v42
	v_mov_b32_e32 v44, 0
	v_mov_b32_e32 v43, 0
	s_and_saveexec_b64 s[2:3], vcc
	s_cbranch_execz .LBB843_217
; %bb.212:
	s_movk_i32 s8, 0x80
	v_cmp_ne_u16_e32 vcc, s8, v42
	v_mov_b32_e32 v43, 0xffff8000
	s_and_saveexec_b64 s[8:9], vcc
	s_cbranch_execz .LBB843_216
; %bb.213:
	s_movk_i32 s10, 0x7f
	v_and_b32_e32 v45, 0x7f, v42
	v_cmp_ne_u32_e32 vcc, s10, v45
	v_mov_b32_e32 v43, 0x7f80
	s_and_saveexec_b64 s[10:11], vcc
	s_cbranch_execz .LBB843_215
; %bb.214:
	v_and_b32_e32 v51, 7, v42
	v_ffbh_u32_e32 v43, v51
	v_min_u32_e32 v54, 32, v43
	v_subrev_u32_e32 v43, 28, v54
	v_lshlrev_b64 v[42:43], v43, v[42:43]
	v_lshrrev_b32_e32 v53, 3, v45
	v_sub_u32_e32 v43, 29, v54
	v_and_b32_e32 v42, 7, v42
	v_cmp_gt_u32_e32 vcc, 8, v45
	v_cndmask_b32_e32 v43, v53, v43, vcc
	v_cndmask_b32_e32 v42, v51, v42, vcc
	v_lshlrev_b32_e32 v45, 16, v30
	v_bfrev_b32_e32 v51, 60
	v_lshlrev_b32_e32 v42, 20, v42
	v_and_b32_e32 v45, 0x80000000, v45
	v_lshl_add_u32 v43, v43, 23, v51
	v_or3_b32 v42, v45, v43, v42
	v_lshrrev_b32_e32 v43, 16, v42
.LBB843_215:
	s_or_b64 exec, exec, s[10:11]
.LBB843_216:
	s_or_b64 exec, exec, s[8:9]
.LBB843_217:
	s_or_b64 exec, exec, s[2:3]
	s_movk_i32 s2, 0xff
	v_and_b32_sdwa v45, v30, s2 dst_sel:DWORD dst_unused:UNUSED_PAD src0_sel:WORD_1 src1_sel:DWORD
	v_lshrrev_b32_e32 v42, 16, v30
	v_cmp_ne_u16_e32 vcc, 0, v45
	s_and_saveexec_b64 s[2:3], vcc
	s_cbranch_execz .LBB843_223
; %bb.218:
	s_movk_i32 s8, 0x80
	v_cmp_ne_u16_e32 vcc, s8, v45
	v_mov_b32_e32 v44, 0xffff8000
	s_and_saveexec_b64 s[8:9], vcc
	s_cbranch_execz .LBB843_222
; %bb.219:
	v_bfe_u32 v45, v30, 16, 7
	s_movk_i32 s10, 0x7f
	v_cmp_ne_u32_e32 vcc, s10, v45
	v_mov_b32_e32 v44, 0x7f80
	s_and_saveexec_b64 s[10:11], vcc
	s_cbranch_execz .LBB843_221
; %bb.220:
	v_and_b32_e32 v44, 7, v42
	v_ffbh_u32_e32 v53, v44
	v_min_u32_e32 v53, 32, v53
	v_subrev_u32_e32 v54, 28, v53
	v_lshlrev_b64 v[54:55], v54, v[42:43]
	v_lshrrev_b32_e32 v51, 3, v45
	v_sub_u32_e32 v42, 29, v53
	v_and_b32_e32 v53, 7, v54
	v_cmp_gt_u32_e32 vcc, 8, v45
	v_mov_b32_e32 v45, 24
	v_cndmask_b32_e32 v42, v51, v42, vcc
	v_cndmask_b32_e32 v44, v44, v53, vcc
	v_lshlrev_b32_sdwa v45, v45, v30 dst_sel:DWORD dst_unused:UNUSED_PAD src0_sel:DWORD src1_sel:WORD_1
	v_bfrev_b32_e32 v51, 60
	v_lshlrev_b32_e32 v44, 20, v44
	v_and_b32_e32 v45, 0x80000000, v45
	v_lshl_add_u32 v42, v42, 23, v51
	v_or3_b32 v42, v45, v42, v44
	v_lshrrev_b32_e32 v44, 16, v42
.LBB843_221:
	s_or_b64 exec, exec, s[10:11]
.LBB843_222:
	s_or_b64 exec, exec, s[8:9]
.LBB843_223:
	s_or_b64 exec, exec, s[2:3]
	s_mov_b32 s2, 0xffffff
	v_cmp_lt_u32_e32 vcc, s2, v30
	v_mov_b32_e32 v45, 0
	v_mov_b32_e32 v53, 0
	s_and_saveexec_b64 s[2:3], vcc
	s_cbranch_execz .LBB843_229
; %bb.224:
	v_lshrrev_b32_e32 v42, 24, v30
	s_movk_i32 s8, 0x80
	v_cmp_ne_u32_e32 vcc, s8, v42
	v_mov_b32_e32 v53, 0xffff8000
	s_and_saveexec_b64 s[8:9], vcc
	s_cbranch_execz .LBB843_228
; %bb.225:
	v_bfe_u32 v30, v30, 24, 7
	s_movk_i32 s10, 0x7f
	v_cmp_ne_u32_e32 vcc, s10, v30
	v_mov_b32_e32 v53, 0x7f80
	s_and_saveexec_b64 s[10:11], vcc
	s_cbranch_execz .LBB843_227
; %bb.226:
	v_and_b32_e32 v51, 7, v42
	v_ffbh_u32_e32 v54, v51
	v_min_u32_e32 v56, 32, v54
	v_subrev_u32_e32 v54, 28, v56
	v_lshlrev_b64 v[54:55], v54, v[42:43]
	v_lshrrev_b32_e32 v53, 3, v30
	v_sub_u32_e32 v55, 29, v56
	v_and_b32_e32 v54, 7, v54
	v_cmp_gt_u32_e32 vcc, 8, v30
	v_cndmask_b32_e32 v30, v53, v55, vcc
	v_cndmask_b32_e32 v51, v51, v54, vcc
	v_lshlrev_b32_e32 v42, 24, v42
	v_bfrev_b32_e32 v53, 60
	v_lshlrev_b32_e32 v51, 20, v51
	v_and_b32_e32 v42, 0x80000000, v42
	v_lshl_add_u32 v30, v30, 23, v53
	v_or3_b32 v30, v42, v30, v51
	v_lshrrev_b32_e32 v53, 16, v30
.LBB843_227:
	s_or_b64 exec, exec, s[10:11]
.LBB843_228:
	s_or_b64 exec, exec, s[8:9]
.LBB843_229:
	s_or_b64 exec, exec, s[2:3]
	v_cmp_ne_u16_sdwa s[8:9], v31, v45 src0_sel:BYTE_0 src1_sel:DWORD
	s_and_saveexec_b64 s[2:3], s[8:9]
	s_cbranch_execz .LBB843_235
; %bb.230:
	s_movk_i32 s8, 0x80
	v_cmp_ne_u16_sdwa s[10:11], v31, s8 src0_sel:BYTE_0 src1_sel:DWORD
	v_mov_b32_e32 v45, 0xffff8000
	s_and_saveexec_b64 s[8:9], s[10:11]
	s_cbranch_execz .LBB843_234
; %bb.231:
	s_movk_i32 s10, 0x7f
	v_and_b32_e32 v30, 0x7f, v31
	v_cmp_ne_u32_e32 vcc, s10, v30
	v_mov_b32_e32 v45, 0x7f80
	s_and_saveexec_b64 s[10:11], vcc
	s_cbranch_execz .LBB843_233
; %bb.232:
	v_and_b32_e32 v45, 7, v31
	v_ffbh_u32_e32 v54, v45
	v_min_u32_e32 v56, 32, v54
	v_mov_b32_e32 v42, v31
	v_subrev_u32_e32 v54, 28, v56
	v_lshlrev_b64 v[54:55], v54, v[42:43]
	v_lshrrev_b32_e32 v51, 3, v30
	v_sub_u32_e32 v42, 29, v56
	v_and_b32_e32 v54, 7, v54
	v_cmp_gt_u32_e32 vcc, 8, v30
	v_cndmask_b32_e32 v30, v51, v42, vcc
	v_cndmask_b32_e32 v42, v45, v54, vcc
	v_lshlrev_b32_e32 v45, 24, v31
	v_bfrev_b32_e32 v51, 60
	v_lshlrev_b32_e32 v42, 20, v42
	v_and_b32_e32 v45, 0x80000000, v45
	v_lshl_add_u32 v30, v30, 23, v51
	v_or3_b32 v30, v45, v30, v42
	v_lshrrev_b32_e32 v45, 16, v30
.LBB843_233:
	s_or_b64 exec, exec, s[10:11]
.LBB843_234:
	s_or_b64 exec, exec, s[8:9]
.LBB843_235:
	s_or_b64 exec, exec, s[2:3]
	v_lshrrev_b16_e32 v30, 8, v31
	v_cmp_ne_u16_e32 vcc, 0, v30
	v_mov_b32_e32 v54, 0
	v_mov_b32_e32 v42, 0
	s_and_saveexec_b64 s[2:3], vcc
	s_cbranch_execz .LBB843_241
; %bb.236:
	s_movk_i32 s8, 0x80
	v_cmp_ne_u16_e32 vcc, s8, v30
	v_mov_b32_e32 v42, 0xffff8000
	s_and_saveexec_b64 s[8:9], vcc
	s_cbranch_execz .LBB843_240
; %bb.237:
	s_movk_i32 s10, 0x7f
	v_and_b32_e32 v51, 0x7f, v30
	v_cmp_ne_u32_e32 vcc, s10, v51
	v_mov_b32_e32 v42, 0x7f80
	s_and_saveexec_b64 s[10:11], vcc
	s_cbranch_execz .LBB843_239
; %bb.238:
	v_and_b32_e32 v42, 7, v30
	v_ffbh_u32_e32 v56, v42
	v_min_u32_e32 v58, 32, v56
	v_subrev_u32_e32 v56, 28, v58
	v_lshlrev_b64 v[56:57], v56, v[30:31]
	v_lshrrev_b32_e32 v55, 3, v51
	v_sub_u32_e32 v30, 29, v58
	v_and_b32_e32 v56, 7, v56
	v_cmp_gt_u32_e32 vcc, 8, v51
	v_cndmask_b32_e32 v30, v55, v30, vcc
	v_cndmask_b32_e32 v42, v42, v56, vcc
	v_lshlrev_b32_e32 v51, 16, v31
	v_bfrev_b32_e32 v55, 60
	v_lshlrev_b32_e32 v42, 20, v42
	v_and_b32_e32 v51, 0x80000000, v51
	v_lshl_add_u32 v30, v30, 23, v55
	v_or3_b32 v30, v51, v30, v42
	v_lshrrev_b32_e32 v42, 16, v30
.LBB843_239:
	s_or_b64 exec, exec, s[10:11]
.LBB843_240:
	s_or_b64 exec, exec, s[8:9]
.LBB843_241:
	s_or_b64 exec, exec, s[2:3]
	s_movk_i32 s2, 0xff
	v_and_b32_sdwa v51, v31, s2 dst_sel:DWORD dst_unused:UNUSED_PAD src0_sel:WORD_1 src1_sel:DWORD
	v_lshrrev_b32_e32 v30, 16, v31
	v_cmp_ne_u16_e32 vcc, 0, v51
	s_and_saveexec_b64 s[2:3], vcc
	s_cbranch_execz .LBB843_247
; %bb.242:
	s_movk_i32 s8, 0x80
	v_cmp_ne_u16_e32 vcc, s8, v51
	v_mov_b32_e32 v54, 0xffff8000
	s_and_saveexec_b64 s[8:9], vcc
	s_cbranch_execz .LBB843_246
; %bb.243:
	v_bfe_u32 v51, v31, 16, 7
	s_movk_i32 s10, 0x7f
	v_cmp_ne_u32_e32 vcc, s10, v51
	v_mov_b32_e32 v54, 0x7f80
	s_and_saveexec_b64 s[10:11], vcc
	s_cbranch_execz .LBB843_245
; %bb.244:
	v_and_b32_e32 v56, 7, v30
	v_ffbh_u32_e32 v54, v56
	v_min_u32_e32 v58, 32, v54
	v_subrev_u32_e32 v54, 28, v58
	v_lshlrev_b64 v[54:55], v54, v[30:31]
	v_and_b32_e32 v54, 7, v54
	v_cmp_gt_u32_e32 vcc, 8, v51
	v_lshrrev_b32_e32 v57, 3, v51
	v_sub_u32_e32 v30, 29, v58
	v_cndmask_b32_e32 v51, v56, v54, vcc
	v_mov_b32_e32 v54, 24
	v_cndmask_b32_e32 v30, v57, v30, vcc
	v_lshlrev_b32_sdwa v54, v54, v31 dst_sel:DWORD dst_unused:UNUSED_PAD src0_sel:DWORD src1_sel:WORD_1
	v_bfrev_b32_e32 v55, 60
	v_lshlrev_b32_e32 v51, 20, v51
	v_and_b32_e32 v54, 0x80000000, v54
	v_lshl_add_u32 v30, v30, 23, v55
	v_or3_b32 v30, v54, v30, v51
	v_lshrrev_b32_e32 v54, 16, v30
.LBB843_245:
	s_or_b64 exec, exec, s[10:11]
.LBB843_246:
	s_or_b64 exec, exec, s[8:9]
.LBB843_247:
	s_or_b64 exec, exec, s[2:3]
	s_mov_b32 s2, 0xffffff
	v_cmp_lt_u32_e32 vcc, s2, v31
	v_mov_b32_e32 v51, 0
	v_mov_b32_e32 v55, 0
	s_and_saveexec_b64 s[2:3], vcc
	s_cbranch_execz .LBB843_253
; %bb.248:
	v_lshrrev_b32_e32 v30, 24, v31
	s_movk_i32 s8, 0x80
	v_cmp_ne_u32_e32 vcc, s8, v30
	v_mov_b32_e32 v55, 0xffff8000
	s_and_saveexec_b64 s[8:9], vcc
	s_cbranch_execz .LBB843_252
; %bb.249:
	v_bfe_u32 v31, v31, 24, 7
	s_movk_i32 s10, 0x7f
	v_cmp_ne_u32_e32 vcc, s10, v31
	v_mov_b32_e32 v55, 0x7f80
	s_and_saveexec_b64 s[10:11], vcc
	s_cbranch_execz .LBB843_251
; %bb.250:
	v_and_b32_e32 v55, 7, v30
	v_ffbh_u32_e32 v56, v55
	v_min_u32_e32 v59, 32, v56
	v_subrev_u32_e32 v56, 28, v59
	v_lshlrev_b64 v[56:57], v56, v[30:31]
	v_lshrrev_b32_e32 v58, 3, v31
	v_sub_u32_e32 v57, 29, v59
	v_and_b32_e32 v56, 7, v56
	v_cmp_gt_u32_e32 vcc, 8, v31
	v_cndmask_b32_e32 v31, v58, v57, vcc
	v_cndmask_b32_e32 v55, v55, v56, vcc
	v_lshlrev_b32_e32 v30, 24, v30
	v_bfrev_b32_e32 v56, 60
	v_lshlrev_b32_e32 v55, 20, v55
	v_and_b32_e32 v30, 0x80000000, v30
	v_lshl_add_u32 v31, v31, 23, v56
	v_or3_b32 v30, v30, v31, v55
	v_lshrrev_b32_e32 v55, 16, v30
.LBB843_251:
	s_or_b64 exec, exec, s[10:11]
.LBB843_252:
	s_or_b64 exec, exec, s[8:9]
.LBB843_253:
	s_or_b64 exec, exec, s[2:3]
	s_mov_b32 s2, 0x5040100
	v_perm_b32 v31, v53, v44, s2
	v_perm_b32 v30, v43, v52, s2
	v_cmp_ne_u16_sdwa s[8:9], v32, v51 src0_sel:BYTE_0 src1_sel:DWORD
	s_nop 0
	v_mfma_f32_16x16x16bf16_1k v[56:59], v[30:31], v[26:27], 0
	v_perm_b32 v31, v55, v54, s2
	v_perm_b32 v30, v42, v45, s2
	s_nop 1
	v_mfma_f32_16x16x16bf16_1k v[42:45], v[30:31], v[28:29], v[56:59]
	s_and_saveexec_b64 s[2:3], s[8:9]
	s_cbranch_execz .LBB843_259
; %bb.254:
	s_movk_i32 s8, 0x80
	v_cmp_ne_u16_sdwa s[10:11], v32, s8 src0_sel:BYTE_0 src1_sel:DWORD
	v_mov_b32_e32 v51, 0xffff8000
	s_and_saveexec_b64 s[8:9], s[10:11]
	s_cbranch_execz .LBB843_258
; %bb.255:
	s_movk_i32 s10, 0x7f
	v_and_b32_e32 v30, 0x7f, v32
	v_cmp_ne_u32_e32 vcc, s10, v30
	v_mov_b32_e32 v51, 0x7f80
	s_and_saveexec_b64 s[10:11], vcc
	s_cbranch_execz .LBB843_257
; %bb.256:
	v_and_b32_e32 v31, 7, v32
	v_ffbh_u32_e32 v52, v31
	v_min_u32_e32 v54, 32, v52
	v_subrev_u32_e32 v52, 28, v54
	v_lshlrev_b64 v[52:53], v52, v[32:33]
	v_lshrrev_b32_e32 v51, 3, v30
	v_sub_u32_e32 v53, 29, v54
	v_and_b32_e32 v52, 7, v52
	v_cmp_gt_u32_e32 vcc, 8, v30
	v_cndmask_b32_e32 v30, v51, v53, vcc
	v_cndmask_b32_e32 v31, v31, v52, vcc
	v_lshlrev_b32_e32 v51, 24, v32
	v_bfrev_b32_e32 v52, 60
	v_lshlrev_b32_e32 v31, 20, v31
	v_and_b32_e32 v51, 0x80000000, v51
	v_lshl_add_u32 v30, v30, 23, v52
	v_or3_b32 v30, v51, v30, v31
	v_lshrrev_b32_e32 v51, 16, v30
.LBB843_257:
	s_or_b64 exec, exec, s[10:11]
.LBB843_258:
	s_or_b64 exec, exec, s[8:9]
.LBB843_259:
	s_or_b64 exec, exec, s[2:3]
	v_lshrrev_b16_e32 v30, 8, v32
	v_cmp_ne_u16_e32 vcc, 0, v30
	v_mov_b32_e32 v53, 0
	v_mov_b32_e32 v31, 0
	s_and_saveexec_b64 s[2:3], vcc
	s_cbranch_execz .LBB843_265
; %bb.260:
	s_movk_i32 s8, 0x80
	v_cmp_ne_u16_e32 vcc, s8, v30
	v_mov_b32_e32 v31, 0xffff8000
	s_and_saveexec_b64 s[8:9], vcc
	s_cbranch_execz .LBB843_264
; %bb.261:
	s_movk_i32 s10, 0x7f
	v_and_b32_e32 v52, 0x7f, v30
	v_cmp_ne_u32_e32 vcc, s10, v52
	v_mov_b32_e32 v31, 0x7f80
	s_and_saveexec_b64 s[10:11], vcc
	s_cbranch_execz .LBB843_263
; %bb.262:
	v_and_b32_e32 v54, 7, v30
	v_ffbh_u32_e32 v31, v54
	v_min_u32_e32 v56, 32, v31
	v_subrev_u32_e32 v31, 28, v56
	v_lshlrev_b64 v[30:31], v31, v[30:31]
	v_lshrrev_b32_e32 v55, 3, v52
	v_sub_u32_e32 v31, 29, v56
	v_and_b32_e32 v30, 7, v30
	v_cmp_gt_u32_e32 vcc, 8, v52
	v_cndmask_b32_e32 v31, v55, v31, vcc
	v_cndmask_b32_e32 v30, v54, v30, vcc
	v_lshlrev_b32_e32 v52, 16, v32
	v_bfrev_b32_e32 v54, 60
	v_lshlrev_b32_e32 v30, 20, v30
	v_and_b32_e32 v52, 0x80000000, v52
	v_lshl_add_u32 v31, v31, 23, v54
	v_or3_b32 v30, v52, v31, v30
	v_lshrrev_b32_e32 v31, 16, v30
.LBB843_263:
	s_or_b64 exec, exec, s[10:11]
.LBB843_264:
	s_or_b64 exec, exec, s[8:9]
.LBB843_265:
	s_or_b64 exec, exec, s[2:3]
	s_movk_i32 s2, 0xff
	v_and_b32_sdwa v52, v32, s2 dst_sel:DWORD dst_unused:UNUSED_PAD src0_sel:WORD_1 src1_sel:DWORD
	v_lshrrev_b32_e32 v30, 16, v32
	v_cmp_ne_u16_e32 vcc, 0, v52
	s_and_saveexec_b64 s[2:3], vcc
	s_cbranch_execz .LBB843_271
; %bb.266:
	s_movk_i32 s8, 0x80
	v_cmp_ne_u16_e32 vcc, s8, v52
	v_mov_b32_e32 v53, 0xffff8000
	s_and_saveexec_b64 s[8:9], vcc
	s_cbranch_execz .LBB843_270
; %bb.267:
	v_bfe_u32 v52, v32, 16, 7
	s_movk_i32 s10, 0x7f
	v_cmp_ne_u32_e32 vcc, s10, v52
	v_mov_b32_e32 v53, 0x7f80
	s_and_saveexec_b64 s[10:11], vcc
	s_cbranch_execz .LBB843_269
; %bb.268:
	v_and_b32_e32 v53, 7, v30
	v_ffbh_u32_e32 v54, v53
	v_min_u32_e32 v57, 32, v54
	v_subrev_u32_e32 v54, 28, v57
	v_lshlrev_b64 v[54:55], v54, v[30:31]
	v_and_b32_e32 v54, 7, v54
	v_cmp_gt_u32_e32 vcc, 8, v52
	v_lshrrev_b32_e32 v56, 3, v52
	v_sub_u32_e32 v30, 29, v57
	v_cndmask_b32_e32 v52, v53, v54, vcc
	v_mov_b32_e32 v53, 24
	v_cndmask_b32_e32 v30, v56, v30, vcc
	v_lshlrev_b32_sdwa v53, v53, v32 dst_sel:DWORD dst_unused:UNUSED_PAD src0_sel:DWORD src1_sel:WORD_1
	v_bfrev_b32_e32 v54, 60
	v_lshlrev_b32_e32 v52, 20, v52
	v_and_b32_e32 v53, 0x80000000, v53
	v_lshl_add_u32 v30, v30, 23, v54
	v_or3_b32 v30, v53, v30, v52
	v_lshrrev_b32_e32 v53, 16, v30
.LBB843_269:
	s_or_b64 exec, exec, s[10:11]
.LBB843_270:
	s_or_b64 exec, exec, s[8:9]
.LBB843_271:
	s_or_b64 exec, exec, s[2:3]
	s_mov_b32 s2, 0xffffff
	v_cmp_lt_u32_e32 vcc, s2, v32
	v_mov_b32_e32 v54, 0
	v_mov_b32_e32 v55, 0
	s_and_saveexec_b64 s[2:3], vcc
	s_cbranch_execz .LBB843_277
; %bb.272:
	v_lshrrev_b32_e32 v30, 24, v32
	s_movk_i32 s8, 0x80
	v_cmp_ne_u32_e32 vcc, s8, v30
	v_mov_b32_e32 v55, 0xffff8000
	s_and_saveexec_b64 s[8:9], vcc
	s_cbranch_execz .LBB843_276
; %bb.273:
	v_bfe_u32 v32, v32, 24, 7
	s_movk_i32 s10, 0x7f
	v_cmp_ne_u32_e32 vcc, s10, v32
	v_mov_b32_e32 v55, 0x7f80
	s_and_saveexec_b64 s[10:11], vcc
	s_cbranch_execz .LBB843_275
; %bb.274:
	v_and_b32_e32 v52, 7, v30
	v_ffbh_u32_e32 v56, v52
	v_min_u32_e32 v58, 32, v56
	v_subrev_u32_e32 v56, 28, v58
	v_lshlrev_b64 v[56:57], v56, v[30:31]
	v_lshrrev_b32_e32 v55, 3, v32
	v_sub_u32_e32 v57, 29, v58
	v_and_b32_e32 v56, 7, v56
	v_cmp_gt_u32_e32 vcc, 8, v32
	v_cndmask_b32_e32 v32, v55, v57, vcc
	v_cndmask_b32_e32 v52, v52, v56, vcc
	v_lshlrev_b32_e32 v30, 24, v30
	v_bfrev_b32_e32 v55, 60
	v_lshlrev_b32_e32 v52, 20, v52
	v_and_b32_e32 v30, 0x80000000, v30
	v_lshl_add_u32 v32, v32, 23, v55
	v_or3_b32 v30, v30, v32, v52
	v_lshrrev_b32_e32 v55, 16, v30
.LBB843_275:
	s_or_b64 exec, exec, s[10:11]
.LBB843_276:
	s_or_b64 exec, exec, s[8:9]
.LBB843_277:
	s_or_b64 exec, exec, s[2:3]
	v_cmp_ne_u16_sdwa s[8:9], v33, v54 src0_sel:BYTE_0 src1_sel:DWORD
	s_and_saveexec_b64 s[2:3], s[8:9]
	s_cbranch_execz .LBB843_283
; %bb.278:
	s_movk_i32 s8, 0x80
	v_cmp_ne_u16_sdwa s[10:11], v33, s8 src0_sel:BYTE_0 src1_sel:DWORD
	v_mov_b32_e32 v54, 0xffff8000
	s_and_saveexec_b64 s[8:9], s[10:11]
	s_cbranch_execz .LBB843_282
; %bb.279:
	s_movk_i32 s10, 0x7f
	v_and_b32_e32 v30, 0x7f, v33
	v_cmp_ne_u32_e32 vcc, s10, v30
	v_mov_b32_e32 v54, 0x7f80
	s_and_saveexec_b64 s[10:11], vcc
	s_cbranch_execz .LBB843_281
; %bb.280:
	v_and_b32_e32 v52, 7, v33
	v_ffbh_u32_e32 v56, v52
	v_min_u32_e32 v58, 32, v56
	v_mov_b32_e32 v32, v33
	v_subrev_u32_e32 v56, 28, v58
	v_lshlrev_b64 v[56:57], v56, v[32:33]
	v_lshrrev_b32_e32 v54, 3, v30
	v_sub_u32_e32 v32, 29, v58
	v_and_b32_e32 v56, 7, v56
	v_cmp_gt_u32_e32 vcc, 8, v30
	v_cndmask_b32_e32 v30, v54, v32, vcc
	v_cndmask_b32_e32 v32, v52, v56, vcc
	v_lshlrev_b32_e32 v52, 24, v33
	v_bfrev_b32_e32 v54, 60
	v_lshlrev_b32_e32 v32, 20, v32
	v_and_b32_e32 v52, 0x80000000, v52
	v_lshl_add_u32 v30, v30, 23, v54
	v_or3_b32 v30, v52, v30, v32
	v_lshrrev_b32_e32 v54, 16, v30
.LBB843_281:
	s_or_b64 exec, exec, s[10:11]
.LBB843_282:
	s_or_b64 exec, exec, s[8:9]
.LBB843_283:
	s_or_b64 exec, exec, s[2:3]
	v_lshrrev_b16_e32 v30, 8, v33
	v_cmp_ne_u16_e32 vcc, 0, v30
	v_mov_b32_e32 v56, 0
	v_mov_b32_e32 v32, 0
	s_and_saveexec_b64 s[2:3], vcc
	s_cbranch_execz .LBB843_289
; %bb.284:
	s_movk_i32 s8, 0x80
	v_cmp_ne_u16_e32 vcc, s8, v30
	v_mov_b32_e32 v32, 0xffff8000
	s_and_saveexec_b64 s[8:9], vcc
	s_cbranch_execz .LBB843_288
; %bb.285:
	s_movk_i32 s10, 0x7f
	v_and_b32_e32 v52, 0x7f, v30
	v_cmp_ne_u32_e32 vcc, s10, v52
	v_mov_b32_e32 v32, 0x7f80
	s_and_saveexec_b64 s[10:11], vcc
	s_cbranch_execz .LBB843_287
; %bb.286:
	v_and_b32_e32 v32, 7, v30
	v_ffbh_u32_e32 v58, v32
	v_min_u32_e32 v60, 32, v58
	v_subrev_u32_e32 v58, 28, v60
	v_lshlrev_b64 v[58:59], v58, v[30:31]
	v_lshrrev_b32_e32 v57, 3, v52
	v_sub_u32_e32 v30, 29, v60
	v_and_b32_e32 v58, 7, v58
	v_cmp_gt_u32_e32 vcc, 8, v52
	v_cndmask_b32_e32 v30, v57, v30, vcc
	v_cndmask_b32_e32 v32, v32, v58, vcc
	v_lshlrev_b32_e32 v52, 16, v33
	v_bfrev_b32_e32 v57, 60
	v_lshlrev_b32_e32 v32, 20, v32
	v_and_b32_e32 v52, 0x80000000, v52
	v_lshl_add_u32 v30, v30, 23, v57
	v_or3_b32 v30, v52, v30, v32
	v_lshrrev_b32_e32 v32, 16, v30
.LBB843_287:
	s_or_b64 exec, exec, s[10:11]
.LBB843_288:
	s_or_b64 exec, exec, s[8:9]
.LBB843_289:
	s_or_b64 exec, exec, s[2:3]
	s_movk_i32 s2, 0xff
	v_and_b32_sdwa v52, v33, s2 dst_sel:DWORD dst_unused:UNUSED_PAD src0_sel:WORD_1 src1_sel:DWORD
	v_lshrrev_b32_e32 v30, 16, v33
	v_cmp_ne_u16_e32 vcc, 0, v52
	s_and_saveexec_b64 s[2:3], vcc
	s_cbranch_execz .LBB843_295
; %bb.290:
	s_movk_i32 s8, 0x80
	v_cmp_ne_u16_e32 vcc, s8, v52
	v_mov_b32_e32 v56, 0xffff8000
	s_and_saveexec_b64 s[8:9], vcc
	s_cbranch_execz .LBB843_294
; %bb.291:
	v_bfe_u32 v52, v33, 16, 7
	s_movk_i32 s10, 0x7f
	v_cmp_ne_u32_e32 vcc, s10, v52
	v_mov_b32_e32 v56, 0x7f80
	s_and_saveexec_b64 s[10:11], vcc
	s_cbranch_execz .LBB843_293
; %bb.292:
	v_and_b32_e32 v58, 7, v30
	v_ffbh_u32_e32 v56, v58
	v_min_u32_e32 v60, 32, v56
	v_subrev_u32_e32 v56, 28, v60
	v_lshlrev_b64 v[56:57], v56, v[30:31]
	v_and_b32_e32 v56, 7, v56
	v_cmp_gt_u32_e32 vcc, 8, v52
	v_lshrrev_b32_e32 v59, 3, v52
	v_sub_u32_e32 v30, 29, v60
	v_cndmask_b32_e32 v52, v58, v56, vcc
	v_mov_b32_e32 v56, 24
	v_cndmask_b32_e32 v30, v59, v30, vcc
	v_lshlrev_b32_sdwa v56, v56, v33 dst_sel:DWORD dst_unused:UNUSED_PAD src0_sel:DWORD src1_sel:WORD_1
	v_bfrev_b32_e32 v57, 60
	v_lshlrev_b32_e32 v52, 20, v52
	v_and_b32_e32 v56, 0x80000000, v56
	v_lshl_add_u32 v30, v30, 23, v57
	v_or3_b32 v30, v56, v30, v52
	v_lshrrev_b32_e32 v56, 16, v30
.LBB843_293:
	s_or_b64 exec, exec, s[10:11]
.LBB843_294:
	s_or_b64 exec, exec, s[8:9]
.LBB843_295:
	s_or_b64 exec, exec, s[2:3]
	s_mov_b32 s2, 0xffffff
	v_cmp_lt_u32_e32 vcc, s2, v33
	v_mov_b32_e32 v52, 0
	v_mov_b32_e32 v57, 0
	s_and_saveexec_b64 s[2:3], vcc
	s_cbranch_execz .LBB843_301
; %bb.296:
	v_lshrrev_b32_e32 v30, 24, v33
	s_movk_i32 s8, 0x80
	v_cmp_ne_u32_e32 vcc, s8, v30
	v_mov_b32_e32 v57, 0xffff8000
	s_and_saveexec_b64 s[8:9], vcc
	s_cbranch_execz .LBB843_300
; %bb.297:
	v_bfe_u32 v33, v33, 24, 7
	s_movk_i32 s10, 0x7f
	v_cmp_ne_u32_e32 vcc, s10, v33
	v_mov_b32_e32 v57, 0x7f80
	s_and_saveexec_b64 s[10:11], vcc
	s_cbranch_execz .LBB843_299
; %bb.298:
	v_and_b32_e32 v57, 7, v30
	v_ffbh_u32_e32 v58, v57
	v_min_u32_e32 v61, 32, v58
	v_subrev_u32_e32 v58, 28, v61
	v_lshlrev_b64 v[58:59], v58, v[30:31]
	v_lshrrev_b32_e32 v60, 3, v33
	v_sub_u32_e32 v59, 29, v61
	v_and_b32_e32 v58, 7, v58
	v_cmp_gt_u32_e32 vcc, 8, v33
	v_cndmask_b32_e32 v33, v60, v59, vcc
	v_cndmask_b32_e32 v57, v57, v58, vcc
	v_lshlrev_b32_e32 v30, 24, v30
	v_bfrev_b32_e32 v58, 60
	v_lshlrev_b32_e32 v57, 20, v57
	v_and_b32_e32 v30, 0x80000000, v30
	v_lshl_add_u32 v33, v33, 23, v58
	v_or3_b32 v30, v30, v33, v57
	v_lshrrev_b32_e32 v57, 16, v30
.LBB843_299:
	s_or_b64 exec, exec, s[10:11]
.LBB843_300:
	s_or_b64 exec, exec, s[8:9]
.LBB843_301:
	s_or_b64 exec, exec, s[2:3]
	s_mov_b32 s2, 0x5040100
	v_perm_b32 v59, v55, v53, s2
	v_perm_b32 v58, v31, v51, s2
	;; [unrolled: 1-line block ×4, first 2 shown]
	v_cmp_ne_u16_sdwa s[8:9], v22, v52 src0_sel:BYTE_0 src1_sel:DWORD
	v_mfma_f32_16x16x16bf16_1k v[42:45], v[58:59], v[18:19], v[42:45]
	v_mfma_f32_16x16x16bf16_1k v[30:33], v[30:31], v[20:21], v[42:45]
	s_and_saveexec_b64 s[2:3], s[8:9]
	s_cbranch_execz .LBB843_307
; %bb.302:
	s_movk_i32 s8, 0x80
	v_cmp_ne_u16_sdwa s[10:11], v22, s8 src0_sel:BYTE_0 src1_sel:DWORD
	v_mov_b32_e32 v52, 0xffff8000
	s_and_saveexec_b64 s[8:9], s[10:11]
	s_cbranch_execz .LBB843_306
; %bb.303:
	s_movk_i32 s10, 0x7f
	s_nop 1
	v_and_b32_e32 v42, 0x7f, v22
	v_cmp_ne_u32_e32 vcc, s10, v42
	v_mov_b32_e32 v52, 0x7f80
	s_and_saveexec_b64 s[10:11], vcc
	s_cbranch_execz .LBB843_305
; %bb.304:
	v_and_b32_e32 v43, 7, v22
	v_ffbh_u32_e32 v44, v43
	v_min_u32_e32 v52, 32, v44
	v_subrev_u32_e32 v44, 28, v52
	v_lshlrev_b64 v[44:45], v44, v[22:23]
	v_lshrrev_b32_e32 v51, 3, v42
	v_sub_u32_e32 v45, 29, v52
	v_and_b32_e32 v44, 7, v44
	v_cmp_gt_u32_e32 vcc, 8, v42
	v_cndmask_b32_e32 v42, v51, v45, vcc
	v_cndmask_b32_e32 v43, v43, v44, vcc
	v_lshlrev_b32_e32 v44, 24, v22
	v_bfrev_b32_e32 v45, 60
	v_lshlrev_b32_e32 v43, 20, v43
	v_and_b32_e32 v44, 0x80000000, v44
	v_lshl_add_u32 v42, v42, 23, v45
	v_or3_b32 v42, v44, v42, v43
	v_lshrrev_b32_e32 v52, 16, v42
.LBB843_305:
	s_or_b64 exec, exec, s[10:11]
.LBB843_306:
	s_or_b64 exec, exec, s[8:9]
.LBB843_307:
	s_or_b64 exec, exec, s[2:3]
	s_nop 6
	v_lshrrev_b16_e32 v42, 8, v22
	v_cmp_ne_u16_e32 vcc, 0, v42
	v_mov_b32_e32 v44, 0
	v_mov_b32_e32 v43, 0
	s_and_saveexec_b64 s[2:3], vcc
	s_cbranch_execz .LBB843_313
; %bb.308:
	s_movk_i32 s8, 0x80
	v_cmp_ne_u16_e32 vcc, s8, v42
	v_mov_b32_e32 v43, 0xffff8000
	s_and_saveexec_b64 s[8:9], vcc
	s_cbranch_execz .LBB843_312
; %bb.309:
	s_movk_i32 s10, 0x7f
	v_and_b32_e32 v45, 0x7f, v42
	v_cmp_ne_u32_e32 vcc, s10, v45
	v_mov_b32_e32 v43, 0x7f80
	s_and_saveexec_b64 s[10:11], vcc
	s_cbranch_execz .LBB843_311
; %bb.310:
	v_and_b32_e32 v51, 7, v42
	v_ffbh_u32_e32 v43, v51
	v_min_u32_e32 v54, 32, v43
	v_subrev_u32_e32 v43, 28, v54
	v_lshlrev_b64 v[42:43], v43, v[42:43]
	v_lshrrev_b32_e32 v53, 3, v45
	v_sub_u32_e32 v43, 29, v54
	v_and_b32_e32 v42, 7, v42
	v_cmp_gt_u32_e32 vcc, 8, v45
	v_cndmask_b32_e32 v43, v53, v43, vcc
	v_cndmask_b32_e32 v42, v51, v42, vcc
	v_lshlrev_b32_e32 v45, 16, v22
	v_bfrev_b32_e32 v51, 60
	v_lshlrev_b32_e32 v42, 20, v42
	v_and_b32_e32 v45, 0x80000000, v45
	v_lshl_add_u32 v43, v43, 23, v51
	v_or3_b32 v42, v45, v43, v42
	v_lshrrev_b32_e32 v43, 16, v42
.LBB843_311:
	s_or_b64 exec, exec, s[10:11]
.LBB843_312:
	s_or_b64 exec, exec, s[8:9]
.LBB843_313:
	s_or_b64 exec, exec, s[2:3]
	s_movk_i32 s2, 0xff
	v_and_b32_sdwa v45, v22, s2 dst_sel:DWORD dst_unused:UNUSED_PAD src0_sel:WORD_1 src1_sel:DWORD
	v_lshrrev_b32_e32 v42, 16, v22
	v_cmp_ne_u16_e32 vcc, 0, v45
	s_and_saveexec_b64 s[2:3], vcc
	s_cbranch_execz .LBB843_319
; %bb.314:
	s_movk_i32 s8, 0x80
	v_cmp_ne_u16_e32 vcc, s8, v45
	v_mov_b32_e32 v44, 0xffff8000
	s_and_saveexec_b64 s[8:9], vcc
	s_cbranch_execz .LBB843_318
; %bb.315:
	v_bfe_u32 v45, v22, 16, 7
	s_movk_i32 s10, 0x7f
	v_cmp_ne_u32_e32 vcc, s10, v45
	v_mov_b32_e32 v44, 0x7f80
	s_and_saveexec_b64 s[10:11], vcc
	s_cbranch_execz .LBB843_317
; %bb.316:
	v_and_b32_e32 v44, 7, v42
	v_ffbh_u32_e32 v53, v44
	v_min_u32_e32 v53, 32, v53
	v_subrev_u32_e32 v54, 28, v53
	v_lshlrev_b64 v[54:55], v54, v[42:43]
	v_lshrrev_b32_e32 v51, 3, v45
	v_sub_u32_e32 v42, 29, v53
	v_and_b32_e32 v53, 7, v54
	v_cmp_gt_u32_e32 vcc, 8, v45
	v_mov_b32_e32 v45, 24
	v_cndmask_b32_e32 v42, v51, v42, vcc
	v_cndmask_b32_e32 v44, v44, v53, vcc
	v_lshlrev_b32_sdwa v45, v45, v22 dst_sel:DWORD dst_unused:UNUSED_PAD src0_sel:DWORD src1_sel:WORD_1
	v_bfrev_b32_e32 v51, 60
	v_lshlrev_b32_e32 v44, 20, v44
	v_and_b32_e32 v45, 0x80000000, v45
	v_lshl_add_u32 v42, v42, 23, v51
	v_or3_b32 v42, v45, v42, v44
	v_lshrrev_b32_e32 v44, 16, v42
.LBB843_317:
	s_or_b64 exec, exec, s[10:11]
.LBB843_318:
	s_or_b64 exec, exec, s[8:9]
.LBB843_319:
	s_or_b64 exec, exec, s[2:3]
	s_mov_b32 s2, 0xffffff
	v_cmp_lt_u32_e32 vcc, s2, v22
	v_mov_b32_e32 v45, 0
	v_mov_b32_e32 v51, 0
	s_and_saveexec_b64 s[2:3], vcc
	s_cbranch_execz .LBB843_325
; %bb.320:
	v_lshrrev_b32_e32 v42, 24, v22
	s_movk_i32 s8, 0x80
	v_cmp_ne_u32_e32 vcc, s8, v42
	v_mov_b32_e32 v51, 0xffff8000
	s_and_saveexec_b64 s[8:9], vcc
	s_cbranch_execz .LBB843_324
; %bb.321:
	v_bfe_u32 v22, v22, 24, 7
	s_movk_i32 s10, 0x7f
	v_cmp_ne_u32_e32 vcc, s10, v22
	v_mov_b32_e32 v51, 0x7f80
	s_and_saveexec_b64 s[10:11], vcc
	s_cbranch_execz .LBB843_323
; %bb.322:
	v_and_b32_e32 v51, 7, v42
	v_ffbh_u32_e32 v54, v51
	v_min_u32_e32 v56, 32, v54
	v_subrev_u32_e32 v54, 28, v56
	v_lshlrev_b64 v[54:55], v54, v[42:43]
	v_lshrrev_b32_e32 v53, 3, v22
	v_sub_u32_e32 v55, 29, v56
	v_and_b32_e32 v54, 7, v54
	v_cmp_gt_u32_e32 vcc, 8, v22
	v_cndmask_b32_e32 v22, v53, v55, vcc
	v_cndmask_b32_e32 v51, v51, v54, vcc
	v_lshlrev_b32_e32 v42, 24, v42
	v_bfrev_b32_e32 v53, 60
	v_lshlrev_b32_e32 v51, 20, v51
	v_and_b32_e32 v42, 0x80000000, v42
	v_lshl_add_u32 v22, v22, 23, v53
	v_or3_b32 v22, v42, v22, v51
	v_lshrrev_b32_e32 v51, 16, v22
.LBB843_323:
	s_or_b64 exec, exec, s[10:11]
.LBB843_324:
	s_or_b64 exec, exec, s[8:9]
.LBB843_325:
	s_or_b64 exec, exec, s[2:3]
	v_cmp_ne_u16_sdwa s[8:9], v23, v45 src0_sel:BYTE_0 src1_sel:DWORD
	s_and_saveexec_b64 s[2:3], s[8:9]
	s_cbranch_execz .LBB843_331
; %bb.326:
	s_movk_i32 s8, 0x80
	v_cmp_ne_u16_sdwa s[10:11], v23, s8 src0_sel:BYTE_0 src1_sel:DWORD
	v_mov_b32_e32 v45, 0xffff8000
	s_and_saveexec_b64 s[8:9], s[10:11]
	s_cbranch_execz .LBB843_330
; %bb.327:
	s_movk_i32 s10, 0x7f
	v_and_b32_e32 v22, 0x7f, v23
	v_cmp_ne_u32_e32 vcc, s10, v22
	v_mov_b32_e32 v45, 0x7f80
	s_and_saveexec_b64 s[10:11], vcc
	s_cbranch_execz .LBB843_329
; %bb.328:
	v_and_b32_e32 v45, 7, v23
	v_ffbh_u32_e32 v54, v45
	v_min_u32_e32 v56, 32, v54
	v_mov_b32_e32 v42, v23
	v_subrev_u32_e32 v54, 28, v56
	v_lshlrev_b64 v[54:55], v54, v[42:43]
	v_lshrrev_b32_e32 v53, 3, v22
	v_sub_u32_e32 v42, 29, v56
	v_and_b32_e32 v54, 7, v54
	v_cmp_gt_u32_e32 vcc, 8, v22
	v_cndmask_b32_e32 v22, v53, v42, vcc
	v_cndmask_b32_e32 v42, v45, v54, vcc
	v_lshlrev_b32_e32 v45, 24, v23
	v_bfrev_b32_e32 v53, 60
	v_lshlrev_b32_e32 v42, 20, v42
	v_and_b32_e32 v45, 0x80000000, v45
	v_lshl_add_u32 v22, v22, 23, v53
	v_or3_b32 v22, v45, v22, v42
	v_lshrrev_b32_e32 v45, 16, v22
.LBB843_329:
	s_or_b64 exec, exec, s[10:11]
.LBB843_330:
	s_or_b64 exec, exec, s[8:9]
.LBB843_331:
	s_or_b64 exec, exec, s[2:3]
	v_lshrrev_b16_e32 v22, 8, v23
	v_cmp_ne_u16_e32 vcc, 0, v22
	v_mov_b32_e32 v54, 0
	v_mov_b32_e32 v53, 0
	s_and_saveexec_b64 s[2:3], vcc
	s_cbranch_execz .LBB843_337
; %bb.332:
	s_movk_i32 s8, 0x80
	v_cmp_ne_u16_e32 vcc, s8, v22
	v_mov_b32_e32 v53, 0xffff8000
	s_and_saveexec_b64 s[8:9], vcc
	s_cbranch_execz .LBB843_336
; %bb.333:
	s_movk_i32 s10, 0x7f
	v_and_b32_e32 v42, 0x7f, v22
	v_cmp_ne_u32_e32 vcc, s10, v42
	v_mov_b32_e32 v53, 0x7f80
	s_and_saveexec_b64 s[10:11], vcc
	s_cbranch_execz .LBB843_335
; %bb.334:
	v_and_b32_e32 v53, 7, v22
	v_ffbh_u32_e32 v56, v53
	v_min_u32_e32 v58, 32, v56
	v_subrev_u32_e32 v56, 28, v58
	v_lshlrev_b64 v[56:57], v56, v[22:23]
	v_lshrrev_b32_e32 v55, 3, v42
	v_sub_u32_e32 v22, 29, v58
	v_and_b32_e32 v56, 7, v56
	v_cmp_gt_u32_e32 vcc, 8, v42
	v_cndmask_b32_e32 v22, v55, v22, vcc
	v_cndmask_b32_e32 v42, v53, v56, vcc
	v_lshlrev_b32_e32 v53, 16, v23
	v_bfrev_b32_e32 v55, 60
	v_lshlrev_b32_e32 v42, 20, v42
	v_and_b32_e32 v53, 0x80000000, v53
	v_lshl_add_u32 v22, v22, 23, v55
	v_or3_b32 v22, v53, v22, v42
	v_lshrrev_b32_e32 v53, 16, v22
.LBB843_335:
	s_or_b64 exec, exec, s[10:11]
.LBB843_336:
	s_or_b64 exec, exec, s[8:9]
.LBB843_337:
	s_or_b64 exec, exec, s[2:3]
	s_movk_i32 s2, 0xff
	v_and_b32_sdwa v42, v23, s2 dst_sel:DWORD dst_unused:UNUSED_PAD src0_sel:WORD_1 src1_sel:DWORD
	v_lshrrev_b32_e32 v22, 16, v23
	v_cmp_ne_u16_e32 vcc, 0, v42
	s_and_saveexec_b64 s[2:3], vcc
	s_cbranch_execz .LBB843_343
; %bb.338:
	s_movk_i32 s8, 0x80
	v_cmp_ne_u16_e32 vcc, s8, v42
	v_mov_b32_e32 v54, 0xffff8000
	s_and_saveexec_b64 s[8:9], vcc
	s_cbranch_execz .LBB843_342
; %bb.339:
	v_bfe_u32 v42, v23, 16, 7
	s_movk_i32 s10, 0x7f
	v_cmp_ne_u32_e32 vcc, s10, v42
	v_mov_b32_e32 v54, 0x7f80
	s_and_saveexec_b64 s[10:11], vcc
	s_cbranch_execz .LBB843_341
; %bb.340:
	v_and_b32_e32 v56, 7, v22
	v_ffbh_u32_e32 v54, v56
	v_min_u32_e32 v58, 32, v54
	v_subrev_u32_e32 v54, 28, v58
	v_lshlrev_b64 v[54:55], v54, v[22:23]
	v_and_b32_e32 v54, 7, v54
	v_cmp_gt_u32_e32 vcc, 8, v42
	v_lshrrev_b32_e32 v57, 3, v42
	v_sub_u32_e32 v22, 29, v58
	v_cndmask_b32_e32 v42, v56, v54, vcc
	v_mov_b32_e32 v54, 24
	v_cndmask_b32_e32 v22, v57, v22, vcc
	v_lshlrev_b32_sdwa v54, v54, v23 dst_sel:DWORD dst_unused:UNUSED_PAD src0_sel:DWORD src1_sel:WORD_1
	v_bfrev_b32_e32 v55, 60
	v_lshlrev_b32_e32 v42, 20, v42
	v_and_b32_e32 v54, 0x80000000, v54
	v_lshl_add_u32 v22, v22, 23, v55
	v_or3_b32 v22, v54, v22, v42
	v_lshrrev_b32_e32 v54, 16, v22
.LBB843_341:
	s_or_b64 exec, exec, s[10:11]
.LBB843_342:
	s_or_b64 exec, exec, s[8:9]
.LBB843_343:
	s_or_b64 exec, exec, s[2:3]
	s_mov_b32 s2, 0xffffff
	v_cmp_lt_u32_e32 vcc, s2, v23
	v_mov_b32_e32 v42, 0
	v_mov_b32_e32 v55, 0
	s_and_saveexec_b64 s[2:3], vcc
	s_cbranch_execz .LBB843_349
; %bb.344:
	v_lshrrev_b32_e32 v22, 24, v23
	s_movk_i32 s8, 0x80
	v_cmp_ne_u32_e32 vcc, s8, v22
	v_mov_b32_e32 v55, 0xffff8000
	s_and_saveexec_b64 s[8:9], vcc
	s_cbranch_execz .LBB843_348
; %bb.345:
	v_bfe_u32 v23, v23, 24, 7
	s_movk_i32 s10, 0x7f
	v_cmp_ne_u32_e32 vcc, s10, v23
	v_mov_b32_e32 v55, 0x7f80
	s_and_saveexec_b64 s[10:11], vcc
	s_cbranch_execz .LBB843_347
; %bb.346:
	v_and_b32_e32 v55, 7, v22
	v_ffbh_u32_e32 v56, v55
	v_min_u32_e32 v59, 32, v56
	v_subrev_u32_e32 v56, 28, v59
	v_lshlrev_b64 v[56:57], v56, v[22:23]
	v_lshrrev_b32_e32 v58, 3, v23
	v_sub_u32_e32 v57, 29, v59
	v_and_b32_e32 v56, 7, v56
	v_cmp_gt_u32_e32 vcc, 8, v23
	v_cndmask_b32_e32 v23, v58, v57, vcc
	v_cndmask_b32_e32 v55, v55, v56, vcc
	v_lshlrev_b32_e32 v22, 24, v22
	v_bfrev_b32_e32 v56, 60
	v_lshlrev_b32_e32 v55, 20, v55
	v_and_b32_e32 v22, 0x80000000, v22
	v_lshl_add_u32 v23, v23, 23, v56
	v_or3_b32 v22, v22, v23, v55
	v_lshrrev_b32_e32 v55, 16, v22
.LBB843_347:
	s_or_b64 exec, exec, s[10:11]
.LBB843_348:
	s_or_b64 exec, exec, s[8:9]
.LBB843_349:
	s_or_b64 exec, exec, s[2:3]
	s_mov_b32 s2, 0x5040100
	v_perm_b32 v23, v51, v44, s2
	v_perm_b32 v22, v43, v52, s2
	v_cmp_ne_u16_sdwa s[8:9], v24, v42 src0_sel:BYTE_0 src1_sel:DWORD
	s_nop 0
	v_mfma_f32_16x16x16bf16_1k v[56:59], v[22:23], v[26:27], 0
	v_perm_b32 v23, v55, v54, s2
	v_perm_b32 v22, v53, v45, s2
	s_nop 1
	v_mfma_f32_16x16x16bf16_1k v[26:29], v[22:23], v[28:29], v[56:59]
	s_and_saveexec_b64 s[2:3], s[8:9]
	s_cbranch_execz .LBB843_355
; %bb.350:
	s_movk_i32 s8, 0x80
	v_cmp_ne_u16_sdwa s[10:11], v24, s8 src0_sel:BYTE_0 src1_sel:DWORD
	v_mov_b32_e32 v42, 0xffff8000
	s_and_saveexec_b64 s[8:9], s[10:11]
	s_cbranch_execz .LBB843_354
; %bb.351:
	s_movk_i32 s10, 0x7f
	v_and_b32_e32 v22, 0x7f, v24
	v_cmp_ne_u32_e32 vcc, s10, v22
	v_mov_b32_e32 v42, 0x7f80
	s_and_saveexec_b64 s[10:11], vcc
	s_cbranch_execz .LBB843_353
; %bb.352:
	v_and_b32_e32 v23, 7, v24
	v_ffbh_u32_e32 v42, v23
	v_min_u32_e32 v45, 32, v42
	v_subrev_u32_e32 v42, 28, v45
	v_lshlrev_b64 v[42:43], v42, v[24:25]
	v_lshrrev_b32_e32 v44, 3, v22
	v_sub_u32_e32 v43, 29, v45
	v_and_b32_e32 v42, 7, v42
	v_cmp_gt_u32_e32 vcc, 8, v22
	v_cndmask_b32_e32 v22, v44, v43, vcc
	v_cndmask_b32_e32 v23, v23, v42, vcc
	v_lshlrev_b32_e32 v42, 24, v24
	v_bfrev_b32_e32 v43, 60
	v_lshlrev_b32_e32 v23, 20, v23
	v_and_b32_e32 v42, 0x80000000, v42
	v_lshl_add_u32 v22, v22, 23, v43
	v_or3_b32 v22, v42, v22, v23
	v_lshrrev_b32_e32 v42, 16, v22
.LBB843_353:
	s_or_b64 exec, exec, s[10:11]
.LBB843_354:
	s_or_b64 exec, exec, s[8:9]
.LBB843_355:
	s_or_b64 exec, exec, s[2:3]
	v_lshrrev_b16_e32 v22, 8, v24
	v_cmp_ne_u16_e32 vcc, 0, v22
	v_mov_b32_e32 v43, 0
	v_mov_b32_e32 v23, 0
	s_and_saveexec_b64 s[2:3], vcc
	s_cbranch_execz .LBB843_361
; %bb.356:
	s_movk_i32 s8, 0x80
	v_cmp_ne_u16_e32 vcc, s8, v22
	v_mov_b32_e32 v23, 0xffff8000
	s_and_saveexec_b64 s[8:9], vcc
	s_cbranch_execz .LBB843_360
; %bb.357:
	s_movk_i32 s10, 0x7f
	v_and_b32_e32 v44, 0x7f, v22
	v_cmp_ne_u32_e32 vcc, s10, v44
	v_mov_b32_e32 v23, 0x7f80
	s_and_saveexec_b64 s[10:11], vcc
	s_cbranch_execz .LBB843_359
; %bb.358:
	v_and_b32_e32 v45, 7, v22
	v_ffbh_u32_e32 v23, v45
	v_min_u32_e32 v52, 32, v23
	v_subrev_u32_e32 v23, 28, v52
	v_lshlrev_b64 v[22:23], v23, v[22:23]
	v_lshrrev_b32_e32 v51, 3, v44
	v_sub_u32_e32 v23, 29, v52
	v_and_b32_e32 v22, 7, v22
	v_cmp_gt_u32_e32 vcc, 8, v44
	v_cndmask_b32_e32 v23, v51, v23, vcc
	v_cndmask_b32_e32 v22, v45, v22, vcc
	v_lshlrev_b32_e32 v44, 16, v24
	v_bfrev_b32_e32 v45, 60
	v_lshlrev_b32_e32 v22, 20, v22
	v_and_b32_e32 v44, 0x80000000, v44
	v_lshl_add_u32 v23, v23, 23, v45
	v_or3_b32 v22, v44, v23, v22
	v_lshrrev_b32_e32 v23, 16, v22
.LBB843_359:
	s_or_b64 exec, exec, s[10:11]
.LBB843_360:
	s_or_b64 exec, exec, s[8:9]
.LBB843_361:
	s_or_b64 exec, exec, s[2:3]
	s_movk_i32 s2, 0xff
	v_and_b32_sdwa v44, v24, s2 dst_sel:DWORD dst_unused:UNUSED_PAD src0_sel:WORD_1 src1_sel:DWORD
	v_lshrrev_b32_e32 v22, 16, v24
	v_cmp_ne_u16_e32 vcc, 0, v44
	s_and_saveexec_b64 s[2:3], vcc
	s_cbranch_execz .LBB843_367
; %bb.362:
	s_movk_i32 s8, 0x80
	v_cmp_ne_u16_e32 vcc, s8, v44
	v_mov_b32_e32 v43, 0xffff8000
	s_and_saveexec_b64 s[8:9], vcc
	s_cbranch_execz .LBB843_366
; %bb.363:
	v_bfe_u32 v44, v24, 16, 7
	s_movk_i32 s10, 0x7f
	v_cmp_ne_u32_e32 vcc, s10, v44
	v_mov_b32_e32 v43, 0x7f80
	s_and_saveexec_b64 s[10:11], vcc
	s_cbranch_execz .LBB843_365
; %bb.364:
	v_and_b32_e32 v43, 7, v22
	v_ffbh_u32_e32 v51, v43
	v_min_u32_e32 v51, 32, v51
	v_subrev_u32_e32 v52, 28, v51
	v_lshlrev_b64 v[52:53], v52, v[22:23]
	v_lshrrev_b32_e32 v45, 3, v44
	v_sub_u32_e32 v22, 29, v51
	v_and_b32_e32 v51, 7, v52
	v_cmp_gt_u32_e32 vcc, 8, v44
	v_mov_b32_e32 v44, 24
	v_cndmask_b32_e32 v22, v45, v22, vcc
	v_cndmask_b32_e32 v43, v43, v51, vcc
	v_lshlrev_b32_sdwa v44, v44, v24 dst_sel:DWORD dst_unused:UNUSED_PAD src0_sel:DWORD src1_sel:WORD_1
	v_bfrev_b32_e32 v45, 60
	v_lshlrev_b32_e32 v43, 20, v43
	v_and_b32_e32 v44, 0x80000000, v44
	v_lshl_add_u32 v22, v22, 23, v45
	v_or3_b32 v22, v44, v22, v43
	v_lshrrev_b32_e32 v43, 16, v22
.LBB843_365:
	s_or_b64 exec, exec, s[10:11]
.LBB843_366:
	s_or_b64 exec, exec, s[8:9]
.LBB843_367:
	s_or_b64 exec, exec, s[2:3]
	s_mov_b32 s2, 0xffffff
	v_cmp_lt_u32_e32 vcc, s2, v24
	v_mov_b32_e32 v45, 0
	v_mov_b32_e32 v51, 0
	s_and_saveexec_b64 s[2:3], vcc
	s_cbranch_execz .LBB843_373
; %bb.368:
	v_lshrrev_b32_e32 v22, 24, v24
	s_movk_i32 s8, 0x80
	v_cmp_ne_u32_e32 vcc, s8, v22
	v_mov_b32_e32 v51, 0xffff8000
	s_and_saveexec_b64 s[8:9], vcc
	s_cbranch_execz .LBB843_372
; %bb.369:
	v_bfe_u32 v24, v24, 24, 7
	s_movk_i32 s10, 0x7f
	v_cmp_ne_u32_e32 vcc, s10, v24
	v_mov_b32_e32 v51, 0x7f80
	s_and_saveexec_b64 s[10:11], vcc
	s_cbranch_execz .LBB843_371
; %bb.370:
	v_and_b32_e32 v44, 7, v22
	v_ffbh_u32_e32 v52, v44
	v_min_u32_e32 v54, 32, v52
	v_subrev_u32_e32 v52, 28, v54
	v_lshlrev_b64 v[52:53], v52, v[22:23]
	v_lshrrev_b32_e32 v51, 3, v24
	v_sub_u32_e32 v53, 29, v54
	v_and_b32_e32 v52, 7, v52
	v_cmp_gt_u32_e32 vcc, 8, v24
	v_cndmask_b32_e32 v24, v51, v53, vcc
	v_cndmask_b32_e32 v44, v44, v52, vcc
	v_lshlrev_b32_e32 v22, 24, v22
	v_bfrev_b32_e32 v51, 60
	v_lshlrev_b32_e32 v44, 20, v44
	v_and_b32_e32 v22, 0x80000000, v22
	v_lshl_add_u32 v24, v24, 23, v51
	v_or3_b32 v22, v22, v24, v44
	v_lshrrev_b32_e32 v51, 16, v22
.LBB843_371:
	s_or_b64 exec, exec, s[10:11]
.LBB843_372:
	s_or_b64 exec, exec, s[8:9]
.LBB843_373:
	s_or_b64 exec, exec, s[2:3]
	v_cmp_ne_u16_sdwa s[8:9], v25, v45 src0_sel:BYTE_0 src1_sel:DWORD
	s_and_saveexec_b64 s[2:3], s[8:9]
	s_cbranch_execz .LBB843_379
; %bb.374:
	s_movk_i32 s8, 0x80
	v_cmp_ne_u16_sdwa s[10:11], v25, s8 src0_sel:BYTE_0 src1_sel:DWORD
	v_mov_b32_e32 v45, 0xffff8000
	s_and_saveexec_b64 s[8:9], s[10:11]
	s_cbranch_execz .LBB843_378
; %bb.375:
	s_movk_i32 s10, 0x7f
	v_and_b32_e32 v22, 0x7f, v25
	v_cmp_ne_u32_e32 vcc, s10, v22
	v_mov_b32_e32 v45, 0x7f80
	s_and_saveexec_b64 s[10:11], vcc
	s_cbranch_execz .LBB843_377
; %bb.376:
	v_and_b32_e32 v52, 7, v25
	v_ffbh_u32_e32 v44, v52
	v_min_u32_e32 v54, 32, v44
	v_mov_b32_e32 v24, v25
	v_subrev_u32_e32 v44, 28, v54
	v_lshlrev_b64 v[44:45], v44, v[24:25]
	v_lshrrev_b32_e32 v53, 3, v22
	v_sub_u32_e32 v24, 29, v54
	v_and_b32_e32 v44, 7, v44
	v_cmp_gt_u32_e32 vcc, 8, v22
	v_cndmask_b32_e32 v22, v53, v24, vcc
	v_cndmask_b32_e32 v24, v52, v44, vcc
	v_lshlrev_b32_e32 v44, 24, v25
	v_bfrev_b32_e32 v45, 60
	v_lshlrev_b32_e32 v24, 20, v24
	v_and_b32_e32 v44, 0x80000000, v44
	v_lshl_add_u32 v22, v22, 23, v45
	v_or3_b32 v22, v44, v22, v24
	v_lshrrev_b32_e32 v45, 16, v22
.LBB843_377:
	s_or_b64 exec, exec, s[10:11]
.LBB843_378:
	s_or_b64 exec, exec, s[8:9]
.LBB843_379:
	s_or_b64 exec, exec, s[2:3]
	v_lshrrev_b16_e32 v22, 8, v25
	v_cmp_ne_u16_e32 vcc, 0, v22
	v_mov_b32_e32 v53, 0
	v_mov_b32_e32 v52, 0
	s_and_saveexec_b64 s[2:3], vcc
	s_cbranch_execz .LBB843_385
; %bb.380:
	s_movk_i32 s8, 0x80
	v_cmp_ne_u16_e32 vcc, s8, v22
	v_mov_b32_e32 v52, 0xffff8000
	s_and_saveexec_b64 s[8:9], vcc
	s_cbranch_execz .LBB843_384
; %bb.381:
	s_movk_i32 s10, 0x7f
	v_and_b32_e32 v24, 0x7f, v22
	v_cmp_ne_u32_e32 vcc, s10, v24
	v_mov_b32_e32 v52, 0x7f80
	s_and_saveexec_b64 s[10:11], vcc
	s_cbranch_execz .LBB843_383
; %bb.382:
	v_and_b32_e32 v44, 7, v22
	v_ffbh_u32_e32 v54, v44
	v_min_u32_e32 v56, 32, v54
	v_subrev_u32_e32 v54, 28, v56
	v_lshlrev_b64 v[54:55], v54, v[22:23]
	v_lshrrev_b32_e32 v52, 3, v24
	v_sub_u32_e32 v22, 29, v56
	v_and_b32_e32 v54, 7, v54
	v_cmp_gt_u32_e32 vcc, 8, v24
	v_cndmask_b32_e32 v22, v52, v22, vcc
	v_cndmask_b32_e32 v24, v44, v54, vcc
	v_lshlrev_b32_e32 v44, 16, v25
	v_bfrev_b32_e32 v52, 60
	v_lshlrev_b32_e32 v24, 20, v24
	v_and_b32_e32 v44, 0x80000000, v44
	v_lshl_add_u32 v22, v22, 23, v52
	v_or3_b32 v22, v44, v22, v24
	v_lshrrev_b32_e32 v52, 16, v22
.LBB843_383:
	s_or_b64 exec, exec, s[10:11]
.LBB843_384:
	s_or_b64 exec, exec, s[8:9]
.LBB843_385:
	s_or_b64 exec, exec, s[2:3]
	s_movk_i32 s2, 0xff
	v_and_b32_sdwa v24, v25, s2 dst_sel:DWORD dst_unused:UNUSED_PAD src0_sel:WORD_1 src1_sel:DWORD
	v_lshrrev_b32_e32 v22, 16, v25
	v_cmp_ne_u16_e32 vcc, 0, v24
	s_and_saveexec_b64 s[2:3], vcc
	s_cbranch_execz .LBB843_391
; %bb.386:
	s_movk_i32 s8, 0x80
	v_cmp_ne_u16_e32 vcc, s8, v24
	v_mov_b32_e32 v53, 0xffff8000
	s_and_saveexec_b64 s[8:9], vcc
	s_cbranch_execz .LBB843_390
; %bb.387:
	v_bfe_u32 v24, v25, 16, 7
	s_movk_i32 s10, 0x7f
	v_cmp_ne_u32_e32 vcc, s10, v24
	v_mov_b32_e32 v53, 0x7f80
	s_and_saveexec_b64 s[10:11], vcc
	s_cbranch_execz .LBB843_389
; %bb.388:
	v_and_b32_e32 v44, 7, v22
	v_ffbh_u32_e32 v54, v44
	v_min_u32_e32 v56, 32, v54
	v_subrev_u32_e32 v54, 28, v56
	v_lshlrev_b64 v[54:55], v54, v[22:23]
	v_and_b32_e32 v54, 7, v54
	v_cmp_gt_u32_e32 vcc, 8, v24
	v_lshrrev_b32_e32 v53, 3, v24
	v_sub_u32_e32 v22, 29, v56
	v_cndmask_b32_e32 v24, v44, v54, vcc
	v_mov_b32_e32 v44, 24
	v_cndmask_b32_e32 v22, v53, v22, vcc
	v_lshlrev_b32_sdwa v44, v44, v25 dst_sel:DWORD dst_unused:UNUSED_PAD src0_sel:DWORD src1_sel:WORD_1
	v_bfrev_b32_e32 v53, 60
	v_lshlrev_b32_e32 v24, 20, v24
	v_and_b32_e32 v44, 0x80000000, v44
	v_lshl_add_u32 v22, v22, 23, v53
	v_or3_b32 v22, v44, v22, v24
	v_lshrrev_b32_e32 v53, 16, v22
.LBB843_389:
	s_or_b64 exec, exec, s[10:11]
.LBB843_390:
	s_or_b64 exec, exec, s[8:9]
.LBB843_391:
	s_or_b64 exec, exec, s[2:3]
	s_mov_b32 s2, 0xffffff
	v_and_b32_e32 v44, 63, v0
	v_cmp_lt_u32_e32 vcc, s2, v25
	v_mov_b32_e32 v54, 0
	s_and_saveexec_b64 s[2:3], vcc
	s_cbranch_execz .LBB843_397
; %bb.392:
	v_lshrrev_b32_e32 v22, 24, v25
	s_movk_i32 s8, 0x80
	v_cmp_ne_u32_e32 vcc, s8, v22
	v_mov_b32_e32 v54, 0xffff8000
	s_and_saveexec_b64 s[8:9], vcc
	s_cbranch_execz .LBB843_396
; %bb.393:
	v_bfe_u32 v24, v25, 24, 7
	s_movk_i32 s10, 0x7f
	v_cmp_ne_u32_e32 vcc, s10, v24
	v_mov_b32_e32 v54, 0x7f80
	s_and_saveexec_b64 s[10:11], vcc
	s_cbranch_execz .LBB843_395
; %bb.394:
	v_and_b32_e32 v25, 7, v22
	v_ffbh_u32_e32 v54, v25
	v_min_u32_e32 v57, 32, v54
	v_subrev_u32_e32 v54, 28, v57
	v_lshlrev_b64 v[54:55], v54, v[22:23]
	v_lshrrev_b32_e32 v56, 3, v24
	v_sub_u32_e32 v55, 29, v57
	v_and_b32_e32 v54, 7, v54
	v_cmp_gt_u32_e32 vcc, 8, v24
	v_cndmask_b32_e32 v24, v56, v55, vcc
	v_cndmask_b32_e32 v25, v25, v54, vcc
	v_lshlrev_b32_e32 v22, 24, v22
	v_bfrev_b32_e32 v54, 60
	v_lshlrev_b32_e32 v25, 20, v25
	v_and_b32_e32 v22, 0x80000000, v22
	v_lshl_add_u32 v24, v24, 23, v54
	v_or3_b32 v22, v22, v24, v25
	v_lshrrev_b32_e32 v54, 16, v22
.LBB843_395:
	s_or_b64 exec, exec, s[10:11]
.LBB843_396:
	s_or_b64 exec, exec, s[8:9]
.LBB843_397:
	s_or_b64 exec, exec, s[2:3]
	s_mov_b32 s3, 0x5040100
	v_perm_b32 v43, v51, v43, s3
	v_perm_b32 v42, v23, v42, s3
	s_load_dword s2, s[4:5], 0x1c
	s_mov_b32 s46, 0xff7fffff
	s_waitcnt lgkmcnt(0)
	v_mfma_f32_16x16x16bf16_1k v[26:29], v[42:43], v[18:19], v[26:29]
	v_perm_b32 v19, v54, v53, s3
	v_perm_b32 v18, v52, v45, s3
	v_mov_b32_e32 v22, s2
	v_mul_f32_e32 v56, s12, v22
	v_pk_mul_f32 v[22:23], v[56:57], v[32:33] op_sel_hi:[0,1]
	v_pk_mul_f32 v[32:33], v[56:57], v[38:39] op_sel_hi:[0,1]
	v_and_b32_e32 v38, 0xc0, v0
	v_mfma_f32_16x16x16bf16_1k v[26:29], v[18:19], v[20:21], v[26:29]
	v_add_u32_e32 v38, s18, v38
	v_lshl_or_b32 v38, v1, 2, v38
	v_or_b32_e32 v39, 1, v38
	v_pk_mul_f32 v[24:25], v[56:57], v[30:31] op_sel_hi:[0,1]
	v_pk_mul_f32 v[30:31], v[56:57], v[40:41] op_sel_hi:[0,1]
	v_subrev_u32_e32 v40, s33, v39
	v_pk_mul_f32 v[34:35], v[56:57], v[34:35] op_sel_hi:[0,1]
	s_nop 3
	v_pk_mul_f32 v[20:21], v[56:57], v[26:27] op_sel_hi:[0,1]
	v_add_u32_e32 v27, 1, v40
	v_pk_mul_f32 v[18:19], v[56:57], v[28:29] op_sel_hi:[0,1]
	v_cvt_f32_i32_e32 v27, v27
	v_add_u32_e32 v29, 3, v40
	v_cvt_f32_i32_e32 v29, v29
	v_cvt_f32_i32_e32 v26, v40
	v_pk_mul_f32 v[36:37], v[56:57], v[36:37] op_sel_hi:[0,1]
	v_fmac_f32_e32 v35, v50, v27
	v_add_u32_e32 v27, 16, v40
	v_fmac_f32_e32 v37, v50, v29
	v_cvt_f32_i32_e32 v27, v27
	v_add_u32_e32 v29, 17, v40
	v_fma_f32 v26, v50, v26, v34
	v_cvt_f32_i32_e32 v29, v29
	v_add_u32_e32 v34, 18, v40
	v_cvt_f32_i32_e32 v34, v34
	v_fma_f32 v41, v50, v27, v32
	v_add_u32_e32 v27, 32, v40
	v_fmac_f32_e32 v33, v50, v29
	v_cvt_f32_i32_e32 v27, v27
	v_add_u32_e32 v29, 33, v40
	v_add_u32_e32 v32, 34, v40
	v_fma_f32 v30, v50, v34, v30
	v_cvt_f32_i32_e32 v29, v29
	v_cvt_f32_i32_e32 v32, v32
	v_add_u32_e32 v34, 35, v40
	v_cvt_f32_i32_e32 v34, v34
	v_fma_f32 v24, v50, v27, v24
	v_add_u32_e32 v27, 48, v40
	v_fmac_f32_e32 v25, v50, v29
	v_fma_f32 v22, v50, v32, v22
	v_cvt_f32_i32_e32 v27, v27
	v_add_u32_e32 v29, 49, v40
	v_add_u32_e32 v32, 50, v40
	v_fmac_f32_e32 v23, v50, v34
	v_cvt_f32_i32_e32 v29, v29
	v_cvt_f32_i32_e32 v32, v32
	v_add_u32_e32 v34, 51, v40
	v_add_u32_e32 v28, 2, v40
	v_cvt_f32_i32_e32 v34, v34
	v_cvt_f32_i32_e32 v28, v28
	v_fma_f32 v20, v50, v27, v20
	v_mov_b32_e32 v27, 0xff7fffff
	v_cmp_gt_i32_e64 s[26:27], s33, v38
	v_cmp_gt_i32_e64 s[28:29], s33, v39
	v_fmac_f32_e32 v21, v50, v29
	v_fma_f32 v18, v50, v32, v18
	v_cndmask_b32_e64 v29, v27, v26, s[26:27]
	v_cndmask_b32_e64 v32, v27, v35, s[28:29]
	v_fmac_f32_e32 v19, v50, v34
	v_max3_f32 v29, v29, s46, v32
	v_or_b32_e32 v32, 2, v38
	v_or_b32_e32 v34, 3, v38
	v_fma_f32 v28, v50, v28, v36
	v_cmp_gt_i32_e64 s[30:31], s33, v32
	v_cmp_gt_i32_e64 s[34:35], s33, v34
	v_add_u32_e32 v36, 19, v40
	v_cndmask_b32_e64 v32, v27, v28, s[30:31]
	v_cndmask_b32_e64 v34, v27, v37, s[34:35]
	v_cvt_f32_i32_e32 v36, v36
	v_max3_f32 v29, v29, v32, v34
	v_or_b32_e32 v32, 16, v38
	v_or_b32_e32 v34, 17, v38
	v_cmp_gt_i32_e64 s[36:37], s33, v32
	v_cmp_gt_i32_e64 s[38:39], s33, v34
	v_cndmask_b32_e64 v32, v27, v41, s[36:37]
	v_cndmask_b32_e64 v34, v27, v33, s[38:39]
	v_max3_f32 v29, v29, v32, v34
	v_or_b32_e32 v32, 18, v38
	v_or_b32_e32 v34, 19, v38
	v_fmac_f32_e32 v31, v50, v36
	v_cmp_gt_i32_e64 s[20:21], s33, v32
	v_cmp_gt_i32_e64 s[22:23], s33, v34
	v_cndmask_b32_e64 v32, v27, v30, s[20:21]
	v_cndmask_b32_e64 v34, v27, v31, s[22:23]
	v_max3_f32 v29, v29, v32, v34
	v_or_b32_e32 v32, 32, v38
	v_or_b32_e32 v34, 33, v38
	v_cmp_gt_i32_e64 s[16:17], s33, v32
	v_cmp_gt_i32_e64 s[18:19], s33, v34
	v_cndmask_b32_e64 v32, v27, v24, s[16:17]
	v_cndmask_b32_e64 v34, v27, v25, s[18:19]
	v_max3_f32 v29, v29, v32, v34
	v_or_b32_e32 v32, 34, v38
	v_or_b32_e32 v34, 35, v38
	;; [unrolled: 7-line block ×4, first 2 shown]
	v_cmp_gt_i32_e32 vcc, s33, v32
	v_cmp_gt_i32_e64 s[2:3], s33, v34
	v_cndmask_b32_e32 v32, v27, v18, vcc
	v_cndmask_b32_e64 v27, v27, v19, s[2:3]
	v_max3_f32 v27, v29, v32, v27
	v_mbcnt_lo_u32_b32 v29, -1, 0
	v_mbcnt_hi_u32_b32 v29, -1, v29
	v_and_b32_e32 v32, 64, v29
	v_add_u32_e32 v32, 64, v32
	v_xor_b32_e32 v34, 32, v29
	v_cmp_lt_i32_e64 s[40:41], v34, v32
	v_cndmask_b32_e64 v34, v29, v34, s[40:41]
	v_lshlrev_b32_e32 v36, 2, v34
	ds_bpermute_b32 v34, v36, v27
	s_barrier
	s_waitcnt lgkmcnt(0)
	v_max_f32_e32 v34, v34, v34
	v_max_f32_e32 v27, v27, v34
	v_xor_b32_e32 v34, 16, v29
	v_cmp_lt_i32_e64 s[40:41], v34, v32
	v_cndmask_b32_e64 v29, v29, v34, s[40:41]
	v_lshlrev_b32_e32 v38, 2, v29
	ds_bpermute_b32 v29, v38, v27
	s_waitcnt lgkmcnt(0)
	v_max_f32_e32 v29, v29, v29
	v_max_f32_e32 v32, v27, v29
	v_sub_f32_e32 v26, v26, v32
	v_mul_f32_e32 v26, 0x3fb8aa3b, v26
	v_sub_f32_e32 v27, v35, v32
	v_exp_f32_e32 v26, v26
	v_mul_f32_e32 v27, 0x3fb8aa3b, v27
	v_sub_f32_e32 v28, v28, v32
	v_exp_f32_e32 v27, v27
	v_mul_f32_e32 v28, 0x3fb8aa3b, v28
	v_exp_f32_e32 v28, v28
	v_cndmask_b32_e64 v26, 0, v26, s[26:27]
	v_sub_f32_e32 v34, v37, v32
	v_add_f32_e32 v29, 0, v26
	v_cndmask_b32_e64 v27, 0, v27, s[28:29]
	v_mul_f32_e32 v34, 0x3fb8aa3b, v34
	v_exp_f32_e32 v35, v34
	v_add_f32_e32 v29, v29, v27
	v_cndmask_b32_e64 v34, 0, v28, s[30:31]
	v_add_f32_e32 v28, v29, v34
	v_sub_f32_e32 v29, v41, v32
	v_mul_f32_e32 v29, 0x3fb8aa3b, v29
	v_sub_f32_e32 v33, v33, v32
	v_exp_f32_e32 v29, v29
	v_mul_f32_e32 v33, 0x3fb8aa3b, v33
	v_sub_f32_e32 v30, v30, v32
	v_exp_f32_e32 v33, v33
	v_mul_f32_e32 v30, 0x3fb8aa3b, v30
	v_sub_f32_e32 v31, v31, v32
	v_exp_f32_e32 v30, v30
	v_mul_f32_e32 v31, 0x3fb8aa3b, v31
	v_sub_f32_e32 v24, v24, v32
	v_cndmask_b32_e64 v35, 0, v35, s[34:35]
	v_exp_f32_e32 v31, v31
	v_mul_f32_e32 v24, 0x3fb8aa3b, v24
	v_sub_f32_e32 v25, v25, v32
	v_add_f32_e32 v37, v28, v35
	v_cndmask_b32_e64 v28, 0, v29, s[36:37]
	v_exp_f32_e32 v24, v24
	v_mul_f32_e32 v25, 0x3fb8aa3b, v25
	v_sub_f32_e32 v22, v22, v32
	v_add_f32_e32 v37, v37, v28
	;; [unrolled: 5-line block ×7, first 2 shown]
	v_cndmask_b32_e64 v22, 0, v22, s[12:13]
	v_exp_f32_e32 v18, v18
	v_mul_f32_e32 v19, 0x3fb8aa3b, v19
	v_add_f32_e32 v33, v33, v22
	v_cndmask_b32_e64 v23, 0, v23, s[14:15]
	v_exp_f32_e32 v19, v19
	v_add_f32_e32 v33, v33, v23
	v_cndmask_b32_e64 v20, 0, v20, s[8:9]
	v_add_f32_e32 v33, v33, v20
	v_cndmask_b32_e64 v21, 0, v21, s[10:11]
	v_add_f32_e32 v33, v33, v21
	v_cndmask_b32_e32 v18, 0, v18, vcc
	v_add_f32_e32 v33, v33, v18
	v_cndmask_b32_e64 v19, 0, v19, s[2:3]
	v_add_f32_e32 v33, v33, v19
	ds_bpermute_b32 v36, v36, v33
	v_cmp_gt_u32_e32 vcc, 16, v44
	s_waitcnt lgkmcnt(0)
	v_add_f32_e32 v36, v33, v36
	ds_bpermute_b32 v37, v38, v36
	v_lshlrev_b32_e32 v33, 2, v48
	s_and_saveexec_b64 s[2:3], vcc
	s_cbranch_execz .LBB843_399
; %bb.398:
	s_waitcnt lgkmcnt(0)
	v_add_f32_e32 v36, v36, v37
	v_lshl_or_b32 v37, v49, 6, v33
	ds_write2st64_b32 v37, v32, v36 offset1:1
.LBB843_399:
	s_or_b64 exec, exec, s[2:3]
	s_waitcnt lgkmcnt(0)
	s_barrier
	ds_read2_b32 v[36:37], v33 offset1:16
	ds_read2_b32 v[38:39], v33 offset0:32 offset1:48
	ds_read2_b32 v[40:41], v33 offset0:64 offset1:80
	s_mul_i32 s12, s45, 14
	s_waitcnt lgkmcnt(2)
	v_max3_f32 v32, v36, s46, v37
	s_waitcnt lgkmcnt(1)
	v_max3_f32 v32, v32, v38, v39
	v_sub_f32_e32 v36, v36, v32
	v_mul_f32_e32 v36, 0x3fb8aa3b, v36
	v_exp_f32_e32 v42, v36
	v_sub_f32_e32 v36, v37, v32
	v_mul_f32_e32 v36, 0x3fb8aa3b, v36
	v_exp_f32_e32 v43, v36
	;; [unrolled: 3-line block ×3, first 2 shown]
	ds_read2_b32 v[36:37], v33 offset0:96 offset1:112
	v_sub_f32_e32 v33, v39, v32
	v_mul_f32_e32 v33, 0x3fb8aa3b, v33
	v_exp_f32_e32 v39, v33
	s_waitcnt lgkmcnt(1)
	v_fma_f32 v33, v42, v40, 0
	v_fmac_f32_e32 v33, v43, v41
	s_waitcnt lgkmcnt(0)
	v_fmac_f32_e32 v33, v38, v36
	v_fmac_f32_e32 v33, v39, v37
	v_add_f32_e32 v36, 0x358637bd, v33
	v_div_scale_f32 v37, s[2:3], v36, v36, 1.0
	v_rcp_f32_e32 v40, v37
	s_movk_i32 s2, 0x7fff
	s_mov_b32 s3, 0x7060302
	v_fma_f32 v41, -v37, v40, 1.0
	v_fmac_f32_e32 v40, v41, v40
	v_div_scale_f32 v41, vcc, 1.0, v36, 1.0
	v_mul_f32_e32 v44, v41, v40
	v_fma_f32 v45, -v37, v44, v41
	v_fmac_f32_e32 v44, v45, v40
	v_fma_f32 v37, -v37, v44, v41
	v_div_fmas_f32 v37, v37, v40, v44
	v_cmp_eq_u32_e32 vcc, 1, v49
	v_div_fixup_f32 v36, v37, v36, 1.0
	v_cndmask_b32_e32 v37, v42, v43, vcc
	v_cmp_eq_u32_e32 vcc, 2, v49
	v_cndmask_b32_e32 v37, v37, v38, vcc
	v_cmp_eq_u32_e32 vcc, 3, v49
	v_cndmask_b32_e32 v37, v37, v39, vcc
	v_mul_f32_e32 v36, v37, v36
	v_pk_mul_f32 v[26:27], v[36:37], v[26:27] op_sel_hi:[0,1]
	v_pk_mul_f32 v[34:35], v[36:37], v[34:35] op_sel_hi:[0,1]
	v_bfe_u32 v37, v27, 16, 1
	v_bfe_u32 v38, v26, 16, 1
	v_add3_u32 v26, v26, v38, s2
	v_add3_u32 v27, v27, v37, s2
	v_perm_b32 v38, v27, v26, s3
	v_bfe_u32 v26, v35, 16, 1
	v_bfe_u32 v27, v34, 16, 1
	v_add3_u32 v27, v34, v27, s2
	v_add3_u32 v26, v35, v26, s2
	v_perm_b32 v39, v26, v27, s3
	v_lshlrev_b32_e32 v26, 3, v1
	v_lshlrev_b32_e32 v27, 5, v48
	v_lshlrev_b32_e32 v34, 11, v49
	v_pk_mul_f32 v[28:29], v[36:37], v[28:29] op_sel_hi:[0,1]
	v_or3_b32 v26, v34, v27, v26
	v_bfe_u32 v34, v29, 16, 1
	v_bfe_u32 v35, v28, 16, 1
	v_pk_mul_f32 v[30:31], v[36:37], v[30:31] op_sel_hi:[0,1]
	v_add3_u32 v28, v28, v35, s2
	v_add3_u32 v29, v29, v34, s2
	v_perm_b32 v28, v29, v28, s3
	v_bfe_u32 v29, v31, 16, 1
	v_bfe_u32 v34, v30, 16, 1
	v_add3_u32 v30, v30, v34, s2
	v_add3_u32 v29, v31, v29, s2
	v_perm_b32 v29, v29, v30, s3
	v_pk_mul_f32 v[24:25], v[36:37], v[24:25] op_sel_hi:[0,1]
	s_barrier
	ds_write2st64_b64 v26, v[38:39], v[28:29] offset1:1
	v_bfe_u32 v28, v25, 16, 1
	v_bfe_u32 v29, v24, 16, 1
	v_pk_mul_f32 v[22:23], v[36:37], v[22:23] op_sel_hi:[0,1]
	v_add3_u32 v24, v24, v29, s2
	v_add3_u32 v25, v25, v28, s2
	v_perm_b32 v24, v25, v24, s3
	v_bfe_u32 v25, v23, 16, 1
	v_bfe_u32 v28, v22, 16, 1
	v_add3_u32 v22, v22, v28, s2
	v_add3_u32 v23, v23, v25, s2
	v_pk_mul_f32 v[20:21], v[36:37], v[20:21] op_sel_hi:[0,1]
	v_perm_b32 v25, v23, v22, s3
	v_bfe_u32 v22, v21, 16, 1
	v_bfe_u32 v23, v20, 16, 1
	v_pk_mul_f32 v[18:19], v[36:37], v[18:19] op_sel_hi:[0,1]
	v_add3_u32 v20, v20, v23, s2
	v_add3_u32 v21, v21, v22, s2
	v_perm_b32 v20, v21, v20, s3
	v_bfe_u32 v21, v19, 16, 1
	v_bfe_u32 v22, v18, 16, 1
	v_add3_u32 v18, v18, v22, s2
	v_add3_u32 v19, v19, v21, s2
	v_perm_b32 v21, v19, v18, s3
	v_cmp_gt_u32_e32 vcc, 14, v0
	ds_write2st64_b64 v26, v[24:25], v[20:21] offset0:2 offset1:3
	s_and_saveexec_b64 s[2:3], vcc
	s_cbranch_execz .LBB843_401
; %bb.400:
	v_add_co_u32_e32 v20, vcc, s25, v48
	v_addc_co_u32_e64 v21, s[14:15], 0, 0, vcc
	v_mov_b32_e32 v18, s12
	v_mov_b32_e32 v19, 0
	v_mad_u64_u32 v[20:21], s[14:15], s6, v18, v[20:21]
	v_mov_b32_e32 v18, s24
	s_load_dwordx4 s[8:11], s[4:5], 0x58
	s_mul_i32 s7, s7, s12
	v_mad_u64_u32 v[18:19], s[14:15], v20, s44, v[18:19]
	v_add_u32_e32 v21, s7, v21
	v_mov_b32_e32 v20, v19
	v_mad_u64_u32 v[20:21], s[14:15], v21, s44, v[20:21]
	v_mov_b32_e32 v19, v20
	v_lshlrev_b64 v[18:19], 2, v[18:19]
	s_waitcnt lgkmcnt(0)
	v_mov_b32_e32 v21, s11
	v_add_co_u32_e32 v20, vcc, s10, v18
	v_addc_co_u32_e32 v21, vcc, v21, v19, vcc
	global_store_dword v[20:21], v32, off
	v_mov_b32_e32 v20, s9
	v_add_co_u32_e32 v18, vcc, s8, v18
	v_addc_co_u32_e32 v19, vcc, v20, v19, vcc
	global_store_dword v[18:19], v33, off
.LBB843_401:
	s_or_b64 exec, exec, s[2:3]
	v_mov_b32_e32 v19, 0
	s_waitcnt vmcnt(3)
	v_cmp_ne_u16_sdwa s[8:9], v14, v19 src0_sel:BYTE_0 src1_sel:DWORD
	v_mov_b32_e32 v20, 0
	s_waitcnt lgkmcnt(0)
	s_barrier
	s_and_saveexec_b64 s[2:3], s[8:9]
	s_cbranch_execz .LBB843_407
; %bb.402:
	s_movk_i32 s7, 0x80
	v_cmp_ne_u16_sdwa s[10:11], v14, s7 src0_sel:BYTE_0 src1_sel:DWORD
	v_mov_b32_e32 v20, 0xffff8000
	s_and_saveexec_b64 s[8:9], s[10:11]
	s_cbranch_execz .LBB843_406
; %bb.403:
	s_movk_i32 s7, 0x7f
	v_and_b32_e32 v18, 0x7f, v14
	v_cmp_ne_u32_e32 vcc, s7, v18
	v_mov_b32_e32 v20, 0x7f80
	s_and_saveexec_b64 s[10:11], vcc
	s_cbranch_execz .LBB843_405
; %bb.404:
	v_and_b32_e32 v22, 7, v14
	v_ffbh_u32_e32 v20, v22
	v_min_u32_e32 v24, 32, v20
	v_subrev_u32_e32 v20, 28, v24
	v_lshlrev_b64 v[20:21], v20, v[14:15]
	v_lshrrev_b32_e32 v23, 3, v18
	v_sub_u32_e32 v21, 29, v24
	v_and_b32_e32 v20, 7, v20
	v_cmp_gt_u32_e32 vcc, 8, v18
	v_cndmask_b32_e32 v18, v23, v21, vcc
	v_cndmask_b32_e32 v20, v22, v20, vcc
	v_lshlrev_b32_e32 v21, 24, v14
	v_bfrev_b32_e32 v22, 60
	v_lshlrev_b32_e32 v20, 20, v20
	v_and_b32_e32 v21, 0x80000000, v21
	v_lshl_add_u32 v18, v18, 23, v22
	v_or3_b32 v18, v21, v18, v20
	v_lshrrev_b32_e32 v20, 16, v18
.LBB843_405:
	s_or_b64 exec, exec, s[10:11]
.LBB843_406:
	s_or_b64 exec, exec, s[8:9]
.LBB843_407:
	s_or_b64 exec, exec, s[2:3]
	v_lshrrev_b16_e32 v18, 8, v14
	v_cmp_ne_u16_e32 vcc, 0, v18
	s_and_saveexec_b64 s[2:3], vcc
	s_cbranch_execz .LBB843_413
; %bb.408:
	s_movk_i32 s7, 0x80
	v_cmp_ne_u16_e32 vcc, s7, v18
	v_mov_b32_e32 v19, 0xffff8000
	s_and_saveexec_b64 s[8:9], vcc
	s_cbranch_execz .LBB843_412
; %bb.409:
	s_movk_i32 s7, 0x7f
	v_and_b32_e32 v21, 0x7f, v18
	v_cmp_ne_u32_e32 vcc, s7, v21
	v_mov_b32_e32 v19, 0x7f80
	s_and_saveexec_b64 s[10:11], vcc
	s_cbranch_execz .LBB843_411
; %bb.410:
	v_and_b32_e32 v22, 7, v18
	v_ffbh_u32_e32 v19, v22
	v_min_u32_e32 v24, 32, v19
	v_subrev_u32_e32 v19, 28, v24
	v_lshlrev_b64 v[18:19], v19, v[18:19]
	v_lshrrev_b32_e32 v23, 3, v21
	v_sub_u32_e32 v19, 29, v24
	v_and_b32_e32 v18, 7, v18
	v_cmp_gt_u32_e32 vcc, 8, v21
	v_cndmask_b32_e32 v19, v23, v19, vcc
	v_cndmask_b32_e32 v18, v22, v18, vcc
	v_lshlrev_b32_e32 v21, 16, v14
	v_bfrev_b32_e32 v22, 60
	v_lshlrev_b32_e32 v18, 20, v18
	v_and_b32_e32 v21, 0x80000000, v21
	v_lshl_add_u32 v19, v19, 23, v22
	v_or3_b32 v18, v21, v19, v18
	v_lshrrev_b32_e32 v19, 16, v18
.LBB843_411:
	s_or_b64 exec, exec, s[10:11]
.LBB843_412:
	s_or_b64 exec, exec, s[8:9]
.LBB843_413:
	s_or_b64 exec, exec, s[2:3]
	s_movk_i32 s2, 0xff
	v_and_b32_sdwa v23, v14, s2 dst_sel:DWORD dst_unused:UNUSED_PAD src0_sel:WORD_1 src1_sel:DWORD
	v_lshrrev_b32_e32 v18, 16, v14
	v_cmp_ne_u16_e32 vcc, 0, v23
	v_mov_b32_e32 v21, 0
	v_mov_b32_e32 v22, 0
	s_and_saveexec_b64 s[2:3], vcc
	s_cbranch_execz .LBB843_419
; %bb.414:
	s_movk_i32 s7, 0x80
	v_cmp_ne_u16_e32 vcc, s7, v23
	v_mov_b32_e32 v22, 0xffff8000
	s_and_saveexec_b64 s[8:9], vcc
	s_cbranch_execz .LBB843_418
; %bb.415:
	v_bfe_u32 v23, v14, 16, 7
	s_movk_i32 s7, 0x7f
	v_cmp_ne_u32_e32 vcc, s7, v23
	v_mov_b32_e32 v22, 0x7f80
	s_and_saveexec_b64 s[10:11], vcc
	s_cbranch_execz .LBB843_417
; %bb.416:
	v_and_b32_e32 v22, 7, v18
	v_ffbh_u32_e32 v24, v22
	v_min_u32_e32 v29, 32, v24
	v_subrev_u32_e32 v24, 28, v29
	v_lshlrev_b64 v[24:25], v24, v[18:19]
	v_lshrrev_b32_e32 v28, 3, v23
	v_sub_u32_e32 v18, 29, v29
	v_and_b32_e32 v24, 7, v24
	v_cmp_gt_u32_e32 vcc, 8, v23
	v_mov_b32_e32 v23, 24
	v_cndmask_b32_e32 v18, v28, v18, vcc
	v_cndmask_b32_e32 v22, v22, v24, vcc
	v_lshlrev_b32_sdwa v23, v23, v14 dst_sel:DWORD dst_unused:UNUSED_PAD src0_sel:DWORD src1_sel:WORD_1
	v_bfrev_b32_e32 v24, 60
	v_lshlrev_b32_e32 v22, 20, v22
	v_and_b32_e32 v23, 0x80000000, v23
	v_lshl_add_u32 v18, v18, 23, v24
	v_or3_b32 v18, v23, v18, v22
	v_lshrrev_b32_e32 v22, 16, v18
.LBB843_417:
	s_or_b64 exec, exec, s[10:11]
.LBB843_418:
	s_or_b64 exec, exec, s[8:9]
.LBB843_419:
	s_or_b64 exec, exec, s[2:3]
	s_mov_b32 s2, 0xffffff
	v_cmp_lt_u32_e32 vcc, s2, v14
	s_and_saveexec_b64 s[2:3], vcc
	s_cbranch_execz .LBB843_425
; %bb.420:
	v_lshrrev_b32_e32 v18, 24, v14
	s_movk_i32 s7, 0x80
	v_cmp_ne_u32_e32 vcc, s7, v18
	v_mov_b32_e32 v21, 0xffff8000
	s_and_saveexec_b64 s[8:9], vcc
	s_cbranch_execz .LBB843_424
; %bb.421:
	v_bfe_u32 v14, v14, 24, 7
	s_movk_i32 s7, 0x7f
	v_cmp_ne_u32_e32 vcc, s7, v14
	v_mov_b32_e32 v21, 0x7f80
	s_and_saveexec_b64 s[10:11], vcc
	s_cbranch_execz .LBB843_423
; %bb.422:
	v_and_b32_e32 v21, 7, v18
	v_ffbh_u32_e32 v24, v21
	v_min_u32_e32 v28, 32, v24
	v_subrev_u32_e32 v24, 28, v28
	v_lshlrev_b64 v[24:25], v24, v[18:19]
	v_lshrrev_b32_e32 v23, 3, v14
	v_sub_u32_e32 v25, 29, v28
	v_and_b32_e32 v24, 7, v24
	v_cmp_gt_u32_e32 vcc, 8, v14
	v_cndmask_b32_e32 v14, v23, v25, vcc
	v_cndmask_b32_e32 v21, v21, v24, vcc
	v_lshlrev_b32_e32 v18, 24, v18
	v_bfrev_b32_e32 v23, 60
	v_lshlrev_b32_e32 v21, 20, v21
	v_and_b32_e32 v18, 0x80000000, v18
	v_lshl_add_u32 v14, v14, 23, v23
	v_or3_b32 v14, v18, v14, v21
	v_lshrrev_b32_e32 v21, 16, v14
.LBB843_423:
	s_or_b64 exec, exec, s[10:11]
.LBB843_424:
	s_or_b64 exec, exec, s[8:9]
.LBB843_425:
	s_or_b64 exec, exec, s[2:3]
	v_mov_b32_e32 v18, 0
	v_cmp_ne_u16_sdwa s[8:9], v15, v18 src0_sel:BYTE_0 src1_sel:DWORD
	v_mov_b32_e32 v23, 0
	s_and_saveexec_b64 s[2:3], s[8:9]
	s_cbranch_execz .LBB843_431
; %bb.426:
	s_movk_i32 s7, 0x80
	v_cmp_ne_u16_sdwa s[10:11], v15, s7 src0_sel:BYTE_0 src1_sel:DWORD
	v_mov_b32_e32 v23, 0xffff8000
	s_and_saveexec_b64 s[8:9], s[10:11]
	s_cbranch_execz .LBB843_430
; %bb.427:
	s_movk_i32 s7, 0x7f
	v_and_b32_e32 v14, 0x7f, v15
	v_cmp_ne_u32_e32 vcc, s7, v14
	v_mov_b32_e32 v23, 0x7f80
	s_and_saveexec_b64 s[10:11], vcc
	s_cbranch_execz .LBB843_429
; %bb.428:
	v_and_b32_e32 v23, 7, v15
	v_ffbh_u32_e32 v25, v23
	v_min_u32_e32 v29, 32, v25
	v_mov_b32_e32 v24, v15
	v_subrev_u32_e32 v25, 28, v29
	v_lshlrev_b64 v[24:25], v25, v[24:25]
	v_lshrrev_b32_e32 v28, 3, v14
	v_sub_u32_e32 v25, 29, v29
	v_and_b32_e32 v24, 7, v24
	v_cmp_gt_u32_e32 vcc, 8, v14
	v_cndmask_b32_e32 v14, v28, v25, vcc
	v_cndmask_b32_e32 v23, v23, v24, vcc
	v_lshlrev_b32_e32 v24, 24, v15
	v_bfrev_b32_e32 v25, 60
	v_lshlrev_b32_e32 v23, 20, v23
	v_and_b32_e32 v24, 0x80000000, v24
	v_lshl_add_u32 v14, v14, 23, v25
	v_or3_b32 v14, v24, v14, v23
	v_lshrrev_b32_e32 v23, 16, v14
.LBB843_429:
	s_or_b64 exec, exec, s[10:11]
.LBB843_430:
	s_or_b64 exec, exec, s[8:9]
.LBB843_431:
	s_or_b64 exec, exec, s[2:3]
	v_lshrrev_b16_e32 v14, 8, v15
	v_cmp_ne_u16_e32 vcc, 0, v14
	s_and_saveexec_b64 s[2:3], vcc
	s_cbranch_execz .LBB843_437
; %bb.432:
	s_movk_i32 s7, 0x80
	v_cmp_ne_u16_e32 vcc, s7, v14
	v_mov_b32_e32 v18, 0xffff8000
	s_and_saveexec_b64 s[8:9], vcc
	s_cbranch_execz .LBB843_436
; %bb.433:
	s_movk_i32 s7, 0x7f
	v_and_b32_e32 v24, 0x7f, v14
	v_cmp_ne_u32_e32 vcc, s7, v24
	v_mov_b32_e32 v18, 0x7f80
	s_and_saveexec_b64 s[10:11], vcc
	s_cbranch_execz .LBB843_435
; %bb.434:
	v_and_b32_e32 v18, 7, v14
	v_ffbh_u32_e32 v28, v18
	v_min_u32_e32 v30, 32, v28
	v_subrev_u32_e32 v28, 28, v30
	v_lshlrev_b64 v[28:29], v28, v[14:15]
	v_lshrrev_b32_e32 v25, 3, v24
	v_sub_u32_e32 v14, 29, v30
	v_and_b32_e32 v28, 7, v28
	v_cmp_gt_u32_e32 vcc, 8, v24
	v_cndmask_b32_e32 v14, v25, v14, vcc
	v_cndmask_b32_e32 v18, v18, v28, vcc
	v_lshlrev_b32_e32 v24, 16, v15
	v_bfrev_b32_e32 v25, 60
	v_lshlrev_b32_e32 v18, 20, v18
	v_and_b32_e32 v24, 0x80000000, v24
	v_lshl_add_u32 v14, v14, 23, v25
	v_or3_b32 v14, v24, v14, v18
	v_lshrrev_b32_e32 v18, 16, v14
.LBB843_435:
	s_or_b64 exec, exec, s[10:11]
.LBB843_436:
	s_or_b64 exec, exec, s[8:9]
.LBB843_437:
	s_or_b64 exec, exec, s[2:3]
	s_movk_i32 s2, 0xff
	v_and_b32_sdwa v28, v15, s2 dst_sel:DWORD dst_unused:UNUSED_PAD src0_sel:WORD_1 src1_sel:DWORD
	v_lshrrev_b32_e32 v14, 16, v15
	v_cmp_ne_u16_e32 vcc, 0, v28
	v_mov_b32_e32 v24, 0
	v_mov_b32_e32 v25, 0
	s_and_saveexec_b64 s[2:3], vcc
	s_cbranch_execz .LBB843_443
; %bb.438:
	s_movk_i32 s7, 0x80
	v_cmp_ne_u16_e32 vcc, s7, v28
	v_mov_b32_e32 v25, 0xffff8000
	s_and_saveexec_b64 s[8:9], vcc
	s_cbranch_execz .LBB843_442
; %bb.439:
	v_bfe_u32 v28, v15, 16, 7
	s_movk_i32 s7, 0x7f
	v_cmp_ne_u32_e32 vcc, s7, v28
	v_mov_b32_e32 v25, 0x7f80
	s_and_saveexec_b64 s[10:11], vcc
	s_cbranch_execz .LBB843_441
; %bb.440:
	v_and_b32_e32 v25, 7, v14
	v_ffbh_u32_e32 v30, v25
	v_min_u32_e32 v32, 32, v30
	v_subrev_u32_e32 v30, 28, v32
	v_lshlrev_b64 v[30:31], v30, v[14:15]
	v_lshrrev_b32_e32 v29, 3, v28
	v_sub_u32_e32 v14, 29, v32
	v_and_b32_e32 v30, 7, v30
	v_cmp_gt_u32_e32 vcc, 8, v28
	v_mov_b32_e32 v28, 24
	v_cndmask_b32_e32 v14, v29, v14, vcc
	v_cndmask_b32_e32 v25, v25, v30, vcc
	v_lshlrev_b32_sdwa v28, v28, v15 dst_sel:DWORD dst_unused:UNUSED_PAD src0_sel:DWORD src1_sel:WORD_1
	v_bfrev_b32_e32 v29, 60
	v_lshlrev_b32_e32 v25, 20, v25
	v_and_b32_e32 v28, 0x80000000, v28
	v_lshl_add_u32 v14, v14, 23, v29
	v_or3_b32 v14, v28, v14, v25
	v_lshrrev_b32_e32 v25, 16, v14
.LBB843_441:
	s_or_b64 exec, exec, s[10:11]
.LBB843_442:
	s_or_b64 exec, exec, s[8:9]
.LBB843_443:
	s_or_b64 exec, exec, s[2:3]
	s_mov_b32 s2, 0xffffff
	v_cmp_lt_u32_e32 vcc, s2, v15
	s_and_saveexec_b64 s[2:3], vcc
	s_cbranch_execz .LBB843_449
; %bb.444:
	v_lshrrev_b32_e32 v14, 24, v15
	s_movk_i32 s7, 0x80
	v_cmp_ne_u32_e32 vcc, s7, v14
	v_mov_b32_e32 v24, 0xffff8000
	s_and_saveexec_b64 s[8:9], vcc
	s_cbranch_execz .LBB843_448
; %bb.445:
	v_bfe_u32 v15, v15, 24, 7
	s_movk_i32 s7, 0x7f
	v_cmp_ne_u32_e32 vcc, s7, v15
	v_mov_b32_e32 v24, 0x7f80
	s_and_saveexec_b64 s[10:11], vcc
	s_cbranch_execz .LBB843_447
; %bb.446:
	v_and_b32_e32 v24, 7, v14
	v_ffbh_u32_e32 v28, v24
	v_min_u32_e32 v31, 32, v28
	v_subrev_u32_e32 v28, 28, v31
	v_lshlrev_b64 v[28:29], v28, v[14:15]
	v_lshrrev_b32_e32 v30, 3, v15
	v_sub_u32_e32 v29, 29, v31
	v_and_b32_e32 v28, 7, v28
	v_cmp_gt_u32_e32 vcc, 8, v15
	v_cndmask_b32_e32 v15, v30, v29, vcc
	v_cndmask_b32_e32 v24, v24, v28, vcc
	v_lshlrev_b32_e32 v14, 24, v14
	v_bfrev_b32_e32 v28, 60
	v_lshlrev_b32_e32 v24, 20, v24
	v_and_b32_e32 v14, 0x80000000, v14
	v_lshl_add_u32 v15, v15, 23, v28
	v_or3_b32 v14, v14, v15, v24
	v_lshrrev_b32_e32 v24, 16, v14
.LBB843_447:
	s_or_b64 exec, exec, s[10:11]
.LBB843_448:
	s_or_b64 exec, exec, s[8:9]
.LBB843_449:
	s_or_b64 exec, exec, s[2:3]
	s_mov_b32 s2, 0x5040100
	v_perm_b32 v15, v21, v22, s2
	v_lshl_or_b32 v22, v1, 9, v27
	v_perm_b32 v14, v19, v20, s2
	ds_read_b128 v[28:31], v22
	v_perm_b32 v19, v24, v25, s2
	v_perm_b32 v18, v18, v23, s2
	s_waitcnt lgkmcnt(0)
	v_mfma_f32_16x16x16bf16_1k v[32:35], v[14:15], v[28:29], 0
	v_mov_b32_e32 v15, 0
	v_cmp_ne_u16_sdwa s[8:9], v16, v15 src0_sel:BYTE_0 src1_sel:DWORD
	v_mov_b32_e32 v23, 0
	v_mfma_f32_16x16x16bf16_1k v[18:21], v[18:19], v[30:31], v[32:35]
	s_and_saveexec_b64 s[2:3], s[8:9]
	s_cbranch_execz .LBB843_455
; %bb.450:
	s_movk_i32 s7, 0x80
	v_cmp_ne_u16_sdwa s[10:11], v16, s7 src0_sel:BYTE_0 src1_sel:DWORD
	v_mov_b32_e32 v23, 0xffff8000
	s_and_saveexec_b64 s[8:9], s[10:11]
	s_cbranch_execz .LBB843_454
; %bb.451:
	s_movk_i32 s7, 0x7f
	v_and_b32_e32 v14, 0x7f, v16
	v_cmp_ne_u32_e32 vcc, s7, v14
	v_mov_b32_e32 v23, 0x7f80
	s_and_saveexec_b64 s[10:11], vcc
	s_cbranch_execz .LBB843_453
; %bb.452:
	v_and_b32_e32 v23, 7, v16
	v_ffbh_u32_e32 v24, v23
	v_min_u32_e32 v28, 32, v24
	v_subrev_u32_e32 v24, 28, v28
	v_lshlrev_b64 v[24:25], v24, v[16:17]
	v_lshrrev_b32_e32 v27, 3, v14
	v_sub_u32_e32 v25, 29, v28
	v_and_b32_e32 v24, 7, v24
	v_cmp_gt_u32_e32 vcc, 8, v14
	v_cndmask_b32_e32 v14, v27, v25, vcc
	v_cndmask_b32_e32 v23, v23, v24, vcc
	v_lshlrev_b32_e32 v24, 24, v16
	v_bfrev_b32_e32 v25, 60
	v_lshlrev_b32_e32 v23, 20, v23
	v_and_b32_e32 v24, 0x80000000, v24
	v_lshl_add_u32 v14, v14, 23, v25
	v_or3_b32 v14, v24, v14, v23
	v_lshrrev_b32_e32 v23, 16, v14
.LBB843_453:
	s_or_b64 exec, exec, s[10:11]
.LBB843_454:
	s_or_b64 exec, exec, s[8:9]
.LBB843_455:
	s_or_b64 exec, exec, s[2:3]
	v_lshrrev_b16_e32 v14, 8, v16
	v_cmp_ne_u16_e32 vcc, 0, v14
	s_and_saveexec_b64 s[2:3], vcc
	s_cbranch_execz .LBB843_461
; %bb.456:
	s_movk_i32 s7, 0x80
	v_cmp_ne_u16_e32 vcc, s7, v14
	v_mov_b32_e32 v15, 0xffff8000
	s_and_saveexec_b64 s[8:9], vcc
	s_cbranch_execz .LBB843_460
; %bb.457:
	s_movk_i32 s7, 0x7f
	v_and_b32_e32 v24, 0x7f, v14
	v_cmp_ne_u32_e32 vcc, s7, v24
	v_mov_b32_e32 v15, 0x7f80
	s_and_saveexec_b64 s[10:11], vcc
	s_cbranch_execz .LBB843_459
; %bb.458:
	v_and_b32_e32 v25, 7, v14
	v_ffbh_u32_e32 v15, v25
	v_min_u32_e32 v28, 32, v15
	v_subrev_u32_e32 v15, 28, v28
	v_lshlrev_b64 v[14:15], v15, v[14:15]
	v_lshrrev_b32_e32 v27, 3, v24
	v_sub_u32_e32 v15, 29, v28
	v_and_b32_e32 v14, 7, v14
	v_cmp_gt_u32_e32 vcc, 8, v24
	v_cndmask_b32_e32 v15, v27, v15, vcc
	v_cndmask_b32_e32 v14, v25, v14, vcc
	v_lshlrev_b32_e32 v24, 16, v16
	v_bfrev_b32_e32 v25, 60
	v_lshlrev_b32_e32 v14, 20, v14
	v_and_b32_e32 v24, 0x80000000, v24
	v_lshl_add_u32 v15, v15, 23, v25
	v_or3_b32 v14, v24, v15, v14
	v_lshrrev_b32_e32 v15, 16, v14
.LBB843_459:
	s_or_b64 exec, exec, s[10:11]
.LBB843_460:
	s_or_b64 exec, exec, s[8:9]
.LBB843_461:
	s_or_b64 exec, exec, s[2:3]
	s_movk_i32 s2, 0xff
	v_and_b32_sdwa v27, v16, s2 dst_sel:DWORD dst_unused:UNUSED_PAD src0_sel:WORD_1 src1_sel:DWORD
	v_lshrrev_b32_e32 v14, 16, v16
	v_cmp_ne_u16_e32 vcc, 0, v27
	v_mov_b32_e32 v24, 0
	v_mov_b32_e32 v25, 0
	s_and_saveexec_b64 s[2:3], vcc
	s_cbranch_execz .LBB843_467
; %bb.462:
	s_movk_i32 s7, 0x80
	v_cmp_ne_u16_e32 vcc, s7, v27
	v_mov_b32_e32 v25, 0xffff8000
	s_and_saveexec_b64 s[8:9], vcc
	s_cbranch_execz .LBB843_466
; %bb.463:
	v_bfe_u32 v27, v16, 16, 7
	s_movk_i32 s7, 0x7f
	v_cmp_ne_u32_e32 vcc, s7, v27
	v_mov_b32_e32 v25, 0x7f80
	s_and_saveexec_b64 s[10:11], vcc
	s_cbranch_execz .LBB843_465
; %bb.464:
	v_and_b32_e32 v25, 7, v14
	v_ffbh_u32_e32 v28, v25
	v_min_u32_e32 v31, 32, v28
	v_subrev_u32_e32 v28, 28, v31
	v_lshlrev_b64 v[28:29], v28, v[14:15]
	v_lshrrev_b32_e32 v30, 3, v27
	v_sub_u32_e32 v14, 29, v31
	v_and_b32_e32 v28, 7, v28
	v_cmp_gt_u32_e32 vcc, 8, v27
	v_mov_b32_e32 v27, 24
	v_cndmask_b32_e32 v14, v30, v14, vcc
	v_cndmask_b32_e32 v25, v25, v28, vcc
	v_lshlrev_b32_sdwa v27, v27, v16 dst_sel:DWORD dst_unused:UNUSED_PAD src0_sel:DWORD src1_sel:WORD_1
	v_bfrev_b32_e32 v28, 60
	v_lshlrev_b32_e32 v25, 20, v25
	v_and_b32_e32 v27, 0x80000000, v27
	v_lshl_add_u32 v14, v14, 23, v28
	v_or3_b32 v14, v27, v14, v25
	v_lshrrev_b32_e32 v25, 16, v14
.LBB843_465:
	s_or_b64 exec, exec, s[10:11]
.LBB843_466:
	s_or_b64 exec, exec, s[8:9]
.LBB843_467:
	s_or_b64 exec, exec, s[2:3]
	s_mov_b32 s2, 0xffffff
	v_cmp_lt_u32_e32 vcc, s2, v16
	s_and_saveexec_b64 s[2:3], vcc
	s_cbranch_execz .LBB843_473
; %bb.468:
	v_lshrrev_b32_e32 v14, 24, v16
	s_movk_i32 s7, 0x80
	v_cmp_ne_u32_e32 vcc, s7, v14
	v_mov_b32_e32 v24, 0xffff8000
	s_and_saveexec_b64 s[8:9], vcc
	s_cbranch_execz .LBB843_472
; %bb.469:
	v_bfe_u32 v16, v16, 24, 7
	s_movk_i32 s7, 0x7f
	v_cmp_ne_u32_e32 vcc, s7, v16
	v_mov_b32_e32 v24, 0x7f80
	s_and_saveexec_b64 s[10:11], vcc
	s_cbranch_execz .LBB843_471
; %bb.470:
	v_and_b32_e32 v24, 7, v14
	v_ffbh_u32_e32 v28, v24
	v_min_u32_e32 v30, 32, v28
	v_subrev_u32_e32 v28, 28, v30
	v_lshlrev_b64 v[28:29], v28, v[14:15]
	v_lshrrev_b32_e32 v27, 3, v16
	v_sub_u32_e32 v29, 29, v30
	v_and_b32_e32 v28, 7, v28
	v_cmp_gt_u32_e32 vcc, 8, v16
	v_cndmask_b32_e32 v16, v27, v29, vcc
	v_cndmask_b32_e32 v24, v24, v28, vcc
	v_lshlrev_b32_e32 v14, 24, v14
	v_bfrev_b32_e32 v27, 60
	v_lshlrev_b32_e32 v24, 20, v24
	v_and_b32_e32 v14, 0x80000000, v14
	v_lshl_add_u32 v16, v16, 23, v27
	v_or3_b32 v14, v14, v16, v24
	v_lshrrev_b32_e32 v24, 16, v14
.LBB843_471:
	s_or_b64 exec, exec, s[10:11]
.LBB843_472:
	s_or_b64 exec, exec, s[8:9]
.LBB843_473:
	s_or_b64 exec, exec, s[2:3]
	v_mov_b32_e32 v16, 0
	v_cmp_ne_u16_sdwa s[8:9], v17, v16 src0_sel:BYTE_0 src1_sel:DWORD
	v_mov_b32_e32 v27, 0
	s_and_saveexec_b64 s[2:3], s[8:9]
	s_cbranch_execz .LBB843_479
; %bb.474:
	s_movk_i32 s7, 0x80
	v_cmp_ne_u16_sdwa s[10:11], v17, s7 src0_sel:BYTE_0 src1_sel:DWORD
	v_mov_b32_e32 v27, 0xffff8000
	s_and_saveexec_b64 s[8:9], s[10:11]
	s_cbranch_execz .LBB843_478
; %bb.475:
	s_movk_i32 s7, 0x7f
	v_and_b32_e32 v14, 0x7f, v17
	v_cmp_ne_u32_e32 vcc, s7, v14
	v_mov_b32_e32 v27, 0x7f80
	s_and_saveexec_b64 s[10:11], vcc
	s_cbranch_execz .LBB843_477
; %bb.476:
	v_and_b32_e32 v27, 7, v17
	v_ffbh_u32_e32 v29, v27
	v_min_u32_e32 v31, 32, v29
	v_mov_b32_e32 v28, v17
	v_subrev_u32_e32 v29, 28, v31
	v_lshlrev_b64 v[28:29], v29, v[28:29]
	v_lshrrev_b32_e32 v30, 3, v14
	v_sub_u32_e32 v29, 29, v31
	v_and_b32_e32 v28, 7, v28
	v_cmp_gt_u32_e32 vcc, 8, v14
	v_cndmask_b32_e32 v14, v30, v29, vcc
	v_cndmask_b32_e32 v27, v27, v28, vcc
	v_lshlrev_b32_e32 v28, 24, v17
	v_bfrev_b32_e32 v29, 60
	v_lshlrev_b32_e32 v27, 20, v27
	v_and_b32_e32 v28, 0x80000000, v28
	v_lshl_add_u32 v14, v14, 23, v29
	v_or3_b32 v14, v28, v14, v27
	v_lshrrev_b32_e32 v27, 16, v14
.LBB843_477:
	s_or_b64 exec, exec, s[10:11]
.LBB843_478:
	s_or_b64 exec, exec, s[8:9]
.LBB843_479:
	s_or_b64 exec, exec, s[2:3]
	v_lshrrev_b16_e32 v14, 8, v17
	v_cmp_ne_u16_e32 vcc, 0, v14
	s_and_saveexec_b64 s[2:3], vcc
	s_cbranch_execz .LBB843_485
; %bb.480:
	s_movk_i32 s7, 0x80
	v_cmp_ne_u16_e32 vcc, s7, v14
	v_mov_b32_e32 v16, 0xffff8000
	s_and_saveexec_b64 s[8:9], vcc
	s_cbranch_execz .LBB843_484
; %bb.481:
	s_movk_i32 s7, 0x7f
	v_and_b32_e32 v28, 0x7f, v14
	v_cmp_ne_u32_e32 vcc, s7, v28
	v_mov_b32_e32 v16, 0x7f80
	s_and_saveexec_b64 s[10:11], vcc
	s_cbranch_execz .LBB843_483
; %bb.482:
	v_and_b32_e32 v16, 7, v14
	v_ffbh_u32_e32 v30, v16
	v_min_u32_e32 v32, 32, v30
	v_subrev_u32_e32 v30, 28, v32
	v_lshlrev_b64 v[30:31], v30, v[14:15]
	v_lshrrev_b32_e32 v29, 3, v28
	v_sub_u32_e32 v14, 29, v32
	v_and_b32_e32 v30, 7, v30
	v_cmp_gt_u32_e32 vcc, 8, v28
	v_cndmask_b32_e32 v14, v29, v14, vcc
	v_cndmask_b32_e32 v16, v16, v30, vcc
	v_lshlrev_b32_e32 v28, 16, v17
	v_bfrev_b32_e32 v29, 60
	v_lshlrev_b32_e32 v16, 20, v16
	v_and_b32_e32 v28, 0x80000000, v28
	v_lshl_add_u32 v14, v14, 23, v29
	v_or3_b32 v14, v28, v14, v16
	v_lshrrev_b32_e32 v16, 16, v14
.LBB843_483:
	s_or_b64 exec, exec, s[10:11]
.LBB843_484:
	s_or_b64 exec, exec, s[8:9]
.LBB843_485:
	s_or_b64 exec, exec, s[2:3]
	s_movk_i32 s2, 0xff
	v_and_b32_sdwa v30, v17, s2 dst_sel:DWORD dst_unused:UNUSED_PAD src0_sel:WORD_1 src1_sel:DWORD
	v_lshrrev_b32_e32 v14, 16, v17
	v_cmp_ne_u16_e32 vcc, 0, v30
	v_mov_b32_e32 v28, 0
	v_mov_b32_e32 v29, 0
	s_and_saveexec_b64 s[2:3], vcc
	s_cbranch_execz .LBB843_491
; %bb.486:
	s_movk_i32 s7, 0x80
	v_cmp_ne_u16_e32 vcc, s7, v30
	v_mov_b32_e32 v29, 0xffff8000
	s_and_saveexec_b64 s[8:9], vcc
	s_cbranch_execz .LBB843_490
; %bb.487:
	v_bfe_u32 v30, v17, 16, 7
	s_movk_i32 s7, 0x7f
	v_cmp_ne_u32_e32 vcc, s7, v30
	v_mov_b32_e32 v29, 0x7f80
	s_and_saveexec_b64 s[10:11], vcc
	s_cbranch_execz .LBB843_489
; %bb.488:
	v_and_b32_e32 v29, 7, v14
	v_ffbh_u32_e32 v32, v29
	v_min_u32_e32 v34, 32, v32
	v_subrev_u32_e32 v32, 28, v34
	v_lshlrev_b64 v[32:33], v32, v[14:15]
	v_lshrrev_b32_e32 v31, 3, v30
	v_sub_u32_e32 v14, 29, v34
	v_and_b32_e32 v32, 7, v32
	v_cmp_gt_u32_e32 vcc, 8, v30
	v_mov_b32_e32 v30, 24
	v_cndmask_b32_e32 v14, v31, v14, vcc
	v_cndmask_b32_e32 v29, v29, v32, vcc
	v_lshlrev_b32_sdwa v30, v30, v17 dst_sel:DWORD dst_unused:UNUSED_PAD src0_sel:DWORD src1_sel:WORD_1
	v_bfrev_b32_e32 v31, 60
	v_lshlrev_b32_e32 v29, 20, v29
	v_and_b32_e32 v30, 0x80000000, v30
	v_lshl_add_u32 v14, v14, 23, v31
	v_or3_b32 v14, v30, v14, v29
	v_lshrrev_b32_e32 v29, 16, v14
.LBB843_489:
	s_or_b64 exec, exec, s[10:11]
.LBB843_490:
	s_or_b64 exec, exec, s[8:9]
.LBB843_491:
	s_or_b64 exec, exec, s[2:3]
	s_mov_b32 s2, 0xffffff
	v_cmp_lt_u32_e32 vcc, s2, v17
	s_and_saveexec_b64 s[2:3], vcc
	s_cbranch_execz .LBB843_497
; %bb.492:
	v_lshrrev_b32_e32 v14, 24, v17
	s_movk_i32 s7, 0x80
	v_cmp_ne_u32_e32 vcc, s7, v14
	v_mov_b32_e32 v28, 0xffff8000
	s_and_saveexec_b64 s[8:9], vcc
	s_cbranch_execz .LBB843_496
; %bb.493:
	v_bfe_u32 v17, v17, 24, 7
	s_movk_i32 s7, 0x7f
	v_cmp_ne_u32_e32 vcc, s7, v17
	v_mov_b32_e32 v28, 0x7f80
	s_and_saveexec_b64 s[10:11], vcc
	s_cbranch_execz .LBB843_495
; %bb.494:
	v_and_b32_e32 v28, 7, v14
	v_ffbh_u32_e32 v30, v28
	v_min_u32_e32 v33, 32, v30
	v_subrev_u32_e32 v30, 28, v33
	v_lshlrev_b64 v[30:31], v30, v[14:15]
	v_lshrrev_b32_e32 v32, 3, v17
	v_sub_u32_e32 v31, 29, v33
	v_and_b32_e32 v30, 7, v30
	v_cmp_gt_u32_e32 vcc, 8, v17
	v_cndmask_b32_e32 v17, v32, v31, vcc
	v_cndmask_b32_e32 v28, v28, v30, vcc
	v_lshlrev_b32_e32 v14, 24, v14
	v_bfrev_b32_e32 v30, 60
	v_lshlrev_b32_e32 v28, 20, v28
	v_and_b32_e32 v14, 0x80000000, v14
	v_lshl_add_u32 v17, v17, 23, v30
	v_or3_b32 v14, v14, v17, v28
	v_lshrrev_b32_e32 v28, 16, v14
.LBB843_495:
	s_or_b64 exec, exec, s[10:11]
.LBB843_496:
	s_or_b64 exec, exec, s[8:9]
.LBB843_497:
	s_or_b64 exec, exec, s[2:3]
	s_mov_b32 s2, 0x5040100
	v_perm_b32 v25, v24, v25, s2
	v_perm_b32 v24, v15, v23, s2
	ds_read_b128 v[30:33], v22 offset:16
	v_perm_b32 v15, v28, v29, s2
	v_perm_b32 v14, v16, v27, s2
	s_waitcnt lgkmcnt(0)
	v_mfma_f32_16x16x16bf16_1k v[34:37], v[24:25], v[30:31], v[18:21]
	s_nop 6
	v_mov_b32_e32 v19, 0
	s_waitcnt vmcnt(2)
	v_cmp_ne_u16_sdwa s[8:9], v10, v19 src0_sel:BYTE_0 src1_sel:DWORD
	v_mfma_f32_16x16x16bf16_1k v[14:17], v[14:15], v[32:33], v[34:37]
	v_mov_b32_e32 v20, 0
	s_and_saveexec_b64 s[2:3], s[8:9]
	s_cbranch_execz .LBB843_503
; %bb.498:
	s_movk_i32 s7, 0x80
	v_cmp_ne_u16_sdwa s[10:11], v10, s7 src0_sel:BYTE_0 src1_sel:DWORD
	v_mov_b32_e32 v20, 0xffff8000
	s_and_saveexec_b64 s[8:9], s[10:11]
	s_cbranch_execz .LBB843_502
; %bb.499:
	s_movk_i32 s7, 0x7f
	v_and_b32_e32 v18, 0x7f, v10
	v_cmp_ne_u32_e32 vcc, s7, v18
	v_mov_b32_e32 v20, 0x7f80
	s_and_saveexec_b64 s[10:11], vcc
	s_cbranch_execz .LBB843_501
; %bb.500:
	v_and_b32_e32 v23, 7, v10
	v_ffbh_u32_e32 v20, v23
	v_min_u32_e32 v25, 32, v20
	v_subrev_u32_e32 v20, 28, v25
	v_lshlrev_b64 v[20:21], v20, v[10:11]
	v_lshrrev_b32_e32 v24, 3, v18
	v_sub_u32_e32 v21, 29, v25
	v_and_b32_e32 v20, 7, v20
	v_cmp_gt_u32_e32 vcc, 8, v18
	v_cndmask_b32_e32 v18, v24, v21, vcc
	v_cndmask_b32_e32 v20, v23, v20, vcc
	v_lshlrev_b32_e32 v21, 24, v10
	v_bfrev_b32_e32 v23, 60
	v_lshlrev_b32_e32 v20, 20, v20
	v_and_b32_e32 v21, 0x80000000, v21
	v_lshl_add_u32 v18, v18, 23, v23
	v_or3_b32 v18, v21, v18, v20
	v_lshrrev_b32_e32 v20, 16, v18
.LBB843_501:
	s_or_b64 exec, exec, s[10:11]
.LBB843_502:
	s_or_b64 exec, exec, s[8:9]
.LBB843_503:
	s_or_b64 exec, exec, s[2:3]
	v_lshrrev_b16_e32 v18, 8, v10
	v_cmp_ne_u16_e32 vcc, 0, v18
	s_and_saveexec_b64 s[2:3], vcc
	s_cbranch_execz .LBB843_509
; %bb.504:
	s_movk_i32 s7, 0x80
	v_cmp_ne_u16_e32 vcc, s7, v18
	v_mov_b32_e32 v19, 0xffff8000
	s_and_saveexec_b64 s[8:9], vcc
	s_cbranch_execz .LBB843_508
; %bb.505:
	s_movk_i32 s7, 0x7f
	v_and_b32_e32 v21, 0x7f, v18
	v_cmp_ne_u32_e32 vcc, s7, v21
	v_mov_b32_e32 v19, 0x7f80
	s_and_saveexec_b64 s[10:11], vcc
	s_cbranch_execz .LBB843_507
; %bb.506:
	v_and_b32_e32 v23, 7, v18
	v_ffbh_u32_e32 v19, v23
	v_min_u32_e32 v25, 32, v19
	v_subrev_u32_e32 v19, 28, v25
	v_lshlrev_b64 v[18:19], v19, v[18:19]
	v_lshrrev_b32_e32 v24, 3, v21
	v_sub_u32_e32 v19, 29, v25
	v_and_b32_e32 v18, 7, v18
	v_cmp_gt_u32_e32 vcc, 8, v21
	v_cndmask_b32_e32 v19, v24, v19, vcc
	v_cndmask_b32_e32 v18, v23, v18, vcc
	v_lshlrev_b32_e32 v21, 16, v10
	v_bfrev_b32_e32 v23, 60
	v_lshlrev_b32_e32 v18, 20, v18
	v_and_b32_e32 v21, 0x80000000, v21
	v_lshl_add_u32 v19, v19, 23, v23
	v_or3_b32 v18, v21, v19, v18
	v_lshrrev_b32_e32 v19, 16, v18
.LBB843_507:
	s_or_b64 exec, exec, s[10:11]
.LBB843_508:
	s_or_b64 exec, exec, s[8:9]
.LBB843_509:
	s_or_b64 exec, exec, s[2:3]
	s_movk_i32 s2, 0xff
	v_and_b32_sdwa v24, v10, s2 dst_sel:DWORD dst_unused:UNUSED_PAD src0_sel:WORD_1 src1_sel:DWORD
	v_lshrrev_b32_e32 v18, 16, v10
	v_cmp_ne_u16_e32 vcc, 0, v24
	v_mov_b32_e32 v21, 0
	v_mov_b32_e32 v23, 0
	s_and_saveexec_b64 s[2:3], vcc
	s_cbranch_execz .LBB843_515
; %bb.510:
	s_movk_i32 s7, 0x80
	v_cmp_ne_u16_e32 vcc, s7, v24
	v_mov_b32_e32 v23, 0xffff8000
	s_and_saveexec_b64 s[8:9], vcc
	s_cbranch_execz .LBB843_514
; %bb.511:
	v_bfe_u32 v24, v10, 16, 7
	s_movk_i32 s7, 0x7f
	v_cmp_ne_u32_e32 vcc, s7, v24
	v_mov_b32_e32 v23, 0x7f80
	s_and_saveexec_b64 s[10:11], vcc
	s_cbranch_execz .LBB843_513
; %bb.512:
	v_and_b32_e32 v23, 7, v18
	v_ffbh_u32_e32 v27, v23
	v_min_u32_e32 v27, 32, v27
	v_subrev_u32_e32 v28, 28, v27
	v_lshlrev_b64 v[28:29], v28, v[18:19]
	v_lshrrev_b32_e32 v25, 3, v24
	v_sub_u32_e32 v18, 29, v27
	v_and_b32_e32 v27, 7, v28
	v_cmp_gt_u32_e32 vcc, 8, v24
	v_mov_b32_e32 v24, 24
	v_cndmask_b32_e32 v18, v25, v18, vcc
	v_cndmask_b32_e32 v23, v23, v27, vcc
	v_lshlrev_b32_sdwa v24, v24, v10 dst_sel:DWORD dst_unused:UNUSED_PAD src0_sel:DWORD src1_sel:WORD_1
	v_bfrev_b32_e32 v25, 60
	v_lshlrev_b32_e32 v23, 20, v23
	v_and_b32_e32 v24, 0x80000000, v24
	v_lshl_add_u32 v18, v18, 23, v25
	v_or3_b32 v18, v24, v18, v23
	v_lshrrev_b32_e32 v23, 16, v18
.LBB843_513:
	s_or_b64 exec, exec, s[10:11]
.LBB843_514:
	s_or_b64 exec, exec, s[8:9]
.LBB843_515:
	s_or_b64 exec, exec, s[2:3]
	s_mov_b32 s2, 0xffffff
	v_cmp_lt_u32_e32 vcc, s2, v10
	s_and_saveexec_b64 s[2:3], vcc
	s_cbranch_execz .LBB843_521
; %bb.516:
	v_lshrrev_b32_e32 v18, 24, v10
	s_movk_i32 s7, 0x80
	v_cmp_ne_u32_e32 vcc, s7, v18
	v_mov_b32_e32 v21, 0xffff8000
	s_and_saveexec_b64 s[8:9], vcc
	s_cbranch_execz .LBB843_520
; %bb.517:
	v_bfe_u32 v10, v10, 24, 7
	s_movk_i32 s7, 0x7f
	v_cmp_ne_u32_e32 vcc, s7, v10
	v_mov_b32_e32 v21, 0x7f80
	s_and_saveexec_b64 s[10:11], vcc
	s_cbranch_execz .LBB843_519
; %bb.518:
	v_and_b32_e32 v21, 7, v18
	v_ffbh_u32_e32 v24, v21
	v_min_u32_e32 v28, 32, v24
	v_subrev_u32_e32 v24, 28, v28
	v_lshlrev_b64 v[24:25], v24, v[18:19]
	v_lshrrev_b32_e32 v27, 3, v10
	v_sub_u32_e32 v25, 29, v28
	v_and_b32_e32 v24, 7, v24
	v_cmp_gt_u32_e32 vcc, 8, v10
	v_cndmask_b32_e32 v10, v27, v25, vcc
	v_cndmask_b32_e32 v21, v21, v24, vcc
	v_lshlrev_b32_e32 v18, 24, v18
	v_bfrev_b32_e32 v24, 60
	v_lshlrev_b32_e32 v21, 20, v21
	v_and_b32_e32 v18, 0x80000000, v18
	v_lshl_add_u32 v10, v10, 23, v24
	v_or3_b32 v10, v18, v10, v21
	v_lshrrev_b32_e32 v21, 16, v10
.LBB843_519:
	s_or_b64 exec, exec, s[10:11]
.LBB843_520:
	s_or_b64 exec, exec, s[8:9]
.LBB843_521:
	s_or_b64 exec, exec, s[2:3]
	v_mov_b32_e32 v18, 0
	v_cmp_ne_u16_sdwa s[8:9], v11, v18 src0_sel:BYTE_0 src1_sel:DWORD
	v_mov_b32_e32 v24, 0
	s_and_saveexec_b64 s[2:3], s[8:9]
	s_cbranch_execz .LBB843_527
; %bb.522:
	s_movk_i32 s7, 0x80
	v_cmp_ne_u16_sdwa s[10:11], v11, s7 src0_sel:BYTE_0 src1_sel:DWORD
	v_mov_b32_e32 v24, 0xffff8000
	s_and_saveexec_b64 s[8:9], s[10:11]
	s_cbranch_execz .LBB843_526
; %bb.523:
	s_movk_i32 s7, 0x7f
	v_and_b32_e32 v10, 0x7f, v11
	v_cmp_ne_u32_e32 vcc, s7, v10
	v_mov_b32_e32 v24, 0x7f80
	s_and_saveexec_b64 s[10:11], vcc
	s_cbranch_execz .LBB843_525
; %bb.524:
	v_and_b32_e32 v27, 7, v11
	v_ffbh_u32_e32 v25, v27
	v_min_u32_e32 v29, 32, v25
	v_mov_b32_e32 v24, v11
	v_subrev_u32_e32 v25, 28, v29
	v_lshlrev_b64 v[24:25], v25, v[24:25]
	v_lshrrev_b32_e32 v28, 3, v10
	v_sub_u32_e32 v25, 29, v29
	v_and_b32_e32 v24, 7, v24
	v_cmp_gt_u32_e32 vcc, 8, v10
	v_cndmask_b32_e32 v10, v28, v25, vcc
	v_cndmask_b32_e32 v24, v27, v24, vcc
	v_lshlrev_b32_e32 v25, 24, v11
	v_bfrev_b32_e32 v27, 60
	v_lshlrev_b32_e32 v24, 20, v24
	v_and_b32_e32 v25, 0x80000000, v25
	v_lshl_add_u32 v10, v10, 23, v27
	v_or3_b32 v10, v25, v10, v24
	v_lshrrev_b32_e32 v24, 16, v10
.LBB843_525:
	s_or_b64 exec, exec, s[10:11]
.LBB843_526:
	s_or_b64 exec, exec, s[8:9]
.LBB843_527:
	s_or_b64 exec, exec, s[2:3]
	v_lshrrev_b16_e32 v10, 8, v11
	v_cmp_ne_u16_e32 vcc, 0, v10
	s_and_saveexec_b64 s[2:3], vcc
	s_cbranch_execz .LBB843_533
; %bb.528:
	s_movk_i32 s7, 0x80
	v_cmp_ne_u16_e32 vcc, s7, v10
	v_mov_b32_e32 v18, 0xffff8000
	s_and_saveexec_b64 s[8:9], vcc
	s_cbranch_execz .LBB843_532
; %bb.529:
	s_movk_i32 s7, 0x7f
	v_and_b32_e32 v25, 0x7f, v10
	v_cmp_ne_u32_e32 vcc, s7, v25
	v_mov_b32_e32 v18, 0x7f80
	s_and_saveexec_b64 s[10:11], vcc
	s_cbranch_execz .LBB843_531
; %bb.530:
	v_and_b32_e32 v18, 7, v10
	v_ffbh_u32_e32 v28, v18
	v_min_u32_e32 v30, 32, v28
	v_subrev_u32_e32 v28, 28, v30
	v_lshlrev_b64 v[28:29], v28, v[10:11]
	v_lshrrev_b32_e32 v27, 3, v25
	v_sub_u32_e32 v10, 29, v30
	v_and_b32_e32 v28, 7, v28
	v_cmp_gt_u32_e32 vcc, 8, v25
	v_cndmask_b32_e32 v10, v27, v10, vcc
	v_cndmask_b32_e32 v18, v18, v28, vcc
	v_lshlrev_b32_e32 v25, 16, v11
	v_bfrev_b32_e32 v27, 60
	v_lshlrev_b32_e32 v18, 20, v18
	v_and_b32_e32 v25, 0x80000000, v25
	v_lshl_add_u32 v10, v10, 23, v27
	v_or3_b32 v10, v25, v10, v18
	v_lshrrev_b32_e32 v18, 16, v10
.LBB843_531:
	s_or_b64 exec, exec, s[10:11]
.LBB843_532:
	s_or_b64 exec, exec, s[8:9]
.LBB843_533:
	s_or_b64 exec, exec, s[2:3]
	s_movk_i32 s2, 0xff
	v_and_b32_sdwa v28, v11, s2 dst_sel:DWORD dst_unused:UNUSED_PAD src0_sel:WORD_1 src1_sel:DWORD
	v_lshrrev_b32_e32 v10, 16, v11
	v_cmp_ne_u16_e32 vcc, 0, v28
	v_mov_b32_e32 v25, 0
	v_mov_b32_e32 v27, 0
	s_and_saveexec_b64 s[2:3], vcc
	s_cbranch_execz .LBB843_539
; %bb.534:
	s_movk_i32 s7, 0x80
	v_cmp_ne_u16_e32 vcc, s7, v28
	v_mov_b32_e32 v27, 0xffff8000
	s_and_saveexec_b64 s[8:9], vcc
	s_cbranch_execz .LBB843_538
; %bb.535:
	v_bfe_u32 v28, v11, 16, 7
	s_movk_i32 s7, 0x7f
	v_cmp_ne_u32_e32 vcc, s7, v28
	v_mov_b32_e32 v27, 0x7f80
	s_and_saveexec_b64 s[10:11], vcc
	s_cbranch_execz .LBB843_537
; %bb.536:
	v_and_b32_e32 v27, 7, v10
	v_ffbh_u32_e32 v30, v27
	v_min_u32_e32 v32, 32, v30
	v_subrev_u32_e32 v30, 28, v32
	v_lshlrev_b64 v[30:31], v30, v[10:11]
	v_lshrrev_b32_e32 v29, 3, v28
	v_sub_u32_e32 v10, 29, v32
	v_and_b32_e32 v30, 7, v30
	v_cmp_gt_u32_e32 vcc, 8, v28
	v_mov_b32_e32 v28, 24
	v_cndmask_b32_e32 v10, v29, v10, vcc
	v_cndmask_b32_e32 v27, v27, v30, vcc
	v_lshlrev_b32_sdwa v28, v28, v11 dst_sel:DWORD dst_unused:UNUSED_PAD src0_sel:DWORD src1_sel:WORD_1
	v_bfrev_b32_e32 v29, 60
	v_lshlrev_b32_e32 v27, 20, v27
	v_and_b32_e32 v28, 0x80000000, v28
	v_lshl_add_u32 v10, v10, 23, v29
	v_or3_b32 v10, v28, v10, v27
	v_lshrrev_b32_e32 v27, 16, v10
.LBB843_537:
	s_or_b64 exec, exec, s[10:11]
.LBB843_538:
	s_or_b64 exec, exec, s[8:9]
.LBB843_539:
	s_or_b64 exec, exec, s[2:3]
	s_mov_b32 s2, 0xffffff
	v_cmp_lt_u32_e32 vcc, s2, v11
	s_and_saveexec_b64 s[2:3], vcc
	s_cbranch_execz .LBB843_545
; %bb.540:
	v_lshrrev_b32_e32 v10, 24, v11
	s_movk_i32 s7, 0x80
	v_cmp_ne_u32_e32 vcc, s7, v10
	v_mov_b32_e32 v25, 0xffff8000
	s_and_saveexec_b64 s[8:9], vcc
	s_cbranch_execz .LBB843_544
; %bb.541:
	v_bfe_u32 v11, v11, 24, 7
	s_movk_i32 s7, 0x7f
	v_cmp_ne_u32_e32 vcc, s7, v11
	v_mov_b32_e32 v25, 0x7f80
	s_and_saveexec_b64 s[10:11], vcc
	s_cbranch_execz .LBB843_543
; %bb.542:
	v_and_b32_e32 v25, 7, v10
	v_ffbh_u32_e32 v28, v25
	v_min_u32_e32 v31, 32, v28
	v_subrev_u32_e32 v28, 28, v31
	v_lshlrev_b64 v[28:29], v28, v[10:11]
	v_lshrrev_b32_e32 v30, 3, v11
	v_sub_u32_e32 v29, 29, v31
	v_and_b32_e32 v28, 7, v28
	v_cmp_gt_u32_e32 vcc, 8, v11
	v_cndmask_b32_e32 v11, v30, v29, vcc
	v_cndmask_b32_e32 v25, v25, v28, vcc
	v_lshlrev_b32_e32 v10, 24, v10
	v_bfrev_b32_e32 v28, 60
	v_lshlrev_b32_e32 v25, 20, v25
	v_and_b32_e32 v10, 0x80000000, v10
	v_lshl_add_u32 v11, v11, 23, v28
	v_or3_b32 v10, v10, v11, v25
	v_lshrrev_b32_e32 v25, 16, v10
.LBB843_543:
	s_or_b64 exec, exec, s[10:11]
.LBB843_544:
	s_or_b64 exec, exec, s[8:9]
.LBB843_545:
	s_or_b64 exec, exec, s[2:3]
	s_mov_b32 s2, 0x5040100
	v_perm_b32 v11, v21, v23, s2
	v_perm_b32 v10, v19, v20, s2
	ds_read_b128 v[28:31], v22 offset:2048
	v_perm_b32 v21, v25, v27, s2
	v_perm_b32 v20, v18, v24, s2
	s_waitcnt lgkmcnt(0)
	v_mfma_f32_16x16x16bf16_1k v[14:17], v[10:11], v[28:29], v[14:17]
	v_mov_b32_e32 v11, 0
	v_cmp_ne_u16_sdwa s[8:9], v12, v11 src0_sel:BYTE_0 src1_sel:DWORD
	v_mov_b32_e32 v18, 0
	v_mfma_f32_16x16x16bf16_1k v[14:17], v[20:21], v[30:31], v[14:17]
	s_and_saveexec_b64 s[2:3], s[8:9]
	s_cbranch_execz .LBB843_551
; %bb.546:
	s_movk_i32 s7, 0x80
	v_cmp_ne_u16_sdwa s[10:11], v12, s7 src0_sel:BYTE_0 src1_sel:DWORD
	v_mov_b32_e32 v18, 0xffff8000
	s_and_saveexec_b64 s[8:9], s[10:11]
	s_cbranch_execz .LBB843_550
; %bb.547:
	s_movk_i32 s7, 0x7f
	v_and_b32_e32 v10, 0x7f, v12
	v_cmp_ne_u32_e32 vcc, s7, v10
	v_mov_b32_e32 v18, 0x7f80
	s_and_saveexec_b64 s[10:11], vcc
	s_cbranch_execz .LBB843_549
; %bb.548:
	v_and_b32_e32 v20, 7, v12
	v_ffbh_u32_e32 v18, v20
	v_min_u32_e32 v23, 32, v18
	v_subrev_u32_e32 v18, 28, v23
	v_lshlrev_b64 v[18:19], v18, v[12:13]
	v_lshrrev_b32_e32 v21, 3, v10
	v_sub_u32_e32 v19, 29, v23
	v_and_b32_e32 v18, 7, v18
	v_cmp_gt_u32_e32 vcc, 8, v10
	v_cndmask_b32_e32 v10, v21, v19, vcc
	v_cndmask_b32_e32 v18, v20, v18, vcc
	v_lshlrev_b32_e32 v19, 24, v12
	v_bfrev_b32_e32 v20, 60
	v_lshlrev_b32_e32 v18, 20, v18
	v_and_b32_e32 v19, 0x80000000, v19
	v_lshl_add_u32 v10, v10, 23, v20
	v_or3_b32 v10, v19, v10, v18
	v_lshrrev_b32_e32 v18, 16, v10
.LBB843_549:
	s_or_b64 exec, exec, s[10:11]
.LBB843_550:
	s_or_b64 exec, exec, s[8:9]
.LBB843_551:
	s_or_b64 exec, exec, s[2:3]
	v_lshrrev_b16_e32 v10, 8, v12
	v_cmp_ne_u16_e32 vcc, 0, v10
	s_and_saveexec_b64 s[2:3], vcc
	s_cbranch_execz .LBB843_557
; %bb.552:
	s_movk_i32 s7, 0x80
	v_cmp_ne_u16_e32 vcc, s7, v10
	v_mov_b32_e32 v11, 0xffff8000
	s_and_saveexec_b64 s[8:9], vcc
	s_cbranch_execz .LBB843_556
; %bb.553:
	s_movk_i32 s7, 0x7f
	v_and_b32_e32 v19, 0x7f, v10
	v_cmp_ne_u32_e32 vcc, s7, v19
	v_mov_b32_e32 v11, 0x7f80
	s_and_saveexec_b64 s[10:11], vcc
	s_cbranch_execz .LBB843_555
; %bb.554:
	v_and_b32_e32 v20, 7, v10
	v_ffbh_u32_e32 v11, v20
	v_min_u32_e32 v23, 32, v11
	v_subrev_u32_e32 v11, 28, v23
	v_lshlrev_b64 v[10:11], v11, v[10:11]
	v_lshrrev_b32_e32 v21, 3, v19
	v_sub_u32_e32 v11, 29, v23
	v_and_b32_e32 v10, 7, v10
	v_cmp_gt_u32_e32 vcc, 8, v19
	v_cndmask_b32_e32 v11, v21, v11, vcc
	v_cndmask_b32_e32 v10, v20, v10, vcc
	v_lshlrev_b32_e32 v19, 16, v12
	v_bfrev_b32_e32 v20, 60
	v_lshlrev_b32_e32 v10, 20, v10
	v_and_b32_e32 v19, 0x80000000, v19
	v_lshl_add_u32 v11, v11, 23, v20
	v_or3_b32 v10, v19, v11, v10
	v_lshrrev_b32_e32 v11, 16, v10
.LBB843_555:
	s_or_b64 exec, exec, s[10:11]
.LBB843_556:
	s_or_b64 exec, exec, s[8:9]
.LBB843_557:
	s_or_b64 exec, exec, s[2:3]
	s_movk_i32 s2, 0xff
	v_and_b32_sdwa v21, v12, s2 dst_sel:DWORD dst_unused:UNUSED_PAD src0_sel:WORD_1 src1_sel:DWORD
	v_lshrrev_b32_e32 v10, 16, v12
	v_cmp_ne_u16_e32 vcc, 0, v21
	v_mov_b32_e32 v19, 0
	v_mov_b32_e32 v20, 0
	s_and_saveexec_b64 s[2:3], vcc
	s_cbranch_execz .LBB843_563
; %bb.558:
	s_movk_i32 s7, 0x80
	v_cmp_ne_u16_e32 vcc, s7, v21
	v_mov_b32_e32 v20, 0xffff8000
	s_and_saveexec_b64 s[8:9], vcc
	s_cbranch_execz .LBB843_562
; %bb.559:
	v_bfe_u32 v21, v12, 16, 7
	s_movk_i32 s7, 0x7f
	v_cmp_ne_u32_e32 vcc, s7, v21
	v_mov_b32_e32 v20, 0x7f80
	s_and_saveexec_b64 s[10:11], vcc
	s_cbranch_execz .LBB843_561
; %bb.560:
	v_and_b32_e32 v20, 7, v10
	v_ffbh_u32_e32 v24, v20
	v_min_u32_e32 v27, 32, v24
	v_subrev_u32_e32 v24, 28, v27
	v_lshlrev_b64 v[24:25], v24, v[10:11]
	v_lshrrev_b32_e32 v23, 3, v21
	v_sub_u32_e32 v10, 29, v27
	v_and_b32_e32 v24, 7, v24
	v_cmp_gt_u32_e32 vcc, 8, v21
	v_mov_b32_e32 v21, 24
	v_cndmask_b32_e32 v10, v23, v10, vcc
	v_cndmask_b32_e32 v20, v20, v24, vcc
	v_lshlrev_b32_sdwa v21, v21, v12 dst_sel:DWORD dst_unused:UNUSED_PAD src0_sel:DWORD src1_sel:WORD_1
	v_bfrev_b32_e32 v23, 60
	v_lshlrev_b32_e32 v20, 20, v20
	v_and_b32_e32 v21, 0x80000000, v21
	v_lshl_add_u32 v10, v10, 23, v23
	v_or3_b32 v10, v21, v10, v20
	v_lshrrev_b32_e32 v20, 16, v10
.LBB843_561:
	s_or_b64 exec, exec, s[10:11]
.LBB843_562:
	s_or_b64 exec, exec, s[8:9]
.LBB843_563:
	s_or_b64 exec, exec, s[2:3]
	s_mov_b32 s2, 0xffffff
	v_cmp_lt_u32_e32 vcc, s2, v12
	s_and_saveexec_b64 s[2:3], vcc
	s_cbranch_execz .LBB843_569
; %bb.564:
	v_lshrrev_b32_e32 v10, 24, v12
	s_movk_i32 s7, 0x80
	v_cmp_ne_u32_e32 vcc, s7, v10
	v_mov_b32_e32 v19, 0xffff8000
	s_and_saveexec_b64 s[8:9], vcc
	s_cbranch_execz .LBB843_568
; %bb.565:
	v_bfe_u32 v12, v12, 24, 7
	s_movk_i32 s7, 0x7f
	v_cmp_ne_u32_e32 vcc, s7, v12
	v_mov_b32_e32 v19, 0x7f80
	s_and_saveexec_b64 s[10:11], vcc
	s_cbranch_execz .LBB843_567
; %bb.566:
	v_and_b32_e32 v19, 7, v10
	v_ffbh_u32_e32 v23, v19
	v_min_u32_e32 v23, 32, v23
	v_subrev_u32_e32 v24, 28, v23
	v_lshlrev_b64 v[24:25], v24, v[10:11]
	v_lshrrev_b32_e32 v21, 3, v12
	v_sub_u32_e32 v23, 29, v23
	v_and_b32_e32 v24, 7, v24
	v_cmp_gt_u32_e32 vcc, 8, v12
	v_cndmask_b32_e32 v12, v21, v23, vcc
	v_cndmask_b32_e32 v19, v19, v24, vcc
	v_lshlrev_b32_e32 v10, 24, v10
	v_bfrev_b32_e32 v21, 60
	v_lshlrev_b32_e32 v19, 20, v19
	v_and_b32_e32 v10, 0x80000000, v10
	v_lshl_add_u32 v12, v12, 23, v21
	v_or3_b32 v10, v10, v12, v19
	v_lshrrev_b32_e32 v19, 16, v10
.LBB843_567:
	s_or_b64 exec, exec, s[10:11]
.LBB843_568:
	s_or_b64 exec, exec, s[8:9]
.LBB843_569:
	s_or_b64 exec, exec, s[2:3]
	v_mov_b32_e32 v12, 0
	v_cmp_ne_u16_sdwa s[8:9], v13, v12 src0_sel:BYTE_0 src1_sel:DWORD
	v_mov_b32_e32 v21, 0
	s_and_saveexec_b64 s[2:3], s[8:9]
	s_cbranch_execz .LBB843_575
; %bb.570:
	s_movk_i32 s7, 0x80
	v_cmp_ne_u16_sdwa s[10:11], v13, s7 src0_sel:BYTE_0 src1_sel:DWORD
	v_mov_b32_e32 v21, 0xffff8000
	s_and_saveexec_b64 s[8:9], s[10:11]
	s_cbranch_execz .LBB843_574
; %bb.571:
	s_movk_i32 s7, 0x7f
	v_and_b32_e32 v10, 0x7f, v13
	v_cmp_ne_u32_e32 vcc, s7, v10
	v_mov_b32_e32 v21, 0x7f80
	s_and_saveexec_b64 s[10:11], vcc
	s_cbranch_execz .LBB843_573
; %bb.572:
	v_and_b32_e32 v21, 7, v13
	v_ffbh_u32_e32 v25, v21
	v_min_u32_e32 v27, 32, v25
	v_mov_b32_e32 v24, v13
	v_subrev_u32_e32 v25, 28, v27
	v_lshlrev_b64 v[24:25], v25, v[24:25]
	v_lshrrev_b32_e32 v23, 3, v10
	v_sub_u32_e32 v25, 29, v27
	v_and_b32_e32 v24, 7, v24
	v_cmp_gt_u32_e32 vcc, 8, v10
	v_cndmask_b32_e32 v10, v23, v25, vcc
	v_cndmask_b32_e32 v21, v21, v24, vcc
	v_lshlrev_b32_e32 v23, 24, v13
	v_bfrev_b32_e32 v24, 60
	v_lshlrev_b32_e32 v21, 20, v21
	v_and_b32_e32 v23, 0x80000000, v23
	v_lshl_add_u32 v10, v10, 23, v24
	v_or3_b32 v10, v23, v10, v21
	v_lshrrev_b32_e32 v21, 16, v10
.LBB843_573:
	s_or_b64 exec, exec, s[10:11]
.LBB843_574:
	s_or_b64 exec, exec, s[8:9]
.LBB843_575:
	s_or_b64 exec, exec, s[2:3]
	v_lshrrev_b16_e32 v10, 8, v13
	v_cmp_ne_u16_e32 vcc, 0, v10
	s_and_saveexec_b64 s[2:3], vcc
	s_cbranch_execz .LBB843_581
; %bb.576:
	s_movk_i32 s7, 0x80
	v_cmp_ne_u16_e32 vcc, s7, v10
	v_mov_b32_e32 v12, 0xffff8000
	s_and_saveexec_b64 s[8:9], vcc
	s_cbranch_execz .LBB843_580
; %bb.577:
	s_movk_i32 s7, 0x7f
	v_and_b32_e32 v23, 0x7f, v10
	v_cmp_ne_u32_e32 vcc, s7, v23
	v_mov_b32_e32 v12, 0x7f80
	s_and_saveexec_b64 s[10:11], vcc
	s_cbranch_execz .LBB843_579
; %bb.578:
	v_and_b32_e32 v12, 7, v10
	v_ffbh_u32_e32 v24, v12
	v_min_u32_e32 v28, 32, v24
	v_subrev_u32_e32 v24, 28, v28
	v_lshlrev_b64 v[24:25], v24, v[10:11]
	v_lshrrev_b32_e32 v27, 3, v23
	v_sub_u32_e32 v10, 29, v28
	v_and_b32_e32 v24, 7, v24
	v_cmp_gt_u32_e32 vcc, 8, v23
	v_cndmask_b32_e32 v10, v27, v10, vcc
	v_cndmask_b32_e32 v12, v12, v24, vcc
	v_lshlrev_b32_e32 v23, 16, v13
	v_bfrev_b32_e32 v24, 60
	v_lshlrev_b32_e32 v12, 20, v12
	v_and_b32_e32 v23, 0x80000000, v23
	v_lshl_add_u32 v10, v10, 23, v24
	v_or3_b32 v10, v23, v10, v12
	v_lshrrev_b32_e32 v12, 16, v10
.LBB843_579:
	s_or_b64 exec, exec, s[10:11]
.LBB843_580:
	s_or_b64 exec, exec, s[8:9]
.LBB843_581:
	s_or_b64 exec, exec, s[2:3]
	s_movk_i32 s2, 0xff
	v_and_b32_sdwa v25, v13, s2 dst_sel:DWORD dst_unused:UNUSED_PAD src0_sel:WORD_1 src1_sel:DWORD
	v_lshrrev_b32_e32 v10, 16, v13
	v_cmp_ne_u16_e32 vcc, 0, v25
	v_mov_b32_e32 v23, 0
	v_mov_b32_e32 v24, 0
	s_and_saveexec_b64 s[2:3], vcc
	s_cbranch_execz .LBB843_587
; %bb.582:
	s_movk_i32 s7, 0x80
	v_cmp_ne_u16_e32 vcc, s7, v25
	v_mov_b32_e32 v24, 0xffff8000
	s_and_saveexec_b64 s[8:9], vcc
	s_cbranch_execz .LBB843_586
; %bb.583:
	v_bfe_u32 v25, v13, 16, 7
	s_movk_i32 s7, 0x7f
	v_cmp_ne_u32_e32 vcc, s7, v25
	v_mov_b32_e32 v24, 0x7f80
	s_and_saveexec_b64 s[10:11], vcc
	s_cbranch_execz .LBB843_585
; %bb.584:
	v_and_b32_e32 v24, 7, v10
	v_ffbh_u32_e32 v28, v24
	v_min_u32_e32 v30, 32, v28
	v_subrev_u32_e32 v28, 28, v30
	v_lshlrev_b64 v[28:29], v28, v[10:11]
	v_lshrrev_b32_e32 v27, 3, v25
	v_sub_u32_e32 v10, 29, v30
	v_and_b32_e32 v28, 7, v28
	v_cmp_gt_u32_e32 vcc, 8, v25
	v_mov_b32_e32 v25, 24
	v_cndmask_b32_e32 v10, v27, v10, vcc
	v_cndmask_b32_e32 v24, v24, v28, vcc
	v_lshlrev_b32_sdwa v25, v25, v13 dst_sel:DWORD dst_unused:UNUSED_PAD src0_sel:DWORD src1_sel:WORD_1
	v_bfrev_b32_e32 v27, 60
	v_lshlrev_b32_e32 v24, 20, v24
	v_and_b32_e32 v25, 0x80000000, v25
	v_lshl_add_u32 v10, v10, 23, v27
	v_or3_b32 v10, v25, v10, v24
	v_lshrrev_b32_e32 v24, 16, v10
.LBB843_585:
	s_or_b64 exec, exec, s[10:11]
.LBB843_586:
	s_or_b64 exec, exec, s[8:9]
.LBB843_587:
	s_or_b64 exec, exec, s[2:3]
	s_mov_b32 s2, 0xffffff
	v_cmp_lt_u32_e32 vcc, s2, v13
	s_and_saveexec_b64 s[2:3], vcc
	s_cbranch_execz .LBB843_593
; %bb.588:
	v_lshrrev_b32_e32 v10, 24, v13
	s_movk_i32 s7, 0x80
	v_cmp_ne_u32_e32 vcc, s7, v10
	v_mov_b32_e32 v23, 0xffff8000
	s_and_saveexec_b64 s[8:9], vcc
	s_cbranch_execz .LBB843_592
; %bb.589:
	v_bfe_u32 v13, v13, 24, 7
	s_movk_i32 s7, 0x7f
	v_cmp_ne_u32_e32 vcc, s7, v13
	v_mov_b32_e32 v23, 0x7f80
	s_and_saveexec_b64 s[10:11], vcc
	s_cbranch_execz .LBB843_591
; %bb.590:
	v_and_b32_e32 v23, 7, v10
	v_ffbh_u32_e32 v27, v23
	v_min_u32_e32 v27, 32, v27
	v_subrev_u32_e32 v28, 28, v27
	v_lshlrev_b64 v[28:29], v28, v[10:11]
	v_lshrrev_b32_e32 v25, 3, v13
	v_sub_u32_e32 v27, 29, v27
	v_and_b32_e32 v28, 7, v28
	v_cmp_gt_u32_e32 vcc, 8, v13
	v_cndmask_b32_e32 v13, v25, v27, vcc
	v_cndmask_b32_e32 v23, v23, v28, vcc
	v_lshlrev_b32_e32 v10, 24, v10
	v_bfrev_b32_e32 v25, 60
	v_lshlrev_b32_e32 v23, 20, v23
	v_and_b32_e32 v10, 0x80000000, v10
	v_lshl_add_u32 v13, v13, 23, v25
	v_or3_b32 v10, v10, v13, v23
	v_lshrrev_b32_e32 v23, 16, v10
.LBB843_591:
	s_or_b64 exec, exec, s[10:11]
.LBB843_592:
	s_or_b64 exec, exec, s[8:9]
.LBB843_593:
	s_or_b64 exec, exec, s[2:3]
	s_mov_b32 s2, 0x5040100
	v_perm_b32 v19, v19, v20, s2
	v_perm_b32 v18, v11, v18, s2
	ds_read_b128 v[28:31], v22 offset:2064
	v_perm_b32 v11, v23, v24, s2
	v_perm_b32 v10, v12, v21, s2
	s_waitcnt lgkmcnt(0)
	v_mfma_f32_16x16x16bf16_1k v[32:35], v[18:19], v[28:29], v[14:17]
	s_nop 6
	v_mov_b32_e32 v15, 0
	s_waitcnt vmcnt(1)
	v_cmp_ne_u16_sdwa s[8:9], v6, v15 src0_sel:BYTE_0 src1_sel:DWORD
	v_mfma_f32_16x16x16bf16_1k v[10:13], v[10:11], v[30:31], v[32:35]
	v_mov_b32_e32 v16, 0
	s_and_saveexec_b64 s[2:3], s[8:9]
	s_cbranch_execz .LBB843_599
; %bb.594:
	s_movk_i32 s7, 0x80
	v_cmp_ne_u16_sdwa s[10:11], v6, s7 src0_sel:BYTE_0 src1_sel:DWORD
	v_mov_b32_e32 v16, 0xffff8000
	s_and_saveexec_b64 s[8:9], s[10:11]
	s_cbranch_execz .LBB843_598
; %bb.595:
	s_movk_i32 s7, 0x7f
	v_and_b32_e32 v14, 0x7f, v6
	v_cmp_ne_u32_e32 vcc, s7, v14
	v_mov_b32_e32 v16, 0x7f80
	s_and_saveexec_b64 s[10:11], vcc
	s_cbranch_execz .LBB843_597
; %bb.596:
	v_and_b32_e32 v18, 7, v6
	v_ffbh_u32_e32 v16, v18
	v_min_u32_e32 v20, 32, v16
	v_subrev_u32_e32 v16, 28, v20
	v_lshlrev_b64 v[16:17], v16, v[6:7]
	v_lshrrev_b32_e32 v19, 3, v14
	v_sub_u32_e32 v17, 29, v20
	v_and_b32_e32 v16, 7, v16
	v_cmp_gt_u32_e32 vcc, 8, v14
	v_cndmask_b32_e32 v14, v19, v17, vcc
	v_cndmask_b32_e32 v16, v18, v16, vcc
	v_lshlrev_b32_e32 v17, 24, v6
	v_bfrev_b32_e32 v18, 60
	v_lshlrev_b32_e32 v16, 20, v16
	v_and_b32_e32 v17, 0x80000000, v17
	v_lshl_add_u32 v14, v14, 23, v18
	v_or3_b32 v14, v17, v14, v16
	v_lshrrev_b32_e32 v16, 16, v14
.LBB843_597:
	s_or_b64 exec, exec, s[10:11]
.LBB843_598:
	s_or_b64 exec, exec, s[8:9]
.LBB843_599:
	s_or_b64 exec, exec, s[2:3]
	v_lshrrev_b16_e32 v14, 8, v6
	v_cmp_ne_u16_e32 vcc, 0, v14
	s_and_saveexec_b64 s[2:3], vcc
	s_cbranch_execz .LBB843_605
; %bb.600:
	s_movk_i32 s7, 0x80
	v_cmp_ne_u16_e32 vcc, s7, v14
	v_mov_b32_e32 v15, 0xffff8000
	s_and_saveexec_b64 s[8:9], vcc
	s_cbranch_execz .LBB843_604
; %bb.601:
	s_movk_i32 s7, 0x7f
	v_and_b32_e32 v17, 0x7f, v14
	v_cmp_ne_u32_e32 vcc, s7, v17
	v_mov_b32_e32 v15, 0x7f80
	s_and_saveexec_b64 s[10:11], vcc
	s_cbranch_execz .LBB843_603
; %bb.602:
	v_and_b32_e32 v18, 7, v14
	v_ffbh_u32_e32 v15, v18
	v_min_u32_e32 v20, 32, v15
	v_subrev_u32_e32 v15, 28, v20
	v_lshlrev_b64 v[14:15], v15, v[14:15]
	v_lshrrev_b32_e32 v19, 3, v17
	v_sub_u32_e32 v15, 29, v20
	v_and_b32_e32 v14, 7, v14
	v_cmp_gt_u32_e32 vcc, 8, v17
	v_cndmask_b32_e32 v15, v19, v15, vcc
	v_cndmask_b32_e32 v14, v18, v14, vcc
	v_lshlrev_b32_e32 v17, 16, v6
	v_bfrev_b32_e32 v18, 60
	v_lshlrev_b32_e32 v14, 20, v14
	v_and_b32_e32 v17, 0x80000000, v17
	v_lshl_add_u32 v15, v15, 23, v18
	v_or3_b32 v14, v17, v15, v14
	v_lshrrev_b32_e32 v15, 16, v14
.LBB843_603:
	s_or_b64 exec, exec, s[10:11]
.LBB843_604:
	s_or_b64 exec, exec, s[8:9]
.LBB843_605:
	s_or_b64 exec, exec, s[2:3]
	s_movk_i32 s2, 0xff
	v_and_b32_sdwa v19, v6, s2 dst_sel:DWORD dst_unused:UNUSED_PAD src0_sel:WORD_1 src1_sel:DWORD
	v_lshrrev_b32_e32 v14, 16, v6
	v_cmp_ne_u16_e32 vcc, 0, v19
	v_mov_b32_e32 v17, 0
	v_mov_b32_e32 v18, 0
	s_and_saveexec_b64 s[2:3], vcc
	s_cbranch_execz .LBB843_611
; %bb.606:
	s_movk_i32 s7, 0x80
	v_cmp_ne_u16_e32 vcc, s7, v19
	v_mov_b32_e32 v18, 0xffff8000
	s_and_saveexec_b64 s[8:9], vcc
	s_cbranch_execz .LBB843_610
; %bb.607:
	v_bfe_u32 v19, v6, 16, 7
	s_movk_i32 s7, 0x7f
	v_cmp_ne_u32_e32 vcc, s7, v19
	v_mov_b32_e32 v18, 0x7f80
	s_and_saveexec_b64 s[10:11], vcc
	s_cbranch_execz .LBB843_609
; %bb.608:
	v_and_b32_e32 v18, 7, v14
	v_ffbh_u32_e32 v20, v18
	v_min_u32_e32 v24, 32, v20
	v_subrev_u32_e32 v20, 28, v24
	v_lshlrev_b64 v[20:21], v20, v[14:15]
	v_lshrrev_b32_e32 v23, 3, v19
	v_sub_u32_e32 v14, 29, v24
	v_and_b32_e32 v20, 7, v20
	v_cmp_gt_u32_e32 vcc, 8, v19
	v_mov_b32_e32 v19, 24
	v_cndmask_b32_e32 v14, v23, v14, vcc
	v_cndmask_b32_e32 v18, v18, v20, vcc
	v_lshlrev_b32_sdwa v19, v19, v6 dst_sel:DWORD dst_unused:UNUSED_PAD src0_sel:DWORD src1_sel:WORD_1
	v_bfrev_b32_e32 v20, 60
	v_lshlrev_b32_e32 v18, 20, v18
	v_and_b32_e32 v19, 0x80000000, v19
	v_lshl_add_u32 v14, v14, 23, v20
	v_or3_b32 v14, v19, v14, v18
	v_lshrrev_b32_e32 v18, 16, v14
.LBB843_609:
	s_or_b64 exec, exec, s[10:11]
.LBB843_610:
	s_or_b64 exec, exec, s[8:9]
.LBB843_611:
	s_or_b64 exec, exec, s[2:3]
	s_mov_b32 s2, 0xffffff
	v_cmp_lt_u32_e32 vcc, s2, v6
	s_and_saveexec_b64 s[2:3], vcc
	s_cbranch_execz .LBB843_617
; %bb.612:
	v_lshrrev_b32_e32 v14, 24, v6
	s_movk_i32 s7, 0x80
	v_cmp_ne_u32_e32 vcc, s7, v14
	v_mov_b32_e32 v17, 0xffff8000
	s_and_saveexec_b64 s[8:9], vcc
	s_cbranch_execz .LBB843_616
; %bb.613:
	v_bfe_u32 v6, v6, 24, 7
	s_movk_i32 s7, 0x7f
	v_cmp_ne_u32_e32 vcc, s7, v6
	v_mov_b32_e32 v17, 0x7f80
	s_and_saveexec_b64 s[10:11], vcc
	s_cbranch_execz .LBB843_615
; %bb.614:
	v_and_b32_e32 v17, 7, v14
	v_ffbh_u32_e32 v20, v17
	v_min_u32_e32 v23, 32, v20
	v_subrev_u32_e32 v20, 28, v23
	v_lshlrev_b64 v[20:21], v20, v[14:15]
	v_lshrrev_b32_e32 v19, 3, v6
	v_sub_u32_e32 v21, 29, v23
	v_and_b32_e32 v20, 7, v20
	v_cmp_gt_u32_e32 vcc, 8, v6
	v_cndmask_b32_e32 v6, v19, v21, vcc
	v_cndmask_b32_e32 v17, v17, v20, vcc
	v_lshlrev_b32_e32 v14, 24, v14
	v_bfrev_b32_e32 v19, 60
	v_lshlrev_b32_e32 v17, 20, v17
	v_and_b32_e32 v14, 0x80000000, v14
	v_lshl_add_u32 v6, v6, 23, v19
	v_or3_b32 v6, v14, v6, v17
	v_lshrrev_b32_e32 v17, 16, v6
.LBB843_615:
	s_or_b64 exec, exec, s[10:11]
.LBB843_616:
	s_or_b64 exec, exec, s[8:9]
.LBB843_617:
	s_or_b64 exec, exec, s[2:3]
	v_mov_b32_e32 v14, 0
	v_cmp_ne_u16_sdwa s[8:9], v7, v14 src0_sel:BYTE_0 src1_sel:DWORD
	v_mov_b32_e32 v19, 0
	s_and_saveexec_b64 s[2:3], s[8:9]
	s_cbranch_execz .LBB843_623
; %bb.618:
	s_movk_i32 s7, 0x80
	v_cmp_ne_u16_sdwa s[10:11], v7, s7 src0_sel:BYTE_0 src1_sel:DWORD
	v_mov_b32_e32 v19, 0xffff8000
	s_and_saveexec_b64 s[8:9], s[10:11]
	s_cbranch_execz .LBB843_622
; %bb.619:
	s_movk_i32 s7, 0x7f
	v_and_b32_e32 v6, 0x7f, v7
	v_cmp_ne_u32_e32 vcc, s7, v6
	v_mov_b32_e32 v19, 0x7f80
	s_and_saveexec_b64 s[10:11], vcc
	s_cbranch_execz .LBB843_621
; %bb.620:
	v_and_b32_e32 v19, 7, v7
	v_ffbh_u32_e32 v21, v19
	v_min_u32_e32 v24, 32, v21
	v_mov_b32_e32 v20, v7
	v_subrev_u32_e32 v21, 28, v24
	v_lshlrev_b64 v[20:21], v21, v[20:21]
	v_lshrrev_b32_e32 v23, 3, v6
	v_sub_u32_e32 v21, 29, v24
	v_and_b32_e32 v20, 7, v20
	v_cmp_gt_u32_e32 vcc, 8, v6
	v_cndmask_b32_e32 v6, v23, v21, vcc
	v_cndmask_b32_e32 v19, v19, v20, vcc
	v_lshlrev_b32_e32 v20, 24, v7
	v_bfrev_b32_e32 v21, 60
	v_lshlrev_b32_e32 v19, 20, v19
	v_and_b32_e32 v20, 0x80000000, v20
	v_lshl_add_u32 v6, v6, 23, v21
	v_or3_b32 v6, v20, v6, v19
	v_lshrrev_b32_e32 v19, 16, v6
.LBB843_621:
	s_or_b64 exec, exec, s[10:11]
.LBB843_622:
	s_or_b64 exec, exec, s[8:9]
.LBB843_623:
	s_or_b64 exec, exec, s[2:3]
	v_lshrrev_b16_e32 v6, 8, v7
	v_cmp_ne_u16_e32 vcc, 0, v6
	s_and_saveexec_b64 s[2:3], vcc
	s_cbranch_execz .LBB843_629
; %bb.624:
	s_movk_i32 s7, 0x80
	v_cmp_ne_u16_e32 vcc, s7, v6
	v_mov_b32_e32 v14, 0xffff8000
	s_and_saveexec_b64 s[8:9], vcc
	s_cbranch_execz .LBB843_628
; %bb.625:
	s_movk_i32 s7, 0x7f
	v_and_b32_e32 v20, 0x7f, v6
	v_cmp_ne_u32_e32 vcc, s7, v20
	v_mov_b32_e32 v14, 0x7f80
	s_and_saveexec_b64 s[10:11], vcc
	s_cbranch_execz .LBB843_627
; %bb.626:
	v_and_b32_e32 v14, 7, v6
	v_ffbh_u32_e32 v23, v14
	v_min_u32_e32 v23, 32, v23
	v_subrev_u32_e32 v24, 28, v23
	v_lshlrev_b64 v[24:25], v24, v[6:7]
	v_lshrrev_b32_e32 v21, 3, v20
	v_sub_u32_e32 v6, 29, v23
	v_and_b32_e32 v23, 7, v24
	v_cmp_gt_u32_e32 vcc, 8, v20
	v_cndmask_b32_e32 v6, v21, v6, vcc
	v_cndmask_b32_e32 v14, v14, v23, vcc
	v_lshlrev_b32_e32 v20, 16, v7
	v_bfrev_b32_e32 v21, 60
	v_lshlrev_b32_e32 v14, 20, v14
	v_and_b32_e32 v20, 0x80000000, v20
	v_lshl_add_u32 v6, v6, 23, v21
	v_or3_b32 v6, v20, v6, v14
	v_lshrrev_b32_e32 v14, 16, v6
.LBB843_627:
	s_or_b64 exec, exec, s[10:11]
.LBB843_628:
	s_or_b64 exec, exec, s[8:9]
.LBB843_629:
	s_or_b64 exec, exec, s[2:3]
	s_movk_i32 s2, 0xff
	v_and_b32_sdwa v23, v7, s2 dst_sel:DWORD dst_unused:UNUSED_PAD src0_sel:WORD_1 src1_sel:DWORD
	v_lshrrev_b32_e32 v6, 16, v7
	v_cmp_ne_u16_e32 vcc, 0, v23
	v_mov_b32_e32 v20, 0
	v_mov_b32_e32 v21, 0
	s_and_saveexec_b64 s[2:3], vcc
	s_cbranch_execz .LBB843_635
; %bb.630:
	s_movk_i32 s7, 0x80
	v_cmp_ne_u16_e32 vcc, s7, v23
	v_mov_b32_e32 v21, 0xffff8000
	s_and_saveexec_b64 s[8:9], vcc
	s_cbranch_execz .LBB843_634
; %bb.631:
	v_bfe_u32 v23, v7, 16, 7
	s_movk_i32 s7, 0x7f
	v_cmp_ne_u32_e32 vcc, s7, v23
	v_mov_b32_e32 v21, 0x7f80
	s_and_saveexec_b64 s[10:11], vcc
	s_cbranch_execz .LBB843_633
; %bb.632:
	v_and_b32_e32 v21, 7, v6
	v_ffbh_u32_e32 v24, v21
	v_min_u32_e32 v28, 32, v24
	v_subrev_u32_e32 v24, 28, v28
	v_lshlrev_b64 v[24:25], v24, v[6:7]
	v_lshrrev_b32_e32 v27, 3, v23
	v_sub_u32_e32 v6, 29, v28
	v_and_b32_e32 v24, 7, v24
	v_cmp_gt_u32_e32 vcc, 8, v23
	v_mov_b32_e32 v23, 24
	v_cndmask_b32_e32 v6, v27, v6, vcc
	v_cndmask_b32_e32 v21, v21, v24, vcc
	v_lshlrev_b32_sdwa v23, v23, v7 dst_sel:DWORD dst_unused:UNUSED_PAD src0_sel:DWORD src1_sel:WORD_1
	v_bfrev_b32_e32 v24, 60
	v_lshlrev_b32_e32 v21, 20, v21
	v_and_b32_e32 v23, 0x80000000, v23
	v_lshl_add_u32 v6, v6, 23, v24
	v_or3_b32 v6, v23, v6, v21
	v_lshrrev_b32_e32 v21, 16, v6
.LBB843_633:
	s_or_b64 exec, exec, s[10:11]
.LBB843_634:
	s_or_b64 exec, exec, s[8:9]
.LBB843_635:
	s_or_b64 exec, exec, s[2:3]
	s_mov_b32 s2, 0xffffff
	v_cmp_lt_u32_e32 vcc, s2, v7
	s_and_saveexec_b64 s[2:3], vcc
	s_cbranch_execz .LBB843_641
; %bb.636:
	v_lshrrev_b32_e32 v6, 24, v7
	s_movk_i32 s7, 0x80
	v_cmp_ne_u32_e32 vcc, s7, v6
	v_mov_b32_e32 v20, 0xffff8000
	s_and_saveexec_b64 s[8:9], vcc
	s_cbranch_execz .LBB843_640
; %bb.637:
	v_bfe_u32 v7, v7, 24, 7
	s_movk_i32 s7, 0x7f
	v_cmp_ne_u32_e32 vcc, s7, v7
	v_mov_b32_e32 v20, 0x7f80
	s_and_saveexec_b64 s[10:11], vcc
	s_cbranch_execz .LBB843_639
; %bb.638:
	v_and_b32_e32 v20, 7, v6
	v_ffbh_u32_e32 v24, v20
	v_min_u32_e32 v27, 32, v24
	v_subrev_u32_e32 v24, 28, v27
	v_lshlrev_b64 v[24:25], v24, v[6:7]
	v_lshrrev_b32_e32 v23, 3, v7
	v_sub_u32_e32 v25, 29, v27
	v_and_b32_e32 v24, 7, v24
	v_cmp_gt_u32_e32 vcc, 8, v7
	v_cndmask_b32_e32 v7, v23, v25, vcc
	v_cndmask_b32_e32 v20, v20, v24, vcc
	v_lshlrev_b32_e32 v6, 24, v6
	v_bfrev_b32_e32 v23, 60
	v_lshlrev_b32_e32 v20, 20, v20
	v_and_b32_e32 v6, 0x80000000, v6
	v_lshl_add_u32 v7, v7, 23, v23
	v_or3_b32 v6, v6, v7, v20
	v_lshrrev_b32_e32 v20, 16, v6
.LBB843_639:
	s_or_b64 exec, exec, s[10:11]
.LBB843_640:
	s_or_b64 exec, exec, s[8:9]
.LBB843_641:
	s_or_b64 exec, exec, s[2:3]
	s_mov_b32 s2, 0x5040100
	v_perm_b32 v7, v17, v18, s2
	v_perm_b32 v6, v15, v16, s2
	ds_read_b128 v[28:31], v22 offset:4096
	v_perm_b32 v17, v20, v21, s2
	v_perm_b32 v16, v14, v19, s2
	s_waitcnt lgkmcnt(0)
	v_mfma_f32_16x16x16bf16_1k v[10:13], v[6:7], v[28:29], v[10:13]
	v_mov_b32_e32 v7, 0
	v_cmp_ne_u16_sdwa s[8:9], v8, v7 src0_sel:BYTE_0 src1_sel:DWORD
	v_mov_b32_e32 v14, 0
	v_mfma_f32_16x16x16bf16_1k v[10:13], v[16:17], v[30:31], v[10:13]
	s_and_saveexec_b64 s[2:3], s[8:9]
	s_cbranch_execz .LBB843_647
; %bb.642:
	s_movk_i32 s7, 0x80
	v_cmp_ne_u16_sdwa s[10:11], v8, s7 src0_sel:BYTE_0 src1_sel:DWORD
	v_mov_b32_e32 v14, 0xffff8000
	s_and_saveexec_b64 s[8:9], s[10:11]
	s_cbranch_execz .LBB843_646
; %bb.643:
	s_movk_i32 s7, 0x7f
	v_and_b32_e32 v6, 0x7f, v8
	v_cmp_ne_u32_e32 vcc, s7, v6
	v_mov_b32_e32 v14, 0x7f80
	s_and_saveexec_b64 s[10:11], vcc
	s_cbranch_execz .LBB843_645
; %bb.644:
	v_and_b32_e32 v16, 7, v8
	v_ffbh_u32_e32 v14, v16
	v_min_u32_e32 v18, 32, v14
	v_subrev_u32_e32 v14, 28, v18
	v_lshlrev_b64 v[14:15], v14, v[8:9]
	v_lshrrev_b32_e32 v17, 3, v6
	v_sub_u32_e32 v15, 29, v18
	v_and_b32_e32 v14, 7, v14
	v_cmp_gt_u32_e32 vcc, 8, v6
	v_cndmask_b32_e32 v6, v17, v15, vcc
	v_cndmask_b32_e32 v14, v16, v14, vcc
	v_lshlrev_b32_e32 v15, 24, v8
	v_bfrev_b32_e32 v16, 60
	v_lshlrev_b32_e32 v14, 20, v14
	v_and_b32_e32 v15, 0x80000000, v15
	v_lshl_add_u32 v6, v6, 23, v16
	v_or3_b32 v6, v15, v6, v14
	v_lshrrev_b32_e32 v14, 16, v6
.LBB843_645:
	s_or_b64 exec, exec, s[10:11]
.LBB843_646:
	s_or_b64 exec, exec, s[8:9]
.LBB843_647:
	s_or_b64 exec, exec, s[2:3]
	v_lshrrev_b16_e32 v6, 8, v8
	v_cmp_ne_u16_e32 vcc, 0, v6
	s_and_saveexec_b64 s[2:3], vcc
	s_cbranch_execz .LBB843_653
; %bb.648:
	s_movk_i32 s7, 0x80
	v_cmp_ne_u16_e32 vcc, s7, v6
	v_mov_b32_e32 v7, 0xffff8000
	s_and_saveexec_b64 s[8:9], vcc
	s_cbranch_execz .LBB843_652
; %bb.649:
	s_movk_i32 s7, 0x7f
	v_and_b32_e32 v15, 0x7f, v6
	v_cmp_ne_u32_e32 vcc, s7, v15
	v_mov_b32_e32 v7, 0x7f80
	s_and_saveexec_b64 s[10:11], vcc
	s_cbranch_execz .LBB843_651
; %bb.650:
	v_and_b32_e32 v16, 7, v6
	v_ffbh_u32_e32 v7, v16
	v_min_u32_e32 v18, 32, v7
	v_subrev_u32_e32 v7, 28, v18
	v_lshlrev_b64 v[6:7], v7, v[6:7]
	v_lshrrev_b32_e32 v17, 3, v15
	v_sub_u32_e32 v7, 29, v18
	v_and_b32_e32 v6, 7, v6
	v_cmp_gt_u32_e32 vcc, 8, v15
	v_cndmask_b32_e32 v7, v17, v7, vcc
	v_cndmask_b32_e32 v6, v16, v6, vcc
	v_lshlrev_b32_e32 v15, 16, v8
	v_bfrev_b32_e32 v16, 60
	v_lshlrev_b32_e32 v6, 20, v6
	v_and_b32_e32 v15, 0x80000000, v15
	v_lshl_add_u32 v7, v7, 23, v16
	v_or3_b32 v6, v15, v7, v6
	v_lshrrev_b32_e32 v7, 16, v6
.LBB843_651:
	s_or_b64 exec, exec, s[10:11]
.LBB843_652:
	s_or_b64 exec, exec, s[8:9]
.LBB843_653:
	s_or_b64 exec, exec, s[2:3]
	s_movk_i32 s2, 0xff
	v_and_b32_sdwa v17, v8, s2 dst_sel:DWORD dst_unused:UNUSED_PAD src0_sel:WORD_1 src1_sel:DWORD
	v_lshrrev_b32_e32 v6, 16, v8
	v_cmp_ne_u16_e32 vcc, 0, v17
	v_mov_b32_e32 v15, 0
	v_mov_b32_e32 v16, 0
	s_and_saveexec_b64 s[2:3], vcc
	s_cbranch_execz .LBB843_659
; %bb.654:
	s_movk_i32 s7, 0x80
	v_cmp_ne_u16_e32 vcc, s7, v17
	v_mov_b32_e32 v16, 0xffff8000
	s_and_saveexec_b64 s[8:9], vcc
	s_cbranch_execz .LBB843_658
; %bb.655:
	v_bfe_u32 v17, v8, 16, 7
	s_movk_i32 s7, 0x7f
	v_cmp_ne_u32_e32 vcc, s7, v17
	v_mov_b32_e32 v16, 0x7f80
	s_and_saveexec_b64 s[10:11], vcc
	s_cbranch_execz .LBB843_657
; %bb.656:
	v_and_b32_e32 v16, 7, v6
	v_ffbh_u32_e32 v18, v16
	v_min_u32_e32 v21, 32, v18
	v_subrev_u32_e32 v18, 28, v21
	v_lshlrev_b64 v[18:19], v18, v[6:7]
	v_lshrrev_b32_e32 v20, 3, v17
	v_sub_u32_e32 v6, 29, v21
	v_and_b32_e32 v18, 7, v18
	v_cmp_gt_u32_e32 vcc, 8, v17
	v_mov_b32_e32 v17, 24
	v_cndmask_b32_e32 v6, v20, v6, vcc
	v_cndmask_b32_e32 v16, v16, v18, vcc
	v_lshlrev_b32_sdwa v17, v17, v8 dst_sel:DWORD dst_unused:UNUSED_PAD src0_sel:DWORD src1_sel:WORD_1
	v_bfrev_b32_e32 v18, 60
	v_lshlrev_b32_e32 v16, 20, v16
	v_and_b32_e32 v17, 0x80000000, v17
	v_lshl_add_u32 v6, v6, 23, v18
	v_or3_b32 v6, v17, v6, v16
	v_lshrrev_b32_e32 v16, 16, v6
.LBB843_657:
	s_or_b64 exec, exec, s[10:11]
.LBB843_658:
	s_or_b64 exec, exec, s[8:9]
.LBB843_659:
	s_or_b64 exec, exec, s[2:3]
	s_mov_b32 s2, 0xffffff
	v_cmp_lt_u32_e32 vcc, s2, v8
	s_and_saveexec_b64 s[2:3], vcc
	s_cbranch_execz .LBB843_665
; %bb.660:
	v_lshrrev_b32_e32 v6, 24, v8
	s_movk_i32 s7, 0x80
	v_cmp_ne_u32_e32 vcc, s7, v6
	v_mov_b32_e32 v15, 0xffff8000
	s_and_saveexec_b64 s[8:9], vcc
	s_cbranch_execz .LBB843_664
; %bb.661:
	v_bfe_u32 v8, v8, 24, 7
	s_movk_i32 s7, 0x7f
	v_cmp_ne_u32_e32 vcc, s7, v8
	v_mov_b32_e32 v15, 0x7f80
	s_and_saveexec_b64 s[10:11], vcc
	s_cbranch_execz .LBB843_663
; %bb.662:
	v_and_b32_e32 v15, 7, v6
	v_ffbh_u32_e32 v18, v15
	v_min_u32_e32 v20, 32, v18
	v_subrev_u32_e32 v18, 28, v20
	v_lshlrev_b64 v[18:19], v18, v[6:7]
	v_lshrrev_b32_e32 v17, 3, v8
	v_sub_u32_e32 v19, 29, v20
	v_and_b32_e32 v18, 7, v18
	v_cmp_gt_u32_e32 vcc, 8, v8
	v_cndmask_b32_e32 v8, v17, v19, vcc
	v_cndmask_b32_e32 v15, v15, v18, vcc
	v_lshlrev_b32_e32 v6, 24, v6
	v_bfrev_b32_e32 v17, 60
	v_lshlrev_b32_e32 v15, 20, v15
	v_and_b32_e32 v6, 0x80000000, v6
	v_lshl_add_u32 v8, v8, 23, v17
	v_or3_b32 v6, v6, v8, v15
	v_lshrrev_b32_e32 v15, 16, v6
.LBB843_663:
	s_or_b64 exec, exec, s[10:11]
.LBB843_664:
	s_or_b64 exec, exec, s[8:9]
.LBB843_665:
	s_or_b64 exec, exec, s[2:3]
	v_mov_b32_e32 v8, 0
	v_cmp_ne_u16_sdwa s[8:9], v9, v8 src0_sel:BYTE_0 src1_sel:DWORD
	v_mov_b32_e32 v17, 0
	s_and_saveexec_b64 s[2:3], s[8:9]
	s_cbranch_execz .LBB843_671
; %bb.666:
	s_movk_i32 s7, 0x80
	v_cmp_ne_u16_sdwa s[10:11], v9, s7 src0_sel:BYTE_0 src1_sel:DWORD
	v_mov_b32_e32 v17, 0xffff8000
	s_and_saveexec_b64 s[8:9], s[10:11]
	s_cbranch_execz .LBB843_670
; %bb.667:
	s_movk_i32 s7, 0x7f
	v_and_b32_e32 v6, 0x7f, v9
	v_cmp_ne_u32_e32 vcc, s7, v6
	v_mov_b32_e32 v17, 0x7f80
	s_and_saveexec_b64 s[10:11], vcc
	s_cbranch_execz .LBB843_669
; %bb.668:
	v_and_b32_e32 v17, 7, v9
	v_ffbh_u32_e32 v19, v17
	v_min_u32_e32 v21, 32, v19
	v_mov_b32_e32 v18, v9
	v_subrev_u32_e32 v19, 28, v21
	v_lshlrev_b64 v[18:19], v19, v[18:19]
	v_lshrrev_b32_e32 v20, 3, v6
	v_sub_u32_e32 v19, 29, v21
	v_and_b32_e32 v18, 7, v18
	v_cmp_gt_u32_e32 vcc, 8, v6
	v_cndmask_b32_e32 v6, v20, v19, vcc
	v_cndmask_b32_e32 v17, v17, v18, vcc
	v_lshlrev_b32_e32 v18, 24, v9
	v_bfrev_b32_e32 v19, 60
	v_lshlrev_b32_e32 v17, 20, v17
	v_and_b32_e32 v18, 0x80000000, v18
	v_lshl_add_u32 v6, v6, 23, v19
	v_or3_b32 v6, v18, v6, v17
	v_lshrrev_b32_e32 v17, 16, v6
.LBB843_669:
	s_or_b64 exec, exec, s[10:11]
.LBB843_670:
	s_or_b64 exec, exec, s[8:9]
.LBB843_671:
	s_or_b64 exec, exec, s[2:3]
	v_lshrrev_b16_e32 v6, 8, v9
	v_cmp_ne_u16_e32 vcc, 0, v6
	s_and_saveexec_b64 s[2:3], vcc
	s_cbranch_execz .LBB843_677
; %bb.672:
	s_movk_i32 s7, 0x80
	v_cmp_ne_u16_e32 vcc, s7, v6
	v_mov_b32_e32 v8, 0xffff8000
	s_and_saveexec_b64 s[8:9], vcc
	s_cbranch_execz .LBB843_676
; %bb.673:
	s_movk_i32 s7, 0x7f
	v_and_b32_e32 v18, 0x7f, v6
	v_cmp_ne_u32_e32 vcc, s7, v18
	v_mov_b32_e32 v8, 0x7f80
	s_and_saveexec_b64 s[10:11], vcc
	s_cbranch_execz .LBB843_675
; %bb.674:
	v_and_b32_e32 v8, 7, v6
	v_ffbh_u32_e32 v20, v8
	v_min_u32_e32 v23, 32, v20
	v_subrev_u32_e32 v20, 28, v23
	v_lshlrev_b64 v[20:21], v20, v[6:7]
	v_lshrrev_b32_e32 v19, 3, v18
	v_sub_u32_e32 v6, 29, v23
	v_and_b32_e32 v20, 7, v20
	v_cmp_gt_u32_e32 vcc, 8, v18
	v_cndmask_b32_e32 v6, v19, v6, vcc
	v_cndmask_b32_e32 v8, v8, v20, vcc
	v_lshlrev_b32_e32 v18, 16, v9
	v_bfrev_b32_e32 v19, 60
	v_lshlrev_b32_e32 v8, 20, v8
	v_and_b32_e32 v18, 0x80000000, v18
	v_lshl_add_u32 v6, v6, 23, v19
	v_or3_b32 v6, v18, v6, v8
	v_lshrrev_b32_e32 v8, 16, v6
.LBB843_675:
	s_or_b64 exec, exec, s[10:11]
.LBB843_676:
	s_or_b64 exec, exec, s[8:9]
.LBB843_677:
	s_or_b64 exec, exec, s[2:3]
	s_movk_i32 s2, 0xff
	v_and_b32_sdwa v20, v9, s2 dst_sel:DWORD dst_unused:UNUSED_PAD src0_sel:WORD_1 src1_sel:DWORD
	v_lshrrev_b32_e32 v6, 16, v9
	v_cmp_ne_u16_e32 vcc, 0, v20
	v_mov_b32_e32 v18, 0
	v_mov_b32_e32 v19, 0
	s_and_saveexec_b64 s[2:3], vcc
	s_cbranch_execz .LBB843_683
; %bb.678:
	s_movk_i32 s7, 0x80
	v_cmp_ne_u16_e32 vcc, s7, v20
	v_mov_b32_e32 v19, 0xffff8000
	s_and_saveexec_b64 s[8:9], vcc
	s_cbranch_execz .LBB843_682
; %bb.679:
	v_bfe_u32 v20, v9, 16, 7
	s_movk_i32 s7, 0x7f
	v_cmp_ne_u32_e32 vcc, s7, v20
	v_mov_b32_e32 v19, 0x7f80
	s_and_saveexec_b64 s[10:11], vcc
	s_cbranch_execz .LBB843_681
; %bb.680:
	v_and_b32_e32 v19, 7, v6
	v_ffbh_u32_e32 v23, v19
	v_min_u32_e32 v23, 32, v23
	v_subrev_u32_e32 v24, 28, v23
	v_lshlrev_b64 v[24:25], v24, v[6:7]
	v_lshrrev_b32_e32 v21, 3, v20
	v_sub_u32_e32 v6, 29, v23
	v_and_b32_e32 v23, 7, v24
	v_cmp_gt_u32_e32 vcc, 8, v20
	v_mov_b32_e32 v20, 24
	v_cndmask_b32_e32 v6, v21, v6, vcc
	v_cndmask_b32_e32 v19, v19, v23, vcc
	v_lshlrev_b32_sdwa v20, v20, v9 dst_sel:DWORD dst_unused:UNUSED_PAD src0_sel:DWORD src1_sel:WORD_1
	v_bfrev_b32_e32 v21, 60
	v_lshlrev_b32_e32 v19, 20, v19
	v_and_b32_e32 v20, 0x80000000, v20
	v_lshl_add_u32 v6, v6, 23, v21
	v_or3_b32 v6, v20, v6, v19
	v_lshrrev_b32_e32 v19, 16, v6
.LBB843_681:
	s_or_b64 exec, exec, s[10:11]
.LBB843_682:
	s_or_b64 exec, exec, s[8:9]
.LBB843_683:
	s_or_b64 exec, exec, s[2:3]
	s_mov_b32 s2, 0xffffff
	v_cmp_lt_u32_e32 vcc, s2, v9
	s_and_saveexec_b64 s[2:3], vcc
	s_cbranch_execz .LBB843_689
; %bb.684:
	v_lshrrev_b32_e32 v6, 24, v9
	s_movk_i32 s7, 0x80
	v_cmp_ne_u32_e32 vcc, s7, v6
	v_mov_b32_e32 v18, 0xffff8000
	s_and_saveexec_b64 s[8:9], vcc
	s_cbranch_execz .LBB843_688
; %bb.685:
	v_bfe_u32 v9, v9, 24, 7
	s_movk_i32 s7, 0x7f
	v_cmp_ne_u32_e32 vcc, s7, v9
	v_mov_b32_e32 v18, 0x7f80
	s_and_saveexec_b64 s[10:11], vcc
	s_cbranch_execz .LBB843_687
; %bb.686:
	v_and_b32_e32 v18, 7, v6
	v_ffbh_u32_e32 v20, v18
	v_min_u32_e32 v24, 32, v20
	v_subrev_u32_e32 v20, 28, v24
	v_lshlrev_b64 v[20:21], v20, v[6:7]
	v_lshrrev_b32_e32 v23, 3, v9
	v_sub_u32_e32 v21, 29, v24
	v_and_b32_e32 v20, 7, v20
	v_cmp_gt_u32_e32 vcc, 8, v9
	v_cndmask_b32_e32 v9, v23, v21, vcc
	v_cndmask_b32_e32 v18, v18, v20, vcc
	v_lshlrev_b32_e32 v6, 24, v6
	v_bfrev_b32_e32 v20, 60
	v_lshlrev_b32_e32 v18, 20, v18
	v_and_b32_e32 v6, 0x80000000, v6
	v_lshl_add_u32 v9, v9, 23, v20
	v_or3_b32 v6, v6, v9, v18
	v_lshrrev_b32_e32 v18, 16, v6
.LBB843_687:
	s_or_b64 exec, exec, s[10:11]
.LBB843_688:
	s_or_b64 exec, exec, s[8:9]
.LBB843_689:
	s_or_b64 exec, exec, s[2:3]
	s_mov_b32 s2, 0x5040100
	v_perm_b32 v15, v15, v16, s2
	v_perm_b32 v14, v7, v14, s2
	ds_read_b128 v[28:31], v22 offset:4112
	v_perm_b32 v7, v18, v19, s2
	v_perm_b32 v6, v8, v17, s2
	s_waitcnt lgkmcnt(0)
	v_mfma_f32_16x16x16bf16_1k v[32:35], v[14:15], v[28:29], v[10:13]
	s_nop 6
	v_mov_b32_e32 v11, 0
	s_waitcnt vmcnt(0)
	v_cmp_ne_u16_sdwa s[8:9], v2, v11 src0_sel:BYTE_0 src1_sel:DWORD
	v_mfma_f32_16x16x16bf16_1k v[6:9], v[6:7], v[30:31], v[32:35]
	v_mov_b32_e32 v12, 0
	s_and_saveexec_b64 s[2:3], s[8:9]
	s_cbranch_execz .LBB843_695
; %bb.690:
	s_movk_i32 s7, 0x80
	v_cmp_ne_u16_sdwa s[10:11], v2, s7 src0_sel:BYTE_0 src1_sel:DWORD
	v_mov_b32_e32 v12, 0xffff8000
	s_and_saveexec_b64 s[8:9], s[10:11]
	s_cbranch_execz .LBB843_694
; %bb.691:
	s_movk_i32 s7, 0x7f
	v_and_b32_e32 v10, 0x7f, v2
	v_cmp_ne_u32_e32 vcc, s7, v10
	v_mov_b32_e32 v12, 0x7f80
	s_and_saveexec_b64 s[10:11], vcc
	s_cbranch_execz .LBB843_693
; %bb.692:
	v_and_b32_e32 v14, 7, v2
	v_ffbh_u32_e32 v12, v14
	v_min_u32_e32 v16, 32, v12
	v_subrev_u32_e32 v12, 28, v16
	v_lshlrev_b64 v[12:13], v12, v[2:3]
	v_lshrrev_b32_e32 v15, 3, v10
	v_sub_u32_e32 v13, 29, v16
	v_and_b32_e32 v12, 7, v12
	v_cmp_gt_u32_e32 vcc, 8, v10
	v_cndmask_b32_e32 v10, v15, v13, vcc
	v_cndmask_b32_e32 v12, v14, v12, vcc
	v_lshlrev_b32_e32 v13, 24, v2
	v_bfrev_b32_e32 v14, 60
	v_lshlrev_b32_e32 v12, 20, v12
	v_and_b32_e32 v13, 0x80000000, v13
	v_lshl_add_u32 v10, v10, 23, v14
	v_or3_b32 v10, v13, v10, v12
	v_lshrrev_b32_e32 v12, 16, v10
.LBB843_693:
	s_or_b64 exec, exec, s[10:11]
.LBB843_694:
	s_or_b64 exec, exec, s[8:9]
.LBB843_695:
	s_or_b64 exec, exec, s[2:3]
	v_lshrrev_b16_e32 v10, 8, v2
	v_cmp_ne_u16_e32 vcc, 0, v10
	s_and_saveexec_b64 s[2:3], vcc
	s_cbranch_execz .LBB843_701
; %bb.696:
	s_movk_i32 s7, 0x80
	v_cmp_ne_u16_e32 vcc, s7, v10
	v_mov_b32_e32 v11, 0xffff8000
	s_and_saveexec_b64 s[8:9], vcc
	s_cbranch_execz .LBB843_700
; %bb.697:
	s_movk_i32 s7, 0x7f
	v_and_b32_e32 v13, 0x7f, v10
	v_cmp_ne_u32_e32 vcc, s7, v13
	v_mov_b32_e32 v11, 0x7f80
	s_and_saveexec_b64 s[10:11], vcc
	s_cbranch_execz .LBB843_699
; %bb.698:
	v_and_b32_e32 v14, 7, v10
	v_ffbh_u32_e32 v11, v14
	v_min_u32_e32 v16, 32, v11
	v_subrev_u32_e32 v11, 28, v16
	v_lshlrev_b64 v[10:11], v11, v[10:11]
	v_lshrrev_b32_e32 v15, 3, v13
	v_sub_u32_e32 v11, 29, v16
	v_and_b32_e32 v10, 7, v10
	v_cmp_gt_u32_e32 vcc, 8, v13
	v_cndmask_b32_e32 v11, v15, v11, vcc
	v_cndmask_b32_e32 v10, v14, v10, vcc
	v_lshlrev_b32_e32 v13, 16, v2
	v_bfrev_b32_e32 v14, 60
	v_lshlrev_b32_e32 v10, 20, v10
	v_and_b32_e32 v13, 0x80000000, v13
	v_lshl_add_u32 v11, v11, 23, v14
	v_or3_b32 v10, v13, v11, v10
	v_lshrrev_b32_e32 v11, 16, v10
.LBB843_699:
	s_or_b64 exec, exec, s[10:11]
.LBB843_700:
	s_or_b64 exec, exec, s[8:9]
.LBB843_701:
	s_or_b64 exec, exec, s[2:3]
	s_movk_i32 s2, 0xff
	v_and_b32_sdwa v15, v2, s2 dst_sel:DWORD dst_unused:UNUSED_PAD src0_sel:WORD_1 src1_sel:DWORD
	v_lshrrev_b32_e32 v10, 16, v2
	v_cmp_ne_u16_e32 vcc, 0, v15
	v_mov_b32_e32 v13, 0
	v_mov_b32_e32 v14, 0
	s_and_saveexec_b64 s[2:3], vcc
	s_cbranch_execz .LBB843_707
; %bb.702:
	s_movk_i32 s7, 0x80
	v_cmp_ne_u16_e32 vcc, s7, v15
	v_mov_b32_e32 v14, 0xffff8000
	s_and_saveexec_b64 s[8:9], vcc
	s_cbranch_execz .LBB843_706
; %bb.703:
	v_bfe_u32 v15, v2, 16, 7
	s_movk_i32 s7, 0x7f
	v_cmp_ne_u32_e32 vcc, s7, v15
	v_mov_b32_e32 v14, 0x7f80
	s_and_saveexec_b64 s[10:11], vcc
	s_cbranch_execz .LBB843_705
; %bb.704:
	v_and_b32_e32 v14, 7, v10
	v_ffbh_u32_e32 v16, v14
	v_min_u32_e32 v19, 32, v16
	v_subrev_u32_e32 v16, 28, v19
	v_lshlrev_b64 v[16:17], v16, v[10:11]
	v_lshrrev_b32_e32 v18, 3, v15
	v_sub_u32_e32 v10, 29, v19
	v_and_b32_e32 v16, 7, v16
	v_cmp_gt_u32_e32 vcc, 8, v15
	v_mov_b32_e32 v15, 24
	v_cndmask_b32_e32 v10, v18, v10, vcc
	v_cndmask_b32_e32 v14, v14, v16, vcc
	v_lshlrev_b32_sdwa v15, v15, v2 dst_sel:DWORD dst_unused:UNUSED_PAD src0_sel:DWORD src1_sel:WORD_1
	v_bfrev_b32_e32 v16, 60
	v_lshlrev_b32_e32 v14, 20, v14
	v_and_b32_e32 v15, 0x80000000, v15
	v_lshl_add_u32 v10, v10, 23, v16
	v_or3_b32 v10, v15, v10, v14
	v_lshrrev_b32_e32 v14, 16, v10
.LBB843_705:
	s_or_b64 exec, exec, s[10:11]
.LBB843_706:
	s_or_b64 exec, exec, s[8:9]
.LBB843_707:
	s_or_b64 exec, exec, s[2:3]
	s_mov_b32 s2, 0xffffff
	v_cmp_lt_u32_e32 vcc, s2, v2
	s_and_saveexec_b64 s[2:3], vcc
	s_cbranch_execz .LBB843_713
; %bb.708:
	v_lshrrev_b32_e32 v10, 24, v2
	s_movk_i32 s7, 0x80
	v_cmp_ne_u32_e32 vcc, s7, v10
	v_mov_b32_e32 v13, 0xffff8000
	s_and_saveexec_b64 s[8:9], vcc
	s_cbranch_execz .LBB843_712
; %bb.709:
	v_bfe_u32 v2, v2, 24, 7
	s_movk_i32 s7, 0x7f
	v_cmp_ne_u32_e32 vcc, s7, v2
	v_mov_b32_e32 v13, 0x7f80
	s_and_saveexec_b64 s[10:11], vcc
	s_cbranch_execz .LBB843_711
; %bb.710:
	v_and_b32_e32 v13, 7, v10
	v_ffbh_u32_e32 v16, v13
	v_min_u32_e32 v18, 32, v16
	v_subrev_u32_e32 v16, 28, v18
	v_lshlrev_b64 v[16:17], v16, v[10:11]
	v_lshrrev_b32_e32 v15, 3, v2
	v_sub_u32_e32 v17, 29, v18
	v_and_b32_e32 v16, 7, v16
	v_cmp_gt_u32_e32 vcc, 8, v2
	v_cndmask_b32_e32 v2, v15, v17, vcc
	v_cndmask_b32_e32 v13, v13, v16, vcc
	v_lshlrev_b32_e32 v10, 24, v10
	v_bfrev_b32_e32 v15, 60
	v_lshlrev_b32_e32 v13, 20, v13
	v_and_b32_e32 v10, 0x80000000, v10
	v_lshl_add_u32 v2, v2, 23, v15
	v_or3_b32 v2, v10, v2, v13
	v_lshrrev_b32_e32 v13, 16, v2
.LBB843_711:
	s_or_b64 exec, exec, s[10:11]
.LBB843_712:
	s_or_b64 exec, exec, s[8:9]
.LBB843_713:
	s_or_b64 exec, exec, s[2:3]
	v_mov_b32_e32 v10, 0
	v_cmp_ne_u16_sdwa s[8:9], v3, v10 src0_sel:BYTE_0 src1_sel:DWORD
	v_mov_b32_e32 v15, 0
	s_and_saveexec_b64 s[2:3], s[8:9]
	s_cbranch_execz .LBB843_719
; %bb.714:
	s_movk_i32 s7, 0x80
	v_cmp_ne_u16_sdwa s[10:11], v3, s7 src0_sel:BYTE_0 src1_sel:DWORD
	v_mov_b32_e32 v15, 0xffff8000
	s_and_saveexec_b64 s[8:9], s[10:11]
	s_cbranch_execz .LBB843_718
; %bb.715:
	s_movk_i32 s7, 0x7f
	v_and_b32_e32 v2, 0x7f, v3
	v_cmp_ne_u32_e32 vcc, s7, v2
	v_mov_b32_e32 v15, 0x7f80
	s_and_saveexec_b64 s[10:11], vcc
	s_cbranch_execz .LBB843_717
; %bb.716:
	v_and_b32_e32 v15, 7, v3
	v_ffbh_u32_e32 v17, v15
	v_min_u32_e32 v19, 32, v17
	v_mov_b32_e32 v16, v3
	v_subrev_u32_e32 v17, 28, v19
	v_lshlrev_b64 v[16:17], v17, v[16:17]
	v_lshrrev_b32_e32 v18, 3, v2
	v_sub_u32_e32 v17, 29, v19
	v_and_b32_e32 v16, 7, v16
	v_cmp_gt_u32_e32 vcc, 8, v2
	v_cndmask_b32_e32 v2, v18, v17, vcc
	v_cndmask_b32_e32 v15, v15, v16, vcc
	v_lshlrev_b32_e32 v16, 24, v3
	v_bfrev_b32_e32 v17, 60
	v_lshlrev_b32_e32 v15, 20, v15
	v_and_b32_e32 v16, 0x80000000, v16
	v_lshl_add_u32 v2, v2, 23, v17
	v_or3_b32 v2, v16, v2, v15
	v_lshrrev_b32_e32 v15, 16, v2
.LBB843_717:
	s_or_b64 exec, exec, s[10:11]
.LBB843_718:
	s_or_b64 exec, exec, s[8:9]
.LBB843_719:
	s_or_b64 exec, exec, s[2:3]
	v_lshrrev_b16_e32 v2, 8, v3
	v_cmp_ne_u16_e32 vcc, 0, v2
	s_and_saveexec_b64 s[2:3], vcc
	s_cbranch_execz .LBB843_725
; %bb.720:
	s_movk_i32 s7, 0x80
	v_cmp_ne_u16_e32 vcc, s7, v2
	v_mov_b32_e32 v10, 0xffff8000
	s_and_saveexec_b64 s[8:9], vcc
	s_cbranch_execz .LBB843_724
; %bb.721:
	s_movk_i32 s7, 0x7f
	v_and_b32_e32 v16, 0x7f, v2
	v_cmp_ne_u32_e32 vcc, s7, v16
	v_mov_b32_e32 v10, 0x7f80
	s_and_saveexec_b64 s[10:11], vcc
	s_cbranch_execz .LBB843_723
; %bb.722:
	v_and_b32_e32 v10, 7, v2
	v_ffbh_u32_e32 v18, v10
	v_min_u32_e32 v20, 32, v18
	v_subrev_u32_e32 v18, 28, v20
	v_lshlrev_b64 v[18:19], v18, v[2:3]
	v_lshrrev_b32_e32 v17, 3, v16
	v_sub_u32_e32 v2, 29, v20
	v_and_b32_e32 v18, 7, v18
	v_cmp_gt_u32_e32 vcc, 8, v16
	v_cndmask_b32_e32 v2, v17, v2, vcc
	v_cndmask_b32_e32 v10, v10, v18, vcc
	v_lshlrev_b32_e32 v16, 16, v3
	v_bfrev_b32_e32 v17, 60
	v_lshlrev_b32_e32 v10, 20, v10
	v_and_b32_e32 v16, 0x80000000, v16
	v_lshl_add_u32 v2, v2, 23, v17
	v_or3_b32 v2, v16, v2, v10
	v_lshrrev_b32_e32 v10, 16, v2
.LBB843_723:
	s_or_b64 exec, exec, s[10:11]
.LBB843_724:
	s_or_b64 exec, exec, s[8:9]
.LBB843_725:
	s_or_b64 exec, exec, s[2:3]
	s_movk_i32 s2, 0xff
	v_and_b32_sdwa v18, v3, s2 dst_sel:DWORD dst_unused:UNUSED_PAD src0_sel:WORD_1 src1_sel:DWORD
	v_lshrrev_b32_e32 v2, 16, v3
	v_cmp_ne_u16_e32 vcc, 0, v18
	v_mov_b32_e32 v16, 0
	v_mov_b32_e32 v17, 0
	s_and_saveexec_b64 s[2:3], vcc
	s_cbranch_execz .LBB843_731
; %bb.726:
	s_movk_i32 s7, 0x80
	v_cmp_ne_u16_e32 vcc, s7, v18
	v_mov_b32_e32 v17, 0xffff8000
	s_and_saveexec_b64 s[8:9], vcc
	s_cbranch_execz .LBB843_730
; %bb.727:
	v_bfe_u32 v18, v3, 16, 7
	s_movk_i32 s7, 0x7f
	v_cmp_ne_u32_e32 vcc, s7, v18
	v_mov_b32_e32 v17, 0x7f80
	s_and_saveexec_b64 s[10:11], vcc
	s_cbranch_execz .LBB843_729
; %bb.728:
	v_and_b32_e32 v17, 7, v2
	v_ffbh_u32_e32 v20, v17
	v_min_u32_e32 v23, 32, v20
	v_subrev_u32_e32 v20, 28, v23
	v_lshlrev_b64 v[20:21], v20, v[2:3]
	v_lshrrev_b32_e32 v19, 3, v18
	v_sub_u32_e32 v2, 29, v23
	v_and_b32_e32 v20, 7, v20
	v_cmp_gt_u32_e32 vcc, 8, v18
	v_mov_b32_e32 v18, 24
	v_cndmask_b32_e32 v2, v19, v2, vcc
	v_cndmask_b32_e32 v17, v17, v20, vcc
	v_lshlrev_b32_sdwa v18, v18, v3 dst_sel:DWORD dst_unused:UNUSED_PAD src0_sel:DWORD src1_sel:WORD_1
	v_bfrev_b32_e32 v19, 60
	v_lshlrev_b32_e32 v17, 20, v17
	v_and_b32_e32 v18, 0x80000000, v18
	v_lshl_add_u32 v2, v2, 23, v19
	v_or3_b32 v2, v18, v2, v17
	v_lshrrev_b32_e32 v17, 16, v2
.LBB843_729:
	s_or_b64 exec, exec, s[10:11]
.LBB843_730:
	s_or_b64 exec, exec, s[8:9]
.LBB843_731:
	s_or_b64 exec, exec, s[2:3]
	s_mov_b32 s2, 0xffffff
	v_cmp_lt_u32_e32 vcc, s2, v3
	s_and_saveexec_b64 s[2:3], vcc
	s_cbranch_execz .LBB843_737
; %bb.732:
	v_lshrrev_b32_e32 v2, 24, v3
	s_movk_i32 s7, 0x80
	v_cmp_ne_u32_e32 vcc, s7, v2
	v_mov_b32_e32 v16, 0xffff8000
	s_and_saveexec_b64 s[8:9], vcc
	s_cbranch_execz .LBB843_736
; %bb.733:
	v_bfe_u32 v3, v3, 24, 7
	s_movk_i32 s7, 0x7f
	v_cmp_ne_u32_e32 vcc, s7, v3
	v_mov_b32_e32 v16, 0x7f80
	s_and_saveexec_b64 s[10:11], vcc
	s_cbranch_execz .LBB843_735
; %bb.734:
	v_and_b32_e32 v16, 7, v2
	v_ffbh_u32_e32 v18, v16
	v_min_u32_e32 v21, 32, v18
	v_subrev_u32_e32 v18, 28, v21
	v_lshlrev_b64 v[18:19], v18, v[2:3]
	v_lshrrev_b32_e32 v20, 3, v3
	v_sub_u32_e32 v19, 29, v21
	v_and_b32_e32 v18, 7, v18
	v_cmp_gt_u32_e32 vcc, 8, v3
	v_cndmask_b32_e32 v3, v20, v19, vcc
	v_cndmask_b32_e32 v16, v16, v18, vcc
	v_lshlrev_b32_e32 v2, 24, v2
	v_bfrev_b32_e32 v18, 60
	v_lshlrev_b32_e32 v16, 20, v16
	v_and_b32_e32 v2, 0x80000000, v2
	v_lshl_add_u32 v3, v3, 23, v18
	v_or3_b32 v2, v2, v3, v16
	v_lshrrev_b32_e32 v16, 16, v2
.LBB843_735:
	s_or_b64 exec, exec, s[10:11]
.LBB843_736:
	s_or_b64 exec, exec, s[8:9]
.LBB843_737:
	s_or_b64 exec, exec, s[2:3]
	s_mov_b32 s2, 0x5040100
	v_perm_b32 v3, v13, v14, s2
	v_perm_b32 v2, v11, v12, s2
	ds_read_b128 v[18:21], v22 offset:6144
	v_perm_b32 v13, v16, v17, s2
	v_perm_b32 v12, v10, v15, s2
	s_waitcnt lgkmcnt(0)
	v_mfma_f32_16x16x16bf16_1k v[6:9], v[2:3], v[18:19], v[6:9]
	v_mov_b32_e32 v3, 0
	v_cmp_ne_u16_sdwa s[8:9], v4, v3 src0_sel:BYTE_0 src1_sel:DWORD
	v_mov_b32_e32 v10, 0
	v_mfma_f32_16x16x16bf16_1k v[6:9], v[12:13], v[20:21], v[6:9]
	s_and_saveexec_b64 s[2:3], s[8:9]
	s_cbranch_execz .LBB843_743
; %bb.738:
	s_movk_i32 s7, 0x80
	v_cmp_ne_u16_sdwa s[10:11], v4, s7 src0_sel:BYTE_0 src1_sel:DWORD
	v_mov_b32_e32 v10, 0xffff8000
	s_and_saveexec_b64 s[8:9], s[10:11]
	s_cbranch_execz .LBB843_742
; %bb.739:
	s_movk_i32 s7, 0x7f
	v_and_b32_e32 v2, 0x7f, v4
	v_cmp_ne_u32_e32 vcc, s7, v2
	v_mov_b32_e32 v10, 0x7f80
	s_and_saveexec_b64 s[10:11], vcc
	s_cbranch_execz .LBB843_741
; %bb.740:
	v_and_b32_e32 v12, 7, v4
	v_ffbh_u32_e32 v10, v12
	v_min_u32_e32 v14, 32, v10
	v_subrev_u32_e32 v10, 28, v14
	v_lshlrev_b64 v[10:11], v10, v[4:5]
	v_lshrrev_b32_e32 v13, 3, v2
	v_sub_u32_e32 v11, 29, v14
	v_and_b32_e32 v10, 7, v10
	v_cmp_gt_u32_e32 vcc, 8, v2
	v_cndmask_b32_e32 v2, v13, v11, vcc
	v_cndmask_b32_e32 v10, v12, v10, vcc
	v_lshlrev_b32_e32 v11, 24, v4
	v_bfrev_b32_e32 v12, 60
	v_lshlrev_b32_e32 v10, 20, v10
	v_and_b32_e32 v11, 0x80000000, v11
	v_lshl_add_u32 v2, v2, 23, v12
	v_or3_b32 v2, v11, v2, v10
	v_lshrrev_b32_e32 v10, 16, v2
.LBB843_741:
	s_or_b64 exec, exec, s[10:11]
.LBB843_742:
	s_or_b64 exec, exec, s[8:9]
.LBB843_743:
	s_or_b64 exec, exec, s[2:3]
	v_lshrrev_b16_e32 v2, 8, v4
	v_cmp_ne_u16_e32 vcc, 0, v2
	s_and_saveexec_b64 s[2:3], vcc
	s_cbranch_execz .LBB843_749
; %bb.744:
	s_movk_i32 s7, 0x80
	v_cmp_ne_u16_e32 vcc, s7, v2
	v_mov_b32_e32 v3, 0xffff8000
	s_and_saveexec_b64 s[8:9], vcc
	s_cbranch_execz .LBB843_748
; %bb.745:
	s_movk_i32 s7, 0x7f
	v_and_b32_e32 v11, 0x7f, v2
	v_cmp_ne_u32_e32 vcc, s7, v11
	v_mov_b32_e32 v3, 0x7f80
	s_and_saveexec_b64 s[10:11], vcc
	s_cbranch_execz .LBB843_747
; %bb.746:
	v_and_b32_e32 v12, 7, v2
	v_ffbh_u32_e32 v3, v12
	v_min_u32_e32 v14, 32, v3
	v_subrev_u32_e32 v3, 28, v14
	v_lshlrev_b64 v[2:3], v3, v[2:3]
	v_lshrrev_b32_e32 v13, 3, v11
	v_sub_u32_e32 v3, 29, v14
	v_and_b32_e32 v2, 7, v2
	v_cmp_gt_u32_e32 vcc, 8, v11
	v_cndmask_b32_e32 v3, v13, v3, vcc
	v_cndmask_b32_e32 v2, v12, v2, vcc
	v_lshlrev_b32_e32 v11, 16, v4
	v_bfrev_b32_e32 v12, 60
	v_lshlrev_b32_e32 v2, 20, v2
	v_and_b32_e32 v11, 0x80000000, v11
	v_lshl_add_u32 v3, v3, 23, v12
	v_or3_b32 v2, v11, v3, v2
	v_lshrrev_b32_e32 v3, 16, v2
.LBB843_747:
	s_or_b64 exec, exec, s[10:11]
.LBB843_748:
	s_or_b64 exec, exec, s[8:9]
.LBB843_749:
	s_or_b64 exec, exec, s[2:3]
	s_movk_i32 s2, 0xff
	v_and_b32_sdwa v13, v4, s2 dst_sel:DWORD dst_unused:UNUSED_PAD src0_sel:WORD_1 src1_sel:DWORD
	v_lshrrev_b32_e32 v2, 16, v4
	v_cmp_ne_u16_e32 vcc, 0, v13
	v_mov_b32_e32 v11, 0
	v_mov_b32_e32 v12, 0
	s_and_saveexec_b64 s[2:3], vcc
	s_cbranch_execz .LBB843_755
; %bb.750:
	s_movk_i32 s7, 0x80
	v_cmp_ne_u16_e32 vcc, s7, v13
	v_mov_b32_e32 v12, 0xffff8000
	s_and_saveexec_b64 s[8:9], vcc
	s_cbranch_execz .LBB843_754
; %bb.751:
	v_bfe_u32 v13, v4, 16, 7
	s_movk_i32 s7, 0x7f
	v_cmp_ne_u32_e32 vcc, s7, v13
	v_mov_b32_e32 v12, 0x7f80
	s_and_saveexec_b64 s[10:11], vcc
	s_cbranch_execz .LBB843_753
; %bb.752:
	v_and_b32_e32 v12, 7, v2
	v_ffbh_u32_e32 v14, v12
	v_min_u32_e32 v17, 32, v14
	v_subrev_u32_e32 v14, 28, v17
	v_lshlrev_b64 v[14:15], v14, v[2:3]
	v_lshrrev_b32_e32 v16, 3, v13
	v_sub_u32_e32 v2, 29, v17
	v_and_b32_e32 v14, 7, v14
	v_cmp_gt_u32_e32 vcc, 8, v13
	v_mov_b32_e32 v13, 24
	v_cndmask_b32_e32 v2, v16, v2, vcc
	v_cndmask_b32_e32 v12, v12, v14, vcc
	v_lshlrev_b32_sdwa v13, v13, v4 dst_sel:DWORD dst_unused:UNUSED_PAD src0_sel:DWORD src1_sel:WORD_1
	v_bfrev_b32_e32 v14, 60
	v_lshlrev_b32_e32 v12, 20, v12
	v_and_b32_e32 v13, 0x80000000, v13
	v_lshl_add_u32 v2, v2, 23, v14
	v_or3_b32 v2, v13, v2, v12
	v_lshrrev_b32_e32 v12, 16, v2
.LBB843_753:
	s_or_b64 exec, exec, s[10:11]
.LBB843_754:
	s_or_b64 exec, exec, s[8:9]
.LBB843_755:
	s_or_b64 exec, exec, s[2:3]
	s_mov_b32 s2, 0xffffff
	v_cmp_lt_u32_e32 vcc, s2, v4
	s_and_saveexec_b64 s[2:3], vcc
	s_cbranch_execz .LBB843_761
; %bb.756:
	v_lshrrev_b32_e32 v2, 24, v4
	s_movk_i32 s7, 0x80
	v_cmp_ne_u32_e32 vcc, s7, v2
	v_mov_b32_e32 v11, 0xffff8000
	s_and_saveexec_b64 s[8:9], vcc
	s_cbranch_execz .LBB843_760
; %bb.757:
	v_bfe_u32 v4, v4, 24, 7
	s_movk_i32 s7, 0x7f
	v_cmp_ne_u32_e32 vcc, s7, v4
	v_mov_b32_e32 v11, 0x7f80
	s_and_saveexec_b64 s[10:11], vcc
	s_cbranch_execz .LBB843_759
; %bb.758:
	v_and_b32_e32 v11, 7, v2
	v_ffbh_u32_e32 v14, v11
	v_min_u32_e32 v16, 32, v14
	v_subrev_u32_e32 v14, 28, v16
	v_lshlrev_b64 v[14:15], v14, v[2:3]
	v_lshrrev_b32_e32 v13, 3, v4
	v_sub_u32_e32 v15, 29, v16
	v_and_b32_e32 v14, 7, v14
	v_cmp_gt_u32_e32 vcc, 8, v4
	v_cndmask_b32_e32 v4, v13, v15, vcc
	v_cndmask_b32_e32 v11, v11, v14, vcc
	v_lshlrev_b32_e32 v2, 24, v2
	v_bfrev_b32_e32 v13, 60
	v_lshlrev_b32_e32 v11, 20, v11
	v_and_b32_e32 v2, 0x80000000, v2
	v_lshl_add_u32 v4, v4, 23, v13
	v_or3_b32 v2, v2, v4, v11
	v_lshrrev_b32_e32 v11, 16, v2
.LBB843_759:
	s_or_b64 exec, exec, s[10:11]
.LBB843_760:
	s_or_b64 exec, exec, s[8:9]
.LBB843_761:
	s_or_b64 exec, exec, s[2:3]
	v_mov_b32_e32 v4, 0
	v_cmp_ne_u16_sdwa s[8:9], v5, v4 src0_sel:BYTE_0 src1_sel:DWORD
	v_mov_b32_e32 v13, 0
	s_and_saveexec_b64 s[2:3], s[8:9]
	s_cbranch_execz .LBB843_767
; %bb.762:
	s_movk_i32 s7, 0x80
	v_cmp_ne_u16_sdwa s[10:11], v5, s7 src0_sel:BYTE_0 src1_sel:DWORD
	v_mov_b32_e32 v13, 0xffff8000
	s_and_saveexec_b64 s[8:9], s[10:11]
	s_cbranch_execz .LBB843_766
; %bb.763:
	s_movk_i32 s7, 0x7f
	v_and_b32_e32 v2, 0x7f, v5
	v_cmp_ne_u32_e32 vcc, s7, v2
	v_mov_b32_e32 v13, 0x7f80
	s_and_saveexec_b64 s[10:11], vcc
	s_cbranch_execz .LBB843_765
; %bb.764:
	v_and_b32_e32 v13, 7, v5
	v_ffbh_u32_e32 v15, v13
	v_min_u32_e32 v17, 32, v15
	v_mov_b32_e32 v14, v5
	v_subrev_u32_e32 v15, 28, v17
	v_lshlrev_b64 v[14:15], v15, v[14:15]
	v_lshrrev_b32_e32 v16, 3, v2
	v_sub_u32_e32 v15, 29, v17
	v_and_b32_e32 v14, 7, v14
	v_cmp_gt_u32_e32 vcc, 8, v2
	v_cndmask_b32_e32 v2, v16, v15, vcc
	v_cndmask_b32_e32 v13, v13, v14, vcc
	v_lshlrev_b32_e32 v14, 24, v5
	v_bfrev_b32_e32 v15, 60
	v_lshlrev_b32_e32 v13, 20, v13
	v_and_b32_e32 v14, 0x80000000, v14
	v_lshl_add_u32 v2, v2, 23, v15
	v_or3_b32 v2, v14, v2, v13
	v_lshrrev_b32_e32 v13, 16, v2
.LBB843_765:
	s_or_b64 exec, exec, s[10:11]
.LBB843_766:
	s_or_b64 exec, exec, s[8:9]
.LBB843_767:
	s_or_b64 exec, exec, s[2:3]
	v_lshrrev_b16_e32 v2, 8, v5
	v_cmp_ne_u16_e32 vcc, 0, v2
	s_and_saveexec_b64 s[2:3], vcc
	s_cbranch_execz .LBB843_773
; %bb.768:
	s_movk_i32 s7, 0x80
	v_cmp_ne_u16_e32 vcc, s7, v2
	v_mov_b32_e32 v4, 0xffff8000
	s_and_saveexec_b64 s[8:9], vcc
	s_cbranch_execz .LBB843_772
; %bb.769:
	s_movk_i32 s7, 0x7f
	v_and_b32_e32 v14, 0x7f, v2
	v_cmp_ne_u32_e32 vcc, s7, v14
	v_mov_b32_e32 v4, 0x7f80
	s_and_saveexec_b64 s[10:11], vcc
	s_cbranch_execz .LBB843_771
; %bb.770:
	v_and_b32_e32 v4, 7, v2
	v_ffbh_u32_e32 v16, v4
	v_min_u32_e32 v18, 32, v16
	v_subrev_u32_e32 v16, 28, v18
	v_lshlrev_b64 v[16:17], v16, v[2:3]
	v_lshrrev_b32_e32 v15, 3, v14
	v_sub_u32_e32 v2, 29, v18
	v_and_b32_e32 v16, 7, v16
	v_cmp_gt_u32_e32 vcc, 8, v14
	v_cndmask_b32_e32 v2, v15, v2, vcc
	v_cndmask_b32_e32 v4, v4, v16, vcc
	v_lshlrev_b32_e32 v14, 16, v5
	v_bfrev_b32_e32 v15, 60
	v_lshlrev_b32_e32 v4, 20, v4
	v_and_b32_e32 v14, 0x80000000, v14
	v_lshl_add_u32 v2, v2, 23, v15
	v_or3_b32 v2, v14, v2, v4
	v_lshrrev_b32_e32 v4, 16, v2
.LBB843_771:
	s_or_b64 exec, exec, s[10:11]
.LBB843_772:
	s_or_b64 exec, exec, s[8:9]
.LBB843_773:
	s_or_b64 exec, exec, s[2:3]
	s_movk_i32 s2, 0xff
	v_and_b32_sdwa v16, v5, s2 dst_sel:DWORD dst_unused:UNUSED_PAD src0_sel:WORD_1 src1_sel:DWORD
	v_lshrrev_b32_e32 v2, 16, v5
	v_cmp_ne_u16_e32 vcc, 0, v16
	v_mov_b32_e32 v14, 0
	v_mov_b32_e32 v15, 0
	s_and_saveexec_b64 s[2:3], vcc
	s_cbranch_execz .LBB843_779
; %bb.774:
	s_movk_i32 s7, 0x80
	v_cmp_ne_u16_e32 vcc, s7, v16
	v_mov_b32_e32 v15, 0xffff8000
	s_and_saveexec_b64 s[8:9], vcc
	s_cbranch_execz .LBB843_778
; %bb.775:
	v_bfe_u32 v16, v5, 16, 7
	s_movk_i32 s7, 0x7f
	v_cmp_ne_u32_e32 vcc, s7, v16
	v_mov_b32_e32 v15, 0x7f80
	s_and_saveexec_b64 s[10:11], vcc
	s_cbranch_execz .LBB843_777
; %bb.776:
	v_and_b32_e32 v15, 7, v2
	v_ffbh_u32_e32 v18, v15
	v_min_u32_e32 v20, 32, v18
	v_subrev_u32_e32 v18, 28, v20
	v_lshlrev_b64 v[18:19], v18, v[2:3]
	v_lshrrev_b32_e32 v17, 3, v16
	v_sub_u32_e32 v2, 29, v20
	v_and_b32_e32 v18, 7, v18
	v_cmp_gt_u32_e32 vcc, 8, v16
	v_mov_b32_e32 v16, 24
	v_cndmask_b32_e32 v2, v17, v2, vcc
	v_cndmask_b32_e32 v15, v15, v18, vcc
	v_lshlrev_b32_sdwa v16, v16, v5 dst_sel:DWORD dst_unused:UNUSED_PAD src0_sel:DWORD src1_sel:WORD_1
	v_bfrev_b32_e32 v17, 60
	v_lshlrev_b32_e32 v15, 20, v15
	v_and_b32_e32 v16, 0x80000000, v16
	v_lshl_add_u32 v2, v2, 23, v17
	v_or3_b32 v2, v16, v2, v15
	v_lshrrev_b32_e32 v15, 16, v2
.LBB843_777:
	s_or_b64 exec, exec, s[10:11]
.LBB843_778:
	s_or_b64 exec, exec, s[8:9]
.LBB843_779:
	s_or_b64 exec, exec, s[2:3]
	s_mov_b32 s2, 0xffffff
	v_cmp_lt_u32_e32 vcc, s2, v5
	s_and_saveexec_b64 s[2:3], vcc
	s_cbranch_execz .LBB843_785
; %bb.780:
	v_lshrrev_b32_e32 v2, 24, v5
	s_movk_i32 s7, 0x80
	v_cmp_ne_u32_e32 vcc, s7, v2
	v_mov_b32_e32 v14, 0xffff8000
	s_and_saveexec_b64 s[8:9], vcc
	s_cbranch_execz .LBB843_784
; %bb.781:
	v_bfe_u32 v5, v5, 24, 7
	s_movk_i32 s7, 0x7f
	v_cmp_ne_u32_e32 vcc, s7, v5
	v_mov_b32_e32 v14, 0x7f80
	s_and_saveexec_b64 s[10:11], vcc
	s_cbranch_execz .LBB843_783
; %bb.782:
	v_and_b32_e32 v14, 7, v2
	v_ffbh_u32_e32 v16, v14
	v_min_u32_e32 v19, 32, v16
	v_subrev_u32_e32 v16, 28, v19
	v_lshlrev_b64 v[16:17], v16, v[2:3]
	v_lshrrev_b32_e32 v18, 3, v5
	v_sub_u32_e32 v17, 29, v19
	v_and_b32_e32 v16, 7, v16
	v_cmp_gt_u32_e32 vcc, 8, v5
	v_cndmask_b32_e32 v5, v18, v17, vcc
	v_cndmask_b32_e32 v14, v14, v16, vcc
	v_lshlrev_b32_e32 v2, 24, v2
	v_bfrev_b32_e32 v16, 60
	v_lshlrev_b32_e32 v14, 20, v14
	v_and_b32_e32 v2, 0x80000000, v2
	v_lshl_add_u32 v5, v5, 23, v16
	v_or3_b32 v2, v2, v5, v14
	v_lshrrev_b32_e32 v14, 16, v2
.LBB843_783:
	s_or_b64 exec, exec, s[10:11]
.LBB843_784:
	s_or_b64 exec, exec, s[8:9]
.LBB843_785:
	s_or_b64 exec, exec, s[2:3]
	s_mov_b32 s3, 0x5040100
	v_perm_b32 v11, v11, v12, s3
	ds_read_b128 v[16:19], v22 offset:6160
	v_perm_b32 v10, v3, v10, s3
	v_perm_b32 v3, v14, v15, s3
	;; [unrolled: 1-line block ×3, first 2 shown]
	s_waitcnt lgkmcnt(0)
	v_mfma_f32_16x16x16bf16_1k v[6:9], v[10:11], v[16:17], v[6:9]
	s_load_dword s2, s[42:43], 0x0
	s_mov_b32 s3, 0x7060302
	s_movk_i32 s7, 0x7fff
	v_cmp_gt_u32_e32 vcc, 64, v0
	s_and_b64 s[0:1], vcc, s[0:1]
	s_waitcnt lgkmcnt(0)
	s_barrier
	v_mfma_f32_16x16x16bf16_1k v[2:5], v[2:3], v[18:19], v[6:9]
	s_nop 7
	s_nop 2
	v_pk_mul_f32 v[4:5], v[4:5], s[2:3] op_sel_hi:[1,0]
	v_pk_mul_f32 v[2:3], v[2:3], s[2:3] op_sel_hi:[1,0]
	v_bfe_u32 v6, v3, 16, 1
	v_bfe_u32 v7, v2, 16, 1
	;; [unrolled: 1-line block ×4, first 2 shown]
	v_add3_u32 v2, v2, v7, s7
	v_add3_u32 v3, v3, v6, s7
	;; [unrolled: 1-line block ×4, first 2 shown]
	v_perm_b32 v2, v3, v2, s3
	v_perm_b32 v3, v5, v4, s3
	ds_write_b64 v26, v[2:3]
	s_waitcnt lgkmcnt(0)
	s_barrier
	s_and_saveexec_b64 s[2:3], s[0:1]
	s_cbranch_execz .LBB843_788
; %bb.786:
	s_load_dwordx2 s[2:3], s[4:5], 0x68
	s_lshl_b32 s0, s44, 6
	s_mul_i32 s1, s12, s6
	s_mul_hi_u32 s7, s1, s0
	s_mul_i32 s6, s1, s0
	s_lshl_b64 s[6:7], s[6:7], 1
	s_waitcnt lgkmcnt(0)
	s_add_u32 s1, s2, s6
	v_lshlrev_b32_e32 v0, 10, v0
	s_mov_b32 s5, 0
	s_addc_u32 s6, s3, s7
	s_lshl_b32 s4, s24, 6
	v_and_b32_e32 v0, 0x1800, v0
	v_lshlrev_b32_e32 v2, 5, v1
	v_and_b32_e32 v3, 16, v47
	s_lshl_b64 s[2:3], s[4:5], 1
	v_or3_b32 v0, v0, v2, v3
	s_add_u32 s1, s1, s2
	ds_read_b128 v[6:9], v0 offset:256
	v_or_b32_e32 v2, 12, v1
	s_addc_u32 s2, s6, s3
	ds_read_b128 v[10:13], v0 offset:128
	ds_read_b128 v[14:17], v0
	v_add_u32_e32 v1, s25, v1
	v_mov_b32_e32 v4, s2
	v_add_co_u32_e32 v3, vcc, s1, v46
	v_mad_u64_u32 v[18:19], s[2:3], v1, s0, 0
	v_addc_co_u32_e32 v4, vcc, 0, v4, vcc
	v_lshlrev_b64 v[18:19], 1, v[18:19]
	v_add_co_u32_e32 v18, vcc, v3, v18
	v_addc_co_u32_e32 v19, vcc, v4, v19, vcc
	v_add_u32_e32 v5, 4, v1
	s_waitcnt lgkmcnt(0)
	global_store_dwordx4 v[18:19], v[14:17], off
	v_add_u32_e32 v1, 8, v1
	v_mad_u64_u32 v[14:15], s[2:3], v5, s0, 0
	v_lshlrev_b64 v[14:15], 1, v[14:15]
	v_add_co_u32_e32 v14, vcc, v3, v14
	v_addc_co_u32_e32 v15, vcc, v4, v15, vcc
	global_store_dwordx4 v[14:15], v[10:13], off
	s_nop 0
	v_mad_u64_u32 v[10:11], s[2:3], v1, s0, 0
	v_lshlrev_b64 v[10:11], 1, v[10:11]
	v_add_co_u32_e32 v10, vcc, v3, v10
	v_addc_co_u32_e32 v11, vcc, v4, v11, vcc
	v_cmp_gt_u32_e32 vcc, 14, v2
	global_store_dwordx4 v[10:11], v[6:9], off
	s_and_b64 exec, exec, vcc
	s_cbranch_execz .LBB843_788
; %bb.787:
	ds_read_b128 v[6:9], v0 offset:384
	v_add_u32_e32 v0, s25, v2
	v_mad_u64_u32 v[0:1], s[0:1], v0, s0, 0
	v_lshlrev_b64 v[0:1], 1, v[0:1]
	v_add_co_u32_e32 v0, vcc, v3, v0
	v_addc_co_u32_e32 v1, vcc, v4, v1, vcc
	s_waitcnt lgkmcnt(0)
	global_store_dwordx4 v[0:1], v[6:9], off
.LBB843_788:
	s_endpgm
	.section	.rodata,"a",@progbits
	.p2align	6, 0x0
	.amdhsa_kernel _Z39paged_attention_ll4mi_QKV_mfma16_kernelI14__hip_bfloat16hLN4vllm18Fp8KVCacheDataTypeE1ES0_Li16ELi64ELi256ELb1ELi14EL8MFMAType0EEvPKT_PKT0_S9_ifPKiSB_SB_iPKfiiiPfSE_PS4_PT2_iSD_SD_
		.amdhsa_group_segment_fixed_size 8192
		.amdhsa_private_segment_fixed_size 0
		.amdhsa_kernarg_size 400
		.amdhsa_user_sgpr_count 6
		.amdhsa_user_sgpr_private_segment_buffer 1
		.amdhsa_user_sgpr_dispatch_ptr 0
		.amdhsa_user_sgpr_queue_ptr 0
		.amdhsa_user_sgpr_kernarg_segment_ptr 1
		.amdhsa_user_sgpr_dispatch_id 0
		.amdhsa_user_sgpr_flat_scratch_init 0
		.amdhsa_user_sgpr_kernarg_preload_length 0
		.amdhsa_user_sgpr_kernarg_preload_offset 0
		.amdhsa_user_sgpr_private_segment_size 0
		.amdhsa_uses_dynamic_stack 0
		.amdhsa_system_sgpr_private_segment_wavefront_offset 0
		.amdhsa_system_sgpr_workgroup_id_x 1
		.amdhsa_system_sgpr_workgroup_id_y 1
		.amdhsa_system_sgpr_workgroup_id_z 1
		.amdhsa_system_sgpr_workgroup_info 0
		.amdhsa_system_vgpr_workitem_id 0
		.amdhsa_next_free_vgpr 62
		.amdhsa_next_free_sgpr 47
		.amdhsa_accum_offset 64
		.amdhsa_reserve_vcc 1
		.amdhsa_reserve_flat_scratch 0
		.amdhsa_float_round_mode_32 0
		.amdhsa_float_round_mode_16_64 0
		.amdhsa_float_denorm_mode_32 3
		.amdhsa_float_denorm_mode_16_64 3
		.amdhsa_dx10_clamp 1
		.amdhsa_ieee_mode 1
		.amdhsa_fp16_overflow 0
		.amdhsa_tg_split 0
		.amdhsa_exception_fp_ieee_invalid_op 0
		.amdhsa_exception_fp_denorm_src 0
		.amdhsa_exception_fp_ieee_div_zero 0
		.amdhsa_exception_fp_ieee_overflow 0
		.amdhsa_exception_fp_ieee_underflow 0
		.amdhsa_exception_fp_ieee_inexact 0
		.amdhsa_exception_int_div_zero 0
	.end_amdhsa_kernel
	.section	.text._Z39paged_attention_ll4mi_QKV_mfma16_kernelI14__hip_bfloat16hLN4vllm18Fp8KVCacheDataTypeE1ES0_Li16ELi64ELi256ELb1ELi14EL8MFMAType0EEvPKT_PKT0_S9_ifPKiSB_SB_iPKfiiiPfSE_PS4_PT2_iSD_SD_,"axG",@progbits,_Z39paged_attention_ll4mi_QKV_mfma16_kernelI14__hip_bfloat16hLN4vllm18Fp8KVCacheDataTypeE1ES0_Li16ELi64ELi256ELb1ELi14EL8MFMAType0EEvPKT_PKT0_S9_ifPKiSB_SB_iPKfiiiPfSE_PS4_PT2_iSD_SD_,comdat
.Lfunc_end843:
	.size	_Z39paged_attention_ll4mi_QKV_mfma16_kernelI14__hip_bfloat16hLN4vllm18Fp8KVCacheDataTypeE1ES0_Li16ELi64ELi256ELb1ELi14EL8MFMAType0EEvPKT_PKT0_S9_ifPKiSB_SB_iPKfiiiPfSE_PS4_PT2_iSD_SD_, .Lfunc_end843-_Z39paged_attention_ll4mi_QKV_mfma16_kernelI14__hip_bfloat16hLN4vllm18Fp8KVCacheDataTypeE1ES0_Li16ELi64ELi256ELb1ELi14EL8MFMAType0EEvPKT_PKT0_S9_ifPKiSB_SB_iPKfiiiPfSE_PS4_PT2_iSD_SD_
                                        ; -- End function
	.section	.AMDGPU.csdata,"",@progbits
; Kernel info:
; codeLenInByte = 28708
; NumSgprs: 51
; NumVgprs: 62
; NumAgprs: 0
; TotalNumVgprs: 62
; ScratchSize: 0
; MemoryBound: 0
; FloatMode: 240
; IeeeMode: 1
; LDSByteSize: 8192 bytes/workgroup (compile time only)
; SGPRBlocks: 6
; VGPRBlocks: 7
; NumSGPRsForWavesPerEU: 51
; NumVGPRsForWavesPerEU: 62
; AccumOffset: 64
; Occupancy: 8
; WaveLimiterHint : 1
; COMPUTE_PGM_RSRC2:SCRATCH_EN: 0
; COMPUTE_PGM_RSRC2:USER_SGPR: 6
; COMPUTE_PGM_RSRC2:TRAP_HANDLER: 0
; COMPUTE_PGM_RSRC2:TGID_X_EN: 1
; COMPUTE_PGM_RSRC2:TGID_Y_EN: 1
; COMPUTE_PGM_RSRC2:TGID_Z_EN: 1
; COMPUTE_PGM_RSRC2:TIDIG_COMP_CNT: 0
; COMPUTE_PGM_RSRC3_GFX90A:ACCUM_OFFSET: 15
; COMPUTE_PGM_RSRC3_GFX90A:TG_SPLIT: 0
	.section	.text._Z39paged_attention_ll4mi_QKV_mfma16_kernelI14__hip_bfloat16hLN4vllm18Fp8KVCacheDataTypeE1ES0_Li16ELi64ELi256ELb1ELi15EL8MFMAType0EEvPKT_PKT0_S9_ifPKiSB_SB_iPKfiiiPfSE_PS4_PT2_iSD_SD_,"axG",@progbits,_Z39paged_attention_ll4mi_QKV_mfma16_kernelI14__hip_bfloat16hLN4vllm18Fp8KVCacheDataTypeE1ES0_Li16ELi64ELi256ELb1ELi15EL8MFMAType0EEvPKT_PKT0_S9_ifPKiSB_SB_iPKfiiiPfSE_PS4_PT2_iSD_SD_,comdat
	.protected	_Z39paged_attention_ll4mi_QKV_mfma16_kernelI14__hip_bfloat16hLN4vllm18Fp8KVCacheDataTypeE1ES0_Li16ELi64ELi256ELb1ELi15EL8MFMAType0EEvPKT_PKT0_S9_ifPKiSB_SB_iPKfiiiPfSE_PS4_PT2_iSD_SD_ ; -- Begin function _Z39paged_attention_ll4mi_QKV_mfma16_kernelI14__hip_bfloat16hLN4vllm18Fp8KVCacheDataTypeE1ES0_Li16ELi64ELi256ELb1ELi15EL8MFMAType0EEvPKT_PKT0_S9_ifPKiSB_SB_iPKfiiiPfSE_PS4_PT2_iSD_SD_
	.globl	_Z39paged_attention_ll4mi_QKV_mfma16_kernelI14__hip_bfloat16hLN4vllm18Fp8KVCacheDataTypeE1ES0_Li16ELi64ELi256ELb1ELi15EL8MFMAType0EEvPKT_PKT0_S9_ifPKiSB_SB_iPKfiiiPfSE_PS4_PT2_iSD_SD_
	.p2align	8
	.type	_Z39paged_attention_ll4mi_QKV_mfma16_kernelI14__hip_bfloat16hLN4vllm18Fp8KVCacheDataTypeE1ES0_Li16ELi64ELi256ELb1ELi15EL8MFMAType0EEvPKT_PKT0_S9_ifPKiSB_SB_iPKfiiiPfSE_PS4_PT2_iSD_SD_,@function
_Z39paged_attention_ll4mi_QKV_mfma16_kernelI14__hip_bfloat16hLN4vllm18Fp8KVCacheDataTypeE1ES0_Li16ELi64ELi256ELb1ELi15EL8MFMAType0EEvPKT_PKT0_S9_ifPKiSB_SB_iPKfiiiPfSE_PS4_PT2_iSD_SD_: ; @_Z39paged_attention_ll4mi_QKV_mfma16_kernelI14__hip_bfloat16hLN4vllm18Fp8KVCacheDataTypeE1ES0_Li16ELi64ELi256ELb1ELi15EL8MFMAType0EEvPKT_PKT0_S9_ifPKiSB_SB_iPKfiiiPfSE_PS4_PT2_iSD_SD_
; %bb.0:
	s_load_dwordx2 s[0:1], s[4:5], 0x30
	s_mov_b32 s24, s7
	s_mov_b64 s[10:11], 0
	s_waitcnt lgkmcnt(0)
	s_cmp_lg_u64 s[0:1], 0
	s_cselect_b64 s[2:3], -1, 0
	s_and_b64 vcc, exec, s[2:3]
	s_cbranch_vccz .LBB844_7
; %bb.1:
	s_add_i32 s12, s6, 1
	s_mov_b32 s13, 0
	s_lshl_b64 s[14:15], s[12:13], 2
	s_add_u32 s14, s0, s14
	s_mov_b32 s7, s13
	s_addc_u32 s15, s1, s15
	s_lshl_b64 s[12:13], s[6:7], 2
	s_add_u32 s12, s0, s12
	s_addc_u32 s13, s1, s13
	s_load_dword s9, s[14:15], 0x0
	s_load_dword s16, s[12:13], 0x0
	s_waitcnt lgkmcnt(0)
	s_sub_i32 s9, s9, s16
	s_cmp_eq_u32 s9, 1
	s_cselect_b64 s[12:13], -1, 0
	s_andn2_b64 vcc, exec, s[10:11]
	s_cbranch_vccnz .LBB844_3
.LBB844_2:
	s_mov_b32 s7, 0
	s_mov_b64 s[12:13], -1
.LBB844_3:
	s_andn2_b64 vcc, exec, s[12:13]
	s_cbranch_vccnz .LBB844_788
; %bb.4:
	s_load_dwordx2 s[12:13], s[4:5], 0x28
	s_lshl_b64 s[10:11], s[6:7], 2
	s_waitcnt lgkmcnt(0)
	s_add_u32 s12, s12, s10
	s_addc_u32 s13, s13, s11
	s_load_dword s33, s[12:13], 0x0
	s_lshl_b32 s18, s24, 8
	s_waitcnt lgkmcnt(0)
	s_cmp_ge_i32 s18, s33
	s_cbranch_scc1 .LBB844_788
; %bb.5:
	s_add_i32 s14, s33, 15
	s_load_dwordx2 s[12:13], s[4:5], 0x20
	s_load_dword s9, s[4:5], 0x38
	s_ashr_i32 s15, s14, 31
	v_and_b32_e32 v1, 0xcf, v0
	s_lshr_b32 s15, s15, 28
	v_add_u32_e32 v1, s18, v1
	s_add_i32 s14, s14, s15
	v_ashrrev_i32_e32 v2, 31, v1
	s_ashr_i32 s21, s14, 4
	v_lshrrev_b32_e32 v4, 28, v2
	s_add_i32 s21, s21, -1
	v_add_u32_e32 v2, v1, v4
	s_waitcnt lgkmcnt(0)
	s_mul_i32 s14, s6, s9
	s_mov_b32 s15, 0
	v_ashrrev_i32_e32 v2, 4, v2
	v_mov_b32_e32 v5, s21
	v_cmp_gt_i32_e32 vcc, s33, v1
	s_lshl_b64 s[14:15], s[14:15], 2
	v_cndmask_b32_e32 v2, v5, v2, vcc
	s_add_u32 s19, s12, s14
	v_ashrrev_i32_e32 v3, 31, v2
	s_addc_u32 s20, s13, s15
	v_lshlrev_b64 v[2:3], 2, v[2:3]
	v_mov_b32_e32 v7, s20
	v_add_co_u32_e32 v6, vcc, s19, v2
	v_or_b32_e32 v2, 16, v1
	v_addc_co_u32_e32 v7, vcc, v7, v3, vcc
	v_add_u32_e32 v3, v2, v4
	v_ashrrev_i32_e32 v3, 4, v3
	v_cmp_gt_i32_e32 vcc, s33, v2
	v_cndmask_b32_e32 v2, v5, v3, vcc
	v_ashrrev_i32_e32 v3, 31, v2
	v_lshlrev_b64 v[2:3], 2, v[2:3]
	v_mov_b32_e32 v9, s20
	v_add_co_u32_e32 v8, vcc, s19, v2
	v_or_b32_e32 v2, 32, v1
	v_addc_co_u32_e32 v9, vcc, v9, v3, vcc
	v_add_u32_e32 v3, v2, v4
	v_ashrrev_i32_e32 v3, 4, v3
	v_cmp_gt_i32_e32 vcc, s33, v2
	v_cndmask_b32_e32 v2, v5, v3, vcc
	v_ashrrev_i32_e32 v3, 31, v2
	;; [unrolled: 10-line block ×3, first 2 shown]
	v_lshlrev_b64 v[2:3], 2, v[2:3]
	v_mov_b32_e32 v1, s20
	v_add_co_u32_e32 v12, vcc, s19, v2
	v_addc_co_u32_e32 v13, vcc, v1, v3, vcc
	global_load_dword v5, v[6:7], off
	global_load_dword v4, v[8:9], off
	;; [unrolled: 1-line block ×4, first 2 shown]
	s_load_dwordx2 s[16:17], s[4:5], 0x8
	s_andn2_b64 vcc, exec, s[2:3]
	s_cbranch_vccnz .LBB844_8
; %bb.6:
	s_add_u32 s0, s0, s10
	s_addc_u32 s1, s1, s11
	s_load_dword s9, s[0:1], 0x0
	s_branch .LBB844_9
.LBB844_7:
	s_mov_b64 s[12:13], 0
	s_branch .LBB844_2
.LBB844_8:
	s_mov_b32 s9, s6
.LBB844_9:
	s_load_dwordx2 s[2:3], s[4:5], 0x10
	s_load_dwordx4 s[12:15], s[4:5], 0x48
	v_lshrrev_b32_e32 v49, 6, v0
	v_bfe_u32 v1, v0, 4, 2
	v_lshl_or_b32 v6, v49, 2, v1
	v_and_b32_e32 v48, 15, v0
	v_lshlrev_b32_e32 v7, 3, v48
	v_cmp_gt_u32_e32 vcc, 15, v6
	v_cmp_gt_u32_e64 s[0:1], 8, v48
	s_mul_i32 s25, s8, 15
	s_and_b64 s[22:23], s[0:1], vcc
	v_lshlrev_b32_e32 v46, 1, v7
	v_lshlrev_b32_e32 v47, 4, v0
	s_and_saveexec_b64 s[10:11], s[22:23]
	s_cbranch_execz .LBB844_11
; %bb.10:
	s_load_dwordx2 s[22:23], s[4:5], 0x0
	s_waitcnt lgkmcnt(0)
	s_ashr_i32 s15, s12, 31
	s_mul_hi_u32 s26, s9, s12
	s_mul_i32 s15, s9, s15
	s_add_i32 s27, s26, s15
	s_mul_i32 s26, s9, s12
	s_lshl_b64 s[26:27], s[26:27], 1
	v_add_lshl_u32 v8, v6, s25, 6
	s_add_u32 s9, s22, s26
	v_ashrrev_i32_e32 v9, 31, v8
	s_addc_u32 s12, s23, s27
	v_lshlrev_b64 v[8:9], 1, v[8:9]
	v_mov_b32_e32 v7, s12
	v_add_co_u32_e32 v8, vcc, s9, v8
	v_addc_co_u32_e32 v7, vcc, v7, v9, vcc
	v_add_co_u32_e32 v8, vcc, v8, v46
	v_addc_co_u32_e32 v9, vcc, 0, v7, vcc
	global_load_dwordx4 v[8:11], v[8:9], off
	v_lshlrev_b32_e32 v12, 8, v48
	v_lshlrev_b32_e32 v6, 5, v6
	v_and_b32_e32 v7, 16, v47
	v_and_b32_e32 v12, 0xe00, v12
	v_or3_b32 v6, v12, v6, v7
	s_waitcnt vmcnt(0)
	ds_write_b128 v6, v[8:11]
.LBB844_11:
	s_or_b64 exec, exec, s[10:11]
	s_waitcnt lgkmcnt(0)
	s_mul_i32 s10, s8, s14
	s_add_u32 s8, s16, s10
	s_addc_u32 s9, s17, 0
	v_and_b32_e32 v7, 0xf0, v47
	v_and_b32_e32 v6, 48, v0
	v_mov_b32_e32 v8, s9
	v_add_co_u32_e32 v7, vcc, s8, v7
	v_addc_co_u32_e32 v9, vcc, 0, v8, vcc
	v_lshlrev_b32_e32 v8, 4, v6
	v_add_co_u32_e32 v8, vcc, v7, v8
	v_addc_co_u32_e32 v9, vcc, 0, v9, vcc
	s_waitcnt vmcnt(3)
	v_mad_i64_i32 v[10:11], s[8:9], v5, s13, v[8:9]
	s_waitcnt vmcnt(2)
	v_mad_i64_i32 v[4:5], s[8:9], v4, s13, v[8:9]
	s_barrier
	global_load_dwordx4 v[34:37], v[10:11], off
	global_load_dwordx4 v[38:41], v[4:5], off
	s_waitcnt vmcnt(3)
	v_mad_i64_i32 v[4:5], s[8:9], v2, s13, v[8:9]
	s_waitcnt vmcnt(2)
	v_mad_i64_i32 v[2:3], s[8:9], v3, s13, v[8:9]
	global_load_dwordx4 v[30:33], v[4:5], off
	global_load_dwordx4 v[22:25], v[2:3], off
	v_cmp_ne_u32_e32 vcc, 15, v48
	v_cndmask_b32_e32 v2, 0, v48, vcc
	v_lshlrev_b32_e32 v2, 5, v2
	v_lshl_or_b32 v2, v1, 9, v2
	ds_read_b128 v[26:29], v2
	ds_read_b128 v[18:21], v2 offset:16
	v_mov_b32_e32 v43, 0
	v_mov_b32_e32 v50, 0
	s_and_saveexec_b64 s[8:9], vcc
	s_cbranch_execz .LBB844_13
; %bb.12:
	s_load_dwordx2 s[14:15], s[4:5], 0x40
	v_add_u32_e32 v2, s25, v48
	v_ashrrev_i32_e32 v3, 31, v2
	v_lshlrev_b64 v[2:3], 2, v[2:3]
	s_waitcnt lgkmcnt(0)
	v_mov_b32_e32 v4, s15
	v_add_co_u32_e32 v2, vcc, s14, v2
	v_addc_co_u32_e32 v3, vcc, v4, v3, vcc
	global_load_dword v50, v[2:3], off
.LBB844_13:
	s_or_b64 exec, exec, s[8:9]
	v_or_b32_e32 v8, s18, v6
	v_ashrrev_i32_e32 v2, 4, v8
	v_mov_b32_e32 v9, s21
	v_cmp_gt_i32_e32 vcc, s33, v8
	v_cndmask_b32_e32 v2, v9, v2, vcc
	v_ashrrev_i32_e32 v3, 31, v2
	v_lshlrev_b64 v[2:3], 2, v[2:3]
	v_mov_b32_e32 v4, s20
	v_add_co_u32_e32 v2, vcc, s19, v2
	v_addc_co_u32_e32 v3, vcc, v4, v3, vcc
	v_or_b32_e32 v4, 64, v8
	v_ashrrev_i32_e32 v5, 4, v4
	v_cmp_gt_i32_e32 vcc, s33, v4
	v_cndmask_b32_e32 v4, v9, v5, vcc
	v_ashrrev_i32_e32 v5, 31, v4
	v_lshlrev_b64 v[4:5], 2, v[4:5]
	v_mov_b32_e32 v6, s20
	v_add_co_u32_e32 v4, vcc, s19, v4
	v_addc_co_u32_e32 v5, vcc, v6, v5, vcc
	v_or_b32_e32 v6, 0x80, v8
	v_ashrrev_i32_e32 v7, 4, v6
	v_cmp_gt_i32_e32 vcc, s33, v6
	v_cndmask_b32_e32 v6, v9, v7, vcc
	v_ashrrev_i32_e32 v7, 31, v6
	v_lshlrev_b64 v[6:7], 2, v[6:7]
	v_mov_b32_e32 v10, s20
	v_add_co_u32_e32 v6, vcc, s19, v6
	v_addc_co_u32_e32 v7, vcc, v10, v7, vcc
	global_load_dword v10, v[2:3], off
	global_load_dword v11, v[4:5], off
	;; [unrolled: 1-line block ×3, first 2 shown]
	v_or_b32_e32 v2, 0xc0, v8
	v_ashrrev_i32_e32 v3, 4, v2
	v_cmp_gt_i32_e32 vcc, s33, v2
	v_cndmask_b32_e32 v2, v9, v3, vcc
	v_ashrrev_i32_e32 v3, 31, v2
	v_lshlrev_b64 v[2:3], 2, v[2:3]
	v_mov_b32_e32 v4, s20
	v_add_co_u32_e32 v2, vcc, s19, v2
	v_addc_co_u32_e32 v3, vcc, v4, v3, vcc
	global_load_dword v13, v[2:3], off
	s_add_u32 s2, s2, s10
	v_lshlrev_b32_e32 v2, 4, v48
	s_addc_u32 s3, s3, 0
	v_lshl_or_b32 v2, v49, 8, v2
	v_mov_b32_e32 v3, s3
	v_add_co_u32_e32 v2, vcc, s2, v2
	v_addc_co_u32_e32 v3, vcc, 0, v3, vcc
	s_movk_i32 s8, 0x80
	s_waitcnt vmcnt(7)
	v_cmp_ne_u16_sdwa s[10:11], v34, v43 src0_sel:BYTE_0 src1_sel:DWORD
	s_waitcnt vmcnt(3)
	v_mad_i64_i32 v[4:5], s[2:3], v10, s13, v[2:3]
	s_waitcnt vmcnt(2)
	v_mad_i64_i32 v[6:7], s[2:3], v11, s13, v[2:3]
	;; [unrolled: 2-line block ×4, first 2 shown]
	global_load_dwordx4 v[14:17], v[4:5], off
	global_load_dwordx4 v[10:13], v[6:7], off
                                        ; kill: killed $vgpr6_vgpr7
                                        ; kill: killed $vgpr4_vgpr5
	s_nop 0
	global_load_dwordx4 v[6:9], v[8:9], off
	s_nop 0
	global_load_dwordx4 v[2:5], v[2:3], off
	s_load_dwordx4 s[40:43], s[4:5], 0x80
	s_load_dwordx2 s[44:45], s[4:5], 0x94
                                        ; kill: killed $sgpr40_sgpr41
	s_waitcnt lgkmcnt(0)
	s_load_dword s12, s[40:41], 0x0
	s_and_saveexec_b64 s[2:3], s[10:11]
	s_cbranch_execz .LBB844_19
; %bb.14:
	v_cmp_ne_u16_sdwa s[10:11], v34, s8 src0_sel:BYTE_0 src1_sel:DWORD
	v_mov_b32_e32 v43, 0xffff8000
	s_and_saveexec_b64 s[8:9], s[10:11]
	s_cbranch_execz .LBB844_18
; %bb.15:
	s_movk_i32 s10, 0x7f
	v_and_b32_e32 v42, 0x7f, v34
	v_cmp_ne_u32_e32 vcc, s10, v42
	v_mov_b32_e32 v43, 0x7f80
	s_and_saveexec_b64 s[10:11], vcc
	s_cbranch_execz .LBB844_17
; %bb.16:
	v_and_b32_e32 v43, 7, v34
	v_ffbh_u32_e32 v44, v43
	v_min_u32_e32 v52, 32, v44
	v_subrev_u32_e32 v44, 28, v52
	v_lshlrev_b64 v[44:45], v44, v[34:35]
	v_lshrrev_b32_e32 v51, 3, v42
	v_sub_u32_e32 v45, 29, v52
	v_and_b32_e32 v44, 7, v44
	v_cmp_gt_u32_e32 vcc, 8, v42
	v_cndmask_b32_e32 v42, v51, v45, vcc
	v_cndmask_b32_e32 v43, v43, v44, vcc
	v_lshlrev_b32_e32 v44, 24, v34
	v_bfrev_b32_e32 v45, 60
	v_lshlrev_b32_e32 v43, 20, v43
	v_and_b32_e32 v44, 0x80000000, v44
	v_lshl_add_u32 v42, v42, 23, v45
	v_or3_b32 v42, v44, v42, v43
	v_lshrrev_b32_e32 v43, 16, v42
.LBB844_17:
	s_or_b64 exec, exec, s[10:11]
.LBB844_18:
	s_or_b64 exec, exec, s[8:9]
.LBB844_19:
	s_or_b64 exec, exec, s[2:3]
	v_lshrrev_b16_e32 v42, 8, v34
	v_cmp_ne_u16_e32 vcc, 0, v42
	v_mov_b32_e32 v45, 0
	v_mov_b32_e32 v44, 0
	s_and_saveexec_b64 s[2:3], vcc
	s_cbranch_execz .LBB844_25
; %bb.20:
	s_movk_i32 s8, 0x80
	v_cmp_ne_u16_sdwa s[10:11], v34, s8 src0_sel:BYTE_1 src1_sel:DWORD
	v_mov_b32_e32 v44, 0xffff8000
	s_and_saveexec_b64 s[8:9], s[10:11]
	s_cbranch_execz .LBB844_24
; %bb.21:
	s_movk_i32 s10, 0x7f
	v_and_b32_e32 v51, 0x7f, v42
	v_cmp_ne_u32_e32 vcc, s10, v51
	v_mov_b32_e32 v44, 0x7f80
	s_and_saveexec_b64 s[10:11], vcc
	s_cbranch_execz .LBB844_23
; %bb.22:
	v_and_b32_e32 v44, 7, v42
	v_ffbh_u32_e32 v52, v44
	v_min_u32_e32 v55, 32, v52
	v_subrev_u32_e32 v52, 28, v55
	v_lshlrev_b64 v[52:53], v52, v[42:43]
	v_lshrrev_b32_e32 v54, 3, v51
	v_sub_u32_e32 v42, 29, v55
	v_and_b32_e32 v52, 7, v52
	v_cmp_gt_u32_e32 vcc, 8, v51
	v_cndmask_b32_e32 v42, v54, v42, vcc
	v_cndmask_b32_e32 v44, v44, v52, vcc
	v_lshlrev_b32_e32 v51, 16, v34
	v_bfrev_b32_e32 v52, 60
	v_lshlrev_b32_e32 v44, 20, v44
	v_and_b32_e32 v51, 0x80000000, v51
	v_lshl_add_u32 v42, v42, 23, v52
	v_or3_b32 v42, v51, v42, v44
	v_lshrrev_b32_e32 v44, 16, v42
.LBB844_23:
	s_or_b64 exec, exec, s[10:11]
.LBB844_24:
	s_or_b64 exec, exec, s[8:9]
.LBB844_25:
	s_or_b64 exec, exec, s[2:3]
	s_movk_i32 s2, 0xff
	v_and_b32_sdwa v51, v34, s2 dst_sel:DWORD dst_unused:UNUSED_PAD src0_sel:WORD_1 src1_sel:DWORD
	v_lshrrev_b32_e32 v42, 16, v34
	v_cmp_ne_u16_e32 vcc, 0, v51
	s_and_saveexec_b64 s[2:3], vcc
	s_cbranch_execz .LBB844_31
; %bb.26:
	s_movk_i32 s8, 0x80
	v_cmp_ne_u16_e32 vcc, s8, v51
	v_mov_b32_e32 v45, 0xffff8000
	s_and_saveexec_b64 s[8:9], vcc
	s_cbranch_execz .LBB844_30
; %bb.27:
	v_bfe_u32 v51, v34, 16, 7
	s_movk_i32 s10, 0x7f
	v_cmp_ne_u32_e32 vcc, s10, v51
	v_mov_b32_e32 v45, 0x7f80
	s_and_saveexec_b64 s[10:11], vcc
	s_cbranch_execz .LBB844_29
; %bb.28:
	v_and_b32_e32 v45, 7, v42
	v_ffbh_u32_e32 v52, v45
	v_min_u32_e32 v55, 32, v52
	v_subrev_u32_e32 v52, 28, v55
	v_lshlrev_b64 v[52:53], v52, v[42:43]
	v_lshrrev_b32_e32 v54, 3, v51
	v_sub_u32_e32 v42, 29, v55
	v_and_b32_e32 v52, 7, v52
	v_cmp_gt_u32_e32 vcc, 8, v51
	v_mov_b32_e32 v51, 24
	v_cndmask_b32_e32 v42, v54, v42, vcc
	v_cndmask_b32_e32 v45, v45, v52, vcc
	v_lshlrev_b32_sdwa v51, v51, v34 dst_sel:DWORD dst_unused:UNUSED_PAD src0_sel:DWORD src1_sel:WORD_1
	v_bfrev_b32_e32 v52, 60
	v_lshlrev_b32_e32 v45, 20, v45
	v_and_b32_e32 v51, 0x80000000, v51
	v_lshl_add_u32 v42, v42, 23, v52
	v_or3_b32 v42, v51, v42, v45
	v_lshrrev_b32_e32 v45, 16, v42
.LBB844_29:
	s_or_b64 exec, exec, s[10:11]
.LBB844_30:
	s_or_b64 exec, exec, s[8:9]
.LBB844_31:
	s_or_b64 exec, exec, s[2:3]
	s_mov_b32 s2, 0xffffff
	v_cmp_lt_u32_e32 vcc, s2, v34
	v_mov_b32_e32 v52, 0
	v_mov_b32_e32 v53, 0
	s_and_saveexec_b64 s[2:3], vcc
	s_cbranch_execz .LBB844_37
; %bb.32:
	v_lshrrev_b32_e32 v42, 24, v34
	s_movk_i32 s8, 0x80
	v_cmp_ne_u32_e32 vcc, s8, v42
	v_mov_b32_e32 v53, 0xffff8000
	s_and_saveexec_b64 s[8:9], vcc
	s_cbranch_execz .LBB844_36
; %bb.33:
	v_bfe_u32 v34, v34, 24, 7
	s_movk_i32 s10, 0x7f
	v_cmp_ne_u32_e32 vcc, s10, v34
	v_mov_b32_e32 v53, 0x7f80
	s_and_saveexec_b64 s[10:11], vcc
	s_cbranch_execz .LBB844_35
; %bb.34:
	v_and_b32_e32 v51, 7, v42
	v_ffbh_u32_e32 v54, v51
	v_min_u32_e32 v56, 32, v54
	v_subrev_u32_e32 v54, 28, v56
	v_lshlrev_b64 v[54:55], v54, v[42:43]
	v_lshrrev_b32_e32 v53, 3, v34
	v_sub_u32_e32 v55, 29, v56
	v_and_b32_e32 v54, 7, v54
	v_cmp_gt_u32_e32 vcc, 8, v34
	v_cndmask_b32_e32 v34, v53, v55, vcc
	v_cndmask_b32_e32 v51, v51, v54, vcc
	v_lshlrev_b32_e32 v42, 24, v42
	v_bfrev_b32_e32 v53, 60
	v_lshlrev_b32_e32 v51, 20, v51
	v_and_b32_e32 v42, 0x80000000, v42
	v_lshl_add_u32 v34, v34, 23, v53
	v_or3_b32 v34, v42, v34, v51
	v_lshrrev_b32_e32 v53, 16, v34
.LBB844_35:
	s_or_b64 exec, exec, s[10:11]
.LBB844_36:
	s_or_b64 exec, exec, s[8:9]
.LBB844_37:
	s_or_b64 exec, exec, s[2:3]
	v_cmp_ne_u16_sdwa s[8:9], v35, v52 src0_sel:BYTE_0 src1_sel:DWORD
	s_and_saveexec_b64 s[2:3], s[8:9]
	s_cbranch_execz .LBB844_43
; %bb.38:
	s_movk_i32 s8, 0x80
	v_cmp_ne_u16_sdwa s[10:11], v35, s8 src0_sel:BYTE_0 src1_sel:DWORD
	v_mov_b32_e32 v52, 0xffff8000
	s_and_saveexec_b64 s[8:9], s[10:11]
	s_cbranch_execz .LBB844_42
; %bb.39:
	s_movk_i32 s10, 0x7f
	v_and_b32_e32 v34, 0x7f, v35
	v_cmp_ne_u32_e32 vcc, s10, v34
	v_mov_b32_e32 v52, 0x7f80
	s_and_saveexec_b64 s[10:11], vcc
	s_cbranch_execz .LBB844_41
; %bb.40:
	v_and_b32_e32 v51, 7, v35
	v_ffbh_u32_e32 v54, v51
	v_min_u32_e32 v56, 32, v54
	v_mov_b32_e32 v42, v35
	v_subrev_u32_e32 v54, 28, v56
	v_lshlrev_b64 v[54:55], v54, v[42:43]
	v_lshrrev_b32_e32 v52, 3, v34
	v_sub_u32_e32 v42, 29, v56
	v_and_b32_e32 v54, 7, v54
	v_cmp_gt_u32_e32 vcc, 8, v34
	v_cndmask_b32_e32 v34, v52, v42, vcc
	v_cndmask_b32_e32 v42, v51, v54, vcc
	v_lshlrev_b32_e32 v51, 24, v35
	v_bfrev_b32_e32 v52, 60
	v_lshlrev_b32_e32 v42, 20, v42
	v_and_b32_e32 v51, 0x80000000, v51
	v_lshl_add_u32 v34, v34, 23, v52
	v_or3_b32 v34, v51, v34, v42
	v_lshrrev_b32_e32 v52, 16, v34
.LBB844_41:
	s_or_b64 exec, exec, s[10:11]
.LBB844_42:
	s_or_b64 exec, exec, s[8:9]
.LBB844_43:
	s_or_b64 exec, exec, s[2:3]
	v_lshrrev_b16_e32 v34, 8, v35
	v_cmp_ne_u16_e32 vcc, 0, v34
	v_mov_b32_e32 v54, 0
	v_mov_b32_e32 v42, 0
	s_and_saveexec_b64 s[2:3], vcc
	s_cbranch_execz .LBB844_49
; %bb.44:
	s_movk_i32 s8, 0x80
	v_cmp_ne_u16_e32 vcc, s8, v34
	v_mov_b32_e32 v42, 0xffff8000
	s_and_saveexec_b64 s[8:9], vcc
	s_cbranch_execz .LBB844_48
; %bb.45:
	s_movk_i32 s10, 0x7f
	v_and_b32_e32 v51, 0x7f, v34
	v_cmp_ne_u32_e32 vcc, s10, v51
	v_mov_b32_e32 v42, 0x7f80
	s_and_saveexec_b64 s[10:11], vcc
	s_cbranch_execz .LBB844_47
; %bb.46:
	v_and_b32_e32 v42, 7, v34
	v_ffbh_u32_e32 v56, v42
	v_min_u32_e32 v58, 32, v56
	v_subrev_u32_e32 v56, 28, v58
	v_lshlrev_b64 v[56:57], v56, v[34:35]
	v_lshrrev_b32_e32 v55, 3, v51
	v_sub_u32_e32 v34, 29, v58
	v_and_b32_e32 v56, 7, v56
	v_cmp_gt_u32_e32 vcc, 8, v51
	v_cndmask_b32_e32 v34, v55, v34, vcc
	v_cndmask_b32_e32 v42, v42, v56, vcc
	v_lshlrev_b32_e32 v51, 16, v35
	v_bfrev_b32_e32 v55, 60
	v_lshlrev_b32_e32 v42, 20, v42
	v_and_b32_e32 v51, 0x80000000, v51
	v_lshl_add_u32 v34, v34, 23, v55
	v_or3_b32 v34, v51, v34, v42
	v_lshrrev_b32_e32 v42, 16, v34
.LBB844_47:
	s_or_b64 exec, exec, s[10:11]
.LBB844_48:
	s_or_b64 exec, exec, s[8:9]
.LBB844_49:
	s_or_b64 exec, exec, s[2:3]
	s_movk_i32 s2, 0xff
	v_and_b32_sdwa v51, v35, s2 dst_sel:DWORD dst_unused:UNUSED_PAD src0_sel:WORD_1 src1_sel:DWORD
	v_lshrrev_b32_e32 v34, 16, v35
	v_cmp_ne_u16_e32 vcc, 0, v51
	s_and_saveexec_b64 s[2:3], vcc
	s_cbranch_execz .LBB844_55
; %bb.50:
	s_movk_i32 s8, 0x80
	v_cmp_ne_u16_e32 vcc, s8, v51
	v_mov_b32_e32 v54, 0xffff8000
	s_and_saveexec_b64 s[8:9], vcc
	s_cbranch_execz .LBB844_54
; %bb.51:
	v_bfe_u32 v51, v35, 16, 7
	s_movk_i32 s10, 0x7f
	v_cmp_ne_u32_e32 vcc, s10, v51
	v_mov_b32_e32 v54, 0x7f80
	s_and_saveexec_b64 s[10:11], vcc
	s_cbranch_execz .LBB844_53
; %bb.52:
	v_and_b32_e32 v56, 7, v34
	v_ffbh_u32_e32 v54, v56
	v_min_u32_e32 v58, 32, v54
	v_subrev_u32_e32 v54, 28, v58
	v_lshlrev_b64 v[54:55], v54, v[34:35]
	v_and_b32_e32 v54, 7, v54
	v_cmp_gt_u32_e32 vcc, 8, v51
	v_lshrrev_b32_e32 v57, 3, v51
	v_sub_u32_e32 v34, 29, v58
	v_cndmask_b32_e32 v51, v56, v54, vcc
	v_mov_b32_e32 v54, 24
	v_cndmask_b32_e32 v34, v57, v34, vcc
	v_lshlrev_b32_sdwa v54, v54, v35 dst_sel:DWORD dst_unused:UNUSED_PAD src0_sel:DWORD src1_sel:WORD_1
	v_bfrev_b32_e32 v55, 60
	v_lshlrev_b32_e32 v51, 20, v51
	v_and_b32_e32 v54, 0x80000000, v54
	v_lshl_add_u32 v34, v34, 23, v55
	v_or3_b32 v34, v54, v34, v51
	v_lshrrev_b32_e32 v54, 16, v34
.LBB844_53:
	s_or_b64 exec, exec, s[10:11]
.LBB844_54:
	s_or_b64 exec, exec, s[8:9]
.LBB844_55:
	s_or_b64 exec, exec, s[2:3]
	s_mov_b32 s2, 0xffffff
	v_cmp_lt_u32_e32 vcc, s2, v35
	v_mov_b32_e32 v51, 0
	v_mov_b32_e32 v55, 0
	s_and_saveexec_b64 s[2:3], vcc
	s_cbranch_execz .LBB844_61
; %bb.56:
	v_lshrrev_b32_e32 v34, 24, v35
	s_movk_i32 s8, 0x80
	v_cmp_ne_u32_e32 vcc, s8, v34
	v_mov_b32_e32 v55, 0xffff8000
	s_and_saveexec_b64 s[8:9], vcc
	s_cbranch_execz .LBB844_60
; %bb.57:
	v_bfe_u32 v35, v35, 24, 7
	s_movk_i32 s10, 0x7f
	v_cmp_ne_u32_e32 vcc, s10, v35
	v_mov_b32_e32 v55, 0x7f80
	s_and_saveexec_b64 s[10:11], vcc
	s_cbranch_execz .LBB844_59
; %bb.58:
	v_and_b32_e32 v55, 7, v34
	v_ffbh_u32_e32 v56, v55
	v_min_u32_e32 v59, 32, v56
	v_subrev_u32_e32 v56, 28, v59
	v_lshlrev_b64 v[56:57], v56, v[34:35]
	v_lshrrev_b32_e32 v58, 3, v35
	v_sub_u32_e32 v57, 29, v59
	v_and_b32_e32 v56, 7, v56
	v_cmp_gt_u32_e32 vcc, 8, v35
	v_cndmask_b32_e32 v35, v58, v57, vcc
	v_cndmask_b32_e32 v55, v55, v56, vcc
	v_lshlrev_b32_e32 v34, 24, v34
	v_bfrev_b32_e32 v56, 60
	v_lshlrev_b32_e32 v55, 20, v55
	v_and_b32_e32 v34, 0x80000000, v34
	v_lshl_add_u32 v35, v35, 23, v56
	v_or3_b32 v34, v34, v35, v55
	v_lshrrev_b32_e32 v55, 16, v34
.LBB844_59:
	s_or_b64 exec, exec, s[10:11]
.LBB844_60:
	s_or_b64 exec, exec, s[8:9]
.LBB844_61:
	s_or_b64 exec, exec, s[2:3]
	s_mov_b32 s2, 0x5040100
	v_perm_b32 v35, v53, v45, s2
	v_perm_b32 v34, v44, v43, s2
	v_cmp_ne_u16_sdwa s[8:9], v36, v51 src0_sel:BYTE_0 src1_sel:DWORD
	s_nop 0
	v_mfma_f32_16x16x16bf16_1k v[56:59], v[34:35], v[26:27], 0
	v_perm_b32 v35, v55, v54, s2
	v_perm_b32 v34, v42, v52, s2
	s_nop 1
	v_mfma_f32_16x16x16bf16_1k v[42:45], v[34:35], v[28:29], v[56:59]
	s_and_saveexec_b64 s[2:3], s[8:9]
	s_cbranch_execz .LBB844_67
; %bb.62:
	s_movk_i32 s8, 0x80
	v_cmp_ne_u16_sdwa s[10:11], v36, s8 src0_sel:BYTE_0 src1_sel:DWORD
	v_mov_b32_e32 v51, 0xffff8000
	s_and_saveexec_b64 s[8:9], s[10:11]
	s_cbranch_execz .LBB844_66
; %bb.63:
	s_movk_i32 s10, 0x7f
	v_and_b32_e32 v34, 0x7f, v36
	v_cmp_ne_u32_e32 vcc, s10, v34
	v_mov_b32_e32 v51, 0x7f80
	s_and_saveexec_b64 s[10:11], vcc
	s_cbranch_execz .LBB844_65
; %bb.64:
	v_and_b32_e32 v35, 7, v36
	v_ffbh_u32_e32 v52, v35
	v_min_u32_e32 v54, 32, v52
	v_subrev_u32_e32 v52, 28, v54
	v_lshlrev_b64 v[52:53], v52, v[36:37]
	v_lshrrev_b32_e32 v51, 3, v34
	v_sub_u32_e32 v53, 29, v54
	v_and_b32_e32 v52, 7, v52
	v_cmp_gt_u32_e32 vcc, 8, v34
	v_cndmask_b32_e32 v34, v51, v53, vcc
	v_cndmask_b32_e32 v35, v35, v52, vcc
	v_lshlrev_b32_e32 v51, 24, v36
	v_bfrev_b32_e32 v52, 60
	v_lshlrev_b32_e32 v35, 20, v35
	v_and_b32_e32 v51, 0x80000000, v51
	v_lshl_add_u32 v34, v34, 23, v52
	v_or3_b32 v34, v51, v34, v35
	v_lshrrev_b32_e32 v51, 16, v34
.LBB844_65:
	s_or_b64 exec, exec, s[10:11]
.LBB844_66:
	s_or_b64 exec, exec, s[8:9]
.LBB844_67:
	s_or_b64 exec, exec, s[2:3]
	v_lshrrev_b16_e32 v34, 8, v36
	v_cmp_ne_u16_e32 vcc, 0, v34
	v_mov_b32_e32 v53, 0
	v_mov_b32_e32 v35, 0
	s_and_saveexec_b64 s[2:3], vcc
	s_cbranch_execz .LBB844_73
; %bb.68:
	s_movk_i32 s8, 0x80
	v_cmp_ne_u16_e32 vcc, s8, v34
	v_mov_b32_e32 v35, 0xffff8000
	s_and_saveexec_b64 s[8:9], vcc
	s_cbranch_execz .LBB844_72
; %bb.69:
	s_movk_i32 s10, 0x7f
	v_and_b32_e32 v52, 0x7f, v34
	v_cmp_ne_u32_e32 vcc, s10, v52
	v_mov_b32_e32 v35, 0x7f80
	s_and_saveexec_b64 s[10:11], vcc
	s_cbranch_execz .LBB844_71
; %bb.70:
	v_and_b32_e32 v54, 7, v34
	v_ffbh_u32_e32 v35, v54
	v_min_u32_e32 v56, 32, v35
	v_subrev_u32_e32 v35, 28, v56
	v_lshlrev_b64 v[34:35], v35, v[34:35]
	v_lshrrev_b32_e32 v55, 3, v52
	v_sub_u32_e32 v35, 29, v56
	v_and_b32_e32 v34, 7, v34
	v_cmp_gt_u32_e32 vcc, 8, v52
	v_cndmask_b32_e32 v35, v55, v35, vcc
	v_cndmask_b32_e32 v34, v54, v34, vcc
	v_lshlrev_b32_e32 v52, 16, v36
	v_bfrev_b32_e32 v54, 60
	v_lshlrev_b32_e32 v34, 20, v34
	v_and_b32_e32 v52, 0x80000000, v52
	v_lshl_add_u32 v35, v35, 23, v54
	v_or3_b32 v34, v52, v35, v34
	v_lshrrev_b32_e32 v35, 16, v34
.LBB844_71:
	s_or_b64 exec, exec, s[10:11]
.LBB844_72:
	s_or_b64 exec, exec, s[8:9]
.LBB844_73:
	s_or_b64 exec, exec, s[2:3]
	s_movk_i32 s2, 0xff
	v_and_b32_sdwa v52, v36, s2 dst_sel:DWORD dst_unused:UNUSED_PAD src0_sel:WORD_1 src1_sel:DWORD
	v_lshrrev_b32_e32 v34, 16, v36
	v_cmp_ne_u16_e32 vcc, 0, v52
	s_and_saveexec_b64 s[2:3], vcc
	s_cbranch_execz .LBB844_79
; %bb.74:
	s_movk_i32 s8, 0x80
	v_cmp_ne_u16_e32 vcc, s8, v52
	v_mov_b32_e32 v53, 0xffff8000
	s_and_saveexec_b64 s[8:9], vcc
	s_cbranch_execz .LBB844_78
; %bb.75:
	v_bfe_u32 v52, v36, 16, 7
	s_movk_i32 s10, 0x7f
	v_cmp_ne_u32_e32 vcc, s10, v52
	v_mov_b32_e32 v53, 0x7f80
	s_and_saveexec_b64 s[10:11], vcc
	s_cbranch_execz .LBB844_77
; %bb.76:
	v_and_b32_e32 v53, 7, v34
	v_ffbh_u32_e32 v54, v53
	v_min_u32_e32 v57, 32, v54
	v_subrev_u32_e32 v54, 28, v57
	v_lshlrev_b64 v[54:55], v54, v[34:35]
	v_and_b32_e32 v54, 7, v54
	v_cmp_gt_u32_e32 vcc, 8, v52
	v_lshrrev_b32_e32 v56, 3, v52
	v_sub_u32_e32 v34, 29, v57
	v_cndmask_b32_e32 v52, v53, v54, vcc
	v_mov_b32_e32 v53, 24
	v_cndmask_b32_e32 v34, v56, v34, vcc
	v_lshlrev_b32_sdwa v53, v53, v36 dst_sel:DWORD dst_unused:UNUSED_PAD src0_sel:DWORD src1_sel:WORD_1
	v_bfrev_b32_e32 v54, 60
	v_lshlrev_b32_e32 v52, 20, v52
	v_and_b32_e32 v53, 0x80000000, v53
	v_lshl_add_u32 v34, v34, 23, v54
	v_or3_b32 v34, v53, v34, v52
	v_lshrrev_b32_e32 v53, 16, v34
.LBB844_77:
	s_or_b64 exec, exec, s[10:11]
.LBB844_78:
	s_or_b64 exec, exec, s[8:9]
.LBB844_79:
	s_or_b64 exec, exec, s[2:3]
	s_mov_b32 s2, 0xffffff
	v_cmp_lt_u32_e32 vcc, s2, v36
	v_mov_b32_e32 v54, 0
	v_mov_b32_e32 v55, 0
	s_and_saveexec_b64 s[2:3], vcc
	s_cbranch_execz .LBB844_85
; %bb.80:
	v_lshrrev_b32_e32 v34, 24, v36
	s_movk_i32 s8, 0x80
	v_cmp_ne_u32_e32 vcc, s8, v34
	v_mov_b32_e32 v55, 0xffff8000
	s_and_saveexec_b64 s[8:9], vcc
	s_cbranch_execz .LBB844_84
; %bb.81:
	v_bfe_u32 v36, v36, 24, 7
	s_movk_i32 s10, 0x7f
	v_cmp_ne_u32_e32 vcc, s10, v36
	v_mov_b32_e32 v55, 0x7f80
	s_and_saveexec_b64 s[10:11], vcc
	s_cbranch_execz .LBB844_83
; %bb.82:
	v_and_b32_e32 v52, 7, v34
	v_ffbh_u32_e32 v56, v52
	v_min_u32_e32 v58, 32, v56
	v_subrev_u32_e32 v56, 28, v58
	v_lshlrev_b64 v[56:57], v56, v[34:35]
	v_lshrrev_b32_e32 v55, 3, v36
	v_sub_u32_e32 v57, 29, v58
	v_and_b32_e32 v56, 7, v56
	v_cmp_gt_u32_e32 vcc, 8, v36
	v_cndmask_b32_e32 v36, v55, v57, vcc
	v_cndmask_b32_e32 v52, v52, v56, vcc
	v_lshlrev_b32_e32 v34, 24, v34
	v_bfrev_b32_e32 v55, 60
	v_lshlrev_b32_e32 v52, 20, v52
	v_and_b32_e32 v34, 0x80000000, v34
	v_lshl_add_u32 v36, v36, 23, v55
	v_or3_b32 v34, v34, v36, v52
	v_lshrrev_b32_e32 v55, 16, v34
.LBB844_83:
	s_or_b64 exec, exec, s[10:11]
.LBB844_84:
	s_or_b64 exec, exec, s[8:9]
.LBB844_85:
	s_or_b64 exec, exec, s[2:3]
	v_cmp_ne_u16_sdwa s[8:9], v37, v54 src0_sel:BYTE_0 src1_sel:DWORD
	s_and_saveexec_b64 s[2:3], s[8:9]
	s_cbranch_execz .LBB844_91
; %bb.86:
	s_movk_i32 s8, 0x80
	v_cmp_ne_u16_sdwa s[10:11], v37, s8 src0_sel:BYTE_0 src1_sel:DWORD
	v_mov_b32_e32 v54, 0xffff8000
	s_and_saveexec_b64 s[8:9], s[10:11]
	s_cbranch_execz .LBB844_90
; %bb.87:
	s_movk_i32 s10, 0x7f
	v_and_b32_e32 v34, 0x7f, v37
	v_cmp_ne_u32_e32 vcc, s10, v34
	v_mov_b32_e32 v54, 0x7f80
	s_and_saveexec_b64 s[10:11], vcc
	s_cbranch_execz .LBB844_89
; %bb.88:
	v_and_b32_e32 v52, 7, v37
	v_ffbh_u32_e32 v56, v52
	v_min_u32_e32 v58, 32, v56
	v_mov_b32_e32 v36, v37
	v_subrev_u32_e32 v56, 28, v58
	v_lshlrev_b64 v[56:57], v56, v[36:37]
	v_lshrrev_b32_e32 v54, 3, v34
	v_sub_u32_e32 v36, 29, v58
	v_and_b32_e32 v56, 7, v56
	v_cmp_gt_u32_e32 vcc, 8, v34
	v_cndmask_b32_e32 v34, v54, v36, vcc
	v_cndmask_b32_e32 v36, v52, v56, vcc
	v_lshlrev_b32_e32 v52, 24, v37
	v_bfrev_b32_e32 v54, 60
	v_lshlrev_b32_e32 v36, 20, v36
	v_and_b32_e32 v52, 0x80000000, v52
	v_lshl_add_u32 v34, v34, 23, v54
	v_or3_b32 v34, v52, v34, v36
	v_lshrrev_b32_e32 v54, 16, v34
.LBB844_89:
	s_or_b64 exec, exec, s[10:11]
.LBB844_90:
	s_or_b64 exec, exec, s[8:9]
.LBB844_91:
	s_or_b64 exec, exec, s[2:3]
	v_lshrrev_b16_e32 v34, 8, v37
	v_cmp_ne_u16_e32 vcc, 0, v34
	v_mov_b32_e32 v56, 0
	v_mov_b32_e32 v36, 0
	s_and_saveexec_b64 s[2:3], vcc
	s_cbranch_execz .LBB844_97
; %bb.92:
	s_movk_i32 s8, 0x80
	v_cmp_ne_u16_e32 vcc, s8, v34
	v_mov_b32_e32 v36, 0xffff8000
	s_and_saveexec_b64 s[8:9], vcc
	s_cbranch_execz .LBB844_96
; %bb.93:
	s_movk_i32 s10, 0x7f
	v_and_b32_e32 v52, 0x7f, v34
	v_cmp_ne_u32_e32 vcc, s10, v52
	v_mov_b32_e32 v36, 0x7f80
	s_and_saveexec_b64 s[10:11], vcc
	s_cbranch_execz .LBB844_95
; %bb.94:
	v_and_b32_e32 v36, 7, v34
	v_ffbh_u32_e32 v58, v36
	v_min_u32_e32 v60, 32, v58
	v_subrev_u32_e32 v58, 28, v60
	v_lshlrev_b64 v[58:59], v58, v[34:35]
	v_lshrrev_b32_e32 v57, 3, v52
	v_sub_u32_e32 v34, 29, v60
	v_and_b32_e32 v58, 7, v58
	v_cmp_gt_u32_e32 vcc, 8, v52
	v_cndmask_b32_e32 v34, v57, v34, vcc
	v_cndmask_b32_e32 v36, v36, v58, vcc
	v_lshlrev_b32_e32 v52, 16, v37
	v_bfrev_b32_e32 v57, 60
	v_lshlrev_b32_e32 v36, 20, v36
	v_and_b32_e32 v52, 0x80000000, v52
	v_lshl_add_u32 v34, v34, 23, v57
	v_or3_b32 v34, v52, v34, v36
	v_lshrrev_b32_e32 v36, 16, v34
.LBB844_95:
	s_or_b64 exec, exec, s[10:11]
.LBB844_96:
	s_or_b64 exec, exec, s[8:9]
.LBB844_97:
	s_or_b64 exec, exec, s[2:3]
	s_movk_i32 s2, 0xff
	v_and_b32_sdwa v52, v37, s2 dst_sel:DWORD dst_unused:UNUSED_PAD src0_sel:WORD_1 src1_sel:DWORD
	v_lshrrev_b32_e32 v34, 16, v37
	v_cmp_ne_u16_e32 vcc, 0, v52
	s_and_saveexec_b64 s[2:3], vcc
	s_cbranch_execz .LBB844_103
; %bb.98:
	s_movk_i32 s8, 0x80
	v_cmp_ne_u16_e32 vcc, s8, v52
	v_mov_b32_e32 v56, 0xffff8000
	s_and_saveexec_b64 s[8:9], vcc
	s_cbranch_execz .LBB844_102
; %bb.99:
	v_bfe_u32 v52, v37, 16, 7
	s_movk_i32 s10, 0x7f
	v_cmp_ne_u32_e32 vcc, s10, v52
	v_mov_b32_e32 v56, 0x7f80
	s_and_saveexec_b64 s[10:11], vcc
	s_cbranch_execz .LBB844_101
; %bb.100:
	v_and_b32_e32 v58, 7, v34
	v_ffbh_u32_e32 v56, v58
	v_min_u32_e32 v60, 32, v56
	v_subrev_u32_e32 v56, 28, v60
	v_lshlrev_b64 v[56:57], v56, v[34:35]
	v_and_b32_e32 v56, 7, v56
	v_cmp_gt_u32_e32 vcc, 8, v52
	v_lshrrev_b32_e32 v59, 3, v52
	v_sub_u32_e32 v34, 29, v60
	v_cndmask_b32_e32 v52, v58, v56, vcc
	v_mov_b32_e32 v56, 24
	v_cndmask_b32_e32 v34, v59, v34, vcc
	v_lshlrev_b32_sdwa v56, v56, v37 dst_sel:DWORD dst_unused:UNUSED_PAD src0_sel:DWORD src1_sel:WORD_1
	v_bfrev_b32_e32 v57, 60
	v_lshlrev_b32_e32 v52, 20, v52
	v_and_b32_e32 v56, 0x80000000, v56
	v_lshl_add_u32 v34, v34, 23, v57
	v_or3_b32 v34, v56, v34, v52
	v_lshrrev_b32_e32 v56, 16, v34
.LBB844_101:
	s_or_b64 exec, exec, s[10:11]
.LBB844_102:
	s_or_b64 exec, exec, s[8:9]
.LBB844_103:
	s_or_b64 exec, exec, s[2:3]
	s_mov_b32 s2, 0xffffff
	v_cmp_lt_u32_e32 vcc, s2, v37
	v_mov_b32_e32 v52, 0
	v_mov_b32_e32 v57, 0
	s_and_saveexec_b64 s[2:3], vcc
	s_cbranch_execz .LBB844_109
; %bb.104:
	v_lshrrev_b32_e32 v34, 24, v37
	s_movk_i32 s8, 0x80
	v_cmp_ne_u32_e32 vcc, s8, v34
	v_mov_b32_e32 v57, 0xffff8000
	s_and_saveexec_b64 s[8:9], vcc
	s_cbranch_execz .LBB844_108
; %bb.105:
	v_bfe_u32 v37, v37, 24, 7
	s_movk_i32 s10, 0x7f
	v_cmp_ne_u32_e32 vcc, s10, v37
	v_mov_b32_e32 v57, 0x7f80
	s_and_saveexec_b64 s[10:11], vcc
	s_cbranch_execz .LBB844_107
; %bb.106:
	v_and_b32_e32 v57, 7, v34
	v_ffbh_u32_e32 v58, v57
	v_min_u32_e32 v61, 32, v58
	v_subrev_u32_e32 v58, 28, v61
	v_lshlrev_b64 v[58:59], v58, v[34:35]
	v_lshrrev_b32_e32 v60, 3, v37
	v_sub_u32_e32 v59, 29, v61
	v_and_b32_e32 v58, 7, v58
	v_cmp_gt_u32_e32 vcc, 8, v37
	v_cndmask_b32_e32 v37, v60, v59, vcc
	v_cndmask_b32_e32 v57, v57, v58, vcc
	v_lshlrev_b32_e32 v34, 24, v34
	v_bfrev_b32_e32 v58, 60
	v_lshlrev_b32_e32 v57, 20, v57
	v_and_b32_e32 v34, 0x80000000, v34
	v_lshl_add_u32 v37, v37, 23, v58
	v_or3_b32 v34, v34, v37, v57
	v_lshrrev_b32_e32 v57, 16, v34
.LBB844_107:
	s_or_b64 exec, exec, s[10:11]
.LBB844_108:
	s_or_b64 exec, exec, s[8:9]
.LBB844_109:
	s_or_b64 exec, exec, s[2:3]
	s_mov_b32 s2, 0x5040100
	v_perm_b32 v59, v55, v53, s2
	v_perm_b32 v58, v35, v51, s2
	;; [unrolled: 1-line block ×4, first 2 shown]
	v_cmp_ne_u16_sdwa s[8:9], v38, v52 src0_sel:BYTE_0 src1_sel:DWORD
	v_mfma_f32_16x16x16bf16_1k v[42:45], v[58:59], v[18:19], v[42:45]
	v_mfma_f32_16x16x16bf16_1k v[34:37], v[34:35], v[20:21], v[42:45]
	s_and_saveexec_b64 s[2:3], s[8:9]
	s_cbranch_execz .LBB844_115
; %bb.110:
	s_movk_i32 s8, 0x80
	v_cmp_ne_u16_sdwa s[10:11], v38, s8 src0_sel:BYTE_0 src1_sel:DWORD
	v_mov_b32_e32 v52, 0xffff8000
	s_and_saveexec_b64 s[8:9], s[10:11]
	s_cbranch_execz .LBB844_114
; %bb.111:
	s_movk_i32 s10, 0x7f
	s_nop 1
	v_and_b32_e32 v42, 0x7f, v38
	v_cmp_ne_u32_e32 vcc, s10, v42
	v_mov_b32_e32 v52, 0x7f80
	s_and_saveexec_b64 s[10:11], vcc
	s_cbranch_execz .LBB844_113
; %bb.112:
	v_and_b32_e32 v43, 7, v38
	v_ffbh_u32_e32 v44, v43
	v_min_u32_e32 v52, 32, v44
	v_subrev_u32_e32 v44, 28, v52
	v_lshlrev_b64 v[44:45], v44, v[38:39]
	v_lshrrev_b32_e32 v51, 3, v42
	v_sub_u32_e32 v45, 29, v52
	v_and_b32_e32 v44, 7, v44
	v_cmp_gt_u32_e32 vcc, 8, v42
	v_cndmask_b32_e32 v42, v51, v45, vcc
	v_cndmask_b32_e32 v43, v43, v44, vcc
	v_lshlrev_b32_e32 v44, 24, v38
	v_bfrev_b32_e32 v45, 60
	v_lshlrev_b32_e32 v43, 20, v43
	v_and_b32_e32 v44, 0x80000000, v44
	v_lshl_add_u32 v42, v42, 23, v45
	v_or3_b32 v42, v44, v42, v43
	v_lshrrev_b32_e32 v52, 16, v42
.LBB844_113:
	s_or_b64 exec, exec, s[10:11]
.LBB844_114:
	s_or_b64 exec, exec, s[8:9]
.LBB844_115:
	s_or_b64 exec, exec, s[2:3]
	s_nop 6
	v_lshrrev_b16_e32 v42, 8, v38
	v_cmp_ne_u16_e32 vcc, 0, v42
	v_mov_b32_e32 v44, 0
	v_mov_b32_e32 v43, 0
	s_and_saveexec_b64 s[2:3], vcc
	s_cbranch_execz .LBB844_121
; %bb.116:
	s_movk_i32 s8, 0x80
	v_cmp_ne_u16_e32 vcc, s8, v42
	v_mov_b32_e32 v43, 0xffff8000
	s_and_saveexec_b64 s[8:9], vcc
	s_cbranch_execz .LBB844_120
; %bb.117:
	s_movk_i32 s10, 0x7f
	v_and_b32_e32 v45, 0x7f, v42
	v_cmp_ne_u32_e32 vcc, s10, v45
	v_mov_b32_e32 v43, 0x7f80
	s_and_saveexec_b64 s[10:11], vcc
	s_cbranch_execz .LBB844_119
; %bb.118:
	v_and_b32_e32 v51, 7, v42
	v_ffbh_u32_e32 v43, v51
	v_min_u32_e32 v54, 32, v43
	v_subrev_u32_e32 v43, 28, v54
	v_lshlrev_b64 v[42:43], v43, v[42:43]
	v_lshrrev_b32_e32 v53, 3, v45
	v_sub_u32_e32 v43, 29, v54
	v_and_b32_e32 v42, 7, v42
	v_cmp_gt_u32_e32 vcc, 8, v45
	v_cndmask_b32_e32 v43, v53, v43, vcc
	v_cndmask_b32_e32 v42, v51, v42, vcc
	v_lshlrev_b32_e32 v45, 16, v38
	v_bfrev_b32_e32 v51, 60
	v_lshlrev_b32_e32 v42, 20, v42
	v_and_b32_e32 v45, 0x80000000, v45
	v_lshl_add_u32 v43, v43, 23, v51
	v_or3_b32 v42, v45, v43, v42
	v_lshrrev_b32_e32 v43, 16, v42
.LBB844_119:
	s_or_b64 exec, exec, s[10:11]
.LBB844_120:
	s_or_b64 exec, exec, s[8:9]
.LBB844_121:
	s_or_b64 exec, exec, s[2:3]
	s_movk_i32 s2, 0xff
	v_and_b32_sdwa v45, v38, s2 dst_sel:DWORD dst_unused:UNUSED_PAD src0_sel:WORD_1 src1_sel:DWORD
	v_lshrrev_b32_e32 v42, 16, v38
	v_cmp_ne_u16_e32 vcc, 0, v45
	s_and_saveexec_b64 s[2:3], vcc
	s_cbranch_execz .LBB844_127
; %bb.122:
	s_movk_i32 s8, 0x80
	v_cmp_ne_u16_e32 vcc, s8, v45
	v_mov_b32_e32 v44, 0xffff8000
	s_and_saveexec_b64 s[8:9], vcc
	s_cbranch_execz .LBB844_126
; %bb.123:
	v_bfe_u32 v45, v38, 16, 7
	s_movk_i32 s10, 0x7f
	v_cmp_ne_u32_e32 vcc, s10, v45
	v_mov_b32_e32 v44, 0x7f80
	s_and_saveexec_b64 s[10:11], vcc
	s_cbranch_execz .LBB844_125
; %bb.124:
	v_and_b32_e32 v44, 7, v42
	v_ffbh_u32_e32 v53, v44
	v_min_u32_e32 v53, 32, v53
	v_subrev_u32_e32 v54, 28, v53
	v_lshlrev_b64 v[54:55], v54, v[42:43]
	v_lshrrev_b32_e32 v51, 3, v45
	v_sub_u32_e32 v42, 29, v53
	v_and_b32_e32 v53, 7, v54
	v_cmp_gt_u32_e32 vcc, 8, v45
	v_mov_b32_e32 v45, 24
	v_cndmask_b32_e32 v42, v51, v42, vcc
	v_cndmask_b32_e32 v44, v44, v53, vcc
	v_lshlrev_b32_sdwa v45, v45, v38 dst_sel:DWORD dst_unused:UNUSED_PAD src0_sel:DWORD src1_sel:WORD_1
	v_bfrev_b32_e32 v51, 60
	v_lshlrev_b32_e32 v44, 20, v44
	v_and_b32_e32 v45, 0x80000000, v45
	v_lshl_add_u32 v42, v42, 23, v51
	v_or3_b32 v42, v45, v42, v44
	v_lshrrev_b32_e32 v44, 16, v42
.LBB844_125:
	s_or_b64 exec, exec, s[10:11]
.LBB844_126:
	s_or_b64 exec, exec, s[8:9]
.LBB844_127:
	s_or_b64 exec, exec, s[2:3]
	s_mov_b32 s2, 0xffffff
	v_cmp_lt_u32_e32 vcc, s2, v38
	v_mov_b32_e32 v45, 0
	v_mov_b32_e32 v53, 0
	s_and_saveexec_b64 s[2:3], vcc
	s_cbranch_execz .LBB844_133
; %bb.128:
	v_lshrrev_b32_e32 v42, 24, v38
	s_movk_i32 s8, 0x80
	v_cmp_ne_u32_e32 vcc, s8, v42
	v_mov_b32_e32 v53, 0xffff8000
	s_and_saveexec_b64 s[8:9], vcc
	s_cbranch_execz .LBB844_132
; %bb.129:
	v_bfe_u32 v38, v38, 24, 7
	s_movk_i32 s10, 0x7f
	v_cmp_ne_u32_e32 vcc, s10, v38
	v_mov_b32_e32 v53, 0x7f80
	s_and_saveexec_b64 s[10:11], vcc
	s_cbranch_execz .LBB844_131
; %bb.130:
	v_and_b32_e32 v51, 7, v42
	v_ffbh_u32_e32 v54, v51
	v_min_u32_e32 v56, 32, v54
	v_subrev_u32_e32 v54, 28, v56
	v_lshlrev_b64 v[54:55], v54, v[42:43]
	v_lshrrev_b32_e32 v53, 3, v38
	v_sub_u32_e32 v55, 29, v56
	v_and_b32_e32 v54, 7, v54
	v_cmp_gt_u32_e32 vcc, 8, v38
	v_cndmask_b32_e32 v38, v53, v55, vcc
	v_cndmask_b32_e32 v51, v51, v54, vcc
	v_lshlrev_b32_e32 v42, 24, v42
	v_bfrev_b32_e32 v53, 60
	v_lshlrev_b32_e32 v51, 20, v51
	v_and_b32_e32 v42, 0x80000000, v42
	v_lshl_add_u32 v38, v38, 23, v53
	v_or3_b32 v38, v42, v38, v51
	v_lshrrev_b32_e32 v53, 16, v38
.LBB844_131:
	s_or_b64 exec, exec, s[10:11]
.LBB844_132:
	s_or_b64 exec, exec, s[8:9]
.LBB844_133:
	s_or_b64 exec, exec, s[2:3]
	v_cmp_ne_u16_sdwa s[8:9], v39, v45 src0_sel:BYTE_0 src1_sel:DWORD
	s_and_saveexec_b64 s[2:3], s[8:9]
	s_cbranch_execz .LBB844_139
; %bb.134:
	s_movk_i32 s8, 0x80
	v_cmp_ne_u16_sdwa s[10:11], v39, s8 src0_sel:BYTE_0 src1_sel:DWORD
	v_mov_b32_e32 v45, 0xffff8000
	s_and_saveexec_b64 s[8:9], s[10:11]
	s_cbranch_execz .LBB844_138
; %bb.135:
	s_movk_i32 s10, 0x7f
	v_and_b32_e32 v38, 0x7f, v39
	v_cmp_ne_u32_e32 vcc, s10, v38
	v_mov_b32_e32 v45, 0x7f80
	s_and_saveexec_b64 s[10:11], vcc
	s_cbranch_execz .LBB844_137
; %bb.136:
	v_and_b32_e32 v45, 7, v39
	v_ffbh_u32_e32 v54, v45
	v_min_u32_e32 v56, 32, v54
	v_mov_b32_e32 v42, v39
	v_subrev_u32_e32 v54, 28, v56
	v_lshlrev_b64 v[54:55], v54, v[42:43]
	v_lshrrev_b32_e32 v51, 3, v38
	v_sub_u32_e32 v42, 29, v56
	v_and_b32_e32 v54, 7, v54
	v_cmp_gt_u32_e32 vcc, 8, v38
	v_cndmask_b32_e32 v38, v51, v42, vcc
	v_cndmask_b32_e32 v42, v45, v54, vcc
	v_lshlrev_b32_e32 v45, 24, v39
	v_bfrev_b32_e32 v51, 60
	v_lshlrev_b32_e32 v42, 20, v42
	v_and_b32_e32 v45, 0x80000000, v45
	v_lshl_add_u32 v38, v38, 23, v51
	v_or3_b32 v38, v45, v38, v42
	v_lshrrev_b32_e32 v45, 16, v38
.LBB844_137:
	s_or_b64 exec, exec, s[10:11]
.LBB844_138:
	s_or_b64 exec, exec, s[8:9]
.LBB844_139:
	s_or_b64 exec, exec, s[2:3]
	v_lshrrev_b16_e32 v38, 8, v39
	v_cmp_ne_u16_e32 vcc, 0, v38
	v_mov_b32_e32 v54, 0
	v_mov_b32_e32 v42, 0
	s_and_saveexec_b64 s[2:3], vcc
	s_cbranch_execz .LBB844_145
; %bb.140:
	s_movk_i32 s8, 0x80
	v_cmp_ne_u16_e32 vcc, s8, v38
	v_mov_b32_e32 v42, 0xffff8000
	s_and_saveexec_b64 s[8:9], vcc
	s_cbranch_execz .LBB844_144
; %bb.141:
	s_movk_i32 s10, 0x7f
	v_and_b32_e32 v51, 0x7f, v38
	v_cmp_ne_u32_e32 vcc, s10, v51
	v_mov_b32_e32 v42, 0x7f80
	s_and_saveexec_b64 s[10:11], vcc
	s_cbranch_execz .LBB844_143
; %bb.142:
	v_and_b32_e32 v42, 7, v38
	v_ffbh_u32_e32 v56, v42
	v_min_u32_e32 v58, 32, v56
	v_subrev_u32_e32 v56, 28, v58
	v_lshlrev_b64 v[56:57], v56, v[38:39]
	v_lshrrev_b32_e32 v55, 3, v51
	v_sub_u32_e32 v38, 29, v58
	v_and_b32_e32 v56, 7, v56
	v_cmp_gt_u32_e32 vcc, 8, v51
	v_cndmask_b32_e32 v38, v55, v38, vcc
	v_cndmask_b32_e32 v42, v42, v56, vcc
	v_lshlrev_b32_e32 v51, 16, v39
	v_bfrev_b32_e32 v55, 60
	v_lshlrev_b32_e32 v42, 20, v42
	v_and_b32_e32 v51, 0x80000000, v51
	v_lshl_add_u32 v38, v38, 23, v55
	v_or3_b32 v38, v51, v38, v42
	v_lshrrev_b32_e32 v42, 16, v38
.LBB844_143:
	s_or_b64 exec, exec, s[10:11]
.LBB844_144:
	s_or_b64 exec, exec, s[8:9]
.LBB844_145:
	s_or_b64 exec, exec, s[2:3]
	s_movk_i32 s2, 0xff
	v_and_b32_sdwa v51, v39, s2 dst_sel:DWORD dst_unused:UNUSED_PAD src0_sel:WORD_1 src1_sel:DWORD
	v_lshrrev_b32_e32 v38, 16, v39
	v_cmp_ne_u16_e32 vcc, 0, v51
	s_and_saveexec_b64 s[2:3], vcc
	s_cbranch_execz .LBB844_151
; %bb.146:
	s_movk_i32 s8, 0x80
	v_cmp_ne_u16_e32 vcc, s8, v51
	v_mov_b32_e32 v54, 0xffff8000
	s_and_saveexec_b64 s[8:9], vcc
	s_cbranch_execz .LBB844_150
; %bb.147:
	v_bfe_u32 v51, v39, 16, 7
	s_movk_i32 s10, 0x7f
	v_cmp_ne_u32_e32 vcc, s10, v51
	v_mov_b32_e32 v54, 0x7f80
	s_and_saveexec_b64 s[10:11], vcc
	s_cbranch_execz .LBB844_149
; %bb.148:
	v_and_b32_e32 v56, 7, v38
	v_ffbh_u32_e32 v54, v56
	v_min_u32_e32 v58, 32, v54
	v_subrev_u32_e32 v54, 28, v58
	v_lshlrev_b64 v[54:55], v54, v[38:39]
	v_and_b32_e32 v54, 7, v54
	v_cmp_gt_u32_e32 vcc, 8, v51
	v_lshrrev_b32_e32 v57, 3, v51
	v_sub_u32_e32 v38, 29, v58
	v_cndmask_b32_e32 v51, v56, v54, vcc
	v_mov_b32_e32 v54, 24
	v_cndmask_b32_e32 v38, v57, v38, vcc
	v_lshlrev_b32_sdwa v54, v54, v39 dst_sel:DWORD dst_unused:UNUSED_PAD src0_sel:DWORD src1_sel:WORD_1
	v_bfrev_b32_e32 v55, 60
	v_lshlrev_b32_e32 v51, 20, v51
	v_and_b32_e32 v54, 0x80000000, v54
	v_lshl_add_u32 v38, v38, 23, v55
	v_or3_b32 v38, v54, v38, v51
	v_lshrrev_b32_e32 v54, 16, v38
.LBB844_149:
	s_or_b64 exec, exec, s[10:11]
.LBB844_150:
	s_or_b64 exec, exec, s[8:9]
.LBB844_151:
	s_or_b64 exec, exec, s[2:3]
	s_mov_b32 s2, 0xffffff
	v_cmp_lt_u32_e32 vcc, s2, v39
	v_mov_b32_e32 v51, 0
	v_mov_b32_e32 v55, 0
	s_and_saveexec_b64 s[2:3], vcc
	s_cbranch_execz .LBB844_157
; %bb.152:
	v_lshrrev_b32_e32 v38, 24, v39
	s_movk_i32 s8, 0x80
	v_cmp_ne_u32_e32 vcc, s8, v38
	v_mov_b32_e32 v55, 0xffff8000
	s_and_saveexec_b64 s[8:9], vcc
	s_cbranch_execz .LBB844_156
; %bb.153:
	v_bfe_u32 v39, v39, 24, 7
	s_movk_i32 s10, 0x7f
	v_cmp_ne_u32_e32 vcc, s10, v39
	v_mov_b32_e32 v55, 0x7f80
	s_and_saveexec_b64 s[10:11], vcc
	s_cbranch_execz .LBB844_155
; %bb.154:
	v_and_b32_e32 v55, 7, v38
	v_ffbh_u32_e32 v56, v55
	v_min_u32_e32 v59, 32, v56
	v_subrev_u32_e32 v56, 28, v59
	v_lshlrev_b64 v[56:57], v56, v[38:39]
	v_lshrrev_b32_e32 v58, 3, v39
	v_sub_u32_e32 v57, 29, v59
	v_and_b32_e32 v56, 7, v56
	v_cmp_gt_u32_e32 vcc, 8, v39
	v_cndmask_b32_e32 v39, v58, v57, vcc
	v_cndmask_b32_e32 v55, v55, v56, vcc
	v_lshlrev_b32_e32 v38, 24, v38
	v_bfrev_b32_e32 v56, 60
	v_lshlrev_b32_e32 v55, 20, v55
	v_and_b32_e32 v38, 0x80000000, v38
	v_lshl_add_u32 v39, v39, 23, v56
	v_or3_b32 v38, v38, v39, v55
	v_lshrrev_b32_e32 v55, 16, v38
.LBB844_155:
	s_or_b64 exec, exec, s[10:11]
.LBB844_156:
	s_or_b64 exec, exec, s[8:9]
.LBB844_157:
	s_or_b64 exec, exec, s[2:3]
	s_mov_b32 s2, 0x5040100
	v_perm_b32 v39, v53, v44, s2
	v_perm_b32 v38, v43, v52, s2
	v_cmp_ne_u16_sdwa s[8:9], v40, v51 src0_sel:BYTE_0 src1_sel:DWORD
	s_nop 0
	v_mfma_f32_16x16x16bf16_1k v[56:59], v[38:39], v[26:27], 0
	v_perm_b32 v39, v55, v54, s2
	v_perm_b32 v38, v42, v45, s2
	s_nop 1
	v_mfma_f32_16x16x16bf16_1k v[42:45], v[38:39], v[28:29], v[56:59]
	s_and_saveexec_b64 s[2:3], s[8:9]
	s_cbranch_execz .LBB844_163
; %bb.158:
	s_movk_i32 s8, 0x80
	v_cmp_ne_u16_sdwa s[10:11], v40, s8 src0_sel:BYTE_0 src1_sel:DWORD
	v_mov_b32_e32 v51, 0xffff8000
	s_and_saveexec_b64 s[8:9], s[10:11]
	s_cbranch_execz .LBB844_162
; %bb.159:
	s_movk_i32 s10, 0x7f
	v_and_b32_e32 v38, 0x7f, v40
	v_cmp_ne_u32_e32 vcc, s10, v38
	v_mov_b32_e32 v51, 0x7f80
	s_and_saveexec_b64 s[10:11], vcc
	s_cbranch_execz .LBB844_161
; %bb.160:
	v_and_b32_e32 v39, 7, v40
	v_ffbh_u32_e32 v52, v39
	v_min_u32_e32 v54, 32, v52
	v_subrev_u32_e32 v52, 28, v54
	v_lshlrev_b64 v[52:53], v52, v[40:41]
	v_lshrrev_b32_e32 v51, 3, v38
	v_sub_u32_e32 v53, 29, v54
	v_and_b32_e32 v52, 7, v52
	v_cmp_gt_u32_e32 vcc, 8, v38
	v_cndmask_b32_e32 v38, v51, v53, vcc
	v_cndmask_b32_e32 v39, v39, v52, vcc
	v_lshlrev_b32_e32 v51, 24, v40
	v_bfrev_b32_e32 v52, 60
	v_lshlrev_b32_e32 v39, 20, v39
	v_and_b32_e32 v51, 0x80000000, v51
	v_lshl_add_u32 v38, v38, 23, v52
	v_or3_b32 v38, v51, v38, v39
	v_lshrrev_b32_e32 v51, 16, v38
.LBB844_161:
	s_or_b64 exec, exec, s[10:11]
.LBB844_162:
	s_or_b64 exec, exec, s[8:9]
.LBB844_163:
	s_or_b64 exec, exec, s[2:3]
	v_lshrrev_b16_e32 v38, 8, v40
	v_cmp_ne_u16_e32 vcc, 0, v38
	v_mov_b32_e32 v53, 0
	v_mov_b32_e32 v39, 0
	s_and_saveexec_b64 s[2:3], vcc
	s_cbranch_execz .LBB844_169
; %bb.164:
	s_movk_i32 s8, 0x80
	v_cmp_ne_u16_e32 vcc, s8, v38
	v_mov_b32_e32 v39, 0xffff8000
	s_and_saveexec_b64 s[8:9], vcc
	s_cbranch_execz .LBB844_168
; %bb.165:
	s_movk_i32 s10, 0x7f
	v_and_b32_e32 v52, 0x7f, v38
	v_cmp_ne_u32_e32 vcc, s10, v52
	v_mov_b32_e32 v39, 0x7f80
	s_and_saveexec_b64 s[10:11], vcc
	s_cbranch_execz .LBB844_167
; %bb.166:
	v_and_b32_e32 v54, 7, v38
	v_ffbh_u32_e32 v39, v54
	v_min_u32_e32 v56, 32, v39
	v_subrev_u32_e32 v39, 28, v56
	v_lshlrev_b64 v[38:39], v39, v[38:39]
	v_lshrrev_b32_e32 v55, 3, v52
	v_sub_u32_e32 v39, 29, v56
	v_and_b32_e32 v38, 7, v38
	v_cmp_gt_u32_e32 vcc, 8, v52
	v_cndmask_b32_e32 v39, v55, v39, vcc
	v_cndmask_b32_e32 v38, v54, v38, vcc
	v_lshlrev_b32_e32 v52, 16, v40
	v_bfrev_b32_e32 v54, 60
	v_lshlrev_b32_e32 v38, 20, v38
	v_and_b32_e32 v52, 0x80000000, v52
	v_lshl_add_u32 v39, v39, 23, v54
	v_or3_b32 v38, v52, v39, v38
	v_lshrrev_b32_e32 v39, 16, v38
.LBB844_167:
	s_or_b64 exec, exec, s[10:11]
.LBB844_168:
	s_or_b64 exec, exec, s[8:9]
.LBB844_169:
	s_or_b64 exec, exec, s[2:3]
	s_movk_i32 s2, 0xff
	v_and_b32_sdwa v52, v40, s2 dst_sel:DWORD dst_unused:UNUSED_PAD src0_sel:WORD_1 src1_sel:DWORD
	v_lshrrev_b32_e32 v38, 16, v40
	v_cmp_ne_u16_e32 vcc, 0, v52
	s_and_saveexec_b64 s[2:3], vcc
	s_cbranch_execz .LBB844_175
; %bb.170:
	s_movk_i32 s8, 0x80
	v_cmp_ne_u16_e32 vcc, s8, v52
	v_mov_b32_e32 v53, 0xffff8000
	s_and_saveexec_b64 s[8:9], vcc
	s_cbranch_execz .LBB844_174
; %bb.171:
	v_bfe_u32 v52, v40, 16, 7
	s_movk_i32 s10, 0x7f
	v_cmp_ne_u32_e32 vcc, s10, v52
	v_mov_b32_e32 v53, 0x7f80
	s_and_saveexec_b64 s[10:11], vcc
	s_cbranch_execz .LBB844_173
; %bb.172:
	v_and_b32_e32 v53, 7, v38
	v_ffbh_u32_e32 v54, v53
	v_min_u32_e32 v57, 32, v54
	v_subrev_u32_e32 v54, 28, v57
	v_lshlrev_b64 v[54:55], v54, v[38:39]
	v_and_b32_e32 v54, 7, v54
	v_cmp_gt_u32_e32 vcc, 8, v52
	v_lshrrev_b32_e32 v56, 3, v52
	v_sub_u32_e32 v38, 29, v57
	v_cndmask_b32_e32 v52, v53, v54, vcc
	v_mov_b32_e32 v53, 24
	v_cndmask_b32_e32 v38, v56, v38, vcc
	v_lshlrev_b32_sdwa v53, v53, v40 dst_sel:DWORD dst_unused:UNUSED_PAD src0_sel:DWORD src1_sel:WORD_1
	v_bfrev_b32_e32 v54, 60
	v_lshlrev_b32_e32 v52, 20, v52
	v_and_b32_e32 v53, 0x80000000, v53
	v_lshl_add_u32 v38, v38, 23, v54
	v_or3_b32 v38, v53, v38, v52
	v_lshrrev_b32_e32 v53, 16, v38
.LBB844_173:
	s_or_b64 exec, exec, s[10:11]
.LBB844_174:
	s_or_b64 exec, exec, s[8:9]
.LBB844_175:
	s_or_b64 exec, exec, s[2:3]
	s_mov_b32 s2, 0xffffff
	v_cmp_lt_u32_e32 vcc, s2, v40
	v_mov_b32_e32 v54, 0
	v_mov_b32_e32 v55, 0
	s_and_saveexec_b64 s[2:3], vcc
	s_cbranch_execz .LBB844_181
; %bb.176:
	v_lshrrev_b32_e32 v38, 24, v40
	s_movk_i32 s8, 0x80
	v_cmp_ne_u32_e32 vcc, s8, v38
	v_mov_b32_e32 v55, 0xffff8000
	s_and_saveexec_b64 s[8:9], vcc
	s_cbranch_execz .LBB844_180
; %bb.177:
	v_bfe_u32 v40, v40, 24, 7
	s_movk_i32 s10, 0x7f
	v_cmp_ne_u32_e32 vcc, s10, v40
	v_mov_b32_e32 v55, 0x7f80
	s_and_saveexec_b64 s[10:11], vcc
	s_cbranch_execz .LBB844_179
; %bb.178:
	v_and_b32_e32 v52, 7, v38
	v_ffbh_u32_e32 v56, v52
	v_min_u32_e32 v58, 32, v56
	v_subrev_u32_e32 v56, 28, v58
	v_lshlrev_b64 v[56:57], v56, v[38:39]
	v_lshrrev_b32_e32 v55, 3, v40
	v_sub_u32_e32 v57, 29, v58
	v_and_b32_e32 v56, 7, v56
	v_cmp_gt_u32_e32 vcc, 8, v40
	v_cndmask_b32_e32 v40, v55, v57, vcc
	v_cndmask_b32_e32 v52, v52, v56, vcc
	v_lshlrev_b32_e32 v38, 24, v38
	v_bfrev_b32_e32 v55, 60
	v_lshlrev_b32_e32 v52, 20, v52
	v_and_b32_e32 v38, 0x80000000, v38
	v_lshl_add_u32 v40, v40, 23, v55
	v_or3_b32 v38, v38, v40, v52
	v_lshrrev_b32_e32 v55, 16, v38
.LBB844_179:
	s_or_b64 exec, exec, s[10:11]
.LBB844_180:
	s_or_b64 exec, exec, s[8:9]
.LBB844_181:
	s_or_b64 exec, exec, s[2:3]
	v_cmp_ne_u16_sdwa s[8:9], v41, v54 src0_sel:BYTE_0 src1_sel:DWORD
	s_and_saveexec_b64 s[2:3], s[8:9]
	s_cbranch_execz .LBB844_187
; %bb.182:
	s_movk_i32 s8, 0x80
	v_cmp_ne_u16_sdwa s[10:11], v41, s8 src0_sel:BYTE_0 src1_sel:DWORD
	v_mov_b32_e32 v54, 0xffff8000
	s_and_saveexec_b64 s[8:9], s[10:11]
	s_cbranch_execz .LBB844_186
; %bb.183:
	s_movk_i32 s10, 0x7f
	v_and_b32_e32 v38, 0x7f, v41
	v_cmp_ne_u32_e32 vcc, s10, v38
	v_mov_b32_e32 v54, 0x7f80
	s_and_saveexec_b64 s[10:11], vcc
	s_cbranch_execz .LBB844_185
; %bb.184:
	v_and_b32_e32 v52, 7, v41
	v_ffbh_u32_e32 v56, v52
	v_min_u32_e32 v58, 32, v56
	v_mov_b32_e32 v40, v41
	v_subrev_u32_e32 v56, 28, v58
	v_lshlrev_b64 v[56:57], v56, v[40:41]
	v_lshrrev_b32_e32 v54, 3, v38
	v_sub_u32_e32 v40, 29, v58
	v_and_b32_e32 v56, 7, v56
	v_cmp_gt_u32_e32 vcc, 8, v38
	v_cndmask_b32_e32 v38, v54, v40, vcc
	v_cndmask_b32_e32 v40, v52, v56, vcc
	v_lshlrev_b32_e32 v52, 24, v41
	v_bfrev_b32_e32 v54, 60
	v_lshlrev_b32_e32 v40, 20, v40
	v_and_b32_e32 v52, 0x80000000, v52
	v_lshl_add_u32 v38, v38, 23, v54
	v_or3_b32 v38, v52, v38, v40
	v_lshrrev_b32_e32 v54, 16, v38
.LBB844_185:
	s_or_b64 exec, exec, s[10:11]
.LBB844_186:
	s_or_b64 exec, exec, s[8:9]
.LBB844_187:
	s_or_b64 exec, exec, s[2:3]
	v_lshrrev_b16_e32 v38, 8, v41
	v_cmp_ne_u16_e32 vcc, 0, v38
	v_mov_b32_e32 v56, 0
	v_mov_b32_e32 v40, 0
	s_and_saveexec_b64 s[2:3], vcc
	s_cbranch_execz .LBB844_193
; %bb.188:
	s_movk_i32 s8, 0x80
	v_cmp_ne_u16_e32 vcc, s8, v38
	v_mov_b32_e32 v40, 0xffff8000
	s_and_saveexec_b64 s[8:9], vcc
	s_cbranch_execz .LBB844_192
; %bb.189:
	s_movk_i32 s10, 0x7f
	v_and_b32_e32 v52, 0x7f, v38
	v_cmp_ne_u32_e32 vcc, s10, v52
	v_mov_b32_e32 v40, 0x7f80
	s_and_saveexec_b64 s[10:11], vcc
	s_cbranch_execz .LBB844_191
; %bb.190:
	v_and_b32_e32 v40, 7, v38
	v_ffbh_u32_e32 v58, v40
	v_min_u32_e32 v60, 32, v58
	v_subrev_u32_e32 v58, 28, v60
	v_lshlrev_b64 v[58:59], v58, v[38:39]
	v_lshrrev_b32_e32 v57, 3, v52
	v_sub_u32_e32 v38, 29, v60
	v_and_b32_e32 v58, 7, v58
	v_cmp_gt_u32_e32 vcc, 8, v52
	v_cndmask_b32_e32 v38, v57, v38, vcc
	v_cndmask_b32_e32 v40, v40, v58, vcc
	v_lshlrev_b32_e32 v52, 16, v41
	v_bfrev_b32_e32 v57, 60
	v_lshlrev_b32_e32 v40, 20, v40
	v_and_b32_e32 v52, 0x80000000, v52
	v_lshl_add_u32 v38, v38, 23, v57
	v_or3_b32 v38, v52, v38, v40
	v_lshrrev_b32_e32 v40, 16, v38
.LBB844_191:
	s_or_b64 exec, exec, s[10:11]
.LBB844_192:
	s_or_b64 exec, exec, s[8:9]
.LBB844_193:
	s_or_b64 exec, exec, s[2:3]
	s_movk_i32 s2, 0xff
	v_and_b32_sdwa v52, v41, s2 dst_sel:DWORD dst_unused:UNUSED_PAD src0_sel:WORD_1 src1_sel:DWORD
	v_lshrrev_b32_e32 v38, 16, v41
	v_cmp_ne_u16_e32 vcc, 0, v52
	s_and_saveexec_b64 s[2:3], vcc
	s_cbranch_execz .LBB844_199
; %bb.194:
	s_movk_i32 s8, 0x80
	v_cmp_ne_u16_e32 vcc, s8, v52
	v_mov_b32_e32 v56, 0xffff8000
	s_and_saveexec_b64 s[8:9], vcc
	s_cbranch_execz .LBB844_198
; %bb.195:
	v_bfe_u32 v52, v41, 16, 7
	s_movk_i32 s10, 0x7f
	v_cmp_ne_u32_e32 vcc, s10, v52
	v_mov_b32_e32 v56, 0x7f80
	s_and_saveexec_b64 s[10:11], vcc
	s_cbranch_execz .LBB844_197
; %bb.196:
	v_and_b32_e32 v58, 7, v38
	v_ffbh_u32_e32 v56, v58
	v_min_u32_e32 v60, 32, v56
	v_subrev_u32_e32 v56, 28, v60
	v_lshlrev_b64 v[56:57], v56, v[38:39]
	v_and_b32_e32 v56, 7, v56
	v_cmp_gt_u32_e32 vcc, 8, v52
	v_lshrrev_b32_e32 v59, 3, v52
	v_sub_u32_e32 v38, 29, v60
	v_cndmask_b32_e32 v52, v58, v56, vcc
	v_mov_b32_e32 v56, 24
	v_cndmask_b32_e32 v38, v59, v38, vcc
	v_lshlrev_b32_sdwa v56, v56, v41 dst_sel:DWORD dst_unused:UNUSED_PAD src0_sel:DWORD src1_sel:WORD_1
	v_bfrev_b32_e32 v57, 60
	v_lshlrev_b32_e32 v52, 20, v52
	v_and_b32_e32 v56, 0x80000000, v56
	v_lshl_add_u32 v38, v38, 23, v57
	v_or3_b32 v38, v56, v38, v52
	v_lshrrev_b32_e32 v56, 16, v38
.LBB844_197:
	s_or_b64 exec, exec, s[10:11]
.LBB844_198:
	s_or_b64 exec, exec, s[8:9]
.LBB844_199:
	s_or_b64 exec, exec, s[2:3]
	s_mov_b32 s2, 0xffffff
	v_cmp_lt_u32_e32 vcc, s2, v41
	v_mov_b32_e32 v52, 0
	v_mov_b32_e32 v57, 0
	s_and_saveexec_b64 s[2:3], vcc
	s_cbranch_execz .LBB844_205
; %bb.200:
	v_lshrrev_b32_e32 v38, 24, v41
	s_movk_i32 s8, 0x80
	v_cmp_ne_u32_e32 vcc, s8, v38
	v_mov_b32_e32 v57, 0xffff8000
	s_and_saveexec_b64 s[8:9], vcc
	s_cbranch_execz .LBB844_204
; %bb.201:
	v_bfe_u32 v41, v41, 24, 7
	s_movk_i32 s10, 0x7f
	v_cmp_ne_u32_e32 vcc, s10, v41
	v_mov_b32_e32 v57, 0x7f80
	s_and_saveexec_b64 s[10:11], vcc
	s_cbranch_execz .LBB844_203
; %bb.202:
	v_and_b32_e32 v57, 7, v38
	v_ffbh_u32_e32 v58, v57
	v_min_u32_e32 v61, 32, v58
	v_subrev_u32_e32 v58, 28, v61
	v_lshlrev_b64 v[58:59], v58, v[38:39]
	v_lshrrev_b32_e32 v60, 3, v41
	v_sub_u32_e32 v59, 29, v61
	v_and_b32_e32 v58, 7, v58
	v_cmp_gt_u32_e32 vcc, 8, v41
	v_cndmask_b32_e32 v41, v60, v59, vcc
	v_cndmask_b32_e32 v57, v57, v58, vcc
	v_lshlrev_b32_e32 v38, 24, v38
	v_bfrev_b32_e32 v58, 60
	v_lshlrev_b32_e32 v57, 20, v57
	v_and_b32_e32 v38, 0x80000000, v38
	v_lshl_add_u32 v41, v41, 23, v58
	v_or3_b32 v38, v38, v41, v57
	v_lshrrev_b32_e32 v57, 16, v38
.LBB844_203:
	s_or_b64 exec, exec, s[10:11]
.LBB844_204:
	s_or_b64 exec, exec, s[8:9]
.LBB844_205:
	s_or_b64 exec, exec, s[2:3]
	s_mov_b32 s2, 0x5040100
	v_perm_b32 v59, v55, v53, s2
	v_perm_b32 v58, v39, v51, s2
	v_perm_b32 v39, v57, v56, s2
	v_perm_b32 v38, v40, v54, s2
	v_cmp_ne_u16_sdwa s[8:9], v30, v52 src0_sel:BYTE_0 src1_sel:DWORD
	v_mfma_f32_16x16x16bf16_1k v[42:45], v[58:59], v[18:19], v[42:45]
	v_mfma_f32_16x16x16bf16_1k v[38:41], v[38:39], v[20:21], v[42:45]
	s_and_saveexec_b64 s[2:3], s[8:9]
	s_cbranch_execz .LBB844_211
; %bb.206:
	s_movk_i32 s8, 0x80
	v_cmp_ne_u16_sdwa s[10:11], v30, s8 src0_sel:BYTE_0 src1_sel:DWORD
	v_mov_b32_e32 v52, 0xffff8000
	s_and_saveexec_b64 s[8:9], s[10:11]
	s_cbranch_execz .LBB844_210
; %bb.207:
	s_movk_i32 s10, 0x7f
	s_nop 1
	v_and_b32_e32 v42, 0x7f, v30
	v_cmp_ne_u32_e32 vcc, s10, v42
	v_mov_b32_e32 v52, 0x7f80
	s_and_saveexec_b64 s[10:11], vcc
	s_cbranch_execz .LBB844_209
; %bb.208:
	v_and_b32_e32 v43, 7, v30
	v_ffbh_u32_e32 v44, v43
	v_min_u32_e32 v52, 32, v44
	v_subrev_u32_e32 v44, 28, v52
	v_lshlrev_b64 v[44:45], v44, v[30:31]
	v_lshrrev_b32_e32 v51, 3, v42
	v_sub_u32_e32 v45, 29, v52
	v_and_b32_e32 v44, 7, v44
	v_cmp_gt_u32_e32 vcc, 8, v42
	v_cndmask_b32_e32 v42, v51, v45, vcc
	v_cndmask_b32_e32 v43, v43, v44, vcc
	v_lshlrev_b32_e32 v44, 24, v30
	v_bfrev_b32_e32 v45, 60
	v_lshlrev_b32_e32 v43, 20, v43
	v_and_b32_e32 v44, 0x80000000, v44
	v_lshl_add_u32 v42, v42, 23, v45
	v_or3_b32 v42, v44, v42, v43
	v_lshrrev_b32_e32 v52, 16, v42
.LBB844_209:
	s_or_b64 exec, exec, s[10:11]
.LBB844_210:
	s_or_b64 exec, exec, s[8:9]
.LBB844_211:
	s_or_b64 exec, exec, s[2:3]
	s_nop 6
	v_lshrrev_b16_e32 v42, 8, v30
	v_cmp_ne_u16_e32 vcc, 0, v42
	v_mov_b32_e32 v44, 0
	v_mov_b32_e32 v43, 0
	s_and_saveexec_b64 s[2:3], vcc
	s_cbranch_execz .LBB844_217
; %bb.212:
	s_movk_i32 s8, 0x80
	v_cmp_ne_u16_e32 vcc, s8, v42
	v_mov_b32_e32 v43, 0xffff8000
	s_and_saveexec_b64 s[8:9], vcc
	s_cbranch_execz .LBB844_216
; %bb.213:
	s_movk_i32 s10, 0x7f
	v_and_b32_e32 v45, 0x7f, v42
	v_cmp_ne_u32_e32 vcc, s10, v45
	v_mov_b32_e32 v43, 0x7f80
	s_and_saveexec_b64 s[10:11], vcc
	s_cbranch_execz .LBB844_215
; %bb.214:
	v_and_b32_e32 v51, 7, v42
	v_ffbh_u32_e32 v43, v51
	v_min_u32_e32 v54, 32, v43
	v_subrev_u32_e32 v43, 28, v54
	v_lshlrev_b64 v[42:43], v43, v[42:43]
	v_lshrrev_b32_e32 v53, 3, v45
	v_sub_u32_e32 v43, 29, v54
	v_and_b32_e32 v42, 7, v42
	v_cmp_gt_u32_e32 vcc, 8, v45
	v_cndmask_b32_e32 v43, v53, v43, vcc
	v_cndmask_b32_e32 v42, v51, v42, vcc
	v_lshlrev_b32_e32 v45, 16, v30
	v_bfrev_b32_e32 v51, 60
	v_lshlrev_b32_e32 v42, 20, v42
	v_and_b32_e32 v45, 0x80000000, v45
	v_lshl_add_u32 v43, v43, 23, v51
	v_or3_b32 v42, v45, v43, v42
	v_lshrrev_b32_e32 v43, 16, v42
.LBB844_215:
	s_or_b64 exec, exec, s[10:11]
.LBB844_216:
	s_or_b64 exec, exec, s[8:9]
.LBB844_217:
	s_or_b64 exec, exec, s[2:3]
	s_movk_i32 s2, 0xff
	v_and_b32_sdwa v45, v30, s2 dst_sel:DWORD dst_unused:UNUSED_PAD src0_sel:WORD_1 src1_sel:DWORD
	v_lshrrev_b32_e32 v42, 16, v30
	v_cmp_ne_u16_e32 vcc, 0, v45
	s_and_saveexec_b64 s[2:3], vcc
	s_cbranch_execz .LBB844_223
; %bb.218:
	s_movk_i32 s8, 0x80
	v_cmp_ne_u16_e32 vcc, s8, v45
	v_mov_b32_e32 v44, 0xffff8000
	s_and_saveexec_b64 s[8:9], vcc
	s_cbranch_execz .LBB844_222
; %bb.219:
	v_bfe_u32 v45, v30, 16, 7
	s_movk_i32 s10, 0x7f
	v_cmp_ne_u32_e32 vcc, s10, v45
	v_mov_b32_e32 v44, 0x7f80
	s_and_saveexec_b64 s[10:11], vcc
	s_cbranch_execz .LBB844_221
; %bb.220:
	v_and_b32_e32 v44, 7, v42
	v_ffbh_u32_e32 v53, v44
	v_min_u32_e32 v53, 32, v53
	v_subrev_u32_e32 v54, 28, v53
	v_lshlrev_b64 v[54:55], v54, v[42:43]
	v_lshrrev_b32_e32 v51, 3, v45
	v_sub_u32_e32 v42, 29, v53
	v_and_b32_e32 v53, 7, v54
	v_cmp_gt_u32_e32 vcc, 8, v45
	v_mov_b32_e32 v45, 24
	v_cndmask_b32_e32 v42, v51, v42, vcc
	v_cndmask_b32_e32 v44, v44, v53, vcc
	v_lshlrev_b32_sdwa v45, v45, v30 dst_sel:DWORD dst_unused:UNUSED_PAD src0_sel:DWORD src1_sel:WORD_1
	v_bfrev_b32_e32 v51, 60
	v_lshlrev_b32_e32 v44, 20, v44
	v_and_b32_e32 v45, 0x80000000, v45
	v_lshl_add_u32 v42, v42, 23, v51
	v_or3_b32 v42, v45, v42, v44
	v_lshrrev_b32_e32 v44, 16, v42
.LBB844_221:
	s_or_b64 exec, exec, s[10:11]
.LBB844_222:
	s_or_b64 exec, exec, s[8:9]
.LBB844_223:
	s_or_b64 exec, exec, s[2:3]
	s_mov_b32 s2, 0xffffff
	v_cmp_lt_u32_e32 vcc, s2, v30
	v_mov_b32_e32 v45, 0
	v_mov_b32_e32 v53, 0
	s_and_saveexec_b64 s[2:3], vcc
	s_cbranch_execz .LBB844_229
; %bb.224:
	v_lshrrev_b32_e32 v42, 24, v30
	s_movk_i32 s8, 0x80
	v_cmp_ne_u32_e32 vcc, s8, v42
	v_mov_b32_e32 v53, 0xffff8000
	s_and_saveexec_b64 s[8:9], vcc
	s_cbranch_execz .LBB844_228
; %bb.225:
	v_bfe_u32 v30, v30, 24, 7
	s_movk_i32 s10, 0x7f
	v_cmp_ne_u32_e32 vcc, s10, v30
	v_mov_b32_e32 v53, 0x7f80
	s_and_saveexec_b64 s[10:11], vcc
	s_cbranch_execz .LBB844_227
; %bb.226:
	v_and_b32_e32 v51, 7, v42
	v_ffbh_u32_e32 v54, v51
	v_min_u32_e32 v56, 32, v54
	v_subrev_u32_e32 v54, 28, v56
	v_lshlrev_b64 v[54:55], v54, v[42:43]
	v_lshrrev_b32_e32 v53, 3, v30
	v_sub_u32_e32 v55, 29, v56
	v_and_b32_e32 v54, 7, v54
	v_cmp_gt_u32_e32 vcc, 8, v30
	v_cndmask_b32_e32 v30, v53, v55, vcc
	v_cndmask_b32_e32 v51, v51, v54, vcc
	v_lshlrev_b32_e32 v42, 24, v42
	v_bfrev_b32_e32 v53, 60
	v_lshlrev_b32_e32 v51, 20, v51
	v_and_b32_e32 v42, 0x80000000, v42
	v_lshl_add_u32 v30, v30, 23, v53
	v_or3_b32 v30, v42, v30, v51
	v_lshrrev_b32_e32 v53, 16, v30
.LBB844_227:
	s_or_b64 exec, exec, s[10:11]
.LBB844_228:
	s_or_b64 exec, exec, s[8:9]
.LBB844_229:
	s_or_b64 exec, exec, s[2:3]
	v_cmp_ne_u16_sdwa s[8:9], v31, v45 src0_sel:BYTE_0 src1_sel:DWORD
	s_and_saveexec_b64 s[2:3], s[8:9]
	s_cbranch_execz .LBB844_235
; %bb.230:
	s_movk_i32 s8, 0x80
	v_cmp_ne_u16_sdwa s[10:11], v31, s8 src0_sel:BYTE_0 src1_sel:DWORD
	v_mov_b32_e32 v45, 0xffff8000
	s_and_saveexec_b64 s[8:9], s[10:11]
	s_cbranch_execz .LBB844_234
; %bb.231:
	s_movk_i32 s10, 0x7f
	v_and_b32_e32 v30, 0x7f, v31
	v_cmp_ne_u32_e32 vcc, s10, v30
	v_mov_b32_e32 v45, 0x7f80
	s_and_saveexec_b64 s[10:11], vcc
	s_cbranch_execz .LBB844_233
; %bb.232:
	v_and_b32_e32 v45, 7, v31
	v_ffbh_u32_e32 v54, v45
	v_min_u32_e32 v56, 32, v54
	v_mov_b32_e32 v42, v31
	v_subrev_u32_e32 v54, 28, v56
	v_lshlrev_b64 v[54:55], v54, v[42:43]
	v_lshrrev_b32_e32 v51, 3, v30
	v_sub_u32_e32 v42, 29, v56
	v_and_b32_e32 v54, 7, v54
	v_cmp_gt_u32_e32 vcc, 8, v30
	v_cndmask_b32_e32 v30, v51, v42, vcc
	v_cndmask_b32_e32 v42, v45, v54, vcc
	v_lshlrev_b32_e32 v45, 24, v31
	v_bfrev_b32_e32 v51, 60
	v_lshlrev_b32_e32 v42, 20, v42
	v_and_b32_e32 v45, 0x80000000, v45
	v_lshl_add_u32 v30, v30, 23, v51
	v_or3_b32 v30, v45, v30, v42
	v_lshrrev_b32_e32 v45, 16, v30
.LBB844_233:
	s_or_b64 exec, exec, s[10:11]
.LBB844_234:
	s_or_b64 exec, exec, s[8:9]
.LBB844_235:
	s_or_b64 exec, exec, s[2:3]
	v_lshrrev_b16_e32 v30, 8, v31
	v_cmp_ne_u16_e32 vcc, 0, v30
	v_mov_b32_e32 v54, 0
	v_mov_b32_e32 v42, 0
	s_and_saveexec_b64 s[2:3], vcc
	s_cbranch_execz .LBB844_241
; %bb.236:
	s_movk_i32 s8, 0x80
	v_cmp_ne_u16_e32 vcc, s8, v30
	v_mov_b32_e32 v42, 0xffff8000
	s_and_saveexec_b64 s[8:9], vcc
	s_cbranch_execz .LBB844_240
; %bb.237:
	s_movk_i32 s10, 0x7f
	v_and_b32_e32 v51, 0x7f, v30
	v_cmp_ne_u32_e32 vcc, s10, v51
	v_mov_b32_e32 v42, 0x7f80
	s_and_saveexec_b64 s[10:11], vcc
	s_cbranch_execz .LBB844_239
; %bb.238:
	v_and_b32_e32 v42, 7, v30
	v_ffbh_u32_e32 v56, v42
	v_min_u32_e32 v58, 32, v56
	v_subrev_u32_e32 v56, 28, v58
	v_lshlrev_b64 v[56:57], v56, v[30:31]
	v_lshrrev_b32_e32 v55, 3, v51
	v_sub_u32_e32 v30, 29, v58
	v_and_b32_e32 v56, 7, v56
	v_cmp_gt_u32_e32 vcc, 8, v51
	v_cndmask_b32_e32 v30, v55, v30, vcc
	v_cndmask_b32_e32 v42, v42, v56, vcc
	v_lshlrev_b32_e32 v51, 16, v31
	v_bfrev_b32_e32 v55, 60
	v_lshlrev_b32_e32 v42, 20, v42
	v_and_b32_e32 v51, 0x80000000, v51
	v_lshl_add_u32 v30, v30, 23, v55
	v_or3_b32 v30, v51, v30, v42
	v_lshrrev_b32_e32 v42, 16, v30
.LBB844_239:
	s_or_b64 exec, exec, s[10:11]
.LBB844_240:
	s_or_b64 exec, exec, s[8:9]
.LBB844_241:
	s_or_b64 exec, exec, s[2:3]
	s_movk_i32 s2, 0xff
	v_and_b32_sdwa v51, v31, s2 dst_sel:DWORD dst_unused:UNUSED_PAD src0_sel:WORD_1 src1_sel:DWORD
	v_lshrrev_b32_e32 v30, 16, v31
	v_cmp_ne_u16_e32 vcc, 0, v51
	s_and_saveexec_b64 s[2:3], vcc
	s_cbranch_execz .LBB844_247
; %bb.242:
	s_movk_i32 s8, 0x80
	v_cmp_ne_u16_e32 vcc, s8, v51
	v_mov_b32_e32 v54, 0xffff8000
	s_and_saveexec_b64 s[8:9], vcc
	s_cbranch_execz .LBB844_246
; %bb.243:
	v_bfe_u32 v51, v31, 16, 7
	s_movk_i32 s10, 0x7f
	v_cmp_ne_u32_e32 vcc, s10, v51
	v_mov_b32_e32 v54, 0x7f80
	s_and_saveexec_b64 s[10:11], vcc
	s_cbranch_execz .LBB844_245
; %bb.244:
	v_and_b32_e32 v56, 7, v30
	v_ffbh_u32_e32 v54, v56
	v_min_u32_e32 v58, 32, v54
	v_subrev_u32_e32 v54, 28, v58
	v_lshlrev_b64 v[54:55], v54, v[30:31]
	v_and_b32_e32 v54, 7, v54
	v_cmp_gt_u32_e32 vcc, 8, v51
	v_lshrrev_b32_e32 v57, 3, v51
	v_sub_u32_e32 v30, 29, v58
	v_cndmask_b32_e32 v51, v56, v54, vcc
	v_mov_b32_e32 v54, 24
	v_cndmask_b32_e32 v30, v57, v30, vcc
	v_lshlrev_b32_sdwa v54, v54, v31 dst_sel:DWORD dst_unused:UNUSED_PAD src0_sel:DWORD src1_sel:WORD_1
	v_bfrev_b32_e32 v55, 60
	v_lshlrev_b32_e32 v51, 20, v51
	v_and_b32_e32 v54, 0x80000000, v54
	v_lshl_add_u32 v30, v30, 23, v55
	v_or3_b32 v30, v54, v30, v51
	v_lshrrev_b32_e32 v54, 16, v30
.LBB844_245:
	s_or_b64 exec, exec, s[10:11]
.LBB844_246:
	s_or_b64 exec, exec, s[8:9]
.LBB844_247:
	s_or_b64 exec, exec, s[2:3]
	s_mov_b32 s2, 0xffffff
	v_cmp_lt_u32_e32 vcc, s2, v31
	v_mov_b32_e32 v51, 0
	v_mov_b32_e32 v55, 0
	s_and_saveexec_b64 s[2:3], vcc
	s_cbranch_execz .LBB844_253
; %bb.248:
	v_lshrrev_b32_e32 v30, 24, v31
	s_movk_i32 s8, 0x80
	v_cmp_ne_u32_e32 vcc, s8, v30
	v_mov_b32_e32 v55, 0xffff8000
	s_and_saveexec_b64 s[8:9], vcc
	s_cbranch_execz .LBB844_252
; %bb.249:
	v_bfe_u32 v31, v31, 24, 7
	s_movk_i32 s10, 0x7f
	v_cmp_ne_u32_e32 vcc, s10, v31
	v_mov_b32_e32 v55, 0x7f80
	s_and_saveexec_b64 s[10:11], vcc
	s_cbranch_execz .LBB844_251
; %bb.250:
	v_and_b32_e32 v55, 7, v30
	v_ffbh_u32_e32 v56, v55
	v_min_u32_e32 v59, 32, v56
	v_subrev_u32_e32 v56, 28, v59
	v_lshlrev_b64 v[56:57], v56, v[30:31]
	v_lshrrev_b32_e32 v58, 3, v31
	v_sub_u32_e32 v57, 29, v59
	v_and_b32_e32 v56, 7, v56
	v_cmp_gt_u32_e32 vcc, 8, v31
	v_cndmask_b32_e32 v31, v58, v57, vcc
	v_cndmask_b32_e32 v55, v55, v56, vcc
	v_lshlrev_b32_e32 v30, 24, v30
	v_bfrev_b32_e32 v56, 60
	v_lshlrev_b32_e32 v55, 20, v55
	v_and_b32_e32 v30, 0x80000000, v30
	v_lshl_add_u32 v31, v31, 23, v56
	v_or3_b32 v30, v30, v31, v55
	v_lshrrev_b32_e32 v55, 16, v30
.LBB844_251:
	s_or_b64 exec, exec, s[10:11]
.LBB844_252:
	s_or_b64 exec, exec, s[8:9]
.LBB844_253:
	s_or_b64 exec, exec, s[2:3]
	s_mov_b32 s2, 0x5040100
	v_perm_b32 v31, v53, v44, s2
	v_perm_b32 v30, v43, v52, s2
	v_cmp_ne_u16_sdwa s[8:9], v32, v51 src0_sel:BYTE_0 src1_sel:DWORD
	s_nop 0
	v_mfma_f32_16x16x16bf16_1k v[56:59], v[30:31], v[26:27], 0
	v_perm_b32 v31, v55, v54, s2
	v_perm_b32 v30, v42, v45, s2
	s_nop 1
	v_mfma_f32_16x16x16bf16_1k v[42:45], v[30:31], v[28:29], v[56:59]
	s_and_saveexec_b64 s[2:3], s[8:9]
	s_cbranch_execz .LBB844_259
; %bb.254:
	s_movk_i32 s8, 0x80
	v_cmp_ne_u16_sdwa s[10:11], v32, s8 src0_sel:BYTE_0 src1_sel:DWORD
	v_mov_b32_e32 v51, 0xffff8000
	s_and_saveexec_b64 s[8:9], s[10:11]
	s_cbranch_execz .LBB844_258
; %bb.255:
	s_movk_i32 s10, 0x7f
	v_and_b32_e32 v30, 0x7f, v32
	v_cmp_ne_u32_e32 vcc, s10, v30
	v_mov_b32_e32 v51, 0x7f80
	s_and_saveexec_b64 s[10:11], vcc
	s_cbranch_execz .LBB844_257
; %bb.256:
	v_and_b32_e32 v31, 7, v32
	v_ffbh_u32_e32 v52, v31
	v_min_u32_e32 v54, 32, v52
	v_subrev_u32_e32 v52, 28, v54
	v_lshlrev_b64 v[52:53], v52, v[32:33]
	v_lshrrev_b32_e32 v51, 3, v30
	v_sub_u32_e32 v53, 29, v54
	v_and_b32_e32 v52, 7, v52
	v_cmp_gt_u32_e32 vcc, 8, v30
	v_cndmask_b32_e32 v30, v51, v53, vcc
	v_cndmask_b32_e32 v31, v31, v52, vcc
	v_lshlrev_b32_e32 v51, 24, v32
	v_bfrev_b32_e32 v52, 60
	v_lshlrev_b32_e32 v31, 20, v31
	v_and_b32_e32 v51, 0x80000000, v51
	v_lshl_add_u32 v30, v30, 23, v52
	v_or3_b32 v30, v51, v30, v31
	v_lshrrev_b32_e32 v51, 16, v30
.LBB844_257:
	s_or_b64 exec, exec, s[10:11]
.LBB844_258:
	s_or_b64 exec, exec, s[8:9]
.LBB844_259:
	s_or_b64 exec, exec, s[2:3]
	v_lshrrev_b16_e32 v30, 8, v32
	v_cmp_ne_u16_e32 vcc, 0, v30
	v_mov_b32_e32 v53, 0
	v_mov_b32_e32 v31, 0
	s_and_saveexec_b64 s[2:3], vcc
	s_cbranch_execz .LBB844_265
; %bb.260:
	s_movk_i32 s8, 0x80
	v_cmp_ne_u16_e32 vcc, s8, v30
	v_mov_b32_e32 v31, 0xffff8000
	s_and_saveexec_b64 s[8:9], vcc
	s_cbranch_execz .LBB844_264
; %bb.261:
	s_movk_i32 s10, 0x7f
	v_and_b32_e32 v52, 0x7f, v30
	v_cmp_ne_u32_e32 vcc, s10, v52
	v_mov_b32_e32 v31, 0x7f80
	s_and_saveexec_b64 s[10:11], vcc
	s_cbranch_execz .LBB844_263
; %bb.262:
	v_and_b32_e32 v54, 7, v30
	v_ffbh_u32_e32 v31, v54
	v_min_u32_e32 v56, 32, v31
	v_subrev_u32_e32 v31, 28, v56
	v_lshlrev_b64 v[30:31], v31, v[30:31]
	v_lshrrev_b32_e32 v55, 3, v52
	v_sub_u32_e32 v31, 29, v56
	v_and_b32_e32 v30, 7, v30
	v_cmp_gt_u32_e32 vcc, 8, v52
	v_cndmask_b32_e32 v31, v55, v31, vcc
	v_cndmask_b32_e32 v30, v54, v30, vcc
	v_lshlrev_b32_e32 v52, 16, v32
	v_bfrev_b32_e32 v54, 60
	v_lshlrev_b32_e32 v30, 20, v30
	v_and_b32_e32 v52, 0x80000000, v52
	v_lshl_add_u32 v31, v31, 23, v54
	v_or3_b32 v30, v52, v31, v30
	v_lshrrev_b32_e32 v31, 16, v30
.LBB844_263:
	s_or_b64 exec, exec, s[10:11]
.LBB844_264:
	s_or_b64 exec, exec, s[8:9]
.LBB844_265:
	s_or_b64 exec, exec, s[2:3]
	s_movk_i32 s2, 0xff
	v_and_b32_sdwa v52, v32, s2 dst_sel:DWORD dst_unused:UNUSED_PAD src0_sel:WORD_1 src1_sel:DWORD
	v_lshrrev_b32_e32 v30, 16, v32
	v_cmp_ne_u16_e32 vcc, 0, v52
	s_and_saveexec_b64 s[2:3], vcc
	s_cbranch_execz .LBB844_271
; %bb.266:
	s_movk_i32 s8, 0x80
	v_cmp_ne_u16_e32 vcc, s8, v52
	v_mov_b32_e32 v53, 0xffff8000
	s_and_saveexec_b64 s[8:9], vcc
	s_cbranch_execz .LBB844_270
; %bb.267:
	v_bfe_u32 v52, v32, 16, 7
	s_movk_i32 s10, 0x7f
	v_cmp_ne_u32_e32 vcc, s10, v52
	v_mov_b32_e32 v53, 0x7f80
	s_and_saveexec_b64 s[10:11], vcc
	s_cbranch_execz .LBB844_269
; %bb.268:
	v_and_b32_e32 v53, 7, v30
	v_ffbh_u32_e32 v54, v53
	v_min_u32_e32 v57, 32, v54
	v_subrev_u32_e32 v54, 28, v57
	v_lshlrev_b64 v[54:55], v54, v[30:31]
	v_and_b32_e32 v54, 7, v54
	v_cmp_gt_u32_e32 vcc, 8, v52
	v_lshrrev_b32_e32 v56, 3, v52
	v_sub_u32_e32 v30, 29, v57
	v_cndmask_b32_e32 v52, v53, v54, vcc
	v_mov_b32_e32 v53, 24
	v_cndmask_b32_e32 v30, v56, v30, vcc
	v_lshlrev_b32_sdwa v53, v53, v32 dst_sel:DWORD dst_unused:UNUSED_PAD src0_sel:DWORD src1_sel:WORD_1
	v_bfrev_b32_e32 v54, 60
	v_lshlrev_b32_e32 v52, 20, v52
	v_and_b32_e32 v53, 0x80000000, v53
	v_lshl_add_u32 v30, v30, 23, v54
	v_or3_b32 v30, v53, v30, v52
	v_lshrrev_b32_e32 v53, 16, v30
.LBB844_269:
	s_or_b64 exec, exec, s[10:11]
.LBB844_270:
	s_or_b64 exec, exec, s[8:9]
.LBB844_271:
	s_or_b64 exec, exec, s[2:3]
	s_mov_b32 s2, 0xffffff
	v_cmp_lt_u32_e32 vcc, s2, v32
	v_mov_b32_e32 v54, 0
	v_mov_b32_e32 v55, 0
	s_and_saveexec_b64 s[2:3], vcc
	s_cbranch_execz .LBB844_277
; %bb.272:
	v_lshrrev_b32_e32 v30, 24, v32
	s_movk_i32 s8, 0x80
	v_cmp_ne_u32_e32 vcc, s8, v30
	v_mov_b32_e32 v55, 0xffff8000
	s_and_saveexec_b64 s[8:9], vcc
	s_cbranch_execz .LBB844_276
; %bb.273:
	v_bfe_u32 v32, v32, 24, 7
	s_movk_i32 s10, 0x7f
	v_cmp_ne_u32_e32 vcc, s10, v32
	v_mov_b32_e32 v55, 0x7f80
	s_and_saveexec_b64 s[10:11], vcc
	s_cbranch_execz .LBB844_275
; %bb.274:
	v_and_b32_e32 v52, 7, v30
	v_ffbh_u32_e32 v56, v52
	v_min_u32_e32 v58, 32, v56
	v_subrev_u32_e32 v56, 28, v58
	v_lshlrev_b64 v[56:57], v56, v[30:31]
	v_lshrrev_b32_e32 v55, 3, v32
	v_sub_u32_e32 v57, 29, v58
	v_and_b32_e32 v56, 7, v56
	v_cmp_gt_u32_e32 vcc, 8, v32
	v_cndmask_b32_e32 v32, v55, v57, vcc
	v_cndmask_b32_e32 v52, v52, v56, vcc
	v_lshlrev_b32_e32 v30, 24, v30
	v_bfrev_b32_e32 v55, 60
	v_lshlrev_b32_e32 v52, 20, v52
	v_and_b32_e32 v30, 0x80000000, v30
	v_lshl_add_u32 v32, v32, 23, v55
	v_or3_b32 v30, v30, v32, v52
	v_lshrrev_b32_e32 v55, 16, v30
.LBB844_275:
	s_or_b64 exec, exec, s[10:11]
.LBB844_276:
	s_or_b64 exec, exec, s[8:9]
.LBB844_277:
	s_or_b64 exec, exec, s[2:3]
	v_cmp_ne_u16_sdwa s[8:9], v33, v54 src0_sel:BYTE_0 src1_sel:DWORD
	s_and_saveexec_b64 s[2:3], s[8:9]
	s_cbranch_execz .LBB844_283
; %bb.278:
	s_movk_i32 s8, 0x80
	v_cmp_ne_u16_sdwa s[10:11], v33, s8 src0_sel:BYTE_0 src1_sel:DWORD
	v_mov_b32_e32 v54, 0xffff8000
	s_and_saveexec_b64 s[8:9], s[10:11]
	s_cbranch_execz .LBB844_282
; %bb.279:
	s_movk_i32 s10, 0x7f
	v_and_b32_e32 v30, 0x7f, v33
	v_cmp_ne_u32_e32 vcc, s10, v30
	v_mov_b32_e32 v54, 0x7f80
	s_and_saveexec_b64 s[10:11], vcc
	s_cbranch_execz .LBB844_281
; %bb.280:
	v_and_b32_e32 v52, 7, v33
	v_ffbh_u32_e32 v56, v52
	v_min_u32_e32 v58, 32, v56
	v_mov_b32_e32 v32, v33
	v_subrev_u32_e32 v56, 28, v58
	v_lshlrev_b64 v[56:57], v56, v[32:33]
	v_lshrrev_b32_e32 v54, 3, v30
	v_sub_u32_e32 v32, 29, v58
	v_and_b32_e32 v56, 7, v56
	v_cmp_gt_u32_e32 vcc, 8, v30
	v_cndmask_b32_e32 v30, v54, v32, vcc
	v_cndmask_b32_e32 v32, v52, v56, vcc
	v_lshlrev_b32_e32 v52, 24, v33
	v_bfrev_b32_e32 v54, 60
	v_lshlrev_b32_e32 v32, 20, v32
	v_and_b32_e32 v52, 0x80000000, v52
	v_lshl_add_u32 v30, v30, 23, v54
	v_or3_b32 v30, v52, v30, v32
	v_lshrrev_b32_e32 v54, 16, v30
.LBB844_281:
	s_or_b64 exec, exec, s[10:11]
.LBB844_282:
	s_or_b64 exec, exec, s[8:9]
.LBB844_283:
	s_or_b64 exec, exec, s[2:3]
	v_lshrrev_b16_e32 v30, 8, v33
	v_cmp_ne_u16_e32 vcc, 0, v30
	v_mov_b32_e32 v56, 0
	v_mov_b32_e32 v32, 0
	s_and_saveexec_b64 s[2:3], vcc
	s_cbranch_execz .LBB844_289
; %bb.284:
	s_movk_i32 s8, 0x80
	v_cmp_ne_u16_e32 vcc, s8, v30
	v_mov_b32_e32 v32, 0xffff8000
	s_and_saveexec_b64 s[8:9], vcc
	s_cbranch_execz .LBB844_288
; %bb.285:
	s_movk_i32 s10, 0x7f
	v_and_b32_e32 v52, 0x7f, v30
	v_cmp_ne_u32_e32 vcc, s10, v52
	v_mov_b32_e32 v32, 0x7f80
	s_and_saveexec_b64 s[10:11], vcc
	s_cbranch_execz .LBB844_287
; %bb.286:
	v_and_b32_e32 v32, 7, v30
	v_ffbh_u32_e32 v58, v32
	v_min_u32_e32 v60, 32, v58
	v_subrev_u32_e32 v58, 28, v60
	v_lshlrev_b64 v[58:59], v58, v[30:31]
	v_lshrrev_b32_e32 v57, 3, v52
	v_sub_u32_e32 v30, 29, v60
	v_and_b32_e32 v58, 7, v58
	v_cmp_gt_u32_e32 vcc, 8, v52
	v_cndmask_b32_e32 v30, v57, v30, vcc
	v_cndmask_b32_e32 v32, v32, v58, vcc
	v_lshlrev_b32_e32 v52, 16, v33
	v_bfrev_b32_e32 v57, 60
	v_lshlrev_b32_e32 v32, 20, v32
	v_and_b32_e32 v52, 0x80000000, v52
	v_lshl_add_u32 v30, v30, 23, v57
	v_or3_b32 v30, v52, v30, v32
	v_lshrrev_b32_e32 v32, 16, v30
.LBB844_287:
	s_or_b64 exec, exec, s[10:11]
.LBB844_288:
	s_or_b64 exec, exec, s[8:9]
.LBB844_289:
	s_or_b64 exec, exec, s[2:3]
	s_movk_i32 s2, 0xff
	v_and_b32_sdwa v52, v33, s2 dst_sel:DWORD dst_unused:UNUSED_PAD src0_sel:WORD_1 src1_sel:DWORD
	v_lshrrev_b32_e32 v30, 16, v33
	v_cmp_ne_u16_e32 vcc, 0, v52
	s_and_saveexec_b64 s[2:3], vcc
	s_cbranch_execz .LBB844_295
; %bb.290:
	s_movk_i32 s8, 0x80
	v_cmp_ne_u16_e32 vcc, s8, v52
	v_mov_b32_e32 v56, 0xffff8000
	s_and_saveexec_b64 s[8:9], vcc
	s_cbranch_execz .LBB844_294
; %bb.291:
	v_bfe_u32 v52, v33, 16, 7
	s_movk_i32 s10, 0x7f
	v_cmp_ne_u32_e32 vcc, s10, v52
	v_mov_b32_e32 v56, 0x7f80
	s_and_saveexec_b64 s[10:11], vcc
	s_cbranch_execz .LBB844_293
; %bb.292:
	v_and_b32_e32 v58, 7, v30
	v_ffbh_u32_e32 v56, v58
	v_min_u32_e32 v60, 32, v56
	v_subrev_u32_e32 v56, 28, v60
	v_lshlrev_b64 v[56:57], v56, v[30:31]
	v_and_b32_e32 v56, 7, v56
	v_cmp_gt_u32_e32 vcc, 8, v52
	v_lshrrev_b32_e32 v59, 3, v52
	v_sub_u32_e32 v30, 29, v60
	v_cndmask_b32_e32 v52, v58, v56, vcc
	v_mov_b32_e32 v56, 24
	v_cndmask_b32_e32 v30, v59, v30, vcc
	v_lshlrev_b32_sdwa v56, v56, v33 dst_sel:DWORD dst_unused:UNUSED_PAD src0_sel:DWORD src1_sel:WORD_1
	v_bfrev_b32_e32 v57, 60
	v_lshlrev_b32_e32 v52, 20, v52
	v_and_b32_e32 v56, 0x80000000, v56
	v_lshl_add_u32 v30, v30, 23, v57
	v_or3_b32 v30, v56, v30, v52
	v_lshrrev_b32_e32 v56, 16, v30
.LBB844_293:
	s_or_b64 exec, exec, s[10:11]
.LBB844_294:
	s_or_b64 exec, exec, s[8:9]
.LBB844_295:
	s_or_b64 exec, exec, s[2:3]
	s_mov_b32 s2, 0xffffff
	v_cmp_lt_u32_e32 vcc, s2, v33
	v_mov_b32_e32 v52, 0
	v_mov_b32_e32 v57, 0
	s_and_saveexec_b64 s[2:3], vcc
	s_cbranch_execz .LBB844_301
; %bb.296:
	v_lshrrev_b32_e32 v30, 24, v33
	s_movk_i32 s8, 0x80
	v_cmp_ne_u32_e32 vcc, s8, v30
	v_mov_b32_e32 v57, 0xffff8000
	s_and_saveexec_b64 s[8:9], vcc
	s_cbranch_execz .LBB844_300
; %bb.297:
	v_bfe_u32 v33, v33, 24, 7
	s_movk_i32 s10, 0x7f
	v_cmp_ne_u32_e32 vcc, s10, v33
	v_mov_b32_e32 v57, 0x7f80
	s_and_saveexec_b64 s[10:11], vcc
	s_cbranch_execz .LBB844_299
; %bb.298:
	v_and_b32_e32 v57, 7, v30
	v_ffbh_u32_e32 v58, v57
	v_min_u32_e32 v61, 32, v58
	v_subrev_u32_e32 v58, 28, v61
	v_lshlrev_b64 v[58:59], v58, v[30:31]
	v_lshrrev_b32_e32 v60, 3, v33
	v_sub_u32_e32 v59, 29, v61
	v_and_b32_e32 v58, 7, v58
	v_cmp_gt_u32_e32 vcc, 8, v33
	v_cndmask_b32_e32 v33, v60, v59, vcc
	v_cndmask_b32_e32 v57, v57, v58, vcc
	v_lshlrev_b32_e32 v30, 24, v30
	v_bfrev_b32_e32 v58, 60
	v_lshlrev_b32_e32 v57, 20, v57
	v_and_b32_e32 v30, 0x80000000, v30
	v_lshl_add_u32 v33, v33, 23, v58
	v_or3_b32 v30, v30, v33, v57
	v_lshrrev_b32_e32 v57, 16, v30
.LBB844_299:
	s_or_b64 exec, exec, s[10:11]
.LBB844_300:
	s_or_b64 exec, exec, s[8:9]
.LBB844_301:
	s_or_b64 exec, exec, s[2:3]
	s_mov_b32 s2, 0x5040100
	v_perm_b32 v59, v55, v53, s2
	v_perm_b32 v58, v31, v51, s2
	;; [unrolled: 1-line block ×4, first 2 shown]
	v_cmp_ne_u16_sdwa s[8:9], v22, v52 src0_sel:BYTE_0 src1_sel:DWORD
	v_mfma_f32_16x16x16bf16_1k v[42:45], v[58:59], v[18:19], v[42:45]
	v_mfma_f32_16x16x16bf16_1k v[30:33], v[30:31], v[20:21], v[42:45]
	s_and_saveexec_b64 s[2:3], s[8:9]
	s_cbranch_execz .LBB844_307
; %bb.302:
	s_movk_i32 s8, 0x80
	v_cmp_ne_u16_sdwa s[10:11], v22, s8 src0_sel:BYTE_0 src1_sel:DWORD
	v_mov_b32_e32 v52, 0xffff8000
	s_and_saveexec_b64 s[8:9], s[10:11]
	s_cbranch_execz .LBB844_306
; %bb.303:
	s_movk_i32 s10, 0x7f
	s_nop 1
	v_and_b32_e32 v42, 0x7f, v22
	v_cmp_ne_u32_e32 vcc, s10, v42
	v_mov_b32_e32 v52, 0x7f80
	s_and_saveexec_b64 s[10:11], vcc
	s_cbranch_execz .LBB844_305
; %bb.304:
	v_and_b32_e32 v43, 7, v22
	v_ffbh_u32_e32 v44, v43
	v_min_u32_e32 v52, 32, v44
	v_subrev_u32_e32 v44, 28, v52
	v_lshlrev_b64 v[44:45], v44, v[22:23]
	v_lshrrev_b32_e32 v51, 3, v42
	v_sub_u32_e32 v45, 29, v52
	v_and_b32_e32 v44, 7, v44
	v_cmp_gt_u32_e32 vcc, 8, v42
	v_cndmask_b32_e32 v42, v51, v45, vcc
	v_cndmask_b32_e32 v43, v43, v44, vcc
	v_lshlrev_b32_e32 v44, 24, v22
	v_bfrev_b32_e32 v45, 60
	v_lshlrev_b32_e32 v43, 20, v43
	v_and_b32_e32 v44, 0x80000000, v44
	v_lshl_add_u32 v42, v42, 23, v45
	v_or3_b32 v42, v44, v42, v43
	v_lshrrev_b32_e32 v52, 16, v42
.LBB844_305:
	s_or_b64 exec, exec, s[10:11]
.LBB844_306:
	s_or_b64 exec, exec, s[8:9]
.LBB844_307:
	s_or_b64 exec, exec, s[2:3]
	s_nop 6
	v_lshrrev_b16_e32 v42, 8, v22
	v_cmp_ne_u16_e32 vcc, 0, v42
	v_mov_b32_e32 v44, 0
	v_mov_b32_e32 v43, 0
	s_and_saveexec_b64 s[2:3], vcc
	s_cbranch_execz .LBB844_313
; %bb.308:
	s_movk_i32 s8, 0x80
	v_cmp_ne_u16_e32 vcc, s8, v42
	v_mov_b32_e32 v43, 0xffff8000
	s_and_saveexec_b64 s[8:9], vcc
	s_cbranch_execz .LBB844_312
; %bb.309:
	s_movk_i32 s10, 0x7f
	v_and_b32_e32 v45, 0x7f, v42
	v_cmp_ne_u32_e32 vcc, s10, v45
	v_mov_b32_e32 v43, 0x7f80
	s_and_saveexec_b64 s[10:11], vcc
	s_cbranch_execz .LBB844_311
; %bb.310:
	v_and_b32_e32 v51, 7, v42
	v_ffbh_u32_e32 v43, v51
	v_min_u32_e32 v54, 32, v43
	v_subrev_u32_e32 v43, 28, v54
	v_lshlrev_b64 v[42:43], v43, v[42:43]
	v_lshrrev_b32_e32 v53, 3, v45
	v_sub_u32_e32 v43, 29, v54
	v_and_b32_e32 v42, 7, v42
	v_cmp_gt_u32_e32 vcc, 8, v45
	v_cndmask_b32_e32 v43, v53, v43, vcc
	v_cndmask_b32_e32 v42, v51, v42, vcc
	v_lshlrev_b32_e32 v45, 16, v22
	v_bfrev_b32_e32 v51, 60
	v_lshlrev_b32_e32 v42, 20, v42
	v_and_b32_e32 v45, 0x80000000, v45
	v_lshl_add_u32 v43, v43, 23, v51
	v_or3_b32 v42, v45, v43, v42
	v_lshrrev_b32_e32 v43, 16, v42
.LBB844_311:
	s_or_b64 exec, exec, s[10:11]
.LBB844_312:
	s_or_b64 exec, exec, s[8:9]
.LBB844_313:
	s_or_b64 exec, exec, s[2:3]
	s_movk_i32 s2, 0xff
	v_and_b32_sdwa v45, v22, s2 dst_sel:DWORD dst_unused:UNUSED_PAD src0_sel:WORD_1 src1_sel:DWORD
	v_lshrrev_b32_e32 v42, 16, v22
	v_cmp_ne_u16_e32 vcc, 0, v45
	s_and_saveexec_b64 s[2:3], vcc
	s_cbranch_execz .LBB844_319
; %bb.314:
	s_movk_i32 s8, 0x80
	v_cmp_ne_u16_e32 vcc, s8, v45
	v_mov_b32_e32 v44, 0xffff8000
	s_and_saveexec_b64 s[8:9], vcc
	s_cbranch_execz .LBB844_318
; %bb.315:
	v_bfe_u32 v45, v22, 16, 7
	s_movk_i32 s10, 0x7f
	v_cmp_ne_u32_e32 vcc, s10, v45
	v_mov_b32_e32 v44, 0x7f80
	s_and_saveexec_b64 s[10:11], vcc
	s_cbranch_execz .LBB844_317
; %bb.316:
	v_and_b32_e32 v44, 7, v42
	v_ffbh_u32_e32 v53, v44
	v_min_u32_e32 v53, 32, v53
	v_subrev_u32_e32 v54, 28, v53
	v_lshlrev_b64 v[54:55], v54, v[42:43]
	v_lshrrev_b32_e32 v51, 3, v45
	v_sub_u32_e32 v42, 29, v53
	v_and_b32_e32 v53, 7, v54
	v_cmp_gt_u32_e32 vcc, 8, v45
	v_mov_b32_e32 v45, 24
	v_cndmask_b32_e32 v42, v51, v42, vcc
	v_cndmask_b32_e32 v44, v44, v53, vcc
	v_lshlrev_b32_sdwa v45, v45, v22 dst_sel:DWORD dst_unused:UNUSED_PAD src0_sel:DWORD src1_sel:WORD_1
	v_bfrev_b32_e32 v51, 60
	v_lshlrev_b32_e32 v44, 20, v44
	v_and_b32_e32 v45, 0x80000000, v45
	v_lshl_add_u32 v42, v42, 23, v51
	v_or3_b32 v42, v45, v42, v44
	v_lshrrev_b32_e32 v44, 16, v42
.LBB844_317:
	s_or_b64 exec, exec, s[10:11]
.LBB844_318:
	s_or_b64 exec, exec, s[8:9]
.LBB844_319:
	s_or_b64 exec, exec, s[2:3]
	s_mov_b32 s2, 0xffffff
	v_cmp_lt_u32_e32 vcc, s2, v22
	v_mov_b32_e32 v45, 0
	v_mov_b32_e32 v51, 0
	s_and_saveexec_b64 s[2:3], vcc
	s_cbranch_execz .LBB844_325
; %bb.320:
	v_lshrrev_b32_e32 v42, 24, v22
	s_movk_i32 s8, 0x80
	v_cmp_ne_u32_e32 vcc, s8, v42
	v_mov_b32_e32 v51, 0xffff8000
	s_and_saveexec_b64 s[8:9], vcc
	s_cbranch_execz .LBB844_324
; %bb.321:
	v_bfe_u32 v22, v22, 24, 7
	s_movk_i32 s10, 0x7f
	v_cmp_ne_u32_e32 vcc, s10, v22
	v_mov_b32_e32 v51, 0x7f80
	s_and_saveexec_b64 s[10:11], vcc
	s_cbranch_execz .LBB844_323
; %bb.322:
	v_and_b32_e32 v51, 7, v42
	v_ffbh_u32_e32 v54, v51
	v_min_u32_e32 v56, 32, v54
	v_subrev_u32_e32 v54, 28, v56
	v_lshlrev_b64 v[54:55], v54, v[42:43]
	v_lshrrev_b32_e32 v53, 3, v22
	v_sub_u32_e32 v55, 29, v56
	v_and_b32_e32 v54, 7, v54
	v_cmp_gt_u32_e32 vcc, 8, v22
	v_cndmask_b32_e32 v22, v53, v55, vcc
	v_cndmask_b32_e32 v51, v51, v54, vcc
	v_lshlrev_b32_e32 v42, 24, v42
	v_bfrev_b32_e32 v53, 60
	v_lshlrev_b32_e32 v51, 20, v51
	v_and_b32_e32 v42, 0x80000000, v42
	v_lshl_add_u32 v22, v22, 23, v53
	v_or3_b32 v22, v42, v22, v51
	v_lshrrev_b32_e32 v51, 16, v22
.LBB844_323:
	s_or_b64 exec, exec, s[10:11]
.LBB844_324:
	s_or_b64 exec, exec, s[8:9]
.LBB844_325:
	s_or_b64 exec, exec, s[2:3]
	v_cmp_ne_u16_sdwa s[8:9], v23, v45 src0_sel:BYTE_0 src1_sel:DWORD
	s_and_saveexec_b64 s[2:3], s[8:9]
	s_cbranch_execz .LBB844_331
; %bb.326:
	s_movk_i32 s8, 0x80
	v_cmp_ne_u16_sdwa s[10:11], v23, s8 src0_sel:BYTE_0 src1_sel:DWORD
	v_mov_b32_e32 v45, 0xffff8000
	s_and_saveexec_b64 s[8:9], s[10:11]
	s_cbranch_execz .LBB844_330
; %bb.327:
	s_movk_i32 s10, 0x7f
	v_and_b32_e32 v22, 0x7f, v23
	v_cmp_ne_u32_e32 vcc, s10, v22
	v_mov_b32_e32 v45, 0x7f80
	s_and_saveexec_b64 s[10:11], vcc
	s_cbranch_execz .LBB844_329
; %bb.328:
	v_and_b32_e32 v45, 7, v23
	v_ffbh_u32_e32 v54, v45
	v_min_u32_e32 v56, 32, v54
	v_mov_b32_e32 v42, v23
	v_subrev_u32_e32 v54, 28, v56
	v_lshlrev_b64 v[54:55], v54, v[42:43]
	v_lshrrev_b32_e32 v53, 3, v22
	v_sub_u32_e32 v42, 29, v56
	v_and_b32_e32 v54, 7, v54
	v_cmp_gt_u32_e32 vcc, 8, v22
	v_cndmask_b32_e32 v22, v53, v42, vcc
	v_cndmask_b32_e32 v42, v45, v54, vcc
	v_lshlrev_b32_e32 v45, 24, v23
	v_bfrev_b32_e32 v53, 60
	v_lshlrev_b32_e32 v42, 20, v42
	v_and_b32_e32 v45, 0x80000000, v45
	v_lshl_add_u32 v22, v22, 23, v53
	v_or3_b32 v22, v45, v22, v42
	v_lshrrev_b32_e32 v45, 16, v22
.LBB844_329:
	s_or_b64 exec, exec, s[10:11]
.LBB844_330:
	s_or_b64 exec, exec, s[8:9]
.LBB844_331:
	s_or_b64 exec, exec, s[2:3]
	v_lshrrev_b16_e32 v22, 8, v23
	v_cmp_ne_u16_e32 vcc, 0, v22
	v_mov_b32_e32 v54, 0
	v_mov_b32_e32 v53, 0
	s_and_saveexec_b64 s[2:3], vcc
	s_cbranch_execz .LBB844_337
; %bb.332:
	s_movk_i32 s8, 0x80
	v_cmp_ne_u16_e32 vcc, s8, v22
	v_mov_b32_e32 v53, 0xffff8000
	s_and_saveexec_b64 s[8:9], vcc
	s_cbranch_execz .LBB844_336
; %bb.333:
	s_movk_i32 s10, 0x7f
	v_and_b32_e32 v42, 0x7f, v22
	v_cmp_ne_u32_e32 vcc, s10, v42
	v_mov_b32_e32 v53, 0x7f80
	s_and_saveexec_b64 s[10:11], vcc
	s_cbranch_execz .LBB844_335
; %bb.334:
	v_and_b32_e32 v53, 7, v22
	v_ffbh_u32_e32 v56, v53
	v_min_u32_e32 v58, 32, v56
	v_subrev_u32_e32 v56, 28, v58
	v_lshlrev_b64 v[56:57], v56, v[22:23]
	v_lshrrev_b32_e32 v55, 3, v42
	v_sub_u32_e32 v22, 29, v58
	v_and_b32_e32 v56, 7, v56
	v_cmp_gt_u32_e32 vcc, 8, v42
	v_cndmask_b32_e32 v22, v55, v22, vcc
	v_cndmask_b32_e32 v42, v53, v56, vcc
	v_lshlrev_b32_e32 v53, 16, v23
	v_bfrev_b32_e32 v55, 60
	v_lshlrev_b32_e32 v42, 20, v42
	v_and_b32_e32 v53, 0x80000000, v53
	v_lshl_add_u32 v22, v22, 23, v55
	v_or3_b32 v22, v53, v22, v42
	v_lshrrev_b32_e32 v53, 16, v22
.LBB844_335:
	s_or_b64 exec, exec, s[10:11]
.LBB844_336:
	s_or_b64 exec, exec, s[8:9]
.LBB844_337:
	s_or_b64 exec, exec, s[2:3]
	s_movk_i32 s2, 0xff
	v_and_b32_sdwa v42, v23, s2 dst_sel:DWORD dst_unused:UNUSED_PAD src0_sel:WORD_1 src1_sel:DWORD
	v_lshrrev_b32_e32 v22, 16, v23
	v_cmp_ne_u16_e32 vcc, 0, v42
	s_and_saveexec_b64 s[2:3], vcc
	s_cbranch_execz .LBB844_343
; %bb.338:
	s_movk_i32 s8, 0x80
	v_cmp_ne_u16_e32 vcc, s8, v42
	v_mov_b32_e32 v54, 0xffff8000
	s_and_saveexec_b64 s[8:9], vcc
	s_cbranch_execz .LBB844_342
; %bb.339:
	v_bfe_u32 v42, v23, 16, 7
	s_movk_i32 s10, 0x7f
	v_cmp_ne_u32_e32 vcc, s10, v42
	v_mov_b32_e32 v54, 0x7f80
	s_and_saveexec_b64 s[10:11], vcc
	s_cbranch_execz .LBB844_341
; %bb.340:
	v_and_b32_e32 v56, 7, v22
	v_ffbh_u32_e32 v54, v56
	v_min_u32_e32 v58, 32, v54
	v_subrev_u32_e32 v54, 28, v58
	v_lshlrev_b64 v[54:55], v54, v[22:23]
	v_and_b32_e32 v54, 7, v54
	v_cmp_gt_u32_e32 vcc, 8, v42
	v_lshrrev_b32_e32 v57, 3, v42
	v_sub_u32_e32 v22, 29, v58
	v_cndmask_b32_e32 v42, v56, v54, vcc
	v_mov_b32_e32 v54, 24
	v_cndmask_b32_e32 v22, v57, v22, vcc
	v_lshlrev_b32_sdwa v54, v54, v23 dst_sel:DWORD dst_unused:UNUSED_PAD src0_sel:DWORD src1_sel:WORD_1
	v_bfrev_b32_e32 v55, 60
	v_lshlrev_b32_e32 v42, 20, v42
	v_and_b32_e32 v54, 0x80000000, v54
	v_lshl_add_u32 v22, v22, 23, v55
	v_or3_b32 v22, v54, v22, v42
	v_lshrrev_b32_e32 v54, 16, v22
.LBB844_341:
	s_or_b64 exec, exec, s[10:11]
.LBB844_342:
	s_or_b64 exec, exec, s[8:9]
.LBB844_343:
	s_or_b64 exec, exec, s[2:3]
	s_mov_b32 s2, 0xffffff
	v_cmp_lt_u32_e32 vcc, s2, v23
	v_mov_b32_e32 v42, 0
	v_mov_b32_e32 v55, 0
	s_and_saveexec_b64 s[2:3], vcc
	s_cbranch_execz .LBB844_349
; %bb.344:
	v_lshrrev_b32_e32 v22, 24, v23
	s_movk_i32 s8, 0x80
	v_cmp_ne_u32_e32 vcc, s8, v22
	v_mov_b32_e32 v55, 0xffff8000
	s_and_saveexec_b64 s[8:9], vcc
	s_cbranch_execz .LBB844_348
; %bb.345:
	v_bfe_u32 v23, v23, 24, 7
	s_movk_i32 s10, 0x7f
	v_cmp_ne_u32_e32 vcc, s10, v23
	v_mov_b32_e32 v55, 0x7f80
	s_and_saveexec_b64 s[10:11], vcc
	s_cbranch_execz .LBB844_347
; %bb.346:
	v_and_b32_e32 v55, 7, v22
	v_ffbh_u32_e32 v56, v55
	v_min_u32_e32 v59, 32, v56
	v_subrev_u32_e32 v56, 28, v59
	v_lshlrev_b64 v[56:57], v56, v[22:23]
	v_lshrrev_b32_e32 v58, 3, v23
	v_sub_u32_e32 v57, 29, v59
	v_and_b32_e32 v56, 7, v56
	v_cmp_gt_u32_e32 vcc, 8, v23
	v_cndmask_b32_e32 v23, v58, v57, vcc
	v_cndmask_b32_e32 v55, v55, v56, vcc
	v_lshlrev_b32_e32 v22, 24, v22
	v_bfrev_b32_e32 v56, 60
	v_lshlrev_b32_e32 v55, 20, v55
	v_and_b32_e32 v22, 0x80000000, v22
	v_lshl_add_u32 v23, v23, 23, v56
	v_or3_b32 v22, v22, v23, v55
	v_lshrrev_b32_e32 v55, 16, v22
.LBB844_347:
	s_or_b64 exec, exec, s[10:11]
.LBB844_348:
	s_or_b64 exec, exec, s[8:9]
.LBB844_349:
	s_or_b64 exec, exec, s[2:3]
	s_mov_b32 s2, 0x5040100
	v_perm_b32 v23, v51, v44, s2
	v_perm_b32 v22, v43, v52, s2
	v_cmp_ne_u16_sdwa s[8:9], v24, v42 src0_sel:BYTE_0 src1_sel:DWORD
	s_nop 0
	v_mfma_f32_16x16x16bf16_1k v[56:59], v[22:23], v[26:27], 0
	v_perm_b32 v23, v55, v54, s2
	v_perm_b32 v22, v53, v45, s2
	s_nop 1
	v_mfma_f32_16x16x16bf16_1k v[26:29], v[22:23], v[28:29], v[56:59]
	s_and_saveexec_b64 s[2:3], s[8:9]
	s_cbranch_execz .LBB844_355
; %bb.350:
	s_movk_i32 s8, 0x80
	v_cmp_ne_u16_sdwa s[10:11], v24, s8 src0_sel:BYTE_0 src1_sel:DWORD
	v_mov_b32_e32 v42, 0xffff8000
	s_and_saveexec_b64 s[8:9], s[10:11]
	s_cbranch_execz .LBB844_354
; %bb.351:
	s_movk_i32 s10, 0x7f
	v_and_b32_e32 v22, 0x7f, v24
	v_cmp_ne_u32_e32 vcc, s10, v22
	v_mov_b32_e32 v42, 0x7f80
	s_and_saveexec_b64 s[10:11], vcc
	s_cbranch_execz .LBB844_353
; %bb.352:
	v_and_b32_e32 v23, 7, v24
	v_ffbh_u32_e32 v42, v23
	v_min_u32_e32 v45, 32, v42
	v_subrev_u32_e32 v42, 28, v45
	v_lshlrev_b64 v[42:43], v42, v[24:25]
	v_lshrrev_b32_e32 v44, 3, v22
	v_sub_u32_e32 v43, 29, v45
	v_and_b32_e32 v42, 7, v42
	v_cmp_gt_u32_e32 vcc, 8, v22
	v_cndmask_b32_e32 v22, v44, v43, vcc
	v_cndmask_b32_e32 v23, v23, v42, vcc
	v_lshlrev_b32_e32 v42, 24, v24
	v_bfrev_b32_e32 v43, 60
	v_lshlrev_b32_e32 v23, 20, v23
	v_and_b32_e32 v42, 0x80000000, v42
	v_lshl_add_u32 v22, v22, 23, v43
	v_or3_b32 v22, v42, v22, v23
	v_lshrrev_b32_e32 v42, 16, v22
.LBB844_353:
	s_or_b64 exec, exec, s[10:11]
.LBB844_354:
	s_or_b64 exec, exec, s[8:9]
.LBB844_355:
	s_or_b64 exec, exec, s[2:3]
	v_lshrrev_b16_e32 v22, 8, v24
	v_cmp_ne_u16_e32 vcc, 0, v22
	v_mov_b32_e32 v43, 0
	v_mov_b32_e32 v23, 0
	s_and_saveexec_b64 s[2:3], vcc
	s_cbranch_execz .LBB844_361
; %bb.356:
	s_movk_i32 s8, 0x80
	v_cmp_ne_u16_e32 vcc, s8, v22
	v_mov_b32_e32 v23, 0xffff8000
	s_and_saveexec_b64 s[8:9], vcc
	s_cbranch_execz .LBB844_360
; %bb.357:
	s_movk_i32 s10, 0x7f
	v_and_b32_e32 v44, 0x7f, v22
	v_cmp_ne_u32_e32 vcc, s10, v44
	v_mov_b32_e32 v23, 0x7f80
	s_and_saveexec_b64 s[10:11], vcc
	s_cbranch_execz .LBB844_359
; %bb.358:
	v_and_b32_e32 v45, 7, v22
	v_ffbh_u32_e32 v23, v45
	v_min_u32_e32 v52, 32, v23
	v_subrev_u32_e32 v23, 28, v52
	v_lshlrev_b64 v[22:23], v23, v[22:23]
	v_lshrrev_b32_e32 v51, 3, v44
	v_sub_u32_e32 v23, 29, v52
	v_and_b32_e32 v22, 7, v22
	v_cmp_gt_u32_e32 vcc, 8, v44
	v_cndmask_b32_e32 v23, v51, v23, vcc
	v_cndmask_b32_e32 v22, v45, v22, vcc
	v_lshlrev_b32_e32 v44, 16, v24
	v_bfrev_b32_e32 v45, 60
	v_lshlrev_b32_e32 v22, 20, v22
	v_and_b32_e32 v44, 0x80000000, v44
	v_lshl_add_u32 v23, v23, 23, v45
	v_or3_b32 v22, v44, v23, v22
	v_lshrrev_b32_e32 v23, 16, v22
.LBB844_359:
	s_or_b64 exec, exec, s[10:11]
.LBB844_360:
	s_or_b64 exec, exec, s[8:9]
.LBB844_361:
	s_or_b64 exec, exec, s[2:3]
	s_movk_i32 s2, 0xff
	v_and_b32_sdwa v44, v24, s2 dst_sel:DWORD dst_unused:UNUSED_PAD src0_sel:WORD_1 src1_sel:DWORD
	v_lshrrev_b32_e32 v22, 16, v24
	v_cmp_ne_u16_e32 vcc, 0, v44
	s_and_saveexec_b64 s[2:3], vcc
	s_cbranch_execz .LBB844_367
; %bb.362:
	s_movk_i32 s8, 0x80
	v_cmp_ne_u16_e32 vcc, s8, v44
	v_mov_b32_e32 v43, 0xffff8000
	s_and_saveexec_b64 s[8:9], vcc
	s_cbranch_execz .LBB844_366
; %bb.363:
	v_bfe_u32 v44, v24, 16, 7
	s_movk_i32 s10, 0x7f
	v_cmp_ne_u32_e32 vcc, s10, v44
	v_mov_b32_e32 v43, 0x7f80
	s_and_saveexec_b64 s[10:11], vcc
	s_cbranch_execz .LBB844_365
; %bb.364:
	v_and_b32_e32 v43, 7, v22
	v_ffbh_u32_e32 v51, v43
	v_min_u32_e32 v51, 32, v51
	v_subrev_u32_e32 v52, 28, v51
	v_lshlrev_b64 v[52:53], v52, v[22:23]
	v_lshrrev_b32_e32 v45, 3, v44
	v_sub_u32_e32 v22, 29, v51
	v_and_b32_e32 v51, 7, v52
	v_cmp_gt_u32_e32 vcc, 8, v44
	v_mov_b32_e32 v44, 24
	v_cndmask_b32_e32 v22, v45, v22, vcc
	v_cndmask_b32_e32 v43, v43, v51, vcc
	v_lshlrev_b32_sdwa v44, v44, v24 dst_sel:DWORD dst_unused:UNUSED_PAD src0_sel:DWORD src1_sel:WORD_1
	v_bfrev_b32_e32 v45, 60
	v_lshlrev_b32_e32 v43, 20, v43
	v_and_b32_e32 v44, 0x80000000, v44
	v_lshl_add_u32 v22, v22, 23, v45
	v_or3_b32 v22, v44, v22, v43
	v_lshrrev_b32_e32 v43, 16, v22
.LBB844_365:
	s_or_b64 exec, exec, s[10:11]
.LBB844_366:
	s_or_b64 exec, exec, s[8:9]
.LBB844_367:
	s_or_b64 exec, exec, s[2:3]
	s_mov_b32 s2, 0xffffff
	v_cmp_lt_u32_e32 vcc, s2, v24
	v_mov_b32_e32 v45, 0
	v_mov_b32_e32 v51, 0
	s_and_saveexec_b64 s[2:3], vcc
	s_cbranch_execz .LBB844_373
; %bb.368:
	v_lshrrev_b32_e32 v22, 24, v24
	s_movk_i32 s8, 0x80
	v_cmp_ne_u32_e32 vcc, s8, v22
	v_mov_b32_e32 v51, 0xffff8000
	s_and_saveexec_b64 s[8:9], vcc
	s_cbranch_execz .LBB844_372
; %bb.369:
	v_bfe_u32 v24, v24, 24, 7
	s_movk_i32 s10, 0x7f
	v_cmp_ne_u32_e32 vcc, s10, v24
	v_mov_b32_e32 v51, 0x7f80
	s_and_saveexec_b64 s[10:11], vcc
	s_cbranch_execz .LBB844_371
; %bb.370:
	v_and_b32_e32 v44, 7, v22
	v_ffbh_u32_e32 v52, v44
	v_min_u32_e32 v54, 32, v52
	v_subrev_u32_e32 v52, 28, v54
	v_lshlrev_b64 v[52:53], v52, v[22:23]
	v_lshrrev_b32_e32 v51, 3, v24
	v_sub_u32_e32 v53, 29, v54
	v_and_b32_e32 v52, 7, v52
	v_cmp_gt_u32_e32 vcc, 8, v24
	v_cndmask_b32_e32 v24, v51, v53, vcc
	v_cndmask_b32_e32 v44, v44, v52, vcc
	v_lshlrev_b32_e32 v22, 24, v22
	v_bfrev_b32_e32 v51, 60
	v_lshlrev_b32_e32 v44, 20, v44
	v_and_b32_e32 v22, 0x80000000, v22
	v_lshl_add_u32 v24, v24, 23, v51
	v_or3_b32 v22, v22, v24, v44
	v_lshrrev_b32_e32 v51, 16, v22
.LBB844_371:
	s_or_b64 exec, exec, s[10:11]
.LBB844_372:
	s_or_b64 exec, exec, s[8:9]
.LBB844_373:
	s_or_b64 exec, exec, s[2:3]
	v_cmp_ne_u16_sdwa s[8:9], v25, v45 src0_sel:BYTE_0 src1_sel:DWORD
	s_and_saveexec_b64 s[2:3], s[8:9]
	s_cbranch_execz .LBB844_379
; %bb.374:
	s_movk_i32 s8, 0x80
	v_cmp_ne_u16_sdwa s[10:11], v25, s8 src0_sel:BYTE_0 src1_sel:DWORD
	v_mov_b32_e32 v45, 0xffff8000
	s_and_saveexec_b64 s[8:9], s[10:11]
	s_cbranch_execz .LBB844_378
; %bb.375:
	s_movk_i32 s10, 0x7f
	v_and_b32_e32 v22, 0x7f, v25
	v_cmp_ne_u32_e32 vcc, s10, v22
	v_mov_b32_e32 v45, 0x7f80
	s_and_saveexec_b64 s[10:11], vcc
	s_cbranch_execz .LBB844_377
; %bb.376:
	v_and_b32_e32 v52, 7, v25
	v_ffbh_u32_e32 v44, v52
	v_min_u32_e32 v54, 32, v44
	v_mov_b32_e32 v24, v25
	v_subrev_u32_e32 v44, 28, v54
	v_lshlrev_b64 v[44:45], v44, v[24:25]
	v_lshrrev_b32_e32 v53, 3, v22
	v_sub_u32_e32 v24, 29, v54
	v_and_b32_e32 v44, 7, v44
	v_cmp_gt_u32_e32 vcc, 8, v22
	v_cndmask_b32_e32 v22, v53, v24, vcc
	v_cndmask_b32_e32 v24, v52, v44, vcc
	v_lshlrev_b32_e32 v44, 24, v25
	v_bfrev_b32_e32 v45, 60
	v_lshlrev_b32_e32 v24, 20, v24
	v_and_b32_e32 v44, 0x80000000, v44
	v_lshl_add_u32 v22, v22, 23, v45
	v_or3_b32 v22, v44, v22, v24
	v_lshrrev_b32_e32 v45, 16, v22
.LBB844_377:
	s_or_b64 exec, exec, s[10:11]
.LBB844_378:
	s_or_b64 exec, exec, s[8:9]
.LBB844_379:
	s_or_b64 exec, exec, s[2:3]
	v_lshrrev_b16_e32 v22, 8, v25
	v_cmp_ne_u16_e32 vcc, 0, v22
	v_mov_b32_e32 v53, 0
	v_mov_b32_e32 v52, 0
	s_and_saveexec_b64 s[2:3], vcc
	s_cbranch_execz .LBB844_385
; %bb.380:
	s_movk_i32 s8, 0x80
	v_cmp_ne_u16_e32 vcc, s8, v22
	v_mov_b32_e32 v52, 0xffff8000
	s_and_saveexec_b64 s[8:9], vcc
	s_cbranch_execz .LBB844_384
; %bb.381:
	s_movk_i32 s10, 0x7f
	v_and_b32_e32 v24, 0x7f, v22
	v_cmp_ne_u32_e32 vcc, s10, v24
	v_mov_b32_e32 v52, 0x7f80
	s_and_saveexec_b64 s[10:11], vcc
	s_cbranch_execz .LBB844_383
; %bb.382:
	v_and_b32_e32 v44, 7, v22
	v_ffbh_u32_e32 v54, v44
	v_min_u32_e32 v56, 32, v54
	v_subrev_u32_e32 v54, 28, v56
	v_lshlrev_b64 v[54:55], v54, v[22:23]
	v_lshrrev_b32_e32 v52, 3, v24
	v_sub_u32_e32 v22, 29, v56
	v_and_b32_e32 v54, 7, v54
	v_cmp_gt_u32_e32 vcc, 8, v24
	v_cndmask_b32_e32 v22, v52, v22, vcc
	v_cndmask_b32_e32 v24, v44, v54, vcc
	v_lshlrev_b32_e32 v44, 16, v25
	v_bfrev_b32_e32 v52, 60
	v_lshlrev_b32_e32 v24, 20, v24
	v_and_b32_e32 v44, 0x80000000, v44
	v_lshl_add_u32 v22, v22, 23, v52
	v_or3_b32 v22, v44, v22, v24
	v_lshrrev_b32_e32 v52, 16, v22
.LBB844_383:
	s_or_b64 exec, exec, s[10:11]
.LBB844_384:
	s_or_b64 exec, exec, s[8:9]
.LBB844_385:
	s_or_b64 exec, exec, s[2:3]
	s_movk_i32 s2, 0xff
	v_and_b32_sdwa v24, v25, s2 dst_sel:DWORD dst_unused:UNUSED_PAD src0_sel:WORD_1 src1_sel:DWORD
	v_lshrrev_b32_e32 v22, 16, v25
	v_cmp_ne_u16_e32 vcc, 0, v24
	s_and_saveexec_b64 s[2:3], vcc
	s_cbranch_execz .LBB844_391
; %bb.386:
	s_movk_i32 s8, 0x80
	v_cmp_ne_u16_e32 vcc, s8, v24
	v_mov_b32_e32 v53, 0xffff8000
	s_and_saveexec_b64 s[8:9], vcc
	s_cbranch_execz .LBB844_390
; %bb.387:
	v_bfe_u32 v24, v25, 16, 7
	s_movk_i32 s10, 0x7f
	v_cmp_ne_u32_e32 vcc, s10, v24
	v_mov_b32_e32 v53, 0x7f80
	s_and_saveexec_b64 s[10:11], vcc
	s_cbranch_execz .LBB844_389
; %bb.388:
	v_and_b32_e32 v44, 7, v22
	v_ffbh_u32_e32 v54, v44
	v_min_u32_e32 v56, 32, v54
	v_subrev_u32_e32 v54, 28, v56
	v_lshlrev_b64 v[54:55], v54, v[22:23]
	v_and_b32_e32 v54, 7, v54
	v_cmp_gt_u32_e32 vcc, 8, v24
	v_lshrrev_b32_e32 v53, 3, v24
	v_sub_u32_e32 v22, 29, v56
	v_cndmask_b32_e32 v24, v44, v54, vcc
	v_mov_b32_e32 v44, 24
	v_cndmask_b32_e32 v22, v53, v22, vcc
	v_lshlrev_b32_sdwa v44, v44, v25 dst_sel:DWORD dst_unused:UNUSED_PAD src0_sel:DWORD src1_sel:WORD_1
	v_bfrev_b32_e32 v53, 60
	v_lshlrev_b32_e32 v24, 20, v24
	v_and_b32_e32 v44, 0x80000000, v44
	v_lshl_add_u32 v22, v22, 23, v53
	v_or3_b32 v22, v44, v22, v24
	v_lshrrev_b32_e32 v53, 16, v22
.LBB844_389:
	s_or_b64 exec, exec, s[10:11]
.LBB844_390:
	s_or_b64 exec, exec, s[8:9]
.LBB844_391:
	s_or_b64 exec, exec, s[2:3]
	s_mov_b32 s2, 0xffffff
	v_and_b32_e32 v44, 63, v0
	v_cmp_lt_u32_e32 vcc, s2, v25
	v_mov_b32_e32 v54, 0
	s_and_saveexec_b64 s[2:3], vcc
	s_cbranch_execz .LBB844_397
; %bb.392:
	v_lshrrev_b32_e32 v22, 24, v25
	s_movk_i32 s8, 0x80
	v_cmp_ne_u32_e32 vcc, s8, v22
	v_mov_b32_e32 v54, 0xffff8000
	s_and_saveexec_b64 s[8:9], vcc
	s_cbranch_execz .LBB844_396
; %bb.393:
	v_bfe_u32 v24, v25, 24, 7
	s_movk_i32 s10, 0x7f
	v_cmp_ne_u32_e32 vcc, s10, v24
	v_mov_b32_e32 v54, 0x7f80
	s_and_saveexec_b64 s[10:11], vcc
	s_cbranch_execz .LBB844_395
; %bb.394:
	v_and_b32_e32 v25, 7, v22
	v_ffbh_u32_e32 v54, v25
	v_min_u32_e32 v57, 32, v54
	v_subrev_u32_e32 v54, 28, v57
	v_lshlrev_b64 v[54:55], v54, v[22:23]
	v_lshrrev_b32_e32 v56, 3, v24
	v_sub_u32_e32 v55, 29, v57
	v_and_b32_e32 v54, 7, v54
	v_cmp_gt_u32_e32 vcc, 8, v24
	v_cndmask_b32_e32 v24, v56, v55, vcc
	v_cndmask_b32_e32 v25, v25, v54, vcc
	v_lshlrev_b32_e32 v22, 24, v22
	v_bfrev_b32_e32 v54, 60
	v_lshlrev_b32_e32 v25, 20, v25
	v_and_b32_e32 v22, 0x80000000, v22
	v_lshl_add_u32 v24, v24, 23, v54
	v_or3_b32 v22, v22, v24, v25
	v_lshrrev_b32_e32 v54, 16, v22
.LBB844_395:
	s_or_b64 exec, exec, s[10:11]
.LBB844_396:
	s_or_b64 exec, exec, s[8:9]
.LBB844_397:
	s_or_b64 exec, exec, s[2:3]
	s_mov_b32 s3, 0x5040100
	v_perm_b32 v43, v51, v43, s3
	v_perm_b32 v42, v23, v42, s3
	s_load_dword s2, s[4:5], 0x1c
	s_mov_b32 s46, 0xff7fffff
	s_waitcnt lgkmcnt(0)
	v_mfma_f32_16x16x16bf16_1k v[26:29], v[42:43], v[18:19], v[26:29]
	v_perm_b32 v19, v54, v53, s3
	v_perm_b32 v18, v52, v45, s3
	v_mov_b32_e32 v22, s2
	v_mul_f32_e32 v56, s12, v22
	v_pk_mul_f32 v[22:23], v[56:57], v[32:33] op_sel_hi:[0,1]
	v_pk_mul_f32 v[32:33], v[56:57], v[38:39] op_sel_hi:[0,1]
	v_and_b32_e32 v38, 0xc0, v0
	v_mfma_f32_16x16x16bf16_1k v[26:29], v[18:19], v[20:21], v[26:29]
	v_add_u32_e32 v38, s18, v38
	v_lshl_or_b32 v38, v1, 2, v38
	v_or_b32_e32 v39, 1, v38
	v_pk_mul_f32 v[24:25], v[56:57], v[30:31] op_sel_hi:[0,1]
	v_pk_mul_f32 v[30:31], v[56:57], v[40:41] op_sel_hi:[0,1]
	v_subrev_u32_e32 v40, s33, v39
	v_pk_mul_f32 v[34:35], v[56:57], v[34:35] op_sel_hi:[0,1]
	s_nop 3
	v_pk_mul_f32 v[20:21], v[56:57], v[26:27] op_sel_hi:[0,1]
	v_add_u32_e32 v27, 1, v40
	v_pk_mul_f32 v[18:19], v[56:57], v[28:29] op_sel_hi:[0,1]
	v_cvt_f32_i32_e32 v27, v27
	v_add_u32_e32 v29, 3, v40
	v_cvt_f32_i32_e32 v29, v29
	v_cvt_f32_i32_e32 v26, v40
	v_pk_mul_f32 v[36:37], v[56:57], v[36:37] op_sel_hi:[0,1]
	v_fmac_f32_e32 v35, v50, v27
	v_add_u32_e32 v27, 16, v40
	v_fmac_f32_e32 v37, v50, v29
	v_cvt_f32_i32_e32 v27, v27
	v_add_u32_e32 v29, 17, v40
	v_fma_f32 v26, v50, v26, v34
	v_cvt_f32_i32_e32 v29, v29
	v_add_u32_e32 v34, 18, v40
	v_cvt_f32_i32_e32 v34, v34
	v_fma_f32 v41, v50, v27, v32
	v_add_u32_e32 v27, 32, v40
	v_fmac_f32_e32 v33, v50, v29
	v_cvt_f32_i32_e32 v27, v27
	v_add_u32_e32 v29, 33, v40
	v_add_u32_e32 v32, 34, v40
	v_fma_f32 v30, v50, v34, v30
	v_cvt_f32_i32_e32 v29, v29
	v_cvt_f32_i32_e32 v32, v32
	v_add_u32_e32 v34, 35, v40
	v_cvt_f32_i32_e32 v34, v34
	v_fma_f32 v24, v50, v27, v24
	v_add_u32_e32 v27, 48, v40
	v_fmac_f32_e32 v25, v50, v29
	v_fma_f32 v22, v50, v32, v22
	v_cvt_f32_i32_e32 v27, v27
	v_add_u32_e32 v29, 49, v40
	v_add_u32_e32 v32, 50, v40
	v_fmac_f32_e32 v23, v50, v34
	v_cvt_f32_i32_e32 v29, v29
	v_cvt_f32_i32_e32 v32, v32
	v_add_u32_e32 v34, 51, v40
	v_add_u32_e32 v28, 2, v40
	v_cvt_f32_i32_e32 v34, v34
	v_cvt_f32_i32_e32 v28, v28
	v_fma_f32 v20, v50, v27, v20
	v_mov_b32_e32 v27, 0xff7fffff
	v_cmp_gt_i32_e64 s[26:27], s33, v38
	v_cmp_gt_i32_e64 s[28:29], s33, v39
	v_fmac_f32_e32 v21, v50, v29
	v_fma_f32 v18, v50, v32, v18
	v_cndmask_b32_e64 v29, v27, v26, s[26:27]
	v_cndmask_b32_e64 v32, v27, v35, s[28:29]
	v_fmac_f32_e32 v19, v50, v34
	v_max3_f32 v29, v29, s46, v32
	v_or_b32_e32 v32, 2, v38
	v_or_b32_e32 v34, 3, v38
	v_fma_f32 v28, v50, v28, v36
	v_cmp_gt_i32_e64 s[30:31], s33, v32
	v_cmp_gt_i32_e64 s[34:35], s33, v34
	v_add_u32_e32 v36, 19, v40
	v_cndmask_b32_e64 v32, v27, v28, s[30:31]
	v_cndmask_b32_e64 v34, v27, v37, s[34:35]
	v_cvt_f32_i32_e32 v36, v36
	v_max3_f32 v29, v29, v32, v34
	v_or_b32_e32 v32, 16, v38
	v_or_b32_e32 v34, 17, v38
	v_cmp_gt_i32_e64 s[36:37], s33, v32
	v_cmp_gt_i32_e64 s[38:39], s33, v34
	v_cndmask_b32_e64 v32, v27, v41, s[36:37]
	v_cndmask_b32_e64 v34, v27, v33, s[38:39]
	v_max3_f32 v29, v29, v32, v34
	v_or_b32_e32 v32, 18, v38
	v_or_b32_e32 v34, 19, v38
	v_fmac_f32_e32 v31, v50, v36
	v_cmp_gt_i32_e64 s[20:21], s33, v32
	v_cmp_gt_i32_e64 s[22:23], s33, v34
	v_cndmask_b32_e64 v32, v27, v30, s[20:21]
	v_cndmask_b32_e64 v34, v27, v31, s[22:23]
	v_max3_f32 v29, v29, v32, v34
	v_or_b32_e32 v32, 32, v38
	v_or_b32_e32 v34, 33, v38
	v_cmp_gt_i32_e64 s[16:17], s33, v32
	v_cmp_gt_i32_e64 s[18:19], s33, v34
	v_cndmask_b32_e64 v32, v27, v24, s[16:17]
	v_cndmask_b32_e64 v34, v27, v25, s[18:19]
	v_max3_f32 v29, v29, v32, v34
	v_or_b32_e32 v32, 34, v38
	v_or_b32_e32 v34, 35, v38
	v_cmp_gt_i32_e64 s[12:13], s33, v32
	v_cmp_gt_i32_e64 s[14:15], s33, v34
	v_cndmask_b32_e64 v32, v27, v22, s[12:13]
	v_cndmask_b32_e64 v34, v27, v23, s[14:15]
	v_max3_f32 v29, v29, v32, v34
	v_or_b32_e32 v32, 48, v38
	v_or_b32_e32 v34, 49, v38
	v_cmp_gt_i32_e64 s[8:9], s33, v32
	v_cmp_gt_i32_e64 s[10:11], s33, v34
	v_cndmask_b32_e64 v32, v27, v20, s[8:9]
	v_cndmask_b32_e64 v34, v27, v21, s[10:11]
	v_max3_f32 v29, v29, v32, v34
	v_or_b32_e32 v32, 50, v38
	v_or_b32_e32 v34, 51, v38
	v_cmp_gt_i32_e32 vcc, s33, v32
	v_cmp_gt_i32_e64 s[2:3], s33, v34
	v_cndmask_b32_e32 v32, v27, v18, vcc
	v_cndmask_b32_e64 v27, v27, v19, s[2:3]
	v_max3_f32 v27, v29, v32, v27
	v_mbcnt_lo_u32_b32 v29, -1, 0
	v_mbcnt_hi_u32_b32 v29, -1, v29
	v_and_b32_e32 v32, 64, v29
	v_add_u32_e32 v32, 64, v32
	v_xor_b32_e32 v34, 32, v29
	v_cmp_lt_i32_e64 s[40:41], v34, v32
	v_cndmask_b32_e64 v34, v29, v34, s[40:41]
	v_lshlrev_b32_e32 v36, 2, v34
	ds_bpermute_b32 v34, v36, v27
	s_barrier
	s_waitcnt lgkmcnt(0)
	v_max_f32_e32 v34, v34, v34
	v_max_f32_e32 v27, v27, v34
	v_xor_b32_e32 v34, 16, v29
	v_cmp_lt_i32_e64 s[40:41], v34, v32
	v_cndmask_b32_e64 v29, v29, v34, s[40:41]
	v_lshlrev_b32_e32 v38, 2, v29
	ds_bpermute_b32 v29, v38, v27
	s_waitcnt lgkmcnt(0)
	v_max_f32_e32 v29, v29, v29
	v_max_f32_e32 v32, v27, v29
	v_sub_f32_e32 v26, v26, v32
	v_mul_f32_e32 v26, 0x3fb8aa3b, v26
	v_sub_f32_e32 v27, v35, v32
	v_exp_f32_e32 v26, v26
	v_mul_f32_e32 v27, 0x3fb8aa3b, v27
	v_sub_f32_e32 v28, v28, v32
	v_exp_f32_e32 v27, v27
	v_mul_f32_e32 v28, 0x3fb8aa3b, v28
	v_exp_f32_e32 v28, v28
	v_cndmask_b32_e64 v26, 0, v26, s[26:27]
	v_sub_f32_e32 v34, v37, v32
	v_add_f32_e32 v29, 0, v26
	v_cndmask_b32_e64 v27, 0, v27, s[28:29]
	v_mul_f32_e32 v34, 0x3fb8aa3b, v34
	v_exp_f32_e32 v35, v34
	v_add_f32_e32 v29, v29, v27
	v_cndmask_b32_e64 v34, 0, v28, s[30:31]
	v_add_f32_e32 v28, v29, v34
	v_sub_f32_e32 v29, v41, v32
	v_mul_f32_e32 v29, 0x3fb8aa3b, v29
	v_sub_f32_e32 v33, v33, v32
	v_exp_f32_e32 v29, v29
	v_mul_f32_e32 v33, 0x3fb8aa3b, v33
	v_sub_f32_e32 v30, v30, v32
	v_exp_f32_e32 v33, v33
	;; [unrolled: 3-line block ×3, first 2 shown]
	v_mul_f32_e32 v31, 0x3fb8aa3b, v31
	v_sub_f32_e32 v24, v24, v32
	v_cndmask_b32_e64 v35, 0, v35, s[34:35]
	v_exp_f32_e32 v31, v31
	v_mul_f32_e32 v24, 0x3fb8aa3b, v24
	v_sub_f32_e32 v25, v25, v32
	v_add_f32_e32 v37, v28, v35
	v_cndmask_b32_e64 v28, 0, v29, s[36:37]
	v_exp_f32_e32 v24, v24
	v_mul_f32_e32 v25, 0x3fb8aa3b, v25
	v_sub_f32_e32 v22, v22, v32
	v_add_f32_e32 v37, v37, v28
	;; [unrolled: 5-line block ×7, first 2 shown]
	v_cndmask_b32_e64 v22, 0, v22, s[12:13]
	v_exp_f32_e32 v18, v18
	v_mul_f32_e32 v19, 0x3fb8aa3b, v19
	v_add_f32_e32 v33, v33, v22
	v_cndmask_b32_e64 v23, 0, v23, s[14:15]
	v_exp_f32_e32 v19, v19
	v_add_f32_e32 v33, v33, v23
	v_cndmask_b32_e64 v20, 0, v20, s[8:9]
	v_add_f32_e32 v33, v33, v20
	v_cndmask_b32_e64 v21, 0, v21, s[10:11]
	v_add_f32_e32 v33, v33, v21
	v_cndmask_b32_e32 v18, 0, v18, vcc
	v_add_f32_e32 v33, v33, v18
	v_cndmask_b32_e64 v19, 0, v19, s[2:3]
	v_add_f32_e32 v33, v33, v19
	ds_bpermute_b32 v36, v36, v33
	v_cmp_gt_u32_e32 vcc, 16, v44
	s_waitcnt lgkmcnt(0)
	v_add_f32_e32 v36, v33, v36
	ds_bpermute_b32 v37, v38, v36
	v_lshlrev_b32_e32 v33, 2, v48
	s_and_saveexec_b64 s[2:3], vcc
	s_cbranch_execz .LBB844_399
; %bb.398:
	s_waitcnt lgkmcnt(0)
	v_add_f32_e32 v36, v36, v37
	v_lshl_or_b32 v37, v49, 6, v33
	ds_write2st64_b32 v37, v32, v36 offset1:1
.LBB844_399:
	s_or_b64 exec, exec, s[2:3]
	s_waitcnt lgkmcnt(0)
	s_barrier
	ds_read2_b32 v[36:37], v33 offset1:16
	ds_read2_b32 v[38:39], v33 offset0:32 offset1:48
	ds_read2_b32 v[40:41], v33 offset0:64 offset1:80
	s_mul_i32 s12, s45, 15
	s_waitcnt lgkmcnt(2)
	v_max3_f32 v32, v36, s46, v37
	s_waitcnt lgkmcnt(1)
	v_max3_f32 v32, v32, v38, v39
	v_sub_f32_e32 v36, v36, v32
	v_mul_f32_e32 v36, 0x3fb8aa3b, v36
	v_exp_f32_e32 v42, v36
	v_sub_f32_e32 v36, v37, v32
	v_mul_f32_e32 v36, 0x3fb8aa3b, v36
	v_exp_f32_e32 v43, v36
	;; [unrolled: 3-line block ×3, first 2 shown]
	ds_read2_b32 v[36:37], v33 offset0:96 offset1:112
	v_sub_f32_e32 v33, v39, v32
	v_mul_f32_e32 v33, 0x3fb8aa3b, v33
	v_exp_f32_e32 v39, v33
	s_waitcnt lgkmcnt(1)
	v_fma_f32 v33, v42, v40, 0
	v_fmac_f32_e32 v33, v43, v41
	s_waitcnt lgkmcnt(0)
	v_fmac_f32_e32 v33, v38, v36
	v_fmac_f32_e32 v33, v39, v37
	v_add_f32_e32 v36, 0x358637bd, v33
	v_div_scale_f32 v37, s[2:3], v36, v36, 1.0
	v_rcp_f32_e32 v40, v37
	s_movk_i32 s2, 0x7fff
	s_mov_b32 s3, 0x7060302
	v_fma_f32 v41, -v37, v40, 1.0
	v_fmac_f32_e32 v40, v41, v40
	v_div_scale_f32 v41, vcc, 1.0, v36, 1.0
	v_mul_f32_e32 v44, v41, v40
	v_fma_f32 v45, -v37, v44, v41
	v_fmac_f32_e32 v44, v45, v40
	v_fma_f32 v37, -v37, v44, v41
	v_div_fmas_f32 v37, v37, v40, v44
	v_cmp_eq_u32_e32 vcc, 1, v49
	v_div_fixup_f32 v36, v37, v36, 1.0
	v_cndmask_b32_e32 v37, v42, v43, vcc
	v_cmp_eq_u32_e32 vcc, 2, v49
	v_cndmask_b32_e32 v37, v37, v38, vcc
	v_cmp_eq_u32_e32 vcc, 3, v49
	v_cndmask_b32_e32 v37, v37, v39, vcc
	v_mul_f32_e32 v36, v37, v36
	v_pk_mul_f32 v[26:27], v[36:37], v[26:27] op_sel_hi:[0,1]
	v_pk_mul_f32 v[34:35], v[36:37], v[34:35] op_sel_hi:[0,1]
	v_bfe_u32 v37, v27, 16, 1
	v_bfe_u32 v38, v26, 16, 1
	v_add3_u32 v26, v26, v38, s2
	v_add3_u32 v27, v27, v37, s2
	v_perm_b32 v38, v27, v26, s3
	v_bfe_u32 v26, v35, 16, 1
	v_bfe_u32 v27, v34, 16, 1
	v_add3_u32 v27, v34, v27, s2
	v_add3_u32 v26, v35, v26, s2
	v_perm_b32 v39, v26, v27, s3
	v_lshlrev_b32_e32 v26, 3, v1
	v_lshlrev_b32_e32 v27, 5, v48
	;; [unrolled: 1-line block ×3, first 2 shown]
	v_pk_mul_f32 v[28:29], v[36:37], v[28:29] op_sel_hi:[0,1]
	v_or3_b32 v26, v34, v27, v26
	v_bfe_u32 v34, v29, 16, 1
	v_bfe_u32 v35, v28, 16, 1
	v_pk_mul_f32 v[30:31], v[36:37], v[30:31] op_sel_hi:[0,1]
	v_add3_u32 v28, v28, v35, s2
	v_add3_u32 v29, v29, v34, s2
	v_perm_b32 v28, v29, v28, s3
	v_bfe_u32 v29, v31, 16, 1
	v_bfe_u32 v34, v30, 16, 1
	v_add3_u32 v30, v30, v34, s2
	v_add3_u32 v29, v31, v29, s2
	v_perm_b32 v29, v29, v30, s3
	v_pk_mul_f32 v[24:25], v[36:37], v[24:25] op_sel_hi:[0,1]
	s_barrier
	ds_write2st64_b64 v26, v[38:39], v[28:29] offset1:1
	v_bfe_u32 v28, v25, 16, 1
	v_bfe_u32 v29, v24, 16, 1
	v_pk_mul_f32 v[22:23], v[36:37], v[22:23] op_sel_hi:[0,1]
	v_add3_u32 v24, v24, v29, s2
	v_add3_u32 v25, v25, v28, s2
	v_perm_b32 v24, v25, v24, s3
	v_bfe_u32 v25, v23, 16, 1
	v_bfe_u32 v28, v22, 16, 1
	v_add3_u32 v22, v22, v28, s2
	v_add3_u32 v23, v23, v25, s2
	v_pk_mul_f32 v[20:21], v[36:37], v[20:21] op_sel_hi:[0,1]
	v_perm_b32 v25, v23, v22, s3
	v_bfe_u32 v22, v21, 16, 1
	v_bfe_u32 v23, v20, 16, 1
	v_pk_mul_f32 v[18:19], v[36:37], v[18:19] op_sel_hi:[0,1]
	v_add3_u32 v20, v20, v23, s2
	v_add3_u32 v21, v21, v22, s2
	v_perm_b32 v20, v21, v20, s3
	v_bfe_u32 v21, v19, 16, 1
	v_bfe_u32 v22, v18, 16, 1
	v_add3_u32 v18, v18, v22, s2
	v_add3_u32 v19, v19, v21, s2
	v_perm_b32 v21, v19, v18, s3
	v_cmp_gt_u32_e32 vcc, 15, v0
	ds_write2st64_b64 v26, v[24:25], v[20:21] offset0:2 offset1:3
	s_and_saveexec_b64 s[2:3], vcc
	s_cbranch_execz .LBB844_401
; %bb.400:
	v_add_co_u32_e32 v20, vcc, s25, v48
	v_addc_co_u32_e64 v21, s[14:15], 0, 0, vcc
	v_mov_b32_e32 v18, s12
	v_mov_b32_e32 v19, 0
	v_mad_u64_u32 v[20:21], s[14:15], s6, v18, v[20:21]
	v_mov_b32_e32 v18, s24
	s_load_dwordx4 s[8:11], s[4:5], 0x58
	s_mul_i32 s7, s7, s12
	v_mad_u64_u32 v[18:19], s[14:15], v20, s44, v[18:19]
	v_add_u32_e32 v21, s7, v21
	v_mov_b32_e32 v20, v19
	v_mad_u64_u32 v[20:21], s[14:15], v21, s44, v[20:21]
	v_mov_b32_e32 v19, v20
	v_lshlrev_b64 v[18:19], 2, v[18:19]
	s_waitcnt lgkmcnt(0)
	v_mov_b32_e32 v21, s11
	v_add_co_u32_e32 v20, vcc, s10, v18
	v_addc_co_u32_e32 v21, vcc, v21, v19, vcc
	global_store_dword v[20:21], v32, off
	v_mov_b32_e32 v20, s9
	v_add_co_u32_e32 v18, vcc, s8, v18
	v_addc_co_u32_e32 v19, vcc, v20, v19, vcc
	global_store_dword v[18:19], v33, off
.LBB844_401:
	s_or_b64 exec, exec, s[2:3]
	v_mov_b32_e32 v19, 0
	s_waitcnt vmcnt(3)
	v_cmp_ne_u16_sdwa s[8:9], v14, v19 src0_sel:BYTE_0 src1_sel:DWORD
	v_mov_b32_e32 v20, 0
	s_waitcnt lgkmcnt(0)
	s_barrier
	s_and_saveexec_b64 s[2:3], s[8:9]
	s_cbranch_execz .LBB844_407
; %bb.402:
	s_movk_i32 s7, 0x80
	v_cmp_ne_u16_sdwa s[10:11], v14, s7 src0_sel:BYTE_0 src1_sel:DWORD
	v_mov_b32_e32 v20, 0xffff8000
	s_and_saveexec_b64 s[8:9], s[10:11]
	s_cbranch_execz .LBB844_406
; %bb.403:
	s_movk_i32 s7, 0x7f
	v_and_b32_e32 v18, 0x7f, v14
	v_cmp_ne_u32_e32 vcc, s7, v18
	v_mov_b32_e32 v20, 0x7f80
	s_and_saveexec_b64 s[10:11], vcc
	s_cbranch_execz .LBB844_405
; %bb.404:
	v_and_b32_e32 v22, 7, v14
	v_ffbh_u32_e32 v20, v22
	v_min_u32_e32 v24, 32, v20
	v_subrev_u32_e32 v20, 28, v24
	v_lshlrev_b64 v[20:21], v20, v[14:15]
	v_lshrrev_b32_e32 v23, 3, v18
	v_sub_u32_e32 v21, 29, v24
	v_and_b32_e32 v20, 7, v20
	v_cmp_gt_u32_e32 vcc, 8, v18
	v_cndmask_b32_e32 v18, v23, v21, vcc
	v_cndmask_b32_e32 v20, v22, v20, vcc
	v_lshlrev_b32_e32 v21, 24, v14
	v_bfrev_b32_e32 v22, 60
	v_lshlrev_b32_e32 v20, 20, v20
	v_and_b32_e32 v21, 0x80000000, v21
	v_lshl_add_u32 v18, v18, 23, v22
	v_or3_b32 v18, v21, v18, v20
	v_lshrrev_b32_e32 v20, 16, v18
.LBB844_405:
	s_or_b64 exec, exec, s[10:11]
.LBB844_406:
	s_or_b64 exec, exec, s[8:9]
.LBB844_407:
	s_or_b64 exec, exec, s[2:3]
	v_lshrrev_b16_e32 v18, 8, v14
	v_cmp_ne_u16_e32 vcc, 0, v18
	s_and_saveexec_b64 s[2:3], vcc
	s_cbranch_execz .LBB844_413
; %bb.408:
	s_movk_i32 s7, 0x80
	v_cmp_ne_u16_e32 vcc, s7, v18
	v_mov_b32_e32 v19, 0xffff8000
	s_and_saveexec_b64 s[8:9], vcc
	s_cbranch_execz .LBB844_412
; %bb.409:
	s_movk_i32 s7, 0x7f
	v_and_b32_e32 v21, 0x7f, v18
	v_cmp_ne_u32_e32 vcc, s7, v21
	v_mov_b32_e32 v19, 0x7f80
	s_and_saveexec_b64 s[10:11], vcc
	s_cbranch_execz .LBB844_411
; %bb.410:
	v_and_b32_e32 v22, 7, v18
	v_ffbh_u32_e32 v19, v22
	v_min_u32_e32 v24, 32, v19
	v_subrev_u32_e32 v19, 28, v24
	v_lshlrev_b64 v[18:19], v19, v[18:19]
	v_lshrrev_b32_e32 v23, 3, v21
	v_sub_u32_e32 v19, 29, v24
	v_and_b32_e32 v18, 7, v18
	v_cmp_gt_u32_e32 vcc, 8, v21
	v_cndmask_b32_e32 v19, v23, v19, vcc
	v_cndmask_b32_e32 v18, v22, v18, vcc
	v_lshlrev_b32_e32 v21, 16, v14
	v_bfrev_b32_e32 v22, 60
	v_lshlrev_b32_e32 v18, 20, v18
	v_and_b32_e32 v21, 0x80000000, v21
	v_lshl_add_u32 v19, v19, 23, v22
	v_or3_b32 v18, v21, v19, v18
	v_lshrrev_b32_e32 v19, 16, v18
.LBB844_411:
	s_or_b64 exec, exec, s[10:11]
.LBB844_412:
	s_or_b64 exec, exec, s[8:9]
.LBB844_413:
	s_or_b64 exec, exec, s[2:3]
	s_movk_i32 s2, 0xff
	v_and_b32_sdwa v23, v14, s2 dst_sel:DWORD dst_unused:UNUSED_PAD src0_sel:WORD_1 src1_sel:DWORD
	v_lshrrev_b32_e32 v18, 16, v14
	v_cmp_ne_u16_e32 vcc, 0, v23
	v_mov_b32_e32 v21, 0
	v_mov_b32_e32 v22, 0
	s_and_saveexec_b64 s[2:3], vcc
	s_cbranch_execz .LBB844_419
; %bb.414:
	s_movk_i32 s7, 0x80
	v_cmp_ne_u16_e32 vcc, s7, v23
	v_mov_b32_e32 v22, 0xffff8000
	s_and_saveexec_b64 s[8:9], vcc
	s_cbranch_execz .LBB844_418
; %bb.415:
	v_bfe_u32 v23, v14, 16, 7
	s_movk_i32 s7, 0x7f
	v_cmp_ne_u32_e32 vcc, s7, v23
	v_mov_b32_e32 v22, 0x7f80
	s_and_saveexec_b64 s[10:11], vcc
	s_cbranch_execz .LBB844_417
; %bb.416:
	v_and_b32_e32 v22, 7, v18
	v_ffbh_u32_e32 v24, v22
	v_min_u32_e32 v29, 32, v24
	v_subrev_u32_e32 v24, 28, v29
	v_lshlrev_b64 v[24:25], v24, v[18:19]
	v_lshrrev_b32_e32 v28, 3, v23
	v_sub_u32_e32 v18, 29, v29
	v_and_b32_e32 v24, 7, v24
	v_cmp_gt_u32_e32 vcc, 8, v23
	v_mov_b32_e32 v23, 24
	v_cndmask_b32_e32 v18, v28, v18, vcc
	v_cndmask_b32_e32 v22, v22, v24, vcc
	v_lshlrev_b32_sdwa v23, v23, v14 dst_sel:DWORD dst_unused:UNUSED_PAD src0_sel:DWORD src1_sel:WORD_1
	v_bfrev_b32_e32 v24, 60
	v_lshlrev_b32_e32 v22, 20, v22
	v_and_b32_e32 v23, 0x80000000, v23
	v_lshl_add_u32 v18, v18, 23, v24
	v_or3_b32 v18, v23, v18, v22
	v_lshrrev_b32_e32 v22, 16, v18
.LBB844_417:
	s_or_b64 exec, exec, s[10:11]
.LBB844_418:
	s_or_b64 exec, exec, s[8:9]
.LBB844_419:
	s_or_b64 exec, exec, s[2:3]
	s_mov_b32 s2, 0xffffff
	v_cmp_lt_u32_e32 vcc, s2, v14
	s_and_saveexec_b64 s[2:3], vcc
	s_cbranch_execz .LBB844_425
; %bb.420:
	v_lshrrev_b32_e32 v18, 24, v14
	s_movk_i32 s7, 0x80
	v_cmp_ne_u32_e32 vcc, s7, v18
	v_mov_b32_e32 v21, 0xffff8000
	s_and_saveexec_b64 s[8:9], vcc
	s_cbranch_execz .LBB844_424
; %bb.421:
	v_bfe_u32 v14, v14, 24, 7
	s_movk_i32 s7, 0x7f
	v_cmp_ne_u32_e32 vcc, s7, v14
	v_mov_b32_e32 v21, 0x7f80
	s_and_saveexec_b64 s[10:11], vcc
	s_cbranch_execz .LBB844_423
; %bb.422:
	v_and_b32_e32 v21, 7, v18
	v_ffbh_u32_e32 v24, v21
	v_min_u32_e32 v28, 32, v24
	v_subrev_u32_e32 v24, 28, v28
	v_lshlrev_b64 v[24:25], v24, v[18:19]
	v_lshrrev_b32_e32 v23, 3, v14
	v_sub_u32_e32 v25, 29, v28
	v_and_b32_e32 v24, 7, v24
	v_cmp_gt_u32_e32 vcc, 8, v14
	v_cndmask_b32_e32 v14, v23, v25, vcc
	v_cndmask_b32_e32 v21, v21, v24, vcc
	v_lshlrev_b32_e32 v18, 24, v18
	v_bfrev_b32_e32 v23, 60
	v_lshlrev_b32_e32 v21, 20, v21
	v_and_b32_e32 v18, 0x80000000, v18
	v_lshl_add_u32 v14, v14, 23, v23
	v_or3_b32 v14, v18, v14, v21
	v_lshrrev_b32_e32 v21, 16, v14
.LBB844_423:
	s_or_b64 exec, exec, s[10:11]
.LBB844_424:
	s_or_b64 exec, exec, s[8:9]
.LBB844_425:
	s_or_b64 exec, exec, s[2:3]
	v_mov_b32_e32 v18, 0
	v_cmp_ne_u16_sdwa s[8:9], v15, v18 src0_sel:BYTE_0 src1_sel:DWORD
	v_mov_b32_e32 v23, 0
	s_and_saveexec_b64 s[2:3], s[8:9]
	s_cbranch_execz .LBB844_431
; %bb.426:
	s_movk_i32 s7, 0x80
	v_cmp_ne_u16_sdwa s[10:11], v15, s7 src0_sel:BYTE_0 src1_sel:DWORD
	v_mov_b32_e32 v23, 0xffff8000
	s_and_saveexec_b64 s[8:9], s[10:11]
	s_cbranch_execz .LBB844_430
; %bb.427:
	s_movk_i32 s7, 0x7f
	v_and_b32_e32 v14, 0x7f, v15
	v_cmp_ne_u32_e32 vcc, s7, v14
	v_mov_b32_e32 v23, 0x7f80
	s_and_saveexec_b64 s[10:11], vcc
	s_cbranch_execz .LBB844_429
; %bb.428:
	v_and_b32_e32 v23, 7, v15
	v_ffbh_u32_e32 v25, v23
	v_min_u32_e32 v29, 32, v25
	v_mov_b32_e32 v24, v15
	v_subrev_u32_e32 v25, 28, v29
	v_lshlrev_b64 v[24:25], v25, v[24:25]
	v_lshrrev_b32_e32 v28, 3, v14
	v_sub_u32_e32 v25, 29, v29
	v_and_b32_e32 v24, 7, v24
	v_cmp_gt_u32_e32 vcc, 8, v14
	v_cndmask_b32_e32 v14, v28, v25, vcc
	v_cndmask_b32_e32 v23, v23, v24, vcc
	v_lshlrev_b32_e32 v24, 24, v15
	v_bfrev_b32_e32 v25, 60
	v_lshlrev_b32_e32 v23, 20, v23
	v_and_b32_e32 v24, 0x80000000, v24
	v_lshl_add_u32 v14, v14, 23, v25
	v_or3_b32 v14, v24, v14, v23
	v_lshrrev_b32_e32 v23, 16, v14
.LBB844_429:
	s_or_b64 exec, exec, s[10:11]
.LBB844_430:
	s_or_b64 exec, exec, s[8:9]
.LBB844_431:
	s_or_b64 exec, exec, s[2:3]
	v_lshrrev_b16_e32 v14, 8, v15
	v_cmp_ne_u16_e32 vcc, 0, v14
	s_and_saveexec_b64 s[2:3], vcc
	s_cbranch_execz .LBB844_437
; %bb.432:
	s_movk_i32 s7, 0x80
	v_cmp_ne_u16_e32 vcc, s7, v14
	v_mov_b32_e32 v18, 0xffff8000
	s_and_saveexec_b64 s[8:9], vcc
	s_cbranch_execz .LBB844_436
; %bb.433:
	s_movk_i32 s7, 0x7f
	v_and_b32_e32 v24, 0x7f, v14
	v_cmp_ne_u32_e32 vcc, s7, v24
	v_mov_b32_e32 v18, 0x7f80
	s_and_saveexec_b64 s[10:11], vcc
	s_cbranch_execz .LBB844_435
; %bb.434:
	v_and_b32_e32 v18, 7, v14
	v_ffbh_u32_e32 v28, v18
	v_min_u32_e32 v30, 32, v28
	v_subrev_u32_e32 v28, 28, v30
	v_lshlrev_b64 v[28:29], v28, v[14:15]
	v_lshrrev_b32_e32 v25, 3, v24
	v_sub_u32_e32 v14, 29, v30
	v_and_b32_e32 v28, 7, v28
	v_cmp_gt_u32_e32 vcc, 8, v24
	v_cndmask_b32_e32 v14, v25, v14, vcc
	v_cndmask_b32_e32 v18, v18, v28, vcc
	v_lshlrev_b32_e32 v24, 16, v15
	v_bfrev_b32_e32 v25, 60
	v_lshlrev_b32_e32 v18, 20, v18
	v_and_b32_e32 v24, 0x80000000, v24
	v_lshl_add_u32 v14, v14, 23, v25
	v_or3_b32 v14, v24, v14, v18
	v_lshrrev_b32_e32 v18, 16, v14
.LBB844_435:
	s_or_b64 exec, exec, s[10:11]
.LBB844_436:
	s_or_b64 exec, exec, s[8:9]
.LBB844_437:
	s_or_b64 exec, exec, s[2:3]
	s_movk_i32 s2, 0xff
	v_and_b32_sdwa v28, v15, s2 dst_sel:DWORD dst_unused:UNUSED_PAD src0_sel:WORD_1 src1_sel:DWORD
	v_lshrrev_b32_e32 v14, 16, v15
	v_cmp_ne_u16_e32 vcc, 0, v28
	v_mov_b32_e32 v24, 0
	v_mov_b32_e32 v25, 0
	s_and_saveexec_b64 s[2:3], vcc
	s_cbranch_execz .LBB844_443
; %bb.438:
	s_movk_i32 s7, 0x80
	v_cmp_ne_u16_e32 vcc, s7, v28
	v_mov_b32_e32 v25, 0xffff8000
	s_and_saveexec_b64 s[8:9], vcc
	s_cbranch_execz .LBB844_442
; %bb.439:
	v_bfe_u32 v28, v15, 16, 7
	s_movk_i32 s7, 0x7f
	v_cmp_ne_u32_e32 vcc, s7, v28
	v_mov_b32_e32 v25, 0x7f80
	s_and_saveexec_b64 s[10:11], vcc
	s_cbranch_execz .LBB844_441
; %bb.440:
	v_and_b32_e32 v25, 7, v14
	v_ffbh_u32_e32 v30, v25
	v_min_u32_e32 v32, 32, v30
	v_subrev_u32_e32 v30, 28, v32
	v_lshlrev_b64 v[30:31], v30, v[14:15]
	v_lshrrev_b32_e32 v29, 3, v28
	v_sub_u32_e32 v14, 29, v32
	v_and_b32_e32 v30, 7, v30
	v_cmp_gt_u32_e32 vcc, 8, v28
	v_mov_b32_e32 v28, 24
	v_cndmask_b32_e32 v14, v29, v14, vcc
	v_cndmask_b32_e32 v25, v25, v30, vcc
	v_lshlrev_b32_sdwa v28, v28, v15 dst_sel:DWORD dst_unused:UNUSED_PAD src0_sel:DWORD src1_sel:WORD_1
	v_bfrev_b32_e32 v29, 60
	v_lshlrev_b32_e32 v25, 20, v25
	v_and_b32_e32 v28, 0x80000000, v28
	v_lshl_add_u32 v14, v14, 23, v29
	v_or3_b32 v14, v28, v14, v25
	v_lshrrev_b32_e32 v25, 16, v14
.LBB844_441:
	s_or_b64 exec, exec, s[10:11]
.LBB844_442:
	s_or_b64 exec, exec, s[8:9]
.LBB844_443:
	s_or_b64 exec, exec, s[2:3]
	s_mov_b32 s2, 0xffffff
	v_cmp_lt_u32_e32 vcc, s2, v15
	s_and_saveexec_b64 s[2:3], vcc
	s_cbranch_execz .LBB844_449
; %bb.444:
	v_lshrrev_b32_e32 v14, 24, v15
	s_movk_i32 s7, 0x80
	v_cmp_ne_u32_e32 vcc, s7, v14
	v_mov_b32_e32 v24, 0xffff8000
	s_and_saveexec_b64 s[8:9], vcc
	s_cbranch_execz .LBB844_448
; %bb.445:
	v_bfe_u32 v15, v15, 24, 7
	s_movk_i32 s7, 0x7f
	v_cmp_ne_u32_e32 vcc, s7, v15
	v_mov_b32_e32 v24, 0x7f80
	s_and_saveexec_b64 s[10:11], vcc
	s_cbranch_execz .LBB844_447
; %bb.446:
	v_and_b32_e32 v24, 7, v14
	v_ffbh_u32_e32 v28, v24
	v_min_u32_e32 v31, 32, v28
	v_subrev_u32_e32 v28, 28, v31
	v_lshlrev_b64 v[28:29], v28, v[14:15]
	v_lshrrev_b32_e32 v30, 3, v15
	v_sub_u32_e32 v29, 29, v31
	v_and_b32_e32 v28, 7, v28
	v_cmp_gt_u32_e32 vcc, 8, v15
	v_cndmask_b32_e32 v15, v30, v29, vcc
	v_cndmask_b32_e32 v24, v24, v28, vcc
	v_lshlrev_b32_e32 v14, 24, v14
	v_bfrev_b32_e32 v28, 60
	v_lshlrev_b32_e32 v24, 20, v24
	v_and_b32_e32 v14, 0x80000000, v14
	v_lshl_add_u32 v15, v15, 23, v28
	v_or3_b32 v14, v14, v15, v24
	v_lshrrev_b32_e32 v24, 16, v14
.LBB844_447:
	s_or_b64 exec, exec, s[10:11]
.LBB844_448:
	s_or_b64 exec, exec, s[8:9]
.LBB844_449:
	s_or_b64 exec, exec, s[2:3]
	s_mov_b32 s2, 0x5040100
	v_perm_b32 v15, v21, v22, s2
	v_lshl_or_b32 v22, v1, 9, v27
	v_perm_b32 v14, v19, v20, s2
	ds_read_b128 v[28:31], v22
	v_perm_b32 v19, v24, v25, s2
	v_perm_b32 v18, v18, v23, s2
	s_waitcnt lgkmcnt(0)
	v_mfma_f32_16x16x16bf16_1k v[32:35], v[14:15], v[28:29], 0
	v_mov_b32_e32 v15, 0
	v_cmp_ne_u16_sdwa s[8:9], v16, v15 src0_sel:BYTE_0 src1_sel:DWORD
	v_mov_b32_e32 v23, 0
	v_mfma_f32_16x16x16bf16_1k v[18:21], v[18:19], v[30:31], v[32:35]
	s_and_saveexec_b64 s[2:3], s[8:9]
	s_cbranch_execz .LBB844_455
; %bb.450:
	s_movk_i32 s7, 0x80
	v_cmp_ne_u16_sdwa s[10:11], v16, s7 src0_sel:BYTE_0 src1_sel:DWORD
	v_mov_b32_e32 v23, 0xffff8000
	s_and_saveexec_b64 s[8:9], s[10:11]
	s_cbranch_execz .LBB844_454
; %bb.451:
	s_movk_i32 s7, 0x7f
	v_and_b32_e32 v14, 0x7f, v16
	v_cmp_ne_u32_e32 vcc, s7, v14
	v_mov_b32_e32 v23, 0x7f80
	s_and_saveexec_b64 s[10:11], vcc
	s_cbranch_execz .LBB844_453
; %bb.452:
	v_and_b32_e32 v23, 7, v16
	v_ffbh_u32_e32 v24, v23
	v_min_u32_e32 v28, 32, v24
	v_subrev_u32_e32 v24, 28, v28
	v_lshlrev_b64 v[24:25], v24, v[16:17]
	v_lshrrev_b32_e32 v27, 3, v14
	v_sub_u32_e32 v25, 29, v28
	v_and_b32_e32 v24, 7, v24
	v_cmp_gt_u32_e32 vcc, 8, v14
	v_cndmask_b32_e32 v14, v27, v25, vcc
	v_cndmask_b32_e32 v23, v23, v24, vcc
	v_lshlrev_b32_e32 v24, 24, v16
	v_bfrev_b32_e32 v25, 60
	v_lshlrev_b32_e32 v23, 20, v23
	v_and_b32_e32 v24, 0x80000000, v24
	v_lshl_add_u32 v14, v14, 23, v25
	v_or3_b32 v14, v24, v14, v23
	v_lshrrev_b32_e32 v23, 16, v14
.LBB844_453:
	s_or_b64 exec, exec, s[10:11]
.LBB844_454:
	s_or_b64 exec, exec, s[8:9]
.LBB844_455:
	s_or_b64 exec, exec, s[2:3]
	v_lshrrev_b16_e32 v14, 8, v16
	v_cmp_ne_u16_e32 vcc, 0, v14
	s_and_saveexec_b64 s[2:3], vcc
	s_cbranch_execz .LBB844_461
; %bb.456:
	s_movk_i32 s7, 0x80
	v_cmp_ne_u16_e32 vcc, s7, v14
	v_mov_b32_e32 v15, 0xffff8000
	s_and_saveexec_b64 s[8:9], vcc
	s_cbranch_execz .LBB844_460
; %bb.457:
	s_movk_i32 s7, 0x7f
	v_and_b32_e32 v24, 0x7f, v14
	v_cmp_ne_u32_e32 vcc, s7, v24
	v_mov_b32_e32 v15, 0x7f80
	s_and_saveexec_b64 s[10:11], vcc
	s_cbranch_execz .LBB844_459
; %bb.458:
	v_and_b32_e32 v25, 7, v14
	v_ffbh_u32_e32 v15, v25
	v_min_u32_e32 v28, 32, v15
	v_subrev_u32_e32 v15, 28, v28
	v_lshlrev_b64 v[14:15], v15, v[14:15]
	v_lshrrev_b32_e32 v27, 3, v24
	v_sub_u32_e32 v15, 29, v28
	v_and_b32_e32 v14, 7, v14
	v_cmp_gt_u32_e32 vcc, 8, v24
	v_cndmask_b32_e32 v15, v27, v15, vcc
	v_cndmask_b32_e32 v14, v25, v14, vcc
	v_lshlrev_b32_e32 v24, 16, v16
	v_bfrev_b32_e32 v25, 60
	v_lshlrev_b32_e32 v14, 20, v14
	v_and_b32_e32 v24, 0x80000000, v24
	v_lshl_add_u32 v15, v15, 23, v25
	v_or3_b32 v14, v24, v15, v14
	v_lshrrev_b32_e32 v15, 16, v14
.LBB844_459:
	s_or_b64 exec, exec, s[10:11]
.LBB844_460:
	s_or_b64 exec, exec, s[8:9]
.LBB844_461:
	s_or_b64 exec, exec, s[2:3]
	s_movk_i32 s2, 0xff
	v_and_b32_sdwa v27, v16, s2 dst_sel:DWORD dst_unused:UNUSED_PAD src0_sel:WORD_1 src1_sel:DWORD
	v_lshrrev_b32_e32 v14, 16, v16
	v_cmp_ne_u16_e32 vcc, 0, v27
	v_mov_b32_e32 v24, 0
	v_mov_b32_e32 v25, 0
	s_and_saveexec_b64 s[2:3], vcc
	s_cbranch_execz .LBB844_467
; %bb.462:
	s_movk_i32 s7, 0x80
	v_cmp_ne_u16_e32 vcc, s7, v27
	v_mov_b32_e32 v25, 0xffff8000
	s_and_saveexec_b64 s[8:9], vcc
	s_cbranch_execz .LBB844_466
; %bb.463:
	v_bfe_u32 v27, v16, 16, 7
	s_movk_i32 s7, 0x7f
	v_cmp_ne_u32_e32 vcc, s7, v27
	v_mov_b32_e32 v25, 0x7f80
	s_and_saveexec_b64 s[10:11], vcc
	s_cbranch_execz .LBB844_465
; %bb.464:
	v_and_b32_e32 v25, 7, v14
	v_ffbh_u32_e32 v28, v25
	v_min_u32_e32 v31, 32, v28
	v_subrev_u32_e32 v28, 28, v31
	v_lshlrev_b64 v[28:29], v28, v[14:15]
	v_lshrrev_b32_e32 v30, 3, v27
	v_sub_u32_e32 v14, 29, v31
	v_and_b32_e32 v28, 7, v28
	v_cmp_gt_u32_e32 vcc, 8, v27
	v_mov_b32_e32 v27, 24
	v_cndmask_b32_e32 v14, v30, v14, vcc
	v_cndmask_b32_e32 v25, v25, v28, vcc
	v_lshlrev_b32_sdwa v27, v27, v16 dst_sel:DWORD dst_unused:UNUSED_PAD src0_sel:DWORD src1_sel:WORD_1
	v_bfrev_b32_e32 v28, 60
	v_lshlrev_b32_e32 v25, 20, v25
	v_and_b32_e32 v27, 0x80000000, v27
	v_lshl_add_u32 v14, v14, 23, v28
	v_or3_b32 v14, v27, v14, v25
	v_lshrrev_b32_e32 v25, 16, v14
.LBB844_465:
	s_or_b64 exec, exec, s[10:11]
.LBB844_466:
	s_or_b64 exec, exec, s[8:9]
.LBB844_467:
	s_or_b64 exec, exec, s[2:3]
	s_mov_b32 s2, 0xffffff
	v_cmp_lt_u32_e32 vcc, s2, v16
	s_and_saveexec_b64 s[2:3], vcc
	s_cbranch_execz .LBB844_473
; %bb.468:
	v_lshrrev_b32_e32 v14, 24, v16
	s_movk_i32 s7, 0x80
	v_cmp_ne_u32_e32 vcc, s7, v14
	v_mov_b32_e32 v24, 0xffff8000
	s_and_saveexec_b64 s[8:9], vcc
	s_cbranch_execz .LBB844_472
; %bb.469:
	v_bfe_u32 v16, v16, 24, 7
	s_movk_i32 s7, 0x7f
	v_cmp_ne_u32_e32 vcc, s7, v16
	v_mov_b32_e32 v24, 0x7f80
	s_and_saveexec_b64 s[10:11], vcc
	s_cbranch_execz .LBB844_471
; %bb.470:
	v_and_b32_e32 v24, 7, v14
	v_ffbh_u32_e32 v28, v24
	v_min_u32_e32 v30, 32, v28
	v_subrev_u32_e32 v28, 28, v30
	v_lshlrev_b64 v[28:29], v28, v[14:15]
	v_lshrrev_b32_e32 v27, 3, v16
	v_sub_u32_e32 v29, 29, v30
	v_and_b32_e32 v28, 7, v28
	v_cmp_gt_u32_e32 vcc, 8, v16
	v_cndmask_b32_e32 v16, v27, v29, vcc
	v_cndmask_b32_e32 v24, v24, v28, vcc
	v_lshlrev_b32_e32 v14, 24, v14
	v_bfrev_b32_e32 v27, 60
	v_lshlrev_b32_e32 v24, 20, v24
	v_and_b32_e32 v14, 0x80000000, v14
	v_lshl_add_u32 v16, v16, 23, v27
	v_or3_b32 v14, v14, v16, v24
	v_lshrrev_b32_e32 v24, 16, v14
.LBB844_471:
	s_or_b64 exec, exec, s[10:11]
.LBB844_472:
	s_or_b64 exec, exec, s[8:9]
.LBB844_473:
	s_or_b64 exec, exec, s[2:3]
	v_mov_b32_e32 v16, 0
	v_cmp_ne_u16_sdwa s[8:9], v17, v16 src0_sel:BYTE_0 src1_sel:DWORD
	v_mov_b32_e32 v27, 0
	s_and_saveexec_b64 s[2:3], s[8:9]
	s_cbranch_execz .LBB844_479
; %bb.474:
	s_movk_i32 s7, 0x80
	v_cmp_ne_u16_sdwa s[10:11], v17, s7 src0_sel:BYTE_0 src1_sel:DWORD
	v_mov_b32_e32 v27, 0xffff8000
	s_and_saveexec_b64 s[8:9], s[10:11]
	s_cbranch_execz .LBB844_478
; %bb.475:
	s_movk_i32 s7, 0x7f
	v_and_b32_e32 v14, 0x7f, v17
	v_cmp_ne_u32_e32 vcc, s7, v14
	v_mov_b32_e32 v27, 0x7f80
	s_and_saveexec_b64 s[10:11], vcc
	s_cbranch_execz .LBB844_477
; %bb.476:
	v_and_b32_e32 v27, 7, v17
	v_ffbh_u32_e32 v29, v27
	v_min_u32_e32 v31, 32, v29
	v_mov_b32_e32 v28, v17
	v_subrev_u32_e32 v29, 28, v31
	v_lshlrev_b64 v[28:29], v29, v[28:29]
	v_lshrrev_b32_e32 v30, 3, v14
	v_sub_u32_e32 v29, 29, v31
	v_and_b32_e32 v28, 7, v28
	v_cmp_gt_u32_e32 vcc, 8, v14
	v_cndmask_b32_e32 v14, v30, v29, vcc
	v_cndmask_b32_e32 v27, v27, v28, vcc
	v_lshlrev_b32_e32 v28, 24, v17
	v_bfrev_b32_e32 v29, 60
	v_lshlrev_b32_e32 v27, 20, v27
	v_and_b32_e32 v28, 0x80000000, v28
	v_lshl_add_u32 v14, v14, 23, v29
	v_or3_b32 v14, v28, v14, v27
	v_lshrrev_b32_e32 v27, 16, v14
.LBB844_477:
	s_or_b64 exec, exec, s[10:11]
.LBB844_478:
	s_or_b64 exec, exec, s[8:9]
.LBB844_479:
	s_or_b64 exec, exec, s[2:3]
	v_lshrrev_b16_e32 v14, 8, v17
	v_cmp_ne_u16_e32 vcc, 0, v14
	s_and_saveexec_b64 s[2:3], vcc
	s_cbranch_execz .LBB844_485
; %bb.480:
	s_movk_i32 s7, 0x80
	v_cmp_ne_u16_e32 vcc, s7, v14
	v_mov_b32_e32 v16, 0xffff8000
	s_and_saveexec_b64 s[8:9], vcc
	s_cbranch_execz .LBB844_484
; %bb.481:
	s_movk_i32 s7, 0x7f
	v_and_b32_e32 v28, 0x7f, v14
	v_cmp_ne_u32_e32 vcc, s7, v28
	v_mov_b32_e32 v16, 0x7f80
	s_and_saveexec_b64 s[10:11], vcc
	s_cbranch_execz .LBB844_483
; %bb.482:
	v_and_b32_e32 v16, 7, v14
	v_ffbh_u32_e32 v30, v16
	v_min_u32_e32 v32, 32, v30
	v_subrev_u32_e32 v30, 28, v32
	v_lshlrev_b64 v[30:31], v30, v[14:15]
	v_lshrrev_b32_e32 v29, 3, v28
	v_sub_u32_e32 v14, 29, v32
	v_and_b32_e32 v30, 7, v30
	v_cmp_gt_u32_e32 vcc, 8, v28
	v_cndmask_b32_e32 v14, v29, v14, vcc
	v_cndmask_b32_e32 v16, v16, v30, vcc
	v_lshlrev_b32_e32 v28, 16, v17
	v_bfrev_b32_e32 v29, 60
	v_lshlrev_b32_e32 v16, 20, v16
	v_and_b32_e32 v28, 0x80000000, v28
	v_lshl_add_u32 v14, v14, 23, v29
	v_or3_b32 v14, v28, v14, v16
	v_lshrrev_b32_e32 v16, 16, v14
.LBB844_483:
	s_or_b64 exec, exec, s[10:11]
.LBB844_484:
	s_or_b64 exec, exec, s[8:9]
.LBB844_485:
	s_or_b64 exec, exec, s[2:3]
	s_movk_i32 s2, 0xff
	v_and_b32_sdwa v30, v17, s2 dst_sel:DWORD dst_unused:UNUSED_PAD src0_sel:WORD_1 src1_sel:DWORD
	v_lshrrev_b32_e32 v14, 16, v17
	v_cmp_ne_u16_e32 vcc, 0, v30
	v_mov_b32_e32 v28, 0
	v_mov_b32_e32 v29, 0
	s_and_saveexec_b64 s[2:3], vcc
	s_cbranch_execz .LBB844_491
; %bb.486:
	s_movk_i32 s7, 0x80
	v_cmp_ne_u16_e32 vcc, s7, v30
	v_mov_b32_e32 v29, 0xffff8000
	s_and_saveexec_b64 s[8:9], vcc
	s_cbranch_execz .LBB844_490
; %bb.487:
	v_bfe_u32 v30, v17, 16, 7
	s_movk_i32 s7, 0x7f
	v_cmp_ne_u32_e32 vcc, s7, v30
	v_mov_b32_e32 v29, 0x7f80
	s_and_saveexec_b64 s[10:11], vcc
	s_cbranch_execz .LBB844_489
; %bb.488:
	v_and_b32_e32 v29, 7, v14
	v_ffbh_u32_e32 v32, v29
	v_min_u32_e32 v34, 32, v32
	v_subrev_u32_e32 v32, 28, v34
	v_lshlrev_b64 v[32:33], v32, v[14:15]
	v_lshrrev_b32_e32 v31, 3, v30
	v_sub_u32_e32 v14, 29, v34
	v_and_b32_e32 v32, 7, v32
	v_cmp_gt_u32_e32 vcc, 8, v30
	v_mov_b32_e32 v30, 24
	v_cndmask_b32_e32 v14, v31, v14, vcc
	v_cndmask_b32_e32 v29, v29, v32, vcc
	v_lshlrev_b32_sdwa v30, v30, v17 dst_sel:DWORD dst_unused:UNUSED_PAD src0_sel:DWORD src1_sel:WORD_1
	v_bfrev_b32_e32 v31, 60
	v_lshlrev_b32_e32 v29, 20, v29
	v_and_b32_e32 v30, 0x80000000, v30
	v_lshl_add_u32 v14, v14, 23, v31
	v_or3_b32 v14, v30, v14, v29
	v_lshrrev_b32_e32 v29, 16, v14
.LBB844_489:
	s_or_b64 exec, exec, s[10:11]
.LBB844_490:
	s_or_b64 exec, exec, s[8:9]
.LBB844_491:
	s_or_b64 exec, exec, s[2:3]
	s_mov_b32 s2, 0xffffff
	v_cmp_lt_u32_e32 vcc, s2, v17
	s_and_saveexec_b64 s[2:3], vcc
	s_cbranch_execz .LBB844_497
; %bb.492:
	v_lshrrev_b32_e32 v14, 24, v17
	s_movk_i32 s7, 0x80
	v_cmp_ne_u32_e32 vcc, s7, v14
	v_mov_b32_e32 v28, 0xffff8000
	s_and_saveexec_b64 s[8:9], vcc
	s_cbranch_execz .LBB844_496
; %bb.493:
	v_bfe_u32 v17, v17, 24, 7
	s_movk_i32 s7, 0x7f
	v_cmp_ne_u32_e32 vcc, s7, v17
	v_mov_b32_e32 v28, 0x7f80
	s_and_saveexec_b64 s[10:11], vcc
	s_cbranch_execz .LBB844_495
; %bb.494:
	v_and_b32_e32 v28, 7, v14
	v_ffbh_u32_e32 v30, v28
	v_min_u32_e32 v33, 32, v30
	v_subrev_u32_e32 v30, 28, v33
	v_lshlrev_b64 v[30:31], v30, v[14:15]
	v_lshrrev_b32_e32 v32, 3, v17
	v_sub_u32_e32 v31, 29, v33
	v_and_b32_e32 v30, 7, v30
	v_cmp_gt_u32_e32 vcc, 8, v17
	v_cndmask_b32_e32 v17, v32, v31, vcc
	v_cndmask_b32_e32 v28, v28, v30, vcc
	v_lshlrev_b32_e32 v14, 24, v14
	v_bfrev_b32_e32 v30, 60
	v_lshlrev_b32_e32 v28, 20, v28
	v_and_b32_e32 v14, 0x80000000, v14
	v_lshl_add_u32 v17, v17, 23, v30
	v_or3_b32 v14, v14, v17, v28
	v_lshrrev_b32_e32 v28, 16, v14
.LBB844_495:
	s_or_b64 exec, exec, s[10:11]
.LBB844_496:
	s_or_b64 exec, exec, s[8:9]
.LBB844_497:
	s_or_b64 exec, exec, s[2:3]
	s_mov_b32 s2, 0x5040100
	v_perm_b32 v25, v24, v25, s2
	v_perm_b32 v24, v15, v23, s2
	ds_read_b128 v[30:33], v22 offset:16
	v_perm_b32 v15, v28, v29, s2
	v_perm_b32 v14, v16, v27, s2
	s_waitcnt lgkmcnt(0)
	v_mfma_f32_16x16x16bf16_1k v[34:37], v[24:25], v[30:31], v[18:21]
	s_nop 6
	v_mov_b32_e32 v19, 0
	s_waitcnt vmcnt(2)
	v_cmp_ne_u16_sdwa s[8:9], v10, v19 src0_sel:BYTE_0 src1_sel:DWORD
	v_mfma_f32_16x16x16bf16_1k v[14:17], v[14:15], v[32:33], v[34:37]
	v_mov_b32_e32 v20, 0
	s_and_saveexec_b64 s[2:3], s[8:9]
	s_cbranch_execz .LBB844_503
; %bb.498:
	s_movk_i32 s7, 0x80
	v_cmp_ne_u16_sdwa s[10:11], v10, s7 src0_sel:BYTE_0 src1_sel:DWORD
	v_mov_b32_e32 v20, 0xffff8000
	s_and_saveexec_b64 s[8:9], s[10:11]
	s_cbranch_execz .LBB844_502
; %bb.499:
	s_movk_i32 s7, 0x7f
	v_and_b32_e32 v18, 0x7f, v10
	v_cmp_ne_u32_e32 vcc, s7, v18
	v_mov_b32_e32 v20, 0x7f80
	s_and_saveexec_b64 s[10:11], vcc
	s_cbranch_execz .LBB844_501
; %bb.500:
	v_and_b32_e32 v23, 7, v10
	v_ffbh_u32_e32 v20, v23
	v_min_u32_e32 v25, 32, v20
	v_subrev_u32_e32 v20, 28, v25
	v_lshlrev_b64 v[20:21], v20, v[10:11]
	v_lshrrev_b32_e32 v24, 3, v18
	v_sub_u32_e32 v21, 29, v25
	v_and_b32_e32 v20, 7, v20
	v_cmp_gt_u32_e32 vcc, 8, v18
	v_cndmask_b32_e32 v18, v24, v21, vcc
	v_cndmask_b32_e32 v20, v23, v20, vcc
	v_lshlrev_b32_e32 v21, 24, v10
	v_bfrev_b32_e32 v23, 60
	v_lshlrev_b32_e32 v20, 20, v20
	v_and_b32_e32 v21, 0x80000000, v21
	v_lshl_add_u32 v18, v18, 23, v23
	v_or3_b32 v18, v21, v18, v20
	v_lshrrev_b32_e32 v20, 16, v18
.LBB844_501:
	s_or_b64 exec, exec, s[10:11]
.LBB844_502:
	s_or_b64 exec, exec, s[8:9]
.LBB844_503:
	s_or_b64 exec, exec, s[2:3]
	v_lshrrev_b16_e32 v18, 8, v10
	v_cmp_ne_u16_e32 vcc, 0, v18
	s_and_saveexec_b64 s[2:3], vcc
	s_cbranch_execz .LBB844_509
; %bb.504:
	s_movk_i32 s7, 0x80
	v_cmp_ne_u16_e32 vcc, s7, v18
	v_mov_b32_e32 v19, 0xffff8000
	s_and_saveexec_b64 s[8:9], vcc
	s_cbranch_execz .LBB844_508
; %bb.505:
	s_movk_i32 s7, 0x7f
	v_and_b32_e32 v21, 0x7f, v18
	v_cmp_ne_u32_e32 vcc, s7, v21
	v_mov_b32_e32 v19, 0x7f80
	s_and_saveexec_b64 s[10:11], vcc
	s_cbranch_execz .LBB844_507
; %bb.506:
	v_and_b32_e32 v23, 7, v18
	v_ffbh_u32_e32 v19, v23
	v_min_u32_e32 v25, 32, v19
	v_subrev_u32_e32 v19, 28, v25
	v_lshlrev_b64 v[18:19], v19, v[18:19]
	v_lshrrev_b32_e32 v24, 3, v21
	v_sub_u32_e32 v19, 29, v25
	v_and_b32_e32 v18, 7, v18
	v_cmp_gt_u32_e32 vcc, 8, v21
	v_cndmask_b32_e32 v19, v24, v19, vcc
	v_cndmask_b32_e32 v18, v23, v18, vcc
	v_lshlrev_b32_e32 v21, 16, v10
	v_bfrev_b32_e32 v23, 60
	v_lshlrev_b32_e32 v18, 20, v18
	v_and_b32_e32 v21, 0x80000000, v21
	v_lshl_add_u32 v19, v19, 23, v23
	v_or3_b32 v18, v21, v19, v18
	v_lshrrev_b32_e32 v19, 16, v18
.LBB844_507:
	s_or_b64 exec, exec, s[10:11]
.LBB844_508:
	s_or_b64 exec, exec, s[8:9]
.LBB844_509:
	s_or_b64 exec, exec, s[2:3]
	s_movk_i32 s2, 0xff
	v_and_b32_sdwa v24, v10, s2 dst_sel:DWORD dst_unused:UNUSED_PAD src0_sel:WORD_1 src1_sel:DWORD
	v_lshrrev_b32_e32 v18, 16, v10
	v_cmp_ne_u16_e32 vcc, 0, v24
	v_mov_b32_e32 v21, 0
	v_mov_b32_e32 v23, 0
	s_and_saveexec_b64 s[2:3], vcc
	s_cbranch_execz .LBB844_515
; %bb.510:
	s_movk_i32 s7, 0x80
	v_cmp_ne_u16_e32 vcc, s7, v24
	v_mov_b32_e32 v23, 0xffff8000
	s_and_saveexec_b64 s[8:9], vcc
	s_cbranch_execz .LBB844_514
; %bb.511:
	v_bfe_u32 v24, v10, 16, 7
	s_movk_i32 s7, 0x7f
	v_cmp_ne_u32_e32 vcc, s7, v24
	v_mov_b32_e32 v23, 0x7f80
	s_and_saveexec_b64 s[10:11], vcc
	s_cbranch_execz .LBB844_513
; %bb.512:
	v_and_b32_e32 v23, 7, v18
	v_ffbh_u32_e32 v27, v23
	v_min_u32_e32 v27, 32, v27
	v_subrev_u32_e32 v28, 28, v27
	v_lshlrev_b64 v[28:29], v28, v[18:19]
	v_lshrrev_b32_e32 v25, 3, v24
	v_sub_u32_e32 v18, 29, v27
	v_and_b32_e32 v27, 7, v28
	v_cmp_gt_u32_e32 vcc, 8, v24
	v_mov_b32_e32 v24, 24
	v_cndmask_b32_e32 v18, v25, v18, vcc
	v_cndmask_b32_e32 v23, v23, v27, vcc
	v_lshlrev_b32_sdwa v24, v24, v10 dst_sel:DWORD dst_unused:UNUSED_PAD src0_sel:DWORD src1_sel:WORD_1
	v_bfrev_b32_e32 v25, 60
	v_lshlrev_b32_e32 v23, 20, v23
	v_and_b32_e32 v24, 0x80000000, v24
	v_lshl_add_u32 v18, v18, 23, v25
	v_or3_b32 v18, v24, v18, v23
	v_lshrrev_b32_e32 v23, 16, v18
.LBB844_513:
	s_or_b64 exec, exec, s[10:11]
.LBB844_514:
	s_or_b64 exec, exec, s[8:9]
.LBB844_515:
	s_or_b64 exec, exec, s[2:3]
	s_mov_b32 s2, 0xffffff
	v_cmp_lt_u32_e32 vcc, s2, v10
	s_and_saveexec_b64 s[2:3], vcc
	s_cbranch_execz .LBB844_521
; %bb.516:
	v_lshrrev_b32_e32 v18, 24, v10
	s_movk_i32 s7, 0x80
	v_cmp_ne_u32_e32 vcc, s7, v18
	v_mov_b32_e32 v21, 0xffff8000
	s_and_saveexec_b64 s[8:9], vcc
	s_cbranch_execz .LBB844_520
; %bb.517:
	v_bfe_u32 v10, v10, 24, 7
	s_movk_i32 s7, 0x7f
	v_cmp_ne_u32_e32 vcc, s7, v10
	v_mov_b32_e32 v21, 0x7f80
	s_and_saveexec_b64 s[10:11], vcc
	s_cbranch_execz .LBB844_519
; %bb.518:
	v_and_b32_e32 v21, 7, v18
	v_ffbh_u32_e32 v24, v21
	v_min_u32_e32 v28, 32, v24
	v_subrev_u32_e32 v24, 28, v28
	v_lshlrev_b64 v[24:25], v24, v[18:19]
	v_lshrrev_b32_e32 v27, 3, v10
	v_sub_u32_e32 v25, 29, v28
	v_and_b32_e32 v24, 7, v24
	v_cmp_gt_u32_e32 vcc, 8, v10
	v_cndmask_b32_e32 v10, v27, v25, vcc
	v_cndmask_b32_e32 v21, v21, v24, vcc
	v_lshlrev_b32_e32 v18, 24, v18
	v_bfrev_b32_e32 v24, 60
	v_lshlrev_b32_e32 v21, 20, v21
	v_and_b32_e32 v18, 0x80000000, v18
	v_lshl_add_u32 v10, v10, 23, v24
	v_or3_b32 v10, v18, v10, v21
	v_lshrrev_b32_e32 v21, 16, v10
.LBB844_519:
	s_or_b64 exec, exec, s[10:11]
.LBB844_520:
	s_or_b64 exec, exec, s[8:9]
.LBB844_521:
	s_or_b64 exec, exec, s[2:3]
	v_mov_b32_e32 v18, 0
	v_cmp_ne_u16_sdwa s[8:9], v11, v18 src0_sel:BYTE_0 src1_sel:DWORD
	v_mov_b32_e32 v24, 0
	s_and_saveexec_b64 s[2:3], s[8:9]
	s_cbranch_execz .LBB844_527
; %bb.522:
	s_movk_i32 s7, 0x80
	v_cmp_ne_u16_sdwa s[10:11], v11, s7 src0_sel:BYTE_0 src1_sel:DWORD
	v_mov_b32_e32 v24, 0xffff8000
	s_and_saveexec_b64 s[8:9], s[10:11]
	s_cbranch_execz .LBB844_526
; %bb.523:
	s_movk_i32 s7, 0x7f
	v_and_b32_e32 v10, 0x7f, v11
	v_cmp_ne_u32_e32 vcc, s7, v10
	v_mov_b32_e32 v24, 0x7f80
	s_and_saveexec_b64 s[10:11], vcc
	s_cbranch_execz .LBB844_525
; %bb.524:
	v_and_b32_e32 v27, 7, v11
	v_ffbh_u32_e32 v25, v27
	v_min_u32_e32 v29, 32, v25
	v_mov_b32_e32 v24, v11
	v_subrev_u32_e32 v25, 28, v29
	v_lshlrev_b64 v[24:25], v25, v[24:25]
	v_lshrrev_b32_e32 v28, 3, v10
	v_sub_u32_e32 v25, 29, v29
	v_and_b32_e32 v24, 7, v24
	v_cmp_gt_u32_e32 vcc, 8, v10
	v_cndmask_b32_e32 v10, v28, v25, vcc
	v_cndmask_b32_e32 v24, v27, v24, vcc
	v_lshlrev_b32_e32 v25, 24, v11
	v_bfrev_b32_e32 v27, 60
	v_lshlrev_b32_e32 v24, 20, v24
	v_and_b32_e32 v25, 0x80000000, v25
	v_lshl_add_u32 v10, v10, 23, v27
	v_or3_b32 v10, v25, v10, v24
	v_lshrrev_b32_e32 v24, 16, v10
.LBB844_525:
	s_or_b64 exec, exec, s[10:11]
.LBB844_526:
	s_or_b64 exec, exec, s[8:9]
.LBB844_527:
	s_or_b64 exec, exec, s[2:3]
	v_lshrrev_b16_e32 v10, 8, v11
	v_cmp_ne_u16_e32 vcc, 0, v10
	s_and_saveexec_b64 s[2:3], vcc
	s_cbranch_execz .LBB844_533
; %bb.528:
	s_movk_i32 s7, 0x80
	v_cmp_ne_u16_e32 vcc, s7, v10
	v_mov_b32_e32 v18, 0xffff8000
	s_and_saveexec_b64 s[8:9], vcc
	s_cbranch_execz .LBB844_532
; %bb.529:
	s_movk_i32 s7, 0x7f
	v_and_b32_e32 v25, 0x7f, v10
	v_cmp_ne_u32_e32 vcc, s7, v25
	v_mov_b32_e32 v18, 0x7f80
	s_and_saveexec_b64 s[10:11], vcc
	s_cbranch_execz .LBB844_531
; %bb.530:
	v_and_b32_e32 v18, 7, v10
	v_ffbh_u32_e32 v28, v18
	v_min_u32_e32 v30, 32, v28
	v_subrev_u32_e32 v28, 28, v30
	v_lshlrev_b64 v[28:29], v28, v[10:11]
	v_lshrrev_b32_e32 v27, 3, v25
	v_sub_u32_e32 v10, 29, v30
	v_and_b32_e32 v28, 7, v28
	v_cmp_gt_u32_e32 vcc, 8, v25
	v_cndmask_b32_e32 v10, v27, v10, vcc
	v_cndmask_b32_e32 v18, v18, v28, vcc
	v_lshlrev_b32_e32 v25, 16, v11
	v_bfrev_b32_e32 v27, 60
	v_lshlrev_b32_e32 v18, 20, v18
	v_and_b32_e32 v25, 0x80000000, v25
	v_lshl_add_u32 v10, v10, 23, v27
	v_or3_b32 v10, v25, v10, v18
	v_lshrrev_b32_e32 v18, 16, v10
.LBB844_531:
	s_or_b64 exec, exec, s[10:11]
.LBB844_532:
	s_or_b64 exec, exec, s[8:9]
.LBB844_533:
	s_or_b64 exec, exec, s[2:3]
	s_movk_i32 s2, 0xff
	v_and_b32_sdwa v28, v11, s2 dst_sel:DWORD dst_unused:UNUSED_PAD src0_sel:WORD_1 src1_sel:DWORD
	v_lshrrev_b32_e32 v10, 16, v11
	v_cmp_ne_u16_e32 vcc, 0, v28
	v_mov_b32_e32 v25, 0
	v_mov_b32_e32 v27, 0
	s_and_saveexec_b64 s[2:3], vcc
	s_cbranch_execz .LBB844_539
; %bb.534:
	s_movk_i32 s7, 0x80
	v_cmp_ne_u16_e32 vcc, s7, v28
	v_mov_b32_e32 v27, 0xffff8000
	s_and_saveexec_b64 s[8:9], vcc
	s_cbranch_execz .LBB844_538
; %bb.535:
	v_bfe_u32 v28, v11, 16, 7
	s_movk_i32 s7, 0x7f
	v_cmp_ne_u32_e32 vcc, s7, v28
	v_mov_b32_e32 v27, 0x7f80
	s_and_saveexec_b64 s[10:11], vcc
	s_cbranch_execz .LBB844_537
; %bb.536:
	v_and_b32_e32 v27, 7, v10
	v_ffbh_u32_e32 v30, v27
	v_min_u32_e32 v32, 32, v30
	v_subrev_u32_e32 v30, 28, v32
	v_lshlrev_b64 v[30:31], v30, v[10:11]
	v_lshrrev_b32_e32 v29, 3, v28
	v_sub_u32_e32 v10, 29, v32
	v_and_b32_e32 v30, 7, v30
	v_cmp_gt_u32_e32 vcc, 8, v28
	v_mov_b32_e32 v28, 24
	v_cndmask_b32_e32 v10, v29, v10, vcc
	v_cndmask_b32_e32 v27, v27, v30, vcc
	v_lshlrev_b32_sdwa v28, v28, v11 dst_sel:DWORD dst_unused:UNUSED_PAD src0_sel:DWORD src1_sel:WORD_1
	v_bfrev_b32_e32 v29, 60
	v_lshlrev_b32_e32 v27, 20, v27
	v_and_b32_e32 v28, 0x80000000, v28
	v_lshl_add_u32 v10, v10, 23, v29
	v_or3_b32 v10, v28, v10, v27
	v_lshrrev_b32_e32 v27, 16, v10
.LBB844_537:
	s_or_b64 exec, exec, s[10:11]
.LBB844_538:
	s_or_b64 exec, exec, s[8:9]
.LBB844_539:
	s_or_b64 exec, exec, s[2:3]
	s_mov_b32 s2, 0xffffff
	v_cmp_lt_u32_e32 vcc, s2, v11
	s_and_saveexec_b64 s[2:3], vcc
	s_cbranch_execz .LBB844_545
; %bb.540:
	v_lshrrev_b32_e32 v10, 24, v11
	s_movk_i32 s7, 0x80
	v_cmp_ne_u32_e32 vcc, s7, v10
	v_mov_b32_e32 v25, 0xffff8000
	s_and_saveexec_b64 s[8:9], vcc
	s_cbranch_execz .LBB844_544
; %bb.541:
	v_bfe_u32 v11, v11, 24, 7
	s_movk_i32 s7, 0x7f
	v_cmp_ne_u32_e32 vcc, s7, v11
	v_mov_b32_e32 v25, 0x7f80
	s_and_saveexec_b64 s[10:11], vcc
	s_cbranch_execz .LBB844_543
; %bb.542:
	v_and_b32_e32 v25, 7, v10
	v_ffbh_u32_e32 v28, v25
	v_min_u32_e32 v31, 32, v28
	v_subrev_u32_e32 v28, 28, v31
	v_lshlrev_b64 v[28:29], v28, v[10:11]
	v_lshrrev_b32_e32 v30, 3, v11
	v_sub_u32_e32 v29, 29, v31
	v_and_b32_e32 v28, 7, v28
	v_cmp_gt_u32_e32 vcc, 8, v11
	v_cndmask_b32_e32 v11, v30, v29, vcc
	v_cndmask_b32_e32 v25, v25, v28, vcc
	v_lshlrev_b32_e32 v10, 24, v10
	v_bfrev_b32_e32 v28, 60
	v_lshlrev_b32_e32 v25, 20, v25
	v_and_b32_e32 v10, 0x80000000, v10
	v_lshl_add_u32 v11, v11, 23, v28
	v_or3_b32 v10, v10, v11, v25
	v_lshrrev_b32_e32 v25, 16, v10
.LBB844_543:
	s_or_b64 exec, exec, s[10:11]
.LBB844_544:
	s_or_b64 exec, exec, s[8:9]
.LBB844_545:
	s_or_b64 exec, exec, s[2:3]
	s_mov_b32 s2, 0x5040100
	v_perm_b32 v11, v21, v23, s2
	v_perm_b32 v10, v19, v20, s2
	ds_read_b128 v[28:31], v22 offset:2048
	v_perm_b32 v21, v25, v27, s2
	v_perm_b32 v20, v18, v24, s2
	s_waitcnt lgkmcnt(0)
	v_mfma_f32_16x16x16bf16_1k v[14:17], v[10:11], v[28:29], v[14:17]
	v_mov_b32_e32 v11, 0
	v_cmp_ne_u16_sdwa s[8:9], v12, v11 src0_sel:BYTE_0 src1_sel:DWORD
	v_mov_b32_e32 v18, 0
	v_mfma_f32_16x16x16bf16_1k v[14:17], v[20:21], v[30:31], v[14:17]
	s_and_saveexec_b64 s[2:3], s[8:9]
	s_cbranch_execz .LBB844_551
; %bb.546:
	s_movk_i32 s7, 0x80
	v_cmp_ne_u16_sdwa s[10:11], v12, s7 src0_sel:BYTE_0 src1_sel:DWORD
	v_mov_b32_e32 v18, 0xffff8000
	s_and_saveexec_b64 s[8:9], s[10:11]
	s_cbranch_execz .LBB844_550
; %bb.547:
	s_movk_i32 s7, 0x7f
	v_and_b32_e32 v10, 0x7f, v12
	v_cmp_ne_u32_e32 vcc, s7, v10
	v_mov_b32_e32 v18, 0x7f80
	s_and_saveexec_b64 s[10:11], vcc
	s_cbranch_execz .LBB844_549
; %bb.548:
	v_and_b32_e32 v20, 7, v12
	v_ffbh_u32_e32 v18, v20
	v_min_u32_e32 v23, 32, v18
	v_subrev_u32_e32 v18, 28, v23
	v_lshlrev_b64 v[18:19], v18, v[12:13]
	v_lshrrev_b32_e32 v21, 3, v10
	v_sub_u32_e32 v19, 29, v23
	v_and_b32_e32 v18, 7, v18
	v_cmp_gt_u32_e32 vcc, 8, v10
	v_cndmask_b32_e32 v10, v21, v19, vcc
	v_cndmask_b32_e32 v18, v20, v18, vcc
	v_lshlrev_b32_e32 v19, 24, v12
	v_bfrev_b32_e32 v20, 60
	v_lshlrev_b32_e32 v18, 20, v18
	v_and_b32_e32 v19, 0x80000000, v19
	v_lshl_add_u32 v10, v10, 23, v20
	v_or3_b32 v10, v19, v10, v18
	v_lshrrev_b32_e32 v18, 16, v10
.LBB844_549:
	s_or_b64 exec, exec, s[10:11]
.LBB844_550:
	s_or_b64 exec, exec, s[8:9]
.LBB844_551:
	s_or_b64 exec, exec, s[2:3]
	v_lshrrev_b16_e32 v10, 8, v12
	v_cmp_ne_u16_e32 vcc, 0, v10
	s_and_saveexec_b64 s[2:3], vcc
	s_cbranch_execz .LBB844_557
; %bb.552:
	s_movk_i32 s7, 0x80
	v_cmp_ne_u16_e32 vcc, s7, v10
	v_mov_b32_e32 v11, 0xffff8000
	s_and_saveexec_b64 s[8:9], vcc
	s_cbranch_execz .LBB844_556
; %bb.553:
	s_movk_i32 s7, 0x7f
	v_and_b32_e32 v19, 0x7f, v10
	v_cmp_ne_u32_e32 vcc, s7, v19
	v_mov_b32_e32 v11, 0x7f80
	s_and_saveexec_b64 s[10:11], vcc
	s_cbranch_execz .LBB844_555
; %bb.554:
	v_and_b32_e32 v20, 7, v10
	v_ffbh_u32_e32 v11, v20
	v_min_u32_e32 v23, 32, v11
	v_subrev_u32_e32 v11, 28, v23
	v_lshlrev_b64 v[10:11], v11, v[10:11]
	v_lshrrev_b32_e32 v21, 3, v19
	v_sub_u32_e32 v11, 29, v23
	v_and_b32_e32 v10, 7, v10
	v_cmp_gt_u32_e32 vcc, 8, v19
	v_cndmask_b32_e32 v11, v21, v11, vcc
	v_cndmask_b32_e32 v10, v20, v10, vcc
	v_lshlrev_b32_e32 v19, 16, v12
	v_bfrev_b32_e32 v20, 60
	v_lshlrev_b32_e32 v10, 20, v10
	v_and_b32_e32 v19, 0x80000000, v19
	v_lshl_add_u32 v11, v11, 23, v20
	v_or3_b32 v10, v19, v11, v10
	v_lshrrev_b32_e32 v11, 16, v10
.LBB844_555:
	s_or_b64 exec, exec, s[10:11]
.LBB844_556:
	s_or_b64 exec, exec, s[8:9]
.LBB844_557:
	s_or_b64 exec, exec, s[2:3]
	s_movk_i32 s2, 0xff
	v_and_b32_sdwa v21, v12, s2 dst_sel:DWORD dst_unused:UNUSED_PAD src0_sel:WORD_1 src1_sel:DWORD
	v_lshrrev_b32_e32 v10, 16, v12
	v_cmp_ne_u16_e32 vcc, 0, v21
	v_mov_b32_e32 v19, 0
	v_mov_b32_e32 v20, 0
	s_and_saveexec_b64 s[2:3], vcc
	s_cbranch_execz .LBB844_563
; %bb.558:
	s_movk_i32 s7, 0x80
	v_cmp_ne_u16_e32 vcc, s7, v21
	v_mov_b32_e32 v20, 0xffff8000
	s_and_saveexec_b64 s[8:9], vcc
	s_cbranch_execz .LBB844_562
; %bb.559:
	v_bfe_u32 v21, v12, 16, 7
	s_movk_i32 s7, 0x7f
	v_cmp_ne_u32_e32 vcc, s7, v21
	v_mov_b32_e32 v20, 0x7f80
	s_and_saveexec_b64 s[10:11], vcc
	s_cbranch_execz .LBB844_561
; %bb.560:
	v_and_b32_e32 v20, 7, v10
	v_ffbh_u32_e32 v24, v20
	v_min_u32_e32 v27, 32, v24
	v_subrev_u32_e32 v24, 28, v27
	v_lshlrev_b64 v[24:25], v24, v[10:11]
	v_lshrrev_b32_e32 v23, 3, v21
	v_sub_u32_e32 v10, 29, v27
	v_and_b32_e32 v24, 7, v24
	v_cmp_gt_u32_e32 vcc, 8, v21
	v_mov_b32_e32 v21, 24
	v_cndmask_b32_e32 v10, v23, v10, vcc
	v_cndmask_b32_e32 v20, v20, v24, vcc
	v_lshlrev_b32_sdwa v21, v21, v12 dst_sel:DWORD dst_unused:UNUSED_PAD src0_sel:DWORD src1_sel:WORD_1
	v_bfrev_b32_e32 v23, 60
	v_lshlrev_b32_e32 v20, 20, v20
	v_and_b32_e32 v21, 0x80000000, v21
	v_lshl_add_u32 v10, v10, 23, v23
	v_or3_b32 v10, v21, v10, v20
	v_lshrrev_b32_e32 v20, 16, v10
.LBB844_561:
	s_or_b64 exec, exec, s[10:11]
.LBB844_562:
	s_or_b64 exec, exec, s[8:9]
.LBB844_563:
	s_or_b64 exec, exec, s[2:3]
	s_mov_b32 s2, 0xffffff
	v_cmp_lt_u32_e32 vcc, s2, v12
	s_and_saveexec_b64 s[2:3], vcc
	s_cbranch_execz .LBB844_569
; %bb.564:
	v_lshrrev_b32_e32 v10, 24, v12
	s_movk_i32 s7, 0x80
	v_cmp_ne_u32_e32 vcc, s7, v10
	v_mov_b32_e32 v19, 0xffff8000
	s_and_saveexec_b64 s[8:9], vcc
	s_cbranch_execz .LBB844_568
; %bb.565:
	v_bfe_u32 v12, v12, 24, 7
	s_movk_i32 s7, 0x7f
	v_cmp_ne_u32_e32 vcc, s7, v12
	v_mov_b32_e32 v19, 0x7f80
	s_and_saveexec_b64 s[10:11], vcc
	s_cbranch_execz .LBB844_567
; %bb.566:
	v_and_b32_e32 v19, 7, v10
	v_ffbh_u32_e32 v23, v19
	v_min_u32_e32 v23, 32, v23
	v_subrev_u32_e32 v24, 28, v23
	v_lshlrev_b64 v[24:25], v24, v[10:11]
	v_lshrrev_b32_e32 v21, 3, v12
	v_sub_u32_e32 v23, 29, v23
	v_and_b32_e32 v24, 7, v24
	v_cmp_gt_u32_e32 vcc, 8, v12
	v_cndmask_b32_e32 v12, v21, v23, vcc
	v_cndmask_b32_e32 v19, v19, v24, vcc
	v_lshlrev_b32_e32 v10, 24, v10
	v_bfrev_b32_e32 v21, 60
	v_lshlrev_b32_e32 v19, 20, v19
	v_and_b32_e32 v10, 0x80000000, v10
	v_lshl_add_u32 v12, v12, 23, v21
	v_or3_b32 v10, v10, v12, v19
	v_lshrrev_b32_e32 v19, 16, v10
.LBB844_567:
	s_or_b64 exec, exec, s[10:11]
.LBB844_568:
	s_or_b64 exec, exec, s[8:9]
.LBB844_569:
	s_or_b64 exec, exec, s[2:3]
	v_mov_b32_e32 v12, 0
	v_cmp_ne_u16_sdwa s[8:9], v13, v12 src0_sel:BYTE_0 src1_sel:DWORD
	v_mov_b32_e32 v21, 0
	s_and_saveexec_b64 s[2:3], s[8:9]
	s_cbranch_execz .LBB844_575
; %bb.570:
	s_movk_i32 s7, 0x80
	v_cmp_ne_u16_sdwa s[10:11], v13, s7 src0_sel:BYTE_0 src1_sel:DWORD
	v_mov_b32_e32 v21, 0xffff8000
	s_and_saveexec_b64 s[8:9], s[10:11]
	s_cbranch_execz .LBB844_574
; %bb.571:
	s_movk_i32 s7, 0x7f
	v_and_b32_e32 v10, 0x7f, v13
	v_cmp_ne_u32_e32 vcc, s7, v10
	v_mov_b32_e32 v21, 0x7f80
	s_and_saveexec_b64 s[10:11], vcc
	s_cbranch_execz .LBB844_573
; %bb.572:
	v_and_b32_e32 v21, 7, v13
	v_ffbh_u32_e32 v25, v21
	v_min_u32_e32 v27, 32, v25
	v_mov_b32_e32 v24, v13
	v_subrev_u32_e32 v25, 28, v27
	v_lshlrev_b64 v[24:25], v25, v[24:25]
	v_lshrrev_b32_e32 v23, 3, v10
	v_sub_u32_e32 v25, 29, v27
	v_and_b32_e32 v24, 7, v24
	v_cmp_gt_u32_e32 vcc, 8, v10
	v_cndmask_b32_e32 v10, v23, v25, vcc
	v_cndmask_b32_e32 v21, v21, v24, vcc
	v_lshlrev_b32_e32 v23, 24, v13
	v_bfrev_b32_e32 v24, 60
	v_lshlrev_b32_e32 v21, 20, v21
	v_and_b32_e32 v23, 0x80000000, v23
	v_lshl_add_u32 v10, v10, 23, v24
	v_or3_b32 v10, v23, v10, v21
	v_lshrrev_b32_e32 v21, 16, v10
.LBB844_573:
	s_or_b64 exec, exec, s[10:11]
.LBB844_574:
	s_or_b64 exec, exec, s[8:9]
.LBB844_575:
	s_or_b64 exec, exec, s[2:3]
	v_lshrrev_b16_e32 v10, 8, v13
	v_cmp_ne_u16_e32 vcc, 0, v10
	s_and_saveexec_b64 s[2:3], vcc
	s_cbranch_execz .LBB844_581
; %bb.576:
	s_movk_i32 s7, 0x80
	v_cmp_ne_u16_e32 vcc, s7, v10
	v_mov_b32_e32 v12, 0xffff8000
	s_and_saveexec_b64 s[8:9], vcc
	s_cbranch_execz .LBB844_580
; %bb.577:
	s_movk_i32 s7, 0x7f
	v_and_b32_e32 v23, 0x7f, v10
	v_cmp_ne_u32_e32 vcc, s7, v23
	v_mov_b32_e32 v12, 0x7f80
	s_and_saveexec_b64 s[10:11], vcc
	s_cbranch_execz .LBB844_579
; %bb.578:
	v_and_b32_e32 v12, 7, v10
	v_ffbh_u32_e32 v24, v12
	v_min_u32_e32 v28, 32, v24
	v_subrev_u32_e32 v24, 28, v28
	v_lshlrev_b64 v[24:25], v24, v[10:11]
	v_lshrrev_b32_e32 v27, 3, v23
	v_sub_u32_e32 v10, 29, v28
	v_and_b32_e32 v24, 7, v24
	v_cmp_gt_u32_e32 vcc, 8, v23
	v_cndmask_b32_e32 v10, v27, v10, vcc
	v_cndmask_b32_e32 v12, v12, v24, vcc
	v_lshlrev_b32_e32 v23, 16, v13
	v_bfrev_b32_e32 v24, 60
	v_lshlrev_b32_e32 v12, 20, v12
	v_and_b32_e32 v23, 0x80000000, v23
	v_lshl_add_u32 v10, v10, 23, v24
	v_or3_b32 v10, v23, v10, v12
	v_lshrrev_b32_e32 v12, 16, v10
.LBB844_579:
	s_or_b64 exec, exec, s[10:11]
.LBB844_580:
	s_or_b64 exec, exec, s[8:9]
.LBB844_581:
	s_or_b64 exec, exec, s[2:3]
	s_movk_i32 s2, 0xff
	v_and_b32_sdwa v25, v13, s2 dst_sel:DWORD dst_unused:UNUSED_PAD src0_sel:WORD_1 src1_sel:DWORD
	v_lshrrev_b32_e32 v10, 16, v13
	v_cmp_ne_u16_e32 vcc, 0, v25
	v_mov_b32_e32 v23, 0
	v_mov_b32_e32 v24, 0
	s_and_saveexec_b64 s[2:3], vcc
	s_cbranch_execz .LBB844_587
; %bb.582:
	s_movk_i32 s7, 0x80
	v_cmp_ne_u16_e32 vcc, s7, v25
	v_mov_b32_e32 v24, 0xffff8000
	s_and_saveexec_b64 s[8:9], vcc
	s_cbranch_execz .LBB844_586
; %bb.583:
	v_bfe_u32 v25, v13, 16, 7
	s_movk_i32 s7, 0x7f
	v_cmp_ne_u32_e32 vcc, s7, v25
	v_mov_b32_e32 v24, 0x7f80
	s_and_saveexec_b64 s[10:11], vcc
	s_cbranch_execz .LBB844_585
; %bb.584:
	v_and_b32_e32 v24, 7, v10
	v_ffbh_u32_e32 v28, v24
	v_min_u32_e32 v30, 32, v28
	v_subrev_u32_e32 v28, 28, v30
	v_lshlrev_b64 v[28:29], v28, v[10:11]
	v_lshrrev_b32_e32 v27, 3, v25
	v_sub_u32_e32 v10, 29, v30
	v_and_b32_e32 v28, 7, v28
	v_cmp_gt_u32_e32 vcc, 8, v25
	v_mov_b32_e32 v25, 24
	v_cndmask_b32_e32 v10, v27, v10, vcc
	v_cndmask_b32_e32 v24, v24, v28, vcc
	v_lshlrev_b32_sdwa v25, v25, v13 dst_sel:DWORD dst_unused:UNUSED_PAD src0_sel:DWORD src1_sel:WORD_1
	v_bfrev_b32_e32 v27, 60
	v_lshlrev_b32_e32 v24, 20, v24
	v_and_b32_e32 v25, 0x80000000, v25
	v_lshl_add_u32 v10, v10, 23, v27
	v_or3_b32 v10, v25, v10, v24
	v_lshrrev_b32_e32 v24, 16, v10
.LBB844_585:
	s_or_b64 exec, exec, s[10:11]
.LBB844_586:
	s_or_b64 exec, exec, s[8:9]
.LBB844_587:
	s_or_b64 exec, exec, s[2:3]
	s_mov_b32 s2, 0xffffff
	v_cmp_lt_u32_e32 vcc, s2, v13
	s_and_saveexec_b64 s[2:3], vcc
	s_cbranch_execz .LBB844_593
; %bb.588:
	v_lshrrev_b32_e32 v10, 24, v13
	s_movk_i32 s7, 0x80
	v_cmp_ne_u32_e32 vcc, s7, v10
	v_mov_b32_e32 v23, 0xffff8000
	s_and_saveexec_b64 s[8:9], vcc
	s_cbranch_execz .LBB844_592
; %bb.589:
	v_bfe_u32 v13, v13, 24, 7
	s_movk_i32 s7, 0x7f
	v_cmp_ne_u32_e32 vcc, s7, v13
	v_mov_b32_e32 v23, 0x7f80
	s_and_saveexec_b64 s[10:11], vcc
	s_cbranch_execz .LBB844_591
; %bb.590:
	v_and_b32_e32 v23, 7, v10
	v_ffbh_u32_e32 v27, v23
	v_min_u32_e32 v27, 32, v27
	v_subrev_u32_e32 v28, 28, v27
	v_lshlrev_b64 v[28:29], v28, v[10:11]
	v_lshrrev_b32_e32 v25, 3, v13
	v_sub_u32_e32 v27, 29, v27
	v_and_b32_e32 v28, 7, v28
	v_cmp_gt_u32_e32 vcc, 8, v13
	v_cndmask_b32_e32 v13, v25, v27, vcc
	v_cndmask_b32_e32 v23, v23, v28, vcc
	v_lshlrev_b32_e32 v10, 24, v10
	v_bfrev_b32_e32 v25, 60
	v_lshlrev_b32_e32 v23, 20, v23
	v_and_b32_e32 v10, 0x80000000, v10
	v_lshl_add_u32 v13, v13, 23, v25
	v_or3_b32 v10, v10, v13, v23
	v_lshrrev_b32_e32 v23, 16, v10
.LBB844_591:
	s_or_b64 exec, exec, s[10:11]
.LBB844_592:
	s_or_b64 exec, exec, s[8:9]
.LBB844_593:
	s_or_b64 exec, exec, s[2:3]
	s_mov_b32 s2, 0x5040100
	v_perm_b32 v19, v19, v20, s2
	v_perm_b32 v18, v11, v18, s2
	ds_read_b128 v[28:31], v22 offset:2064
	v_perm_b32 v11, v23, v24, s2
	v_perm_b32 v10, v12, v21, s2
	s_waitcnt lgkmcnt(0)
	v_mfma_f32_16x16x16bf16_1k v[32:35], v[18:19], v[28:29], v[14:17]
	s_nop 6
	v_mov_b32_e32 v15, 0
	s_waitcnt vmcnt(1)
	v_cmp_ne_u16_sdwa s[8:9], v6, v15 src0_sel:BYTE_0 src1_sel:DWORD
	v_mfma_f32_16x16x16bf16_1k v[10:13], v[10:11], v[30:31], v[32:35]
	v_mov_b32_e32 v16, 0
	s_and_saveexec_b64 s[2:3], s[8:9]
	s_cbranch_execz .LBB844_599
; %bb.594:
	s_movk_i32 s7, 0x80
	v_cmp_ne_u16_sdwa s[10:11], v6, s7 src0_sel:BYTE_0 src1_sel:DWORD
	v_mov_b32_e32 v16, 0xffff8000
	s_and_saveexec_b64 s[8:9], s[10:11]
	s_cbranch_execz .LBB844_598
; %bb.595:
	s_movk_i32 s7, 0x7f
	v_and_b32_e32 v14, 0x7f, v6
	v_cmp_ne_u32_e32 vcc, s7, v14
	v_mov_b32_e32 v16, 0x7f80
	s_and_saveexec_b64 s[10:11], vcc
	s_cbranch_execz .LBB844_597
; %bb.596:
	v_and_b32_e32 v18, 7, v6
	v_ffbh_u32_e32 v16, v18
	v_min_u32_e32 v20, 32, v16
	v_subrev_u32_e32 v16, 28, v20
	v_lshlrev_b64 v[16:17], v16, v[6:7]
	v_lshrrev_b32_e32 v19, 3, v14
	v_sub_u32_e32 v17, 29, v20
	v_and_b32_e32 v16, 7, v16
	v_cmp_gt_u32_e32 vcc, 8, v14
	v_cndmask_b32_e32 v14, v19, v17, vcc
	v_cndmask_b32_e32 v16, v18, v16, vcc
	v_lshlrev_b32_e32 v17, 24, v6
	v_bfrev_b32_e32 v18, 60
	v_lshlrev_b32_e32 v16, 20, v16
	v_and_b32_e32 v17, 0x80000000, v17
	v_lshl_add_u32 v14, v14, 23, v18
	v_or3_b32 v14, v17, v14, v16
	v_lshrrev_b32_e32 v16, 16, v14
.LBB844_597:
	s_or_b64 exec, exec, s[10:11]
.LBB844_598:
	s_or_b64 exec, exec, s[8:9]
.LBB844_599:
	s_or_b64 exec, exec, s[2:3]
	v_lshrrev_b16_e32 v14, 8, v6
	v_cmp_ne_u16_e32 vcc, 0, v14
	s_and_saveexec_b64 s[2:3], vcc
	s_cbranch_execz .LBB844_605
; %bb.600:
	s_movk_i32 s7, 0x80
	v_cmp_ne_u16_e32 vcc, s7, v14
	v_mov_b32_e32 v15, 0xffff8000
	s_and_saveexec_b64 s[8:9], vcc
	s_cbranch_execz .LBB844_604
; %bb.601:
	s_movk_i32 s7, 0x7f
	v_and_b32_e32 v17, 0x7f, v14
	v_cmp_ne_u32_e32 vcc, s7, v17
	v_mov_b32_e32 v15, 0x7f80
	s_and_saveexec_b64 s[10:11], vcc
	s_cbranch_execz .LBB844_603
; %bb.602:
	v_and_b32_e32 v18, 7, v14
	v_ffbh_u32_e32 v15, v18
	v_min_u32_e32 v20, 32, v15
	v_subrev_u32_e32 v15, 28, v20
	v_lshlrev_b64 v[14:15], v15, v[14:15]
	v_lshrrev_b32_e32 v19, 3, v17
	v_sub_u32_e32 v15, 29, v20
	v_and_b32_e32 v14, 7, v14
	v_cmp_gt_u32_e32 vcc, 8, v17
	v_cndmask_b32_e32 v15, v19, v15, vcc
	v_cndmask_b32_e32 v14, v18, v14, vcc
	v_lshlrev_b32_e32 v17, 16, v6
	v_bfrev_b32_e32 v18, 60
	v_lshlrev_b32_e32 v14, 20, v14
	v_and_b32_e32 v17, 0x80000000, v17
	v_lshl_add_u32 v15, v15, 23, v18
	v_or3_b32 v14, v17, v15, v14
	v_lshrrev_b32_e32 v15, 16, v14
.LBB844_603:
	s_or_b64 exec, exec, s[10:11]
.LBB844_604:
	s_or_b64 exec, exec, s[8:9]
.LBB844_605:
	s_or_b64 exec, exec, s[2:3]
	s_movk_i32 s2, 0xff
	v_and_b32_sdwa v19, v6, s2 dst_sel:DWORD dst_unused:UNUSED_PAD src0_sel:WORD_1 src1_sel:DWORD
	v_lshrrev_b32_e32 v14, 16, v6
	v_cmp_ne_u16_e32 vcc, 0, v19
	v_mov_b32_e32 v17, 0
	v_mov_b32_e32 v18, 0
	s_and_saveexec_b64 s[2:3], vcc
	s_cbranch_execz .LBB844_611
; %bb.606:
	s_movk_i32 s7, 0x80
	v_cmp_ne_u16_e32 vcc, s7, v19
	v_mov_b32_e32 v18, 0xffff8000
	s_and_saveexec_b64 s[8:9], vcc
	s_cbranch_execz .LBB844_610
; %bb.607:
	v_bfe_u32 v19, v6, 16, 7
	s_movk_i32 s7, 0x7f
	v_cmp_ne_u32_e32 vcc, s7, v19
	v_mov_b32_e32 v18, 0x7f80
	s_and_saveexec_b64 s[10:11], vcc
	s_cbranch_execz .LBB844_609
; %bb.608:
	v_and_b32_e32 v18, 7, v14
	v_ffbh_u32_e32 v20, v18
	v_min_u32_e32 v24, 32, v20
	v_subrev_u32_e32 v20, 28, v24
	v_lshlrev_b64 v[20:21], v20, v[14:15]
	v_lshrrev_b32_e32 v23, 3, v19
	v_sub_u32_e32 v14, 29, v24
	v_and_b32_e32 v20, 7, v20
	v_cmp_gt_u32_e32 vcc, 8, v19
	v_mov_b32_e32 v19, 24
	v_cndmask_b32_e32 v14, v23, v14, vcc
	v_cndmask_b32_e32 v18, v18, v20, vcc
	v_lshlrev_b32_sdwa v19, v19, v6 dst_sel:DWORD dst_unused:UNUSED_PAD src0_sel:DWORD src1_sel:WORD_1
	v_bfrev_b32_e32 v20, 60
	v_lshlrev_b32_e32 v18, 20, v18
	v_and_b32_e32 v19, 0x80000000, v19
	v_lshl_add_u32 v14, v14, 23, v20
	v_or3_b32 v14, v19, v14, v18
	v_lshrrev_b32_e32 v18, 16, v14
.LBB844_609:
	s_or_b64 exec, exec, s[10:11]
.LBB844_610:
	s_or_b64 exec, exec, s[8:9]
.LBB844_611:
	s_or_b64 exec, exec, s[2:3]
	s_mov_b32 s2, 0xffffff
	v_cmp_lt_u32_e32 vcc, s2, v6
	s_and_saveexec_b64 s[2:3], vcc
	s_cbranch_execz .LBB844_617
; %bb.612:
	v_lshrrev_b32_e32 v14, 24, v6
	s_movk_i32 s7, 0x80
	v_cmp_ne_u32_e32 vcc, s7, v14
	v_mov_b32_e32 v17, 0xffff8000
	s_and_saveexec_b64 s[8:9], vcc
	s_cbranch_execz .LBB844_616
; %bb.613:
	v_bfe_u32 v6, v6, 24, 7
	s_movk_i32 s7, 0x7f
	v_cmp_ne_u32_e32 vcc, s7, v6
	v_mov_b32_e32 v17, 0x7f80
	s_and_saveexec_b64 s[10:11], vcc
	s_cbranch_execz .LBB844_615
; %bb.614:
	v_and_b32_e32 v17, 7, v14
	v_ffbh_u32_e32 v20, v17
	v_min_u32_e32 v23, 32, v20
	v_subrev_u32_e32 v20, 28, v23
	v_lshlrev_b64 v[20:21], v20, v[14:15]
	v_lshrrev_b32_e32 v19, 3, v6
	v_sub_u32_e32 v21, 29, v23
	v_and_b32_e32 v20, 7, v20
	v_cmp_gt_u32_e32 vcc, 8, v6
	v_cndmask_b32_e32 v6, v19, v21, vcc
	v_cndmask_b32_e32 v17, v17, v20, vcc
	v_lshlrev_b32_e32 v14, 24, v14
	v_bfrev_b32_e32 v19, 60
	v_lshlrev_b32_e32 v17, 20, v17
	v_and_b32_e32 v14, 0x80000000, v14
	v_lshl_add_u32 v6, v6, 23, v19
	v_or3_b32 v6, v14, v6, v17
	v_lshrrev_b32_e32 v17, 16, v6
.LBB844_615:
	s_or_b64 exec, exec, s[10:11]
.LBB844_616:
	s_or_b64 exec, exec, s[8:9]
.LBB844_617:
	s_or_b64 exec, exec, s[2:3]
	v_mov_b32_e32 v14, 0
	v_cmp_ne_u16_sdwa s[8:9], v7, v14 src0_sel:BYTE_0 src1_sel:DWORD
	v_mov_b32_e32 v19, 0
	s_and_saveexec_b64 s[2:3], s[8:9]
	s_cbranch_execz .LBB844_623
; %bb.618:
	s_movk_i32 s7, 0x80
	v_cmp_ne_u16_sdwa s[10:11], v7, s7 src0_sel:BYTE_0 src1_sel:DWORD
	v_mov_b32_e32 v19, 0xffff8000
	s_and_saveexec_b64 s[8:9], s[10:11]
	s_cbranch_execz .LBB844_622
; %bb.619:
	s_movk_i32 s7, 0x7f
	v_and_b32_e32 v6, 0x7f, v7
	v_cmp_ne_u32_e32 vcc, s7, v6
	v_mov_b32_e32 v19, 0x7f80
	s_and_saveexec_b64 s[10:11], vcc
	s_cbranch_execz .LBB844_621
; %bb.620:
	v_and_b32_e32 v19, 7, v7
	v_ffbh_u32_e32 v21, v19
	v_min_u32_e32 v24, 32, v21
	v_mov_b32_e32 v20, v7
	v_subrev_u32_e32 v21, 28, v24
	v_lshlrev_b64 v[20:21], v21, v[20:21]
	v_lshrrev_b32_e32 v23, 3, v6
	v_sub_u32_e32 v21, 29, v24
	v_and_b32_e32 v20, 7, v20
	v_cmp_gt_u32_e32 vcc, 8, v6
	v_cndmask_b32_e32 v6, v23, v21, vcc
	v_cndmask_b32_e32 v19, v19, v20, vcc
	v_lshlrev_b32_e32 v20, 24, v7
	v_bfrev_b32_e32 v21, 60
	v_lshlrev_b32_e32 v19, 20, v19
	v_and_b32_e32 v20, 0x80000000, v20
	v_lshl_add_u32 v6, v6, 23, v21
	v_or3_b32 v6, v20, v6, v19
	v_lshrrev_b32_e32 v19, 16, v6
.LBB844_621:
	s_or_b64 exec, exec, s[10:11]
.LBB844_622:
	s_or_b64 exec, exec, s[8:9]
.LBB844_623:
	s_or_b64 exec, exec, s[2:3]
	v_lshrrev_b16_e32 v6, 8, v7
	v_cmp_ne_u16_e32 vcc, 0, v6
	s_and_saveexec_b64 s[2:3], vcc
	s_cbranch_execz .LBB844_629
; %bb.624:
	s_movk_i32 s7, 0x80
	v_cmp_ne_u16_e32 vcc, s7, v6
	v_mov_b32_e32 v14, 0xffff8000
	s_and_saveexec_b64 s[8:9], vcc
	s_cbranch_execz .LBB844_628
; %bb.625:
	s_movk_i32 s7, 0x7f
	v_and_b32_e32 v20, 0x7f, v6
	v_cmp_ne_u32_e32 vcc, s7, v20
	v_mov_b32_e32 v14, 0x7f80
	s_and_saveexec_b64 s[10:11], vcc
	s_cbranch_execz .LBB844_627
; %bb.626:
	v_and_b32_e32 v14, 7, v6
	v_ffbh_u32_e32 v23, v14
	v_min_u32_e32 v23, 32, v23
	v_subrev_u32_e32 v24, 28, v23
	v_lshlrev_b64 v[24:25], v24, v[6:7]
	v_lshrrev_b32_e32 v21, 3, v20
	v_sub_u32_e32 v6, 29, v23
	v_and_b32_e32 v23, 7, v24
	v_cmp_gt_u32_e32 vcc, 8, v20
	v_cndmask_b32_e32 v6, v21, v6, vcc
	v_cndmask_b32_e32 v14, v14, v23, vcc
	v_lshlrev_b32_e32 v20, 16, v7
	v_bfrev_b32_e32 v21, 60
	v_lshlrev_b32_e32 v14, 20, v14
	v_and_b32_e32 v20, 0x80000000, v20
	v_lshl_add_u32 v6, v6, 23, v21
	v_or3_b32 v6, v20, v6, v14
	v_lshrrev_b32_e32 v14, 16, v6
.LBB844_627:
	s_or_b64 exec, exec, s[10:11]
.LBB844_628:
	s_or_b64 exec, exec, s[8:9]
.LBB844_629:
	s_or_b64 exec, exec, s[2:3]
	s_movk_i32 s2, 0xff
	v_and_b32_sdwa v23, v7, s2 dst_sel:DWORD dst_unused:UNUSED_PAD src0_sel:WORD_1 src1_sel:DWORD
	v_lshrrev_b32_e32 v6, 16, v7
	v_cmp_ne_u16_e32 vcc, 0, v23
	v_mov_b32_e32 v20, 0
	v_mov_b32_e32 v21, 0
	s_and_saveexec_b64 s[2:3], vcc
	s_cbranch_execz .LBB844_635
; %bb.630:
	s_movk_i32 s7, 0x80
	v_cmp_ne_u16_e32 vcc, s7, v23
	v_mov_b32_e32 v21, 0xffff8000
	s_and_saveexec_b64 s[8:9], vcc
	s_cbranch_execz .LBB844_634
; %bb.631:
	v_bfe_u32 v23, v7, 16, 7
	s_movk_i32 s7, 0x7f
	v_cmp_ne_u32_e32 vcc, s7, v23
	v_mov_b32_e32 v21, 0x7f80
	s_and_saveexec_b64 s[10:11], vcc
	s_cbranch_execz .LBB844_633
; %bb.632:
	v_and_b32_e32 v21, 7, v6
	v_ffbh_u32_e32 v24, v21
	v_min_u32_e32 v28, 32, v24
	v_subrev_u32_e32 v24, 28, v28
	v_lshlrev_b64 v[24:25], v24, v[6:7]
	v_lshrrev_b32_e32 v27, 3, v23
	v_sub_u32_e32 v6, 29, v28
	v_and_b32_e32 v24, 7, v24
	v_cmp_gt_u32_e32 vcc, 8, v23
	v_mov_b32_e32 v23, 24
	v_cndmask_b32_e32 v6, v27, v6, vcc
	v_cndmask_b32_e32 v21, v21, v24, vcc
	v_lshlrev_b32_sdwa v23, v23, v7 dst_sel:DWORD dst_unused:UNUSED_PAD src0_sel:DWORD src1_sel:WORD_1
	v_bfrev_b32_e32 v24, 60
	v_lshlrev_b32_e32 v21, 20, v21
	v_and_b32_e32 v23, 0x80000000, v23
	v_lshl_add_u32 v6, v6, 23, v24
	v_or3_b32 v6, v23, v6, v21
	v_lshrrev_b32_e32 v21, 16, v6
.LBB844_633:
	s_or_b64 exec, exec, s[10:11]
.LBB844_634:
	s_or_b64 exec, exec, s[8:9]
.LBB844_635:
	s_or_b64 exec, exec, s[2:3]
	s_mov_b32 s2, 0xffffff
	v_cmp_lt_u32_e32 vcc, s2, v7
	s_and_saveexec_b64 s[2:3], vcc
	s_cbranch_execz .LBB844_641
; %bb.636:
	v_lshrrev_b32_e32 v6, 24, v7
	s_movk_i32 s7, 0x80
	v_cmp_ne_u32_e32 vcc, s7, v6
	v_mov_b32_e32 v20, 0xffff8000
	s_and_saveexec_b64 s[8:9], vcc
	s_cbranch_execz .LBB844_640
; %bb.637:
	v_bfe_u32 v7, v7, 24, 7
	s_movk_i32 s7, 0x7f
	v_cmp_ne_u32_e32 vcc, s7, v7
	v_mov_b32_e32 v20, 0x7f80
	s_and_saveexec_b64 s[10:11], vcc
	s_cbranch_execz .LBB844_639
; %bb.638:
	v_and_b32_e32 v20, 7, v6
	v_ffbh_u32_e32 v24, v20
	v_min_u32_e32 v27, 32, v24
	v_subrev_u32_e32 v24, 28, v27
	v_lshlrev_b64 v[24:25], v24, v[6:7]
	v_lshrrev_b32_e32 v23, 3, v7
	v_sub_u32_e32 v25, 29, v27
	v_and_b32_e32 v24, 7, v24
	v_cmp_gt_u32_e32 vcc, 8, v7
	v_cndmask_b32_e32 v7, v23, v25, vcc
	v_cndmask_b32_e32 v20, v20, v24, vcc
	v_lshlrev_b32_e32 v6, 24, v6
	v_bfrev_b32_e32 v23, 60
	v_lshlrev_b32_e32 v20, 20, v20
	v_and_b32_e32 v6, 0x80000000, v6
	v_lshl_add_u32 v7, v7, 23, v23
	v_or3_b32 v6, v6, v7, v20
	v_lshrrev_b32_e32 v20, 16, v6
.LBB844_639:
	s_or_b64 exec, exec, s[10:11]
.LBB844_640:
	s_or_b64 exec, exec, s[8:9]
.LBB844_641:
	s_or_b64 exec, exec, s[2:3]
	s_mov_b32 s2, 0x5040100
	v_perm_b32 v7, v17, v18, s2
	v_perm_b32 v6, v15, v16, s2
	ds_read_b128 v[28:31], v22 offset:4096
	v_perm_b32 v17, v20, v21, s2
	v_perm_b32 v16, v14, v19, s2
	s_waitcnt lgkmcnt(0)
	v_mfma_f32_16x16x16bf16_1k v[10:13], v[6:7], v[28:29], v[10:13]
	v_mov_b32_e32 v7, 0
	v_cmp_ne_u16_sdwa s[8:9], v8, v7 src0_sel:BYTE_0 src1_sel:DWORD
	v_mov_b32_e32 v14, 0
	v_mfma_f32_16x16x16bf16_1k v[10:13], v[16:17], v[30:31], v[10:13]
	s_and_saveexec_b64 s[2:3], s[8:9]
	s_cbranch_execz .LBB844_647
; %bb.642:
	s_movk_i32 s7, 0x80
	v_cmp_ne_u16_sdwa s[10:11], v8, s7 src0_sel:BYTE_0 src1_sel:DWORD
	v_mov_b32_e32 v14, 0xffff8000
	s_and_saveexec_b64 s[8:9], s[10:11]
	s_cbranch_execz .LBB844_646
; %bb.643:
	s_movk_i32 s7, 0x7f
	v_and_b32_e32 v6, 0x7f, v8
	v_cmp_ne_u32_e32 vcc, s7, v6
	v_mov_b32_e32 v14, 0x7f80
	s_and_saveexec_b64 s[10:11], vcc
	s_cbranch_execz .LBB844_645
; %bb.644:
	v_and_b32_e32 v16, 7, v8
	v_ffbh_u32_e32 v14, v16
	v_min_u32_e32 v18, 32, v14
	v_subrev_u32_e32 v14, 28, v18
	v_lshlrev_b64 v[14:15], v14, v[8:9]
	v_lshrrev_b32_e32 v17, 3, v6
	v_sub_u32_e32 v15, 29, v18
	v_and_b32_e32 v14, 7, v14
	v_cmp_gt_u32_e32 vcc, 8, v6
	v_cndmask_b32_e32 v6, v17, v15, vcc
	v_cndmask_b32_e32 v14, v16, v14, vcc
	v_lshlrev_b32_e32 v15, 24, v8
	v_bfrev_b32_e32 v16, 60
	v_lshlrev_b32_e32 v14, 20, v14
	v_and_b32_e32 v15, 0x80000000, v15
	v_lshl_add_u32 v6, v6, 23, v16
	v_or3_b32 v6, v15, v6, v14
	v_lshrrev_b32_e32 v14, 16, v6
.LBB844_645:
	s_or_b64 exec, exec, s[10:11]
.LBB844_646:
	s_or_b64 exec, exec, s[8:9]
.LBB844_647:
	s_or_b64 exec, exec, s[2:3]
	v_lshrrev_b16_e32 v6, 8, v8
	v_cmp_ne_u16_e32 vcc, 0, v6
	s_and_saveexec_b64 s[2:3], vcc
	s_cbranch_execz .LBB844_653
; %bb.648:
	s_movk_i32 s7, 0x80
	v_cmp_ne_u16_e32 vcc, s7, v6
	v_mov_b32_e32 v7, 0xffff8000
	s_and_saveexec_b64 s[8:9], vcc
	s_cbranch_execz .LBB844_652
; %bb.649:
	s_movk_i32 s7, 0x7f
	v_and_b32_e32 v15, 0x7f, v6
	v_cmp_ne_u32_e32 vcc, s7, v15
	v_mov_b32_e32 v7, 0x7f80
	s_and_saveexec_b64 s[10:11], vcc
	s_cbranch_execz .LBB844_651
; %bb.650:
	v_and_b32_e32 v16, 7, v6
	v_ffbh_u32_e32 v7, v16
	v_min_u32_e32 v18, 32, v7
	v_subrev_u32_e32 v7, 28, v18
	v_lshlrev_b64 v[6:7], v7, v[6:7]
	v_lshrrev_b32_e32 v17, 3, v15
	v_sub_u32_e32 v7, 29, v18
	v_and_b32_e32 v6, 7, v6
	v_cmp_gt_u32_e32 vcc, 8, v15
	v_cndmask_b32_e32 v7, v17, v7, vcc
	v_cndmask_b32_e32 v6, v16, v6, vcc
	v_lshlrev_b32_e32 v15, 16, v8
	v_bfrev_b32_e32 v16, 60
	v_lshlrev_b32_e32 v6, 20, v6
	v_and_b32_e32 v15, 0x80000000, v15
	v_lshl_add_u32 v7, v7, 23, v16
	v_or3_b32 v6, v15, v7, v6
	v_lshrrev_b32_e32 v7, 16, v6
.LBB844_651:
	s_or_b64 exec, exec, s[10:11]
.LBB844_652:
	s_or_b64 exec, exec, s[8:9]
.LBB844_653:
	s_or_b64 exec, exec, s[2:3]
	s_movk_i32 s2, 0xff
	v_and_b32_sdwa v17, v8, s2 dst_sel:DWORD dst_unused:UNUSED_PAD src0_sel:WORD_1 src1_sel:DWORD
	v_lshrrev_b32_e32 v6, 16, v8
	v_cmp_ne_u16_e32 vcc, 0, v17
	v_mov_b32_e32 v15, 0
	v_mov_b32_e32 v16, 0
	s_and_saveexec_b64 s[2:3], vcc
	s_cbranch_execz .LBB844_659
; %bb.654:
	s_movk_i32 s7, 0x80
	v_cmp_ne_u16_e32 vcc, s7, v17
	v_mov_b32_e32 v16, 0xffff8000
	s_and_saveexec_b64 s[8:9], vcc
	s_cbranch_execz .LBB844_658
; %bb.655:
	v_bfe_u32 v17, v8, 16, 7
	s_movk_i32 s7, 0x7f
	v_cmp_ne_u32_e32 vcc, s7, v17
	v_mov_b32_e32 v16, 0x7f80
	s_and_saveexec_b64 s[10:11], vcc
	s_cbranch_execz .LBB844_657
; %bb.656:
	v_and_b32_e32 v16, 7, v6
	v_ffbh_u32_e32 v18, v16
	v_min_u32_e32 v21, 32, v18
	v_subrev_u32_e32 v18, 28, v21
	v_lshlrev_b64 v[18:19], v18, v[6:7]
	v_lshrrev_b32_e32 v20, 3, v17
	v_sub_u32_e32 v6, 29, v21
	v_and_b32_e32 v18, 7, v18
	v_cmp_gt_u32_e32 vcc, 8, v17
	v_mov_b32_e32 v17, 24
	v_cndmask_b32_e32 v6, v20, v6, vcc
	v_cndmask_b32_e32 v16, v16, v18, vcc
	v_lshlrev_b32_sdwa v17, v17, v8 dst_sel:DWORD dst_unused:UNUSED_PAD src0_sel:DWORD src1_sel:WORD_1
	v_bfrev_b32_e32 v18, 60
	v_lshlrev_b32_e32 v16, 20, v16
	v_and_b32_e32 v17, 0x80000000, v17
	v_lshl_add_u32 v6, v6, 23, v18
	v_or3_b32 v6, v17, v6, v16
	v_lshrrev_b32_e32 v16, 16, v6
.LBB844_657:
	s_or_b64 exec, exec, s[10:11]
.LBB844_658:
	s_or_b64 exec, exec, s[8:9]
.LBB844_659:
	s_or_b64 exec, exec, s[2:3]
	s_mov_b32 s2, 0xffffff
	v_cmp_lt_u32_e32 vcc, s2, v8
	s_and_saveexec_b64 s[2:3], vcc
	s_cbranch_execz .LBB844_665
; %bb.660:
	v_lshrrev_b32_e32 v6, 24, v8
	s_movk_i32 s7, 0x80
	v_cmp_ne_u32_e32 vcc, s7, v6
	v_mov_b32_e32 v15, 0xffff8000
	s_and_saveexec_b64 s[8:9], vcc
	s_cbranch_execz .LBB844_664
; %bb.661:
	v_bfe_u32 v8, v8, 24, 7
	s_movk_i32 s7, 0x7f
	v_cmp_ne_u32_e32 vcc, s7, v8
	v_mov_b32_e32 v15, 0x7f80
	s_and_saveexec_b64 s[10:11], vcc
	s_cbranch_execz .LBB844_663
; %bb.662:
	v_and_b32_e32 v15, 7, v6
	v_ffbh_u32_e32 v18, v15
	v_min_u32_e32 v20, 32, v18
	v_subrev_u32_e32 v18, 28, v20
	v_lshlrev_b64 v[18:19], v18, v[6:7]
	v_lshrrev_b32_e32 v17, 3, v8
	v_sub_u32_e32 v19, 29, v20
	v_and_b32_e32 v18, 7, v18
	v_cmp_gt_u32_e32 vcc, 8, v8
	v_cndmask_b32_e32 v8, v17, v19, vcc
	v_cndmask_b32_e32 v15, v15, v18, vcc
	v_lshlrev_b32_e32 v6, 24, v6
	v_bfrev_b32_e32 v17, 60
	v_lshlrev_b32_e32 v15, 20, v15
	v_and_b32_e32 v6, 0x80000000, v6
	v_lshl_add_u32 v8, v8, 23, v17
	v_or3_b32 v6, v6, v8, v15
	v_lshrrev_b32_e32 v15, 16, v6
.LBB844_663:
	s_or_b64 exec, exec, s[10:11]
.LBB844_664:
	s_or_b64 exec, exec, s[8:9]
.LBB844_665:
	s_or_b64 exec, exec, s[2:3]
	v_mov_b32_e32 v8, 0
	v_cmp_ne_u16_sdwa s[8:9], v9, v8 src0_sel:BYTE_0 src1_sel:DWORD
	v_mov_b32_e32 v17, 0
	s_and_saveexec_b64 s[2:3], s[8:9]
	s_cbranch_execz .LBB844_671
; %bb.666:
	s_movk_i32 s7, 0x80
	v_cmp_ne_u16_sdwa s[10:11], v9, s7 src0_sel:BYTE_0 src1_sel:DWORD
	v_mov_b32_e32 v17, 0xffff8000
	s_and_saveexec_b64 s[8:9], s[10:11]
	s_cbranch_execz .LBB844_670
; %bb.667:
	s_movk_i32 s7, 0x7f
	v_and_b32_e32 v6, 0x7f, v9
	v_cmp_ne_u32_e32 vcc, s7, v6
	v_mov_b32_e32 v17, 0x7f80
	s_and_saveexec_b64 s[10:11], vcc
	s_cbranch_execz .LBB844_669
; %bb.668:
	v_and_b32_e32 v17, 7, v9
	v_ffbh_u32_e32 v19, v17
	v_min_u32_e32 v21, 32, v19
	v_mov_b32_e32 v18, v9
	v_subrev_u32_e32 v19, 28, v21
	v_lshlrev_b64 v[18:19], v19, v[18:19]
	v_lshrrev_b32_e32 v20, 3, v6
	v_sub_u32_e32 v19, 29, v21
	v_and_b32_e32 v18, 7, v18
	v_cmp_gt_u32_e32 vcc, 8, v6
	v_cndmask_b32_e32 v6, v20, v19, vcc
	v_cndmask_b32_e32 v17, v17, v18, vcc
	v_lshlrev_b32_e32 v18, 24, v9
	v_bfrev_b32_e32 v19, 60
	v_lshlrev_b32_e32 v17, 20, v17
	v_and_b32_e32 v18, 0x80000000, v18
	v_lshl_add_u32 v6, v6, 23, v19
	v_or3_b32 v6, v18, v6, v17
	v_lshrrev_b32_e32 v17, 16, v6
.LBB844_669:
	s_or_b64 exec, exec, s[10:11]
.LBB844_670:
	s_or_b64 exec, exec, s[8:9]
.LBB844_671:
	s_or_b64 exec, exec, s[2:3]
	v_lshrrev_b16_e32 v6, 8, v9
	v_cmp_ne_u16_e32 vcc, 0, v6
	s_and_saveexec_b64 s[2:3], vcc
	s_cbranch_execz .LBB844_677
; %bb.672:
	s_movk_i32 s7, 0x80
	v_cmp_ne_u16_e32 vcc, s7, v6
	v_mov_b32_e32 v8, 0xffff8000
	s_and_saveexec_b64 s[8:9], vcc
	s_cbranch_execz .LBB844_676
; %bb.673:
	s_movk_i32 s7, 0x7f
	v_and_b32_e32 v18, 0x7f, v6
	v_cmp_ne_u32_e32 vcc, s7, v18
	v_mov_b32_e32 v8, 0x7f80
	s_and_saveexec_b64 s[10:11], vcc
	s_cbranch_execz .LBB844_675
; %bb.674:
	v_and_b32_e32 v8, 7, v6
	v_ffbh_u32_e32 v20, v8
	v_min_u32_e32 v23, 32, v20
	v_subrev_u32_e32 v20, 28, v23
	v_lshlrev_b64 v[20:21], v20, v[6:7]
	v_lshrrev_b32_e32 v19, 3, v18
	v_sub_u32_e32 v6, 29, v23
	v_and_b32_e32 v20, 7, v20
	v_cmp_gt_u32_e32 vcc, 8, v18
	v_cndmask_b32_e32 v6, v19, v6, vcc
	v_cndmask_b32_e32 v8, v8, v20, vcc
	v_lshlrev_b32_e32 v18, 16, v9
	v_bfrev_b32_e32 v19, 60
	v_lshlrev_b32_e32 v8, 20, v8
	v_and_b32_e32 v18, 0x80000000, v18
	v_lshl_add_u32 v6, v6, 23, v19
	v_or3_b32 v6, v18, v6, v8
	v_lshrrev_b32_e32 v8, 16, v6
.LBB844_675:
	s_or_b64 exec, exec, s[10:11]
.LBB844_676:
	s_or_b64 exec, exec, s[8:9]
.LBB844_677:
	s_or_b64 exec, exec, s[2:3]
	s_movk_i32 s2, 0xff
	v_and_b32_sdwa v20, v9, s2 dst_sel:DWORD dst_unused:UNUSED_PAD src0_sel:WORD_1 src1_sel:DWORD
	v_lshrrev_b32_e32 v6, 16, v9
	v_cmp_ne_u16_e32 vcc, 0, v20
	v_mov_b32_e32 v18, 0
	v_mov_b32_e32 v19, 0
	s_and_saveexec_b64 s[2:3], vcc
	s_cbranch_execz .LBB844_683
; %bb.678:
	s_movk_i32 s7, 0x80
	v_cmp_ne_u16_e32 vcc, s7, v20
	v_mov_b32_e32 v19, 0xffff8000
	s_and_saveexec_b64 s[8:9], vcc
	s_cbranch_execz .LBB844_682
; %bb.679:
	v_bfe_u32 v20, v9, 16, 7
	s_movk_i32 s7, 0x7f
	v_cmp_ne_u32_e32 vcc, s7, v20
	v_mov_b32_e32 v19, 0x7f80
	s_and_saveexec_b64 s[10:11], vcc
	s_cbranch_execz .LBB844_681
; %bb.680:
	v_and_b32_e32 v19, 7, v6
	v_ffbh_u32_e32 v23, v19
	v_min_u32_e32 v23, 32, v23
	v_subrev_u32_e32 v24, 28, v23
	v_lshlrev_b64 v[24:25], v24, v[6:7]
	v_lshrrev_b32_e32 v21, 3, v20
	v_sub_u32_e32 v6, 29, v23
	v_and_b32_e32 v23, 7, v24
	v_cmp_gt_u32_e32 vcc, 8, v20
	v_mov_b32_e32 v20, 24
	v_cndmask_b32_e32 v6, v21, v6, vcc
	v_cndmask_b32_e32 v19, v19, v23, vcc
	v_lshlrev_b32_sdwa v20, v20, v9 dst_sel:DWORD dst_unused:UNUSED_PAD src0_sel:DWORD src1_sel:WORD_1
	v_bfrev_b32_e32 v21, 60
	v_lshlrev_b32_e32 v19, 20, v19
	v_and_b32_e32 v20, 0x80000000, v20
	v_lshl_add_u32 v6, v6, 23, v21
	v_or3_b32 v6, v20, v6, v19
	v_lshrrev_b32_e32 v19, 16, v6
.LBB844_681:
	s_or_b64 exec, exec, s[10:11]
.LBB844_682:
	s_or_b64 exec, exec, s[8:9]
.LBB844_683:
	s_or_b64 exec, exec, s[2:3]
	s_mov_b32 s2, 0xffffff
	v_cmp_lt_u32_e32 vcc, s2, v9
	s_and_saveexec_b64 s[2:3], vcc
	s_cbranch_execz .LBB844_689
; %bb.684:
	v_lshrrev_b32_e32 v6, 24, v9
	s_movk_i32 s7, 0x80
	v_cmp_ne_u32_e32 vcc, s7, v6
	v_mov_b32_e32 v18, 0xffff8000
	s_and_saveexec_b64 s[8:9], vcc
	s_cbranch_execz .LBB844_688
; %bb.685:
	v_bfe_u32 v9, v9, 24, 7
	s_movk_i32 s7, 0x7f
	v_cmp_ne_u32_e32 vcc, s7, v9
	v_mov_b32_e32 v18, 0x7f80
	s_and_saveexec_b64 s[10:11], vcc
	s_cbranch_execz .LBB844_687
; %bb.686:
	v_and_b32_e32 v18, 7, v6
	v_ffbh_u32_e32 v20, v18
	v_min_u32_e32 v24, 32, v20
	v_subrev_u32_e32 v20, 28, v24
	v_lshlrev_b64 v[20:21], v20, v[6:7]
	v_lshrrev_b32_e32 v23, 3, v9
	v_sub_u32_e32 v21, 29, v24
	v_and_b32_e32 v20, 7, v20
	v_cmp_gt_u32_e32 vcc, 8, v9
	v_cndmask_b32_e32 v9, v23, v21, vcc
	v_cndmask_b32_e32 v18, v18, v20, vcc
	v_lshlrev_b32_e32 v6, 24, v6
	v_bfrev_b32_e32 v20, 60
	v_lshlrev_b32_e32 v18, 20, v18
	v_and_b32_e32 v6, 0x80000000, v6
	v_lshl_add_u32 v9, v9, 23, v20
	v_or3_b32 v6, v6, v9, v18
	v_lshrrev_b32_e32 v18, 16, v6
.LBB844_687:
	s_or_b64 exec, exec, s[10:11]
.LBB844_688:
	s_or_b64 exec, exec, s[8:9]
.LBB844_689:
	s_or_b64 exec, exec, s[2:3]
	s_mov_b32 s2, 0x5040100
	v_perm_b32 v15, v15, v16, s2
	v_perm_b32 v14, v7, v14, s2
	ds_read_b128 v[28:31], v22 offset:4112
	v_perm_b32 v7, v18, v19, s2
	v_perm_b32 v6, v8, v17, s2
	s_waitcnt lgkmcnt(0)
	v_mfma_f32_16x16x16bf16_1k v[32:35], v[14:15], v[28:29], v[10:13]
	s_nop 6
	v_mov_b32_e32 v11, 0
	s_waitcnt vmcnt(0)
	v_cmp_ne_u16_sdwa s[8:9], v2, v11 src0_sel:BYTE_0 src1_sel:DWORD
	v_mfma_f32_16x16x16bf16_1k v[6:9], v[6:7], v[30:31], v[32:35]
	v_mov_b32_e32 v12, 0
	s_and_saveexec_b64 s[2:3], s[8:9]
	s_cbranch_execz .LBB844_695
; %bb.690:
	s_movk_i32 s7, 0x80
	v_cmp_ne_u16_sdwa s[10:11], v2, s7 src0_sel:BYTE_0 src1_sel:DWORD
	v_mov_b32_e32 v12, 0xffff8000
	s_and_saveexec_b64 s[8:9], s[10:11]
	s_cbranch_execz .LBB844_694
; %bb.691:
	s_movk_i32 s7, 0x7f
	v_and_b32_e32 v10, 0x7f, v2
	v_cmp_ne_u32_e32 vcc, s7, v10
	v_mov_b32_e32 v12, 0x7f80
	s_and_saveexec_b64 s[10:11], vcc
	s_cbranch_execz .LBB844_693
; %bb.692:
	v_and_b32_e32 v14, 7, v2
	v_ffbh_u32_e32 v12, v14
	v_min_u32_e32 v16, 32, v12
	v_subrev_u32_e32 v12, 28, v16
	v_lshlrev_b64 v[12:13], v12, v[2:3]
	v_lshrrev_b32_e32 v15, 3, v10
	v_sub_u32_e32 v13, 29, v16
	v_and_b32_e32 v12, 7, v12
	v_cmp_gt_u32_e32 vcc, 8, v10
	v_cndmask_b32_e32 v10, v15, v13, vcc
	v_cndmask_b32_e32 v12, v14, v12, vcc
	v_lshlrev_b32_e32 v13, 24, v2
	v_bfrev_b32_e32 v14, 60
	v_lshlrev_b32_e32 v12, 20, v12
	v_and_b32_e32 v13, 0x80000000, v13
	v_lshl_add_u32 v10, v10, 23, v14
	v_or3_b32 v10, v13, v10, v12
	v_lshrrev_b32_e32 v12, 16, v10
.LBB844_693:
	s_or_b64 exec, exec, s[10:11]
.LBB844_694:
	s_or_b64 exec, exec, s[8:9]
.LBB844_695:
	s_or_b64 exec, exec, s[2:3]
	v_lshrrev_b16_e32 v10, 8, v2
	v_cmp_ne_u16_e32 vcc, 0, v10
	s_and_saveexec_b64 s[2:3], vcc
	s_cbranch_execz .LBB844_701
; %bb.696:
	s_movk_i32 s7, 0x80
	v_cmp_ne_u16_e32 vcc, s7, v10
	v_mov_b32_e32 v11, 0xffff8000
	s_and_saveexec_b64 s[8:9], vcc
	s_cbranch_execz .LBB844_700
; %bb.697:
	s_movk_i32 s7, 0x7f
	v_and_b32_e32 v13, 0x7f, v10
	v_cmp_ne_u32_e32 vcc, s7, v13
	v_mov_b32_e32 v11, 0x7f80
	s_and_saveexec_b64 s[10:11], vcc
	s_cbranch_execz .LBB844_699
; %bb.698:
	v_and_b32_e32 v14, 7, v10
	v_ffbh_u32_e32 v11, v14
	v_min_u32_e32 v16, 32, v11
	v_subrev_u32_e32 v11, 28, v16
	v_lshlrev_b64 v[10:11], v11, v[10:11]
	v_lshrrev_b32_e32 v15, 3, v13
	v_sub_u32_e32 v11, 29, v16
	v_and_b32_e32 v10, 7, v10
	v_cmp_gt_u32_e32 vcc, 8, v13
	v_cndmask_b32_e32 v11, v15, v11, vcc
	v_cndmask_b32_e32 v10, v14, v10, vcc
	v_lshlrev_b32_e32 v13, 16, v2
	v_bfrev_b32_e32 v14, 60
	v_lshlrev_b32_e32 v10, 20, v10
	v_and_b32_e32 v13, 0x80000000, v13
	v_lshl_add_u32 v11, v11, 23, v14
	v_or3_b32 v10, v13, v11, v10
	v_lshrrev_b32_e32 v11, 16, v10
.LBB844_699:
	s_or_b64 exec, exec, s[10:11]
.LBB844_700:
	s_or_b64 exec, exec, s[8:9]
.LBB844_701:
	s_or_b64 exec, exec, s[2:3]
	s_movk_i32 s2, 0xff
	v_and_b32_sdwa v15, v2, s2 dst_sel:DWORD dst_unused:UNUSED_PAD src0_sel:WORD_1 src1_sel:DWORD
	v_lshrrev_b32_e32 v10, 16, v2
	v_cmp_ne_u16_e32 vcc, 0, v15
	v_mov_b32_e32 v13, 0
	v_mov_b32_e32 v14, 0
	s_and_saveexec_b64 s[2:3], vcc
	s_cbranch_execz .LBB844_707
; %bb.702:
	s_movk_i32 s7, 0x80
	v_cmp_ne_u16_e32 vcc, s7, v15
	v_mov_b32_e32 v14, 0xffff8000
	s_and_saveexec_b64 s[8:9], vcc
	s_cbranch_execz .LBB844_706
; %bb.703:
	v_bfe_u32 v15, v2, 16, 7
	s_movk_i32 s7, 0x7f
	v_cmp_ne_u32_e32 vcc, s7, v15
	v_mov_b32_e32 v14, 0x7f80
	s_and_saveexec_b64 s[10:11], vcc
	s_cbranch_execz .LBB844_705
; %bb.704:
	v_and_b32_e32 v14, 7, v10
	v_ffbh_u32_e32 v16, v14
	v_min_u32_e32 v19, 32, v16
	v_subrev_u32_e32 v16, 28, v19
	v_lshlrev_b64 v[16:17], v16, v[10:11]
	v_lshrrev_b32_e32 v18, 3, v15
	v_sub_u32_e32 v10, 29, v19
	v_and_b32_e32 v16, 7, v16
	v_cmp_gt_u32_e32 vcc, 8, v15
	v_mov_b32_e32 v15, 24
	v_cndmask_b32_e32 v10, v18, v10, vcc
	v_cndmask_b32_e32 v14, v14, v16, vcc
	v_lshlrev_b32_sdwa v15, v15, v2 dst_sel:DWORD dst_unused:UNUSED_PAD src0_sel:DWORD src1_sel:WORD_1
	v_bfrev_b32_e32 v16, 60
	v_lshlrev_b32_e32 v14, 20, v14
	v_and_b32_e32 v15, 0x80000000, v15
	v_lshl_add_u32 v10, v10, 23, v16
	v_or3_b32 v10, v15, v10, v14
	v_lshrrev_b32_e32 v14, 16, v10
.LBB844_705:
	s_or_b64 exec, exec, s[10:11]
.LBB844_706:
	s_or_b64 exec, exec, s[8:9]
.LBB844_707:
	s_or_b64 exec, exec, s[2:3]
	s_mov_b32 s2, 0xffffff
	v_cmp_lt_u32_e32 vcc, s2, v2
	s_and_saveexec_b64 s[2:3], vcc
	s_cbranch_execz .LBB844_713
; %bb.708:
	v_lshrrev_b32_e32 v10, 24, v2
	s_movk_i32 s7, 0x80
	v_cmp_ne_u32_e32 vcc, s7, v10
	v_mov_b32_e32 v13, 0xffff8000
	s_and_saveexec_b64 s[8:9], vcc
	s_cbranch_execz .LBB844_712
; %bb.709:
	v_bfe_u32 v2, v2, 24, 7
	s_movk_i32 s7, 0x7f
	v_cmp_ne_u32_e32 vcc, s7, v2
	v_mov_b32_e32 v13, 0x7f80
	s_and_saveexec_b64 s[10:11], vcc
	s_cbranch_execz .LBB844_711
; %bb.710:
	v_and_b32_e32 v13, 7, v10
	v_ffbh_u32_e32 v16, v13
	v_min_u32_e32 v18, 32, v16
	v_subrev_u32_e32 v16, 28, v18
	v_lshlrev_b64 v[16:17], v16, v[10:11]
	v_lshrrev_b32_e32 v15, 3, v2
	v_sub_u32_e32 v17, 29, v18
	v_and_b32_e32 v16, 7, v16
	v_cmp_gt_u32_e32 vcc, 8, v2
	v_cndmask_b32_e32 v2, v15, v17, vcc
	v_cndmask_b32_e32 v13, v13, v16, vcc
	v_lshlrev_b32_e32 v10, 24, v10
	v_bfrev_b32_e32 v15, 60
	v_lshlrev_b32_e32 v13, 20, v13
	v_and_b32_e32 v10, 0x80000000, v10
	v_lshl_add_u32 v2, v2, 23, v15
	v_or3_b32 v2, v10, v2, v13
	v_lshrrev_b32_e32 v13, 16, v2
.LBB844_711:
	s_or_b64 exec, exec, s[10:11]
.LBB844_712:
	s_or_b64 exec, exec, s[8:9]
.LBB844_713:
	s_or_b64 exec, exec, s[2:3]
	v_mov_b32_e32 v10, 0
	v_cmp_ne_u16_sdwa s[8:9], v3, v10 src0_sel:BYTE_0 src1_sel:DWORD
	v_mov_b32_e32 v15, 0
	s_and_saveexec_b64 s[2:3], s[8:9]
	s_cbranch_execz .LBB844_719
; %bb.714:
	s_movk_i32 s7, 0x80
	v_cmp_ne_u16_sdwa s[10:11], v3, s7 src0_sel:BYTE_0 src1_sel:DWORD
	v_mov_b32_e32 v15, 0xffff8000
	s_and_saveexec_b64 s[8:9], s[10:11]
	s_cbranch_execz .LBB844_718
; %bb.715:
	s_movk_i32 s7, 0x7f
	v_and_b32_e32 v2, 0x7f, v3
	v_cmp_ne_u32_e32 vcc, s7, v2
	v_mov_b32_e32 v15, 0x7f80
	s_and_saveexec_b64 s[10:11], vcc
	s_cbranch_execz .LBB844_717
; %bb.716:
	v_and_b32_e32 v15, 7, v3
	v_ffbh_u32_e32 v17, v15
	v_min_u32_e32 v19, 32, v17
	v_mov_b32_e32 v16, v3
	v_subrev_u32_e32 v17, 28, v19
	v_lshlrev_b64 v[16:17], v17, v[16:17]
	v_lshrrev_b32_e32 v18, 3, v2
	v_sub_u32_e32 v17, 29, v19
	v_and_b32_e32 v16, 7, v16
	v_cmp_gt_u32_e32 vcc, 8, v2
	v_cndmask_b32_e32 v2, v18, v17, vcc
	v_cndmask_b32_e32 v15, v15, v16, vcc
	v_lshlrev_b32_e32 v16, 24, v3
	v_bfrev_b32_e32 v17, 60
	v_lshlrev_b32_e32 v15, 20, v15
	v_and_b32_e32 v16, 0x80000000, v16
	v_lshl_add_u32 v2, v2, 23, v17
	v_or3_b32 v2, v16, v2, v15
	v_lshrrev_b32_e32 v15, 16, v2
.LBB844_717:
	s_or_b64 exec, exec, s[10:11]
.LBB844_718:
	s_or_b64 exec, exec, s[8:9]
.LBB844_719:
	s_or_b64 exec, exec, s[2:3]
	v_lshrrev_b16_e32 v2, 8, v3
	v_cmp_ne_u16_e32 vcc, 0, v2
	s_and_saveexec_b64 s[2:3], vcc
	s_cbranch_execz .LBB844_725
; %bb.720:
	s_movk_i32 s7, 0x80
	v_cmp_ne_u16_e32 vcc, s7, v2
	v_mov_b32_e32 v10, 0xffff8000
	s_and_saveexec_b64 s[8:9], vcc
	s_cbranch_execz .LBB844_724
; %bb.721:
	s_movk_i32 s7, 0x7f
	v_and_b32_e32 v16, 0x7f, v2
	v_cmp_ne_u32_e32 vcc, s7, v16
	v_mov_b32_e32 v10, 0x7f80
	s_and_saveexec_b64 s[10:11], vcc
	s_cbranch_execz .LBB844_723
; %bb.722:
	v_and_b32_e32 v10, 7, v2
	v_ffbh_u32_e32 v18, v10
	v_min_u32_e32 v20, 32, v18
	v_subrev_u32_e32 v18, 28, v20
	v_lshlrev_b64 v[18:19], v18, v[2:3]
	v_lshrrev_b32_e32 v17, 3, v16
	v_sub_u32_e32 v2, 29, v20
	v_and_b32_e32 v18, 7, v18
	v_cmp_gt_u32_e32 vcc, 8, v16
	v_cndmask_b32_e32 v2, v17, v2, vcc
	v_cndmask_b32_e32 v10, v10, v18, vcc
	v_lshlrev_b32_e32 v16, 16, v3
	v_bfrev_b32_e32 v17, 60
	v_lshlrev_b32_e32 v10, 20, v10
	v_and_b32_e32 v16, 0x80000000, v16
	v_lshl_add_u32 v2, v2, 23, v17
	v_or3_b32 v2, v16, v2, v10
	v_lshrrev_b32_e32 v10, 16, v2
.LBB844_723:
	s_or_b64 exec, exec, s[10:11]
.LBB844_724:
	s_or_b64 exec, exec, s[8:9]
.LBB844_725:
	s_or_b64 exec, exec, s[2:3]
	s_movk_i32 s2, 0xff
	v_and_b32_sdwa v18, v3, s2 dst_sel:DWORD dst_unused:UNUSED_PAD src0_sel:WORD_1 src1_sel:DWORD
	v_lshrrev_b32_e32 v2, 16, v3
	v_cmp_ne_u16_e32 vcc, 0, v18
	v_mov_b32_e32 v16, 0
	v_mov_b32_e32 v17, 0
	s_and_saveexec_b64 s[2:3], vcc
	s_cbranch_execz .LBB844_731
; %bb.726:
	s_movk_i32 s7, 0x80
	v_cmp_ne_u16_e32 vcc, s7, v18
	v_mov_b32_e32 v17, 0xffff8000
	s_and_saveexec_b64 s[8:9], vcc
	s_cbranch_execz .LBB844_730
; %bb.727:
	v_bfe_u32 v18, v3, 16, 7
	s_movk_i32 s7, 0x7f
	v_cmp_ne_u32_e32 vcc, s7, v18
	v_mov_b32_e32 v17, 0x7f80
	s_and_saveexec_b64 s[10:11], vcc
	s_cbranch_execz .LBB844_729
; %bb.728:
	v_and_b32_e32 v17, 7, v2
	v_ffbh_u32_e32 v20, v17
	v_min_u32_e32 v23, 32, v20
	v_subrev_u32_e32 v20, 28, v23
	v_lshlrev_b64 v[20:21], v20, v[2:3]
	v_lshrrev_b32_e32 v19, 3, v18
	v_sub_u32_e32 v2, 29, v23
	v_and_b32_e32 v20, 7, v20
	v_cmp_gt_u32_e32 vcc, 8, v18
	v_mov_b32_e32 v18, 24
	v_cndmask_b32_e32 v2, v19, v2, vcc
	v_cndmask_b32_e32 v17, v17, v20, vcc
	v_lshlrev_b32_sdwa v18, v18, v3 dst_sel:DWORD dst_unused:UNUSED_PAD src0_sel:DWORD src1_sel:WORD_1
	v_bfrev_b32_e32 v19, 60
	v_lshlrev_b32_e32 v17, 20, v17
	v_and_b32_e32 v18, 0x80000000, v18
	v_lshl_add_u32 v2, v2, 23, v19
	v_or3_b32 v2, v18, v2, v17
	v_lshrrev_b32_e32 v17, 16, v2
.LBB844_729:
	s_or_b64 exec, exec, s[10:11]
.LBB844_730:
	s_or_b64 exec, exec, s[8:9]
.LBB844_731:
	s_or_b64 exec, exec, s[2:3]
	s_mov_b32 s2, 0xffffff
	v_cmp_lt_u32_e32 vcc, s2, v3
	s_and_saveexec_b64 s[2:3], vcc
	s_cbranch_execz .LBB844_737
; %bb.732:
	v_lshrrev_b32_e32 v2, 24, v3
	s_movk_i32 s7, 0x80
	v_cmp_ne_u32_e32 vcc, s7, v2
	v_mov_b32_e32 v16, 0xffff8000
	s_and_saveexec_b64 s[8:9], vcc
	s_cbranch_execz .LBB844_736
; %bb.733:
	v_bfe_u32 v3, v3, 24, 7
	s_movk_i32 s7, 0x7f
	v_cmp_ne_u32_e32 vcc, s7, v3
	v_mov_b32_e32 v16, 0x7f80
	s_and_saveexec_b64 s[10:11], vcc
	s_cbranch_execz .LBB844_735
; %bb.734:
	v_and_b32_e32 v16, 7, v2
	v_ffbh_u32_e32 v18, v16
	v_min_u32_e32 v21, 32, v18
	v_subrev_u32_e32 v18, 28, v21
	v_lshlrev_b64 v[18:19], v18, v[2:3]
	v_lshrrev_b32_e32 v20, 3, v3
	v_sub_u32_e32 v19, 29, v21
	v_and_b32_e32 v18, 7, v18
	v_cmp_gt_u32_e32 vcc, 8, v3
	v_cndmask_b32_e32 v3, v20, v19, vcc
	v_cndmask_b32_e32 v16, v16, v18, vcc
	v_lshlrev_b32_e32 v2, 24, v2
	v_bfrev_b32_e32 v18, 60
	v_lshlrev_b32_e32 v16, 20, v16
	v_and_b32_e32 v2, 0x80000000, v2
	v_lshl_add_u32 v3, v3, 23, v18
	v_or3_b32 v2, v2, v3, v16
	v_lshrrev_b32_e32 v16, 16, v2
.LBB844_735:
	s_or_b64 exec, exec, s[10:11]
.LBB844_736:
	s_or_b64 exec, exec, s[8:9]
.LBB844_737:
	s_or_b64 exec, exec, s[2:3]
	s_mov_b32 s2, 0x5040100
	v_perm_b32 v3, v13, v14, s2
	v_perm_b32 v2, v11, v12, s2
	ds_read_b128 v[18:21], v22 offset:6144
	v_perm_b32 v13, v16, v17, s2
	v_perm_b32 v12, v10, v15, s2
	s_waitcnt lgkmcnt(0)
	v_mfma_f32_16x16x16bf16_1k v[6:9], v[2:3], v[18:19], v[6:9]
	v_mov_b32_e32 v3, 0
	v_cmp_ne_u16_sdwa s[8:9], v4, v3 src0_sel:BYTE_0 src1_sel:DWORD
	v_mov_b32_e32 v10, 0
	v_mfma_f32_16x16x16bf16_1k v[6:9], v[12:13], v[20:21], v[6:9]
	s_and_saveexec_b64 s[2:3], s[8:9]
	s_cbranch_execz .LBB844_743
; %bb.738:
	s_movk_i32 s7, 0x80
	v_cmp_ne_u16_sdwa s[10:11], v4, s7 src0_sel:BYTE_0 src1_sel:DWORD
	v_mov_b32_e32 v10, 0xffff8000
	s_and_saveexec_b64 s[8:9], s[10:11]
	s_cbranch_execz .LBB844_742
; %bb.739:
	s_movk_i32 s7, 0x7f
	v_and_b32_e32 v2, 0x7f, v4
	v_cmp_ne_u32_e32 vcc, s7, v2
	v_mov_b32_e32 v10, 0x7f80
	s_and_saveexec_b64 s[10:11], vcc
	s_cbranch_execz .LBB844_741
; %bb.740:
	v_and_b32_e32 v12, 7, v4
	v_ffbh_u32_e32 v10, v12
	v_min_u32_e32 v14, 32, v10
	v_subrev_u32_e32 v10, 28, v14
	v_lshlrev_b64 v[10:11], v10, v[4:5]
	v_lshrrev_b32_e32 v13, 3, v2
	v_sub_u32_e32 v11, 29, v14
	v_and_b32_e32 v10, 7, v10
	v_cmp_gt_u32_e32 vcc, 8, v2
	v_cndmask_b32_e32 v2, v13, v11, vcc
	v_cndmask_b32_e32 v10, v12, v10, vcc
	v_lshlrev_b32_e32 v11, 24, v4
	v_bfrev_b32_e32 v12, 60
	v_lshlrev_b32_e32 v10, 20, v10
	v_and_b32_e32 v11, 0x80000000, v11
	v_lshl_add_u32 v2, v2, 23, v12
	v_or3_b32 v2, v11, v2, v10
	v_lshrrev_b32_e32 v10, 16, v2
.LBB844_741:
	s_or_b64 exec, exec, s[10:11]
.LBB844_742:
	s_or_b64 exec, exec, s[8:9]
.LBB844_743:
	s_or_b64 exec, exec, s[2:3]
	v_lshrrev_b16_e32 v2, 8, v4
	v_cmp_ne_u16_e32 vcc, 0, v2
	s_and_saveexec_b64 s[2:3], vcc
	s_cbranch_execz .LBB844_749
; %bb.744:
	s_movk_i32 s7, 0x80
	v_cmp_ne_u16_e32 vcc, s7, v2
	v_mov_b32_e32 v3, 0xffff8000
	s_and_saveexec_b64 s[8:9], vcc
	s_cbranch_execz .LBB844_748
; %bb.745:
	s_movk_i32 s7, 0x7f
	v_and_b32_e32 v11, 0x7f, v2
	v_cmp_ne_u32_e32 vcc, s7, v11
	v_mov_b32_e32 v3, 0x7f80
	s_and_saveexec_b64 s[10:11], vcc
	s_cbranch_execz .LBB844_747
; %bb.746:
	v_and_b32_e32 v12, 7, v2
	v_ffbh_u32_e32 v3, v12
	v_min_u32_e32 v14, 32, v3
	v_subrev_u32_e32 v3, 28, v14
	v_lshlrev_b64 v[2:3], v3, v[2:3]
	v_lshrrev_b32_e32 v13, 3, v11
	v_sub_u32_e32 v3, 29, v14
	v_and_b32_e32 v2, 7, v2
	v_cmp_gt_u32_e32 vcc, 8, v11
	v_cndmask_b32_e32 v3, v13, v3, vcc
	v_cndmask_b32_e32 v2, v12, v2, vcc
	v_lshlrev_b32_e32 v11, 16, v4
	v_bfrev_b32_e32 v12, 60
	v_lshlrev_b32_e32 v2, 20, v2
	v_and_b32_e32 v11, 0x80000000, v11
	v_lshl_add_u32 v3, v3, 23, v12
	v_or3_b32 v2, v11, v3, v2
	v_lshrrev_b32_e32 v3, 16, v2
.LBB844_747:
	s_or_b64 exec, exec, s[10:11]
.LBB844_748:
	s_or_b64 exec, exec, s[8:9]
.LBB844_749:
	s_or_b64 exec, exec, s[2:3]
	s_movk_i32 s2, 0xff
	v_and_b32_sdwa v13, v4, s2 dst_sel:DWORD dst_unused:UNUSED_PAD src0_sel:WORD_1 src1_sel:DWORD
	v_lshrrev_b32_e32 v2, 16, v4
	v_cmp_ne_u16_e32 vcc, 0, v13
	v_mov_b32_e32 v11, 0
	v_mov_b32_e32 v12, 0
	s_and_saveexec_b64 s[2:3], vcc
	s_cbranch_execz .LBB844_755
; %bb.750:
	s_movk_i32 s7, 0x80
	v_cmp_ne_u16_e32 vcc, s7, v13
	v_mov_b32_e32 v12, 0xffff8000
	s_and_saveexec_b64 s[8:9], vcc
	s_cbranch_execz .LBB844_754
; %bb.751:
	v_bfe_u32 v13, v4, 16, 7
	s_movk_i32 s7, 0x7f
	v_cmp_ne_u32_e32 vcc, s7, v13
	v_mov_b32_e32 v12, 0x7f80
	s_and_saveexec_b64 s[10:11], vcc
	s_cbranch_execz .LBB844_753
; %bb.752:
	v_and_b32_e32 v12, 7, v2
	v_ffbh_u32_e32 v14, v12
	v_min_u32_e32 v17, 32, v14
	v_subrev_u32_e32 v14, 28, v17
	v_lshlrev_b64 v[14:15], v14, v[2:3]
	v_lshrrev_b32_e32 v16, 3, v13
	v_sub_u32_e32 v2, 29, v17
	v_and_b32_e32 v14, 7, v14
	v_cmp_gt_u32_e32 vcc, 8, v13
	v_mov_b32_e32 v13, 24
	v_cndmask_b32_e32 v2, v16, v2, vcc
	v_cndmask_b32_e32 v12, v12, v14, vcc
	v_lshlrev_b32_sdwa v13, v13, v4 dst_sel:DWORD dst_unused:UNUSED_PAD src0_sel:DWORD src1_sel:WORD_1
	v_bfrev_b32_e32 v14, 60
	v_lshlrev_b32_e32 v12, 20, v12
	v_and_b32_e32 v13, 0x80000000, v13
	v_lshl_add_u32 v2, v2, 23, v14
	v_or3_b32 v2, v13, v2, v12
	v_lshrrev_b32_e32 v12, 16, v2
.LBB844_753:
	s_or_b64 exec, exec, s[10:11]
.LBB844_754:
	s_or_b64 exec, exec, s[8:9]
.LBB844_755:
	s_or_b64 exec, exec, s[2:3]
	s_mov_b32 s2, 0xffffff
	v_cmp_lt_u32_e32 vcc, s2, v4
	s_and_saveexec_b64 s[2:3], vcc
	s_cbranch_execz .LBB844_761
; %bb.756:
	v_lshrrev_b32_e32 v2, 24, v4
	s_movk_i32 s7, 0x80
	v_cmp_ne_u32_e32 vcc, s7, v2
	v_mov_b32_e32 v11, 0xffff8000
	s_and_saveexec_b64 s[8:9], vcc
	s_cbranch_execz .LBB844_760
; %bb.757:
	v_bfe_u32 v4, v4, 24, 7
	s_movk_i32 s7, 0x7f
	v_cmp_ne_u32_e32 vcc, s7, v4
	v_mov_b32_e32 v11, 0x7f80
	s_and_saveexec_b64 s[10:11], vcc
	s_cbranch_execz .LBB844_759
; %bb.758:
	v_and_b32_e32 v11, 7, v2
	v_ffbh_u32_e32 v14, v11
	v_min_u32_e32 v16, 32, v14
	v_subrev_u32_e32 v14, 28, v16
	v_lshlrev_b64 v[14:15], v14, v[2:3]
	v_lshrrev_b32_e32 v13, 3, v4
	v_sub_u32_e32 v15, 29, v16
	v_and_b32_e32 v14, 7, v14
	v_cmp_gt_u32_e32 vcc, 8, v4
	v_cndmask_b32_e32 v4, v13, v15, vcc
	v_cndmask_b32_e32 v11, v11, v14, vcc
	v_lshlrev_b32_e32 v2, 24, v2
	v_bfrev_b32_e32 v13, 60
	v_lshlrev_b32_e32 v11, 20, v11
	v_and_b32_e32 v2, 0x80000000, v2
	v_lshl_add_u32 v4, v4, 23, v13
	v_or3_b32 v2, v2, v4, v11
	v_lshrrev_b32_e32 v11, 16, v2
.LBB844_759:
	s_or_b64 exec, exec, s[10:11]
.LBB844_760:
	s_or_b64 exec, exec, s[8:9]
.LBB844_761:
	s_or_b64 exec, exec, s[2:3]
	v_mov_b32_e32 v4, 0
	v_cmp_ne_u16_sdwa s[8:9], v5, v4 src0_sel:BYTE_0 src1_sel:DWORD
	v_mov_b32_e32 v13, 0
	s_and_saveexec_b64 s[2:3], s[8:9]
	s_cbranch_execz .LBB844_767
; %bb.762:
	s_movk_i32 s7, 0x80
	v_cmp_ne_u16_sdwa s[10:11], v5, s7 src0_sel:BYTE_0 src1_sel:DWORD
	v_mov_b32_e32 v13, 0xffff8000
	s_and_saveexec_b64 s[8:9], s[10:11]
	s_cbranch_execz .LBB844_766
; %bb.763:
	s_movk_i32 s7, 0x7f
	v_and_b32_e32 v2, 0x7f, v5
	v_cmp_ne_u32_e32 vcc, s7, v2
	v_mov_b32_e32 v13, 0x7f80
	s_and_saveexec_b64 s[10:11], vcc
	s_cbranch_execz .LBB844_765
; %bb.764:
	v_and_b32_e32 v13, 7, v5
	v_ffbh_u32_e32 v15, v13
	v_min_u32_e32 v17, 32, v15
	v_mov_b32_e32 v14, v5
	v_subrev_u32_e32 v15, 28, v17
	v_lshlrev_b64 v[14:15], v15, v[14:15]
	v_lshrrev_b32_e32 v16, 3, v2
	v_sub_u32_e32 v15, 29, v17
	v_and_b32_e32 v14, 7, v14
	v_cmp_gt_u32_e32 vcc, 8, v2
	v_cndmask_b32_e32 v2, v16, v15, vcc
	v_cndmask_b32_e32 v13, v13, v14, vcc
	v_lshlrev_b32_e32 v14, 24, v5
	v_bfrev_b32_e32 v15, 60
	v_lshlrev_b32_e32 v13, 20, v13
	v_and_b32_e32 v14, 0x80000000, v14
	v_lshl_add_u32 v2, v2, 23, v15
	v_or3_b32 v2, v14, v2, v13
	v_lshrrev_b32_e32 v13, 16, v2
.LBB844_765:
	s_or_b64 exec, exec, s[10:11]
.LBB844_766:
	s_or_b64 exec, exec, s[8:9]
.LBB844_767:
	s_or_b64 exec, exec, s[2:3]
	v_lshrrev_b16_e32 v2, 8, v5
	v_cmp_ne_u16_e32 vcc, 0, v2
	s_and_saveexec_b64 s[2:3], vcc
	s_cbranch_execz .LBB844_773
; %bb.768:
	s_movk_i32 s7, 0x80
	v_cmp_ne_u16_e32 vcc, s7, v2
	v_mov_b32_e32 v4, 0xffff8000
	s_and_saveexec_b64 s[8:9], vcc
	s_cbranch_execz .LBB844_772
; %bb.769:
	s_movk_i32 s7, 0x7f
	v_and_b32_e32 v14, 0x7f, v2
	v_cmp_ne_u32_e32 vcc, s7, v14
	v_mov_b32_e32 v4, 0x7f80
	s_and_saveexec_b64 s[10:11], vcc
	s_cbranch_execz .LBB844_771
; %bb.770:
	v_and_b32_e32 v4, 7, v2
	v_ffbh_u32_e32 v16, v4
	v_min_u32_e32 v18, 32, v16
	v_subrev_u32_e32 v16, 28, v18
	v_lshlrev_b64 v[16:17], v16, v[2:3]
	v_lshrrev_b32_e32 v15, 3, v14
	v_sub_u32_e32 v2, 29, v18
	v_and_b32_e32 v16, 7, v16
	v_cmp_gt_u32_e32 vcc, 8, v14
	v_cndmask_b32_e32 v2, v15, v2, vcc
	v_cndmask_b32_e32 v4, v4, v16, vcc
	v_lshlrev_b32_e32 v14, 16, v5
	v_bfrev_b32_e32 v15, 60
	v_lshlrev_b32_e32 v4, 20, v4
	v_and_b32_e32 v14, 0x80000000, v14
	v_lshl_add_u32 v2, v2, 23, v15
	v_or3_b32 v2, v14, v2, v4
	v_lshrrev_b32_e32 v4, 16, v2
.LBB844_771:
	s_or_b64 exec, exec, s[10:11]
.LBB844_772:
	s_or_b64 exec, exec, s[8:9]
.LBB844_773:
	s_or_b64 exec, exec, s[2:3]
	s_movk_i32 s2, 0xff
	v_and_b32_sdwa v16, v5, s2 dst_sel:DWORD dst_unused:UNUSED_PAD src0_sel:WORD_1 src1_sel:DWORD
	v_lshrrev_b32_e32 v2, 16, v5
	v_cmp_ne_u16_e32 vcc, 0, v16
	v_mov_b32_e32 v14, 0
	v_mov_b32_e32 v15, 0
	s_and_saveexec_b64 s[2:3], vcc
	s_cbranch_execz .LBB844_779
; %bb.774:
	s_movk_i32 s7, 0x80
	v_cmp_ne_u16_e32 vcc, s7, v16
	v_mov_b32_e32 v15, 0xffff8000
	s_and_saveexec_b64 s[8:9], vcc
	s_cbranch_execz .LBB844_778
; %bb.775:
	v_bfe_u32 v16, v5, 16, 7
	s_movk_i32 s7, 0x7f
	v_cmp_ne_u32_e32 vcc, s7, v16
	v_mov_b32_e32 v15, 0x7f80
	s_and_saveexec_b64 s[10:11], vcc
	s_cbranch_execz .LBB844_777
; %bb.776:
	v_and_b32_e32 v15, 7, v2
	v_ffbh_u32_e32 v18, v15
	v_min_u32_e32 v20, 32, v18
	v_subrev_u32_e32 v18, 28, v20
	v_lshlrev_b64 v[18:19], v18, v[2:3]
	v_lshrrev_b32_e32 v17, 3, v16
	v_sub_u32_e32 v2, 29, v20
	v_and_b32_e32 v18, 7, v18
	v_cmp_gt_u32_e32 vcc, 8, v16
	v_mov_b32_e32 v16, 24
	v_cndmask_b32_e32 v2, v17, v2, vcc
	v_cndmask_b32_e32 v15, v15, v18, vcc
	v_lshlrev_b32_sdwa v16, v16, v5 dst_sel:DWORD dst_unused:UNUSED_PAD src0_sel:DWORD src1_sel:WORD_1
	v_bfrev_b32_e32 v17, 60
	v_lshlrev_b32_e32 v15, 20, v15
	v_and_b32_e32 v16, 0x80000000, v16
	v_lshl_add_u32 v2, v2, 23, v17
	v_or3_b32 v2, v16, v2, v15
	v_lshrrev_b32_e32 v15, 16, v2
.LBB844_777:
	s_or_b64 exec, exec, s[10:11]
.LBB844_778:
	s_or_b64 exec, exec, s[8:9]
.LBB844_779:
	s_or_b64 exec, exec, s[2:3]
	s_mov_b32 s2, 0xffffff
	v_cmp_lt_u32_e32 vcc, s2, v5
	s_and_saveexec_b64 s[2:3], vcc
	s_cbranch_execz .LBB844_785
; %bb.780:
	v_lshrrev_b32_e32 v2, 24, v5
	s_movk_i32 s7, 0x80
	v_cmp_ne_u32_e32 vcc, s7, v2
	v_mov_b32_e32 v14, 0xffff8000
	s_and_saveexec_b64 s[8:9], vcc
	s_cbranch_execz .LBB844_784
; %bb.781:
	v_bfe_u32 v5, v5, 24, 7
	s_movk_i32 s7, 0x7f
	v_cmp_ne_u32_e32 vcc, s7, v5
	v_mov_b32_e32 v14, 0x7f80
	s_and_saveexec_b64 s[10:11], vcc
	s_cbranch_execz .LBB844_783
; %bb.782:
	v_and_b32_e32 v14, 7, v2
	v_ffbh_u32_e32 v16, v14
	v_min_u32_e32 v19, 32, v16
	v_subrev_u32_e32 v16, 28, v19
	v_lshlrev_b64 v[16:17], v16, v[2:3]
	v_lshrrev_b32_e32 v18, 3, v5
	v_sub_u32_e32 v17, 29, v19
	v_and_b32_e32 v16, 7, v16
	v_cmp_gt_u32_e32 vcc, 8, v5
	v_cndmask_b32_e32 v5, v18, v17, vcc
	v_cndmask_b32_e32 v14, v14, v16, vcc
	v_lshlrev_b32_e32 v2, 24, v2
	v_bfrev_b32_e32 v16, 60
	v_lshlrev_b32_e32 v14, 20, v14
	v_and_b32_e32 v2, 0x80000000, v2
	v_lshl_add_u32 v5, v5, 23, v16
	v_or3_b32 v2, v2, v5, v14
	v_lshrrev_b32_e32 v14, 16, v2
.LBB844_783:
	s_or_b64 exec, exec, s[10:11]
.LBB844_784:
	s_or_b64 exec, exec, s[8:9]
.LBB844_785:
	s_or_b64 exec, exec, s[2:3]
	s_mov_b32 s3, 0x5040100
	v_perm_b32 v11, v11, v12, s3
	ds_read_b128 v[16:19], v22 offset:6160
	v_perm_b32 v10, v3, v10, s3
	v_perm_b32 v3, v14, v15, s3
	;; [unrolled: 1-line block ×3, first 2 shown]
	s_waitcnt lgkmcnt(0)
	v_mfma_f32_16x16x16bf16_1k v[6:9], v[10:11], v[16:17], v[6:9]
	s_load_dword s2, s[42:43], 0x0
	s_mov_b32 s3, 0x7060302
	s_movk_i32 s7, 0x7fff
	v_cmp_gt_u32_e32 vcc, 64, v0
	s_and_b64 s[0:1], vcc, s[0:1]
	s_waitcnt lgkmcnt(0)
	s_barrier
	v_mfma_f32_16x16x16bf16_1k v[2:5], v[2:3], v[18:19], v[6:9]
	s_nop 7
	s_nop 2
	v_pk_mul_f32 v[4:5], v[4:5], s[2:3] op_sel_hi:[1,0]
	v_pk_mul_f32 v[2:3], v[2:3], s[2:3] op_sel_hi:[1,0]
	v_bfe_u32 v6, v3, 16, 1
	v_bfe_u32 v7, v2, 16, 1
	;; [unrolled: 1-line block ×4, first 2 shown]
	v_add3_u32 v2, v2, v7, s7
	v_add3_u32 v3, v3, v6, s7
	v_add3_u32 v4, v4, v9, s7
	v_add3_u32 v5, v5, v8, s7
	v_perm_b32 v2, v3, v2, s3
	v_perm_b32 v3, v5, v4, s3
	ds_write_b64 v26, v[2:3]
	s_waitcnt lgkmcnt(0)
	s_barrier
	s_and_saveexec_b64 s[2:3], s[0:1]
	s_cbranch_execz .LBB844_788
; %bb.786:
	s_load_dwordx2 s[2:3], s[4:5], 0x68
	s_lshl_b32 s0, s44, 6
	s_mul_i32 s1, s12, s6
	s_mul_hi_u32 s7, s1, s0
	s_mul_i32 s6, s1, s0
	s_lshl_b64 s[6:7], s[6:7], 1
	s_waitcnt lgkmcnt(0)
	s_add_u32 s1, s2, s6
	v_lshlrev_b32_e32 v0, 10, v0
	s_mov_b32 s5, 0
	s_addc_u32 s6, s3, s7
	s_lshl_b32 s4, s24, 6
	v_and_b32_e32 v0, 0x1800, v0
	v_lshlrev_b32_e32 v2, 5, v1
	v_and_b32_e32 v3, 16, v47
	s_lshl_b64 s[2:3], s[4:5], 1
	v_or3_b32 v0, v0, v2, v3
	s_add_u32 s1, s1, s2
	ds_read_b128 v[4:7], v0 offset:256
	s_addc_u32 s2, s6, s3
	ds_read_b128 v[8:11], v0 offset:128
	ds_read_b128 v[12:15], v0
	v_add_u32_e32 v18, s25, v1
	v_mov_b32_e32 v3, s2
	v_add_co_u32_e32 v2, vcc, s1, v46
	v_mad_u64_u32 v[16:17], s[2:3], v18, s0, 0
	v_addc_co_u32_e32 v3, vcc, 0, v3, vcc
	v_lshlrev_b64 v[16:17], 1, v[16:17]
	v_add_co_u32_e32 v16, vcc, v2, v16
	v_addc_co_u32_e32 v17, vcc, v3, v17, vcc
	s_waitcnt lgkmcnt(0)
	global_store_dwordx4 v[16:17], v[12:15], off
	s_nop 0
	v_add_u32_e32 v12, 4, v18
	v_mad_u64_u32 v[12:13], s[2:3], v12, s0, 0
	v_lshlrev_b64 v[12:13], 1, v[12:13]
	v_add_co_u32_e32 v12, vcc, v2, v12
	v_addc_co_u32_e32 v13, vcc, v3, v13, vcc
	global_store_dwordx4 v[12:13], v[8:11], off
	s_nop 0
	v_add_u32_e32 v8, 8, v18
	v_mad_u64_u32 v[8:9], s[2:3], v8, s0, 0
	v_lshlrev_b64 v[8:9], 1, v[8:9]
	v_add_co_u32_e32 v8, vcc, v2, v8
	v_addc_co_u32_e32 v9, vcc, v3, v9, vcc
	v_cmp_ne_u32_e32 vcc, 3, v1
	global_store_dwordx4 v[8:9], v[4:7], off
	s_and_b64 exec, exec, vcc
	s_cbranch_execz .LBB844_788
; %bb.787:
	ds_read_b128 v[4:7], v0 offset:384
	v_add3_u32 v0, s25, v1, 12
	v_mad_u64_u32 v[0:1], s[0:1], v0, s0, 0
	v_lshlrev_b64 v[0:1], 1, v[0:1]
	v_add_co_u32_e32 v0, vcc, v2, v0
	v_addc_co_u32_e32 v1, vcc, v3, v1, vcc
	s_waitcnt lgkmcnt(0)
	global_store_dwordx4 v[0:1], v[4:7], off
.LBB844_788:
	s_endpgm
	.section	.rodata,"a",@progbits
	.p2align	6, 0x0
	.amdhsa_kernel _Z39paged_attention_ll4mi_QKV_mfma16_kernelI14__hip_bfloat16hLN4vllm18Fp8KVCacheDataTypeE1ES0_Li16ELi64ELi256ELb1ELi15EL8MFMAType0EEvPKT_PKT0_S9_ifPKiSB_SB_iPKfiiiPfSE_PS4_PT2_iSD_SD_
		.amdhsa_group_segment_fixed_size 8192
		.amdhsa_private_segment_fixed_size 0
		.amdhsa_kernarg_size 400
		.amdhsa_user_sgpr_count 6
		.amdhsa_user_sgpr_private_segment_buffer 1
		.amdhsa_user_sgpr_dispatch_ptr 0
		.amdhsa_user_sgpr_queue_ptr 0
		.amdhsa_user_sgpr_kernarg_segment_ptr 1
		.amdhsa_user_sgpr_dispatch_id 0
		.amdhsa_user_sgpr_flat_scratch_init 0
		.amdhsa_user_sgpr_kernarg_preload_length 0
		.amdhsa_user_sgpr_kernarg_preload_offset 0
		.amdhsa_user_sgpr_private_segment_size 0
		.amdhsa_uses_dynamic_stack 0
		.amdhsa_system_sgpr_private_segment_wavefront_offset 0
		.amdhsa_system_sgpr_workgroup_id_x 1
		.amdhsa_system_sgpr_workgroup_id_y 1
		.amdhsa_system_sgpr_workgroup_id_z 1
		.amdhsa_system_sgpr_workgroup_info 0
		.amdhsa_system_vgpr_workitem_id 0
		.amdhsa_next_free_vgpr 62
		.amdhsa_next_free_sgpr 47
		.amdhsa_accum_offset 64
		.amdhsa_reserve_vcc 1
		.amdhsa_reserve_flat_scratch 0
		.amdhsa_float_round_mode_32 0
		.amdhsa_float_round_mode_16_64 0
		.amdhsa_float_denorm_mode_32 3
		.amdhsa_float_denorm_mode_16_64 3
		.amdhsa_dx10_clamp 1
		.amdhsa_ieee_mode 1
		.amdhsa_fp16_overflow 0
		.amdhsa_tg_split 0
		.amdhsa_exception_fp_ieee_invalid_op 0
		.amdhsa_exception_fp_denorm_src 0
		.amdhsa_exception_fp_ieee_div_zero 0
		.amdhsa_exception_fp_ieee_overflow 0
		.amdhsa_exception_fp_ieee_underflow 0
		.amdhsa_exception_fp_ieee_inexact 0
		.amdhsa_exception_int_div_zero 0
	.end_amdhsa_kernel
	.section	.text._Z39paged_attention_ll4mi_QKV_mfma16_kernelI14__hip_bfloat16hLN4vllm18Fp8KVCacheDataTypeE1ES0_Li16ELi64ELi256ELb1ELi15EL8MFMAType0EEvPKT_PKT0_S9_ifPKiSB_SB_iPKfiiiPfSE_PS4_PT2_iSD_SD_,"axG",@progbits,_Z39paged_attention_ll4mi_QKV_mfma16_kernelI14__hip_bfloat16hLN4vllm18Fp8KVCacheDataTypeE1ES0_Li16ELi64ELi256ELb1ELi15EL8MFMAType0EEvPKT_PKT0_S9_ifPKiSB_SB_iPKfiiiPfSE_PS4_PT2_iSD_SD_,comdat
.Lfunc_end844:
	.size	_Z39paged_attention_ll4mi_QKV_mfma16_kernelI14__hip_bfloat16hLN4vllm18Fp8KVCacheDataTypeE1ES0_Li16ELi64ELi256ELb1ELi15EL8MFMAType0EEvPKT_PKT0_S9_ifPKiSB_SB_iPKfiiiPfSE_PS4_PT2_iSD_SD_, .Lfunc_end844-_Z39paged_attention_ll4mi_QKV_mfma16_kernelI14__hip_bfloat16hLN4vllm18Fp8KVCacheDataTypeE1ES0_Li16ELi64ELi256ELb1ELi15EL8MFMAType0EEvPKT_PKT0_S9_ifPKiSB_SB_iPKfiiiPfSE_PS4_PT2_iSD_SD_
                                        ; -- End function
	.section	.AMDGPU.csdata,"",@progbits
; Kernel info:
; codeLenInByte = 28708
; NumSgprs: 51
; NumVgprs: 62
; NumAgprs: 0
; TotalNumVgprs: 62
; ScratchSize: 0
; MemoryBound: 0
; FloatMode: 240
; IeeeMode: 1
; LDSByteSize: 8192 bytes/workgroup (compile time only)
; SGPRBlocks: 6
; VGPRBlocks: 7
; NumSGPRsForWavesPerEU: 51
; NumVGPRsForWavesPerEU: 62
; AccumOffset: 64
; Occupancy: 8
; WaveLimiterHint : 1
; COMPUTE_PGM_RSRC2:SCRATCH_EN: 0
; COMPUTE_PGM_RSRC2:USER_SGPR: 6
; COMPUTE_PGM_RSRC2:TRAP_HANDLER: 0
; COMPUTE_PGM_RSRC2:TGID_X_EN: 1
; COMPUTE_PGM_RSRC2:TGID_Y_EN: 1
; COMPUTE_PGM_RSRC2:TGID_Z_EN: 1
; COMPUTE_PGM_RSRC2:TIDIG_COMP_CNT: 0
; COMPUTE_PGM_RSRC3_GFX90A:ACCUM_OFFSET: 15
; COMPUTE_PGM_RSRC3_GFX90A:TG_SPLIT: 0
	.section	.text._Z39paged_attention_ll4mi_QKV_mfma16_kernelI14__hip_bfloat16hLN4vllm18Fp8KVCacheDataTypeE1ES0_Li16ELi64ELi256ELb1ELi16EL8MFMAType0EEvPKT_PKT0_S9_ifPKiSB_SB_iPKfiiiPfSE_PS4_PT2_iSD_SD_,"axG",@progbits,_Z39paged_attention_ll4mi_QKV_mfma16_kernelI14__hip_bfloat16hLN4vllm18Fp8KVCacheDataTypeE1ES0_Li16ELi64ELi256ELb1ELi16EL8MFMAType0EEvPKT_PKT0_S9_ifPKiSB_SB_iPKfiiiPfSE_PS4_PT2_iSD_SD_,comdat
	.protected	_Z39paged_attention_ll4mi_QKV_mfma16_kernelI14__hip_bfloat16hLN4vllm18Fp8KVCacheDataTypeE1ES0_Li16ELi64ELi256ELb1ELi16EL8MFMAType0EEvPKT_PKT0_S9_ifPKiSB_SB_iPKfiiiPfSE_PS4_PT2_iSD_SD_ ; -- Begin function _Z39paged_attention_ll4mi_QKV_mfma16_kernelI14__hip_bfloat16hLN4vllm18Fp8KVCacheDataTypeE1ES0_Li16ELi64ELi256ELb1ELi16EL8MFMAType0EEvPKT_PKT0_S9_ifPKiSB_SB_iPKfiiiPfSE_PS4_PT2_iSD_SD_
	.globl	_Z39paged_attention_ll4mi_QKV_mfma16_kernelI14__hip_bfloat16hLN4vllm18Fp8KVCacheDataTypeE1ES0_Li16ELi64ELi256ELb1ELi16EL8MFMAType0EEvPKT_PKT0_S9_ifPKiSB_SB_iPKfiiiPfSE_PS4_PT2_iSD_SD_
	.p2align	8
	.type	_Z39paged_attention_ll4mi_QKV_mfma16_kernelI14__hip_bfloat16hLN4vllm18Fp8KVCacheDataTypeE1ES0_Li16ELi64ELi256ELb1ELi16EL8MFMAType0EEvPKT_PKT0_S9_ifPKiSB_SB_iPKfiiiPfSE_PS4_PT2_iSD_SD_,@function
_Z39paged_attention_ll4mi_QKV_mfma16_kernelI14__hip_bfloat16hLN4vllm18Fp8KVCacheDataTypeE1ES0_Li16ELi64ELi256ELb1ELi16EL8MFMAType0EEvPKT_PKT0_S9_ifPKiSB_SB_iPKfiiiPfSE_PS4_PT2_iSD_SD_: ; @_Z39paged_attention_ll4mi_QKV_mfma16_kernelI14__hip_bfloat16hLN4vllm18Fp8KVCacheDataTypeE1ES0_Li16ELi64ELi256ELb1ELi16EL8MFMAType0EEvPKT_PKT0_S9_ifPKiSB_SB_iPKfiiiPfSE_PS4_PT2_iSD_SD_
; %bb.0:
	s_load_dwordx2 s[0:1], s[4:5], 0x30
	s_mov_b32 s24, s7
	s_mov_b64 s[2:3], 0
	s_waitcnt lgkmcnt(0)
	s_cmp_lg_u64 s[0:1], 0
	s_cselect_b64 s[10:11], -1, 0
	s_and_b64 vcc, exec, s[10:11]
	s_cbranch_vccz .LBB845_7
; %bb.1:
	s_add_i32 s12, s6, 1
	s_mov_b32 s13, 0
	s_lshl_b64 s[14:15], s[12:13], 2
	s_add_u32 s14, s0, s14
	s_mov_b32 s7, s13
	s_addc_u32 s15, s1, s15
	s_lshl_b64 s[12:13], s[6:7], 2
	s_add_u32 s12, s0, s12
	s_addc_u32 s13, s1, s13
	s_load_dword s9, s[14:15], 0x0
	s_load_dword s16, s[12:13], 0x0
	s_waitcnt lgkmcnt(0)
	s_sub_i32 s9, s9, s16
	s_cmp_eq_u32 s9, 1
	s_cselect_b64 s[12:13], -1, 0
	s_andn2_b64 vcc, exec, s[2:3]
	s_cbranch_vccnz .LBB845_3
.LBB845_2:
	s_mov_b32 s7, 0
	s_mov_b64 s[12:13], -1
.LBB845_3:
	s_andn2_b64 vcc, exec, s[12:13]
	s_cbranch_vccnz .LBB845_785
; %bb.4:
	s_load_dwordx2 s[2:3], s[4:5], 0x28
	s_lshl_b64 s[16:17], s[6:7], 2
	s_waitcnt lgkmcnt(0)
	s_add_u32 s2, s2, s16
	s_addc_u32 s3, s3, s17
	s_load_dword s33, s[2:3], 0x0
	s_lshl_b32 s20, s24, 8
	s_waitcnt lgkmcnt(0)
	s_cmp_ge_i32 s20, s33
	s_cbranch_scc1 .LBB845_785
; %bb.5:
	s_add_i32 s12, s33, 15
	s_load_dwordx2 s[2:3], s[4:5], 0x20
	s_load_dword s9, s[4:5], 0x38
	s_ashr_i32 s13, s12, 31
	v_and_b32_e32 v1, 0xcf, v0
	s_lshr_b32 s13, s13, 28
	v_add_u32_e32 v1, s20, v1
	s_add_i32 s12, s12, s13
	v_ashrrev_i32_e32 v2, 31, v1
	s_ashr_i32 s22, s12, 4
	v_lshrrev_b32_e32 v4, 28, v2
	s_add_i32 s22, s22, -1
	v_add_u32_e32 v2, v1, v4
	s_waitcnt lgkmcnt(0)
	s_mul_i32 s12, s6, s9
	s_mov_b32 s13, 0
	v_ashrrev_i32_e32 v2, 4, v2
	v_mov_b32_e32 v5, s22
	v_cmp_gt_i32_e32 vcc, s33, v1
	s_lshl_b64 s[12:13], s[12:13], 2
	v_cndmask_b32_e32 v2, v5, v2, vcc
	s_add_u32 s9, s2, s12
	v_ashrrev_i32_e32 v3, 31, v2
	s_addc_u32 s21, s3, s13
	v_lshlrev_b64 v[2:3], 2, v[2:3]
	v_mov_b32_e32 v7, s21
	v_add_co_u32_e32 v6, vcc, s9, v2
	v_or_b32_e32 v2, 16, v1
	v_addc_co_u32_e32 v7, vcc, v7, v3, vcc
	v_add_u32_e32 v3, v2, v4
	v_ashrrev_i32_e32 v3, 4, v3
	v_cmp_gt_i32_e32 vcc, s33, v2
	v_cndmask_b32_e32 v2, v5, v3, vcc
	v_ashrrev_i32_e32 v3, 31, v2
	v_lshlrev_b64 v[2:3], 2, v[2:3]
	v_mov_b32_e32 v9, s21
	v_add_co_u32_e32 v8, vcc, s9, v2
	v_or_b32_e32 v2, 32, v1
	v_addc_co_u32_e32 v9, vcc, v9, v3, vcc
	v_add_u32_e32 v3, v2, v4
	v_ashrrev_i32_e32 v3, 4, v3
	v_cmp_gt_i32_e32 vcc, s33, v2
	v_cndmask_b32_e32 v2, v5, v3, vcc
	v_ashrrev_i32_e32 v3, 31, v2
	;; [unrolled: 10-line block ×3, first 2 shown]
	v_lshlrev_b64 v[2:3], 2, v[2:3]
	v_mov_b32_e32 v1, s21
	v_add_co_u32_e32 v12, vcc, s9, v2
	v_addc_co_u32_e32 v13, vcc, v1, v3, vcc
	global_load_dword v4, v[6:7], off
	global_load_dword v5, v[8:9], off
	;; [unrolled: 1-line block ×4, first 2 shown]
	s_load_dwordx2 s[2:3], s[4:5], 0x40
	s_load_dwordx4 s[12:15], s[4:5], 0x8
	s_andn2_b64 vcc, exec, s[10:11]
	s_cbranch_vccnz .LBB845_8
; %bb.6:
	s_add_u32 s0, s0, s16
	s_addc_u32 s1, s1, s17
	s_load_dword s23, s[0:1], 0x0
	s_branch .LBB845_9
.LBB845_7:
	s_mov_b64 s[12:13], 0
	s_branch .LBB845_2
.LBB845_8:
	s_mov_b32 s23, s6
.LBB845_9:
	s_load_dwordx4 s[16:19], s[4:5], 0x48
	v_and_b32_e32 v52, 15, v0
	s_movk_i32 s0, 0x100
	v_lshlrev_b32_e32 v6, 3, v52
	v_cmp_gt_u32_e32 vcc, s0, v0
	v_cmp_gt_u32_e64 s[0:1], 8, v52
	v_lshrrev_b32_e32 v51, 6, v0
	v_bfe_u32 v1, v0, 4, 2
	s_lshl_b32 s25, s8, 4
	s_and_b64 s[26:27], vcc, s[0:1]
	v_lshlrev_b32_e32 v48, 1, v6
	v_lshlrev_b32_e32 v49, 4, v0
	s_and_saveexec_b64 s[10:11], s[26:27]
	s_cbranch_execz .LBB845_11
; %bb.10:
	s_load_dwordx2 s[26:27], s[4:5], 0x0
	s_waitcnt lgkmcnt(0)
	s_ashr_i32 s19, s16, 31
	s_mul_hi_u32 s28, s23, s16
	s_mul_i32 s19, s23, s19
	v_lshl_or_b32 v10, v51, 2, v1
	s_add_i32 s29, s28, s19
	s_mul_i32 s28, s23, s16
	s_lshl_b64 s[28:29], s[28:29], 1
	v_add_lshl_u32 v6, v10, s25, 6
	s_add_u32 s16, s26, s28
	v_ashrrev_i32_e32 v7, 31, v6
	s_addc_u32 s19, s27, s29
	v_lshlrev_b64 v[6:7], 1, v[6:7]
	v_mov_b32_e32 v8, s19
	v_add_co_u32_e32 v6, vcc, s16, v6
	v_addc_co_u32_e32 v7, vcc, v8, v7, vcc
	v_add_co_u32_e32 v6, vcc, v6, v48
	v_addc_co_u32_e32 v7, vcc, 0, v7, vcc
	global_load_dwordx4 v[6:9], v[6:7], off
	v_lshlrev_b32_e32 v12, 8, v52
	v_lshlrev_b32_e32 v10, 5, v10
	v_and_b32_e32 v11, 16, v49
	v_and_b32_e32 v12, 0xe00, v12
	v_or3_b32 v10, v12, v10, v11
	s_waitcnt vmcnt(0)
	ds_write_b128 v10, v[6:9]
.LBB845_11:
	s_or_b64 exec, exec, s[10:11]
	v_and_b32_e32 v12, 48, v0
	v_or_b32_e32 v13, s20, v12
	v_ashrrev_i32_e32 v6, 4, v13
	v_mov_b32_e32 v14, s22
	v_cmp_gt_i32_e32 vcc, s33, v13
	v_cndmask_b32_e32 v6, v14, v6, vcc
	v_ashrrev_i32_e32 v7, 31, v6
	v_lshlrev_b64 v[6:7], 2, v[6:7]
	v_mov_b32_e32 v8, s21
	v_add_co_u32_e32 v6, vcc, s9, v6
	v_addc_co_u32_e32 v7, vcc, v8, v7, vcc
	v_or_b32_e32 v8, 64, v13
	v_ashrrev_i32_e32 v9, 4, v8
	v_cmp_gt_i32_e32 vcc, s33, v8
	v_cndmask_b32_e32 v8, v14, v9, vcc
	v_ashrrev_i32_e32 v9, 31, v8
	v_lshlrev_b64 v[8:9], 2, v[8:9]
	v_mov_b32_e32 v10, s21
	v_add_co_u32_e32 v8, vcc, s9, v8
	v_addc_co_u32_e32 v9, vcc, v10, v9, vcc
	v_or_b32_e32 v10, 0x80, v13
	v_ashrrev_i32_e32 v11, 4, v10
	v_cmp_gt_i32_e32 vcc, s33, v10
	v_cndmask_b32_e32 v10, v14, v11, vcc
	v_ashrrev_i32_e32 v11, 31, v10
	v_lshlrev_b64 v[10:11], 2, v[10:11]
	v_mov_b32_e32 v15, s21
	v_add_co_u32_e32 v10, vcc, s9, v10
	s_load_dwordx2 s[44:45], s[4:5], 0x94
	s_load_dwordx4 s[40:43], s[4:5], 0x80
	s_waitcnt lgkmcnt(0)
	s_barrier
	v_addc_co_u32_e32 v11, vcc, v15, v11, vcc
	global_load_dword v15, v[6:7], off
	global_load_dword v16, v[8:9], off
	;; [unrolled: 1-line block ×3, first 2 shown]
	v_or_b32_e32 v6, 0xc0, v13
	v_ashrrev_i32_e32 v7, 4, v6
	v_cmp_gt_i32_e32 vcc, s33, v6
	v_cndmask_b32_e32 v6, v14, v7, vcc
	v_ashrrev_i32_e32 v7, 31, v6
	v_lshlrev_b64 v[6:7], 2, v[6:7]
	v_mov_b32_e32 v8, s21
	v_add_co_u32_e32 v6, vcc, s9, v6
	v_addc_co_u32_e32 v7, vcc, v8, v7, vcc
	global_load_dword v20, v[6:7], off
	s_mul_i32 s10, s8, s18
	s_add_u32 s8, s12, s10
	s_addc_u32 s9, s13, 0
	v_and_b32_e32 v6, 0xf0, v49
	v_mov_b32_e32 v7, s9
	v_add_co_u32_e32 v6, vcc, s8, v6
	v_addc_co_u32_e32 v7, vcc, 0, v7, vcc
	v_lshlrev_b32_e32 v8, 4, v12
	v_add_co_u32_e32 v6, vcc, v6, v8
	v_addc_co_u32_e32 v7, vcc, 0, v7, vcc
	s_waitcnt vmcnt(7)
	v_mad_i64_i32 v[8:9], s[8:9], v4, s17, v[6:7]
	s_waitcnt vmcnt(6)
	v_mad_i64_i32 v[4:5], s[8:9], v5, s17, v[6:7]
	v_or_b32_e32 v46, s25, v52
	global_load_dwordx4 v[30:33], v[8:9], off
	global_load_dwordx4 v[38:41], v[4:5], off
	s_waitcnt vmcnt(7)
	v_mad_i64_i32 v[4:5], s[8:9], v2, s17, v[6:7]
	s_waitcnt vmcnt(6)
	v_mad_i64_i32 v[2:3], s[8:9], v3, s17, v[6:7]
	v_ashrrev_i32_e32 v47, 31, v46
	global_load_dwordx4 v[34:37], v[4:5], off
	global_load_dwordx4 v[22:25], v[2:3], off
	v_lshlrev_b64 v[2:3], 2, v[46:47]
	v_mov_b32_e32 v4, s3
	v_add_co_u32_e32 v2, vcc, s2, v2
	v_addc_co_u32_e32 v3, vcc, v4, v3, vcc
	global_load_dword v53, v[2:3], off
	s_add_u32 s2, s14, s10
	v_lshlrev_b32_e32 v2, 4, v52
	s_addc_u32 s3, s15, 0
	v_lshl_or_b32 v2, v51, 8, v2
	v_mov_b32_e32 v3, s3
	v_add_co_u32_e32 v2, vcc, s2, v2
	v_addc_co_u32_e32 v3, vcc, 0, v3, vcc
	v_lshlrev_b32_e32 v47, 5, v52
	v_lshl_or_b32 v50, v1, 9, v47
	v_mov_b32_e32 v44, 0
	v_mov_b32_e32 v43, 0
	s_movk_i32 s8, 0x80
	s_waitcnt vmcnt(8)
	v_mad_i64_i32 v[4:5], s[2:3], v15, s17, v[2:3]
	s_waitcnt vmcnt(7)
	v_mad_i64_i32 v[6:7], s[2:3], v16, s17, v[2:3]
	;; [unrolled: 2-line block ×3, first 2 shown]
	global_load_dwordx4 v[14:17], v[4:5], off
	global_load_dwordx4 v[10:13], v[6:7], off
	s_waitcnt vmcnt(7)
	v_mad_i64_i32 v[20:21], s[2:3], v20, s17, v[2:3]
	global_load_dwordx4 v[6:9], v[18:19], off
	global_load_dwordx4 v[2:5], v[20:21], off
	ds_read_b128 v[26:29], v50
	ds_read_b128 v[18:21], v50 offset:16
	s_load_dword s12, s[40:41], 0x0
	s_waitcnt vmcnt(8)
	v_cmp_ne_u16_sdwa s[10:11], v30, v44 src0_sel:BYTE_0 src1_sel:DWORD
	s_and_saveexec_b64 s[2:3], s[10:11]
	s_cbranch_execz .LBB845_17
; %bb.12:
	v_cmp_ne_u16_sdwa s[10:11], v30, s8 src0_sel:BYTE_0 src1_sel:DWORD
	v_mov_b32_e32 v43, 0xffff8000
	s_and_saveexec_b64 s[8:9], s[10:11]
	s_cbranch_execz .LBB845_16
; %bb.13:
	s_movk_i32 s10, 0x7f
	v_and_b32_e32 v42, 0x7f, v30
	v_cmp_ne_u32_e32 vcc, s10, v42
	v_mov_b32_e32 v43, 0x7f80
	s_and_saveexec_b64 s[10:11], vcc
	s_cbranch_execz .LBB845_15
; %bb.14:
	v_and_b32_e32 v43, 7, v30
	v_ffbh_u32_e32 v54, v43
	v_min_u32_e32 v56, 32, v54
	v_subrev_u32_e32 v54, 28, v56
	v_lshlrev_b64 v[54:55], v54, v[30:31]
	v_lshrrev_b32_e32 v45, 3, v42
	v_sub_u32_e32 v55, 29, v56
	v_and_b32_e32 v54, 7, v54
	v_cmp_gt_u32_e32 vcc, 8, v42
	v_cndmask_b32_e32 v42, v45, v55, vcc
	v_cndmask_b32_e32 v43, v43, v54, vcc
	v_lshlrev_b32_e32 v45, 24, v30
	v_bfrev_b32_e32 v54, 60
	v_lshlrev_b32_e32 v43, 20, v43
	v_and_b32_e32 v45, 0x80000000, v45
	v_lshl_add_u32 v42, v42, 23, v54
	v_or3_b32 v42, v45, v42, v43
	v_lshrrev_b32_e32 v43, 16, v42
.LBB845_15:
	s_or_b64 exec, exec, s[10:11]
.LBB845_16:
	s_or_b64 exec, exec, s[8:9]
.LBB845_17:
	s_or_b64 exec, exec, s[2:3]
	v_lshrrev_b16_e32 v42, 8, v30
	v_cmp_ne_u16_e32 vcc, 0, v42
	s_and_saveexec_b64 s[2:3], vcc
	s_cbranch_execz .LBB845_23
; %bb.18:
	s_movk_i32 s8, 0x80
	v_cmp_ne_u16_e32 vcc, s8, v42
	v_mov_b32_e32 v44, 0xffff8000
	s_and_saveexec_b64 s[8:9], vcc
	s_cbranch_execz .LBB845_22
; %bb.19:
	s_movk_i32 s10, 0x7f
	v_and_b32_e32 v45, 0x7f, v42
	v_cmp_ne_u32_e32 vcc, s10, v45
	v_mov_b32_e32 v44, 0x7f80
	s_and_saveexec_b64 s[10:11], vcc
	s_cbranch_execz .LBB845_21
; %bb.20:
	v_and_b32_e32 v44, 7, v42
	v_ffbh_u32_e32 v54, v44
	v_min_u32_e32 v57, 32, v54
	v_subrev_u32_e32 v54, 28, v57
	v_lshlrev_b64 v[54:55], v54, v[42:43]
	v_lshrrev_b32_e32 v56, 3, v45
	v_sub_u32_e32 v42, 29, v57
	v_and_b32_e32 v54, 7, v54
	v_cmp_gt_u32_e32 vcc, 8, v45
	v_cndmask_b32_e32 v42, v56, v42, vcc
	v_cndmask_b32_e32 v44, v44, v54, vcc
	v_lshlrev_b32_e32 v45, 16, v30
	v_bfrev_b32_e32 v54, 60
	v_lshlrev_b32_e32 v44, 20, v44
	v_and_b32_e32 v45, 0x80000000, v45
	v_lshl_add_u32 v42, v42, 23, v54
	v_or3_b32 v42, v45, v42, v44
	v_lshrrev_b32_e32 v44, 16, v42
.LBB845_21:
	s_or_b64 exec, exec, s[10:11]
.LBB845_22:
	s_or_b64 exec, exec, s[8:9]
.LBB845_23:
	s_or_b64 exec, exec, s[2:3]
	s_movk_i32 s2, 0xff
	v_and_b32_sdwa v55, v30, s2 dst_sel:DWORD dst_unused:UNUSED_PAD src0_sel:WORD_1 src1_sel:DWORD
	v_lshrrev_b32_e32 v42, 16, v30
	v_cmp_ne_u16_e32 vcc, 0, v55
	v_mov_b32_e32 v45, 0
	v_mov_b32_e32 v54, 0
	s_and_saveexec_b64 s[2:3], vcc
	s_cbranch_execz .LBB845_29
; %bb.24:
	s_movk_i32 s8, 0x80
	v_cmp_ne_u16_e32 vcc, s8, v55
	v_mov_b32_e32 v54, 0xffff8000
	s_and_saveexec_b64 s[8:9], vcc
	s_cbranch_execz .LBB845_28
; %bb.25:
	v_bfe_u32 v55, v30, 16, 7
	s_movk_i32 s10, 0x7f
	v_cmp_ne_u32_e32 vcc, s10, v55
	v_mov_b32_e32 v54, 0x7f80
	s_and_saveexec_b64 s[10:11], vcc
	s_cbranch_execz .LBB845_27
; %bb.26:
	v_and_b32_e32 v54, 7, v42
	v_ffbh_u32_e32 v56, v54
	v_min_u32_e32 v59, 32, v56
	v_subrev_u32_e32 v56, 28, v59
	v_lshlrev_b64 v[56:57], v56, v[42:43]
	v_lshrrev_b32_e32 v58, 3, v55
	v_sub_u32_e32 v42, 29, v59
	v_and_b32_e32 v56, 7, v56
	v_cmp_gt_u32_e32 vcc, 8, v55
	v_mov_b32_e32 v55, 24
	v_cndmask_b32_e32 v42, v58, v42, vcc
	v_cndmask_b32_e32 v54, v54, v56, vcc
	v_lshlrev_b32_sdwa v55, v55, v30 dst_sel:DWORD dst_unused:UNUSED_PAD src0_sel:DWORD src1_sel:WORD_1
	v_bfrev_b32_e32 v56, 60
	v_lshlrev_b32_e32 v54, 20, v54
	v_and_b32_e32 v55, 0x80000000, v55
	v_lshl_add_u32 v42, v42, 23, v56
	v_or3_b32 v42, v55, v42, v54
	v_lshrrev_b32_e32 v54, 16, v42
.LBB845_27:
	s_or_b64 exec, exec, s[10:11]
.LBB845_28:
	s_or_b64 exec, exec, s[8:9]
.LBB845_29:
	s_or_b64 exec, exec, s[2:3]
	s_mov_b32 s2, 0xffffff
	v_cmp_lt_u32_e32 vcc, s2, v30
	s_and_saveexec_b64 s[2:3], vcc
	s_cbranch_execz .LBB845_35
; %bb.30:
	v_lshrrev_b32_e32 v42, 24, v30
	s_movk_i32 s8, 0x80
	v_cmp_ne_u32_e32 vcc, s8, v42
	v_mov_b32_e32 v45, 0xffff8000
	s_and_saveexec_b64 s[8:9], vcc
	s_cbranch_execz .LBB845_34
; %bb.31:
	v_bfe_u32 v30, v30, 24, 7
	s_movk_i32 s10, 0x7f
	v_cmp_ne_u32_e32 vcc, s10, v30
	v_mov_b32_e32 v45, 0x7f80
	s_and_saveexec_b64 s[10:11], vcc
	s_cbranch_execz .LBB845_33
; %bb.32:
	v_and_b32_e32 v45, 7, v42
	v_ffbh_u32_e32 v56, v45
	v_min_u32_e32 v58, 32, v56
	v_subrev_u32_e32 v56, 28, v58
	v_lshlrev_b64 v[56:57], v56, v[42:43]
	v_lshrrev_b32_e32 v55, 3, v30
	v_sub_u32_e32 v57, 29, v58
	v_and_b32_e32 v56, 7, v56
	v_cmp_gt_u32_e32 vcc, 8, v30
	v_cndmask_b32_e32 v30, v55, v57, vcc
	v_cndmask_b32_e32 v45, v45, v56, vcc
	v_lshlrev_b32_e32 v42, 24, v42
	v_bfrev_b32_e32 v55, 60
	v_lshlrev_b32_e32 v45, 20, v45
	v_and_b32_e32 v42, 0x80000000, v42
	v_lshl_add_u32 v30, v30, 23, v55
	v_or3_b32 v30, v42, v30, v45
	v_lshrrev_b32_e32 v45, 16, v30
.LBB845_33:
	s_or_b64 exec, exec, s[10:11]
.LBB845_34:
	s_or_b64 exec, exec, s[8:9]
.LBB845_35:
	s_or_b64 exec, exec, s[2:3]
	v_mov_b32_e32 v42, 0
	v_cmp_ne_u16_sdwa s[8:9], v31, v42 src0_sel:BYTE_0 src1_sel:DWORD
	v_mov_b32_e32 v55, 0
	s_and_saveexec_b64 s[2:3], s[8:9]
	s_cbranch_execz .LBB845_41
; %bb.36:
	s_movk_i32 s8, 0x80
	v_cmp_ne_u16_sdwa s[10:11], v31, s8 src0_sel:BYTE_0 src1_sel:DWORD
	v_mov_b32_e32 v55, 0xffff8000
	s_and_saveexec_b64 s[8:9], s[10:11]
	s_cbranch_execz .LBB845_40
; %bb.37:
	s_movk_i32 s10, 0x7f
	v_and_b32_e32 v30, 0x7f, v31
	v_cmp_ne_u32_e32 vcc, s10, v30
	v_mov_b32_e32 v55, 0x7f80
	s_and_saveexec_b64 s[10:11], vcc
	s_cbranch_execz .LBB845_39
; %bb.38:
	v_and_b32_e32 v55, 7, v31
	v_ffbh_u32_e32 v57, v55
	v_min_u32_e32 v59, 32, v57
	v_mov_b32_e32 v56, v31
	v_subrev_u32_e32 v57, 28, v59
	v_lshlrev_b64 v[56:57], v57, v[56:57]
	v_lshrrev_b32_e32 v58, 3, v30
	v_sub_u32_e32 v57, 29, v59
	v_and_b32_e32 v56, 7, v56
	v_cmp_gt_u32_e32 vcc, 8, v30
	v_cndmask_b32_e32 v30, v58, v57, vcc
	v_cndmask_b32_e32 v55, v55, v56, vcc
	v_lshlrev_b32_e32 v56, 24, v31
	v_bfrev_b32_e32 v57, 60
	v_lshlrev_b32_e32 v55, 20, v55
	v_and_b32_e32 v56, 0x80000000, v56
	v_lshl_add_u32 v30, v30, 23, v57
	v_or3_b32 v30, v56, v30, v55
	v_lshrrev_b32_e32 v55, 16, v30
.LBB845_39:
	s_or_b64 exec, exec, s[10:11]
.LBB845_40:
	s_or_b64 exec, exec, s[8:9]
.LBB845_41:
	s_or_b64 exec, exec, s[2:3]
	v_lshrrev_b16_e32 v30, 8, v31
	v_cmp_ne_u16_e32 vcc, 0, v30
	s_and_saveexec_b64 s[2:3], vcc
	s_cbranch_execz .LBB845_47
; %bb.42:
	s_movk_i32 s8, 0x80
	v_cmp_ne_u16_e32 vcc, s8, v30
	v_mov_b32_e32 v42, 0xffff8000
	s_and_saveexec_b64 s[8:9], vcc
	s_cbranch_execz .LBB845_46
; %bb.43:
	s_movk_i32 s10, 0x7f
	v_and_b32_e32 v56, 0x7f, v30
	v_cmp_ne_u32_e32 vcc, s10, v56
	v_mov_b32_e32 v42, 0x7f80
	s_and_saveexec_b64 s[10:11], vcc
	s_cbranch_execz .LBB845_45
; %bb.44:
	v_and_b32_e32 v42, 7, v30
	v_ffbh_u32_e32 v58, v42
	v_min_u32_e32 v60, 32, v58
	v_subrev_u32_e32 v58, 28, v60
	v_lshlrev_b64 v[58:59], v58, v[30:31]
	v_lshrrev_b32_e32 v57, 3, v56
	v_sub_u32_e32 v30, 29, v60
	v_and_b32_e32 v58, 7, v58
	v_cmp_gt_u32_e32 vcc, 8, v56
	v_cndmask_b32_e32 v30, v57, v30, vcc
	v_cndmask_b32_e32 v42, v42, v58, vcc
	v_lshlrev_b32_e32 v56, 16, v31
	v_bfrev_b32_e32 v57, 60
	v_lshlrev_b32_e32 v42, 20, v42
	v_and_b32_e32 v56, 0x80000000, v56
	v_lshl_add_u32 v30, v30, 23, v57
	v_or3_b32 v30, v56, v30, v42
	v_lshrrev_b32_e32 v42, 16, v30
.LBB845_45:
	s_or_b64 exec, exec, s[10:11]
.LBB845_46:
	s_or_b64 exec, exec, s[8:9]
.LBB845_47:
	s_or_b64 exec, exec, s[2:3]
	s_movk_i32 s2, 0xff
	v_and_b32_sdwa v58, v31, s2 dst_sel:DWORD dst_unused:UNUSED_PAD src0_sel:WORD_1 src1_sel:DWORD
	v_lshrrev_b32_e32 v30, 16, v31
	v_cmp_ne_u16_e32 vcc, 0, v58
	v_mov_b32_e32 v56, 0
	v_mov_b32_e32 v57, 0
	s_and_saveexec_b64 s[2:3], vcc
	s_cbranch_execz .LBB845_53
; %bb.48:
	s_movk_i32 s8, 0x80
	v_cmp_ne_u16_e32 vcc, s8, v58
	v_mov_b32_e32 v57, 0xffff8000
	s_and_saveexec_b64 s[8:9], vcc
	s_cbranch_execz .LBB845_52
; %bb.49:
	v_bfe_u32 v58, v31, 16, 7
	s_movk_i32 s10, 0x7f
	v_cmp_ne_u32_e32 vcc, s10, v58
	v_mov_b32_e32 v57, 0x7f80
	s_and_saveexec_b64 s[10:11], vcc
	s_cbranch_execz .LBB845_51
; %bb.50:
	v_and_b32_e32 v57, 7, v30
	v_ffbh_u32_e32 v60, v57
	v_min_u32_e32 v62, 32, v60
	v_subrev_u32_e32 v60, 28, v62
	v_lshlrev_b64 v[60:61], v60, v[30:31]
	v_lshrrev_b32_e32 v59, 3, v58
	v_sub_u32_e32 v30, 29, v62
	v_and_b32_e32 v60, 7, v60
	v_cmp_gt_u32_e32 vcc, 8, v58
	v_mov_b32_e32 v58, 24
	v_cndmask_b32_e32 v30, v59, v30, vcc
	v_cndmask_b32_e32 v57, v57, v60, vcc
	v_lshlrev_b32_sdwa v58, v58, v31 dst_sel:DWORD dst_unused:UNUSED_PAD src0_sel:DWORD src1_sel:WORD_1
	v_bfrev_b32_e32 v59, 60
	v_lshlrev_b32_e32 v57, 20, v57
	v_and_b32_e32 v58, 0x80000000, v58
	v_lshl_add_u32 v30, v30, 23, v59
	v_or3_b32 v30, v58, v30, v57
	v_lshrrev_b32_e32 v57, 16, v30
.LBB845_51:
	s_or_b64 exec, exec, s[10:11]
.LBB845_52:
	s_or_b64 exec, exec, s[8:9]
.LBB845_53:
	s_or_b64 exec, exec, s[2:3]
	s_mov_b32 s2, 0xffffff
	v_cmp_lt_u32_e32 vcc, s2, v31
	s_and_saveexec_b64 s[2:3], vcc
	s_cbranch_execz .LBB845_59
; %bb.54:
	v_lshrrev_b32_e32 v30, 24, v31
	s_movk_i32 s8, 0x80
	v_cmp_ne_u32_e32 vcc, s8, v30
	v_mov_b32_e32 v56, 0xffff8000
	s_and_saveexec_b64 s[8:9], vcc
	s_cbranch_execz .LBB845_58
; %bb.55:
	v_bfe_u32 v31, v31, 24, 7
	s_movk_i32 s10, 0x7f
	v_cmp_ne_u32_e32 vcc, s10, v31
	v_mov_b32_e32 v56, 0x7f80
	s_and_saveexec_b64 s[10:11], vcc
	s_cbranch_execz .LBB845_57
; %bb.56:
	v_and_b32_e32 v56, 7, v30
	v_ffbh_u32_e32 v58, v56
	v_min_u32_e32 v61, 32, v58
	v_subrev_u32_e32 v58, 28, v61
	v_lshlrev_b64 v[58:59], v58, v[30:31]
	v_lshrrev_b32_e32 v60, 3, v31
	v_sub_u32_e32 v59, 29, v61
	v_and_b32_e32 v58, 7, v58
	v_cmp_gt_u32_e32 vcc, 8, v31
	v_cndmask_b32_e32 v31, v60, v59, vcc
	v_cndmask_b32_e32 v56, v56, v58, vcc
	v_lshlrev_b32_e32 v30, 24, v30
	v_bfrev_b32_e32 v58, 60
	v_lshlrev_b32_e32 v56, 20, v56
	v_and_b32_e32 v30, 0x80000000, v30
	v_lshl_add_u32 v31, v31, 23, v58
	v_or3_b32 v30, v30, v31, v56
	v_lshrrev_b32_e32 v56, 16, v30
.LBB845_57:
	s_or_b64 exec, exec, s[10:11]
.LBB845_58:
	s_or_b64 exec, exec, s[8:9]
.LBB845_59:
	s_or_b64 exec, exec, s[2:3]
	s_mov_b32 s2, 0x5040100
	v_perm_b32 v31, v45, v54, s2
	v_perm_b32 v30, v44, v43, s2
	;; [unrolled: 1-line block ×4, first 2 shown]
	v_mov_b32_e32 v54, 0
	s_waitcnt lgkmcnt(0)
	v_mfma_f32_16x16x16bf16_1k v[58:61], v[30:31], v[26:27], 0
	v_mov_b32_e32 v31, 0
	v_cmp_ne_u16_sdwa s[8:9], v32, v31 src0_sel:BYTE_0 src1_sel:DWORD
	v_mfma_f32_16x16x16bf16_1k v[42:45], v[42:43], v[28:29], v[58:61]
	s_and_saveexec_b64 s[2:3], s[8:9]
	s_cbranch_execz .LBB845_65
; %bb.60:
	s_movk_i32 s8, 0x80
	v_cmp_ne_u16_sdwa s[10:11], v32, s8 src0_sel:BYTE_0 src1_sel:DWORD
	v_mov_b32_e32 v54, 0xffff8000
	s_and_saveexec_b64 s[8:9], s[10:11]
	s_cbranch_execz .LBB845_64
; %bb.61:
	s_movk_i32 s10, 0x7f
	v_and_b32_e32 v30, 0x7f, v32
	v_cmp_ne_u32_e32 vcc, s10, v30
	v_mov_b32_e32 v54, 0x7f80
	s_and_saveexec_b64 s[10:11], vcc
	s_cbranch_execz .LBB845_63
; %bb.62:
	v_and_b32_e32 v56, 7, v32
	v_ffbh_u32_e32 v54, v56
	v_min_u32_e32 v58, 32, v54
	v_subrev_u32_e32 v54, 28, v58
	v_lshlrev_b64 v[54:55], v54, v[32:33]
	v_lshrrev_b32_e32 v57, 3, v30
	v_sub_u32_e32 v55, 29, v58
	v_and_b32_e32 v54, 7, v54
	v_cmp_gt_u32_e32 vcc, 8, v30
	v_cndmask_b32_e32 v30, v57, v55, vcc
	v_cndmask_b32_e32 v54, v56, v54, vcc
	v_lshlrev_b32_e32 v55, 24, v32
	v_bfrev_b32_e32 v56, 60
	v_lshlrev_b32_e32 v54, 20, v54
	v_and_b32_e32 v55, 0x80000000, v55
	v_lshl_add_u32 v30, v30, 23, v56
	v_or3_b32 v30, v55, v30, v54
	v_lshrrev_b32_e32 v54, 16, v30
.LBB845_63:
	s_or_b64 exec, exec, s[10:11]
.LBB845_64:
	s_or_b64 exec, exec, s[8:9]
.LBB845_65:
	s_or_b64 exec, exec, s[2:3]
	v_lshrrev_b16_e32 v30, 8, v32
	v_cmp_ne_u16_e32 vcc, 0, v30
	s_and_saveexec_b64 s[2:3], vcc
	s_cbranch_execz .LBB845_71
; %bb.66:
	s_movk_i32 s8, 0x80
	v_cmp_ne_u16_e32 vcc, s8, v30
	v_mov_b32_e32 v31, 0xffff8000
	s_and_saveexec_b64 s[8:9], vcc
	s_cbranch_execz .LBB845_70
; %bb.67:
	s_movk_i32 s10, 0x7f
	v_and_b32_e32 v55, 0x7f, v30
	v_cmp_ne_u32_e32 vcc, s10, v55
	v_mov_b32_e32 v31, 0x7f80
	s_and_saveexec_b64 s[10:11], vcc
	s_cbranch_execz .LBB845_69
; %bb.68:
	v_and_b32_e32 v56, 7, v30
	v_ffbh_u32_e32 v31, v56
	v_min_u32_e32 v58, 32, v31
	v_subrev_u32_e32 v31, 28, v58
	v_lshlrev_b64 v[30:31], v31, v[30:31]
	v_lshrrev_b32_e32 v57, 3, v55
	v_sub_u32_e32 v31, 29, v58
	v_and_b32_e32 v30, 7, v30
	v_cmp_gt_u32_e32 vcc, 8, v55
	v_cndmask_b32_e32 v31, v57, v31, vcc
	v_cndmask_b32_e32 v30, v56, v30, vcc
	v_lshlrev_b32_e32 v55, 16, v32
	v_bfrev_b32_e32 v56, 60
	v_lshlrev_b32_e32 v30, 20, v30
	v_and_b32_e32 v55, 0x80000000, v55
	v_lshl_add_u32 v31, v31, 23, v56
	v_or3_b32 v30, v55, v31, v30
	v_lshrrev_b32_e32 v31, 16, v30
.LBB845_69:
	s_or_b64 exec, exec, s[10:11]
.LBB845_70:
	s_or_b64 exec, exec, s[8:9]
.LBB845_71:
	s_or_b64 exec, exec, s[2:3]
	s_movk_i32 s2, 0xff
	v_and_b32_sdwa v57, v32, s2 dst_sel:DWORD dst_unused:UNUSED_PAD src0_sel:WORD_1 src1_sel:DWORD
	v_lshrrev_b32_e32 v30, 16, v32
	v_cmp_ne_u16_e32 vcc, 0, v57
	v_mov_b32_e32 v55, 0
	v_mov_b32_e32 v56, 0
	s_and_saveexec_b64 s[2:3], vcc
	s_cbranch_execz .LBB845_77
; %bb.72:
	s_movk_i32 s8, 0x80
	v_cmp_ne_u16_e32 vcc, s8, v57
	v_mov_b32_e32 v56, 0xffff8000
	s_and_saveexec_b64 s[8:9], vcc
	s_cbranch_execz .LBB845_76
; %bb.73:
	v_bfe_u32 v57, v32, 16, 7
	s_movk_i32 s10, 0x7f
	v_cmp_ne_u32_e32 vcc, s10, v57
	v_mov_b32_e32 v56, 0x7f80
	s_and_saveexec_b64 s[10:11], vcc
	s_cbranch_execz .LBB845_75
; %bb.74:
	v_and_b32_e32 v56, 7, v30
	v_ffbh_u32_e32 v58, v56
	v_min_u32_e32 v61, 32, v58
	v_subrev_u32_e32 v58, 28, v61
	v_lshlrev_b64 v[58:59], v58, v[30:31]
	v_lshrrev_b32_e32 v60, 3, v57
	v_sub_u32_e32 v30, 29, v61
	v_and_b32_e32 v58, 7, v58
	v_cmp_gt_u32_e32 vcc, 8, v57
	v_mov_b32_e32 v57, 24
	v_cndmask_b32_e32 v30, v60, v30, vcc
	v_cndmask_b32_e32 v56, v56, v58, vcc
	v_lshlrev_b32_sdwa v57, v57, v32 dst_sel:DWORD dst_unused:UNUSED_PAD src0_sel:DWORD src1_sel:WORD_1
	v_bfrev_b32_e32 v58, 60
	v_lshlrev_b32_e32 v56, 20, v56
	v_and_b32_e32 v57, 0x80000000, v57
	v_lshl_add_u32 v30, v30, 23, v58
	v_or3_b32 v30, v57, v30, v56
	v_lshrrev_b32_e32 v56, 16, v30
.LBB845_75:
	s_or_b64 exec, exec, s[10:11]
.LBB845_76:
	s_or_b64 exec, exec, s[8:9]
.LBB845_77:
	s_or_b64 exec, exec, s[2:3]
	s_mov_b32 s2, 0xffffff
	v_cmp_lt_u32_e32 vcc, s2, v32
	s_and_saveexec_b64 s[2:3], vcc
	s_cbranch_execz .LBB845_83
; %bb.78:
	v_lshrrev_b32_e32 v30, 24, v32
	s_movk_i32 s8, 0x80
	v_cmp_ne_u32_e32 vcc, s8, v30
	v_mov_b32_e32 v55, 0xffff8000
	s_and_saveexec_b64 s[8:9], vcc
	s_cbranch_execz .LBB845_82
; %bb.79:
	v_bfe_u32 v32, v32, 24, 7
	s_movk_i32 s10, 0x7f
	v_cmp_ne_u32_e32 vcc, s10, v32
	v_mov_b32_e32 v55, 0x7f80
	s_and_saveexec_b64 s[10:11], vcc
	s_cbranch_execz .LBB845_81
; %bb.80:
	v_and_b32_e32 v55, 7, v30
	v_ffbh_u32_e32 v58, v55
	v_min_u32_e32 v60, 32, v58
	v_subrev_u32_e32 v58, 28, v60
	v_lshlrev_b64 v[58:59], v58, v[30:31]
	v_lshrrev_b32_e32 v57, 3, v32
	v_sub_u32_e32 v59, 29, v60
	v_and_b32_e32 v58, 7, v58
	v_cmp_gt_u32_e32 vcc, 8, v32
	v_cndmask_b32_e32 v32, v57, v59, vcc
	v_cndmask_b32_e32 v55, v55, v58, vcc
	v_lshlrev_b32_e32 v30, 24, v30
	v_bfrev_b32_e32 v57, 60
	v_lshlrev_b32_e32 v55, 20, v55
	v_and_b32_e32 v30, 0x80000000, v30
	v_lshl_add_u32 v32, v32, 23, v57
	v_or3_b32 v30, v30, v32, v55
	v_lshrrev_b32_e32 v55, 16, v30
.LBB845_81:
	s_or_b64 exec, exec, s[10:11]
.LBB845_82:
	s_or_b64 exec, exec, s[8:9]
.LBB845_83:
	s_or_b64 exec, exec, s[2:3]
	v_mov_b32_e32 v32, 0
	v_cmp_ne_u16_sdwa s[8:9], v33, v32 src0_sel:BYTE_0 src1_sel:DWORD
	v_mov_b32_e32 v57, 0
	s_and_saveexec_b64 s[2:3], s[8:9]
	s_cbranch_execz .LBB845_89
; %bb.84:
	s_movk_i32 s8, 0x80
	v_cmp_ne_u16_sdwa s[10:11], v33, s8 src0_sel:BYTE_0 src1_sel:DWORD
	v_mov_b32_e32 v57, 0xffff8000
	s_and_saveexec_b64 s[8:9], s[10:11]
	s_cbranch_execz .LBB845_88
; %bb.85:
	s_movk_i32 s10, 0x7f
	v_and_b32_e32 v30, 0x7f, v33
	v_cmp_ne_u32_e32 vcc, s10, v30
	v_mov_b32_e32 v57, 0x7f80
	s_and_saveexec_b64 s[10:11], vcc
	s_cbranch_execz .LBB845_87
; %bb.86:
	v_and_b32_e32 v57, 7, v33
	v_ffbh_u32_e32 v59, v57
	v_min_u32_e32 v61, 32, v59
	v_mov_b32_e32 v58, v33
	v_subrev_u32_e32 v59, 28, v61
	v_lshlrev_b64 v[58:59], v59, v[58:59]
	v_lshrrev_b32_e32 v60, 3, v30
	v_sub_u32_e32 v59, 29, v61
	v_and_b32_e32 v58, 7, v58
	v_cmp_gt_u32_e32 vcc, 8, v30
	v_cndmask_b32_e32 v30, v60, v59, vcc
	v_cndmask_b32_e32 v57, v57, v58, vcc
	v_lshlrev_b32_e32 v58, 24, v33
	v_bfrev_b32_e32 v59, 60
	v_lshlrev_b32_e32 v57, 20, v57
	v_and_b32_e32 v58, 0x80000000, v58
	v_lshl_add_u32 v30, v30, 23, v59
	v_or3_b32 v30, v58, v30, v57
	v_lshrrev_b32_e32 v57, 16, v30
.LBB845_87:
	s_or_b64 exec, exec, s[10:11]
.LBB845_88:
	s_or_b64 exec, exec, s[8:9]
.LBB845_89:
	s_or_b64 exec, exec, s[2:3]
	v_lshrrev_b16_e32 v30, 8, v33
	v_cmp_ne_u16_e32 vcc, 0, v30
	s_and_saveexec_b64 s[2:3], vcc
	s_cbranch_execz .LBB845_95
; %bb.90:
	s_movk_i32 s8, 0x80
	v_cmp_ne_u16_e32 vcc, s8, v30
	v_mov_b32_e32 v32, 0xffff8000
	s_and_saveexec_b64 s[8:9], vcc
	s_cbranch_execz .LBB845_94
; %bb.91:
	s_movk_i32 s10, 0x7f
	v_and_b32_e32 v58, 0x7f, v30
	v_cmp_ne_u32_e32 vcc, s10, v58
	v_mov_b32_e32 v32, 0x7f80
	s_and_saveexec_b64 s[10:11], vcc
	s_cbranch_execz .LBB845_93
; %bb.92:
	v_and_b32_e32 v32, 7, v30
	v_ffbh_u32_e32 v60, v32
	v_min_u32_e32 v62, 32, v60
	v_subrev_u32_e32 v60, 28, v62
	v_lshlrev_b64 v[60:61], v60, v[30:31]
	v_lshrrev_b32_e32 v59, 3, v58
	v_sub_u32_e32 v30, 29, v62
	v_and_b32_e32 v60, 7, v60
	v_cmp_gt_u32_e32 vcc, 8, v58
	v_cndmask_b32_e32 v30, v59, v30, vcc
	v_cndmask_b32_e32 v32, v32, v60, vcc
	v_lshlrev_b32_e32 v58, 16, v33
	v_bfrev_b32_e32 v59, 60
	v_lshlrev_b32_e32 v32, 20, v32
	v_and_b32_e32 v58, 0x80000000, v58
	v_lshl_add_u32 v30, v30, 23, v59
	v_or3_b32 v30, v58, v30, v32
	v_lshrrev_b32_e32 v32, 16, v30
.LBB845_93:
	s_or_b64 exec, exec, s[10:11]
.LBB845_94:
	s_or_b64 exec, exec, s[8:9]
.LBB845_95:
	s_or_b64 exec, exec, s[2:3]
	s_movk_i32 s2, 0xff
	v_and_b32_sdwa v60, v33, s2 dst_sel:DWORD dst_unused:UNUSED_PAD src0_sel:WORD_1 src1_sel:DWORD
	v_lshrrev_b32_e32 v30, 16, v33
	v_cmp_ne_u16_e32 vcc, 0, v60
	v_mov_b32_e32 v58, 0
	v_mov_b32_e32 v59, 0
	s_and_saveexec_b64 s[2:3], vcc
	s_cbranch_execz .LBB845_101
; %bb.96:
	s_movk_i32 s8, 0x80
	v_cmp_ne_u16_e32 vcc, s8, v60
	v_mov_b32_e32 v59, 0xffff8000
	s_and_saveexec_b64 s[8:9], vcc
	s_cbranch_execz .LBB845_100
; %bb.97:
	v_bfe_u32 v60, v33, 16, 7
	s_movk_i32 s10, 0x7f
	v_cmp_ne_u32_e32 vcc, s10, v60
	v_mov_b32_e32 v59, 0x7f80
	s_and_saveexec_b64 s[10:11], vcc
	s_cbranch_execz .LBB845_99
; %bb.98:
	v_and_b32_e32 v59, 7, v30
	v_ffbh_u32_e32 v62, v59
	v_min_u32_e32 v64, 32, v62
	v_subrev_u32_e32 v62, 28, v64
	v_lshlrev_b64 v[62:63], v62, v[30:31]
	v_lshrrev_b32_e32 v61, 3, v60
	v_sub_u32_e32 v30, 29, v64
	v_and_b32_e32 v62, 7, v62
	v_cmp_gt_u32_e32 vcc, 8, v60
	v_mov_b32_e32 v60, 24
	v_cndmask_b32_e32 v30, v61, v30, vcc
	v_cndmask_b32_e32 v59, v59, v62, vcc
	v_lshlrev_b32_sdwa v60, v60, v33 dst_sel:DWORD dst_unused:UNUSED_PAD src0_sel:DWORD src1_sel:WORD_1
	v_bfrev_b32_e32 v61, 60
	v_lshlrev_b32_e32 v59, 20, v59
	v_and_b32_e32 v60, 0x80000000, v60
	v_lshl_add_u32 v30, v30, 23, v61
	v_or3_b32 v30, v60, v30, v59
	v_lshrrev_b32_e32 v59, 16, v30
.LBB845_99:
	s_or_b64 exec, exec, s[10:11]
.LBB845_100:
	s_or_b64 exec, exec, s[8:9]
.LBB845_101:
	s_or_b64 exec, exec, s[2:3]
	s_mov_b32 s2, 0xffffff
	v_cmp_lt_u32_e32 vcc, s2, v33
	s_and_saveexec_b64 s[2:3], vcc
	s_cbranch_execz .LBB845_107
; %bb.102:
	v_lshrrev_b32_e32 v30, 24, v33
	s_movk_i32 s8, 0x80
	v_cmp_ne_u32_e32 vcc, s8, v30
	v_mov_b32_e32 v58, 0xffff8000
	s_and_saveexec_b64 s[8:9], vcc
	s_cbranch_execz .LBB845_106
; %bb.103:
	v_bfe_u32 v33, v33, 24, 7
	s_movk_i32 s10, 0x7f
	v_cmp_ne_u32_e32 vcc, s10, v33
	v_mov_b32_e32 v58, 0x7f80
	s_and_saveexec_b64 s[10:11], vcc
	s_cbranch_execz .LBB845_105
; %bb.104:
	v_and_b32_e32 v58, 7, v30
	v_ffbh_u32_e32 v60, v58
	v_min_u32_e32 v63, 32, v60
	v_subrev_u32_e32 v60, 28, v63
	v_lshlrev_b64 v[60:61], v60, v[30:31]
	v_lshrrev_b32_e32 v62, 3, v33
	v_sub_u32_e32 v61, 29, v63
	v_and_b32_e32 v60, 7, v60
	v_cmp_gt_u32_e32 vcc, 8, v33
	v_cndmask_b32_e32 v33, v62, v61, vcc
	v_cndmask_b32_e32 v58, v58, v60, vcc
	v_lshlrev_b32_e32 v30, 24, v30
	v_bfrev_b32_e32 v60, 60
	v_lshlrev_b32_e32 v58, 20, v58
	v_and_b32_e32 v30, 0x80000000, v30
	v_lshl_add_u32 v33, v33, 23, v60
	v_or3_b32 v30, v30, v33, v58
	v_lshrrev_b32_e32 v58, 16, v30
.LBB845_105:
	s_or_b64 exec, exec, s[10:11]
.LBB845_106:
	s_or_b64 exec, exec, s[8:9]
.LBB845_107:
	s_or_b64 exec, exec, s[2:3]
	s_mov_b32 s2, 0x5040100
	v_perm_b32 v55, v55, v56, s2
	v_perm_b32 v54, v31, v54, s2
	;; [unrolled: 1-line block ×4, first 2 shown]
	v_mfma_f32_16x16x16bf16_1k v[60:63], v[54:55], v[18:19], v[42:45]
	s_nop 6
	v_mov_b32_e32 v43, 0
	s_waitcnt vmcnt(7)
	v_cmp_ne_u16_sdwa s[8:9], v38, v43 src0_sel:BYTE_0 src1_sel:DWORD
	v_mfma_f32_16x16x16bf16_1k v[30:33], v[30:31], v[20:21], v[60:63]
	v_mov_b32_e32 v44, 0
	s_and_saveexec_b64 s[2:3], s[8:9]
	s_cbranch_execz .LBB845_113
; %bb.108:
	s_movk_i32 s8, 0x80
	v_cmp_ne_u16_sdwa s[10:11], v38, s8 src0_sel:BYTE_0 src1_sel:DWORD
	v_mov_b32_e32 v44, 0xffff8000
	s_and_saveexec_b64 s[8:9], s[10:11]
	s_cbranch_execz .LBB845_112
; %bb.109:
	s_movk_i32 s10, 0x7f
	v_and_b32_e32 v42, 0x7f, v38
	v_cmp_ne_u32_e32 vcc, s10, v42
	v_mov_b32_e32 v44, 0x7f80
	s_and_saveexec_b64 s[10:11], vcc
	s_cbranch_execz .LBB845_111
; %bb.110:
	v_and_b32_e32 v54, 7, v38
	v_ffbh_u32_e32 v44, v54
	v_min_u32_e32 v56, 32, v44
	v_subrev_u32_e32 v44, 28, v56
	v_lshlrev_b64 v[44:45], v44, v[38:39]
	v_lshrrev_b32_e32 v55, 3, v42
	v_sub_u32_e32 v45, 29, v56
	v_and_b32_e32 v44, 7, v44
	v_cmp_gt_u32_e32 vcc, 8, v42
	v_cndmask_b32_e32 v42, v55, v45, vcc
	v_cndmask_b32_e32 v44, v54, v44, vcc
	v_lshlrev_b32_e32 v45, 24, v38
	v_bfrev_b32_e32 v54, 60
	v_lshlrev_b32_e32 v44, 20, v44
	v_and_b32_e32 v45, 0x80000000, v45
	v_lshl_add_u32 v42, v42, 23, v54
	v_or3_b32 v42, v45, v42, v44
	v_lshrrev_b32_e32 v44, 16, v42
.LBB845_111:
	s_or_b64 exec, exec, s[10:11]
.LBB845_112:
	s_or_b64 exec, exec, s[8:9]
.LBB845_113:
	s_or_b64 exec, exec, s[2:3]
	v_lshrrev_b16_e32 v42, 8, v38
	v_cmp_ne_u16_e32 vcc, 0, v42
	s_and_saveexec_b64 s[2:3], vcc
	s_cbranch_execz .LBB845_119
; %bb.114:
	s_movk_i32 s8, 0x80
	v_cmp_ne_u16_e32 vcc, s8, v42
	v_mov_b32_e32 v43, 0xffff8000
	s_and_saveexec_b64 s[8:9], vcc
	s_cbranch_execz .LBB845_118
; %bb.115:
	s_movk_i32 s10, 0x7f
	v_and_b32_e32 v45, 0x7f, v42
	v_cmp_ne_u32_e32 vcc, s10, v45
	v_mov_b32_e32 v43, 0x7f80
	s_and_saveexec_b64 s[10:11], vcc
	s_cbranch_execz .LBB845_117
; %bb.116:
	v_and_b32_e32 v54, 7, v42
	v_ffbh_u32_e32 v43, v54
	v_min_u32_e32 v56, 32, v43
	v_subrev_u32_e32 v43, 28, v56
	v_lshlrev_b64 v[42:43], v43, v[42:43]
	v_lshrrev_b32_e32 v55, 3, v45
	v_sub_u32_e32 v43, 29, v56
	v_and_b32_e32 v42, 7, v42
	v_cmp_gt_u32_e32 vcc, 8, v45
	v_cndmask_b32_e32 v43, v55, v43, vcc
	v_cndmask_b32_e32 v42, v54, v42, vcc
	v_lshlrev_b32_e32 v45, 16, v38
	v_bfrev_b32_e32 v54, 60
	v_lshlrev_b32_e32 v42, 20, v42
	v_and_b32_e32 v45, 0x80000000, v45
	v_lshl_add_u32 v43, v43, 23, v54
	v_or3_b32 v42, v45, v43, v42
	v_lshrrev_b32_e32 v43, 16, v42
.LBB845_117:
	s_or_b64 exec, exec, s[10:11]
.LBB845_118:
	s_or_b64 exec, exec, s[8:9]
.LBB845_119:
	s_or_b64 exec, exec, s[2:3]
	s_movk_i32 s2, 0xff
	v_and_b32_sdwa v55, v38, s2 dst_sel:DWORD dst_unused:UNUSED_PAD src0_sel:WORD_1 src1_sel:DWORD
	v_lshrrev_b32_e32 v42, 16, v38
	v_cmp_ne_u16_e32 vcc, 0, v55
	v_mov_b32_e32 v45, 0
	v_mov_b32_e32 v54, 0
	s_and_saveexec_b64 s[2:3], vcc
	s_cbranch_execz .LBB845_125
; %bb.120:
	s_movk_i32 s8, 0x80
	v_cmp_ne_u16_e32 vcc, s8, v55
	v_mov_b32_e32 v54, 0xffff8000
	s_and_saveexec_b64 s[8:9], vcc
	s_cbranch_execz .LBB845_124
; %bb.121:
	v_bfe_u32 v55, v38, 16, 7
	s_movk_i32 s10, 0x7f
	v_cmp_ne_u32_e32 vcc, s10, v55
	v_mov_b32_e32 v54, 0x7f80
	s_and_saveexec_b64 s[10:11], vcc
	s_cbranch_execz .LBB845_123
; %bb.122:
	v_and_b32_e32 v54, 7, v42
	v_ffbh_u32_e32 v56, v54
	v_min_u32_e32 v59, 32, v56
	v_subrev_u32_e32 v56, 28, v59
	v_lshlrev_b64 v[56:57], v56, v[42:43]
	v_lshrrev_b32_e32 v58, 3, v55
	v_sub_u32_e32 v42, 29, v59
	v_and_b32_e32 v56, 7, v56
	v_cmp_gt_u32_e32 vcc, 8, v55
	v_mov_b32_e32 v55, 24
	v_cndmask_b32_e32 v42, v58, v42, vcc
	v_cndmask_b32_e32 v54, v54, v56, vcc
	v_lshlrev_b32_sdwa v55, v55, v38 dst_sel:DWORD dst_unused:UNUSED_PAD src0_sel:DWORD src1_sel:WORD_1
	v_bfrev_b32_e32 v56, 60
	v_lshlrev_b32_e32 v54, 20, v54
	v_and_b32_e32 v55, 0x80000000, v55
	v_lshl_add_u32 v42, v42, 23, v56
	v_or3_b32 v42, v55, v42, v54
	v_lshrrev_b32_e32 v54, 16, v42
.LBB845_123:
	s_or_b64 exec, exec, s[10:11]
.LBB845_124:
	s_or_b64 exec, exec, s[8:9]
.LBB845_125:
	s_or_b64 exec, exec, s[2:3]
	s_mov_b32 s2, 0xffffff
	v_cmp_lt_u32_e32 vcc, s2, v38
	s_and_saveexec_b64 s[2:3], vcc
	s_cbranch_execz .LBB845_131
; %bb.126:
	v_lshrrev_b32_e32 v42, 24, v38
	s_movk_i32 s8, 0x80
	v_cmp_ne_u32_e32 vcc, s8, v42
	v_mov_b32_e32 v45, 0xffff8000
	s_and_saveexec_b64 s[8:9], vcc
	s_cbranch_execz .LBB845_130
; %bb.127:
	v_bfe_u32 v38, v38, 24, 7
	s_movk_i32 s10, 0x7f
	v_cmp_ne_u32_e32 vcc, s10, v38
	v_mov_b32_e32 v45, 0x7f80
	s_and_saveexec_b64 s[10:11], vcc
	s_cbranch_execz .LBB845_129
; %bb.128:
	v_and_b32_e32 v45, 7, v42
	v_ffbh_u32_e32 v56, v45
	v_min_u32_e32 v58, 32, v56
	v_subrev_u32_e32 v56, 28, v58
	v_lshlrev_b64 v[56:57], v56, v[42:43]
	v_lshrrev_b32_e32 v55, 3, v38
	v_sub_u32_e32 v57, 29, v58
	v_and_b32_e32 v56, 7, v56
	v_cmp_gt_u32_e32 vcc, 8, v38
	v_cndmask_b32_e32 v38, v55, v57, vcc
	v_cndmask_b32_e32 v45, v45, v56, vcc
	v_lshlrev_b32_e32 v42, 24, v42
	v_bfrev_b32_e32 v55, 60
	v_lshlrev_b32_e32 v45, 20, v45
	v_and_b32_e32 v42, 0x80000000, v42
	v_lshl_add_u32 v38, v38, 23, v55
	v_or3_b32 v38, v42, v38, v45
	v_lshrrev_b32_e32 v45, 16, v38
.LBB845_129:
	s_or_b64 exec, exec, s[10:11]
.LBB845_130:
	s_or_b64 exec, exec, s[8:9]
.LBB845_131:
	s_or_b64 exec, exec, s[2:3]
	v_mov_b32_e32 v42, 0
	v_cmp_ne_u16_sdwa s[8:9], v39, v42 src0_sel:BYTE_0 src1_sel:DWORD
	v_mov_b32_e32 v55, 0
	s_and_saveexec_b64 s[2:3], s[8:9]
	s_cbranch_execz .LBB845_137
; %bb.132:
	s_movk_i32 s8, 0x80
	v_cmp_ne_u16_sdwa s[10:11], v39, s8 src0_sel:BYTE_0 src1_sel:DWORD
	v_mov_b32_e32 v55, 0xffff8000
	s_and_saveexec_b64 s[8:9], s[10:11]
	s_cbranch_execz .LBB845_136
; %bb.133:
	s_movk_i32 s10, 0x7f
	v_and_b32_e32 v38, 0x7f, v39
	v_cmp_ne_u32_e32 vcc, s10, v38
	v_mov_b32_e32 v55, 0x7f80
	s_and_saveexec_b64 s[10:11], vcc
	s_cbranch_execz .LBB845_135
; %bb.134:
	v_and_b32_e32 v55, 7, v39
	v_ffbh_u32_e32 v57, v55
	v_min_u32_e32 v59, 32, v57
	v_mov_b32_e32 v56, v39
	v_subrev_u32_e32 v57, 28, v59
	v_lshlrev_b64 v[56:57], v57, v[56:57]
	v_lshrrev_b32_e32 v58, 3, v38
	v_sub_u32_e32 v57, 29, v59
	v_and_b32_e32 v56, 7, v56
	v_cmp_gt_u32_e32 vcc, 8, v38
	v_cndmask_b32_e32 v38, v58, v57, vcc
	v_cndmask_b32_e32 v55, v55, v56, vcc
	v_lshlrev_b32_e32 v56, 24, v39
	v_bfrev_b32_e32 v57, 60
	v_lshlrev_b32_e32 v55, 20, v55
	v_and_b32_e32 v56, 0x80000000, v56
	v_lshl_add_u32 v38, v38, 23, v57
	v_or3_b32 v38, v56, v38, v55
	v_lshrrev_b32_e32 v55, 16, v38
.LBB845_135:
	s_or_b64 exec, exec, s[10:11]
.LBB845_136:
	s_or_b64 exec, exec, s[8:9]
.LBB845_137:
	s_or_b64 exec, exec, s[2:3]
	v_lshrrev_b16_e32 v38, 8, v39
	v_cmp_ne_u16_e32 vcc, 0, v38
	s_and_saveexec_b64 s[2:3], vcc
	s_cbranch_execz .LBB845_143
; %bb.138:
	s_movk_i32 s8, 0x80
	v_cmp_ne_u16_e32 vcc, s8, v38
	v_mov_b32_e32 v42, 0xffff8000
	s_and_saveexec_b64 s[8:9], vcc
	s_cbranch_execz .LBB845_142
; %bb.139:
	s_movk_i32 s10, 0x7f
	v_and_b32_e32 v56, 0x7f, v38
	v_cmp_ne_u32_e32 vcc, s10, v56
	v_mov_b32_e32 v42, 0x7f80
	s_and_saveexec_b64 s[10:11], vcc
	s_cbranch_execz .LBB845_141
; %bb.140:
	v_and_b32_e32 v42, 7, v38
	v_ffbh_u32_e32 v58, v42
	v_min_u32_e32 v60, 32, v58
	v_subrev_u32_e32 v58, 28, v60
	v_lshlrev_b64 v[58:59], v58, v[38:39]
	v_lshrrev_b32_e32 v57, 3, v56
	v_sub_u32_e32 v38, 29, v60
	v_and_b32_e32 v58, 7, v58
	v_cmp_gt_u32_e32 vcc, 8, v56
	v_cndmask_b32_e32 v38, v57, v38, vcc
	v_cndmask_b32_e32 v42, v42, v58, vcc
	v_lshlrev_b32_e32 v56, 16, v39
	v_bfrev_b32_e32 v57, 60
	v_lshlrev_b32_e32 v42, 20, v42
	v_and_b32_e32 v56, 0x80000000, v56
	v_lshl_add_u32 v38, v38, 23, v57
	v_or3_b32 v38, v56, v38, v42
	v_lshrrev_b32_e32 v42, 16, v38
.LBB845_141:
	s_or_b64 exec, exec, s[10:11]
.LBB845_142:
	s_or_b64 exec, exec, s[8:9]
.LBB845_143:
	s_or_b64 exec, exec, s[2:3]
	s_movk_i32 s2, 0xff
	v_and_b32_sdwa v58, v39, s2 dst_sel:DWORD dst_unused:UNUSED_PAD src0_sel:WORD_1 src1_sel:DWORD
	v_lshrrev_b32_e32 v38, 16, v39
	v_cmp_ne_u16_e32 vcc, 0, v58
	v_mov_b32_e32 v56, 0
	v_mov_b32_e32 v57, 0
	s_and_saveexec_b64 s[2:3], vcc
	s_cbranch_execz .LBB845_149
; %bb.144:
	s_movk_i32 s8, 0x80
	v_cmp_ne_u16_e32 vcc, s8, v58
	v_mov_b32_e32 v57, 0xffff8000
	s_and_saveexec_b64 s[8:9], vcc
	s_cbranch_execz .LBB845_148
; %bb.145:
	v_bfe_u32 v58, v39, 16, 7
	s_movk_i32 s10, 0x7f
	v_cmp_ne_u32_e32 vcc, s10, v58
	v_mov_b32_e32 v57, 0x7f80
	s_and_saveexec_b64 s[10:11], vcc
	s_cbranch_execz .LBB845_147
; %bb.146:
	v_and_b32_e32 v57, 7, v38
	v_ffbh_u32_e32 v60, v57
	v_min_u32_e32 v62, 32, v60
	v_subrev_u32_e32 v60, 28, v62
	v_lshlrev_b64 v[60:61], v60, v[38:39]
	v_lshrrev_b32_e32 v59, 3, v58
	v_sub_u32_e32 v38, 29, v62
	v_and_b32_e32 v60, 7, v60
	v_cmp_gt_u32_e32 vcc, 8, v58
	v_mov_b32_e32 v58, 24
	v_cndmask_b32_e32 v38, v59, v38, vcc
	v_cndmask_b32_e32 v57, v57, v60, vcc
	v_lshlrev_b32_sdwa v58, v58, v39 dst_sel:DWORD dst_unused:UNUSED_PAD src0_sel:DWORD src1_sel:WORD_1
	v_bfrev_b32_e32 v59, 60
	v_lshlrev_b32_e32 v57, 20, v57
	v_and_b32_e32 v58, 0x80000000, v58
	v_lshl_add_u32 v38, v38, 23, v59
	v_or3_b32 v38, v58, v38, v57
	v_lshrrev_b32_e32 v57, 16, v38
.LBB845_147:
	s_or_b64 exec, exec, s[10:11]
.LBB845_148:
	s_or_b64 exec, exec, s[8:9]
.LBB845_149:
	s_or_b64 exec, exec, s[2:3]
	s_mov_b32 s2, 0xffffff
	v_cmp_lt_u32_e32 vcc, s2, v39
	s_and_saveexec_b64 s[2:3], vcc
	s_cbranch_execz .LBB845_155
; %bb.150:
	v_lshrrev_b32_e32 v38, 24, v39
	s_movk_i32 s8, 0x80
	v_cmp_ne_u32_e32 vcc, s8, v38
	v_mov_b32_e32 v56, 0xffff8000
	s_and_saveexec_b64 s[8:9], vcc
	s_cbranch_execz .LBB845_154
; %bb.151:
	v_bfe_u32 v39, v39, 24, 7
	s_movk_i32 s10, 0x7f
	v_cmp_ne_u32_e32 vcc, s10, v39
	v_mov_b32_e32 v56, 0x7f80
	s_and_saveexec_b64 s[10:11], vcc
	s_cbranch_execz .LBB845_153
; %bb.152:
	v_and_b32_e32 v56, 7, v38
	v_ffbh_u32_e32 v58, v56
	v_min_u32_e32 v61, 32, v58
	v_subrev_u32_e32 v58, 28, v61
	v_lshlrev_b64 v[58:59], v58, v[38:39]
	v_lshrrev_b32_e32 v60, 3, v39
	v_sub_u32_e32 v59, 29, v61
	v_and_b32_e32 v58, 7, v58
	v_cmp_gt_u32_e32 vcc, 8, v39
	v_cndmask_b32_e32 v39, v60, v59, vcc
	v_cndmask_b32_e32 v56, v56, v58, vcc
	v_lshlrev_b32_e32 v38, 24, v38
	v_bfrev_b32_e32 v58, 60
	v_lshlrev_b32_e32 v56, 20, v56
	v_and_b32_e32 v38, 0x80000000, v38
	v_lshl_add_u32 v39, v39, 23, v58
	v_or3_b32 v38, v38, v39, v56
	v_lshrrev_b32_e32 v56, 16, v38
.LBB845_153:
	s_or_b64 exec, exec, s[10:11]
.LBB845_154:
	s_or_b64 exec, exec, s[8:9]
.LBB845_155:
	s_or_b64 exec, exec, s[2:3]
	s_mov_b32 s2, 0x5040100
	v_perm_b32 v39, v45, v54, s2
	v_perm_b32 v38, v43, v44, s2
	;; [unrolled: 1-line block ×4, first 2 shown]
	v_mov_b32_e32 v54, 0
	v_mfma_f32_16x16x16bf16_1k v[58:61], v[38:39], v[26:27], 0
	v_mov_b32_e32 v39, 0
	v_cmp_ne_u16_sdwa s[8:9], v40, v39 src0_sel:BYTE_0 src1_sel:DWORD
	v_mfma_f32_16x16x16bf16_1k v[42:45], v[42:43], v[28:29], v[58:61]
	s_and_saveexec_b64 s[2:3], s[8:9]
	s_cbranch_execz .LBB845_161
; %bb.156:
	s_movk_i32 s8, 0x80
	v_cmp_ne_u16_sdwa s[10:11], v40, s8 src0_sel:BYTE_0 src1_sel:DWORD
	v_mov_b32_e32 v54, 0xffff8000
	s_and_saveexec_b64 s[8:9], s[10:11]
	s_cbranch_execz .LBB845_160
; %bb.157:
	s_movk_i32 s10, 0x7f
	v_and_b32_e32 v38, 0x7f, v40
	v_cmp_ne_u32_e32 vcc, s10, v38
	v_mov_b32_e32 v54, 0x7f80
	s_and_saveexec_b64 s[10:11], vcc
	s_cbranch_execz .LBB845_159
; %bb.158:
	v_and_b32_e32 v56, 7, v40
	v_ffbh_u32_e32 v54, v56
	v_min_u32_e32 v58, 32, v54
	v_subrev_u32_e32 v54, 28, v58
	v_lshlrev_b64 v[54:55], v54, v[40:41]
	v_lshrrev_b32_e32 v57, 3, v38
	v_sub_u32_e32 v55, 29, v58
	v_and_b32_e32 v54, 7, v54
	v_cmp_gt_u32_e32 vcc, 8, v38
	v_cndmask_b32_e32 v38, v57, v55, vcc
	v_cndmask_b32_e32 v54, v56, v54, vcc
	v_lshlrev_b32_e32 v55, 24, v40
	v_bfrev_b32_e32 v56, 60
	v_lshlrev_b32_e32 v54, 20, v54
	v_and_b32_e32 v55, 0x80000000, v55
	v_lshl_add_u32 v38, v38, 23, v56
	v_or3_b32 v38, v55, v38, v54
	v_lshrrev_b32_e32 v54, 16, v38
.LBB845_159:
	s_or_b64 exec, exec, s[10:11]
.LBB845_160:
	s_or_b64 exec, exec, s[8:9]
.LBB845_161:
	s_or_b64 exec, exec, s[2:3]
	v_lshrrev_b16_e32 v38, 8, v40
	v_cmp_ne_u16_e32 vcc, 0, v38
	s_and_saveexec_b64 s[2:3], vcc
	s_cbranch_execz .LBB845_167
; %bb.162:
	s_movk_i32 s8, 0x80
	v_cmp_ne_u16_e32 vcc, s8, v38
	v_mov_b32_e32 v39, 0xffff8000
	s_and_saveexec_b64 s[8:9], vcc
	s_cbranch_execz .LBB845_166
; %bb.163:
	s_movk_i32 s10, 0x7f
	v_and_b32_e32 v55, 0x7f, v38
	v_cmp_ne_u32_e32 vcc, s10, v55
	v_mov_b32_e32 v39, 0x7f80
	s_and_saveexec_b64 s[10:11], vcc
	s_cbranch_execz .LBB845_165
; %bb.164:
	v_and_b32_e32 v56, 7, v38
	v_ffbh_u32_e32 v39, v56
	v_min_u32_e32 v58, 32, v39
	v_subrev_u32_e32 v39, 28, v58
	v_lshlrev_b64 v[38:39], v39, v[38:39]
	v_lshrrev_b32_e32 v57, 3, v55
	v_sub_u32_e32 v39, 29, v58
	v_and_b32_e32 v38, 7, v38
	v_cmp_gt_u32_e32 vcc, 8, v55
	v_cndmask_b32_e32 v39, v57, v39, vcc
	v_cndmask_b32_e32 v38, v56, v38, vcc
	v_lshlrev_b32_e32 v55, 16, v40
	v_bfrev_b32_e32 v56, 60
	v_lshlrev_b32_e32 v38, 20, v38
	v_and_b32_e32 v55, 0x80000000, v55
	v_lshl_add_u32 v39, v39, 23, v56
	v_or3_b32 v38, v55, v39, v38
	v_lshrrev_b32_e32 v39, 16, v38
.LBB845_165:
	s_or_b64 exec, exec, s[10:11]
.LBB845_166:
	s_or_b64 exec, exec, s[8:9]
.LBB845_167:
	s_or_b64 exec, exec, s[2:3]
	s_movk_i32 s2, 0xff
	v_and_b32_sdwa v57, v40, s2 dst_sel:DWORD dst_unused:UNUSED_PAD src0_sel:WORD_1 src1_sel:DWORD
	v_lshrrev_b32_e32 v38, 16, v40
	v_cmp_ne_u16_e32 vcc, 0, v57
	v_mov_b32_e32 v55, 0
	v_mov_b32_e32 v56, 0
	s_and_saveexec_b64 s[2:3], vcc
	s_cbranch_execz .LBB845_173
; %bb.168:
	s_movk_i32 s8, 0x80
	v_cmp_ne_u16_e32 vcc, s8, v57
	v_mov_b32_e32 v56, 0xffff8000
	s_and_saveexec_b64 s[8:9], vcc
	s_cbranch_execz .LBB845_172
; %bb.169:
	v_bfe_u32 v57, v40, 16, 7
	s_movk_i32 s10, 0x7f
	v_cmp_ne_u32_e32 vcc, s10, v57
	v_mov_b32_e32 v56, 0x7f80
	s_and_saveexec_b64 s[10:11], vcc
	s_cbranch_execz .LBB845_171
; %bb.170:
	v_and_b32_e32 v56, 7, v38
	v_ffbh_u32_e32 v58, v56
	v_min_u32_e32 v61, 32, v58
	v_subrev_u32_e32 v58, 28, v61
	v_lshlrev_b64 v[58:59], v58, v[38:39]
	v_lshrrev_b32_e32 v60, 3, v57
	v_sub_u32_e32 v38, 29, v61
	v_and_b32_e32 v58, 7, v58
	v_cmp_gt_u32_e32 vcc, 8, v57
	v_mov_b32_e32 v57, 24
	v_cndmask_b32_e32 v38, v60, v38, vcc
	v_cndmask_b32_e32 v56, v56, v58, vcc
	v_lshlrev_b32_sdwa v57, v57, v40 dst_sel:DWORD dst_unused:UNUSED_PAD src0_sel:DWORD src1_sel:WORD_1
	v_bfrev_b32_e32 v58, 60
	v_lshlrev_b32_e32 v56, 20, v56
	v_and_b32_e32 v57, 0x80000000, v57
	v_lshl_add_u32 v38, v38, 23, v58
	v_or3_b32 v38, v57, v38, v56
	v_lshrrev_b32_e32 v56, 16, v38
.LBB845_171:
	s_or_b64 exec, exec, s[10:11]
.LBB845_172:
	s_or_b64 exec, exec, s[8:9]
.LBB845_173:
	s_or_b64 exec, exec, s[2:3]
	s_mov_b32 s2, 0xffffff
	v_cmp_lt_u32_e32 vcc, s2, v40
	s_and_saveexec_b64 s[2:3], vcc
	s_cbranch_execz .LBB845_179
; %bb.174:
	v_lshrrev_b32_e32 v38, 24, v40
	s_movk_i32 s8, 0x80
	v_cmp_ne_u32_e32 vcc, s8, v38
	v_mov_b32_e32 v55, 0xffff8000
	s_and_saveexec_b64 s[8:9], vcc
	s_cbranch_execz .LBB845_178
; %bb.175:
	v_bfe_u32 v40, v40, 24, 7
	s_movk_i32 s10, 0x7f
	v_cmp_ne_u32_e32 vcc, s10, v40
	v_mov_b32_e32 v55, 0x7f80
	s_and_saveexec_b64 s[10:11], vcc
	s_cbranch_execz .LBB845_177
; %bb.176:
	v_and_b32_e32 v55, 7, v38
	v_ffbh_u32_e32 v58, v55
	v_min_u32_e32 v60, 32, v58
	v_subrev_u32_e32 v58, 28, v60
	v_lshlrev_b64 v[58:59], v58, v[38:39]
	v_lshrrev_b32_e32 v57, 3, v40
	v_sub_u32_e32 v59, 29, v60
	v_and_b32_e32 v58, 7, v58
	v_cmp_gt_u32_e32 vcc, 8, v40
	v_cndmask_b32_e32 v40, v57, v59, vcc
	v_cndmask_b32_e32 v55, v55, v58, vcc
	v_lshlrev_b32_e32 v38, 24, v38
	v_bfrev_b32_e32 v57, 60
	v_lshlrev_b32_e32 v55, 20, v55
	v_and_b32_e32 v38, 0x80000000, v38
	v_lshl_add_u32 v40, v40, 23, v57
	v_or3_b32 v38, v38, v40, v55
	v_lshrrev_b32_e32 v55, 16, v38
.LBB845_177:
	s_or_b64 exec, exec, s[10:11]
.LBB845_178:
	s_or_b64 exec, exec, s[8:9]
.LBB845_179:
	s_or_b64 exec, exec, s[2:3]
	v_mov_b32_e32 v40, 0
	v_cmp_ne_u16_sdwa s[8:9], v41, v40 src0_sel:BYTE_0 src1_sel:DWORD
	v_mov_b32_e32 v57, 0
	s_and_saveexec_b64 s[2:3], s[8:9]
	s_cbranch_execz .LBB845_185
; %bb.180:
	s_movk_i32 s8, 0x80
	v_cmp_ne_u16_sdwa s[10:11], v41, s8 src0_sel:BYTE_0 src1_sel:DWORD
	v_mov_b32_e32 v57, 0xffff8000
	s_and_saveexec_b64 s[8:9], s[10:11]
	s_cbranch_execz .LBB845_184
; %bb.181:
	s_movk_i32 s10, 0x7f
	v_and_b32_e32 v38, 0x7f, v41
	v_cmp_ne_u32_e32 vcc, s10, v38
	v_mov_b32_e32 v57, 0x7f80
	s_and_saveexec_b64 s[10:11], vcc
	s_cbranch_execz .LBB845_183
; %bb.182:
	v_and_b32_e32 v57, 7, v41
	v_ffbh_u32_e32 v59, v57
	v_min_u32_e32 v61, 32, v59
	v_mov_b32_e32 v58, v41
	v_subrev_u32_e32 v59, 28, v61
	v_lshlrev_b64 v[58:59], v59, v[58:59]
	v_lshrrev_b32_e32 v60, 3, v38
	v_sub_u32_e32 v59, 29, v61
	v_and_b32_e32 v58, 7, v58
	v_cmp_gt_u32_e32 vcc, 8, v38
	v_cndmask_b32_e32 v38, v60, v59, vcc
	v_cndmask_b32_e32 v57, v57, v58, vcc
	v_lshlrev_b32_e32 v58, 24, v41
	v_bfrev_b32_e32 v59, 60
	v_lshlrev_b32_e32 v57, 20, v57
	v_and_b32_e32 v58, 0x80000000, v58
	v_lshl_add_u32 v38, v38, 23, v59
	v_or3_b32 v38, v58, v38, v57
	v_lshrrev_b32_e32 v57, 16, v38
.LBB845_183:
	s_or_b64 exec, exec, s[10:11]
.LBB845_184:
	s_or_b64 exec, exec, s[8:9]
.LBB845_185:
	s_or_b64 exec, exec, s[2:3]
	v_lshrrev_b16_e32 v38, 8, v41
	v_cmp_ne_u16_e32 vcc, 0, v38
	s_and_saveexec_b64 s[2:3], vcc
	s_cbranch_execz .LBB845_191
; %bb.186:
	s_movk_i32 s8, 0x80
	v_cmp_ne_u16_e32 vcc, s8, v38
	v_mov_b32_e32 v40, 0xffff8000
	s_and_saveexec_b64 s[8:9], vcc
	s_cbranch_execz .LBB845_190
; %bb.187:
	s_movk_i32 s10, 0x7f
	v_and_b32_e32 v58, 0x7f, v38
	v_cmp_ne_u32_e32 vcc, s10, v58
	v_mov_b32_e32 v40, 0x7f80
	s_and_saveexec_b64 s[10:11], vcc
	s_cbranch_execz .LBB845_189
; %bb.188:
	v_and_b32_e32 v40, 7, v38
	v_ffbh_u32_e32 v60, v40
	v_min_u32_e32 v62, 32, v60
	v_subrev_u32_e32 v60, 28, v62
	v_lshlrev_b64 v[60:61], v60, v[38:39]
	v_lshrrev_b32_e32 v59, 3, v58
	v_sub_u32_e32 v38, 29, v62
	v_and_b32_e32 v60, 7, v60
	v_cmp_gt_u32_e32 vcc, 8, v58
	v_cndmask_b32_e32 v38, v59, v38, vcc
	v_cndmask_b32_e32 v40, v40, v60, vcc
	v_lshlrev_b32_e32 v58, 16, v41
	v_bfrev_b32_e32 v59, 60
	v_lshlrev_b32_e32 v40, 20, v40
	v_and_b32_e32 v58, 0x80000000, v58
	v_lshl_add_u32 v38, v38, 23, v59
	v_or3_b32 v38, v58, v38, v40
	v_lshrrev_b32_e32 v40, 16, v38
.LBB845_189:
	s_or_b64 exec, exec, s[10:11]
.LBB845_190:
	s_or_b64 exec, exec, s[8:9]
.LBB845_191:
	s_or_b64 exec, exec, s[2:3]
	s_movk_i32 s2, 0xff
	v_and_b32_sdwa v60, v41, s2 dst_sel:DWORD dst_unused:UNUSED_PAD src0_sel:WORD_1 src1_sel:DWORD
	v_lshrrev_b32_e32 v38, 16, v41
	v_cmp_ne_u16_e32 vcc, 0, v60
	v_mov_b32_e32 v58, 0
	v_mov_b32_e32 v59, 0
	s_and_saveexec_b64 s[2:3], vcc
	s_cbranch_execz .LBB845_197
; %bb.192:
	s_movk_i32 s8, 0x80
	v_cmp_ne_u16_e32 vcc, s8, v60
	v_mov_b32_e32 v59, 0xffff8000
	s_and_saveexec_b64 s[8:9], vcc
	s_cbranch_execz .LBB845_196
; %bb.193:
	v_bfe_u32 v60, v41, 16, 7
	s_movk_i32 s10, 0x7f
	v_cmp_ne_u32_e32 vcc, s10, v60
	v_mov_b32_e32 v59, 0x7f80
	s_and_saveexec_b64 s[10:11], vcc
	s_cbranch_execz .LBB845_195
; %bb.194:
	v_and_b32_e32 v59, 7, v38
	v_ffbh_u32_e32 v62, v59
	v_min_u32_e32 v64, 32, v62
	v_subrev_u32_e32 v62, 28, v64
	v_lshlrev_b64 v[62:63], v62, v[38:39]
	v_lshrrev_b32_e32 v61, 3, v60
	v_sub_u32_e32 v38, 29, v64
	v_and_b32_e32 v62, 7, v62
	v_cmp_gt_u32_e32 vcc, 8, v60
	v_mov_b32_e32 v60, 24
	v_cndmask_b32_e32 v38, v61, v38, vcc
	v_cndmask_b32_e32 v59, v59, v62, vcc
	v_lshlrev_b32_sdwa v60, v60, v41 dst_sel:DWORD dst_unused:UNUSED_PAD src0_sel:DWORD src1_sel:WORD_1
	v_bfrev_b32_e32 v61, 60
	v_lshlrev_b32_e32 v59, 20, v59
	v_and_b32_e32 v60, 0x80000000, v60
	v_lshl_add_u32 v38, v38, 23, v61
	v_or3_b32 v38, v60, v38, v59
	v_lshrrev_b32_e32 v59, 16, v38
.LBB845_195:
	s_or_b64 exec, exec, s[10:11]
.LBB845_196:
	s_or_b64 exec, exec, s[8:9]
.LBB845_197:
	s_or_b64 exec, exec, s[2:3]
	s_mov_b32 s2, 0xffffff
	v_cmp_lt_u32_e32 vcc, s2, v41
	s_and_saveexec_b64 s[2:3], vcc
	s_cbranch_execz .LBB845_203
; %bb.198:
	v_lshrrev_b32_e32 v38, 24, v41
	s_movk_i32 s8, 0x80
	v_cmp_ne_u32_e32 vcc, s8, v38
	v_mov_b32_e32 v58, 0xffff8000
	s_and_saveexec_b64 s[8:9], vcc
	s_cbranch_execz .LBB845_202
; %bb.199:
	v_bfe_u32 v41, v41, 24, 7
	s_movk_i32 s10, 0x7f
	v_cmp_ne_u32_e32 vcc, s10, v41
	v_mov_b32_e32 v58, 0x7f80
	s_and_saveexec_b64 s[10:11], vcc
	s_cbranch_execz .LBB845_201
; %bb.200:
	v_and_b32_e32 v58, 7, v38
	v_ffbh_u32_e32 v60, v58
	v_min_u32_e32 v63, 32, v60
	v_subrev_u32_e32 v60, 28, v63
	v_lshlrev_b64 v[60:61], v60, v[38:39]
	v_lshrrev_b32_e32 v62, 3, v41
	v_sub_u32_e32 v61, 29, v63
	v_and_b32_e32 v60, 7, v60
	v_cmp_gt_u32_e32 vcc, 8, v41
	v_cndmask_b32_e32 v41, v62, v61, vcc
	v_cndmask_b32_e32 v58, v58, v60, vcc
	v_lshlrev_b32_e32 v38, 24, v38
	v_bfrev_b32_e32 v60, 60
	v_lshlrev_b32_e32 v58, 20, v58
	v_and_b32_e32 v38, 0x80000000, v38
	v_lshl_add_u32 v41, v41, 23, v60
	v_or3_b32 v38, v38, v41, v58
	v_lshrrev_b32_e32 v58, 16, v38
.LBB845_201:
	s_or_b64 exec, exec, s[10:11]
.LBB845_202:
	s_or_b64 exec, exec, s[8:9]
.LBB845_203:
	s_or_b64 exec, exec, s[2:3]
	s_mov_b32 s2, 0x5040100
	v_perm_b32 v55, v55, v56, s2
	v_perm_b32 v54, v39, v54, s2
	;; [unrolled: 1-line block ×4, first 2 shown]
	v_mfma_f32_16x16x16bf16_1k v[60:63], v[54:55], v[18:19], v[42:45]
	s_nop 6
	v_mov_b32_e32 v43, 0
	s_waitcnt vmcnt(6)
	v_cmp_ne_u16_sdwa s[8:9], v34, v43 src0_sel:BYTE_0 src1_sel:DWORD
	v_mfma_f32_16x16x16bf16_1k v[38:41], v[38:39], v[20:21], v[60:63]
	v_mov_b32_e32 v44, 0
	s_and_saveexec_b64 s[2:3], s[8:9]
	s_cbranch_execz .LBB845_209
; %bb.204:
	s_movk_i32 s8, 0x80
	v_cmp_ne_u16_sdwa s[10:11], v34, s8 src0_sel:BYTE_0 src1_sel:DWORD
	v_mov_b32_e32 v44, 0xffff8000
	s_and_saveexec_b64 s[8:9], s[10:11]
	s_cbranch_execz .LBB845_208
; %bb.205:
	s_movk_i32 s10, 0x7f
	v_and_b32_e32 v42, 0x7f, v34
	v_cmp_ne_u32_e32 vcc, s10, v42
	v_mov_b32_e32 v44, 0x7f80
	s_and_saveexec_b64 s[10:11], vcc
	s_cbranch_execz .LBB845_207
; %bb.206:
	v_and_b32_e32 v54, 7, v34
	v_ffbh_u32_e32 v44, v54
	v_min_u32_e32 v56, 32, v44
	v_subrev_u32_e32 v44, 28, v56
	v_lshlrev_b64 v[44:45], v44, v[34:35]
	v_lshrrev_b32_e32 v55, 3, v42
	v_sub_u32_e32 v45, 29, v56
	v_and_b32_e32 v44, 7, v44
	v_cmp_gt_u32_e32 vcc, 8, v42
	v_cndmask_b32_e32 v42, v55, v45, vcc
	v_cndmask_b32_e32 v44, v54, v44, vcc
	v_lshlrev_b32_e32 v45, 24, v34
	v_bfrev_b32_e32 v54, 60
	v_lshlrev_b32_e32 v44, 20, v44
	v_and_b32_e32 v45, 0x80000000, v45
	v_lshl_add_u32 v42, v42, 23, v54
	v_or3_b32 v42, v45, v42, v44
	v_lshrrev_b32_e32 v44, 16, v42
.LBB845_207:
	s_or_b64 exec, exec, s[10:11]
.LBB845_208:
	s_or_b64 exec, exec, s[8:9]
.LBB845_209:
	s_or_b64 exec, exec, s[2:3]
	v_lshrrev_b16_e32 v42, 8, v34
	v_cmp_ne_u16_e32 vcc, 0, v42
	s_and_saveexec_b64 s[2:3], vcc
	s_cbranch_execz .LBB845_215
; %bb.210:
	s_movk_i32 s8, 0x80
	v_cmp_ne_u16_e32 vcc, s8, v42
	v_mov_b32_e32 v43, 0xffff8000
	s_and_saveexec_b64 s[8:9], vcc
	s_cbranch_execz .LBB845_214
; %bb.211:
	s_movk_i32 s10, 0x7f
	v_and_b32_e32 v45, 0x7f, v42
	v_cmp_ne_u32_e32 vcc, s10, v45
	v_mov_b32_e32 v43, 0x7f80
	s_and_saveexec_b64 s[10:11], vcc
	s_cbranch_execz .LBB845_213
; %bb.212:
	v_and_b32_e32 v54, 7, v42
	v_ffbh_u32_e32 v43, v54
	v_min_u32_e32 v56, 32, v43
	v_subrev_u32_e32 v43, 28, v56
	v_lshlrev_b64 v[42:43], v43, v[42:43]
	v_lshrrev_b32_e32 v55, 3, v45
	v_sub_u32_e32 v43, 29, v56
	v_and_b32_e32 v42, 7, v42
	v_cmp_gt_u32_e32 vcc, 8, v45
	v_cndmask_b32_e32 v43, v55, v43, vcc
	v_cndmask_b32_e32 v42, v54, v42, vcc
	v_lshlrev_b32_e32 v45, 16, v34
	v_bfrev_b32_e32 v54, 60
	v_lshlrev_b32_e32 v42, 20, v42
	v_and_b32_e32 v45, 0x80000000, v45
	v_lshl_add_u32 v43, v43, 23, v54
	v_or3_b32 v42, v45, v43, v42
	v_lshrrev_b32_e32 v43, 16, v42
.LBB845_213:
	s_or_b64 exec, exec, s[10:11]
.LBB845_214:
	s_or_b64 exec, exec, s[8:9]
.LBB845_215:
	s_or_b64 exec, exec, s[2:3]
	s_movk_i32 s2, 0xff
	v_and_b32_sdwa v55, v34, s2 dst_sel:DWORD dst_unused:UNUSED_PAD src0_sel:WORD_1 src1_sel:DWORD
	v_lshrrev_b32_e32 v42, 16, v34
	v_cmp_ne_u16_e32 vcc, 0, v55
	v_mov_b32_e32 v45, 0
	v_mov_b32_e32 v54, 0
	s_and_saveexec_b64 s[2:3], vcc
	s_cbranch_execz .LBB845_221
; %bb.216:
	s_movk_i32 s8, 0x80
	v_cmp_ne_u16_e32 vcc, s8, v55
	v_mov_b32_e32 v54, 0xffff8000
	s_and_saveexec_b64 s[8:9], vcc
	s_cbranch_execz .LBB845_220
; %bb.217:
	v_bfe_u32 v55, v34, 16, 7
	s_movk_i32 s10, 0x7f
	v_cmp_ne_u32_e32 vcc, s10, v55
	v_mov_b32_e32 v54, 0x7f80
	s_and_saveexec_b64 s[10:11], vcc
	s_cbranch_execz .LBB845_219
; %bb.218:
	v_and_b32_e32 v54, 7, v42
	v_ffbh_u32_e32 v56, v54
	v_min_u32_e32 v59, 32, v56
	v_subrev_u32_e32 v56, 28, v59
	v_lshlrev_b64 v[56:57], v56, v[42:43]
	v_lshrrev_b32_e32 v58, 3, v55
	v_sub_u32_e32 v42, 29, v59
	v_and_b32_e32 v56, 7, v56
	v_cmp_gt_u32_e32 vcc, 8, v55
	v_mov_b32_e32 v55, 24
	v_cndmask_b32_e32 v42, v58, v42, vcc
	v_cndmask_b32_e32 v54, v54, v56, vcc
	v_lshlrev_b32_sdwa v55, v55, v34 dst_sel:DWORD dst_unused:UNUSED_PAD src0_sel:DWORD src1_sel:WORD_1
	v_bfrev_b32_e32 v56, 60
	v_lshlrev_b32_e32 v54, 20, v54
	v_and_b32_e32 v55, 0x80000000, v55
	v_lshl_add_u32 v42, v42, 23, v56
	v_or3_b32 v42, v55, v42, v54
	v_lshrrev_b32_e32 v54, 16, v42
.LBB845_219:
	s_or_b64 exec, exec, s[10:11]
.LBB845_220:
	s_or_b64 exec, exec, s[8:9]
.LBB845_221:
	s_or_b64 exec, exec, s[2:3]
	s_mov_b32 s2, 0xffffff
	v_cmp_lt_u32_e32 vcc, s2, v34
	s_and_saveexec_b64 s[2:3], vcc
	s_cbranch_execz .LBB845_227
; %bb.222:
	v_lshrrev_b32_e32 v42, 24, v34
	s_movk_i32 s8, 0x80
	v_cmp_ne_u32_e32 vcc, s8, v42
	v_mov_b32_e32 v45, 0xffff8000
	s_and_saveexec_b64 s[8:9], vcc
	s_cbranch_execz .LBB845_226
; %bb.223:
	v_bfe_u32 v34, v34, 24, 7
	s_movk_i32 s10, 0x7f
	v_cmp_ne_u32_e32 vcc, s10, v34
	v_mov_b32_e32 v45, 0x7f80
	s_and_saveexec_b64 s[10:11], vcc
	s_cbranch_execz .LBB845_225
; %bb.224:
	v_and_b32_e32 v45, 7, v42
	v_ffbh_u32_e32 v56, v45
	v_min_u32_e32 v58, 32, v56
	v_subrev_u32_e32 v56, 28, v58
	v_lshlrev_b64 v[56:57], v56, v[42:43]
	v_lshrrev_b32_e32 v55, 3, v34
	v_sub_u32_e32 v57, 29, v58
	v_and_b32_e32 v56, 7, v56
	v_cmp_gt_u32_e32 vcc, 8, v34
	v_cndmask_b32_e32 v34, v55, v57, vcc
	v_cndmask_b32_e32 v45, v45, v56, vcc
	v_lshlrev_b32_e32 v42, 24, v42
	v_bfrev_b32_e32 v55, 60
	v_lshlrev_b32_e32 v45, 20, v45
	v_and_b32_e32 v42, 0x80000000, v42
	v_lshl_add_u32 v34, v34, 23, v55
	v_or3_b32 v34, v42, v34, v45
	v_lshrrev_b32_e32 v45, 16, v34
.LBB845_225:
	s_or_b64 exec, exec, s[10:11]
.LBB845_226:
	s_or_b64 exec, exec, s[8:9]
.LBB845_227:
	s_or_b64 exec, exec, s[2:3]
	v_mov_b32_e32 v42, 0
	v_cmp_ne_u16_sdwa s[8:9], v35, v42 src0_sel:BYTE_0 src1_sel:DWORD
	v_mov_b32_e32 v55, 0
	s_and_saveexec_b64 s[2:3], s[8:9]
	s_cbranch_execz .LBB845_233
; %bb.228:
	s_movk_i32 s8, 0x80
	v_cmp_ne_u16_sdwa s[10:11], v35, s8 src0_sel:BYTE_0 src1_sel:DWORD
	v_mov_b32_e32 v55, 0xffff8000
	s_and_saveexec_b64 s[8:9], s[10:11]
	s_cbranch_execz .LBB845_232
; %bb.229:
	s_movk_i32 s10, 0x7f
	v_and_b32_e32 v34, 0x7f, v35
	v_cmp_ne_u32_e32 vcc, s10, v34
	v_mov_b32_e32 v55, 0x7f80
	s_and_saveexec_b64 s[10:11], vcc
	s_cbranch_execz .LBB845_231
; %bb.230:
	v_and_b32_e32 v55, 7, v35
	v_ffbh_u32_e32 v57, v55
	v_min_u32_e32 v59, 32, v57
	v_mov_b32_e32 v56, v35
	v_subrev_u32_e32 v57, 28, v59
	v_lshlrev_b64 v[56:57], v57, v[56:57]
	v_lshrrev_b32_e32 v58, 3, v34
	v_sub_u32_e32 v57, 29, v59
	v_and_b32_e32 v56, 7, v56
	v_cmp_gt_u32_e32 vcc, 8, v34
	v_cndmask_b32_e32 v34, v58, v57, vcc
	v_cndmask_b32_e32 v55, v55, v56, vcc
	v_lshlrev_b32_e32 v56, 24, v35
	v_bfrev_b32_e32 v57, 60
	v_lshlrev_b32_e32 v55, 20, v55
	v_and_b32_e32 v56, 0x80000000, v56
	v_lshl_add_u32 v34, v34, 23, v57
	v_or3_b32 v34, v56, v34, v55
	v_lshrrev_b32_e32 v55, 16, v34
.LBB845_231:
	s_or_b64 exec, exec, s[10:11]
.LBB845_232:
	s_or_b64 exec, exec, s[8:9]
.LBB845_233:
	s_or_b64 exec, exec, s[2:3]
	v_lshrrev_b16_e32 v34, 8, v35
	v_cmp_ne_u16_e32 vcc, 0, v34
	s_and_saveexec_b64 s[2:3], vcc
	s_cbranch_execz .LBB845_239
; %bb.234:
	s_movk_i32 s8, 0x80
	v_cmp_ne_u16_e32 vcc, s8, v34
	v_mov_b32_e32 v42, 0xffff8000
	s_and_saveexec_b64 s[8:9], vcc
	s_cbranch_execz .LBB845_238
; %bb.235:
	s_movk_i32 s10, 0x7f
	v_and_b32_e32 v56, 0x7f, v34
	v_cmp_ne_u32_e32 vcc, s10, v56
	v_mov_b32_e32 v42, 0x7f80
	s_and_saveexec_b64 s[10:11], vcc
	s_cbranch_execz .LBB845_237
; %bb.236:
	v_and_b32_e32 v42, 7, v34
	v_ffbh_u32_e32 v58, v42
	v_min_u32_e32 v60, 32, v58
	v_subrev_u32_e32 v58, 28, v60
	v_lshlrev_b64 v[58:59], v58, v[34:35]
	v_lshrrev_b32_e32 v57, 3, v56
	v_sub_u32_e32 v34, 29, v60
	v_and_b32_e32 v58, 7, v58
	v_cmp_gt_u32_e32 vcc, 8, v56
	v_cndmask_b32_e32 v34, v57, v34, vcc
	v_cndmask_b32_e32 v42, v42, v58, vcc
	v_lshlrev_b32_e32 v56, 16, v35
	v_bfrev_b32_e32 v57, 60
	v_lshlrev_b32_e32 v42, 20, v42
	v_and_b32_e32 v56, 0x80000000, v56
	v_lshl_add_u32 v34, v34, 23, v57
	v_or3_b32 v34, v56, v34, v42
	v_lshrrev_b32_e32 v42, 16, v34
.LBB845_237:
	s_or_b64 exec, exec, s[10:11]
.LBB845_238:
	s_or_b64 exec, exec, s[8:9]
.LBB845_239:
	s_or_b64 exec, exec, s[2:3]
	s_movk_i32 s2, 0xff
	v_and_b32_sdwa v58, v35, s2 dst_sel:DWORD dst_unused:UNUSED_PAD src0_sel:WORD_1 src1_sel:DWORD
	v_lshrrev_b32_e32 v34, 16, v35
	v_cmp_ne_u16_e32 vcc, 0, v58
	v_mov_b32_e32 v56, 0
	v_mov_b32_e32 v57, 0
	s_and_saveexec_b64 s[2:3], vcc
	s_cbranch_execz .LBB845_245
; %bb.240:
	s_movk_i32 s8, 0x80
	v_cmp_ne_u16_e32 vcc, s8, v58
	v_mov_b32_e32 v57, 0xffff8000
	s_and_saveexec_b64 s[8:9], vcc
	s_cbranch_execz .LBB845_244
; %bb.241:
	v_bfe_u32 v58, v35, 16, 7
	s_movk_i32 s10, 0x7f
	v_cmp_ne_u32_e32 vcc, s10, v58
	v_mov_b32_e32 v57, 0x7f80
	s_and_saveexec_b64 s[10:11], vcc
	s_cbranch_execz .LBB845_243
; %bb.242:
	v_and_b32_e32 v57, 7, v34
	v_ffbh_u32_e32 v60, v57
	v_min_u32_e32 v62, 32, v60
	v_subrev_u32_e32 v60, 28, v62
	v_lshlrev_b64 v[60:61], v60, v[34:35]
	v_lshrrev_b32_e32 v59, 3, v58
	v_sub_u32_e32 v34, 29, v62
	v_and_b32_e32 v60, 7, v60
	v_cmp_gt_u32_e32 vcc, 8, v58
	v_mov_b32_e32 v58, 24
	v_cndmask_b32_e32 v34, v59, v34, vcc
	v_cndmask_b32_e32 v57, v57, v60, vcc
	v_lshlrev_b32_sdwa v58, v58, v35 dst_sel:DWORD dst_unused:UNUSED_PAD src0_sel:DWORD src1_sel:WORD_1
	v_bfrev_b32_e32 v59, 60
	v_lshlrev_b32_e32 v57, 20, v57
	v_and_b32_e32 v58, 0x80000000, v58
	v_lshl_add_u32 v34, v34, 23, v59
	v_or3_b32 v34, v58, v34, v57
	v_lshrrev_b32_e32 v57, 16, v34
.LBB845_243:
	s_or_b64 exec, exec, s[10:11]
.LBB845_244:
	s_or_b64 exec, exec, s[8:9]
.LBB845_245:
	s_or_b64 exec, exec, s[2:3]
	s_mov_b32 s2, 0xffffff
	v_cmp_lt_u32_e32 vcc, s2, v35
	s_and_saveexec_b64 s[2:3], vcc
	s_cbranch_execz .LBB845_251
; %bb.246:
	v_lshrrev_b32_e32 v34, 24, v35
	s_movk_i32 s8, 0x80
	v_cmp_ne_u32_e32 vcc, s8, v34
	v_mov_b32_e32 v56, 0xffff8000
	s_and_saveexec_b64 s[8:9], vcc
	s_cbranch_execz .LBB845_250
; %bb.247:
	v_bfe_u32 v35, v35, 24, 7
	s_movk_i32 s10, 0x7f
	v_cmp_ne_u32_e32 vcc, s10, v35
	v_mov_b32_e32 v56, 0x7f80
	s_and_saveexec_b64 s[10:11], vcc
	s_cbranch_execz .LBB845_249
; %bb.248:
	v_and_b32_e32 v56, 7, v34
	v_ffbh_u32_e32 v58, v56
	v_min_u32_e32 v61, 32, v58
	v_subrev_u32_e32 v58, 28, v61
	v_lshlrev_b64 v[58:59], v58, v[34:35]
	v_lshrrev_b32_e32 v60, 3, v35
	v_sub_u32_e32 v59, 29, v61
	v_and_b32_e32 v58, 7, v58
	v_cmp_gt_u32_e32 vcc, 8, v35
	v_cndmask_b32_e32 v35, v60, v59, vcc
	v_cndmask_b32_e32 v56, v56, v58, vcc
	v_lshlrev_b32_e32 v34, 24, v34
	v_bfrev_b32_e32 v58, 60
	v_lshlrev_b32_e32 v56, 20, v56
	v_and_b32_e32 v34, 0x80000000, v34
	v_lshl_add_u32 v35, v35, 23, v58
	v_or3_b32 v34, v34, v35, v56
	v_lshrrev_b32_e32 v56, 16, v34
.LBB845_249:
	s_or_b64 exec, exec, s[10:11]
.LBB845_250:
	s_or_b64 exec, exec, s[8:9]
.LBB845_251:
	s_or_b64 exec, exec, s[2:3]
	s_mov_b32 s2, 0x5040100
	v_perm_b32 v35, v45, v54, s2
	v_perm_b32 v34, v43, v44, s2
	;; [unrolled: 1-line block ×4, first 2 shown]
	v_mov_b32_e32 v54, 0
	v_mfma_f32_16x16x16bf16_1k v[58:61], v[34:35], v[26:27], 0
	v_mov_b32_e32 v35, 0
	v_cmp_ne_u16_sdwa s[8:9], v36, v35 src0_sel:BYTE_0 src1_sel:DWORD
	v_mfma_f32_16x16x16bf16_1k v[42:45], v[42:43], v[28:29], v[58:61]
	s_and_saveexec_b64 s[2:3], s[8:9]
	s_cbranch_execz .LBB845_257
; %bb.252:
	s_movk_i32 s8, 0x80
	v_cmp_ne_u16_sdwa s[10:11], v36, s8 src0_sel:BYTE_0 src1_sel:DWORD
	v_mov_b32_e32 v54, 0xffff8000
	s_and_saveexec_b64 s[8:9], s[10:11]
	s_cbranch_execz .LBB845_256
; %bb.253:
	s_movk_i32 s10, 0x7f
	v_and_b32_e32 v34, 0x7f, v36
	v_cmp_ne_u32_e32 vcc, s10, v34
	v_mov_b32_e32 v54, 0x7f80
	s_and_saveexec_b64 s[10:11], vcc
	s_cbranch_execz .LBB845_255
; %bb.254:
	v_and_b32_e32 v56, 7, v36
	v_ffbh_u32_e32 v54, v56
	v_min_u32_e32 v58, 32, v54
	v_subrev_u32_e32 v54, 28, v58
	v_lshlrev_b64 v[54:55], v54, v[36:37]
	v_lshrrev_b32_e32 v57, 3, v34
	v_sub_u32_e32 v55, 29, v58
	v_and_b32_e32 v54, 7, v54
	v_cmp_gt_u32_e32 vcc, 8, v34
	v_cndmask_b32_e32 v34, v57, v55, vcc
	v_cndmask_b32_e32 v54, v56, v54, vcc
	v_lshlrev_b32_e32 v55, 24, v36
	v_bfrev_b32_e32 v56, 60
	v_lshlrev_b32_e32 v54, 20, v54
	v_and_b32_e32 v55, 0x80000000, v55
	v_lshl_add_u32 v34, v34, 23, v56
	v_or3_b32 v34, v55, v34, v54
	v_lshrrev_b32_e32 v54, 16, v34
.LBB845_255:
	s_or_b64 exec, exec, s[10:11]
.LBB845_256:
	s_or_b64 exec, exec, s[8:9]
.LBB845_257:
	s_or_b64 exec, exec, s[2:3]
	v_lshrrev_b16_e32 v34, 8, v36
	v_cmp_ne_u16_e32 vcc, 0, v34
	s_and_saveexec_b64 s[2:3], vcc
	s_cbranch_execz .LBB845_263
; %bb.258:
	s_movk_i32 s8, 0x80
	v_cmp_ne_u16_e32 vcc, s8, v34
	v_mov_b32_e32 v35, 0xffff8000
	s_and_saveexec_b64 s[8:9], vcc
	s_cbranch_execz .LBB845_262
; %bb.259:
	s_movk_i32 s10, 0x7f
	v_and_b32_e32 v55, 0x7f, v34
	v_cmp_ne_u32_e32 vcc, s10, v55
	v_mov_b32_e32 v35, 0x7f80
	s_and_saveexec_b64 s[10:11], vcc
	s_cbranch_execz .LBB845_261
; %bb.260:
	v_and_b32_e32 v56, 7, v34
	v_ffbh_u32_e32 v35, v56
	v_min_u32_e32 v58, 32, v35
	v_subrev_u32_e32 v35, 28, v58
	v_lshlrev_b64 v[34:35], v35, v[34:35]
	v_lshrrev_b32_e32 v57, 3, v55
	v_sub_u32_e32 v35, 29, v58
	v_and_b32_e32 v34, 7, v34
	v_cmp_gt_u32_e32 vcc, 8, v55
	v_cndmask_b32_e32 v35, v57, v35, vcc
	v_cndmask_b32_e32 v34, v56, v34, vcc
	v_lshlrev_b32_e32 v55, 16, v36
	v_bfrev_b32_e32 v56, 60
	v_lshlrev_b32_e32 v34, 20, v34
	v_and_b32_e32 v55, 0x80000000, v55
	v_lshl_add_u32 v35, v35, 23, v56
	v_or3_b32 v34, v55, v35, v34
	v_lshrrev_b32_e32 v35, 16, v34
.LBB845_261:
	s_or_b64 exec, exec, s[10:11]
.LBB845_262:
	s_or_b64 exec, exec, s[8:9]
.LBB845_263:
	s_or_b64 exec, exec, s[2:3]
	s_movk_i32 s2, 0xff
	v_and_b32_sdwa v57, v36, s2 dst_sel:DWORD dst_unused:UNUSED_PAD src0_sel:WORD_1 src1_sel:DWORD
	v_lshrrev_b32_e32 v34, 16, v36
	v_cmp_ne_u16_e32 vcc, 0, v57
	v_mov_b32_e32 v55, 0
	v_mov_b32_e32 v56, 0
	s_and_saveexec_b64 s[2:3], vcc
	s_cbranch_execz .LBB845_269
; %bb.264:
	s_movk_i32 s8, 0x80
	v_cmp_ne_u16_e32 vcc, s8, v57
	v_mov_b32_e32 v56, 0xffff8000
	s_and_saveexec_b64 s[8:9], vcc
	s_cbranch_execz .LBB845_268
; %bb.265:
	v_bfe_u32 v57, v36, 16, 7
	s_movk_i32 s10, 0x7f
	v_cmp_ne_u32_e32 vcc, s10, v57
	v_mov_b32_e32 v56, 0x7f80
	s_and_saveexec_b64 s[10:11], vcc
	s_cbranch_execz .LBB845_267
; %bb.266:
	v_and_b32_e32 v56, 7, v34
	v_ffbh_u32_e32 v58, v56
	v_min_u32_e32 v61, 32, v58
	v_subrev_u32_e32 v58, 28, v61
	v_lshlrev_b64 v[58:59], v58, v[34:35]
	v_lshrrev_b32_e32 v60, 3, v57
	v_sub_u32_e32 v34, 29, v61
	v_and_b32_e32 v58, 7, v58
	v_cmp_gt_u32_e32 vcc, 8, v57
	v_mov_b32_e32 v57, 24
	v_cndmask_b32_e32 v34, v60, v34, vcc
	v_cndmask_b32_e32 v56, v56, v58, vcc
	v_lshlrev_b32_sdwa v57, v57, v36 dst_sel:DWORD dst_unused:UNUSED_PAD src0_sel:DWORD src1_sel:WORD_1
	v_bfrev_b32_e32 v58, 60
	v_lshlrev_b32_e32 v56, 20, v56
	v_and_b32_e32 v57, 0x80000000, v57
	v_lshl_add_u32 v34, v34, 23, v58
	v_or3_b32 v34, v57, v34, v56
	v_lshrrev_b32_e32 v56, 16, v34
.LBB845_267:
	s_or_b64 exec, exec, s[10:11]
.LBB845_268:
	s_or_b64 exec, exec, s[8:9]
.LBB845_269:
	s_or_b64 exec, exec, s[2:3]
	s_mov_b32 s2, 0xffffff
	v_cmp_lt_u32_e32 vcc, s2, v36
	s_and_saveexec_b64 s[2:3], vcc
	s_cbranch_execz .LBB845_275
; %bb.270:
	v_lshrrev_b32_e32 v34, 24, v36
	s_movk_i32 s8, 0x80
	v_cmp_ne_u32_e32 vcc, s8, v34
	v_mov_b32_e32 v55, 0xffff8000
	s_and_saveexec_b64 s[8:9], vcc
	s_cbranch_execz .LBB845_274
; %bb.271:
	v_bfe_u32 v36, v36, 24, 7
	s_movk_i32 s10, 0x7f
	v_cmp_ne_u32_e32 vcc, s10, v36
	v_mov_b32_e32 v55, 0x7f80
	s_and_saveexec_b64 s[10:11], vcc
	s_cbranch_execz .LBB845_273
; %bb.272:
	v_and_b32_e32 v55, 7, v34
	v_ffbh_u32_e32 v58, v55
	v_min_u32_e32 v60, 32, v58
	v_subrev_u32_e32 v58, 28, v60
	v_lshlrev_b64 v[58:59], v58, v[34:35]
	v_lshrrev_b32_e32 v57, 3, v36
	v_sub_u32_e32 v59, 29, v60
	v_and_b32_e32 v58, 7, v58
	v_cmp_gt_u32_e32 vcc, 8, v36
	v_cndmask_b32_e32 v36, v57, v59, vcc
	v_cndmask_b32_e32 v55, v55, v58, vcc
	v_lshlrev_b32_e32 v34, 24, v34
	v_bfrev_b32_e32 v57, 60
	v_lshlrev_b32_e32 v55, 20, v55
	v_and_b32_e32 v34, 0x80000000, v34
	v_lshl_add_u32 v36, v36, 23, v57
	v_or3_b32 v34, v34, v36, v55
	v_lshrrev_b32_e32 v55, 16, v34
.LBB845_273:
	s_or_b64 exec, exec, s[10:11]
.LBB845_274:
	s_or_b64 exec, exec, s[8:9]
.LBB845_275:
	s_or_b64 exec, exec, s[2:3]
	v_mov_b32_e32 v36, 0
	v_cmp_ne_u16_sdwa s[8:9], v37, v36 src0_sel:BYTE_0 src1_sel:DWORD
	v_mov_b32_e32 v57, 0
	s_and_saveexec_b64 s[2:3], s[8:9]
	s_cbranch_execz .LBB845_281
; %bb.276:
	s_movk_i32 s8, 0x80
	v_cmp_ne_u16_sdwa s[10:11], v37, s8 src0_sel:BYTE_0 src1_sel:DWORD
	v_mov_b32_e32 v57, 0xffff8000
	s_and_saveexec_b64 s[8:9], s[10:11]
	s_cbranch_execz .LBB845_280
; %bb.277:
	s_movk_i32 s10, 0x7f
	v_and_b32_e32 v34, 0x7f, v37
	v_cmp_ne_u32_e32 vcc, s10, v34
	v_mov_b32_e32 v57, 0x7f80
	s_and_saveexec_b64 s[10:11], vcc
	s_cbranch_execz .LBB845_279
; %bb.278:
	v_and_b32_e32 v57, 7, v37
	v_ffbh_u32_e32 v59, v57
	v_min_u32_e32 v61, 32, v59
	v_mov_b32_e32 v58, v37
	v_subrev_u32_e32 v59, 28, v61
	v_lshlrev_b64 v[58:59], v59, v[58:59]
	v_lshrrev_b32_e32 v60, 3, v34
	v_sub_u32_e32 v59, 29, v61
	v_and_b32_e32 v58, 7, v58
	v_cmp_gt_u32_e32 vcc, 8, v34
	v_cndmask_b32_e32 v34, v60, v59, vcc
	v_cndmask_b32_e32 v57, v57, v58, vcc
	v_lshlrev_b32_e32 v58, 24, v37
	v_bfrev_b32_e32 v59, 60
	v_lshlrev_b32_e32 v57, 20, v57
	v_and_b32_e32 v58, 0x80000000, v58
	v_lshl_add_u32 v34, v34, 23, v59
	v_or3_b32 v34, v58, v34, v57
	v_lshrrev_b32_e32 v57, 16, v34
.LBB845_279:
	s_or_b64 exec, exec, s[10:11]
.LBB845_280:
	s_or_b64 exec, exec, s[8:9]
.LBB845_281:
	s_or_b64 exec, exec, s[2:3]
	v_lshrrev_b16_e32 v34, 8, v37
	v_cmp_ne_u16_e32 vcc, 0, v34
	s_and_saveexec_b64 s[2:3], vcc
	s_cbranch_execz .LBB845_287
; %bb.282:
	s_movk_i32 s8, 0x80
	v_cmp_ne_u16_e32 vcc, s8, v34
	v_mov_b32_e32 v36, 0xffff8000
	s_and_saveexec_b64 s[8:9], vcc
	s_cbranch_execz .LBB845_286
; %bb.283:
	s_movk_i32 s10, 0x7f
	v_and_b32_e32 v58, 0x7f, v34
	v_cmp_ne_u32_e32 vcc, s10, v58
	v_mov_b32_e32 v36, 0x7f80
	s_and_saveexec_b64 s[10:11], vcc
	s_cbranch_execz .LBB845_285
; %bb.284:
	v_and_b32_e32 v36, 7, v34
	v_ffbh_u32_e32 v60, v36
	v_min_u32_e32 v62, 32, v60
	v_subrev_u32_e32 v60, 28, v62
	v_lshlrev_b64 v[60:61], v60, v[34:35]
	v_lshrrev_b32_e32 v59, 3, v58
	v_sub_u32_e32 v34, 29, v62
	v_and_b32_e32 v60, 7, v60
	v_cmp_gt_u32_e32 vcc, 8, v58
	v_cndmask_b32_e32 v34, v59, v34, vcc
	v_cndmask_b32_e32 v36, v36, v60, vcc
	v_lshlrev_b32_e32 v58, 16, v37
	v_bfrev_b32_e32 v59, 60
	v_lshlrev_b32_e32 v36, 20, v36
	v_and_b32_e32 v58, 0x80000000, v58
	v_lshl_add_u32 v34, v34, 23, v59
	v_or3_b32 v34, v58, v34, v36
	v_lshrrev_b32_e32 v36, 16, v34
.LBB845_285:
	s_or_b64 exec, exec, s[10:11]
.LBB845_286:
	s_or_b64 exec, exec, s[8:9]
.LBB845_287:
	s_or_b64 exec, exec, s[2:3]
	s_movk_i32 s2, 0xff
	v_and_b32_sdwa v60, v37, s2 dst_sel:DWORD dst_unused:UNUSED_PAD src0_sel:WORD_1 src1_sel:DWORD
	v_lshrrev_b32_e32 v34, 16, v37
	v_cmp_ne_u16_e32 vcc, 0, v60
	v_mov_b32_e32 v58, 0
	v_mov_b32_e32 v59, 0
	s_and_saveexec_b64 s[2:3], vcc
	s_cbranch_execz .LBB845_293
; %bb.288:
	s_movk_i32 s8, 0x80
	v_cmp_ne_u16_e32 vcc, s8, v60
	v_mov_b32_e32 v59, 0xffff8000
	s_and_saveexec_b64 s[8:9], vcc
	s_cbranch_execz .LBB845_292
; %bb.289:
	v_bfe_u32 v60, v37, 16, 7
	s_movk_i32 s10, 0x7f
	v_cmp_ne_u32_e32 vcc, s10, v60
	v_mov_b32_e32 v59, 0x7f80
	s_and_saveexec_b64 s[10:11], vcc
	s_cbranch_execz .LBB845_291
; %bb.290:
	v_and_b32_e32 v59, 7, v34
	v_ffbh_u32_e32 v62, v59
	v_min_u32_e32 v64, 32, v62
	v_subrev_u32_e32 v62, 28, v64
	v_lshlrev_b64 v[62:63], v62, v[34:35]
	v_lshrrev_b32_e32 v61, 3, v60
	v_sub_u32_e32 v34, 29, v64
	v_and_b32_e32 v62, 7, v62
	v_cmp_gt_u32_e32 vcc, 8, v60
	v_mov_b32_e32 v60, 24
	v_cndmask_b32_e32 v34, v61, v34, vcc
	v_cndmask_b32_e32 v59, v59, v62, vcc
	v_lshlrev_b32_sdwa v60, v60, v37 dst_sel:DWORD dst_unused:UNUSED_PAD src0_sel:DWORD src1_sel:WORD_1
	v_bfrev_b32_e32 v61, 60
	v_lshlrev_b32_e32 v59, 20, v59
	v_and_b32_e32 v60, 0x80000000, v60
	v_lshl_add_u32 v34, v34, 23, v61
	v_or3_b32 v34, v60, v34, v59
	v_lshrrev_b32_e32 v59, 16, v34
.LBB845_291:
	s_or_b64 exec, exec, s[10:11]
.LBB845_292:
	s_or_b64 exec, exec, s[8:9]
.LBB845_293:
	s_or_b64 exec, exec, s[2:3]
	s_mov_b32 s2, 0xffffff
	v_cmp_lt_u32_e32 vcc, s2, v37
	s_and_saveexec_b64 s[2:3], vcc
	s_cbranch_execz .LBB845_299
; %bb.294:
	v_lshrrev_b32_e32 v34, 24, v37
	s_movk_i32 s8, 0x80
	v_cmp_ne_u32_e32 vcc, s8, v34
	v_mov_b32_e32 v58, 0xffff8000
	s_and_saveexec_b64 s[8:9], vcc
	s_cbranch_execz .LBB845_298
; %bb.295:
	v_bfe_u32 v37, v37, 24, 7
	s_movk_i32 s10, 0x7f
	v_cmp_ne_u32_e32 vcc, s10, v37
	v_mov_b32_e32 v58, 0x7f80
	s_and_saveexec_b64 s[10:11], vcc
	s_cbranch_execz .LBB845_297
; %bb.296:
	v_and_b32_e32 v58, 7, v34
	v_ffbh_u32_e32 v60, v58
	v_min_u32_e32 v63, 32, v60
	v_subrev_u32_e32 v60, 28, v63
	v_lshlrev_b64 v[60:61], v60, v[34:35]
	v_lshrrev_b32_e32 v62, 3, v37
	v_sub_u32_e32 v61, 29, v63
	v_and_b32_e32 v60, 7, v60
	v_cmp_gt_u32_e32 vcc, 8, v37
	v_cndmask_b32_e32 v37, v62, v61, vcc
	v_cndmask_b32_e32 v58, v58, v60, vcc
	v_lshlrev_b32_e32 v34, 24, v34
	v_bfrev_b32_e32 v60, 60
	v_lshlrev_b32_e32 v58, 20, v58
	v_and_b32_e32 v34, 0x80000000, v34
	v_lshl_add_u32 v37, v37, 23, v60
	v_or3_b32 v34, v34, v37, v58
	v_lshrrev_b32_e32 v58, 16, v34
.LBB845_297:
	s_or_b64 exec, exec, s[10:11]
.LBB845_298:
	s_or_b64 exec, exec, s[8:9]
.LBB845_299:
	s_or_b64 exec, exec, s[2:3]
	s_mov_b32 s2, 0x5040100
	v_perm_b32 v55, v55, v56, s2
	v_perm_b32 v54, v35, v54, s2
	;; [unrolled: 1-line block ×4, first 2 shown]
	v_mfma_f32_16x16x16bf16_1k v[60:63], v[54:55], v[18:19], v[42:45]
	s_nop 6
	v_mov_b32_e32 v43, 0
	s_waitcnt vmcnt(5)
	v_cmp_ne_u16_sdwa s[8:9], v22, v43 src0_sel:BYTE_0 src1_sel:DWORD
	v_mfma_f32_16x16x16bf16_1k v[34:37], v[34:35], v[20:21], v[60:63]
	v_mov_b32_e32 v44, 0
	s_and_saveexec_b64 s[2:3], s[8:9]
	s_cbranch_execz .LBB845_305
; %bb.300:
	s_movk_i32 s8, 0x80
	v_cmp_ne_u16_sdwa s[10:11], v22, s8 src0_sel:BYTE_0 src1_sel:DWORD
	v_mov_b32_e32 v44, 0xffff8000
	s_and_saveexec_b64 s[8:9], s[10:11]
	s_cbranch_execz .LBB845_304
; %bb.301:
	s_movk_i32 s10, 0x7f
	v_and_b32_e32 v42, 0x7f, v22
	v_cmp_ne_u32_e32 vcc, s10, v42
	v_mov_b32_e32 v44, 0x7f80
	s_and_saveexec_b64 s[10:11], vcc
	s_cbranch_execz .LBB845_303
; %bb.302:
	v_and_b32_e32 v54, 7, v22
	v_ffbh_u32_e32 v44, v54
	v_min_u32_e32 v56, 32, v44
	v_subrev_u32_e32 v44, 28, v56
	v_lshlrev_b64 v[44:45], v44, v[22:23]
	v_lshrrev_b32_e32 v55, 3, v42
	v_sub_u32_e32 v45, 29, v56
	v_and_b32_e32 v44, 7, v44
	v_cmp_gt_u32_e32 vcc, 8, v42
	v_cndmask_b32_e32 v42, v55, v45, vcc
	v_cndmask_b32_e32 v44, v54, v44, vcc
	v_lshlrev_b32_e32 v45, 24, v22
	v_bfrev_b32_e32 v54, 60
	v_lshlrev_b32_e32 v44, 20, v44
	v_and_b32_e32 v45, 0x80000000, v45
	v_lshl_add_u32 v42, v42, 23, v54
	v_or3_b32 v42, v45, v42, v44
	v_lshrrev_b32_e32 v44, 16, v42
.LBB845_303:
	s_or_b64 exec, exec, s[10:11]
.LBB845_304:
	s_or_b64 exec, exec, s[8:9]
.LBB845_305:
	s_or_b64 exec, exec, s[2:3]
	v_lshrrev_b16_e32 v42, 8, v22
	v_cmp_ne_u16_e32 vcc, 0, v42
	s_and_saveexec_b64 s[2:3], vcc
	s_cbranch_execz .LBB845_311
; %bb.306:
	s_movk_i32 s8, 0x80
	v_cmp_ne_u16_e32 vcc, s8, v42
	v_mov_b32_e32 v43, 0xffff8000
	s_and_saveexec_b64 s[8:9], vcc
	s_cbranch_execz .LBB845_310
; %bb.307:
	s_movk_i32 s10, 0x7f
	v_and_b32_e32 v45, 0x7f, v42
	v_cmp_ne_u32_e32 vcc, s10, v45
	v_mov_b32_e32 v43, 0x7f80
	s_and_saveexec_b64 s[10:11], vcc
	s_cbranch_execz .LBB845_309
; %bb.308:
	v_and_b32_e32 v54, 7, v42
	v_ffbh_u32_e32 v43, v54
	v_min_u32_e32 v56, 32, v43
	v_subrev_u32_e32 v43, 28, v56
	v_lshlrev_b64 v[42:43], v43, v[42:43]
	v_lshrrev_b32_e32 v55, 3, v45
	v_sub_u32_e32 v43, 29, v56
	v_and_b32_e32 v42, 7, v42
	v_cmp_gt_u32_e32 vcc, 8, v45
	v_cndmask_b32_e32 v43, v55, v43, vcc
	v_cndmask_b32_e32 v42, v54, v42, vcc
	v_lshlrev_b32_e32 v45, 16, v22
	v_bfrev_b32_e32 v54, 60
	v_lshlrev_b32_e32 v42, 20, v42
	v_and_b32_e32 v45, 0x80000000, v45
	v_lshl_add_u32 v43, v43, 23, v54
	v_or3_b32 v42, v45, v43, v42
	v_lshrrev_b32_e32 v43, 16, v42
.LBB845_309:
	s_or_b64 exec, exec, s[10:11]
.LBB845_310:
	s_or_b64 exec, exec, s[8:9]
.LBB845_311:
	s_or_b64 exec, exec, s[2:3]
	s_movk_i32 s2, 0xff
	v_and_b32_sdwa v55, v22, s2 dst_sel:DWORD dst_unused:UNUSED_PAD src0_sel:WORD_1 src1_sel:DWORD
	v_lshrrev_b32_e32 v42, 16, v22
	v_cmp_ne_u16_e32 vcc, 0, v55
	v_mov_b32_e32 v45, 0
	v_mov_b32_e32 v54, 0
	s_and_saveexec_b64 s[2:3], vcc
	s_cbranch_execz .LBB845_317
; %bb.312:
	s_movk_i32 s8, 0x80
	v_cmp_ne_u16_e32 vcc, s8, v55
	v_mov_b32_e32 v54, 0xffff8000
	s_and_saveexec_b64 s[8:9], vcc
	s_cbranch_execz .LBB845_316
; %bb.313:
	v_bfe_u32 v55, v22, 16, 7
	s_movk_i32 s10, 0x7f
	v_cmp_ne_u32_e32 vcc, s10, v55
	v_mov_b32_e32 v54, 0x7f80
	s_and_saveexec_b64 s[10:11], vcc
	s_cbranch_execz .LBB845_315
; %bb.314:
	v_and_b32_e32 v54, 7, v42
	v_ffbh_u32_e32 v56, v54
	v_min_u32_e32 v59, 32, v56
	v_subrev_u32_e32 v56, 28, v59
	v_lshlrev_b64 v[56:57], v56, v[42:43]
	v_lshrrev_b32_e32 v58, 3, v55
	v_sub_u32_e32 v42, 29, v59
	v_and_b32_e32 v56, 7, v56
	v_cmp_gt_u32_e32 vcc, 8, v55
	v_mov_b32_e32 v55, 24
	v_cndmask_b32_e32 v42, v58, v42, vcc
	v_cndmask_b32_e32 v54, v54, v56, vcc
	v_lshlrev_b32_sdwa v55, v55, v22 dst_sel:DWORD dst_unused:UNUSED_PAD src0_sel:DWORD src1_sel:WORD_1
	v_bfrev_b32_e32 v56, 60
	v_lshlrev_b32_e32 v54, 20, v54
	v_and_b32_e32 v55, 0x80000000, v55
	v_lshl_add_u32 v42, v42, 23, v56
	v_or3_b32 v42, v55, v42, v54
	v_lshrrev_b32_e32 v54, 16, v42
.LBB845_315:
	s_or_b64 exec, exec, s[10:11]
.LBB845_316:
	s_or_b64 exec, exec, s[8:9]
.LBB845_317:
	s_or_b64 exec, exec, s[2:3]
	s_mov_b32 s2, 0xffffff
	v_cmp_lt_u32_e32 vcc, s2, v22
	s_and_saveexec_b64 s[2:3], vcc
	s_cbranch_execz .LBB845_323
; %bb.318:
	v_lshrrev_b32_e32 v42, 24, v22
	s_movk_i32 s8, 0x80
	v_cmp_ne_u32_e32 vcc, s8, v42
	v_mov_b32_e32 v45, 0xffff8000
	s_and_saveexec_b64 s[8:9], vcc
	s_cbranch_execz .LBB845_322
; %bb.319:
	v_bfe_u32 v22, v22, 24, 7
	s_movk_i32 s10, 0x7f
	v_cmp_ne_u32_e32 vcc, s10, v22
	v_mov_b32_e32 v45, 0x7f80
	s_and_saveexec_b64 s[10:11], vcc
	s_cbranch_execz .LBB845_321
; %bb.320:
	v_and_b32_e32 v45, 7, v42
	v_ffbh_u32_e32 v56, v45
	v_min_u32_e32 v58, 32, v56
	v_subrev_u32_e32 v56, 28, v58
	v_lshlrev_b64 v[56:57], v56, v[42:43]
	v_lshrrev_b32_e32 v55, 3, v22
	v_sub_u32_e32 v57, 29, v58
	v_and_b32_e32 v56, 7, v56
	v_cmp_gt_u32_e32 vcc, 8, v22
	v_cndmask_b32_e32 v22, v55, v57, vcc
	v_cndmask_b32_e32 v45, v45, v56, vcc
	v_lshlrev_b32_e32 v42, 24, v42
	v_bfrev_b32_e32 v55, 60
	v_lshlrev_b32_e32 v45, 20, v45
	v_and_b32_e32 v42, 0x80000000, v42
	v_lshl_add_u32 v22, v22, 23, v55
	v_or3_b32 v22, v42, v22, v45
	v_lshrrev_b32_e32 v45, 16, v22
.LBB845_321:
	s_or_b64 exec, exec, s[10:11]
.LBB845_322:
	s_or_b64 exec, exec, s[8:9]
.LBB845_323:
	s_or_b64 exec, exec, s[2:3]
	v_mov_b32_e32 v42, 0
	v_cmp_ne_u16_sdwa s[8:9], v23, v42 src0_sel:BYTE_0 src1_sel:DWORD
	v_mov_b32_e32 v55, 0
	s_and_saveexec_b64 s[2:3], s[8:9]
	s_cbranch_execz .LBB845_329
; %bb.324:
	s_movk_i32 s8, 0x80
	v_cmp_ne_u16_sdwa s[10:11], v23, s8 src0_sel:BYTE_0 src1_sel:DWORD
	v_mov_b32_e32 v55, 0xffff8000
	s_and_saveexec_b64 s[8:9], s[10:11]
	s_cbranch_execz .LBB845_328
; %bb.325:
	s_movk_i32 s10, 0x7f
	v_and_b32_e32 v22, 0x7f, v23
	v_cmp_ne_u32_e32 vcc, s10, v22
	v_mov_b32_e32 v55, 0x7f80
	s_and_saveexec_b64 s[10:11], vcc
	s_cbranch_execz .LBB845_327
; %bb.326:
	v_and_b32_e32 v55, 7, v23
	v_ffbh_u32_e32 v57, v55
	v_min_u32_e32 v59, 32, v57
	v_mov_b32_e32 v56, v23
	v_subrev_u32_e32 v57, 28, v59
	v_lshlrev_b64 v[56:57], v57, v[56:57]
	v_lshrrev_b32_e32 v58, 3, v22
	v_sub_u32_e32 v57, 29, v59
	v_and_b32_e32 v56, 7, v56
	v_cmp_gt_u32_e32 vcc, 8, v22
	v_cndmask_b32_e32 v22, v58, v57, vcc
	v_cndmask_b32_e32 v55, v55, v56, vcc
	v_lshlrev_b32_e32 v56, 24, v23
	v_bfrev_b32_e32 v57, 60
	v_lshlrev_b32_e32 v55, 20, v55
	v_and_b32_e32 v56, 0x80000000, v56
	v_lshl_add_u32 v22, v22, 23, v57
	v_or3_b32 v22, v56, v22, v55
	v_lshrrev_b32_e32 v55, 16, v22
.LBB845_327:
	s_or_b64 exec, exec, s[10:11]
.LBB845_328:
	s_or_b64 exec, exec, s[8:9]
.LBB845_329:
	s_or_b64 exec, exec, s[2:3]
	v_lshrrev_b16_e32 v22, 8, v23
	v_cmp_ne_u16_e32 vcc, 0, v22
	s_and_saveexec_b64 s[2:3], vcc
	s_cbranch_execz .LBB845_335
; %bb.330:
	s_movk_i32 s8, 0x80
	v_cmp_ne_u16_e32 vcc, s8, v22
	v_mov_b32_e32 v42, 0xffff8000
	s_and_saveexec_b64 s[8:9], vcc
	s_cbranch_execz .LBB845_334
; %bb.331:
	s_movk_i32 s10, 0x7f
	v_and_b32_e32 v56, 0x7f, v22
	v_cmp_ne_u32_e32 vcc, s10, v56
	v_mov_b32_e32 v42, 0x7f80
	s_and_saveexec_b64 s[10:11], vcc
	s_cbranch_execz .LBB845_333
; %bb.332:
	v_and_b32_e32 v42, 7, v22
	v_ffbh_u32_e32 v58, v42
	v_min_u32_e32 v60, 32, v58
	v_subrev_u32_e32 v58, 28, v60
	v_lshlrev_b64 v[58:59], v58, v[22:23]
	v_lshrrev_b32_e32 v57, 3, v56
	v_sub_u32_e32 v22, 29, v60
	v_and_b32_e32 v58, 7, v58
	v_cmp_gt_u32_e32 vcc, 8, v56
	v_cndmask_b32_e32 v22, v57, v22, vcc
	v_cndmask_b32_e32 v42, v42, v58, vcc
	v_lshlrev_b32_e32 v56, 16, v23
	v_bfrev_b32_e32 v57, 60
	v_lshlrev_b32_e32 v42, 20, v42
	v_and_b32_e32 v56, 0x80000000, v56
	v_lshl_add_u32 v22, v22, 23, v57
	v_or3_b32 v22, v56, v22, v42
	v_lshrrev_b32_e32 v42, 16, v22
.LBB845_333:
	s_or_b64 exec, exec, s[10:11]
.LBB845_334:
	s_or_b64 exec, exec, s[8:9]
.LBB845_335:
	s_or_b64 exec, exec, s[2:3]
	s_movk_i32 s2, 0xff
	v_and_b32_sdwa v58, v23, s2 dst_sel:DWORD dst_unused:UNUSED_PAD src0_sel:WORD_1 src1_sel:DWORD
	v_lshrrev_b32_e32 v22, 16, v23
	v_cmp_ne_u16_e32 vcc, 0, v58
	v_mov_b32_e32 v56, 0
	v_mov_b32_e32 v57, 0
	s_and_saveexec_b64 s[2:3], vcc
	s_cbranch_execz .LBB845_341
; %bb.336:
	s_movk_i32 s8, 0x80
	v_cmp_ne_u16_e32 vcc, s8, v58
	v_mov_b32_e32 v57, 0xffff8000
	s_and_saveexec_b64 s[8:9], vcc
	s_cbranch_execz .LBB845_340
; %bb.337:
	v_bfe_u32 v58, v23, 16, 7
	s_movk_i32 s10, 0x7f
	v_cmp_ne_u32_e32 vcc, s10, v58
	v_mov_b32_e32 v57, 0x7f80
	s_and_saveexec_b64 s[10:11], vcc
	s_cbranch_execz .LBB845_339
; %bb.338:
	v_and_b32_e32 v57, 7, v22
	v_ffbh_u32_e32 v60, v57
	v_min_u32_e32 v62, 32, v60
	v_subrev_u32_e32 v60, 28, v62
	v_lshlrev_b64 v[60:61], v60, v[22:23]
	v_lshrrev_b32_e32 v59, 3, v58
	v_sub_u32_e32 v22, 29, v62
	v_and_b32_e32 v60, 7, v60
	v_cmp_gt_u32_e32 vcc, 8, v58
	v_mov_b32_e32 v58, 24
	v_cndmask_b32_e32 v22, v59, v22, vcc
	v_cndmask_b32_e32 v57, v57, v60, vcc
	v_lshlrev_b32_sdwa v58, v58, v23 dst_sel:DWORD dst_unused:UNUSED_PAD src0_sel:DWORD src1_sel:WORD_1
	v_bfrev_b32_e32 v59, 60
	v_lshlrev_b32_e32 v57, 20, v57
	v_and_b32_e32 v58, 0x80000000, v58
	v_lshl_add_u32 v22, v22, 23, v59
	v_or3_b32 v22, v58, v22, v57
	v_lshrrev_b32_e32 v57, 16, v22
.LBB845_339:
	s_or_b64 exec, exec, s[10:11]
.LBB845_340:
	s_or_b64 exec, exec, s[8:9]
.LBB845_341:
	s_or_b64 exec, exec, s[2:3]
	s_mov_b32 s2, 0xffffff
	v_cmp_lt_u32_e32 vcc, s2, v23
	s_and_saveexec_b64 s[2:3], vcc
	s_cbranch_execz .LBB845_347
; %bb.342:
	v_lshrrev_b32_e32 v22, 24, v23
	s_movk_i32 s8, 0x80
	v_cmp_ne_u32_e32 vcc, s8, v22
	v_mov_b32_e32 v56, 0xffff8000
	s_and_saveexec_b64 s[8:9], vcc
	s_cbranch_execz .LBB845_346
; %bb.343:
	v_bfe_u32 v23, v23, 24, 7
	s_movk_i32 s10, 0x7f
	v_cmp_ne_u32_e32 vcc, s10, v23
	v_mov_b32_e32 v56, 0x7f80
	s_and_saveexec_b64 s[10:11], vcc
	s_cbranch_execz .LBB845_345
; %bb.344:
	v_and_b32_e32 v56, 7, v22
	v_ffbh_u32_e32 v58, v56
	v_min_u32_e32 v61, 32, v58
	v_subrev_u32_e32 v58, 28, v61
	v_lshlrev_b64 v[58:59], v58, v[22:23]
	v_lshrrev_b32_e32 v60, 3, v23
	v_sub_u32_e32 v59, 29, v61
	v_and_b32_e32 v58, 7, v58
	v_cmp_gt_u32_e32 vcc, 8, v23
	v_cndmask_b32_e32 v23, v60, v59, vcc
	v_cndmask_b32_e32 v56, v56, v58, vcc
	v_lshlrev_b32_e32 v22, 24, v22
	v_bfrev_b32_e32 v58, 60
	v_lshlrev_b32_e32 v56, 20, v56
	v_and_b32_e32 v22, 0x80000000, v22
	v_lshl_add_u32 v23, v23, 23, v58
	v_or3_b32 v22, v22, v23, v56
	v_lshrrev_b32_e32 v56, 16, v22
.LBB845_345:
	s_or_b64 exec, exec, s[10:11]
.LBB845_346:
	s_or_b64 exec, exec, s[8:9]
.LBB845_347:
	s_or_b64 exec, exec, s[2:3]
	s_mov_b32 s2, 0x5040100
	v_perm_b32 v23, v45, v54, s2
	v_perm_b32 v22, v43, v44, s2
	s_nop 1
	v_mfma_f32_16x16x16bf16_1k v[58:61], v[22:23], v[26:27], 0
	v_perm_b32 v27, v56, v57, s2
	v_perm_b32 v26, v42, v55, s2
	v_mov_b32_e32 v23, 0
	v_cmp_ne_u16_sdwa s[8:9], v24, v23 src0_sel:BYTE_0 src1_sel:DWORD
	v_mov_b32_e32 v42, 0
	v_mfma_f32_16x16x16bf16_1k v[26:29], v[26:27], v[28:29], v[58:61]
	s_and_saveexec_b64 s[2:3], s[8:9]
	s_cbranch_execz .LBB845_353
; %bb.348:
	s_movk_i32 s8, 0x80
	v_cmp_ne_u16_sdwa s[10:11], v24, s8 src0_sel:BYTE_0 src1_sel:DWORD
	v_mov_b32_e32 v42, 0xffff8000
	s_and_saveexec_b64 s[8:9], s[10:11]
	s_cbranch_execz .LBB845_352
; %bb.349:
	s_movk_i32 s10, 0x7f
	v_and_b32_e32 v22, 0x7f, v24
	v_cmp_ne_u32_e32 vcc, s10, v22
	v_mov_b32_e32 v42, 0x7f80
	s_and_saveexec_b64 s[10:11], vcc
	s_cbranch_execz .LBB845_351
; %bb.350:
	v_and_b32_e32 v44, 7, v24
	v_ffbh_u32_e32 v42, v44
	v_min_u32_e32 v54, 32, v42
	v_subrev_u32_e32 v42, 28, v54
	v_lshlrev_b64 v[42:43], v42, v[24:25]
	v_lshrrev_b32_e32 v45, 3, v22
	v_sub_u32_e32 v43, 29, v54
	v_and_b32_e32 v42, 7, v42
	v_cmp_gt_u32_e32 vcc, 8, v22
	v_cndmask_b32_e32 v22, v45, v43, vcc
	v_cndmask_b32_e32 v42, v44, v42, vcc
	v_lshlrev_b32_e32 v43, 24, v24
	v_bfrev_b32_e32 v44, 60
	v_lshlrev_b32_e32 v42, 20, v42
	v_and_b32_e32 v43, 0x80000000, v43
	v_lshl_add_u32 v22, v22, 23, v44
	v_or3_b32 v22, v43, v22, v42
	v_lshrrev_b32_e32 v42, 16, v22
.LBB845_351:
	s_or_b64 exec, exec, s[10:11]
.LBB845_352:
	s_or_b64 exec, exec, s[8:9]
.LBB845_353:
	s_or_b64 exec, exec, s[2:3]
	v_lshrrev_b16_e32 v22, 8, v24
	v_cmp_ne_u16_e32 vcc, 0, v22
	s_and_saveexec_b64 s[2:3], vcc
	s_cbranch_execz .LBB845_359
; %bb.354:
	s_movk_i32 s8, 0x80
	v_cmp_ne_u16_e32 vcc, s8, v22
	v_mov_b32_e32 v23, 0xffff8000
	s_and_saveexec_b64 s[8:9], vcc
	s_cbranch_execz .LBB845_358
; %bb.355:
	s_movk_i32 s10, 0x7f
	v_and_b32_e32 v43, 0x7f, v22
	v_cmp_ne_u32_e32 vcc, s10, v43
	v_mov_b32_e32 v23, 0x7f80
	s_and_saveexec_b64 s[10:11], vcc
	s_cbranch_execz .LBB845_357
; %bb.356:
	v_and_b32_e32 v44, 7, v22
	v_ffbh_u32_e32 v23, v44
	v_min_u32_e32 v54, 32, v23
	v_subrev_u32_e32 v23, 28, v54
	v_lshlrev_b64 v[22:23], v23, v[22:23]
	v_lshrrev_b32_e32 v45, 3, v43
	v_sub_u32_e32 v23, 29, v54
	v_and_b32_e32 v22, 7, v22
	v_cmp_gt_u32_e32 vcc, 8, v43
	v_cndmask_b32_e32 v23, v45, v23, vcc
	v_cndmask_b32_e32 v22, v44, v22, vcc
	v_lshlrev_b32_e32 v43, 16, v24
	v_bfrev_b32_e32 v44, 60
	v_lshlrev_b32_e32 v22, 20, v22
	v_and_b32_e32 v43, 0x80000000, v43
	v_lshl_add_u32 v23, v23, 23, v44
	v_or3_b32 v22, v43, v23, v22
	v_lshrrev_b32_e32 v23, 16, v22
.LBB845_357:
	s_or_b64 exec, exec, s[10:11]
.LBB845_358:
	s_or_b64 exec, exec, s[8:9]
.LBB845_359:
	s_or_b64 exec, exec, s[2:3]
	s_movk_i32 s2, 0xff
	v_and_b32_sdwa v45, v24, s2 dst_sel:DWORD dst_unused:UNUSED_PAD src0_sel:WORD_1 src1_sel:DWORD
	v_lshrrev_b32_e32 v22, 16, v24
	v_cmp_ne_u16_e32 vcc, 0, v45
	v_mov_b32_e32 v43, 0
	v_mov_b32_e32 v44, 0
	s_and_saveexec_b64 s[2:3], vcc
	s_cbranch_execz .LBB845_365
; %bb.360:
	s_movk_i32 s8, 0x80
	v_cmp_ne_u16_e32 vcc, s8, v45
	v_mov_b32_e32 v44, 0xffff8000
	s_and_saveexec_b64 s[8:9], vcc
	s_cbranch_execz .LBB845_364
; %bb.361:
	v_bfe_u32 v45, v24, 16, 7
	s_movk_i32 s10, 0x7f
	v_cmp_ne_u32_e32 vcc, s10, v45
	v_mov_b32_e32 v44, 0x7f80
	s_and_saveexec_b64 s[10:11], vcc
	s_cbranch_execz .LBB845_363
; %bb.362:
	v_and_b32_e32 v44, 7, v22
	v_ffbh_u32_e32 v54, v44
	v_min_u32_e32 v57, 32, v54
	v_subrev_u32_e32 v54, 28, v57
	v_lshlrev_b64 v[54:55], v54, v[22:23]
	v_lshrrev_b32_e32 v56, 3, v45
	v_sub_u32_e32 v22, 29, v57
	v_and_b32_e32 v54, 7, v54
	v_cmp_gt_u32_e32 vcc, 8, v45
	v_mov_b32_e32 v45, 24
	v_cndmask_b32_e32 v22, v56, v22, vcc
	v_cndmask_b32_e32 v44, v44, v54, vcc
	v_lshlrev_b32_sdwa v45, v45, v24 dst_sel:DWORD dst_unused:UNUSED_PAD src0_sel:DWORD src1_sel:WORD_1
	v_bfrev_b32_e32 v54, 60
	v_lshlrev_b32_e32 v44, 20, v44
	v_and_b32_e32 v45, 0x80000000, v45
	v_lshl_add_u32 v22, v22, 23, v54
	v_or3_b32 v22, v45, v22, v44
	v_lshrrev_b32_e32 v44, 16, v22
.LBB845_363:
	s_or_b64 exec, exec, s[10:11]
.LBB845_364:
	s_or_b64 exec, exec, s[8:9]
.LBB845_365:
	s_or_b64 exec, exec, s[2:3]
	s_mov_b32 s2, 0xffffff
	v_cmp_lt_u32_e32 vcc, s2, v24
	s_and_saveexec_b64 s[2:3], vcc
	s_cbranch_execz .LBB845_371
; %bb.366:
	v_lshrrev_b32_e32 v22, 24, v24
	s_movk_i32 s8, 0x80
	v_cmp_ne_u32_e32 vcc, s8, v22
	v_mov_b32_e32 v43, 0xffff8000
	s_and_saveexec_b64 s[8:9], vcc
	s_cbranch_execz .LBB845_370
; %bb.367:
	v_bfe_u32 v24, v24, 24, 7
	s_movk_i32 s10, 0x7f
	v_cmp_ne_u32_e32 vcc, s10, v24
	v_mov_b32_e32 v43, 0x7f80
	s_and_saveexec_b64 s[10:11], vcc
	s_cbranch_execz .LBB845_369
; %bb.368:
	v_and_b32_e32 v43, 7, v22
	v_ffbh_u32_e32 v54, v43
	v_min_u32_e32 v56, 32, v54
	v_subrev_u32_e32 v54, 28, v56
	v_lshlrev_b64 v[54:55], v54, v[22:23]
	v_lshrrev_b32_e32 v45, 3, v24
	v_sub_u32_e32 v55, 29, v56
	v_and_b32_e32 v54, 7, v54
	v_cmp_gt_u32_e32 vcc, 8, v24
	v_cndmask_b32_e32 v24, v45, v55, vcc
	v_cndmask_b32_e32 v43, v43, v54, vcc
	v_lshlrev_b32_e32 v22, 24, v22
	v_bfrev_b32_e32 v45, 60
	v_lshlrev_b32_e32 v43, 20, v43
	v_and_b32_e32 v22, 0x80000000, v22
	v_lshl_add_u32 v24, v24, 23, v45
	v_or3_b32 v22, v22, v24, v43
	v_lshrrev_b32_e32 v43, 16, v22
.LBB845_369:
	s_or_b64 exec, exec, s[10:11]
.LBB845_370:
	s_or_b64 exec, exec, s[8:9]
.LBB845_371:
	s_or_b64 exec, exec, s[2:3]
	v_mov_b32_e32 v54, 0
	v_cmp_ne_u16_sdwa s[8:9], v25, v54 src0_sel:BYTE_0 src1_sel:DWORD
	v_mov_b32_e32 v55, 0
	s_and_saveexec_b64 s[2:3], s[8:9]
	s_cbranch_execz .LBB845_377
; %bb.372:
	s_movk_i32 s8, 0x80
	v_cmp_ne_u16_sdwa s[10:11], v25, s8 src0_sel:BYTE_0 src1_sel:DWORD
	v_mov_b32_e32 v55, 0xffff8000
	s_and_saveexec_b64 s[8:9], s[10:11]
	s_cbranch_execz .LBB845_376
; %bb.373:
	s_movk_i32 s10, 0x7f
	v_and_b32_e32 v22, 0x7f, v25
	v_cmp_ne_u32_e32 vcc, s10, v22
	v_mov_b32_e32 v55, 0x7f80
	s_and_saveexec_b64 s[10:11], vcc
	s_cbranch_execz .LBB845_375
; %bb.374:
	v_and_b32_e32 v45, 7, v25
	v_ffbh_u32_e32 v56, v45
	v_min_u32_e32 v58, 32, v56
	v_mov_b32_e32 v24, v25
	v_subrev_u32_e32 v56, 28, v58
	v_lshlrev_b64 v[56:57], v56, v[24:25]
	v_lshrrev_b32_e32 v55, 3, v22
	v_sub_u32_e32 v24, 29, v58
	v_and_b32_e32 v56, 7, v56
	v_cmp_gt_u32_e32 vcc, 8, v22
	v_cndmask_b32_e32 v22, v55, v24, vcc
	v_cndmask_b32_e32 v24, v45, v56, vcc
	v_lshlrev_b32_e32 v45, 24, v25
	v_bfrev_b32_e32 v55, 60
	v_lshlrev_b32_e32 v24, 20, v24
	v_and_b32_e32 v45, 0x80000000, v45
	v_lshl_add_u32 v22, v22, 23, v55
	v_or3_b32 v22, v45, v22, v24
	v_lshrrev_b32_e32 v55, 16, v22
.LBB845_375:
	s_or_b64 exec, exec, s[10:11]
.LBB845_376:
	s_or_b64 exec, exec, s[8:9]
.LBB845_377:
	s_or_b64 exec, exec, s[2:3]
	v_lshrrev_b16_e32 v22, 8, v25
	v_cmp_ne_u16_e32 vcc, 0, v22
	s_and_saveexec_b64 s[2:3], vcc
	s_cbranch_execz .LBB845_383
; %bb.378:
	s_movk_i32 s8, 0x80
	v_cmp_ne_u16_e32 vcc, s8, v22
	v_mov_b32_e32 v54, 0xffff8000
	s_and_saveexec_b64 s[8:9], vcc
	s_cbranch_execz .LBB845_382
; %bb.379:
	s_movk_i32 s10, 0x7f
	v_and_b32_e32 v24, 0x7f, v22
	v_cmp_ne_u32_e32 vcc, s10, v24
	v_mov_b32_e32 v54, 0x7f80
	s_and_saveexec_b64 s[10:11], vcc
	s_cbranch_execz .LBB845_381
; %bb.380:
	v_and_b32_e32 v45, 7, v22
	v_ffbh_u32_e32 v56, v45
	v_min_u32_e32 v58, 32, v56
	v_subrev_u32_e32 v56, 28, v58
	v_lshlrev_b64 v[56:57], v56, v[22:23]
	v_lshrrev_b32_e32 v54, 3, v24
	v_sub_u32_e32 v22, 29, v58
	v_and_b32_e32 v56, 7, v56
	v_cmp_gt_u32_e32 vcc, 8, v24
	v_cndmask_b32_e32 v22, v54, v22, vcc
	v_cndmask_b32_e32 v24, v45, v56, vcc
	v_lshlrev_b32_e32 v45, 16, v25
	v_bfrev_b32_e32 v54, 60
	v_lshlrev_b32_e32 v24, 20, v24
	v_and_b32_e32 v45, 0x80000000, v45
	v_lshl_add_u32 v22, v22, 23, v54
	v_or3_b32 v22, v45, v22, v24
	v_lshrrev_b32_e32 v54, 16, v22
.LBB845_381:
	s_or_b64 exec, exec, s[10:11]
.LBB845_382:
	s_or_b64 exec, exec, s[8:9]
.LBB845_383:
	s_or_b64 exec, exec, s[2:3]
	s_movk_i32 s2, 0xff
	v_and_b32_sdwa v24, v25, s2 dst_sel:DWORD dst_unused:UNUSED_PAD src0_sel:WORD_1 src1_sel:DWORD
	v_lshrrev_b32_e32 v22, 16, v25
	v_cmp_ne_u16_e32 vcc, 0, v24
	v_mov_b32_e32 v56, 0
	v_mov_b32_e32 v57, 0
	s_and_saveexec_b64 s[2:3], vcc
	s_cbranch_execz .LBB845_389
; %bb.384:
	s_movk_i32 s8, 0x80
	v_cmp_ne_u16_e32 vcc, s8, v24
	v_mov_b32_e32 v57, 0xffff8000
	s_and_saveexec_b64 s[8:9], vcc
	s_cbranch_execz .LBB845_388
; %bb.385:
	v_bfe_u32 v24, v25, 16, 7
	s_movk_i32 s10, 0x7f
	v_cmp_ne_u32_e32 vcc, s10, v24
	v_mov_b32_e32 v57, 0x7f80
	s_and_saveexec_b64 s[10:11], vcc
	s_cbranch_execz .LBB845_387
; %bb.386:
	v_and_b32_e32 v45, 7, v22
	v_ffbh_u32_e32 v58, v45
	v_min_u32_e32 v60, 32, v58
	v_subrev_u32_e32 v58, 28, v60
	v_lshlrev_b64 v[58:59], v58, v[22:23]
	v_and_b32_e32 v58, 7, v58
	v_cmp_gt_u32_e32 vcc, 8, v24
	v_lshrrev_b32_e32 v57, 3, v24
	v_sub_u32_e32 v22, 29, v60
	v_cndmask_b32_e32 v24, v45, v58, vcc
	v_mov_b32_e32 v45, 24
	v_cndmask_b32_e32 v22, v57, v22, vcc
	v_lshlrev_b32_sdwa v45, v45, v25 dst_sel:DWORD dst_unused:UNUSED_PAD src0_sel:DWORD src1_sel:WORD_1
	v_bfrev_b32_e32 v57, 60
	v_lshlrev_b32_e32 v24, 20, v24
	v_and_b32_e32 v45, 0x80000000, v45
	v_lshl_add_u32 v22, v22, 23, v57
	v_or3_b32 v22, v45, v22, v24
	v_lshrrev_b32_e32 v57, 16, v22
.LBB845_387:
	s_or_b64 exec, exec, s[10:11]
.LBB845_388:
	s_or_b64 exec, exec, s[8:9]
.LBB845_389:
	s_or_b64 exec, exec, s[2:3]
	s_mov_b32 s2, 0xffffff
	v_and_b32_e32 v45, 63, v0
	v_cmp_lt_u32_e32 vcc, s2, v25
	s_and_saveexec_b64 s[2:3], vcc
	s_cbranch_execz .LBB845_395
; %bb.390:
	v_lshrrev_b32_e32 v22, 24, v25
	s_movk_i32 s8, 0x80
	v_cmp_ne_u32_e32 vcc, s8, v22
	v_mov_b32_e32 v56, 0xffff8000
	s_and_saveexec_b64 s[8:9], vcc
	s_cbranch_execz .LBB845_394
; %bb.391:
	v_bfe_u32 v24, v25, 24, 7
	s_movk_i32 s10, 0x7f
	v_cmp_ne_u32_e32 vcc, s10, v24
	v_mov_b32_e32 v56, 0x7f80
	s_and_saveexec_b64 s[10:11], vcc
	s_cbranch_execz .LBB845_393
; %bb.392:
	v_and_b32_e32 v25, 7, v22
	v_ffbh_u32_e32 v58, v25
	v_min_u32_e32 v60, 32, v58
	v_subrev_u32_e32 v58, 28, v60
	v_lshlrev_b64 v[58:59], v58, v[22:23]
	v_lshrrev_b32_e32 v56, 3, v24
	v_sub_u32_e32 v59, 29, v60
	v_and_b32_e32 v58, 7, v58
	v_cmp_gt_u32_e32 vcc, 8, v24
	v_cndmask_b32_e32 v24, v56, v59, vcc
	v_cndmask_b32_e32 v25, v25, v58, vcc
	v_lshlrev_b32_e32 v22, 24, v22
	v_bfrev_b32_e32 v56, 60
	v_lshlrev_b32_e32 v25, 20, v25
	v_and_b32_e32 v22, 0x80000000, v22
	v_lshl_add_u32 v24, v24, 23, v56
	v_or3_b32 v22, v22, v24, v25
	v_lshrrev_b32_e32 v56, 16, v22
.LBB845_393:
	s_or_b64 exec, exec, s[10:11]
.LBB845_394:
	s_or_b64 exec, exec, s[8:9]
.LBB845_395:
	s_or_b64 exec, exec, s[2:3]
	s_mov_b32 s3, 0x5040100
	v_perm_b32 v43, v43, v44, s3
	v_perm_b32 v42, v23, v42, s3
	s_load_dword s2, s[4:5], 0x1c
	s_mov_b32 s46, 0xff7fffff
	s_waitcnt lgkmcnt(0)
	v_mfma_f32_16x16x16bf16_1k v[26:29], v[42:43], v[18:19], v[26:29]
	v_perm_b32 v19, v56, v57, s3
	v_perm_b32 v18, v54, v55, s3
	v_mov_b32_e32 v22, s2
	v_mul_f32_e32 v44, s12, v22
	v_pk_mul_f32 v[22:23], v[44:45], v[36:37] op_sel_hi:[0,1]
	v_pk_mul_f32 v[36:37], v[44:45], v[38:39] op_sel_hi:[0,1]
	v_and_b32_e32 v38, 0xc0, v0
	v_mfma_f32_16x16x16bf16_1k v[26:29], v[18:19], v[20:21], v[26:29]
	v_add_u32_e32 v38, s20, v38
	v_lshl_or_b32 v38, v1, 2, v38
	v_or_b32_e32 v39, 1, v38
	v_pk_mul_f32 v[24:25], v[44:45], v[34:35] op_sel_hi:[0,1]
	v_pk_mul_f32 v[34:35], v[44:45], v[40:41] op_sel_hi:[0,1]
	v_subrev_u32_e32 v40, s33, v39
	v_pk_mul_f32 v[30:31], v[44:45], v[30:31] op_sel_hi:[0,1]
	s_nop 3
	v_pk_mul_f32 v[20:21], v[44:45], v[26:27] op_sel_hi:[0,1]
	v_add_u32_e32 v27, 1, v40
	v_pk_mul_f32 v[18:19], v[44:45], v[28:29] op_sel_hi:[0,1]
	v_cvt_f32_i32_e32 v27, v27
	v_add_u32_e32 v29, 3, v40
	v_cvt_f32_i32_e32 v26, v40
	v_add_u32_e32 v28, 2, v40
	v_cvt_f32_i32_e32 v29, v29
	v_cvt_f32_i32_e32 v28, v28
	v_pk_mul_f32 v[32:33], v[44:45], v[32:33] op_sel_hi:[0,1]
	s_waitcnt vmcnt(4)
	v_fmac_f32_e32 v31, v53, v27
	v_add_u32_e32 v27, 16, v40
	v_fma_f32 v26, v53, v26, v30
	v_fmac_f32_e32 v33, v53, v29
	v_cvt_f32_i32_e32 v27, v27
	v_add_u32_e32 v29, 17, v40
	v_add_u32_e32 v30, 18, v40
	v_fma_f32 v28, v53, v28, v32
	v_cvt_f32_i32_e32 v29, v29
	v_cvt_f32_i32_e32 v30, v30
	v_add_u32_e32 v32, 19, v40
	v_cvt_f32_i32_e32 v32, v32
	v_fma_f32 v36, v53, v27, v36
	v_add_u32_e32 v27, 32, v40
	v_fmac_f32_e32 v37, v53, v29
	v_fma_f32 v41, v53, v30, v34
	v_cvt_f32_i32_e32 v27, v27
	v_add_u32_e32 v29, 33, v40
	v_add_u32_e32 v30, 34, v40
	v_fmac_f32_e32 v35, v53, v32
	v_cvt_f32_i32_e32 v29, v29
	v_cvt_f32_i32_e32 v30, v30
	v_add_u32_e32 v32, 35, v40
	v_cvt_f32_i32_e32 v32, v32
	v_fma_f32 v24, v53, v27, v24
	v_add_u32_e32 v27, 48, v40
	v_fmac_f32_e32 v25, v53, v29
	v_fma_f32 v22, v53, v30, v22
	v_cvt_f32_i32_e32 v27, v27
	v_add_u32_e32 v29, 49, v40
	v_add_u32_e32 v30, 50, v40
	v_fmac_f32_e32 v23, v53, v32
	v_cvt_f32_i32_e32 v29, v29
	v_cvt_f32_i32_e32 v30, v30
	v_add_u32_e32 v32, 51, v40
	v_cvt_f32_i32_e32 v32, v32
	v_fma_f32 v20, v53, v27, v20
	v_mov_b32_e32 v27, 0xff7fffff
	v_cmp_gt_i32_e64 s[26:27], s33, v38
	v_cmp_gt_i32_e64 s[28:29], s33, v39
	v_fmac_f32_e32 v21, v53, v29
	v_fma_f32 v18, v53, v30, v18
	v_cndmask_b32_e64 v29, v27, v26, s[26:27]
	v_cndmask_b32_e64 v30, v27, v31, s[28:29]
	v_fmac_f32_e32 v19, v53, v32
	v_max3_f32 v29, v29, s46, v30
	v_or_b32_e32 v30, 2, v38
	v_or_b32_e32 v32, 3, v38
	v_cmp_gt_i32_e64 s[30:31], s33, v30
	v_cmp_gt_i32_e64 s[34:35], s33, v32
	v_cndmask_b32_e64 v30, v27, v28, s[30:31]
	v_cndmask_b32_e64 v32, v27, v33, s[34:35]
	v_max3_f32 v29, v29, v30, v32
	v_or_b32_e32 v30, 16, v38
	v_or_b32_e32 v32, 17, v38
	v_cmp_gt_i32_e64 s[36:37], s33, v30
	v_cmp_gt_i32_e64 s[38:39], s33, v32
	v_cndmask_b32_e64 v30, v27, v36, s[36:37]
	v_cndmask_b32_e64 v32, v27, v37, s[38:39]
	;; [unrolled: 7-line block ×6, first 2 shown]
	v_max3_f32 v29, v29, v30, v32
	v_or_b32_e32 v30, 50, v38
	v_or_b32_e32 v32, 51, v38
	v_cmp_gt_i32_e32 vcc, s33, v30
	v_cmp_gt_i32_e64 s[2:3], s33, v32
	v_cndmask_b32_e32 v30, v27, v18, vcc
	v_cndmask_b32_e64 v27, v27, v19, s[2:3]
	v_max3_f32 v27, v29, v30, v27
	v_mbcnt_lo_u32_b32 v29, -1, 0
	v_mbcnt_hi_u32_b32 v29, -1, v29
	v_and_b32_e32 v30, 64, v29
	v_add_u32_e32 v30, 64, v30
	v_xor_b32_e32 v32, 32, v29
	v_cmp_lt_i32_e64 s[40:41], v32, v30
	v_cndmask_b32_e64 v32, v29, v32, s[40:41]
	v_lshlrev_b32_e32 v38, 2, v32
	ds_bpermute_b32 v32, v38, v27
	s_barrier
	s_waitcnt lgkmcnt(0)
	v_max_f32_e32 v32, v32, v32
	v_max_f32_e32 v27, v27, v32
	v_xor_b32_e32 v32, 16, v29
	v_cmp_lt_i32_e64 s[40:41], v32, v30
	v_cndmask_b32_e64 v29, v29, v32, s[40:41]
	v_lshlrev_b32_e32 v39, 2, v29
	ds_bpermute_b32 v29, v39, v27
	s_waitcnt lgkmcnt(0)
	v_max_f32_e32 v29, v29, v29
	v_max_f32_e32 v34, v27, v29
	v_sub_f32_e32 v26, v26, v34
	v_mul_f32_e32 v26, 0x3fb8aa3b, v26
	v_sub_f32_e32 v27, v31, v34
	v_exp_f32_e32 v26, v26
	v_mul_f32_e32 v27, 0x3fb8aa3b, v27
	v_sub_f32_e32 v28, v28, v34
	v_exp_f32_e32 v27, v27
	v_mul_f32_e32 v28, 0x3fb8aa3b, v28
	v_exp_f32_e32 v28, v28
	v_cndmask_b32_e64 v26, 0, v26, s[26:27]
	v_sub_f32_e32 v30, v33, v34
	v_add_f32_e32 v29, 0, v26
	v_cndmask_b32_e64 v27, 0, v27, s[28:29]
	v_mul_f32_e32 v30, 0x3fb8aa3b, v30
	v_exp_f32_e32 v31, v30
	v_add_f32_e32 v29, v29, v27
	v_cndmask_b32_e64 v30, 0, v28, s[30:31]
	v_add_f32_e32 v28, v29, v30
	v_sub_f32_e32 v29, v36, v34
	v_sub_f32_e32 v32, v37, v34
	v_mul_f32_e32 v29, 0x3fb8aa3b, v29
	v_mul_f32_e32 v32, 0x3fb8aa3b, v32
	v_exp_f32_e32 v29, v29
	v_exp_f32_e32 v32, v32
	v_cndmask_b32_e64 v31, 0, v31, s[34:35]
	v_add_f32_e32 v33, v28, v31
	v_cndmask_b32_e64 v28, 0, v29, s[36:37]
	v_cndmask_b32_e64 v29, 0, v32, s[38:39]
	v_sub_f32_e32 v32, v41, v34
	v_mul_f32_e32 v32, 0x3fb8aa3b, v32
	v_sub_f32_e32 v35, v35, v34
	v_exp_f32_e32 v32, v32
	v_mul_f32_e32 v35, 0x3fb8aa3b, v35
	v_sub_f32_e32 v24, v24, v34
	v_exp_f32_e32 v35, v35
	v_mul_f32_e32 v24, 0x3fb8aa3b, v24
	v_sub_f32_e32 v25, v25, v34
	v_exp_f32_e32 v24, v24
	v_mul_f32_e32 v25, 0x3fb8aa3b, v25
	v_sub_f32_e32 v22, v22, v34
	v_add_f32_e32 v33, v33, v28
	v_exp_f32_e32 v25, v25
	v_mul_f32_e32 v22, 0x3fb8aa3b, v22
	v_sub_f32_e32 v23, v23, v34
	v_add_f32_e32 v33, v33, v29
	v_cndmask_b32_e64 v32, 0, v32, s[20:21]
	v_exp_f32_e32 v22, v22
	v_mul_f32_e32 v23, 0x3fb8aa3b, v23
	v_sub_f32_e32 v20, v20, v34
	v_add_f32_e32 v36, v33, v32
	v_cndmask_b32_e64 v33, 0, v35, s[22:23]
	v_exp_f32_e32 v23, v23
	v_mul_f32_e32 v20, 0x3fb8aa3b, v20
	v_sub_f32_e32 v21, v21, v34
	v_add_f32_e32 v35, v36, v33
	v_cndmask_b32_e64 v24, 0, v24, s[16:17]
	v_exp_f32_e32 v20, v20
	v_mul_f32_e32 v21, 0x3fb8aa3b, v21
	v_sub_f32_e32 v18, v18, v34
	v_add_f32_e32 v35, v35, v24
	v_cndmask_b32_e64 v25, 0, v25, s[18:19]
	v_exp_f32_e32 v21, v21
	v_mul_f32_e32 v18, 0x3fb8aa3b, v18
	v_sub_f32_e32 v19, v19, v34
	v_add_f32_e32 v35, v35, v25
	v_cndmask_b32_e64 v22, 0, v22, s[12:13]
	v_exp_f32_e32 v18, v18
	v_mul_f32_e32 v19, 0x3fb8aa3b, v19
	v_add_f32_e32 v35, v35, v22
	v_cndmask_b32_e64 v23, 0, v23, s[14:15]
	v_exp_f32_e32 v19, v19
	v_add_f32_e32 v35, v35, v23
	v_cndmask_b32_e64 v20, 0, v20, s[8:9]
	v_add_f32_e32 v35, v35, v20
	v_cndmask_b32_e64 v21, 0, v21, s[10:11]
	v_add_f32_e32 v35, v35, v21
	v_cndmask_b32_e32 v18, 0, v18, vcc
	v_add_f32_e32 v35, v35, v18
	v_cndmask_b32_e64 v19, 0, v19, s[2:3]
	v_add_f32_e32 v35, v35, v19
	ds_bpermute_b32 v36, v38, v35
	v_cmp_gt_u32_e32 vcc, 16, v45
	s_waitcnt lgkmcnt(0)
	v_add_f32_e32 v36, v35, v36
	ds_bpermute_b32 v37, v39, v36
	v_lshlrev_b32_e32 v35, 2, v52
	s_and_saveexec_b64 s[2:3], vcc
	s_cbranch_execz .LBB845_397
; %bb.396:
	s_waitcnt lgkmcnt(0)
	v_add_f32_e32 v36, v36, v37
	v_lshl_or_b32 v37, v51, 6, v35
	ds_write2st64_b32 v37, v34, v36 offset1:1
.LBB845_397:
	s_or_b64 exec, exec, s[2:3]
	s_waitcnt lgkmcnt(0)
	s_barrier
	ds_read2_b32 v[36:37], v35 offset1:16
	ds_read2_b32 v[38:39], v35 offset0:32 offset1:48
	ds_read2_b32 v[40:41], v35 offset0:64 offset1:80
	s_lshl_b32 s12, s45, 4
	s_waitcnt lgkmcnt(2)
	v_max3_f32 v34, v36, s46, v37
	s_waitcnt lgkmcnt(1)
	v_max3_f32 v34, v34, v38, v39
	v_sub_f32_e32 v36, v36, v34
	v_mul_f32_e32 v36, 0x3fb8aa3b, v36
	v_exp_f32_e32 v42, v36
	v_sub_f32_e32 v36, v37, v34
	v_mul_f32_e32 v36, 0x3fb8aa3b, v36
	v_exp_f32_e32 v43, v36
	;; [unrolled: 3-line block ×3, first 2 shown]
	ds_read2_b32 v[36:37], v35 offset0:96 offset1:112
	v_sub_f32_e32 v35, v39, v34
	v_mul_f32_e32 v35, 0x3fb8aa3b, v35
	v_exp_f32_e32 v39, v35
	s_waitcnt lgkmcnt(1)
	v_fma_f32 v35, v42, v40, 0
	v_fmac_f32_e32 v35, v43, v41
	s_waitcnt lgkmcnt(0)
	v_fmac_f32_e32 v35, v38, v36
	v_fmac_f32_e32 v35, v39, v37
	v_add_f32_e32 v36, 0x358637bd, v35
	v_div_scale_f32 v37, s[2:3], v36, v36, 1.0
	v_rcp_f32_e32 v40, v37
	s_movk_i32 s2, 0x7fff
	s_mov_b32 s3, 0x7060302
	v_fma_f32 v41, -v37, v40, 1.0
	v_fmac_f32_e32 v40, v41, v40
	v_div_scale_f32 v41, vcc, 1.0, v36, 1.0
	v_mul_f32_e32 v44, v41, v40
	v_fma_f32 v45, -v37, v44, v41
	v_fmac_f32_e32 v44, v45, v40
	v_fma_f32 v37, -v37, v44, v41
	v_div_fmas_f32 v37, v37, v40, v44
	v_cmp_eq_u32_e32 vcc, 1, v51
	v_div_fixup_f32 v36, v37, v36, 1.0
	v_cndmask_b32_e32 v37, v42, v43, vcc
	v_cmp_eq_u32_e32 vcc, 2, v51
	v_cndmask_b32_e32 v37, v37, v38, vcc
	v_cmp_eq_u32_e32 vcc, 3, v51
	v_cndmask_b32_e32 v37, v37, v39, vcc
	v_mul_f32_e32 v36, v37, v36
	v_pk_mul_f32 v[26:27], v[36:37], v[26:27] op_sel_hi:[0,1]
	v_pk_mul_f32 v[30:31], v[36:37], v[30:31] op_sel_hi:[0,1]
	v_bfe_u32 v37, v27, 16, 1
	v_bfe_u32 v38, v26, 16, 1
	v_add3_u32 v26, v26, v38, s2
	v_add3_u32 v27, v27, v37, s2
	v_perm_b32 v38, v27, v26, s3
	v_bfe_u32 v26, v31, 16, 1
	v_bfe_u32 v27, v30, 16, 1
	v_add3_u32 v27, v30, v27, s2
	v_add3_u32 v26, v31, v26, s2
	v_perm_b32 v39, v26, v27, s3
	v_lshlrev_b32_e32 v26, 3, v1
	v_lshlrev_b32_e32 v27, 11, v51
	v_pk_mul_f32 v[28:29], v[36:37], v[28:29] op_sel_hi:[0,1]
	v_or3_b32 v26, v27, v47, v26
	v_pk_mul_f32 v[30:31], v[36:37], v[32:33] op_sel_hi:[0,1]
	v_bfe_u32 v27, v29, 16, 1
	v_bfe_u32 v32, v28, 16, 1
	v_add3_u32 v28, v28, v32, s2
	v_add3_u32 v27, v29, v27, s2
	v_perm_b32 v28, v27, v28, s3
	v_bfe_u32 v27, v31, 16, 1
	v_bfe_u32 v29, v30, 16, 1
	v_add3_u32 v29, v30, v29, s2
	v_add3_u32 v27, v31, v27, s2
	v_perm_b32 v29, v27, v29, s3
	v_pk_mul_f32 v[24:25], v[36:37], v[24:25] op_sel_hi:[0,1]
	s_barrier
	ds_write2st64_b64 v26, v[38:39], v[28:29] offset1:1
	v_bfe_u32 v27, v25, 16, 1
	v_bfe_u32 v28, v24, 16, 1
	v_pk_mul_f32 v[22:23], v[36:37], v[22:23] op_sel_hi:[0,1]
	v_add3_u32 v24, v24, v28, s2
	v_add3_u32 v25, v25, v27, s2
	v_perm_b32 v24, v25, v24, s3
	v_bfe_u32 v25, v23, 16, 1
	v_bfe_u32 v27, v22, 16, 1
	v_add3_u32 v22, v22, v27, s2
	v_add3_u32 v23, v23, v25, s2
	v_pk_mul_f32 v[20:21], v[36:37], v[20:21] op_sel_hi:[0,1]
	v_perm_b32 v25, v23, v22, s3
	v_bfe_u32 v22, v21, 16, 1
	v_bfe_u32 v23, v20, 16, 1
	v_pk_mul_f32 v[18:19], v[36:37], v[18:19] op_sel_hi:[0,1]
	v_add3_u32 v20, v20, v23, s2
	v_add3_u32 v21, v21, v22, s2
	v_perm_b32 v20, v21, v20, s3
	v_bfe_u32 v21, v19, 16, 1
	v_bfe_u32 v22, v18, 16, 1
	v_add3_u32 v18, v18, v22, s2
	v_add3_u32 v19, v19, v21, s2
	v_perm_b32 v21, v19, v18, s3
	v_cmp_gt_u32_e32 vcc, 16, v0
	ds_write2st64_b64 v26, v[24:25], v[20:21] offset0:2 offset1:3
	s_and_saveexec_b64 s[2:3], vcc
	s_cbranch_execz .LBB845_399
; %bb.398:
	v_mov_b32_e32 v47, 0
	v_mov_b32_e32 v18, s12
	s_mul_i32 s7, s7, s12
	v_mad_u64_u32 v[18:19], s[14:15], s6, v18, v[46:47]
	v_mov_b32_e32 v46, s24
	s_load_dwordx4 s[8:11], s[4:5], 0x58
	v_add_u32_e32 v21, s7, v19
	v_mad_u64_u32 v[18:19], s[14:15], v18, s44, v[46:47]
	v_mov_b32_e32 v20, v19
	v_mad_u64_u32 v[20:21], s[14:15], v21, s44, v[20:21]
	v_mov_b32_e32 v19, v20
	v_lshlrev_b64 v[18:19], 2, v[18:19]
	s_waitcnt lgkmcnt(0)
	v_mov_b32_e32 v21, s11
	v_add_co_u32_e32 v20, vcc, s10, v18
	v_addc_co_u32_e32 v21, vcc, v21, v19, vcc
	global_store_dword v[20:21], v34, off
	v_mov_b32_e32 v20, s9
	v_add_co_u32_e32 v18, vcc, s8, v18
	v_addc_co_u32_e32 v19, vcc, v20, v19, vcc
	global_store_dword v[18:19], v35, off
.LBB845_399:
	s_or_b64 exec, exec, s[2:3]
	v_mov_b32_e32 v19, 0
	s_waitcnt vmcnt(3)
	v_cmp_ne_u16_sdwa s[8:9], v14, v19 src0_sel:BYTE_0 src1_sel:DWORD
	v_mov_b32_e32 v20, 0
	s_waitcnt lgkmcnt(0)
	s_barrier
	s_and_saveexec_b64 s[2:3], s[8:9]
	s_cbranch_execz .LBB845_405
; %bb.400:
	s_movk_i32 s7, 0x80
	v_cmp_ne_u16_sdwa s[10:11], v14, s7 src0_sel:BYTE_0 src1_sel:DWORD
	v_mov_b32_e32 v20, 0xffff8000
	s_and_saveexec_b64 s[8:9], s[10:11]
	s_cbranch_execz .LBB845_404
; %bb.401:
	s_movk_i32 s7, 0x7f
	v_and_b32_e32 v18, 0x7f, v14
	v_cmp_ne_u32_e32 vcc, s7, v18
	v_mov_b32_e32 v20, 0x7f80
	s_and_saveexec_b64 s[10:11], vcc
	s_cbranch_execz .LBB845_403
; %bb.402:
	v_and_b32_e32 v22, 7, v14
	v_ffbh_u32_e32 v20, v22
	v_min_u32_e32 v24, 32, v20
	v_subrev_u32_e32 v20, 28, v24
	v_lshlrev_b64 v[20:21], v20, v[14:15]
	v_lshrrev_b32_e32 v23, 3, v18
	v_sub_u32_e32 v21, 29, v24
	v_and_b32_e32 v20, 7, v20
	v_cmp_gt_u32_e32 vcc, 8, v18
	v_cndmask_b32_e32 v18, v23, v21, vcc
	v_cndmask_b32_e32 v20, v22, v20, vcc
	v_lshlrev_b32_e32 v21, 24, v14
	v_bfrev_b32_e32 v22, 60
	v_lshlrev_b32_e32 v20, 20, v20
	v_and_b32_e32 v21, 0x80000000, v21
	v_lshl_add_u32 v18, v18, 23, v22
	v_or3_b32 v18, v21, v18, v20
	v_lshrrev_b32_e32 v20, 16, v18
.LBB845_403:
	s_or_b64 exec, exec, s[10:11]
.LBB845_404:
	s_or_b64 exec, exec, s[8:9]
.LBB845_405:
	s_or_b64 exec, exec, s[2:3]
	v_lshrrev_b16_e32 v18, 8, v14
	v_cmp_ne_u16_e32 vcc, 0, v18
	s_and_saveexec_b64 s[2:3], vcc
	s_cbranch_execz .LBB845_411
; %bb.406:
	s_movk_i32 s7, 0x80
	v_cmp_ne_u16_e32 vcc, s7, v18
	v_mov_b32_e32 v19, 0xffff8000
	s_and_saveexec_b64 s[8:9], vcc
	s_cbranch_execz .LBB845_410
; %bb.407:
	s_movk_i32 s7, 0x7f
	v_and_b32_e32 v21, 0x7f, v18
	v_cmp_ne_u32_e32 vcc, s7, v21
	v_mov_b32_e32 v19, 0x7f80
	s_and_saveexec_b64 s[10:11], vcc
	s_cbranch_execz .LBB845_409
; %bb.408:
	v_and_b32_e32 v22, 7, v18
	v_ffbh_u32_e32 v19, v22
	v_min_u32_e32 v24, 32, v19
	v_subrev_u32_e32 v19, 28, v24
	v_lshlrev_b64 v[18:19], v19, v[18:19]
	v_lshrrev_b32_e32 v23, 3, v21
	v_sub_u32_e32 v19, 29, v24
	v_and_b32_e32 v18, 7, v18
	v_cmp_gt_u32_e32 vcc, 8, v21
	v_cndmask_b32_e32 v19, v23, v19, vcc
	v_cndmask_b32_e32 v18, v22, v18, vcc
	v_lshlrev_b32_e32 v21, 16, v14
	v_bfrev_b32_e32 v22, 60
	v_lshlrev_b32_e32 v18, 20, v18
	v_and_b32_e32 v21, 0x80000000, v21
	v_lshl_add_u32 v19, v19, 23, v22
	v_or3_b32 v18, v21, v19, v18
	v_lshrrev_b32_e32 v19, 16, v18
.LBB845_409:
	s_or_b64 exec, exec, s[10:11]
.LBB845_410:
	s_or_b64 exec, exec, s[8:9]
.LBB845_411:
	s_or_b64 exec, exec, s[2:3]
	s_movk_i32 s2, 0xff
	v_and_b32_sdwa v23, v14, s2 dst_sel:DWORD dst_unused:UNUSED_PAD src0_sel:WORD_1 src1_sel:DWORD
	v_lshrrev_b32_e32 v18, 16, v14
	v_cmp_ne_u16_e32 vcc, 0, v23
	v_mov_b32_e32 v21, 0
	v_mov_b32_e32 v22, 0
	s_and_saveexec_b64 s[2:3], vcc
	s_cbranch_execz .LBB845_417
; %bb.412:
	s_movk_i32 s7, 0x80
	v_cmp_ne_u16_e32 vcc, s7, v23
	v_mov_b32_e32 v22, 0xffff8000
	s_and_saveexec_b64 s[8:9], vcc
	s_cbranch_execz .LBB845_416
; %bb.413:
	v_bfe_u32 v23, v14, 16, 7
	s_movk_i32 s7, 0x7f
	v_cmp_ne_u32_e32 vcc, s7, v23
	v_mov_b32_e32 v22, 0x7f80
	s_and_saveexec_b64 s[10:11], vcc
	s_cbranch_execz .LBB845_415
; %bb.414:
	v_and_b32_e32 v22, 7, v18
	v_ffbh_u32_e32 v24, v22
	v_min_u32_e32 v28, 32, v24
	v_subrev_u32_e32 v24, 28, v28
	v_lshlrev_b64 v[24:25], v24, v[18:19]
	v_lshrrev_b32_e32 v27, 3, v23
	v_sub_u32_e32 v18, 29, v28
	v_and_b32_e32 v24, 7, v24
	v_cmp_gt_u32_e32 vcc, 8, v23
	v_mov_b32_e32 v23, 24
	v_cndmask_b32_e32 v18, v27, v18, vcc
	v_cndmask_b32_e32 v22, v22, v24, vcc
	v_lshlrev_b32_sdwa v23, v23, v14 dst_sel:DWORD dst_unused:UNUSED_PAD src0_sel:DWORD src1_sel:WORD_1
	v_bfrev_b32_e32 v24, 60
	v_lshlrev_b32_e32 v22, 20, v22
	v_and_b32_e32 v23, 0x80000000, v23
	v_lshl_add_u32 v18, v18, 23, v24
	v_or3_b32 v18, v23, v18, v22
	v_lshrrev_b32_e32 v22, 16, v18
.LBB845_415:
	s_or_b64 exec, exec, s[10:11]
.LBB845_416:
	s_or_b64 exec, exec, s[8:9]
.LBB845_417:
	s_or_b64 exec, exec, s[2:3]
	s_mov_b32 s2, 0xffffff
	v_cmp_lt_u32_e32 vcc, s2, v14
	s_and_saveexec_b64 s[2:3], vcc
	s_cbranch_execz .LBB845_423
; %bb.418:
	v_lshrrev_b32_e32 v18, 24, v14
	s_movk_i32 s7, 0x80
	v_cmp_ne_u32_e32 vcc, s7, v18
	v_mov_b32_e32 v21, 0xffff8000
	s_and_saveexec_b64 s[8:9], vcc
	s_cbranch_execz .LBB845_422
; %bb.419:
	v_bfe_u32 v14, v14, 24, 7
	s_movk_i32 s7, 0x7f
	v_cmp_ne_u32_e32 vcc, s7, v14
	v_mov_b32_e32 v21, 0x7f80
	s_and_saveexec_b64 s[10:11], vcc
	s_cbranch_execz .LBB845_421
; %bb.420:
	v_and_b32_e32 v21, 7, v18
	v_ffbh_u32_e32 v24, v21
	v_min_u32_e32 v27, 32, v24
	v_subrev_u32_e32 v24, 28, v27
	v_lshlrev_b64 v[24:25], v24, v[18:19]
	v_lshrrev_b32_e32 v23, 3, v14
	v_sub_u32_e32 v25, 29, v27
	v_and_b32_e32 v24, 7, v24
	v_cmp_gt_u32_e32 vcc, 8, v14
	v_cndmask_b32_e32 v14, v23, v25, vcc
	v_cndmask_b32_e32 v21, v21, v24, vcc
	v_lshlrev_b32_e32 v18, 24, v18
	v_bfrev_b32_e32 v23, 60
	v_lshlrev_b32_e32 v21, 20, v21
	v_and_b32_e32 v18, 0x80000000, v18
	v_lshl_add_u32 v14, v14, 23, v23
	v_or3_b32 v14, v18, v14, v21
	v_lshrrev_b32_e32 v21, 16, v14
.LBB845_421:
	s_or_b64 exec, exec, s[10:11]
.LBB845_422:
	s_or_b64 exec, exec, s[8:9]
.LBB845_423:
	s_or_b64 exec, exec, s[2:3]
	v_mov_b32_e32 v18, 0
	v_cmp_ne_u16_sdwa s[8:9], v15, v18 src0_sel:BYTE_0 src1_sel:DWORD
	v_mov_b32_e32 v23, 0
	s_and_saveexec_b64 s[2:3], s[8:9]
	s_cbranch_execz .LBB845_429
; %bb.424:
	s_movk_i32 s7, 0x80
	v_cmp_ne_u16_sdwa s[10:11], v15, s7 src0_sel:BYTE_0 src1_sel:DWORD
	v_mov_b32_e32 v23, 0xffff8000
	s_and_saveexec_b64 s[8:9], s[10:11]
	s_cbranch_execz .LBB845_428
; %bb.425:
	s_movk_i32 s7, 0x7f
	v_and_b32_e32 v14, 0x7f, v15
	v_cmp_ne_u32_e32 vcc, s7, v14
	v_mov_b32_e32 v23, 0x7f80
	s_and_saveexec_b64 s[10:11], vcc
	s_cbranch_execz .LBB845_427
; %bb.426:
	v_and_b32_e32 v23, 7, v15
	v_ffbh_u32_e32 v25, v23
	v_min_u32_e32 v28, 32, v25
	v_mov_b32_e32 v24, v15
	v_subrev_u32_e32 v25, 28, v28
	v_lshlrev_b64 v[24:25], v25, v[24:25]
	v_lshrrev_b32_e32 v27, 3, v14
	v_sub_u32_e32 v25, 29, v28
	v_and_b32_e32 v24, 7, v24
	v_cmp_gt_u32_e32 vcc, 8, v14
	v_cndmask_b32_e32 v14, v27, v25, vcc
	v_cndmask_b32_e32 v23, v23, v24, vcc
	v_lshlrev_b32_e32 v24, 24, v15
	v_bfrev_b32_e32 v25, 60
	v_lshlrev_b32_e32 v23, 20, v23
	v_and_b32_e32 v24, 0x80000000, v24
	v_lshl_add_u32 v14, v14, 23, v25
	v_or3_b32 v14, v24, v14, v23
	v_lshrrev_b32_e32 v23, 16, v14
.LBB845_427:
	s_or_b64 exec, exec, s[10:11]
.LBB845_428:
	s_or_b64 exec, exec, s[8:9]
.LBB845_429:
	s_or_b64 exec, exec, s[2:3]
	v_lshrrev_b16_e32 v14, 8, v15
	v_cmp_ne_u16_e32 vcc, 0, v14
	s_and_saveexec_b64 s[2:3], vcc
	s_cbranch_execz .LBB845_435
; %bb.430:
	s_movk_i32 s7, 0x80
	v_cmp_ne_u16_e32 vcc, s7, v14
	v_mov_b32_e32 v18, 0xffff8000
	s_and_saveexec_b64 s[8:9], vcc
	s_cbranch_execz .LBB845_434
; %bb.431:
	s_movk_i32 s7, 0x7f
	v_and_b32_e32 v24, 0x7f, v14
	v_cmp_ne_u32_e32 vcc, s7, v24
	v_mov_b32_e32 v18, 0x7f80
	s_and_saveexec_b64 s[10:11], vcc
	s_cbranch_execz .LBB845_433
; %bb.432:
	v_and_b32_e32 v18, 7, v14
	v_ffbh_u32_e32 v27, v18
	v_min_u32_e32 v27, 32, v27
	v_subrev_u32_e32 v28, 28, v27
	v_lshlrev_b64 v[28:29], v28, v[14:15]
	v_lshrrev_b32_e32 v25, 3, v24
	v_sub_u32_e32 v14, 29, v27
	v_and_b32_e32 v27, 7, v28
	v_cmp_gt_u32_e32 vcc, 8, v24
	v_cndmask_b32_e32 v14, v25, v14, vcc
	v_cndmask_b32_e32 v18, v18, v27, vcc
	v_lshlrev_b32_e32 v24, 16, v15
	v_bfrev_b32_e32 v25, 60
	v_lshlrev_b32_e32 v18, 20, v18
	v_and_b32_e32 v24, 0x80000000, v24
	v_lshl_add_u32 v14, v14, 23, v25
	v_or3_b32 v14, v24, v14, v18
	v_lshrrev_b32_e32 v18, 16, v14
.LBB845_433:
	s_or_b64 exec, exec, s[10:11]
.LBB845_434:
	s_or_b64 exec, exec, s[8:9]
.LBB845_435:
	s_or_b64 exec, exec, s[2:3]
	s_movk_i32 s2, 0xff
	v_and_b32_sdwa v27, v15, s2 dst_sel:DWORD dst_unused:UNUSED_PAD src0_sel:WORD_1 src1_sel:DWORD
	v_lshrrev_b32_e32 v14, 16, v15
	v_cmp_ne_u16_e32 vcc, 0, v27
	v_mov_b32_e32 v24, 0
	v_mov_b32_e32 v25, 0
	s_and_saveexec_b64 s[2:3], vcc
	s_cbranch_execz .LBB845_441
; %bb.436:
	s_movk_i32 s7, 0x80
	v_cmp_ne_u16_e32 vcc, s7, v27
	v_mov_b32_e32 v25, 0xffff8000
	s_and_saveexec_b64 s[8:9], vcc
	s_cbranch_execz .LBB845_440
; %bb.437:
	v_bfe_u32 v27, v15, 16, 7
	s_movk_i32 s7, 0x7f
	v_cmp_ne_u32_e32 vcc, s7, v27
	v_mov_b32_e32 v25, 0x7f80
	s_and_saveexec_b64 s[10:11], vcc
	s_cbranch_execz .LBB845_439
; %bb.438:
	v_and_b32_e32 v25, 7, v14
	v_ffbh_u32_e32 v28, v25
	v_min_u32_e32 v31, 32, v28
	v_subrev_u32_e32 v28, 28, v31
	v_lshlrev_b64 v[28:29], v28, v[14:15]
	v_lshrrev_b32_e32 v30, 3, v27
	v_sub_u32_e32 v14, 29, v31
	v_and_b32_e32 v28, 7, v28
	v_cmp_gt_u32_e32 vcc, 8, v27
	v_mov_b32_e32 v27, 24
	v_cndmask_b32_e32 v14, v30, v14, vcc
	v_cndmask_b32_e32 v25, v25, v28, vcc
	v_lshlrev_b32_sdwa v27, v27, v15 dst_sel:DWORD dst_unused:UNUSED_PAD src0_sel:DWORD src1_sel:WORD_1
	v_bfrev_b32_e32 v28, 60
	v_lshlrev_b32_e32 v25, 20, v25
	v_and_b32_e32 v27, 0x80000000, v27
	v_lshl_add_u32 v14, v14, 23, v28
	v_or3_b32 v14, v27, v14, v25
	v_lshrrev_b32_e32 v25, 16, v14
.LBB845_439:
	s_or_b64 exec, exec, s[10:11]
.LBB845_440:
	s_or_b64 exec, exec, s[8:9]
.LBB845_441:
	s_or_b64 exec, exec, s[2:3]
	s_mov_b32 s2, 0xffffff
	v_cmp_lt_u32_e32 vcc, s2, v15
	s_and_saveexec_b64 s[2:3], vcc
	s_cbranch_execz .LBB845_447
; %bb.442:
	v_lshrrev_b32_e32 v14, 24, v15
	s_movk_i32 s7, 0x80
	v_cmp_ne_u32_e32 vcc, s7, v14
	v_mov_b32_e32 v24, 0xffff8000
	s_and_saveexec_b64 s[8:9], vcc
	s_cbranch_execz .LBB845_446
; %bb.443:
	v_bfe_u32 v15, v15, 24, 7
	s_movk_i32 s7, 0x7f
	v_cmp_ne_u32_e32 vcc, s7, v15
	v_mov_b32_e32 v24, 0x7f80
	s_and_saveexec_b64 s[10:11], vcc
	s_cbranch_execz .LBB845_445
; %bb.444:
	v_and_b32_e32 v24, 7, v14
	v_ffbh_u32_e32 v28, v24
	v_min_u32_e32 v30, 32, v28
	v_subrev_u32_e32 v28, 28, v30
	v_lshlrev_b64 v[28:29], v28, v[14:15]
	v_lshrrev_b32_e32 v27, 3, v15
	v_sub_u32_e32 v29, 29, v30
	v_and_b32_e32 v28, 7, v28
	v_cmp_gt_u32_e32 vcc, 8, v15
	v_cndmask_b32_e32 v15, v27, v29, vcc
	v_cndmask_b32_e32 v24, v24, v28, vcc
	v_lshlrev_b32_e32 v14, 24, v14
	v_bfrev_b32_e32 v27, 60
	v_lshlrev_b32_e32 v24, 20, v24
	v_and_b32_e32 v14, 0x80000000, v14
	v_lshl_add_u32 v15, v15, 23, v27
	v_or3_b32 v14, v14, v15, v24
	v_lshrrev_b32_e32 v24, 16, v14
.LBB845_445:
	s_or_b64 exec, exec, s[10:11]
.LBB845_446:
	s_or_b64 exec, exec, s[8:9]
.LBB845_447:
	s_or_b64 exec, exec, s[2:3]
	s_mov_b32 s2, 0x5040100
	v_perm_b32 v15, v21, v22, s2
	v_perm_b32 v14, v19, v20, s2
	ds_read_b128 v[28:31], v50
	v_perm_b32 v19, v24, v25, s2
	v_perm_b32 v18, v18, v23, s2
	s_waitcnt lgkmcnt(0)
	v_mfma_f32_16x16x16bf16_1k v[32:35], v[14:15], v[28:29], 0
	v_mov_b32_e32 v15, 0
	v_cmp_ne_u16_sdwa s[8:9], v16, v15 src0_sel:BYTE_0 src1_sel:DWORD
	v_mov_b32_e32 v22, 0
	v_mfma_f32_16x16x16bf16_1k v[18:21], v[18:19], v[30:31], v[32:35]
	s_and_saveexec_b64 s[2:3], s[8:9]
	s_cbranch_execz .LBB845_453
; %bb.448:
	s_movk_i32 s7, 0x80
	v_cmp_ne_u16_sdwa s[10:11], v16, s7 src0_sel:BYTE_0 src1_sel:DWORD
	v_mov_b32_e32 v22, 0xffff8000
	s_and_saveexec_b64 s[8:9], s[10:11]
	s_cbranch_execz .LBB845_452
; %bb.449:
	s_movk_i32 s7, 0x7f
	v_and_b32_e32 v14, 0x7f, v16
	v_cmp_ne_u32_e32 vcc, s7, v14
	v_mov_b32_e32 v22, 0x7f80
	s_and_saveexec_b64 s[10:11], vcc
	s_cbranch_execz .LBB845_451
; %bb.450:
	v_and_b32_e32 v24, 7, v16
	v_ffbh_u32_e32 v22, v24
	v_min_u32_e32 v27, 32, v22
	v_subrev_u32_e32 v22, 28, v27
	v_lshlrev_b64 v[22:23], v22, v[16:17]
	v_lshrrev_b32_e32 v25, 3, v14
	v_sub_u32_e32 v23, 29, v27
	v_and_b32_e32 v22, 7, v22
	v_cmp_gt_u32_e32 vcc, 8, v14
	v_cndmask_b32_e32 v14, v25, v23, vcc
	v_cndmask_b32_e32 v22, v24, v22, vcc
	v_lshlrev_b32_e32 v23, 24, v16
	v_bfrev_b32_e32 v24, 60
	v_lshlrev_b32_e32 v22, 20, v22
	v_and_b32_e32 v23, 0x80000000, v23
	v_lshl_add_u32 v14, v14, 23, v24
	v_or3_b32 v14, v23, v14, v22
	v_lshrrev_b32_e32 v22, 16, v14
.LBB845_451:
	s_or_b64 exec, exec, s[10:11]
.LBB845_452:
	s_or_b64 exec, exec, s[8:9]
.LBB845_453:
	s_or_b64 exec, exec, s[2:3]
	v_lshrrev_b16_e32 v14, 8, v16
	v_cmp_ne_u16_e32 vcc, 0, v14
	s_and_saveexec_b64 s[2:3], vcc
	s_cbranch_execz .LBB845_459
; %bb.454:
	s_movk_i32 s7, 0x80
	v_cmp_ne_u16_e32 vcc, s7, v14
	v_mov_b32_e32 v15, 0xffff8000
	s_and_saveexec_b64 s[8:9], vcc
	s_cbranch_execz .LBB845_458
; %bb.455:
	s_movk_i32 s7, 0x7f
	v_and_b32_e32 v23, 0x7f, v14
	v_cmp_ne_u32_e32 vcc, s7, v23
	v_mov_b32_e32 v15, 0x7f80
	s_and_saveexec_b64 s[10:11], vcc
	s_cbranch_execz .LBB845_457
; %bb.456:
	v_and_b32_e32 v24, 7, v14
	v_ffbh_u32_e32 v15, v24
	v_min_u32_e32 v27, 32, v15
	v_subrev_u32_e32 v15, 28, v27
	v_lshlrev_b64 v[14:15], v15, v[14:15]
	v_lshrrev_b32_e32 v25, 3, v23
	v_sub_u32_e32 v15, 29, v27
	v_and_b32_e32 v14, 7, v14
	v_cmp_gt_u32_e32 vcc, 8, v23
	v_cndmask_b32_e32 v15, v25, v15, vcc
	v_cndmask_b32_e32 v14, v24, v14, vcc
	v_lshlrev_b32_e32 v23, 16, v16
	v_bfrev_b32_e32 v24, 60
	v_lshlrev_b32_e32 v14, 20, v14
	v_and_b32_e32 v23, 0x80000000, v23
	v_lshl_add_u32 v15, v15, 23, v24
	v_or3_b32 v14, v23, v15, v14
	v_lshrrev_b32_e32 v15, 16, v14
.LBB845_457:
	s_or_b64 exec, exec, s[10:11]
.LBB845_458:
	s_or_b64 exec, exec, s[8:9]
.LBB845_459:
	s_or_b64 exec, exec, s[2:3]
	s_movk_i32 s2, 0xff
	v_and_b32_sdwa v25, v16, s2 dst_sel:DWORD dst_unused:UNUSED_PAD src0_sel:WORD_1 src1_sel:DWORD
	v_lshrrev_b32_e32 v14, 16, v16
	v_cmp_ne_u16_e32 vcc, 0, v25
	v_mov_b32_e32 v23, 0
	v_mov_b32_e32 v24, 0
	s_and_saveexec_b64 s[2:3], vcc
	s_cbranch_execz .LBB845_465
; %bb.460:
	s_movk_i32 s7, 0x80
	v_cmp_ne_u16_e32 vcc, s7, v25
	v_mov_b32_e32 v24, 0xffff8000
	s_and_saveexec_b64 s[8:9], vcc
	s_cbranch_execz .LBB845_464
; %bb.461:
	v_bfe_u32 v25, v16, 16, 7
	s_movk_i32 s7, 0x7f
	v_cmp_ne_u32_e32 vcc, s7, v25
	v_mov_b32_e32 v24, 0x7f80
	s_and_saveexec_b64 s[10:11], vcc
	s_cbranch_execz .LBB845_463
; %bb.462:
	v_and_b32_e32 v24, 7, v14
	v_ffbh_u32_e32 v28, v24
	v_min_u32_e32 v30, 32, v28
	v_subrev_u32_e32 v28, 28, v30
	v_lshlrev_b64 v[28:29], v28, v[14:15]
	v_lshrrev_b32_e32 v27, 3, v25
	v_sub_u32_e32 v14, 29, v30
	v_and_b32_e32 v28, 7, v28
	v_cmp_gt_u32_e32 vcc, 8, v25
	v_mov_b32_e32 v25, 24
	v_cndmask_b32_e32 v14, v27, v14, vcc
	v_cndmask_b32_e32 v24, v24, v28, vcc
	v_lshlrev_b32_sdwa v25, v25, v16 dst_sel:DWORD dst_unused:UNUSED_PAD src0_sel:DWORD src1_sel:WORD_1
	v_bfrev_b32_e32 v27, 60
	v_lshlrev_b32_e32 v24, 20, v24
	v_and_b32_e32 v25, 0x80000000, v25
	v_lshl_add_u32 v14, v14, 23, v27
	v_or3_b32 v14, v25, v14, v24
	v_lshrrev_b32_e32 v24, 16, v14
.LBB845_463:
	s_or_b64 exec, exec, s[10:11]
.LBB845_464:
	s_or_b64 exec, exec, s[8:9]
.LBB845_465:
	s_or_b64 exec, exec, s[2:3]
	s_mov_b32 s2, 0xffffff
	v_cmp_lt_u32_e32 vcc, s2, v16
	s_and_saveexec_b64 s[2:3], vcc
	s_cbranch_execz .LBB845_471
; %bb.466:
	v_lshrrev_b32_e32 v14, 24, v16
	s_movk_i32 s7, 0x80
	v_cmp_ne_u32_e32 vcc, s7, v14
	v_mov_b32_e32 v23, 0xffff8000
	s_and_saveexec_b64 s[8:9], vcc
	s_cbranch_execz .LBB845_470
; %bb.467:
	v_bfe_u32 v16, v16, 24, 7
	s_movk_i32 s7, 0x7f
	v_cmp_ne_u32_e32 vcc, s7, v16
	v_mov_b32_e32 v23, 0x7f80
	s_and_saveexec_b64 s[10:11], vcc
	s_cbranch_execz .LBB845_469
; %bb.468:
	v_and_b32_e32 v23, 7, v14
	v_ffbh_u32_e32 v27, v23
	v_min_u32_e32 v27, 32, v27
	v_subrev_u32_e32 v28, 28, v27
	v_lshlrev_b64 v[28:29], v28, v[14:15]
	v_lshrrev_b32_e32 v25, 3, v16
	v_sub_u32_e32 v27, 29, v27
	v_and_b32_e32 v28, 7, v28
	v_cmp_gt_u32_e32 vcc, 8, v16
	v_cndmask_b32_e32 v16, v25, v27, vcc
	v_cndmask_b32_e32 v23, v23, v28, vcc
	v_lshlrev_b32_e32 v14, 24, v14
	v_bfrev_b32_e32 v25, 60
	v_lshlrev_b32_e32 v23, 20, v23
	v_and_b32_e32 v14, 0x80000000, v14
	v_lshl_add_u32 v16, v16, 23, v25
	v_or3_b32 v14, v14, v16, v23
	v_lshrrev_b32_e32 v23, 16, v14
.LBB845_469:
	s_or_b64 exec, exec, s[10:11]
.LBB845_470:
	s_or_b64 exec, exec, s[8:9]
.LBB845_471:
	s_or_b64 exec, exec, s[2:3]
	v_mov_b32_e32 v16, 0
	v_cmp_ne_u16_sdwa s[8:9], v17, v16 src0_sel:BYTE_0 src1_sel:DWORD
	v_mov_b32_e32 v25, 0
	s_and_saveexec_b64 s[2:3], s[8:9]
	s_cbranch_execz .LBB845_477
; %bb.472:
	s_movk_i32 s7, 0x80
	v_cmp_ne_u16_sdwa s[10:11], v17, s7 src0_sel:BYTE_0 src1_sel:DWORD
	v_mov_b32_e32 v25, 0xffff8000
	s_and_saveexec_b64 s[8:9], s[10:11]
	s_cbranch_execz .LBB845_476
; %bb.473:
	s_movk_i32 s7, 0x7f
	v_and_b32_e32 v14, 0x7f, v17
	v_cmp_ne_u32_e32 vcc, s7, v14
	v_mov_b32_e32 v25, 0x7f80
	s_and_saveexec_b64 s[10:11], vcc
	s_cbranch_execz .LBB845_475
; %bb.474:
	v_and_b32_e32 v25, 7, v17
	v_ffbh_u32_e32 v29, v25
	v_min_u32_e32 v30, 32, v29
	v_mov_b32_e32 v28, v17
	v_subrev_u32_e32 v29, 28, v30
	v_lshlrev_b64 v[28:29], v29, v[28:29]
	v_lshrrev_b32_e32 v27, 3, v14
	v_sub_u32_e32 v29, 29, v30
	v_and_b32_e32 v28, 7, v28
	v_cmp_gt_u32_e32 vcc, 8, v14
	v_cndmask_b32_e32 v14, v27, v29, vcc
	v_cndmask_b32_e32 v25, v25, v28, vcc
	v_lshlrev_b32_e32 v27, 24, v17
	v_bfrev_b32_e32 v28, 60
	v_lshlrev_b32_e32 v25, 20, v25
	v_and_b32_e32 v27, 0x80000000, v27
	v_lshl_add_u32 v14, v14, 23, v28
	v_or3_b32 v14, v27, v14, v25
	v_lshrrev_b32_e32 v25, 16, v14
.LBB845_475:
	s_or_b64 exec, exec, s[10:11]
.LBB845_476:
	s_or_b64 exec, exec, s[8:9]
.LBB845_477:
	s_or_b64 exec, exec, s[2:3]
	v_lshrrev_b16_e32 v14, 8, v17
	v_cmp_ne_u16_e32 vcc, 0, v14
	s_and_saveexec_b64 s[2:3], vcc
	s_cbranch_execz .LBB845_483
; %bb.478:
	s_movk_i32 s7, 0x80
	v_cmp_ne_u16_e32 vcc, s7, v14
	v_mov_b32_e32 v16, 0xffff8000
	s_and_saveexec_b64 s[8:9], vcc
	s_cbranch_execz .LBB845_482
; %bb.479:
	s_movk_i32 s7, 0x7f
	v_and_b32_e32 v27, 0x7f, v14
	v_cmp_ne_u32_e32 vcc, s7, v27
	v_mov_b32_e32 v16, 0x7f80
	s_and_saveexec_b64 s[10:11], vcc
	s_cbranch_execz .LBB845_481
; %bb.480:
	v_and_b32_e32 v16, 7, v14
	v_ffbh_u32_e32 v28, v16
	v_min_u32_e32 v31, 32, v28
	v_subrev_u32_e32 v28, 28, v31
	v_lshlrev_b64 v[28:29], v28, v[14:15]
	v_lshrrev_b32_e32 v30, 3, v27
	v_sub_u32_e32 v14, 29, v31
	v_and_b32_e32 v28, 7, v28
	v_cmp_gt_u32_e32 vcc, 8, v27
	v_cndmask_b32_e32 v14, v30, v14, vcc
	v_cndmask_b32_e32 v16, v16, v28, vcc
	v_lshlrev_b32_e32 v27, 16, v17
	v_bfrev_b32_e32 v28, 60
	v_lshlrev_b32_e32 v16, 20, v16
	v_and_b32_e32 v27, 0x80000000, v27
	v_lshl_add_u32 v14, v14, 23, v28
	v_or3_b32 v14, v27, v14, v16
	v_lshrrev_b32_e32 v16, 16, v14
.LBB845_481:
	s_or_b64 exec, exec, s[10:11]
.LBB845_482:
	s_or_b64 exec, exec, s[8:9]
.LBB845_483:
	s_or_b64 exec, exec, s[2:3]
	s_movk_i32 s2, 0xff
	v_and_b32_sdwa v29, v17, s2 dst_sel:DWORD dst_unused:UNUSED_PAD src0_sel:WORD_1 src1_sel:DWORD
	v_lshrrev_b32_e32 v14, 16, v17
	v_cmp_ne_u16_e32 vcc, 0, v29
	v_mov_b32_e32 v27, 0
	v_mov_b32_e32 v28, 0
	s_and_saveexec_b64 s[2:3], vcc
	s_cbranch_execz .LBB845_489
; %bb.484:
	s_movk_i32 s7, 0x80
	v_cmp_ne_u16_e32 vcc, s7, v29
	v_mov_b32_e32 v28, 0xffff8000
	s_and_saveexec_b64 s[8:9], vcc
	s_cbranch_execz .LBB845_488
; %bb.485:
	v_bfe_u32 v29, v17, 16, 7
	s_movk_i32 s7, 0x7f
	v_cmp_ne_u32_e32 vcc, s7, v29
	v_mov_b32_e32 v28, 0x7f80
	s_and_saveexec_b64 s[10:11], vcc
	s_cbranch_execz .LBB845_487
; %bb.486:
	v_and_b32_e32 v28, 7, v14
	v_ffbh_u32_e32 v30, v28
	v_min_u32_e32 v33, 32, v30
	v_subrev_u32_e32 v30, 28, v33
	v_lshlrev_b64 v[30:31], v30, v[14:15]
	v_lshrrev_b32_e32 v32, 3, v29
	v_sub_u32_e32 v14, 29, v33
	v_and_b32_e32 v30, 7, v30
	v_cmp_gt_u32_e32 vcc, 8, v29
	v_mov_b32_e32 v29, 24
	v_cndmask_b32_e32 v14, v32, v14, vcc
	v_cndmask_b32_e32 v28, v28, v30, vcc
	v_lshlrev_b32_sdwa v29, v29, v17 dst_sel:DWORD dst_unused:UNUSED_PAD src0_sel:DWORD src1_sel:WORD_1
	v_bfrev_b32_e32 v30, 60
	v_lshlrev_b32_e32 v28, 20, v28
	v_and_b32_e32 v29, 0x80000000, v29
	v_lshl_add_u32 v14, v14, 23, v30
	v_or3_b32 v14, v29, v14, v28
	v_lshrrev_b32_e32 v28, 16, v14
.LBB845_487:
	s_or_b64 exec, exec, s[10:11]
.LBB845_488:
	s_or_b64 exec, exec, s[8:9]
.LBB845_489:
	s_or_b64 exec, exec, s[2:3]
	s_mov_b32 s2, 0xffffff
	v_cmp_lt_u32_e32 vcc, s2, v17
	s_and_saveexec_b64 s[2:3], vcc
	s_cbranch_execz .LBB845_495
; %bb.490:
	v_lshrrev_b32_e32 v14, 24, v17
	s_movk_i32 s7, 0x80
	v_cmp_ne_u32_e32 vcc, s7, v14
	v_mov_b32_e32 v27, 0xffff8000
	s_and_saveexec_b64 s[8:9], vcc
	s_cbranch_execz .LBB845_494
; %bb.491:
	v_bfe_u32 v17, v17, 24, 7
	s_movk_i32 s7, 0x7f
	v_cmp_ne_u32_e32 vcc, s7, v17
	v_mov_b32_e32 v27, 0x7f80
	s_and_saveexec_b64 s[10:11], vcc
	s_cbranch_execz .LBB845_493
; %bb.492:
	v_and_b32_e32 v27, 7, v14
	v_ffbh_u32_e32 v30, v27
	v_min_u32_e32 v32, 32, v30
	v_subrev_u32_e32 v30, 28, v32
	v_lshlrev_b64 v[30:31], v30, v[14:15]
	v_lshrrev_b32_e32 v29, 3, v17
	v_sub_u32_e32 v31, 29, v32
	v_and_b32_e32 v30, 7, v30
	v_cmp_gt_u32_e32 vcc, 8, v17
	v_cndmask_b32_e32 v17, v29, v31, vcc
	v_cndmask_b32_e32 v27, v27, v30, vcc
	v_lshlrev_b32_e32 v14, 24, v14
	v_bfrev_b32_e32 v29, 60
	v_lshlrev_b32_e32 v27, 20, v27
	v_and_b32_e32 v14, 0x80000000, v14
	v_lshl_add_u32 v17, v17, 23, v29
	v_or3_b32 v14, v14, v17, v27
	v_lshrrev_b32_e32 v27, 16, v14
.LBB845_493:
	s_or_b64 exec, exec, s[10:11]
.LBB845_494:
	s_or_b64 exec, exec, s[8:9]
.LBB845_495:
	s_or_b64 exec, exec, s[2:3]
	s_mov_b32 s2, 0x5040100
	v_perm_b32 v23, v23, v24, s2
	v_perm_b32 v22, v15, v22, s2
	ds_read_b128 v[30:33], v50 offset:16
	v_perm_b32 v15, v27, v28, s2
	v_perm_b32 v14, v16, v25, s2
	s_waitcnt lgkmcnt(0)
	v_mfma_f32_16x16x16bf16_1k v[34:37], v[22:23], v[30:31], v[18:21]
	s_nop 6
	v_mov_b32_e32 v19, 0
	s_waitcnt vmcnt(2)
	v_cmp_ne_u16_sdwa s[8:9], v10, v19 src0_sel:BYTE_0 src1_sel:DWORD
	v_mfma_f32_16x16x16bf16_1k v[14:17], v[14:15], v[32:33], v[34:37]
	v_mov_b32_e32 v20, 0
	s_and_saveexec_b64 s[2:3], s[8:9]
	s_cbranch_execz .LBB845_501
; %bb.496:
	s_movk_i32 s7, 0x80
	v_cmp_ne_u16_sdwa s[10:11], v10, s7 src0_sel:BYTE_0 src1_sel:DWORD
	v_mov_b32_e32 v20, 0xffff8000
	s_and_saveexec_b64 s[8:9], s[10:11]
	s_cbranch_execz .LBB845_500
; %bb.497:
	s_movk_i32 s7, 0x7f
	v_and_b32_e32 v18, 0x7f, v10
	v_cmp_ne_u32_e32 vcc, s7, v18
	v_mov_b32_e32 v20, 0x7f80
	s_and_saveexec_b64 s[10:11], vcc
	s_cbranch_execz .LBB845_499
; %bb.498:
	v_and_b32_e32 v22, 7, v10
	v_ffbh_u32_e32 v20, v22
	v_min_u32_e32 v24, 32, v20
	v_subrev_u32_e32 v20, 28, v24
	v_lshlrev_b64 v[20:21], v20, v[10:11]
	v_lshrrev_b32_e32 v23, 3, v18
	v_sub_u32_e32 v21, 29, v24
	v_and_b32_e32 v20, 7, v20
	v_cmp_gt_u32_e32 vcc, 8, v18
	v_cndmask_b32_e32 v18, v23, v21, vcc
	v_cndmask_b32_e32 v20, v22, v20, vcc
	v_lshlrev_b32_e32 v21, 24, v10
	v_bfrev_b32_e32 v22, 60
	v_lshlrev_b32_e32 v20, 20, v20
	v_and_b32_e32 v21, 0x80000000, v21
	v_lshl_add_u32 v18, v18, 23, v22
	v_or3_b32 v18, v21, v18, v20
	v_lshrrev_b32_e32 v20, 16, v18
.LBB845_499:
	s_or_b64 exec, exec, s[10:11]
.LBB845_500:
	s_or_b64 exec, exec, s[8:9]
.LBB845_501:
	s_or_b64 exec, exec, s[2:3]
	v_lshrrev_b16_e32 v18, 8, v10
	v_cmp_ne_u16_e32 vcc, 0, v18
	s_and_saveexec_b64 s[2:3], vcc
	s_cbranch_execz .LBB845_507
; %bb.502:
	s_movk_i32 s7, 0x80
	v_cmp_ne_u16_e32 vcc, s7, v18
	v_mov_b32_e32 v19, 0xffff8000
	s_and_saveexec_b64 s[8:9], vcc
	s_cbranch_execz .LBB845_506
; %bb.503:
	s_movk_i32 s7, 0x7f
	v_and_b32_e32 v21, 0x7f, v18
	v_cmp_ne_u32_e32 vcc, s7, v21
	v_mov_b32_e32 v19, 0x7f80
	s_and_saveexec_b64 s[10:11], vcc
	s_cbranch_execz .LBB845_505
; %bb.504:
	v_and_b32_e32 v22, 7, v18
	v_ffbh_u32_e32 v19, v22
	v_min_u32_e32 v24, 32, v19
	v_subrev_u32_e32 v19, 28, v24
	v_lshlrev_b64 v[18:19], v19, v[18:19]
	v_lshrrev_b32_e32 v23, 3, v21
	v_sub_u32_e32 v19, 29, v24
	v_and_b32_e32 v18, 7, v18
	v_cmp_gt_u32_e32 vcc, 8, v21
	v_cndmask_b32_e32 v19, v23, v19, vcc
	v_cndmask_b32_e32 v18, v22, v18, vcc
	v_lshlrev_b32_e32 v21, 16, v10
	v_bfrev_b32_e32 v22, 60
	v_lshlrev_b32_e32 v18, 20, v18
	v_and_b32_e32 v21, 0x80000000, v21
	v_lshl_add_u32 v19, v19, 23, v22
	v_or3_b32 v18, v21, v19, v18
	v_lshrrev_b32_e32 v19, 16, v18
.LBB845_505:
	s_or_b64 exec, exec, s[10:11]
.LBB845_506:
	s_or_b64 exec, exec, s[8:9]
.LBB845_507:
	s_or_b64 exec, exec, s[2:3]
	s_movk_i32 s2, 0xff
	v_and_b32_sdwa v23, v10, s2 dst_sel:DWORD dst_unused:UNUSED_PAD src0_sel:WORD_1 src1_sel:DWORD
	v_lshrrev_b32_e32 v18, 16, v10
	v_cmp_ne_u16_e32 vcc, 0, v23
	v_mov_b32_e32 v21, 0
	v_mov_b32_e32 v22, 0
	s_and_saveexec_b64 s[2:3], vcc
	s_cbranch_execz .LBB845_513
; %bb.508:
	s_movk_i32 s7, 0x80
	v_cmp_ne_u16_e32 vcc, s7, v23
	v_mov_b32_e32 v22, 0xffff8000
	s_and_saveexec_b64 s[8:9], vcc
	s_cbranch_execz .LBB845_512
; %bb.509:
	v_bfe_u32 v23, v10, 16, 7
	s_movk_i32 s7, 0x7f
	v_cmp_ne_u32_e32 vcc, s7, v23
	v_mov_b32_e32 v22, 0x7f80
	s_and_saveexec_b64 s[10:11], vcc
	s_cbranch_execz .LBB845_511
; %bb.510:
	v_and_b32_e32 v22, 7, v18
	v_ffbh_u32_e32 v24, v22
	v_min_u32_e32 v28, 32, v24
	v_subrev_u32_e32 v24, 28, v28
	v_lshlrev_b64 v[24:25], v24, v[18:19]
	v_lshrrev_b32_e32 v27, 3, v23
	v_sub_u32_e32 v18, 29, v28
	v_and_b32_e32 v24, 7, v24
	v_cmp_gt_u32_e32 vcc, 8, v23
	v_mov_b32_e32 v23, 24
	v_cndmask_b32_e32 v18, v27, v18, vcc
	v_cndmask_b32_e32 v22, v22, v24, vcc
	v_lshlrev_b32_sdwa v23, v23, v10 dst_sel:DWORD dst_unused:UNUSED_PAD src0_sel:DWORD src1_sel:WORD_1
	v_bfrev_b32_e32 v24, 60
	v_lshlrev_b32_e32 v22, 20, v22
	v_and_b32_e32 v23, 0x80000000, v23
	v_lshl_add_u32 v18, v18, 23, v24
	v_or3_b32 v18, v23, v18, v22
	v_lshrrev_b32_e32 v22, 16, v18
.LBB845_511:
	s_or_b64 exec, exec, s[10:11]
.LBB845_512:
	s_or_b64 exec, exec, s[8:9]
.LBB845_513:
	s_or_b64 exec, exec, s[2:3]
	s_mov_b32 s2, 0xffffff
	v_cmp_lt_u32_e32 vcc, s2, v10
	s_and_saveexec_b64 s[2:3], vcc
	s_cbranch_execz .LBB845_519
; %bb.514:
	v_lshrrev_b32_e32 v18, 24, v10
	s_movk_i32 s7, 0x80
	v_cmp_ne_u32_e32 vcc, s7, v18
	v_mov_b32_e32 v21, 0xffff8000
	s_and_saveexec_b64 s[8:9], vcc
	s_cbranch_execz .LBB845_518
; %bb.515:
	v_bfe_u32 v10, v10, 24, 7
	s_movk_i32 s7, 0x7f
	v_cmp_ne_u32_e32 vcc, s7, v10
	v_mov_b32_e32 v21, 0x7f80
	s_and_saveexec_b64 s[10:11], vcc
	s_cbranch_execz .LBB845_517
; %bb.516:
	v_and_b32_e32 v21, 7, v18
	v_ffbh_u32_e32 v24, v21
	v_min_u32_e32 v27, 32, v24
	v_subrev_u32_e32 v24, 28, v27
	v_lshlrev_b64 v[24:25], v24, v[18:19]
	v_lshrrev_b32_e32 v23, 3, v10
	v_sub_u32_e32 v25, 29, v27
	v_and_b32_e32 v24, 7, v24
	v_cmp_gt_u32_e32 vcc, 8, v10
	v_cndmask_b32_e32 v10, v23, v25, vcc
	v_cndmask_b32_e32 v21, v21, v24, vcc
	v_lshlrev_b32_e32 v18, 24, v18
	v_bfrev_b32_e32 v23, 60
	v_lshlrev_b32_e32 v21, 20, v21
	v_and_b32_e32 v18, 0x80000000, v18
	v_lshl_add_u32 v10, v10, 23, v23
	v_or3_b32 v10, v18, v10, v21
	v_lshrrev_b32_e32 v21, 16, v10
.LBB845_517:
	s_or_b64 exec, exec, s[10:11]
.LBB845_518:
	s_or_b64 exec, exec, s[8:9]
.LBB845_519:
	s_or_b64 exec, exec, s[2:3]
	v_mov_b32_e32 v18, 0
	v_cmp_ne_u16_sdwa s[8:9], v11, v18 src0_sel:BYTE_0 src1_sel:DWORD
	v_mov_b32_e32 v23, 0
	s_and_saveexec_b64 s[2:3], s[8:9]
	s_cbranch_execz .LBB845_525
; %bb.520:
	s_movk_i32 s7, 0x80
	v_cmp_ne_u16_sdwa s[10:11], v11, s7 src0_sel:BYTE_0 src1_sel:DWORD
	v_mov_b32_e32 v23, 0xffff8000
	s_and_saveexec_b64 s[8:9], s[10:11]
	s_cbranch_execz .LBB845_524
; %bb.521:
	s_movk_i32 s7, 0x7f
	v_and_b32_e32 v10, 0x7f, v11
	v_cmp_ne_u32_e32 vcc, s7, v10
	v_mov_b32_e32 v23, 0x7f80
	s_and_saveexec_b64 s[10:11], vcc
	s_cbranch_execz .LBB845_523
; %bb.522:
	v_and_b32_e32 v23, 7, v11
	v_ffbh_u32_e32 v25, v23
	v_min_u32_e32 v28, 32, v25
	v_mov_b32_e32 v24, v11
	v_subrev_u32_e32 v25, 28, v28
	v_lshlrev_b64 v[24:25], v25, v[24:25]
	v_lshrrev_b32_e32 v27, 3, v10
	v_sub_u32_e32 v25, 29, v28
	v_and_b32_e32 v24, 7, v24
	v_cmp_gt_u32_e32 vcc, 8, v10
	v_cndmask_b32_e32 v10, v27, v25, vcc
	v_cndmask_b32_e32 v23, v23, v24, vcc
	v_lshlrev_b32_e32 v24, 24, v11
	v_bfrev_b32_e32 v25, 60
	v_lshlrev_b32_e32 v23, 20, v23
	v_and_b32_e32 v24, 0x80000000, v24
	v_lshl_add_u32 v10, v10, 23, v25
	v_or3_b32 v10, v24, v10, v23
	v_lshrrev_b32_e32 v23, 16, v10
.LBB845_523:
	s_or_b64 exec, exec, s[10:11]
.LBB845_524:
	s_or_b64 exec, exec, s[8:9]
.LBB845_525:
	s_or_b64 exec, exec, s[2:3]
	v_lshrrev_b16_e32 v10, 8, v11
	v_cmp_ne_u16_e32 vcc, 0, v10
	s_and_saveexec_b64 s[2:3], vcc
	s_cbranch_execz .LBB845_531
; %bb.526:
	s_movk_i32 s7, 0x80
	v_cmp_ne_u16_e32 vcc, s7, v10
	v_mov_b32_e32 v18, 0xffff8000
	s_and_saveexec_b64 s[8:9], vcc
	s_cbranch_execz .LBB845_530
; %bb.527:
	s_movk_i32 s7, 0x7f
	v_and_b32_e32 v24, 0x7f, v10
	v_cmp_ne_u32_e32 vcc, s7, v24
	v_mov_b32_e32 v18, 0x7f80
	s_and_saveexec_b64 s[10:11], vcc
	s_cbranch_execz .LBB845_529
; %bb.528:
	v_and_b32_e32 v18, 7, v10
	v_ffbh_u32_e32 v27, v18
	v_min_u32_e32 v27, 32, v27
	v_subrev_u32_e32 v28, 28, v27
	v_lshlrev_b64 v[28:29], v28, v[10:11]
	v_lshrrev_b32_e32 v25, 3, v24
	v_sub_u32_e32 v10, 29, v27
	v_and_b32_e32 v27, 7, v28
	v_cmp_gt_u32_e32 vcc, 8, v24
	v_cndmask_b32_e32 v10, v25, v10, vcc
	v_cndmask_b32_e32 v18, v18, v27, vcc
	v_lshlrev_b32_e32 v24, 16, v11
	v_bfrev_b32_e32 v25, 60
	v_lshlrev_b32_e32 v18, 20, v18
	v_and_b32_e32 v24, 0x80000000, v24
	v_lshl_add_u32 v10, v10, 23, v25
	v_or3_b32 v10, v24, v10, v18
	v_lshrrev_b32_e32 v18, 16, v10
.LBB845_529:
	s_or_b64 exec, exec, s[10:11]
.LBB845_530:
	s_or_b64 exec, exec, s[8:9]
.LBB845_531:
	s_or_b64 exec, exec, s[2:3]
	s_movk_i32 s2, 0xff
	v_and_b32_sdwa v27, v11, s2 dst_sel:DWORD dst_unused:UNUSED_PAD src0_sel:WORD_1 src1_sel:DWORD
	v_lshrrev_b32_e32 v10, 16, v11
	v_cmp_ne_u16_e32 vcc, 0, v27
	v_mov_b32_e32 v24, 0
	v_mov_b32_e32 v25, 0
	s_and_saveexec_b64 s[2:3], vcc
	s_cbranch_execz .LBB845_537
; %bb.532:
	s_movk_i32 s7, 0x80
	v_cmp_ne_u16_e32 vcc, s7, v27
	v_mov_b32_e32 v25, 0xffff8000
	s_and_saveexec_b64 s[8:9], vcc
	s_cbranch_execz .LBB845_536
; %bb.533:
	v_bfe_u32 v27, v11, 16, 7
	s_movk_i32 s7, 0x7f
	v_cmp_ne_u32_e32 vcc, s7, v27
	v_mov_b32_e32 v25, 0x7f80
	s_and_saveexec_b64 s[10:11], vcc
	s_cbranch_execz .LBB845_535
; %bb.534:
	v_and_b32_e32 v25, 7, v10
	v_ffbh_u32_e32 v28, v25
	v_min_u32_e32 v31, 32, v28
	v_subrev_u32_e32 v28, 28, v31
	v_lshlrev_b64 v[28:29], v28, v[10:11]
	v_lshrrev_b32_e32 v30, 3, v27
	v_sub_u32_e32 v10, 29, v31
	v_and_b32_e32 v28, 7, v28
	v_cmp_gt_u32_e32 vcc, 8, v27
	v_mov_b32_e32 v27, 24
	v_cndmask_b32_e32 v10, v30, v10, vcc
	v_cndmask_b32_e32 v25, v25, v28, vcc
	v_lshlrev_b32_sdwa v27, v27, v11 dst_sel:DWORD dst_unused:UNUSED_PAD src0_sel:DWORD src1_sel:WORD_1
	v_bfrev_b32_e32 v28, 60
	v_lshlrev_b32_e32 v25, 20, v25
	v_and_b32_e32 v27, 0x80000000, v27
	v_lshl_add_u32 v10, v10, 23, v28
	v_or3_b32 v10, v27, v10, v25
	v_lshrrev_b32_e32 v25, 16, v10
.LBB845_535:
	s_or_b64 exec, exec, s[10:11]
.LBB845_536:
	s_or_b64 exec, exec, s[8:9]
.LBB845_537:
	s_or_b64 exec, exec, s[2:3]
	s_mov_b32 s2, 0xffffff
	v_cmp_lt_u32_e32 vcc, s2, v11
	s_and_saveexec_b64 s[2:3], vcc
	s_cbranch_execz .LBB845_543
; %bb.538:
	v_lshrrev_b32_e32 v10, 24, v11
	s_movk_i32 s7, 0x80
	v_cmp_ne_u32_e32 vcc, s7, v10
	v_mov_b32_e32 v24, 0xffff8000
	s_and_saveexec_b64 s[8:9], vcc
	s_cbranch_execz .LBB845_542
; %bb.539:
	v_bfe_u32 v11, v11, 24, 7
	s_movk_i32 s7, 0x7f
	v_cmp_ne_u32_e32 vcc, s7, v11
	v_mov_b32_e32 v24, 0x7f80
	s_and_saveexec_b64 s[10:11], vcc
	s_cbranch_execz .LBB845_541
; %bb.540:
	v_and_b32_e32 v24, 7, v10
	v_ffbh_u32_e32 v28, v24
	v_min_u32_e32 v30, 32, v28
	v_subrev_u32_e32 v28, 28, v30
	v_lshlrev_b64 v[28:29], v28, v[10:11]
	v_lshrrev_b32_e32 v27, 3, v11
	v_sub_u32_e32 v29, 29, v30
	v_and_b32_e32 v28, 7, v28
	v_cmp_gt_u32_e32 vcc, 8, v11
	v_cndmask_b32_e32 v11, v27, v29, vcc
	v_cndmask_b32_e32 v24, v24, v28, vcc
	v_lshlrev_b32_e32 v10, 24, v10
	v_bfrev_b32_e32 v27, 60
	v_lshlrev_b32_e32 v24, 20, v24
	v_and_b32_e32 v10, 0x80000000, v10
	v_lshl_add_u32 v11, v11, 23, v27
	v_or3_b32 v10, v10, v11, v24
	v_lshrrev_b32_e32 v24, 16, v10
.LBB845_541:
	s_or_b64 exec, exec, s[10:11]
.LBB845_542:
	s_or_b64 exec, exec, s[8:9]
.LBB845_543:
	s_or_b64 exec, exec, s[2:3]
	s_mov_b32 s2, 0x5040100
	v_perm_b32 v11, v21, v22, s2
	v_perm_b32 v10, v19, v20, s2
	ds_read_b128 v[28:31], v50 offset:2048
	v_perm_b32 v21, v24, v25, s2
	v_perm_b32 v20, v18, v23, s2
	s_waitcnt lgkmcnt(0)
	v_mfma_f32_16x16x16bf16_1k v[14:17], v[10:11], v[28:29], v[14:17]
	v_mov_b32_e32 v11, 0
	v_cmp_ne_u16_sdwa s[8:9], v12, v11 src0_sel:BYTE_0 src1_sel:DWORD
	v_mov_b32_e32 v18, 0
	v_mfma_f32_16x16x16bf16_1k v[14:17], v[20:21], v[30:31], v[14:17]
	s_and_saveexec_b64 s[2:3], s[8:9]
	s_cbranch_execz .LBB845_549
; %bb.544:
	s_movk_i32 s7, 0x80
	v_cmp_ne_u16_sdwa s[10:11], v12, s7 src0_sel:BYTE_0 src1_sel:DWORD
	v_mov_b32_e32 v18, 0xffff8000
	s_and_saveexec_b64 s[8:9], s[10:11]
	s_cbranch_execz .LBB845_548
; %bb.545:
	s_movk_i32 s7, 0x7f
	v_and_b32_e32 v10, 0x7f, v12
	v_cmp_ne_u32_e32 vcc, s7, v10
	v_mov_b32_e32 v18, 0x7f80
	s_and_saveexec_b64 s[10:11], vcc
	s_cbranch_execz .LBB845_547
; %bb.546:
	v_and_b32_e32 v20, 7, v12
	v_ffbh_u32_e32 v18, v20
	v_min_u32_e32 v22, 32, v18
	v_subrev_u32_e32 v18, 28, v22
	v_lshlrev_b64 v[18:19], v18, v[12:13]
	v_lshrrev_b32_e32 v21, 3, v10
	v_sub_u32_e32 v19, 29, v22
	v_and_b32_e32 v18, 7, v18
	v_cmp_gt_u32_e32 vcc, 8, v10
	v_cndmask_b32_e32 v10, v21, v19, vcc
	v_cndmask_b32_e32 v18, v20, v18, vcc
	v_lshlrev_b32_e32 v19, 24, v12
	v_bfrev_b32_e32 v20, 60
	v_lshlrev_b32_e32 v18, 20, v18
	v_and_b32_e32 v19, 0x80000000, v19
	v_lshl_add_u32 v10, v10, 23, v20
	v_or3_b32 v10, v19, v10, v18
	v_lshrrev_b32_e32 v18, 16, v10
.LBB845_547:
	s_or_b64 exec, exec, s[10:11]
.LBB845_548:
	s_or_b64 exec, exec, s[8:9]
.LBB845_549:
	s_or_b64 exec, exec, s[2:3]
	v_lshrrev_b16_e32 v10, 8, v12
	v_cmp_ne_u16_e32 vcc, 0, v10
	s_and_saveexec_b64 s[2:3], vcc
	s_cbranch_execz .LBB845_555
; %bb.550:
	s_movk_i32 s7, 0x80
	v_cmp_ne_u16_e32 vcc, s7, v10
	v_mov_b32_e32 v11, 0xffff8000
	s_and_saveexec_b64 s[8:9], vcc
	s_cbranch_execz .LBB845_554
; %bb.551:
	s_movk_i32 s7, 0x7f
	v_and_b32_e32 v19, 0x7f, v10
	v_cmp_ne_u32_e32 vcc, s7, v19
	v_mov_b32_e32 v11, 0x7f80
	s_and_saveexec_b64 s[10:11], vcc
	s_cbranch_execz .LBB845_553
; %bb.552:
	v_and_b32_e32 v20, 7, v10
	v_ffbh_u32_e32 v11, v20
	v_min_u32_e32 v22, 32, v11
	v_subrev_u32_e32 v11, 28, v22
	v_lshlrev_b64 v[10:11], v11, v[10:11]
	v_lshrrev_b32_e32 v21, 3, v19
	v_sub_u32_e32 v11, 29, v22
	v_and_b32_e32 v10, 7, v10
	v_cmp_gt_u32_e32 vcc, 8, v19
	v_cndmask_b32_e32 v11, v21, v11, vcc
	v_cndmask_b32_e32 v10, v20, v10, vcc
	v_lshlrev_b32_e32 v19, 16, v12
	v_bfrev_b32_e32 v20, 60
	v_lshlrev_b32_e32 v10, 20, v10
	v_and_b32_e32 v19, 0x80000000, v19
	v_lshl_add_u32 v11, v11, 23, v20
	v_or3_b32 v10, v19, v11, v10
	v_lshrrev_b32_e32 v11, 16, v10
.LBB845_553:
	s_or_b64 exec, exec, s[10:11]
.LBB845_554:
	s_or_b64 exec, exec, s[8:9]
.LBB845_555:
	s_or_b64 exec, exec, s[2:3]
	s_movk_i32 s2, 0xff
	v_and_b32_sdwa v21, v12, s2 dst_sel:DWORD dst_unused:UNUSED_PAD src0_sel:WORD_1 src1_sel:DWORD
	v_lshrrev_b32_e32 v10, 16, v12
	v_cmp_ne_u16_e32 vcc, 0, v21
	v_mov_b32_e32 v19, 0
	v_mov_b32_e32 v20, 0
	s_and_saveexec_b64 s[2:3], vcc
	s_cbranch_execz .LBB845_561
; %bb.556:
	s_movk_i32 s7, 0x80
	v_cmp_ne_u16_e32 vcc, s7, v21
	v_mov_b32_e32 v20, 0xffff8000
	s_and_saveexec_b64 s[8:9], vcc
	s_cbranch_execz .LBB845_560
; %bb.557:
	v_bfe_u32 v21, v12, 16, 7
	s_movk_i32 s7, 0x7f
	v_cmp_ne_u32_e32 vcc, s7, v21
	v_mov_b32_e32 v20, 0x7f80
	s_and_saveexec_b64 s[10:11], vcc
	s_cbranch_execz .LBB845_559
; %bb.558:
	v_and_b32_e32 v20, 7, v10
	v_ffbh_u32_e32 v22, v20
	v_min_u32_e32 v25, 32, v22
	v_subrev_u32_e32 v22, 28, v25
	v_lshlrev_b64 v[22:23], v22, v[10:11]
	v_lshrrev_b32_e32 v24, 3, v21
	v_sub_u32_e32 v10, 29, v25
	v_and_b32_e32 v22, 7, v22
	v_cmp_gt_u32_e32 vcc, 8, v21
	v_mov_b32_e32 v21, 24
	v_cndmask_b32_e32 v10, v24, v10, vcc
	v_cndmask_b32_e32 v20, v20, v22, vcc
	v_lshlrev_b32_sdwa v21, v21, v12 dst_sel:DWORD dst_unused:UNUSED_PAD src0_sel:DWORD src1_sel:WORD_1
	v_bfrev_b32_e32 v22, 60
	v_lshlrev_b32_e32 v20, 20, v20
	v_and_b32_e32 v21, 0x80000000, v21
	v_lshl_add_u32 v10, v10, 23, v22
	v_or3_b32 v10, v21, v10, v20
	v_lshrrev_b32_e32 v20, 16, v10
.LBB845_559:
	s_or_b64 exec, exec, s[10:11]
.LBB845_560:
	s_or_b64 exec, exec, s[8:9]
.LBB845_561:
	s_or_b64 exec, exec, s[2:3]
	s_mov_b32 s2, 0xffffff
	v_cmp_lt_u32_e32 vcc, s2, v12
	s_and_saveexec_b64 s[2:3], vcc
	s_cbranch_execz .LBB845_567
; %bb.562:
	v_lshrrev_b32_e32 v10, 24, v12
	s_movk_i32 s7, 0x80
	v_cmp_ne_u32_e32 vcc, s7, v10
	v_mov_b32_e32 v19, 0xffff8000
	s_and_saveexec_b64 s[8:9], vcc
	s_cbranch_execz .LBB845_566
; %bb.563:
	v_bfe_u32 v12, v12, 24, 7
	s_movk_i32 s7, 0x7f
	v_cmp_ne_u32_e32 vcc, s7, v12
	v_mov_b32_e32 v19, 0x7f80
	s_and_saveexec_b64 s[10:11], vcc
	s_cbranch_execz .LBB845_565
; %bb.564:
	v_and_b32_e32 v19, 7, v10
	v_ffbh_u32_e32 v22, v19
	v_min_u32_e32 v24, 32, v22
	v_subrev_u32_e32 v22, 28, v24
	v_lshlrev_b64 v[22:23], v22, v[10:11]
	v_lshrrev_b32_e32 v21, 3, v12
	v_sub_u32_e32 v23, 29, v24
	v_and_b32_e32 v22, 7, v22
	v_cmp_gt_u32_e32 vcc, 8, v12
	v_cndmask_b32_e32 v12, v21, v23, vcc
	v_cndmask_b32_e32 v19, v19, v22, vcc
	v_lshlrev_b32_e32 v10, 24, v10
	v_bfrev_b32_e32 v21, 60
	v_lshlrev_b32_e32 v19, 20, v19
	v_and_b32_e32 v10, 0x80000000, v10
	v_lshl_add_u32 v12, v12, 23, v21
	v_or3_b32 v10, v10, v12, v19
	v_lshrrev_b32_e32 v19, 16, v10
.LBB845_565:
	s_or_b64 exec, exec, s[10:11]
.LBB845_566:
	s_or_b64 exec, exec, s[8:9]
.LBB845_567:
	s_or_b64 exec, exec, s[2:3]
	v_mov_b32_e32 v12, 0
	v_cmp_ne_u16_sdwa s[8:9], v13, v12 src0_sel:BYTE_0 src1_sel:DWORD
	v_mov_b32_e32 v21, 0
	s_and_saveexec_b64 s[2:3], s[8:9]
	s_cbranch_execz .LBB845_573
; %bb.568:
	s_movk_i32 s7, 0x80
	v_cmp_ne_u16_sdwa s[10:11], v13, s7 src0_sel:BYTE_0 src1_sel:DWORD
	v_mov_b32_e32 v21, 0xffff8000
	s_and_saveexec_b64 s[8:9], s[10:11]
	s_cbranch_execz .LBB845_572
; %bb.569:
	s_movk_i32 s7, 0x7f
	v_and_b32_e32 v10, 0x7f, v13
	v_cmp_ne_u32_e32 vcc, s7, v10
	v_mov_b32_e32 v21, 0x7f80
	s_and_saveexec_b64 s[10:11], vcc
	s_cbranch_execz .LBB845_571
; %bb.570:
	v_and_b32_e32 v21, 7, v13
	v_ffbh_u32_e32 v23, v21
	v_min_u32_e32 v25, 32, v23
	v_mov_b32_e32 v22, v13
	v_subrev_u32_e32 v23, 28, v25
	v_lshlrev_b64 v[22:23], v23, v[22:23]
	v_lshrrev_b32_e32 v24, 3, v10
	v_sub_u32_e32 v23, 29, v25
	v_and_b32_e32 v22, 7, v22
	v_cmp_gt_u32_e32 vcc, 8, v10
	v_cndmask_b32_e32 v10, v24, v23, vcc
	v_cndmask_b32_e32 v21, v21, v22, vcc
	v_lshlrev_b32_e32 v22, 24, v13
	v_bfrev_b32_e32 v23, 60
	v_lshlrev_b32_e32 v21, 20, v21
	v_and_b32_e32 v22, 0x80000000, v22
	v_lshl_add_u32 v10, v10, 23, v23
	v_or3_b32 v10, v22, v10, v21
	v_lshrrev_b32_e32 v21, 16, v10
.LBB845_571:
	s_or_b64 exec, exec, s[10:11]
.LBB845_572:
	s_or_b64 exec, exec, s[8:9]
.LBB845_573:
	s_or_b64 exec, exec, s[2:3]
	v_lshrrev_b16_e32 v10, 8, v13
	v_cmp_ne_u16_e32 vcc, 0, v10
	s_and_saveexec_b64 s[2:3], vcc
	s_cbranch_execz .LBB845_579
; %bb.574:
	s_movk_i32 s7, 0x80
	v_cmp_ne_u16_e32 vcc, s7, v10
	v_mov_b32_e32 v12, 0xffff8000
	s_and_saveexec_b64 s[8:9], vcc
	s_cbranch_execz .LBB845_578
; %bb.575:
	s_movk_i32 s7, 0x7f
	v_and_b32_e32 v22, 0x7f, v10
	v_cmp_ne_u32_e32 vcc, s7, v22
	v_mov_b32_e32 v12, 0x7f80
	s_and_saveexec_b64 s[10:11], vcc
	s_cbranch_execz .LBB845_577
; %bb.576:
	v_and_b32_e32 v12, 7, v10
	v_ffbh_u32_e32 v24, v12
	v_min_u32_e32 v27, 32, v24
	v_subrev_u32_e32 v24, 28, v27
	v_lshlrev_b64 v[24:25], v24, v[10:11]
	v_lshrrev_b32_e32 v23, 3, v22
	v_sub_u32_e32 v10, 29, v27
	v_and_b32_e32 v24, 7, v24
	v_cmp_gt_u32_e32 vcc, 8, v22
	v_cndmask_b32_e32 v10, v23, v10, vcc
	v_cndmask_b32_e32 v12, v12, v24, vcc
	v_lshlrev_b32_e32 v22, 16, v13
	v_bfrev_b32_e32 v23, 60
	v_lshlrev_b32_e32 v12, 20, v12
	v_and_b32_e32 v22, 0x80000000, v22
	v_lshl_add_u32 v10, v10, 23, v23
	v_or3_b32 v10, v22, v10, v12
	v_lshrrev_b32_e32 v12, 16, v10
.LBB845_577:
	s_or_b64 exec, exec, s[10:11]
.LBB845_578:
	s_or_b64 exec, exec, s[8:9]
.LBB845_579:
	s_or_b64 exec, exec, s[2:3]
	s_movk_i32 s2, 0xff
	v_and_b32_sdwa v24, v13, s2 dst_sel:DWORD dst_unused:UNUSED_PAD src0_sel:WORD_1 src1_sel:DWORD
	v_lshrrev_b32_e32 v10, 16, v13
	v_cmp_ne_u16_e32 vcc, 0, v24
	v_mov_b32_e32 v22, 0
	v_mov_b32_e32 v23, 0
	s_and_saveexec_b64 s[2:3], vcc
	s_cbranch_execz .LBB845_585
; %bb.580:
	s_movk_i32 s7, 0x80
	v_cmp_ne_u16_e32 vcc, s7, v24
	v_mov_b32_e32 v23, 0xffff8000
	s_and_saveexec_b64 s[8:9], vcc
	s_cbranch_execz .LBB845_584
; %bb.581:
	v_bfe_u32 v24, v13, 16, 7
	s_movk_i32 s7, 0x7f
	v_cmp_ne_u32_e32 vcc, s7, v24
	v_mov_b32_e32 v23, 0x7f80
	s_and_saveexec_b64 s[10:11], vcc
	s_cbranch_execz .LBB845_583
; %bb.582:
	v_and_b32_e32 v23, 7, v10
	v_ffbh_u32_e32 v27, v23
	v_min_u32_e32 v27, 32, v27
	v_subrev_u32_e32 v28, 28, v27
	v_lshlrev_b64 v[28:29], v28, v[10:11]
	v_lshrrev_b32_e32 v25, 3, v24
	v_sub_u32_e32 v10, 29, v27
	v_and_b32_e32 v27, 7, v28
	v_cmp_gt_u32_e32 vcc, 8, v24
	v_mov_b32_e32 v24, 24
	v_cndmask_b32_e32 v10, v25, v10, vcc
	v_cndmask_b32_e32 v23, v23, v27, vcc
	v_lshlrev_b32_sdwa v24, v24, v13 dst_sel:DWORD dst_unused:UNUSED_PAD src0_sel:DWORD src1_sel:WORD_1
	v_bfrev_b32_e32 v25, 60
	v_lshlrev_b32_e32 v23, 20, v23
	v_and_b32_e32 v24, 0x80000000, v24
	v_lshl_add_u32 v10, v10, 23, v25
	v_or3_b32 v10, v24, v10, v23
	v_lshrrev_b32_e32 v23, 16, v10
.LBB845_583:
	s_or_b64 exec, exec, s[10:11]
.LBB845_584:
	s_or_b64 exec, exec, s[8:9]
.LBB845_585:
	s_or_b64 exec, exec, s[2:3]
	s_mov_b32 s2, 0xffffff
	v_cmp_lt_u32_e32 vcc, s2, v13
	s_and_saveexec_b64 s[2:3], vcc
	s_cbranch_execz .LBB845_591
; %bb.586:
	v_lshrrev_b32_e32 v10, 24, v13
	s_movk_i32 s7, 0x80
	v_cmp_ne_u32_e32 vcc, s7, v10
	v_mov_b32_e32 v22, 0xffff8000
	s_and_saveexec_b64 s[8:9], vcc
	s_cbranch_execz .LBB845_590
; %bb.587:
	v_bfe_u32 v13, v13, 24, 7
	s_movk_i32 s7, 0x7f
	v_cmp_ne_u32_e32 vcc, s7, v13
	v_mov_b32_e32 v22, 0x7f80
	s_and_saveexec_b64 s[10:11], vcc
	s_cbranch_execz .LBB845_589
; %bb.588:
	v_and_b32_e32 v22, 7, v10
	v_ffbh_u32_e32 v24, v22
	v_min_u32_e32 v28, 32, v24
	v_subrev_u32_e32 v24, 28, v28
	v_lshlrev_b64 v[24:25], v24, v[10:11]
	v_lshrrev_b32_e32 v27, 3, v13
	v_sub_u32_e32 v25, 29, v28
	v_and_b32_e32 v24, 7, v24
	v_cmp_gt_u32_e32 vcc, 8, v13
	v_cndmask_b32_e32 v13, v27, v25, vcc
	v_cndmask_b32_e32 v22, v22, v24, vcc
	v_lshlrev_b32_e32 v10, 24, v10
	v_bfrev_b32_e32 v24, 60
	v_lshlrev_b32_e32 v22, 20, v22
	v_and_b32_e32 v10, 0x80000000, v10
	v_lshl_add_u32 v13, v13, 23, v24
	v_or3_b32 v10, v10, v13, v22
	v_lshrrev_b32_e32 v22, 16, v10
.LBB845_589:
	s_or_b64 exec, exec, s[10:11]
.LBB845_590:
	s_or_b64 exec, exec, s[8:9]
.LBB845_591:
	s_or_b64 exec, exec, s[2:3]
	s_mov_b32 s2, 0x5040100
	v_perm_b32 v19, v19, v20, s2
	v_perm_b32 v18, v11, v18, s2
	ds_read_b128 v[28:31], v50 offset:2064
	v_perm_b32 v11, v22, v23, s2
	v_perm_b32 v10, v12, v21, s2
	s_waitcnt lgkmcnt(0)
	v_mfma_f32_16x16x16bf16_1k v[32:35], v[18:19], v[28:29], v[14:17]
	s_nop 6
	v_mov_b32_e32 v15, 0
	s_waitcnt vmcnt(1)
	v_cmp_ne_u16_sdwa s[8:9], v6, v15 src0_sel:BYTE_0 src1_sel:DWORD
	v_mfma_f32_16x16x16bf16_1k v[10:13], v[10:11], v[30:31], v[32:35]
	v_mov_b32_e32 v16, 0
	s_and_saveexec_b64 s[2:3], s[8:9]
	s_cbranch_execz .LBB845_597
; %bb.592:
	s_movk_i32 s7, 0x80
	v_cmp_ne_u16_sdwa s[10:11], v6, s7 src0_sel:BYTE_0 src1_sel:DWORD
	v_mov_b32_e32 v16, 0xffff8000
	s_and_saveexec_b64 s[8:9], s[10:11]
	s_cbranch_execz .LBB845_596
; %bb.593:
	s_movk_i32 s7, 0x7f
	v_and_b32_e32 v14, 0x7f, v6
	v_cmp_ne_u32_e32 vcc, s7, v14
	v_mov_b32_e32 v16, 0x7f80
	s_and_saveexec_b64 s[10:11], vcc
	s_cbranch_execz .LBB845_595
; %bb.594:
	v_and_b32_e32 v18, 7, v6
	v_ffbh_u32_e32 v16, v18
	v_min_u32_e32 v20, 32, v16
	v_subrev_u32_e32 v16, 28, v20
	v_lshlrev_b64 v[16:17], v16, v[6:7]
	v_lshrrev_b32_e32 v19, 3, v14
	v_sub_u32_e32 v17, 29, v20
	v_and_b32_e32 v16, 7, v16
	v_cmp_gt_u32_e32 vcc, 8, v14
	v_cndmask_b32_e32 v14, v19, v17, vcc
	v_cndmask_b32_e32 v16, v18, v16, vcc
	v_lshlrev_b32_e32 v17, 24, v6
	v_bfrev_b32_e32 v18, 60
	v_lshlrev_b32_e32 v16, 20, v16
	v_and_b32_e32 v17, 0x80000000, v17
	v_lshl_add_u32 v14, v14, 23, v18
	v_or3_b32 v14, v17, v14, v16
	v_lshrrev_b32_e32 v16, 16, v14
.LBB845_595:
	s_or_b64 exec, exec, s[10:11]
.LBB845_596:
	s_or_b64 exec, exec, s[8:9]
.LBB845_597:
	s_or_b64 exec, exec, s[2:3]
	v_lshrrev_b16_e32 v14, 8, v6
	v_cmp_ne_u16_e32 vcc, 0, v14
	s_and_saveexec_b64 s[2:3], vcc
	s_cbranch_execz .LBB845_603
; %bb.598:
	s_movk_i32 s7, 0x80
	v_cmp_ne_u16_e32 vcc, s7, v14
	v_mov_b32_e32 v15, 0xffff8000
	s_and_saveexec_b64 s[8:9], vcc
	s_cbranch_execz .LBB845_602
; %bb.599:
	s_movk_i32 s7, 0x7f
	v_and_b32_e32 v17, 0x7f, v14
	v_cmp_ne_u32_e32 vcc, s7, v17
	v_mov_b32_e32 v15, 0x7f80
	s_and_saveexec_b64 s[10:11], vcc
	s_cbranch_execz .LBB845_601
; %bb.600:
	v_and_b32_e32 v18, 7, v14
	v_ffbh_u32_e32 v15, v18
	v_min_u32_e32 v20, 32, v15
	v_subrev_u32_e32 v15, 28, v20
	v_lshlrev_b64 v[14:15], v15, v[14:15]
	v_lshrrev_b32_e32 v19, 3, v17
	v_sub_u32_e32 v15, 29, v20
	v_and_b32_e32 v14, 7, v14
	v_cmp_gt_u32_e32 vcc, 8, v17
	v_cndmask_b32_e32 v15, v19, v15, vcc
	v_cndmask_b32_e32 v14, v18, v14, vcc
	v_lshlrev_b32_e32 v17, 16, v6
	v_bfrev_b32_e32 v18, 60
	v_lshlrev_b32_e32 v14, 20, v14
	v_and_b32_e32 v17, 0x80000000, v17
	v_lshl_add_u32 v15, v15, 23, v18
	v_or3_b32 v14, v17, v15, v14
	v_lshrrev_b32_e32 v15, 16, v14
.LBB845_601:
	s_or_b64 exec, exec, s[10:11]
.LBB845_602:
	s_or_b64 exec, exec, s[8:9]
.LBB845_603:
	s_or_b64 exec, exec, s[2:3]
	s_movk_i32 s2, 0xff
	v_and_b32_sdwa v19, v6, s2 dst_sel:DWORD dst_unused:UNUSED_PAD src0_sel:WORD_1 src1_sel:DWORD
	v_lshrrev_b32_e32 v14, 16, v6
	v_cmp_ne_u16_e32 vcc, 0, v19
	v_mov_b32_e32 v17, 0
	v_mov_b32_e32 v18, 0
	s_and_saveexec_b64 s[2:3], vcc
	s_cbranch_execz .LBB845_609
; %bb.604:
	s_movk_i32 s7, 0x80
	v_cmp_ne_u16_e32 vcc, s7, v19
	v_mov_b32_e32 v18, 0xffff8000
	s_and_saveexec_b64 s[8:9], vcc
	s_cbranch_execz .LBB845_608
; %bb.605:
	v_bfe_u32 v19, v6, 16, 7
	s_movk_i32 s7, 0x7f
	v_cmp_ne_u32_e32 vcc, s7, v19
	v_mov_b32_e32 v18, 0x7f80
	s_and_saveexec_b64 s[10:11], vcc
	s_cbranch_execz .LBB845_607
; %bb.606:
	v_and_b32_e32 v18, 7, v14
	v_ffbh_u32_e32 v20, v18
	v_min_u32_e32 v23, 32, v20
	v_subrev_u32_e32 v20, 28, v23
	v_lshlrev_b64 v[20:21], v20, v[14:15]
	v_lshrrev_b32_e32 v22, 3, v19
	v_sub_u32_e32 v14, 29, v23
	v_and_b32_e32 v20, 7, v20
	v_cmp_gt_u32_e32 vcc, 8, v19
	v_mov_b32_e32 v19, 24
	v_cndmask_b32_e32 v14, v22, v14, vcc
	v_cndmask_b32_e32 v18, v18, v20, vcc
	v_lshlrev_b32_sdwa v19, v19, v6 dst_sel:DWORD dst_unused:UNUSED_PAD src0_sel:DWORD src1_sel:WORD_1
	v_bfrev_b32_e32 v20, 60
	v_lshlrev_b32_e32 v18, 20, v18
	v_and_b32_e32 v19, 0x80000000, v19
	v_lshl_add_u32 v14, v14, 23, v20
	v_or3_b32 v14, v19, v14, v18
	v_lshrrev_b32_e32 v18, 16, v14
.LBB845_607:
	s_or_b64 exec, exec, s[10:11]
.LBB845_608:
	s_or_b64 exec, exec, s[8:9]
.LBB845_609:
	s_or_b64 exec, exec, s[2:3]
	s_mov_b32 s2, 0xffffff
	v_cmp_lt_u32_e32 vcc, s2, v6
	s_and_saveexec_b64 s[2:3], vcc
	s_cbranch_execz .LBB845_615
; %bb.610:
	v_lshrrev_b32_e32 v14, 24, v6
	s_movk_i32 s7, 0x80
	v_cmp_ne_u32_e32 vcc, s7, v14
	v_mov_b32_e32 v17, 0xffff8000
	s_and_saveexec_b64 s[8:9], vcc
	s_cbranch_execz .LBB845_614
; %bb.611:
	v_bfe_u32 v6, v6, 24, 7
	s_movk_i32 s7, 0x7f
	v_cmp_ne_u32_e32 vcc, s7, v6
	v_mov_b32_e32 v17, 0x7f80
	s_and_saveexec_b64 s[10:11], vcc
	s_cbranch_execz .LBB845_613
; %bb.612:
	v_and_b32_e32 v17, 7, v14
	v_ffbh_u32_e32 v20, v17
	v_min_u32_e32 v22, 32, v20
	v_subrev_u32_e32 v20, 28, v22
	v_lshlrev_b64 v[20:21], v20, v[14:15]
	v_lshrrev_b32_e32 v19, 3, v6
	v_sub_u32_e32 v21, 29, v22
	v_and_b32_e32 v20, 7, v20
	v_cmp_gt_u32_e32 vcc, 8, v6
	v_cndmask_b32_e32 v6, v19, v21, vcc
	v_cndmask_b32_e32 v17, v17, v20, vcc
	v_lshlrev_b32_e32 v14, 24, v14
	v_bfrev_b32_e32 v19, 60
	v_lshlrev_b32_e32 v17, 20, v17
	v_and_b32_e32 v14, 0x80000000, v14
	v_lshl_add_u32 v6, v6, 23, v19
	v_or3_b32 v6, v14, v6, v17
	v_lshrrev_b32_e32 v17, 16, v6
.LBB845_613:
	s_or_b64 exec, exec, s[10:11]
.LBB845_614:
	s_or_b64 exec, exec, s[8:9]
.LBB845_615:
	s_or_b64 exec, exec, s[2:3]
	v_mov_b32_e32 v14, 0
	v_cmp_ne_u16_sdwa s[8:9], v7, v14 src0_sel:BYTE_0 src1_sel:DWORD
	v_mov_b32_e32 v19, 0
	s_and_saveexec_b64 s[2:3], s[8:9]
	s_cbranch_execz .LBB845_621
; %bb.616:
	s_movk_i32 s7, 0x80
	v_cmp_ne_u16_sdwa s[10:11], v7, s7 src0_sel:BYTE_0 src1_sel:DWORD
	v_mov_b32_e32 v19, 0xffff8000
	s_and_saveexec_b64 s[8:9], s[10:11]
	s_cbranch_execz .LBB845_620
; %bb.617:
	s_movk_i32 s7, 0x7f
	v_and_b32_e32 v6, 0x7f, v7
	v_cmp_ne_u32_e32 vcc, s7, v6
	v_mov_b32_e32 v19, 0x7f80
	s_and_saveexec_b64 s[10:11], vcc
	s_cbranch_execz .LBB845_619
; %bb.618:
	v_and_b32_e32 v19, 7, v7
	v_ffbh_u32_e32 v21, v19
	v_min_u32_e32 v23, 32, v21
	v_mov_b32_e32 v20, v7
	v_subrev_u32_e32 v21, 28, v23
	v_lshlrev_b64 v[20:21], v21, v[20:21]
	v_lshrrev_b32_e32 v22, 3, v6
	v_sub_u32_e32 v21, 29, v23
	v_and_b32_e32 v20, 7, v20
	v_cmp_gt_u32_e32 vcc, 8, v6
	v_cndmask_b32_e32 v6, v22, v21, vcc
	v_cndmask_b32_e32 v19, v19, v20, vcc
	v_lshlrev_b32_e32 v20, 24, v7
	v_bfrev_b32_e32 v21, 60
	v_lshlrev_b32_e32 v19, 20, v19
	v_and_b32_e32 v20, 0x80000000, v20
	v_lshl_add_u32 v6, v6, 23, v21
	v_or3_b32 v6, v20, v6, v19
	v_lshrrev_b32_e32 v19, 16, v6
.LBB845_619:
	s_or_b64 exec, exec, s[10:11]
.LBB845_620:
	s_or_b64 exec, exec, s[8:9]
.LBB845_621:
	s_or_b64 exec, exec, s[2:3]
	v_lshrrev_b16_e32 v6, 8, v7
	v_cmp_ne_u16_e32 vcc, 0, v6
	s_and_saveexec_b64 s[2:3], vcc
	s_cbranch_execz .LBB845_627
; %bb.622:
	s_movk_i32 s7, 0x80
	v_cmp_ne_u16_e32 vcc, s7, v6
	v_mov_b32_e32 v14, 0xffff8000
	s_and_saveexec_b64 s[8:9], vcc
	s_cbranch_execz .LBB845_626
; %bb.623:
	s_movk_i32 s7, 0x7f
	v_and_b32_e32 v20, 0x7f, v6
	v_cmp_ne_u32_e32 vcc, s7, v20
	v_mov_b32_e32 v14, 0x7f80
	s_and_saveexec_b64 s[10:11], vcc
	s_cbranch_execz .LBB845_625
; %bb.624:
	v_and_b32_e32 v14, 7, v6
	v_ffbh_u32_e32 v22, v14
	v_min_u32_e32 v24, 32, v22
	v_subrev_u32_e32 v22, 28, v24
	v_lshlrev_b64 v[22:23], v22, v[6:7]
	v_lshrrev_b32_e32 v21, 3, v20
	v_sub_u32_e32 v6, 29, v24
	v_and_b32_e32 v22, 7, v22
	v_cmp_gt_u32_e32 vcc, 8, v20
	v_cndmask_b32_e32 v6, v21, v6, vcc
	v_cndmask_b32_e32 v14, v14, v22, vcc
	v_lshlrev_b32_e32 v20, 16, v7
	v_bfrev_b32_e32 v21, 60
	v_lshlrev_b32_e32 v14, 20, v14
	v_and_b32_e32 v20, 0x80000000, v20
	v_lshl_add_u32 v6, v6, 23, v21
	v_or3_b32 v6, v20, v6, v14
	v_lshrrev_b32_e32 v14, 16, v6
.LBB845_625:
	s_or_b64 exec, exec, s[10:11]
.LBB845_626:
	s_or_b64 exec, exec, s[8:9]
.LBB845_627:
	s_or_b64 exec, exec, s[2:3]
	s_movk_i32 s2, 0xff
	v_and_b32_sdwa v22, v7, s2 dst_sel:DWORD dst_unused:UNUSED_PAD src0_sel:WORD_1 src1_sel:DWORD
	v_lshrrev_b32_e32 v6, 16, v7
	v_cmp_ne_u16_e32 vcc, 0, v22
	v_mov_b32_e32 v20, 0
	v_mov_b32_e32 v21, 0
	s_and_saveexec_b64 s[2:3], vcc
	s_cbranch_execz .LBB845_633
; %bb.628:
	s_movk_i32 s7, 0x80
	v_cmp_ne_u16_e32 vcc, s7, v22
	v_mov_b32_e32 v21, 0xffff8000
	s_and_saveexec_b64 s[8:9], vcc
	s_cbranch_execz .LBB845_632
; %bb.629:
	v_bfe_u32 v22, v7, 16, 7
	s_movk_i32 s7, 0x7f
	v_cmp_ne_u32_e32 vcc, s7, v22
	v_mov_b32_e32 v21, 0x7f80
	s_and_saveexec_b64 s[10:11], vcc
	s_cbranch_execz .LBB845_631
; %bb.630:
	v_and_b32_e32 v21, 7, v6
	v_ffbh_u32_e32 v24, v21
	v_min_u32_e32 v27, 32, v24
	v_subrev_u32_e32 v24, 28, v27
	v_lshlrev_b64 v[24:25], v24, v[6:7]
	v_lshrrev_b32_e32 v23, 3, v22
	v_sub_u32_e32 v6, 29, v27
	v_and_b32_e32 v24, 7, v24
	v_cmp_gt_u32_e32 vcc, 8, v22
	v_mov_b32_e32 v22, 24
	v_cndmask_b32_e32 v6, v23, v6, vcc
	v_cndmask_b32_e32 v21, v21, v24, vcc
	v_lshlrev_b32_sdwa v22, v22, v7 dst_sel:DWORD dst_unused:UNUSED_PAD src0_sel:DWORD src1_sel:WORD_1
	v_bfrev_b32_e32 v23, 60
	v_lshlrev_b32_e32 v21, 20, v21
	v_and_b32_e32 v22, 0x80000000, v22
	v_lshl_add_u32 v6, v6, 23, v23
	v_or3_b32 v6, v22, v6, v21
	v_lshrrev_b32_e32 v21, 16, v6
.LBB845_631:
	s_or_b64 exec, exec, s[10:11]
.LBB845_632:
	s_or_b64 exec, exec, s[8:9]
.LBB845_633:
	s_or_b64 exec, exec, s[2:3]
	s_mov_b32 s2, 0xffffff
	v_cmp_lt_u32_e32 vcc, s2, v7
	s_and_saveexec_b64 s[2:3], vcc
	s_cbranch_execz .LBB845_639
; %bb.634:
	v_lshrrev_b32_e32 v6, 24, v7
	s_movk_i32 s7, 0x80
	v_cmp_ne_u32_e32 vcc, s7, v6
	v_mov_b32_e32 v20, 0xffff8000
	s_and_saveexec_b64 s[8:9], vcc
	s_cbranch_execz .LBB845_638
; %bb.635:
	v_bfe_u32 v7, v7, 24, 7
	s_movk_i32 s7, 0x7f
	v_cmp_ne_u32_e32 vcc, s7, v7
	v_mov_b32_e32 v20, 0x7f80
	s_and_saveexec_b64 s[10:11], vcc
	s_cbranch_execz .LBB845_637
; %bb.636:
	v_and_b32_e32 v20, 7, v6
	v_ffbh_u32_e32 v22, v20
	v_min_u32_e32 v25, 32, v22
	v_subrev_u32_e32 v22, 28, v25
	v_lshlrev_b64 v[22:23], v22, v[6:7]
	v_lshrrev_b32_e32 v24, 3, v7
	v_sub_u32_e32 v23, 29, v25
	v_and_b32_e32 v22, 7, v22
	v_cmp_gt_u32_e32 vcc, 8, v7
	v_cndmask_b32_e32 v7, v24, v23, vcc
	v_cndmask_b32_e32 v20, v20, v22, vcc
	v_lshlrev_b32_e32 v6, 24, v6
	v_bfrev_b32_e32 v22, 60
	v_lshlrev_b32_e32 v20, 20, v20
	v_and_b32_e32 v6, 0x80000000, v6
	v_lshl_add_u32 v7, v7, 23, v22
	v_or3_b32 v6, v6, v7, v20
	v_lshrrev_b32_e32 v20, 16, v6
.LBB845_637:
	s_or_b64 exec, exec, s[10:11]
.LBB845_638:
	s_or_b64 exec, exec, s[8:9]
.LBB845_639:
	s_or_b64 exec, exec, s[2:3]
	s_mov_b32 s2, 0x5040100
	v_perm_b32 v7, v17, v18, s2
	v_perm_b32 v6, v15, v16, s2
	ds_read_b128 v[22:25], v50 offset:4096
	v_perm_b32 v17, v20, v21, s2
	v_perm_b32 v16, v14, v19, s2
	s_waitcnt lgkmcnt(0)
	v_mfma_f32_16x16x16bf16_1k v[10:13], v[6:7], v[22:23], v[10:13]
	v_mov_b32_e32 v7, 0
	v_cmp_ne_u16_sdwa s[8:9], v8, v7 src0_sel:BYTE_0 src1_sel:DWORD
	v_mov_b32_e32 v14, 0
	v_mfma_f32_16x16x16bf16_1k v[10:13], v[16:17], v[24:25], v[10:13]
	s_and_saveexec_b64 s[2:3], s[8:9]
	s_cbranch_execz .LBB845_645
; %bb.640:
	s_movk_i32 s7, 0x80
	v_cmp_ne_u16_sdwa s[10:11], v8, s7 src0_sel:BYTE_0 src1_sel:DWORD
	v_mov_b32_e32 v14, 0xffff8000
	s_and_saveexec_b64 s[8:9], s[10:11]
	s_cbranch_execz .LBB845_644
; %bb.641:
	s_movk_i32 s7, 0x7f
	v_and_b32_e32 v6, 0x7f, v8
	v_cmp_ne_u32_e32 vcc, s7, v6
	v_mov_b32_e32 v14, 0x7f80
	s_and_saveexec_b64 s[10:11], vcc
	s_cbranch_execz .LBB845_643
; %bb.642:
	v_and_b32_e32 v16, 7, v8
	v_ffbh_u32_e32 v14, v16
	v_min_u32_e32 v18, 32, v14
	v_subrev_u32_e32 v14, 28, v18
	v_lshlrev_b64 v[14:15], v14, v[8:9]
	v_lshrrev_b32_e32 v17, 3, v6
	v_sub_u32_e32 v15, 29, v18
	v_and_b32_e32 v14, 7, v14
	v_cmp_gt_u32_e32 vcc, 8, v6
	v_cndmask_b32_e32 v6, v17, v15, vcc
	v_cndmask_b32_e32 v14, v16, v14, vcc
	v_lshlrev_b32_e32 v15, 24, v8
	v_bfrev_b32_e32 v16, 60
	v_lshlrev_b32_e32 v14, 20, v14
	v_and_b32_e32 v15, 0x80000000, v15
	v_lshl_add_u32 v6, v6, 23, v16
	v_or3_b32 v6, v15, v6, v14
	v_lshrrev_b32_e32 v14, 16, v6
.LBB845_643:
	s_or_b64 exec, exec, s[10:11]
.LBB845_644:
	s_or_b64 exec, exec, s[8:9]
.LBB845_645:
	s_or_b64 exec, exec, s[2:3]
	v_lshrrev_b16_e32 v6, 8, v8
	v_cmp_ne_u16_e32 vcc, 0, v6
	s_and_saveexec_b64 s[2:3], vcc
	s_cbranch_execz .LBB845_651
; %bb.646:
	s_movk_i32 s7, 0x80
	v_cmp_ne_u16_e32 vcc, s7, v6
	v_mov_b32_e32 v7, 0xffff8000
	s_and_saveexec_b64 s[8:9], vcc
	s_cbranch_execz .LBB845_650
; %bb.647:
	s_movk_i32 s7, 0x7f
	v_and_b32_e32 v15, 0x7f, v6
	v_cmp_ne_u32_e32 vcc, s7, v15
	v_mov_b32_e32 v7, 0x7f80
	s_and_saveexec_b64 s[10:11], vcc
	s_cbranch_execz .LBB845_649
; %bb.648:
	v_and_b32_e32 v16, 7, v6
	v_ffbh_u32_e32 v7, v16
	v_min_u32_e32 v18, 32, v7
	v_subrev_u32_e32 v7, 28, v18
	v_lshlrev_b64 v[6:7], v7, v[6:7]
	v_lshrrev_b32_e32 v17, 3, v15
	v_sub_u32_e32 v7, 29, v18
	v_and_b32_e32 v6, 7, v6
	v_cmp_gt_u32_e32 vcc, 8, v15
	v_cndmask_b32_e32 v7, v17, v7, vcc
	v_cndmask_b32_e32 v6, v16, v6, vcc
	v_lshlrev_b32_e32 v15, 16, v8
	v_bfrev_b32_e32 v16, 60
	v_lshlrev_b32_e32 v6, 20, v6
	v_and_b32_e32 v15, 0x80000000, v15
	v_lshl_add_u32 v7, v7, 23, v16
	v_or3_b32 v6, v15, v7, v6
	v_lshrrev_b32_e32 v7, 16, v6
.LBB845_649:
	s_or_b64 exec, exec, s[10:11]
.LBB845_650:
	s_or_b64 exec, exec, s[8:9]
.LBB845_651:
	s_or_b64 exec, exec, s[2:3]
	s_movk_i32 s2, 0xff
	v_and_b32_sdwa v17, v8, s2 dst_sel:DWORD dst_unused:UNUSED_PAD src0_sel:WORD_1 src1_sel:DWORD
	v_lshrrev_b32_e32 v6, 16, v8
	v_cmp_ne_u16_e32 vcc, 0, v17
	v_mov_b32_e32 v15, 0
	v_mov_b32_e32 v16, 0
	s_and_saveexec_b64 s[2:3], vcc
	s_cbranch_execz .LBB845_657
; %bb.652:
	s_movk_i32 s7, 0x80
	v_cmp_ne_u16_e32 vcc, s7, v17
	v_mov_b32_e32 v16, 0xffff8000
	s_and_saveexec_b64 s[8:9], vcc
	s_cbranch_execz .LBB845_656
; %bb.653:
	v_bfe_u32 v17, v8, 16, 7
	s_movk_i32 s7, 0x7f
	v_cmp_ne_u32_e32 vcc, s7, v17
	v_mov_b32_e32 v16, 0x7f80
	s_and_saveexec_b64 s[10:11], vcc
	s_cbranch_execz .LBB845_655
; %bb.654:
	v_and_b32_e32 v16, 7, v6
	v_ffbh_u32_e32 v18, v16
	v_min_u32_e32 v21, 32, v18
	v_subrev_u32_e32 v18, 28, v21
	v_lshlrev_b64 v[18:19], v18, v[6:7]
	v_lshrrev_b32_e32 v20, 3, v17
	v_sub_u32_e32 v6, 29, v21
	v_and_b32_e32 v18, 7, v18
	v_cmp_gt_u32_e32 vcc, 8, v17
	v_mov_b32_e32 v17, 24
	v_cndmask_b32_e32 v6, v20, v6, vcc
	v_cndmask_b32_e32 v16, v16, v18, vcc
	v_lshlrev_b32_sdwa v17, v17, v8 dst_sel:DWORD dst_unused:UNUSED_PAD src0_sel:DWORD src1_sel:WORD_1
	v_bfrev_b32_e32 v18, 60
	v_lshlrev_b32_e32 v16, 20, v16
	v_and_b32_e32 v17, 0x80000000, v17
	v_lshl_add_u32 v6, v6, 23, v18
	v_or3_b32 v6, v17, v6, v16
	v_lshrrev_b32_e32 v16, 16, v6
.LBB845_655:
	s_or_b64 exec, exec, s[10:11]
.LBB845_656:
	s_or_b64 exec, exec, s[8:9]
.LBB845_657:
	s_or_b64 exec, exec, s[2:3]
	s_mov_b32 s2, 0xffffff
	v_cmp_lt_u32_e32 vcc, s2, v8
	s_and_saveexec_b64 s[2:3], vcc
	s_cbranch_execz .LBB845_663
; %bb.658:
	v_lshrrev_b32_e32 v6, 24, v8
	s_movk_i32 s7, 0x80
	v_cmp_ne_u32_e32 vcc, s7, v6
	v_mov_b32_e32 v15, 0xffff8000
	s_and_saveexec_b64 s[8:9], vcc
	s_cbranch_execz .LBB845_662
; %bb.659:
	v_bfe_u32 v8, v8, 24, 7
	s_movk_i32 s7, 0x7f
	v_cmp_ne_u32_e32 vcc, s7, v8
	v_mov_b32_e32 v15, 0x7f80
	s_and_saveexec_b64 s[10:11], vcc
	s_cbranch_execz .LBB845_661
; %bb.660:
	v_and_b32_e32 v15, 7, v6
	v_ffbh_u32_e32 v18, v15
	v_min_u32_e32 v20, 32, v18
	v_subrev_u32_e32 v18, 28, v20
	v_lshlrev_b64 v[18:19], v18, v[6:7]
	v_lshrrev_b32_e32 v17, 3, v8
	v_sub_u32_e32 v19, 29, v20
	v_and_b32_e32 v18, 7, v18
	v_cmp_gt_u32_e32 vcc, 8, v8
	v_cndmask_b32_e32 v8, v17, v19, vcc
	v_cndmask_b32_e32 v15, v15, v18, vcc
	v_lshlrev_b32_e32 v6, 24, v6
	v_bfrev_b32_e32 v17, 60
	v_lshlrev_b32_e32 v15, 20, v15
	v_and_b32_e32 v6, 0x80000000, v6
	v_lshl_add_u32 v8, v8, 23, v17
	v_or3_b32 v6, v6, v8, v15
	v_lshrrev_b32_e32 v15, 16, v6
.LBB845_661:
	s_or_b64 exec, exec, s[10:11]
.LBB845_662:
	s_or_b64 exec, exec, s[8:9]
.LBB845_663:
	s_or_b64 exec, exec, s[2:3]
	v_mov_b32_e32 v8, 0
	v_cmp_ne_u16_sdwa s[8:9], v9, v8 src0_sel:BYTE_0 src1_sel:DWORD
	v_mov_b32_e32 v17, 0
	s_and_saveexec_b64 s[2:3], s[8:9]
	s_cbranch_execz .LBB845_669
; %bb.664:
	s_movk_i32 s7, 0x80
	v_cmp_ne_u16_sdwa s[10:11], v9, s7 src0_sel:BYTE_0 src1_sel:DWORD
	v_mov_b32_e32 v17, 0xffff8000
	s_and_saveexec_b64 s[8:9], s[10:11]
	s_cbranch_execz .LBB845_668
; %bb.665:
	s_movk_i32 s7, 0x7f
	v_and_b32_e32 v6, 0x7f, v9
	v_cmp_ne_u32_e32 vcc, s7, v6
	v_mov_b32_e32 v17, 0x7f80
	s_and_saveexec_b64 s[10:11], vcc
	s_cbranch_execz .LBB845_667
; %bb.666:
	v_and_b32_e32 v17, 7, v9
	v_ffbh_u32_e32 v19, v17
	v_min_u32_e32 v21, 32, v19
	v_mov_b32_e32 v18, v9
	v_subrev_u32_e32 v19, 28, v21
	v_lshlrev_b64 v[18:19], v19, v[18:19]
	v_lshrrev_b32_e32 v20, 3, v6
	v_sub_u32_e32 v19, 29, v21
	v_and_b32_e32 v18, 7, v18
	v_cmp_gt_u32_e32 vcc, 8, v6
	v_cndmask_b32_e32 v6, v20, v19, vcc
	v_cndmask_b32_e32 v17, v17, v18, vcc
	v_lshlrev_b32_e32 v18, 24, v9
	v_bfrev_b32_e32 v19, 60
	v_lshlrev_b32_e32 v17, 20, v17
	v_and_b32_e32 v18, 0x80000000, v18
	v_lshl_add_u32 v6, v6, 23, v19
	v_or3_b32 v6, v18, v6, v17
	v_lshrrev_b32_e32 v17, 16, v6
.LBB845_667:
	s_or_b64 exec, exec, s[10:11]
.LBB845_668:
	s_or_b64 exec, exec, s[8:9]
.LBB845_669:
	s_or_b64 exec, exec, s[2:3]
	v_lshrrev_b16_e32 v6, 8, v9
	v_cmp_ne_u16_e32 vcc, 0, v6
	s_and_saveexec_b64 s[2:3], vcc
	s_cbranch_execz .LBB845_675
; %bb.670:
	s_movk_i32 s7, 0x80
	v_cmp_ne_u16_e32 vcc, s7, v6
	v_mov_b32_e32 v8, 0xffff8000
	s_and_saveexec_b64 s[8:9], vcc
	s_cbranch_execz .LBB845_674
; %bb.671:
	s_movk_i32 s7, 0x7f
	v_and_b32_e32 v18, 0x7f, v6
	v_cmp_ne_u32_e32 vcc, s7, v18
	v_mov_b32_e32 v8, 0x7f80
	s_and_saveexec_b64 s[10:11], vcc
	s_cbranch_execz .LBB845_673
; %bb.672:
	v_and_b32_e32 v8, 7, v6
	v_ffbh_u32_e32 v20, v8
	v_min_u32_e32 v22, 32, v20
	v_subrev_u32_e32 v20, 28, v22
	v_lshlrev_b64 v[20:21], v20, v[6:7]
	v_lshrrev_b32_e32 v19, 3, v18
	v_sub_u32_e32 v6, 29, v22
	v_and_b32_e32 v20, 7, v20
	v_cmp_gt_u32_e32 vcc, 8, v18
	v_cndmask_b32_e32 v6, v19, v6, vcc
	v_cndmask_b32_e32 v8, v8, v20, vcc
	v_lshlrev_b32_e32 v18, 16, v9
	v_bfrev_b32_e32 v19, 60
	v_lshlrev_b32_e32 v8, 20, v8
	v_and_b32_e32 v18, 0x80000000, v18
	v_lshl_add_u32 v6, v6, 23, v19
	v_or3_b32 v6, v18, v6, v8
	v_lshrrev_b32_e32 v8, 16, v6
.LBB845_673:
	s_or_b64 exec, exec, s[10:11]
.LBB845_674:
	s_or_b64 exec, exec, s[8:9]
.LBB845_675:
	s_or_b64 exec, exec, s[2:3]
	s_movk_i32 s2, 0xff
	v_and_b32_sdwa v20, v9, s2 dst_sel:DWORD dst_unused:UNUSED_PAD src0_sel:WORD_1 src1_sel:DWORD
	v_lshrrev_b32_e32 v6, 16, v9
	v_cmp_ne_u16_e32 vcc, 0, v20
	v_mov_b32_e32 v18, 0
	v_mov_b32_e32 v19, 0
	s_and_saveexec_b64 s[2:3], vcc
	s_cbranch_execz .LBB845_681
; %bb.676:
	s_movk_i32 s7, 0x80
	v_cmp_ne_u16_e32 vcc, s7, v20
	v_mov_b32_e32 v19, 0xffff8000
	s_and_saveexec_b64 s[8:9], vcc
	s_cbranch_execz .LBB845_680
; %bb.677:
	v_bfe_u32 v20, v9, 16, 7
	s_movk_i32 s7, 0x7f
	v_cmp_ne_u32_e32 vcc, s7, v20
	v_mov_b32_e32 v19, 0x7f80
	s_and_saveexec_b64 s[10:11], vcc
	s_cbranch_execz .LBB845_679
; %bb.678:
	v_and_b32_e32 v19, 7, v6
	v_ffbh_u32_e32 v22, v19
	v_min_u32_e32 v24, 32, v22
	v_subrev_u32_e32 v22, 28, v24
	v_lshlrev_b64 v[22:23], v22, v[6:7]
	v_lshrrev_b32_e32 v21, 3, v20
	v_sub_u32_e32 v6, 29, v24
	v_and_b32_e32 v22, 7, v22
	v_cmp_gt_u32_e32 vcc, 8, v20
	v_mov_b32_e32 v20, 24
	v_cndmask_b32_e32 v6, v21, v6, vcc
	v_cndmask_b32_e32 v19, v19, v22, vcc
	v_lshlrev_b32_sdwa v20, v20, v9 dst_sel:DWORD dst_unused:UNUSED_PAD src0_sel:DWORD src1_sel:WORD_1
	v_bfrev_b32_e32 v21, 60
	v_lshlrev_b32_e32 v19, 20, v19
	v_and_b32_e32 v20, 0x80000000, v20
	v_lshl_add_u32 v6, v6, 23, v21
	v_or3_b32 v6, v20, v6, v19
	v_lshrrev_b32_e32 v19, 16, v6
.LBB845_679:
	s_or_b64 exec, exec, s[10:11]
.LBB845_680:
	s_or_b64 exec, exec, s[8:9]
.LBB845_681:
	s_or_b64 exec, exec, s[2:3]
	s_mov_b32 s2, 0xffffff
	v_cmp_lt_u32_e32 vcc, s2, v9
	s_and_saveexec_b64 s[2:3], vcc
	s_cbranch_execz .LBB845_687
; %bb.682:
	v_lshrrev_b32_e32 v6, 24, v9
	s_movk_i32 s7, 0x80
	v_cmp_ne_u32_e32 vcc, s7, v6
	v_mov_b32_e32 v18, 0xffff8000
	s_and_saveexec_b64 s[8:9], vcc
	s_cbranch_execz .LBB845_686
; %bb.683:
	v_bfe_u32 v9, v9, 24, 7
	s_movk_i32 s7, 0x7f
	v_cmp_ne_u32_e32 vcc, s7, v9
	v_mov_b32_e32 v18, 0x7f80
	s_and_saveexec_b64 s[10:11], vcc
	s_cbranch_execz .LBB845_685
; %bb.684:
	v_and_b32_e32 v18, 7, v6
	v_ffbh_u32_e32 v20, v18
	v_min_u32_e32 v23, 32, v20
	v_subrev_u32_e32 v20, 28, v23
	v_lshlrev_b64 v[20:21], v20, v[6:7]
	v_lshrrev_b32_e32 v22, 3, v9
	v_sub_u32_e32 v21, 29, v23
	v_and_b32_e32 v20, 7, v20
	v_cmp_gt_u32_e32 vcc, 8, v9
	v_cndmask_b32_e32 v9, v22, v21, vcc
	v_cndmask_b32_e32 v18, v18, v20, vcc
	v_lshlrev_b32_e32 v6, 24, v6
	v_bfrev_b32_e32 v20, 60
	v_lshlrev_b32_e32 v18, 20, v18
	v_and_b32_e32 v6, 0x80000000, v6
	v_lshl_add_u32 v9, v9, 23, v20
	v_or3_b32 v6, v6, v9, v18
	v_lshrrev_b32_e32 v18, 16, v6
.LBB845_685:
	s_or_b64 exec, exec, s[10:11]
.LBB845_686:
	s_or_b64 exec, exec, s[8:9]
.LBB845_687:
	s_or_b64 exec, exec, s[2:3]
	s_mov_b32 s2, 0x5040100
	v_perm_b32 v15, v15, v16, s2
	v_perm_b32 v14, v7, v14, s2
	ds_read_b128 v[20:23], v50 offset:4112
	v_perm_b32 v7, v18, v19, s2
	v_perm_b32 v6, v8, v17, s2
	s_waitcnt lgkmcnt(0)
	v_mfma_f32_16x16x16bf16_1k v[28:31], v[14:15], v[20:21], v[10:13]
	s_nop 6
	v_mov_b32_e32 v11, 0
	s_waitcnt vmcnt(0)
	v_cmp_ne_u16_sdwa s[8:9], v2, v11 src0_sel:BYTE_0 src1_sel:DWORD
	v_mfma_f32_16x16x16bf16_1k v[6:9], v[6:7], v[22:23], v[28:31]
	v_mov_b32_e32 v12, 0
	s_and_saveexec_b64 s[2:3], s[8:9]
	s_cbranch_execz .LBB845_693
; %bb.688:
	s_movk_i32 s7, 0x80
	v_cmp_ne_u16_sdwa s[10:11], v2, s7 src0_sel:BYTE_0 src1_sel:DWORD
	v_mov_b32_e32 v12, 0xffff8000
	s_and_saveexec_b64 s[8:9], s[10:11]
	s_cbranch_execz .LBB845_692
; %bb.689:
	s_movk_i32 s7, 0x7f
	v_and_b32_e32 v10, 0x7f, v2
	v_cmp_ne_u32_e32 vcc, s7, v10
	v_mov_b32_e32 v12, 0x7f80
	s_and_saveexec_b64 s[10:11], vcc
	s_cbranch_execz .LBB845_691
; %bb.690:
	v_and_b32_e32 v14, 7, v2
	v_ffbh_u32_e32 v12, v14
	v_min_u32_e32 v16, 32, v12
	v_subrev_u32_e32 v12, 28, v16
	v_lshlrev_b64 v[12:13], v12, v[2:3]
	v_lshrrev_b32_e32 v15, 3, v10
	v_sub_u32_e32 v13, 29, v16
	v_and_b32_e32 v12, 7, v12
	v_cmp_gt_u32_e32 vcc, 8, v10
	v_cndmask_b32_e32 v10, v15, v13, vcc
	v_cndmask_b32_e32 v12, v14, v12, vcc
	v_lshlrev_b32_e32 v13, 24, v2
	v_bfrev_b32_e32 v14, 60
	v_lshlrev_b32_e32 v12, 20, v12
	v_and_b32_e32 v13, 0x80000000, v13
	v_lshl_add_u32 v10, v10, 23, v14
	v_or3_b32 v10, v13, v10, v12
	v_lshrrev_b32_e32 v12, 16, v10
.LBB845_691:
	s_or_b64 exec, exec, s[10:11]
.LBB845_692:
	s_or_b64 exec, exec, s[8:9]
.LBB845_693:
	s_or_b64 exec, exec, s[2:3]
	v_lshrrev_b16_e32 v10, 8, v2
	v_cmp_ne_u16_e32 vcc, 0, v10
	s_and_saveexec_b64 s[2:3], vcc
	s_cbranch_execz .LBB845_699
; %bb.694:
	s_movk_i32 s7, 0x80
	v_cmp_ne_u16_e32 vcc, s7, v10
	v_mov_b32_e32 v11, 0xffff8000
	s_and_saveexec_b64 s[8:9], vcc
	s_cbranch_execz .LBB845_698
; %bb.695:
	s_movk_i32 s7, 0x7f
	v_and_b32_e32 v13, 0x7f, v10
	v_cmp_ne_u32_e32 vcc, s7, v13
	v_mov_b32_e32 v11, 0x7f80
	s_and_saveexec_b64 s[10:11], vcc
	s_cbranch_execz .LBB845_697
; %bb.696:
	v_and_b32_e32 v14, 7, v10
	v_ffbh_u32_e32 v11, v14
	v_min_u32_e32 v16, 32, v11
	v_subrev_u32_e32 v11, 28, v16
	v_lshlrev_b64 v[10:11], v11, v[10:11]
	v_lshrrev_b32_e32 v15, 3, v13
	v_sub_u32_e32 v11, 29, v16
	v_and_b32_e32 v10, 7, v10
	v_cmp_gt_u32_e32 vcc, 8, v13
	v_cndmask_b32_e32 v11, v15, v11, vcc
	v_cndmask_b32_e32 v10, v14, v10, vcc
	v_lshlrev_b32_e32 v13, 16, v2
	v_bfrev_b32_e32 v14, 60
	v_lshlrev_b32_e32 v10, 20, v10
	v_and_b32_e32 v13, 0x80000000, v13
	v_lshl_add_u32 v11, v11, 23, v14
	v_or3_b32 v10, v13, v11, v10
	v_lshrrev_b32_e32 v11, 16, v10
.LBB845_697:
	s_or_b64 exec, exec, s[10:11]
.LBB845_698:
	s_or_b64 exec, exec, s[8:9]
.LBB845_699:
	s_or_b64 exec, exec, s[2:3]
	s_movk_i32 s2, 0xff
	v_and_b32_sdwa v15, v2, s2 dst_sel:DWORD dst_unused:UNUSED_PAD src0_sel:WORD_1 src1_sel:DWORD
	v_lshrrev_b32_e32 v10, 16, v2
	v_cmp_ne_u16_e32 vcc, 0, v15
	v_mov_b32_e32 v13, 0
	v_mov_b32_e32 v14, 0
	s_and_saveexec_b64 s[2:3], vcc
	s_cbranch_execz .LBB845_705
; %bb.700:
	s_movk_i32 s7, 0x80
	v_cmp_ne_u16_e32 vcc, s7, v15
	v_mov_b32_e32 v14, 0xffff8000
	s_and_saveexec_b64 s[8:9], vcc
	s_cbranch_execz .LBB845_704
; %bb.701:
	v_bfe_u32 v15, v2, 16, 7
	s_movk_i32 s7, 0x7f
	v_cmp_ne_u32_e32 vcc, s7, v15
	v_mov_b32_e32 v14, 0x7f80
	s_and_saveexec_b64 s[10:11], vcc
	s_cbranch_execz .LBB845_703
; %bb.702:
	v_and_b32_e32 v14, 7, v10
	v_ffbh_u32_e32 v16, v14
	v_min_u32_e32 v19, 32, v16
	v_subrev_u32_e32 v16, 28, v19
	v_lshlrev_b64 v[16:17], v16, v[10:11]
	v_lshrrev_b32_e32 v18, 3, v15
	v_sub_u32_e32 v10, 29, v19
	v_and_b32_e32 v16, 7, v16
	v_cmp_gt_u32_e32 vcc, 8, v15
	v_mov_b32_e32 v15, 24
	v_cndmask_b32_e32 v10, v18, v10, vcc
	v_cndmask_b32_e32 v14, v14, v16, vcc
	v_lshlrev_b32_sdwa v15, v15, v2 dst_sel:DWORD dst_unused:UNUSED_PAD src0_sel:DWORD src1_sel:WORD_1
	v_bfrev_b32_e32 v16, 60
	v_lshlrev_b32_e32 v14, 20, v14
	v_and_b32_e32 v15, 0x80000000, v15
	v_lshl_add_u32 v10, v10, 23, v16
	v_or3_b32 v10, v15, v10, v14
	v_lshrrev_b32_e32 v14, 16, v10
.LBB845_703:
	s_or_b64 exec, exec, s[10:11]
.LBB845_704:
	s_or_b64 exec, exec, s[8:9]
.LBB845_705:
	s_or_b64 exec, exec, s[2:3]
	s_mov_b32 s2, 0xffffff
	v_cmp_lt_u32_e32 vcc, s2, v2
	s_and_saveexec_b64 s[2:3], vcc
	s_cbranch_execz .LBB845_711
; %bb.706:
	v_lshrrev_b32_e32 v10, 24, v2
	s_movk_i32 s7, 0x80
	v_cmp_ne_u32_e32 vcc, s7, v10
	v_mov_b32_e32 v13, 0xffff8000
	s_and_saveexec_b64 s[8:9], vcc
	s_cbranch_execz .LBB845_710
; %bb.707:
	v_bfe_u32 v2, v2, 24, 7
	s_movk_i32 s7, 0x7f
	v_cmp_ne_u32_e32 vcc, s7, v2
	v_mov_b32_e32 v13, 0x7f80
	s_and_saveexec_b64 s[10:11], vcc
	s_cbranch_execz .LBB845_709
; %bb.708:
	v_and_b32_e32 v13, 7, v10
	v_ffbh_u32_e32 v16, v13
	v_min_u32_e32 v18, 32, v16
	v_subrev_u32_e32 v16, 28, v18
	v_lshlrev_b64 v[16:17], v16, v[10:11]
	v_lshrrev_b32_e32 v15, 3, v2
	v_sub_u32_e32 v17, 29, v18
	v_and_b32_e32 v16, 7, v16
	v_cmp_gt_u32_e32 vcc, 8, v2
	v_cndmask_b32_e32 v2, v15, v17, vcc
	v_cndmask_b32_e32 v13, v13, v16, vcc
	v_lshlrev_b32_e32 v10, 24, v10
	v_bfrev_b32_e32 v15, 60
	v_lshlrev_b32_e32 v13, 20, v13
	v_and_b32_e32 v10, 0x80000000, v10
	v_lshl_add_u32 v2, v2, 23, v15
	v_or3_b32 v2, v10, v2, v13
	v_lshrrev_b32_e32 v13, 16, v2
.LBB845_709:
	s_or_b64 exec, exec, s[10:11]
.LBB845_710:
	s_or_b64 exec, exec, s[8:9]
.LBB845_711:
	s_or_b64 exec, exec, s[2:3]
	v_mov_b32_e32 v10, 0
	v_cmp_ne_u16_sdwa s[8:9], v3, v10 src0_sel:BYTE_0 src1_sel:DWORD
	v_mov_b32_e32 v15, 0
	s_and_saveexec_b64 s[2:3], s[8:9]
	s_cbranch_execz .LBB845_717
; %bb.712:
	s_movk_i32 s7, 0x80
	v_cmp_ne_u16_sdwa s[10:11], v3, s7 src0_sel:BYTE_0 src1_sel:DWORD
	v_mov_b32_e32 v15, 0xffff8000
	s_and_saveexec_b64 s[8:9], s[10:11]
	s_cbranch_execz .LBB845_716
; %bb.713:
	s_movk_i32 s7, 0x7f
	v_and_b32_e32 v2, 0x7f, v3
	v_cmp_ne_u32_e32 vcc, s7, v2
	v_mov_b32_e32 v15, 0x7f80
	s_and_saveexec_b64 s[10:11], vcc
	s_cbranch_execz .LBB845_715
; %bb.714:
	v_and_b32_e32 v15, 7, v3
	v_ffbh_u32_e32 v17, v15
	v_min_u32_e32 v19, 32, v17
	v_mov_b32_e32 v16, v3
	v_subrev_u32_e32 v17, 28, v19
	v_lshlrev_b64 v[16:17], v17, v[16:17]
	v_lshrrev_b32_e32 v18, 3, v2
	v_sub_u32_e32 v17, 29, v19
	v_and_b32_e32 v16, 7, v16
	v_cmp_gt_u32_e32 vcc, 8, v2
	v_cndmask_b32_e32 v2, v18, v17, vcc
	v_cndmask_b32_e32 v15, v15, v16, vcc
	v_lshlrev_b32_e32 v16, 24, v3
	v_bfrev_b32_e32 v17, 60
	v_lshlrev_b32_e32 v15, 20, v15
	v_and_b32_e32 v16, 0x80000000, v16
	v_lshl_add_u32 v2, v2, 23, v17
	v_or3_b32 v2, v16, v2, v15
	v_lshrrev_b32_e32 v15, 16, v2
.LBB845_715:
	s_or_b64 exec, exec, s[10:11]
.LBB845_716:
	s_or_b64 exec, exec, s[8:9]
.LBB845_717:
	s_or_b64 exec, exec, s[2:3]
	v_lshrrev_b16_e32 v2, 8, v3
	v_cmp_ne_u16_e32 vcc, 0, v2
	s_and_saveexec_b64 s[2:3], vcc
	s_cbranch_execz .LBB845_723
; %bb.718:
	s_movk_i32 s7, 0x80
	v_cmp_ne_u16_e32 vcc, s7, v2
	v_mov_b32_e32 v10, 0xffff8000
	s_and_saveexec_b64 s[8:9], vcc
	s_cbranch_execz .LBB845_722
; %bb.719:
	s_movk_i32 s7, 0x7f
	v_and_b32_e32 v16, 0x7f, v2
	v_cmp_ne_u32_e32 vcc, s7, v16
	v_mov_b32_e32 v10, 0x7f80
	s_and_saveexec_b64 s[10:11], vcc
	s_cbranch_execz .LBB845_721
; %bb.720:
	v_and_b32_e32 v10, 7, v2
	v_ffbh_u32_e32 v18, v10
	v_min_u32_e32 v20, 32, v18
	v_subrev_u32_e32 v18, 28, v20
	v_lshlrev_b64 v[18:19], v18, v[2:3]
	v_lshrrev_b32_e32 v17, 3, v16
	v_sub_u32_e32 v2, 29, v20
	v_and_b32_e32 v18, 7, v18
	v_cmp_gt_u32_e32 vcc, 8, v16
	v_cndmask_b32_e32 v2, v17, v2, vcc
	v_cndmask_b32_e32 v10, v10, v18, vcc
	v_lshlrev_b32_e32 v16, 16, v3
	v_bfrev_b32_e32 v17, 60
	v_lshlrev_b32_e32 v10, 20, v10
	v_and_b32_e32 v16, 0x80000000, v16
	v_lshl_add_u32 v2, v2, 23, v17
	v_or3_b32 v2, v16, v2, v10
	v_lshrrev_b32_e32 v10, 16, v2
.LBB845_721:
	s_or_b64 exec, exec, s[10:11]
.LBB845_722:
	s_or_b64 exec, exec, s[8:9]
.LBB845_723:
	s_or_b64 exec, exec, s[2:3]
	s_movk_i32 s2, 0xff
	v_and_b32_sdwa v18, v3, s2 dst_sel:DWORD dst_unused:UNUSED_PAD src0_sel:WORD_1 src1_sel:DWORD
	v_lshrrev_b32_e32 v2, 16, v3
	v_cmp_ne_u16_e32 vcc, 0, v18
	v_mov_b32_e32 v16, 0
	v_mov_b32_e32 v17, 0
	s_and_saveexec_b64 s[2:3], vcc
	s_cbranch_execz .LBB845_729
; %bb.724:
	s_movk_i32 s7, 0x80
	v_cmp_ne_u16_e32 vcc, s7, v18
	v_mov_b32_e32 v17, 0xffff8000
	s_and_saveexec_b64 s[8:9], vcc
	s_cbranch_execz .LBB845_728
; %bb.725:
	v_bfe_u32 v18, v3, 16, 7
	s_movk_i32 s7, 0x7f
	v_cmp_ne_u32_e32 vcc, s7, v18
	v_mov_b32_e32 v17, 0x7f80
	s_and_saveexec_b64 s[10:11], vcc
	s_cbranch_execz .LBB845_727
; %bb.726:
	v_and_b32_e32 v17, 7, v2
	v_ffbh_u32_e32 v20, v17
	v_min_u32_e32 v22, 32, v20
	v_subrev_u32_e32 v20, 28, v22
	v_lshlrev_b64 v[20:21], v20, v[2:3]
	v_lshrrev_b32_e32 v19, 3, v18
	v_sub_u32_e32 v2, 29, v22
	v_and_b32_e32 v20, 7, v20
	v_cmp_gt_u32_e32 vcc, 8, v18
	v_mov_b32_e32 v18, 24
	v_cndmask_b32_e32 v2, v19, v2, vcc
	v_cndmask_b32_e32 v17, v17, v20, vcc
	v_lshlrev_b32_sdwa v18, v18, v3 dst_sel:DWORD dst_unused:UNUSED_PAD src0_sel:DWORD src1_sel:WORD_1
	v_bfrev_b32_e32 v19, 60
	v_lshlrev_b32_e32 v17, 20, v17
	v_and_b32_e32 v18, 0x80000000, v18
	v_lshl_add_u32 v2, v2, 23, v19
	v_or3_b32 v2, v18, v2, v17
	v_lshrrev_b32_e32 v17, 16, v2
.LBB845_727:
	s_or_b64 exec, exec, s[10:11]
.LBB845_728:
	s_or_b64 exec, exec, s[8:9]
.LBB845_729:
	s_or_b64 exec, exec, s[2:3]
	s_mov_b32 s2, 0xffffff
	v_cmp_lt_u32_e32 vcc, s2, v3
	s_and_saveexec_b64 s[2:3], vcc
	s_cbranch_execz .LBB845_735
; %bb.730:
	v_lshrrev_b32_e32 v2, 24, v3
	s_movk_i32 s7, 0x80
	v_cmp_ne_u32_e32 vcc, s7, v2
	v_mov_b32_e32 v16, 0xffff8000
	s_and_saveexec_b64 s[8:9], vcc
	s_cbranch_execz .LBB845_734
; %bb.731:
	v_bfe_u32 v3, v3, 24, 7
	s_movk_i32 s7, 0x7f
	v_cmp_ne_u32_e32 vcc, s7, v3
	v_mov_b32_e32 v16, 0x7f80
	s_and_saveexec_b64 s[10:11], vcc
	s_cbranch_execz .LBB845_733
; %bb.732:
	v_and_b32_e32 v16, 7, v2
	v_ffbh_u32_e32 v18, v16
	v_min_u32_e32 v21, 32, v18
	v_subrev_u32_e32 v18, 28, v21
	v_lshlrev_b64 v[18:19], v18, v[2:3]
	v_lshrrev_b32_e32 v20, 3, v3
	v_sub_u32_e32 v19, 29, v21
	v_and_b32_e32 v18, 7, v18
	v_cmp_gt_u32_e32 vcc, 8, v3
	v_cndmask_b32_e32 v3, v20, v19, vcc
	v_cndmask_b32_e32 v16, v16, v18, vcc
	v_lshlrev_b32_e32 v2, 24, v2
	v_bfrev_b32_e32 v18, 60
	v_lshlrev_b32_e32 v16, 20, v16
	v_and_b32_e32 v2, 0x80000000, v2
	v_lshl_add_u32 v3, v3, 23, v18
	v_or3_b32 v2, v2, v3, v16
	v_lshrrev_b32_e32 v16, 16, v2
.LBB845_733:
	s_or_b64 exec, exec, s[10:11]
.LBB845_734:
	s_or_b64 exec, exec, s[8:9]
.LBB845_735:
	s_or_b64 exec, exec, s[2:3]
	s_mov_b32 s2, 0x5040100
	v_perm_b32 v3, v13, v14, s2
	v_perm_b32 v2, v11, v12, s2
	ds_read_b128 v[18:21], v50 offset:6144
	v_perm_b32 v13, v16, v17, s2
	v_perm_b32 v12, v10, v15, s2
	s_waitcnt lgkmcnt(0)
	v_mfma_f32_16x16x16bf16_1k v[6:9], v[2:3], v[18:19], v[6:9]
	v_mov_b32_e32 v3, 0
	v_cmp_ne_u16_sdwa s[8:9], v4, v3 src0_sel:BYTE_0 src1_sel:DWORD
	v_mov_b32_e32 v10, 0
	v_mfma_f32_16x16x16bf16_1k v[6:9], v[12:13], v[20:21], v[6:9]
	s_and_saveexec_b64 s[2:3], s[8:9]
	s_cbranch_execz .LBB845_741
; %bb.736:
	s_movk_i32 s7, 0x80
	v_cmp_ne_u16_sdwa s[10:11], v4, s7 src0_sel:BYTE_0 src1_sel:DWORD
	v_mov_b32_e32 v10, 0xffff8000
	s_and_saveexec_b64 s[8:9], s[10:11]
	s_cbranch_execz .LBB845_740
; %bb.737:
	s_movk_i32 s7, 0x7f
	v_and_b32_e32 v2, 0x7f, v4
	v_cmp_ne_u32_e32 vcc, s7, v2
	v_mov_b32_e32 v10, 0x7f80
	s_and_saveexec_b64 s[10:11], vcc
	s_cbranch_execz .LBB845_739
; %bb.738:
	v_and_b32_e32 v12, 7, v4
	v_ffbh_u32_e32 v10, v12
	v_min_u32_e32 v14, 32, v10
	v_subrev_u32_e32 v10, 28, v14
	v_lshlrev_b64 v[10:11], v10, v[4:5]
	v_lshrrev_b32_e32 v13, 3, v2
	v_sub_u32_e32 v11, 29, v14
	v_and_b32_e32 v10, 7, v10
	v_cmp_gt_u32_e32 vcc, 8, v2
	v_cndmask_b32_e32 v2, v13, v11, vcc
	v_cndmask_b32_e32 v10, v12, v10, vcc
	v_lshlrev_b32_e32 v11, 24, v4
	v_bfrev_b32_e32 v12, 60
	v_lshlrev_b32_e32 v10, 20, v10
	v_and_b32_e32 v11, 0x80000000, v11
	v_lshl_add_u32 v2, v2, 23, v12
	v_or3_b32 v2, v11, v2, v10
	v_lshrrev_b32_e32 v10, 16, v2
.LBB845_739:
	s_or_b64 exec, exec, s[10:11]
.LBB845_740:
	s_or_b64 exec, exec, s[8:9]
.LBB845_741:
	s_or_b64 exec, exec, s[2:3]
	v_lshrrev_b16_e32 v2, 8, v4
	v_cmp_ne_u16_e32 vcc, 0, v2
	s_and_saveexec_b64 s[2:3], vcc
	s_cbranch_execz .LBB845_747
; %bb.742:
	s_movk_i32 s7, 0x80
	v_cmp_ne_u16_e32 vcc, s7, v2
	v_mov_b32_e32 v3, 0xffff8000
	s_and_saveexec_b64 s[8:9], vcc
	s_cbranch_execz .LBB845_746
; %bb.743:
	s_movk_i32 s7, 0x7f
	v_and_b32_e32 v11, 0x7f, v2
	v_cmp_ne_u32_e32 vcc, s7, v11
	v_mov_b32_e32 v3, 0x7f80
	s_and_saveexec_b64 s[10:11], vcc
	s_cbranch_execz .LBB845_745
; %bb.744:
	v_and_b32_e32 v12, 7, v2
	v_ffbh_u32_e32 v3, v12
	v_min_u32_e32 v14, 32, v3
	v_subrev_u32_e32 v3, 28, v14
	v_lshlrev_b64 v[2:3], v3, v[2:3]
	v_lshrrev_b32_e32 v13, 3, v11
	v_sub_u32_e32 v3, 29, v14
	v_and_b32_e32 v2, 7, v2
	v_cmp_gt_u32_e32 vcc, 8, v11
	v_cndmask_b32_e32 v3, v13, v3, vcc
	v_cndmask_b32_e32 v2, v12, v2, vcc
	v_lshlrev_b32_e32 v11, 16, v4
	v_bfrev_b32_e32 v12, 60
	v_lshlrev_b32_e32 v2, 20, v2
	v_and_b32_e32 v11, 0x80000000, v11
	v_lshl_add_u32 v3, v3, 23, v12
	v_or3_b32 v2, v11, v3, v2
	v_lshrrev_b32_e32 v3, 16, v2
.LBB845_745:
	s_or_b64 exec, exec, s[10:11]
.LBB845_746:
	s_or_b64 exec, exec, s[8:9]
.LBB845_747:
	s_or_b64 exec, exec, s[2:3]
	s_movk_i32 s2, 0xff
	v_and_b32_sdwa v13, v4, s2 dst_sel:DWORD dst_unused:UNUSED_PAD src0_sel:WORD_1 src1_sel:DWORD
	v_lshrrev_b32_e32 v2, 16, v4
	v_cmp_ne_u16_e32 vcc, 0, v13
	v_mov_b32_e32 v11, 0
	v_mov_b32_e32 v12, 0
	s_and_saveexec_b64 s[2:3], vcc
	s_cbranch_execz .LBB845_753
; %bb.748:
	s_movk_i32 s7, 0x80
	v_cmp_ne_u16_e32 vcc, s7, v13
	v_mov_b32_e32 v12, 0xffff8000
	s_and_saveexec_b64 s[8:9], vcc
	s_cbranch_execz .LBB845_752
; %bb.749:
	v_bfe_u32 v13, v4, 16, 7
	s_movk_i32 s7, 0x7f
	v_cmp_ne_u32_e32 vcc, s7, v13
	v_mov_b32_e32 v12, 0x7f80
	s_and_saveexec_b64 s[10:11], vcc
	s_cbranch_execz .LBB845_751
; %bb.750:
	v_and_b32_e32 v12, 7, v2
	v_ffbh_u32_e32 v14, v12
	v_min_u32_e32 v17, 32, v14
	v_subrev_u32_e32 v14, 28, v17
	v_lshlrev_b64 v[14:15], v14, v[2:3]
	v_lshrrev_b32_e32 v16, 3, v13
	v_sub_u32_e32 v2, 29, v17
	v_and_b32_e32 v14, 7, v14
	v_cmp_gt_u32_e32 vcc, 8, v13
	v_mov_b32_e32 v13, 24
	v_cndmask_b32_e32 v2, v16, v2, vcc
	v_cndmask_b32_e32 v12, v12, v14, vcc
	v_lshlrev_b32_sdwa v13, v13, v4 dst_sel:DWORD dst_unused:UNUSED_PAD src0_sel:DWORD src1_sel:WORD_1
	v_bfrev_b32_e32 v14, 60
	v_lshlrev_b32_e32 v12, 20, v12
	v_and_b32_e32 v13, 0x80000000, v13
	v_lshl_add_u32 v2, v2, 23, v14
	v_or3_b32 v2, v13, v2, v12
	v_lshrrev_b32_e32 v12, 16, v2
.LBB845_751:
	s_or_b64 exec, exec, s[10:11]
.LBB845_752:
	s_or_b64 exec, exec, s[8:9]
.LBB845_753:
	s_or_b64 exec, exec, s[2:3]
	s_mov_b32 s2, 0xffffff
	v_cmp_lt_u32_e32 vcc, s2, v4
	s_and_saveexec_b64 s[2:3], vcc
	s_cbranch_execz .LBB845_759
; %bb.754:
	v_lshrrev_b32_e32 v2, 24, v4
	s_movk_i32 s7, 0x80
	v_cmp_ne_u32_e32 vcc, s7, v2
	v_mov_b32_e32 v11, 0xffff8000
	s_and_saveexec_b64 s[8:9], vcc
	s_cbranch_execz .LBB845_758
; %bb.755:
	v_bfe_u32 v4, v4, 24, 7
	s_movk_i32 s7, 0x7f
	v_cmp_ne_u32_e32 vcc, s7, v4
	v_mov_b32_e32 v11, 0x7f80
	s_and_saveexec_b64 s[10:11], vcc
	s_cbranch_execz .LBB845_757
; %bb.756:
	v_and_b32_e32 v11, 7, v2
	v_ffbh_u32_e32 v14, v11
	v_min_u32_e32 v16, 32, v14
	v_subrev_u32_e32 v14, 28, v16
	v_lshlrev_b64 v[14:15], v14, v[2:3]
	v_lshrrev_b32_e32 v13, 3, v4
	v_sub_u32_e32 v15, 29, v16
	v_and_b32_e32 v14, 7, v14
	v_cmp_gt_u32_e32 vcc, 8, v4
	v_cndmask_b32_e32 v4, v13, v15, vcc
	v_cndmask_b32_e32 v11, v11, v14, vcc
	v_lshlrev_b32_e32 v2, 24, v2
	v_bfrev_b32_e32 v13, 60
	v_lshlrev_b32_e32 v11, 20, v11
	v_and_b32_e32 v2, 0x80000000, v2
	v_lshl_add_u32 v4, v4, 23, v13
	v_or3_b32 v2, v2, v4, v11
	v_lshrrev_b32_e32 v11, 16, v2
.LBB845_757:
	s_or_b64 exec, exec, s[10:11]
.LBB845_758:
	s_or_b64 exec, exec, s[8:9]
.LBB845_759:
	s_or_b64 exec, exec, s[2:3]
	v_mov_b32_e32 v4, 0
	v_cmp_ne_u16_sdwa s[8:9], v5, v4 src0_sel:BYTE_0 src1_sel:DWORD
	v_mov_b32_e32 v13, 0
	s_and_saveexec_b64 s[2:3], s[8:9]
	s_cbranch_execz .LBB845_765
; %bb.760:
	s_movk_i32 s7, 0x80
	v_cmp_ne_u16_sdwa s[10:11], v5, s7 src0_sel:BYTE_0 src1_sel:DWORD
	v_mov_b32_e32 v13, 0xffff8000
	s_and_saveexec_b64 s[8:9], s[10:11]
	s_cbranch_execz .LBB845_764
; %bb.761:
	s_movk_i32 s7, 0x7f
	v_and_b32_e32 v2, 0x7f, v5
	v_cmp_ne_u32_e32 vcc, s7, v2
	v_mov_b32_e32 v13, 0x7f80
	s_and_saveexec_b64 s[10:11], vcc
	s_cbranch_execz .LBB845_763
; %bb.762:
	v_and_b32_e32 v13, 7, v5
	v_ffbh_u32_e32 v15, v13
	v_min_u32_e32 v17, 32, v15
	v_mov_b32_e32 v14, v5
	v_subrev_u32_e32 v15, 28, v17
	v_lshlrev_b64 v[14:15], v15, v[14:15]
	v_lshrrev_b32_e32 v16, 3, v2
	v_sub_u32_e32 v15, 29, v17
	v_and_b32_e32 v14, 7, v14
	v_cmp_gt_u32_e32 vcc, 8, v2
	v_cndmask_b32_e32 v2, v16, v15, vcc
	v_cndmask_b32_e32 v13, v13, v14, vcc
	v_lshlrev_b32_e32 v14, 24, v5
	v_bfrev_b32_e32 v15, 60
	v_lshlrev_b32_e32 v13, 20, v13
	v_and_b32_e32 v14, 0x80000000, v14
	v_lshl_add_u32 v2, v2, 23, v15
	v_or3_b32 v2, v14, v2, v13
	v_lshrrev_b32_e32 v13, 16, v2
.LBB845_763:
	s_or_b64 exec, exec, s[10:11]
.LBB845_764:
	s_or_b64 exec, exec, s[8:9]
.LBB845_765:
	s_or_b64 exec, exec, s[2:3]
	v_lshrrev_b16_e32 v2, 8, v5
	v_cmp_ne_u16_e32 vcc, 0, v2
	s_and_saveexec_b64 s[2:3], vcc
	s_cbranch_execz .LBB845_771
; %bb.766:
	s_movk_i32 s7, 0x80
	v_cmp_ne_u16_e32 vcc, s7, v2
	v_mov_b32_e32 v4, 0xffff8000
	s_and_saveexec_b64 s[8:9], vcc
	s_cbranch_execz .LBB845_770
; %bb.767:
	s_movk_i32 s7, 0x7f
	v_and_b32_e32 v14, 0x7f, v2
	v_cmp_ne_u32_e32 vcc, s7, v14
	v_mov_b32_e32 v4, 0x7f80
	s_and_saveexec_b64 s[10:11], vcc
	s_cbranch_execz .LBB845_769
; %bb.768:
	v_and_b32_e32 v4, 7, v2
	v_ffbh_u32_e32 v16, v4
	v_min_u32_e32 v18, 32, v16
	v_subrev_u32_e32 v16, 28, v18
	v_lshlrev_b64 v[16:17], v16, v[2:3]
	v_lshrrev_b32_e32 v15, 3, v14
	v_sub_u32_e32 v2, 29, v18
	v_and_b32_e32 v16, 7, v16
	v_cmp_gt_u32_e32 vcc, 8, v14
	v_cndmask_b32_e32 v2, v15, v2, vcc
	v_cndmask_b32_e32 v4, v4, v16, vcc
	v_lshlrev_b32_e32 v14, 16, v5
	v_bfrev_b32_e32 v15, 60
	v_lshlrev_b32_e32 v4, 20, v4
	v_and_b32_e32 v14, 0x80000000, v14
	v_lshl_add_u32 v2, v2, 23, v15
	v_or3_b32 v2, v14, v2, v4
	v_lshrrev_b32_e32 v4, 16, v2
.LBB845_769:
	s_or_b64 exec, exec, s[10:11]
.LBB845_770:
	s_or_b64 exec, exec, s[8:9]
.LBB845_771:
	s_or_b64 exec, exec, s[2:3]
	s_movk_i32 s2, 0xff
	v_and_b32_sdwa v16, v5, s2 dst_sel:DWORD dst_unused:UNUSED_PAD src0_sel:WORD_1 src1_sel:DWORD
	v_lshrrev_b32_e32 v2, 16, v5
	v_cmp_ne_u16_e32 vcc, 0, v16
	v_mov_b32_e32 v14, 0
	v_mov_b32_e32 v15, 0
	s_and_saveexec_b64 s[2:3], vcc
	s_cbranch_execz .LBB845_777
; %bb.772:
	s_movk_i32 s7, 0x80
	v_cmp_ne_u16_e32 vcc, s7, v16
	v_mov_b32_e32 v15, 0xffff8000
	s_and_saveexec_b64 s[8:9], vcc
	s_cbranch_execz .LBB845_776
; %bb.773:
	v_bfe_u32 v16, v5, 16, 7
	s_movk_i32 s7, 0x7f
	v_cmp_ne_u32_e32 vcc, s7, v16
	v_mov_b32_e32 v15, 0x7f80
	s_and_saveexec_b64 s[10:11], vcc
	s_cbranch_execz .LBB845_775
; %bb.774:
	v_and_b32_e32 v15, 7, v2
	v_ffbh_u32_e32 v18, v15
	v_min_u32_e32 v20, 32, v18
	v_subrev_u32_e32 v18, 28, v20
	v_lshlrev_b64 v[18:19], v18, v[2:3]
	v_lshrrev_b32_e32 v17, 3, v16
	v_sub_u32_e32 v2, 29, v20
	v_and_b32_e32 v18, 7, v18
	v_cmp_gt_u32_e32 vcc, 8, v16
	v_mov_b32_e32 v16, 24
	v_cndmask_b32_e32 v2, v17, v2, vcc
	v_cndmask_b32_e32 v15, v15, v18, vcc
	v_lshlrev_b32_sdwa v16, v16, v5 dst_sel:DWORD dst_unused:UNUSED_PAD src0_sel:DWORD src1_sel:WORD_1
	v_bfrev_b32_e32 v17, 60
	v_lshlrev_b32_e32 v15, 20, v15
	v_and_b32_e32 v16, 0x80000000, v16
	v_lshl_add_u32 v2, v2, 23, v17
	v_or3_b32 v2, v16, v2, v15
	v_lshrrev_b32_e32 v15, 16, v2
.LBB845_775:
	s_or_b64 exec, exec, s[10:11]
.LBB845_776:
	s_or_b64 exec, exec, s[8:9]
.LBB845_777:
	s_or_b64 exec, exec, s[2:3]
	s_mov_b32 s2, 0xffffff
	v_cmp_lt_u32_e32 vcc, s2, v5
	s_and_saveexec_b64 s[2:3], vcc
	s_cbranch_execz .LBB845_783
; %bb.778:
	v_lshrrev_b32_e32 v2, 24, v5
	s_movk_i32 s7, 0x80
	v_cmp_ne_u32_e32 vcc, s7, v2
	v_mov_b32_e32 v14, 0xffff8000
	s_and_saveexec_b64 s[8:9], vcc
	s_cbranch_execz .LBB845_782
; %bb.779:
	v_bfe_u32 v5, v5, 24, 7
	s_movk_i32 s7, 0x7f
	v_cmp_ne_u32_e32 vcc, s7, v5
	v_mov_b32_e32 v14, 0x7f80
	s_and_saveexec_b64 s[10:11], vcc
	s_cbranch_execz .LBB845_781
; %bb.780:
	v_and_b32_e32 v14, 7, v2
	v_ffbh_u32_e32 v16, v14
	v_min_u32_e32 v19, 32, v16
	v_subrev_u32_e32 v16, 28, v19
	v_lshlrev_b64 v[16:17], v16, v[2:3]
	v_lshrrev_b32_e32 v18, 3, v5
	v_sub_u32_e32 v17, 29, v19
	v_and_b32_e32 v16, 7, v16
	v_cmp_gt_u32_e32 vcc, 8, v5
	v_cndmask_b32_e32 v5, v18, v17, vcc
	v_cndmask_b32_e32 v14, v14, v16, vcc
	v_lshlrev_b32_e32 v2, 24, v2
	v_bfrev_b32_e32 v16, 60
	v_lshlrev_b32_e32 v14, 20, v14
	v_and_b32_e32 v2, 0x80000000, v2
	v_lshl_add_u32 v5, v5, 23, v16
	v_or3_b32 v2, v2, v5, v14
	v_lshrrev_b32_e32 v14, 16, v2
.LBB845_781:
	s_or_b64 exec, exec, s[10:11]
.LBB845_782:
	s_or_b64 exec, exec, s[8:9]
.LBB845_783:
	s_or_b64 exec, exec, s[2:3]
	s_mov_b32 s3, 0x5040100
	v_perm_b32 v11, v11, v12, s3
	ds_read_b128 v[16:19], v50 offset:6160
	v_perm_b32 v10, v3, v10, s3
	v_perm_b32 v3, v14, v15, s3
	;; [unrolled: 1-line block ×3, first 2 shown]
	s_waitcnt lgkmcnt(0)
	v_mfma_f32_16x16x16bf16_1k v[6:9], v[10:11], v[16:17], v[6:9]
	s_load_dword s2, s[42:43], 0x0
	s_mov_b32 s3, 0x7060302
	s_movk_i32 s7, 0x7fff
	v_cmp_gt_u32_e32 vcc, 64, v0
	s_and_b64 s[0:1], vcc, s[0:1]
	s_waitcnt lgkmcnt(0)
	s_barrier
	v_mfma_f32_16x16x16bf16_1k v[2:5], v[2:3], v[18:19], v[6:9]
	s_nop 7
	s_nop 2
	v_pk_mul_f32 v[4:5], v[4:5], s[2:3] op_sel_hi:[1,0]
	v_pk_mul_f32 v[2:3], v[2:3], s[2:3] op_sel_hi:[1,0]
	v_bfe_u32 v6, v3, 16, 1
	v_bfe_u32 v7, v2, 16, 1
	;; [unrolled: 1-line block ×4, first 2 shown]
	v_add3_u32 v2, v2, v7, s7
	v_add3_u32 v3, v3, v6, s7
	;; [unrolled: 1-line block ×4, first 2 shown]
	v_perm_b32 v2, v3, v2, s3
	v_perm_b32 v3, v5, v4, s3
	ds_write_b64 v26, v[2:3]
	s_waitcnt lgkmcnt(0)
	s_barrier
	s_and_saveexec_b64 s[2:3], s[0:1]
	s_cbranch_execz .LBB845_785
; %bb.784:
	s_load_dwordx2 s[0:1], s[4:5], 0x68
	s_lshl_b32 s4, s44, 6
	s_mul_i32 s2, s12, s6
	s_mul_hi_u32 s3, s2, s4
	s_mul_i32 s2, s2, s4
	s_lshl_b64 s[2:3], s[2:3], 1
	s_waitcnt lgkmcnt(0)
	s_add_u32 s2, s0, s2
	s_addc_u32 s3, s1, s3
	s_lshl_b32 s0, s24, 6
	s_mov_b32 s1, 0
	v_lshlrev_b32_e32 v0, 10, v0
	s_lshl_b64 s[0:1], s[0:1], 1
	v_and_b32_e32 v0, 0x1800, v0
	v_lshlrev_b32_e32 v2, 5, v1
	v_and_b32_e32 v3, 16, v49
	s_add_u32 s0, s2, s0
	v_or3_b32 v0, v0, v2, v3
	s_addc_u32 s1, s3, s1
	ds_read_b128 v[2:5], v0
	ds_read_b128 v[6:9], v0 offset:128
	ds_read_b128 v[10:13], v0 offset:256
	;; [unrolled: 1-line block ×3, first 2 shown]
	v_mov_b32_e32 v0, s1
	v_add_co_u32_e32 v18, vcc, s0, v48
	v_or_b32_e32 v20, s25, v1
	v_addc_co_u32_e32 v19, vcc, 0, v0, vcc
	v_mad_u64_u32 v[0:1], s[0:1], v20, s4, 0
	v_lshlrev_b64 v[0:1], 1, v[0:1]
	v_add_co_u32_e32 v0, vcc, v18, v0
	v_addc_co_u32_e32 v1, vcc, v19, v1, vcc
	s_waitcnt lgkmcnt(3)
	global_store_dwordx4 v[0:1], v[2:5], off
	v_or_b32_e32 v0, 4, v20
	v_mad_u64_u32 v[0:1], s[0:1], v0, s4, 0
	v_lshlrev_b64 v[0:1], 1, v[0:1]
	v_add_co_u32_e32 v0, vcc, v18, v0
	v_addc_co_u32_e32 v1, vcc, v19, v1, vcc
	s_waitcnt lgkmcnt(2)
	global_store_dwordx4 v[0:1], v[6:9], off
	v_or_b32_e32 v0, 8, v20
	;; [unrolled: 7-line block ×3, first 2 shown]
	v_mad_u64_u32 v[0:1], s[0:1], v0, s4, 0
	v_lshlrev_b64 v[0:1], 1, v[0:1]
	v_add_co_u32_e32 v0, vcc, v18, v0
	v_addc_co_u32_e32 v1, vcc, v19, v1, vcc
	s_waitcnt lgkmcnt(0)
	global_store_dwordx4 v[0:1], v[14:17], off
.LBB845_785:
	s_endpgm
	.section	.rodata,"a",@progbits
	.p2align	6, 0x0
	.amdhsa_kernel _Z39paged_attention_ll4mi_QKV_mfma16_kernelI14__hip_bfloat16hLN4vllm18Fp8KVCacheDataTypeE1ES0_Li16ELi64ELi256ELb1ELi16EL8MFMAType0EEvPKT_PKT0_S9_ifPKiSB_SB_iPKfiiiPfSE_PS4_PT2_iSD_SD_
		.amdhsa_group_segment_fixed_size 8192
		.amdhsa_private_segment_fixed_size 0
		.amdhsa_kernarg_size 400
		.amdhsa_user_sgpr_count 6
		.amdhsa_user_sgpr_private_segment_buffer 1
		.amdhsa_user_sgpr_dispatch_ptr 0
		.amdhsa_user_sgpr_queue_ptr 0
		.amdhsa_user_sgpr_kernarg_segment_ptr 1
		.amdhsa_user_sgpr_dispatch_id 0
		.amdhsa_user_sgpr_flat_scratch_init 0
		.amdhsa_user_sgpr_kernarg_preload_length 0
		.amdhsa_user_sgpr_kernarg_preload_offset 0
		.amdhsa_user_sgpr_private_segment_size 0
		.amdhsa_uses_dynamic_stack 0
		.amdhsa_system_sgpr_private_segment_wavefront_offset 0
		.amdhsa_system_sgpr_workgroup_id_x 1
		.amdhsa_system_sgpr_workgroup_id_y 1
		.amdhsa_system_sgpr_workgroup_id_z 1
		.amdhsa_system_sgpr_workgroup_info 0
		.amdhsa_system_vgpr_workitem_id 0
		.amdhsa_next_free_vgpr 65
		.amdhsa_next_free_sgpr 47
		.amdhsa_accum_offset 68
		.amdhsa_reserve_vcc 1
		.amdhsa_reserve_flat_scratch 0
		.amdhsa_float_round_mode_32 0
		.amdhsa_float_round_mode_16_64 0
		.amdhsa_float_denorm_mode_32 3
		.amdhsa_float_denorm_mode_16_64 3
		.amdhsa_dx10_clamp 1
		.amdhsa_ieee_mode 1
		.amdhsa_fp16_overflow 0
		.amdhsa_tg_split 0
		.amdhsa_exception_fp_ieee_invalid_op 0
		.amdhsa_exception_fp_denorm_src 0
		.amdhsa_exception_fp_ieee_div_zero 0
		.amdhsa_exception_fp_ieee_overflow 0
		.amdhsa_exception_fp_ieee_underflow 0
		.amdhsa_exception_fp_ieee_inexact 0
		.amdhsa_exception_int_div_zero 0
	.end_amdhsa_kernel
	.section	.text._Z39paged_attention_ll4mi_QKV_mfma16_kernelI14__hip_bfloat16hLN4vllm18Fp8KVCacheDataTypeE1ES0_Li16ELi64ELi256ELb1ELi16EL8MFMAType0EEvPKT_PKT0_S9_ifPKiSB_SB_iPKfiiiPfSE_PS4_PT2_iSD_SD_,"axG",@progbits,_Z39paged_attention_ll4mi_QKV_mfma16_kernelI14__hip_bfloat16hLN4vllm18Fp8KVCacheDataTypeE1ES0_Li16ELi64ELi256ELb1ELi16EL8MFMAType0EEvPKT_PKT0_S9_ifPKiSB_SB_iPKfiiiPfSE_PS4_PT2_iSD_SD_,comdat
.Lfunc_end845:
	.size	_Z39paged_attention_ll4mi_QKV_mfma16_kernelI14__hip_bfloat16hLN4vllm18Fp8KVCacheDataTypeE1ES0_Li16ELi64ELi256ELb1ELi16EL8MFMAType0EEvPKT_PKT0_S9_ifPKiSB_SB_iPKfiiiPfSE_PS4_PT2_iSD_SD_, .Lfunc_end845-_Z39paged_attention_ll4mi_QKV_mfma16_kernelI14__hip_bfloat16hLN4vllm18Fp8KVCacheDataTypeE1ES0_Li16ELi64ELi256ELb1ELi16EL8MFMAType0EEvPKT_PKT0_S9_ifPKiSB_SB_iPKfiiiPfSE_PS4_PT2_iSD_SD_
                                        ; -- End function
	.section	.AMDGPU.csdata,"",@progbits
; Kernel info:
; codeLenInByte = 28600
; NumSgprs: 51
; NumVgprs: 65
; NumAgprs: 0
; TotalNumVgprs: 65
; ScratchSize: 0
; MemoryBound: 0
; FloatMode: 240
; IeeeMode: 1
; LDSByteSize: 8192 bytes/workgroup (compile time only)
; SGPRBlocks: 6
; VGPRBlocks: 8
; NumSGPRsForWavesPerEU: 51
; NumVGPRsForWavesPerEU: 65
; AccumOffset: 68
; Occupancy: 7
; WaveLimiterHint : 1
; COMPUTE_PGM_RSRC2:SCRATCH_EN: 0
; COMPUTE_PGM_RSRC2:USER_SGPR: 6
; COMPUTE_PGM_RSRC2:TRAP_HANDLER: 0
; COMPUTE_PGM_RSRC2:TGID_X_EN: 1
; COMPUTE_PGM_RSRC2:TGID_Y_EN: 1
; COMPUTE_PGM_RSRC2:TGID_Z_EN: 1
; COMPUTE_PGM_RSRC2:TIDIG_COMP_CNT: 0
; COMPUTE_PGM_RSRC3_GFX90A:ACCUM_OFFSET: 16
; COMPUTE_PGM_RSRC3_GFX90A:TG_SPLIT: 0
	.section	.text._Z39paged_attention_ll4mi_QKV_mfma16_kernelI14__hip_bfloat16hLN4vllm18Fp8KVCacheDataTypeE1ES0_Li16ELi64ELi256ELb1ELi1EL8MFMAType0EEvPKT_PKT0_S9_ifPKiSB_SB_iPKfiiiPfSE_PS4_PT2_iSD_SD_,"axG",@progbits,_Z39paged_attention_ll4mi_QKV_mfma16_kernelI14__hip_bfloat16hLN4vllm18Fp8KVCacheDataTypeE1ES0_Li16ELi64ELi256ELb1ELi1EL8MFMAType0EEvPKT_PKT0_S9_ifPKiSB_SB_iPKfiiiPfSE_PS4_PT2_iSD_SD_,comdat
	.protected	_Z39paged_attention_ll4mi_QKV_mfma16_kernelI14__hip_bfloat16hLN4vllm18Fp8KVCacheDataTypeE1ES0_Li16ELi64ELi256ELb1ELi1EL8MFMAType0EEvPKT_PKT0_S9_ifPKiSB_SB_iPKfiiiPfSE_PS4_PT2_iSD_SD_ ; -- Begin function _Z39paged_attention_ll4mi_QKV_mfma16_kernelI14__hip_bfloat16hLN4vllm18Fp8KVCacheDataTypeE1ES0_Li16ELi64ELi256ELb1ELi1EL8MFMAType0EEvPKT_PKT0_S9_ifPKiSB_SB_iPKfiiiPfSE_PS4_PT2_iSD_SD_
	.globl	_Z39paged_attention_ll4mi_QKV_mfma16_kernelI14__hip_bfloat16hLN4vllm18Fp8KVCacheDataTypeE1ES0_Li16ELi64ELi256ELb1ELi1EL8MFMAType0EEvPKT_PKT0_S9_ifPKiSB_SB_iPKfiiiPfSE_PS4_PT2_iSD_SD_
	.p2align	8
	.type	_Z39paged_attention_ll4mi_QKV_mfma16_kernelI14__hip_bfloat16hLN4vllm18Fp8KVCacheDataTypeE1ES0_Li16ELi64ELi256ELb1ELi1EL8MFMAType0EEvPKT_PKT0_S9_ifPKiSB_SB_iPKfiiiPfSE_PS4_PT2_iSD_SD_,@function
_Z39paged_attention_ll4mi_QKV_mfma16_kernelI14__hip_bfloat16hLN4vllm18Fp8KVCacheDataTypeE1ES0_Li16ELi64ELi256ELb1ELi1EL8MFMAType0EEvPKT_PKT0_S9_ifPKiSB_SB_iPKfiiiPfSE_PS4_PT2_iSD_SD_: ; @_Z39paged_attention_ll4mi_QKV_mfma16_kernelI14__hip_bfloat16hLN4vllm18Fp8KVCacheDataTypeE1ES0_Li16ELi64ELi256ELb1ELi1EL8MFMAType0EEvPKT_PKT0_S9_ifPKiSB_SB_iPKfiiiPfSE_PS4_PT2_iSD_SD_
; %bb.0:
	s_load_dwordx2 s[0:1], s[4:5], 0x30
	s_mov_b32 s26, s7
	s_mov_b64 s[10:11], 0
	s_waitcnt lgkmcnt(0)
	s_cmp_lg_u64 s[0:1], 0
	s_cselect_b64 s[2:3], -1, 0
	s_and_b64 vcc, exec, s[2:3]
	s_cbranch_vccz .LBB846_7
; %bb.1:
	s_add_i32 s12, s6, 1
	s_mov_b32 s13, 0
	s_lshl_b64 s[14:15], s[12:13], 2
	s_add_u32 s14, s0, s14
	s_mov_b32 s7, s13
	s_addc_u32 s15, s1, s15
	s_lshl_b64 s[12:13], s[6:7], 2
	s_add_u32 s12, s0, s12
	s_addc_u32 s13, s1, s13
	s_load_dword s9, s[14:15], 0x0
	s_load_dword s16, s[12:13], 0x0
	s_waitcnt lgkmcnt(0)
	s_sub_i32 s9, s9, s16
	s_cmp_eq_u32 s9, 1
	s_cselect_b64 s[12:13], -1, 0
	s_andn2_b64 vcc, exec, s[10:11]
	s_cbranch_vccnz .LBB846_3
.LBB846_2:
	s_mov_b32 s7, 0
	s_mov_b64 s[12:13], -1
.LBB846_3:
	s_andn2_b64 vcc, exec, s[12:13]
	s_cbranch_vccnz .LBB846_787
; %bb.4:
	s_load_dwordx2 s[12:13], s[4:5], 0x28
	s_lshl_b64 s[10:11], s[6:7], 2
	s_waitcnt lgkmcnt(0)
	s_add_u32 s12, s12, s10
	s_addc_u32 s13, s13, s11
	s_load_dword s27, s[12:13], 0x0
	s_lshl_b32 s18, s26, 8
	s_waitcnt lgkmcnt(0)
	s_cmp_ge_i32 s18, s27
	s_cbranch_scc1 .LBB846_787
; %bb.5:
	s_add_i32 s14, s27, 15
	s_load_dwordx2 s[12:13], s[4:5], 0x20
	s_load_dword s9, s[4:5], 0x38
	s_ashr_i32 s15, s14, 31
	v_and_b32_e32 v1, 0xcf, v0
	s_lshr_b32 s15, s15, 28
	v_add_u32_e32 v1, s18, v1
	s_add_i32 s14, s14, s15
	v_ashrrev_i32_e32 v2, 31, v1
	s_ashr_i32 s21, s14, 4
	v_lshrrev_b32_e32 v4, 28, v2
	s_add_i32 s21, s21, -1
	v_add_u32_e32 v2, v1, v4
	s_waitcnt lgkmcnt(0)
	s_mul_i32 s14, s6, s9
	s_mov_b32 s15, 0
	v_ashrrev_i32_e32 v2, 4, v2
	v_mov_b32_e32 v5, s21
	v_cmp_gt_i32_e32 vcc, s27, v1
	s_lshl_b64 s[14:15], s[14:15], 2
	v_cndmask_b32_e32 v2, v5, v2, vcc
	s_add_u32 s19, s12, s14
	v_ashrrev_i32_e32 v3, 31, v2
	s_addc_u32 s20, s13, s15
	v_lshlrev_b64 v[2:3], 2, v[2:3]
	v_mov_b32_e32 v7, s20
	v_add_co_u32_e32 v6, vcc, s19, v2
	v_or_b32_e32 v2, 16, v1
	v_addc_co_u32_e32 v7, vcc, v7, v3, vcc
	v_add_u32_e32 v3, v2, v4
	v_ashrrev_i32_e32 v3, 4, v3
	v_cmp_gt_i32_e32 vcc, s27, v2
	v_cndmask_b32_e32 v2, v5, v3, vcc
	v_ashrrev_i32_e32 v3, 31, v2
	v_lshlrev_b64 v[2:3], 2, v[2:3]
	v_mov_b32_e32 v9, s20
	v_add_co_u32_e32 v8, vcc, s19, v2
	v_or_b32_e32 v2, 32, v1
	v_addc_co_u32_e32 v9, vcc, v9, v3, vcc
	v_add_u32_e32 v3, v2, v4
	v_ashrrev_i32_e32 v3, 4, v3
	v_cmp_gt_i32_e32 vcc, s27, v2
	v_cndmask_b32_e32 v2, v5, v3, vcc
	v_ashrrev_i32_e32 v3, 31, v2
	;; [unrolled: 10-line block ×3, first 2 shown]
	v_lshlrev_b64 v[2:3], 2, v[2:3]
	v_mov_b32_e32 v1, s20
	v_add_co_u32_e32 v12, vcc, s19, v2
	v_addc_co_u32_e32 v13, vcc, v1, v3, vcc
	global_load_dword v5, v[6:7], off
	global_load_dword v4, v[8:9], off
	;; [unrolled: 1-line block ×4, first 2 shown]
	s_load_dwordx2 s[16:17], s[4:5], 0x8
	s_andn2_b64 vcc, exec, s[2:3]
	s_cbranch_vccnz .LBB846_8
; %bb.6:
	s_add_u32 s0, s0, s10
	s_addc_u32 s1, s1, s11
	s_load_dword s9, s[0:1], 0x0
	s_branch .LBB846_9
.LBB846_7:
	s_mov_b64 s[12:13], 0
	s_branch .LBB846_2
.LBB846_8:
	s_mov_b32 s9, s6
.LBB846_9:
	s_load_dwordx2 s[2:3], s[4:5], 0x10
	s_load_dwordx4 s[12:15], s[4:5], 0x48
	v_lshrrev_b32_e32 v48, 6, v0
	v_bfe_u32 v46, v0, 4, 2
	v_lshl_or_b32 v1, v48, 2, v46
	v_and_b32_e32 v49, 15, v0
	v_lshlrev_b32_e32 v6, 3, v49
	v_cmp_eq_u32_e32 vcc, 0, v1
	v_cmp_gt_u32_e64 s[0:1], 8, v49
	s_and_b64 s[22:23], s[0:1], vcc
	v_lshlrev_b32_e32 v1, 1, v6
	v_lshlrev_b32_e32 v47, 4, v0
	s_and_saveexec_b64 s[10:11], s[22:23]
	s_cbranch_execz .LBB846_11
; %bb.10:
	s_load_dwordx2 s[22:23], s[4:5], 0x0
	s_waitcnt lgkmcnt(0)
	s_ashr_i32 s15, s12, 31
	s_mul_hi_u32 s24, s9, s12
	s_mul_i32 s15, s9, s15
	s_add_i32 s25, s24, s15
	s_mul_i32 s24, s9, s12
	s_lshl_b64 s[24:25], s[24:25], 1
	s_add_u32 s9, s22, s24
	s_addc_u32 s12, s23, s25
	s_lshl_b32 s22, s8, 6
	s_ashr_i32 s23, s22, 31
	s_lshl_b64 s[22:23], s[22:23], 1
	s_add_u32 s22, s9, s22
	s_addc_u32 s23, s12, s23
	global_load_dwordx4 v[6:9], v1, s[22:23]
	v_lshlrev_b32_e32 v10, 8, v49
	v_and_b32_e32 v11, 16, v47
	s_movk_i32 s9, 0xe00
	v_and_or_b32 v10, v10, s9, v11
	s_waitcnt vmcnt(0)
	ds_write_b128 v10, v[6:9]
.LBB846_11:
	s_or_b64 exec, exec, s[10:11]
	s_waitcnt lgkmcnt(0)
	s_mul_i32 s12, s8, s14
	s_add_u32 s9, s16, s12
	s_addc_u32 s10, s17, 0
	v_and_b32_e32 v7, 0xf0, v47
	v_and_b32_e32 v6, 48, v0
	v_mov_b32_e32 v8, s10
	v_add_co_u32_e32 v7, vcc, s9, v7
	v_addc_co_u32_e32 v9, vcc, 0, v8, vcc
	v_lshlrev_b32_e32 v8, 4, v6
	v_add_co_u32_e32 v8, vcc, v7, v8
	v_addc_co_u32_e32 v9, vcc, 0, v9, vcc
	s_waitcnt vmcnt(3)
	v_mad_i64_i32 v[10:11], s[10:11], v5, s13, v[8:9]
	s_waitcnt vmcnt(2)
	v_mad_i64_i32 v[4:5], s[10:11], v4, s13, v[8:9]
	s_barrier
	global_load_dwordx4 v[34:37], v[10:11], off
	global_load_dwordx4 v[38:41], v[4:5], off
	s_waitcnt vmcnt(3)
	v_mad_i64_i32 v[4:5], s[10:11], v2, s13, v[8:9]
	s_waitcnt vmcnt(2)
	v_mad_i64_i32 v[2:3], s[10:11], v3, s13, v[8:9]
	global_load_dwordx4 v[30:33], v[4:5], off
	global_load_dwordx4 v[22:25], v[2:3], off
	v_lshlrev_b32_e32 v2, 9, v46
	ds_read_b128 v[26:29], v2
	ds_read_b128 v[18:21], v2 offset:16
	v_cmp_eq_u32_e32 vcc, 0, v49
	v_mov_b32_e32 v43, 0
	v_mov_b32_e32 v50, 0
	s_and_saveexec_b64 s[10:11], vcc
	s_cbranch_execz .LBB846_13
; %bb.12:
	s_load_dwordx2 s[14:15], s[4:5], 0x40
	s_ashr_i32 s9, s8, 31
	s_lshl_b64 s[16:17], s[8:9], 2
	s_waitcnt lgkmcnt(0)
	s_add_u32 s14, s14, s16
	s_addc_u32 s15, s15, s17
	s_load_dword s9, s[14:15], 0x0
	s_waitcnt lgkmcnt(0)
	v_mov_b32_e32 v50, s9
.LBB846_13:
	s_or_b64 exec, exec, s[10:11]
	v_or_b32_e32 v8, s18, v6
	v_ashrrev_i32_e32 v2, 4, v8
	v_mov_b32_e32 v9, s21
	v_cmp_gt_i32_e32 vcc, s27, v8
	v_cndmask_b32_e32 v2, v9, v2, vcc
	v_ashrrev_i32_e32 v3, 31, v2
	v_lshlrev_b64 v[2:3], 2, v[2:3]
	v_mov_b32_e32 v4, s20
	v_add_co_u32_e32 v2, vcc, s19, v2
	v_addc_co_u32_e32 v3, vcc, v4, v3, vcc
	v_or_b32_e32 v4, 64, v8
	v_ashrrev_i32_e32 v5, 4, v4
	v_cmp_gt_i32_e32 vcc, s27, v4
	v_cndmask_b32_e32 v4, v9, v5, vcc
	v_ashrrev_i32_e32 v5, 31, v4
	v_lshlrev_b64 v[4:5], 2, v[4:5]
	v_mov_b32_e32 v6, s20
	v_add_co_u32_e32 v4, vcc, s19, v4
	v_addc_co_u32_e32 v5, vcc, v6, v5, vcc
	v_or_b32_e32 v6, 0x80, v8
	v_ashrrev_i32_e32 v7, 4, v6
	v_cmp_gt_i32_e32 vcc, s27, v6
	v_cndmask_b32_e32 v6, v9, v7, vcc
	v_ashrrev_i32_e32 v7, 31, v6
	v_lshlrev_b64 v[6:7], 2, v[6:7]
	v_mov_b32_e32 v10, s20
	v_add_co_u32_e32 v6, vcc, s19, v6
	v_addc_co_u32_e32 v7, vcc, v10, v7, vcc
	global_load_dword v10, v[2:3], off
	global_load_dword v11, v[4:5], off
	;; [unrolled: 1-line block ×3, first 2 shown]
	v_or_b32_e32 v2, 0xc0, v8
	v_ashrrev_i32_e32 v3, 4, v2
	v_cmp_gt_i32_e32 vcc, s27, v2
	v_cndmask_b32_e32 v2, v9, v3, vcc
	v_ashrrev_i32_e32 v3, 31, v2
	v_lshlrev_b64 v[2:3], 2, v[2:3]
	v_mov_b32_e32 v4, s20
	v_add_co_u32_e32 v2, vcc, s19, v2
	v_addc_co_u32_e32 v3, vcc, v4, v3, vcc
	global_load_dword v13, v[2:3], off
	s_add_u32 s2, s2, s12
	v_lshlrev_b32_e32 v2, 4, v49
	s_addc_u32 s3, s3, 0
	v_lshl_or_b32 v2, v48, 8, v2
	v_mov_b32_e32 v3, s3
	v_add_co_u32_e32 v2, vcc, s2, v2
	v_addc_co_u32_e32 v3, vcc, 0, v3, vcc
	s_movk_i32 s10, 0x80
	s_waitcnt vmcnt(3)
	v_mad_i64_i32 v[4:5], s[2:3], v10, s13, v[2:3]
	s_waitcnt vmcnt(2)
	v_mad_i64_i32 v[6:7], s[2:3], v11, s13, v[2:3]
	;; [unrolled: 2-line block ×4, first 2 shown]
	global_load_dwordx4 v[14:17], v[4:5], off
	global_load_dwordx4 v[10:13], v[6:7], off
                                        ; kill: killed $vgpr6_vgpr7
                                        ; kill: killed $vgpr4_vgpr5
	s_nop 0
	global_load_dwordx4 v[6:9], v[8:9], off
	s_nop 0
	global_load_dwordx4 v[2:5], v[2:3], off
	s_load_dwordx4 s[44:47], s[4:5], 0x80
	s_load_dwordx2 s[48:49], s[4:5], 0x94
	v_cmp_ne_u16_sdwa s[12:13], v34, v43 src0_sel:BYTE_0 src1_sel:DWORD
                                        ; kill: killed $sgpr44_sgpr45
	s_waitcnt lgkmcnt(0)
	s_load_dword s9, s[44:45], 0x0
	s_and_saveexec_b64 s[2:3], s[12:13]
	s_cbranch_execz .LBB846_19
; %bb.14:
	v_cmp_ne_u16_sdwa s[12:13], v34, s10 src0_sel:BYTE_0 src1_sel:DWORD
	v_mov_b32_e32 v43, 0xffff8000
	s_and_saveexec_b64 s[10:11], s[12:13]
	s_cbranch_execz .LBB846_18
; %bb.15:
	s_movk_i32 s12, 0x7f
	v_and_b32_e32 v42, 0x7f, v34
	v_cmp_ne_u32_e32 vcc, s12, v42
	v_mov_b32_e32 v43, 0x7f80
	s_and_saveexec_b64 s[12:13], vcc
	s_cbranch_execz .LBB846_17
; %bb.16:
	v_and_b32_e32 v43, 7, v34
	v_ffbh_u32_e32 v44, v43
	v_min_u32_e32 v52, 32, v44
	v_subrev_u32_e32 v44, 28, v52
	v_lshlrev_b64 v[44:45], v44, v[34:35]
	v_lshrrev_b32_e32 v51, 3, v42
	v_sub_u32_e32 v45, 29, v52
	v_and_b32_e32 v44, 7, v44
	v_cmp_gt_u32_e32 vcc, 8, v42
	v_cndmask_b32_e32 v42, v51, v45, vcc
	v_cndmask_b32_e32 v43, v43, v44, vcc
	v_lshlrev_b32_e32 v44, 24, v34
	v_bfrev_b32_e32 v45, 60
	v_lshlrev_b32_e32 v43, 20, v43
	v_and_b32_e32 v44, 0x80000000, v44
	v_lshl_add_u32 v42, v42, 23, v45
	v_or3_b32 v42, v44, v42, v43
	v_lshrrev_b32_e32 v43, 16, v42
.LBB846_17:
	s_or_b64 exec, exec, s[12:13]
.LBB846_18:
	s_or_b64 exec, exec, s[10:11]
.LBB846_19:
	s_or_b64 exec, exec, s[2:3]
	v_lshrrev_b16_e32 v42, 8, v34
	v_cmp_ne_u16_e32 vcc, 0, v42
	v_mov_b32_e32 v45, 0
	v_mov_b32_e32 v44, 0
	s_and_saveexec_b64 s[2:3], vcc
	s_cbranch_execz .LBB846_25
; %bb.20:
	s_movk_i32 s10, 0x80
	v_cmp_ne_u16_sdwa s[12:13], v34, s10 src0_sel:BYTE_1 src1_sel:DWORD
	v_mov_b32_e32 v44, 0xffff8000
	s_and_saveexec_b64 s[10:11], s[12:13]
	s_cbranch_execz .LBB846_24
; %bb.21:
	s_movk_i32 s12, 0x7f
	v_and_b32_e32 v51, 0x7f, v42
	v_cmp_ne_u32_e32 vcc, s12, v51
	v_mov_b32_e32 v44, 0x7f80
	s_and_saveexec_b64 s[12:13], vcc
	s_cbranch_execz .LBB846_23
; %bb.22:
	v_and_b32_e32 v44, 7, v42
	v_ffbh_u32_e32 v52, v44
	v_min_u32_e32 v55, 32, v52
	v_subrev_u32_e32 v52, 28, v55
	v_lshlrev_b64 v[52:53], v52, v[42:43]
	v_lshrrev_b32_e32 v54, 3, v51
	v_sub_u32_e32 v42, 29, v55
	v_and_b32_e32 v52, 7, v52
	v_cmp_gt_u32_e32 vcc, 8, v51
	v_cndmask_b32_e32 v42, v54, v42, vcc
	v_cndmask_b32_e32 v44, v44, v52, vcc
	v_lshlrev_b32_e32 v51, 16, v34
	v_bfrev_b32_e32 v52, 60
	v_lshlrev_b32_e32 v44, 20, v44
	v_and_b32_e32 v51, 0x80000000, v51
	v_lshl_add_u32 v42, v42, 23, v52
	v_or3_b32 v42, v51, v42, v44
	v_lshrrev_b32_e32 v44, 16, v42
.LBB846_23:
	s_or_b64 exec, exec, s[12:13]
.LBB846_24:
	s_or_b64 exec, exec, s[10:11]
.LBB846_25:
	s_or_b64 exec, exec, s[2:3]
	s_movk_i32 s2, 0xff
	v_and_b32_sdwa v51, v34, s2 dst_sel:DWORD dst_unused:UNUSED_PAD src0_sel:WORD_1 src1_sel:DWORD
	v_lshrrev_b32_e32 v42, 16, v34
	v_cmp_ne_u16_e32 vcc, 0, v51
	s_and_saveexec_b64 s[2:3], vcc
	s_cbranch_execz .LBB846_31
; %bb.26:
	s_movk_i32 s10, 0x80
	v_cmp_ne_u16_e32 vcc, s10, v51
	v_mov_b32_e32 v45, 0xffff8000
	s_and_saveexec_b64 s[10:11], vcc
	s_cbranch_execz .LBB846_30
; %bb.27:
	v_bfe_u32 v51, v34, 16, 7
	s_movk_i32 s12, 0x7f
	v_cmp_ne_u32_e32 vcc, s12, v51
	v_mov_b32_e32 v45, 0x7f80
	s_and_saveexec_b64 s[12:13], vcc
	s_cbranch_execz .LBB846_29
; %bb.28:
	v_and_b32_e32 v45, 7, v42
	v_ffbh_u32_e32 v52, v45
	v_min_u32_e32 v55, 32, v52
	v_subrev_u32_e32 v52, 28, v55
	v_lshlrev_b64 v[52:53], v52, v[42:43]
	v_lshrrev_b32_e32 v54, 3, v51
	v_sub_u32_e32 v42, 29, v55
	v_and_b32_e32 v52, 7, v52
	v_cmp_gt_u32_e32 vcc, 8, v51
	v_mov_b32_e32 v51, 24
	v_cndmask_b32_e32 v42, v54, v42, vcc
	v_cndmask_b32_e32 v45, v45, v52, vcc
	v_lshlrev_b32_sdwa v51, v51, v34 dst_sel:DWORD dst_unused:UNUSED_PAD src0_sel:DWORD src1_sel:WORD_1
	v_bfrev_b32_e32 v52, 60
	v_lshlrev_b32_e32 v45, 20, v45
	v_and_b32_e32 v51, 0x80000000, v51
	v_lshl_add_u32 v42, v42, 23, v52
	v_or3_b32 v42, v51, v42, v45
	v_lshrrev_b32_e32 v45, 16, v42
.LBB846_29:
	s_or_b64 exec, exec, s[12:13]
.LBB846_30:
	s_or_b64 exec, exec, s[10:11]
.LBB846_31:
	s_or_b64 exec, exec, s[2:3]
	s_mov_b32 s2, 0xffffff
	v_cmp_lt_u32_e32 vcc, s2, v34
	v_mov_b32_e32 v52, 0
	v_mov_b32_e32 v53, 0
	s_and_saveexec_b64 s[2:3], vcc
	s_cbranch_execz .LBB846_37
; %bb.32:
	v_lshrrev_b32_e32 v42, 24, v34
	s_movk_i32 s10, 0x80
	v_cmp_ne_u32_e32 vcc, s10, v42
	v_mov_b32_e32 v53, 0xffff8000
	s_and_saveexec_b64 s[10:11], vcc
	s_cbranch_execz .LBB846_36
; %bb.33:
	v_bfe_u32 v34, v34, 24, 7
	s_movk_i32 s12, 0x7f
	v_cmp_ne_u32_e32 vcc, s12, v34
	v_mov_b32_e32 v53, 0x7f80
	s_and_saveexec_b64 s[12:13], vcc
	s_cbranch_execz .LBB846_35
; %bb.34:
	v_and_b32_e32 v51, 7, v42
	v_ffbh_u32_e32 v54, v51
	v_min_u32_e32 v56, 32, v54
	v_subrev_u32_e32 v54, 28, v56
	v_lshlrev_b64 v[54:55], v54, v[42:43]
	v_lshrrev_b32_e32 v53, 3, v34
	v_sub_u32_e32 v55, 29, v56
	v_and_b32_e32 v54, 7, v54
	v_cmp_gt_u32_e32 vcc, 8, v34
	v_cndmask_b32_e32 v34, v53, v55, vcc
	v_cndmask_b32_e32 v51, v51, v54, vcc
	v_lshlrev_b32_e32 v42, 24, v42
	v_bfrev_b32_e32 v53, 60
	v_lshlrev_b32_e32 v51, 20, v51
	v_and_b32_e32 v42, 0x80000000, v42
	v_lshl_add_u32 v34, v34, 23, v53
	v_or3_b32 v34, v42, v34, v51
	v_lshrrev_b32_e32 v53, 16, v34
.LBB846_35:
	s_or_b64 exec, exec, s[12:13]
.LBB846_36:
	s_or_b64 exec, exec, s[10:11]
.LBB846_37:
	s_or_b64 exec, exec, s[2:3]
	v_cmp_ne_u16_sdwa s[10:11], v35, v52 src0_sel:BYTE_0 src1_sel:DWORD
	s_and_saveexec_b64 s[2:3], s[10:11]
	s_cbranch_execz .LBB846_43
; %bb.38:
	s_movk_i32 s10, 0x80
	v_cmp_ne_u16_sdwa s[12:13], v35, s10 src0_sel:BYTE_0 src1_sel:DWORD
	v_mov_b32_e32 v52, 0xffff8000
	s_and_saveexec_b64 s[10:11], s[12:13]
	s_cbranch_execz .LBB846_42
; %bb.39:
	s_movk_i32 s12, 0x7f
	v_and_b32_e32 v34, 0x7f, v35
	v_cmp_ne_u32_e32 vcc, s12, v34
	v_mov_b32_e32 v52, 0x7f80
	s_and_saveexec_b64 s[12:13], vcc
	s_cbranch_execz .LBB846_41
; %bb.40:
	v_and_b32_e32 v51, 7, v35
	v_ffbh_u32_e32 v54, v51
	v_min_u32_e32 v56, 32, v54
	v_mov_b32_e32 v42, v35
	v_subrev_u32_e32 v54, 28, v56
	v_lshlrev_b64 v[54:55], v54, v[42:43]
	v_lshrrev_b32_e32 v52, 3, v34
	v_sub_u32_e32 v42, 29, v56
	v_and_b32_e32 v54, 7, v54
	v_cmp_gt_u32_e32 vcc, 8, v34
	v_cndmask_b32_e32 v34, v52, v42, vcc
	v_cndmask_b32_e32 v42, v51, v54, vcc
	v_lshlrev_b32_e32 v51, 24, v35
	v_bfrev_b32_e32 v52, 60
	v_lshlrev_b32_e32 v42, 20, v42
	v_and_b32_e32 v51, 0x80000000, v51
	v_lshl_add_u32 v34, v34, 23, v52
	v_or3_b32 v34, v51, v34, v42
	v_lshrrev_b32_e32 v52, 16, v34
.LBB846_41:
	s_or_b64 exec, exec, s[12:13]
.LBB846_42:
	s_or_b64 exec, exec, s[10:11]
.LBB846_43:
	s_or_b64 exec, exec, s[2:3]
	v_lshrrev_b16_e32 v34, 8, v35
	v_cmp_ne_u16_e32 vcc, 0, v34
	v_mov_b32_e32 v54, 0
	v_mov_b32_e32 v42, 0
	s_and_saveexec_b64 s[2:3], vcc
	s_cbranch_execz .LBB846_49
; %bb.44:
	s_movk_i32 s10, 0x80
	v_cmp_ne_u16_e32 vcc, s10, v34
	v_mov_b32_e32 v42, 0xffff8000
	s_and_saveexec_b64 s[10:11], vcc
	s_cbranch_execz .LBB846_48
; %bb.45:
	s_movk_i32 s12, 0x7f
	v_and_b32_e32 v51, 0x7f, v34
	v_cmp_ne_u32_e32 vcc, s12, v51
	v_mov_b32_e32 v42, 0x7f80
	s_and_saveexec_b64 s[12:13], vcc
	s_cbranch_execz .LBB846_47
; %bb.46:
	v_and_b32_e32 v42, 7, v34
	v_ffbh_u32_e32 v56, v42
	v_min_u32_e32 v58, 32, v56
	v_subrev_u32_e32 v56, 28, v58
	v_lshlrev_b64 v[56:57], v56, v[34:35]
	v_lshrrev_b32_e32 v55, 3, v51
	v_sub_u32_e32 v34, 29, v58
	v_and_b32_e32 v56, 7, v56
	v_cmp_gt_u32_e32 vcc, 8, v51
	v_cndmask_b32_e32 v34, v55, v34, vcc
	v_cndmask_b32_e32 v42, v42, v56, vcc
	v_lshlrev_b32_e32 v51, 16, v35
	v_bfrev_b32_e32 v55, 60
	v_lshlrev_b32_e32 v42, 20, v42
	v_and_b32_e32 v51, 0x80000000, v51
	v_lshl_add_u32 v34, v34, 23, v55
	v_or3_b32 v34, v51, v34, v42
	v_lshrrev_b32_e32 v42, 16, v34
.LBB846_47:
	s_or_b64 exec, exec, s[12:13]
.LBB846_48:
	s_or_b64 exec, exec, s[10:11]
.LBB846_49:
	s_or_b64 exec, exec, s[2:3]
	s_movk_i32 s2, 0xff
	v_and_b32_sdwa v51, v35, s2 dst_sel:DWORD dst_unused:UNUSED_PAD src0_sel:WORD_1 src1_sel:DWORD
	v_lshrrev_b32_e32 v34, 16, v35
	v_cmp_ne_u16_e32 vcc, 0, v51
	s_and_saveexec_b64 s[2:3], vcc
	s_cbranch_execz .LBB846_55
; %bb.50:
	s_movk_i32 s10, 0x80
	v_cmp_ne_u16_e32 vcc, s10, v51
	v_mov_b32_e32 v54, 0xffff8000
	s_and_saveexec_b64 s[10:11], vcc
	s_cbranch_execz .LBB846_54
; %bb.51:
	v_bfe_u32 v51, v35, 16, 7
	s_movk_i32 s12, 0x7f
	v_cmp_ne_u32_e32 vcc, s12, v51
	v_mov_b32_e32 v54, 0x7f80
	s_and_saveexec_b64 s[12:13], vcc
	s_cbranch_execz .LBB846_53
; %bb.52:
	v_and_b32_e32 v56, 7, v34
	v_ffbh_u32_e32 v54, v56
	v_min_u32_e32 v58, 32, v54
	v_subrev_u32_e32 v54, 28, v58
	v_lshlrev_b64 v[54:55], v54, v[34:35]
	v_and_b32_e32 v54, 7, v54
	v_cmp_gt_u32_e32 vcc, 8, v51
	v_lshrrev_b32_e32 v57, 3, v51
	v_sub_u32_e32 v34, 29, v58
	v_cndmask_b32_e32 v51, v56, v54, vcc
	v_mov_b32_e32 v54, 24
	v_cndmask_b32_e32 v34, v57, v34, vcc
	v_lshlrev_b32_sdwa v54, v54, v35 dst_sel:DWORD dst_unused:UNUSED_PAD src0_sel:DWORD src1_sel:WORD_1
	v_bfrev_b32_e32 v55, 60
	v_lshlrev_b32_e32 v51, 20, v51
	v_and_b32_e32 v54, 0x80000000, v54
	v_lshl_add_u32 v34, v34, 23, v55
	v_or3_b32 v34, v54, v34, v51
	v_lshrrev_b32_e32 v54, 16, v34
.LBB846_53:
	s_or_b64 exec, exec, s[12:13]
.LBB846_54:
	s_or_b64 exec, exec, s[10:11]
.LBB846_55:
	s_or_b64 exec, exec, s[2:3]
	s_mov_b32 s2, 0xffffff
	v_cmp_lt_u32_e32 vcc, s2, v35
	v_mov_b32_e32 v51, 0
	v_mov_b32_e32 v55, 0
	s_and_saveexec_b64 s[2:3], vcc
	s_cbranch_execz .LBB846_61
; %bb.56:
	v_lshrrev_b32_e32 v34, 24, v35
	s_movk_i32 s10, 0x80
	v_cmp_ne_u32_e32 vcc, s10, v34
	v_mov_b32_e32 v55, 0xffff8000
	s_and_saveexec_b64 s[10:11], vcc
	s_cbranch_execz .LBB846_60
; %bb.57:
	v_bfe_u32 v35, v35, 24, 7
	s_movk_i32 s12, 0x7f
	v_cmp_ne_u32_e32 vcc, s12, v35
	v_mov_b32_e32 v55, 0x7f80
	s_and_saveexec_b64 s[12:13], vcc
	s_cbranch_execz .LBB846_59
; %bb.58:
	v_and_b32_e32 v55, 7, v34
	v_ffbh_u32_e32 v56, v55
	v_min_u32_e32 v59, 32, v56
	v_subrev_u32_e32 v56, 28, v59
	v_lshlrev_b64 v[56:57], v56, v[34:35]
	v_lshrrev_b32_e32 v58, 3, v35
	v_sub_u32_e32 v57, 29, v59
	v_and_b32_e32 v56, 7, v56
	v_cmp_gt_u32_e32 vcc, 8, v35
	v_cndmask_b32_e32 v35, v58, v57, vcc
	v_cndmask_b32_e32 v55, v55, v56, vcc
	v_lshlrev_b32_e32 v34, 24, v34
	v_bfrev_b32_e32 v56, 60
	v_lshlrev_b32_e32 v55, 20, v55
	v_and_b32_e32 v34, 0x80000000, v34
	v_lshl_add_u32 v35, v35, 23, v56
	v_or3_b32 v34, v34, v35, v55
	v_lshrrev_b32_e32 v55, 16, v34
.LBB846_59:
	s_or_b64 exec, exec, s[12:13]
.LBB846_60:
	s_or_b64 exec, exec, s[10:11]
.LBB846_61:
	s_or_b64 exec, exec, s[2:3]
	s_mov_b32 s2, 0x5040100
	v_perm_b32 v35, v53, v45, s2
	v_perm_b32 v34, v44, v43, s2
	v_cmp_ne_u16_sdwa s[10:11], v36, v51 src0_sel:BYTE_0 src1_sel:DWORD
	s_nop 0
	v_mfma_f32_16x16x16bf16_1k v[56:59], v[34:35], v[26:27], 0
	v_perm_b32 v35, v55, v54, s2
	v_perm_b32 v34, v42, v52, s2
	s_nop 1
	v_mfma_f32_16x16x16bf16_1k v[42:45], v[34:35], v[28:29], v[56:59]
	s_and_saveexec_b64 s[2:3], s[10:11]
	s_cbranch_execz .LBB846_67
; %bb.62:
	s_movk_i32 s10, 0x80
	v_cmp_ne_u16_sdwa s[12:13], v36, s10 src0_sel:BYTE_0 src1_sel:DWORD
	v_mov_b32_e32 v51, 0xffff8000
	s_and_saveexec_b64 s[10:11], s[12:13]
	s_cbranch_execz .LBB846_66
; %bb.63:
	s_movk_i32 s12, 0x7f
	v_and_b32_e32 v34, 0x7f, v36
	v_cmp_ne_u32_e32 vcc, s12, v34
	v_mov_b32_e32 v51, 0x7f80
	s_and_saveexec_b64 s[12:13], vcc
	s_cbranch_execz .LBB846_65
; %bb.64:
	v_and_b32_e32 v35, 7, v36
	v_ffbh_u32_e32 v52, v35
	v_min_u32_e32 v54, 32, v52
	v_subrev_u32_e32 v52, 28, v54
	v_lshlrev_b64 v[52:53], v52, v[36:37]
	v_lshrrev_b32_e32 v51, 3, v34
	v_sub_u32_e32 v53, 29, v54
	v_and_b32_e32 v52, 7, v52
	v_cmp_gt_u32_e32 vcc, 8, v34
	v_cndmask_b32_e32 v34, v51, v53, vcc
	v_cndmask_b32_e32 v35, v35, v52, vcc
	v_lshlrev_b32_e32 v51, 24, v36
	v_bfrev_b32_e32 v52, 60
	v_lshlrev_b32_e32 v35, 20, v35
	v_and_b32_e32 v51, 0x80000000, v51
	v_lshl_add_u32 v34, v34, 23, v52
	v_or3_b32 v34, v51, v34, v35
	v_lshrrev_b32_e32 v51, 16, v34
.LBB846_65:
	s_or_b64 exec, exec, s[12:13]
.LBB846_66:
	s_or_b64 exec, exec, s[10:11]
.LBB846_67:
	s_or_b64 exec, exec, s[2:3]
	v_lshrrev_b16_e32 v34, 8, v36
	v_cmp_ne_u16_e32 vcc, 0, v34
	v_mov_b32_e32 v53, 0
	v_mov_b32_e32 v35, 0
	s_and_saveexec_b64 s[2:3], vcc
	s_cbranch_execz .LBB846_73
; %bb.68:
	s_movk_i32 s10, 0x80
	v_cmp_ne_u16_e32 vcc, s10, v34
	v_mov_b32_e32 v35, 0xffff8000
	s_and_saveexec_b64 s[10:11], vcc
	s_cbranch_execz .LBB846_72
; %bb.69:
	s_movk_i32 s12, 0x7f
	v_and_b32_e32 v52, 0x7f, v34
	v_cmp_ne_u32_e32 vcc, s12, v52
	v_mov_b32_e32 v35, 0x7f80
	s_and_saveexec_b64 s[12:13], vcc
	s_cbranch_execz .LBB846_71
; %bb.70:
	v_and_b32_e32 v54, 7, v34
	v_ffbh_u32_e32 v35, v54
	v_min_u32_e32 v56, 32, v35
	v_subrev_u32_e32 v35, 28, v56
	v_lshlrev_b64 v[34:35], v35, v[34:35]
	v_lshrrev_b32_e32 v55, 3, v52
	v_sub_u32_e32 v35, 29, v56
	v_and_b32_e32 v34, 7, v34
	v_cmp_gt_u32_e32 vcc, 8, v52
	v_cndmask_b32_e32 v35, v55, v35, vcc
	v_cndmask_b32_e32 v34, v54, v34, vcc
	v_lshlrev_b32_e32 v52, 16, v36
	v_bfrev_b32_e32 v54, 60
	v_lshlrev_b32_e32 v34, 20, v34
	v_and_b32_e32 v52, 0x80000000, v52
	v_lshl_add_u32 v35, v35, 23, v54
	v_or3_b32 v34, v52, v35, v34
	v_lshrrev_b32_e32 v35, 16, v34
.LBB846_71:
	s_or_b64 exec, exec, s[12:13]
.LBB846_72:
	s_or_b64 exec, exec, s[10:11]
.LBB846_73:
	s_or_b64 exec, exec, s[2:3]
	s_movk_i32 s2, 0xff
	v_and_b32_sdwa v52, v36, s2 dst_sel:DWORD dst_unused:UNUSED_PAD src0_sel:WORD_1 src1_sel:DWORD
	v_lshrrev_b32_e32 v34, 16, v36
	v_cmp_ne_u16_e32 vcc, 0, v52
	s_and_saveexec_b64 s[2:3], vcc
	s_cbranch_execz .LBB846_79
; %bb.74:
	s_movk_i32 s10, 0x80
	v_cmp_ne_u16_e32 vcc, s10, v52
	v_mov_b32_e32 v53, 0xffff8000
	s_and_saveexec_b64 s[10:11], vcc
	s_cbranch_execz .LBB846_78
; %bb.75:
	v_bfe_u32 v52, v36, 16, 7
	s_movk_i32 s12, 0x7f
	v_cmp_ne_u32_e32 vcc, s12, v52
	v_mov_b32_e32 v53, 0x7f80
	s_and_saveexec_b64 s[12:13], vcc
	s_cbranch_execz .LBB846_77
; %bb.76:
	v_and_b32_e32 v53, 7, v34
	v_ffbh_u32_e32 v54, v53
	v_min_u32_e32 v57, 32, v54
	v_subrev_u32_e32 v54, 28, v57
	v_lshlrev_b64 v[54:55], v54, v[34:35]
	v_and_b32_e32 v54, 7, v54
	v_cmp_gt_u32_e32 vcc, 8, v52
	v_lshrrev_b32_e32 v56, 3, v52
	v_sub_u32_e32 v34, 29, v57
	v_cndmask_b32_e32 v52, v53, v54, vcc
	v_mov_b32_e32 v53, 24
	v_cndmask_b32_e32 v34, v56, v34, vcc
	v_lshlrev_b32_sdwa v53, v53, v36 dst_sel:DWORD dst_unused:UNUSED_PAD src0_sel:DWORD src1_sel:WORD_1
	v_bfrev_b32_e32 v54, 60
	v_lshlrev_b32_e32 v52, 20, v52
	v_and_b32_e32 v53, 0x80000000, v53
	v_lshl_add_u32 v34, v34, 23, v54
	v_or3_b32 v34, v53, v34, v52
	v_lshrrev_b32_e32 v53, 16, v34
.LBB846_77:
	s_or_b64 exec, exec, s[12:13]
.LBB846_78:
	s_or_b64 exec, exec, s[10:11]
.LBB846_79:
	s_or_b64 exec, exec, s[2:3]
	s_mov_b32 s2, 0xffffff
	v_cmp_lt_u32_e32 vcc, s2, v36
	v_mov_b32_e32 v54, 0
	v_mov_b32_e32 v55, 0
	s_and_saveexec_b64 s[2:3], vcc
	s_cbranch_execz .LBB846_85
; %bb.80:
	v_lshrrev_b32_e32 v34, 24, v36
	s_movk_i32 s10, 0x80
	v_cmp_ne_u32_e32 vcc, s10, v34
	v_mov_b32_e32 v55, 0xffff8000
	s_and_saveexec_b64 s[10:11], vcc
	s_cbranch_execz .LBB846_84
; %bb.81:
	v_bfe_u32 v36, v36, 24, 7
	s_movk_i32 s12, 0x7f
	v_cmp_ne_u32_e32 vcc, s12, v36
	v_mov_b32_e32 v55, 0x7f80
	s_and_saveexec_b64 s[12:13], vcc
	s_cbranch_execz .LBB846_83
; %bb.82:
	v_and_b32_e32 v52, 7, v34
	v_ffbh_u32_e32 v56, v52
	v_min_u32_e32 v58, 32, v56
	v_subrev_u32_e32 v56, 28, v58
	v_lshlrev_b64 v[56:57], v56, v[34:35]
	v_lshrrev_b32_e32 v55, 3, v36
	v_sub_u32_e32 v57, 29, v58
	v_and_b32_e32 v56, 7, v56
	v_cmp_gt_u32_e32 vcc, 8, v36
	v_cndmask_b32_e32 v36, v55, v57, vcc
	v_cndmask_b32_e32 v52, v52, v56, vcc
	v_lshlrev_b32_e32 v34, 24, v34
	v_bfrev_b32_e32 v55, 60
	v_lshlrev_b32_e32 v52, 20, v52
	v_and_b32_e32 v34, 0x80000000, v34
	v_lshl_add_u32 v36, v36, 23, v55
	v_or3_b32 v34, v34, v36, v52
	v_lshrrev_b32_e32 v55, 16, v34
.LBB846_83:
	s_or_b64 exec, exec, s[12:13]
.LBB846_84:
	s_or_b64 exec, exec, s[10:11]
.LBB846_85:
	s_or_b64 exec, exec, s[2:3]
	v_cmp_ne_u16_sdwa s[10:11], v37, v54 src0_sel:BYTE_0 src1_sel:DWORD
	s_and_saveexec_b64 s[2:3], s[10:11]
	s_cbranch_execz .LBB846_91
; %bb.86:
	s_movk_i32 s10, 0x80
	v_cmp_ne_u16_sdwa s[12:13], v37, s10 src0_sel:BYTE_0 src1_sel:DWORD
	v_mov_b32_e32 v54, 0xffff8000
	s_and_saveexec_b64 s[10:11], s[12:13]
	s_cbranch_execz .LBB846_90
; %bb.87:
	s_movk_i32 s12, 0x7f
	v_and_b32_e32 v34, 0x7f, v37
	v_cmp_ne_u32_e32 vcc, s12, v34
	v_mov_b32_e32 v54, 0x7f80
	s_and_saveexec_b64 s[12:13], vcc
	s_cbranch_execz .LBB846_89
; %bb.88:
	v_and_b32_e32 v52, 7, v37
	v_ffbh_u32_e32 v56, v52
	v_min_u32_e32 v58, 32, v56
	v_mov_b32_e32 v36, v37
	v_subrev_u32_e32 v56, 28, v58
	v_lshlrev_b64 v[56:57], v56, v[36:37]
	v_lshrrev_b32_e32 v54, 3, v34
	v_sub_u32_e32 v36, 29, v58
	v_and_b32_e32 v56, 7, v56
	v_cmp_gt_u32_e32 vcc, 8, v34
	v_cndmask_b32_e32 v34, v54, v36, vcc
	v_cndmask_b32_e32 v36, v52, v56, vcc
	v_lshlrev_b32_e32 v52, 24, v37
	v_bfrev_b32_e32 v54, 60
	v_lshlrev_b32_e32 v36, 20, v36
	v_and_b32_e32 v52, 0x80000000, v52
	v_lshl_add_u32 v34, v34, 23, v54
	v_or3_b32 v34, v52, v34, v36
	v_lshrrev_b32_e32 v54, 16, v34
.LBB846_89:
	s_or_b64 exec, exec, s[12:13]
.LBB846_90:
	s_or_b64 exec, exec, s[10:11]
.LBB846_91:
	s_or_b64 exec, exec, s[2:3]
	v_lshrrev_b16_e32 v34, 8, v37
	v_cmp_ne_u16_e32 vcc, 0, v34
	v_mov_b32_e32 v56, 0
	v_mov_b32_e32 v36, 0
	s_and_saveexec_b64 s[2:3], vcc
	s_cbranch_execz .LBB846_97
; %bb.92:
	s_movk_i32 s10, 0x80
	v_cmp_ne_u16_e32 vcc, s10, v34
	v_mov_b32_e32 v36, 0xffff8000
	s_and_saveexec_b64 s[10:11], vcc
	s_cbranch_execz .LBB846_96
; %bb.93:
	s_movk_i32 s12, 0x7f
	v_and_b32_e32 v52, 0x7f, v34
	v_cmp_ne_u32_e32 vcc, s12, v52
	v_mov_b32_e32 v36, 0x7f80
	s_and_saveexec_b64 s[12:13], vcc
	s_cbranch_execz .LBB846_95
; %bb.94:
	v_and_b32_e32 v36, 7, v34
	v_ffbh_u32_e32 v58, v36
	v_min_u32_e32 v60, 32, v58
	v_subrev_u32_e32 v58, 28, v60
	v_lshlrev_b64 v[58:59], v58, v[34:35]
	v_lshrrev_b32_e32 v57, 3, v52
	v_sub_u32_e32 v34, 29, v60
	v_and_b32_e32 v58, 7, v58
	v_cmp_gt_u32_e32 vcc, 8, v52
	v_cndmask_b32_e32 v34, v57, v34, vcc
	v_cndmask_b32_e32 v36, v36, v58, vcc
	v_lshlrev_b32_e32 v52, 16, v37
	v_bfrev_b32_e32 v57, 60
	v_lshlrev_b32_e32 v36, 20, v36
	v_and_b32_e32 v52, 0x80000000, v52
	v_lshl_add_u32 v34, v34, 23, v57
	v_or3_b32 v34, v52, v34, v36
	v_lshrrev_b32_e32 v36, 16, v34
.LBB846_95:
	s_or_b64 exec, exec, s[12:13]
.LBB846_96:
	s_or_b64 exec, exec, s[10:11]
.LBB846_97:
	s_or_b64 exec, exec, s[2:3]
	s_movk_i32 s2, 0xff
	v_and_b32_sdwa v52, v37, s2 dst_sel:DWORD dst_unused:UNUSED_PAD src0_sel:WORD_1 src1_sel:DWORD
	v_lshrrev_b32_e32 v34, 16, v37
	v_cmp_ne_u16_e32 vcc, 0, v52
	s_and_saveexec_b64 s[2:3], vcc
	s_cbranch_execz .LBB846_103
; %bb.98:
	s_movk_i32 s10, 0x80
	v_cmp_ne_u16_e32 vcc, s10, v52
	v_mov_b32_e32 v56, 0xffff8000
	s_and_saveexec_b64 s[10:11], vcc
	s_cbranch_execz .LBB846_102
; %bb.99:
	v_bfe_u32 v52, v37, 16, 7
	s_movk_i32 s12, 0x7f
	v_cmp_ne_u32_e32 vcc, s12, v52
	v_mov_b32_e32 v56, 0x7f80
	s_and_saveexec_b64 s[12:13], vcc
	s_cbranch_execz .LBB846_101
; %bb.100:
	v_and_b32_e32 v58, 7, v34
	v_ffbh_u32_e32 v56, v58
	v_min_u32_e32 v60, 32, v56
	v_subrev_u32_e32 v56, 28, v60
	v_lshlrev_b64 v[56:57], v56, v[34:35]
	v_and_b32_e32 v56, 7, v56
	v_cmp_gt_u32_e32 vcc, 8, v52
	v_lshrrev_b32_e32 v59, 3, v52
	v_sub_u32_e32 v34, 29, v60
	v_cndmask_b32_e32 v52, v58, v56, vcc
	v_mov_b32_e32 v56, 24
	v_cndmask_b32_e32 v34, v59, v34, vcc
	v_lshlrev_b32_sdwa v56, v56, v37 dst_sel:DWORD dst_unused:UNUSED_PAD src0_sel:DWORD src1_sel:WORD_1
	v_bfrev_b32_e32 v57, 60
	v_lshlrev_b32_e32 v52, 20, v52
	v_and_b32_e32 v56, 0x80000000, v56
	v_lshl_add_u32 v34, v34, 23, v57
	v_or3_b32 v34, v56, v34, v52
	v_lshrrev_b32_e32 v56, 16, v34
.LBB846_101:
	s_or_b64 exec, exec, s[12:13]
.LBB846_102:
	s_or_b64 exec, exec, s[10:11]
.LBB846_103:
	s_or_b64 exec, exec, s[2:3]
	s_mov_b32 s2, 0xffffff
	v_cmp_lt_u32_e32 vcc, s2, v37
	v_mov_b32_e32 v52, 0
	v_mov_b32_e32 v57, 0
	s_and_saveexec_b64 s[2:3], vcc
	s_cbranch_execz .LBB846_109
; %bb.104:
	v_lshrrev_b32_e32 v34, 24, v37
	s_movk_i32 s10, 0x80
	v_cmp_ne_u32_e32 vcc, s10, v34
	v_mov_b32_e32 v57, 0xffff8000
	s_and_saveexec_b64 s[10:11], vcc
	s_cbranch_execz .LBB846_108
; %bb.105:
	v_bfe_u32 v37, v37, 24, 7
	s_movk_i32 s12, 0x7f
	v_cmp_ne_u32_e32 vcc, s12, v37
	v_mov_b32_e32 v57, 0x7f80
	s_and_saveexec_b64 s[12:13], vcc
	s_cbranch_execz .LBB846_107
; %bb.106:
	v_and_b32_e32 v57, 7, v34
	v_ffbh_u32_e32 v58, v57
	v_min_u32_e32 v61, 32, v58
	v_subrev_u32_e32 v58, 28, v61
	v_lshlrev_b64 v[58:59], v58, v[34:35]
	v_lshrrev_b32_e32 v60, 3, v37
	v_sub_u32_e32 v59, 29, v61
	v_and_b32_e32 v58, 7, v58
	v_cmp_gt_u32_e32 vcc, 8, v37
	v_cndmask_b32_e32 v37, v60, v59, vcc
	v_cndmask_b32_e32 v57, v57, v58, vcc
	v_lshlrev_b32_e32 v34, 24, v34
	v_bfrev_b32_e32 v58, 60
	v_lshlrev_b32_e32 v57, 20, v57
	v_and_b32_e32 v34, 0x80000000, v34
	v_lshl_add_u32 v37, v37, 23, v58
	v_or3_b32 v34, v34, v37, v57
	v_lshrrev_b32_e32 v57, 16, v34
.LBB846_107:
	s_or_b64 exec, exec, s[12:13]
.LBB846_108:
	s_or_b64 exec, exec, s[10:11]
.LBB846_109:
	s_or_b64 exec, exec, s[2:3]
	s_mov_b32 s2, 0x5040100
	v_perm_b32 v59, v55, v53, s2
	v_perm_b32 v58, v35, v51, s2
	;; [unrolled: 1-line block ×4, first 2 shown]
	v_cmp_ne_u16_sdwa s[10:11], v38, v52 src0_sel:BYTE_0 src1_sel:DWORD
	v_mfma_f32_16x16x16bf16_1k v[42:45], v[58:59], v[18:19], v[42:45]
	v_mfma_f32_16x16x16bf16_1k v[34:37], v[34:35], v[20:21], v[42:45]
	s_and_saveexec_b64 s[2:3], s[10:11]
	s_cbranch_execz .LBB846_115
; %bb.110:
	s_movk_i32 s10, 0x80
	v_cmp_ne_u16_sdwa s[12:13], v38, s10 src0_sel:BYTE_0 src1_sel:DWORD
	v_mov_b32_e32 v52, 0xffff8000
	s_and_saveexec_b64 s[10:11], s[12:13]
	s_cbranch_execz .LBB846_114
; %bb.111:
	s_movk_i32 s12, 0x7f
	s_nop 1
	v_and_b32_e32 v42, 0x7f, v38
	v_cmp_ne_u32_e32 vcc, s12, v42
	v_mov_b32_e32 v52, 0x7f80
	s_and_saveexec_b64 s[12:13], vcc
	s_cbranch_execz .LBB846_113
; %bb.112:
	v_and_b32_e32 v43, 7, v38
	v_ffbh_u32_e32 v44, v43
	v_min_u32_e32 v52, 32, v44
	v_subrev_u32_e32 v44, 28, v52
	v_lshlrev_b64 v[44:45], v44, v[38:39]
	v_lshrrev_b32_e32 v51, 3, v42
	v_sub_u32_e32 v45, 29, v52
	v_and_b32_e32 v44, 7, v44
	v_cmp_gt_u32_e32 vcc, 8, v42
	v_cndmask_b32_e32 v42, v51, v45, vcc
	v_cndmask_b32_e32 v43, v43, v44, vcc
	v_lshlrev_b32_e32 v44, 24, v38
	v_bfrev_b32_e32 v45, 60
	v_lshlrev_b32_e32 v43, 20, v43
	v_and_b32_e32 v44, 0x80000000, v44
	v_lshl_add_u32 v42, v42, 23, v45
	v_or3_b32 v42, v44, v42, v43
	v_lshrrev_b32_e32 v52, 16, v42
.LBB846_113:
	s_or_b64 exec, exec, s[12:13]
.LBB846_114:
	s_or_b64 exec, exec, s[10:11]
.LBB846_115:
	s_or_b64 exec, exec, s[2:3]
	s_nop 6
	v_lshrrev_b16_e32 v42, 8, v38
	v_cmp_ne_u16_e32 vcc, 0, v42
	v_mov_b32_e32 v44, 0
	v_mov_b32_e32 v43, 0
	s_and_saveexec_b64 s[2:3], vcc
	s_cbranch_execz .LBB846_121
; %bb.116:
	s_movk_i32 s10, 0x80
	v_cmp_ne_u16_e32 vcc, s10, v42
	v_mov_b32_e32 v43, 0xffff8000
	s_and_saveexec_b64 s[10:11], vcc
	s_cbranch_execz .LBB846_120
; %bb.117:
	s_movk_i32 s12, 0x7f
	v_and_b32_e32 v45, 0x7f, v42
	v_cmp_ne_u32_e32 vcc, s12, v45
	v_mov_b32_e32 v43, 0x7f80
	s_and_saveexec_b64 s[12:13], vcc
	s_cbranch_execz .LBB846_119
; %bb.118:
	v_and_b32_e32 v51, 7, v42
	v_ffbh_u32_e32 v43, v51
	v_min_u32_e32 v54, 32, v43
	v_subrev_u32_e32 v43, 28, v54
	v_lshlrev_b64 v[42:43], v43, v[42:43]
	v_lshrrev_b32_e32 v53, 3, v45
	v_sub_u32_e32 v43, 29, v54
	v_and_b32_e32 v42, 7, v42
	v_cmp_gt_u32_e32 vcc, 8, v45
	v_cndmask_b32_e32 v43, v53, v43, vcc
	v_cndmask_b32_e32 v42, v51, v42, vcc
	v_lshlrev_b32_e32 v45, 16, v38
	v_bfrev_b32_e32 v51, 60
	v_lshlrev_b32_e32 v42, 20, v42
	v_and_b32_e32 v45, 0x80000000, v45
	v_lshl_add_u32 v43, v43, 23, v51
	v_or3_b32 v42, v45, v43, v42
	v_lshrrev_b32_e32 v43, 16, v42
.LBB846_119:
	s_or_b64 exec, exec, s[12:13]
.LBB846_120:
	s_or_b64 exec, exec, s[10:11]
.LBB846_121:
	s_or_b64 exec, exec, s[2:3]
	s_movk_i32 s2, 0xff
	v_and_b32_sdwa v45, v38, s2 dst_sel:DWORD dst_unused:UNUSED_PAD src0_sel:WORD_1 src1_sel:DWORD
	v_lshrrev_b32_e32 v42, 16, v38
	v_cmp_ne_u16_e32 vcc, 0, v45
	s_and_saveexec_b64 s[2:3], vcc
	s_cbranch_execz .LBB846_127
; %bb.122:
	s_movk_i32 s10, 0x80
	v_cmp_ne_u16_e32 vcc, s10, v45
	v_mov_b32_e32 v44, 0xffff8000
	s_and_saveexec_b64 s[10:11], vcc
	s_cbranch_execz .LBB846_126
; %bb.123:
	v_bfe_u32 v45, v38, 16, 7
	s_movk_i32 s12, 0x7f
	v_cmp_ne_u32_e32 vcc, s12, v45
	v_mov_b32_e32 v44, 0x7f80
	s_and_saveexec_b64 s[12:13], vcc
	s_cbranch_execz .LBB846_125
; %bb.124:
	v_and_b32_e32 v44, 7, v42
	v_ffbh_u32_e32 v53, v44
	v_min_u32_e32 v53, 32, v53
	v_subrev_u32_e32 v54, 28, v53
	v_lshlrev_b64 v[54:55], v54, v[42:43]
	v_lshrrev_b32_e32 v51, 3, v45
	v_sub_u32_e32 v42, 29, v53
	v_and_b32_e32 v53, 7, v54
	v_cmp_gt_u32_e32 vcc, 8, v45
	v_mov_b32_e32 v45, 24
	v_cndmask_b32_e32 v42, v51, v42, vcc
	v_cndmask_b32_e32 v44, v44, v53, vcc
	v_lshlrev_b32_sdwa v45, v45, v38 dst_sel:DWORD dst_unused:UNUSED_PAD src0_sel:DWORD src1_sel:WORD_1
	v_bfrev_b32_e32 v51, 60
	v_lshlrev_b32_e32 v44, 20, v44
	v_and_b32_e32 v45, 0x80000000, v45
	v_lshl_add_u32 v42, v42, 23, v51
	v_or3_b32 v42, v45, v42, v44
	v_lshrrev_b32_e32 v44, 16, v42
.LBB846_125:
	s_or_b64 exec, exec, s[12:13]
.LBB846_126:
	s_or_b64 exec, exec, s[10:11]
.LBB846_127:
	s_or_b64 exec, exec, s[2:3]
	s_mov_b32 s2, 0xffffff
	v_cmp_lt_u32_e32 vcc, s2, v38
	v_mov_b32_e32 v45, 0
	v_mov_b32_e32 v53, 0
	s_and_saveexec_b64 s[2:3], vcc
	s_cbranch_execz .LBB846_133
; %bb.128:
	v_lshrrev_b32_e32 v42, 24, v38
	s_movk_i32 s10, 0x80
	v_cmp_ne_u32_e32 vcc, s10, v42
	v_mov_b32_e32 v53, 0xffff8000
	s_and_saveexec_b64 s[10:11], vcc
	s_cbranch_execz .LBB846_132
; %bb.129:
	v_bfe_u32 v38, v38, 24, 7
	s_movk_i32 s12, 0x7f
	v_cmp_ne_u32_e32 vcc, s12, v38
	v_mov_b32_e32 v53, 0x7f80
	s_and_saveexec_b64 s[12:13], vcc
	s_cbranch_execz .LBB846_131
; %bb.130:
	v_and_b32_e32 v51, 7, v42
	v_ffbh_u32_e32 v54, v51
	v_min_u32_e32 v56, 32, v54
	v_subrev_u32_e32 v54, 28, v56
	v_lshlrev_b64 v[54:55], v54, v[42:43]
	v_lshrrev_b32_e32 v53, 3, v38
	v_sub_u32_e32 v55, 29, v56
	v_and_b32_e32 v54, 7, v54
	v_cmp_gt_u32_e32 vcc, 8, v38
	v_cndmask_b32_e32 v38, v53, v55, vcc
	v_cndmask_b32_e32 v51, v51, v54, vcc
	v_lshlrev_b32_e32 v42, 24, v42
	v_bfrev_b32_e32 v53, 60
	v_lshlrev_b32_e32 v51, 20, v51
	v_and_b32_e32 v42, 0x80000000, v42
	v_lshl_add_u32 v38, v38, 23, v53
	v_or3_b32 v38, v42, v38, v51
	v_lshrrev_b32_e32 v53, 16, v38
.LBB846_131:
	s_or_b64 exec, exec, s[12:13]
.LBB846_132:
	s_or_b64 exec, exec, s[10:11]
.LBB846_133:
	s_or_b64 exec, exec, s[2:3]
	v_cmp_ne_u16_sdwa s[10:11], v39, v45 src0_sel:BYTE_0 src1_sel:DWORD
	s_and_saveexec_b64 s[2:3], s[10:11]
	s_cbranch_execz .LBB846_139
; %bb.134:
	s_movk_i32 s10, 0x80
	v_cmp_ne_u16_sdwa s[12:13], v39, s10 src0_sel:BYTE_0 src1_sel:DWORD
	v_mov_b32_e32 v45, 0xffff8000
	s_and_saveexec_b64 s[10:11], s[12:13]
	s_cbranch_execz .LBB846_138
; %bb.135:
	s_movk_i32 s12, 0x7f
	v_and_b32_e32 v38, 0x7f, v39
	v_cmp_ne_u32_e32 vcc, s12, v38
	v_mov_b32_e32 v45, 0x7f80
	s_and_saveexec_b64 s[12:13], vcc
	s_cbranch_execz .LBB846_137
; %bb.136:
	v_and_b32_e32 v45, 7, v39
	v_ffbh_u32_e32 v54, v45
	v_min_u32_e32 v56, 32, v54
	v_mov_b32_e32 v42, v39
	v_subrev_u32_e32 v54, 28, v56
	v_lshlrev_b64 v[54:55], v54, v[42:43]
	v_lshrrev_b32_e32 v51, 3, v38
	v_sub_u32_e32 v42, 29, v56
	v_and_b32_e32 v54, 7, v54
	v_cmp_gt_u32_e32 vcc, 8, v38
	v_cndmask_b32_e32 v38, v51, v42, vcc
	v_cndmask_b32_e32 v42, v45, v54, vcc
	v_lshlrev_b32_e32 v45, 24, v39
	v_bfrev_b32_e32 v51, 60
	v_lshlrev_b32_e32 v42, 20, v42
	v_and_b32_e32 v45, 0x80000000, v45
	v_lshl_add_u32 v38, v38, 23, v51
	v_or3_b32 v38, v45, v38, v42
	v_lshrrev_b32_e32 v45, 16, v38
.LBB846_137:
	s_or_b64 exec, exec, s[12:13]
.LBB846_138:
	s_or_b64 exec, exec, s[10:11]
.LBB846_139:
	s_or_b64 exec, exec, s[2:3]
	v_lshrrev_b16_e32 v38, 8, v39
	v_cmp_ne_u16_e32 vcc, 0, v38
	v_mov_b32_e32 v54, 0
	v_mov_b32_e32 v42, 0
	s_and_saveexec_b64 s[2:3], vcc
	s_cbranch_execz .LBB846_145
; %bb.140:
	s_movk_i32 s10, 0x80
	v_cmp_ne_u16_e32 vcc, s10, v38
	v_mov_b32_e32 v42, 0xffff8000
	s_and_saveexec_b64 s[10:11], vcc
	s_cbranch_execz .LBB846_144
; %bb.141:
	s_movk_i32 s12, 0x7f
	v_and_b32_e32 v51, 0x7f, v38
	v_cmp_ne_u32_e32 vcc, s12, v51
	v_mov_b32_e32 v42, 0x7f80
	s_and_saveexec_b64 s[12:13], vcc
	s_cbranch_execz .LBB846_143
; %bb.142:
	v_and_b32_e32 v42, 7, v38
	v_ffbh_u32_e32 v56, v42
	v_min_u32_e32 v58, 32, v56
	v_subrev_u32_e32 v56, 28, v58
	v_lshlrev_b64 v[56:57], v56, v[38:39]
	v_lshrrev_b32_e32 v55, 3, v51
	v_sub_u32_e32 v38, 29, v58
	v_and_b32_e32 v56, 7, v56
	v_cmp_gt_u32_e32 vcc, 8, v51
	v_cndmask_b32_e32 v38, v55, v38, vcc
	v_cndmask_b32_e32 v42, v42, v56, vcc
	v_lshlrev_b32_e32 v51, 16, v39
	v_bfrev_b32_e32 v55, 60
	v_lshlrev_b32_e32 v42, 20, v42
	v_and_b32_e32 v51, 0x80000000, v51
	v_lshl_add_u32 v38, v38, 23, v55
	v_or3_b32 v38, v51, v38, v42
	v_lshrrev_b32_e32 v42, 16, v38
.LBB846_143:
	s_or_b64 exec, exec, s[12:13]
.LBB846_144:
	s_or_b64 exec, exec, s[10:11]
.LBB846_145:
	s_or_b64 exec, exec, s[2:3]
	s_movk_i32 s2, 0xff
	v_and_b32_sdwa v51, v39, s2 dst_sel:DWORD dst_unused:UNUSED_PAD src0_sel:WORD_1 src1_sel:DWORD
	v_lshrrev_b32_e32 v38, 16, v39
	v_cmp_ne_u16_e32 vcc, 0, v51
	s_and_saveexec_b64 s[2:3], vcc
	s_cbranch_execz .LBB846_151
; %bb.146:
	s_movk_i32 s10, 0x80
	v_cmp_ne_u16_e32 vcc, s10, v51
	v_mov_b32_e32 v54, 0xffff8000
	s_and_saveexec_b64 s[10:11], vcc
	s_cbranch_execz .LBB846_150
; %bb.147:
	v_bfe_u32 v51, v39, 16, 7
	s_movk_i32 s12, 0x7f
	v_cmp_ne_u32_e32 vcc, s12, v51
	v_mov_b32_e32 v54, 0x7f80
	s_and_saveexec_b64 s[12:13], vcc
	s_cbranch_execz .LBB846_149
; %bb.148:
	v_and_b32_e32 v56, 7, v38
	v_ffbh_u32_e32 v54, v56
	v_min_u32_e32 v58, 32, v54
	v_subrev_u32_e32 v54, 28, v58
	v_lshlrev_b64 v[54:55], v54, v[38:39]
	v_and_b32_e32 v54, 7, v54
	v_cmp_gt_u32_e32 vcc, 8, v51
	v_lshrrev_b32_e32 v57, 3, v51
	v_sub_u32_e32 v38, 29, v58
	v_cndmask_b32_e32 v51, v56, v54, vcc
	v_mov_b32_e32 v54, 24
	v_cndmask_b32_e32 v38, v57, v38, vcc
	v_lshlrev_b32_sdwa v54, v54, v39 dst_sel:DWORD dst_unused:UNUSED_PAD src0_sel:DWORD src1_sel:WORD_1
	v_bfrev_b32_e32 v55, 60
	v_lshlrev_b32_e32 v51, 20, v51
	v_and_b32_e32 v54, 0x80000000, v54
	v_lshl_add_u32 v38, v38, 23, v55
	v_or3_b32 v38, v54, v38, v51
	v_lshrrev_b32_e32 v54, 16, v38
.LBB846_149:
	s_or_b64 exec, exec, s[12:13]
.LBB846_150:
	s_or_b64 exec, exec, s[10:11]
.LBB846_151:
	s_or_b64 exec, exec, s[2:3]
	s_mov_b32 s2, 0xffffff
	v_cmp_lt_u32_e32 vcc, s2, v39
	v_mov_b32_e32 v51, 0
	v_mov_b32_e32 v55, 0
	s_and_saveexec_b64 s[2:3], vcc
	s_cbranch_execz .LBB846_157
; %bb.152:
	v_lshrrev_b32_e32 v38, 24, v39
	s_movk_i32 s10, 0x80
	v_cmp_ne_u32_e32 vcc, s10, v38
	v_mov_b32_e32 v55, 0xffff8000
	s_and_saveexec_b64 s[10:11], vcc
	s_cbranch_execz .LBB846_156
; %bb.153:
	v_bfe_u32 v39, v39, 24, 7
	s_movk_i32 s12, 0x7f
	v_cmp_ne_u32_e32 vcc, s12, v39
	v_mov_b32_e32 v55, 0x7f80
	s_and_saveexec_b64 s[12:13], vcc
	s_cbranch_execz .LBB846_155
; %bb.154:
	v_and_b32_e32 v55, 7, v38
	v_ffbh_u32_e32 v56, v55
	v_min_u32_e32 v59, 32, v56
	v_subrev_u32_e32 v56, 28, v59
	v_lshlrev_b64 v[56:57], v56, v[38:39]
	v_lshrrev_b32_e32 v58, 3, v39
	v_sub_u32_e32 v57, 29, v59
	v_and_b32_e32 v56, 7, v56
	v_cmp_gt_u32_e32 vcc, 8, v39
	v_cndmask_b32_e32 v39, v58, v57, vcc
	v_cndmask_b32_e32 v55, v55, v56, vcc
	v_lshlrev_b32_e32 v38, 24, v38
	v_bfrev_b32_e32 v56, 60
	v_lshlrev_b32_e32 v55, 20, v55
	v_and_b32_e32 v38, 0x80000000, v38
	v_lshl_add_u32 v39, v39, 23, v56
	v_or3_b32 v38, v38, v39, v55
	v_lshrrev_b32_e32 v55, 16, v38
.LBB846_155:
	s_or_b64 exec, exec, s[12:13]
.LBB846_156:
	s_or_b64 exec, exec, s[10:11]
.LBB846_157:
	s_or_b64 exec, exec, s[2:3]
	s_mov_b32 s2, 0x5040100
	v_perm_b32 v39, v53, v44, s2
	v_perm_b32 v38, v43, v52, s2
	v_cmp_ne_u16_sdwa s[10:11], v40, v51 src0_sel:BYTE_0 src1_sel:DWORD
	s_nop 0
	v_mfma_f32_16x16x16bf16_1k v[56:59], v[38:39], v[26:27], 0
	v_perm_b32 v39, v55, v54, s2
	v_perm_b32 v38, v42, v45, s2
	s_nop 1
	v_mfma_f32_16x16x16bf16_1k v[42:45], v[38:39], v[28:29], v[56:59]
	s_and_saveexec_b64 s[2:3], s[10:11]
	s_cbranch_execz .LBB846_163
; %bb.158:
	s_movk_i32 s10, 0x80
	v_cmp_ne_u16_sdwa s[12:13], v40, s10 src0_sel:BYTE_0 src1_sel:DWORD
	v_mov_b32_e32 v51, 0xffff8000
	s_and_saveexec_b64 s[10:11], s[12:13]
	s_cbranch_execz .LBB846_162
; %bb.159:
	s_movk_i32 s12, 0x7f
	v_and_b32_e32 v38, 0x7f, v40
	v_cmp_ne_u32_e32 vcc, s12, v38
	v_mov_b32_e32 v51, 0x7f80
	s_and_saveexec_b64 s[12:13], vcc
	s_cbranch_execz .LBB846_161
; %bb.160:
	v_and_b32_e32 v39, 7, v40
	v_ffbh_u32_e32 v52, v39
	v_min_u32_e32 v54, 32, v52
	v_subrev_u32_e32 v52, 28, v54
	v_lshlrev_b64 v[52:53], v52, v[40:41]
	v_lshrrev_b32_e32 v51, 3, v38
	v_sub_u32_e32 v53, 29, v54
	v_and_b32_e32 v52, 7, v52
	v_cmp_gt_u32_e32 vcc, 8, v38
	v_cndmask_b32_e32 v38, v51, v53, vcc
	v_cndmask_b32_e32 v39, v39, v52, vcc
	v_lshlrev_b32_e32 v51, 24, v40
	v_bfrev_b32_e32 v52, 60
	v_lshlrev_b32_e32 v39, 20, v39
	v_and_b32_e32 v51, 0x80000000, v51
	v_lshl_add_u32 v38, v38, 23, v52
	v_or3_b32 v38, v51, v38, v39
	v_lshrrev_b32_e32 v51, 16, v38
.LBB846_161:
	s_or_b64 exec, exec, s[12:13]
.LBB846_162:
	s_or_b64 exec, exec, s[10:11]
.LBB846_163:
	s_or_b64 exec, exec, s[2:3]
	v_lshrrev_b16_e32 v38, 8, v40
	v_cmp_ne_u16_e32 vcc, 0, v38
	v_mov_b32_e32 v53, 0
	v_mov_b32_e32 v39, 0
	s_and_saveexec_b64 s[2:3], vcc
	s_cbranch_execz .LBB846_169
; %bb.164:
	s_movk_i32 s10, 0x80
	v_cmp_ne_u16_e32 vcc, s10, v38
	v_mov_b32_e32 v39, 0xffff8000
	s_and_saveexec_b64 s[10:11], vcc
	s_cbranch_execz .LBB846_168
; %bb.165:
	s_movk_i32 s12, 0x7f
	v_and_b32_e32 v52, 0x7f, v38
	v_cmp_ne_u32_e32 vcc, s12, v52
	v_mov_b32_e32 v39, 0x7f80
	s_and_saveexec_b64 s[12:13], vcc
	s_cbranch_execz .LBB846_167
; %bb.166:
	v_and_b32_e32 v54, 7, v38
	v_ffbh_u32_e32 v39, v54
	v_min_u32_e32 v56, 32, v39
	v_subrev_u32_e32 v39, 28, v56
	v_lshlrev_b64 v[38:39], v39, v[38:39]
	v_lshrrev_b32_e32 v55, 3, v52
	v_sub_u32_e32 v39, 29, v56
	v_and_b32_e32 v38, 7, v38
	v_cmp_gt_u32_e32 vcc, 8, v52
	v_cndmask_b32_e32 v39, v55, v39, vcc
	v_cndmask_b32_e32 v38, v54, v38, vcc
	v_lshlrev_b32_e32 v52, 16, v40
	v_bfrev_b32_e32 v54, 60
	v_lshlrev_b32_e32 v38, 20, v38
	v_and_b32_e32 v52, 0x80000000, v52
	v_lshl_add_u32 v39, v39, 23, v54
	v_or3_b32 v38, v52, v39, v38
	v_lshrrev_b32_e32 v39, 16, v38
.LBB846_167:
	s_or_b64 exec, exec, s[12:13]
.LBB846_168:
	s_or_b64 exec, exec, s[10:11]
.LBB846_169:
	s_or_b64 exec, exec, s[2:3]
	s_movk_i32 s2, 0xff
	v_and_b32_sdwa v52, v40, s2 dst_sel:DWORD dst_unused:UNUSED_PAD src0_sel:WORD_1 src1_sel:DWORD
	v_lshrrev_b32_e32 v38, 16, v40
	v_cmp_ne_u16_e32 vcc, 0, v52
	s_and_saveexec_b64 s[2:3], vcc
	s_cbranch_execz .LBB846_175
; %bb.170:
	s_movk_i32 s10, 0x80
	v_cmp_ne_u16_e32 vcc, s10, v52
	v_mov_b32_e32 v53, 0xffff8000
	s_and_saveexec_b64 s[10:11], vcc
	s_cbranch_execz .LBB846_174
; %bb.171:
	v_bfe_u32 v52, v40, 16, 7
	s_movk_i32 s12, 0x7f
	v_cmp_ne_u32_e32 vcc, s12, v52
	v_mov_b32_e32 v53, 0x7f80
	s_and_saveexec_b64 s[12:13], vcc
	s_cbranch_execz .LBB846_173
; %bb.172:
	v_and_b32_e32 v53, 7, v38
	v_ffbh_u32_e32 v54, v53
	v_min_u32_e32 v57, 32, v54
	v_subrev_u32_e32 v54, 28, v57
	v_lshlrev_b64 v[54:55], v54, v[38:39]
	v_and_b32_e32 v54, 7, v54
	v_cmp_gt_u32_e32 vcc, 8, v52
	v_lshrrev_b32_e32 v56, 3, v52
	v_sub_u32_e32 v38, 29, v57
	v_cndmask_b32_e32 v52, v53, v54, vcc
	v_mov_b32_e32 v53, 24
	v_cndmask_b32_e32 v38, v56, v38, vcc
	v_lshlrev_b32_sdwa v53, v53, v40 dst_sel:DWORD dst_unused:UNUSED_PAD src0_sel:DWORD src1_sel:WORD_1
	v_bfrev_b32_e32 v54, 60
	v_lshlrev_b32_e32 v52, 20, v52
	v_and_b32_e32 v53, 0x80000000, v53
	v_lshl_add_u32 v38, v38, 23, v54
	v_or3_b32 v38, v53, v38, v52
	v_lshrrev_b32_e32 v53, 16, v38
.LBB846_173:
	s_or_b64 exec, exec, s[12:13]
.LBB846_174:
	s_or_b64 exec, exec, s[10:11]
.LBB846_175:
	s_or_b64 exec, exec, s[2:3]
	s_mov_b32 s2, 0xffffff
	v_cmp_lt_u32_e32 vcc, s2, v40
	v_mov_b32_e32 v54, 0
	v_mov_b32_e32 v55, 0
	s_and_saveexec_b64 s[2:3], vcc
	s_cbranch_execz .LBB846_181
; %bb.176:
	v_lshrrev_b32_e32 v38, 24, v40
	s_movk_i32 s10, 0x80
	v_cmp_ne_u32_e32 vcc, s10, v38
	v_mov_b32_e32 v55, 0xffff8000
	s_and_saveexec_b64 s[10:11], vcc
	s_cbranch_execz .LBB846_180
; %bb.177:
	v_bfe_u32 v40, v40, 24, 7
	s_movk_i32 s12, 0x7f
	v_cmp_ne_u32_e32 vcc, s12, v40
	v_mov_b32_e32 v55, 0x7f80
	s_and_saveexec_b64 s[12:13], vcc
	s_cbranch_execz .LBB846_179
; %bb.178:
	v_and_b32_e32 v52, 7, v38
	v_ffbh_u32_e32 v56, v52
	v_min_u32_e32 v58, 32, v56
	v_subrev_u32_e32 v56, 28, v58
	v_lshlrev_b64 v[56:57], v56, v[38:39]
	v_lshrrev_b32_e32 v55, 3, v40
	v_sub_u32_e32 v57, 29, v58
	v_and_b32_e32 v56, 7, v56
	v_cmp_gt_u32_e32 vcc, 8, v40
	v_cndmask_b32_e32 v40, v55, v57, vcc
	v_cndmask_b32_e32 v52, v52, v56, vcc
	v_lshlrev_b32_e32 v38, 24, v38
	v_bfrev_b32_e32 v55, 60
	v_lshlrev_b32_e32 v52, 20, v52
	v_and_b32_e32 v38, 0x80000000, v38
	v_lshl_add_u32 v40, v40, 23, v55
	v_or3_b32 v38, v38, v40, v52
	v_lshrrev_b32_e32 v55, 16, v38
.LBB846_179:
	s_or_b64 exec, exec, s[12:13]
.LBB846_180:
	s_or_b64 exec, exec, s[10:11]
.LBB846_181:
	s_or_b64 exec, exec, s[2:3]
	v_cmp_ne_u16_sdwa s[10:11], v41, v54 src0_sel:BYTE_0 src1_sel:DWORD
	s_and_saveexec_b64 s[2:3], s[10:11]
	s_cbranch_execz .LBB846_187
; %bb.182:
	s_movk_i32 s10, 0x80
	v_cmp_ne_u16_sdwa s[12:13], v41, s10 src0_sel:BYTE_0 src1_sel:DWORD
	v_mov_b32_e32 v54, 0xffff8000
	s_and_saveexec_b64 s[10:11], s[12:13]
	s_cbranch_execz .LBB846_186
; %bb.183:
	s_movk_i32 s12, 0x7f
	v_and_b32_e32 v38, 0x7f, v41
	v_cmp_ne_u32_e32 vcc, s12, v38
	v_mov_b32_e32 v54, 0x7f80
	s_and_saveexec_b64 s[12:13], vcc
	s_cbranch_execz .LBB846_185
; %bb.184:
	v_and_b32_e32 v52, 7, v41
	v_ffbh_u32_e32 v56, v52
	v_min_u32_e32 v58, 32, v56
	v_mov_b32_e32 v40, v41
	v_subrev_u32_e32 v56, 28, v58
	v_lshlrev_b64 v[56:57], v56, v[40:41]
	v_lshrrev_b32_e32 v54, 3, v38
	v_sub_u32_e32 v40, 29, v58
	v_and_b32_e32 v56, 7, v56
	v_cmp_gt_u32_e32 vcc, 8, v38
	v_cndmask_b32_e32 v38, v54, v40, vcc
	v_cndmask_b32_e32 v40, v52, v56, vcc
	v_lshlrev_b32_e32 v52, 24, v41
	v_bfrev_b32_e32 v54, 60
	v_lshlrev_b32_e32 v40, 20, v40
	v_and_b32_e32 v52, 0x80000000, v52
	v_lshl_add_u32 v38, v38, 23, v54
	v_or3_b32 v38, v52, v38, v40
	v_lshrrev_b32_e32 v54, 16, v38
.LBB846_185:
	s_or_b64 exec, exec, s[12:13]
.LBB846_186:
	s_or_b64 exec, exec, s[10:11]
.LBB846_187:
	s_or_b64 exec, exec, s[2:3]
	v_lshrrev_b16_e32 v38, 8, v41
	v_cmp_ne_u16_e32 vcc, 0, v38
	v_mov_b32_e32 v56, 0
	v_mov_b32_e32 v40, 0
	s_and_saveexec_b64 s[2:3], vcc
	s_cbranch_execz .LBB846_193
; %bb.188:
	s_movk_i32 s10, 0x80
	v_cmp_ne_u16_e32 vcc, s10, v38
	v_mov_b32_e32 v40, 0xffff8000
	s_and_saveexec_b64 s[10:11], vcc
	s_cbranch_execz .LBB846_192
; %bb.189:
	s_movk_i32 s12, 0x7f
	v_and_b32_e32 v52, 0x7f, v38
	v_cmp_ne_u32_e32 vcc, s12, v52
	v_mov_b32_e32 v40, 0x7f80
	s_and_saveexec_b64 s[12:13], vcc
	s_cbranch_execz .LBB846_191
; %bb.190:
	v_and_b32_e32 v40, 7, v38
	v_ffbh_u32_e32 v58, v40
	v_min_u32_e32 v60, 32, v58
	v_subrev_u32_e32 v58, 28, v60
	v_lshlrev_b64 v[58:59], v58, v[38:39]
	v_lshrrev_b32_e32 v57, 3, v52
	v_sub_u32_e32 v38, 29, v60
	v_and_b32_e32 v58, 7, v58
	v_cmp_gt_u32_e32 vcc, 8, v52
	v_cndmask_b32_e32 v38, v57, v38, vcc
	v_cndmask_b32_e32 v40, v40, v58, vcc
	v_lshlrev_b32_e32 v52, 16, v41
	v_bfrev_b32_e32 v57, 60
	v_lshlrev_b32_e32 v40, 20, v40
	v_and_b32_e32 v52, 0x80000000, v52
	v_lshl_add_u32 v38, v38, 23, v57
	v_or3_b32 v38, v52, v38, v40
	v_lshrrev_b32_e32 v40, 16, v38
.LBB846_191:
	s_or_b64 exec, exec, s[12:13]
.LBB846_192:
	s_or_b64 exec, exec, s[10:11]
.LBB846_193:
	s_or_b64 exec, exec, s[2:3]
	s_movk_i32 s2, 0xff
	v_and_b32_sdwa v52, v41, s2 dst_sel:DWORD dst_unused:UNUSED_PAD src0_sel:WORD_1 src1_sel:DWORD
	v_lshrrev_b32_e32 v38, 16, v41
	v_cmp_ne_u16_e32 vcc, 0, v52
	s_and_saveexec_b64 s[2:3], vcc
	s_cbranch_execz .LBB846_199
; %bb.194:
	s_movk_i32 s10, 0x80
	v_cmp_ne_u16_e32 vcc, s10, v52
	v_mov_b32_e32 v56, 0xffff8000
	s_and_saveexec_b64 s[10:11], vcc
	s_cbranch_execz .LBB846_198
; %bb.195:
	v_bfe_u32 v52, v41, 16, 7
	s_movk_i32 s12, 0x7f
	v_cmp_ne_u32_e32 vcc, s12, v52
	v_mov_b32_e32 v56, 0x7f80
	s_and_saveexec_b64 s[12:13], vcc
	s_cbranch_execz .LBB846_197
; %bb.196:
	v_and_b32_e32 v58, 7, v38
	v_ffbh_u32_e32 v56, v58
	v_min_u32_e32 v60, 32, v56
	v_subrev_u32_e32 v56, 28, v60
	v_lshlrev_b64 v[56:57], v56, v[38:39]
	v_and_b32_e32 v56, 7, v56
	v_cmp_gt_u32_e32 vcc, 8, v52
	v_lshrrev_b32_e32 v59, 3, v52
	v_sub_u32_e32 v38, 29, v60
	v_cndmask_b32_e32 v52, v58, v56, vcc
	v_mov_b32_e32 v56, 24
	v_cndmask_b32_e32 v38, v59, v38, vcc
	v_lshlrev_b32_sdwa v56, v56, v41 dst_sel:DWORD dst_unused:UNUSED_PAD src0_sel:DWORD src1_sel:WORD_1
	v_bfrev_b32_e32 v57, 60
	v_lshlrev_b32_e32 v52, 20, v52
	v_and_b32_e32 v56, 0x80000000, v56
	v_lshl_add_u32 v38, v38, 23, v57
	v_or3_b32 v38, v56, v38, v52
	v_lshrrev_b32_e32 v56, 16, v38
.LBB846_197:
	s_or_b64 exec, exec, s[12:13]
.LBB846_198:
	s_or_b64 exec, exec, s[10:11]
.LBB846_199:
	s_or_b64 exec, exec, s[2:3]
	s_mov_b32 s2, 0xffffff
	v_cmp_lt_u32_e32 vcc, s2, v41
	v_mov_b32_e32 v52, 0
	v_mov_b32_e32 v57, 0
	s_and_saveexec_b64 s[2:3], vcc
	s_cbranch_execz .LBB846_205
; %bb.200:
	v_lshrrev_b32_e32 v38, 24, v41
	s_movk_i32 s10, 0x80
	v_cmp_ne_u32_e32 vcc, s10, v38
	v_mov_b32_e32 v57, 0xffff8000
	s_and_saveexec_b64 s[10:11], vcc
	s_cbranch_execz .LBB846_204
; %bb.201:
	v_bfe_u32 v41, v41, 24, 7
	s_movk_i32 s12, 0x7f
	v_cmp_ne_u32_e32 vcc, s12, v41
	v_mov_b32_e32 v57, 0x7f80
	s_and_saveexec_b64 s[12:13], vcc
	s_cbranch_execz .LBB846_203
; %bb.202:
	v_and_b32_e32 v57, 7, v38
	v_ffbh_u32_e32 v58, v57
	v_min_u32_e32 v61, 32, v58
	v_subrev_u32_e32 v58, 28, v61
	v_lshlrev_b64 v[58:59], v58, v[38:39]
	v_lshrrev_b32_e32 v60, 3, v41
	v_sub_u32_e32 v59, 29, v61
	v_and_b32_e32 v58, 7, v58
	v_cmp_gt_u32_e32 vcc, 8, v41
	v_cndmask_b32_e32 v41, v60, v59, vcc
	v_cndmask_b32_e32 v57, v57, v58, vcc
	v_lshlrev_b32_e32 v38, 24, v38
	v_bfrev_b32_e32 v58, 60
	v_lshlrev_b32_e32 v57, 20, v57
	v_and_b32_e32 v38, 0x80000000, v38
	v_lshl_add_u32 v41, v41, 23, v58
	v_or3_b32 v38, v38, v41, v57
	v_lshrrev_b32_e32 v57, 16, v38
.LBB846_203:
	s_or_b64 exec, exec, s[12:13]
.LBB846_204:
	s_or_b64 exec, exec, s[10:11]
.LBB846_205:
	s_or_b64 exec, exec, s[2:3]
	s_mov_b32 s2, 0x5040100
	v_perm_b32 v59, v55, v53, s2
	v_perm_b32 v58, v39, v51, s2
	;; [unrolled: 1-line block ×4, first 2 shown]
	v_cmp_ne_u16_sdwa s[10:11], v30, v52 src0_sel:BYTE_0 src1_sel:DWORD
	v_mfma_f32_16x16x16bf16_1k v[42:45], v[58:59], v[18:19], v[42:45]
	v_mfma_f32_16x16x16bf16_1k v[38:41], v[38:39], v[20:21], v[42:45]
	s_and_saveexec_b64 s[2:3], s[10:11]
	s_cbranch_execz .LBB846_211
; %bb.206:
	s_movk_i32 s10, 0x80
	v_cmp_ne_u16_sdwa s[12:13], v30, s10 src0_sel:BYTE_0 src1_sel:DWORD
	v_mov_b32_e32 v52, 0xffff8000
	s_and_saveexec_b64 s[10:11], s[12:13]
	s_cbranch_execz .LBB846_210
; %bb.207:
	s_movk_i32 s12, 0x7f
	s_nop 1
	v_and_b32_e32 v42, 0x7f, v30
	v_cmp_ne_u32_e32 vcc, s12, v42
	v_mov_b32_e32 v52, 0x7f80
	s_and_saveexec_b64 s[12:13], vcc
	s_cbranch_execz .LBB846_209
; %bb.208:
	v_and_b32_e32 v43, 7, v30
	v_ffbh_u32_e32 v44, v43
	v_min_u32_e32 v52, 32, v44
	v_subrev_u32_e32 v44, 28, v52
	v_lshlrev_b64 v[44:45], v44, v[30:31]
	v_lshrrev_b32_e32 v51, 3, v42
	v_sub_u32_e32 v45, 29, v52
	v_and_b32_e32 v44, 7, v44
	v_cmp_gt_u32_e32 vcc, 8, v42
	v_cndmask_b32_e32 v42, v51, v45, vcc
	v_cndmask_b32_e32 v43, v43, v44, vcc
	v_lshlrev_b32_e32 v44, 24, v30
	v_bfrev_b32_e32 v45, 60
	v_lshlrev_b32_e32 v43, 20, v43
	v_and_b32_e32 v44, 0x80000000, v44
	v_lshl_add_u32 v42, v42, 23, v45
	v_or3_b32 v42, v44, v42, v43
	v_lshrrev_b32_e32 v52, 16, v42
.LBB846_209:
	s_or_b64 exec, exec, s[12:13]
.LBB846_210:
	s_or_b64 exec, exec, s[10:11]
.LBB846_211:
	s_or_b64 exec, exec, s[2:3]
	s_nop 6
	v_lshrrev_b16_e32 v42, 8, v30
	v_cmp_ne_u16_e32 vcc, 0, v42
	v_mov_b32_e32 v44, 0
	v_mov_b32_e32 v43, 0
	s_and_saveexec_b64 s[2:3], vcc
	s_cbranch_execz .LBB846_217
; %bb.212:
	s_movk_i32 s10, 0x80
	v_cmp_ne_u16_e32 vcc, s10, v42
	v_mov_b32_e32 v43, 0xffff8000
	s_and_saveexec_b64 s[10:11], vcc
	s_cbranch_execz .LBB846_216
; %bb.213:
	s_movk_i32 s12, 0x7f
	v_and_b32_e32 v45, 0x7f, v42
	v_cmp_ne_u32_e32 vcc, s12, v45
	v_mov_b32_e32 v43, 0x7f80
	s_and_saveexec_b64 s[12:13], vcc
	s_cbranch_execz .LBB846_215
; %bb.214:
	v_and_b32_e32 v51, 7, v42
	v_ffbh_u32_e32 v43, v51
	v_min_u32_e32 v54, 32, v43
	v_subrev_u32_e32 v43, 28, v54
	v_lshlrev_b64 v[42:43], v43, v[42:43]
	v_lshrrev_b32_e32 v53, 3, v45
	v_sub_u32_e32 v43, 29, v54
	v_and_b32_e32 v42, 7, v42
	v_cmp_gt_u32_e32 vcc, 8, v45
	v_cndmask_b32_e32 v43, v53, v43, vcc
	v_cndmask_b32_e32 v42, v51, v42, vcc
	v_lshlrev_b32_e32 v45, 16, v30
	v_bfrev_b32_e32 v51, 60
	v_lshlrev_b32_e32 v42, 20, v42
	v_and_b32_e32 v45, 0x80000000, v45
	v_lshl_add_u32 v43, v43, 23, v51
	v_or3_b32 v42, v45, v43, v42
	v_lshrrev_b32_e32 v43, 16, v42
.LBB846_215:
	s_or_b64 exec, exec, s[12:13]
.LBB846_216:
	s_or_b64 exec, exec, s[10:11]
.LBB846_217:
	s_or_b64 exec, exec, s[2:3]
	s_movk_i32 s2, 0xff
	v_and_b32_sdwa v45, v30, s2 dst_sel:DWORD dst_unused:UNUSED_PAD src0_sel:WORD_1 src1_sel:DWORD
	v_lshrrev_b32_e32 v42, 16, v30
	v_cmp_ne_u16_e32 vcc, 0, v45
	s_and_saveexec_b64 s[2:3], vcc
	s_cbranch_execz .LBB846_223
; %bb.218:
	s_movk_i32 s10, 0x80
	v_cmp_ne_u16_e32 vcc, s10, v45
	v_mov_b32_e32 v44, 0xffff8000
	s_and_saveexec_b64 s[10:11], vcc
	s_cbranch_execz .LBB846_222
; %bb.219:
	v_bfe_u32 v45, v30, 16, 7
	s_movk_i32 s12, 0x7f
	v_cmp_ne_u32_e32 vcc, s12, v45
	v_mov_b32_e32 v44, 0x7f80
	s_and_saveexec_b64 s[12:13], vcc
	s_cbranch_execz .LBB846_221
; %bb.220:
	v_and_b32_e32 v44, 7, v42
	v_ffbh_u32_e32 v53, v44
	v_min_u32_e32 v53, 32, v53
	v_subrev_u32_e32 v54, 28, v53
	v_lshlrev_b64 v[54:55], v54, v[42:43]
	v_lshrrev_b32_e32 v51, 3, v45
	v_sub_u32_e32 v42, 29, v53
	v_and_b32_e32 v53, 7, v54
	v_cmp_gt_u32_e32 vcc, 8, v45
	v_mov_b32_e32 v45, 24
	v_cndmask_b32_e32 v42, v51, v42, vcc
	v_cndmask_b32_e32 v44, v44, v53, vcc
	v_lshlrev_b32_sdwa v45, v45, v30 dst_sel:DWORD dst_unused:UNUSED_PAD src0_sel:DWORD src1_sel:WORD_1
	v_bfrev_b32_e32 v51, 60
	v_lshlrev_b32_e32 v44, 20, v44
	v_and_b32_e32 v45, 0x80000000, v45
	v_lshl_add_u32 v42, v42, 23, v51
	v_or3_b32 v42, v45, v42, v44
	v_lshrrev_b32_e32 v44, 16, v42
.LBB846_221:
	s_or_b64 exec, exec, s[12:13]
.LBB846_222:
	s_or_b64 exec, exec, s[10:11]
.LBB846_223:
	s_or_b64 exec, exec, s[2:3]
	s_mov_b32 s2, 0xffffff
	v_cmp_lt_u32_e32 vcc, s2, v30
	v_mov_b32_e32 v45, 0
	v_mov_b32_e32 v53, 0
	s_and_saveexec_b64 s[2:3], vcc
	s_cbranch_execz .LBB846_229
; %bb.224:
	v_lshrrev_b32_e32 v42, 24, v30
	s_movk_i32 s10, 0x80
	v_cmp_ne_u32_e32 vcc, s10, v42
	v_mov_b32_e32 v53, 0xffff8000
	s_and_saveexec_b64 s[10:11], vcc
	s_cbranch_execz .LBB846_228
; %bb.225:
	v_bfe_u32 v30, v30, 24, 7
	s_movk_i32 s12, 0x7f
	v_cmp_ne_u32_e32 vcc, s12, v30
	v_mov_b32_e32 v53, 0x7f80
	s_and_saveexec_b64 s[12:13], vcc
	s_cbranch_execz .LBB846_227
; %bb.226:
	v_and_b32_e32 v51, 7, v42
	v_ffbh_u32_e32 v54, v51
	v_min_u32_e32 v56, 32, v54
	v_subrev_u32_e32 v54, 28, v56
	v_lshlrev_b64 v[54:55], v54, v[42:43]
	v_lshrrev_b32_e32 v53, 3, v30
	v_sub_u32_e32 v55, 29, v56
	v_and_b32_e32 v54, 7, v54
	v_cmp_gt_u32_e32 vcc, 8, v30
	v_cndmask_b32_e32 v30, v53, v55, vcc
	v_cndmask_b32_e32 v51, v51, v54, vcc
	v_lshlrev_b32_e32 v42, 24, v42
	v_bfrev_b32_e32 v53, 60
	v_lshlrev_b32_e32 v51, 20, v51
	v_and_b32_e32 v42, 0x80000000, v42
	v_lshl_add_u32 v30, v30, 23, v53
	v_or3_b32 v30, v42, v30, v51
	v_lshrrev_b32_e32 v53, 16, v30
.LBB846_227:
	s_or_b64 exec, exec, s[12:13]
.LBB846_228:
	s_or_b64 exec, exec, s[10:11]
.LBB846_229:
	s_or_b64 exec, exec, s[2:3]
	v_cmp_ne_u16_sdwa s[10:11], v31, v45 src0_sel:BYTE_0 src1_sel:DWORD
	s_and_saveexec_b64 s[2:3], s[10:11]
	s_cbranch_execz .LBB846_235
; %bb.230:
	s_movk_i32 s10, 0x80
	v_cmp_ne_u16_sdwa s[12:13], v31, s10 src0_sel:BYTE_0 src1_sel:DWORD
	v_mov_b32_e32 v45, 0xffff8000
	s_and_saveexec_b64 s[10:11], s[12:13]
	s_cbranch_execz .LBB846_234
; %bb.231:
	s_movk_i32 s12, 0x7f
	v_and_b32_e32 v30, 0x7f, v31
	v_cmp_ne_u32_e32 vcc, s12, v30
	v_mov_b32_e32 v45, 0x7f80
	s_and_saveexec_b64 s[12:13], vcc
	s_cbranch_execz .LBB846_233
; %bb.232:
	v_and_b32_e32 v45, 7, v31
	v_ffbh_u32_e32 v54, v45
	v_min_u32_e32 v56, 32, v54
	v_mov_b32_e32 v42, v31
	v_subrev_u32_e32 v54, 28, v56
	v_lshlrev_b64 v[54:55], v54, v[42:43]
	v_lshrrev_b32_e32 v51, 3, v30
	v_sub_u32_e32 v42, 29, v56
	v_and_b32_e32 v54, 7, v54
	v_cmp_gt_u32_e32 vcc, 8, v30
	v_cndmask_b32_e32 v30, v51, v42, vcc
	v_cndmask_b32_e32 v42, v45, v54, vcc
	v_lshlrev_b32_e32 v45, 24, v31
	v_bfrev_b32_e32 v51, 60
	v_lshlrev_b32_e32 v42, 20, v42
	v_and_b32_e32 v45, 0x80000000, v45
	v_lshl_add_u32 v30, v30, 23, v51
	v_or3_b32 v30, v45, v30, v42
	v_lshrrev_b32_e32 v45, 16, v30
.LBB846_233:
	s_or_b64 exec, exec, s[12:13]
.LBB846_234:
	s_or_b64 exec, exec, s[10:11]
.LBB846_235:
	s_or_b64 exec, exec, s[2:3]
	v_lshrrev_b16_e32 v30, 8, v31
	v_cmp_ne_u16_e32 vcc, 0, v30
	v_mov_b32_e32 v54, 0
	v_mov_b32_e32 v42, 0
	s_and_saveexec_b64 s[2:3], vcc
	s_cbranch_execz .LBB846_241
; %bb.236:
	s_movk_i32 s10, 0x80
	v_cmp_ne_u16_e32 vcc, s10, v30
	v_mov_b32_e32 v42, 0xffff8000
	s_and_saveexec_b64 s[10:11], vcc
	s_cbranch_execz .LBB846_240
; %bb.237:
	s_movk_i32 s12, 0x7f
	v_and_b32_e32 v51, 0x7f, v30
	v_cmp_ne_u32_e32 vcc, s12, v51
	v_mov_b32_e32 v42, 0x7f80
	s_and_saveexec_b64 s[12:13], vcc
	s_cbranch_execz .LBB846_239
; %bb.238:
	v_and_b32_e32 v42, 7, v30
	v_ffbh_u32_e32 v56, v42
	v_min_u32_e32 v58, 32, v56
	v_subrev_u32_e32 v56, 28, v58
	v_lshlrev_b64 v[56:57], v56, v[30:31]
	v_lshrrev_b32_e32 v55, 3, v51
	v_sub_u32_e32 v30, 29, v58
	v_and_b32_e32 v56, 7, v56
	v_cmp_gt_u32_e32 vcc, 8, v51
	v_cndmask_b32_e32 v30, v55, v30, vcc
	v_cndmask_b32_e32 v42, v42, v56, vcc
	v_lshlrev_b32_e32 v51, 16, v31
	v_bfrev_b32_e32 v55, 60
	v_lshlrev_b32_e32 v42, 20, v42
	v_and_b32_e32 v51, 0x80000000, v51
	v_lshl_add_u32 v30, v30, 23, v55
	v_or3_b32 v30, v51, v30, v42
	v_lshrrev_b32_e32 v42, 16, v30
.LBB846_239:
	s_or_b64 exec, exec, s[12:13]
.LBB846_240:
	s_or_b64 exec, exec, s[10:11]
.LBB846_241:
	s_or_b64 exec, exec, s[2:3]
	s_movk_i32 s2, 0xff
	v_and_b32_sdwa v51, v31, s2 dst_sel:DWORD dst_unused:UNUSED_PAD src0_sel:WORD_1 src1_sel:DWORD
	v_lshrrev_b32_e32 v30, 16, v31
	v_cmp_ne_u16_e32 vcc, 0, v51
	s_and_saveexec_b64 s[2:3], vcc
	s_cbranch_execz .LBB846_247
; %bb.242:
	s_movk_i32 s10, 0x80
	v_cmp_ne_u16_e32 vcc, s10, v51
	v_mov_b32_e32 v54, 0xffff8000
	s_and_saveexec_b64 s[10:11], vcc
	s_cbranch_execz .LBB846_246
; %bb.243:
	v_bfe_u32 v51, v31, 16, 7
	s_movk_i32 s12, 0x7f
	v_cmp_ne_u32_e32 vcc, s12, v51
	v_mov_b32_e32 v54, 0x7f80
	s_and_saveexec_b64 s[12:13], vcc
	s_cbranch_execz .LBB846_245
; %bb.244:
	v_and_b32_e32 v56, 7, v30
	v_ffbh_u32_e32 v54, v56
	v_min_u32_e32 v58, 32, v54
	v_subrev_u32_e32 v54, 28, v58
	v_lshlrev_b64 v[54:55], v54, v[30:31]
	v_and_b32_e32 v54, 7, v54
	v_cmp_gt_u32_e32 vcc, 8, v51
	v_lshrrev_b32_e32 v57, 3, v51
	v_sub_u32_e32 v30, 29, v58
	v_cndmask_b32_e32 v51, v56, v54, vcc
	v_mov_b32_e32 v54, 24
	v_cndmask_b32_e32 v30, v57, v30, vcc
	v_lshlrev_b32_sdwa v54, v54, v31 dst_sel:DWORD dst_unused:UNUSED_PAD src0_sel:DWORD src1_sel:WORD_1
	v_bfrev_b32_e32 v55, 60
	v_lshlrev_b32_e32 v51, 20, v51
	v_and_b32_e32 v54, 0x80000000, v54
	v_lshl_add_u32 v30, v30, 23, v55
	v_or3_b32 v30, v54, v30, v51
	v_lshrrev_b32_e32 v54, 16, v30
.LBB846_245:
	s_or_b64 exec, exec, s[12:13]
.LBB846_246:
	s_or_b64 exec, exec, s[10:11]
.LBB846_247:
	s_or_b64 exec, exec, s[2:3]
	s_mov_b32 s2, 0xffffff
	v_cmp_lt_u32_e32 vcc, s2, v31
	v_mov_b32_e32 v51, 0
	v_mov_b32_e32 v55, 0
	s_and_saveexec_b64 s[2:3], vcc
	s_cbranch_execz .LBB846_253
; %bb.248:
	v_lshrrev_b32_e32 v30, 24, v31
	s_movk_i32 s10, 0x80
	v_cmp_ne_u32_e32 vcc, s10, v30
	v_mov_b32_e32 v55, 0xffff8000
	s_and_saveexec_b64 s[10:11], vcc
	s_cbranch_execz .LBB846_252
; %bb.249:
	v_bfe_u32 v31, v31, 24, 7
	s_movk_i32 s12, 0x7f
	v_cmp_ne_u32_e32 vcc, s12, v31
	v_mov_b32_e32 v55, 0x7f80
	s_and_saveexec_b64 s[12:13], vcc
	s_cbranch_execz .LBB846_251
; %bb.250:
	v_and_b32_e32 v55, 7, v30
	v_ffbh_u32_e32 v56, v55
	v_min_u32_e32 v59, 32, v56
	v_subrev_u32_e32 v56, 28, v59
	v_lshlrev_b64 v[56:57], v56, v[30:31]
	v_lshrrev_b32_e32 v58, 3, v31
	v_sub_u32_e32 v57, 29, v59
	v_and_b32_e32 v56, 7, v56
	v_cmp_gt_u32_e32 vcc, 8, v31
	v_cndmask_b32_e32 v31, v58, v57, vcc
	v_cndmask_b32_e32 v55, v55, v56, vcc
	v_lshlrev_b32_e32 v30, 24, v30
	v_bfrev_b32_e32 v56, 60
	v_lshlrev_b32_e32 v55, 20, v55
	v_and_b32_e32 v30, 0x80000000, v30
	v_lshl_add_u32 v31, v31, 23, v56
	v_or3_b32 v30, v30, v31, v55
	v_lshrrev_b32_e32 v55, 16, v30
.LBB846_251:
	s_or_b64 exec, exec, s[12:13]
.LBB846_252:
	s_or_b64 exec, exec, s[10:11]
.LBB846_253:
	s_or_b64 exec, exec, s[2:3]
	s_mov_b32 s2, 0x5040100
	v_perm_b32 v31, v53, v44, s2
	v_perm_b32 v30, v43, v52, s2
	v_cmp_ne_u16_sdwa s[10:11], v32, v51 src0_sel:BYTE_0 src1_sel:DWORD
	s_nop 0
	v_mfma_f32_16x16x16bf16_1k v[56:59], v[30:31], v[26:27], 0
	v_perm_b32 v31, v55, v54, s2
	v_perm_b32 v30, v42, v45, s2
	s_nop 1
	v_mfma_f32_16x16x16bf16_1k v[42:45], v[30:31], v[28:29], v[56:59]
	s_and_saveexec_b64 s[2:3], s[10:11]
	s_cbranch_execz .LBB846_259
; %bb.254:
	s_movk_i32 s10, 0x80
	v_cmp_ne_u16_sdwa s[12:13], v32, s10 src0_sel:BYTE_0 src1_sel:DWORD
	v_mov_b32_e32 v51, 0xffff8000
	s_and_saveexec_b64 s[10:11], s[12:13]
	s_cbranch_execz .LBB846_258
; %bb.255:
	s_movk_i32 s12, 0x7f
	v_and_b32_e32 v30, 0x7f, v32
	v_cmp_ne_u32_e32 vcc, s12, v30
	v_mov_b32_e32 v51, 0x7f80
	s_and_saveexec_b64 s[12:13], vcc
	s_cbranch_execz .LBB846_257
; %bb.256:
	v_and_b32_e32 v31, 7, v32
	v_ffbh_u32_e32 v52, v31
	v_min_u32_e32 v54, 32, v52
	v_subrev_u32_e32 v52, 28, v54
	v_lshlrev_b64 v[52:53], v52, v[32:33]
	v_lshrrev_b32_e32 v51, 3, v30
	v_sub_u32_e32 v53, 29, v54
	v_and_b32_e32 v52, 7, v52
	v_cmp_gt_u32_e32 vcc, 8, v30
	v_cndmask_b32_e32 v30, v51, v53, vcc
	v_cndmask_b32_e32 v31, v31, v52, vcc
	v_lshlrev_b32_e32 v51, 24, v32
	v_bfrev_b32_e32 v52, 60
	v_lshlrev_b32_e32 v31, 20, v31
	v_and_b32_e32 v51, 0x80000000, v51
	v_lshl_add_u32 v30, v30, 23, v52
	v_or3_b32 v30, v51, v30, v31
	v_lshrrev_b32_e32 v51, 16, v30
.LBB846_257:
	s_or_b64 exec, exec, s[12:13]
.LBB846_258:
	s_or_b64 exec, exec, s[10:11]
.LBB846_259:
	s_or_b64 exec, exec, s[2:3]
	v_lshrrev_b16_e32 v30, 8, v32
	v_cmp_ne_u16_e32 vcc, 0, v30
	v_mov_b32_e32 v53, 0
	v_mov_b32_e32 v31, 0
	s_and_saveexec_b64 s[2:3], vcc
	s_cbranch_execz .LBB846_265
; %bb.260:
	s_movk_i32 s10, 0x80
	v_cmp_ne_u16_e32 vcc, s10, v30
	v_mov_b32_e32 v31, 0xffff8000
	s_and_saveexec_b64 s[10:11], vcc
	s_cbranch_execz .LBB846_264
; %bb.261:
	s_movk_i32 s12, 0x7f
	v_and_b32_e32 v52, 0x7f, v30
	v_cmp_ne_u32_e32 vcc, s12, v52
	v_mov_b32_e32 v31, 0x7f80
	s_and_saveexec_b64 s[12:13], vcc
	s_cbranch_execz .LBB846_263
; %bb.262:
	v_and_b32_e32 v54, 7, v30
	v_ffbh_u32_e32 v31, v54
	v_min_u32_e32 v56, 32, v31
	v_subrev_u32_e32 v31, 28, v56
	v_lshlrev_b64 v[30:31], v31, v[30:31]
	v_lshrrev_b32_e32 v55, 3, v52
	v_sub_u32_e32 v31, 29, v56
	v_and_b32_e32 v30, 7, v30
	v_cmp_gt_u32_e32 vcc, 8, v52
	v_cndmask_b32_e32 v31, v55, v31, vcc
	v_cndmask_b32_e32 v30, v54, v30, vcc
	v_lshlrev_b32_e32 v52, 16, v32
	v_bfrev_b32_e32 v54, 60
	v_lshlrev_b32_e32 v30, 20, v30
	v_and_b32_e32 v52, 0x80000000, v52
	v_lshl_add_u32 v31, v31, 23, v54
	v_or3_b32 v30, v52, v31, v30
	v_lshrrev_b32_e32 v31, 16, v30
.LBB846_263:
	s_or_b64 exec, exec, s[12:13]
.LBB846_264:
	s_or_b64 exec, exec, s[10:11]
.LBB846_265:
	s_or_b64 exec, exec, s[2:3]
	s_movk_i32 s2, 0xff
	v_and_b32_sdwa v52, v32, s2 dst_sel:DWORD dst_unused:UNUSED_PAD src0_sel:WORD_1 src1_sel:DWORD
	v_lshrrev_b32_e32 v30, 16, v32
	v_cmp_ne_u16_e32 vcc, 0, v52
	s_and_saveexec_b64 s[2:3], vcc
	s_cbranch_execz .LBB846_271
; %bb.266:
	s_movk_i32 s10, 0x80
	v_cmp_ne_u16_e32 vcc, s10, v52
	v_mov_b32_e32 v53, 0xffff8000
	s_and_saveexec_b64 s[10:11], vcc
	s_cbranch_execz .LBB846_270
; %bb.267:
	v_bfe_u32 v52, v32, 16, 7
	s_movk_i32 s12, 0x7f
	v_cmp_ne_u32_e32 vcc, s12, v52
	v_mov_b32_e32 v53, 0x7f80
	s_and_saveexec_b64 s[12:13], vcc
	s_cbranch_execz .LBB846_269
; %bb.268:
	v_and_b32_e32 v53, 7, v30
	v_ffbh_u32_e32 v54, v53
	v_min_u32_e32 v57, 32, v54
	v_subrev_u32_e32 v54, 28, v57
	v_lshlrev_b64 v[54:55], v54, v[30:31]
	v_and_b32_e32 v54, 7, v54
	v_cmp_gt_u32_e32 vcc, 8, v52
	v_lshrrev_b32_e32 v56, 3, v52
	v_sub_u32_e32 v30, 29, v57
	v_cndmask_b32_e32 v52, v53, v54, vcc
	v_mov_b32_e32 v53, 24
	v_cndmask_b32_e32 v30, v56, v30, vcc
	v_lshlrev_b32_sdwa v53, v53, v32 dst_sel:DWORD dst_unused:UNUSED_PAD src0_sel:DWORD src1_sel:WORD_1
	v_bfrev_b32_e32 v54, 60
	v_lshlrev_b32_e32 v52, 20, v52
	v_and_b32_e32 v53, 0x80000000, v53
	v_lshl_add_u32 v30, v30, 23, v54
	v_or3_b32 v30, v53, v30, v52
	v_lshrrev_b32_e32 v53, 16, v30
.LBB846_269:
	s_or_b64 exec, exec, s[12:13]
.LBB846_270:
	s_or_b64 exec, exec, s[10:11]
.LBB846_271:
	s_or_b64 exec, exec, s[2:3]
	s_mov_b32 s2, 0xffffff
	v_cmp_lt_u32_e32 vcc, s2, v32
	v_mov_b32_e32 v54, 0
	v_mov_b32_e32 v55, 0
	s_and_saveexec_b64 s[2:3], vcc
	s_cbranch_execz .LBB846_277
; %bb.272:
	v_lshrrev_b32_e32 v30, 24, v32
	s_movk_i32 s10, 0x80
	v_cmp_ne_u32_e32 vcc, s10, v30
	v_mov_b32_e32 v55, 0xffff8000
	s_and_saveexec_b64 s[10:11], vcc
	s_cbranch_execz .LBB846_276
; %bb.273:
	v_bfe_u32 v32, v32, 24, 7
	s_movk_i32 s12, 0x7f
	v_cmp_ne_u32_e32 vcc, s12, v32
	v_mov_b32_e32 v55, 0x7f80
	s_and_saveexec_b64 s[12:13], vcc
	s_cbranch_execz .LBB846_275
; %bb.274:
	v_and_b32_e32 v52, 7, v30
	v_ffbh_u32_e32 v56, v52
	v_min_u32_e32 v58, 32, v56
	v_subrev_u32_e32 v56, 28, v58
	v_lshlrev_b64 v[56:57], v56, v[30:31]
	v_lshrrev_b32_e32 v55, 3, v32
	v_sub_u32_e32 v57, 29, v58
	v_and_b32_e32 v56, 7, v56
	v_cmp_gt_u32_e32 vcc, 8, v32
	v_cndmask_b32_e32 v32, v55, v57, vcc
	v_cndmask_b32_e32 v52, v52, v56, vcc
	v_lshlrev_b32_e32 v30, 24, v30
	v_bfrev_b32_e32 v55, 60
	v_lshlrev_b32_e32 v52, 20, v52
	v_and_b32_e32 v30, 0x80000000, v30
	v_lshl_add_u32 v32, v32, 23, v55
	v_or3_b32 v30, v30, v32, v52
	v_lshrrev_b32_e32 v55, 16, v30
.LBB846_275:
	s_or_b64 exec, exec, s[12:13]
.LBB846_276:
	s_or_b64 exec, exec, s[10:11]
.LBB846_277:
	s_or_b64 exec, exec, s[2:3]
	v_cmp_ne_u16_sdwa s[10:11], v33, v54 src0_sel:BYTE_0 src1_sel:DWORD
	s_and_saveexec_b64 s[2:3], s[10:11]
	s_cbranch_execz .LBB846_283
; %bb.278:
	s_movk_i32 s10, 0x80
	v_cmp_ne_u16_sdwa s[12:13], v33, s10 src0_sel:BYTE_0 src1_sel:DWORD
	v_mov_b32_e32 v54, 0xffff8000
	s_and_saveexec_b64 s[10:11], s[12:13]
	s_cbranch_execz .LBB846_282
; %bb.279:
	s_movk_i32 s12, 0x7f
	v_and_b32_e32 v30, 0x7f, v33
	v_cmp_ne_u32_e32 vcc, s12, v30
	v_mov_b32_e32 v54, 0x7f80
	s_and_saveexec_b64 s[12:13], vcc
	s_cbranch_execz .LBB846_281
; %bb.280:
	v_and_b32_e32 v52, 7, v33
	v_ffbh_u32_e32 v56, v52
	v_min_u32_e32 v58, 32, v56
	v_mov_b32_e32 v32, v33
	v_subrev_u32_e32 v56, 28, v58
	v_lshlrev_b64 v[56:57], v56, v[32:33]
	v_lshrrev_b32_e32 v54, 3, v30
	v_sub_u32_e32 v32, 29, v58
	v_and_b32_e32 v56, 7, v56
	v_cmp_gt_u32_e32 vcc, 8, v30
	v_cndmask_b32_e32 v30, v54, v32, vcc
	v_cndmask_b32_e32 v32, v52, v56, vcc
	v_lshlrev_b32_e32 v52, 24, v33
	v_bfrev_b32_e32 v54, 60
	v_lshlrev_b32_e32 v32, 20, v32
	v_and_b32_e32 v52, 0x80000000, v52
	v_lshl_add_u32 v30, v30, 23, v54
	v_or3_b32 v30, v52, v30, v32
	v_lshrrev_b32_e32 v54, 16, v30
.LBB846_281:
	s_or_b64 exec, exec, s[12:13]
.LBB846_282:
	s_or_b64 exec, exec, s[10:11]
.LBB846_283:
	s_or_b64 exec, exec, s[2:3]
	v_lshrrev_b16_e32 v30, 8, v33
	v_cmp_ne_u16_e32 vcc, 0, v30
	v_mov_b32_e32 v56, 0
	v_mov_b32_e32 v32, 0
	s_and_saveexec_b64 s[2:3], vcc
	s_cbranch_execz .LBB846_289
; %bb.284:
	s_movk_i32 s10, 0x80
	v_cmp_ne_u16_e32 vcc, s10, v30
	v_mov_b32_e32 v32, 0xffff8000
	s_and_saveexec_b64 s[10:11], vcc
	s_cbranch_execz .LBB846_288
; %bb.285:
	s_movk_i32 s12, 0x7f
	v_and_b32_e32 v52, 0x7f, v30
	v_cmp_ne_u32_e32 vcc, s12, v52
	v_mov_b32_e32 v32, 0x7f80
	s_and_saveexec_b64 s[12:13], vcc
	s_cbranch_execz .LBB846_287
; %bb.286:
	v_and_b32_e32 v32, 7, v30
	v_ffbh_u32_e32 v58, v32
	v_min_u32_e32 v60, 32, v58
	v_subrev_u32_e32 v58, 28, v60
	v_lshlrev_b64 v[58:59], v58, v[30:31]
	v_lshrrev_b32_e32 v57, 3, v52
	v_sub_u32_e32 v30, 29, v60
	v_and_b32_e32 v58, 7, v58
	v_cmp_gt_u32_e32 vcc, 8, v52
	v_cndmask_b32_e32 v30, v57, v30, vcc
	v_cndmask_b32_e32 v32, v32, v58, vcc
	v_lshlrev_b32_e32 v52, 16, v33
	v_bfrev_b32_e32 v57, 60
	v_lshlrev_b32_e32 v32, 20, v32
	v_and_b32_e32 v52, 0x80000000, v52
	v_lshl_add_u32 v30, v30, 23, v57
	v_or3_b32 v30, v52, v30, v32
	v_lshrrev_b32_e32 v32, 16, v30
.LBB846_287:
	s_or_b64 exec, exec, s[12:13]
.LBB846_288:
	s_or_b64 exec, exec, s[10:11]
.LBB846_289:
	s_or_b64 exec, exec, s[2:3]
	s_movk_i32 s2, 0xff
	v_and_b32_sdwa v52, v33, s2 dst_sel:DWORD dst_unused:UNUSED_PAD src0_sel:WORD_1 src1_sel:DWORD
	v_lshrrev_b32_e32 v30, 16, v33
	v_cmp_ne_u16_e32 vcc, 0, v52
	s_and_saveexec_b64 s[2:3], vcc
	s_cbranch_execz .LBB846_295
; %bb.290:
	s_movk_i32 s10, 0x80
	v_cmp_ne_u16_e32 vcc, s10, v52
	v_mov_b32_e32 v56, 0xffff8000
	s_and_saveexec_b64 s[10:11], vcc
	s_cbranch_execz .LBB846_294
; %bb.291:
	v_bfe_u32 v52, v33, 16, 7
	s_movk_i32 s12, 0x7f
	v_cmp_ne_u32_e32 vcc, s12, v52
	v_mov_b32_e32 v56, 0x7f80
	s_and_saveexec_b64 s[12:13], vcc
	s_cbranch_execz .LBB846_293
; %bb.292:
	v_and_b32_e32 v58, 7, v30
	v_ffbh_u32_e32 v56, v58
	v_min_u32_e32 v60, 32, v56
	v_subrev_u32_e32 v56, 28, v60
	v_lshlrev_b64 v[56:57], v56, v[30:31]
	v_and_b32_e32 v56, 7, v56
	v_cmp_gt_u32_e32 vcc, 8, v52
	v_lshrrev_b32_e32 v59, 3, v52
	v_sub_u32_e32 v30, 29, v60
	v_cndmask_b32_e32 v52, v58, v56, vcc
	v_mov_b32_e32 v56, 24
	v_cndmask_b32_e32 v30, v59, v30, vcc
	v_lshlrev_b32_sdwa v56, v56, v33 dst_sel:DWORD dst_unused:UNUSED_PAD src0_sel:DWORD src1_sel:WORD_1
	v_bfrev_b32_e32 v57, 60
	v_lshlrev_b32_e32 v52, 20, v52
	v_and_b32_e32 v56, 0x80000000, v56
	v_lshl_add_u32 v30, v30, 23, v57
	v_or3_b32 v30, v56, v30, v52
	v_lshrrev_b32_e32 v56, 16, v30
.LBB846_293:
	s_or_b64 exec, exec, s[12:13]
.LBB846_294:
	s_or_b64 exec, exec, s[10:11]
.LBB846_295:
	s_or_b64 exec, exec, s[2:3]
	s_mov_b32 s2, 0xffffff
	v_cmp_lt_u32_e32 vcc, s2, v33
	v_mov_b32_e32 v52, 0
	v_mov_b32_e32 v57, 0
	s_and_saveexec_b64 s[2:3], vcc
	s_cbranch_execz .LBB846_301
; %bb.296:
	v_lshrrev_b32_e32 v30, 24, v33
	s_movk_i32 s10, 0x80
	v_cmp_ne_u32_e32 vcc, s10, v30
	v_mov_b32_e32 v57, 0xffff8000
	s_and_saveexec_b64 s[10:11], vcc
	s_cbranch_execz .LBB846_300
; %bb.297:
	v_bfe_u32 v33, v33, 24, 7
	s_movk_i32 s12, 0x7f
	v_cmp_ne_u32_e32 vcc, s12, v33
	v_mov_b32_e32 v57, 0x7f80
	s_and_saveexec_b64 s[12:13], vcc
	s_cbranch_execz .LBB846_299
; %bb.298:
	v_and_b32_e32 v57, 7, v30
	v_ffbh_u32_e32 v58, v57
	v_min_u32_e32 v61, 32, v58
	v_subrev_u32_e32 v58, 28, v61
	v_lshlrev_b64 v[58:59], v58, v[30:31]
	v_lshrrev_b32_e32 v60, 3, v33
	v_sub_u32_e32 v59, 29, v61
	v_and_b32_e32 v58, 7, v58
	v_cmp_gt_u32_e32 vcc, 8, v33
	v_cndmask_b32_e32 v33, v60, v59, vcc
	v_cndmask_b32_e32 v57, v57, v58, vcc
	v_lshlrev_b32_e32 v30, 24, v30
	v_bfrev_b32_e32 v58, 60
	v_lshlrev_b32_e32 v57, 20, v57
	v_and_b32_e32 v30, 0x80000000, v30
	v_lshl_add_u32 v33, v33, 23, v58
	v_or3_b32 v30, v30, v33, v57
	v_lshrrev_b32_e32 v57, 16, v30
.LBB846_299:
	s_or_b64 exec, exec, s[12:13]
.LBB846_300:
	s_or_b64 exec, exec, s[10:11]
.LBB846_301:
	s_or_b64 exec, exec, s[2:3]
	s_mov_b32 s2, 0x5040100
	v_perm_b32 v59, v55, v53, s2
	v_perm_b32 v58, v31, v51, s2
	;; [unrolled: 1-line block ×4, first 2 shown]
	v_cmp_ne_u16_sdwa s[10:11], v22, v52 src0_sel:BYTE_0 src1_sel:DWORD
	v_mfma_f32_16x16x16bf16_1k v[42:45], v[58:59], v[18:19], v[42:45]
	v_mfma_f32_16x16x16bf16_1k v[30:33], v[30:31], v[20:21], v[42:45]
	s_and_saveexec_b64 s[2:3], s[10:11]
	s_cbranch_execz .LBB846_307
; %bb.302:
	s_movk_i32 s10, 0x80
	v_cmp_ne_u16_sdwa s[12:13], v22, s10 src0_sel:BYTE_0 src1_sel:DWORD
	v_mov_b32_e32 v52, 0xffff8000
	s_and_saveexec_b64 s[10:11], s[12:13]
	s_cbranch_execz .LBB846_306
; %bb.303:
	s_movk_i32 s12, 0x7f
	s_nop 1
	v_and_b32_e32 v42, 0x7f, v22
	v_cmp_ne_u32_e32 vcc, s12, v42
	v_mov_b32_e32 v52, 0x7f80
	s_and_saveexec_b64 s[12:13], vcc
	s_cbranch_execz .LBB846_305
; %bb.304:
	v_and_b32_e32 v43, 7, v22
	v_ffbh_u32_e32 v44, v43
	v_min_u32_e32 v52, 32, v44
	v_subrev_u32_e32 v44, 28, v52
	v_lshlrev_b64 v[44:45], v44, v[22:23]
	v_lshrrev_b32_e32 v51, 3, v42
	v_sub_u32_e32 v45, 29, v52
	v_and_b32_e32 v44, 7, v44
	v_cmp_gt_u32_e32 vcc, 8, v42
	v_cndmask_b32_e32 v42, v51, v45, vcc
	v_cndmask_b32_e32 v43, v43, v44, vcc
	v_lshlrev_b32_e32 v44, 24, v22
	v_bfrev_b32_e32 v45, 60
	v_lshlrev_b32_e32 v43, 20, v43
	v_and_b32_e32 v44, 0x80000000, v44
	v_lshl_add_u32 v42, v42, 23, v45
	v_or3_b32 v42, v44, v42, v43
	v_lshrrev_b32_e32 v52, 16, v42
.LBB846_305:
	s_or_b64 exec, exec, s[12:13]
.LBB846_306:
	s_or_b64 exec, exec, s[10:11]
.LBB846_307:
	s_or_b64 exec, exec, s[2:3]
	s_nop 6
	v_lshrrev_b16_e32 v42, 8, v22
	v_cmp_ne_u16_e32 vcc, 0, v42
	v_mov_b32_e32 v44, 0
	v_mov_b32_e32 v43, 0
	s_and_saveexec_b64 s[2:3], vcc
	s_cbranch_execz .LBB846_313
; %bb.308:
	s_movk_i32 s10, 0x80
	v_cmp_ne_u16_e32 vcc, s10, v42
	v_mov_b32_e32 v43, 0xffff8000
	s_and_saveexec_b64 s[10:11], vcc
	s_cbranch_execz .LBB846_312
; %bb.309:
	s_movk_i32 s12, 0x7f
	v_and_b32_e32 v45, 0x7f, v42
	v_cmp_ne_u32_e32 vcc, s12, v45
	v_mov_b32_e32 v43, 0x7f80
	s_and_saveexec_b64 s[12:13], vcc
	s_cbranch_execz .LBB846_311
; %bb.310:
	v_and_b32_e32 v51, 7, v42
	v_ffbh_u32_e32 v43, v51
	v_min_u32_e32 v54, 32, v43
	v_subrev_u32_e32 v43, 28, v54
	v_lshlrev_b64 v[42:43], v43, v[42:43]
	v_lshrrev_b32_e32 v53, 3, v45
	v_sub_u32_e32 v43, 29, v54
	v_and_b32_e32 v42, 7, v42
	v_cmp_gt_u32_e32 vcc, 8, v45
	v_cndmask_b32_e32 v43, v53, v43, vcc
	v_cndmask_b32_e32 v42, v51, v42, vcc
	v_lshlrev_b32_e32 v45, 16, v22
	v_bfrev_b32_e32 v51, 60
	v_lshlrev_b32_e32 v42, 20, v42
	v_and_b32_e32 v45, 0x80000000, v45
	v_lshl_add_u32 v43, v43, 23, v51
	v_or3_b32 v42, v45, v43, v42
	v_lshrrev_b32_e32 v43, 16, v42
.LBB846_311:
	s_or_b64 exec, exec, s[12:13]
.LBB846_312:
	s_or_b64 exec, exec, s[10:11]
.LBB846_313:
	s_or_b64 exec, exec, s[2:3]
	s_movk_i32 s2, 0xff
	v_and_b32_sdwa v45, v22, s2 dst_sel:DWORD dst_unused:UNUSED_PAD src0_sel:WORD_1 src1_sel:DWORD
	v_lshrrev_b32_e32 v42, 16, v22
	v_cmp_ne_u16_e32 vcc, 0, v45
	s_and_saveexec_b64 s[2:3], vcc
	s_cbranch_execz .LBB846_319
; %bb.314:
	s_movk_i32 s10, 0x80
	v_cmp_ne_u16_e32 vcc, s10, v45
	v_mov_b32_e32 v44, 0xffff8000
	s_and_saveexec_b64 s[10:11], vcc
	s_cbranch_execz .LBB846_318
; %bb.315:
	v_bfe_u32 v45, v22, 16, 7
	s_movk_i32 s12, 0x7f
	v_cmp_ne_u32_e32 vcc, s12, v45
	v_mov_b32_e32 v44, 0x7f80
	s_and_saveexec_b64 s[12:13], vcc
	s_cbranch_execz .LBB846_317
; %bb.316:
	v_and_b32_e32 v44, 7, v42
	v_ffbh_u32_e32 v53, v44
	v_min_u32_e32 v53, 32, v53
	v_subrev_u32_e32 v54, 28, v53
	v_lshlrev_b64 v[54:55], v54, v[42:43]
	v_lshrrev_b32_e32 v51, 3, v45
	v_sub_u32_e32 v42, 29, v53
	v_and_b32_e32 v53, 7, v54
	v_cmp_gt_u32_e32 vcc, 8, v45
	v_mov_b32_e32 v45, 24
	v_cndmask_b32_e32 v42, v51, v42, vcc
	v_cndmask_b32_e32 v44, v44, v53, vcc
	v_lshlrev_b32_sdwa v45, v45, v22 dst_sel:DWORD dst_unused:UNUSED_PAD src0_sel:DWORD src1_sel:WORD_1
	v_bfrev_b32_e32 v51, 60
	v_lshlrev_b32_e32 v44, 20, v44
	v_and_b32_e32 v45, 0x80000000, v45
	v_lshl_add_u32 v42, v42, 23, v51
	v_or3_b32 v42, v45, v42, v44
	v_lshrrev_b32_e32 v44, 16, v42
.LBB846_317:
	s_or_b64 exec, exec, s[12:13]
.LBB846_318:
	s_or_b64 exec, exec, s[10:11]
.LBB846_319:
	s_or_b64 exec, exec, s[2:3]
	s_mov_b32 s2, 0xffffff
	v_cmp_lt_u32_e32 vcc, s2, v22
	v_mov_b32_e32 v45, 0
	v_mov_b32_e32 v51, 0
	s_and_saveexec_b64 s[2:3], vcc
	s_cbranch_execz .LBB846_325
; %bb.320:
	v_lshrrev_b32_e32 v42, 24, v22
	s_movk_i32 s10, 0x80
	v_cmp_ne_u32_e32 vcc, s10, v42
	v_mov_b32_e32 v51, 0xffff8000
	s_and_saveexec_b64 s[10:11], vcc
	s_cbranch_execz .LBB846_324
; %bb.321:
	v_bfe_u32 v22, v22, 24, 7
	s_movk_i32 s12, 0x7f
	v_cmp_ne_u32_e32 vcc, s12, v22
	v_mov_b32_e32 v51, 0x7f80
	s_and_saveexec_b64 s[12:13], vcc
	s_cbranch_execz .LBB846_323
; %bb.322:
	v_and_b32_e32 v51, 7, v42
	v_ffbh_u32_e32 v54, v51
	v_min_u32_e32 v56, 32, v54
	v_subrev_u32_e32 v54, 28, v56
	v_lshlrev_b64 v[54:55], v54, v[42:43]
	v_lshrrev_b32_e32 v53, 3, v22
	v_sub_u32_e32 v55, 29, v56
	v_and_b32_e32 v54, 7, v54
	v_cmp_gt_u32_e32 vcc, 8, v22
	v_cndmask_b32_e32 v22, v53, v55, vcc
	v_cndmask_b32_e32 v51, v51, v54, vcc
	v_lshlrev_b32_e32 v42, 24, v42
	v_bfrev_b32_e32 v53, 60
	v_lshlrev_b32_e32 v51, 20, v51
	v_and_b32_e32 v42, 0x80000000, v42
	v_lshl_add_u32 v22, v22, 23, v53
	v_or3_b32 v22, v42, v22, v51
	v_lshrrev_b32_e32 v51, 16, v22
.LBB846_323:
	s_or_b64 exec, exec, s[12:13]
.LBB846_324:
	s_or_b64 exec, exec, s[10:11]
.LBB846_325:
	s_or_b64 exec, exec, s[2:3]
	v_cmp_ne_u16_sdwa s[10:11], v23, v45 src0_sel:BYTE_0 src1_sel:DWORD
	s_and_saveexec_b64 s[2:3], s[10:11]
	s_cbranch_execz .LBB846_331
; %bb.326:
	s_movk_i32 s10, 0x80
	v_cmp_ne_u16_sdwa s[12:13], v23, s10 src0_sel:BYTE_0 src1_sel:DWORD
	v_mov_b32_e32 v45, 0xffff8000
	s_and_saveexec_b64 s[10:11], s[12:13]
	s_cbranch_execz .LBB846_330
; %bb.327:
	s_movk_i32 s12, 0x7f
	v_and_b32_e32 v22, 0x7f, v23
	v_cmp_ne_u32_e32 vcc, s12, v22
	v_mov_b32_e32 v45, 0x7f80
	s_and_saveexec_b64 s[12:13], vcc
	s_cbranch_execz .LBB846_329
; %bb.328:
	v_and_b32_e32 v45, 7, v23
	v_ffbh_u32_e32 v54, v45
	v_min_u32_e32 v56, 32, v54
	v_mov_b32_e32 v42, v23
	v_subrev_u32_e32 v54, 28, v56
	v_lshlrev_b64 v[54:55], v54, v[42:43]
	v_lshrrev_b32_e32 v53, 3, v22
	v_sub_u32_e32 v42, 29, v56
	v_and_b32_e32 v54, 7, v54
	v_cmp_gt_u32_e32 vcc, 8, v22
	v_cndmask_b32_e32 v22, v53, v42, vcc
	v_cndmask_b32_e32 v42, v45, v54, vcc
	v_lshlrev_b32_e32 v45, 24, v23
	v_bfrev_b32_e32 v53, 60
	v_lshlrev_b32_e32 v42, 20, v42
	v_and_b32_e32 v45, 0x80000000, v45
	v_lshl_add_u32 v22, v22, 23, v53
	v_or3_b32 v22, v45, v22, v42
	v_lshrrev_b32_e32 v45, 16, v22
.LBB846_329:
	s_or_b64 exec, exec, s[12:13]
.LBB846_330:
	s_or_b64 exec, exec, s[10:11]
.LBB846_331:
	s_or_b64 exec, exec, s[2:3]
	v_lshrrev_b16_e32 v22, 8, v23
	v_cmp_ne_u16_e32 vcc, 0, v22
	v_mov_b32_e32 v54, 0
	v_mov_b32_e32 v53, 0
	s_and_saveexec_b64 s[2:3], vcc
	s_cbranch_execz .LBB846_337
; %bb.332:
	s_movk_i32 s10, 0x80
	v_cmp_ne_u16_e32 vcc, s10, v22
	v_mov_b32_e32 v53, 0xffff8000
	s_and_saveexec_b64 s[10:11], vcc
	s_cbranch_execz .LBB846_336
; %bb.333:
	s_movk_i32 s12, 0x7f
	v_and_b32_e32 v42, 0x7f, v22
	v_cmp_ne_u32_e32 vcc, s12, v42
	v_mov_b32_e32 v53, 0x7f80
	s_and_saveexec_b64 s[12:13], vcc
	s_cbranch_execz .LBB846_335
; %bb.334:
	v_and_b32_e32 v53, 7, v22
	v_ffbh_u32_e32 v56, v53
	v_min_u32_e32 v58, 32, v56
	v_subrev_u32_e32 v56, 28, v58
	v_lshlrev_b64 v[56:57], v56, v[22:23]
	v_lshrrev_b32_e32 v55, 3, v42
	v_sub_u32_e32 v22, 29, v58
	v_and_b32_e32 v56, 7, v56
	v_cmp_gt_u32_e32 vcc, 8, v42
	v_cndmask_b32_e32 v22, v55, v22, vcc
	v_cndmask_b32_e32 v42, v53, v56, vcc
	v_lshlrev_b32_e32 v53, 16, v23
	v_bfrev_b32_e32 v55, 60
	v_lshlrev_b32_e32 v42, 20, v42
	v_and_b32_e32 v53, 0x80000000, v53
	v_lshl_add_u32 v22, v22, 23, v55
	v_or3_b32 v22, v53, v22, v42
	v_lshrrev_b32_e32 v53, 16, v22
.LBB846_335:
	s_or_b64 exec, exec, s[12:13]
.LBB846_336:
	s_or_b64 exec, exec, s[10:11]
.LBB846_337:
	s_or_b64 exec, exec, s[2:3]
	s_movk_i32 s2, 0xff
	v_and_b32_sdwa v42, v23, s2 dst_sel:DWORD dst_unused:UNUSED_PAD src0_sel:WORD_1 src1_sel:DWORD
	v_lshrrev_b32_e32 v22, 16, v23
	v_cmp_ne_u16_e32 vcc, 0, v42
	s_and_saveexec_b64 s[2:3], vcc
	s_cbranch_execz .LBB846_343
; %bb.338:
	s_movk_i32 s10, 0x80
	v_cmp_ne_u16_e32 vcc, s10, v42
	v_mov_b32_e32 v54, 0xffff8000
	s_and_saveexec_b64 s[10:11], vcc
	s_cbranch_execz .LBB846_342
; %bb.339:
	v_bfe_u32 v42, v23, 16, 7
	s_movk_i32 s12, 0x7f
	v_cmp_ne_u32_e32 vcc, s12, v42
	v_mov_b32_e32 v54, 0x7f80
	s_and_saveexec_b64 s[12:13], vcc
	s_cbranch_execz .LBB846_341
; %bb.340:
	v_and_b32_e32 v56, 7, v22
	v_ffbh_u32_e32 v54, v56
	v_min_u32_e32 v58, 32, v54
	v_subrev_u32_e32 v54, 28, v58
	v_lshlrev_b64 v[54:55], v54, v[22:23]
	v_and_b32_e32 v54, 7, v54
	v_cmp_gt_u32_e32 vcc, 8, v42
	v_lshrrev_b32_e32 v57, 3, v42
	v_sub_u32_e32 v22, 29, v58
	v_cndmask_b32_e32 v42, v56, v54, vcc
	v_mov_b32_e32 v54, 24
	v_cndmask_b32_e32 v22, v57, v22, vcc
	v_lshlrev_b32_sdwa v54, v54, v23 dst_sel:DWORD dst_unused:UNUSED_PAD src0_sel:DWORD src1_sel:WORD_1
	v_bfrev_b32_e32 v55, 60
	v_lshlrev_b32_e32 v42, 20, v42
	v_and_b32_e32 v54, 0x80000000, v54
	v_lshl_add_u32 v22, v22, 23, v55
	v_or3_b32 v22, v54, v22, v42
	v_lshrrev_b32_e32 v54, 16, v22
.LBB846_341:
	s_or_b64 exec, exec, s[12:13]
.LBB846_342:
	s_or_b64 exec, exec, s[10:11]
.LBB846_343:
	s_or_b64 exec, exec, s[2:3]
	s_mov_b32 s2, 0xffffff
	v_cmp_lt_u32_e32 vcc, s2, v23
	v_mov_b32_e32 v42, 0
	v_mov_b32_e32 v55, 0
	s_and_saveexec_b64 s[2:3], vcc
	s_cbranch_execz .LBB846_349
; %bb.344:
	v_lshrrev_b32_e32 v22, 24, v23
	s_movk_i32 s10, 0x80
	v_cmp_ne_u32_e32 vcc, s10, v22
	v_mov_b32_e32 v55, 0xffff8000
	s_and_saveexec_b64 s[10:11], vcc
	s_cbranch_execz .LBB846_348
; %bb.345:
	v_bfe_u32 v23, v23, 24, 7
	s_movk_i32 s12, 0x7f
	v_cmp_ne_u32_e32 vcc, s12, v23
	v_mov_b32_e32 v55, 0x7f80
	s_and_saveexec_b64 s[12:13], vcc
	s_cbranch_execz .LBB846_347
; %bb.346:
	v_and_b32_e32 v55, 7, v22
	v_ffbh_u32_e32 v56, v55
	v_min_u32_e32 v59, 32, v56
	v_subrev_u32_e32 v56, 28, v59
	v_lshlrev_b64 v[56:57], v56, v[22:23]
	v_lshrrev_b32_e32 v58, 3, v23
	v_sub_u32_e32 v57, 29, v59
	v_and_b32_e32 v56, 7, v56
	v_cmp_gt_u32_e32 vcc, 8, v23
	v_cndmask_b32_e32 v23, v58, v57, vcc
	v_cndmask_b32_e32 v55, v55, v56, vcc
	v_lshlrev_b32_e32 v22, 24, v22
	v_bfrev_b32_e32 v56, 60
	v_lshlrev_b32_e32 v55, 20, v55
	v_and_b32_e32 v22, 0x80000000, v22
	v_lshl_add_u32 v23, v23, 23, v56
	v_or3_b32 v22, v22, v23, v55
	v_lshrrev_b32_e32 v55, 16, v22
.LBB846_347:
	s_or_b64 exec, exec, s[12:13]
.LBB846_348:
	s_or_b64 exec, exec, s[10:11]
.LBB846_349:
	s_or_b64 exec, exec, s[2:3]
	s_mov_b32 s2, 0x5040100
	v_perm_b32 v23, v51, v44, s2
	v_perm_b32 v22, v43, v52, s2
	v_cmp_ne_u16_sdwa s[10:11], v24, v42 src0_sel:BYTE_0 src1_sel:DWORD
	s_nop 0
	v_mfma_f32_16x16x16bf16_1k v[56:59], v[22:23], v[26:27], 0
	v_perm_b32 v23, v55, v54, s2
	v_perm_b32 v22, v53, v45, s2
	s_nop 1
	v_mfma_f32_16x16x16bf16_1k v[26:29], v[22:23], v[28:29], v[56:59]
	s_and_saveexec_b64 s[2:3], s[10:11]
	s_cbranch_execz .LBB846_355
; %bb.350:
	s_movk_i32 s10, 0x80
	v_cmp_ne_u16_sdwa s[12:13], v24, s10 src0_sel:BYTE_0 src1_sel:DWORD
	v_mov_b32_e32 v42, 0xffff8000
	s_and_saveexec_b64 s[10:11], s[12:13]
	s_cbranch_execz .LBB846_354
; %bb.351:
	s_movk_i32 s12, 0x7f
	v_and_b32_e32 v22, 0x7f, v24
	v_cmp_ne_u32_e32 vcc, s12, v22
	v_mov_b32_e32 v42, 0x7f80
	s_and_saveexec_b64 s[12:13], vcc
	s_cbranch_execz .LBB846_353
; %bb.352:
	v_and_b32_e32 v23, 7, v24
	v_ffbh_u32_e32 v42, v23
	v_min_u32_e32 v45, 32, v42
	v_subrev_u32_e32 v42, 28, v45
	v_lshlrev_b64 v[42:43], v42, v[24:25]
	v_lshrrev_b32_e32 v44, 3, v22
	v_sub_u32_e32 v43, 29, v45
	v_and_b32_e32 v42, 7, v42
	v_cmp_gt_u32_e32 vcc, 8, v22
	v_cndmask_b32_e32 v22, v44, v43, vcc
	v_cndmask_b32_e32 v23, v23, v42, vcc
	v_lshlrev_b32_e32 v42, 24, v24
	v_bfrev_b32_e32 v43, 60
	v_lshlrev_b32_e32 v23, 20, v23
	v_and_b32_e32 v42, 0x80000000, v42
	v_lshl_add_u32 v22, v22, 23, v43
	v_or3_b32 v22, v42, v22, v23
	v_lshrrev_b32_e32 v42, 16, v22
.LBB846_353:
	s_or_b64 exec, exec, s[12:13]
.LBB846_354:
	s_or_b64 exec, exec, s[10:11]
.LBB846_355:
	s_or_b64 exec, exec, s[2:3]
	v_lshrrev_b16_e32 v22, 8, v24
	v_cmp_ne_u16_e32 vcc, 0, v22
	v_mov_b32_e32 v43, 0
	v_mov_b32_e32 v23, 0
	s_and_saveexec_b64 s[2:3], vcc
	s_cbranch_execz .LBB846_361
; %bb.356:
	s_movk_i32 s10, 0x80
	v_cmp_ne_u16_e32 vcc, s10, v22
	v_mov_b32_e32 v23, 0xffff8000
	s_and_saveexec_b64 s[10:11], vcc
	s_cbranch_execz .LBB846_360
; %bb.357:
	s_movk_i32 s12, 0x7f
	v_and_b32_e32 v44, 0x7f, v22
	v_cmp_ne_u32_e32 vcc, s12, v44
	v_mov_b32_e32 v23, 0x7f80
	s_and_saveexec_b64 s[12:13], vcc
	s_cbranch_execz .LBB846_359
; %bb.358:
	v_and_b32_e32 v45, 7, v22
	v_ffbh_u32_e32 v23, v45
	v_min_u32_e32 v52, 32, v23
	v_subrev_u32_e32 v23, 28, v52
	v_lshlrev_b64 v[22:23], v23, v[22:23]
	v_lshrrev_b32_e32 v51, 3, v44
	v_sub_u32_e32 v23, 29, v52
	v_and_b32_e32 v22, 7, v22
	v_cmp_gt_u32_e32 vcc, 8, v44
	v_cndmask_b32_e32 v23, v51, v23, vcc
	v_cndmask_b32_e32 v22, v45, v22, vcc
	v_lshlrev_b32_e32 v44, 16, v24
	v_bfrev_b32_e32 v45, 60
	v_lshlrev_b32_e32 v22, 20, v22
	v_and_b32_e32 v44, 0x80000000, v44
	v_lshl_add_u32 v23, v23, 23, v45
	v_or3_b32 v22, v44, v23, v22
	v_lshrrev_b32_e32 v23, 16, v22
.LBB846_359:
	s_or_b64 exec, exec, s[12:13]
.LBB846_360:
	s_or_b64 exec, exec, s[10:11]
.LBB846_361:
	s_or_b64 exec, exec, s[2:3]
	s_movk_i32 s2, 0xff
	v_and_b32_sdwa v44, v24, s2 dst_sel:DWORD dst_unused:UNUSED_PAD src0_sel:WORD_1 src1_sel:DWORD
	v_lshrrev_b32_e32 v22, 16, v24
	v_cmp_ne_u16_e32 vcc, 0, v44
	s_and_saveexec_b64 s[2:3], vcc
	s_cbranch_execz .LBB846_367
; %bb.362:
	s_movk_i32 s10, 0x80
	v_cmp_ne_u16_e32 vcc, s10, v44
	v_mov_b32_e32 v43, 0xffff8000
	s_and_saveexec_b64 s[10:11], vcc
	s_cbranch_execz .LBB846_366
; %bb.363:
	v_bfe_u32 v44, v24, 16, 7
	s_movk_i32 s12, 0x7f
	v_cmp_ne_u32_e32 vcc, s12, v44
	v_mov_b32_e32 v43, 0x7f80
	s_and_saveexec_b64 s[12:13], vcc
	s_cbranch_execz .LBB846_365
; %bb.364:
	v_and_b32_e32 v43, 7, v22
	v_ffbh_u32_e32 v51, v43
	v_min_u32_e32 v51, 32, v51
	v_subrev_u32_e32 v52, 28, v51
	v_lshlrev_b64 v[52:53], v52, v[22:23]
	v_lshrrev_b32_e32 v45, 3, v44
	v_sub_u32_e32 v22, 29, v51
	v_and_b32_e32 v51, 7, v52
	v_cmp_gt_u32_e32 vcc, 8, v44
	v_mov_b32_e32 v44, 24
	v_cndmask_b32_e32 v22, v45, v22, vcc
	v_cndmask_b32_e32 v43, v43, v51, vcc
	v_lshlrev_b32_sdwa v44, v44, v24 dst_sel:DWORD dst_unused:UNUSED_PAD src0_sel:DWORD src1_sel:WORD_1
	v_bfrev_b32_e32 v45, 60
	v_lshlrev_b32_e32 v43, 20, v43
	v_and_b32_e32 v44, 0x80000000, v44
	v_lshl_add_u32 v22, v22, 23, v45
	v_or3_b32 v22, v44, v22, v43
	v_lshrrev_b32_e32 v43, 16, v22
.LBB846_365:
	s_or_b64 exec, exec, s[12:13]
.LBB846_366:
	s_or_b64 exec, exec, s[10:11]
.LBB846_367:
	s_or_b64 exec, exec, s[2:3]
	s_mov_b32 s2, 0xffffff
	v_cmp_lt_u32_e32 vcc, s2, v24
	v_mov_b32_e32 v45, 0
	v_mov_b32_e32 v51, 0
	s_and_saveexec_b64 s[2:3], vcc
	s_cbranch_execz .LBB846_373
; %bb.368:
	v_lshrrev_b32_e32 v22, 24, v24
	s_movk_i32 s10, 0x80
	v_cmp_ne_u32_e32 vcc, s10, v22
	v_mov_b32_e32 v51, 0xffff8000
	s_and_saveexec_b64 s[10:11], vcc
	s_cbranch_execz .LBB846_372
; %bb.369:
	v_bfe_u32 v24, v24, 24, 7
	s_movk_i32 s12, 0x7f
	v_cmp_ne_u32_e32 vcc, s12, v24
	v_mov_b32_e32 v51, 0x7f80
	s_and_saveexec_b64 s[12:13], vcc
	s_cbranch_execz .LBB846_371
; %bb.370:
	v_and_b32_e32 v44, 7, v22
	v_ffbh_u32_e32 v52, v44
	v_min_u32_e32 v54, 32, v52
	v_subrev_u32_e32 v52, 28, v54
	v_lshlrev_b64 v[52:53], v52, v[22:23]
	v_lshrrev_b32_e32 v51, 3, v24
	v_sub_u32_e32 v53, 29, v54
	v_and_b32_e32 v52, 7, v52
	v_cmp_gt_u32_e32 vcc, 8, v24
	v_cndmask_b32_e32 v24, v51, v53, vcc
	v_cndmask_b32_e32 v44, v44, v52, vcc
	v_lshlrev_b32_e32 v22, 24, v22
	v_bfrev_b32_e32 v51, 60
	v_lshlrev_b32_e32 v44, 20, v44
	v_and_b32_e32 v22, 0x80000000, v22
	v_lshl_add_u32 v24, v24, 23, v51
	v_or3_b32 v22, v22, v24, v44
	v_lshrrev_b32_e32 v51, 16, v22
.LBB846_371:
	s_or_b64 exec, exec, s[12:13]
.LBB846_372:
	s_or_b64 exec, exec, s[10:11]
.LBB846_373:
	s_or_b64 exec, exec, s[2:3]
	v_cmp_ne_u16_sdwa s[10:11], v25, v45 src0_sel:BYTE_0 src1_sel:DWORD
	s_and_saveexec_b64 s[2:3], s[10:11]
	s_cbranch_execz .LBB846_379
; %bb.374:
	s_movk_i32 s10, 0x80
	v_cmp_ne_u16_sdwa s[12:13], v25, s10 src0_sel:BYTE_0 src1_sel:DWORD
	v_mov_b32_e32 v45, 0xffff8000
	s_and_saveexec_b64 s[10:11], s[12:13]
	s_cbranch_execz .LBB846_378
; %bb.375:
	s_movk_i32 s12, 0x7f
	v_and_b32_e32 v22, 0x7f, v25
	v_cmp_ne_u32_e32 vcc, s12, v22
	v_mov_b32_e32 v45, 0x7f80
	s_and_saveexec_b64 s[12:13], vcc
	s_cbranch_execz .LBB846_377
; %bb.376:
	v_and_b32_e32 v52, 7, v25
	v_ffbh_u32_e32 v44, v52
	v_min_u32_e32 v54, 32, v44
	v_mov_b32_e32 v24, v25
	v_subrev_u32_e32 v44, 28, v54
	v_lshlrev_b64 v[44:45], v44, v[24:25]
	v_lshrrev_b32_e32 v53, 3, v22
	v_sub_u32_e32 v24, 29, v54
	v_and_b32_e32 v44, 7, v44
	v_cmp_gt_u32_e32 vcc, 8, v22
	v_cndmask_b32_e32 v22, v53, v24, vcc
	v_cndmask_b32_e32 v24, v52, v44, vcc
	v_lshlrev_b32_e32 v44, 24, v25
	v_bfrev_b32_e32 v45, 60
	v_lshlrev_b32_e32 v24, 20, v24
	v_and_b32_e32 v44, 0x80000000, v44
	v_lshl_add_u32 v22, v22, 23, v45
	v_or3_b32 v22, v44, v22, v24
	v_lshrrev_b32_e32 v45, 16, v22
.LBB846_377:
	s_or_b64 exec, exec, s[12:13]
.LBB846_378:
	s_or_b64 exec, exec, s[10:11]
.LBB846_379:
	s_or_b64 exec, exec, s[2:3]
	v_lshrrev_b16_e32 v22, 8, v25
	v_cmp_ne_u16_e32 vcc, 0, v22
	v_mov_b32_e32 v53, 0
	v_mov_b32_e32 v52, 0
	s_and_saveexec_b64 s[2:3], vcc
	s_cbranch_execz .LBB846_385
; %bb.380:
	s_movk_i32 s10, 0x80
	v_cmp_ne_u16_e32 vcc, s10, v22
	v_mov_b32_e32 v52, 0xffff8000
	s_and_saveexec_b64 s[10:11], vcc
	s_cbranch_execz .LBB846_384
; %bb.381:
	s_movk_i32 s12, 0x7f
	v_and_b32_e32 v24, 0x7f, v22
	v_cmp_ne_u32_e32 vcc, s12, v24
	v_mov_b32_e32 v52, 0x7f80
	s_and_saveexec_b64 s[12:13], vcc
	s_cbranch_execz .LBB846_383
; %bb.382:
	v_and_b32_e32 v44, 7, v22
	v_ffbh_u32_e32 v54, v44
	v_min_u32_e32 v56, 32, v54
	v_subrev_u32_e32 v54, 28, v56
	v_lshlrev_b64 v[54:55], v54, v[22:23]
	v_lshrrev_b32_e32 v52, 3, v24
	v_sub_u32_e32 v22, 29, v56
	v_and_b32_e32 v54, 7, v54
	v_cmp_gt_u32_e32 vcc, 8, v24
	v_cndmask_b32_e32 v22, v52, v22, vcc
	v_cndmask_b32_e32 v24, v44, v54, vcc
	v_lshlrev_b32_e32 v44, 16, v25
	v_bfrev_b32_e32 v52, 60
	v_lshlrev_b32_e32 v24, 20, v24
	v_and_b32_e32 v44, 0x80000000, v44
	v_lshl_add_u32 v22, v22, 23, v52
	v_or3_b32 v22, v44, v22, v24
	v_lshrrev_b32_e32 v52, 16, v22
.LBB846_383:
	s_or_b64 exec, exec, s[12:13]
.LBB846_384:
	s_or_b64 exec, exec, s[10:11]
.LBB846_385:
	s_or_b64 exec, exec, s[2:3]
	s_movk_i32 s2, 0xff
	v_and_b32_sdwa v24, v25, s2 dst_sel:DWORD dst_unused:UNUSED_PAD src0_sel:WORD_1 src1_sel:DWORD
	v_lshrrev_b32_e32 v22, 16, v25
	v_cmp_ne_u16_e32 vcc, 0, v24
	s_and_saveexec_b64 s[2:3], vcc
	s_cbranch_execz .LBB846_391
; %bb.386:
	s_movk_i32 s10, 0x80
	v_cmp_ne_u16_e32 vcc, s10, v24
	v_mov_b32_e32 v53, 0xffff8000
	s_and_saveexec_b64 s[10:11], vcc
	s_cbranch_execz .LBB846_390
; %bb.387:
	v_bfe_u32 v24, v25, 16, 7
	s_movk_i32 s12, 0x7f
	v_cmp_ne_u32_e32 vcc, s12, v24
	v_mov_b32_e32 v53, 0x7f80
	s_and_saveexec_b64 s[12:13], vcc
	s_cbranch_execz .LBB846_389
; %bb.388:
	v_and_b32_e32 v44, 7, v22
	v_ffbh_u32_e32 v54, v44
	v_min_u32_e32 v56, 32, v54
	v_subrev_u32_e32 v54, 28, v56
	v_lshlrev_b64 v[54:55], v54, v[22:23]
	v_and_b32_e32 v54, 7, v54
	v_cmp_gt_u32_e32 vcc, 8, v24
	v_lshrrev_b32_e32 v53, 3, v24
	v_sub_u32_e32 v22, 29, v56
	v_cndmask_b32_e32 v24, v44, v54, vcc
	v_mov_b32_e32 v44, 24
	v_cndmask_b32_e32 v22, v53, v22, vcc
	v_lshlrev_b32_sdwa v44, v44, v25 dst_sel:DWORD dst_unused:UNUSED_PAD src0_sel:DWORD src1_sel:WORD_1
	v_bfrev_b32_e32 v53, 60
	v_lshlrev_b32_e32 v24, 20, v24
	v_and_b32_e32 v44, 0x80000000, v44
	v_lshl_add_u32 v22, v22, 23, v53
	v_or3_b32 v22, v44, v22, v24
	v_lshrrev_b32_e32 v53, 16, v22
.LBB846_389:
	s_or_b64 exec, exec, s[12:13]
.LBB846_390:
	s_or_b64 exec, exec, s[10:11]
.LBB846_391:
	s_or_b64 exec, exec, s[2:3]
	s_mov_b32 s2, 0xffffff
	v_and_b32_e32 v44, 63, v0
	v_cmp_lt_u32_e32 vcc, s2, v25
	v_mov_b32_e32 v54, 0
	s_and_saveexec_b64 s[2:3], vcc
	s_cbranch_execz .LBB846_397
; %bb.392:
	v_lshrrev_b32_e32 v22, 24, v25
	s_movk_i32 s10, 0x80
	v_cmp_ne_u32_e32 vcc, s10, v22
	v_mov_b32_e32 v54, 0xffff8000
	s_and_saveexec_b64 s[10:11], vcc
	s_cbranch_execz .LBB846_396
; %bb.393:
	v_bfe_u32 v24, v25, 24, 7
	s_movk_i32 s12, 0x7f
	v_cmp_ne_u32_e32 vcc, s12, v24
	v_mov_b32_e32 v54, 0x7f80
	s_and_saveexec_b64 s[12:13], vcc
	s_cbranch_execz .LBB846_395
; %bb.394:
	v_and_b32_e32 v25, 7, v22
	v_ffbh_u32_e32 v54, v25
	v_min_u32_e32 v57, 32, v54
	v_subrev_u32_e32 v54, 28, v57
	v_lshlrev_b64 v[54:55], v54, v[22:23]
	v_lshrrev_b32_e32 v56, 3, v24
	v_sub_u32_e32 v55, 29, v57
	v_and_b32_e32 v54, 7, v54
	v_cmp_gt_u32_e32 vcc, 8, v24
	v_cndmask_b32_e32 v24, v56, v55, vcc
	v_cndmask_b32_e32 v25, v25, v54, vcc
	v_lshlrev_b32_e32 v22, 24, v22
	v_bfrev_b32_e32 v54, 60
	v_lshlrev_b32_e32 v25, 20, v25
	v_and_b32_e32 v22, 0x80000000, v22
	v_lshl_add_u32 v24, v24, 23, v54
	v_or3_b32 v22, v22, v24, v25
	v_lshrrev_b32_e32 v54, 16, v22
.LBB846_395:
	s_or_b64 exec, exec, s[12:13]
.LBB846_396:
	s_or_b64 exec, exec, s[10:11]
.LBB846_397:
	s_or_b64 exec, exec, s[2:3]
	s_mov_b32 s3, 0x5040100
	v_perm_b32 v43, v51, v43, s3
	v_perm_b32 v42, v23, v42, s3
	s_load_dword s2, s[4:5], 0x1c
	s_waitcnt lgkmcnt(0)
	s_barrier
	v_mfma_f32_16x16x16bf16_1k v[26:29], v[42:43], v[18:19], v[26:29]
	v_perm_b32 v19, v54, v53, s3
	v_perm_b32 v18, v52, v45, s3
	v_mov_b32_e32 v22, s2
	v_mul_f32_e32 v56, s9, v22
	v_pk_mul_f32 v[22:23], v[56:57], v[32:33] op_sel_hi:[0,1]
	v_pk_mul_f32 v[32:33], v[56:57], v[38:39] op_sel_hi:[0,1]
	v_and_b32_e32 v38, 0xc0, v0
	v_mfma_f32_16x16x16bf16_1k v[26:29], v[18:19], v[20:21], v[26:29]
	v_add_u32_e32 v38, s18, v38
	v_lshl_or_b32 v38, v46, 2, v38
	v_or_b32_e32 v39, 1, v38
	v_pk_mul_f32 v[24:25], v[56:57], v[30:31] op_sel_hi:[0,1]
	v_pk_mul_f32 v[30:31], v[56:57], v[40:41] op_sel_hi:[0,1]
	v_subrev_u32_e32 v40, s27, v39
	v_pk_mul_f32 v[34:35], v[56:57], v[34:35] op_sel_hi:[0,1]
	s_nop 3
	v_pk_mul_f32 v[20:21], v[56:57], v[26:27] op_sel_hi:[0,1]
	v_add_u32_e32 v27, 1, v40
	v_pk_mul_f32 v[18:19], v[56:57], v[28:29] op_sel_hi:[0,1]
	v_cvt_f32_i32_e32 v27, v27
	v_add_u32_e32 v29, 3, v40
	v_cvt_f32_i32_e32 v29, v29
	v_cvt_f32_i32_e32 v26, v40
	v_pk_mul_f32 v[36:37], v[56:57], v[36:37] op_sel_hi:[0,1]
	v_fmac_f32_e32 v35, v50, v27
	v_add_u32_e32 v27, 16, v40
	v_fmac_f32_e32 v37, v50, v29
	v_cvt_f32_i32_e32 v27, v27
	v_add_u32_e32 v29, 17, v40
	v_fma_f32 v26, v50, v26, v34
	v_cvt_f32_i32_e32 v29, v29
	v_add_u32_e32 v34, 18, v40
	v_cvt_f32_i32_e32 v34, v34
	v_fma_f32 v41, v50, v27, v32
	v_add_u32_e32 v27, 32, v40
	v_fmac_f32_e32 v33, v50, v29
	v_cvt_f32_i32_e32 v27, v27
	v_add_u32_e32 v29, 33, v40
	v_add_u32_e32 v32, 34, v40
	v_fma_f32 v30, v50, v34, v30
	v_cvt_f32_i32_e32 v29, v29
	v_cvt_f32_i32_e32 v32, v32
	v_add_u32_e32 v34, 35, v40
	v_cvt_f32_i32_e32 v34, v34
	v_fma_f32 v24, v50, v27, v24
	v_add_u32_e32 v27, 48, v40
	v_fmac_f32_e32 v25, v50, v29
	v_fma_f32 v22, v50, v32, v22
	v_cvt_f32_i32_e32 v27, v27
	v_add_u32_e32 v29, 49, v40
	v_add_u32_e32 v32, 50, v40
	v_fmac_f32_e32 v23, v50, v34
	v_cvt_f32_i32_e32 v29, v29
	v_cvt_f32_i32_e32 v32, v32
	v_add_u32_e32 v34, 51, v40
	v_add_u32_e32 v28, 2, v40
	v_cvt_f32_i32_e32 v34, v34
	v_cvt_f32_i32_e32 v28, v28
	v_fma_f32 v20, v50, v27, v20
	v_mov_b32_e32 v27, 0xff7fffff
	v_cmp_gt_i32_e64 s[28:29], s27, v38
	v_cmp_gt_i32_e64 s[30:31], s27, v39
	v_fmac_f32_e32 v21, v50, v29
	v_fma_f32 v18, v50, v32, v18
	s_mov_b32 s9, 0xff7fffff
	v_cndmask_b32_e64 v29, v27, v26, s[28:29]
	v_cndmask_b32_e64 v32, v27, v35, s[30:31]
	v_fmac_f32_e32 v19, v50, v34
	v_max3_f32 v29, v29, s9, v32
	v_or_b32_e32 v32, 2, v38
	v_or_b32_e32 v34, 3, v38
	v_fma_f32 v28, v50, v28, v36
	v_cmp_gt_i32_e64 s[34:35], s27, v32
	v_cmp_gt_i32_e64 s[36:37], s27, v34
	v_add_u32_e32 v36, 19, v40
	v_cndmask_b32_e64 v32, v27, v28, s[34:35]
	v_cndmask_b32_e64 v34, v27, v37, s[36:37]
	v_cvt_f32_i32_e32 v36, v36
	v_max3_f32 v29, v29, v32, v34
	v_or_b32_e32 v32, 16, v38
	v_or_b32_e32 v34, 17, v38
	v_cmp_gt_i32_e64 s[38:39], s27, v32
	v_cmp_gt_i32_e64 s[40:41], s27, v34
	v_cndmask_b32_e64 v32, v27, v41, s[38:39]
	v_cndmask_b32_e64 v34, v27, v33, s[40:41]
	v_max3_f32 v29, v29, v32, v34
	v_or_b32_e32 v32, 18, v38
	v_or_b32_e32 v34, 19, v38
	v_fmac_f32_e32 v31, v50, v36
	v_cmp_gt_i32_e64 s[22:23], s27, v32
	v_cmp_gt_i32_e64 s[24:25], s27, v34
	v_cndmask_b32_e64 v32, v27, v30, s[22:23]
	v_cndmask_b32_e64 v34, v27, v31, s[24:25]
	v_max3_f32 v29, v29, v32, v34
	v_or_b32_e32 v32, 32, v38
	v_or_b32_e32 v34, 33, v38
	v_cmp_gt_i32_e64 s[18:19], s27, v32
	v_cmp_gt_i32_e64 s[20:21], s27, v34
	v_cndmask_b32_e64 v32, v27, v24, s[18:19]
	v_cndmask_b32_e64 v34, v27, v25, s[20:21]
	v_max3_f32 v29, v29, v32, v34
	v_or_b32_e32 v32, 34, v38
	v_or_b32_e32 v34, 35, v38
	v_cmp_gt_i32_e64 s[14:15], s27, v32
	v_cmp_gt_i32_e64 s[16:17], s27, v34
	v_cndmask_b32_e64 v32, v27, v22, s[14:15]
	v_cndmask_b32_e64 v34, v27, v23, s[16:17]
	v_max3_f32 v29, v29, v32, v34
	v_or_b32_e32 v32, 48, v38
	v_or_b32_e32 v34, 49, v38
	v_cmp_gt_i32_e64 s[10:11], s27, v32
	v_cmp_gt_i32_e64 s[12:13], s27, v34
	v_cndmask_b32_e64 v32, v27, v20, s[10:11]
	v_cndmask_b32_e64 v34, v27, v21, s[12:13]
	v_max3_f32 v29, v29, v32, v34
	v_or_b32_e32 v32, 50, v38
	v_or_b32_e32 v34, 51, v38
	v_cmp_gt_i32_e32 vcc, s27, v32
	v_cmp_gt_i32_e64 s[2:3], s27, v34
	v_cndmask_b32_e32 v32, v27, v18, vcc
	v_cndmask_b32_e64 v27, v27, v19, s[2:3]
	v_max3_f32 v27, v29, v32, v27
	v_mbcnt_lo_u32_b32 v29, -1, 0
	v_mbcnt_hi_u32_b32 v29, -1, v29
	v_and_b32_e32 v32, 64, v29
	v_add_u32_e32 v32, 64, v32
	v_xor_b32_e32 v34, 32, v29
	v_cmp_lt_i32_e64 s[42:43], v34, v32
	v_cndmask_b32_e64 v34, v29, v34, s[42:43]
	v_lshlrev_b32_e32 v36, 2, v34
	ds_bpermute_b32 v34, v36, v27
	s_waitcnt lgkmcnt(0)
	v_max_f32_e32 v34, v34, v34
	v_max_f32_e32 v27, v27, v34
	v_xor_b32_e32 v34, 16, v29
	v_cmp_lt_i32_e64 s[42:43], v34, v32
	v_cndmask_b32_e64 v29, v29, v34, s[42:43]
	v_lshlrev_b32_e32 v38, 2, v29
	ds_bpermute_b32 v29, v38, v27
	s_waitcnt lgkmcnt(0)
	v_max_f32_e32 v29, v29, v29
	v_max_f32_e32 v32, v27, v29
	v_sub_f32_e32 v26, v26, v32
	v_mul_f32_e32 v26, 0x3fb8aa3b, v26
	v_sub_f32_e32 v27, v35, v32
	v_exp_f32_e32 v26, v26
	v_mul_f32_e32 v27, 0x3fb8aa3b, v27
	v_sub_f32_e32 v28, v28, v32
	v_exp_f32_e32 v27, v27
	v_mul_f32_e32 v28, 0x3fb8aa3b, v28
	v_exp_f32_e32 v28, v28
	v_cndmask_b32_e64 v26, 0, v26, s[28:29]
	v_sub_f32_e32 v34, v37, v32
	v_add_f32_e32 v29, 0, v26
	v_cndmask_b32_e64 v27, 0, v27, s[30:31]
	v_mul_f32_e32 v34, 0x3fb8aa3b, v34
	v_exp_f32_e32 v35, v34
	v_add_f32_e32 v29, v29, v27
	v_cndmask_b32_e64 v34, 0, v28, s[34:35]
	v_add_f32_e32 v28, v29, v34
	v_sub_f32_e32 v29, v41, v32
	v_mul_f32_e32 v29, 0x3fb8aa3b, v29
	v_sub_f32_e32 v33, v33, v32
	v_exp_f32_e32 v29, v29
	v_mul_f32_e32 v33, 0x3fb8aa3b, v33
	v_sub_f32_e32 v30, v30, v32
	v_exp_f32_e32 v33, v33
	;; [unrolled: 3-line block ×3, first 2 shown]
	v_mul_f32_e32 v31, 0x3fb8aa3b, v31
	v_sub_f32_e32 v24, v24, v32
	v_cndmask_b32_e64 v35, 0, v35, s[36:37]
	v_exp_f32_e32 v31, v31
	v_mul_f32_e32 v24, 0x3fb8aa3b, v24
	v_sub_f32_e32 v25, v25, v32
	v_add_f32_e32 v37, v28, v35
	v_cndmask_b32_e64 v28, 0, v29, s[38:39]
	v_exp_f32_e32 v24, v24
	v_mul_f32_e32 v25, 0x3fb8aa3b, v25
	v_sub_f32_e32 v22, v22, v32
	v_add_f32_e32 v37, v37, v28
	;; [unrolled: 5-line block ×7, first 2 shown]
	v_cndmask_b32_e64 v22, 0, v22, s[14:15]
	v_exp_f32_e32 v18, v18
	v_mul_f32_e32 v19, 0x3fb8aa3b, v19
	v_add_f32_e32 v33, v33, v22
	v_cndmask_b32_e64 v23, 0, v23, s[16:17]
	v_exp_f32_e32 v19, v19
	v_add_f32_e32 v33, v33, v23
	v_cndmask_b32_e64 v20, 0, v20, s[10:11]
	v_add_f32_e32 v33, v33, v20
	v_cndmask_b32_e64 v21, 0, v21, s[12:13]
	v_add_f32_e32 v33, v33, v21
	v_cndmask_b32_e32 v18, 0, v18, vcc
	v_add_f32_e32 v33, v33, v18
	v_cndmask_b32_e64 v19, 0, v19, s[2:3]
	v_add_f32_e32 v33, v33, v19
	ds_bpermute_b32 v36, v36, v33
	v_cmp_gt_u32_e64 s[2:3], 16, v44
	s_waitcnt lgkmcnt(0)
	v_add_f32_e32 v33, v33, v36
	ds_bpermute_b32 v37, v38, v33
	v_lshlrev_b32_e32 v36, 2, v49
	s_and_saveexec_b64 s[10:11], s[2:3]
	s_cbranch_execz .LBB846_399
; %bb.398:
	s_waitcnt lgkmcnt(0)
	v_add_f32_e32 v33, v33, v37
	v_lshl_or_b32 v37, v48, 6, v36
	ds_write2st64_b32 v37, v32, v33 offset1:1
.LBB846_399:
	s_or_b64 exec, exec, s[10:11]
	s_waitcnt lgkmcnt(0)
	s_barrier
	ds_read2_b32 v[38:39], v36 offset1:16
	ds_read2_b32 v[40:41], v36 offset0:32 offset1:48
	ds_read2_b32 v[42:43], v36 offset0:64 offset1:80
	s_waitcnt lgkmcnt(2)
	v_max3_f32 v32, v38, s9, v39
	s_waitcnt lgkmcnt(1)
	v_max3_f32 v33, v32, v40, v41
	v_sub_f32_e32 v32, v38, v33
	v_mul_f32_e32 v32, 0x3fb8aa3b, v32
	v_exp_f32_e32 v37, v32
	v_sub_f32_e32 v32, v39, v33
	v_mul_f32_e32 v32, 0x3fb8aa3b, v32
	v_exp_f32_e32 v44, v32
	;; [unrolled: 3-line block ×3, first 2 shown]
	ds_read2_b32 v[38:39], v36 offset0:96 offset1:112
	v_sub_f32_e32 v32, v41, v33
	v_mul_f32_e32 v32, 0x3fb8aa3b, v32
	v_exp_f32_e32 v41, v32
	s_waitcnt lgkmcnt(1)
	v_fma_f32 v36, v37, v42, 0
	v_fmac_f32_e32 v36, v44, v43
	s_waitcnt lgkmcnt(0)
	v_fmac_f32_e32 v36, v40, v38
	v_fmac_f32_e32 v36, v41, v39
	v_add_f32_e32 v38, 0x358637bd, v36
	v_div_scale_f32 v39, s[10:11], v38, v38, 1.0
	v_rcp_f32_e32 v42, v39
	s_movk_i32 s9, 0x7fff
	s_mov_b32 s10, 0x7060302
	v_fma_f32 v43, -v39, v42, 1.0
	v_fmac_f32_e32 v42, v43, v42
	v_div_scale_f32 v43, vcc, 1.0, v38, 1.0
	v_mul_f32_e32 v45, v43, v42
	v_fma_f32 v50, -v39, v45, v43
	v_fmac_f32_e32 v45, v50, v42
	v_fma_f32 v39, -v39, v45, v43
	v_div_fmas_f32 v39, v39, v42, v45
	v_cmp_eq_u32_e32 vcc, 1, v48
	v_cndmask_b32_e32 v37, v37, v44, vcc
	v_cmp_eq_u32_e32 vcc, 2, v48
	v_cndmask_b32_e32 v37, v37, v40, vcc
	v_cmp_eq_u32_e32 vcc, 3, v48
	v_div_fixup_f32 v38, v39, v38, 1.0
	v_cndmask_b32_e32 v37, v37, v41, vcc
	v_mul_f32_e32 v38, v37, v38
	v_pk_mul_f32 v[26:27], v[38:39], v[26:27] op_sel_hi:[0,1]
	v_pk_mul_f32 v[34:35], v[38:39], v[34:35] op_sel_hi:[0,1]
	v_bfe_u32 v37, v27, 16, 1
	v_bfe_u32 v39, v26, 16, 1
	v_add3_u32 v26, v26, v39, s9
	v_add3_u32 v27, v27, v37, s9
	v_perm_b32 v40, v27, v26, s10
	v_bfe_u32 v26, v35, 16, 1
	v_bfe_u32 v27, v34, 16, 1
	v_add3_u32 v27, v34, v27, s9
	v_add3_u32 v26, v35, v26, s9
	v_perm_b32 v41, v26, v27, s10
	v_lshlrev_b32_e32 v26, 3, v46
	v_lshlrev_b32_e32 v27, 5, v49
	;; [unrolled: 1-line block ×3, first 2 shown]
	v_pk_mul_f32 v[28:29], v[38:39], v[28:29] op_sel_hi:[0,1]
	v_or3_b32 v26, v34, v27, v26
	v_bfe_u32 v34, v29, 16, 1
	v_bfe_u32 v35, v28, 16, 1
	v_pk_mul_f32 v[30:31], v[38:39], v[30:31] op_sel_hi:[0,1]
	v_add3_u32 v28, v28, v35, s9
	v_add3_u32 v29, v29, v34, s9
	v_perm_b32 v28, v29, v28, s10
	v_bfe_u32 v29, v31, 16, 1
	v_bfe_u32 v34, v30, 16, 1
	v_add3_u32 v30, v30, v34, s9
	v_add3_u32 v29, v31, v29, s9
	v_perm_b32 v29, v29, v30, s10
	v_pk_mul_f32 v[24:25], v[38:39], v[24:25] op_sel_hi:[0,1]
	s_barrier
	ds_write2st64_b64 v26, v[40:41], v[28:29] offset1:1
	v_bfe_u32 v28, v25, 16, 1
	v_bfe_u32 v29, v24, 16, 1
	v_pk_mul_f32 v[22:23], v[38:39], v[22:23] op_sel_hi:[0,1]
	v_add3_u32 v24, v24, v29, s9
	v_add3_u32 v25, v25, v28, s9
	v_perm_b32 v24, v25, v24, s10
	v_bfe_u32 v25, v23, 16, 1
	v_bfe_u32 v28, v22, 16, 1
	v_add3_u32 v22, v22, v28, s9
	v_add3_u32 v23, v23, v25, s9
	v_pk_mul_f32 v[20:21], v[38:39], v[20:21] op_sel_hi:[0,1]
	v_perm_b32 v25, v23, v22, s10
	v_bfe_u32 v22, v21, 16, 1
	v_bfe_u32 v23, v20, 16, 1
	v_pk_mul_f32 v[18:19], v[38:39], v[18:19] op_sel_hi:[0,1]
	v_add3_u32 v20, v20, v23, s9
	v_add3_u32 v21, v21, v22, s9
	v_perm_b32 v20, v21, v20, s10
	v_bfe_u32 v21, v19, 16, 1
	v_bfe_u32 v22, v18, 16, 1
	v_add3_u32 v18, v18, v22, s9
	v_add3_u32 v19, v19, v21, s9
	v_mov_b32_e32 v32, 0
	v_perm_b32 v21, v19, v18, s10
	v_cmp_eq_u32_e32 vcc, 0, v0
	ds_write2st64_b64 v26, v[24:25], v[20:21] offset0:2 offset1:3
	s_and_saveexec_b64 s[10:11], vcc
	s_cbranch_execz .LBB846_401
; %bb.400:
	s_mul_i32 s7, s7, s49
	s_mul_hi_u32 s9, s6, s49
	s_add_i32 s9, s9, s7
	s_mul_i32 s7, s6, s49
	s_add_u32 s7, s7, s8
	s_addc_u32 s9, s9, 0
	s_load_dwordx4 s[12:15], s[4:5], 0x58
	s_mul_i32 s9, s9, s48
	s_mul_hi_u32 s16, s7, s48
	s_add_i32 s9, s16, s9
	s_mul_i32 s7, s7, s48
	s_add_u32 s16, s7, s26
	s_addc_u32 s17, s9, 0
	s_lshl_b64 s[16:17], s[16:17], 2
	s_waitcnt lgkmcnt(0)
	s_add_u32 s14, s14, s16
	s_addc_u32 s15, s15, s17
	s_add_u32 s12, s12, s16
	s_addc_u32 s13, s13, s17
	global_store_dword v32, v33, s[14:15]
	global_store_dword v32, v36, s[12:13]
.LBB846_401:
	s_or_b64 exec, exec, s[10:11]
	s_waitcnt vmcnt(3)
	v_cmp_ne_u16_sdwa s[12:13], v14, v32 src0_sel:BYTE_0 src1_sel:DWORD
	s_waitcnt lgkmcnt(0)
	s_barrier
	s_and_saveexec_b64 s[10:11], s[12:13]
	s_cbranch_execz .LBB846_407
; %bb.402:
	s_movk_i32 s7, 0x80
	v_cmp_ne_u16_sdwa s[14:15], v14, s7 src0_sel:BYTE_0 src1_sel:DWORD
	v_mov_b32_e32 v32, 0xffff8000
	s_and_saveexec_b64 s[12:13], s[14:15]
	s_cbranch_execz .LBB846_406
; %bb.403:
	s_movk_i32 s7, 0x7f
	v_and_b32_e32 v18, 0x7f, v14
	v_cmp_ne_u32_e32 vcc, s7, v18
	v_mov_b32_e32 v32, 0x7f80
	s_and_saveexec_b64 s[14:15], vcc
	s_cbranch_execz .LBB846_405
; %bb.404:
	v_and_b32_e32 v19, 7, v14
	v_ffbh_u32_e32 v20, v19
	v_min_u32_e32 v23, 32, v20
	v_subrev_u32_e32 v20, 28, v23
	v_lshlrev_b64 v[20:21], v20, v[14:15]
	v_lshrrev_b32_e32 v22, 3, v18
	v_sub_u32_e32 v21, 29, v23
	v_and_b32_e32 v20, 7, v20
	v_cmp_gt_u32_e32 vcc, 8, v18
	v_cndmask_b32_e32 v18, v22, v21, vcc
	v_cndmask_b32_e32 v19, v19, v20, vcc
	v_lshlrev_b32_e32 v20, 24, v14
	v_bfrev_b32_e32 v21, 60
	v_lshlrev_b32_e32 v19, 20, v19
	v_and_b32_e32 v20, 0x80000000, v20
	v_lshl_add_u32 v18, v18, 23, v21
	v_or3_b32 v18, v20, v18, v19
	v_lshrrev_b32_e32 v32, 16, v18
.LBB846_405:
	s_or_b64 exec, exec, s[14:15]
.LBB846_406:
	s_or_b64 exec, exec, s[12:13]
.LBB846_407:
	s_or_b64 exec, exec, s[10:11]
	v_lshrrev_b16_e32 v18, 8, v14
	v_cmp_ne_u16_e32 vcc, 0, v18
	v_mov_b32_e32 v20, 0
	v_mov_b32_e32 v19, 0
	s_and_saveexec_b64 s[10:11], vcc
	s_cbranch_execz .LBB846_413
; %bb.408:
	s_movk_i32 s7, 0x80
	v_cmp_ne_u16_e32 vcc, s7, v18
	v_mov_b32_e32 v19, 0xffff8000
	s_and_saveexec_b64 s[12:13], vcc
	s_cbranch_execz .LBB846_412
; %bb.409:
	s_movk_i32 s7, 0x7f
	v_and_b32_e32 v21, 0x7f, v18
	v_cmp_ne_u32_e32 vcc, s7, v21
	v_mov_b32_e32 v19, 0x7f80
	s_and_saveexec_b64 s[14:15], vcc
	s_cbranch_execz .LBB846_411
; %bb.410:
	v_and_b32_e32 v22, 7, v18
	v_ffbh_u32_e32 v19, v22
	v_min_u32_e32 v24, 32, v19
	v_subrev_u32_e32 v19, 28, v24
	v_lshlrev_b64 v[18:19], v19, v[18:19]
	v_lshrrev_b32_e32 v23, 3, v21
	v_sub_u32_e32 v19, 29, v24
	v_and_b32_e32 v18, 7, v18
	v_cmp_gt_u32_e32 vcc, 8, v21
	v_cndmask_b32_e32 v19, v23, v19, vcc
	v_cndmask_b32_e32 v18, v22, v18, vcc
	v_lshlrev_b32_e32 v21, 16, v14
	v_bfrev_b32_e32 v22, 60
	v_lshlrev_b32_e32 v18, 20, v18
	v_and_b32_e32 v21, 0x80000000, v21
	v_lshl_add_u32 v19, v19, 23, v22
	v_or3_b32 v18, v21, v19, v18
	v_lshrrev_b32_e32 v19, 16, v18
.LBB846_411:
	s_or_b64 exec, exec, s[14:15]
.LBB846_412:
	s_or_b64 exec, exec, s[12:13]
.LBB846_413:
	s_or_b64 exec, exec, s[10:11]
	s_movk_i32 s7, 0xff
	v_and_b32_sdwa v21, v14, s7 dst_sel:DWORD dst_unused:UNUSED_PAD src0_sel:WORD_1 src1_sel:DWORD
	v_lshrrev_b32_e32 v18, 16, v14
	v_cmp_ne_u16_e32 vcc, 0, v21
	s_and_saveexec_b64 s[10:11], vcc
	s_cbranch_execz .LBB846_419
; %bb.414:
	s_movk_i32 s7, 0x80
	v_cmp_ne_u16_e32 vcc, s7, v21
	v_mov_b32_e32 v20, 0xffff8000
	s_and_saveexec_b64 s[12:13], vcc
	s_cbranch_execz .LBB846_418
; %bb.415:
	v_bfe_u32 v21, v14, 16, 7
	s_movk_i32 s7, 0x7f
	v_cmp_ne_u32_e32 vcc, s7, v21
	v_mov_b32_e32 v20, 0x7f80
	s_and_saveexec_b64 s[14:15], vcc
	s_cbranch_execz .LBB846_417
; %bb.416:
	v_and_b32_e32 v20, 7, v18
	v_ffbh_u32_e32 v22, v20
	v_min_u32_e32 v25, 32, v22
	v_subrev_u32_e32 v22, 28, v25
	v_lshlrev_b64 v[22:23], v22, v[18:19]
	v_lshrrev_b32_e32 v24, 3, v21
	v_sub_u32_e32 v18, 29, v25
	v_and_b32_e32 v22, 7, v22
	v_cmp_gt_u32_e32 vcc, 8, v21
	v_mov_b32_e32 v21, 24
	v_cndmask_b32_e32 v18, v24, v18, vcc
	v_cndmask_b32_e32 v20, v20, v22, vcc
	v_lshlrev_b32_sdwa v21, v21, v14 dst_sel:DWORD dst_unused:UNUSED_PAD src0_sel:DWORD src1_sel:WORD_1
	v_bfrev_b32_e32 v22, 60
	v_lshlrev_b32_e32 v20, 20, v20
	v_and_b32_e32 v21, 0x80000000, v21
	v_lshl_add_u32 v18, v18, 23, v22
	v_or3_b32 v18, v21, v18, v20
	v_lshrrev_b32_e32 v20, 16, v18
.LBB846_417:
	s_or_b64 exec, exec, s[14:15]
.LBB846_418:
	s_or_b64 exec, exec, s[12:13]
.LBB846_419:
	s_or_b64 exec, exec, s[10:11]
	s_mov_b32 s7, 0xffffff
	v_cmp_lt_u32_e32 vcc, s7, v14
	v_mov_b32_e32 v21, 0
	v_mov_b32_e32 v22, 0
	s_and_saveexec_b64 s[10:11], vcc
	s_cbranch_execz .LBB846_425
; %bb.420:
	v_lshrrev_b32_e32 v18, 24, v14
	s_movk_i32 s7, 0x80
	v_cmp_ne_u32_e32 vcc, s7, v18
	v_mov_b32_e32 v22, 0xffff8000
	s_and_saveexec_b64 s[12:13], vcc
	s_cbranch_execz .LBB846_424
; %bb.421:
	v_bfe_u32 v14, v14, 24, 7
	s_movk_i32 s7, 0x7f
	v_cmp_ne_u32_e32 vcc, s7, v14
	v_mov_b32_e32 v22, 0x7f80
	s_and_saveexec_b64 s[14:15], vcc
	s_cbranch_execz .LBB846_423
; %bb.422:
	v_and_b32_e32 v24, 7, v18
	v_ffbh_u32_e32 v22, v24
	v_min_u32_e32 v28, 32, v22
	v_subrev_u32_e32 v22, 28, v28
	v_lshlrev_b64 v[22:23], v22, v[18:19]
	v_lshrrev_b32_e32 v25, 3, v14
	v_sub_u32_e32 v23, 29, v28
	v_and_b32_e32 v22, 7, v22
	v_cmp_gt_u32_e32 vcc, 8, v14
	v_cndmask_b32_e32 v14, v25, v23, vcc
	v_cndmask_b32_e32 v22, v24, v22, vcc
	v_lshlrev_b32_e32 v18, 24, v18
	v_bfrev_b32_e32 v23, 60
	v_lshlrev_b32_e32 v22, 20, v22
	v_and_b32_e32 v18, 0x80000000, v18
	v_lshl_add_u32 v14, v14, 23, v23
	v_or3_b32 v14, v18, v14, v22
	v_lshrrev_b32_e32 v22, 16, v14
.LBB846_423:
	s_or_b64 exec, exec, s[14:15]
.LBB846_424:
	s_or_b64 exec, exec, s[12:13]
.LBB846_425:
	s_or_b64 exec, exec, s[10:11]
	v_cmp_ne_u16_sdwa s[12:13], v15, v21 src0_sel:BYTE_0 src1_sel:DWORD
	s_and_saveexec_b64 s[10:11], s[12:13]
	s_cbranch_execz .LBB846_431
; %bb.426:
	s_movk_i32 s7, 0x80
	v_cmp_ne_u16_sdwa s[14:15], v15, s7 src0_sel:BYTE_0 src1_sel:DWORD
	v_mov_b32_e32 v21, 0xffff8000
	s_and_saveexec_b64 s[12:13], s[14:15]
	s_cbranch_execz .LBB846_430
; %bb.427:
	s_movk_i32 s7, 0x7f
	v_and_b32_e32 v14, 0x7f, v15
	v_cmp_ne_u32_e32 vcc, s7, v14
	v_mov_b32_e32 v21, 0x7f80
	s_and_saveexec_b64 s[14:15], vcc
	s_cbranch_execz .LBB846_429
; %bb.428:
	v_and_b32_e32 v21, 7, v15
	v_ffbh_u32_e32 v24, v21
	v_min_u32_e32 v28, 32, v24
	v_mov_b32_e32 v18, v15
	v_subrev_u32_e32 v24, 28, v28
	v_lshlrev_b64 v[24:25], v24, v[18:19]
	v_lshrrev_b32_e32 v23, 3, v14
	v_sub_u32_e32 v18, 29, v28
	v_and_b32_e32 v24, 7, v24
	v_cmp_gt_u32_e32 vcc, 8, v14
	v_cndmask_b32_e32 v14, v23, v18, vcc
	v_cndmask_b32_e32 v18, v21, v24, vcc
	v_lshlrev_b32_e32 v21, 24, v15
	v_bfrev_b32_e32 v23, 60
	v_lshlrev_b32_e32 v18, 20, v18
	v_and_b32_e32 v21, 0x80000000, v21
	v_lshl_add_u32 v14, v14, 23, v23
	v_or3_b32 v14, v21, v14, v18
	v_lshrrev_b32_e32 v21, 16, v14
.LBB846_429:
	s_or_b64 exec, exec, s[14:15]
.LBB846_430:
	s_or_b64 exec, exec, s[12:13]
.LBB846_431:
	s_or_b64 exec, exec, s[10:11]
	v_lshrrev_b16_e32 v14, 8, v15
	v_cmp_ne_u16_e32 vcc, 0, v14
	v_mov_b32_e32 v24, 0
	v_mov_b32_e32 v18, 0
	s_and_saveexec_b64 s[10:11], vcc
	s_cbranch_execz .LBB846_437
; %bb.432:
	s_movk_i32 s7, 0x80
	v_cmp_ne_u16_e32 vcc, s7, v14
	v_mov_b32_e32 v18, 0xffff8000
	s_and_saveexec_b64 s[12:13], vcc
	s_cbranch_execz .LBB846_436
; %bb.433:
	s_movk_i32 s7, 0x7f
	v_and_b32_e32 v23, 0x7f, v14
	v_cmp_ne_u32_e32 vcc, s7, v23
	v_mov_b32_e32 v18, 0x7f80
	s_and_saveexec_b64 s[14:15], vcc
	s_cbranch_execz .LBB846_435
; %bb.434:
	v_and_b32_e32 v18, 7, v14
	v_ffbh_u32_e32 v28, v18
	v_min_u32_e32 v30, 32, v28
	v_subrev_u32_e32 v28, 28, v30
	v_lshlrev_b64 v[28:29], v28, v[14:15]
	v_lshrrev_b32_e32 v25, 3, v23
	v_sub_u32_e32 v14, 29, v30
	v_and_b32_e32 v28, 7, v28
	v_cmp_gt_u32_e32 vcc, 8, v23
	v_cndmask_b32_e32 v14, v25, v14, vcc
	v_cndmask_b32_e32 v18, v18, v28, vcc
	v_lshlrev_b32_e32 v23, 16, v15
	v_bfrev_b32_e32 v25, 60
	v_lshlrev_b32_e32 v18, 20, v18
	v_and_b32_e32 v23, 0x80000000, v23
	v_lshl_add_u32 v14, v14, 23, v25
	v_or3_b32 v14, v23, v14, v18
	v_lshrrev_b32_e32 v18, 16, v14
.LBB846_435:
	s_or_b64 exec, exec, s[14:15]
.LBB846_436:
	s_or_b64 exec, exec, s[12:13]
.LBB846_437:
	s_or_b64 exec, exec, s[10:11]
	s_movk_i32 s7, 0xff
	v_and_b32_sdwa v23, v15, s7 dst_sel:DWORD dst_unused:UNUSED_PAD src0_sel:WORD_1 src1_sel:DWORD
	v_lshrrev_b32_e32 v14, 16, v15
	v_cmp_ne_u16_e32 vcc, 0, v23
	s_and_saveexec_b64 s[10:11], vcc
	s_cbranch_execz .LBB846_443
; %bb.438:
	s_movk_i32 s7, 0x80
	v_cmp_ne_u16_e32 vcc, s7, v23
	v_mov_b32_e32 v24, 0xffff8000
	s_and_saveexec_b64 s[12:13], vcc
	s_cbranch_execz .LBB846_442
; %bb.439:
	v_bfe_u32 v23, v15, 16, 7
	s_movk_i32 s7, 0x7f
	v_cmp_ne_u32_e32 vcc, s7, v23
	v_mov_b32_e32 v24, 0x7f80
	s_and_saveexec_b64 s[14:15], vcc
	s_cbranch_execz .LBB846_441
; %bb.440:
	v_and_b32_e32 v28, 7, v14
	v_ffbh_u32_e32 v24, v28
	v_min_u32_e32 v30, 32, v24
	v_subrev_u32_e32 v24, 28, v30
	v_lshlrev_b64 v[24:25], v24, v[14:15]
	v_and_b32_e32 v24, 7, v24
	v_cmp_gt_u32_e32 vcc, 8, v23
	v_lshrrev_b32_e32 v29, 3, v23
	v_sub_u32_e32 v14, 29, v30
	v_cndmask_b32_e32 v23, v28, v24, vcc
	v_mov_b32_e32 v24, 24
	v_cndmask_b32_e32 v14, v29, v14, vcc
	v_lshlrev_b32_sdwa v24, v24, v15 dst_sel:DWORD dst_unused:UNUSED_PAD src0_sel:DWORD src1_sel:WORD_1
	v_bfrev_b32_e32 v25, 60
	v_lshlrev_b32_e32 v23, 20, v23
	v_and_b32_e32 v24, 0x80000000, v24
	v_lshl_add_u32 v14, v14, 23, v25
	v_or3_b32 v14, v24, v14, v23
	v_lshrrev_b32_e32 v24, 16, v14
.LBB846_441:
	s_or_b64 exec, exec, s[14:15]
.LBB846_442:
	s_or_b64 exec, exec, s[12:13]
.LBB846_443:
	s_or_b64 exec, exec, s[10:11]
	s_mov_b32 s7, 0xffffff
	v_cmp_lt_u32_e32 vcc, s7, v15
	v_mov_b32_e32 v23, 0
	v_mov_b32_e32 v25, 0
	s_and_saveexec_b64 s[10:11], vcc
	s_cbranch_execz .LBB846_449
; %bb.444:
	v_lshrrev_b32_e32 v14, 24, v15
	s_movk_i32 s7, 0x80
	v_cmp_ne_u32_e32 vcc, s7, v14
	v_mov_b32_e32 v25, 0xffff8000
	s_and_saveexec_b64 s[12:13], vcc
	s_cbranch_execz .LBB846_448
; %bb.445:
	v_bfe_u32 v15, v15, 24, 7
	s_movk_i32 s7, 0x7f
	v_cmp_ne_u32_e32 vcc, s7, v15
	v_mov_b32_e32 v25, 0x7f80
	s_and_saveexec_b64 s[14:15], vcc
	s_cbranch_execz .LBB846_447
; %bb.446:
	v_and_b32_e32 v25, 7, v14
	v_ffbh_u32_e32 v28, v25
	v_min_u32_e32 v31, 32, v28
	v_subrev_u32_e32 v28, 28, v31
	v_lshlrev_b64 v[28:29], v28, v[14:15]
	v_lshrrev_b32_e32 v30, 3, v15
	v_sub_u32_e32 v29, 29, v31
	v_and_b32_e32 v28, 7, v28
	v_cmp_gt_u32_e32 vcc, 8, v15
	v_cndmask_b32_e32 v15, v30, v29, vcc
	v_cndmask_b32_e32 v25, v25, v28, vcc
	v_lshlrev_b32_e32 v14, 24, v14
	v_bfrev_b32_e32 v28, 60
	v_lshlrev_b32_e32 v25, 20, v25
	v_and_b32_e32 v14, 0x80000000, v14
	v_lshl_add_u32 v15, v15, 23, v28
	v_or3_b32 v14, v14, v15, v25
	v_lshrrev_b32_e32 v25, 16, v14
.LBB846_447:
	s_or_b64 exec, exec, s[14:15]
.LBB846_448:
	s_or_b64 exec, exec, s[12:13]
.LBB846_449:
	s_or_b64 exec, exec, s[10:11]
	s_mov_b32 s7, 0x5040100
	v_perm_b32 v15, v22, v20, s7
	v_lshl_or_b32 v22, v46, 9, v27
	v_perm_b32 v14, v19, v32, s7
	ds_read_b128 v[28:31], v22
	v_cmp_ne_u16_sdwa s[12:13], v16, v23 src0_sel:BYTE_0 src1_sel:DWORD
	s_waitcnt lgkmcnt(0)
	v_mfma_f32_16x16x16bf16_1k v[32:35], v[14:15], v[28:29], 0
	v_perm_b32 v15, v25, v24, s7
	v_perm_b32 v14, v18, v21, s7
	s_nop 1
	v_mfma_f32_16x16x16bf16_1k v[18:21], v[14:15], v[30:31], v[32:35]
	s_and_saveexec_b64 s[10:11], s[12:13]
	s_cbranch_execz .LBB846_455
; %bb.450:
	s_movk_i32 s7, 0x80
	v_cmp_ne_u16_sdwa s[14:15], v16, s7 src0_sel:BYTE_0 src1_sel:DWORD
	v_mov_b32_e32 v23, 0xffff8000
	s_and_saveexec_b64 s[12:13], s[14:15]
	s_cbranch_execz .LBB846_454
; %bb.451:
	s_movk_i32 s7, 0x7f
	v_and_b32_e32 v14, 0x7f, v16
	v_cmp_ne_u32_e32 vcc, s7, v14
	v_mov_b32_e32 v23, 0x7f80
	s_and_saveexec_b64 s[14:15], vcc
	s_cbranch_execz .LBB846_453
; %bb.452:
	v_and_b32_e32 v15, 7, v16
	v_ffbh_u32_e32 v24, v15
	v_min_u32_e32 v27, 32, v24
	v_subrev_u32_e32 v24, 28, v27
	v_lshlrev_b64 v[24:25], v24, v[16:17]
	v_lshrrev_b32_e32 v23, 3, v14
	v_sub_u32_e32 v25, 29, v27
	v_and_b32_e32 v24, 7, v24
	v_cmp_gt_u32_e32 vcc, 8, v14
	v_cndmask_b32_e32 v14, v23, v25, vcc
	v_cndmask_b32_e32 v15, v15, v24, vcc
	v_lshlrev_b32_e32 v23, 24, v16
	v_bfrev_b32_e32 v24, 60
	v_lshlrev_b32_e32 v15, 20, v15
	v_and_b32_e32 v23, 0x80000000, v23
	v_lshl_add_u32 v14, v14, 23, v24
	v_or3_b32 v14, v23, v14, v15
	v_lshrrev_b32_e32 v23, 16, v14
.LBB846_453:
	s_or_b64 exec, exec, s[14:15]
.LBB846_454:
	s_or_b64 exec, exec, s[12:13]
.LBB846_455:
	s_or_b64 exec, exec, s[10:11]
	v_lshrrev_b16_e32 v14, 8, v16
	v_cmp_ne_u16_e32 vcc, 0, v14
	v_mov_b32_e32 v25, 0
	v_mov_b32_e32 v15, 0
	s_and_saveexec_b64 s[10:11], vcc
	s_cbranch_execz .LBB846_461
; %bb.456:
	s_movk_i32 s7, 0x80
	v_cmp_ne_u16_e32 vcc, s7, v14
	v_mov_b32_e32 v15, 0xffff8000
	s_and_saveexec_b64 s[12:13], vcc
	s_cbranch_execz .LBB846_460
; %bb.457:
	s_movk_i32 s7, 0x7f
	v_and_b32_e32 v24, 0x7f, v14
	v_cmp_ne_u32_e32 vcc, s7, v24
	v_mov_b32_e32 v15, 0x7f80
	s_and_saveexec_b64 s[14:15], vcc
	s_cbranch_execz .LBB846_459
; %bb.458:
	v_and_b32_e32 v27, 7, v14
	v_ffbh_u32_e32 v15, v27
	v_min_u32_e32 v29, 32, v15
	v_subrev_u32_e32 v15, 28, v29
	v_lshlrev_b64 v[14:15], v15, v[14:15]
	v_lshrrev_b32_e32 v28, 3, v24
	v_sub_u32_e32 v15, 29, v29
	v_and_b32_e32 v14, 7, v14
	v_cmp_gt_u32_e32 vcc, 8, v24
	v_cndmask_b32_e32 v15, v28, v15, vcc
	v_cndmask_b32_e32 v14, v27, v14, vcc
	v_lshlrev_b32_e32 v24, 16, v16
	v_bfrev_b32_e32 v27, 60
	v_lshlrev_b32_e32 v14, 20, v14
	v_and_b32_e32 v24, 0x80000000, v24
	v_lshl_add_u32 v15, v15, 23, v27
	v_or3_b32 v14, v24, v15, v14
	v_lshrrev_b32_e32 v15, 16, v14
.LBB846_459:
	s_or_b64 exec, exec, s[14:15]
.LBB846_460:
	s_or_b64 exec, exec, s[12:13]
.LBB846_461:
	s_or_b64 exec, exec, s[10:11]
	s_movk_i32 s7, 0xff
	v_and_b32_sdwa v24, v16, s7 dst_sel:DWORD dst_unused:UNUSED_PAD src0_sel:WORD_1 src1_sel:DWORD
	v_lshrrev_b32_e32 v14, 16, v16
	v_cmp_ne_u16_e32 vcc, 0, v24
	s_and_saveexec_b64 s[10:11], vcc
	s_cbranch_execz .LBB846_467
; %bb.462:
	s_movk_i32 s7, 0x80
	v_cmp_ne_u16_e32 vcc, s7, v24
	v_mov_b32_e32 v25, 0xffff8000
	s_and_saveexec_b64 s[12:13], vcc
	s_cbranch_execz .LBB846_466
; %bb.463:
	v_bfe_u32 v24, v16, 16, 7
	s_movk_i32 s7, 0x7f
	v_cmp_ne_u32_e32 vcc, s7, v24
	v_mov_b32_e32 v25, 0x7f80
	s_and_saveexec_b64 s[14:15], vcc
	s_cbranch_execz .LBB846_465
; %bb.464:
	v_and_b32_e32 v25, 7, v14
	v_ffbh_u32_e32 v28, v25
	v_min_u32_e32 v30, 32, v28
	v_subrev_u32_e32 v28, 28, v30
	v_lshlrev_b64 v[28:29], v28, v[14:15]
	v_and_b32_e32 v28, 7, v28
	v_cmp_gt_u32_e32 vcc, 8, v24
	v_lshrrev_b32_e32 v27, 3, v24
	v_sub_u32_e32 v14, 29, v30
	v_cndmask_b32_e32 v24, v25, v28, vcc
	v_mov_b32_e32 v25, 24
	v_cndmask_b32_e32 v14, v27, v14, vcc
	v_lshlrev_b32_sdwa v25, v25, v16 dst_sel:DWORD dst_unused:UNUSED_PAD src0_sel:DWORD src1_sel:WORD_1
	v_bfrev_b32_e32 v27, 60
	v_lshlrev_b32_e32 v24, 20, v24
	v_and_b32_e32 v25, 0x80000000, v25
	v_lshl_add_u32 v14, v14, 23, v27
	v_or3_b32 v14, v25, v14, v24
	v_lshrrev_b32_e32 v25, 16, v14
.LBB846_465:
	s_or_b64 exec, exec, s[14:15]
.LBB846_466:
	s_or_b64 exec, exec, s[12:13]
.LBB846_467:
	s_or_b64 exec, exec, s[10:11]
	s_mov_b32 s7, 0xffffff
	v_cmp_lt_u32_e32 vcc, s7, v16
	v_mov_b32_e32 v27, 0
	v_mov_b32_e32 v28, 0
	s_and_saveexec_b64 s[10:11], vcc
	s_cbranch_execz .LBB846_473
; %bb.468:
	v_lshrrev_b32_e32 v14, 24, v16
	s_movk_i32 s7, 0x80
	v_cmp_ne_u32_e32 vcc, s7, v14
	v_mov_b32_e32 v28, 0xffff8000
	s_and_saveexec_b64 s[12:13], vcc
	s_cbranch_execz .LBB846_472
; %bb.469:
	v_bfe_u32 v16, v16, 24, 7
	s_movk_i32 s7, 0x7f
	v_cmp_ne_u32_e32 vcc, s7, v16
	v_mov_b32_e32 v28, 0x7f80
	s_and_saveexec_b64 s[14:15], vcc
	s_cbranch_execz .LBB846_471
; %bb.470:
	v_and_b32_e32 v24, 7, v14
	v_ffbh_u32_e32 v28, v24
	v_min_u32_e32 v31, 32, v28
	v_subrev_u32_e32 v28, 28, v31
	v_lshlrev_b64 v[28:29], v28, v[14:15]
	v_lshrrev_b32_e32 v30, 3, v16
	v_sub_u32_e32 v29, 29, v31
	v_and_b32_e32 v28, 7, v28
	v_cmp_gt_u32_e32 vcc, 8, v16
	v_cndmask_b32_e32 v16, v30, v29, vcc
	v_cndmask_b32_e32 v24, v24, v28, vcc
	v_lshlrev_b32_e32 v14, 24, v14
	v_bfrev_b32_e32 v28, 60
	v_lshlrev_b32_e32 v24, 20, v24
	v_and_b32_e32 v14, 0x80000000, v14
	v_lshl_add_u32 v16, v16, 23, v28
	v_or3_b32 v14, v14, v16, v24
	v_lshrrev_b32_e32 v28, 16, v14
.LBB846_471:
	s_or_b64 exec, exec, s[14:15]
.LBB846_472:
	s_or_b64 exec, exec, s[12:13]
.LBB846_473:
	s_or_b64 exec, exec, s[10:11]
	v_cmp_ne_u16_sdwa s[12:13], v17, v27 src0_sel:BYTE_0 src1_sel:DWORD
	s_and_saveexec_b64 s[10:11], s[12:13]
	s_cbranch_execz .LBB846_479
; %bb.474:
	s_movk_i32 s7, 0x80
	v_cmp_ne_u16_sdwa s[14:15], v17, s7 src0_sel:BYTE_0 src1_sel:DWORD
	v_mov_b32_e32 v27, 0xffff8000
	s_and_saveexec_b64 s[12:13], s[14:15]
	s_cbranch_execz .LBB846_478
; %bb.475:
	s_movk_i32 s7, 0x7f
	v_and_b32_e32 v14, 0x7f, v17
	v_cmp_ne_u32_e32 vcc, s7, v14
	v_mov_b32_e32 v27, 0x7f80
	s_and_saveexec_b64 s[14:15], vcc
	s_cbranch_execz .LBB846_477
; %bb.476:
	v_and_b32_e32 v24, 7, v17
	v_ffbh_u32_e32 v29, v24
	v_min_u32_e32 v29, 32, v29
	v_mov_b32_e32 v16, v17
	v_subrev_u32_e32 v30, 28, v29
	v_lshlrev_b64 v[30:31], v30, v[16:17]
	v_lshrrev_b32_e32 v27, 3, v14
	v_sub_u32_e32 v16, 29, v29
	v_and_b32_e32 v29, 7, v30
	v_cmp_gt_u32_e32 vcc, 8, v14
	v_cndmask_b32_e32 v14, v27, v16, vcc
	v_cndmask_b32_e32 v16, v24, v29, vcc
	v_lshlrev_b32_e32 v24, 24, v17
	v_bfrev_b32_e32 v27, 60
	v_lshlrev_b32_e32 v16, 20, v16
	v_and_b32_e32 v24, 0x80000000, v24
	v_lshl_add_u32 v14, v14, 23, v27
	v_or3_b32 v14, v24, v14, v16
	v_lshrrev_b32_e32 v27, 16, v14
.LBB846_477:
	s_or_b64 exec, exec, s[14:15]
.LBB846_478:
	s_or_b64 exec, exec, s[12:13]
.LBB846_479:
	s_or_b64 exec, exec, s[10:11]
	v_lshrrev_b16_e32 v14, 8, v17
	v_cmp_ne_u16_e32 vcc, 0, v14
	v_mov_b32_e32 v29, 0
	v_mov_b32_e32 v16, 0
	s_and_saveexec_b64 s[10:11], vcc
	s_cbranch_execz .LBB846_485
; %bb.480:
	s_movk_i32 s7, 0x80
	v_cmp_ne_u16_e32 vcc, s7, v14
	v_mov_b32_e32 v16, 0xffff8000
	s_and_saveexec_b64 s[12:13], vcc
	s_cbranch_execz .LBB846_484
; %bb.481:
	s_movk_i32 s7, 0x7f
	v_and_b32_e32 v24, 0x7f, v14
	v_cmp_ne_u32_e32 vcc, s7, v24
	v_mov_b32_e32 v16, 0x7f80
	s_and_saveexec_b64 s[14:15], vcc
	s_cbranch_execz .LBB846_483
; %bb.482:
	v_and_b32_e32 v16, 7, v14
	v_ffbh_u32_e32 v30, v16
	v_min_u32_e32 v33, 32, v30
	v_subrev_u32_e32 v30, 28, v33
	v_lshlrev_b64 v[30:31], v30, v[14:15]
	v_lshrrev_b32_e32 v32, 3, v24
	v_sub_u32_e32 v14, 29, v33
	v_and_b32_e32 v30, 7, v30
	v_cmp_gt_u32_e32 vcc, 8, v24
	v_cndmask_b32_e32 v14, v32, v14, vcc
	v_cndmask_b32_e32 v16, v16, v30, vcc
	v_lshlrev_b32_e32 v24, 16, v17
	v_bfrev_b32_e32 v30, 60
	v_lshlrev_b32_e32 v16, 20, v16
	v_and_b32_e32 v24, 0x80000000, v24
	v_lshl_add_u32 v14, v14, 23, v30
	v_or3_b32 v14, v24, v14, v16
	v_lshrrev_b32_e32 v16, 16, v14
.LBB846_483:
	s_or_b64 exec, exec, s[14:15]
.LBB846_484:
	s_or_b64 exec, exec, s[12:13]
.LBB846_485:
	s_or_b64 exec, exec, s[10:11]
	s_movk_i32 s7, 0xff
	v_and_b32_sdwa v24, v17, s7 dst_sel:DWORD dst_unused:UNUSED_PAD src0_sel:WORD_1 src1_sel:DWORD
	v_lshrrev_b32_e32 v14, 16, v17
	v_cmp_ne_u16_e32 vcc, 0, v24
	s_and_saveexec_b64 s[10:11], vcc
	s_cbranch_execz .LBB846_491
; %bb.486:
	s_movk_i32 s7, 0x80
	v_cmp_ne_u16_e32 vcc, s7, v24
	v_mov_b32_e32 v29, 0xffff8000
	s_and_saveexec_b64 s[12:13], vcc
	s_cbranch_execz .LBB846_490
; %bb.487:
	v_bfe_u32 v24, v17, 16, 7
	s_movk_i32 s7, 0x7f
	v_cmp_ne_u32_e32 vcc, s7, v24
	v_mov_b32_e32 v29, 0x7f80
	s_and_saveexec_b64 s[14:15], vcc
	s_cbranch_execz .LBB846_489
; %bb.488:
	v_and_b32_e32 v29, 7, v14
	v_ffbh_u32_e32 v30, v29
	v_min_u32_e32 v33, 32, v30
	v_subrev_u32_e32 v30, 28, v33
	v_lshlrev_b64 v[30:31], v30, v[14:15]
	v_and_b32_e32 v30, 7, v30
	v_cmp_gt_u32_e32 vcc, 8, v24
	v_lshrrev_b32_e32 v32, 3, v24
	v_sub_u32_e32 v14, 29, v33
	v_cndmask_b32_e32 v24, v29, v30, vcc
	v_mov_b32_e32 v29, 24
	v_cndmask_b32_e32 v14, v32, v14, vcc
	v_lshlrev_b32_sdwa v29, v29, v17 dst_sel:DWORD dst_unused:UNUSED_PAD src0_sel:DWORD src1_sel:WORD_1
	v_bfrev_b32_e32 v30, 60
	v_lshlrev_b32_e32 v24, 20, v24
	v_and_b32_e32 v29, 0x80000000, v29
	v_lshl_add_u32 v14, v14, 23, v30
	v_or3_b32 v14, v29, v14, v24
	v_lshrrev_b32_e32 v29, 16, v14
.LBB846_489:
	s_or_b64 exec, exec, s[14:15]
.LBB846_490:
	s_or_b64 exec, exec, s[12:13]
.LBB846_491:
	s_or_b64 exec, exec, s[10:11]
	s_mov_b32 s7, 0xffffff
	v_cmp_lt_u32_e32 vcc, s7, v17
	v_mov_b32_e32 v24, 0
	v_mov_b32_e32 v30, 0
	s_and_saveexec_b64 s[10:11], vcc
	s_cbranch_execz .LBB846_497
; %bb.492:
	v_lshrrev_b32_e32 v14, 24, v17
	s_movk_i32 s7, 0x80
	v_cmp_ne_u32_e32 vcc, s7, v14
	v_mov_b32_e32 v30, 0xffff8000
	s_and_saveexec_b64 s[12:13], vcc
	s_cbranch_execz .LBB846_496
; %bb.493:
	v_bfe_u32 v17, v17, 24, 7
	s_movk_i32 s7, 0x7f
	v_cmp_ne_u32_e32 vcc, s7, v17
	v_mov_b32_e32 v30, 0x7f80
	s_and_saveexec_b64 s[14:15], vcc
	s_cbranch_execz .LBB846_495
; %bb.494:
	v_and_b32_e32 v32, 7, v14
	v_ffbh_u32_e32 v30, v32
	v_min_u32_e32 v34, 32, v30
	v_subrev_u32_e32 v30, 28, v34
	v_lshlrev_b64 v[30:31], v30, v[14:15]
	v_lshrrev_b32_e32 v33, 3, v17
	v_sub_u32_e32 v31, 29, v34
	v_and_b32_e32 v30, 7, v30
	v_cmp_gt_u32_e32 vcc, 8, v17
	v_cndmask_b32_e32 v17, v33, v31, vcc
	v_cndmask_b32_e32 v30, v32, v30, vcc
	v_lshlrev_b32_e32 v14, 24, v14
	v_bfrev_b32_e32 v31, 60
	v_lshlrev_b32_e32 v30, 20, v30
	v_and_b32_e32 v14, 0x80000000, v14
	v_lshl_add_u32 v17, v17, 23, v31
	v_or3_b32 v14, v14, v17, v30
	v_lshrrev_b32_e32 v30, 16, v14
.LBB846_495:
	s_or_b64 exec, exec, s[14:15]
.LBB846_496:
	s_or_b64 exec, exec, s[12:13]
.LBB846_497:
	s_or_b64 exec, exec, s[10:11]
	s_mov_b32 s7, 0x5040100
	v_perm_b32 v37, v28, v25, s7
	v_perm_b32 v36, v15, v23, s7
	ds_read_b128 v[32:35], v22 offset:16
	v_perm_b32 v15, v30, v29, s7
	v_perm_b32 v14, v16, v27, s7
	s_waitcnt lgkmcnt(0)
	v_mfma_f32_16x16x16bf16_1k v[18:21], v[36:37], v[32:33], v[18:21]
	s_waitcnt vmcnt(2)
	v_cmp_ne_u16_sdwa s[12:13], v10, v24 src0_sel:BYTE_0 src1_sel:DWORD
	v_mfma_f32_16x16x16bf16_1k v[14:17], v[14:15], v[34:35], v[18:21]
	s_and_saveexec_b64 s[10:11], s[12:13]
	s_cbranch_execz .LBB846_503
; %bb.498:
	s_movk_i32 s7, 0x80
	v_cmp_ne_u16_sdwa s[14:15], v10, s7 src0_sel:BYTE_0 src1_sel:DWORD
	v_mov_b32_e32 v24, 0xffff8000
	s_and_saveexec_b64 s[12:13], s[14:15]
	s_cbranch_execz .LBB846_502
; %bb.499:
	s_movk_i32 s7, 0x7f
	v_and_b32_e32 v18, 0x7f, v10
	v_cmp_ne_u32_e32 vcc, s7, v18
	v_mov_b32_e32 v24, 0x7f80
	s_and_saveexec_b64 s[14:15], vcc
	s_cbranch_execz .LBB846_501
; %bb.500:
	v_and_b32_e32 v19, 7, v10
	v_ffbh_u32_e32 v20, v19
	v_min_u32_e32 v24, 32, v20
	v_subrev_u32_e32 v20, 28, v24
	v_lshlrev_b64 v[20:21], v20, v[10:11]
	v_lshrrev_b32_e32 v23, 3, v18
	v_sub_u32_e32 v21, 29, v24
	v_and_b32_e32 v20, 7, v20
	v_cmp_gt_u32_e32 vcc, 8, v18
	v_cndmask_b32_e32 v18, v23, v21, vcc
	v_cndmask_b32_e32 v19, v19, v20, vcc
	v_lshlrev_b32_e32 v20, 24, v10
	v_bfrev_b32_e32 v21, 60
	v_lshlrev_b32_e32 v19, 20, v19
	v_and_b32_e32 v20, 0x80000000, v20
	v_lshl_add_u32 v18, v18, 23, v21
	v_or3_b32 v18, v20, v18, v19
	v_lshrrev_b32_e32 v24, 16, v18
.LBB846_501:
	s_or_b64 exec, exec, s[14:15]
.LBB846_502:
	s_or_b64 exec, exec, s[12:13]
.LBB846_503:
	s_or_b64 exec, exec, s[10:11]
	s_nop 4
	v_lshrrev_b16_e32 v18, 8, v10
	v_cmp_ne_u16_e32 vcc, 0, v18
	v_mov_b32_e32 v20, 0
	v_mov_b32_e32 v19, 0
	s_and_saveexec_b64 s[10:11], vcc
	s_cbranch_execz .LBB846_509
; %bb.504:
	s_movk_i32 s7, 0x80
	v_cmp_ne_u16_e32 vcc, s7, v18
	v_mov_b32_e32 v19, 0xffff8000
	s_and_saveexec_b64 s[12:13], vcc
	s_cbranch_execz .LBB846_508
; %bb.505:
	s_movk_i32 s7, 0x7f
	v_and_b32_e32 v21, 0x7f, v18
	v_cmp_ne_u32_e32 vcc, s7, v21
	v_mov_b32_e32 v19, 0x7f80
	s_and_saveexec_b64 s[14:15], vcc
	s_cbranch_execz .LBB846_507
; %bb.506:
	v_and_b32_e32 v23, 7, v18
	v_ffbh_u32_e32 v19, v23
	v_min_u32_e32 v27, 32, v19
	v_subrev_u32_e32 v19, 28, v27
	v_lshlrev_b64 v[18:19], v19, v[18:19]
	v_lshrrev_b32_e32 v25, 3, v21
	v_sub_u32_e32 v19, 29, v27
	v_and_b32_e32 v18, 7, v18
	v_cmp_gt_u32_e32 vcc, 8, v21
	v_cndmask_b32_e32 v19, v25, v19, vcc
	v_cndmask_b32_e32 v18, v23, v18, vcc
	v_lshlrev_b32_e32 v21, 16, v10
	v_bfrev_b32_e32 v23, 60
	v_lshlrev_b32_e32 v18, 20, v18
	v_and_b32_e32 v21, 0x80000000, v21
	v_lshl_add_u32 v19, v19, 23, v23
	v_or3_b32 v18, v21, v19, v18
	v_lshrrev_b32_e32 v19, 16, v18
.LBB846_507:
	s_or_b64 exec, exec, s[14:15]
.LBB846_508:
	s_or_b64 exec, exec, s[12:13]
.LBB846_509:
	s_or_b64 exec, exec, s[10:11]
	s_movk_i32 s7, 0xff
	v_and_b32_sdwa v21, v10, s7 dst_sel:DWORD dst_unused:UNUSED_PAD src0_sel:WORD_1 src1_sel:DWORD
	v_lshrrev_b32_e32 v18, 16, v10
	v_cmp_ne_u16_e32 vcc, 0, v21
	s_and_saveexec_b64 s[10:11], vcc
	s_cbranch_execz .LBB846_515
; %bb.510:
	s_movk_i32 s7, 0x80
	v_cmp_ne_u16_e32 vcc, s7, v21
	v_mov_b32_e32 v20, 0xffff8000
	s_and_saveexec_b64 s[12:13], vcc
	s_cbranch_execz .LBB846_514
; %bb.511:
	v_bfe_u32 v21, v10, 16, 7
	s_movk_i32 s7, 0x7f
	v_cmp_ne_u32_e32 vcc, s7, v21
	v_mov_b32_e32 v20, 0x7f80
	s_and_saveexec_b64 s[14:15], vcc
	s_cbranch_execz .LBB846_513
; %bb.512:
	v_and_b32_e32 v20, 7, v18
	v_ffbh_u32_e32 v25, v20
	v_min_u32_e32 v25, 32, v25
	v_subrev_u32_e32 v27, 28, v25
	v_lshlrev_b64 v[28:29], v27, v[18:19]
	v_lshrrev_b32_e32 v23, 3, v21
	v_sub_u32_e32 v18, 29, v25
	v_and_b32_e32 v25, 7, v28
	v_cmp_gt_u32_e32 vcc, 8, v21
	v_mov_b32_e32 v21, 24
	v_cndmask_b32_e32 v18, v23, v18, vcc
	v_cndmask_b32_e32 v20, v20, v25, vcc
	v_lshlrev_b32_sdwa v21, v21, v10 dst_sel:DWORD dst_unused:UNUSED_PAD src0_sel:DWORD src1_sel:WORD_1
	v_bfrev_b32_e32 v23, 60
	v_lshlrev_b32_e32 v20, 20, v20
	v_and_b32_e32 v21, 0x80000000, v21
	v_lshl_add_u32 v18, v18, 23, v23
	v_or3_b32 v18, v21, v18, v20
	v_lshrrev_b32_e32 v20, 16, v18
.LBB846_513:
	s_or_b64 exec, exec, s[14:15]
.LBB846_514:
	s_or_b64 exec, exec, s[12:13]
.LBB846_515:
	s_or_b64 exec, exec, s[10:11]
	s_mov_b32 s7, 0xffffff
	v_cmp_lt_u32_e32 vcc, s7, v10
	v_mov_b32_e32 v21, 0
	v_mov_b32_e32 v23, 0
	s_and_saveexec_b64 s[10:11], vcc
	s_cbranch_execz .LBB846_521
; %bb.516:
	v_lshrrev_b32_e32 v18, 24, v10
	s_movk_i32 s7, 0x80
	v_cmp_ne_u32_e32 vcc, s7, v18
	v_mov_b32_e32 v23, 0xffff8000
	s_and_saveexec_b64 s[12:13], vcc
	s_cbranch_execz .LBB846_520
; %bb.517:
	v_bfe_u32 v10, v10, 24, 7
	s_movk_i32 s7, 0x7f
	v_cmp_ne_u32_e32 vcc, s7, v10
	v_mov_b32_e32 v23, 0x7f80
	s_and_saveexec_b64 s[14:15], vcc
	s_cbranch_execz .LBB846_519
; %bb.518:
	v_and_b32_e32 v23, 7, v18
	v_ffbh_u32_e32 v27, v23
	v_min_u32_e32 v27, 32, v27
	v_subrev_u32_e32 v28, 28, v27
	v_lshlrev_b64 v[28:29], v28, v[18:19]
	v_lshrrev_b32_e32 v25, 3, v10
	v_sub_u32_e32 v27, 29, v27
	v_and_b32_e32 v28, 7, v28
	v_cmp_gt_u32_e32 vcc, 8, v10
	v_cndmask_b32_e32 v10, v25, v27, vcc
	v_cndmask_b32_e32 v23, v23, v28, vcc
	v_lshlrev_b32_e32 v18, 24, v18
	v_bfrev_b32_e32 v25, 60
	v_lshlrev_b32_e32 v23, 20, v23
	v_and_b32_e32 v18, 0x80000000, v18
	v_lshl_add_u32 v10, v10, 23, v25
	v_or3_b32 v10, v18, v10, v23
	v_lshrrev_b32_e32 v23, 16, v10
.LBB846_519:
	s_or_b64 exec, exec, s[14:15]
.LBB846_520:
	s_or_b64 exec, exec, s[12:13]
.LBB846_521:
	s_or_b64 exec, exec, s[10:11]
	v_cmp_ne_u16_sdwa s[12:13], v11, v21 src0_sel:BYTE_0 src1_sel:DWORD
	s_and_saveexec_b64 s[10:11], s[12:13]
	s_cbranch_execz .LBB846_527
; %bb.522:
	s_movk_i32 s7, 0x80
	v_cmp_ne_u16_sdwa s[14:15], v11, s7 src0_sel:BYTE_0 src1_sel:DWORD
	v_mov_b32_e32 v21, 0xffff8000
	s_and_saveexec_b64 s[12:13], s[14:15]
	s_cbranch_execz .LBB846_526
; %bb.523:
	s_movk_i32 s7, 0x7f
	v_and_b32_e32 v10, 0x7f, v11
	v_cmp_ne_u32_e32 vcc, s7, v10
	v_mov_b32_e32 v21, 0x7f80
	s_and_saveexec_b64 s[14:15], vcc
	s_cbranch_execz .LBB846_525
; %bb.524:
	v_and_b32_e32 v21, 7, v11
	v_ffbh_u32_e32 v27, v21
	v_min_u32_e32 v27, 32, v27
	v_mov_b32_e32 v18, v11
	v_subrev_u32_e32 v28, 28, v27
	v_lshlrev_b64 v[28:29], v28, v[18:19]
	v_lshrrev_b32_e32 v25, 3, v10
	v_sub_u32_e32 v18, 29, v27
	v_and_b32_e32 v27, 7, v28
	v_cmp_gt_u32_e32 vcc, 8, v10
	v_cndmask_b32_e32 v10, v25, v18, vcc
	v_cndmask_b32_e32 v18, v21, v27, vcc
	v_lshlrev_b32_e32 v21, 24, v11
	v_bfrev_b32_e32 v25, 60
	v_lshlrev_b32_e32 v18, 20, v18
	v_and_b32_e32 v21, 0x80000000, v21
	v_lshl_add_u32 v10, v10, 23, v25
	v_or3_b32 v10, v21, v10, v18
	v_lshrrev_b32_e32 v21, 16, v10
.LBB846_525:
	s_or_b64 exec, exec, s[14:15]
.LBB846_526:
	s_or_b64 exec, exec, s[12:13]
.LBB846_527:
	s_or_b64 exec, exec, s[10:11]
	v_lshrrev_b16_e32 v10, 8, v11
	v_cmp_ne_u16_e32 vcc, 0, v10
	v_mov_b32_e32 v27, 0
	v_mov_b32_e32 v25, 0
	s_and_saveexec_b64 s[10:11], vcc
	s_cbranch_execz .LBB846_533
; %bb.528:
	s_movk_i32 s7, 0x80
	v_cmp_ne_u16_e32 vcc, s7, v10
	v_mov_b32_e32 v25, 0xffff8000
	s_and_saveexec_b64 s[12:13], vcc
	s_cbranch_execz .LBB846_532
; %bb.529:
	s_movk_i32 s7, 0x7f
	v_and_b32_e32 v18, 0x7f, v10
	v_cmp_ne_u32_e32 vcc, s7, v18
	v_mov_b32_e32 v25, 0x7f80
	s_and_saveexec_b64 s[14:15], vcc
	s_cbranch_execz .LBB846_531
; %bb.530:
	v_and_b32_e32 v25, 7, v10
	v_ffbh_u32_e32 v28, v25
	v_min_u32_e32 v31, 32, v28
	v_subrev_u32_e32 v28, 28, v31
	v_lshlrev_b64 v[28:29], v28, v[10:11]
	v_lshrrev_b32_e32 v30, 3, v18
	v_sub_u32_e32 v10, 29, v31
	v_and_b32_e32 v28, 7, v28
	v_cmp_gt_u32_e32 vcc, 8, v18
	v_cndmask_b32_e32 v10, v30, v10, vcc
	v_cndmask_b32_e32 v18, v25, v28, vcc
	v_lshlrev_b32_e32 v25, 16, v11
	v_bfrev_b32_e32 v28, 60
	v_lshlrev_b32_e32 v18, 20, v18
	v_and_b32_e32 v25, 0x80000000, v25
	v_lshl_add_u32 v10, v10, 23, v28
	v_or3_b32 v10, v25, v10, v18
	v_lshrrev_b32_e32 v25, 16, v10
.LBB846_531:
	s_or_b64 exec, exec, s[14:15]
.LBB846_532:
	s_or_b64 exec, exec, s[12:13]
.LBB846_533:
	s_or_b64 exec, exec, s[10:11]
	s_movk_i32 s7, 0xff
	v_and_b32_sdwa v18, v11, s7 dst_sel:DWORD dst_unused:UNUSED_PAD src0_sel:WORD_1 src1_sel:DWORD
	v_lshrrev_b32_e32 v10, 16, v11
	v_cmp_ne_u16_e32 vcc, 0, v18
	s_and_saveexec_b64 s[10:11], vcc
	s_cbranch_execz .LBB846_539
; %bb.534:
	s_movk_i32 s7, 0x80
	v_cmp_ne_u16_e32 vcc, s7, v18
	v_mov_b32_e32 v27, 0xffff8000
	s_and_saveexec_b64 s[12:13], vcc
	s_cbranch_execz .LBB846_538
; %bb.535:
	v_bfe_u32 v18, v11, 16, 7
	s_movk_i32 s7, 0x7f
	v_cmp_ne_u32_e32 vcc, s7, v18
	v_mov_b32_e32 v27, 0x7f80
	s_and_saveexec_b64 s[14:15], vcc
	s_cbranch_execz .LBB846_537
; %bb.536:
	v_and_b32_e32 v27, 7, v10
	v_ffbh_u32_e32 v28, v27
	v_min_u32_e32 v31, 32, v28
	v_subrev_u32_e32 v28, 28, v31
	v_lshlrev_b64 v[28:29], v28, v[10:11]
	v_and_b32_e32 v28, 7, v28
	v_cmp_gt_u32_e32 vcc, 8, v18
	v_lshrrev_b32_e32 v30, 3, v18
	v_sub_u32_e32 v10, 29, v31
	v_cndmask_b32_e32 v18, v27, v28, vcc
	v_mov_b32_e32 v27, 24
	v_cndmask_b32_e32 v10, v30, v10, vcc
	v_lshlrev_b32_sdwa v27, v27, v11 dst_sel:DWORD dst_unused:UNUSED_PAD src0_sel:DWORD src1_sel:WORD_1
	v_bfrev_b32_e32 v28, 60
	v_lshlrev_b32_e32 v18, 20, v18
	v_and_b32_e32 v27, 0x80000000, v27
	v_lshl_add_u32 v10, v10, 23, v28
	v_or3_b32 v10, v27, v10, v18
	v_lshrrev_b32_e32 v27, 16, v10
.LBB846_537:
	s_or_b64 exec, exec, s[14:15]
.LBB846_538:
	s_or_b64 exec, exec, s[12:13]
.LBB846_539:
	s_or_b64 exec, exec, s[10:11]
	s_mov_b32 s7, 0xffffff
	v_cmp_lt_u32_e32 vcc, s7, v11
	v_mov_b32_e32 v18, 0
	v_mov_b32_e32 v28, 0
	s_and_saveexec_b64 s[10:11], vcc
	s_cbranch_execz .LBB846_545
; %bb.540:
	v_lshrrev_b32_e32 v10, 24, v11
	s_movk_i32 s7, 0x80
	v_cmp_ne_u32_e32 vcc, s7, v10
	v_mov_b32_e32 v28, 0xffff8000
	s_and_saveexec_b64 s[12:13], vcc
	s_cbranch_execz .LBB846_544
; %bb.541:
	v_bfe_u32 v11, v11, 24, 7
	s_movk_i32 s7, 0x7f
	v_cmp_ne_u32_e32 vcc, s7, v11
	v_mov_b32_e32 v28, 0x7f80
	s_and_saveexec_b64 s[14:15], vcc
	s_cbranch_execz .LBB846_543
; %bb.542:
	v_and_b32_e32 v30, 7, v10
	v_ffbh_u32_e32 v28, v30
	v_min_u32_e32 v32, 32, v28
	v_subrev_u32_e32 v28, 28, v32
	v_lshlrev_b64 v[28:29], v28, v[10:11]
	v_lshrrev_b32_e32 v31, 3, v11
	v_sub_u32_e32 v29, 29, v32
	v_and_b32_e32 v28, 7, v28
	v_cmp_gt_u32_e32 vcc, 8, v11
	v_cndmask_b32_e32 v11, v31, v29, vcc
	v_cndmask_b32_e32 v28, v30, v28, vcc
	v_lshlrev_b32_e32 v10, 24, v10
	v_bfrev_b32_e32 v29, 60
	v_lshlrev_b32_e32 v28, 20, v28
	v_and_b32_e32 v10, 0x80000000, v10
	v_lshl_add_u32 v11, v11, 23, v29
	v_or3_b32 v10, v10, v11, v28
	v_lshrrev_b32_e32 v28, 16, v10
.LBB846_543:
	s_or_b64 exec, exec, s[14:15]
.LBB846_544:
	s_or_b64 exec, exec, s[12:13]
.LBB846_545:
	s_or_b64 exec, exec, s[10:11]
	s_mov_b32 s7, 0x5040100
	v_perm_b32 v11, v23, v20, s7
	v_perm_b32 v10, v19, v24, s7
	ds_read_b128 v[30:33], v22 offset:2048
	v_cmp_ne_u16_sdwa s[12:13], v12, v18 src0_sel:BYTE_0 src1_sel:DWORD
	s_waitcnt lgkmcnt(0)
	v_mfma_f32_16x16x16bf16_1k v[14:17], v[10:11], v[30:31], v[14:17]
	v_perm_b32 v11, v28, v27, s7
	v_perm_b32 v10, v25, v21, s7
	s_nop 1
	v_mfma_f32_16x16x16bf16_1k v[14:17], v[10:11], v[32:33], v[14:17]
	s_and_saveexec_b64 s[10:11], s[12:13]
	s_cbranch_execz .LBB846_551
; %bb.546:
	s_movk_i32 s7, 0x80
	v_cmp_ne_u16_sdwa s[14:15], v12, s7 src0_sel:BYTE_0 src1_sel:DWORD
	v_mov_b32_e32 v18, 0xffff8000
	s_and_saveexec_b64 s[12:13], s[14:15]
	s_cbranch_execz .LBB846_550
; %bb.547:
	s_movk_i32 s7, 0x7f
	v_and_b32_e32 v10, 0x7f, v12
	v_cmp_ne_u32_e32 vcc, s7, v10
	v_mov_b32_e32 v18, 0x7f80
	s_and_saveexec_b64 s[14:15], vcc
	s_cbranch_execz .LBB846_549
; %bb.548:
	v_and_b32_e32 v11, 7, v12
	v_ffbh_u32_e32 v18, v11
	v_min_u32_e32 v21, 32, v18
	v_subrev_u32_e32 v18, 28, v21
	v_lshlrev_b64 v[18:19], v18, v[12:13]
	v_lshrrev_b32_e32 v20, 3, v10
	v_sub_u32_e32 v19, 29, v21
	v_and_b32_e32 v18, 7, v18
	v_cmp_gt_u32_e32 vcc, 8, v10
	v_cndmask_b32_e32 v10, v20, v19, vcc
	v_cndmask_b32_e32 v11, v11, v18, vcc
	v_lshlrev_b32_e32 v18, 24, v12
	v_bfrev_b32_e32 v19, 60
	v_lshlrev_b32_e32 v11, 20, v11
	v_and_b32_e32 v18, 0x80000000, v18
	v_lshl_add_u32 v10, v10, 23, v19
	v_or3_b32 v10, v18, v10, v11
	v_lshrrev_b32_e32 v18, 16, v10
.LBB846_549:
	s_or_b64 exec, exec, s[14:15]
.LBB846_550:
	s_or_b64 exec, exec, s[12:13]
.LBB846_551:
	s_or_b64 exec, exec, s[10:11]
	v_lshrrev_b16_e32 v10, 8, v12
	v_cmp_ne_u16_e32 vcc, 0, v10
	v_mov_b32_e32 v20, 0
	v_mov_b32_e32 v11, 0
	s_and_saveexec_b64 s[10:11], vcc
	s_cbranch_execz .LBB846_557
; %bb.552:
	s_movk_i32 s7, 0x80
	v_cmp_ne_u16_e32 vcc, s7, v10
	v_mov_b32_e32 v11, 0xffff8000
	s_and_saveexec_b64 s[12:13], vcc
	s_cbranch_execz .LBB846_556
; %bb.553:
	s_movk_i32 s7, 0x7f
	v_and_b32_e32 v19, 0x7f, v10
	v_cmp_ne_u32_e32 vcc, s7, v19
	v_mov_b32_e32 v11, 0x7f80
	s_and_saveexec_b64 s[14:15], vcc
	s_cbranch_execz .LBB846_555
; %bb.554:
	v_and_b32_e32 v21, 7, v10
	v_ffbh_u32_e32 v11, v21
	v_min_u32_e32 v24, 32, v11
	v_subrev_u32_e32 v11, 28, v24
	v_lshlrev_b64 v[10:11], v11, v[10:11]
	v_lshrrev_b32_e32 v23, 3, v19
	v_sub_u32_e32 v11, 29, v24
	v_and_b32_e32 v10, 7, v10
	v_cmp_gt_u32_e32 vcc, 8, v19
	v_cndmask_b32_e32 v11, v23, v11, vcc
	v_cndmask_b32_e32 v10, v21, v10, vcc
	v_lshlrev_b32_e32 v19, 16, v12
	v_bfrev_b32_e32 v21, 60
	v_lshlrev_b32_e32 v10, 20, v10
	v_and_b32_e32 v19, 0x80000000, v19
	v_lshl_add_u32 v11, v11, 23, v21
	v_or3_b32 v10, v19, v11, v10
	v_lshrrev_b32_e32 v11, 16, v10
.LBB846_555:
	s_or_b64 exec, exec, s[14:15]
.LBB846_556:
	s_or_b64 exec, exec, s[12:13]
.LBB846_557:
	s_or_b64 exec, exec, s[10:11]
	s_movk_i32 s7, 0xff
	v_and_b32_sdwa v19, v12, s7 dst_sel:DWORD dst_unused:UNUSED_PAD src0_sel:WORD_1 src1_sel:DWORD
	v_lshrrev_b32_e32 v10, 16, v12
	v_cmp_ne_u16_e32 vcc, 0, v19
	s_and_saveexec_b64 s[10:11], vcc
	s_cbranch_execz .LBB846_563
; %bb.558:
	s_movk_i32 s7, 0x80
	v_cmp_ne_u16_e32 vcc, s7, v19
	v_mov_b32_e32 v20, 0xffff8000
	s_and_saveexec_b64 s[12:13], vcc
	s_cbranch_execz .LBB846_562
; %bb.559:
	v_bfe_u32 v19, v12, 16, 7
	s_movk_i32 s7, 0x7f
	v_cmp_ne_u32_e32 vcc, s7, v19
	v_mov_b32_e32 v20, 0x7f80
	s_and_saveexec_b64 s[14:15], vcc
	s_cbranch_execz .LBB846_561
; %bb.560:
	v_and_b32_e32 v23, 7, v10
	v_ffbh_u32_e32 v20, v23
	v_min_u32_e32 v25, 32, v20
	v_subrev_u32_e32 v20, 28, v25
	v_lshlrev_b64 v[20:21], v20, v[10:11]
	v_and_b32_e32 v20, 7, v20
	v_cmp_gt_u32_e32 vcc, 8, v19
	v_lshrrev_b32_e32 v24, 3, v19
	v_sub_u32_e32 v10, 29, v25
	v_cndmask_b32_e32 v19, v23, v20, vcc
	v_mov_b32_e32 v20, 24
	v_cndmask_b32_e32 v10, v24, v10, vcc
	v_lshlrev_b32_sdwa v20, v20, v12 dst_sel:DWORD dst_unused:UNUSED_PAD src0_sel:DWORD src1_sel:WORD_1
	v_bfrev_b32_e32 v21, 60
	v_lshlrev_b32_e32 v19, 20, v19
	v_and_b32_e32 v20, 0x80000000, v20
	v_lshl_add_u32 v10, v10, 23, v21
	v_or3_b32 v10, v20, v10, v19
	v_lshrrev_b32_e32 v20, 16, v10
.LBB846_561:
	s_or_b64 exec, exec, s[14:15]
.LBB846_562:
	s_or_b64 exec, exec, s[12:13]
.LBB846_563:
	s_or_b64 exec, exec, s[10:11]
	s_mov_b32 s7, 0xffffff
	v_cmp_lt_u32_e32 vcc, s7, v12
	v_mov_b32_e32 v21, 0
	v_mov_b32_e32 v23, 0
	s_and_saveexec_b64 s[10:11], vcc
	s_cbranch_execz .LBB846_569
; %bb.564:
	v_lshrrev_b32_e32 v10, 24, v12
	s_movk_i32 s7, 0x80
	v_cmp_ne_u32_e32 vcc, s7, v10
	v_mov_b32_e32 v23, 0xffff8000
	s_and_saveexec_b64 s[12:13], vcc
	s_cbranch_execz .LBB846_568
; %bb.565:
	v_bfe_u32 v12, v12, 24, 7
	s_movk_i32 s7, 0x7f
	v_cmp_ne_u32_e32 vcc, s7, v12
	v_mov_b32_e32 v23, 0x7f80
	s_and_saveexec_b64 s[14:15], vcc
	s_cbranch_execz .LBB846_567
; %bb.566:
	v_and_b32_e32 v19, 7, v10
	v_ffbh_u32_e32 v24, v19
	v_min_u32_e32 v27, 32, v24
	v_subrev_u32_e32 v24, 28, v27
	v_lshlrev_b64 v[24:25], v24, v[10:11]
	v_lshrrev_b32_e32 v23, 3, v12
	v_sub_u32_e32 v25, 29, v27
	v_and_b32_e32 v24, 7, v24
	v_cmp_gt_u32_e32 vcc, 8, v12
	v_cndmask_b32_e32 v12, v23, v25, vcc
	v_cndmask_b32_e32 v19, v19, v24, vcc
	v_lshlrev_b32_e32 v10, 24, v10
	v_bfrev_b32_e32 v23, 60
	v_lshlrev_b32_e32 v19, 20, v19
	v_and_b32_e32 v10, 0x80000000, v10
	v_lshl_add_u32 v12, v12, 23, v23
	v_or3_b32 v10, v10, v12, v19
	v_lshrrev_b32_e32 v23, 16, v10
.LBB846_567:
	s_or_b64 exec, exec, s[14:15]
.LBB846_568:
	s_or_b64 exec, exec, s[12:13]
.LBB846_569:
	s_or_b64 exec, exec, s[10:11]
	v_cmp_ne_u16_sdwa s[12:13], v13, v21 src0_sel:BYTE_0 src1_sel:DWORD
	s_and_saveexec_b64 s[10:11], s[12:13]
	s_cbranch_execz .LBB846_575
; %bb.570:
	s_movk_i32 s7, 0x80
	v_cmp_ne_u16_sdwa s[14:15], v13, s7 src0_sel:BYTE_0 src1_sel:DWORD
	v_mov_b32_e32 v21, 0xffff8000
	s_and_saveexec_b64 s[12:13], s[14:15]
	s_cbranch_execz .LBB846_574
; %bb.571:
	s_movk_i32 s7, 0x7f
	v_and_b32_e32 v10, 0x7f, v13
	v_cmp_ne_u32_e32 vcc, s7, v10
	v_mov_b32_e32 v21, 0x7f80
	s_and_saveexec_b64 s[14:15], vcc
	s_cbranch_execz .LBB846_573
; %bb.572:
	v_and_b32_e32 v19, 7, v13
	v_ffbh_u32_e32 v24, v19
	v_min_u32_e32 v27, 32, v24
	v_mov_b32_e32 v12, v13
	v_subrev_u32_e32 v24, 28, v27
	v_lshlrev_b64 v[24:25], v24, v[12:13]
	v_lshrrev_b32_e32 v21, 3, v10
	v_sub_u32_e32 v12, 29, v27
	v_and_b32_e32 v24, 7, v24
	v_cmp_gt_u32_e32 vcc, 8, v10
	v_cndmask_b32_e32 v10, v21, v12, vcc
	v_cndmask_b32_e32 v12, v19, v24, vcc
	v_lshlrev_b32_e32 v19, 24, v13
	v_bfrev_b32_e32 v21, 60
	v_lshlrev_b32_e32 v12, 20, v12
	v_and_b32_e32 v19, 0x80000000, v19
	v_lshl_add_u32 v10, v10, 23, v21
	v_or3_b32 v10, v19, v10, v12
	v_lshrrev_b32_e32 v21, 16, v10
.LBB846_573:
	s_or_b64 exec, exec, s[14:15]
.LBB846_574:
	s_or_b64 exec, exec, s[12:13]
.LBB846_575:
	s_or_b64 exec, exec, s[10:11]
	v_lshrrev_b16_e32 v10, 8, v13
	v_cmp_ne_u16_e32 vcc, 0, v10
	v_mov_b32_e32 v24, 0
	v_mov_b32_e32 v12, 0
	s_and_saveexec_b64 s[10:11], vcc
	s_cbranch_execz .LBB846_581
; %bb.576:
	s_movk_i32 s7, 0x80
	v_cmp_ne_u16_e32 vcc, s7, v10
	v_mov_b32_e32 v12, 0xffff8000
	s_and_saveexec_b64 s[12:13], vcc
	s_cbranch_execz .LBB846_580
; %bb.577:
	s_movk_i32 s7, 0x7f
	v_and_b32_e32 v19, 0x7f, v10
	v_cmp_ne_u32_e32 vcc, s7, v19
	v_mov_b32_e32 v12, 0x7f80
	s_and_saveexec_b64 s[14:15], vcc
	s_cbranch_execz .LBB846_579
; %bb.578:
	v_and_b32_e32 v12, 7, v10
	v_ffbh_u32_e32 v27, v12
	v_min_u32_e32 v27, 32, v27
	v_subrev_u32_e32 v28, 28, v27
	v_lshlrev_b64 v[28:29], v28, v[10:11]
	v_lshrrev_b32_e32 v25, 3, v19
	v_sub_u32_e32 v10, 29, v27
	v_and_b32_e32 v27, 7, v28
	v_cmp_gt_u32_e32 vcc, 8, v19
	v_cndmask_b32_e32 v10, v25, v10, vcc
	v_cndmask_b32_e32 v12, v12, v27, vcc
	v_lshlrev_b32_e32 v19, 16, v13
	v_bfrev_b32_e32 v25, 60
	v_lshlrev_b32_e32 v12, 20, v12
	v_and_b32_e32 v19, 0x80000000, v19
	v_lshl_add_u32 v10, v10, 23, v25
	v_or3_b32 v10, v19, v10, v12
	v_lshrrev_b32_e32 v12, 16, v10
.LBB846_579:
	s_or_b64 exec, exec, s[14:15]
.LBB846_580:
	s_or_b64 exec, exec, s[12:13]
.LBB846_581:
	s_or_b64 exec, exec, s[10:11]
	s_movk_i32 s7, 0xff
	v_and_b32_sdwa v19, v13, s7 dst_sel:DWORD dst_unused:UNUSED_PAD src0_sel:WORD_1 src1_sel:DWORD
	v_lshrrev_b32_e32 v10, 16, v13
	v_cmp_ne_u16_e32 vcc, 0, v19
	s_and_saveexec_b64 s[10:11], vcc
	s_cbranch_execz .LBB846_587
; %bb.582:
	s_movk_i32 s7, 0x80
	v_cmp_ne_u16_e32 vcc, s7, v19
	v_mov_b32_e32 v24, 0xffff8000
	s_and_saveexec_b64 s[12:13], vcc
	s_cbranch_execz .LBB846_586
; %bb.583:
	v_bfe_u32 v19, v13, 16, 7
	s_movk_i32 s7, 0x7f
	v_cmp_ne_u32_e32 vcc, s7, v19
	v_mov_b32_e32 v24, 0x7f80
	s_and_saveexec_b64 s[14:15], vcc
	s_cbranch_execz .LBB846_585
; %bb.584:
	v_and_b32_e32 v27, 7, v10
	v_ffbh_u32_e32 v24, v27
	v_min_u32_e32 v29, 32, v24
	v_subrev_u32_e32 v24, 28, v29
	v_lshlrev_b64 v[24:25], v24, v[10:11]
	v_and_b32_e32 v24, 7, v24
	v_cmp_gt_u32_e32 vcc, 8, v19
	v_lshrrev_b32_e32 v28, 3, v19
	v_sub_u32_e32 v10, 29, v29
	v_cndmask_b32_e32 v19, v27, v24, vcc
	v_mov_b32_e32 v24, 24
	v_cndmask_b32_e32 v10, v28, v10, vcc
	v_lshlrev_b32_sdwa v24, v24, v13 dst_sel:DWORD dst_unused:UNUSED_PAD src0_sel:DWORD src1_sel:WORD_1
	v_bfrev_b32_e32 v25, 60
	v_lshlrev_b32_e32 v19, 20, v19
	v_and_b32_e32 v24, 0x80000000, v24
	v_lshl_add_u32 v10, v10, 23, v25
	v_or3_b32 v10, v24, v10, v19
	v_lshrrev_b32_e32 v24, 16, v10
.LBB846_585:
	s_or_b64 exec, exec, s[14:15]
.LBB846_586:
	s_or_b64 exec, exec, s[12:13]
.LBB846_587:
	s_or_b64 exec, exec, s[10:11]
	s_mov_b32 s7, 0xffffff
	v_cmp_lt_u32_e32 vcc, s7, v13
	v_mov_b32_e32 v19, 0
	v_mov_b32_e32 v25, 0
	s_and_saveexec_b64 s[10:11], vcc
	s_cbranch_execz .LBB846_593
; %bb.588:
	v_lshrrev_b32_e32 v10, 24, v13
	s_movk_i32 s7, 0x80
	v_cmp_ne_u32_e32 vcc, s7, v10
	v_mov_b32_e32 v25, 0xffff8000
	s_and_saveexec_b64 s[12:13], vcc
	s_cbranch_execz .LBB846_592
; %bb.589:
	v_bfe_u32 v13, v13, 24, 7
	s_movk_i32 s7, 0x7f
	v_cmp_ne_u32_e32 vcc, s7, v13
	v_mov_b32_e32 v25, 0x7f80
	s_and_saveexec_b64 s[14:15], vcc
	s_cbranch_execz .LBB846_591
; %bb.590:
	v_and_b32_e32 v25, 7, v10
	v_ffbh_u32_e32 v28, v25
	v_min_u32_e32 v30, 32, v28
	v_subrev_u32_e32 v28, 28, v30
	v_lshlrev_b64 v[28:29], v28, v[10:11]
	v_lshrrev_b32_e32 v27, 3, v13
	v_sub_u32_e32 v29, 29, v30
	v_and_b32_e32 v28, 7, v28
	v_cmp_gt_u32_e32 vcc, 8, v13
	v_cndmask_b32_e32 v13, v27, v29, vcc
	v_cndmask_b32_e32 v25, v25, v28, vcc
	v_lshlrev_b32_e32 v10, 24, v10
	v_bfrev_b32_e32 v27, 60
	v_lshlrev_b32_e32 v25, 20, v25
	v_and_b32_e32 v10, 0x80000000, v10
	v_lshl_add_u32 v13, v13, 23, v27
	v_or3_b32 v10, v10, v13, v25
	v_lshrrev_b32_e32 v25, 16, v10
.LBB846_591:
	s_or_b64 exec, exec, s[14:15]
.LBB846_592:
	s_or_b64 exec, exec, s[12:13]
.LBB846_593:
	s_or_b64 exec, exec, s[10:11]
	s_mov_b32 s7, 0x5040100
	v_perm_b32 v33, v23, v20, s7
	v_perm_b32 v32, v11, v18, s7
	ds_read_b128 v[28:31], v22 offset:2064
	v_perm_b32 v11, v25, v24, s7
	v_perm_b32 v10, v12, v21, s7
	s_waitcnt lgkmcnt(0)
	v_mfma_f32_16x16x16bf16_1k v[14:17], v[32:33], v[28:29], v[14:17]
	s_waitcnt vmcnt(1)
	v_cmp_ne_u16_sdwa s[12:13], v6, v19 src0_sel:BYTE_0 src1_sel:DWORD
	v_mfma_f32_16x16x16bf16_1k v[10:13], v[10:11], v[30:31], v[14:17]
	s_and_saveexec_b64 s[10:11], s[12:13]
	s_cbranch_execz .LBB846_599
; %bb.594:
	s_movk_i32 s7, 0x80
	v_cmp_ne_u16_sdwa s[14:15], v6, s7 src0_sel:BYTE_0 src1_sel:DWORD
	v_mov_b32_e32 v19, 0xffff8000
	s_and_saveexec_b64 s[12:13], s[14:15]
	s_cbranch_execz .LBB846_598
; %bb.595:
	s_movk_i32 s7, 0x7f
	v_and_b32_e32 v14, 0x7f, v6
	v_cmp_ne_u32_e32 vcc, s7, v14
	v_mov_b32_e32 v19, 0x7f80
	s_and_saveexec_b64 s[14:15], vcc
	s_cbranch_execz .LBB846_597
; %bb.596:
	v_and_b32_e32 v15, 7, v6
	v_ffbh_u32_e32 v16, v15
	v_min_u32_e32 v19, 32, v16
	v_subrev_u32_e32 v16, 28, v19
	v_lshlrev_b64 v[16:17], v16, v[6:7]
	v_lshrrev_b32_e32 v18, 3, v14
	v_sub_u32_e32 v17, 29, v19
	v_and_b32_e32 v16, 7, v16
	v_cmp_gt_u32_e32 vcc, 8, v14
	v_cndmask_b32_e32 v14, v18, v17, vcc
	v_cndmask_b32_e32 v15, v15, v16, vcc
	v_lshlrev_b32_e32 v16, 24, v6
	v_bfrev_b32_e32 v17, 60
	v_lshlrev_b32_e32 v15, 20, v15
	v_and_b32_e32 v16, 0x80000000, v16
	v_lshl_add_u32 v14, v14, 23, v17
	v_or3_b32 v14, v16, v14, v15
	v_lshrrev_b32_e32 v19, 16, v14
.LBB846_597:
	s_or_b64 exec, exec, s[14:15]
.LBB846_598:
	s_or_b64 exec, exec, s[12:13]
.LBB846_599:
	s_or_b64 exec, exec, s[10:11]
	s_nop 4
	v_lshrrev_b16_e32 v14, 8, v6
	v_cmp_ne_u16_e32 vcc, 0, v14
	v_mov_b32_e32 v16, 0
	v_mov_b32_e32 v15, 0
	s_and_saveexec_b64 s[10:11], vcc
	s_cbranch_execz .LBB846_605
; %bb.600:
	s_movk_i32 s7, 0x80
	v_cmp_ne_u16_e32 vcc, s7, v14
	v_mov_b32_e32 v15, 0xffff8000
	s_and_saveexec_b64 s[12:13], vcc
	s_cbranch_execz .LBB846_604
; %bb.601:
	s_movk_i32 s7, 0x7f
	v_and_b32_e32 v17, 0x7f, v14
	v_cmp_ne_u32_e32 vcc, s7, v17
	v_mov_b32_e32 v15, 0x7f80
	s_and_saveexec_b64 s[14:15], vcc
	s_cbranch_execz .LBB846_603
; %bb.602:
	v_and_b32_e32 v18, 7, v14
	v_ffbh_u32_e32 v15, v18
	v_min_u32_e32 v21, 32, v15
	v_subrev_u32_e32 v15, 28, v21
	v_lshlrev_b64 v[14:15], v15, v[14:15]
	v_lshrrev_b32_e32 v20, 3, v17
	v_sub_u32_e32 v15, 29, v21
	v_and_b32_e32 v14, 7, v14
	v_cmp_gt_u32_e32 vcc, 8, v17
	v_cndmask_b32_e32 v15, v20, v15, vcc
	v_cndmask_b32_e32 v14, v18, v14, vcc
	v_lshlrev_b32_e32 v17, 16, v6
	v_bfrev_b32_e32 v18, 60
	v_lshlrev_b32_e32 v14, 20, v14
	v_and_b32_e32 v17, 0x80000000, v17
	v_lshl_add_u32 v15, v15, 23, v18
	v_or3_b32 v14, v17, v15, v14
	v_lshrrev_b32_e32 v15, 16, v14
.LBB846_603:
	s_or_b64 exec, exec, s[14:15]
.LBB846_604:
	s_or_b64 exec, exec, s[12:13]
.LBB846_605:
	s_or_b64 exec, exec, s[10:11]
	s_movk_i32 s7, 0xff
	v_and_b32_sdwa v17, v6, s7 dst_sel:DWORD dst_unused:UNUSED_PAD src0_sel:WORD_1 src1_sel:DWORD
	v_lshrrev_b32_e32 v14, 16, v6
	v_cmp_ne_u16_e32 vcc, 0, v17
	s_and_saveexec_b64 s[10:11], vcc
	s_cbranch_execz .LBB846_611
; %bb.606:
	s_movk_i32 s7, 0x80
	v_cmp_ne_u16_e32 vcc, s7, v17
	v_mov_b32_e32 v16, 0xffff8000
	s_and_saveexec_b64 s[12:13], vcc
	s_cbranch_execz .LBB846_610
; %bb.607:
	v_bfe_u32 v17, v6, 16, 7
	s_movk_i32 s7, 0x7f
	v_cmp_ne_u32_e32 vcc, s7, v17
	v_mov_b32_e32 v16, 0x7f80
	s_and_saveexec_b64 s[14:15], vcc
	s_cbranch_execz .LBB846_609
; %bb.608:
	v_and_b32_e32 v16, 7, v14
	v_ffbh_u32_e32 v20, v16
	v_min_u32_e32 v23, 32, v20
	v_subrev_u32_e32 v20, 28, v23
	v_lshlrev_b64 v[20:21], v20, v[14:15]
	v_lshrrev_b32_e32 v18, 3, v17
	v_sub_u32_e32 v14, 29, v23
	v_and_b32_e32 v20, 7, v20
	v_cmp_gt_u32_e32 vcc, 8, v17
	v_mov_b32_e32 v17, 24
	v_cndmask_b32_e32 v14, v18, v14, vcc
	v_cndmask_b32_e32 v16, v16, v20, vcc
	v_lshlrev_b32_sdwa v17, v17, v6 dst_sel:DWORD dst_unused:UNUSED_PAD src0_sel:DWORD src1_sel:WORD_1
	v_bfrev_b32_e32 v18, 60
	v_lshlrev_b32_e32 v16, 20, v16
	v_and_b32_e32 v17, 0x80000000, v17
	v_lshl_add_u32 v14, v14, 23, v18
	v_or3_b32 v14, v17, v14, v16
	v_lshrrev_b32_e32 v16, 16, v14
.LBB846_609:
	s_or_b64 exec, exec, s[14:15]
.LBB846_610:
	s_or_b64 exec, exec, s[12:13]
.LBB846_611:
	s_or_b64 exec, exec, s[10:11]
	s_mov_b32 s7, 0xffffff
	v_cmp_lt_u32_e32 vcc, s7, v6
	v_mov_b32_e32 v17, 0
	v_mov_b32_e32 v18, 0
	s_and_saveexec_b64 s[10:11], vcc
	s_cbranch_execz .LBB846_617
; %bb.612:
	v_lshrrev_b32_e32 v14, 24, v6
	s_movk_i32 s7, 0x80
	v_cmp_ne_u32_e32 vcc, s7, v14
	v_mov_b32_e32 v18, 0xffff8000
	s_and_saveexec_b64 s[12:13], vcc
	s_cbranch_execz .LBB846_616
; %bb.613:
	v_bfe_u32 v6, v6, 24, 7
	s_movk_i32 s7, 0x7f
	v_cmp_ne_u32_e32 vcc, s7, v6
	v_mov_b32_e32 v18, 0x7f80
	s_and_saveexec_b64 s[14:15], vcc
	s_cbranch_execz .LBB846_615
; %bb.614:
	v_and_b32_e32 v18, 7, v14
	v_ffbh_u32_e32 v20, v18
	v_min_u32_e32 v24, 32, v20
	v_subrev_u32_e32 v20, 28, v24
	v_lshlrev_b64 v[20:21], v20, v[14:15]
	v_lshrrev_b32_e32 v23, 3, v6
	v_sub_u32_e32 v21, 29, v24
	v_and_b32_e32 v20, 7, v20
	v_cmp_gt_u32_e32 vcc, 8, v6
	v_cndmask_b32_e32 v6, v23, v21, vcc
	v_cndmask_b32_e32 v18, v18, v20, vcc
	v_lshlrev_b32_e32 v14, 24, v14
	v_bfrev_b32_e32 v20, 60
	v_lshlrev_b32_e32 v18, 20, v18
	v_and_b32_e32 v14, 0x80000000, v14
	v_lshl_add_u32 v6, v6, 23, v20
	v_or3_b32 v6, v14, v6, v18
	v_lshrrev_b32_e32 v18, 16, v6
.LBB846_615:
	s_or_b64 exec, exec, s[14:15]
.LBB846_616:
	s_or_b64 exec, exec, s[12:13]
.LBB846_617:
	s_or_b64 exec, exec, s[10:11]
	v_cmp_ne_u16_sdwa s[12:13], v7, v17 src0_sel:BYTE_0 src1_sel:DWORD
	s_and_saveexec_b64 s[10:11], s[12:13]
	s_cbranch_execz .LBB846_623
; %bb.618:
	s_movk_i32 s7, 0x80
	v_cmp_ne_u16_sdwa s[14:15], v7, s7 src0_sel:BYTE_0 src1_sel:DWORD
	v_mov_b32_e32 v17, 0xffff8000
	s_and_saveexec_b64 s[12:13], s[14:15]
	s_cbranch_execz .LBB846_622
; %bb.619:
	s_movk_i32 s7, 0x7f
	v_and_b32_e32 v6, 0x7f, v7
	v_cmp_ne_u32_e32 vcc, s7, v6
	v_mov_b32_e32 v17, 0x7f80
	s_and_saveexec_b64 s[14:15], vcc
	s_cbranch_execz .LBB846_621
; %bb.620:
	v_and_b32_e32 v17, 7, v7
	v_ffbh_u32_e32 v20, v17
	v_min_u32_e32 v24, 32, v20
	v_mov_b32_e32 v14, v7
	v_subrev_u32_e32 v20, 28, v24
	v_lshlrev_b64 v[20:21], v20, v[14:15]
	v_lshrrev_b32_e32 v23, 3, v6
	v_sub_u32_e32 v14, 29, v24
	v_and_b32_e32 v20, 7, v20
	v_cmp_gt_u32_e32 vcc, 8, v6
	v_cndmask_b32_e32 v6, v23, v14, vcc
	v_cndmask_b32_e32 v14, v17, v20, vcc
	v_lshlrev_b32_e32 v17, 24, v7
	v_bfrev_b32_e32 v20, 60
	v_lshlrev_b32_e32 v14, 20, v14
	v_and_b32_e32 v17, 0x80000000, v17
	v_lshl_add_u32 v6, v6, 23, v20
	v_or3_b32 v6, v17, v6, v14
	v_lshrrev_b32_e32 v17, 16, v6
.LBB846_621:
	s_or_b64 exec, exec, s[14:15]
.LBB846_622:
	s_or_b64 exec, exec, s[12:13]
.LBB846_623:
	s_or_b64 exec, exec, s[10:11]
	v_lshrrev_b16_e32 v6, 8, v7
	v_cmp_ne_u16_e32 vcc, 0, v6
	v_mov_b32_e32 v21, 0
	v_mov_b32_e32 v20, 0
	s_and_saveexec_b64 s[10:11], vcc
	s_cbranch_execz .LBB846_629
; %bb.624:
	s_movk_i32 s7, 0x80
	v_cmp_ne_u16_e32 vcc, s7, v6
	v_mov_b32_e32 v20, 0xffff8000
	s_and_saveexec_b64 s[12:13], vcc
	s_cbranch_execz .LBB846_628
; %bb.625:
	s_movk_i32 s7, 0x7f
	v_and_b32_e32 v14, 0x7f, v6
	v_cmp_ne_u32_e32 vcc, s7, v14
	v_mov_b32_e32 v20, 0x7f80
	s_and_saveexec_b64 s[14:15], vcc
	s_cbranch_execz .LBB846_627
; %bb.626:
	v_and_b32_e32 v20, 7, v6
	v_ffbh_u32_e32 v24, v20
	v_min_u32_e32 v27, 32, v24
	v_subrev_u32_e32 v24, 28, v27
	v_lshlrev_b64 v[24:25], v24, v[6:7]
	v_lshrrev_b32_e32 v23, 3, v14
	v_sub_u32_e32 v6, 29, v27
	v_and_b32_e32 v24, 7, v24
	v_cmp_gt_u32_e32 vcc, 8, v14
	v_cndmask_b32_e32 v6, v23, v6, vcc
	v_cndmask_b32_e32 v14, v20, v24, vcc
	v_lshlrev_b32_e32 v20, 16, v7
	v_bfrev_b32_e32 v23, 60
	v_lshlrev_b32_e32 v14, 20, v14
	v_and_b32_e32 v20, 0x80000000, v20
	v_lshl_add_u32 v6, v6, 23, v23
	v_or3_b32 v6, v20, v6, v14
	v_lshrrev_b32_e32 v20, 16, v6
.LBB846_627:
	s_or_b64 exec, exec, s[14:15]
.LBB846_628:
	s_or_b64 exec, exec, s[12:13]
.LBB846_629:
	s_or_b64 exec, exec, s[10:11]
	s_movk_i32 s7, 0xff
	v_and_b32_sdwa v14, v7, s7 dst_sel:DWORD dst_unused:UNUSED_PAD src0_sel:WORD_1 src1_sel:DWORD
	v_lshrrev_b32_e32 v6, 16, v7
	v_cmp_ne_u16_e32 vcc, 0, v14
	s_and_saveexec_b64 s[10:11], vcc
	s_cbranch_execz .LBB846_635
; %bb.630:
	s_movk_i32 s7, 0x80
	v_cmp_ne_u16_e32 vcc, s7, v14
	v_mov_b32_e32 v21, 0xffff8000
	s_and_saveexec_b64 s[12:13], vcc
	s_cbranch_execz .LBB846_634
; %bb.631:
	v_bfe_u32 v14, v7, 16, 7
	s_movk_i32 s7, 0x7f
	v_cmp_ne_u32_e32 vcc, s7, v14
	v_mov_b32_e32 v21, 0x7f80
	s_and_saveexec_b64 s[14:15], vcc
	s_cbranch_execz .LBB846_633
; %bb.632:
	v_and_b32_e32 v21, 7, v6
	v_ffbh_u32_e32 v24, v21
	v_min_u32_e32 v27, 32, v24
	v_subrev_u32_e32 v24, 28, v27
	v_lshlrev_b64 v[24:25], v24, v[6:7]
	v_and_b32_e32 v24, 7, v24
	v_cmp_gt_u32_e32 vcc, 8, v14
	v_lshrrev_b32_e32 v23, 3, v14
	v_sub_u32_e32 v6, 29, v27
	v_cndmask_b32_e32 v14, v21, v24, vcc
	v_mov_b32_e32 v21, 24
	v_cndmask_b32_e32 v6, v23, v6, vcc
	v_lshlrev_b32_sdwa v21, v21, v7 dst_sel:DWORD dst_unused:UNUSED_PAD src0_sel:DWORD src1_sel:WORD_1
	v_bfrev_b32_e32 v23, 60
	v_lshlrev_b32_e32 v14, 20, v14
	v_and_b32_e32 v21, 0x80000000, v21
	v_lshl_add_u32 v6, v6, 23, v23
	v_or3_b32 v6, v21, v6, v14
	v_lshrrev_b32_e32 v21, 16, v6
.LBB846_633:
	s_or_b64 exec, exec, s[14:15]
.LBB846_634:
	s_or_b64 exec, exec, s[12:13]
.LBB846_635:
	s_or_b64 exec, exec, s[10:11]
	s_mov_b32 s7, 0xffffff
	v_cmp_lt_u32_e32 vcc, s7, v7
	v_mov_b32_e32 v14, 0
	v_mov_b32_e32 v23, 0
	s_and_saveexec_b64 s[10:11], vcc
	s_cbranch_execz .LBB846_641
; %bb.636:
	v_lshrrev_b32_e32 v6, 24, v7
	s_movk_i32 s7, 0x80
	v_cmp_ne_u32_e32 vcc, s7, v6
	v_mov_b32_e32 v23, 0xffff8000
	s_and_saveexec_b64 s[12:13], vcc
	s_cbranch_execz .LBB846_640
; %bb.637:
	v_bfe_u32 v7, v7, 24, 7
	s_movk_i32 s7, 0x7f
	v_cmp_ne_u32_e32 vcc, s7, v7
	v_mov_b32_e32 v23, 0x7f80
	s_and_saveexec_b64 s[14:15], vcc
	s_cbranch_execz .LBB846_639
; %bb.638:
	v_and_b32_e32 v23, 7, v6
	v_ffbh_u32_e32 v24, v23
	v_min_u32_e32 v28, 32, v24
	v_subrev_u32_e32 v24, 28, v28
	v_lshlrev_b64 v[24:25], v24, v[6:7]
	v_lshrrev_b32_e32 v27, 3, v7
	v_sub_u32_e32 v25, 29, v28
	v_and_b32_e32 v24, 7, v24
	v_cmp_gt_u32_e32 vcc, 8, v7
	v_cndmask_b32_e32 v7, v27, v25, vcc
	v_cndmask_b32_e32 v23, v23, v24, vcc
	v_lshlrev_b32_e32 v6, 24, v6
	v_bfrev_b32_e32 v24, 60
	v_lshlrev_b32_e32 v23, 20, v23
	v_and_b32_e32 v6, 0x80000000, v6
	v_lshl_add_u32 v7, v7, 23, v24
	v_or3_b32 v6, v6, v7, v23
	v_lshrrev_b32_e32 v23, 16, v6
.LBB846_639:
	s_or_b64 exec, exec, s[14:15]
.LBB846_640:
	s_or_b64 exec, exec, s[12:13]
.LBB846_641:
	s_or_b64 exec, exec, s[10:11]
	s_mov_b32 s7, 0x5040100
	v_perm_b32 v7, v18, v16, s7
	v_perm_b32 v6, v15, v19, s7
	ds_read_b128 v[28:31], v22 offset:4096
	v_cmp_ne_u16_sdwa s[12:13], v8, v14 src0_sel:BYTE_0 src1_sel:DWORD
	s_waitcnt lgkmcnt(0)
	v_mfma_f32_16x16x16bf16_1k v[10:13], v[6:7], v[28:29], v[10:13]
	v_perm_b32 v7, v23, v21, s7
	v_perm_b32 v6, v20, v17, s7
	s_nop 1
	v_mfma_f32_16x16x16bf16_1k v[10:13], v[6:7], v[30:31], v[10:13]
	s_and_saveexec_b64 s[10:11], s[12:13]
	s_cbranch_execz .LBB846_647
; %bb.642:
	s_movk_i32 s7, 0x80
	v_cmp_ne_u16_sdwa s[14:15], v8, s7 src0_sel:BYTE_0 src1_sel:DWORD
	v_mov_b32_e32 v14, 0xffff8000
	s_and_saveexec_b64 s[12:13], s[14:15]
	s_cbranch_execz .LBB846_646
; %bb.643:
	s_movk_i32 s7, 0x7f
	v_and_b32_e32 v6, 0x7f, v8
	v_cmp_ne_u32_e32 vcc, s7, v6
	v_mov_b32_e32 v14, 0x7f80
	s_and_saveexec_b64 s[14:15], vcc
	s_cbranch_execz .LBB846_645
; %bb.644:
	v_and_b32_e32 v7, 7, v8
	v_ffbh_u32_e32 v14, v7
	v_min_u32_e32 v17, 32, v14
	v_subrev_u32_e32 v14, 28, v17
	v_lshlrev_b64 v[14:15], v14, v[8:9]
	v_lshrrev_b32_e32 v16, 3, v6
	v_sub_u32_e32 v15, 29, v17
	v_and_b32_e32 v14, 7, v14
	v_cmp_gt_u32_e32 vcc, 8, v6
	v_cndmask_b32_e32 v6, v16, v15, vcc
	v_cndmask_b32_e32 v7, v7, v14, vcc
	v_lshlrev_b32_e32 v14, 24, v8
	v_bfrev_b32_e32 v15, 60
	v_lshlrev_b32_e32 v7, 20, v7
	v_and_b32_e32 v14, 0x80000000, v14
	v_lshl_add_u32 v6, v6, 23, v15
	v_or3_b32 v6, v14, v6, v7
	v_lshrrev_b32_e32 v14, 16, v6
.LBB846_645:
	s_or_b64 exec, exec, s[14:15]
.LBB846_646:
	s_or_b64 exec, exec, s[12:13]
.LBB846_647:
	s_or_b64 exec, exec, s[10:11]
	v_lshrrev_b16_e32 v6, 8, v8
	v_cmp_ne_u16_e32 vcc, 0, v6
	v_mov_b32_e32 v16, 0
	v_mov_b32_e32 v7, 0
	s_and_saveexec_b64 s[10:11], vcc
	s_cbranch_execz .LBB846_653
; %bb.648:
	s_movk_i32 s7, 0x80
	v_cmp_ne_u16_e32 vcc, s7, v6
	v_mov_b32_e32 v7, 0xffff8000
	s_and_saveexec_b64 s[12:13], vcc
	s_cbranch_execz .LBB846_652
; %bb.649:
	s_movk_i32 s7, 0x7f
	v_and_b32_e32 v15, 0x7f, v6
	v_cmp_ne_u32_e32 vcc, s7, v15
	v_mov_b32_e32 v7, 0x7f80
	s_and_saveexec_b64 s[14:15], vcc
	s_cbranch_execz .LBB846_651
; %bb.650:
	v_and_b32_e32 v17, 7, v6
	v_ffbh_u32_e32 v7, v17
	v_min_u32_e32 v19, 32, v7
	v_subrev_u32_e32 v7, 28, v19
	v_lshlrev_b64 v[6:7], v7, v[6:7]
	v_lshrrev_b32_e32 v18, 3, v15
	v_sub_u32_e32 v7, 29, v19
	v_and_b32_e32 v6, 7, v6
	v_cmp_gt_u32_e32 vcc, 8, v15
	v_cndmask_b32_e32 v7, v18, v7, vcc
	v_cndmask_b32_e32 v6, v17, v6, vcc
	v_lshlrev_b32_e32 v15, 16, v8
	v_bfrev_b32_e32 v17, 60
	v_lshlrev_b32_e32 v6, 20, v6
	v_and_b32_e32 v15, 0x80000000, v15
	v_lshl_add_u32 v7, v7, 23, v17
	v_or3_b32 v6, v15, v7, v6
	v_lshrrev_b32_e32 v7, 16, v6
.LBB846_651:
	s_or_b64 exec, exec, s[14:15]
.LBB846_652:
	s_or_b64 exec, exec, s[12:13]
.LBB846_653:
	s_or_b64 exec, exec, s[10:11]
	s_movk_i32 s7, 0xff
	v_and_b32_sdwa v15, v8, s7 dst_sel:DWORD dst_unused:UNUSED_PAD src0_sel:WORD_1 src1_sel:DWORD
	v_lshrrev_b32_e32 v6, 16, v8
	v_cmp_ne_u16_e32 vcc, 0, v15
	s_and_saveexec_b64 s[10:11], vcc
	s_cbranch_execz .LBB846_659
; %bb.654:
	s_movk_i32 s7, 0x80
	v_cmp_ne_u16_e32 vcc, s7, v15
	v_mov_b32_e32 v16, 0xffff8000
	s_and_saveexec_b64 s[12:13], vcc
	s_cbranch_execz .LBB846_658
; %bb.655:
	v_bfe_u32 v15, v8, 16, 7
	s_movk_i32 s7, 0x7f
	v_cmp_ne_u32_e32 vcc, s7, v15
	v_mov_b32_e32 v16, 0x7f80
	s_and_saveexec_b64 s[14:15], vcc
	s_cbranch_execz .LBB846_657
; %bb.656:
	v_and_b32_e32 v18, 7, v6
	v_ffbh_u32_e32 v16, v18
	v_min_u32_e32 v20, 32, v16
	v_subrev_u32_e32 v16, 28, v20
	v_lshlrev_b64 v[16:17], v16, v[6:7]
	v_and_b32_e32 v16, 7, v16
	v_cmp_gt_u32_e32 vcc, 8, v15
	v_lshrrev_b32_e32 v19, 3, v15
	v_sub_u32_e32 v6, 29, v20
	v_cndmask_b32_e32 v15, v18, v16, vcc
	v_mov_b32_e32 v16, 24
	v_cndmask_b32_e32 v6, v19, v6, vcc
	v_lshlrev_b32_sdwa v16, v16, v8 dst_sel:DWORD dst_unused:UNUSED_PAD src0_sel:DWORD src1_sel:WORD_1
	v_bfrev_b32_e32 v17, 60
	v_lshlrev_b32_e32 v15, 20, v15
	v_and_b32_e32 v16, 0x80000000, v16
	v_lshl_add_u32 v6, v6, 23, v17
	v_or3_b32 v6, v16, v6, v15
	v_lshrrev_b32_e32 v16, 16, v6
.LBB846_657:
	s_or_b64 exec, exec, s[14:15]
.LBB846_658:
	s_or_b64 exec, exec, s[12:13]
.LBB846_659:
	s_or_b64 exec, exec, s[10:11]
	s_mov_b32 s7, 0xffffff
	v_cmp_lt_u32_e32 vcc, s7, v8
	v_mov_b32_e32 v17, 0
	v_mov_b32_e32 v18, 0
	s_and_saveexec_b64 s[10:11], vcc
	s_cbranch_execz .LBB846_665
; %bb.660:
	v_lshrrev_b32_e32 v6, 24, v8
	s_movk_i32 s7, 0x80
	v_cmp_ne_u32_e32 vcc, s7, v6
	v_mov_b32_e32 v18, 0xffff8000
	s_and_saveexec_b64 s[12:13], vcc
	s_cbranch_execz .LBB846_664
; %bb.661:
	v_bfe_u32 v8, v8, 24, 7
	s_movk_i32 s7, 0x7f
	v_cmp_ne_u32_e32 vcc, s7, v8
	v_mov_b32_e32 v18, 0x7f80
	s_and_saveexec_b64 s[14:15], vcc
	s_cbranch_execz .LBB846_663
; %bb.662:
	v_and_b32_e32 v15, 7, v6
	v_ffbh_u32_e32 v18, v15
	v_min_u32_e32 v21, 32, v18
	v_subrev_u32_e32 v18, 28, v21
	v_lshlrev_b64 v[18:19], v18, v[6:7]
	v_lshrrev_b32_e32 v20, 3, v8
	v_sub_u32_e32 v19, 29, v21
	v_and_b32_e32 v18, 7, v18
	v_cmp_gt_u32_e32 vcc, 8, v8
	v_cndmask_b32_e32 v8, v20, v19, vcc
	v_cndmask_b32_e32 v15, v15, v18, vcc
	v_lshlrev_b32_e32 v6, 24, v6
	v_bfrev_b32_e32 v18, 60
	v_lshlrev_b32_e32 v15, 20, v15
	v_and_b32_e32 v6, 0x80000000, v6
	v_lshl_add_u32 v8, v8, 23, v18
	v_or3_b32 v6, v6, v8, v15
	v_lshrrev_b32_e32 v18, 16, v6
.LBB846_663:
	s_or_b64 exec, exec, s[14:15]
.LBB846_664:
	s_or_b64 exec, exec, s[12:13]
.LBB846_665:
	s_or_b64 exec, exec, s[10:11]
	v_cmp_ne_u16_sdwa s[12:13], v9, v17 src0_sel:BYTE_0 src1_sel:DWORD
	s_and_saveexec_b64 s[10:11], s[12:13]
	s_cbranch_execz .LBB846_671
; %bb.666:
	s_movk_i32 s7, 0x80
	v_cmp_ne_u16_sdwa s[14:15], v9, s7 src0_sel:BYTE_0 src1_sel:DWORD
	v_mov_b32_e32 v17, 0xffff8000
	s_and_saveexec_b64 s[12:13], s[14:15]
	s_cbranch_execz .LBB846_670
; %bb.667:
	s_movk_i32 s7, 0x7f
	v_and_b32_e32 v6, 0x7f, v9
	v_cmp_ne_u32_e32 vcc, s7, v6
	v_mov_b32_e32 v17, 0x7f80
	s_and_saveexec_b64 s[14:15], vcc
	s_cbranch_execz .LBB846_669
; %bb.668:
	v_and_b32_e32 v15, 7, v9
	v_ffbh_u32_e32 v19, v15
	v_min_u32_e32 v19, 32, v19
	v_mov_b32_e32 v8, v9
	v_subrev_u32_e32 v20, 28, v19
	v_lshlrev_b64 v[20:21], v20, v[8:9]
	v_lshrrev_b32_e32 v17, 3, v6
	v_sub_u32_e32 v8, 29, v19
	v_and_b32_e32 v19, 7, v20
	v_cmp_gt_u32_e32 vcc, 8, v6
	v_cndmask_b32_e32 v6, v17, v8, vcc
	v_cndmask_b32_e32 v8, v15, v19, vcc
	v_lshlrev_b32_e32 v15, 24, v9
	v_bfrev_b32_e32 v17, 60
	v_lshlrev_b32_e32 v8, 20, v8
	v_and_b32_e32 v15, 0x80000000, v15
	v_lshl_add_u32 v6, v6, 23, v17
	v_or3_b32 v6, v15, v6, v8
	v_lshrrev_b32_e32 v17, 16, v6
.LBB846_669:
	s_or_b64 exec, exec, s[14:15]
.LBB846_670:
	s_or_b64 exec, exec, s[12:13]
.LBB846_671:
	s_or_b64 exec, exec, s[10:11]
	v_lshrrev_b16_e32 v6, 8, v9
	v_cmp_ne_u16_e32 vcc, 0, v6
	v_mov_b32_e32 v19, 0
	v_mov_b32_e32 v8, 0
	s_and_saveexec_b64 s[10:11], vcc
	s_cbranch_execz .LBB846_677
; %bb.672:
	s_movk_i32 s7, 0x80
	v_cmp_ne_u16_e32 vcc, s7, v6
	v_mov_b32_e32 v8, 0xffff8000
	s_and_saveexec_b64 s[12:13], vcc
	s_cbranch_execz .LBB846_676
; %bb.673:
	s_movk_i32 s7, 0x7f
	v_and_b32_e32 v15, 0x7f, v6
	v_cmp_ne_u32_e32 vcc, s7, v15
	v_mov_b32_e32 v8, 0x7f80
	s_and_saveexec_b64 s[14:15], vcc
	s_cbranch_execz .LBB846_675
; %bb.674:
	v_and_b32_e32 v8, 7, v6
	v_ffbh_u32_e32 v20, v8
	v_min_u32_e32 v24, 32, v20
	v_subrev_u32_e32 v20, 28, v24
	v_lshlrev_b64 v[20:21], v20, v[6:7]
	v_lshrrev_b32_e32 v23, 3, v15
	v_sub_u32_e32 v6, 29, v24
	v_and_b32_e32 v20, 7, v20
	v_cmp_gt_u32_e32 vcc, 8, v15
	v_cndmask_b32_e32 v6, v23, v6, vcc
	v_cndmask_b32_e32 v8, v8, v20, vcc
	v_lshlrev_b32_e32 v15, 16, v9
	v_bfrev_b32_e32 v20, 60
	v_lshlrev_b32_e32 v8, 20, v8
	v_and_b32_e32 v15, 0x80000000, v15
	v_lshl_add_u32 v6, v6, 23, v20
	v_or3_b32 v6, v15, v6, v8
	v_lshrrev_b32_e32 v8, 16, v6
.LBB846_675:
	s_or_b64 exec, exec, s[14:15]
.LBB846_676:
	s_or_b64 exec, exec, s[12:13]
.LBB846_677:
	s_or_b64 exec, exec, s[10:11]
	s_movk_i32 s7, 0xff
	v_and_b32_sdwa v15, v9, s7 dst_sel:DWORD dst_unused:UNUSED_PAD src0_sel:WORD_1 src1_sel:DWORD
	v_lshrrev_b32_e32 v6, 16, v9
	v_cmp_ne_u16_e32 vcc, 0, v15
	s_and_saveexec_b64 s[10:11], vcc
	s_cbranch_execz .LBB846_683
; %bb.678:
	s_movk_i32 s7, 0x80
	v_cmp_ne_u16_e32 vcc, s7, v15
	v_mov_b32_e32 v19, 0xffff8000
	s_and_saveexec_b64 s[12:13], vcc
	s_cbranch_execz .LBB846_682
; %bb.679:
	v_bfe_u32 v15, v9, 16, 7
	s_movk_i32 s7, 0x7f
	v_cmp_ne_u32_e32 vcc, s7, v15
	v_mov_b32_e32 v19, 0x7f80
	s_and_saveexec_b64 s[14:15], vcc
	s_cbranch_execz .LBB846_681
; %bb.680:
	v_and_b32_e32 v19, 7, v6
	v_ffbh_u32_e32 v20, v19
	v_min_u32_e32 v24, 32, v20
	v_subrev_u32_e32 v20, 28, v24
	v_lshlrev_b64 v[20:21], v20, v[6:7]
	v_and_b32_e32 v20, 7, v20
	v_cmp_gt_u32_e32 vcc, 8, v15
	v_lshrrev_b32_e32 v23, 3, v15
	v_sub_u32_e32 v6, 29, v24
	v_cndmask_b32_e32 v15, v19, v20, vcc
	v_mov_b32_e32 v19, 24
	v_cndmask_b32_e32 v6, v23, v6, vcc
	v_lshlrev_b32_sdwa v19, v19, v9 dst_sel:DWORD dst_unused:UNUSED_PAD src0_sel:DWORD src1_sel:WORD_1
	v_bfrev_b32_e32 v20, 60
	v_lshlrev_b32_e32 v15, 20, v15
	v_and_b32_e32 v19, 0x80000000, v19
	v_lshl_add_u32 v6, v6, 23, v20
	v_or3_b32 v6, v19, v6, v15
	v_lshrrev_b32_e32 v19, 16, v6
.LBB846_681:
	s_or_b64 exec, exec, s[14:15]
.LBB846_682:
	s_or_b64 exec, exec, s[12:13]
.LBB846_683:
	s_or_b64 exec, exec, s[10:11]
	s_mov_b32 s7, 0xffffff
	v_cmp_lt_u32_e32 vcc, s7, v9
	v_mov_b32_e32 v15, 0
	v_mov_b32_e32 v20, 0
	s_and_saveexec_b64 s[10:11], vcc
	s_cbranch_execz .LBB846_689
; %bb.684:
	v_lshrrev_b32_e32 v6, 24, v9
	s_movk_i32 s7, 0x80
	v_cmp_ne_u32_e32 vcc, s7, v6
	v_mov_b32_e32 v20, 0xffff8000
	s_and_saveexec_b64 s[12:13], vcc
	s_cbranch_execz .LBB846_688
; %bb.685:
	v_bfe_u32 v9, v9, 24, 7
	s_movk_i32 s7, 0x7f
	v_cmp_ne_u32_e32 vcc, s7, v9
	v_mov_b32_e32 v20, 0x7f80
	s_and_saveexec_b64 s[14:15], vcc
	s_cbranch_execz .LBB846_687
; %bb.686:
	v_and_b32_e32 v23, 7, v6
	v_ffbh_u32_e32 v20, v23
	v_min_u32_e32 v25, 32, v20
	v_subrev_u32_e32 v20, 28, v25
	v_lshlrev_b64 v[20:21], v20, v[6:7]
	v_lshrrev_b32_e32 v24, 3, v9
	v_sub_u32_e32 v21, 29, v25
	v_and_b32_e32 v20, 7, v20
	v_cmp_gt_u32_e32 vcc, 8, v9
	v_cndmask_b32_e32 v9, v24, v21, vcc
	v_cndmask_b32_e32 v20, v23, v20, vcc
	v_lshlrev_b32_e32 v6, 24, v6
	v_bfrev_b32_e32 v21, 60
	v_lshlrev_b32_e32 v20, 20, v20
	v_and_b32_e32 v6, 0x80000000, v6
	v_lshl_add_u32 v9, v9, 23, v21
	v_or3_b32 v6, v6, v9, v20
	v_lshrrev_b32_e32 v20, 16, v6
.LBB846_687:
	s_or_b64 exec, exec, s[14:15]
.LBB846_688:
	s_or_b64 exec, exec, s[12:13]
.LBB846_689:
	s_or_b64 exec, exec, s[10:11]
	s_mov_b32 s7, 0x5040100
	v_perm_b32 v25, v18, v16, s7
	v_perm_b32 v24, v7, v14, s7
	ds_read_b128 v[28:31], v22 offset:4112
	v_perm_b32 v7, v20, v19, s7
	v_perm_b32 v6, v8, v17, s7
	s_waitcnt lgkmcnt(0)
	v_mfma_f32_16x16x16bf16_1k v[10:13], v[24:25], v[28:29], v[10:13]
	s_waitcnt vmcnt(0)
	v_cmp_ne_u16_sdwa s[12:13], v2, v15 src0_sel:BYTE_0 src1_sel:DWORD
	v_mfma_f32_16x16x16bf16_1k v[6:9], v[6:7], v[30:31], v[10:13]
	s_and_saveexec_b64 s[10:11], s[12:13]
	s_cbranch_execz .LBB846_695
; %bb.690:
	s_movk_i32 s7, 0x80
	v_cmp_ne_u16_sdwa s[14:15], v2, s7 src0_sel:BYTE_0 src1_sel:DWORD
	v_mov_b32_e32 v15, 0xffff8000
	s_and_saveexec_b64 s[12:13], s[14:15]
	s_cbranch_execz .LBB846_694
; %bb.691:
	s_movk_i32 s7, 0x7f
	v_and_b32_e32 v10, 0x7f, v2
	v_cmp_ne_u32_e32 vcc, s7, v10
	v_mov_b32_e32 v15, 0x7f80
	s_and_saveexec_b64 s[14:15], vcc
	s_cbranch_execz .LBB846_693
; %bb.692:
	v_and_b32_e32 v11, 7, v2
	v_ffbh_u32_e32 v12, v11
	v_min_u32_e32 v15, 32, v12
	v_subrev_u32_e32 v12, 28, v15
	v_lshlrev_b64 v[12:13], v12, v[2:3]
	v_lshrrev_b32_e32 v14, 3, v10
	v_sub_u32_e32 v13, 29, v15
	v_and_b32_e32 v12, 7, v12
	v_cmp_gt_u32_e32 vcc, 8, v10
	v_cndmask_b32_e32 v10, v14, v13, vcc
	v_cndmask_b32_e32 v11, v11, v12, vcc
	v_lshlrev_b32_e32 v12, 24, v2
	v_bfrev_b32_e32 v13, 60
	v_lshlrev_b32_e32 v11, 20, v11
	v_and_b32_e32 v12, 0x80000000, v12
	v_lshl_add_u32 v10, v10, 23, v13
	v_or3_b32 v10, v12, v10, v11
	v_lshrrev_b32_e32 v15, 16, v10
.LBB846_693:
	s_or_b64 exec, exec, s[14:15]
.LBB846_694:
	s_or_b64 exec, exec, s[12:13]
.LBB846_695:
	s_or_b64 exec, exec, s[10:11]
	s_nop 4
	v_lshrrev_b16_e32 v10, 8, v2
	v_cmp_ne_u16_e32 vcc, 0, v10
	v_mov_b32_e32 v12, 0
	v_mov_b32_e32 v11, 0
	s_and_saveexec_b64 s[10:11], vcc
	s_cbranch_execz .LBB846_701
; %bb.696:
	s_movk_i32 s7, 0x80
	v_cmp_ne_u16_e32 vcc, s7, v10
	v_mov_b32_e32 v11, 0xffff8000
	s_and_saveexec_b64 s[12:13], vcc
	s_cbranch_execz .LBB846_700
; %bb.697:
	s_movk_i32 s7, 0x7f
	v_and_b32_e32 v13, 0x7f, v10
	v_cmp_ne_u32_e32 vcc, s7, v13
	v_mov_b32_e32 v11, 0x7f80
	s_and_saveexec_b64 s[14:15], vcc
	s_cbranch_execz .LBB846_699
; %bb.698:
	v_and_b32_e32 v14, 7, v10
	v_ffbh_u32_e32 v11, v14
	v_min_u32_e32 v17, 32, v11
	v_subrev_u32_e32 v11, 28, v17
	v_lshlrev_b64 v[10:11], v11, v[10:11]
	v_lshrrev_b32_e32 v16, 3, v13
	v_sub_u32_e32 v11, 29, v17
	v_and_b32_e32 v10, 7, v10
	v_cmp_gt_u32_e32 vcc, 8, v13
	v_cndmask_b32_e32 v11, v16, v11, vcc
	v_cndmask_b32_e32 v10, v14, v10, vcc
	v_lshlrev_b32_e32 v13, 16, v2
	v_bfrev_b32_e32 v14, 60
	v_lshlrev_b32_e32 v10, 20, v10
	v_and_b32_e32 v13, 0x80000000, v13
	v_lshl_add_u32 v11, v11, 23, v14
	v_or3_b32 v10, v13, v11, v10
	v_lshrrev_b32_e32 v11, 16, v10
.LBB846_699:
	s_or_b64 exec, exec, s[14:15]
.LBB846_700:
	s_or_b64 exec, exec, s[12:13]
.LBB846_701:
	s_or_b64 exec, exec, s[10:11]
	s_movk_i32 s7, 0xff
	v_and_b32_sdwa v13, v2, s7 dst_sel:DWORD dst_unused:UNUSED_PAD src0_sel:WORD_1 src1_sel:DWORD
	v_lshrrev_b32_e32 v10, 16, v2
	v_cmp_ne_u16_e32 vcc, 0, v13
	s_and_saveexec_b64 s[10:11], vcc
	s_cbranch_execz .LBB846_707
; %bb.702:
	s_movk_i32 s7, 0x80
	v_cmp_ne_u16_e32 vcc, s7, v13
	v_mov_b32_e32 v12, 0xffff8000
	s_and_saveexec_b64 s[12:13], vcc
	s_cbranch_execz .LBB846_706
; %bb.703:
	v_bfe_u32 v13, v2, 16, 7
	s_movk_i32 s7, 0x7f
	v_cmp_ne_u32_e32 vcc, s7, v13
	v_mov_b32_e32 v12, 0x7f80
	s_and_saveexec_b64 s[14:15], vcc
	s_cbranch_execz .LBB846_705
; %bb.704:
	v_and_b32_e32 v12, 7, v10
	v_ffbh_u32_e32 v16, v12
	v_min_u32_e32 v18, 32, v16
	v_subrev_u32_e32 v16, 28, v18
	v_lshlrev_b64 v[16:17], v16, v[10:11]
	v_lshrrev_b32_e32 v14, 3, v13
	v_sub_u32_e32 v10, 29, v18
	v_and_b32_e32 v16, 7, v16
	v_cmp_gt_u32_e32 vcc, 8, v13
	v_mov_b32_e32 v13, 24
	v_cndmask_b32_e32 v10, v14, v10, vcc
	v_cndmask_b32_e32 v12, v12, v16, vcc
	v_lshlrev_b32_sdwa v13, v13, v2 dst_sel:DWORD dst_unused:UNUSED_PAD src0_sel:DWORD src1_sel:WORD_1
	v_bfrev_b32_e32 v14, 60
	v_lshlrev_b32_e32 v12, 20, v12
	v_and_b32_e32 v13, 0x80000000, v13
	v_lshl_add_u32 v10, v10, 23, v14
	v_or3_b32 v10, v13, v10, v12
	v_lshrrev_b32_e32 v12, 16, v10
.LBB846_705:
	s_or_b64 exec, exec, s[14:15]
.LBB846_706:
	s_or_b64 exec, exec, s[12:13]
.LBB846_707:
	s_or_b64 exec, exec, s[10:11]
	s_mov_b32 s7, 0xffffff
	v_cmp_lt_u32_e32 vcc, s7, v2
	v_mov_b32_e32 v13, 0
	v_mov_b32_e32 v14, 0
	s_and_saveexec_b64 s[10:11], vcc
	s_cbranch_execz .LBB846_713
; %bb.708:
	v_lshrrev_b32_e32 v10, 24, v2
	s_movk_i32 s7, 0x80
	v_cmp_ne_u32_e32 vcc, s7, v10
	v_mov_b32_e32 v14, 0xffff8000
	s_and_saveexec_b64 s[12:13], vcc
	s_cbranch_execz .LBB846_712
; %bb.709:
	v_bfe_u32 v2, v2, 24, 7
	s_movk_i32 s7, 0x7f
	v_cmp_ne_u32_e32 vcc, s7, v2
	v_mov_b32_e32 v14, 0x7f80
	s_and_saveexec_b64 s[14:15], vcc
	s_cbranch_execz .LBB846_711
; %bb.710:
	v_and_b32_e32 v14, 7, v10
	v_ffbh_u32_e32 v16, v14
	v_min_u32_e32 v19, 32, v16
	v_subrev_u32_e32 v16, 28, v19
	v_lshlrev_b64 v[16:17], v16, v[10:11]
	v_lshrrev_b32_e32 v18, 3, v2
	v_sub_u32_e32 v17, 29, v19
	v_and_b32_e32 v16, 7, v16
	v_cmp_gt_u32_e32 vcc, 8, v2
	v_cndmask_b32_e32 v2, v18, v17, vcc
	v_cndmask_b32_e32 v14, v14, v16, vcc
	v_lshlrev_b32_e32 v10, 24, v10
	v_bfrev_b32_e32 v16, 60
	v_lshlrev_b32_e32 v14, 20, v14
	v_and_b32_e32 v10, 0x80000000, v10
	v_lshl_add_u32 v2, v2, 23, v16
	v_or3_b32 v2, v10, v2, v14
	v_lshrrev_b32_e32 v14, 16, v2
.LBB846_711:
	s_or_b64 exec, exec, s[14:15]
.LBB846_712:
	s_or_b64 exec, exec, s[12:13]
.LBB846_713:
	s_or_b64 exec, exec, s[10:11]
	v_cmp_ne_u16_sdwa s[12:13], v3, v13 src0_sel:BYTE_0 src1_sel:DWORD
	s_and_saveexec_b64 s[10:11], s[12:13]
	s_cbranch_execz .LBB846_719
; %bb.714:
	s_movk_i32 s7, 0x80
	v_cmp_ne_u16_sdwa s[14:15], v3, s7 src0_sel:BYTE_0 src1_sel:DWORD
	v_mov_b32_e32 v13, 0xffff8000
	s_and_saveexec_b64 s[12:13], s[14:15]
	s_cbranch_execz .LBB846_718
; %bb.715:
	s_movk_i32 s7, 0x7f
	v_and_b32_e32 v2, 0x7f, v3
	v_cmp_ne_u32_e32 vcc, s7, v2
	v_mov_b32_e32 v13, 0x7f80
	s_and_saveexec_b64 s[14:15], vcc
	s_cbranch_execz .LBB846_717
; %bb.716:
	v_and_b32_e32 v13, 7, v3
	v_ffbh_u32_e32 v16, v13
	v_min_u32_e32 v19, 32, v16
	v_mov_b32_e32 v10, v3
	v_subrev_u32_e32 v16, 28, v19
	v_lshlrev_b64 v[16:17], v16, v[10:11]
	v_lshrrev_b32_e32 v18, 3, v2
	v_sub_u32_e32 v10, 29, v19
	v_and_b32_e32 v16, 7, v16
	v_cmp_gt_u32_e32 vcc, 8, v2
	v_cndmask_b32_e32 v2, v18, v10, vcc
	v_cndmask_b32_e32 v10, v13, v16, vcc
	v_lshlrev_b32_e32 v13, 24, v3
	v_bfrev_b32_e32 v16, 60
	v_lshlrev_b32_e32 v10, 20, v10
	v_and_b32_e32 v13, 0x80000000, v13
	v_lshl_add_u32 v2, v2, 23, v16
	v_or3_b32 v2, v13, v2, v10
	v_lshrrev_b32_e32 v13, 16, v2
.LBB846_717:
	s_or_b64 exec, exec, s[14:15]
.LBB846_718:
	s_or_b64 exec, exec, s[12:13]
.LBB846_719:
	s_or_b64 exec, exec, s[10:11]
	v_lshrrev_b16_e32 v2, 8, v3
	v_cmp_ne_u16_e32 vcc, 0, v2
	v_mov_b32_e32 v17, 0
	v_mov_b32_e32 v16, 0
	s_and_saveexec_b64 s[10:11], vcc
	s_cbranch_execz .LBB846_725
; %bb.720:
	s_movk_i32 s7, 0x80
	v_cmp_ne_u16_e32 vcc, s7, v2
	v_mov_b32_e32 v16, 0xffff8000
	s_and_saveexec_b64 s[12:13], vcc
	s_cbranch_execz .LBB846_724
; %bb.721:
	s_movk_i32 s7, 0x7f
	v_and_b32_e32 v10, 0x7f, v2
	v_cmp_ne_u32_e32 vcc, s7, v10
	v_mov_b32_e32 v16, 0x7f80
	s_and_saveexec_b64 s[14:15], vcc
	s_cbranch_execz .LBB846_723
; %bb.722:
	v_and_b32_e32 v16, 7, v2
	v_ffbh_u32_e32 v18, v16
	v_min_u32_e32 v21, 32, v18
	v_subrev_u32_e32 v18, 28, v21
	v_lshlrev_b64 v[18:19], v18, v[2:3]
	v_lshrrev_b32_e32 v20, 3, v10
	v_sub_u32_e32 v2, 29, v21
	v_and_b32_e32 v18, 7, v18
	v_cmp_gt_u32_e32 vcc, 8, v10
	v_cndmask_b32_e32 v2, v20, v2, vcc
	v_cndmask_b32_e32 v10, v16, v18, vcc
	v_lshlrev_b32_e32 v16, 16, v3
	v_bfrev_b32_e32 v18, 60
	v_lshlrev_b32_e32 v10, 20, v10
	v_and_b32_e32 v16, 0x80000000, v16
	v_lshl_add_u32 v2, v2, 23, v18
	v_or3_b32 v2, v16, v2, v10
	v_lshrrev_b32_e32 v16, 16, v2
.LBB846_723:
	s_or_b64 exec, exec, s[14:15]
.LBB846_724:
	s_or_b64 exec, exec, s[12:13]
.LBB846_725:
	s_or_b64 exec, exec, s[10:11]
	s_movk_i32 s7, 0xff
	v_and_b32_sdwa v10, v3, s7 dst_sel:DWORD dst_unused:UNUSED_PAD src0_sel:WORD_1 src1_sel:DWORD
	v_lshrrev_b32_e32 v2, 16, v3
	v_cmp_ne_u16_e32 vcc, 0, v10
	s_and_saveexec_b64 s[10:11], vcc
	s_cbranch_execz .LBB846_731
; %bb.726:
	s_movk_i32 s7, 0x80
	v_cmp_ne_u16_e32 vcc, s7, v10
	v_mov_b32_e32 v17, 0xffff8000
	s_and_saveexec_b64 s[12:13], vcc
	s_cbranch_execz .LBB846_730
; %bb.727:
	v_bfe_u32 v10, v3, 16, 7
	s_movk_i32 s7, 0x7f
	v_cmp_ne_u32_e32 vcc, s7, v10
	v_mov_b32_e32 v17, 0x7f80
	s_and_saveexec_b64 s[14:15], vcc
	s_cbranch_execz .LBB846_729
; %bb.728:
	v_and_b32_e32 v17, 7, v2
	v_ffbh_u32_e32 v18, v17
	v_min_u32_e32 v21, 32, v18
	v_subrev_u32_e32 v18, 28, v21
	v_lshlrev_b64 v[18:19], v18, v[2:3]
	v_and_b32_e32 v18, 7, v18
	v_cmp_gt_u32_e32 vcc, 8, v10
	v_lshrrev_b32_e32 v20, 3, v10
	v_sub_u32_e32 v2, 29, v21
	v_cndmask_b32_e32 v10, v17, v18, vcc
	v_mov_b32_e32 v17, 24
	v_cndmask_b32_e32 v2, v20, v2, vcc
	v_lshlrev_b32_sdwa v17, v17, v3 dst_sel:DWORD dst_unused:UNUSED_PAD src0_sel:DWORD src1_sel:WORD_1
	v_bfrev_b32_e32 v18, 60
	v_lshlrev_b32_e32 v10, 20, v10
	v_and_b32_e32 v17, 0x80000000, v17
	v_lshl_add_u32 v2, v2, 23, v18
	v_or3_b32 v2, v17, v2, v10
	v_lshrrev_b32_e32 v17, 16, v2
.LBB846_729:
	s_or_b64 exec, exec, s[14:15]
.LBB846_730:
	s_or_b64 exec, exec, s[12:13]
.LBB846_731:
	s_or_b64 exec, exec, s[10:11]
	s_mov_b32 s7, 0xffffff
	v_cmp_lt_u32_e32 vcc, s7, v3
	v_mov_b32_e32 v10, 0
	v_mov_b32_e32 v18, 0
	s_and_saveexec_b64 s[10:11], vcc
	s_cbranch_execz .LBB846_737
; %bb.732:
	v_lshrrev_b32_e32 v2, 24, v3
	s_movk_i32 s7, 0x80
	v_cmp_ne_u32_e32 vcc, s7, v2
	v_mov_b32_e32 v18, 0xffff8000
	s_and_saveexec_b64 s[12:13], vcc
	s_cbranch_execz .LBB846_736
; %bb.733:
	v_bfe_u32 v3, v3, 24, 7
	s_movk_i32 s7, 0x7f
	v_cmp_ne_u32_e32 vcc, s7, v3
	v_mov_b32_e32 v18, 0x7f80
	s_and_saveexec_b64 s[14:15], vcc
	s_cbranch_execz .LBB846_735
; %bb.734:
	v_and_b32_e32 v20, 7, v2
	v_ffbh_u32_e32 v18, v20
	v_min_u32_e32 v23, 32, v18
	v_subrev_u32_e32 v18, 28, v23
	v_lshlrev_b64 v[18:19], v18, v[2:3]
	v_lshrrev_b32_e32 v21, 3, v3
	v_sub_u32_e32 v19, 29, v23
	v_and_b32_e32 v18, 7, v18
	v_cmp_gt_u32_e32 vcc, 8, v3
	v_cndmask_b32_e32 v3, v21, v19, vcc
	v_cndmask_b32_e32 v18, v20, v18, vcc
	v_lshlrev_b32_e32 v2, 24, v2
	v_bfrev_b32_e32 v19, 60
	v_lshlrev_b32_e32 v18, 20, v18
	v_and_b32_e32 v2, 0x80000000, v2
	v_lshl_add_u32 v3, v3, 23, v19
	v_or3_b32 v2, v2, v3, v18
	v_lshrrev_b32_e32 v18, 16, v2
.LBB846_735:
	s_or_b64 exec, exec, s[14:15]
.LBB846_736:
	s_or_b64 exec, exec, s[12:13]
.LBB846_737:
	s_or_b64 exec, exec, s[10:11]
	s_mov_b32 s7, 0x5040100
	v_perm_b32 v3, v14, v12, s7
	v_perm_b32 v2, v11, v15, s7
	ds_read_b128 v[28:31], v22 offset:6144
	v_cmp_ne_u16_sdwa s[12:13], v4, v10 src0_sel:BYTE_0 src1_sel:DWORD
	s_waitcnt lgkmcnt(0)
	v_mfma_f32_16x16x16bf16_1k v[6:9], v[2:3], v[28:29], v[6:9]
	v_perm_b32 v3, v18, v17, s7
	v_perm_b32 v2, v16, v13, s7
	s_nop 1
	v_mfma_f32_16x16x16bf16_1k v[6:9], v[2:3], v[30:31], v[6:9]
	s_and_saveexec_b64 s[10:11], s[12:13]
	s_cbranch_execz .LBB846_743
; %bb.738:
	s_movk_i32 s7, 0x80
	v_cmp_ne_u16_sdwa s[14:15], v4, s7 src0_sel:BYTE_0 src1_sel:DWORD
	v_mov_b32_e32 v10, 0xffff8000
	s_and_saveexec_b64 s[12:13], s[14:15]
	s_cbranch_execz .LBB846_742
; %bb.739:
	s_movk_i32 s7, 0x7f
	v_and_b32_e32 v2, 0x7f, v4
	v_cmp_ne_u32_e32 vcc, s7, v2
	v_mov_b32_e32 v10, 0x7f80
	s_and_saveexec_b64 s[14:15], vcc
	s_cbranch_execz .LBB846_741
; %bb.740:
	v_and_b32_e32 v3, 7, v4
	v_ffbh_u32_e32 v10, v3
	v_min_u32_e32 v13, 32, v10
	v_subrev_u32_e32 v10, 28, v13
	v_lshlrev_b64 v[10:11], v10, v[4:5]
	v_lshrrev_b32_e32 v12, 3, v2
	v_sub_u32_e32 v11, 29, v13
	v_and_b32_e32 v10, 7, v10
	v_cmp_gt_u32_e32 vcc, 8, v2
	v_cndmask_b32_e32 v2, v12, v11, vcc
	v_cndmask_b32_e32 v3, v3, v10, vcc
	v_lshlrev_b32_e32 v10, 24, v4
	v_bfrev_b32_e32 v11, 60
	v_lshlrev_b32_e32 v3, 20, v3
	v_and_b32_e32 v10, 0x80000000, v10
	v_lshl_add_u32 v2, v2, 23, v11
	v_or3_b32 v2, v10, v2, v3
	v_lshrrev_b32_e32 v10, 16, v2
.LBB846_741:
	s_or_b64 exec, exec, s[14:15]
.LBB846_742:
	s_or_b64 exec, exec, s[12:13]
.LBB846_743:
	s_or_b64 exec, exec, s[10:11]
	v_lshrrev_b16_e32 v2, 8, v4
	v_cmp_ne_u16_e32 vcc, 0, v2
	v_mov_b32_e32 v11, 0
	v_mov_b32_e32 v3, 0
	s_and_saveexec_b64 s[10:11], vcc
	s_cbranch_execz .LBB846_749
; %bb.744:
	s_movk_i32 s7, 0x80
	v_cmp_ne_u16_e32 vcc, s7, v2
	v_mov_b32_e32 v3, 0xffff8000
	s_and_saveexec_b64 s[12:13], vcc
	s_cbranch_execz .LBB846_748
; %bb.745:
	s_movk_i32 s7, 0x7f
	v_and_b32_e32 v12, 0x7f, v2
	v_cmp_ne_u32_e32 vcc, s7, v12
	v_mov_b32_e32 v3, 0x7f80
	s_and_saveexec_b64 s[14:15], vcc
	s_cbranch_execz .LBB846_747
; %bb.746:
	v_and_b32_e32 v13, 7, v2
	v_ffbh_u32_e32 v3, v13
	v_min_u32_e32 v15, 32, v3
	v_subrev_u32_e32 v3, 28, v15
	v_lshlrev_b64 v[2:3], v3, v[2:3]
	v_lshrrev_b32_e32 v14, 3, v12
	v_sub_u32_e32 v3, 29, v15
	v_and_b32_e32 v2, 7, v2
	v_cmp_gt_u32_e32 vcc, 8, v12
	v_cndmask_b32_e32 v3, v14, v3, vcc
	v_cndmask_b32_e32 v2, v13, v2, vcc
	v_lshlrev_b32_e32 v12, 16, v4
	v_bfrev_b32_e32 v13, 60
	v_lshlrev_b32_e32 v2, 20, v2
	v_and_b32_e32 v12, 0x80000000, v12
	v_lshl_add_u32 v3, v3, 23, v13
	v_or3_b32 v2, v12, v3, v2
	v_lshrrev_b32_e32 v3, 16, v2
.LBB846_747:
	s_or_b64 exec, exec, s[14:15]
.LBB846_748:
	s_or_b64 exec, exec, s[12:13]
.LBB846_749:
	s_or_b64 exec, exec, s[10:11]
	s_movk_i32 s7, 0xff
	v_and_b32_sdwa v12, v4, s7 dst_sel:DWORD dst_unused:UNUSED_PAD src0_sel:WORD_1 src1_sel:DWORD
	v_lshrrev_b32_e32 v2, 16, v4
	v_cmp_ne_u16_e32 vcc, 0, v12
	s_and_saveexec_b64 s[10:11], vcc
	s_cbranch_execz .LBB846_755
; %bb.750:
	s_movk_i32 s7, 0x80
	v_cmp_ne_u16_e32 vcc, s7, v12
	v_mov_b32_e32 v11, 0xffff8000
	s_and_saveexec_b64 s[12:13], vcc
	s_cbranch_execz .LBB846_754
; %bb.751:
	v_bfe_u32 v12, v4, 16, 7
	s_movk_i32 s7, 0x7f
	v_cmp_ne_u32_e32 vcc, s7, v12
	v_mov_b32_e32 v11, 0x7f80
	s_and_saveexec_b64 s[14:15], vcc
	s_cbranch_execz .LBB846_753
; %bb.752:
	v_and_b32_e32 v11, 7, v2
	v_ffbh_u32_e32 v14, v11
	v_min_u32_e32 v16, 32, v14
	v_subrev_u32_e32 v14, 28, v16
	v_lshlrev_b64 v[14:15], v14, v[2:3]
	v_lshrrev_b32_e32 v13, 3, v12
	v_sub_u32_e32 v2, 29, v16
	v_and_b32_e32 v14, 7, v14
	v_cmp_gt_u32_e32 vcc, 8, v12
	v_mov_b32_e32 v12, 24
	v_cndmask_b32_e32 v2, v13, v2, vcc
	v_cndmask_b32_e32 v11, v11, v14, vcc
	v_lshlrev_b32_sdwa v12, v12, v4 dst_sel:DWORD dst_unused:UNUSED_PAD src0_sel:DWORD src1_sel:WORD_1
	v_bfrev_b32_e32 v13, 60
	v_lshlrev_b32_e32 v11, 20, v11
	v_and_b32_e32 v12, 0x80000000, v12
	v_lshl_add_u32 v2, v2, 23, v13
	v_or3_b32 v2, v12, v2, v11
	v_lshrrev_b32_e32 v11, 16, v2
.LBB846_753:
	s_or_b64 exec, exec, s[14:15]
.LBB846_754:
	s_or_b64 exec, exec, s[12:13]
.LBB846_755:
	s_or_b64 exec, exec, s[10:11]
	s_mov_b32 s7, 0xffffff
	v_cmp_lt_u32_e32 vcc, s7, v4
	v_mov_b32_e32 v12, 0
	v_mov_b32_e32 v13, 0
	s_and_saveexec_b64 s[10:11], vcc
	s_cbranch_execz .LBB846_761
; %bb.756:
	v_lshrrev_b32_e32 v2, 24, v4
	s_movk_i32 s7, 0x80
	v_cmp_ne_u32_e32 vcc, s7, v2
	v_mov_b32_e32 v13, 0xffff8000
	s_and_saveexec_b64 s[12:13], vcc
	s_cbranch_execz .LBB846_760
; %bb.757:
	v_bfe_u32 v4, v4, 24, 7
	s_movk_i32 s7, 0x7f
	v_cmp_ne_u32_e32 vcc, s7, v4
	v_mov_b32_e32 v13, 0x7f80
	s_and_saveexec_b64 s[14:15], vcc
	s_cbranch_execz .LBB846_759
; %bb.758:
	v_and_b32_e32 v13, 7, v2
	v_ffbh_u32_e32 v14, v13
	v_min_u32_e32 v17, 32, v14
	v_subrev_u32_e32 v14, 28, v17
	v_lshlrev_b64 v[14:15], v14, v[2:3]
	v_lshrrev_b32_e32 v16, 3, v4
	v_sub_u32_e32 v15, 29, v17
	v_and_b32_e32 v14, 7, v14
	v_cmp_gt_u32_e32 vcc, 8, v4
	v_cndmask_b32_e32 v4, v16, v15, vcc
	v_cndmask_b32_e32 v13, v13, v14, vcc
	v_lshlrev_b32_e32 v2, 24, v2
	v_bfrev_b32_e32 v14, 60
	v_lshlrev_b32_e32 v13, 20, v13
	v_and_b32_e32 v2, 0x80000000, v2
	v_lshl_add_u32 v4, v4, 23, v14
	v_or3_b32 v2, v2, v4, v13
	v_lshrrev_b32_e32 v13, 16, v2
.LBB846_759:
	s_or_b64 exec, exec, s[14:15]
.LBB846_760:
	s_or_b64 exec, exec, s[12:13]
.LBB846_761:
	s_or_b64 exec, exec, s[10:11]
	v_cmp_ne_u16_sdwa s[12:13], v5, v12 src0_sel:BYTE_0 src1_sel:DWORD
	s_and_saveexec_b64 s[10:11], s[12:13]
	s_cbranch_execz .LBB846_767
; %bb.762:
	s_movk_i32 s7, 0x80
	v_cmp_ne_u16_sdwa s[14:15], v5, s7 src0_sel:BYTE_0 src1_sel:DWORD
	v_mov_b32_e32 v12, 0xffff8000
	s_and_saveexec_b64 s[12:13], s[14:15]
	s_cbranch_execz .LBB846_766
; %bb.763:
	s_movk_i32 s7, 0x7f
	v_and_b32_e32 v2, 0x7f, v5
	v_cmp_ne_u32_e32 vcc, s7, v2
	v_mov_b32_e32 v12, 0x7f80
	s_and_saveexec_b64 s[14:15], vcc
	s_cbranch_execz .LBB846_765
; %bb.764:
	v_and_b32_e32 v12, 7, v5
	v_ffbh_u32_e32 v14, v12
	v_min_u32_e32 v17, 32, v14
	v_mov_b32_e32 v4, v5
	v_subrev_u32_e32 v14, 28, v17
	v_lshlrev_b64 v[14:15], v14, v[4:5]
	v_lshrrev_b32_e32 v16, 3, v2
	v_sub_u32_e32 v4, 29, v17
	v_and_b32_e32 v14, 7, v14
	v_cmp_gt_u32_e32 vcc, 8, v2
	v_cndmask_b32_e32 v2, v16, v4, vcc
	v_cndmask_b32_e32 v4, v12, v14, vcc
	v_lshlrev_b32_e32 v12, 24, v5
	v_bfrev_b32_e32 v14, 60
	v_lshlrev_b32_e32 v4, 20, v4
	v_and_b32_e32 v12, 0x80000000, v12
	v_lshl_add_u32 v2, v2, 23, v14
	v_or3_b32 v2, v12, v2, v4
	v_lshrrev_b32_e32 v12, 16, v2
.LBB846_765:
	s_or_b64 exec, exec, s[14:15]
.LBB846_766:
	s_or_b64 exec, exec, s[12:13]
.LBB846_767:
	s_or_b64 exec, exec, s[10:11]
	v_lshrrev_b16_e32 v2, 8, v5
	v_cmp_ne_u16_e32 vcc, 0, v2
	v_mov_b32_e32 v14, 0
	v_mov_b32_e32 v4, 0
	s_and_saveexec_b64 s[10:11], vcc
	s_cbranch_execz .LBB846_773
; %bb.768:
	s_movk_i32 s7, 0x80
	v_cmp_ne_u16_e32 vcc, s7, v2
	v_mov_b32_e32 v4, 0xffff8000
	s_and_saveexec_b64 s[12:13], vcc
	s_cbranch_execz .LBB846_772
; %bb.769:
	s_movk_i32 s7, 0x7f
	v_and_b32_e32 v15, 0x7f, v2
	v_cmp_ne_u32_e32 vcc, s7, v15
	v_mov_b32_e32 v4, 0x7f80
	s_and_saveexec_b64 s[14:15], vcc
	s_cbranch_execz .LBB846_771
; %bb.770:
	v_and_b32_e32 v4, 7, v2
	v_ffbh_u32_e32 v16, v4
	v_min_u32_e32 v19, 32, v16
	v_subrev_u32_e32 v16, 28, v19
	v_lshlrev_b64 v[16:17], v16, v[2:3]
	v_lshrrev_b32_e32 v18, 3, v15
	v_sub_u32_e32 v2, 29, v19
	v_and_b32_e32 v16, 7, v16
	v_cmp_gt_u32_e32 vcc, 8, v15
	v_cndmask_b32_e32 v2, v18, v2, vcc
	v_cndmask_b32_e32 v4, v4, v16, vcc
	v_lshlrev_b32_e32 v15, 16, v5
	v_bfrev_b32_e32 v16, 60
	v_lshlrev_b32_e32 v4, 20, v4
	v_and_b32_e32 v15, 0x80000000, v15
	v_lshl_add_u32 v2, v2, 23, v16
	v_or3_b32 v2, v15, v2, v4
	v_lshrrev_b32_e32 v4, 16, v2
.LBB846_771:
	s_or_b64 exec, exec, s[14:15]
.LBB846_772:
	s_or_b64 exec, exec, s[12:13]
.LBB846_773:
	s_or_b64 exec, exec, s[10:11]
	s_movk_i32 s7, 0xff
	v_and_b32_sdwa v15, v5, s7 dst_sel:DWORD dst_unused:UNUSED_PAD src0_sel:WORD_1 src1_sel:DWORD
	v_lshrrev_b32_e32 v2, 16, v5
	v_cmp_ne_u16_e32 vcc, 0, v15
	s_and_saveexec_b64 s[10:11], vcc
	s_cbranch_execz .LBB846_779
; %bb.774:
	s_movk_i32 s7, 0x80
	v_cmp_ne_u16_e32 vcc, s7, v15
	v_mov_b32_e32 v14, 0xffff8000
	s_and_saveexec_b64 s[12:13], vcc
	s_cbranch_execz .LBB846_778
; %bb.775:
	v_bfe_u32 v15, v5, 16, 7
	s_movk_i32 s7, 0x7f
	v_cmp_ne_u32_e32 vcc, s7, v15
	v_mov_b32_e32 v14, 0x7f80
	s_and_saveexec_b64 s[14:15], vcc
	s_cbranch_execz .LBB846_777
; %bb.776:
	v_and_b32_e32 v14, 7, v2
	v_ffbh_u32_e32 v16, v14
	v_min_u32_e32 v19, 32, v16
	v_subrev_u32_e32 v16, 28, v19
	v_lshlrev_b64 v[16:17], v16, v[2:3]
	v_lshrrev_b32_e32 v18, 3, v15
	v_sub_u32_e32 v2, 29, v19
	v_and_b32_e32 v16, 7, v16
	v_cmp_gt_u32_e32 vcc, 8, v15
	v_mov_b32_e32 v15, 24
	v_cndmask_b32_e32 v2, v18, v2, vcc
	v_cndmask_b32_e32 v14, v14, v16, vcc
	v_lshlrev_b32_sdwa v15, v15, v5 dst_sel:DWORD dst_unused:UNUSED_PAD src0_sel:DWORD src1_sel:WORD_1
	v_bfrev_b32_e32 v16, 60
	v_lshlrev_b32_e32 v14, 20, v14
	v_and_b32_e32 v15, 0x80000000, v15
	v_lshl_add_u32 v2, v2, 23, v16
	v_or3_b32 v2, v15, v2, v14
	v_lshrrev_b32_e32 v14, 16, v2
.LBB846_777:
	s_or_b64 exec, exec, s[14:15]
.LBB846_778:
	s_or_b64 exec, exec, s[12:13]
.LBB846_779:
	s_or_b64 exec, exec, s[10:11]
	s_mov_b32 s7, 0xffffff
	v_cmp_lt_u32_e32 vcc, s7, v5
	v_mov_b32_e32 v15, 0
	s_and_saveexec_b64 s[10:11], vcc
	s_cbranch_execz .LBB846_785
; %bb.780:
	v_lshrrev_b32_e32 v2, 24, v5
	s_movk_i32 s7, 0x80
	v_cmp_ne_u32_e32 vcc, s7, v2
	v_mov_b32_e32 v15, 0xffff8000
	s_and_saveexec_b64 s[12:13], vcc
	s_cbranch_execz .LBB846_784
; %bb.781:
	v_bfe_u32 v5, v5, 24, 7
	s_movk_i32 s7, 0x7f
	v_cmp_ne_u32_e32 vcc, s7, v5
	v_mov_b32_e32 v15, 0x7f80
	s_and_saveexec_b64 s[14:15], vcc
	s_cbranch_execz .LBB846_783
; %bb.782:
	v_and_b32_e32 v15, 7, v2
	v_ffbh_u32_e32 v16, v15
	v_min_u32_e32 v19, 32, v16
	v_subrev_u32_e32 v16, 28, v19
	v_lshlrev_b64 v[16:17], v16, v[2:3]
	v_lshrrev_b32_e32 v18, 3, v5
	v_sub_u32_e32 v17, 29, v19
	v_and_b32_e32 v16, 7, v16
	v_cmp_gt_u32_e32 vcc, 8, v5
	v_cndmask_b32_e32 v5, v18, v17, vcc
	v_cndmask_b32_e32 v15, v15, v16, vcc
	v_lshlrev_b32_e32 v2, 24, v2
	v_bfrev_b32_e32 v16, 60
	v_lshlrev_b32_e32 v15, 20, v15
	v_and_b32_e32 v2, 0x80000000, v2
	v_lshl_add_u32 v5, v5, 23, v16
	v_or3_b32 v2, v2, v5, v15
	v_lshrrev_b32_e32 v15, 16, v2
.LBB846_783:
	s_or_b64 exec, exec, s[14:15]
.LBB846_784:
	s_or_b64 exec, exec, s[12:13]
.LBB846_785:
	s_or_b64 exec, exec, s[10:11]
	s_mov_b32 s7, 0x5040100
	v_perm_b32 v11, v13, v11, s7
	ds_read_b128 v[16:19], v22 offset:6160
	v_perm_b32 v10, v3, v10, s7
	v_perm_b32 v3, v15, v14, s7
	;; [unrolled: 1-line block ×3, first 2 shown]
	s_waitcnt lgkmcnt(0)
	v_mfma_f32_16x16x16bf16_1k v[6:9], v[10:11], v[16:17], v[6:9]
	s_load_dword s10, s[46:47], 0x0
	s_movk_i32 s9, 0x7fff
	v_cmp_gt_u32_e32 vcc, 64, v0
	s_mov_b32 s7, 0x7060302
	s_and_b64 s[0:1], s[0:1], vcc
	s_and_b64 s[0:1], s[0:1], s[2:3]
	s_waitcnt lgkmcnt(0)
	v_mfma_f32_16x16x16bf16_1k v[2:5], v[2:3], v[18:19], v[6:9]
	s_barrier
	s_nop 7
	s_nop 1
	v_pk_mul_f32 v[4:5], v[4:5], s[10:11] op_sel_hi:[1,0]
	v_pk_mul_f32 v[2:3], v[2:3], s[10:11] op_sel_hi:[1,0]
	v_bfe_u32 v6, v3, 16, 1
	v_bfe_u32 v7, v2, 16, 1
	v_bfe_u32 v8, v5, 16, 1
	v_bfe_u32 v9, v4, 16, 1
	v_add3_u32 v2, v2, v7, s9
	v_add3_u32 v3, v3, v6, s9
	;; [unrolled: 1-line block ×4, first 2 shown]
	v_perm_b32 v2, v3, v2, s7
	v_perm_b32 v3, v5, v4, s7
	ds_write_b64 v26, v[2:3]
	s_waitcnt lgkmcnt(0)
	s_barrier
	s_and_saveexec_b64 s[2:3], s[0:1]
	s_cbranch_execz .LBB846_787
; %bb.786:
	s_load_dwordx2 s[0:1], s[4:5], 0x68
	s_mul_i32 s2, s49, s6
	s_lshl_b32 s4, s48, 6
	s_mul_hi_u32 s3, s2, s4
	s_mul_i32 s2, s2, s4
	s_lshl_b64 s[2:3], s[2:3], 1
	v_lshlrev_b32_e32 v0, 10, v0
	s_waitcnt lgkmcnt(0)
	s_add_u32 s2, s0, s2
	v_and_b32_e32 v0, 0x1800, v0
	v_lshlrev_b32_e32 v2, 5, v46
	v_and_b32_e32 v3, 16, v47
	s_addc_u32 s3, s1, s3
	s_lshl_b32 s0, s26, 6
	s_mov_b32 s1, 0
	v_or3_b32 v0, v0, v2, v3
	s_lshl_b64 s[0:1], s[0:1], 1
	ds_read_b128 v[2:5], v0
	s_add_u32 s2, s2, s0
	s_addc_u32 s3, s3, s1
	s_mul_hi_u32 s1, s4, s8
	s_mul_i32 s0, s4, s8
	s_lshl_b64 s[0:1], s[0:1], 1
	s_add_u32 s0, s2, s0
	s_addc_u32 s1, s3, s1
	s_waitcnt lgkmcnt(0)
	global_store_dwordx4 v1, v[2:5], s[0:1]
.LBB846_787:
	s_endpgm
	.section	.rodata,"a",@progbits
	.p2align	6, 0x0
	.amdhsa_kernel _Z39paged_attention_ll4mi_QKV_mfma16_kernelI14__hip_bfloat16hLN4vllm18Fp8KVCacheDataTypeE1ES0_Li16ELi64ELi256ELb1ELi1EL8MFMAType0EEvPKT_PKT0_S9_ifPKiSB_SB_iPKfiiiPfSE_PS4_PT2_iSD_SD_
		.amdhsa_group_segment_fixed_size 8192
		.amdhsa_private_segment_fixed_size 0
		.amdhsa_kernarg_size 400
		.amdhsa_user_sgpr_count 6
		.amdhsa_user_sgpr_private_segment_buffer 1
		.amdhsa_user_sgpr_dispatch_ptr 0
		.amdhsa_user_sgpr_queue_ptr 0
		.amdhsa_user_sgpr_kernarg_segment_ptr 1
		.amdhsa_user_sgpr_dispatch_id 0
		.amdhsa_user_sgpr_flat_scratch_init 0
		.amdhsa_user_sgpr_kernarg_preload_length 0
		.amdhsa_user_sgpr_kernarg_preload_offset 0
		.amdhsa_user_sgpr_private_segment_size 0
		.amdhsa_uses_dynamic_stack 0
		.amdhsa_system_sgpr_private_segment_wavefront_offset 0
		.amdhsa_system_sgpr_workgroup_id_x 1
		.amdhsa_system_sgpr_workgroup_id_y 1
		.amdhsa_system_sgpr_workgroup_id_z 1
		.amdhsa_system_sgpr_workgroup_info 0
		.amdhsa_system_vgpr_workitem_id 0
		.amdhsa_next_free_vgpr 62
		.amdhsa_next_free_sgpr 50
		.amdhsa_accum_offset 64
		.amdhsa_reserve_vcc 1
		.amdhsa_reserve_flat_scratch 0
		.amdhsa_float_round_mode_32 0
		.amdhsa_float_round_mode_16_64 0
		.amdhsa_float_denorm_mode_32 3
		.amdhsa_float_denorm_mode_16_64 3
		.amdhsa_dx10_clamp 1
		.amdhsa_ieee_mode 1
		.amdhsa_fp16_overflow 0
		.amdhsa_tg_split 0
		.amdhsa_exception_fp_ieee_invalid_op 0
		.amdhsa_exception_fp_denorm_src 0
		.amdhsa_exception_fp_ieee_div_zero 0
		.amdhsa_exception_fp_ieee_overflow 0
		.amdhsa_exception_fp_ieee_underflow 0
		.amdhsa_exception_fp_ieee_inexact 0
		.amdhsa_exception_int_div_zero 0
	.end_amdhsa_kernel
	.section	.text._Z39paged_attention_ll4mi_QKV_mfma16_kernelI14__hip_bfloat16hLN4vllm18Fp8KVCacheDataTypeE1ES0_Li16ELi64ELi256ELb1ELi1EL8MFMAType0EEvPKT_PKT0_S9_ifPKiSB_SB_iPKfiiiPfSE_PS4_PT2_iSD_SD_,"axG",@progbits,_Z39paged_attention_ll4mi_QKV_mfma16_kernelI14__hip_bfloat16hLN4vllm18Fp8KVCacheDataTypeE1ES0_Li16ELi64ELi256ELb1ELi1EL8MFMAType0EEvPKT_PKT0_S9_ifPKiSB_SB_iPKfiiiPfSE_PS4_PT2_iSD_SD_,comdat
.Lfunc_end846:
	.size	_Z39paged_attention_ll4mi_QKV_mfma16_kernelI14__hip_bfloat16hLN4vllm18Fp8KVCacheDataTypeE1ES0_Li16ELi64ELi256ELb1ELi1EL8MFMAType0EEvPKT_PKT0_S9_ifPKiSB_SB_iPKfiiiPfSE_PS4_PT2_iSD_SD_, .Lfunc_end846-_Z39paged_attention_ll4mi_QKV_mfma16_kernelI14__hip_bfloat16hLN4vllm18Fp8KVCacheDataTypeE1ES0_Li16ELi64ELi256ELb1ELi1EL8MFMAType0EEvPKT_PKT0_S9_ifPKiSB_SB_iPKfiiiPfSE_PS4_PT2_iSD_SD_
                                        ; -- End function
	.section	.AMDGPU.csdata,"",@progbits
; Kernel info:
; codeLenInByte = 28468
; NumSgprs: 54
; NumVgprs: 62
; NumAgprs: 0
; TotalNumVgprs: 62
; ScratchSize: 0
; MemoryBound: 0
; FloatMode: 240
; IeeeMode: 1
; LDSByteSize: 8192 bytes/workgroup (compile time only)
; SGPRBlocks: 6
; VGPRBlocks: 7
; NumSGPRsForWavesPerEU: 54
; NumVGPRsForWavesPerEU: 62
; AccumOffset: 64
; Occupancy: 8
; WaveLimiterHint : 1
; COMPUTE_PGM_RSRC2:SCRATCH_EN: 0
; COMPUTE_PGM_RSRC2:USER_SGPR: 6
; COMPUTE_PGM_RSRC2:TRAP_HANDLER: 0
; COMPUTE_PGM_RSRC2:TGID_X_EN: 1
; COMPUTE_PGM_RSRC2:TGID_Y_EN: 1
; COMPUTE_PGM_RSRC2:TGID_Z_EN: 1
; COMPUTE_PGM_RSRC2:TIDIG_COMP_CNT: 0
; COMPUTE_PGM_RSRC3_GFX90A:ACCUM_OFFSET: 15
; COMPUTE_PGM_RSRC3_GFX90A:TG_SPLIT: 0
	.section	.text._Z39paged_attention_ll4mi_QKV_mfma16_kernelI14__hip_bfloat16hLN4vllm18Fp8KVCacheDataTypeE1ES0_Li16ELi64ELi256ELb1ELi2EL8MFMAType0EEvPKT_PKT0_S9_ifPKiSB_SB_iPKfiiiPfSE_PS4_PT2_iSD_SD_,"axG",@progbits,_Z39paged_attention_ll4mi_QKV_mfma16_kernelI14__hip_bfloat16hLN4vllm18Fp8KVCacheDataTypeE1ES0_Li16ELi64ELi256ELb1ELi2EL8MFMAType0EEvPKT_PKT0_S9_ifPKiSB_SB_iPKfiiiPfSE_PS4_PT2_iSD_SD_,comdat
	.protected	_Z39paged_attention_ll4mi_QKV_mfma16_kernelI14__hip_bfloat16hLN4vllm18Fp8KVCacheDataTypeE1ES0_Li16ELi64ELi256ELb1ELi2EL8MFMAType0EEvPKT_PKT0_S9_ifPKiSB_SB_iPKfiiiPfSE_PS4_PT2_iSD_SD_ ; -- Begin function _Z39paged_attention_ll4mi_QKV_mfma16_kernelI14__hip_bfloat16hLN4vllm18Fp8KVCacheDataTypeE1ES0_Li16ELi64ELi256ELb1ELi2EL8MFMAType0EEvPKT_PKT0_S9_ifPKiSB_SB_iPKfiiiPfSE_PS4_PT2_iSD_SD_
	.globl	_Z39paged_attention_ll4mi_QKV_mfma16_kernelI14__hip_bfloat16hLN4vllm18Fp8KVCacheDataTypeE1ES0_Li16ELi64ELi256ELb1ELi2EL8MFMAType0EEvPKT_PKT0_S9_ifPKiSB_SB_iPKfiiiPfSE_PS4_PT2_iSD_SD_
	.p2align	8
	.type	_Z39paged_attention_ll4mi_QKV_mfma16_kernelI14__hip_bfloat16hLN4vllm18Fp8KVCacheDataTypeE1ES0_Li16ELi64ELi256ELb1ELi2EL8MFMAType0EEvPKT_PKT0_S9_ifPKiSB_SB_iPKfiiiPfSE_PS4_PT2_iSD_SD_,@function
_Z39paged_attention_ll4mi_QKV_mfma16_kernelI14__hip_bfloat16hLN4vllm18Fp8KVCacheDataTypeE1ES0_Li16ELi64ELi256ELb1ELi2EL8MFMAType0EEvPKT_PKT0_S9_ifPKiSB_SB_iPKfiiiPfSE_PS4_PT2_iSD_SD_: ; @_Z39paged_attention_ll4mi_QKV_mfma16_kernelI14__hip_bfloat16hLN4vllm18Fp8KVCacheDataTypeE1ES0_Li16ELi64ELi256ELb1ELi2EL8MFMAType0EEvPKT_PKT0_S9_ifPKiSB_SB_iPKfiiiPfSE_PS4_PT2_iSD_SD_
; %bb.0:
	s_load_dwordx2 s[0:1], s[4:5], 0x30
	s_mov_b32 s24, s7
	s_mov_b64 s[10:11], 0
	s_waitcnt lgkmcnt(0)
	s_cmp_lg_u64 s[0:1], 0
	s_cselect_b64 s[2:3], -1, 0
	s_and_b64 vcc, exec, s[2:3]
	s_cbranch_vccz .LBB847_7
; %bb.1:
	s_add_i32 s12, s6, 1
	s_mov_b32 s13, 0
	s_lshl_b64 s[14:15], s[12:13], 2
	s_add_u32 s14, s0, s14
	s_mov_b32 s7, s13
	s_addc_u32 s15, s1, s15
	s_lshl_b64 s[12:13], s[6:7], 2
	s_add_u32 s12, s0, s12
	s_addc_u32 s13, s1, s13
	s_load_dword s9, s[14:15], 0x0
	s_load_dword s16, s[12:13], 0x0
	s_waitcnt lgkmcnt(0)
	s_sub_i32 s9, s9, s16
	s_cmp_eq_u32 s9, 1
	s_cselect_b64 s[12:13], -1, 0
	s_andn2_b64 vcc, exec, s[10:11]
	s_cbranch_vccnz .LBB847_3
.LBB847_2:
	s_mov_b32 s7, 0
	s_mov_b64 s[12:13], -1
.LBB847_3:
	s_andn2_b64 vcc, exec, s[12:13]
	s_cbranch_vccnz .LBB847_787
; %bb.4:
	s_load_dwordx2 s[12:13], s[4:5], 0x28
	s_lshl_b64 s[10:11], s[6:7], 2
	s_waitcnt lgkmcnt(0)
	s_add_u32 s12, s12, s10
	s_addc_u32 s13, s13, s11
	s_load_dword s33, s[12:13], 0x0
	s_lshl_b32 s18, s24, 8
	s_waitcnt lgkmcnt(0)
	s_cmp_ge_i32 s18, s33
	s_cbranch_scc1 .LBB847_787
; %bb.5:
	s_add_i32 s14, s33, 15
	s_load_dwordx2 s[12:13], s[4:5], 0x20
	s_load_dword s9, s[4:5], 0x38
	s_ashr_i32 s15, s14, 31
	v_and_b32_e32 v1, 0xcf, v0
	s_lshr_b32 s15, s15, 28
	v_add_u32_e32 v1, s18, v1
	s_add_i32 s14, s14, s15
	v_ashrrev_i32_e32 v2, 31, v1
	s_ashr_i32 s21, s14, 4
	v_lshrrev_b32_e32 v4, 28, v2
	s_add_i32 s21, s21, -1
	v_add_u32_e32 v2, v1, v4
	s_waitcnt lgkmcnt(0)
	s_mul_i32 s14, s6, s9
	s_mov_b32 s15, 0
	v_ashrrev_i32_e32 v2, 4, v2
	v_mov_b32_e32 v5, s21
	v_cmp_gt_i32_e32 vcc, s33, v1
	s_lshl_b64 s[14:15], s[14:15], 2
	v_cndmask_b32_e32 v2, v5, v2, vcc
	s_add_u32 s19, s12, s14
	v_ashrrev_i32_e32 v3, 31, v2
	s_addc_u32 s20, s13, s15
	v_lshlrev_b64 v[2:3], 2, v[2:3]
	v_mov_b32_e32 v7, s20
	v_add_co_u32_e32 v6, vcc, s19, v2
	v_or_b32_e32 v2, 16, v1
	v_addc_co_u32_e32 v7, vcc, v7, v3, vcc
	v_add_u32_e32 v3, v2, v4
	v_ashrrev_i32_e32 v3, 4, v3
	v_cmp_gt_i32_e32 vcc, s33, v2
	v_cndmask_b32_e32 v2, v5, v3, vcc
	v_ashrrev_i32_e32 v3, 31, v2
	v_lshlrev_b64 v[2:3], 2, v[2:3]
	v_mov_b32_e32 v9, s20
	v_add_co_u32_e32 v8, vcc, s19, v2
	v_or_b32_e32 v2, 32, v1
	v_addc_co_u32_e32 v9, vcc, v9, v3, vcc
	v_add_u32_e32 v3, v2, v4
	v_ashrrev_i32_e32 v3, 4, v3
	v_cmp_gt_i32_e32 vcc, s33, v2
	v_cndmask_b32_e32 v2, v5, v3, vcc
	v_ashrrev_i32_e32 v3, 31, v2
	;; [unrolled: 10-line block ×3, first 2 shown]
	v_lshlrev_b64 v[2:3], 2, v[2:3]
	v_mov_b32_e32 v1, s20
	v_add_co_u32_e32 v12, vcc, s19, v2
	v_addc_co_u32_e32 v13, vcc, v1, v3, vcc
	global_load_dword v5, v[6:7], off
	global_load_dword v4, v[8:9], off
	;; [unrolled: 1-line block ×4, first 2 shown]
	s_load_dwordx2 s[16:17], s[4:5], 0x8
	s_andn2_b64 vcc, exec, s[2:3]
	s_cbranch_vccnz .LBB847_8
; %bb.6:
	s_add_u32 s0, s0, s10
	s_addc_u32 s1, s1, s11
	s_load_dword s9, s[0:1], 0x0
	s_branch .LBB847_9
.LBB847_7:
	s_mov_b64 s[12:13], 0
	s_branch .LBB847_2
.LBB847_8:
	s_mov_b32 s9, s6
.LBB847_9:
	s_load_dwordx2 s[2:3], s[4:5], 0x10
	s_load_dwordx4 s[12:15], s[4:5], 0x48
	v_lshrrev_b32_e32 v48, 6, v0
	v_bfe_u32 v1, v0, 4, 2
	v_lshl_or_b32 v6, v48, 2, v1
	v_and_b32_e32 v49, 15, v0
	v_lshlrev_b32_e32 v7, 3, v49
	v_cmp_gt_u32_e32 vcc, 2, v6
	v_cmp_gt_u32_e64 s[0:1], 8, v49
	s_lshl_b32 s25, s8, 1
	s_and_b64 s[22:23], s[0:1], vcc
	v_lshlrev_b32_e32 v46, 1, v7
	v_lshlrev_b32_e32 v47, 4, v0
	s_and_saveexec_b64 s[10:11], s[22:23]
	s_cbranch_execz .LBB847_11
; %bb.10:
	s_load_dwordx2 s[22:23], s[4:5], 0x0
	s_waitcnt lgkmcnt(0)
	s_ashr_i32 s15, s12, 31
	s_mul_hi_u32 s26, s9, s12
	s_mul_i32 s15, s9, s15
	s_add_i32 s27, s26, s15
	s_mul_i32 s26, s9, s12
	s_lshl_b64 s[26:27], s[26:27], 1
	v_add_lshl_u32 v8, v1, s25, 6
	s_add_u32 s9, s22, s26
	v_ashrrev_i32_e32 v9, 31, v8
	s_addc_u32 s12, s23, s27
	v_lshlrev_b64 v[8:9], 1, v[8:9]
	v_mov_b32_e32 v7, s12
	v_add_co_u32_e32 v8, vcc, s9, v8
	v_addc_co_u32_e32 v7, vcc, v7, v9, vcc
	v_add_co_u32_e32 v8, vcc, v8, v46
	v_addc_co_u32_e32 v9, vcc, 0, v7, vcc
	global_load_dwordx4 v[8:11], v[8:9], off
	v_lshlrev_b32_e32 v12, 8, v49
	v_lshlrev_b32_e32 v6, 5, v6
	v_and_b32_e32 v7, 16, v47
	v_and_b32_e32 v12, 0xe00, v12
	v_or3_b32 v6, v12, v6, v7
	s_waitcnt vmcnt(0)
	ds_write_b128 v6, v[8:11]
.LBB847_11:
	s_or_b64 exec, exec, s[10:11]
	s_waitcnt lgkmcnt(0)
	s_mul_i32 s10, s8, s14
	s_add_u32 s8, s16, s10
	s_addc_u32 s9, s17, 0
	v_and_b32_e32 v7, 0xf0, v47
	v_and_b32_e32 v6, 48, v0
	v_mov_b32_e32 v8, s9
	v_add_co_u32_e32 v7, vcc, s8, v7
	v_addc_co_u32_e32 v9, vcc, 0, v8, vcc
	v_lshlrev_b32_e32 v8, 4, v6
	v_add_co_u32_e32 v8, vcc, v7, v8
	v_addc_co_u32_e32 v9, vcc, 0, v9, vcc
	s_waitcnt vmcnt(3)
	v_mad_i64_i32 v[10:11], s[8:9], v5, s13, v[8:9]
	s_waitcnt vmcnt(2)
	v_mad_i64_i32 v[4:5], s[8:9], v4, s13, v[8:9]
	s_barrier
	global_load_dwordx4 v[34:37], v[10:11], off
	global_load_dwordx4 v[38:41], v[4:5], off
	s_waitcnt vmcnt(3)
	v_mad_i64_i32 v[4:5], s[8:9], v2, s13, v[8:9]
	s_waitcnt vmcnt(2)
	v_mad_i64_i32 v[2:3], s[8:9], v3, s13, v[8:9]
	global_load_dwordx4 v[30:33], v[4:5], off
	global_load_dwordx4 v[22:25], v[2:3], off
	v_and_b32_e32 v2, 1, v0
	v_lshlrev_b32_e32 v2, 5, v2
	v_lshl_or_b32 v2, v1, 9, v2
	ds_read_b128 v[26:29], v2
	ds_read_b128 v[18:21], v2 offset:16
	v_cmp_gt_u32_e32 vcc, 2, v49
	v_mov_b32_e32 v43, 0
	v_mov_b32_e32 v50, 0
	s_and_saveexec_b64 s[8:9], vcc
	s_cbranch_execz .LBB847_13
; %bb.12:
	s_load_dwordx2 s[14:15], s[4:5], 0x40
	v_or_b32_e32 v2, s25, v49
	v_ashrrev_i32_e32 v3, 31, v2
	v_lshlrev_b64 v[2:3], 2, v[2:3]
	s_waitcnt lgkmcnt(0)
	v_mov_b32_e32 v4, s15
	v_add_co_u32_e32 v2, vcc, s14, v2
	v_addc_co_u32_e32 v3, vcc, v4, v3, vcc
	global_load_dword v50, v[2:3], off
.LBB847_13:
	s_or_b64 exec, exec, s[8:9]
	v_or_b32_e32 v8, s18, v6
	v_ashrrev_i32_e32 v2, 4, v8
	v_mov_b32_e32 v9, s21
	v_cmp_gt_i32_e32 vcc, s33, v8
	v_cndmask_b32_e32 v2, v9, v2, vcc
	v_ashrrev_i32_e32 v3, 31, v2
	v_lshlrev_b64 v[2:3], 2, v[2:3]
	v_mov_b32_e32 v4, s20
	v_add_co_u32_e32 v2, vcc, s19, v2
	v_addc_co_u32_e32 v3, vcc, v4, v3, vcc
	v_or_b32_e32 v4, 64, v8
	v_ashrrev_i32_e32 v5, 4, v4
	v_cmp_gt_i32_e32 vcc, s33, v4
	v_cndmask_b32_e32 v4, v9, v5, vcc
	v_ashrrev_i32_e32 v5, 31, v4
	v_lshlrev_b64 v[4:5], 2, v[4:5]
	v_mov_b32_e32 v6, s20
	v_add_co_u32_e32 v4, vcc, s19, v4
	v_addc_co_u32_e32 v5, vcc, v6, v5, vcc
	v_or_b32_e32 v6, 0x80, v8
	v_ashrrev_i32_e32 v7, 4, v6
	v_cmp_gt_i32_e32 vcc, s33, v6
	v_cndmask_b32_e32 v6, v9, v7, vcc
	v_ashrrev_i32_e32 v7, 31, v6
	v_lshlrev_b64 v[6:7], 2, v[6:7]
	v_mov_b32_e32 v10, s20
	v_add_co_u32_e32 v6, vcc, s19, v6
	v_addc_co_u32_e32 v7, vcc, v10, v7, vcc
	global_load_dword v10, v[2:3], off
	global_load_dword v11, v[4:5], off
	;; [unrolled: 1-line block ×3, first 2 shown]
	v_or_b32_e32 v2, 0xc0, v8
	v_ashrrev_i32_e32 v3, 4, v2
	v_cmp_gt_i32_e32 vcc, s33, v2
	v_cndmask_b32_e32 v2, v9, v3, vcc
	v_ashrrev_i32_e32 v3, 31, v2
	v_lshlrev_b64 v[2:3], 2, v[2:3]
	v_mov_b32_e32 v4, s20
	v_add_co_u32_e32 v2, vcc, s19, v2
	v_addc_co_u32_e32 v3, vcc, v4, v3, vcc
	global_load_dword v13, v[2:3], off
	s_add_u32 s2, s2, s10
	v_lshlrev_b32_e32 v2, 4, v49
	s_addc_u32 s3, s3, 0
	v_lshl_or_b32 v2, v48, 8, v2
	v_mov_b32_e32 v3, s3
	v_add_co_u32_e32 v2, vcc, s2, v2
	v_addc_co_u32_e32 v3, vcc, 0, v3, vcc
	s_movk_i32 s8, 0x80
	s_waitcnt vmcnt(7)
	v_cmp_ne_u16_sdwa s[10:11], v34, v43 src0_sel:BYTE_0 src1_sel:DWORD
	s_waitcnt vmcnt(3)
	v_mad_i64_i32 v[4:5], s[2:3], v10, s13, v[2:3]
	s_waitcnt vmcnt(2)
	v_mad_i64_i32 v[6:7], s[2:3], v11, s13, v[2:3]
	;; [unrolled: 2-line block ×4, first 2 shown]
	global_load_dwordx4 v[14:17], v[4:5], off
	global_load_dwordx4 v[10:13], v[6:7], off
                                        ; kill: killed $vgpr6_vgpr7
                                        ; kill: killed $vgpr4_vgpr5
	s_nop 0
	global_load_dwordx4 v[6:9], v[8:9], off
	s_nop 0
	global_load_dwordx4 v[2:5], v[2:3], off
	s_load_dwordx4 s[40:43], s[4:5], 0x80
	s_load_dwordx2 s[44:45], s[4:5], 0x94
                                        ; kill: killed $sgpr40_sgpr41
	s_waitcnt lgkmcnt(0)
	s_load_dword s12, s[40:41], 0x0
	s_and_saveexec_b64 s[2:3], s[10:11]
	s_cbranch_execz .LBB847_19
; %bb.14:
	v_cmp_ne_u16_sdwa s[10:11], v34, s8 src0_sel:BYTE_0 src1_sel:DWORD
	v_mov_b32_e32 v43, 0xffff8000
	s_and_saveexec_b64 s[8:9], s[10:11]
	s_cbranch_execz .LBB847_18
; %bb.15:
	s_movk_i32 s10, 0x7f
	v_and_b32_e32 v42, 0x7f, v34
	v_cmp_ne_u32_e32 vcc, s10, v42
	v_mov_b32_e32 v43, 0x7f80
	s_and_saveexec_b64 s[10:11], vcc
	s_cbranch_execz .LBB847_17
; %bb.16:
	v_and_b32_e32 v43, 7, v34
	v_ffbh_u32_e32 v44, v43
	v_min_u32_e32 v52, 32, v44
	v_subrev_u32_e32 v44, 28, v52
	v_lshlrev_b64 v[44:45], v44, v[34:35]
	v_lshrrev_b32_e32 v51, 3, v42
	v_sub_u32_e32 v45, 29, v52
	v_and_b32_e32 v44, 7, v44
	v_cmp_gt_u32_e32 vcc, 8, v42
	v_cndmask_b32_e32 v42, v51, v45, vcc
	v_cndmask_b32_e32 v43, v43, v44, vcc
	v_lshlrev_b32_e32 v44, 24, v34
	v_bfrev_b32_e32 v45, 60
	v_lshlrev_b32_e32 v43, 20, v43
	v_and_b32_e32 v44, 0x80000000, v44
	v_lshl_add_u32 v42, v42, 23, v45
	v_or3_b32 v42, v44, v42, v43
	v_lshrrev_b32_e32 v43, 16, v42
.LBB847_17:
	s_or_b64 exec, exec, s[10:11]
.LBB847_18:
	s_or_b64 exec, exec, s[8:9]
.LBB847_19:
	s_or_b64 exec, exec, s[2:3]
	v_lshrrev_b16_e32 v42, 8, v34
	v_cmp_ne_u16_e32 vcc, 0, v42
	v_mov_b32_e32 v45, 0
	v_mov_b32_e32 v44, 0
	s_and_saveexec_b64 s[2:3], vcc
	s_cbranch_execz .LBB847_25
; %bb.20:
	s_movk_i32 s8, 0x80
	v_cmp_ne_u16_sdwa s[10:11], v34, s8 src0_sel:BYTE_1 src1_sel:DWORD
	v_mov_b32_e32 v44, 0xffff8000
	s_and_saveexec_b64 s[8:9], s[10:11]
	s_cbranch_execz .LBB847_24
; %bb.21:
	s_movk_i32 s10, 0x7f
	v_and_b32_e32 v51, 0x7f, v42
	v_cmp_ne_u32_e32 vcc, s10, v51
	v_mov_b32_e32 v44, 0x7f80
	s_and_saveexec_b64 s[10:11], vcc
	s_cbranch_execz .LBB847_23
; %bb.22:
	v_and_b32_e32 v44, 7, v42
	v_ffbh_u32_e32 v52, v44
	v_min_u32_e32 v55, 32, v52
	v_subrev_u32_e32 v52, 28, v55
	v_lshlrev_b64 v[52:53], v52, v[42:43]
	v_lshrrev_b32_e32 v54, 3, v51
	v_sub_u32_e32 v42, 29, v55
	v_and_b32_e32 v52, 7, v52
	v_cmp_gt_u32_e32 vcc, 8, v51
	v_cndmask_b32_e32 v42, v54, v42, vcc
	v_cndmask_b32_e32 v44, v44, v52, vcc
	v_lshlrev_b32_e32 v51, 16, v34
	v_bfrev_b32_e32 v52, 60
	v_lshlrev_b32_e32 v44, 20, v44
	v_and_b32_e32 v51, 0x80000000, v51
	v_lshl_add_u32 v42, v42, 23, v52
	v_or3_b32 v42, v51, v42, v44
	v_lshrrev_b32_e32 v44, 16, v42
.LBB847_23:
	s_or_b64 exec, exec, s[10:11]
.LBB847_24:
	s_or_b64 exec, exec, s[8:9]
.LBB847_25:
	s_or_b64 exec, exec, s[2:3]
	s_movk_i32 s2, 0xff
	v_and_b32_sdwa v51, v34, s2 dst_sel:DWORD dst_unused:UNUSED_PAD src0_sel:WORD_1 src1_sel:DWORD
	v_lshrrev_b32_e32 v42, 16, v34
	v_cmp_ne_u16_e32 vcc, 0, v51
	s_and_saveexec_b64 s[2:3], vcc
	s_cbranch_execz .LBB847_31
; %bb.26:
	s_movk_i32 s8, 0x80
	v_cmp_ne_u16_e32 vcc, s8, v51
	v_mov_b32_e32 v45, 0xffff8000
	s_and_saveexec_b64 s[8:9], vcc
	s_cbranch_execz .LBB847_30
; %bb.27:
	v_bfe_u32 v51, v34, 16, 7
	s_movk_i32 s10, 0x7f
	v_cmp_ne_u32_e32 vcc, s10, v51
	v_mov_b32_e32 v45, 0x7f80
	s_and_saveexec_b64 s[10:11], vcc
	s_cbranch_execz .LBB847_29
; %bb.28:
	v_and_b32_e32 v45, 7, v42
	v_ffbh_u32_e32 v52, v45
	v_min_u32_e32 v55, 32, v52
	v_subrev_u32_e32 v52, 28, v55
	v_lshlrev_b64 v[52:53], v52, v[42:43]
	v_lshrrev_b32_e32 v54, 3, v51
	v_sub_u32_e32 v42, 29, v55
	v_and_b32_e32 v52, 7, v52
	v_cmp_gt_u32_e32 vcc, 8, v51
	v_mov_b32_e32 v51, 24
	v_cndmask_b32_e32 v42, v54, v42, vcc
	v_cndmask_b32_e32 v45, v45, v52, vcc
	v_lshlrev_b32_sdwa v51, v51, v34 dst_sel:DWORD dst_unused:UNUSED_PAD src0_sel:DWORD src1_sel:WORD_1
	v_bfrev_b32_e32 v52, 60
	v_lshlrev_b32_e32 v45, 20, v45
	v_and_b32_e32 v51, 0x80000000, v51
	v_lshl_add_u32 v42, v42, 23, v52
	v_or3_b32 v42, v51, v42, v45
	v_lshrrev_b32_e32 v45, 16, v42
.LBB847_29:
	s_or_b64 exec, exec, s[10:11]
.LBB847_30:
	s_or_b64 exec, exec, s[8:9]
.LBB847_31:
	s_or_b64 exec, exec, s[2:3]
	s_mov_b32 s2, 0xffffff
	v_cmp_lt_u32_e32 vcc, s2, v34
	v_mov_b32_e32 v52, 0
	v_mov_b32_e32 v53, 0
	s_and_saveexec_b64 s[2:3], vcc
	s_cbranch_execz .LBB847_37
; %bb.32:
	v_lshrrev_b32_e32 v42, 24, v34
	s_movk_i32 s8, 0x80
	v_cmp_ne_u32_e32 vcc, s8, v42
	v_mov_b32_e32 v53, 0xffff8000
	s_and_saveexec_b64 s[8:9], vcc
	s_cbranch_execz .LBB847_36
; %bb.33:
	v_bfe_u32 v34, v34, 24, 7
	s_movk_i32 s10, 0x7f
	v_cmp_ne_u32_e32 vcc, s10, v34
	v_mov_b32_e32 v53, 0x7f80
	s_and_saveexec_b64 s[10:11], vcc
	s_cbranch_execz .LBB847_35
; %bb.34:
	v_and_b32_e32 v51, 7, v42
	v_ffbh_u32_e32 v54, v51
	v_min_u32_e32 v56, 32, v54
	v_subrev_u32_e32 v54, 28, v56
	v_lshlrev_b64 v[54:55], v54, v[42:43]
	v_lshrrev_b32_e32 v53, 3, v34
	v_sub_u32_e32 v55, 29, v56
	v_and_b32_e32 v54, 7, v54
	v_cmp_gt_u32_e32 vcc, 8, v34
	v_cndmask_b32_e32 v34, v53, v55, vcc
	v_cndmask_b32_e32 v51, v51, v54, vcc
	v_lshlrev_b32_e32 v42, 24, v42
	v_bfrev_b32_e32 v53, 60
	v_lshlrev_b32_e32 v51, 20, v51
	v_and_b32_e32 v42, 0x80000000, v42
	v_lshl_add_u32 v34, v34, 23, v53
	v_or3_b32 v34, v42, v34, v51
	v_lshrrev_b32_e32 v53, 16, v34
.LBB847_35:
	s_or_b64 exec, exec, s[10:11]
.LBB847_36:
	s_or_b64 exec, exec, s[8:9]
.LBB847_37:
	s_or_b64 exec, exec, s[2:3]
	v_cmp_ne_u16_sdwa s[8:9], v35, v52 src0_sel:BYTE_0 src1_sel:DWORD
	s_and_saveexec_b64 s[2:3], s[8:9]
	s_cbranch_execz .LBB847_43
; %bb.38:
	s_movk_i32 s8, 0x80
	v_cmp_ne_u16_sdwa s[10:11], v35, s8 src0_sel:BYTE_0 src1_sel:DWORD
	v_mov_b32_e32 v52, 0xffff8000
	s_and_saveexec_b64 s[8:9], s[10:11]
	s_cbranch_execz .LBB847_42
; %bb.39:
	s_movk_i32 s10, 0x7f
	v_and_b32_e32 v34, 0x7f, v35
	v_cmp_ne_u32_e32 vcc, s10, v34
	v_mov_b32_e32 v52, 0x7f80
	s_and_saveexec_b64 s[10:11], vcc
	s_cbranch_execz .LBB847_41
; %bb.40:
	v_and_b32_e32 v51, 7, v35
	v_ffbh_u32_e32 v54, v51
	v_min_u32_e32 v56, 32, v54
	v_mov_b32_e32 v42, v35
	v_subrev_u32_e32 v54, 28, v56
	v_lshlrev_b64 v[54:55], v54, v[42:43]
	v_lshrrev_b32_e32 v52, 3, v34
	v_sub_u32_e32 v42, 29, v56
	v_and_b32_e32 v54, 7, v54
	v_cmp_gt_u32_e32 vcc, 8, v34
	v_cndmask_b32_e32 v34, v52, v42, vcc
	v_cndmask_b32_e32 v42, v51, v54, vcc
	v_lshlrev_b32_e32 v51, 24, v35
	v_bfrev_b32_e32 v52, 60
	v_lshlrev_b32_e32 v42, 20, v42
	v_and_b32_e32 v51, 0x80000000, v51
	v_lshl_add_u32 v34, v34, 23, v52
	v_or3_b32 v34, v51, v34, v42
	v_lshrrev_b32_e32 v52, 16, v34
.LBB847_41:
	s_or_b64 exec, exec, s[10:11]
.LBB847_42:
	s_or_b64 exec, exec, s[8:9]
.LBB847_43:
	s_or_b64 exec, exec, s[2:3]
	v_lshrrev_b16_e32 v34, 8, v35
	v_cmp_ne_u16_e32 vcc, 0, v34
	v_mov_b32_e32 v54, 0
	v_mov_b32_e32 v42, 0
	s_and_saveexec_b64 s[2:3], vcc
	s_cbranch_execz .LBB847_49
; %bb.44:
	s_movk_i32 s8, 0x80
	v_cmp_ne_u16_e32 vcc, s8, v34
	v_mov_b32_e32 v42, 0xffff8000
	s_and_saveexec_b64 s[8:9], vcc
	s_cbranch_execz .LBB847_48
; %bb.45:
	s_movk_i32 s10, 0x7f
	v_and_b32_e32 v51, 0x7f, v34
	v_cmp_ne_u32_e32 vcc, s10, v51
	v_mov_b32_e32 v42, 0x7f80
	s_and_saveexec_b64 s[10:11], vcc
	s_cbranch_execz .LBB847_47
; %bb.46:
	v_and_b32_e32 v42, 7, v34
	v_ffbh_u32_e32 v56, v42
	v_min_u32_e32 v58, 32, v56
	v_subrev_u32_e32 v56, 28, v58
	v_lshlrev_b64 v[56:57], v56, v[34:35]
	v_lshrrev_b32_e32 v55, 3, v51
	v_sub_u32_e32 v34, 29, v58
	v_and_b32_e32 v56, 7, v56
	v_cmp_gt_u32_e32 vcc, 8, v51
	v_cndmask_b32_e32 v34, v55, v34, vcc
	v_cndmask_b32_e32 v42, v42, v56, vcc
	v_lshlrev_b32_e32 v51, 16, v35
	v_bfrev_b32_e32 v55, 60
	v_lshlrev_b32_e32 v42, 20, v42
	v_and_b32_e32 v51, 0x80000000, v51
	v_lshl_add_u32 v34, v34, 23, v55
	v_or3_b32 v34, v51, v34, v42
	v_lshrrev_b32_e32 v42, 16, v34
.LBB847_47:
	s_or_b64 exec, exec, s[10:11]
.LBB847_48:
	s_or_b64 exec, exec, s[8:9]
.LBB847_49:
	s_or_b64 exec, exec, s[2:3]
	s_movk_i32 s2, 0xff
	v_and_b32_sdwa v51, v35, s2 dst_sel:DWORD dst_unused:UNUSED_PAD src0_sel:WORD_1 src1_sel:DWORD
	v_lshrrev_b32_e32 v34, 16, v35
	v_cmp_ne_u16_e32 vcc, 0, v51
	s_and_saveexec_b64 s[2:3], vcc
	s_cbranch_execz .LBB847_55
; %bb.50:
	s_movk_i32 s8, 0x80
	v_cmp_ne_u16_e32 vcc, s8, v51
	v_mov_b32_e32 v54, 0xffff8000
	s_and_saveexec_b64 s[8:9], vcc
	s_cbranch_execz .LBB847_54
; %bb.51:
	v_bfe_u32 v51, v35, 16, 7
	s_movk_i32 s10, 0x7f
	v_cmp_ne_u32_e32 vcc, s10, v51
	v_mov_b32_e32 v54, 0x7f80
	s_and_saveexec_b64 s[10:11], vcc
	s_cbranch_execz .LBB847_53
; %bb.52:
	v_and_b32_e32 v56, 7, v34
	v_ffbh_u32_e32 v54, v56
	v_min_u32_e32 v58, 32, v54
	v_subrev_u32_e32 v54, 28, v58
	v_lshlrev_b64 v[54:55], v54, v[34:35]
	v_and_b32_e32 v54, 7, v54
	v_cmp_gt_u32_e32 vcc, 8, v51
	v_lshrrev_b32_e32 v57, 3, v51
	v_sub_u32_e32 v34, 29, v58
	v_cndmask_b32_e32 v51, v56, v54, vcc
	v_mov_b32_e32 v54, 24
	v_cndmask_b32_e32 v34, v57, v34, vcc
	v_lshlrev_b32_sdwa v54, v54, v35 dst_sel:DWORD dst_unused:UNUSED_PAD src0_sel:DWORD src1_sel:WORD_1
	v_bfrev_b32_e32 v55, 60
	v_lshlrev_b32_e32 v51, 20, v51
	v_and_b32_e32 v54, 0x80000000, v54
	v_lshl_add_u32 v34, v34, 23, v55
	v_or3_b32 v34, v54, v34, v51
	v_lshrrev_b32_e32 v54, 16, v34
.LBB847_53:
	s_or_b64 exec, exec, s[10:11]
.LBB847_54:
	s_or_b64 exec, exec, s[8:9]
.LBB847_55:
	s_or_b64 exec, exec, s[2:3]
	s_mov_b32 s2, 0xffffff
	v_cmp_lt_u32_e32 vcc, s2, v35
	v_mov_b32_e32 v51, 0
	v_mov_b32_e32 v55, 0
	s_and_saveexec_b64 s[2:3], vcc
	s_cbranch_execz .LBB847_61
; %bb.56:
	v_lshrrev_b32_e32 v34, 24, v35
	s_movk_i32 s8, 0x80
	v_cmp_ne_u32_e32 vcc, s8, v34
	v_mov_b32_e32 v55, 0xffff8000
	s_and_saveexec_b64 s[8:9], vcc
	s_cbranch_execz .LBB847_60
; %bb.57:
	v_bfe_u32 v35, v35, 24, 7
	s_movk_i32 s10, 0x7f
	v_cmp_ne_u32_e32 vcc, s10, v35
	v_mov_b32_e32 v55, 0x7f80
	s_and_saveexec_b64 s[10:11], vcc
	s_cbranch_execz .LBB847_59
; %bb.58:
	v_and_b32_e32 v55, 7, v34
	v_ffbh_u32_e32 v56, v55
	v_min_u32_e32 v59, 32, v56
	v_subrev_u32_e32 v56, 28, v59
	v_lshlrev_b64 v[56:57], v56, v[34:35]
	v_lshrrev_b32_e32 v58, 3, v35
	v_sub_u32_e32 v57, 29, v59
	v_and_b32_e32 v56, 7, v56
	v_cmp_gt_u32_e32 vcc, 8, v35
	v_cndmask_b32_e32 v35, v58, v57, vcc
	v_cndmask_b32_e32 v55, v55, v56, vcc
	v_lshlrev_b32_e32 v34, 24, v34
	v_bfrev_b32_e32 v56, 60
	v_lshlrev_b32_e32 v55, 20, v55
	v_and_b32_e32 v34, 0x80000000, v34
	v_lshl_add_u32 v35, v35, 23, v56
	v_or3_b32 v34, v34, v35, v55
	v_lshrrev_b32_e32 v55, 16, v34
.LBB847_59:
	s_or_b64 exec, exec, s[10:11]
.LBB847_60:
	s_or_b64 exec, exec, s[8:9]
.LBB847_61:
	s_or_b64 exec, exec, s[2:3]
	s_mov_b32 s2, 0x5040100
	v_perm_b32 v35, v53, v45, s2
	v_perm_b32 v34, v44, v43, s2
	v_cmp_ne_u16_sdwa s[8:9], v36, v51 src0_sel:BYTE_0 src1_sel:DWORD
	s_nop 0
	v_mfma_f32_16x16x16bf16_1k v[56:59], v[34:35], v[26:27], 0
	v_perm_b32 v35, v55, v54, s2
	v_perm_b32 v34, v42, v52, s2
	s_nop 1
	v_mfma_f32_16x16x16bf16_1k v[42:45], v[34:35], v[28:29], v[56:59]
	s_and_saveexec_b64 s[2:3], s[8:9]
	s_cbranch_execz .LBB847_67
; %bb.62:
	s_movk_i32 s8, 0x80
	v_cmp_ne_u16_sdwa s[10:11], v36, s8 src0_sel:BYTE_0 src1_sel:DWORD
	v_mov_b32_e32 v51, 0xffff8000
	s_and_saveexec_b64 s[8:9], s[10:11]
	s_cbranch_execz .LBB847_66
; %bb.63:
	s_movk_i32 s10, 0x7f
	v_and_b32_e32 v34, 0x7f, v36
	v_cmp_ne_u32_e32 vcc, s10, v34
	v_mov_b32_e32 v51, 0x7f80
	s_and_saveexec_b64 s[10:11], vcc
	s_cbranch_execz .LBB847_65
; %bb.64:
	v_and_b32_e32 v35, 7, v36
	v_ffbh_u32_e32 v52, v35
	v_min_u32_e32 v54, 32, v52
	v_subrev_u32_e32 v52, 28, v54
	v_lshlrev_b64 v[52:53], v52, v[36:37]
	v_lshrrev_b32_e32 v51, 3, v34
	v_sub_u32_e32 v53, 29, v54
	v_and_b32_e32 v52, 7, v52
	v_cmp_gt_u32_e32 vcc, 8, v34
	v_cndmask_b32_e32 v34, v51, v53, vcc
	v_cndmask_b32_e32 v35, v35, v52, vcc
	v_lshlrev_b32_e32 v51, 24, v36
	v_bfrev_b32_e32 v52, 60
	v_lshlrev_b32_e32 v35, 20, v35
	v_and_b32_e32 v51, 0x80000000, v51
	v_lshl_add_u32 v34, v34, 23, v52
	v_or3_b32 v34, v51, v34, v35
	v_lshrrev_b32_e32 v51, 16, v34
.LBB847_65:
	s_or_b64 exec, exec, s[10:11]
.LBB847_66:
	s_or_b64 exec, exec, s[8:9]
.LBB847_67:
	s_or_b64 exec, exec, s[2:3]
	v_lshrrev_b16_e32 v34, 8, v36
	v_cmp_ne_u16_e32 vcc, 0, v34
	v_mov_b32_e32 v53, 0
	v_mov_b32_e32 v35, 0
	s_and_saveexec_b64 s[2:3], vcc
	s_cbranch_execz .LBB847_73
; %bb.68:
	s_movk_i32 s8, 0x80
	v_cmp_ne_u16_e32 vcc, s8, v34
	v_mov_b32_e32 v35, 0xffff8000
	s_and_saveexec_b64 s[8:9], vcc
	s_cbranch_execz .LBB847_72
; %bb.69:
	s_movk_i32 s10, 0x7f
	v_and_b32_e32 v52, 0x7f, v34
	v_cmp_ne_u32_e32 vcc, s10, v52
	v_mov_b32_e32 v35, 0x7f80
	s_and_saveexec_b64 s[10:11], vcc
	s_cbranch_execz .LBB847_71
; %bb.70:
	v_and_b32_e32 v54, 7, v34
	v_ffbh_u32_e32 v35, v54
	v_min_u32_e32 v56, 32, v35
	v_subrev_u32_e32 v35, 28, v56
	v_lshlrev_b64 v[34:35], v35, v[34:35]
	v_lshrrev_b32_e32 v55, 3, v52
	v_sub_u32_e32 v35, 29, v56
	v_and_b32_e32 v34, 7, v34
	v_cmp_gt_u32_e32 vcc, 8, v52
	v_cndmask_b32_e32 v35, v55, v35, vcc
	v_cndmask_b32_e32 v34, v54, v34, vcc
	v_lshlrev_b32_e32 v52, 16, v36
	v_bfrev_b32_e32 v54, 60
	v_lshlrev_b32_e32 v34, 20, v34
	v_and_b32_e32 v52, 0x80000000, v52
	v_lshl_add_u32 v35, v35, 23, v54
	v_or3_b32 v34, v52, v35, v34
	v_lshrrev_b32_e32 v35, 16, v34
.LBB847_71:
	s_or_b64 exec, exec, s[10:11]
.LBB847_72:
	s_or_b64 exec, exec, s[8:9]
.LBB847_73:
	s_or_b64 exec, exec, s[2:3]
	s_movk_i32 s2, 0xff
	v_and_b32_sdwa v52, v36, s2 dst_sel:DWORD dst_unused:UNUSED_PAD src0_sel:WORD_1 src1_sel:DWORD
	v_lshrrev_b32_e32 v34, 16, v36
	v_cmp_ne_u16_e32 vcc, 0, v52
	s_and_saveexec_b64 s[2:3], vcc
	s_cbranch_execz .LBB847_79
; %bb.74:
	s_movk_i32 s8, 0x80
	v_cmp_ne_u16_e32 vcc, s8, v52
	v_mov_b32_e32 v53, 0xffff8000
	s_and_saveexec_b64 s[8:9], vcc
	s_cbranch_execz .LBB847_78
; %bb.75:
	v_bfe_u32 v52, v36, 16, 7
	s_movk_i32 s10, 0x7f
	v_cmp_ne_u32_e32 vcc, s10, v52
	v_mov_b32_e32 v53, 0x7f80
	s_and_saveexec_b64 s[10:11], vcc
	s_cbranch_execz .LBB847_77
; %bb.76:
	v_and_b32_e32 v53, 7, v34
	v_ffbh_u32_e32 v54, v53
	v_min_u32_e32 v57, 32, v54
	v_subrev_u32_e32 v54, 28, v57
	v_lshlrev_b64 v[54:55], v54, v[34:35]
	v_and_b32_e32 v54, 7, v54
	v_cmp_gt_u32_e32 vcc, 8, v52
	v_lshrrev_b32_e32 v56, 3, v52
	v_sub_u32_e32 v34, 29, v57
	v_cndmask_b32_e32 v52, v53, v54, vcc
	v_mov_b32_e32 v53, 24
	v_cndmask_b32_e32 v34, v56, v34, vcc
	v_lshlrev_b32_sdwa v53, v53, v36 dst_sel:DWORD dst_unused:UNUSED_PAD src0_sel:DWORD src1_sel:WORD_1
	v_bfrev_b32_e32 v54, 60
	v_lshlrev_b32_e32 v52, 20, v52
	v_and_b32_e32 v53, 0x80000000, v53
	v_lshl_add_u32 v34, v34, 23, v54
	v_or3_b32 v34, v53, v34, v52
	v_lshrrev_b32_e32 v53, 16, v34
.LBB847_77:
	s_or_b64 exec, exec, s[10:11]
.LBB847_78:
	s_or_b64 exec, exec, s[8:9]
.LBB847_79:
	s_or_b64 exec, exec, s[2:3]
	s_mov_b32 s2, 0xffffff
	v_cmp_lt_u32_e32 vcc, s2, v36
	v_mov_b32_e32 v54, 0
	v_mov_b32_e32 v55, 0
	s_and_saveexec_b64 s[2:3], vcc
	s_cbranch_execz .LBB847_85
; %bb.80:
	v_lshrrev_b32_e32 v34, 24, v36
	s_movk_i32 s8, 0x80
	v_cmp_ne_u32_e32 vcc, s8, v34
	v_mov_b32_e32 v55, 0xffff8000
	s_and_saveexec_b64 s[8:9], vcc
	s_cbranch_execz .LBB847_84
; %bb.81:
	v_bfe_u32 v36, v36, 24, 7
	s_movk_i32 s10, 0x7f
	v_cmp_ne_u32_e32 vcc, s10, v36
	v_mov_b32_e32 v55, 0x7f80
	s_and_saveexec_b64 s[10:11], vcc
	s_cbranch_execz .LBB847_83
; %bb.82:
	v_and_b32_e32 v52, 7, v34
	v_ffbh_u32_e32 v56, v52
	v_min_u32_e32 v58, 32, v56
	v_subrev_u32_e32 v56, 28, v58
	v_lshlrev_b64 v[56:57], v56, v[34:35]
	v_lshrrev_b32_e32 v55, 3, v36
	v_sub_u32_e32 v57, 29, v58
	v_and_b32_e32 v56, 7, v56
	v_cmp_gt_u32_e32 vcc, 8, v36
	v_cndmask_b32_e32 v36, v55, v57, vcc
	v_cndmask_b32_e32 v52, v52, v56, vcc
	v_lshlrev_b32_e32 v34, 24, v34
	v_bfrev_b32_e32 v55, 60
	v_lshlrev_b32_e32 v52, 20, v52
	v_and_b32_e32 v34, 0x80000000, v34
	v_lshl_add_u32 v36, v36, 23, v55
	v_or3_b32 v34, v34, v36, v52
	v_lshrrev_b32_e32 v55, 16, v34
.LBB847_83:
	s_or_b64 exec, exec, s[10:11]
.LBB847_84:
	s_or_b64 exec, exec, s[8:9]
.LBB847_85:
	s_or_b64 exec, exec, s[2:3]
	v_cmp_ne_u16_sdwa s[8:9], v37, v54 src0_sel:BYTE_0 src1_sel:DWORD
	s_and_saveexec_b64 s[2:3], s[8:9]
	s_cbranch_execz .LBB847_91
; %bb.86:
	s_movk_i32 s8, 0x80
	v_cmp_ne_u16_sdwa s[10:11], v37, s8 src0_sel:BYTE_0 src1_sel:DWORD
	v_mov_b32_e32 v54, 0xffff8000
	s_and_saveexec_b64 s[8:9], s[10:11]
	s_cbranch_execz .LBB847_90
; %bb.87:
	s_movk_i32 s10, 0x7f
	v_and_b32_e32 v34, 0x7f, v37
	v_cmp_ne_u32_e32 vcc, s10, v34
	v_mov_b32_e32 v54, 0x7f80
	s_and_saveexec_b64 s[10:11], vcc
	s_cbranch_execz .LBB847_89
; %bb.88:
	v_and_b32_e32 v52, 7, v37
	v_ffbh_u32_e32 v56, v52
	v_min_u32_e32 v58, 32, v56
	v_mov_b32_e32 v36, v37
	v_subrev_u32_e32 v56, 28, v58
	v_lshlrev_b64 v[56:57], v56, v[36:37]
	v_lshrrev_b32_e32 v54, 3, v34
	v_sub_u32_e32 v36, 29, v58
	v_and_b32_e32 v56, 7, v56
	v_cmp_gt_u32_e32 vcc, 8, v34
	v_cndmask_b32_e32 v34, v54, v36, vcc
	v_cndmask_b32_e32 v36, v52, v56, vcc
	v_lshlrev_b32_e32 v52, 24, v37
	v_bfrev_b32_e32 v54, 60
	v_lshlrev_b32_e32 v36, 20, v36
	v_and_b32_e32 v52, 0x80000000, v52
	v_lshl_add_u32 v34, v34, 23, v54
	v_or3_b32 v34, v52, v34, v36
	v_lshrrev_b32_e32 v54, 16, v34
.LBB847_89:
	s_or_b64 exec, exec, s[10:11]
.LBB847_90:
	s_or_b64 exec, exec, s[8:9]
.LBB847_91:
	s_or_b64 exec, exec, s[2:3]
	v_lshrrev_b16_e32 v34, 8, v37
	v_cmp_ne_u16_e32 vcc, 0, v34
	v_mov_b32_e32 v56, 0
	v_mov_b32_e32 v36, 0
	s_and_saveexec_b64 s[2:3], vcc
	s_cbranch_execz .LBB847_97
; %bb.92:
	s_movk_i32 s8, 0x80
	v_cmp_ne_u16_e32 vcc, s8, v34
	v_mov_b32_e32 v36, 0xffff8000
	s_and_saveexec_b64 s[8:9], vcc
	s_cbranch_execz .LBB847_96
; %bb.93:
	s_movk_i32 s10, 0x7f
	v_and_b32_e32 v52, 0x7f, v34
	v_cmp_ne_u32_e32 vcc, s10, v52
	v_mov_b32_e32 v36, 0x7f80
	s_and_saveexec_b64 s[10:11], vcc
	s_cbranch_execz .LBB847_95
; %bb.94:
	v_and_b32_e32 v36, 7, v34
	v_ffbh_u32_e32 v58, v36
	v_min_u32_e32 v60, 32, v58
	v_subrev_u32_e32 v58, 28, v60
	v_lshlrev_b64 v[58:59], v58, v[34:35]
	v_lshrrev_b32_e32 v57, 3, v52
	v_sub_u32_e32 v34, 29, v60
	v_and_b32_e32 v58, 7, v58
	v_cmp_gt_u32_e32 vcc, 8, v52
	v_cndmask_b32_e32 v34, v57, v34, vcc
	v_cndmask_b32_e32 v36, v36, v58, vcc
	v_lshlrev_b32_e32 v52, 16, v37
	v_bfrev_b32_e32 v57, 60
	v_lshlrev_b32_e32 v36, 20, v36
	v_and_b32_e32 v52, 0x80000000, v52
	v_lshl_add_u32 v34, v34, 23, v57
	v_or3_b32 v34, v52, v34, v36
	v_lshrrev_b32_e32 v36, 16, v34
.LBB847_95:
	s_or_b64 exec, exec, s[10:11]
.LBB847_96:
	s_or_b64 exec, exec, s[8:9]
.LBB847_97:
	s_or_b64 exec, exec, s[2:3]
	s_movk_i32 s2, 0xff
	v_and_b32_sdwa v52, v37, s2 dst_sel:DWORD dst_unused:UNUSED_PAD src0_sel:WORD_1 src1_sel:DWORD
	v_lshrrev_b32_e32 v34, 16, v37
	v_cmp_ne_u16_e32 vcc, 0, v52
	s_and_saveexec_b64 s[2:3], vcc
	s_cbranch_execz .LBB847_103
; %bb.98:
	s_movk_i32 s8, 0x80
	v_cmp_ne_u16_e32 vcc, s8, v52
	v_mov_b32_e32 v56, 0xffff8000
	s_and_saveexec_b64 s[8:9], vcc
	s_cbranch_execz .LBB847_102
; %bb.99:
	v_bfe_u32 v52, v37, 16, 7
	s_movk_i32 s10, 0x7f
	v_cmp_ne_u32_e32 vcc, s10, v52
	v_mov_b32_e32 v56, 0x7f80
	s_and_saveexec_b64 s[10:11], vcc
	s_cbranch_execz .LBB847_101
; %bb.100:
	v_and_b32_e32 v58, 7, v34
	v_ffbh_u32_e32 v56, v58
	v_min_u32_e32 v60, 32, v56
	v_subrev_u32_e32 v56, 28, v60
	v_lshlrev_b64 v[56:57], v56, v[34:35]
	v_and_b32_e32 v56, 7, v56
	v_cmp_gt_u32_e32 vcc, 8, v52
	v_lshrrev_b32_e32 v59, 3, v52
	v_sub_u32_e32 v34, 29, v60
	v_cndmask_b32_e32 v52, v58, v56, vcc
	v_mov_b32_e32 v56, 24
	v_cndmask_b32_e32 v34, v59, v34, vcc
	v_lshlrev_b32_sdwa v56, v56, v37 dst_sel:DWORD dst_unused:UNUSED_PAD src0_sel:DWORD src1_sel:WORD_1
	v_bfrev_b32_e32 v57, 60
	v_lshlrev_b32_e32 v52, 20, v52
	v_and_b32_e32 v56, 0x80000000, v56
	v_lshl_add_u32 v34, v34, 23, v57
	v_or3_b32 v34, v56, v34, v52
	v_lshrrev_b32_e32 v56, 16, v34
.LBB847_101:
	s_or_b64 exec, exec, s[10:11]
.LBB847_102:
	s_or_b64 exec, exec, s[8:9]
.LBB847_103:
	s_or_b64 exec, exec, s[2:3]
	s_mov_b32 s2, 0xffffff
	v_cmp_lt_u32_e32 vcc, s2, v37
	v_mov_b32_e32 v52, 0
	v_mov_b32_e32 v57, 0
	s_and_saveexec_b64 s[2:3], vcc
	s_cbranch_execz .LBB847_109
; %bb.104:
	v_lshrrev_b32_e32 v34, 24, v37
	s_movk_i32 s8, 0x80
	v_cmp_ne_u32_e32 vcc, s8, v34
	v_mov_b32_e32 v57, 0xffff8000
	s_and_saveexec_b64 s[8:9], vcc
	s_cbranch_execz .LBB847_108
; %bb.105:
	v_bfe_u32 v37, v37, 24, 7
	s_movk_i32 s10, 0x7f
	v_cmp_ne_u32_e32 vcc, s10, v37
	v_mov_b32_e32 v57, 0x7f80
	s_and_saveexec_b64 s[10:11], vcc
	s_cbranch_execz .LBB847_107
; %bb.106:
	v_and_b32_e32 v57, 7, v34
	v_ffbh_u32_e32 v58, v57
	v_min_u32_e32 v61, 32, v58
	v_subrev_u32_e32 v58, 28, v61
	v_lshlrev_b64 v[58:59], v58, v[34:35]
	v_lshrrev_b32_e32 v60, 3, v37
	v_sub_u32_e32 v59, 29, v61
	v_and_b32_e32 v58, 7, v58
	v_cmp_gt_u32_e32 vcc, 8, v37
	v_cndmask_b32_e32 v37, v60, v59, vcc
	v_cndmask_b32_e32 v57, v57, v58, vcc
	v_lshlrev_b32_e32 v34, 24, v34
	v_bfrev_b32_e32 v58, 60
	v_lshlrev_b32_e32 v57, 20, v57
	v_and_b32_e32 v34, 0x80000000, v34
	v_lshl_add_u32 v37, v37, 23, v58
	v_or3_b32 v34, v34, v37, v57
	v_lshrrev_b32_e32 v57, 16, v34
.LBB847_107:
	s_or_b64 exec, exec, s[10:11]
.LBB847_108:
	s_or_b64 exec, exec, s[8:9]
.LBB847_109:
	s_or_b64 exec, exec, s[2:3]
	s_mov_b32 s2, 0x5040100
	v_perm_b32 v59, v55, v53, s2
	v_perm_b32 v58, v35, v51, s2
	;; [unrolled: 1-line block ×4, first 2 shown]
	v_cmp_ne_u16_sdwa s[8:9], v38, v52 src0_sel:BYTE_0 src1_sel:DWORD
	v_mfma_f32_16x16x16bf16_1k v[42:45], v[58:59], v[18:19], v[42:45]
	v_mfma_f32_16x16x16bf16_1k v[34:37], v[34:35], v[20:21], v[42:45]
	s_and_saveexec_b64 s[2:3], s[8:9]
	s_cbranch_execz .LBB847_115
; %bb.110:
	s_movk_i32 s8, 0x80
	v_cmp_ne_u16_sdwa s[10:11], v38, s8 src0_sel:BYTE_0 src1_sel:DWORD
	v_mov_b32_e32 v52, 0xffff8000
	s_and_saveexec_b64 s[8:9], s[10:11]
	s_cbranch_execz .LBB847_114
; %bb.111:
	s_movk_i32 s10, 0x7f
	s_nop 1
	v_and_b32_e32 v42, 0x7f, v38
	v_cmp_ne_u32_e32 vcc, s10, v42
	v_mov_b32_e32 v52, 0x7f80
	s_and_saveexec_b64 s[10:11], vcc
	s_cbranch_execz .LBB847_113
; %bb.112:
	v_and_b32_e32 v43, 7, v38
	v_ffbh_u32_e32 v44, v43
	v_min_u32_e32 v52, 32, v44
	v_subrev_u32_e32 v44, 28, v52
	v_lshlrev_b64 v[44:45], v44, v[38:39]
	v_lshrrev_b32_e32 v51, 3, v42
	v_sub_u32_e32 v45, 29, v52
	v_and_b32_e32 v44, 7, v44
	v_cmp_gt_u32_e32 vcc, 8, v42
	v_cndmask_b32_e32 v42, v51, v45, vcc
	v_cndmask_b32_e32 v43, v43, v44, vcc
	v_lshlrev_b32_e32 v44, 24, v38
	v_bfrev_b32_e32 v45, 60
	v_lshlrev_b32_e32 v43, 20, v43
	v_and_b32_e32 v44, 0x80000000, v44
	v_lshl_add_u32 v42, v42, 23, v45
	v_or3_b32 v42, v44, v42, v43
	v_lshrrev_b32_e32 v52, 16, v42
.LBB847_113:
	s_or_b64 exec, exec, s[10:11]
.LBB847_114:
	s_or_b64 exec, exec, s[8:9]
.LBB847_115:
	s_or_b64 exec, exec, s[2:3]
	s_nop 6
	v_lshrrev_b16_e32 v42, 8, v38
	v_cmp_ne_u16_e32 vcc, 0, v42
	v_mov_b32_e32 v44, 0
	v_mov_b32_e32 v43, 0
	s_and_saveexec_b64 s[2:3], vcc
	s_cbranch_execz .LBB847_121
; %bb.116:
	s_movk_i32 s8, 0x80
	v_cmp_ne_u16_e32 vcc, s8, v42
	v_mov_b32_e32 v43, 0xffff8000
	s_and_saveexec_b64 s[8:9], vcc
	s_cbranch_execz .LBB847_120
; %bb.117:
	s_movk_i32 s10, 0x7f
	v_and_b32_e32 v45, 0x7f, v42
	v_cmp_ne_u32_e32 vcc, s10, v45
	v_mov_b32_e32 v43, 0x7f80
	s_and_saveexec_b64 s[10:11], vcc
	s_cbranch_execz .LBB847_119
; %bb.118:
	v_and_b32_e32 v51, 7, v42
	v_ffbh_u32_e32 v43, v51
	v_min_u32_e32 v54, 32, v43
	v_subrev_u32_e32 v43, 28, v54
	v_lshlrev_b64 v[42:43], v43, v[42:43]
	v_lshrrev_b32_e32 v53, 3, v45
	v_sub_u32_e32 v43, 29, v54
	v_and_b32_e32 v42, 7, v42
	v_cmp_gt_u32_e32 vcc, 8, v45
	v_cndmask_b32_e32 v43, v53, v43, vcc
	v_cndmask_b32_e32 v42, v51, v42, vcc
	v_lshlrev_b32_e32 v45, 16, v38
	v_bfrev_b32_e32 v51, 60
	v_lshlrev_b32_e32 v42, 20, v42
	v_and_b32_e32 v45, 0x80000000, v45
	v_lshl_add_u32 v43, v43, 23, v51
	v_or3_b32 v42, v45, v43, v42
	v_lshrrev_b32_e32 v43, 16, v42
.LBB847_119:
	s_or_b64 exec, exec, s[10:11]
.LBB847_120:
	s_or_b64 exec, exec, s[8:9]
.LBB847_121:
	s_or_b64 exec, exec, s[2:3]
	s_movk_i32 s2, 0xff
	v_and_b32_sdwa v45, v38, s2 dst_sel:DWORD dst_unused:UNUSED_PAD src0_sel:WORD_1 src1_sel:DWORD
	v_lshrrev_b32_e32 v42, 16, v38
	v_cmp_ne_u16_e32 vcc, 0, v45
	s_and_saveexec_b64 s[2:3], vcc
	s_cbranch_execz .LBB847_127
; %bb.122:
	s_movk_i32 s8, 0x80
	v_cmp_ne_u16_e32 vcc, s8, v45
	v_mov_b32_e32 v44, 0xffff8000
	s_and_saveexec_b64 s[8:9], vcc
	s_cbranch_execz .LBB847_126
; %bb.123:
	v_bfe_u32 v45, v38, 16, 7
	s_movk_i32 s10, 0x7f
	v_cmp_ne_u32_e32 vcc, s10, v45
	v_mov_b32_e32 v44, 0x7f80
	s_and_saveexec_b64 s[10:11], vcc
	s_cbranch_execz .LBB847_125
; %bb.124:
	v_and_b32_e32 v44, 7, v42
	v_ffbh_u32_e32 v53, v44
	v_min_u32_e32 v53, 32, v53
	v_subrev_u32_e32 v54, 28, v53
	v_lshlrev_b64 v[54:55], v54, v[42:43]
	v_lshrrev_b32_e32 v51, 3, v45
	v_sub_u32_e32 v42, 29, v53
	v_and_b32_e32 v53, 7, v54
	v_cmp_gt_u32_e32 vcc, 8, v45
	v_mov_b32_e32 v45, 24
	v_cndmask_b32_e32 v42, v51, v42, vcc
	v_cndmask_b32_e32 v44, v44, v53, vcc
	v_lshlrev_b32_sdwa v45, v45, v38 dst_sel:DWORD dst_unused:UNUSED_PAD src0_sel:DWORD src1_sel:WORD_1
	v_bfrev_b32_e32 v51, 60
	v_lshlrev_b32_e32 v44, 20, v44
	v_and_b32_e32 v45, 0x80000000, v45
	v_lshl_add_u32 v42, v42, 23, v51
	v_or3_b32 v42, v45, v42, v44
	v_lshrrev_b32_e32 v44, 16, v42
.LBB847_125:
	s_or_b64 exec, exec, s[10:11]
.LBB847_126:
	s_or_b64 exec, exec, s[8:9]
.LBB847_127:
	s_or_b64 exec, exec, s[2:3]
	s_mov_b32 s2, 0xffffff
	v_cmp_lt_u32_e32 vcc, s2, v38
	v_mov_b32_e32 v45, 0
	v_mov_b32_e32 v53, 0
	s_and_saveexec_b64 s[2:3], vcc
	s_cbranch_execz .LBB847_133
; %bb.128:
	v_lshrrev_b32_e32 v42, 24, v38
	s_movk_i32 s8, 0x80
	v_cmp_ne_u32_e32 vcc, s8, v42
	v_mov_b32_e32 v53, 0xffff8000
	s_and_saveexec_b64 s[8:9], vcc
	s_cbranch_execz .LBB847_132
; %bb.129:
	v_bfe_u32 v38, v38, 24, 7
	s_movk_i32 s10, 0x7f
	v_cmp_ne_u32_e32 vcc, s10, v38
	v_mov_b32_e32 v53, 0x7f80
	s_and_saveexec_b64 s[10:11], vcc
	s_cbranch_execz .LBB847_131
; %bb.130:
	v_and_b32_e32 v51, 7, v42
	v_ffbh_u32_e32 v54, v51
	v_min_u32_e32 v56, 32, v54
	v_subrev_u32_e32 v54, 28, v56
	v_lshlrev_b64 v[54:55], v54, v[42:43]
	v_lshrrev_b32_e32 v53, 3, v38
	v_sub_u32_e32 v55, 29, v56
	v_and_b32_e32 v54, 7, v54
	v_cmp_gt_u32_e32 vcc, 8, v38
	v_cndmask_b32_e32 v38, v53, v55, vcc
	v_cndmask_b32_e32 v51, v51, v54, vcc
	v_lshlrev_b32_e32 v42, 24, v42
	v_bfrev_b32_e32 v53, 60
	v_lshlrev_b32_e32 v51, 20, v51
	v_and_b32_e32 v42, 0x80000000, v42
	v_lshl_add_u32 v38, v38, 23, v53
	v_or3_b32 v38, v42, v38, v51
	v_lshrrev_b32_e32 v53, 16, v38
.LBB847_131:
	s_or_b64 exec, exec, s[10:11]
.LBB847_132:
	s_or_b64 exec, exec, s[8:9]
.LBB847_133:
	s_or_b64 exec, exec, s[2:3]
	v_cmp_ne_u16_sdwa s[8:9], v39, v45 src0_sel:BYTE_0 src1_sel:DWORD
	s_and_saveexec_b64 s[2:3], s[8:9]
	s_cbranch_execz .LBB847_139
; %bb.134:
	s_movk_i32 s8, 0x80
	v_cmp_ne_u16_sdwa s[10:11], v39, s8 src0_sel:BYTE_0 src1_sel:DWORD
	v_mov_b32_e32 v45, 0xffff8000
	s_and_saveexec_b64 s[8:9], s[10:11]
	s_cbranch_execz .LBB847_138
; %bb.135:
	s_movk_i32 s10, 0x7f
	v_and_b32_e32 v38, 0x7f, v39
	v_cmp_ne_u32_e32 vcc, s10, v38
	v_mov_b32_e32 v45, 0x7f80
	s_and_saveexec_b64 s[10:11], vcc
	s_cbranch_execz .LBB847_137
; %bb.136:
	v_and_b32_e32 v45, 7, v39
	v_ffbh_u32_e32 v54, v45
	v_min_u32_e32 v56, 32, v54
	v_mov_b32_e32 v42, v39
	v_subrev_u32_e32 v54, 28, v56
	v_lshlrev_b64 v[54:55], v54, v[42:43]
	v_lshrrev_b32_e32 v51, 3, v38
	v_sub_u32_e32 v42, 29, v56
	v_and_b32_e32 v54, 7, v54
	v_cmp_gt_u32_e32 vcc, 8, v38
	v_cndmask_b32_e32 v38, v51, v42, vcc
	v_cndmask_b32_e32 v42, v45, v54, vcc
	v_lshlrev_b32_e32 v45, 24, v39
	v_bfrev_b32_e32 v51, 60
	v_lshlrev_b32_e32 v42, 20, v42
	v_and_b32_e32 v45, 0x80000000, v45
	v_lshl_add_u32 v38, v38, 23, v51
	v_or3_b32 v38, v45, v38, v42
	v_lshrrev_b32_e32 v45, 16, v38
.LBB847_137:
	s_or_b64 exec, exec, s[10:11]
.LBB847_138:
	s_or_b64 exec, exec, s[8:9]
.LBB847_139:
	s_or_b64 exec, exec, s[2:3]
	v_lshrrev_b16_e32 v38, 8, v39
	v_cmp_ne_u16_e32 vcc, 0, v38
	v_mov_b32_e32 v54, 0
	v_mov_b32_e32 v42, 0
	s_and_saveexec_b64 s[2:3], vcc
	s_cbranch_execz .LBB847_145
; %bb.140:
	s_movk_i32 s8, 0x80
	v_cmp_ne_u16_e32 vcc, s8, v38
	v_mov_b32_e32 v42, 0xffff8000
	s_and_saveexec_b64 s[8:9], vcc
	s_cbranch_execz .LBB847_144
; %bb.141:
	s_movk_i32 s10, 0x7f
	v_and_b32_e32 v51, 0x7f, v38
	v_cmp_ne_u32_e32 vcc, s10, v51
	v_mov_b32_e32 v42, 0x7f80
	s_and_saveexec_b64 s[10:11], vcc
	s_cbranch_execz .LBB847_143
; %bb.142:
	v_and_b32_e32 v42, 7, v38
	v_ffbh_u32_e32 v56, v42
	v_min_u32_e32 v58, 32, v56
	v_subrev_u32_e32 v56, 28, v58
	v_lshlrev_b64 v[56:57], v56, v[38:39]
	v_lshrrev_b32_e32 v55, 3, v51
	v_sub_u32_e32 v38, 29, v58
	v_and_b32_e32 v56, 7, v56
	v_cmp_gt_u32_e32 vcc, 8, v51
	v_cndmask_b32_e32 v38, v55, v38, vcc
	v_cndmask_b32_e32 v42, v42, v56, vcc
	v_lshlrev_b32_e32 v51, 16, v39
	v_bfrev_b32_e32 v55, 60
	v_lshlrev_b32_e32 v42, 20, v42
	v_and_b32_e32 v51, 0x80000000, v51
	v_lshl_add_u32 v38, v38, 23, v55
	v_or3_b32 v38, v51, v38, v42
	v_lshrrev_b32_e32 v42, 16, v38
.LBB847_143:
	s_or_b64 exec, exec, s[10:11]
.LBB847_144:
	s_or_b64 exec, exec, s[8:9]
.LBB847_145:
	s_or_b64 exec, exec, s[2:3]
	s_movk_i32 s2, 0xff
	v_and_b32_sdwa v51, v39, s2 dst_sel:DWORD dst_unused:UNUSED_PAD src0_sel:WORD_1 src1_sel:DWORD
	v_lshrrev_b32_e32 v38, 16, v39
	v_cmp_ne_u16_e32 vcc, 0, v51
	s_and_saveexec_b64 s[2:3], vcc
	s_cbranch_execz .LBB847_151
; %bb.146:
	s_movk_i32 s8, 0x80
	v_cmp_ne_u16_e32 vcc, s8, v51
	v_mov_b32_e32 v54, 0xffff8000
	s_and_saveexec_b64 s[8:9], vcc
	s_cbranch_execz .LBB847_150
; %bb.147:
	v_bfe_u32 v51, v39, 16, 7
	s_movk_i32 s10, 0x7f
	v_cmp_ne_u32_e32 vcc, s10, v51
	v_mov_b32_e32 v54, 0x7f80
	s_and_saveexec_b64 s[10:11], vcc
	s_cbranch_execz .LBB847_149
; %bb.148:
	v_and_b32_e32 v56, 7, v38
	v_ffbh_u32_e32 v54, v56
	v_min_u32_e32 v58, 32, v54
	v_subrev_u32_e32 v54, 28, v58
	v_lshlrev_b64 v[54:55], v54, v[38:39]
	v_and_b32_e32 v54, 7, v54
	v_cmp_gt_u32_e32 vcc, 8, v51
	v_lshrrev_b32_e32 v57, 3, v51
	v_sub_u32_e32 v38, 29, v58
	v_cndmask_b32_e32 v51, v56, v54, vcc
	v_mov_b32_e32 v54, 24
	v_cndmask_b32_e32 v38, v57, v38, vcc
	v_lshlrev_b32_sdwa v54, v54, v39 dst_sel:DWORD dst_unused:UNUSED_PAD src0_sel:DWORD src1_sel:WORD_1
	v_bfrev_b32_e32 v55, 60
	v_lshlrev_b32_e32 v51, 20, v51
	v_and_b32_e32 v54, 0x80000000, v54
	v_lshl_add_u32 v38, v38, 23, v55
	v_or3_b32 v38, v54, v38, v51
	v_lshrrev_b32_e32 v54, 16, v38
.LBB847_149:
	s_or_b64 exec, exec, s[10:11]
.LBB847_150:
	s_or_b64 exec, exec, s[8:9]
.LBB847_151:
	s_or_b64 exec, exec, s[2:3]
	s_mov_b32 s2, 0xffffff
	v_cmp_lt_u32_e32 vcc, s2, v39
	v_mov_b32_e32 v51, 0
	v_mov_b32_e32 v55, 0
	s_and_saveexec_b64 s[2:3], vcc
	s_cbranch_execz .LBB847_157
; %bb.152:
	v_lshrrev_b32_e32 v38, 24, v39
	s_movk_i32 s8, 0x80
	v_cmp_ne_u32_e32 vcc, s8, v38
	v_mov_b32_e32 v55, 0xffff8000
	s_and_saveexec_b64 s[8:9], vcc
	s_cbranch_execz .LBB847_156
; %bb.153:
	v_bfe_u32 v39, v39, 24, 7
	s_movk_i32 s10, 0x7f
	v_cmp_ne_u32_e32 vcc, s10, v39
	v_mov_b32_e32 v55, 0x7f80
	s_and_saveexec_b64 s[10:11], vcc
	s_cbranch_execz .LBB847_155
; %bb.154:
	v_and_b32_e32 v55, 7, v38
	v_ffbh_u32_e32 v56, v55
	v_min_u32_e32 v59, 32, v56
	v_subrev_u32_e32 v56, 28, v59
	v_lshlrev_b64 v[56:57], v56, v[38:39]
	v_lshrrev_b32_e32 v58, 3, v39
	v_sub_u32_e32 v57, 29, v59
	v_and_b32_e32 v56, 7, v56
	v_cmp_gt_u32_e32 vcc, 8, v39
	v_cndmask_b32_e32 v39, v58, v57, vcc
	v_cndmask_b32_e32 v55, v55, v56, vcc
	v_lshlrev_b32_e32 v38, 24, v38
	v_bfrev_b32_e32 v56, 60
	v_lshlrev_b32_e32 v55, 20, v55
	v_and_b32_e32 v38, 0x80000000, v38
	v_lshl_add_u32 v39, v39, 23, v56
	v_or3_b32 v38, v38, v39, v55
	v_lshrrev_b32_e32 v55, 16, v38
.LBB847_155:
	s_or_b64 exec, exec, s[10:11]
.LBB847_156:
	s_or_b64 exec, exec, s[8:9]
.LBB847_157:
	s_or_b64 exec, exec, s[2:3]
	s_mov_b32 s2, 0x5040100
	v_perm_b32 v39, v53, v44, s2
	v_perm_b32 v38, v43, v52, s2
	v_cmp_ne_u16_sdwa s[8:9], v40, v51 src0_sel:BYTE_0 src1_sel:DWORD
	s_nop 0
	v_mfma_f32_16x16x16bf16_1k v[56:59], v[38:39], v[26:27], 0
	v_perm_b32 v39, v55, v54, s2
	v_perm_b32 v38, v42, v45, s2
	s_nop 1
	v_mfma_f32_16x16x16bf16_1k v[42:45], v[38:39], v[28:29], v[56:59]
	s_and_saveexec_b64 s[2:3], s[8:9]
	s_cbranch_execz .LBB847_163
; %bb.158:
	s_movk_i32 s8, 0x80
	v_cmp_ne_u16_sdwa s[10:11], v40, s8 src0_sel:BYTE_0 src1_sel:DWORD
	v_mov_b32_e32 v51, 0xffff8000
	s_and_saveexec_b64 s[8:9], s[10:11]
	s_cbranch_execz .LBB847_162
; %bb.159:
	s_movk_i32 s10, 0x7f
	v_and_b32_e32 v38, 0x7f, v40
	v_cmp_ne_u32_e32 vcc, s10, v38
	v_mov_b32_e32 v51, 0x7f80
	s_and_saveexec_b64 s[10:11], vcc
	s_cbranch_execz .LBB847_161
; %bb.160:
	v_and_b32_e32 v39, 7, v40
	v_ffbh_u32_e32 v52, v39
	v_min_u32_e32 v54, 32, v52
	v_subrev_u32_e32 v52, 28, v54
	v_lshlrev_b64 v[52:53], v52, v[40:41]
	v_lshrrev_b32_e32 v51, 3, v38
	v_sub_u32_e32 v53, 29, v54
	v_and_b32_e32 v52, 7, v52
	v_cmp_gt_u32_e32 vcc, 8, v38
	v_cndmask_b32_e32 v38, v51, v53, vcc
	v_cndmask_b32_e32 v39, v39, v52, vcc
	v_lshlrev_b32_e32 v51, 24, v40
	v_bfrev_b32_e32 v52, 60
	v_lshlrev_b32_e32 v39, 20, v39
	v_and_b32_e32 v51, 0x80000000, v51
	v_lshl_add_u32 v38, v38, 23, v52
	v_or3_b32 v38, v51, v38, v39
	v_lshrrev_b32_e32 v51, 16, v38
.LBB847_161:
	s_or_b64 exec, exec, s[10:11]
.LBB847_162:
	s_or_b64 exec, exec, s[8:9]
.LBB847_163:
	s_or_b64 exec, exec, s[2:3]
	v_lshrrev_b16_e32 v38, 8, v40
	v_cmp_ne_u16_e32 vcc, 0, v38
	v_mov_b32_e32 v53, 0
	v_mov_b32_e32 v39, 0
	s_and_saveexec_b64 s[2:3], vcc
	s_cbranch_execz .LBB847_169
; %bb.164:
	s_movk_i32 s8, 0x80
	v_cmp_ne_u16_e32 vcc, s8, v38
	v_mov_b32_e32 v39, 0xffff8000
	s_and_saveexec_b64 s[8:9], vcc
	s_cbranch_execz .LBB847_168
; %bb.165:
	s_movk_i32 s10, 0x7f
	v_and_b32_e32 v52, 0x7f, v38
	v_cmp_ne_u32_e32 vcc, s10, v52
	v_mov_b32_e32 v39, 0x7f80
	s_and_saveexec_b64 s[10:11], vcc
	s_cbranch_execz .LBB847_167
; %bb.166:
	v_and_b32_e32 v54, 7, v38
	v_ffbh_u32_e32 v39, v54
	v_min_u32_e32 v56, 32, v39
	v_subrev_u32_e32 v39, 28, v56
	v_lshlrev_b64 v[38:39], v39, v[38:39]
	v_lshrrev_b32_e32 v55, 3, v52
	v_sub_u32_e32 v39, 29, v56
	v_and_b32_e32 v38, 7, v38
	v_cmp_gt_u32_e32 vcc, 8, v52
	v_cndmask_b32_e32 v39, v55, v39, vcc
	v_cndmask_b32_e32 v38, v54, v38, vcc
	v_lshlrev_b32_e32 v52, 16, v40
	v_bfrev_b32_e32 v54, 60
	v_lshlrev_b32_e32 v38, 20, v38
	v_and_b32_e32 v52, 0x80000000, v52
	v_lshl_add_u32 v39, v39, 23, v54
	v_or3_b32 v38, v52, v39, v38
	v_lshrrev_b32_e32 v39, 16, v38
.LBB847_167:
	s_or_b64 exec, exec, s[10:11]
.LBB847_168:
	s_or_b64 exec, exec, s[8:9]
.LBB847_169:
	s_or_b64 exec, exec, s[2:3]
	s_movk_i32 s2, 0xff
	v_and_b32_sdwa v52, v40, s2 dst_sel:DWORD dst_unused:UNUSED_PAD src0_sel:WORD_1 src1_sel:DWORD
	v_lshrrev_b32_e32 v38, 16, v40
	v_cmp_ne_u16_e32 vcc, 0, v52
	s_and_saveexec_b64 s[2:3], vcc
	s_cbranch_execz .LBB847_175
; %bb.170:
	s_movk_i32 s8, 0x80
	v_cmp_ne_u16_e32 vcc, s8, v52
	v_mov_b32_e32 v53, 0xffff8000
	s_and_saveexec_b64 s[8:9], vcc
	s_cbranch_execz .LBB847_174
; %bb.171:
	v_bfe_u32 v52, v40, 16, 7
	s_movk_i32 s10, 0x7f
	v_cmp_ne_u32_e32 vcc, s10, v52
	v_mov_b32_e32 v53, 0x7f80
	s_and_saveexec_b64 s[10:11], vcc
	s_cbranch_execz .LBB847_173
; %bb.172:
	v_and_b32_e32 v53, 7, v38
	v_ffbh_u32_e32 v54, v53
	v_min_u32_e32 v57, 32, v54
	v_subrev_u32_e32 v54, 28, v57
	v_lshlrev_b64 v[54:55], v54, v[38:39]
	v_and_b32_e32 v54, 7, v54
	v_cmp_gt_u32_e32 vcc, 8, v52
	v_lshrrev_b32_e32 v56, 3, v52
	v_sub_u32_e32 v38, 29, v57
	v_cndmask_b32_e32 v52, v53, v54, vcc
	v_mov_b32_e32 v53, 24
	v_cndmask_b32_e32 v38, v56, v38, vcc
	v_lshlrev_b32_sdwa v53, v53, v40 dst_sel:DWORD dst_unused:UNUSED_PAD src0_sel:DWORD src1_sel:WORD_1
	v_bfrev_b32_e32 v54, 60
	v_lshlrev_b32_e32 v52, 20, v52
	v_and_b32_e32 v53, 0x80000000, v53
	v_lshl_add_u32 v38, v38, 23, v54
	v_or3_b32 v38, v53, v38, v52
	v_lshrrev_b32_e32 v53, 16, v38
.LBB847_173:
	s_or_b64 exec, exec, s[10:11]
.LBB847_174:
	s_or_b64 exec, exec, s[8:9]
.LBB847_175:
	s_or_b64 exec, exec, s[2:3]
	s_mov_b32 s2, 0xffffff
	v_cmp_lt_u32_e32 vcc, s2, v40
	v_mov_b32_e32 v54, 0
	v_mov_b32_e32 v55, 0
	s_and_saveexec_b64 s[2:3], vcc
	s_cbranch_execz .LBB847_181
; %bb.176:
	v_lshrrev_b32_e32 v38, 24, v40
	s_movk_i32 s8, 0x80
	v_cmp_ne_u32_e32 vcc, s8, v38
	v_mov_b32_e32 v55, 0xffff8000
	s_and_saveexec_b64 s[8:9], vcc
	s_cbranch_execz .LBB847_180
; %bb.177:
	v_bfe_u32 v40, v40, 24, 7
	s_movk_i32 s10, 0x7f
	v_cmp_ne_u32_e32 vcc, s10, v40
	v_mov_b32_e32 v55, 0x7f80
	s_and_saveexec_b64 s[10:11], vcc
	s_cbranch_execz .LBB847_179
; %bb.178:
	v_and_b32_e32 v52, 7, v38
	v_ffbh_u32_e32 v56, v52
	v_min_u32_e32 v58, 32, v56
	v_subrev_u32_e32 v56, 28, v58
	v_lshlrev_b64 v[56:57], v56, v[38:39]
	v_lshrrev_b32_e32 v55, 3, v40
	v_sub_u32_e32 v57, 29, v58
	v_and_b32_e32 v56, 7, v56
	v_cmp_gt_u32_e32 vcc, 8, v40
	v_cndmask_b32_e32 v40, v55, v57, vcc
	v_cndmask_b32_e32 v52, v52, v56, vcc
	v_lshlrev_b32_e32 v38, 24, v38
	v_bfrev_b32_e32 v55, 60
	v_lshlrev_b32_e32 v52, 20, v52
	v_and_b32_e32 v38, 0x80000000, v38
	v_lshl_add_u32 v40, v40, 23, v55
	v_or3_b32 v38, v38, v40, v52
	v_lshrrev_b32_e32 v55, 16, v38
.LBB847_179:
	s_or_b64 exec, exec, s[10:11]
.LBB847_180:
	s_or_b64 exec, exec, s[8:9]
.LBB847_181:
	s_or_b64 exec, exec, s[2:3]
	v_cmp_ne_u16_sdwa s[8:9], v41, v54 src0_sel:BYTE_0 src1_sel:DWORD
	s_and_saveexec_b64 s[2:3], s[8:9]
	s_cbranch_execz .LBB847_187
; %bb.182:
	s_movk_i32 s8, 0x80
	v_cmp_ne_u16_sdwa s[10:11], v41, s8 src0_sel:BYTE_0 src1_sel:DWORD
	v_mov_b32_e32 v54, 0xffff8000
	s_and_saveexec_b64 s[8:9], s[10:11]
	s_cbranch_execz .LBB847_186
; %bb.183:
	s_movk_i32 s10, 0x7f
	v_and_b32_e32 v38, 0x7f, v41
	v_cmp_ne_u32_e32 vcc, s10, v38
	v_mov_b32_e32 v54, 0x7f80
	s_and_saveexec_b64 s[10:11], vcc
	s_cbranch_execz .LBB847_185
; %bb.184:
	v_and_b32_e32 v52, 7, v41
	v_ffbh_u32_e32 v56, v52
	v_min_u32_e32 v58, 32, v56
	v_mov_b32_e32 v40, v41
	v_subrev_u32_e32 v56, 28, v58
	v_lshlrev_b64 v[56:57], v56, v[40:41]
	v_lshrrev_b32_e32 v54, 3, v38
	v_sub_u32_e32 v40, 29, v58
	v_and_b32_e32 v56, 7, v56
	v_cmp_gt_u32_e32 vcc, 8, v38
	v_cndmask_b32_e32 v38, v54, v40, vcc
	v_cndmask_b32_e32 v40, v52, v56, vcc
	v_lshlrev_b32_e32 v52, 24, v41
	v_bfrev_b32_e32 v54, 60
	v_lshlrev_b32_e32 v40, 20, v40
	v_and_b32_e32 v52, 0x80000000, v52
	v_lshl_add_u32 v38, v38, 23, v54
	v_or3_b32 v38, v52, v38, v40
	v_lshrrev_b32_e32 v54, 16, v38
.LBB847_185:
	s_or_b64 exec, exec, s[10:11]
.LBB847_186:
	s_or_b64 exec, exec, s[8:9]
.LBB847_187:
	s_or_b64 exec, exec, s[2:3]
	v_lshrrev_b16_e32 v38, 8, v41
	v_cmp_ne_u16_e32 vcc, 0, v38
	v_mov_b32_e32 v56, 0
	v_mov_b32_e32 v40, 0
	s_and_saveexec_b64 s[2:3], vcc
	s_cbranch_execz .LBB847_193
; %bb.188:
	s_movk_i32 s8, 0x80
	v_cmp_ne_u16_e32 vcc, s8, v38
	v_mov_b32_e32 v40, 0xffff8000
	s_and_saveexec_b64 s[8:9], vcc
	s_cbranch_execz .LBB847_192
; %bb.189:
	s_movk_i32 s10, 0x7f
	v_and_b32_e32 v52, 0x7f, v38
	v_cmp_ne_u32_e32 vcc, s10, v52
	v_mov_b32_e32 v40, 0x7f80
	s_and_saveexec_b64 s[10:11], vcc
	s_cbranch_execz .LBB847_191
; %bb.190:
	v_and_b32_e32 v40, 7, v38
	v_ffbh_u32_e32 v58, v40
	v_min_u32_e32 v60, 32, v58
	v_subrev_u32_e32 v58, 28, v60
	v_lshlrev_b64 v[58:59], v58, v[38:39]
	v_lshrrev_b32_e32 v57, 3, v52
	v_sub_u32_e32 v38, 29, v60
	v_and_b32_e32 v58, 7, v58
	v_cmp_gt_u32_e32 vcc, 8, v52
	v_cndmask_b32_e32 v38, v57, v38, vcc
	v_cndmask_b32_e32 v40, v40, v58, vcc
	v_lshlrev_b32_e32 v52, 16, v41
	v_bfrev_b32_e32 v57, 60
	v_lshlrev_b32_e32 v40, 20, v40
	v_and_b32_e32 v52, 0x80000000, v52
	v_lshl_add_u32 v38, v38, 23, v57
	v_or3_b32 v38, v52, v38, v40
	v_lshrrev_b32_e32 v40, 16, v38
.LBB847_191:
	s_or_b64 exec, exec, s[10:11]
.LBB847_192:
	s_or_b64 exec, exec, s[8:9]
.LBB847_193:
	s_or_b64 exec, exec, s[2:3]
	s_movk_i32 s2, 0xff
	v_and_b32_sdwa v52, v41, s2 dst_sel:DWORD dst_unused:UNUSED_PAD src0_sel:WORD_1 src1_sel:DWORD
	v_lshrrev_b32_e32 v38, 16, v41
	v_cmp_ne_u16_e32 vcc, 0, v52
	s_and_saveexec_b64 s[2:3], vcc
	s_cbranch_execz .LBB847_199
; %bb.194:
	s_movk_i32 s8, 0x80
	v_cmp_ne_u16_e32 vcc, s8, v52
	v_mov_b32_e32 v56, 0xffff8000
	s_and_saveexec_b64 s[8:9], vcc
	s_cbranch_execz .LBB847_198
; %bb.195:
	v_bfe_u32 v52, v41, 16, 7
	s_movk_i32 s10, 0x7f
	v_cmp_ne_u32_e32 vcc, s10, v52
	v_mov_b32_e32 v56, 0x7f80
	s_and_saveexec_b64 s[10:11], vcc
	s_cbranch_execz .LBB847_197
; %bb.196:
	v_and_b32_e32 v58, 7, v38
	v_ffbh_u32_e32 v56, v58
	v_min_u32_e32 v60, 32, v56
	v_subrev_u32_e32 v56, 28, v60
	v_lshlrev_b64 v[56:57], v56, v[38:39]
	v_and_b32_e32 v56, 7, v56
	v_cmp_gt_u32_e32 vcc, 8, v52
	v_lshrrev_b32_e32 v59, 3, v52
	v_sub_u32_e32 v38, 29, v60
	v_cndmask_b32_e32 v52, v58, v56, vcc
	v_mov_b32_e32 v56, 24
	v_cndmask_b32_e32 v38, v59, v38, vcc
	v_lshlrev_b32_sdwa v56, v56, v41 dst_sel:DWORD dst_unused:UNUSED_PAD src0_sel:DWORD src1_sel:WORD_1
	v_bfrev_b32_e32 v57, 60
	v_lshlrev_b32_e32 v52, 20, v52
	v_and_b32_e32 v56, 0x80000000, v56
	v_lshl_add_u32 v38, v38, 23, v57
	v_or3_b32 v38, v56, v38, v52
	v_lshrrev_b32_e32 v56, 16, v38
.LBB847_197:
	s_or_b64 exec, exec, s[10:11]
.LBB847_198:
	s_or_b64 exec, exec, s[8:9]
.LBB847_199:
	s_or_b64 exec, exec, s[2:3]
	s_mov_b32 s2, 0xffffff
	v_cmp_lt_u32_e32 vcc, s2, v41
	v_mov_b32_e32 v52, 0
	v_mov_b32_e32 v57, 0
	s_and_saveexec_b64 s[2:3], vcc
	s_cbranch_execz .LBB847_205
; %bb.200:
	v_lshrrev_b32_e32 v38, 24, v41
	s_movk_i32 s8, 0x80
	v_cmp_ne_u32_e32 vcc, s8, v38
	v_mov_b32_e32 v57, 0xffff8000
	s_and_saveexec_b64 s[8:9], vcc
	s_cbranch_execz .LBB847_204
; %bb.201:
	v_bfe_u32 v41, v41, 24, 7
	s_movk_i32 s10, 0x7f
	v_cmp_ne_u32_e32 vcc, s10, v41
	v_mov_b32_e32 v57, 0x7f80
	s_and_saveexec_b64 s[10:11], vcc
	s_cbranch_execz .LBB847_203
; %bb.202:
	v_and_b32_e32 v57, 7, v38
	v_ffbh_u32_e32 v58, v57
	v_min_u32_e32 v61, 32, v58
	v_subrev_u32_e32 v58, 28, v61
	v_lshlrev_b64 v[58:59], v58, v[38:39]
	v_lshrrev_b32_e32 v60, 3, v41
	v_sub_u32_e32 v59, 29, v61
	v_and_b32_e32 v58, 7, v58
	v_cmp_gt_u32_e32 vcc, 8, v41
	v_cndmask_b32_e32 v41, v60, v59, vcc
	v_cndmask_b32_e32 v57, v57, v58, vcc
	v_lshlrev_b32_e32 v38, 24, v38
	v_bfrev_b32_e32 v58, 60
	v_lshlrev_b32_e32 v57, 20, v57
	v_and_b32_e32 v38, 0x80000000, v38
	v_lshl_add_u32 v41, v41, 23, v58
	v_or3_b32 v38, v38, v41, v57
	v_lshrrev_b32_e32 v57, 16, v38
.LBB847_203:
	s_or_b64 exec, exec, s[10:11]
.LBB847_204:
	s_or_b64 exec, exec, s[8:9]
.LBB847_205:
	s_or_b64 exec, exec, s[2:3]
	s_mov_b32 s2, 0x5040100
	v_perm_b32 v59, v55, v53, s2
	v_perm_b32 v58, v39, v51, s2
	;; [unrolled: 1-line block ×4, first 2 shown]
	v_cmp_ne_u16_sdwa s[8:9], v30, v52 src0_sel:BYTE_0 src1_sel:DWORD
	v_mfma_f32_16x16x16bf16_1k v[42:45], v[58:59], v[18:19], v[42:45]
	v_mfma_f32_16x16x16bf16_1k v[38:41], v[38:39], v[20:21], v[42:45]
	s_and_saveexec_b64 s[2:3], s[8:9]
	s_cbranch_execz .LBB847_211
; %bb.206:
	s_movk_i32 s8, 0x80
	v_cmp_ne_u16_sdwa s[10:11], v30, s8 src0_sel:BYTE_0 src1_sel:DWORD
	v_mov_b32_e32 v52, 0xffff8000
	s_and_saveexec_b64 s[8:9], s[10:11]
	s_cbranch_execz .LBB847_210
; %bb.207:
	s_movk_i32 s10, 0x7f
	s_nop 1
	v_and_b32_e32 v42, 0x7f, v30
	v_cmp_ne_u32_e32 vcc, s10, v42
	v_mov_b32_e32 v52, 0x7f80
	s_and_saveexec_b64 s[10:11], vcc
	s_cbranch_execz .LBB847_209
; %bb.208:
	v_and_b32_e32 v43, 7, v30
	v_ffbh_u32_e32 v44, v43
	v_min_u32_e32 v52, 32, v44
	v_subrev_u32_e32 v44, 28, v52
	v_lshlrev_b64 v[44:45], v44, v[30:31]
	v_lshrrev_b32_e32 v51, 3, v42
	v_sub_u32_e32 v45, 29, v52
	v_and_b32_e32 v44, 7, v44
	v_cmp_gt_u32_e32 vcc, 8, v42
	v_cndmask_b32_e32 v42, v51, v45, vcc
	v_cndmask_b32_e32 v43, v43, v44, vcc
	v_lshlrev_b32_e32 v44, 24, v30
	v_bfrev_b32_e32 v45, 60
	v_lshlrev_b32_e32 v43, 20, v43
	v_and_b32_e32 v44, 0x80000000, v44
	v_lshl_add_u32 v42, v42, 23, v45
	v_or3_b32 v42, v44, v42, v43
	v_lshrrev_b32_e32 v52, 16, v42
.LBB847_209:
	s_or_b64 exec, exec, s[10:11]
.LBB847_210:
	s_or_b64 exec, exec, s[8:9]
.LBB847_211:
	s_or_b64 exec, exec, s[2:3]
	s_nop 6
	v_lshrrev_b16_e32 v42, 8, v30
	v_cmp_ne_u16_e32 vcc, 0, v42
	v_mov_b32_e32 v44, 0
	v_mov_b32_e32 v43, 0
	s_and_saveexec_b64 s[2:3], vcc
	s_cbranch_execz .LBB847_217
; %bb.212:
	s_movk_i32 s8, 0x80
	v_cmp_ne_u16_e32 vcc, s8, v42
	v_mov_b32_e32 v43, 0xffff8000
	s_and_saveexec_b64 s[8:9], vcc
	s_cbranch_execz .LBB847_216
; %bb.213:
	s_movk_i32 s10, 0x7f
	v_and_b32_e32 v45, 0x7f, v42
	v_cmp_ne_u32_e32 vcc, s10, v45
	v_mov_b32_e32 v43, 0x7f80
	s_and_saveexec_b64 s[10:11], vcc
	s_cbranch_execz .LBB847_215
; %bb.214:
	v_and_b32_e32 v51, 7, v42
	v_ffbh_u32_e32 v43, v51
	v_min_u32_e32 v54, 32, v43
	v_subrev_u32_e32 v43, 28, v54
	v_lshlrev_b64 v[42:43], v43, v[42:43]
	v_lshrrev_b32_e32 v53, 3, v45
	v_sub_u32_e32 v43, 29, v54
	v_and_b32_e32 v42, 7, v42
	v_cmp_gt_u32_e32 vcc, 8, v45
	v_cndmask_b32_e32 v43, v53, v43, vcc
	v_cndmask_b32_e32 v42, v51, v42, vcc
	v_lshlrev_b32_e32 v45, 16, v30
	v_bfrev_b32_e32 v51, 60
	v_lshlrev_b32_e32 v42, 20, v42
	v_and_b32_e32 v45, 0x80000000, v45
	v_lshl_add_u32 v43, v43, 23, v51
	v_or3_b32 v42, v45, v43, v42
	v_lshrrev_b32_e32 v43, 16, v42
.LBB847_215:
	s_or_b64 exec, exec, s[10:11]
.LBB847_216:
	s_or_b64 exec, exec, s[8:9]
.LBB847_217:
	s_or_b64 exec, exec, s[2:3]
	s_movk_i32 s2, 0xff
	v_and_b32_sdwa v45, v30, s2 dst_sel:DWORD dst_unused:UNUSED_PAD src0_sel:WORD_1 src1_sel:DWORD
	v_lshrrev_b32_e32 v42, 16, v30
	v_cmp_ne_u16_e32 vcc, 0, v45
	s_and_saveexec_b64 s[2:3], vcc
	s_cbranch_execz .LBB847_223
; %bb.218:
	s_movk_i32 s8, 0x80
	v_cmp_ne_u16_e32 vcc, s8, v45
	v_mov_b32_e32 v44, 0xffff8000
	s_and_saveexec_b64 s[8:9], vcc
	s_cbranch_execz .LBB847_222
; %bb.219:
	v_bfe_u32 v45, v30, 16, 7
	s_movk_i32 s10, 0x7f
	v_cmp_ne_u32_e32 vcc, s10, v45
	v_mov_b32_e32 v44, 0x7f80
	s_and_saveexec_b64 s[10:11], vcc
	s_cbranch_execz .LBB847_221
; %bb.220:
	v_and_b32_e32 v44, 7, v42
	v_ffbh_u32_e32 v53, v44
	v_min_u32_e32 v53, 32, v53
	v_subrev_u32_e32 v54, 28, v53
	v_lshlrev_b64 v[54:55], v54, v[42:43]
	v_lshrrev_b32_e32 v51, 3, v45
	v_sub_u32_e32 v42, 29, v53
	v_and_b32_e32 v53, 7, v54
	v_cmp_gt_u32_e32 vcc, 8, v45
	v_mov_b32_e32 v45, 24
	v_cndmask_b32_e32 v42, v51, v42, vcc
	v_cndmask_b32_e32 v44, v44, v53, vcc
	v_lshlrev_b32_sdwa v45, v45, v30 dst_sel:DWORD dst_unused:UNUSED_PAD src0_sel:DWORD src1_sel:WORD_1
	v_bfrev_b32_e32 v51, 60
	v_lshlrev_b32_e32 v44, 20, v44
	v_and_b32_e32 v45, 0x80000000, v45
	v_lshl_add_u32 v42, v42, 23, v51
	v_or3_b32 v42, v45, v42, v44
	v_lshrrev_b32_e32 v44, 16, v42
.LBB847_221:
	s_or_b64 exec, exec, s[10:11]
.LBB847_222:
	s_or_b64 exec, exec, s[8:9]
.LBB847_223:
	s_or_b64 exec, exec, s[2:3]
	s_mov_b32 s2, 0xffffff
	v_cmp_lt_u32_e32 vcc, s2, v30
	v_mov_b32_e32 v45, 0
	v_mov_b32_e32 v53, 0
	s_and_saveexec_b64 s[2:3], vcc
	s_cbranch_execz .LBB847_229
; %bb.224:
	v_lshrrev_b32_e32 v42, 24, v30
	s_movk_i32 s8, 0x80
	v_cmp_ne_u32_e32 vcc, s8, v42
	v_mov_b32_e32 v53, 0xffff8000
	s_and_saveexec_b64 s[8:9], vcc
	s_cbranch_execz .LBB847_228
; %bb.225:
	v_bfe_u32 v30, v30, 24, 7
	s_movk_i32 s10, 0x7f
	v_cmp_ne_u32_e32 vcc, s10, v30
	v_mov_b32_e32 v53, 0x7f80
	s_and_saveexec_b64 s[10:11], vcc
	s_cbranch_execz .LBB847_227
; %bb.226:
	v_and_b32_e32 v51, 7, v42
	v_ffbh_u32_e32 v54, v51
	v_min_u32_e32 v56, 32, v54
	v_subrev_u32_e32 v54, 28, v56
	v_lshlrev_b64 v[54:55], v54, v[42:43]
	v_lshrrev_b32_e32 v53, 3, v30
	v_sub_u32_e32 v55, 29, v56
	v_and_b32_e32 v54, 7, v54
	v_cmp_gt_u32_e32 vcc, 8, v30
	v_cndmask_b32_e32 v30, v53, v55, vcc
	v_cndmask_b32_e32 v51, v51, v54, vcc
	v_lshlrev_b32_e32 v42, 24, v42
	v_bfrev_b32_e32 v53, 60
	v_lshlrev_b32_e32 v51, 20, v51
	v_and_b32_e32 v42, 0x80000000, v42
	v_lshl_add_u32 v30, v30, 23, v53
	v_or3_b32 v30, v42, v30, v51
	v_lshrrev_b32_e32 v53, 16, v30
.LBB847_227:
	s_or_b64 exec, exec, s[10:11]
.LBB847_228:
	s_or_b64 exec, exec, s[8:9]
.LBB847_229:
	s_or_b64 exec, exec, s[2:3]
	v_cmp_ne_u16_sdwa s[8:9], v31, v45 src0_sel:BYTE_0 src1_sel:DWORD
	s_and_saveexec_b64 s[2:3], s[8:9]
	s_cbranch_execz .LBB847_235
; %bb.230:
	s_movk_i32 s8, 0x80
	v_cmp_ne_u16_sdwa s[10:11], v31, s8 src0_sel:BYTE_0 src1_sel:DWORD
	v_mov_b32_e32 v45, 0xffff8000
	s_and_saveexec_b64 s[8:9], s[10:11]
	s_cbranch_execz .LBB847_234
; %bb.231:
	s_movk_i32 s10, 0x7f
	v_and_b32_e32 v30, 0x7f, v31
	v_cmp_ne_u32_e32 vcc, s10, v30
	v_mov_b32_e32 v45, 0x7f80
	s_and_saveexec_b64 s[10:11], vcc
	s_cbranch_execz .LBB847_233
; %bb.232:
	v_and_b32_e32 v45, 7, v31
	v_ffbh_u32_e32 v54, v45
	v_min_u32_e32 v56, 32, v54
	v_mov_b32_e32 v42, v31
	v_subrev_u32_e32 v54, 28, v56
	v_lshlrev_b64 v[54:55], v54, v[42:43]
	v_lshrrev_b32_e32 v51, 3, v30
	v_sub_u32_e32 v42, 29, v56
	v_and_b32_e32 v54, 7, v54
	v_cmp_gt_u32_e32 vcc, 8, v30
	v_cndmask_b32_e32 v30, v51, v42, vcc
	v_cndmask_b32_e32 v42, v45, v54, vcc
	v_lshlrev_b32_e32 v45, 24, v31
	v_bfrev_b32_e32 v51, 60
	v_lshlrev_b32_e32 v42, 20, v42
	v_and_b32_e32 v45, 0x80000000, v45
	v_lshl_add_u32 v30, v30, 23, v51
	v_or3_b32 v30, v45, v30, v42
	v_lshrrev_b32_e32 v45, 16, v30
.LBB847_233:
	s_or_b64 exec, exec, s[10:11]
.LBB847_234:
	s_or_b64 exec, exec, s[8:9]
.LBB847_235:
	s_or_b64 exec, exec, s[2:3]
	v_lshrrev_b16_e32 v30, 8, v31
	v_cmp_ne_u16_e32 vcc, 0, v30
	v_mov_b32_e32 v54, 0
	v_mov_b32_e32 v42, 0
	s_and_saveexec_b64 s[2:3], vcc
	s_cbranch_execz .LBB847_241
; %bb.236:
	s_movk_i32 s8, 0x80
	v_cmp_ne_u16_e32 vcc, s8, v30
	v_mov_b32_e32 v42, 0xffff8000
	s_and_saveexec_b64 s[8:9], vcc
	s_cbranch_execz .LBB847_240
; %bb.237:
	s_movk_i32 s10, 0x7f
	v_and_b32_e32 v51, 0x7f, v30
	v_cmp_ne_u32_e32 vcc, s10, v51
	v_mov_b32_e32 v42, 0x7f80
	s_and_saveexec_b64 s[10:11], vcc
	s_cbranch_execz .LBB847_239
; %bb.238:
	v_and_b32_e32 v42, 7, v30
	v_ffbh_u32_e32 v56, v42
	v_min_u32_e32 v58, 32, v56
	v_subrev_u32_e32 v56, 28, v58
	v_lshlrev_b64 v[56:57], v56, v[30:31]
	v_lshrrev_b32_e32 v55, 3, v51
	v_sub_u32_e32 v30, 29, v58
	v_and_b32_e32 v56, 7, v56
	v_cmp_gt_u32_e32 vcc, 8, v51
	v_cndmask_b32_e32 v30, v55, v30, vcc
	v_cndmask_b32_e32 v42, v42, v56, vcc
	v_lshlrev_b32_e32 v51, 16, v31
	v_bfrev_b32_e32 v55, 60
	v_lshlrev_b32_e32 v42, 20, v42
	v_and_b32_e32 v51, 0x80000000, v51
	v_lshl_add_u32 v30, v30, 23, v55
	v_or3_b32 v30, v51, v30, v42
	v_lshrrev_b32_e32 v42, 16, v30
.LBB847_239:
	s_or_b64 exec, exec, s[10:11]
.LBB847_240:
	s_or_b64 exec, exec, s[8:9]
.LBB847_241:
	s_or_b64 exec, exec, s[2:3]
	s_movk_i32 s2, 0xff
	v_and_b32_sdwa v51, v31, s2 dst_sel:DWORD dst_unused:UNUSED_PAD src0_sel:WORD_1 src1_sel:DWORD
	v_lshrrev_b32_e32 v30, 16, v31
	v_cmp_ne_u16_e32 vcc, 0, v51
	s_and_saveexec_b64 s[2:3], vcc
	s_cbranch_execz .LBB847_247
; %bb.242:
	s_movk_i32 s8, 0x80
	v_cmp_ne_u16_e32 vcc, s8, v51
	v_mov_b32_e32 v54, 0xffff8000
	s_and_saveexec_b64 s[8:9], vcc
	s_cbranch_execz .LBB847_246
; %bb.243:
	v_bfe_u32 v51, v31, 16, 7
	s_movk_i32 s10, 0x7f
	v_cmp_ne_u32_e32 vcc, s10, v51
	v_mov_b32_e32 v54, 0x7f80
	s_and_saveexec_b64 s[10:11], vcc
	s_cbranch_execz .LBB847_245
; %bb.244:
	v_and_b32_e32 v56, 7, v30
	v_ffbh_u32_e32 v54, v56
	v_min_u32_e32 v58, 32, v54
	v_subrev_u32_e32 v54, 28, v58
	v_lshlrev_b64 v[54:55], v54, v[30:31]
	v_and_b32_e32 v54, 7, v54
	v_cmp_gt_u32_e32 vcc, 8, v51
	v_lshrrev_b32_e32 v57, 3, v51
	v_sub_u32_e32 v30, 29, v58
	v_cndmask_b32_e32 v51, v56, v54, vcc
	v_mov_b32_e32 v54, 24
	v_cndmask_b32_e32 v30, v57, v30, vcc
	v_lshlrev_b32_sdwa v54, v54, v31 dst_sel:DWORD dst_unused:UNUSED_PAD src0_sel:DWORD src1_sel:WORD_1
	v_bfrev_b32_e32 v55, 60
	v_lshlrev_b32_e32 v51, 20, v51
	v_and_b32_e32 v54, 0x80000000, v54
	v_lshl_add_u32 v30, v30, 23, v55
	v_or3_b32 v30, v54, v30, v51
	v_lshrrev_b32_e32 v54, 16, v30
.LBB847_245:
	s_or_b64 exec, exec, s[10:11]
.LBB847_246:
	s_or_b64 exec, exec, s[8:9]
.LBB847_247:
	s_or_b64 exec, exec, s[2:3]
	s_mov_b32 s2, 0xffffff
	v_cmp_lt_u32_e32 vcc, s2, v31
	v_mov_b32_e32 v51, 0
	v_mov_b32_e32 v55, 0
	s_and_saveexec_b64 s[2:3], vcc
	s_cbranch_execz .LBB847_253
; %bb.248:
	v_lshrrev_b32_e32 v30, 24, v31
	s_movk_i32 s8, 0x80
	v_cmp_ne_u32_e32 vcc, s8, v30
	v_mov_b32_e32 v55, 0xffff8000
	s_and_saveexec_b64 s[8:9], vcc
	s_cbranch_execz .LBB847_252
; %bb.249:
	v_bfe_u32 v31, v31, 24, 7
	s_movk_i32 s10, 0x7f
	v_cmp_ne_u32_e32 vcc, s10, v31
	v_mov_b32_e32 v55, 0x7f80
	s_and_saveexec_b64 s[10:11], vcc
	s_cbranch_execz .LBB847_251
; %bb.250:
	v_and_b32_e32 v55, 7, v30
	v_ffbh_u32_e32 v56, v55
	v_min_u32_e32 v59, 32, v56
	v_subrev_u32_e32 v56, 28, v59
	v_lshlrev_b64 v[56:57], v56, v[30:31]
	v_lshrrev_b32_e32 v58, 3, v31
	v_sub_u32_e32 v57, 29, v59
	v_and_b32_e32 v56, 7, v56
	v_cmp_gt_u32_e32 vcc, 8, v31
	v_cndmask_b32_e32 v31, v58, v57, vcc
	v_cndmask_b32_e32 v55, v55, v56, vcc
	v_lshlrev_b32_e32 v30, 24, v30
	v_bfrev_b32_e32 v56, 60
	v_lshlrev_b32_e32 v55, 20, v55
	v_and_b32_e32 v30, 0x80000000, v30
	v_lshl_add_u32 v31, v31, 23, v56
	v_or3_b32 v30, v30, v31, v55
	v_lshrrev_b32_e32 v55, 16, v30
.LBB847_251:
	s_or_b64 exec, exec, s[10:11]
.LBB847_252:
	s_or_b64 exec, exec, s[8:9]
.LBB847_253:
	s_or_b64 exec, exec, s[2:3]
	s_mov_b32 s2, 0x5040100
	v_perm_b32 v31, v53, v44, s2
	v_perm_b32 v30, v43, v52, s2
	v_cmp_ne_u16_sdwa s[8:9], v32, v51 src0_sel:BYTE_0 src1_sel:DWORD
	s_nop 0
	v_mfma_f32_16x16x16bf16_1k v[56:59], v[30:31], v[26:27], 0
	v_perm_b32 v31, v55, v54, s2
	v_perm_b32 v30, v42, v45, s2
	s_nop 1
	v_mfma_f32_16x16x16bf16_1k v[42:45], v[30:31], v[28:29], v[56:59]
	s_and_saveexec_b64 s[2:3], s[8:9]
	s_cbranch_execz .LBB847_259
; %bb.254:
	s_movk_i32 s8, 0x80
	v_cmp_ne_u16_sdwa s[10:11], v32, s8 src0_sel:BYTE_0 src1_sel:DWORD
	v_mov_b32_e32 v51, 0xffff8000
	s_and_saveexec_b64 s[8:9], s[10:11]
	s_cbranch_execz .LBB847_258
; %bb.255:
	s_movk_i32 s10, 0x7f
	v_and_b32_e32 v30, 0x7f, v32
	v_cmp_ne_u32_e32 vcc, s10, v30
	v_mov_b32_e32 v51, 0x7f80
	s_and_saveexec_b64 s[10:11], vcc
	s_cbranch_execz .LBB847_257
; %bb.256:
	v_and_b32_e32 v31, 7, v32
	v_ffbh_u32_e32 v52, v31
	v_min_u32_e32 v54, 32, v52
	v_subrev_u32_e32 v52, 28, v54
	v_lshlrev_b64 v[52:53], v52, v[32:33]
	v_lshrrev_b32_e32 v51, 3, v30
	v_sub_u32_e32 v53, 29, v54
	v_and_b32_e32 v52, 7, v52
	v_cmp_gt_u32_e32 vcc, 8, v30
	v_cndmask_b32_e32 v30, v51, v53, vcc
	v_cndmask_b32_e32 v31, v31, v52, vcc
	v_lshlrev_b32_e32 v51, 24, v32
	v_bfrev_b32_e32 v52, 60
	v_lshlrev_b32_e32 v31, 20, v31
	v_and_b32_e32 v51, 0x80000000, v51
	v_lshl_add_u32 v30, v30, 23, v52
	v_or3_b32 v30, v51, v30, v31
	v_lshrrev_b32_e32 v51, 16, v30
.LBB847_257:
	s_or_b64 exec, exec, s[10:11]
.LBB847_258:
	s_or_b64 exec, exec, s[8:9]
.LBB847_259:
	s_or_b64 exec, exec, s[2:3]
	v_lshrrev_b16_e32 v30, 8, v32
	v_cmp_ne_u16_e32 vcc, 0, v30
	v_mov_b32_e32 v53, 0
	v_mov_b32_e32 v31, 0
	s_and_saveexec_b64 s[2:3], vcc
	s_cbranch_execz .LBB847_265
; %bb.260:
	s_movk_i32 s8, 0x80
	v_cmp_ne_u16_e32 vcc, s8, v30
	v_mov_b32_e32 v31, 0xffff8000
	s_and_saveexec_b64 s[8:9], vcc
	s_cbranch_execz .LBB847_264
; %bb.261:
	s_movk_i32 s10, 0x7f
	v_and_b32_e32 v52, 0x7f, v30
	v_cmp_ne_u32_e32 vcc, s10, v52
	v_mov_b32_e32 v31, 0x7f80
	s_and_saveexec_b64 s[10:11], vcc
	s_cbranch_execz .LBB847_263
; %bb.262:
	v_and_b32_e32 v54, 7, v30
	v_ffbh_u32_e32 v31, v54
	v_min_u32_e32 v56, 32, v31
	v_subrev_u32_e32 v31, 28, v56
	v_lshlrev_b64 v[30:31], v31, v[30:31]
	v_lshrrev_b32_e32 v55, 3, v52
	v_sub_u32_e32 v31, 29, v56
	v_and_b32_e32 v30, 7, v30
	v_cmp_gt_u32_e32 vcc, 8, v52
	v_cndmask_b32_e32 v31, v55, v31, vcc
	v_cndmask_b32_e32 v30, v54, v30, vcc
	v_lshlrev_b32_e32 v52, 16, v32
	v_bfrev_b32_e32 v54, 60
	v_lshlrev_b32_e32 v30, 20, v30
	v_and_b32_e32 v52, 0x80000000, v52
	v_lshl_add_u32 v31, v31, 23, v54
	v_or3_b32 v30, v52, v31, v30
	v_lshrrev_b32_e32 v31, 16, v30
.LBB847_263:
	s_or_b64 exec, exec, s[10:11]
.LBB847_264:
	s_or_b64 exec, exec, s[8:9]
.LBB847_265:
	s_or_b64 exec, exec, s[2:3]
	s_movk_i32 s2, 0xff
	v_and_b32_sdwa v52, v32, s2 dst_sel:DWORD dst_unused:UNUSED_PAD src0_sel:WORD_1 src1_sel:DWORD
	v_lshrrev_b32_e32 v30, 16, v32
	v_cmp_ne_u16_e32 vcc, 0, v52
	s_and_saveexec_b64 s[2:3], vcc
	s_cbranch_execz .LBB847_271
; %bb.266:
	s_movk_i32 s8, 0x80
	v_cmp_ne_u16_e32 vcc, s8, v52
	v_mov_b32_e32 v53, 0xffff8000
	s_and_saveexec_b64 s[8:9], vcc
	s_cbranch_execz .LBB847_270
; %bb.267:
	v_bfe_u32 v52, v32, 16, 7
	s_movk_i32 s10, 0x7f
	v_cmp_ne_u32_e32 vcc, s10, v52
	v_mov_b32_e32 v53, 0x7f80
	s_and_saveexec_b64 s[10:11], vcc
	s_cbranch_execz .LBB847_269
; %bb.268:
	v_and_b32_e32 v53, 7, v30
	v_ffbh_u32_e32 v54, v53
	v_min_u32_e32 v57, 32, v54
	v_subrev_u32_e32 v54, 28, v57
	v_lshlrev_b64 v[54:55], v54, v[30:31]
	v_and_b32_e32 v54, 7, v54
	v_cmp_gt_u32_e32 vcc, 8, v52
	v_lshrrev_b32_e32 v56, 3, v52
	v_sub_u32_e32 v30, 29, v57
	v_cndmask_b32_e32 v52, v53, v54, vcc
	v_mov_b32_e32 v53, 24
	v_cndmask_b32_e32 v30, v56, v30, vcc
	v_lshlrev_b32_sdwa v53, v53, v32 dst_sel:DWORD dst_unused:UNUSED_PAD src0_sel:DWORD src1_sel:WORD_1
	v_bfrev_b32_e32 v54, 60
	v_lshlrev_b32_e32 v52, 20, v52
	v_and_b32_e32 v53, 0x80000000, v53
	v_lshl_add_u32 v30, v30, 23, v54
	v_or3_b32 v30, v53, v30, v52
	v_lshrrev_b32_e32 v53, 16, v30
.LBB847_269:
	s_or_b64 exec, exec, s[10:11]
.LBB847_270:
	s_or_b64 exec, exec, s[8:9]
.LBB847_271:
	s_or_b64 exec, exec, s[2:3]
	s_mov_b32 s2, 0xffffff
	v_cmp_lt_u32_e32 vcc, s2, v32
	v_mov_b32_e32 v54, 0
	v_mov_b32_e32 v55, 0
	s_and_saveexec_b64 s[2:3], vcc
	s_cbranch_execz .LBB847_277
; %bb.272:
	v_lshrrev_b32_e32 v30, 24, v32
	s_movk_i32 s8, 0x80
	v_cmp_ne_u32_e32 vcc, s8, v30
	v_mov_b32_e32 v55, 0xffff8000
	s_and_saveexec_b64 s[8:9], vcc
	s_cbranch_execz .LBB847_276
; %bb.273:
	v_bfe_u32 v32, v32, 24, 7
	s_movk_i32 s10, 0x7f
	v_cmp_ne_u32_e32 vcc, s10, v32
	v_mov_b32_e32 v55, 0x7f80
	s_and_saveexec_b64 s[10:11], vcc
	s_cbranch_execz .LBB847_275
; %bb.274:
	v_and_b32_e32 v52, 7, v30
	v_ffbh_u32_e32 v56, v52
	v_min_u32_e32 v58, 32, v56
	v_subrev_u32_e32 v56, 28, v58
	v_lshlrev_b64 v[56:57], v56, v[30:31]
	v_lshrrev_b32_e32 v55, 3, v32
	v_sub_u32_e32 v57, 29, v58
	v_and_b32_e32 v56, 7, v56
	v_cmp_gt_u32_e32 vcc, 8, v32
	v_cndmask_b32_e32 v32, v55, v57, vcc
	v_cndmask_b32_e32 v52, v52, v56, vcc
	v_lshlrev_b32_e32 v30, 24, v30
	v_bfrev_b32_e32 v55, 60
	v_lshlrev_b32_e32 v52, 20, v52
	v_and_b32_e32 v30, 0x80000000, v30
	v_lshl_add_u32 v32, v32, 23, v55
	v_or3_b32 v30, v30, v32, v52
	v_lshrrev_b32_e32 v55, 16, v30
.LBB847_275:
	s_or_b64 exec, exec, s[10:11]
.LBB847_276:
	s_or_b64 exec, exec, s[8:9]
.LBB847_277:
	s_or_b64 exec, exec, s[2:3]
	v_cmp_ne_u16_sdwa s[8:9], v33, v54 src0_sel:BYTE_0 src1_sel:DWORD
	s_and_saveexec_b64 s[2:3], s[8:9]
	s_cbranch_execz .LBB847_283
; %bb.278:
	s_movk_i32 s8, 0x80
	v_cmp_ne_u16_sdwa s[10:11], v33, s8 src0_sel:BYTE_0 src1_sel:DWORD
	v_mov_b32_e32 v54, 0xffff8000
	s_and_saveexec_b64 s[8:9], s[10:11]
	s_cbranch_execz .LBB847_282
; %bb.279:
	s_movk_i32 s10, 0x7f
	v_and_b32_e32 v30, 0x7f, v33
	v_cmp_ne_u32_e32 vcc, s10, v30
	v_mov_b32_e32 v54, 0x7f80
	s_and_saveexec_b64 s[10:11], vcc
	s_cbranch_execz .LBB847_281
; %bb.280:
	v_and_b32_e32 v52, 7, v33
	v_ffbh_u32_e32 v56, v52
	v_min_u32_e32 v58, 32, v56
	v_mov_b32_e32 v32, v33
	v_subrev_u32_e32 v56, 28, v58
	v_lshlrev_b64 v[56:57], v56, v[32:33]
	v_lshrrev_b32_e32 v54, 3, v30
	v_sub_u32_e32 v32, 29, v58
	v_and_b32_e32 v56, 7, v56
	v_cmp_gt_u32_e32 vcc, 8, v30
	v_cndmask_b32_e32 v30, v54, v32, vcc
	v_cndmask_b32_e32 v32, v52, v56, vcc
	v_lshlrev_b32_e32 v52, 24, v33
	v_bfrev_b32_e32 v54, 60
	v_lshlrev_b32_e32 v32, 20, v32
	v_and_b32_e32 v52, 0x80000000, v52
	v_lshl_add_u32 v30, v30, 23, v54
	v_or3_b32 v30, v52, v30, v32
	v_lshrrev_b32_e32 v54, 16, v30
.LBB847_281:
	s_or_b64 exec, exec, s[10:11]
.LBB847_282:
	s_or_b64 exec, exec, s[8:9]
.LBB847_283:
	s_or_b64 exec, exec, s[2:3]
	v_lshrrev_b16_e32 v30, 8, v33
	v_cmp_ne_u16_e32 vcc, 0, v30
	v_mov_b32_e32 v56, 0
	v_mov_b32_e32 v32, 0
	s_and_saveexec_b64 s[2:3], vcc
	s_cbranch_execz .LBB847_289
; %bb.284:
	s_movk_i32 s8, 0x80
	v_cmp_ne_u16_e32 vcc, s8, v30
	v_mov_b32_e32 v32, 0xffff8000
	s_and_saveexec_b64 s[8:9], vcc
	s_cbranch_execz .LBB847_288
; %bb.285:
	s_movk_i32 s10, 0x7f
	v_and_b32_e32 v52, 0x7f, v30
	v_cmp_ne_u32_e32 vcc, s10, v52
	v_mov_b32_e32 v32, 0x7f80
	s_and_saveexec_b64 s[10:11], vcc
	s_cbranch_execz .LBB847_287
; %bb.286:
	v_and_b32_e32 v32, 7, v30
	v_ffbh_u32_e32 v58, v32
	v_min_u32_e32 v60, 32, v58
	v_subrev_u32_e32 v58, 28, v60
	v_lshlrev_b64 v[58:59], v58, v[30:31]
	v_lshrrev_b32_e32 v57, 3, v52
	v_sub_u32_e32 v30, 29, v60
	v_and_b32_e32 v58, 7, v58
	v_cmp_gt_u32_e32 vcc, 8, v52
	v_cndmask_b32_e32 v30, v57, v30, vcc
	v_cndmask_b32_e32 v32, v32, v58, vcc
	v_lshlrev_b32_e32 v52, 16, v33
	v_bfrev_b32_e32 v57, 60
	v_lshlrev_b32_e32 v32, 20, v32
	v_and_b32_e32 v52, 0x80000000, v52
	v_lshl_add_u32 v30, v30, 23, v57
	v_or3_b32 v30, v52, v30, v32
	v_lshrrev_b32_e32 v32, 16, v30
.LBB847_287:
	s_or_b64 exec, exec, s[10:11]
.LBB847_288:
	s_or_b64 exec, exec, s[8:9]
.LBB847_289:
	s_or_b64 exec, exec, s[2:3]
	s_movk_i32 s2, 0xff
	v_and_b32_sdwa v52, v33, s2 dst_sel:DWORD dst_unused:UNUSED_PAD src0_sel:WORD_1 src1_sel:DWORD
	v_lshrrev_b32_e32 v30, 16, v33
	v_cmp_ne_u16_e32 vcc, 0, v52
	s_and_saveexec_b64 s[2:3], vcc
	s_cbranch_execz .LBB847_295
; %bb.290:
	s_movk_i32 s8, 0x80
	v_cmp_ne_u16_e32 vcc, s8, v52
	v_mov_b32_e32 v56, 0xffff8000
	s_and_saveexec_b64 s[8:9], vcc
	s_cbranch_execz .LBB847_294
; %bb.291:
	v_bfe_u32 v52, v33, 16, 7
	s_movk_i32 s10, 0x7f
	v_cmp_ne_u32_e32 vcc, s10, v52
	v_mov_b32_e32 v56, 0x7f80
	s_and_saveexec_b64 s[10:11], vcc
	s_cbranch_execz .LBB847_293
; %bb.292:
	v_and_b32_e32 v58, 7, v30
	v_ffbh_u32_e32 v56, v58
	v_min_u32_e32 v60, 32, v56
	v_subrev_u32_e32 v56, 28, v60
	v_lshlrev_b64 v[56:57], v56, v[30:31]
	v_and_b32_e32 v56, 7, v56
	v_cmp_gt_u32_e32 vcc, 8, v52
	v_lshrrev_b32_e32 v59, 3, v52
	v_sub_u32_e32 v30, 29, v60
	v_cndmask_b32_e32 v52, v58, v56, vcc
	v_mov_b32_e32 v56, 24
	v_cndmask_b32_e32 v30, v59, v30, vcc
	v_lshlrev_b32_sdwa v56, v56, v33 dst_sel:DWORD dst_unused:UNUSED_PAD src0_sel:DWORD src1_sel:WORD_1
	v_bfrev_b32_e32 v57, 60
	v_lshlrev_b32_e32 v52, 20, v52
	v_and_b32_e32 v56, 0x80000000, v56
	v_lshl_add_u32 v30, v30, 23, v57
	v_or3_b32 v30, v56, v30, v52
	v_lshrrev_b32_e32 v56, 16, v30
.LBB847_293:
	s_or_b64 exec, exec, s[10:11]
.LBB847_294:
	s_or_b64 exec, exec, s[8:9]
.LBB847_295:
	s_or_b64 exec, exec, s[2:3]
	s_mov_b32 s2, 0xffffff
	v_cmp_lt_u32_e32 vcc, s2, v33
	v_mov_b32_e32 v52, 0
	v_mov_b32_e32 v57, 0
	s_and_saveexec_b64 s[2:3], vcc
	s_cbranch_execz .LBB847_301
; %bb.296:
	v_lshrrev_b32_e32 v30, 24, v33
	s_movk_i32 s8, 0x80
	v_cmp_ne_u32_e32 vcc, s8, v30
	v_mov_b32_e32 v57, 0xffff8000
	s_and_saveexec_b64 s[8:9], vcc
	s_cbranch_execz .LBB847_300
; %bb.297:
	v_bfe_u32 v33, v33, 24, 7
	s_movk_i32 s10, 0x7f
	v_cmp_ne_u32_e32 vcc, s10, v33
	v_mov_b32_e32 v57, 0x7f80
	s_and_saveexec_b64 s[10:11], vcc
	s_cbranch_execz .LBB847_299
; %bb.298:
	v_and_b32_e32 v57, 7, v30
	v_ffbh_u32_e32 v58, v57
	v_min_u32_e32 v61, 32, v58
	v_subrev_u32_e32 v58, 28, v61
	v_lshlrev_b64 v[58:59], v58, v[30:31]
	v_lshrrev_b32_e32 v60, 3, v33
	v_sub_u32_e32 v59, 29, v61
	v_and_b32_e32 v58, 7, v58
	v_cmp_gt_u32_e32 vcc, 8, v33
	v_cndmask_b32_e32 v33, v60, v59, vcc
	v_cndmask_b32_e32 v57, v57, v58, vcc
	v_lshlrev_b32_e32 v30, 24, v30
	v_bfrev_b32_e32 v58, 60
	v_lshlrev_b32_e32 v57, 20, v57
	v_and_b32_e32 v30, 0x80000000, v30
	v_lshl_add_u32 v33, v33, 23, v58
	v_or3_b32 v30, v30, v33, v57
	v_lshrrev_b32_e32 v57, 16, v30
.LBB847_299:
	s_or_b64 exec, exec, s[10:11]
.LBB847_300:
	s_or_b64 exec, exec, s[8:9]
.LBB847_301:
	s_or_b64 exec, exec, s[2:3]
	s_mov_b32 s2, 0x5040100
	v_perm_b32 v59, v55, v53, s2
	v_perm_b32 v58, v31, v51, s2
	;; [unrolled: 1-line block ×4, first 2 shown]
	v_cmp_ne_u16_sdwa s[8:9], v22, v52 src0_sel:BYTE_0 src1_sel:DWORD
	v_mfma_f32_16x16x16bf16_1k v[42:45], v[58:59], v[18:19], v[42:45]
	v_mfma_f32_16x16x16bf16_1k v[30:33], v[30:31], v[20:21], v[42:45]
	s_and_saveexec_b64 s[2:3], s[8:9]
	s_cbranch_execz .LBB847_307
; %bb.302:
	s_movk_i32 s8, 0x80
	v_cmp_ne_u16_sdwa s[10:11], v22, s8 src0_sel:BYTE_0 src1_sel:DWORD
	v_mov_b32_e32 v52, 0xffff8000
	s_and_saveexec_b64 s[8:9], s[10:11]
	s_cbranch_execz .LBB847_306
; %bb.303:
	s_movk_i32 s10, 0x7f
	s_nop 1
	v_and_b32_e32 v42, 0x7f, v22
	v_cmp_ne_u32_e32 vcc, s10, v42
	v_mov_b32_e32 v52, 0x7f80
	s_and_saveexec_b64 s[10:11], vcc
	s_cbranch_execz .LBB847_305
; %bb.304:
	v_and_b32_e32 v43, 7, v22
	v_ffbh_u32_e32 v44, v43
	v_min_u32_e32 v52, 32, v44
	v_subrev_u32_e32 v44, 28, v52
	v_lshlrev_b64 v[44:45], v44, v[22:23]
	v_lshrrev_b32_e32 v51, 3, v42
	v_sub_u32_e32 v45, 29, v52
	v_and_b32_e32 v44, 7, v44
	v_cmp_gt_u32_e32 vcc, 8, v42
	v_cndmask_b32_e32 v42, v51, v45, vcc
	v_cndmask_b32_e32 v43, v43, v44, vcc
	v_lshlrev_b32_e32 v44, 24, v22
	v_bfrev_b32_e32 v45, 60
	v_lshlrev_b32_e32 v43, 20, v43
	v_and_b32_e32 v44, 0x80000000, v44
	v_lshl_add_u32 v42, v42, 23, v45
	v_or3_b32 v42, v44, v42, v43
	v_lshrrev_b32_e32 v52, 16, v42
.LBB847_305:
	s_or_b64 exec, exec, s[10:11]
.LBB847_306:
	s_or_b64 exec, exec, s[8:9]
.LBB847_307:
	s_or_b64 exec, exec, s[2:3]
	s_nop 6
	v_lshrrev_b16_e32 v42, 8, v22
	v_cmp_ne_u16_e32 vcc, 0, v42
	v_mov_b32_e32 v45, 0
	v_mov_b32_e32 v44, 0
	s_and_saveexec_b64 s[2:3], vcc
	s_cbranch_execz .LBB847_313
; %bb.308:
	s_movk_i32 s8, 0x80
	v_cmp_ne_u16_e32 vcc, s8, v42
	v_mov_b32_e32 v44, 0xffff8000
	s_and_saveexec_b64 s[8:9], vcc
	s_cbranch_execz .LBB847_312
; %bb.309:
	s_movk_i32 s10, 0x7f
	v_and_b32_e32 v43, 0x7f, v42
	v_cmp_ne_u32_e32 vcc, s10, v43
	v_mov_b32_e32 v44, 0x7f80
	s_and_saveexec_b64 s[10:11], vcc
	s_cbranch_execz .LBB847_311
; %bb.310:
	v_and_b32_e32 v44, 7, v42
	v_ffbh_u32_e32 v53, v44
	v_min_u32_e32 v53, 32, v53
	v_subrev_u32_e32 v54, 28, v53
	v_lshlrev_b64 v[54:55], v54, v[42:43]
	v_lshrrev_b32_e32 v51, 3, v43
	v_sub_u32_e32 v42, 29, v53
	v_and_b32_e32 v53, 7, v54
	v_cmp_gt_u32_e32 vcc, 8, v43
	v_cndmask_b32_e32 v42, v51, v42, vcc
	v_cndmask_b32_e32 v43, v44, v53, vcc
	v_lshlrev_b32_e32 v44, 16, v22
	v_bfrev_b32_e32 v51, 60
	v_lshlrev_b32_e32 v43, 20, v43
	v_and_b32_e32 v44, 0x80000000, v44
	v_lshl_add_u32 v42, v42, 23, v51
	v_or3_b32 v42, v44, v42, v43
	v_lshrrev_b32_e32 v44, 16, v42
.LBB847_311:
	s_or_b64 exec, exec, s[10:11]
.LBB847_312:
	s_or_b64 exec, exec, s[8:9]
.LBB847_313:
	s_or_b64 exec, exec, s[2:3]
	s_movk_i32 s2, 0xff
	v_and_b32_sdwa v43, v22, s2 dst_sel:DWORD dst_unused:UNUSED_PAD src0_sel:WORD_1 src1_sel:DWORD
	v_lshrrev_b32_e32 v42, 16, v22
	v_cmp_ne_u16_e32 vcc, 0, v43
	s_and_saveexec_b64 s[2:3], vcc
	s_cbranch_execz .LBB847_319
; %bb.314:
	s_movk_i32 s8, 0x80
	v_cmp_ne_u16_e32 vcc, s8, v43
	v_mov_b32_e32 v45, 0xffff8000
	s_and_saveexec_b64 s[8:9], vcc
	s_cbranch_execz .LBB847_318
; %bb.315:
	v_bfe_u32 v43, v22, 16, 7
	s_movk_i32 s10, 0x7f
	v_cmp_ne_u32_e32 vcc, s10, v43
	v_mov_b32_e32 v45, 0x7f80
	s_and_saveexec_b64 s[10:11], vcc
	s_cbranch_execz .LBB847_317
; %bb.316:
	v_and_b32_e32 v45, 7, v42
	v_ffbh_u32_e32 v53, v45
	v_min_u32_e32 v53, 32, v53
	v_subrev_u32_e32 v54, 28, v53
	v_lshlrev_b64 v[54:55], v54, v[42:43]
	v_sub_u32_e32 v42, 29, v53
	v_and_b32_e32 v53, 7, v54
	v_cmp_gt_u32_e32 vcc, 8, v43
	v_lshrrev_b32_e32 v51, 3, v43
	v_cndmask_b32_e32 v43, v45, v53, vcc
	v_mov_b32_e32 v45, 24
	v_cndmask_b32_e32 v42, v51, v42, vcc
	v_lshlrev_b32_sdwa v45, v45, v22 dst_sel:DWORD dst_unused:UNUSED_PAD src0_sel:DWORD src1_sel:WORD_1
	v_bfrev_b32_e32 v51, 60
	v_lshlrev_b32_e32 v43, 20, v43
	v_and_b32_e32 v45, 0x80000000, v45
	v_lshl_add_u32 v42, v42, 23, v51
	v_or3_b32 v42, v45, v42, v43
	v_lshrrev_b32_e32 v45, 16, v42
.LBB847_317:
	s_or_b64 exec, exec, s[10:11]
.LBB847_318:
	s_or_b64 exec, exec, s[8:9]
.LBB847_319:
	s_or_b64 exec, exec, s[2:3]
	s_mov_b32 s2, 0xffffff
	v_cmp_lt_u32_e32 vcc, s2, v22
	v_mov_b32_e32 v51, 0
	v_mov_b32_e32 v53, 0
	s_and_saveexec_b64 s[2:3], vcc
	s_cbranch_execz .LBB847_325
; %bb.320:
	v_lshrrev_b32_e32 v42, 24, v22
	s_movk_i32 s8, 0x80
	v_cmp_ne_u32_e32 vcc, s8, v42
	v_mov_b32_e32 v53, 0xffff8000
	s_and_saveexec_b64 s[8:9], vcc
	s_cbranch_execz .LBB847_324
; %bb.321:
	v_bfe_u32 v22, v22, 24, 7
	s_movk_i32 s10, 0x7f
	v_cmp_ne_u32_e32 vcc, s10, v22
	v_mov_b32_e32 v53, 0x7f80
	s_and_saveexec_b64 s[10:11], vcc
	s_cbranch_execz .LBB847_323
; %bb.322:
	v_and_b32_e32 v43, 7, v42
	v_ffbh_u32_e32 v54, v43
	v_min_u32_e32 v56, 32, v54
	v_subrev_u32_e32 v54, 28, v56
	v_lshlrev_b64 v[54:55], v54, v[42:43]
	v_lshrrev_b32_e32 v53, 3, v22
	v_sub_u32_e32 v55, 29, v56
	v_and_b32_e32 v54, 7, v54
	v_cmp_gt_u32_e32 vcc, 8, v22
	v_cndmask_b32_e32 v22, v53, v55, vcc
	v_cndmask_b32_e32 v43, v43, v54, vcc
	v_lshlrev_b32_e32 v42, 24, v42
	v_bfrev_b32_e32 v53, 60
	v_lshlrev_b32_e32 v43, 20, v43
	v_and_b32_e32 v42, 0x80000000, v42
	v_lshl_add_u32 v22, v22, 23, v53
	v_or3_b32 v22, v42, v22, v43
	v_lshrrev_b32_e32 v53, 16, v22
.LBB847_323:
	s_or_b64 exec, exec, s[10:11]
.LBB847_324:
	s_or_b64 exec, exec, s[8:9]
.LBB847_325:
	s_or_b64 exec, exec, s[2:3]
	v_cmp_ne_u16_sdwa s[8:9], v23, v51 src0_sel:BYTE_0 src1_sel:DWORD
	s_and_saveexec_b64 s[2:3], s[8:9]
	s_cbranch_execz .LBB847_331
; %bb.326:
	s_movk_i32 s8, 0x80
	v_cmp_ne_u16_sdwa s[10:11], v23, s8 src0_sel:BYTE_0 src1_sel:DWORD
	v_mov_b32_e32 v51, 0xffff8000
	s_and_saveexec_b64 s[8:9], s[10:11]
	s_cbranch_execz .LBB847_330
; %bb.327:
	s_movk_i32 s10, 0x7f
	v_and_b32_e32 v22, 0x7f, v23
	v_cmp_ne_u32_e32 vcc, s10, v22
	v_mov_b32_e32 v51, 0x7f80
	s_and_saveexec_b64 s[10:11], vcc
	s_cbranch_execz .LBB847_329
; %bb.328:
	v_and_b32_e32 v51, 7, v23
	v_ffbh_u32_e32 v43, v51
	v_min_u32_e32 v55, 32, v43
	v_mov_b32_e32 v42, v23
	v_subrev_u32_e32 v43, 28, v55
	v_lshlrev_b64 v[42:43], v43, v[42:43]
	v_lshrrev_b32_e32 v54, 3, v22
	v_sub_u32_e32 v43, 29, v55
	v_and_b32_e32 v42, 7, v42
	v_cmp_gt_u32_e32 vcc, 8, v22
	v_cndmask_b32_e32 v22, v54, v43, vcc
	v_cndmask_b32_e32 v42, v51, v42, vcc
	v_lshlrev_b32_e32 v43, 24, v23
	v_bfrev_b32_e32 v51, 60
	v_lshlrev_b32_e32 v42, 20, v42
	v_and_b32_e32 v43, 0x80000000, v43
	v_lshl_add_u32 v22, v22, 23, v51
	v_or3_b32 v22, v43, v22, v42
	v_lshrrev_b32_e32 v51, 16, v22
.LBB847_329:
	s_or_b64 exec, exec, s[10:11]
.LBB847_330:
	s_or_b64 exec, exec, s[8:9]
.LBB847_331:
	s_or_b64 exec, exec, s[2:3]
	v_lshrrev_b16_e32 v22, 8, v23
	v_cmp_ne_u16_e32 vcc, 0, v22
	v_mov_b32_e32 v54, 0
	v_mov_b32_e32 v42, 0
	s_and_saveexec_b64 s[2:3], vcc
	s_cbranch_execz .LBB847_337
; %bb.332:
	s_movk_i32 s8, 0x80
	v_cmp_ne_u16_e32 vcc, s8, v22
	v_mov_b32_e32 v42, 0xffff8000
	s_and_saveexec_b64 s[8:9], vcc
	s_cbranch_execz .LBB847_336
; %bb.333:
	s_movk_i32 s10, 0x7f
	v_and_b32_e32 v43, 0x7f, v22
	v_cmp_ne_u32_e32 vcc, s10, v43
	v_mov_b32_e32 v42, 0x7f80
	s_and_saveexec_b64 s[10:11], vcc
	s_cbranch_execz .LBB847_335
; %bb.334:
	v_and_b32_e32 v42, 7, v22
	v_ffbh_u32_e32 v56, v42
	v_min_u32_e32 v58, 32, v56
	v_subrev_u32_e32 v56, 28, v58
	v_lshlrev_b64 v[56:57], v56, v[22:23]
	v_lshrrev_b32_e32 v55, 3, v43
	v_sub_u32_e32 v22, 29, v58
	v_and_b32_e32 v56, 7, v56
	v_cmp_gt_u32_e32 vcc, 8, v43
	v_cndmask_b32_e32 v22, v55, v22, vcc
	v_cndmask_b32_e32 v42, v42, v56, vcc
	v_lshlrev_b32_e32 v43, 16, v23
	v_bfrev_b32_e32 v55, 60
	v_lshlrev_b32_e32 v42, 20, v42
	v_and_b32_e32 v43, 0x80000000, v43
	v_lshl_add_u32 v22, v22, 23, v55
	v_or3_b32 v22, v43, v22, v42
	v_lshrrev_b32_e32 v42, 16, v22
.LBB847_335:
	s_or_b64 exec, exec, s[10:11]
.LBB847_336:
	s_or_b64 exec, exec, s[8:9]
.LBB847_337:
	s_or_b64 exec, exec, s[2:3]
	s_movk_i32 s2, 0xff
	v_and_b32_sdwa v43, v23, s2 dst_sel:DWORD dst_unused:UNUSED_PAD src0_sel:WORD_1 src1_sel:DWORD
	v_lshrrev_b32_e32 v22, 16, v23
	v_cmp_ne_u16_e32 vcc, 0, v43
	s_and_saveexec_b64 s[2:3], vcc
	s_cbranch_execz .LBB847_343
; %bb.338:
	s_movk_i32 s8, 0x80
	v_cmp_ne_u16_e32 vcc, s8, v43
	v_mov_b32_e32 v54, 0xffff8000
	s_and_saveexec_b64 s[8:9], vcc
	s_cbranch_execz .LBB847_342
; %bb.339:
	v_bfe_u32 v43, v23, 16, 7
	s_movk_i32 s10, 0x7f
	v_cmp_ne_u32_e32 vcc, s10, v43
	v_mov_b32_e32 v54, 0x7f80
	s_and_saveexec_b64 s[10:11], vcc
	s_cbranch_execz .LBB847_341
; %bb.340:
	v_and_b32_e32 v56, 7, v22
	v_ffbh_u32_e32 v54, v56
	v_min_u32_e32 v58, 32, v54
	v_subrev_u32_e32 v54, 28, v58
	v_lshlrev_b64 v[54:55], v54, v[22:23]
	v_and_b32_e32 v54, 7, v54
	v_cmp_gt_u32_e32 vcc, 8, v43
	v_lshrrev_b32_e32 v57, 3, v43
	v_sub_u32_e32 v22, 29, v58
	v_cndmask_b32_e32 v43, v56, v54, vcc
	v_mov_b32_e32 v54, 24
	v_cndmask_b32_e32 v22, v57, v22, vcc
	v_lshlrev_b32_sdwa v54, v54, v23 dst_sel:DWORD dst_unused:UNUSED_PAD src0_sel:DWORD src1_sel:WORD_1
	v_bfrev_b32_e32 v55, 60
	v_lshlrev_b32_e32 v43, 20, v43
	v_and_b32_e32 v54, 0x80000000, v54
	v_lshl_add_u32 v22, v22, 23, v55
	v_or3_b32 v22, v54, v22, v43
	v_lshrrev_b32_e32 v54, 16, v22
.LBB847_341:
	s_or_b64 exec, exec, s[10:11]
.LBB847_342:
	s_or_b64 exec, exec, s[8:9]
.LBB847_343:
	s_or_b64 exec, exec, s[2:3]
	s_mov_b32 s2, 0xffffff
	v_cmp_lt_u32_e32 vcc, s2, v23
	v_mov_b32_e32 v43, 0
	v_mov_b32_e32 v55, 0
	s_and_saveexec_b64 s[2:3], vcc
	s_cbranch_execz .LBB847_349
; %bb.344:
	v_lshrrev_b32_e32 v22, 24, v23
	s_movk_i32 s8, 0x80
	v_cmp_ne_u32_e32 vcc, s8, v22
	v_mov_b32_e32 v55, 0xffff8000
	s_and_saveexec_b64 s[8:9], vcc
	s_cbranch_execz .LBB847_348
; %bb.345:
	v_bfe_u32 v23, v23, 24, 7
	s_movk_i32 s10, 0x7f
	v_cmp_ne_u32_e32 vcc, s10, v23
	v_mov_b32_e32 v55, 0x7f80
	s_and_saveexec_b64 s[10:11], vcc
	s_cbranch_execz .LBB847_347
; %bb.346:
	v_and_b32_e32 v55, 7, v22
	v_ffbh_u32_e32 v56, v55
	v_min_u32_e32 v59, 32, v56
	v_subrev_u32_e32 v56, 28, v59
	v_lshlrev_b64 v[56:57], v56, v[22:23]
	v_lshrrev_b32_e32 v58, 3, v23
	v_sub_u32_e32 v57, 29, v59
	v_and_b32_e32 v56, 7, v56
	v_cmp_gt_u32_e32 vcc, 8, v23
	v_cndmask_b32_e32 v23, v58, v57, vcc
	v_cndmask_b32_e32 v55, v55, v56, vcc
	v_lshlrev_b32_e32 v22, 24, v22
	v_bfrev_b32_e32 v56, 60
	v_lshlrev_b32_e32 v55, 20, v55
	v_and_b32_e32 v22, 0x80000000, v22
	v_lshl_add_u32 v23, v23, 23, v56
	v_or3_b32 v22, v22, v23, v55
	v_lshrrev_b32_e32 v55, 16, v22
.LBB847_347:
	s_or_b64 exec, exec, s[10:11]
.LBB847_348:
	s_or_b64 exec, exec, s[8:9]
.LBB847_349:
	s_or_b64 exec, exec, s[2:3]
	s_mov_b32 s2, 0x5040100
	v_perm_b32 v23, v53, v45, s2
	v_perm_b32 v22, v44, v52, s2
	v_cmp_ne_u16_sdwa s[8:9], v24, v43 src0_sel:BYTE_0 src1_sel:DWORD
	s_nop 0
	v_mfma_f32_16x16x16bf16_1k v[56:59], v[22:23], v[26:27], 0
	v_perm_b32 v23, v55, v54, s2
	v_perm_b32 v22, v42, v51, s2
	s_nop 1
	v_mfma_f32_16x16x16bf16_1k v[26:29], v[22:23], v[28:29], v[56:59]
	s_and_saveexec_b64 s[2:3], s[8:9]
	s_cbranch_execz .LBB847_355
; %bb.350:
	s_movk_i32 s8, 0x80
	v_cmp_ne_u16_sdwa s[10:11], v24, s8 src0_sel:BYTE_0 src1_sel:DWORD
	v_mov_b32_e32 v43, 0xffff8000
	s_and_saveexec_b64 s[8:9], s[10:11]
	s_cbranch_execz .LBB847_354
; %bb.351:
	s_movk_i32 s10, 0x7f
	v_and_b32_e32 v22, 0x7f, v24
	v_cmp_ne_u32_e32 vcc, s10, v22
	v_mov_b32_e32 v43, 0x7f80
	s_and_saveexec_b64 s[10:11], vcc
	s_cbranch_execz .LBB847_353
; %bb.352:
	v_and_b32_e32 v23, 7, v24
	v_ffbh_u32_e32 v42, v23
	v_min_u32_e32 v45, 32, v42
	v_subrev_u32_e32 v42, 28, v45
	v_lshlrev_b64 v[42:43], v42, v[24:25]
	v_lshrrev_b32_e32 v44, 3, v22
	v_sub_u32_e32 v43, 29, v45
	v_and_b32_e32 v42, 7, v42
	v_cmp_gt_u32_e32 vcc, 8, v22
	v_cndmask_b32_e32 v22, v44, v43, vcc
	v_cndmask_b32_e32 v23, v23, v42, vcc
	v_lshlrev_b32_e32 v42, 24, v24
	v_bfrev_b32_e32 v43, 60
	v_lshlrev_b32_e32 v23, 20, v23
	v_and_b32_e32 v42, 0x80000000, v42
	v_lshl_add_u32 v22, v22, 23, v43
	v_or3_b32 v22, v42, v22, v23
	v_lshrrev_b32_e32 v43, 16, v22
.LBB847_353:
	s_or_b64 exec, exec, s[10:11]
.LBB847_354:
	s_or_b64 exec, exec, s[8:9]
.LBB847_355:
	s_or_b64 exec, exec, s[2:3]
	v_lshrrev_b16_e32 v22, 8, v24
	v_cmp_ne_u16_e32 vcc, 0, v22
	v_mov_b32_e32 v44, 0
	v_mov_b32_e32 v23, 0
	s_and_saveexec_b64 s[2:3], vcc
	s_cbranch_execz .LBB847_361
; %bb.356:
	s_movk_i32 s8, 0x80
	v_cmp_ne_u16_e32 vcc, s8, v22
	v_mov_b32_e32 v23, 0xffff8000
	s_and_saveexec_b64 s[8:9], vcc
	s_cbranch_execz .LBB847_360
; %bb.357:
	s_movk_i32 s10, 0x7f
	v_and_b32_e32 v42, 0x7f, v22
	v_cmp_ne_u32_e32 vcc, s10, v42
	v_mov_b32_e32 v23, 0x7f80
	s_and_saveexec_b64 s[10:11], vcc
	s_cbranch_execz .LBB847_359
; %bb.358:
	v_and_b32_e32 v45, 7, v22
	v_ffbh_u32_e32 v23, v45
	v_min_u32_e32 v52, 32, v23
	v_subrev_u32_e32 v23, 28, v52
	v_lshlrev_b64 v[22:23], v23, v[22:23]
	v_lshrrev_b32_e32 v51, 3, v42
	v_sub_u32_e32 v23, 29, v52
	v_and_b32_e32 v22, 7, v22
	v_cmp_gt_u32_e32 vcc, 8, v42
	v_cndmask_b32_e32 v23, v51, v23, vcc
	v_cndmask_b32_e32 v22, v45, v22, vcc
	v_lshlrev_b32_e32 v42, 16, v24
	v_bfrev_b32_e32 v45, 60
	v_lshlrev_b32_e32 v22, 20, v22
	v_and_b32_e32 v42, 0x80000000, v42
	v_lshl_add_u32 v23, v23, 23, v45
	v_or3_b32 v22, v42, v23, v22
	v_lshrrev_b32_e32 v23, 16, v22
.LBB847_359:
	s_or_b64 exec, exec, s[10:11]
.LBB847_360:
	s_or_b64 exec, exec, s[8:9]
.LBB847_361:
	s_or_b64 exec, exec, s[2:3]
	s_movk_i32 s2, 0xff
	v_and_b32_sdwa v42, v24, s2 dst_sel:DWORD dst_unused:UNUSED_PAD src0_sel:WORD_1 src1_sel:DWORD
	v_lshrrev_b32_e32 v22, 16, v24
	v_cmp_ne_u16_e32 vcc, 0, v42
	s_and_saveexec_b64 s[2:3], vcc
	s_cbranch_execz .LBB847_367
; %bb.362:
	s_movk_i32 s8, 0x80
	v_cmp_ne_u16_e32 vcc, s8, v42
	v_mov_b32_e32 v44, 0xffff8000
	s_and_saveexec_b64 s[8:9], vcc
	s_cbranch_execz .LBB847_366
; %bb.363:
	v_bfe_u32 v42, v24, 16, 7
	s_movk_i32 s10, 0x7f
	v_cmp_ne_u32_e32 vcc, s10, v42
	v_mov_b32_e32 v44, 0x7f80
	s_and_saveexec_b64 s[10:11], vcc
	s_cbranch_execz .LBB847_365
; %bb.364:
	v_and_b32_e32 v51, 7, v22
	v_ffbh_u32_e32 v44, v51
	v_min_u32_e32 v53, 32, v44
	v_subrev_u32_e32 v44, 28, v53
	v_lshlrev_b64 v[44:45], v44, v[22:23]
	v_and_b32_e32 v44, 7, v44
	v_cmp_gt_u32_e32 vcc, 8, v42
	v_lshrrev_b32_e32 v52, 3, v42
	v_sub_u32_e32 v22, 29, v53
	v_cndmask_b32_e32 v42, v51, v44, vcc
	v_mov_b32_e32 v44, 24
	v_cndmask_b32_e32 v22, v52, v22, vcc
	v_lshlrev_b32_sdwa v44, v44, v24 dst_sel:DWORD dst_unused:UNUSED_PAD src0_sel:DWORD src1_sel:WORD_1
	v_bfrev_b32_e32 v45, 60
	v_lshlrev_b32_e32 v42, 20, v42
	v_and_b32_e32 v44, 0x80000000, v44
	v_lshl_add_u32 v22, v22, 23, v45
	v_or3_b32 v22, v44, v22, v42
	v_lshrrev_b32_e32 v44, 16, v22
.LBB847_365:
	s_or_b64 exec, exec, s[10:11]
.LBB847_366:
	s_or_b64 exec, exec, s[8:9]
.LBB847_367:
	s_or_b64 exec, exec, s[2:3]
	s_mov_b32 s2, 0xffffff
	v_cmp_lt_u32_e32 vcc, s2, v24
	v_mov_b32_e32 v45, 0
	v_mov_b32_e32 v51, 0
	s_and_saveexec_b64 s[2:3], vcc
	s_cbranch_execz .LBB847_373
; %bb.368:
	v_lshrrev_b32_e32 v22, 24, v24
	s_movk_i32 s8, 0x80
	v_cmp_ne_u32_e32 vcc, s8, v22
	v_mov_b32_e32 v51, 0xffff8000
	s_and_saveexec_b64 s[8:9], vcc
	s_cbranch_execz .LBB847_372
; %bb.369:
	v_bfe_u32 v24, v24, 24, 7
	s_movk_i32 s10, 0x7f
	v_cmp_ne_u32_e32 vcc, s10, v24
	v_mov_b32_e32 v51, 0x7f80
	s_and_saveexec_b64 s[10:11], vcc
	s_cbranch_execz .LBB847_371
; %bb.370:
	v_and_b32_e32 v42, 7, v22
	v_ffbh_u32_e32 v52, v42
	v_min_u32_e32 v54, 32, v52
	v_subrev_u32_e32 v52, 28, v54
	v_lshlrev_b64 v[52:53], v52, v[22:23]
	v_lshrrev_b32_e32 v51, 3, v24
	v_sub_u32_e32 v53, 29, v54
	v_and_b32_e32 v52, 7, v52
	v_cmp_gt_u32_e32 vcc, 8, v24
	v_cndmask_b32_e32 v24, v51, v53, vcc
	v_cndmask_b32_e32 v42, v42, v52, vcc
	v_lshlrev_b32_e32 v22, 24, v22
	v_bfrev_b32_e32 v51, 60
	v_lshlrev_b32_e32 v42, 20, v42
	v_and_b32_e32 v22, 0x80000000, v22
	v_lshl_add_u32 v24, v24, 23, v51
	v_or3_b32 v22, v22, v24, v42
	v_lshrrev_b32_e32 v51, 16, v22
.LBB847_371:
	s_or_b64 exec, exec, s[10:11]
.LBB847_372:
	s_or_b64 exec, exec, s[8:9]
.LBB847_373:
	s_or_b64 exec, exec, s[2:3]
	v_cmp_ne_u16_sdwa s[8:9], v25, v45 src0_sel:BYTE_0 src1_sel:DWORD
	s_and_saveexec_b64 s[2:3], s[8:9]
	s_cbranch_execz .LBB847_379
; %bb.374:
	s_movk_i32 s8, 0x80
	v_cmp_ne_u16_sdwa s[10:11], v25, s8 src0_sel:BYTE_0 src1_sel:DWORD
	v_mov_b32_e32 v45, 0xffff8000
	s_and_saveexec_b64 s[8:9], s[10:11]
	s_cbranch_execz .LBB847_378
; %bb.375:
	s_movk_i32 s10, 0x7f
	v_and_b32_e32 v22, 0x7f, v25
	v_cmp_ne_u32_e32 vcc, s10, v22
	v_mov_b32_e32 v45, 0x7f80
	s_and_saveexec_b64 s[10:11], vcc
	s_cbranch_execz .LBB847_377
; %bb.376:
	v_and_b32_e32 v42, 7, v25
	v_ffbh_u32_e32 v52, v42
	v_min_u32_e32 v54, 32, v52
	v_mov_b32_e32 v24, v25
	v_subrev_u32_e32 v52, 28, v54
	v_lshlrev_b64 v[52:53], v52, v[24:25]
	v_lshrrev_b32_e32 v45, 3, v22
	v_sub_u32_e32 v24, 29, v54
	v_and_b32_e32 v52, 7, v52
	v_cmp_gt_u32_e32 vcc, 8, v22
	v_cndmask_b32_e32 v22, v45, v24, vcc
	v_cndmask_b32_e32 v24, v42, v52, vcc
	v_lshlrev_b32_e32 v42, 24, v25
	v_bfrev_b32_e32 v45, 60
	v_lshlrev_b32_e32 v24, 20, v24
	v_and_b32_e32 v42, 0x80000000, v42
	v_lshl_add_u32 v22, v22, 23, v45
	v_or3_b32 v22, v42, v22, v24
	v_lshrrev_b32_e32 v45, 16, v22
.LBB847_377:
	s_or_b64 exec, exec, s[10:11]
.LBB847_378:
	s_or_b64 exec, exec, s[8:9]
.LBB847_379:
	s_or_b64 exec, exec, s[2:3]
	v_lshrrev_b16_e32 v22, 8, v25
	v_cmp_ne_u16_e32 vcc, 0, v22
	v_mov_b32_e32 v53, 0
	v_mov_b32_e32 v52, 0
	s_and_saveexec_b64 s[2:3], vcc
	s_cbranch_execz .LBB847_385
; %bb.380:
	s_movk_i32 s8, 0x80
	v_cmp_ne_u16_e32 vcc, s8, v22
	v_mov_b32_e32 v52, 0xffff8000
	s_and_saveexec_b64 s[8:9], vcc
	s_cbranch_execz .LBB847_384
; %bb.381:
	s_movk_i32 s10, 0x7f
	v_and_b32_e32 v24, 0x7f, v22
	v_cmp_ne_u32_e32 vcc, s10, v24
	v_mov_b32_e32 v52, 0x7f80
	s_and_saveexec_b64 s[10:11], vcc
	s_cbranch_execz .LBB847_383
; %bb.382:
	v_and_b32_e32 v42, 7, v22
	v_ffbh_u32_e32 v54, v42
	v_min_u32_e32 v56, 32, v54
	v_subrev_u32_e32 v54, 28, v56
	v_lshlrev_b64 v[54:55], v54, v[22:23]
	v_lshrrev_b32_e32 v52, 3, v24
	v_sub_u32_e32 v22, 29, v56
	v_and_b32_e32 v54, 7, v54
	v_cmp_gt_u32_e32 vcc, 8, v24
	v_cndmask_b32_e32 v22, v52, v22, vcc
	v_cndmask_b32_e32 v24, v42, v54, vcc
	v_lshlrev_b32_e32 v42, 16, v25
	v_bfrev_b32_e32 v52, 60
	v_lshlrev_b32_e32 v24, 20, v24
	v_and_b32_e32 v42, 0x80000000, v42
	v_lshl_add_u32 v22, v22, 23, v52
	v_or3_b32 v22, v42, v22, v24
	v_lshrrev_b32_e32 v52, 16, v22
.LBB847_383:
	s_or_b64 exec, exec, s[10:11]
.LBB847_384:
	s_or_b64 exec, exec, s[8:9]
.LBB847_385:
	s_or_b64 exec, exec, s[2:3]
	s_movk_i32 s2, 0xff
	v_and_b32_sdwa v24, v25, s2 dst_sel:DWORD dst_unused:UNUSED_PAD src0_sel:WORD_1 src1_sel:DWORD
	v_lshrrev_b32_e32 v22, 16, v25
	v_cmp_ne_u16_e32 vcc, 0, v24
	s_and_saveexec_b64 s[2:3], vcc
	s_cbranch_execz .LBB847_391
; %bb.386:
	s_movk_i32 s8, 0x80
	v_cmp_ne_u16_e32 vcc, s8, v24
	v_mov_b32_e32 v53, 0xffff8000
	s_and_saveexec_b64 s[8:9], vcc
	s_cbranch_execz .LBB847_390
; %bb.387:
	v_bfe_u32 v24, v25, 16, 7
	s_movk_i32 s10, 0x7f
	v_cmp_ne_u32_e32 vcc, s10, v24
	v_mov_b32_e32 v53, 0x7f80
	s_and_saveexec_b64 s[10:11], vcc
	s_cbranch_execz .LBB847_389
; %bb.388:
	v_and_b32_e32 v42, 7, v22
	v_ffbh_u32_e32 v54, v42
	v_min_u32_e32 v56, 32, v54
	v_subrev_u32_e32 v54, 28, v56
	v_lshlrev_b64 v[54:55], v54, v[22:23]
	v_and_b32_e32 v54, 7, v54
	v_cmp_gt_u32_e32 vcc, 8, v24
	v_lshrrev_b32_e32 v53, 3, v24
	v_sub_u32_e32 v22, 29, v56
	v_cndmask_b32_e32 v24, v42, v54, vcc
	v_mov_b32_e32 v42, 24
	v_cndmask_b32_e32 v22, v53, v22, vcc
	v_lshlrev_b32_sdwa v42, v42, v25 dst_sel:DWORD dst_unused:UNUSED_PAD src0_sel:DWORD src1_sel:WORD_1
	v_bfrev_b32_e32 v53, 60
	v_lshlrev_b32_e32 v24, 20, v24
	v_and_b32_e32 v42, 0x80000000, v42
	v_lshl_add_u32 v22, v22, 23, v53
	v_or3_b32 v22, v42, v22, v24
	v_lshrrev_b32_e32 v53, 16, v22
.LBB847_389:
	s_or_b64 exec, exec, s[10:11]
.LBB847_390:
	s_or_b64 exec, exec, s[8:9]
.LBB847_391:
	s_or_b64 exec, exec, s[2:3]
	s_mov_b32 s2, 0xffffff
	v_and_b32_e32 v42, 63, v0
	v_cmp_lt_u32_e32 vcc, s2, v25
	v_mov_b32_e32 v54, 0
	s_and_saveexec_b64 s[2:3], vcc
	s_cbranch_execz .LBB847_397
; %bb.392:
	v_lshrrev_b32_e32 v22, 24, v25
	s_movk_i32 s8, 0x80
	v_cmp_ne_u32_e32 vcc, s8, v22
	v_mov_b32_e32 v54, 0xffff8000
	s_and_saveexec_b64 s[8:9], vcc
	s_cbranch_execz .LBB847_396
; %bb.393:
	v_bfe_u32 v24, v25, 24, 7
	s_movk_i32 s10, 0x7f
	v_cmp_ne_u32_e32 vcc, s10, v24
	v_mov_b32_e32 v54, 0x7f80
	s_and_saveexec_b64 s[10:11], vcc
	s_cbranch_execz .LBB847_395
; %bb.394:
	v_and_b32_e32 v25, 7, v22
	v_ffbh_u32_e32 v54, v25
	v_min_u32_e32 v57, 32, v54
	v_subrev_u32_e32 v54, 28, v57
	v_lshlrev_b64 v[54:55], v54, v[22:23]
	v_lshrrev_b32_e32 v56, 3, v24
	v_sub_u32_e32 v55, 29, v57
	v_and_b32_e32 v54, 7, v54
	v_cmp_gt_u32_e32 vcc, 8, v24
	v_cndmask_b32_e32 v24, v56, v55, vcc
	v_cndmask_b32_e32 v25, v25, v54, vcc
	v_lshlrev_b32_e32 v22, 24, v22
	v_bfrev_b32_e32 v54, 60
	v_lshlrev_b32_e32 v25, 20, v25
	v_and_b32_e32 v22, 0x80000000, v22
	v_lshl_add_u32 v24, v24, 23, v54
	v_or3_b32 v22, v22, v24, v25
	v_lshrrev_b32_e32 v54, 16, v22
.LBB847_395:
	s_or_b64 exec, exec, s[10:11]
.LBB847_396:
	s_or_b64 exec, exec, s[8:9]
.LBB847_397:
	s_or_b64 exec, exec, s[2:3]
	s_mov_b32 s3, 0x5040100
	v_perm_b32 v57, v51, v44, s3
	v_perm_b32 v56, v23, v43, s3
	s_load_dword s2, s[4:5], 0x1c
	s_mov_b32 s46, 0xff7fffff
	s_waitcnt lgkmcnt(0)
	v_mfma_f32_16x16x16bf16_1k v[26:29], v[56:57], v[18:19], v[26:29]
	v_perm_b32 v19, v54, v53, s3
	v_perm_b32 v18, v52, v45, s3
	v_mov_b32_e32 v22, s2
	v_mul_f32_e32 v44, s12, v22
	v_pk_mul_f32 v[22:23], v[44:45], v[32:33] op_sel_hi:[0,1]
	v_pk_mul_f32 v[32:33], v[44:45], v[38:39] op_sel_hi:[0,1]
	v_and_b32_e32 v38, 0xc0, v0
	v_mfma_f32_16x16x16bf16_1k v[26:29], v[18:19], v[20:21], v[26:29]
	v_add_u32_e32 v38, s18, v38
	v_lshl_or_b32 v38, v1, 2, v38
	v_or_b32_e32 v39, 1, v38
	v_pk_mul_f32 v[24:25], v[44:45], v[30:31] op_sel_hi:[0,1]
	v_pk_mul_f32 v[30:31], v[44:45], v[40:41] op_sel_hi:[0,1]
	v_subrev_u32_e32 v40, s33, v39
	v_pk_mul_f32 v[34:35], v[44:45], v[34:35] op_sel_hi:[0,1]
	s_nop 3
	v_pk_mul_f32 v[20:21], v[44:45], v[26:27] op_sel_hi:[0,1]
	v_add_u32_e32 v27, 1, v40
	v_pk_mul_f32 v[18:19], v[44:45], v[28:29] op_sel_hi:[0,1]
	v_cvt_f32_i32_e32 v27, v27
	v_add_u32_e32 v29, 3, v40
	v_cvt_f32_i32_e32 v29, v29
	v_cvt_f32_i32_e32 v26, v40
	v_pk_mul_f32 v[36:37], v[44:45], v[36:37] op_sel_hi:[0,1]
	v_fmac_f32_e32 v35, v50, v27
	v_add_u32_e32 v27, 16, v40
	v_fmac_f32_e32 v37, v50, v29
	v_cvt_f32_i32_e32 v27, v27
	v_add_u32_e32 v29, 17, v40
	v_fma_f32 v26, v50, v26, v34
	v_cvt_f32_i32_e32 v29, v29
	v_add_u32_e32 v34, 18, v40
	v_cvt_f32_i32_e32 v34, v34
	v_fma_f32 v41, v50, v27, v32
	v_add_u32_e32 v27, 32, v40
	v_fmac_f32_e32 v33, v50, v29
	v_cvt_f32_i32_e32 v27, v27
	v_add_u32_e32 v29, 33, v40
	v_add_u32_e32 v32, 34, v40
	v_fma_f32 v30, v50, v34, v30
	v_cvt_f32_i32_e32 v29, v29
	v_cvt_f32_i32_e32 v32, v32
	v_add_u32_e32 v34, 35, v40
	v_cvt_f32_i32_e32 v34, v34
	v_fma_f32 v24, v50, v27, v24
	v_add_u32_e32 v27, 48, v40
	v_fmac_f32_e32 v25, v50, v29
	v_fma_f32 v22, v50, v32, v22
	v_cvt_f32_i32_e32 v27, v27
	v_add_u32_e32 v29, 49, v40
	v_add_u32_e32 v32, 50, v40
	v_fmac_f32_e32 v23, v50, v34
	v_cvt_f32_i32_e32 v29, v29
	v_cvt_f32_i32_e32 v32, v32
	v_add_u32_e32 v34, 51, v40
	v_add_u32_e32 v28, 2, v40
	v_cvt_f32_i32_e32 v34, v34
	v_cvt_f32_i32_e32 v28, v28
	v_fma_f32 v20, v50, v27, v20
	v_mov_b32_e32 v27, 0xff7fffff
	v_cmp_gt_i32_e64 s[26:27], s33, v38
	v_cmp_gt_i32_e64 s[28:29], s33, v39
	v_fmac_f32_e32 v21, v50, v29
	v_fma_f32 v18, v50, v32, v18
	v_cndmask_b32_e64 v29, v27, v26, s[26:27]
	v_cndmask_b32_e64 v32, v27, v35, s[28:29]
	v_fmac_f32_e32 v19, v50, v34
	v_max3_f32 v29, v29, s46, v32
	v_or_b32_e32 v32, 2, v38
	v_or_b32_e32 v34, 3, v38
	v_fma_f32 v28, v50, v28, v36
	v_cmp_gt_i32_e64 s[30:31], s33, v32
	v_cmp_gt_i32_e64 s[34:35], s33, v34
	v_add_u32_e32 v36, 19, v40
	v_cndmask_b32_e64 v32, v27, v28, s[30:31]
	v_cndmask_b32_e64 v34, v27, v37, s[34:35]
	v_cvt_f32_i32_e32 v36, v36
	v_max3_f32 v29, v29, v32, v34
	v_or_b32_e32 v32, 16, v38
	v_or_b32_e32 v34, 17, v38
	v_cmp_gt_i32_e64 s[36:37], s33, v32
	v_cmp_gt_i32_e64 s[38:39], s33, v34
	v_cndmask_b32_e64 v32, v27, v41, s[36:37]
	v_cndmask_b32_e64 v34, v27, v33, s[38:39]
	v_max3_f32 v29, v29, v32, v34
	v_or_b32_e32 v32, 18, v38
	v_or_b32_e32 v34, 19, v38
	v_fmac_f32_e32 v31, v50, v36
	v_cmp_gt_i32_e64 s[20:21], s33, v32
	v_cmp_gt_i32_e64 s[22:23], s33, v34
	v_cndmask_b32_e64 v32, v27, v30, s[20:21]
	v_cndmask_b32_e64 v34, v27, v31, s[22:23]
	v_max3_f32 v29, v29, v32, v34
	v_or_b32_e32 v32, 32, v38
	v_or_b32_e32 v34, 33, v38
	v_cmp_gt_i32_e64 s[16:17], s33, v32
	v_cmp_gt_i32_e64 s[18:19], s33, v34
	v_cndmask_b32_e64 v32, v27, v24, s[16:17]
	v_cndmask_b32_e64 v34, v27, v25, s[18:19]
	v_max3_f32 v29, v29, v32, v34
	v_or_b32_e32 v32, 34, v38
	v_or_b32_e32 v34, 35, v38
	;; [unrolled: 7-line block ×4, first 2 shown]
	v_cmp_gt_i32_e32 vcc, s33, v32
	v_cmp_gt_i32_e64 s[2:3], s33, v34
	v_cndmask_b32_e32 v32, v27, v18, vcc
	v_cndmask_b32_e64 v27, v27, v19, s[2:3]
	v_max3_f32 v27, v29, v32, v27
	v_mbcnt_lo_u32_b32 v29, -1, 0
	v_mbcnt_hi_u32_b32 v29, -1, v29
	v_and_b32_e32 v32, 64, v29
	v_add_u32_e32 v32, 64, v32
	v_xor_b32_e32 v34, 32, v29
	v_cmp_lt_i32_e64 s[40:41], v34, v32
	v_cndmask_b32_e64 v34, v29, v34, s[40:41]
	v_lshlrev_b32_e32 v36, 2, v34
	ds_bpermute_b32 v34, v36, v27
	s_barrier
	s_waitcnt lgkmcnt(0)
	v_max_f32_e32 v34, v34, v34
	v_max_f32_e32 v27, v27, v34
	v_xor_b32_e32 v34, 16, v29
	v_cmp_lt_i32_e64 s[40:41], v34, v32
	v_cndmask_b32_e64 v29, v29, v34, s[40:41]
	v_lshlrev_b32_e32 v38, 2, v29
	ds_bpermute_b32 v29, v38, v27
	s_waitcnt lgkmcnt(0)
	v_max_f32_e32 v29, v29, v29
	v_max_f32_e32 v32, v27, v29
	v_sub_f32_e32 v26, v26, v32
	v_mul_f32_e32 v26, 0x3fb8aa3b, v26
	v_sub_f32_e32 v27, v35, v32
	v_exp_f32_e32 v26, v26
	v_mul_f32_e32 v27, 0x3fb8aa3b, v27
	v_sub_f32_e32 v28, v28, v32
	v_exp_f32_e32 v27, v27
	v_mul_f32_e32 v28, 0x3fb8aa3b, v28
	v_exp_f32_e32 v28, v28
	v_cndmask_b32_e64 v26, 0, v26, s[26:27]
	v_sub_f32_e32 v34, v37, v32
	v_add_f32_e32 v29, 0, v26
	v_cndmask_b32_e64 v27, 0, v27, s[28:29]
	v_mul_f32_e32 v34, 0x3fb8aa3b, v34
	v_exp_f32_e32 v35, v34
	v_add_f32_e32 v29, v29, v27
	v_cndmask_b32_e64 v34, 0, v28, s[30:31]
	v_add_f32_e32 v28, v29, v34
	v_sub_f32_e32 v29, v41, v32
	v_mul_f32_e32 v29, 0x3fb8aa3b, v29
	v_sub_f32_e32 v33, v33, v32
	v_exp_f32_e32 v29, v29
	v_mul_f32_e32 v33, 0x3fb8aa3b, v33
	v_sub_f32_e32 v30, v30, v32
	v_exp_f32_e32 v33, v33
	;; [unrolled: 3-line block ×3, first 2 shown]
	v_mul_f32_e32 v31, 0x3fb8aa3b, v31
	v_sub_f32_e32 v24, v24, v32
	v_cndmask_b32_e64 v35, 0, v35, s[34:35]
	v_exp_f32_e32 v31, v31
	v_mul_f32_e32 v24, 0x3fb8aa3b, v24
	v_sub_f32_e32 v25, v25, v32
	v_add_f32_e32 v37, v28, v35
	v_cndmask_b32_e64 v28, 0, v29, s[36:37]
	v_exp_f32_e32 v24, v24
	v_mul_f32_e32 v25, 0x3fb8aa3b, v25
	v_sub_f32_e32 v22, v22, v32
	v_add_f32_e32 v37, v37, v28
	v_cndmask_b32_e64 v29, 0, v33, s[38:39]
	v_exp_f32_e32 v25, v25
	v_mul_f32_e32 v22, 0x3fb8aa3b, v22
	v_sub_f32_e32 v23, v23, v32
	v_add_f32_e32 v33, v37, v29
	v_cndmask_b32_e64 v30, 0, v30, s[20:21]
	v_exp_f32_e32 v22, v22
	v_mul_f32_e32 v23, 0x3fb8aa3b, v23
	v_sub_f32_e32 v20, v20, v32
	v_add_f32_e32 v33, v33, v30
	v_cndmask_b32_e64 v31, 0, v31, s[22:23]
	v_exp_f32_e32 v23, v23
	v_mul_f32_e32 v20, 0x3fb8aa3b, v20
	v_sub_f32_e32 v21, v21, v32
	v_add_f32_e32 v33, v33, v31
	v_cndmask_b32_e64 v24, 0, v24, s[16:17]
	v_exp_f32_e32 v20, v20
	v_mul_f32_e32 v21, 0x3fb8aa3b, v21
	v_sub_f32_e32 v18, v18, v32
	v_add_f32_e32 v33, v33, v24
	v_cndmask_b32_e64 v25, 0, v25, s[18:19]
	v_exp_f32_e32 v21, v21
	v_mul_f32_e32 v18, 0x3fb8aa3b, v18
	v_sub_f32_e32 v19, v19, v32
	v_add_f32_e32 v33, v33, v25
	v_cndmask_b32_e64 v22, 0, v22, s[12:13]
	v_exp_f32_e32 v18, v18
	v_mul_f32_e32 v19, 0x3fb8aa3b, v19
	v_add_f32_e32 v33, v33, v22
	v_cndmask_b32_e64 v23, 0, v23, s[14:15]
	v_exp_f32_e32 v19, v19
	v_add_f32_e32 v33, v33, v23
	v_cndmask_b32_e64 v20, 0, v20, s[8:9]
	v_add_f32_e32 v33, v33, v20
	v_cndmask_b32_e64 v21, 0, v21, s[10:11]
	v_add_f32_e32 v33, v33, v21
	v_cndmask_b32_e32 v18, 0, v18, vcc
	v_add_f32_e32 v33, v33, v18
	v_cndmask_b32_e64 v19, 0, v19, s[2:3]
	v_add_f32_e32 v33, v33, v19
	ds_bpermute_b32 v36, v36, v33
	v_cmp_gt_u32_e32 vcc, 16, v42
	s_waitcnt lgkmcnt(0)
	v_add_f32_e32 v36, v33, v36
	ds_bpermute_b32 v37, v38, v36
	v_lshlrev_b32_e32 v33, 2, v49
	s_and_saveexec_b64 s[2:3], vcc
	s_cbranch_execz .LBB847_399
; %bb.398:
	s_waitcnt lgkmcnt(0)
	v_add_f32_e32 v36, v36, v37
	v_lshl_or_b32 v37, v48, 6, v33
	ds_write2st64_b32 v37, v32, v36 offset1:1
.LBB847_399:
	s_or_b64 exec, exec, s[2:3]
	s_waitcnt lgkmcnt(0)
	s_barrier
	ds_read2_b32 v[36:37], v33 offset1:16
	ds_read2_b32 v[38:39], v33 offset0:32 offset1:48
	ds_read2_b32 v[40:41], v33 offset0:64 offset1:80
	s_lshl_b32 s12, s45, 1
	s_waitcnt lgkmcnt(2)
	v_max3_f32 v32, v36, s46, v37
	s_waitcnt lgkmcnt(1)
	v_max3_f32 v32, v32, v38, v39
	v_sub_f32_e32 v36, v36, v32
	v_mul_f32_e32 v36, 0x3fb8aa3b, v36
	v_exp_f32_e32 v43, v36
	v_sub_f32_e32 v36, v37, v32
	v_mul_f32_e32 v36, 0x3fb8aa3b, v36
	v_exp_f32_e32 v44, v36
	v_sub_f32_e32 v36, v38, v32
	v_mul_f32_e32 v36, 0x3fb8aa3b, v36
	v_exp_f32_e32 v38, v36
	ds_read2_b32 v[36:37], v33 offset0:96 offset1:112
	v_sub_f32_e32 v33, v39, v32
	v_mul_f32_e32 v33, 0x3fb8aa3b, v33
	v_exp_f32_e32 v39, v33
	s_waitcnt lgkmcnt(1)
	v_fma_f32 v33, v43, v40, 0
	v_fmac_f32_e32 v33, v44, v41
	s_waitcnt lgkmcnt(0)
	v_fmac_f32_e32 v33, v38, v36
	v_fmac_f32_e32 v33, v39, v37
	v_add_f32_e32 v36, 0x358637bd, v33
	v_div_scale_f32 v37, s[2:3], v36, v36, 1.0
	v_rcp_f32_e32 v40, v37
	s_movk_i32 s2, 0x7fff
	s_mov_b32 s3, 0x7060302
	v_fma_f32 v41, -v37, v40, 1.0
	v_fmac_f32_e32 v40, v41, v40
	v_div_scale_f32 v41, vcc, 1.0, v36, 1.0
	v_mul_f32_e32 v45, v41, v40
	v_fma_f32 v50, -v37, v45, v41
	v_fmac_f32_e32 v45, v50, v40
	v_fma_f32 v37, -v37, v45, v41
	v_div_fmas_f32 v37, v37, v40, v45
	v_cmp_eq_u32_e32 vcc, 1, v48
	v_div_fixup_f32 v36, v37, v36, 1.0
	v_cndmask_b32_e32 v37, v43, v44, vcc
	v_cmp_eq_u32_e32 vcc, 2, v48
	v_cndmask_b32_e32 v37, v37, v38, vcc
	v_cmp_eq_u32_e32 vcc, 3, v48
	v_cndmask_b32_e32 v37, v37, v39, vcc
	v_mul_f32_e32 v36, v37, v36
	v_pk_mul_f32 v[26:27], v[36:37], v[26:27] op_sel_hi:[0,1]
	v_pk_mul_f32 v[34:35], v[36:37], v[34:35] op_sel_hi:[0,1]
	v_bfe_u32 v37, v27, 16, 1
	v_bfe_u32 v38, v26, 16, 1
	v_add3_u32 v26, v26, v38, s2
	v_add3_u32 v27, v27, v37, s2
	v_perm_b32 v38, v27, v26, s3
	v_bfe_u32 v26, v35, 16, 1
	v_bfe_u32 v27, v34, 16, 1
	v_add3_u32 v27, v34, v27, s2
	v_add3_u32 v26, v35, v26, s2
	v_perm_b32 v39, v26, v27, s3
	v_lshlrev_b32_e32 v26, 3, v1
	v_lshlrev_b32_e32 v27, 5, v49
	;; [unrolled: 1-line block ×3, first 2 shown]
	v_pk_mul_f32 v[28:29], v[36:37], v[28:29] op_sel_hi:[0,1]
	v_or3_b32 v26, v34, v27, v26
	v_bfe_u32 v34, v29, 16, 1
	v_bfe_u32 v35, v28, 16, 1
	v_pk_mul_f32 v[30:31], v[36:37], v[30:31] op_sel_hi:[0,1]
	v_add3_u32 v28, v28, v35, s2
	v_add3_u32 v29, v29, v34, s2
	v_perm_b32 v28, v29, v28, s3
	v_bfe_u32 v29, v31, 16, 1
	v_bfe_u32 v34, v30, 16, 1
	v_add3_u32 v30, v30, v34, s2
	v_add3_u32 v29, v31, v29, s2
	v_perm_b32 v29, v29, v30, s3
	v_pk_mul_f32 v[24:25], v[36:37], v[24:25] op_sel_hi:[0,1]
	s_barrier
	ds_write2st64_b64 v26, v[38:39], v[28:29] offset1:1
	v_bfe_u32 v28, v25, 16, 1
	v_bfe_u32 v29, v24, 16, 1
	v_pk_mul_f32 v[22:23], v[36:37], v[22:23] op_sel_hi:[0,1]
	v_add3_u32 v24, v24, v29, s2
	v_add3_u32 v25, v25, v28, s2
	v_perm_b32 v24, v25, v24, s3
	v_bfe_u32 v25, v23, 16, 1
	v_bfe_u32 v28, v22, 16, 1
	v_add3_u32 v22, v22, v28, s2
	v_add3_u32 v23, v23, v25, s2
	v_pk_mul_f32 v[20:21], v[36:37], v[20:21] op_sel_hi:[0,1]
	v_perm_b32 v25, v23, v22, s3
	v_bfe_u32 v22, v21, 16, 1
	v_bfe_u32 v23, v20, 16, 1
	v_pk_mul_f32 v[18:19], v[36:37], v[18:19] op_sel_hi:[0,1]
	v_add3_u32 v20, v20, v23, s2
	v_add3_u32 v21, v21, v22, s2
	v_perm_b32 v20, v21, v20, s3
	v_bfe_u32 v21, v19, 16, 1
	v_bfe_u32 v22, v18, 16, 1
	v_add3_u32 v18, v18, v22, s2
	v_add3_u32 v19, v19, v21, s2
	v_perm_b32 v21, v19, v18, s3
	v_cmp_gt_u32_e32 vcc, 2, v0
	ds_write2st64_b64 v26, v[24:25], v[20:21] offset0:2 offset1:3
	s_and_saveexec_b64 s[2:3], vcc
	s_cbranch_execz .LBB847_401
; %bb.400:
	v_or_b32_e32 v18, s25, v0
	v_mov_b32_e32 v19, 0
	v_mov_b32_e32 v20, s12
	v_mad_u64_u32 v[20:21], s[14:15], s6, v20, v[18:19]
	v_mov_b32_e32 v18, s24
	s_load_dwordx4 s[8:11], s[4:5], 0x58
	s_mul_i32 s7, s7, s12
	v_mad_u64_u32 v[18:19], s[14:15], v20, s44, v[18:19]
	v_add_u32_e32 v21, s7, v21
	v_mov_b32_e32 v20, v19
	v_mad_u64_u32 v[20:21], s[14:15], v21, s44, v[20:21]
	v_mov_b32_e32 v19, v20
	v_lshlrev_b64 v[18:19], 2, v[18:19]
	s_waitcnt lgkmcnt(0)
	v_mov_b32_e32 v21, s11
	v_add_co_u32_e32 v20, vcc, s10, v18
	v_addc_co_u32_e32 v21, vcc, v21, v19, vcc
	global_store_dword v[20:21], v32, off
	v_mov_b32_e32 v20, s9
	v_add_co_u32_e32 v18, vcc, s8, v18
	v_addc_co_u32_e32 v19, vcc, v20, v19, vcc
	global_store_dword v[18:19], v33, off
.LBB847_401:
	s_or_b64 exec, exec, s[2:3]
	v_mov_b32_e32 v19, 0
	s_waitcnt vmcnt(3)
	v_cmp_ne_u16_sdwa s[8:9], v14, v19 src0_sel:BYTE_0 src1_sel:DWORD
	v_mov_b32_e32 v20, 0
	s_waitcnt lgkmcnt(0)
	s_barrier
	s_and_saveexec_b64 s[2:3], s[8:9]
	s_cbranch_execz .LBB847_407
; %bb.402:
	s_movk_i32 s7, 0x80
	v_cmp_ne_u16_sdwa s[10:11], v14, s7 src0_sel:BYTE_0 src1_sel:DWORD
	v_mov_b32_e32 v20, 0xffff8000
	s_and_saveexec_b64 s[8:9], s[10:11]
	s_cbranch_execz .LBB847_406
; %bb.403:
	s_movk_i32 s7, 0x7f
	v_and_b32_e32 v18, 0x7f, v14
	v_cmp_ne_u32_e32 vcc, s7, v18
	v_mov_b32_e32 v20, 0x7f80
	s_and_saveexec_b64 s[10:11], vcc
	s_cbranch_execz .LBB847_405
; %bb.404:
	v_and_b32_e32 v22, 7, v14
	v_ffbh_u32_e32 v20, v22
	v_min_u32_e32 v24, 32, v20
	v_subrev_u32_e32 v20, 28, v24
	v_lshlrev_b64 v[20:21], v20, v[14:15]
	v_lshrrev_b32_e32 v23, 3, v18
	v_sub_u32_e32 v21, 29, v24
	v_and_b32_e32 v20, 7, v20
	v_cmp_gt_u32_e32 vcc, 8, v18
	v_cndmask_b32_e32 v18, v23, v21, vcc
	v_cndmask_b32_e32 v20, v22, v20, vcc
	v_lshlrev_b32_e32 v21, 24, v14
	v_bfrev_b32_e32 v22, 60
	v_lshlrev_b32_e32 v20, 20, v20
	v_and_b32_e32 v21, 0x80000000, v21
	v_lshl_add_u32 v18, v18, 23, v22
	v_or3_b32 v18, v21, v18, v20
	v_lshrrev_b32_e32 v20, 16, v18
.LBB847_405:
	s_or_b64 exec, exec, s[10:11]
.LBB847_406:
	s_or_b64 exec, exec, s[8:9]
.LBB847_407:
	s_or_b64 exec, exec, s[2:3]
	v_lshrrev_b16_e32 v18, 8, v14
	v_cmp_ne_u16_e32 vcc, 0, v18
	s_and_saveexec_b64 s[2:3], vcc
	s_cbranch_execz .LBB847_413
; %bb.408:
	s_movk_i32 s7, 0x80
	v_cmp_ne_u16_e32 vcc, s7, v18
	v_mov_b32_e32 v19, 0xffff8000
	s_and_saveexec_b64 s[8:9], vcc
	s_cbranch_execz .LBB847_412
; %bb.409:
	s_movk_i32 s7, 0x7f
	v_and_b32_e32 v21, 0x7f, v18
	v_cmp_ne_u32_e32 vcc, s7, v21
	v_mov_b32_e32 v19, 0x7f80
	s_and_saveexec_b64 s[10:11], vcc
	s_cbranch_execz .LBB847_411
; %bb.410:
	v_and_b32_e32 v22, 7, v18
	v_ffbh_u32_e32 v19, v22
	v_min_u32_e32 v24, 32, v19
	v_subrev_u32_e32 v19, 28, v24
	v_lshlrev_b64 v[18:19], v19, v[18:19]
	v_lshrrev_b32_e32 v23, 3, v21
	v_sub_u32_e32 v19, 29, v24
	v_and_b32_e32 v18, 7, v18
	v_cmp_gt_u32_e32 vcc, 8, v21
	v_cndmask_b32_e32 v19, v23, v19, vcc
	v_cndmask_b32_e32 v18, v22, v18, vcc
	v_lshlrev_b32_e32 v21, 16, v14
	v_bfrev_b32_e32 v22, 60
	v_lshlrev_b32_e32 v18, 20, v18
	v_and_b32_e32 v21, 0x80000000, v21
	v_lshl_add_u32 v19, v19, 23, v22
	v_or3_b32 v18, v21, v19, v18
	v_lshrrev_b32_e32 v19, 16, v18
.LBB847_411:
	s_or_b64 exec, exec, s[10:11]
.LBB847_412:
	s_or_b64 exec, exec, s[8:9]
.LBB847_413:
	s_or_b64 exec, exec, s[2:3]
	s_movk_i32 s2, 0xff
	v_and_b32_sdwa v23, v14, s2 dst_sel:DWORD dst_unused:UNUSED_PAD src0_sel:WORD_1 src1_sel:DWORD
	v_lshrrev_b32_e32 v18, 16, v14
	v_cmp_ne_u16_e32 vcc, 0, v23
	v_mov_b32_e32 v21, 0
	v_mov_b32_e32 v22, 0
	s_and_saveexec_b64 s[2:3], vcc
	s_cbranch_execz .LBB847_419
; %bb.414:
	s_movk_i32 s7, 0x80
	v_cmp_ne_u16_e32 vcc, s7, v23
	v_mov_b32_e32 v22, 0xffff8000
	s_and_saveexec_b64 s[8:9], vcc
	s_cbranch_execz .LBB847_418
; %bb.415:
	v_bfe_u32 v23, v14, 16, 7
	s_movk_i32 s7, 0x7f
	v_cmp_ne_u32_e32 vcc, s7, v23
	v_mov_b32_e32 v22, 0x7f80
	s_and_saveexec_b64 s[10:11], vcc
	s_cbranch_execz .LBB847_417
; %bb.416:
	v_and_b32_e32 v22, 7, v18
	v_ffbh_u32_e32 v24, v22
	v_min_u32_e32 v29, 32, v24
	v_subrev_u32_e32 v24, 28, v29
	v_lshlrev_b64 v[24:25], v24, v[18:19]
	v_lshrrev_b32_e32 v28, 3, v23
	v_sub_u32_e32 v18, 29, v29
	v_and_b32_e32 v24, 7, v24
	v_cmp_gt_u32_e32 vcc, 8, v23
	v_mov_b32_e32 v23, 24
	v_cndmask_b32_e32 v18, v28, v18, vcc
	v_cndmask_b32_e32 v22, v22, v24, vcc
	v_lshlrev_b32_sdwa v23, v23, v14 dst_sel:DWORD dst_unused:UNUSED_PAD src0_sel:DWORD src1_sel:WORD_1
	v_bfrev_b32_e32 v24, 60
	v_lshlrev_b32_e32 v22, 20, v22
	v_and_b32_e32 v23, 0x80000000, v23
	v_lshl_add_u32 v18, v18, 23, v24
	v_or3_b32 v18, v23, v18, v22
	v_lshrrev_b32_e32 v22, 16, v18
.LBB847_417:
	s_or_b64 exec, exec, s[10:11]
.LBB847_418:
	s_or_b64 exec, exec, s[8:9]
.LBB847_419:
	s_or_b64 exec, exec, s[2:3]
	s_mov_b32 s2, 0xffffff
	v_cmp_lt_u32_e32 vcc, s2, v14
	s_and_saveexec_b64 s[2:3], vcc
	s_cbranch_execz .LBB847_425
; %bb.420:
	v_lshrrev_b32_e32 v18, 24, v14
	s_movk_i32 s7, 0x80
	v_cmp_ne_u32_e32 vcc, s7, v18
	v_mov_b32_e32 v21, 0xffff8000
	s_and_saveexec_b64 s[8:9], vcc
	s_cbranch_execz .LBB847_424
; %bb.421:
	v_bfe_u32 v14, v14, 24, 7
	s_movk_i32 s7, 0x7f
	v_cmp_ne_u32_e32 vcc, s7, v14
	v_mov_b32_e32 v21, 0x7f80
	s_and_saveexec_b64 s[10:11], vcc
	s_cbranch_execz .LBB847_423
; %bb.422:
	v_and_b32_e32 v21, 7, v18
	v_ffbh_u32_e32 v24, v21
	v_min_u32_e32 v28, 32, v24
	v_subrev_u32_e32 v24, 28, v28
	v_lshlrev_b64 v[24:25], v24, v[18:19]
	v_lshrrev_b32_e32 v23, 3, v14
	v_sub_u32_e32 v25, 29, v28
	v_and_b32_e32 v24, 7, v24
	v_cmp_gt_u32_e32 vcc, 8, v14
	v_cndmask_b32_e32 v14, v23, v25, vcc
	v_cndmask_b32_e32 v21, v21, v24, vcc
	v_lshlrev_b32_e32 v18, 24, v18
	v_bfrev_b32_e32 v23, 60
	v_lshlrev_b32_e32 v21, 20, v21
	v_and_b32_e32 v18, 0x80000000, v18
	v_lshl_add_u32 v14, v14, 23, v23
	v_or3_b32 v14, v18, v14, v21
	v_lshrrev_b32_e32 v21, 16, v14
.LBB847_423:
	s_or_b64 exec, exec, s[10:11]
.LBB847_424:
	s_or_b64 exec, exec, s[8:9]
.LBB847_425:
	s_or_b64 exec, exec, s[2:3]
	v_mov_b32_e32 v18, 0
	v_cmp_ne_u16_sdwa s[8:9], v15, v18 src0_sel:BYTE_0 src1_sel:DWORD
	v_mov_b32_e32 v23, 0
	s_and_saveexec_b64 s[2:3], s[8:9]
	s_cbranch_execz .LBB847_431
; %bb.426:
	s_movk_i32 s7, 0x80
	v_cmp_ne_u16_sdwa s[10:11], v15, s7 src0_sel:BYTE_0 src1_sel:DWORD
	v_mov_b32_e32 v23, 0xffff8000
	s_and_saveexec_b64 s[8:9], s[10:11]
	s_cbranch_execz .LBB847_430
; %bb.427:
	s_movk_i32 s7, 0x7f
	v_and_b32_e32 v14, 0x7f, v15
	v_cmp_ne_u32_e32 vcc, s7, v14
	v_mov_b32_e32 v23, 0x7f80
	s_and_saveexec_b64 s[10:11], vcc
	s_cbranch_execz .LBB847_429
; %bb.428:
	v_and_b32_e32 v23, 7, v15
	v_ffbh_u32_e32 v25, v23
	v_min_u32_e32 v29, 32, v25
	v_mov_b32_e32 v24, v15
	v_subrev_u32_e32 v25, 28, v29
	v_lshlrev_b64 v[24:25], v25, v[24:25]
	v_lshrrev_b32_e32 v28, 3, v14
	v_sub_u32_e32 v25, 29, v29
	v_and_b32_e32 v24, 7, v24
	v_cmp_gt_u32_e32 vcc, 8, v14
	v_cndmask_b32_e32 v14, v28, v25, vcc
	v_cndmask_b32_e32 v23, v23, v24, vcc
	v_lshlrev_b32_e32 v24, 24, v15
	v_bfrev_b32_e32 v25, 60
	v_lshlrev_b32_e32 v23, 20, v23
	v_and_b32_e32 v24, 0x80000000, v24
	v_lshl_add_u32 v14, v14, 23, v25
	v_or3_b32 v14, v24, v14, v23
	v_lshrrev_b32_e32 v23, 16, v14
.LBB847_429:
	s_or_b64 exec, exec, s[10:11]
.LBB847_430:
	s_or_b64 exec, exec, s[8:9]
.LBB847_431:
	s_or_b64 exec, exec, s[2:3]
	v_lshrrev_b16_e32 v14, 8, v15
	v_cmp_ne_u16_e32 vcc, 0, v14
	s_and_saveexec_b64 s[2:3], vcc
	s_cbranch_execz .LBB847_437
; %bb.432:
	s_movk_i32 s7, 0x80
	v_cmp_ne_u16_e32 vcc, s7, v14
	v_mov_b32_e32 v18, 0xffff8000
	s_and_saveexec_b64 s[8:9], vcc
	s_cbranch_execz .LBB847_436
; %bb.433:
	s_movk_i32 s7, 0x7f
	v_and_b32_e32 v24, 0x7f, v14
	v_cmp_ne_u32_e32 vcc, s7, v24
	v_mov_b32_e32 v18, 0x7f80
	s_and_saveexec_b64 s[10:11], vcc
	s_cbranch_execz .LBB847_435
; %bb.434:
	v_and_b32_e32 v18, 7, v14
	v_ffbh_u32_e32 v28, v18
	v_min_u32_e32 v30, 32, v28
	v_subrev_u32_e32 v28, 28, v30
	v_lshlrev_b64 v[28:29], v28, v[14:15]
	v_lshrrev_b32_e32 v25, 3, v24
	v_sub_u32_e32 v14, 29, v30
	v_and_b32_e32 v28, 7, v28
	v_cmp_gt_u32_e32 vcc, 8, v24
	v_cndmask_b32_e32 v14, v25, v14, vcc
	v_cndmask_b32_e32 v18, v18, v28, vcc
	v_lshlrev_b32_e32 v24, 16, v15
	v_bfrev_b32_e32 v25, 60
	v_lshlrev_b32_e32 v18, 20, v18
	v_and_b32_e32 v24, 0x80000000, v24
	v_lshl_add_u32 v14, v14, 23, v25
	v_or3_b32 v14, v24, v14, v18
	v_lshrrev_b32_e32 v18, 16, v14
.LBB847_435:
	s_or_b64 exec, exec, s[10:11]
.LBB847_436:
	s_or_b64 exec, exec, s[8:9]
.LBB847_437:
	s_or_b64 exec, exec, s[2:3]
	s_movk_i32 s2, 0xff
	v_and_b32_sdwa v28, v15, s2 dst_sel:DWORD dst_unused:UNUSED_PAD src0_sel:WORD_1 src1_sel:DWORD
	v_lshrrev_b32_e32 v14, 16, v15
	v_cmp_ne_u16_e32 vcc, 0, v28
	v_mov_b32_e32 v24, 0
	v_mov_b32_e32 v25, 0
	s_and_saveexec_b64 s[2:3], vcc
	s_cbranch_execz .LBB847_443
; %bb.438:
	s_movk_i32 s7, 0x80
	v_cmp_ne_u16_e32 vcc, s7, v28
	v_mov_b32_e32 v25, 0xffff8000
	s_and_saveexec_b64 s[8:9], vcc
	s_cbranch_execz .LBB847_442
; %bb.439:
	v_bfe_u32 v28, v15, 16, 7
	s_movk_i32 s7, 0x7f
	v_cmp_ne_u32_e32 vcc, s7, v28
	v_mov_b32_e32 v25, 0x7f80
	s_and_saveexec_b64 s[10:11], vcc
	s_cbranch_execz .LBB847_441
; %bb.440:
	v_and_b32_e32 v25, 7, v14
	v_ffbh_u32_e32 v30, v25
	v_min_u32_e32 v32, 32, v30
	v_subrev_u32_e32 v30, 28, v32
	v_lshlrev_b64 v[30:31], v30, v[14:15]
	v_lshrrev_b32_e32 v29, 3, v28
	v_sub_u32_e32 v14, 29, v32
	v_and_b32_e32 v30, 7, v30
	v_cmp_gt_u32_e32 vcc, 8, v28
	v_mov_b32_e32 v28, 24
	v_cndmask_b32_e32 v14, v29, v14, vcc
	v_cndmask_b32_e32 v25, v25, v30, vcc
	v_lshlrev_b32_sdwa v28, v28, v15 dst_sel:DWORD dst_unused:UNUSED_PAD src0_sel:DWORD src1_sel:WORD_1
	v_bfrev_b32_e32 v29, 60
	v_lshlrev_b32_e32 v25, 20, v25
	v_and_b32_e32 v28, 0x80000000, v28
	v_lshl_add_u32 v14, v14, 23, v29
	v_or3_b32 v14, v28, v14, v25
	v_lshrrev_b32_e32 v25, 16, v14
.LBB847_441:
	s_or_b64 exec, exec, s[10:11]
.LBB847_442:
	s_or_b64 exec, exec, s[8:9]
.LBB847_443:
	s_or_b64 exec, exec, s[2:3]
	s_mov_b32 s2, 0xffffff
	v_cmp_lt_u32_e32 vcc, s2, v15
	s_and_saveexec_b64 s[2:3], vcc
	s_cbranch_execz .LBB847_449
; %bb.444:
	v_lshrrev_b32_e32 v14, 24, v15
	s_movk_i32 s7, 0x80
	v_cmp_ne_u32_e32 vcc, s7, v14
	v_mov_b32_e32 v24, 0xffff8000
	s_and_saveexec_b64 s[8:9], vcc
	s_cbranch_execz .LBB847_448
; %bb.445:
	v_bfe_u32 v15, v15, 24, 7
	s_movk_i32 s7, 0x7f
	v_cmp_ne_u32_e32 vcc, s7, v15
	v_mov_b32_e32 v24, 0x7f80
	s_and_saveexec_b64 s[10:11], vcc
	s_cbranch_execz .LBB847_447
; %bb.446:
	v_and_b32_e32 v24, 7, v14
	v_ffbh_u32_e32 v28, v24
	v_min_u32_e32 v31, 32, v28
	v_subrev_u32_e32 v28, 28, v31
	v_lshlrev_b64 v[28:29], v28, v[14:15]
	v_lshrrev_b32_e32 v30, 3, v15
	v_sub_u32_e32 v29, 29, v31
	v_and_b32_e32 v28, 7, v28
	v_cmp_gt_u32_e32 vcc, 8, v15
	v_cndmask_b32_e32 v15, v30, v29, vcc
	v_cndmask_b32_e32 v24, v24, v28, vcc
	v_lshlrev_b32_e32 v14, 24, v14
	v_bfrev_b32_e32 v28, 60
	v_lshlrev_b32_e32 v24, 20, v24
	v_and_b32_e32 v14, 0x80000000, v14
	v_lshl_add_u32 v15, v15, 23, v28
	v_or3_b32 v14, v14, v15, v24
	v_lshrrev_b32_e32 v24, 16, v14
.LBB847_447:
	s_or_b64 exec, exec, s[10:11]
.LBB847_448:
	s_or_b64 exec, exec, s[8:9]
.LBB847_449:
	s_or_b64 exec, exec, s[2:3]
	s_mov_b32 s2, 0x5040100
	v_perm_b32 v15, v21, v22, s2
	v_lshl_or_b32 v22, v1, 9, v27
	v_perm_b32 v14, v19, v20, s2
	ds_read_b128 v[28:31], v22
	v_perm_b32 v19, v24, v25, s2
	v_perm_b32 v18, v18, v23, s2
	s_waitcnt lgkmcnt(0)
	v_mfma_f32_16x16x16bf16_1k v[32:35], v[14:15], v[28:29], 0
	v_mov_b32_e32 v15, 0
	v_cmp_ne_u16_sdwa s[8:9], v16, v15 src0_sel:BYTE_0 src1_sel:DWORD
	v_mov_b32_e32 v23, 0
	v_mfma_f32_16x16x16bf16_1k v[18:21], v[18:19], v[30:31], v[32:35]
	s_and_saveexec_b64 s[2:3], s[8:9]
	s_cbranch_execz .LBB847_455
; %bb.450:
	s_movk_i32 s7, 0x80
	v_cmp_ne_u16_sdwa s[10:11], v16, s7 src0_sel:BYTE_0 src1_sel:DWORD
	v_mov_b32_e32 v23, 0xffff8000
	s_and_saveexec_b64 s[8:9], s[10:11]
	s_cbranch_execz .LBB847_454
; %bb.451:
	s_movk_i32 s7, 0x7f
	v_and_b32_e32 v14, 0x7f, v16
	v_cmp_ne_u32_e32 vcc, s7, v14
	v_mov_b32_e32 v23, 0x7f80
	s_and_saveexec_b64 s[10:11], vcc
	s_cbranch_execz .LBB847_453
; %bb.452:
	v_and_b32_e32 v23, 7, v16
	v_ffbh_u32_e32 v24, v23
	v_min_u32_e32 v28, 32, v24
	v_subrev_u32_e32 v24, 28, v28
	v_lshlrev_b64 v[24:25], v24, v[16:17]
	v_lshrrev_b32_e32 v27, 3, v14
	v_sub_u32_e32 v25, 29, v28
	v_and_b32_e32 v24, 7, v24
	v_cmp_gt_u32_e32 vcc, 8, v14
	v_cndmask_b32_e32 v14, v27, v25, vcc
	v_cndmask_b32_e32 v23, v23, v24, vcc
	v_lshlrev_b32_e32 v24, 24, v16
	v_bfrev_b32_e32 v25, 60
	v_lshlrev_b32_e32 v23, 20, v23
	v_and_b32_e32 v24, 0x80000000, v24
	v_lshl_add_u32 v14, v14, 23, v25
	v_or3_b32 v14, v24, v14, v23
	v_lshrrev_b32_e32 v23, 16, v14
.LBB847_453:
	s_or_b64 exec, exec, s[10:11]
.LBB847_454:
	s_or_b64 exec, exec, s[8:9]
.LBB847_455:
	s_or_b64 exec, exec, s[2:3]
	v_lshrrev_b16_e32 v14, 8, v16
	v_cmp_ne_u16_e32 vcc, 0, v14
	s_and_saveexec_b64 s[2:3], vcc
	s_cbranch_execz .LBB847_461
; %bb.456:
	s_movk_i32 s7, 0x80
	v_cmp_ne_u16_e32 vcc, s7, v14
	v_mov_b32_e32 v15, 0xffff8000
	s_and_saveexec_b64 s[8:9], vcc
	s_cbranch_execz .LBB847_460
; %bb.457:
	s_movk_i32 s7, 0x7f
	v_and_b32_e32 v24, 0x7f, v14
	v_cmp_ne_u32_e32 vcc, s7, v24
	v_mov_b32_e32 v15, 0x7f80
	s_and_saveexec_b64 s[10:11], vcc
	s_cbranch_execz .LBB847_459
; %bb.458:
	v_and_b32_e32 v25, 7, v14
	v_ffbh_u32_e32 v15, v25
	v_min_u32_e32 v28, 32, v15
	v_subrev_u32_e32 v15, 28, v28
	v_lshlrev_b64 v[14:15], v15, v[14:15]
	v_lshrrev_b32_e32 v27, 3, v24
	v_sub_u32_e32 v15, 29, v28
	v_and_b32_e32 v14, 7, v14
	v_cmp_gt_u32_e32 vcc, 8, v24
	v_cndmask_b32_e32 v15, v27, v15, vcc
	v_cndmask_b32_e32 v14, v25, v14, vcc
	v_lshlrev_b32_e32 v24, 16, v16
	v_bfrev_b32_e32 v25, 60
	v_lshlrev_b32_e32 v14, 20, v14
	v_and_b32_e32 v24, 0x80000000, v24
	v_lshl_add_u32 v15, v15, 23, v25
	v_or3_b32 v14, v24, v15, v14
	v_lshrrev_b32_e32 v15, 16, v14
.LBB847_459:
	s_or_b64 exec, exec, s[10:11]
.LBB847_460:
	s_or_b64 exec, exec, s[8:9]
.LBB847_461:
	s_or_b64 exec, exec, s[2:3]
	s_movk_i32 s2, 0xff
	v_and_b32_sdwa v27, v16, s2 dst_sel:DWORD dst_unused:UNUSED_PAD src0_sel:WORD_1 src1_sel:DWORD
	v_lshrrev_b32_e32 v14, 16, v16
	v_cmp_ne_u16_e32 vcc, 0, v27
	v_mov_b32_e32 v24, 0
	v_mov_b32_e32 v25, 0
	s_and_saveexec_b64 s[2:3], vcc
	s_cbranch_execz .LBB847_467
; %bb.462:
	s_movk_i32 s7, 0x80
	v_cmp_ne_u16_e32 vcc, s7, v27
	v_mov_b32_e32 v25, 0xffff8000
	s_and_saveexec_b64 s[8:9], vcc
	s_cbranch_execz .LBB847_466
; %bb.463:
	v_bfe_u32 v27, v16, 16, 7
	s_movk_i32 s7, 0x7f
	v_cmp_ne_u32_e32 vcc, s7, v27
	v_mov_b32_e32 v25, 0x7f80
	s_and_saveexec_b64 s[10:11], vcc
	s_cbranch_execz .LBB847_465
; %bb.464:
	v_and_b32_e32 v25, 7, v14
	v_ffbh_u32_e32 v28, v25
	v_min_u32_e32 v31, 32, v28
	v_subrev_u32_e32 v28, 28, v31
	v_lshlrev_b64 v[28:29], v28, v[14:15]
	v_lshrrev_b32_e32 v30, 3, v27
	v_sub_u32_e32 v14, 29, v31
	v_and_b32_e32 v28, 7, v28
	v_cmp_gt_u32_e32 vcc, 8, v27
	v_mov_b32_e32 v27, 24
	v_cndmask_b32_e32 v14, v30, v14, vcc
	v_cndmask_b32_e32 v25, v25, v28, vcc
	v_lshlrev_b32_sdwa v27, v27, v16 dst_sel:DWORD dst_unused:UNUSED_PAD src0_sel:DWORD src1_sel:WORD_1
	v_bfrev_b32_e32 v28, 60
	v_lshlrev_b32_e32 v25, 20, v25
	v_and_b32_e32 v27, 0x80000000, v27
	v_lshl_add_u32 v14, v14, 23, v28
	v_or3_b32 v14, v27, v14, v25
	v_lshrrev_b32_e32 v25, 16, v14
.LBB847_465:
	s_or_b64 exec, exec, s[10:11]
.LBB847_466:
	s_or_b64 exec, exec, s[8:9]
.LBB847_467:
	s_or_b64 exec, exec, s[2:3]
	s_mov_b32 s2, 0xffffff
	v_cmp_lt_u32_e32 vcc, s2, v16
	s_and_saveexec_b64 s[2:3], vcc
	s_cbranch_execz .LBB847_473
; %bb.468:
	v_lshrrev_b32_e32 v14, 24, v16
	s_movk_i32 s7, 0x80
	v_cmp_ne_u32_e32 vcc, s7, v14
	v_mov_b32_e32 v24, 0xffff8000
	s_and_saveexec_b64 s[8:9], vcc
	s_cbranch_execz .LBB847_472
; %bb.469:
	v_bfe_u32 v16, v16, 24, 7
	s_movk_i32 s7, 0x7f
	v_cmp_ne_u32_e32 vcc, s7, v16
	v_mov_b32_e32 v24, 0x7f80
	s_and_saveexec_b64 s[10:11], vcc
	s_cbranch_execz .LBB847_471
; %bb.470:
	v_and_b32_e32 v24, 7, v14
	v_ffbh_u32_e32 v28, v24
	v_min_u32_e32 v30, 32, v28
	v_subrev_u32_e32 v28, 28, v30
	v_lshlrev_b64 v[28:29], v28, v[14:15]
	v_lshrrev_b32_e32 v27, 3, v16
	v_sub_u32_e32 v29, 29, v30
	v_and_b32_e32 v28, 7, v28
	v_cmp_gt_u32_e32 vcc, 8, v16
	v_cndmask_b32_e32 v16, v27, v29, vcc
	v_cndmask_b32_e32 v24, v24, v28, vcc
	v_lshlrev_b32_e32 v14, 24, v14
	v_bfrev_b32_e32 v27, 60
	v_lshlrev_b32_e32 v24, 20, v24
	v_and_b32_e32 v14, 0x80000000, v14
	v_lshl_add_u32 v16, v16, 23, v27
	v_or3_b32 v14, v14, v16, v24
	v_lshrrev_b32_e32 v24, 16, v14
.LBB847_471:
	s_or_b64 exec, exec, s[10:11]
.LBB847_472:
	s_or_b64 exec, exec, s[8:9]
.LBB847_473:
	s_or_b64 exec, exec, s[2:3]
	v_mov_b32_e32 v16, 0
	v_cmp_ne_u16_sdwa s[8:9], v17, v16 src0_sel:BYTE_0 src1_sel:DWORD
	v_mov_b32_e32 v27, 0
	s_and_saveexec_b64 s[2:3], s[8:9]
	s_cbranch_execz .LBB847_479
; %bb.474:
	s_movk_i32 s7, 0x80
	v_cmp_ne_u16_sdwa s[10:11], v17, s7 src0_sel:BYTE_0 src1_sel:DWORD
	v_mov_b32_e32 v27, 0xffff8000
	s_and_saveexec_b64 s[8:9], s[10:11]
	s_cbranch_execz .LBB847_478
; %bb.475:
	s_movk_i32 s7, 0x7f
	v_and_b32_e32 v14, 0x7f, v17
	v_cmp_ne_u32_e32 vcc, s7, v14
	v_mov_b32_e32 v27, 0x7f80
	s_and_saveexec_b64 s[10:11], vcc
	s_cbranch_execz .LBB847_477
; %bb.476:
	v_and_b32_e32 v27, 7, v17
	v_ffbh_u32_e32 v29, v27
	v_min_u32_e32 v31, 32, v29
	v_mov_b32_e32 v28, v17
	v_subrev_u32_e32 v29, 28, v31
	v_lshlrev_b64 v[28:29], v29, v[28:29]
	v_lshrrev_b32_e32 v30, 3, v14
	v_sub_u32_e32 v29, 29, v31
	v_and_b32_e32 v28, 7, v28
	v_cmp_gt_u32_e32 vcc, 8, v14
	v_cndmask_b32_e32 v14, v30, v29, vcc
	v_cndmask_b32_e32 v27, v27, v28, vcc
	v_lshlrev_b32_e32 v28, 24, v17
	v_bfrev_b32_e32 v29, 60
	v_lshlrev_b32_e32 v27, 20, v27
	v_and_b32_e32 v28, 0x80000000, v28
	v_lshl_add_u32 v14, v14, 23, v29
	v_or3_b32 v14, v28, v14, v27
	v_lshrrev_b32_e32 v27, 16, v14
.LBB847_477:
	s_or_b64 exec, exec, s[10:11]
.LBB847_478:
	s_or_b64 exec, exec, s[8:9]
.LBB847_479:
	s_or_b64 exec, exec, s[2:3]
	v_lshrrev_b16_e32 v14, 8, v17
	v_cmp_ne_u16_e32 vcc, 0, v14
	s_and_saveexec_b64 s[2:3], vcc
	s_cbranch_execz .LBB847_485
; %bb.480:
	s_movk_i32 s7, 0x80
	v_cmp_ne_u16_e32 vcc, s7, v14
	v_mov_b32_e32 v16, 0xffff8000
	s_and_saveexec_b64 s[8:9], vcc
	s_cbranch_execz .LBB847_484
; %bb.481:
	s_movk_i32 s7, 0x7f
	v_and_b32_e32 v28, 0x7f, v14
	v_cmp_ne_u32_e32 vcc, s7, v28
	v_mov_b32_e32 v16, 0x7f80
	s_and_saveexec_b64 s[10:11], vcc
	s_cbranch_execz .LBB847_483
; %bb.482:
	v_and_b32_e32 v16, 7, v14
	v_ffbh_u32_e32 v30, v16
	v_min_u32_e32 v32, 32, v30
	v_subrev_u32_e32 v30, 28, v32
	v_lshlrev_b64 v[30:31], v30, v[14:15]
	v_lshrrev_b32_e32 v29, 3, v28
	v_sub_u32_e32 v14, 29, v32
	v_and_b32_e32 v30, 7, v30
	v_cmp_gt_u32_e32 vcc, 8, v28
	v_cndmask_b32_e32 v14, v29, v14, vcc
	v_cndmask_b32_e32 v16, v16, v30, vcc
	v_lshlrev_b32_e32 v28, 16, v17
	v_bfrev_b32_e32 v29, 60
	v_lshlrev_b32_e32 v16, 20, v16
	v_and_b32_e32 v28, 0x80000000, v28
	v_lshl_add_u32 v14, v14, 23, v29
	v_or3_b32 v14, v28, v14, v16
	v_lshrrev_b32_e32 v16, 16, v14
.LBB847_483:
	s_or_b64 exec, exec, s[10:11]
.LBB847_484:
	s_or_b64 exec, exec, s[8:9]
.LBB847_485:
	s_or_b64 exec, exec, s[2:3]
	s_movk_i32 s2, 0xff
	v_and_b32_sdwa v30, v17, s2 dst_sel:DWORD dst_unused:UNUSED_PAD src0_sel:WORD_1 src1_sel:DWORD
	v_lshrrev_b32_e32 v14, 16, v17
	v_cmp_ne_u16_e32 vcc, 0, v30
	v_mov_b32_e32 v28, 0
	v_mov_b32_e32 v29, 0
	s_and_saveexec_b64 s[2:3], vcc
	s_cbranch_execz .LBB847_491
; %bb.486:
	s_movk_i32 s7, 0x80
	v_cmp_ne_u16_e32 vcc, s7, v30
	v_mov_b32_e32 v29, 0xffff8000
	s_and_saveexec_b64 s[8:9], vcc
	s_cbranch_execz .LBB847_490
; %bb.487:
	v_bfe_u32 v30, v17, 16, 7
	s_movk_i32 s7, 0x7f
	v_cmp_ne_u32_e32 vcc, s7, v30
	v_mov_b32_e32 v29, 0x7f80
	s_and_saveexec_b64 s[10:11], vcc
	s_cbranch_execz .LBB847_489
; %bb.488:
	v_and_b32_e32 v29, 7, v14
	v_ffbh_u32_e32 v32, v29
	v_min_u32_e32 v34, 32, v32
	v_subrev_u32_e32 v32, 28, v34
	v_lshlrev_b64 v[32:33], v32, v[14:15]
	v_lshrrev_b32_e32 v31, 3, v30
	v_sub_u32_e32 v14, 29, v34
	v_and_b32_e32 v32, 7, v32
	v_cmp_gt_u32_e32 vcc, 8, v30
	v_mov_b32_e32 v30, 24
	v_cndmask_b32_e32 v14, v31, v14, vcc
	v_cndmask_b32_e32 v29, v29, v32, vcc
	v_lshlrev_b32_sdwa v30, v30, v17 dst_sel:DWORD dst_unused:UNUSED_PAD src0_sel:DWORD src1_sel:WORD_1
	v_bfrev_b32_e32 v31, 60
	v_lshlrev_b32_e32 v29, 20, v29
	v_and_b32_e32 v30, 0x80000000, v30
	v_lshl_add_u32 v14, v14, 23, v31
	v_or3_b32 v14, v30, v14, v29
	v_lshrrev_b32_e32 v29, 16, v14
.LBB847_489:
	s_or_b64 exec, exec, s[10:11]
.LBB847_490:
	s_or_b64 exec, exec, s[8:9]
.LBB847_491:
	s_or_b64 exec, exec, s[2:3]
	s_mov_b32 s2, 0xffffff
	v_cmp_lt_u32_e32 vcc, s2, v17
	s_and_saveexec_b64 s[2:3], vcc
	s_cbranch_execz .LBB847_497
; %bb.492:
	v_lshrrev_b32_e32 v14, 24, v17
	s_movk_i32 s7, 0x80
	v_cmp_ne_u32_e32 vcc, s7, v14
	v_mov_b32_e32 v28, 0xffff8000
	s_and_saveexec_b64 s[8:9], vcc
	s_cbranch_execz .LBB847_496
; %bb.493:
	v_bfe_u32 v17, v17, 24, 7
	s_movk_i32 s7, 0x7f
	v_cmp_ne_u32_e32 vcc, s7, v17
	v_mov_b32_e32 v28, 0x7f80
	s_and_saveexec_b64 s[10:11], vcc
	s_cbranch_execz .LBB847_495
; %bb.494:
	v_and_b32_e32 v28, 7, v14
	v_ffbh_u32_e32 v30, v28
	v_min_u32_e32 v33, 32, v30
	v_subrev_u32_e32 v30, 28, v33
	v_lshlrev_b64 v[30:31], v30, v[14:15]
	v_lshrrev_b32_e32 v32, 3, v17
	v_sub_u32_e32 v31, 29, v33
	v_and_b32_e32 v30, 7, v30
	v_cmp_gt_u32_e32 vcc, 8, v17
	v_cndmask_b32_e32 v17, v32, v31, vcc
	v_cndmask_b32_e32 v28, v28, v30, vcc
	v_lshlrev_b32_e32 v14, 24, v14
	v_bfrev_b32_e32 v30, 60
	v_lshlrev_b32_e32 v28, 20, v28
	v_and_b32_e32 v14, 0x80000000, v14
	v_lshl_add_u32 v17, v17, 23, v30
	v_or3_b32 v14, v14, v17, v28
	v_lshrrev_b32_e32 v28, 16, v14
.LBB847_495:
	s_or_b64 exec, exec, s[10:11]
.LBB847_496:
	s_or_b64 exec, exec, s[8:9]
.LBB847_497:
	s_or_b64 exec, exec, s[2:3]
	s_mov_b32 s2, 0x5040100
	v_perm_b32 v25, v24, v25, s2
	v_perm_b32 v24, v15, v23, s2
	ds_read_b128 v[30:33], v22 offset:16
	v_perm_b32 v15, v28, v29, s2
	v_perm_b32 v14, v16, v27, s2
	s_waitcnt lgkmcnt(0)
	v_mfma_f32_16x16x16bf16_1k v[34:37], v[24:25], v[30:31], v[18:21]
	s_nop 6
	v_mov_b32_e32 v19, 0
	s_waitcnt vmcnt(2)
	v_cmp_ne_u16_sdwa s[8:9], v10, v19 src0_sel:BYTE_0 src1_sel:DWORD
	v_mfma_f32_16x16x16bf16_1k v[14:17], v[14:15], v[32:33], v[34:37]
	v_mov_b32_e32 v20, 0
	s_and_saveexec_b64 s[2:3], s[8:9]
	s_cbranch_execz .LBB847_503
; %bb.498:
	s_movk_i32 s7, 0x80
	v_cmp_ne_u16_sdwa s[10:11], v10, s7 src0_sel:BYTE_0 src1_sel:DWORD
	v_mov_b32_e32 v20, 0xffff8000
	s_and_saveexec_b64 s[8:9], s[10:11]
	s_cbranch_execz .LBB847_502
; %bb.499:
	s_movk_i32 s7, 0x7f
	v_and_b32_e32 v18, 0x7f, v10
	v_cmp_ne_u32_e32 vcc, s7, v18
	v_mov_b32_e32 v20, 0x7f80
	s_and_saveexec_b64 s[10:11], vcc
	s_cbranch_execz .LBB847_501
; %bb.500:
	v_and_b32_e32 v23, 7, v10
	v_ffbh_u32_e32 v20, v23
	v_min_u32_e32 v25, 32, v20
	v_subrev_u32_e32 v20, 28, v25
	v_lshlrev_b64 v[20:21], v20, v[10:11]
	v_lshrrev_b32_e32 v24, 3, v18
	v_sub_u32_e32 v21, 29, v25
	v_and_b32_e32 v20, 7, v20
	v_cmp_gt_u32_e32 vcc, 8, v18
	v_cndmask_b32_e32 v18, v24, v21, vcc
	v_cndmask_b32_e32 v20, v23, v20, vcc
	v_lshlrev_b32_e32 v21, 24, v10
	v_bfrev_b32_e32 v23, 60
	v_lshlrev_b32_e32 v20, 20, v20
	v_and_b32_e32 v21, 0x80000000, v21
	v_lshl_add_u32 v18, v18, 23, v23
	v_or3_b32 v18, v21, v18, v20
	v_lshrrev_b32_e32 v20, 16, v18
.LBB847_501:
	s_or_b64 exec, exec, s[10:11]
.LBB847_502:
	s_or_b64 exec, exec, s[8:9]
.LBB847_503:
	s_or_b64 exec, exec, s[2:3]
	v_lshrrev_b16_e32 v18, 8, v10
	v_cmp_ne_u16_e32 vcc, 0, v18
	s_and_saveexec_b64 s[2:3], vcc
	s_cbranch_execz .LBB847_509
; %bb.504:
	s_movk_i32 s7, 0x80
	v_cmp_ne_u16_e32 vcc, s7, v18
	v_mov_b32_e32 v19, 0xffff8000
	s_and_saveexec_b64 s[8:9], vcc
	s_cbranch_execz .LBB847_508
; %bb.505:
	s_movk_i32 s7, 0x7f
	v_and_b32_e32 v21, 0x7f, v18
	v_cmp_ne_u32_e32 vcc, s7, v21
	v_mov_b32_e32 v19, 0x7f80
	s_and_saveexec_b64 s[10:11], vcc
	s_cbranch_execz .LBB847_507
; %bb.506:
	v_and_b32_e32 v23, 7, v18
	v_ffbh_u32_e32 v19, v23
	v_min_u32_e32 v25, 32, v19
	v_subrev_u32_e32 v19, 28, v25
	v_lshlrev_b64 v[18:19], v19, v[18:19]
	v_lshrrev_b32_e32 v24, 3, v21
	v_sub_u32_e32 v19, 29, v25
	v_and_b32_e32 v18, 7, v18
	v_cmp_gt_u32_e32 vcc, 8, v21
	v_cndmask_b32_e32 v19, v24, v19, vcc
	v_cndmask_b32_e32 v18, v23, v18, vcc
	v_lshlrev_b32_e32 v21, 16, v10
	v_bfrev_b32_e32 v23, 60
	v_lshlrev_b32_e32 v18, 20, v18
	v_and_b32_e32 v21, 0x80000000, v21
	v_lshl_add_u32 v19, v19, 23, v23
	v_or3_b32 v18, v21, v19, v18
	v_lshrrev_b32_e32 v19, 16, v18
.LBB847_507:
	s_or_b64 exec, exec, s[10:11]
.LBB847_508:
	s_or_b64 exec, exec, s[8:9]
.LBB847_509:
	s_or_b64 exec, exec, s[2:3]
	s_movk_i32 s2, 0xff
	v_and_b32_sdwa v24, v10, s2 dst_sel:DWORD dst_unused:UNUSED_PAD src0_sel:WORD_1 src1_sel:DWORD
	v_lshrrev_b32_e32 v18, 16, v10
	v_cmp_ne_u16_e32 vcc, 0, v24
	v_mov_b32_e32 v21, 0
	v_mov_b32_e32 v23, 0
	s_and_saveexec_b64 s[2:3], vcc
	s_cbranch_execz .LBB847_515
; %bb.510:
	s_movk_i32 s7, 0x80
	v_cmp_ne_u16_e32 vcc, s7, v24
	v_mov_b32_e32 v23, 0xffff8000
	s_and_saveexec_b64 s[8:9], vcc
	s_cbranch_execz .LBB847_514
; %bb.511:
	v_bfe_u32 v24, v10, 16, 7
	s_movk_i32 s7, 0x7f
	v_cmp_ne_u32_e32 vcc, s7, v24
	v_mov_b32_e32 v23, 0x7f80
	s_and_saveexec_b64 s[10:11], vcc
	s_cbranch_execz .LBB847_513
; %bb.512:
	v_and_b32_e32 v23, 7, v18
	v_ffbh_u32_e32 v27, v23
	v_min_u32_e32 v27, 32, v27
	v_subrev_u32_e32 v28, 28, v27
	v_lshlrev_b64 v[28:29], v28, v[18:19]
	v_lshrrev_b32_e32 v25, 3, v24
	v_sub_u32_e32 v18, 29, v27
	v_and_b32_e32 v27, 7, v28
	v_cmp_gt_u32_e32 vcc, 8, v24
	v_mov_b32_e32 v24, 24
	v_cndmask_b32_e32 v18, v25, v18, vcc
	v_cndmask_b32_e32 v23, v23, v27, vcc
	v_lshlrev_b32_sdwa v24, v24, v10 dst_sel:DWORD dst_unused:UNUSED_PAD src0_sel:DWORD src1_sel:WORD_1
	v_bfrev_b32_e32 v25, 60
	v_lshlrev_b32_e32 v23, 20, v23
	v_and_b32_e32 v24, 0x80000000, v24
	v_lshl_add_u32 v18, v18, 23, v25
	v_or3_b32 v18, v24, v18, v23
	v_lshrrev_b32_e32 v23, 16, v18
.LBB847_513:
	s_or_b64 exec, exec, s[10:11]
.LBB847_514:
	s_or_b64 exec, exec, s[8:9]
.LBB847_515:
	s_or_b64 exec, exec, s[2:3]
	s_mov_b32 s2, 0xffffff
	v_cmp_lt_u32_e32 vcc, s2, v10
	s_and_saveexec_b64 s[2:3], vcc
	s_cbranch_execz .LBB847_521
; %bb.516:
	v_lshrrev_b32_e32 v18, 24, v10
	s_movk_i32 s7, 0x80
	v_cmp_ne_u32_e32 vcc, s7, v18
	v_mov_b32_e32 v21, 0xffff8000
	s_and_saveexec_b64 s[8:9], vcc
	s_cbranch_execz .LBB847_520
; %bb.517:
	v_bfe_u32 v10, v10, 24, 7
	s_movk_i32 s7, 0x7f
	v_cmp_ne_u32_e32 vcc, s7, v10
	v_mov_b32_e32 v21, 0x7f80
	s_and_saveexec_b64 s[10:11], vcc
	s_cbranch_execz .LBB847_519
; %bb.518:
	v_and_b32_e32 v21, 7, v18
	v_ffbh_u32_e32 v24, v21
	v_min_u32_e32 v28, 32, v24
	v_subrev_u32_e32 v24, 28, v28
	v_lshlrev_b64 v[24:25], v24, v[18:19]
	v_lshrrev_b32_e32 v27, 3, v10
	v_sub_u32_e32 v25, 29, v28
	v_and_b32_e32 v24, 7, v24
	v_cmp_gt_u32_e32 vcc, 8, v10
	v_cndmask_b32_e32 v10, v27, v25, vcc
	v_cndmask_b32_e32 v21, v21, v24, vcc
	v_lshlrev_b32_e32 v18, 24, v18
	v_bfrev_b32_e32 v24, 60
	v_lshlrev_b32_e32 v21, 20, v21
	v_and_b32_e32 v18, 0x80000000, v18
	v_lshl_add_u32 v10, v10, 23, v24
	v_or3_b32 v10, v18, v10, v21
	v_lshrrev_b32_e32 v21, 16, v10
.LBB847_519:
	s_or_b64 exec, exec, s[10:11]
.LBB847_520:
	s_or_b64 exec, exec, s[8:9]
.LBB847_521:
	s_or_b64 exec, exec, s[2:3]
	v_mov_b32_e32 v18, 0
	v_cmp_ne_u16_sdwa s[8:9], v11, v18 src0_sel:BYTE_0 src1_sel:DWORD
	v_mov_b32_e32 v24, 0
	s_and_saveexec_b64 s[2:3], s[8:9]
	s_cbranch_execz .LBB847_527
; %bb.522:
	s_movk_i32 s7, 0x80
	v_cmp_ne_u16_sdwa s[10:11], v11, s7 src0_sel:BYTE_0 src1_sel:DWORD
	v_mov_b32_e32 v24, 0xffff8000
	s_and_saveexec_b64 s[8:9], s[10:11]
	s_cbranch_execz .LBB847_526
; %bb.523:
	s_movk_i32 s7, 0x7f
	v_and_b32_e32 v10, 0x7f, v11
	v_cmp_ne_u32_e32 vcc, s7, v10
	v_mov_b32_e32 v24, 0x7f80
	s_and_saveexec_b64 s[10:11], vcc
	s_cbranch_execz .LBB847_525
; %bb.524:
	v_and_b32_e32 v27, 7, v11
	v_ffbh_u32_e32 v25, v27
	v_min_u32_e32 v29, 32, v25
	v_mov_b32_e32 v24, v11
	v_subrev_u32_e32 v25, 28, v29
	v_lshlrev_b64 v[24:25], v25, v[24:25]
	v_lshrrev_b32_e32 v28, 3, v10
	v_sub_u32_e32 v25, 29, v29
	v_and_b32_e32 v24, 7, v24
	v_cmp_gt_u32_e32 vcc, 8, v10
	v_cndmask_b32_e32 v10, v28, v25, vcc
	v_cndmask_b32_e32 v24, v27, v24, vcc
	v_lshlrev_b32_e32 v25, 24, v11
	v_bfrev_b32_e32 v27, 60
	v_lshlrev_b32_e32 v24, 20, v24
	v_and_b32_e32 v25, 0x80000000, v25
	v_lshl_add_u32 v10, v10, 23, v27
	v_or3_b32 v10, v25, v10, v24
	v_lshrrev_b32_e32 v24, 16, v10
.LBB847_525:
	s_or_b64 exec, exec, s[10:11]
.LBB847_526:
	s_or_b64 exec, exec, s[8:9]
.LBB847_527:
	s_or_b64 exec, exec, s[2:3]
	v_lshrrev_b16_e32 v10, 8, v11
	v_cmp_ne_u16_e32 vcc, 0, v10
	s_and_saveexec_b64 s[2:3], vcc
	s_cbranch_execz .LBB847_533
; %bb.528:
	s_movk_i32 s7, 0x80
	v_cmp_ne_u16_e32 vcc, s7, v10
	v_mov_b32_e32 v18, 0xffff8000
	s_and_saveexec_b64 s[8:9], vcc
	s_cbranch_execz .LBB847_532
; %bb.529:
	s_movk_i32 s7, 0x7f
	v_and_b32_e32 v25, 0x7f, v10
	v_cmp_ne_u32_e32 vcc, s7, v25
	v_mov_b32_e32 v18, 0x7f80
	s_and_saveexec_b64 s[10:11], vcc
	s_cbranch_execz .LBB847_531
; %bb.530:
	v_and_b32_e32 v18, 7, v10
	v_ffbh_u32_e32 v28, v18
	v_min_u32_e32 v30, 32, v28
	v_subrev_u32_e32 v28, 28, v30
	v_lshlrev_b64 v[28:29], v28, v[10:11]
	v_lshrrev_b32_e32 v27, 3, v25
	v_sub_u32_e32 v10, 29, v30
	v_and_b32_e32 v28, 7, v28
	v_cmp_gt_u32_e32 vcc, 8, v25
	v_cndmask_b32_e32 v10, v27, v10, vcc
	v_cndmask_b32_e32 v18, v18, v28, vcc
	v_lshlrev_b32_e32 v25, 16, v11
	v_bfrev_b32_e32 v27, 60
	v_lshlrev_b32_e32 v18, 20, v18
	v_and_b32_e32 v25, 0x80000000, v25
	v_lshl_add_u32 v10, v10, 23, v27
	v_or3_b32 v10, v25, v10, v18
	v_lshrrev_b32_e32 v18, 16, v10
.LBB847_531:
	s_or_b64 exec, exec, s[10:11]
.LBB847_532:
	s_or_b64 exec, exec, s[8:9]
.LBB847_533:
	s_or_b64 exec, exec, s[2:3]
	s_movk_i32 s2, 0xff
	v_and_b32_sdwa v28, v11, s2 dst_sel:DWORD dst_unused:UNUSED_PAD src0_sel:WORD_1 src1_sel:DWORD
	v_lshrrev_b32_e32 v10, 16, v11
	v_cmp_ne_u16_e32 vcc, 0, v28
	v_mov_b32_e32 v25, 0
	v_mov_b32_e32 v27, 0
	s_and_saveexec_b64 s[2:3], vcc
	s_cbranch_execz .LBB847_539
; %bb.534:
	s_movk_i32 s7, 0x80
	v_cmp_ne_u16_e32 vcc, s7, v28
	v_mov_b32_e32 v27, 0xffff8000
	s_and_saveexec_b64 s[8:9], vcc
	s_cbranch_execz .LBB847_538
; %bb.535:
	v_bfe_u32 v28, v11, 16, 7
	s_movk_i32 s7, 0x7f
	v_cmp_ne_u32_e32 vcc, s7, v28
	v_mov_b32_e32 v27, 0x7f80
	s_and_saveexec_b64 s[10:11], vcc
	s_cbranch_execz .LBB847_537
; %bb.536:
	v_and_b32_e32 v27, 7, v10
	v_ffbh_u32_e32 v30, v27
	v_min_u32_e32 v32, 32, v30
	v_subrev_u32_e32 v30, 28, v32
	v_lshlrev_b64 v[30:31], v30, v[10:11]
	v_lshrrev_b32_e32 v29, 3, v28
	v_sub_u32_e32 v10, 29, v32
	v_and_b32_e32 v30, 7, v30
	v_cmp_gt_u32_e32 vcc, 8, v28
	v_mov_b32_e32 v28, 24
	v_cndmask_b32_e32 v10, v29, v10, vcc
	v_cndmask_b32_e32 v27, v27, v30, vcc
	v_lshlrev_b32_sdwa v28, v28, v11 dst_sel:DWORD dst_unused:UNUSED_PAD src0_sel:DWORD src1_sel:WORD_1
	v_bfrev_b32_e32 v29, 60
	v_lshlrev_b32_e32 v27, 20, v27
	v_and_b32_e32 v28, 0x80000000, v28
	v_lshl_add_u32 v10, v10, 23, v29
	v_or3_b32 v10, v28, v10, v27
	v_lshrrev_b32_e32 v27, 16, v10
.LBB847_537:
	s_or_b64 exec, exec, s[10:11]
.LBB847_538:
	s_or_b64 exec, exec, s[8:9]
.LBB847_539:
	s_or_b64 exec, exec, s[2:3]
	s_mov_b32 s2, 0xffffff
	v_cmp_lt_u32_e32 vcc, s2, v11
	s_and_saveexec_b64 s[2:3], vcc
	s_cbranch_execz .LBB847_545
; %bb.540:
	v_lshrrev_b32_e32 v10, 24, v11
	s_movk_i32 s7, 0x80
	v_cmp_ne_u32_e32 vcc, s7, v10
	v_mov_b32_e32 v25, 0xffff8000
	s_and_saveexec_b64 s[8:9], vcc
	s_cbranch_execz .LBB847_544
; %bb.541:
	v_bfe_u32 v11, v11, 24, 7
	s_movk_i32 s7, 0x7f
	v_cmp_ne_u32_e32 vcc, s7, v11
	v_mov_b32_e32 v25, 0x7f80
	s_and_saveexec_b64 s[10:11], vcc
	s_cbranch_execz .LBB847_543
; %bb.542:
	v_and_b32_e32 v25, 7, v10
	v_ffbh_u32_e32 v28, v25
	v_min_u32_e32 v31, 32, v28
	v_subrev_u32_e32 v28, 28, v31
	v_lshlrev_b64 v[28:29], v28, v[10:11]
	v_lshrrev_b32_e32 v30, 3, v11
	v_sub_u32_e32 v29, 29, v31
	v_and_b32_e32 v28, 7, v28
	v_cmp_gt_u32_e32 vcc, 8, v11
	v_cndmask_b32_e32 v11, v30, v29, vcc
	v_cndmask_b32_e32 v25, v25, v28, vcc
	v_lshlrev_b32_e32 v10, 24, v10
	v_bfrev_b32_e32 v28, 60
	v_lshlrev_b32_e32 v25, 20, v25
	v_and_b32_e32 v10, 0x80000000, v10
	v_lshl_add_u32 v11, v11, 23, v28
	v_or3_b32 v10, v10, v11, v25
	v_lshrrev_b32_e32 v25, 16, v10
.LBB847_543:
	s_or_b64 exec, exec, s[10:11]
.LBB847_544:
	s_or_b64 exec, exec, s[8:9]
.LBB847_545:
	s_or_b64 exec, exec, s[2:3]
	s_mov_b32 s2, 0x5040100
	v_perm_b32 v11, v21, v23, s2
	v_perm_b32 v10, v19, v20, s2
	ds_read_b128 v[28:31], v22 offset:2048
	v_perm_b32 v21, v25, v27, s2
	v_perm_b32 v20, v18, v24, s2
	s_waitcnt lgkmcnt(0)
	v_mfma_f32_16x16x16bf16_1k v[14:17], v[10:11], v[28:29], v[14:17]
	v_mov_b32_e32 v11, 0
	v_cmp_ne_u16_sdwa s[8:9], v12, v11 src0_sel:BYTE_0 src1_sel:DWORD
	v_mov_b32_e32 v18, 0
	v_mfma_f32_16x16x16bf16_1k v[14:17], v[20:21], v[30:31], v[14:17]
	s_and_saveexec_b64 s[2:3], s[8:9]
	s_cbranch_execz .LBB847_551
; %bb.546:
	s_movk_i32 s7, 0x80
	v_cmp_ne_u16_sdwa s[10:11], v12, s7 src0_sel:BYTE_0 src1_sel:DWORD
	v_mov_b32_e32 v18, 0xffff8000
	s_and_saveexec_b64 s[8:9], s[10:11]
	s_cbranch_execz .LBB847_550
; %bb.547:
	s_movk_i32 s7, 0x7f
	v_and_b32_e32 v10, 0x7f, v12
	v_cmp_ne_u32_e32 vcc, s7, v10
	v_mov_b32_e32 v18, 0x7f80
	s_and_saveexec_b64 s[10:11], vcc
	s_cbranch_execz .LBB847_549
; %bb.548:
	v_and_b32_e32 v20, 7, v12
	v_ffbh_u32_e32 v18, v20
	v_min_u32_e32 v23, 32, v18
	v_subrev_u32_e32 v18, 28, v23
	v_lshlrev_b64 v[18:19], v18, v[12:13]
	v_lshrrev_b32_e32 v21, 3, v10
	v_sub_u32_e32 v19, 29, v23
	v_and_b32_e32 v18, 7, v18
	v_cmp_gt_u32_e32 vcc, 8, v10
	v_cndmask_b32_e32 v10, v21, v19, vcc
	v_cndmask_b32_e32 v18, v20, v18, vcc
	v_lshlrev_b32_e32 v19, 24, v12
	v_bfrev_b32_e32 v20, 60
	v_lshlrev_b32_e32 v18, 20, v18
	v_and_b32_e32 v19, 0x80000000, v19
	v_lshl_add_u32 v10, v10, 23, v20
	v_or3_b32 v10, v19, v10, v18
	v_lshrrev_b32_e32 v18, 16, v10
.LBB847_549:
	s_or_b64 exec, exec, s[10:11]
.LBB847_550:
	s_or_b64 exec, exec, s[8:9]
.LBB847_551:
	s_or_b64 exec, exec, s[2:3]
	v_lshrrev_b16_e32 v10, 8, v12
	v_cmp_ne_u16_e32 vcc, 0, v10
	s_and_saveexec_b64 s[2:3], vcc
	s_cbranch_execz .LBB847_557
; %bb.552:
	s_movk_i32 s7, 0x80
	v_cmp_ne_u16_e32 vcc, s7, v10
	v_mov_b32_e32 v11, 0xffff8000
	s_and_saveexec_b64 s[8:9], vcc
	s_cbranch_execz .LBB847_556
; %bb.553:
	s_movk_i32 s7, 0x7f
	v_and_b32_e32 v19, 0x7f, v10
	v_cmp_ne_u32_e32 vcc, s7, v19
	v_mov_b32_e32 v11, 0x7f80
	s_and_saveexec_b64 s[10:11], vcc
	s_cbranch_execz .LBB847_555
; %bb.554:
	v_and_b32_e32 v20, 7, v10
	v_ffbh_u32_e32 v11, v20
	v_min_u32_e32 v23, 32, v11
	v_subrev_u32_e32 v11, 28, v23
	v_lshlrev_b64 v[10:11], v11, v[10:11]
	v_lshrrev_b32_e32 v21, 3, v19
	v_sub_u32_e32 v11, 29, v23
	v_and_b32_e32 v10, 7, v10
	v_cmp_gt_u32_e32 vcc, 8, v19
	v_cndmask_b32_e32 v11, v21, v11, vcc
	v_cndmask_b32_e32 v10, v20, v10, vcc
	v_lshlrev_b32_e32 v19, 16, v12
	v_bfrev_b32_e32 v20, 60
	v_lshlrev_b32_e32 v10, 20, v10
	v_and_b32_e32 v19, 0x80000000, v19
	v_lshl_add_u32 v11, v11, 23, v20
	v_or3_b32 v10, v19, v11, v10
	v_lshrrev_b32_e32 v11, 16, v10
.LBB847_555:
	s_or_b64 exec, exec, s[10:11]
.LBB847_556:
	s_or_b64 exec, exec, s[8:9]
.LBB847_557:
	s_or_b64 exec, exec, s[2:3]
	s_movk_i32 s2, 0xff
	v_and_b32_sdwa v21, v12, s2 dst_sel:DWORD dst_unused:UNUSED_PAD src0_sel:WORD_1 src1_sel:DWORD
	v_lshrrev_b32_e32 v10, 16, v12
	v_cmp_ne_u16_e32 vcc, 0, v21
	v_mov_b32_e32 v19, 0
	v_mov_b32_e32 v20, 0
	s_and_saveexec_b64 s[2:3], vcc
	s_cbranch_execz .LBB847_563
; %bb.558:
	s_movk_i32 s7, 0x80
	v_cmp_ne_u16_e32 vcc, s7, v21
	v_mov_b32_e32 v20, 0xffff8000
	s_and_saveexec_b64 s[8:9], vcc
	s_cbranch_execz .LBB847_562
; %bb.559:
	v_bfe_u32 v21, v12, 16, 7
	s_movk_i32 s7, 0x7f
	v_cmp_ne_u32_e32 vcc, s7, v21
	v_mov_b32_e32 v20, 0x7f80
	s_and_saveexec_b64 s[10:11], vcc
	s_cbranch_execz .LBB847_561
; %bb.560:
	v_and_b32_e32 v20, 7, v10
	v_ffbh_u32_e32 v24, v20
	v_min_u32_e32 v27, 32, v24
	v_subrev_u32_e32 v24, 28, v27
	v_lshlrev_b64 v[24:25], v24, v[10:11]
	v_lshrrev_b32_e32 v23, 3, v21
	v_sub_u32_e32 v10, 29, v27
	v_and_b32_e32 v24, 7, v24
	v_cmp_gt_u32_e32 vcc, 8, v21
	v_mov_b32_e32 v21, 24
	v_cndmask_b32_e32 v10, v23, v10, vcc
	v_cndmask_b32_e32 v20, v20, v24, vcc
	v_lshlrev_b32_sdwa v21, v21, v12 dst_sel:DWORD dst_unused:UNUSED_PAD src0_sel:DWORD src1_sel:WORD_1
	v_bfrev_b32_e32 v23, 60
	v_lshlrev_b32_e32 v20, 20, v20
	v_and_b32_e32 v21, 0x80000000, v21
	v_lshl_add_u32 v10, v10, 23, v23
	v_or3_b32 v10, v21, v10, v20
	v_lshrrev_b32_e32 v20, 16, v10
.LBB847_561:
	s_or_b64 exec, exec, s[10:11]
.LBB847_562:
	s_or_b64 exec, exec, s[8:9]
.LBB847_563:
	s_or_b64 exec, exec, s[2:3]
	s_mov_b32 s2, 0xffffff
	v_cmp_lt_u32_e32 vcc, s2, v12
	s_and_saveexec_b64 s[2:3], vcc
	s_cbranch_execz .LBB847_569
; %bb.564:
	v_lshrrev_b32_e32 v10, 24, v12
	s_movk_i32 s7, 0x80
	v_cmp_ne_u32_e32 vcc, s7, v10
	v_mov_b32_e32 v19, 0xffff8000
	s_and_saveexec_b64 s[8:9], vcc
	s_cbranch_execz .LBB847_568
; %bb.565:
	v_bfe_u32 v12, v12, 24, 7
	s_movk_i32 s7, 0x7f
	v_cmp_ne_u32_e32 vcc, s7, v12
	v_mov_b32_e32 v19, 0x7f80
	s_and_saveexec_b64 s[10:11], vcc
	s_cbranch_execz .LBB847_567
; %bb.566:
	v_and_b32_e32 v19, 7, v10
	v_ffbh_u32_e32 v23, v19
	v_min_u32_e32 v23, 32, v23
	v_subrev_u32_e32 v24, 28, v23
	v_lshlrev_b64 v[24:25], v24, v[10:11]
	v_lshrrev_b32_e32 v21, 3, v12
	v_sub_u32_e32 v23, 29, v23
	v_and_b32_e32 v24, 7, v24
	v_cmp_gt_u32_e32 vcc, 8, v12
	v_cndmask_b32_e32 v12, v21, v23, vcc
	v_cndmask_b32_e32 v19, v19, v24, vcc
	v_lshlrev_b32_e32 v10, 24, v10
	v_bfrev_b32_e32 v21, 60
	v_lshlrev_b32_e32 v19, 20, v19
	v_and_b32_e32 v10, 0x80000000, v10
	v_lshl_add_u32 v12, v12, 23, v21
	v_or3_b32 v10, v10, v12, v19
	v_lshrrev_b32_e32 v19, 16, v10
.LBB847_567:
	s_or_b64 exec, exec, s[10:11]
.LBB847_568:
	s_or_b64 exec, exec, s[8:9]
.LBB847_569:
	s_or_b64 exec, exec, s[2:3]
	v_mov_b32_e32 v12, 0
	v_cmp_ne_u16_sdwa s[8:9], v13, v12 src0_sel:BYTE_0 src1_sel:DWORD
	v_mov_b32_e32 v21, 0
	s_and_saveexec_b64 s[2:3], s[8:9]
	s_cbranch_execz .LBB847_575
; %bb.570:
	s_movk_i32 s7, 0x80
	v_cmp_ne_u16_sdwa s[10:11], v13, s7 src0_sel:BYTE_0 src1_sel:DWORD
	v_mov_b32_e32 v21, 0xffff8000
	s_and_saveexec_b64 s[8:9], s[10:11]
	s_cbranch_execz .LBB847_574
; %bb.571:
	s_movk_i32 s7, 0x7f
	v_and_b32_e32 v10, 0x7f, v13
	v_cmp_ne_u32_e32 vcc, s7, v10
	v_mov_b32_e32 v21, 0x7f80
	s_and_saveexec_b64 s[10:11], vcc
	s_cbranch_execz .LBB847_573
; %bb.572:
	v_and_b32_e32 v21, 7, v13
	v_ffbh_u32_e32 v25, v21
	v_min_u32_e32 v27, 32, v25
	v_mov_b32_e32 v24, v13
	v_subrev_u32_e32 v25, 28, v27
	v_lshlrev_b64 v[24:25], v25, v[24:25]
	v_lshrrev_b32_e32 v23, 3, v10
	v_sub_u32_e32 v25, 29, v27
	v_and_b32_e32 v24, 7, v24
	v_cmp_gt_u32_e32 vcc, 8, v10
	v_cndmask_b32_e32 v10, v23, v25, vcc
	v_cndmask_b32_e32 v21, v21, v24, vcc
	v_lshlrev_b32_e32 v23, 24, v13
	v_bfrev_b32_e32 v24, 60
	v_lshlrev_b32_e32 v21, 20, v21
	v_and_b32_e32 v23, 0x80000000, v23
	v_lshl_add_u32 v10, v10, 23, v24
	v_or3_b32 v10, v23, v10, v21
	v_lshrrev_b32_e32 v21, 16, v10
.LBB847_573:
	s_or_b64 exec, exec, s[10:11]
.LBB847_574:
	s_or_b64 exec, exec, s[8:9]
.LBB847_575:
	s_or_b64 exec, exec, s[2:3]
	v_lshrrev_b16_e32 v10, 8, v13
	v_cmp_ne_u16_e32 vcc, 0, v10
	s_and_saveexec_b64 s[2:3], vcc
	s_cbranch_execz .LBB847_581
; %bb.576:
	s_movk_i32 s7, 0x80
	v_cmp_ne_u16_e32 vcc, s7, v10
	v_mov_b32_e32 v12, 0xffff8000
	s_and_saveexec_b64 s[8:9], vcc
	s_cbranch_execz .LBB847_580
; %bb.577:
	s_movk_i32 s7, 0x7f
	v_and_b32_e32 v23, 0x7f, v10
	v_cmp_ne_u32_e32 vcc, s7, v23
	v_mov_b32_e32 v12, 0x7f80
	s_and_saveexec_b64 s[10:11], vcc
	s_cbranch_execz .LBB847_579
; %bb.578:
	v_and_b32_e32 v12, 7, v10
	v_ffbh_u32_e32 v24, v12
	v_min_u32_e32 v28, 32, v24
	v_subrev_u32_e32 v24, 28, v28
	v_lshlrev_b64 v[24:25], v24, v[10:11]
	v_lshrrev_b32_e32 v27, 3, v23
	v_sub_u32_e32 v10, 29, v28
	v_and_b32_e32 v24, 7, v24
	v_cmp_gt_u32_e32 vcc, 8, v23
	v_cndmask_b32_e32 v10, v27, v10, vcc
	v_cndmask_b32_e32 v12, v12, v24, vcc
	v_lshlrev_b32_e32 v23, 16, v13
	v_bfrev_b32_e32 v24, 60
	v_lshlrev_b32_e32 v12, 20, v12
	v_and_b32_e32 v23, 0x80000000, v23
	v_lshl_add_u32 v10, v10, 23, v24
	v_or3_b32 v10, v23, v10, v12
	v_lshrrev_b32_e32 v12, 16, v10
.LBB847_579:
	s_or_b64 exec, exec, s[10:11]
.LBB847_580:
	s_or_b64 exec, exec, s[8:9]
.LBB847_581:
	s_or_b64 exec, exec, s[2:3]
	s_movk_i32 s2, 0xff
	v_and_b32_sdwa v25, v13, s2 dst_sel:DWORD dst_unused:UNUSED_PAD src0_sel:WORD_1 src1_sel:DWORD
	v_lshrrev_b32_e32 v10, 16, v13
	v_cmp_ne_u16_e32 vcc, 0, v25
	v_mov_b32_e32 v23, 0
	v_mov_b32_e32 v24, 0
	s_and_saveexec_b64 s[2:3], vcc
	s_cbranch_execz .LBB847_587
; %bb.582:
	s_movk_i32 s7, 0x80
	v_cmp_ne_u16_e32 vcc, s7, v25
	v_mov_b32_e32 v24, 0xffff8000
	s_and_saveexec_b64 s[8:9], vcc
	s_cbranch_execz .LBB847_586
; %bb.583:
	v_bfe_u32 v25, v13, 16, 7
	s_movk_i32 s7, 0x7f
	v_cmp_ne_u32_e32 vcc, s7, v25
	v_mov_b32_e32 v24, 0x7f80
	s_and_saveexec_b64 s[10:11], vcc
	s_cbranch_execz .LBB847_585
; %bb.584:
	v_and_b32_e32 v24, 7, v10
	v_ffbh_u32_e32 v28, v24
	v_min_u32_e32 v30, 32, v28
	v_subrev_u32_e32 v28, 28, v30
	v_lshlrev_b64 v[28:29], v28, v[10:11]
	v_lshrrev_b32_e32 v27, 3, v25
	v_sub_u32_e32 v10, 29, v30
	v_and_b32_e32 v28, 7, v28
	v_cmp_gt_u32_e32 vcc, 8, v25
	v_mov_b32_e32 v25, 24
	v_cndmask_b32_e32 v10, v27, v10, vcc
	v_cndmask_b32_e32 v24, v24, v28, vcc
	v_lshlrev_b32_sdwa v25, v25, v13 dst_sel:DWORD dst_unused:UNUSED_PAD src0_sel:DWORD src1_sel:WORD_1
	v_bfrev_b32_e32 v27, 60
	v_lshlrev_b32_e32 v24, 20, v24
	v_and_b32_e32 v25, 0x80000000, v25
	v_lshl_add_u32 v10, v10, 23, v27
	v_or3_b32 v10, v25, v10, v24
	v_lshrrev_b32_e32 v24, 16, v10
.LBB847_585:
	s_or_b64 exec, exec, s[10:11]
.LBB847_586:
	s_or_b64 exec, exec, s[8:9]
.LBB847_587:
	s_or_b64 exec, exec, s[2:3]
	s_mov_b32 s2, 0xffffff
	v_cmp_lt_u32_e32 vcc, s2, v13
	s_and_saveexec_b64 s[2:3], vcc
	s_cbranch_execz .LBB847_593
; %bb.588:
	v_lshrrev_b32_e32 v10, 24, v13
	s_movk_i32 s7, 0x80
	v_cmp_ne_u32_e32 vcc, s7, v10
	v_mov_b32_e32 v23, 0xffff8000
	s_and_saveexec_b64 s[8:9], vcc
	s_cbranch_execz .LBB847_592
; %bb.589:
	v_bfe_u32 v13, v13, 24, 7
	s_movk_i32 s7, 0x7f
	v_cmp_ne_u32_e32 vcc, s7, v13
	v_mov_b32_e32 v23, 0x7f80
	s_and_saveexec_b64 s[10:11], vcc
	s_cbranch_execz .LBB847_591
; %bb.590:
	v_and_b32_e32 v23, 7, v10
	v_ffbh_u32_e32 v27, v23
	v_min_u32_e32 v27, 32, v27
	v_subrev_u32_e32 v28, 28, v27
	v_lshlrev_b64 v[28:29], v28, v[10:11]
	v_lshrrev_b32_e32 v25, 3, v13
	v_sub_u32_e32 v27, 29, v27
	v_and_b32_e32 v28, 7, v28
	v_cmp_gt_u32_e32 vcc, 8, v13
	v_cndmask_b32_e32 v13, v25, v27, vcc
	v_cndmask_b32_e32 v23, v23, v28, vcc
	v_lshlrev_b32_e32 v10, 24, v10
	v_bfrev_b32_e32 v25, 60
	v_lshlrev_b32_e32 v23, 20, v23
	v_and_b32_e32 v10, 0x80000000, v10
	v_lshl_add_u32 v13, v13, 23, v25
	v_or3_b32 v10, v10, v13, v23
	v_lshrrev_b32_e32 v23, 16, v10
.LBB847_591:
	s_or_b64 exec, exec, s[10:11]
.LBB847_592:
	s_or_b64 exec, exec, s[8:9]
.LBB847_593:
	s_or_b64 exec, exec, s[2:3]
	s_mov_b32 s2, 0x5040100
	v_perm_b32 v19, v19, v20, s2
	v_perm_b32 v18, v11, v18, s2
	ds_read_b128 v[28:31], v22 offset:2064
	v_perm_b32 v11, v23, v24, s2
	v_perm_b32 v10, v12, v21, s2
	s_waitcnt lgkmcnt(0)
	v_mfma_f32_16x16x16bf16_1k v[32:35], v[18:19], v[28:29], v[14:17]
	s_nop 6
	v_mov_b32_e32 v15, 0
	s_waitcnt vmcnt(1)
	v_cmp_ne_u16_sdwa s[8:9], v6, v15 src0_sel:BYTE_0 src1_sel:DWORD
	v_mfma_f32_16x16x16bf16_1k v[10:13], v[10:11], v[30:31], v[32:35]
	v_mov_b32_e32 v16, 0
	s_and_saveexec_b64 s[2:3], s[8:9]
	s_cbranch_execz .LBB847_599
; %bb.594:
	s_movk_i32 s7, 0x80
	v_cmp_ne_u16_sdwa s[10:11], v6, s7 src0_sel:BYTE_0 src1_sel:DWORD
	v_mov_b32_e32 v16, 0xffff8000
	s_and_saveexec_b64 s[8:9], s[10:11]
	s_cbranch_execz .LBB847_598
; %bb.595:
	s_movk_i32 s7, 0x7f
	v_and_b32_e32 v14, 0x7f, v6
	v_cmp_ne_u32_e32 vcc, s7, v14
	v_mov_b32_e32 v16, 0x7f80
	s_and_saveexec_b64 s[10:11], vcc
	s_cbranch_execz .LBB847_597
; %bb.596:
	v_and_b32_e32 v18, 7, v6
	v_ffbh_u32_e32 v16, v18
	v_min_u32_e32 v20, 32, v16
	v_subrev_u32_e32 v16, 28, v20
	v_lshlrev_b64 v[16:17], v16, v[6:7]
	v_lshrrev_b32_e32 v19, 3, v14
	v_sub_u32_e32 v17, 29, v20
	v_and_b32_e32 v16, 7, v16
	v_cmp_gt_u32_e32 vcc, 8, v14
	v_cndmask_b32_e32 v14, v19, v17, vcc
	v_cndmask_b32_e32 v16, v18, v16, vcc
	v_lshlrev_b32_e32 v17, 24, v6
	v_bfrev_b32_e32 v18, 60
	v_lshlrev_b32_e32 v16, 20, v16
	v_and_b32_e32 v17, 0x80000000, v17
	v_lshl_add_u32 v14, v14, 23, v18
	v_or3_b32 v14, v17, v14, v16
	v_lshrrev_b32_e32 v16, 16, v14
.LBB847_597:
	s_or_b64 exec, exec, s[10:11]
.LBB847_598:
	s_or_b64 exec, exec, s[8:9]
.LBB847_599:
	s_or_b64 exec, exec, s[2:3]
	v_lshrrev_b16_e32 v14, 8, v6
	v_cmp_ne_u16_e32 vcc, 0, v14
	s_and_saveexec_b64 s[2:3], vcc
	s_cbranch_execz .LBB847_605
; %bb.600:
	s_movk_i32 s7, 0x80
	v_cmp_ne_u16_e32 vcc, s7, v14
	v_mov_b32_e32 v15, 0xffff8000
	s_and_saveexec_b64 s[8:9], vcc
	s_cbranch_execz .LBB847_604
; %bb.601:
	s_movk_i32 s7, 0x7f
	v_and_b32_e32 v17, 0x7f, v14
	v_cmp_ne_u32_e32 vcc, s7, v17
	v_mov_b32_e32 v15, 0x7f80
	s_and_saveexec_b64 s[10:11], vcc
	s_cbranch_execz .LBB847_603
; %bb.602:
	v_and_b32_e32 v18, 7, v14
	v_ffbh_u32_e32 v15, v18
	v_min_u32_e32 v20, 32, v15
	v_subrev_u32_e32 v15, 28, v20
	v_lshlrev_b64 v[14:15], v15, v[14:15]
	v_lshrrev_b32_e32 v19, 3, v17
	v_sub_u32_e32 v15, 29, v20
	v_and_b32_e32 v14, 7, v14
	v_cmp_gt_u32_e32 vcc, 8, v17
	v_cndmask_b32_e32 v15, v19, v15, vcc
	v_cndmask_b32_e32 v14, v18, v14, vcc
	v_lshlrev_b32_e32 v17, 16, v6
	v_bfrev_b32_e32 v18, 60
	v_lshlrev_b32_e32 v14, 20, v14
	v_and_b32_e32 v17, 0x80000000, v17
	v_lshl_add_u32 v15, v15, 23, v18
	v_or3_b32 v14, v17, v15, v14
	v_lshrrev_b32_e32 v15, 16, v14
.LBB847_603:
	s_or_b64 exec, exec, s[10:11]
.LBB847_604:
	s_or_b64 exec, exec, s[8:9]
.LBB847_605:
	s_or_b64 exec, exec, s[2:3]
	s_movk_i32 s2, 0xff
	v_and_b32_sdwa v19, v6, s2 dst_sel:DWORD dst_unused:UNUSED_PAD src0_sel:WORD_1 src1_sel:DWORD
	v_lshrrev_b32_e32 v14, 16, v6
	v_cmp_ne_u16_e32 vcc, 0, v19
	v_mov_b32_e32 v17, 0
	v_mov_b32_e32 v18, 0
	s_and_saveexec_b64 s[2:3], vcc
	s_cbranch_execz .LBB847_611
; %bb.606:
	s_movk_i32 s7, 0x80
	v_cmp_ne_u16_e32 vcc, s7, v19
	v_mov_b32_e32 v18, 0xffff8000
	s_and_saveexec_b64 s[8:9], vcc
	s_cbranch_execz .LBB847_610
; %bb.607:
	v_bfe_u32 v19, v6, 16, 7
	s_movk_i32 s7, 0x7f
	v_cmp_ne_u32_e32 vcc, s7, v19
	v_mov_b32_e32 v18, 0x7f80
	s_and_saveexec_b64 s[10:11], vcc
	s_cbranch_execz .LBB847_609
; %bb.608:
	v_and_b32_e32 v18, 7, v14
	v_ffbh_u32_e32 v20, v18
	v_min_u32_e32 v24, 32, v20
	v_subrev_u32_e32 v20, 28, v24
	v_lshlrev_b64 v[20:21], v20, v[14:15]
	v_lshrrev_b32_e32 v23, 3, v19
	v_sub_u32_e32 v14, 29, v24
	v_and_b32_e32 v20, 7, v20
	v_cmp_gt_u32_e32 vcc, 8, v19
	v_mov_b32_e32 v19, 24
	v_cndmask_b32_e32 v14, v23, v14, vcc
	v_cndmask_b32_e32 v18, v18, v20, vcc
	v_lshlrev_b32_sdwa v19, v19, v6 dst_sel:DWORD dst_unused:UNUSED_PAD src0_sel:DWORD src1_sel:WORD_1
	v_bfrev_b32_e32 v20, 60
	v_lshlrev_b32_e32 v18, 20, v18
	v_and_b32_e32 v19, 0x80000000, v19
	v_lshl_add_u32 v14, v14, 23, v20
	v_or3_b32 v14, v19, v14, v18
	v_lshrrev_b32_e32 v18, 16, v14
.LBB847_609:
	s_or_b64 exec, exec, s[10:11]
.LBB847_610:
	s_or_b64 exec, exec, s[8:9]
.LBB847_611:
	s_or_b64 exec, exec, s[2:3]
	s_mov_b32 s2, 0xffffff
	v_cmp_lt_u32_e32 vcc, s2, v6
	s_and_saveexec_b64 s[2:3], vcc
	s_cbranch_execz .LBB847_617
; %bb.612:
	v_lshrrev_b32_e32 v14, 24, v6
	s_movk_i32 s7, 0x80
	v_cmp_ne_u32_e32 vcc, s7, v14
	v_mov_b32_e32 v17, 0xffff8000
	s_and_saveexec_b64 s[8:9], vcc
	s_cbranch_execz .LBB847_616
; %bb.613:
	v_bfe_u32 v6, v6, 24, 7
	s_movk_i32 s7, 0x7f
	v_cmp_ne_u32_e32 vcc, s7, v6
	v_mov_b32_e32 v17, 0x7f80
	s_and_saveexec_b64 s[10:11], vcc
	s_cbranch_execz .LBB847_615
; %bb.614:
	v_and_b32_e32 v17, 7, v14
	v_ffbh_u32_e32 v20, v17
	v_min_u32_e32 v23, 32, v20
	v_subrev_u32_e32 v20, 28, v23
	v_lshlrev_b64 v[20:21], v20, v[14:15]
	v_lshrrev_b32_e32 v19, 3, v6
	v_sub_u32_e32 v21, 29, v23
	v_and_b32_e32 v20, 7, v20
	v_cmp_gt_u32_e32 vcc, 8, v6
	v_cndmask_b32_e32 v6, v19, v21, vcc
	v_cndmask_b32_e32 v17, v17, v20, vcc
	v_lshlrev_b32_e32 v14, 24, v14
	v_bfrev_b32_e32 v19, 60
	v_lshlrev_b32_e32 v17, 20, v17
	v_and_b32_e32 v14, 0x80000000, v14
	v_lshl_add_u32 v6, v6, 23, v19
	v_or3_b32 v6, v14, v6, v17
	v_lshrrev_b32_e32 v17, 16, v6
.LBB847_615:
	s_or_b64 exec, exec, s[10:11]
.LBB847_616:
	s_or_b64 exec, exec, s[8:9]
.LBB847_617:
	s_or_b64 exec, exec, s[2:3]
	v_mov_b32_e32 v14, 0
	v_cmp_ne_u16_sdwa s[8:9], v7, v14 src0_sel:BYTE_0 src1_sel:DWORD
	v_mov_b32_e32 v19, 0
	s_and_saveexec_b64 s[2:3], s[8:9]
	s_cbranch_execz .LBB847_623
; %bb.618:
	s_movk_i32 s7, 0x80
	v_cmp_ne_u16_sdwa s[10:11], v7, s7 src0_sel:BYTE_0 src1_sel:DWORD
	v_mov_b32_e32 v19, 0xffff8000
	s_and_saveexec_b64 s[8:9], s[10:11]
	s_cbranch_execz .LBB847_622
; %bb.619:
	s_movk_i32 s7, 0x7f
	v_and_b32_e32 v6, 0x7f, v7
	v_cmp_ne_u32_e32 vcc, s7, v6
	v_mov_b32_e32 v19, 0x7f80
	s_and_saveexec_b64 s[10:11], vcc
	s_cbranch_execz .LBB847_621
; %bb.620:
	v_and_b32_e32 v19, 7, v7
	v_ffbh_u32_e32 v21, v19
	v_min_u32_e32 v24, 32, v21
	v_mov_b32_e32 v20, v7
	v_subrev_u32_e32 v21, 28, v24
	v_lshlrev_b64 v[20:21], v21, v[20:21]
	v_lshrrev_b32_e32 v23, 3, v6
	v_sub_u32_e32 v21, 29, v24
	v_and_b32_e32 v20, 7, v20
	v_cmp_gt_u32_e32 vcc, 8, v6
	v_cndmask_b32_e32 v6, v23, v21, vcc
	v_cndmask_b32_e32 v19, v19, v20, vcc
	v_lshlrev_b32_e32 v20, 24, v7
	v_bfrev_b32_e32 v21, 60
	v_lshlrev_b32_e32 v19, 20, v19
	v_and_b32_e32 v20, 0x80000000, v20
	v_lshl_add_u32 v6, v6, 23, v21
	v_or3_b32 v6, v20, v6, v19
	v_lshrrev_b32_e32 v19, 16, v6
.LBB847_621:
	s_or_b64 exec, exec, s[10:11]
.LBB847_622:
	s_or_b64 exec, exec, s[8:9]
.LBB847_623:
	s_or_b64 exec, exec, s[2:3]
	v_lshrrev_b16_e32 v6, 8, v7
	v_cmp_ne_u16_e32 vcc, 0, v6
	s_and_saveexec_b64 s[2:3], vcc
	s_cbranch_execz .LBB847_629
; %bb.624:
	s_movk_i32 s7, 0x80
	v_cmp_ne_u16_e32 vcc, s7, v6
	v_mov_b32_e32 v14, 0xffff8000
	s_and_saveexec_b64 s[8:9], vcc
	s_cbranch_execz .LBB847_628
; %bb.625:
	s_movk_i32 s7, 0x7f
	v_and_b32_e32 v20, 0x7f, v6
	v_cmp_ne_u32_e32 vcc, s7, v20
	v_mov_b32_e32 v14, 0x7f80
	s_and_saveexec_b64 s[10:11], vcc
	s_cbranch_execz .LBB847_627
; %bb.626:
	v_and_b32_e32 v14, 7, v6
	v_ffbh_u32_e32 v23, v14
	v_min_u32_e32 v23, 32, v23
	v_subrev_u32_e32 v24, 28, v23
	v_lshlrev_b64 v[24:25], v24, v[6:7]
	v_lshrrev_b32_e32 v21, 3, v20
	v_sub_u32_e32 v6, 29, v23
	v_and_b32_e32 v23, 7, v24
	v_cmp_gt_u32_e32 vcc, 8, v20
	v_cndmask_b32_e32 v6, v21, v6, vcc
	v_cndmask_b32_e32 v14, v14, v23, vcc
	v_lshlrev_b32_e32 v20, 16, v7
	v_bfrev_b32_e32 v21, 60
	v_lshlrev_b32_e32 v14, 20, v14
	v_and_b32_e32 v20, 0x80000000, v20
	v_lshl_add_u32 v6, v6, 23, v21
	v_or3_b32 v6, v20, v6, v14
	v_lshrrev_b32_e32 v14, 16, v6
.LBB847_627:
	s_or_b64 exec, exec, s[10:11]
.LBB847_628:
	s_or_b64 exec, exec, s[8:9]
.LBB847_629:
	s_or_b64 exec, exec, s[2:3]
	s_movk_i32 s2, 0xff
	v_and_b32_sdwa v23, v7, s2 dst_sel:DWORD dst_unused:UNUSED_PAD src0_sel:WORD_1 src1_sel:DWORD
	v_lshrrev_b32_e32 v6, 16, v7
	v_cmp_ne_u16_e32 vcc, 0, v23
	v_mov_b32_e32 v20, 0
	v_mov_b32_e32 v21, 0
	s_and_saveexec_b64 s[2:3], vcc
	s_cbranch_execz .LBB847_635
; %bb.630:
	s_movk_i32 s7, 0x80
	v_cmp_ne_u16_e32 vcc, s7, v23
	v_mov_b32_e32 v21, 0xffff8000
	s_and_saveexec_b64 s[8:9], vcc
	s_cbranch_execz .LBB847_634
; %bb.631:
	v_bfe_u32 v23, v7, 16, 7
	s_movk_i32 s7, 0x7f
	v_cmp_ne_u32_e32 vcc, s7, v23
	v_mov_b32_e32 v21, 0x7f80
	s_and_saveexec_b64 s[10:11], vcc
	s_cbranch_execz .LBB847_633
; %bb.632:
	v_and_b32_e32 v21, 7, v6
	v_ffbh_u32_e32 v24, v21
	v_min_u32_e32 v28, 32, v24
	v_subrev_u32_e32 v24, 28, v28
	v_lshlrev_b64 v[24:25], v24, v[6:7]
	v_lshrrev_b32_e32 v27, 3, v23
	v_sub_u32_e32 v6, 29, v28
	v_and_b32_e32 v24, 7, v24
	v_cmp_gt_u32_e32 vcc, 8, v23
	v_mov_b32_e32 v23, 24
	v_cndmask_b32_e32 v6, v27, v6, vcc
	v_cndmask_b32_e32 v21, v21, v24, vcc
	v_lshlrev_b32_sdwa v23, v23, v7 dst_sel:DWORD dst_unused:UNUSED_PAD src0_sel:DWORD src1_sel:WORD_1
	v_bfrev_b32_e32 v24, 60
	v_lshlrev_b32_e32 v21, 20, v21
	v_and_b32_e32 v23, 0x80000000, v23
	v_lshl_add_u32 v6, v6, 23, v24
	v_or3_b32 v6, v23, v6, v21
	v_lshrrev_b32_e32 v21, 16, v6
.LBB847_633:
	s_or_b64 exec, exec, s[10:11]
.LBB847_634:
	s_or_b64 exec, exec, s[8:9]
.LBB847_635:
	s_or_b64 exec, exec, s[2:3]
	s_mov_b32 s2, 0xffffff
	v_cmp_lt_u32_e32 vcc, s2, v7
	s_and_saveexec_b64 s[2:3], vcc
	s_cbranch_execz .LBB847_641
; %bb.636:
	v_lshrrev_b32_e32 v6, 24, v7
	s_movk_i32 s7, 0x80
	v_cmp_ne_u32_e32 vcc, s7, v6
	v_mov_b32_e32 v20, 0xffff8000
	s_and_saveexec_b64 s[8:9], vcc
	s_cbranch_execz .LBB847_640
; %bb.637:
	v_bfe_u32 v7, v7, 24, 7
	s_movk_i32 s7, 0x7f
	v_cmp_ne_u32_e32 vcc, s7, v7
	v_mov_b32_e32 v20, 0x7f80
	s_and_saveexec_b64 s[10:11], vcc
	s_cbranch_execz .LBB847_639
; %bb.638:
	v_and_b32_e32 v20, 7, v6
	v_ffbh_u32_e32 v24, v20
	v_min_u32_e32 v27, 32, v24
	v_subrev_u32_e32 v24, 28, v27
	v_lshlrev_b64 v[24:25], v24, v[6:7]
	v_lshrrev_b32_e32 v23, 3, v7
	v_sub_u32_e32 v25, 29, v27
	v_and_b32_e32 v24, 7, v24
	v_cmp_gt_u32_e32 vcc, 8, v7
	v_cndmask_b32_e32 v7, v23, v25, vcc
	v_cndmask_b32_e32 v20, v20, v24, vcc
	v_lshlrev_b32_e32 v6, 24, v6
	v_bfrev_b32_e32 v23, 60
	v_lshlrev_b32_e32 v20, 20, v20
	v_and_b32_e32 v6, 0x80000000, v6
	v_lshl_add_u32 v7, v7, 23, v23
	v_or3_b32 v6, v6, v7, v20
	v_lshrrev_b32_e32 v20, 16, v6
.LBB847_639:
	s_or_b64 exec, exec, s[10:11]
.LBB847_640:
	s_or_b64 exec, exec, s[8:9]
.LBB847_641:
	s_or_b64 exec, exec, s[2:3]
	s_mov_b32 s2, 0x5040100
	v_perm_b32 v7, v17, v18, s2
	v_perm_b32 v6, v15, v16, s2
	ds_read_b128 v[28:31], v22 offset:4096
	v_perm_b32 v17, v20, v21, s2
	v_perm_b32 v16, v14, v19, s2
	s_waitcnt lgkmcnt(0)
	v_mfma_f32_16x16x16bf16_1k v[10:13], v[6:7], v[28:29], v[10:13]
	v_mov_b32_e32 v7, 0
	v_cmp_ne_u16_sdwa s[8:9], v8, v7 src0_sel:BYTE_0 src1_sel:DWORD
	v_mov_b32_e32 v14, 0
	v_mfma_f32_16x16x16bf16_1k v[10:13], v[16:17], v[30:31], v[10:13]
	s_and_saveexec_b64 s[2:3], s[8:9]
	s_cbranch_execz .LBB847_647
; %bb.642:
	s_movk_i32 s7, 0x80
	v_cmp_ne_u16_sdwa s[10:11], v8, s7 src0_sel:BYTE_0 src1_sel:DWORD
	v_mov_b32_e32 v14, 0xffff8000
	s_and_saveexec_b64 s[8:9], s[10:11]
	s_cbranch_execz .LBB847_646
; %bb.643:
	s_movk_i32 s7, 0x7f
	v_and_b32_e32 v6, 0x7f, v8
	v_cmp_ne_u32_e32 vcc, s7, v6
	v_mov_b32_e32 v14, 0x7f80
	s_and_saveexec_b64 s[10:11], vcc
	s_cbranch_execz .LBB847_645
; %bb.644:
	v_and_b32_e32 v16, 7, v8
	v_ffbh_u32_e32 v14, v16
	v_min_u32_e32 v18, 32, v14
	v_subrev_u32_e32 v14, 28, v18
	v_lshlrev_b64 v[14:15], v14, v[8:9]
	v_lshrrev_b32_e32 v17, 3, v6
	v_sub_u32_e32 v15, 29, v18
	v_and_b32_e32 v14, 7, v14
	v_cmp_gt_u32_e32 vcc, 8, v6
	v_cndmask_b32_e32 v6, v17, v15, vcc
	v_cndmask_b32_e32 v14, v16, v14, vcc
	v_lshlrev_b32_e32 v15, 24, v8
	v_bfrev_b32_e32 v16, 60
	v_lshlrev_b32_e32 v14, 20, v14
	v_and_b32_e32 v15, 0x80000000, v15
	v_lshl_add_u32 v6, v6, 23, v16
	v_or3_b32 v6, v15, v6, v14
	v_lshrrev_b32_e32 v14, 16, v6
.LBB847_645:
	s_or_b64 exec, exec, s[10:11]
.LBB847_646:
	s_or_b64 exec, exec, s[8:9]
.LBB847_647:
	s_or_b64 exec, exec, s[2:3]
	v_lshrrev_b16_e32 v6, 8, v8
	v_cmp_ne_u16_e32 vcc, 0, v6
	s_and_saveexec_b64 s[2:3], vcc
	s_cbranch_execz .LBB847_653
; %bb.648:
	s_movk_i32 s7, 0x80
	v_cmp_ne_u16_e32 vcc, s7, v6
	v_mov_b32_e32 v7, 0xffff8000
	s_and_saveexec_b64 s[8:9], vcc
	s_cbranch_execz .LBB847_652
; %bb.649:
	s_movk_i32 s7, 0x7f
	v_and_b32_e32 v15, 0x7f, v6
	v_cmp_ne_u32_e32 vcc, s7, v15
	v_mov_b32_e32 v7, 0x7f80
	s_and_saveexec_b64 s[10:11], vcc
	s_cbranch_execz .LBB847_651
; %bb.650:
	v_and_b32_e32 v16, 7, v6
	v_ffbh_u32_e32 v7, v16
	v_min_u32_e32 v18, 32, v7
	v_subrev_u32_e32 v7, 28, v18
	v_lshlrev_b64 v[6:7], v7, v[6:7]
	v_lshrrev_b32_e32 v17, 3, v15
	v_sub_u32_e32 v7, 29, v18
	v_and_b32_e32 v6, 7, v6
	v_cmp_gt_u32_e32 vcc, 8, v15
	v_cndmask_b32_e32 v7, v17, v7, vcc
	v_cndmask_b32_e32 v6, v16, v6, vcc
	v_lshlrev_b32_e32 v15, 16, v8
	v_bfrev_b32_e32 v16, 60
	v_lshlrev_b32_e32 v6, 20, v6
	v_and_b32_e32 v15, 0x80000000, v15
	v_lshl_add_u32 v7, v7, 23, v16
	v_or3_b32 v6, v15, v7, v6
	v_lshrrev_b32_e32 v7, 16, v6
.LBB847_651:
	s_or_b64 exec, exec, s[10:11]
.LBB847_652:
	s_or_b64 exec, exec, s[8:9]
.LBB847_653:
	s_or_b64 exec, exec, s[2:3]
	s_movk_i32 s2, 0xff
	v_and_b32_sdwa v17, v8, s2 dst_sel:DWORD dst_unused:UNUSED_PAD src0_sel:WORD_1 src1_sel:DWORD
	v_lshrrev_b32_e32 v6, 16, v8
	v_cmp_ne_u16_e32 vcc, 0, v17
	v_mov_b32_e32 v15, 0
	v_mov_b32_e32 v16, 0
	s_and_saveexec_b64 s[2:3], vcc
	s_cbranch_execz .LBB847_659
; %bb.654:
	s_movk_i32 s7, 0x80
	v_cmp_ne_u16_e32 vcc, s7, v17
	v_mov_b32_e32 v16, 0xffff8000
	s_and_saveexec_b64 s[8:9], vcc
	s_cbranch_execz .LBB847_658
; %bb.655:
	v_bfe_u32 v17, v8, 16, 7
	s_movk_i32 s7, 0x7f
	v_cmp_ne_u32_e32 vcc, s7, v17
	v_mov_b32_e32 v16, 0x7f80
	s_and_saveexec_b64 s[10:11], vcc
	s_cbranch_execz .LBB847_657
; %bb.656:
	v_and_b32_e32 v16, 7, v6
	v_ffbh_u32_e32 v18, v16
	v_min_u32_e32 v21, 32, v18
	v_subrev_u32_e32 v18, 28, v21
	v_lshlrev_b64 v[18:19], v18, v[6:7]
	v_lshrrev_b32_e32 v20, 3, v17
	v_sub_u32_e32 v6, 29, v21
	v_and_b32_e32 v18, 7, v18
	v_cmp_gt_u32_e32 vcc, 8, v17
	v_mov_b32_e32 v17, 24
	v_cndmask_b32_e32 v6, v20, v6, vcc
	v_cndmask_b32_e32 v16, v16, v18, vcc
	v_lshlrev_b32_sdwa v17, v17, v8 dst_sel:DWORD dst_unused:UNUSED_PAD src0_sel:DWORD src1_sel:WORD_1
	v_bfrev_b32_e32 v18, 60
	v_lshlrev_b32_e32 v16, 20, v16
	v_and_b32_e32 v17, 0x80000000, v17
	v_lshl_add_u32 v6, v6, 23, v18
	v_or3_b32 v6, v17, v6, v16
	v_lshrrev_b32_e32 v16, 16, v6
.LBB847_657:
	s_or_b64 exec, exec, s[10:11]
.LBB847_658:
	s_or_b64 exec, exec, s[8:9]
.LBB847_659:
	s_or_b64 exec, exec, s[2:3]
	s_mov_b32 s2, 0xffffff
	v_cmp_lt_u32_e32 vcc, s2, v8
	s_and_saveexec_b64 s[2:3], vcc
	s_cbranch_execz .LBB847_665
; %bb.660:
	v_lshrrev_b32_e32 v6, 24, v8
	s_movk_i32 s7, 0x80
	v_cmp_ne_u32_e32 vcc, s7, v6
	v_mov_b32_e32 v15, 0xffff8000
	s_and_saveexec_b64 s[8:9], vcc
	s_cbranch_execz .LBB847_664
; %bb.661:
	v_bfe_u32 v8, v8, 24, 7
	s_movk_i32 s7, 0x7f
	v_cmp_ne_u32_e32 vcc, s7, v8
	v_mov_b32_e32 v15, 0x7f80
	s_and_saveexec_b64 s[10:11], vcc
	s_cbranch_execz .LBB847_663
; %bb.662:
	v_and_b32_e32 v15, 7, v6
	v_ffbh_u32_e32 v18, v15
	v_min_u32_e32 v20, 32, v18
	v_subrev_u32_e32 v18, 28, v20
	v_lshlrev_b64 v[18:19], v18, v[6:7]
	v_lshrrev_b32_e32 v17, 3, v8
	v_sub_u32_e32 v19, 29, v20
	v_and_b32_e32 v18, 7, v18
	v_cmp_gt_u32_e32 vcc, 8, v8
	v_cndmask_b32_e32 v8, v17, v19, vcc
	v_cndmask_b32_e32 v15, v15, v18, vcc
	v_lshlrev_b32_e32 v6, 24, v6
	v_bfrev_b32_e32 v17, 60
	v_lshlrev_b32_e32 v15, 20, v15
	v_and_b32_e32 v6, 0x80000000, v6
	v_lshl_add_u32 v8, v8, 23, v17
	v_or3_b32 v6, v6, v8, v15
	v_lshrrev_b32_e32 v15, 16, v6
.LBB847_663:
	s_or_b64 exec, exec, s[10:11]
.LBB847_664:
	s_or_b64 exec, exec, s[8:9]
.LBB847_665:
	s_or_b64 exec, exec, s[2:3]
	v_mov_b32_e32 v8, 0
	v_cmp_ne_u16_sdwa s[8:9], v9, v8 src0_sel:BYTE_0 src1_sel:DWORD
	v_mov_b32_e32 v17, 0
	s_and_saveexec_b64 s[2:3], s[8:9]
	s_cbranch_execz .LBB847_671
; %bb.666:
	s_movk_i32 s7, 0x80
	v_cmp_ne_u16_sdwa s[10:11], v9, s7 src0_sel:BYTE_0 src1_sel:DWORD
	v_mov_b32_e32 v17, 0xffff8000
	s_and_saveexec_b64 s[8:9], s[10:11]
	s_cbranch_execz .LBB847_670
; %bb.667:
	s_movk_i32 s7, 0x7f
	v_and_b32_e32 v6, 0x7f, v9
	v_cmp_ne_u32_e32 vcc, s7, v6
	v_mov_b32_e32 v17, 0x7f80
	s_and_saveexec_b64 s[10:11], vcc
	s_cbranch_execz .LBB847_669
; %bb.668:
	v_and_b32_e32 v17, 7, v9
	v_ffbh_u32_e32 v19, v17
	v_min_u32_e32 v21, 32, v19
	v_mov_b32_e32 v18, v9
	v_subrev_u32_e32 v19, 28, v21
	v_lshlrev_b64 v[18:19], v19, v[18:19]
	v_lshrrev_b32_e32 v20, 3, v6
	v_sub_u32_e32 v19, 29, v21
	v_and_b32_e32 v18, 7, v18
	v_cmp_gt_u32_e32 vcc, 8, v6
	v_cndmask_b32_e32 v6, v20, v19, vcc
	v_cndmask_b32_e32 v17, v17, v18, vcc
	v_lshlrev_b32_e32 v18, 24, v9
	v_bfrev_b32_e32 v19, 60
	v_lshlrev_b32_e32 v17, 20, v17
	v_and_b32_e32 v18, 0x80000000, v18
	v_lshl_add_u32 v6, v6, 23, v19
	v_or3_b32 v6, v18, v6, v17
	v_lshrrev_b32_e32 v17, 16, v6
.LBB847_669:
	s_or_b64 exec, exec, s[10:11]
.LBB847_670:
	s_or_b64 exec, exec, s[8:9]
.LBB847_671:
	s_or_b64 exec, exec, s[2:3]
	v_lshrrev_b16_e32 v6, 8, v9
	v_cmp_ne_u16_e32 vcc, 0, v6
	s_and_saveexec_b64 s[2:3], vcc
	s_cbranch_execz .LBB847_677
; %bb.672:
	s_movk_i32 s7, 0x80
	v_cmp_ne_u16_e32 vcc, s7, v6
	v_mov_b32_e32 v8, 0xffff8000
	s_and_saveexec_b64 s[8:9], vcc
	s_cbranch_execz .LBB847_676
; %bb.673:
	s_movk_i32 s7, 0x7f
	v_and_b32_e32 v18, 0x7f, v6
	v_cmp_ne_u32_e32 vcc, s7, v18
	v_mov_b32_e32 v8, 0x7f80
	s_and_saveexec_b64 s[10:11], vcc
	s_cbranch_execz .LBB847_675
; %bb.674:
	v_and_b32_e32 v8, 7, v6
	v_ffbh_u32_e32 v20, v8
	v_min_u32_e32 v23, 32, v20
	v_subrev_u32_e32 v20, 28, v23
	v_lshlrev_b64 v[20:21], v20, v[6:7]
	v_lshrrev_b32_e32 v19, 3, v18
	v_sub_u32_e32 v6, 29, v23
	v_and_b32_e32 v20, 7, v20
	v_cmp_gt_u32_e32 vcc, 8, v18
	v_cndmask_b32_e32 v6, v19, v6, vcc
	v_cndmask_b32_e32 v8, v8, v20, vcc
	v_lshlrev_b32_e32 v18, 16, v9
	v_bfrev_b32_e32 v19, 60
	v_lshlrev_b32_e32 v8, 20, v8
	v_and_b32_e32 v18, 0x80000000, v18
	v_lshl_add_u32 v6, v6, 23, v19
	v_or3_b32 v6, v18, v6, v8
	v_lshrrev_b32_e32 v8, 16, v6
.LBB847_675:
	s_or_b64 exec, exec, s[10:11]
.LBB847_676:
	s_or_b64 exec, exec, s[8:9]
.LBB847_677:
	s_or_b64 exec, exec, s[2:3]
	s_movk_i32 s2, 0xff
	v_and_b32_sdwa v20, v9, s2 dst_sel:DWORD dst_unused:UNUSED_PAD src0_sel:WORD_1 src1_sel:DWORD
	v_lshrrev_b32_e32 v6, 16, v9
	v_cmp_ne_u16_e32 vcc, 0, v20
	v_mov_b32_e32 v18, 0
	v_mov_b32_e32 v19, 0
	s_and_saveexec_b64 s[2:3], vcc
	s_cbranch_execz .LBB847_683
; %bb.678:
	s_movk_i32 s7, 0x80
	v_cmp_ne_u16_e32 vcc, s7, v20
	v_mov_b32_e32 v19, 0xffff8000
	s_and_saveexec_b64 s[8:9], vcc
	s_cbranch_execz .LBB847_682
; %bb.679:
	v_bfe_u32 v20, v9, 16, 7
	s_movk_i32 s7, 0x7f
	v_cmp_ne_u32_e32 vcc, s7, v20
	v_mov_b32_e32 v19, 0x7f80
	s_and_saveexec_b64 s[10:11], vcc
	s_cbranch_execz .LBB847_681
; %bb.680:
	v_and_b32_e32 v19, 7, v6
	v_ffbh_u32_e32 v23, v19
	v_min_u32_e32 v23, 32, v23
	v_subrev_u32_e32 v24, 28, v23
	v_lshlrev_b64 v[24:25], v24, v[6:7]
	v_lshrrev_b32_e32 v21, 3, v20
	v_sub_u32_e32 v6, 29, v23
	v_and_b32_e32 v23, 7, v24
	v_cmp_gt_u32_e32 vcc, 8, v20
	v_mov_b32_e32 v20, 24
	v_cndmask_b32_e32 v6, v21, v6, vcc
	v_cndmask_b32_e32 v19, v19, v23, vcc
	v_lshlrev_b32_sdwa v20, v20, v9 dst_sel:DWORD dst_unused:UNUSED_PAD src0_sel:DWORD src1_sel:WORD_1
	v_bfrev_b32_e32 v21, 60
	v_lshlrev_b32_e32 v19, 20, v19
	v_and_b32_e32 v20, 0x80000000, v20
	v_lshl_add_u32 v6, v6, 23, v21
	v_or3_b32 v6, v20, v6, v19
	v_lshrrev_b32_e32 v19, 16, v6
.LBB847_681:
	s_or_b64 exec, exec, s[10:11]
.LBB847_682:
	s_or_b64 exec, exec, s[8:9]
.LBB847_683:
	s_or_b64 exec, exec, s[2:3]
	s_mov_b32 s2, 0xffffff
	v_cmp_lt_u32_e32 vcc, s2, v9
	s_and_saveexec_b64 s[2:3], vcc
	s_cbranch_execz .LBB847_689
; %bb.684:
	v_lshrrev_b32_e32 v6, 24, v9
	s_movk_i32 s7, 0x80
	v_cmp_ne_u32_e32 vcc, s7, v6
	v_mov_b32_e32 v18, 0xffff8000
	s_and_saveexec_b64 s[8:9], vcc
	s_cbranch_execz .LBB847_688
; %bb.685:
	v_bfe_u32 v9, v9, 24, 7
	s_movk_i32 s7, 0x7f
	v_cmp_ne_u32_e32 vcc, s7, v9
	v_mov_b32_e32 v18, 0x7f80
	s_and_saveexec_b64 s[10:11], vcc
	s_cbranch_execz .LBB847_687
; %bb.686:
	v_and_b32_e32 v18, 7, v6
	v_ffbh_u32_e32 v20, v18
	v_min_u32_e32 v24, 32, v20
	v_subrev_u32_e32 v20, 28, v24
	v_lshlrev_b64 v[20:21], v20, v[6:7]
	v_lshrrev_b32_e32 v23, 3, v9
	v_sub_u32_e32 v21, 29, v24
	v_and_b32_e32 v20, 7, v20
	v_cmp_gt_u32_e32 vcc, 8, v9
	v_cndmask_b32_e32 v9, v23, v21, vcc
	v_cndmask_b32_e32 v18, v18, v20, vcc
	v_lshlrev_b32_e32 v6, 24, v6
	v_bfrev_b32_e32 v20, 60
	v_lshlrev_b32_e32 v18, 20, v18
	v_and_b32_e32 v6, 0x80000000, v6
	v_lshl_add_u32 v9, v9, 23, v20
	v_or3_b32 v6, v6, v9, v18
	v_lshrrev_b32_e32 v18, 16, v6
.LBB847_687:
	s_or_b64 exec, exec, s[10:11]
.LBB847_688:
	s_or_b64 exec, exec, s[8:9]
.LBB847_689:
	s_or_b64 exec, exec, s[2:3]
	s_mov_b32 s2, 0x5040100
	v_perm_b32 v15, v15, v16, s2
	v_perm_b32 v14, v7, v14, s2
	ds_read_b128 v[28:31], v22 offset:4112
	v_perm_b32 v7, v18, v19, s2
	v_perm_b32 v6, v8, v17, s2
	s_waitcnt lgkmcnt(0)
	v_mfma_f32_16x16x16bf16_1k v[32:35], v[14:15], v[28:29], v[10:13]
	s_nop 6
	v_mov_b32_e32 v11, 0
	s_waitcnt vmcnt(0)
	v_cmp_ne_u16_sdwa s[8:9], v2, v11 src0_sel:BYTE_0 src1_sel:DWORD
	v_mfma_f32_16x16x16bf16_1k v[6:9], v[6:7], v[30:31], v[32:35]
	v_mov_b32_e32 v12, 0
	s_and_saveexec_b64 s[2:3], s[8:9]
	s_cbranch_execz .LBB847_695
; %bb.690:
	s_movk_i32 s7, 0x80
	v_cmp_ne_u16_sdwa s[10:11], v2, s7 src0_sel:BYTE_0 src1_sel:DWORD
	v_mov_b32_e32 v12, 0xffff8000
	s_and_saveexec_b64 s[8:9], s[10:11]
	s_cbranch_execz .LBB847_694
; %bb.691:
	s_movk_i32 s7, 0x7f
	v_and_b32_e32 v10, 0x7f, v2
	v_cmp_ne_u32_e32 vcc, s7, v10
	v_mov_b32_e32 v12, 0x7f80
	s_and_saveexec_b64 s[10:11], vcc
	s_cbranch_execz .LBB847_693
; %bb.692:
	v_and_b32_e32 v14, 7, v2
	v_ffbh_u32_e32 v12, v14
	v_min_u32_e32 v16, 32, v12
	v_subrev_u32_e32 v12, 28, v16
	v_lshlrev_b64 v[12:13], v12, v[2:3]
	v_lshrrev_b32_e32 v15, 3, v10
	v_sub_u32_e32 v13, 29, v16
	v_and_b32_e32 v12, 7, v12
	v_cmp_gt_u32_e32 vcc, 8, v10
	v_cndmask_b32_e32 v10, v15, v13, vcc
	v_cndmask_b32_e32 v12, v14, v12, vcc
	v_lshlrev_b32_e32 v13, 24, v2
	v_bfrev_b32_e32 v14, 60
	v_lshlrev_b32_e32 v12, 20, v12
	v_and_b32_e32 v13, 0x80000000, v13
	v_lshl_add_u32 v10, v10, 23, v14
	v_or3_b32 v10, v13, v10, v12
	v_lshrrev_b32_e32 v12, 16, v10
.LBB847_693:
	s_or_b64 exec, exec, s[10:11]
.LBB847_694:
	s_or_b64 exec, exec, s[8:9]
.LBB847_695:
	s_or_b64 exec, exec, s[2:3]
	v_lshrrev_b16_e32 v10, 8, v2
	v_cmp_ne_u16_e32 vcc, 0, v10
	s_and_saveexec_b64 s[2:3], vcc
	s_cbranch_execz .LBB847_701
; %bb.696:
	s_movk_i32 s7, 0x80
	v_cmp_ne_u16_e32 vcc, s7, v10
	v_mov_b32_e32 v11, 0xffff8000
	s_and_saveexec_b64 s[8:9], vcc
	s_cbranch_execz .LBB847_700
; %bb.697:
	s_movk_i32 s7, 0x7f
	v_and_b32_e32 v13, 0x7f, v10
	v_cmp_ne_u32_e32 vcc, s7, v13
	v_mov_b32_e32 v11, 0x7f80
	s_and_saveexec_b64 s[10:11], vcc
	s_cbranch_execz .LBB847_699
; %bb.698:
	v_and_b32_e32 v14, 7, v10
	v_ffbh_u32_e32 v11, v14
	v_min_u32_e32 v16, 32, v11
	v_subrev_u32_e32 v11, 28, v16
	v_lshlrev_b64 v[10:11], v11, v[10:11]
	v_lshrrev_b32_e32 v15, 3, v13
	v_sub_u32_e32 v11, 29, v16
	v_and_b32_e32 v10, 7, v10
	v_cmp_gt_u32_e32 vcc, 8, v13
	v_cndmask_b32_e32 v11, v15, v11, vcc
	v_cndmask_b32_e32 v10, v14, v10, vcc
	v_lshlrev_b32_e32 v13, 16, v2
	v_bfrev_b32_e32 v14, 60
	v_lshlrev_b32_e32 v10, 20, v10
	v_and_b32_e32 v13, 0x80000000, v13
	v_lshl_add_u32 v11, v11, 23, v14
	v_or3_b32 v10, v13, v11, v10
	v_lshrrev_b32_e32 v11, 16, v10
.LBB847_699:
	s_or_b64 exec, exec, s[10:11]
.LBB847_700:
	s_or_b64 exec, exec, s[8:9]
.LBB847_701:
	s_or_b64 exec, exec, s[2:3]
	s_movk_i32 s2, 0xff
	v_and_b32_sdwa v15, v2, s2 dst_sel:DWORD dst_unused:UNUSED_PAD src0_sel:WORD_1 src1_sel:DWORD
	v_lshrrev_b32_e32 v10, 16, v2
	v_cmp_ne_u16_e32 vcc, 0, v15
	v_mov_b32_e32 v13, 0
	v_mov_b32_e32 v14, 0
	s_and_saveexec_b64 s[2:3], vcc
	s_cbranch_execz .LBB847_707
; %bb.702:
	s_movk_i32 s7, 0x80
	v_cmp_ne_u16_e32 vcc, s7, v15
	v_mov_b32_e32 v14, 0xffff8000
	s_and_saveexec_b64 s[8:9], vcc
	s_cbranch_execz .LBB847_706
; %bb.703:
	v_bfe_u32 v15, v2, 16, 7
	s_movk_i32 s7, 0x7f
	v_cmp_ne_u32_e32 vcc, s7, v15
	v_mov_b32_e32 v14, 0x7f80
	s_and_saveexec_b64 s[10:11], vcc
	s_cbranch_execz .LBB847_705
; %bb.704:
	v_and_b32_e32 v14, 7, v10
	v_ffbh_u32_e32 v16, v14
	v_min_u32_e32 v19, 32, v16
	v_subrev_u32_e32 v16, 28, v19
	v_lshlrev_b64 v[16:17], v16, v[10:11]
	v_lshrrev_b32_e32 v18, 3, v15
	v_sub_u32_e32 v10, 29, v19
	v_and_b32_e32 v16, 7, v16
	v_cmp_gt_u32_e32 vcc, 8, v15
	v_mov_b32_e32 v15, 24
	v_cndmask_b32_e32 v10, v18, v10, vcc
	v_cndmask_b32_e32 v14, v14, v16, vcc
	v_lshlrev_b32_sdwa v15, v15, v2 dst_sel:DWORD dst_unused:UNUSED_PAD src0_sel:DWORD src1_sel:WORD_1
	v_bfrev_b32_e32 v16, 60
	v_lshlrev_b32_e32 v14, 20, v14
	v_and_b32_e32 v15, 0x80000000, v15
	v_lshl_add_u32 v10, v10, 23, v16
	v_or3_b32 v10, v15, v10, v14
	v_lshrrev_b32_e32 v14, 16, v10
.LBB847_705:
	s_or_b64 exec, exec, s[10:11]
.LBB847_706:
	s_or_b64 exec, exec, s[8:9]
.LBB847_707:
	s_or_b64 exec, exec, s[2:3]
	s_mov_b32 s2, 0xffffff
	v_cmp_lt_u32_e32 vcc, s2, v2
	s_and_saveexec_b64 s[2:3], vcc
	s_cbranch_execz .LBB847_713
; %bb.708:
	v_lshrrev_b32_e32 v10, 24, v2
	s_movk_i32 s7, 0x80
	v_cmp_ne_u32_e32 vcc, s7, v10
	v_mov_b32_e32 v13, 0xffff8000
	s_and_saveexec_b64 s[8:9], vcc
	s_cbranch_execz .LBB847_712
; %bb.709:
	v_bfe_u32 v2, v2, 24, 7
	s_movk_i32 s7, 0x7f
	v_cmp_ne_u32_e32 vcc, s7, v2
	v_mov_b32_e32 v13, 0x7f80
	s_and_saveexec_b64 s[10:11], vcc
	s_cbranch_execz .LBB847_711
; %bb.710:
	v_and_b32_e32 v13, 7, v10
	v_ffbh_u32_e32 v16, v13
	v_min_u32_e32 v18, 32, v16
	v_subrev_u32_e32 v16, 28, v18
	v_lshlrev_b64 v[16:17], v16, v[10:11]
	v_lshrrev_b32_e32 v15, 3, v2
	v_sub_u32_e32 v17, 29, v18
	v_and_b32_e32 v16, 7, v16
	v_cmp_gt_u32_e32 vcc, 8, v2
	v_cndmask_b32_e32 v2, v15, v17, vcc
	v_cndmask_b32_e32 v13, v13, v16, vcc
	v_lshlrev_b32_e32 v10, 24, v10
	v_bfrev_b32_e32 v15, 60
	v_lshlrev_b32_e32 v13, 20, v13
	v_and_b32_e32 v10, 0x80000000, v10
	v_lshl_add_u32 v2, v2, 23, v15
	v_or3_b32 v2, v10, v2, v13
	v_lshrrev_b32_e32 v13, 16, v2
.LBB847_711:
	s_or_b64 exec, exec, s[10:11]
.LBB847_712:
	s_or_b64 exec, exec, s[8:9]
.LBB847_713:
	s_or_b64 exec, exec, s[2:3]
	v_mov_b32_e32 v10, 0
	v_cmp_ne_u16_sdwa s[8:9], v3, v10 src0_sel:BYTE_0 src1_sel:DWORD
	v_mov_b32_e32 v15, 0
	s_and_saveexec_b64 s[2:3], s[8:9]
	s_cbranch_execz .LBB847_719
; %bb.714:
	s_movk_i32 s7, 0x80
	v_cmp_ne_u16_sdwa s[10:11], v3, s7 src0_sel:BYTE_0 src1_sel:DWORD
	v_mov_b32_e32 v15, 0xffff8000
	s_and_saveexec_b64 s[8:9], s[10:11]
	s_cbranch_execz .LBB847_718
; %bb.715:
	s_movk_i32 s7, 0x7f
	v_and_b32_e32 v2, 0x7f, v3
	v_cmp_ne_u32_e32 vcc, s7, v2
	v_mov_b32_e32 v15, 0x7f80
	s_and_saveexec_b64 s[10:11], vcc
	s_cbranch_execz .LBB847_717
; %bb.716:
	v_and_b32_e32 v15, 7, v3
	v_ffbh_u32_e32 v17, v15
	v_min_u32_e32 v19, 32, v17
	v_mov_b32_e32 v16, v3
	v_subrev_u32_e32 v17, 28, v19
	v_lshlrev_b64 v[16:17], v17, v[16:17]
	v_lshrrev_b32_e32 v18, 3, v2
	v_sub_u32_e32 v17, 29, v19
	v_and_b32_e32 v16, 7, v16
	v_cmp_gt_u32_e32 vcc, 8, v2
	v_cndmask_b32_e32 v2, v18, v17, vcc
	v_cndmask_b32_e32 v15, v15, v16, vcc
	v_lshlrev_b32_e32 v16, 24, v3
	v_bfrev_b32_e32 v17, 60
	v_lshlrev_b32_e32 v15, 20, v15
	v_and_b32_e32 v16, 0x80000000, v16
	v_lshl_add_u32 v2, v2, 23, v17
	v_or3_b32 v2, v16, v2, v15
	v_lshrrev_b32_e32 v15, 16, v2
.LBB847_717:
	s_or_b64 exec, exec, s[10:11]
.LBB847_718:
	s_or_b64 exec, exec, s[8:9]
.LBB847_719:
	s_or_b64 exec, exec, s[2:3]
	v_lshrrev_b16_e32 v2, 8, v3
	v_cmp_ne_u16_e32 vcc, 0, v2
	s_and_saveexec_b64 s[2:3], vcc
	s_cbranch_execz .LBB847_725
; %bb.720:
	s_movk_i32 s7, 0x80
	v_cmp_ne_u16_e32 vcc, s7, v2
	v_mov_b32_e32 v10, 0xffff8000
	s_and_saveexec_b64 s[8:9], vcc
	s_cbranch_execz .LBB847_724
; %bb.721:
	s_movk_i32 s7, 0x7f
	v_and_b32_e32 v16, 0x7f, v2
	v_cmp_ne_u32_e32 vcc, s7, v16
	v_mov_b32_e32 v10, 0x7f80
	s_and_saveexec_b64 s[10:11], vcc
	s_cbranch_execz .LBB847_723
; %bb.722:
	v_and_b32_e32 v10, 7, v2
	v_ffbh_u32_e32 v18, v10
	v_min_u32_e32 v20, 32, v18
	v_subrev_u32_e32 v18, 28, v20
	v_lshlrev_b64 v[18:19], v18, v[2:3]
	v_lshrrev_b32_e32 v17, 3, v16
	v_sub_u32_e32 v2, 29, v20
	v_and_b32_e32 v18, 7, v18
	v_cmp_gt_u32_e32 vcc, 8, v16
	v_cndmask_b32_e32 v2, v17, v2, vcc
	v_cndmask_b32_e32 v10, v10, v18, vcc
	v_lshlrev_b32_e32 v16, 16, v3
	v_bfrev_b32_e32 v17, 60
	v_lshlrev_b32_e32 v10, 20, v10
	v_and_b32_e32 v16, 0x80000000, v16
	v_lshl_add_u32 v2, v2, 23, v17
	v_or3_b32 v2, v16, v2, v10
	v_lshrrev_b32_e32 v10, 16, v2
.LBB847_723:
	s_or_b64 exec, exec, s[10:11]
.LBB847_724:
	s_or_b64 exec, exec, s[8:9]
.LBB847_725:
	s_or_b64 exec, exec, s[2:3]
	s_movk_i32 s2, 0xff
	v_and_b32_sdwa v18, v3, s2 dst_sel:DWORD dst_unused:UNUSED_PAD src0_sel:WORD_1 src1_sel:DWORD
	v_lshrrev_b32_e32 v2, 16, v3
	v_cmp_ne_u16_e32 vcc, 0, v18
	v_mov_b32_e32 v16, 0
	v_mov_b32_e32 v17, 0
	s_and_saveexec_b64 s[2:3], vcc
	s_cbranch_execz .LBB847_731
; %bb.726:
	s_movk_i32 s7, 0x80
	v_cmp_ne_u16_e32 vcc, s7, v18
	v_mov_b32_e32 v17, 0xffff8000
	s_and_saveexec_b64 s[8:9], vcc
	s_cbranch_execz .LBB847_730
; %bb.727:
	v_bfe_u32 v18, v3, 16, 7
	s_movk_i32 s7, 0x7f
	v_cmp_ne_u32_e32 vcc, s7, v18
	v_mov_b32_e32 v17, 0x7f80
	s_and_saveexec_b64 s[10:11], vcc
	s_cbranch_execz .LBB847_729
; %bb.728:
	v_and_b32_e32 v17, 7, v2
	v_ffbh_u32_e32 v20, v17
	v_min_u32_e32 v23, 32, v20
	v_subrev_u32_e32 v20, 28, v23
	v_lshlrev_b64 v[20:21], v20, v[2:3]
	v_lshrrev_b32_e32 v19, 3, v18
	v_sub_u32_e32 v2, 29, v23
	v_and_b32_e32 v20, 7, v20
	v_cmp_gt_u32_e32 vcc, 8, v18
	v_mov_b32_e32 v18, 24
	v_cndmask_b32_e32 v2, v19, v2, vcc
	v_cndmask_b32_e32 v17, v17, v20, vcc
	v_lshlrev_b32_sdwa v18, v18, v3 dst_sel:DWORD dst_unused:UNUSED_PAD src0_sel:DWORD src1_sel:WORD_1
	v_bfrev_b32_e32 v19, 60
	v_lshlrev_b32_e32 v17, 20, v17
	v_and_b32_e32 v18, 0x80000000, v18
	v_lshl_add_u32 v2, v2, 23, v19
	v_or3_b32 v2, v18, v2, v17
	v_lshrrev_b32_e32 v17, 16, v2
.LBB847_729:
	s_or_b64 exec, exec, s[10:11]
.LBB847_730:
	s_or_b64 exec, exec, s[8:9]
.LBB847_731:
	s_or_b64 exec, exec, s[2:3]
	s_mov_b32 s2, 0xffffff
	v_cmp_lt_u32_e32 vcc, s2, v3
	s_and_saveexec_b64 s[2:3], vcc
	s_cbranch_execz .LBB847_737
; %bb.732:
	v_lshrrev_b32_e32 v2, 24, v3
	s_movk_i32 s7, 0x80
	v_cmp_ne_u32_e32 vcc, s7, v2
	v_mov_b32_e32 v16, 0xffff8000
	s_and_saveexec_b64 s[8:9], vcc
	s_cbranch_execz .LBB847_736
; %bb.733:
	v_bfe_u32 v3, v3, 24, 7
	s_movk_i32 s7, 0x7f
	v_cmp_ne_u32_e32 vcc, s7, v3
	v_mov_b32_e32 v16, 0x7f80
	s_and_saveexec_b64 s[10:11], vcc
	s_cbranch_execz .LBB847_735
; %bb.734:
	v_and_b32_e32 v16, 7, v2
	v_ffbh_u32_e32 v18, v16
	v_min_u32_e32 v21, 32, v18
	v_subrev_u32_e32 v18, 28, v21
	v_lshlrev_b64 v[18:19], v18, v[2:3]
	v_lshrrev_b32_e32 v20, 3, v3
	v_sub_u32_e32 v19, 29, v21
	v_and_b32_e32 v18, 7, v18
	v_cmp_gt_u32_e32 vcc, 8, v3
	v_cndmask_b32_e32 v3, v20, v19, vcc
	v_cndmask_b32_e32 v16, v16, v18, vcc
	v_lshlrev_b32_e32 v2, 24, v2
	v_bfrev_b32_e32 v18, 60
	v_lshlrev_b32_e32 v16, 20, v16
	v_and_b32_e32 v2, 0x80000000, v2
	v_lshl_add_u32 v3, v3, 23, v18
	v_or3_b32 v2, v2, v3, v16
	v_lshrrev_b32_e32 v16, 16, v2
.LBB847_735:
	s_or_b64 exec, exec, s[10:11]
.LBB847_736:
	s_or_b64 exec, exec, s[8:9]
.LBB847_737:
	s_or_b64 exec, exec, s[2:3]
	s_mov_b32 s2, 0x5040100
	v_perm_b32 v3, v13, v14, s2
	v_perm_b32 v2, v11, v12, s2
	ds_read_b128 v[18:21], v22 offset:6144
	v_perm_b32 v13, v16, v17, s2
	v_perm_b32 v12, v10, v15, s2
	s_waitcnt lgkmcnt(0)
	v_mfma_f32_16x16x16bf16_1k v[6:9], v[2:3], v[18:19], v[6:9]
	v_mov_b32_e32 v3, 0
	v_cmp_ne_u16_sdwa s[8:9], v4, v3 src0_sel:BYTE_0 src1_sel:DWORD
	v_mov_b32_e32 v10, 0
	v_mfma_f32_16x16x16bf16_1k v[6:9], v[12:13], v[20:21], v[6:9]
	s_and_saveexec_b64 s[2:3], s[8:9]
	s_cbranch_execz .LBB847_743
; %bb.738:
	s_movk_i32 s7, 0x80
	v_cmp_ne_u16_sdwa s[10:11], v4, s7 src0_sel:BYTE_0 src1_sel:DWORD
	v_mov_b32_e32 v10, 0xffff8000
	s_and_saveexec_b64 s[8:9], s[10:11]
	s_cbranch_execz .LBB847_742
; %bb.739:
	s_movk_i32 s7, 0x7f
	v_and_b32_e32 v2, 0x7f, v4
	v_cmp_ne_u32_e32 vcc, s7, v2
	v_mov_b32_e32 v10, 0x7f80
	s_and_saveexec_b64 s[10:11], vcc
	s_cbranch_execz .LBB847_741
; %bb.740:
	v_and_b32_e32 v12, 7, v4
	v_ffbh_u32_e32 v10, v12
	v_min_u32_e32 v14, 32, v10
	v_subrev_u32_e32 v10, 28, v14
	v_lshlrev_b64 v[10:11], v10, v[4:5]
	v_lshrrev_b32_e32 v13, 3, v2
	v_sub_u32_e32 v11, 29, v14
	v_and_b32_e32 v10, 7, v10
	v_cmp_gt_u32_e32 vcc, 8, v2
	v_cndmask_b32_e32 v2, v13, v11, vcc
	v_cndmask_b32_e32 v10, v12, v10, vcc
	v_lshlrev_b32_e32 v11, 24, v4
	v_bfrev_b32_e32 v12, 60
	v_lshlrev_b32_e32 v10, 20, v10
	v_and_b32_e32 v11, 0x80000000, v11
	v_lshl_add_u32 v2, v2, 23, v12
	v_or3_b32 v2, v11, v2, v10
	v_lshrrev_b32_e32 v10, 16, v2
.LBB847_741:
	s_or_b64 exec, exec, s[10:11]
.LBB847_742:
	s_or_b64 exec, exec, s[8:9]
.LBB847_743:
	s_or_b64 exec, exec, s[2:3]
	v_lshrrev_b16_e32 v2, 8, v4
	v_cmp_ne_u16_e32 vcc, 0, v2
	s_and_saveexec_b64 s[2:3], vcc
	s_cbranch_execz .LBB847_749
; %bb.744:
	s_movk_i32 s7, 0x80
	v_cmp_ne_u16_e32 vcc, s7, v2
	v_mov_b32_e32 v3, 0xffff8000
	s_and_saveexec_b64 s[8:9], vcc
	s_cbranch_execz .LBB847_748
; %bb.745:
	s_movk_i32 s7, 0x7f
	v_and_b32_e32 v11, 0x7f, v2
	v_cmp_ne_u32_e32 vcc, s7, v11
	v_mov_b32_e32 v3, 0x7f80
	s_and_saveexec_b64 s[10:11], vcc
	s_cbranch_execz .LBB847_747
; %bb.746:
	v_and_b32_e32 v12, 7, v2
	v_ffbh_u32_e32 v3, v12
	v_min_u32_e32 v14, 32, v3
	v_subrev_u32_e32 v3, 28, v14
	v_lshlrev_b64 v[2:3], v3, v[2:3]
	v_lshrrev_b32_e32 v13, 3, v11
	v_sub_u32_e32 v3, 29, v14
	v_and_b32_e32 v2, 7, v2
	v_cmp_gt_u32_e32 vcc, 8, v11
	v_cndmask_b32_e32 v3, v13, v3, vcc
	v_cndmask_b32_e32 v2, v12, v2, vcc
	v_lshlrev_b32_e32 v11, 16, v4
	v_bfrev_b32_e32 v12, 60
	v_lshlrev_b32_e32 v2, 20, v2
	v_and_b32_e32 v11, 0x80000000, v11
	v_lshl_add_u32 v3, v3, 23, v12
	v_or3_b32 v2, v11, v3, v2
	v_lshrrev_b32_e32 v3, 16, v2
.LBB847_747:
	s_or_b64 exec, exec, s[10:11]
.LBB847_748:
	s_or_b64 exec, exec, s[8:9]
.LBB847_749:
	s_or_b64 exec, exec, s[2:3]
	s_movk_i32 s2, 0xff
	v_and_b32_sdwa v13, v4, s2 dst_sel:DWORD dst_unused:UNUSED_PAD src0_sel:WORD_1 src1_sel:DWORD
	v_lshrrev_b32_e32 v2, 16, v4
	v_cmp_ne_u16_e32 vcc, 0, v13
	v_mov_b32_e32 v11, 0
	v_mov_b32_e32 v12, 0
	s_and_saveexec_b64 s[2:3], vcc
	s_cbranch_execz .LBB847_755
; %bb.750:
	s_movk_i32 s7, 0x80
	v_cmp_ne_u16_e32 vcc, s7, v13
	v_mov_b32_e32 v12, 0xffff8000
	s_and_saveexec_b64 s[8:9], vcc
	s_cbranch_execz .LBB847_754
; %bb.751:
	v_bfe_u32 v13, v4, 16, 7
	s_movk_i32 s7, 0x7f
	v_cmp_ne_u32_e32 vcc, s7, v13
	v_mov_b32_e32 v12, 0x7f80
	s_and_saveexec_b64 s[10:11], vcc
	s_cbranch_execz .LBB847_753
; %bb.752:
	v_and_b32_e32 v12, 7, v2
	v_ffbh_u32_e32 v14, v12
	v_min_u32_e32 v17, 32, v14
	v_subrev_u32_e32 v14, 28, v17
	v_lshlrev_b64 v[14:15], v14, v[2:3]
	v_lshrrev_b32_e32 v16, 3, v13
	v_sub_u32_e32 v2, 29, v17
	v_and_b32_e32 v14, 7, v14
	v_cmp_gt_u32_e32 vcc, 8, v13
	v_mov_b32_e32 v13, 24
	v_cndmask_b32_e32 v2, v16, v2, vcc
	v_cndmask_b32_e32 v12, v12, v14, vcc
	v_lshlrev_b32_sdwa v13, v13, v4 dst_sel:DWORD dst_unused:UNUSED_PAD src0_sel:DWORD src1_sel:WORD_1
	v_bfrev_b32_e32 v14, 60
	v_lshlrev_b32_e32 v12, 20, v12
	v_and_b32_e32 v13, 0x80000000, v13
	v_lshl_add_u32 v2, v2, 23, v14
	v_or3_b32 v2, v13, v2, v12
	v_lshrrev_b32_e32 v12, 16, v2
.LBB847_753:
	s_or_b64 exec, exec, s[10:11]
.LBB847_754:
	s_or_b64 exec, exec, s[8:9]
.LBB847_755:
	s_or_b64 exec, exec, s[2:3]
	s_mov_b32 s2, 0xffffff
	v_cmp_lt_u32_e32 vcc, s2, v4
	s_and_saveexec_b64 s[2:3], vcc
	s_cbranch_execz .LBB847_761
; %bb.756:
	v_lshrrev_b32_e32 v2, 24, v4
	s_movk_i32 s7, 0x80
	v_cmp_ne_u32_e32 vcc, s7, v2
	v_mov_b32_e32 v11, 0xffff8000
	s_and_saveexec_b64 s[8:9], vcc
	s_cbranch_execz .LBB847_760
; %bb.757:
	v_bfe_u32 v4, v4, 24, 7
	s_movk_i32 s7, 0x7f
	v_cmp_ne_u32_e32 vcc, s7, v4
	v_mov_b32_e32 v11, 0x7f80
	s_and_saveexec_b64 s[10:11], vcc
	s_cbranch_execz .LBB847_759
; %bb.758:
	v_and_b32_e32 v11, 7, v2
	v_ffbh_u32_e32 v14, v11
	v_min_u32_e32 v16, 32, v14
	v_subrev_u32_e32 v14, 28, v16
	v_lshlrev_b64 v[14:15], v14, v[2:3]
	v_lshrrev_b32_e32 v13, 3, v4
	v_sub_u32_e32 v15, 29, v16
	v_and_b32_e32 v14, 7, v14
	v_cmp_gt_u32_e32 vcc, 8, v4
	v_cndmask_b32_e32 v4, v13, v15, vcc
	v_cndmask_b32_e32 v11, v11, v14, vcc
	v_lshlrev_b32_e32 v2, 24, v2
	v_bfrev_b32_e32 v13, 60
	v_lshlrev_b32_e32 v11, 20, v11
	v_and_b32_e32 v2, 0x80000000, v2
	v_lshl_add_u32 v4, v4, 23, v13
	v_or3_b32 v2, v2, v4, v11
	v_lshrrev_b32_e32 v11, 16, v2
.LBB847_759:
	s_or_b64 exec, exec, s[10:11]
.LBB847_760:
	s_or_b64 exec, exec, s[8:9]
.LBB847_761:
	s_or_b64 exec, exec, s[2:3]
	v_mov_b32_e32 v4, 0
	v_cmp_ne_u16_sdwa s[8:9], v5, v4 src0_sel:BYTE_0 src1_sel:DWORD
	v_mov_b32_e32 v13, 0
	s_and_saveexec_b64 s[2:3], s[8:9]
	s_cbranch_execz .LBB847_767
; %bb.762:
	s_movk_i32 s7, 0x80
	v_cmp_ne_u16_sdwa s[10:11], v5, s7 src0_sel:BYTE_0 src1_sel:DWORD
	v_mov_b32_e32 v13, 0xffff8000
	s_and_saveexec_b64 s[8:9], s[10:11]
	s_cbranch_execz .LBB847_766
; %bb.763:
	s_movk_i32 s7, 0x7f
	v_and_b32_e32 v2, 0x7f, v5
	v_cmp_ne_u32_e32 vcc, s7, v2
	v_mov_b32_e32 v13, 0x7f80
	s_and_saveexec_b64 s[10:11], vcc
	s_cbranch_execz .LBB847_765
; %bb.764:
	v_and_b32_e32 v13, 7, v5
	v_ffbh_u32_e32 v15, v13
	v_min_u32_e32 v17, 32, v15
	v_mov_b32_e32 v14, v5
	v_subrev_u32_e32 v15, 28, v17
	v_lshlrev_b64 v[14:15], v15, v[14:15]
	v_lshrrev_b32_e32 v16, 3, v2
	v_sub_u32_e32 v15, 29, v17
	v_and_b32_e32 v14, 7, v14
	v_cmp_gt_u32_e32 vcc, 8, v2
	v_cndmask_b32_e32 v2, v16, v15, vcc
	v_cndmask_b32_e32 v13, v13, v14, vcc
	v_lshlrev_b32_e32 v14, 24, v5
	v_bfrev_b32_e32 v15, 60
	v_lshlrev_b32_e32 v13, 20, v13
	v_and_b32_e32 v14, 0x80000000, v14
	v_lshl_add_u32 v2, v2, 23, v15
	v_or3_b32 v2, v14, v2, v13
	v_lshrrev_b32_e32 v13, 16, v2
.LBB847_765:
	s_or_b64 exec, exec, s[10:11]
.LBB847_766:
	s_or_b64 exec, exec, s[8:9]
.LBB847_767:
	s_or_b64 exec, exec, s[2:3]
	v_lshrrev_b16_e32 v2, 8, v5
	v_cmp_ne_u16_e32 vcc, 0, v2
	s_and_saveexec_b64 s[2:3], vcc
	s_cbranch_execz .LBB847_773
; %bb.768:
	s_movk_i32 s7, 0x80
	v_cmp_ne_u16_e32 vcc, s7, v2
	v_mov_b32_e32 v4, 0xffff8000
	s_and_saveexec_b64 s[8:9], vcc
	s_cbranch_execz .LBB847_772
; %bb.769:
	s_movk_i32 s7, 0x7f
	v_and_b32_e32 v14, 0x7f, v2
	v_cmp_ne_u32_e32 vcc, s7, v14
	v_mov_b32_e32 v4, 0x7f80
	s_and_saveexec_b64 s[10:11], vcc
	s_cbranch_execz .LBB847_771
; %bb.770:
	v_and_b32_e32 v4, 7, v2
	v_ffbh_u32_e32 v16, v4
	v_min_u32_e32 v18, 32, v16
	v_subrev_u32_e32 v16, 28, v18
	v_lshlrev_b64 v[16:17], v16, v[2:3]
	v_lshrrev_b32_e32 v15, 3, v14
	v_sub_u32_e32 v2, 29, v18
	v_and_b32_e32 v16, 7, v16
	v_cmp_gt_u32_e32 vcc, 8, v14
	v_cndmask_b32_e32 v2, v15, v2, vcc
	v_cndmask_b32_e32 v4, v4, v16, vcc
	v_lshlrev_b32_e32 v14, 16, v5
	v_bfrev_b32_e32 v15, 60
	v_lshlrev_b32_e32 v4, 20, v4
	v_and_b32_e32 v14, 0x80000000, v14
	v_lshl_add_u32 v2, v2, 23, v15
	v_or3_b32 v2, v14, v2, v4
	v_lshrrev_b32_e32 v4, 16, v2
.LBB847_771:
	s_or_b64 exec, exec, s[10:11]
.LBB847_772:
	s_or_b64 exec, exec, s[8:9]
.LBB847_773:
	s_or_b64 exec, exec, s[2:3]
	s_movk_i32 s2, 0xff
	v_and_b32_sdwa v16, v5, s2 dst_sel:DWORD dst_unused:UNUSED_PAD src0_sel:WORD_1 src1_sel:DWORD
	v_lshrrev_b32_e32 v2, 16, v5
	v_cmp_ne_u16_e32 vcc, 0, v16
	v_mov_b32_e32 v14, 0
	v_mov_b32_e32 v15, 0
	s_and_saveexec_b64 s[2:3], vcc
	s_cbranch_execz .LBB847_779
; %bb.774:
	s_movk_i32 s7, 0x80
	v_cmp_ne_u16_e32 vcc, s7, v16
	v_mov_b32_e32 v15, 0xffff8000
	s_and_saveexec_b64 s[8:9], vcc
	s_cbranch_execz .LBB847_778
; %bb.775:
	v_bfe_u32 v16, v5, 16, 7
	s_movk_i32 s7, 0x7f
	v_cmp_ne_u32_e32 vcc, s7, v16
	v_mov_b32_e32 v15, 0x7f80
	s_and_saveexec_b64 s[10:11], vcc
	s_cbranch_execz .LBB847_777
; %bb.776:
	v_and_b32_e32 v15, 7, v2
	v_ffbh_u32_e32 v18, v15
	v_min_u32_e32 v20, 32, v18
	v_subrev_u32_e32 v18, 28, v20
	v_lshlrev_b64 v[18:19], v18, v[2:3]
	v_lshrrev_b32_e32 v17, 3, v16
	v_sub_u32_e32 v2, 29, v20
	v_and_b32_e32 v18, 7, v18
	v_cmp_gt_u32_e32 vcc, 8, v16
	v_mov_b32_e32 v16, 24
	v_cndmask_b32_e32 v2, v17, v2, vcc
	v_cndmask_b32_e32 v15, v15, v18, vcc
	v_lshlrev_b32_sdwa v16, v16, v5 dst_sel:DWORD dst_unused:UNUSED_PAD src0_sel:DWORD src1_sel:WORD_1
	v_bfrev_b32_e32 v17, 60
	v_lshlrev_b32_e32 v15, 20, v15
	v_and_b32_e32 v16, 0x80000000, v16
	v_lshl_add_u32 v2, v2, 23, v17
	v_or3_b32 v2, v16, v2, v15
	v_lshrrev_b32_e32 v15, 16, v2
.LBB847_777:
	s_or_b64 exec, exec, s[10:11]
.LBB847_778:
	s_or_b64 exec, exec, s[8:9]
.LBB847_779:
	s_or_b64 exec, exec, s[2:3]
	s_mov_b32 s2, 0xffffff
	v_cmp_lt_u32_e32 vcc, s2, v5
	s_and_saveexec_b64 s[2:3], vcc
	s_cbranch_execz .LBB847_785
; %bb.780:
	v_lshrrev_b32_e32 v2, 24, v5
	s_movk_i32 s7, 0x80
	v_cmp_ne_u32_e32 vcc, s7, v2
	v_mov_b32_e32 v14, 0xffff8000
	s_and_saveexec_b64 s[8:9], vcc
	s_cbranch_execz .LBB847_784
; %bb.781:
	v_bfe_u32 v5, v5, 24, 7
	s_movk_i32 s7, 0x7f
	v_cmp_ne_u32_e32 vcc, s7, v5
	v_mov_b32_e32 v14, 0x7f80
	s_and_saveexec_b64 s[10:11], vcc
	s_cbranch_execz .LBB847_783
; %bb.782:
	v_and_b32_e32 v14, 7, v2
	v_ffbh_u32_e32 v16, v14
	v_min_u32_e32 v19, 32, v16
	v_subrev_u32_e32 v16, 28, v19
	v_lshlrev_b64 v[16:17], v16, v[2:3]
	v_lshrrev_b32_e32 v18, 3, v5
	v_sub_u32_e32 v17, 29, v19
	v_and_b32_e32 v16, 7, v16
	v_cmp_gt_u32_e32 vcc, 8, v5
	v_cndmask_b32_e32 v5, v18, v17, vcc
	v_cndmask_b32_e32 v14, v14, v16, vcc
	v_lshlrev_b32_e32 v2, 24, v2
	v_bfrev_b32_e32 v16, 60
	v_lshlrev_b32_e32 v14, 20, v14
	v_and_b32_e32 v2, 0x80000000, v2
	v_lshl_add_u32 v5, v5, 23, v16
	v_or3_b32 v2, v2, v5, v14
	v_lshrrev_b32_e32 v14, 16, v2
.LBB847_783:
	s_or_b64 exec, exec, s[10:11]
.LBB847_784:
	s_or_b64 exec, exec, s[8:9]
.LBB847_785:
	s_or_b64 exec, exec, s[2:3]
	s_mov_b32 s3, 0x5040100
	v_perm_b32 v11, v11, v12, s3
	ds_read_b128 v[16:19], v22 offset:6160
	v_perm_b32 v10, v3, v10, s3
	v_perm_b32 v3, v14, v15, s3
	;; [unrolled: 1-line block ×3, first 2 shown]
	s_waitcnt lgkmcnt(0)
	v_mfma_f32_16x16x16bf16_1k v[6:9], v[10:11], v[16:17], v[6:9]
	s_load_dword s2, s[42:43], 0x0
	s_mov_b32 s3, 0x7060302
	s_movk_i32 s7, 0x7fff
	v_cmp_gt_u32_e32 vcc, 64, v0
	s_waitcnt lgkmcnt(0)
	s_barrier
	v_mfma_f32_16x16x16bf16_1k v[2:5], v[2:3], v[18:19], v[6:9]
	s_nop 7
	s_nop 2
	v_pk_mul_f32 v[4:5], v[4:5], s[2:3] op_sel_hi:[1,0]
	v_pk_mul_f32 v[2:3], v[2:3], s[2:3] op_sel_hi:[1,0]
	v_bfe_u32 v6, v3, 16, 1
	v_bfe_u32 v7, v2, 16, 1
	;; [unrolled: 1-line block ×4, first 2 shown]
	v_add3_u32 v2, v2, v7, s7
	v_add3_u32 v3, v3, v6, s7
	;; [unrolled: 1-line block ×4, first 2 shown]
	v_perm_b32 v2, v3, v2, s3
	v_perm_b32 v3, v5, v4, s3
	v_cmp_gt_u32_e64 s[2:3], 32, v42
	s_and_b64 s[2:3], s[2:3], vcc
	s_and_b64 s[0:1], s[2:3], s[0:1]
	ds_write_b64 v26, v[2:3]
	s_waitcnt lgkmcnt(0)
	s_barrier
	s_and_saveexec_b64 s[2:3], s[0:1]
	s_cbranch_execz .LBB847_787
; %bb.786:
	s_load_dwordx2 s[0:1], s[4:5], 0x68
	s_mul_i32 s2, s12, s6
	s_lshl_b32 s4, s44, 6
	s_mul_hi_u32 s3, s2, s4
	s_mul_i32 s2, s2, s4
	s_lshl_b64 s[2:3], s[2:3], 1
	v_lshlrev_b32_e32 v0, 10, v0
	s_waitcnt lgkmcnt(0)
	s_add_u32 s2, s0, s2
	v_and_b32_e32 v0, 0x1800, v0
	v_lshlrev_b32_e32 v2, 5, v1
	v_and_b32_e32 v3, 16, v47
	s_addc_u32 s3, s1, s3
	s_lshl_b32 s0, s24, 6
	s_mov_b32 s1, 0
	v_or3_b32 v0, v0, v2, v3
	s_lshl_b64 s[0:1], s[0:1], 1
	ds_read_b128 v[2:5], v0
	s_add_u32 s2, s2, s0
	v_or_b32_e32 v0, s25, v1
	s_addc_u32 s3, s3, s1
	v_mad_u64_u32 v[0:1], s[0:1], s4, v0, 0
	v_lshlrev_b64 v[0:1], 1, v[0:1]
	v_mov_b32_e32 v6, s3
	v_add_co_u32_e32 v0, vcc, s2, v0
	v_addc_co_u32_e32 v1, vcc, v6, v1, vcc
	v_add_co_u32_e32 v0, vcc, v0, v46
	v_addc_co_u32_e32 v1, vcc, 0, v1, vcc
	s_waitcnt lgkmcnt(0)
	global_store_dwordx4 v[0:1], v[2:5], off
.LBB847_787:
	s_endpgm
	.section	.rodata,"a",@progbits
	.p2align	6, 0x0
	.amdhsa_kernel _Z39paged_attention_ll4mi_QKV_mfma16_kernelI14__hip_bfloat16hLN4vllm18Fp8KVCacheDataTypeE1ES0_Li16ELi64ELi256ELb1ELi2EL8MFMAType0EEvPKT_PKT0_S9_ifPKiSB_SB_iPKfiiiPfSE_PS4_PT2_iSD_SD_
		.amdhsa_group_segment_fixed_size 8192
		.amdhsa_private_segment_fixed_size 0
		.amdhsa_kernarg_size 400
		.amdhsa_user_sgpr_count 6
		.amdhsa_user_sgpr_private_segment_buffer 1
		.amdhsa_user_sgpr_dispatch_ptr 0
		.amdhsa_user_sgpr_queue_ptr 0
		.amdhsa_user_sgpr_kernarg_segment_ptr 1
		.amdhsa_user_sgpr_dispatch_id 0
		.amdhsa_user_sgpr_flat_scratch_init 0
		.amdhsa_user_sgpr_kernarg_preload_length 0
		.amdhsa_user_sgpr_kernarg_preload_offset 0
		.amdhsa_user_sgpr_private_segment_size 0
		.amdhsa_uses_dynamic_stack 0
		.amdhsa_system_sgpr_private_segment_wavefront_offset 0
		.amdhsa_system_sgpr_workgroup_id_x 1
		.amdhsa_system_sgpr_workgroup_id_y 1
		.amdhsa_system_sgpr_workgroup_id_z 1
		.amdhsa_system_sgpr_workgroup_info 0
		.amdhsa_system_vgpr_workitem_id 0
		.amdhsa_next_free_vgpr 62
		.amdhsa_next_free_sgpr 47
		.amdhsa_accum_offset 64
		.amdhsa_reserve_vcc 1
		.amdhsa_reserve_flat_scratch 0
		.amdhsa_float_round_mode_32 0
		.amdhsa_float_round_mode_16_64 0
		.amdhsa_float_denorm_mode_32 3
		.amdhsa_float_denorm_mode_16_64 3
		.amdhsa_dx10_clamp 1
		.amdhsa_ieee_mode 1
		.amdhsa_fp16_overflow 0
		.amdhsa_tg_split 0
		.amdhsa_exception_fp_ieee_invalid_op 0
		.amdhsa_exception_fp_denorm_src 0
		.amdhsa_exception_fp_ieee_div_zero 0
		.amdhsa_exception_fp_ieee_overflow 0
		.amdhsa_exception_fp_ieee_underflow 0
		.amdhsa_exception_fp_ieee_inexact 0
		.amdhsa_exception_int_div_zero 0
	.end_amdhsa_kernel
	.section	.text._Z39paged_attention_ll4mi_QKV_mfma16_kernelI14__hip_bfloat16hLN4vllm18Fp8KVCacheDataTypeE1ES0_Li16ELi64ELi256ELb1ELi2EL8MFMAType0EEvPKT_PKT0_S9_ifPKiSB_SB_iPKfiiiPfSE_PS4_PT2_iSD_SD_,"axG",@progbits,_Z39paged_attention_ll4mi_QKV_mfma16_kernelI14__hip_bfloat16hLN4vllm18Fp8KVCacheDataTypeE1ES0_Li16ELi64ELi256ELb1ELi2EL8MFMAType0EEvPKT_PKT0_S9_ifPKiSB_SB_iPKfiiiPfSE_PS4_PT2_iSD_SD_,comdat
.Lfunc_end847:
	.size	_Z39paged_attention_ll4mi_QKV_mfma16_kernelI14__hip_bfloat16hLN4vllm18Fp8KVCacheDataTypeE1ES0_Li16ELi64ELi256ELb1ELi2EL8MFMAType0EEvPKT_PKT0_S9_ifPKiSB_SB_iPKfiiiPfSE_PS4_PT2_iSD_SD_, .Lfunc_end847-_Z39paged_attention_ll4mi_QKV_mfma16_kernelI14__hip_bfloat16hLN4vllm18Fp8KVCacheDataTypeE1ES0_Li16ELi64ELi256ELb1ELi2EL8MFMAType0EEvPKT_PKT0_S9_ifPKiSB_SB_iPKfiiiPfSE_PS4_PT2_iSD_SD_
                                        ; -- End function
	.section	.AMDGPU.csdata,"",@progbits
; Kernel info:
; codeLenInByte = 28552
; NumSgprs: 51
; NumVgprs: 62
; NumAgprs: 0
; TotalNumVgprs: 62
; ScratchSize: 0
; MemoryBound: 0
; FloatMode: 240
; IeeeMode: 1
; LDSByteSize: 8192 bytes/workgroup (compile time only)
; SGPRBlocks: 6
; VGPRBlocks: 7
; NumSGPRsForWavesPerEU: 51
; NumVGPRsForWavesPerEU: 62
; AccumOffset: 64
; Occupancy: 8
; WaveLimiterHint : 1
; COMPUTE_PGM_RSRC2:SCRATCH_EN: 0
; COMPUTE_PGM_RSRC2:USER_SGPR: 6
; COMPUTE_PGM_RSRC2:TRAP_HANDLER: 0
; COMPUTE_PGM_RSRC2:TGID_X_EN: 1
; COMPUTE_PGM_RSRC2:TGID_Y_EN: 1
; COMPUTE_PGM_RSRC2:TGID_Z_EN: 1
; COMPUTE_PGM_RSRC2:TIDIG_COMP_CNT: 0
; COMPUTE_PGM_RSRC3_GFX90A:ACCUM_OFFSET: 15
; COMPUTE_PGM_RSRC3_GFX90A:TG_SPLIT: 0
	.section	.text._Z39paged_attention_ll4mi_QKV_mfma16_kernelI14__hip_bfloat16hLN4vllm18Fp8KVCacheDataTypeE1ES0_Li16ELi64ELi256ELb1ELi3EL8MFMAType0EEvPKT_PKT0_S9_ifPKiSB_SB_iPKfiiiPfSE_PS4_PT2_iSD_SD_,"axG",@progbits,_Z39paged_attention_ll4mi_QKV_mfma16_kernelI14__hip_bfloat16hLN4vllm18Fp8KVCacheDataTypeE1ES0_Li16ELi64ELi256ELb1ELi3EL8MFMAType0EEvPKT_PKT0_S9_ifPKiSB_SB_iPKfiiiPfSE_PS4_PT2_iSD_SD_,comdat
	.protected	_Z39paged_attention_ll4mi_QKV_mfma16_kernelI14__hip_bfloat16hLN4vllm18Fp8KVCacheDataTypeE1ES0_Li16ELi64ELi256ELb1ELi3EL8MFMAType0EEvPKT_PKT0_S9_ifPKiSB_SB_iPKfiiiPfSE_PS4_PT2_iSD_SD_ ; -- Begin function _Z39paged_attention_ll4mi_QKV_mfma16_kernelI14__hip_bfloat16hLN4vllm18Fp8KVCacheDataTypeE1ES0_Li16ELi64ELi256ELb1ELi3EL8MFMAType0EEvPKT_PKT0_S9_ifPKiSB_SB_iPKfiiiPfSE_PS4_PT2_iSD_SD_
	.globl	_Z39paged_attention_ll4mi_QKV_mfma16_kernelI14__hip_bfloat16hLN4vllm18Fp8KVCacheDataTypeE1ES0_Li16ELi64ELi256ELb1ELi3EL8MFMAType0EEvPKT_PKT0_S9_ifPKiSB_SB_iPKfiiiPfSE_PS4_PT2_iSD_SD_
	.p2align	8
	.type	_Z39paged_attention_ll4mi_QKV_mfma16_kernelI14__hip_bfloat16hLN4vllm18Fp8KVCacheDataTypeE1ES0_Li16ELi64ELi256ELb1ELi3EL8MFMAType0EEvPKT_PKT0_S9_ifPKiSB_SB_iPKfiiiPfSE_PS4_PT2_iSD_SD_,@function
_Z39paged_attention_ll4mi_QKV_mfma16_kernelI14__hip_bfloat16hLN4vllm18Fp8KVCacheDataTypeE1ES0_Li16ELi64ELi256ELb1ELi3EL8MFMAType0EEvPKT_PKT0_S9_ifPKiSB_SB_iPKfiiiPfSE_PS4_PT2_iSD_SD_: ; @_Z39paged_attention_ll4mi_QKV_mfma16_kernelI14__hip_bfloat16hLN4vllm18Fp8KVCacheDataTypeE1ES0_Li16ELi64ELi256ELb1ELi3EL8MFMAType0EEvPKT_PKT0_S9_ifPKiSB_SB_iPKfiiiPfSE_PS4_PT2_iSD_SD_
; %bb.0:
	s_load_dwordx2 s[0:1], s[4:5], 0x30
	s_mov_b32 s24, s7
	s_mov_b64 s[10:11], 0
	s_waitcnt lgkmcnt(0)
	s_cmp_lg_u64 s[0:1], 0
	s_cselect_b64 s[2:3], -1, 0
	s_and_b64 vcc, exec, s[2:3]
	s_cbranch_vccz .LBB848_7
; %bb.1:
	s_add_i32 s12, s6, 1
	s_mov_b32 s13, 0
	s_lshl_b64 s[14:15], s[12:13], 2
	s_add_u32 s14, s0, s14
	s_mov_b32 s7, s13
	s_addc_u32 s15, s1, s15
	s_lshl_b64 s[12:13], s[6:7], 2
	s_add_u32 s12, s0, s12
	s_addc_u32 s13, s1, s13
	s_load_dword s9, s[14:15], 0x0
	s_load_dword s16, s[12:13], 0x0
	s_waitcnt lgkmcnt(0)
	s_sub_i32 s9, s9, s16
	s_cmp_eq_u32 s9, 1
	s_cselect_b64 s[12:13], -1, 0
	s_andn2_b64 vcc, exec, s[10:11]
	s_cbranch_vccnz .LBB848_3
.LBB848_2:
	s_mov_b32 s7, 0
	s_mov_b64 s[12:13], -1
.LBB848_3:
	s_andn2_b64 vcc, exec, s[12:13]
	s_cbranch_vccnz .LBB848_787
; %bb.4:
	s_load_dwordx2 s[12:13], s[4:5], 0x28
	s_lshl_b64 s[10:11], s[6:7], 2
	s_waitcnt lgkmcnt(0)
	s_add_u32 s12, s12, s10
	s_addc_u32 s13, s13, s11
	s_load_dword s33, s[12:13], 0x0
	s_lshl_b32 s18, s24, 8
	s_waitcnt lgkmcnt(0)
	s_cmp_ge_i32 s18, s33
	s_cbranch_scc1 .LBB848_787
; %bb.5:
	s_add_i32 s14, s33, 15
	s_load_dwordx2 s[12:13], s[4:5], 0x20
	s_load_dword s9, s[4:5], 0x38
	s_ashr_i32 s15, s14, 31
	v_and_b32_e32 v1, 0xcf, v0
	s_lshr_b32 s15, s15, 28
	v_add_u32_e32 v1, s18, v1
	s_add_i32 s14, s14, s15
	v_ashrrev_i32_e32 v2, 31, v1
	s_ashr_i32 s21, s14, 4
	v_lshrrev_b32_e32 v4, 28, v2
	s_add_i32 s21, s21, -1
	v_add_u32_e32 v2, v1, v4
	s_waitcnt lgkmcnt(0)
	s_mul_i32 s14, s6, s9
	s_mov_b32 s15, 0
	v_ashrrev_i32_e32 v2, 4, v2
	v_mov_b32_e32 v5, s21
	v_cmp_gt_i32_e32 vcc, s33, v1
	s_lshl_b64 s[14:15], s[14:15], 2
	v_cndmask_b32_e32 v2, v5, v2, vcc
	s_add_u32 s19, s12, s14
	v_ashrrev_i32_e32 v3, 31, v2
	s_addc_u32 s20, s13, s15
	v_lshlrev_b64 v[2:3], 2, v[2:3]
	v_mov_b32_e32 v7, s20
	v_add_co_u32_e32 v6, vcc, s19, v2
	v_or_b32_e32 v2, 16, v1
	v_addc_co_u32_e32 v7, vcc, v7, v3, vcc
	v_add_u32_e32 v3, v2, v4
	v_ashrrev_i32_e32 v3, 4, v3
	v_cmp_gt_i32_e32 vcc, s33, v2
	v_cndmask_b32_e32 v2, v5, v3, vcc
	v_ashrrev_i32_e32 v3, 31, v2
	v_lshlrev_b64 v[2:3], 2, v[2:3]
	v_mov_b32_e32 v9, s20
	v_add_co_u32_e32 v8, vcc, s19, v2
	v_or_b32_e32 v2, 32, v1
	v_addc_co_u32_e32 v9, vcc, v9, v3, vcc
	v_add_u32_e32 v3, v2, v4
	v_ashrrev_i32_e32 v3, 4, v3
	v_cmp_gt_i32_e32 vcc, s33, v2
	v_cndmask_b32_e32 v2, v5, v3, vcc
	v_ashrrev_i32_e32 v3, 31, v2
	;; [unrolled: 10-line block ×3, first 2 shown]
	v_lshlrev_b64 v[2:3], 2, v[2:3]
	v_mov_b32_e32 v1, s20
	v_add_co_u32_e32 v12, vcc, s19, v2
	v_addc_co_u32_e32 v13, vcc, v1, v3, vcc
	global_load_dword v5, v[6:7], off
	global_load_dword v4, v[8:9], off
	;; [unrolled: 1-line block ×4, first 2 shown]
	s_load_dwordx2 s[16:17], s[4:5], 0x8
	s_andn2_b64 vcc, exec, s[2:3]
	s_cbranch_vccnz .LBB848_8
; %bb.6:
	s_add_u32 s0, s0, s10
	s_addc_u32 s1, s1, s11
	s_load_dword s9, s[0:1], 0x0
	s_branch .LBB848_9
.LBB848_7:
	s_mov_b64 s[12:13], 0
	s_branch .LBB848_2
.LBB848_8:
	s_mov_b32 s9, s6
.LBB848_9:
	s_load_dwordx2 s[2:3], s[4:5], 0x10
	s_load_dwordx4 s[12:15], s[4:5], 0x48
	v_lshrrev_b32_e32 v50, 6, v0
	v_bfe_u32 v47, v0, 4, 2
	v_lshl_or_b32 v6, v50, 2, v47
	v_and_b32_e32 v49, 15, v0
	s_mul_i32 s25, s8, 3
	v_lshlrev_b32_e32 v7, 3, v49
	v_cmp_gt_u32_e32 vcc, 3, v6
	v_cmp_gt_u32_e64 s[0:1], 8, v49
	v_add_u32_e32 v1, s25, v47
	s_and_b64 s[22:23], s[0:1], vcc
	v_lshlrev_b32_e32 v46, 1, v7
	v_lshlrev_b32_e32 v48, 4, v0
	s_and_saveexec_b64 s[10:11], s[22:23]
	s_cbranch_execz .LBB848_11
; %bb.10:
	s_load_dwordx2 s[22:23], s[4:5], 0x0
	s_waitcnt lgkmcnt(0)
	s_ashr_i32 s15, s12, 31
	s_mul_hi_u32 s26, s9, s12
	s_mul_i32 s15, s9, s15
	s_add_i32 s27, s26, s15
	s_mul_i32 s26, s9, s12
	s_lshl_b64 s[26:27], s[26:27], 1
	v_lshlrev_b32_e32 v8, 6, v1
	s_add_u32 s9, s22, s26
	v_ashrrev_i32_e32 v9, 31, v8
	s_addc_u32 s12, s23, s27
	v_lshlrev_b64 v[8:9], 1, v[8:9]
	v_mov_b32_e32 v7, s12
	v_add_co_u32_e32 v8, vcc, s9, v8
	v_addc_co_u32_e32 v7, vcc, v7, v9, vcc
	v_add_co_u32_e32 v8, vcc, v8, v46
	v_addc_co_u32_e32 v9, vcc, 0, v7, vcc
	global_load_dwordx4 v[8:11], v[8:9], off
	v_lshlrev_b32_e32 v12, 8, v49
	v_lshlrev_b32_e32 v6, 5, v6
	v_and_b32_e32 v7, 16, v48
	v_and_b32_e32 v12, 0xe00, v12
	v_or3_b32 v6, v12, v6, v7
	s_waitcnt vmcnt(0)
	ds_write_b128 v6, v[8:11]
.LBB848_11:
	s_or_b64 exec, exec, s[10:11]
	s_waitcnt lgkmcnt(0)
	s_mul_i32 s10, s8, s14
	s_add_u32 s8, s16, s10
	s_addc_u32 s9, s17, 0
	v_and_b32_e32 v7, 0xf0, v48
	v_and_b32_e32 v6, 48, v0
	v_mov_b32_e32 v8, s9
	v_add_co_u32_e32 v7, vcc, s8, v7
	v_addc_co_u32_e32 v9, vcc, 0, v8, vcc
	v_lshlrev_b32_e32 v8, 4, v6
	v_add_co_u32_e32 v8, vcc, v7, v8
	v_addc_co_u32_e32 v9, vcc, 0, v9, vcc
	s_waitcnt vmcnt(3)
	v_mad_i64_i32 v[10:11], s[8:9], v5, s13, v[8:9]
	s_waitcnt vmcnt(2)
	v_mad_i64_i32 v[4:5], s[8:9], v4, s13, v[8:9]
	s_barrier
	global_load_dwordx4 v[34:37], v[10:11], off
	global_load_dwordx4 v[38:41], v[4:5], off
	s_waitcnt vmcnt(3)
	v_mad_i64_i32 v[4:5], s[8:9], v2, s13, v[8:9]
	s_waitcnt vmcnt(2)
	v_mad_i64_i32 v[2:3], s[8:9], v3, s13, v[8:9]
	global_load_dwordx4 v[30:33], v[4:5], off
	global_load_dwordx4 v[22:25], v[2:3], off
	v_mul_lo_u16_e32 v2, 0x56, v49
	v_mov_b32_e32 v3, 3
	v_mul_lo_u16_sdwa v2, v2, v3 dst_sel:DWORD dst_unused:UNUSED_PAD src0_sel:BYTE_1 src1_sel:DWORD
	v_sub_u16_e32 v2, v49, v2
	v_mov_b32_e32 v3, 5
	v_lshlrev_b32_sdwa v2, v3, v2 dst_sel:DWORD dst_unused:UNUSED_PAD src0_sel:DWORD src1_sel:BYTE_0
	v_lshl_add_u32 v2, v47, 9, v2
	ds_read_b128 v[26:29], v2
	ds_read_b128 v[18:21], v2 offset:16
	v_cmp_gt_u32_e32 vcc, 3, v49
	v_mov_b32_e32 v43, 0
	v_mov_b32_e32 v51, 0
	s_and_saveexec_b64 s[8:9], vcc
	s_cbranch_execz .LBB848_13
; %bb.12:
	s_load_dwordx2 s[14:15], s[4:5], 0x40
	v_add_u32_e32 v2, s25, v49
	v_ashrrev_i32_e32 v3, 31, v2
	v_lshlrev_b64 v[2:3], 2, v[2:3]
	s_waitcnt lgkmcnt(0)
	v_mov_b32_e32 v4, s15
	v_add_co_u32_e32 v2, vcc, s14, v2
	v_addc_co_u32_e32 v3, vcc, v4, v3, vcc
	global_load_dword v51, v[2:3], off
.LBB848_13:
	s_or_b64 exec, exec, s[8:9]
	v_or_b32_e32 v8, s18, v6
	v_ashrrev_i32_e32 v2, 4, v8
	v_mov_b32_e32 v9, s21
	v_cmp_gt_i32_e32 vcc, s33, v8
	v_cndmask_b32_e32 v2, v9, v2, vcc
	v_ashrrev_i32_e32 v3, 31, v2
	v_lshlrev_b64 v[2:3], 2, v[2:3]
	v_mov_b32_e32 v4, s20
	v_add_co_u32_e32 v2, vcc, s19, v2
	v_addc_co_u32_e32 v3, vcc, v4, v3, vcc
	v_or_b32_e32 v4, 64, v8
	v_ashrrev_i32_e32 v5, 4, v4
	v_cmp_gt_i32_e32 vcc, s33, v4
	v_cndmask_b32_e32 v4, v9, v5, vcc
	v_ashrrev_i32_e32 v5, 31, v4
	v_lshlrev_b64 v[4:5], 2, v[4:5]
	v_mov_b32_e32 v6, s20
	v_add_co_u32_e32 v4, vcc, s19, v4
	v_addc_co_u32_e32 v5, vcc, v6, v5, vcc
	v_or_b32_e32 v6, 0x80, v8
	v_ashrrev_i32_e32 v7, 4, v6
	v_cmp_gt_i32_e32 vcc, s33, v6
	v_cndmask_b32_e32 v6, v9, v7, vcc
	v_ashrrev_i32_e32 v7, 31, v6
	v_lshlrev_b64 v[6:7], 2, v[6:7]
	v_mov_b32_e32 v10, s20
	v_add_co_u32_e32 v6, vcc, s19, v6
	v_addc_co_u32_e32 v7, vcc, v10, v7, vcc
	global_load_dword v10, v[2:3], off
	global_load_dword v11, v[4:5], off
	;; [unrolled: 1-line block ×3, first 2 shown]
	v_or_b32_e32 v2, 0xc0, v8
	v_ashrrev_i32_e32 v3, 4, v2
	v_cmp_gt_i32_e32 vcc, s33, v2
	v_cndmask_b32_e32 v2, v9, v3, vcc
	v_ashrrev_i32_e32 v3, 31, v2
	v_lshlrev_b64 v[2:3], 2, v[2:3]
	v_mov_b32_e32 v4, s20
	v_add_co_u32_e32 v2, vcc, s19, v2
	v_addc_co_u32_e32 v3, vcc, v4, v3, vcc
	global_load_dword v13, v[2:3], off
	s_add_u32 s2, s2, s10
	v_lshlrev_b32_e32 v2, 4, v49
	s_addc_u32 s3, s3, 0
	v_lshl_or_b32 v2, v50, 8, v2
	v_mov_b32_e32 v3, s3
	v_add_co_u32_e32 v2, vcc, s2, v2
	v_addc_co_u32_e32 v3, vcc, 0, v3, vcc
	s_movk_i32 s8, 0x80
	s_waitcnt vmcnt(7)
	v_cmp_ne_u16_sdwa s[10:11], v34, v43 src0_sel:BYTE_0 src1_sel:DWORD
	s_waitcnt vmcnt(3)
	v_mad_i64_i32 v[4:5], s[2:3], v10, s13, v[2:3]
	s_waitcnt vmcnt(2)
	v_mad_i64_i32 v[6:7], s[2:3], v11, s13, v[2:3]
	;; [unrolled: 2-line block ×4, first 2 shown]
	global_load_dwordx4 v[14:17], v[4:5], off
	global_load_dwordx4 v[10:13], v[6:7], off
	s_nop 0
	global_load_dwordx4 v[6:9], v[8:9], off
	s_nop 0
	global_load_dwordx4 v[2:5], v[2:3], off
	s_load_dwordx4 s[40:43], s[4:5], 0x80
	s_load_dwordx2 s[44:45], s[4:5], 0x94
	s_waitcnt lgkmcnt(0)
	s_load_dword s12, s[40:41], 0x0
	s_and_saveexec_b64 s[2:3], s[10:11]
	s_cbranch_execz .LBB848_19
; %bb.14:
	v_cmp_ne_u16_sdwa s[10:11], v34, s8 src0_sel:BYTE_0 src1_sel:DWORD
	v_mov_b32_e32 v43, 0xffff8000
	s_and_saveexec_b64 s[8:9], s[10:11]
	s_cbranch_execz .LBB848_18
; %bb.15:
	s_movk_i32 s10, 0x7f
	v_and_b32_e32 v42, 0x7f, v34
	v_cmp_ne_u32_e32 vcc, s10, v42
	v_mov_b32_e32 v43, 0x7f80
	s_and_saveexec_b64 s[10:11], vcc
	s_cbranch_execz .LBB848_17
; %bb.16:
	v_and_b32_e32 v43, 7, v34
	v_ffbh_u32_e32 v44, v43
	v_min_u32_e32 v53, 32, v44
	v_subrev_u32_e32 v44, 28, v53
	v_lshlrev_b64 v[44:45], v44, v[34:35]
	v_lshrrev_b32_e32 v52, 3, v42
	v_sub_u32_e32 v45, 29, v53
	v_and_b32_e32 v44, 7, v44
	v_cmp_gt_u32_e32 vcc, 8, v42
	v_cndmask_b32_e32 v42, v52, v45, vcc
	v_cndmask_b32_e32 v43, v43, v44, vcc
	v_lshlrev_b32_e32 v44, 24, v34
	v_bfrev_b32_e32 v45, 60
	v_lshlrev_b32_e32 v43, 20, v43
	v_and_b32_e32 v44, 0x80000000, v44
	v_lshl_add_u32 v42, v42, 23, v45
	v_or3_b32 v42, v44, v42, v43
	v_lshrrev_b32_e32 v43, 16, v42
.LBB848_17:
	s_or_b64 exec, exec, s[10:11]
.LBB848_18:
	s_or_b64 exec, exec, s[8:9]
.LBB848_19:
	s_or_b64 exec, exec, s[2:3]
	v_lshrrev_b16_e32 v42, 8, v34
	v_cmp_ne_u16_e32 vcc, 0, v42
	v_mov_b32_e32 v45, 0
	v_mov_b32_e32 v44, 0
	s_and_saveexec_b64 s[2:3], vcc
	s_cbranch_execz .LBB848_25
; %bb.20:
	s_movk_i32 s8, 0x80
	v_cmp_ne_u16_sdwa s[10:11], v34, s8 src0_sel:BYTE_1 src1_sel:DWORD
	v_mov_b32_e32 v44, 0xffff8000
	s_and_saveexec_b64 s[8:9], s[10:11]
	s_cbranch_execz .LBB848_24
; %bb.21:
	s_movk_i32 s10, 0x7f
	v_and_b32_e32 v52, 0x7f, v42
	v_cmp_ne_u32_e32 vcc, s10, v52
	v_mov_b32_e32 v44, 0x7f80
	s_and_saveexec_b64 s[10:11], vcc
	s_cbranch_execz .LBB848_23
; %bb.22:
	v_and_b32_e32 v44, 7, v42
	v_ffbh_u32_e32 v54, v44
	v_min_u32_e32 v56, 32, v54
	v_subrev_u32_e32 v54, 28, v56
	v_lshlrev_b64 v[54:55], v54, v[42:43]
	v_lshrrev_b32_e32 v53, 3, v52
	v_sub_u32_e32 v42, 29, v56
	v_and_b32_e32 v54, 7, v54
	v_cmp_gt_u32_e32 vcc, 8, v52
	v_cndmask_b32_e32 v42, v53, v42, vcc
	v_cndmask_b32_e32 v44, v44, v54, vcc
	v_lshlrev_b32_e32 v52, 16, v34
	v_bfrev_b32_e32 v53, 60
	v_lshlrev_b32_e32 v44, 20, v44
	v_and_b32_e32 v52, 0x80000000, v52
	v_lshl_add_u32 v42, v42, 23, v53
	v_or3_b32 v42, v52, v42, v44
	v_lshrrev_b32_e32 v44, 16, v42
.LBB848_23:
	s_or_b64 exec, exec, s[10:11]
.LBB848_24:
	s_or_b64 exec, exec, s[8:9]
.LBB848_25:
	s_or_b64 exec, exec, s[2:3]
	s_movk_i32 s2, 0xff
	v_and_b32_sdwa v52, v34, s2 dst_sel:DWORD dst_unused:UNUSED_PAD src0_sel:WORD_1 src1_sel:DWORD
	v_lshrrev_b32_e32 v42, 16, v34
	v_cmp_ne_u16_e32 vcc, 0, v52
	s_and_saveexec_b64 s[2:3], vcc
	s_cbranch_execz .LBB848_31
; %bb.26:
	s_movk_i32 s8, 0x80
	v_cmp_ne_u16_e32 vcc, s8, v52
	v_mov_b32_e32 v45, 0xffff8000
	s_and_saveexec_b64 s[8:9], vcc
	s_cbranch_execz .LBB848_30
; %bb.27:
	v_bfe_u32 v52, v34, 16, 7
	s_movk_i32 s10, 0x7f
	v_cmp_ne_u32_e32 vcc, s10, v52
	v_mov_b32_e32 v45, 0x7f80
	s_and_saveexec_b64 s[10:11], vcc
	s_cbranch_execz .LBB848_29
; %bb.28:
	v_and_b32_e32 v45, 7, v42
	v_ffbh_u32_e32 v54, v45
	v_min_u32_e32 v56, 32, v54
	v_subrev_u32_e32 v54, 28, v56
	v_lshlrev_b64 v[54:55], v54, v[42:43]
	v_lshrrev_b32_e32 v53, 3, v52
	v_sub_u32_e32 v42, 29, v56
	v_and_b32_e32 v54, 7, v54
	v_cmp_gt_u32_e32 vcc, 8, v52
	v_mov_b32_e32 v52, 24
	v_cndmask_b32_e32 v42, v53, v42, vcc
	v_cndmask_b32_e32 v45, v45, v54, vcc
	v_lshlrev_b32_sdwa v52, v52, v34 dst_sel:DWORD dst_unused:UNUSED_PAD src0_sel:DWORD src1_sel:WORD_1
	v_bfrev_b32_e32 v53, 60
	v_lshlrev_b32_e32 v45, 20, v45
	v_and_b32_e32 v52, 0x80000000, v52
	v_lshl_add_u32 v42, v42, 23, v53
	v_or3_b32 v42, v52, v42, v45
	v_lshrrev_b32_e32 v45, 16, v42
.LBB848_29:
	s_or_b64 exec, exec, s[10:11]
.LBB848_30:
	s_or_b64 exec, exec, s[8:9]
.LBB848_31:
	s_or_b64 exec, exec, s[2:3]
	s_mov_b32 s2, 0xffffff
	v_cmp_lt_u32_e32 vcc, s2, v34
	v_mov_b32_e32 v53, 0
	v_mov_b32_e32 v54, 0
	s_and_saveexec_b64 s[2:3], vcc
	s_cbranch_execz .LBB848_37
; %bb.32:
	v_lshrrev_b32_e32 v42, 24, v34
	s_movk_i32 s8, 0x80
	v_cmp_ne_u32_e32 vcc, s8, v42
	v_mov_b32_e32 v54, 0xffff8000
	s_and_saveexec_b64 s[8:9], vcc
	s_cbranch_execz .LBB848_36
; %bb.33:
	v_bfe_u32 v34, v34, 24, 7
	s_movk_i32 s10, 0x7f
	v_cmp_ne_u32_e32 vcc, s10, v34
	v_mov_b32_e32 v54, 0x7f80
	s_and_saveexec_b64 s[10:11], vcc
	s_cbranch_execz .LBB848_35
; %bb.34:
	v_and_b32_e32 v52, 7, v42
	v_ffbh_u32_e32 v54, v52
	v_min_u32_e32 v57, 32, v54
	v_subrev_u32_e32 v54, 28, v57
	v_lshlrev_b64 v[54:55], v54, v[42:43]
	v_lshrrev_b32_e32 v56, 3, v34
	v_sub_u32_e32 v55, 29, v57
	v_and_b32_e32 v54, 7, v54
	v_cmp_gt_u32_e32 vcc, 8, v34
	v_cndmask_b32_e32 v34, v56, v55, vcc
	v_cndmask_b32_e32 v52, v52, v54, vcc
	v_lshlrev_b32_e32 v42, 24, v42
	v_bfrev_b32_e32 v54, 60
	v_lshlrev_b32_e32 v52, 20, v52
	v_and_b32_e32 v42, 0x80000000, v42
	v_lshl_add_u32 v34, v34, 23, v54
	v_or3_b32 v34, v42, v34, v52
	v_lshrrev_b32_e32 v54, 16, v34
.LBB848_35:
	s_or_b64 exec, exec, s[10:11]
.LBB848_36:
	s_or_b64 exec, exec, s[8:9]
.LBB848_37:
	s_or_b64 exec, exec, s[2:3]
	v_cmp_ne_u16_sdwa s[8:9], v35, v53 src0_sel:BYTE_0 src1_sel:DWORD
	s_and_saveexec_b64 s[2:3], s[8:9]
	s_cbranch_execz .LBB848_43
; %bb.38:
	s_movk_i32 s8, 0x80
	v_cmp_ne_u16_sdwa s[10:11], v35, s8 src0_sel:BYTE_0 src1_sel:DWORD
	v_mov_b32_e32 v53, 0xffff8000
	s_and_saveexec_b64 s[8:9], s[10:11]
	s_cbranch_execz .LBB848_42
; %bb.39:
	s_movk_i32 s10, 0x7f
	v_and_b32_e32 v34, 0x7f, v35
	v_cmp_ne_u32_e32 vcc, s10, v34
	v_mov_b32_e32 v53, 0x7f80
	s_and_saveexec_b64 s[10:11], vcc
	s_cbranch_execz .LBB848_41
; %bb.40:
	v_and_b32_e32 v55, 7, v35
	v_ffbh_u32_e32 v52, v55
	v_min_u32_e32 v57, 32, v52
	v_mov_b32_e32 v42, v35
	v_subrev_u32_e32 v52, 28, v57
	v_lshlrev_b64 v[52:53], v52, v[42:43]
	v_lshrrev_b32_e32 v56, 3, v34
	v_sub_u32_e32 v42, 29, v57
	v_and_b32_e32 v52, 7, v52
	v_cmp_gt_u32_e32 vcc, 8, v34
	v_cndmask_b32_e32 v34, v56, v42, vcc
	v_cndmask_b32_e32 v42, v55, v52, vcc
	v_lshlrev_b32_e32 v52, 24, v35
	v_bfrev_b32_e32 v53, 60
	v_lshlrev_b32_e32 v42, 20, v42
	v_and_b32_e32 v52, 0x80000000, v52
	v_lshl_add_u32 v34, v34, 23, v53
	v_or3_b32 v34, v52, v34, v42
	v_lshrrev_b32_e32 v53, 16, v34
.LBB848_41:
	s_or_b64 exec, exec, s[10:11]
.LBB848_42:
	s_or_b64 exec, exec, s[8:9]
.LBB848_43:
	s_or_b64 exec, exec, s[2:3]
	v_lshrrev_b16_e32 v34, 8, v35
	v_cmp_ne_u16_e32 vcc, 0, v34
	v_mov_b32_e32 v55, 0
	v_mov_b32_e32 v42, 0
	s_and_saveexec_b64 s[2:3], vcc
	s_cbranch_execz .LBB848_49
; %bb.44:
	s_movk_i32 s8, 0x80
	v_cmp_ne_u16_e32 vcc, s8, v34
	v_mov_b32_e32 v42, 0xffff8000
	s_and_saveexec_b64 s[8:9], vcc
	s_cbranch_execz .LBB848_48
; %bb.45:
	s_movk_i32 s10, 0x7f
	v_and_b32_e32 v52, 0x7f, v34
	v_cmp_ne_u32_e32 vcc, s10, v52
	v_mov_b32_e32 v42, 0x7f80
	s_and_saveexec_b64 s[10:11], vcc
	s_cbranch_execz .LBB848_47
; %bb.46:
	v_and_b32_e32 v42, 7, v34
	v_ffbh_u32_e32 v56, v42
	v_min_u32_e32 v59, 32, v56
	v_subrev_u32_e32 v56, 28, v59
	v_lshlrev_b64 v[56:57], v56, v[34:35]
	v_lshrrev_b32_e32 v58, 3, v52
	v_sub_u32_e32 v34, 29, v59
	v_and_b32_e32 v56, 7, v56
	v_cmp_gt_u32_e32 vcc, 8, v52
	v_cndmask_b32_e32 v34, v58, v34, vcc
	v_cndmask_b32_e32 v42, v42, v56, vcc
	v_lshlrev_b32_e32 v52, 16, v35
	v_bfrev_b32_e32 v56, 60
	v_lshlrev_b32_e32 v42, 20, v42
	v_and_b32_e32 v52, 0x80000000, v52
	v_lshl_add_u32 v34, v34, 23, v56
	v_or3_b32 v34, v52, v34, v42
	v_lshrrev_b32_e32 v42, 16, v34
.LBB848_47:
	s_or_b64 exec, exec, s[10:11]
.LBB848_48:
	s_or_b64 exec, exec, s[8:9]
.LBB848_49:
	s_or_b64 exec, exec, s[2:3]
	s_movk_i32 s2, 0xff
	v_and_b32_sdwa v52, v35, s2 dst_sel:DWORD dst_unused:UNUSED_PAD src0_sel:WORD_1 src1_sel:DWORD
	v_lshrrev_b32_e32 v34, 16, v35
	v_cmp_ne_u16_e32 vcc, 0, v52
	s_and_saveexec_b64 s[2:3], vcc
	s_cbranch_execz .LBB848_55
; %bb.50:
	s_movk_i32 s8, 0x80
	v_cmp_ne_u16_e32 vcc, s8, v52
	v_mov_b32_e32 v55, 0xffff8000
	s_and_saveexec_b64 s[8:9], vcc
	s_cbranch_execz .LBB848_54
; %bb.51:
	v_bfe_u32 v52, v35, 16, 7
	s_movk_i32 s10, 0x7f
	v_cmp_ne_u32_e32 vcc, s10, v52
	v_mov_b32_e32 v55, 0x7f80
	s_and_saveexec_b64 s[10:11], vcc
	s_cbranch_execz .LBB848_53
; %bb.52:
	v_and_b32_e32 v55, 7, v34
	v_ffbh_u32_e32 v56, v55
	v_min_u32_e32 v59, 32, v56
	v_subrev_u32_e32 v56, 28, v59
	v_lshlrev_b64 v[56:57], v56, v[34:35]
	v_and_b32_e32 v56, 7, v56
	v_cmp_gt_u32_e32 vcc, 8, v52
	v_lshrrev_b32_e32 v58, 3, v52
	v_sub_u32_e32 v34, 29, v59
	v_cndmask_b32_e32 v52, v55, v56, vcc
	v_mov_b32_e32 v55, 24
	v_cndmask_b32_e32 v34, v58, v34, vcc
	v_lshlrev_b32_sdwa v55, v55, v35 dst_sel:DWORD dst_unused:UNUSED_PAD src0_sel:DWORD src1_sel:WORD_1
	v_bfrev_b32_e32 v56, 60
	v_lshlrev_b32_e32 v52, 20, v52
	v_and_b32_e32 v55, 0x80000000, v55
	v_lshl_add_u32 v34, v34, 23, v56
	v_or3_b32 v34, v55, v34, v52
	v_lshrrev_b32_e32 v55, 16, v34
.LBB848_53:
	s_or_b64 exec, exec, s[10:11]
.LBB848_54:
	s_or_b64 exec, exec, s[8:9]
.LBB848_55:
	s_or_b64 exec, exec, s[2:3]
	s_mov_b32 s2, 0xffffff
	v_cmp_lt_u32_e32 vcc, s2, v35
	v_mov_b32_e32 v52, 0
	v_mov_b32_e32 v56, 0
	s_and_saveexec_b64 s[2:3], vcc
	s_cbranch_execz .LBB848_61
; %bb.56:
	v_lshrrev_b32_e32 v34, 24, v35
	s_movk_i32 s8, 0x80
	v_cmp_ne_u32_e32 vcc, s8, v34
	v_mov_b32_e32 v56, 0xffff8000
	s_and_saveexec_b64 s[8:9], vcc
	s_cbranch_execz .LBB848_60
; %bb.57:
	v_bfe_u32 v35, v35, 24, 7
	s_movk_i32 s10, 0x7f
	v_cmp_ne_u32_e32 vcc, s10, v35
	v_mov_b32_e32 v56, 0x7f80
	s_and_saveexec_b64 s[10:11], vcc
	s_cbranch_execz .LBB848_59
; %bb.58:
	v_and_b32_e32 v58, 7, v34
	v_ffbh_u32_e32 v56, v58
	v_min_u32_e32 v60, 32, v56
	v_subrev_u32_e32 v56, 28, v60
	v_lshlrev_b64 v[56:57], v56, v[34:35]
	v_lshrrev_b32_e32 v59, 3, v35
	v_sub_u32_e32 v57, 29, v60
	v_and_b32_e32 v56, 7, v56
	v_cmp_gt_u32_e32 vcc, 8, v35
	v_cndmask_b32_e32 v35, v59, v57, vcc
	v_cndmask_b32_e32 v56, v58, v56, vcc
	v_lshlrev_b32_e32 v34, 24, v34
	v_bfrev_b32_e32 v57, 60
	v_lshlrev_b32_e32 v56, 20, v56
	v_and_b32_e32 v34, 0x80000000, v34
	v_lshl_add_u32 v35, v35, 23, v57
	v_or3_b32 v34, v34, v35, v56
	v_lshrrev_b32_e32 v56, 16, v34
.LBB848_59:
	s_or_b64 exec, exec, s[10:11]
.LBB848_60:
	s_or_b64 exec, exec, s[8:9]
.LBB848_61:
	s_or_b64 exec, exec, s[2:3]
	s_mov_b32 s2, 0x5040100
	v_perm_b32 v35, v54, v45, s2
	v_perm_b32 v34, v44, v43, s2
	v_cmp_ne_u16_sdwa s[8:9], v36, v52 src0_sel:BYTE_0 src1_sel:DWORD
	s_nop 0
	v_mfma_f32_16x16x16bf16_1k v[58:61], v[34:35], v[26:27], 0
	v_perm_b32 v35, v56, v55, s2
	v_perm_b32 v34, v42, v53, s2
	s_nop 1
	v_mfma_f32_16x16x16bf16_1k v[42:45], v[34:35], v[28:29], v[58:61]
	s_and_saveexec_b64 s[2:3], s[8:9]
	s_cbranch_execz .LBB848_67
; %bb.62:
	s_movk_i32 s8, 0x80
	v_cmp_ne_u16_sdwa s[10:11], v36, s8 src0_sel:BYTE_0 src1_sel:DWORD
	v_mov_b32_e32 v52, 0xffff8000
	s_and_saveexec_b64 s[8:9], s[10:11]
	s_cbranch_execz .LBB848_66
; %bb.63:
	s_movk_i32 s10, 0x7f
	v_and_b32_e32 v34, 0x7f, v36
	v_cmp_ne_u32_e32 vcc, s10, v34
	v_mov_b32_e32 v52, 0x7f80
	s_and_saveexec_b64 s[10:11], vcc
	s_cbranch_execz .LBB848_65
; %bb.64:
	v_and_b32_e32 v35, 7, v36
	v_ffbh_u32_e32 v52, v35
	v_min_u32_e32 v55, 32, v52
	v_subrev_u32_e32 v52, 28, v55
	v_lshlrev_b64 v[52:53], v52, v[36:37]
	v_lshrrev_b32_e32 v54, 3, v34
	v_sub_u32_e32 v53, 29, v55
	v_and_b32_e32 v52, 7, v52
	v_cmp_gt_u32_e32 vcc, 8, v34
	v_cndmask_b32_e32 v34, v54, v53, vcc
	v_cndmask_b32_e32 v35, v35, v52, vcc
	v_lshlrev_b32_e32 v52, 24, v36
	v_bfrev_b32_e32 v53, 60
	v_lshlrev_b32_e32 v35, 20, v35
	v_and_b32_e32 v52, 0x80000000, v52
	v_lshl_add_u32 v34, v34, 23, v53
	v_or3_b32 v34, v52, v34, v35
	v_lshrrev_b32_e32 v52, 16, v34
.LBB848_65:
	s_or_b64 exec, exec, s[10:11]
.LBB848_66:
	s_or_b64 exec, exec, s[8:9]
.LBB848_67:
	s_or_b64 exec, exec, s[2:3]
	v_lshrrev_b16_e32 v34, 8, v36
	v_cmp_ne_u16_e32 vcc, 0, v34
	v_mov_b32_e32 v54, 0
	v_mov_b32_e32 v35, 0
	s_and_saveexec_b64 s[2:3], vcc
	s_cbranch_execz .LBB848_73
; %bb.68:
	s_movk_i32 s8, 0x80
	v_cmp_ne_u16_e32 vcc, s8, v34
	v_mov_b32_e32 v35, 0xffff8000
	s_and_saveexec_b64 s[8:9], vcc
	s_cbranch_execz .LBB848_72
; %bb.69:
	s_movk_i32 s10, 0x7f
	v_and_b32_e32 v53, 0x7f, v34
	v_cmp_ne_u32_e32 vcc, s10, v53
	v_mov_b32_e32 v35, 0x7f80
	s_and_saveexec_b64 s[10:11], vcc
	s_cbranch_execz .LBB848_71
; %bb.70:
	v_and_b32_e32 v55, 7, v34
	v_ffbh_u32_e32 v35, v55
	v_min_u32_e32 v57, 32, v35
	v_subrev_u32_e32 v35, 28, v57
	v_lshlrev_b64 v[34:35], v35, v[34:35]
	v_lshrrev_b32_e32 v56, 3, v53
	v_sub_u32_e32 v35, 29, v57
	v_and_b32_e32 v34, 7, v34
	v_cmp_gt_u32_e32 vcc, 8, v53
	v_cndmask_b32_e32 v35, v56, v35, vcc
	v_cndmask_b32_e32 v34, v55, v34, vcc
	v_lshlrev_b32_e32 v53, 16, v36
	v_bfrev_b32_e32 v55, 60
	v_lshlrev_b32_e32 v34, 20, v34
	v_and_b32_e32 v53, 0x80000000, v53
	v_lshl_add_u32 v35, v35, 23, v55
	v_or3_b32 v34, v53, v35, v34
	v_lshrrev_b32_e32 v35, 16, v34
.LBB848_71:
	s_or_b64 exec, exec, s[10:11]
.LBB848_72:
	s_or_b64 exec, exec, s[8:9]
.LBB848_73:
	s_or_b64 exec, exec, s[2:3]
	s_movk_i32 s2, 0xff
	v_and_b32_sdwa v53, v36, s2 dst_sel:DWORD dst_unused:UNUSED_PAD src0_sel:WORD_1 src1_sel:DWORD
	v_lshrrev_b32_e32 v34, 16, v36
	v_cmp_ne_u16_e32 vcc, 0, v53
	s_and_saveexec_b64 s[2:3], vcc
	s_cbranch_execz .LBB848_79
; %bb.74:
	s_movk_i32 s8, 0x80
	v_cmp_ne_u16_e32 vcc, s8, v53
	v_mov_b32_e32 v54, 0xffff8000
	s_and_saveexec_b64 s[8:9], vcc
	s_cbranch_execz .LBB848_78
; %bb.75:
	v_bfe_u32 v53, v36, 16, 7
	s_movk_i32 s10, 0x7f
	v_cmp_ne_u32_e32 vcc, s10, v53
	v_mov_b32_e32 v54, 0x7f80
	s_and_saveexec_b64 s[10:11], vcc
	s_cbranch_execz .LBB848_77
; %bb.76:
	v_and_b32_e32 v56, 7, v34
	v_ffbh_u32_e32 v54, v56
	v_min_u32_e32 v58, 32, v54
	v_subrev_u32_e32 v54, 28, v58
	v_lshlrev_b64 v[54:55], v54, v[34:35]
	v_and_b32_e32 v54, 7, v54
	v_cmp_gt_u32_e32 vcc, 8, v53
	v_lshrrev_b32_e32 v57, 3, v53
	v_sub_u32_e32 v34, 29, v58
	v_cndmask_b32_e32 v53, v56, v54, vcc
	v_mov_b32_e32 v54, 24
	v_cndmask_b32_e32 v34, v57, v34, vcc
	v_lshlrev_b32_sdwa v54, v54, v36 dst_sel:DWORD dst_unused:UNUSED_PAD src0_sel:DWORD src1_sel:WORD_1
	v_bfrev_b32_e32 v55, 60
	v_lshlrev_b32_e32 v53, 20, v53
	v_and_b32_e32 v54, 0x80000000, v54
	v_lshl_add_u32 v34, v34, 23, v55
	v_or3_b32 v34, v54, v34, v53
	v_lshrrev_b32_e32 v54, 16, v34
.LBB848_77:
	s_or_b64 exec, exec, s[10:11]
.LBB848_78:
	s_or_b64 exec, exec, s[8:9]
.LBB848_79:
	s_or_b64 exec, exec, s[2:3]
	s_mov_b32 s2, 0xffffff
	v_cmp_lt_u32_e32 vcc, s2, v36
	v_mov_b32_e32 v55, 0
	v_mov_b32_e32 v56, 0
	s_and_saveexec_b64 s[2:3], vcc
	s_cbranch_execz .LBB848_85
; %bb.80:
	v_lshrrev_b32_e32 v34, 24, v36
	s_movk_i32 s8, 0x80
	v_cmp_ne_u32_e32 vcc, s8, v34
	v_mov_b32_e32 v56, 0xffff8000
	s_and_saveexec_b64 s[8:9], vcc
	s_cbranch_execz .LBB848_84
; %bb.81:
	v_bfe_u32 v36, v36, 24, 7
	s_movk_i32 s10, 0x7f
	v_cmp_ne_u32_e32 vcc, s10, v36
	v_mov_b32_e32 v56, 0x7f80
	s_and_saveexec_b64 s[10:11], vcc
	s_cbranch_execz .LBB848_83
; %bb.82:
	v_and_b32_e32 v53, 7, v34
	v_ffbh_u32_e32 v56, v53
	v_min_u32_e32 v59, 32, v56
	v_subrev_u32_e32 v56, 28, v59
	v_lshlrev_b64 v[56:57], v56, v[34:35]
	v_lshrrev_b32_e32 v58, 3, v36
	v_sub_u32_e32 v57, 29, v59
	v_and_b32_e32 v56, 7, v56
	v_cmp_gt_u32_e32 vcc, 8, v36
	v_cndmask_b32_e32 v36, v58, v57, vcc
	v_cndmask_b32_e32 v53, v53, v56, vcc
	v_lshlrev_b32_e32 v34, 24, v34
	v_bfrev_b32_e32 v56, 60
	v_lshlrev_b32_e32 v53, 20, v53
	v_and_b32_e32 v34, 0x80000000, v34
	v_lshl_add_u32 v36, v36, 23, v56
	v_or3_b32 v34, v34, v36, v53
	v_lshrrev_b32_e32 v56, 16, v34
.LBB848_83:
	s_or_b64 exec, exec, s[10:11]
.LBB848_84:
	s_or_b64 exec, exec, s[8:9]
.LBB848_85:
	s_or_b64 exec, exec, s[2:3]
	v_cmp_ne_u16_sdwa s[8:9], v37, v55 src0_sel:BYTE_0 src1_sel:DWORD
	s_and_saveexec_b64 s[2:3], s[8:9]
	s_cbranch_execz .LBB848_91
; %bb.86:
	s_movk_i32 s8, 0x80
	v_cmp_ne_u16_sdwa s[10:11], v37, s8 src0_sel:BYTE_0 src1_sel:DWORD
	v_mov_b32_e32 v55, 0xffff8000
	s_and_saveexec_b64 s[8:9], s[10:11]
	s_cbranch_execz .LBB848_90
; %bb.87:
	s_movk_i32 s10, 0x7f
	v_and_b32_e32 v34, 0x7f, v37
	v_cmp_ne_u32_e32 vcc, s10, v34
	v_mov_b32_e32 v55, 0x7f80
	s_and_saveexec_b64 s[10:11], vcc
	s_cbranch_execz .LBB848_89
; %bb.88:
	v_and_b32_e32 v53, 7, v37
	v_ffbh_u32_e32 v57, v53
	v_min_u32_e32 v57, 32, v57
	v_mov_b32_e32 v36, v37
	v_subrev_u32_e32 v58, 28, v57
	v_lshlrev_b64 v[58:59], v58, v[36:37]
	v_lshrrev_b32_e32 v55, 3, v34
	v_sub_u32_e32 v36, 29, v57
	v_and_b32_e32 v57, 7, v58
	v_cmp_gt_u32_e32 vcc, 8, v34
	v_cndmask_b32_e32 v34, v55, v36, vcc
	v_cndmask_b32_e32 v36, v53, v57, vcc
	v_lshlrev_b32_e32 v53, 24, v37
	v_bfrev_b32_e32 v55, 60
	v_lshlrev_b32_e32 v36, 20, v36
	v_and_b32_e32 v53, 0x80000000, v53
	v_lshl_add_u32 v34, v34, 23, v55
	v_or3_b32 v34, v53, v34, v36
	v_lshrrev_b32_e32 v55, 16, v34
.LBB848_89:
	s_or_b64 exec, exec, s[10:11]
.LBB848_90:
	s_or_b64 exec, exec, s[8:9]
.LBB848_91:
	s_or_b64 exec, exec, s[2:3]
	v_lshrrev_b16_e32 v34, 8, v37
	v_cmp_ne_u16_e32 vcc, 0, v34
	v_mov_b32_e32 v57, 0
	v_mov_b32_e32 v36, 0
	s_and_saveexec_b64 s[2:3], vcc
	s_cbranch_execz .LBB848_97
; %bb.92:
	s_movk_i32 s8, 0x80
	v_cmp_ne_u16_e32 vcc, s8, v34
	v_mov_b32_e32 v36, 0xffff8000
	s_and_saveexec_b64 s[8:9], vcc
	s_cbranch_execz .LBB848_96
; %bb.93:
	s_movk_i32 s10, 0x7f
	v_and_b32_e32 v53, 0x7f, v34
	v_cmp_ne_u32_e32 vcc, s10, v53
	v_mov_b32_e32 v36, 0x7f80
	s_and_saveexec_b64 s[10:11], vcc
	s_cbranch_execz .LBB848_95
; %bb.94:
	v_and_b32_e32 v36, 7, v34
	v_ffbh_u32_e32 v58, v36
	v_min_u32_e32 v61, 32, v58
	v_subrev_u32_e32 v58, 28, v61
	v_lshlrev_b64 v[58:59], v58, v[34:35]
	v_lshrrev_b32_e32 v60, 3, v53
	v_sub_u32_e32 v34, 29, v61
	v_and_b32_e32 v58, 7, v58
	v_cmp_gt_u32_e32 vcc, 8, v53
	v_cndmask_b32_e32 v34, v60, v34, vcc
	v_cndmask_b32_e32 v36, v36, v58, vcc
	v_lshlrev_b32_e32 v53, 16, v37
	v_bfrev_b32_e32 v58, 60
	v_lshlrev_b32_e32 v36, 20, v36
	v_and_b32_e32 v53, 0x80000000, v53
	v_lshl_add_u32 v34, v34, 23, v58
	v_or3_b32 v34, v53, v34, v36
	v_lshrrev_b32_e32 v36, 16, v34
.LBB848_95:
	s_or_b64 exec, exec, s[10:11]
.LBB848_96:
	s_or_b64 exec, exec, s[8:9]
.LBB848_97:
	s_or_b64 exec, exec, s[2:3]
	s_movk_i32 s2, 0xff
	v_and_b32_sdwa v53, v37, s2 dst_sel:DWORD dst_unused:UNUSED_PAD src0_sel:WORD_1 src1_sel:DWORD
	v_lshrrev_b32_e32 v34, 16, v37
	v_cmp_ne_u16_e32 vcc, 0, v53
	s_and_saveexec_b64 s[2:3], vcc
	s_cbranch_execz .LBB848_103
; %bb.98:
	s_movk_i32 s8, 0x80
	v_cmp_ne_u16_e32 vcc, s8, v53
	v_mov_b32_e32 v57, 0xffff8000
	s_and_saveexec_b64 s[8:9], vcc
	s_cbranch_execz .LBB848_102
; %bb.99:
	v_bfe_u32 v53, v37, 16, 7
	s_movk_i32 s10, 0x7f
	v_cmp_ne_u32_e32 vcc, s10, v53
	v_mov_b32_e32 v57, 0x7f80
	s_and_saveexec_b64 s[10:11], vcc
	s_cbranch_execz .LBB848_101
; %bb.100:
	v_and_b32_e32 v57, 7, v34
	v_ffbh_u32_e32 v58, v57
	v_min_u32_e32 v61, 32, v58
	v_subrev_u32_e32 v58, 28, v61
	v_lshlrev_b64 v[58:59], v58, v[34:35]
	v_and_b32_e32 v58, 7, v58
	v_cmp_gt_u32_e32 vcc, 8, v53
	v_lshrrev_b32_e32 v60, 3, v53
	v_sub_u32_e32 v34, 29, v61
	v_cndmask_b32_e32 v53, v57, v58, vcc
	v_mov_b32_e32 v57, 24
	v_cndmask_b32_e32 v34, v60, v34, vcc
	v_lshlrev_b32_sdwa v57, v57, v37 dst_sel:DWORD dst_unused:UNUSED_PAD src0_sel:DWORD src1_sel:WORD_1
	v_bfrev_b32_e32 v58, 60
	v_lshlrev_b32_e32 v53, 20, v53
	v_and_b32_e32 v57, 0x80000000, v57
	v_lshl_add_u32 v34, v34, 23, v58
	v_or3_b32 v34, v57, v34, v53
	v_lshrrev_b32_e32 v57, 16, v34
.LBB848_101:
	s_or_b64 exec, exec, s[10:11]
.LBB848_102:
	s_or_b64 exec, exec, s[8:9]
.LBB848_103:
	s_or_b64 exec, exec, s[2:3]
	s_mov_b32 s2, 0xffffff
	v_cmp_lt_u32_e32 vcc, s2, v37
	v_mov_b32_e32 v53, 0
	v_mov_b32_e32 v58, 0
	s_and_saveexec_b64 s[2:3], vcc
	s_cbranch_execz .LBB848_109
; %bb.104:
	v_lshrrev_b32_e32 v34, 24, v37
	s_movk_i32 s8, 0x80
	v_cmp_ne_u32_e32 vcc, s8, v34
	v_mov_b32_e32 v58, 0xffff8000
	s_and_saveexec_b64 s[8:9], vcc
	s_cbranch_execz .LBB848_108
; %bb.105:
	v_bfe_u32 v37, v37, 24, 7
	s_movk_i32 s10, 0x7f
	v_cmp_ne_u32_e32 vcc, s10, v37
	v_mov_b32_e32 v58, 0x7f80
	s_and_saveexec_b64 s[10:11], vcc
	s_cbranch_execz .LBB848_107
; %bb.106:
	v_and_b32_e32 v60, 7, v34
	v_ffbh_u32_e32 v58, v60
	v_min_u32_e32 v62, 32, v58
	v_subrev_u32_e32 v58, 28, v62
	v_lshlrev_b64 v[58:59], v58, v[34:35]
	v_lshrrev_b32_e32 v61, 3, v37
	v_sub_u32_e32 v59, 29, v62
	v_and_b32_e32 v58, 7, v58
	v_cmp_gt_u32_e32 vcc, 8, v37
	v_cndmask_b32_e32 v37, v61, v59, vcc
	v_cndmask_b32_e32 v58, v60, v58, vcc
	v_lshlrev_b32_e32 v34, 24, v34
	v_bfrev_b32_e32 v59, 60
	v_lshlrev_b32_e32 v58, 20, v58
	v_and_b32_e32 v34, 0x80000000, v34
	v_lshl_add_u32 v37, v37, 23, v59
	v_or3_b32 v34, v34, v37, v58
	v_lshrrev_b32_e32 v58, 16, v34
.LBB848_107:
	s_or_b64 exec, exec, s[10:11]
.LBB848_108:
	s_or_b64 exec, exec, s[8:9]
.LBB848_109:
	s_or_b64 exec, exec, s[2:3]
	s_mov_b32 s2, 0x5040100
	v_perm_b32 v61, v56, v54, s2
	v_perm_b32 v60, v35, v52, s2
	;; [unrolled: 1-line block ×4, first 2 shown]
	v_cmp_ne_u16_sdwa s[8:9], v38, v53 src0_sel:BYTE_0 src1_sel:DWORD
	v_mfma_f32_16x16x16bf16_1k v[42:45], v[60:61], v[18:19], v[42:45]
	v_mfma_f32_16x16x16bf16_1k v[34:37], v[34:35], v[20:21], v[42:45]
	s_and_saveexec_b64 s[2:3], s[8:9]
	s_cbranch_execz .LBB848_115
; %bb.110:
	s_movk_i32 s8, 0x80
	v_cmp_ne_u16_sdwa s[10:11], v38, s8 src0_sel:BYTE_0 src1_sel:DWORD
	v_mov_b32_e32 v53, 0xffff8000
	s_and_saveexec_b64 s[8:9], s[10:11]
	s_cbranch_execz .LBB848_114
; %bb.111:
	s_movk_i32 s10, 0x7f
	s_nop 1
	v_and_b32_e32 v42, 0x7f, v38
	v_cmp_ne_u32_e32 vcc, s10, v42
	v_mov_b32_e32 v53, 0x7f80
	s_and_saveexec_b64 s[10:11], vcc
	s_cbranch_execz .LBB848_113
; %bb.112:
	v_and_b32_e32 v43, 7, v38
	v_ffbh_u32_e32 v44, v43
	v_min_u32_e32 v53, 32, v44
	v_subrev_u32_e32 v44, 28, v53
	v_lshlrev_b64 v[44:45], v44, v[38:39]
	v_lshrrev_b32_e32 v52, 3, v42
	v_sub_u32_e32 v45, 29, v53
	v_and_b32_e32 v44, 7, v44
	v_cmp_gt_u32_e32 vcc, 8, v42
	v_cndmask_b32_e32 v42, v52, v45, vcc
	v_cndmask_b32_e32 v43, v43, v44, vcc
	v_lshlrev_b32_e32 v44, 24, v38
	v_bfrev_b32_e32 v45, 60
	v_lshlrev_b32_e32 v43, 20, v43
	v_and_b32_e32 v44, 0x80000000, v44
	v_lshl_add_u32 v42, v42, 23, v45
	v_or3_b32 v42, v44, v42, v43
	v_lshrrev_b32_e32 v53, 16, v42
.LBB848_113:
	s_or_b64 exec, exec, s[10:11]
.LBB848_114:
	s_or_b64 exec, exec, s[8:9]
.LBB848_115:
	s_or_b64 exec, exec, s[2:3]
	s_nop 6
	v_lshrrev_b16_e32 v42, 8, v38
	v_cmp_ne_u16_e32 vcc, 0, v42
	v_mov_b32_e32 v44, 0
	v_mov_b32_e32 v43, 0
	s_and_saveexec_b64 s[2:3], vcc
	s_cbranch_execz .LBB848_121
; %bb.116:
	s_movk_i32 s8, 0x80
	v_cmp_ne_u16_e32 vcc, s8, v42
	v_mov_b32_e32 v43, 0xffff8000
	s_and_saveexec_b64 s[8:9], vcc
	s_cbranch_execz .LBB848_120
; %bb.117:
	s_movk_i32 s10, 0x7f
	v_and_b32_e32 v45, 0x7f, v42
	v_cmp_ne_u32_e32 vcc, s10, v45
	v_mov_b32_e32 v43, 0x7f80
	s_and_saveexec_b64 s[10:11], vcc
	s_cbranch_execz .LBB848_119
; %bb.118:
	v_and_b32_e32 v52, 7, v42
	v_ffbh_u32_e32 v43, v52
	v_min_u32_e32 v55, 32, v43
	v_subrev_u32_e32 v43, 28, v55
	v_lshlrev_b64 v[42:43], v43, v[42:43]
	v_lshrrev_b32_e32 v54, 3, v45
	v_sub_u32_e32 v43, 29, v55
	v_and_b32_e32 v42, 7, v42
	v_cmp_gt_u32_e32 vcc, 8, v45
	v_cndmask_b32_e32 v43, v54, v43, vcc
	v_cndmask_b32_e32 v42, v52, v42, vcc
	v_lshlrev_b32_e32 v45, 16, v38
	v_bfrev_b32_e32 v52, 60
	v_lshlrev_b32_e32 v42, 20, v42
	v_and_b32_e32 v45, 0x80000000, v45
	v_lshl_add_u32 v43, v43, 23, v52
	v_or3_b32 v42, v45, v43, v42
	v_lshrrev_b32_e32 v43, 16, v42
.LBB848_119:
	s_or_b64 exec, exec, s[10:11]
.LBB848_120:
	s_or_b64 exec, exec, s[8:9]
.LBB848_121:
	s_or_b64 exec, exec, s[2:3]
	s_movk_i32 s2, 0xff
	v_and_b32_sdwa v45, v38, s2 dst_sel:DWORD dst_unused:UNUSED_PAD src0_sel:WORD_1 src1_sel:DWORD
	v_lshrrev_b32_e32 v42, 16, v38
	v_cmp_ne_u16_e32 vcc, 0, v45
	s_and_saveexec_b64 s[2:3], vcc
	s_cbranch_execz .LBB848_127
; %bb.122:
	s_movk_i32 s8, 0x80
	v_cmp_ne_u16_e32 vcc, s8, v45
	v_mov_b32_e32 v44, 0xffff8000
	s_and_saveexec_b64 s[8:9], vcc
	s_cbranch_execz .LBB848_126
; %bb.123:
	v_bfe_u32 v45, v38, 16, 7
	s_movk_i32 s10, 0x7f
	v_cmp_ne_u32_e32 vcc, s10, v45
	v_mov_b32_e32 v44, 0x7f80
	s_and_saveexec_b64 s[10:11], vcc
	s_cbranch_execz .LBB848_125
; %bb.124:
	v_and_b32_e32 v44, 7, v42
	v_ffbh_u32_e32 v54, v44
	v_min_u32_e32 v56, 32, v54
	v_subrev_u32_e32 v54, 28, v56
	v_lshlrev_b64 v[54:55], v54, v[42:43]
	v_lshrrev_b32_e32 v52, 3, v45
	v_sub_u32_e32 v42, 29, v56
	v_and_b32_e32 v54, 7, v54
	v_cmp_gt_u32_e32 vcc, 8, v45
	v_mov_b32_e32 v45, 24
	v_cndmask_b32_e32 v42, v52, v42, vcc
	v_cndmask_b32_e32 v44, v44, v54, vcc
	v_lshlrev_b32_sdwa v45, v45, v38 dst_sel:DWORD dst_unused:UNUSED_PAD src0_sel:DWORD src1_sel:WORD_1
	v_bfrev_b32_e32 v52, 60
	v_lshlrev_b32_e32 v44, 20, v44
	v_and_b32_e32 v45, 0x80000000, v45
	v_lshl_add_u32 v42, v42, 23, v52
	v_or3_b32 v42, v45, v42, v44
	v_lshrrev_b32_e32 v44, 16, v42
.LBB848_125:
	s_or_b64 exec, exec, s[10:11]
.LBB848_126:
	s_or_b64 exec, exec, s[8:9]
.LBB848_127:
	s_or_b64 exec, exec, s[2:3]
	s_mov_b32 s2, 0xffffff
	v_cmp_lt_u32_e32 vcc, s2, v38
	v_mov_b32_e32 v45, 0
	v_mov_b32_e32 v54, 0
	s_and_saveexec_b64 s[2:3], vcc
	s_cbranch_execz .LBB848_133
; %bb.128:
	v_lshrrev_b32_e32 v42, 24, v38
	s_movk_i32 s8, 0x80
	v_cmp_ne_u32_e32 vcc, s8, v42
	v_mov_b32_e32 v54, 0xffff8000
	s_and_saveexec_b64 s[8:9], vcc
	s_cbranch_execz .LBB848_132
; %bb.129:
	v_bfe_u32 v38, v38, 24, 7
	s_movk_i32 s10, 0x7f
	v_cmp_ne_u32_e32 vcc, s10, v38
	v_mov_b32_e32 v54, 0x7f80
	s_and_saveexec_b64 s[10:11], vcc
	s_cbranch_execz .LBB848_131
; %bb.130:
	v_and_b32_e32 v52, 7, v42
	v_ffbh_u32_e32 v54, v52
	v_min_u32_e32 v57, 32, v54
	v_subrev_u32_e32 v54, 28, v57
	v_lshlrev_b64 v[54:55], v54, v[42:43]
	v_lshrrev_b32_e32 v56, 3, v38
	v_sub_u32_e32 v55, 29, v57
	v_and_b32_e32 v54, 7, v54
	v_cmp_gt_u32_e32 vcc, 8, v38
	v_cndmask_b32_e32 v38, v56, v55, vcc
	v_cndmask_b32_e32 v52, v52, v54, vcc
	v_lshlrev_b32_e32 v42, 24, v42
	v_bfrev_b32_e32 v54, 60
	v_lshlrev_b32_e32 v52, 20, v52
	v_and_b32_e32 v42, 0x80000000, v42
	v_lshl_add_u32 v38, v38, 23, v54
	v_or3_b32 v38, v42, v38, v52
	v_lshrrev_b32_e32 v54, 16, v38
.LBB848_131:
	s_or_b64 exec, exec, s[10:11]
.LBB848_132:
	s_or_b64 exec, exec, s[8:9]
.LBB848_133:
	s_or_b64 exec, exec, s[2:3]
	v_cmp_ne_u16_sdwa s[8:9], v39, v45 src0_sel:BYTE_0 src1_sel:DWORD
	s_and_saveexec_b64 s[2:3], s[8:9]
	s_cbranch_execz .LBB848_139
; %bb.134:
	s_movk_i32 s8, 0x80
	v_cmp_ne_u16_sdwa s[10:11], v39, s8 src0_sel:BYTE_0 src1_sel:DWORD
	v_mov_b32_e32 v45, 0xffff8000
	s_and_saveexec_b64 s[8:9], s[10:11]
	s_cbranch_execz .LBB848_138
; %bb.135:
	s_movk_i32 s10, 0x7f
	v_and_b32_e32 v38, 0x7f, v39
	v_cmp_ne_u32_e32 vcc, s10, v38
	v_mov_b32_e32 v45, 0x7f80
	s_and_saveexec_b64 s[10:11], vcc
	s_cbranch_execz .LBB848_137
; %bb.136:
	v_and_b32_e32 v45, 7, v39
	v_ffbh_u32_e32 v55, v45
	v_min_u32_e32 v55, 32, v55
	v_mov_b32_e32 v42, v39
	v_subrev_u32_e32 v56, 28, v55
	v_lshlrev_b64 v[56:57], v56, v[42:43]
	v_lshrrev_b32_e32 v52, 3, v38
	v_sub_u32_e32 v42, 29, v55
	v_and_b32_e32 v55, 7, v56
	v_cmp_gt_u32_e32 vcc, 8, v38
	v_cndmask_b32_e32 v38, v52, v42, vcc
	v_cndmask_b32_e32 v42, v45, v55, vcc
	v_lshlrev_b32_e32 v45, 24, v39
	v_bfrev_b32_e32 v52, 60
	v_lshlrev_b32_e32 v42, 20, v42
	v_and_b32_e32 v45, 0x80000000, v45
	v_lshl_add_u32 v38, v38, 23, v52
	v_or3_b32 v38, v45, v38, v42
	v_lshrrev_b32_e32 v45, 16, v38
.LBB848_137:
	s_or_b64 exec, exec, s[10:11]
.LBB848_138:
	s_or_b64 exec, exec, s[8:9]
.LBB848_139:
	s_or_b64 exec, exec, s[2:3]
	v_lshrrev_b16_e32 v38, 8, v39
	v_cmp_ne_u16_e32 vcc, 0, v38
	v_mov_b32_e32 v55, 0
	v_mov_b32_e32 v42, 0
	s_and_saveexec_b64 s[2:3], vcc
	s_cbranch_execz .LBB848_145
; %bb.140:
	s_movk_i32 s8, 0x80
	v_cmp_ne_u16_e32 vcc, s8, v38
	v_mov_b32_e32 v42, 0xffff8000
	s_and_saveexec_b64 s[8:9], vcc
	s_cbranch_execz .LBB848_144
; %bb.141:
	s_movk_i32 s10, 0x7f
	v_and_b32_e32 v52, 0x7f, v38
	v_cmp_ne_u32_e32 vcc, s10, v52
	v_mov_b32_e32 v42, 0x7f80
	s_and_saveexec_b64 s[10:11], vcc
	s_cbranch_execz .LBB848_143
; %bb.142:
	v_and_b32_e32 v42, 7, v38
	v_ffbh_u32_e32 v56, v42
	v_min_u32_e32 v59, 32, v56
	v_subrev_u32_e32 v56, 28, v59
	v_lshlrev_b64 v[56:57], v56, v[38:39]
	v_lshrrev_b32_e32 v58, 3, v52
	v_sub_u32_e32 v38, 29, v59
	v_and_b32_e32 v56, 7, v56
	v_cmp_gt_u32_e32 vcc, 8, v52
	v_cndmask_b32_e32 v38, v58, v38, vcc
	v_cndmask_b32_e32 v42, v42, v56, vcc
	v_lshlrev_b32_e32 v52, 16, v39
	v_bfrev_b32_e32 v56, 60
	v_lshlrev_b32_e32 v42, 20, v42
	v_and_b32_e32 v52, 0x80000000, v52
	v_lshl_add_u32 v38, v38, 23, v56
	v_or3_b32 v38, v52, v38, v42
	v_lshrrev_b32_e32 v42, 16, v38
.LBB848_143:
	s_or_b64 exec, exec, s[10:11]
.LBB848_144:
	s_or_b64 exec, exec, s[8:9]
.LBB848_145:
	s_or_b64 exec, exec, s[2:3]
	s_movk_i32 s2, 0xff
	v_and_b32_sdwa v52, v39, s2 dst_sel:DWORD dst_unused:UNUSED_PAD src0_sel:WORD_1 src1_sel:DWORD
	v_lshrrev_b32_e32 v38, 16, v39
	v_cmp_ne_u16_e32 vcc, 0, v52
	s_and_saveexec_b64 s[2:3], vcc
	s_cbranch_execz .LBB848_151
; %bb.146:
	s_movk_i32 s8, 0x80
	v_cmp_ne_u16_e32 vcc, s8, v52
	v_mov_b32_e32 v55, 0xffff8000
	s_and_saveexec_b64 s[8:9], vcc
	s_cbranch_execz .LBB848_150
; %bb.147:
	v_bfe_u32 v52, v39, 16, 7
	s_movk_i32 s10, 0x7f
	v_cmp_ne_u32_e32 vcc, s10, v52
	v_mov_b32_e32 v55, 0x7f80
	s_and_saveexec_b64 s[10:11], vcc
	s_cbranch_execz .LBB848_149
; %bb.148:
	v_and_b32_e32 v55, 7, v38
	v_ffbh_u32_e32 v56, v55
	v_min_u32_e32 v59, 32, v56
	v_subrev_u32_e32 v56, 28, v59
	v_lshlrev_b64 v[56:57], v56, v[38:39]
	v_and_b32_e32 v56, 7, v56
	v_cmp_gt_u32_e32 vcc, 8, v52
	v_lshrrev_b32_e32 v58, 3, v52
	v_sub_u32_e32 v38, 29, v59
	v_cndmask_b32_e32 v52, v55, v56, vcc
	v_mov_b32_e32 v55, 24
	v_cndmask_b32_e32 v38, v58, v38, vcc
	v_lshlrev_b32_sdwa v55, v55, v39 dst_sel:DWORD dst_unused:UNUSED_PAD src0_sel:DWORD src1_sel:WORD_1
	v_bfrev_b32_e32 v56, 60
	v_lshlrev_b32_e32 v52, 20, v52
	v_and_b32_e32 v55, 0x80000000, v55
	v_lshl_add_u32 v38, v38, 23, v56
	v_or3_b32 v38, v55, v38, v52
	v_lshrrev_b32_e32 v55, 16, v38
.LBB848_149:
	s_or_b64 exec, exec, s[10:11]
.LBB848_150:
	s_or_b64 exec, exec, s[8:9]
.LBB848_151:
	s_or_b64 exec, exec, s[2:3]
	s_mov_b32 s2, 0xffffff
	v_cmp_lt_u32_e32 vcc, s2, v39
	v_mov_b32_e32 v52, 0
	v_mov_b32_e32 v56, 0
	s_and_saveexec_b64 s[2:3], vcc
	s_cbranch_execz .LBB848_157
; %bb.152:
	v_lshrrev_b32_e32 v38, 24, v39
	s_movk_i32 s8, 0x80
	v_cmp_ne_u32_e32 vcc, s8, v38
	v_mov_b32_e32 v56, 0xffff8000
	s_and_saveexec_b64 s[8:9], vcc
	s_cbranch_execz .LBB848_156
; %bb.153:
	v_bfe_u32 v39, v39, 24, 7
	s_movk_i32 s10, 0x7f
	v_cmp_ne_u32_e32 vcc, s10, v39
	v_mov_b32_e32 v56, 0x7f80
	s_and_saveexec_b64 s[10:11], vcc
	s_cbranch_execz .LBB848_155
; %bb.154:
	v_and_b32_e32 v58, 7, v38
	v_ffbh_u32_e32 v56, v58
	v_min_u32_e32 v60, 32, v56
	v_subrev_u32_e32 v56, 28, v60
	v_lshlrev_b64 v[56:57], v56, v[38:39]
	v_lshrrev_b32_e32 v59, 3, v39
	v_sub_u32_e32 v57, 29, v60
	v_and_b32_e32 v56, 7, v56
	v_cmp_gt_u32_e32 vcc, 8, v39
	v_cndmask_b32_e32 v39, v59, v57, vcc
	v_cndmask_b32_e32 v56, v58, v56, vcc
	v_lshlrev_b32_e32 v38, 24, v38
	v_bfrev_b32_e32 v57, 60
	v_lshlrev_b32_e32 v56, 20, v56
	v_and_b32_e32 v38, 0x80000000, v38
	v_lshl_add_u32 v39, v39, 23, v57
	v_or3_b32 v38, v38, v39, v56
	v_lshrrev_b32_e32 v56, 16, v38
.LBB848_155:
	s_or_b64 exec, exec, s[10:11]
.LBB848_156:
	s_or_b64 exec, exec, s[8:9]
.LBB848_157:
	s_or_b64 exec, exec, s[2:3]
	s_mov_b32 s2, 0x5040100
	v_perm_b32 v39, v54, v44, s2
	v_perm_b32 v38, v43, v53, s2
	v_cmp_ne_u16_sdwa s[8:9], v40, v52 src0_sel:BYTE_0 src1_sel:DWORD
	s_nop 0
	v_mfma_f32_16x16x16bf16_1k v[58:61], v[38:39], v[26:27], 0
	v_perm_b32 v39, v56, v55, s2
	v_perm_b32 v38, v42, v45, s2
	s_nop 1
	v_mfma_f32_16x16x16bf16_1k v[42:45], v[38:39], v[28:29], v[58:61]
	s_and_saveexec_b64 s[2:3], s[8:9]
	s_cbranch_execz .LBB848_163
; %bb.158:
	s_movk_i32 s8, 0x80
	v_cmp_ne_u16_sdwa s[10:11], v40, s8 src0_sel:BYTE_0 src1_sel:DWORD
	v_mov_b32_e32 v52, 0xffff8000
	s_and_saveexec_b64 s[8:9], s[10:11]
	s_cbranch_execz .LBB848_162
; %bb.159:
	s_movk_i32 s10, 0x7f
	v_and_b32_e32 v38, 0x7f, v40
	v_cmp_ne_u32_e32 vcc, s10, v38
	v_mov_b32_e32 v52, 0x7f80
	s_and_saveexec_b64 s[10:11], vcc
	s_cbranch_execz .LBB848_161
; %bb.160:
	v_and_b32_e32 v39, 7, v40
	v_ffbh_u32_e32 v52, v39
	v_min_u32_e32 v55, 32, v52
	v_subrev_u32_e32 v52, 28, v55
	v_lshlrev_b64 v[52:53], v52, v[40:41]
	v_lshrrev_b32_e32 v54, 3, v38
	v_sub_u32_e32 v53, 29, v55
	v_and_b32_e32 v52, 7, v52
	v_cmp_gt_u32_e32 vcc, 8, v38
	v_cndmask_b32_e32 v38, v54, v53, vcc
	v_cndmask_b32_e32 v39, v39, v52, vcc
	v_lshlrev_b32_e32 v52, 24, v40
	v_bfrev_b32_e32 v53, 60
	v_lshlrev_b32_e32 v39, 20, v39
	v_and_b32_e32 v52, 0x80000000, v52
	v_lshl_add_u32 v38, v38, 23, v53
	v_or3_b32 v38, v52, v38, v39
	v_lshrrev_b32_e32 v52, 16, v38
.LBB848_161:
	s_or_b64 exec, exec, s[10:11]
.LBB848_162:
	s_or_b64 exec, exec, s[8:9]
.LBB848_163:
	s_or_b64 exec, exec, s[2:3]
	v_lshrrev_b16_e32 v38, 8, v40
	v_cmp_ne_u16_e32 vcc, 0, v38
	v_mov_b32_e32 v54, 0
	v_mov_b32_e32 v39, 0
	s_and_saveexec_b64 s[2:3], vcc
	s_cbranch_execz .LBB848_169
; %bb.164:
	s_movk_i32 s8, 0x80
	v_cmp_ne_u16_e32 vcc, s8, v38
	v_mov_b32_e32 v39, 0xffff8000
	s_and_saveexec_b64 s[8:9], vcc
	s_cbranch_execz .LBB848_168
; %bb.165:
	s_movk_i32 s10, 0x7f
	v_and_b32_e32 v53, 0x7f, v38
	v_cmp_ne_u32_e32 vcc, s10, v53
	v_mov_b32_e32 v39, 0x7f80
	s_and_saveexec_b64 s[10:11], vcc
	s_cbranch_execz .LBB848_167
; %bb.166:
	v_and_b32_e32 v55, 7, v38
	v_ffbh_u32_e32 v39, v55
	v_min_u32_e32 v57, 32, v39
	v_subrev_u32_e32 v39, 28, v57
	v_lshlrev_b64 v[38:39], v39, v[38:39]
	v_lshrrev_b32_e32 v56, 3, v53
	v_sub_u32_e32 v39, 29, v57
	v_and_b32_e32 v38, 7, v38
	v_cmp_gt_u32_e32 vcc, 8, v53
	v_cndmask_b32_e32 v39, v56, v39, vcc
	v_cndmask_b32_e32 v38, v55, v38, vcc
	v_lshlrev_b32_e32 v53, 16, v40
	v_bfrev_b32_e32 v55, 60
	v_lshlrev_b32_e32 v38, 20, v38
	v_and_b32_e32 v53, 0x80000000, v53
	v_lshl_add_u32 v39, v39, 23, v55
	v_or3_b32 v38, v53, v39, v38
	v_lshrrev_b32_e32 v39, 16, v38
.LBB848_167:
	s_or_b64 exec, exec, s[10:11]
.LBB848_168:
	s_or_b64 exec, exec, s[8:9]
.LBB848_169:
	s_or_b64 exec, exec, s[2:3]
	s_movk_i32 s2, 0xff
	v_and_b32_sdwa v53, v40, s2 dst_sel:DWORD dst_unused:UNUSED_PAD src0_sel:WORD_1 src1_sel:DWORD
	v_lshrrev_b32_e32 v38, 16, v40
	v_cmp_ne_u16_e32 vcc, 0, v53
	s_and_saveexec_b64 s[2:3], vcc
	s_cbranch_execz .LBB848_175
; %bb.170:
	s_movk_i32 s8, 0x80
	v_cmp_ne_u16_e32 vcc, s8, v53
	v_mov_b32_e32 v54, 0xffff8000
	s_and_saveexec_b64 s[8:9], vcc
	s_cbranch_execz .LBB848_174
; %bb.171:
	v_bfe_u32 v53, v40, 16, 7
	s_movk_i32 s10, 0x7f
	v_cmp_ne_u32_e32 vcc, s10, v53
	v_mov_b32_e32 v54, 0x7f80
	s_and_saveexec_b64 s[10:11], vcc
	s_cbranch_execz .LBB848_173
; %bb.172:
	v_and_b32_e32 v56, 7, v38
	v_ffbh_u32_e32 v54, v56
	v_min_u32_e32 v58, 32, v54
	v_subrev_u32_e32 v54, 28, v58
	v_lshlrev_b64 v[54:55], v54, v[38:39]
	v_and_b32_e32 v54, 7, v54
	v_cmp_gt_u32_e32 vcc, 8, v53
	v_lshrrev_b32_e32 v57, 3, v53
	v_sub_u32_e32 v38, 29, v58
	v_cndmask_b32_e32 v53, v56, v54, vcc
	v_mov_b32_e32 v54, 24
	v_cndmask_b32_e32 v38, v57, v38, vcc
	v_lshlrev_b32_sdwa v54, v54, v40 dst_sel:DWORD dst_unused:UNUSED_PAD src0_sel:DWORD src1_sel:WORD_1
	v_bfrev_b32_e32 v55, 60
	v_lshlrev_b32_e32 v53, 20, v53
	v_and_b32_e32 v54, 0x80000000, v54
	v_lshl_add_u32 v38, v38, 23, v55
	v_or3_b32 v38, v54, v38, v53
	v_lshrrev_b32_e32 v54, 16, v38
.LBB848_173:
	s_or_b64 exec, exec, s[10:11]
.LBB848_174:
	s_or_b64 exec, exec, s[8:9]
.LBB848_175:
	s_or_b64 exec, exec, s[2:3]
	s_mov_b32 s2, 0xffffff
	v_cmp_lt_u32_e32 vcc, s2, v40
	v_mov_b32_e32 v55, 0
	v_mov_b32_e32 v56, 0
	s_and_saveexec_b64 s[2:3], vcc
	s_cbranch_execz .LBB848_181
; %bb.176:
	v_lshrrev_b32_e32 v38, 24, v40
	s_movk_i32 s8, 0x80
	v_cmp_ne_u32_e32 vcc, s8, v38
	v_mov_b32_e32 v56, 0xffff8000
	s_and_saveexec_b64 s[8:9], vcc
	s_cbranch_execz .LBB848_180
; %bb.177:
	v_bfe_u32 v40, v40, 24, 7
	s_movk_i32 s10, 0x7f
	v_cmp_ne_u32_e32 vcc, s10, v40
	v_mov_b32_e32 v56, 0x7f80
	s_and_saveexec_b64 s[10:11], vcc
	s_cbranch_execz .LBB848_179
; %bb.178:
	v_and_b32_e32 v53, 7, v38
	v_ffbh_u32_e32 v56, v53
	v_min_u32_e32 v59, 32, v56
	v_subrev_u32_e32 v56, 28, v59
	v_lshlrev_b64 v[56:57], v56, v[38:39]
	v_lshrrev_b32_e32 v58, 3, v40
	v_sub_u32_e32 v57, 29, v59
	v_and_b32_e32 v56, 7, v56
	v_cmp_gt_u32_e32 vcc, 8, v40
	v_cndmask_b32_e32 v40, v58, v57, vcc
	v_cndmask_b32_e32 v53, v53, v56, vcc
	v_lshlrev_b32_e32 v38, 24, v38
	v_bfrev_b32_e32 v56, 60
	v_lshlrev_b32_e32 v53, 20, v53
	v_and_b32_e32 v38, 0x80000000, v38
	v_lshl_add_u32 v40, v40, 23, v56
	v_or3_b32 v38, v38, v40, v53
	v_lshrrev_b32_e32 v56, 16, v38
.LBB848_179:
	s_or_b64 exec, exec, s[10:11]
.LBB848_180:
	s_or_b64 exec, exec, s[8:9]
.LBB848_181:
	s_or_b64 exec, exec, s[2:3]
	v_cmp_ne_u16_sdwa s[8:9], v41, v55 src0_sel:BYTE_0 src1_sel:DWORD
	s_and_saveexec_b64 s[2:3], s[8:9]
	s_cbranch_execz .LBB848_187
; %bb.182:
	s_movk_i32 s8, 0x80
	v_cmp_ne_u16_sdwa s[10:11], v41, s8 src0_sel:BYTE_0 src1_sel:DWORD
	v_mov_b32_e32 v55, 0xffff8000
	s_and_saveexec_b64 s[8:9], s[10:11]
	s_cbranch_execz .LBB848_186
; %bb.183:
	s_movk_i32 s10, 0x7f
	v_and_b32_e32 v38, 0x7f, v41
	v_cmp_ne_u32_e32 vcc, s10, v38
	v_mov_b32_e32 v55, 0x7f80
	s_and_saveexec_b64 s[10:11], vcc
	s_cbranch_execz .LBB848_185
; %bb.184:
	v_and_b32_e32 v53, 7, v41
	v_ffbh_u32_e32 v57, v53
	v_min_u32_e32 v57, 32, v57
	v_mov_b32_e32 v40, v41
	v_subrev_u32_e32 v58, 28, v57
	v_lshlrev_b64 v[58:59], v58, v[40:41]
	v_lshrrev_b32_e32 v55, 3, v38
	v_sub_u32_e32 v40, 29, v57
	v_and_b32_e32 v57, 7, v58
	v_cmp_gt_u32_e32 vcc, 8, v38
	v_cndmask_b32_e32 v38, v55, v40, vcc
	v_cndmask_b32_e32 v40, v53, v57, vcc
	v_lshlrev_b32_e32 v53, 24, v41
	v_bfrev_b32_e32 v55, 60
	v_lshlrev_b32_e32 v40, 20, v40
	v_and_b32_e32 v53, 0x80000000, v53
	v_lshl_add_u32 v38, v38, 23, v55
	v_or3_b32 v38, v53, v38, v40
	v_lshrrev_b32_e32 v55, 16, v38
.LBB848_185:
	s_or_b64 exec, exec, s[10:11]
.LBB848_186:
	s_or_b64 exec, exec, s[8:9]
.LBB848_187:
	s_or_b64 exec, exec, s[2:3]
	v_lshrrev_b16_e32 v38, 8, v41
	v_cmp_ne_u16_e32 vcc, 0, v38
	v_mov_b32_e32 v57, 0
	v_mov_b32_e32 v40, 0
	s_and_saveexec_b64 s[2:3], vcc
	s_cbranch_execz .LBB848_193
; %bb.188:
	s_movk_i32 s8, 0x80
	v_cmp_ne_u16_e32 vcc, s8, v38
	v_mov_b32_e32 v40, 0xffff8000
	s_and_saveexec_b64 s[8:9], vcc
	s_cbranch_execz .LBB848_192
; %bb.189:
	s_movk_i32 s10, 0x7f
	v_and_b32_e32 v53, 0x7f, v38
	v_cmp_ne_u32_e32 vcc, s10, v53
	v_mov_b32_e32 v40, 0x7f80
	s_and_saveexec_b64 s[10:11], vcc
	s_cbranch_execz .LBB848_191
; %bb.190:
	v_and_b32_e32 v40, 7, v38
	v_ffbh_u32_e32 v58, v40
	v_min_u32_e32 v61, 32, v58
	v_subrev_u32_e32 v58, 28, v61
	v_lshlrev_b64 v[58:59], v58, v[38:39]
	v_lshrrev_b32_e32 v60, 3, v53
	v_sub_u32_e32 v38, 29, v61
	v_and_b32_e32 v58, 7, v58
	v_cmp_gt_u32_e32 vcc, 8, v53
	v_cndmask_b32_e32 v38, v60, v38, vcc
	v_cndmask_b32_e32 v40, v40, v58, vcc
	v_lshlrev_b32_e32 v53, 16, v41
	v_bfrev_b32_e32 v58, 60
	v_lshlrev_b32_e32 v40, 20, v40
	v_and_b32_e32 v53, 0x80000000, v53
	v_lshl_add_u32 v38, v38, 23, v58
	v_or3_b32 v38, v53, v38, v40
	v_lshrrev_b32_e32 v40, 16, v38
.LBB848_191:
	s_or_b64 exec, exec, s[10:11]
.LBB848_192:
	s_or_b64 exec, exec, s[8:9]
.LBB848_193:
	s_or_b64 exec, exec, s[2:3]
	s_movk_i32 s2, 0xff
	v_and_b32_sdwa v53, v41, s2 dst_sel:DWORD dst_unused:UNUSED_PAD src0_sel:WORD_1 src1_sel:DWORD
	v_lshrrev_b32_e32 v38, 16, v41
	v_cmp_ne_u16_e32 vcc, 0, v53
	s_and_saveexec_b64 s[2:3], vcc
	s_cbranch_execz .LBB848_199
; %bb.194:
	s_movk_i32 s8, 0x80
	v_cmp_ne_u16_e32 vcc, s8, v53
	v_mov_b32_e32 v57, 0xffff8000
	s_and_saveexec_b64 s[8:9], vcc
	s_cbranch_execz .LBB848_198
; %bb.195:
	v_bfe_u32 v53, v41, 16, 7
	s_movk_i32 s10, 0x7f
	v_cmp_ne_u32_e32 vcc, s10, v53
	v_mov_b32_e32 v57, 0x7f80
	s_and_saveexec_b64 s[10:11], vcc
	s_cbranch_execz .LBB848_197
; %bb.196:
	v_and_b32_e32 v57, 7, v38
	v_ffbh_u32_e32 v58, v57
	v_min_u32_e32 v61, 32, v58
	v_subrev_u32_e32 v58, 28, v61
	v_lshlrev_b64 v[58:59], v58, v[38:39]
	v_and_b32_e32 v58, 7, v58
	v_cmp_gt_u32_e32 vcc, 8, v53
	v_lshrrev_b32_e32 v60, 3, v53
	v_sub_u32_e32 v38, 29, v61
	v_cndmask_b32_e32 v53, v57, v58, vcc
	v_mov_b32_e32 v57, 24
	v_cndmask_b32_e32 v38, v60, v38, vcc
	v_lshlrev_b32_sdwa v57, v57, v41 dst_sel:DWORD dst_unused:UNUSED_PAD src0_sel:DWORD src1_sel:WORD_1
	v_bfrev_b32_e32 v58, 60
	v_lshlrev_b32_e32 v53, 20, v53
	v_and_b32_e32 v57, 0x80000000, v57
	v_lshl_add_u32 v38, v38, 23, v58
	v_or3_b32 v38, v57, v38, v53
	v_lshrrev_b32_e32 v57, 16, v38
.LBB848_197:
	s_or_b64 exec, exec, s[10:11]
.LBB848_198:
	s_or_b64 exec, exec, s[8:9]
.LBB848_199:
	s_or_b64 exec, exec, s[2:3]
	s_mov_b32 s2, 0xffffff
	v_cmp_lt_u32_e32 vcc, s2, v41
	v_mov_b32_e32 v53, 0
	v_mov_b32_e32 v58, 0
	s_and_saveexec_b64 s[2:3], vcc
	s_cbranch_execz .LBB848_205
; %bb.200:
	v_lshrrev_b32_e32 v38, 24, v41
	s_movk_i32 s8, 0x80
	v_cmp_ne_u32_e32 vcc, s8, v38
	v_mov_b32_e32 v58, 0xffff8000
	s_and_saveexec_b64 s[8:9], vcc
	s_cbranch_execz .LBB848_204
; %bb.201:
	v_bfe_u32 v41, v41, 24, 7
	s_movk_i32 s10, 0x7f
	v_cmp_ne_u32_e32 vcc, s10, v41
	v_mov_b32_e32 v58, 0x7f80
	s_and_saveexec_b64 s[10:11], vcc
	s_cbranch_execz .LBB848_203
; %bb.202:
	v_and_b32_e32 v60, 7, v38
	v_ffbh_u32_e32 v58, v60
	v_min_u32_e32 v62, 32, v58
	v_subrev_u32_e32 v58, 28, v62
	v_lshlrev_b64 v[58:59], v58, v[38:39]
	v_lshrrev_b32_e32 v61, 3, v41
	v_sub_u32_e32 v59, 29, v62
	v_and_b32_e32 v58, 7, v58
	v_cmp_gt_u32_e32 vcc, 8, v41
	v_cndmask_b32_e32 v41, v61, v59, vcc
	v_cndmask_b32_e32 v58, v60, v58, vcc
	v_lshlrev_b32_e32 v38, 24, v38
	v_bfrev_b32_e32 v59, 60
	v_lshlrev_b32_e32 v58, 20, v58
	v_and_b32_e32 v38, 0x80000000, v38
	v_lshl_add_u32 v41, v41, 23, v59
	v_or3_b32 v38, v38, v41, v58
	v_lshrrev_b32_e32 v58, 16, v38
.LBB848_203:
	s_or_b64 exec, exec, s[10:11]
.LBB848_204:
	s_or_b64 exec, exec, s[8:9]
.LBB848_205:
	s_or_b64 exec, exec, s[2:3]
	s_mov_b32 s2, 0x5040100
	v_perm_b32 v61, v56, v54, s2
	v_perm_b32 v60, v39, v52, s2
	;; [unrolled: 1-line block ×4, first 2 shown]
	v_cmp_ne_u16_sdwa s[8:9], v30, v53 src0_sel:BYTE_0 src1_sel:DWORD
	v_mfma_f32_16x16x16bf16_1k v[42:45], v[60:61], v[18:19], v[42:45]
	v_mfma_f32_16x16x16bf16_1k v[38:41], v[38:39], v[20:21], v[42:45]
	s_and_saveexec_b64 s[2:3], s[8:9]
	s_cbranch_execz .LBB848_211
; %bb.206:
	s_movk_i32 s8, 0x80
	v_cmp_ne_u16_sdwa s[10:11], v30, s8 src0_sel:BYTE_0 src1_sel:DWORD
	v_mov_b32_e32 v53, 0xffff8000
	s_and_saveexec_b64 s[8:9], s[10:11]
	s_cbranch_execz .LBB848_210
; %bb.207:
	s_movk_i32 s10, 0x7f
	s_nop 1
	v_and_b32_e32 v42, 0x7f, v30
	v_cmp_ne_u32_e32 vcc, s10, v42
	v_mov_b32_e32 v53, 0x7f80
	s_and_saveexec_b64 s[10:11], vcc
	s_cbranch_execz .LBB848_209
; %bb.208:
	v_and_b32_e32 v43, 7, v30
	v_ffbh_u32_e32 v44, v43
	v_min_u32_e32 v53, 32, v44
	v_subrev_u32_e32 v44, 28, v53
	v_lshlrev_b64 v[44:45], v44, v[30:31]
	v_lshrrev_b32_e32 v52, 3, v42
	v_sub_u32_e32 v45, 29, v53
	v_and_b32_e32 v44, 7, v44
	v_cmp_gt_u32_e32 vcc, 8, v42
	v_cndmask_b32_e32 v42, v52, v45, vcc
	v_cndmask_b32_e32 v43, v43, v44, vcc
	v_lshlrev_b32_e32 v44, 24, v30
	v_bfrev_b32_e32 v45, 60
	v_lshlrev_b32_e32 v43, 20, v43
	v_and_b32_e32 v44, 0x80000000, v44
	v_lshl_add_u32 v42, v42, 23, v45
	v_or3_b32 v42, v44, v42, v43
	v_lshrrev_b32_e32 v53, 16, v42
.LBB848_209:
	s_or_b64 exec, exec, s[10:11]
.LBB848_210:
	s_or_b64 exec, exec, s[8:9]
.LBB848_211:
	s_or_b64 exec, exec, s[2:3]
	s_nop 6
	v_lshrrev_b16_e32 v42, 8, v30
	v_cmp_ne_u16_e32 vcc, 0, v42
	v_mov_b32_e32 v44, 0
	v_mov_b32_e32 v43, 0
	s_and_saveexec_b64 s[2:3], vcc
	s_cbranch_execz .LBB848_217
; %bb.212:
	s_movk_i32 s8, 0x80
	v_cmp_ne_u16_e32 vcc, s8, v42
	v_mov_b32_e32 v43, 0xffff8000
	s_and_saveexec_b64 s[8:9], vcc
	s_cbranch_execz .LBB848_216
; %bb.213:
	s_movk_i32 s10, 0x7f
	v_and_b32_e32 v45, 0x7f, v42
	v_cmp_ne_u32_e32 vcc, s10, v45
	v_mov_b32_e32 v43, 0x7f80
	s_and_saveexec_b64 s[10:11], vcc
	s_cbranch_execz .LBB848_215
; %bb.214:
	v_and_b32_e32 v52, 7, v42
	v_ffbh_u32_e32 v43, v52
	v_min_u32_e32 v55, 32, v43
	v_subrev_u32_e32 v43, 28, v55
	v_lshlrev_b64 v[42:43], v43, v[42:43]
	v_lshrrev_b32_e32 v54, 3, v45
	v_sub_u32_e32 v43, 29, v55
	v_and_b32_e32 v42, 7, v42
	v_cmp_gt_u32_e32 vcc, 8, v45
	v_cndmask_b32_e32 v43, v54, v43, vcc
	v_cndmask_b32_e32 v42, v52, v42, vcc
	v_lshlrev_b32_e32 v45, 16, v30
	v_bfrev_b32_e32 v52, 60
	v_lshlrev_b32_e32 v42, 20, v42
	v_and_b32_e32 v45, 0x80000000, v45
	v_lshl_add_u32 v43, v43, 23, v52
	v_or3_b32 v42, v45, v43, v42
	v_lshrrev_b32_e32 v43, 16, v42
.LBB848_215:
	s_or_b64 exec, exec, s[10:11]
.LBB848_216:
	s_or_b64 exec, exec, s[8:9]
.LBB848_217:
	s_or_b64 exec, exec, s[2:3]
	s_movk_i32 s2, 0xff
	v_and_b32_sdwa v45, v30, s2 dst_sel:DWORD dst_unused:UNUSED_PAD src0_sel:WORD_1 src1_sel:DWORD
	v_lshrrev_b32_e32 v42, 16, v30
	v_cmp_ne_u16_e32 vcc, 0, v45
	s_and_saveexec_b64 s[2:3], vcc
	s_cbranch_execz .LBB848_223
; %bb.218:
	s_movk_i32 s8, 0x80
	v_cmp_ne_u16_e32 vcc, s8, v45
	v_mov_b32_e32 v44, 0xffff8000
	s_and_saveexec_b64 s[8:9], vcc
	s_cbranch_execz .LBB848_222
; %bb.219:
	v_bfe_u32 v45, v30, 16, 7
	s_movk_i32 s10, 0x7f
	v_cmp_ne_u32_e32 vcc, s10, v45
	v_mov_b32_e32 v44, 0x7f80
	s_and_saveexec_b64 s[10:11], vcc
	s_cbranch_execz .LBB848_221
; %bb.220:
	v_and_b32_e32 v44, 7, v42
	v_ffbh_u32_e32 v54, v44
	v_min_u32_e32 v56, 32, v54
	v_subrev_u32_e32 v54, 28, v56
	v_lshlrev_b64 v[54:55], v54, v[42:43]
	v_lshrrev_b32_e32 v52, 3, v45
	v_sub_u32_e32 v42, 29, v56
	v_and_b32_e32 v54, 7, v54
	v_cmp_gt_u32_e32 vcc, 8, v45
	v_mov_b32_e32 v45, 24
	v_cndmask_b32_e32 v42, v52, v42, vcc
	v_cndmask_b32_e32 v44, v44, v54, vcc
	v_lshlrev_b32_sdwa v45, v45, v30 dst_sel:DWORD dst_unused:UNUSED_PAD src0_sel:DWORD src1_sel:WORD_1
	v_bfrev_b32_e32 v52, 60
	v_lshlrev_b32_e32 v44, 20, v44
	v_and_b32_e32 v45, 0x80000000, v45
	v_lshl_add_u32 v42, v42, 23, v52
	v_or3_b32 v42, v45, v42, v44
	v_lshrrev_b32_e32 v44, 16, v42
.LBB848_221:
	s_or_b64 exec, exec, s[10:11]
.LBB848_222:
	s_or_b64 exec, exec, s[8:9]
.LBB848_223:
	s_or_b64 exec, exec, s[2:3]
	s_mov_b32 s2, 0xffffff
	v_cmp_lt_u32_e32 vcc, s2, v30
	v_mov_b32_e32 v45, 0
	v_mov_b32_e32 v54, 0
	s_and_saveexec_b64 s[2:3], vcc
	s_cbranch_execz .LBB848_229
; %bb.224:
	v_lshrrev_b32_e32 v42, 24, v30
	s_movk_i32 s8, 0x80
	v_cmp_ne_u32_e32 vcc, s8, v42
	v_mov_b32_e32 v54, 0xffff8000
	s_and_saveexec_b64 s[8:9], vcc
	s_cbranch_execz .LBB848_228
; %bb.225:
	v_bfe_u32 v30, v30, 24, 7
	s_movk_i32 s10, 0x7f
	v_cmp_ne_u32_e32 vcc, s10, v30
	v_mov_b32_e32 v54, 0x7f80
	s_and_saveexec_b64 s[10:11], vcc
	s_cbranch_execz .LBB848_227
; %bb.226:
	v_and_b32_e32 v52, 7, v42
	v_ffbh_u32_e32 v54, v52
	v_min_u32_e32 v57, 32, v54
	v_subrev_u32_e32 v54, 28, v57
	v_lshlrev_b64 v[54:55], v54, v[42:43]
	v_lshrrev_b32_e32 v56, 3, v30
	v_sub_u32_e32 v55, 29, v57
	v_and_b32_e32 v54, 7, v54
	v_cmp_gt_u32_e32 vcc, 8, v30
	v_cndmask_b32_e32 v30, v56, v55, vcc
	v_cndmask_b32_e32 v52, v52, v54, vcc
	v_lshlrev_b32_e32 v42, 24, v42
	v_bfrev_b32_e32 v54, 60
	v_lshlrev_b32_e32 v52, 20, v52
	v_and_b32_e32 v42, 0x80000000, v42
	v_lshl_add_u32 v30, v30, 23, v54
	v_or3_b32 v30, v42, v30, v52
	v_lshrrev_b32_e32 v54, 16, v30
.LBB848_227:
	s_or_b64 exec, exec, s[10:11]
.LBB848_228:
	s_or_b64 exec, exec, s[8:9]
.LBB848_229:
	s_or_b64 exec, exec, s[2:3]
	v_cmp_ne_u16_sdwa s[8:9], v31, v45 src0_sel:BYTE_0 src1_sel:DWORD
	s_and_saveexec_b64 s[2:3], s[8:9]
	s_cbranch_execz .LBB848_235
; %bb.230:
	s_movk_i32 s8, 0x80
	v_cmp_ne_u16_sdwa s[10:11], v31, s8 src0_sel:BYTE_0 src1_sel:DWORD
	v_mov_b32_e32 v45, 0xffff8000
	s_and_saveexec_b64 s[8:9], s[10:11]
	s_cbranch_execz .LBB848_234
; %bb.231:
	s_movk_i32 s10, 0x7f
	v_and_b32_e32 v30, 0x7f, v31
	v_cmp_ne_u32_e32 vcc, s10, v30
	v_mov_b32_e32 v45, 0x7f80
	s_and_saveexec_b64 s[10:11], vcc
	s_cbranch_execz .LBB848_233
; %bb.232:
	v_and_b32_e32 v45, 7, v31
	v_ffbh_u32_e32 v55, v45
	v_min_u32_e32 v55, 32, v55
	v_mov_b32_e32 v42, v31
	v_subrev_u32_e32 v56, 28, v55
	v_lshlrev_b64 v[56:57], v56, v[42:43]
	v_lshrrev_b32_e32 v52, 3, v30
	v_sub_u32_e32 v42, 29, v55
	v_and_b32_e32 v55, 7, v56
	v_cmp_gt_u32_e32 vcc, 8, v30
	v_cndmask_b32_e32 v30, v52, v42, vcc
	v_cndmask_b32_e32 v42, v45, v55, vcc
	v_lshlrev_b32_e32 v45, 24, v31
	v_bfrev_b32_e32 v52, 60
	v_lshlrev_b32_e32 v42, 20, v42
	v_and_b32_e32 v45, 0x80000000, v45
	v_lshl_add_u32 v30, v30, 23, v52
	v_or3_b32 v30, v45, v30, v42
	v_lshrrev_b32_e32 v45, 16, v30
.LBB848_233:
	s_or_b64 exec, exec, s[10:11]
.LBB848_234:
	s_or_b64 exec, exec, s[8:9]
.LBB848_235:
	s_or_b64 exec, exec, s[2:3]
	v_lshrrev_b16_e32 v30, 8, v31
	v_cmp_ne_u16_e32 vcc, 0, v30
	v_mov_b32_e32 v55, 0
	v_mov_b32_e32 v42, 0
	s_and_saveexec_b64 s[2:3], vcc
	s_cbranch_execz .LBB848_241
; %bb.236:
	s_movk_i32 s8, 0x80
	v_cmp_ne_u16_e32 vcc, s8, v30
	v_mov_b32_e32 v42, 0xffff8000
	s_and_saveexec_b64 s[8:9], vcc
	s_cbranch_execz .LBB848_240
; %bb.237:
	s_movk_i32 s10, 0x7f
	v_and_b32_e32 v52, 0x7f, v30
	v_cmp_ne_u32_e32 vcc, s10, v52
	v_mov_b32_e32 v42, 0x7f80
	s_and_saveexec_b64 s[10:11], vcc
	s_cbranch_execz .LBB848_239
; %bb.238:
	v_and_b32_e32 v42, 7, v30
	v_ffbh_u32_e32 v56, v42
	v_min_u32_e32 v59, 32, v56
	v_subrev_u32_e32 v56, 28, v59
	v_lshlrev_b64 v[56:57], v56, v[30:31]
	v_lshrrev_b32_e32 v58, 3, v52
	v_sub_u32_e32 v30, 29, v59
	v_and_b32_e32 v56, 7, v56
	v_cmp_gt_u32_e32 vcc, 8, v52
	v_cndmask_b32_e32 v30, v58, v30, vcc
	v_cndmask_b32_e32 v42, v42, v56, vcc
	v_lshlrev_b32_e32 v52, 16, v31
	v_bfrev_b32_e32 v56, 60
	v_lshlrev_b32_e32 v42, 20, v42
	v_and_b32_e32 v52, 0x80000000, v52
	v_lshl_add_u32 v30, v30, 23, v56
	v_or3_b32 v30, v52, v30, v42
	v_lshrrev_b32_e32 v42, 16, v30
.LBB848_239:
	s_or_b64 exec, exec, s[10:11]
.LBB848_240:
	s_or_b64 exec, exec, s[8:9]
.LBB848_241:
	s_or_b64 exec, exec, s[2:3]
	s_movk_i32 s2, 0xff
	v_and_b32_sdwa v52, v31, s2 dst_sel:DWORD dst_unused:UNUSED_PAD src0_sel:WORD_1 src1_sel:DWORD
	v_lshrrev_b32_e32 v30, 16, v31
	v_cmp_ne_u16_e32 vcc, 0, v52
	s_and_saveexec_b64 s[2:3], vcc
	s_cbranch_execz .LBB848_247
; %bb.242:
	s_movk_i32 s8, 0x80
	v_cmp_ne_u16_e32 vcc, s8, v52
	v_mov_b32_e32 v55, 0xffff8000
	s_and_saveexec_b64 s[8:9], vcc
	s_cbranch_execz .LBB848_246
; %bb.243:
	v_bfe_u32 v52, v31, 16, 7
	s_movk_i32 s10, 0x7f
	v_cmp_ne_u32_e32 vcc, s10, v52
	v_mov_b32_e32 v55, 0x7f80
	s_and_saveexec_b64 s[10:11], vcc
	s_cbranch_execz .LBB848_245
; %bb.244:
	v_and_b32_e32 v55, 7, v30
	v_ffbh_u32_e32 v56, v55
	v_min_u32_e32 v59, 32, v56
	v_subrev_u32_e32 v56, 28, v59
	v_lshlrev_b64 v[56:57], v56, v[30:31]
	v_and_b32_e32 v56, 7, v56
	v_cmp_gt_u32_e32 vcc, 8, v52
	v_lshrrev_b32_e32 v58, 3, v52
	v_sub_u32_e32 v30, 29, v59
	v_cndmask_b32_e32 v52, v55, v56, vcc
	v_mov_b32_e32 v55, 24
	v_cndmask_b32_e32 v30, v58, v30, vcc
	v_lshlrev_b32_sdwa v55, v55, v31 dst_sel:DWORD dst_unused:UNUSED_PAD src0_sel:DWORD src1_sel:WORD_1
	v_bfrev_b32_e32 v56, 60
	v_lshlrev_b32_e32 v52, 20, v52
	v_and_b32_e32 v55, 0x80000000, v55
	v_lshl_add_u32 v30, v30, 23, v56
	v_or3_b32 v30, v55, v30, v52
	v_lshrrev_b32_e32 v55, 16, v30
.LBB848_245:
	s_or_b64 exec, exec, s[10:11]
.LBB848_246:
	s_or_b64 exec, exec, s[8:9]
.LBB848_247:
	s_or_b64 exec, exec, s[2:3]
	s_mov_b32 s2, 0xffffff
	v_cmp_lt_u32_e32 vcc, s2, v31
	v_mov_b32_e32 v52, 0
	v_mov_b32_e32 v56, 0
	s_and_saveexec_b64 s[2:3], vcc
	s_cbranch_execz .LBB848_253
; %bb.248:
	v_lshrrev_b32_e32 v30, 24, v31
	s_movk_i32 s8, 0x80
	v_cmp_ne_u32_e32 vcc, s8, v30
	v_mov_b32_e32 v56, 0xffff8000
	s_and_saveexec_b64 s[8:9], vcc
	s_cbranch_execz .LBB848_252
; %bb.249:
	v_bfe_u32 v31, v31, 24, 7
	s_movk_i32 s10, 0x7f
	v_cmp_ne_u32_e32 vcc, s10, v31
	v_mov_b32_e32 v56, 0x7f80
	s_and_saveexec_b64 s[10:11], vcc
	s_cbranch_execz .LBB848_251
; %bb.250:
	v_and_b32_e32 v58, 7, v30
	v_ffbh_u32_e32 v56, v58
	v_min_u32_e32 v60, 32, v56
	v_subrev_u32_e32 v56, 28, v60
	v_lshlrev_b64 v[56:57], v56, v[30:31]
	v_lshrrev_b32_e32 v59, 3, v31
	v_sub_u32_e32 v57, 29, v60
	v_and_b32_e32 v56, 7, v56
	v_cmp_gt_u32_e32 vcc, 8, v31
	v_cndmask_b32_e32 v31, v59, v57, vcc
	v_cndmask_b32_e32 v56, v58, v56, vcc
	v_lshlrev_b32_e32 v30, 24, v30
	v_bfrev_b32_e32 v57, 60
	v_lshlrev_b32_e32 v56, 20, v56
	v_and_b32_e32 v30, 0x80000000, v30
	v_lshl_add_u32 v31, v31, 23, v57
	v_or3_b32 v30, v30, v31, v56
	v_lshrrev_b32_e32 v56, 16, v30
.LBB848_251:
	s_or_b64 exec, exec, s[10:11]
.LBB848_252:
	s_or_b64 exec, exec, s[8:9]
.LBB848_253:
	s_or_b64 exec, exec, s[2:3]
	s_mov_b32 s2, 0x5040100
	v_perm_b32 v31, v54, v44, s2
	v_perm_b32 v30, v43, v53, s2
	v_cmp_ne_u16_sdwa s[8:9], v32, v52 src0_sel:BYTE_0 src1_sel:DWORD
	s_nop 0
	v_mfma_f32_16x16x16bf16_1k v[58:61], v[30:31], v[26:27], 0
	v_perm_b32 v31, v56, v55, s2
	v_perm_b32 v30, v42, v45, s2
	s_nop 1
	v_mfma_f32_16x16x16bf16_1k v[42:45], v[30:31], v[28:29], v[58:61]
	s_and_saveexec_b64 s[2:3], s[8:9]
	s_cbranch_execz .LBB848_259
; %bb.254:
	s_movk_i32 s8, 0x80
	v_cmp_ne_u16_sdwa s[10:11], v32, s8 src0_sel:BYTE_0 src1_sel:DWORD
	v_mov_b32_e32 v52, 0xffff8000
	s_and_saveexec_b64 s[8:9], s[10:11]
	s_cbranch_execz .LBB848_258
; %bb.255:
	s_movk_i32 s10, 0x7f
	v_and_b32_e32 v30, 0x7f, v32
	v_cmp_ne_u32_e32 vcc, s10, v30
	v_mov_b32_e32 v52, 0x7f80
	s_and_saveexec_b64 s[10:11], vcc
	s_cbranch_execz .LBB848_257
; %bb.256:
	v_and_b32_e32 v31, 7, v32
	v_ffbh_u32_e32 v52, v31
	v_min_u32_e32 v55, 32, v52
	v_subrev_u32_e32 v52, 28, v55
	v_lshlrev_b64 v[52:53], v52, v[32:33]
	v_lshrrev_b32_e32 v54, 3, v30
	v_sub_u32_e32 v53, 29, v55
	v_and_b32_e32 v52, 7, v52
	v_cmp_gt_u32_e32 vcc, 8, v30
	v_cndmask_b32_e32 v30, v54, v53, vcc
	v_cndmask_b32_e32 v31, v31, v52, vcc
	v_lshlrev_b32_e32 v52, 24, v32
	v_bfrev_b32_e32 v53, 60
	v_lshlrev_b32_e32 v31, 20, v31
	v_and_b32_e32 v52, 0x80000000, v52
	v_lshl_add_u32 v30, v30, 23, v53
	v_or3_b32 v30, v52, v30, v31
	v_lshrrev_b32_e32 v52, 16, v30
.LBB848_257:
	s_or_b64 exec, exec, s[10:11]
.LBB848_258:
	s_or_b64 exec, exec, s[8:9]
.LBB848_259:
	s_or_b64 exec, exec, s[2:3]
	v_lshrrev_b16_e32 v30, 8, v32
	v_cmp_ne_u16_e32 vcc, 0, v30
	v_mov_b32_e32 v54, 0
	v_mov_b32_e32 v31, 0
	s_and_saveexec_b64 s[2:3], vcc
	s_cbranch_execz .LBB848_265
; %bb.260:
	s_movk_i32 s8, 0x80
	v_cmp_ne_u16_e32 vcc, s8, v30
	v_mov_b32_e32 v31, 0xffff8000
	s_and_saveexec_b64 s[8:9], vcc
	s_cbranch_execz .LBB848_264
; %bb.261:
	s_movk_i32 s10, 0x7f
	v_and_b32_e32 v53, 0x7f, v30
	v_cmp_ne_u32_e32 vcc, s10, v53
	v_mov_b32_e32 v31, 0x7f80
	s_and_saveexec_b64 s[10:11], vcc
	s_cbranch_execz .LBB848_263
; %bb.262:
	v_and_b32_e32 v55, 7, v30
	v_ffbh_u32_e32 v31, v55
	v_min_u32_e32 v57, 32, v31
	v_subrev_u32_e32 v31, 28, v57
	v_lshlrev_b64 v[30:31], v31, v[30:31]
	v_lshrrev_b32_e32 v56, 3, v53
	v_sub_u32_e32 v31, 29, v57
	v_and_b32_e32 v30, 7, v30
	v_cmp_gt_u32_e32 vcc, 8, v53
	v_cndmask_b32_e32 v31, v56, v31, vcc
	v_cndmask_b32_e32 v30, v55, v30, vcc
	v_lshlrev_b32_e32 v53, 16, v32
	v_bfrev_b32_e32 v55, 60
	v_lshlrev_b32_e32 v30, 20, v30
	v_and_b32_e32 v53, 0x80000000, v53
	v_lshl_add_u32 v31, v31, 23, v55
	v_or3_b32 v30, v53, v31, v30
	v_lshrrev_b32_e32 v31, 16, v30
.LBB848_263:
	s_or_b64 exec, exec, s[10:11]
.LBB848_264:
	s_or_b64 exec, exec, s[8:9]
.LBB848_265:
	s_or_b64 exec, exec, s[2:3]
	s_movk_i32 s2, 0xff
	v_and_b32_sdwa v53, v32, s2 dst_sel:DWORD dst_unused:UNUSED_PAD src0_sel:WORD_1 src1_sel:DWORD
	v_lshrrev_b32_e32 v30, 16, v32
	v_cmp_ne_u16_e32 vcc, 0, v53
	s_and_saveexec_b64 s[2:3], vcc
	s_cbranch_execz .LBB848_271
; %bb.266:
	s_movk_i32 s8, 0x80
	v_cmp_ne_u16_e32 vcc, s8, v53
	v_mov_b32_e32 v54, 0xffff8000
	s_and_saveexec_b64 s[8:9], vcc
	s_cbranch_execz .LBB848_270
; %bb.267:
	v_bfe_u32 v53, v32, 16, 7
	s_movk_i32 s10, 0x7f
	v_cmp_ne_u32_e32 vcc, s10, v53
	v_mov_b32_e32 v54, 0x7f80
	s_and_saveexec_b64 s[10:11], vcc
	s_cbranch_execz .LBB848_269
; %bb.268:
	v_and_b32_e32 v56, 7, v30
	v_ffbh_u32_e32 v54, v56
	v_min_u32_e32 v58, 32, v54
	v_subrev_u32_e32 v54, 28, v58
	v_lshlrev_b64 v[54:55], v54, v[30:31]
	v_and_b32_e32 v54, 7, v54
	v_cmp_gt_u32_e32 vcc, 8, v53
	v_lshrrev_b32_e32 v57, 3, v53
	v_sub_u32_e32 v30, 29, v58
	v_cndmask_b32_e32 v53, v56, v54, vcc
	v_mov_b32_e32 v54, 24
	v_cndmask_b32_e32 v30, v57, v30, vcc
	v_lshlrev_b32_sdwa v54, v54, v32 dst_sel:DWORD dst_unused:UNUSED_PAD src0_sel:DWORD src1_sel:WORD_1
	v_bfrev_b32_e32 v55, 60
	v_lshlrev_b32_e32 v53, 20, v53
	v_and_b32_e32 v54, 0x80000000, v54
	v_lshl_add_u32 v30, v30, 23, v55
	v_or3_b32 v30, v54, v30, v53
	v_lshrrev_b32_e32 v54, 16, v30
.LBB848_269:
	s_or_b64 exec, exec, s[10:11]
.LBB848_270:
	s_or_b64 exec, exec, s[8:9]
.LBB848_271:
	s_or_b64 exec, exec, s[2:3]
	s_mov_b32 s2, 0xffffff
	v_cmp_lt_u32_e32 vcc, s2, v32
	v_mov_b32_e32 v55, 0
	v_mov_b32_e32 v56, 0
	s_and_saveexec_b64 s[2:3], vcc
	s_cbranch_execz .LBB848_277
; %bb.272:
	v_lshrrev_b32_e32 v30, 24, v32
	s_movk_i32 s8, 0x80
	v_cmp_ne_u32_e32 vcc, s8, v30
	v_mov_b32_e32 v56, 0xffff8000
	s_and_saveexec_b64 s[8:9], vcc
	s_cbranch_execz .LBB848_276
; %bb.273:
	v_bfe_u32 v32, v32, 24, 7
	s_movk_i32 s10, 0x7f
	v_cmp_ne_u32_e32 vcc, s10, v32
	v_mov_b32_e32 v56, 0x7f80
	s_and_saveexec_b64 s[10:11], vcc
	s_cbranch_execz .LBB848_275
; %bb.274:
	v_and_b32_e32 v53, 7, v30
	v_ffbh_u32_e32 v56, v53
	v_min_u32_e32 v59, 32, v56
	v_subrev_u32_e32 v56, 28, v59
	v_lshlrev_b64 v[56:57], v56, v[30:31]
	v_lshrrev_b32_e32 v58, 3, v32
	v_sub_u32_e32 v57, 29, v59
	v_and_b32_e32 v56, 7, v56
	v_cmp_gt_u32_e32 vcc, 8, v32
	v_cndmask_b32_e32 v32, v58, v57, vcc
	v_cndmask_b32_e32 v53, v53, v56, vcc
	v_lshlrev_b32_e32 v30, 24, v30
	v_bfrev_b32_e32 v56, 60
	v_lshlrev_b32_e32 v53, 20, v53
	v_and_b32_e32 v30, 0x80000000, v30
	v_lshl_add_u32 v32, v32, 23, v56
	v_or3_b32 v30, v30, v32, v53
	v_lshrrev_b32_e32 v56, 16, v30
.LBB848_275:
	s_or_b64 exec, exec, s[10:11]
.LBB848_276:
	s_or_b64 exec, exec, s[8:9]
.LBB848_277:
	s_or_b64 exec, exec, s[2:3]
	v_cmp_ne_u16_sdwa s[8:9], v33, v55 src0_sel:BYTE_0 src1_sel:DWORD
	s_and_saveexec_b64 s[2:3], s[8:9]
	s_cbranch_execz .LBB848_283
; %bb.278:
	s_movk_i32 s8, 0x80
	v_cmp_ne_u16_sdwa s[10:11], v33, s8 src0_sel:BYTE_0 src1_sel:DWORD
	v_mov_b32_e32 v55, 0xffff8000
	s_and_saveexec_b64 s[8:9], s[10:11]
	s_cbranch_execz .LBB848_282
; %bb.279:
	s_movk_i32 s10, 0x7f
	v_and_b32_e32 v30, 0x7f, v33
	v_cmp_ne_u32_e32 vcc, s10, v30
	v_mov_b32_e32 v55, 0x7f80
	s_and_saveexec_b64 s[10:11], vcc
	s_cbranch_execz .LBB848_281
; %bb.280:
	v_and_b32_e32 v53, 7, v33
	v_ffbh_u32_e32 v57, v53
	v_min_u32_e32 v57, 32, v57
	v_mov_b32_e32 v32, v33
	v_subrev_u32_e32 v58, 28, v57
	v_lshlrev_b64 v[58:59], v58, v[32:33]
	v_lshrrev_b32_e32 v55, 3, v30
	v_sub_u32_e32 v32, 29, v57
	v_and_b32_e32 v57, 7, v58
	v_cmp_gt_u32_e32 vcc, 8, v30
	v_cndmask_b32_e32 v30, v55, v32, vcc
	v_cndmask_b32_e32 v32, v53, v57, vcc
	v_lshlrev_b32_e32 v53, 24, v33
	v_bfrev_b32_e32 v55, 60
	v_lshlrev_b32_e32 v32, 20, v32
	v_and_b32_e32 v53, 0x80000000, v53
	v_lshl_add_u32 v30, v30, 23, v55
	v_or3_b32 v30, v53, v30, v32
	v_lshrrev_b32_e32 v55, 16, v30
.LBB848_281:
	s_or_b64 exec, exec, s[10:11]
.LBB848_282:
	s_or_b64 exec, exec, s[8:9]
.LBB848_283:
	s_or_b64 exec, exec, s[2:3]
	v_lshrrev_b16_e32 v30, 8, v33
	v_cmp_ne_u16_e32 vcc, 0, v30
	v_mov_b32_e32 v57, 0
	v_mov_b32_e32 v32, 0
	s_and_saveexec_b64 s[2:3], vcc
	s_cbranch_execz .LBB848_289
; %bb.284:
	s_movk_i32 s8, 0x80
	v_cmp_ne_u16_e32 vcc, s8, v30
	v_mov_b32_e32 v32, 0xffff8000
	s_and_saveexec_b64 s[8:9], vcc
	s_cbranch_execz .LBB848_288
; %bb.285:
	s_movk_i32 s10, 0x7f
	v_and_b32_e32 v53, 0x7f, v30
	v_cmp_ne_u32_e32 vcc, s10, v53
	v_mov_b32_e32 v32, 0x7f80
	s_and_saveexec_b64 s[10:11], vcc
	s_cbranch_execz .LBB848_287
; %bb.286:
	v_and_b32_e32 v32, 7, v30
	v_ffbh_u32_e32 v58, v32
	v_min_u32_e32 v61, 32, v58
	v_subrev_u32_e32 v58, 28, v61
	v_lshlrev_b64 v[58:59], v58, v[30:31]
	v_lshrrev_b32_e32 v60, 3, v53
	v_sub_u32_e32 v30, 29, v61
	v_and_b32_e32 v58, 7, v58
	v_cmp_gt_u32_e32 vcc, 8, v53
	v_cndmask_b32_e32 v30, v60, v30, vcc
	v_cndmask_b32_e32 v32, v32, v58, vcc
	v_lshlrev_b32_e32 v53, 16, v33
	v_bfrev_b32_e32 v58, 60
	v_lshlrev_b32_e32 v32, 20, v32
	v_and_b32_e32 v53, 0x80000000, v53
	v_lshl_add_u32 v30, v30, 23, v58
	v_or3_b32 v30, v53, v30, v32
	v_lshrrev_b32_e32 v32, 16, v30
.LBB848_287:
	s_or_b64 exec, exec, s[10:11]
.LBB848_288:
	s_or_b64 exec, exec, s[8:9]
.LBB848_289:
	s_or_b64 exec, exec, s[2:3]
	s_movk_i32 s2, 0xff
	v_and_b32_sdwa v53, v33, s2 dst_sel:DWORD dst_unused:UNUSED_PAD src0_sel:WORD_1 src1_sel:DWORD
	v_lshrrev_b32_e32 v30, 16, v33
	v_cmp_ne_u16_e32 vcc, 0, v53
	s_and_saveexec_b64 s[2:3], vcc
	s_cbranch_execz .LBB848_295
; %bb.290:
	s_movk_i32 s8, 0x80
	v_cmp_ne_u16_e32 vcc, s8, v53
	v_mov_b32_e32 v57, 0xffff8000
	s_and_saveexec_b64 s[8:9], vcc
	s_cbranch_execz .LBB848_294
; %bb.291:
	v_bfe_u32 v53, v33, 16, 7
	s_movk_i32 s10, 0x7f
	v_cmp_ne_u32_e32 vcc, s10, v53
	v_mov_b32_e32 v57, 0x7f80
	s_and_saveexec_b64 s[10:11], vcc
	s_cbranch_execz .LBB848_293
; %bb.292:
	v_and_b32_e32 v57, 7, v30
	v_ffbh_u32_e32 v58, v57
	v_min_u32_e32 v61, 32, v58
	v_subrev_u32_e32 v58, 28, v61
	v_lshlrev_b64 v[58:59], v58, v[30:31]
	v_and_b32_e32 v58, 7, v58
	v_cmp_gt_u32_e32 vcc, 8, v53
	v_lshrrev_b32_e32 v60, 3, v53
	v_sub_u32_e32 v30, 29, v61
	v_cndmask_b32_e32 v53, v57, v58, vcc
	v_mov_b32_e32 v57, 24
	v_cndmask_b32_e32 v30, v60, v30, vcc
	v_lshlrev_b32_sdwa v57, v57, v33 dst_sel:DWORD dst_unused:UNUSED_PAD src0_sel:DWORD src1_sel:WORD_1
	v_bfrev_b32_e32 v58, 60
	v_lshlrev_b32_e32 v53, 20, v53
	v_and_b32_e32 v57, 0x80000000, v57
	v_lshl_add_u32 v30, v30, 23, v58
	v_or3_b32 v30, v57, v30, v53
	v_lshrrev_b32_e32 v57, 16, v30
.LBB848_293:
	s_or_b64 exec, exec, s[10:11]
.LBB848_294:
	s_or_b64 exec, exec, s[8:9]
.LBB848_295:
	s_or_b64 exec, exec, s[2:3]
	s_mov_b32 s2, 0xffffff
	v_cmp_lt_u32_e32 vcc, s2, v33
	v_mov_b32_e32 v53, 0
	v_mov_b32_e32 v58, 0
	s_and_saveexec_b64 s[2:3], vcc
	s_cbranch_execz .LBB848_301
; %bb.296:
	v_lshrrev_b32_e32 v30, 24, v33
	s_movk_i32 s8, 0x80
	v_cmp_ne_u32_e32 vcc, s8, v30
	v_mov_b32_e32 v58, 0xffff8000
	s_and_saveexec_b64 s[8:9], vcc
	s_cbranch_execz .LBB848_300
; %bb.297:
	v_bfe_u32 v33, v33, 24, 7
	s_movk_i32 s10, 0x7f
	v_cmp_ne_u32_e32 vcc, s10, v33
	v_mov_b32_e32 v58, 0x7f80
	s_and_saveexec_b64 s[10:11], vcc
	s_cbranch_execz .LBB848_299
; %bb.298:
	v_and_b32_e32 v60, 7, v30
	v_ffbh_u32_e32 v58, v60
	v_min_u32_e32 v62, 32, v58
	v_subrev_u32_e32 v58, 28, v62
	v_lshlrev_b64 v[58:59], v58, v[30:31]
	v_lshrrev_b32_e32 v61, 3, v33
	v_sub_u32_e32 v59, 29, v62
	v_and_b32_e32 v58, 7, v58
	v_cmp_gt_u32_e32 vcc, 8, v33
	v_cndmask_b32_e32 v33, v61, v59, vcc
	v_cndmask_b32_e32 v58, v60, v58, vcc
	v_lshlrev_b32_e32 v30, 24, v30
	v_bfrev_b32_e32 v59, 60
	v_lshlrev_b32_e32 v58, 20, v58
	v_and_b32_e32 v30, 0x80000000, v30
	v_lshl_add_u32 v33, v33, 23, v59
	v_or3_b32 v30, v30, v33, v58
	v_lshrrev_b32_e32 v58, 16, v30
.LBB848_299:
	s_or_b64 exec, exec, s[10:11]
.LBB848_300:
	s_or_b64 exec, exec, s[8:9]
.LBB848_301:
	s_or_b64 exec, exec, s[2:3]
	s_mov_b32 s2, 0x5040100
	v_perm_b32 v61, v56, v54, s2
	v_perm_b32 v60, v31, v52, s2
	;; [unrolled: 1-line block ×4, first 2 shown]
	v_cmp_ne_u16_sdwa s[8:9], v22, v53 src0_sel:BYTE_0 src1_sel:DWORD
	v_mfma_f32_16x16x16bf16_1k v[42:45], v[60:61], v[18:19], v[42:45]
	v_mfma_f32_16x16x16bf16_1k v[30:33], v[30:31], v[20:21], v[42:45]
	s_and_saveexec_b64 s[2:3], s[8:9]
	s_cbranch_execz .LBB848_307
; %bb.302:
	s_movk_i32 s8, 0x80
	v_cmp_ne_u16_sdwa s[10:11], v22, s8 src0_sel:BYTE_0 src1_sel:DWORD
	v_mov_b32_e32 v53, 0xffff8000
	s_and_saveexec_b64 s[8:9], s[10:11]
	s_cbranch_execz .LBB848_306
; %bb.303:
	s_movk_i32 s10, 0x7f
	s_nop 1
	v_and_b32_e32 v42, 0x7f, v22
	v_cmp_ne_u32_e32 vcc, s10, v42
	v_mov_b32_e32 v53, 0x7f80
	s_and_saveexec_b64 s[10:11], vcc
	s_cbranch_execz .LBB848_305
; %bb.304:
	v_and_b32_e32 v43, 7, v22
	v_ffbh_u32_e32 v44, v43
	v_min_u32_e32 v53, 32, v44
	v_subrev_u32_e32 v44, 28, v53
	v_lshlrev_b64 v[44:45], v44, v[22:23]
	v_lshrrev_b32_e32 v52, 3, v42
	v_sub_u32_e32 v45, 29, v53
	v_and_b32_e32 v44, 7, v44
	v_cmp_gt_u32_e32 vcc, 8, v42
	v_cndmask_b32_e32 v42, v52, v45, vcc
	v_cndmask_b32_e32 v43, v43, v44, vcc
	v_lshlrev_b32_e32 v44, 24, v22
	v_bfrev_b32_e32 v45, 60
	v_lshlrev_b32_e32 v43, 20, v43
	v_and_b32_e32 v44, 0x80000000, v44
	v_lshl_add_u32 v42, v42, 23, v45
	v_or3_b32 v42, v44, v42, v43
	v_lshrrev_b32_e32 v53, 16, v42
.LBB848_305:
	s_or_b64 exec, exec, s[10:11]
.LBB848_306:
	s_or_b64 exec, exec, s[8:9]
.LBB848_307:
	s_or_b64 exec, exec, s[2:3]
	s_nop 6
	v_lshrrev_b16_e32 v42, 8, v22
	v_cmp_ne_u16_e32 vcc, 0, v42
	v_mov_b32_e32 v44, 0
	v_mov_b32_e32 v43, 0
	s_and_saveexec_b64 s[2:3], vcc
	s_cbranch_execz .LBB848_313
; %bb.308:
	s_movk_i32 s8, 0x80
	v_cmp_ne_u16_e32 vcc, s8, v42
	v_mov_b32_e32 v43, 0xffff8000
	s_and_saveexec_b64 s[8:9], vcc
	s_cbranch_execz .LBB848_312
; %bb.309:
	s_movk_i32 s10, 0x7f
	v_and_b32_e32 v45, 0x7f, v42
	v_cmp_ne_u32_e32 vcc, s10, v45
	v_mov_b32_e32 v43, 0x7f80
	s_and_saveexec_b64 s[10:11], vcc
	s_cbranch_execz .LBB848_311
; %bb.310:
	v_and_b32_e32 v52, 7, v42
	v_ffbh_u32_e32 v43, v52
	v_min_u32_e32 v55, 32, v43
	v_subrev_u32_e32 v43, 28, v55
	v_lshlrev_b64 v[42:43], v43, v[42:43]
	v_lshrrev_b32_e32 v54, 3, v45
	v_sub_u32_e32 v43, 29, v55
	v_and_b32_e32 v42, 7, v42
	v_cmp_gt_u32_e32 vcc, 8, v45
	v_cndmask_b32_e32 v43, v54, v43, vcc
	v_cndmask_b32_e32 v42, v52, v42, vcc
	v_lshlrev_b32_e32 v45, 16, v22
	v_bfrev_b32_e32 v52, 60
	v_lshlrev_b32_e32 v42, 20, v42
	v_and_b32_e32 v45, 0x80000000, v45
	v_lshl_add_u32 v43, v43, 23, v52
	v_or3_b32 v42, v45, v43, v42
	v_lshrrev_b32_e32 v43, 16, v42
.LBB848_311:
	s_or_b64 exec, exec, s[10:11]
.LBB848_312:
	s_or_b64 exec, exec, s[8:9]
.LBB848_313:
	s_or_b64 exec, exec, s[2:3]
	s_movk_i32 s2, 0xff
	v_and_b32_sdwa v45, v22, s2 dst_sel:DWORD dst_unused:UNUSED_PAD src0_sel:WORD_1 src1_sel:DWORD
	v_lshrrev_b32_e32 v42, 16, v22
	v_cmp_ne_u16_e32 vcc, 0, v45
	s_and_saveexec_b64 s[2:3], vcc
	s_cbranch_execz .LBB848_319
; %bb.314:
	s_movk_i32 s8, 0x80
	v_cmp_ne_u16_e32 vcc, s8, v45
	v_mov_b32_e32 v44, 0xffff8000
	s_and_saveexec_b64 s[8:9], vcc
	s_cbranch_execz .LBB848_318
; %bb.315:
	v_bfe_u32 v45, v22, 16, 7
	s_movk_i32 s10, 0x7f
	v_cmp_ne_u32_e32 vcc, s10, v45
	v_mov_b32_e32 v44, 0x7f80
	s_and_saveexec_b64 s[10:11], vcc
	s_cbranch_execz .LBB848_317
; %bb.316:
	v_and_b32_e32 v44, 7, v42
	v_ffbh_u32_e32 v54, v44
	v_min_u32_e32 v56, 32, v54
	v_subrev_u32_e32 v54, 28, v56
	v_lshlrev_b64 v[54:55], v54, v[42:43]
	v_lshrrev_b32_e32 v52, 3, v45
	v_sub_u32_e32 v42, 29, v56
	v_and_b32_e32 v54, 7, v54
	v_cmp_gt_u32_e32 vcc, 8, v45
	v_mov_b32_e32 v45, 24
	v_cndmask_b32_e32 v42, v52, v42, vcc
	v_cndmask_b32_e32 v44, v44, v54, vcc
	v_lshlrev_b32_sdwa v45, v45, v22 dst_sel:DWORD dst_unused:UNUSED_PAD src0_sel:DWORD src1_sel:WORD_1
	v_bfrev_b32_e32 v52, 60
	v_lshlrev_b32_e32 v44, 20, v44
	v_and_b32_e32 v45, 0x80000000, v45
	v_lshl_add_u32 v42, v42, 23, v52
	v_or3_b32 v42, v45, v42, v44
	v_lshrrev_b32_e32 v44, 16, v42
.LBB848_317:
	s_or_b64 exec, exec, s[10:11]
.LBB848_318:
	s_or_b64 exec, exec, s[8:9]
.LBB848_319:
	s_or_b64 exec, exec, s[2:3]
	s_mov_b32 s2, 0xffffff
	v_cmp_lt_u32_e32 vcc, s2, v22
	v_mov_b32_e32 v45, 0
	v_mov_b32_e32 v52, 0
	s_and_saveexec_b64 s[2:3], vcc
	s_cbranch_execz .LBB848_325
; %bb.320:
	v_lshrrev_b32_e32 v42, 24, v22
	s_movk_i32 s8, 0x80
	v_cmp_ne_u32_e32 vcc, s8, v42
	v_mov_b32_e32 v52, 0xffff8000
	s_and_saveexec_b64 s[8:9], vcc
	s_cbranch_execz .LBB848_324
; %bb.321:
	v_bfe_u32 v22, v22, 24, 7
	s_movk_i32 s10, 0x7f
	v_cmp_ne_u32_e32 vcc, s10, v22
	v_mov_b32_e32 v52, 0x7f80
	s_and_saveexec_b64 s[10:11], vcc
	s_cbranch_execz .LBB848_323
; %bb.322:
	v_and_b32_e32 v52, 7, v42
	v_ffbh_u32_e32 v54, v52
	v_min_u32_e32 v57, 32, v54
	v_subrev_u32_e32 v54, 28, v57
	v_lshlrev_b64 v[54:55], v54, v[42:43]
	v_lshrrev_b32_e32 v56, 3, v22
	v_sub_u32_e32 v55, 29, v57
	v_and_b32_e32 v54, 7, v54
	v_cmp_gt_u32_e32 vcc, 8, v22
	v_cndmask_b32_e32 v22, v56, v55, vcc
	v_cndmask_b32_e32 v52, v52, v54, vcc
	v_lshlrev_b32_e32 v42, 24, v42
	v_bfrev_b32_e32 v54, 60
	v_lshlrev_b32_e32 v52, 20, v52
	v_and_b32_e32 v42, 0x80000000, v42
	v_lshl_add_u32 v22, v22, 23, v54
	v_or3_b32 v22, v42, v22, v52
	v_lshrrev_b32_e32 v52, 16, v22
.LBB848_323:
	s_or_b64 exec, exec, s[10:11]
.LBB848_324:
	s_or_b64 exec, exec, s[8:9]
.LBB848_325:
	s_or_b64 exec, exec, s[2:3]
	v_cmp_ne_u16_sdwa s[8:9], v23, v45 src0_sel:BYTE_0 src1_sel:DWORD
	s_and_saveexec_b64 s[2:3], s[8:9]
	s_cbranch_execz .LBB848_331
; %bb.326:
	s_movk_i32 s8, 0x80
	v_cmp_ne_u16_sdwa s[10:11], v23, s8 src0_sel:BYTE_0 src1_sel:DWORD
	v_mov_b32_e32 v45, 0xffff8000
	s_and_saveexec_b64 s[8:9], s[10:11]
	s_cbranch_execz .LBB848_330
; %bb.327:
	s_movk_i32 s10, 0x7f
	v_and_b32_e32 v22, 0x7f, v23
	v_cmp_ne_u32_e32 vcc, s10, v22
	v_mov_b32_e32 v45, 0x7f80
	s_and_saveexec_b64 s[10:11], vcc
	s_cbranch_execz .LBB848_329
; %bb.328:
	v_and_b32_e32 v45, 7, v23
	v_ffbh_u32_e32 v54, v45
	v_min_u32_e32 v57, 32, v54
	v_mov_b32_e32 v42, v23
	v_subrev_u32_e32 v54, 28, v57
	v_lshlrev_b64 v[54:55], v54, v[42:43]
	v_lshrrev_b32_e32 v56, 3, v22
	v_sub_u32_e32 v42, 29, v57
	v_and_b32_e32 v54, 7, v54
	v_cmp_gt_u32_e32 vcc, 8, v22
	v_cndmask_b32_e32 v22, v56, v42, vcc
	v_cndmask_b32_e32 v42, v45, v54, vcc
	v_lshlrev_b32_e32 v45, 24, v23
	v_bfrev_b32_e32 v54, 60
	v_lshlrev_b32_e32 v42, 20, v42
	v_and_b32_e32 v45, 0x80000000, v45
	v_lshl_add_u32 v22, v22, 23, v54
	v_or3_b32 v22, v45, v22, v42
	v_lshrrev_b32_e32 v45, 16, v22
.LBB848_329:
	s_or_b64 exec, exec, s[10:11]
.LBB848_330:
	s_or_b64 exec, exec, s[8:9]
.LBB848_331:
	s_or_b64 exec, exec, s[2:3]
	v_lshrrev_b16_e32 v22, 8, v23
	v_cmp_ne_u16_e32 vcc, 0, v22
	v_mov_b32_e32 v55, 0
	v_mov_b32_e32 v54, 0
	s_and_saveexec_b64 s[2:3], vcc
	s_cbranch_execz .LBB848_337
; %bb.332:
	s_movk_i32 s8, 0x80
	v_cmp_ne_u16_e32 vcc, s8, v22
	v_mov_b32_e32 v54, 0xffff8000
	s_and_saveexec_b64 s[8:9], vcc
	s_cbranch_execz .LBB848_336
; %bb.333:
	s_movk_i32 s10, 0x7f
	v_and_b32_e32 v42, 0x7f, v22
	v_cmp_ne_u32_e32 vcc, s10, v42
	v_mov_b32_e32 v54, 0x7f80
	s_and_saveexec_b64 s[10:11], vcc
	s_cbranch_execz .LBB848_335
; %bb.334:
	v_and_b32_e32 v54, 7, v22
	v_ffbh_u32_e32 v56, v54
	v_min_u32_e32 v59, 32, v56
	v_subrev_u32_e32 v56, 28, v59
	v_lshlrev_b64 v[56:57], v56, v[22:23]
	v_lshrrev_b32_e32 v58, 3, v42
	v_sub_u32_e32 v22, 29, v59
	v_and_b32_e32 v56, 7, v56
	v_cmp_gt_u32_e32 vcc, 8, v42
	v_cndmask_b32_e32 v22, v58, v22, vcc
	v_cndmask_b32_e32 v42, v54, v56, vcc
	v_lshlrev_b32_e32 v54, 16, v23
	v_bfrev_b32_e32 v56, 60
	v_lshlrev_b32_e32 v42, 20, v42
	v_and_b32_e32 v54, 0x80000000, v54
	v_lshl_add_u32 v22, v22, 23, v56
	v_or3_b32 v22, v54, v22, v42
	v_lshrrev_b32_e32 v54, 16, v22
.LBB848_335:
	s_or_b64 exec, exec, s[10:11]
.LBB848_336:
	s_or_b64 exec, exec, s[8:9]
.LBB848_337:
	s_or_b64 exec, exec, s[2:3]
	s_movk_i32 s2, 0xff
	v_and_b32_sdwa v42, v23, s2 dst_sel:DWORD dst_unused:UNUSED_PAD src0_sel:WORD_1 src1_sel:DWORD
	v_lshrrev_b32_e32 v22, 16, v23
	v_cmp_ne_u16_e32 vcc, 0, v42
	s_and_saveexec_b64 s[2:3], vcc
	s_cbranch_execz .LBB848_343
; %bb.338:
	s_movk_i32 s8, 0x80
	v_cmp_ne_u16_e32 vcc, s8, v42
	v_mov_b32_e32 v55, 0xffff8000
	s_and_saveexec_b64 s[8:9], vcc
	s_cbranch_execz .LBB848_342
; %bb.339:
	v_bfe_u32 v42, v23, 16, 7
	s_movk_i32 s10, 0x7f
	v_cmp_ne_u32_e32 vcc, s10, v42
	v_mov_b32_e32 v55, 0x7f80
	s_and_saveexec_b64 s[10:11], vcc
	s_cbranch_execz .LBB848_341
; %bb.340:
	v_and_b32_e32 v55, 7, v22
	v_ffbh_u32_e32 v56, v55
	v_min_u32_e32 v59, 32, v56
	v_subrev_u32_e32 v56, 28, v59
	v_lshlrev_b64 v[56:57], v56, v[22:23]
	v_and_b32_e32 v56, 7, v56
	v_cmp_gt_u32_e32 vcc, 8, v42
	v_lshrrev_b32_e32 v58, 3, v42
	v_sub_u32_e32 v22, 29, v59
	v_cndmask_b32_e32 v42, v55, v56, vcc
	v_mov_b32_e32 v55, 24
	v_cndmask_b32_e32 v22, v58, v22, vcc
	v_lshlrev_b32_sdwa v55, v55, v23 dst_sel:DWORD dst_unused:UNUSED_PAD src0_sel:DWORD src1_sel:WORD_1
	v_bfrev_b32_e32 v56, 60
	v_lshlrev_b32_e32 v42, 20, v42
	v_and_b32_e32 v55, 0x80000000, v55
	v_lshl_add_u32 v22, v22, 23, v56
	v_or3_b32 v22, v55, v22, v42
	v_lshrrev_b32_e32 v55, 16, v22
.LBB848_341:
	s_or_b64 exec, exec, s[10:11]
.LBB848_342:
	s_or_b64 exec, exec, s[8:9]
.LBB848_343:
	s_or_b64 exec, exec, s[2:3]
	s_mov_b32 s2, 0xffffff
	v_cmp_lt_u32_e32 vcc, s2, v23
	v_mov_b32_e32 v42, 0
	v_mov_b32_e32 v56, 0
	s_and_saveexec_b64 s[2:3], vcc
	s_cbranch_execz .LBB848_349
; %bb.344:
	v_lshrrev_b32_e32 v22, 24, v23
	s_movk_i32 s8, 0x80
	v_cmp_ne_u32_e32 vcc, s8, v22
	v_mov_b32_e32 v56, 0xffff8000
	s_and_saveexec_b64 s[8:9], vcc
	s_cbranch_execz .LBB848_348
; %bb.345:
	v_bfe_u32 v23, v23, 24, 7
	s_movk_i32 s10, 0x7f
	v_cmp_ne_u32_e32 vcc, s10, v23
	v_mov_b32_e32 v56, 0x7f80
	s_and_saveexec_b64 s[10:11], vcc
	s_cbranch_execz .LBB848_347
; %bb.346:
	v_and_b32_e32 v58, 7, v22
	v_ffbh_u32_e32 v56, v58
	v_min_u32_e32 v60, 32, v56
	v_subrev_u32_e32 v56, 28, v60
	v_lshlrev_b64 v[56:57], v56, v[22:23]
	v_lshrrev_b32_e32 v59, 3, v23
	v_sub_u32_e32 v57, 29, v60
	v_and_b32_e32 v56, 7, v56
	v_cmp_gt_u32_e32 vcc, 8, v23
	v_cndmask_b32_e32 v23, v59, v57, vcc
	v_cndmask_b32_e32 v56, v58, v56, vcc
	v_lshlrev_b32_e32 v22, 24, v22
	v_bfrev_b32_e32 v57, 60
	v_lshlrev_b32_e32 v56, 20, v56
	v_and_b32_e32 v22, 0x80000000, v22
	v_lshl_add_u32 v23, v23, 23, v57
	v_or3_b32 v22, v22, v23, v56
	v_lshrrev_b32_e32 v56, 16, v22
.LBB848_347:
	s_or_b64 exec, exec, s[10:11]
.LBB848_348:
	s_or_b64 exec, exec, s[8:9]
.LBB848_349:
	s_or_b64 exec, exec, s[2:3]
	s_mov_b32 s2, 0x5040100
	v_perm_b32 v23, v52, v44, s2
	v_perm_b32 v22, v43, v53, s2
	v_cmp_ne_u16_sdwa s[8:9], v24, v42 src0_sel:BYTE_0 src1_sel:DWORD
	s_nop 0
	v_mfma_f32_16x16x16bf16_1k v[58:61], v[22:23], v[26:27], 0
	v_perm_b32 v23, v56, v55, s2
	v_perm_b32 v22, v54, v45, s2
	s_nop 1
	v_mfma_f32_16x16x16bf16_1k v[26:29], v[22:23], v[28:29], v[58:61]
	s_and_saveexec_b64 s[2:3], s[8:9]
	s_cbranch_execz .LBB848_355
; %bb.350:
	s_movk_i32 s8, 0x80
	v_cmp_ne_u16_sdwa s[10:11], v24, s8 src0_sel:BYTE_0 src1_sel:DWORD
	v_mov_b32_e32 v42, 0xffff8000
	s_and_saveexec_b64 s[8:9], s[10:11]
	s_cbranch_execz .LBB848_354
; %bb.351:
	s_movk_i32 s10, 0x7f
	v_and_b32_e32 v22, 0x7f, v24
	v_cmp_ne_u32_e32 vcc, s10, v22
	v_mov_b32_e32 v42, 0x7f80
	s_and_saveexec_b64 s[10:11], vcc
	s_cbranch_execz .LBB848_353
; %bb.352:
	v_and_b32_e32 v23, 7, v24
	v_ffbh_u32_e32 v42, v23
	v_min_u32_e32 v45, 32, v42
	v_subrev_u32_e32 v42, 28, v45
	v_lshlrev_b64 v[42:43], v42, v[24:25]
	v_lshrrev_b32_e32 v44, 3, v22
	v_sub_u32_e32 v43, 29, v45
	v_and_b32_e32 v42, 7, v42
	v_cmp_gt_u32_e32 vcc, 8, v22
	v_cndmask_b32_e32 v22, v44, v43, vcc
	v_cndmask_b32_e32 v23, v23, v42, vcc
	v_lshlrev_b32_e32 v42, 24, v24
	v_bfrev_b32_e32 v43, 60
	v_lshlrev_b32_e32 v23, 20, v23
	v_and_b32_e32 v42, 0x80000000, v42
	v_lshl_add_u32 v22, v22, 23, v43
	v_or3_b32 v22, v42, v22, v23
	v_lshrrev_b32_e32 v42, 16, v22
.LBB848_353:
	s_or_b64 exec, exec, s[10:11]
.LBB848_354:
	s_or_b64 exec, exec, s[8:9]
.LBB848_355:
	s_or_b64 exec, exec, s[2:3]
	v_lshrrev_b16_e32 v22, 8, v24
	v_cmp_ne_u16_e32 vcc, 0, v22
	v_mov_b32_e32 v43, 0
	v_mov_b32_e32 v23, 0
	s_and_saveexec_b64 s[2:3], vcc
	s_cbranch_execz .LBB848_361
; %bb.356:
	s_movk_i32 s8, 0x80
	v_cmp_ne_u16_e32 vcc, s8, v22
	v_mov_b32_e32 v23, 0xffff8000
	s_and_saveexec_b64 s[8:9], vcc
	s_cbranch_execz .LBB848_360
; %bb.357:
	s_movk_i32 s10, 0x7f
	v_and_b32_e32 v44, 0x7f, v22
	v_cmp_ne_u32_e32 vcc, s10, v44
	v_mov_b32_e32 v23, 0x7f80
	s_and_saveexec_b64 s[10:11], vcc
	s_cbranch_execz .LBB848_359
; %bb.358:
	v_and_b32_e32 v45, 7, v22
	v_ffbh_u32_e32 v23, v45
	v_min_u32_e32 v53, 32, v23
	v_subrev_u32_e32 v23, 28, v53
	v_lshlrev_b64 v[22:23], v23, v[22:23]
	v_lshrrev_b32_e32 v52, 3, v44
	v_sub_u32_e32 v23, 29, v53
	v_and_b32_e32 v22, 7, v22
	v_cmp_gt_u32_e32 vcc, 8, v44
	v_cndmask_b32_e32 v23, v52, v23, vcc
	v_cndmask_b32_e32 v22, v45, v22, vcc
	v_lshlrev_b32_e32 v44, 16, v24
	v_bfrev_b32_e32 v45, 60
	v_lshlrev_b32_e32 v22, 20, v22
	v_and_b32_e32 v44, 0x80000000, v44
	v_lshl_add_u32 v23, v23, 23, v45
	v_or3_b32 v22, v44, v23, v22
	v_lshrrev_b32_e32 v23, 16, v22
.LBB848_359:
	s_or_b64 exec, exec, s[10:11]
.LBB848_360:
	s_or_b64 exec, exec, s[8:9]
.LBB848_361:
	s_or_b64 exec, exec, s[2:3]
	s_movk_i32 s2, 0xff
	v_and_b32_sdwa v44, v24, s2 dst_sel:DWORD dst_unused:UNUSED_PAD src0_sel:WORD_1 src1_sel:DWORD
	v_lshrrev_b32_e32 v22, 16, v24
	v_cmp_ne_u16_e32 vcc, 0, v44
	s_and_saveexec_b64 s[2:3], vcc
	s_cbranch_execz .LBB848_367
; %bb.362:
	s_movk_i32 s8, 0x80
	v_cmp_ne_u16_e32 vcc, s8, v44
	v_mov_b32_e32 v43, 0xffff8000
	s_and_saveexec_b64 s[8:9], vcc
	s_cbranch_execz .LBB848_366
; %bb.363:
	v_bfe_u32 v44, v24, 16, 7
	s_movk_i32 s10, 0x7f
	v_cmp_ne_u32_e32 vcc, s10, v44
	v_mov_b32_e32 v43, 0x7f80
	s_and_saveexec_b64 s[10:11], vcc
	s_cbranch_execz .LBB848_365
; %bb.364:
	v_and_b32_e32 v43, 7, v22
	v_ffbh_u32_e32 v52, v43
	v_min_u32_e32 v54, 32, v52
	v_subrev_u32_e32 v52, 28, v54
	v_lshlrev_b64 v[52:53], v52, v[22:23]
	v_lshrrev_b32_e32 v45, 3, v44
	v_sub_u32_e32 v22, 29, v54
	v_and_b32_e32 v52, 7, v52
	v_cmp_gt_u32_e32 vcc, 8, v44
	v_mov_b32_e32 v44, 24
	v_cndmask_b32_e32 v22, v45, v22, vcc
	v_cndmask_b32_e32 v43, v43, v52, vcc
	v_lshlrev_b32_sdwa v44, v44, v24 dst_sel:DWORD dst_unused:UNUSED_PAD src0_sel:DWORD src1_sel:WORD_1
	v_bfrev_b32_e32 v45, 60
	v_lshlrev_b32_e32 v43, 20, v43
	v_and_b32_e32 v44, 0x80000000, v44
	v_lshl_add_u32 v22, v22, 23, v45
	v_or3_b32 v22, v44, v22, v43
	v_lshrrev_b32_e32 v43, 16, v22
.LBB848_365:
	s_or_b64 exec, exec, s[10:11]
.LBB848_366:
	s_or_b64 exec, exec, s[8:9]
.LBB848_367:
	s_or_b64 exec, exec, s[2:3]
	s_mov_b32 s2, 0xffffff
	v_cmp_lt_u32_e32 vcc, s2, v24
	v_mov_b32_e32 v45, 0
	v_mov_b32_e32 v52, 0
	s_and_saveexec_b64 s[2:3], vcc
	s_cbranch_execz .LBB848_373
; %bb.368:
	v_lshrrev_b32_e32 v22, 24, v24
	s_movk_i32 s8, 0x80
	v_cmp_ne_u32_e32 vcc, s8, v22
	v_mov_b32_e32 v52, 0xffff8000
	s_and_saveexec_b64 s[8:9], vcc
	s_cbranch_execz .LBB848_372
; %bb.369:
	v_bfe_u32 v24, v24, 24, 7
	s_movk_i32 s10, 0x7f
	v_cmp_ne_u32_e32 vcc, s10, v24
	v_mov_b32_e32 v52, 0x7f80
	s_and_saveexec_b64 s[10:11], vcc
	s_cbranch_execz .LBB848_371
; %bb.370:
	v_and_b32_e32 v44, 7, v22
	v_ffbh_u32_e32 v52, v44
	v_min_u32_e32 v55, 32, v52
	v_subrev_u32_e32 v52, 28, v55
	v_lshlrev_b64 v[52:53], v52, v[22:23]
	v_lshrrev_b32_e32 v54, 3, v24
	v_sub_u32_e32 v53, 29, v55
	v_and_b32_e32 v52, 7, v52
	v_cmp_gt_u32_e32 vcc, 8, v24
	v_cndmask_b32_e32 v24, v54, v53, vcc
	v_cndmask_b32_e32 v44, v44, v52, vcc
	v_lshlrev_b32_e32 v22, 24, v22
	v_bfrev_b32_e32 v52, 60
	v_lshlrev_b32_e32 v44, 20, v44
	v_and_b32_e32 v22, 0x80000000, v22
	v_lshl_add_u32 v24, v24, 23, v52
	v_or3_b32 v22, v22, v24, v44
	v_lshrrev_b32_e32 v52, 16, v22
.LBB848_371:
	s_or_b64 exec, exec, s[10:11]
.LBB848_372:
	s_or_b64 exec, exec, s[8:9]
.LBB848_373:
	s_or_b64 exec, exec, s[2:3]
	v_cmp_ne_u16_sdwa s[8:9], v25, v45 src0_sel:BYTE_0 src1_sel:DWORD
	s_and_saveexec_b64 s[2:3], s[8:9]
	s_cbranch_execz .LBB848_379
; %bb.374:
	s_movk_i32 s8, 0x80
	v_cmp_ne_u16_sdwa s[10:11], v25, s8 src0_sel:BYTE_0 src1_sel:DWORD
	v_mov_b32_e32 v45, 0xffff8000
	s_and_saveexec_b64 s[8:9], s[10:11]
	s_cbranch_execz .LBB848_378
; %bb.375:
	s_movk_i32 s10, 0x7f
	v_and_b32_e32 v22, 0x7f, v25
	v_cmp_ne_u32_e32 vcc, s10, v22
	v_mov_b32_e32 v45, 0x7f80
	s_and_saveexec_b64 s[10:11], vcc
	s_cbranch_execz .LBB848_377
; %bb.376:
	v_and_b32_e32 v53, 7, v25
	v_ffbh_u32_e32 v44, v53
	v_min_u32_e32 v55, 32, v44
	v_mov_b32_e32 v24, v25
	v_subrev_u32_e32 v44, 28, v55
	v_lshlrev_b64 v[44:45], v44, v[24:25]
	v_lshrrev_b32_e32 v54, 3, v22
	v_sub_u32_e32 v24, 29, v55
	v_and_b32_e32 v44, 7, v44
	v_cmp_gt_u32_e32 vcc, 8, v22
	v_cndmask_b32_e32 v22, v54, v24, vcc
	v_cndmask_b32_e32 v24, v53, v44, vcc
	v_lshlrev_b32_e32 v44, 24, v25
	v_bfrev_b32_e32 v45, 60
	v_lshlrev_b32_e32 v24, 20, v24
	v_and_b32_e32 v44, 0x80000000, v44
	v_lshl_add_u32 v22, v22, 23, v45
	v_or3_b32 v22, v44, v22, v24
	v_lshrrev_b32_e32 v45, 16, v22
.LBB848_377:
	s_or_b64 exec, exec, s[10:11]
.LBB848_378:
	s_or_b64 exec, exec, s[8:9]
.LBB848_379:
	s_or_b64 exec, exec, s[2:3]
	v_lshrrev_b16_e32 v22, 8, v25
	v_cmp_ne_u16_e32 vcc, 0, v22
	v_mov_b32_e32 v54, 0
	v_mov_b32_e32 v53, 0
	s_and_saveexec_b64 s[2:3], vcc
	s_cbranch_execz .LBB848_385
; %bb.380:
	s_movk_i32 s8, 0x80
	v_cmp_ne_u16_e32 vcc, s8, v22
	v_mov_b32_e32 v53, 0xffff8000
	s_and_saveexec_b64 s[8:9], vcc
	s_cbranch_execz .LBB848_384
; %bb.381:
	s_movk_i32 s10, 0x7f
	v_and_b32_e32 v24, 0x7f, v22
	v_cmp_ne_u32_e32 vcc, s10, v24
	v_mov_b32_e32 v53, 0x7f80
	s_and_saveexec_b64 s[10:11], vcc
	s_cbranch_execz .LBB848_383
; %bb.382:
	v_and_b32_e32 v44, 7, v22
	v_ffbh_u32_e32 v55, v44
	v_min_u32_e32 v55, 32, v55
	v_subrev_u32_e32 v56, 28, v55
	v_lshlrev_b64 v[56:57], v56, v[22:23]
	v_lshrrev_b32_e32 v53, 3, v24
	v_sub_u32_e32 v22, 29, v55
	v_and_b32_e32 v55, 7, v56
	v_cmp_gt_u32_e32 vcc, 8, v24
	v_cndmask_b32_e32 v22, v53, v22, vcc
	v_cndmask_b32_e32 v24, v44, v55, vcc
	v_lshlrev_b32_e32 v44, 16, v25
	v_bfrev_b32_e32 v53, 60
	v_lshlrev_b32_e32 v24, 20, v24
	v_and_b32_e32 v44, 0x80000000, v44
	v_lshl_add_u32 v22, v22, 23, v53
	v_or3_b32 v22, v44, v22, v24
	v_lshrrev_b32_e32 v53, 16, v22
.LBB848_383:
	s_or_b64 exec, exec, s[10:11]
.LBB848_384:
	s_or_b64 exec, exec, s[8:9]
.LBB848_385:
	s_or_b64 exec, exec, s[2:3]
	s_movk_i32 s2, 0xff
	v_and_b32_sdwa v24, v25, s2 dst_sel:DWORD dst_unused:UNUSED_PAD src0_sel:WORD_1 src1_sel:DWORD
	v_lshrrev_b32_e32 v22, 16, v25
	v_cmp_ne_u16_e32 vcc, 0, v24
	s_and_saveexec_b64 s[2:3], vcc
	s_cbranch_execz .LBB848_391
; %bb.386:
	s_movk_i32 s8, 0x80
	v_cmp_ne_u16_e32 vcc, s8, v24
	v_mov_b32_e32 v54, 0xffff8000
	s_and_saveexec_b64 s[8:9], vcc
	s_cbranch_execz .LBB848_390
; %bb.387:
	v_bfe_u32 v24, v25, 16, 7
	s_movk_i32 s10, 0x7f
	v_cmp_ne_u32_e32 vcc, s10, v24
	v_mov_b32_e32 v54, 0x7f80
	s_and_saveexec_b64 s[10:11], vcc
	s_cbranch_execz .LBB848_389
; %bb.388:
	v_and_b32_e32 v44, 7, v22
	v_ffbh_u32_e32 v54, v44
	v_min_u32_e32 v57, 32, v54
	v_subrev_u32_e32 v54, 28, v57
	v_lshlrev_b64 v[54:55], v54, v[22:23]
	v_and_b32_e32 v54, 7, v54
	v_cmp_gt_u32_e32 vcc, 8, v24
	v_lshrrev_b32_e32 v56, 3, v24
	v_sub_u32_e32 v22, 29, v57
	v_cndmask_b32_e32 v24, v44, v54, vcc
	v_mov_b32_e32 v44, 24
	v_cndmask_b32_e32 v22, v56, v22, vcc
	v_lshlrev_b32_sdwa v44, v44, v25 dst_sel:DWORD dst_unused:UNUSED_PAD src0_sel:DWORD src1_sel:WORD_1
	v_bfrev_b32_e32 v54, 60
	v_lshlrev_b32_e32 v24, 20, v24
	v_and_b32_e32 v44, 0x80000000, v44
	v_lshl_add_u32 v22, v22, 23, v54
	v_or3_b32 v22, v44, v22, v24
	v_lshrrev_b32_e32 v54, 16, v22
.LBB848_389:
	s_or_b64 exec, exec, s[10:11]
.LBB848_390:
	s_or_b64 exec, exec, s[8:9]
.LBB848_391:
	s_or_b64 exec, exec, s[2:3]
	s_mov_b32 s2, 0xffffff
	v_and_b32_e32 v44, 63, v0
	v_cmp_lt_u32_e32 vcc, s2, v25
	v_mov_b32_e32 v55, 0
	s_and_saveexec_b64 s[2:3], vcc
	s_cbranch_execz .LBB848_397
; %bb.392:
	v_lshrrev_b32_e32 v22, 24, v25
	s_movk_i32 s8, 0x80
	v_cmp_ne_u32_e32 vcc, s8, v22
	v_mov_b32_e32 v55, 0xffff8000
	s_and_saveexec_b64 s[8:9], vcc
	s_cbranch_execz .LBB848_396
; %bb.393:
	v_bfe_u32 v24, v25, 24, 7
	s_movk_i32 s10, 0x7f
	v_cmp_ne_u32_e32 vcc, s10, v24
	v_mov_b32_e32 v55, 0x7f80
	s_and_saveexec_b64 s[10:11], vcc
	s_cbranch_execz .LBB848_395
; %bb.394:
	v_and_b32_e32 v25, 7, v22
	v_ffbh_u32_e32 v56, v25
	v_min_u32_e32 v58, 32, v56
	v_subrev_u32_e32 v56, 28, v58
	v_lshlrev_b64 v[56:57], v56, v[22:23]
	v_lshrrev_b32_e32 v55, 3, v24
	v_sub_u32_e32 v57, 29, v58
	v_and_b32_e32 v56, 7, v56
	v_cmp_gt_u32_e32 vcc, 8, v24
	v_cndmask_b32_e32 v24, v55, v57, vcc
	v_cndmask_b32_e32 v25, v25, v56, vcc
	v_lshlrev_b32_e32 v22, 24, v22
	v_bfrev_b32_e32 v55, 60
	v_lshlrev_b32_e32 v25, 20, v25
	v_and_b32_e32 v22, 0x80000000, v22
	v_lshl_add_u32 v24, v24, 23, v55
	v_or3_b32 v22, v22, v24, v25
	v_lshrrev_b32_e32 v55, 16, v22
.LBB848_395:
	s_or_b64 exec, exec, s[10:11]
.LBB848_396:
	s_or_b64 exec, exec, s[8:9]
.LBB848_397:
	s_or_b64 exec, exec, s[2:3]
	s_mov_b32 s3, 0x5040100
	v_perm_b32 v43, v52, v43, s3
	v_perm_b32 v42, v23, v42, s3
	s_load_dword s2, s[4:5], 0x1c
	s_mov_b32 s46, 0xff7fffff
	s_waitcnt lgkmcnt(0)
	v_mfma_f32_16x16x16bf16_1k v[26:29], v[42:43], v[18:19], v[26:29]
	v_perm_b32 v19, v55, v54, s3
	v_perm_b32 v18, v53, v45, s3
	v_mov_b32_e32 v22, s2
	v_mul_f32_e32 v52, s12, v22
	v_pk_mul_f32 v[22:23], v[52:53], v[32:33] op_sel_hi:[0,1]
	v_pk_mul_f32 v[32:33], v[52:53], v[38:39] op_sel_hi:[0,1]
	v_and_b32_e32 v38, 0xc0, v0
	v_mfma_f32_16x16x16bf16_1k v[26:29], v[18:19], v[20:21], v[26:29]
	v_add_u32_e32 v38, s18, v38
	v_lshl_or_b32 v38, v47, 2, v38
	v_or_b32_e32 v39, 1, v38
	v_pk_mul_f32 v[24:25], v[52:53], v[30:31] op_sel_hi:[0,1]
	v_pk_mul_f32 v[30:31], v[52:53], v[40:41] op_sel_hi:[0,1]
	v_subrev_u32_e32 v40, s33, v39
	v_pk_mul_f32 v[34:35], v[52:53], v[34:35] op_sel_hi:[0,1]
	s_nop 3
	v_pk_mul_f32 v[20:21], v[52:53], v[26:27] op_sel_hi:[0,1]
	v_add_u32_e32 v27, 1, v40
	v_pk_mul_f32 v[18:19], v[52:53], v[28:29] op_sel_hi:[0,1]
	v_cvt_f32_i32_e32 v27, v27
	v_add_u32_e32 v29, 3, v40
	v_cvt_f32_i32_e32 v29, v29
	v_cvt_f32_i32_e32 v26, v40
	v_pk_mul_f32 v[36:37], v[52:53], v[36:37] op_sel_hi:[0,1]
	v_fmac_f32_e32 v35, v51, v27
	v_add_u32_e32 v27, 16, v40
	v_fmac_f32_e32 v37, v51, v29
	v_cvt_f32_i32_e32 v27, v27
	v_add_u32_e32 v29, 17, v40
	v_fma_f32 v26, v51, v26, v34
	v_cvt_f32_i32_e32 v29, v29
	v_add_u32_e32 v34, 18, v40
	v_cvt_f32_i32_e32 v34, v34
	v_fma_f32 v41, v51, v27, v32
	v_add_u32_e32 v27, 32, v40
	v_fmac_f32_e32 v33, v51, v29
	v_cvt_f32_i32_e32 v27, v27
	v_add_u32_e32 v29, 33, v40
	v_add_u32_e32 v32, 34, v40
	v_fma_f32 v30, v51, v34, v30
	v_cvt_f32_i32_e32 v29, v29
	v_cvt_f32_i32_e32 v32, v32
	v_add_u32_e32 v34, 35, v40
	v_cvt_f32_i32_e32 v34, v34
	v_fma_f32 v24, v51, v27, v24
	v_add_u32_e32 v27, 48, v40
	v_fmac_f32_e32 v25, v51, v29
	v_fma_f32 v22, v51, v32, v22
	v_cvt_f32_i32_e32 v27, v27
	v_add_u32_e32 v29, 49, v40
	v_add_u32_e32 v32, 50, v40
	v_fmac_f32_e32 v23, v51, v34
	v_cvt_f32_i32_e32 v29, v29
	v_cvt_f32_i32_e32 v32, v32
	v_add_u32_e32 v34, 51, v40
	v_add_u32_e32 v28, 2, v40
	v_cvt_f32_i32_e32 v34, v34
	v_cvt_f32_i32_e32 v28, v28
	v_fma_f32 v20, v51, v27, v20
	v_mov_b32_e32 v27, 0xff7fffff
	v_cmp_gt_i32_e64 s[26:27], s33, v38
	v_cmp_gt_i32_e64 s[28:29], s33, v39
	v_fmac_f32_e32 v21, v51, v29
	v_fma_f32 v18, v51, v32, v18
	v_cndmask_b32_e64 v29, v27, v26, s[26:27]
	v_cndmask_b32_e64 v32, v27, v35, s[28:29]
	v_fmac_f32_e32 v19, v51, v34
	v_max3_f32 v29, v29, s46, v32
	v_or_b32_e32 v32, 2, v38
	v_or_b32_e32 v34, 3, v38
	v_fma_f32 v28, v51, v28, v36
	v_cmp_gt_i32_e64 s[30:31], s33, v32
	v_cmp_gt_i32_e64 s[34:35], s33, v34
	v_add_u32_e32 v36, 19, v40
	v_cndmask_b32_e64 v32, v27, v28, s[30:31]
	v_cndmask_b32_e64 v34, v27, v37, s[34:35]
	v_cvt_f32_i32_e32 v36, v36
	v_max3_f32 v29, v29, v32, v34
	v_or_b32_e32 v32, 16, v38
	v_or_b32_e32 v34, 17, v38
	v_cmp_gt_i32_e64 s[36:37], s33, v32
	v_cmp_gt_i32_e64 s[38:39], s33, v34
	v_cndmask_b32_e64 v32, v27, v41, s[36:37]
	v_cndmask_b32_e64 v34, v27, v33, s[38:39]
	v_max3_f32 v29, v29, v32, v34
	v_or_b32_e32 v32, 18, v38
	v_or_b32_e32 v34, 19, v38
	v_fmac_f32_e32 v31, v51, v36
	v_cmp_gt_i32_e64 s[20:21], s33, v32
	v_cmp_gt_i32_e64 s[22:23], s33, v34
	v_cndmask_b32_e64 v32, v27, v30, s[20:21]
	v_cndmask_b32_e64 v34, v27, v31, s[22:23]
	v_max3_f32 v29, v29, v32, v34
	v_or_b32_e32 v32, 32, v38
	v_or_b32_e32 v34, 33, v38
	v_cmp_gt_i32_e64 s[16:17], s33, v32
	v_cmp_gt_i32_e64 s[18:19], s33, v34
	v_cndmask_b32_e64 v32, v27, v24, s[16:17]
	v_cndmask_b32_e64 v34, v27, v25, s[18:19]
	v_max3_f32 v29, v29, v32, v34
	v_or_b32_e32 v32, 34, v38
	v_or_b32_e32 v34, 35, v38
	;; [unrolled: 7-line block ×4, first 2 shown]
	v_cmp_gt_i32_e32 vcc, s33, v32
	v_cmp_gt_i32_e64 s[2:3], s33, v34
	v_cndmask_b32_e32 v32, v27, v18, vcc
	v_cndmask_b32_e64 v27, v27, v19, s[2:3]
	v_max3_f32 v27, v29, v32, v27
	v_mbcnt_lo_u32_b32 v29, -1, 0
	v_mbcnt_hi_u32_b32 v29, -1, v29
	v_and_b32_e32 v32, 64, v29
	v_add_u32_e32 v32, 64, v32
	v_xor_b32_e32 v34, 32, v29
	v_cmp_lt_i32_e64 s[40:41], v34, v32
	v_cndmask_b32_e64 v34, v29, v34, s[40:41]
	v_lshlrev_b32_e32 v36, 2, v34
	ds_bpermute_b32 v34, v36, v27
	s_barrier
	s_waitcnt lgkmcnt(0)
	v_max_f32_e32 v34, v34, v34
	v_max_f32_e32 v27, v27, v34
	v_xor_b32_e32 v34, 16, v29
	v_cmp_lt_i32_e64 s[40:41], v34, v32
	v_cndmask_b32_e64 v29, v29, v34, s[40:41]
	v_lshlrev_b32_e32 v38, 2, v29
	ds_bpermute_b32 v29, v38, v27
	s_waitcnt lgkmcnt(0)
	v_max_f32_e32 v29, v29, v29
	v_max_f32_e32 v32, v27, v29
	v_sub_f32_e32 v26, v26, v32
	v_mul_f32_e32 v26, 0x3fb8aa3b, v26
	v_sub_f32_e32 v27, v35, v32
	v_exp_f32_e32 v26, v26
	v_mul_f32_e32 v27, 0x3fb8aa3b, v27
	v_sub_f32_e32 v28, v28, v32
	v_exp_f32_e32 v27, v27
	v_mul_f32_e32 v28, 0x3fb8aa3b, v28
	v_exp_f32_e32 v28, v28
	v_cndmask_b32_e64 v26, 0, v26, s[26:27]
	v_sub_f32_e32 v34, v37, v32
	v_add_f32_e32 v29, 0, v26
	v_cndmask_b32_e64 v27, 0, v27, s[28:29]
	v_mul_f32_e32 v34, 0x3fb8aa3b, v34
	v_exp_f32_e32 v35, v34
	v_add_f32_e32 v29, v29, v27
	v_cndmask_b32_e64 v34, 0, v28, s[30:31]
	v_add_f32_e32 v28, v29, v34
	v_sub_f32_e32 v29, v41, v32
	v_mul_f32_e32 v29, 0x3fb8aa3b, v29
	v_sub_f32_e32 v33, v33, v32
	v_exp_f32_e32 v29, v29
	v_mul_f32_e32 v33, 0x3fb8aa3b, v33
	v_sub_f32_e32 v30, v30, v32
	v_exp_f32_e32 v33, v33
	;; [unrolled: 3-line block ×3, first 2 shown]
	v_mul_f32_e32 v31, 0x3fb8aa3b, v31
	v_sub_f32_e32 v24, v24, v32
	v_cndmask_b32_e64 v35, 0, v35, s[34:35]
	v_exp_f32_e32 v31, v31
	v_mul_f32_e32 v24, 0x3fb8aa3b, v24
	v_sub_f32_e32 v25, v25, v32
	v_add_f32_e32 v37, v28, v35
	v_cndmask_b32_e64 v28, 0, v29, s[36:37]
	v_exp_f32_e32 v24, v24
	v_mul_f32_e32 v25, 0x3fb8aa3b, v25
	v_sub_f32_e32 v22, v22, v32
	v_add_f32_e32 v37, v37, v28
	;; [unrolled: 5-line block ×7, first 2 shown]
	v_cndmask_b32_e64 v22, 0, v22, s[12:13]
	v_exp_f32_e32 v18, v18
	v_mul_f32_e32 v19, 0x3fb8aa3b, v19
	v_add_f32_e32 v33, v33, v22
	v_cndmask_b32_e64 v23, 0, v23, s[14:15]
	v_exp_f32_e32 v19, v19
	v_add_f32_e32 v33, v33, v23
	v_cndmask_b32_e64 v20, 0, v20, s[8:9]
	v_add_f32_e32 v33, v33, v20
	v_cndmask_b32_e64 v21, 0, v21, s[10:11]
	v_add_f32_e32 v33, v33, v21
	v_cndmask_b32_e32 v18, 0, v18, vcc
	v_add_f32_e32 v33, v33, v18
	v_cndmask_b32_e64 v19, 0, v19, s[2:3]
	v_add_f32_e32 v33, v33, v19
	ds_bpermute_b32 v36, v36, v33
	v_cmp_gt_u32_e32 vcc, 16, v44
	s_waitcnt lgkmcnt(0)
	v_add_f32_e32 v36, v33, v36
	ds_bpermute_b32 v37, v38, v36
	v_lshlrev_b32_e32 v33, 2, v49
	s_and_saveexec_b64 s[2:3], vcc
	s_cbranch_execz .LBB848_399
; %bb.398:
	s_waitcnt lgkmcnt(0)
	v_add_f32_e32 v36, v36, v37
	v_lshl_or_b32 v37, v50, 6, v33
	ds_write2st64_b32 v37, v32, v36 offset1:1
.LBB848_399:
	s_or_b64 exec, exec, s[2:3]
	s_waitcnt lgkmcnt(0)
	s_barrier
	ds_read2_b32 v[36:37], v33 offset1:16
	ds_read2_b32 v[38:39], v33 offset0:32 offset1:48
	ds_read2_b32 v[40:41], v33 offset0:64 offset1:80
	s_mul_i32 s12, s45, 3
	s_waitcnt lgkmcnt(2)
	v_max3_f32 v32, v36, s46, v37
	s_waitcnt lgkmcnt(1)
	v_max3_f32 v32, v32, v38, v39
	v_sub_f32_e32 v36, v36, v32
	v_mul_f32_e32 v36, 0x3fb8aa3b, v36
	v_exp_f32_e32 v42, v36
	v_sub_f32_e32 v36, v37, v32
	v_mul_f32_e32 v36, 0x3fb8aa3b, v36
	v_exp_f32_e32 v43, v36
	;; [unrolled: 3-line block ×3, first 2 shown]
	ds_read2_b32 v[36:37], v33 offset0:96 offset1:112
	v_sub_f32_e32 v33, v39, v32
	v_mul_f32_e32 v33, 0x3fb8aa3b, v33
	v_exp_f32_e32 v39, v33
	s_waitcnt lgkmcnt(1)
	v_fma_f32 v33, v42, v40, 0
	v_fmac_f32_e32 v33, v43, v41
	s_waitcnt lgkmcnt(0)
	v_fmac_f32_e32 v33, v38, v36
	v_fmac_f32_e32 v33, v39, v37
	v_add_f32_e32 v36, 0x358637bd, v33
	v_div_scale_f32 v37, s[2:3], v36, v36, 1.0
	v_rcp_f32_e32 v40, v37
	s_movk_i32 s2, 0x7fff
	s_mov_b32 s3, 0x7060302
	v_fma_f32 v41, -v37, v40, 1.0
	v_fmac_f32_e32 v40, v41, v40
	v_div_scale_f32 v41, vcc, 1.0, v36, 1.0
	v_mul_f32_e32 v44, v41, v40
	v_fma_f32 v45, -v37, v44, v41
	v_fmac_f32_e32 v44, v45, v40
	v_fma_f32 v37, -v37, v44, v41
	v_div_fmas_f32 v37, v37, v40, v44
	v_cmp_eq_u32_e32 vcc, 1, v50
	v_div_fixup_f32 v36, v37, v36, 1.0
	v_cndmask_b32_e32 v37, v42, v43, vcc
	v_cmp_eq_u32_e32 vcc, 2, v50
	v_cndmask_b32_e32 v37, v37, v38, vcc
	v_cmp_eq_u32_e32 vcc, 3, v50
	v_cndmask_b32_e32 v37, v37, v39, vcc
	v_mul_f32_e32 v36, v37, v36
	v_pk_mul_f32 v[26:27], v[36:37], v[26:27] op_sel_hi:[0,1]
	v_pk_mul_f32 v[34:35], v[36:37], v[34:35] op_sel_hi:[0,1]
	v_bfe_u32 v37, v27, 16, 1
	v_bfe_u32 v38, v26, 16, 1
	v_add3_u32 v26, v26, v38, s2
	v_add3_u32 v27, v27, v37, s2
	v_perm_b32 v38, v27, v26, s3
	v_bfe_u32 v26, v35, 16, 1
	v_bfe_u32 v27, v34, 16, 1
	v_add3_u32 v27, v34, v27, s2
	v_add3_u32 v26, v35, v26, s2
	v_perm_b32 v39, v26, v27, s3
	v_lshlrev_b32_e32 v26, 3, v47
	v_lshlrev_b32_e32 v27, 5, v49
	v_lshlrev_b32_e32 v34, 11, v50
	v_pk_mul_f32 v[28:29], v[36:37], v[28:29] op_sel_hi:[0,1]
	v_or3_b32 v26, v34, v27, v26
	v_bfe_u32 v34, v29, 16, 1
	v_bfe_u32 v35, v28, 16, 1
	v_pk_mul_f32 v[30:31], v[36:37], v[30:31] op_sel_hi:[0,1]
	v_add3_u32 v28, v28, v35, s2
	v_add3_u32 v29, v29, v34, s2
	v_perm_b32 v28, v29, v28, s3
	v_bfe_u32 v29, v31, 16, 1
	v_bfe_u32 v34, v30, 16, 1
	v_add3_u32 v30, v30, v34, s2
	v_add3_u32 v29, v31, v29, s2
	v_perm_b32 v29, v29, v30, s3
	v_pk_mul_f32 v[24:25], v[36:37], v[24:25] op_sel_hi:[0,1]
	s_barrier
	ds_write2st64_b64 v26, v[38:39], v[28:29] offset1:1
	v_bfe_u32 v28, v25, 16, 1
	v_bfe_u32 v29, v24, 16, 1
	v_pk_mul_f32 v[22:23], v[36:37], v[22:23] op_sel_hi:[0,1]
	v_add3_u32 v24, v24, v29, s2
	v_add3_u32 v25, v25, v28, s2
	v_perm_b32 v24, v25, v24, s3
	v_bfe_u32 v25, v23, 16, 1
	v_bfe_u32 v28, v22, 16, 1
	v_add3_u32 v22, v22, v28, s2
	v_add3_u32 v23, v23, v25, s2
	v_pk_mul_f32 v[20:21], v[36:37], v[20:21] op_sel_hi:[0,1]
	v_perm_b32 v25, v23, v22, s3
	v_bfe_u32 v22, v21, 16, 1
	v_bfe_u32 v23, v20, 16, 1
	v_pk_mul_f32 v[18:19], v[36:37], v[18:19] op_sel_hi:[0,1]
	v_add3_u32 v20, v20, v23, s2
	v_add3_u32 v21, v21, v22, s2
	v_perm_b32 v20, v21, v20, s3
	v_bfe_u32 v21, v19, 16, 1
	v_bfe_u32 v22, v18, 16, 1
	v_add3_u32 v18, v18, v22, s2
	v_add3_u32 v19, v19, v21, s2
	v_perm_b32 v21, v19, v18, s3
	v_cmp_gt_u32_e32 vcc, 3, v0
	ds_write2st64_b64 v26, v[24:25], v[20:21] offset0:2 offset1:3
	s_and_saveexec_b64 s[2:3], vcc
	s_cbranch_execz .LBB848_401
; %bb.400:
	v_add_co_u32_e32 v20, vcc, s25, v49
	v_addc_co_u32_e64 v21, s[14:15], 0, 0, vcc
	v_mov_b32_e32 v18, s12
	v_mov_b32_e32 v19, 0
	v_mad_u64_u32 v[20:21], s[14:15], s6, v18, v[20:21]
	v_mov_b32_e32 v18, s24
	s_load_dwordx4 s[8:11], s[4:5], 0x58
	s_mul_i32 s7, s7, s12
	v_mad_u64_u32 v[18:19], s[14:15], v20, s44, v[18:19]
	v_add_u32_e32 v21, s7, v21
	v_mov_b32_e32 v20, v19
	v_mad_u64_u32 v[20:21], s[14:15], v21, s44, v[20:21]
	v_mov_b32_e32 v19, v20
	v_lshlrev_b64 v[18:19], 2, v[18:19]
	s_waitcnt lgkmcnt(0)
	v_mov_b32_e32 v21, s11
	v_add_co_u32_e32 v20, vcc, s10, v18
	v_addc_co_u32_e32 v21, vcc, v21, v19, vcc
	global_store_dword v[20:21], v32, off
	v_mov_b32_e32 v20, s9
	v_add_co_u32_e32 v18, vcc, s8, v18
	v_addc_co_u32_e32 v19, vcc, v20, v19, vcc
	global_store_dword v[18:19], v33, off
.LBB848_401:
	s_or_b64 exec, exec, s[2:3]
	v_mov_b32_e32 v19, 0
	s_waitcnt vmcnt(3)
	v_cmp_ne_u16_sdwa s[8:9], v14, v19 src0_sel:BYTE_0 src1_sel:DWORD
	v_mov_b32_e32 v20, 0
	s_waitcnt lgkmcnt(0)
	s_barrier
	s_and_saveexec_b64 s[2:3], s[8:9]
	s_cbranch_execz .LBB848_407
; %bb.402:
	s_movk_i32 s7, 0x80
	v_cmp_ne_u16_sdwa s[10:11], v14, s7 src0_sel:BYTE_0 src1_sel:DWORD
	v_mov_b32_e32 v20, 0xffff8000
	s_and_saveexec_b64 s[8:9], s[10:11]
	s_cbranch_execz .LBB848_406
; %bb.403:
	s_movk_i32 s7, 0x7f
	v_and_b32_e32 v18, 0x7f, v14
	v_cmp_ne_u32_e32 vcc, s7, v18
	v_mov_b32_e32 v20, 0x7f80
	s_and_saveexec_b64 s[10:11], vcc
	s_cbranch_execz .LBB848_405
; %bb.404:
	v_and_b32_e32 v22, 7, v14
	v_ffbh_u32_e32 v20, v22
	v_min_u32_e32 v24, 32, v20
	v_subrev_u32_e32 v20, 28, v24
	v_lshlrev_b64 v[20:21], v20, v[14:15]
	v_lshrrev_b32_e32 v23, 3, v18
	v_sub_u32_e32 v21, 29, v24
	v_and_b32_e32 v20, 7, v20
	v_cmp_gt_u32_e32 vcc, 8, v18
	v_cndmask_b32_e32 v18, v23, v21, vcc
	v_cndmask_b32_e32 v20, v22, v20, vcc
	v_lshlrev_b32_e32 v21, 24, v14
	v_bfrev_b32_e32 v22, 60
	v_lshlrev_b32_e32 v20, 20, v20
	v_and_b32_e32 v21, 0x80000000, v21
	v_lshl_add_u32 v18, v18, 23, v22
	v_or3_b32 v18, v21, v18, v20
	v_lshrrev_b32_e32 v20, 16, v18
.LBB848_405:
	s_or_b64 exec, exec, s[10:11]
.LBB848_406:
	s_or_b64 exec, exec, s[8:9]
.LBB848_407:
	s_or_b64 exec, exec, s[2:3]
	v_lshrrev_b16_e32 v18, 8, v14
	v_cmp_ne_u16_e32 vcc, 0, v18
	s_and_saveexec_b64 s[2:3], vcc
	s_cbranch_execz .LBB848_413
; %bb.408:
	s_movk_i32 s7, 0x80
	v_cmp_ne_u16_e32 vcc, s7, v18
	v_mov_b32_e32 v19, 0xffff8000
	s_and_saveexec_b64 s[8:9], vcc
	s_cbranch_execz .LBB848_412
; %bb.409:
	s_movk_i32 s7, 0x7f
	v_and_b32_e32 v21, 0x7f, v18
	v_cmp_ne_u32_e32 vcc, s7, v21
	v_mov_b32_e32 v19, 0x7f80
	s_and_saveexec_b64 s[10:11], vcc
	s_cbranch_execz .LBB848_411
; %bb.410:
	v_and_b32_e32 v22, 7, v18
	v_ffbh_u32_e32 v19, v22
	v_min_u32_e32 v24, 32, v19
	v_subrev_u32_e32 v19, 28, v24
	v_lshlrev_b64 v[18:19], v19, v[18:19]
	v_lshrrev_b32_e32 v23, 3, v21
	v_sub_u32_e32 v19, 29, v24
	v_and_b32_e32 v18, 7, v18
	v_cmp_gt_u32_e32 vcc, 8, v21
	v_cndmask_b32_e32 v19, v23, v19, vcc
	v_cndmask_b32_e32 v18, v22, v18, vcc
	v_lshlrev_b32_e32 v21, 16, v14
	v_bfrev_b32_e32 v22, 60
	v_lshlrev_b32_e32 v18, 20, v18
	v_and_b32_e32 v21, 0x80000000, v21
	v_lshl_add_u32 v19, v19, 23, v22
	v_or3_b32 v18, v21, v19, v18
	v_lshrrev_b32_e32 v19, 16, v18
.LBB848_411:
	s_or_b64 exec, exec, s[10:11]
.LBB848_412:
	s_or_b64 exec, exec, s[8:9]
.LBB848_413:
	s_or_b64 exec, exec, s[2:3]
	s_movk_i32 s2, 0xff
	v_and_b32_sdwa v23, v14, s2 dst_sel:DWORD dst_unused:UNUSED_PAD src0_sel:WORD_1 src1_sel:DWORD
	v_lshrrev_b32_e32 v18, 16, v14
	v_cmp_ne_u16_e32 vcc, 0, v23
	v_mov_b32_e32 v21, 0
	v_mov_b32_e32 v22, 0
	s_and_saveexec_b64 s[2:3], vcc
	s_cbranch_execz .LBB848_419
; %bb.414:
	s_movk_i32 s7, 0x80
	v_cmp_ne_u16_e32 vcc, s7, v23
	v_mov_b32_e32 v22, 0xffff8000
	s_and_saveexec_b64 s[8:9], vcc
	s_cbranch_execz .LBB848_418
; %bb.415:
	v_bfe_u32 v23, v14, 16, 7
	s_movk_i32 s7, 0x7f
	v_cmp_ne_u32_e32 vcc, s7, v23
	v_mov_b32_e32 v22, 0x7f80
	s_and_saveexec_b64 s[10:11], vcc
	s_cbranch_execz .LBB848_417
; %bb.416:
	v_and_b32_e32 v22, 7, v18
	v_ffbh_u32_e32 v24, v22
	v_min_u32_e32 v29, 32, v24
	v_subrev_u32_e32 v24, 28, v29
	v_lshlrev_b64 v[24:25], v24, v[18:19]
	v_lshrrev_b32_e32 v28, 3, v23
	v_sub_u32_e32 v18, 29, v29
	v_and_b32_e32 v24, 7, v24
	v_cmp_gt_u32_e32 vcc, 8, v23
	v_mov_b32_e32 v23, 24
	v_cndmask_b32_e32 v18, v28, v18, vcc
	v_cndmask_b32_e32 v22, v22, v24, vcc
	v_lshlrev_b32_sdwa v23, v23, v14 dst_sel:DWORD dst_unused:UNUSED_PAD src0_sel:DWORD src1_sel:WORD_1
	v_bfrev_b32_e32 v24, 60
	v_lshlrev_b32_e32 v22, 20, v22
	v_and_b32_e32 v23, 0x80000000, v23
	v_lshl_add_u32 v18, v18, 23, v24
	v_or3_b32 v18, v23, v18, v22
	v_lshrrev_b32_e32 v22, 16, v18
.LBB848_417:
	s_or_b64 exec, exec, s[10:11]
.LBB848_418:
	s_or_b64 exec, exec, s[8:9]
.LBB848_419:
	s_or_b64 exec, exec, s[2:3]
	s_mov_b32 s2, 0xffffff
	v_cmp_lt_u32_e32 vcc, s2, v14
	s_and_saveexec_b64 s[2:3], vcc
	s_cbranch_execz .LBB848_425
; %bb.420:
	v_lshrrev_b32_e32 v18, 24, v14
	s_movk_i32 s7, 0x80
	v_cmp_ne_u32_e32 vcc, s7, v18
	v_mov_b32_e32 v21, 0xffff8000
	s_and_saveexec_b64 s[8:9], vcc
	s_cbranch_execz .LBB848_424
; %bb.421:
	v_bfe_u32 v14, v14, 24, 7
	s_movk_i32 s7, 0x7f
	v_cmp_ne_u32_e32 vcc, s7, v14
	v_mov_b32_e32 v21, 0x7f80
	s_and_saveexec_b64 s[10:11], vcc
	s_cbranch_execz .LBB848_423
; %bb.422:
	v_and_b32_e32 v21, 7, v18
	v_ffbh_u32_e32 v24, v21
	v_min_u32_e32 v28, 32, v24
	v_subrev_u32_e32 v24, 28, v28
	v_lshlrev_b64 v[24:25], v24, v[18:19]
	v_lshrrev_b32_e32 v23, 3, v14
	v_sub_u32_e32 v25, 29, v28
	v_and_b32_e32 v24, 7, v24
	v_cmp_gt_u32_e32 vcc, 8, v14
	v_cndmask_b32_e32 v14, v23, v25, vcc
	v_cndmask_b32_e32 v21, v21, v24, vcc
	v_lshlrev_b32_e32 v18, 24, v18
	v_bfrev_b32_e32 v23, 60
	v_lshlrev_b32_e32 v21, 20, v21
	v_and_b32_e32 v18, 0x80000000, v18
	v_lshl_add_u32 v14, v14, 23, v23
	v_or3_b32 v14, v18, v14, v21
	v_lshrrev_b32_e32 v21, 16, v14
.LBB848_423:
	s_or_b64 exec, exec, s[10:11]
.LBB848_424:
	s_or_b64 exec, exec, s[8:9]
.LBB848_425:
	s_or_b64 exec, exec, s[2:3]
	v_mov_b32_e32 v18, 0
	v_cmp_ne_u16_sdwa s[8:9], v15, v18 src0_sel:BYTE_0 src1_sel:DWORD
	v_mov_b32_e32 v23, 0
	s_and_saveexec_b64 s[2:3], s[8:9]
	s_cbranch_execz .LBB848_431
; %bb.426:
	s_movk_i32 s7, 0x80
	v_cmp_ne_u16_sdwa s[10:11], v15, s7 src0_sel:BYTE_0 src1_sel:DWORD
	v_mov_b32_e32 v23, 0xffff8000
	s_and_saveexec_b64 s[8:9], s[10:11]
	s_cbranch_execz .LBB848_430
; %bb.427:
	s_movk_i32 s7, 0x7f
	v_and_b32_e32 v14, 0x7f, v15
	v_cmp_ne_u32_e32 vcc, s7, v14
	v_mov_b32_e32 v23, 0x7f80
	s_and_saveexec_b64 s[10:11], vcc
	s_cbranch_execz .LBB848_429
; %bb.428:
	v_and_b32_e32 v23, 7, v15
	v_ffbh_u32_e32 v25, v23
	v_min_u32_e32 v29, 32, v25
	v_mov_b32_e32 v24, v15
	v_subrev_u32_e32 v25, 28, v29
	v_lshlrev_b64 v[24:25], v25, v[24:25]
	v_lshrrev_b32_e32 v28, 3, v14
	v_sub_u32_e32 v25, 29, v29
	v_and_b32_e32 v24, 7, v24
	v_cmp_gt_u32_e32 vcc, 8, v14
	v_cndmask_b32_e32 v14, v28, v25, vcc
	v_cndmask_b32_e32 v23, v23, v24, vcc
	v_lshlrev_b32_e32 v24, 24, v15
	v_bfrev_b32_e32 v25, 60
	v_lshlrev_b32_e32 v23, 20, v23
	v_and_b32_e32 v24, 0x80000000, v24
	v_lshl_add_u32 v14, v14, 23, v25
	v_or3_b32 v14, v24, v14, v23
	v_lshrrev_b32_e32 v23, 16, v14
.LBB848_429:
	s_or_b64 exec, exec, s[10:11]
.LBB848_430:
	s_or_b64 exec, exec, s[8:9]
.LBB848_431:
	s_or_b64 exec, exec, s[2:3]
	v_lshrrev_b16_e32 v14, 8, v15
	v_cmp_ne_u16_e32 vcc, 0, v14
	s_and_saveexec_b64 s[2:3], vcc
	s_cbranch_execz .LBB848_437
; %bb.432:
	s_movk_i32 s7, 0x80
	v_cmp_ne_u16_e32 vcc, s7, v14
	v_mov_b32_e32 v18, 0xffff8000
	s_and_saveexec_b64 s[8:9], vcc
	s_cbranch_execz .LBB848_436
; %bb.433:
	s_movk_i32 s7, 0x7f
	v_and_b32_e32 v24, 0x7f, v14
	v_cmp_ne_u32_e32 vcc, s7, v24
	v_mov_b32_e32 v18, 0x7f80
	s_and_saveexec_b64 s[10:11], vcc
	s_cbranch_execz .LBB848_435
; %bb.434:
	v_and_b32_e32 v18, 7, v14
	v_ffbh_u32_e32 v28, v18
	v_min_u32_e32 v30, 32, v28
	v_subrev_u32_e32 v28, 28, v30
	v_lshlrev_b64 v[28:29], v28, v[14:15]
	v_lshrrev_b32_e32 v25, 3, v24
	v_sub_u32_e32 v14, 29, v30
	v_and_b32_e32 v28, 7, v28
	v_cmp_gt_u32_e32 vcc, 8, v24
	v_cndmask_b32_e32 v14, v25, v14, vcc
	v_cndmask_b32_e32 v18, v18, v28, vcc
	v_lshlrev_b32_e32 v24, 16, v15
	v_bfrev_b32_e32 v25, 60
	v_lshlrev_b32_e32 v18, 20, v18
	v_and_b32_e32 v24, 0x80000000, v24
	v_lshl_add_u32 v14, v14, 23, v25
	v_or3_b32 v14, v24, v14, v18
	v_lshrrev_b32_e32 v18, 16, v14
.LBB848_435:
	s_or_b64 exec, exec, s[10:11]
.LBB848_436:
	s_or_b64 exec, exec, s[8:9]
.LBB848_437:
	s_or_b64 exec, exec, s[2:3]
	s_movk_i32 s2, 0xff
	v_and_b32_sdwa v28, v15, s2 dst_sel:DWORD dst_unused:UNUSED_PAD src0_sel:WORD_1 src1_sel:DWORD
	v_lshrrev_b32_e32 v14, 16, v15
	v_cmp_ne_u16_e32 vcc, 0, v28
	v_mov_b32_e32 v24, 0
	v_mov_b32_e32 v25, 0
	s_and_saveexec_b64 s[2:3], vcc
	s_cbranch_execz .LBB848_443
; %bb.438:
	s_movk_i32 s7, 0x80
	v_cmp_ne_u16_e32 vcc, s7, v28
	v_mov_b32_e32 v25, 0xffff8000
	s_and_saveexec_b64 s[8:9], vcc
	s_cbranch_execz .LBB848_442
; %bb.439:
	v_bfe_u32 v28, v15, 16, 7
	s_movk_i32 s7, 0x7f
	v_cmp_ne_u32_e32 vcc, s7, v28
	v_mov_b32_e32 v25, 0x7f80
	s_and_saveexec_b64 s[10:11], vcc
	s_cbranch_execz .LBB848_441
; %bb.440:
	v_and_b32_e32 v25, 7, v14
	v_ffbh_u32_e32 v30, v25
	v_min_u32_e32 v32, 32, v30
	v_subrev_u32_e32 v30, 28, v32
	v_lshlrev_b64 v[30:31], v30, v[14:15]
	v_lshrrev_b32_e32 v29, 3, v28
	v_sub_u32_e32 v14, 29, v32
	v_and_b32_e32 v30, 7, v30
	v_cmp_gt_u32_e32 vcc, 8, v28
	v_mov_b32_e32 v28, 24
	v_cndmask_b32_e32 v14, v29, v14, vcc
	v_cndmask_b32_e32 v25, v25, v30, vcc
	v_lshlrev_b32_sdwa v28, v28, v15 dst_sel:DWORD dst_unused:UNUSED_PAD src0_sel:DWORD src1_sel:WORD_1
	v_bfrev_b32_e32 v29, 60
	v_lshlrev_b32_e32 v25, 20, v25
	v_and_b32_e32 v28, 0x80000000, v28
	v_lshl_add_u32 v14, v14, 23, v29
	v_or3_b32 v14, v28, v14, v25
	v_lshrrev_b32_e32 v25, 16, v14
.LBB848_441:
	s_or_b64 exec, exec, s[10:11]
.LBB848_442:
	s_or_b64 exec, exec, s[8:9]
.LBB848_443:
	s_or_b64 exec, exec, s[2:3]
	s_mov_b32 s2, 0xffffff
	v_cmp_lt_u32_e32 vcc, s2, v15
	s_and_saveexec_b64 s[2:3], vcc
	s_cbranch_execz .LBB848_449
; %bb.444:
	v_lshrrev_b32_e32 v14, 24, v15
	s_movk_i32 s7, 0x80
	v_cmp_ne_u32_e32 vcc, s7, v14
	v_mov_b32_e32 v24, 0xffff8000
	s_and_saveexec_b64 s[8:9], vcc
	s_cbranch_execz .LBB848_448
; %bb.445:
	v_bfe_u32 v15, v15, 24, 7
	s_movk_i32 s7, 0x7f
	v_cmp_ne_u32_e32 vcc, s7, v15
	v_mov_b32_e32 v24, 0x7f80
	s_and_saveexec_b64 s[10:11], vcc
	s_cbranch_execz .LBB848_447
; %bb.446:
	v_and_b32_e32 v24, 7, v14
	v_ffbh_u32_e32 v28, v24
	v_min_u32_e32 v31, 32, v28
	v_subrev_u32_e32 v28, 28, v31
	v_lshlrev_b64 v[28:29], v28, v[14:15]
	v_lshrrev_b32_e32 v30, 3, v15
	v_sub_u32_e32 v29, 29, v31
	v_and_b32_e32 v28, 7, v28
	v_cmp_gt_u32_e32 vcc, 8, v15
	v_cndmask_b32_e32 v15, v30, v29, vcc
	v_cndmask_b32_e32 v24, v24, v28, vcc
	v_lshlrev_b32_e32 v14, 24, v14
	v_bfrev_b32_e32 v28, 60
	v_lshlrev_b32_e32 v24, 20, v24
	v_and_b32_e32 v14, 0x80000000, v14
	v_lshl_add_u32 v15, v15, 23, v28
	v_or3_b32 v14, v14, v15, v24
	v_lshrrev_b32_e32 v24, 16, v14
.LBB848_447:
	s_or_b64 exec, exec, s[10:11]
.LBB848_448:
	s_or_b64 exec, exec, s[8:9]
.LBB848_449:
	s_or_b64 exec, exec, s[2:3]
	s_mov_b32 s2, 0x5040100
	v_perm_b32 v15, v21, v22, s2
	v_lshl_or_b32 v22, v47, 9, v27
	v_perm_b32 v14, v19, v20, s2
	ds_read_b128 v[28:31], v22
	v_perm_b32 v19, v24, v25, s2
	v_perm_b32 v18, v18, v23, s2
	s_waitcnt lgkmcnt(0)
	v_mfma_f32_16x16x16bf16_1k v[32:35], v[14:15], v[28:29], 0
	v_mov_b32_e32 v15, 0
	v_cmp_ne_u16_sdwa s[8:9], v16, v15 src0_sel:BYTE_0 src1_sel:DWORD
	v_mov_b32_e32 v23, 0
	v_mfma_f32_16x16x16bf16_1k v[18:21], v[18:19], v[30:31], v[32:35]
	s_and_saveexec_b64 s[2:3], s[8:9]
	s_cbranch_execz .LBB848_455
; %bb.450:
	s_movk_i32 s7, 0x80
	v_cmp_ne_u16_sdwa s[10:11], v16, s7 src0_sel:BYTE_0 src1_sel:DWORD
	v_mov_b32_e32 v23, 0xffff8000
	s_and_saveexec_b64 s[8:9], s[10:11]
	s_cbranch_execz .LBB848_454
; %bb.451:
	s_movk_i32 s7, 0x7f
	v_and_b32_e32 v14, 0x7f, v16
	v_cmp_ne_u32_e32 vcc, s7, v14
	v_mov_b32_e32 v23, 0x7f80
	s_and_saveexec_b64 s[10:11], vcc
	s_cbranch_execz .LBB848_453
; %bb.452:
	v_and_b32_e32 v23, 7, v16
	v_ffbh_u32_e32 v24, v23
	v_min_u32_e32 v28, 32, v24
	v_subrev_u32_e32 v24, 28, v28
	v_lshlrev_b64 v[24:25], v24, v[16:17]
	v_lshrrev_b32_e32 v27, 3, v14
	v_sub_u32_e32 v25, 29, v28
	v_and_b32_e32 v24, 7, v24
	v_cmp_gt_u32_e32 vcc, 8, v14
	v_cndmask_b32_e32 v14, v27, v25, vcc
	v_cndmask_b32_e32 v23, v23, v24, vcc
	v_lshlrev_b32_e32 v24, 24, v16
	v_bfrev_b32_e32 v25, 60
	v_lshlrev_b32_e32 v23, 20, v23
	v_and_b32_e32 v24, 0x80000000, v24
	v_lshl_add_u32 v14, v14, 23, v25
	v_or3_b32 v14, v24, v14, v23
	v_lshrrev_b32_e32 v23, 16, v14
.LBB848_453:
	s_or_b64 exec, exec, s[10:11]
.LBB848_454:
	s_or_b64 exec, exec, s[8:9]
.LBB848_455:
	s_or_b64 exec, exec, s[2:3]
	v_lshrrev_b16_e32 v14, 8, v16
	v_cmp_ne_u16_e32 vcc, 0, v14
	s_and_saveexec_b64 s[2:3], vcc
	s_cbranch_execz .LBB848_461
; %bb.456:
	s_movk_i32 s7, 0x80
	v_cmp_ne_u16_e32 vcc, s7, v14
	v_mov_b32_e32 v15, 0xffff8000
	s_and_saveexec_b64 s[8:9], vcc
	s_cbranch_execz .LBB848_460
; %bb.457:
	s_movk_i32 s7, 0x7f
	v_and_b32_e32 v24, 0x7f, v14
	v_cmp_ne_u32_e32 vcc, s7, v24
	v_mov_b32_e32 v15, 0x7f80
	s_and_saveexec_b64 s[10:11], vcc
	s_cbranch_execz .LBB848_459
; %bb.458:
	v_and_b32_e32 v25, 7, v14
	v_ffbh_u32_e32 v15, v25
	v_min_u32_e32 v28, 32, v15
	v_subrev_u32_e32 v15, 28, v28
	v_lshlrev_b64 v[14:15], v15, v[14:15]
	v_lshrrev_b32_e32 v27, 3, v24
	v_sub_u32_e32 v15, 29, v28
	v_and_b32_e32 v14, 7, v14
	v_cmp_gt_u32_e32 vcc, 8, v24
	v_cndmask_b32_e32 v15, v27, v15, vcc
	v_cndmask_b32_e32 v14, v25, v14, vcc
	v_lshlrev_b32_e32 v24, 16, v16
	v_bfrev_b32_e32 v25, 60
	v_lshlrev_b32_e32 v14, 20, v14
	v_and_b32_e32 v24, 0x80000000, v24
	v_lshl_add_u32 v15, v15, 23, v25
	v_or3_b32 v14, v24, v15, v14
	v_lshrrev_b32_e32 v15, 16, v14
.LBB848_459:
	s_or_b64 exec, exec, s[10:11]
.LBB848_460:
	s_or_b64 exec, exec, s[8:9]
.LBB848_461:
	s_or_b64 exec, exec, s[2:3]
	s_movk_i32 s2, 0xff
	v_and_b32_sdwa v27, v16, s2 dst_sel:DWORD dst_unused:UNUSED_PAD src0_sel:WORD_1 src1_sel:DWORD
	v_lshrrev_b32_e32 v14, 16, v16
	v_cmp_ne_u16_e32 vcc, 0, v27
	v_mov_b32_e32 v24, 0
	v_mov_b32_e32 v25, 0
	s_and_saveexec_b64 s[2:3], vcc
	s_cbranch_execz .LBB848_467
; %bb.462:
	s_movk_i32 s7, 0x80
	v_cmp_ne_u16_e32 vcc, s7, v27
	v_mov_b32_e32 v25, 0xffff8000
	s_and_saveexec_b64 s[8:9], vcc
	s_cbranch_execz .LBB848_466
; %bb.463:
	v_bfe_u32 v27, v16, 16, 7
	s_movk_i32 s7, 0x7f
	v_cmp_ne_u32_e32 vcc, s7, v27
	v_mov_b32_e32 v25, 0x7f80
	s_and_saveexec_b64 s[10:11], vcc
	s_cbranch_execz .LBB848_465
; %bb.464:
	v_and_b32_e32 v25, 7, v14
	v_ffbh_u32_e32 v28, v25
	v_min_u32_e32 v31, 32, v28
	v_subrev_u32_e32 v28, 28, v31
	v_lshlrev_b64 v[28:29], v28, v[14:15]
	v_lshrrev_b32_e32 v30, 3, v27
	v_sub_u32_e32 v14, 29, v31
	v_and_b32_e32 v28, 7, v28
	v_cmp_gt_u32_e32 vcc, 8, v27
	v_mov_b32_e32 v27, 24
	v_cndmask_b32_e32 v14, v30, v14, vcc
	v_cndmask_b32_e32 v25, v25, v28, vcc
	v_lshlrev_b32_sdwa v27, v27, v16 dst_sel:DWORD dst_unused:UNUSED_PAD src0_sel:DWORD src1_sel:WORD_1
	v_bfrev_b32_e32 v28, 60
	v_lshlrev_b32_e32 v25, 20, v25
	v_and_b32_e32 v27, 0x80000000, v27
	v_lshl_add_u32 v14, v14, 23, v28
	v_or3_b32 v14, v27, v14, v25
	v_lshrrev_b32_e32 v25, 16, v14
.LBB848_465:
	s_or_b64 exec, exec, s[10:11]
.LBB848_466:
	s_or_b64 exec, exec, s[8:9]
.LBB848_467:
	s_or_b64 exec, exec, s[2:3]
	s_mov_b32 s2, 0xffffff
	v_cmp_lt_u32_e32 vcc, s2, v16
	s_and_saveexec_b64 s[2:3], vcc
	s_cbranch_execz .LBB848_473
; %bb.468:
	v_lshrrev_b32_e32 v14, 24, v16
	s_movk_i32 s7, 0x80
	v_cmp_ne_u32_e32 vcc, s7, v14
	v_mov_b32_e32 v24, 0xffff8000
	s_and_saveexec_b64 s[8:9], vcc
	s_cbranch_execz .LBB848_472
; %bb.469:
	v_bfe_u32 v16, v16, 24, 7
	s_movk_i32 s7, 0x7f
	v_cmp_ne_u32_e32 vcc, s7, v16
	v_mov_b32_e32 v24, 0x7f80
	s_and_saveexec_b64 s[10:11], vcc
	s_cbranch_execz .LBB848_471
; %bb.470:
	v_and_b32_e32 v24, 7, v14
	v_ffbh_u32_e32 v28, v24
	v_min_u32_e32 v30, 32, v28
	v_subrev_u32_e32 v28, 28, v30
	v_lshlrev_b64 v[28:29], v28, v[14:15]
	v_lshrrev_b32_e32 v27, 3, v16
	v_sub_u32_e32 v29, 29, v30
	v_and_b32_e32 v28, 7, v28
	v_cmp_gt_u32_e32 vcc, 8, v16
	v_cndmask_b32_e32 v16, v27, v29, vcc
	v_cndmask_b32_e32 v24, v24, v28, vcc
	v_lshlrev_b32_e32 v14, 24, v14
	v_bfrev_b32_e32 v27, 60
	v_lshlrev_b32_e32 v24, 20, v24
	v_and_b32_e32 v14, 0x80000000, v14
	v_lshl_add_u32 v16, v16, 23, v27
	v_or3_b32 v14, v14, v16, v24
	v_lshrrev_b32_e32 v24, 16, v14
.LBB848_471:
	s_or_b64 exec, exec, s[10:11]
.LBB848_472:
	s_or_b64 exec, exec, s[8:9]
.LBB848_473:
	s_or_b64 exec, exec, s[2:3]
	v_mov_b32_e32 v16, 0
	v_cmp_ne_u16_sdwa s[8:9], v17, v16 src0_sel:BYTE_0 src1_sel:DWORD
	v_mov_b32_e32 v27, 0
	s_and_saveexec_b64 s[2:3], s[8:9]
	s_cbranch_execz .LBB848_479
; %bb.474:
	s_movk_i32 s7, 0x80
	v_cmp_ne_u16_sdwa s[10:11], v17, s7 src0_sel:BYTE_0 src1_sel:DWORD
	v_mov_b32_e32 v27, 0xffff8000
	s_and_saveexec_b64 s[8:9], s[10:11]
	s_cbranch_execz .LBB848_478
; %bb.475:
	s_movk_i32 s7, 0x7f
	v_and_b32_e32 v14, 0x7f, v17
	v_cmp_ne_u32_e32 vcc, s7, v14
	v_mov_b32_e32 v27, 0x7f80
	s_and_saveexec_b64 s[10:11], vcc
	s_cbranch_execz .LBB848_477
; %bb.476:
	v_and_b32_e32 v27, 7, v17
	v_ffbh_u32_e32 v29, v27
	v_min_u32_e32 v31, 32, v29
	v_mov_b32_e32 v28, v17
	v_subrev_u32_e32 v29, 28, v31
	v_lshlrev_b64 v[28:29], v29, v[28:29]
	v_lshrrev_b32_e32 v30, 3, v14
	v_sub_u32_e32 v29, 29, v31
	v_and_b32_e32 v28, 7, v28
	v_cmp_gt_u32_e32 vcc, 8, v14
	v_cndmask_b32_e32 v14, v30, v29, vcc
	v_cndmask_b32_e32 v27, v27, v28, vcc
	v_lshlrev_b32_e32 v28, 24, v17
	v_bfrev_b32_e32 v29, 60
	v_lshlrev_b32_e32 v27, 20, v27
	v_and_b32_e32 v28, 0x80000000, v28
	v_lshl_add_u32 v14, v14, 23, v29
	v_or3_b32 v14, v28, v14, v27
	v_lshrrev_b32_e32 v27, 16, v14
.LBB848_477:
	s_or_b64 exec, exec, s[10:11]
.LBB848_478:
	s_or_b64 exec, exec, s[8:9]
.LBB848_479:
	s_or_b64 exec, exec, s[2:3]
	v_lshrrev_b16_e32 v14, 8, v17
	v_cmp_ne_u16_e32 vcc, 0, v14
	s_and_saveexec_b64 s[2:3], vcc
	s_cbranch_execz .LBB848_485
; %bb.480:
	s_movk_i32 s7, 0x80
	v_cmp_ne_u16_e32 vcc, s7, v14
	v_mov_b32_e32 v16, 0xffff8000
	s_and_saveexec_b64 s[8:9], vcc
	s_cbranch_execz .LBB848_484
; %bb.481:
	s_movk_i32 s7, 0x7f
	v_and_b32_e32 v28, 0x7f, v14
	v_cmp_ne_u32_e32 vcc, s7, v28
	v_mov_b32_e32 v16, 0x7f80
	s_and_saveexec_b64 s[10:11], vcc
	s_cbranch_execz .LBB848_483
; %bb.482:
	v_and_b32_e32 v16, 7, v14
	v_ffbh_u32_e32 v30, v16
	v_min_u32_e32 v32, 32, v30
	v_subrev_u32_e32 v30, 28, v32
	v_lshlrev_b64 v[30:31], v30, v[14:15]
	v_lshrrev_b32_e32 v29, 3, v28
	v_sub_u32_e32 v14, 29, v32
	v_and_b32_e32 v30, 7, v30
	v_cmp_gt_u32_e32 vcc, 8, v28
	v_cndmask_b32_e32 v14, v29, v14, vcc
	v_cndmask_b32_e32 v16, v16, v30, vcc
	v_lshlrev_b32_e32 v28, 16, v17
	v_bfrev_b32_e32 v29, 60
	v_lshlrev_b32_e32 v16, 20, v16
	v_and_b32_e32 v28, 0x80000000, v28
	v_lshl_add_u32 v14, v14, 23, v29
	v_or3_b32 v14, v28, v14, v16
	v_lshrrev_b32_e32 v16, 16, v14
.LBB848_483:
	s_or_b64 exec, exec, s[10:11]
.LBB848_484:
	s_or_b64 exec, exec, s[8:9]
.LBB848_485:
	s_or_b64 exec, exec, s[2:3]
	s_movk_i32 s2, 0xff
	v_and_b32_sdwa v30, v17, s2 dst_sel:DWORD dst_unused:UNUSED_PAD src0_sel:WORD_1 src1_sel:DWORD
	v_lshrrev_b32_e32 v14, 16, v17
	v_cmp_ne_u16_e32 vcc, 0, v30
	v_mov_b32_e32 v28, 0
	v_mov_b32_e32 v29, 0
	s_and_saveexec_b64 s[2:3], vcc
	s_cbranch_execz .LBB848_491
; %bb.486:
	s_movk_i32 s7, 0x80
	v_cmp_ne_u16_e32 vcc, s7, v30
	v_mov_b32_e32 v29, 0xffff8000
	s_and_saveexec_b64 s[8:9], vcc
	s_cbranch_execz .LBB848_490
; %bb.487:
	v_bfe_u32 v30, v17, 16, 7
	s_movk_i32 s7, 0x7f
	v_cmp_ne_u32_e32 vcc, s7, v30
	v_mov_b32_e32 v29, 0x7f80
	s_and_saveexec_b64 s[10:11], vcc
	s_cbranch_execz .LBB848_489
; %bb.488:
	v_and_b32_e32 v29, 7, v14
	v_ffbh_u32_e32 v32, v29
	v_min_u32_e32 v34, 32, v32
	v_subrev_u32_e32 v32, 28, v34
	v_lshlrev_b64 v[32:33], v32, v[14:15]
	v_lshrrev_b32_e32 v31, 3, v30
	v_sub_u32_e32 v14, 29, v34
	v_and_b32_e32 v32, 7, v32
	v_cmp_gt_u32_e32 vcc, 8, v30
	v_mov_b32_e32 v30, 24
	v_cndmask_b32_e32 v14, v31, v14, vcc
	v_cndmask_b32_e32 v29, v29, v32, vcc
	v_lshlrev_b32_sdwa v30, v30, v17 dst_sel:DWORD dst_unused:UNUSED_PAD src0_sel:DWORD src1_sel:WORD_1
	v_bfrev_b32_e32 v31, 60
	v_lshlrev_b32_e32 v29, 20, v29
	v_and_b32_e32 v30, 0x80000000, v30
	v_lshl_add_u32 v14, v14, 23, v31
	v_or3_b32 v14, v30, v14, v29
	v_lshrrev_b32_e32 v29, 16, v14
.LBB848_489:
	s_or_b64 exec, exec, s[10:11]
.LBB848_490:
	s_or_b64 exec, exec, s[8:9]
.LBB848_491:
	s_or_b64 exec, exec, s[2:3]
	s_mov_b32 s2, 0xffffff
	v_cmp_lt_u32_e32 vcc, s2, v17
	s_and_saveexec_b64 s[2:3], vcc
	s_cbranch_execz .LBB848_497
; %bb.492:
	v_lshrrev_b32_e32 v14, 24, v17
	s_movk_i32 s7, 0x80
	v_cmp_ne_u32_e32 vcc, s7, v14
	v_mov_b32_e32 v28, 0xffff8000
	s_and_saveexec_b64 s[8:9], vcc
	s_cbranch_execz .LBB848_496
; %bb.493:
	v_bfe_u32 v17, v17, 24, 7
	s_movk_i32 s7, 0x7f
	v_cmp_ne_u32_e32 vcc, s7, v17
	v_mov_b32_e32 v28, 0x7f80
	s_and_saveexec_b64 s[10:11], vcc
	s_cbranch_execz .LBB848_495
; %bb.494:
	v_and_b32_e32 v28, 7, v14
	v_ffbh_u32_e32 v30, v28
	v_min_u32_e32 v33, 32, v30
	v_subrev_u32_e32 v30, 28, v33
	v_lshlrev_b64 v[30:31], v30, v[14:15]
	v_lshrrev_b32_e32 v32, 3, v17
	v_sub_u32_e32 v31, 29, v33
	v_and_b32_e32 v30, 7, v30
	v_cmp_gt_u32_e32 vcc, 8, v17
	v_cndmask_b32_e32 v17, v32, v31, vcc
	v_cndmask_b32_e32 v28, v28, v30, vcc
	v_lshlrev_b32_e32 v14, 24, v14
	v_bfrev_b32_e32 v30, 60
	v_lshlrev_b32_e32 v28, 20, v28
	v_and_b32_e32 v14, 0x80000000, v14
	v_lshl_add_u32 v17, v17, 23, v30
	v_or3_b32 v14, v14, v17, v28
	v_lshrrev_b32_e32 v28, 16, v14
.LBB848_495:
	s_or_b64 exec, exec, s[10:11]
.LBB848_496:
	s_or_b64 exec, exec, s[8:9]
.LBB848_497:
	s_or_b64 exec, exec, s[2:3]
	s_mov_b32 s2, 0x5040100
	v_perm_b32 v25, v24, v25, s2
	v_perm_b32 v24, v15, v23, s2
	ds_read_b128 v[30:33], v22 offset:16
	v_perm_b32 v15, v28, v29, s2
	v_perm_b32 v14, v16, v27, s2
	s_waitcnt lgkmcnt(0)
	v_mfma_f32_16x16x16bf16_1k v[34:37], v[24:25], v[30:31], v[18:21]
	s_nop 6
	v_mov_b32_e32 v19, 0
	s_waitcnt vmcnt(2)
	v_cmp_ne_u16_sdwa s[8:9], v10, v19 src0_sel:BYTE_0 src1_sel:DWORD
	v_mfma_f32_16x16x16bf16_1k v[14:17], v[14:15], v[32:33], v[34:37]
	v_mov_b32_e32 v20, 0
	s_and_saveexec_b64 s[2:3], s[8:9]
	s_cbranch_execz .LBB848_503
; %bb.498:
	s_movk_i32 s7, 0x80
	v_cmp_ne_u16_sdwa s[10:11], v10, s7 src0_sel:BYTE_0 src1_sel:DWORD
	v_mov_b32_e32 v20, 0xffff8000
	s_and_saveexec_b64 s[8:9], s[10:11]
	s_cbranch_execz .LBB848_502
; %bb.499:
	s_movk_i32 s7, 0x7f
	v_and_b32_e32 v18, 0x7f, v10
	v_cmp_ne_u32_e32 vcc, s7, v18
	v_mov_b32_e32 v20, 0x7f80
	s_and_saveexec_b64 s[10:11], vcc
	s_cbranch_execz .LBB848_501
; %bb.500:
	v_and_b32_e32 v23, 7, v10
	v_ffbh_u32_e32 v20, v23
	v_min_u32_e32 v25, 32, v20
	v_subrev_u32_e32 v20, 28, v25
	v_lshlrev_b64 v[20:21], v20, v[10:11]
	v_lshrrev_b32_e32 v24, 3, v18
	v_sub_u32_e32 v21, 29, v25
	v_and_b32_e32 v20, 7, v20
	v_cmp_gt_u32_e32 vcc, 8, v18
	v_cndmask_b32_e32 v18, v24, v21, vcc
	v_cndmask_b32_e32 v20, v23, v20, vcc
	v_lshlrev_b32_e32 v21, 24, v10
	v_bfrev_b32_e32 v23, 60
	v_lshlrev_b32_e32 v20, 20, v20
	v_and_b32_e32 v21, 0x80000000, v21
	v_lshl_add_u32 v18, v18, 23, v23
	v_or3_b32 v18, v21, v18, v20
	v_lshrrev_b32_e32 v20, 16, v18
.LBB848_501:
	s_or_b64 exec, exec, s[10:11]
.LBB848_502:
	s_or_b64 exec, exec, s[8:9]
.LBB848_503:
	s_or_b64 exec, exec, s[2:3]
	v_lshrrev_b16_e32 v18, 8, v10
	v_cmp_ne_u16_e32 vcc, 0, v18
	s_and_saveexec_b64 s[2:3], vcc
	s_cbranch_execz .LBB848_509
; %bb.504:
	s_movk_i32 s7, 0x80
	v_cmp_ne_u16_e32 vcc, s7, v18
	v_mov_b32_e32 v19, 0xffff8000
	s_and_saveexec_b64 s[8:9], vcc
	s_cbranch_execz .LBB848_508
; %bb.505:
	s_movk_i32 s7, 0x7f
	v_and_b32_e32 v21, 0x7f, v18
	v_cmp_ne_u32_e32 vcc, s7, v21
	v_mov_b32_e32 v19, 0x7f80
	s_and_saveexec_b64 s[10:11], vcc
	s_cbranch_execz .LBB848_507
; %bb.506:
	v_and_b32_e32 v23, 7, v18
	v_ffbh_u32_e32 v19, v23
	v_min_u32_e32 v25, 32, v19
	v_subrev_u32_e32 v19, 28, v25
	v_lshlrev_b64 v[18:19], v19, v[18:19]
	v_lshrrev_b32_e32 v24, 3, v21
	v_sub_u32_e32 v19, 29, v25
	v_and_b32_e32 v18, 7, v18
	v_cmp_gt_u32_e32 vcc, 8, v21
	v_cndmask_b32_e32 v19, v24, v19, vcc
	v_cndmask_b32_e32 v18, v23, v18, vcc
	v_lshlrev_b32_e32 v21, 16, v10
	v_bfrev_b32_e32 v23, 60
	v_lshlrev_b32_e32 v18, 20, v18
	v_and_b32_e32 v21, 0x80000000, v21
	v_lshl_add_u32 v19, v19, 23, v23
	v_or3_b32 v18, v21, v19, v18
	v_lshrrev_b32_e32 v19, 16, v18
.LBB848_507:
	s_or_b64 exec, exec, s[10:11]
.LBB848_508:
	s_or_b64 exec, exec, s[8:9]
.LBB848_509:
	s_or_b64 exec, exec, s[2:3]
	s_movk_i32 s2, 0xff
	v_and_b32_sdwa v24, v10, s2 dst_sel:DWORD dst_unused:UNUSED_PAD src0_sel:WORD_1 src1_sel:DWORD
	v_lshrrev_b32_e32 v18, 16, v10
	v_cmp_ne_u16_e32 vcc, 0, v24
	v_mov_b32_e32 v21, 0
	v_mov_b32_e32 v23, 0
	s_and_saveexec_b64 s[2:3], vcc
	s_cbranch_execz .LBB848_515
; %bb.510:
	s_movk_i32 s7, 0x80
	v_cmp_ne_u16_e32 vcc, s7, v24
	v_mov_b32_e32 v23, 0xffff8000
	s_and_saveexec_b64 s[8:9], vcc
	s_cbranch_execz .LBB848_514
; %bb.511:
	v_bfe_u32 v24, v10, 16, 7
	s_movk_i32 s7, 0x7f
	v_cmp_ne_u32_e32 vcc, s7, v24
	v_mov_b32_e32 v23, 0x7f80
	s_and_saveexec_b64 s[10:11], vcc
	s_cbranch_execz .LBB848_513
; %bb.512:
	v_and_b32_e32 v23, 7, v18
	v_ffbh_u32_e32 v27, v23
	v_min_u32_e32 v27, 32, v27
	v_subrev_u32_e32 v28, 28, v27
	v_lshlrev_b64 v[28:29], v28, v[18:19]
	v_lshrrev_b32_e32 v25, 3, v24
	v_sub_u32_e32 v18, 29, v27
	v_and_b32_e32 v27, 7, v28
	v_cmp_gt_u32_e32 vcc, 8, v24
	v_mov_b32_e32 v24, 24
	v_cndmask_b32_e32 v18, v25, v18, vcc
	v_cndmask_b32_e32 v23, v23, v27, vcc
	v_lshlrev_b32_sdwa v24, v24, v10 dst_sel:DWORD dst_unused:UNUSED_PAD src0_sel:DWORD src1_sel:WORD_1
	v_bfrev_b32_e32 v25, 60
	v_lshlrev_b32_e32 v23, 20, v23
	v_and_b32_e32 v24, 0x80000000, v24
	v_lshl_add_u32 v18, v18, 23, v25
	v_or3_b32 v18, v24, v18, v23
	v_lshrrev_b32_e32 v23, 16, v18
.LBB848_513:
	s_or_b64 exec, exec, s[10:11]
.LBB848_514:
	s_or_b64 exec, exec, s[8:9]
.LBB848_515:
	s_or_b64 exec, exec, s[2:3]
	s_mov_b32 s2, 0xffffff
	v_cmp_lt_u32_e32 vcc, s2, v10
	s_and_saveexec_b64 s[2:3], vcc
	s_cbranch_execz .LBB848_521
; %bb.516:
	v_lshrrev_b32_e32 v18, 24, v10
	s_movk_i32 s7, 0x80
	v_cmp_ne_u32_e32 vcc, s7, v18
	v_mov_b32_e32 v21, 0xffff8000
	s_and_saveexec_b64 s[8:9], vcc
	s_cbranch_execz .LBB848_520
; %bb.517:
	v_bfe_u32 v10, v10, 24, 7
	s_movk_i32 s7, 0x7f
	v_cmp_ne_u32_e32 vcc, s7, v10
	v_mov_b32_e32 v21, 0x7f80
	s_and_saveexec_b64 s[10:11], vcc
	s_cbranch_execz .LBB848_519
; %bb.518:
	v_and_b32_e32 v21, 7, v18
	v_ffbh_u32_e32 v24, v21
	v_min_u32_e32 v28, 32, v24
	v_subrev_u32_e32 v24, 28, v28
	v_lshlrev_b64 v[24:25], v24, v[18:19]
	v_lshrrev_b32_e32 v27, 3, v10
	v_sub_u32_e32 v25, 29, v28
	v_and_b32_e32 v24, 7, v24
	v_cmp_gt_u32_e32 vcc, 8, v10
	v_cndmask_b32_e32 v10, v27, v25, vcc
	v_cndmask_b32_e32 v21, v21, v24, vcc
	v_lshlrev_b32_e32 v18, 24, v18
	v_bfrev_b32_e32 v24, 60
	v_lshlrev_b32_e32 v21, 20, v21
	v_and_b32_e32 v18, 0x80000000, v18
	v_lshl_add_u32 v10, v10, 23, v24
	v_or3_b32 v10, v18, v10, v21
	v_lshrrev_b32_e32 v21, 16, v10
.LBB848_519:
	s_or_b64 exec, exec, s[10:11]
.LBB848_520:
	s_or_b64 exec, exec, s[8:9]
.LBB848_521:
	s_or_b64 exec, exec, s[2:3]
	v_mov_b32_e32 v18, 0
	v_cmp_ne_u16_sdwa s[8:9], v11, v18 src0_sel:BYTE_0 src1_sel:DWORD
	v_mov_b32_e32 v24, 0
	s_and_saveexec_b64 s[2:3], s[8:9]
	s_cbranch_execz .LBB848_527
; %bb.522:
	s_movk_i32 s7, 0x80
	v_cmp_ne_u16_sdwa s[10:11], v11, s7 src0_sel:BYTE_0 src1_sel:DWORD
	v_mov_b32_e32 v24, 0xffff8000
	s_and_saveexec_b64 s[8:9], s[10:11]
	s_cbranch_execz .LBB848_526
; %bb.523:
	s_movk_i32 s7, 0x7f
	v_and_b32_e32 v10, 0x7f, v11
	v_cmp_ne_u32_e32 vcc, s7, v10
	v_mov_b32_e32 v24, 0x7f80
	s_and_saveexec_b64 s[10:11], vcc
	s_cbranch_execz .LBB848_525
; %bb.524:
	v_and_b32_e32 v27, 7, v11
	v_ffbh_u32_e32 v25, v27
	v_min_u32_e32 v29, 32, v25
	v_mov_b32_e32 v24, v11
	v_subrev_u32_e32 v25, 28, v29
	v_lshlrev_b64 v[24:25], v25, v[24:25]
	v_lshrrev_b32_e32 v28, 3, v10
	v_sub_u32_e32 v25, 29, v29
	v_and_b32_e32 v24, 7, v24
	v_cmp_gt_u32_e32 vcc, 8, v10
	v_cndmask_b32_e32 v10, v28, v25, vcc
	v_cndmask_b32_e32 v24, v27, v24, vcc
	v_lshlrev_b32_e32 v25, 24, v11
	v_bfrev_b32_e32 v27, 60
	v_lshlrev_b32_e32 v24, 20, v24
	v_and_b32_e32 v25, 0x80000000, v25
	v_lshl_add_u32 v10, v10, 23, v27
	v_or3_b32 v10, v25, v10, v24
	v_lshrrev_b32_e32 v24, 16, v10
.LBB848_525:
	s_or_b64 exec, exec, s[10:11]
.LBB848_526:
	s_or_b64 exec, exec, s[8:9]
.LBB848_527:
	s_or_b64 exec, exec, s[2:3]
	v_lshrrev_b16_e32 v10, 8, v11
	v_cmp_ne_u16_e32 vcc, 0, v10
	s_and_saveexec_b64 s[2:3], vcc
	s_cbranch_execz .LBB848_533
; %bb.528:
	s_movk_i32 s7, 0x80
	v_cmp_ne_u16_e32 vcc, s7, v10
	v_mov_b32_e32 v18, 0xffff8000
	s_and_saveexec_b64 s[8:9], vcc
	s_cbranch_execz .LBB848_532
; %bb.529:
	s_movk_i32 s7, 0x7f
	v_and_b32_e32 v25, 0x7f, v10
	v_cmp_ne_u32_e32 vcc, s7, v25
	v_mov_b32_e32 v18, 0x7f80
	s_and_saveexec_b64 s[10:11], vcc
	s_cbranch_execz .LBB848_531
; %bb.530:
	v_and_b32_e32 v18, 7, v10
	v_ffbh_u32_e32 v28, v18
	v_min_u32_e32 v30, 32, v28
	v_subrev_u32_e32 v28, 28, v30
	v_lshlrev_b64 v[28:29], v28, v[10:11]
	v_lshrrev_b32_e32 v27, 3, v25
	v_sub_u32_e32 v10, 29, v30
	v_and_b32_e32 v28, 7, v28
	v_cmp_gt_u32_e32 vcc, 8, v25
	v_cndmask_b32_e32 v10, v27, v10, vcc
	v_cndmask_b32_e32 v18, v18, v28, vcc
	v_lshlrev_b32_e32 v25, 16, v11
	v_bfrev_b32_e32 v27, 60
	v_lshlrev_b32_e32 v18, 20, v18
	v_and_b32_e32 v25, 0x80000000, v25
	v_lshl_add_u32 v10, v10, 23, v27
	v_or3_b32 v10, v25, v10, v18
	v_lshrrev_b32_e32 v18, 16, v10
.LBB848_531:
	s_or_b64 exec, exec, s[10:11]
.LBB848_532:
	s_or_b64 exec, exec, s[8:9]
.LBB848_533:
	s_or_b64 exec, exec, s[2:3]
	s_movk_i32 s2, 0xff
	v_and_b32_sdwa v28, v11, s2 dst_sel:DWORD dst_unused:UNUSED_PAD src0_sel:WORD_1 src1_sel:DWORD
	v_lshrrev_b32_e32 v10, 16, v11
	v_cmp_ne_u16_e32 vcc, 0, v28
	v_mov_b32_e32 v25, 0
	v_mov_b32_e32 v27, 0
	s_and_saveexec_b64 s[2:3], vcc
	s_cbranch_execz .LBB848_539
; %bb.534:
	s_movk_i32 s7, 0x80
	v_cmp_ne_u16_e32 vcc, s7, v28
	v_mov_b32_e32 v27, 0xffff8000
	s_and_saveexec_b64 s[8:9], vcc
	s_cbranch_execz .LBB848_538
; %bb.535:
	v_bfe_u32 v28, v11, 16, 7
	s_movk_i32 s7, 0x7f
	v_cmp_ne_u32_e32 vcc, s7, v28
	v_mov_b32_e32 v27, 0x7f80
	s_and_saveexec_b64 s[10:11], vcc
	s_cbranch_execz .LBB848_537
; %bb.536:
	v_and_b32_e32 v27, 7, v10
	v_ffbh_u32_e32 v30, v27
	v_min_u32_e32 v32, 32, v30
	v_subrev_u32_e32 v30, 28, v32
	v_lshlrev_b64 v[30:31], v30, v[10:11]
	v_lshrrev_b32_e32 v29, 3, v28
	v_sub_u32_e32 v10, 29, v32
	v_and_b32_e32 v30, 7, v30
	v_cmp_gt_u32_e32 vcc, 8, v28
	v_mov_b32_e32 v28, 24
	v_cndmask_b32_e32 v10, v29, v10, vcc
	v_cndmask_b32_e32 v27, v27, v30, vcc
	v_lshlrev_b32_sdwa v28, v28, v11 dst_sel:DWORD dst_unused:UNUSED_PAD src0_sel:DWORD src1_sel:WORD_1
	v_bfrev_b32_e32 v29, 60
	v_lshlrev_b32_e32 v27, 20, v27
	v_and_b32_e32 v28, 0x80000000, v28
	v_lshl_add_u32 v10, v10, 23, v29
	v_or3_b32 v10, v28, v10, v27
	v_lshrrev_b32_e32 v27, 16, v10
.LBB848_537:
	s_or_b64 exec, exec, s[10:11]
.LBB848_538:
	s_or_b64 exec, exec, s[8:9]
.LBB848_539:
	s_or_b64 exec, exec, s[2:3]
	s_mov_b32 s2, 0xffffff
	v_cmp_lt_u32_e32 vcc, s2, v11
	s_and_saveexec_b64 s[2:3], vcc
	s_cbranch_execz .LBB848_545
; %bb.540:
	v_lshrrev_b32_e32 v10, 24, v11
	s_movk_i32 s7, 0x80
	v_cmp_ne_u32_e32 vcc, s7, v10
	v_mov_b32_e32 v25, 0xffff8000
	s_and_saveexec_b64 s[8:9], vcc
	s_cbranch_execz .LBB848_544
; %bb.541:
	v_bfe_u32 v11, v11, 24, 7
	s_movk_i32 s7, 0x7f
	v_cmp_ne_u32_e32 vcc, s7, v11
	v_mov_b32_e32 v25, 0x7f80
	s_and_saveexec_b64 s[10:11], vcc
	s_cbranch_execz .LBB848_543
; %bb.542:
	v_and_b32_e32 v25, 7, v10
	v_ffbh_u32_e32 v28, v25
	v_min_u32_e32 v31, 32, v28
	v_subrev_u32_e32 v28, 28, v31
	v_lshlrev_b64 v[28:29], v28, v[10:11]
	v_lshrrev_b32_e32 v30, 3, v11
	v_sub_u32_e32 v29, 29, v31
	v_and_b32_e32 v28, 7, v28
	v_cmp_gt_u32_e32 vcc, 8, v11
	v_cndmask_b32_e32 v11, v30, v29, vcc
	v_cndmask_b32_e32 v25, v25, v28, vcc
	v_lshlrev_b32_e32 v10, 24, v10
	v_bfrev_b32_e32 v28, 60
	v_lshlrev_b32_e32 v25, 20, v25
	v_and_b32_e32 v10, 0x80000000, v10
	v_lshl_add_u32 v11, v11, 23, v28
	v_or3_b32 v10, v10, v11, v25
	v_lshrrev_b32_e32 v25, 16, v10
.LBB848_543:
	s_or_b64 exec, exec, s[10:11]
.LBB848_544:
	s_or_b64 exec, exec, s[8:9]
.LBB848_545:
	s_or_b64 exec, exec, s[2:3]
	s_mov_b32 s2, 0x5040100
	v_perm_b32 v11, v21, v23, s2
	v_perm_b32 v10, v19, v20, s2
	ds_read_b128 v[28:31], v22 offset:2048
	v_perm_b32 v21, v25, v27, s2
	v_perm_b32 v20, v18, v24, s2
	s_waitcnt lgkmcnt(0)
	v_mfma_f32_16x16x16bf16_1k v[14:17], v[10:11], v[28:29], v[14:17]
	v_mov_b32_e32 v11, 0
	v_cmp_ne_u16_sdwa s[8:9], v12, v11 src0_sel:BYTE_0 src1_sel:DWORD
	v_mov_b32_e32 v18, 0
	v_mfma_f32_16x16x16bf16_1k v[14:17], v[20:21], v[30:31], v[14:17]
	s_and_saveexec_b64 s[2:3], s[8:9]
	s_cbranch_execz .LBB848_551
; %bb.546:
	s_movk_i32 s7, 0x80
	v_cmp_ne_u16_sdwa s[10:11], v12, s7 src0_sel:BYTE_0 src1_sel:DWORD
	v_mov_b32_e32 v18, 0xffff8000
	s_and_saveexec_b64 s[8:9], s[10:11]
	s_cbranch_execz .LBB848_550
; %bb.547:
	s_movk_i32 s7, 0x7f
	v_and_b32_e32 v10, 0x7f, v12
	v_cmp_ne_u32_e32 vcc, s7, v10
	v_mov_b32_e32 v18, 0x7f80
	s_and_saveexec_b64 s[10:11], vcc
	s_cbranch_execz .LBB848_549
; %bb.548:
	v_and_b32_e32 v20, 7, v12
	v_ffbh_u32_e32 v18, v20
	v_min_u32_e32 v23, 32, v18
	v_subrev_u32_e32 v18, 28, v23
	v_lshlrev_b64 v[18:19], v18, v[12:13]
	v_lshrrev_b32_e32 v21, 3, v10
	v_sub_u32_e32 v19, 29, v23
	v_and_b32_e32 v18, 7, v18
	v_cmp_gt_u32_e32 vcc, 8, v10
	v_cndmask_b32_e32 v10, v21, v19, vcc
	v_cndmask_b32_e32 v18, v20, v18, vcc
	v_lshlrev_b32_e32 v19, 24, v12
	v_bfrev_b32_e32 v20, 60
	v_lshlrev_b32_e32 v18, 20, v18
	v_and_b32_e32 v19, 0x80000000, v19
	v_lshl_add_u32 v10, v10, 23, v20
	v_or3_b32 v10, v19, v10, v18
	v_lshrrev_b32_e32 v18, 16, v10
.LBB848_549:
	s_or_b64 exec, exec, s[10:11]
.LBB848_550:
	s_or_b64 exec, exec, s[8:9]
.LBB848_551:
	s_or_b64 exec, exec, s[2:3]
	v_lshrrev_b16_e32 v10, 8, v12
	v_cmp_ne_u16_e32 vcc, 0, v10
	s_and_saveexec_b64 s[2:3], vcc
	s_cbranch_execz .LBB848_557
; %bb.552:
	s_movk_i32 s7, 0x80
	v_cmp_ne_u16_e32 vcc, s7, v10
	v_mov_b32_e32 v11, 0xffff8000
	s_and_saveexec_b64 s[8:9], vcc
	s_cbranch_execz .LBB848_556
; %bb.553:
	s_movk_i32 s7, 0x7f
	v_and_b32_e32 v19, 0x7f, v10
	v_cmp_ne_u32_e32 vcc, s7, v19
	v_mov_b32_e32 v11, 0x7f80
	s_and_saveexec_b64 s[10:11], vcc
	s_cbranch_execz .LBB848_555
; %bb.554:
	v_and_b32_e32 v20, 7, v10
	v_ffbh_u32_e32 v11, v20
	v_min_u32_e32 v23, 32, v11
	v_subrev_u32_e32 v11, 28, v23
	v_lshlrev_b64 v[10:11], v11, v[10:11]
	v_lshrrev_b32_e32 v21, 3, v19
	v_sub_u32_e32 v11, 29, v23
	v_and_b32_e32 v10, 7, v10
	v_cmp_gt_u32_e32 vcc, 8, v19
	v_cndmask_b32_e32 v11, v21, v11, vcc
	v_cndmask_b32_e32 v10, v20, v10, vcc
	v_lshlrev_b32_e32 v19, 16, v12
	v_bfrev_b32_e32 v20, 60
	v_lshlrev_b32_e32 v10, 20, v10
	v_and_b32_e32 v19, 0x80000000, v19
	v_lshl_add_u32 v11, v11, 23, v20
	v_or3_b32 v10, v19, v11, v10
	v_lshrrev_b32_e32 v11, 16, v10
.LBB848_555:
	s_or_b64 exec, exec, s[10:11]
.LBB848_556:
	s_or_b64 exec, exec, s[8:9]
.LBB848_557:
	s_or_b64 exec, exec, s[2:3]
	s_movk_i32 s2, 0xff
	v_and_b32_sdwa v21, v12, s2 dst_sel:DWORD dst_unused:UNUSED_PAD src0_sel:WORD_1 src1_sel:DWORD
	v_lshrrev_b32_e32 v10, 16, v12
	v_cmp_ne_u16_e32 vcc, 0, v21
	v_mov_b32_e32 v19, 0
	v_mov_b32_e32 v20, 0
	s_and_saveexec_b64 s[2:3], vcc
	s_cbranch_execz .LBB848_563
; %bb.558:
	s_movk_i32 s7, 0x80
	v_cmp_ne_u16_e32 vcc, s7, v21
	v_mov_b32_e32 v20, 0xffff8000
	s_and_saveexec_b64 s[8:9], vcc
	s_cbranch_execz .LBB848_562
; %bb.559:
	v_bfe_u32 v21, v12, 16, 7
	s_movk_i32 s7, 0x7f
	v_cmp_ne_u32_e32 vcc, s7, v21
	v_mov_b32_e32 v20, 0x7f80
	s_and_saveexec_b64 s[10:11], vcc
	s_cbranch_execz .LBB848_561
; %bb.560:
	v_and_b32_e32 v20, 7, v10
	v_ffbh_u32_e32 v24, v20
	v_min_u32_e32 v27, 32, v24
	v_subrev_u32_e32 v24, 28, v27
	v_lshlrev_b64 v[24:25], v24, v[10:11]
	v_lshrrev_b32_e32 v23, 3, v21
	v_sub_u32_e32 v10, 29, v27
	v_and_b32_e32 v24, 7, v24
	v_cmp_gt_u32_e32 vcc, 8, v21
	v_mov_b32_e32 v21, 24
	v_cndmask_b32_e32 v10, v23, v10, vcc
	v_cndmask_b32_e32 v20, v20, v24, vcc
	v_lshlrev_b32_sdwa v21, v21, v12 dst_sel:DWORD dst_unused:UNUSED_PAD src0_sel:DWORD src1_sel:WORD_1
	v_bfrev_b32_e32 v23, 60
	v_lshlrev_b32_e32 v20, 20, v20
	v_and_b32_e32 v21, 0x80000000, v21
	v_lshl_add_u32 v10, v10, 23, v23
	v_or3_b32 v10, v21, v10, v20
	v_lshrrev_b32_e32 v20, 16, v10
.LBB848_561:
	s_or_b64 exec, exec, s[10:11]
.LBB848_562:
	s_or_b64 exec, exec, s[8:9]
.LBB848_563:
	s_or_b64 exec, exec, s[2:3]
	s_mov_b32 s2, 0xffffff
	v_cmp_lt_u32_e32 vcc, s2, v12
	s_and_saveexec_b64 s[2:3], vcc
	s_cbranch_execz .LBB848_569
; %bb.564:
	v_lshrrev_b32_e32 v10, 24, v12
	s_movk_i32 s7, 0x80
	v_cmp_ne_u32_e32 vcc, s7, v10
	v_mov_b32_e32 v19, 0xffff8000
	s_and_saveexec_b64 s[8:9], vcc
	s_cbranch_execz .LBB848_568
; %bb.565:
	v_bfe_u32 v12, v12, 24, 7
	s_movk_i32 s7, 0x7f
	v_cmp_ne_u32_e32 vcc, s7, v12
	v_mov_b32_e32 v19, 0x7f80
	s_and_saveexec_b64 s[10:11], vcc
	s_cbranch_execz .LBB848_567
; %bb.566:
	v_and_b32_e32 v19, 7, v10
	v_ffbh_u32_e32 v23, v19
	v_min_u32_e32 v23, 32, v23
	v_subrev_u32_e32 v24, 28, v23
	v_lshlrev_b64 v[24:25], v24, v[10:11]
	v_lshrrev_b32_e32 v21, 3, v12
	v_sub_u32_e32 v23, 29, v23
	v_and_b32_e32 v24, 7, v24
	v_cmp_gt_u32_e32 vcc, 8, v12
	v_cndmask_b32_e32 v12, v21, v23, vcc
	v_cndmask_b32_e32 v19, v19, v24, vcc
	v_lshlrev_b32_e32 v10, 24, v10
	v_bfrev_b32_e32 v21, 60
	v_lshlrev_b32_e32 v19, 20, v19
	v_and_b32_e32 v10, 0x80000000, v10
	v_lshl_add_u32 v12, v12, 23, v21
	v_or3_b32 v10, v10, v12, v19
	v_lshrrev_b32_e32 v19, 16, v10
.LBB848_567:
	s_or_b64 exec, exec, s[10:11]
.LBB848_568:
	s_or_b64 exec, exec, s[8:9]
.LBB848_569:
	s_or_b64 exec, exec, s[2:3]
	v_mov_b32_e32 v12, 0
	v_cmp_ne_u16_sdwa s[8:9], v13, v12 src0_sel:BYTE_0 src1_sel:DWORD
	v_mov_b32_e32 v21, 0
	s_and_saveexec_b64 s[2:3], s[8:9]
	s_cbranch_execz .LBB848_575
; %bb.570:
	s_movk_i32 s7, 0x80
	v_cmp_ne_u16_sdwa s[10:11], v13, s7 src0_sel:BYTE_0 src1_sel:DWORD
	v_mov_b32_e32 v21, 0xffff8000
	s_and_saveexec_b64 s[8:9], s[10:11]
	s_cbranch_execz .LBB848_574
; %bb.571:
	s_movk_i32 s7, 0x7f
	v_and_b32_e32 v10, 0x7f, v13
	v_cmp_ne_u32_e32 vcc, s7, v10
	v_mov_b32_e32 v21, 0x7f80
	s_and_saveexec_b64 s[10:11], vcc
	s_cbranch_execz .LBB848_573
; %bb.572:
	v_and_b32_e32 v21, 7, v13
	v_ffbh_u32_e32 v25, v21
	v_min_u32_e32 v27, 32, v25
	v_mov_b32_e32 v24, v13
	v_subrev_u32_e32 v25, 28, v27
	v_lshlrev_b64 v[24:25], v25, v[24:25]
	v_lshrrev_b32_e32 v23, 3, v10
	v_sub_u32_e32 v25, 29, v27
	v_and_b32_e32 v24, 7, v24
	v_cmp_gt_u32_e32 vcc, 8, v10
	v_cndmask_b32_e32 v10, v23, v25, vcc
	v_cndmask_b32_e32 v21, v21, v24, vcc
	v_lshlrev_b32_e32 v23, 24, v13
	v_bfrev_b32_e32 v24, 60
	v_lshlrev_b32_e32 v21, 20, v21
	v_and_b32_e32 v23, 0x80000000, v23
	v_lshl_add_u32 v10, v10, 23, v24
	v_or3_b32 v10, v23, v10, v21
	v_lshrrev_b32_e32 v21, 16, v10
.LBB848_573:
	s_or_b64 exec, exec, s[10:11]
.LBB848_574:
	s_or_b64 exec, exec, s[8:9]
.LBB848_575:
	s_or_b64 exec, exec, s[2:3]
	v_lshrrev_b16_e32 v10, 8, v13
	v_cmp_ne_u16_e32 vcc, 0, v10
	s_and_saveexec_b64 s[2:3], vcc
	s_cbranch_execz .LBB848_581
; %bb.576:
	s_movk_i32 s7, 0x80
	v_cmp_ne_u16_e32 vcc, s7, v10
	v_mov_b32_e32 v12, 0xffff8000
	s_and_saveexec_b64 s[8:9], vcc
	s_cbranch_execz .LBB848_580
; %bb.577:
	s_movk_i32 s7, 0x7f
	v_and_b32_e32 v23, 0x7f, v10
	v_cmp_ne_u32_e32 vcc, s7, v23
	v_mov_b32_e32 v12, 0x7f80
	s_and_saveexec_b64 s[10:11], vcc
	s_cbranch_execz .LBB848_579
; %bb.578:
	v_and_b32_e32 v12, 7, v10
	v_ffbh_u32_e32 v24, v12
	v_min_u32_e32 v28, 32, v24
	v_subrev_u32_e32 v24, 28, v28
	v_lshlrev_b64 v[24:25], v24, v[10:11]
	v_lshrrev_b32_e32 v27, 3, v23
	v_sub_u32_e32 v10, 29, v28
	v_and_b32_e32 v24, 7, v24
	v_cmp_gt_u32_e32 vcc, 8, v23
	v_cndmask_b32_e32 v10, v27, v10, vcc
	v_cndmask_b32_e32 v12, v12, v24, vcc
	v_lshlrev_b32_e32 v23, 16, v13
	v_bfrev_b32_e32 v24, 60
	v_lshlrev_b32_e32 v12, 20, v12
	v_and_b32_e32 v23, 0x80000000, v23
	v_lshl_add_u32 v10, v10, 23, v24
	v_or3_b32 v10, v23, v10, v12
	v_lshrrev_b32_e32 v12, 16, v10
.LBB848_579:
	s_or_b64 exec, exec, s[10:11]
.LBB848_580:
	s_or_b64 exec, exec, s[8:9]
.LBB848_581:
	s_or_b64 exec, exec, s[2:3]
	s_movk_i32 s2, 0xff
	v_and_b32_sdwa v25, v13, s2 dst_sel:DWORD dst_unused:UNUSED_PAD src0_sel:WORD_1 src1_sel:DWORD
	v_lshrrev_b32_e32 v10, 16, v13
	v_cmp_ne_u16_e32 vcc, 0, v25
	v_mov_b32_e32 v23, 0
	v_mov_b32_e32 v24, 0
	s_and_saveexec_b64 s[2:3], vcc
	s_cbranch_execz .LBB848_587
; %bb.582:
	s_movk_i32 s7, 0x80
	v_cmp_ne_u16_e32 vcc, s7, v25
	v_mov_b32_e32 v24, 0xffff8000
	s_and_saveexec_b64 s[8:9], vcc
	s_cbranch_execz .LBB848_586
; %bb.583:
	v_bfe_u32 v25, v13, 16, 7
	s_movk_i32 s7, 0x7f
	v_cmp_ne_u32_e32 vcc, s7, v25
	v_mov_b32_e32 v24, 0x7f80
	s_and_saveexec_b64 s[10:11], vcc
	s_cbranch_execz .LBB848_585
; %bb.584:
	v_and_b32_e32 v24, 7, v10
	v_ffbh_u32_e32 v28, v24
	v_min_u32_e32 v30, 32, v28
	v_subrev_u32_e32 v28, 28, v30
	v_lshlrev_b64 v[28:29], v28, v[10:11]
	v_lshrrev_b32_e32 v27, 3, v25
	v_sub_u32_e32 v10, 29, v30
	v_and_b32_e32 v28, 7, v28
	v_cmp_gt_u32_e32 vcc, 8, v25
	v_mov_b32_e32 v25, 24
	v_cndmask_b32_e32 v10, v27, v10, vcc
	v_cndmask_b32_e32 v24, v24, v28, vcc
	v_lshlrev_b32_sdwa v25, v25, v13 dst_sel:DWORD dst_unused:UNUSED_PAD src0_sel:DWORD src1_sel:WORD_1
	v_bfrev_b32_e32 v27, 60
	v_lshlrev_b32_e32 v24, 20, v24
	v_and_b32_e32 v25, 0x80000000, v25
	v_lshl_add_u32 v10, v10, 23, v27
	v_or3_b32 v10, v25, v10, v24
	v_lshrrev_b32_e32 v24, 16, v10
.LBB848_585:
	s_or_b64 exec, exec, s[10:11]
.LBB848_586:
	s_or_b64 exec, exec, s[8:9]
.LBB848_587:
	s_or_b64 exec, exec, s[2:3]
	s_mov_b32 s2, 0xffffff
	v_cmp_lt_u32_e32 vcc, s2, v13
	s_and_saveexec_b64 s[2:3], vcc
	s_cbranch_execz .LBB848_593
; %bb.588:
	v_lshrrev_b32_e32 v10, 24, v13
	s_movk_i32 s7, 0x80
	v_cmp_ne_u32_e32 vcc, s7, v10
	v_mov_b32_e32 v23, 0xffff8000
	s_and_saveexec_b64 s[8:9], vcc
	s_cbranch_execz .LBB848_592
; %bb.589:
	v_bfe_u32 v13, v13, 24, 7
	s_movk_i32 s7, 0x7f
	v_cmp_ne_u32_e32 vcc, s7, v13
	v_mov_b32_e32 v23, 0x7f80
	s_and_saveexec_b64 s[10:11], vcc
	s_cbranch_execz .LBB848_591
; %bb.590:
	v_and_b32_e32 v23, 7, v10
	v_ffbh_u32_e32 v27, v23
	v_min_u32_e32 v27, 32, v27
	v_subrev_u32_e32 v28, 28, v27
	v_lshlrev_b64 v[28:29], v28, v[10:11]
	v_lshrrev_b32_e32 v25, 3, v13
	v_sub_u32_e32 v27, 29, v27
	v_and_b32_e32 v28, 7, v28
	v_cmp_gt_u32_e32 vcc, 8, v13
	v_cndmask_b32_e32 v13, v25, v27, vcc
	v_cndmask_b32_e32 v23, v23, v28, vcc
	v_lshlrev_b32_e32 v10, 24, v10
	v_bfrev_b32_e32 v25, 60
	v_lshlrev_b32_e32 v23, 20, v23
	v_and_b32_e32 v10, 0x80000000, v10
	v_lshl_add_u32 v13, v13, 23, v25
	v_or3_b32 v10, v10, v13, v23
	v_lshrrev_b32_e32 v23, 16, v10
.LBB848_591:
	s_or_b64 exec, exec, s[10:11]
.LBB848_592:
	s_or_b64 exec, exec, s[8:9]
.LBB848_593:
	s_or_b64 exec, exec, s[2:3]
	s_mov_b32 s2, 0x5040100
	v_perm_b32 v19, v19, v20, s2
	v_perm_b32 v18, v11, v18, s2
	ds_read_b128 v[28:31], v22 offset:2064
	v_perm_b32 v11, v23, v24, s2
	v_perm_b32 v10, v12, v21, s2
	s_waitcnt lgkmcnt(0)
	v_mfma_f32_16x16x16bf16_1k v[32:35], v[18:19], v[28:29], v[14:17]
	s_nop 6
	v_mov_b32_e32 v15, 0
	s_waitcnt vmcnt(1)
	v_cmp_ne_u16_sdwa s[8:9], v6, v15 src0_sel:BYTE_0 src1_sel:DWORD
	v_mfma_f32_16x16x16bf16_1k v[10:13], v[10:11], v[30:31], v[32:35]
	v_mov_b32_e32 v16, 0
	s_and_saveexec_b64 s[2:3], s[8:9]
	s_cbranch_execz .LBB848_599
; %bb.594:
	s_movk_i32 s7, 0x80
	v_cmp_ne_u16_sdwa s[10:11], v6, s7 src0_sel:BYTE_0 src1_sel:DWORD
	v_mov_b32_e32 v16, 0xffff8000
	s_and_saveexec_b64 s[8:9], s[10:11]
	s_cbranch_execz .LBB848_598
; %bb.595:
	s_movk_i32 s7, 0x7f
	v_and_b32_e32 v14, 0x7f, v6
	v_cmp_ne_u32_e32 vcc, s7, v14
	v_mov_b32_e32 v16, 0x7f80
	s_and_saveexec_b64 s[10:11], vcc
	s_cbranch_execz .LBB848_597
; %bb.596:
	v_and_b32_e32 v18, 7, v6
	v_ffbh_u32_e32 v16, v18
	v_min_u32_e32 v20, 32, v16
	v_subrev_u32_e32 v16, 28, v20
	v_lshlrev_b64 v[16:17], v16, v[6:7]
	v_lshrrev_b32_e32 v19, 3, v14
	v_sub_u32_e32 v17, 29, v20
	v_and_b32_e32 v16, 7, v16
	v_cmp_gt_u32_e32 vcc, 8, v14
	v_cndmask_b32_e32 v14, v19, v17, vcc
	v_cndmask_b32_e32 v16, v18, v16, vcc
	v_lshlrev_b32_e32 v17, 24, v6
	v_bfrev_b32_e32 v18, 60
	v_lshlrev_b32_e32 v16, 20, v16
	v_and_b32_e32 v17, 0x80000000, v17
	v_lshl_add_u32 v14, v14, 23, v18
	v_or3_b32 v14, v17, v14, v16
	v_lshrrev_b32_e32 v16, 16, v14
.LBB848_597:
	s_or_b64 exec, exec, s[10:11]
.LBB848_598:
	s_or_b64 exec, exec, s[8:9]
.LBB848_599:
	s_or_b64 exec, exec, s[2:3]
	v_lshrrev_b16_e32 v14, 8, v6
	v_cmp_ne_u16_e32 vcc, 0, v14
	s_and_saveexec_b64 s[2:3], vcc
	s_cbranch_execz .LBB848_605
; %bb.600:
	s_movk_i32 s7, 0x80
	v_cmp_ne_u16_e32 vcc, s7, v14
	v_mov_b32_e32 v15, 0xffff8000
	s_and_saveexec_b64 s[8:9], vcc
	s_cbranch_execz .LBB848_604
; %bb.601:
	s_movk_i32 s7, 0x7f
	v_and_b32_e32 v17, 0x7f, v14
	v_cmp_ne_u32_e32 vcc, s7, v17
	v_mov_b32_e32 v15, 0x7f80
	s_and_saveexec_b64 s[10:11], vcc
	s_cbranch_execz .LBB848_603
; %bb.602:
	v_and_b32_e32 v18, 7, v14
	v_ffbh_u32_e32 v15, v18
	v_min_u32_e32 v20, 32, v15
	v_subrev_u32_e32 v15, 28, v20
	v_lshlrev_b64 v[14:15], v15, v[14:15]
	v_lshrrev_b32_e32 v19, 3, v17
	v_sub_u32_e32 v15, 29, v20
	v_and_b32_e32 v14, 7, v14
	v_cmp_gt_u32_e32 vcc, 8, v17
	v_cndmask_b32_e32 v15, v19, v15, vcc
	v_cndmask_b32_e32 v14, v18, v14, vcc
	v_lshlrev_b32_e32 v17, 16, v6
	v_bfrev_b32_e32 v18, 60
	v_lshlrev_b32_e32 v14, 20, v14
	v_and_b32_e32 v17, 0x80000000, v17
	v_lshl_add_u32 v15, v15, 23, v18
	v_or3_b32 v14, v17, v15, v14
	v_lshrrev_b32_e32 v15, 16, v14
.LBB848_603:
	s_or_b64 exec, exec, s[10:11]
.LBB848_604:
	s_or_b64 exec, exec, s[8:9]
.LBB848_605:
	s_or_b64 exec, exec, s[2:3]
	s_movk_i32 s2, 0xff
	v_and_b32_sdwa v19, v6, s2 dst_sel:DWORD dst_unused:UNUSED_PAD src0_sel:WORD_1 src1_sel:DWORD
	v_lshrrev_b32_e32 v14, 16, v6
	v_cmp_ne_u16_e32 vcc, 0, v19
	v_mov_b32_e32 v17, 0
	v_mov_b32_e32 v18, 0
	s_and_saveexec_b64 s[2:3], vcc
	s_cbranch_execz .LBB848_611
; %bb.606:
	s_movk_i32 s7, 0x80
	v_cmp_ne_u16_e32 vcc, s7, v19
	v_mov_b32_e32 v18, 0xffff8000
	s_and_saveexec_b64 s[8:9], vcc
	s_cbranch_execz .LBB848_610
; %bb.607:
	v_bfe_u32 v19, v6, 16, 7
	s_movk_i32 s7, 0x7f
	v_cmp_ne_u32_e32 vcc, s7, v19
	v_mov_b32_e32 v18, 0x7f80
	s_and_saveexec_b64 s[10:11], vcc
	s_cbranch_execz .LBB848_609
; %bb.608:
	v_and_b32_e32 v18, 7, v14
	v_ffbh_u32_e32 v20, v18
	v_min_u32_e32 v24, 32, v20
	v_subrev_u32_e32 v20, 28, v24
	v_lshlrev_b64 v[20:21], v20, v[14:15]
	v_lshrrev_b32_e32 v23, 3, v19
	v_sub_u32_e32 v14, 29, v24
	v_and_b32_e32 v20, 7, v20
	v_cmp_gt_u32_e32 vcc, 8, v19
	v_mov_b32_e32 v19, 24
	v_cndmask_b32_e32 v14, v23, v14, vcc
	v_cndmask_b32_e32 v18, v18, v20, vcc
	v_lshlrev_b32_sdwa v19, v19, v6 dst_sel:DWORD dst_unused:UNUSED_PAD src0_sel:DWORD src1_sel:WORD_1
	v_bfrev_b32_e32 v20, 60
	v_lshlrev_b32_e32 v18, 20, v18
	v_and_b32_e32 v19, 0x80000000, v19
	v_lshl_add_u32 v14, v14, 23, v20
	v_or3_b32 v14, v19, v14, v18
	v_lshrrev_b32_e32 v18, 16, v14
.LBB848_609:
	s_or_b64 exec, exec, s[10:11]
.LBB848_610:
	s_or_b64 exec, exec, s[8:9]
.LBB848_611:
	s_or_b64 exec, exec, s[2:3]
	s_mov_b32 s2, 0xffffff
	v_cmp_lt_u32_e32 vcc, s2, v6
	s_and_saveexec_b64 s[2:3], vcc
	s_cbranch_execz .LBB848_617
; %bb.612:
	v_lshrrev_b32_e32 v14, 24, v6
	s_movk_i32 s7, 0x80
	v_cmp_ne_u32_e32 vcc, s7, v14
	v_mov_b32_e32 v17, 0xffff8000
	s_and_saveexec_b64 s[8:9], vcc
	s_cbranch_execz .LBB848_616
; %bb.613:
	v_bfe_u32 v6, v6, 24, 7
	s_movk_i32 s7, 0x7f
	v_cmp_ne_u32_e32 vcc, s7, v6
	v_mov_b32_e32 v17, 0x7f80
	s_and_saveexec_b64 s[10:11], vcc
	s_cbranch_execz .LBB848_615
; %bb.614:
	v_and_b32_e32 v17, 7, v14
	v_ffbh_u32_e32 v20, v17
	v_min_u32_e32 v23, 32, v20
	v_subrev_u32_e32 v20, 28, v23
	v_lshlrev_b64 v[20:21], v20, v[14:15]
	v_lshrrev_b32_e32 v19, 3, v6
	v_sub_u32_e32 v21, 29, v23
	v_and_b32_e32 v20, 7, v20
	v_cmp_gt_u32_e32 vcc, 8, v6
	v_cndmask_b32_e32 v6, v19, v21, vcc
	v_cndmask_b32_e32 v17, v17, v20, vcc
	v_lshlrev_b32_e32 v14, 24, v14
	v_bfrev_b32_e32 v19, 60
	v_lshlrev_b32_e32 v17, 20, v17
	v_and_b32_e32 v14, 0x80000000, v14
	v_lshl_add_u32 v6, v6, 23, v19
	v_or3_b32 v6, v14, v6, v17
	v_lshrrev_b32_e32 v17, 16, v6
.LBB848_615:
	s_or_b64 exec, exec, s[10:11]
.LBB848_616:
	s_or_b64 exec, exec, s[8:9]
.LBB848_617:
	s_or_b64 exec, exec, s[2:3]
	v_mov_b32_e32 v14, 0
	v_cmp_ne_u16_sdwa s[8:9], v7, v14 src0_sel:BYTE_0 src1_sel:DWORD
	v_mov_b32_e32 v19, 0
	s_and_saveexec_b64 s[2:3], s[8:9]
	s_cbranch_execz .LBB848_623
; %bb.618:
	s_movk_i32 s7, 0x80
	v_cmp_ne_u16_sdwa s[10:11], v7, s7 src0_sel:BYTE_0 src1_sel:DWORD
	v_mov_b32_e32 v19, 0xffff8000
	s_and_saveexec_b64 s[8:9], s[10:11]
	s_cbranch_execz .LBB848_622
; %bb.619:
	s_movk_i32 s7, 0x7f
	v_and_b32_e32 v6, 0x7f, v7
	v_cmp_ne_u32_e32 vcc, s7, v6
	v_mov_b32_e32 v19, 0x7f80
	s_and_saveexec_b64 s[10:11], vcc
	s_cbranch_execz .LBB848_621
; %bb.620:
	v_and_b32_e32 v19, 7, v7
	v_ffbh_u32_e32 v21, v19
	v_min_u32_e32 v24, 32, v21
	v_mov_b32_e32 v20, v7
	v_subrev_u32_e32 v21, 28, v24
	v_lshlrev_b64 v[20:21], v21, v[20:21]
	v_lshrrev_b32_e32 v23, 3, v6
	v_sub_u32_e32 v21, 29, v24
	v_and_b32_e32 v20, 7, v20
	v_cmp_gt_u32_e32 vcc, 8, v6
	v_cndmask_b32_e32 v6, v23, v21, vcc
	v_cndmask_b32_e32 v19, v19, v20, vcc
	v_lshlrev_b32_e32 v20, 24, v7
	v_bfrev_b32_e32 v21, 60
	v_lshlrev_b32_e32 v19, 20, v19
	v_and_b32_e32 v20, 0x80000000, v20
	v_lshl_add_u32 v6, v6, 23, v21
	v_or3_b32 v6, v20, v6, v19
	v_lshrrev_b32_e32 v19, 16, v6
.LBB848_621:
	s_or_b64 exec, exec, s[10:11]
.LBB848_622:
	s_or_b64 exec, exec, s[8:9]
.LBB848_623:
	s_or_b64 exec, exec, s[2:3]
	v_lshrrev_b16_e32 v6, 8, v7
	v_cmp_ne_u16_e32 vcc, 0, v6
	s_and_saveexec_b64 s[2:3], vcc
	s_cbranch_execz .LBB848_629
; %bb.624:
	s_movk_i32 s7, 0x80
	v_cmp_ne_u16_e32 vcc, s7, v6
	v_mov_b32_e32 v14, 0xffff8000
	s_and_saveexec_b64 s[8:9], vcc
	s_cbranch_execz .LBB848_628
; %bb.625:
	s_movk_i32 s7, 0x7f
	v_and_b32_e32 v20, 0x7f, v6
	v_cmp_ne_u32_e32 vcc, s7, v20
	v_mov_b32_e32 v14, 0x7f80
	s_and_saveexec_b64 s[10:11], vcc
	s_cbranch_execz .LBB848_627
; %bb.626:
	v_and_b32_e32 v14, 7, v6
	v_ffbh_u32_e32 v23, v14
	v_min_u32_e32 v23, 32, v23
	v_subrev_u32_e32 v24, 28, v23
	v_lshlrev_b64 v[24:25], v24, v[6:7]
	v_lshrrev_b32_e32 v21, 3, v20
	v_sub_u32_e32 v6, 29, v23
	v_and_b32_e32 v23, 7, v24
	v_cmp_gt_u32_e32 vcc, 8, v20
	v_cndmask_b32_e32 v6, v21, v6, vcc
	v_cndmask_b32_e32 v14, v14, v23, vcc
	v_lshlrev_b32_e32 v20, 16, v7
	v_bfrev_b32_e32 v21, 60
	v_lshlrev_b32_e32 v14, 20, v14
	v_and_b32_e32 v20, 0x80000000, v20
	v_lshl_add_u32 v6, v6, 23, v21
	v_or3_b32 v6, v20, v6, v14
	v_lshrrev_b32_e32 v14, 16, v6
.LBB848_627:
	s_or_b64 exec, exec, s[10:11]
.LBB848_628:
	s_or_b64 exec, exec, s[8:9]
.LBB848_629:
	s_or_b64 exec, exec, s[2:3]
	s_movk_i32 s2, 0xff
	v_and_b32_sdwa v23, v7, s2 dst_sel:DWORD dst_unused:UNUSED_PAD src0_sel:WORD_1 src1_sel:DWORD
	v_lshrrev_b32_e32 v6, 16, v7
	v_cmp_ne_u16_e32 vcc, 0, v23
	v_mov_b32_e32 v20, 0
	v_mov_b32_e32 v21, 0
	s_and_saveexec_b64 s[2:3], vcc
	s_cbranch_execz .LBB848_635
; %bb.630:
	s_movk_i32 s7, 0x80
	v_cmp_ne_u16_e32 vcc, s7, v23
	v_mov_b32_e32 v21, 0xffff8000
	s_and_saveexec_b64 s[8:9], vcc
	s_cbranch_execz .LBB848_634
; %bb.631:
	v_bfe_u32 v23, v7, 16, 7
	s_movk_i32 s7, 0x7f
	v_cmp_ne_u32_e32 vcc, s7, v23
	v_mov_b32_e32 v21, 0x7f80
	s_and_saveexec_b64 s[10:11], vcc
	s_cbranch_execz .LBB848_633
; %bb.632:
	v_and_b32_e32 v21, 7, v6
	v_ffbh_u32_e32 v24, v21
	v_min_u32_e32 v28, 32, v24
	v_subrev_u32_e32 v24, 28, v28
	v_lshlrev_b64 v[24:25], v24, v[6:7]
	v_lshrrev_b32_e32 v27, 3, v23
	v_sub_u32_e32 v6, 29, v28
	v_and_b32_e32 v24, 7, v24
	v_cmp_gt_u32_e32 vcc, 8, v23
	v_mov_b32_e32 v23, 24
	v_cndmask_b32_e32 v6, v27, v6, vcc
	v_cndmask_b32_e32 v21, v21, v24, vcc
	v_lshlrev_b32_sdwa v23, v23, v7 dst_sel:DWORD dst_unused:UNUSED_PAD src0_sel:DWORD src1_sel:WORD_1
	v_bfrev_b32_e32 v24, 60
	v_lshlrev_b32_e32 v21, 20, v21
	v_and_b32_e32 v23, 0x80000000, v23
	v_lshl_add_u32 v6, v6, 23, v24
	v_or3_b32 v6, v23, v6, v21
	v_lshrrev_b32_e32 v21, 16, v6
.LBB848_633:
	s_or_b64 exec, exec, s[10:11]
.LBB848_634:
	s_or_b64 exec, exec, s[8:9]
.LBB848_635:
	s_or_b64 exec, exec, s[2:3]
	s_mov_b32 s2, 0xffffff
	v_cmp_lt_u32_e32 vcc, s2, v7
	s_and_saveexec_b64 s[2:3], vcc
	s_cbranch_execz .LBB848_641
; %bb.636:
	v_lshrrev_b32_e32 v6, 24, v7
	s_movk_i32 s7, 0x80
	v_cmp_ne_u32_e32 vcc, s7, v6
	v_mov_b32_e32 v20, 0xffff8000
	s_and_saveexec_b64 s[8:9], vcc
	s_cbranch_execz .LBB848_640
; %bb.637:
	v_bfe_u32 v7, v7, 24, 7
	s_movk_i32 s7, 0x7f
	v_cmp_ne_u32_e32 vcc, s7, v7
	v_mov_b32_e32 v20, 0x7f80
	s_and_saveexec_b64 s[10:11], vcc
	s_cbranch_execz .LBB848_639
; %bb.638:
	v_and_b32_e32 v20, 7, v6
	v_ffbh_u32_e32 v24, v20
	v_min_u32_e32 v27, 32, v24
	v_subrev_u32_e32 v24, 28, v27
	v_lshlrev_b64 v[24:25], v24, v[6:7]
	v_lshrrev_b32_e32 v23, 3, v7
	v_sub_u32_e32 v25, 29, v27
	v_and_b32_e32 v24, 7, v24
	v_cmp_gt_u32_e32 vcc, 8, v7
	v_cndmask_b32_e32 v7, v23, v25, vcc
	v_cndmask_b32_e32 v20, v20, v24, vcc
	v_lshlrev_b32_e32 v6, 24, v6
	v_bfrev_b32_e32 v23, 60
	v_lshlrev_b32_e32 v20, 20, v20
	v_and_b32_e32 v6, 0x80000000, v6
	v_lshl_add_u32 v7, v7, 23, v23
	v_or3_b32 v6, v6, v7, v20
	v_lshrrev_b32_e32 v20, 16, v6
.LBB848_639:
	s_or_b64 exec, exec, s[10:11]
.LBB848_640:
	s_or_b64 exec, exec, s[8:9]
.LBB848_641:
	s_or_b64 exec, exec, s[2:3]
	s_mov_b32 s2, 0x5040100
	v_perm_b32 v7, v17, v18, s2
	v_perm_b32 v6, v15, v16, s2
	ds_read_b128 v[28:31], v22 offset:4096
	v_perm_b32 v17, v20, v21, s2
	v_perm_b32 v16, v14, v19, s2
	s_waitcnt lgkmcnt(0)
	v_mfma_f32_16x16x16bf16_1k v[10:13], v[6:7], v[28:29], v[10:13]
	v_mov_b32_e32 v7, 0
	v_cmp_ne_u16_sdwa s[8:9], v8, v7 src0_sel:BYTE_0 src1_sel:DWORD
	v_mov_b32_e32 v14, 0
	v_mfma_f32_16x16x16bf16_1k v[10:13], v[16:17], v[30:31], v[10:13]
	s_and_saveexec_b64 s[2:3], s[8:9]
	s_cbranch_execz .LBB848_647
; %bb.642:
	s_movk_i32 s7, 0x80
	v_cmp_ne_u16_sdwa s[10:11], v8, s7 src0_sel:BYTE_0 src1_sel:DWORD
	v_mov_b32_e32 v14, 0xffff8000
	s_and_saveexec_b64 s[8:9], s[10:11]
	s_cbranch_execz .LBB848_646
; %bb.643:
	s_movk_i32 s7, 0x7f
	v_and_b32_e32 v6, 0x7f, v8
	v_cmp_ne_u32_e32 vcc, s7, v6
	v_mov_b32_e32 v14, 0x7f80
	s_and_saveexec_b64 s[10:11], vcc
	s_cbranch_execz .LBB848_645
; %bb.644:
	v_and_b32_e32 v16, 7, v8
	v_ffbh_u32_e32 v14, v16
	v_min_u32_e32 v18, 32, v14
	v_subrev_u32_e32 v14, 28, v18
	v_lshlrev_b64 v[14:15], v14, v[8:9]
	v_lshrrev_b32_e32 v17, 3, v6
	v_sub_u32_e32 v15, 29, v18
	v_and_b32_e32 v14, 7, v14
	v_cmp_gt_u32_e32 vcc, 8, v6
	v_cndmask_b32_e32 v6, v17, v15, vcc
	v_cndmask_b32_e32 v14, v16, v14, vcc
	v_lshlrev_b32_e32 v15, 24, v8
	v_bfrev_b32_e32 v16, 60
	v_lshlrev_b32_e32 v14, 20, v14
	v_and_b32_e32 v15, 0x80000000, v15
	v_lshl_add_u32 v6, v6, 23, v16
	v_or3_b32 v6, v15, v6, v14
	v_lshrrev_b32_e32 v14, 16, v6
.LBB848_645:
	s_or_b64 exec, exec, s[10:11]
.LBB848_646:
	s_or_b64 exec, exec, s[8:9]
.LBB848_647:
	s_or_b64 exec, exec, s[2:3]
	v_lshrrev_b16_e32 v6, 8, v8
	v_cmp_ne_u16_e32 vcc, 0, v6
	s_and_saveexec_b64 s[2:3], vcc
	s_cbranch_execz .LBB848_653
; %bb.648:
	s_movk_i32 s7, 0x80
	v_cmp_ne_u16_e32 vcc, s7, v6
	v_mov_b32_e32 v7, 0xffff8000
	s_and_saveexec_b64 s[8:9], vcc
	s_cbranch_execz .LBB848_652
; %bb.649:
	s_movk_i32 s7, 0x7f
	v_and_b32_e32 v15, 0x7f, v6
	v_cmp_ne_u32_e32 vcc, s7, v15
	v_mov_b32_e32 v7, 0x7f80
	s_and_saveexec_b64 s[10:11], vcc
	s_cbranch_execz .LBB848_651
; %bb.650:
	v_and_b32_e32 v16, 7, v6
	v_ffbh_u32_e32 v7, v16
	v_min_u32_e32 v18, 32, v7
	v_subrev_u32_e32 v7, 28, v18
	v_lshlrev_b64 v[6:7], v7, v[6:7]
	v_lshrrev_b32_e32 v17, 3, v15
	v_sub_u32_e32 v7, 29, v18
	v_and_b32_e32 v6, 7, v6
	v_cmp_gt_u32_e32 vcc, 8, v15
	v_cndmask_b32_e32 v7, v17, v7, vcc
	v_cndmask_b32_e32 v6, v16, v6, vcc
	v_lshlrev_b32_e32 v15, 16, v8
	v_bfrev_b32_e32 v16, 60
	v_lshlrev_b32_e32 v6, 20, v6
	v_and_b32_e32 v15, 0x80000000, v15
	v_lshl_add_u32 v7, v7, 23, v16
	v_or3_b32 v6, v15, v7, v6
	v_lshrrev_b32_e32 v7, 16, v6
.LBB848_651:
	s_or_b64 exec, exec, s[10:11]
.LBB848_652:
	s_or_b64 exec, exec, s[8:9]
.LBB848_653:
	s_or_b64 exec, exec, s[2:3]
	s_movk_i32 s2, 0xff
	v_and_b32_sdwa v17, v8, s2 dst_sel:DWORD dst_unused:UNUSED_PAD src0_sel:WORD_1 src1_sel:DWORD
	v_lshrrev_b32_e32 v6, 16, v8
	v_cmp_ne_u16_e32 vcc, 0, v17
	v_mov_b32_e32 v15, 0
	v_mov_b32_e32 v16, 0
	s_and_saveexec_b64 s[2:3], vcc
	s_cbranch_execz .LBB848_659
; %bb.654:
	s_movk_i32 s7, 0x80
	v_cmp_ne_u16_e32 vcc, s7, v17
	v_mov_b32_e32 v16, 0xffff8000
	s_and_saveexec_b64 s[8:9], vcc
	s_cbranch_execz .LBB848_658
; %bb.655:
	v_bfe_u32 v17, v8, 16, 7
	s_movk_i32 s7, 0x7f
	v_cmp_ne_u32_e32 vcc, s7, v17
	v_mov_b32_e32 v16, 0x7f80
	s_and_saveexec_b64 s[10:11], vcc
	s_cbranch_execz .LBB848_657
; %bb.656:
	v_and_b32_e32 v16, 7, v6
	v_ffbh_u32_e32 v18, v16
	v_min_u32_e32 v21, 32, v18
	v_subrev_u32_e32 v18, 28, v21
	v_lshlrev_b64 v[18:19], v18, v[6:7]
	v_lshrrev_b32_e32 v20, 3, v17
	v_sub_u32_e32 v6, 29, v21
	v_and_b32_e32 v18, 7, v18
	v_cmp_gt_u32_e32 vcc, 8, v17
	v_mov_b32_e32 v17, 24
	v_cndmask_b32_e32 v6, v20, v6, vcc
	v_cndmask_b32_e32 v16, v16, v18, vcc
	v_lshlrev_b32_sdwa v17, v17, v8 dst_sel:DWORD dst_unused:UNUSED_PAD src0_sel:DWORD src1_sel:WORD_1
	v_bfrev_b32_e32 v18, 60
	v_lshlrev_b32_e32 v16, 20, v16
	v_and_b32_e32 v17, 0x80000000, v17
	v_lshl_add_u32 v6, v6, 23, v18
	v_or3_b32 v6, v17, v6, v16
	v_lshrrev_b32_e32 v16, 16, v6
.LBB848_657:
	s_or_b64 exec, exec, s[10:11]
.LBB848_658:
	s_or_b64 exec, exec, s[8:9]
.LBB848_659:
	s_or_b64 exec, exec, s[2:3]
	s_mov_b32 s2, 0xffffff
	v_cmp_lt_u32_e32 vcc, s2, v8
	s_and_saveexec_b64 s[2:3], vcc
	s_cbranch_execz .LBB848_665
; %bb.660:
	v_lshrrev_b32_e32 v6, 24, v8
	s_movk_i32 s7, 0x80
	v_cmp_ne_u32_e32 vcc, s7, v6
	v_mov_b32_e32 v15, 0xffff8000
	s_and_saveexec_b64 s[8:9], vcc
	s_cbranch_execz .LBB848_664
; %bb.661:
	v_bfe_u32 v8, v8, 24, 7
	s_movk_i32 s7, 0x7f
	v_cmp_ne_u32_e32 vcc, s7, v8
	v_mov_b32_e32 v15, 0x7f80
	s_and_saveexec_b64 s[10:11], vcc
	s_cbranch_execz .LBB848_663
; %bb.662:
	v_and_b32_e32 v15, 7, v6
	v_ffbh_u32_e32 v18, v15
	v_min_u32_e32 v20, 32, v18
	v_subrev_u32_e32 v18, 28, v20
	v_lshlrev_b64 v[18:19], v18, v[6:7]
	v_lshrrev_b32_e32 v17, 3, v8
	v_sub_u32_e32 v19, 29, v20
	v_and_b32_e32 v18, 7, v18
	v_cmp_gt_u32_e32 vcc, 8, v8
	v_cndmask_b32_e32 v8, v17, v19, vcc
	v_cndmask_b32_e32 v15, v15, v18, vcc
	v_lshlrev_b32_e32 v6, 24, v6
	v_bfrev_b32_e32 v17, 60
	v_lshlrev_b32_e32 v15, 20, v15
	v_and_b32_e32 v6, 0x80000000, v6
	v_lshl_add_u32 v8, v8, 23, v17
	v_or3_b32 v6, v6, v8, v15
	v_lshrrev_b32_e32 v15, 16, v6
.LBB848_663:
	s_or_b64 exec, exec, s[10:11]
.LBB848_664:
	s_or_b64 exec, exec, s[8:9]
.LBB848_665:
	s_or_b64 exec, exec, s[2:3]
	v_mov_b32_e32 v8, 0
	v_cmp_ne_u16_sdwa s[8:9], v9, v8 src0_sel:BYTE_0 src1_sel:DWORD
	v_mov_b32_e32 v17, 0
	s_and_saveexec_b64 s[2:3], s[8:9]
	s_cbranch_execz .LBB848_671
; %bb.666:
	s_movk_i32 s7, 0x80
	v_cmp_ne_u16_sdwa s[10:11], v9, s7 src0_sel:BYTE_0 src1_sel:DWORD
	v_mov_b32_e32 v17, 0xffff8000
	s_and_saveexec_b64 s[8:9], s[10:11]
	s_cbranch_execz .LBB848_670
; %bb.667:
	s_movk_i32 s7, 0x7f
	v_and_b32_e32 v6, 0x7f, v9
	v_cmp_ne_u32_e32 vcc, s7, v6
	v_mov_b32_e32 v17, 0x7f80
	s_and_saveexec_b64 s[10:11], vcc
	s_cbranch_execz .LBB848_669
; %bb.668:
	v_and_b32_e32 v17, 7, v9
	v_ffbh_u32_e32 v19, v17
	v_min_u32_e32 v21, 32, v19
	v_mov_b32_e32 v18, v9
	v_subrev_u32_e32 v19, 28, v21
	v_lshlrev_b64 v[18:19], v19, v[18:19]
	v_lshrrev_b32_e32 v20, 3, v6
	v_sub_u32_e32 v19, 29, v21
	v_and_b32_e32 v18, 7, v18
	v_cmp_gt_u32_e32 vcc, 8, v6
	v_cndmask_b32_e32 v6, v20, v19, vcc
	v_cndmask_b32_e32 v17, v17, v18, vcc
	v_lshlrev_b32_e32 v18, 24, v9
	v_bfrev_b32_e32 v19, 60
	v_lshlrev_b32_e32 v17, 20, v17
	v_and_b32_e32 v18, 0x80000000, v18
	v_lshl_add_u32 v6, v6, 23, v19
	v_or3_b32 v6, v18, v6, v17
	v_lshrrev_b32_e32 v17, 16, v6
.LBB848_669:
	s_or_b64 exec, exec, s[10:11]
.LBB848_670:
	s_or_b64 exec, exec, s[8:9]
.LBB848_671:
	s_or_b64 exec, exec, s[2:3]
	v_lshrrev_b16_e32 v6, 8, v9
	v_cmp_ne_u16_e32 vcc, 0, v6
	s_and_saveexec_b64 s[2:3], vcc
	s_cbranch_execz .LBB848_677
; %bb.672:
	s_movk_i32 s7, 0x80
	v_cmp_ne_u16_e32 vcc, s7, v6
	v_mov_b32_e32 v8, 0xffff8000
	s_and_saveexec_b64 s[8:9], vcc
	s_cbranch_execz .LBB848_676
; %bb.673:
	s_movk_i32 s7, 0x7f
	v_and_b32_e32 v18, 0x7f, v6
	v_cmp_ne_u32_e32 vcc, s7, v18
	v_mov_b32_e32 v8, 0x7f80
	s_and_saveexec_b64 s[10:11], vcc
	s_cbranch_execz .LBB848_675
; %bb.674:
	v_and_b32_e32 v8, 7, v6
	v_ffbh_u32_e32 v20, v8
	v_min_u32_e32 v23, 32, v20
	v_subrev_u32_e32 v20, 28, v23
	v_lshlrev_b64 v[20:21], v20, v[6:7]
	v_lshrrev_b32_e32 v19, 3, v18
	v_sub_u32_e32 v6, 29, v23
	v_and_b32_e32 v20, 7, v20
	v_cmp_gt_u32_e32 vcc, 8, v18
	v_cndmask_b32_e32 v6, v19, v6, vcc
	v_cndmask_b32_e32 v8, v8, v20, vcc
	v_lshlrev_b32_e32 v18, 16, v9
	v_bfrev_b32_e32 v19, 60
	v_lshlrev_b32_e32 v8, 20, v8
	v_and_b32_e32 v18, 0x80000000, v18
	v_lshl_add_u32 v6, v6, 23, v19
	v_or3_b32 v6, v18, v6, v8
	v_lshrrev_b32_e32 v8, 16, v6
.LBB848_675:
	s_or_b64 exec, exec, s[10:11]
.LBB848_676:
	s_or_b64 exec, exec, s[8:9]
.LBB848_677:
	s_or_b64 exec, exec, s[2:3]
	s_movk_i32 s2, 0xff
	v_and_b32_sdwa v20, v9, s2 dst_sel:DWORD dst_unused:UNUSED_PAD src0_sel:WORD_1 src1_sel:DWORD
	v_lshrrev_b32_e32 v6, 16, v9
	v_cmp_ne_u16_e32 vcc, 0, v20
	v_mov_b32_e32 v18, 0
	v_mov_b32_e32 v19, 0
	s_and_saveexec_b64 s[2:3], vcc
	s_cbranch_execz .LBB848_683
; %bb.678:
	s_movk_i32 s7, 0x80
	v_cmp_ne_u16_e32 vcc, s7, v20
	v_mov_b32_e32 v19, 0xffff8000
	s_and_saveexec_b64 s[8:9], vcc
	s_cbranch_execz .LBB848_682
; %bb.679:
	v_bfe_u32 v20, v9, 16, 7
	s_movk_i32 s7, 0x7f
	v_cmp_ne_u32_e32 vcc, s7, v20
	v_mov_b32_e32 v19, 0x7f80
	s_and_saveexec_b64 s[10:11], vcc
	s_cbranch_execz .LBB848_681
; %bb.680:
	v_and_b32_e32 v19, 7, v6
	v_ffbh_u32_e32 v23, v19
	v_min_u32_e32 v23, 32, v23
	v_subrev_u32_e32 v24, 28, v23
	v_lshlrev_b64 v[24:25], v24, v[6:7]
	v_lshrrev_b32_e32 v21, 3, v20
	v_sub_u32_e32 v6, 29, v23
	v_and_b32_e32 v23, 7, v24
	v_cmp_gt_u32_e32 vcc, 8, v20
	v_mov_b32_e32 v20, 24
	v_cndmask_b32_e32 v6, v21, v6, vcc
	v_cndmask_b32_e32 v19, v19, v23, vcc
	v_lshlrev_b32_sdwa v20, v20, v9 dst_sel:DWORD dst_unused:UNUSED_PAD src0_sel:DWORD src1_sel:WORD_1
	v_bfrev_b32_e32 v21, 60
	v_lshlrev_b32_e32 v19, 20, v19
	v_and_b32_e32 v20, 0x80000000, v20
	v_lshl_add_u32 v6, v6, 23, v21
	v_or3_b32 v6, v20, v6, v19
	v_lshrrev_b32_e32 v19, 16, v6
.LBB848_681:
	s_or_b64 exec, exec, s[10:11]
.LBB848_682:
	s_or_b64 exec, exec, s[8:9]
.LBB848_683:
	s_or_b64 exec, exec, s[2:3]
	s_mov_b32 s2, 0xffffff
	v_cmp_lt_u32_e32 vcc, s2, v9
	s_and_saveexec_b64 s[2:3], vcc
	s_cbranch_execz .LBB848_689
; %bb.684:
	v_lshrrev_b32_e32 v6, 24, v9
	s_movk_i32 s7, 0x80
	v_cmp_ne_u32_e32 vcc, s7, v6
	v_mov_b32_e32 v18, 0xffff8000
	s_and_saveexec_b64 s[8:9], vcc
	s_cbranch_execz .LBB848_688
; %bb.685:
	v_bfe_u32 v9, v9, 24, 7
	s_movk_i32 s7, 0x7f
	v_cmp_ne_u32_e32 vcc, s7, v9
	v_mov_b32_e32 v18, 0x7f80
	s_and_saveexec_b64 s[10:11], vcc
	s_cbranch_execz .LBB848_687
; %bb.686:
	v_and_b32_e32 v18, 7, v6
	v_ffbh_u32_e32 v20, v18
	v_min_u32_e32 v24, 32, v20
	v_subrev_u32_e32 v20, 28, v24
	v_lshlrev_b64 v[20:21], v20, v[6:7]
	v_lshrrev_b32_e32 v23, 3, v9
	v_sub_u32_e32 v21, 29, v24
	v_and_b32_e32 v20, 7, v20
	v_cmp_gt_u32_e32 vcc, 8, v9
	v_cndmask_b32_e32 v9, v23, v21, vcc
	v_cndmask_b32_e32 v18, v18, v20, vcc
	v_lshlrev_b32_e32 v6, 24, v6
	v_bfrev_b32_e32 v20, 60
	v_lshlrev_b32_e32 v18, 20, v18
	v_and_b32_e32 v6, 0x80000000, v6
	v_lshl_add_u32 v9, v9, 23, v20
	v_or3_b32 v6, v6, v9, v18
	v_lshrrev_b32_e32 v18, 16, v6
.LBB848_687:
	s_or_b64 exec, exec, s[10:11]
.LBB848_688:
	s_or_b64 exec, exec, s[8:9]
.LBB848_689:
	s_or_b64 exec, exec, s[2:3]
	s_mov_b32 s2, 0x5040100
	v_perm_b32 v15, v15, v16, s2
	v_perm_b32 v14, v7, v14, s2
	ds_read_b128 v[28:31], v22 offset:4112
	v_perm_b32 v7, v18, v19, s2
	v_perm_b32 v6, v8, v17, s2
	s_waitcnt lgkmcnt(0)
	v_mfma_f32_16x16x16bf16_1k v[32:35], v[14:15], v[28:29], v[10:13]
	s_nop 6
	v_mov_b32_e32 v11, 0
	s_waitcnt vmcnt(0)
	v_cmp_ne_u16_sdwa s[8:9], v2, v11 src0_sel:BYTE_0 src1_sel:DWORD
	v_mfma_f32_16x16x16bf16_1k v[6:9], v[6:7], v[30:31], v[32:35]
	v_mov_b32_e32 v12, 0
	s_and_saveexec_b64 s[2:3], s[8:9]
	s_cbranch_execz .LBB848_695
; %bb.690:
	s_movk_i32 s7, 0x80
	v_cmp_ne_u16_sdwa s[10:11], v2, s7 src0_sel:BYTE_0 src1_sel:DWORD
	v_mov_b32_e32 v12, 0xffff8000
	s_and_saveexec_b64 s[8:9], s[10:11]
	s_cbranch_execz .LBB848_694
; %bb.691:
	s_movk_i32 s7, 0x7f
	v_and_b32_e32 v10, 0x7f, v2
	v_cmp_ne_u32_e32 vcc, s7, v10
	v_mov_b32_e32 v12, 0x7f80
	s_and_saveexec_b64 s[10:11], vcc
	s_cbranch_execz .LBB848_693
; %bb.692:
	v_and_b32_e32 v14, 7, v2
	v_ffbh_u32_e32 v12, v14
	v_min_u32_e32 v16, 32, v12
	v_subrev_u32_e32 v12, 28, v16
	v_lshlrev_b64 v[12:13], v12, v[2:3]
	v_lshrrev_b32_e32 v15, 3, v10
	v_sub_u32_e32 v13, 29, v16
	v_and_b32_e32 v12, 7, v12
	v_cmp_gt_u32_e32 vcc, 8, v10
	v_cndmask_b32_e32 v10, v15, v13, vcc
	v_cndmask_b32_e32 v12, v14, v12, vcc
	v_lshlrev_b32_e32 v13, 24, v2
	v_bfrev_b32_e32 v14, 60
	v_lshlrev_b32_e32 v12, 20, v12
	v_and_b32_e32 v13, 0x80000000, v13
	v_lshl_add_u32 v10, v10, 23, v14
	v_or3_b32 v10, v13, v10, v12
	v_lshrrev_b32_e32 v12, 16, v10
.LBB848_693:
	s_or_b64 exec, exec, s[10:11]
.LBB848_694:
	s_or_b64 exec, exec, s[8:9]
.LBB848_695:
	s_or_b64 exec, exec, s[2:3]
	v_lshrrev_b16_e32 v10, 8, v2
	v_cmp_ne_u16_e32 vcc, 0, v10
	s_and_saveexec_b64 s[2:3], vcc
	s_cbranch_execz .LBB848_701
; %bb.696:
	s_movk_i32 s7, 0x80
	v_cmp_ne_u16_e32 vcc, s7, v10
	v_mov_b32_e32 v11, 0xffff8000
	s_and_saveexec_b64 s[8:9], vcc
	s_cbranch_execz .LBB848_700
; %bb.697:
	s_movk_i32 s7, 0x7f
	v_and_b32_e32 v13, 0x7f, v10
	v_cmp_ne_u32_e32 vcc, s7, v13
	v_mov_b32_e32 v11, 0x7f80
	s_and_saveexec_b64 s[10:11], vcc
	s_cbranch_execz .LBB848_699
; %bb.698:
	v_and_b32_e32 v14, 7, v10
	v_ffbh_u32_e32 v11, v14
	v_min_u32_e32 v16, 32, v11
	v_subrev_u32_e32 v11, 28, v16
	v_lshlrev_b64 v[10:11], v11, v[10:11]
	v_lshrrev_b32_e32 v15, 3, v13
	v_sub_u32_e32 v11, 29, v16
	v_and_b32_e32 v10, 7, v10
	v_cmp_gt_u32_e32 vcc, 8, v13
	v_cndmask_b32_e32 v11, v15, v11, vcc
	v_cndmask_b32_e32 v10, v14, v10, vcc
	v_lshlrev_b32_e32 v13, 16, v2
	v_bfrev_b32_e32 v14, 60
	v_lshlrev_b32_e32 v10, 20, v10
	v_and_b32_e32 v13, 0x80000000, v13
	v_lshl_add_u32 v11, v11, 23, v14
	v_or3_b32 v10, v13, v11, v10
	v_lshrrev_b32_e32 v11, 16, v10
.LBB848_699:
	s_or_b64 exec, exec, s[10:11]
.LBB848_700:
	s_or_b64 exec, exec, s[8:9]
.LBB848_701:
	s_or_b64 exec, exec, s[2:3]
	s_movk_i32 s2, 0xff
	v_and_b32_sdwa v15, v2, s2 dst_sel:DWORD dst_unused:UNUSED_PAD src0_sel:WORD_1 src1_sel:DWORD
	v_lshrrev_b32_e32 v10, 16, v2
	v_cmp_ne_u16_e32 vcc, 0, v15
	v_mov_b32_e32 v13, 0
	v_mov_b32_e32 v14, 0
	s_and_saveexec_b64 s[2:3], vcc
	s_cbranch_execz .LBB848_707
; %bb.702:
	s_movk_i32 s7, 0x80
	v_cmp_ne_u16_e32 vcc, s7, v15
	v_mov_b32_e32 v14, 0xffff8000
	s_and_saveexec_b64 s[8:9], vcc
	s_cbranch_execz .LBB848_706
; %bb.703:
	v_bfe_u32 v15, v2, 16, 7
	s_movk_i32 s7, 0x7f
	v_cmp_ne_u32_e32 vcc, s7, v15
	v_mov_b32_e32 v14, 0x7f80
	s_and_saveexec_b64 s[10:11], vcc
	s_cbranch_execz .LBB848_705
; %bb.704:
	v_and_b32_e32 v14, 7, v10
	v_ffbh_u32_e32 v16, v14
	v_min_u32_e32 v19, 32, v16
	v_subrev_u32_e32 v16, 28, v19
	v_lshlrev_b64 v[16:17], v16, v[10:11]
	v_lshrrev_b32_e32 v18, 3, v15
	v_sub_u32_e32 v10, 29, v19
	v_and_b32_e32 v16, 7, v16
	v_cmp_gt_u32_e32 vcc, 8, v15
	v_mov_b32_e32 v15, 24
	v_cndmask_b32_e32 v10, v18, v10, vcc
	v_cndmask_b32_e32 v14, v14, v16, vcc
	v_lshlrev_b32_sdwa v15, v15, v2 dst_sel:DWORD dst_unused:UNUSED_PAD src0_sel:DWORD src1_sel:WORD_1
	v_bfrev_b32_e32 v16, 60
	v_lshlrev_b32_e32 v14, 20, v14
	v_and_b32_e32 v15, 0x80000000, v15
	v_lshl_add_u32 v10, v10, 23, v16
	v_or3_b32 v10, v15, v10, v14
	v_lshrrev_b32_e32 v14, 16, v10
.LBB848_705:
	s_or_b64 exec, exec, s[10:11]
.LBB848_706:
	s_or_b64 exec, exec, s[8:9]
.LBB848_707:
	s_or_b64 exec, exec, s[2:3]
	s_mov_b32 s2, 0xffffff
	v_cmp_lt_u32_e32 vcc, s2, v2
	s_and_saveexec_b64 s[2:3], vcc
	s_cbranch_execz .LBB848_713
; %bb.708:
	v_lshrrev_b32_e32 v10, 24, v2
	s_movk_i32 s7, 0x80
	v_cmp_ne_u32_e32 vcc, s7, v10
	v_mov_b32_e32 v13, 0xffff8000
	s_and_saveexec_b64 s[8:9], vcc
	s_cbranch_execz .LBB848_712
; %bb.709:
	v_bfe_u32 v2, v2, 24, 7
	s_movk_i32 s7, 0x7f
	v_cmp_ne_u32_e32 vcc, s7, v2
	v_mov_b32_e32 v13, 0x7f80
	s_and_saveexec_b64 s[10:11], vcc
	s_cbranch_execz .LBB848_711
; %bb.710:
	v_and_b32_e32 v13, 7, v10
	v_ffbh_u32_e32 v16, v13
	v_min_u32_e32 v18, 32, v16
	v_subrev_u32_e32 v16, 28, v18
	v_lshlrev_b64 v[16:17], v16, v[10:11]
	v_lshrrev_b32_e32 v15, 3, v2
	v_sub_u32_e32 v17, 29, v18
	v_and_b32_e32 v16, 7, v16
	v_cmp_gt_u32_e32 vcc, 8, v2
	v_cndmask_b32_e32 v2, v15, v17, vcc
	v_cndmask_b32_e32 v13, v13, v16, vcc
	v_lshlrev_b32_e32 v10, 24, v10
	v_bfrev_b32_e32 v15, 60
	v_lshlrev_b32_e32 v13, 20, v13
	v_and_b32_e32 v10, 0x80000000, v10
	v_lshl_add_u32 v2, v2, 23, v15
	v_or3_b32 v2, v10, v2, v13
	v_lshrrev_b32_e32 v13, 16, v2
.LBB848_711:
	s_or_b64 exec, exec, s[10:11]
.LBB848_712:
	s_or_b64 exec, exec, s[8:9]
.LBB848_713:
	s_or_b64 exec, exec, s[2:3]
	v_mov_b32_e32 v10, 0
	v_cmp_ne_u16_sdwa s[8:9], v3, v10 src0_sel:BYTE_0 src1_sel:DWORD
	v_mov_b32_e32 v15, 0
	s_and_saveexec_b64 s[2:3], s[8:9]
	s_cbranch_execz .LBB848_719
; %bb.714:
	s_movk_i32 s7, 0x80
	v_cmp_ne_u16_sdwa s[10:11], v3, s7 src0_sel:BYTE_0 src1_sel:DWORD
	v_mov_b32_e32 v15, 0xffff8000
	s_and_saveexec_b64 s[8:9], s[10:11]
	s_cbranch_execz .LBB848_718
; %bb.715:
	s_movk_i32 s7, 0x7f
	v_and_b32_e32 v2, 0x7f, v3
	v_cmp_ne_u32_e32 vcc, s7, v2
	v_mov_b32_e32 v15, 0x7f80
	s_and_saveexec_b64 s[10:11], vcc
	s_cbranch_execz .LBB848_717
; %bb.716:
	v_and_b32_e32 v15, 7, v3
	v_ffbh_u32_e32 v17, v15
	v_min_u32_e32 v19, 32, v17
	v_mov_b32_e32 v16, v3
	v_subrev_u32_e32 v17, 28, v19
	v_lshlrev_b64 v[16:17], v17, v[16:17]
	v_lshrrev_b32_e32 v18, 3, v2
	v_sub_u32_e32 v17, 29, v19
	v_and_b32_e32 v16, 7, v16
	v_cmp_gt_u32_e32 vcc, 8, v2
	v_cndmask_b32_e32 v2, v18, v17, vcc
	v_cndmask_b32_e32 v15, v15, v16, vcc
	v_lshlrev_b32_e32 v16, 24, v3
	v_bfrev_b32_e32 v17, 60
	v_lshlrev_b32_e32 v15, 20, v15
	v_and_b32_e32 v16, 0x80000000, v16
	v_lshl_add_u32 v2, v2, 23, v17
	v_or3_b32 v2, v16, v2, v15
	v_lshrrev_b32_e32 v15, 16, v2
.LBB848_717:
	s_or_b64 exec, exec, s[10:11]
.LBB848_718:
	s_or_b64 exec, exec, s[8:9]
.LBB848_719:
	s_or_b64 exec, exec, s[2:3]
	v_lshrrev_b16_e32 v2, 8, v3
	v_cmp_ne_u16_e32 vcc, 0, v2
	s_and_saveexec_b64 s[2:3], vcc
	s_cbranch_execz .LBB848_725
; %bb.720:
	s_movk_i32 s7, 0x80
	v_cmp_ne_u16_e32 vcc, s7, v2
	v_mov_b32_e32 v10, 0xffff8000
	s_and_saveexec_b64 s[8:9], vcc
	s_cbranch_execz .LBB848_724
; %bb.721:
	s_movk_i32 s7, 0x7f
	v_and_b32_e32 v16, 0x7f, v2
	v_cmp_ne_u32_e32 vcc, s7, v16
	v_mov_b32_e32 v10, 0x7f80
	s_and_saveexec_b64 s[10:11], vcc
	s_cbranch_execz .LBB848_723
; %bb.722:
	v_and_b32_e32 v10, 7, v2
	v_ffbh_u32_e32 v18, v10
	v_min_u32_e32 v20, 32, v18
	v_subrev_u32_e32 v18, 28, v20
	v_lshlrev_b64 v[18:19], v18, v[2:3]
	v_lshrrev_b32_e32 v17, 3, v16
	v_sub_u32_e32 v2, 29, v20
	v_and_b32_e32 v18, 7, v18
	v_cmp_gt_u32_e32 vcc, 8, v16
	v_cndmask_b32_e32 v2, v17, v2, vcc
	v_cndmask_b32_e32 v10, v10, v18, vcc
	v_lshlrev_b32_e32 v16, 16, v3
	v_bfrev_b32_e32 v17, 60
	v_lshlrev_b32_e32 v10, 20, v10
	v_and_b32_e32 v16, 0x80000000, v16
	v_lshl_add_u32 v2, v2, 23, v17
	v_or3_b32 v2, v16, v2, v10
	v_lshrrev_b32_e32 v10, 16, v2
.LBB848_723:
	s_or_b64 exec, exec, s[10:11]
.LBB848_724:
	s_or_b64 exec, exec, s[8:9]
.LBB848_725:
	s_or_b64 exec, exec, s[2:3]
	s_movk_i32 s2, 0xff
	v_and_b32_sdwa v18, v3, s2 dst_sel:DWORD dst_unused:UNUSED_PAD src0_sel:WORD_1 src1_sel:DWORD
	v_lshrrev_b32_e32 v2, 16, v3
	v_cmp_ne_u16_e32 vcc, 0, v18
	v_mov_b32_e32 v16, 0
	v_mov_b32_e32 v17, 0
	s_and_saveexec_b64 s[2:3], vcc
	s_cbranch_execz .LBB848_731
; %bb.726:
	s_movk_i32 s7, 0x80
	v_cmp_ne_u16_e32 vcc, s7, v18
	v_mov_b32_e32 v17, 0xffff8000
	s_and_saveexec_b64 s[8:9], vcc
	s_cbranch_execz .LBB848_730
; %bb.727:
	v_bfe_u32 v18, v3, 16, 7
	s_movk_i32 s7, 0x7f
	v_cmp_ne_u32_e32 vcc, s7, v18
	v_mov_b32_e32 v17, 0x7f80
	s_and_saveexec_b64 s[10:11], vcc
	s_cbranch_execz .LBB848_729
; %bb.728:
	v_and_b32_e32 v17, 7, v2
	v_ffbh_u32_e32 v20, v17
	v_min_u32_e32 v23, 32, v20
	v_subrev_u32_e32 v20, 28, v23
	v_lshlrev_b64 v[20:21], v20, v[2:3]
	v_lshrrev_b32_e32 v19, 3, v18
	v_sub_u32_e32 v2, 29, v23
	v_and_b32_e32 v20, 7, v20
	v_cmp_gt_u32_e32 vcc, 8, v18
	v_mov_b32_e32 v18, 24
	v_cndmask_b32_e32 v2, v19, v2, vcc
	v_cndmask_b32_e32 v17, v17, v20, vcc
	v_lshlrev_b32_sdwa v18, v18, v3 dst_sel:DWORD dst_unused:UNUSED_PAD src0_sel:DWORD src1_sel:WORD_1
	v_bfrev_b32_e32 v19, 60
	v_lshlrev_b32_e32 v17, 20, v17
	v_and_b32_e32 v18, 0x80000000, v18
	v_lshl_add_u32 v2, v2, 23, v19
	v_or3_b32 v2, v18, v2, v17
	v_lshrrev_b32_e32 v17, 16, v2
.LBB848_729:
	s_or_b64 exec, exec, s[10:11]
.LBB848_730:
	s_or_b64 exec, exec, s[8:9]
.LBB848_731:
	s_or_b64 exec, exec, s[2:3]
	s_mov_b32 s2, 0xffffff
	v_cmp_lt_u32_e32 vcc, s2, v3
	s_and_saveexec_b64 s[2:3], vcc
	s_cbranch_execz .LBB848_737
; %bb.732:
	v_lshrrev_b32_e32 v2, 24, v3
	s_movk_i32 s7, 0x80
	v_cmp_ne_u32_e32 vcc, s7, v2
	v_mov_b32_e32 v16, 0xffff8000
	s_and_saveexec_b64 s[8:9], vcc
	s_cbranch_execz .LBB848_736
; %bb.733:
	v_bfe_u32 v3, v3, 24, 7
	s_movk_i32 s7, 0x7f
	v_cmp_ne_u32_e32 vcc, s7, v3
	v_mov_b32_e32 v16, 0x7f80
	s_and_saveexec_b64 s[10:11], vcc
	s_cbranch_execz .LBB848_735
; %bb.734:
	v_and_b32_e32 v16, 7, v2
	v_ffbh_u32_e32 v18, v16
	v_min_u32_e32 v21, 32, v18
	v_subrev_u32_e32 v18, 28, v21
	v_lshlrev_b64 v[18:19], v18, v[2:3]
	v_lshrrev_b32_e32 v20, 3, v3
	v_sub_u32_e32 v19, 29, v21
	v_and_b32_e32 v18, 7, v18
	v_cmp_gt_u32_e32 vcc, 8, v3
	v_cndmask_b32_e32 v3, v20, v19, vcc
	v_cndmask_b32_e32 v16, v16, v18, vcc
	v_lshlrev_b32_e32 v2, 24, v2
	v_bfrev_b32_e32 v18, 60
	v_lshlrev_b32_e32 v16, 20, v16
	v_and_b32_e32 v2, 0x80000000, v2
	v_lshl_add_u32 v3, v3, 23, v18
	v_or3_b32 v2, v2, v3, v16
	v_lshrrev_b32_e32 v16, 16, v2
.LBB848_735:
	s_or_b64 exec, exec, s[10:11]
.LBB848_736:
	s_or_b64 exec, exec, s[8:9]
.LBB848_737:
	s_or_b64 exec, exec, s[2:3]
	s_mov_b32 s2, 0x5040100
	v_perm_b32 v3, v13, v14, s2
	v_perm_b32 v2, v11, v12, s2
	ds_read_b128 v[18:21], v22 offset:6144
	v_perm_b32 v13, v16, v17, s2
	v_perm_b32 v12, v10, v15, s2
	s_waitcnt lgkmcnt(0)
	v_mfma_f32_16x16x16bf16_1k v[6:9], v[2:3], v[18:19], v[6:9]
	v_mov_b32_e32 v3, 0
	v_cmp_ne_u16_sdwa s[8:9], v4, v3 src0_sel:BYTE_0 src1_sel:DWORD
	v_mov_b32_e32 v10, 0
	v_mfma_f32_16x16x16bf16_1k v[6:9], v[12:13], v[20:21], v[6:9]
	s_and_saveexec_b64 s[2:3], s[8:9]
	s_cbranch_execz .LBB848_743
; %bb.738:
	s_movk_i32 s7, 0x80
	v_cmp_ne_u16_sdwa s[10:11], v4, s7 src0_sel:BYTE_0 src1_sel:DWORD
	v_mov_b32_e32 v10, 0xffff8000
	s_and_saveexec_b64 s[8:9], s[10:11]
	s_cbranch_execz .LBB848_742
; %bb.739:
	s_movk_i32 s7, 0x7f
	v_and_b32_e32 v2, 0x7f, v4
	v_cmp_ne_u32_e32 vcc, s7, v2
	v_mov_b32_e32 v10, 0x7f80
	s_and_saveexec_b64 s[10:11], vcc
	s_cbranch_execz .LBB848_741
; %bb.740:
	v_and_b32_e32 v12, 7, v4
	v_ffbh_u32_e32 v10, v12
	v_min_u32_e32 v14, 32, v10
	v_subrev_u32_e32 v10, 28, v14
	v_lshlrev_b64 v[10:11], v10, v[4:5]
	v_lshrrev_b32_e32 v13, 3, v2
	v_sub_u32_e32 v11, 29, v14
	v_and_b32_e32 v10, 7, v10
	v_cmp_gt_u32_e32 vcc, 8, v2
	v_cndmask_b32_e32 v2, v13, v11, vcc
	v_cndmask_b32_e32 v10, v12, v10, vcc
	v_lshlrev_b32_e32 v11, 24, v4
	v_bfrev_b32_e32 v12, 60
	v_lshlrev_b32_e32 v10, 20, v10
	v_and_b32_e32 v11, 0x80000000, v11
	v_lshl_add_u32 v2, v2, 23, v12
	v_or3_b32 v2, v11, v2, v10
	v_lshrrev_b32_e32 v10, 16, v2
.LBB848_741:
	s_or_b64 exec, exec, s[10:11]
.LBB848_742:
	s_or_b64 exec, exec, s[8:9]
.LBB848_743:
	s_or_b64 exec, exec, s[2:3]
	v_lshrrev_b16_e32 v2, 8, v4
	v_cmp_ne_u16_e32 vcc, 0, v2
	s_and_saveexec_b64 s[2:3], vcc
	s_cbranch_execz .LBB848_749
; %bb.744:
	s_movk_i32 s7, 0x80
	v_cmp_ne_u16_e32 vcc, s7, v2
	v_mov_b32_e32 v3, 0xffff8000
	s_and_saveexec_b64 s[8:9], vcc
	s_cbranch_execz .LBB848_748
; %bb.745:
	s_movk_i32 s7, 0x7f
	v_and_b32_e32 v11, 0x7f, v2
	v_cmp_ne_u32_e32 vcc, s7, v11
	v_mov_b32_e32 v3, 0x7f80
	s_and_saveexec_b64 s[10:11], vcc
	s_cbranch_execz .LBB848_747
; %bb.746:
	v_and_b32_e32 v12, 7, v2
	v_ffbh_u32_e32 v3, v12
	v_min_u32_e32 v14, 32, v3
	v_subrev_u32_e32 v3, 28, v14
	v_lshlrev_b64 v[2:3], v3, v[2:3]
	v_lshrrev_b32_e32 v13, 3, v11
	v_sub_u32_e32 v3, 29, v14
	v_and_b32_e32 v2, 7, v2
	v_cmp_gt_u32_e32 vcc, 8, v11
	v_cndmask_b32_e32 v3, v13, v3, vcc
	v_cndmask_b32_e32 v2, v12, v2, vcc
	v_lshlrev_b32_e32 v11, 16, v4
	v_bfrev_b32_e32 v12, 60
	v_lshlrev_b32_e32 v2, 20, v2
	v_and_b32_e32 v11, 0x80000000, v11
	v_lshl_add_u32 v3, v3, 23, v12
	v_or3_b32 v2, v11, v3, v2
	v_lshrrev_b32_e32 v3, 16, v2
.LBB848_747:
	s_or_b64 exec, exec, s[10:11]
.LBB848_748:
	s_or_b64 exec, exec, s[8:9]
.LBB848_749:
	s_or_b64 exec, exec, s[2:3]
	s_movk_i32 s2, 0xff
	v_and_b32_sdwa v13, v4, s2 dst_sel:DWORD dst_unused:UNUSED_PAD src0_sel:WORD_1 src1_sel:DWORD
	v_lshrrev_b32_e32 v2, 16, v4
	v_cmp_ne_u16_e32 vcc, 0, v13
	v_mov_b32_e32 v11, 0
	v_mov_b32_e32 v12, 0
	s_and_saveexec_b64 s[2:3], vcc
	s_cbranch_execz .LBB848_755
; %bb.750:
	s_movk_i32 s7, 0x80
	v_cmp_ne_u16_e32 vcc, s7, v13
	v_mov_b32_e32 v12, 0xffff8000
	s_and_saveexec_b64 s[8:9], vcc
	s_cbranch_execz .LBB848_754
; %bb.751:
	v_bfe_u32 v13, v4, 16, 7
	s_movk_i32 s7, 0x7f
	v_cmp_ne_u32_e32 vcc, s7, v13
	v_mov_b32_e32 v12, 0x7f80
	s_and_saveexec_b64 s[10:11], vcc
	s_cbranch_execz .LBB848_753
; %bb.752:
	v_and_b32_e32 v12, 7, v2
	v_ffbh_u32_e32 v14, v12
	v_min_u32_e32 v17, 32, v14
	v_subrev_u32_e32 v14, 28, v17
	v_lshlrev_b64 v[14:15], v14, v[2:3]
	v_lshrrev_b32_e32 v16, 3, v13
	v_sub_u32_e32 v2, 29, v17
	v_and_b32_e32 v14, 7, v14
	v_cmp_gt_u32_e32 vcc, 8, v13
	v_mov_b32_e32 v13, 24
	v_cndmask_b32_e32 v2, v16, v2, vcc
	v_cndmask_b32_e32 v12, v12, v14, vcc
	v_lshlrev_b32_sdwa v13, v13, v4 dst_sel:DWORD dst_unused:UNUSED_PAD src0_sel:DWORD src1_sel:WORD_1
	v_bfrev_b32_e32 v14, 60
	v_lshlrev_b32_e32 v12, 20, v12
	v_and_b32_e32 v13, 0x80000000, v13
	v_lshl_add_u32 v2, v2, 23, v14
	v_or3_b32 v2, v13, v2, v12
	v_lshrrev_b32_e32 v12, 16, v2
.LBB848_753:
	s_or_b64 exec, exec, s[10:11]
.LBB848_754:
	s_or_b64 exec, exec, s[8:9]
.LBB848_755:
	s_or_b64 exec, exec, s[2:3]
	s_mov_b32 s2, 0xffffff
	v_cmp_lt_u32_e32 vcc, s2, v4
	s_and_saveexec_b64 s[2:3], vcc
	s_cbranch_execz .LBB848_761
; %bb.756:
	v_lshrrev_b32_e32 v2, 24, v4
	s_movk_i32 s7, 0x80
	v_cmp_ne_u32_e32 vcc, s7, v2
	v_mov_b32_e32 v11, 0xffff8000
	s_and_saveexec_b64 s[8:9], vcc
	s_cbranch_execz .LBB848_760
; %bb.757:
	v_bfe_u32 v4, v4, 24, 7
	s_movk_i32 s7, 0x7f
	v_cmp_ne_u32_e32 vcc, s7, v4
	v_mov_b32_e32 v11, 0x7f80
	s_and_saveexec_b64 s[10:11], vcc
	s_cbranch_execz .LBB848_759
; %bb.758:
	v_and_b32_e32 v11, 7, v2
	v_ffbh_u32_e32 v14, v11
	v_min_u32_e32 v16, 32, v14
	v_subrev_u32_e32 v14, 28, v16
	v_lshlrev_b64 v[14:15], v14, v[2:3]
	v_lshrrev_b32_e32 v13, 3, v4
	v_sub_u32_e32 v15, 29, v16
	v_and_b32_e32 v14, 7, v14
	v_cmp_gt_u32_e32 vcc, 8, v4
	v_cndmask_b32_e32 v4, v13, v15, vcc
	v_cndmask_b32_e32 v11, v11, v14, vcc
	v_lshlrev_b32_e32 v2, 24, v2
	v_bfrev_b32_e32 v13, 60
	v_lshlrev_b32_e32 v11, 20, v11
	v_and_b32_e32 v2, 0x80000000, v2
	v_lshl_add_u32 v4, v4, 23, v13
	v_or3_b32 v2, v2, v4, v11
	v_lshrrev_b32_e32 v11, 16, v2
.LBB848_759:
	s_or_b64 exec, exec, s[10:11]
.LBB848_760:
	s_or_b64 exec, exec, s[8:9]
.LBB848_761:
	s_or_b64 exec, exec, s[2:3]
	v_mov_b32_e32 v4, 0
	v_cmp_ne_u16_sdwa s[8:9], v5, v4 src0_sel:BYTE_0 src1_sel:DWORD
	v_mov_b32_e32 v13, 0
	s_and_saveexec_b64 s[2:3], s[8:9]
	s_cbranch_execz .LBB848_767
; %bb.762:
	s_movk_i32 s7, 0x80
	v_cmp_ne_u16_sdwa s[10:11], v5, s7 src0_sel:BYTE_0 src1_sel:DWORD
	v_mov_b32_e32 v13, 0xffff8000
	s_and_saveexec_b64 s[8:9], s[10:11]
	s_cbranch_execz .LBB848_766
; %bb.763:
	s_movk_i32 s7, 0x7f
	v_and_b32_e32 v2, 0x7f, v5
	v_cmp_ne_u32_e32 vcc, s7, v2
	v_mov_b32_e32 v13, 0x7f80
	s_and_saveexec_b64 s[10:11], vcc
	s_cbranch_execz .LBB848_765
; %bb.764:
	v_and_b32_e32 v13, 7, v5
	v_ffbh_u32_e32 v15, v13
	v_min_u32_e32 v17, 32, v15
	v_mov_b32_e32 v14, v5
	v_subrev_u32_e32 v15, 28, v17
	v_lshlrev_b64 v[14:15], v15, v[14:15]
	v_lshrrev_b32_e32 v16, 3, v2
	v_sub_u32_e32 v15, 29, v17
	v_and_b32_e32 v14, 7, v14
	v_cmp_gt_u32_e32 vcc, 8, v2
	v_cndmask_b32_e32 v2, v16, v15, vcc
	v_cndmask_b32_e32 v13, v13, v14, vcc
	v_lshlrev_b32_e32 v14, 24, v5
	v_bfrev_b32_e32 v15, 60
	v_lshlrev_b32_e32 v13, 20, v13
	v_and_b32_e32 v14, 0x80000000, v14
	v_lshl_add_u32 v2, v2, 23, v15
	v_or3_b32 v2, v14, v2, v13
	v_lshrrev_b32_e32 v13, 16, v2
.LBB848_765:
	s_or_b64 exec, exec, s[10:11]
.LBB848_766:
	s_or_b64 exec, exec, s[8:9]
.LBB848_767:
	s_or_b64 exec, exec, s[2:3]
	v_lshrrev_b16_e32 v2, 8, v5
	v_cmp_ne_u16_e32 vcc, 0, v2
	s_and_saveexec_b64 s[2:3], vcc
	s_cbranch_execz .LBB848_773
; %bb.768:
	s_movk_i32 s7, 0x80
	v_cmp_ne_u16_e32 vcc, s7, v2
	v_mov_b32_e32 v4, 0xffff8000
	s_and_saveexec_b64 s[8:9], vcc
	s_cbranch_execz .LBB848_772
; %bb.769:
	s_movk_i32 s7, 0x7f
	v_and_b32_e32 v14, 0x7f, v2
	v_cmp_ne_u32_e32 vcc, s7, v14
	v_mov_b32_e32 v4, 0x7f80
	s_and_saveexec_b64 s[10:11], vcc
	s_cbranch_execz .LBB848_771
; %bb.770:
	v_and_b32_e32 v4, 7, v2
	v_ffbh_u32_e32 v16, v4
	v_min_u32_e32 v18, 32, v16
	v_subrev_u32_e32 v16, 28, v18
	v_lshlrev_b64 v[16:17], v16, v[2:3]
	v_lshrrev_b32_e32 v15, 3, v14
	v_sub_u32_e32 v2, 29, v18
	v_and_b32_e32 v16, 7, v16
	v_cmp_gt_u32_e32 vcc, 8, v14
	v_cndmask_b32_e32 v2, v15, v2, vcc
	v_cndmask_b32_e32 v4, v4, v16, vcc
	v_lshlrev_b32_e32 v14, 16, v5
	v_bfrev_b32_e32 v15, 60
	v_lshlrev_b32_e32 v4, 20, v4
	v_and_b32_e32 v14, 0x80000000, v14
	v_lshl_add_u32 v2, v2, 23, v15
	v_or3_b32 v2, v14, v2, v4
	v_lshrrev_b32_e32 v4, 16, v2
.LBB848_771:
	s_or_b64 exec, exec, s[10:11]
.LBB848_772:
	s_or_b64 exec, exec, s[8:9]
.LBB848_773:
	s_or_b64 exec, exec, s[2:3]
	s_movk_i32 s2, 0xff
	v_and_b32_sdwa v16, v5, s2 dst_sel:DWORD dst_unused:UNUSED_PAD src0_sel:WORD_1 src1_sel:DWORD
	v_lshrrev_b32_e32 v2, 16, v5
	v_cmp_ne_u16_e32 vcc, 0, v16
	v_mov_b32_e32 v14, 0
	v_mov_b32_e32 v15, 0
	s_and_saveexec_b64 s[2:3], vcc
	s_cbranch_execz .LBB848_779
; %bb.774:
	s_movk_i32 s7, 0x80
	v_cmp_ne_u16_e32 vcc, s7, v16
	v_mov_b32_e32 v15, 0xffff8000
	s_and_saveexec_b64 s[8:9], vcc
	s_cbranch_execz .LBB848_778
; %bb.775:
	v_bfe_u32 v16, v5, 16, 7
	s_movk_i32 s7, 0x7f
	v_cmp_ne_u32_e32 vcc, s7, v16
	v_mov_b32_e32 v15, 0x7f80
	s_and_saveexec_b64 s[10:11], vcc
	s_cbranch_execz .LBB848_777
; %bb.776:
	v_and_b32_e32 v15, 7, v2
	v_ffbh_u32_e32 v18, v15
	v_min_u32_e32 v20, 32, v18
	v_subrev_u32_e32 v18, 28, v20
	v_lshlrev_b64 v[18:19], v18, v[2:3]
	v_lshrrev_b32_e32 v17, 3, v16
	v_sub_u32_e32 v2, 29, v20
	v_and_b32_e32 v18, 7, v18
	v_cmp_gt_u32_e32 vcc, 8, v16
	v_mov_b32_e32 v16, 24
	v_cndmask_b32_e32 v2, v17, v2, vcc
	v_cndmask_b32_e32 v15, v15, v18, vcc
	v_lshlrev_b32_sdwa v16, v16, v5 dst_sel:DWORD dst_unused:UNUSED_PAD src0_sel:DWORD src1_sel:WORD_1
	v_bfrev_b32_e32 v17, 60
	v_lshlrev_b32_e32 v15, 20, v15
	v_and_b32_e32 v16, 0x80000000, v16
	v_lshl_add_u32 v2, v2, 23, v17
	v_or3_b32 v2, v16, v2, v15
	v_lshrrev_b32_e32 v15, 16, v2
.LBB848_777:
	s_or_b64 exec, exec, s[10:11]
.LBB848_778:
	s_or_b64 exec, exec, s[8:9]
.LBB848_779:
	s_or_b64 exec, exec, s[2:3]
	s_mov_b32 s2, 0xffffff
	v_cmp_lt_u32_e32 vcc, s2, v5
	s_and_saveexec_b64 s[2:3], vcc
	s_cbranch_execz .LBB848_785
; %bb.780:
	v_lshrrev_b32_e32 v2, 24, v5
	s_movk_i32 s7, 0x80
	v_cmp_ne_u32_e32 vcc, s7, v2
	v_mov_b32_e32 v14, 0xffff8000
	s_and_saveexec_b64 s[8:9], vcc
	s_cbranch_execz .LBB848_784
; %bb.781:
	v_bfe_u32 v5, v5, 24, 7
	s_movk_i32 s7, 0x7f
	v_cmp_ne_u32_e32 vcc, s7, v5
	v_mov_b32_e32 v14, 0x7f80
	s_and_saveexec_b64 s[10:11], vcc
	s_cbranch_execz .LBB848_783
; %bb.782:
	v_and_b32_e32 v14, 7, v2
	v_ffbh_u32_e32 v16, v14
	v_min_u32_e32 v19, 32, v16
	v_subrev_u32_e32 v16, 28, v19
	v_lshlrev_b64 v[16:17], v16, v[2:3]
	v_lshrrev_b32_e32 v18, 3, v5
	v_sub_u32_e32 v17, 29, v19
	v_and_b32_e32 v16, 7, v16
	v_cmp_gt_u32_e32 vcc, 8, v5
	v_cndmask_b32_e32 v5, v18, v17, vcc
	v_cndmask_b32_e32 v14, v14, v16, vcc
	v_lshlrev_b32_e32 v2, 24, v2
	v_bfrev_b32_e32 v16, 60
	v_lshlrev_b32_e32 v14, 20, v14
	v_and_b32_e32 v2, 0x80000000, v2
	v_lshl_add_u32 v5, v5, 23, v16
	v_or3_b32 v2, v2, v5, v14
	v_lshrrev_b32_e32 v14, 16, v2
.LBB848_783:
	s_or_b64 exec, exec, s[10:11]
.LBB848_784:
	s_or_b64 exec, exec, s[8:9]
.LBB848_785:
	s_or_b64 exec, exec, s[2:3]
	s_mov_b32 s3, 0x5040100
	v_perm_b32 v11, v11, v12, s3
	ds_read_b128 v[16:19], v22 offset:6160
	v_perm_b32 v10, v3, v10, s3
	v_perm_b32 v3, v14, v15, s3
	;; [unrolled: 1-line block ×3, first 2 shown]
	s_waitcnt lgkmcnt(0)
	v_mfma_f32_16x16x16bf16_1k v[6:9], v[10:11], v[16:17], v[6:9]
	s_load_dword s2, s[42:43], 0x0
	s_mov_b32 s3, 0x7060302
	s_movk_i32 s7, 0x7fff
	v_cmp_gt_u32_e32 vcc, 64, v0
	s_waitcnt lgkmcnt(0)
	s_barrier
	v_mfma_f32_16x16x16bf16_1k v[2:5], v[2:3], v[18:19], v[6:9]
	s_nop 7
	s_nop 2
	v_pk_mul_f32 v[4:5], v[4:5], s[2:3] op_sel_hi:[1,0]
	v_pk_mul_f32 v[2:3], v[2:3], s[2:3] op_sel_hi:[1,0]
	v_bfe_u32 v6, v3, 16, 1
	v_bfe_u32 v7, v2, 16, 1
	;; [unrolled: 1-line block ×4, first 2 shown]
	v_add3_u32 v2, v2, v7, s7
	v_add3_u32 v3, v3, v6, s7
	;; [unrolled: 1-line block ×4, first 2 shown]
	v_perm_b32 v2, v3, v2, s3
	v_perm_b32 v3, v5, v4, s3
	v_cmp_ne_u32_e64 s[2:3], 3, v47
	s_and_b64 s[2:3], s[2:3], vcc
	s_and_b64 s[0:1], s[2:3], s[0:1]
	ds_write_b64 v26, v[2:3]
	s_waitcnt lgkmcnt(0)
	s_barrier
	s_and_saveexec_b64 s[2:3], s[0:1]
	s_cbranch_execz .LBB848_787
; %bb.786:
	s_load_dwordx2 s[0:1], s[4:5], 0x68
	s_mul_i32 s2, s12, s6
	s_lshl_b32 s4, s44, 6
	s_mul_hi_u32 s3, s2, s4
	s_mul_i32 s2, s2, s4
	s_lshl_b64 s[2:3], s[2:3], 1
	s_waitcnt lgkmcnt(0)
	s_add_u32 s2, s0, s2
	v_lshlrev_b32_e32 v0, 10, v0
	s_addc_u32 s3, s1, s3
	s_lshl_b32 s0, s24, 6
	s_mov_b32 s1, 0
	v_and_b32_e32 v0, 0x1800, v0
	v_lshlrev_b32_e32 v2, 5, v47
	v_and_b32_e32 v3, 16, v48
	s_lshl_b64 s[0:1], s[0:1], 1
	v_or3_b32 v0, v0, v2, v3
	s_add_u32 s2, s2, s0
	ds_read_b128 v[2:5], v0
	s_addc_u32 s3, s3, s1
	v_mad_u64_u32 v[0:1], s[0:1], s4, v1, 0
	v_lshlrev_b64 v[0:1], 1, v[0:1]
	v_mov_b32_e32 v6, s3
	v_add_co_u32_e32 v0, vcc, s2, v0
	v_addc_co_u32_e32 v1, vcc, v6, v1, vcc
	v_add_co_u32_e32 v0, vcc, v0, v46
	v_addc_co_u32_e32 v1, vcc, 0, v1, vcc
	s_waitcnt lgkmcnt(0)
	global_store_dwordx4 v[0:1], v[2:5], off
.LBB848_787:
	s_endpgm
	.section	.rodata,"a",@progbits
	.p2align	6, 0x0
	.amdhsa_kernel _Z39paged_attention_ll4mi_QKV_mfma16_kernelI14__hip_bfloat16hLN4vllm18Fp8KVCacheDataTypeE1ES0_Li16ELi64ELi256ELb1ELi3EL8MFMAType0EEvPKT_PKT0_S9_ifPKiSB_SB_iPKfiiiPfSE_PS4_PT2_iSD_SD_
		.amdhsa_group_segment_fixed_size 8192
		.amdhsa_private_segment_fixed_size 0
		.amdhsa_kernarg_size 400
		.amdhsa_user_sgpr_count 6
		.amdhsa_user_sgpr_private_segment_buffer 1
		.amdhsa_user_sgpr_dispatch_ptr 0
		.amdhsa_user_sgpr_queue_ptr 0
		.amdhsa_user_sgpr_kernarg_segment_ptr 1
		.amdhsa_user_sgpr_dispatch_id 0
		.amdhsa_user_sgpr_flat_scratch_init 0
		.amdhsa_user_sgpr_kernarg_preload_length 0
		.amdhsa_user_sgpr_kernarg_preload_offset 0
		.amdhsa_user_sgpr_private_segment_size 0
		.amdhsa_uses_dynamic_stack 0
		.amdhsa_system_sgpr_private_segment_wavefront_offset 0
		.amdhsa_system_sgpr_workgroup_id_x 1
		.amdhsa_system_sgpr_workgroup_id_y 1
		.amdhsa_system_sgpr_workgroup_id_z 1
		.amdhsa_system_sgpr_workgroup_info 0
		.amdhsa_system_vgpr_workitem_id 0
		.amdhsa_next_free_vgpr 63
		.amdhsa_next_free_sgpr 47
		.amdhsa_accum_offset 64
		.amdhsa_reserve_vcc 1
		.amdhsa_reserve_flat_scratch 0
		.amdhsa_float_round_mode_32 0
		.amdhsa_float_round_mode_16_64 0
		.amdhsa_float_denorm_mode_32 3
		.amdhsa_float_denorm_mode_16_64 3
		.amdhsa_dx10_clamp 1
		.amdhsa_ieee_mode 1
		.amdhsa_fp16_overflow 0
		.amdhsa_tg_split 0
		.amdhsa_exception_fp_ieee_invalid_op 0
		.amdhsa_exception_fp_denorm_src 0
		.amdhsa_exception_fp_ieee_div_zero 0
		.amdhsa_exception_fp_ieee_overflow 0
		.amdhsa_exception_fp_ieee_underflow 0
		.amdhsa_exception_fp_ieee_inexact 0
		.amdhsa_exception_int_div_zero 0
	.end_amdhsa_kernel
	.section	.text._Z39paged_attention_ll4mi_QKV_mfma16_kernelI14__hip_bfloat16hLN4vllm18Fp8KVCacheDataTypeE1ES0_Li16ELi64ELi256ELb1ELi3EL8MFMAType0EEvPKT_PKT0_S9_ifPKiSB_SB_iPKfiiiPfSE_PS4_PT2_iSD_SD_,"axG",@progbits,_Z39paged_attention_ll4mi_QKV_mfma16_kernelI14__hip_bfloat16hLN4vllm18Fp8KVCacheDataTypeE1ES0_Li16ELi64ELi256ELb1ELi3EL8MFMAType0EEvPKT_PKT0_S9_ifPKiSB_SB_iPKfiiiPfSE_PS4_PT2_iSD_SD_,comdat
.Lfunc_end848:
	.size	_Z39paged_attention_ll4mi_QKV_mfma16_kernelI14__hip_bfloat16hLN4vllm18Fp8KVCacheDataTypeE1ES0_Li16ELi64ELi256ELb1ELi3EL8MFMAType0EEvPKT_PKT0_S9_ifPKiSB_SB_iPKfiiiPfSE_PS4_PT2_iSD_SD_, .Lfunc_end848-_Z39paged_attention_ll4mi_QKV_mfma16_kernelI14__hip_bfloat16hLN4vllm18Fp8KVCacheDataTypeE1ES0_Li16ELi64ELi256ELb1ELi3EL8MFMAType0EEvPKT_PKT0_S9_ifPKiSB_SB_iPKfiiiPfSE_PS4_PT2_iSD_SD_
                                        ; -- End function
	.section	.AMDGPU.csdata,"",@progbits
; Kernel info:
; codeLenInByte = 28584
; NumSgprs: 51
; NumVgprs: 63
; NumAgprs: 0
; TotalNumVgprs: 63
; ScratchSize: 0
; MemoryBound: 0
; FloatMode: 240
; IeeeMode: 1
; LDSByteSize: 8192 bytes/workgroup (compile time only)
; SGPRBlocks: 6
; VGPRBlocks: 7
; NumSGPRsForWavesPerEU: 51
; NumVGPRsForWavesPerEU: 63
; AccumOffset: 64
; Occupancy: 8
; WaveLimiterHint : 1
; COMPUTE_PGM_RSRC2:SCRATCH_EN: 0
; COMPUTE_PGM_RSRC2:USER_SGPR: 6
; COMPUTE_PGM_RSRC2:TRAP_HANDLER: 0
; COMPUTE_PGM_RSRC2:TGID_X_EN: 1
; COMPUTE_PGM_RSRC2:TGID_Y_EN: 1
; COMPUTE_PGM_RSRC2:TGID_Z_EN: 1
; COMPUTE_PGM_RSRC2:TIDIG_COMP_CNT: 0
; COMPUTE_PGM_RSRC3_GFX90A:ACCUM_OFFSET: 15
; COMPUTE_PGM_RSRC3_GFX90A:TG_SPLIT: 0
	.section	.text._Z39paged_attention_ll4mi_QKV_mfma16_kernelI14__hip_bfloat16hLN4vllm18Fp8KVCacheDataTypeE1ES0_Li16ELi64ELi256ELb1ELi4EL8MFMAType0EEvPKT_PKT0_S9_ifPKiSB_SB_iPKfiiiPfSE_PS4_PT2_iSD_SD_,"axG",@progbits,_Z39paged_attention_ll4mi_QKV_mfma16_kernelI14__hip_bfloat16hLN4vllm18Fp8KVCacheDataTypeE1ES0_Li16ELi64ELi256ELb1ELi4EL8MFMAType0EEvPKT_PKT0_S9_ifPKiSB_SB_iPKfiiiPfSE_PS4_PT2_iSD_SD_,comdat
	.protected	_Z39paged_attention_ll4mi_QKV_mfma16_kernelI14__hip_bfloat16hLN4vllm18Fp8KVCacheDataTypeE1ES0_Li16ELi64ELi256ELb1ELi4EL8MFMAType0EEvPKT_PKT0_S9_ifPKiSB_SB_iPKfiiiPfSE_PS4_PT2_iSD_SD_ ; -- Begin function _Z39paged_attention_ll4mi_QKV_mfma16_kernelI14__hip_bfloat16hLN4vllm18Fp8KVCacheDataTypeE1ES0_Li16ELi64ELi256ELb1ELi4EL8MFMAType0EEvPKT_PKT0_S9_ifPKiSB_SB_iPKfiiiPfSE_PS4_PT2_iSD_SD_
	.globl	_Z39paged_attention_ll4mi_QKV_mfma16_kernelI14__hip_bfloat16hLN4vllm18Fp8KVCacheDataTypeE1ES0_Li16ELi64ELi256ELb1ELi4EL8MFMAType0EEvPKT_PKT0_S9_ifPKiSB_SB_iPKfiiiPfSE_PS4_PT2_iSD_SD_
	.p2align	8
	.type	_Z39paged_attention_ll4mi_QKV_mfma16_kernelI14__hip_bfloat16hLN4vllm18Fp8KVCacheDataTypeE1ES0_Li16ELi64ELi256ELb1ELi4EL8MFMAType0EEvPKT_PKT0_S9_ifPKiSB_SB_iPKfiiiPfSE_PS4_PT2_iSD_SD_,@function
_Z39paged_attention_ll4mi_QKV_mfma16_kernelI14__hip_bfloat16hLN4vllm18Fp8KVCacheDataTypeE1ES0_Li16ELi64ELi256ELb1ELi4EL8MFMAType0EEvPKT_PKT0_S9_ifPKiSB_SB_iPKfiiiPfSE_PS4_PT2_iSD_SD_: ; @_Z39paged_attention_ll4mi_QKV_mfma16_kernelI14__hip_bfloat16hLN4vllm18Fp8KVCacheDataTypeE1ES0_Li16ELi64ELi256ELb1ELi4EL8MFMAType0EEvPKT_PKT0_S9_ifPKiSB_SB_iPKfiiiPfSE_PS4_PT2_iSD_SD_
; %bb.0:
	s_load_dwordx2 s[0:1], s[4:5], 0x30
	s_mov_b32 s22, s7
	s_mov_b64 s[10:11], 0
	s_waitcnt lgkmcnt(0)
	s_cmp_lg_u64 s[0:1], 0
	s_cselect_b64 s[2:3], -1, 0
	s_and_b64 vcc, exec, s[2:3]
	s_cbranch_vccz .LBB849_7
; %bb.1:
	s_add_i32 s12, s6, 1
	s_mov_b32 s13, 0
	s_lshl_b64 s[14:15], s[12:13], 2
	s_add_u32 s14, s0, s14
	s_mov_b32 s7, s13
	s_addc_u32 s15, s1, s15
	s_lshl_b64 s[12:13], s[6:7], 2
	s_add_u32 s12, s0, s12
	s_addc_u32 s13, s1, s13
	s_load_dword s9, s[14:15], 0x0
	s_load_dword s16, s[12:13], 0x0
	s_waitcnt lgkmcnt(0)
	s_sub_i32 s9, s9, s16
	s_cmp_eq_u32 s9, 1
	s_cselect_b64 s[12:13], -1, 0
	s_andn2_b64 vcc, exec, s[10:11]
	s_cbranch_vccnz .LBB849_3
.LBB849_2:
	s_mov_b32 s7, 0
	s_mov_b64 s[12:13], -1
.LBB849_3:
	s_andn2_b64 vcc, exec, s[12:13]
	s_cbranch_vccnz .LBB849_787
; %bb.4:
	s_load_dwordx2 s[12:13], s[4:5], 0x28
	s_lshl_b64 s[10:11], s[6:7], 2
	s_waitcnt lgkmcnt(0)
	s_add_u32 s12, s12, s10
	s_addc_u32 s13, s13, s11
	s_load_dword s33, s[12:13], 0x0
	s_lshl_b32 s18, s22, 8
	s_waitcnt lgkmcnt(0)
	s_cmp_ge_i32 s18, s33
	s_cbranch_scc1 .LBB849_787
; %bb.5:
	s_add_i32 s14, s33, 15
	s_load_dwordx2 s[12:13], s[4:5], 0x20
	s_load_dword s9, s[4:5], 0x38
	s_ashr_i32 s15, s14, 31
	v_and_b32_e32 v1, 0xcf, v0
	s_lshr_b32 s15, s15, 28
	v_add_u32_e32 v1, s18, v1
	s_add_i32 s14, s14, s15
	v_ashrrev_i32_e32 v2, 31, v1
	s_ashr_i32 s20, s14, 4
	v_lshrrev_b32_e32 v4, 28, v2
	s_add_i32 s20, s20, -1
	v_add_u32_e32 v2, v1, v4
	s_waitcnt lgkmcnt(0)
	s_mul_i32 s14, s6, s9
	s_mov_b32 s15, 0
	v_ashrrev_i32_e32 v2, 4, v2
	v_mov_b32_e32 v5, s20
	v_cmp_gt_i32_e32 vcc, s33, v1
	s_lshl_b64 s[14:15], s[14:15], 2
	v_cndmask_b32_e32 v2, v5, v2, vcc
	s_add_u32 s9, s12, s14
	v_ashrrev_i32_e32 v3, 31, v2
	s_addc_u32 s19, s13, s15
	v_lshlrev_b64 v[2:3], 2, v[2:3]
	v_mov_b32_e32 v7, s19
	v_add_co_u32_e32 v6, vcc, s9, v2
	v_or_b32_e32 v2, 16, v1
	v_addc_co_u32_e32 v7, vcc, v7, v3, vcc
	v_add_u32_e32 v3, v2, v4
	v_ashrrev_i32_e32 v3, 4, v3
	v_cmp_gt_i32_e32 vcc, s33, v2
	v_cndmask_b32_e32 v2, v5, v3, vcc
	v_ashrrev_i32_e32 v3, 31, v2
	v_lshlrev_b64 v[2:3], 2, v[2:3]
	v_mov_b32_e32 v9, s19
	v_add_co_u32_e32 v8, vcc, s9, v2
	v_or_b32_e32 v2, 32, v1
	v_addc_co_u32_e32 v9, vcc, v9, v3, vcc
	v_add_u32_e32 v3, v2, v4
	v_ashrrev_i32_e32 v3, 4, v3
	v_cmp_gt_i32_e32 vcc, s33, v2
	v_cndmask_b32_e32 v2, v5, v3, vcc
	v_ashrrev_i32_e32 v3, 31, v2
	;; [unrolled: 10-line block ×3, first 2 shown]
	v_lshlrev_b64 v[2:3], 2, v[2:3]
	v_mov_b32_e32 v1, s19
	v_add_co_u32_e32 v12, vcc, s9, v2
	v_addc_co_u32_e32 v13, vcc, v1, v3, vcc
	global_load_dword v5, v[6:7], off
	global_load_dword v4, v[8:9], off
	;; [unrolled: 1-line block ×4, first 2 shown]
	s_load_dwordx2 s[16:17], s[4:5], 0x8
	s_andn2_b64 vcc, exec, s[2:3]
	s_cbranch_vccnz .LBB849_8
; %bb.6:
	s_add_u32 s0, s0, s10
	s_addc_u32 s1, s1, s11
	s_load_dword s10, s[0:1], 0x0
	s_branch .LBB849_9
.LBB849_7:
	s_mov_b64 s[12:13], 0
	s_branch .LBB849_2
.LBB849_8:
	s_mov_b32 s10, s6
.LBB849_9:
	s_load_dwordx2 s[2:3], s[4:5], 0x10
	s_load_dwordx4 s[12:15], s[4:5], 0x48
	v_and_b32_e32 v51, 15, v0
	v_bfe_u32 v49, v0, 4, 2
	s_lshl_b32 s23, s8, 2
	v_lshlrev_b32_e32 v6, 3, v51
	v_cmp_gt_u32_e32 vcc, 64, v0
	v_cmp_gt_u32_e64 s[0:1], 8, v51
	v_lshrrev_b32_e32 v50, 6, v0
	v_or_b32_e32 v1, s23, v49
	s_and_b64 s[44:45], vcc, s[0:1]
	v_lshlrev_b32_e32 v46, 1, v6
	v_lshlrev_b32_e32 v47, 5, v49
	;; [unrolled: 1-line block ×3, first 2 shown]
	s_and_saveexec_b64 s[0:1], s[44:45]
	s_cbranch_execz .LBB849_11
; %bb.10:
	s_load_dwordx2 s[24:25], s[4:5], 0x0
	s_waitcnt lgkmcnt(0)
	s_ashr_i32 s11, s12, 31
	s_mul_hi_u32 s15, s10, s12
	s_mul_i32 s11, s10, s11
	s_add_i32 s11, s15, s11
	s_mul_i32 s10, s10, s12
	s_lshl_b64 s[10:11], s[10:11], 1
	v_lshlrev_b32_e32 v6, 6, v1
	s_add_u32 s10, s24, s10
	v_ashrrev_i32_e32 v7, 31, v6
	s_addc_u32 s11, s25, s11
	v_lshlrev_b64 v[6:7], 1, v[6:7]
	v_mov_b32_e32 v8, s11
	v_add_co_u32_e32 v6, vcc, s10, v6
	v_addc_co_u32_e32 v7, vcc, v8, v7, vcc
	v_add_co_u32_e32 v6, vcc, v6, v46
	v_addc_co_u32_e32 v7, vcc, 0, v7, vcc
	global_load_dwordx4 v[6:9], v[6:7], off
	v_lshlrev_b32_e32 v12, 8, v51
	v_lshl_or_b32 v10, v50, 7, v47
	v_and_b32_e32 v11, 16, v48
	v_and_b32_e32 v12, 0xe00, v12
	v_or3_b32 v10, v12, v10, v11
	s_waitcnt vmcnt(0)
	ds_write_b128 v10, v[6:9]
.LBB849_11:
	s_or_b64 exec, exec, s[0:1]
	s_waitcnt lgkmcnt(0)
	s_mul_i32 s8, s8, s14
	s_add_u32 s0, s16, s8
	s_addc_u32 s1, s17, 0
	v_and_b32_e32 v7, 0xf0, v48
	v_and_b32_e32 v6, 48, v0
	v_mov_b32_e32 v8, s1
	v_add_co_u32_e32 v7, vcc, s0, v7
	v_addc_co_u32_e32 v9, vcc, 0, v8, vcc
	v_lshlrev_b32_e32 v8, 4, v6
	v_add_co_u32_e32 v8, vcc, v7, v8
	v_addc_co_u32_e32 v9, vcc, 0, v9, vcc
	s_waitcnt vmcnt(3)
	v_mad_i64_i32 v[10:11], s[0:1], v5, s13, v[8:9]
	s_waitcnt vmcnt(2)
	v_mad_i64_i32 v[4:5], s[0:1], v4, s13, v[8:9]
	s_barrier
	global_load_dwordx4 v[34:37], v[10:11], off
	global_load_dwordx4 v[38:41], v[4:5], off
	s_waitcnt vmcnt(3)
	v_mad_i64_i32 v[4:5], s[0:1], v2, s13, v[8:9]
	s_waitcnt vmcnt(2)
	v_mad_i64_i32 v[2:3], s[0:1], v3, s13, v[8:9]
	global_load_dwordx4 v[30:33], v[4:5], off
	global_load_dwordx4 v[22:25], v[2:3], off
	v_and_b32_e32 v2, 3, v0
	v_lshlrev_b32_e32 v2, 5, v2
	v_lshl_or_b32 v2, v49, 9, v2
	ds_read_b128 v[26:29], v2
	ds_read_b128 v[18:21], v2 offset:16
	v_cmp_gt_u32_e32 vcc, 4, v51
	v_mov_b32_e32 v43, 0
	v_mov_b32_e32 v52, 0
	s_and_saveexec_b64 s[0:1], vcc
	s_cbranch_execz .LBB849_13
; %bb.12:
	s_load_dwordx2 s[10:11], s[4:5], 0x40
	v_or_b32_e32 v2, s23, v51
	v_ashrrev_i32_e32 v3, 31, v2
	v_lshlrev_b64 v[2:3], 2, v[2:3]
	s_waitcnt lgkmcnt(0)
	v_mov_b32_e32 v4, s11
	v_add_co_u32_e32 v2, vcc, s10, v2
	v_addc_co_u32_e32 v3, vcc, v4, v3, vcc
	global_load_dword v52, v[2:3], off
.LBB849_13:
	s_or_b64 exec, exec, s[0:1]
	v_or_b32_e32 v8, s18, v6
	v_ashrrev_i32_e32 v2, 4, v8
	v_mov_b32_e32 v9, s20
	v_cmp_gt_i32_e32 vcc, s33, v8
	v_cndmask_b32_e32 v2, v9, v2, vcc
	v_ashrrev_i32_e32 v3, 31, v2
	v_lshlrev_b64 v[2:3], 2, v[2:3]
	v_mov_b32_e32 v4, s19
	v_add_co_u32_e32 v2, vcc, s9, v2
	v_addc_co_u32_e32 v3, vcc, v4, v3, vcc
	v_or_b32_e32 v4, 64, v8
	v_ashrrev_i32_e32 v5, 4, v4
	v_cmp_gt_i32_e32 vcc, s33, v4
	v_cndmask_b32_e32 v4, v9, v5, vcc
	v_ashrrev_i32_e32 v5, 31, v4
	v_lshlrev_b64 v[4:5], 2, v[4:5]
	v_mov_b32_e32 v6, s19
	v_add_co_u32_e32 v4, vcc, s9, v4
	v_addc_co_u32_e32 v5, vcc, v6, v5, vcc
	v_or_b32_e32 v6, 0x80, v8
	v_ashrrev_i32_e32 v7, 4, v6
	v_cmp_gt_i32_e32 vcc, s33, v6
	v_cndmask_b32_e32 v6, v9, v7, vcc
	v_ashrrev_i32_e32 v7, 31, v6
	v_lshlrev_b64 v[6:7], 2, v[6:7]
	v_mov_b32_e32 v10, s19
	v_add_co_u32_e32 v6, vcc, s9, v6
	v_addc_co_u32_e32 v7, vcc, v10, v7, vcc
	global_load_dword v10, v[2:3], off
	global_load_dword v11, v[4:5], off
	;; [unrolled: 1-line block ×3, first 2 shown]
	v_or_b32_e32 v2, 0xc0, v8
	v_ashrrev_i32_e32 v3, 4, v2
	v_cmp_gt_i32_e32 vcc, s33, v2
	v_cndmask_b32_e32 v2, v9, v3, vcc
	v_ashrrev_i32_e32 v3, 31, v2
	v_lshlrev_b64 v[2:3], 2, v[2:3]
	v_mov_b32_e32 v4, s19
	v_add_co_u32_e32 v2, vcc, s9, v2
	v_addc_co_u32_e32 v3, vcc, v4, v3, vcc
	global_load_dword v13, v[2:3], off
	s_add_u32 s0, s2, s8
	v_lshlrev_b32_e32 v2, 4, v51
	s_addc_u32 s1, s3, 0
	v_lshl_or_b32 v2, v50, 8, v2
	v_mov_b32_e32 v3, s1
	v_add_co_u32_e32 v2, vcc, s0, v2
	v_addc_co_u32_e32 v3, vcc, 0, v3, vcc
	s_movk_i32 s2, 0x80
	s_waitcnt vmcnt(7)
	v_cmp_ne_u16_sdwa s[8:9], v34, v43 src0_sel:BYTE_0 src1_sel:DWORD
	s_waitcnt vmcnt(3)
	v_mad_i64_i32 v[4:5], s[0:1], v10, s13, v[2:3]
	s_waitcnt vmcnt(2)
	v_mad_i64_i32 v[6:7], s[0:1], v11, s13, v[2:3]
	;; [unrolled: 2-line block ×4, first 2 shown]
	global_load_dwordx4 v[14:17], v[4:5], off
	global_load_dwordx4 v[10:13], v[6:7], off
	s_nop 0
	global_load_dwordx4 v[6:9], v[8:9], off
	s_nop 0
	global_load_dwordx4 v[2:5], v[2:3], off
	s_load_dwordx4 s[40:43], s[4:5], 0x80
	s_load_dwordx2 s[46:47], s[4:5], 0x94
	s_waitcnt lgkmcnt(0)
	s_load_dword s10, s[40:41], 0x0
	s_and_saveexec_b64 s[0:1], s[8:9]
	s_cbranch_execz .LBB849_19
; %bb.14:
	v_cmp_ne_u16_sdwa s[8:9], v34, s2 src0_sel:BYTE_0 src1_sel:DWORD
	v_mov_b32_e32 v43, 0xffff8000
	s_and_saveexec_b64 s[2:3], s[8:9]
	s_cbranch_execz .LBB849_18
; %bb.15:
	s_movk_i32 s8, 0x7f
	v_and_b32_e32 v42, 0x7f, v34
	v_cmp_ne_u32_e32 vcc, s8, v42
	v_mov_b32_e32 v43, 0x7f80
	s_and_saveexec_b64 s[8:9], vcc
	s_cbranch_execz .LBB849_17
; %bb.16:
	v_and_b32_e32 v43, 7, v34
	v_ffbh_u32_e32 v44, v43
	v_min_u32_e32 v54, 32, v44
	v_subrev_u32_e32 v44, 28, v54
	v_lshlrev_b64 v[44:45], v44, v[34:35]
	v_lshrrev_b32_e32 v53, 3, v42
	v_sub_u32_e32 v45, 29, v54
	v_and_b32_e32 v44, 7, v44
	v_cmp_gt_u32_e32 vcc, 8, v42
	v_cndmask_b32_e32 v42, v53, v45, vcc
	v_cndmask_b32_e32 v43, v43, v44, vcc
	v_lshlrev_b32_e32 v44, 24, v34
	v_bfrev_b32_e32 v45, 60
	v_lshlrev_b32_e32 v43, 20, v43
	v_and_b32_e32 v44, 0x80000000, v44
	v_lshl_add_u32 v42, v42, 23, v45
	v_or3_b32 v42, v44, v42, v43
	v_lshrrev_b32_e32 v43, 16, v42
.LBB849_17:
	s_or_b64 exec, exec, s[8:9]
.LBB849_18:
	s_or_b64 exec, exec, s[2:3]
.LBB849_19:
	s_or_b64 exec, exec, s[0:1]
	v_lshrrev_b16_e32 v42, 8, v34
	v_cmp_ne_u16_e32 vcc, 0, v42
	v_mov_b32_e32 v45, 0
	v_mov_b32_e32 v44, 0
	s_and_saveexec_b64 s[0:1], vcc
	s_cbranch_execz .LBB849_25
; %bb.20:
	s_movk_i32 s2, 0x80
	v_cmp_ne_u16_sdwa s[8:9], v34, s2 src0_sel:BYTE_1 src1_sel:DWORD
	v_mov_b32_e32 v44, 0xffff8000
	s_and_saveexec_b64 s[2:3], s[8:9]
	s_cbranch_execz .LBB849_24
; %bb.21:
	s_movk_i32 s8, 0x7f
	v_and_b32_e32 v53, 0x7f, v42
	v_cmp_ne_u32_e32 vcc, s8, v53
	v_mov_b32_e32 v44, 0x7f80
	s_and_saveexec_b64 s[8:9], vcc
	s_cbranch_execz .LBB849_23
; %bb.22:
	v_and_b32_e32 v44, 7, v42
	v_ffbh_u32_e32 v54, v44
	v_min_u32_e32 v57, 32, v54
	v_subrev_u32_e32 v54, 28, v57
	v_lshlrev_b64 v[54:55], v54, v[42:43]
	v_lshrrev_b32_e32 v56, 3, v53
	v_sub_u32_e32 v42, 29, v57
	v_and_b32_e32 v54, 7, v54
	v_cmp_gt_u32_e32 vcc, 8, v53
	v_cndmask_b32_e32 v42, v56, v42, vcc
	v_cndmask_b32_e32 v44, v44, v54, vcc
	v_lshlrev_b32_e32 v53, 16, v34
	v_bfrev_b32_e32 v54, 60
	v_lshlrev_b32_e32 v44, 20, v44
	v_and_b32_e32 v53, 0x80000000, v53
	v_lshl_add_u32 v42, v42, 23, v54
	v_or3_b32 v42, v53, v42, v44
	v_lshrrev_b32_e32 v44, 16, v42
.LBB849_23:
	s_or_b64 exec, exec, s[8:9]
.LBB849_24:
	s_or_b64 exec, exec, s[2:3]
.LBB849_25:
	s_or_b64 exec, exec, s[0:1]
	s_movk_i32 s0, 0xff
	v_and_b32_sdwa v53, v34, s0 dst_sel:DWORD dst_unused:UNUSED_PAD src0_sel:WORD_1 src1_sel:DWORD
	v_lshrrev_b32_e32 v42, 16, v34
	v_cmp_ne_u16_e32 vcc, 0, v53
	s_and_saveexec_b64 s[0:1], vcc
	s_cbranch_execz .LBB849_31
; %bb.26:
	s_movk_i32 s2, 0x80
	v_cmp_ne_u16_e32 vcc, s2, v53
	v_mov_b32_e32 v45, 0xffff8000
	s_and_saveexec_b64 s[2:3], vcc
	s_cbranch_execz .LBB849_30
; %bb.27:
	v_bfe_u32 v53, v34, 16, 7
	s_movk_i32 s8, 0x7f
	v_cmp_ne_u32_e32 vcc, s8, v53
	v_mov_b32_e32 v45, 0x7f80
	s_and_saveexec_b64 s[8:9], vcc
	s_cbranch_execz .LBB849_29
; %bb.28:
	v_and_b32_e32 v45, 7, v42
	v_ffbh_u32_e32 v54, v45
	v_min_u32_e32 v57, 32, v54
	v_subrev_u32_e32 v54, 28, v57
	v_lshlrev_b64 v[54:55], v54, v[42:43]
	v_lshrrev_b32_e32 v56, 3, v53
	v_sub_u32_e32 v42, 29, v57
	v_and_b32_e32 v54, 7, v54
	v_cmp_gt_u32_e32 vcc, 8, v53
	v_mov_b32_e32 v53, 24
	v_cndmask_b32_e32 v42, v56, v42, vcc
	v_cndmask_b32_e32 v45, v45, v54, vcc
	v_lshlrev_b32_sdwa v53, v53, v34 dst_sel:DWORD dst_unused:UNUSED_PAD src0_sel:DWORD src1_sel:WORD_1
	v_bfrev_b32_e32 v54, 60
	v_lshlrev_b32_e32 v45, 20, v45
	v_and_b32_e32 v53, 0x80000000, v53
	v_lshl_add_u32 v42, v42, 23, v54
	v_or3_b32 v42, v53, v42, v45
	v_lshrrev_b32_e32 v45, 16, v42
.LBB849_29:
	s_or_b64 exec, exec, s[8:9]
.LBB849_30:
	s_or_b64 exec, exec, s[2:3]
.LBB849_31:
	s_or_b64 exec, exec, s[0:1]
	s_mov_b32 s0, 0xffffff
	v_cmp_lt_u32_e32 vcc, s0, v34
	v_mov_b32_e32 v54, 0
	v_mov_b32_e32 v55, 0
	s_and_saveexec_b64 s[0:1], vcc
	s_cbranch_execz .LBB849_37
; %bb.32:
	v_lshrrev_b32_e32 v42, 24, v34
	s_movk_i32 s2, 0x80
	v_cmp_ne_u32_e32 vcc, s2, v42
	v_mov_b32_e32 v55, 0xffff8000
	s_and_saveexec_b64 s[2:3], vcc
	s_cbranch_execz .LBB849_36
; %bb.33:
	v_bfe_u32 v34, v34, 24, 7
	s_movk_i32 s8, 0x7f
	v_cmp_ne_u32_e32 vcc, s8, v34
	v_mov_b32_e32 v55, 0x7f80
	s_and_saveexec_b64 s[8:9], vcc
	s_cbranch_execz .LBB849_35
; %bb.34:
	v_and_b32_e32 v53, 7, v42
	v_ffbh_u32_e32 v56, v53
	v_min_u32_e32 v58, 32, v56
	v_subrev_u32_e32 v56, 28, v58
	v_lshlrev_b64 v[56:57], v56, v[42:43]
	v_lshrrev_b32_e32 v55, 3, v34
	v_sub_u32_e32 v57, 29, v58
	v_and_b32_e32 v56, 7, v56
	v_cmp_gt_u32_e32 vcc, 8, v34
	v_cndmask_b32_e32 v34, v55, v57, vcc
	v_cndmask_b32_e32 v53, v53, v56, vcc
	v_lshlrev_b32_e32 v42, 24, v42
	v_bfrev_b32_e32 v55, 60
	v_lshlrev_b32_e32 v53, 20, v53
	v_and_b32_e32 v42, 0x80000000, v42
	v_lshl_add_u32 v34, v34, 23, v55
	v_or3_b32 v34, v42, v34, v53
	v_lshrrev_b32_e32 v55, 16, v34
.LBB849_35:
	s_or_b64 exec, exec, s[8:9]
.LBB849_36:
	s_or_b64 exec, exec, s[2:3]
.LBB849_37:
	s_or_b64 exec, exec, s[0:1]
	v_cmp_ne_u16_sdwa s[2:3], v35, v54 src0_sel:BYTE_0 src1_sel:DWORD
	s_and_saveexec_b64 s[0:1], s[2:3]
	s_cbranch_execz .LBB849_43
; %bb.38:
	s_movk_i32 s2, 0x80
	v_cmp_ne_u16_sdwa s[8:9], v35, s2 src0_sel:BYTE_0 src1_sel:DWORD
	v_mov_b32_e32 v54, 0xffff8000
	s_and_saveexec_b64 s[2:3], s[8:9]
	s_cbranch_execz .LBB849_42
; %bb.39:
	s_movk_i32 s8, 0x7f
	v_and_b32_e32 v34, 0x7f, v35
	v_cmp_ne_u32_e32 vcc, s8, v34
	v_mov_b32_e32 v54, 0x7f80
	s_and_saveexec_b64 s[8:9], vcc
	s_cbranch_execz .LBB849_41
; %bb.40:
	v_and_b32_e32 v53, 7, v35
	v_ffbh_u32_e32 v56, v53
	v_min_u32_e32 v58, 32, v56
	v_mov_b32_e32 v42, v35
	v_subrev_u32_e32 v56, 28, v58
	v_lshlrev_b64 v[56:57], v56, v[42:43]
	v_lshrrev_b32_e32 v54, 3, v34
	v_sub_u32_e32 v42, 29, v58
	v_and_b32_e32 v56, 7, v56
	v_cmp_gt_u32_e32 vcc, 8, v34
	v_cndmask_b32_e32 v34, v54, v42, vcc
	v_cndmask_b32_e32 v42, v53, v56, vcc
	v_lshlrev_b32_e32 v53, 24, v35
	v_bfrev_b32_e32 v54, 60
	v_lshlrev_b32_e32 v42, 20, v42
	v_and_b32_e32 v53, 0x80000000, v53
	v_lshl_add_u32 v34, v34, 23, v54
	v_or3_b32 v34, v53, v34, v42
	v_lshrrev_b32_e32 v54, 16, v34
.LBB849_41:
	s_or_b64 exec, exec, s[8:9]
.LBB849_42:
	s_or_b64 exec, exec, s[2:3]
.LBB849_43:
	s_or_b64 exec, exec, s[0:1]
	v_lshrrev_b16_e32 v34, 8, v35
	v_cmp_ne_u16_e32 vcc, 0, v34
	v_mov_b32_e32 v56, 0
	v_mov_b32_e32 v42, 0
	s_and_saveexec_b64 s[0:1], vcc
	s_cbranch_execz .LBB849_49
; %bb.44:
	s_movk_i32 s2, 0x80
	v_cmp_ne_u16_e32 vcc, s2, v34
	v_mov_b32_e32 v42, 0xffff8000
	s_and_saveexec_b64 s[2:3], vcc
	s_cbranch_execz .LBB849_48
; %bb.45:
	s_movk_i32 s8, 0x7f
	v_and_b32_e32 v53, 0x7f, v34
	v_cmp_ne_u32_e32 vcc, s8, v53
	v_mov_b32_e32 v42, 0x7f80
	s_and_saveexec_b64 s[8:9], vcc
	s_cbranch_execz .LBB849_47
; %bb.46:
	v_and_b32_e32 v42, 7, v34
	v_ffbh_u32_e32 v58, v42
	v_min_u32_e32 v60, 32, v58
	v_subrev_u32_e32 v58, 28, v60
	v_lshlrev_b64 v[58:59], v58, v[34:35]
	v_lshrrev_b32_e32 v57, 3, v53
	v_sub_u32_e32 v34, 29, v60
	v_and_b32_e32 v58, 7, v58
	v_cmp_gt_u32_e32 vcc, 8, v53
	v_cndmask_b32_e32 v34, v57, v34, vcc
	v_cndmask_b32_e32 v42, v42, v58, vcc
	v_lshlrev_b32_e32 v53, 16, v35
	v_bfrev_b32_e32 v57, 60
	v_lshlrev_b32_e32 v42, 20, v42
	v_and_b32_e32 v53, 0x80000000, v53
	v_lshl_add_u32 v34, v34, 23, v57
	v_or3_b32 v34, v53, v34, v42
	v_lshrrev_b32_e32 v42, 16, v34
.LBB849_47:
	s_or_b64 exec, exec, s[8:9]
.LBB849_48:
	s_or_b64 exec, exec, s[2:3]
.LBB849_49:
	s_or_b64 exec, exec, s[0:1]
	s_movk_i32 s0, 0xff
	v_and_b32_sdwa v53, v35, s0 dst_sel:DWORD dst_unused:UNUSED_PAD src0_sel:WORD_1 src1_sel:DWORD
	v_lshrrev_b32_e32 v34, 16, v35
	v_cmp_ne_u16_e32 vcc, 0, v53
	s_and_saveexec_b64 s[0:1], vcc
	s_cbranch_execz .LBB849_55
; %bb.50:
	s_movk_i32 s2, 0x80
	v_cmp_ne_u16_e32 vcc, s2, v53
	v_mov_b32_e32 v56, 0xffff8000
	s_and_saveexec_b64 s[2:3], vcc
	s_cbranch_execz .LBB849_54
; %bb.51:
	v_bfe_u32 v53, v35, 16, 7
	s_movk_i32 s8, 0x7f
	v_cmp_ne_u32_e32 vcc, s8, v53
	v_mov_b32_e32 v56, 0x7f80
	s_and_saveexec_b64 s[8:9], vcc
	s_cbranch_execz .LBB849_53
; %bb.52:
	v_and_b32_e32 v58, 7, v34
	v_ffbh_u32_e32 v56, v58
	v_min_u32_e32 v60, 32, v56
	v_subrev_u32_e32 v56, 28, v60
	v_lshlrev_b64 v[56:57], v56, v[34:35]
	v_and_b32_e32 v56, 7, v56
	v_cmp_gt_u32_e32 vcc, 8, v53
	v_lshrrev_b32_e32 v59, 3, v53
	v_sub_u32_e32 v34, 29, v60
	v_cndmask_b32_e32 v53, v58, v56, vcc
	v_mov_b32_e32 v56, 24
	v_cndmask_b32_e32 v34, v59, v34, vcc
	v_lshlrev_b32_sdwa v56, v56, v35 dst_sel:DWORD dst_unused:UNUSED_PAD src0_sel:DWORD src1_sel:WORD_1
	v_bfrev_b32_e32 v57, 60
	v_lshlrev_b32_e32 v53, 20, v53
	v_and_b32_e32 v56, 0x80000000, v56
	v_lshl_add_u32 v34, v34, 23, v57
	v_or3_b32 v34, v56, v34, v53
	v_lshrrev_b32_e32 v56, 16, v34
.LBB849_53:
	s_or_b64 exec, exec, s[8:9]
.LBB849_54:
	s_or_b64 exec, exec, s[2:3]
.LBB849_55:
	s_or_b64 exec, exec, s[0:1]
	s_mov_b32 s0, 0xffffff
	v_cmp_lt_u32_e32 vcc, s0, v35
	v_mov_b32_e32 v53, 0
	v_mov_b32_e32 v57, 0
	s_and_saveexec_b64 s[0:1], vcc
	s_cbranch_execz .LBB849_61
; %bb.56:
	v_lshrrev_b32_e32 v34, 24, v35
	s_movk_i32 s2, 0x80
	v_cmp_ne_u32_e32 vcc, s2, v34
	v_mov_b32_e32 v57, 0xffff8000
	s_and_saveexec_b64 s[2:3], vcc
	s_cbranch_execz .LBB849_60
; %bb.57:
	v_bfe_u32 v35, v35, 24, 7
	s_movk_i32 s8, 0x7f
	v_cmp_ne_u32_e32 vcc, s8, v35
	v_mov_b32_e32 v57, 0x7f80
	s_and_saveexec_b64 s[8:9], vcc
	s_cbranch_execz .LBB849_59
; %bb.58:
	v_and_b32_e32 v57, 7, v34
	v_ffbh_u32_e32 v58, v57
	v_min_u32_e32 v61, 32, v58
	v_subrev_u32_e32 v58, 28, v61
	v_lshlrev_b64 v[58:59], v58, v[34:35]
	v_lshrrev_b32_e32 v60, 3, v35
	v_sub_u32_e32 v59, 29, v61
	v_and_b32_e32 v58, 7, v58
	v_cmp_gt_u32_e32 vcc, 8, v35
	v_cndmask_b32_e32 v35, v60, v59, vcc
	v_cndmask_b32_e32 v57, v57, v58, vcc
	v_lshlrev_b32_e32 v34, 24, v34
	v_bfrev_b32_e32 v58, 60
	v_lshlrev_b32_e32 v57, 20, v57
	v_and_b32_e32 v34, 0x80000000, v34
	v_lshl_add_u32 v35, v35, 23, v58
	v_or3_b32 v34, v34, v35, v57
	v_lshrrev_b32_e32 v57, 16, v34
.LBB849_59:
	s_or_b64 exec, exec, s[8:9]
.LBB849_60:
	s_or_b64 exec, exec, s[2:3]
.LBB849_61:
	s_or_b64 exec, exec, s[0:1]
	s_mov_b32 s0, 0x5040100
	v_perm_b32 v35, v55, v45, s0
	v_perm_b32 v34, v44, v43, s0
	v_cmp_ne_u16_sdwa s[2:3], v36, v53 src0_sel:BYTE_0 src1_sel:DWORD
	s_nop 0
	v_mfma_f32_16x16x16bf16_1k v[58:61], v[34:35], v[26:27], 0
	v_perm_b32 v35, v57, v56, s0
	v_perm_b32 v34, v42, v54, s0
	s_nop 1
	v_mfma_f32_16x16x16bf16_1k v[42:45], v[34:35], v[28:29], v[58:61]
	s_and_saveexec_b64 s[0:1], s[2:3]
	s_cbranch_execz .LBB849_67
; %bb.62:
	s_movk_i32 s2, 0x80
	v_cmp_ne_u16_sdwa s[8:9], v36, s2 src0_sel:BYTE_0 src1_sel:DWORD
	v_mov_b32_e32 v53, 0xffff8000
	s_and_saveexec_b64 s[2:3], s[8:9]
	s_cbranch_execz .LBB849_66
; %bb.63:
	s_movk_i32 s8, 0x7f
	v_and_b32_e32 v34, 0x7f, v36
	v_cmp_ne_u32_e32 vcc, s8, v34
	v_mov_b32_e32 v53, 0x7f80
	s_and_saveexec_b64 s[8:9], vcc
	s_cbranch_execz .LBB849_65
; %bb.64:
	v_and_b32_e32 v35, 7, v36
	v_ffbh_u32_e32 v54, v35
	v_min_u32_e32 v56, 32, v54
	v_subrev_u32_e32 v54, 28, v56
	v_lshlrev_b64 v[54:55], v54, v[36:37]
	v_lshrrev_b32_e32 v53, 3, v34
	v_sub_u32_e32 v55, 29, v56
	v_and_b32_e32 v54, 7, v54
	v_cmp_gt_u32_e32 vcc, 8, v34
	v_cndmask_b32_e32 v34, v53, v55, vcc
	v_cndmask_b32_e32 v35, v35, v54, vcc
	v_lshlrev_b32_e32 v53, 24, v36
	v_bfrev_b32_e32 v54, 60
	v_lshlrev_b32_e32 v35, 20, v35
	v_and_b32_e32 v53, 0x80000000, v53
	v_lshl_add_u32 v34, v34, 23, v54
	v_or3_b32 v34, v53, v34, v35
	v_lshrrev_b32_e32 v53, 16, v34
.LBB849_65:
	s_or_b64 exec, exec, s[8:9]
.LBB849_66:
	s_or_b64 exec, exec, s[2:3]
.LBB849_67:
	s_or_b64 exec, exec, s[0:1]
	v_lshrrev_b16_e32 v34, 8, v36
	v_cmp_ne_u16_e32 vcc, 0, v34
	v_mov_b32_e32 v55, 0
	v_mov_b32_e32 v35, 0
	s_and_saveexec_b64 s[0:1], vcc
	s_cbranch_execz .LBB849_73
; %bb.68:
	s_movk_i32 s2, 0x80
	v_cmp_ne_u16_e32 vcc, s2, v34
	v_mov_b32_e32 v35, 0xffff8000
	s_and_saveexec_b64 s[2:3], vcc
	s_cbranch_execz .LBB849_72
; %bb.69:
	s_movk_i32 s8, 0x7f
	v_and_b32_e32 v54, 0x7f, v34
	v_cmp_ne_u32_e32 vcc, s8, v54
	v_mov_b32_e32 v35, 0x7f80
	s_and_saveexec_b64 s[8:9], vcc
	s_cbranch_execz .LBB849_71
; %bb.70:
	v_and_b32_e32 v56, 7, v34
	v_ffbh_u32_e32 v35, v56
	v_min_u32_e32 v58, 32, v35
	v_subrev_u32_e32 v35, 28, v58
	v_lshlrev_b64 v[34:35], v35, v[34:35]
	v_lshrrev_b32_e32 v57, 3, v54
	v_sub_u32_e32 v35, 29, v58
	v_and_b32_e32 v34, 7, v34
	v_cmp_gt_u32_e32 vcc, 8, v54
	v_cndmask_b32_e32 v35, v57, v35, vcc
	v_cndmask_b32_e32 v34, v56, v34, vcc
	v_lshlrev_b32_e32 v54, 16, v36
	v_bfrev_b32_e32 v56, 60
	v_lshlrev_b32_e32 v34, 20, v34
	v_and_b32_e32 v54, 0x80000000, v54
	v_lshl_add_u32 v35, v35, 23, v56
	v_or3_b32 v34, v54, v35, v34
	v_lshrrev_b32_e32 v35, 16, v34
.LBB849_71:
	s_or_b64 exec, exec, s[8:9]
.LBB849_72:
	s_or_b64 exec, exec, s[2:3]
.LBB849_73:
	s_or_b64 exec, exec, s[0:1]
	s_movk_i32 s0, 0xff
	v_and_b32_sdwa v54, v36, s0 dst_sel:DWORD dst_unused:UNUSED_PAD src0_sel:WORD_1 src1_sel:DWORD
	v_lshrrev_b32_e32 v34, 16, v36
	v_cmp_ne_u16_e32 vcc, 0, v54
	s_and_saveexec_b64 s[0:1], vcc
	s_cbranch_execz .LBB849_79
; %bb.74:
	s_movk_i32 s2, 0x80
	v_cmp_ne_u16_e32 vcc, s2, v54
	v_mov_b32_e32 v55, 0xffff8000
	s_and_saveexec_b64 s[2:3], vcc
	s_cbranch_execz .LBB849_78
; %bb.75:
	v_bfe_u32 v54, v36, 16, 7
	s_movk_i32 s8, 0x7f
	v_cmp_ne_u32_e32 vcc, s8, v54
	v_mov_b32_e32 v55, 0x7f80
	s_and_saveexec_b64 s[8:9], vcc
	s_cbranch_execz .LBB849_77
; %bb.76:
	v_and_b32_e32 v55, 7, v34
	v_ffbh_u32_e32 v56, v55
	v_min_u32_e32 v59, 32, v56
	v_subrev_u32_e32 v56, 28, v59
	v_lshlrev_b64 v[56:57], v56, v[34:35]
	v_and_b32_e32 v56, 7, v56
	v_cmp_gt_u32_e32 vcc, 8, v54
	v_lshrrev_b32_e32 v58, 3, v54
	v_sub_u32_e32 v34, 29, v59
	v_cndmask_b32_e32 v54, v55, v56, vcc
	v_mov_b32_e32 v55, 24
	v_cndmask_b32_e32 v34, v58, v34, vcc
	v_lshlrev_b32_sdwa v55, v55, v36 dst_sel:DWORD dst_unused:UNUSED_PAD src0_sel:DWORD src1_sel:WORD_1
	v_bfrev_b32_e32 v56, 60
	v_lshlrev_b32_e32 v54, 20, v54
	v_and_b32_e32 v55, 0x80000000, v55
	v_lshl_add_u32 v34, v34, 23, v56
	v_or3_b32 v34, v55, v34, v54
	v_lshrrev_b32_e32 v55, 16, v34
.LBB849_77:
	s_or_b64 exec, exec, s[8:9]
.LBB849_78:
	s_or_b64 exec, exec, s[2:3]
.LBB849_79:
	s_or_b64 exec, exec, s[0:1]
	s_mov_b32 s0, 0xffffff
	v_cmp_lt_u32_e32 vcc, s0, v36
	v_mov_b32_e32 v56, 0
	v_mov_b32_e32 v57, 0
	s_and_saveexec_b64 s[0:1], vcc
	s_cbranch_execz .LBB849_85
; %bb.80:
	v_lshrrev_b32_e32 v34, 24, v36
	s_movk_i32 s2, 0x80
	v_cmp_ne_u32_e32 vcc, s2, v34
	v_mov_b32_e32 v57, 0xffff8000
	s_and_saveexec_b64 s[2:3], vcc
	s_cbranch_execz .LBB849_84
; %bb.81:
	v_bfe_u32 v36, v36, 24, 7
	s_movk_i32 s8, 0x7f
	v_cmp_ne_u32_e32 vcc, s8, v36
	v_mov_b32_e32 v57, 0x7f80
	s_and_saveexec_b64 s[8:9], vcc
	s_cbranch_execz .LBB849_83
; %bb.82:
	v_and_b32_e32 v54, 7, v34
	v_ffbh_u32_e32 v58, v54
	v_min_u32_e32 v60, 32, v58
	v_subrev_u32_e32 v58, 28, v60
	v_lshlrev_b64 v[58:59], v58, v[34:35]
	v_lshrrev_b32_e32 v57, 3, v36
	v_sub_u32_e32 v59, 29, v60
	v_and_b32_e32 v58, 7, v58
	v_cmp_gt_u32_e32 vcc, 8, v36
	v_cndmask_b32_e32 v36, v57, v59, vcc
	v_cndmask_b32_e32 v54, v54, v58, vcc
	v_lshlrev_b32_e32 v34, 24, v34
	v_bfrev_b32_e32 v57, 60
	v_lshlrev_b32_e32 v54, 20, v54
	v_and_b32_e32 v34, 0x80000000, v34
	v_lshl_add_u32 v36, v36, 23, v57
	v_or3_b32 v34, v34, v36, v54
	v_lshrrev_b32_e32 v57, 16, v34
.LBB849_83:
	s_or_b64 exec, exec, s[8:9]
.LBB849_84:
	s_or_b64 exec, exec, s[2:3]
.LBB849_85:
	s_or_b64 exec, exec, s[0:1]
	v_cmp_ne_u16_sdwa s[2:3], v37, v56 src0_sel:BYTE_0 src1_sel:DWORD
	s_and_saveexec_b64 s[0:1], s[2:3]
	s_cbranch_execz .LBB849_91
; %bb.86:
	s_movk_i32 s2, 0x80
	v_cmp_ne_u16_sdwa s[8:9], v37, s2 src0_sel:BYTE_0 src1_sel:DWORD
	v_mov_b32_e32 v56, 0xffff8000
	s_and_saveexec_b64 s[2:3], s[8:9]
	s_cbranch_execz .LBB849_90
; %bb.87:
	s_movk_i32 s8, 0x7f
	v_and_b32_e32 v34, 0x7f, v37
	v_cmp_ne_u32_e32 vcc, s8, v34
	v_mov_b32_e32 v56, 0x7f80
	s_and_saveexec_b64 s[8:9], vcc
	s_cbranch_execz .LBB849_89
; %bb.88:
	v_and_b32_e32 v54, 7, v37
	v_ffbh_u32_e32 v58, v54
	v_min_u32_e32 v60, 32, v58
	v_mov_b32_e32 v36, v37
	v_subrev_u32_e32 v58, 28, v60
	v_lshlrev_b64 v[58:59], v58, v[36:37]
	v_lshrrev_b32_e32 v56, 3, v34
	v_sub_u32_e32 v36, 29, v60
	v_and_b32_e32 v58, 7, v58
	v_cmp_gt_u32_e32 vcc, 8, v34
	v_cndmask_b32_e32 v34, v56, v36, vcc
	v_cndmask_b32_e32 v36, v54, v58, vcc
	v_lshlrev_b32_e32 v54, 24, v37
	v_bfrev_b32_e32 v56, 60
	v_lshlrev_b32_e32 v36, 20, v36
	v_and_b32_e32 v54, 0x80000000, v54
	v_lshl_add_u32 v34, v34, 23, v56
	v_or3_b32 v34, v54, v34, v36
	v_lshrrev_b32_e32 v56, 16, v34
.LBB849_89:
	s_or_b64 exec, exec, s[8:9]
.LBB849_90:
	s_or_b64 exec, exec, s[2:3]
.LBB849_91:
	s_or_b64 exec, exec, s[0:1]
	v_lshrrev_b16_e32 v34, 8, v37
	v_cmp_ne_u16_e32 vcc, 0, v34
	v_mov_b32_e32 v58, 0
	v_mov_b32_e32 v36, 0
	s_and_saveexec_b64 s[0:1], vcc
	s_cbranch_execz .LBB849_97
; %bb.92:
	s_movk_i32 s2, 0x80
	v_cmp_ne_u16_e32 vcc, s2, v34
	v_mov_b32_e32 v36, 0xffff8000
	s_and_saveexec_b64 s[2:3], vcc
	s_cbranch_execz .LBB849_96
; %bb.93:
	s_movk_i32 s8, 0x7f
	v_and_b32_e32 v54, 0x7f, v34
	v_cmp_ne_u32_e32 vcc, s8, v54
	v_mov_b32_e32 v36, 0x7f80
	s_and_saveexec_b64 s[8:9], vcc
	s_cbranch_execz .LBB849_95
; %bb.94:
	v_and_b32_e32 v36, 7, v34
	v_ffbh_u32_e32 v60, v36
	v_min_u32_e32 v62, 32, v60
	v_subrev_u32_e32 v60, 28, v62
	v_lshlrev_b64 v[60:61], v60, v[34:35]
	v_lshrrev_b32_e32 v59, 3, v54
	v_sub_u32_e32 v34, 29, v62
	v_and_b32_e32 v60, 7, v60
	v_cmp_gt_u32_e32 vcc, 8, v54
	v_cndmask_b32_e32 v34, v59, v34, vcc
	v_cndmask_b32_e32 v36, v36, v60, vcc
	v_lshlrev_b32_e32 v54, 16, v37
	v_bfrev_b32_e32 v59, 60
	v_lshlrev_b32_e32 v36, 20, v36
	v_and_b32_e32 v54, 0x80000000, v54
	v_lshl_add_u32 v34, v34, 23, v59
	v_or3_b32 v34, v54, v34, v36
	v_lshrrev_b32_e32 v36, 16, v34
.LBB849_95:
	s_or_b64 exec, exec, s[8:9]
.LBB849_96:
	s_or_b64 exec, exec, s[2:3]
.LBB849_97:
	s_or_b64 exec, exec, s[0:1]
	s_movk_i32 s0, 0xff
	v_and_b32_sdwa v54, v37, s0 dst_sel:DWORD dst_unused:UNUSED_PAD src0_sel:WORD_1 src1_sel:DWORD
	v_lshrrev_b32_e32 v34, 16, v37
	v_cmp_ne_u16_e32 vcc, 0, v54
	s_and_saveexec_b64 s[0:1], vcc
	s_cbranch_execz .LBB849_103
; %bb.98:
	s_movk_i32 s2, 0x80
	v_cmp_ne_u16_e32 vcc, s2, v54
	v_mov_b32_e32 v58, 0xffff8000
	s_and_saveexec_b64 s[2:3], vcc
	s_cbranch_execz .LBB849_102
; %bb.99:
	v_bfe_u32 v54, v37, 16, 7
	s_movk_i32 s8, 0x7f
	v_cmp_ne_u32_e32 vcc, s8, v54
	v_mov_b32_e32 v58, 0x7f80
	s_and_saveexec_b64 s[8:9], vcc
	s_cbranch_execz .LBB849_101
; %bb.100:
	v_and_b32_e32 v60, 7, v34
	v_ffbh_u32_e32 v58, v60
	v_min_u32_e32 v62, 32, v58
	v_subrev_u32_e32 v58, 28, v62
	v_lshlrev_b64 v[58:59], v58, v[34:35]
	v_and_b32_e32 v58, 7, v58
	v_cmp_gt_u32_e32 vcc, 8, v54
	v_lshrrev_b32_e32 v61, 3, v54
	v_sub_u32_e32 v34, 29, v62
	v_cndmask_b32_e32 v54, v60, v58, vcc
	v_mov_b32_e32 v58, 24
	v_cndmask_b32_e32 v34, v61, v34, vcc
	v_lshlrev_b32_sdwa v58, v58, v37 dst_sel:DWORD dst_unused:UNUSED_PAD src0_sel:DWORD src1_sel:WORD_1
	v_bfrev_b32_e32 v59, 60
	v_lshlrev_b32_e32 v54, 20, v54
	v_and_b32_e32 v58, 0x80000000, v58
	v_lshl_add_u32 v34, v34, 23, v59
	v_or3_b32 v34, v58, v34, v54
	v_lshrrev_b32_e32 v58, 16, v34
.LBB849_101:
	s_or_b64 exec, exec, s[8:9]
.LBB849_102:
	s_or_b64 exec, exec, s[2:3]
.LBB849_103:
	s_or_b64 exec, exec, s[0:1]
	s_mov_b32 s0, 0xffffff
	v_cmp_lt_u32_e32 vcc, s0, v37
	v_mov_b32_e32 v54, 0
	v_mov_b32_e32 v59, 0
	s_and_saveexec_b64 s[0:1], vcc
	s_cbranch_execz .LBB849_109
; %bb.104:
	v_lshrrev_b32_e32 v34, 24, v37
	s_movk_i32 s2, 0x80
	v_cmp_ne_u32_e32 vcc, s2, v34
	v_mov_b32_e32 v59, 0xffff8000
	s_and_saveexec_b64 s[2:3], vcc
	s_cbranch_execz .LBB849_108
; %bb.105:
	v_bfe_u32 v37, v37, 24, 7
	s_movk_i32 s8, 0x7f
	v_cmp_ne_u32_e32 vcc, s8, v37
	v_mov_b32_e32 v59, 0x7f80
	s_and_saveexec_b64 s[8:9], vcc
	s_cbranch_execz .LBB849_107
; %bb.106:
	v_and_b32_e32 v59, 7, v34
	v_ffbh_u32_e32 v60, v59
	v_min_u32_e32 v63, 32, v60
	v_subrev_u32_e32 v60, 28, v63
	v_lshlrev_b64 v[60:61], v60, v[34:35]
	v_lshrrev_b32_e32 v62, 3, v37
	v_sub_u32_e32 v61, 29, v63
	v_and_b32_e32 v60, 7, v60
	v_cmp_gt_u32_e32 vcc, 8, v37
	v_cndmask_b32_e32 v37, v62, v61, vcc
	v_cndmask_b32_e32 v59, v59, v60, vcc
	v_lshlrev_b32_e32 v34, 24, v34
	v_bfrev_b32_e32 v60, 60
	v_lshlrev_b32_e32 v59, 20, v59
	v_and_b32_e32 v34, 0x80000000, v34
	v_lshl_add_u32 v37, v37, 23, v60
	v_or3_b32 v34, v34, v37, v59
	v_lshrrev_b32_e32 v59, 16, v34
.LBB849_107:
	s_or_b64 exec, exec, s[8:9]
.LBB849_108:
	s_or_b64 exec, exec, s[2:3]
.LBB849_109:
	s_or_b64 exec, exec, s[0:1]
	s_mov_b32 s0, 0x5040100
	v_perm_b32 v61, v57, v55, s0
	v_perm_b32 v60, v35, v53, s0
	v_perm_b32 v35, v59, v58, s0
	v_perm_b32 v34, v36, v56, s0
	v_cmp_ne_u16_sdwa s[2:3], v38, v54 src0_sel:BYTE_0 src1_sel:DWORD
	v_mfma_f32_16x16x16bf16_1k v[42:45], v[60:61], v[18:19], v[42:45]
	v_mfma_f32_16x16x16bf16_1k v[34:37], v[34:35], v[20:21], v[42:45]
	s_and_saveexec_b64 s[0:1], s[2:3]
	s_cbranch_execz .LBB849_115
; %bb.110:
	s_movk_i32 s2, 0x80
	v_cmp_ne_u16_sdwa s[8:9], v38, s2 src0_sel:BYTE_0 src1_sel:DWORD
	v_mov_b32_e32 v54, 0xffff8000
	s_and_saveexec_b64 s[2:3], s[8:9]
	s_cbranch_execz .LBB849_114
; %bb.111:
	s_movk_i32 s8, 0x7f
	s_nop 1
	v_and_b32_e32 v42, 0x7f, v38
	v_cmp_ne_u32_e32 vcc, s8, v42
	v_mov_b32_e32 v54, 0x7f80
	s_and_saveexec_b64 s[8:9], vcc
	s_cbranch_execz .LBB849_113
; %bb.112:
	v_and_b32_e32 v43, 7, v38
	v_ffbh_u32_e32 v44, v43
	v_min_u32_e32 v54, 32, v44
	v_subrev_u32_e32 v44, 28, v54
	v_lshlrev_b64 v[44:45], v44, v[38:39]
	v_lshrrev_b32_e32 v53, 3, v42
	v_sub_u32_e32 v45, 29, v54
	v_and_b32_e32 v44, 7, v44
	v_cmp_gt_u32_e32 vcc, 8, v42
	v_cndmask_b32_e32 v42, v53, v45, vcc
	v_cndmask_b32_e32 v43, v43, v44, vcc
	v_lshlrev_b32_e32 v44, 24, v38
	v_bfrev_b32_e32 v45, 60
	v_lshlrev_b32_e32 v43, 20, v43
	v_and_b32_e32 v44, 0x80000000, v44
	v_lshl_add_u32 v42, v42, 23, v45
	v_or3_b32 v42, v44, v42, v43
	v_lshrrev_b32_e32 v54, 16, v42
.LBB849_113:
	s_or_b64 exec, exec, s[8:9]
.LBB849_114:
	s_or_b64 exec, exec, s[2:3]
.LBB849_115:
	s_or_b64 exec, exec, s[0:1]
	s_nop 6
	v_lshrrev_b16_e32 v42, 8, v38
	v_cmp_ne_u16_e32 vcc, 0, v42
	v_mov_b32_e32 v44, 0
	v_mov_b32_e32 v43, 0
	s_and_saveexec_b64 s[0:1], vcc
	s_cbranch_execz .LBB849_121
; %bb.116:
	s_movk_i32 s2, 0x80
	v_cmp_ne_u16_e32 vcc, s2, v42
	v_mov_b32_e32 v43, 0xffff8000
	s_and_saveexec_b64 s[2:3], vcc
	s_cbranch_execz .LBB849_120
; %bb.117:
	s_movk_i32 s8, 0x7f
	v_and_b32_e32 v45, 0x7f, v42
	v_cmp_ne_u32_e32 vcc, s8, v45
	v_mov_b32_e32 v43, 0x7f80
	s_and_saveexec_b64 s[8:9], vcc
	s_cbranch_execz .LBB849_119
; %bb.118:
	v_and_b32_e32 v53, 7, v42
	v_ffbh_u32_e32 v43, v53
	v_min_u32_e32 v56, 32, v43
	v_subrev_u32_e32 v43, 28, v56
	v_lshlrev_b64 v[42:43], v43, v[42:43]
	v_lshrrev_b32_e32 v55, 3, v45
	v_sub_u32_e32 v43, 29, v56
	v_and_b32_e32 v42, 7, v42
	v_cmp_gt_u32_e32 vcc, 8, v45
	v_cndmask_b32_e32 v43, v55, v43, vcc
	v_cndmask_b32_e32 v42, v53, v42, vcc
	v_lshlrev_b32_e32 v45, 16, v38
	v_bfrev_b32_e32 v53, 60
	v_lshlrev_b32_e32 v42, 20, v42
	v_and_b32_e32 v45, 0x80000000, v45
	v_lshl_add_u32 v43, v43, 23, v53
	v_or3_b32 v42, v45, v43, v42
	v_lshrrev_b32_e32 v43, 16, v42
.LBB849_119:
	s_or_b64 exec, exec, s[8:9]
.LBB849_120:
	s_or_b64 exec, exec, s[2:3]
.LBB849_121:
	s_or_b64 exec, exec, s[0:1]
	s_movk_i32 s0, 0xff
	v_and_b32_sdwa v45, v38, s0 dst_sel:DWORD dst_unused:UNUSED_PAD src0_sel:WORD_1 src1_sel:DWORD
	v_lshrrev_b32_e32 v42, 16, v38
	v_cmp_ne_u16_e32 vcc, 0, v45
	s_and_saveexec_b64 s[0:1], vcc
	s_cbranch_execz .LBB849_127
; %bb.122:
	s_movk_i32 s2, 0x80
	v_cmp_ne_u16_e32 vcc, s2, v45
	v_mov_b32_e32 v44, 0xffff8000
	s_and_saveexec_b64 s[2:3], vcc
	s_cbranch_execz .LBB849_126
; %bb.123:
	v_bfe_u32 v45, v38, 16, 7
	s_movk_i32 s8, 0x7f
	v_cmp_ne_u32_e32 vcc, s8, v45
	v_mov_b32_e32 v44, 0x7f80
	s_and_saveexec_b64 s[8:9], vcc
	s_cbranch_execz .LBB849_125
; %bb.124:
	v_and_b32_e32 v44, 7, v42
	v_ffbh_u32_e32 v55, v44
	v_min_u32_e32 v55, 32, v55
	v_subrev_u32_e32 v56, 28, v55
	v_lshlrev_b64 v[56:57], v56, v[42:43]
	v_lshrrev_b32_e32 v53, 3, v45
	v_sub_u32_e32 v42, 29, v55
	v_and_b32_e32 v55, 7, v56
	v_cmp_gt_u32_e32 vcc, 8, v45
	v_mov_b32_e32 v45, 24
	v_cndmask_b32_e32 v42, v53, v42, vcc
	v_cndmask_b32_e32 v44, v44, v55, vcc
	v_lshlrev_b32_sdwa v45, v45, v38 dst_sel:DWORD dst_unused:UNUSED_PAD src0_sel:DWORD src1_sel:WORD_1
	v_bfrev_b32_e32 v53, 60
	v_lshlrev_b32_e32 v44, 20, v44
	v_and_b32_e32 v45, 0x80000000, v45
	v_lshl_add_u32 v42, v42, 23, v53
	v_or3_b32 v42, v45, v42, v44
	v_lshrrev_b32_e32 v44, 16, v42
.LBB849_125:
	s_or_b64 exec, exec, s[8:9]
.LBB849_126:
	s_or_b64 exec, exec, s[2:3]
.LBB849_127:
	s_or_b64 exec, exec, s[0:1]
	s_mov_b32 s0, 0xffffff
	v_cmp_lt_u32_e32 vcc, s0, v38
	v_mov_b32_e32 v45, 0
	v_mov_b32_e32 v55, 0
	s_and_saveexec_b64 s[0:1], vcc
	s_cbranch_execz .LBB849_133
; %bb.128:
	v_lshrrev_b32_e32 v42, 24, v38
	s_movk_i32 s2, 0x80
	v_cmp_ne_u32_e32 vcc, s2, v42
	v_mov_b32_e32 v55, 0xffff8000
	s_and_saveexec_b64 s[2:3], vcc
	s_cbranch_execz .LBB849_132
; %bb.129:
	v_bfe_u32 v38, v38, 24, 7
	s_movk_i32 s8, 0x7f
	v_cmp_ne_u32_e32 vcc, s8, v38
	v_mov_b32_e32 v55, 0x7f80
	s_and_saveexec_b64 s[8:9], vcc
	s_cbranch_execz .LBB849_131
; %bb.130:
	v_and_b32_e32 v53, 7, v42
	v_ffbh_u32_e32 v56, v53
	v_min_u32_e32 v58, 32, v56
	v_subrev_u32_e32 v56, 28, v58
	v_lshlrev_b64 v[56:57], v56, v[42:43]
	v_lshrrev_b32_e32 v55, 3, v38
	v_sub_u32_e32 v57, 29, v58
	v_and_b32_e32 v56, 7, v56
	v_cmp_gt_u32_e32 vcc, 8, v38
	v_cndmask_b32_e32 v38, v55, v57, vcc
	v_cndmask_b32_e32 v53, v53, v56, vcc
	v_lshlrev_b32_e32 v42, 24, v42
	v_bfrev_b32_e32 v55, 60
	v_lshlrev_b32_e32 v53, 20, v53
	v_and_b32_e32 v42, 0x80000000, v42
	v_lshl_add_u32 v38, v38, 23, v55
	v_or3_b32 v38, v42, v38, v53
	v_lshrrev_b32_e32 v55, 16, v38
.LBB849_131:
	s_or_b64 exec, exec, s[8:9]
.LBB849_132:
	s_or_b64 exec, exec, s[2:3]
.LBB849_133:
	s_or_b64 exec, exec, s[0:1]
	v_cmp_ne_u16_sdwa s[2:3], v39, v45 src0_sel:BYTE_0 src1_sel:DWORD
	s_and_saveexec_b64 s[0:1], s[2:3]
	s_cbranch_execz .LBB849_139
; %bb.134:
	s_movk_i32 s2, 0x80
	v_cmp_ne_u16_sdwa s[8:9], v39, s2 src0_sel:BYTE_0 src1_sel:DWORD
	v_mov_b32_e32 v45, 0xffff8000
	s_and_saveexec_b64 s[2:3], s[8:9]
	s_cbranch_execz .LBB849_138
; %bb.135:
	s_movk_i32 s8, 0x7f
	v_and_b32_e32 v38, 0x7f, v39
	v_cmp_ne_u32_e32 vcc, s8, v38
	v_mov_b32_e32 v45, 0x7f80
	s_and_saveexec_b64 s[8:9], vcc
	s_cbranch_execz .LBB849_137
; %bb.136:
	v_and_b32_e32 v45, 7, v39
	v_ffbh_u32_e32 v56, v45
	v_min_u32_e32 v58, 32, v56
	v_mov_b32_e32 v42, v39
	v_subrev_u32_e32 v56, 28, v58
	v_lshlrev_b64 v[56:57], v56, v[42:43]
	v_lshrrev_b32_e32 v53, 3, v38
	v_sub_u32_e32 v42, 29, v58
	v_and_b32_e32 v56, 7, v56
	v_cmp_gt_u32_e32 vcc, 8, v38
	v_cndmask_b32_e32 v38, v53, v42, vcc
	v_cndmask_b32_e32 v42, v45, v56, vcc
	v_lshlrev_b32_e32 v45, 24, v39
	v_bfrev_b32_e32 v53, 60
	v_lshlrev_b32_e32 v42, 20, v42
	v_and_b32_e32 v45, 0x80000000, v45
	v_lshl_add_u32 v38, v38, 23, v53
	v_or3_b32 v38, v45, v38, v42
	v_lshrrev_b32_e32 v45, 16, v38
.LBB849_137:
	s_or_b64 exec, exec, s[8:9]
.LBB849_138:
	s_or_b64 exec, exec, s[2:3]
.LBB849_139:
	s_or_b64 exec, exec, s[0:1]
	v_lshrrev_b16_e32 v38, 8, v39
	v_cmp_ne_u16_e32 vcc, 0, v38
	v_mov_b32_e32 v56, 0
	v_mov_b32_e32 v42, 0
	s_and_saveexec_b64 s[0:1], vcc
	s_cbranch_execz .LBB849_145
; %bb.140:
	s_movk_i32 s2, 0x80
	v_cmp_ne_u16_e32 vcc, s2, v38
	v_mov_b32_e32 v42, 0xffff8000
	s_and_saveexec_b64 s[2:3], vcc
	s_cbranch_execz .LBB849_144
; %bb.141:
	s_movk_i32 s8, 0x7f
	v_and_b32_e32 v53, 0x7f, v38
	v_cmp_ne_u32_e32 vcc, s8, v53
	v_mov_b32_e32 v42, 0x7f80
	s_and_saveexec_b64 s[8:9], vcc
	s_cbranch_execz .LBB849_143
; %bb.142:
	v_and_b32_e32 v42, 7, v38
	v_ffbh_u32_e32 v58, v42
	v_min_u32_e32 v60, 32, v58
	v_subrev_u32_e32 v58, 28, v60
	v_lshlrev_b64 v[58:59], v58, v[38:39]
	v_lshrrev_b32_e32 v57, 3, v53
	v_sub_u32_e32 v38, 29, v60
	v_and_b32_e32 v58, 7, v58
	v_cmp_gt_u32_e32 vcc, 8, v53
	v_cndmask_b32_e32 v38, v57, v38, vcc
	v_cndmask_b32_e32 v42, v42, v58, vcc
	v_lshlrev_b32_e32 v53, 16, v39
	v_bfrev_b32_e32 v57, 60
	v_lshlrev_b32_e32 v42, 20, v42
	v_and_b32_e32 v53, 0x80000000, v53
	v_lshl_add_u32 v38, v38, 23, v57
	v_or3_b32 v38, v53, v38, v42
	v_lshrrev_b32_e32 v42, 16, v38
.LBB849_143:
	s_or_b64 exec, exec, s[8:9]
.LBB849_144:
	s_or_b64 exec, exec, s[2:3]
.LBB849_145:
	s_or_b64 exec, exec, s[0:1]
	s_movk_i32 s0, 0xff
	v_and_b32_sdwa v53, v39, s0 dst_sel:DWORD dst_unused:UNUSED_PAD src0_sel:WORD_1 src1_sel:DWORD
	v_lshrrev_b32_e32 v38, 16, v39
	v_cmp_ne_u16_e32 vcc, 0, v53
	s_and_saveexec_b64 s[0:1], vcc
	s_cbranch_execz .LBB849_151
; %bb.146:
	s_movk_i32 s2, 0x80
	v_cmp_ne_u16_e32 vcc, s2, v53
	v_mov_b32_e32 v56, 0xffff8000
	s_and_saveexec_b64 s[2:3], vcc
	s_cbranch_execz .LBB849_150
; %bb.147:
	v_bfe_u32 v53, v39, 16, 7
	s_movk_i32 s8, 0x7f
	v_cmp_ne_u32_e32 vcc, s8, v53
	v_mov_b32_e32 v56, 0x7f80
	s_and_saveexec_b64 s[8:9], vcc
	s_cbranch_execz .LBB849_149
; %bb.148:
	v_and_b32_e32 v58, 7, v38
	v_ffbh_u32_e32 v56, v58
	v_min_u32_e32 v60, 32, v56
	v_subrev_u32_e32 v56, 28, v60
	v_lshlrev_b64 v[56:57], v56, v[38:39]
	v_and_b32_e32 v56, 7, v56
	v_cmp_gt_u32_e32 vcc, 8, v53
	v_lshrrev_b32_e32 v59, 3, v53
	v_sub_u32_e32 v38, 29, v60
	v_cndmask_b32_e32 v53, v58, v56, vcc
	v_mov_b32_e32 v56, 24
	v_cndmask_b32_e32 v38, v59, v38, vcc
	v_lshlrev_b32_sdwa v56, v56, v39 dst_sel:DWORD dst_unused:UNUSED_PAD src0_sel:DWORD src1_sel:WORD_1
	v_bfrev_b32_e32 v57, 60
	v_lshlrev_b32_e32 v53, 20, v53
	v_and_b32_e32 v56, 0x80000000, v56
	v_lshl_add_u32 v38, v38, 23, v57
	v_or3_b32 v38, v56, v38, v53
	v_lshrrev_b32_e32 v56, 16, v38
.LBB849_149:
	s_or_b64 exec, exec, s[8:9]
.LBB849_150:
	s_or_b64 exec, exec, s[2:3]
.LBB849_151:
	s_or_b64 exec, exec, s[0:1]
	s_mov_b32 s0, 0xffffff
	v_cmp_lt_u32_e32 vcc, s0, v39
	v_mov_b32_e32 v53, 0
	v_mov_b32_e32 v57, 0
	s_and_saveexec_b64 s[0:1], vcc
	s_cbranch_execz .LBB849_157
; %bb.152:
	v_lshrrev_b32_e32 v38, 24, v39
	s_movk_i32 s2, 0x80
	v_cmp_ne_u32_e32 vcc, s2, v38
	v_mov_b32_e32 v57, 0xffff8000
	s_and_saveexec_b64 s[2:3], vcc
	s_cbranch_execz .LBB849_156
; %bb.153:
	v_bfe_u32 v39, v39, 24, 7
	s_movk_i32 s8, 0x7f
	v_cmp_ne_u32_e32 vcc, s8, v39
	v_mov_b32_e32 v57, 0x7f80
	s_and_saveexec_b64 s[8:9], vcc
	s_cbranch_execz .LBB849_155
; %bb.154:
	v_and_b32_e32 v57, 7, v38
	v_ffbh_u32_e32 v58, v57
	v_min_u32_e32 v61, 32, v58
	v_subrev_u32_e32 v58, 28, v61
	v_lshlrev_b64 v[58:59], v58, v[38:39]
	v_lshrrev_b32_e32 v60, 3, v39
	v_sub_u32_e32 v59, 29, v61
	v_and_b32_e32 v58, 7, v58
	v_cmp_gt_u32_e32 vcc, 8, v39
	v_cndmask_b32_e32 v39, v60, v59, vcc
	v_cndmask_b32_e32 v57, v57, v58, vcc
	v_lshlrev_b32_e32 v38, 24, v38
	v_bfrev_b32_e32 v58, 60
	v_lshlrev_b32_e32 v57, 20, v57
	v_and_b32_e32 v38, 0x80000000, v38
	v_lshl_add_u32 v39, v39, 23, v58
	v_or3_b32 v38, v38, v39, v57
	v_lshrrev_b32_e32 v57, 16, v38
.LBB849_155:
	s_or_b64 exec, exec, s[8:9]
.LBB849_156:
	s_or_b64 exec, exec, s[2:3]
.LBB849_157:
	s_or_b64 exec, exec, s[0:1]
	s_mov_b32 s0, 0x5040100
	v_perm_b32 v39, v55, v44, s0
	v_perm_b32 v38, v43, v54, s0
	v_cmp_ne_u16_sdwa s[2:3], v40, v53 src0_sel:BYTE_0 src1_sel:DWORD
	s_nop 0
	v_mfma_f32_16x16x16bf16_1k v[58:61], v[38:39], v[26:27], 0
	v_perm_b32 v39, v57, v56, s0
	v_perm_b32 v38, v42, v45, s0
	s_nop 1
	v_mfma_f32_16x16x16bf16_1k v[42:45], v[38:39], v[28:29], v[58:61]
	s_and_saveexec_b64 s[0:1], s[2:3]
	s_cbranch_execz .LBB849_163
; %bb.158:
	s_movk_i32 s2, 0x80
	v_cmp_ne_u16_sdwa s[8:9], v40, s2 src0_sel:BYTE_0 src1_sel:DWORD
	v_mov_b32_e32 v53, 0xffff8000
	s_and_saveexec_b64 s[2:3], s[8:9]
	s_cbranch_execz .LBB849_162
; %bb.159:
	s_movk_i32 s8, 0x7f
	v_and_b32_e32 v38, 0x7f, v40
	v_cmp_ne_u32_e32 vcc, s8, v38
	v_mov_b32_e32 v53, 0x7f80
	s_and_saveexec_b64 s[8:9], vcc
	s_cbranch_execz .LBB849_161
; %bb.160:
	v_and_b32_e32 v39, 7, v40
	v_ffbh_u32_e32 v54, v39
	v_min_u32_e32 v56, 32, v54
	v_subrev_u32_e32 v54, 28, v56
	v_lshlrev_b64 v[54:55], v54, v[40:41]
	v_lshrrev_b32_e32 v53, 3, v38
	v_sub_u32_e32 v55, 29, v56
	v_and_b32_e32 v54, 7, v54
	v_cmp_gt_u32_e32 vcc, 8, v38
	v_cndmask_b32_e32 v38, v53, v55, vcc
	v_cndmask_b32_e32 v39, v39, v54, vcc
	v_lshlrev_b32_e32 v53, 24, v40
	v_bfrev_b32_e32 v54, 60
	v_lshlrev_b32_e32 v39, 20, v39
	v_and_b32_e32 v53, 0x80000000, v53
	v_lshl_add_u32 v38, v38, 23, v54
	v_or3_b32 v38, v53, v38, v39
	v_lshrrev_b32_e32 v53, 16, v38
.LBB849_161:
	s_or_b64 exec, exec, s[8:9]
.LBB849_162:
	s_or_b64 exec, exec, s[2:3]
.LBB849_163:
	s_or_b64 exec, exec, s[0:1]
	v_lshrrev_b16_e32 v38, 8, v40
	v_cmp_ne_u16_e32 vcc, 0, v38
	v_mov_b32_e32 v55, 0
	v_mov_b32_e32 v39, 0
	s_and_saveexec_b64 s[0:1], vcc
	s_cbranch_execz .LBB849_169
; %bb.164:
	s_movk_i32 s2, 0x80
	v_cmp_ne_u16_e32 vcc, s2, v38
	v_mov_b32_e32 v39, 0xffff8000
	s_and_saveexec_b64 s[2:3], vcc
	s_cbranch_execz .LBB849_168
; %bb.165:
	s_movk_i32 s8, 0x7f
	v_and_b32_e32 v54, 0x7f, v38
	v_cmp_ne_u32_e32 vcc, s8, v54
	v_mov_b32_e32 v39, 0x7f80
	s_and_saveexec_b64 s[8:9], vcc
	s_cbranch_execz .LBB849_167
; %bb.166:
	v_and_b32_e32 v56, 7, v38
	v_ffbh_u32_e32 v39, v56
	v_min_u32_e32 v58, 32, v39
	v_subrev_u32_e32 v39, 28, v58
	v_lshlrev_b64 v[38:39], v39, v[38:39]
	v_lshrrev_b32_e32 v57, 3, v54
	v_sub_u32_e32 v39, 29, v58
	v_and_b32_e32 v38, 7, v38
	v_cmp_gt_u32_e32 vcc, 8, v54
	v_cndmask_b32_e32 v39, v57, v39, vcc
	v_cndmask_b32_e32 v38, v56, v38, vcc
	v_lshlrev_b32_e32 v54, 16, v40
	v_bfrev_b32_e32 v56, 60
	v_lshlrev_b32_e32 v38, 20, v38
	v_and_b32_e32 v54, 0x80000000, v54
	v_lshl_add_u32 v39, v39, 23, v56
	v_or3_b32 v38, v54, v39, v38
	v_lshrrev_b32_e32 v39, 16, v38
.LBB849_167:
	s_or_b64 exec, exec, s[8:9]
.LBB849_168:
	s_or_b64 exec, exec, s[2:3]
.LBB849_169:
	s_or_b64 exec, exec, s[0:1]
	s_movk_i32 s0, 0xff
	v_and_b32_sdwa v54, v40, s0 dst_sel:DWORD dst_unused:UNUSED_PAD src0_sel:WORD_1 src1_sel:DWORD
	v_lshrrev_b32_e32 v38, 16, v40
	v_cmp_ne_u16_e32 vcc, 0, v54
	s_and_saveexec_b64 s[0:1], vcc
	s_cbranch_execz .LBB849_175
; %bb.170:
	s_movk_i32 s2, 0x80
	v_cmp_ne_u16_e32 vcc, s2, v54
	v_mov_b32_e32 v55, 0xffff8000
	s_and_saveexec_b64 s[2:3], vcc
	s_cbranch_execz .LBB849_174
; %bb.171:
	v_bfe_u32 v54, v40, 16, 7
	s_movk_i32 s8, 0x7f
	v_cmp_ne_u32_e32 vcc, s8, v54
	v_mov_b32_e32 v55, 0x7f80
	s_and_saveexec_b64 s[8:9], vcc
	s_cbranch_execz .LBB849_173
; %bb.172:
	v_and_b32_e32 v55, 7, v38
	v_ffbh_u32_e32 v56, v55
	v_min_u32_e32 v59, 32, v56
	v_subrev_u32_e32 v56, 28, v59
	v_lshlrev_b64 v[56:57], v56, v[38:39]
	v_and_b32_e32 v56, 7, v56
	v_cmp_gt_u32_e32 vcc, 8, v54
	v_lshrrev_b32_e32 v58, 3, v54
	v_sub_u32_e32 v38, 29, v59
	v_cndmask_b32_e32 v54, v55, v56, vcc
	v_mov_b32_e32 v55, 24
	v_cndmask_b32_e32 v38, v58, v38, vcc
	v_lshlrev_b32_sdwa v55, v55, v40 dst_sel:DWORD dst_unused:UNUSED_PAD src0_sel:DWORD src1_sel:WORD_1
	v_bfrev_b32_e32 v56, 60
	v_lshlrev_b32_e32 v54, 20, v54
	v_and_b32_e32 v55, 0x80000000, v55
	v_lshl_add_u32 v38, v38, 23, v56
	v_or3_b32 v38, v55, v38, v54
	v_lshrrev_b32_e32 v55, 16, v38
.LBB849_173:
	s_or_b64 exec, exec, s[8:9]
.LBB849_174:
	s_or_b64 exec, exec, s[2:3]
.LBB849_175:
	s_or_b64 exec, exec, s[0:1]
	s_mov_b32 s0, 0xffffff
	v_cmp_lt_u32_e32 vcc, s0, v40
	v_mov_b32_e32 v56, 0
	v_mov_b32_e32 v57, 0
	s_and_saveexec_b64 s[0:1], vcc
	s_cbranch_execz .LBB849_181
; %bb.176:
	v_lshrrev_b32_e32 v38, 24, v40
	s_movk_i32 s2, 0x80
	v_cmp_ne_u32_e32 vcc, s2, v38
	v_mov_b32_e32 v57, 0xffff8000
	s_and_saveexec_b64 s[2:3], vcc
	s_cbranch_execz .LBB849_180
; %bb.177:
	v_bfe_u32 v40, v40, 24, 7
	s_movk_i32 s8, 0x7f
	v_cmp_ne_u32_e32 vcc, s8, v40
	v_mov_b32_e32 v57, 0x7f80
	s_and_saveexec_b64 s[8:9], vcc
	s_cbranch_execz .LBB849_179
; %bb.178:
	v_and_b32_e32 v54, 7, v38
	v_ffbh_u32_e32 v58, v54
	v_min_u32_e32 v60, 32, v58
	v_subrev_u32_e32 v58, 28, v60
	v_lshlrev_b64 v[58:59], v58, v[38:39]
	v_lshrrev_b32_e32 v57, 3, v40
	v_sub_u32_e32 v59, 29, v60
	v_and_b32_e32 v58, 7, v58
	v_cmp_gt_u32_e32 vcc, 8, v40
	v_cndmask_b32_e32 v40, v57, v59, vcc
	v_cndmask_b32_e32 v54, v54, v58, vcc
	v_lshlrev_b32_e32 v38, 24, v38
	v_bfrev_b32_e32 v57, 60
	v_lshlrev_b32_e32 v54, 20, v54
	v_and_b32_e32 v38, 0x80000000, v38
	v_lshl_add_u32 v40, v40, 23, v57
	v_or3_b32 v38, v38, v40, v54
	v_lshrrev_b32_e32 v57, 16, v38
.LBB849_179:
	s_or_b64 exec, exec, s[8:9]
.LBB849_180:
	s_or_b64 exec, exec, s[2:3]
.LBB849_181:
	s_or_b64 exec, exec, s[0:1]
	v_cmp_ne_u16_sdwa s[2:3], v41, v56 src0_sel:BYTE_0 src1_sel:DWORD
	s_and_saveexec_b64 s[0:1], s[2:3]
	s_cbranch_execz .LBB849_187
; %bb.182:
	s_movk_i32 s2, 0x80
	v_cmp_ne_u16_sdwa s[8:9], v41, s2 src0_sel:BYTE_0 src1_sel:DWORD
	v_mov_b32_e32 v56, 0xffff8000
	s_and_saveexec_b64 s[2:3], s[8:9]
	s_cbranch_execz .LBB849_186
; %bb.183:
	s_movk_i32 s8, 0x7f
	v_and_b32_e32 v38, 0x7f, v41
	v_cmp_ne_u32_e32 vcc, s8, v38
	v_mov_b32_e32 v56, 0x7f80
	s_and_saveexec_b64 s[8:9], vcc
	s_cbranch_execz .LBB849_185
; %bb.184:
	v_and_b32_e32 v54, 7, v41
	v_ffbh_u32_e32 v58, v54
	v_min_u32_e32 v60, 32, v58
	v_mov_b32_e32 v40, v41
	v_subrev_u32_e32 v58, 28, v60
	v_lshlrev_b64 v[58:59], v58, v[40:41]
	v_lshrrev_b32_e32 v56, 3, v38
	v_sub_u32_e32 v40, 29, v60
	v_and_b32_e32 v58, 7, v58
	v_cmp_gt_u32_e32 vcc, 8, v38
	v_cndmask_b32_e32 v38, v56, v40, vcc
	v_cndmask_b32_e32 v40, v54, v58, vcc
	v_lshlrev_b32_e32 v54, 24, v41
	v_bfrev_b32_e32 v56, 60
	v_lshlrev_b32_e32 v40, 20, v40
	v_and_b32_e32 v54, 0x80000000, v54
	v_lshl_add_u32 v38, v38, 23, v56
	v_or3_b32 v38, v54, v38, v40
	v_lshrrev_b32_e32 v56, 16, v38
.LBB849_185:
	s_or_b64 exec, exec, s[8:9]
.LBB849_186:
	s_or_b64 exec, exec, s[2:3]
.LBB849_187:
	s_or_b64 exec, exec, s[0:1]
	v_lshrrev_b16_e32 v38, 8, v41
	v_cmp_ne_u16_e32 vcc, 0, v38
	v_mov_b32_e32 v58, 0
	v_mov_b32_e32 v40, 0
	s_and_saveexec_b64 s[0:1], vcc
	s_cbranch_execz .LBB849_193
; %bb.188:
	s_movk_i32 s2, 0x80
	v_cmp_ne_u16_e32 vcc, s2, v38
	v_mov_b32_e32 v40, 0xffff8000
	s_and_saveexec_b64 s[2:3], vcc
	s_cbranch_execz .LBB849_192
; %bb.189:
	s_movk_i32 s8, 0x7f
	v_and_b32_e32 v54, 0x7f, v38
	v_cmp_ne_u32_e32 vcc, s8, v54
	v_mov_b32_e32 v40, 0x7f80
	s_and_saveexec_b64 s[8:9], vcc
	s_cbranch_execz .LBB849_191
; %bb.190:
	v_and_b32_e32 v40, 7, v38
	v_ffbh_u32_e32 v60, v40
	v_min_u32_e32 v62, 32, v60
	v_subrev_u32_e32 v60, 28, v62
	v_lshlrev_b64 v[60:61], v60, v[38:39]
	v_lshrrev_b32_e32 v59, 3, v54
	v_sub_u32_e32 v38, 29, v62
	v_and_b32_e32 v60, 7, v60
	v_cmp_gt_u32_e32 vcc, 8, v54
	v_cndmask_b32_e32 v38, v59, v38, vcc
	v_cndmask_b32_e32 v40, v40, v60, vcc
	v_lshlrev_b32_e32 v54, 16, v41
	v_bfrev_b32_e32 v59, 60
	v_lshlrev_b32_e32 v40, 20, v40
	v_and_b32_e32 v54, 0x80000000, v54
	v_lshl_add_u32 v38, v38, 23, v59
	v_or3_b32 v38, v54, v38, v40
	v_lshrrev_b32_e32 v40, 16, v38
.LBB849_191:
	s_or_b64 exec, exec, s[8:9]
.LBB849_192:
	s_or_b64 exec, exec, s[2:3]
.LBB849_193:
	s_or_b64 exec, exec, s[0:1]
	s_movk_i32 s0, 0xff
	v_and_b32_sdwa v54, v41, s0 dst_sel:DWORD dst_unused:UNUSED_PAD src0_sel:WORD_1 src1_sel:DWORD
	v_lshrrev_b32_e32 v38, 16, v41
	v_cmp_ne_u16_e32 vcc, 0, v54
	s_and_saveexec_b64 s[0:1], vcc
	s_cbranch_execz .LBB849_199
; %bb.194:
	s_movk_i32 s2, 0x80
	v_cmp_ne_u16_e32 vcc, s2, v54
	v_mov_b32_e32 v58, 0xffff8000
	s_and_saveexec_b64 s[2:3], vcc
	s_cbranch_execz .LBB849_198
; %bb.195:
	v_bfe_u32 v54, v41, 16, 7
	s_movk_i32 s8, 0x7f
	v_cmp_ne_u32_e32 vcc, s8, v54
	v_mov_b32_e32 v58, 0x7f80
	s_and_saveexec_b64 s[8:9], vcc
	s_cbranch_execz .LBB849_197
; %bb.196:
	v_and_b32_e32 v60, 7, v38
	v_ffbh_u32_e32 v58, v60
	v_min_u32_e32 v62, 32, v58
	v_subrev_u32_e32 v58, 28, v62
	v_lshlrev_b64 v[58:59], v58, v[38:39]
	v_and_b32_e32 v58, 7, v58
	v_cmp_gt_u32_e32 vcc, 8, v54
	v_lshrrev_b32_e32 v61, 3, v54
	v_sub_u32_e32 v38, 29, v62
	v_cndmask_b32_e32 v54, v60, v58, vcc
	v_mov_b32_e32 v58, 24
	v_cndmask_b32_e32 v38, v61, v38, vcc
	v_lshlrev_b32_sdwa v58, v58, v41 dst_sel:DWORD dst_unused:UNUSED_PAD src0_sel:DWORD src1_sel:WORD_1
	v_bfrev_b32_e32 v59, 60
	v_lshlrev_b32_e32 v54, 20, v54
	v_and_b32_e32 v58, 0x80000000, v58
	v_lshl_add_u32 v38, v38, 23, v59
	v_or3_b32 v38, v58, v38, v54
	v_lshrrev_b32_e32 v58, 16, v38
.LBB849_197:
	s_or_b64 exec, exec, s[8:9]
.LBB849_198:
	s_or_b64 exec, exec, s[2:3]
.LBB849_199:
	s_or_b64 exec, exec, s[0:1]
	s_mov_b32 s0, 0xffffff
	v_cmp_lt_u32_e32 vcc, s0, v41
	v_mov_b32_e32 v54, 0
	v_mov_b32_e32 v59, 0
	s_and_saveexec_b64 s[0:1], vcc
	s_cbranch_execz .LBB849_205
; %bb.200:
	v_lshrrev_b32_e32 v38, 24, v41
	s_movk_i32 s2, 0x80
	v_cmp_ne_u32_e32 vcc, s2, v38
	v_mov_b32_e32 v59, 0xffff8000
	s_and_saveexec_b64 s[2:3], vcc
	s_cbranch_execz .LBB849_204
; %bb.201:
	v_bfe_u32 v41, v41, 24, 7
	s_movk_i32 s8, 0x7f
	v_cmp_ne_u32_e32 vcc, s8, v41
	v_mov_b32_e32 v59, 0x7f80
	s_and_saveexec_b64 s[8:9], vcc
	s_cbranch_execz .LBB849_203
; %bb.202:
	v_and_b32_e32 v59, 7, v38
	v_ffbh_u32_e32 v60, v59
	v_min_u32_e32 v63, 32, v60
	v_subrev_u32_e32 v60, 28, v63
	v_lshlrev_b64 v[60:61], v60, v[38:39]
	v_lshrrev_b32_e32 v62, 3, v41
	v_sub_u32_e32 v61, 29, v63
	v_and_b32_e32 v60, 7, v60
	v_cmp_gt_u32_e32 vcc, 8, v41
	v_cndmask_b32_e32 v41, v62, v61, vcc
	v_cndmask_b32_e32 v59, v59, v60, vcc
	v_lshlrev_b32_e32 v38, 24, v38
	v_bfrev_b32_e32 v60, 60
	v_lshlrev_b32_e32 v59, 20, v59
	v_and_b32_e32 v38, 0x80000000, v38
	v_lshl_add_u32 v41, v41, 23, v60
	v_or3_b32 v38, v38, v41, v59
	v_lshrrev_b32_e32 v59, 16, v38
.LBB849_203:
	s_or_b64 exec, exec, s[8:9]
.LBB849_204:
	s_or_b64 exec, exec, s[2:3]
.LBB849_205:
	s_or_b64 exec, exec, s[0:1]
	s_mov_b32 s0, 0x5040100
	v_perm_b32 v61, v57, v55, s0
	v_perm_b32 v60, v39, v53, s0
	;; [unrolled: 1-line block ×4, first 2 shown]
	v_cmp_ne_u16_sdwa s[2:3], v30, v54 src0_sel:BYTE_0 src1_sel:DWORD
	v_mfma_f32_16x16x16bf16_1k v[42:45], v[60:61], v[18:19], v[42:45]
	v_mfma_f32_16x16x16bf16_1k v[38:41], v[38:39], v[20:21], v[42:45]
	s_and_saveexec_b64 s[0:1], s[2:3]
	s_cbranch_execz .LBB849_211
; %bb.206:
	s_movk_i32 s2, 0x80
	v_cmp_ne_u16_sdwa s[8:9], v30, s2 src0_sel:BYTE_0 src1_sel:DWORD
	v_mov_b32_e32 v54, 0xffff8000
	s_and_saveexec_b64 s[2:3], s[8:9]
	s_cbranch_execz .LBB849_210
; %bb.207:
	s_movk_i32 s8, 0x7f
	s_nop 1
	v_and_b32_e32 v42, 0x7f, v30
	v_cmp_ne_u32_e32 vcc, s8, v42
	v_mov_b32_e32 v54, 0x7f80
	s_and_saveexec_b64 s[8:9], vcc
	s_cbranch_execz .LBB849_209
; %bb.208:
	v_and_b32_e32 v43, 7, v30
	v_ffbh_u32_e32 v44, v43
	v_min_u32_e32 v54, 32, v44
	v_subrev_u32_e32 v44, 28, v54
	v_lshlrev_b64 v[44:45], v44, v[30:31]
	v_lshrrev_b32_e32 v53, 3, v42
	v_sub_u32_e32 v45, 29, v54
	v_and_b32_e32 v44, 7, v44
	v_cmp_gt_u32_e32 vcc, 8, v42
	v_cndmask_b32_e32 v42, v53, v45, vcc
	v_cndmask_b32_e32 v43, v43, v44, vcc
	v_lshlrev_b32_e32 v44, 24, v30
	v_bfrev_b32_e32 v45, 60
	v_lshlrev_b32_e32 v43, 20, v43
	v_and_b32_e32 v44, 0x80000000, v44
	v_lshl_add_u32 v42, v42, 23, v45
	v_or3_b32 v42, v44, v42, v43
	v_lshrrev_b32_e32 v54, 16, v42
.LBB849_209:
	s_or_b64 exec, exec, s[8:9]
.LBB849_210:
	s_or_b64 exec, exec, s[2:3]
.LBB849_211:
	s_or_b64 exec, exec, s[0:1]
	s_nop 6
	v_lshrrev_b16_e32 v42, 8, v30
	v_cmp_ne_u16_e32 vcc, 0, v42
	v_mov_b32_e32 v44, 0
	v_mov_b32_e32 v43, 0
	s_and_saveexec_b64 s[0:1], vcc
	s_cbranch_execz .LBB849_217
; %bb.212:
	s_movk_i32 s2, 0x80
	v_cmp_ne_u16_e32 vcc, s2, v42
	v_mov_b32_e32 v43, 0xffff8000
	s_and_saveexec_b64 s[2:3], vcc
	s_cbranch_execz .LBB849_216
; %bb.213:
	s_movk_i32 s8, 0x7f
	v_and_b32_e32 v45, 0x7f, v42
	v_cmp_ne_u32_e32 vcc, s8, v45
	v_mov_b32_e32 v43, 0x7f80
	s_and_saveexec_b64 s[8:9], vcc
	s_cbranch_execz .LBB849_215
; %bb.214:
	v_and_b32_e32 v53, 7, v42
	v_ffbh_u32_e32 v43, v53
	v_min_u32_e32 v56, 32, v43
	v_subrev_u32_e32 v43, 28, v56
	v_lshlrev_b64 v[42:43], v43, v[42:43]
	v_lshrrev_b32_e32 v55, 3, v45
	v_sub_u32_e32 v43, 29, v56
	v_and_b32_e32 v42, 7, v42
	v_cmp_gt_u32_e32 vcc, 8, v45
	v_cndmask_b32_e32 v43, v55, v43, vcc
	v_cndmask_b32_e32 v42, v53, v42, vcc
	v_lshlrev_b32_e32 v45, 16, v30
	v_bfrev_b32_e32 v53, 60
	v_lshlrev_b32_e32 v42, 20, v42
	v_and_b32_e32 v45, 0x80000000, v45
	v_lshl_add_u32 v43, v43, 23, v53
	v_or3_b32 v42, v45, v43, v42
	v_lshrrev_b32_e32 v43, 16, v42
.LBB849_215:
	s_or_b64 exec, exec, s[8:9]
.LBB849_216:
	s_or_b64 exec, exec, s[2:3]
.LBB849_217:
	s_or_b64 exec, exec, s[0:1]
	s_movk_i32 s0, 0xff
	v_and_b32_sdwa v45, v30, s0 dst_sel:DWORD dst_unused:UNUSED_PAD src0_sel:WORD_1 src1_sel:DWORD
	v_lshrrev_b32_e32 v42, 16, v30
	v_cmp_ne_u16_e32 vcc, 0, v45
	s_and_saveexec_b64 s[0:1], vcc
	s_cbranch_execz .LBB849_223
; %bb.218:
	s_movk_i32 s2, 0x80
	v_cmp_ne_u16_e32 vcc, s2, v45
	v_mov_b32_e32 v44, 0xffff8000
	s_and_saveexec_b64 s[2:3], vcc
	s_cbranch_execz .LBB849_222
; %bb.219:
	v_bfe_u32 v45, v30, 16, 7
	s_movk_i32 s8, 0x7f
	v_cmp_ne_u32_e32 vcc, s8, v45
	v_mov_b32_e32 v44, 0x7f80
	s_and_saveexec_b64 s[8:9], vcc
	s_cbranch_execz .LBB849_221
; %bb.220:
	v_and_b32_e32 v44, 7, v42
	v_ffbh_u32_e32 v55, v44
	v_min_u32_e32 v55, 32, v55
	v_subrev_u32_e32 v56, 28, v55
	v_lshlrev_b64 v[56:57], v56, v[42:43]
	v_lshrrev_b32_e32 v53, 3, v45
	v_sub_u32_e32 v42, 29, v55
	v_and_b32_e32 v55, 7, v56
	v_cmp_gt_u32_e32 vcc, 8, v45
	v_mov_b32_e32 v45, 24
	v_cndmask_b32_e32 v42, v53, v42, vcc
	v_cndmask_b32_e32 v44, v44, v55, vcc
	v_lshlrev_b32_sdwa v45, v45, v30 dst_sel:DWORD dst_unused:UNUSED_PAD src0_sel:DWORD src1_sel:WORD_1
	v_bfrev_b32_e32 v53, 60
	v_lshlrev_b32_e32 v44, 20, v44
	v_and_b32_e32 v45, 0x80000000, v45
	v_lshl_add_u32 v42, v42, 23, v53
	v_or3_b32 v42, v45, v42, v44
	v_lshrrev_b32_e32 v44, 16, v42
.LBB849_221:
	s_or_b64 exec, exec, s[8:9]
.LBB849_222:
	s_or_b64 exec, exec, s[2:3]
.LBB849_223:
	s_or_b64 exec, exec, s[0:1]
	s_mov_b32 s0, 0xffffff
	v_cmp_lt_u32_e32 vcc, s0, v30
	v_mov_b32_e32 v45, 0
	v_mov_b32_e32 v55, 0
	s_and_saveexec_b64 s[0:1], vcc
	s_cbranch_execz .LBB849_229
; %bb.224:
	v_lshrrev_b32_e32 v42, 24, v30
	s_movk_i32 s2, 0x80
	v_cmp_ne_u32_e32 vcc, s2, v42
	v_mov_b32_e32 v55, 0xffff8000
	s_and_saveexec_b64 s[2:3], vcc
	s_cbranch_execz .LBB849_228
; %bb.225:
	v_bfe_u32 v30, v30, 24, 7
	s_movk_i32 s8, 0x7f
	v_cmp_ne_u32_e32 vcc, s8, v30
	v_mov_b32_e32 v55, 0x7f80
	s_and_saveexec_b64 s[8:9], vcc
	s_cbranch_execz .LBB849_227
; %bb.226:
	v_and_b32_e32 v53, 7, v42
	v_ffbh_u32_e32 v56, v53
	v_min_u32_e32 v58, 32, v56
	v_subrev_u32_e32 v56, 28, v58
	v_lshlrev_b64 v[56:57], v56, v[42:43]
	v_lshrrev_b32_e32 v55, 3, v30
	v_sub_u32_e32 v57, 29, v58
	v_and_b32_e32 v56, 7, v56
	v_cmp_gt_u32_e32 vcc, 8, v30
	v_cndmask_b32_e32 v30, v55, v57, vcc
	v_cndmask_b32_e32 v53, v53, v56, vcc
	v_lshlrev_b32_e32 v42, 24, v42
	v_bfrev_b32_e32 v55, 60
	v_lshlrev_b32_e32 v53, 20, v53
	v_and_b32_e32 v42, 0x80000000, v42
	v_lshl_add_u32 v30, v30, 23, v55
	v_or3_b32 v30, v42, v30, v53
	v_lshrrev_b32_e32 v55, 16, v30
.LBB849_227:
	s_or_b64 exec, exec, s[8:9]
.LBB849_228:
	s_or_b64 exec, exec, s[2:3]
.LBB849_229:
	s_or_b64 exec, exec, s[0:1]
	v_cmp_ne_u16_sdwa s[2:3], v31, v45 src0_sel:BYTE_0 src1_sel:DWORD
	s_and_saveexec_b64 s[0:1], s[2:3]
	s_cbranch_execz .LBB849_235
; %bb.230:
	s_movk_i32 s2, 0x80
	v_cmp_ne_u16_sdwa s[8:9], v31, s2 src0_sel:BYTE_0 src1_sel:DWORD
	v_mov_b32_e32 v45, 0xffff8000
	s_and_saveexec_b64 s[2:3], s[8:9]
	s_cbranch_execz .LBB849_234
; %bb.231:
	s_movk_i32 s8, 0x7f
	v_and_b32_e32 v30, 0x7f, v31
	v_cmp_ne_u32_e32 vcc, s8, v30
	v_mov_b32_e32 v45, 0x7f80
	s_and_saveexec_b64 s[8:9], vcc
	s_cbranch_execz .LBB849_233
; %bb.232:
	v_and_b32_e32 v45, 7, v31
	v_ffbh_u32_e32 v56, v45
	v_min_u32_e32 v58, 32, v56
	v_mov_b32_e32 v42, v31
	v_subrev_u32_e32 v56, 28, v58
	v_lshlrev_b64 v[56:57], v56, v[42:43]
	v_lshrrev_b32_e32 v53, 3, v30
	v_sub_u32_e32 v42, 29, v58
	v_and_b32_e32 v56, 7, v56
	v_cmp_gt_u32_e32 vcc, 8, v30
	v_cndmask_b32_e32 v30, v53, v42, vcc
	v_cndmask_b32_e32 v42, v45, v56, vcc
	v_lshlrev_b32_e32 v45, 24, v31
	v_bfrev_b32_e32 v53, 60
	v_lshlrev_b32_e32 v42, 20, v42
	v_and_b32_e32 v45, 0x80000000, v45
	v_lshl_add_u32 v30, v30, 23, v53
	v_or3_b32 v30, v45, v30, v42
	v_lshrrev_b32_e32 v45, 16, v30
.LBB849_233:
	s_or_b64 exec, exec, s[8:9]
.LBB849_234:
	s_or_b64 exec, exec, s[2:3]
.LBB849_235:
	s_or_b64 exec, exec, s[0:1]
	v_lshrrev_b16_e32 v30, 8, v31
	v_cmp_ne_u16_e32 vcc, 0, v30
	v_mov_b32_e32 v56, 0
	v_mov_b32_e32 v42, 0
	s_and_saveexec_b64 s[0:1], vcc
	s_cbranch_execz .LBB849_241
; %bb.236:
	s_movk_i32 s2, 0x80
	v_cmp_ne_u16_e32 vcc, s2, v30
	v_mov_b32_e32 v42, 0xffff8000
	s_and_saveexec_b64 s[2:3], vcc
	s_cbranch_execz .LBB849_240
; %bb.237:
	s_movk_i32 s8, 0x7f
	v_and_b32_e32 v53, 0x7f, v30
	v_cmp_ne_u32_e32 vcc, s8, v53
	v_mov_b32_e32 v42, 0x7f80
	s_and_saveexec_b64 s[8:9], vcc
	s_cbranch_execz .LBB849_239
; %bb.238:
	v_and_b32_e32 v42, 7, v30
	v_ffbh_u32_e32 v58, v42
	v_min_u32_e32 v60, 32, v58
	v_subrev_u32_e32 v58, 28, v60
	v_lshlrev_b64 v[58:59], v58, v[30:31]
	v_lshrrev_b32_e32 v57, 3, v53
	v_sub_u32_e32 v30, 29, v60
	v_and_b32_e32 v58, 7, v58
	v_cmp_gt_u32_e32 vcc, 8, v53
	v_cndmask_b32_e32 v30, v57, v30, vcc
	v_cndmask_b32_e32 v42, v42, v58, vcc
	v_lshlrev_b32_e32 v53, 16, v31
	v_bfrev_b32_e32 v57, 60
	v_lshlrev_b32_e32 v42, 20, v42
	v_and_b32_e32 v53, 0x80000000, v53
	v_lshl_add_u32 v30, v30, 23, v57
	v_or3_b32 v30, v53, v30, v42
	v_lshrrev_b32_e32 v42, 16, v30
.LBB849_239:
	s_or_b64 exec, exec, s[8:9]
.LBB849_240:
	s_or_b64 exec, exec, s[2:3]
.LBB849_241:
	s_or_b64 exec, exec, s[0:1]
	s_movk_i32 s0, 0xff
	v_and_b32_sdwa v53, v31, s0 dst_sel:DWORD dst_unused:UNUSED_PAD src0_sel:WORD_1 src1_sel:DWORD
	v_lshrrev_b32_e32 v30, 16, v31
	v_cmp_ne_u16_e32 vcc, 0, v53
	s_and_saveexec_b64 s[0:1], vcc
	s_cbranch_execz .LBB849_247
; %bb.242:
	s_movk_i32 s2, 0x80
	v_cmp_ne_u16_e32 vcc, s2, v53
	v_mov_b32_e32 v56, 0xffff8000
	s_and_saveexec_b64 s[2:3], vcc
	s_cbranch_execz .LBB849_246
; %bb.243:
	v_bfe_u32 v53, v31, 16, 7
	s_movk_i32 s8, 0x7f
	v_cmp_ne_u32_e32 vcc, s8, v53
	v_mov_b32_e32 v56, 0x7f80
	s_and_saveexec_b64 s[8:9], vcc
	s_cbranch_execz .LBB849_245
; %bb.244:
	v_and_b32_e32 v58, 7, v30
	v_ffbh_u32_e32 v56, v58
	v_min_u32_e32 v60, 32, v56
	v_subrev_u32_e32 v56, 28, v60
	v_lshlrev_b64 v[56:57], v56, v[30:31]
	v_and_b32_e32 v56, 7, v56
	v_cmp_gt_u32_e32 vcc, 8, v53
	v_lshrrev_b32_e32 v59, 3, v53
	v_sub_u32_e32 v30, 29, v60
	v_cndmask_b32_e32 v53, v58, v56, vcc
	v_mov_b32_e32 v56, 24
	v_cndmask_b32_e32 v30, v59, v30, vcc
	v_lshlrev_b32_sdwa v56, v56, v31 dst_sel:DWORD dst_unused:UNUSED_PAD src0_sel:DWORD src1_sel:WORD_1
	v_bfrev_b32_e32 v57, 60
	v_lshlrev_b32_e32 v53, 20, v53
	v_and_b32_e32 v56, 0x80000000, v56
	v_lshl_add_u32 v30, v30, 23, v57
	v_or3_b32 v30, v56, v30, v53
	v_lshrrev_b32_e32 v56, 16, v30
.LBB849_245:
	s_or_b64 exec, exec, s[8:9]
.LBB849_246:
	s_or_b64 exec, exec, s[2:3]
.LBB849_247:
	s_or_b64 exec, exec, s[0:1]
	s_mov_b32 s0, 0xffffff
	v_cmp_lt_u32_e32 vcc, s0, v31
	v_mov_b32_e32 v53, 0
	v_mov_b32_e32 v57, 0
	s_and_saveexec_b64 s[0:1], vcc
	s_cbranch_execz .LBB849_253
; %bb.248:
	v_lshrrev_b32_e32 v30, 24, v31
	s_movk_i32 s2, 0x80
	v_cmp_ne_u32_e32 vcc, s2, v30
	v_mov_b32_e32 v57, 0xffff8000
	s_and_saveexec_b64 s[2:3], vcc
	s_cbranch_execz .LBB849_252
; %bb.249:
	v_bfe_u32 v31, v31, 24, 7
	s_movk_i32 s8, 0x7f
	v_cmp_ne_u32_e32 vcc, s8, v31
	v_mov_b32_e32 v57, 0x7f80
	s_and_saveexec_b64 s[8:9], vcc
	s_cbranch_execz .LBB849_251
; %bb.250:
	v_and_b32_e32 v57, 7, v30
	v_ffbh_u32_e32 v58, v57
	v_min_u32_e32 v61, 32, v58
	v_subrev_u32_e32 v58, 28, v61
	v_lshlrev_b64 v[58:59], v58, v[30:31]
	v_lshrrev_b32_e32 v60, 3, v31
	v_sub_u32_e32 v59, 29, v61
	v_and_b32_e32 v58, 7, v58
	v_cmp_gt_u32_e32 vcc, 8, v31
	v_cndmask_b32_e32 v31, v60, v59, vcc
	v_cndmask_b32_e32 v57, v57, v58, vcc
	v_lshlrev_b32_e32 v30, 24, v30
	v_bfrev_b32_e32 v58, 60
	v_lshlrev_b32_e32 v57, 20, v57
	v_and_b32_e32 v30, 0x80000000, v30
	v_lshl_add_u32 v31, v31, 23, v58
	v_or3_b32 v30, v30, v31, v57
	v_lshrrev_b32_e32 v57, 16, v30
.LBB849_251:
	s_or_b64 exec, exec, s[8:9]
.LBB849_252:
	s_or_b64 exec, exec, s[2:3]
.LBB849_253:
	s_or_b64 exec, exec, s[0:1]
	s_mov_b32 s0, 0x5040100
	v_perm_b32 v31, v55, v44, s0
	v_perm_b32 v30, v43, v54, s0
	v_cmp_ne_u16_sdwa s[2:3], v32, v53 src0_sel:BYTE_0 src1_sel:DWORD
	s_nop 0
	v_mfma_f32_16x16x16bf16_1k v[58:61], v[30:31], v[26:27], 0
	v_perm_b32 v31, v57, v56, s0
	v_perm_b32 v30, v42, v45, s0
	s_nop 1
	v_mfma_f32_16x16x16bf16_1k v[42:45], v[30:31], v[28:29], v[58:61]
	s_and_saveexec_b64 s[0:1], s[2:3]
	s_cbranch_execz .LBB849_259
; %bb.254:
	s_movk_i32 s2, 0x80
	v_cmp_ne_u16_sdwa s[8:9], v32, s2 src0_sel:BYTE_0 src1_sel:DWORD
	v_mov_b32_e32 v53, 0xffff8000
	s_and_saveexec_b64 s[2:3], s[8:9]
	s_cbranch_execz .LBB849_258
; %bb.255:
	s_movk_i32 s8, 0x7f
	v_and_b32_e32 v30, 0x7f, v32
	v_cmp_ne_u32_e32 vcc, s8, v30
	v_mov_b32_e32 v53, 0x7f80
	s_and_saveexec_b64 s[8:9], vcc
	s_cbranch_execz .LBB849_257
; %bb.256:
	v_and_b32_e32 v31, 7, v32
	v_ffbh_u32_e32 v54, v31
	v_min_u32_e32 v56, 32, v54
	v_subrev_u32_e32 v54, 28, v56
	v_lshlrev_b64 v[54:55], v54, v[32:33]
	v_lshrrev_b32_e32 v53, 3, v30
	v_sub_u32_e32 v55, 29, v56
	v_and_b32_e32 v54, 7, v54
	v_cmp_gt_u32_e32 vcc, 8, v30
	v_cndmask_b32_e32 v30, v53, v55, vcc
	v_cndmask_b32_e32 v31, v31, v54, vcc
	v_lshlrev_b32_e32 v53, 24, v32
	v_bfrev_b32_e32 v54, 60
	v_lshlrev_b32_e32 v31, 20, v31
	v_and_b32_e32 v53, 0x80000000, v53
	v_lshl_add_u32 v30, v30, 23, v54
	v_or3_b32 v30, v53, v30, v31
	v_lshrrev_b32_e32 v53, 16, v30
.LBB849_257:
	s_or_b64 exec, exec, s[8:9]
.LBB849_258:
	s_or_b64 exec, exec, s[2:3]
.LBB849_259:
	s_or_b64 exec, exec, s[0:1]
	v_lshrrev_b16_e32 v30, 8, v32
	v_cmp_ne_u16_e32 vcc, 0, v30
	v_mov_b32_e32 v55, 0
	v_mov_b32_e32 v31, 0
	s_and_saveexec_b64 s[0:1], vcc
	s_cbranch_execz .LBB849_265
; %bb.260:
	s_movk_i32 s2, 0x80
	v_cmp_ne_u16_e32 vcc, s2, v30
	v_mov_b32_e32 v31, 0xffff8000
	s_and_saveexec_b64 s[2:3], vcc
	s_cbranch_execz .LBB849_264
; %bb.261:
	s_movk_i32 s8, 0x7f
	v_and_b32_e32 v54, 0x7f, v30
	v_cmp_ne_u32_e32 vcc, s8, v54
	v_mov_b32_e32 v31, 0x7f80
	s_and_saveexec_b64 s[8:9], vcc
	s_cbranch_execz .LBB849_263
; %bb.262:
	v_and_b32_e32 v56, 7, v30
	v_ffbh_u32_e32 v31, v56
	v_min_u32_e32 v58, 32, v31
	v_subrev_u32_e32 v31, 28, v58
	v_lshlrev_b64 v[30:31], v31, v[30:31]
	v_lshrrev_b32_e32 v57, 3, v54
	v_sub_u32_e32 v31, 29, v58
	v_and_b32_e32 v30, 7, v30
	v_cmp_gt_u32_e32 vcc, 8, v54
	v_cndmask_b32_e32 v31, v57, v31, vcc
	v_cndmask_b32_e32 v30, v56, v30, vcc
	v_lshlrev_b32_e32 v54, 16, v32
	v_bfrev_b32_e32 v56, 60
	v_lshlrev_b32_e32 v30, 20, v30
	v_and_b32_e32 v54, 0x80000000, v54
	v_lshl_add_u32 v31, v31, 23, v56
	v_or3_b32 v30, v54, v31, v30
	v_lshrrev_b32_e32 v31, 16, v30
.LBB849_263:
	s_or_b64 exec, exec, s[8:9]
.LBB849_264:
	s_or_b64 exec, exec, s[2:3]
.LBB849_265:
	s_or_b64 exec, exec, s[0:1]
	s_movk_i32 s0, 0xff
	v_and_b32_sdwa v54, v32, s0 dst_sel:DWORD dst_unused:UNUSED_PAD src0_sel:WORD_1 src1_sel:DWORD
	v_lshrrev_b32_e32 v30, 16, v32
	v_cmp_ne_u16_e32 vcc, 0, v54
	s_and_saveexec_b64 s[0:1], vcc
	s_cbranch_execz .LBB849_271
; %bb.266:
	s_movk_i32 s2, 0x80
	v_cmp_ne_u16_e32 vcc, s2, v54
	v_mov_b32_e32 v55, 0xffff8000
	s_and_saveexec_b64 s[2:3], vcc
	s_cbranch_execz .LBB849_270
; %bb.267:
	v_bfe_u32 v54, v32, 16, 7
	s_movk_i32 s8, 0x7f
	v_cmp_ne_u32_e32 vcc, s8, v54
	v_mov_b32_e32 v55, 0x7f80
	s_and_saveexec_b64 s[8:9], vcc
	s_cbranch_execz .LBB849_269
; %bb.268:
	v_and_b32_e32 v55, 7, v30
	v_ffbh_u32_e32 v56, v55
	v_min_u32_e32 v59, 32, v56
	v_subrev_u32_e32 v56, 28, v59
	v_lshlrev_b64 v[56:57], v56, v[30:31]
	v_and_b32_e32 v56, 7, v56
	v_cmp_gt_u32_e32 vcc, 8, v54
	v_lshrrev_b32_e32 v58, 3, v54
	v_sub_u32_e32 v30, 29, v59
	v_cndmask_b32_e32 v54, v55, v56, vcc
	v_mov_b32_e32 v55, 24
	v_cndmask_b32_e32 v30, v58, v30, vcc
	v_lshlrev_b32_sdwa v55, v55, v32 dst_sel:DWORD dst_unused:UNUSED_PAD src0_sel:DWORD src1_sel:WORD_1
	v_bfrev_b32_e32 v56, 60
	v_lshlrev_b32_e32 v54, 20, v54
	v_and_b32_e32 v55, 0x80000000, v55
	v_lshl_add_u32 v30, v30, 23, v56
	v_or3_b32 v30, v55, v30, v54
	v_lshrrev_b32_e32 v55, 16, v30
.LBB849_269:
	s_or_b64 exec, exec, s[8:9]
.LBB849_270:
	s_or_b64 exec, exec, s[2:3]
.LBB849_271:
	s_or_b64 exec, exec, s[0:1]
	s_mov_b32 s0, 0xffffff
	v_cmp_lt_u32_e32 vcc, s0, v32
	v_mov_b32_e32 v56, 0
	v_mov_b32_e32 v57, 0
	s_and_saveexec_b64 s[0:1], vcc
	s_cbranch_execz .LBB849_277
; %bb.272:
	v_lshrrev_b32_e32 v30, 24, v32
	s_movk_i32 s2, 0x80
	v_cmp_ne_u32_e32 vcc, s2, v30
	v_mov_b32_e32 v57, 0xffff8000
	s_and_saveexec_b64 s[2:3], vcc
	s_cbranch_execz .LBB849_276
; %bb.273:
	v_bfe_u32 v32, v32, 24, 7
	s_movk_i32 s8, 0x7f
	v_cmp_ne_u32_e32 vcc, s8, v32
	v_mov_b32_e32 v57, 0x7f80
	s_and_saveexec_b64 s[8:9], vcc
	s_cbranch_execz .LBB849_275
; %bb.274:
	v_and_b32_e32 v54, 7, v30
	v_ffbh_u32_e32 v58, v54
	v_min_u32_e32 v60, 32, v58
	v_subrev_u32_e32 v58, 28, v60
	v_lshlrev_b64 v[58:59], v58, v[30:31]
	v_lshrrev_b32_e32 v57, 3, v32
	v_sub_u32_e32 v59, 29, v60
	v_and_b32_e32 v58, 7, v58
	v_cmp_gt_u32_e32 vcc, 8, v32
	v_cndmask_b32_e32 v32, v57, v59, vcc
	v_cndmask_b32_e32 v54, v54, v58, vcc
	v_lshlrev_b32_e32 v30, 24, v30
	v_bfrev_b32_e32 v57, 60
	v_lshlrev_b32_e32 v54, 20, v54
	v_and_b32_e32 v30, 0x80000000, v30
	v_lshl_add_u32 v32, v32, 23, v57
	v_or3_b32 v30, v30, v32, v54
	v_lshrrev_b32_e32 v57, 16, v30
.LBB849_275:
	s_or_b64 exec, exec, s[8:9]
.LBB849_276:
	s_or_b64 exec, exec, s[2:3]
.LBB849_277:
	s_or_b64 exec, exec, s[0:1]
	v_cmp_ne_u16_sdwa s[2:3], v33, v56 src0_sel:BYTE_0 src1_sel:DWORD
	s_and_saveexec_b64 s[0:1], s[2:3]
	s_cbranch_execz .LBB849_283
; %bb.278:
	s_movk_i32 s2, 0x80
	v_cmp_ne_u16_sdwa s[8:9], v33, s2 src0_sel:BYTE_0 src1_sel:DWORD
	v_mov_b32_e32 v56, 0xffff8000
	s_and_saveexec_b64 s[2:3], s[8:9]
	s_cbranch_execz .LBB849_282
; %bb.279:
	s_movk_i32 s8, 0x7f
	v_and_b32_e32 v30, 0x7f, v33
	v_cmp_ne_u32_e32 vcc, s8, v30
	v_mov_b32_e32 v56, 0x7f80
	s_and_saveexec_b64 s[8:9], vcc
	s_cbranch_execz .LBB849_281
; %bb.280:
	v_and_b32_e32 v54, 7, v33
	v_ffbh_u32_e32 v58, v54
	v_min_u32_e32 v60, 32, v58
	v_mov_b32_e32 v32, v33
	v_subrev_u32_e32 v58, 28, v60
	v_lshlrev_b64 v[58:59], v58, v[32:33]
	v_lshrrev_b32_e32 v56, 3, v30
	v_sub_u32_e32 v32, 29, v60
	v_and_b32_e32 v58, 7, v58
	v_cmp_gt_u32_e32 vcc, 8, v30
	v_cndmask_b32_e32 v30, v56, v32, vcc
	v_cndmask_b32_e32 v32, v54, v58, vcc
	v_lshlrev_b32_e32 v54, 24, v33
	v_bfrev_b32_e32 v56, 60
	v_lshlrev_b32_e32 v32, 20, v32
	v_and_b32_e32 v54, 0x80000000, v54
	v_lshl_add_u32 v30, v30, 23, v56
	v_or3_b32 v30, v54, v30, v32
	v_lshrrev_b32_e32 v56, 16, v30
.LBB849_281:
	s_or_b64 exec, exec, s[8:9]
.LBB849_282:
	s_or_b64 exec, exec, s[2:3]
.LBB849_283:
	s_or_b64 exec, exec, s[0:1]
	v_lshrrev_b16_e32 v30, 8, v33
	v_cmp_ne_u16_e32 vcc, 0, v30
	v_mov_b32_e32 v58, 0
	v_mov_b32_e32 v32, 0
	s_and_saveexec_b64 s[0:1], vcc
	s_cbranch_execz .LBB849_289
; %bb.284:
	s_movk_i32 s2, 0x80
	v_cmp_ne_u16_e32 vcc, s2, v30
	v_mov_b32_e32 v32, 0xffff8000
	s_and_saveexec_b64 s[2:3], vcc
	s_cbranch_execz .LBB849_288
; %bb.285:
	s_movk_i32 s8, 0x7f
	v_and_b32_e32 v54, 0x7f, v30
	v_cmp_ne_u32_e32 vcc, s8, v54
	v_mov_b32_e32 v32, 0x7f80
	s_and_saveexec_b64 s[8:9], vcc
	s_cbranch_execz .LBB849_287
; %bb.286:
	v_and_b32_e32 v32, 7, v30
	v_ffbh_u32_e32 v60, v32
	v_min_u32_e32 v62, 32, v60
	v_subrev_u32_e32 v60, 28, v62
	v_lshlrev_b64 v[60:61], v60, v[30:31]
	v_lshrrev_b32_e32 v59, 3, v54
	v_sub_u32_e32 v30, 29, v62
	v_and_b32_e32 v60, 7, v60
	v_cmp_gt_u32_e32 vcc, 8, v54
	v_cndmask_b32_e32 v30, v59, v30, vcc
	v_cndmask_b32_e32 v32, v32, v60, vcc
	v_lshlrev_b32_e32 v54, 16, v33
	v_bfrev_b32_e32 v59, 60
	v_lshlrev_b32_e32 v32, 20, v32
	v_and_b32_e32 v54, 0x80000000, v54
	v_lshl_add_u32 v30, v30, 23, v59
	v_or3_b32 v30, v54, v30, v32
	v_lshrrev_b32_e32 v32, 16, v30
.LBB849_287:
	s_or_b64 exec, exec, s[8:9]
.LBB849_288:
	s_or_b64 exec, exec, s[2:3]
.LBB849_289:
	s_or_b64 exec, exec, s[0:1]
	s_movk_i32 s0, 0xff
	v_and_b32_sdwa v54, v33, s0 dst_sel:DWORD dst_unused:UNUSED_PAD src0_sel:WORD_1 src1_sel:DWORD
	v_lshrrev_b32_e32 v30, 16, v33
	v_cmp_ne_u16_e32 vcc, 0, v54
	s_and_saveexec_b64 s[0:1], vcc
	s_cbranch_execz .LBB849_295
; %bb.290:
	s_movk_i32 s2, 0x80
	v_cmp_ne_u16_e32 vcc, s2, v54
	v_mov_b32_e32 v58, 0xffff8000
	s_and_saveexec_b64 s[2:3], vcc
	s_cbranch_execz .LBB849_294
; %bb.291:
	v_bfe_u32 v54, v33, 16, 7
	s_movk_i32 s8, 0x7f
	v_cmp_ne_u32_e32 vcc, s8, v54
	v_mov_b32_e32 v58, 0x7f80
	s_and_saveexec_b64 s[8:9], vcc
	s_cbranch_execz .LBB849_293
; %bb.292:
	v_and_b32_e32 v60, 7, v30
	v_ffbh_u32_e32 v58, v60
	v_min_u32_e32 v62, 32, v58
	v_subrev_u32_e32 v58, 28, v62
	v_lshlrev_b64 v[58:59], v58, v[30:31]
	v_and_b32_e32 v58, 7, v58
	v_cmp_gt_u32_e32 vcc, 8, v54
	v_lshrrev_b32_e32 v61, 3, v54
	v_sub_u32_e32 v30, 29, v62
	v_cndmask_b32_e32 v54, v60, v58, vcc
	v_mov_b32_e32 v58, 24
	v_cndmask_b32_e32 v30, v61, v30, vcc
	v_lshlrev_b32_sdwa v58, v58, v33 dst_sel:DWORD dst_unused:UNUSED_PAD src0_sel:DWORD src1_sel:WORD_1
	v_bfrev_b32_e32 v59, 60
	v_lshlrev_b32_e32 v54, 20, v54
	v_and_b32_e32 v58, 0x80000000, v58
	v_lshl_add_u32 v30, v30, 23, v59
	v_or3_b32 v30, v58, v30, v54
	v_lshrrev_b32_e32 v58, 16, v30
.LBB849_293:
	s_or_b64 exec, exec, s[8:9]
.LBB849_294:
	s_or_b64 exec, exec, s[2:3]
.LBB849_295:
	s_or_b64 exec, exec, s[0:1]
	s_mov_b32 s0, 0xffffff
	v_cmp_lt_u32_e32 vcc, s0, v33
	v_mov_b32_e32 v54, 0
	v_mov_b32_e32 v59, 0
	s_and_saveexec_b64 s[0:1], vcc
	s_cbranch_execz .LBB849_301
; %bb.296:
	v_lshrrev_b32_e32 v30, 24, v33
	s_movk_i32 s2, 0x80
	v_cmp_ne_u32_e32 vcc, s2, v30
	v_mov_b32_e32 v59, 0xffff8000
	s_and_saveexec_b64 s[2:3], vcc
	s_cbranch_execz .LBB849_300
; %bb.297:
	v_bfe_u32 v33, v33, 24, 7
	s_movk_i32 s8, 0x7f
	v_cmp_ne_u32_e32 vcc, s8, v33
	v_mov_b32_e32 v59, 0x7f80
	s_and_saveexec_b64 s[8:9], vcc
	s_cbranch_execz .LBB849_299
; %bb.298:
	v_and_b32_e32 v59, 7, v30
	v_ffbh_u32_e32 v60, v59
	v_min_u32_e32 v63, 32, v60
	v_subrev_u32_e32 v60, 28, v63
	v_lshlrev_b64 v[60:61], v60, v[30:31]
	v_lshrrev_b32_e32 v62, 3, v33
	v_sub_u32_e32 v61, 29, v63
	v_and_b32_e32 v60, 7, v60
	v_cmp_gt_u32_e32 vcc, 8, v33
	v_cndmask_b32_e32 v33, v62, v61, vcc
	v_cndmask_b32_e32 v59, v59, v60, vcc
	v_lshlrev_b32_e32 v30, 24, v30
	v_bfrev_b32_e32 v60, 60
	v_lshlrev_b32_e32 v59, 20, v59
	v_and_b32_e32 v30, 0x80000000, v30
	v_lshl_add_u32 v33, v33, 23, v60
	v_or3_b32 v30, v30, v33, v59
	v_lshrrev_b32_e32 v59, 16, v30
.LBB849_299:
	s_or_b64 exec, exec, s[8:9]
.LBB849_300:
	s_or_b64 exec, exec, s[2:3]
.LBB849_301:
	s_or_b64 exec, exec, s[0:1]
	s_mov_b32 s0, 0x5040100
	v_perm_b32 v61, v57, v55, s0
	v_perm_b32 v60, v31, v53, s0
	;; [unrolled: 1-line block ×4, first 2 shown]
	v_cmp_ne_u16_sdwa s[2:3], v22, v54 src0_sel:BYTE_0 src1_sel:DWORD
	v_mfma_f32_16x16x16bf16_1k v[42:45], v[60:61], v[18:19], v[42:45]
	v_mfma_f32_16x16x16bf16_1k v[30:33], v[30:31], v[20:21], v[42:45]
	s_and_saveexec_b64 s[0:1], s[2:3]
	s_cbranch_execz .LBB849_307
; %bb.302:
	s_movk_i32 s2, 0x80
	v_cmp_ne_u16_sdwa s[8:9], v22, s2 src0_sel:BYTE_0 src1_sel:DWORD
	v_mov_b32_e32 v54, 0xffff8000
	s_and_saveexec_b64 s[2:3], s[8:9]
	s_cbranch_execz .LBB849_306
; %bb.303:
	s_movk_i32 s8, 0x7f
	s_nop 1
	v_and_b32_e32 v42, 0x7f, v22
	v_cmp_ne_u32_e32 vcc, s8, v42
	v_mov_b32_e32 v54, 0x7f80
	s_and_saveexec_b64 s[8:9], vcc
	s_cbranch_execz .LBB849_305
; %bb.304:
	v_and_b32_e32 v43, 7, v22
	v_ffbh_u32_e32 v44, v43
	v_min_u32_e32 v54, 32, v44
	v_subrev_u32_e32 v44, 28, v54
	v_lshlrev_b64 v[44:45], v44, v[22:23]
	v_lshrrev_b32_e32 v53, 3, v42
	v_sub_u32_e32 v45, 29, v54
	v_and_b32_e32 v44, 7, v44
	v_cmp_gt_u32_e32 vcc, 8, v42
	v_cndmask_b32_e32 v42, v53, v45, vcc
	v_cndmask_b32_e32 v43, v43, v44, vcc
	v_lshlrev_b32_e32 v44, 24, v22
	v_bfrev_b32_e32 v45, 60
	v_lshlrev_b32_e32 v43, 20, v43
	v_and_b32_e32 v44, 0x80000000, v44
	v_lshl_add_u32 v42, v42, 23, v45
	v_or3_b32 v42, v44, v42, v43
	v_lshrrev_b32_e32 v54, 16, v42
.LBB849_305:
	s_or_b64 exec, exec, s[8:9]
.LBB849_306:
	s_or_b64 exec, exec, s[2:3]
.LBB849_307:
	s_or_b64 exec, exec, s[0:1]
	s_nop 6
	v_lshrrev_b16_e32 v42, 8, v22
	v_cmp_ne_u16_e32 vcc, 0, v42
	v_mov_b32_e32 v44, 0
	v_mov_b32_e32 v43, 0
	s_and_saveexec_b64 s[0:1], vcc
	s_cbranch_execz .LBB849_313
; %bb.308:
	s_movk_i32 s2, 0x80
	v_cmp_ne_u16_e32 vcc, s2, v42
	v_mov_b32_e32 v43, 0xffff8000
	s_and_saveexec_b64 s[2:3], vcc
	s_cbranch_execz .LBB849_312
; %bb.309:
	s_movk_i32 s8, 0x7f
	v_and_b32_e32 v45, 0x7f, v42
	v_cmp_ne_u32_e32 vcc, s8, v45
	v_mov_b32_e32 v43, 0x7f80
	s_and_saveexec_b64 s[8:9], vcc
	s_cbranch_execz .LBB849_311
; %bb.310:
	v_and_b32_e32 v53, 7, v42
	v_ffbh_u32_e32 v43, v53
	v_min_u32_e32 v56, 32, v43
	v_subrev_u32_e32 v43, 28, v56
	v_lshlrev_b64 v[42:43], v43, v[42:43]
	v_lshrrev_b32_e32 v55, 3, v45
	v_sub_u32_e32 v43, 29, v56
	v_and_b32_e32 v42, 7, v42
	v_cmp_gt_u32_e32 vcc, 8, v45
	v_cndmask_b32_e32 v43, v55, v43, vcc
	v_cndmask_b32_e32 v42, v53, v42, vcc
	v_lshlrev_b32_e32 v45, 16, v22
	v_bfrev_b32_e32 v53, 60
	v_lshlrev_b32_e32 v42, 20, v42
	v_and_b32_e32 v45, 0x80000000, v45
	v_lshl_add_u32 v43, v43, 23, v53
	v_or3_b32 v42, v45, v43, v42
	v_lshrrev_b32_e32 v43, 16, v42
.LBB849_311:
	s_or_b64 exec, exec, s[8:9]
.LBB849_312:
	s_or_b64 exec, exec, s[2:3]
.LBB849_313:
	s_or_b64 exec, exec, s[0:1]
	s_movk_i32 s0, 0xff
	v_and_b32_sdwa v45, v22, s0 dst_sel:DWORD dst_unused:UNUSED_PAD src0_sel:WORD_1 src1_sel:DWORD
	v_lshrrev_b32_e32 v42, 16, v22
	v_cmp_ne_u16_e32 vcc, 0, v45
	s_and_saveexec_b64 s[0:1], vcc
	s_cbranch_execz .LBB849_319
; %bb.314:
	s_movk_i32 s2, 0x80
	v_cmp_ne_u16_e32 vcc, s2, v45
	v_mov_b32_e32 v44, 0xffff8000
	s_and_saveexec_b64 s[2:3], vcc
	s_cbranch_execz .LBB849_318
; %bb.315:
	v_bfe_u32 v45, v22, 16, 7
	s_movk_i32 s8, 0x7f
	v_cmp_ne_u32_e32 vcc, s8, v45
	v_mov_b32_e32 v44, 0x7f80
	s_and_saveexec_b64 s[8:9], vcc
	s_cbranch_execz .LBB849_317
; %bb.316:
	v_and_b32_e32 v44, 7, v42
	v_ffbh_u32_e32 v55, v44
	v_min_u32_e32 v55, 32, v55
	v_subrev_u32_e32 v56, 28, v55
	v_lshlrev_b64 v[56:57], v56, v[42:43]
	v_lshrrev_b32_e32 v53, 3, v45
	v_sub_u32_e32 v42, 29, v55
	v_and_b32_e32 v55, 7, v56
	v_cmp_gt_u32_e32 vcc, 8, v45
	v_mov_b32_e32 v45, 24
	v_cndmask_b32_e32 v42, v53, v42, vcc
	v_cndmask_b32_e32 v44, v44, v55, vcc
	v_lshlrev_b32_sdwa v45, v45, v22 dst_sel:DWORD dst_unused:UNUSED_PAD src0_sel:DWORD src1_sel:WORD_1
	v_bfrev_b32_e32 v53, 60
	v_lshlrev_b32_e32 v44, 20, v44
	v_and_b32_e32 v45, 0x80000000, v45
	v_lshl_add_u32 v42, v42, 23, v53
	v_or3_b32 v42, v45, v42, v44
	v_lshrrev_b32_e32 v44, 16, v42
.LBB849_317:
	s_or_b64 exec, exec, s[8:9]
.LBB849_318:
	s_or_b64 exec, exec, s[2:3]
.LBB849_319:
	s_or_b64 exec, exec, s[0:1]
	s_mov_b32 s0, 0xffffff
	v_cmp_lt_u32_e32 vcc, s0, v22
	v_mov_b32_e32 v45, 0
	v_mov_b32_e32 v53, 0
	s_and_saveexec_b64 s[0:1], vcc
	s_cbranch_execz .LBB849_325
; %bb.320:
	v_lshrrev_b32_e32 v42, 24, v22
	s_movk_i32 s2, 0x80
	v_cmp_ne_u32_e32 vcc, s2, v42
	v_mov_b32_e32 v53, 0xffff8000
	s_and_saveexec_b64 s[2:3], vcc
	s_cbranch_execz .LBB849_324
; %bb.321:
	v_bfe_u32 v22, v22, 24, 7
	s_movk_i32 s8, 0x7f
	v_cmp_ne_u32_e32 vcc, s8, v22
	v_mov_b32_e32 v53, 0x7f80
	s_and_saveexec_b64 s[8:9], vcc
	s_cbranch_execz .LBB849_323
; %bb.322:
	v_and_b32_e32 v53, 7, v42
	v_ffbh_u32_e32 v56, v53
	v_min_u32_e32 v58, 32, v56
	v_subrev_u32_e32 v56, 28, v58
	v_lshlrev_b64 v[56:57], v56, v[42:43]
	v_lshrrev_b32_e32 v55, 3, v22
	v_sub_u32_e32 v57, 29, v58
	v_and_b32_e32 v56, 7, v56
	v_cmp_gt_u32_e32 vcc, 8, v22
	v_cndmask_b32_e32 v22, v55, v57, vcc
	v_cndmask_b32_e32 v53, v53, v56, vcc
	v_lshlrev_b32_e32 v42, 24, v42
	v_bfrev_b32_e32 v55, 60
	v_lshlrev_b32_e32 v53, 20, v53
	v_and_b32_e32 v42, 0x80000000, v42
	v_lshl_add_u32 v22, v22, 23, v55
	v_or3_b32 v22, v42, v22, v53
	v_lshrrev_b32_e32 v53, 16, v22
.LBB849_323:
	s_or_b64 exec, exec, s[8:9]
.LBB849_324:
	s_or_b64 exec, exec, s[2:3]
.LBB849_325:
	s_or_b64 exec, exec, s[0:1]
	v_cmp_ne_u16_sdwa s[2:3], v23, v45 src0_sel:BYTE_0 src1_sel:DWORD
	s_and_saveexec_b64 s[0:1], s[2:3]
	s_cbranch_execz .LBB849_331
; %bb.326:
	s_movk_i32 s2, 0x80
	v_cmp_ne_u16_sdwa s[8:9], v23, s2 src0_sel:BYTE_0 src1_sel:DWORD
	v_mov_b32_e32 v45, 0xffff8000
	s_and_saveexec_b64 s[2:3], s[8:9]
	s_cbranch_execz .LBB849_330
; %bb.327:
	s_movk_i32 s8, 0x7f
	v_and_b32_e32 v22, 0x7f, v23
	v_cmp_ne_u32_e32 vcc, s8, v22
	v_mov_b32_e32 v45, 0x7f80
	s_and_saveexec_b64 s[8:9], vcc
	s_cbranch_execz .LBB849_329
; %bb.328:
	v_and_b32_e32 v45, 7, v23
	v_ffbh_u32_e32 v56, v45
	v_min_u32_e32 v58, 32, v56
	v_mov_b32_e32 v42, v23
	v_subrev_u32_e32 v56, 28, v58
	v_lshlrev_b64 v[56:57], v56, v[42:43]
	v_lshrrev_b32_e32 v55, 3, v22
	v_sub_u32_e32 v42, 29, v58
	v_and_b32_e32 v56, 7, v56
	v_cmp_gt_u32_e32 vcc, 8, v22
	v_cndmask_b32_e32 v22, v55, v42, vcc
	v_cndmask_b32_e32 v42, v45, v56, vcc
	v_lshlrev_b32_e32 v45, 24, v23
	v_bfrev_b32_e32 v55, 60
	v_lshlrev_b32_e32 v42, 20, v42
	v_and_b32_e32 v45, 0x80000000, v45
	v_lshl_add_u32 v22, v22, 23, v55
	v_or3_b32 v22, v45, v22, v42
	v_lshrrev_b32_e32 v45, 16, v22
.LBB849_329:
	s_or_b64 exec, exec, s[8:9]
.LBB849_330:
	s_or_b64 exec, exec, s[2:3]
.LBB849_331:
	s_or_b64 exec, exec, s[0:1]
	v_lshrrev_b16_e32 v22, 8, v23
	v_cmp_ne_u16_e32 vcc, 0, v22
	v_mov_b32_e32 v56, 0
	v_mov_b32_e32 v55, 0
	s_and_saveexec_b64 s[0:1], vcc
	s_cbranch_execz .LBB849_337
; %bb.332:
	s_movk_i32 s2, 0x80
	v_cmp_ne_u16_e32 vcc, s2, v22
	v_mov_b32_e32 v55, 0xffff8000
	s_and_saveexec_b64 s[2:3], vcc
	s_cbranch_execz .LBB849_336
; %bb.333:
	s_movk_i32 s8, 0x7f
	v_and_b32_e32 v42, 0x7f, v22
	v_cmp_ne_u32_e32 vcc, s8, v42
	v_mov_b32_e32 v55, 0x7f80
	s_and_saveexec_b64 s[8:9], vcc
	s_cbranch_execz .LBB849_335
; %bb.334:
	v_and_b32_e32 v55, 7, v22
	v_ffbh_u32_e32 v58, v55
	v_min_u32_e32 v60, 32, v58
	v_subrev_u32_e32 v58, 28, v60
	v_lshlrev_b64 v[58:59], v58, v[22:23]
	v_lshrrev_b32_e32 v57, 3, v42
	v_sub_u32_e32 v22, 29, v60
	v_and_b32_e32 v58, 7, v58
	v_cmp_gt_u32_e32 vcc, 8, v42
	v_cndmask_b32_e32 v22, v57, v22, vcc
	v_cndmask_b32_e32 v42, v55, v58, vcc
	v_lshlrev_b32_e32 v55, 16, v23
	v_bfrev_b32_e32 v57, 60
	v_lshlrev_b32_e32 v42, 20, v42
	v_and_b32_e32 v55, 0x80000000, v55
	v_lshl_add_u32 v22, v22, 23, v57
	v_or3_b32 v22, v55, v22, v42
	v_lshrrev_b32_e32 v55, 16, v22
.LBB849_335:
	s_or_b64 exec, exec, s[8:9]
.LBB849_336:
	s_or_b64 exec, exec, s[2:3]
.LBB849_337:
	s_or_b64 exec, exec, s[0:1]
	s_movk_i32 s0, 0xff
	v_and_b32_sdwa v42, v23, s0 dst_sel:DWORD dst_unused:UNUSED_PAD src0_sel:WORD_1 src1_sel:DWORD
	v_lshrrev_b32_e32 v22, 16, v23
	v_cmp_ne_u16_e32 vcc, 0, v42
	s_and_saveexec_b64 s[0:1], vcc
	s_cbranch_execz .LBB849_343
; %bb.338:
	s_movk_i32 s2, 0x80
	v_cmp_ne_u16_e32 vcc, s2, v42
	v_mov_b32_e32 v56, 0xffff8000
	s_and_saveexec_b64 s[2:3], vcc
	s_cbranch_execz .LBB849_342
; %bb.339:
	v_bfe_u32 v42, v23, 16, 7
	s_movk_i32 s8, 0x7f
	v_cmp_ne_u32_e32 vcc, s8, v42
	v_mov_b32_e32 v56, 0x7f80
	s_and_saveexec_b64 s[8:9], vcc
	s_cbranch_execz .LBB849_341
; %bb.340:
	v_and_b32_e32 v58, 7, v22
	v_ffbh_u32_e32 v56, v58
	v_min_u32_e32 v60, 32, v56
	v_subrev_u32_e32 v56, 28, v60
	v_lshlrev_b64 v[56:57], v56, v[22:23]
	v_and_b32_e32 v56, 7, v56
	v_cmp_gt_u32_e32 vcc, 8, v42
	v_lshrrev_b32_e32 v59, 3, v42
	v_sub_u32_e32 v22, 29, v60
	v_cndmask_b32_e32 v42, v58, v56, vcc
	v_mov_b32_e32 v56, 24
	v_cndmask_b32_e32 v22, v59, v22, vcc
	v_lshlrev_b32_sdwa v56, v56, v23 dst_sel:DWORD dst_unused:UNUSED_PAD src0_sel:DWORD src1_sel:WORD_1
	v_bfrev_b32_e32 v57, 60
	v_lshlrev_b32_e32 v42, 20, v42
	v_and_b32_e32 v56, 0x80000000, v56
	v_lshl_add_u32 v22, v22, 23, v57
	v_or3_b32 v22, v56, v22, v42
	v_lshrrev_b32_e32 v56, 16, v22
.LBB849_341:
	s_or_b64 exec, exec, s[8:9]
.LBB849_342:
	s_or_b64 exec, exec, s[2:3]
.LBB849_343:
	s_or_b64 exec, exec, s[0:1]
	s_mov_b32 s0, 0xffffff
	v_cmp_lt_u32_e32 vcc, s0, v23
	v_mov_b32_e32 v42, 0
	v_mov_b32_e32 v57, 0
	s_and_saveexec_b64 s[0:1], vcc
	s_cbranch_execz .LBB849_349
; %bb.344:
	v_lshrrev_b32_e32 v22, 24, v23
	s_movk_i32 s2, 0x80
	v_cmp_ne_u32_e32 vcc, s2, v22
	v_mov_b32_e32 v57, 0xffff8000
	s_and_saveexec_b64 s[2:3], vcc
	s_cbranch_execz .LBB849_348
; %bb.345:
	v_bfe_u32 v23, v23, 24, 7
	s_movk_i32 s8, 0x7f
	v_cmp_ne_u32_e32 vcc, s8, v23
	v_mov_b32_e32 v57, 0x7f80
	s_and_saveexec_b64 s[8:9], vcc
	s_cbranch_execz .LBB849_347
; %bb.346:
	v_and_b32_e32 v57, 7, v22
	v_ffbh_u32_e32 v58, v57
	v_min_u32_e32 v61, 32, v58
	v_subrev_u32_e32 v58, 28, v61
	v_lshlrev_b64 v[58:59], v58, v[22:23]
	v_lshrrev_b32_e32 v60, 3, v23
	v_sub_u32_e32 v59, 29, v61
	v_and_b32_e32 v58, 7, v58
	v_cmp_gt_u32_e32 vcc, 8, v23
	v_cndmask_b32_e32 v23, v60, v59, vcc
	v_cndmask_b32_e32 v57, v57, v58, vcc
	v_lshlrev_b32_e32 v22, 24, v22
	v_bfrev_b32_e32 v58, 60
	v_lshlrev_b32_e32 v57, 20, v57
	v_and_b32_e32 v22, 0x80000000, v22
	v_lshl_add_u32 v23, v23, 23, v58
	v_or3_b32 v22, v22, v23, v57
	v_lshrrev_b32_e32 v57, 16, v22
.LBB849_347:
	s_or_b64 exec, exec, s[8:9]
.LBB849_348:
	s_or_b64 exec, exec, s[2:3]
.LBB849_349:
	s_or_b64 exec, exec, s[0:1]
	s_mov_b32 s0, 0x5040100
	v_perm_b32 v23, v53, v44, s0
	v_perm_b32 v22, v43, v54, s0
	v_cmp_ne_u16_sdwa s[2:3], v24, v42 src0_sel:BYTE_0 src1_sel:DWORD
	s_nop 0
	v_mfma_f32_16x16x16bf16_1k v[58:61], v[22:23], v[26:27], 0
	v_perm_b32 v23, v57, v56, s0
	v_perm_b32 v22, v55, v45, s0
	s_nop 1
	v_mfma_f32_16x16x16bf16_1k v[26:29], v[22:23], v[28:29], v[58:61]
	s_and_saveexec_b64 s[0:1], s[2:3]
	s_cbranch_execz .LBB849_355
; %bb.350:
	s_movk_i32 s2, 0x80
	v_cmp_ne_u16_sdwa s[8:9], v24, s2 src0_sel:BYTE_0 src1_sel:DWORD
	v_mov_b32_e32 v42, 0xffff8000
	s_and_saveexec_b64 s[2:3], s[8:9]
	s_cbranch_execz .LBB849_354
; %bb.351:
	s_movk_i32 s8, 0x7f
	v_and_b32_e32 v22, 0x7f, v24
	v_cmp_ne_u32_e32 vcc, s8, v22
	v_mov_b32_e32 v42, 0x7f80
	s_and_saveexec_b64 s[8:9], vcc
	s_cbranch_execz .LBB849_353
; %bb.352:
	v_and_b32_e32 v23, 7, v24
	v_ffbh_u32_e32 v42, v23
	v_min_u32_e32 v45, 32, v42
	v_subrev_u32_e32 v42, 28, v45
	v_lshlrev_b64 v[42:43], v42, v[24:25]
	v_lshrrev_b32_e32 v44, 3, v22
	v_sub_u32_e32 v43, 29, v45
	v_and_b32_e32 v42, 7, v42
	v_cmp_gt_u32_e32 vcc, 8, v22
	v_cndmask_b32_e32 v22, v44, v43, vcc
	v_cndmask_b32_e32 v23, v23, v42, vcc
	v_lshlrev_b32_e32 v42, 24, v24
	v_bfrev_b32_e32 v43, 60
	v_lshlrev_b32_e32 v23, 20, v23
	v_and_b32_e32 v42, 0x80000000, v42
	v_lshl_add_u32 v22, v22, 23, v43
	v_or3_b32 v22, v42, v22, v23
	v_lshrrev_b32_e32 v42, 16, v22
.LBB849_353:
	s_or_b64 exec, exec, s[8:9]
.LBB849_354:
	s_or_b64 exec, exec, s[2:3]
.LBB849_355:
	s_or_b64 exec, exec, s[0:1]
	v_lshrrev_b16_e32 v22, 8, v24
	v_cmp_ne_u16_e32 vcc, 0, v22
	v_mov_b32_e32 v43, 0
	v_mov_b32_e32 v23, 0
	s_and_saveexec_b64 s[0:1], vcc
	s_cbranch_execz .LBB849_361
; %bb.356:
	s_movk_i32 s2, 0x80
	v_cmp_ne_u16_e32 vcc, s2, v22
	v_mov_b32_e32 v23, 0xffff8000
	s_and_saveexec_b64 s[2:3], vcc
	s_cbranch_execz .LBB849_360
; %bb.357:
	s_movk_i32 s8, 0x7f
	v_and_b32_e32 v44, 0x7f, v22
	v_cmp_ne_u32_e32 vcc, s8, v44
	v_mov_b32_e32 v23, 0x7f80
	s_and_saveexec_b64 s[8:9], vcc
	s_cbranch_execz .LBB849_359
; %bb.358:
	v_and_b32_e32 v45, 7, v22
	v_ffbh_u32_e32 v23, v45
	v_min_u32_e32 v54, 32, v23
	v_subrev_u32_e32 v23, 28, v54
	v_lshlrev_b64 v[22:23], v23, v[22:23]
	v_lshrrev_b32_e32 v53, 3, v44
	v_sub_u32_e32 v23, 29, v54
	v_and_b32_e32 v22, 7, v22
	v_cmp_gt_u32_e32 vcc, 8, v44
	v_cndmask_b32_e32 v23, v53, v23, vcc
	v_cndmask_b32_e32 v22, v45, v22, vcc
	v_lshlrev_b32_e32 v44, 16, v24
	v_bfrev_b32_e32 v45, 60
	v_lshlrev_b32_e32 v22, 20, v22
	v_and_b32_e32 v44, 0x80000000, v44
	v_lshl_add_u32 v23, v23, 23, v45
	v_or3_b32 v22, v44, v23, v22
	v_lshrrev_b32_e32 v23, 16, v22
.LBB849_359:
	s_or_b64 exec, exec, s[8:9]
.LBB849_360:
	s_or_b64 exec, exec, s[2:3]
.LBB849_361:
	s_or_b64 exec, exec, s[0:1]
	s_movk_i32 s0, 0xff
	v_and_b32_sdwa v44, v24, s0 dst_sel:DWORD dst_unused:UNUSED_PAD src0_sel:WORD_1 src1_sel:DWORD
	v_lshrrev_b32_e32 v22, 16, v24
	v_cmp_ne_u16_e32 vcc, 0, v44
	s_and_saveexec_b64 s[0:1], vcc
	s_cbranch_execz .LBB849_367
; %bb.362:
	s_movk_i32 s2, 0x80
	v_cmp_ne_u16_e32 vcc, s2, v44
	v_mov_b32_e32 v43, 0xffff8000
	s_and_saveexec_b64 s[2:3], vcc
	s_cbranch_execz .LBB849_366
; %bb.363:
	v_bfe_u32 v44, v24, 16, 7
	s_movk_i32 s8, 0x7f
	v_cmp_ne_u32_e32 vcc, s8, v44
	v_mov_b32_e32 v43, 0x7f80
	s_and_saveexec_b64 s[8:9], vcc
	s_cbranch_execz .LBB849_365
; %bb.364:
	v_and_b32_e32 v43, 7, v22
	v_ffbh_u32_e32 v53, v43
	v_min_u32_e32 v53, 32, v53
	v_subrev_u32_e32 v54, 28, v53
	v_lshlrev_b64 v[54:55], v54, v[22:23]
	v_lshrrev_b32_e32 v45, 3, v44
	v_sub_u32_e32 v22, 29, v53
	v_and_b32_e32 v53, 7, v54
	v_cmp_gt_u32_e32 vcc, 8, v44
	v_mov_b32_e32 v44, 24
	v_cndmask_b32_e32 v22, v45, v22, vcc
	v_cndmask_b32_e32 v43, v43, v53, vcc
	v_lshlrev_b32_sdwa v44, v44, v24 dst_sel:DWORD dst_unused:UNUSED_PAD src0_sel:DWORD src1_sel:WORD_1
	v_bfrev_b32_e32 v45, 60
	v_lshlrev_b32_e32 v43, 20, v43
	v_and_b32_e32 v44, 0x80000000, v44
	v_lshl_add_u32 v22, v22, 23, v45
	v_or3_b32 v22, v44, v22, v43
	v_lshrrev_b32_e32 v43, 16, v22
.LBB849_365:
	s_or_b64 exec, exec, s[8:9]
.LBB849_366:
	s_or_b64 exec, exec, s[2:3]
.LBB849_367:
	s_or_b64 exec, exec, s[0:1]
	s_mov_b32 s0, 0xffffff
	v_cmp_lt_u32_e32 vcc, s0, v24
	v_mov_b32_e32 v45, 0
	v_mov_b32_e32 v53, 0
	s_and_saveexec_b64 s[0:1], vcc
	s_cbranch_execz .LBB849_373
; %bb.368:
	v_lshrrev_b32_e32 v22, 24, v24
	s_movk_i32 s2, 0x80
	v_cmp_ne_u32_e32 vcc, s2, v22
	v_mov_b32_e32 v53, 0xffff8000
	s_and_saveexec_b64 s[2:3], vcc
	s_cbranch_execz .LBB849_372
; %bb.369:
	v_bfe_u32 v24, v24, 24, 7
	s_movk_i32 s8, 0x7f
	v_cmp_ne_u32_e32 vcc, s8, v24
	v_mov_b32_e32 v53, 0x7f80
	s_and_saveexec_b64 s[8:9], vcc
	s_cbranch_execz .LBB849_371
; %bb.370:
	v_and_b32_e32 v44, 7, v22
	v_ffbh_u32_e32 v54, v44
	v_min_u32_e32 v56, 32, v54
	v_subrev_u32_e32 v54, 28, v56
	v_lshlrev_b64 v[54:55], v54, v[22:23]
	v_lshrrev_b32_e32 v53, 3, v24
	v_sub_u32_e32 v55, 29, v56
	v_and_b32_e32 v54, 7, v54
	v_cmp_gt_u32_e32 vcc, 8, v24
	v_cndmask_b32_e32 v24, v53, v55, vcc
	v_cndmask_b32_e32 v44, v44, v54, vcc
	v_lshlrev_b32_e32 v22, 24, v22
	v_bfrev_b32_e32 v53, 60
	v_lshlrev_b32_e32 v44, 20, v44
	v_and_b32_e32 v22, 0x80000000, v22
	v_lshl_add_u32 v24, v24, 23, v53
	v_or3_b32 v22, v22, v24, v44
	v_lshrrev_b32_e32 v53, 16, v22
.LBB849_371:
	s_or_b64 exec, exec, s[8:9]
.LBB849_372:
	s_or_b64 exec, exec, s[2:3]
.LBB849_373:
	s_or_b64 exec, exec, s[0:1]
	v_cmp_ne_u16_sdwa s[2:3], v25, v45 src0_sel:BYTE_0 src1_sel:DWORD
	s_and_saveexec_b64 s[0:1], s[2:3]
	s_cbranch_execz .LBB849_379
; %bb.374:
	s_movk_i32 s2, 0x80
	v_cmp_ne_u16_sdwa s[8:9], v25, s2 src0_sel:BYTE_0 src1_sel:DWORD
	v_mov_b32_e32 v45, 0xffff8000
	s_and_saveexec_b64 s[2:3], s[8:9]
	s_cbranch_execz .LBB849_378
; %bb.375:
	s_movk_i32 s8, 0x7f
	v_and_b32_e32 v22, 0x7f, v25
	v_cmp_ne_u32_e32 vcc, s8, v22
	v_mov_b32_e32 v45, 0x7f80
	s_and_saveexec_b64 s[8:9], vcc
	s_cbranch_execz .LBB849_377
; %bb.376:
	v_and_b32_e32 v54, 7, v25
	v_ffbh_u32_e32 v44, v54
	v_min_u32_e32 v56, 32, v44
	v_mov_b32_e32 v24, v25
	v_subrev_u32_e32 v44, 28, v56
	v_lshlrev_b64 v[44:45], v44, v[24:25]
	v_lshrrev_b32_e32 v55, 3, v22
	v_sub_u32_e32 v24, 29, v56
	v_and_b32_e32 v44, 7, v44
	v_cmp_gt_u32_e32 vcc, 8, v22
	v_cndmask_b32_e32 v22, v55, v24, vcc
	v_cndmask_b32_e32 v24, v54, v44, vcc
	v_lshlrev_b32_e32 v44, 24, v25
	v_bfrev_b32_e32 v45, 60
	v_lshlrev_b32_e32 v24, 20, v24
	v_and_b32_e32 v44, 0x80000000, v44
	v_lshl_add_u32 v22, v22, 23, v45
	v_or3_b32 v22, v44, v22, v24
	v_lshrrev_b32_e32 v45, 16, v22
.LBB849_377:
	s_or_b64 exec, exec, s[8:9]
.LBB849_378:
	s_or_b64 exec, exec, s[2:3]
.LBB849_379:
	s_or_b64 exec, exec, s[0:1]
	v_lshrrev_b16_e32 v22, 8, v25
	v_cmp_ne_u16_e32 vcc, 0, v22
	v_mov_b32_e32 v55, 0
	v_mov_b32_e32 v54, 0
	s_and_saveexec_b64 s[0:1], vcc
	s_cbranch_execz .LBB849_385
; %bb.380:
	s_movk_i32 s2, 0x80
	v_cmp_ne_u16_e32 vcc, s2, v22
	v_mov_b32_e32 v54, 0xffff8000
	s_and_saveexec_b64 s[2:3], vcc
	s_cbranch_execz .LBB849_384
; %bb.381:
	s_movk_i32 s8, 0x7f
	v_and_b32_e32 v24, 0x7f, v22
	v_cmp_ne_u32_e32 vcc, s8, v24
	v_mov_b32_e32 v54, 0x7f80
	s_and_saveexec_b64 s[8:9], vcc
	s_cbranch_execz .LBB849_383
; %bb.382:
	v_and_b32_e32 v44, 7, v22
	v_ffbh_u32_e32 v56, v44
	v_min_u32_e32 v58, 32, v56
	v_subrev_u32_e32 v56, 28, v58
	v_lshlrev_b64 v[56:57], v56, v[22:23]
	v_lshrrev_b32_e32 v54, 3, v24
	v_sub_u32_e32 v22, 29, v58
	v_and_b32_e32 v56, 7, v56
	v_cmp_gt_u32_e32 vcc, 8, v24
	v_cndmask_b32_e32 v22, v54, v22, vcc
	v_cndmask_b32_e32 v24, v44, v56, vcc
	v_lshlrev_b32_e32 v44, 16, v25
	v_bfrev_b32_e32 v54, 60
	v_lshlrev_b32_e32 v24, 20, v24
	v_and_b32_e32 v44, 0x80000000, v44
	v_lshl_add_u32 v22, v22, 23, v54
	v_or3_b32 v22, v44, v22, v24
	v_lshrrev_b32_e32 v54, 16, v22
.LBB849_383:
	s_or_b64 exec, exec, s[8:9]
.LBB849_384:
	s_or_b64 exec, exec, s[2:3]
.LBB849_385:
	s_or_b64 exec, exec, s[0:1]
	s_movk_i32 s0, 0xff
	v_and_b32_sdwa v24, v25, s0 dst_sel:DWORD dst_unused:UNUSED_PAD src0_sel:WORD_1 src1_sel:DWORD
	v_lshrrev_b32_e32 v22, 16, v25
	v_cmp_ne_u16_e32 vcc, 0, v24
	s_and_saveexec_b64 s[0:1], vcc
	s_cbranch_execz .LBB849_391
; %bb.386:
	s_movk_i32 s2, 0x80
	v_cmp_ne_u16_e32 vcc, s2, v24
	v_mov_b32_e32 v55, 0xffff8000
	s_and_saveexec_b64 s[2:3], vcc
	s_cbranch_execz .LBB849_390
; %bb.387:
	v_bfe_u32 v24, v25, 16, 7
	s_movk_i32 s8, 0x7f
	v_cmp_ne_u32_e32 vcc, s8, v24
	v_mov_b32_e32 v55, 0x7f80
	s_and_saveexec_b64 s[8:9], vcc
	s_cbranch_execz .LBB849_389
; %bb.388:
	v_and_b32_e32 v44, 7, v22
	v_ffbh_u32_e32 v56, v44
	v_min_u32_e32 v58, 32, v56
	v_subrev_u32_e32 v56, 28, v58
	v_lshlrev_b64 v[56:57], v56, v[22:23]
	v_and_b32_e32 v56, 7, v56
	v_cmp_gt_u32_e32 vcc, 8, v24
	v_lshrrev_b32_e32 v55, 3, v24
	v_sub_u32_e32 v22, 29, v58
	v_cndmask_b32_e32 v24, v44, v56, vcc
	v_mov_b32_e32 v44, 24
	v_cndmask_b32_e32 v22, v55, v22, vcc
	v_lshlrev_b32_sdwa v44, v44, v25 dst_sel:DWORD dst_unused:UNUSED_PAD src0_sel:DWORD src1_sel:WORD_1
	v_bfrev_b32_e32 v55, 60
	v_lshlrev_b32_e32 v24, 20, v24
	v_and_b32_e32 v44, 0x80000000, v44
	v_lshl_add_u32 v22, v22, 23, v55
	v_or3_b32 v22, v44, v22, v24
	v_lshrrev_b32_e32 v55, 16, v22
.LBB849_389:
	s_or_b64 exec, exec, s[8:9]
.LBB849_390:
	s_or_b64 exec, exec, s[2:3]
.LBB849_391:
	s_or_b64 exec, exec, s[0:1]
	s_mov_b32 s0, 0xffffff
	v_and_b32_e32 v44, 63, v0
	v_cmp_lt_u32_e32 vcc, s0, v25
	v_mov_b32_e32 v56, 0
	s_and_saveexec_b64 s[0:1], vcc
	s_cbranch_execz .LBB849_397
; %bb.392:
	v_lshrrev_b32_e32 v22, 24, v25
	s_movk_i32 s2, 0x80
	v_cmp_ne_u32_e32 vcc, s2, v22
	v_mov_b32_e32 v56, 0xffff8000
	s_and_saveexec_b64 s[2:3], vcc
	s_cbranch_execz .LBB849_396
; %bb.393:
	v_bfe_u32 v24, v25, 24, 7
	s_movk_i32 s8, 0x7f
	v_cmp_ne_u32_e32 vcc, s8, v24
	v_mov_b32_e32 v56, 0x7f80
	s_and_saveexec_b64 s[8:9], vcc
	s_cbranch_execz .LBB849_395
; %bb.394:
	v_and_b32_e32 v25, 7, v22
	v_ffbh_u32_e32 v56, v25
	v_min_u32_e32 v59, 32, v56
	v_subrev_u32_e32 v56, 28, v59
	v_lshlrev_b64 v[56:57], v56, v[22:23]
	v_lshrrev_b32_e32 v58, 3, v24
	v_sub_u32_e32 v57, 29, v59
	v_and_b32_e32 v56, 7, v56
	v_cmp_gt_u32_e32 vcc, 8, v24
	v_cndmask_b32_e32 v24, v58, v57, vcc
	v_cndmask_b32_e32 v25, v25, v56, vcc
	v_lshlrev_b32_e32 v22, 24, v22
	v_bfrev_b32_e32 v56, 60
	v_lshlrev_b32_e32 v25, 20, v25
	v_and_b32_e32 v22, 0x80000000, v22
	v_lshl_add_u32 v24, v24, 23, v56
	v_or3_b32 v22, v22, v24, v25
	v_lshrrev_b32_e32 v56, 16, v22
.LBB849_395:
	s_or_b64 exec, exec, s[8:9]
.LBB849_396:
	s_or_b64 exec, exec, s[2:3]
.LBB849_397:
	s_or_b64 exec, exec, s[0:1]
	s_mov_b32 s1, 0x5040100
	v_perm_b32 v43, v53, v43, s1
	v_perm_b32 v42, v23, v42, s1
	s_load_dword s0, s[4:5], 0x1c
	s_mov_b32 s40, 0xff7fffff
	s_waitcnt lgkmcnt(0)
	v_mfma_f32_16x16x16bf16_1k v[26:29], v[42:43], v[18:19], v[26:29]
	v_perm_b32 v19, v56, v55, s1
	v_perm_b32 v18, v54, v45, s1
	v_mov_b32_e32 v22, s0
	v_mul_f32_e32 v58, s10, v22
	v_pk_mul_f32 v[22:23], v[58:59], v[32:33] op_sel_hi:[0,1]
	v_pk_mul_f32 v[32:33], v[58:59], v[38:39] op_sel_hi:[0,1]
	v_and_b32_e32 v38, 0xc0, v0
	v_mfma_f32_16x16x16bf16_1k v[26:29], v[18:19], v[20:21], v[26:29]
	v_add_u32_e32 v38, s18, v38
	v_lshl_or_b32 v38, v49, 2, v38
	v_or_b32_e32 v39, 1, v38
	v_pk_mul_f32 v[24:25], v[58:59], v[30:31] op_sel_hi:[0,1]
	v_pk_mul_f32 v[30:31], v[58:59], v[40:41] op_sel_hi:[0,1]
	v_subrev_u32_e32 v40, s33, v39
	v_pk_mul_f32 v[34:35], v[58:59], v[34:35] op_sel_hi:[0,1]
	s_nop 3
	v_pk_mul_f32 v[20:21], v[58:59], v[26:27] op_sel_hi:[0,1]
	v_add_u32_e32 v27, 1, v40
	v_pk_mul_f32 v[18:19], v[58:59], v[28:29] op_sel_hi:[0,1]
	v_cvt_f32_i32_e32 v27, v27
	v_add_u32_e32 v29, 3, v40
	v_cvt_f32_i32_e32 v29, v29
	v_cvt_f32_i32_e32 v26, v40
	v_pk_mul_f32 v[36:37], v[58:59], v[36:37] op_sel_hi:[0,1]
	v_fmac_f32_e32 v35, v52, v27
	v_add_u32_e32 v27, 16, v40
	v_fmac_f32_e32 v37, v52, v29
	v_cvt_f32_i32_e32 v27, v27
	v_add_u32_e32 v29, 17, v40
	v_fma_f32 v26, v52, v26, v34
	v_cvt_f32_i32_e32 v29, v29
	v_add_u32_e32 v34, 18, v40
	v_cvt_f32_i32_e32 v34, v34
	v_fma_f32 v41, v52, v27, v32
	v_add_u32_e32 v27, 32, v40
	v_fmac_f32_e32 v33, v52, v29
	v_cvt_f32_i32_e32 v27, v27
	v_add_u32_e32 v29, 33, v40
	v_add_u32_e32 v32, 34, v40
	v_fma_f32 v30, v52, v34, v30
	v_cvt_f32_i32_e32 v29, v29
	v_cvt_f32_i32_e32 v32, v32
	v_add_u32_e32 v34, 35, v40
	v_cvt_f32_i32_e32 v34, v34
	v_fma_f32 v24, v52, v27, v24
	v_add_u32_e32 v27, 48, v40
	v_fmac_f32_e32 v25, v52, v29
	v_fma_f32 v22, v52, v32, v22
	v_cvt_f32_i32_e32 v27, v27
	v_add_u32_e32 v29, 49, v40
	v_add_u32_e32 v32, 50, v40
	v_fmac_f32_e32 v23, v52, v34
	v_cvt_f32_i32_e32 v29, v29
	v_cvt_f32_i32_e32 v32, v32
	v_add_u32_e32 v34, 51, v40
	v_add_u32_e32 v28, 2, v40
	v_cvt_f32_i32_e32 v34, v34
	v_cvt_f32_i32_e32 v28, v28
	v_fma_f32 v20, v52, v27, v20
	v_mov_b32_e32 v27, 0xff7fffff
	v_cmp_gt_i32_e64 s[24:25], s33, v38
	v_cmp_gt_i32_e64 s[26:27], s33, v39
	v_fmac_f32_e32 v21, v52, v29
	v_fma_f32 v18, v52, v32, v18
	v_cndmask_b32_e64 v29, v27, v26, s[24:25]
	v_cndmask_b32_e64 v32, v27, v35, s[26:27]
	v_fmac_f32_e32 v19, v52, v34
	v_max3_f32 v29, v29, s40, v32
	v_or_b32_e32 v32, 2, v38
	v_or_b32_e32 v34, 3, v38
	v_fma_f32 v28, v52, v28, v36
	v_cmp_gt_i32_e64 s[28:29], s33, v32
	v_cmp_gt_i32_e64 s[30:31], s33, v34
	v_add_u32_e32 v36, 19, v40
	v_cndmask_b32_e64 v32, v27, v28, s[28:29]
	v_cndmask_b32_e64 v34, v27, v37, s[30:31]
	v_cvt_f32_i32_e32 v36, v36
	v_max3_f32 v29, v29, v32, v34
	v_or_b32_e32 v32, 16, v38
	v_or_b32_e32 v34, 17, v38
	v_cmp_gt_i32_e64 s[34:35], s33, v32
	v_cmp_gt_i32_e64 s[36:37], s33, v34
	v_cndmask_b32_e64 v32, v27, v41, s[34:35]
	v_cndmask_b32_e64 v34, v27, v33, s[36:37]
	v_max3_f32 v29, v29, v32, v34
	v_or_b32_e32 v32, 18, v38
	v_or_b32_e32 v34, 19, v38
	v_fmac_f32_e32 v31, v52, v36
	v_cmp_gt_i32_e64 s[18:19], s33, v32
	v_cmp_gt_i32_e64 s[20:21], s33, v34
	v_cndmask_b32_e64 v32, v27, v30, s[18:19]
	v_cndmask_b32_e64 v34, v27, v31, s[20:21]
	v_max3_f32 v29, v29, v32, v34
	v_or_b32_e32 v32, 32, v38
	v_or_b32_e32 v34, 33, v38
	v_cmp_gt_i32_e64 s[14:15], s33, v32
	v_cmp_gt_i32_e64 s[16:17], s33, v34
	v_cndmask_b32_e64 v32, v27, v24, s[14:15]
	v_cndmask_b32_e64 v34, v27, v25, s[16:17]
	v_max3_f32 v29, v29, v32, v34
	v_or_b32_e32 v32, 34, v38
	v_or_b32_e32 v34, 35, v38
	v_cmp_gt_i32_e64 s[10:11], s33, v32
	v_cmp_gt_i32_e64 s[12:13], s33, v34
	v_cndmask_b32_e64 v32, v27, v22, s[10:11]
	v_cndmask_b32_e64 v34, v27, v23, s[12:13]
	v_max3_f32 v29, v29, v32, v34
	v_or_b32_e32 v32, 48, v38
	v_or_b32_e32 v34, 49, v38
	v_cmp_gt_i32_e64 s[2:3], s33, v32
	v_cmp_gt_i32_e64 s[8:9], s33, v34
	v_cndmask_b32_e64 v32, v27, v20, s[2:3]
	v_cndmask_b32_e64 v34, v27, v21, s[8:9]
	v_max3_f32 v29, v29, v32, v34
	v_or_b32_e32 v32, 50, v38
	v_or_b32_e32 v34, 51, v38
	v_cmp_gt_i32_e32 vcc, s33, v32
	v_cmp_gt_i32_e64 s[0:1], s33, v34
	v_cndmask_b32_e32 v32, v27, v18, vcc
	v_cndmask_b32_e64 v27, v27, v19, s[0:1]
	v_max3_f32 v27, v29, v32, v27
	v_mbcnt_lo_u32_b32 v29, -1, 0
	v_mbcnt_hi_u32_b32 v29, -1, v29
	v_and_b32_e32 v32, 64, v29
	v_add_u32_e32 v32, 64, v32
	v_xor_b32_e32 v34, 32, v29
	v_cmp_lt_i32_e64 s[38:39], v34, v32
	v_cndmask_b32_e64 v34, v29, v34, s[38:39]
	v_lshlrev_b32_e32 v36, 2, v34
	ds_bpermute_b32 v34, v36, v27
	s_barrier
	s_waitcnt lgkmcnt(0)
	v_max_f32_e32 v34, v34, v34
	v_max_f32_e32 v27, v27, v34
	v_xor_b32_e32 v34, 16, v29
	v_cmp_lt_i32_e64 s[38:39], v34, v32
	v_cndmask_b32_e64 v29, v29, v34, s[38:39]
	v_lshlrev_b32_e32 v38, 2, v29
	ds_bpermute_b32 v29, v38, v27
	s_waitcnt lgkmcnt(0)
	v_max_f32_e32 v29, v29, v29
	v_max_f32_e32 v32, v27, v29
	v_sub_f32_e32 v26, v26, v32
	v_mul_f32_e32 v26, 0x3fb8aa3b, v26
	v_sub_f32_e32 v27, v35, v32
	v_exp_f32_e32 v26, v26
	v_mul_f32_e32 v27, 0x3fb8aa3b, v27
	v_sub_f32_e32 v28, v28, v32
	v_exp_f32_e32 v27, v27
	v_mul_f32_e32 v28, 0x3fb8aa3b, v28
	v_exp_f32_e32 v28, v28
	v_cndmask_b32_e64 v26, 0, v26, s[24:25]
	v_sub_f32_e32 v34, v37, v32
	v_add_f32_e32 v29, 0, v26
	v_cndmask_b32_e64 v27, 0, v27, s[26:27]
	v_mul_f32_e32 v34, 0x3fb8aa3b, v34
	v_exp_f32_e32 v35, v34
	v_add_f32_e32 v29, v29, v27
	v_cndmask_b32_e64 v34, 0, v28, s[28:29]
	v_add_f32_e32 v28, v29, v34
	v_sub_f32_e32 v29, v41, v32
	v_mul_f32_e32 v29, 0x3fb8aa3b, v29
	v_sub_f32_e32 v33, v33, v32
	v_exp_f32_e32 v29, v29
	v_mul_f32_e32 v33, 0x3fb8aa3b, v33
	v_sub_f32_e32 v30, v30, v32
	v_exp_f32_e32 v33, v33
	v_mul_f32_e32 v30, 0x3fb8aa3b, v30
	v_sub_f32_e32 v31, v31, v32
	v_exp_f32_e32 v30, v30
	v_mul_f32_e32 v31, 0x3fb8aa3b, v31
	v_sub_f32_e32 v24, v24, v32
	v_cndmask_b32_e64 v35, 0, v35, s[30:31]
	v_exp_f32_e32 v31, v31
	v_mul_f32_e32 v24, 0x3fb8aa3b, v24
	v_sub_f32_e32 v25, v25, v32
	v_add_f32_e32 v37, v28, v35
	v_cndmask_b32_e64 v28, 0, v29, s[34:35]
	v_exp_f32_e32 v24, v24
	v_mul_f32_e32 v25, 0x3fb8aa3b, v25
	v_sub_f32_e32 v22, v22, v32
	v_add_f32_e32 v37, v37, v28
	;; [unrolled: 5-line block ×7, first 2 shown]
	v_cndmask_b32_e64 v22, 0, v22, s[10:11]
	v_exp_f32_e32 v18, v18
	v_mul_f32_e32 v19, 0x3fb8aa3b, v19
	v_add_f32_e32 v33, v33, v22
	v_cndmask_b32_e64 v23, 0, v23, s[12:13]
	v_exp_f32_e32 v19, v19
	v_add_f32_e32 v33, v33, v23
	v_cndmask_b32_e64 v20, 0, v20, s[2:3]
	v_add_f32_e32 v33, v33, v20
	v_cndmask_b32_e64 v21, 0, v21, s[8:9]
	v_add_f32_e32 v33, v33, v21
	v_cndmask_b32_e32 v18, 0, v18, vcc
	v_add_f32_e32 v33, v33, v18
	v_cndmask_b32_e64 v19, 0, v19, s[0:1]
	v_add_f32_e32 v33, v33, v19
	ds_bpermute_b32 v36, v36, v33
	v_cmp_gt_u32_e32 vcc, 16, v44
	s_waitcnt lgkmcnt(0)
	v_add_f32_e32 v36, v33, v36
	ds_bpermute_b32 v37, v38, v36
	v_lshlrev_b32_e32 v33, 2, v51
	s_and_saveexec_b64 s[0:1], vcc
	s_cbranch_execz .LBB849_399
; %bb.398:
	s_waitcnt lgkmcnt(0)
	v_add_f32_e32 v36, v36, v37
	v_lshl_or_b32 v37, v50, 6, v33
	ds_write2st64_b32 v37, v32, v36 offset1:1
.LBB849_399:
	s_or_b64 exec, exec, s[0:1]
	s_waitcnt lgkmcnt(0)
	s_barrier
	ds_read2_b32 v[36:37], v33 offset1:16
	ds_read2_b32 v[38:39], v33 offset0:32 offset1:48
	ds_read2_b32 v[40:41], v33 offset0:64 offset1:80
	s_lshl_b32 s10, s47, 2
	s_waitcnt lgkmcnt(2)
	v_max3_f32 v32, v36, s40, v37
	s_waitcnt lgkmcnt(1)
	v_max3_f32 v32, v32, v38, v39
	v_sub_f32_e32 v36, v36, v32
	v_mul_f32_e32 v36, 0x3fb8aa3b, v36
	v_exp_f32_e32 v42, v36
	v_sub_f32_e32 v36, v37, v32
	v_mul_f32_e32 v36, 0x3fb8aa3b, v36
	v_exp_f32_e32 v43, v36
	;; [unrolled: 3-line block ×3, first 2 shown]
	ds_read2_b32 v[36:37], v33 offset0:96 offset1:112
	v_sub_f32_e32 v33, v39, v32
	v_mul_f32_e32 v33, 0x3fb8aa3b, v33
	v_exp_f32_e32 v39, v33
	s_waitcnt lgkmcnt(1)
	v_fma_f32 v33, v42, v40, 0
	v_fmac_f32_e32 v33, v43, v41
	s_waitcnt lgkmcnt(0)
	v_fmac_f32_e32 v33, v38, v36
	v_fmac_f32_e32 v33, v39, v37
	v_add_f32_e32 v36, 0x358637bd, v33
	v_div_scale_f32 v37, s[0:1], v36, v36, 1.0
	v_rcp_f32_e32 v40, v37
	s_movk_i32 s0, 0x7fff
	s_mov_b32 s1, 0x7060302
	v_fma_f32 v41, -v37, v40, 1.0
	v_fmac_f32_e32 v40, v41, v40
	v_div_scale_f32 v41, vcc, 1.0, v36, 1.0
	v_mul_f32_e32 v44, v41, v40
	v_fma_f32 v45, -v37, v44, v41
	v_fmac_f32_e32 v44, v45, v40
	v_fma_f32 v37, -v37, v44, v41
	v_div_fmas_f32 v37, v37, v40, v44
	v_cmp_eq_u32_e32 vcc, 1, v50
	v_div_fixup_f32 v36, v37, v36, 1.0
	v_cndmask_b32_e32 v37, v42, v43, vcc
	v_cmp_eq_u32_e32 vcc, 2, v50
	v_cndmask_b32_e32 v37, v37, v38, vcc
	v_cmp_eq_u32_e32 vcc, 3, v50
	v_cndmask_b32_e32 v37, v37, v39, vcc
	v_mul_f32_e32 v36, v37, v36
	v_pk_mul_f32 v[26:27], v[36:37], v[26:27] op_sel_hi:[0,1]
	v_pk_mul_f32 v[34:35], v[36:37], v[34:35] op_sel_hi:[0,1]
	v_bfe_u32 v37, v27, 16, 1
	v_bfe_u32 v38, v26, 16, 1
	v_add3_u32 v26, v26, v38, s0
	v_add3_u32 v27, v27, v37, s0
	v_perm_b32 v38, v27, v26, s1
	v_bfe_u32 v26, v35, 16, 1
	v_bfe_u32 v27, v34, 16, 1
	v_add3_u32 v27, v34, v27, s0
	v_add3_u32 v26, v35, v26, s0
	v_perm_b32 v39, v26, v27, s1
	v_lshlrev_b32_e32 v26, 3, v49
	v_lshlrev_b32_e32 v27, 5, v51
	;; [unrolled: 1-line block ×3, first 2 shown]
	v_pk_mul_f32 v[28:29], v[36:37], v[28:29] op_sel_hi:[0,1]
	v_or3_b32 v26, v34, v27, v26
	v_bfe_u32 v34, v29, 16, 1
	v_bfe_u32 v35, v28, 16, 1
	v_pk_mul_f32 v[30:31], v[36:37], v[30:31] op_sel_hi:[0,1]
	v_add3_u32 v28, v28, v35, s0
	v_add3_u32 v29, v29, v34, s0
	v_perm_b32 v28, v29, v28, s1
	v_bfe_u32 v29, v31, 16, 1
	v_bfe_u32 v34, v30, 16, 1
	v_add3_u32 v30, v30, v34, s0
	v_add3_u32 v29, v31, v29, s0
	v_perm_b32 v29, v29, v30, s1
	v_pk_mul_f32 v[24:25], v[36:37], v[24:25] op_sel_hi:[0,1]
	s_barrier
	ds_write2st64_b64 v26, v[38:39], v[28:29] offset1:1
	v_bfe_u32 v28, v25, 16, 1
	v_bfe_u32 v29, v24, 16, 1
	v_pk_mul_f32 v[22:23], v[36:37], v[22:23] op_sel_hi:[0,1]
	v_add3_u32 v24, v24, v29, s0
	v_add3_u32 v25, v25, v28, s0
	v_perm_b32 v24, v25, v24, s1
	v_bfe_u32 v25, v23, 16, 1
	v_bfe_u32 v28, v22, 16, 1
	v_add3_u32 v22, v22, v28, s0
	v_add3_u32 v23, v23, v25, s0
	v_pk_mul_f32 v[20:21], v[36:37], v[20:21] op_sel_hi:[0,1]
	v_perm_b32 v25, v23, v22, s1
	v_bfe_u32 v22, v21, 16, 1
	v_bfe_u32 v23, v20, 16, 1
	v_pk_mul_f32 v[18:19], v[36:37], v[18:19] op_sel_hi:[0,1]
	v_add3_u32 v20, v20, v23, s0
	v_add3_u32 v21, v21, v22, s0
	v_perm_b32 v20, v21, v20, s1
	v_bfe_u32 v21, v19, 16, 1
	v_bfe_u32 v22, v18, 16, 1
	v_add3_u32 v18, v18, v22, s0
	v_add3_u32 v19, v19, v21, s0
	v_perm_b32 v21, v19, v18, s1
	v_cmp_gt_u32_e32 vcc, 4, v0
	ds_write2st64_b64 v26, v[24:25], v[20:21] offset0:2 offset1:3
	s_and_saveexec_b64 s[0:1], vcc
	s_cbranch_execz .LBB849_401
; %bb.400:
	v_or_b32_e32 v18, s23, v0
	v_mov_b32_e32 v19, 0
	v_mov_b32_e32 v20, s10
	v_mad_u64_u32 v[20:21], s[2:3], s6, v20, v[18:19]
	v_mov_b32_e32 v18, s22
	s_load_dwordx4 s[12:15], s[4:5], 0x58
	s_mul_i32 s7, s7, s10
	v_mad_u64_u32 v[18:19], s[2:3], v20, s46, v[18:19]
	v_add_u32_e32 v21, s7, v21
	v_mov_b32_e32 v20, v19
	v_mad_u64_u32 v[20:21], s[2:3], v21, s46, v[20:21]
	v_mov_b32_e32 v19, v20
	v_lshlrev_b64 v[18:19], 2, v[18:19]
	s_waitcnt lgkmcnt(0)
	v_mov_b32_e32 v21, s15
	v_add_co_u32_e32 v20, vcc, s14, v18
	v_addc_co_u32_e32 v21, vcc, v21, v19, vcc
	global_store_dword v[20:21], v32, off
	v_mov_b32_e32 v20, s13
	v_add_co_u32_e32 v18, vcc, s12, v18
	v_addc_co_u32_e32 v19, vcc, v20, v19, vcc
	global_store_dword v[18:19], v33, off
.LBB849_401:
	s_or_b64 exec, exec, s[0:1]
	v_mov_b32_e32 v19, 0
	s_waitcnt vmcnt(3)
	v_cmp_ne_u16_sdwa s[2:3], v14, v19 src0_sel:BYTE_0 src1_sel:DWORD
	v_mov_b32_e32 v20, 0
	s_waitcnt lgkmcnt(0)
	s_barrier
	s_and_saveexec_b64 s[0:1], s[2:3]
	s_cbranch_execz .LBB849_407
; %bb.402:
	s_movk_i32 s2, 0x80
	v_cmp_ne_u16_sdwa s[8:9], v14, s2 src0_sel:BYTE_0 src1_sel:DWORD
	v_mov_b32_e32 v20, 0xffff8000
	s_and_saveexec_b64 s[2:3], s[8:9]
	s_cbranch_execz .LBB849_406
; %bb.403:
	s_movk_i32 s7, 0x7f
	v_and_b32_e32 v18, 0x7f, v14
	v_cmp_ne_u32_e32 vcc, s7, v18
	v_mov_b32_e32 v20, 0x7f80
	s_and_saveexec_b64 s[8:9], vcc
	s_cbranch_execz .LBB849_405
; %bb.404:
	v_and_b32_e32 v22, 7, v14
	v_ffbh_u32_e32 v20, v22
	v_min_u32_e32 v24, 32, v20
	v_subrev_u32_e32 v20, 28, v24
	v_lshlrev_b64 v[20:21], v20, v[14:15]
	v_lshrrev_b32_e32 v23, 3, v18
	v_sub_u32_e32 v21, 29, v24
	v_and_b32_e32 v20, 7, v20
	v_cmp_gt_u32_e32 vcc, 8, v18
	v_cndmask_b32_e32 v18, v23, v21, vcc
	v_cndmask_b32_e32 v20, v22, v20, vcc
	v_lshlrev_b32_e32 v21, 24, v14
	v_bfrev_b32_e32 v22, 60
	v_lshlrev_b32_e32 v20, 20, v20
	v_and_b32_e32 v21, 0x80000000, v21
	v_lshl_add_u32 v18, v18, 23, v22
	v_or3_b32 v18, v21, v18, v20
	v_lshrrev_b32_e32 v20, 16, v18
.LBB849_405:
	s_or_b64 exec, exec, s[8:9]
.LBB849_406:
	s_or_b64 exec, exec, s[2:3]
.LBB849_407:
	s_or_b64 exec, exec, s[0:1]
	v_lshrrev_b16_e32 v18, 8, v14
	v_cmp_ne_u16_e32 vcc, 0, v18
	s_and_saveexec_b64 s[0:1], vcc
	s_cbranch_execz .LBB849_413
; %bb.408:
	s_movk_i32 s2, 0x80
	v_cmp_ne_u16_e32 vcc, s2, v18
	v_mov_b32_e32 v19, 0xffff8000
	s_and_saveexec_b64 s[2:3], vcc
	s_cbranch_execz .LBB849_412
; %bb.409:
	s_movk_i32 s7, 0x7f
	v_and_b32_e32 v21, 0x7f, v18
	v_cmp_ne_u32_e32 vcc, s7, v21
	v_mov_b32_e32 v19, 0x7f80
	s_and_saveexec_b64 s[8:9], vcc
	s_cbranch_execz .LBB849_411
; %bb.410:
	v_and_b32_e32 v22, 7, v18
	v_ffbh_u32_e32 v19, v22
	v_min_u32_e32 v24, 32, v19
	v_subrev_u32_e32 v19, 28, v24
	v_lshlrev_b64 v[18:19], v19, v[18:19]
	v_lshrrev_b32_e32 v23, 3, v21
	v_sub_u32_e32 v19, 29, v24
	v_and_b32_e32 v18, 7, v18
	v_cmp_gt_u32_e32 vcc, 8, v21
	v_cndmask_b32_e32 v19, v23, v19, vcc
	v_cndmask_b32_e32 v18, v22, v18, vcc
	v_lshlrev_b32_e32 v21, 16, v14
	v_bfrev_b32_e32 v22, 60
	v_lshlrev_b32_e32 v18, 20, v18
	v_and_b32_e32 v21, 0x80000000, v21
	v_lshl_add_u32 v19, v19, 23, v22
	v_or3_b32 v18, v21, v19, v18
	v_lshrrev_b32_e32 v19, 16, v18
.LBB849_411:
	s_or_b64 exec, exec, s[8:9]
.LBB849_412:
	s_or_b64 exec, exec, s[2:3]
.LBB849_413:
	s_or_b64 exec, exec, s[0:1]
	s_movk_i32 s0, 0xff
	v_and_b32_sdwa v23, v14, s0 dst_sel:DWORD dst_unused:UNUSED_PAD src0_sel:WORD_1 src1_sel:DWORD
	v_lshrrev_b32_e32 v18, 16, v14
	v_cmp_ne_u16_e32 vcc, 0, v23
	v_mov_b32_e32 v21, 0
	v_mov_b32_e32 v22, 0
	s_and_saveexec_b64 s[0:1], vcc
	s_cbranch_execz .LBB849_419
; %bb.414:
	s_movk_i32 s2, 0x80
	v_cmp_ne_u16_e32 vcc, s2, v23
	v_mov_b32_e32 v22, 0xffff8000
	s_and_saveexec_b64 s[2:3], vcc
	s_cbranch_execz .LBB849_418
; %bb.415:
	v_bfe_u32 v23, v14, 16, 7
	s_movk_i32 s7, 0x7f
	v_cmp_ne_u32_e32 vcc, s7, v23
	v_mov_b32_e32 v22, 0x7f80
	s_and_saveexec_b64 s[8:9], vcc
	s_cbranch_execz .LBB849_417
; %bb.416:
	v_and_b32_e32 v22, 7, v18
	v_ffbh_u32_e32 v24, v22
	v_min_u32_e32 v29, 32, v24
	v_subrev_u32_e32 v24, 28, v29
	v_lshlrev_b64 v[24:25], v24, v[18:19]
	v_lshrrev_b32_e32 v28, 3, v23
	v_sub_u32_e32 v18, 29, v29
	v_and_b32_e32 v24, 7, v24
	v_cmp_gt_u32_e32 vcc, 8, v23
	v_mov_b32_e32 v23, 24
	v_cndmask_b32_e32 v18, v28, v18, vcc
	v_cndmask_b32_e32 v22, v22, v24, vcc
	v_lshlrev_b32_sdwa v23, v23, v14 dst_sel:DWORD dst_unused:UNUSED_PAD src0_sel:DWORD src1_sel:WORD_1
	v_bfrev_b32_e32 v24, 60
	v_lshlrev_b32_e32 v22, 20, v22
	v_and_b32_e32 v23, 0x80000000, v23
	v_lshl_add_u32 v18, v18, 23, v24
	v_or3_b32 v18, v23, v18, v22
	v_lshrrev_b32_e32 v22, 16, v18
.LBB849_417:
	s_or_b64 exec, exec, s[8:9]
.LBB849_418:
	s_or_b64 exec, exec, s[2:3]
.LBB849_419:
	s_or_b64 exec, exec, s[0:1]
	s_mov_b32 s0, 0xffffff
	v_cmp_lt_u32_e32 vcc, s0, v14
	s_and_saveexec_b64 s[0:1], vcc
	s_cbranch_execz .LBB849_425
; %bb.420:
	v_lshrrev_b32_e32 v18, 24, v14
	s_movk_i32 s2, 0x80
	v_cmp_ne_u32_e32 vcc, s2, v18
	v_mov_b32_e32 v21, 0xffff8000
	s_and_saveexec_b64 s[2:3], vcc
	s_cbranch_execz .LBB849_424
; %bb.421:
	v_bfe_u32 v14, v14, 24, 7
	s_movk_i32 s7, 0x7f
	v_cmp_ne_u32_e32 vcc, s7, v14
	v_mov_b32_e32 v21, 0x7f80
	s_and_saveexec_b64 s[8:9], vcc
	s_cbranch_execz .LBB849_423
; %bb.422:
	v_and_b32_e32 v21, 7, v18
	v_ffbh_u32_e32 v24, v21
	v_min_u32_e32 v28, 32, v24
	v_subrev_u32_e32 v24, 28, v28
	v_lshlrev_b64 v[24:25], v24, v[18:19]
	v_lshrrev_b32_e32 v23, 3, v14
	v_sub_u32_e32 v25, 29, v28
	v_and_b32_e32 v24, 7, v24
	v_cmp_gt_u32_e32 vcc, 8, v14
	v_cndmask_b32_e32 v14, v23, v25, vcc
	v_cndmask_b32_e32 v21, v21, v24, vcc
	v_lshlrev_b32_e32 v18, 24, v18
	v_bfrev_b32_e32 v23, 60
	v_lshlrev_b32_e32 v21, 20, v21
	v_and_b32_e32 v18, 0x80000000, v18
	v_lshl_add_u32 v14, v14, 23, v23
	v_or3_b32 v14, v18, v14, v21
	v_lshrrev_b32_e32 v21, 16, v14
.LBB849_423:
	s_or_b64 exec, exec, s[8:9]
.LBB849_424:
	s_or_b64 exec, exec, s[2:3]
.LBB849_425:
	s_or_b64 exec, exec, s[0:1]
	v_mov_b32_e32 v18, 0
	v_cmp_ne_u16_sdwa s[2:3], v15, v18 src0_sel:BYTE_0 src1_sel:DWORD
	v_mov_b32_e32 v23, 0
	s_and_saveexec_b64 s[0:1], s[2:3]
	s_cbranch_execz .LBB849_431
; %bb.426:
	s_movk_i32 s2, 0x80
	v_cmp_ne_u16_sdwa s[8:9], v15, s2 src0_sel:BYTE_0 src1_sel:DWORD
	v_mov_b32_e32 v23, 0xffff8000
	s_and_saveexec_b64 s[2:3], s[8:9]
	s_cbranch_execz .LBB849_430
; %bb.427:
	s_movk_i32 s7, 0x7f
	v_and_b32_e32 v14, 0x7f, v15
	v_cmp_ne_u32_e32 vcc, s7, v14
	v_mov_b32_e32 v23, 0x7f80
	s_and_saveexec_b64 s[8:9], vcc
	s_cbranch_execz .LBB849_429
; %bb.428:
	v_and_b32_e32 v23, 7, v15
	v_ffbh_u32_e32 v25, v23
	v_min_u32_e32 v29, 32, v25
	v_mov_b32_e32 v24, v15
	v_subrev_u32_e32 v25, 28, v29
	v_lshlrev_b64 v[24:25], v25, v[24:25]
	v_lshrrev_b32_e32 v28, 3, v14
	v_sub_u32_e32 v25, 29, v29
	v_and_b32_e32 v24, 7, v24
	v_cmp_gt_u32_e32 vcc, 8, v14
	v_cndmask_b32_e32 v14, v28, v25, vcc
	v_cndmask_b32_e32 v23, v23, v24, vcc
	v_lshlrev_b32_e32 v24, 24, v15
	v_bfrev_b32_e32 v25, 60
	v_lshlrev_b32_e32 v23, 20, v23
	v_and_b32_e32 v24, 0x80000000, v24
	v_lshl_add_u32 v14, v14, 23, v25
	v_or3_b32 v14, v24, v14, v23
	v_lshrrev_b32_e32 v23, 16, v14
.LBB849_429:
	s_or_b64 exec, exec, s[8:9]
.LBB849_430:
	s_or_b64 exec, exec, s[2:3]
.LBB849_431:
	s_or_b64 exec, exec, s[0:1]
	v_lshrrev_b16_e32 v14, 8, v15
	v_cmp_ne_u16_e32 vcc, 0, v14
	s_and_saveexec_b64 s[0:1], vcc
	s_cbranch_execz .LBB849_437
; %bb.432:
	s_movk_i32 s2, 0x80
	v_cmp_ne_u16_e32 vcc, s2, v14
	v_mov_b32_e32 v18, 0xffff8000
	s_and_saveexec_b64 s[2:3], vcc
	s_cbranch_execz .LBB849_436
; %bb.433:
	s_movk_i32 s7, 0x7f
	v_and_b32_e32 v24, 0x7f, v14
	v_cmp_ne_u32_e32 vcc, s7, v24
	v_mov_b32_e32 v18, 0x7f80
	s_and_saveexec_b64 s[8:9], vcc
	s_cbranch_execz .LBB849_435
; %bb.434:
	v_and_b32_e32 v18, 7, v14
	v_ffbh_u32_e32 v28, v18
	v_min_u32_e32 v30, 32, v28
	v_subrev_u32_e32 v28, 28, v30
	v_lshlrev_b64 v[28:29], v28, v[14:15]
	v_lshrrev_b32_e32 v25, 3, v24
	v_sub_u32_e32 v14, 29, v30
	v_and_b32_e32 v28, 7, v28
	v_cmp_gt_u32_e32 vcc, 8, v24
	v_cndmask_b32_e32 v14, v25, v14, vcc
	v_cndmask_b32_e32 v18, v18, v28, vcc
	v_lshlrev_b32_e32 v24, 16, v15
	v_bfrev_b32_e32 v25, 60
	v_lshlrev_b32_e32 v18, 20, v18
	v_and_b32_e32 v24, 0x80000000, v24
	v_lshl_add_u32 v14, v14, 23, v25
	v_or3_b32 v14, v24, v14, v18
	v_lshrrev_b32_e32 v18, 16, v14
.LBB849_435:
	s_or_b64 exec, exec, s[8:9]
.LBB849_436:
	s_or_b64 exec, exec, s[2:3]
.LBB849_437:
	s_or_b64 exec, exec, s[0:1]
	s_movk_i32 s0, 0xff
	v_and_b32_sdwa v28, v15, s0 dst_sel:DWORD dst_unused:UNUSED_PAD src0_sel:WORD_1 src1_sel:DWORD
	v_lshrrev_b32_e32 v14, 16, v15
	v_cmp_ne_u16_e32 vcc, 0, v28
	v_mov_b32_e32 v24, 0
	v_mov_b32_e32 v25, 0
	s_and_saveexec_b64 s[0:1], vcc
	s_cbranch_execz .LBB849_443
; %bb.438:
	s_movk_i32 s2, 0x80
	v_cmp_ne_u16_e32 vcc, s2, v28
	v_mov_b32_e32 v25, 0xffff8000
	s_and_saveexec_b64 s[2:3], vcc
	s_cbranch_execz .LBB849_442
; %bb.439:
	v_bfe_u32 v28, v15, 16, 7
	s_movk_i32 s7, 0x7f
	v_cmp_ne_u32_e32 vcc, s7, v28
	v_mov_b32_e32 v25, 0x7f80
	s_and_saveexec_b64 s[8:9], vcc
	s_cbranch_execz .LBB849_441
; %bb.440:
	v_and_b32_e32 v25, 7, v14
	v_ffbh_u32_e32 v30, v25
	v_min_u32_e32 v32, 32, v30
	v_subrev_u32_e32 v30, 28, v32
	v_lshlrev_b64 v[30:31], v30, v[14:15]
	v_lshrrev_b32_e32 v29, 3, v28
	v_sub_u32_e32 v14, 29, v32
	v_and_b32_e32 v30, 7, v30
	v_cmp_gt_u32_e32 vcc, 8, v28
	v_mov_b32_e32 v28, 24
	v_cndmask_b32_e32 v14, v29, v14, vcc
	v_cndmask_b32_e32 v25, v25, v30, vcc
	v_lshlrev_b32_sdwa v28, v28, v15 dst_sel:DWORD dst_unused:UNUSED_PAD src0_sel:DWORD src1_sel:WORD_1
	v_bfrev_b32_e32 v29, 60
	v_lshlrev_b32_e32 v25, 20, v25
	v_and_b32_e32 v28, 0x80000000, v28
	v_lshl_add_u32 v14, v14, 23, v29
	v_or3_b32 v14, v28, v14, v25
	v_lshrrev_b32_e32 v25, 16, v14
.LBB849_441:
	s_or_b64 exec, exec, s[8:9]
.LBB849_442:
	s_or_b64 exec, exec, s[2:3]
.LBB849_443:
	s_or_b64 exec, exec, s[0:1]
	s_mov_b32 s0, 0xffffff
	v_cmp_lt_u32_e32 vcc, s0, v15
	s_and_saveexec_b64 s[0:1], vcc
	s_cbranch_execz .LBB849_449
; %bb.444:
	v_lshrrev_b32_e32 v14, 24, v15
	s_movk_i32 s2, 0x80
	v_cmp_ne_u32_e32 vcc, s2, v14
	v_mov_b32_e32 v24, 0xffff8000
	s_and_saveexec_b64 s[2:3], vcc
	s_cbranch_execz .LBB849_448
; %bb.445:
	v_bfe_u32 v15, v15, 24, 7
	s_movk_i32 s7, 0x7f
	v_cmp_ne_u32_e32 vcc, s7, v15
	v_mov_b32_e32 v24, 0x7f80
	s_and_saveexec_b64 s[8:9], vcc
	s_cbranch_execz .LBB849_447
; %bb.446:
	v_and_b32_e32 v24, 7, v14
	v_ffbh_u32_e32 v28, v24
	v_min_u32_e32 v31, 32, v28
	v_subrev_u32_e32 v28, 28, v31
	v_lshlrev_b64 v[28:29], v28, v[14:15]
	v_lshrrev_b32_e32 v30, 3, v15
	v_sub_u32_e32 v29, 29, v31
	v_and_b32_e32 v28, 7, v28
	v_cmp_gt_u32_e32 vcc, 8, v15
	v_cndmask_b32_e32 v15, v30, v29, vcc
	v_cndmask_b32_e32 v24, v24, v28, vcc
	v_lshlrev_b32_e32 v14, 24, v14
	v_bfrev_b32_e32 v28, 60
	v_lshlrev_b32_e32 v24, 20, v24
	v_and_b32_e32 v14, 0x80000000, v14
	v_lshl_add_u32 v15, v15, 23, v28
	v_or3_b32 v14, v14, v15, v24
	v_lshrrev_b32_e32 v24, 16, v14
.LBB849_447:
	s_or_b64 exec, exec, s[8:9]
.LBB849_448:
	s_or_b64 exec, exec, s[2:3]
.LBB849_449:
	s_or_b64 exec, exec, s[0:1]
	s_mov_b32 s0, 0x5040100
	v_perm_b32 v15, v21, v22, s0
	v_lshl_or_b32 v22, v49, 9, v27
	v_perm_b32 v14, v19, v20, s0
	ds_read_b128 v[28:31], v22
	v_perm_b32 v19, v24, v25, s0
	v_perm_b32 v18, v18, v23, s0
	s_waitcnt lgkmcnt(0)
	v_mfma_f32_16x16x16bf16_1k v[32:35], v[14:15], v[28:29], 0
	v_mov_b32_e32 v15, 0
	v_cmp_ne_u16_sdwa s[2:3], v16, v15 src0_sel:BYTE_0 src1_sel:DWORD
	v_mov_b32_e32 v23, 0
	v_mfma_f32_16x16x16bf16_1k v[18:21], v[18:19], v[30:31], v[32:35]
	s_and_saveexec_b64 s[0:1], s[2:3]
	s_cbranch_execz .LBB849_455
; %bb.450:
	s_movk_i32 s2, 0x80
	v_cmp_ne_u16_sdwa s[8:9], v16, s2 src0_sel:BYTE_0 src1_sel:DWORD
	v_mov_b32_e32 v23, 0xffff8000
	s_and_saveexec_b64 s[2:3], s[8:9]
	s_cbranch_execz .LBB849_454
; %bb.451:
	s_movk_i32 s7, 0x7f
	v_and_b32_e32 v14, 0x7f, v16
	v_cmp_ne_u32_e32 vcc, s7, v14
	v_mov_b32_e32 v23, 0x7f80
	s_and_saveexec_b64 s[8:9], vcc
	s_cbranch_execz .LBB849_453
; %bb.452:
	v_and_b32_e32 v23, 7, v16
	v_ffbh_u32_e32 v24, v23
	v_min_u32_e32 v28, 32, v24
	v_subrev_u32_e32 v24, 28, v28
	v_lshlrev_b64 v[24:25], v24, v[16:17]
	v_lshrrev_b32_e32 v27, 3, v14
	v_sub_u32_e32 v25, 29, v28
	v_and_b32_e32 v24, 7, v24
	v_cmp_gt_u32_e32 vcc, 8, v14
	v_cndmask_b32_e32 v14, v27, v25, vcc
	v_cndmask_b32_e32 v23, v23, v24, vcc
	v_lshlrev_b32_e32 v24, 24, v16
	v_bfrev_b32_e32 v25, 60
	v_lshlrev_b32_e32 v23, 20, v23
	v_and_b32_e32 v24, 0x80000000, v24
	v_lshl_add_u32 v14, v14, 23, v25
	v_or3_b32 v14, v24, v14, v23
	v_lshrrev_b32_e32 v23, 16, v14
.LBB849_453:
	s_or_b64 exec, exec, s[8:9]
.LBB849_454:
	s_or_b64 exec, exec, s[2:3]
.LBB849_455:
	s_or_b64 exec, exec, s[0:1]
	v_lshrrev_b16_e32 v14, 8, v16
	v_cmp_ne_u16_e32 vcc, 0, v14
	s_and_saveexec_b64 s[0:1], vcc
	s_cbranch_execz .LBB849_461
; %bb.456:
	s_movk_i32 s2, 0x80
	v_cmp_ne_u16_e32 vcc, s2, v14
	v_mov_b32_e32 v15, 0xffff8000
	s_and_saveexec_b64 s[2:3], vcc
	s_cbranch_execz .LBB849_460
; %bb.457:
	s_movk_i32 s7, 0x7f
	v_and_b32_e32 v24, 0x7f, v14
	v_cmp_ne_u32_e32 vcc, s7, v24
	v_mov_b32_e32 v15, 0x7f80
	s_and_saveexec_b64 s[8:9], vcc
	s_cbranch_execz .LBB849_459
; %bb.458:
	v_and_b32_e32 v25, 7, v14
	v_ffbh_u32_e32 v15, v25
	v_min_u32_e32 v28, 32, v15
	v_subrev_u32_e32 v15, 28, v28
	v_lshlrev_b64 v[14:15], v15, v[14:15]
	v_lshrrev_b32_e32 v27, 3, v24
	v_sub_u32_e32 v15, 29, v28
	v_and_b32_e32 v14, 7, v14
	v_cmp_gt_u32_e32 vcc, 8, v24
	v_cndmask_b32_e32 v15, v27, v15, vcc
	v_cndmask_b32_e32 v14, v25, v14, vcc
	v_lshlrev_b32_e32 v24, 16, v16
	v_bfrev_b32_e32 v25, 60
	v_lshlrev_b32_e32 v14, 20, v14
	v_and_b32_e32 v24, 0x80000000, v24
	v_lshl_add_u32 v15, v15, 23, v25
	v_or3_b32 v14, v24, v15, v14
	v_lshrrev_b32_e32 v15, 16, v14
.LBB849_459:
	s_or_b64 exec, exec, s[8:9]
.LBB849_460:
	s_or_b64 exec, exec, s[2:3]
.LBB849_461:
	s_or_b64 exec, exec, s[0:1]
	s_movk_i32 s0, 0xff
	v_and_b32_sdwa v27, v16, s0 dst_sel:DWORD dst_unused:UNUSED_PAD src0_sel:WORD_1 src1_sel:DWORD
	v_lshrrev_b32_e32 v14, 16, v16
	v_cmp_ne_u16_e32 vcc, 0, v27
	v_mov_b32_e32 v24, 0
	v_mov_b32_e32 v25, 0
	s_and_saveexec_b64 s[0:1], vcc
	s_cbranch_execz .LBB849_467
; %bb.462:
	s_movk_i32 s2, 0x80
	v_cmp_ne_u16_e32 vcc, s2, v27
	v_mov_b32_e32 v25, 0xffff8000
	s_and_saveexec_b64 s[2:3], vcc
	s_cbranch_execz .LBB849_466
; %bb.463:
	v_bfe_u32 v27, v16, 16, 7
	s_movk_i32 s7, 0x7f
	v_cmp_ne_u32_e32 vcc, s7, v27
	v_mov_b32_e32 v25, 0x7f80
	s_and_saveexec_b64 s[8:9], vcc
	s_cbranch_execz .LBB849_465
; %bb.464:
	v_and_b32_e32 v25, 7, v14
	v_ffbh_u32_e32 v28, v25
	v_min_u32_e32 v31, 32, v28
	v_subrev_u32_e32 v28, 28, v31
	v_lshlrev_b64 v[28:29], v28, v[14:15]
	v_lshrrev_b32_e32 v30, 3, v27
	v_sub_u32_e32 v14, 29, v31
	v_and_b32_e32 v28, 7, v28
	v_cmp_gt_u32_e32 vcc, 8, v27
	v_mov_b32_e32 v27, 24
	v_cndmask_b32_e32 v14, v30, v14, vcc
	v_cndmask_b32_e32 v25, v25, v28, vcc
	v_lshlrev_b32_sdwa v27, v27, v16 dst_sel:DWORD dst_unused:UNUSED_PAD src0_sel:DWORD src1_sel:WORD_1
	v_bfrev_b32_e32 v28, 60
	v_lshlrev_b32_e32 v25, 20, v25
	v_and_b32_e32 v27, 0x80000000, v27
	v_lshl_add_u32 v14, v14, 23, v28
	v_or3_b32 v14, v27, v14, v25
	v_lshrrev_b32_e32 v25, 16, v14
.LBB849_465:
	s_or_b64 exec, exec, s[8:9]
.LBB849_466:
	s_or_b64 exec, exec, s[2:3]
.LBB849_467:
	s_or_b64 exec, exec, s[0:1]
	s_mov_b32 s0, 0xffffff
	v_cmp_lt_u32_e32 vcc, s0, v16
	s_and_saveexec_b64 s[0:1], vcc
	s_cbranch_execz .LBB849_473
; %bb.468:
	v_lshrrev_b32_e32 v14, 24, v16
	s_movk_i32 s2, 0x80
	v_cmp_ne_u32_e32 vcc, s2, v14
	v_mov_b32_e32 v24, 0xffff8000
	s_and_saveexec_b64 s[2:3], vcc
	s_cbranch_execz .LBB849_472
; %bb.469:
	v_bfe_u32 v16, v16, 24, 7
	s_movk_i32 s7, 0x7f
	v_cmp_ne_u32_e32 vcc, s7, v16
	v_mov_b32_e32 v24, 0x7f80
	s_and_saveexec_b64 s[8:9], vcc
	s_cbranch_execz .LBB849_471
; %bb.470:
	v_and_b32_e32 v24, 7, v14
	v_ffbh_u32_e32 v28, v24
	v_min_u32_e32 v30, 32, v28
	v_subrev_u32_e32 v28, 28, v30
	v_lshlrev_b64 v[28:29], v28, v[14:15]
	v_lshrrev_b32_e32 v27, 3, v16
	v_sub_u32_e32 v29, 29, v30
	v_and_b32_e32 v28, 7, v28
	v_cmp_gt_u32_e32 vcc, 8, v16
	v_cndmask_b32_e32 v16, v27, v29, vcc
	v_cndmask_b32_e32 v24, v24, v28, vcc
	v_lshlrev_b32_e32 v14, 24, v14
	v_bfrev_b32_e32 v27, 60
	v_lshlrev_b32_e32 v24, 20, v24
	v_and_b32_e32 v14, 0x80000000, v14
	v_lshl_add_u32 v16, v16, 23, v27
	v_or3_b32 v14, v14, v16, v24
	v_lshrrev_b32_e32 v24, 16, v14
.LBB849_471:
	s_or_b64 exec, exec, s[8:9]
.LBB849_472:
	s_or_b64 exec, exec, s[2:3]
.LBB849_473:
	s_or_b64 exec, exec, s[0:1]
	v_mov_b32_e32 v16, 0
	v_cmp_ne_u16_sdwa s[2:3], v17, v16 src0_sel:BYTE_0 src1_sel:DWORD
	v_mov_b32_e32 v27, 0
	s_and_saveexec_b64 s[0:1], s[2:3]
	s_cbranch_execz .LBB849_479
; %bb.474:
	s_movk_i32 s2, 0x80
	v_cmp_ne_u16_sdwa s[8:9], v17, s2 src0_sel:BYTE_0 src1_sel:DWORD
	v_mov_b32_e32 v27, 0xffff8000
	s_and_saveexec_b64 s[2:3], s[8:9]
	s_cbranch_execz .LBB849_478
; %bb.475:
	s_movk_i32 s7, 0x7f
	v_and_b32_e32 v14, 0x7f, v17
	v_cmp_ne_u32_e32 vcc, s7, v14
	v_mov_b32_e32 v27, 0x7f80
	s_and_saveexec_b64 s[8:9], vcc
	s_cbranch_execz .LBB849_477
; %bb.476:
	v_and_b32_e32 v27, 7, v17
	v_ffbh_u32_e32 v29, v27
	v_min_u32_e32 v31, 32, v29
	v_mov_b32_e32 v28, v17
	v_subrev_u32_e32 v29, 28, v31
	v_lshlrev_b64 v[28:29], v29, v[28:29]
	v_lshrrev_b32_e32 v30, 3, v14
	v_sub_u32_e32 v29, 29, v31
	v_and_b32_e32 v28, 7, v28
	v_cmp_gt_u32_e32 vcc, 8, v14
	v_cndmask_b32_e32 v14, v30, v29, vcc
	v_cndmask_b32_e32 v27, v27, v28, vcc
	v_lshlrev_b32_e32 v28, 24, v17
	v_bfrev_b32_e32 v29, 60
	v_lshlrev_b32_e32 v27, 20, v27
	v_and_b32_e32 v28, 0x80000000, v28
	v_lshl_add_u32 v14, v14, 23, v29
	v_or3_b32 v14, v28, v14, v27
	v_lshrrev_b32_e32 v27, 16, v14
.LBB849_477:
	s_or_b64 exec, exec, s[8:9]
.LBB849_478:
	s_or_b64 exec, exec, s[2:3]
.LBB849_479:
	s_or_b64 exec, exec, s[0:1]
	v_lshrrev_b16_e32 v14, 8, v17
	v_cmp_ne_u16_e32 vcc, 0, v14
	s_and_saveexec_b64 s[0:1], vcc
	s_cbranch_execz .LBB849_485
; %bb.480:
	s_movk_i32 s2, 0x80
	v_cmp_ne_u16_e32 vcc, s2, v14
	v_mov_b32_e32 v16, 0xffff8000
	s_and_saveexec_b64 s[2:3], vcc
	s_cbranch_execz .LBB849_484
; %bb.481:
	s_movk_i32 s7, 0x7f
	v_and_b32_e32 v28, 0x7f, v14
	v_cmp_ne_u32_e32 vcc, s7, v28
	v_mov_b32_e32 v16, 0x7f80
	s_and_saveexec_b64 s[8:9], vcc
	s_cbranch_execz .LBB849_483
; %bb.482:
	v_and_b32_e32 v16, 7, v14
	v_ffbh_u32_e32 v30, v16
	v_min_u32_e32 v32, 32, v30
	v_subrev_u32_e32 v30, 28, v32
	v_lshlrev_b64 v[30:31], v30, v[14:15]
	v_lshrrev_b32_e32 v29, 3, v28
	v_sub_u32_e32 v14, 29, v32
	v_and_b32_e32 v30, 7, v30
	v_cmp_gt_u32_e32 vcc, 8, v28
	v_cndmask_b32_e32 v14, v29, v14, vcc
	v_cndmask_b32_e32 v16, v16, v30, vcc
	v_lshlrev_b32_e32 v28, 16, v17
	v_bfrev_b32_e32 v29, 60
	v_lshlrev_b32_e32 v16, 20, v16
	v_and_b32_e32 v28, 0x80000000, v28
	v_lshl_add_u32 v14, v14, 23, v29
	v_or3_b32 v14, v28, v14, v16
	v_lshrrev_b32_e32 v16, 16, v14
.LBB849_483:
	s_or_b64 exec, exec, s[8:9]
.LBB849_484:
	s_or_b64 exec, exec, s[2:3]
.LBB849_485:
	s_or_b64 exec, exec, s[0:1]
	s_movk_i32 s0, 0xff
	v_and_b32_sdwa v30, v17, s0 dst_sel:DWORD dst_unused:UNUSED_PAD src0_sel:WORD_1 src1_sel:DWORD
	v_lshrrev_b32_e32 v14, 16, v17
	v_cmp_ne_u16_e32 vcc, 0, v30
	v_mov_b32_e32 v28, 0
	v_mov_b32_e32 v29, 0
	s_and_saveexec_b64 s[0:1], vcc
	s_cbranch_execz .LBB849_491
; %bb.486:
	s_movk_i32 s2, 0x80
	v_cmp_ne_u16_e32 vcc, s2, v30
	v_mov_b32_e32 v29, 0xffff8000
	s_and_saveexec_b64 s[2:3], vcc
	s_cbranch_execz .LBB849_490
; %bb.487:
	v_bfe_u32 v30, v17, 16, 7
	s_movk_i32 s7, 0x7f
	v_cmp_ne_u32_e32 vcc, s7, v30
	v_mov_b32_e32 v29, 0x7f80
	s_and_saveexec_b64 s[8:9], vcc
	s_cbranch_execz .LBB849_489
; %bb.488:
	v_and_b32_e32 v29, 7, v14
	v_ffbh_u32_e32 v32, v29
	v_min_u32_e32 v34, 32, v32
	v_subrev_u32_e32 v32, 28, v34
	v_lshlrev_b64 v[32:33], v32, v[14:15]
	v_lshrrev_b32_e32 v31, 3, v30
	v_sub_u32_e32 v14, 29, v34
	v_and_b32_e32 v32, 7, v32
	v_cmp_gt_u32_e32 vcc, 8, v30
	v_mov_b32_e32 v30, 24
	v_cndmask_b32_e32 v14, v31, v14, vcc
	v_cndmask_b32_e32 v29, v29, v32, vcc
	v_lshlrev_b32_sdwa v30, v30, v17 dst_sel:DWORD dst_unused:UNUSED_PAD src0_sel:DWORD src1_sel:WORD_1
	v_bfrev_b32_e32 v31, 60
	v_lshlrev_b32_e32 v29, 20, v29
	v_and_b32_e32 v30, 0x80000000, v30
	v_lshl_add_u32 v14, v14, 23, v31
	v_or3_b32 v14, v30, v14, v29
	v_lshrrev_b32_e32 v29, 16, v14
.LBB849_489:
	s_or_b64 exec, exec, s[8:9]
.LBB849_490:
	s_or_b64 exec, exec, s[2:3]
.LBB849_491:
	s_or_b64 exec, exec, s[0:1]
	s_mov_b32 s0, 0xffffff
	v_cmp_lt_u32_e32 vcc, s0, v17
	s_and_saveexec_b64 s[0:1], vcc
	s_cbranch_execz .LBB849_497
; %bb.492:
	v_lshrrev_b32_e32 v14, 24, v17
	s_movk_i32 s2, 0x80
	v_cmp_ne_u32_e32 vcc, s2, v14
	v_mov_b32_e32 v28, 0xffff8000
	s_and_saveexec_b64 s[2:3], vcc
	s_cbranch_execz .LBB849_496
; %bb.493:
	v_bfe_u32 v17, v17, 24, 7
	s_movk_i32 s7, 0x7f
	v_cmp_ne_u32_e32 vcc, s7, v17
	v_mov_b32_e32 v28, 0x7f80
	s_and_saveexec_b64 s[8:9], vcc
	s_cbranch_execz .LBB849_495
; %bb.494:
	v_and_b32_e32 v28, 7, v14
	v_ffbh_u32_e32 v30, v28
	v_min_u32_e32 v33, 32, v30
	v_subrev_u32_e32 v30, 28, v33
	v_lshlrev_b64 v[30:31], v30, v[14:15]
	v_lshrrev_b32_e32 v32, 3, v17
	v_sub_u32_e32 v31, 29, v33
	v_and_b32_e32 v30, 7, v30
	v_cmp_gt_u32_e32 vcc, 8, v17
	v_cndmask_b32_e32 v17, v32, v31, vcc
	v_cndmask_b32_e32 v28, v28, v30, vcc
	v_lshlrev_b32_e32 v14, 24, v14
	v_bfrev_b32_e32 v30, 60
	v_lshlrev_b32_e32 v28, 20, v28
	v_and_b32_e32 v14, 0x80000000, v14
	v_lshl_add_u32 v17, v17, 23, v30
	v_or3_b32 v14, v14, v17, v28
	v_lshrrev_b32_e32 v28, 16, v14
.LBB849_495:
	s_or_b64 exec, exec, s[8:9]
.LBB849_496:
	s_or_b64 exec, exec, s[2:3]
.LBB849_497:
	s_or_b64 exec, exec, s[0:1]
	s_mov_b32 s0, 0x5040100
	v_perm_b32 v25, v24, v25, s0
	v_perm_b32 v24, v15, v23, s0
	ds_read_b128 v[30:33], v22 offset:16
	v_perm_b32 v15, v28, v29, s0
	v_perm_b32 v14, v16, v27, s0
	s_waitcnt lgkmcnt(0)
	v_mfma_f32_16x16x16bf16_1k v[34:37], v[24:25], v[30:31], v[18:21]
	s_nop 6
	v_mov_b32_e32 v19, 0
	s_waitcnt vmcnt(2)
	v_cmp_ne_u16_sdwa s[2:3], v10, v19 src0_sel:BYTE_0 src1_sel:DWORD
	v_mfma_f32_16x16x16bf16_1k v[14:17], v[14:15], v[32:33], v[34:37]
	v_mov_b32_e32 v20, 0
	s_and_saveexec_b64 s[0:1], s[2:3]
	s_cbranch_execz .LBB849_503
; %bb.498:
	s_movk_i32 s2, 0x80
	v_cmp_ne_u16_sdwa s[8:9], v10, s2 src0_sel:BYTE_0 src1_sel:DWORD
	v_mov_b32_e32 v20, 0xffff8000
	s_and_saveexec_b64 s[2:3], s[8:9]
	s_cbranch_execz .LBB849_502
; %bb.499:
	s_movk_i32 s7, 0x7f
	v_and_b32_e32 v18, 0x7f, v10
	v_cmp_ne_u32_e32 vcc, s7, v18
	v_mov_b32_e32 v20, 0x7f80
	s_and_saveexec_b64 s[8:9], vcc
	s_cbranch_execz .LBB849_501
; %bb.500:
	v_and_b32_e32 v23, 7, v10
	v_ffbh_u32_e32 v20, v23
	v_min_u32_e32 v25, 32, v20
	v_subrev_u32_e32 v20, 28, v25
	v_lshlrev_b64 v[20:21], v20, v[10:11]
	v_lshrrev_b32_e32 v24, 3, v18
	v_sub_u32_e32 v21, 29, v25
	v_and_b32_e32 v20, 7, v20
	v_cmp_gt_u32_e32 vcc, 8, v18
	v_cndmask_b32_e32 v18, v24, v21, vcc
	v_cndmask_b32_e32 v20, v23, v20, vcc
	v_lshlrev_b32_e32 v21, 24, v10
	v_bfrev_b32_e32 v23, 60
	v_lshlrev_b32_e32 v20, 20, v20
	v_and_b32_e32 v21, 0x80000000, v21
	v_lshl_add_u32 v18, v18, 23, v23
	v_or3_b32 v18, v21, v18, v20
	v_lshrrev_b32_e32 v20, 16, v18
.LBB849_501:
	s_or_b64 exec, exec, s[8:9]
.LBB849_502:
	s_or_b64 exec, exec, s[2:3]
.LBB849_503:
	s_or_b64 exec, exec, s[0:1]
	v_lshrrev_b16_e32 v18, 8, v10
	v_cmp_ne_u16_e32 vcc, 0, v18
	s_and_saveexec_b64 s[0:1], vcc
	s_cbranch_execz .LBB849_509
; %bb.504:
	s_movk_i32 s2, 0x80
	v_cmp_ne_u16_e32 vcc, s2, v18
	v_mov_b32_e32 v19, 0xffff8000
	s_and_saveexec_b64 s[2:3], vcc
	s_cbranch_execz .LBB849_508
; %bb.505:
	s_movk_i32 s7, 0x7f
	v_and_b32_e32 v21, 0x7f, v18
	v_cmp_ne_u32_e32 vcc, s7, v21
	v_mov_b32_e32 v19, 0x7f80
	s_and_saveexec_b64 s[8:9], vcc
	s_cbranch_execz .LBB849_507
; %bb.506:
	v_and_b32_e32 v23, 7, v18
	v_ffbh_u32_e32 v19, v23
	v_min_u32_e32 v25, 32, v19
	v_subrev_u32_e32 v19, 28, v25
	v_lshlrev_b64 v[18:19], v19, v[18:19]
	v_lshrrev_b32_e32 v24, 3, v21
	v_sub_u32_e32 v19, 29, v25
	v_and_b32_e32 v18, 7, v18
	v_cmp_gt_u32_e32 vcc, 8, v21
	v_cndmask_b32_e32 v19, v24, v19, vcc
	v_cndmask_b32_e32 v18, v23, v18, vcc
	v_lshlrev_b32_e32 v21, 16, v10
	v_bfrev_b32_e32 v23, 60
	v_lshlrev_b32_e32 v18, 20, v18
	v_and_b32_e32 v21, 0x80000000, v21
	v_lshl_add_u32 v19, v19, 23, v23
	v_or3_b32 v18, v21, v19, v18
	v_lshrrev_b32_e32 v19, 16, v18
.LBB849_507:
	s_or_b64 exec, exec, s[8:9]
.LBB849_508:
	s_or_b64 exec, exec, s[2:3]
.LBB849_509:
	s_or_b64 exec, exec, s[0:1]
	s_movk_i32 s0, 0xff
	v_and_b32_sdwa v24, v10, s0 dst_sel:DWORD dst_unused:UNUSED_PAD src0_sel:WORD_1 src1_sel:DWORD
	v_lshrrev_b32_e32 v18, 16, v10
	v_cmp_ne_u16_e32 vcc, 0, v24
	v_mov_b32_e32 v21, 0
	v_mov_b32_e32 v23, 0
	s_and_saveexec_b64 s[0:1], vcc
	s_cbranch_execz .LBB849_515
; %bb.510:
	s_movk_i32 s2, 0x80
	v_cmp_ne_u16_e32 vcc, s2, v24
	v_mov_b32_e32 v23, 0xffff8000
	s_and_saveexec_b64 s[2:3], vcc
	s_cbranch_execz .LBB849_514
; %bb.511:
	v_bfe_u32 v24, v10, 16, 7
	s_movk_i32 s7, 0x7f
	v_cmp_ne_u32_e32 vcc, s7, v24
	v_mov_b32_e32 v23, 0x7f80
	s_and_saveexec_b64 s[8:9], vcc
	s_cbranch_execz .LBB849_513
; %bb.512:
	v_and_b32_e32 v23, 7, v18
	v_ffbh_u32_e32 v27, v23
	v_min_u32_e32 v27, 32, v27
	v_subrev_u32_e32 v28, 28, v27
	v_lshlrev_b64 v[28:29], v28, v[18:19]
	v_lshrrev_b32_e32 v25, 3, v24
	v_sub_u32_e32 v18, 29, v27
	v_and_b32_e32 v27, 7, v28
	v_cmp_gt_u32_e32 vcc, 8, v24
	v_mov_b32_e32 v24, 24
	v_cndmask_b32_e32 v18, v25, v18, vcc
	v_cndmask_b32_e32 v23, v23, v27, vcc
	v_lshlrev_b32_sdwa v24, v24, v10 dst_sel:DWORD dst_unused:UNUSED_PAD src0_sel:DWORD src1_sel:WORD_1
	v_bfrev_b32_e32 v25, 60
	v_lshlrev_b32_e32 v23, 20, v23
	v_and_b32_e32 v24, 0x80000000, v24
	v_lshl_add_u32 v18, v18, 23, v25
	v_or3_b32 v18, v24, v18, v23
	v_lshrrev_b32_e32 v23, 16, v18
.LBB849_513:
	s_or_b64 exec, exec, s[8:9]
.LBB849_514:
	s_or_b64 exec, exec, s[2:3]
.LBB849_515:
	s_or_b64 exec, exec, s[0:1]
	s_mov_b32 s0, 0xffffff
	v_cmp_lt_u32_e32 vcc, s0, v10
	s_and_saveexec_b64 s[0:1], vcc
	s_cbranch_execz .LBB849_521
; %bb.516:
	v_lshrrev_b32_e32 v18, 24, v10
	s_movk_i32 s2, 0x80
	v_cmp_ne_u32_e32 vcc, s2, v18
	v_mov_b32_e32 v21, 0xffff8000
	s_and_saveexec_b64 s[2:3], vcc
	s_cbranch_execz .LBB849_520
; %bb.517:
	v_bfe_u32 v10, v10, 24, 7
	s_movk_i32 s7, 0x7f
	v_cmp_ne_u32_e32 vcc, s7, v10
	v_mov_b32_e32 v21, 0x7f80
	s_and_saveexec_b64 s[8:9], vcc
	s_cbranch_execz .LBB849_519
; %bb.518:
	v_and_b32_e32 v21, 7, v18
	v_ffbh_u32_e32 v24, v21
	v_min_u32_e32 v28, 32, v24
	v_subrev_u32_e32 v24, 28, v28
	v_lshlrev_b64 v[24:25], v24, v[18:19]
	v_lshrrev_b32_e32 v27, 3, v10
	v_sub_u32_e32 v25, 29, v28
	v_and_b32_e32 v24, 7, v24
	v_cmp_gt_u32_e32 vcc, 8, v10
	v_cndmask_b32_e32 v10, v27, v25, vcc
	v_cndmask_b32_e32 v21, v21, v24, vcc
	v_lshlrev_b32_e32 v18, 24, v18
	v_bfrev_b32_e32 v24, 60
	v_lshlrev_b32_e32 v21, 20, v21
	v_and_b32_e32 v18, 0x80000000, v18
	v_lshl_add_u32 v10, v10, 23, v24
	v_or3_b32 v10, v18, v10, v21
	v_lshrrev_b32_e32 v21, 16, v10
.LBB849_519:
	s_or_b64 exec, exec, s[8:9]
.LBB849_520:
	s_or_b64 exec, exec, s[2:3]
.LBB849_521:
	s_or_b64 exec, exec, s[0:1]
	v_mov_b32_e32 v18, 0
	v_cmp_ne_u16_sdwa s[2:3], v11, v18 src0_sel:BYTE_0 src1_sel:DWORD
	v_mov_b32_e32 v24, 0
	s_and_saveexec_b64 s[0:1], s[2:3]
	s_cbranch_execz .LBB849_527
; %bb.522:
	s_movk_i32 s2, 0x80
	v_cmp_ne_u16_sdwa s[8:9], v11, s2 src0_sel:BYTE_0 src1_sel:DWORD
	v_mov_b32_e32 v24, 0xffff8000
	s_and_saveexec_b64 s[2:3], s[8:9]
	s_cbranch_execz .LBB849_526
; %bb.523:
	s_movk_i32 s7, 0x7f
	v_and_b32_e32 v10, 0x7f, v11
	v_cmp_ne_u32_e32 vcc, s7, v10
	v_mov_b32_e32 v24, 0x7f80
	s_and_saveexec_b64 s[8:9], vcc
	s_cbranch_execz .LBB849_525
; %bb.524:
	v_and_b32_e32 v27, 7, v11
	v_ffbh_u32_e32 v25, v27
	v_min_u32_e32 v29, 32, v25
	v_mov_b32_e32 v24, v11
	v_subrev_u32_e32 v25, 28, v29
	v_lshlrev_b64 v[24:25], v25, v[24:25]
	v_lshrrev_b32_e32 v28, 3, v10
	v_sub_u32_e32 v25, 29, v29
	v_and_b32_e32 v24, 7, v24
	v_cmp_gt_u32_e32 vcc, 8, v10
	v_cndmask_b32_e32 v10, v28, v25, vcc
	v_cndmask_b32_e32 v24, v27, v24, vcc
	v_lshlrev_b32_e32 v25, 24, v11
	v_bfrev_b32_e32 v27, 60
	v_lshlrev_b32_e32 v24, 20, v24
	v_and_b32_e32 v25, 0x80000000, v25
	v_lshl_add_u32 v10, v10, 23, v27
	v_or3_b32 v10, v25, v10, v24
	v_lshrrev_b32_e32 v24, 16, v10
.LBB849_525:
	s_or_b64 exec, exec, s[8:9]
.LBB849_526:
	s_or_b64 exec, exec, s[2:3]
.LBB849_527:
	s_or_b64 exec, exec, s[0:1]
	v_lshrrev_b16_e32 v10, 8, v11
	v_cmp_ne_u16_e32 vcc, 0, v10
	s_and_saveexec_b64 s[0:1], vcc
	s_cbranch_execz .LBB849_533
; %bb.528:
	s_movk_i32 s2, 0x80
	v_cmp_ne_u16_e32 vcc, s2, v10
	v_mov_b32_e32 v18, 0xffff8000
	s_and_saveexec_b64 s[2:3], vcc
	s_cbranch_execz .LBB849_532
; %bb.529:
	s_movk_i32 s7, 0x7f
	v_and_b32_e32 v25, 0x7f, v10
	v_cmp_ne_u32_e32 vcc, s7, v25
	v_mov_b32_e32 v18, 0x7f80
	s_and_saveexec_b64 s[8:9], vcc
	s_cbranch_execz .LBB849_531
; %bb.530:
	v_and_b32_e32 v18, 7, v10
	v_ffbh_u32_e32 v28, v18
	v_min_u32_e32 v30, 32, v28
	v_subrev_u32_e32 v28, 28, v30
	v_lshlrev_b64 v[28:29], v28, v[10:11]
	v_lshrrev_b32_e32 v27, 3, v25
	v_sub_u32_e32 v10, 29, v30
	v_and_b32_e32 v28, 7, v28
	v_cmp_gt_u32_e32 vcc, 8, v25
	v_cndmask_b32_e32 v10, v27, v10, vcc
	v_cndmask_b32_e32 v18, v18, v28, vcc
	v_lshlrev_b32_e32 v25, 16, v11
	v_bfrev_b32_e32 v27, 60
	v_lshlrev_b32_e32 v18, 20, v18
	v_and_b32_e32 v25, 0x80000000, v25
	v_lshl_add_u32 v10, v10, 23, v27
	v_or3_b32 v10, v25, v10, v18
	v_lshrrev_b32_e32 v18, 16, v10
.LBB849_531:
	s_or_b64 exec, exec, s[8:9]
.LBB849_532:
	s_or_b64 exec, exec, s[2:3]
.LBB849_533:
	s_or_b64 exec, exec, s[0:1]
	s_movk_i32 s0, 0xff
	v_and_b32_sdwa v28, v11, s0 dst_sel:DWORD dst_unused:UNUSED_PAD src0_sel:WORD_1 src1_sel:DWORD
	v_lshrrev_b32_e32 v10, 16, v11
	v_cmp_ne_u16_e32 vcc, 0, v28
	v_mov_b32_e32 v25, 0
	v_mov_b32_e32 v27, 0
	s_and_saveexec_b64 s[0:1], vcc
	s_cbranch_execz .LBB849_539
; %bb.534:
	s_movk_i32 s2, 0x80
	v_cmp_ne_u16_e32 vcc, s2, v28
	v_mov_b32_e32 v27, 0xffff8000
	s_and_saveexec_b64 s[2:3], vcc
	s_cbranch_execz .LBB849_538
; %bb.535:
	v_bfe_u32 v28, v11, 16, 7
	s_movk_i32 s7, 0x7f
	v_cmp_ne_u32_e32 vcc, s7, v28
	v_mov_b32_e32 v27, 0x7f80
	s_and_saveexec_b64 s[8:9], vcc
	s_cbranch_execz .LBB849_537
; %bb.536:
	v_and_b32_e32 v27, 7, v10
	v_ffbh_u32_e32 v30, v27
	v_min_u32_e32 v32, 32, v30
	v_subrev_u32_e32 v30, 28, v32
	v_lshlrev_b64 v[30:31], v30, v[10:11]
	v_lshrrev_b32_e32 v29, 3, v28
	v_sub_u32_e32 v10, 29, v32
	v_and_b32_e32 v30, 7, v30
	v_cmp_gt_u32_e32 vcc, 8, v28
	v_mov_b32_e32 v28, 24
	v_cndmask_b32_e32 v10, v29, v10, vcc
	v_cndmask_b32_e32 v27, v27, v30, vcc
	v_lshlrev_b32_sdwa v28, v28, v11 dst_sel:DWORD dst_unused:UNUSED_PAD src0_sel:DWORD src1_sel:WORD_1
	v_bfrev_b32_e32 v29, 60
	v_lshlrev_b32_e32 v27, 20, v27
	v_and_b32_e32 v28, 0x80000000, v28
	v_lshl_add_u32 v10, v10, 23, v29
	v_or3_b32 v10, v28, v10, v27
	v_lshrrev_b32_e32 v27, 16, v10
.LBB849_537:
	s_or_b64 exec, exec, s[8:9]
.LBB849_538:
	s_or_b64 exec, exec, s[2:3]
.LBB849_539:
	s_or_b64 exec, exec, s[0:1]
	s_mov_b32 s0, 0xffffff
	v_cmp_lt_u32_e32 vcc, s0, v11
	s_and_saveexec_b64 s[0:1], vcc
	s_cbranch_execz .LBB849_545
; %bb.540:
	v_lshrrev_b32_e32 v10, 24, v11
	s_movk_i32 s2, 0x80
	v_cmp_ne_u32_e32 vcc, s2, v10
	v_mov_b32_e32 v25, 0xffff8000
	s_and_saveexec_b64 s[2:3], vcc
	s_cbranch_execz .LBB849_544
; %bb.541:
	v_bfe_u32 v11, v11, 24, 7
	s_movk_i32 s7, 0x7f
	v_cmp_ne_u32_e32 vcc, s7, v11
	v_mov_b32_e32 v25, 0x7f80
	s_and_saveexec_b64 s[8:9], vcc
	s_cbranch_execz .LBB849_543
; %bb.542:
	v_and_b32_e32 v25, 7, v10
	v_ffbh_u32_e32 v28, v25
	v_min_u32_e32 v31, 32, v28
	v_subrev_u32_e32 v28, 28, v31
	v_lshlrev_b64 v[28:29], v28, v[10:11]
	v_lshrrev_b32_e32 v30, 3, v11
	v_sub_u32_e32 v29, 29, v31
	v_and_b32_e32 v28, 7, v28
	v_cmp_gt_u32_e32 vcc, 8, v11
	v_cndmask_b32_e32 v11, v30, v29, vcc
	v_cndmask_b32_e32 v25, v25, v28, vcc
	v_lshlrev_b32_e32 v10, 24, v10
	v_bfrev_b32_e32 v28, 60
	v_lshlrev_b32_e32 v25, 20, v25
	v_and_b32_e32 v10, 0x80000000, v10
	v_lshl_add_u32 v11, v11, 23, v28
	v_or3_b32 v10, v10, v11, v25
	v_lshrrev_b32_e32 v25, 16, v10
.LBB849_543:
	s_or_b64 exec, exec, s[8:9]
.LBB849_544:
	s_or_b64 exec, exec, s[2:3]
.LBB849_545:
	s_or_b64 exec, exec, s[0:1]
	s_mov_b32 s0, 0x5040100
	v_perm_b32 v11, v21, v23, s0
	v_perm_b32 v10, v19, v20, s0
	ds_read_b128 v[28:31], v22 offset:2048
	v_perm_b32 v21, v25, v27, s0
	v_perm_b32 v20, v18, v24, s0
	s_waitcnt lgkmcnt(0)
	v_mfma_f32_16x16x16bf16_1k v[14:17], v[10:11], v[28:29], v[14:17]
	v_mov_b32_e32 v11, 0
	v_cmp_ne_u16_sdwa s[2:3], v12, v11 src0_sel:BYTE_0 src1_sel:DWORD
	v_mov_b32_e32 v18, 0
	v_mfma_f32_16x16x16bf16_1k v[14:17], v[20:21], v[30:31], v[14:17]
	s_and_saveexec_b64 s[0:1], s[2:3]
	s_cbranch_execz .LBB849_551
; %bb.546:
	s_movk_i32 s2, 0x80
	v_cmp_ne_u16_sdwa s[8:9], v12, s2 src0_sel:BYTE_0 src1_sel:DWORD
	v_mov_b32_e32 v18, 0xffff8000
	s_and_saveexec_b64 s[2:3], s[8:9]
	s_cbranch_execz .LBB849_550
; %bb.547:
	s_movk_i32 s7, 0x7f
	v_and_b32_e32 v10, 0x7f, v12
	v_cmp_ne_u32_e32 vcc, s7, v10
	v_mov_b32_e32 v18, 0x7f80
	s_and_saveexec_b64 s[8:9], vcc
	s_cbranch_execz .LBB849_549
; %bb.548:
	v_and_b32_e32 v20, 7, v12
	v_ffbh_u32_e32 v18, v20
	v_min_u32_e32 v23, 32, v18
	v_subrev_u32_e32 v18, 28, v23
	v_lshlrev_b64 v[18:19], v18, v[12:13]
	v_lshrrev_b32_e32 v21, 3, v10
	v_sub_u32_e32 v19, 29, v23
	v_and_b32_e32 v18, 7, v18
	v_cmp_gt_u32_e32 vcc, 8, v10
	v_cndmask_b32_e32 v10, v21, v19, vcc
	v_cndmask_b32_e32 v18, v20, v18, vcc
	v_lshlrev_b32_e32 v19, 24, v12
	v_bfrev_b32_e32 v20, 60
	v_lshlrev_b32_e32 v18, 20, v18
	v_and_b32_e32 v19, 0x80000000, v19
	v_lshl_add_u32 v10, v10, 23, v20
	v_or3_b32 v10, v19, v10, v18
	v_lshrrev_b32_e32 v18, 16, v10
.LBB849_549:
	s_or_b64 exec, exec, s[8:9]
.LBB849_550:
	s_or_b64 exec, exec, s[2:3]
.LBB849_551:
	s_or_b64 exec, exec, s[0:1]
	v_lshrrev_b16_e32 v10, 8, v12
	v_cmp_ne_u16_e32 vcc, 0, v10
	s_and_saveexec_b64 s[0:1], vcc
	s_cbranch_execz .LBB849_557
; %bb.552:
	s_movk_i32 s2, 0x80
	v_cmp_ne_u16_e32 vcc, s2, v10
	v_mov_b32_e32 v11, 0xffff8000
	s_and_saveexec_b64 s[2:3], vcc
	s_cbranch_execz .LBB849_556
; %bb.553:
	s_movk_i32 s7, 0x7f
	v_and_b32_e32 v19, 0x7f, v10
	v_cmp_ne_u32_e32 vcc, s7, v19
	v_mov_b32_e32 v11, 0x7f80
	s_and_saveexec_b64 s[8:9], vcc
	s_cbranch_execz .LBB849_555
; %bb.554:
	v_and_b32_e32 v20, 7, v10
	v_ffbh_u32_e32 v11, v20
	v_min_u32_e32 v23, 32, v11
	v_subrev_u32_e32 v11, 28, v23
	v_lshlrev_b64 v[10:11], v11, v[10:11]
	v_lshrrev_b32_e32 v21, 3, v19
	v_sub_u32_e32 v11, 29, v23
	v_and_b32_e32 v10, 7, v10
	v_cmp_gt_u32_e32 vcc, 8, v19
	v_cndmask_b32_e32 v11, v21, v11, vcc
	v_cndmask_b32_e32 v10, v20, v10, vcc
	v_lshlrev_b32_e32 v19, 16, v12
	v_bfrev_b32_e32 v20, 60
	v_lshlrev_b32_e32 v10, 20, v10
	v_and_b32_e32 v19, 0x80000000, v19
	v_lshl_add_u32 v11, v11, 23, v20
	v_or3_b32 v10, v19, v11, v10
	v_lshrrev_b32_e32 v11, 16, v10
.LBB849_555:
	s_or_b64 exec, exec, s[8:9]
.LBB849_556:
	s_or_b64 exec, exec, s[2:3]
.LBB849_557:
	s_or_b64 exec, exec, s[0:1]
	s_movk_i32 s0, 0xff
	v_and_b32_sdwa v21, v12, s0 dst_sel:DWORD dst_unused:UNUSED_PAD src0_sel:WORD_1 src1_sel:DWORD
	v_lshrrev_b32_e32 v10, 16, v12
	v_cmp_ne_u16_e32 vcc, 0, v21
	v_mov_b32_e32 v19, 0
	v_mov_b32_e32 v20, 0
	s_and_saveexec_b64 s[0:1], vcc
	s_cbranch_execz .LBB849_563
; %bb.558:
	s_movk_i32 s2, 0x80
	v_cmp_ne_u16_e32 vcc, s2, v21
	v_mov_b32_e32 v20, 0xffff8000
	s_and_saveexec_b64 s[2:3], vcc
	s_cbranch_execz .LBB849_562
; %bb.559:
	v_bfe_u32 v21, v12, 16, 7
	s_movk_i32 s7, 0x7f
	v_cmp_ne_u32_e32 vcc, s7, v21
	v_mov_b32_e32 v20, 0x7f80
	s_and_saveexec_b64 s[8:9], vcc
	s_cbranch_execz .LBB849_561
; %bb.560:
	v_and_b32_e32 v20, 7, v10
	v_ffbh_u32_e32 v24, v20
	v_min_u32_e32 v27, 32, v24
	v_subrev_u32_e32 v24, 28, v27
	v_lshlrev_b64 v[24:25], v24, v[10:11]
	v_lshrrev_b32_e32 v23, 3, v21
	v_sub_u32_e32 v10, 29, v27
	v_and_b32_e32 v24, 7, v24
	v_cmp_gt_u32_e32 vcc, 8, v21
	v_mov_b32_e32 v21, 24
	v_cndmask_b32_e32 v10, v23, v10, vcc
	v_cndmask_b32_e32 v20, v20, v24, vcc
	v_lshlrev_b32_sdwa v21, v21, v12 dst_sel:DWORD dst_unused:UNUSED_PAD src0_sel:DWORD src1_sel:WORD_1
	v_bfrev_b32_e32 v23, 60
	v_lshlrev_b32_e32 v20, 20, v20
	v_and_b32_e32 v21, 0x80000000, v21
	v_lshl_add_u32 v10, v10, 23, v23
	v_or3_b32 v10, v21, v10, v20
	v_lshrrev_b32_e32 v20, 16, v10
.LBB849_561:
	s_or_b64 exec, exec, s[8:9]
.LBB849_562:
	s_or_b64 exec, exec, s[2:3]
.LBB849_563:
	s_or_b64 exec, exec, s[0:1]
	s_mov_b32 s0, 0xffffff
	v_cmp_lt_u32_e32 vcc, s0, v12
	s_and_saveexec_b64 s[0:1], vcc
	s_cbranch_execz .LBB849_569
; %bb.564:
	v_lshrrev_b32_e32 v10, 24, v12
	s_movk_i32 s2, 0x80
	v_cmp_ne_u32_e32 vcc, s2, v10
	v_mov_b32_e32 v19, 0xffff8000
	s_and_saveexec_b64 s[2:3], vcc
	s_cbranch_execz .LBB849_568
; %bb.565:
	v_bfe_u32 v12, v12, 24, 7
	s_movk_i32 s7, 0x7f
	v_cmp_ne_u32_e32 vcc, s7, v12
	v_mov_b32_e32 v19, 0x7f80
	s_and_saveexec_b64 s[8:9], vcc
	s_cbranch_execz .LBB849_567
; %bb.566:
	v_and_b32_e32 v19, 7, v10
	v_ffbh_u32_e32 v23, v19
	v_min_u32_e32 v23, 32, v23
	v_subrev_u32_e32 v24, 28, v23
	v_lshlrev_b64 v[24:25], v24, v[10:11]
	v_lshrrev_b32_e32 v21, 3, v12
	v_sub_u32_e32 v23, 29, v23
	v_and_b32_e32 v24, 7, v24
	v_cmp_gt_u32_e32 vcc, 8, v12
	v_cndmask_b32_e32 v12, v21, v23, vcc
	v_cndmask_b32_e32 v19, v19, v24, vcc
	v_lshlrev_b32_e32 v10, 24, v10
	v_bfrev_b32_e32 v21, 60
	v_lshlrev_b32_e32 v19, 20, v19
	v_and_b32_e32 v10, 0x80000000, v10
	v_lshl_add_u32 v12, v12, 23, v21
	v_or3_b32 v10, v10, v12, v19
	v_lshrrev_b32_e32 v19, 16, v10
.LBB849_567:
	s_or_b64 exec, exec, s[8:9]
.LBB849_568:
	s_or_b64 exec, exec, s[2:3]
.LBB849_569:
	s_or_b64 exec, exec, s[0:1]
	v_mov_b32_e32 v12, 0
	v_cmp_ne_u16_sdwa s[2:3], v13, v12 src0_sel:BYTE_0 src1_sel:DWORD
	v_mov_b32_e32 v21, 0
	s_and_saveexec_b64 s[0:1], s[2:3]
	s_cbranch_execz .LBB849_575
; %bb.570:
	s_movk_i32 s2, 0x80
	v_cmp_ne_u16_sdwa s[8:9], v13, s2 src0_sel:BYTE_0 src1_sel:DWORD
	v_mov_b32_e32 v21, 0xffff8000
	s_and_saveexec_b64 s[2:3], s[8:9]
	s_cbranch_execz .LBB849_574
; %bb.571:
	s_movk_i32 s7, 0x7f
	v_and_b32_e32 v10, 0x7f, v13
	v_cmp_ne_u32_e32 vcc, s7, v10
	v_mov_b32_e32 v21, 0x7f80
	s_and_saveexec_b64 s[8:9], vcc
	s_cbranch_execz .LBB849_573
; %bb.572:
	v_and_b32_e32 v21, 7, v13
	v_ffbh_u32_e32 v25, v21
	v_min_u32_e32 v27, 32, v25
	v_mov_b32_e32 v24, v13
	v_subrev_u32_e32 v25, 28, v27
	v_lshlrev_b64 v[24:25], v25, v[24:25]
	v_lshrrev_b32_e32 v23, 3, v10
	v_sub_u32_e32 v25, 29, v27
	v_and_b32_e32 v24, 7, v24
	v_cmp_gt_u32_e32 vcc, 8, v10
	v_cndmask_b32_e32 v10, v23, v25, vcc
	v_cndmask_b32_e32 v21, v21, v24, vcc
	v_lshlrev_b32_e32 v23, 24, v13
	v_bfrev_b32_e32 v24, 60
	v_lshlrev_b32_e32 v21, 20, v21
	v_and_b32_e32 v23, 0x80000000, v23
	v_lshl_add_u32 v10, v10, 23, v24
	v_or3_b32 v10, v23, v10, v21
	v_lshrrev_b32_e32 v21, 16, v10
.LBB849_573:
	s_or_b64 exec, exec, s[8:9]
.LBB849_574:
	s_or_b64 exec, exec, s[2:3]
.LBB849_575:
	s_or_b64 exec, exec, s[0:1]
	v_lshrrev_b16_e32 v10, 8, v13
	v_cmp_ne_u16_e32 vcc, 0, v10
	s_and_saveexec_b64 s[0:1], vcc
	s_cbranch_execz .LBB849_581
; %bb.576:
	s_movk_i32 s2, 0x80
	v_cmp_ne_u16_e32 vcc, s2, v10
	v_mov_b32_e32 v12, 0xffff8000
	s_and_saveexec_b64 s[2:3], vcc
	s_cbranch_execz .LBB849_580
; %bb.577:
	s_movk_i32 s7, 0x7f
	v_and_b32_e32 v23, 0x7f, v10
	v_cmp_ne_u32_e32 vcc, s7, v23
	v_mov_b32_e32 v12, 0x7f80
	s_and_saveexec_b64 s[8:9], vcc
	s_cbranch_execz .LBB849_579
; %bb.578:
	v_and_b32_e32 v12, 7, v10
	v_ffbh_u32_e32 v24, v12
	v_min_u32_e32 v28, 32, v24
	v_subrev_u32_e32 v24, 28, v28
	v_lshlrev_b64 v[24:25], v24, v[10:11]
	v_lshrrev_b32_e32 v27, 3, v23
	v_sub_u32_e32 v10, 29, v28
	v_and_b32_e32 v24, 7, v24
	v_cmp_gt_u32_e32 vcc, 8, v23
	v_cndmask_b32_e32 v10, v27, v10, vcc
	v_cndmask_b32_e32 v12, v12, v24, vcc
	v_lshlrev_b32_e32 v23, 16, v13
	v_bfrev_b32_e32 v24, 60
	v_lshlrev_b32_e32 v12, 20, v12
	v_and_b32_e32 v23, 0x80000000, v23
	v_lshl_add_u32 v10, v10, 23, v24
	v_or3_b32 v10, v23, v10, v12
	v_lshrrev_b32_e32 v12, 16, v10
.LBB849_579:
	s_or_b64 exec, exec, s[8:9]
.LBB849_580:
	s_or_b64 exec, exec, s[2:3]
.LBB849_581:
	s_or_b64 exec, exec, s[0:1]
	s_movk_i32 s0, 0xff
	v_and_b32_sdwa v25, v13, s0 dst_sel:DWORD dst_unused:UNUSED_PAD src0_sel:WORD_1 src1_sel:DWORD
	v_lshrrev_b32_e32 v10, 16, v13
	v_cmp_ne_u16_e32 vcc, 0, v25
	v_mov_b32_e32 v23, 0
	v_mov_b32_e32 v24, 0
	s_and_saveexec_b64 s[0:1], vcc
	s_cbranch_execz .LBB849_587
; %bb.582:
	s_movk_i32 s2, 0x80
	v_cmp_ne_u16_e32 vcc, s2, v25
	v_mov_b32_e32 v24, 0xffff8000
	s_and_saveexec_b64 s[2:3], vcc
	s_cbranch_execz .LBB849_586
; %bb.583:
	v_bfe_u32 v25, v13, 16, 7
	s_movk_i32 s7, 0x7f
	v_cmp_ne_u32_e32 vcc, s7, v25
	v_mov_b32_e32 v24, 0x7f80
	s_and_saveexec_b64 s[8:9], vcc
	s_cbranch_execz .LBB849_585
; %bb.584:
	v_and_b32_e32 v24, 7, v10
	v_ffbh_u32_e32 v28, v24
	v_min_u32_e32 v30, 32, v28
	v_subrev_u32_e32 v28, 28, v30
	v_lshlrev_b64 v[28:29], v28, v[10:11]
	v_lshrrev_b32_e32 v27, 3, v25
	v_sub_u32_e32 v10, 29, v30
	v_and_b32_e32 v28, 7, v28
	v_cmp_gt_u32_e32 vcc, 8, v25
	v_mov_b32_e32 v25, 24
	v_cndmask_b32_e32 v10, v27, v10, vcc
	v_cndmask_b32_e32 v24, v24, v28, vcc
	v_lshlrev_b32_sdwa v25, v25, v13 dst_sel:DWORD dst_unused:UNUSED_PAD src0_sel:DWORD src1_sel:WORD_1
	v_bfrev_b32_e32 v27, 60
	v_lshlrev_b32_e32 v24, 20, v24
	v_and_b32_e32 v25, 0x80000000, v25
	v_lshl_add_u32 v10, v10, 23, v27
	v_or3_b32 v10, v25, v10, v24
	v_lshrrev_b32_e32 v24, 16, v10
.LBB849_585:
	s_or_b64 exec, exec, s[8:9]
.LBB849_586:
	s_or_b64 exec, exec, s[2:3]
.LBB849_587:
	s_or_b64 exec, exec, s[0:1]
	s_mov_b32 s0, 0xffffff
	v_cmp_lt_u32_e32 vcc, s0, v13
	s_and_saveexec_b64 s[0:1], vcc
	s_cbranch_execz .LBB849_593
; %bb.588:
	v_lshrrev_b32_e32 v10, 24, v13
	s_movk_i32 s2, 0x80
	v_cmp_ne_u32_e32 vcc, s2, v10
	v_mov_b32_e32 v23, 0xffff8000
	s_and_saveexec_b64 s[2:3], vcc
	s_cbranch_execz .LBB849_592
; %bb.589:
	v_bfe_u32 v13, v13, 24, 7
	s_movk_i32 s7, 0x7f
	v_cmp_ne_u32_e32 vcc, s7, v13
	v_mov_b32_e32 v23, 0x7f80
	s_and_saveexec_b64 s[8:9], vcc
	s_cbranch_execz .LBB849_591
; %bb.590:
	v_and_b32_e32 v23, 7, v10
	v_ffbh_u32_e32 v27, v23
	v_min_u32_e32 v27, 32, v27
	v_subrev_u32_e32 v28, 28, v27
	v_lshlrev_b64 v[28:29], v28, v[10:11]
	v_lshrrev_b32_e32 v25, 3, v13
	v_sub_u32_e32 v27, 29, v27
	v_and_b32_e32 v28, 7, v28
	v_cmp_gt_u32_e32 vcc, 8, v13
	v_cndmask_b32_e32 v13, v25, v27, vcc
	v_cndmask_b32_e32 v23, v23, v28, vcc
	v_lshlrev_b32_e32 v10, 24, v10
	v_bfrev_b32_e32 v25, 60
	v_lshlrev_b32_e32 v23, 20, v23
	v_and_b32_e32 v10, 0x80000000, v10
	v_lshl_add_u32 v13, v13, 23, v25
	v_or3_b32 v10, v10, v13, v23
	v_lshrrev_b32_e32 v23, 16, v10
.LBB849_591:
	s_or_b64 exec, exec, s[8:9]
.LBB849_592:
	s_or_b64 exec, exec, s[2:3]
.LBB849_593:
	s_or_b64 exec, exec, s[0:1]
	s_mov_b32 s0, 0x5040100
	v_perm_b32 v19, v19, v20, s0
	v_perm_b32 v18, v11, v18, s0
	ds_read_b128 v[28:31], v22 offset:2064
	v_perm_b32 v11, v23, v24, s0
	v_perm_b32 v10, v12, v21, s0
	s_waitcnt lgkmcnt(0)
	v_mfma_f32_16x16x16bf16_1k v[32:35], v[18:19], v[28:29], v[14:17]
	s_nop 6
	v_mov_b32_e32 v15, 0
	s_waitcnt vmcnt(1)
	v_cmp_ne_u16_sdwa s[2:3], v6, v15 src0_sel:BYTE_0 src1_sel:DWORD
	v_mfma_f32_16x16x16bf16_1k v[10:13], v[10:11], v[30:31], v[32:35]
	v_mov_b32_e32 v16, 0
	s_and_saveexec_b64 s[0:1], s[2:3]
	s_cbranch_execz .LBB849_599
; %bb.594:
	s_movk_i32 s2, 0x80
	v_cmp_ne_u16_sdwa s[8:9], v6, s2 src0_sel:BYTE_0 src1_sel:DWORD
	v_mov_b32_e32 v16, 0xffff8000
	s_and_saveexec_b64 s[2:3], s[8:9]
	s_cbranch_execz .LBB849_598
; %bb.595:
	s_movk_i32 s7, 0x7f
	v_and_b32_e32 v14, 0x7f, v6
	v_cmp_ne_u32_e32 vcc, s7, v14
	v_mov_b32_e32 v16, 0x7f80
	s_and_saveexec_b64 s[8:9], vcc
	s_cbranch_execz .LBB849_597
; %bb.596:
	v_and_b32_e32 v18, 7, v6
	v_ffbh_u32_e32 v16, v18
	v_min_u32_e32 v20, 32, v16
	v_subrev_u32_e32 v16, 28, v20
	v_lshlrev_b64 v[16:17], v16, v[6:7]
	v_lshrrev_b32_e32 v19, 3, v14
	v_sub_u32_e32 v17, 29, v20
	v_and_b32_e32 v16, 7, v16
	v_cmp_gt_u32_e32 vcc, 8, v14
	v_cndmask_b32_e32 v14, v19, v17, vcc
	v_cndmask_b32_e32 v16, v18, v16, vcc
	v_lshlrev_b32_e32 v17, 24, v6
	v_bfrev_b32_e32 v18, 60
	v_lshlrev_b32_e32 v16, 20, v16
	v_and_b32_e32 v17, 0x80000000, v17
	v_lshl_add_u32 v14, v14, 23, v18
	v_or3_b32 v14, v17, v14, v16
	v_lshrrev_b32_e32 v16, 16, v14
.LBB849_597:
	s_or_b64 exec, exec, s[8:9]
.LBB849_598:
	s_or_b64 exec, exec, s[2:3]
.LBB849_599:
	s_or_b64 exec, exec, s[0:1]
	v_lshrrev_b16_e32 v14, 8, v6
	v_cmp_ne_u16_e32 vcc, 0, v14
	s_and_saveexec_b64 s[0:1], vcc
	s_cbranch_execz .LBB849_605
; %bb.600:
	s_movk_i32 s2, 0x80
	v_cmp_ne_u16_e32 vcc, s2, v14
	v_mov_b32_e32 v15, 0xffff8000
	s_and_saveexec_b64 s[2:3], vcc
	s_cbranch_execz .LBB849_604
; %bb.601:
	s_movk_i32 s7, 0x7f
	v_and_b32_e32 v17, 0x7f, v14
	v_cmp_ne_u32_e32 vcc, s7, v17
	v_mov_b32_e32 v15, 0x7f80
	s_and_saveexec_b64 s[8:9], vcc
	s_cbranch_execz .LBB849_603
; %bb.602:
	v_and_b32_e32 v18, 7, v14
	v_ffbh_u32_e32 v15, v18
	v_min_u32_e32 v20, 32, v15
	v_subrev_u32_e32 v15, 28, v20
	v_lshlrev_b64 v[14:15], v15, v[14:15]
	v_lshrrev_b32_e32 v19, 3, v17
	v_sub_u32_e32 v15, 29, v20
	v_and_b32_e32 v14, 7, v14
	v_cmp_gt_u32_e32 vcc, 8, v17
	v_cndmask_b32_e32 v15, v19, v15, vcc
	v_cndmask_b32_e32 v14, v18, v14, vcc
	v_lshlrev_b32_e32 v17, 16, v6
	v_bfrev_b32_e32 v18, 60
	v_lshlrev_b32_e32 v14, 20, v14
	v_and_b32_e32 v17, 0x80000000, v17
	v_lshl_add_u32 v15, v15, 23, v18
	v_or3_b32 v14, v17, v15, v14
	v_lshrrev_b32_e32 v15, 16, v14
.LBB849_603:
	s_or_b64 exec, exec, s[8:9]
.LBB849_604:
	s_or_b64 exec, exec, s[2:3]
.LBB849_605:
	s_or_b64 exec, exec, s[0:1]
	s_movk_i32 s0, 0xff
	v_and_b32_sdwa v19, v6, s0 dst_sel:DWORD dst_unused:UNUSED_PAD src0_sel:WORD_1 src1_sel:DWORD
	v_lshrrev_b32_e32 v14, 16, v6
	v_cmp_ne_u16_e32 vcc, 0, v19
	v_mov_b32_e32 v17, 0
	v_mov_b32_e32 v18, 0
	s_and_saveexec_b64 s[0:1], vcc
	s_cbranch_execz .LBB849_611
; %bb.606:
	s_movk_i32 s2, 0x80
	v_cmp_ne_u16_e32 vcc, s2, v19
	v_mov_b32_e32 v18, 0xffff8000
	s_and_saveexec_b64 s[2:3], vcc
	s_cbranch_execz .LBB849_610
; %bb.607:
	v_bfe_u32 v19, v6, 16, 7
	s_movk_i32 s7, 0x7f
	v_cmp_ne_u32_e32 vcc, s7, v19
	v_mov_b32_e32 v18, 0x7f80
	s_and_saveexec_b64 s[8:9], vcc
	s_cbranch_execz .LBB849_609
; %bb.608:
	v_and_b32_e32 v18, 7, v14
	v_ffbh_u32_e32 v20, v18
	v_min_u32_e32 v24, 32, v20
	v_subrev_u32_e32 v20, 28, v24
	v_lshlrev_b64 v[20:21], v20, v[14:15]
	v_lshrrev_b32_e32 v23, 3, v19
	v_sub_u32_e32 v14, 29, v24
	v_and_b32_e32 v20, 7, v20
	v_cmp_gt_u32_e32 vcc, 8, v19
	v_mov_b32_e32 v19, 24
	v_cndmask_b32_e32 v14, v23, v14, vcc
	v_cndmask_b32_e32 v18, v18, v20, vcc
	v_lshlrev_b32_sdwa v19, v19, v6 dst_sel:DWORD dst_unused:UNUSED_PAD src0_sel:DWORD src1_sel:WORD_1
	v_bfrev_b32_e32 v20, 60
	v_lshlrev_b32_e32 v18, 20, v18
	v_and_b32_e32 v19, 0x80000000, v19
	v_lshl_add_u32 v14, v14, 23, v20
	v_or3_b32 v14, v19, v14, v18
	v_lshrrev_b32_e32 v18, 16, v14
.LBB849_609:
	s_or_b64 exec, exec, s[8:9]
.LBB849_610:
	s_or_b64 exec, exec, s[2:3]
.LBB849_611:
	s_or_b64 exec, exec, s[0:1]
	s_mov_b32 s0, 0xffffff
	v_cmp_lt_u32_e32 vcc, s0, v6
	s_and_saveexec_b64 s[0:1], vcc
	s_cbranch_execz .LBB849_617
; %bb.612:
	v_lshrrev_b32_e32 v14, 24, v6
	s_movk_i32 s2, 0x80
	v_cmp_ne_u32_e32 vcc, s2, v14
	v_mov_b32_e32 v17, 0xffff8000
	s_and_saveexec_b64 s[2:3], vcc
	s_cbranch_execz .LBB849_616
; %bb.613:
	v_bfe_u32 v6, v6, 24, 7
	s_movk_i32 s7, 0x7f
	v_cmp_ne_u32_e32 vcc, s7, v6
	v_mov_b32_e32 v17, 0x7f80
	s_and_saveexec_b64 s[8:9], vcc
	s_cbranch_execz .LBB849_615
; %bb.614:
	v_and_b32_e32 v17, 7, v14
	v_ffbh_u32_e32 v20, v17
	v_min_u32_e32 v23, 32, v20
	v_subrev_u32_e32 v20, 28, v23
	v_lshlrev_b64 v[20:21], v20, v[14:15]
	v_lshrrev_b32_e32 v19, 3, v6
	v_sub_u32_e32 v21, 29, v23
	v_and_b32_e32 v20, 7, v20
	v_cmp_gt_u32_e32 vcc, 8, v6
	v_cndmask_b32_e32 v6, v19, v21, vcc
	v_cndmask_b32_e32 v17, v17, v20, vcc
	v_lshlrev_b32_e32 v14, 24, v14
	v_bfrev_b32_e32 v19, 60
	v_lshlrev_b32_e32 v17, 20, v17
	v_and_b32_e32 v14, 0x80000000, v14
	v_lshl_add_u32 v6, v6, 23, v19
	v_or3_b32 v6, v14, v6, v17
	v_lshrrev_b32_e32 v17, 16, v6
.LBB849_615:
	s_or_b64 exec, exec, s[8:9]
.LBB849_616:
	s_or_b64 exec, exec, s[2:3]
.LBB849_617:
	s_or_b64 exec, exec, s[0:1]
	v_mov_b32_e32 v14, 0
	v_cmp_ne_u16_sdwa s[2:3], v7, v14 src0_sel:BYTE_0 src1_sel:DWORD
	v_mov_b32_e32 v19, 0
	s_and_saveexec_b64 s[0:1], s[2:3]
	s_cbranch_execz .LBB849_623
; %bb.618:
	s_movk_i32 s2, 0x80
	v_cmp_ne_u16_sdwa s[8:9], v7, s2 src0_sel:BYTE_0 src1_sel:DWORD
	v_mov_b32_e32 v19, 0xffff8000
	s_and_saveexec_b64 s[2:3], s[8:9]
	s_cbranch_execz .LBB849_622
; %bb.619:
	s_movk_i32 s7, 0x7f
	v_and_b32_e32 v6, 0x7f, v7
	v_cmp_ne_u32_e32 vcc, s7, v6
	v_mov_b32_e32 v19, 0x7f80
	s_and_saveexec_b64 s[8:9], vcc
	s_cbranch_execz .LBB849_621
; %bb.620:
	v_and_b32_e32 v19, 7, v7
	v_ffbh_u32_e32 v21, v19
	v_min_u32_e32 v24, 32, v21
	v_mov_b32_e32 v20, v7
	v_subrev_u32_e32 v21, 28, v24
	v_lshlrev_b64 v[20:21], v21, v[20:21]
	v_lshrrev_b32_e32 v23, 3, v6
	v_sub_u32_e32 v21, 29, v24
	v_and_b32_e32 v20, 7, v20
	v_cmp_gt_u32_e32 vcc, 8, v6
	v_cndmask_b32_e32 v6, v23, v21, vcc
	v_cndmask_b32_e32 v19, v19, v20, vcc
	v_lshlrev_b32_e32 v20, 24, v7
	v_bfrev_b32_e32 v21, 60
	v_lshlrev_b32_e32 v19, 20, v19
	v_and_b32_e32 v20, 0x80000000, v20
	v_lshl_add_u32 v6, v6, 23, v21
	v_or3_b32 v6, v20, v6, v19
	v_lshrrev_b32_e32 v19, 16, v6
.LBB849_621:
	s_or_b64 exec, exec, s[8:9]
.LBB849_622:
	s_or_b64 exec, exec, s[2:3]
.LBB849_623:
	s_or_b64 exec, exec, s[0:1]
	v_lshrrev_b16_e32 v6, 8, v7
	v_cmp_ne_u16_e32 vcc, 0, v6
	s_and_saveexec_b64 s[0:1], vcc
	s_cbranch_execz .LBB849_629
; %bb.624:
	s_movk_i32 s2, 0x80
	v_cmp_ne_u16_e32 vcc, s2, v6
	v_mov_b32_e32 v14, 0xffff8000
	s_and_saveexec_b64 s[2:3], vcc
	s_cbranch_execz .LBB849_628
; %bb.625:
	s_movk_i32 s7, 0x7f
	v_and_b32_e32 v20, 0x7f, v6
	v_cmp_ne_u32_e32 vcc, s7, v20
	v_mov_b32_e32 v14, 0x7f80
	s_and_saveexec_b64 s[8:9], vcc
	s_cbranch_execz .LBB849_627
; %bb.626:
	v_and_b32_e32 v14, 7, v6
	v_ffbh_u32_e32 v23, v14
	v_min_u32_e32 v23, 32, v23
	v_subrev_u32_e32 v24, 28, v23
	v_lshlrev_b64 v[24:25], v24, v[6:7]
	v_lshrrev_b32_e32 v21, 3, v20
	v_sub_u32_e32 v6, 29, v23
	v_and_b32_e32 v23, 7, v24
	v_cmp_gt_u32_e32 vcc, 8, v20
	v_cndmask_b32_e32 v6, v21, v6, vcc
	v_cndmask_b32_e32 v14, v14, v23, vcc
	v_lshlrev_b32_e32 v20, 16, v7
	v_bfrev_b32_e32 v21, 60
	v_lshlrev_b32_e32 v14, 20, v14
	v_and_b32_e32 v20, 0x80000000, v20
	v_lshl_add_u32 v6, v6, 23, v21
	v_or3_b32 v6, v20, v6, v14
	v_lshrrev_b32_e32 v14, 16, v6
.LBB849_627:
	s_or_b64 exec, exec, s[8:9]
.LBB849_628:
	s_or_b64 exec, exec, s[2:3]
.LBB849_629:
	s_or_b64 exec, exec, s[0:1]
	s_movk_i32 s0, 0xff
	v_and_b32_sdwa v23, v7, s0 dst_sel:DWORD dst_unused:UNUSED_PAD src0_sel:WORD_1 src1_sel:DWORD
	v_lshrrev_b32_e32 v6, 16, v7
	v_cmp_ne_u16_e32 vcc, 0, v23
	v_mov_b32_e32 v20, 0
	v_mov_b32_e32 v21, 0
	s_and_saveexec_b64 s[0:1], vcc
	s_cbranch_execz .LBB849_635
; %bb.630:
	s_movk_i32 s2, 0x80
	v_cmp_ne_u16_e32 vcc, s2, v23
	v_mov_b32_e32 v21, 0xffff8000
	s_and_saveexec_b64 s[2:3], vcc
	s_cbranch_execz .LBB849_634
; %bb.631:
	v_bfe_u32 v23, v7, 16, 7
	s_movk_i32 s7, 0x7f
	v_cmp_ne_u32_e32 vcc, s7, v23
	v_mov_b32_e32 v21, 0x7f80
	s_and_saveexec_b64 s[8:9], vcc
	s_cbranch_execz .LBB849_633
; %bb.632:
	v_and_b32_e32 v21, 7, v6
	v_ffbh_u32_e32 v24, v21
	v_min_u32_e32 v28, 32, v24
	v_subrev_u32_e32 v24, 28, v28
	v_lshlrev_b64 v[24:25], v24, v[6:7]
	v_lshrrev_b32_e32 v27, 3, v23
	v_sub_u32_e32 v6, 29, v28
	v_and_b32_e32 v24, 7, v24
	v_cmp_gt_u32_e32 vcc, 8, v23
	v_mov_b32_e32 v23, 24
	v_cndmask_b32_e32 v6, v27, v6, vcc
	v_cndmask_b32_e32 v21, v21, v24, vcc
	v_lshlrev_b32_sdwa v23, v23, v7 dst_sel:DWORD dst_unused:UNUSED_PAD src0_sel:DWORD src1_sel:WORD_1
	v_bfrev_b32_e32 v24, 60
	v_lshlrev_b32_e32 v21, 20, v21
	v_and_b32_e32 v23, 0x80000000, v23
	v_lshl_add_u32 v6, v6, 23, v24
	v_or3_b32 v6, v23, v6, v21
	v_lshrrev_b32_e32 v21, 16, v6
.LBB849_633:
	s_or_b64 exec, exec, s[8:9]
.LBB849_634:
	s_or_b64 exec, exec, s[2:3]
.LBB849_635:
	s_or_b64 exec, exec, s[0:1]
	s_mov_b32 s0, 0xffffff
	v_cmp_lt_u32_e32 vcc, s0, v7
	s_and_saveexec_b64 s[0:1], vcc
	s_cbranch_execz .LBB849_641
; %bb.636:
	v_lshrrev_b32_e32 v6, 24, v7
	s_movk_i32 s2, 0x80
	v_cmp_ne_u32_e32 vcc, s2, v6
	v_mov_b32_e32 v20, 0xffff8000
	s_and_saveexec_b64 s[2:3], vcc
	s_cbranch_execz .LBB849_640
; %bb.637:
	v_bfe_u32 v7, v7, 24, 7
	s_movk_i32 s7, 0x7f
	v_cmp_ne_u32_e32 vcc, s7, v7
	v_mov_b32_e32 v20, 0x7f80
	s_and_saveexec_b64 s[8:9], vcc
	s_cbranch_execz .LBB849_639
; %bb.638:
	v_and_b32_e32 v20, 7, v6
	v_ffbh_u32_e32 v24, v20
	v_min_u32_e32 v27, 32, v24
	v_subrev_u32_e32 v24, 28, v27
	v_lshlrev_b64 v[24:25], v24, v[6:7]
	v_lshrrev_b32_e32 v23, 3, v7
	v_sub_u32_e32 v25, 29, v27
	v_and_b32_e32 v24, 7, v24
	v_cmp_gt_u32_e32 vcc, 8, v7
	v_cndmask_b32_e32 v7, v23, v25, vcc
	v_cndmask_b32_e32 v20, v20, v24, vcc
	v_lshlrev_b32_e32 v6, 24, v6
	v_bfrev_b32_e32 v23, 60
	v_lshlrev_b32_e32 v20, 20, v20
	v_and_b32_e32 v6, 0x80000000, v6
	v_lshl_add_u32 v7, v7, 23, v23
	v_or3_b32 v6, v6, v7, v20
	v_lshrrev_b32_e32 v20, 16, v6
.LBB849_639:
	s_or_b64 exec, exec, s[8:9]
.LBB849_640:
	s_or_b64 exec, exec, s[2:3]
.LBB849_641:
	s_or_b64 exec, exec, s[0:1]
	s_mov_b32 s0, 0x5040100
	v_perm_b32 v7, v17, v18, s0
	v_perm_b32 v6, v15, v16, s0
	ds_read_b128 v[28:31], v22 offset:4096
	v_perm_b32 v17, v20, v21, s0
	v_perm_b32 v16, v14, v19, s0
	s_waitcnt lgkmcnt(0)
	v_mfma_f32_16x16x16bf16_1k v[10:13], v[6:7], v[28:29], v[10:13]
	v_mov_b32_e32 v7, 0
	v_cmp_ne_u16_sdwa s[2:3], v8, v7 src0_sel:BYTE_0 src1_sel:DWORD
	v_mov_b32_e32 v14, 0
	v_mfma_f32_16x16x16bf16_1k v[10:13], v[16:17], v[30:31], v[10:13]
	s_and_saveexec_b64 s[0:1], s[2:3]
	s_cbranch_execz .LBB849_647
; %bb.642:
	s_movk_i32 s2, 0x80
	v_cmp_ne_u16_sdwa s[8:9], v8, s2 src0_sel:BYTE_0 src1_sel:DWORD
	v_mov_b32_e32 v14, 0xffff8000
	s_and_saveexec_b64 s[2:3], s[8:9]
	s_cbranch_execz .LBB849_646
; %bb.643:
	s_movk_i32 s7, 0x7f
	v_and_b32_e32 v6, 0x7f, v8
	v_cmp_ne_u32_e32 vcc, s7, v6
	v_mov_b32_e32 v14, 0x7f80
	s_and_saveexec_b64 s[8:9], vcc
	s_cbranch_execz .LBB849_645
; %bb.644:
	v_and_b32_e32 v16, 7, v8
	v_ffbh_u32_e32 v14, v16
	v_min_u32_e32 v18, 32, v14
	v_subrev_u32_e32 v14, 28, v18
	v_lshlrev_b64 v[14:15], v14, v[8:9]
	v_lshrrev_b32_e32 v17, 3, v6
	v_sub_u32_e32 v15, 29, v18
	v_and_b32_e32 v14, 7, v14
	v_cmp_gt_u32_e32 vcc, 8, v6
	v_cndmask_b32_e32 v6, v17, v15, vcc
	v_cndmask_b32_e32 v14, v16, v14, vcc
	v_lshlrev_b32_e32 v15, 24, v8
	v_bfrev_b32_e32 v16, 60
	v_lshlrev_b32_e32 v14, 20, v14
	v_and_b32_e32 v15, 0x80000000, v15
	v_lshl_add_u32 v6, v6, 23, v16
	v_or3_b32 v6, v15, v6, v14
	v_lshrrev_b32_e32 v14, 16, v6
.LBB849_645:
	s_or_b64 exec, exec, s[8:9]
.LBB849_646:
	s_or_b64 exec, exec, s[2:3]
.LBB849_647:
	s_or_b64 exec, exec, s[0:1]
	v_lshrrev_b16_e32 v6, 8, v8
	v_cmp_ne_u16_e32 vcc, 0, v6
	s_and_saveexec_b64 s[0:1], vcc
	s_cbranch_execz .LBB849_653
; %bb.648:
	s_movk_i32 s2, 0x80
	v_cmp_ne_u16_e32 vcc, s2, v6
	v_mov_b32_e32 v7, 0xffff8000
	s_and_saveexec_b64 s[2:3], vcc
	s_cbranch_execz .LBB849_652
; %bb.649:
	s_movk_i32 s7, 0x7f
	v_and_b32_e32 v15, 0x7f, v6
	v_cmp_ne_u32_e32 vcc, s7, v15
	v_mov_b32_e32 v7, 0x7f80
	s_and_saveexec_b64 s[8:9], vcc
	s_cbranch_execz .LBB849_651
; %bb.650:
	v_and_b32_e32 v16, 7, v6
	v_ffbh_u32_e32 v7, v16
	v_min_u32_e32 v18, 32, v7
	v_subrev_u32_e32 v7, 28, v18
	v_lshlrev_b64 v[6:7], v7, v[6:7]
	v_lshrrev_b32_e32 v17, 3, v15
	v_sub_u32_e32 v7, 29, v18
	v_and_b32_e32 v6, 7, v6
	v_cmp_gt_u32_e32 vcc, 8, v15
	v_cndmask_b32_e32 v7, v17, v7, vcc
	v_cndmask_b32_e32 v6, v16, v6, vcc
	v_lshlrev_b32_e32 v15, 16, v8
	v_bfrev_b32_e32 v16, 60
	v_lshlrev_b32_e32 v6, 20, v6
	v_and_b32_e32 v15, 0x80000000, v15
	v_lshl_add_u32 v7, v7, 23, v16
	v_or3_b32 v6, v15, v7, v6
	v_lshrrev_b32_e32 v7, 16, v6
.LBB849_651:
	s_or_b64 exec, exec, s[8:9]
.LBB849_652:
	s_or_b64 exec, exec, s[2:3]
.LBB849_653:
	s_or_b64 exec, exec, s[0:1]
	s_movk_i32 s0, 0xff
	v_and_b32_sdwa v17, v8, s0 dst_sel:DWORD dst_unused:UNUSED_PAD src0_sel:WORD_1 src1_sel:DWORD
	v_lshrrev_b32_e32 v6, 16, v8
	v_cmp_ne_u16_e32 vcc, 0, v17
	v_mov_b32_e32 v15, 0
	v_mov_b32_e32 v16, 0
	s_and_saveexec_b64 s[0:1], vcc
	s_cbranch_execz .LBB849_659
; %bb.654:
	s_movk_i32 s2, 0x80
	v_cmp_ne_u16_e32 vcc, s2, v17
	v_mov_b32_e32 v16, 0xffff8000
	s_and_saveexec_b64 s[2:3], vcc
	s_cbranch_execz .LBB849_658
; %bb.655:
	v_bfe_u32 v17, v8, 16, 7
	s_movk_i32 s7, 0x7f
	v_cmp_ne_u32_e32 vcc, s7, v17
	v_mov_b32_e32 v16, 0x7f80
	s_and_saveexec_b64 s[8:9], vcc
	s_cbranch_execz .LBB849_657
; %bb.656:
	v_and_b32_e32 v16, 7, v6
	v_ffbh_u32_e32 v18, v16
	v_min_u32_e32 v21, 32, v18
	v_subrev_u32_e32 v18, 28, v21
	v_lshlrev_b64 v[18:19], v18, v[6:7]
	v_lshrrev_b32_e32 v20, 3, v17
	v_sub_u32_e32 v6, 29, v21
	v_and_b32_e32 v18, 7, v18
	v_cmp_gt_u32_e32 vcc, 8, v17
	v_mov_b32_e32 v17, 24
	v_cndmask_b32_e32 v6, v20, v6, vcc
	v_cndmask_b32_e32 v16, v16, v18, vcc
	v_lshlrev_b32_sdwa v17, v17, v8 dst_sel:DWORD dst_unused:UNUSED_PAD src0_sel:DWORD src1_sel:WORD_1
	v_bfrev_b32_e32 v18, 60
	v_lshlrev_b32_e32 v16, 20, v16
	v_and_b32_e32 v17, 0x80000000, v17
	v_lshl_add_u32 v6, v6, 23, v18
	v_or3_b32 v6, v17, v6, v16
	v_lshrrev_b32_e32 v16, 16, v6
.LBB849_657:
	s_or_b64 exec, exec, s[8:9]
.LBB849_658:
	s_or_b64 exec, exec, s[2:3]
.LBB849_659:
	s_or_b64 exec, exec, s[0:1]
	s_mov_b32 s0, 0xffffff
	v_cmp_lt_u32_e32 vcc, s0, v8
	s_and_saveexec_b64 s[0:1], vcc
	s_cbranch_execz .LBB849_665
; %bb.660:
	v_lshrrev_b32_e32 v6, 24, v8
	s_movk_i32 s2, 0x80
	v_cmp_ne_u32_e32 vcc, s2, v6
	v_mov_b32_e32 v15, 0xffff8000
	s_and_saveexec_b64 s[2:3], vcc
	s_cbranch_execz .LBB849_664
; %bb.661:
	v_bfe_u32 v8, v8, 24, 7
	s_movk_i32 s7, 0x7f
	v_cmp_ne_u32_e32 vcc, s7, v8
	v_mov_b32_e32 v15, 0x7f80
	s_and_saveexec_b64 s[8:9], vcc
	s_cbranch_execz .LBB849_663
; %bb.662:
	v_and_b32_e32 v15, 7, v6
	v_ffbh_u32_e32 v18, v15
	v_min_u32_e32 v20, 32, v18
	v_subrev_u32_e32 v18, 28, v20
	v_lshlrev_b64 v[18:19], v18, v[6:7]
	v_lshrrev_b32_e32 v17, 3, v8
	v_sub_u32_e32 v19, 29, v20
	v_and_b32_e32 v18, 7, v18
	v_cmp_gt_u32_e32 vcc, 8, v8
	v_cndmask_b32_e32 v8, v17, v19, vcc
	v_cndmask_b32_e32 v15, v15, v18, vcc
	v_lshlrev_b32_e32 v6, 24, v6
	v_bfrev_b32_e32 v17, 60
	v_lshlrev_b32_e32 v15, 20, v15
	v_and_b32_e32 v6, 0x80000000, v6
	v_lshl_add_u32 v8, v8, 23, v17
	v_or3_b32 v6, v6, v8, v15
	v_lshrrev_b32_e32 v15, 16, v6
.LBB849_663:
	s_or_b64 exec, exec, s[8:9]
.LBB849_664:
	s_or_b64 exec, exec, s[2:3]
.LBB849_665:
	s_or_b64 exec, exec, s[0:1]
	v_mov_b32_e32 v8, 0
	v_cmp_ne_u16_sdwa s[2:3], v9, v8 src0_sel:BYTE_0 src1_sel:DWORD
	v_mov_b32_e32 v17, 0
	s_and_saveexec_b64 s[0:1], s[2:3]
	s_cbranch_execz .LBB849_671
; %bb.666:
	s_movk_i32 s2, 0x80
	v_cmp_ne_u16_sdwa s[8:9], v9, s2 src0_sel:BYTE_0 src1_sel:DWORD
	v_mov_b32_e32 v17, 0xffff8000
	s_and_saveexec_b64 s[2:3], s[8:9]
	s_cbranch_execz .LBB849_670
; %bb.667:
	s_movk_i32 s7, 0x7f
	v_and_b32_e32 v6, 0x7f, v9
	v_cmp_ne_u32_e32 vcc, s7, v6
	v_mov_b32_e32 v17, 0x7f80
	s_and_saveexec_b64 s[8:9], vcc
	s_cbranch_execz .LBB849_669
; %bb.668:
	v_and_b32_e32 v17, 7, v9
	v_ffbh_u32_e32 v19, v17
	v_min_u32_e32 v21, 32, v19
	v_mov_b32_e32 v18, v9
	v_subrev_u32_e32 v19, 28, v21
	v_lshlrev_b64 v[18:19], v19, v[18:19]
	v_lshrrev_b32_e32 v20, 3, v6
	v_sub_u32_e32 v19, 29, v21
	v_and_b32_e32 v18, 7, v18
	v_cmp_gt_u32_e32 vcc, 8, v6
	v_cndmask_b32_e32 v6, v20, v19, vcc
	v_cndmask_b32_e32 v17, v17, v18, vcc
	v_lshlrev_b32_e32 v18, 24, v9
	v_bfrev_b32_e32 v19, 60
	v_lshlrev_b32_e32 v17, 20, v17
	v_and_b32_e32 v18, 0x80000000, v18
	v_lshl_add_u32 v6, v6, 23, v19
	v_or3_b32 v6, v18, v6, v17
	v_lshrrev_b32_e32 v17, 16, v6
.LBB849_669:
	s_or_b64 exec, exec, s[8:9]
.LBB849_670:
	s_or_b64 exec, exec, s[2:3]
.LBB849_671:
	s_or_b64 exec, exec, s[0:1]
	v_lshrrev_b16_e32 v6, 8, v9
	v_cmp_ne_u16_e32 vcc, 0, v6
	s_and_saveexec_b64 s[0:1], vcc
	s_cbranch_execz .LBB849_677
; %bb.672:
	s_movk_i32 s2, 0x80
	v_cmp_ne_u16_e32 vcc, s2, v6
	v_mov_b32_e32 v8, 0xffff8000
	s_and_saveexec_b64 s[2:3], vcc
	s_cbranch_execz .LBB849_676
; %bb.673:
	s_movk_i32 s7, 0x7f
	v_and_b32_e32 v18, 0x7f, v6
	v_cmp_ne_u32_e32 vcc, s7, v18
	v_mov_b32_e32 v8, 0x7f80
	s_and_saveexec_b64 s[8:9], vcc
	s_cbranch_execz .LBB849_675
; %bb.674:
	v_and_b32_e32 v8, 7, v6
	v_ffbh_u32_e32 v20, v8
	v_min_u32_e32 v23, 32, v20
	v_subrev_u32_e32 v20, 28, v23
	v_lshlrev_b64 v[20:21], v20, v[6:7]
	v_lshrrev_b32_e32 v19, 3, v18
	v_sub_u32_e32 v6, 29, v23
	v_and_b32_e32 v20, 7, v20
	v_cmp_gt_u32_e32 vcc, 8, v18
	v_cndmask_b32_e32 v6, v19, v6, vcc
	v_cndmask_b32_e32 v8, v8, v20, vcc
	v_lshlrev_b32_e32 v18, 16, v9
	v_bfrev_b32_e32 v19, 60
	v_lshlrev_b32_e32 v8, 20, v8
	v_and_b32_e32 v18, 0x80000000, v18
	v_lshl_add_u32 v6, v6, 23, v19
	v_or3_b32 v6, v18, v6, v8
	v_lshrrev_b32_e32 v8, 16, v6
.LBB849_675:
	s_or_b64 exec, exec, s[8:9]
.LBB849_676:
	s_or_b64 exec, exec, s[2:3]
.LBB849_677:
	s_or_b64 exec, exec, s[0:1]
	s_movk_i32 s0, 0xff
	v_and_b32_sdwa v20, v9, s0 dst_sel:DWORD dst_unused:UNUSED_PAD src0_sel:WORD_1 src1_sel:DWORD
	v_lshrrev_b32_e32 v6, 16, v9
	v_cmp_ne_u16_e32 vcc, 0, v20
	v_mov_b32_e32 v18, 0
	v_mov_b32_e32 v19, 0
	s_and_saveexec_b64 s[0:1], vcc
	s_cbranch_execz .LBB849_683
; %bb.678:
	s_movk_i32 s2, 0x80
	v_cmp_ne_u16_e32 vcc, s2, v20
	v_mov_b32_e32 v19, 0xffff8000
	s_and_saveexec_b64 s[2:3], vcc
	s_cbranch_execz .LBB849_682
; %bb.679:
	v_bfe_u32 v20, v9, 16, 7
	s_movk_i32 s7, 0x7f
	v_cmp_ne_u32_e32 vcc, s7, v20
	v_mov_b32_e32 v19, 0x7f80
	s_and_saveexec_b64 s[8:9], vcc
	s_cbranch_execz .LBB849_681
; %bb.680:
	v_and_b32_e32 v19, 7, v6
	v_ffbh_u32_e32 v23, v19
	v_min_u32_e32 v23, 32, v23
	v_subrev_u32_e32 v24, 28, v23
	v_lshlrev_b64 v[24:25], v24, v[6:7]
	v_lshrrev_b32_e32 v21, 3, v20
	v_sub_u32_e32 v6, 29, v23
	v_and_b32_e32 v23, 7, v24
	v_cmp_gt_u32_e32 vcc, 8, v20
	v_mov_b32_e32 v20, 24
	v_cndmask_b32_e32 v6, v21, v6, vcc
	v_cndmask_b32_e32 v19, v19, v23, vcc
	v_lshlrev_b32_sdwa v20, v20, v9 dst_sel:DWORD dst_unused:UNUSED_PAD src0_sel:DWORD src1_sel:WORD_1
	v_bfrev_b32_e32 v21, 60
	v_lshlrev_b32_e32 v19, 20, v19
	v_and_b32_e32 v20, 0x80000000, v20
	v_lshl_add_u32 v6, v6, 23, v21
	v_or3_b32 v6, v20, v6, v19
	v_lshrrev_b32_e32 v19, 16, v6
.LBB849_681:
	s_or_b64 exec, exec, s[8:9]
.LBB849_682:
	s_or_b64 exec, exec, s[2:3]
.LBB849_683:
	s_or_b64 exec, exec, s[0:1]
	s_mov_b32 s0, 0xffffff
	v_cmp_lt_u32_e32 vcc, s0, v9
	s_and_saveexec_b64 s[0:1], vcc
	s_cbranch_execz .LBB849_689
; %bb.684:
	v_lshrrev_b32_e32 v6, 24, v9
	s_movk_i32 s2, 0x80
	v_cmp_ne_u32_e32 vcc, s2, v6
	v_mov_b32_e32 v18, 0xffff8000
	s_and_saveexec_b64 s[2:3], vcc
	s_cbranch_execz .LBB849_688
; %bb.685:
	v_bfe_u32 v9, v9, 24, 7
	s_movk_i32 s7, 0x7f
	v_cmp_ne_u32_e32 vcc, s7, v9
	v_mov_b32_e32 v18, 0x7f80
	s_and_saveexec_b64 s[8:9], vcc
	s_cbranch_execz .LBB849_687
; %bb.686:
	v_and_b32_e32 v18, 7, v6
	v_ffbh_u32_e32 v20, v18
	v_min_u32_e32 v24, 32, v20
	v_subrev_u32_e32 v20, 28, v24
	v_lshlrev_b64 v[20:21], v20, v[6:7]
	v_lshrrev_b32_e32 v23, 3, v9
	v_sub_u32_e32 v21, 29, v24
	v_and_b32_e32 v20, 7, v20
	v_cmp_gt_u32_e32 vcc, 8, v9
	v_cndmask_b32_e32 v9, v23, v21, vcc
	v_cndmask_b32_e32 v18, v18, v20, vcc
	v_lshlrev_b32_e32 v6, 24, v6
	v_bfrev_b32_e32 v20, 60
	v_lshlrev_b32_e32 v18, 20, v18
	v_and_b32_e32 v6, 0x80000000, v6
	v_lshl_add_u32 v9, v9, 23, v20
	v_or3_b32 v6, v6, v9, v18
	v_lshrrev_b32_e32 v18, 16, v6
.LBB849_687:
	s_or_b64 exec, exec, s[8:9]
.LBB849_688:
	s_or_b64 exec, exec, s[2:3]
.LBB849_689:
	s_or_b64 exec, exec, s[0:1]
	s_mov_b32 s0, 0x5040100
	v_perm_b32 v15, v15, v16, s0
	v_perm_b32 v14, v7, v14, s0
	ds_read_b128 v[28:31], v22 offset:4112
	v_perm_b32 v7, v18, v19, s0
	v_perm_b32 v6, v8, v17, s0
	s_waitcnt lgkmcnt(0)
	v_mfma_f32_16x16x16bf16_1k v[32:35], v[14:15], v[28:29], v[10:13]
	s_nop 6
	v_mov_b32_e32 v11, 0
	s_waitcnt vmcnt(0)
	v_cmp_ne_u16_sdwa s[2:3], v2, v11 src0_sel:BYTE_0 src1_sel:DWORD
	v_mfma_f32_16x16x16bf16_1k v[6:9], v[6:7], v[30:31], v[32:35]
	v_mov_b32_e32 v12, 0
	s_and_saveexec_b64 s[0:1], s[2:3]
	s_cbranch_execz .LBB849_695
; %bb.690:
	s_movk_i32 s2, 0x80
	v_cmp_ne_u16_sdwa s[8:9], v2, s2 src0_sel:BYTE_0 src1_sel:DWORD
	v_mov_b32_e32 v12, 0xffff8000
	s_and_saveexec_b64 s[2:3], s[8:9]
	s_cbranch_execz .LBB849_694
; %bb.691:
	s_movk_i32 s7, 0x7f
	v_and_b32_e32 v10, 0x7f, v2
	v_cmp_ne_u32_e32 vcc, s7, v10
	v_mov_b32_e32 v12, 0x7f80
	s_and_saveexec_b64 s[8:9], vcc
	s_cbranch_execz .LBB849_693
; %bb.692:
	v_and_b32_e32 v14, 7, v2
	v_ffbh_u32_e32 v12, v14
	v_min_u32_e32 v16, 32, v12
	v_subrev_u32_e32 v12, 28, v16
	v_lshlrev_b64 v[12:13], v12, v[2:3]
	v_lshrrev_b32_e32 v15, 3, v10
	v_sub_u32_e32 v13, 29, v16
	v_and_b32_e32 v12, 7, v12
	v_cmp_gt_u32_e32 vcc, 8, v10
	v_cndmask_b32_e32 v10, v15, v13, vcc
	v_cndmask_b32_e32 v12, v14, v12, vcc
	v_lshlrev_b32_e32 v13, 24, v2
	v_bfrev_b32_e32 v14, 60
	v_lshlrev_b32_e32 v12, 20, v12
	v_and_b32_e32 v13, 0x80000000, v13
	v_lshl_add_u32 v10, v10, 23, v14
	v_or3_b32 v10, v13, v10, v12
	v_lshrrev_b32_e32 v12, 16, v10
.LBB849_693:
	s_or_b64 exec, exec, s[8:9]
.LBB849_694:
	s_or_b64 exec, exec, s[2:3]
.LBB849_695:
	s_or_b64 exec, exec, s[0:1]
	v_lshrrev_b16_e32 v10, 8, v2
	v_cmp_ne_u16_e32 vcc, 0, v10
	s_and_saveexec_b64 s[0:1], vcc
	s_cbranch_execz .LBB849_701
; %bb.696:
	s_movk_i32 s2, 0x80
	v_cmp_ne_u16_e32 vcc, s2, v10
	v_mov_b32_e32 v11, 0xffff8000
	s_and_saveexec_b64 s[2:3], vcc
	s_cbranch_execz .LBB849_700
; %bb.697:
	s_movk_i32 s7, 0x7f
	v_and_b32_e32 v13, 0x7f, v10
	v_cmp_ne_u32_e32 vcc, s7, v13
	v_mov_b32_e32 v11, 0x7f80
	s_and_saveexec_b64 s[8:9], vcc
	s_cbranch_execz .LBB849_699
; %bb.698:
	v_and_b32_e32 v14, 7, v10
	v_ffbh_u32_e32 v11, v14
	v_min_u32_e32 v16, 32, v11
	v_subrev_u32_e32 v11, 28, v16
	v_lshlrev_b64 v[10:11], v11, v[10:11]
	v_lshrrev_b32_e32 v15, 3, v13
	v_sub_u32_e32 v11, 29, v16
	v_and_b32_e32 v10, 7, v10
	v_cmp_gt_u32_e32 vcc, 8, v13
	v_cndmask_b32_e32 v11, v15, v11, vcc
	v_cndmask_b32_e32 v10, v14, v10, vcc
	v_lshlrev_b32_e32 v13, 16, v2
	v_bfrev_b32_e32 v14, 60
	v_lshlrev_b32_e32 v10, 20, v10
	v_and_b32_e32 v13, 0x80000000, v13
	v_lshl_add_u32 v11, v11, 23, v14
	v_or3_b32 v10, v13, v11, v10
	v_lshrrev_b32_e32 v11, 16, v10
.LBB849_699:
	s_or_b64 exec, exec, s[8:9]
.LBB849_700:
	s_or_b64 exec, exec, s[2:3]
.LBB849_701:
	s_or_b64 exec, exec, s[0:1]
	s_movk_i32 s0, 0xff
	v_and_b32_sdwa v15, v2, s0 dst_sel:DWORD dst_unused:UNUSED_PAD src0_sel:WORD_1 src1_sel:DWORD
	v_lshrrev_b32_e32 v10, 16, v2
	v_cmp_ne_u16_e32 vcc, 0, v15
	v_mov_b32_e32 v13, 0
	v_mov_b32_e32 v14, 0
	s_and_saveexec_b64 s[0:1], vcc
	s_cbranch_execz .LBB849_707
; %bb.702:
	s_movk_i32 s2, 0x80
	v_cmp_ne_u16_e32 vcc, s2, v15
	v_mov_b32_e32 v14, 0xffff8000
	s_and_saveexec_b64 s[2:3], vcc
	s_cbranch_execz .LBB849_706
; %bb.703:
	v_bfe_u32 v15, v2, 16, 7
	s_movk_i32 s7, 0x7f
	v_cmp_ne_u32_e32 vcc, s7, v15
	v_mov_b32_e32 v14, 0x7f80
	s_and_saveexec_b64 s[8:9], vcc
	s_cbranch_execz .LBB849_705
; %bb.704:
	v_and_b32_e32 v14, 7, v10
	v_ffbh_u32_e32 v16, v14
	v_min_u32_e32 v19, 32, v16
	v_subrev_u32_e32 v16, 28, v19
	v_lshlrev_b64 v[16:17], v16, v[10:11]
	v_lshrrev_b32_e32 v18, 3, v15
	v_sub_u32_e32 v10, 29, v19
	v_and_b32_e32 v16, 7, v16
	v_cmp_gt_u32_e32 vcc, 8, v15
	v_mov_b32_e32 v15, 24
	v_cndmask_b32_e32 v10, v18, v10, vcc
	v_cndmask_b32_e32 v14, v14, v16, vcc
	v_lshlrev_b32_sdwa v15, v15, v2 dst_sel:DWORD dst_unused:UNUSED_PAD src0_sel:DWORD src1_sel:WORD_1
	v_bfrev_b32_e32 v16, 60
	v_lshlrev_b32_e32 v14, 20, v14
	v_and_b32_e32 v15, 0x80000000, v15
	v_lshl_add_u32 v10, v10, 23, v16
	v_or3_b32 v10, v15, v10, v14
	v_lshrrev_b32_e32 v14, 16, v10
.LBB849_705:
	s_or_b64 exec, exec, s[8:9]
.LBB849_706:
	s_or_b64 exec, exec, s[2:3]
.LBB849_707:
	s_or_b64 exec, exec, s[0:1]
	s_mov_b32 s0, 0xffffff
	v_cmp_lt_u32_e32 vcc, s0, v2
	s_and_saveexec_b64 s[0:1], vcc
	s_cbranch_execz .LBB849_713
; %bb.708:
	v_lshrrev_b32_e32 v10, 24, v2
	s_movk_i32 s2, 0x80
	v_cmp_ne_u32_e32 vcc, s2, v10
	v_mov_b32_e32 v13, 0xffff8000
	s_and_saveexec_b64 s[2:3], vcc
	s_cbranch_execz .LBB849_712
; %bb.709:
	v_bfe_u32 v2, v2, 24, 7
	s_movk_i32 s7, 0x7f
	v_cmp_ne_u32_e32 vcc, s7, v2
	v_mov_b32_e32 v13, 0x7f80
	s_and_saveexec_b64 s[8:9], vcc
	s_cbranch_execz .LBB849_711
; %bb.710:
	v_and_b32_e32 v13, 7, v10
	v_ffbh_u32_e32 v16, v13
	v_min_u32_e32 v18, 32, v16
	v_subrev_u32_e32 v16, 28, v18
	v_lshlrev_b64 v[16:17], v16, v[10:11]
	v_lshrrev_b32_e32 v15, 3, v2
	v_sub_u32_e32 v17, 29, v18
	v_and_b32_e32 v16, 7, v16
	v_cmp_gt_u32_e32 vcc, 8, v2
	v_cndmask_b32_e32 v2, v15, v17, vcc
	v_cndmask_b32_e32 v13, v13, v16, vcc
	v_lshlrev_b32_e32 v10, 24, v10
	v_bfrev_b32_e32 v15, 60
	v_lshlrev_b32_e32 v13, 20, v13
	v_and_b32_e32 v10, 0x80000000, v10
	v_lshl_add_u32 v2, v2, 23, v15
	v_or3_b32 v2, v10, v2, v13
	v_lshrrev_b32_e32 v13, 16, v2
.LBB849_711:
	s_or_b64 exec, exec, s[8:9]
.LBB849_712:
	s_or_b64 exec, exec, s[2:3]
.LBB849_713:
	s_or_b64 exec, exec, s[0:1]
	v_mov_b32_e32 v10, 0
	v_cmp_ne_u16_sdwa s[2:3], v3, v10 src0_sel:BYTE_0 src1_sel:DWORD
	v_mov_b32_e32 v15, 0
	s_and_saveexec_b64 s[0:1], s[2:3]
	s_cbranch_execz .LBB849_719
; %bb.714:
	s_movk_i32 s2, 0x80
	v_cmp_ne_u16_sdwa s[8:9], v3, s2 src0_sel:BYTE_0 src1_sel:DWORD
	v_mov_b32_e32 v15, 0xffff8000
	s_and_saveexec_b64 s[2:3], s[8:9]
	s_cbranch_execz .LBB849_718
; %bb.715:
	s_movk_i32 s7, 0x7f
	v_and_b32_e32 v2, 0x7f, v3
	v_cmp_ne_u32_e32 vcc, s7, v2
	v_mov_b32_e32 v15, 0x7f80
	s_and_saveexec_b64 s[8:9], vcc
	s_cbranch_execz .LBB849_717
; %bb.716:
	v_and_b32_e32 v15, 7, v3
	v_ffbh_u32_e32 v17, v15
	v_min_u32_e32 v19, 32, v17
	v_mov_b32_e32 v16, v3
	v_subrev_u32_e32 v17, 28, v19
	v_lshlrev_b64 v[16:17], v17, v[16:17]
	v_lshrrev_b32_e32 v18, 3, v2
	v_sub_u32_e32 v17, 29, v19
	v_and_b32_e32 v16, 7, v16
	v_cmp_gt_u32_e32 vcc, 8, v2
	v_cndmask_b32_e32 v2, v18, v17, vcc
	v_cndmask_b32_e32 v15, v15, v16, vcc
	v_lshlrev_b32_e32 v16, 24, v3
	v_bfrev_b32_e32 v17, 60
	v_lshlrev_b32_e32 v15, 20, v15
	v_and_b32_e32 v16, 0x80000000, v16
	v_lshl_add_u32 v2, v2, 23, v17
	v_or3_b32 v2, v16, v2, v15
	v_lshrrev_b32_e32 v15, 16, v2
.LBB849_717:
	s_or_b64 exec, exec, s[8:9]
.LBB849_718:
	s_or_b64 exec, exec, s[2:3]
.LBB849_719:
	s_or_b64 exec, exec, s[0:1]
	v_lshrrev_b16_e32 v2, 8, v3
	v_cmp_ne_u16_e32 vcc, 0, v2
	s_and_saveexec_b64 s[0:1], vcc
	s_cbranch_execz .LBB849_725
; %bb.720:
	s_movk_i32 s2, 0x80
	v_cmp_ne_u16_e32 vcc, s2, v2
	v_mov_b32_e32 v10, 0xffff8000
	s_and_saveexec_b64 s[2:3], vcc
	s_cbranch_execz .LBB849_724
; %bb.721:
	s_movk_i32 s7, 0x7f
	v_and_b32_e32 v16, 0x7f, v2
	v_cmp_ne_u32_e32 vcc, s7, v16
	v_mov_b32_e32 v10, 0x7f80
	s_and_saveexec_b64 s[8:9], vcc
	s_cbranch_execz .LBB849_723
; %bb.722:
	v_and_b32_e32 v10, 7, v2
	v_ffbh_u32_e32 v18, v10
	v_min_u32_e32 v20, 32, v18
	v_subrev_u32_e32 v18, 28, v20
	v_lshlrev_b64 v[18:19], v18, v[2:3]
	v_lshrrev_b32_e32 v17, 3, v16
	v_sub_u32_e32 v2, 29, v20
	v_and_b32_e32 v18, 7, v18
	v_cmp_gt_u32_e32 vcc, 8, v16
	v_cndmask_b32_e32 v2, v17, v2, vcc
	v_cndmask_b32_e32 v10, v10, v18, vcc
	v_lshlrev_b32_e32 v16, 16, v3
	v_bfrev_b32_e32 v17, 60
	v_lshlrev_b32_e32 v10, 20, v10
	v_and_b32_e32 v16, 0x80000000, v16
	v_lshl_add_u32 v2, v2, 23, v17
	v_or3_b32 v2, v16, v2, v10
	v_lshrrev_b32_e32 v10, 16, v2
.LBB849_723:
	s_or_b64 exec, exec, s[8:9]
.LBB849_724:
	s_or_b64 exec, exec, s[2:3]
.LBB849_725:
	s_or_b64 exec, exec, s[0:1]
	s_movk_i32 s0, 0xff
	v_and_b32_sdwa v18, v3, s0 dst_sel:DWORD dst_unused:UNUSED_PAD src0_sel:WORD_1 src1_sel:DWORD
	v_lshrrev_b32_e32 v2, 16, v3
	v_cmp_ne_u16_e32 vcc, 0, v18
	v_mov_b32_e32 v16, 0
	v_mov_b32_e32 v17, 0
	s_and_saveexec_b64 s[0:1], vcc
	s_cbranch_execz .LBB849_731
; %bb.726:
	s_movk_i32 s2, 0x80
	v_cmp_ne_u16_e32 vcc, s2, v18
	v_mov_b32_e32 v17, 0xffff8000
	s_and_saveexec_b64 s[2:3], vcc
	s_cbranch_execz .LBB849_730
; %bb.727:
	v_bfe_u32 v18, v3, 16, 7
	s_movk_i32 s7, 0x7f
	v_cmp_ne_u32_e32 vcc, s7, v18
	v_mov_b32_e32 v17, 0x7f80
	s_and_saveexec_b64 s[8:9], vcc
	s_cbranch_execz .LBB849_729
; %bb.728:
	v_and_b32_e32 v17, 7, v2
	v_ffbh_u32_e32 v20, v17
	v_min_u32_e32 v23, 32, v20
	v_subrev_u32_e32 v20, 28, v23
	v_lshlrev_b64 v[20:21], v20, v[2:3]
	v_lshrrev_b32_e32 v19, 3, v18
	v_sub_u32_e32 v2, 29, v23
	v_and_b32_e32 v20, 7, v20
	v_cmp_gt_u32_e32 vcc, 8, v18
	v_mov_b32_e32 v18, 24
	v_cndmask_b32_e32 v2, v19, v2, vcc
	v_cndmask_b32_e32 v17, v17, v20, vcc
	v_lshlrev_b32_sdwa v18, v18, v3 dst_sel:DWORD dst_unused:UNUSED_PAD src0_sel:DWORD src1_sel:WORD_1
	v_bfrev_b32_e32 v19, 60
	v_lshlrev_b32_e32 v17, 20, v17
	v_and_b32_e32 v18, 0x80000000, v18
	v_lshl_add_u32 v2, v2, 23, v19
	v_or3_b32 v2, v18, v2, v17
	v_lshrrev_b32_e32 v17, 16, v2
.LBB849_729:
	s_or_b64 exec, exec, s[8:9]
.LBB849_730:
	s_or_b64 exec, exec, s[2:3]
.LBB849_731:
	s_or_b64 exec, exec, s[0:1]
	s_mov_b32 s0, 0xffffff
	v_cmp_lt_u32_e32 vcc, s0, v3
	s_and_saveexec_b64 s[0:1], vcc
	s_cbranch_execz .LBB849_737
; %bb.732:
	v_lshrrev_b32_e32 v2, 24, v3
	s_movk_i32 s2, 0x80
	v_cmp_ne_u32_e32 vcc, s2, v2
	v_mov_b32_e32 v16, 0xffff8000
	s_and_saveexec_b64 s[2:3], vcc
	s_cbranch_execz .LBB849_736
; %bb.733:
	v_bfe_u32 v3, v3, 24, 7
	s_movk_i32 s7, 0x7f
	v_cmp_ne_u32_e32 vcc, s7, v3
	v_mov_b32_e32 v16, 0x7f80
	s_and_saveexec_b64 s[8:9], vcc
	s_cbranch_execz .LBB849_735
; %bb.734:
	v_and_b32_e32 v16, 7, v2
	v_ffbh_u32_e32 v18, v16
	v_min_u32_e32 v21, 32, v18
	v_subrev_u32_e32 v18, 28, v21
	v_lshlrev_b64 v[18:19], v18, v[2:3]
	v_lshrrev_b32_e32 v20, 3, v3
	v_sub_u32_e32 v19, 29, v21
	v_and_b32_e32 v18, 7, v18
	v_cmp_gt_u32_e32 vcc, 8, v3
	v_cndmask_b32_e32 v3, v20, v19, vcc
	v_cndmask_b32_e32 v16, v16, v18, vcc
	v_lshlrev_b32_e32 v2, 24, v2
	v_bfrev_b32_e32 v18, 60
	v_lshlrev_b32_e32 v16, 20, v16
	v_and_b32_e32 v2, 0x80000000, v2
	v_lshl_add_u32 v3, v3, 23, v18
	v_or3_b32 v2, v2, v3, v16
	v_lshrrev_b32_e32 v16, 16, v2
.LBB849_735:
	s_or_b64 exec, exec, s[8:9]
.LBB849_736:
	s_or_b64 exec, exec, s[2:3]
.LBB849_737:
	s_or_b64 exec, exec, s[0:1]
	s_mov_b32 s0, 0x5040100
	v_perm_b32 v3, v13, v14, s0
	v_perm_b32 v2, v11, v12, s0
	ds_read_b128 v[18:21], v22 offset:6144
	v_perm_b32 v13, v16, v17, s0
	v_perm_b32 v12, v10, v15, s0
	s_waitcnt lgkmcnt(0)
	v_mfma_f32_16x16x16bf16_1k v[6:9], v[2:3], v[18:19], v[6:9]
	v_mov_b32_e32 v3, 0
	v_cmp_ne_u16_sdwa s[2:3], v4, v3 src0_sel:BYTE_0 src1_sel:DWORD
	v_mov_b32_e32 v10, 0
	v_mfma_f32_16x16x16bf16_1k v[6:9], v[12:13], v[20:21], v[6:9]
	s_and_saveexec_b64 s[0:1], s[2:3]
	s_cbranch_execz .LBB849_743
; %bb.738:
	s_movk_i32 s2, 0x80
	v_cmp_ne_u16_sdwa s[8:9], v4, s2 src0_sel:BYTE_0 src1_sel:DWORD
	v_mov_b32_e32 v10, 0xffff8000
	s_and_saveexec_b64 s[2:3], s[8:9]
	s_cbranch_execz .LBB849_742
; %bb.739:
	s_movk_i32 s7, 0x7f
	v_and_b32_e32 v2, 0x7f, v4
	v_cmp_ne_u32_e32 vcc, s7, v2
	v_mov_b32_e32 v10, 0x7f80
	s_and_saveexec_b64 s[8:9], vcc
	s_cbranch_execz .LBB849_741
; %bb.740:
	v_and_b32_e32 v12, 7, v4
	v_ffbh_u32_e32 v10, v12
	v_min_u32_e32 v14, 32, v10
	v_subrev_u32_e32 v10, 28, v14
	v_lshlrev_b64 v[10:11], v10, v[4:5]
	v_lshrrev_b32_e32 v13, 3, v2
	v_sub_u32_e32 v11, 29, v14
	v_and_b32_e32 v10, 7, v10
	v_cmp_gt_u32_e32 vcc, 8, v2
	v_cndmask_b32_e32 v2, v13, v11, vcc
	v_cndmask_b32_e32 v10, v12, v10, vcc
	v_lshlrev_b32_e32 v11, 24, v4
	v_bfrev_b32_e32 v12, 60
	v_lshlrev_b32_e32 v10, 20, v10
	v_and_b32_e32 v11, 0x80000000, v11
	v_lshl_add_u32 v2, v2, 23, v12
	v_or3_b32 v2, v11, v2, v10
	v_lshrrev_b32_e32 v10, 16, v2
.LBB849_741:
	s_or_b64 exec, exec, s[8:9]
.LBB849_742:
	s_or_b64 exec, exec, s[2:3]
.LBB849_743:
	s_or_b64 exec, exec, s[0:1]
	v_lshrrev_b16_e32 v2, 8, v4
	v_cmp_ne_u16_e32 vcc, 0, v2
	s_and_saveexec_b64 s[0:1], vcc
	s_cbranch_execz .LBB849_749
; %bb.744:
	s_movk_i32 s2, 0x80
	v_cmp_ne_u16_e32 vcc, s2, v2
	v_mov_b32_e32 v3, 0xffff8000
	s_and_saveexec_b64 s[2:3], vcc
	s_cbranch_execz .LBB849_748
; %bb.745:
	s_movk_i32 s7, 0x7f
	v_and_b32_e32 v11, 0x7f, v2
	v_cmp_ne_u32_e32 vcc, s7, v11
	v_mov_b32_e32 v3, 0x7f80
	s_and_saveexec_b64 s[8:9], vcc
	s_cbranch_execz .LBB849_747
; %bb.746:
	v_and_b32_e32 v12, 7, v2
	v_ffbh_u32_e32 v3, v12
	v_min_u32_e32 v14, 32, v3
	v_subrev_u32_e32 v3, 28, v14
	v_lshlrev_b64 v[2:3], v3, v[2:3]
	v_lshrrev_b32_e32 v13, 3, v11
	v_sub_u32_e32 v3, 29, v14
	v_and_b32_e32 v2, 7, v2
	v_cmp_gt_u32_e32 vcc, 8, v11
	v_cndmask_b32_e32 v3, v13, v3, vcc
	v_cndmask_b32_e32 v2, v12, v2, vcc
	v_lshlrev_b32_e32 v11, 16, v4
	v_bfrev_b32_e32 v12, 60
	v_lshlrev_b32_e32 v2, 20, v2
	v_and_b32_e32 v11, 0x80000000, v11
	v_lshl_add_u32 v3, v3, 23, v12
	v_or3_b32 v2, v11, v3, v2
	v_lshrrev_b32_e32 v3, 16, v2
.LBB849_747:
	s_or_b64 exec, exec, s[8:9]
.LBB849_748:
	s_or_b64 exec, exec, s[2:3]
.LBB849_749:
	s_or_b64 exec, exec, s[0:1]
	s_movk_i32 s0, 0xff
	v_and_b32_sdwa v13, v4, s0 dst_sel:DWORD dst_unused:UNUSED_PAD src0_sel:WORD_1 src1_sel:DWORD
	v_lshrrev_b32_e32 v2, 16, v4
	v_cmp_ne_u16_e32 vcc, 0, v13
	v_mov_b32_e32 v11, 0
	v_mov_b32_e32 v12, 0
	s_and_saveexec_b64 s[0:1], vcc
	s_cbranch_execz .LBB849_755
; %bb.750:
	s_movk_i32 s2, 0x80
	v_cmp_ne_u16_e32 vcc, s2, v13
	v_mov_b32_e32 v12, 0xffff8000
	s_and_saveexec_b64 s[2:3], vcc
	s_cbranch_execz .LBB849_754
; %bb.751:
	v_bfe_u32 v13, v4, 16, 7
	s_movk_i32 s7, 0x7f
	v_cmp_ne_u32_e32 vcc, s7, v13
	v_mov_b32_e32 v12, 0x7f80
	s_and_saveexec_b64 s[8:9], vcc
	s_cbranch_execz .LBB849_753
; %bb.752:
	v_and_b32_e32 v12, 7, v2
	v_ffbh_u32_e32 v14, v12
	v_min_u32_e32 v17, 32, v14
	v_subrev_u32_e32 v14, 28, v17
	v_lshlrev_b64 v[14:15], v14, v[2:3]
	v_lshrrev_b32_e32 v16, 3, v13
	v_sub_u32_e32 v2, 29, v17
	v_and_b32_e32 v14, 7, v14
	v_cmp_gt_u32_e32 vcc, 8, v13
	v_mov_b32_e32 v13, 24
	v_cndmask_b32_e32 v2, v16, v2, vcc
	v_cndmask_b32_e32 v12, v12, v14, vcc
	v_lshlrev_b32_sdwa v13, v13, v4 dst_sel:DWORD dst_unused:UNUSED_PAD src0_sel:DWORD src1_sel:WORD_1
	v_bfrev_b32_e32 v14, 60
	v_lshlrev_b32_e32 v12, 20, v12
	v_and_b32_e32 v13, 0x80000000, v13
	v_lshl_add_u32 v2, v2, 23, v14
	v_or3_b32 v2, v13, v2, v12
	v_lshrrev_b32_e32 v12, 16, v2
.LBB849_753:
	s_or_b64 exec, exec, s[8:9]
.LBB849_754:
	s_or_b64 exec, exec, s[2:3]
.LBB849_755:
	s_or_b64 exec, exec, s[0:1]
	s_mov_b32 s0, 0xffffff
	v_cmp_lt_u32_e32 vcc, s0, v4
	s_and_saveexec_b64 s[0:1], vcc
	s_cbranch_execz .LBB849_761
; %bb.756:
	v_lshrrev_b32_e32 v2, 24, v4
	s_movk_i32 s2, 0x80
	v_cmp_ne_u32_e32 vcc, s2, v2
	v_mov_b32_e32 v11, 0xffff8000
	s_and_saveexec_b64 s[2:3], vcc
	s_cbranch_execz .LBB849_760
; %bb.757:
	v_bfe_u32 v4, v4, 24, 7
	s_movk_i32 s7, 0x7f
	v_cmp_ne_u32_e32 vcc, s7, v4
	v_mov_b32_e32 v11, 0x7f80
	s_and_saveexec_b64 s[8:9], vcc
	s_cbranch_execz .LBB849_759
; %bb.758:
	v_and_b32_e32 v11, 7, v2
	v_ffbh_u32_e32 v14, v11
	v_min_u32_e32 v16, 32, v14
	v_subrev_u32_e32 v14, 28, v16
	v_lshlrev_b64 v[14:15], v14, v[2:3]
	v_lshrrev_b32_e32 v13, 3, v4
	v_sub_u32_e32 v15, 29, v16
	v_and_b32_e32 v14, 7, v14
	v_cmp_gt_u32_e32 vcc, 8, v4
	v_cndmask_b32_e32 v4, v13, v15, vcc
	v_cndmask_b32_e32 v11, v11, v14, vcc
	v_lshlrev_b32_e32 v2, 24, v2
	v_bfrev_b32_e32 v13, 60
	v_lshlrev_b32_e32 v11, 20, v11
	v_and_b32_e32 v2, 0x80000000, v2
	v_lshl_add_u32 v4, v4, 23, v13
	v_or3_b32 v2, v2, v4, v11
	v_lshrrev_b32_e32 v11, 16, v2
.LBB849_759:
	s_or_b64 exec, exec, s[8:9]
.LBB849_760:
	s_or_b64 exec, exec, s[2:3]
.LBB849_761:
	s_or_b64 exec, exec, s[0:1]
	v_mov_b32_e32 v4, 0
	v_cmp_ne_u16_sdwa s[2:3], v5, v4 src0_sel:BYTE_0 src1_sel:DWORD
	v_mov_b32_e32 v13, 0
	s_and_saveexec_b64 s[0:1], s[2:3]
	s_cbranch_execz .LBB849_767
; %bb.762:
	s_movk_i32 s2, 0x80
	v_cmp_ne_u16_sdwa s[8:9], v5, s2 src0_sel:BYTE_0 src1_sel:DWORD
	v_mov_b32_e32 v13, 0xffff8000
	s_and_saveexec_b64 s[2:3], s[8:9]
	s_cbranch_execz .LBB849_766
; %bb.763:
	s_movk_i32 s7, 0x7f
	v_and_b32_e32 v2, 0x7f, v5
	v_cmp_ne_u32_e32 vcc, s7, v2
	v_mov_b32_e32 v13, 0x7f80
	s_and_saveexec_b64 s[8:9], vcc
	s_cbranch_execz .LBB849_765
; %bb.764:
	v_and_b32_e32 v13, 7, v5
	v_ffbh_u32_e32 v15, v13
	v_min_u32_e32 v17, 32, v15
	v_mov_b32_e32 v14, v5
	v_subrev_u32_e32 v15, 28, v17
	v_lshlrev_b64 v[14:15], v15, v[14:15]
	v_lshrrev_b32_e32 v16, 3, v2
	v_sub_u32_e32 v15, 29, v17
	v_and_b32_e32 v14, 7, v14
	v_cmp_gt_u32_e32 vcc, 8, v2
	v_cndmask_b32_e32 v2, v16, v15, vcc
	v_cndmask_b32_e32 v13, v13, v14, vcc
	v_lshlrev_b32_e32 v14, 24, v5
	v_bfrev_b32_e32 v15, 60
	v_lshlrev_b32_e32 v13, 20, v13
	v_and_b32_e32 v14, 0x80000000, v14
	v_lshl_add_u32 v2, v2, 23, v15
	v_or3_b32 v2, v14, v2, v13
	v_lshrrev_b32_e32 v13, 16, v2
.LBB849_765:
	s_or_b64 exec, exec, s[8:9]
.LBB849_766:
	s_or_b64 exec, exec, s[2:3]
.LBB849_767:
	s_or_b64 exec, exec, s[0:1]
	v_lshrrev_b16_e32 v2, 8, v5
	v_cmp_ne_u16_e32 vcc, 0, v2
	s_and_saveexec_b64 s[0:1], vcc
	s_cbranch_execz .LBB849_773
; %bb.768:
	s_movk_i32 s2, 0x80
	v_cmp_ne_u16_e32 vcc, s2, v2
	v_mov_b32_e32 v4, 0xffff8000
	s_and_saveexec_b64 s[2:3], vcc
	s_cbranch_execz .LBB849_772
; %bb.769:
	s_movk_i32 s7, 0x7f
	v_and_b32_e32 v14, 0x7f, v2
	v_cmp_ne_u32_e32 vcc, s7, v14
	v_mov_b32_e32 v4, 0x7f80
	s_and_saveexec_b64 s[8:9], vcc
	s_cbranch_execz .LBB849_771
; %bb.770:
	v_and_b32_e32 v4, 7, v2
	v_ffbh_u32_e32 v16, v4
	v_min_u32_e32 v18, 32, v16
	v_subrev_u32_e32 v16, 28, v18
	v_lshlrev_b64 v[16:17], v16, v[2:3]
	v_lshrrev_b32_e32 v15, 3, v14
	v_sub_u32_e32 v2, 29, v18
	v_and_b32_e32 v16, 7, v16
	v_cmp_gt_u32_e32 vcc, 8, v14
	v_cndmask_b32_e32 v2, v15, v2, vcc
	v_cndmask_b32_e32 v4, v4, v16, vcc
	v_lshlrev_b32_e32 v14, 16, v5
	v_bfrev_b32_e32 v15, 60
	v_lshlrev_b32_e32 v4, 20, v4
	v_and_b32_e32 v14, 0x80000000, v14
	v_lshl_add_u32 v2, v2, 23, v15
	v_or3_b32 v2, v14, v2, v4
	v_lshrrev_b32_e32 v4, 16, v2
.LBB849_771:
	s_or_b64 exec, exec, s[8:9]
.LBB849_772:
	s_or_b64 exec, exec, s[2:3]
.LBB849_773:
	s_or_b64 exec, exec, s[0:1]
	s_movk_i32 s0, 0xff
	v_and_b32_sdwa v16, v5, s0 dst_sel:DWORD dst_unused:UNUSED_PAD src0_sel:WORD_1 src1_sel:DWORD
	v_lshrrev_b32_e32 v2, 16, v5
	v_cmp_ne_u16_e32 vcc, 0, v16
	v_mov_b32_e32 v14, 0
	v_mov_b32_e32 v15, 0
	s_and_saveexec_b64 s[0:1], vcc
	s_cbranch_execz .LBB849_779
; %bb.774:
	s_movk_i32 s2, 0x80
	v_cmp_ne_u16_e32 vcc, s2, v16
	v_mov_b32_e32 v15, 0xffff8000
	s_and_saveexec_b64 s[2:3], vcc
	s_cbranch_execz .LBB849_778
; %bb.775:
	v_bfe_u32 v16, v5, 16, 7
	s_movk_i32 s7, 0x7f
	v_cmp_ne_u32_e32 vcc, s7, v16
	v_mov_b32_e32 v15, 0x7f80
	s_and_saveexec_b64 s[8:9], vcc
	s_cbranch_execz .LBB849_777
; %bb.776:
	v_and_b32_e32 v15, 7, v2
	v_ffbh_u32_e32 v18, v15
	v_min_u32_e32 v20, 32, v18
	v_subrev_u32_e32 v18, 28, v20
	v_lshlrev_b64 v[18:19], v18, v[2:3]
	v_lshrrev_b32_e32 v17, 3, v16
	v_sub_u32_e32 v2, 29, v20
	v_and_b32_e32 v18, 7, v18
	v_cmp_gt_u32_e32 vcc, 8, v16
	v_mov_b32_e32 v16, 24
	v_cndmask_b32_e32 v2, v17, v2, vcc
	v_cndmask_b32_e32 v15, v15, v18, vcc
	v_lshlrev_b32_sdwa v16, v16, v5 dst_sel:DWORD dst_unused:UNUSED_PAD src0_sel:DWORD src1_sel:WORD_1
	v_bfrev_b32_e32 v17, 60
	v_lshlrev_b32_e32 v15, 20, v15
	v_and_b32_e32 v16, 0x80000000, v16
	v_lshl_add_u32 v2, v2, 23, v17
	v_or3_b32 v2, v16, v2, v15
	v_lshrrev_b32_e32 v15, 16, v2
.LBB849_777:
	s_or_b64 exec, exec, s[8:9]
.LBB849_778:
	s_or_b64 exec, exec, s[2:3]
.LBB849_779:
	s_or_b64 exec, exec, s[0:1]
	s_mov_b32 s0, 0xffffff
	v_cmp_lt_u32_e32 vcc, s0, v5
	s_and_saveexec_b64 s[0:1], vcc
	s_cbranch_execz .LBB849_785
; %bb.780:
	v_lshrrev_b32_e32 v2, 24, v5
	s_movk_i32 s2, 0x80
	v_cmp_ne_u32_e32 vcc, s2, v2
	v_mov_b32_e32 v14, 0xffff8000
	s_and_saveexec_b64 s[2:3], vcc
	s_cbranch_execz .LBB849_784
; %bb.781:
	v_bfe_u32 v5, v5, 24, 7
	s_movk_i32 s7, 0x7f
	v_cmp_ne_u32_e32 vcc, s7, v5
	v_mov_b32_e32 v14, 0x7f80
	s_and_saveexec_b64 s[8:9], vcc
	s_cbranch_execz .LBB849_783
; %bb.782:
	v_and_b32_e32 v14, 7, v2
	v_ffbh_u32_e32 v16, v14
	v_min_u32_e32 v19, 32, v16
	v_subrev_u32_e32 v16, 28, v19
	v_lshlrev_b64 v[16:17], v16, v[2:3]
	v_lshrrev_b32_e32 v18, 3, v5
	v_sub_u32_e32 v17, 29, v19
	v_and_b32_e32 v16, 7, v16
	v_cmp_gt_u32_e32 vcc, 8, v5
	v_cndmask_b32_e32 v5, v18, v17, vcc
	v_cndmask_b32_e32 v14, v14, v16, vcc
	v_lshlrev_b32_e32 v2, 24, v2
	v_bfrev_b32_e32 v16, 60
	v_lshlrev_b32_e32 v14, 20, v14
	v_and_b32_e32 v2, 0x80000000, v2
	v_lshl_add_u32 v5, v5, 23, v16
	v_or3_b32 v2, v2, v5, v14
	v_lshrrev_b32_e32 v14, 16, v2
.LBB849_783:
	s_or_b64 exec, exec, s[8:9]
.LBB849_784:
	s_or_b64 exec, exec, s[2:3]
.LBB849_785:
	s_or_b64 exec, exec, s[0:1]
	s_mov_b32 s1, 0x5040100
	v_perm_b32 v11, v11, v12, s1
	ds_read_b128 v[16:19], v22 offset:6160
	v_perm_b32 v10, v3, v10, s1
	v_perm_b32 v3, v14, v15, s1
	;; [unrolled: 1-line block ×3, first 2 shown]
	s_waitcnt lgkmcnt(0)
	v_mfma_f32_16x16x16bf16_1k v[6:9], v[10:11], v[16:17], v[6:9]
	s_load_dword s0, s[42:43], 0x0
	s_mov_b32 s1, 0x7060302
	s_movk_i32 s2, 0x7fff
	s_waitcnt lgkmcnt(0)
	s_barrier
	v_mfma_f32_16x16x16bf16_1k v[2:5], v[2:3], v[18:19], v[6:9]
	s_nop 7
	s_nop 2
	v_pk_mul_f32 v[4:5], v[4:5], s[0:1] op_sel_hi:[1,0]
	v_pk_mul_f32 v[2:3], v[2:3], s[0:1] op_sel_hi:[1,0]
	v_bfe_u32 v6, v3, 16, 1
	v_bfe_u32 v7, v2, 16, 1
	;; [unrolled: 1-line block ×4, first 2 shown]
	v_add3_u32 v2, v2, v7, s2
	v_add3_u32 v3, v3, v6, s2
	;; [unrolled: 1-line block ×4, first 2 shown]
	v_perm_b32 v2, v3, v2, s1
	v_perm_b32 v3, v5, v4, s1
	ds_write_b64 v26, v[2:3]
	s_waitcnt lgkmcnt(0)
	s_barrier
	s_and_saveexec_b64 s[0:1], s[44:45]
	s_cbranch_execz .LBB849_787
; %bb.786:
	s_load_dwordx2 s[0:1], s[4:5], 0x68
	s_lshl_b32 s4, s46, 6
	s_mul_i32 s2, s10, s6
	s_mul_hi_u32 s3, s2, s4
	s_mul_i32 s2, s2, s4
	s_lshl_b64 s[2:3], s[2:3], 1
	s_waitcnt lgkmcnt(0)
	s_add_u32 s2, s0, s2
	v_lshlrev_b32_e32 v0, 10, v0
	s_addc_u32 s3, s1, s3
	s_lshl_b32 s0, s22, 6
	s_mov_b32 s1, 0
	v_and_b32_e32 v0, 0x1800, v0
	v_and_b32_e32 v2, 16, v48
	s_lshl_b64 s[0:1], s[0:1], 1
	v_or3_b32 v0, v0, v47, v2
	s_add_u32 s2, s2, s0
	ds_read_b128 v[2:5], v0
	s_addc_u32 s3, s3, s1
	v_mad_u64_u32 v[0:1], s[0:1], s4, v1, 0
	v_lshlrev_b64 v[0:1], 1, v[0:1]
	v_mov_b32_e32 v6, s3
	v_add_co_u32_e32 v0, vcc, s2, v0
	v_addc_co_u32_e32 v1, vcc, v6, v1, vcc
	v_add_co_u32_e32 v0, vcc, v0, v46
	v_addc_co_u32_e32 v1, vcc, 0, v1, vcc
	s_waitcnt lgkmcnt(0)
	global_store_dwordx4 v[0:1], v[2:5], off
.LBB849_787:
	s_endpgm
	.section	.rodata,"a",@progbits
	.p2align	6, 0x0
	.amdhsa_kernel _Z39paged_attention_ll4mi_QKV_mfma16_kernelI14__hip_bfloat16hLN4vllm18Fp8KVCacheDataTypeE1ES0_Li16ELi64ELi256ELb1ELi4EL8MFMAType0EEvPKT_PKT0_S9_ifPKiSB_SB_iPKfiiiPfSE_PS4_PT2_iSD_SD_
		.amdhsa_group_segment_fixed_size 8192
		.amdhsa_private_segment_fixed_size 0
		.amdhsa_kernarg_size 400
		.amdhsa_user_sgpr_count 6
		.amdhsa_user_sgpr_private_segment_buffer 1
		.amdhsa_user_sgpr_dispatch_ptr 0
		.amdhsa_user_sgpr_queue_ptr 0
		.amdhsa_user_sgpr_kernarg_segment_ptr 1
		.amdhsa_user_sgpr_dispatch_id 0
		.amdhsa_user_sgpr_flat_scratch_init 0
		.amdhsa_user_sgpr_kernarg_preload_length 0
		.amdhsa_user_sgpr_kernarg_preload_offset 0
		.amdhsa_user_sgpr_private_segment_size 0
		.amdhsa_uses_dynamic_stack 0
		.amdhsa_system_sgpr_private_segment_wavefront_offset 0
		.amdhsa_system_sgpr_workgroup_id_x 1
		.amdhsa_system_sgpr_workgroup_id_y 1
		.amdhsa_system_sgpr_workgroup_id_z 1
		.amdhsa_system_sgpr_workgroup_info 0
		.amdhsa_system_vgpr_workitem_id 0
		.amdhsa_next_free_vgpr 64
		.amdhsa_next_free_sgpr 48
		.amdhsa_accum_offset 64
		.amdhsa_reserve_vcc 1
		.amdhsa_reserve_flat_scratch 0
		.amdhsa_float_round_mode_32 0
		.amdhsa_float_round_mode_16_64 0
		.amdhsa_float_denorm_mode_32 3
		.amdhsa_float_denorm_mode_16_64 3
		.amdhsa_dx10_clamp 1
		.amdhsa_ieee_mode 1
		.amdhsa_fp16_overflow 0
		.amdhsa_tg_split 0
		.amdhsa_exception_fp_ieee_invalid_op 0
		.amdhsa_exception_fp_denorm_src 0
		.amdhsa_exception_fp_ieee_div_zero 0
		.amdhsa_exception_fp_ieee_overflow 0
		.amdhsa_exception_fp_ieee_underflow 0
		.amdhsa_exception_fp_ieee_inexact 0
		.amdhsa_exception_int_div_zero 0
	.end_amdhsa_kernel
	.section	.text._Z39paged_attention_ll4mi_QKV_mfma16_kernelI14__hip_bfloat16hLN4vllm18Fp8KVCacheDataTypeE1ES0_Li16ELi64ELi256ELb1ELi4EL8MFMAType0EEvPKT_PKT0_S9_ifPKiSB_SB_iPKfiiiPfSE_PS4_PT2_iSD_SD_,"axG",@progbits,_Z39paged_attention_ll4mi_QKV_mfma16_kernelI14__hip_bfloat16hLN4vllm18Fp8KVCacheDataTypeE1ES0_Li16ELi64ELi256ELb1ELi4EL8MFMAType0EEvPKT_PKT0_S9_ifPKiSB_SB_iPKfiiiPfSE_PS4_PT2_iSD_SD_,comdat
.Lfunc_end849:
	.size	_Z39paged_attention_ll4mi_QKV_mfma16_kernelI14__hip_bfloat16hLN4vllm18Fp8KVCacheDataTypeE1ES0_Li16ELi64ELi256ELb1ELi4EL8MFMAType0EEvPKT_PKT0_S9_ifPKiSB_SB_iPKfiiiPfSE_PS4_PT2_iSD_SD_, .Lfunc_end849-_Z39paged_attention_ll4mi_QKV_mfma16_kernelI14__hip_bfloat16hLN4vllm18Fp8KVCacheDataTypeE1ES0_Li16ELi64ELi256ELb1ELi4EL8MFMAType0EEvPKT_PKT0_S9_ifPKiSB_SB_iPKfiiiPfSE_PS4_PT2_iSD_SD_
                                        ; -- End function
	.section	.AMDGPU.csdata,"",@progbits
; Kernel info:
; codeLenInByte = 28524
; NumSgprs: 52
; NumVgprs: 64
; NumAgprs: 0
; TotalNumVgprs: 64
; ScratchSize: 0
; MemoryBound: 0
; FloatMode: 240
; IeeeMode: 1
; LDSByteSize: 8192 bytes/workgroup (compile time only)
; SGPRBlocks: 6
; VGPRBlocks: 7
; NumSGPRsForWavesPerEU: 52
; NumVGPRsForWavesPerEU: 64
; AccumOffset: 64
; Occupancy: 8
; WaveLimiterHint : 1
; COMPUTE_PGM_RSRC2:SCRATCH_EN: 0
; COMPUTE_PGM_RSRC2:USER_SGPR: 6
; COMPUTE_PGM_RSRC2:TRAP_HANDLER: 0
; COMPUTE_PGM_RSRC2:TGID_X_EN: 1
; COMPUTE_PGM_RSRC2:TGID_Y_EN: 1
; COMPUTE_PGM_RSRC2:TGID_Z_EN: 1
; COMPUTE_PGM_RSRC2:TIDIG_COMP_CNT: 0
; COMPUTE_PGM_RSRC3_GFX90A:ACCUM_OFFSET: 15
; COMPUTE_PGM_RSRC3_GFX90A:TG_SPLIT: 0
	.section	.text._Z39paged_attention_ll4mi_QKV_mfma16_kernelI14__hip_bfloat16hLN4vllm18Fp8KVCacheDataTypeE1ES0_Li16ELi64ELi256ELb0ELi5EL8MFMAType0EEvPKT_PKT0_S9_ifPKiSB_SB_iPKfiiiPfSE_PS4_PT2_iSD_SD_,"axG",@progbits,_Z39paged_attention_ll4mi_QKV_mfma16_kernelI14__hip_bfloat16hLN4vllm18Fp8KVCacheDataTypeE1ES0_Li16ELi64ELi256ELb0ELi5EL8MFMAType0EEvPKT_PKT0_S9_ifPKiSB_SB_iPKfiiiPfSE_PS4_PT2_iSD_SD_,comdat
	.protected	_Z39paged_attention_ll4mi_QKV_mfma16_kernelI14__hip_bfloat16hLN4vllm18Fp8KVCacheDataTypeE1ES0_Li16ELi64ELi256ELb0ELi5EL8MFMAType0EEvPKT_PKT0_S9_ifPKiSB_SB_iPKfiiiPfSE_PS4_PT2_iSD_SD_ ; -- Begin function _Z39paged_attention_ll4mi_QKV_mfma16_kernelI14__hip_bfloat16hLN4vllm18Fp8KVCacheDataTypeE1ES0_Li16ELi64ELi256ELb0ELi5EL8MFMAType0EEvPKT_PKT0_S9_ifPKiSB_SB_iPKfiiiPfSE_PS4_PT2_iSD_SD_
	.globl	_Z39paged_attention_ll4mi_QKV_mfma16_kernelI14__hip_bfloat16hLN4vllm18Fp8KVCacheDataTypeE1ES0_Li16ELi64ELi256ELb0ELi5EL8MFMAType0EEvPKT_PKT0_S9_ifPKiSB_SB_iPKfiiiPfSE_PS4_PT2_iSD_SD_
	.p2align	8
	.type	_Z39paged_attention_ll4mi_QKV_mfma16_kernelI14__hip_bfloat16hLN4vllm18Fp8KVCacheDataTypeE1ES0_Li16ELi64ELi256ELb0ELi5EL8MFMAType0EEvPKT_PKT0_S9_ifPKiSB_SB_iPKfiiiPfSE_PS4_PT2_iSD_SD_,@function
_Z39paged_attention_ll4mi_QKV_mfma16_kernelI14__hip_bfloat16hLN4vllm18Fp8KVCacheDataTypeE1ES0_Li16ELi64ELi256ELb0ELi5EL8MFMAType0EEvPKT_PKT0_S9_ifPKiSB_SB_iPKfiiiPfSE_PS4_PT2_iSD_SD_: ; @_Z39paged_attention_ll4mi_QKV_mfma16_kernelI14__hip_bfloat16hLN4vllm18Fp8KVCacheDataTypeE1ES0_Li16ELi64ELi256ELb0ELi5EL8MFMAType0EEvPKT_PKT0_S9_ifPKiSB_SB_iPKfiiiPfSE_PS4_PT2_iSD_SD_
; %bb.0:
	s_load_dwordx2 s[0:1], s[4:5], 0x30
	s_mov_b32 s24, s7
	s_mov_b64 s[10:11], 0
	s_waitcnt lgkmcnt(0)
	s_cmp_lg_u64 s[0:1], 0
	s_cselect_b64 s[2:3], -1, 0
	s_and_b64 vcc, exec, s[2:3]
	s_cbranch_vccz .LBB850_7
; %bb.1:
	s_add_i32 s12, s6, 1
	s_mov_b32 s13, 0
	s_lshl_b64 s[14:15], s[12:13], 2
	s_add_u32 s14, s0, s14
	s_mov_b32 s7, s13
	s_addc_u32 s15, s1, s15
	s_lshl_b64 s[12:13], s[6:7], 2
	s_add_u32 s12, s0, s12
	s_addc_u32 s13, s1, s13
	s_load_dword s9, s[14:15], 0x0
	s_load_dword s16, s[12:13], 0x0
	s_waitcnt lgkmcnt(0)
	s_sub_i32 s9, s9, s16
	s_cmp_eq_u32 s9, 1
	s_cselect_b64 s[12:13], -1, 0
	s_andn2_b64 vcc, exec, s[10:11]
	s_cbranch_vccnz .LBB850_3
.LBB850_2:
	s_mov_b32 s7, 0
	s_mov_b64 s[12:13], -1
.LBB850_3:
	s_andn2_b64 vcc, exec, s[12:13]
	s_cbranch_vccnz .LBB850_786
; %bb.4:
	s_load_dwordx2 s[12:13], s[4:5], 0x28
	s_lshl_b64 s[10:11], s[6:7], 2
	s_waitcnt lgkmcnt(0)
	s_add_u32 s12, s12, s10
	s_addc_u32 s13, s13, s11
	s_load_dword s33, s[12:13], 0x0
	s_lshl_b32 s20, s24, 8
	s_waitcnt lgkmcnt(0)
	s_cmp_ge_i32 s20, s33
	s_cbranch_scc1 .LBB850_786
; %bb.5:
	s_add_i32 s14, s33, 15
	s_load_dwordx2 s[12:13], s[4:5], 0x20
	s_load_dword s9, s[4:5], 0x38
	s_ashr_i32 s15, s14, 31
	v_and_b32_e32 v1, 0xcf, v0
	s_lshr_b32 s15, s15, 28
	v_add_u32_e32 v1, s20, v1
	s_add_i32 s14, s14, s15
	v_ashrrev_i32_e32 v2, 31, v1
	s_ashr_i32 s22, s14, 4
	v_lshrrev_b32_e32 v4, 28, v2
	s_add_i32 s22, s22, -1
	v_add_u32_e32 v2, v1, v4
	s_waitcnt lgkmcnt(0)
	s_mul_i32 s14, s6, s9
	s_mov_b32 s15, 0
	v_ashrrev_i32_e32 v2, 4, v2
	v_mov_b32_e32 v5, s22
	v_cmp_gt_i32_e32 vcc, s33, v1
	s_lshl_b64 s[14:15], s[14:15], 2
	v_cndmask_b32_e32 v2, v5, v2, vcc
	s_add_u32 s9, s12, s14
	v_ashrrev_i32_e32 v3, 31, v2
	s_addc_u32 s21, s13, s15
	v_lshlrev_b64 v[2:3], 2, v[2:3]
	v_mov_b32_e32 v7, s21
	v_add_co_u32_e32 v6, vcc, s9, v2
	v_or_b32_e32 v2, 16, v1
	v_addc_co_u32_e32 v7, vcc, v7, v3, vcc
	v_add_u32_e32 v3, v2, v4
	v_ashrrev_i32_e32 v3, 4, v3
	v_cmp_gt_i32_e32 vcc, s33, v2
	v_cndmask_b32_e32 v2, v5, v3, vcc
	v_ashrrev_i32_e32 v3, 31, v2
	v_lshlrev_b64 v[2:3], 2, v[2:3]
	v_mov_b32_e32 v9, s21
	v_add_co_u32_e32 v8, vcc, s9, v2
	v_or_b32_e32 v2, 32, v1
	v_addc_co_u32_e32 v9, vcc, v9, v3, vcc
	v_add_u32_e32 v3, v2, v4
	v_ashrrev_i32_e32 v3, 4, v3
	v_cmp_gt_i32_e32 vcc, s33, v2
	v_cndmask_b32_e32 v2, v5, v3, vcc
	v_ashrrev_i32_e32 v3, 31, v2
	;; [unrolled: 10-line block ×3, first 2 shown]
	v_lshlrev_b64 v[2:3], 2, v[2:3]
	v_mov_b32_e32 v1, s21
	v_add_co_u32_e32 v12, vcc, s9, v2
	v_addc_co_u32_e32 v13, vcc, v1, v3, vcc
	global_load_dword v4, v[6:7], off
	global_load_dword v5, v[8:9], off
	global_load_dword v2, v[10:11], off
	global_load_dword v3, v[12:13], off
	s_load_dwordx4 s[12:15], s[4:5], 0x8
	s_andn2_b64 vcc, exec, s[2:3]
	s_cbranch_vccnz .LBB850_8
; %bb.6:
	s_add_u32 s0, s0, s10
	s_addc_u32 s1, s1, s11
	s_load_dword s10, s[0:1], 0x0
	s_branch .LBB850_9
.LBB850_7:
	s_mov_b64 s[12:13], 0
	s_branch .LBB850_2
.LBB850_8:
	s_mov_b32 s10, s6
.LBB850_9:
	s_load_dwordx4 s[16:19], s[4:5], 0x48
	v_lshrrev_b32_e32 v49, 6, v0
	v_bfe_u32 v1, v0, 4, 2
	v_lshl_or_b32 v6, v49, 2, v1
	v_and_b32_e32 v48, 15, v0
	v_lshlrev_b32_e32 v7, 3, v48
	v_cmp_gt_u32_e32 vcc, 5, v6
	v_cmp_gt_u32_e64 s[0:1], 8, v48
	s_mul_i32 s25, s8, 5
	s_and_b64 s[26:27], s[0:1], vcc
	v_lshlrev_b32_e32 v46, 1, v7
	v_lshlrev_b32_e32 v47, 4, v0
	s_and_saveexec_b64 s[2:3], s[26:27]
	s_cbranch_execz .LBB850_11
; %bb.10:
	s_load_dwordx2 s[26:27], s[4:5], 0x0
	s_waitcnt lgkmcnt(0)
	s_ashr_i32 s11, s16, 31
	s_mul_hi_u32 s19, s10, s16
	s_mul_i32 s11, s10, s11
	s_add_i32 s11, s19, s11
	s_mul_i32 s10, s10, s16
	s_lshl_b64 s[10:11], s[10:11], 1
	v_add_lshl_u32 v8, v6, s25, 6
	s_add_u32 s10, s26, s10
	v_ashrrev_i32_e32 v9, 31, v8
	s_addc_u32 s11, s27, s11
	v_lshlrev_b64 v[8:9], 1, v[8:9]
	v_mov_b32_e32 v7, s11
	v_add_co_u32_e32 v8, vcc, s10, v8
	v_addc_co_u32_e32 v7, vcc, v7, v9, vcc
	v_add_co_u32_e32 v8, vcc, v8, v46
	v_addc_co_u32_e32 v9, vcc, 0, v7, vcc
	global_load_dwordx4 v[8:11], v[8:9], off
	v_lshlrev_b32_e32 v12, 8, v48
	v_lshlrev_b32_e32 v6, 5, v6
	v_and_b32_e32 v7, 16, v47
	v_and_b32_e32 v12, 0xe00, v12
	v_or3_b32 v6, v12, v6, v7
	s_waitcnt vmcnt(0)
	ds_write_b128 v6, v[8:11]
.LBB850_11:
	s_or_b64 exec, exec, s[2:3]
	v_and_b32_e32 v12, 48, v0
	v_or_b32_e32 v13, s20, v12
	v_ashrrev_i32_e32 v6, 4, v13
	v_mov_b32_e32 v14, s22
	v_cmp_gt_i32_e32 vcc, s33, v13
	v_cndmask_b32_e32 v6, v14, v6, vcc
	v_ashrrev_i32_e32 v7, 31, v6
	v_lshlrev_b64 v[6:7], 2, v[6:7]
	v_mov_b32_e32 v8, s21
	v_add_co_u32_e32 v6, vcc, s9, v6
	v_addc_co_u32_e32 v7, vcc, v8, v7, vcc
	v_or_b32_e32 v8, 64, v13
	v_ashrrev_i32_e32 v9, 4, v8
	v_cmp_gt_i32_e32 vcc, s33, v8
	v_cndmask_b32_e32 v8, v14, v9, vcc
	v_ashrrev_i32_e32 v9, 31, v8
	v_lshlrev_b64 v[8:9], 2, v[8:9]
	v_mov_b32_e32 v10, s21
	v_add_co_u32_e32 v8, vcc, s9, v8
	v_addc_co_u32_e32 v9, vcc, v10, v9, vcc
	v_or_b32_e32 v10, 0x80, v13
	v_ashrrev_i32_e32 v11, 4, v10
	v_cmp_gt_i32_e32 vcc, s33, v10
	v_cndmask_b32_e32 v10, v14, v11, vcc
	v_ashrrev_i32_e32 v11, 31, v10
	v_lshlrev_b64 v[10:11], 2, v[10:11]
	v_mov_b32_e32 v15, s21
	v_add_co_u32_e32 v10, vcc, s9, v10
	s_load_dwordx2 s[44:45], s[4:5], 0x94
	s_load_dwordx4 s[40:43], s[4:5], 0x80
	s_waitcnt lgkmcnt(0)
	s_barrier
	v_addc_co_u32_e32 v11, vcc, v15, v11, vcc
	global_load_dword v15, v[6:7], off
	global_load_dword v16, v[8:9], off
	;; [unrolled: 1-line block ×3, first 2 shown]
	v_or_b32_e32 v6, 0xc0, v13
	v_ashrrev_i32_e32 v7, 4, v6
	v_cmp_gt_i32_e32 vcc, s33, v6
	v_cndmask_b32_e32 v6, v14, v7, vcc
	v_ashrrev_i32_e32 v7, 31, v6
	v_lshlrev_b64 v[6:7], 2, v[6:7]
	v_mov_b32_e32 v8, s21
	v_add_co_u32_e32 v6, vcc, s9, v6
	v_addc_co_u32_e32 v7, vcc, v8, v7, vcc
	global_load_dword v20, v[6:7], off
	s_mul_i32 s8, s8, s18
	s_add_u32 s2, s12, s8
	s_addc_u32 s3, s13, 0
	v_and_b32_e32 v6, 0xf0, v47
	v_mov_b32_e32 v7, s3
	v_add_co_u32_e32 v6, vcc, s2, v6
	v_addc_co_u32_e32 v7, vcc, 0, v7, vcc
	v_lshlrev_b32_e32 v8, 4, v12
	v_add_co_u32_e32 v6, vcc, v6, v8
	v_addc_co_u32_e32 v7, vcc, 0, v7, vcc
	s_waitcnt vmcnt(7)
	v_mad_i64_i32 v[8:9], s[2:3], v4, s17, v[6:7]
	s_waitcnt vmcnt(6)
	v_mad_i64_i32 v[4:5], s[2:3], v5, s17, v[6:7]
	global_load_dwordx4 v[30:33], v[8:9], off
	global_load_dwordx4 v[38:41], v[4:5], off
	s_waitcnt vmcnt(7)
	v_mad_i64_i32 v[4:5], s[2:3], v2, s17, v[6:7]
	s_waitcnt vmcnt(6)
	v_mad_i64_i32 v[2:3], s[2:3], v3, s17, v[6:7]
	global_load_dwordx4 v[34:37], v[4:5], off
	global_load_dwordx4 v[22:25], v[2:3], off
	s_add_u32 s2, s14, s8
	v_lshlrev_b32_e32 v2, 4, v48
	s_addc_u32 s3, s15, 0
	v_lshl_or_b32 v2, v49, 8, v2
	v_mov_b32_e32 v3, s3
	v_add_co_u32_e32 v2, vcc, s2, v2
	v_addc_co_u32_e32 v3, vcc, 0, v3, vcc
	v_mov_b32_e32 v44, 0
	v_mov_b32_e32 v43, 0
	s_movk_i32 s8, 0x80
	s_waitcnt vmcnt(7)
	v_mad_i64_i32 v[4:5], s[2:3], v15, s17, v[2:3]
	s_waitcnt vmcnt(6)
	v_mad_i64_i32 v[6:7], s[2:3], v16, s17, v[2:3]
	;; [unrolled: 2-line block ×3, first 2 shown]
	global_load_dwordx4 v[14:17], v[4:5], off
	global_load_dwordx4 v[10:13], v[6:7], off
	s_waitcnt vmcnt(6)
	v_mad_i64_i32 v[20:21], s[2:3], v20, s17, v[2:3]
	global_load_dwordx4 v[6:9], v[18:19], off
	global_load_dwordx4 v[2:5], v[20:21], off
	v_mul_lo_u16_e32 v18, 52, v48
	v_mov_b32_e32 v19, 5
	v_mul_lo_u16_sdwa v18, v18, v19 dst_sel:DWORD dst_unused:UNUSED_PAD src0_sel:BYTE_1 src1_sel:DWORD
	v_sub_u16_e32 v18, v48, v18
	v_lshlrev_b32_sdwa v18, v19, v18 dst_sel:DWORD dst_unused:UNUSED_PAD src0_sel:DWORD src1_sel:BYTE_0
	v_lshl_add_u32 v18, v1, 9, v18
	ds_read_b128 v[26:29], v18
	ds_read_b128 v[18:21], v18 offset:16
	s_load_dword s12, s[40:41], 0x0
	s_waitcnt vmcnt(7)
	v_cmp_ne_u16_sdwa s[10:11], v30, v44 src0_sel:BYTE_0 src1_sel:DWORD
	s_and_saveexec_b64 s[2:3], s[10:11]
	s_cbranch_execz .LBB850_17
; %bb.12:
	v_cmp_ne_u16_sdwa s[10:11], v30, s8 src0_sel:BYTE_0 src1_sel:DWORD
	v_mov_b32_e32 v43, 0xffff8000
	s_and_saveexec_b64 s[8:9], s[10:11]
	s_cbranch_execz .LBB850_16
; %bb.13:
	s_movk_i32 s10, 0x7f
	v_and_b32_e32 v42, 0x7f, v30
	v_cmp_ne_u32_e32 vcc, s10, v42
	v_mov_b32_e32 v43, 0x7f80
	s_and_saveexec_b64 s[10:11], vcc
	s_cbranch_execz .LBB850_15
; %bb.14:
	v_and_b32_e32 v43, 7, v30
	v_ffbh_u32_e32 v50, v43
	v_min_u32_e32 v52, 32, v50
	v_subrev_u32_e32 v50, 28, v52
	v_lshlrev_b64 v[50:51], v50, v[30:31]
	v_lshrrev_b32_e32 v45, 3, v42
	v_sub_u32_e32 v51, 29, v52
	v_and_b32_e32 v50, 7, v50
	v_cmp_gt_u32_e32 vcc, 8, v42
	v_cndmask_b32_e32 v42, v45, v51, vcc
	v_cndmask_b32_e32 v43, v43, v50, vcc
	v_lshlrev_b32_e32 v45, 24, v30
	v_bfrev_b32_e32 v50, 60
	v_lshlrev_b32_e32 v43, 20, v43
	v_and_b32_e32 v45, 0x80000000, v45
	v_lshl_add_u32 v42, v42, 23, v50
	v_or3_b32 v42, v45, v42, v43
	v_lshrrev_b32_e32 v43, 16, v42
.LBB850_15:
	s_or_b64 exec, exec, s[10:11]
.LBB850_16:
	s_or_b64 exec, exec, s[8:9]
.LBB850_17:
	s_or_b64 exec, exec, s[2:3]
	v_lshrrev_b16_e32 v42, 8, v30
	v_cmp_ne_u16_e32 vcc, 0, v42
	s_and_saveexec_b64 s[2:3], vcc
	s_cbranch_execz .LBB850_23
; %bb.18:
	s_movk_i32 s8, 0x80
	v_cmp_ne_u16_e32 vcc, s8, v42
	v_mov_b32_e32 v44, 0xffff8000
	s_and_saveexec_b64 s[8:9], vcc
	s_cbranch_execz .LBB850_22
; %bb.19:
	s_movk_i32 s10, 0x7f
	v_and_b32_e32 v45, 0x7f, v42
	v_cmp_ne_u32_e32 vcc, s10, v45
	v_mov_b32_e32 v44, 0x7f80
	s_and_saveexec_b64 s[10:11], vcc
	s_cbranch_execz .LBB850_21
; %bb.20:
	v_and_b32_e32 v44, 7, v42
	v_ffbh_u32_e32 v50, v44
	v_min_u32_e32 v53, 32, v50
	v_subrev_u32_e32 v50, 28, v53
	v_lshlrev_b64 v[50:51], v50, v[42:43]
	v_lshrrev_b32_e32 v52, 3, v45
	v_sub_u32_e32 v42, 29, v53
	v_and_b32_e32 v50, 7, v50
	v_cmp_gt_u32_e32 vcc, 8, v45
	v_cndmask_b32_e32 v42, v52, v42, vcc
	v_cndmask_b32_e32 v44, v44, v50, vcc
	v_lshlrev_b32_e32 v45, 16, v30
	v_bfrev_b32_e32 v50, 60
	v_lshlrev_b32_e32 v44, 20, v44
	v_and_b32_e32 v45, 0x80000000, v45
	v_lshl_add_u32 v42, v42, 23, v50
	v_or3_b32 v42, v45, v42, v44
	v_lshrrev_b32_e32 v44, 16, v42
.LBB850_21:
	s_or_b64 exec, exec, s[10:11]
.LBB850_22:
	s_or_b64 exec, exec, s[8:9]
.LBB850_23:
	s_or_b64 exec, exec, s[2:3]
	s_movk_i32 s2, 0xff
	v_and_b32_sdwa v51, v30, s2 dst_sel:DWORD dst_unused:UNUSED_PAD src0_sel:WORD_1 src1_sel:DWORD
	v_lshrrev_b32_e32 v42, 16, v30
	v_cmp_ne_u16_e32 vcc, 0, v51
	v_mov_b32_e32 v45, 0
	v_mov_b32_e32 v50, 0
	s_and_saveexec_b64 s[2:3], vcc
	s_cbranch_execz .LBB850_29
; %bb.24:
	s_movk_i32 s8, 0x80
	v_cmp_ne_u16_e32 vcc, s8, v51
	v_mov_b32_e32 v50, 0xffff8000
	s_and_saveexec_b64 s[8:9], vcc
	s_cbranch_execz .LBB850_28
; %bb.25:
	v_bfe_u32 v51, v30, 16, 7
	s_movk_i32 s10, 0x7f
	v_cmp_ne_u32_e32 vcc, s10, v51
	v_mov_b32_e32 v50, 0x7f80
	s_and_saveexec_b64 s[10:11], vcc
	s_cbranch_execz .LBB850_27
; %bb.26:
	v_and_b32_e32 v50, 7, v42
	v_ffbh_u32_e32 v52, v50
	v_min_u32_e32 v55, 32, v52
	v_subrev_u32_e32 v52, 28, v55
	v_lshlrev_b64 v[52:53], v52, v[42:43]
	v_lshrrev_b32_e32 v54, 3, v51
	v_sub_u32_e32 v42, 29, v55
	v_and_b32_e32 v52, 7, v52
	v_cmp_gt_u32_e32 vcc, 8, v51
	v_mov_b32_e32 v51, 24
	v_cndmask_b32_e32 v42, v54, v42, vcc
	v_cndmask_b32_e32 v50, v50, v52, vcc
	v_lshlrev_b32_sdwa v51, v51, v30 dst_sel:DWORD dst_unused:UNUSED_PAD src0_sel:DWORD src1_sel:WORD_1
	v_bfrev_b32_e32 v52, 60
	v_lshlrev_b32_e32 v50, 20, v50
	v_and_b32_e32 v51, 0x80000000, v51
	v_lshl_add_u32 v42, v42, 23, v52
	v_or3_b32 v42, v51, v42, v50
	v_lshrrev_b32_e32 v50, 16, v42
.LBB850_27:
	s_or_b64 exec, exec, s[10:11]
.LBB850_28:
	s_or_b64 exec, exec, s[8:9]
.LBB850_29:
	s_or_b64 exec, exec, s[2:3]
	s_mov_b32 s2, 0xffffff
	v_cmp_lt_u32_e32 vcc, s2, v30
	s_and_saveexec_b64 s[2:3], vcc
	s_cbranch_execz .LBB850_35
; %bb.30:
	v_lshrrev_b32_e32 v42, 24, v30
	s_movk_i32 s8, 0x80
	v_cmp_ne_u32_e32 vcc, s8, v42
	v_mov_b32_e32 v45, 0xffff8000
	s_and_saveexec_b64 s[8:9], vcc
	s_cbranch_execz .LBB850_34
; %bb.31:
	v_bfe_u32 v30, v30, 24, 7
	s_movk_i32 s10, 0x7f
	v_cmp_ne_u32_e32 vcc, s10, v30
	v_mov_b32_e32 v45, 0x7f80
	s_and_saveexec_b64 s[10:11], vcc
	s_cbranch_execz .LBB850_33
; %bb.32:
	v_and_b32_e32 v45, 7, v42
	v_ffbh_u32_e32 v52, v45
	v_min_u32_e32 v54, 32, v52
	v_subrev_u32_e32 v52, 28, v54
	v_lshlrev_b64 v[52:53], v52, v[42:43]
	v_lshrrev_b32_e32 v51, 3, v30
	v_sub_u32_e32 v53, 29, v54
	v_and_b32_e32 v52, 7, v52
	v_cmp_gt_u32_e32 vcc, 8, v30
	v_cndmask_b32_e32 v30, v51, v53, vcc
	v_cndmask_b32_e32 v45, v45, v52, vcc
	v_lshlrev_b32_e32 v42, 24, v42
	v_bfrev_b32_e32 v51, 60
	v_lshlrev_b32_e32 v45, 20, v45
	v_and_b32_e32 v42, 0x80000000, v42
	v_lshl_add_u32 v30, v30, 23, v51
	v_or3_b32 v30, v42, v30, v45
	v_lshrrev_b32_e32 v45, 16, v30
.LBB850_33:
	s_or_b64 exec, exec, s[10:11]
.LBB850_34:
	s_or_b64 exec, exec, s[8:9]
.LBB850_35:
	s_or_b64 exec, exec, s[2:3]
	v_mov_b32_e32 v42, 0
	v_cmp_ne_u16_sdwa s[8:9], v31, v42 src0_sel:BYTE_0 src1_sel:DWORD
	v_mov_b32_e32 v51, 0
	s_and_saveexec_b64 s[2:3], s[8:9]
	s_cbranch_execz .LBB850_41
; %bb.36:
	s_movk_i32 s8, 0x80
	v_cmp_ne_u16_sdwa s[10:11], v31, s8 src0_sel:BYTE_0 src1_sel:DWORD
	v_mov_b32_e32 v51, 0xffff8000
	s_and_saveexec_b64 s[8:9], s[10:11]
	s_cbranch_execz .LBB850_40
; %bb.37:
	s_movk_i32 s10, 0x7f
	v_and_b32_e32 v30, 0x7f, v31
	v_cmp_ne_u32_e32 vcc, s10, v30
	v_mov_b32_e32 v51, 0x7f80
	s_and_saveexec_b64 s[10:11], vcc
	s_cbranch_execz .LBB850_39
; %bb.38:
	v_and_b32_e32 v51, 7, v31
	v_ffbh_u32_e32 v53, v51
	v_min_u32_e32 v55, 32, v53
	v_mov_b32_e32 v52, v31
	v_subrev_u32_e32 v53, 28, v55
	v_lshlrev_b64 v[52:53], v53, v[52:53]
	v_lshrrev_b32_e32 v54, 3, v30
	v_sub_u32_e32 v53, 29, v55
	v_and_b32_e32 v52, 7, v52
	v_cmp_gt_u32_e32 vcc, 8, v30
	v_cndmask_b32_e32 v30, v54, v53, vcc
	v_cndmask_b32_e32 v51, v51, v52, vcc
	v_lshlrev_b32_e32 v52, 24, v31
	v_bfrev_b32_e32 v53, 60
	v_lshlrev_b32_e32 v51, 20, v51
	v_and_b32_e32 v52, 0x80000000, v52
	v_lshl_add_u32 v30, v30, 23, v53
	v_or3_b32 v30, v52, v30, v51
	v_lshrrev_b32_e32 v51, 16, v30
.LBB850_39:
	s_or_b64 exec, exec, s[10:11]
.LBB850_40:
	s_or_b64 exec, exec, s[8:9]
.LBB850_41:
	s_or_b64 exec, exec, s[2:3]
	v_lshrrev_b16_e32 v30, 8, v31
	v_cmp_ne_u16_e32 vcc, 0, v30
	s_and_saveexec_b64 s[2:3], vcc
	s_cbranch_execz .LBB850_47
; %bb.42:
	s_movk_i32 s8, 0x80
	v_cmp_ne_u16_e32 vcc, s8, v30
	v_mov_b32_e32 v42, 0xffff8000
	s_and_saveexec_b64 s[8:9], vcc
	s_cbranch_execz .LBB850_46
; %bb.43:
	s_movk_i32 s10, 0x7f
	v_and_b32_e32 v52, 0x7f, v30
	v_cmp_ne_u32_e32 vcc, s10, v52
	v_mov_b32_e32 v42, 0x7f80
	s_and_saveexec_b64 s[10:11], vcc
	s_cbranch_execz .LBB850_45
; %bb.44:
	v_and_b32_e32 v42, 7, v30
	v_ffbh_u32_e32 v54, v42
	v_min_u32_e32 v56, 32, v54
	v_subrev_u32_e32 v54, 28, v56
	v_lshlrev_b64 v[54:55], v54, v[30:31]
	v_lshrrev_b32_e32 v53, 3, v52
	v_sub_u32_e32 v30, 29, v56
	v_and_b32_e32 v54, 7, v54
	v_cmp_gt_u32_e32 vcc, 8, v52
	v_cndmask_b32_e32 v30, v53, v30, vcc
	v_cndmask_b32_e32 v42, v42, v54, vcc
	v_lshlrev_b32_e32 v52, 16, v31
	v_bfrev_b32_e32 v53, 60
	v_lshlrev_b32_e32 v42, 20, v42
	v_and_b32_e32 v52, 0x80000000, v52
	v_lshl_add_u32 v30, v30, 23, v53
	v_or3_b32 v30, v52, v30, v42
	v_lshrrev_b32_e32 v42, 16, v30
.LBB850_45:
	s_or_b64 exec, exec, s[10:11]
.LBB850_46:
	s_or_b64 exec, exec, s[8:9]
.LBB850_47:
	s_or_b64 exec, exec, s[2:3]
	s_movk_i32 s2, 0xff
	v_and_b32_sdwa v54, v31, s2 dst_sel:DWORD dst_unused:UNUSED_PAD src0_sel:WORD_1 src1_sel:DWORD
	v_lshrrev_b32_e32 v30, 16, v31
	v_cmp_ne_u16_e32 vcc, 0, v54
	v_mov_b32_e32 v52, 0
	v_mov_b32_e32 v53, 0
	s_and_saveexec_b64 s[2:3], vcc
	s_cbranch_execz .LBB850_53
; %bb.48:
	s_movk_i32 s8, 0x80
	v_cmp_ne_u16_e32 vcc, s8, v54
	v_mov_b32_e32 v53, 0xffff8000
	s_and_saveexec_b64 s[8:9], vcc
	s_cbranch_execz .LBB850_52
; %bb.49:
	v_bfe_u32 v54, v31, 16, 7
	s_movk_i32 s10, 0x7f
	v_cmp_ne_u32_e32 vcc, s10, v54
	v_mov_b32_e32 v53, 0x7f80
	s_and_saveexec_b64 s[10:11], vcc
	s_cbranch_execz .LBB850_51
; %bb.50:
	v_and_b32_e32 v53, 7, v30
	v_ffbh_u32_e32 v56, v53
	v_min_u32_e32 v58, 32, v56
	v_subrev_u32_e32 v56, 28, v58
	v_lshlrev_b64 v[56:57], v56, v[30:31]
	v_lshrrev_b32_e32 v55, 3, v54
	v_sub_u32_e32 v30, 29, v58
	v_and_b32_e32 v56, 7, v56
	v_cmp_gt_u32_e32 vcc, 8, v54
	v_mov_b32_e32 v54, 24
	v_cndmask_b32_e32 v30, v55, v30, vcc
	v_cndmask_b32_e32 v53, v53, v56, vcc
	v_lshlrev_b32_sdwa v54, v54, v31 dst_sel:DWORD dst_unused:UNUSED_PAD src0_sel:DWORD src1_sel:WORD_1
	v_bfrev_b32_e32 v55, 60
	v_lshlrev_b32_e32 v53, 20, v53
	v_and_b32_e32 v54, 0x80000000, v54
	v_lshl_add_u32 v30, v30, 23, v55
	v_or3_b32 v30, v54, v30, v53
	v_lshrrev_b32_e32 v53, 16, v30
.LBB850_51:
	s_or_b64 exec, exec, s[10:11]
.LBB850_52:
	s_or_b64 exec, exec, s[8:9]
.LBB850_53:
	s_or_b64 exec, exec, s[2:3]
	s_mov_b32 s2, 0xffffff
	v_cmp_lt_u32_e32 vcc, s2, v31
	s_and_saveexec_b64 s[2:3], vcc
	s_cbranch_execz .LBB850_59
; %bb.54:
	v_lshrrev_b32_e32 v30, 24, v31
	s_movk_i32 s8, 0x80
	v_cmp_ne_u32_e32 vcc, s8, v30
	v_mov_b32_e32 v52, 0xffff8000
	s_and_saveexec_b64 s[8:9], vcc
	s_cbranch_execz .LBB850_58
; %bb.55:
	v_bfe_u32 v31, v31, 24, 7
	s_movk_i32 s10, 0x7f
	v_cmp_ne_u32_e32 vcc, s10, v31
	v_mov_b32_e32 v52, 0x7f80
	s_and_saveexec_b64 s[10:11], vcc
	s_cbranch_execz .LBB850_57
; %bb.56:
	v_and_b32_e32 v52, 7, v30
	v_ffbh_u32_e32 v54, v52
	v_min_u32_e32 v57, 32, v54
	v_subrev_u32_e32 v54, 28, v57
	v_lshlrev_b64 v[54:55], v54, v[30:31]
	v_lshrrev_b32_e32 v56, 3, v31
	v_sub_u32_e32 v55, 29, v57
	v_and_b32_e32 v54, 7, v54
	v_cmp_gt_u32_e32 vcc, 8, v31
	v_cndmask_b32_e32 v31, v56, v55, vcc
	v_cndmask_b32_e32 v52, v52, v54, vcc
	v_lshlrev_b32_e32 v30, 24, v30
	v_bfrev_b32_e32 v54, 60
	v_lshlrev_b32_e32 v52, 20, v52
	v_and_b32_e32 v30, 0x80000000, v30
	v_lshl_add_u32 v31, v31, 23, v54
	v_or3_b32 v30, v30, v31, v52
	v_lshrrev_b32_e32 v52, 16, v30
.LBB850_57:
	s_or_b64 exec, exec, s[10:11]
.LBB850_58:
	s_or_b64 exec, exec, s[8:9]
.LBB850_59:
	s_or_b64 exec, exec, s[2:3]
	s_mov_b32 s2, 0x5040100
	v_perm_b32 v31, v45, v50, s2
	v_perm_b32 v30, v44, v43, s2
	;; [unrolled: 1-line block ×4, first 2 shown]
	v_mov_b32_e32 v50, 0
	s_waitcnt lgkmcnt(0)
	v_mfma_f32_16x16x16bf16_1k v[54:57], v[30:31], v[26:27], 0
	v_mov_b32_e32 v31, 0
	v_cmp_ne_u16_sdwa s[8:9], v32, v31 src0_sel:BYTE_0 src1_sel:DWORD
	v_mfma_f32_16x16x16bf16_1k v[42:45], v[42:43], v[28:29], v[54:57]
	s_and_saveexec_b64 s[2:3], s[8:9]
	s_cbranch_execz .LBB850_65
; %bb.60:
	s_movk_i32 s8, 0x80
	v_cmp_ne_u16_sdwa s[10:11], v32, s8 src0_sel:BYTE_0 src1_sel:DWORD
	v_mov_b32_e32 v50, 0xffff8000
	s_and_saveexec_b64 s[8:9], s[10:11]
	s_cbranch_execz .LBB850_64
; %bb.61:
	s_movk_i32 s10, 0x7f
	v_and_b32_e32 v30, 0x7f, v32
	v_cmp_ne_u32_e32 vcc, s10, v30
	v_mov_b32_e32 v50, 0x7f80
	s_and_saveexec_b64 s[10:11], vcc
	s_cbranch_execz .LBB850_63
; %bb.62:
	v_and_b32_e32 v52, 7, v32
	v_ffbh_u32_e32 v50, v52
	v_min_u32_e32 v54, 32, v50
	v_subrev_u32_e32 v50, 28, v54
	v_lshlrev_b64 v[50:51], v50, v[32:33]
	v_lshrrev_b32_e32 v53, 3, v30
	v_sub_u32_e32 v51, 29, v54
	v_and_b32_e32 v50, 7, v50
	v_cmp_gt_u32_e32 vcc, 8, v30
	v_cndmask_b32_e32 v30, v53, v51, vcc
	v_cndmask_b32_e32 v50, v52, v50, vcc
	v_lshlrev_b32_e32 v51, 24, v32
	v_bfrev_b32_e32 v52, 60
	v_lshlrev_b32_e32 v50, 20, v50
	v_and_b32_e32 v51, 0x80000000, v51
	v_lshl_add_u32 v30, v30, 23, v52
	v_or3_b32 v30, v51, v30, v50
	v_lshrrev_b32_e32 v50, 16, v30
.LBB850_63:
	s_or_b64 exec, exec, s[10:11]
.LBB850_64:
	s_or_b64 exec, exec, s[8:9]
.LBB850_65:
	s_or_b64 exec, exec, s[2:3]
	v_lshrrev_b16_e32 v30, 8, v32
	v_cmp_ne_u16_e32 vcc, 0, v30
	s_and_saveexec_b64 s[2:3], vcc
	s_cbranch_execz .LBB850_71
; %bb.66:
	s_movk_i32 s8, 0x80
	v_cmp_ne_u16_e32 vcc, s8, v30
	v_mov_b32_e32 v31, 0xffff8000
	s_and_saveexec_b64 s[8:9], vcc
	s_cbranch_execz .LBB850_70
; %bb.67:
	s_movk_i32 s10, 0x7f
	v_and_b32_e32 v51, 0x7f, v30
	v_cmp_ne_u32_e32 vcc, s10, v51
	v_mov_b32_e32 v31, 0x7f80
	s_and_saveexec_b64 s[10:11], vcc
	s_cbranch_execz .LBB850_69
; %bb.68:
	v_and_b32_e32 v52, 7, v30
	v_ffbh_u32_e32 v31, v52
	v_min_u32_e32 v54, 32, v31
	v_subrev_u32_e32 v31, 28, v54
	v_lshlrev_b64 v[30:31], v31, v[30:31]
	v_lshrrev_b32_e32 v53, 3, v51
	v_sub_u32_e32 v31, 29, v54
	v_and_b32_e32 v30, 7, v30
	v_cmp_gt_u32_e32 vcc, 8, v51
	v_cndmask_b32_e32 v31, v53, v31, vcc
	v_cndmask_b32_e32 v30, v52, v30, vcc
	v_lshlrev_b32_e32 v51, 16, v32
	v_bfrev_b32_e32 v52, 60
	v_lshlrev_b32_e32 v30, 20, v30
	v_and_b32_e32 v51, 0x80000000, v51
	v_lshl_add_u32 v31, v31, 23, v52
	v_or3_b32 v30, v51, v31, v30
	v_lshrrev_b32_e32 v31, 16, v30
.LBB850_69:
	s_or_b64 exec, exec, s[10:11]
.LBB850_70:
	s_or_b64 exec, exec, s[8:9]
.LBB850_71:
	s_or_b64 exec, exec, s[2:3]
	s_movk_i32 s2, 0xff
	v_and_b32_sdwa v53, v32, s2 dst_sel:DWORD dst_unused:UNUSED_PAD src0_sel:WORD_1 src1_sel:DWORD
	v_lshrrev_b32_e32 v30, 16, v32
	v_cmp_ne_u16_e32 vcc, 0, v53
	v_mov_b32_e32 v51, 0
	v_mov_b32_e32 v52, 0
	s_and_saveexec_b64 s[2:3], vcc
	s_cbranch_execz .LBB850_77
; %bb.72:
	s_movk_i32 s8, 0x80
	v_cmp_ne_u16_e32 vcc, s8, v53
	v_mov_b32_e32 v52, 0xffff8000
	s_and_saveexec_b64 s[8:9], vcc
	s_cbranch_execz .LBB850_76
; %bb.73:
	v_bfe_u32 v53, v32, 16, 7
	s_movk_i32 s10, 0x7f
	v_cmp_ne_u32_e32 vcc, s10, v53
	v_mov_b32_e32 v52, 0x7f80
	s_and_saveexec_b64 s[10:11], vcc
	s_cbranch_execz .LBB850_75
; %bb.74:
	v_and_b32_e32 v52, 7, v30
	v_ffbh_u32_e32 v54, v52
	v_min_u32_e32 v57, 32, v54
	v_subrev_u32_e32 v54, 28, v57
	v_lshlrev_b64 v[54:55], v54, v[30:31]
	v_lshrrev_b32_e32 v56, 3, v53
	v_sub_u32_e32 v30, 29, v57
	v_and_b32_e32 v54, 7, v54
	v_cmp_gt_u32_e32 vcc, 8, v53
	v_mov_b32_e32 v53, 24
	v_cndmask_b32_e32 v30, v56, v30, vcc
	v_cndmask_b32_e32 v52, v52, v54, vcc
	v_lshlrev_b32_sdwa v53, v53, v32 dst_sel:DWORD dst_unused:UNUSED_PAD src0_sel:DWORD src1_sel:WORD_1
	v_bfrev_b32_e32 v54, 60
	v_lshlrev_b32_e32 v52, 20, v52
	v_and_b32_e32 v53, 0x80000000, v53
	v_lshl_add_u32 v30, v30, 23, v54
	v_or3_b32 v30, v53, v30, v52
	v_lshrrev_b32_e32 v52, 16, v30
.LBB850_75:
	s_or_b64 exec, exec, s[10:11]
.LBB850_76:
	s_or_b64 exec, exec, s[8:9]
.LBB850_77:
	s_or_b64 exec, exec, s[2:3]
	s_mov_b32 s2, 0xffffff
	v_cmp_lt_u32_e32 vcc, s2, v32
	s_and_saveexec_b64 s[2:3], vcc
	s_cbranch_execz .LBB850_83
; %bb.78:
	v_lshrrev_b32_e32 v30, 24, v32
	s_movk_i32 s8, 0x80
	v_cmp_ne_u32_e32 vcc, s8, v30
	v_mov_b32_e32 v51, 0xffff8000
	s_and_saveexec_b64 s[8:9], vcc
	s_cbranch_execz .LBB850_82
; %bb.79:
	v_bfe_u32 v32, v32, 24, 7
	s_movk_i32 s10, 0x7f
	v_cmp_ne_u32_e32 vcc, s10, v32
	v_mov_b32_e32 v51, 0x7f80
	s_and_saveexec_b64 s[10:11], vcc
	s_cbranch_execz .LBB850_81
; %bb.80:
	v_and_b32_e32 v51, 7, v30
	v_ffbh_u32_e32 v54, v51
	v_min_u32_e32 v56, 32, v54
	v_subrev_u32_e32 v54, 28, v56
	v_lshlrev_b64 v[54:55], v54, v[30:31]
	v_lshrrev_b32_e32 v53, 3, v32
	v_sub_u32_e32 v55, 29, v56
	v_and_b32_e32 v54, 7, v54
	v_cmp_gt_u32_e32 vcc, 8, v32
	v_cndmask_b32_e32 v32, v53, v55, vcc
	v_cndmask_b32_e32 v51, v51, v54, vcc
	v_lshlrev_b32_e32 v30, 24, v30
	v_bfrev_b32_e32 v53, 60
	v_lshlrev_b32_e32 v51, 20, v51
	v_and_b32_e32 v30, 0x80000000, v30
	v_lshl_add_u32 v32, v32, 23, v53
	v_or3_b32 v30, v30, v32, v51
	v_lshrrev_b32_e32 v51, 16, v30
.LBB850_81:
	s_or_b64 exec, exec, s[10:11]
.LBB850_82:
	s_or_b64 exec, exec, s[8:9]
.LBB850_83:
	s_or_b64 exec, exec, s[2:3]
	v_mov_b32_e32 v32, 0
	v_cmp_ne_u16_sdwa s[8:9], v33, v32 src0_sel:BYTE_0 src1_sel:DWORD
	v_mov_b32_e32 v53, 0
	s_and_saveexec_b64 s[2:3], s[8:9]
	s_cbranch_execz .LBB850_89
; %bb.84:
	s_movk_i32 s8, 0x80
	v_cmp_ne_u16_sdwa s[10:11], v33, s8 src0_sel:BYTE_0 src1_sel:DWORD
	v_mov_b32_e32 v53, 0xffff8000
	s_and_saveexec_b64 s[8:9], s[10:11]
	s_cbranch_execz .LBB850_88
; %bb.85:
	s_movk_i32 s10, 0x7f
	v_and_b32_e32 v30, 0x7f, v33
	v_cmp_ne_u32_e32 vcc, s10, v30
	v_mov_b32_e32 v53, 0x7f80
	s_and_saveexec_b64 s[10:11], vcc
	s_cbranch_execz .LBB850_87
; %bb.86:
	v_and_b32_e32 v53, 7, v33
	v_ffbh_u32_e32 v55, v53
	v_min_u32_e32 v57, 32, v55
	v_mov_b32_e32 v54, v33
	v_subrev_u32_e32 v55, 28, v57
	v_lshlrev_b64 v[54:55], v55, v[54:55]
	v_lshrrev_b32_e32 v56, 3, v30
	v_sub_u32_e32 v55, 29, v57
	v_and_b32_e32 v54, 7, v54
	v_cmp_gt_u32_e32 vcc, 8, v30
	v_cndmask_b32_e32 v30, v56, v55, vcc
	v_cndmask_b32_e32 v53, v53, v54, vcc
	v_lshlrev_b32_e32 v54, 24, v33
	v_bfrev_b32_e32 v55, 60
	v_lshlrev_b32_e32 v53, 20, v53
	v_and_b32_e32 v54, 0x80000000, v54
	v_lshl_add_u32 v30, v30, 23, v55
	v_or3_b32 v30, v54, v30, v53
	v_lshrrev_b32_e32 v53, 16, v30
.LBB850_87:
	s_or_b64 exec, exec, s[10:11]
.LBB850_88:
	s_or_b64 exec, exec, s[8:9]
.LBB850_89:
	s_or_b64 exec, exec, s[2:3]
	v_lshrrev_b16_e32 v30, 8, v33
	v_cmp_ne_u16_e32 vcc, 0, v30
	s_and_saveexec_b64 s[2:3], vcc
	s_cbranch_execz .LBB850_95
; %bb.90:
	s_movk_i32 s8, 0x80
	v_cmp_ne_u16_e32 vcc, s8, v30
	v_mov_b32_e32 v32, 0xffff8000
	s_and_saveexec_b64 s[8:9], vcc
	s_cbranch_execz .LBB850_94
; %bb.91:
	s_movk_i32 s10, 0x7f
	v_and_b32_e32 v54, 0x7f, v30
	v_cmp_ne_u32_e32 vcc, s10, v54
	v_mov_b32_e32 v32, 0x7f80
	s_and_saveexec_b64 s[10:11], vcc
	s_cbranch_execz .LBB850_93
; %bb.92:
	v_and_b32_e32 v32, 7, v30
	v_ffbh_u32_e32 v56, v32
	v_min_u32_e32 v58, 32, v56
	v_subrev_u32_e32 v56, 28, v58
	v_lshlrev_b64 v[56:57], v56, v[30:31]
	v_lshrrev_b32_e32 v55, 3, v54
	v_sub_u32_e32 v30, 29, v58
	v_and_b32_e32 v56, 7, v56
	v_cmp_gt_u32_e32 vcc, 8, v54
	v_cndmask_b32_e32 v30, v55, v30, vcc
	v_cndmask_b32_e32 v32, v32, v56, vcc
	v_lshlrev_b32_e32 v54, 16, v33
	v_bfrev_b32_e32 v55, 60
	v_lshlrev_b32_e32 v32, 20, v32
	v_and_b32_e32 v54, 0x80000000, v54
	v_lshl_add_u32 v30, v30, 23, v55
	v_or3_b32 v30, v54, v30, v32
	v_lshrrev_b32_e32 v32, 16, v30
.LBB850_93:
	s_or_b64 exec, exec, s[10:11]
.LBB850_94:
	s_or_b64 exec, exec, s[8:9]
.LBB850_95:
	s_or_b64 exec, exec, s[2:3]
	s_movk_i32 s2, 0xff
	v_and_b32_sdwa v56, v33, s2 dst_sel:DWORD dst_unused:UNUSED_PAD src0_sel:WORD_1 src1_sel:DWORD
	v_lshrrev_b32_e32 v30, 16, v33
	v_cmp_ne_u16_e32 vcc, 0, v56
	v_mov_b32_e32 v54, 0
	v_mov_b32_e32 v55, 0
	s_and_saveexec_b64 s[2:3], vcc
	s_cbranch_execz .LBB850_101
; %bb.96:
	s_movk_i32 s8, 0x80
	v_cmp_ne_u16_e32 vcc, s8, v56
	v_mov_b32_e32 v55, 0xffff8000
	s_and_saveexec_b64 s[8:9], vcc
	s_cbranch_execz .LBB850_100
; %bb.97:
	v_bfe_u32 v56, v33, 16, 7
	s_movk_i32 s10, 0x7f
	v_cmp_ne_u32_e32 vcc, s10, v56
	v_mov_b32_e32 v55, 0x7f80
	s_and_saveexec_b64 s[10:11], vcc
	s_cbranch_execz .LBB850_99
; %bb.98:
	v_and_b32_e32 v55, 7, v30
	v_ffbh_u32_e32 v58, v55
	v_min_u32_e32 v60, 32, v58
	v_subrev_u32_e32 v58, 28, v60
	v_lshlrev_b64 v[58:59], v58, v[30:31]
	v_lshrrev_b32_e32 v57, 3, v56
	v_sub_u32_e32 v30, 29, v60
	v_and_b32_e32 v58, 7, v58
	v_cmp_gt_u32_e32 vcc, 8, v56
	v_mov_b32_e32 v56, 24
	v_cndmask_b32_e32 v30, v57, v30, vcc
	v_cndmask_b32_e32 v55, v55, v58, vcc
	v_lshlrev_b32_sdwa v56, v56, v33 dst_sel:DWORD dst_unused:UNUSED_PAD src0_sel:DWORD src1_sel:WORD_1
	v_bfrev_b32_e32 v57, 60
	v_lshlrev_b32_e32 v55, 20, v55
	v_and_b32_e32 v56, 0x80000000, v56
	v_lshl_add_u32 v30, v30, 23, v57
	v_or3_b32 v30, v56, v30, v55
	v_lshrrev_b32_e32 v55, 16, v30
.LBB850_99:
	s_or_b64 exec, exec, s[10:11]
.LBB850_100:
	s_or_b64 exec, exec, s[8:9]
.LBB850_101:
	s_or_b64 exec, exec, s[2:3]
	s_mov_b32 s2, 0xffffff
	v_cmp_lt_u32_e32 vcc, s2, v33
	s_and_saveexec_b64 s[2:3], vcc
	s_cbranch_execz .LBB850_107
; %bb.102:
	v_lshrrev_b32_e32 v30, 24, v33
	s_movk_i32 s8, 0x80
	v_cmp_ne_u32_e32 vcc, s8, v30
	v_mov_b32_e32 v54, 0xffff8000
	s_and_saveexec_b64 s[8:9], vcc
	s_cbranch_execz .LBB850_106
; %bb.103:
	v_bfe_u32 v33, v33, 24, 7
	s_movk_i32 s10, 0x7f
	v_cmp_ne_u32_e32 vcc, s10, v33
	v_mov_b32_e32 v54, 0x7f80
	s_and_saveexec_b64 s[10:11], vcc
	s_cbranch_execz .LBB850_105
; %bb.104:
	v_and_b32_e32 v54, 7, v30
	v_ffbh_u32_e32 v56, v54
	v_min_u32_e32 v59, 32, v56
	v_subrev_u32_e32 v56, 28, v59
	v_lshlrev_b64 v[56:57], v56, v[30:31]
	v_lshrrev_b32_e32 v58, 3, v33
	v_sub_u32_e32 v57, 29, v59
	v_and_b32_e32 v56, 7, v56
	v_cmp_gt_u32_e32 vcc, 8, v33
	v_cndmask_b32_e32 v33, v58, v57, vcc
	v_cndmask_b32_e32 v54, v54, v56, vcc
	v_lshlrev_b32_e32 v30, 24, v30
	v_bfrev_b32_e32 v56, 60
	v_lshlrev_b32_e32 v54, 20, v54
	v_and_b32_e32 v30, 0x80000000, v30
	v_lshl_add_u32 v33, v33, 23, v56
	v_or3_b32 v30, v30, v33, v54
	v_lshrrev_b32_e32 v54, 16, v30
.LBB850_105:
	s_or_b64 exec, exec, s[10:11]
.LBB850_106:
	s_or_b64 exec, exec, s[8:9]
.LBB850_107:
	s_or_b64 exec, exec, s[2:3]
	s_mov_b32 s2, 0x5040100
	v_perm_b32 v51, v51, v52, s2
	v_perm_b32 v50, v31, v50, s2
	;; [unrolled: 1-line block ×4, first 2 shown]
	v_mfma_f32_16x16x16bf16_1k v[56:59], v[50:51], v[18:19], v[42:45]
	s_nop 6
	v_mov_b32_e32 v43, 0
	s_waitcnt vmcnt(6)
	v_cmp_ne_u16_sdwa s[8:9], v38, v43 src0_sel:BYTE_0 src1_sel:DWORD
	v_mfma_f32_16x16x16bf16_1k v[30:33], v[30:31], v[20:21], v[56:59]
	v_mov_b32_e32 v44, 0
	s_and_saveexec_b64 s[2:3], s[8:9]
	s_cbranch_execz .LBB850_113
; %bb.108:
	s_movk_i32 s8, 0x80
	v_cmp_ne_u16_sdwa s[10:11], v38, s8 src0_sel:BYTE_0 src1_sel:DWORD
	v_mov_b32_e32 v44, 0xffff8000
	s_and_saveexec_b64 s[8:9], s[10:11]
	s_cbranch_execz .LBB850_112
; %bb.109:
	s_movk_i32 s10, 0x7f
	v_and_b32_e32 v42, 0x7f, v38
	v_cmp_ne_u32_e32 vcc, s10, v42
	v_mov_b32_e32 v44, 0x7f80
	s_and_saveexec_b64 s[10:11], vcc
	s_cbranch_execz .LBB850_111
; %bb.110:
	v_and_b32_e32 v50, 7, v38
	v_ffbh_u32_e32 v44, v50
	v_min_u32_e32 v52, 32, v44
	v_subrev_u32_e32 v44, 28, v52
	v_lshlrev_b64 v[44:45], v44, v[38:39]
	v_lshrrev_b32_e32 v51, 3, v42
	v_sub_u32_e32 v45, 29, v52
	v_and_b32_e32 v44, 7, v44
	v_cmp_gt_u32_e32 vcc, 8, v42
	v_cndmask_b32_e32 v42, v51, v45, vcc
	v_cndmask_b32_e32 v44, v50, v44, vcc
	v_lshlrev_b32_e32 v45, 24, v38
	v_bfrev_b32_e32 v50, 60
	v_lshlrev_b32_e32 v44, 20, v44
	v_and_b32_e32 v45, 0x80000000, v45
	v_lshl_add_u32 v42, v42, 23, v50
	v_or3_b32 v42, v45, v42, v44
	v_lshrrev_b32_e32 v44, 16, v42
.LBB850_111:
	s_or_b64 exec, exec, s[10:11]
.LBB850_112:
	s_or_b64 exec, exec, s[8:9]
.LBB850_113:
	s_or_b64 exec, exec, s[2:3]
	v_lshrrev_b16_e32 v42, 8, v38
	v_cmp_ne_u16_e32 vcc, 0, v42
	s_and_saveexec_b64 s[2:3], vcc
	s_cbranch_execz .LBB850_119
; %bb.114:
	s_movk_i32 s8, 0x80
	v_cmp_ne_u16_e32 vcc, s8, v42
	v_mov_b32_e32 v43, 0xffff8000
	s_and_saveexec_b64 s[8:9], vcc
	s_cbranch_execz .LBB850_118
; %bb.115:
	s_movk_i32 s10, 0x7f
	v_and_b32_e32 v45, 0x7f, v42
	v_cmp_ne_u32_e32 vcc, s10, v45
	v_mov_b32_e32 v43, 0x7f80
	s_and_saveexec_b64 s[10:11], vcc
	s_cbranch_execz .LBB850_117
; %bb.116:
	v_and_b32_e32 v50, 7, v42
	v_ffbh_u32_e32 v43, v50
	v_min_u32_e32 v52, 32, v43
	v_subrev_u32_e32 v43, 28, v52
	v_lshlrev_b64 v[42:43], v43, v[42:43]
	v_lshrrev_b32_e32 v51, 3, v45
	v_sub_u32_e32 v43, 29, v52
	v_and_b32_e32 v42, 7, v42
	v_cmp_gt_u32_e32 vcc, 8, v45
	v_cndmask_b32_e32 v43, v51, v43, vcc
	v_cndmask_b32_e32 v42, v50, v42, vcc
	v_lshlrev_b32_e32 v45, 16, v38
	v_bfrev_b32_e32 v50, 60
	v_lshlrev_b32_e32 v42, 20, v42
	v_and_b32_e32 v45, 0x80000000, v45
	v_lshl_add_u32 v43, v43, 23, v50
	v_or3_b32 v42, v45, v43, v42
	v_lshrrev_b32_e32 v43, 16, v42
.LBB850_117:
	s_or_b64 exec, exec, s[10:11]
.LBB850_118:
	s_or_b64 exec, exec, s[8:9]
.LBB850_119:
	s_or_b64 exec, exec, s[2:3]
	s_movk_i32 s2, 0xff
	v_and_b32_sdwa v51, v38, s2 dst_sel:DWORD dst_unused:UNUSED_PAD src0_sel:WORD_1 src1_sel:DWORD
	v_lshrrev_b32_e32 v42, 16, v38
	v_cmp_ne_u16_e32 vcc, 0, v51
	v_mov_b32_e32 v45, 0
	v_mov_b32_e32 v50, 0
	s_and_saveexec_b64 s[2:3], vcc
	s_cbranch_execz .LBB850_125
; %bb.120:
	s_movk_i32 s8, 0x80
	v_cmp_ne_u16_e32 vcc, s8, v51
	v_mov_b32_e32 v50, 0xffff8000
	s_and_saveexec_b64 s[8:9], vcc
	s_cbranch_execz .LBB850_124
; %bb.121:
	v_bfe_u32 v51, v38, 16, 7
	s_movk_i32 s10, 0x7f
	v_cmp_ne_u32_e32 vcc, s10, v51
	v_mov_b32_e32 v50, 0x7f80
	s_and_saveexec_b64 s[10:11], vcc
	s_cbranch_execz .LBB850_123
; %bb.122:
	v_and_b32_e32 v50, 7, v42
	v_ffbh_u32_e32 v52, v50
	v_min_u32_e32 v55, 32, v52
	v_subrev_u32_e32 v52, 28, v55
	v_lshlrev_b64 v[52:53], v52, v[42:43]
	v_lshrrev_b32_e32 v54, 3, v51
	v_sub_u32_e32 v42, 29, v55
	v_and_b32_e32 v52, 7, v52
	v_cmp_gt_u32_e32 vcc, 8, v51
	v_mov_b32_e32 v51, 24
	v_cndmask_b32_e32 v42, v54, v42, vcc
	v_cndmask_b32_e32 v50, v50, v52, vcc
	v_lshlrev_b32_sdwa v51, v51, v38 dst_sel:DWORD dst_unused:UNUSED_PAD src0_sel:DWORD src1_sel:WORD_1
	v_bfrev_b32_e32 v52, 60
	v_lshlrev_b32_e32 v50, 20, v50
	v_and_b32_e32 v51, 0x80000000, v51
	v_lshl_add_u32 v42, v42, 23, v52
	v_or3_b32 v42, v51, v42, v50
	v_lshrrev_b32_e32 v50, 16, v42
.LBB850_123:
	s_or_b64 exec, exec, s[10:11]
.LBB850_124:
	s_or_b64 exec, exec, s[8:9]
.LBB850_125:
	s_or_b64 exec, exec, s[2:3]
	s_mov_b32 s2, 0xffffff
	v_cmp_lt_u32_e32 vcc, s2, v38
	s_and_saveexec_b64 s[2:3], vcc
	s_cbranch_execz .LBB850_131
; %bb.126:
	v_lshrrev_b32_e32 v42, 24, v38
	s_movk_i32 s8, 0x80
	v_cmp_ne_u32_e32 vcc, s8, v42
	v_mov_b32_e32 v45, 0xffff8000
	s_and_saveexec_b64 s[8:9], vcc
	s_cbranch_execz .LBB850_130
; %bb.127:
	v_bfe_u32 v38, v38, 24, 7
	s_movk_i32 s10, 0x7f
	v_cmp_ne_u32_e32 vcc, s10, v38
	v_mov_b32_e32 v45, 0x7f80
	s_and_saveexec_b64 s[10:11], vcc
	s_cbranch_execz .LBB850_129
; %bb.128:
	v_and_b32_e32 v45, 7, v42
	v_ffbh_u32_e32 v52, v45
	v_min_u32_e32 v54, 32, v52
	v_subrev_u32_e32 v52, 28, v54
	v_lshlrev_b64 v[52:53], v52, v[42:43]
	v_lshrrev_b32_e32 v51, 3, v38
	v_sub_u32_e32 v53, 29, v54
	v_and_b32_e32 v52, 7, v52
	v_cmp_gt_u32_e32 vcc, 8, v38
	v_cndmask_b32_e32 v38, v51, v53, vcc
	v_cndmask_b32_e32 v45, v45, v52, vcc
	v_lshlrev_b32_e32 v42, 24, v42
	v_bfrev_b32_e32 v51, 60
	v_lshlrev_b32_e32 v45, 20, v45
	v_and_b32_e32 v42, 0x80000000, v42
	v_lshl_add_u32 v38, v38, 23, v51
	v_or3_b32 v38, v42, v38, v45
	v_lshrrev_b32_e32 v45, 16, v38
.LBB850_129:
	s_or_b64 exec, exec, s[10:11]
.LBB850_130:
	s_or_b64 exec, exec, s[8:9]
.LBB850_131:
	s_or_b64 exec, exec, s[2:3]
	v_mov_b32_e32 v42, 0
	v_cmp_ne_u16_sdwa s[8:9], v39, v42 src0_sel:BYTE_0 src1_sel:DWORD
	v_mov_b32_e32 v51, 0
	s_and_saveexec_b64 s[2:3], s[8:9]
	s_cbranch_execz .LBB850_137
; %bb.132:
	s_movk_i32 s8, 0x80
	v_cmp_ne_u16_sdwa s[10:11], v39, s8 src0_sel:BYTE_0 src1_sel:DWORD
	v_mov_b32_e32 v51, 0xffff8000
	s_and_saveexec_b64 s[8:9], s[10:11]
	s_cbranch_execz .LBB850_136
; %bb.133:
	s_movk_i32 s10, 0x7f
	v_and_b32_e32 v38, 0x7f, v39
	v_cmp_ne_u32_e32 vcc, s10, v38
	v_mov_b32_e32 v51, 0x7f80
	s_and_saveexec_b64 s[10:11], vcc
	s_cbranch_execz .LBB850_135
; %bb.134:
	v_and_b32_e32 v51, 7, v39
	v_ffbh_u32_e32 v53, v51
	v_min_u32_e32 v55, 32, v53
	v_mov_b32_e32 v52, v39
	v_subrev_u32_e32 v53, 28, v55
	v_lshlrev_b64 v[52:53], v53, v[52:53]
	v_lshrrev_b32_e32 v54, 3, v38
	v_sub_u32_e32 v53, 29, v55
	v_and_b32_e32 v52, 7, v52
	v_cmp_gt_u32_e32 vcc, 8, v38
	v_cndmask_b32_e32 v38, v54, v53, vcc
	v_cndmask_b32_e32 v51, v51, v52, vcc
	v_lshlrev_b32_e32 v52, 24, v39
	v_bfrev_b32_e32 v53, 60
	v_lshlrev_b32_e32 v51, 20, v51
	v_and_b32_e32 v52, 0x80000000, v52
	v_lshl_add_u32 v38, v38, 23, v53
	v_or3_b32 v38, v52, v38, v51
	v_lshrrev_b32_e32 v51, 16, v38
.LBB850_135:
	s_or_b64 exec, exec, s[10:11]
.LBB850_136:
	s_or_b64 exec, exec, s[8:9]
.LBB850_137:
	s_or_b64 exec, exec, s[2:3]
	v_lshrrev_b16_e32 v38, 8, v39
	v_cmp_ne_u16_e32 vcc, 0, v38
	s_and_saveexec_b64 s[2:3], vcc
	s_cbranch_execz .LBB850_143
; %bb.138:
	s_movk_i32 s8, 0x80
	v_cmp_ne_u16_e32 vcc, s8, v38
	v_mov_b32_e32 v42, 0xffff8000
	s_and_saveexec_b64 s[8:9], vcc
	s_cbranch_execz .LBB850_142
; %bb.139:
	s_movk_i32 s10, 0x7f
	v_and_b32_e32 v52, 0x7f, v38
	v_cmp_ne_u32_e32 vcc, s10, v52
	v_mov_b32_e32 v42, 0x7f80
	s_and_saveexec_b64 s[10:11], vcc
	s_cbranch_execz .LBB850_141
; %bb.140:
	v_and_b32_e32 v42, 7, v38
	v_ffbh_u32_e32 v54, v42
	v_min_u32_e32 v56, 32, v54
	v_subrev_u32_e32 v54, 28, v56
	v_lshlrev_b64 v[54:55], v54, v[38:39]
	v_lshrrev_b32_e32 v53, 3, v52
	v_sub_u32_e32 v38, 29, v56
	v_and_b32_e32 v54, 7, v54
	v_cmp_gt_u32_e32 vcc, 8, v52
	v_cndmask_b32_e32 v38, v53, v38, vcc
	v_cndmask_b32_e32 v42, v42, v54, vcc
	v_lshlrev_b32_e32 v52, 16, v39
	v_bfrev_b32_e32 v53, 60
	v_lshlrev_b32_e32 v42, 20, v42
	v_and_b32_e32 v52, 0x80000000, v52
	v_lshl_add_u32 v38, v38, 23, v53
	v_or3_b32 v38, v52, v38, v42
	v_lshrrev_b32_e32 v42, 16, v38
.LBB850_141:
	s_or_b64 exec, exec, s[10:11]
.LBB850_142:
	s_or_b64 exec, exec, s[8:9]
.LBB850_143:
	s_or_b64 exec, exec, s[2:3]
	s_movk_i32 s2, 0xff
	v_and_b32_sdwa v54, v39, s2 dst_sel:DWORD dst_unused:UNUSED_PAD src0_sel:WORD_1 src1_sel:DWORD
	v_lshrrev_b32_e32 v38, 16, v39
	v_cmp_ne_u16_e32 vcc, 0, v54
	v_mov_b32_e32 v52, 0
	v_mov_b32_e32 v53, 0
	s_and_saveexec_b64 s[2:3], vcc
	s_cbranch_execz .LBB850_149
; %bb.144:
	s_movk_i32 s8, 0x80
	v_cmp_ne_u16_e32 vcc, s8, v54
	v_mov_b32_e32 v53, 0xffff8000
	s_and_saveexec_b64 s[8:9], vcc
	s_cbranch_execz .LBB850_148
; %bb.145:
	v_bfe_u32 v54, v39, 16, 7
	s_movk_i32 s10, 0x7f
	v_cmp_ne_u32_e32 vcc, s10, v54
	v_mov_b32_e32 v53, 0x7f80
	s_and_saveexec_b64 s[10:11], vcc
	s_cbranch_execz .LBB850_147
; %bb.146:
	v_and_b32_e32 v53, 7, v38
	v_ffbh_u32_e32 v56, v53
	v_min_u32_e32 v58, 32, v56
	v_subrev_u32_e32 v56, 28, v58
	v_lshlrev_b64 v[56:57], v56, v[38:39]
	v_lshrrev_b32_e32 v55, 3, v54
	v_sub_u32_e32 v38, 29, v58
	v_and_b32_e32 v56, 7, v56
	v_cmp_gt_u32_e32 vcc, 8, v54
	v_mov_b32_e32 v54, 24
	v_cndmask_b32_e32 v38, v55, v38, vcc
	v_cndmask_b32_e32 v53, v53, v56, vcc
	v_lshlrev_b32_sdwa v54, v54, v39 dst_sel:DWORD dst_unused:UNUSED_PAD src0_sel:DWORD src1_sel:WORD_1
	v_bfrev_b32_e32 v55, 60
	v_lshlrev_b32_e32 v53, 20, v53
	v_and_b32_e32 v54, 0x80000000, v54
	v_lshl_add_u32 v38, v38, 23, v55
	v_or3_b32 v38, v54, v38, v53
	v_lshrrev_b32_e32 v53, 16, v38
.LBB850_147:
	s_or_b64 exec, exec, s[10:11]
.LBB850_148:
	s_or_b64 exec, exec, s[8:9]
.LBB850_149:
	s_or_b64 exec, exec, s[2:3]
	s_mov_b32 s2, 0xffffff
	v_cmp_lt_u32_e32 vcc, s2, v39
	s_and_saveexec_b64 s[2:3], vcc
	s_cbranch_execz .LBB850_155
; %bb.150:
	v_lshrrev_b32_e32 v38, 24, v39
	s_movk_i32 s8, 0x80
	v_cmp_ne_u32_e32 vcc, s8, v38
	v_mov_b32_e32 v52, 0xffff8000
	s_and_saveexec_b64 s[8:9], vcc
	s_cbranch_execz .LBB850_154
; %bb.151:
	v_bfe_u32 v39, v39, 24, 7
	s_movk_i32 s10, 0x7f
	v_cmp_ne_u32_e32 vcc, s10, v39
	v_mov_b32_e32 v52, 0x7f80
	s_and_saveexec_b64 s[10:11], vcc
	s_cbranch_execz .LBB850_153
; %bb.152:
	v_and_b32_e32 v52, 7, v38
	v_ffbh_u32_e32 v54, v52
	v_min_u32_e32 v57, 32, v54
	v_subrev_u32_e32 v54, 28, v57
	v_lshlrev_b64 v[54:55], v54, v[38:39]
	v_lshrrev_b32_e32 v56, 3, v39
	v_sub_u32_e32 v55, 29, v57
	v_and_b32_e32 v54, 7, v54
	v_cmp_gt_u32_e32 vcc, 8, v39
	v_cndmask_b32_e32 v39, v56, v55, vcc
	v_cndmask_b32_e32 v52, v52, v54, vcc
	v_lshlrev_b32_e32 v38, 24, v38
	v_bfrev_b32_e32 v54, 60
	v_lshlrev_b32_e32 v52, 20, v52
	v_and_b32_e32 v38, 0x80000000, v38
	v_lshl_add_u32 v39, v39, 23, v54
	v_or3_b32 v38, v38, v39, v52
	v_lshrrev_b32_e32 v52, 16, v38
.LBB850_153:
	s_or_b64 exec, exec, s[10:11]
.LBB850_154:
	s_or_b64 exec, exec, s[8:9]
.LBB850_155:
	s_or_b64 exec, exec, s[2:3]
	s_mov_b32 s2, 0x5040100
	v_perm_b32 v39, v45, v50, s2
	v_perm_b32 v38, v43, v44, s2
	;; [unrolled: 1-line block ×4, first 2 shown]
	v_mov_b32_e32 v50, 0
	v_mfma_f32_16x16x16bf16_1k v[54:57], v[38:39], v[26:27], 0
	v_mov_b32_e32 v39, 0
	v_cmp_ne_u16_sdwa s[8:9], v40, v39 src0_sel:BYTE_0 src1_sel:DWORD
	v_mfma_f32_16x16x16bf16_1k v[42:45], v[42:43], v[28:29], v[54:57]
	s_and_saveexec_b64 s[2:3], s[8:9]
	s_cbranch_execz .LBB850_161
; %bb.156:
	s_movk_i32 s8, 0x80
	v_cmp_ne_u16_sdwa s[10:11], v40, s8 src0_sel:BYTE_0 src1_sel:DWORD
	v_mov_b32_e32 v50, 0xffff8000
	s_and_saveexec_b64 s[8:9], s[10:11]
	s_cbranch_execz .LBB850_160
; %bb.157:
	s_movk_i32 s10, 0x7f
	v_and_b32_e32 v38, 0x7f, v40
	v_cmp_ne_u32_e32 vcc, s10, v38
	v_mov_b32_e32 v50, 0x7f80
	s_and_saveexec_b64 s[10:11], vcc
	s_cbranch_execz .LBB850_159
; %bb.158:
	v_and_b32_e32 v52, 7, v40
	v_ffbh_u32_e32 v50, v52
	v_min_u32_e32 v54, 32, v50
	v_subrev_u32_e32 v50, 28, v54
	v_lshlrev_b64 v[50:51], v50, v[40:41]
	v_lshrrev_b32_e32 v53, 3, v38
	v_sub_u32_e32 v51, 29, v54
	v_and_b32_e32 v50, 7, v50
	v_cmp_gt_u32_e32 vcc, 8, v38
	v_cndmask_b32_e32 v38, v53, v51, vcc
	v_cndmask_b32_e32 v50, v52, v50, vcc
	v_lshlrev_b32_e32 v51, 24, v40
	v_bfrev_b32_e32 v52, 60
	v_lshlrev_b32_e32 v50, 20, v50
	v_and_b32_e32 v51, 0x80000000, v51
	v_lshl_add_u32 v38, v38, 23, v52
	v_or3_b32 v38, v51, v38, v50
	v_lshrrev_b32_e32 v50, 16, v38
.LBB850_159:
	s_or_b64 exec, exec, s[10:11]
.LBB850_160:
	s_or_b64 exec, exec, s[8:9]
.LBB850_161:
	s_or_b64 exec, exec, s[2:3]
	v_lshrrev_b16_e32 v38, 8, v40
	v_cmp_ne_u16_e32 vcc, 0, v38
	s_and_saveexec_b64 s[2:3], vcc
	s_cbranch_execz .LBB850_167
; %bb.162:
	s_movk_i32 s8, 0x80
	v_cmp_ne_u16_e32 vcc, s8, v38
	v_mov_b32_e32 v39, 0xffff8000
	s_and_saveexec_b64 s[8:9], vcc
	s_cbranch_execz .LBB850_166
; %bb.163:
	s_movk_i32 s10, 0x7f
	v_and_b32_e32 v51, 0x7f, v38
	v_cmp_ne_u32_e32 vcc, s10, v51
	v_mov_b32_e32 v39, 0x7f80
	s_and_saveexec_b64 s[10:11], vcc
	s_cbranch_execz .LBB850_165
; %bb.164:
	v_and_b32_e32 v52, 7, v38
	v_ffbh_u32_e32 v39, v52
	v_min_u32_e32 v54, 32, v39
	v_subrev_u32_e32 v39, 28, v54
	v_lshlrev_b64 v[38:39], v39, v[38:39]
	v_lshrrev_b32_e32 v53, 3, v51
	v_sub_u32_e32 v39, 29, v54
	v_and_b32_e32 v38, 7, v38
	v_cmp_gt_u32_e32 vcc, 8, v51
	v_cndmask_b32_e32 v39, v53, v39, vcc
	v_cndmask_b32_e32 v38, v52, v38, vcc
	v_lshlrev_b32_e32 v51, 16, v40
	v_bfrev_b32_e32 v52, 60
	v_lshlrev_b32_e32 v38, 20, v38
	v_and_b32_e32 v51, 0x80000000, v51
	v_lshl_add_u32 v39, v39, 23, v52
	v_or3_b32 v38, v51, v39, v38
	v_lshrrev_b32_e32 v39, 16, v38
.LBB850_165:
	s_or_b64 exec, exec, s[10:11]
.LBB850_166:
	s_or_b64 exec, exec, s[8:9]
.LBB850_167:
	s_or_b64 exec, exec, s[2:3]
	s_movk_i32 s2, 0xff
	v_and_b32_sdwa v53, v40, s2 dst_sel:DWORD dst_unused:UNUSED_PAD src0_sel:WORD_1 src1_sel:DWORD
	v_lshrrev_b32_e32 v38, 16, v40
	v_cmp_ne_u16_e32 vcc, 0, v53
	v_mov_b32_e32 v51, 0
	v_mov_b32_e32 v52, 0
	s_and_saveexec_b64 s[2:3], vcc
	s_cbranch_execz .LBB850_173
; %bb.168:
	s_movk_i32 s8, 0x80
	v_cmp_ne_u16_e32 vcc, s8, v53
	v_mov_b32_e32 v52, 0xffff8000
	s_and_saveexec_b64 s[8:9], vcc
	s_cbranch_execz .LBB850_172
; %bb.169:
	v_bfe_u32 v53, v40, 16, 7
	s_movk_i32 s10, 0x7f
	v_cmp_ne_u32_e32 vcc, s10, v53
	v_mov_b32_e32 v52, 0x7f80
	s_and_saveexec_b64 s[10:11], vcc
	s_cbranch_execz .LBB850_171
; %bb.170:
	v_and_b32_e32 v52, 7, v38
	v_ffbh_u32_e32 v54, v52
	v_min_u32_e32 v57, 32, v54
	v_subrev_u32_e32 v54, 28, v57
	v_lshlrev_b64 v[54:55], v54, v[38:39]
	v_lshrrev_b32_e32 v56, 3, v53
	v_sub_u32_e32 v38, 29, v57
	v_and_b32_e32 v54, 7, v54
	v_cmp_gt_u32_e32 vcc, 8, v53
	v_mov_b32_e32 v53, 24
	v_cndmask_b32_e32 v38, v56, v38, vcc
	v_cndmask_b32_e32 v52, v52, v54, vcc
	v_lshlrev_b32_sdwa v53, v53, v40 dst_sel:DWORD dst_unused:UNUSED_PAD src0_sel:DWORD src1_sel:WORD_1
	v_bfrev_b32_e32 v54, 60
	v_lshlrev_b32_e32 v52, 20, v52
	v_and_b32_e32 v53, 0x80000000, v53
	v_lshl_add_u32 v38, v38, 23, v54
	v_or3_b32 v38, v53, v38, v52
	v_lshrrev_b32_e32 v52, 16, v38
.LBB850_171:
	s_or_b64 exec, exec, s[10:11]
.LBB850_172:
	s_or_b64 exec, exec, s[8:9]
.LBB850_173:
	s_or_b64 exec, exec, s[2:3]
	s_mov_b32 s2, 0xffffff
	v_cmp_lt_u32_e32 vcc, s2, v40
	s_and_saveexec_b64 s[2:3], vcc
	s_cbranch_execz .LBB850_179
; %bb.174:
	v_lshrrev_b32_e32 v38, 24, v40
	s_movk_i32 s8, 0x80
	v_cmp_ne_u32_e32 vcc, s8, v38
	v_mov_b32_e32 v51, 0xffff8000
	s_and_saveexec_b64 s[8:9], vcc
	s_cbranch_execz .LBB850_178
; %bb.175:
	v_bfe_u32 v40, v40, 24, 7
	s_movk_i32 s10, 0x7f
	v_cmp_ne_u32_e32 vcc, s10, v40
	v_mov_b32_e32 v51, 0x7f80
	s_and_saveexec_b64 s[10:11], vcc
	s_cbranch_execz .LBB850_177
; %bb.176:
	v_and_b32_e32 v51, 7, v38
	v_ffbh_u32_e32 v54, v51
	v_min_u32_e32 v56, 32, v54
	v_subrev_u32_e32 v54, 28, v56
	v_lshlrev_b64 v[54:55], v54, v[38:39]
	v_lshrrev_b32_e32 v53, 3, v40
	v_sub_u32_e32 v55, 29, v56
	v_and_b32_e32 v54, 7, v54
	v_cmp_gt_u32_e32 vcc, 8, v40
	v_cndmask_b32_e32 v40, v53, v55, vcc
	v_cndmask_b32_e32 v51, v51, v54, vcc
	v_lshlrev_b32_e32 v38, 24, v38
	v_bfrev_b32_e32 v53, 60
	v_lshlrev_b32_e32 v51, 20, v51
	v_and_b32_e32 v38, 0x80000000, v38
	v_lshl_add_u32 v40, v40, 23, v53
	v_or3_b32 v38, v38, v40, v51
	v_lshrrev_b32_e32 v51, 16, v38
.LBB850_177:
	s_or_b64 exec, exec, s[10:11]
.LBB850_178:
	s_or_b64 exec, exec, s[8:9]
.LBB850_179:
	s_or_b64 exec, exec, s[2:3]
	v_mov_b32_e32 v40, 0
	v_cmp_ne_u16_sdwa s[8:9], v41, v40 src0_sel:BYTE_0 src1_sel:DWORD
	v_mov_b32_e32 v53, 0
	s_and_saveexec_b64 s[2:3], s[8:9]
	s_cbranch_execz .LBB850_185
; %bb.180:
	s_movk_i32 s8, 0x80
	v_cmp_ne_u16_sdwa s[10:11], v41, s8 src0_sel:BYTE_0 src1_sel:DWORD
	v_mov_b32_e32 v53, 0xffff8000
	s_and_saveexec_b64 s[8:9], s[10:11]
	s_cbranch_execz .LBB850_184
; %bb.181:
	s_movk_i32 s10, 0x7f
	v_and_b32_e32 v38, 0x7f, v41
	v_cmp_ne_u32_e32 vcc, s10, v38
	v_mov_b32_e32 v53, 0x7f80
	s_and_saveexec_b64 s[10:11], vcc
	s_cbranch_execz .LBB850_183
; %bb.182:
	v_and_b32_e32 v53, 7, v41
	v_ffbh_u32_e32 v55, v53
	v_min_u32_e32 v57, 32, v55
	v_mov_b32_e32 v54, v41
	v_subrev_u32_e32 v55, 28, v57
	v_lshlrev_b64 v[54:55], v55, v[54:55]
	v_lshrrev_b32_e32 v56, 3, v38
	v_sub_u32_e32 v55, 29, v57
	v_and_b32_e32 v54, 7, v54
	v_cmp_gt_u32_e32 vcc, 8, v38
	v_cndmask_b32_e32 v38, v56, v55, vcc
	v_cndmask_b32_e32 v53, v53, v54, vcc
	v_lshlrev_b32_e32 v54, 24, v41
	v_bfrev_b32_e32 v55, 60
	v_lshlrev_b32_e32 v53, 20, v53
	v_and_b32_e32 v54, 0x80000000, v54
	v_lshl_add_u32 v38, v38, 23, v55
	v_or3_b32 v38, v54, v38, v53
	v_lshrrev_b32_e32 v53, 16, v38
.LBB850_183:
	s_or_b64 exec, exec, s[10:11]
.LBB850_184:
	s_or_b64 exec, exec, s[8:9]
.LBB850_185:
	s_or_b64 exec, exec, s[2:3]
	v_lshrrev_b16_e32 v38, 8, v41
	v_cmp_ne_u16_e32 vcc, 0, v38
	s_and_saveexec_b64 s[2:3], vcc
	s_cbranch_execz .LBB850_191
; %bb.186:
	s_movk_i32 s8, 0x80
	v_cmp_ne_u16_e32 vcc, s8, v38
	v_mov_b32_e32 v40, 0xffff8000
	s_and_saveexec_b64 s[8:9], vcc
	s_cbranch_execz .LBB850_190
; %bb.187:
	s_movk_i32 s10, 0x7f
	v_and_b32_e32 v54, 0x7f, v38
	v_cmp_ne_u32_e32 vcc, s10, v54
	v_mov_b32_e32 v40, 0x7f80
	s_and_saveexec_b64 s[10:11], vcc
	s_cbranch_execz .LBB850_189
; %bb.188:
	v_and_b32_e32 v40, 7, v38
	v_ffbh_u32_e32 v56, v40
	v_min_u32_e32 v58, 32, v56
	v_subrev_u32_e32 v56, 28, v58
	v_lshlrev_b64 v[56:57], v56, v[38:39]
	v_lshrrev_b32_e32 v55, 3, v54
	v_sub_u32_e32 v38, 29, v58
	v_and_b32_e32 v56, 7, v56
	v_cmp_gt_u32_e32 vcc, 8, v54
	v_cndmask_b32_e32 v38, v55, v38, vcc
	v_cndmask_b32_e32 v40, v40, v56, vcc
	v_lshlrev_b32_e32 v54, 16, v41
	v_bfrev_b32_e32 v55, 60
	v_lshlrev_b32_e32 v40, 20, v40
	v_and_b32_e32 v54, 0x80000000, v54
	v_lshl_add_u32 v38, v38, 23, v55
	v_or3_b32 v38, v54, v38, v40
	v_lshrrev_b32_e32 v40, 16, v38
.LBB850_189:
	s_or_b64 exec, exec, s[10:11]
.LBB850_190:
	s_or_b64 exec, exec, s[8:9]
.LBB850_191:
	s_or_b64 exec, exec, s[2:3]
	s_movk_i32 s2, 0xff
	v_and_b32_sdwa v56, v41, s2 dst_sel:DWORD dst_unused:UNUSED_PAD src0_sel:WORD_1 src1_sel:DWORD
	v_lshrrev_b32_e32 v38, 16, v41
	v_cmp_ne_u16_e32 vcc, 0, v56
	v_mov_b32_e32 v54, 0
	v_mov_b32_e32 v55, 0
	s_and_saveexec_b64 s[2:3], vcc
	s_cbranch_execz .LBB850_197
; %bb.192:
	s_movk_i32 s8, 0x80
	v_cmp_ne_u16_e32 vcc, s8, v56
	v_mov_b32_e32 v55, 0xffff8000
	s_and_saveexec_b64 s[8:9], vcc
	s_cbranch_execz .LBB850_196
; %bb.193:
	v_bfe_u32 v56, v41, 16, 7
	s_movk_i32 s10, 0x7f
	v_cmp_ne_u32_e32 vcc, s10, v56
	v_mov_b32_e32 v55, 0x7f80
	s_and_saveexec_b64 s[10:11], vcc
	s_cbranch_execz .LBB850_195
; %bb.194:
	v_and_b32_e32 v55, 7, v38
	v_ffbh_u32_e32 v58, v55
	v_min_u32_e32 v60, 32, v58
	v_subrev_u32_e32 v58, 28, v60
	v_lshlrev_b64 v[58:59], v58, v[38:39]
	v_lshrrev_b32_e32 v57, 3, v56
	v_sub_u32_e32 v38, 29, v60
	v_and_b32_e32 v58, 7, v58
	v_cmp_gt_u32_e32 vcc, 8, v56
	v_mov_b32_e32 v56, 24
	v_cndmask_b32_e32 v38, v57, v38, vcc
	v_cndmask_b32_e32 v55, v55, v58, vcc
	v_lshlrev_b32_sdwa v56, v56, v41 dst_sel:DWORD dst_unused:UNUSED_PAD src0_sel:DWORD src1_sel:WORD_1
	v_bfrev_b32_e32 v57, 60
	v_lshlrev_b32_e32 v55, 20, v55
	v_and_b32_e32 v56, 0x80000000, v56
	v_lshl_add_u32 v38, v38, 23, v57
	v_or3_b32 v38, v56, v38, v55
	v_lshrrev_b32_e32 v55, 16, v38
.LBB850_195:
	s_or_b64 exec, exec, s[10:11]
.LBB850_196:
	s_or_b64 exec, exec, s[8:9]
.LBB850_197:
	s_or_b64 exec, exec, s[2:3]
	s_mov_b32 s2, 0xffffff
	v_cmp_lt_u32_e32 vcc, s2, v41
	s_and_saveexec_b64 s[2:3], vcc
	s_cbranch_execz .LBB850_203
; %bb.198:
	v_lshrrev_b32_e32 v38, 24, v41
	s_movk_i32 s8, 0x80
	v_cmp_ne_u32_e32 vcc, s8, v38
	v_mov_b32_e32 v54, 0xffff8000
	s_and_saveexec_b64 s[8:9], vcc
	s_cbranch_execz .LBB850_202
; %bb.199:
	v_bfe_u32 v41, v41, 24, 7
	s_movk_i32 s10, 0x7f
	v_cmp_ne_u32_e32 vcc, s10, v41
	v_mov_b32_e32 v54, 0x7f80
	s_and_saveexec_b64 s[10:11], vcc
	s_cbranch_execz .LBB850_201
; %bb.200:
	v_and_b32_e32 v54, 7, v38
	v_ffbh_u32_e32 v56, v54
	v_min_u32_e32 v59, 32, v56
	v_subrev_u32_e32 v56, 28, v59
	v_lshlrev_b64 v[56:57], v56, v[38:39]
	v_lshrrev_b32_e32 v58, 3, v41
	v_sub_u32_e32 v57, 29, v59
	v_and_b32_e32 v56, 7, v56
	v_cmp_gt_u32_e32 vcc, 8, v41
	v_cndmask_b32_e32 v41, v58, v57, vcc
	v_cndmask_b32_e32 v54, v54, v56, vcc
	v_lshlrev_b32_e32 v38, 24, v38
	v_bfrev_b32_e32 v56, 60
	v_lshlrev_b32_e32 v54, 20, v54
	v_and_b32_e32 v38, 0x80000000, v38
	v_lshl_add_u32 v41, v41, 23, v56
	v_or3_b32 v38, v38, v41, v54
	v_lshrrev_b32_e32 v54, 16, v38
.LBB850_201:
	s_or_b64 exec, exec, s[10:11]
.LBB850_202:
	s_or_b64 exec, exec, s[8:9]
.LBB850_203:
	s_or_b64 exec, exec, s[2:3]
	s_mov_b32 s2, 0x5040100
	v_perm_b32 v51, v51, v52, s2
	v_perm_b32 v50, v39, v50, s2
	;; [unrolled: 1-line block ×4, first 2 shown]
	v_mfma_f32_16x16x16bf16_1k v[56:59], v[50:51], v[18:19], v[42:45]
	s_nop 6
	v_mov_b32_e32 v43, 0
	s_waitcnt vmcnt(5)
	v_cmp_ne_u16_sdwa s[8:9], v34, v43 src0_sel:BYTE_0 src1_sel:DWORD
	v_mfma_f32_16x16x16bf16_1k v[38:41], v[38:39], v[20:21], v[56:59]
	v_mov_b32_e32 v44, 0
	s_and_saveexec_b64 s[2:3], s[8:9]
	s_cbranch_execz .LBB850_209
; %bb.204:
	s_movk_i32 s8, 0x80
	v_cmp_ne_u16_sdwa s[10:11], v34, s8 src0_sel:BYTE_0 src1_sel:DWORD
	v_mov_b32_e32 v44, 0xffff8000
	s_and_saveexec_b64 s[8:9], s[10:11]
	s_cbranch_execz .LBB850_208
; %bb.205:
	s_movk_i32 s10, 0x7f
	v_and_b32_e32 v42, 0x7f, v34
	v_cmp_ne_u32_e32 vcc, s10, v42
	v_mov_b32_e32 v44, 0x7f80
	s_and_saveexec_b64 s[10:11], vcc
	s_cbranch_execz .LBB850_207
; %bb.206:
	v_and_b32_e32 v50, 7, v34
	v_ffbh_u32_e32 v44, v50
	v_min_u32_e32 v52, 32, v44
	v_subrev_u32_e32 v44, 28, v52
	v_lshlrev_b64 v[44:45], v44, v[34:35]
	v_lshrrev_b32_e32 v51, 3, v42
	v_sub_u32_e32 v45, 29, v52
	v_and_b32_e32 v44, 7, v44
	v_cmp_gt_u32_e32 vcc, 8, v42
	v_cndmask_b32_e32 v42, v51, v45, vcc
	v_cndmask_b32_e32 v44, v50, v44, vcc
	v_lshlrev_b32_e32 v45, 24, v34
	v_bfrev_b32_e32 v50, 60
	v_lshlrev_b32_e32 v44, 20, v44
	v_and_b32_e32 v45, 0x80000000, v45
	v_lshl_add_u32 v42, v42, 23, v50
	v_or3_b32 v42, v45, v42, v44
	v_lshrrev_b32_e32 v44, 16, v42
.LBB850_207:
	s_or_b64 exec, exec, s[10:11]
.LBB850_208:
	s_or_b64 exec, exec, s[8:9]
.LBB850_209:
	s_or_b64 exec, exec, s[2:3]
	v_lshrrev_b16_e32 v42, 8, v34
	v_cmp_ne_u16_e32 vcc, 0, v42
	s_and_saveexec_b64 s[2:3], vcc
	s_cbranch_execz .LBB850_215
; %bb.210:
	s_movk_i32 s8, 0x80
	v_cmp_ne_u16_e32 vcc, s8, v42
	v_mov_b32_e32 v43, 0xffff8000
	s_and_saveexec_b64 s[8:9], vcc
	s_cbranch_execz .LBB850_214
; %bb.211:
	s_movk_i32 s10, 0x7f
	v_and_b32_e32 v45, 0x7f, v42
	v_cmp_ne_u32_e32 vcc, s10, v45
	v_mov_b32_e32 v43, 0x7f80
	s_and_saveexec_b64 s[10:11], vcc
	s_cbranch_execz .LBB850_213
; %bb.212:
	v_and_b32_e32 v50, 7, v42
	v_ffbh_u32_e32 v43, v50
	v_min_u32_e32 v52, 32, v43
	v_subrev_u32_e32 v43, 28, v52
	v_lshlrev_b64 v[42:43], v43, v[42:43]
	v_lshrrev_b32_e32 v51, 3, v45
	v_sub_u32_e32 v43, 29, v52
	v_and_b32_e32 v42, 7, v42
	v_cmp_gt_u32_e32 vcc, 8, v45
	v_cndmask_b32_e32 v43, v51, v43, vcc
	v_cndmask_b32_e32 v42, v50, v42, vcc
	v_lshlrev_b32_e32 v45, 16, v34
	v_bfrev_b32_e32 v50, 60
	v_lshlrev_b32_e32 v42, 20, v42
	v_and_b32_e32 v45, 0x80000000, v45
	v_lshl_add_u32 v43, v43, 23, v50
	v_or3_b32 v42, v45, v43, v42
	v_lshrrev_b32_e32 v43, 16, v42
.LBB850_213:
	s_or_b64 exec, exec, s[10:11]
.LBB850_214:
	s_or_b64 exec, exec, s[8:9]
.LBB850_215:
	s_or_b64 exec, exec, s[2:3]
	s_movk_i32 s2, 0xff
	v_and_b32_sdwa v51, v34, s2 dst_sel:DWORD dst_unused:UNUSED_PAD src0_sel:WORD_1 src1_sel:DWORD
	v_lshrrev_b32_e32 v42, 16, v34
	v_cmp_ne_u16_e32 vcc, 0, v51
	v_mov_b32_e32 v45, 0
	v_mov_b32_e32 v50, 0
	s_and_saveexec_b64 s[2:3], vcc
	s_cbranch_execz .LBB850_221
; %bb.216:
	s_movk_i32 s8, 0x80
	v_cmp_ne_u16_e32 vcc, s8, v51
	v_mov_b32_e32 v50, 0xffff8000
	s_and_saveexec_b64 s[8:9], vcc
	s_cbranch_execz .LBB850_220
; %bb.217:
	v_bfe_u32 v51, v34, 16, 7
	s_movk_i32 s10, 0x7f
	v_cmp_ne_u32_e32 vcc, s10, v51
	v_mov_b32_e32 v50, 0x7f80
	s_and_saveexec_b64 s[10:11], vcc
	s_cbranch_execz .LBB850_219
; %bb.218:
	v_and_b32_e32 v50, 7, v42
	v_ffbh_u32_e32 v52, v50
	v_min_u32_e32 v55, 32, v52
	v_subrev_u32_e32 v52, 28, v55
	v_lshlrev_b64 v[52:53], v52, v[42:43]
	v_lshrrev_b32_e32 v54, 3, v51
	v_sub_u32_e32 v42, 29, v55
	v_and_b32_e32 v52, 7, v52
	v_cmp_gt_u32_e32 vcc, 8, v51
	v_mov_b32_e32 v51, 24
	v_cndmask_b32_e32 v42, v54, v42, vcc
	v_cndmask_b32_e32 v50, v50, v52, vcc
	v_lshlrev_b32_sdwa v51, v51, v34 dst_sel:DWORD dst_unused:UNUSED_PAD src0_sel:DWORD src1_sel:WORD_1
	v_bfrev_b32_e32 v52, 60
	v_lshlrev_b32_e32 v50, 20, v50
	v_and_b32_e32 v51, 0x80000000, v51
	v_lshl_add_u32 v42, v42, 23, v52
	v_or3_b32 v42, v51, v42, v50
	v_lshrrev_b32_e32 v50, 16, v42
.LBB850_219:
	s_or_b64 exec, exec, s[10:11]
.LBB850_220:
	s_or_b64 exec, exec, s[8:9]
.LBB850_221:
	s_or_b64 exec, exec, s[2:3]
	s_mov_b32 s2, 0xffffff
	v_cmp_lt_u32_e32 vcc, s2, v34
	s_and_saveexec_b64 s[2:3], vcc
	s_cbranch_execz .LBB850_227
; %bb.222:
	v_lshrrev_b32_e32 v42, 24, v34
	s_movk_i32 s8, 0x80
	v_cmp_ne_u32_e32 vcc, s8, v42
	v_mov_b32_e32 v45, 0xffff8000
	s_and_saveexec_b64 s[8:9], vcc
	s_cbranch_execz .LBB850_226
; %bb.223:
	v_bfe_u32 v34, v34, 24, 7
	s_movk_i32 s10, 0x7f
	v_cmp_ne_u32_e32 vcc, s10, v34
	v_mov_b32_e32 v45, 0x7f80
	s_and_saveexec_b64 s[10:11], vcc
	s_cbranch_execz .LBB850_225
; %bb.224:
	v_and_b32_e32 v45, 7, v42
	v_ffbh_u32_e32 v52, v45
	v_min_u32_e32 v54, 32, v52
	v_subrev_u32_e32 v52, 28, v54
	v_lshlrev_b64 v[52:53], v52, v[42:43]
	v_lshrrev_b32_e32 v51, 3, v34
	v_sub_u32_e32 v53, 29, v54
	v_and_b32_e32 v52, 7, v52
	v_cmp_gt_u32_e32 vcc, 8, v34
	v_cndmask_b32_e32 v34, v51, v53, vcc
	v_cndmask_b32_e32 v45, v45, v52, vcc
	v_lshlrev_b32_e32 v42, 24, v42
	v_bfrev_b32_e32 v51, 60
	v_lshlrev_b32_e32 v45, 20, v45
	v_and_b32_e32 v42, 0x80000000, v42
	v_lshl_add_u32 v34, v34, 23, v51
	v_or3_b32 v34, v42, v34, v45
	v_lshrrev_b32_e32 v45, 16, v34
.LBB850_225:
	s_or_b64 exec, exec, s[10:11]
.LBB850_226:
	s_or_b64 exec, exec, s[8:9]
.LBB850_227:
	s_or_b64 exec, exec, s[2:3]
	v_mov_b32_e32 v42, 0
	v_cmp_ne_u16_sdwa s[8:9], v35, v42 src0_sel:BYTE_0 src1_sel:DWORD
	v_mov_b32_e32 v51, 0
	s_and_saveexec_b64 s[2:3], s[8:9]
	s_cbranch_execz .LBB850_233
; %bb.228:
	s_movk_i32 s8, 0x80
	v_cmp_ne_u16_sdwa s[10:11], v35, s8 src0_sel:BYTE_0 src1_sel:DWORD
	v_mov_b32_e32 v51, 0xffff8000
	s_and_saveexec_b64 s[8:9], s[10:11]
	s_cbranch_execz .LBB850_232
; %bb.229:
	s_movk_i32 s10, 0x7f
	v_and_b32_e32 v34, 0x7f, v35
	v_cmp_ne_u32_e32 vcc, s10, v34
	v_mov_b32_e32 v51, 0x7f80
	s_and_saveexec_b64 s[10:11], vcc
	s_cbranch_execz .LBB850_231
; %bb.230:
	v_and_b32_e32 v51, 7, v35
	v_ffbh_u32_e32 v53, v51
	v_min_u32_e32 v55, 32, v53
	v_mov_b32_e32 v52, v35
	v_subrev_u32_e32 v53, 28, v55
	v_lshlrev_b64 v[52:53], v53, v[52:53]
	v_lshrrev_b32_e32 v54, 3, v34
	v_sub_u32_e32 v53, 29, v55
	v_and_b32_e32 v52, 7, v52
	v_cmp_gt_u32_e32 vcc, 8, v34
	v_cndmask_b32_e32 v34, v54, v53, vcc
	v_cndmask_b32_e32 v51, v51, v52, vcc
	v_lshlrev_b32_e32 v52, 24, v35
	v_bfrev_b32_e32 v53, 60
	v_lshlrev_b32_e32 v51, 20, v51
	v_and_b32_e32 v52, 0x80000000, v52
	v_lshl_add_u32 v34, v34, 23, v53
	v_or3_b32 v34, v52, v34, v51
	v_lshrrev_b32_e32 v51, 16, v34
.LBB850_231:
	s_or_b64 exec, exec, s[10:11]
.LBB850_232:
	s_or_b64 exec, exec, s[8:9]
.LBB850_233:
	s_or_b64 exec, exec, s[2:3]
	v_lshrrev_b16_e32 v34, 8, v35
	v_cmp_ne_u16_e32 vcc, 0, v34
	s_and_saveexec_b64 s[2:3], vcc
	s_cbranch_execz .LBB850_239
; %bb.234:
	s_movk_i32 s8, 0x80
	v_cmp_ne_u16_e32 vcc, s8, v34
	v_mov_b32_e32 v42, 0xffff8000
	s_and_saveexec_b64 s[8:9], vcc
	s_cbranch_execz .LBB850_238
; %bb.235:
	s_movk_i32 s10, 0x7f
	v_and_b32_e32 v52, 0x7f, v34
	v_cmp_ne_u32_e32 vcc, s10, v52
	v_mov_b32_e32 v42, 0x7f80
	s_and_saveexec_b64 s[10:11], vcc
	s_cbranch_execz .LBB850_237
; %bb.236:
	v_and_b32_e32 v42, 7, v34
	v_ffbh_u32_e32 v54, v42
	v_min_u32_e32 v56, 32, v54
	v_subrev_u32_e32 v54, 28, v56
	v_lshlrev_b64 v[54:55], v54, v[34:35]
	v_lshrrev_b32_e32 v53, 3, v52
	v_sub_u32_e32 v34, 29, v56
	v_and_b32_e32 v54, 7, v54
	v_cmp_gt_u32_e32 vcc, 8, v52
	v_cndmask_b32_e32 v34, v53, v34, vcc
	v_cndmask_b32_e32 v42, v42, v54, vcc
	v_lshlrev_b32_e32 v52, 16, v35
	v_bfrev_b32_e32 v53, 60
	v_lshlrev_b32_e32 v42, 20, v42
	v_and_b32_e32 v52, 0x80000000, v52
	v_lshl_add_u32 v34, v34, 23, v53
	v_or3_b32 v34, v52, v34, v42
	v_lshrrev_b32_e32 v42, 16, v34
.LBB850_237:
	s_or_b64 exec, exec, s[10:11]
.LBB850_238:
	s_or_b64 exec, exec, s[8:9]
.LBB850_239:
	s_or_b64 exec, exec, s[2:3]
	s_movk_i32 s2, 0xff
	v_and_b32_sdwa v54, v35, s2 dst_sel:DWORD dst_unused:UNUSED_PAD src0_sel:WORD_1 src1_sel:DWORD
	v_lshrrev_b32_e32 v34, 16, v35
	v_cmp_ne_u16_e32 vcc, 0, v54
	v_mov_b32_e32 v52, 0
	v_mov_b32_e32 v53, 0
	s_and_saveexec_b64 s[2:3], vcc
	s_cbranch_execz .LBB850_245
; %bb.240:
	s_movk_i32 s8, 0x80
	v_cmp_ne_u16_e32 vcc, s8, v54
	v_mov_b32_e32 v53, 0xffff8000
	s_and_saveexec_b64 s[8:9], vcc
	s_cbranch_execz .LBB850_244
; %bb.241:
	v_bfe_u32 v54, v35, 16, 7
	s_movk_i32 s10, 0x7f
	v_cmp_ne_u32_e32 vcc, s10, v54
	v_mov_b32_e32 v53, 0x7f80
	s_and_saveexec_b64 s[10:11], vcc
	s_cbranch_execz .LBB850_243
; %bb.242:
	v_and_b32_e32 v53, 7, v34
	v_ffbh_u32_e32 v56, v53
	v_min_u32_e32 v58, 32, v56
	v_subrev_u32_e32 v56, 28, v58
	v_lshlrev_b64 v[56:57], v56, v[34:35]
	v_lshrrev_b32_e32 v55, 3, v54
	v_sub_u32_e32 v34, 29, v58
	v_and_b32_e32 v56, 7, v56
	v_cmp_gt_u32_e32 vcc, 8, v54
	v_mov_b32_e32 v54, 24
	v_cndmask_b32_e32 v34, v55, v34, vcc
	v_cndmask_b32_e32 v53, v53, v56, vcc
	v_lshlrev_b32_sdwa v54, v54, v35 dst_sel:DWORD dst_unused:UNUSED_PAD src0_sel:DWORD src1_sel:WORD_1
	v_bfrev_b32_e32 v55, 60
	v_lshlrev_b32_e32 v53, 20, v53
	v_and_b32_e32 v54, 0x80000000, v54
	v_lshl_add_u32 v34, v34, 23, v55
	v_or3_b32 v34, v54, v34, v53
	v_lshrrev_b32_e32 v53, 16, v34
.LBB850_243:
	s_or_b64 exec, exec, s[10:11]
.LBB850_244:
	s_or_b64 exec, exec, s[8:9]
.LBB850_245:
	s_or_b64 exec, exec, s[2:3]
	s_mov_b32 s2, 0xffffff
	v_cmp_lt_u32_e32 vcc, s2, v35
	s_and_saveexec_b64 s[2:3], vcc
	s_cbranch_execz .LBB850_251
; %bb.246:
	v_lshrrev_b32_e32 v34, 24, v35
	s_movk_i32 s8, 0x80
	v_cmp_ne_u32_e32 vcc, s8, v34
	v_mov_b32_e32 v52, 0xffff8000
	s_and_saveexec_b64 s[8:9], vcc
	s_cbranch_execz .LBB850_250
; %bb.247:
	v_bfe_u32 v35, v35, 24, 7
	s_movk_i32 s10, 0x7f
	v_cmp_ne_u32_e32 vcc, s10, v35
	v_mov_b32_e32 v52, 0x7f80
	s_and_saveexec_b64 s[10:11], vcc
	s_cbranch_execz .LBB850_249
; %bb.248:
	v_and_b32_e32 v52, 7, v34
	v_ffbh_u32_e32 v54, v52
	v_min_u32_e32 v57, 32, v54
	v_subrev_u32_e32 v54, 28, v57
	v_lshlrev_b64 v[54:55], v54, v[34:35]
	v_lshrrev_b32_e32 v56, 3, v35
	v_sub_u32_e32 v55, 29, v57
	v_and_b32_e32 v54, 7, v54
	v_cmp_gt_u32_e32 vcc, 8, v35
	v_cndmask_b32_e32 v35, v56, v55, vcc
	v_cndmask_b32_e32 v52, v52, v54, vcc
	v_lshlrev_b32_e32 v34, 24, v34
	v_bfrev_b32_e32 v54, 60
	v_lshlrev_b32_e32 v52, 20, v52
	v_and_b32_e32 v34, 0x80000000, v34
	v_lshl_add_u32 v35, v35, 23, v54
	v_or3_b32 v34, v34, v35, v52
	v_lshrrev_b32_e32 v52, 16, v34
.LBB850_249:
	s_or_b64 exec, exec, s[10:11]
.LBB850_250:
	s_or_b64 exec, exec, s[8:9]
.LBB850_251:
	s_or_b64 exec, exec, s[2:3]
	s_mov_b32 s2, 0x5040100
	v_perm_b32 v35, v45, v50, s2
	v_perm_b32 v34, v43, v44, s2
	;; [unrolled: 1-line block ×4, first 2 shown]
	v_mov_b32_e32 v50, 0
	v_mfma_f32_16x16x16bf16_1k v[54:57], v[34:35], v[26:27], 0
	v_mov_b32_e32 v35, 0
	v_cmp_ne_u16_sdwa s[8:9], v36, v35 src0_sel:BYTE_0 src1_sel:DWORD
	v_mfma_f32_16x16x16bf16_1k v[42:45], v[42:43], v[28:29], v[54:57]
	s_and_saveexec_b64 s[2:3], s[8:9]
	s_cbranch_execz .LBB850_257
; %bb.252:
	s_movk_i32 s8, 0x80
	v_cmp_ne_u16_sdwa s[10:11], v36, s8 src0_sel:BYTE_0 src1_sel:DWORD
	v_mov_b32_e32 v50, 0xffff8000
	s_and_saveexec_b64 s[8:9], s[10:11]
	s_cbranch_execz .LBB850_256
; %bb.253:
	s_movk_i32 s10, 0x7f
	v_and_b32_e32 v34, 0x7f, v36
	v_cmp_ne_u32_e32 vcc, s10, v34
	v_mov_b32_e32 v50, 0x7f80
	s_and_saveexec_b64 s[10:11], vcc
	s_cbranch_execz .LBB850_255
; %bb.254:
	v_and_b32_e32 v52, 7, v36
	v_ffbh_u32_e32 v50, v52
	v_min_u32_e32 v54, 32, v50
	v_subrev_u32_e32 v50, 28, v54
	v_lshlrev_b64 v[50:51], v50, v[36:37]
	v_lshrrev_b32_e32 v53, 3, v34
	v_sub_u32_e32 v51, 29, v54
	v_and_b32_e32 v50, 7, v50
	v_cmp_gt_u32_e32 vcc, 8, v34
	v_cndmask_b32_e32 v34, v53, v51, vcc
	v_cndmask_b32_e32 v50, v52, v50, vcc
	v_lshlrev_b32_e32 v51, 24, v36
	v_bfrev_b32_e32 v52, 60
	v_lshlrev_b32_e32 v50, 20, v50
	v_and_b32_e32 v51, 0x80000000, v51
	v_lshl_add_u32 v34, v34, 23, v52
	v_or3_b32 v34, v51, v34, v50
	v_lshrrev_b32_e32 v50, 16, v34
.LBB850_255:
	s_or_b64 exec, exec, s[10:11]
.LBB850_256:
	s_or_b64 exec, exec, s[8:9]
.LBB850_257:
	s_or_b64 exec, exec, s[2:3]
	v_lshrrev_b16_e32 v34, 8, v36
	v_cmp_ne_u16_e32 vcc, 0, v34
	s_and_saveexec_b64 s[2:3], vcc
	s_cbranch_execz .LBB850_263
; %bb.258:
	s_movk_i32 s8, 0x80
	v_cmp_ne_u16_e32 vcc, s8, v34
	v_mov_b32_e32 v35, 0xffff8000
	s_and_saveexec_b64 s[8:9], vcc
	s_cbranch_execz .LBB850_262
; %bb.259:
	s_movk_i32 s10, 0x7f
	v_and_b32_e32 v51, 0x7f, v34
	v_cmp_ne_u32_e32 vcc, s10, v51
	v_mov_b32_e32 v35, 0x7f80
	s_and_saveexec_b64 s[10:11], vcc
	s_cbranch_execz .LBB850_261
; %bb.260:
	v_and_b32_e32 v52, 7, v34
	v_ffbh_u32_e32 v35, v52
	v_min_u32_e32 v54, 32, v35
	v_subrev_u32_e32 v35, 28, v54
	v_lshlrev_b64 v[34:35], v35, v[34:35]
	v_lshrrev_b32_e32 v53, 3, v51
	v_sub_u32_e32 v35, 29, v54
	v_and_b32_e32 v34, 7, v34
	v_cmp_gt_u32_e32 vcc, 8, v51
	v_cndmask_b32_e32 v35, v53, v35, vcc
	v_cndmask_b32_e32 v34, v52, v34, vcc
	v_lshlrev_b32_e32 v51, 16, v36
	v_bfrev_b32_e32 v52, 60
	v_lshlrev_b32_e32 v34, 20, v34
	v_and_b32_e32 v51, 0x80000000, v51
	v_lshl_add_u32 v35, v35, 23, v52
	v_or3_b32 v34, v51, v35, v34
	v_lshrrev_b32_e32 v35, 16, v34
.LBB850_261:
	s_or_b64 exec, exec, s[10:11]
.LBB850_262:
	s_or_b64 exec, exec, s[8:9]
.LBB850_263:
	s_or_b64 exec, exec, s[2:3]
	s_movk_i32 s2, 0xff
	v_and_b32_sdwa v53, v36, s2 dst_sel:DWORD dst_unused:UNUSED_PAD src0_sel:WORD_1 src1_sel:DWORD
	v_lshrrev_b32_e32 v34, 16, v36
	v_cmp_ne_u16_e32 vcc, 0, v53
	v_mov_b32_e32 v51, 0
	v_mov_b32_e32 v52, 0
	s_and_saveexec_b64 s[2:3], vcc
	s_cbranch_execz .LBB850_269
; %bb.264:
	s_movk_i32 s8, 0x80
	v_cmp_ne_u16_e32 vcc, s8, v53
	v_mov_b32_e32 v52, 0xffff8000
	s_and_saveexec_b64 s[8:9], vcc
	s_cbranch_execz .LBB850_268
; %bb.265:
	v_bfe_u32 v53, v36, 16, 7
	s_movk_i32 s10, 0x7f
	v_cmp_ne_u32_e32 vcc, s10, v53
	v_mov_b32_e32 v52, 0x7f80
	s_and_saveexec_b64 s[10:11], vcc
	s_cbranch_execz .LBB850_267
; %bb.266:
	v_and_b32_e32 v52, 7, v34
	v_ffbh_u32_e32 v54, v52
	v_min_u32_e32 v57, 32, v54
	v_subrev_u32_e32 v54, 28, v57
	v_lshlrev_b64 v[54:55], v54, v[34:35]
	v_lshrrev_b32_e32 v56, 3, v53
	v_sub_u32_e32 v34, 29, v57
	v_and_b32_e32 v54, 7, v54
	v_cmp_gt_u32_e32 vcc, 8, v53
	v_mov_b32_e32 v53, 24
	v_cndmask_b32_e32 v34, v56, v34, vcc
	v_cndmask_b32_e32 v52, v52, v54, vcc
	v_lshlrev_b32_sdwa v53, v53, v36 dst_sel:DWORD dst_unused:UNUSED_PAD src0_sel:DWORD src1_sel:WORD_1
	v_bfrev_b32_e32 v54, 60
	v_lshlrev_b32_e32 v52, 20, v52
	v_and_b32_e32 v53, 0x80000000, v53
	v_lshl_add_u32 v34, v34, 23, v54
	v_or3_b32 v34, v53, v34, v52
	v_lshrrev_b32_e32 v52, 16, v34
.LBB850_267:
	s_or_b64 exec, exec, s[10:11]
.LBB850_268:
	s_or_b64 exec, exec, s[8:9]
.LBB850_269:
	s_or_b64 exec, exec, s[2:3]
	s_mov_b32 s2, 0xffffff
	v_cmp_lt_u32_e32 vcc, s2, v36
	s_and_saveexec_b64 s[2:3], vcc
	s_cbranch_execz .LBB850_275
; %bb.270:
	v_lshrrev_b32_e32 v34, 24, v36
	s_movk_i32 s8, 0x80
	v_cmp_ne_u32_e32 vcc, s8, v34
	v_mov_b32_e32 v51, 0xffff8000
	s_and_saveexec_b64 s[8:9], vcc
	s_cbranch_execz .LBB850_274
; %bb.271:
	v_bfe_u32 v36, v36, 24, 7
	s_movk_i32 s10, 0x7f
	v_cmp_ne_u32_e32 vcc, s10, v36
	v_mov_b32_e32 v51, 0x7f80
	s_and_saveexec_b64 s[10:11], vcc
	s_cbranch_execz .LBB850_273
; %bb.272:
	v_and_b32_e32 v51, 7, v34
	v_ffbh_u32_e32 v54, v51
	v_min_u32_e32 v56, 32, v54
	v_subrev_u32_e32 v54, 28, v56
	v_lshlrev_b64 v[54:55], v54, v[34:35]
	v_lshrrev_b32_e32 v53, 3, v36
	v_sub_u32_e32 v55, 29, v56
	v_and_b32_e32 v54, 7, v54
	v_cmp_gt_u32_e32 vcc, 8, v36
	v_cndmask_b32_e32 v36, v53, v55, vcc
	v_cndmask_b32_e32 v51, v51, v54, vcc
	v_lshlrev_b32_e32 v34, 24, v34
	v_bfrev_b32_e32 v53, 60
	v_lshlrev_b32_e32 v51, 20, v51
	v_and_b32_e32 v34, 0x80000000, v34
	v_lshl_add_u32 v36, v36, 23, v53
	v_or3_b32 v34, v34, v36, v51
	v_lshrrev_b32_e32 v51, 16, v34
.LBB850_273:
	s_or_b64 exec, exec, s[10:11]
.LBB850_274:
	s_or_b64 exec, exec, s[8:9]
.LBB850_275:
	s_or_b64 exec, exec, s[2:3]
	v_mov_b32_e32 v36, 0
	v_cmp_ne_u16_sdwa s[8:9], v37, v36 src0_sel:BYTE_0 src1_sel:DWORD
	v_mov_b32_e32 v53, 0
	s_and_saveexec_b64 s[2:3], s[8:9]
	s_cbranch_execz .LBB850_281
; %bb.276:
	s_movk_i32 s8, 0x80
	v_cmp_ne_u16_sdwa s[10:11], v37, s8 src0_sel:BYTE_0 src1_sel:DWORD
	v_mov_b32_e32 v53, 0xffff8000
	s_and_saveexec_b64 s[8:9], s[10:11]
	s_cbranch_execz .LBB850_280
; %bb.277:
	s_movk_i32 s10, 0x7f
	v_and_b32_e32 v34, 0x7f, v37
	v_cmp_ne_u32_e32 vcc, s10, v34
	v_mov_b32_e32 v53, 0x7f80
	s_and_saveexec_b64 s[10:11], vcc
	s_cbranch_execz .LBB850_279
; %bb.278:
	v_and_b32_e32 v53, 7, v37
	v_ffbh_u32_e32 v55, v53
	v_min_u32_e32 v57, 32, v55
	v_mov_b32_e32 v54, v37
	v_subrev_u32_e32 v55, 28, v57
	v_lshlrev_b64 v[54:55], v55, v[54:55]
	v_lshrrev_b32_e32 v56, 3, v34
	v_sub_u32_e32 v55, 29, v57
	v_and_b32_e32 v54, 7, v54
	v_cmp_gt_u32_e32 vcc, 8, v34
	v_cndmask_b32_e32 v34, v56, v55, vcc
	v_cndmask_b32_e32 v53, v53, v54, vcc
	v_lshlrev_b32_e32 v54, 24, v37
	v_bfrev_b32_e32 v55, 60
	v_lshlrev_b32_e32 v53, 20, v53
	v_and_b32_e32 v54, 0x80000000, v54
	v_lshl_add_u32 v34, v34, 23, v55
	v_or3_b32 v34, v54, v34, v53
	v_lshrrev_b32_e32 v53, 16, v34
.LBB850_279:
	s_or_b64 exec, exec, s[10:11]
.LBB850_280:
	s_or_b64 exec, exec, s[8:9]
.LBB850_281:
	s_or_b64 exec, exec, s[2:3]
	v_lshrrev_b16_e32 v34, 8, v37
	v_cmp_ne_u16_e32 vcc, 0, v34
	s_and_saveexec_b64 s[2:3], vcc
	s_cbranch_execz .LBB850_287
; %bb.282:
	s_movk_i32 s8, 0x80
	v_cmp_ne_u16_e32 vcc, s8, v34
	v_mov_b32_e32 v36, 0xffff8000
	s_and_saveexec_b64 s[8:9], vcc
	s_cbranch_execz .LBB850_286
; %bb.283:
	s_movk_i32 s10, 0x7f
	v_and_b32_e32 v54, 0x7f, v34
	v_cmp_ne_u32_e32 vcc, s10, v54
	v_mov_b32_e32 v36, 0x7f80
	s_and_saveexec_b64 s[10:11], vcc
	s_cbranch_execz .LBB850_285
; %bb.284:
	v_and_b32_e32 v36, 7, v34
	v_ffbh_u32_e32 v56, v36
	v_min_u32_e32 v58, 32, v56
	v_subrev_u32_e32 v56, 28, v58
	v_lshlrev_b64 v[56:57], v56, v[34:35]
	v_lshrrev_b32_e32 v55, 3, v54
	v_sub_u32_e32 v34, 29, v58
	v_and_b32_e32 v56, 7, v56
	v_cmp_gt_u32_e32 vcc, 8, v54
	v_cndmask_b32_e32 v34, v55, v34, vcc
	v_cndmask_b32_e32 v36, v36, v56, vcc
	v_lshlrev_b32_e32 v54, 16, v37
	v_bfrev_b32_e32 v55, 60
	v_lshlrev_b32_e32 v36, 20, v36
	v_and_b32_e32 v54, 0x80000000, v54
	v_lshl_add_u32 v34, v34, 23, v55
	v_or3_b32 v34, v54, v34, v36
	v_lshrrev_b32_e32 v36, 16, v34
.LBB850_285:
	s_or_b64 exec, exec, s[10:11]
.LBB850_286:
	s_or_b64 exec, exec, s[8:9]
.LBB850_287:
	s_or_b64 exec, exec, s[2:3]
	s_movk_i32 s2, 0xff
	v_and_b32_sdwa v56, v37, s2 dst_sel:DWORD dst_unused:UNUSED_PAD src0_sel:WORD_1 src1_sel:DWORD
	v_lshrrev_b32_e32 v34, 16, v37
	v_cmp_ne_u16_e32 vcc, 0, v56
	v_mov_b32_e32 v54, 0
	v_mov_b32_e32 v55, 0
	s_and_saveexec_b64 s[2:3], vcc
	s_cbranch_execz .LBB850_293
; %bb.288:
	s_movk_i32 s8, 0x80
	v_cmp_ne_u16_e32 vcc, s8, v56
	v_mov_b32_e32 v55, 0xffff8000
	s_and_saveexec_b64 s[8:9], vcc
	s_cbranch_execz .LBB850_292
; %bb.289:
	v_bfe_u32 v56, v37, 16, 7
	s_movk_i32 s10, 0x7f
	v_cmp_ne_u32_e32 vcc, s10, v56
	v_mov_b32_e32 v55, 0x7f80
	s_and_saveexec_b64 s[10:11], vcc
	s_cbranch_execz .LBB850_291
; %bb.290:
	v_and_b32_e32 v55, 7, v34
	v_ffbh_u32_e32 v58, v55
	v_min_u32_e32 v60, 32, v58
	v_subrev_u32_e32 v58, 28, v60
	v_lshlrev_b64 v[58:59], v58, v[34:35]
	v_lshrrev_b32_e32 v57, 3, v56
	v_sub_u32_e32 v34, 29, v60
	v_and_b32_e32 v58, 7, v58
	v_cmp_gt_u32_e32 vcc, 8, v56
	v_mov_b32_e32 v56, 24
	v_cndmask_b32_e32 v34, v57, v34, vcc
	v_cndmask_b32_e32 v55, v55, v58, vcc
	v_lshlrev_b32_sdwa v56, v56, v37 dst_sel:DWORD dst_unused:UNUSED_PAD src0_sel:DWORD src1_sel:WORD_1
	v_bfrev_b32_e32 v57, 60
	v_lshlrev_b32_e32 v55, 20, v55
	v_and_b32_e32 v56, 0x80000000, v56
	v_lshl_add_u32 v34, v34, 23, v57
	v_or3_b32 v34, v56, v34, v55
	v_lshrrev_b32_e32 v55, 16, v34
.LBB850_291:
	s_or_b64 exec, exec, s[10:11]
.LBB850_292:
	s_or_b64 exec, exec, s[8:9]
.LBB850_293:
	s_or_b64 exec, exec, s[2:3]
	s_mov_b32 s2, 0xffffff
	v_cmp_lt_u32_e32 vcc, s2, v37
	s_and_saveexec_b64 s[2:3], vcc
	s_cbranch_execz .LBB850_299
; %bb.294:
	v_lshrrev_b32_e32 v34, 24, v37
	s_movk_i32 s8, 0x80
	v_cmp_ne_u32_e32 vcc, s8, v34
	v_mov_b32_e32 v54, 0xffff8000
	s_and_saveexec_b64 s[8:9], vcc
	s_cbranch_execz .LBB850_298
; %bb.295:
	v_bfe_u32 v37, v37, 24, 7
	s_movk_i32 s10, 0x7f
	v_cmp_ne_u32_e32 vcc, s10, v37
	v_mov_b32_e32 v54, 0x7f80
	s_and_saveexec_b64 s[10:11], vcc
	s_cbranch_execz .LBB850_297
; %bb.296:
	v_and_b32_e32 v54, 7, v34
	v_ffbh_u32_e32 v56, v54
	v_min_u32_e32 v59, 32, v56
	v_subrev_u32_e32 v56, 28, v59
	v_lshlrev_b64 v[56:57], v56, v[34:35]
	v_lshrrev_b32_e32 v58, 3, v37
	v_sub_u32_e32 v57, 29, v59
	v_and_b32_e32 v56, 7, v56
	v_cmp_gt_u32_e32 vcc, 8, v37
	v_cndmask_b32_e32 v37, v58, v57, vcc
	v_cndmask_b32_e32 v54, v54, v56, vcc
	v_lshlrev_b32_e32 v34, 24, v34
	v_bfrev_b32_e32 v56, 60
	v_lshlrev_b32_e32 v54, 20, v54
	v_and_b32_e32 v34, 0x80000000, v34
	v_lshl_add_u32 v37, v37, 23, v56
	v_or3_b32 v34, v34, v37, v54
	v_lshrrev_b32_e32 v54, 16, v34
.LBB850_297:
	s_or_b64 exec, exec, s[10:11]
.LBB850_298:
	s_or_b64 exec, exec, s[8:9]
.LBB850_299:
	s_or_b64 exec, exec, s[2:3]
	s_mov_b32 s2, 0x5040100
	v_perm_b32 v51, v51, v52, s2
	v_perm_b32 v50, v35, v50, s2
	;; [unrolled: 1-line block ×4, first 2 shown]
	v_mfma_f32_16x16x16bf16_1k v[56:59], v[50:51], v[18:19], v[42:45]
	s_nop 6
	v_mov_b32_e32 v43, 0
	s_waitcnt vmcnt(4)
	v_cmp_ne_u16_sdwa s[8:9], v22, v43 src0_sel:BYTE_0 src1_sel:DWORD
	v_mfma_f32_16x16x16bf16_1k v[34:37], v[34:35], v[20:21], v[56:59]
	v_mov_b32_e32 v44, 0
	s_and_saveexec_b64 s[2:3], s[8:9]
	s_cbranch_execz .LBB850_305
; %bb.300:
	s_movk_i32 s8, 0x80
	v_cmp_ne_u16_sdwa s[10:11], v22, s8 src0_sel:BYTE_0 src1_sel:DWORD
	v_mov_b32_e32 v44, 0xffff8000
	s_and_saveexec_b64 s[8:9], s[10:11]
	s_cbranch_execz .LBB850_304
; %bb.301:
	s_movk_i32 s10, 0x7f
	v_and_b32_e32 v42, 0x7f, v22
	v_cmp_ne_u32_e32 vcc, s10, v42
	v_mov_b32_e32 v44, 0x7f80
	s_and_saveexec_b64 s[10:11], vcc
	s_cbranch_execz .LBB850_303
; %bb.302:
	v_and_b32_e32 v50, 7, v22
	v_ffbh_u32_e32 v44, v50
	v_min_u32_e32 v52, 32, v44
	v_subrev_u32_e32 v44, 28, v52
	v_lshlrev_b64 v[44:45], v44, v[22:23]
	v_lshrrev_b32_e32 v51, 3, v42
	v_sub_u32_e32 v45, 29, v52
	v_and_b32_e32 v44, 7, v44
	v_cmp_gt_u32_e32 vcc, 8, v42
	v_cndmask_b32_e32 v42, v51, v45, vcc
	v_cndmask_b32_e32 v44, v50, v44, vcc
	v_lshlrev_b32_e32 v45, 24, v22
	v_bfrev_b32_e32 v50, 60
	v_lshlrev_b32_e32 v44, 20, v44
	v_and_b32_e32 v45, 0x80000000, v45
	v_lshl_add_u32 v42, v42, 23, v50
	v_or3_b32 v42, v45, v42, v44
	v_lshrrev_b32_e32 v44, 16, v42
.LBB850_303:
	s_or_b64 exec, exec, s[10:11]
.LBB850_304:
	s_or_b64 exec, exec, s[8:9]
.LBB850_305:
	s_or_b64 exec, exec, s[2:3]
	v_lshrrev_b16_e32 v42, 8, v22
	v_cmp_ne_u16_e32 vcc, 0, v42
	s_and_saveexec_b64 s[2:3], vcc
	s_cbranch_execz .LBB850_311
; %bb.306:
	s_movk_i32 s8, 0x80
	v_cmp_ne_u16_e32 vcc, s8, v42
	v_mov_b32_e32 v43, 0xffff8000
	s_and_saveexec_b64 s[8:9], vcc
	s_cbranch_execz .LBB850_310
; %bb.307:
	s_movk_i32 s10, 0x7f
	v_and_b32_e32 v45, 0x7f, v42
	v_cmp_ne_u32_e32 vcc, s10, v45
	v_mov_b32_e32 v43, 0x7f80
	s_and_saveexec_b64 s[10:11], vcc
	s_cbranch_execz .LBB850_309
; %bb.308:
	v_and_b32_e32 v50, 7, v42
	v_ffbh_u32_e32 v43, v50
	v_min_u32_e32 v52, 32, v43
	v_subrev_u32_e32 v43, 28, v52
	v_lshlrev_b64 v[42:43], v43, v[42:43]
	v_lshrrev_b32_e32 v51, 3, v45
	v_sub_u32_e32 v43, 29, v52
	v_and_b32_e32 v42, 7, v42
	v_cmp_gt_u32_e32 vcc, 8, v45
	v_cndmask_b32_e32 v43, v51, v43, vcc
	v_cndmask_b32_e32 v42, v50, v42, vcc
	v_lshlrev_b32_e32 v45, 16, v22
	v_bfrev_b32_e32 v50, 60
	v_lshlrev_b32_e32 v42, 20, v42
	v_and_b32_e32 v45, 0x80000000, v45
	v_lshl_add_u32 v43, v43, 23, v50
	v_or3_b32 v42, v45, v43, v42
	v_lshrrev_b32_e32 v43, 16, v42
.LBB850_309:
	s_or_b64 exec, exec, s[10:11]
.LBB850_310:
	s_or_b64 exec, exec, s[8:9]
.LBB850_311:
	s_or_b64 exec, exec, s[2:3]
	s_movk_i32 s2, 0xff
	v_and_b32_sdwa v51, v22, s2 dst_sel:DWORD dst_unused:UNUSED_PAD src0_sel:WORD_1 src1_sel:DWORD
	v_lshrrev_b32_e32 v42, 16, v22
	v_cmp_ne_u16_e32 vcc, 0, v51
	v_mov_b32_e32 v45, 0
	v_mov_b32_e32 v50, 0
	s_and_saveexec_b64 s[2:3], vcc
	s_cbranch_execz .LBB850_317
; %bb.312:
	s_movk_i32 s8, 0x80
	v_cmp_ne_u16_e32 vcc, s8, v51
	v_mov_b32_e32 v50, 0xffff8000
	s_and_saveexec_b64 s[8:9], vcc
	s_cbranch_execz .LBB850_316
; %bb.313:
	v_bfe_u32 v51, v22, 16, 7
	s_movk_i32 s10, 0x7f
	v_cmp_ne_u32_e32 vcc, s10, v51
	v_mov_b32_e32 v50, 0x7f80
	s_and_saveexec_b64 s[10:11], vcc
	s_cbranch_execz .LBB850_315
; %bb.314:
	v_and_b32_e32 v50, 7, v42
	v_ffbh_u32_e32 v52, v50
	v_min_u32_e32 v55, 32, v52
	v_subrev_u32_e32 v52, 28, v55
	v_lshlrev_b64 v[52:53], v52, v[42:43]
	v_lshrrev_b32_e32 v54, 3, v51
	v_sub_u32_e32 v42, 29, v55
	v_and_b32_e32 v52, 7, v52
	v_cmp_gt_u32_e32 vcc, 8, v51
	v_mov_b32_e32 v51, 24
	v_cndmask_b32_e32 v42, v54, v42, vcc
	v_cndmask_b32_e32 v50, v50, v52, vcc
	v_lshlrev_b32_sdwa v51, v51, v22 dst_sel:DWORD dst_unused:UNUSED_PAD src0_sel:DWORD src1_sel:WORD_1
	v_bfrev_b32_e32 v52, 60
	v_lshlrev_b32_e32 v50, 20, v50
	v_and_b32_e32 v51, 0x80000000, v51
	v_lshl_add_u32 v42, v42, 23, v52
	v_or3_b32 v42, v51, v42, v50
	v_lshrrev_b32_e32 v50, 16, v42
.LBB850_315:
	s_or_b64 exec, exec, s[10:11]
.LBB850_316:
	s_or_b64 exec, exec, s[8:9]
.LBB850_317:
	s_or_b64 exec, exec, s[2:3]
	s_mov_b32 s2, 0xffffff
	v_cmp_lt_u32_e32 vcc, s2, v22
	s_and_saveexec_b64 s[2:3], vcc
	s_cbranch_execz .LBB850_323
; %bb.318:
	v_lshrrev_b32_e32 v42, 24, v22
	s_movk_i32 s8, 0x80
	v_cmp_ne_u32_e32 vcc, s8, v42
	v_mov_b32_e32 v45, 0xffff8000
	s_and_saveexec_b64 s[8:9], vcc
	s_cbranch_execz .LBB850_322
; %bb.319:
	v_bfe_u32 v22, v22, 24, 7
	s_movk_i32 s10, 0x7f
	v_cmp_ne_u32_e32 vcc, s10, v22
	v_mov_b32_e32 v45, 0x7f80
	s_and_saveexec_b64 s[10:11], vcc
	s_cbranch_execz .LBB850_321
; %bb.320:
	v_and_b32_e32 v45, 7, v42
	v_ffbh_u32_e32 v52, v45
	v_min_u32_e32 v54, 32, v52
	v_subrev_u32_e32 v52, 28, v54
	v_lshlrev_b64 v[52:53], v52, v[42:43]
	v_lshrrev_b32_e32 v51, 3, v22
	v_sub_u32_e32 v53, 29, v54
	v_and_b32_e32 v52, 7, v52
	v_cmp_gt_u32_e32 vcc, 8, v22
	v_cndmask_b32_e32 v22, v51, v53, vcc
	v_cndmask_b32_e32 v45, v45, v52, vcc
	v_lshlrev_b32_e32 v42, 24, v42
	v_bfrev_b32_e32 v51, 60
	v_lshlrev_b32_e32 v45, 20, v45
	v_and_b32_e32 v42, 0x80000000, v42
	v_lshl_add_u32 v22, v22, 23, v51
	v_or3_b32 v22, v42, v22, v45
	v_lshrrev_b32_e32 v45, 16, v22
.LBB850_321:
	s_or_b64 exec, exec, s[10:11]
.LBB850_322:
	s_or_b64 exec, exec, s[8:9]
.LBB850_323:
	s_or_b64 exec, exec, s[2:3]
	v_mov_b32_e32 v42, 0
	v_cmp_ne_u16_sdwa s[8:9], v23, v42 src0_sel:BYTE_0 src1_sel:DWORD
	v_mov_b32_e32 v51, 0
	s_and_saveexec_b64 s[2:3], s[8:9]
	s_cbranch_execz .LBB850_329
; %bb.324:
	s_movk_i32 s8, 0x80
	v_cmp_ne_u16_sdwa s[10:11], v23, s8 src0_sel:BYTE_0 src1_sel:DWORD
	v_mov_b32_e32 v51, 0xffff8000
	s_and_saveexec_b64 s[8:9], s[10:11]
	s_cbranch_execz .LBB850_328
; %bb.325:
	s_movk_i32 s10, 0x7f
	v_and_b32_e32 v22, 0x7f, v23
	v_cmp_ne_u32_e32 vcc, s10, v22
	v_mov_b32_e32 v51, 0x7f80
	s_and_saveexec_b64 s[10:11], vcc
	s_cbranch_execz .LBB850_327
; %bb.326:
	v_and_b32_e32 v51, 7, v23
	v_ffbh_u32_e32 v53, v51
	v_min_u32_e32 v55, 32, v53
	v_mov_b32_e32 v52, v23
	v_subrev_u32_e32 v53, 28, v55
	v_lshlrev_b64 v[52:53], v53, v[52:53]
	v_lshrrev_b32_e32 v54, 3, v22
	v_sub_u32_e32 v53, 29, v55
	v_and_b32_e32 v52, 7, v52
	v_cmp_gt_u32_e32 vcc, 8, v22
	v_cndmask_b32_e32 v22, v54, v53, vcc
	v_cndmask_b32_e32 v51, v51, v52, vcc
	v_lshlrev_b32_e32 v52, 24, v23
	v_bfrev_b32_e32 v53, 60
	v_lshlrev_b32_e32 v51, 20, v51
	v_and_b32_e32 v52, 0x80000000, v52
	v_lshl_add_u32 v22, v22, 23, v53
	v_or3_b32 v22, v52, v22, v51
	v_lshrrev_b32_e32 v51, 16, v22
.LBB850_327:
	s_or_b64 exec, exec, s[10:11]
.LBB850_328:
	s_or_b64 exec, exec, s[8:9]
.LBB850_329:
	s_or_b64 exec, exec, s[2:3]
	v_lshrrev_b16_e32 v22, 8, v23
	v_cmp_ne_u16_e32 vcc, 0, v22
	s_and_saveexec_b64 s[2:3], vcc
	s_cbranch_execz .LBB850_335
; %bb.330:
	s_movk_i32 s8, 0x80
	v_cmp_ne_u16_e32 vcc, s8, v22
	v_mov_b32_e32 v42, 0xffff8000
	s_and_saveexec_b64 s[8:9], vcc
	s_cbranch_execz .LBB850_334
; %bb.331:
	s_movk_i32 s10, 0x7f
	v_and_b32_e32 v52, 0x7f, v22
	v_cmp_ne_u32_e32 vcc, s10, v52
	v_mov_b32_e32 v42, 0x7f80
	s_and_saveexec_b64 s[10:11], vcc
	s_cbranch_execz .LBB850_333
; %bb.332:
	v_and_b32_e32 v42, 7, v22
	v_ffbh_u32_e32 v54, v42
	v_min_u32_e32 v56, 32, v54
	v_subrev_u32_e32 v54, 28, v56
	v_lshlrev_b64 v[54:55], v54, v[22:23]
	v_lshrrev_b32_e32 v53, 3, v52
	v_sub_u32_e32 v22, 29, v56
	v_and_b32_e32 v54, 7, v54
	v_cmp_gt_u32_e32 vcc, 8, v52
	v_cndmask_b32_e32 v22, v53, v22, vcc
	v_cndmask_b32_e32 v42, v42, v54, vcc
	v_lshlrev_b32_e32 v52, 16, v23
	v_bfrev_b32_e32 v53, 60
	v_lshlrev_b32_e32 v42, 20, v42
	v_and_b32_e32 v52, 0x80000000, v52
	v_lshl_add_u32 v22, v22, 23, v53
	v_or3_b32 v22, v52, v22, v42
	v_lshrrev_b32_e32 v42, 16, v22
.LBB850_333:
	s_or_b64 exec, exec, s[10:11]
.LBB850_334:
	s_or_b64 exec, exec, s[8:9]
.LBB850_335:
	s_or_b64 exec, exec, s[2:3]
	s_movk_i32 s2, 0xff
	v_and_b32_sdwa v54, v23, s2 dst_sel:DWORD dst_unused:UNUSED_PAD src0_sel:WORD_1 src1_sel:DWORD
	v_lshrrev_b32_e32 v22, 16, v23
	v_cmp_ne_u16_e32 vcc, 0, v54
	v_mov_b32_e32 v52, 0
	v_mov_b32_e32 v53, 0
	s_and_saveexec_b64 s[2:3], vcc
	s_cbranch_execz .LBB850_341
; %bb.336:
	s_movk_i32 s8, 0x80
	v_cmp_ne_u16_e32 vcc, s8, v54
	v_mov_b32_e32 v53, 0xffff8000
	s_and_saveexec_b64 s[8:9], vcc
	s_cbranch_execz .LBB850_340
; %bb.337:
	v_bfe_u32 v54, v23, 16, 7
	s_movk_i32 s10, 0x7f
	v_cmp_ne_u32_e32 vcc, s10, v54
	v_mov_b32_e32 v53, 0x7f80
	s_and_saveexec_b64 s[10:11], vcc
	s_cbranch_execz .LBB850_339
; %bb.338:
	v_and_b32_e32 v53, 7, v22
	v_ffbh_u32_e32 v56, v53
	v_min_u32_e32 v58, 32, v56
	v_subrev_u32_e32 v56, 28, v58
	v_lshlrev_b64 v[56:57], v56, v[22:23]
	v_lshrrev_b32_e32 v55, 3, v54
	v_sub_u32_e32 v22, 29, v58
	v_and_b32_e32 v56, 7, v56
	v_cmp_gt_u32_e32 vcc, 8, v54
	v_mov_b32_e32 v54, 24
	v_cndmask_b32_e32 v22, v55, v22, vcc
	v_cndmask_b32_e32 v53, v53, v56, vcc
	v_lshlrev_b32_sdwa v54, v54, v23 dst_sel:DWORD dst_unused:UNUSED_PAD src0_sel:DWORD src1_sel:WORD_1
	v_bfrev_b32_e32 v55, 60
	v_lshlrev_b32_e32 v53, 20, v53
	v_and_b32_e32 v54, 0x80000000, v54
	v_lshl_add_u32 v22, v22, 23, v55
	v_or3_b32 v22, v54, v22, v53
	v_lshrrev_b32_e32 v53, 16, v22
.LBB850_339:
	s_or_b64 exec, exec, s[10:11]
.LBB850_340:
	s_or_b64 exec, exec, s[8:9]
.LBB850_341:
	s_or_b64 exec, exec, s[2:3]
	s_mov_b32 s2, 0xffffff
	v_cmp_lt_u32_e32 vcc, s2, v23
	s_and_saveexec_b64 s[2:3], vcc
	s_cbranch_execz .LBB850_347
; %bb.342:
	v_lshrrev_b32_e32 v22, 24, v23
	s_movk_i32 s8, 0x80
	v_cmp_ne_u32_e32 vcc, s8, v22
	v_mov_b32_e32 v52, 0xffff8000
	s_and_saveexec_b64 s[8:9], vcc
	s_cbranch_execz .LBB850_346
; %bb.343:
	v_bfe_u32 v23, v23, 24, 7
	s_movk_i32 s10, 0x7f
	v_cmp_ne_u32_e32 vcc, s10, v23
	v_mov_b32_e32 v52, 0x7f80
	s_and_saveexec_b64 s[10:11], vcc
	s_cbranch_execz .LBB850_345
; %bb.344:
	v_and_b32_e32 v52, 7, v22
	v_ffbh_u32_e32 v54, v52
	v_min_u32_e32 v57, 32, v54
	v_subrev_u32_e32 v54, 28, v57
	v_lshlrev_b64 v[54:55], v54, v[22:23]
	v_lshrrev_b32_e32 v56, 3, v23
	v_sub_u32_e32 v55, 29, v57
	v_and_b32_e32 v54, 7, v54
	v_cmp_gt_u32_e32 vcc, 8, v23
	v_cndmask_b32_e32 v23, v56, v55, vcc
	v_cndmask_b32_e32 v52, v52, v54, vcc
	v_lshlrev_b32_e32 v22, 24, v22
	v_bfrev_b32_e32 v54, 60
	v_lshlrev_b32_e32 v52, 20, v52
	v_and_b32_e32 v22, 0x80000000, v22
	v_lshl_add_u32 v23, v23, 23, v54
	v_or3_b32 v22, v22, v23, v52
	v_lshrrev_b32_e32 v52, 16, v22
.LBB850_345:
	s_or_b64 exec, exec, s[10:11]
.LBB850_346:
	s_or_b64 exec, exec, s[8:9]
.LBB850_347:
	s_or_b64 exec, exec, s[2:3]
	s_mov_b32 s2, 0x5040100
	v_perm_b32 v23, v45, v50, s2
	v_perm_b32 v22, v43, v44, s2
	s_nop 1
	v_mfma_f32_16x16x16bf16_1k v[54:57], v[22:23], v[26:27], 0
	v_perm_b32 v27, v52, v53, s2
	v_perm_b32 v26, v42, v51, s2
	v_mov_b32_e32 v23, 0
	v_cmp_ne_u16_sdwa s[8:9], v24, v23 src0_sel:BYTE_0 src1_sel:DWORD
	v_mov_b32_e32 v42, 0
	v_mfma_f32_16x16x16bf16_1k v[26:29], v[26:27], v[28:29], v[54:57]
	s_and_saveexec_b64 s[2:3], s[8:9]
	s_cbranch_execz .LBB850_353
; %bb.348:
	s_movk_i32 s8, 0x80
	v_cmp_ne_u16_sdwa s[10:11], v24, s8 src0_sel:BYTE_0 src1_sel:DWORD
	v_mov_b32_e32 v42, 0xffff8000
	s_and_saveexec_b64 s[8:9], s[10:11]
	s_cbranch_execz .LBB850_352
; %bb.349:
	s_movk_i32 s10, 0x7f
	v_and_b32_e32 v22, 0x7f, v24
	v_cmp_ne_u32_e32 vcc, s10, v22
	v_mov_b32_e32 v42, 0x7f80
	s_and_saveexec_b64 s[10:11], vcc
	s_cbranch_execz .LBB850_351
; %bb.350:
	v_and_b32_e32 v44, 7, v24
	v_ffbh_u32_e32 v42, v44
	v_min_u32_e32 v50, 32, v42
	v_subrev_u32_e32 v42, 28, v50
	v_lshlrev_b64 v[42:43], v42, v[24:25]
	v_lshrrev_b32_e32 v45, 3, v22
	v_sub_u32_e32 v43, 29, v50
	v_and_b32_e32 v42, 7, v42
	v_cmp_gt_u32_e32 vcc, 8, v22
	v_cndmask_b32_e32 v22, v45, v43, vcc
	v_cndmask_b32_e32 v42, v44, v42, vcc
	v_lshlrev_b32_e32 v43, 24, v24
	v_bfrev_b32_e32 v44, 60
	v_lshlrev_b32_e32 v42, 20, v42
	v_and_b32_e32 v43, 0x80000000, v43
	v_lshl_add_u32 v22, v22, 23, v44
	v_or3_b32 v22, v43, v22, v42
	v_lshrrev_b32_e32 v42, 16, v22
.LBB850_351:
	s_or_b64 exec, exec, s[10:11]
.LBB850_352:
	s_or_b64 exec, exec, s[8:9]
.LBB850_353:
	s_or_b64 exec, exec, s[2:3]
	v_lshrrev_b16_e32 v22, 8, v24
	v_cmp_ne_u16_e32 vcc, 0, v22
	s_and_saveexec_b64 s[2:3], vcc
	s_cbranch_execz .LBB850_359
; %bb.354:
	s_movk_i32 s8, 0x80
	v_cmp_ne_u16_e32 vcc, s8, v22
	v_mov_b32_e32 v23, 0xffff8000
	s_and_saveexec_b64 s[8:9], vcc
	s_cbranch_execz .LBB850_358
; %bb.355:
	s_movk_i32 s10, 0x7f
	v_and_b32_e32 v43, 0x7f, v22
	v_cmp_ne_u32_e32 vcc, s10, v43
	v_mov_b32_e32 v23, 0x7f80
	s_and_saveexec_b64 s[10:11], vcc
	s_cbranch_execz .LBB850_357
; %bb.356:
	v_and_b32_e32 v44, 7, v22
	v_ffbh_u32_e32 v23, v44
	v_min_u32_e32 v50, 32, v23
	v_subrev_u32_e32 v23, 28, v50
	v_lshlrev_b64 v[22:23], v23, v[22:23]
	v_lshrrev_b32_e32 v45, 3, v43
	v_sub_u32_e32 v23, 29, v50
	v_and_b32_e32 v22, 7, v22
	v_cmp_gt_u32_e32 vcc, 8, v43
	v_cndmask_b32_e32 v23, v45, v23, vcc
	v_cndmask_b32_e32 v22, v44, v22, vcc
	v_lshlrev_b32_e32 v43, 16, v24
	v_bfrev_b32_e32 v44, 60
	v_lshlrev_b32_e32 v22, 20, v22
	v_and_b32_e32 v43, 0x80000000, v43
	v_lshl_add_u32 v23, v23, 23, v44
	v_or3_b32 v22, v43, v23, v22
	v_lshrrev_b32_e32 v23, 16, v22
.LBB850_357:
	s_or_b64 exec, exec, s[10:11]
.LBB850_358:
	s_or_b64 exec, exec, s[8:9]
.LBB850_359:
	s_or_b64 exec, exec, s[2:3]
	s_movk_i32 s2, 0xff
	v_and_b32_sdwa v45, v24, s2 dst_sel:DWORD dst_unused:UNUSED_PAD src0_sel:WORD_1 src1_sel:DWORD
	v_lshrrev_b32_e32 v22, 16, v24
	v_cmp_ne_u16_e32 vcc, 0, v45
	v_mov_b32_e32 v43, 0
	v_mov_b32_e32 v44, 0
	s_and_saveexec_b64 s[2:3], vcc
	s_cbranch_execz .LBB850_365
; %bb.360:
	s_movk_i32 s8, 0x80
	v_cmp_ne_u16_e32 vcc, s8, v45
	v_mov_b32_e32 v44, 0xffff8000
	s_and_saveexec_b64 s[8:9], vcc
	s_cbranch_execz .LBB850_364
; %bb.361:
	v_bfe_u32 v45, v24, 16, 7
	s_movk_i32 s10, 0x7f
	v_cmp_ne_u32_e32 vcc, s10, v45
	v_mov_b32_e32 v44, 0x7f80
	s_and_saveexec_b64 s[10:11], vcc
	s_cbranch_execz .LBB850_363
; %bb.362:
	v_and_b32_e32 v44, 7, v22
	v_ffbh_u32_e32 v50, v44
	v_min_u32_e32 v53, 32, v50
	v_subrev_u32_e32 v50, 28, v53
	v_lshlrev_b64 v[50:51], v50, v[22:23]
	v_lshrrev_b32_e32 v52, 3, v45
	v_sub_u32_e32 v22, 29, v53
	v_and_b32_e32 v50, 7, v50
	v_cmp_gt_u32_e32 vcc, 8, v45
	v_mov_b32_e32 v45, 24
	v_cndmask_b32_e32 v22, v52, v22, vcc
	v_cndmask_b32_e32 v44, v44, v50, vcc
	v_lshlrev_b32_sdwa v45, v45, v24 dst_sel:DWORD dst_unused:UNUSED_PAD src0_sel:DWORD src1_sel:WORD_1
	v_bfrev_b32_e32 v50, 60
	v_lshlrev_b32_e32 v44, 20, v44
	v_and_b32_e32 v45, 0x80000000, v45
	v_lshl_add_u32 v22, v22, 23, v50
	v_or3_b32 v22, v45, v22, v44
	v_lshrrev_b32_e32 v44, 16, v22
.LBB850_363:
	s_or_b64 exec, exec, s[10:11]
.LBB850_364:
	s_or_b64 exec, exec, s[8:9]
.LBB850_365:
	s_or_b64 exec, exec, s[2:3]
	s_mov_b32 s2, 0xffffff
	v_cmp_lt_u32_e32 vcc, s2, v24
	s_and_saveexec_b64 s[2:3], vcc
	s_cbranch_execz .LBB850_371
; %bb.366:
	v_lshrrev_b32_e32 v22, 24, v24
	s_movk_i32 s8, 0x80
	v_cmp_ne_u32_e32 vcc, s8, v22
	v_mov_b32_e32 v43, 0xffff8000
	s_and_saveexec_b64 s[8:9], vcc
	s_cbranch_execz .LBB850_370
; %bb.367:
	v_bfe_u32 v24, v24, 24, 7
	s_movk_i32 s10, 0x7f
	v_cmp_ne_u32_e32 vcc, s10, v24
	v_mov_b32_e32 v43, 0x7f80
	s_and_saveexec_b64 s[10:11], vcc
	s_cbranch_execz .LBB850_369
; %bb.368:
	v_and_b32_e32 v43, 7, v22
	v_ffbh_u32_e32 v50, v43
	v_min_u32_e32 v52, 32, v50
	v_subrev_u32_e32 v50, 28, v52
	v_lshlrev_b64 v[50:51], v50, v[22:23]
	v_lshrrev_b32_e32 v45, 3, v24
	v_sub_u32_e32 v51, 29, v52
	v_and_b32_e32 v50, 7, v50
	v_cmp_gt_u32_e32 vcc, 8, v24
	v_cndmask_b32_e32 v24, v45, v51, vcc
	v_cndmask_b32_e32 v43, v43, v50, vcc
	v_lshlrev_b32_e32 v22, 24, v22
	v_bfrev_b32_e32 v45, 60
	v_lshlrev_b32_e32 v43, 20, v43
	v_and_b32_e32 v22, 0x80000000, v22
	v_lshl_add_u32 v24, v24, 23, v45
	v_or3_b32 v22, v22, v24, v43
	v_lshrrev_b32_e32 v43, 16, v22
.LBB850_369:
	s_or_b64 exec, exec, s[10:11]
.LBB850_370:
	s_or_b64 exec, exec, s[8:9]
.LBB850_371:
	s_or_b64 exec, exec, s[2:3]
	v_mov_b32_e32 v24, 0
	v_cmp_ne_u16_sdwa s[8:9], v25, v24 src0_sel:BYTE_0 src1_sel:DWORD
	v_mov_b32_e32 v50, 0
	s_and_saveexec_b64 s[2:3], s[8:9]
	s_cbranch_execz .LBB850_377
; %bb.372:
	s_movk_i32 s8, 0x80
	v_cmp_ne_u16_sdwa s[10:11], v25, s8 src0_sel:BYTE_0 src1_sel:DWORD
	v_mov_b32_e32 v50, 0xffff8000
	s_and_saveexec_b64 s[8:9], s[10:11]
	s_cbranch_execz .LBB850_376
; %bb.373:
	s_movk_i32 s10, 0x7f
	v_and_b32_e32 v22, 0x7f, v25
	v_cmp_ne_u32_e32 vcc, s10, v22
	v_mov_b32_e32 v50, 0x7f80
	s_and_saveexec_b64 s[10:11], vcc
	s_cbranch_execz .LBB850_375
; %bb.374:
	v_and_b32_e32 v45, 7, v25
	v_ffbh_u32_e32 v51, v45
	v_min_u32_e32 v53, 32, v51
	v_mov_b32_e32 v50, v25
	v_subrev_u32_e32 v51, 28, v53
	v_lshlrev_b64 v[50:51], v51, v[50:51]
	v_lshrrev_b32_e32 v52, 3, v22
	v_sub_u32_e32 v51, 29, v53
	v_and_b32_e32 v50, 7, v50
	v_cmp_gt_u32_e32 vcc, 8, v22
	v_cndmask_b32_e32 v22, v52, v51, vcc
	v_cndmask_b32_e32 v45, v45, v50, vcc
	v_lshlrev_b32_e32 v50, 24, v25
	v_bfrev_b32_e32 v51, 60
	v_lshlrev_b32_e32 v45, 20, v45
	v_and_b32_e32 v50, 0x80000000, v50
	v_lshl_add_u32 v22, v22, 23, v51
	v_or3_b32 v22, v50, v22, v45
	v_lshrrev_b32_e32 v50, 16, v22
.LBB850_375:
	s_or_b64 exec, exec, s[10:11]
.LBB850_376:
	s_or_b64 exec, exec, s[8:9]
.LBB850_377:
	s_or_b64 exec, exec, s[2:3]
	v_lshrrev_b16_e32 v22, 8, v25
	v_cmp_ne_u16_e32 vcc, 0, v22
	s_and_saveexec_b64 s[2:3], vcc
	s_cbranch_execz .LBB850_383
; %bb.378:
	s_movk_i32 s8, 0x80
	v_cmp_ne_u16_e32 vcc, s8, v22
	v_mov_b32_e32 v24, 0xffff8000
	s_and_saveexec_b64 s[8:9], vcc
	s_cbranch_execz .LBB850_382
; %bb.379:
	s_movk_i32 s10, 0x7f
	v_and_b32_e32 v45, 0x7f, v22
	v_cmp_ne_u32_e32 vcc, s10, v45
	v_mov_b32_e32 v24, 0x7f80
	s_and_saveexec_b64 s[10:11], vcc
	s_cbranch_execz .LBB850_381
; %bb.380:
	v_and_b32_e32 v24, 7, v22
	v_ffbh_u32_e32 v52, v24
	v_min_u32_e32 v54, 32, v52
	v_subrev_u32_e32 v52, 28, v54
	v_lshlrev_b64 v[52:53], v52, v[22:23]
	v_lshrrev_b32_e32 v51, 3, v45
	v_sub_u32_e32 v22, 29, v54
	v_and_b32_e32 v52, 7, v52
	v_cmp_gt_u32_e32 vcc, 8, v45
	v_cndmask_b32_e32 v22, v51, v22, vcc
	v_cndmask_b32_e32 v24, v24, v52, vcc
	v_lshlrev_b32_e32 v45, 16, v25
	v_bfrev_b32_e32 v51, 60
	v_lshlrev_b32_e32 v24, 20, v24
	v_and_b32_e32 v45, 0x80000000, v45
	v_lshl_add_u32 v22, v22, 23, v51
	v_or3_b32 v22, v45, v22, v24
	v_lshrrev_b32_e32 v24, 16, v22
.LBB850_381:
	s_or_b64 exec, exec, s[10:11]
.LBB850_382:
	s_or_b64 exec, exec, s[8:9]
.LBB850_383:
	s_or_b64 exec, exec, s[2:3]
	s_movk_i32 s2, 0xff
	v_and_b32_sdwa v45, v25, s2 dst_sel:DWORD dst_unused:UNUSED_PAD src0_sel:WORD_1 src1_sel:DWORD
	v_lshrrev_b32_e32 v22, 16, v25
	v_cmp_ne_u16_e32 vcc, 0, v45
	v_mov_b32_e32 v51, 0
	v_mov_b32_e32 v52, 0
	s_and_saveexec_b64 s[2:3], vcc
	s_cbranch_execz .LBB850_389
; %bb.384:
	s_movk_i32 s8, 0x80
	v_cmp_ne_u16_e32 vcc, s8, v45
	v_mov_b32_e32 v52, 0xffff8000
	s_and_saveexec_b64 s[8:9], vcc
	s_cbranch_execz .LBB850_388
; %bb.385:
	v_bfe_u32 v45, v25, 16, 7
	s_movk_i32 s10, 0x7f
	v_cmp_ne_u32_e32 vcc, s10, v45
	v_mov_b32_e32 v52, 0x7f80
	s_and_saveexec_b64 s[10:11], vcc
	s_cbranch_execz .LBB850_387
; %bb.386:
	v_and_b32_e32 v54, 7, v22
	v_ffbh_u32_e32 v52, v54
	v_min_u32_e32 v56, 32, v52
	v_subrev_u32_e32 v52, 28, v56
	v_lshlrev_b64 v[52:53], v52, v[22:23]
	v_and_b32_e32 v52, 7, v52
	v_cmp_gt_u32_e32 vcc, 8, v45
	v_lshrrev_b32_e32 v55, 3, v45
	v_sub_u32_e32 v22, 29, v56
	v_cndmask_b32_e32 v45, v54, v52, vcc
	v_mov_b32_e32 v52, 24
	v_cndmask_b32_e32 v22, v55, v22, vcc
	v_lshlrev_b32_sdwa v52, v52, v25 dst_sel:DWORD dst_unused:UNUSED_PAD src0_sel:DWORD src1_sel:WORD_1
	v_bfrev_b32_e32 v53, 60
	v_lshlrev_b32_e32 v45, 20, v45
	v_and_b32_e32 v52, 0x80000000, v52
	v_lshl_add_u32 v22, v22, 23, v53
	v_or3_b32 v22, v52, v22, v45
	v_lshrrev_b32_e32 v52, 16, v22
.LBB850_387:
	s_or_b64 exec, exec, s[10:11]
.LBB850_388:
	s_or_b64 exec, exec, s[8:9]
.LBB850_389:
	s_or_b64 exec, exec, s[2:3]
	s_mov_b32 s2, 0xffffff
	v_and_b32_e32 v45, 63, v0
	v_cmp_lt_u32_e32 vcc, s2, v25
	s_and_saveexec_b64 s[2:3], vcc
	s_cbranch_execz .LBB850_395
; %bb.390:
	v_lshrrev_b32_e32 v22, 24, v25
	s_movk_i32 s8, 0x80
	v_cmp_ne_u32_e32 vcc, s8, v22
	v_mov_b32_e32 v51, 0xffff8000
	s_and_saveexec_b64 s[8:9], vcc
	s_cbranch_execz .LBB850_394
; %bb.391:
	v_bfe_u32 v25, v25, 24, 7
	s_movk_i32 s10, 0x7f
	v_cmp_ne_u32_e32 vcc, s10, v25
	v_mov_b32_e32 v51, 0x7f80
	s_and_saveexec_b64 s[10:11], vcc
	s_cbranch_execz .LBB850_393
; %bb.392:
	v_and_b32_e32 v51, 7, v22
	v_ffbh_u32_e32 v54, v51
	v_min_u32_e32 v56, 32, v54
	v_subrev_u32_e32 v54, 28, v56
	v_lshlrev_b64 v[54:55], v54, v[22:23]
	v_lshrrev_b32_e32 v53, 3, v25
	v_sub_u32_e32 v55, 29, v56
	v_and_b32_e32 v54, 7, v54
	v_cmp_gt_u32_e32 vcc, 8, v25
	v_cndmask_b32_e32 v25, v53, v55, vcc
	v_cndmask_b32_e32 v51, v51, v54, vcc
	v_lshlrev_b32_e32 v22, 24, v22
	v_bfrev_b32_e32 v53, 60
	v_lshlrev_b32_e32 v51, 20, v51
	v_and_b32_e32 v22, 0x80000000, v22
	v_lshl_add_u32 v25, v25, 23, v53
	v_or3_b32 v22, v22, v25, v51
	v_lshrrev_b32_e32 v51, 16, v22
.LBB850_393:
	s_or_b64 exec, exec, s[10:11]
.LBB850_394:
	s_or_b64 exec, exec, s[8:9]
.LBB850_395:
	s_or_b64 exec, exec, s[2:3]
	s_mov_b32 s3, 0x5040100
	v_perm_b32 v43, v43, v44, s3
	v_perm_b32 v42, v23, v42, s3
	s_load_dword s2, s[4:5], 0x1c
	s_mov_b32 s46, 0xff7fffff
	s_waitcnt lgkmcnt(0)
	v_mfma_f32_16x16x16bf16_1k v[26:29], v[42:43], v[18:19], v[26:29]
	v_perm_b32 v19, v51, v52, s3
	v_perm_b32 v18, v24, v50, s3
	v_and_b32_e32 v24, 0xc0, v0
	v_mov_b32_e32 v22, s2
	v_add_u32_e32 v24, s20, v24
	v_mul_f32_e32 v44, s12, v22
	v_lshl_or_b32 v42, v1, 2, v24
	v_mfma_f32_16x16x16bf16_1k v[18:21], v[18:19], v[20:21], v[26:29]
	v_pk_mul_f32 v[22:23], v[44:45], v[36:37] op_sel_hi:[0,1]
	v_pk_mul_f32 v[36:37], v[44:45], v[40:41] op_sel_hi:[0,1]
	;; [unrolled: 1-line block ×4, first 2 shown]
	v_mov_b32_e32 v43, 0xff7fffff
	v_cmp_gt_i32_e64 s[26:27], s33, v42
	v_pk_mul_f32 v[38:39], v[44:45], v[38:39] op_sel_hi:[0,1]
	s_nop 3
	v_pk_mul_f32 v[32:33], v[44:45], v[18:19] op_sel_hi:[0,1]
	v_or_b32_e32 v19, 1, v42
	v_cmp_gt_i32_e64 s[28:29], s33, v19
	v_cndmask_b32_e64 v18, v43, v30, s[26:27]
	v_cndmask_b32_e64 v19, v43, v31, s[28:29]
	v_pk_mul_f32 v[24:25], v[44:45], v[20:21] op_sel_hi:[0,1]
	v_max3_f32 v18, v18, s46, v19
	v_or_b32_e32 v19, 2, v42
	v_or_b32_e32 v20, 3, v42
	v_cmp_gt_i32_e64 s[30:31], s33, v19
	v_cmp_gt_i32_e64 s[34:35], s33, v20
	v_cndmask_b32_e64 v19, v43, v40, s[30:31]
	v_cndmask_b32_e64 v20, v43, v41, s[34:35]
	v_max3_f32 v18, v18, v19, v20
	v_or_b32_e32 v19, 16, v42
	v_or_b32_e32 v20, 17, v42
	v_cmp_gt_i32_e64 s[36:37], s33, v19
	v_cmp_gt_i32_e64 s[38:39], s33, v20
	v_cndmask_b32_e64 v19, v43, v38, s[36:37]
	v_cndmask_b32_e64 v20, v43, v39, s[38:39]
	;; [unrolled: 7-line block ×3, first 2 shown]
	v_max3_f32 v18, v18, v19, v20
	v_or_b32_e32 v19, 32, v42
	v_or_b32_e32 v20, 33, v42
	v_pk_mul_f32 v[34:35], v[44:45], v[34:35] op_sel_hi:[0,1]
	v_cmp_gt_i32_e64 s[16:17], s33, v19
	v_cmp_gt_i32_e64 s[18:19], s33, v20
	v_cndmask_b32_e64 v19, v43, v34, s[16:17]
	v_cndmask_b32_e64 v20, v43, v35, s[18:19]
	v_max3_f32 v18, v18, v19, v20
	v_or_b32_e32 v19, 34, v42
	v_or_b32_e32 v20, 35, v42
	v_cmp_gt_i32_e64 s[12:13], s33, v19
	v_cmp_gt_i32_e64 s[14:15], s33, v20
	v_cndmask_b32_e64 v19, v43, v22, s[12:13]
	v_cndmask_b32_e64 v20, v43, v23, s[14:15]
	v_max3_f32 v18, v18, v19, v20
	v_or_b32_e32 v19, 48, v42
	v_or_b32_e32 v20, 49, v42
	v_cmp_gt_i32_e64 s[8:9], s33, v19
	v_cmp_gt_i32_e64 s[10:11], s33, v20
	v_cndmask_b32_e64 v19, v43, v32, s[8:9]
	v_cndmask_b32_e64 v20, v43, v33, s[10:11]
	v_max3_f32 v18, v18, v19, v20
	v_or_b32_e32 v19, 50, v42
	v_or_b32_e32 v20, 51, v42
	v_cmp_gt_i32_e32 vcc, s33, v19
	v_cmp_gt_i32_e64 s[2:3], s33, v20
	v_cndmask_b32_e32 v19, v43, v24, vcc
	v_cndmask_b32_e64 v20, v43, v25, s[2:3]
	v_max3_f32 v18, v18, v19, v20
	v_mbcnt_lo_u32_b32 v19, -1, 0
	v_mbcnt_hi_u32_b32 v19, -1, v19
	v_and_b32_e32 v20, 64, v19
	v_add_u32_e32 v20, 64, v20
	v_xor_b32_e32 v21, 32, v19
	v_cmp_lt_i32_e64 s[40:41], v21, v20
	v_cndmask_b32_e64 v21, v19, v21, s[40:41]
	v_lshlrev_b32_e32 v43, 2, v21
	ds_bpermute_b32 v21, v43, v18
	s_barrier
	s_waitcnt lgkmcnt(0)
	v_max_f32_e32 v21, v21, v21
	v_max_f32_e32 v18, v18, v21
	v_xor_b32_e32 v21, 16, v19
	v_cmp_lt_i32_e64 s[40:41], v21, v20
	v_cndmask_b32_e64 v19, v19, v21, s[40:41]
	v_lshlrev_b32_e32 v44, 2, v19
	ds_bpermute_b32 v19, v44, v18
	s_waitcnt lgkmcnt(0)
	v_max_f32_e32 v19, v19, v19
	v_max_f32_e32 v42, v18, v19
	v_sub_f32_e32 v21, v40, v42
	v_sub_f32_e32 v26, v41, v42
	v_mul_f32_e32 v21, 0x3fb8aa3b, v21
	v_mul_f32_e32 v26, 0x3fb8aa3b, v26
	v_sub_f32_e32 v18, v30, v42
	v_exp_f32_e32 v21, v21
	v_exp_f32_e32 v26, v26
	v_mul_f32_e32 v18, 0x3fb8aa3b, v18
	v_sub_f32_e32 v19, v31, v42
	v_exp_f32_e32 v18, v18
	v_mul_f32_e32 v19, 0x3fb8aa3b, v19
	v_exp_f32_e32 v19, v19
	v_cndmask_b32_e64 v28, 0, v21, s[30:31]
	v_cndmask_b32_e64 v29, 0, v26, s[34:35]
	v_sub_f32_e32 v21, v38, v42
	v_sub_f32_e32 v26, v39, v42
	v_mul_f32_e32 v21, 0x3fb8aa3b, v21
	v_mul_f32_e32 v26, 0x3fb8aa3b, v26
	v_cndmask_b32_e64 v18, 0, v18, s[26:27]
	v_exp_f32_e32 v21, v21
	v_exp_f32_e32 v26, v26
	v_add_f32_e32 v20, 0, v18
	v_cndmask_b32_e64 v19, 0, v19, s[28:29]
	v_add_f32_e32 v20, v20, v19
	v_add_f32_e32 v20, v20, v28
	v_add_f32_e32 v27, v20, v29
	v_cndmask_b32_e64 v20, 0, v21, s[36:37]
	v_cndmask_b32_e64 v21, 0, v26, s[38:39]
	v_sub_f32_e32 v26, v36, v42
	v_mul_f32_e32 v26, 0x3fb8aa3b, v26
	v_exp_f32_e32 v26, v26
	v_sub_f32_e32 v30, v37, v42
	v_add_f32_e32 v27, v27, v20
	v_mul_f32_e32 v30, 0x3fb8aa3b, v30
	v_exp_f32_e32 v31, v30
	v_add_f32_e32 v27, v27, v21
	v_cndmask_b32_e64 v30, 0, v26, s[20:21]
	v_add_f32_e32 v26, v27, v30
	v_sub_f32_e32 v27, v34, v42
	v_mul_f32_e32 v27, 0x3fb8aa3b, v27
	v_sub_f32_e32 v34, v35, v42
	v_exp_f32_e32 v27, v27
	v_mul_f32_e32 v34, 0x3fb8aa3b, v34
	v_sub_f32_e32 v22, v22, v42
	v_exp_f32_e32 v34, v34
	;; [unrolled: 3-line block ×3, first 2 shown]
	v_mul_f32_e32 v23, 0x3fb8aa3b, v23
	v_cndmask_b32_e64 v31, 0, v31, s[22:23]
	v_exp_f32_e32 v23, v23
	v_add_f32_e32 v35, v26, v31
	v_cndmask_b32_e64 v26, 0, v27, s[16:17]
	v_add_f32_e32 v35, v35, v26
	v_cndmask_b32_e64 v27, 0, v34, s[18:19]
	;; [unrolled: 2-line block ×4, first 2 shown]
	v_sub_f32_e32 v23, v32, v42
	v_mul_f32_e32 v23, 0x3fb8aa3b, v23
	v_sub_f32_e32 v32, v33, v42
	v_exp_f32_e32 v23, v23
	v_mul_f32_e32 v32, 0x3fb8aa3b, v32
	v_sub_f32_e32 v24, v24, v42
	v_exp_f32_e32 v32, v32
	;; [unrolled: 3-line block ×3, first 2 shown]
	v_mul_f32_e32 v25, 0x3fb8aa3b, v25
	v_exp_f32_e32 v25, v25
	v_add_f32_e32 v33, v22, v35
	v_cndmask_b32_e64 v22, 0, v23, s[8:9]
	v_add_f32_e32 v33, v33, v22
	v_cndmask_b32_e64 v23, 0, v32, s[10:11]
	v_add_f32_e32 v32, v33, v23
	v_cndmask_b32_e32 v24, 0, v24, vcc
	v_add_f32_e32 v32, v32, v24
	v_cndmask_b32_e64 v25, 0, v25, s[2:3]
	v_add_f32_e32 v32, v32, v25
	ds_bpermute_b32 v33, v43, v32
	v_cmp_gt_u32_e64 s[2:3], 16, v45
	s_waitcnt lgkmcnt(0)
	v_add_f32_e32 v32, v32, v33
	ds_bpermute_b32 v36, v44, v32
	v_lshlrev_b32_e32 v33, 2, v48
	s_and_saveexec_b64 s[8:9], s[2:3]
	s_cbranch_execz .LBB850_397
; %bb.396:
	s_waitcnt lgkmcnt(0)
	v_add_f32_e32 v32, v32, v36
	v_lshl_or_b32 v36, v49, 6, v33
	ds_write2st64_b32 v36, v42, v32 offset1:1
.LBB850_397:
	s_or_b64 exec, exec, s[8:9]
	s_waitcnt lgkmcnt(0)
	s_barrier
	ds_read2_b32 v[36:37], v33 offset1:16
	ds_read2_b32 v[38:39], v33 offset0:32 offset1:48
	ds_read2_b32 v[40:41], v33 offset0:64 offset1:80
	s_mul_i32 s14, s45, 5
	s_waitcnt lgkmcnt(2)
	v_max3_f32 v32, v36, s46, v37
	s_waitcnt lgkmcnt(1)
	v_max3_f32 v32, v32, v38, v39
	v_sub_f32_e32 v36, v36, v32
	v_mul_f32_e32 v36, 0x3fb8aa3b, v36
	v_exp_f32_e32 v42, v36
	v_sub_f32_e32 v36, v37, v32
	v_mul_f32_e32 v36, 0x3fb8aa3b, v36
	v_exp_f32_e32 v43, v36
	;; [unrolled: 3-line block ×3, first 2 shown]
	ds_read2_b32 v[36:37], v33 offset0:96 offset1:112
	v_sub_f32_e32 v33, v39, v32
	v_mul_f32_e32 v33, 0x3fb8aa3b, v33
	v_exp_f32_e32 v39, v33
	s_waitcnt lgkmcnt(1)
	v_fma_f32 v33, v42, v40, 0
	v_fmac_f32_e32 v33, v43, v41
	s_waitcnt lgkmcnt(0)
	v_fmac_f32_e32 v33, v38, v36
	v_fmac_f32_e32 v33, v39, v37
	v_add_f32_e32 v36, 0x358637bd, v33
	v_div_scale_f32 v37, s[8:9], v36, v36, 1.0
	v_rcp_f32_e32 v40, v37
	s_movk_i32 s8, 0x7fff
	s_mov_b32 s9, 0x7060302
	v_fma_f32 v41, -v37, v40, 1.0
	v_fmac_f32_e32 v40, v41, v40
	v_div_scale_f32 v41, vcc, 1.0, v36, 1.0
	v_mul_f32_e32 v44, v41, v40
	v_fma_f32 v45, -v37, v44, v41
	v_fmac_f32_e32 v44, v45, v40
	v_fma_f32 v37, -v37, v44, v41
	v_div_fmas_f32 v37, v37, v40, v44
	v_cmp_eq_u32_e32 vcc, 1, v49
	v_div_fixup_f32 v36, v37, v36, 1.0
	v_cndmask_b32_e32 v37, v42, v43, vcc
	v_cmp_eq_u32_e32 vcc, 2, v49
	v_cndmask_b32_e32 v37, v37, v38, vcc
	v_cmp_eq_u32_e32 vcc, 3, v49
	v_cndmask_b32_e32 v37, v37, v39, vcc
	v_mul_f32_e32 v36, v37, v36
	v_pk_mul_f32 v[18:19], v[36:37], v[18:19] op_sel_hi:[0,1]
	v_pk_mul_f32 v[28:29], v[36:37], v[28:29] op_sel_hi:[0,1]
	v_bfe_u32 v37, v19, 16, 1
	v_bfe_u32 v38, v18, 16, 1
	v_add3_u32 v18, v18, v38, s8
	v_add3_u32 v19, v19, v37, s8
	v_perm_b32 v38, v19, v18, s9
	v_bfe_u32 v18, v29, 16, 1
	v_bfe_u32 v19, v28, 16, 1
	v_add3_u32 v19, v28, v19, s8
	v_add3_u32 v18, v29, v18, s8
	v_perm_b32 v39, v18, v19, s9
	v_lshlrev_b32_e32 v18, 3, v1
	v_lshlrev_b32_e32 v19, 5, v48
	;; [unrolled: 1-line block ×3, first 2 shown]
	v_pk_mul_f32 v[20:21], v[36:37], v[20:21] op_sel_hi:[0,1]
	v_or3_b32 v28, v28, v19, v18
	v_bfe_u32 v18, v21, 16, 1
	v_bfe_u32 v29, v20, 16, 1
	v_pk_mul_f32 v[30:31], v[36:37], v[30:31] op_sel_hi:[0,1]
	v_add3_u32 v20, v20, v29, s8
	v_add3_u32 v18, v21, v18, s8
	v_perm_b32 v20, v18, v20, s9
	v_bfe_u32 v18, v31, 16, 1
	v_bfe_u32 v21, v30, 16, 1
	v_add3_u32 v21, v30, v21, s8
	v_add3_u32 v18, v31, v18, s8
	v_pk_mul_f32 v[26:27], v[36:37], v[26:27] op_sel_hi:[0,1]
	v_perm_b32 v21, v18, v21, s9
	v_bfe_u32 v18, v27, 16, 1
	v_bfe_u32 v29, v26, 16, 1
	s_barrier
	ds_write2st64_b64 v28, v[38:39], v[20:21] offset1:1
	v_pk_mul_f32 v[20:21], v[36:37], v[34:35] op_sel_hi:[0,1]
	v_add3_u32 v26, v26, v29, s8
	v_add3_u32 v18, v27, v18, s8
	v_perm_b32 v26, v18, v26, s9
	v_bfe_u32 v18, v21, 16, 1
	v_bfe_u32 v27, v20, 16, 1
	v_add3_u32 v20, v20, v27, s8
	v_add3_u32 v18, v21, v18, s8
	v_pk_mul_f32 v[22:23], v[36:37], v[22:23] op_sel_hi:[0,1]
	v_perm_b32 v27, v18, v20, s9
	v_pk_mul_f32 v[20:21], v[36:37], v[24:25] op_sel_hi:[0,1]
	v_bfe_u32 v18, v23, 16, 1
	v_bfe_u32 v24, v22, 16, 1
	v_add3_u32 v22, v22, v24, s8
	v_add3_u32 v18, v23, v18, s8
	v_perm_b32 v22, v18, v22, s9
	v_bfe_u32 v18, v21, 16, 1
	v_bfe_u32 v23, v20, 16, 1
	v_add3_u32 v20, v20, v23, s8
	v_add3_u32 v18, v21, v18, s8
	v_perm_b32 v23, v18, v20, s9
	v_cmp_gt_u32_e32 vcc, 5, v0
	ds_write2st64_b64 v28, v[26:27], v[22:23] offset0:2 offset1:3
	s_and_saveexec_b64 s[8:9], vcc
	s_cbranch_execz .LBB850_399
; %bb.398:
	v_add_co_u32_e32 v22, vcc, s25, v48
	v_addc_co_u32_e64 v23, s[10:11], 0, 0, vcc
	v_mov_b32_e32 v18, s14
	v_mov_b32_e32 v21, 0
	v_mad_u64_u32 v[22:23], s[10:11], s6, v18, v[22:23]
	v_mov_b32_e32 v20, s24
	s_load_dwordx4 s[16:19], s[4:5], 0x58
	s_mul_i32 s7, s7, s14
	v_mad_u64_u32 v[20:21], s[10:11], v22, s44, v[20:21]
	v_add_u32_e32 v23, s7, v23
	v_mov_b32_e32 v18, v21
	v_mad_u64_u32 v[22:23], s[10:11], v23, s44, v[18:19]
	v_mov_b32_e32 v21, v22
	v_lshlrev_b64 v[20:21], 2, v[20:21]
	s_waitcnt lgkmcnt(0)
	v_mov_b32_e32 v18, s19
	v_add_co_u32_e32 v22, vcc, s18, v20
	v_addc_co_u32_e32 v23, vcc, v18, v21, vcc
	v_mov_b32_e32 v18, s17
	v_add_co_u32_e32 v20, vcc, s16, v20
	v_addc_co_u32_e32 v21, vcc, v18, v21, vcc
	global_store_dword v[22:23], v32, off
	global_store_dword v[20:21], v33, off
.LBB850_399:
	s_or_b64 exec, exec, s[8:9]
	v_mov_b32_e32 v20, 0
	s_waitcnt vmcnt(3)
	v_cmp_ne_u16_sdwa s[10:11], v14, v20 src0_sel:BYTE_0 src1_sel:DWORD
	v_mov_b32_e32 v21, 0
	s_waitcnt lgkmcnt(0)
	s_barrier
	s_and_saveexec_b64 s[8:9], s[10:11]
	s_cbranch_execz .LBB850_405
; %bb.400:
	s_movk_i32 s7, 0x80
	v_cmp_ne_u16_sdwa s[12:13], v14, s7 src0_sel:BYTE_0 src1_sel:DWORD
	v_mov_b32_e32 v21, 0xffff8000
	s_and_saveexec_b64 s[10:11], s[12:13]
	s_cbranch_execz .LBB850_404
; %bb.401:
	s_movk_i32 s7, 0x7f
	v_and_b32_e32 v18, 0x7f, v14
	v_cmp_ne_u32_e32 vcc, s7, v18
	v_mov_b32_e32 v21, 0x7f80
	s_and_saveexec_b64 s[12:13], vcc
	s_cbranch_execz .LBB850_403
; %bb.402:
	v_and_b32_e32 v21, 7, v14
	v_ffbh_u32_e32 v22, v21
	v_min_u32_e32 v25, 32, v22
	v_subrev_u32_e32 v22, 28, v25
	v_lshlrev_b64 v[22:23], v22, v[14:15]
	v_lshrrev_b32_e32 v24, 3, v18
	v_sub_u32_e32 v23, 29, v25
	v_and_b32_e32 v22, 7, v22
	v_cmp_gt_u32_e32 vcc, 8, v18
	v_cndmask_b32_e32 v18, v24, v23, vcc
	v_cndmask_b32_e32 v21, v21, v22, vcc
	v_lshlrev_b32_e32 v22, 24, v14
	v_bfrev_b32_e32 v23, 60
	v_lshlrev_b32_e32 v21, 20, v21
	v_and_b32_e32 v22, 0x80000000, v22
	v_lshl_add_u32 v18, v18, 23, v23
	v_or3_b32 v18, v22, v18, v21
	v_lshrrev_b32_e32 v21, 16, v18
.LBB850_403:
	s_or_b64 exec, exec, s[12:13]
.LBB850_404:
	s_or_b64 exec, exec, s[10:11]
.LBB850_405:
	s_or_b64 exec, exec, s[8:9]
	v_lshrrev_b16_e32 v18, 8, v14
	v_cmp_ne_u16_e32 vcc, 0, v18
	s_and_saveexec_b64 s[8:9], vcc
	s_cbranch_execz .LBB850_411
; %bb.406:
	s_movk_i32 s7, 0x80
	v_cmp_ne_u16_e32 vcc, s7, v18
	v_mov_b32_e32 v20, 0xffff8000
	s_and_saveexec_b64 s[10:11], vcc
	s_cbranch_execz .LBB850_410
; %bb.407:
	s_movk_i32 s7, 0x7f
	v_and_b32_e32 v22, 0x7f, v18
	v_cmp_ne_u32_e32 vcc, s7, v22
	v_mov_b32_e32 v20, 0x7f80
	s_and_saveexec_b64 s[12:13], vcc
	s_cbranch_execz .LBB850_409
; %bb.408:
	v_and_b32_e32 v20, 7, v18
	v_ffbh_u32_e32 v24, v20
	v_min_u32_e32 v26, 32, v24
	v_subrev_u32_e32 v24, 28, v26
	v_lshlrev_b64 v[24:25], v24, v[18:19]
	v_lshrrev_b32_e32 v23, 3, v22
	v_sub_u32_e32 v18, 29, v26
	v_and_b32_e32 v24, 7, v24
	v_cmp_gt_u32_e32 vcc, 8, v22
	v_cndmask_b32_e32 v18, v23, v18, vcc
	v_cndmask_b32_e32 v20, v20, v24, vcc
	v_lshlrev_b32_e32 v22, 16, v14
	v_bfrev_b32_e32 v23, 60
	v_lshlrev_b32_e32 v20, 20, v20
	v_and_b32_e32 v22, 0x80000000, v22
	v_lshl_add_u32 v18, v18, 23, v23
	v_or3_b32 v18, v22, v18, v20
	v_lshrrev_b32_e32 v20, 16, v18
.LBB850_409:
	s_or_b64 exec, exec, s[12:13]
.LBB850_410:
	s_or_b64 exec, exec, s[10:11]
.LBB850_411:
	s_or_b64 exec, exec, s[8:9]
	s_movk_i32 s7, 0xff
	v_and_b32_sdwa v24, v14, s7 dst_sel:DWORD dst_unused:UNUSED_PAD src0_sel:WORD_1 src1_sel:DWORD
	v_lshrrev_b32_e32 v18, 16, v14
	v_cmp_ne_u16_e32 vcc, 0, v24
	v_mov_b32_e32 v22, 0
	v_mov_b32_e32 v23, 0
	s_and_saveexec_b64 s[8:9], vcc
	s_cbranch_execz .LBB850_417
; %bb.412:
	s_movk_i32 s7, 0x80
	v_cmp_ne_u16_e32 vcc, s7, v24
	v_mov_b32_e32 v23, 0xffff8000
	s_and_saveexec_b64 s[10:11], vcc
	s_cbranch_execz .LBB850_416
; %bb.413:
	v_bfe_u32 v24, v14, 16, 7
	s_movk_i32 s7, 0x7f
	v_cmp_ne_u32_e32 vcc, s7, v24
	v_mov_b32_e32 v23, 0x7f80
	s_and_saveexec_b64 s[12:13], vcc
	s_cbranch_execz .LBB850_415
; %bb.414:
	v_and_b32_e32 v23, 7, v18
	v_ffbh_u32_e32 v26, v23
	v_min_u32_e32 v29, 32, v26
	v_subrev_u32_e32 v26, 28, v29
	v_lshlrev_b64 v[26:27], v26, v[18:19]
	v_lshrrev_b32_e32 v25, 3, v24
	v_sub_u32_e32 v18, 29, v29
	v_and_b32_e32 v26, 7, v26
	v_cmp_gt_u32_e32 vcc, 8, v24
	v_mov_b32_e32 v24, 24
	v_cndmask_b32_e32 v18, v25, v18, vcc
	v_cndmask_b32_e32 v23, v23, v26, vcc
	v_lshlrev_b32_sdwa v24, v24, v14 dst_sel:DWORD dst_unused:UNUSED_PAD src0_sel:DWORD src1_sel:WORD_1
	v_bfrev_b32_e32 v25, 60
	v_lshlrev_b32_e32 v23, 20, v23
	v_and_b32_e32 v24, 0x80000000, v24
	v_lshl_add_u32 v18, v18, 23, v25
	v_or3_b32 v18, v24, v18, v23
	v_lshrrev_b32_e32 v23, 16, v18
.LBB850_415:
	s_or_b64 exec, exec, s[12:13]
.LBB850_416:
	s_or_b64 exec, exec, s[10:11]
.LBB850_417:
	s_or_b64 exec, exec, s[8:9]
	s_mov_b32 s7, 0xffffff
	v_cmp_lt_u32_e32 vcc, s7, v14
	s_and_saveexec_b64 s[8:9], vcc
	s_cbranch_execz .LBB850_423
; %bb.418:
	v_lshrrev_b32_e32 v18, 24, v14
	s_movk_i32 s7, 0x80
	v_cmp_ne_u32_e32 vcc, s7, v18
	v_mov_b32_e32 v22, 0xffff8000
	s_and_saveexec_b64 s[10:11], vcc
	s_cbranch_execz .LBB850_422
; %bb.419:
	v_bfe_u32 v14, v14, 24, 7
	s_movk_i32 s7, 0x7f
	v_cmp_ne_u32_e32 vcc, s7, v14
	v_mov_b32_e32 v22, 0x7f80
	s_and_saveexec_b64 s[12:13], vcc
	s_cbranch_execz .LBB850_421
; %bb.420:
	v_and_b32_e32 v22, 7, v18
	v_ffbh_u32_e32 v24, v22
	v_min_u32_e32 v27, 32, v24
	v_subrev_u32_e32 v24, 28, v27
	v_lshlrev_b64 v[24:25], v24, v[18:19]
	v_lshrrev_b32_e32 v26, 3, v14
	v_sub_u32_e32 v25, 29, v27
	v_and_b32_e32 v24, 7, v24
	v_cmp_gt_u32_e32 vcc, 8, v14
	v_cndmask_b32_e32 v14, v26, v25, vcc
	v_cndmask_b32_e32 v22, v22, v24, vcc
	v_lshlrev_b32_e32 v18, 24, v18
	v_bfrev_b32_e32 v24, 60
	v_lshlrev_b32_e32 v22, 20, v22
	v_and_b32_e32 v18, 0x80000000, v18
	v_lshl_add_u32 v14, v14, 23, v24
	v_or3_b32 v14, v18, v14, v22
	v_lshrrev_b32_e32 v22, 16, v14
.LBB850_421:
	s_or_b64 exec, exec, s[12:13]
.LBB850_422:
	s_or_b64 exec, exec, s[10:11]
.LBB850_423:
	s_or_b64 exec, exec, s[8:9]
	v_mov_b32_e32 v18, 0
	v_cmp_ne_u16_sdwa s[10:11], v15, v18 src0_sel:BYTE_0 src1_sel:DWORD
	v_mov_b32_e32 v24, 0
	s_and_saveexec_b64 s[8:9], s[10:11]
	s_cbranch_execz .LBB850_429
; %bb.424:
	s_movk_i32 s7, 0x80
	v_cmp_ne_u16_sdwa s[12:13], v15, s7 src0_sel:BYTE_0 src1_sel:DWORD
	v_mov_b32_e32 v24, 0xffff8000
	s_and_saveexec_b64 s[10:11], s[12:13]
	s_cbranch_execz .LBB850_428
; %bb.425:
	s_movk_i32 s7, 0x7f
	v_and_b32_e32 v14, 0x7f, v15
	v_cmp_ne_u32_e32 vcc, s7, v14
	v_mov_b32_e32 v24, 0x7f80
	s_and_saveexec_b64 s[12:13], vcc
	s_cbranch_execz .LBB850_427
; %bb.426:
	v_and_b32_e32 v26, 7, v15
	v_ffbh_u32_e32 v25, v26
	v_min_u32_e32 v29, 32, v25
	v_mov_b32_e32 v24, v15
	v_subrev_u32_e32 v25, 28, v29
	v_lshlrev_b64 v[24:25], v25, v[24:25]
	v_lshrrev_b32_e32 v27, 3, v14
	v_sub_u32_e32 v25, 29, v29
	v_and_b32_e32 v24, 7, v24
	v_cmp_gt_u32_e32 vcc, 8, v14
	v_cndmask_b32_e32 v14, v27, v25, vcc
	v_cndmask_b32_e32 v24, v26, v24, vcc
	v_lshlrev_b32_e32 v25, 24, v15
	v_bfrev_b32_e32 v26, 60
	v_lshlrev_b32_e32 v24, 20, v24
	v_and_b32_e32 v25, 0x80000000, v25
	v_lshl_add_u32 v14, v14, 23, v26
	v_or3_b32 v14, v25, v14, v24
	v_lshrrev_b32_e32 v24, 16, v14
.LBB850_427:
	s_or_b64 exec, exec, s[12:13]
.LBB850_428:
	s_or_b64 exec, exec, s[10:11]
.LBB850_429:
	s_or_b64 exec, exec, s[8:9]
	v_lshrrev_b16_e32 v14, 8, v15
	v_cmp_ne_u16_e32 vcc, 0, v14
	s_and_saveexec_b64 s[8:9], vcc
	s_cbranch_execz .LBB850_435
; %bb.430:
	s_movk_i32 s7, 0x80
	v_cmp_ne_u16_e32 vcc, s7, v14
	v_mov_b32_e32 v18, 0xffff8000
	s_and_saveexec_b64 s[10:11], vcc
	s_cbranch_execz .LBB850_434
; %bb.431:
	s_movk_i32 s7, 0x7f
	v_and_b32_e32 v25, 0x7f, v14
	v_cmp_ne_u32_e32 vcc, s7, v25
	v_mov_b32_e32 v18, 0x7f80
	s_and_saveexec_b64 s[12:13], vcc
	s_cbranch_execz .LBB850_433
; %bb.432:
	v_and_b32_e32 v18, 7, v14
	v_ffbh_u32_e32 v26, v18
	v_min_u32_e32 v30, 32, v26
	v_subrev_u32_e32 v26, 28, v30
	v_lshlrev_b64 v[26:27], v26, v[14:15]
	v_lshrrev_b32_e32 v29, 3, v25
	v_sub_u32_e32 v14, 29, v30
	v_and_b32_e32 v26, 7, v26
	v_cmp_gt_u32_e32 vcc, 8, v25
	v_cndmask_b32_e32 v14, v29, v14, vcc
	v_cndmask_b32_e32 v18, v18, v26, vcc
	v_lshlrev_b32_e32 v25, 16, v15
	v_bfrev_b32_e32 v26, 60
	v_lshlrev_b32_e32 v18, 20, v18
	v_and_b32_e32 v25, 0x80000000, v25
	v_lshl_add_u32 v14, v14, 23, v26
	v_or3_b32 v14, v25, v14, v18
	v_lshrrev_b32_e32 v18, 16, v14
.LBB850_433:
	s_or_b64 exec, exec, s[12:13]
.LBB850_434:
	s_or_b64 exec, exec, s[10:11]
.LBB850_435:
	s_or_b64 exec, exec, s[8:9]
	s_movk_i32 s7, 0xff
	v_and_b32_sdwa v27, v15, s7 dst_sel:DWORD dst_unused:UNUSED_PAD src0_sel:WORD_1 src1_sel:DWORD
	v_lshrrev_b32_e32 v14, 16, v15
	v_cmp_ne_u16_e32 vcc, 0, v27
	v_mov_b32_e32 v25, 0
	v_mov_b32_e32 v26, 0
	s_and_saveexec_b64 s[8:9], vcc
	s_cbranch_execz .LBB850_441
; %bb.436:
	s_movk_i32 s7, 0x80
	v_cmp_ne_u16_e32 vcc, s7, v27
	v_mov_b32_e32 v26, 0xffff8000
	s_and_saveexec_b64 s[10:11], vcc
	s_cbranch_execz .LBB850_440
; %bb.437:
	v_bfe_u32 v27, v15, 16, 7
	s_movk_i32 s7, 0x7f
	v_cmp_ne_u32_e32 vcc, s7, v27
	v_mov_b32_e32 v26, 0x7f80
	s_and_saveexec_b64 s[12:13], vcc
	s_cbranch_execz .LBB850_439
; %bb.438:
	v_and_b32_e32 v26, 7, v14
	v_ffbh_u32_e32 v30, v26
	v_min_u32_e32 v32, 32, v30
	v_subrev_u32_e32 v30, 28, v32
	v_lshlrev_b64 v[30:31], v30, v[14:15]
	v_lshrrev_b32_e32 v29, 3, v27
	v_sub_u32_e32 v14, 29, v32
	v_and_b32_e32 v30, 7, v30
	v_cmp_gt_u32_e32 vcc, 8, v27
	v_mov_b32_e32 v27, 24
	v_cndmask_b32_e32 v14, v29, v14, vcc
	v_cndmask_b32_e32 v26, v26, v30, vcc
	v_lshlrev_b32_sdwa v27, v27, v15 dst_sel:DWORD dst_unused:UNUSED_PAD src0_sel:DWORD src1_sel:WORD_1
	v_bfrev_b32_e32 v29, 60
	v_lshlrev_b32_e32 v26, 20, v26
	v_and_b32_e32 v27, 0x80000000, v27
	v_lshl_add_u32 v14, v14, 23, v29
	v_or3_b32 v14, v27, v14, v26
	v_lshrrev_b32_e32 v26, 16, v14
.LBB850_439:
	s_or_b64 exec, exec, s[12:13]
.LBB850_440:
	s_or_b64 exec, exec, s[10:11]
.LBB850_441:
	s_or_b64 exec, exec, s[8:9]
	s_mov_b32 s7, 0xffffff
	v_cmp_lt_u32_e32 vcc, s7, v15
	s_and_saveexec_b64 s[8:9], vcc
	s_cbranch_execz .LBB850_447
; %bb.442:
	v_lshrrev_b32_e32 v14, 24, v15
	s_movk_i32 s7, 0x80
	v_cmp_ne_u32_e32 vcc, s7, v14
	v_mov_b32_e32 v25, 0xffff8000
	s_and_saveexec_b64 s[10:11], vcc
	s_cbranch_execz .LBB850_446
; %bb.443:
	v_bfe_u32 v15, v15, 24, 7
	s_movk_i32 s7, 0x7f
	v_cmp_ne_u32_e32 vcc, s7, v15
	v_mov_b32_e32 v25, 0x7f80
	s_and_saveexec_b64 s[12:13], vcc
	s_cbranch_execz .LBB850_445
; %bb.444:
	v_and_b32_e32 v25, 7, v14
	v_ffbh_u32_e32 v29, v25
	v_min_u32_e32 v29, 32, v29
	v_subrev_u32_e32 v30, 28, v29
	v_lshlrev_b64 v[30:31], v30, v[14:15]
	v_lshrrev_b32_e32 v27, 3, v15
	v_sub_u32_e32 v29, 29, v29
	v_and_b32_e32 v30, 7, v30
	v_cmp_gt_u32_e32 vcc, 8, v15
	v_cndmask_b32_e32 v15, v27, v29, vcc
	v_cndmask_b32_e32 v25, v25, v30, vcc
	v_lshlrev_b32_e32 v14, 24, v14
	v_bfrev_b32_e32 v27, 60
	v_lshlrev_b32_e32 v25, 20, v25
	v_and_b32_e32 v14, 0x80000000, v14
	v_lshl_add_u32 v15, v15, 23, v27
	v_or3_b32 v14, v14, v15, v25
	v_lshrrev_b32_e32 v25, 16, v14
.LBB850_445:
	s_or_b64 exec, exec, s[12:13]
.LBB850_446:
	s_or_b64 exec, exec, s[10:11]
.LBB850_447:
	s_or_b64 exec, exec, s[8:9]
	s_mov_b32 s7, 0x5040100
	v_perm_b32 v15, v22, v23, s7
	v_lshl_or_b32 v22, v1, 9, v19
	v_perm_b32 v14, v20, v21, s7
	ds_read_b128 v[30:33], v22
	v_perm_b32 v19, v25, v26, s7
	v_perm_b32 v18, v18, v24, s7
	s_waitcnt lgkmcnt(0)
	v_mfma_f32_16x16x16bf16_1k v[34:37], v[14:15], v[30:31], 0
	v_mov_b32_e32 v15, 0
	v_cmp_ne_u16_sdwa s[10:11], v16, v15 src0_sel:BYTE_0 src1_sel:DWORD
	v_mov_b32_e32 v23, 0
	v_mfma_f32_16x16x16bf16_1k v[18:21], v[18:19], v[32:33], v[34:37]
	s_and_saveexec_b64 s[8:9], s[10:11]
	s_cbranch_execz .LBB850_453
; %bb.448:
	s_movk_i32 s7, 0x80
	v_cmp_ne_u16_sdwa s[12:13], v16, s7 src0_sel:BYTE_0 src1_sel:DWORD
	v_mov_b32_e32 v23, 0xffff8000
	s_and_saveexec_b64 s[10:11], s[12:13]
	s_cbranch_execz .LBB850_452
; %bb.449:
	s_movk_i32 s7, 0x7f
	v_and_b32_e32 v14, 0x7f, v16
	v_cmp_ne_u32_e32 vcc, s7, v14
	v_mov_b32_e32 v23, 0x7f80
	s_and_saveexec_b64 s[12:13], vcc
	s_cbranch_execz .LBB850_451
; %bb.450:
	v_and_b32_e32 v23, 7, v16
	v_ffbh_u32_e32 v24, v23
	v_min_u32_e32 v27, 32, v24
	v_subrev_u32_e32 v24, 28, v27
	v_lshlrev_b64 v[24:25], v24, v[16:17]
	v_lshrrev_b32_e32 v26, 3, v14
	v_sub_u32_e32 v25, 29, v27
	v_and_b32_e32 v24, 7, v24
	v_cmp_gt_u32_e32 vcc, 8, v14
	v_cndmask_b32_e32 v14, v26, v25, vcc
	v_cndmask_b32_e32 v23, v23, v24, vcc
	v_lshlrev_b32_e32 v24, 24, v16
	v_bfrev_b32_e32 v25, 60
	v_lshlrev_b32_e32 v23, 20, v23
	v_and_b32_e32 v24, 0x80000000, v24
	v_lshl_add_u32 v14, v14, 23, v25
	v_or3_b32 v14, v24, v14, v23
	v_lshrrev_b32_e32 v23, 16, v14
.LBB850_451:
	s_or_b64 exec, exec, s[12:13]
.LBB850_452:
	s_or_b64 exec, exec, s[10:11]
.LBB850_453:
	s_or_b64 exec, exec, s[8:9]
	v_lshrrev_b16_e32 v14, 8, v16
	v_cmp_ne_u16_e32 vcc, 0, v14
	s_and_saveexec_b64 s[8:9], vcc
	s_cbranch_execz .LBB850_459
; %bb.454:
	s_movk_i32 s7, 0x80
	v_cmp_ne_u16_e32 vcc, s7, v14
	v_mov_b32_e32 v15, 0xffff8000
	s_and_saveexec_b64 s[10:11], vcc
	s_cbranch_execz .LBB850_458
; %bb.455:
	s_movk_i32 s7, 0x7f
	v_and_b32_e32 v24, 0x7f, v14
	v_cmp_ne_u32_e32 vcc, s7, v24
	v_mov_b32_e32 v15, 0x7f80
	s_and_saveexec_b64 s[12:13], vcc
	s_cbranch_execz .LBB850_457
; %bb.456:
	v_and_b32_e32 v25, 7, v14
	v_ffbh_u32_e32 v15, v25
	v_min_u32_e32 v27, 32, v15
	v_subrev_u32_e32 v15, 28, v27
	v_lshlrev_b64 v[14:15], v15, v[14:15]
	v_lshrrev_b32_e32 v26, 3, v24
	v_sub_u32_e32 v15, 29, v27
	v_and_b32_e32 v14, 7, v14
	v_cmp_gt_u32_e32 vcc, 8, v24
	v_cndmask_b32_e32 v15, v26, v15, vcc
	v_cndmask_b32_e32 v14, v25, v14, vcc
	v_lshlrev_b32_e32 v24, 16, v16
	v_bfrev_b32_e32 v25, 60
	v_lshlrev_b32_e32 v14, 20, v14
	v_and_b32_e32 v24, 0x80000000, v24
	v_lshl_add_u32 v15, v15, 23, v25
	v_or3_b32 v14, v24, v15, v14
	v_lshrrev_b32_e32 v15, 16, v14
.LBB850_457:
	s_or_b64 exec, exec, s[12:13]
.LBB850_458:
	s_or_b64 exec, exec, s[10:11]
.LBB850_459:
	s_or_b64 exec, exec, s[8:9]
	s_movk_i32 s7, 0xff
	v_and_b32_sdwa v26, v16, s7 dst_sel:DWORD dst_unused:UNUSED_PAD src0_sel:WORD_1 src1_sel:DWORD
	v_lshrrev_b32_e32 v14, 16, v16
	v_cmp_ne_u16_e32 vcc, 0, v26
	v_mov_b32_e32 v24, 0
	v_mov_b32_e32 v25, 0
	s_and_saveexec_b64 s[8:9], vcc
	s_cbranch_execz .LBB850_465
; %bb.460:
	s_movk_i32 s7, 0x80
	v_cmp_ne_u16_e32 vcc, s7, v26
	v_mov_b32_e32 v25, 0xffff8000
	s_and_saveexec_b64 s[10:11], vcc
	s_cbranch_execz .LBB850_464
; %bb.461:
	v_bfe_u32 v26, v16, 16, 7
	s_movk_i32 s7, 0x7f
	v_cmp_ne_u32_e32 vcc, s7, v26
	v_mov_b32_e32 v25, 0x7f80
	s_and_saveexec_b64 s[12:13], vcc
	s_cbranch_execz .LBB850_463
; %bb.462:
	v_and_b32_e32 v25, 7, v14
	v_ffbh_u32_e32 v29, v25
	v_min_u32_e32 v29, 32, v29
	v_subrev_u32_e32 v30, 28, v29
	v_lshlrev_b64 v[30:31], v30, v[14:15]
	v_lshrrev_b32_e32 v27, 3, v26
	v_sub_u32_e32 v14, 29, v29
	v_and_b32_e32 v29, 7, v30
	v_cmp_gt_u32_e32 vcc, 8, v26
	v_mov_b32_e32 v26, 24
	v_cndmask_b32_e32 v14, v27, v14, vcc
	v_cndmask_b32_e32 v25, v25, v29, vcc
	v_lshlrev_b32_sdwa v26, v26, v16 dst_sel:DWORD dst_unused:UNUSED_PAD src0_sel:DWORD src1_sel:WORD_1
	v_bfrev_b32_e32 v27, 60
	v_lshlrev_b32_e32 v25, 20, v25
	v_and_b32_e32 v26, 0x80000000, v26
	v_lshl_add_u32 v14, v14, 23, v27
	v_or3_b32 v14, v26, v14, v25
	v_lshrrev_b32_e32 v25, 16, v14
.LBB850_463:
	s_or_b64 exec, exec, s[12:13]
.LBB850_464:
	s_or_b64 exec, exec, s[10:11]
.LBB850_465:
	s_or_b64 exec, exec, s[8:9]
	s_mov_b32 s7, 0xffffff
	v_cmp_lt_u32_e32 vcc, s7, v16
	s_and_saveexec_b64 s[8:9], vcc
	s_cbranch_execz .LBB850_471
; %bb.466:
	v_lshrrev_b32_e32 v14, 24, v16
	s_movk_i32 s7, 0x80
	v_cmp_ne_u32_e32 vcc, s7, v14
	v_mov_b32_e32 v24, 0xffff8000
	s_and_saveexec_b64 s[10:11], vcc
	s_cbranch_execz .LBB850_470
; %bb.467:
	v_bfe_u32 v16, v16, 24, 7
	s_movk_i32 s7, 0x7f
	v_cmp_ne_u32_e32 vcc, s7, v16
	v_mov_b32_e32 v24, 0x7f80
	s_and_saveexec_b64 s[12:13], vcc
	s_cbranch_execz .LBB850_469
; %bb.468:
	v_and_b32_e32 v24, 7, v14
	v_ffbh_u32_e32 v26, v24
	v_min_u32_e32 v30, 32, v26
	v_subrev_u32_e32 v26, 28, v30
	v_lshlrev_b64 v[26:27], v26, v[14:15]
	v_lshrrev_b32_e32 v29, 3, v16
	v_sub_u32_e32 v27, 29, v30
	v_and_b32_e32 v26, 7, v26
	v_cmp_gt_u32_e32 vcc, 8, v16
	v_cndmask_b32_e32 v16, v29, v27, vcc
	v_cndmask_b32_e32 v24, v24, v26, vcc
	v_lshlrev_b32_e32 v14, 24, v14
	v_bfrev_b32_e32 v26, 60
	v_lshlrev_b32_e32 v24, 20, v24
	v_and_b32_e32 v14, 0x80000000, v14
	v_lshl_add_u32 v16, v16, 23, v26
	v_or3_b32 v14, v14, v16, v24
	v_lshrrev_b32_e32 v24, 16, v14
.LBB850_469:
	s_or_b64 exec, exec, s[12:13]
.LBB850_470:
	s_or_b64 exec, exec, s[10:11]
.LBB850_471:
	s_or_b64 exec, exec, s[8:9]
	v_mov_b32_e32 v16, 0
	v_cmp_ne_u16_sdwa s[10:11], v17, v16 src0_sel:BYTE_0 src1_sel:DWORD
	v_mov_b32_e32 v26, 0
	s_and_saveexec_b64 s[8:9], s[10:11]
	s_cbranch_execz .LBB850_477
; %bb.472:
	s_movk_i32 s7, 0x80
	v_cmp_ne_u16_sdwa s[12:13], v17, s7 src0_sel:BYTE_0 src1_sel:DWORD
	v_mov_b32_e32 v26, 0xffff8000
	s_and_saveexec_b64 s[10:11], s[12:13]
	s_cbranch_execz .LBB850_476
; %bb.473:
	s_movk_i32 s7, 0x7f
	v_and_b32_e32 v14, 0x7f, v17
	v_cmp_ne_u32_e32 vcc, s7, v14
	v_mov_b32_e32 v26, 0x7f80
	s_and_saveexec_b64 s[12:13], vcc
	s_cbranch_execz .LBB850_475
; %bb.474:
	v_and_b32_e32 v29, 7, v17
	v_ffbh_u32_e32 v27, v29
	v_min_u32_e32 v31, 32, v27
	v_mov_b32_e32 v26, v17
	v_subrev_u32_e32 v27, 28, v31
	v_lshlrev_b64 v[26:27], v27, v[26:27]
	v_lshrrev_b32_e32 v30, 3, v14
	v_sub_u32_e32 v27, 29, v31
	v_and_b32_e32 v26, 7, v26
	v_cmp_gt_u32_e32 vcc, 8, v14
	v_cndmask_b32_e32 v14, v30, v27, vcc
	v_cndmask_b32_e32 v26, v29, v26, vcc
	v_lshlrev_b32_e32 v27, 24, v17
	v_bfrev_b32_e32 v29, 60
	v_lshlrev_b32_e32 v26, 20, v26
	v_and_b32_e32 v27, 0x80000000, v27
	v_lshl_add_u32 v14, v14, 23, v29
	v_or3_b32 v14, v27, v14, v26
	v_lshrrev_b32_e32 v26, 16, v14
.LBB850_475:
	s_or_b64 exec, exec, s[12:13]
.LBB850_476:
	s_or_b64 exec, exec, s[10:11]
.LBB850_477:
	s_or_b64 exec, exec, s[8:9]
	v_lshrrev_b16_e32 v14, 8, v17
	v_cmp_ne_u16_e32 vcc, 0, v14
	s_and_saveexec_b64 s[8:9], vcc
	s_cbranch_execz .LBB850_483
; %bb.478:
	s_movk_i32 s7, 0x80
	v_cmp_ne_u16_e32 vcc, s7, v14
	v_mov_b32_e32 v16, 0xffff8000
	s_and_saveexec_b64 s[10:11], vcc
	s_cbranch_execz .LBB850_482
; %bb.479:
	s_movk_i32 s7, 0x7f
	v_and_b32_e32 v27, 0x7f, v14
	v_cmp_ne_u32_e32 vcc, s7, v27
	v_mov_b32_e32 v16, 0x7f80
	s_and_saveexec_b64 s[12:13], vcc
	s_cbranch_execz .LBB850_481
; %bb.480:
	v_and_b32_e32 v16, 7, v14
	v_ffbh_u32_e32 v30, v16
	v_min_u32_e32 v32, 32, v30
	v_subrev_u32_e32 v30, 28, v32
	v_lshlrev_b64 v[30:31], v30, v[14:15]
	v_lshrrev_b32_e32 v29, 3, v27
	v_sub_u32_e32 v14, 29, v32
	v_and_b32_e32 v30, 7, v30
	v_cmp_gt_u32_e32 vcc, 8, v27
	v_cndmask_b32_e32 v14, v29, v14, vcc
	v_cndmask_b32_e32 v16, v16, v30, vcc
	v_lshlrev_b32_e32 v27, 16, v17
	v_bfrev_b32_e32 v29, 60
	v_lshlrev_b32_e32 v16, 20, v16
	v_and_b32_e32 v27, 0x80000000, v27
	v_lshl_add_u32 v14, v14, 23, v29
	v_or3_b32 v14, v27, v14, v16
	v_lshrrev_b32_e32 v16, 16, v14
.LBB850_481:
	s_or_b64 exec, exec, s[12:13]
.LBB850_482:
	s_or_b64 exec, exec, s[10:11]
.LBB850_483:
	s_or_b64 exec, exec, s[8:9]
	s_movk_i32 s7, 0xff
	v_and_b32_sdwa v30, v17, s7 dst_sel:DWORD dst_unused:UNUSED_PAD src0_sel:WORD_1 src1_sel:DWORD
	v_lshrrev_b32_e32 v14, 16, v17
	v_cmp_ne_u16_e32 vcc, 0, v30
	v_mov_b32_e32 v27, 0
	v_mov_b32_e32 v29, 0
	s_and_saveexec_b64 s[8:9], vcc
	s_cbranch_execz .LBB850_489
; %bb.484:
	s_movk_i32 s7, 0x80
	v_cmp_ne_u16_e32 vcc, s7, v30
	v_mov_b32_e32 v29, 0xffff8000
	s_and_saveexec_b64 s[10:11], vcc
	s_cbranch_execz .LBB850_488
; %bb.485:
	v_bfe_u32 v30, v17, 16, 7
	s_movk_i32 s7, 0x7f
	v_cmp_ne_u32_e32 vcc, s7, v30
	v_mov_b32_e32 v29, 0x7f80
	s_and_saveexec_b64 s[12:13], vcc
	s_cbranch_execz .LBB850_487
; %bb.486:
	v_and_b32_e32 v29, 7, v14
	v_ffbh_u32_e32 v32, v29
	v_min_u32_e32 v34, 32, v32
	v_subrev_u32_e32 v32, 28, v34
	v_lshlrev_b64 v[32:33], v32, v[14:15]
	v_lshrrev_b32_e32 v31, 3, v30
	v_sub_u32_e32 v14, 29, v34
	v_and_b32_e32 v32, 7, v32
	v_cmp_gt_u32_e32 vcc, 8, v30
	v_mov_b32_e32 v30, 24
	v_cndmask_b32_e32 v14, v31, v14, vcc
	v_cndmask_b32_e32 v29, v29, v32, vcc
	v_lshlrev_b32_sdwa v30, v30, v17 dst_sel:DWORD dst_unused:UNUSED_PAD src0_sel:DWORD src1_sel:WORD_1
	v_bfrev_b32_e32 v31, 60
	v_lshlrev_b32_e32 v29, 20, v29
	v_and_b32_e32 v30, 0x80000000, v30
	v_lshl_add_u32 v14, v14, 23, v31
	v_or3_b32 v14, v30, v14, v29
	v_lshrrev_b32_e32 v29, 16, v14
.LBB850_487:
	s_or_b64 exec, exec, s[12:13]
.LBB850_488:
	s_or_b64 exec, exec, s[10:11]
.LBB850_489:
	s_or_b64 exec, exec, s[8:9]
	s_mov_b32 s7, 0xffffff
	v_cmp_lt_u32_e32 vcc, s7, v17
	s_and_saveexec_b64 s[8:9], vcc
	s_cbranch_execz .LBB850_495
; %bb.490:
	v_lshrrev_b32_e32 v14, 24, v17
	s_movk_i32 s7, 0x80
	v_cmp_ne_u32_e32 vcc, s7, v14
	v_mov_b32_e32 v27, 0xffff8000
	s_and_saveexec_b64 s[10:11], vcc
	s_cbranch_execz .LBB850_494
; %bb.491:
	v_bfe_u32 v17, v17, 24, 7
	s_movk_i32 s7, 0x7f
	v_cmp_ne_u32_e32 vcc, s7, v17
	v_mov_b32_e32 v27, 0x7f80
	s_and_saveexec_b64 s[12:13], vcc
	s_cbranch_execz .LBB850_493
; %bb.492:
	v_and_b32_e32 v27, 7, v14
	v_ffbh_u32_e32 v30, v27
	v_min_u32_e32 v33, 32, v30
	v_subrev_u32_e32 v30, 28, v33
	v_lshlrev_b64 v[30:31], v30, v[14:15]
	v_lshrrev_b32_e32 v32, 3, v17
	v_sub_u32_e32 v31, 29, v33
	v_and_b32_e32 v30, 7, v30
	v_cmp_gt_u32_e32 vcc, 8, v17
	v_cndmask_b32_e32 v17, v32, v31, vcc
	v_cndmask_b32_e32 v27, v27, v30, vcc
	v_lshlrev_b32_e32 v14, 24, v14
	v_bfrev_b32_e32 v30, 60
	v_lshlrev_b32_e32 v27, 20, v27
	v_and_b32_e32 v14, 0x80000000, v14
	v_lshl_add_u32 v17, v17, 23, v30
	v_or3_b32 v14, v14, v17, v27
	v_lshrrev_b32_e32 v27, 16, v14
.LBB850_493:
	s_or_b64 exec, exec, s[12:13]
.LBB850_494:
	s_or_b64 exec, exec, s[10:11]
.LBB850_495:
	s_or_b64 exec, exec, s[8:9]
	s_mov_b32 s7, 0x5040100
	v_perm_b32 v25, v24, v25, s7
	v_perm_b32 v24, v15, v23, s7
	ds_read_b128 v[30:33], v22 offset:16
	v_perm_b32 v15, v27, v29, s7
	v_perm_b32 v14, v16, v26, s7
	s_waitcnt lgkmcnt(0)
	v_mfma_f32_16x16x16bf16_1k v[34:37], v[24:25], v[30:31], v[18:21]
	s_nop 6
	v_mov_b32_e32 v19, 0
	s_waitcnt vmcnt(2)
	v_cmp_ne_u16_sdwa s[10:11], v10, v19 src0_sel:BYTE_0 src1_sel:DWORD
	v_mfma_f32_16x16x16bf16_1k v[14:17], v[14:15], v[32:33], v[34:37]
	v_mov_b32_e32 v20, 0
	s_and_saveexec_b64 s[8:9], s[10:11]
	s_cbranch_execz .LBB850_501
; %bb.496:
	s_movk_i32 s7, 0x80
	v_cmp_ne_u16_sdwa s[12:13], v10, s7 src0_sel:BYTE_0 src1_sel:DWORD
	v_mov_b32_e32 v20, 0xffff8000
	s_and_saveexec_b64 s[10:11], s[12:13]
	s_cbranch_execz .LBB850_500
; %bb.497:
	s_movk_i32 s7, 0x7f
	v_and_b32_e32 v18, 0x7f, v10
	v_cmp_ne_u32_e32 vcc, s7, v18
	v_mov_b32_e32 v20, 0x7f80
	s_and_saveexec_b64 s[12:13], vcc
	s_cbranch_execz .LBB850_499
; %bb.498:
	v_and_b32_e32 v23, 7, v10
	v_ffbh_u32_e32 v20, v23
	v_min_u32_e32 v25, 32, v20
	v_subrev_u32_e32 v20, 28, v25
	v_lshlrev_b64 v[20:21], v20, v[10:11]
	v_lshrrev_b32_e32 v24, 3, v18
	v_sub_u32_e32 v21, 29, v25
	v_and_b32_e32 v20, 7, v20
	v_cmp_gt_u32_e32 vcc, 8, v18
	v_cndmask_b32_e32 v18, v24, v21, vcc
	v_cndmask_b32_e32 v20, v23, v20, vcc
	v_lshlrev_b32_e32 v21, 24, v10
	v_bfrev_b32_e32 v23, 60
	v_lshlrev_b32_e32 v20, 20, v20
	v_and_b32_e32 v21, 0x80000000, v21
	v_lshl_add_u32 v18, v18, 23, v23
	v_or3_b32 v18, v21, v18, v20
	v_lshrrev_b32_e32 v20, 16, v18
.LBB850_499:
	s_or_b64 exec, exec, s[12:13]
.LBB850_500:
	s_or_b64 exec, exec, s[10:11]
.LBB850_501:
	s_or_b64 exec, exec, s[8:9]
	v_lshrrev_b16_e32 v18, 8, v10
	v_cmp_ne_u16_e32 vcc, 0, v18
	s_and_saveexec_b64 s[8:9], vcc
	s_cbranch_execz .LBB850_507
; %bb.502:
	s_movk_i32 s7, 0x80
	v_cmp_ne_u16_e32 vcc, s7, v18
	v_mov_b32_e32 v19, 0xffff8000
	s_and_saveexec_b64 s[10:11], vcc
	s_cbranch_execz .LBB850_506
; %bb.503:
	s_movk_i32 s7, 0x7f
	v_and_b32_e32 v21, 0x7f, v18
	v_cmp_ne_u32_e32 vcc, s7, v21
	v_mov_b32_e32 v19, 0x7f80
	s_and_saveexec_b64 s[12:13], vcc
	s_cbranch_execz .LBB850_505
; %bb.504:
	v_and_b32_e32 v23, 7, v18
	v_ffbh_u32_e32 v19, v23
	v_min_u32_e32 v25, 32, v19
	v_subrev_u32_e32 v19, 28, v25
	v_lshlrev_b64 v[18:19], v19, v[18:19]
	v_lshrrev_b32_e32 v24, 3, v21
	v_sub_u32_e32 v19, 29, v25
	v_and_b32_e32 v18, 7, v18
	v_cmp_gt_u32_e32 vcc, 8, v21
	v_cndmask_b32_e32 v19, v24, v19, vcc
	v_cndmask_b32_e32 v18, v23, v18, vcc
	v_lshlrev_b32_e32 v21, 16, v10
	v_bfrev_b32_e32 v23, 60
	v_lshlrev_b32_e32 v18, 20, v18
	v_and_b32_e32 v21, 0x80000000, v21
	v_lshl_add_u32 v19, v19, 23, v23
	v_or3_b32 v18, v21, v19, v18
	v_lshrrev_b32_e32 v19, 16, v18
.LBB850_505:
	s_or_b64 exec, exec, s[12:13]
.LBB850_506:
	s_or_b64 exec, exec, s[10:11]
.LBB850_507:
	s_or_b64 exec, exec, s[8:9]
	s_movk_i32 s7, 0xff
	v_and_b32_sdwa v24, v10, s7 dst_sel:DWORD dst_unused:UNUSED_PAD src0_sel:WORD_1 src1_sel:DWORD
	v_lshrrev_b32_e32 v18, 16, v10
	v_cmp_ne_u16_e32 vcc, 0, v24
	v_mov_b32_e32 v21, 0
	v_mov_b32_e32 v23, 0
	s_and_saveexec_b64 s[8:9], vcc
	s_cbranch_execz .LBB850_513
; %bb.508:
	s_movk_i32 s7, 0x80
	v_cmp_ne_u16_e32 vcc, s7, v24
	v_mov_b32_e32 v23, 0xffff8000
	s_and_saveexec_b64 s[10:11], vcc
	s_cbranch_execz .LBB850_512
; %bb.509:
	v_bfe_u32 v24, v10, 16, 7
	s_movk_i32 s7, 0x7f
	v_cmp_ne_u32_e32 vcc, s7, v24
	v_mov_b32_e32 v23, 0x7f80
	s_and_saveexec_b64 s[12:13], vcc
	s_cbranch_execz .LBB850_511
; %bb.510:
	v_and_b32_e32 v23, 7, v18
	v_ffbh_u32_e32 v26, v23
	v_min_u32_e32 v29, 32, v26
	v_subrev_u32_e32 v26, 28, v29
	v_lshlrev_b64 v[26:27], v26, v[18:19]
	v_lshrrev_b32_e32 v25, 3, v24
	v_sub_u32_e32 v18, 29, v29
	v_and_b32_e32 v26, 7, v26
	v_cmp_gt_u32_e32 vcc, 8, v24
	v_mov_b32_e32 v24, 24
	v_cndmask_b32_e32 v18, v25, v18, vcc
	v_cndmask_b32_e32 v23, v23, v26, vcc
	v_lshlrev_b32_sdwa v24, v24, v10 dst_sel:DWORD dst_unused:UNUSED_PAD src0_sel:DWORD src1_sel:WORD_1
	v_bfrev_b32_e32 v25, 60
	v_lshlrev_b32_e32 v23, 20, v23
	v_and_b32_e32 v24, 0x80000000, v24
	v_lshl_add_u32 v18, v18, 23, v25
	v_or3_b32 v18, v24, v18, v23
	v_lshrrev_b32_e32 v23, 16, v18
.LBB850_511:
	s_or_b64 exec, exec, s[12:13]
.LBB850_512:
	s_or_b64 exec, exec, s[10:11]
.LBB850_513:
	s_or_b64 exec, exec, s[8:9]
	s_mov_b32 s7, 0xffffff
	v_cmp_lt_u32_e32 vcc, s7, v10
	s_and_saveexec_b64 s[8:9], vcc
	s_cbranch_execz .LBB850_519
; %bb.514:
	v_lshrrev_b32_e32 v18, 24, v10
	s_movk_i32 s7, 0x80
	v_cmp_ne_u32_e32 vcc, s7, v18
	v_mov_b32_e32 v21, 0xffff8000
	s_and_saveexec_b64 s[10:11], vcc
	s_cbranch_execz .LBB850_518
; %bb.515:
	v_bfe_u32 v10, v10, 24, 7
	s_movk_i32 s7, 0x7f
	v_cmp_ne_u32_e32 vcc, s7, v10
	v_mov_b32_e32 v21, 0x7f80
	s_and_saveexec_b64 s[12:13], vcc
	s_cbranch_execz .LBB850_517
; %bb.516:
	v_and_b32_e32 v21, 7, v18
	v_ffbh_u32_e32 v24, v21
	v_min_u32_e32 v27, 32, v24
	v_subrev_u32_e32 v24, 28, v27
	v_lshlrev_b64 v[24:25], v24, v[18:19]
	v_lshrrev_b32_e32 v26, 3, v10
	v_sub_u32_e32 v25, 29, v27
	v_and_b32_e32 v24, 7, v24
	v_cmp_gt_u32_e32 vcc, 8, v10
	v_cndmask_b32_e32 v10, v26, v25, vcc
	v_cndmask_b32_e32 v21, v21, v24, vcc
	v_lshlrev_b32_e32 v18, 24, v18
	v_bfrev_b32_e32 v24, 60
	v_lshlrev_b32_e32 v21, 20, v21
	v_and_b32_e32 v18, 0x80000000, v18
	v_lshl_add_u32 v10, v10, 23, v24
	v_or3_b32 v10, v18, v10, v21
	v_lshrrev_b32_e32 v21, 16, v10
.LBB850_517:
	s_or_b64 exec, exec, s[12:13]
.LBB850_518:
	s_or_b64 exec, exec, s[10:11]
.LBB850_519:
	s_or_b64 exec, exec, s[8:9]
	v_mov_b32_e32 v18, 0
	v_cmp_ne_u16_sdwa s[10:11], v11, v18 src0_sel:BYTE_0 src1_sel:DWORD
	v_mov_b32_e32 v24, 0
	s_and_saveexec_b64 s[8:9], s[10:11]
	s_cbranch_execz .LBB850_525
; %bb.520:
	s_movk_i32 s7, 0x80
	v_cmp_ne_u16_sdwa s[12:13], v11, s7 src0_sel:BYTE_0 src1_sel:DWORD
	v_mov_b32_e32 v24, 0xffff8000
	s_and_saveexec_b64 s[10:11], s[12:13]
	s_cbranch_execz .LBB850_524
; %bb.521:
	s_movk_i32 s7, 0x7f
	v_and_b32_e32 v10, 0x7f, v11
	v_cmp_ne_u32_e32 vcc, s7, v10
	v_mov_b32_e32 v24, 0x7f80
	s_and_saveexec_b64 s[12:13], vcc
	s_cbranch_execz .LBB850_523
; %bb.522:
	v_and_b32_e32 v26, 7, v11
	v_ffbh_u32_e32 v25, v26
	v_min_u32_e32 v29, 32, v25
	v_mov_b32_e32 v24, v11
	v_subrev_u32_e32 v25, 28, v29
	v_lshlrev_b64 v[24:25], v25, v[24:25]
	v_lshrrev_b32_e32 v27, 3, v10
	v_sub_u32_e32 v25, 29, v29
	v_and_b32_e32 v24, 7, v24
	v_cmp_gt_u32_e32 vcc, 8, v10
	v_cndmask_b32_e32 v10, v27, v25, vcc
	v_cndmask_b32_e32 v24, v26, v24, vcc
	v_lshlrev_b32_e32 v25, 24, v11
	v_bfrev_b32_e32 v26, 60
	v_lshlrev_b32_e32 v24, 20, v24
	v_and_b32_e32 v25, 0x80000000, v25
	v_lshl_add_u32 v10, v10, 23, v26
	v_or3_b32 v10, v25, v10, v24
	v_lshrrev_b32_e32 v24, 16, v10
.LBB850_523:
	s_or_b64 exec, exec, s[12:13]
.LBB850_524:
	s_or_b64 exec, exec, s[10:11]
.LBB850_525:
	s_or_b64 exec, exec, s[8:9]
	v_lshrrev_b16_e32 v10, 8, v11
	v_cmp_ne_u16_e32 vcc, 0, v10
	s_and_saveexec_b64 s[8:9], vcc
	s_cbranch_execz .LBB850_531
; %bb.526:
	s_movk_i32 s7, 0x80
	v_cmp_ne_u16_e32 vcc, s7, v10
	v_mov_b32_e32 v18, 0xffff8000
	s_and_saveexec_b64 s[10:11], vcc
	s_cbranch_execz .LBB850_530
; %bb.527:
	s_movk_i32 s7, 0x7f
	v_and_b32_e32 v25, 0x7f, v10
	v_cmp_ne_u32_e32 vcc, s7, v25
	v_mov_b32_e32 v18, 0x7f80
	s_and_saveexec_b64 s[12:13], vcc
	s_cbranch_execz .LBB850_529
; %bb.528:
	v_and_b32_e32 v18, 7, v10
	v_ffbh_u32_e32 v26, v18
	v_min_u32_e32 v30, 32, v26
	v_subrev_u32_e32 v26, 28, v30
	v_lshlrev_b64 v[26:27], v26, v[10:11]
	v_lshrrev_b32_e32 v29, 3, v25
	v_sub_u32_e32 v10, 29, v30
	v_and_b32_e32 v26, 7, v26
	v_cmp_gt_u32_e32 vcc, 8, v25
	v_cndmask_b32_e32 v10, v29, v10, vcc
	v_cndmask_b32_e32 v18, v18, v26, vcc
	v_lshlrev_b32_e32 v25, 16, v11
	v_bfrev_b32_e32 v26, 60
	v_lshlrev_b32_e32 v18, 20, v18
	v_and_b32_e32 v25, 0x80000000, v25
	v_lshl_add_u32 v10, v10, 23, v26
	v_or3_b32 v10, v25, v10, v18
	v_lshrrev_b32_e32 v18, 16, v10
.LBB850_529:
	s_or_b64 exec, exec, s[12:13]
.LBB850_530:
	s_or_b64 exec, exec, s[10:11]
.LBB850_531:
	s_or_b64 exec, exec, s[8:9]
	s_movk_i32 s7, 0xff
	v_and_b32_sdwa v27, v11, s7 dst_sel:DWORD dst_unused:UNUSED_PAD src0_sel:WORD_1 src1_sel:DWORD
	v_lshrrev_b32_e32 v10, 16, v11
	v_cmp_ne_u16_e32 vcc, 0, v27
	v_mov_b32_e32 v25, 0
	v_mov_b32_e32 v26, 0
	s_and_saveexec_b64 s[8:9], vcc
	s_cbranch_execz .LBB850_537
; %bb.532:
	s_movk_i32 s7, 0x80
	v_cmp_ne_u16_e32 vcc, s7, v27
	v_mov_b32_e32 v26, 0xffff8000
	s_and_saveexec_b64 s[10:11], vcc
	s_cbranch_execz .LBB850_536
; %bb.533:
	v_bfe_u32 v27, v11, 16, 7
	s_movk_i32 s7, 0x7f
	v_cmp_ne_u32_e32 vcc, s7, v27
	v_mov_b32_e32 v26, 0x7f80
	s_and_saveexec_b64 s[12:13], vcc
	s_cbranch_execz .LBB850_535
; %bb.534:
	v_and_b32_e32 v26, 7, v10
	v_ffbh_u32_e32 v30, v26
	v_min_u32_e32 v32, 32, v30
	v_subrev_u32_e32 v30, 28, v32
	v_lshlrev_b64 v[30:31], v30, v[10:11]
	v_lshrrev_b32_e32 v29, 3, v27
	v_sub_u32_e32 v10, 29, v32
	v_and_b32_e32 v30, 7, v30
	v_cmp_gt_u32_e32 vcc, 8, v27
	v_mov_b32_e32 v27, 24
	v_cndmask_b32_e32 v10, v29, v10, vcc
	v_cndmask_b32_e32 v26, v26, v30, vcc
	v_lshlrev_b32_sdwa v27, v27, v11 dst_sel:DWORD dst_unused:UNUSED_PAD src0_sel:DWORD src1_sel:WORD_1
	v_bfrev_b32_e32 v29, 60
	v_lshlrev_b32_e32 v26, 20, v26
	v_and_b32_e32 v27, 0x80000000, v27
	v_lshl_add_u32 v10, v10, 23, v29
	v_or3_b32 v10, v27, v10, v26
	v_lshrrev_b32_e32 v26, 16, v10
.LBB850_535:
	s_or_b64 exec, exec, s[12:13]
.LBB850_536:
	s_or_b64 exec, exec, s[10:11]
.LBB850_537:
	s_or_b64 exec, exec, s[8:9]
	s_mov_b32 s7, 0xffffff
	v_cmp_lt_u32_e32 vcc, s7, v11
	s_and_saveexec_b64 s[8:9], vcc
	s_cbranch_execz .LBB850_543
; %bb.538:
	v_lshrrev_b32_e32 v10, 24, v11
	s_movk_i32 s7, 0x80
	v_cmp_ne_u32_e32 vcc, s7, v10
	v_mov_b32_e32 v25, 0xffff8000
	s_and_saveexec_b64 s[10:11], vcc
	s_cbranch_execz .LBB850_542
; %bb.539:
	v_bfe_u32 v11, v11, 24, 7
	s_movk_i32 s7, 0x7f
	v_cmp_ne_u32_e32 vcc, s7, v11
	v_mov_b32_e32 v25, 0x7f80
	s_and_saveexec_b64 s[12:13], vcc
	s_cbranch_execz .LBB850_541
; %bb.540:
	v_and_b32_e32 v25, 7, v10
	v_ffbh_u32_e32 v29, v25
	v_min_u32_e32 v29, 32, v29
	v_subrev_u32_e32 v30, 28, v29
	v_lshlrev_b64 v[30:31], v30, v[10:11]
	v_lshrrev_b32_e32 v27, 3, v11
	v_sub_u32_e32 v29, 29, v29
	v_and_b32_e32 v30, 7, v30
	v_cmp_gt_u32_e32 vcc, 8, v11
	v_cndmask_b32_e32 v11, v27, v29, vcc
	v_cndmask_b32_e32 v25, v25, v30, vcc
	v_lshlrev_b32_e32 v10, 24, v10
	v_bfrev_b32_e32 v27, 60
	v_lshlrev_b32_e32 v25, 20, v25
	v_and_b32_e32 v10, 0x80000000, v10
	v_lshl_add_u32 v11, v11, 23, v27
	v_or3_b32 v10, v10, v11, v25
	v_lshrrev_b32_e32 v25, 16, v10
.LBB850_541:
	s_or_b64 exec, exec, s[12:13]
.LBB850_542:
	s_or_b64 exec, exec, s[10:11]
.LBB850_543:
	s_or_b64 exec, exec, s[8:9]
	s_mov_b32 s7, 0x5040100
	v_perm_b32 v11, v21, v23, s7
	v_perm_b32 v10, v19, v20, s7
	ds_read_b128 v[30:33], v22 offset:2048
	v_perm_b32 v21, v25, v26, s7
	v_perm_b32 v20, v18, v24, s7
	s_waitcnt lgkmcnt(0)
	v_mfma_f32_16x16x16bf16_1k v[14:17], v[10:11], v[30:31], v[14:17]
	v_mov_b32_e32 v11, 0
	v_cmp_ne_u16_sdwa s[10:11], v12, v11 src0_sel:BYTE_0 src1_sel:DWORD
	v_mov_b32_e32 v18, 0
	v_mfma_f32_16x16x16bf16_1k v[14:17], v[20:21], v[32:33], v[14:17]
	s_and_saveexec_b64 s[8:9], s[10:11]
	s_cbranch_execz .LBB850_549
; %bb.544:
	s_movk_i32 s7, 0x80
	v_cmp_ne_u16_sdwa s[12:13], v12, s7 src0_sel:BYTE_0 src1_sel:DWORD
	v_mov_b32_e32 v18, 0xffff8000
	s_and_saveexec_b64 s[10:11], s[12:13]
	s_cbranch_execz .LBB850_548
; %bb.545:
	s_movk_i32 s7, 0x7f
	v_and_b32_e32 v10, 0x7f, v12
	v_cmp_ne_u32_e32 vcc, s7, v10
	v_mov_b32_e32 v18, 0x7f80
	s_and_saveexec_b64 s[12:13], vcc
	s_cbranch_execz .LBB850_547
; %bb.546:
	v_and_b32_e32 v20, 7, v12
	v_ffbh_u32_e32 v18, v20
	v_min_u32_e32 v23, 32, v18
	v_subrev_u32_e32 v18, 28, v23
	v_lshlrev_b64 v[18:19], v18, v[12:13]
	v_lshrrev_b32_e32 v21, 3, v10
	v_sub_u32_e32 v19, 29, v23
	v_and_b32_e32 v18, 7, v18
	v_cmp_gt_u32_e32 vcc, 8, v10
	v_cndmask_b32_e32 v10, v21, v19, vcc
	v_cndmask_b32_e32 v18, v20, v18, vcc
	v_lshlrev_b32_e32 v19, 24, v12
	v_bfrev_b32_e32 v20, 60
	v_lshlrev_b32_e32 v18, 20, v18
	v_and_b32_e32 v19, 0x80000000, v19
	v_lshl_add_u32 v10, v10, 23, v20
	v_or3_b32 v10, v19, v10, v18
	v_lshrrev_b32_e32 v18, 16, v10
.LBB850_547:
	s_or_b64 exec, exec, s[12:13]
.LBB850_548:
	s_or_b64 exec, exec, s[10:11]
.LBB850_549:
	s_or_b64 exec, exec, s[8:9]
	v_lshrrev_b16_e32 v10, 8, v12
	v_cmp_ne_u16_e32 vcc, 0, v10
	s_and_saveexec_b64 s[8:9], vcc
	s_cbranch_execz .LBB850_555
; %bb.550:
	s_movk_i32 s7, 0x80
	v_cmp_ne_u16_e32 vcc, s7, v10
	v_mov_b32_e32 v11, 0xffff8000
	s_and_saveexec_b64 s[10:11], vcc
	s_cbranch_execz .LBB850_554
; %bb.551:
	s_movk_i32 s7, 0x7f
	v_and_b32_e32 v19, 0x7f, v10
	v_cmp_ne_u32_e32 vcc, s7, v19
	v_mov_b32_e32 v11, 0x7f80
	s_and_saveexec_b64 s[12:13], vcc
	s_cbranch_execz .LBB850_553
; %bb.552:
	v_and_b32_e32 v20, 7, v10
	v_ffbh_u32_e32 v11, v20
	v_min_u32_e32 v23, 32, v11
	v_subrev_u32_e32 v11, 28, v23
	v_lshlrev_b64 v[10:11], v11, v[10:11]
	v_lshrrev_b32_e32 v21, 3, v19
	v_sub_u32_e32 v11, 29, v23
	v_and_b32_e32 v10, 7, v10
	v_cmp_gt_u32_e32 vcc, 8, v19
	v_cndmask_b32_e32 v11, v21, v11, vcc
	v_cndmask_b32_e32 v10, v20, v10, vcc
	v_lshlrev_b32_e32 v19, 16, v12
	v_bfrev_b32_e32 v20, 60
	v_lshlrev_b32_e32 v10, 20, v10
	v_and_b32_e32 v19, 0x80000000, v19
	v_lshl_add_u32 v11, v11, 23, v20
	v_or3_b32 v10, v19, v11, v10
	v_lshrrev_b32_e32 v11, 16, v10
.LBB850_553:
	s_or_b64 exec, exec, s[12:13]
.LBB850_554:
	s_or_b64 exec, exec, s[10:11]
.LBB850_555:
	s_or_b64 exec, exec, s[8:9]
	s_movk_i32 s7, 0xff
	v_and_b32_sdwa v21, v12, s7 dst_sel:DWORD dst_unused:UNUSED_PAD src0_sel:WORD_1 src1_sel:DWORD
	v_lshrrev_b32_e32 v10, 16, v12
	v_cmp_ne_u16_e32 vcc, 0, v21
	v_mov_b32_e32 v19, 0
	v_mov_b32_e32 v20, 0
	s_and_saveexec_b64 s[8:9], vcc
	s_cbranch_execz .LBB850_561
; %bb.556:
	s_movk_i32 s7, 0x80
	v_cmp_ne_u16_e32 vcc, s7, v21
	v_mov_b32_e32 v20, 0xffff8000
	s_and_saveexec_b64 s[10:11], vcc
	s_cbranch_execz .LBB850_560
; %bb.557:
	v_bfe_u32 v21, v12, 16, 7
	s_movk_i32 s7, 0x7f
	v_cmp_ne_u32_e32 vcc, s7, v21
	v_mov_b32_e32 v20, 0x7f80
	s_and_saveexec_b64 s[12:13], vcc
	s_cbranch_execz .LBB850_559
; %bb.558:
	v_and_b32_e32 v20, 7, v10
	v_ffbh_u32_e32 v24, v20
	v_min_u32_e32 v26, 32, v24
	v_subrev_u32_e32 v24, 28, v26
	v_lshlrev_b64 v[24:25], v24, v[10:11]
	v_lshrrev_b32_e32 v23, 3, v21
	v_sub_u32_e32 v10, 29, v26
	v_and_b32_e32 v24, 7, v24
	v_cmp_gt_u32_e32 vcc, 8, v21
	v_mov_b32_e32 v21, 24
	v_cndmask_b32_e32 v10, v23, v10, vcc
	v_cndmask_b32_e32 v20, v20, v24, vcc
	v_lshlrev_b32_sdwa v21, v21, v12 dst_sel:DWORD dst_unused:UNUSED_PAD src0_sel:DWORD src1_sel:WORD_1
	v_bfrev_b32_e32 v23, 60
	v_lshlrev_b32_e32 v20, 20, v20
	v_and_b32_e32 v21, 0x80000000, v21
	v_lshl_add_u32 v10, v10, 23, v23
	v_or3_b32 v10, v21, v10, v20
	v_lshrrev_b32_e32 v20, 16, v10
.LBB850_559:
	s_or_b64 exec, exec, s[12:13]
.LBB850_560:
	s_or_b64 exec, exec, s[10:11]
.LBB850_561:
	s_or_b64 exec, exec, s[8:9]
	s_mov_b32 s7, 0xffffff
	v_cmp_lt_u32_e32 vcc, s7, v12
	s_and_saveexec_b64 s[8:9], vcc
	s_cbranch_execz .LBB850_567
; %bb.562:
	v_lshrrev_b32_e32 v10, 24, v12
	s_movk_i32 s7, 0x80
	v_cmp_ne_u32_e32 vcc, s7, v10
	v_mov_b32_e32 v19, 0xffff8000
	s_and_saveexec_b64 s[10:11], vcc
	s_cbranch_execz .LBB850_566
; %bb.563:
	v_bfe_u32 v12, v12, 24, 7
	s_movk_i32 s7, 0x7f
	v_cmp_ne_u32_e32 vcc, s7, v12
	v_mov_b32_e32 v19, 0x7f80
	s_and_saveexec_b64 s[12:13], vcc
	s_cbranch_execz .LBB850_565
; %bb.564:
	v_and_b32_e32 v19, 7, v10
	v_ffbh_u32_e32 v23, v19
	v_min_u32_e32 v23, 32, v23
	v_subrev_u32_e32 v24, 28, v23
	v_lshlrev_b64 v[24:25], v24, v[10:11]
	v_lshrrev_b32_e32 v21, 3, v12
	v_sub_u32_e32 v23, 29, v23
	v_and_b32_e32 v24, 7, v24
	v_cmp_gt_u32_e32 vcc, 8, v12
	v_cndmask_b32_e32 v12, v21, v23, vcc
	v_cndmask_b32_e32 v19, v19, v24, vcc
	v_lshlrev_b32_e32 v10, 24, v10
	v_bfrev_b32_e32 v21, 60
	v_lshlrev_b32_e32 v19, 20, v19
	v_and_b32_e32 v10, 0x80000000, v10
	v_lshl_add_u32 v12, v12, 23, v21
	v_or3_b32 v10, v10, v12, v19
	v_lshrrev_b32_e32 v19, 16, v10
.LBB850_565:
	s_or_b64 exec, exec, s[12:13]
.LBB850_566:
	s_or_b64 exec, exec, s[10:11]
.LBB850_567:
	s_or_b64 exec, exec, s[8:9]
	v_mov_b32_e32 v12, 0
	v_cmp_ne_u16_sdwa s[10:11], v13, v12 src0_sel:BYTE_0 src1_sel:DWORD
	v_mov_b32_e32 v21, 0
	s_and_saveexec_b64 s[8:9], s[10:11]
	s_cbranch_execz .LBB850_573
; %bb.568:
	s_movk_i32 s7, 0x80
	v_cmp_ne_u16_sdwa s[12:13], v13, s7 src0_sel:BYTE_0 src1_sel:DWORD
	v_mov_b32_e32 v21, 0xffff8000
	s_and_saveexec_b64 s[10:11], s[12:13]
	s_cbranch_execz .LBB850_572
; %bb.569:
	s_movk_i32 s7, 0x7f
	v_and_b32_e32 v10, 0x7f, v13
	v_cmp_ne_u32_e32 vcc, s7, v10
	v_mov_b32_e32 v21, 0x7f80
	s_and_saveexec_b64 s[12:13], vcc
	s_cbranch_execz .LBB850_571
; %bb.570:
	v_and_b32_e32 v21, 7, v13
	v_ffbh_u32_e32 v25, v21
	v_min_u32_e32 v26, 32, v25
	v_mov_b32_e32 v24, v13
	v_subrev_u32_e32 v25, 28, v26
	v_lshlrev_b64 v[24:25], v25, v[24:25]
	v_lshrrev_b32_e32 v23, 3, v10
	v_sub_u32_e32 v25, 29, v26
	v_and_b32_e32 v24, 7, v24
	v_cmp_gt_u32_e32 vcc, 8, v10
	v_cndmask_b32_e32 v10, v23, v25, vcc
	v_cndmask_b32_e32 v21, v21, v24, vcc
	v_lshlrev_b32_e32 v23, 24, v13
	v_bfrev_b32_e32 v24, 60
	v_lshlrev_b32_e32 v21, 20, v21
	v_and_b32_e32 v23, 0x80000000, v23
	v_lshl_add_u32 v10, v10, 23, v24
	v_or3_b32 v10, v23, v10, v21
	v_lshrrev_b32_e32 v21, 16, v10
.LBB850_571:
	s_or_b64 exec, exec, s[12:13]
.LBB850_572:
	s_or_b64 exec, exec, s[10:11]
.LBB850_573:
	s_or_b64 exec, exec, s[8:9]
	v_lshrrev_b16_e32 v10, 8, v13
	v_cmp_ne_u16_e32 vcc, 0, v10
	s_and_saveexec_b64 s[8:9], vcc
	s_cbranch_execz .LBB850_579
; %bb.574:
	s_movk_i32 s7, 0x80
	v_cmp_ne_u16_e32 vcc, s7, v10
	v_mov_b32_e32 v12, 0xffff8000
	s_and_saveexec_b64 s[10:11], vcc
	s_cbranch_execz .LBB850_578
; %bb.575:
	s_movk_i32 s7, 0x7f
	v_and_b32_e32 v23, 0x7f, v10
	v_cmp_ne_u32_e32 vcc, s7, v23
	v_mov_b32_e32 v12, 0x7f80
	s_and_saveexec_b64 s[12:13], vcc
	s_cbranch_execz .LBB850_577
; %bb.576:
	v_and_b32_e32 v12, 7, v10
	v_ffbh_u32_e32 v24, v12
	v_min_u32_e32 v27, 32, v24
	v_subrev_u32_e32 v24, 28, v27
	v_lshlrev_b64 v[24:25], v24, v[10:11]
	v_lshrrev_b32_e32 v26, 3, v23
	v_sub_u32_e32 v10, 29, v27
	v_and_b32_e32 v24, 7, v24
	v_cmp_gt_u32_e32 vcc, 8, v23
	v_cndmask_b32_e32 v10, v26, v10, vcc
	v_cndmask_b32_e32 v12, v12, v24, vcc
	v_lshlrev_b32_e32 v23, 16, v13
	v_bfrev_b32_e32 v24, 60
	v_lshlrev_b32_e32 v12, 20, v12
	v_and_b32_e32 v23, 0x80000000, v23
	v_lshl_add_u32 v10, v10, 23, v24
	v_or3_b32 v10, v23, v10, v12
	v_lshrrev_b32_e32 v12, 16, v10
.LBB850_577:
	s_or_b64 exec, exec, s[12:13]
.LBB850_578:
	s_or_b64 exec, exec, s[10:11]
.LBB850_579:
	s_or_b64 exec, exec, s[8:9]
	s_movk_i32 s7, 0xff
	v_and_b32_sdwa v25, v13, s7 dst_sel:DWORD dst_unused:UNUSED_PAD src0_sel:WORD_1 src1_sel:DWORD
	v_lshrrev_b32_e32 v10, 16, v13
	v_cmp_ne_u16_e32 vcc, 0, v25
	v_mov_b32_e32 v23, 0
	v_mov_b32_e32 v24, 0
	s_and_saveexec_b64 s[8:9], vcc
	s_cbranch_execz .LBB850_585
; %bb.580:
	s_movk_i32 s7, 0x80
	v_cmp_ne_u16_e32 vcc, s7, v25
	v_mov_b32_e32 v24, 0xffff8000
	s_and_saveexec_b64 s[10:11], vcc
	s_cbranch_execz .LBB850_584
; %bb.581:
	v_bfe_u32 v25, v13, 16, 7
	s_movk_i32 s7, 0x7f
	v_cmp_ne_u32_e32 vcc, s7, v25
	v_mov_b32_e32 v24, 0x7f80
	s_and_saveexec_b64 s[12:13], vcc
	s_cbranch_execz .LBB850_583
; %bb.582:
	v_and_b32_e32 v24, 7, v10
	v_ffbh_u32_e32 v26, v24
	v_min_u32_e32 v30, 32, v26
	v_subrev_u32_e32 v26, 28, v30
	v_lshlrev_b64 v[26:27], v26, v[10:11]
	v_lshrrev_b32_e32 v29, 3, v25
	v_sub_u32_e32 v10, 29, v30
	v_and_b32_e32 v26, 7, v26
	v_cmp_gt_u32_e32 vcc, 8, v25
	v_mov_b32_e32 v25, 24
	v_cndmask_b32_e32 v10, v29, v10, vcc
	v_cndmask_b32_e32 v24, v24, v26, vcc
	v_lshlrev_b32_sdwa v25, v25, v13 dst_sel:DWORD dst_unused:UNUSED_PAD src0_sel:DWORD src1_sel:WORD_1
	v_bfrev_b32_e32 v26, 60
	v_lshlrev_b32_e32 v24, 20, v24
	v_and_b32_e32 v25, 0x80000000, v25
	v_lshl_add_u32 v10, v10, 23, v26
	v_or3_b32 v10, v25, v10, v24
	v_lshrrev_b32_e32 v24, 16, v10
.LBB850_583:
	s_or_b64 exec, exec, s[12:13]
.LBB850_584:
	s_or_b64 exec, exec, s[10:11]
.LBB850_585:
	s_or_b64 exec, exec, s[8:9]
	s_mov_b32 s7, 0xffffff
	v_cmp_lt_u32_e32 vcc, s7, v13
	s_and_saveexec_b64 s[8:9], vcc
	s_cbranch_execz .LBB850_591
; %bb.586:
	v_lshrrev_b32_e32 v10, 24, v13
	s_movk_i32 s7, 0x80
	v_cmp_ne_u32_e32 vcc, s7, v10
	v_mov_b32_e32 v23, 0xffff8000
	s_and_saveexec_b64 s[10:11], vcc
	s_cbranch_execz .LBB850_590
; %bb.587:
	v_bfe_u32 v13, v13, 24, 7
	s_movk_i32 s7, 0x7f
	v_cmp_ne_u32_e32 vcc, s7, v13
	v_mov_b32_e32 v23, 0x7f80
	s_and_saveexec_b64 s[12:13], vcc
	s_cbranch_execz .LBB850_589
; %bb.588:
	v_and_b32_e32 v23, 7, v10
	v_ffbh_u32_e32 v26, v23
	v_min_u32_e32 v29, 32, v26
	v_subrev_u32_e32 v26, 28, v29
	v_lshlrev_b64 v[26:27], v26, v[10:11]
	v_lshrrev_b32_e32 v25, 3, v13
	v_sub_u32_e32 v27, 29, v29
	v_and_b32_e32 v26, 7, v26
	v_cmp_gt_u32_e32 vcc, 8, v13
	v_cndmask_b32_e32 v13, v25, v27, vcc
	v_cndmask_b32_e32 v23, v23, v26, vcc
	v_lshlrev_b32_e32 v10, 24, v10
	v_bfrev_b32_e32 v25, 60
	v_lshlrev_b32_e32 v23, 20, v23
	v_and_b32_e32 v10, 0x80000000, v10
	v_lshl_add_u32 v13, v13, 23, v25
	v_or3_b32 v10, v10, v13, v23
	v_lshrrev_b32_e32 v23, 16, v10
.LBB850_589:
	s_or_b64 exec, exec, s[12:13]
.LBB850_590:
	s_or_b64 exec, exec, s[10:11]
.LBB850_591:
	s_or_b64 exec, exec, s[8:9]
	s_mov_b32 s7, 0x5040100
	v_perm_b32 v19, v19, v20, s7
	v_perm_b32 v18, v11, v18, s7
	ds_read_b128 v[30:33], v22 offset:2064
	v_perm_b32 v11, v23, v24, s7
	v_perm_b32 v10, v12, v21, s7
	s_waitcnt lgkmcnt(0)
	v_mfma_f32_16x16x16bf16_1k v[34:37], v[18:19], v[30:31], v[14:17]
	s_nop 6
	v_mov_b32_e32 v15, 0
	s_waitcnt vmcnt(1)
	v_cmp_ne_u16_sdwa s[10:11], v6, v15 src0_sel:BYTE_0 src1_sel:DWORD
	v_mfma_f32_16x16x16bf16_1k v[10:13], v[10:11], v[32:33], v[34:37]
	v_mov_b32_e32 v16, 0
	s_and_saveexec_b64 s[8:9], s[10:11]
	s_cbranch_execz .LBB850_597
; %bb.592:
	s_movk_i32 s7, 0x80
	v_cmp_ne_u16_sdwa s[12:13], v6, s7 src0_sel:BYTE_0 src1_sel:DWORD
	v_mov_b32_e32 v16, 0xffff8000
	s_and_saveexec_b64 s[10:11], s[12:13]
	s_cbranch_execz .LBB850_596
; %bb.593:
	s_movk_i32 s7, 0x7f
	v_and_b32_e32 v14, 0x7f, v6
	v_cmp_ne_u32_e32 vcc, s7, v14
	v_mov_b32_e32 v16, 0x7f80
	s_and_saveexec_b64 s[12:13], vcc
	s_cbranch_execz .LBB850_595
; %bb.594:
	v_and_b32_e32 v18, 7, v6
	v_ffbh_u32_e32 v16, v18
	v_min_u32_e32 v20, 32, v16
	v_subrev_u32_e32 v16, 28, v20
	v_lshlrev_b64 v[16:17], v16, v[6:7]
	v_lshrrev_b32_e32 v19, 3, v14
	v_sub_u32_e32 v17, 29, v20
	v_and_b32_e32 v16, 7, v16
	v_cmp_gt_u32_e32 vcc, 8, v14
	v_cndmask_b32_e32 v14, v19, v17, vcc
	v_cndmask_b32_e32 v16, v18, v16, vcc
	v_lshlrev_b32_e32 v17, 24, v6
	v_bfrev_b32_e32 v18, 60
	v_lshlrev_b32_e32 v16, 20, v16
	v_and_b32_e32 v17, 0x80000000, v17
	v_lshl_add_u32 v14, v14, 23, v18
	v_or3_b32 v14, v17, v14, v16
	v_lshrrev_b32_e32 v16, 16, v14
.LBB850_595:
	s_or_b64 exec, exec, s[12:13]
.LBB850_596:
	s_or_b64 exec, exec, s[10:11]
.LBB850_597:
	s_or_b64 exec, exec, s[8:9]
	v_lshrrev_b16_e32 v14, 8, v6
	v_cmp_ne_u16_e32 vcc, 0, v14
	s_and_saveexec_b64 s[8:9], vcc
	s_cbranch_execz .LBB850_603
; %bb.598:
	s_movk_i32 s7, 0x80
	v_cmp_ne_u16_e32 vcc, s7, v14
	v_mov_b32_e32 v15, 0xffff8000
	s_and_saveexec_b64 s[10:11], vcc
	s_cbranch_execz .LBB850_602
; %bb.599:
	s_movk_i32 s7, 0x7f
	v_and_b32_e32 v17, 0x7f, v14
	v_cmp_ne_u32_e32 vcc, s7, v17
	v_mov_b32_e32 v15, 0x7f80
	s_and_saveexec_b64 s[12:13], vcc
	s_cbranch_execz .LBB850_601
; %bb.600:
	v_and_b32_e32 v18, 7, v14
	v_ffbh_u32_e32 v15, v18
	v_min_u32_e32 v20, 32, v15
	v_subrev_u32_e32 v15, 28, v20
	v_lshlrev_b64 v[14:15], v15, v[14:15]
	v_lshrrev_b32_e32 v19, 3, v17
	v_sub_u32_e32 v15, 29, v20
	v_and_b32_e32 v14, 7, v14
	v_cmp_gt_u32_e32 vcc, 8, v17
	v_cndmask_b32_e32 v15, v19, v15, vcc
	v_cndmask_b32_e32 v14, v18, v14, vcc
	v_lshlrev_b32_e32 v17, 16, v6
	v_bfrev_b32_e32 v18, 60
	v_lshlrev_b32_e32 v14, 20, v14
	v_and_b32_e32 v17, 0x80000000, v17
	v_lshl_add_u32 v15, v15, 23, v18
	v_or3_b32 v14, v17, v15, v14
	v_lshrrev_b32_e32 v15, 16, v14
.LBB850_601:
	s_or_b64 exec, exec, s[12:13]
.LBB850_602:
	s_or_b64 exec, exec, s[10:11]
.LBB850_603:
	s_or_b64 exec, exec, s[8:9]
	s_movk_i32 s7, 0xff
	v_and_b32_sdwa v19, v6, s7 dst_sel:DWORD dst_unused:UNUSED_PAD src0_sel:WORD_1 src1_sel:DWORD
	v_lshrrev_b32_e32 v14, 16, v6
	v_cmp_ne_u16_e32 vcc, 0, v19
	v_mov_b32_e32 v17, 0
	v_mov_b32_e32 v18, 0
	s_and_saveexec_b64 s[8:9], vcc
	s_cbranch_execz .LBB850_609
; %bb.604:
	s_movk_i32 s7, 0x80
	v_cmp_ne_u16_e32 vcc, s7, v19
	v_mov_b32_e32 v18, 0xffff8000
	s_and_saveexec_b64 s[10:11], vcc
	s_cbranch_execz .LBB850_608
; %bb.605:
	v_bfe_u32 v19, v6, 16, 7
	s_movk_i32 s7, 0x7f
	v_cmp_ne_u32_e32 vcc, s7, v19
	v_mov_b32_e32 v18, 0x7f80
	s_and_saveexec_b64 s[12:13], vcc
	s_cbranch_execz .LBB850_607
; %bb.606:
	v_and_b32_e32 v18, 7, v14
	v_ffbh_u32_e32 v20, v18
	v_min_u32_e32 v24, 32, v20
	v_subrev_u32_e32 v20, 28, v24
	v_lshlrev_b64 v[20:21], v20, v[14:15]
	v_lshrrev_b32_e32 v23, 3, v19
	v_sub_u32_e32 v14, 29, v24
	v_and_b32_e32 v20, 7, v20
	v_cmp_gt_u32_e32 vcc, 8, v19
	v_mov_b32_e32 v19, 24
	v_cndmask_b32_e32 v14, v23, v14, vcc
	v_cndmask_b32_e32 v18, v18, v20, vcc
	v_lshlrev_b32_sdwa v19, v19, v6 dst_sel:DWORD dst_unused:UNUSED_PAD src0_sel:DWORD src1_sel:WORD_1
	v_bfrev_b32_e32 v20, 60
	v_lshlrev_b32_e32 v18, 20, v18
	v_and_b32_e32 v19, 0x80000000, v19
	v_lshl_add_u32 v14, v14, 23, v20
	v_or3_b32 v14, v19, v14, v18
	v_lshrrev_b32_e32 v18, 16, v14
.LBB850_607:
	s_or_b64 exec, exec, s[12:13]
.LBB850_608:
	s_or_b64 exec, exec, s[10:11]
.LBB850_609:
	s_or_b64 exec, exec, s[8:9]
	s_mov_b32 s7, 0xffffff
	v_cmp_lt_u32_e32 vcc, s7, v6
	s_and_saveexec_b64 s[8:9], vcc
	s_cbranch_execz .LBB850_615
; %bb.610:
	v_lshrrev_b32_e32 v14, 24, v6
	s_movk_i32 s7, 0x80
	v_cmp_ne_u32_e32 vcc, s7, v14
	v_mov_b32_e32 v17, 0xffff8000
	s_and_saveexec_b64 s[10:11], vcc
	s_cbranch_execz .LBB850_614
; %bb.611:
	v_bfe_u32 v6, v6, 24, 7
	s_movk_i32 s7, 0x7f
	v_cmp_ne_u32_e32 vcc, s7, v6
	v_mov_b32_e32 v17, 0x7f80
	s_and_saveexec_b64 s[12:13], vcc
	s_cbranch_execz .LBB850_613
; %bb.612:
	v_and_b32_e32 v17, 7, v14
	v_ffbh_u32_e32 v20, v17
	v_min_u32_e32 v23, 32, v20
	v_subrev_u32_e32 v20, 28, v23
	v_lshlrev_b64 v[20:21], v20, v[14:15]
	v_lshrrev_b32_e32 v19, 3, v6
	v_sub_u32_e32 v21, 29, v23
	v_and_b32_e32 v20, 7, v20
	v_cmp_gt_u32_e32 vcc, 8, v6
	v_cndmask_b32_e32 v6, v19, v21, vcc
	v_cndmask_b32_e32 v17, v17, v20, vcc
	v_lshlrev_b32_e32 v14, 24, v14
	v_bfrev_b32_e32 v19, 60
	v_lshlrev_b32_e32 v17, 20, v17
	v_and_b32_e32 v14, 0x80000000, v14
	v_lshl_add_u32 v6, v6, 23, v19
	v_or3_b32 v6, v14, v6, v17
	v_lshrrev_b32_e32 v17, 16, v6
.LBB850_613:
	s_or_b64 exec, exec, s[12:13]
.LBB850_614:
	s_or_b64 exec, exec, s[10:11]
.LBB850_615:
	s_or_b64 exec, exec, s[8:9]
	v_mov_b32_e32 v14, 0
	v_cmp_ne_u16_sdwa s[10:11], v7, v14 src0_sel:BYTE_0 src1_sel:DWORD
	v_mov_b32_e32 v19, 0
	s_and_saveexec_b64 s[8:9], s[10:11]
	s_cbranch_execz .LBB850_621
; %bb.616:
	s_movk_i32 s7, 0x80
	v_cmp_ne_u16_sdwa s[12:13], v7, s7 src0_sel:BYTE_0 src1_sel:DWORD
	v_mov_b32_e32 v19, 0xffff8000
	s_and_saveexec_b64 s[10:11], s[12:13]
	s_cbranch_execz .LBB850_620
; %bb.617:
	s_movk_i32 s7, 0x7f
	v_and_b32_e32 v6, 0x7f, v7
	v_cmp_ne_u32_e32 vcc, s7, v6
	v_mov_b32_e32 v19, 0x7f80
	s_and_saveexec_b64 s[12:13], vcc
	s_cbranch_execz .LBB850_619
; %bb.618:
	v_and_b32_e32 v19, 7, v7
	v_ffbh_u32_e32 v21, v19
	v_min_u32_e32 v24, 32, v21
	v_mov_b32_e32 v20, v7
	v_subrev_u32_e32 v21, 28, v24
	v_lshlrev_b64 v[20:21], v21, v[20:21]
	v_lshrrev_b32_e32 v23, 3, v6
	v_sub_u32_e32 v21, 29, v24
	v_and_b32_e32 v20, 7, v20
	v_cmp_gt_u32_e32 vcc, 8, v6
	v_cndmask_b32_e32 v6, v23, v21, vcc
	v_cndmask_b32_e32 v19, v19, v20, vcc
	v_lshlrev_b32_e32 v20, 24, v7
	v_bfrev_b32_e32 v21, 60
	v_lshlrev_b32_e32 v19, 20, v19
	v_and_b32_e32 v20, 0x80000000, v20
	v_lshl_add_u32 v6, v6, 23, v21
	v_or3_b32 v6, v20, v6, v19
	v_lshrrev_b32_e32 v19, 16, v6
.LBB850_619:
	s_or_b64 exec, exec, s[12:13]
.LBB850_620:
	s_or_b64 exec, exec, s[10:11]
.LBB850_621:
	s_or_b64 exec, exec, s[8:9]
	v_lshrrev_b16_e32 v6, 8, v7
	v_cmp_ne_u16_e32 vcc, 0, v6
	s_and_saveexec_b64 s[8:9], vcc
	s_cbranch_execz .LBB850_627
; %bb.622:
	s_movk_i32 s7, 0x80
	v_cmp_ne_u16_e32 vcc, s7, v6
	v_mov_b32_e32 v14, 0xffff8000
	s_and_saveexec_b64 s[10:11], vcc
	s_cbranch_execz .LBB850_626
; %bb.623:
	s_movk_i32 s7, 0x7f
	v_and_b32_e32 v20, 0x7f, v6
	v_cmp_ne_u32_e32 vcc, s7, v20
	v_mov_b32_e32 v14, 0x7f80
	s_and_saveexec_b64 s[12:13], vcc
	s_cbranch_execz .LBB850_625
; %bb.624:
	v_and_b32_e32 v14, 7, v6
	v_ffbh_u32_e32 v23, v14
	v_min_u32_e32 v23, 32, v23
	v_subrev_u32_e32 v24, 28, v23
	v_lshlrev_b64 v[24:25], v24, v[6:7]
	v_lshrrev_b32_e32 v21, 3, v20
	v_sub_u32_e32 v6, 29, v23
	v_and_b32_e32 v23, 7, v24
	v_cmp_gt_u32_e32 vcc, 8, v20
	v_cndmask_b32_e32 v6, v21, v6, vcc
	v_cndmask_b32_e32 v14, v14, v23, vcc
	v_lshlrev_b32_e32 v20, 16, v7
	v_bfrev_b32_e32 v21, 60
	v_lshlrev_b32_e32 v14, 20, v14
	v_and_b32_e32 v20, 0x80000000, v20
	v_lshl_add_u32 v6, v6, 23, v21
	v_or3_b32 v6, v20, v6, v14
	v_lshrrev_b32_e32 v14, 16, v6
.LBB850_625:
	s_or_b64 exec, exec, s[12:13]
.LBB850_626:
	s_or_b64 exec, exec, s[10:11]
.LBB850_627:
	s_or_b64 exec, exec, s[8:9]
	s_movk_i32 s7, 0xff
	v_and_b32_sdwa v23, v7, s7 dst_sel:DWORD dst_unused:UNUSED_PAD src0_sel:WORD_1 src1_sel:DWORD
	v_lshrrev_b32_e32 v6, 16, v7
	v_cmp_ne_u16_e32 vcc, 0, v23
	v_mov_b32_e32 v20, 0
	v_mov_b32_e32 v21, 0
	s_and_saveexec_b64 s[8:9], vcc
	s_cbranch_execz .LBB850_633
; %bb.628:
	s_movk_i32 s7, 0x80
	v_cmp_ne_u16_e32 vcc, s7, v23
	v_mov_b32_e32 v21, 0xffff8000
	s_and_saveexec_b64 s[10:11], vcc
	s_cbranch_execz .LBB850_632
; %bb.629:
	v_bfe_u32 v23, v7, 16, 7
	s_movk_i32 s7, 0x7f
	v_cmp_ne_u32_e32 vcc, s7, v23
	v_mov_b32_e32 v21, 0x7f80
	s_and_saveexec_b64 s[12:13], vcc
	s_cbranch_execz .LBB850_631
; %bb.630:
	v_and_b32_e32 v21, 7, v6
	v_ffbh_u32_e32 v24, v21
	v_min_u32_e32 v27, 32, v24
	v_subrev_u32_e32 v24, 28, v27
	v_lshlrev_b64 v[24:25], v24, v[6:7]
	v_lshrrev_b32_e32 v26, 3, v23
	v_sub_u32_e32 v6, 29, v27
	v_and_b32_e32 v24, 7, v24
	v_cmp_gt_u32_e32 vcc, 8, v23
	v_mov_b32_e32 v23, 24
	v_cndmask_b32_e32 v6, v26, v6, vcc
	v_cndmask_b32_e32 v21, v21, v24, vcc
	v_lshlrev_b32_sdwa v23, v23, v7 dst_sel:DWORD dst_unused:UNUSED_PAD src0_sel:DWORD src1_sel:WORD_1
	v_bfrev_b32_e32 v24, 60
	v_lshlrev_b32_e32 v21, 20, v21
	v_and_b32_e32 v23, 0x80000000, v23
	v_lshl_add_u32 v6, v6, 23, v24
	v_or3_b32 v6, v23, v6, v21
	v_lshrrev_b32_e32 v21, 16, v6
.LBB850_631:
	s_or_b64 exec, exec, s[12:13]
.LBB850_632:
	s_or_b64 exec, exec, s[10:11]
.LBB850_633:
	s_or_b64 exec, exec, s[8:9]
	s_mov_b32 s7, 0xffffff
	v_cmp_lt_u32_e32 vcc, s7, v7
	s_and_saveexec_b64 s[8:9], vcc
	s_cbranch_execz .LBB850_639
; %bb.634:
	v_lshrrev_b32_e32 v6, 24, v7
	s_movk_i32 s7, 0x80
	v_cmp_ne_u32_e32 vcc, s7, v6
	v_mov_b32_e32 v20, 0xffff8000
	s_and_saveexec_b64 s[10:11], vcc
	s_cbranch_execz .LBB850_638
; %bb.635:
	v_bfe_u32 v7, v7, 24, 7
	s_movk_i32 s7, 0x7f
	v_cmp_ne_u32_e32 vcc, s7, v7
	v_mov_b32_e32 v20, 0x7f80
	s_and_saveexec_b64 s[12:13], vcc
	s_cbranch_execz .LBB850_637
; %bb.636:
	v_and_b32_e32 v20, 7, v6
	v_ffbh_u32_e32 v24, v20
	v_min_u32_e32 v26, 32, v24
	v_subrev_u32_e32 v24, 28, v26
	v_lshlrev_b64 v[24:25], v24, v[6:7]
	v_lshrrev_b32_e32 v23, 3, v7
	v_sub_u32_e32 v25, 29, v26
	v_and_b32_e32 v24, 7, v24
	v_cmp_gt_u32_e32 vcc, 8, v7
	v_cndmask_b32_e32 v7, v23, v25, vcc
	v_cndmask_b32_e32 v20, v20, v24, vcc
	v_lshlrev_b32_e32 v6, 24, v6
	v_bfrev_b32_e32 v23, 60
	v_lshlrev_b32_e32 v20, 20, v20
	v_and_b32_e32 v6, 0x80000000, v6
	v_lshl_add_u32 v7, v7, 23, v23
	v_or3_b32 v6, v6, v7, v20
	v_lshrrev_b32_e32 v20, 16, v6
.LBB850_637:
	s_or_b64 exec, exec, s[12:13]
.LBB850_638:
	s_or_b64 exec, exec, s[10:11]
.LBB850_639:
	s_or_b64 exec, exec, s[8:9]
	s_mov_b32 s7, 0x5040100
	v_perm_b32 v7, v17, v18, s7
	v_perm_b32 v6, v15, v16, s7
	ds_read_b128 v[24:27], v22 offset:4096
	v_perm_b32 v17, v20, v21, s7
	v_perm_b32 v16, v14, v19, s7
	s_waitcnt lgkmcnt(0)
	v_mfma_f32_16x16x16bf16_1k v[10:13], v[6:7], v[24:25], v[10:13]
	v_mov_b32_e32 v7, 0
	v_cmp_ne_u16_sdwa s[10:11], v8, v7 src0_sel:BYTE_0 src1_sel:DWORD
	v_mov_b32_e32 v14, 0
	v_mfma_f32_16x16x16bf16_1k v[10:13], v[16:17], v[26:27], v[10:13]
	s_and_saveexec_b64 s[8:9], s[10:11]
	s_cbranch_execz .LBB850_645
; %bb.640:
	s_movk_i32 s7, 0x80
	v_cmp_ne_u16_sdwa s[12:13], v8, s7 src0_sel:BYTE_0 src1_sel:DWORD
	v_mov_b32_e32 v14, 0xffff8000
	s_and_saveexec_b64 s[10:11], s[12:13]
	s_cbranch_execz .LBB850_644
; %bb.641:
	s_movk_i32 s7, 0x7f
	v_and_b32_e32 v6, 0x7f, v8
	v_cmp_ne_u32_e32 vcc, s7, v6
	v_mov_b32_e32 v14, 0x7f80
	s_and_saveexec_b64 s[12:13], vcc
	s_cbranch_execz .LBB850_643
; %bb.642:
	v_and_b32_e32 v16, 7, v8
	v_ffbh_u32_e32 v14, v16
	v_min_u32_e32 v18, 32, v14
	v_subrev_u32_e32 v14, 28, v18
	v_lshlrev_b64 v[14:15], v14, v[8:9]
	v_lshrrev_b32_e32 v17, 3, v6
	v_sub_u32_e32 v15, 29, v18
	v_and_b32_e32 v14, 7, v14
	v_cmp_gt_u32_e32 vcc, 8, v6
	v_cndmask_b32_e32 v6, v17, v15, vcc
	v_cndmask_b32_e32 v14, v16, v14, vcc
	v_lshlrev_b32_e32 v15, 24, v8
	v_bfrev_b32_e32 v16, 60
	v_lshlrev_b32_e32 v14, 20, v14
	v_and_b32_e32 v15, 0x80000000, v15
	v_lshl_add_u32 v6, v6, 23, v16
	v_or3_b32 v6, v15, v6, v14
	v_lshrrev_b32_e32 v14, 16, v6
.LBB850_643:
	s_or_b64 exec, exec, s[12:13]
.LBB850_644:
	s_or_b64 exec, exec, s[10:11]
.LBB850_645:
	s_or_b64 exec, exec, s[8:9]
	v_lshrrev_b16_e32 v6, 8, v8
	v_cmp_ne_u16_e32 vcc, 0, v6
	s_and_saveexec_b64 s[8:9], vcc
	s_cbranch_execz .LBB850_651
; %bb.646:
	s_movk_i32 s7, 0x80
	v_cmp_ne_u16_e32 vcc, s7, v6
	v_mov_b32_e32 v7, 0xffff8000
	s_and_saveexec_b64 s[10:11], vcc
	s_cbranch_execz .LBB850_650
; %bb.647:
	s_movk_i32 s7, 0x7f
	v_and_b32_e32 v15, 0x7f, v6
	v_cmp_ne_u32_e32 vcc, s7, v15
	v_mov_b32_e32 v7, 0x7f80
	s_and_saveexec_b64 s[12:13], vcc
	s_cbranch_execz .LBB850_649
; %bb.648:
	v_and_b32_e32 v16, 7, v6
	v_ffbh_u32_e32 v7, v16
	v_min_u32_e32 v18, 32, v7
	v_subrev_u32_e32 v7, 28, v18
	v_lshlrev_b64 v[6:7], v7, v[6:7]
	v_lshrrev_b32_e32 v17, 3, v15
	v_sub_u32_e32 v7, 29, v18
	v_and_b32_e32 v6, 7, v6
	v_cmp_gt_u32_e32 vcc, 8, v15
	v_cndmask_b32_e32 v7, v17, v7, vcc
	v_cndmask_b32_e32 v6, v16, v6, vcc
	v_lshlrev_b32_e32 v15, 16, v8
	v_bfrev_b32_e32 v16, 60
	v_lshlrev_b32_e32 v6, 20, v6
	v_and_b32_e32 v15, 0x80000000, v15
	v_lshl_add_u32 v7, v7, 23, v16
	v_or3_b32 v6, v15, v7, v6
	v_lshrrev_b32_e32 v7, 16, v6
.LBB850_649:
	s_or_b64 exec, exec, s[12:13]
.LBB850_650:
	s_or_b64 exec, exec, s[10:11]
.LBB850_651:
	s_or_b64 exec, exec, s[8:9]
	s_movk_i32 s7, 0xff
	v_and_b32_sdwa v17, v8, s7 dst_sel:DWORD dst_unused:UNUSED_PAD src0_sel:WORD_1 src1_sel:DWORD
	v_lshrrev_b32_e32 v6, 16, v8
	v_cmp_ne_u16_e32 vcc, 0, v17
	v_mov_b32_e32 v15, 0
	v_mov_b32_e32 v16, 0
	s_and_saveexec_b64 s[8:9], vcc
	s_cbranch_execz .LBB850_657
; %bb.652:
	s_movk_i32 s7, 0x80
	v_cmp_ne_u16_e32 vcc, s7, v17
	v_mov_b32_e32 v16, 0xffff8000
	s_and_saveexec_b64 s[10:11], vcc
	s_cbranch_execz .LBB850_656
; %bb.653:
	v_bfe_u32 v17, v8, 16, 7
	s_movk_i32 s7, 0x7f
	v_cmp_ne_u32_e32 vcc, s7, v17
	v_mov_b32_e32 v16, 0x7f80
	s_and_saveexec_b64 s[12:13], vcc
	s_cbranch_execz .LBB850_655
; %bb.654:
	v_and_b32_e32 v16, 7, v6
	v_ffbh_u32_e32 v18, v16
	v_min_u32_e32 v21, 32, v18
	v_subrev_u32_e32 v18, 28, v21
	v_lshlrev_b64 v[18:19], v18, v[6:7]
	v_lshrrev_b32_e32 v20, 3, v17
	v_sub_u32_e32 v6, 29, v21
	v_and_b32_e32 v18, 7, v18
	v_cmp_gt_u32_e32 vcc, 8, v17
	v_mov_b32_e32 v17, 24
	v_cndmask_b32_e32 v6, v20, v6, vcc
	v_cndmask_b32_e32 v16, v16, v18, vcc
	v_lshlrev_b32_sdwa v17, v17, v8 dst_sel:DWORD dst_unused:UNUSED_PAD src0_sel:DWORD src1_sel:WORD_1
	v_bfrev_b32_e32 v18, 60
	v_lshlrev_b32_e32 v16, 20, v16
	v_and_b32_e32 v17, 0x80000000, v17
	v_lshl_add_u32 v6, v6, 23, v18
	v_or3_b32 v6, v17, v6, v16
	v_lshrrev_b32_e32 v16, 16, v6
.LBB850_655:
	s_or_b64 exec, exec, s[12:13]
.LBB850_656:
	s_or_b64 exec, exec, s[10:11]
.LBB850_657:
	s_or_b64 exec, exec, s[8:9]
	s_mov_b32 s7, 0xffffff
	v_cmp_lt_u32_e32 vcc, s7, v8
	s_and_saveexec_b64 s[8:9], vcc
	s_cbranch_execz .LBB850_663
; %bb.658:
	v_lshrrev_b32_e32 v6, 24, v8
	s_movk_i32 s7, 0x80
	v_cmp_ne_u32_e32 vcc, s7, v6
	v_mov_b32_e32 v15, 0xffff8000
	s_and_saveexec_b64 s[10:11], vcc
	s_cbranch_execz .LBB850_662
; %bb.659:
	v_bfe_u32 v8, v8, 24, 7
	s_movk_i32 s7, 0x7f
	v_cmp_ne_u32_e32 vcc, s7, v8
	v_mov_b32_e32 v15, 0x7f80
	s_and_saveexec_b64 s[12:13], vcc
	s_cbranch_execz .LBB850_661
; %bb.660:
	v_and_b32_e32 v15, 7, v6
	v_ffbh_u32_e32 v18, v15
	v_min_u32_e32 v20, 32, v18
	v_subrev_u32_e32 v18, 28, v20
	v_lshlrev_b64 v[18:19], v18, v[6:7]
	v_lshrrev_b32_e32 v17, 3, v8
	v_sub_u32_e32 v19, 29, v20
	v_and_b32_e32 v18, 7, v18
	v_cmp_gt_u32_e32 vcc, 8, v8
	v_cndmask_b32_e32 v8, v17, v19, vcc
	v_cndmask_b32_e32 v15, v15, v18, vcc
	v_lshlrev_b32_e32 v6, 24, v6
	v_bfrev_b32_e32 v17, 60
	v_lshlrev_b32_e32 v15, 20, v15
	v_and_b32_e32 v6, 0x80000000, v6
	v_lshl_add_u32 v8, v8, 23, v17
	v_or3_b32 v6, v6, v8, v15
	v_lshrrev_b32_e32 v15, 16, v6
.LBB850_661:
	s_or_b64 exec, exec, s[12:13]
.LBB850_662:
	s_or_b64 exec, exec, s[10:11]
.LBB850_663:
	s_or_b64 exec, exec, s[8:9]
	v_mov_b32_e32 v8, 0
	v_cmp_ne_u16_sdwa s[10:11], v9, v8 src0_sel:BYTE_0 src1_sel:DWORD
	v_mov_b32_e32 v17, 0
	s_and_saveexec_b64 s[8:9], s[10:11]
	s_cbranch_execz .LBB850_669
; %bb.664:
	s_movk_i32 s7, 0x80
	v_cmp_ne_u16_sdwa s[12:13], v9, s7 src0_sel:BYTE_0 src1_sel:DWORD
	v_mov_b32_e32 v17, 0xffff8000
	s_and_saveexec_b64 s[10:11], s[12:13]
	s_cbranch_execz .LBB850_668
; %bb.665:
	s_movk_i32 s7, 0x7f
	v_and_b32_e32 v6, 0x7f, v9
	v_cmp_ne_u32_e32 vcc, s7, v6
	v_mov_b32_e32 v17, 0x7f80
	s_and_saveexec_b64 s[12:13], vcc
	s_cbranch_execz .LBB850_667
; %bb.666:
	v_and_b32_e32 v17, 7, v9
	v_ffbh_u32_e32 v19, v17
	v_min_u32_e32 v21, 32, v19
	v_mov_b32_e32 v18, v9
	v_subrev_u32_e32 v19, 28, v21
	v_lshlrev_b64 v[18:19], v19, v[18:19]
	v_lshrrev_b32_e32 v20, 3, v6
	v_sub_u32_e32 v19, 29, v21
	v_and_b32_e32 v18, 7, v18
	v_cmp_gt_u32_e32 vcc, 8, v6
	v_cndmask_b32_e32 v6, v20, v19, vcc
	v_cndmask_b32_e32 v17, v17, v18, vcc
	v_lshlrev_b32_e32 v18, 24, v9
	v_bfrev_b32_e32 v19, 60
	v_lshlrev_b32_e32 v17, 20, v17
	v_and_b32_e32 v18, 0x80000000, v18
	v_lshl_add_u32 v6, v6, 23, v19
	v_or3_b32 v6, v18, v6, v17
	v_lshrrev_b32_e32 v17, 16, v6
.LBB850_667:
	s_or_b64 exec, exec, s[12:13]
.LBB850_668:
	s_or_b64 exec, exec, s[10:11]
.LBB850_669:
	s_or_b64 exec, exec, s[8:9]
	v_lshrrev_b16_e32 v6, 8, v9
	v_cmp_ne_u16_e32 vcc, 0, v6
	s_and_saveexec_b64 s[8:9], vcc
	s_cbranch_execz .LBB850_675
; %bb.670:
	s_movk_i32 s7, 0x80
	v_cmp_ne_u16_e32 vcc, s7, v6
	v_mov_b32_e32 v8, 0xffff8000
	s_and_saveexec_b64 s[10:11], vcc
	s_cbranch_execz .LBB850_674
; %bb.671:
	s_movk_i32 s7, 0x7f
	v_and_b32_e32 v18, 0x7f, v6
	v_cmp_ne_u32_e32 vcc, s7, v18
	v_mov_b32_e32 v8, 0x7f80
	s_and_saveexec_b64 s[12:13], vcc
	s_cbranch_execz .LBB850_673
; %bb.672:
	v_and_b32_e32 v8, 7, v6
	v_ffbh_u32_e32 v20, v8
	v_min_u32_e32 v23, 32, v20
	v_subrev_u32_e32 v20, 28, v23
	v_lshlrev_b64 v[20:21], v20, v[6:7]
	v_lshrrev_b32_e32 v19, 3, v18
	v_sub_u32_e32 v6, 29, v23
	v_and_b32_e32 v20, 7, v20
	v_cmp_gt_u32_e32 vcc, 8, v18
	v_cndmask_b32_e32 v6, v19, v6, vcc
	v_cndmask_b32_e32 v8, v8, v20, vcc
	v_lshlrev_b32_e32 v18, 16, v9
	v_bfrev_b32_e32 v19, 60
	v_lshlrev_b32_e32 v8, 20, v8
	v_and_b32_e32 v18, 0x80000000, v18
	v_lshl_add_u32 v6, v6, 23, v19
	v_or3_b32 v6, v18, v6, v8
	v_lshrrev_b32_e32 v8, 16, v6
.LBB850_673:
	s_or_b64 exec, exec, s[12:13]
.LBB850_674:
	s_or_b64 exec, exec, s[10:11]
.LBB850_675:
	s_or_b64 exec, exec, s[8:9]
	s_movk_i32 s7, 0xff
	v_and_b32_sdwa v20, v9, s7 dst_sel:DWORD dst_unused:UNUSED_PAD src0_sel:WORD_1 src1_sel:DWORD
	v_lshrrev_b32_e32 v6, 16, v9
	v_cmp_ne_u16_e32 vcc, 0, v20
	v_mov_b32_e32 v18, 0
	v_mov_b32_e32 v19, 0
	s_and_saveexec_b64 s[8:9], vcc
	s_cbranch_execz .LBB850_681
; %bb.676:
	s_movk_i32 s7, 0x80
	v_cmp_ne_u16_e32 vcc, s7, v20
	v_mov_b32_e32 v19, 0xffff8000
	s_and_saveexec_b64 s[10:11], vcc
	s_cbranch_execz .LBB850_680
; %bb.677:
	v_bfe_u32 v20, v9, 16, 7
	s_movk_i32 s7, 0x7f
	v_cmp_ne_u32_e32 vcc, s7, v20
	v_mov_b32_e32 v19, 0x7f80
	s_and_saveexec_b64 s[12:13], vcc
	s_cbranch_execz .LBB850_679
; %bb.678:
	v_and_b32_e32 v19, 7, v6
	v_ffbh_u32_e32 v23, v19
	v_min_u32_e32 v23, 32, v23
	v_subrev_u32_e32 v24, 28, v23
	v_lshlrev_b64 v[24:25], v24, v[6:7]
	v_lshrrev_b32_e32 v21, 3, v20
	v_sub_u32_e32 v6, 29, v23
	v_and_b32_e32 v23, 7, v24
	v_cmp_gt_u32_e32 vcc, 8, v20
	v_mov_b32_e32 v20, 24
	v_cndmask_b32_e32 v6, v21, v6, vcc
	v_cndmask_b32_e32 v19, v19, v23, vcc
	v_lshlrev_b32_sdwa v20, v20, v9 dst_sel:DWORD dst_unused:UNUSED_PAD src0_sel:DWORD src1_sel:WORD_1
	v_bfrev_b32_e32 v21, 60
	v_lshlrev_b32_e32 v19, 20, v19
	v_and_b32_e32 v20, 0x80000000, v20
	v_lshl_add_u32 v6, v6, 23, v21
	v_or3_b32 v6, v20, v6, v19
	v_lshrrev_b32_e32 v19, 16, v6
.LBB850_679:
	s_or_b64 exec, exec, s[12:13]
.LBB850_680:
	s_or_b64 exec, exec, s[10:11]
.LBB850_681:
	s_or_b64 exec, exec, s[8:9]
	s_mov_b32 s7, 0xffffff
	v_cmp_lt_u32_e32 vcc, s7, v9
	s_and_saveexec_b64 s[8:9], vcc
	s_cbranch_execz .LBB850_687
; %bb.682:
	v_lshrrev_b32_e32 v6, 24, v9
	s_movk_i32 s7, 0x80
	v_cmp_ne_u32_e32 vcc, s7, v6
	v_mov_b32_e32 v18, 0xffff8000
	s_and_saveexec_b64 s[10:11], vcc
	s_cbranch_execz .LBB850_686
; %bb.683:
	v_bfe_u32 v9, v9, 24, 7
	s_movk_i32 s7, 0x7f
	v_cmp_ne_u32_e32 vcc, s7, v9
	v_mov_b32_e32 v18, 0x7f80
	s_and_saveexec_b64 s[12:13], vcc
	s_cbranch_execz .LBB850_685
; %bb.684:
	v_and_b32_e32 v18, 7, v6
	v_ffbh_u32_e32 v20, v18
	v_min_u32_e32 v24, 32, v20
	v_subrev_u32_e32 v20, 28, v24
	v_lshlrev_b64 v[20:21], v20, v[6:7]
	v_lshrrev_b32_e32 v23, 3, v9
	v_sub_u32_e32 v21, 29, v24
	v_and_b32_e32 v20, 7, v20
	v_cmp_gt_u32_e32 vcc, 8, v9
	v_cndmask_b32_e32 v9, v23, v21, vcc
	v_cndmask_b32_e32 v18, v18, v20, vcc
	v_lshlrev_b32_e32 v6, 24, v6
	v_bfrev_b32_e32 v20, 60
	v_lshlrev_b32_e32 v18, 20, v18
	v_and_b32_e32 v6, 0x80000000, v6
	v_lshl_add_u32 v9, v9, 23, v20
	v_or3_b32 v6, v6, v9, v18
	v_lshrrev_b32_e32 v18, 16, v6
.LBB850_685:
	s_or_b64 exec, exec, s[12:13]
.LBB850_686:
	s_or_b64 exec, exec, s[10:11]
.LBB850_687:
	s_or_b64 exec, exec, s[8:9]
	s_mov_b32 s7, 0x5040100
	v_perm_b32 v15, v15, v16, s7
	v_perm_b32 v14, v7, v14, s7
	ds_read_b128 v[24:27], v22 offset:4112
	v_perm_b32 v7, v18, v19, s7
	v_perm_b32 v6, v8, v17, s7
	s_waitcnt lgkmcnt(0)
	v_mfma_f32_16x16x16bf16_1k v[30:33], v[14:15], v[24:25], v[10:13]
	s_nop 6
	v_mov_b32_e32 v11, 0
	s_waitcnt vmcnt(0)
	v_cmp_ne_u16_sdwa s[10:11], v2, v11 src0_sel:BYTE_0 src1_sel:DWORD
	v_mfma_f32_16x16x16bf16_1k v[6:9], v[6:7], v[26:27], v[30:33]
	v_mov_b32_e32 v12, 0
	s_and_saveexec_b64 s[8:9], s[10:11]
	s_cbranch_execz .LBB850_693
; %bb.688:
	s_movk_i32 s7, 0x80
	v_cmp_ne_u16_sdwa s[12:13], v2, s7 src0_sel:BYTE_0 src1_sel:DWORD
	v_mov_b32_e32 v12, 0xffff8000
	s_and_saveexec_b64 s[10:11], s[12:13]
	s_cbranch_execz .LBB850_692
; %bb.689:
	s_movk_i32 s7, 0x7f
	v_and_b32_e32 v10, 0x7f, v2
	v_cmp_ne_u32_e32 vcc, s7, v10
	v_mov_b32_e32 v12, 0x7f80
	s_and_saveexec_b64 s[12:13], vcc
	s_cbranch_execz .LBB850_691
; %bb.690:
	v_and_b32_e32 v14, 7, v2
	v_ffbh_u32_e32 v12, v14
	v_min_u32_e32 v16, 32, v12
	v_subrev_u32_e32 v12, 28, v16
	v_lshlrev_b64 v[12:13], v12, v[2:3]
	v_lshrrev_b32_e32 v15, 3, v10
	v_sub_u32_e32 v13, 29, v16
	v_and_b32_e32 v12, 7, v12
	v_cmp_gt_u32_e32 vcc, 8, v10
	v_cndmask_b32_e32 v10, v15, v13, vcc
	v_cndmask_b32_e32 v12, v14, v12, vcc
	v_lshlrev_b32_e32 v13, 24, v2
	v_bfrev_b32_e32 v14, 60
	v_lshlrev_b32_e32 v12, 20, v12
	v_and_b32_e32 v13, 0x80000000, v13
	v_lshl_add_u32 v10, v10, 23, v14
	v_or3_b32 v10, v13, v10, v12
	v_lshrrev_b32_e32 v12, 16, v10
.LBB850_691:
	s_or_b64 exec, exec, s[12:13]
.LBB850_692:
	s_or_b64 exec, exec, s[10:11]
.LBB850_693:
	s_or_b64 exec, exec, s[8:9]
	v_lshrrev_b16_e32 v10, 8, v2
	v_cmp_ne_u16_e32 vcc, 0, v10
	s_and_saveexec_b64 s[8:9], vcc
	s_cbranch_execz .LBB850_699
; %bb.694:
	s_movk_i32 s7, 0x80
	v_cmp_ne_u16_e32 vcc, s7, v10
	v_mov_b32_e32 v11, 0xffff8000
	s_and_saveexec_b64 s[10:11], vcc
	s_cbranch_execz .LBB850_698
; %bb.695:
	s_movk_i32 s7, 0x7f
	v_and_b32_e32 v13, 0x7f, v10
	v_cmp_ne_u32_e32 vcc, s7, v13
	v_mov_b32_e32 v11, 0x7f80
	s_and_saveexec_b64 s[12:13], vcc
	s_cbranch_execz .LBB850_697
; %bb.696:
	v_and_b32_e32 v14, 7, v10
	v_ffbh_u32_e32 v11, v14
	v_min_u32_e32 v16, 32, v11
	v_subrev_u32_e32 v11, 28, v16
	v_lshlrev_b64 v[10:11], v11, v[10:11]
	v_lshrrev_b32_e32 v15, 3, v13
	v_sub_u32_e32 v11, 29, v16
	v_and_b32_e32 v10, 7, v10
	v_cmp_gt_u32_e32 vcc, 8, v13
	v_cndmask_b32_e32 v11, v15, v11, vcc
	v_cndmask_b32_e32 v10, v14, v10, vcc
	v_lshlrev_b32_e32 v13, 16, v2
	v_bfrev_b32_e32 v14, 60
	v_lshlrev_b32_e32 v10, 20, v10
	v_and_b32_e32 v13, 0x80000000, v13
	v_lshl_add_u32 v11, v11, 23, v14
	v_or3_b32 v10, v13, v11, v10
	v_lshrrev_b32_e32 v11, 16, v10
.LBB850_697:
	s_or_b64 exec, exec, s[12:13]
.LBB850_698:
	s_or_b64 exec, exec, s[10:11]
.LBB850_699:
	s_or_b64 exec, exec, s[8:9]
	s_movk_i32 s7, 0xff
	v_and_b32_sdwa v15, v2, s7 dst_sel:DWORD dst_unused:UNUSED_PAD src0_sel:WORD_1 src1_sel:DWORD
	v_lshrrev_b32_e32 v10, 16, v2
	v_cmp_ne_u16_e32 vcc, 0, v15
	v_mov_b32_e32 v13, 0
	v_mov_b32_e32 v14, 0
	s_and_saveexec_b64 s[8:9], vcc
	s_cbranch_execz .LBB850_705
; %bb.700:
	s_movk_i32 s7, 0x80
	v_cmp_ne_u16_e32 vcc, s7, v15
	v_mov_b32_e32 v14, 0xffff8000
	s_and_saveexec_b64 s[10:11], vcc
	s_cbranch_execz .LBB850_704
; %bb.701:
	v_bfe_u32 v15, v2, 16, 7
	s_movk_i32 s7, 0x7f
	v_cmp_ne_u32_e32 vcc, s7, v15
	v_mov_b32_e32 v14, 0x7f80
	s_and_saveexec_b64 s[12:13], vcc
	s_cbranch_execz .LBB850_703
; %bb.702:
	v_and_b32_e32 v14, 7, v10
	v_ffbh_u32_e32 v16, v14
	v_min_u32_e32 v19, 32, v16
	v_subrev_u32_e32 v16, 28, v19
	v_lshlrev_b64 v[16:17], v16, v[10:11]
	v_lshrrev_b32_e32 v18, 3, v15
	v_sub_u32_e32 v10, 29, v19
	v_and_b32_e32 v16, 7, v16
	v_cmp_gt_u32_e32 vcc, 8, v15
	v_mov_b32_e32 v15, 24
	v_cndmask_b32_e32 v10, v18, v10, vcc
	v_cndmask_b32_e32 v14, v14, v16, vcc
	v_lshlrev_b32_sdwa v15, v15, v2 dst_sel:DWORD dst_unused:UNUSED_PAD src0_sel:DWORD src1_sel:WORD_1
	v_bfrev_b32_e32 v16, 60
	v_lshlrev_b32_e32 v14, 20, v14
	v_and_b32_e32 v15, 0x80000000, v15
	v_lshl_add_u32 v10, v10, 23, v16
	v_or3_b32 v10, v15, v10, v14
	v_lshrrev_b32_e32 v14, 16, v10
.LBB850_703:
	s_or_b64 exec, exec, s[12:13]
.LBB850_704:
	s_or_b64 exec, exec, s[10:11]
.LBB850_705:
	s_or_b64 exec, exec, s[8:9]
	s_mov_b32 s7, 0xffffff
	v_cmp_lt_u32_e32 vcc, s7, v2
	s_and_saveexec_b64 s[8:9], vcc
	s_cbranch_execz .LBB850_711
; %bb.706:
	v_lshrrev_b32_e32 v10, 24, v2
	s_movk_i32 s7, 0x80
	v_cmp_ne_u32_e32 vcc, s7, v10
	v_mov_b32_e32 v13, 0xffff8000
	s_and_saveexec_b64 s[10:11], vcc
	s_cbranch_execz .LBB850_710
; %bb.707:
	v_bfe_u32 v2, v2, 24, 7
	s_movk_i32 s7, 0x7f
	v_cmp_ne_u32_e32 vcc, s7, v2
	v_mov_b32_e32 v13, 0x7f80
	s_and_saveexec_b64 s[12:13], vcc
	s_cbranch_execz .LBB850_709
; %bb.708:
	v_and_b32_e32 v13, 7, v10
	v_ffbh_u32_e32 v16, v13
	v_min_u32_e32 v18, 32, v16
	v_subrev_u32_e32 v16, 28, v18
	v_lshlrev_b64 v[16:17], v16, v[10:11]
	v_lshrrev_b32_e32 v15, 3, v2
	v_sub_u32_e32 v17, 29, v18
	v_and_b32_e32 v16, 7, v16
	v_cmp_gt_u32_e32 vcc, 8, v2
	v_cndmask_b32_e32 v2, v15, v17, vcc
	v_cndmask_b32_e32 v13, v13, v16, vcc
	v_lshlrev_b32_e32 v10, 24, v10
	v_bfrev_b32_e32 v15, 60
	v_lshlrev_b32_e32 v13, 20, v13
	v_and_b32_e32 v10, 0x80000000, v10
	v_lshl_add_u32 v2, v2, 23, v15
	v_or3_b32 v2, v10, v2, v13
	v_lshrrev_b32_e32 v13, 16, v2
.LBB850_709:
	s_or_b64 exec, exec, s[12:13]
.LBB850_710:
	s_or_b64 exec, exec, s[10:11]
.LBB850_711:
	s_or_b64 exec, exec, s[8:9]
	v_mov_b32_e32 v10, 0
	v_cmp_ne_u16_sdwa s[10:11], v3, v10 src0_sel:BYTE_0 src1_sel:DWORD
	v_mov_b32_e32 v15, 0
	s_and_saveexec_b64 s[8:9], s[10:11]
	s_cbranch_execz .LBB850_717
; %bb.712:
	s_movk_i32 s7, 0x80
	v_cmp_ne_u16_sdwa s[12:13], v3, s7 src0_sel:BYTE_0 src1_sel:DWORD
	v_mov_b32_e32 v15, 0xffff8000
	s_and_saveexec_b64 s[10:11], s[12:13]
	s_cbranch_execz .LBB850_716
; %bb.713:
	s_movk_i32 s7, 0x7f
	v_and_b32_e32 v2, 0x7f, v3
	v_cmp_ne_u32_e32 vcc, s7, v2
	v_mov_b32_e32 v15, 0x7f80
	s_and_saveexec_b64 s[12:13], vcc
	s_cbranch_execz .LBB850_715
; %bb.714:
	v_and_b32_e32 v15, 7, v3
	v_ffbh_u32_e32 v17, v15
	v_min_u32_e32 v19, 32, v17
	v_mov_b32_e32 v16, v3
	v_subrev_u32_e32 v17, 28, v19
	v_lshlrev_b64 v[16:17], v17, v[16:17]
	v_lshrrev_b32_e32 v18, 3, v2
	v_sub_u32_e32 v17, 29, v19
	v_and_b32_e32 v16, 7, v16
	v_cmp_gt_u32_e32 vcc, 8, v2
	v_cndmask_b32_e32 v2, v18, v17, vcc
	v_cndmask_b32_e32 v15, v15, v16, vcc
	v_lshlrev_b32_e32 v16, 24, v3
	v_bfrev_b32_e32 v17, 60
	v_lshlrev_b32_e32 v15, 20, v15
	v_and_b32_e32 v16, 0x80000000, v16
	v_lshl_add_u32 v2, v2, 23, v17
	v_or3_b32 v2, v16, v2, v15
	v_lshrrev_b32_e32 v15, 16, v2
.LBB850_715:
	s_or_b64 exec, exec, s[12:13]
.LBB850_716:
	s_or_b64 exec, exec, s[10:11]
.LBB850_717:
	s_or_b64 exec, exec, s[8:9]
	v_lshrrev_b16_e32 v2, 8, v3
	v_cmp_ne_u16_e32 vcc, 0, v2
	s_and_saveexec_b64 s[8:9], vcc
	s_cbranch_execz .LBB850_723
; %bb.718:
	s_movk_i32 s7, 0x80
	v_cmp_ne_u16_e32 vcc, s7, v2
	v_mov_b32_e32 v10, 0xffff8000
	s_and_saveexec_b64 s[10:11], vcc
	s_cbranch_execz .LBB850_722
; %bb.719:
	s_movk_i32 s7, 0x7f
	v_and_b32_e32 v16, 0x7f, v2
	v_cmp_ne_u32_e32 vcc, s7, v16
	v_mov_b32_e32 v10, 0x7f80
	s_and_saveexec_b64 s[12:13], vcc
	s_cbranch_execz .LBB850_721
; %bb.720:
	v_and_b32_e32 v10, 7, v2
	v_ffbh_u32_e32 v18, v10
	v_min_u32_e32 v20, 32, v18
	v_subrev_u32_e32 v18, 28, v20
	v_lshlrev_b64 v[18:19], v18, v[2:3]
	v_lshrrev_b32_e32 v17, 3, v16
	v_sub_u32_e32 v2, 29, v20
	v_and_b32_e32 v18, 7, v18
	v_cmp_gt_u32_e32 vcc, 8, v16
	v_cndmask_b32_e32 v2, v17, v2, vcc
	v_cndmask_b32_e32 v10, v10, v18, vcc
	v_lshlrev_b32_e32 v16, 16, v3
	v_bfrev_b32_e32 v17, 60
	v_lshlrev_b32_e32 v10, 20, v10
	v_and_b32_e32 v16, 0x80000000, v16
	v_lshl_add_u32 v2, v2, 23, v17
	v_or3_b32 v2, v16, v2, v10
	v_lshrrev_b32_e32 v10, 16, v2
.LBB850_721:
	s_or_b64 exec, exec, s[12:13]
.LBB850_722:
	s_or_b64 exec, exec, s[10:11]
.LBB850_723:
	s_or_b64 exec, exec, s[8:9]
	s_movk_i32 s7, 0xff
	v_and_b32_sdwa v18, v3, s7 dst_sel:DWORD dst_unused:UNUSED_PAD src0_sel:WORD_1 src1_sel:DWORD
	v_lshrrev_b32_e32 v2, 16, v3
	v_cmp_ne_u16_e32 vcc, 0, v18
	v_mov_b32_e32 v16, 0
	v_mov_b32_e32 v17, 0
	s_and_saveexec_b64 s[8:9], vcc
	s_cbranch_execz .LBB850_729
; %bb.724:
	s_movk_i32 s7, 0x80
	v_cmp_ne_u16_e32 vcc, s7, v18
	v_mov_b32_e32 v17, 0xffff8000
	s_and_saveexec_b64 s[10:11], vcc
	s_cbranch_execz .LBB850_728
; %bb.725:
	v_bfe_u32 v18, v3, 16, 7
	s_movk_i32 s7, 0x7f
	v_cmp_ne_u32_e32 vcc, s7, v18
	v_mov_b32_e32 v17, 0x7f80
	s_and_saveexec_b64 s[12:13], vcc
	s_cbranch_execz .LBB850_727
; %bb.726:
	v_and_b32_e32 v17, 7, v2
	v_ffbh_u32_e32 v20, v17
	v_min_u32_e32 v23, 32, v20
	v_subrev_u32_e32 v20, 28, v23
	v_lshlrev_b64 v[20:21], v20, v[2:3]
	v_lshrrev_b32_e32 v19, 3, v18
	v_sub_u32_e32 v2, 29, v23
	v_and_b32_e32 v20, 7, v20
	v_cmp_gt_u32_e32 vcc, 8, v18
	v_mov_b32_e32 v18, 24
	v_cndmask_b32_e32 v2, v19, v2, vcc
	v_cndmask_b32_e32 v17, v17, v20, vcc
	v_lshlrev_b32_sdwa v18, v18, v3 dst_sel:DWORD dst_unused:UNUSED_PAD src0_sel:DWORD src1_sel:WORD_1
	v_bfrev_b32_e32 v19, 60
	v_lshlrev_b32_e32 v17, 20, v17
	v_and_b32_e32 v18, 0x80000000, v18
	v_lshl_add_u32 v2, v2, 23, v19
	v_or3_b32 v2, v18, v2, v17
	v_lshrrev_b32_e32 v17, 16, v2
.LBB850_727:
	s_or_b64 exec, exec, s[12:13]
.LBB850_728:
	s_or_b64 exec, exec, s[10:11]
.LBB850_729:
	s_or_b64 exec, exec, s[8:9]
	s_mov_b32 s7, 0xffffff
	v_cmp_lt_u32_e32 vcc, s7, v3
	s_and_saveexec_b64 s[8:9], vcc
	s_cbranch_execz .LBB850_735
; %bb.730:
	v_lshrrev_b32_e32 v2, 24, v3
	s_movk_i32 s7, 0x80
	v_cmp_ne_u32_e32 vcc, s7, v2
	v_mov_b32_e32 v16, 0xffff8000
	s_and_saveexec_b64 s[10:11], vcc
	s_cbranch_execz .LBB850_734
; %bb.731:
	v_bfe_u32 v3, v3, 24, 7
	s_movk_i32 s7, 0x7f
	v_cmp_ne_u32_e32 vcc, s7, v3
	v_mov_b32_e32 v16, 0x7f80
	s_and_saveexec_b64 s[12:13], vcc
	s_cbranch_execz .LBB850_733
; %bb.732:
	v_and_b32_e32 v16, 7, v2
	v_ffbh_u32_e32 v18, v16
	v_min_u32_e32 v21, 32, v18
	v_subrev_u32_e32 v18, 28, v21
	v_lshlrev_b64 v[18:19], v18, v[2:3]
	v_lshrrev_b32_e32 v20, 3, v3
	v_sub_u32_e32 v19, 29, v21
	v_and_b32_e32 v18, 7, v18
	v_cmp_gt_u32_e32 vcc, 8, v3
	v_cndmask_b32_e32 v3, v20, v19, vcc
	v_cndmask_b32_e32 v16, v16, v18, vcc
	v_lshlrev_b32_e32 v2, 24, v2
	v_bfrev_b32_e32 v18, 60
	v_lshlrev_b32_e32 v16, 20, v16
	v_and_b32_e32 v2, 0x80000000, v2
	v_lshl_add_u32 v3, v3, 23, v18
	v_or3_b32 v2, v2, v3, v16
	v_lshrrev_b32_e32 v16, 16, v2
.LBB850_733:
	s_or_b64 exec, exec, s[12:13]
.LBB850_734:
	s_or_b64 exec, exec, s[10:11]
.LBB850_735:
	s_or_b64 exec, exec, s[8:9]
	s_mov_b32 s7, 0x5040100
	v_perm_b32 v3, v13, v14, s7
	v_perm_b32 v2, v11, v12, s7
	ds_read_b128 v[18:21], v22 offset:6144
	v_perm_b32 v13, v16, v17, s7
	v_perm_b32 v12, v10, v15, s7
	s_waitcnt lgkmcnt(0)
	v_mfma_f32_16x16x16bf16_1k v[6:9], v[2:3], v[18:19], v[6:9]
	v_mov_b32_e32 v3, 0
	v_cmp_ne_u16_sdwa s[10:11], v4, v3 src0_sel:BYTE_0 src1_sel:DWORD
	v_mov_b32_e32 v10, 0
	v_mfma_f32_16x16x16bf16_1k v[6:9], v[12:13], v[20:21], v[6:9]
	s_and_saveexec_b64 s[8:9], s[10:11]
	s_cbranch_execz .LBB850_741
; %bb.736:
	s_movk_i32 s7, 0x80
	v_cmp_ne_u16_sdwa s[12:13], v4, s7 src0_sel:BYTE_0 src1_sel:DWORD
	v_mov_b32_e32 v10, 0xffff8000
	s_and_saveexec_b64 s[10:11], s[12:13]
	s_cbranch_execz .LBB850_740
; %bb.737:
	s_movk_i32 s7, 0x7f
	v_and_b32_e32 v2, 0x7f, v4
	v_cmp_ne_u32_e32 vcc, s7, v2
	v_mov_b32_e32 v10, 0x7f80
	s_and_saveexec_b64 s[12:13], vcc
	s_cbranch_execz .LBB850_739
; %bb.738:
	v_and_b32_e32 v12, 7, v4
	v_ffbh_u32_e32 v10, v12
	v_min_u32_e32 v14, 32, v10
	v_subrev_u32_e32 v10, 28, v14
	v_lshlrev_b64 v[10:11], v10, v[4:5]
	v_lshrrev_b32_e32 v13, 3, v2
	v_sub_u32_e32 v11, 29, v14
	v_and_b32_e32 v10, 7, v10
	v_cmp_gt_u32_e32 vcc, 8, v2
	v_cndmask_b32_e32 v2, v13, v11, vcc
	v_cndmask_b32_e32 v10, v12, v10, vcc
	v_lshlrev_b32_e32 v11, 24, v4
	v_bfrev_b32_e32 v12, 60
	v_lshlrev_b32_e32 v10, 20, v10
	v_and_b32_e32 v11, 0x80000000, v11
	v_lshl_add_u32 v2, v2, 23, v12
	v_or3_b32 v2, v11, v2, v10
	v_lshrrev_b32_e32 v10, 16, v2
.LBB850_739:
	s_or_b64 exec, exec, s[12:13]
.LBB850_740:
	s_or_b64 exec, exec, s[10:11]
.LBB850_741:
	s_or_b64 exec, exec, s[8:9]
	v_lshrrev_b16_e32 v2, 8, v4
	v_cmp_ne_u16_e32 vcc, 0, v2
	s_and_saveexec_b64 s[8:9], vcc
	s_cbranch_execz .LBB850_747
; %bb.742:
	s_movk_i32 s7, 0x80
	v_cmp_ne_u16_e32 vcc, s7, v2
	v_mov_b32_e32 v3, 0xffff8000
	s_and_saveexec_b64 s[10:11], vcc
	s_cbranch_execz .LBB850_746
; %bb.743:
	s_movk_i32 s7, 0x7f
	v_and_b32_e32 v11, 0x7f, v2
	v_cmp_ne_u32_e32 vcc, s7, v11
	v_mov_b32_e32 v3, 0x7f80
	s_and_saveexec_b64 s[12:13], vcc
	s_cbranch_execz .LBB850_745
; %bb.744:
	v_and_b32_e32 v12, 7, v2
	v_ffbh_u32_e32 v3, v12
	v_min_u32_e32 v14, 32, v3
	v_subrev_u32_e32 v3, 28, v14
	v_lshlrev_b64 v[2:3], v3, v[2:3]
	v_lshrrev_b32_e32 v13, 3, v11
	v_sub_u32_e32 v3, 29, v14
	v_and_b32_e32 v2, 7, v2
	v_cmp_gt_u32_e32 vcc, 8, v11
	v_cndmask_b32_e32 v3, v13, v3, vcc
	v_cndmask_b32_e32 v2, v12, v2, vcc
	v_lshlrev_b32_e32 v11, 16, v4
	v_bfrev_b32_e32 v12, 60
	v_lshlrev_b32_e32 v2, 20, v2
	v_and_b32_e32 v11, 0x80000000, v11
	v_lshl_add_u32 v3, v3, 23, v12
	v_or3_b32 v2, v11, v3, v2
	v_lshrrev_b32_e32 v3, 16, v2
.LBB850_745:
	s_or_b64 exec, exec, s[12:13]
.LBB850_746:
	s_or_b64 exec, exec, s[10:11]
.LBB850_747:
	s_or_b64 exec, exec, s[8:9]
	s_movk_i32 s7, 0xff
	v_and_b32_sdwa v13, v4, s7 dst_sel:DWORD dst_unused:UNUSED_PAD src0_sel:WORD_1 src1_sel:DWORD
	v_lshrrev_b32_e32 v2, 16, v4
	v_cmp_ne_u16_e32 vcc, 0, v13
	v_mov_b32_e32 v11, 0
	v_mov_b32_e32 v12, 0
	s_and_saveexec_b64 s[8:9], vcc
	s_cbranch_execz .LBB850_753
; %bb.748:
	s_movk_i32 s7, 0x80
	v_cmp_ne_u16_e32 vcc, s7, v13
	v_mov_b32_e32 v12, 0xffff8000
	s_and_saveexec_b64 s[10:11], vcc
	s_cbranch_execz .LBB850_752
; %bb.749:
	v_bfe_u32 v13, v4, 16, 7
	s_movk_i32 s7, 0x7f
	v_cmp_ne_u32_e32 vcc, s7, v13
	v_mov_b32_e32 v12, 0x7f80
	s_and_saveexec_b64 s[12:13], vcc
	s_cbranch_execz .LBB850_751
; %bb.750:
	v_and_b32_e32 v12, 7, v2
	v_ffbh_u32_e32 v14, v12
	v_min_u32_e32 v17, 32, v14
	v_subrev_u32_e32 v14, 28, v17
	v_lshlrev_b64 v[14:15], v14, v[2:3]
	v_lshrrev_b32_e32 v16, 3, v13
	v_sub_u32_e32 v2, 29, v17
	v_and_b32_e32 v14, 7, v14
	v_cmp_gt_u32_e32 vcc, 8, v13
	v_mov_b32_e32 v13, 24
	v_cndmask_b32_e32 v2, v16, v2, vcc
	v_cndmask_b32_e32 v12, v12, v14, vcc
	v_lshlrev_b32_sdwa v13, v13, v4 dst_sel:DWORD dst_unused:UNUSED_PAD src0_sel:DWORD src1_sel:WORD_1
	v_bfrev_b32_e32 v14, 60
	v_lshlrev_b32_e32 v12, 20, v12
	v_and_b32_e32 v13, 0x80000000, v13
	v_lshl_add_u32 v2, v2, 23, v14
	v_or3_b32 v2, v13, v2, v12
	v_lshrrev_b32_e32 v12, 16, v2
.LBB850_751:
	s_or_b64 exec, exec, s[12:13]
.LBB850_752:
	s_or_b64 exec, exec, s[10:11]
.LBB850_753:
	s_or_b64 exec, exec, s[8:9]
	s_mov_b32 s7, 0xffffff
	v_cmp_lt_u32_e32 vcc, s7, v4
	s_and_saveexec_b64 s[8:9], vcc
	s_cbranch_execz .LBB850_759
; %bb.754:
	v_lshrrev_b32_e32 v2, 24, v4
	s_movk_i32 s7, 0x80
	v_cmp_ne_u32_e32 vcc, s7, v2
	v_mov_b32_e32 v11, 0xffff8000
	s_and_saveexec_b64 s[10:11], vcc
	s_cbranch_execz .LBB850_758
; %bb.755:
	v_bfe_u32 v4, v4, 24, 7
	s_movk_i32 s7, 0x7f
	v_cmp_ne_u32_e32 vcc, s7, v4
	v_mov_b32_e32 v11, 0x7f80
	s_and_saveexec_b64 s[12:13], vcc
	s_cbranch_execz .LBB850_757
; %bb.756:
	v_and_b32_e32 v11, 7, v2
	v_ffbh_u32_e32 v14, v11
	v_min_u32_e32 v16, 32, v14
	v_subrev_u32_e32 v14, 28, v16
	v_lshlrev_b64 v[14:15], v14, v[2:3]
	v_lshrrev_b32_e32 v13, 3, v4
	v_sub_u32_e32 v15, 29, v16
	v_and_b32_e32 v14, 7, v14
	v_cmp_gt_u32_e32 vcc, 8, v4
	v_cndmask_b32_e32 v4, v13, v15, vcc
	v_cndmask_b32_e32 v11, v11, v14, vcc
	v_lshlrev_b32_e32 v2, 24, v2
	v_bfrev_b32_e32 v13, 60
	v_lshlrev_b32_e32 v11, 20, v11
	v_and_b32_e32 v2, 0x80000000, v2
	v_lshl_add_u32 v4, v4, 23, v13
	v_or3_b32 v2, v2, v4, v11
	v_lshrrev_b32_e32 v11, 16, v2
.LBB850_757:
	s_or_b64 exec, exec, s[12:13]
.LBB850_758:
	s_or_b64 exec, exec, s[10:11]
.LBB850_759:
	s_or_b64 exec, exec, s[8:9]
	v_mov_b32_e32 v4, 0
	v_cmp_ne_u16_sdwa s[10:11], v5, v4 src0_sel:BYTE_0 src1_sel:DWORD
	v_mov_b32_e32 v13, 0
	s_and_saveexec_b64 s[8:9], s[10:11]
	s_cbranch_execz .LBB850_765
; %bb.760:
	s_movk_i32 s7, 0x80
	v_cmp_ne_u16_sdwa s[12:13], v5, s7 src0_sel:BYTE_0 src1_sel:DWORD
	v_mov_b32_e32 v13, 0xffff8000
	s_and_saveexec_b64 s[10:11], s[12:13]
	s_cbranch_execz .LBB850_764
; %bb.761:
	s_movk_i32 s7, 0x7f
	v_and_b32_e32 v2, 0x7f, v5
	v_cmp_ne_u32_e32 vcc, s7, v2
	v_mov_b32_e32 v13, 0x7f80
	s_and_saveexec_b64 s[12:13], vcc
	s_cbranch_execz .LBB850_763
; %bb.762:
	v_and_b32_e32 v13, 7, v5
	v_ffbh_u32_e32 v15, v13
	v_min_u32_e32 v17, 32, v15
	v_mov_b32_e32 v14, v5
	v_subrev_u32_e32 v15, 28, v17
	v_lshlrev_b64 v[14:15], v15, v[14:15]
	v_lshrrev_b32_e32 v16, 3, v2
	v_sub_u32_e32 v15, 29, v17
	v_and_b32_e32 v14, 7, v14
	v_cmp_gt_u32_e32 vcc, 8, v2
	v_cndmask_b32_e32 v2, v16, v15, vcc
	v_cndmask_b32_e32 v13, v13, v14, vcc
	v_lshlrev_b32_e32 v14, 24, v5
	v_bfrev_b32_e32 v15, 60
	v_lshlrev_b32_e32 v13, 20, v13
	v_and_b32_e32 v14, 0x80000000, v14
	v_lshl_add_u32 v2, v2, 23, v15
	v_or3_b32 v2, v14, v2, v13
	v_lshrrev_b32_e32 v13, 16, v2
.LBB850_763:
	s_or_b64 exec, exec, s[12:13]
.LBB850_764:
	s_or_b64 exec, exec, s[10:11]
.LBB850_765:
	s_or_b64 exec, exec, s[8:9]
	v_lshrrev_b16_e32 v2, 8, v5
	v_cmp_ne_u16_e32 vcc, 0, v2
	s_and_saveexec_b64 s[8:9], vcc
	s_cbranch_execz .LBB850_771
; %bb.766:
	s_movk_i32 s7, 0x80
	v_cmp_ne_u16_e32 vcc, s7, v2
	v_mov_b32_e32 v4, 0xffff8000
	s_and_saveexec_b64 s[10:11], vcc
	s_cbranch_execz .LBB850_770
; %bb.767:
	s_movk_i32 s7, 0x7f
	v_and_b32_e32 v14, 0x7f, v2
	v_cmp_ne_u32_e32 vcc, s7, v14
	v_mov_b32_e32 v4, 0x7f80
	s_and_saveexec_b64 s[12:13], vcc
	s_cbranch_execz .LBB850_769
; %bb.768:
	v_and_b32_e32 v4, 7, v2
	v_ffbh_u32_e32 v16, v4
	v_min_u32_e32 v18, 32, v16
	v_subrev_u32_e32 v16, 28, v18
	v_lshlrev_b64 v[16:17], v16, v[2:3]
	v_lshrrev_b32_e32 v15, 3, v14
	v_sub_u32_e32 v2, 29, v18
	v_and_b32_e32 v16, 7, v16
	v_cmp_gt_u32_e32 vcc, 8, v14
	v_cndmask_b32_e32 v2, v15, v2, vcc
	v_cndmask_b32_e32 v4, v4, v16, vcc
	v_lshlrev_b32_e32 v14, 16, v5
	v_bfrev_b32_e32 v15, 60
	v_lshlrev_b32_e32 v4, 20, v4
	v_and_b32_e32 v14, 0x80000000, v14
	v_lshl_add_u32 v2, v2, 23, v15
	v_or3_b32 v2, v14, v2, v4
	v_lshrrev_b32_e32 v4, 16, v2
.LBB850_769:
	s_or_b64 exec, exec, s[12:13]
.LBB850_770:
	s_or_b64 exec, exec, s[10:11]
.LBB850_771:
	s_or_b64 exec, exec, s[8:9]
	s_movk_i32 s7, 0xff
	v_and_b32_sdwa v16, v5, s7 dst_sel:DWORD dst_unused:UNUSED_PAD src0_sel:WORD_1 src1_sel:DWORD
	v_lshrrev_b32_e32 v2, 16, v5
	v_cmp_ne_u16_e32 vcc, 0, v16
	v_mov_b32_e32 v14, 0
	v_mov_b32_e32 v15, 0
	s_and_saveexec_b64 s[8:9], vcc
	s_cbranch_execz .LBB850_777
; %bb.772:
	s_movk_i32 s7, 0x80
	v_cmp_ne_u16_e32 vcc, s7, v16
	v_mov_b32_e32 v15, 0xffff8000
	s_and_saveexec_b64 s[10:11], vcc
	s_cbranch_execz .LBB850_776
; %bb.773:
	v_bfe_u32 v16, v5, 16, 7
	s_movk_i32 s7, 0x7f
	v_cmp_ne_u32_e32 vcc, s7, v16
	v_mov_b32_e32 v15, 0x7f80
	s_and_saveexec_b64 s[12:13], vcc
	s_cbranch_execz .LBB850_775
; %bb.774:
	v_and_b32_e32 v15, 7, v2
	v_ffbh_u32_e32 v18, v15
	v_min_u32_e32 v20, 32, v18
	v_subrev_u32_e32 v18, 28, v20
	v_lshlrev_b64 v[18:19], v18, v[2:3]
	v_lshrrev_b32_e32 v17, 3, v16
	v_sub_u32_e32 v2, 29, v20
	v_and_b32_e32 v18, 7, v18
	v_cmp_gt_u32_e32 vcc, 8, v16
	v_mov_b32_e32 v16, 24
	v_cndmask_b32_e32 v2, v17, v2, vcc
	v_cndmask_b32_e32 v15, v15, v18, vcc
	v_lshlrev_b32_sdwa v16, v16, v5 dst_sel:DWORD dst_unused:UNUSED_PAD src0_sel:DWORD src1_sel:WORD_1
	v_bfrev_b32_e32 v17, 60
	v_lshlrev_b32_e32 v15, 20, v15
	v_and_b32_e32 v16, 0x80000000, v16
	v_lshl_add_u32 v2, v2, 23, v17
	v_or3_b32 v2, v16, v2, v15
	v_lshrrev_b32_e32 v15, 16, v2
.LBB850_775:
	s_or_b64 exec, exec, s[12:13]
.LBB850_776:
	s_or_b64 exec, exec, s[10:11]
.LBB850_777:
	s_or_b64 exec, exec, s[8:9]
	s_mov_b32 s7, 0xffffff
	v_cmp_lt_u32_e32 vcc, s7, v5
	s_and_saveexec_b64 s[8:9], vcc
	s_cbranch_execz .LBB850_783
; %bb.778:
	v_lshrrev_b32_e32 v2, 24, v5
	s_movk_i32 s7, 0x80
	v_cmp_ne_u32_e32 vcc, s7, v2
	v_mov_b32_e32 v14, 0xffff8000
	s_and_saveexec_b64 s[10:11], vcc
	s_cbranch_execz .LBB850_782
; %bb.779:
	v_bfe_u32 v5, v5, 24, 7
	s_movk_i32 s7, 0x7f
	v_cmp_ne_u32_e32 vcc, s7, v5
	v_mov_b32_e32 v14, 0x7f80
	s_and_saveexec_b64 s[12:13], vcc
	s_cbranch_execz .LBB850_781
; %bb.780:
	v_and_b32_e32 v14, 7, v2
	v_ffbh_u32_e32 v16, v14
	v_min_u32_e32 v19, 32, v16
	v_subrev_u32_e32 v16, 28, v19
	v_lshlrev_b64 v[16:17], v16, v[2:3]
	v_lshrrev_b32_e32 v18, 3, v5
	v_sub_u32_e32 v17, 29, v19
	v_and_b32_e32 v16, 7, v16
	v_cmp_gt_u32_e32 vcc, 8, v5
	v_cndmask_b32_e32 v5, v18, v17, vcc
	v_cndmask_b32_e32 v14, v14, v16, vcc
	v_lshlrev_b32_e32 v2, 24, v2
	v_bfrev_b32_e32 v16, 60
	v_lshlrev_b32_e32 v14, 20, v14
	v_and_b32_e32 v2, 0x80000000, v2
	v_lshl_add_u32 v5, v5, 23, v16
	v_or3_b32 v2, v2, v5, v14
	v_lshrrev_b32_e32 v14, 16, v2
.LBB850_781:
	s_or_b64 exec, exec, s[12:13]
.LBB850_782:
	s_or_b64 exec, exec, s[10:11]
.LBB850_783:
	s_or_b64 exec, exec, s[8:9]
	s_mov_b32 s7, 0x5040100
	v_perm_b32 v11, v11, v12, s7
	ds_read_b128 v[16:19], v22 offset:6160
	v_perm_b32 v10, v3, v10, s7
	v_perm_b32 v3, v14, v15, s7
	;; [unrolled: 1-line block ×3, first 2 shown]
	s_waitcnt lgkmcnt(0)
	v_mfma_f32_16x16x16bf16_1k v[6:9], v[10:11], v[16:17], v[6:9]
	s_load_dword s8, s[42:43], 0x0
	s_movk_i32 s9, 0x7fff
	s_mov_b32 s7, 0x7060302
	v_cmp_gt_u32_e32 vcc, 64, v0
	s_and_b64 s[0:1], vcc, s[0:1]
	s_waitcnt lgkmcnt(0)
	s_barrier
	v_mfma_f32_16x16x16bf16_1k v[2:5], v[2:3], v[18:19], v[6:9]
	s_nop 7
	s_nop 2
	v_pk_mul_f32 v[4:5], v[4:5], s[8:9] op_sel_hi:[1,0]
	v_pk_mul_f32 v[2:3], v[2:3], s[8:9] op_sel_hi:[1,0]
	v_bfe_u32 v6, v3, 16, 1
	v_bfe_u32 v7, v2, 16, 1
	;; [unrolled: 1-line block ×4, first 2 shown]
	v_add3_u32 v2, v2, v7, s9
	v_add3_u32 v3, v3, v6, s9
	;; [unrolled: 1-line block ×4, first 2 shown]
	v_perm_b32 v2, v3, v2, s7
	v_perm_b32 v3, v5, v4, s7
	ds_write_b64 v28, v[2:3]
	s_waitcnt lgkmcnt(0)
	s_barrier
	s_and_saveexec_b64 s[8:9], s[0:1]
	s_cbranch_execz .LBB850_786
; %bb.784:
	s_load_dwordx2 s[4:5], s[4:5], 0x68
	s_lshl_b32 s0, s44, 6
	s_mul_i32 s1, s14, s6
	s_mul_hi_u32 s9, s1, s0
	s_mul_i32 s8, s1, s0
	s_lshl_b64 s[8:9], s[8:9], 1
	s_waitcnt lgkmcnt(0)
	s_add_u32 s1, s4, s8
	v_lshlrev_b32_e32 v0, 10, v0
	s_mov_b32 s7, 0
	s_addc_u32 s8, s5, s9
	s_lshl_b32 s6, s24, 6
	v_and_b32_e32 v0, 0x1800, v0
	v_lshlrev_b32_e32 v2, 5, v1
	v_and_b32_e32 v3, 16, v47
	s_lshl_b64 s[4:5], s[6:7], 1
	v_or3_b32 v0, v0, v2, v3
	s_add_u32 s1, s1, s4
	s_addc_u32 s4, s8, s5
	ds_read_b128 v[4:7], v0
	v_add_u32_e32 v8, s25, v1
	v_mov_b32_e32 v3, s4
	v_add_co_u32_e32 v2, vcc, s1, v46
	v_mad_u64_u32 v[8:9], s[4:5], v8, s0, 0
	v_addc_co_u32_e32 v3, vcc, 0, v3, vcc
	v_lshlrev_b64 v[8:9], 1, v[8:9]
	v_add_co_u32_e32 v8, vcc, v2, v8
	v_addc_co_u32_e32 v9, vcc, v3, v9, vcc
	s_waitcnt lgkmcnt(0)
	global_store_dwordx4 v[8:9], v[4:7], off
	s_and_b64 exec, exec, s[2:3]
	s_cbranch_execz .LBB850_786
; %bb.785:
	ds_read_b128 v[4:7], v0 offset:128
	v_add3_u32 v0, s25, v1, 4
	v_mad_u64_u32 v[0:1], s[0:1], v0, s0, 0
	v_lshlrev_b64 v[0:1], 1, v[0:1]
	v_add_co_u32_e32 v0, vcc, v2, v0
	v_addc_co_u32_e32 v1, vcc, v3, v1, vcc
	s_waitcnt lgkmcnt(0)
	global_store_dwordx4 v[0:1], v[4:7], off
.LBB850_786:
	s_endpgm
	.section	.rodata,"a",@progbits
	.p2align	6, 0x0
	.amdhsa_kernel _Z39paged_attention_ll4mi_QKV_mfma16_kernelI14__hip_bfloat16hLN4vllm18Fp8KVCacheDataTypeE1ES0_Li16ELi64ELi256ELb0ELi5EL8MFMAType0EEvPKT_PKT0_S9_ifPKiSB_SB_iPKfiiiPfSE_PS4_PT2_iSD_SD_
		.amdhsa_group_segment_fixed_size 8192
		.amdhsa_private_segment_fixed_size 0
		.amdhsa_kernarg_size 400
		.amdhsa_user_sgpr_count 6
		.amdhsa_user_sgpr_private_segment_buffer 1
		.amdhsa_user_sgpr_dispatch_ptr 0
		.amdhsa_user_sgpr_queue_ptr 0
		.amdhsa_user_sgpr_kernarg_segment_ptr 1
		.amdhsa_user_sgpr_dispatch_id 0
		.amdhsa_user_sgpr_flat_scratch_init 0
		.amdhsa_user_sgpr_kernarg_preload_length 0
		.amdhsa_user_sgpr_kernarg_preload_offset 0
		.amdhsa_user_sgpr_private_segment_size 0
		.amdhsa_uses_dynamic_stack 0
		.amdhsa_system_sgpr_private_segment_wavefront_offset 0
		.amdhsa_system_sgpr_workgroup_id_x 1
		.amdhsa_system_sgpr_workgroup_id_y 1
		.amdhsa_system_sgpr_workgroup_id_z 1
		.amdhsa_system_sgpr_workgroup_info 0
		.amdhsa_system_vgpr_workitem_id 0
		.amdhsa_next_free_vgpr 61
		.amdhsa_next_free_sgpr 47
		.amdhsa_accum_offset 64
		.amdhsa_reserve_vcc 1
		.amdhsa_reserve_flat_scratch 0
		.amdhsa_float_round_mode_32 0
		.amdhsa_float_round_mode_16_64 0
		.amdhsa_float_denorm_mode_32 3
		.amdhsa_float_denorm_mode_16_64 3
		.amdhsa_dx10_clamp 1
		.amdhsa_ieee_mode 1
		.amdhsa_fp16_overflow 0
		.amdhsa_tg_split 0
		.amdhsa_exception_fp_ieee_invalid_op 0
		.amdhsa_exception_fp_denorm_src 0
		.amdhsa_exception_fp_ieee_div_zero 0
		.amdhsa_exception_fp_ieee_overflow 0
		.amdhsa_exception_fp_ieee_underflow 0
		.amdhsa_exception_fp_ieee_inexact 0
		.amdhsa_exception_int_div_zero 0
	.end_amdhsa_kernel
	.section	.text._Z39paged_attention_ll4mi_QKV_mfma16_kernelI14__hip_bfloat16hLN4vllm18Fp8KVCacheDataTypeE1ES0_Li16ELi64ELi256ELb0ELi5EL8MFMAType0EEvPKT_PKT0_S9_ifPKiSB_SB_iPKfiiiPfSE_PS4_PT2_iSD_SD_,"axG",@progbits,_Z39paged_attention_ll4mi_QKV_mfma16_kernelI14__hip_bfloat16hLN4vllm18Fp8KVCacheDataTypeE1ES0_Li16ELi64ELi256ELb0ELi5EL8MFMAType0EEvPKT_PKT0_S9_ifPKiSB_SB_iPKfiiiPfSE_PS4_PT2_iSD_SD_,comdat
.Lfunc_end850:
	.size	_Z39paged_attention_ll4mi_QKV_mfma16_kernelI14__hip_bfloat16hLN4vllm18Fp8KVCacheDataTypeE1ES0_Li16ELi64ELi256ELb0ELi5EL8MFMAType0EEvPKT_PKT0_S9_ifPKiSB_SB_iPKfiiiPfSE_PS4_PT2_iSD_SD_, .Lfunc_end850-_Z39paged_attention_ll4mi_QKV_mfma16_kernelI14__hip_bfloat16hLN4vllm18Fp8KVCacheDataTypeE1ES0_Li16ELi64ELi256ELb0ELi5EL8MFMAType0EEvPKT_PKT0_S9_ifPKiSB_SB_iPKfiiiPfSE_PS4_PT2_iSD_SD_
                                        ; -- End function
	.section	.AMDGPU.csdata,"",@progbits
; Kernel info:
; codeLenInByte = 28292
; NumSgprs: 51
; NumVgprs: 61
; NumAgprs: 0
; TotalNumVgprs: 61
; ScratchSize: 0
; MemoryBound: 0
; FloatMode: 240
; IeeeMode: 1
; LDSByteSize: 8192 bytes/workgroup (compile time only)
; SGPRBlocks: 6
; VGPRBlocks: 7
; NumSGPRsForWavesPerEU: 51
; NumVGPRsForWavesPerEU: 61
; AccumOffset: 64
; Occupancy: 8
; WaveLimiterHint : 1
; COMPUTE_PGM_RSRC2:SCRATCH_EN: 0
; COMPUTE_PGM_RSRC2:USER_SGPR: 6
; COMPUTE_PGM_RSRC2:TRAP_HANDLER: 0
; COMPUTE_PGM_RSRC2:TGID_X_EN: 1
; COMPUTE_PGM_RSRC2:TGID_Y_EN: 1
; COMPUTE_PGM_RSRC2:TGID_Z_EN: 1
; COMPUTE_PGM_RSRC2:TIDIG_COMP_CNT: 0
; COMPUTE_PGM_RSRC3_GFX90A:ACCUM_OFFSET: 15
; COMPUTE_PGM_RSRC3_GFX90A:TG_SPLIT: 0
	.section	.text._Z39paged_attention_ll4mi_QKV_mfma16_kernelI14__hip_bfloat16hLN4vllm18Fp8KVCacheDataTypeE1ES0_Li16ELi64ELi256ELb0ELi6EL8MFMAType0EEvPKT_PKT0_S9_ifPKiSB_SB_iPKfiiiPfSE_PS4_PT2_iSD_SD_,"axG",@progbits,_Z39paged_attention_ll4mi_QKV_mfma16_kernelI14__hip_bfloat16hLN4vllm18Fp8KVCacheDataTypeE1ES0_Li16ELi64ELi256ELb0ELi6EL8MFMAType0EEvPKT_PKT0_S9_ifPKiSB_SB_iPKfiiiPfSE_PS4_PT2_iSD_SD_,comdat
	.protected	_Z39paged_attention_ll4mi_QKV_mfma16_kernelI14__hip_bfloat16hLN4vllm18Fp8KVCacheDataTypeE1ES0_Li16ELi64ELi256ELb0ELi6EL8MFMAType0EEvPKT_PKT0_S9_ifPKiSB_SB_iPKfiiiPfSE_PS4_PT2_iSD_SD_ ; -- Begin function _Z39paged_attention_ll4mi_QKV_mfma16_kernelI14__hip_bfloat16hLN4vllm18Fp8KVCacheDataTypeE1ES0_Li16ELi64ELi256ELb0ELi6EL8MFMAType0EEvPKT_PKT0_S9_ifPKiSB_SB_iPKfiiiPfSE_PS4_PT2_iSD_SD_
	.globl	_Z39paged_attention_ll4mi_QKV_mfma16_kernelI14__hip_bfloat16hLN4vllm18Fp8KVCacheDataTypeE1ES0_Li16ELi64ELi256ELb0ELi6EL8MFMAType0EEvPKT_PKT0_S9_ifPKiSB_SB_iPKfiiiPfSE_PS4_PT2_iSD_SD_
	.p2align	8
	.type	_Z39paged_attention_ll4mi_QKV_mfma16_kernelI14__hip_bfloat16hLN4vllm18Fp8KVCacheDataTypeE1ES0_Li16ELi64ELi256ELb0ELi6EL8MFMAType0EEvPKT_PKT0_S9_ifPKiSB_SB_iPKfiiiPfSE_PS4_PT2_iSD_SD_,@function
_Z39paged_attention_ll4mi_QKV_mfma16_kernelI14__hip_bfloat16hLN4vllm18Fp8KVCacheDataTypeE1ES0_Li16ELi64ELi256ELb0ELi6EL8MFMAType0EEvPKT_PKT0_S9_ifPKiSB_SB_iPKfiiiPfSE_PS4_PT2_iSD_SD_: ; @_Z39paged_attention_ll4mi_QKV_mfma16_kernelI14__hip_bfloat16hLN4vllm18Fp8KVCacheDataTypeE1ES0_Li16ELi64ELi256ELb0ELi6EL8MFMAType0EEvPKT_PKT0_S9_ifPKiSB_SB_iPKfiiiPfSE_PS4_PT2_iSD_SD_
; %bb.0:
	s_load_dwordx2 s[0:1], s[4:5], 0x30
	s_mov_b32 s24, s7
	s_mov_b64 s[10:11], 0
	s_waitcnt lgkmcnt(0)
	s_cmp_lg_u64 s[0:1], 0
	s_cselect_b64 s[2:3], -1, 0
	s_and_b64 vcc, exec, s[2:3]
	s_cbranch_vccz .LBB851_7
; %bb.1:
	s_add_i32 s12, s6, 1
	s_mov_b32 s13, 0
	s_lshl_b64 s[14:15], s[12:13], 2
	s_add_u32 s14, s0, s14
	s_mov_b32 s7, s13
	s_addc_u32 s15, s1, s15
	s_lshl_b64 s[12:13], s[6:7], 2
	s_add_u32 s12, s0, s12
	s_addc_u32 s13, s1, s13
	s_load_dword s9, s[14:15], 0x0
	s_load_dword s16, s[12:13], 0x0
	s_waitcnt lgkmcnt(0)
	s_sub_i32 s9, s9, s16
	s_cmp_eq_u32 s9, 1
	s_cselect_b64 s[12:13], -1, 0
	s_andn2_b64 vcc, exec, s[10:11]
	s_cbranch_vccnz .LBB851_3
.LBB851_2:
	s_mov_b32 s7, 0
	s_mov_b64 s[12:13], -1
.LBB851_3:
	s_andn2_b64 vcc, exec, s[12:13]
	s_cbranch_vccnz .LBB851_786
; %bb.4:
	s_load_dwordx2 s[12:13], s[4:5], 0x28
	s_lshl_b64 s[10:11], s[6:7], 2
	s_waitcnt lgkmcnt(0)
	s_add_u32 s12, s12, s10
	s_addc_u32 s13, s13, s11
	s_load_dword s33, s[12:13], 0x0
	s_lshl_b32 s20, s24, 8
	s_waitcnt lgkmcnt(0)
	s_cmp_ge_i32 s20, s33
	s_cbranch_scc1 .LBB851_786
; %bb.5:
	s_add_i32 s14, s33, 15
	s_load_dwordx2 s[12:13], s[4:5], 0x20
	s_load_dword s9, s[4:5], 0x38
	s_ashr_i32 s15, s14, 31
	v_and_b32_e32 v1, 0xcf, v0
	s_lshr_b32 s15, s15, 28
	v_add_u32_e32 v1, s20, v1
	s_add_i32 s14, s14, s15
	v_ashrrev_i32_e32 v2, 31, v1
	s_ashr_i32 s22, s14, 4
	v_lshrrev_b32_e32 v4, 28, v2
	s_add_i32 s22, s22, -1
	v_add_u32_e32 v2, v1, v4
	s_waitcnt lgkmcnt(0)
	s_mul_i32 s14, s6, s9
	s_mov_b32 s15, 0
	v_ashrrev_i32_e32 v2, 4, v2
	v_mov_b32_e32 v5, s22
	v_cmp_gt_i32_e32 vcc, s33, v1
	s_lshl_b64 s[14:15], s[14:15], 2
	v_cndmask_b32_e32 v2, v5, v2, vcc
	s_add_u32 s9, s12, s14
	v_ashrrev_i32_e32 v3, 31, v2
	s_addc_u32 s21, s13, s15
	v_lshlrev_b64 v[2:3], 2, v[2:3]
	v_mov_b32_e32 v7, s21
	v_add_co_u32_e32 v6, vcc, s9, v2
	v_or_b32_e32 v2, 16, v1
	v_addc_co_u32_e32 v7, vcc, v7, v3, vcc
	v_add_u32_e32 v3, v2, v4
	v_ashrrev_i32_e32 v3, 4, v3
	v_cmp_gt_i32_e32 vcc, s33, v2
	v_cndmask_b32_e32 v2, v5, v3, vcc
	v_ashrrev_i32_e32 v3, 31, v2
	v_lshlrev_b64 v[2:3], 2, v[2:3]
	v_mov_b32_e32 v9, s21
	v_add_co_u32_e32 v8, vcc, s9, v2
	v_or_b32_e32 v2, 32, v1
	v_addc_co_u32_e32 v9, vcc, v9, v3, vcc
	v_add_u32_e32 v3, v2, v4
	v_ashrrev_i32_e32 v3, 4, v3
	v_cmp_gt_i32_e32 vcc, s33, v2
	v_cndmask_b32_e32 v2, v5, v3, vcc
	v_ashrrev_i32_e32 v3, 31, v2
	;; [unrolled: 10-line block ×3, first 2 shown]
	v_lshlrev_b64 v[2:3], 2, v[2:3]
	v_mov_b32_e32 v1, s21
	v_add_co_u32_e32 v12, vcc, s9, v2
	v_addc_co_u32_e32 v13, vcc, v1, v3, vcc
	global_load_dword v4, v[6:7], off
	global_load_dword v5, v[8:9], off
	;; [unrolled: 1-line block ×4, first 2 shown]
	s_load_dwordx4 s[12:15], s[4:5], 0x8
	s_andn2_b64 vcc, exec, s[2:3]
	s_cbranch_vccnz .LBB851_8
; %bb.6:
	s_add_u32 s0, s0, s10
	s_addc_u32 s1, s1, s11
	s_load_dword s10, s[0:1], 0x0
	s_branch .LBB851_9
.LBB851_7:
	s_mov_b64 s[12:13], 0
	s_branch .LBB851_2
.LBB851_8:
	s_mov_b32 s10, s6
.LBB851_9:
	s_load_dwordx4 s[16:19], s[4:5], 0x48
	v_lshrrev_b32_e32 v49, 6, v0
	v_bfe_u32 v1, v0, 4, 2
	v_lshl_or_b32 v6, v49, 2, v1
	v_and_b32_e32 v48, 15, v0
	v_lshlrev_b32_e32 v7, 3, v48
	v_cmp_gt_u32_e32 vcc, 6, v6
	v_cmp_gt_u32_e64 s[0:1], 8, v48
	s_mul_i32 s25, s8, 6
	s_and_b64 s[26:27], s[0:1], vcc
	v_lshlrev_b32_e32 v46, 1, v7
	v_lshlrev_b32_e32 v47, 4, v0
	s_and_saveexec_b64 s[2:3], s[26:27]
	s_cbranch_execz .LBB851_11
; %bb.10:
	s_load_dwordx2 s[26:27], s[4:5], 0x0
	s_waitcnt lgkmcnt(0)
	s_ashr_i32 s11, s16, 31
	s_mul_hi_u32 s19, s10, s16
	s_mul_i32 s11, s10, s11
	s_add_i32 s11, s19, s11
	s_mul_i32 s10, s10, s16
	s_lshl_b64 s[10:11], s[10:11], 1
	v_add_lshl_u32 v8, v6, s25, 6
	s_add_u32 s10, s26, s10
	v_ashrrev_i32_e32 v9, 31, v8
	s_addc_u32 s11, s27, s11
	v_lshlrev_b64 v[8:9], 1, v[8:9]
	v_mov_b32_e32 v7, s11
	v_add_co_u32_e32 v8, vcc, s10, v8
	v_addc_co_u32_e32 v7, vcc, v7, v9, vcc
	v_add_co_u32_e32 v8, vcc, v8, v46
	v_addc_co_u32_e32 v9, vcc, 0, v7, vcc
	global_load_dwordx4 v[8:11], v[8:9], off
	v_lshlrev_b32_e32 v12, 8, v48
	v_lshlrev_b32_e32 v6, 5, v6
	v_and_b32_e32 v7, 16, v47
	v_and_b32_e32 v12, 0xe00, v12
	v_or3_b32 v6, v12, v6, v7
	s_waitcnt vmcnt(0)
	ds_write_b128 v6, v[8:11]
.LBB851_11:
	s_or_b64 exec, exec, s[2:3]
	v_and_b32_e32 v12, 48, v0
	v_or_b32_e32 v13, s20, v12
	v_ashrrev_i32_e32 v6, 4, v13
	v_mov_b32_e32 v14, s22
	v_cmp_gt_i32_e32 vcc, s33, v13
	v_cndmask_b32_e32 v6, v14, v6, vcc
	v_ashrrev_i32_e32 v7, 31, v6
	v_lshlrev_b64 v[6:7], 2, v[6:7]
	v_mov_b32_e32 v8, s21
	v_add_co_u32_e32 v6, vcc, s9, v6
	v_addc_co_u32_e32 v7, vcc, v8, v7, vcc
	v_or_b32_e32 v8, 64, v13
	v_ashrrev_i32_e32 v9, 4, v8
	v_cmp_gt_i32_e32 vcc, s33, v8
	v_cndmask_b32_e32 v8, v14, v9, vcc
	v_ashrrev_i32_e32 v9, 31, v8
	v_lshlrev_b64 v[8:9], 2, v[8:9]
	v_mov_b32_e32 v10, s21
	v_add_co_u32_e32 v8, vcc, s9, v8
	v_addc_co_u32_e32 v9, vcc, v10, v9, vcc
	v_or_b32_e32 v10, 0x80, v13
	v_ashrrev_i32_e32 v11, 4, v10
	v_cmp_gt_i32_e32 vcc, s33, v10
	v_cndmask_b32_e32 v10, v14, v11, vcc
	v_ashrrev_i32_e32 v11, 31, v10
	v_lshlrev_b64 v[10:11], 2, v[10:11]
	v_mov_b32_e32 v15, s21
	v_add_co_u32_e32 v10, vcc, s9, v10
	s_load_dwordx2 s[44:45], s[4:5], 0x94
	s_load_dwordx4 s[40:43], s[4:5], 0x80
	s_waitcnt lgkmcnt(0)
	s_barrier
	v_addc_co_u32_e32 v11, vcc, v15, v11, vcc
	global_load_dword v15, v[6:7], off
	global_load_dword v16, v[8:9], off
	;; [unrolled: 1-line block ×3, first 2 shown]
	v_or_b32_e32 v6, 0xc0, v13
	v_ashrrev_i32_e32 v7, 4, v6
	v_cmp_gt_i32_e32 vcc, s33, v6
	v_cndmask_b32_e32 v6, v14, v7, vcc
	v_ashrrev_i32_e32 v7, 31, v6
	v_lshlrev_b64 v[6:7], 2, v[6:7]
	v_mov_b32_e32 v8, s21
	v_add_co_u32_e32 v6, vcc, s9, v6
	v_addc_co_u32_e32 v7, vcc, v8, v7, vcc
	global_load_dword v20, v[6:7], off
	s_mul_i32 s8, s8, s18
	s_add_u32 s2, s12, s8
	s_addc_u32 s3, s13, 0
	v_and_b32_e32 v6, 0xf0, v47
	v_mov_b32_e32 v7, s3
	v_add_co_u32_e32 v6, vcc, s2, v6
	v_addc_co_u32_e32 v7, vcc, 0, v7, vcc
	v_lshlrev_b32_e32 v8, 4, v12
	v_add_co_u32_e32 v6, vcc, v6, v8
	v_addc_co_u32_e32 v7, vcc, 0, v7, vcc
	s_waitcnt vmcnt(7)
	v_mad_i64_i32 v[8:9], s[2:3], v4, s17, v[6:7]
	s_waitcnt vmcnt(6)
	v_mad_i64_i32 v[4:5], s[2:3], v5, s17, v[6:7]
	global_load_dwordx4 v[30:33], v[8:9], off
	global_load_dwordx4 v[38:41], v[4:5], off
	s_waitcnt vmcnt(7)
	v_mad_i64_i32 v[4:5], s[2:3], v2, s17, v[6:7]
	s_waitcnt vmcnt(6)
	v_mad_i64_i32 v[2:3], s[2:3], v3, s17, v[6:7]
	global_load_dwordx4 v[34:37], v[4:5], off
	global_load_dwordx4 v[22:25], v[2:3], off
	s_add_u32 s2, s14, s8
	v_lshlrev_b32_e32 v2, 4, v48
	s_addc_u32 s3, s15, 0
	v_lshl_or_b32 v2, v49, 8, v2
	v_mov_b32_e32 v3, s3
	v_add_co_u32_e32 v2, vcc, s2, v2
	v_addc_co_u32_e32 v3, vcc, 0, v3, vcc
	v_mov_b32_e32 v44, 0
	v_mov_b32_e32 v43, 0
	s_movk_i32 s8, 0x80
	s_waitcnt vmcnt(7)
	v_mad_i64_i32 v[4:5], s[2:3], v15, s17, v[2:3]
	s_waitcnt vmcnt(6)
	v_mad_i64_i32 v[6:7], s[2:3], v16, s17, v[2:3]
	;; [unrolled: 2-line block ×3, first 2 shown]
	global_load_dwordx4 v[14:17], v[4:5], off
	global_load_dwordx4 v[10:13], v[6:7], off
	s_waitcnt vmcnt(6)
	v_mad_i64_i32 v[20:21], s[2:3], v20, s17, v[2:3]
	global_load_dwordx4 v[6:9], v[18:19], off
	global_load_dwordx4 v[2:5], v[20:21], off
	v_mul_lo_u16_e32 v18, 43, v48
	v_mov_b32_e32 v19, 6
	v_mul_lo_u16_sdwa v18, v18, v19 dst_sel:DWORD dst_unused:UNUSED_PAD src0_sel:BYTE_1 src1_sel:DWORD
	v_sub_u16_e32 v18, v48, v18
	v_mov_b32_e32 v19, 5
	v_lshlrev_b32_sdwa v18, v19, v18 dst_sel:DWORD dst_unused:UNUSED_PAD src0_sel:DWORD src1_sel:BYTE_0
	v_lshl_add_u32 v18, v1, 9, v18
	ds_read_b128 v[26:29], v18
	ds_read_b128 v[18:21], v18 offset:16
	s_load_dword s12, s[40:41], 0x0
	s_waitcnt vmcnt(7)
	v_cmp_ne_u16_sdwa s[10:11], v30, v44 src0_sel:BYTE_0 src1_sel:DWORD
	s_and_saveexec_b64 s[2:3], s[10:11]
	s_cbranch_execz .LBB851_17
; %bb.12:
	v_cmp_ne_u16_sdwa s[10:11], v30, s8 src0_sel:BYTE_0 src1_sel:DWORD
	v_mov_b32_e32 v43, 0xffff8000
	s_and_saveexec_b64 s[8:9], s[10:11]
	s_cbranch_execz .LBB851_16
; %bb.13:
	s_movk_i32 s10, 0x7f
	v_and_b32_e32 v42, 0x7f, v30
	v_cmp_ne_u32_e32 vcc, s10, v42
	v_mov_b32_e32 v43, 0x7f80
	s_and_saveexec_b64 s[10:11], vcc
	s_cbranch_execz .LBB851_15
; %bb.14:
	v_and_b32_e32 v43, 7, v30
	v_ffbh_u32_e32 v50, v43
	v_min_u32_e32 v52, 32, v50
	v_subrev_u32_e32 v50, 28, v52
	v_lshlrev_b64 v[50:51], v50, v[30:31]
	v_lshrrev_b32_e32 v45, 3, v42
	v_sub_u32_e32 v51, 29, v52
	v_and_b32_e32 v50, 7, v50
	v_cmp_gt_u32_e32 vcc, 8, v42
	v_cndmask_b32_e32 v42, v45, v51, vcc
	v_cndmask_b32_e32 v43, v43, v50, vcc
	v_lshlrev_b32_e32 v45, 24, v30
	v_bfrev_b32_e32 v50, 60
	v_lshlrev_b32_e32 v43, 20, v43
	v_and_b32_e32 v45, 0x80000000, v45
	v_lshl_add_u32 v42, v42, 23, v50
	v_or3_b32 v42, v45, v42, v43
	v_lshrrev_b32_e32 v43, 16, v42
.LBB851_15:
	s_or_b64 exec, exec, s[10:11]
.LBB851_16:
	s_or_b64 exec, exec, s[8:9]
.LBB851_17:
	s_or_b64 exec, exec, s[2:3]
	v_lshrrev_b16_e32 v42, 8, v30
	v_cmp_ne_u16_e32 vcc, 0, v42
	s_and_saveexec_b64 s[2:3], vcc
	s_cbranch_execz .LBB851_23
; %bb.18:
	s_movk_i32 s8, 0x80
	v_cmp_ne_u16_e32 vcc, s8, v42
	v_mov_b32_e32 v44, 0xffff8000
	s_and_saveexec_b64 s[8:9], vcc
	s_cbranch_execz .LBB851_22
; %bb.19:
	s_movk_i32 s10, 0x7f
	v_and_b32_e32 v45, 0x7f, v42
	v_cmp_ne_u32_e32 vcc, s10, v45
	v_mov_b32_e32 v44, 0x7f80
	s_and_saveexec_b64 s[10:11], vcc
	s_cbranch_execz .LBB851_21
; %bb.20:
	v_and_b32_e32 v44, 7, v42
	v_ffbh_u32_e32 v50, v44
	v_min_u32_e32 v53, 32, v50
	v_subrev_u32_e32 v50, 28, v53
	v_lshlrev_b64 v[50:51], v50, v[42:43]
	v_lshrrev_b32_e32 v52, 3, v45
	v_sub_u32_e32 v42, 29, v53
	v_and_b32_e32 v50, 7, v50
	v_cmp_gt_u32_e32 vcc, 8, v45
	v_cndmask_b32_e32 v42, v52, v42, vcc
	v_cndmask_b32_e32 v44, v44, v50, vcc
	v_lshlrev_b32_e32 v45, 16, v30
	v_bfrev_b32_e32 v50, 60
	v_lshlrev_b32_e32 v44, 20, v44
	v_and_b32_e32 v45, 0x80000000, v45
	v_lshl_add_u32 v42, v42, 23, v50
	v_or3_b32 v42, v45, v42, v44
	v_lshrrev_b32_e32 v44, 16, v42
.LBB851_21:
	s_or_b64 exec, exec, s[10:11]
.LBB851_22:
	s_or_b64 exec, exec, s[8:9]
.LBB851_23:
	s_or_b64 exec, exec, s[2:3]
	s_movk_i32 s2, 0xff
	v_and_b32_sdwa v51, v30, s2 dst_sel:DWORD dst_unused:UNUSED_PAD src0_sel:WORD_1 src1_sel:DWORD
	v_lshrrev_b32_e32 v42, 16, v30
	v_cmp_ne_u16_e32 vcc, 0, v51
	v_mov_b32_e32 v45, 0
	v_mov_b32_e32 v50, 0
	s_and_saveexec_b64 s[2:3], vcc
	s_cbranch_execz .LBB851_29
; %bb.24:
	s_movk_i32 s8, 0x80
	v_cmp_ne_u16_e32 vcc, s8, v51
	v_mov_b32_e32 v50, 0xffff8000
	s_and_saveexec_b64 s[8:9], vcc
	s_cbranch_execz .LBB851_28
; %bb.25:
	v_bfe_u32 v51, v30, 16, 7
	s_movk_i32 s10, 0x7f
	v_cmp_ne_u32_e32 vcc, s10, v51
	v_mov_b32_e32 v50, 0x7f80
	s_and_saveexec_b64 s[10:11], vcc
	s_cbranch_execz .LBB851_27
; %bb.26:
	v_and_b32_e32 v50, 7, v42
	v_ffbh_u32_e32 v52, v50
	v_min_u32_e32 v55, 32, v52
	v_subrev_u32_e32 v52, 28, v55
	v_lshlrev_b64 v[52:53], v52, v[42:43]
	v_lshrrev_b32_e32 v54, 3, v51
	v_sub_u32_e32 v42, 29, v55
	v_and_b32_e32 v52, 7, v52
	v_cmp_gt_u32_e32 vcc, 8, v51
	v_mov_b32_e32 v51, 24
	v_cndmask_b32_e32 v42, v54, v42, vcc
	v_cndmask_b32_e32 v50, v50, v52, vcc
	v_lshlrev_b32_sdwa v51, v51, v30 dst_sel:DWORD dst_unused:UNUSED_PAD src0_sel:DWORD src1_sel:WORD_1
	v_bfrev_b32_e32 v52, 60
	v_lshlrev_b32_e32 v50, 20, v50
	v_and_b32_e32 v51, 0x80000000, v51
	v_lshl_add_u32 v42, v42, 23, v52
	v_or3_b32 v42, v51, v42, v50
	v_lshrrev_b32_e32 v50, 16, v42
.LBB851_27:
	s_or_b64 exec, exec, s[10:11]
.LBB851_28:
	s_or_b64 exec, exec, s[8:9]
.LBB851_29:
	s_or_b64 exec, exec, s[2:3]
	s_mov_b32 s2, 0xffffff
	v_cmp_lt_u32_e32 vcc, s2, v30
	s_and_saveexec_b64 s[2:3], vcc
	s_cbranch_execz .LBB851_35
; %bb.30:
	v_lshrrev_b32_e32 v42, 24, v30
	s_movk_i32 s8, 0x80
	v_cmp_ne_u32_e32 vcc, s8, v42
	v_mov_b32_e32 v45, 0xffff8000
	s_and_saveexec_b64 s[8:9], vcc
	s_cbranch_execz .LBB851_34
; %bb.31:
	v_bfe_u32 v30, v30, 24, 7
	s_movk_i32 s10, 0x7f
	v_cmp_ne_u32_e32 vcc, s10, v30
	v_mov_b32_e32 v45, 0x7f80
	s_and_saveexec_b64 s[10:11], vcc
	s_cbranch_execz .LBB851_33
; %bb.32:
	v_and_b32_e32 v45, 7, v42
	v_ffbh_u32_e32 v52, v45
	v_min_u32_e32 v54, 32, v52
	v_subrev_u32_e32 v52, 28, v54
	v_lshlrev_b64 v[52:53], v52, v[42:43]
	v_lshrrev_b32_e32 v51, 3, v30
	v_sub_u32_e32 v53, 29, v54
	v_and_b32_e32 v52, 7, v52
	v_cmp_gt_u32_e32 vcc, 8, v30
	v_cndmask_b32_e32 v30, v51, v53, vcc
	v_cndmask_b32_e32 v45, v45, v52, vcc
	v_lshlrev_b32_e32 v42, 24, v42
	v_bfrev_b32_e32 v51, 60
	v_lshlrev_b32_e32 v45, 20, v45
	v_and_b32_e32 v42, 0x80000000, v42
	v_lshl_add_u32 v30, v30, 23, v51
	v_or3_b32 v30, v42, v30, v45
	v_lshrrev_b32_e32 v45, 16, v30
.LBB851_33:
	s_or_b64 exec, exec, s[10:11]
.LBB851_34:
	s_or_b64 exec, exec, s[8:9]
.LBB851_35:
	s_or_b64 exec, exec, s[2:3]
	v_mov_b32_e32 v42, 0
	v_cmp_ne_u16_sdwa s[8:9], v31, v42 src0_sel:BYTE_0 src1_sel:DWORD
	v_mov_b32_e32 v51, 0
	s_and_saveexec_b64 s[2:3], s[8:9]
	s_cbranch_execz .LBB851_41
; %bb.36:
	s_movk_i32 s8, 0x80
	v_cmp_ne_u16_sdwa s[10:11], v31, s8 src0_sel:BYTE_0 src1_sel:DWORD
	v_mov_b32_e32 v51, 0xffff8000
	s_and_saveexec_b64 s[8:9], s[10:11]
	s_cbranch_execz .LBB851_40
; %bb.37:
	s_movk_i32 s10, 0x7f
	v_and_b32_e32 v30, 0x7f, v31
	v_cmp_ne_u32_e32 vcc, s10, v30
	v_mov_b32_e32 v51, 0x7f80
	s_and_saveexec_b64 s[10:11], vcc
	s_cbranch_execz .LBB851_39
; %bb.38:
	v_and_b32_e32 v51, 7, v31
	v_ffbh_u32_e32 v53, v51
	v_min_u32_e32 v55, 32, v53
	v_mov_b32_e32 v52, v31
	v_subrev_u32_e32 v53, 28, v55
	v_lshlrev_b64 v[52:53], v53, v[52:53]
	v_lshrrev_b32_e32 v54, 3, v30
	v_sub_u32_e32 v53, 29, v55
	v_and_b32_e32 v52, 7, v52
	v_cmp_gt_u32_e32 vcc, 8, v30
	v_cndmask_b32_e32 v30, v54, v53, vcc
	v_cndmask_b32_e32 v51, v51, v52, vcc
	v_lshlrev_b32_e32 v52, 24, v31
	v_bfrev_b32_e32 v53, 60
	v_lshlrev_b32_e32 v51, 20, v51
	v_and_b32_e32 v52, 0x80000000, v52
	v_lshl_add_u32 v30, v30, 23, v53
	v_or3_b32 v30, v52, v30, v51
	v_lshrrev_b32_e32 v51, 16, v30
.LBB851_39:
	s_or_b64 exec, exec, s[10:11]
.LBB851_40:
	s_or_b64 exec, exec, s[8:9]
.LBB851_41:
	s_or_b64 exec, exec, s[2:3]
	v_lshrrev_b16_e32 v30, 8, v31
	v_cmp_ne_u16_e32 vcc, 0, v30
	s_and_saveexec_b64 s[2:3], vcc
	s_cbranch_execz .LBB851_47
; %bb.42:
	s_movk_i32 s8, 0x80
	v_cmp_ne_u16_e32 vcc, s8, v30
	v_mov_b32_e32 v42, 0xffff8000
	s_and_saveexec_b64 s[8:9], vcc
	s_cbranch_execz .LBB851_46
; %bb.43:
	s_movk_i32 s10, 0x7f
	v_and_b32_e32 v52, 0x7f, v30
	v_cmp_ne_u32_e32 vcc, s10, v52
	v_mov_b32_e32 v42, 0x7f80
	s_and_saveexec_b64 s[10:11], vcc
	s_cbranch_execz .LBB851_45
; %bb.44:
	v_and_b32_e32 v42, 7, v30
	v_ffbh_u32_e32 v54, v42
	v_min_u32_e32 v56, 32, v54
	v_subrev_u32_e32 v54, 28, v56
	v_lshlrev_b64 v[54:55], v54, v[30:31]
	v_lshrrev_b32_e32 v53, 3, v52
	v_sub_u32_e32 v30, 29, v56
	v_and_b32_e32 v54, 7, v54
	v_cmp_gt_u32_e32 vcc, 8, v52
	v_cndmask_b32_e32 v30, v53, v30, vcc
	v_cndmask_b32_e32 v42, v42, v54, vcc
	v_lshlrev_b32_e32 v52, 16, v31
	v_bfrev_b32_e32 v53, 60
	v_lshlrev_b32_e32 v42, 20, v42
	v_and_b32_e32 v52, 0x80000000, v52
	v_lshl_add_u32 v30, v30, 23, v53
	v_or3_b32 v30, v52, v30, v42
	v_lshrrev_b32_e32 v42, 16, v30
.LBB851_45:
	s_or_b64 exec, exec, s[10:11]
.LBB851_46:
	s_or_b64 exec, exec, s[8:9]
.LBB851_47:
	s_or_b64 exec, exec, s[2:3]
	s_movk_i32 s2, 0xff
	v_and_b32_sdwa v54, v31, s2 dst_sel:DWORD dst_unused:UNUSED_PAD src0_sel:WORD_1 src1_sel:DWORD
	v_lshrrev_b32_e32 v30, 16, v31
	v_cmp_ne_u16_e32 vcc, 0, v54
	v_mov_b32_e32 v52, 0
	v_mov_b32_e32 v53, 0
	s_and_saveexec_b64 s[2:3], vcc
	s_cbranch_execz .LBB851_53
; %bb.48:
	s_movk_i32 s8, 0x80
	v_cmp_ne_u16_e32 vcc, s8, v54
	v_mov_b32_e32 v53, 0xffff8000
	s_and_saveexec_b64 s[8:9], vcc
	s_cbranch_execz .LBB851_52
; %bb.49:
	v_bfe_u32 v54, v31, 16, 7
	s_movk_i32 s10, 0x7f
	v_cmp_ne_u32_e32 vcc, s10, v54
	v_mov_b32_e32 v53, 0x7f80
	s_and_saveexec_b64 s[10:11], vcc
	s_cbranch_execz .LBB851_51
; %bb.50:
	v_and_b32_e32 v53, 7, v30
	v_ffbh_u32_e32 v56, v53
	v_min_u32_e32 v58, 32, v56
	v_subrev_u32_e32 v56, 28, v58
	v_lshlrev_b64 v[56:57], v56, v[30:31]
	v_lshrrev_b32_e32 v55, 3, v54
	v_sub_u32_e32 v30, 29, v58
	v_and_b32_e32 v56, 7, v56
	v_cmp_gt_u32_e32 vcc, 8, v54
	v_mov_b32_e32 v54, 24
	v_cndmask_b32_e32 v30, v55, v30, vcc
	v_cndmask_b32_e32 v53, v53, v56, vcc
	v_lshlrev_b32_sdwa v54, v54, v31 dst_sel:DWORD dst_unused:UNUSED_PAD src0_sel:DWORD src1_sel:WORD_1
	v_bfrev_b32_e32 v55, 60
	v_lshlrev_b32_e32 v53, 20, v53
	v_and_b32_e32 v54, 0x80000000, v54
	v_lshl_add_u32 v30, v30, 23, v55
	v_or3_b32 v30, v54, v30, v53
	v_lshrrev_b32_e32 v53, 16, v30
.LBB851_51:
	s_or_b64 exec, exec, s[10:11]
.LBB851_52:
	s_or_b64 exec, exec, s[8:9]
.LBB851_53:
	s_or_b64 exec, exec, s[2:3]
	s_mov_b32 s2, 0xffffff
	v_cmp_lt_u32_e32 vcc, s2, v31
	s_and_saveexec_b64 s[2:3], vcc
	s_cbranch_execz .LBB851_59
; %bb.54:
	v_lshrrev_b32_e32 v30, 24, v31
	s_movk_i32 s8, 0x80
	v_cmp_ne_u32_e32 vcc, s8, v30
	v_mov_b32_e32 v52, 0xffff8000
	s_and_saveexec_b64 s[8:9], vcc
	s_cbranch_execz .LBB851_58
; %bb.55:
	v_bfe_u32 v31, v31, 24, 7
	s_movk_i32 s10, 0x7f
	v_cmp_ne_u32_e32 vcc, s10, v31
	v_mov_b32_e32 v52, 0x7f80
	s_and_saveexec_b64 s[10:11], vcc
	s_cbranch_execz .LBB851_57
; %bb.56:
	v_and_b32_e32 v52, 7, v30
	v_ffbh_u32_e32 v54, v52
	v_min_u32_e32 v57, 32, v54
	v_subrev_u32_e32 v54, 28, v57
	v_lshlrev_b64 v[54:55], v54, v[30:31]
	v_lshrrev_b32_e32 v56, 3, v31
	v_sub_u32_e32 v55, 29, v57
	v_and_b32_e32 v54, 7, v54
	v_cmp_gt_u32_e32 vcc, 8, v31
	v_cndmask_b32_e32 v31, v56, v55, vcc
	v_cndmask_b32_e32 v52, v52, v54, vcc
	v_lshlrev_b32_e32 v30, 24, v30
	v_bfrev_b32_e32 v54, 60
	v_lshlrev_b32_e32 v52, 20, v52
	v_and_b32_e32 v30, 0x80000000, v30
	v_lshl_add_u32 v31, v31, 23, v54
	v_or3_b32 v30, v30, v31, v52
	v_lshrrev_b32_e32 v52, 16, v30
.LBB851_57:
	s_or_b64 exec, exec, s[10:11]
.LBB851_58:
	s_or_b64 exec, exec, s[8:9]
.LBB851_59:
	s_or_b64 exec, exec, s[2:3]
	s_mov_b32 s2, 0x5040100
	v_perm_b32 v31, v45, v50, s2
	v_perm_b32 v30, v44, v43, s2
	;; [unrolled: 1-line block ×4, first 2 shown]
	v_mov_b32_e32 v50, 0
	s_waitcnt lgkmcnt(0)
	v_mfma_f32_16x16x16bf16_1k v[54:57], v[30:31], v[26:27], 0
	v_mov_b32_e32 v31, 0
	v_cmp_ne_u16_sdwa s[8:9], v32, v31 src0_sel:BYTE_0 src1_sel:DWORD
	v_mfma_f32_16x16x16bf16_1k v[42:45], v[42:43], v[28:29], v[54:57]
	s_and_saveexec_b64 s[2:3], s[8:9]
	s_cbranch_execz .LBB851_65
; %bb.60:
	s_movk_i32 s8, 0x80
	v_cmp_ne_u16_sdwa s[10:11], v32, s8 src0_sel:BYTE_0 src1_sel:DWORD
	v_mov_b32_e32 v50, 0xffff8000
	s_and_saveexec_b64 s[8:9], s[10:11]
	s_cbranch_execz .LBB851_64
; %bb.61:
	s_movk_i32 s10, 0x7f
	v_and_b32_e32 v30, 0x7f, v32
	v_cmp_ne_u32_e32 vcc, s10, v30
	v_mov_b32_e32 v50, 0x7f80
	s_and_saveexec_b64 s[10:11], vcc
	s_cbranch_execz .LBB851_63
; %bb.62:
	v_and_b32_e32 v52, 7, v32
	v_ffbh_u32_e32 v50, v52
	v_min_u32_e32 v54, 32, v50
	v_subrev_u32_e32 v50, 28, v54
	v_lshlrev_b64 v[50:51], v50, v[32:33]
	v_lshrrev_b32_e32 v53, 3, v30
	v_sub_u32_e32 v51, 29, v54
	v_and_b32_e32 v50, 7, v50
	v_cmp_gt_u32_e32 vcc, 8, v30
	v_cndmask_b32_e32 v30, v53, v51, vcc
	v_cndmask_b32_e32 v50, v52, v50, vcc
	v_lshlrev_b32_e32 v51, 24, v32
	v_bfrev_b32_e32 v52, 60
	v_lshlrev_b32_e32 v50, 20, v50
	v_and_b32_e32 v51, 0x80000000, v51
	v_lshl_add_u32 v30, v30, 23, v52
	v_or3_b32 v30, v51, v30, v50
	v_lshrrev_b32_e32 v50, 16, v30
.LBB851_63:
	s_or_b64 exec, exec, s[10:11]
.LBB851_64:
	s_or_b64 exec, exec, s[8:9]
.LBB851_65:
	s_or_b64 exec, exec, s[2:3]
	v_lshrrev_b16_e32 v30, 8, v32
	v_cmp_ne_u16_e32 vcc, 0, v30
	s_and_saveexec_b64 s[2:3], vcc
	s_cbranch_execz .LBB851_71
; %bb.66:
	s_movk_i32 s8, 0x80
	v_cmp_ne_u16_e32 vcc, s8, v30
	v_mov_b32_e32 v31, 0xffff8000
	s_and_saveexec_b64 s[8:9], vcc
	s_cbranch_execz .LBB851_70
; %bb.67:
	s_movk_i32 s10, 0x7f
	v_and_b32_e32 v51, 0x7f, v30
	v_cmp_ne_u32_e32 vcc, s10, v51
	v_mov_b32_e32 v31, 0x7f80
	s_and_saveexec_b64 s[10:11], vcc
	s_cbranch_execz .LBB851_69
; %bb.68:
	v_and_b32_e32 v52, 7, v30
	v_ffbh_u32_e32 v31, v52
	v_min_u32_e32 v54, 32, v31
	v_subrev_u32_e32 v31, 28, v54
	v_lshlrev_b64 v[30:31], v31, v[30:31]
	v_lshrrev_b32_e32 v53, 3, v51
	v_sub_u32_e32 v31, 29, v54
	v_and_b32_e32 v30, 7, v30
	v_cmp_gt_u32_e32 vcc, 8, v51
	v_cndmask_b32_e32 v31, v53, v31, vcc
	v_cndmask_b32_e32 v30, v52, v30, vcc
	v_lshlrev_b32_e32 v51, 16, v32
	v_bfrev_b32_e32 v52, 60
	v_lshlrev_b32_e32 v30, 20, v30
	v_and_b32_e32 v51, 0x80000000, v51
	v_lshl_add_u32 v31, v31, 23, v52
	v_or3_b32 v30, v51, v31, v30
	v_lshrrev_b32_e32 v31, 16, v30
.LBB851_69:
	s_or_b64 exec, exec, s[10:11]
.LBB851_70:
	s_or_b64 exec, exec, s[8:9]
.LBB851_71:
	s_or_b64 exec, exec, s[2:3]
	s_movk_i32 s2, 0xff
	v_and_b32_sdwa v53, v32, s2 dst_sel:DWORD dst_unused:UNUSED_PAD src0_sel:WORD_1 src1_sel:DWORD
	v_lshrrev_b32_e32 v30, 16, v32
	v_cmp_ne_u16_e32 vcc, 0, v53
	v_mov_b32_e32 v51, 0
	v_mov_b32_e32 v52, 0
	s_and_saveexec_b64 s[2:3], vcc
	s_cbranch_execz .LBB851_77
; %bb.72:
	s_movk_i32 s8, 0x80
	v_cmp_ne_u16_e32 vcc, s8, v53
	v_mov_b32_e32 v52, 0xffff8000
	s_and_saveexec_b64 s[8:9], vcc
	s_cbranch_execz .LBB851_76
; %bb.73:
	v_bfe_u32 v53, v32, 16, 7
	s_movk_i32 s10, 0x7f
	v_cmp_ne_u32_e32 vcc, s10, v53
	v_mov_b32_e32 v52, 0x7f80
	s_and_saveexec_b64 s[10:11], vcc
	s_cbranch_execz .LBB851_75
; %bb.74:
	v_and_b32_e32 v52, 7, v30
	v_ffbh_u32_e32 v54, v52
	v_min_u32_e32 v57, 32, v54
	v_subrev_u32_e32 v54, 28, v57
	v_lshlrev_b64 v[54:55], v54, v[30:31]
	v_lshrrev_b32_e32 v56, 3, v53
	v_sub_u32_e32 v30, 29, v57
	v_and_b32_e32 v54, 7, v54
	v_cmp_gt_u32_e32 vcc, 8, v53
	v_mov_b32_e32 v53, 24
	v_cndmask_b32_e32 v30, v56, v30, vcc
	v_cndmask_b32_e32 v52, v52, v54, vcc
	v_lshlrev_b32_sdwa v53, v53, v32 dst_sel:DWORD dst_unused:UNUSED_PAD src0_sel:DWORD src1_sel:WORD_1
	v_bfrev_b32_e32 v54, 60
	v_lshlrev_b32_e32 v52, 20, v52
	v_and_b32_e32 v53, 0x80000000, v53
	v_lshl_add_u32 v30, v30, 23, v54
	v_or3_b32 v30, v53, v30, v52
	v_lshrrev_b32_e32 v52, 16, v30
.LBB851_75:
	s_or_b64 exec, exec, s[10:11]
.LBB851_76:
	s_or_b64 exec, exec, s[8:9]
.LBB851_77:
	s_or_b64 exec, exec, s[2:3]
	s_mov_b32 s2, 0xffffff
	v_cmp_lt_u32_e32 vcc, s2, v32
	s_and_saveexec_b64 s[2:3], vcc
	s_cbranch_execz .LBB851_83
; %bb.78:
	v_lshrrev_b32_e32 v30, 24, v32
	s_movk_i32 s8, 0x80
	v_cmp_ne_u32_e32 vcc, s8, v30
	v_mov_b32_e32 v51, 0xffff8000
	s_and_saveexec_b64 s[8:9], vcc
	s_cbranch_execz .LBB851_82
; %bb.79:
	v_bfe_u32 v32, v32, 24, 7
	s_movk_i32 s10, 0x7f
	v_cmp_ne_u32_e32 vcc, s10, v32
	v_mov_b32_e32 v51, 0x7f80
	s_and_saveexec_b64 s[10:11], vcc
	s_cbranch_execz .LBB851_81
; %bb.80:
	v_and_b32_e32 v51, 7, v30
	v_ffbh_u32_e32 v54, v51
	v_min_u32_e32 v56, 32, v54
	v_subrev_u32_e32 v54, 28, v56
	v_lshlrev_b64 v[54:55], v54, v[30:31]
	v_lshrrev_b32_e32 v53, 3, v32
	v_sub_u32_e32 v55, 29, v56
	v_and_b32_e32 v54, 7, v54
	v_cmp_gt_u32_e32 vcc, 8, v32
	v_cndmask_b32_e32 v32, v53, v55, vcc
	v_cndmask_b32_e32 v51, v51, v54, vcc
	v_lshlrev_b32_e32 v30, 24, v30
	v_bfrev_b32_e32 v53, 60
	v_lshlrev_b32_e32 v51, 20, v51
	v_and_b32_e32 v30, 0x80000000, v30
	v_lshl_add_u32 v32, v32, 23, v53
	v_or3_b32 v30, v30, v32, v51
	v_lshrrev_b32_e32 v51, 16, v30
.LBB851_81:
	s_or_b64 exec, exec, s[10:11]
.LBB851_82:
	s_or_b64 exec, exec, s[8:9]
.LBB851_83:
	s_or_b64 exec, exec, s[2:3]
	v_mov_b32_e32 v32, 0
	v_cmp_ne_u16_sdwa s[8:9], v33, v32 src0_sel:BYTE_0 src1_sel:DWORD
	v_mov_b32_e32 v53, 0
	s_and_saveexec_b64 s[2:3], s[8:9]
	s_cbranch_execz .LBB851_89
; %bb.84:
	s_movk_i32 s8, 0x80
	v_cmp_ne_u16_sdwa s[10:11], v33, s8 src0_sel:BYTE_0 src1_sel:DWORD
	v_mov_b32_e32 v53, 0xffff8000
	s_and_saveexec_b64 s[8:9], s[10:11]
	s_cbranch_execz .LBB851_88
; %bb.85:
	s_movk_i32 s10, 0x7f
	v_and_b32_e32 v30, 0x7f, v33
	v_cmp_ne_u32_e32 vcc, s10, v30
	v_mov_b32_e32 v53, 0x7f80
	s_and_saveexec_b64 s[10:11], vcc
	s_cbranch_execz .LBB851_87
; %bb.86:
	v_and_b32_e32 v53, 7, v33
	v_ffbh_u32_e32 v55, v53
	v_min_u32_e32 v57, 32, v55
	v_mov_b32_e32 v54, v33
	v_subrev_u32_e32 v55, 28, v57
	v_lshlrev_b64 v[54:55], v55, v[54:55]
	v_lshrrev_b32_e32 v56, 3, v30
	v_sub_u32_e32 v55, 29, v57
	v_and_b32_e32 v54, 7, v54
	v_cmp_gt_u32_e32 vcc, 8, v30
	v_cndmask_b32_e32 v30, v56, v55, vcc
	v_cndmask_b32_e32 v53, v53, v54, vcc
	v_lshlrev_b32_e32 v54, 24, v33
	v_bfrev_b32_e32 v55, 60
	v_lshlrev_b32_e32 v53, 20, v53
	v_and_b32_e32 v54, 0x80000000, v54
	v_lshl_add_u32 v30, v30, 23, v55
	v_or3_b32 v30, v54, v30, v53
	v_lshrrev_b32_e32 v53, 16, v30
.LBB851_87:
	s_or_b64 exec, exec, s[10:11]
.LBB851_88:
	s_or_b64 exec, exec, s[8:9]
.LBB851_89:
	s_or_b64 exec, exec, s[2:3]
	v_lshrrev_b16_e32 v30, 8, v33
	v_cmp_ne_u16_e32 vcc, 0, v30
	s_and_saveexec_b64 s[2:3], vcc
	s_cbranch_execz .LBB851_95
; %bb.90:
	s_movk_i32 s8, 0x80
	v_cmp_ne_u16_e32 vcc, s8, v30
	v_mov_b32_e32 v32, 0xffff8000
	s_and_saveexec_b64 s[8:9], vcc
	s_cbranch_execz .LBB851_94
; %bb.91:
	s_movk_i32 s10, 0x7f
	v_and_b32_e32 v54, 0x7f, v30
	v_cmp_ne_u32_e32 vcc, s10, v54
	v_mov_b32_e32 v32, 0x7f80
	s_and_saveexec_b64 s[10:11], vcc
	s_cbranch_execz .LBB851_93
; %bb.92:
	v_and_b32_e32 v32, 7, v30
	v_ffbh_u32_e32 v56, v32
	v_min_u32_e32 v58, 32, v56
	v_subrev_u32_e32 v56, 28, v58
	v_lshlrev_b64 v[56:57], v56, v[30:31]
	v_lshrrev_b32_e32 v55, 3, v54
	v_sub_u32_e32 v30, 29, v58
	v_and_b32_e32 v56, 7, v56
	v_cmp_gt_u32_e32 vcc, 8, v54
	v_cndmask_b32_e32 v30, v55, v30, vcc
	v_cndmask_b32_e32 v32, v32, v56, vcc
	v_lshlrev_b32_e32 v54, 16, v33
	v_bfrev_b32_e32 v55, 60
	v_lshlrev_b32_e32 v32, 20, v32
	v_and_b32_e32 v54, 0x80000000, v54
	v_lshl_add_u32 v30, v30, 23, v55
	v_or3_b32 v30, v54, v30, v32
	v_lshrrev_b32_e32 v32, 16, v30
.LBB851_93:
	s_or_b64 exec, exec, s[10:11]
.LBB851_94:
	s_or_b64 exec, exec, s[8:9]
.LBB851_95:
	s_or_b64 exec, exec, s[2:3]
	s_movk_i32 s2, 0xff
	v_and_b32_sdwa v56, v33, s2 dst_sel:DWORD dst_unused:UNUSED_PAD src0_sel:WORD_1 src1_sel:DWORD
	v_lshrrev_b32_e32 v30, 16, v33
	v_cmp_ne_u16_e32 vcc, 0, v56
	v_mov_b32_e32 v54, 0
	v_mov_b32_e32 v55, 0
	s_and_saveexec_b64 s[2:3], vcc
	s_cbranch_execz .LBB851_101
; %bb.96:
	s_movk_i32 s8, 0x80
	v_cmp_ne_u16_e32 vcc, s8, v56
	v_mov_b32_e32 v55, 0xffff8000
	s_and_saveexec_b64 s[8:9], vcc
	s_cbranch_execz .LBB851_100
; %bb.97:
	v_bfe_u32 v56, v33, 16, 7
	s_movk_i32 s10, 0x7f
	v_cmp_ne_u32_e32 vcc, s10, v56
	v_mov_b32_e32 v55, 0x7f80
	s_and_saveexec_b64 s[10:11], vcc
	s_cbranch_execz .LBB851_99
; %bb.98:
	v_and_b32_e32 v55, 7, v30
	v_ffbh_u32_e32 v58, v55
	v_min_u32_e32 v60, 32, v58
	v_subrev_u32_e32 v58, 28, v60
	v_lshlrev_b64 v[58:59], v58, v[30:31]
	v_lshrrev_b32_e32 v57, 3, v56
	v_sub_u32_e32 v30, 29, v60
	v_and_b32_e32 v58, 7, v58
	v_cmp_gt_u32_e32 vcc, 8, v56
	v_mov_b32_e32 v56, 24
	v_cndmask_b32_e32 v30, v57, v30, vcc
	v_cndmask_b32_e32 v55, v55, v58, vcc
	v_lshlrev_b32_sdwa v56, v56, v33 dst_sel:DWORD dst_unused:UNUSED_PAD src0_sel:DWORD src1_sel:WORD_1
	v_bfrev_b32_e32 v57, 60
	v_lshlrev_b32_e32 v55, 20, v55
	v_and_b32_e32 v56, 0x80000000, v56
	v_lshl_add_u32 v30, v30, 23, v57
	v_or3_b32 v30, v56, v30, v55
	v_lshrrev_b32_e32 v55, 16, v30
.LBB851_99:
	s_or_b64 exec, exec, s[10:11]
.LBB851_100:
	s_or_b64 exec, exec, s[8:9]
.LBB851_101:
	s_or_b64 exec, exec, s[2:3]
	s_mov_b32 s2, 0xffffff
	v_cmp_lt_u32_e32 vcc, s2, v33
	s_and_saveexec_b64 s[2:3], vcc
	s_cbranch_execz .LBB851_107
; %bb.102:
	v_lshrrev_b32_e32 v30, 24, v33
	s_movk_i32 s8, 0x80
	v_cmp_ne_u32_e32 vcc, s8, v30
	v_mov_b32_e32 v54, 0xffff8000
	s_and_saveexec_b64 s[8:9], vcc
	s_cbranch_execz .LBB851_106
; %bb.103:
	v_bfe_u32 v33, v33, 24, 7
	s_movk_i32 s10, 0x7f
	v_cmp_ne_u32_e32 vcc, s10, v33
	v_mov_b32_e32 v54, 0x7f80
	s_and_saveexec_b64 s[10:11], vcc
	s_cbranch_execz .LBB851_105
; %bb.104:
	v_and_b32_e32 v54, 7, v30
	v_ffbh_u32_e32 v56, v54
	v_min_u32_e32 v59, 32, v56
	v_subrev_u32_e32 v56, 28, v59
	v_lshlrev_b64 v[56:57], v56, v[30:31]
	v_lshrrev_b32_e32 v58, 3, v33
	v_sub_u32_e32 v57, 29, v59
	v_and_b32_e32 v56, 7, v56
	v_cmp_gt_u32_e32 vcc, 8, v33
	v_cndmask_b32_e32 v33, v58, v57, vcc
	v_cndmask_b32_e32 v54, v54, v56, vcc
	v_lshlrev_b32_e32 v30, 24, v30
	v_bfrev_b32_e32 v56, 60
	v_lshlrev_b32_e32 v54, 20, v54
	v_and_b32_e32 v30, 0x80000000, v30
	v_lshl_add_u32 v33, v33, 23, v56
	v_or3_b32 v30, v30, v33, v54
	v_lshrrev_b32_e32 v54, 16, v30
.LBB851_105:
	s_or_b64 exec, exec, s[10:11]
.LBB851_106:
	s_or_b64 exec, exec, s[8:9]
.LBB851_107:
	s_or_b64 exec, exec, s[2:3]
	s_mov_b32 s2, 0x5040100
	v_perm_b32 v51, v51, v52, s2
	v_perm_b32 v50, v31, v50, s2
	;; [unrolled: 1-line block ×4, first 2 shown]
	v_mfma_f32_16x16x16bf16_1k v[56:59], v[50:51], v[18:19], v[42:45]
	s_nop 6
	v_mov_b32_e32 v43, 0
	s_waitcnt vmcnt(6)
	v_cmp_ne_u16_sdwa s[8:9], v38, v43 src0_sel:BYTE_0 src1_sel:DWORD
	v_mfma_f32_16x16x16bf16_1k v[30:33], v[30:31], v[20:21], v[56:59]
	v_mov_b32_e32 v44, 0
	s_and_saveexec_b64 s[2:3], s[8:9]
	s_cbranch_execz .LBB851_113
; %bb.108:
	s_movk_i32 s8, 0x80
	v_cmp_ne_u16_sdwa s[10:11], v38, s8 src0_sel:BYTE_0 src1_sel:DWORD
	v_mov_b32_e32 v44, 0xffff8000
	s_and_saveexec_b64 s[8:9], s[10:11]
	s_cbranch_execz .LBB851_112
; %bb.109:
	s_movk_i32 s10, 0x7f
	v_and_b32_e32 v42, 0x7f, v38
	v_cmp_ne_u32_e32 vcc, s10, v42
	v_mov_b32_e32 v44, 0x7f80
	s_and_saveexec_b64 s[10:11], vcc
	s_cbranch_execz .LBB851_111
; %bb.110:
	v_and_b32_e32 v50, 7, v38
	v_ffbh_u32_e32 v44, v50
	v_min_u32_e32 v52, 32, v44
	v_subrev_u32_e32 v44, 28, v52
	v_lshlrev_b64 v[44:45], v44, v[38:39]
	v_lshrrev_b32_e32 v51, 3, v42
	v_sub_u32_e32 v45, 29, v52
	v_and_b32_e32 v44, 7, v44
	v_cmp_gt_u32_e32 vcc, 8, v42
	v_cndmask_b32_e32 v42, v51, v45, vcc
	v_cndmask_b32_e32 v44, v50, v44, vcc
	v_lshlrev_b32_e32 v45, 24, v38
	v_bfrev_b32_e32 v50, 60
	v_lshlrev_b32_e32 v44, 20, v44
	v_and_b32_e32 v45, 0x80000000, v45
	v_lshl_add_u32 v42, v42, 23, v50
	v_or3_b32 v42, v45, v42, v44
	v_lshrrev_b32_e32 v44, 16, v42
.LBB851_111:
	s_or_b64 exec, exec, s[10:11]
.LBB851_112:
	s_or_b64 exec, exec, s[8:9]
.LBB851_113:
	s_or_b64 exec, exec, s[2:3]
	v_lshrrev_b16_e32 v42, 8, v38
	v_cmp_ne_u16_e32 vcc, 0, v42
	s_and_saveexec_b64 s[2:3], vcc
	s_cbranch_execz .LBB851_119
; %bb.114:
	s_movk_i32 s8, 0x80
	v_cmp_ne_u16_e32 vcc, s8, v42
	v_mov_b32_e32 v43, 0xffff8000
	s_and_saveexec_b64 s[8:9], vcc
	s_cbranch_execz .LBB851_118
; %bb.115:
	s_movk_i32 s10, 0x7f
	v_and_b32_e32 v45, 0x7f, v42
	v_cmp_ne_u32_e32 vcc, s10, v45
	v_mov_b32_e32 v43, 0x7f80
	s_and_saveexec_b64 s[10:11], vcc
	s_cbranch_execz .LBB851_117
; %bb.116:
	v_and_b32_e32 v50, 7, v42
	v_ffbh_u32_e32 v43, v50
	v_min_u32_e32 v52, 32, v43
	v_subrev_u32_e32 v43, 28, v52
	v_lshlrev_b64 v[42:43], v43, v[42:43]
	v_lshrrev_b32_e32 v51, 3, v45
	v_sub_u32_e32 v43, 29, v52
	v_and_b32_e32 v42, 7, v42
	v_cmp_gt_u32_e32 vcc, 8, v45
	v_cndmask_b32_e32 v43, v51, v43, vcc
	v_cndmask_b32_e32 v42, v50, v42, vcc
	v_lshlrev_b32_e32 v45, 16, v38
	v_bfrev_b32_e32 v50, 60
	v_lshlrev_b32_e32 v42, 20, v42
	v_and_b32_e32 v45, 0x80000000, v45
	v_lshl_add_u32 v43, v43, 23, v50
	v_or3_b32 v42, v45, v43, v42
	v_lshrrev_b32_e32 v43, 16, v42
.LBB851_117:
	s_or_b64 exec, exec, s[10:11]
.LBB851_118:
	s_or_b64 exec, exec, s[8:9]
.LBB851_119:
	s_or_b64 exec, exec, s[2:3]
	s_movk_i32 s2, 0xff
	v_and_b32_sdwa v51, v38, s2 dst_sel:DWORD dst_unused:UNUSED_PAD src0_sel:WORD_1 src1_sel:DWORD
	v_lshrrev_b32_e32 v42, 16, v38
	v_cmp_ne_u16_e32 vcc, 0, v51
	v_mov_b32_e32 v45, 0
	v_mov_b32_e32 v50, 0
	s_and_saveexec_b64 s[2:3], vcc
	s_cbranch_execz .LBB851_125
; %bb.120:
	s_movk_i32 s8, 0x80
	v_cmp_ne_u16_e32 vcc, s8, v51
	v_mov_b32_e32 v50, 0xffff8000
	s_and_saveexec_b64 s[8:9], vcc
	s_cbranch_execz .LBB851_124
; %bb.121:
	v_bfe_u32 v51, v38, 16, 7
	s_movk_i32 s10, 0x7f
	v_cmp_ne_u32_e32 vcc, s10, v51
	v_mov_b32_e32 v50, 0x7f80
	s_and_saveexec_b64 s[10:11], vcc
	s_cbranch_execz .LBB851_123
; %bb.122:
	v_and_b32_e32 v50, 7, v42
	v_ffbh_u32_e32 v52, v50
	v_min_u32_e32 v55, 32, v52
	v_subrev_u32_e32 v52, 28, v55
	v_lshlrev_b64 v[52:53], v52, v[42:43]
	v_lshrrev_b32_e32 v54, 3, v51
	v_sub_u32_e32 v42, 29, v55
	v_and_b32_e32 v52, 7, v52
	v_cmp_gt_u32_e32 vcc, 8, v51
	v_mov_b32_e32 v51, 24
	v_cndmask_b32_e32 v42, v54, v42, vcc
	v_cndmask_b32_e32 v50, v50, v52, vcc
	v_lshlrev_b32_sdwa v51, v51, v38 dst_sel:DWORD dst_unused:UNUSED_PAD src0_sel:DWORD src1_sel:WORD_1
	v_bfrev_b32_e32 v52, 60
	v_lshlrev_b32_e32 v50, 20, v50
	v_and_b32_e32 v51, 0x80000000, v51
	v_lshl_add_u32 v42, v42, 23, v52
	v_or3_b32 v42, v51, v42, v50
	v_lshrrev_b32_e32 v50, 16, v42
.LBB851_123:
	s_or_b64 exec, exec, s[10:11]
.LBB851_124:
	s_or_b64 exec, exec, s[8:9]
.LBB851_125:
	s_or_b64 exec, exec, s[2:3]
	s_mov_b32 s2, 0xffffff
	v_cmp_lt_u32_e32 vcc, s2, v38
	s_and_saveexec_b64 s[2:3], vcc
	s_cbranch_execz .LBB851_131
; %bb.126:
	v_lshrrev_b32_e32 v42, 24, v38
	s_movk_i32 s8, 0x80
	v_cmp_ne_u32_e32 vcc, s8, v42
	v_mov_b32_e32 v45, 0xffff8000
	s_and_saveexec_b64 s[8:9], vcc
	s_cbranch_execz .LBB851_130
; %bb.127:
	v_bfe_u32 v38, v38, 24, 7
	s_movk_i32 s10, 0x7f
	v_cmp_ne_u32_e32 vcc, s10, v38
	v_mov_b32_e32 v45, 0x7f80
	s_and_saveexec_b64 s[10:11], vcc
	s_cbranch_execz .LBB851_129
; %bb.128:
	v_and_b32_e32 v45, 7, v42
	v_ffbh_u32_e32 v52, v45
	v_min_u32_e32 v54, 32, v52
	v_subrev_u32_e32 v52, 28, v54
	v_lshlrev_b64 v[52:53], v52, v[42:43]
	v_lshrrev_b32_e32 v51, 3, v38
	v_sub_u32_e32 v53, 29, v54
	v_and_b32_e32 v52, 7, v52
	v_cmp_gt_u32_e32 vcc, 8, v38
	v_cndmask_b32_e32 v38, v51, v53, vcc
	v_cndmask_b32_e32 v45, v45, v52, vcc
	v_lshlrev_b32_e32 v42, 24, v42
	v_bfrev_b32_e32 v51, 60
	v_lshlrev_b32_e32 v45, 20, v45
	v_and_b32_e32 v42, 0x80000000, v42
	v_lshl_add_u32 v38, v38, 23, v51
	v_or3_b32 v38, v42, v38, v45
	v_lshrrev_b32_e32 v45, 16, v38
.LBB851_129:
	s_or_b64 exec, exec, s[10:11]
.LBB851_130:
	s_or_b64 exec, exec, s[8:9]
.LBB851_131:
	s_or_b64 exec, exec, s[2:3]
	v_mov_b32_e32 v42, 0
	v_cmp_ne_u16_sdwa s[8:9], v39, v42 src0_sel:BYTE_0 src1_sel:DWORD
	v_mov_b32_e32 v51, 0
	s_and_saveexec_b64 s[2:3], s[8:9]
	s_cbranch_execz .LBB851_137
; %bb.132:
	s_movk_i32 s8, 0x80
	v_cmp_ne_u16_sdwa s[10:11], v39, s8 src0_sel:BYTE_0 src1_sel:DWORD
	v_mov_b32_e32 v51, 0xffff8000
	s_and_saveexec_b64 s[8:9], s[10:11]
	s_cbranch_execz .LBB851_136
; %bb.133:
	s_movk_i32 s10, 0x7f
	v_and_b32_e32 v38, 0x7f, v39
	v_cmp_ne_u32_e32 vcc, s10, v38
	v_mov_b32_e32 v51, 0x7f80
	s_and_saveexec_b64 s[10:11], vcc
	s_cbranch_execz .LBB851_135
; %bb.134:
	v_and_b32_e32 v51, 7, v39
	v_ffbh_u32_e32 v53, v51
	v_min_u32_e32 v55, 32, v53
	v_mov_b32_e32 v52, v39
	v_subrev_u32_e32 v53, 28, v55
	v_lshlrev_b64 v[52:53], v53, v[52:53]
	v_lshrrev_b32_e32 v54, 3, v38
	v_sub_u32_e32 v53, 29, v55
	v_and_b32_e32 v52, 7, v52
	v_cmp_gt_u32_e32 vcc, 8, v38
	v_cndmask_b32_e32 v38, v54, v53, vcc
	v_cndmask_b32_e32 v51, v51, v52, vcc
	v_lshlrev_b32_e32 v52, 24, v39
	v_bfrev_b32_e32 v53, 60
	v_lshlrev_b32_e32 v51, 20, v51
	v_and_b32_e32 v52, 0x80000000, v52
	v_lshl_add_u32 v38, v38, 23, v53
	v_or3_b32 v38, v52, v38, v51
	v_lshrrev_b32_e32 v51, 16, v38
.LBB851_135:
	s_or_b64 exec, exec, s[10:11]
.LBB851_136:
	s_or_b64 exec, exec, s[8:9]
.LBB851_137:
	s_or_b64 exec, exec, s[2:3]
	v_lshrrev_b16_e32 v38, 8, v39
	v_cmp_ne_u16_e32 vcc, 0, v38
	s_and_saveexec_b64 s[2:3], vcc
	s_cbranch_execz .LBB851_143
; %bb.138:
	s_movk_i32 s8, 0x80
	v_cmp_ne_u16_e32 vcc, s8, v38
	v_mov_b32_e32 v42, 0xffff8000
	s_and_saveexec_b64 s[8:9], vcc
	s_cbranch_execz .LBB851_142
; %bb.139:
	s_movk_i32 s10, 0x7f
	v_and_b32_e32 v52, 0x7f, v38
	v_cmp_ne_u32_e32 vcc, s10, v52
	v_mov_b32_e32 v42, 0x7f80
	s_and_saveexec_b64 s[10:11], vcc
	s_cbranch_execz .LBB851_141
; %bb.140:
	v_and_b32_e32 v42, 7, v38
	v_ffbh_u32_e32 v54, v42
	v_min_u32_e32 v56, 32, v54
	v_subrev_u32_e32 v54, 28, v56
	v_lshlrev_b64 v[54:55], v54, v[38:39]
	v_lshrrev_b32_e32 v53, 3, v52
	v_sub_u32_e32 v38, 29, v56
	v_and_b32_e32 v54, 7, v54
	v_cmp_gt_u32_e32 vcc, 8, v52
	v_cndmask_b32_e32 v38, v53, v38, vcc
	v_cndmask_b32_e32 v42, v42, v54, vcc
	v_lshlrev_b32_e32 v52, 16, v39
	v_bfrev_b32_e32 v53, 60
	v_lshlrev_b32_e32 v42, 20, v42
	v_and_b32_e32 v52, 0x80000000, v52
	v_lshl_add_u32 v38, v38, 23, v53
	v_or3_b32 v38, v52, v38, v42
	v_lshrrev_b32_e32 v42, 16, v38
.LBB851_141:
	s_or_b64 exec, exec, s[10:11]
.LBB851_142:
	s_or_b64 exec, exec, s[8:9]
.LBB851_143:
	s_or_b64 exec, exec, s[2:3]
	s_movk_i32 s2, 0xff
	v_and_b32_sdwa v54, v39, s2 dst_sel:DWORD dst_unused:UNUSED_PAD src0_sel:WORD_1 src1_sel:DWORD
	v_lshrrev_b32_e32 v38, 16, v39
	v_cmp_ne_u16_e32 vcc, 0, v54
	v_mov_b32_e32 v52, 0
	v_mov_b32_e32 v53, 0
	s_and_saveexec_b64 s[2:3], vcc
	s_cbranch_execz .LBB851_149
; %bb.144:
	s_movk_i32 s8, 0x80
	v_cmp_ne_u16_e32 vcc, s8, v54
	v_mov_b32_e32 v53, 0xffff8000
	s_and_saveexec_b64 s[8:9], vcc
	s_cbranch_execz .LBB851_148
; %bb.145:
	v_bfe_u32 v54, v39, 16, 7
	s_movk_i32 s10, 0x7f
	v_cmp_ne_u32_e32 vcc, s10, v54
	v_mov_b32_e32 v53, 0x7f80
	s_and_saveexec_b64 s[10:11], vcc
	s_cbranch_execz .LBB851_147
; %bb.146:
	v_and_b32_e32 v53, 7, v38
	v_ffbh_u32_e32 v56, v53
	v_min_u32_e32 v58, 32, v56
	v_subrev_u32_e32 v56, 28, v58
	v_lshlrev_b64 v[56:57], v56, v[38:39]
	v_lshrrev_b32_e32 v55, 3, v54
	v_sub_u32_e32 v38, 29, v58
	v_and_b32_e32 v56, 7, v56
	v_cmp_gt_u32_e32 vcc, 8, v54
	v_mov_b32_e32 v54, 24
	v_cndmask_b32_e32 v38, v55, v38, vcc
	v_cndmask_b32_e32 v53, v53, v56, vcc
	v_lshlrev_b32_sdwa v54, v54, v39 dst_sel:DWORD dst_unused:UNUSED_PAD src0_sel:DWORD src1_sel:WORD_1
	v_bfrev_b32_e32 v55, 60
	v_lshlrev_b32_e32 v53, 20, v53
	v_and_b32_e32 v54, 0x80000000, v54
	v_lshl_add_u32 v38, v38, 23, v55
	v_or3_b32 v38, v54, v38, v53
	v_lshrrev_b32_e32 v53, 16, v38
.LBB851_147:
	s_or_b64 exec, exec, s[10:11]
.LBB851_148:
	s_or_b64 exec, exec, s[8:9]
.LBB851_149:
	s_or_b64 exec, exec, s[2:3]
	s_mov_b32 s2, 0xffffff
	v_cmp_lt_u32_e32 vcc, s2, v39
	s_and_saveexec_b64 s[2:3], vcc
	s_cbranch_execz .LBB851_155
; %bb.150:
	v_lshrrev_b32_e32 v38, 24, v39
	s_movk_i32 s8, 0x80
	v_cmp_ne_u32_e32 vcc, s8, v38
	v_mov_b32_e32 v52, 0xffff8000
	s_and_saveexec_b64 s[8:9], vcc
	s_cbranch_execz .LBB851_154
; %bb.151:
	v_bfe_u32 v39, v39, 24, 7
	s_movk_i32 s10, 0x7f
	v_cmp_ne_u32_e32 vcc, s10, v39
	v_mov_b32_e32 v52, 0x7f80
	s_and_saveexec_b64 s[10:11], vcc
	s_cbranch_execz .LBB851_153
; %bb.152:
	v_and_b32_e32 v52, 7, v38
	v_ffbh_u32_e32 v54, v52
	v_min_u32_e32 v57, 32, v54
	v_subrev_u32_e32 v54, 28, v57
	v_lshlrev_b64 v[54:55], v54, v[38:39]
	v_lshrrev_b32_e32 v56, 3, v39
	v_sub_u32_e32 v55, 29, v57
	v_and_b32_e32 v54, 7, v54
	v_cmp_gt_u32_e32 vcc, 8, v39
	v_cndmask_b32_e32 v39, v56, v55, vcc
	v_cndmask_b32_e32 v52, v52, v54, vcc
	v_lshlrev_b32_e32 v38, 24, v38
	v_bfrev_b32_e32 v54, 60
	v_lshlrev_b32_e32 v52, 20, v52
	v_and_b32_e32 v38, 0x80000000, v38
	v_lshl_add_u32 v39, v39, 23, v54
	v_or3_b32 v38, v38, v39, v52
	v_lshrrev_b32_e32 v52, 16, v38
.LBB851_153:
	s_or_b64 exec, exec, s[10:11]
.LBB851_154:
	s_or_b64 exec, exec, s[8:9]
.LBB851_155:
	s_or_b64 exec, exec, s[2:3]
	s_mov_b32 s2, 0x5040100
	v_perm_b32 v39, v45, v50, s2
	v_perm_b32 v38, v43, v44, s2
	;; [unrolled: 1-line block ×4, first 2 shown]
	v_mov_b32_e32 v50, 0
	v_mfma_f32_16x16x16bf16_1k v[54:57], v[38:39], v[26:27], 0
	v_mov_b32_e32 v39, 0
	v_cmp_ne_u16_sdwa s[8:9], v40, v39 src0_sel:BYTE_0 src1_sel:DWORD
	v_mfma_f32_16x16x16bf16_1k v[42:45], v[42:43], v[28:29], v[54:57]
	s_and_saveexec_b64 s[2:3], s[8:9]
	s_cbranch_execz .LBB851_161
; %bb.156:
	s_movk_i32 s8, 0x80
	v_cmp_ne_u16_sdwa s[10:11], v40, s8 src0_sel:BYTE_0 src1_sel:DWORD
	v_mov_b32_e32 v50, 0xffff8000
	s_and_saveexec_b64 s[8:9], s[10:11]
	s_cbranch_execz .LBB851_160
; %bb.157:
	s_movk_i32 s10, 0x7f
	v_and_b32_e32 v38, 0x7f, v40
	v_cmp_ne_u32_e32 vcc, s10, v38
	v_mov_b32_e32 v50, 0x7f80
	s_and_saveexec_b64 s[10:11], vcc
	s_cbranch_execz .LBB851_159
; %bb.158:
	v_and_b32_e32 v52, 7, v40
	v_ffbh_u32_e32 v50, v52
	v_min_u32_e32 v54, 32, v50
	v_subrev_u32_e32 v50, 28, v54
	v_lshlrev_b64 v[50:51], v50, v[40:41]
	v_lshrrev_b32_e32 v53, 3, v38
	v_sub_u32_e32 v51, 29, v54
	v_and_b32_e32 v50, 7, v50
	v_cmp_gt_u32_e32 vcc, 8, v38
	v_cndmask_b32_e32 v38, v53, v51, vcc
	v_cndmask_b32_e32 v50, v52, v50, vcc
	v_lshlrev_b32_e32 v51, 24, v40
	v_bfrev_b32_e32 v52, 60
	v_lshlrev_b32_e32 v50, 20, v50
	v_and_b32_e32 v51, 0x80000000, v51
	v_lshl_add_u32 v38, v38, 23, v52
	v_or3_b32 v38, v51, v38, v50
	v_lshrrev_b32_e32 v50, 16, v38
.LBB851_159:
	s_or_b64 exec, exec, s[10:11]
.LBB851_160:
	s_or_b64 exec, exec, s[8:9]
.LBB851_161:
	s_or_b64 exec, exec, s[2:3]
	v_lshrrev_b16_e32 v38, 8, v40
	v_cmp_ne_u16_e32 vcc, 0, v38
	s_and_saveexec_b64 s[2:3], vcc
	s_cbranch_execz .LBB851_167
; %bb.162:
	s_movk_i32 s8, 0x80
	v_cmp_ne_u16_e32 vcc, s8, v38
	v_mov_b32_e32 v39, 0xffff8000
	s_and_saveexec_b64 s[8:9], vcc
	s_cbranch_execz .LBB851_166
; %bb.163:
	s_movk_i32 s10, 0x7f
	v_and_b32_e32 v51, 0x7f, v38
	v_cmp_ne_u32_e32 vcc, s10, v51
	v_mov_b32_e32 v39, 0x7f80
	s_and_saveexec_b64 s[10:11], vcc
	s_cbranch_execz .LBB851_165
; %bb.164:
	v_and_b32_e32 v52, 7, v38
	v_ffbh_u32_e32 v39, v52
	v_min_u32_e32 v54, 32, v39
	v_subrev_u32_e32 v39, 28, v54
	v_lshlrev_b64 v[38:39], v39, v[38:39]
	v_lshrrev_b32_e32 v53, 3, v51
	v_sub_u32_e32 v39, 29, v54
	v_and_b32_e32 v38, 7, v38
	v_cmp_gt_u32_e32 vcc, 8, v51
	v_cndmask_b32_e32 v39, v53, v39, vcc
	v_cndmask_b32_e32 v38, v52, v38, vcc
	v_lshlrev_b32_e32 v51, 16, v40
	v_bfrev_b32_e32 v52, 60
	v_lshlrev_b32_e32 v38, 20, v38
	v_and_b32_e32 v51, 0x80000000, v51
	v_lshl_add_u32 v39, v39, 23, v52
	v_or3_b32 v38, v51, v39, v38
	v_lshrrev_b32_e32 v39, 16, v38
.LBB851_165:
	s_or_b64 exec, exec, s[10:11]
.LBB851_166:
	s_or_b64 exec, exec, s[8:9]
.LBB851_167:
	s_or_b64 exec, exec, s[2:3]
	s_movk_i32 s2, 0xff
	v_and_b32_sdwa v53, v40, s2 dst_sel:DWORD dst_unused:UNUSED_PAD src0_sel:WORD_1 src1_sel:DWORD
	v_lshrrev_b32_e32 v38, 16, v40
	v_cmp_ne_u16_e32 vcc, 0, v53
	v_mov_b32_e32 v51, 0
	v_mov_b32_e32 v52, 0
	s_and_saveexec_b64 s[2:3], vcc
	s_cbranch_execz .LBB851_173
; %bb.168:
	s_movk_i32 s8, 0x80
	v_cmp_ne_u16_e32 vcc, s8, v53
	v_mov_b32_e32 v52, 0xffff8000
	s_and_saveexec_b64 s[8:9], vcc
	s_cbranch_execz .LBB851_172
; %bb.169:
	v_bfe_u32 v53, v40, 16, 7
	s_movk_i32 s10, 0x7f
	v_cmp_ne_u32_e32 vcc, s10, v53
	v_mov_b32_e32 v52, 0x7f80
	s_and_saveexec_b64 s[10:11], vcc
	s_cbranch_execz .LBB851_171
; %bb.170:
	v_and_b32_e32 v52, 7, v38
	v_ffbh_u32_e32 v54, v52
	v_min_u32_e32 v57, 32, v54
	v_subrev_u32_e32 v54, 28, v57
	v_lshlrev_b64 v[54:55], v54, v[38:39]
	v_lshrrev_b32_e32 v56, 3, v53
	v_sub_u32_e32 v38, 29, v57
	v_and_b32_e32 v54, 7, v54
	v_cmp_gt_u32_e32 vcc, 8, v53
	v_mov_b32_e32 v53, 24
	v_cndmask_b32_e32 v38, v56, v38, vcc
	v_cndmask_b32_e32 v52, v52, v54, vcc
	v_lshlrev_b32_sdwa v53, v53, v40 dst_sel:DWORD dst_unused:UNUSED_PAD src0_sel:DWORD src1_sel:WORD_1
	v_bfrev_b32_e32 v54, 60
	v_lshlrev_b32_e32 v52, 20, v52
	v_and_b32_e32 v53, 0x80000000, v53
	v_lshl_add_u32 v38, v38, 23, v54
	v_or3_b32 v38, v53, v38, v52
	v_lshrrev_b32_e32 v52, 16, v38
.LBB851_171:
	s_or_b64 exec, exec, s[10:11]
.LBB851_172:
	s_or_b64 exec, exec, s[8:9]
.LBB851_173:
	s_or_b64 exec, exec, s[2:3]
	s_mov_b32 s2, 0xffffff
	v_cmp_lt_u32_e32 vcc, s2, v40
	s_and_saveexec_b64 s[2:3], vcc
	s_cbranch_execz .LBB851_179
; %bb.174:
	v_lshrrev_b32_e32 v38, 24, v40
	s_movk_i32 s8, 0x80
	v_cmp_ne_u32_e32 vcc, s8, v38
	v_mov_b32_e32 v51, 0xffff8000
	s_and_saveexec_b64 s[8:9], vcc
	s_cbranch_execz .LBB851_178
; %bb.175:
	v_bfe_u32 v40, v40, 24, 7
	s_movk_i32 s10, 0x7f
	v_cmp_ne_u32_e32 vcc, s10, v40
	v_mov_b32_e32 v51, 0x7f80
	s_and_saveexec_b64 s[10:11], vcc
	s_cbranch_execz .LBB851_177
; %bb.176:
	v_and_b32_e32 v51, 7, v38
	v_ffbh_u32_e32 v54, v51
	v_min_u32_e32 v56, 32, v54
	v_subrev_u32_e32 v54, 28, v56
	v_lshlrev_b64 v[54:55], v54, v[38:39]
	v_lshrrev_b32_e32 v53, 3, v40
	v_sub_u32_e32 v55, 29, v56
	v_and_b32_e32 v54, 7, v54
	v_cmp_gt_u32_e32 vcc, 8, v40
	v_cndmask_b32_e32 v40, v53, v55, vcc
	v_cndmask_b32_e32 v51, v51, v54, vcc
	v_lshlrev_b32_e32 v38, 24, v38
	v_bfrev_b32_e32 v53, 60
	v_lshlrev_b32_e32 v51, 20, v51
	v_and_b32_e32 v38, 0x80000000, v38
	v_lshl_add_u32 v40, v40, 23, v53
	v_or3_b32 v38, v38, v40, v51
	v_lshrrev_b32_e32 v51, 16, v38
.LBB851_177:
	s_or_b64 exec, exec, s[10:11]
.LBB851_178:
	s_or_b64 exec, exec, s[8:9]
.LBB851_179:
	s_or_b64 exec, exec, s[2:3]
	v_mov_b32_e32 v40, 0
	v_cmp_ne_u16_sdwa s[8:9], v41, v40 src0_sel:BYTE_0 src1_sel:DWORD
	v_mov_b32_e32 v53, 0
	s_and_saveexec_b64 s[2:3], s[8:9]
	s_cbranch_execz .LBB851_185
; %bb.180:
	s_movk_i32 s8, 0x80
	v_cmp_ne_u16_sdwa s[10:11], v41, s8 src0_sel:BYTE_0 src1_sel:DWORD
	v_mov_b32_e32 v53, 0xffff8000
	s_and_saveexec_b64 s[8:9], s[10:11]
	s_cbranch_execz .LBB851_184
; %bb.181:
	s_movk_i32 s10, 0x7f
	v_and_b32_e32 v38, 0x7f, v41
	v_cmp_ne_u32_e32 vcc, s10, v38
	v_mov_b32_e32 v53, 0x7f80
	s_and_saveexec_b64 s[10:11], vcc
	s_cbranch_execz .LBB851_183
; %bb.182:
	v_and_b32_e32 v53, 7, v41
	v_ffbh_u32_e32 v55, v53
	v_min_u32_e32 v57, 32, v55
	v_mov_b32_e32 v54, v41
	v_subrev_u32_e32 v55, 28, v57
	v_lshlrev_b64 v[54:55], v55, v[54:55]
	v_lshrrev_b32_e32 v56, 3, v38
	v_sub_u32_e32 v55, 29, v57
	v_and_b32_e32 v54, 7, v54
	v_cmp_gt_u32_e32 vcc, 8, v38
	v_cndmask_b32_e32 v38, v56, v55, vcc
	v_cndmask_b32_e32 v53, v53, v54, vcc
	v_lshlrev_b32_e32 v54, 24, v41
	v_bfrev_b32_e32 v55, 60
	v_lshlrev_b32_e32 v53, 20, v53
	v_and_b32_e32 v54, 0x80000000, v54
	v_lshl_add_u32 v38, v38, 23, v55
	v_or3_b32 v38, v54, v38, v53
	v_lshrrev_b32_e32 v53, 16, v38
.LBB851_183:
	s_or_b64 exec, exec, s[10:11]
.LBB851_184:
	s_or_b64 exec, exec, s[8:9]
.LBB851_185:
	s_or_b64 exec, exec, s[2:3]
	v_lshrrev_b16_e32 v38, 8, v41
	v_cmp_ne_u16_e32 vcc, 0, v38
	s_and_saveexec_b64 s[2:3], vcc
	s_cbranch_execz .LBB851_191
; %bb.186:
	s_movk_i32 s8, 0x80
	v_cmp_ne_u16_e32 vcc, s8, v38
	v_mov_b32_e32 v40, 0xffff8000
	s_and_saveexec_b64 s[8:9], vcc
	s_cbranch_execz .LBB851_190
; %bb.187:
	s_movk_i32 s10, 0x7f
	v_and_b32_e32 v54, 0x7f, v38
	v_cmp_ne_u32_e32 vcc, s10, v54
	v_mov_b32_e32 v40, 0x7f80
	s_and_saveexec_b64 s[10:11], vcc
	s_cbranch_execz .LBB851_189
; %bb.188:
	v_and_b32_e32 v40, 7, v38
	v_ffbh_u32_e32 v56, v40
	v_min_u32_e32 v58, 32, v56
	v_subrev_u32_e32 v56, 28, v58
	v_lshlrev_b64 v[56:57], v56, v[38:39]
	v_lshrrev_b32_e32 v55, 3, v54
	v_sub_u32_e32 v38, 29, v58
	v_and_b32_e32 v56, 7, v56
	v_cmp_gt_u32_e32 vcc, 8, v54
	v_cndmask_b32_e32 v38, v55, v38, vcc
	v_cndmask_b32_e32 v40, v40, v56, vcc
	v_lshlrev_b32_e32 v54, 16, v41
	v_bfrev_b32_e32 v55, 60
	v_lshlrev_b32_e32 v40, 20, v40
	v_and_b32_e32 v54, 0x80000000, v54
	v_lshl_add_u32 v38, v38, 23, v55
	v_or3_b32 v38, v54, v38, v40
	v_lshrrev_b32_e32 v40, 16, v38
.LBB851_189:
	s_or_b64 exec, exec, s[10:11]
.LBB851_190:
	s_or_b64 exec, exec, s[8:9]
.LBB851_191:
	s_or_b64 exec, exec, s[2:3]
	s_movk_i32 s2, 0xff
	v_and_b32_sdwa v56, v41, s2 dst_sel:DWORD dst_unused:UNUSED_PAD src0_sel:WORD_1 src1_sel:DWORD
	v_lshrrev_b32_e32 v38, 16, v41
	v_cmp_ne_u16_e32 vcc, 0, v56
	v_mov_b32_e32 v54, 0
	v_mov_b32_e32 v55, 0
	s_and_saveexec_b64 s[2:3], vcc
	s_cbranch_execz .LBB851_197
; %bb.192:
	s_movk_i32 s8, 0x80
	v_cmp_ne_u16_e32 vcc, s8, v56
	v_mov_b32_e32 v55, 0xffff8000
	s_and_saveexec_b64 s[8:9], vcc
	s_cbranch_execz .LBB851_196
; %bb.193:
	v_bfe_u32 v56, v41, 16, 7
	s_movk_i32 s10, 0x7f
	v_cmp_ne_u32_e32 vcc, s10, v56
	v_mov_b32_e32 v55, 0x7f80
	s_and_saveexec_b64 s[10:11], vcc
	s_cbranch_execz .LBB851_195
; %bb.194:
	v_and_b32_e32 v55, 7, v38
	v_ffbh_u32_e32 v58, v55
	v_min_u32_e32 v60, 32, v58
	v_subrev_u32_e32 v58, 28, v60
	v_lshlrev_b64 v[58:59], v58, v[38:39]
	v_lshrrev_b32_e32 v57, 3, v56
	v_sub_u32_e32 v38, 29, v60
	v_and_b32_e32 v58, 7, v58
	v_cmp_gt_u32_e32 vcc, 8, v56
	v_mov_b32_e32 v56, 24
	v_cndmask_b32_e32 v38, v57, v38, vcc
	v_cndmask_b32_e32 v55, v55, v58, vcc
	v_lshlrev_b32_sdwa v56, v56, v41 dst_sel:DWORD dst_unused:UNUSED_PAD src0_sel:DWORD src1_sel:WORD_1
	v_bfrev_b32_e32 v57, 60
	v_lshlrev_b32_e32 v55, 20, v55
	v_and_b32_e32 v56, 0x80000000, v56
	v_lshl_add_u32 v38, v38, 23, v57
	v_or3_b32 v38, v56, v38, v55
	v_lshrrev_b32_e32 v55, 16, v38
.LBB851_195:
	s_or_b64 exec, exec, s[10:11]
.LBB851_196:
	s_or_b64 exec, exec, s[8:9]
.LBB851_197:
	s_or_b64 exec, exec, s[2:3]
	s_mov_b32 s2, 0xffffff
	v_cmp_lt_u32_e32 vcc, s2, v41
	s_and_saveexec_b64 s[2:3], vcc
	s_cbranch_execz .LBB851_203
; %bb.198:
	v_lshrrev_b32_e32 v38, 24, v41
	s_movk_i32 s8, 0x80
	v_cmp_ne_u32_e32 vcc, s8, v38
	v_mov_b32_e32 v54, 0xffff8000
	s_and_saveexec_b64 s[8:9], vcc
	s_cbranch_execz .LBB851_202
; %bb.199:
	v_bfe_u32 v41, v41, 24, 7
	s_movk_i32 s10, 0x7f
	v_cmp_ne_u32_e32 vcc, s10, v41
	v_mov_b32_e32 v54, 0x7f80
	s_and_saveexec_b64 s[10:11], vcc
	s_cbranch_execz .LBB851_201
; %bb.200:
	v_and_b32_e32 v54, 7, v38
	v_ffbh_u32_e32 v56, v54
	v_min_u32_e32 v59, 32, v56
	v_subrev_u32_e32 v56, 28, v59
	v_lshlrev_b64 v[56:57], v56, v[38:39]
	v_lshrrev_b32_e32 v58, 3, v41
	v_sub_u32_e32 v57, 29, v59
	v_and_b32_e32 v56, 7, v56
	v_cmp_gt_u32_e32 vcc, 8, v41
	v_cndmask_b32_e32 v41, v58, v57, vcc
	v_cndmask_b32_e32 v54, v54, v56, vcc
	v_lshlrev_b32_e32 v38, 24, v38
	v_bfrev_b32_e32 v56, 60
	v_lshlrev_b32_e32 v54, 20, v54
	v_and_b32_e32 v38, 0x80000000, v38
	v_lshl_add_u32 v41, v41, 23, v56
	v_or3_b32 v38, v38, v41, v54
	v_lshrrev_b32_e32 v54, 16, v38
.LBB851_201:
	s_or_b64 exec, exec, s[10:11]
.LBB851_202:
	s_or_b64 exec, exec, s[8:9]
.LBB851_203:
	s_or_b64 exec, exec, s[2:3]
	s_mov_b32 s2, 0x5040100
	v_perm_b32 v51, v51, v52, s2
	v_perm_b32 v50, v39, v50, s2
	;; [unrolled: 1-line block ×4, first 2 shown]
	v_mfma_f32_16x16x16bf16_1k v[56:59], v[50:51], v[18:19], v[42:45]
	s_nop 6
	v_mov_b32_e32 v43, 0
	s_waitcnt vmcnt(5)
	v_cmp_ne_u16_sdwa s[8:9], v34, v43 src0_sel:BYTE_0 src1_sel:DWORD
	v_mfma_f32_16x16x16bf16_1k v[38:41], v[38:39], v[20:21], v[56:59]
	v_mov_b32_e32 v44, 0
	s_and_saveexec_b64 s[2:3], s[8:9]
	s_cbranch_execz .LBB851_209
; %bb.204:
	s_movk_i32 s8, 0x80
	v_cmp_ne_u16_sdwa s[10:11], v34, s8 src0_sel:BYTE_0 src1_sel:DWORD
	v_mov_b32_e32 v44, 0xffff8000
	s_and_saveexec_b64 s[8:9], s[10:11]
	s_cbranch_execz .LBB851_208
; %bb.205:
	s_movk_i32 s10, 0x7f
	v_and_b32_e32 v42, 0x7f, v34
	v_cmp_ne_u32_e32 vcc, s10, v42
	v_mov_b32_e32 v44, 0x7f80
	s_and_saveexec_b64 s[10:11], vcc
	s_cbranch_execz .LBB851_207
; %bb.206:
	v_and_b32_e32 v50, 7, v34
	v_ffbh_u32_e32 v44, v50
	v_min_u32_e32 v52, 32, v44
	v_subrev_u32_e32 v44, 28, v52
	v_lshlrev_b64 v[44:45], v44, v[34:35]
	v_lshrrev_b32_e32 v51, 3, v42
	v_sub_u32_e32 v45, 29, v52
	v_and_b32_e32 v44, 7, v44
	v_cmp_gt_u32_e32 vcc, 8, v42
	v_cndmask_b32_e32 v42, v51, v45, vcc
	v_cndmask_b32_e32 v44, v50, v44, vcc
	v_lshlrev_b32_e32 v45, 24, v34
	v_bfrev_b32_e32 v50, 60
	v_lshlrev_b32_e32 v44, 20, v44
	v_and_b32_e32 v45, 0x80000000, v45
	v_lshl_add_u32 v42, v42, 23, v50
	v_or3_b32 v42, v45, v42, v44
	v_lshrrev_b32_e32 v44, 16, v42
.LBB851_207:
	s_or_b64 exec, exec, s[10:11]
.LBB851_208:
	s_or_b64 exec, exec, s[8:9]
.LBB851_209:
	s_or_b64 exec, exec, s[2:3]
	v_lshrrev_b16_e32 v42, 8, v34
	v_cmp_ne_u16_e32 vcc, 0, v42
	s_and_saveexec_b64 s[2:3], vcc
	s_cbranch_execz .LBB851_215
; %bb.210:
	s_movk_i32 s8, 0x80
	v_cmp_ne_u16_e32 vcc, s8, v42
	v_mov_b32_e32 v43, 0xffff8000
	s_and_saveexec_b64 s[8:9], vcc
	s_cbranch_execz .LBB851_214
; %bb.211:
	s_movk_i32 s10, 0x7f
	v_and_b32_e32 v45, 0x7f, v42
	v_cmp_ne_u32_e32 vcc, s10, v45
	v_mov_b32_e32 v43, 0x7f80
	s_and_saveexec_b64 s[10:11], vcc
	s_cbranch_execz .LBB851_213
; %bb.212:
	v_and_b32_e32 v50, 7, v42
	v_ffbh_u32_e32 v43, v50
	v_min_u32_e32 v52, 32, v43
	v_subrev_u32_e32 v43, 28, v52
	v_lshlrev_b64 v[42:43], v43, v[42:43]
	v_lshrrev_b32_e32 v51, 3, v45
	v_sub_u32_e32 v43, 29, v52
	v_and_b32_e32 v42, 7, v42
	v_cmp_gt_u32_e32 vcc, 8, v45
	v_cndmask_b32_e32 v43, v51, v43, vcc
	v_cndmask_b32_e32 v42, v50, v42, vcc
	v_lshlrev_b32_e32 v45, 16, v34
	v_bfrev_b32_e32 v50, 60
	v_lshlrev_b32_e32 v42, 20, v42
	v_and_b32_e32 v45, 0x80000000, v45
	v_lshl_add_u32 v43, v43, 23, v50
	v_or3_b32 v42, v45, v43, v42
	v_lshrrev_b32_e32 v43, 16, v42
.LBB851_213:
	s_or_b64 exec, exec, s[10:11]
.LBB851_214:
	s_or_b64 exec, exec, s[8:9]
.LBB851_215:
	s_or_b64 exec, exec, s[2:3]
	s_movk_i32 s2, 0xff
	v_and_b32_sdwa v51, v34, s2 dst_sel:DWORD dst_unused:UNUSED_PAD src0_sel:WORD_1 src1_sel:DWORD
	v_lshrrev_b32_e32 v42, 16, v34
	v_cmp_ne_u16_e32 vcc, 0, v51
	v_mov_b32_e32 v45, 0
	v_mov_b32_e32 v50, 0
	s_and_saveexec_b64 s[2:3], vcc
	s_cbranch_execz .LBB851_221
; %bb.216:
	s_movk_i32 s8, 0x80
	v_cmp_ne_u16_e32 vcc, s8, v51
	v_mov_b32_e32 v50, 0xffff8000
	s_and_saveexec_b64 s[8:9], vcc
	s_cbranch_execz .LBB851_220
; %bb.217:
	v_bfe_u32 v51, v34, 16, 7
	s_movk_i32 s10, 0x7f
	v_cmp_ne_u32_e32 vcc, s10, v51
	v_mov_b32_e32 v50, 0x7f80
	s_and_saveexec_b64 s[10:11], vcc
	s_cbranch_execz .LBB851_219
; %bb.218:
	v_and_b32_e32 v50, 7, v42
	v_ffbh_u32_e32 v52, v50
	v_min_u32_e32 v55, 32, v52
	v_subrev_u32_e32 v52, 28, v55
	v_lshlrev_b64 v[52:53], v52, v[42:43]
	v_lshrrev_b32_e32 v54, 3, v51
	v_sub_u32_e32 v42, 29, v55
	v_and_b32_e32 v52, 7, v52
	v_cmp_gt_u32_e32 vcc, 8, v51
	v_mov_b32_e32 v51, 24
	v_cndmask_b32_e32 v42, v54, v42, vcc
	v_cndmask_b32_e32 v50, v50, v52, vcc
	v_lshlrev_b32_sdwa v51, v51, v34 dst_sel:DWORD dst_unused:UNUSED_PAD src0_sel:DWORD src1_sel:WORD_1
	v_bfrev_b32_e32 v52, 60
	v_lshlrev_b32_e32 v50, 20, v50
	v_and_b32_e32 v51, 0x80000000, v51
	v_lshl_add_u32 v42, v42, 23, v52
	v_or3_b32 v42, v51, v42, v50
	v_lshrrev_b32_e32 v50, 16, v42
.LBB851_219:
	s_or_b64 exec, exec, s[10:11]
.LBB851_220:
	s_or_b64 exec, exec, s[8:9]
.LBB851_221:
	s_or_b64 exec, exec, s[2:3]
	s_mov_b32 s2, 0xffffff
	v_cmp_lt_u32_e32 vcc, s2, v34
	s_and_saveexec_b64 s[2:3], vcc
	s_cbranch_execz .LBB851_227
; %bb.222:
	v_lshrrev_b32_e32 v42, 24, v34
	s_movk_i32 s8, 0x80
	v_cmp_ne_u32_e32 vcc, s8, v42
	v_mov_b32_e32 v45, 0xffff8000
	s_and_saveexec_b64 s[8:9], vcc
	s_cbranch_execz .LBB851_226
; %bb.223:
	v_bfe_u32 v34, v34, 24, 7
	s_movk_i32 s10, 0x7f
	v_cmp_ne_u32_e32 vcc, s10, v34
	v_mov_b32_e32 v45, 0x7f80
	s_and_saveexec_b64 s[10:11], vcc
	s_cbranch_execz .LBB851_225
; %bb.224:
	v_and_b32_e32 v45, 7, v42
	v_ffbh_u32_e32 v52, v45
	v_min_u32_e32 v54, 32, v52
	v_subrev_u32_e32 v52, 28, v54
	v_lshlrev_b64 v[52:53], v52, v[42:43]
	v_lshrrev_b32_e32 v51, 3, v34
	v_sub_u32_e32 v53, 29, v54
	v_and_b32_e32 v52, 7, v52
	v_cmp_gt_u32_e32 vcc, 8, v34
	v_cndmask_b32_e32 v34, v51, v53, vcc
	v_cndmask_b32_e32 v45, v45, v52, vcc
	v_lshlrev_b32_e32 v42, 24, v42
	v_bfrev_b32_e32 v51, 60
	v_lshlrev_b32_e32 v45, 20, v45
	v_and_b32_e32 v42, 0x80000000, v42
	v_lshl_add_u32 v34, v34, 23, v51
	v_or3_b32 v34, v42, v34, v45
	v_lshrrev_b32_e32 v45, 16, v34
.LBB851_225:
	s_or_b64 exec, exec, s[10:11]
.LBB851_226:
	s_or_b64 exec, exec, s[8:9]
.LBB851_227:
	s_or_b64 exec, exec, s[2:3]
	v_mov_b32_e32 v42, 0
	v_cmp_ne_u16_sdwa s[8:9], v35, v42 src0_sel:BYTE_0 src1_sel:DWORD
	v_mov_b32_e32 v51, 0
	s_and_saveexec_b64 s[2:3], s[8:9]
	s_cbranch_execz .LBB851_233
; %bb.228:
	s_movk_i32 s8, 0x80
	v_cmp_ne_u16_sdwa s[10:11], v35, s8 src0_sel:BYTE_0 src1_sel:DWORD
	v_mov_b32_e32 v51, 0xffff8000
	s_and_saveexec_b64 s[8:9], s[10:11]
	s_cbranch_execz .LBB851_232
; %bb.229:
	s_movk_i32 s10, 0x7f
	v_and_b32_e32 v34, 0x7f, v35
	v_cmp_ne_u32_e32 vcc, s10, v34
	v_mov_b32_e32 v51, 0x7f80
	s_and_saveexec_b64 s[10:11], vcc
	s_cbranch_execz .LBB851_231
; %bb.230:
	v_and_b32_e32 v51, 7, v35
	v_ffbh_u32_e32 v53, v51
	v_min_u32_e32 v55, 32, v53
	v_mov_b32_e32 v52, v35
	v_subrev_u32_e32 v53, 28, v55
	v_lshlrev_b64 v[52:53], v53, v[52:53]
	v_lshrrev_b32_e32 v54, 3, v34
	v_sub_u32_e32 v53, 29, v55
	v_and_b32_e32 v52, 7, v52
	v_cmp_gt_u32_e32 vcc, 8, v34
	v_cndmask_b32_e32 v34, v54, v53, vcc
	v_cndmask_b32_e32 v51, v51, v52, vcc
	v_lshlrev_b32_e32 v52, 24, v35
	v_bfrev_b32_e32 v53, 60
	v_lshlrev_b32_e32 v51, 20, v51
	v_and_b32_e32 v52, 0x80000000, v52
	v_lshl_add_u32 v34, v34, 23, v53
	v_or3_b32 v34, v52, v34, v51
	v_lshrrev_b32_e32 v51, 16, v34
.LBB851_231:
	s_or_b64 exec, exec, s[10:11]
.LBB851_232:
	s_or_b64 exec, exec, s[8:9]
.LBB851_233:
	s_or_b64 exec, exec, s[2:3]
	v_lshrrev_b16_e32 v34, 8, v35
	v_cmp_ne_u16_e32 vcc, 0, v34
	s_and_saveexec_b64 s[2:3], vcc
	s_cbranch_execz .LBB851_239
; %bb.234:
	s_movk_i32 s8, 0x80
	v_cmp_ne_u16_e32 vcc, s8, v34
	v_mov_b32_e32 v42, 0xffff8000
	s_and_saveexec_b64 s[8:9], vcc
	s_cbranch_execz .LBB851_238
; %bb.235:
	s_movk_i32 s10, 0x7f
	v_and_b32_e32 v52, 0x7f, v34
	v_cmp_ne_u32_e32 vcc, s10, v52
	v_mov_b32_e32 v42, 0x7f80
	s_and_saveexec_b64 s[10:11], vcc
	s_cbranch_execz .LBB851_237
; %bb.236:
	v_and_b32_e32 v42, 7, v34
	v_ffbh_u32_e32 v54, v42
	v_min_u32_e32 v56, 32, v54
	v_subrev_u32_e32 v54, 28, v56
	v_lshlrev_b64 v[54:55], v54, v[34:35]
	v_lshrrev_b32_e32 v53, 3, v52
	v_sub_u32_e32 v34, 29, v56
	v_and_b32_e32 v54, 7, v54
	v_cmp_gt_u32_e32 vcc, 8, v52
	v_cndmask_b32_e32 v34, v53, v34, vcc
	v_cndmask_b32_e32 v42, v42, v54, vcc
	v_lshlrev_b32_e32 v52, 16, v35
	v_bfrev_b32_e32 v53, 60
	v_lshlrev_b32_e32 v42, 20, v42
	v_and_b32_e32 v52, 0x80000000, v52
	v_lshl_add_u32 v34, v34, 23, v53
	v_or3_b32 v34, v52, v34, v42
	v_lshrrev_b32_e32 v42, 16, v34
.LBB851_237:
	s_or_b64 exec, exec, s[10:11]
.LBB851_238:
	s_or_b64 exec, exec, s[8:9]
.LBB851_239:
	s_or_b64 exec, exec, s[2:3]
	s_movk_i32 s2, 0xff
	v_and_b32_sdwa v54, v35, s2 dst_sel:DWORD dst_unused:UNUSED_PAD src0_sel:WORD_1 src1_sel:DWORD
	v_lshrrev_b32_e32 v34, 16, v35
	v_cmp_ne_u16_e32 vcc, 0, v54
	v_mov_b32_e32 v52, 0
	v_mov_b32_e32 v53, 0
	s_and_saveexec_b64 s[2:3], vcc
	s_cbranch_execz .LBB851_245
; %bb.240:
	s_movk_i32 s8, 0x80
	v_cmp_ne_u16_e32 vcc, s8, v54
	v_mov_b32_e32 v53, 0xffff8000
	s_and_saveexec_b64 s[8:9], vcc
	s_cbranch_execz .LBB851_244
; %bb.241:
	v_bfe_u32 v54, v35, 16, 7
	s_movk_i32 s10, 0x7f
	v_cmp_ne_u32_e32 vcc, s10, v54
	v_mov_b32_e32 v53, 0x7f80
	s_and_saveexec_b64 s[10:11], vcc
	s_cbranch_execz .LBB851_243
; %bb.242:
	v_and_b32_e32 v53, 7, v34
	v_ffbh_u32_e32 v56, v53
	v_min_u32_e32 v58, 32, v56
	v_subrev_u32_e32 v56, 28, v58
	v_lshlrev_b64 v[56:57], v56, v[34:35]
	v_lshrrev_b32_e32 v55, 3, v54
	v_sub_u32_e32 v34, 29, v58
	v_and_b32_e32 v56, 7, v56
	v_cmp_gt_u32_e32 vcc, 8, v54
	v_mov_b32_e32 v54, 24
	v_cndmask_b32_e32 v34, v55, v34, vcc
	v_cndmask_b32_e32 v53, v53, v56, vcc
	v_lshlrev_b32_sdwa v54, v54, v35 dst_sel:DWORD dst_unused:UNUSED_PAD src0_sel:DWORD src1_sel:WORD_1
	v_bfrev_b32_e32 v55, 60
	v_lshlrev_b32_e32 v53, 20, v53
	v_and_b32_e32 v54, 0x80000000, v54
	v_lshl_add_u32 v34, v34, 23, v55
	v_or3_b32 v34, v54, v34, v53
	v_lshrrev_b32_e32 v53, 16, v34
.LBB851_243:
	s_or_b64 exec, exec, s[10:11]
.LBB851_244:
	s_or_b64 exec, exec, s[8:9]
.LBB851_245:
	s_or_b64 exec, exec, s[2:3]
	s_mov_b32 s2, 0xffffff
	v_cmp_lt_u32_e32 vcc, s2, v35
	s_and_saveexec_b64 s[2:3], vcc
	s_cbranch_execz .LBB851_251
; %bb.246:
	v_lshrrev_b32_e32 v34, 24, v35
	s_movk_i32 s8, 0x80
	v_cmp_ne_u32_e32 vcc, s8, v34
	v_mov_b32_e32 v52, 0xffff8000
	s_and_saveexec_b64 s[8:9], vcc
	s_cbranch_execz .LBB851_250
; %bb.247:
	v_bfe_u32 v35, v35, 24, 7
	s_movk_i32 s10, 0x7f
	v_cmp_ne_u32_e32 vcc, s10, v35
	v_mov_b32_e32 v52, 0x7f80
	s_and_saveexec_b64 s[10:11], vcc
	s_cbranch_execz .LBB851_249
; %bb.248:
	v_and_b32_e32 v52, 7, v34
	v_ffbh_u32_e32 v54, v52
	v_min_u32_e32 v57, 32, v54
	v_subrev_u32_e32 v54, 28, v57
	v_lshlrev_b64 v[54:55], v54, v[34:35]
	v_lshrrev_b32_e32 v56, 3, v35
	v_sub_u32_e32 v55, 29, v57
	v_and_b32_e32 v54, 7, v54
	v_cmp_gt_u32_e32 vcc, 8, v35
	v_cndmask_b32_e32 v35, v56, v55, vcc
	v_cndmask_b32_e32 v52, v52, v54, vcc
	v_lshlrev_b32_e32 v34, 24, v34
	v_bfrev_b32_e32 v54, 60
	v_lshlrev_b32_e32 v52, 20, v52
	v_and_b32_e32 v34, 0x80000000, v34
	v_lshl_add_u32 v35, v35, 23, v54
	v_or3_b32 v34, v34, v35, v52
	v_lshrrev_b32_e32 v52, 16, v34
.LBB851_249:
	s_or_b64 exec, exec, s[10:11]
.LBB851_250:
	s_or_b64 exec, exec, s[8:9]
.LBB851_251:
	s_or_b64 exec, exec, s[2:3]
	s_mov_b32 s2, 0x5040100
	v_perm_b32 v35, v45, v50, s2
	v_perm_b32 v34, v43, v44, s2
	;; [unrolled: 1-line block ×4, first 2 shown]
	v_mov_b32_e32 v50, 0
	v_mfma_f32_16x16x16bf16_1k v[54:57], v[34:35], v[26:27], 0
	v_mov_b32_e32 v35, 0
	v_cmp_ne_u16_sdwa s[8:9], v36, v35 src0_sel:BYTE_0 src1_sel:DWORD
	v_mfma_f32_16x16x16bf16_1k v[42:45], v[42:43], v[28:29], v[54:57]
	s_and_saveexec_b64 s[2:3], s[8:9]
	s_cbranch_execz .LBB851_257
; %bb.252:
	s_movk_i32 s8, 0x80
	v_cmp_ne_u16_sdwa s[10:11], v36, s8 src0_sel:BYTE_0 src1_sel:DWORD
	v_mov_b32_e32 v50, 0xffff8000
	s_and_saveexec_b64 s[8:9], s[10:11]
	s_cbranch_execz .LBB851_256
; %bb.253:
	s_movk_i32 s10, 0x7f
	v_and_b32_e32 v34, 0x7f, v36
	v_cmp_ne_u32_e32 vcc, s10, v34
	v_mov_b32_e32 v50, 0x7f80
	s_and_saveexec_b64 s[10:11], vcc
	s_cbranch_execz .LBB851_255
; %bb.254:
	v_and_b32_e32 v52, 7, v36
	v_ffbh_u32_e32 v50, v52
	v_min_u32_e32 v54, 32, v50
	v_subrev_u32_e32 v50, 28, v54
	v_lshlrev_b64 v[50:51], v50, v[36:37]
	v_lshrrev_b32_e32 v53, 3, v34
	v_sub_u32_e32 v51, 29, v54
	v_and_b32_e32 v50, 7, v50
	v_cmp_gt_u32_e32 vcc, 8, v34
	v_cndmask_b32_e32 v34, v53, v51, vcc
	v_cndmask_b32_e32 v50, v52, v50, vcc
	v_lshlrev_b32_e32 v51, 24, v36
	v_bfrev_b32_e32 v52, 60
	v_lshlrev_b32_e32 v50, 20, v50
	v_and_b32_e32 v51, 0x80000000, v51
	v_lshl_add_u32 v34, v34, 23, v52
	v_or3_b32 v34, v51, v34, v50
	v_lshrrev_b32_e32 v50, 16, v34
.LBB851_255:
	s_or_b64 exec, exec, s[10:11]
.LBB851_256:
	s_or_b64 exec, exec, s[8:9]
.LBB851_257:
	s_or_b64 exec, exec, s[2:3]
	v_lshrrev_b16_e32 v34, 8, v36
	v_cmp_ne_u16_e32 vcc, 0, v34
	s_and_saveexec_b64 s[2:3], vcc
	s_cbranch_execz .LBB851_263
; %bb.258:
	s_movk_i32 s8, 0x80
	v_cmp_ne_u16_e32 vcc, s8, v34
	v_mov_b32_e32 v35, 0xffff8000
	s_and_saveexec_b64 s[8:9], vcc
	s_cbranch_execz .LBB851_262
; %bb.259:
	s_movk_i32 s10, 0x7f
	v_and_b32_e32 v51, 0x7f, v34
	v_cmp_ne_u32_e32 vcc, s10, v51
	v_mov_b32_e32 v35, 0x7f80
	s_and_saveexec_b64 s[10:11], vcc
	s_cbranch_execz .LBB851_261
; %bb.260:
	v_and_b32_e32 v52, 7, v34
	v_ffbh_u32_e32 v35, v52
	v_min_u32_e32 v54, 32, v35
	v_subrev_u32_e32 v35, 28, v54
	v_lshlrev_b64 v[34:35], v35, v[34:35]
	v_lshrrev_b32_e32 v53, 3, v51
	v_sub_u32_e32 v35, 29, v54
	v_and_b32_e32 v34, 7, v34
	v_cmp_gt_u32_e32 vcc, 8, v51
	v_cndmask_b32_e32 v35, v53, v35, vcc
	v_cndmask_b32_e32 v34, v52, v34, vcc
	v_lshlrev_b32_e32 v51, 16, v36
	v_bfrev_b32_e32 v52, 60
	v_lshlrev_b32_e32 v34, 20, v34
	v_and_b32_e32 v51, 0x80000000, v51
	v_lshl_add_u32 v35, v35, 23, v52
	v_or3_b32 v34, v51, v35, v34
	v_lshrrev_b32_e32 v35, 16, v34
.LBB851_261:
	s_or_b64 exec, exec, s[10:11]
.LBB851_262:
	s_or_b64 exec, exec, s[8:9]
.LBB851_263:
	s_or_b64 exec, exec, s[2:3]
	s_movk_i32 s2, 0xff
	v_and_b32_sdwa v53, v36, s2 dst_sel:DWORD dst_unused:UNUSED_PAD src0_sel:WORD_1 src1_sel:DWORD
	v_lshrrev_b32_e32 v34, 16, v36
	v_cmp_ne_u16_e32 vcc, 0, v53
	v_mov_b32_e32 v51, 0
	v_mov_b32_e32 v52, 0
	s_and_saveexec_b64 s[2:3], vcc
	s_cbranch_execz .LBB851_269
; %bb.264:
	s_movk_i32 s8, 0x80
	v_cmp_ne_u16_e32 vcc, s8, v53
	v_mov_b32_e32 v52, 0xffff8000
	s_and_saveexec_b64 s[8:9], vcc
	s_cbranch_execz .LBB851_268
; %bb.265:
	v_bfe_u32 v53, v36, 16, 7
	s_movk_i32 s10, 0x7f
	v_cmp_ne_u32_e32 vcc, s10, v53
	v_mov_b32_e32 v52, 0x7f80
	s_and_saveexec_b64 s[10:11], vcc
	s_cbranch_execz .LBB851_267
; %bb.266:
	v_and_b32_e32 v52, 7, v34
	v_ffbh_u32_e32 v54, v52
	v_min_u32_e32 v57, 32, v54
	v_subrev_u32_e32 v54, 28, v57
	v_lshlrev_b64 v[54:55], v54, v[34:35]
	v_lshrrev_b32_e32 v56, 3, v53
	v_sub_u32_e32 v34, 29, v57
	v_and_b32_e32 v54, 7, v54
	v_cmp_gt_u32_e32 vcc, 8, v53
	v_mov_b32_e32 v53, 24
	v_cndmask_b32_e32 v34, v56, v34, vcc
	v_cndmask_b32_e32 v52, v52, v54, vcc
	v_lshlrev_b32_sdwa v53, v53, v36 dst_sel:DWORD dst_unused:UNUSED_PAD src0_sel:DWORD src1_sel:WORD_1
	v_bfrev_b32_e32 v54, 60
	v_lshlrev_b32_e32 v52, 20, v52
	v_and_b32_e32 v53, 0x80000000, v53
	v_lshl_add_u32 v34, v34, 23, v54
	v_or3_b32 v34, v53, v34, v52
	v_lshrrev_b32_e32 v52, 16, v34
.LBB851_267:
	s_or_b64 exec, exec, s[10:11]
.LBB851_268:
	s_or_b64 exec, exec, s[8:9]
.LBB851_269:
	s_or_b64 exec, exec, s[2:3]
	s_mov_b32 s2, 0xffffff
	v_cmp_lt_u32_e32 vcc, s2, v36
	s_and_saveexec_b64 s[2:3], vcc
	s_cbranch_execz .LBB851_275
; %bb.270:
	v_lshrrev_b32_e32 v34, 24, v36
	s_movk_i32 s8, 0x80
	v_cmp_ne_u32_e32 vcc, s8, v34
	v_mov_b32_e32 v51, 0xffff8000
	s_and_saveexec_b64 s[8:9], vcc
	s_cbranch_execz .LBB851_274
; %bb.271:
	v_bfe_u32 v36, v36, 24, 7
	s_movk_i32 s10, 0x7f
	v_cmp_ne_u32_e32 vcc, s10, v36
	v_mov_b32_e32 v51, 0x7f80
	s_and_saveexec_b64 s[10:11], vcc
	s_cbranch_execz .LBB851_273
; %bb.272:
	v_and_b32_e32 v51, 7, v34
	v_ffbh_u32_e32 v54, v51
	v_min_u32_e32 v56, 32, v54
	v_subrev_u32_e32 v54, 28, v56
	v_lshlrev_b64 v[54:55], v54, v[34:35]
	v_lshrrev_b32_e32 v53, 3, v36
	v_sub_u32_e32 v55, 29, v56
	v_and_b32_e32 v54, 7, v54
	v_cmp_gt_u32_e32 vcc, 8, v36
	v_cndmask_b32_e32 v36, v53, v55, vcc
	v_cndmask_b32_e32 v51, v51, v54, vcc
	v_lshlrev_b32_e32 v34, 24, v34
	v_bfrev_b32_e32 v53, 60
	v_lshlrev_b32_e32 v51, 20, v51
	v_and_b32_e32 v34, 0x80000000, v34
	v_lshl_add_u32 v36, v36, 23, v53
	v_or3_b32 v34, v34, v36, v51
	v_lshrrev_b32_e32 v51, 16, v34
.LBB851_273:
	s_or_b64 exec, exec, s[10:11]
.LBB851_274:
	s_or_b64 exec, exec, s[8:9]
.LBB851_275:
	s_or_b64 exec, exec, s[2:3]
	v_mov_b32_e32 v36, 0
	v_cmp_ne_u16_sdwa s[8:9], v37, v36 src0_sel:BYTE_0 src1_sel:DWORD
	v_mov_b32_e32 v53, 0
	s_and_saveexec_b64 s[2:3], s[8:9]
	s_cbranch_execz .LBB851_281
; %bb.276:
	s_movk_i32 s8, 0x80
	v_cmp_ne_u16_sdwa s[10:11], v37, s8 src0_sel:BYTE_0 src1_sel:DWORD
	v_mov_b32_e32 v53, 0xffff8000
	s_and_saveexec_b64 s[8:9], s[10:11]
	s_cbranch_execz .LBB851_280
; %bb.277:
	s_movk_i32 s10, 0x7f
	v_and_b32_e32 v34, 0x7f, v37
	v_cmp_ne_u32_e32 vcc, s10, v34
	v_mov_b32_e32 v53, 0x7f80
	s_and_saveexec_b64 s[10:11], vcc
	s_cbranch_execz .LBB851_279
; %bb.278:
	v_and_b32_e32 v53, 7, v37
	v_ffbh_u32_e32 v55, v53
	v_min_u32_e32 v57, 32, v55
	v_mov_b32_e32 v54, v37
	v_subrev_u32_e32 v55, 28, v57
	v_lshlrev_b64 v[54:55], v55, v[54:55]
	v_lshrrev_b32_e32 v56, 3, v34
	v_sub_u32_e32 v55, 29, v57
	v_and_b32_e32 v54, 7, v54
	v_cmp_gt_u32_e32 vcc, 8, v34
	v_cndmask_b32_e32 v34, v56, v55, vcc
	v_cndmask_b32_e32 v53, v53, v54, vcc
	v_lshlrev_b32_e32 v54, 24, v37
	v_bfrev_b32_e32 v55, 60
	v_lshlrev_b32_e32 v53, 20, v53
	v_and_b32_e32 v54, 0x80000000, v54
	v_lshl_add_u32 v34, v34, 23, v55
	v_or3_b32 v34, v54, v34, v53
	v_lshrrev_b32_e32 v53, 16, v34
.LBB851_279:
	s_or_b64 exec, exec, s[10:11]
.LBB851_280:
	s_or_b64 exec, exec, s[8:9]
.LBB851_281:
	s_or_b64 exec, exec, s[2:3]
	v_lshrrev_b16_e32 v34, 8, v37
	v_cmp_ne_u16_e32 vcc, 0, v34
	s_and_saveexec_b64 s[2:3], vcc
	s_cbranch_execz .LBB851_287
; %bb.282:
	s_movk_i32 s8, 0x80
	v_cmp_ne_u16_e32 vcc, s8, v34
	v_mov_b32_e32 v36, 0xffff8000
	s_and_saveexec_b64 s[8:9], vcc
	s_cbranch_execz .LBB851_286
; %bb.283:
	s_movk_i32 s10, 0x7f
	v_and_b32_e32 v54, 0x7f, v34
	v_cmp_ne_u32_e32 vcc, s10, v54
	v_mov_b32_e32 v36, 0x7f80
	s_and_saveexec_b64 s[10:11], vcc
	s_cbranch_execz .LBB851_285
; %bb.284:
	v_and_b32_e32 v36, 7, v34
	v_ffbh_u32_e32 v56, v36
	v_min_u32_e32 v58, 32, v56
	v_subrev_u32_e32 v56, 28, v58
	v_lshlrev_b64 v[56:57], v56, v[34:35]
	v_lshrrev_b32_e32 v55, 3, v54
	v_sub_u32_e32 v34, 29, v58
	v_and_b32_e32 v56, 7, v56
	v_cmp_gt_u32_e32 vcc, 8, v54
	v_cndmask_b32_e32 v34, v55, v34, vcc
	v_cndmask_b32_e32 v36, v36, v56, vcc
	v_lshlrev_b32_e32 v54, 16, v37
	v_bfrev_b32_e32 v55, 60
	v_lshlrev_b32_e32 v36, 20, v36
	v_and_b32_e32 v54, 0x80000000, v54
	v_lshl_add_u32 v34, v34, 23, v55
	v_or3_b32 v34, v54, v34, v36
	v_lshrrev_b32_e32 v36, 16, v34
.LBB851_285:
	s_or_b64 exec, exec, s[10:11]
.LBB851_286:
	s_or_b64 exec, exec, s[8:9]
.LBB851_287:
	s_or_b64 exec, exec, s[2:3]
	s_movk_i32 s2, 0xff
	v_and_b32_sdwa v56, v37, s2 dst_sel:DWORD dst_unused:UNUSED_PAD src0_sel:WORD_1 src1_sel:DWORD
	v_lshrrev_b32_e32 v34, 16, v37
	v_cmp_ne_u16_e32 vcc, 0, v56
	v_mov_b32_e32 v54, 0
	v_mov_b32_e32 v55, 0
	s_and_saveexec_b64 s[2:3], vcc
	s_cbranch_execz .LBB851_293
; %bb.288:
	s_movk_i32 s8, 0x80
	v_cmp_ne_u16_e32 vcc, s8, v56
	v_mov_b32_e32 v55, 0xffff8000
	s_and_saveexec_b64 s[8:9], vcc
	s_cbranch_execz .LBB851_292
; %bb.289:
	v_bfe_u32 v56, v37, 16, 7
	s_movk_i32 s10, 0x7f
	v_cmp_ne_u32_e32 vcc, s10, v56
	v_mov_b32_e32 v55, 0x7f80
	s_and_saveexec_b64 s[10:11], vcc
	s_cbranch_execz .LBB851_291
; %bb.290:
	v_and_b32_e32 v55, 7, v34
	v_ffbh_u32_e32 v58, v55
	v_min_u32_e32 v60, 32, v58
	v_subrev_u32_e32 v58, 28, v60
	v_lshlrev_b64 v[58:59], v58, v[34:35]
	v_lshrrev_b32_e32 v57, 3, v56
	v_sub_u32_e32 v34, 29, v60
	v_and_b32_e32 v58, 7, v58
	v_cmp_gt_u32_e32 vcc, 8, v56
	v_mov_b32_e32 v56, 24
	v_cndmask_b32_e32 v34, v57, v34, vcc
	v_cndmask_b32_e32 v55, v55, v58, vcc
	v_lshlrev_b32_sdwa v56, v56, v37 dst_sel:DWORD dst_unused:UNUSED_PAD src0_sel:DWORD src1_sel:WORD_1
	v_bfrev_b32_e32 v57, 60
	v_lshlrev_b32_e32 v55, 20, v55
	v_and_b32_e32 v56, 0x80000000, v56
	v_lshl_add_u32 v34, v34, 23, v57
	v_or3_b32 v34, v56, v34, v55
	v_lshrrev_b32_e32 v55, 16, v34
.LBB851_291:
	s_or_b64 exec, exec, s[10:11]
.LBB851_292:
	s_or_b64 exec, exec, s[8:9]
.LBB851_293:
	s_or_b64 exec, exec, s[2:3]
	s_mov_b32 s2, 0xffffff
	v_cmp_lt_u32_e32 vcc, s2, v37
	s_and_saveexec_b64 s[2:3], vcc
	s_cbranch_execz .LBB851_299
; %bb.294:
	v_lshrrev_b32_e32 v34, 24, v37
	s_movk_i32 s8, 0x80
	v_cmp_ne_u32_e32 vcc, s8, v34
	v_mov_b32_e32 v54, 0xffff8000
	s_and_saveexec_b64 s[8:9], vcc
	s_cbranch_execz .LBB851_298
; %bb.295:
	v_bfe_u32 v37, v37, 24, 7
	s_movk_i32 s10, 0x7f
	v_cmp_ne_u32_e32 vcc, s10, v37
	v_mov_b32_e32 v54, 0x7f80
	s_and_saveexec_b64 s[10:11], vcc
	s_cbranch_execz .LBB851_297
; %bb.296:
	v_and_b32_e32 v54, 7, v34
	v_ffbh_u32_e32 v56, v54
	v_min_u32_e32 v59, 32, v56
	v_subrev_u32_e32 v56, 28, v59
	v_lshlrev_b64 v[56:57], v56, v[34:35]
	v_lshrrev_b32_e32 v58, 3, v37
	v_sub_u32_e32 v57, 29, v59
	v_and_b32_e32 v56, 7, v56
	v_cmp_gt_u32_e32 vcc, 8, v37
	v_cndmask_b32_e32 v37, v58, v57, vcc
	v_cndmask_b32_e32 v54, v54, v56, vcc
	v_lshlrev_b32_e32 v34, 24, v34
	v_bfrev_b32_e32 v56, 60
	v_lshlrev_b32_e32 v54, 20, v54
	v_and_b32_e32 v34, 0x80000000, v34
	v_lshl_add_u32 v37, v37, 23, v56
	v_or3_b32 v34, v34, v37, v54
	v_lshrrev_b32_e32 v54, 16, v34
.LBB851_297:
	s_or_b64 exec, exec, s[10:11]
.LBB851_298:
	s_or_b64 exec, exec, s[8:9]
.LBB851_299:
	s_or_b64 exec, exec, s[2:3]
	s_mov_b32 s2, 0x5040100
	v_perm_b32 v51, v51, v52, s2
	v_perm_b32 v50, v35, v50, s2
	;; [unrolled: 1-line block ×4, first 2 shown]
	v_mfma_f32_16x16x16bf16_1k v[56:59], v[50:51], v[18:19], v[42:45]
	s_nop 6
	v_mov_b32_e32 v43, 0
	s_waitcnt vmcnt(4)
	v_cmp_ne_u16_sdwa s[8:9], v22, v43 src0_sel:BYTE_0 src1_sel:DWORD
	v_mfma_f32_16x16x16bf16_1k v[34:37], v[34:35], v[20:21], v[56:59]
	v_mov_b32_e32 v44, 0
	s_and_saveexec_b64 s[2:3], s[8:9]
	s_cbranch_execz .LBB851_305
; %bb.300:
	s_movk_i32 s8, 0x80
	v_cmp_ne_u16_sdwa s[10:11], v22, s8 src0_sel:BYTE_0 src1_sel:DWORD
	v_mov_b32_e32 v44, 0xffff8000
	s_and_saveexec_b64 s[8:9], s[10:11]
	s_cbranch_execz .LBB851_304
; %bb.301:
	s_movk_i32 s10, 0x7f
	v_and_b32_e32 v42, 0x7f, v22
	v_cmp_ne_u32_e32 vcc, s10, v42
	v_mov_b32_e32 v44, 0x7f80
	s_and_saveexec_b64 s[10:11], vcc
	s_cbranch_execz .LBB851_303
; %bb.302:
	v_and_b32_e32 v50, 7, v22
	v_ffbh_u32_e32 v44, v50
	v_min_u32_e32 v52, 32, v44
	v_subrev_u32_e32 v44, 28, v52
	v_lshlrev_b64 v[44:45], v44, v[22:23]
	v_lshrrev_b32_e32 v51, 3, v42
	v_sub_u32_e32 v45, 29, v52
	v_and_b32_e32 v44, 7, v44
	v_cmp_gt_u32_e32 vcc, 8, v42
	v_cndmask_b32_e32 v42, v51, v45, vcc
	v_cndmask_b32_e32 v44, v50, v44, vcc
	v_lshlrev_b32_e32 v45, 24, v22
	v_bfrev_b32_e32 v50, 60
	v_lshlrev_b32_e32 v44, 20, v44
	v_and_b32_e32 v45, 0x80000000, v45
	v_lshl_add_u32 v42, v42, 23, v50
	v_or3_b32 v42, v45, v42, v44
	v_lshrrev_b32_e32 v44, 16, v42
.LBB851_303:
	s_or_b64 exec, exec, s[10:11]
.LBB851_304:
	s_or_b64 exec, exec, s[8:9]
.LBB851_305:
	s_or_b64 exec, exec, s[2:3]
	v_lshrrev_b16_e32 v42, 8, v22
	v_cmp_ne_u16_e32 vcc, 0, v42
	s_and_saveexec_b64 s[2:3], vcc
	s_cbranch_execz .LBB851_311
; %bb.306:
	s_movk_i32 s8, 0x80
	v_cmp_ne_u16_e32 vcc, s8, v42
	v_mov_b32_e32 v43, 0xffff8000
	s_and_saveexec_b64 s[8:9], vcc
	s_cbranch_execz .LBB851_310
; %bb.307:
	s_movk_i32 s10, 0x7f
	v_and_b32_e32 v45, 0x7f, v42
	v_cmp_ne_u32_e32 vcc, s10, v45
	v_mov_b32_e32 v43, 0x7f80
	s_and_saveexec_b64 s[10:11], vcc
	s_cbranch_execz .LBB851_309
; %bb.308:
	v_and_b32_e32 v50, 7, v42
	v_ffbh_u32_e32 v43, v50
	v_min_u32_e32 v52, 32, v43
	v_subrev_u32_e32 v43, 28, v52
	v_lshlrev_b64 v[42:43], v43, v[42:43]
	v_lshrrev_b32_e32 v51, 3, v45
	v_sub_u32_e32 v43, 29, v52
	v_and_b32_e32 v42, 7, v42
	v_cmp_gt_u32_e32 vcc, 8, v45
	v_cndmask_b32_e32 v43, v51, v43, vcc
	v_cndmask_b32_e32 v42, v50, v42, vcc
	v_lshlrev_b32_e32 v45, 16, v22
	v_bfrev_b32_e32 v50, 60
	v_lshlrev_b32_e32 v42, 20, v42
	v_and_b32_e32 v45, 0x80000000, v45
	v_lshl_add_u32 v43, v43, 23, v50
	v_or3_b32 v42, v45, v43, v42
	v_lshrrev_b32_e32 v43, 16, v42
.LBB851_309:
	s_or_b64 exec, exec, s[10:11]
.LBB851_310:
	s_or_b64 exec, exec, s[8:9]
.LBB851_311:
	s_or_b64 exec, exec, s[2:3]
	s_movk_i32 s2, 0xff
	v_and_b32_sdwa v51, v22, s2 dst_sel:DWORD dst_unused:UNUSED_PAD src0_sel:WORD_1 src1_sel:DWORD
	v_lshrrev_b32_e32 v42, 16, v22
	v_cmp_ne_u16_e32 vcc, 0, v51
	v_mov_b32_e32 v45, 0
	v_mov_b32_e32 v50, 0
	s_and_saveexec_b64 s[2:3], vcc
	s_cbranch_execz .LBB851_317
; %bb.312:
	s_movk_i32 s8, 0x80
	v_cmp_ne_u16_e32 vcc, s8, v51
	v_mov_b32_e32 v50, 0xffff8000
	s_and_saveexec_b64 s[8:9], vcc
	s_cbranch_execz .LBB851_316
; %bb.313:
	v_bfe_u32 v51, v22, 16, 7
	s_movk_i32 s10, 0x7f
	v_cmp_ne_u32_e32 vcc, s10, v51
	v_mov_b32_e32 v50, 0x7f80
	s_and_saveexec_b64 s[10:11], vcc
	s_cbranch_execz .LBB851_315
; %bb.314:
	v_and_b32_e32 v50, 7, v42
	v_ffbh_u32_e32 v52, v50
	v_min_u32_e32 v55, 32, v52
	v_subrev_u32_e32 v52, 28, v55
	v_lshlrev_b64 v[52:53], v52, v[42:43]
	v_lshrrev_b32_e32 v54, 3, v51
	v_sub_u32_e32 v42, 29, v55
	v_and_b32_e32 v52, 7, v52
	v_cmp_gt_u32_e32 vcc, 8, v51
	v_mov_b32_e32 v51, 24
	v_cndmask_b32_e32 v42, v54, v42, vcc
	v_cndmask_b32_e32 v50, v50, v52, vcc
	v_lshlrev_b32_sdwa v51, v51, v22 dst_sel:DWORD dst_unused:UNUSED_PAD src0_sel:DWORD src1_sel:WORD_1
	v_bfrev_b32_e32 v52, 60
	v_lshlrev_b32_e32 v50, 20, v50
	v_and_b32_e32 v51, 0x80000000, v51
	v_lshl_add_u32 v42, v42, 23, v52
	v_or3_b32 v42, v51, v42, v50
	v_lshrrev_b32_e32 v50, 16, v42
.LBB851_315:
	s_or_b64 exec, exec, s[10:11]
.LBB851_316:
	s_or_b64 exec, exec, s[8:9]
.LBB851_317:
	s_or_b64 exec, exec, s[2:3]
	s_mov_b32 s2, 0xffffff
	v_cmp_lt_u32_e32 vcc, s2, v22
	s_and_saveexec_b64 s[2:3], vcc
	s_cbranch_execz .LBB851_323
; %bb.318:
	v_lshrrev_b32_e32 v42, 24, v22
	s_movk_i32 s8, 0x80
	v_cmp_ne_u32_e32 vcc, s8, v42
	v_mov_b32_e32 v45, 0xffff8000
	s_and_saveexec_b64 s[8:9], vcc
	s_cbranch_execz .LBB851_322
; %bb.319:
	v_bfe_u32 v22, v22, 24, 7
	s_movk_i32 s10, 0x7f
	v_cmp_ne_u32_e32 vcc, s10, v22
	v_mov_b32_e32 v45, 0x7f80
	s_and_saveexec_b64 s[10:11], vcc
	s_cbranch_execz .LBB851_321
; %bb.320:
	v_and_b32_e32 v45, 7, v42
	v_ffbh_u32_e32 v52, v45
	v_min_u32_e32 v54, 32, v52
	v_subrev_u32_e32 v52, 28, v54
	v_lshlrev_b64 v[52:53], v52, v[42:43]
	v_lshrrev_b32_e32 v51, 3, v22
	v_sub_u32_e32 v53, 29, v54
	v_and_b32_e32 v52, 7, v52
	v_cmp_gt_u32_e32 vcc, 8, v22
	v_cndmask_b32_e32 v22, v51, v53, vcc
	v_cndmask_b32_e32 v45, v45, v52, vcc
	v_lshlrev_b32_e32 v42, 24, v42
	v_bfrev_b32_e32 v51, 60
	v_lshlrev_b32_e32 v45, 20, v45
	v_and_b32_e32 v42, 0x80000000, v42
	v_lshl_add_u32 v22, v22, 23, v51
	v_or3_b32 v22, v42, v22, v45
	v_lshrrev_b32_e32 v45, 16, v22
.LBB851_321:
	s_or_b64 exec, exec, s[10:11]
.LBB851_322:
	s_or_b64 exec, exec, s[8:9]
.LBB851_323:
	s_or_b64 exec, exec, s[2:3]
	v_mov_b32_e32 v42, 0
	v_cmp_ne_u16_sdwa s[8:9], v23, v42 src0_sel:BYTE_0 src1_sel:DWORD
	v_mov_b32_e32 v51, 0
	s_and_saveexec_b64 s[2:3], s[8:9]
	s_cbranch_execz .LBB851_329
; %bb.324:
	s_movk_i32 s8, 0x80
	v_cmp_ne_u16_sdwa s[10:11], v23, s8 src0_sel:BYTE_0 src1_sel:DWORD
	v_mov_b32_e32 v51, 0xffff8000
	s_and_saveexec_b64 s[8:9], s[10:11]
	s_cbranch_execz .LBB851_328
; %bb.325:
	s_movk_i32 s10, 0x7f
	v_and_b32_e32 v22, 0x7f, v23
	v_cmp_ne_u32_e32 vcc, s10, v22
	v_mov_b32_e32 v51, 0x7f80
	s_and_saveexec_b64 s[10:11], vcc
	s_cbranch_execz .LBB851_327
; %bb.326:
	v_and_b32_e32 v51, 7, v23
	v_ffbh_u32_e32 v53, v51
	v_min_u32_e32 v55, 32, v53
	v_mov_b32_e32 v52, v23
	v_subrev_u32_e32 v53, 28, v55
	v_lshlrev_b64 v[52:53], v53, v[52:53]
	v_lshrrev_b32_e32 v54, 3, v22
	v_sub_u32_e32 v53, 29, v55
	v_and_b32_e32 v52, 7, v52
	v_cmp_gt_u32_e32 vcc, 8, v22
	v_cndmask_b32_e32 v22, v54, v53, vcc
	v_cndmask_b32_e32 v51, v51, v52, vcc
	v_lshlrev_b32_e32 v52, 24, v23
	v_bfrev_b32_e32 v53, 60
	v_lshlrev_b32_e32 v51, 20, v51
	v_and_b32_e32 v52, 0x80000000, v52
	v_lshl_add_u32 v22, v22, 23, v53
	v_or3_b32 v22, v52, v22, v51
	v_lshrrev_b32_e32 v51, 16, v22
.LBB851_327:
	s_or_b64 exec, exec, s[10:11]
.LBB851_328:
	s_or_b64 exec, exec, s[8:9]
.LBB851_329:
	s_or_b64 exec, exec, s[2:3]
	v_lshrrev_b16_e32 v22, 8, v23
	v_cmp_ne_u16_e32 vcc, 0, v22
	s_and_saveexec_b64 s[2:3], vcc
	s_cbranch_execz .LBB851_335
; %bb.330:
	s_movk_i32 s8, 0x80
	v_cmp_ne_u16_e32 vcc, s8, v22
	v_mov_b32_e32 v42, 0xffff8000
	s_and_saveexec_b64 s[8:9], vcc
	s_cbranch_execz .LBB851_334
; %bb.331:
	s_movk_i32 s10, 0x7f
	v_and_b32_e32 v52, 0x7f, v22
	v_cmp_ne_u32_e32 vcc, s10, v52
	v_mov_b32_e32 v42, 0x7f80
	s_and_saveexec_b64 s[10:11], vcc
	s_cbranch_execz .LBB851_333
; %bb.332:
	v_and_b32_e32 v42, 7, v22
	v_ffbh_u32_e32 v54, v42
	v_min_u32_e32 v56, 32, v54
	v_subrev_u32_e32 v54, 28, v56
	v_lshlrev_b64 v[54:55], v54, v[22:23]
	v_lshrrev_b32_e32 v53, 3, v52
	v_sub_u32_e32 v22, 29, v56
	v_and_b32_e32 v54, 7, v54
	v_cmp_gt_u32_e32 vcc, 8, v52
	v_cndmask_b32_e32 v22, v53, v22, vcc
	v_cndmask_b32_e32 v42, v42, v54, vcc
	v_lshlrev_b32_e32 v52, 16, v23
	v_bfrev_b32_e32 v53, 60
	v_lshlrev_b32_e32 v42, 20, v42
	v_and_b32_e32 v52, 0x80000000, v52
	v_lshl_add_u32 v22, v22, 23, v53
	v_or3_b32 v22, v52, v22, v42
	v_lshrrev_b32_e32 v42, 16, v22
.LBB851_333:
	s_or_b64 exec, exec, s[10:11]
.LBB851_334:
	s_or_b64 exec, exec, s[8:9]
.LBB851_335:
	s_or_b64 exec, exec, s[2:3]
	s_movk_i32 s2, 0xff
	v_and_b32_sdwa v54, v23, s2 dst_sel:DWORD dst_unused:UNUSED_PAD src0_sel:WORD_1 src1_sel:DWORD
	v_lshrrev_b32_e32 v22, 16, v23
	v_cmp_ne_u16_e32 vcc, 0, v54
	v_mov_b32_e32 v52, 0
	v_mov_b32_e32 v53, 0
	s_and_saveexec_b64 s[2:3], vcc
	s_cbranch_execz .LBB851_341
; %bb.336:
	s_movk_i32 s8, 0x80
	v_cmp_ne_u16_e32 vcc, s8, v54
	v_mov_b32_e32 v53, 0xffff8000
	s_and_saveexec_b64 s[8:9], vcc
	s_cbranch_execz .LBB851_340
; %bb.337:
	v_bfe_u32 v54, v23, 16, 7
	s_movk_i32 s10, 0x7f
	v_cmp_ne_u32_e32 vcc, s10, v54
	v_mov_b32_e32 v53, 0x7f80
	s_and_saveexec_b64 s[10:11], vcc
	s_cbranch_execz .LBB851_339
; %bb.338:
	v_and_b32_e32 v53, 7, v22
	v_ffbh_u32_e32 v56, v53
	v_min_u32_e32 v58, 32, v56
	v_subrev_u32_e32 v56, 28, v58
	v_lshlrev_b64 v[56:57], v56, v[22:23]
	v_lshrrev_b32_e32 v55, 3, v54
	v_sub_u32_e32 v22, 29, v58
	v_and_b32_e32 v56, 7, v56
	v_cmp_gt_u32_e32 vcc, 8, v54
	v_mov_b32_e32 v54, 24
	v_cndmask_b32_e32 v22, v55, v22, vcc
	v_cndmask_b32_e32 v53, v53, v56, vcc
	v_lshlrev_b32_sdwa v54, v54, v23 dst_sel:DWORD dst_unused:UNUSED_PAD src0_sel:DWORD src1_sel:WORD_1
	v_bfrev_b32_e32 v55, 60
	v_lshlrev_b32_e32 v53, 20, v53
	v_and_b32_e32 v54, 0x80000000, v54
	v_lshl_add_u32 v22, v22, 23, v55
	v_or3_b32 v22, v54, v22, v53
	v_lshrrev_b32_e32 v53, 16, v22
.LBB851_339:
	s_or_b64 exec, exec, s[10:11]
.LBB851_340:
	s_or_b64 exec, exec, s[8:9]
.LBB851_341:
	s_or_b64 exec, exec, s[2:3]
	s_mov_b32 s2, 0xffffff
	v_cmp_lt_u32_e32 vcc, s2, v23
	s_and_saveexec_b64 s[2:3], vcc
	s_cbranch_execz .LBB851_347
; %bb.342:
	v_lshrrev_b32_e32 v22, 24, v23
	s_movk_i32 s8, 0x80
	v_cmp_ne_u32_e32 vcc, s8, v22
	v_mov_b32_e32 v52, 0xffff8000
	s_and_saveexec_b64 s[8:9], vcc
	s_cbranch_execz .LBB851_346
; %bb.343:
	v_bfe_u32 v23, v23, 24, 7
	s_movk_i32 s10, 0x7f
	v_cmp_ne_u32_e32 vcc, s10, v23
	v_mov_b32_e32 v52, 0x7f80
	s_and_saveexec_b64 s[10:11], vcc
	s_cbranch_execz .LBB851_345
; %bb.344:
	v_and_b32_e32 v52, 7, v22
	v_ffbh_u32_e32 v54, v52
	v_min_u32_e32 v57, 32, v54
	v_subrev_u32_e32 v54, 28, v57
	v_lshlrev_b64 v[54:55], v54, v[22:23]
	v_lshrrev_b32_e32 v56, 3, v23
	v_sub_u32_e32 v55, 29, v57
	v_and_b32_e32 v54, 7, v54
	v_cmp_gt_u32_e32 vcc, 8, v23
	v_cndmask_b32_e32 v23, v56, v55, vcc
	v_cndmask_b32_e32 v52, v52, v54, vcc
	v_lshlrev_b32_e32 v22, 24, v22
	v_bfrev_b32_e32 v54, 60
	v_lshlrev_b32_e32 v52, 20, v52
	v_and_b32_e32 v22, 0x80000000, v22
	v_lshl_add_u32 v23, v23, 23, v54
	v_or3_b32 v22, v22, v23, v52
	v_lshrrev_b32_e32 v52, 16, v22
.LBB851_345:
	s_or_b64 exec, exec, s[10:11]
.LBB851_346:
	s_or_b64 exec, exec, s[8:9]
.LBB851_347:
	s_or_b64 exec, exec, s[2:3]
	s_mov_b32 s2, 0x5040100
	v_perm_b32 v23, v45, v50, s2
	v_perm_b32 v22, v43, v44, s2
	s_nop 1
	v_mfma_f32_16x16x16bf16_1k v[54:57], v[22:23], v[26:27], 0
	v_perm_b32 v27, v52, v53, s2
	v_perm_b32 v26, v42, v51, s2
	v_mov_b32_e32 v23, 0
	v_cmp_ne_u16_sdwa s[8:9], v24, v23 src0_sel:BYTE_0 src1_sel:DWORD
	v_mov_b32_e32 v42, 0
	v_mfma_f32_16x16x16bf16_1k v[26:29], v[26:27], v[28:29], v[54:57]
	s_and_saveexec_b64 s[2:3], s[8:9]
	s_cbranch_execz .LBB851_353
; %bb.348:
	s_movk_i32 s8, 0x80
	v_cmp_ne_u16_sdwa s[10:11], v24, s8 src0_sel:BYTE_0 src1_sel:DWORD
	v_mov_b32_e32 v42, 0xffff8000
	s_and_saveexec_b64 s[8:9], s[10:11]
	s_cbranch_execz .LBB851_352
; %bb.349:
	s_movk_i32 s10, 0x7f
	v_and_b32_e32 v22, 0x7f, v24
	v_cmp_ne_u32_e32 vcc, s10, v22
	v_mov_b32_e32 v42, 0x7f80
	s_and_saveexec_b64 s[10:11], vcc
	s_cbranch_execz .LBB851_351
; %bb.350:
	v_and_b32_e32 v44, 7, v24
	v_ffbh_u32_e32 v42, v44
	v_min_u32_e32 v50, 32, v42
	v_subrev_u32_e32 v42, 28, v50
	v_lshlrev_b64 v[42:43], v42, v[24:25]
	v_lshrrev_b32_e32 v45, 3, v22
	v_sub_u32_e32 v43, 29, v50
	v_and_b32_e32 v42, 7, v42
	v_cmp_gt_u32_e32 vcc, 8, v22
	v_cndmask_b32_e32 v22, v45, v43, vcc
	v_cndmask_b32_e32 v42, v44, v42, vcc
	v_lshlrev_b32_e32 v43, 24, v24
	v_bfrev_b32_e32 v44, 60
	v_lshlrev_b32_e32 v42, 20, v42
	v_and_b32_e32 v43, 0x80000000, v43
	v_lshl_add_u32 v22, v22, 23, v44
	v_or3_b32 v22, v43, v22, v42
	v_lshrrev_b32_e32 v42, 16, v22
.LBB851_351:
	s_or_b64 exec, exec, s[10:11]
.LBB851_352:
	s_or_b64 exec, exec, s[8:9]
.LBB851_353:
	s_or_b64 exec, exec, s[2:3]
	v_lshrrev_b16_e32 v22, 8, v24
	v_cmp_ne_u16_e32 vcc, 0, v22
	s_and_saveexec_b64 s[2:3], vcc
	s_cbranch_execz .LBB851_359
; %bb.354:
	s_movk_i32 s8, 0x80
	v_cmp_ne_u16_e32 vcc, s8, v22
	v_mov_b32_e32 v23, 0xffff8000
	s_and_saveexec_b64 s[8:9], vcc
	s_cbranch_execz .LBB851_358
; %bb.355:
	s_movk_i32 s10, 0x7f
	v_and_b32_e32 v43, 0x7f, v22
	v_cmp_ne_u32_e32 vcc, s10, v43
	v_mov_b32_e32 v23, 0x7f80
	s_and_saveexec_b64 s[10:11], vcc
	s_cbranch_execz .LBB851_357
; %bb.356:
	v_and_b32_e32 v44, 7, v22
	v_ffbh_u32_e32 v23, v44
	v_min_u32_e32 v50, 32, v23
	v_subrev_u32_e32 v23, 28, v50
	v_lshlrev_b64 v[22:23], v23, v[22:23]
	v_lshrrev_b32_e32 v45, 3, v43
	v_sub_u32_e32 v23, 29, v50
	v_and_b32_e32 v22, 7, v22
	v_cmp_gt_u32_e32 vcc, 8, v43
	v_cndmask_b32_e32 v23, v45, v23, vcc
	v_cndmask_b32_e32 v22, v44, v22, vcc
	v_lshlrev_b32_e32 v43, 16, v24
	v_bfrev_b32_e32 v44, 60
	v_lshlrev_b32_e32 v22, 20, v22
	v_and_b32_e32 v43, 0x80000000, v43
	v_lshl_add_u32 v23, v23, 23, v44
	v_or3_b32 v22, v43, v23, v22
	v_lshrrev_b32_e32 v23, 16, v22
.LBB851_357:
	s_or_b64 exec, exec, s[10:11]
.LBB851_358:
	s_or_b64 exec, exec, s[8:9]
.LBB851_359:
	s_or_b64 exec, exec, s[2:3]
	s_movk_i32 s2, 0xff
	v_and_b32_sdwa v45, v24, s2 dst_sel:DWORD dst_unused:UNUSED_PAD src0_sel:WORD_1 src1_sel:DWORD
	v_lshrrev_b32_e32 v22, 16, v24
	v_cmp_ne_u16_e32 vcc, 0, v45
	v_mov_b32_e32 v43, 0
	v_mov_b32_e32 v44, 0
	s_and_saveexec_b64 s[2:3], vcc
	s_cbranch_execz .LBB851_365
; %bb.360:
	s_movk_i32 s8, 0x80
	v_cmp_ne_u16_e32 vcc, s8, v45
	v_mov_b32_e32 v44, 0xffff8000
	s_and_saveexec_b64 s[8:9], vcc
	s_cbranch_execz .LBB851_364
; %bb.361:
	v_bfe_u32 v45, v24, 16, 7
	s_movk_i32 s10, 0x7f
	v_cmp_ne_u32_e32 vcc, s10, v45
	v_mov_b32_e32 v44, 0x7f80
	s_and_saveexec_b64 s[10:11], vcc
	s_cbranch_execz .LBB851_363
; %bb.362:
	v_and_b32_e32 v44, 7, v22
	v_ffbh_u32_e32 v50, v44
	v_min_u32_e32 v53, 32, v50
	v_subrev_u32_e32 v50, 28, v53
	v_lshlrev_b64 v[50:51], v50, v[22:23]
	v_lshrrev_b32_e32 v52, 3, v45
	v_sub_u32_e32 v22, 29, v53
	v_and_b32_e32 v50, 7, v50
	v_cmp_gt_u32_e32 vcc, 8, v45
	v_mov_b32_e32 v45, 24
	v_cndmask_b32_e32 v22, v52, v22, vcc
	v_cndmask_b32_e32 v44, v44, v50, vcc
	v_lshlrev_b32_sdwa v45, v45, v24 dst_sel:DWORD dst_unused:UNUSED_PAD src0_sel:DWORD src1_sel:WORD_1
	v_bfrev_b32_e32 v50, 60
	v_lshlrev_b32_e32 v44, 20, v44
	v_and_b32_e32 v45, 0x80000000, v45
	v_lshl_add_u32 v22, v22, 23, v50
	v_or3_b32 v22, v45, v22, v44
	v_lshrrev_b32_e32 v44, 16, v22
.LBB851_363:
	s_or_b64 exec, exec, s[10:11]
.LBB851_364:
	s_or_b64 exec, exec, s[8:9]
.LBB851_365:
	s_or_b64 exec, exec, s[2:3]
	s_mov_b32 s2, 0xffffff
	v_cmp_lt_u32_e32 vcc, s2, v24
	s_and_saveexec_b64 s[2:3], vcc
	s_cbranch_execz .LBB851_371
; %bb.366:
	v_lshrrev_b32_e32 v22, 24, v24
	s_movk_i32 s8, 0x80
	v_cmp_ne_u32_e32 vcc, s8, v22
	v_mov_b32_e32 v43, 0xffff8000
	s_and_saveexec_b64 s[8:9], vcc
	s_cbranch_execz .LBB851_370
; %bb.367:
	v_bfe_u32 v24, v24, 24, 7
	s_movk_i32 s10, 0x7f
	v_cmp_ne_u32_e32 vcc, s10, v24
	v_mov_b32_e32 v43, 0x7f80
	s_and_saveexec_b64 s[10:11], vcc
	s_cbranch_execz .LBB851_369
; %bb.368:
	v_and_b32_e32 v43, 7, v22
	v_ffbh_u32_e32 v50, v43
	v_min_u32_e32 v52, 32, v50
	v_subrev_u32_e32 v50, 28, v52
	v_lshlrev_b64 v[50:51], v50, v[22:23]
	v_lshrrev_b32_e32 v45, 3, v24
	v_sub_u32_e32 v51, 29, v52
	v_and_b32_e32 v50, 7, v50
	v_cmp_gt_u32_e32 vcc, 8, v24
	v_cndmask_b32_e32 v24, v45, v51, vcc
	v_cndmask_b32_e32 v43, v43, v50, vcc
	v_lshlrev_b32_e32 v22, 24, v22
	v_bfrev_b32_e32 v45, 60
	v_lshlrev_b32_e32 v43, 20, v43
	v_and_b32_e32 v22, 0x80000000, v22
	v_lshl_add_u32 v24, v24, 23, v45
	v_or3_b32 v22, v22, v24, v43
	v_lshrrev_b32_e32 v43, 16, v22
.LBB851_369:
	s_or_b64 exec, exec, s[10:11]
.LBB851_370:
	s_or_b64 exec, exec, s[8:9]
.LBB851_371:
	s_or_b64 exec, exec, s[2:3]
	v_mov_b32_e32 v24, 0
	v_cmp_ne_u16_sdwa s[8:9], v25, v24 src0_sel:BYTE_0 src1_sel:DWORD
	v_mov_b32_e32 v50, 0
	s_and_saveexec_b64 s[2:3], s[8:9]
	s_cbranch_execz .LBB851_377
; %bb.372:
	s_movk_i32 s8, 0x80
	v_cmp_ne_u16_sdwa s[10:11], v25, s8 src0_sel:BYTE_0 src1_sel:DWORD
	v_mov_b32_e32 v50, 0xffff8000
	s_and_saveexec_b64 s[8:9], s[10:11]
	s_cbranch_execz .LBB851_376
; %bb.373:
	s_movk_i32 s10, 0x7f
	v_and_b32_e32 v22, 0x7f, v25
	v_cmp_ne_u32_e32 vcc, s10, v22
	v_mov_b32_e32 v50, 0x7f80
	s_and_saveexec_b64 s[10:11], vcc
	s_cbranch_execz .LBB851_375
; %bb.374:
	v_and_b32_e32 v45, 7, v25
	v_ffbh_u32_e32 v51, v45
	v_min_u32_e32 v53, 32, v51
	v_mov_b32_e32 v50, v25
	v_subrev_u32_e32 v51, 28, v53
	v_lshlrev_b64 v[50:51], v51, v[50:51]
	v_lshrrev_b32_e32 v52, 3, v22
	v_sub_u32_e32 v51, 29, v53
	v_and_b32_e32 v50, 7, v50
	v_cmp_gt_u32_e32 vcc, 8, v22
	v_cndmask_b32_e32 v22, v52, v51, vcc
	v_cndmask_b32_e32 v45, v45, v50, vcc
	v_lshlrev_b32_e32 v50, 24, v25
	v_bfrev_b32_e32 v51, 60
	v_lshlrev_b32_e32 v45, 20, v45
	v_and_b32_e32 v50, 0x80000000, v50
	v_lshl_add_u32 v22, v22, 23, v51
	v_or3_b32 v22, v50, v22, v45
	v_lshrrev_b32_e32 v50, 16, v22
.LBB851_375:
	s_or_b64 exec, exec, s[10:11]
.LBB851_376:
	s_or_b64 exec, exec, s[8:9]
.LBB851_377:
	s_or_b64 exec, exec, s[2:3]
	v_lshrrev_b16_e32 v22, 8, v25
	v_cmp_ne_u16_e32 vcc, 0, v22
	s_and_saveexec_b64 s[2:3], vcc
	s_cbranch_execz .LBB851_383
; %bb.378:
	s_movk_i32 s8, 0x80
	v_cmp_ne_u16_e32 vcc, s8, v22
	v_mov_b32_e32 v24, 0xffff8000
	s_and_saveexec_b64 s[8:9], vcc
	s_cbranch_execz .LBB851_382
; %bb.379:
	s_movk_i32 s10, 0x7f
	v_and_b32_e32 v45, 0x7f, v22
	v_cmp_ne_u32_e32 vcc, s10, v45
	v_mov_b32_e32 v24, 0x7f80
	s_and_saveexec_b64 s[10:11], vcc
	s_cbranch_execz .LBB851_381
; %bb.380:
	v_and_b32_e32 v24, 7, v22
	v_ffbh_u32_e32 v52, v24
	v_min_u32_e32 v54, 32, v52
	v_subrev_u32_e32 v52, 28, v54
	v_lshlrev_b64 v[52:53], v52, v[22:23]
	v_lshrrev_b32_e32 v51, 3, v45
	v_sub_u32_e32 v22, 29, v54
	v_and_b32_e32 v52, 7, v52
	v_cmp_gt_u32_e32 vcc, 8, v45
	v_cndmask_b32_e32 v22, v51, v22, vcc
	v_cndmask_b32_e32 v24, v24, v52, vcc
	v_lshlrev_b32_e32 v45, 16, v25
	v_bfrev_b32_e32 v51, 60
	v_lshlrev_b32_e32 v24, 20, v24
	v_and_b32_e32 v45, 0x80000000, v45
	v_lshl_add_u32 v22, v22, 23, v51
	v_or3_b32 v22, v45, v22, v24
	v_lshrrev_b32_e32 v24, 16, v22
.LBB851_381:
	s_or_b64 exec, exec, s[10:11]
.LBB851_382:
	s_or_b64 exec, exec, s[8:9]
.LBB851_383:
	s_or_b64 exec, exec, s[2:3]
	s_movk_i32 s2, 0xff
	v_and_b32_sdwa v45, v25, s2 dst_sel:DWORD dst_unused:UNUSED_PAD src0_sel:WORD_1 src1_sel:DWORD
	v_lshrrev_b32_e32 v22, 16, v25
	v_cmp_ne_u16_e32 vcc, 0, v45
	v_mov_b32_e32 v51, 0
	v_mov_b32_e32 v52, 0
	s_and_saveexec_b64 s[2:3], vcc
	s_cbranch_execz .LBB851_389
; %bb.384:
	s_movk_i32 s8, 0x80
	v_cmp_ne_u16_e32 vcc, s8, v45
	v_mov_b32_e32 v52, 0xffff8000
	s_and_saveexec_b64 s[8:9], vcc
	s_cbranch_execz .LBB851_388
; %bb.385:
	v_bfe_u32 v45, v25, 16, 7
	s_movk_i32 s10, 0x7f
	v_cmp_ne_u32_e32 vcc, s10, v45
	v_mov_b32_e32 v52, 0x7f80
	s_and_saveexec_b64 s[10:11], vcc
	s_cbranch_execz .LBB851_387
; %bb.386:
	v_and_b32_e32 v54, 7, v22
	v_ffbh_u32_e32 v52, v54
	v_min_u32_e32 v56, 32, v52
	v_subrev_u32_e32 v52, 28, v56
	v_lshlrev_b64 v[52:53], v52, v[22:23]
	v_and_b32_e32 v52, 7, v52
	v_cmp_gt_u32_e32 vcc, 8, v45
	v_lshrrev_b32_e32 v55, 3, v45
	v_sub_u32_e32 v22, 29, v56
	v_cndmask_b32_e32 v45, v54, v52, vcc
	v_mov_b32_e32 v52, 24
	v_cndmask_b32_e32 v22, v55, v22, vcc
	v_lshlrev_b32_sdwa v52, v52, v25 dst_sel:DWORD dst_unused:UNUSED_PAD src0_sel:DWORD src1_sel:WORD_1
	v_bfrev_b32_e32 v53, 60
	v_lshlrev_b32_e32 v45, 20, v45
	v_and_b32_e32 v52, 0x80000000, v52
	v_lshl_add_u32 v22, v22, 23, v53
	v_or3_b32 v22, v52, v22, v45
	v_lshrrev_b32_e32 v52, 16, v22
.LBB851_387:
	s_or_b64 exec, exec, s[10:11]
.LBB851_388:
	s_or_b64 exec, exec, s[8:9]
.LBB851_389:
	s_or_b64 exec, exec, s[2:3]
	s_mov_b32 s2, 0xffffff
	v_and_b32_e32 v45, 63, v0
	v_cmp_lt_u32_e32 vcc, s2, v25
	s_and_saveexec_b64 s[2:3], vcc
	s_cbranch_execz .LBB851_395
; %bb.390:
	v_lshrrev_b32_e32 v22, 24, v25
	s_movk_i32 s8, 0x80
	v_cmp_ne_u32_e32 vcc, s8, v22
	v_mov_b32_e32 v51, 0xffff8000
	s_and_saveexec_b64 s[8:9], vcc
	s_cbranch_execz .LBB851_394
; %bb.391:
	v_bfe_u32 v25, v25, 24, 7
	s_movk_i32 s10, 0x7f
	v_cmp_ne_u32_e32 vcc, s10, v25
	v_mov_b32_e32 v51, 0x7f80
	s_and_saveexec_b64 s[10:11], vcc
	s_cbranch_execz .LBB851_393
; %bb.392:
	v_and_b32_e32 v51, 7, v22
	v_ffbh_u32_e32 v54, v51
	v_min_u32_e32 v56, 32, v54
	v_subrev_u32_e32 v54, 28, v56
	v_lshlrev_b64 v[54:55], v54, v[22:23]
	v_lshrrev_b32_e32 v53, 3, v25
	v_sub_u32_e32 v55, 29, v56
	v_and_b32_e32 v54, 7, v54
	v_cmp_gt_u32_e32 vcc, 8, v25
	v_cndmask_b32_e32 v25, v53, v55, vcc
	v_cndmask_b32_e32 v51, v51, v54, vcc
	v_lshlrev_b32_e32 v22, 24, v22
	v_bfrev_b32_e32 v53, 60
	v_lshlrev_b32_e32 v51, 20, v51
	v_and_b32_e32 v22, 0x80000000, v22
	v_lshl_add_u32 v25, v25, 23, v53
	v_or3_b32 v22, v22, v25, v51
	v_lshrrev_b32_e32 v51, 16, v22
.LBB851_393:
	s_or_b64 exec, exec, s[10:11]
.LBB851_394:
	s_or_b64 exec, exec, s[8:9]
.LBB851_395:
	s_or_b64 exec, exec, s[2:3]
	s_mov_b32 s3, 0x5040100
	v_perm_b32 v43, v43, v44, s3
	v_perm_b32 v42, v23, v42, s3
	s_load_dword s2, s[4:5], 0x1c
	s_mov_b32 s46, 0xff7fffff
	s_waitcnt lgkmcnt(0)
	v_mfma_f32_16x16x16bf16_1k v[26:29], v[42:43], v[18:19], v[26:29]
	v_perm_b32 v19, v51, v52, s3
	v_perm_b32 v18, v24, v50, s3
	v_and_b32_e32 v24, 0xc0, v0
	v_mov_b32_e32 v22, s2
	v_add_u32_e32 v24, s20, v24
	v_mul_f32_e32 v44, s12, v22
	v_lshl_or_b32 v42, v1, 2, v24
	v_mfma_f32_16x16x16bf16_1k v[18:21], v[18:19], v[20:21], v[26:29]
	v_pk_mul_f32 v[22:23], v[44:45], v[36:37] op_sel_hi:[0,1]
	v_pk_mul_f32 v[36:37], v[44:45], v[40:41] op_sel_hi:[0,1]
	;; [unrolled: 1-line block ×4, first 2 shown]
	v_mov_b32_e32 v43, 0xff7fffff
	v_cmp_gt_i32_e64 s[26:27], s33, v42
	v_pk_mul_f32 v[38:39], v[44:45], v[38:39] op_sel_hi:[0,1]
	s_nop 3
	v_pk_mul_f32 v[32:33], v[44:45], v[18:19] op_sel_hi:[0,1]
	v_or_b32_e32 v19, 1, v42
	v_cmp_gt_i32_e64 s[28:29], s33, v19
	v_cndmask_b32_e64 v18, v43, v30, s[26:27]
	v_cndmask_b32_e64 v19, v43, v31, s[28:29]
	v_pk_mul_f32 v[24:25], v[44:45], v[20:21] op_sel_hi:[0,1]
	v_max3_f32 v18, v18, s46, v19
	v_or_b32_e32 v19, 2, v42
	v_or_b32_e32 v20, 3, v42
	v_cmp_gt_i32_e64 s[30:31], s33, v19
	v_cmp_gt_i32_e64 s[34:35], s33, v20
	v_cndmask_b32_e64 v19, v43, v40, s[30:31]
	v_cndmask_b32_e64 v20, v43, v41, s[34:35]
	v_max3_f32 v18, v18, v19, v20
	v_or_b32_e32 v19, 16, v42
	v_or_b32_e32 v20, 17, v42
	v_cmp_gt_i32_e64 s[36:37], s33, v19
	v_cmp_gt_i32_e64 s[38:39], s33, v20
	v_cndmask_b32_e64 v19, v43, v38, s[36:37]
	v_cndmask_b32_e64 v20, v43, v39, s[38:39]
	;; [unrolled: 7-line block ×3, first 2 shown]
	v_max3_f32 v18, v18, v19, v20
	v_or_b32_e32 v19, 32, v42
	v_or_b32_e32 v20, 33, v42
	v_pk_mul_f32 v[34:35], v[44:45], v[34:35] op_sel_hi:[0,1]
	v_cmp_gt_i32_e64 s[16:17], s33, v19
	v_cmp_gt_i32_e64 s[18:19], s33, v20
	v_cndmask_b32_e64 v19, v43, v34, s[16:17]
	v_cndmask_b32_e64 v20, v43, v35, s[18:19]
	v_max3_f32 v18, v18, v19, v20
	v_or_b32_e32 v19, 34, v42
	v_or_b32_e32 v20, 35, v42
	v_cmp_gt_i32_e64 s[12:13], s33, v19
	v_cmp_gt_i32_e64 s[14:15], s33, v20
	v_cndmask_b32_e64 v19, v43, v22, s[12:13]
	v_cndmask_b32_e64 v20, v43, v23, s[14:15]
	v_max3_f32 v18, v18, v19, v20
	v_or_b32_e32 v19, 48, v42
	v_or_b32_e32 v20, 49, v42
	;; [unrolled: 7-line block ×3, first 2 shown]
	v_cmp_gt_i32_e32 vcc, s33, v19
	v_cmp_gt_i32_e64 s[2:3], s33, v20
	v_cndmask_b32_e32 v19, v43, v24, vcc
	v_cndmask_b32_e64 v20, v43, v25, s[2:3]
	v_max3_f32 v18, v18, v19, v20
	v_mbcnt_lo_u32_b32 v19, -1, 0
	v_mbcnt_hi_u32_b32 v19, -1, v19
	v_and_b32_e32 v20, 64, v19
	v_add_u32_e32 v20, 64, v20
	v_xor_b32_e32 v21, 32, v19
	v_cmp_lt_i32_e64 s[40:41], v21, v20
	v_cndmask_b32_e64 v21, v19, v21, s[40:41]
	v_lshlrev_b32_e32 v43, 2, v21
	ds_bpermute_b32 v21, v43, v18
	s_barrier
	s_waitcnt lgkmcnt(0)
	v_max_f32_e32 v21, v21, v21
	v_max_f32_e32 v18, v18, v21
	v_xor_b32_e32 v21, 16, v19
	v_cmp_lt_i32_e64 s[40:41], v21, v20
	v_cndmask_b32_e64 v19, v19, v21, s[40:41]
	v_lshlrev_b32_e32 v44, 2, v19
	ds_bpermute_b32 v19, v44, v18
	s_waitcnt lgkmcnt(0)
	v_max_f32_e32 v19, v19, v19
	v_max_f32_e32 v42, v18, v19
	v_sub_f32_e32 v21, v40, v42
	v_sub_f32_e32 v26, v41, v42
	v_mul_f32_e32 v21, 0x3fb8aa3b, v21
	v_mul_f32_e32 v26, 0x3fb8aa3b, v26
	v_sub_f32_e32 v18, v30, v42
	v_exp_f32_e32 v21, v21
	v_exp_f32_e32 v26, v26
	v_mul_f32_e32 v18, 0x3fb8aa3b, v18
	v_sub_f32_e32 v19, v31, v42
	v_exp_f32_e32 v18, v18
	v_mul_f32_e32 v19, 0x3fb8aa3b, v19
	v_exp_f32_e32 v19, v19
	v_cndmask_b32_e64 v28, 0, v21, s[30:31]
	v_cndmask_b32_e64 v29, 0, v26, s[34:35]
	v_sub_f32_e32 v21, v38, v42
	v_sub_f32_e32 v26, v39, v42
	v_mul_f32_e32 v21, 0x3fb8aa3b, v21
	v_mul_f32_e32 v26, 0x3fb8aa3b, v26
	v_cndmask_b32_e64 v18, 0, v18, s[26:27]
	v_exp_f32_e32 v21, v21
	v_exp_f32_e32 v26, v26
	v_add_f32_e32 v20, 0, v18
	v_cndmask_b32_e64 v19, 0, v19, s[28:29]
	v_add_f32_e32 v20, v20, v19
	v_add_f32_e32 v20, v20, v28
	;; [unrolled: 1-line block ×3, first 2 shown]
	v_cndmask_b32_e64 v20, 0, v21, s[36:37]
	v_cndmask_b32_e64 v21, 0, v26, s[38:39]
	v_sub_f32_e32 v26, v36, v42
	v_mul_f32_e32 v26, 0x3fb8aa3b, v26
	v_exp_f32_e32 v26, v26
	v_sub_f32_e32 v30, v37, v42
	v_add_f32_e32 v27, v27, v20
	v_mul_f32_e32 v30, 0x3fb8aa3b, v30
	v_exp_f32_e32 v31, v30
	v_add_f32_e32 v27, v27, v21
	v_cndmask_b32_e64 v30, 0, v26, s[20:21]
	v_add_f32_e32 v26, v27, v30
	v_sub_f32_e32 v27, v34, v42
	v_mul_f32_e32 v27, 0x3fb8aa3b, v27
	v_sub_f32_e32 v34, v35, v42
	v_exp_f32_e32 v27, v27
	v_mul_f32_e32 v34, 0x3fb8aa3b, v34
	v_sub_f32_e32 v22, v22, v42
	v_exp_f32_e32 v34, v34
	;; [unrolled: 3-line block ×3, first 2 shown]
	v_mul_f32_e32 v23, 0x3fb8aa3b, v23
	v_cndmask_b32_e64 v31, 0, v31, s[22:23]
	v_exp_f32_e32 v23, v23
	v_add_f32_e32 v35, v26, v31
	v_cndmask_b32_e64 v26, 0, v27, s[16:17]
	v_add_f32_e32 v35, v35, v26
	v_cndmask_b32_e64 v27, 0, v34, s[18:19]
	;; [unrolled: 2-line block ×4, first 2 shown]
	v_sub_f32_e32 v23, v32, v42
	v_mul_f32_e32 v23, 0x3fb8aa3b, v23
	v_sub_f32_e32 v32, v33, v42
	v_exp_f32_e32 v23, v23
	v_mul_f32_e32 v32, 0x3fb8aa3b, v32
	v_sub_f32_e32 v24, v24, v42
	v_exp_f32_e32 v32, v32
	;; [unrolled: 3-line block ×3, first 2 shown]
	v_mul_f32_e32 v25, 0x3fb8aa3b, v25
	v_exp_f32_e32 v25, v25
	v_add_f32_e32 v33, v22, v35
	v_cndmask_b32_e64 v22, 0, v23, s[8:9]
	v_add_f32_e32 v33, v33, v22
	v_cndmask_b32_e64 v23, 0, v32, s[10:11]
	v_add_f32_e32 v32, v33, v23
	v_cndmask_b32_e32 v24, 0, v24, vcc
	v_add_f32_e32 v32, v32, v24
	v_cndmask_b32_e64 v25, 0, v25, s[2:3]
	v_add_f32_e32 v32, v32, v25
	ds_bpermute_b32 v33, v43, v32
	v_cmp_gt_u32_e32 vcc, 16, v45
	s_waitcnt lgkmcnt(0)
	v_add_f32_e32 v32, v32, v33
	ds_bpermute_b32 v36, v44, v32
	v_lshlrev_b32_e32 v33, 2, v48
	s_and_saveexec_b64 s[2:3], vcc
	s_cbranch_execz .LBB851_397
; %bb.396:
	s_waitcnt lgkmcnt(0)
	v_add_f32_e32 v32, v32, v36
	v_lshl_or_b32 v36, v49, 6, v33
	ds_write2st64_b32 v36, v42, v32 offset1:1
.LBB851_397:
	s_or_b64 exec, exec, s[2:3]
	s_waitcnt lgkmcnt(0)
	s_barrier
	ds_read2_b32 v[36:37], v33 offset1:16
	ds_read2_b32 v[38:39], v33 offset0:32 offset1:48
	ds_read2_b32 v[40:41], v33 offset0:64 offset1:80
	s_mul_i32 s12, s45, 6
	s_waitcnt lgkmcnt(2)
	v_max3_f32 v32, v36, s46, v37
	s_waitcnt lgkmcnt(1)
	v_max3_f32 v32, v32, v38, v39
	v_sub_f32_e32 v36, v36, v32
	v_mul_f32_e32 v36, 0x3fb8aa3b, v36
	v_exp_f32_e32 v42, v36
	v_sub_f32_e32 v36, v37, v32
	v_mul_f32_e32 v36, 0x3fb8aa3b, v36
	v_exp_f32_e32 v43, v36
	;; [unrolled: 3-line block ×3, first 2 shown]
	ds_read2_b32 v[36:37], v33 offset0:96 offset1:112
	v_sub_f32_e32 v33, v39, v32
	v_mul_f32_e32 v33, 0x3fb8aa3b, v33
	v_exp_f32_e32 v39, v33
	s_waitcnt lgkmcnt(1)
	v_fma_f32 v33, v42, v40, 0
	v_fmac_f32_e32 v33, v43, v41
	s_waitcnt lgkmcnt(0)
	v_fmac_f32_e32 v33, v38, v36
	v_fmac_f32_e32 v33, v39, v37
	v_add_f32_e32 v36, 0x358637bd, v33
	v_div_scale_f32 v37, s[2:3], v36, v36, 1.0
	v_rcp_f32_e32 v40, v37
	s_movk_i32 s2, 0x7fff
	s_mov_b32 s3, 0x7060302
	v_fma_f32 v41, -v37, v40, 1.0
	v_fmac_f32_e32 v40, v41, v40
	v_div_scale_f32 v41, vcc, 1.0, v36, 1.0
	v_mul_f32_e32 v44, v41, v40
	v_fma_f32 v45, -v37, v44, v41
	v_fmac_f32_e32 v44, v45, v40
	v_fma_f32 v37, -v37, v44, v41
	v_div_fmas_f32 v37, v37, v40, v44
	v_cmp_eq_u32_e32 vcc, 1, v49
	v_div_fixup_f32 v36, v37, v36, 1.0
	v_cndmask_b32_e32 v37, v42, v43, vcc
	v_cmp_eq_u32_e32 vcc, 2, v49
	v_cndmask_b32_e32 v37, v37, v38, vcc
	v_cmp_eq_u32_e32 vcc, 3, v49
	v_cndmask_b32_e32 v37, v37, v39, vcc
	v_mul_f32_e32 v36, v37, v36
	v_pk_mul_f32 v[18:19], v[36:37], v[18:19] op_sel_hi:[0,1]
	v_pk_mul_f32 v[28:29], v[36:37], v[28:29] op_sel_hi:[0,1]
	v_bfe_u32 v37, v19, 16, 1
	v_bfe_u32 v38, v18, 16, 1
	v_add3_u32 v18, v18, v38, s2
	v_add3_u32 v19, v19, v37, s2
	v_perm_b32 v38, v19, v18, s3
	v_bfe_u32 v18, v29, 16, 1
	v_bfe_u32 v19, v28, 16, 1
	v_add3_u32 v19, v28, v19, s2
	v_add3_u32 v18, v29, v18, s2
	v_perm_b32 v39, v18, v19, s3
	v_lshlrev_b32_e32 v18, 3, v1
	v_lshlrev_b32_e32 v19, 5, v48
	;; [unrolled: 1-line block ×3, first 2 shown]
	v_pk_mul_f32 v[20:21], v[36:37], v[20:21] op_sel_hi:[0,1]
	v_or3_b32 v28, v28, v19, v18
	v_bfe_u32 v18, v21, 16, 1
	v_bfe_u32 v29, v20, 16, 1
	v_pk_mul_f32 v[30:31], v[36:37], v[30:31] op_sel_hi:[0,1]
	v_add3_u32 v20, v20, v29, s2
	v_add3_u32 v18, v21, v18, s2
	v_perm_b32 v20, v18, v20, s3
	v_bfe_u32 v18, v31, 16, 1
	v_bfe_u32 v21, v30, 16, 1
	v_add3_u32 v21, v30, v21, s2
	v_add3_u32 v18, v31, v18, s2
	v_pk_mul_f32 v[26:27], v[36:37], v[26:27] op_sel_hi:[0,1]
	v_perm_b32 v21, v18, v21, s3
	v_bfe_u32 v18, v27, 16, 1
	v_bfe_u32 v29, v26, 16, 1
	s_barrier
	ds_write2st64_b64 v28, v[38:39], v[20:21] offset1:1
	v_pk_mul_f32 v[20:21], v[36:37], v[34:35] op_sel_hi:[0,1]
	v_add3_u32 v26, v26, v29, s2
	v_add3_u32 v18, v27, v18, s2
	v_perm_b32 v26, v18, v26, s3
	v_bfe_u32 v18, v21, 16, 1
	v_bfe_u32 v27, v20, 16, 1
	v_add3_u32 v20, v20, v27, s2
	v_add3_u32 v18, v21, v18, s2
	v_pk_mul_f32 v[22:23], v[36:37], v[22:23] op_sel_hi:[0,1]
	v_perm_b32 v27, v18, v20, s3
	v_pk_mul_f32 v[20:21], v[36:37], v[24:25] op_sel_hi:[0,1]
	v_bfe_u32 v18, v23, 16, 1
	v_bfe_u32 v24, v22, 16, 1
	v_add3_u32 v22, v22, v24, s2
	v_add3_u32 v18, v23, v18, s2
	v_perm_b32 v22, v18, v22, s3
	v_bfe_u32 v18, v21, 16, 1
	v_bfe_u32 v23, v20, 16, 1
	v_add3_u32 v20, v20, v23, s2
	v_add3_u32 v18, v21, v18, s2
	v_perm_b32 v23, v18, v20, s3
	v_cmp_gt_u32_e32 vcc, 6, v0
	ds_write2st64_b64 v28, v[26:27], v[22:23] offset0:2 offset1:3
	s_and_saveexec_b64 s[2:3], vcc
	s_cbranch_execz .LBB851_399
; %bb.398:
	v_add_co_u32_e32 v22, vcc, s25, v48
	v_addc_co_u32_e64 v23, s[14:15], 0, 0, vcc
	v_mov_b32_e32 v18, s12
	v_mov_b32_e32 v21, 0
	v_mad_u64_u32 v[22:23], s[14:15], s6, v18, v[22:23]
	v_mov_b32_e32 v20, s24
	s_load_dwordx4 s[8:11], s[4:5], 0x58
	s_mul_i32 s7, s7, s12
	v_mad_u64_u32 v[20:21], s[14:15], v22, s44, v[20:21]
	v_add_u32_e32 v23, s7, v23
	v_mov_b32_e32 v18, v21
	v_mad_u64_u32 v[22:23], s[14:15], v23, s44, v[18:19]
	v_mov_b32_e32 v21, v22
	v_lshlrev_b64 v[20:21], 2, v[20:21]
	s_waitcnt lgkmcnt(0)
	v_mov_b32_e32 v18, s11
	v_add_co_u32_e32 v22, vcc, s10, v20
	v_addc_co_u32_e32 v23, vcc, v18, v21, vcc
	v_mov_b32_e32 v18, s9
	v_add_co_u32_e32 v20, vcc, s8, v20
	v_addc_co_u32_e32 v21, vcc, v18, v21, vcc
	global_store_dword v[22:23], v32, off
	global_store_dword v[20:21], v33, off
.LBB851_399:
	s_or_b64 exec, exec, s[2:3]
	v_mov_b32_e32 v20, 0
	s_waitcnt vmcnt(3)
	v_cmp_ne_u16_sdwa s[8:9], v14, v20 src0_sel:BYTE_0 src1_sel:DWORD
	v_mov_b32_e32 v21, 0
	s_waitcnt lgkmcnt(0)
	s_barrier
	s_and_saveexec_b64 s[2:3], s[8:9]
	s_cbranch_execz .LBB851_405
; %bb.400:
	s_movk_i32 s7, 0x80
	v_cmp_ne_u16_sdwa s[10:11], v14, s7 src0_sel:BYTE_0 src1_sel:DWORD
	v_mov_b32_e32 v21, 0xffff8000
	s_and_saveexec_b64 s[8:9], s[10:11]
	s_cbranch_execz .LBB851_404
; %bb.401:
	s_movk_i32 s7, 0x7f
	v_and_b32_e32 v18, 0x7f, v14
	v_cmp_ne_u32_e32 vcc, s7, v18
	v_mov_b32_e32 v21, 0x7f80
	s_and_saveexec_b64 s[10:11], vcc
	s_cbranch_execz .LBB851_403
; %bb.402:
	v_and_b32_e32 v21, 7, v14
	v_ffbh_u32_e32 v22, v21
	v_min_u32_e32 v25, 32, v22
	v_subrev_u32_e32 v22, 28, v25
	v_lshlrev_b64 v[22:23], v22, v[14:15]
	v_lshrrev_b32_e32 v24, 3, v18
	v_sub_u32_e32 v23, 29, v25
	v_and_b32_e32 v22, 7, v22
	v_cmp_gt_u32_e32 vcc, 8, v18
	v_cndmask_b32_e32 v18, v24, v23, vcc
	v_cndmask_b32_e32 v21, v21, v22, vcc
	v_lshlrev_b32_e32 v22, 24, v14
	v_bfrev_b32_e32 v23, 60
	v_lshlrev_b32_e32 v21, 20, v21
	v_and_b32_e32 v22, 0x80000000, v22
	v_lshl_add_u32 v18, v18, 23, v23
	v_or3_b32 v18, v22, v18, v21
	v_lshrrev_b32_e32 v21, 16, v18
.LBB851_403:
	s_or_b64 exec, exec, s[10:11]
.LBB851_404:
	s_or_b64 exec, exec, s[8:9]
.LBB851_405:
	s_or_b64 exec, exec, s[2:3]
	v_lshrrev_b16_e32 v18, 8, v14
	v_cmp_ne_u16_e32 vcc, 0, v18
	s_and_saveexec_b64 s[2:3], vcc
	s_cbranch_execz .LBB851_411
; %bb.406:
	s_movk_i32 s7, 0x80
	v_cmp_ne_u16_e32 vcc, s7, v18
	v_mov_b32_e32 v20, 0xffff8000
	s_and_saveexec_b64 s[8:9], vcc
	s_cbranch_execz .LBB851_410
; %bb.407:
	s_movk_i32 s7, 0x7f
	v_and_b32_e32 v22, 0x7f, v18
	v_cmp_ne_u32_e32 vcc, s7, v22
	v_mov_b32_e32 v20, 0x7f80
	s_and_saveexec_b64 s[10:11], vcc
	s_cbranch_execz .LBB851_409
; %bb.408:
	v_and_b32_e32 v20, 7, v18
	v_ffbh_u32_e32 v24, v20
	v_min_u32_e32 v26, 32, v24
	v_subrev_u32_e32 v24, 28, v26
	v_lshlrev_b64 v[24:25], v24, v[18:19]
	v_lshrrev_b32_e32 v23, 3, v22
	v_sub_u32_e32 v18, 29, v26
	v_and_b32_e32 v24, 7, v24
	v_cmp_gt_u32_e32 vcc, 8, v22
	v_cndmask_b32_e32 v18, v23, v18, vcc
	v_cndmask_b32_e32 v20, v20, v24, vcc
	v_lshlrev_b32_e32 v22, 16, v14
	v_bfrev_b32_e32 v23, 60
	v_lshlrev_b32_e32 v20, 20, v20
	v_and_b32_e32 v22, 0x80000000, v22
	v_lshl_add_u32 v18, v18, 23, v23
	v_or3_b32 v18, v22, v18, v20
	v_lshrrev_b32_e32 v20, 16, v18
.LBB851_409:
	s_or_b64 exec, exec, s[10:11]
.LBB851_410:
	s_or_b64 exec, exec, s[8:9]
.LBB851_411:
	s_or_b64 exec, exec, s[2:3]
	s_movk_i32 s2, 0xff
	v_and_b32_sdwa v24, v14, s2 dst_sel:DWORD dst_unused:UNUSED_PAD src0_sel:WORD_1 src1_sel:DWORD
	v_lshrrev_b32_e32 v18, 16, v14
	v_cmp_ne_u16_e32 vcc, 0, v24
	v_mov_b32_e32 v22, 0
	v_mov_b32_e32 v23, 0
	s_and_saveexec_b64 s[2:3], vcc
	s_cbranch_execz .LBB851_417
; %bb.412:
	s_movk_i32 s7, 0x80
	v_cmp_ne_u16_e32 vcc, s7, v24
	v_mov_b32_e32 v23, 0xffff8000
	s_and_saveexec_b64 s[8:9], vcc
	s_cbranch_execz .LBB851_416
; %bb.413:
	v_bfe_u32 v24, v14, 16, 7
	s_movk_i32 s7, 0x7f
	v_cmp_ne_u32_e32 vcc, s7, v24
	v_mov_b32_e32 v23, 0x7f80
	s_and_saveexec_b64 s[10:11], vcc
	s_cbranch_execz .LBB851_415
; %bb.414:
	v_and_b32_e32 v23, 7, v18
	v_ffbh_u32_e32 v26, v23
	v_min_u32_e32 v29, 32, v26
	v_subrev_u32_e32 v26, 28, v29
	v_lshlrev_b64 v[26:27], v26, v[18:19]
	v_lshrrev_b32_e32 v25, 3, v24
	v_sub_u32_e32 v18, 29, v29
	v_and_b32_e32 v26, 7, v26
	v_cmp_gt_u32_e32 vcc, 8, v24
	v_mov_b32_e32 v24, 24
	v_cndmask_b32_e32 v18, v25, v18, vcc
	v_cndmask_b32_e32 v23, v23, v26, vcc
	v_lshlrev_b32_sdwa v24, v24, v14 dst_sel:DWORD dst_unused:UNUSED_PAD src0_sel:DWORD src1_sel:WORD_1
	v_bfrev_b32_e32 v25, 60
	v_lshlrev_b32_e32 v23, 20, v23
	v_and_b32_e32 v24, 0x80000000, v24
	v_lshl_add_u32 v18, v18, 23, v25
	v_or3_b32 v18, v24, v18, v23
	v_lshrrev_b32_e32 v23, 16, v18
.LBB851_415:
	s_or_b64 exec, exec, s[10:11]
.LBB851_416:
	s_or_b64 exec, exec, s[8:9]
.LBB851_417:
	s_or_b64 exec, exec, s[2:3]
	s_mov_b32 s2, 0xffffff
	v_cmp_lt_u32_e32 vcc, s2, v14
	s_and_saveexec_b64 s[2:3], vcc
	s_cbranch_execz .LBB851_423
; %bb.418:
	v_lshrrev_b32_e32 v18, 24, v14
	s_movk_i32 s7, 0x80
	v_cmp_ne_u32_e32 vcc, s7, v18
	v_mov_b32_e32 v22, 0xffff8000
	s_and_saveexec_b64 s[8:9], vcc
	s_cbranch_execz .LBB851_422
; %bb.419:
	v_bfe_u32 v14, v14, 24, 7
	s_movk_i32 s7, 0x7f
	v_cmp_ne_u32_e32 vcc, s7, v14
	v_mov_b32_e32 v22, 0x7f80
	s_and_saveexec_b64 s[10:11], vcc
	s_cbranch_execz .LBB851_421
; %bb.420:
	v_and_b32_e32 v22, 7, v18
	v_ffbh_u32_e32 v24, v22
	v_min_u32_e32 v27, 32, v24
	v_subrev_u32_e32 v24, 28, v27
	v_lshlrev_b64 v[24:25], v24, v[18:19]
	v_lshrrev_b32_e32 v26, 3, v14
	v_sub_u32_e32 v25, 29, v27
	v_and_b32_e32 v24, 7, v24
	v_cmp_gt_u32_e32 vcc, 8, v14
	v_cndmask_b32_e32 v14, v26, v25, vcc
	v_cndmask_b32_e32 v22, v22, v24, vcc
	v_lshlrev_b32_e32 v18, 24, v18
	v_bfrev_b32_e32 v24, 60
	v_lshlrev_b32_e32 v22, 20, v22
	v_and_b32_e32 v18, 0x80000000, v18
	v_lshl_add_u32 v14, v14, 23, v24
	v_or3_b32 v14, v18, v14, v22
	v_lshrrev_b32_e32 v22, 16, v14
.LBB851_421:
	s_or_b64 exec, exec, s[10:11]
.LBB851_422:
	s_or_b64 exec, exec, s[8:9]
.LBB851_423:
	s_or_b64 exec, exec, s[2:3]
	v_mov_b32_e32 v18, 0
	v_cmp_ne_u16_sdwa s[8:9], v15, v18 src0_sel:BYTE_0 src1_sel:DWORD
	v_mov_b32_e32 v24, 0
	s_and_saveexec_b64 s[2:3], s[8:9]
	s_cbranch_execz .LBB851_429
; %bb.424:
	s_movk_i32 s7, 0x80
	v_cmp_ne_u16_sdwa s[10:11], v15, s7 src0_sel:BYTE_0 src1_sel:DWORD
	v_mov_b32_e32 v24, 0xffff8000
	s_and_saveexec_b64 s[8:9], s[10:11]
	s_cbranch_execz .LBB851_428
; %bb.425:
	s_movk_i32 s7, 0x7f
	v_and_b32_e32 v14, 0x7f, v15
	v_cmp_ne_u32_e32 vcc, s7, v14
	v_mov_b32_e32 v24, 0x7f80
	s_and_saveexec_b64 s[10:11], vcc
	s_cbranch_execz .LBB851_427
; %bb.426:
	v_and_b32_e32 v26, 7, v15
	v_ffbh_u32_e32 v25, v26
	v_min_u32_e32 v29, 32, v25
	v_mov_b32_e32 v24, v15
	v_subrev_u32_e32 v25, 28, v29
	v_lshlrev_b64 v[24:25], v25, v[24:25]
	v_lshrrev_b32_e32 v27, 3, v14
	v_sub_u32_e32 v25, 29, v29
	v_and_b32_e32 v24, 7, v24
	v_cmp_gt_u32_e32 vcc, 8, v14
	v_cndmask_b32_e32 v14, v27, v25, vcc
	v_cndmask_b32_e32 v24, v26, v24, vcc
	v_lshlrev_b32_e32 v25, 24, v15
	v_bfrev_b32_e32 v26, 60
	v_lshlrev_b32_e32 v24, 20, v24
	v_and_b32_e32 v25, 0x80000000, v25
	v_lshl_add_u32 v14, v14, 23, v26
	v_or3_b32 v14, v25, v14, v24
	v_lshrrev_b32_e32 v24, 16, v14
.LBB851_427:
	s_or_b64 exec, exec, s[10:11]
.LBB851_428:
	s_or_b64 exec, exec, s[8:9]
.LBB851_429:
	s_or_b64 exec, exec, s[2:3]
	v_lshrrev_b16_e32 v14, 8, v15
	v_cmp_ne_u16_e32 vcc, 0, v14
	s_and_saveexec_b64 s[2:3], vcc
	s_cbranch_execz .LBB851_435
; %bb.430:
	s_movk_i32 s7, 0x80
	v_cmp_ne_u16_e32 vcc, s7, v14
	v_mov_b32_e32 v18, 0xffff8000
	s_and_saveexec_b64 s[8:9], vcc
	s_cbranch_execz .LBB851_434
; %bb.431:
	s_movk_i32 s7, 0x7f
	v_and_b32_e32 v25, 0x7f, v14
	v_cmp_ne_u32_e32 vcc, s7, v25
	v_mov_b32_e32 v18, 0x7f80
	s_and_saveexec_b64 s[10:11], vcc
	s_cbranch_execz .LBB851_433
; %bb.432:
	v_and_b32_e32 v18, 7, v14
	v_ffbh_u32_e32 v26, v18
	v_min_u32_e32 v30, 32, v26
	v_subrev_u32_e32 v26, 28, v30
	v_lshlrev_b64 v[26:27], v26, v[14:15]
	v_lshrrev_b32_e32 v29, 3, v25
	v_sub_u32_e32 v14, 29, v30
	v_and_b32_e32 v26, 7, v26
	v_cmp_gt_u32_e32 vcc, 8, v25
	v_cndmask_b32_e32 v14, v29, v14, vcc
	v_cndmask_b32_e32 v18, v18, v26, vcc
	v_lshlrev_b32_e32 v25, 16, v15
	v_bfrev_b32_e32 v26, 60
	v_lshlrev_b32_e32 v18, 20, v18
	v_and_b32_e32 v25, 0x80000000, v25
	v_lshl_add_u32 v14, v14, 23, v26
	v_or3_b32 v14, v25, v14, v18
	v_lshrrev_b32_e32 v18, 16, v14
.LBB851_433:
	s_or_b64 exec, exec, s[10:11]
.LBB851_434:
	s_or_b64 exec, exec, s[8:9]
.LBB851_435:
	s_or_b64 exec, exec, s[2:3]
	s_movk_i32 s2, 0xff
	v_and_b32_sdwa v27, v15, s2 dst_sel:DWORD dst_unused:UNUSED_PAD src0_sel:WORD_1 src1_sel:DWORD
	v_lshrrev_b32_e32 v14, 16, v15
	v_cmp_ne_u16_e32 vcc, 0, v27
	v_mov_b32_e32 v25, 0
	v_mov_b32_e32 v26, 0
	s_and_saveexec_b64 s[2:3], vcc
	s_cbranch_execz .LBB851_441
; %bb.436:
	s_movk_i32 s7, 0x80
	v_cmp_ne_u16_e32 vcc, s7, v27
	v_mov_b32_e32 v26, 0xffff8000
	s_and_saveexec_b64 s[8:9], vcc
	s_cbranch_execz .LBB851_440
; %bb.437:
	v_bfe_u32 v27, v15, 16, 7
	s_movk_i32 s7, 0x7f
	v_cmp_ne_u32_e32 vcc, s7, v27
	v_mov_b32_e32 v26, 0x7f80
	s_and_saveexec_b64 s[10:11], vcc
	s_cbranch_execz .LBB851_439
; %bb.438:
	v_and_b32_e32 v26, 7, v14
	v_ffbh_u32_e32 v30, v26
	v_min_u32_e32 v32, 32, v30
	v_subrev_u32_e32 v30, 28, v32
	v_lshlrev_b64 v[30:31], v30, v[14:15]
	v_lshrrev_b32_e32 v29, 3, v27
	v_sub_u32_e32 v14, 29, v32
	v_and_b32_e32 v30, 7, v30
	v_cmp_gt_u32_e32 vcc, 8, v27
	v_mov_b32_e32 v27, 24
	v_cndmask_b32_e32 v14, v29, v14, vcc
	v_cndmask_b32_e32 v26, v26, v30, vcc
	v_lshlrev_b32_sdwa v27, v27, v15 dst_sel:DWORD dst_unused:UNUSED_PAD src0_sel:DWORD src1_sel:WORD_1
	v_bfrev_b32_e32 v29, 60
	v_lshlrev_b32_e32 v26, 20, v26
	v_and_b32_e32 v27, 0x80000000, v27
	v_lshl_add_u32 v14, v14, 23, v29
	v_or3_b32 v14, v27, v14, v26
	v_lshrrev_b32_e32 v26, 16, v14
.LBB851_439:
	s_or_b64 exec, exec, s[10:11]
.LBB851_440:
	s_or_b64 exec, exec, s[8:9]
.LBB851_441:
	s_or_b64 exec, exec, s[2:3]
	s_mov_b32 s2, 0xffffff
	v_cmp_lt_u32_e32 vcc, s2, v15
	s_and_saveexec_b64 s[2:3], vcc
	s_cbranch_execz .LBB851_447
; %bb.442:
	v_lshrrev_b32_e32 v14, 24, v15
	s_movk_i32 s7, 0x80
	v_cmp_ne_u32_e32 vcc, s7, v14
	v_mov_b32_e32 v25, 0xffff8000
	s_and_saveexec_b64 s[8:9], vcc
	s_cbranch_execz .LBB851_446
; %bb.443:
	v_bfe_u32 v15, v15, 24, 7
	s_movk_i32 s7, 0x7f
	v_cmp_ne_u32_e32 vcc, s7, v15
	v_mov_b32_e32 v25, 0x7f80
	s_and_saveexec_b64 s[10:11], vcc
	s_cbranch_execz .LBB851_445
; %bb.444:
	v_and_b32_e32 v25, 7, v14
	v_ffbh_u32_e32 v29, v25
	v_min_u32_e32 v29, 32, v29
	v_subrev_u32_e32 v30, 28, v29
	v_lshlrev_b64 v[30:31], v30, v[14:15]
	v_lshrrev_b32_e32 v27, 3, v15
	v_sub_u32_e32 v29, 29, v29
	v_and_b32_e32 v30, 7, v30
	v_cmp_gt_u32_e32 vcc, 8, v15
	v_cndmask_b32_e32 v15, v27, v29, vcc
	v_cndmask_b32_e32 v25, v25, v30, vcc
	v_lshlrev_b32_e32 v14, 24, v14
	v_bfrev_b32_e32 v27, 60
	v_lshlrev_b32_e32 v25, 20, v25
	v_and_b32_e32 v14, 0x80000000, v14
	v_lshl_add_u32 v15, v15, 23, v27
	v_or3_b32 v14, v14, v15, v25
	v_lshrrev_b32_e32 v25, 16, v14
.LBB851_445:
	s_or_b64 exec, exec, s[10:11]
.LBB851_446:
	s_or_b64 exec, exec, s[8:9]
.LBB851_447:
	s_or_b64 exec, exec, s[2:3]
	s_mov_b32 s2, 0x5040100
	v_perm_b32 v15, v22, v23, s2
	v_lshl_or_b32 v22, v1, 9, v19
	v_perm_b32 v14, v20, v21, s2
	ds_read_b128 v[30:33], v22
	v_perm_b32 v19, v25, v26, s2
	v_perm_b32 v18, v18, v24, s2
	s_waitcnt lgkmcnt(0)
	v_mfma_f32_16x16x16bf16_1k v[34:37], v[14:15], v[30:31], 0
	v_mov_b32_e32 v15, 0
	v_cmp_ne_u16_sdwa s[8:9], v16, v15 src0_sel:BYTE_0 src1_sel:DWORD
	v_mov_b32_e32 v23, 0
	v_mfma_f32_16x16x16bf16_1k v[18:21], v[18:19], v[32:33], v[34:37]
	s_and_saveexec_b64 s[2:3], s[8:9]
	s_cbranch_execz .LBB851_453
; %bb.448:
	s_movk_i32 s7, 0x80
	v_cmp_ne_u16_sdwa s[10:11], v16, s7 src0_sel:BYTE_0 src1_sel:DWORD
	v_mov_b32_e32 v23, 0xffff8000
	s_and_saveexec_b64 s[8:9], s[10:11]
	s_cbranch_execz .LBB851_452
; %bb.449:
	s_movk_i32 s7, 0x7f
	v_and_b32_e32 v14, 0x7f, v16
	v_cmp_ne_u32_e32 vcc, s7, v14
	v_mov_b32_e32 v23, 0x7f80
	s_and_saveexec_b64 s[10:11], vcc
	s_cbranch_execz .LBB851_451
; %bb.450:
	v_and_b32_e32 v23, 7, v16
	v_ffbh_u32_e32 v24, v23
	v_min_u32_e32 v27, 32, v24
	v_subrev_u32_e32 v24, 28, v27
	v_lshlrev_b64 v[24:25], v24, v[16:17]
	v_lshrrev_b32_e32 v26, 3, v14
	v_sub_u32_e32 v25, 29, v27
	v_and_b32_e32 v24, 7, v24
	v_cmp_gt_u32_e32 vcc, 8, v14
	v_cndmask_b32_e32 v14, v26, v25, vcc
	v_cndmask_b32_e32 v23, v23, v24, vcc
	v_lshlrev_b32_e32 v24, 24, v16
	v_bfrev_b32_e32 v25, 60
	v_lshlrev_b32_e32 v23, 20, v23
	v_and_b32_e32 v24, 0x80000000, v24
	v_lshl_add_u32 v14, v14, 23, v25
	v_or3_b32 v14, v24, v14, v23
	v_lshrrev_b32_e32 v23, 16, v14
.LBB851_451:
	s_or_b64 exec, exec, s[10:11]
.LBB851_452:
	s_or_b64 exec, exec, s[8:9]
.LBB851_453:
	s_or_b64 exec, exec, s[2:3]
	v_lshrrev_b16_e32 v14, 8, v16
	v_cmp_ne_u16_e32 vcc, 0, v14
	s_and_saveexec_b64 s[2:3], vcc
	s_cbranch_execz .LBB851_459
; %bb.454:
	s_movk_i32 s7, 0x80
	v_cmp_ne_u16_e32 vcc, s7, v14
	v_mov_b32_e32 v15, 0xffff8000
	s_and_saveexec_b64 s[8:9], vcc
	s_cbranch_execz .LBB851_458
; %bb.455:
	s_movk_i32 s7, 0x7f
	v_and_b32_e32 v24, 0x7f, v14
	v_cmp_ne_u32_e32 vcc, s7, v24
	v_mov_b32_e32 v15, 0x7f80
	s_and_saveexec_b64 s[10:11], vcc
	s_cbranch_execz .LBB851_457
; %bb.456:
	v_and_b32_e32 v25, 7, v14
	v_ffbh_u32_e32 v15, v25
	v_min_u32_e32 v27, 32, v15
	v_subrev_u32_e32 v15, 28, v27
	v_lshlrev_b64 v[14:15], v15, v[14:15]
	v_lshrrev_b32_e32 v26, 3, v24
	v_sub_u32_e32 v15, 29, v27
	v_and_b32_e32 v14, 7, v14
	v_cmp_gt_u32_e32 vcc, 8, v24
	v_cndmask_b32_e32 v15, v26, v15, vcc
	v_cndmask_b32_e32 v14, v25, v14, vcc
	v_lshlrev_b32_e32 v24, 16, v16
	v_bfrev_b32_e32 v25, 60
	v_lshlrev_b32_e32 v14, 20, v14
	v_and_b32_e32 v24, 0x80000000, v24
	v_lshl_add_u32 v15, v15, 23, v25
	v_or3_b32 v14, v24, v15, v14
	v_lshrrev_b32_e32 v15, 16, v14
.LBB851_457:
	s_or_b64 exec, exec, s[10:11]
.LBB851_458:
	s_or_b64 exec, exec, s[8:9]
.LBB851_459:
	s_or_b64 exec, exec, s[2:3]
	s_movk_i32 s2, 0xff
	v_and_b32_sdwa v26, v16, s2 dst_sel:DWORD dst_unused:UNUSED_PAD src0_sel:WORD_1 src1_sel:DWORD
	v_lshrrev_b32_e32 v14, 16, v16
	v_cmp_ne_u16_e32 vcc, 0, v26
	v_mov_b32_e32 v24, 0
	v_mov_b32_e32 v25, 0
	s_and_saveexec_b64 s[2:3], vcc
	s_cbranch_execz .LBB851_465
; %bb.460:
	s_movk_i32 s7, 0x80
	v_cmp_ne_u16_e32 vcc, s7, v26
	v_mov_b32_e32 v25, 0xffff8000
	s_and_saveexec_b64 s[8:9], vcc
	s_cbranch_execz .LBB851_464
; %bb.461:
	v_bfe_u32 v26, v16, 16, 7
	s_movk_i32 s7, 0x7f
	v_cmp_ne_u32_e32 vcc, s7, v26
	v_mov_b32_e32 v25, 0x7f80
	s_and_saveexec_b64 s[10:11], vcc
	s_cbranch_execz .LBB851_463
; %bb.462:
	v_and_b32_e32 v25, 7, v14
	v_ffbh_u32_e32 v29, v25
	v_min_u32_e32 v29, 32, v29
	v_subrev_u32_e32 v30, 28, v29
	v_lshlrev_b64 v[30:31], v30, v[14:15]
	v_lshrrev_b32_e32 v27, 3, v26
	v_sub_u32_e32 v14, 29, v29
	v_and_b32_e32 v29, 7, v30
	v_cmp_gt_u32_e32 vcc, 8, v26
	v_mov_b32_e32 v26, 24
	v_cndmask_b32_e32 v14, v27, v14, vcc
	v_cndmask_b32_e32 v25, v25, v29, vcc
	v_lshlrev_b32_sdwa v26, v26, v16 dst_sel:DWORD dst_unused:UNUSED_PAD src0_sel:DWORD src1_sel:WORD_1
	v_bfrev_b32_e32 v27, 60
	v_lshlrev_b32_e32 v25, 20, v25
	v_and_b32_e32 v26, 0x80000000, v26
	v_lshl_add_u32 v14, v14, 23, v27
	v_or3_b32 v14, v26, v14, v25
	v_lshrrev_b32_e32 v25, 16, v14
.LBB851_463:
	s_or_b64 exec, exec, s[10:11]
.LBB851_464:
	s_or_b64 exec, exec, s[8:9]
.LBB851_465:
	s_or_b64 exec, exec, s[2:3]
	s_mov_b32 s2, 0xffffff
	v_cmp_lt_u32_e32 vcc, s2, v16
	s_and_saveexec_b64 s[2:3], vcc
	s_cbranch_execz .LBB851_471
; %bb.466:
	v_lshrrev_b32_e32 v14, 24, v16
	s_movk_i32 s7, 0x80
	v_cmp_ne_u32_e32 vcc, s7, v14
	v_mov_b32_e32 v24, 0xffff8000
	s_and_saveexec_b64 s[8:9], vcc
	s_cbranch_execz .LBB851_470
; %bb.467:
	v_bfe_u32 v16, v16, 24, 7
	s_movk_i32 s7, 0x7f
	v_cmp_ne_u32_e32 vcc, s7, v16
	v_mov_b32_e32 v24, 0x7f80
	s_and_saveexec_b64 s[10:11], vcc
	s_cbranch_execz .LBB851_469
; %bb.468:
	v_and_b32_e32 v24, 7, v14
	v_ffbh_u32_e32 v26, v24
	v_min_u32_e32 v30, 32, v26
	v_subrev_u32_e32 v26, 28, v30
	v_lshlrev_b64 v[26:27], v26, v[14:15]
	v_lshrrev_b32_e32 v29, 3, v16
	v_sub_u32_e32 v27, 29, v30
	v_and_b32_e32 v26, 7, v26
	v_cmp_gt_u32_e32 vcc, 8, v16
	v_cndmask_b32_e32 v16, v29, v27, vcc
	v_cndmask_b32_e32 v24, v24, v26, vcc
	v_lshlrev_b32_e32 v14, 24, v14
	v_bfrev_b32_e32 v26, 60
	v_lshlrev_b32_e32 v24, 20, v24
	v_and_b32_e32 v14, 0x80000000, v14
	v_lshl_add_u32 v16, v16, 23, v26
	v_or3_b32 v14, v14, v16, v24
	v_lshrrev_b32_e32 v24, 16, v14
.LBB851_469:
	s_or_b64 exec, exec, s[10:11]
.LBB851_470:
	s_or_b64 exec, exec, s[8:9]
.LBB851_471:
	s_or_b64 exec, exec, s[2:3]
	v_mov_b32_e32 v16, 0
	v_cmp_ne_u16_sdwa s[8:9], v17, v16 src0_sel:BYTE_0 src1_sel:DWORD
	v_mov_b32_e32 v26, 0
	s_and_saveexec_b64 s[2:3], s[8:9]
	s_cbranch_execz .LBB851_477
; %bb.472:
	s_movk_i32 s7, 0x80
	v_cmp_ne_u16_sdwa s[10:11], v17, s7 src0_sel:BYTE_0 src1_sel:DWORD
	v_mov_b32_e32 v26, 0xffff8000
	s_and_saveexec_b64 s[8:9], s[10:11]
	s_cbranch_execz .LBB851_476
; %bb.473:
	s_movk_i32 s7, 0x7f
	v_and_b32_e32 v14, 0x7f, v17
	v_cmp_ne_u32_e32 vcc, s7, v14
	v_mov_b32_e32 v26, 0x7f80
	s_and_saveexec_b64 s[10:11], vcc
	s_cbranch_execz .LBB851_475
; %bb.474:
	v_and_b32_e32 v29, 7, v17
	v_ffbh_u32_e32 v27, v29
	v_min_u32_e32 v31, 32, v27
	v_mov_b32_e32 v26, v17
	v_subrev_u32_e32 v27, 28, v31
	v_lshlrev_b64 v[26:27], v27, v[26:27]
	v_lshrrev_b32_e32 v30, 3, v14
	v_sub_u32_e32 v27, 29, v31
	v_and_b32_e32 v26, 7, v26
	v_cmp_gt_u32_e32 vcc, 8, v14
	v_cndmask_b32_e32 v14, v30, v27, vcc
	v_cndmask_b32_e32 v26, v29, v26, vcc
	v_lshlrev_b32_e32 v27, 24, v17
	v_bfrev_b32_e32 v29, 60
	v_lshlrev_b32_e32 v26, 20, v26
	v_and_b32_e32 v27, 0x80000000, v27
	v_lshl_add_u32 v14, v14, 23, v29
	v_or3_b32 v14, v27, v14, v26
	v_lshrrev_b32_e32 v26, 16, v14
.LBB851_475:
	s_or_b64 exec, exec, s[10:11]
.LBB851_476:
	s_or_b64 exec, exec, s[8:9]
.LBB851_477:
	s_or_b64 exec, exec, s[2:3]
	v_lshrrev_b16_e32 v14, 8, v17
	v_cmp_ne_u16_e32 vcc, 0, v14
	s_and_saveexec_b64 s[2:3], vcc
	s_cbranch_execz .LBB851_483
; %bb.478:
	s_movk_i32 s7, 0x80
	v_cmp_ne_u16_e32 vcc, s7, v14
	v_mov_b32_e32 v16, 0xffff8000
	s_and_saveexec_b64 s[8:9], vcc
	s_cbranch_execz .LBB851_482
; %bb.479:
	s_movk_i32 s7, 0x7f
	v_and_b32_e32 v27, 0x7f, v14
	v_cmp_ne_u32_e32 vcc, s7, v27
	v_mov_b32_e32 v16, 0x7f80
	s_and_saveexec_b64 s[10:11], vcc
	s_cbranch_execz .LBB851_481
; %bb.480:
	v_and_b32_e32 v16, 7, v14
	v_ffbh_u32_e32 v30, v16
	v_min_u32_e32 v32, 32, v30
	v_subrev_u32_e32 v30, 28, v32
	v_lshlrev_b64 v[30:31], v30, v[14:15]
	v_lshrrev_b32_e32 v29, 3, v27
	v_sub_u32_e32 v14, 29, v32
	v_and_b32_e32 v30, 7, v30
	v_cmp_gt_u32_e32 vcc, 8, v27
	v_cndmask_b32_e32 v14, v29, v14, vcc
	v_cndmask_b32_e32 v16, v16, v30, vcc
	v_lshlrev_b32_e32 v27, 16, v17
	v_bfrev_b32_e32 v29, 60
	v_lshlrev_b32_e32 v16, 20, v16
	v_and_b32_e32 v27, 0x80000000, v27
	v_lshl_add_u32 v14, v14, 23, v29
	v_or3_b32 v14, v27, v14, v16
	v_lshrrev_b32_e32 v16, 16, v14
.LBB851_481:
	s_or_b64 exec, exec, s[10:11]
.LBB851_482:
	s_or_b64 exec, exec, s[8:9]
.LBB851_483:
	s_or_b64 exec, exec, s[2:3]
	s_movk_i32 s2, 0xff
	v_and_b32_sdwa v30, v17, s2 dst_sel:DWORD dst_unused:UNUSED_PAD src0_sel:WORD_1 src1_sel:DWORD
	v_lshrrev_b32_e32 v14, 16, v17
	v_cmp_ne_u16_e32 vcc, 0, v30
	v_mov_b32_e32 v27, 0
	v_mov_b32_e32 v29, 0
	s_and_saveexec_b64 s[2:3], vcc
	s_cbranch_execz .LBB851_489
; %bb.484:
	s_movk_i32 s7, 0x80
	v_cmp_ne_u16_e32 vcc, s7, v30
	v_mov_b32_e32 v29, 0xffff8000
	s_and_saveexec_b64 s[8:9], vcc
	s_cbranch_execz .LBB851_488
; %bb.485:
	v_bfe_u32 v30, v17, 16, 7
	s_movk_i32 s7, 0x7f
	v_cmp_ne_u32_e32 vcc, s7, v30
	v_mov_b32_e32 v29, 0x7f80
	s_and_saveexec_b64 s[10:11], vcc
	s_cbranch_execz .LBB851_487
; %bb.486:
	v_and_b32_e32 v29, 7, v14
	v_ffbh_u32_e32 v32, v29
	v_min_u32_e32 v34, 32, v32
	v_subrev_u32_e32 v32, 28, v34
	v_lshlrev_b64 v[32:33], v32, v[14:15]
	v_lshrrev_b32_e32 v31, 3, v30
	v_sub_u32_e32 v14, 29, v34
	v_and_b32_e32 v32, 7, v32
	v_cmp_gt_u32_e32 vcc, 8, v30
	v_mov_b32_e32 v30, 24
	v_cndmask_b32_e32 v14, v31, v14, vcc
	v_cndmask_b32_e32 v29, v29, v32, vcc
	v_lshlrev_b32_sdwa v30, v30, v17 dst_sel:DWORD dst_unused:UNUSED_PAD src0_sel:DWORD src1_sel:WORD_1
	v_bfrev_b32_e32 v31, 60
	v_lshlrev_b32_e32 v29, 20, v29
	v_and_b32_e32 v30, 0x80000000, v30
	v_lshl_add_u32 v14, v14, 23, v31
	v_or3_b32 v14, v30, v14, v29
	v_lshrrev_b32_e32 v29, 16, v14
.LBB851_487:
	s_or_b64 exec, exec, s[10:11]
.LBB851_488:
	s_or_b64 exec, exec, s[8:9]
.LBB851_489:
	s_or_b64 exec, exec, s[2:3]
	s_mov_b32 s2, 0xffffff
	v_cmp_lt_u32_e32 vcc, s2, v17
	s_and_saveexec_b64 s[2:3], vcc
	s_cbranch_execz .LBB851_495
; %bb.490:
	v_lshrrev_b32_e32 v14, 24, v17
	s_movk_i32 s7, 0x80
	v_cmp_ne_u32_e32 vcc, s7, v14
	v_mov_b32_e32 v27, 0xffff8000
	s_and_saveexec_b64 s[8:9], vcc
	s_cbranch_execz .LBB851_494
; %bb.491:
	v_bfe_u32 v17, v17, 24, 7
	s_movk_i32 s7, 0x7f
	v_cmp_ne_u32_e32 vcc, s7, v17
	v_mov_b32_e32 v27, 0x7f80
	s_and_saveexec_b64 s[10:11], vcc
	s_cbranch_execz .LBB851_493
; %bb.492:
	v_and_b32_e32 v27, 7, v14
	v_ffbh_u32_e32 v30, v27
	v_min_u32_e32 v33, 32, v30
	v_subrev_u32_e32 v30, 28, v33
	v_lshlrev_b64 v[30:31], v30, v[14:15]
	v_lshrrev_b32_e32 v32, 3, v17
	v_sub_u32_e32 v31, 29, v33
	v_and_b32_e32 v30, 7, v30
	v_cmp_gt_u32_e32 vcc, 8, v17
	v_cndmask_b32_e32 v17, v32, v31, vcc
	v_cndmask_b32_e32 v27, v27, v30, vcc
	v_lshlrev_b32_e32 v14, 24, v14
	v_bfrev_b32_e32 v30, 60
	v_lshlrev_b32_e32 v27, 20, v27
	v_and_b32_e32 v14, 0x80000000, v14
	v_lshl_add_u32 v17, v17, 23, v30
	v_or3_b32 v14, v14, v17, v27
	v_lshrrev_b32_e32 v27, 16, v14
.LBB851_493:
	s_or_b64 exec, exec, s[10:11]
.LBB851_494:
	s_or_b64 exec, exec, s[8:9]
.LBB851_495:
	s_or_b64 exec, exec, s[2:3]
	s_mov_b32 s2, 0x5040100
	v_perm_b32 v25, v24, v25, s2
	v_perm_b32 v24, v15, v23, s2
	ds_read_b128 v[30:33], v22 offset:16
	v_perm_b32 v15, v27, v29, s2
	v_perm_b32 v14, v16, v26, s2
	s_waitcnt lgkmcnt(0)
	v_mfma_f32_16x16x16bf16_1k v[34:37], v[24:25], v[30:31], v[18:21]
	s_nop 6
	v_mov_b32_e32 v19, 0
	s_waitcnt vmcnt(2)
	v_cmp_ne_u16_sdwa s[8:9], v10, v19 src0_sel:BYTE_0 src1_sel:DWORD
	v_mfma_f32_16x16x16bf16_1k v[14:17], v[14:15], v[32:33], v[34:37]
	v_mov_b32_e32 v20, 0
	s_and_saveexec_b64 s[2:3], s[8:9]
	s_cbranch_execz .LBB851_501
; %bb.496:
	s_movk_i32 s7, 0x80
	v_cmp_ne_u16_sdwa s[10:11], v10, s7 src0_sel:BYTE_0 src1_sel:DWORD
	v_mov_b32_e32 v20, 0xffff8000
	s_and_saveexec_b64 s[8:9], s[10:11]
	s_cbranch_execz .LBB851_500
; %bb.497:
	s_movk_i32 s7, 0x7f
	v_and_b32_e32 v18, 0x7f, v10
	v_cmp_ne_u32_e32 vcc, s7, v18
	v_mov_b32_e32 v20, 0x7f80
	s_and_saveexec_b64 s[10:11], vcc
	s_cbranch_execz .LBB851_499
; %bb.498:
	v_and_b32_e32 v23, 7, v10
	v_ffbh_u32_e32 v20, v23
	v_min_u32_e32 v25, 32, v20
	v_subrev_u32_e32 v20, 28, v25
	v_lshlrev_b64 v[20:21], v20, v[10:11]
	v_lshrrev_b32_e32 v24, 3, v18
	v_sub_u32_e32 v21, 29, v25
	v_and_b32_e32 v20, 7, v20
	v_cmp_gt_u32_e32 vcc, 8, v18
	v_cndmask_b32_e32 v18, v24, v21, vcc
	v_cndmask_b32_e32 v20, v23, v20, vcc
	v_lshlrev_b32_e32 v21, 24, v10
	v_bfrev_b32_e32 v23, 60
	v_lshlrev_b32_e32 v20, 20, v20
	v_and_b32_e32 v21, 0x80000000, v21
	v_lshl_add_u32 v18, v18, 23, v23
	v_or3_b32 v18, v21, v18, v20
	v_lshrrev_b32_e32 v20, 16, v18
.LBB851_499:
	s_or_b64 exec, exec, s[10:11]
.LBB851_500:
	s_or_b64 exec, exec, s[8:9]
.LBB851_501:
	s_or_b64 exec, exec, s[2:3]
	v_lshrrev_b16_e32 v18, 8, v10
	v_cmp_ne_u16_e32 vcc, 0, v18
	s_and_saveexec_b64 s[2:3], vcc
	s_cbranch_execz .LBB851_507
; %bb.502:
	s_movk_i32 s7, 0x80
	v_cmp_ne_u16_e32 vcc, s7, v18
	v_mov_b32_e32 v19, 0xffff8000
	s_and_saveexec_b64 s[8:9], vcc
	s_cbranch_execz .LBB851_506
; %bb.503:
	s_movk_i32 s7, 0x7f
	v_and_b32_e32 v21, 0x7f, v18
	v_cmp_ne_u32_e32 vcc, s7, v21
	v_mov_b32_e32 v19, 0x7f80
	s_and_saveexec_b64 s[10:11], vcc
	s_cbranch_execz .LBB851_505
; %bb.504:
	v_and_b32_e32 v23, 7, v18
	v_ffbh_u32_e32 v19, v23
	v_min_u32_e32 v25, 32, v19
	v_subrev_u32_e32 v19, 28, v25
	v_lshlrev_b64 v[18:19], v19, v[18:19]
	v_lshrrev_b32_e32 v24, 3, v21
	v_sub_u32_e32 v19, 29, v25
	v_and_b32_e32 v18, 7, v18
	v_cmp_gt_u32_e32 vcc, 8, v21
	v_cndmask_b32_e32 v19, v24, v19, vcc
	v_cndmask_b32_e32 v18, v23, v18, vcc
	v_lshlrev_b32_e32 v21, 16, v10
	v_bfrev_b32_e32 v23, 60
	v_lshlrev_b32_e32 v18, 20, v18
	v_and_b32_e32 v21, 0x80000000, v21
	v_lshl_add_u32 v19, v19, 23, v23
	v_or3_b32 v18, v21, v19, v18
	v_lshrrev_b32_e32 v19, 16, v18
.LBB851_505:
	s_or_b64 exec, exec, s[10:11]
.LBB851_506:
	s_or_b64 exec, exec, s[8:9]
.LBB851_507:
	s_or_b64 exec, exec, s[2:3]
	s_movk_i32 s2, 0xff
	v_and_b32_sdwa v24, v10, s2 dst_sel:DWORD dst_unused:UNUSED_PAD src0_sel:WORD_1 src1_sel:DWORD
	v_lshrrev_b32_e32 v18, 16, v10
	v_cmp_ne_u16_e32 vcc, 0, v24
	v_mov_b32_e32 v21, 0
	v_mov_b32_e32 v23, 0
	s_and_saveexec_b64 s[2:3], vcc
	s_cbranch_execz .LBB851_513
; %bb.508:
	s_movk_i32 s7, 0x80
	v_cmp_ne_u16_e32 vcc, s7, v24
	v_mov_b32_e32 v23, 0xffff8000
	s_and_saveexec_b64 s[8:9], vcc
	s_cbranch_execz .LBB851_512
; %bb.509:
	v_bfe_u32 v24, v10, 16, 7
	s_movk_i32 s7, 0x7f
	v_cmp_ne_u32_e32 vcc, s7, v24
	v_mov_b32_e32 v23, 0x7f80
	s_and_saveexec_b64 s[10:11], vcc
	s_cbranch_execz .LBB851_511
; %bb.510:
	v_and_b32_e32 v23, 7, v18
	v_ffbh_u32_e32 v26, v23
	v_min_u32_e32 v29, 32, v26
	v_subrev_u32_e32 v26, 28, v29
	v_lshlrev_b64 v[26:27], v26, v[18:19]
	v_lshrrev_b32_e32 v25, 3, v24
	v_sub_u32_e32 v18, 29, v29
	v_and_b32_e32 v26, 7, v26
	v_cmp_gt_u32_e32 vcc, 8, v24
	v_mov_b32_e32 v24, 24
	v_cndmask_b32_e32 v18, v25, v18, vcc
	v_cndmask_b32_e32 v23, v23, v26, vcc
	v_lshlrev_b32_sdwa v24, v24, v10 dst_sel:DWORD dst_unused:UNUSED_PAD src0_sel:DWORD src1_sel:WORD_1
	v_bfrev_b32_e32 v25, 60
	v_lshlrev_b32_e32 v23, 20, v23
	v_and_b32_e32 v24, 0x80000000, v24
	v_lshl_add_u32 v18, v18, 23, v25
	v_or3_b32 v18, v24, v18, v23
	v_lshrrev_b32_e32 v23, 16, v18
.LBB851_511:
	s_or_b64 exec, exec, s[10:11]
.LBB851_512:
	s_or_b64 exec, exec, s[8:9]
.LBB851_513:
	s_or_b64 exec, exec, s[2:3]
	s_mov_b32 s2, 0xffffff
	v_cmp_lt_u32_e32 vcc, s2, v10
	s_and_saveexec_b64 s[2:3], vcc
	s_cbranch_execz .LBB851_519
; %bb.514:
	v_lshrrev_b32_e32 v18, 24, v10
	s_movk_i32 s7, 0x80
	v_cmp_ne_u32_e32 vcc, s7, v18
	v_mov_b32_e32 v21, 0xffff8000
	s_and_saveexec_b64 s[8:9], vcc
	s_cbranch_execz .LBB851_518
; %bb.515:
	v_bfe_u32 v10, v10, 24, 7
	s_movk_i32 s7, 0x7f
	v_cmp_ne_u32_e32 vcc, s7, v10
	v_mov_b32_e32 v21, 0x7f80
	s_and_saveexec_b64 s[10:11], vcc
	s_cbranch_execz .LBB851_517
; %bb.516:
	v_and_b32_e32 v21, 7, v18
	v_ffbh_u32_e32 v24, v21
	v_min_u32_e32 v27, 32, v24
	v_subrev_u32_e32 v24, 28, v27
	v_lshlrev_b64 v[24:25], v24, v[18:19]
	v_lshrrev_b32_e32 v26, 3, v10
	v_sub_u32_e32 v25, 29, v27
	v_and_b32_e32 v24, 7, v24
	v_cmp_gt_u32_e32 vcc, 8, v10
	v_cndmask_b32_e32 v10, v26, v25, vcc
	v_cndmask_b32_e32 v21, v21, v24, vcc
	v_lshlrev_b32_e32 v18, 24, v18
	v_bfrev_b32_e32 v24, 60
	v_lshlrev_b32_e32 v21, 20, v21
	v_and_b32_e32 v18, 0x80000000, v18
	v_lshl_add_u32 v10, v10, 23, v24
	v_or3_b32 v10, v18, v10, v21
	v_lshrrev_b32_e32 v21, 16, v10
.LBB851_517:
	s_or_b64 exec, exec, s[10:11]
.LBB851_518:
	s_or_b64 exec, exec, s[8:9]
.LBB851_519:
	s_or_b64 exec, exec, s[2:3]
	v_mov_b32_e32 v18, 0
	v_cmp_ne_u16_sdwa s[8:9], v11, v18 src0_sel:BYTE_0 src1_sel:DWORD
	v_mov_b32_e32 v24, 0
	s_and_saveexec_b64 s[2:3], s[8:9]
	s_cbranch_execz .LBB851_525
; %bb.520:
	s_movk_i32 s7, 0x80
	v_cmp_ne_u16_sdwa s[10:11], v11, s7 src0_sel:BYTE_0 src1_sel:DWORD
	v_mov_b32_e32 v24, 0xffff8000
	s_and_saveexec_b64 s[8:9], s[10:11]
	s_cbranch_execz .LBB851_524
; %bb.521:
	s_movk_i32 s7, 0x7f
	v_and_b32_e32 v10, 0x7f, v11
	v_cmp_ne_u32_e32 vcc, s7, v10
	v_mov_b32_e32 v24, 0x7f80
	s_and_saveexec_b64 s[10:11], vcc
	s_cbranch_execz .LBB851_523
; %bb.522:
	v_and_b32_e32 v26, 7, v11
	v_ffbh_u32_e32 v25, v26
	v_min_u32_e32 v29, 32, v25
	v_mov_b32_e32 v24, v11
	v_subrev_u32_e32 v25, 28, v29
	v_lshlrev_b64 v[24:25], v25, v[24:25]
	v_lshrrev_b32_e32 v27, 3, v10
	v_sub_u32_e32 v25, 29, v29
	v_and_b32_e32 v24, 7, v24
	v_cmp_gt_u32_e32 vcc, 8, v10
	v_cndmask_b32_e32 v10, v27, v25, vcc
	v_cndmask_b32_e32 v24, v26, v24, vcc
	v_lshlrev_b32_e32 v25, 24, v11
	v_bfrev_b32_e32 v26, 60
	v_lshlrev_b32_e32 v24, 20, v24
	v_and_b32_e32 v25, 0x80000000, v25
	v_lshl_add_u32 v10, v10, 23, v26
	v_or3_b32 v10, v25, v10, v24
	v_lshrrev_b32_e32 v24, 16, v10
.LBB851_523:
	s_or_b64 exec, exec, s[10:11]
.LBB851_524:
	s_or_b64 exec, exec, s[8:9]
.LBB851_525:
	s_or_b64 exec, exec, s[2:3]
	v_lshrrev_b16_e32 v10, 8, v11
	v_cmp_ne_u16_e32 vcc, 0, v10
	s_and_saveexec_b64 s[2:3], vcc
	s_cbranch_execz .LBB851_531
; %bb.526:
	s_movk_i32 s7, 0x80
	v_cmp_ne_u16_e32 vcc, s7, v10
	v_mov_b32_e32 v18, 0xffff8000
	s_and_saveexec_b64 s[8:9], vcc
	s_cbranch_execz .LBB851_530
; %bb.527:
	s_movk_i32 s7, 0x7f
	v_and_b32_e32 v25, 0x7f, v10
	v_cmp_ne_u32_e32 vcc, s7, v25
	v_mov_b32_e32 v18, 0x7f80
	s_and_saveexec_b64 s[10:11], vcc
	s_cbranch_execz .LBB851_529
; %bb.528:
	v_and_b32_e32 v18, 7, v10
	v_ffbh_u32_e32 v26, v18
	v_min_u32_e32 v30, 32, v26
	v_subrev_u32_e32 v26, 28, v30
	v_lshlrev_b64 v[26:27], v26, v[10:11]
	v_lshrrev_b32_e32 v29, 3, v25
	v_sub_u32_e32 v10, 29, v30
	v_and_b32_e32 v26, 7, v26
	v_cmp_gt_u32_e32 vcc, 8, v25
	v_cndmask_b32_e32 v10, v29, v10, vcc
	v_cndmask_b32_e32 v18, v18, v26, vcc
	v_lshlrev_b32_e32 v25, 16, v11
	v_bfrev_b32_e32 v26, 60
	v_lshlrev_b32_e32 v18, 20, v18
	v_and_b32_e32 v25, 0x80000000, v25
	v_lshl_add_u32 v10, v10, 23, v26
	v_or3_b32 v10, v25, v10, v18
	v_lshrrev_b32_e32 v18, 16, v10
.LBB851_529:
	s_or_b64 exec, exec, s[10:11]
.LBB851_530:
	s_or_b64 exec, exec, s[8:9]
.LBB851_531:
	s_or_b64 exec, exec, s[2:3]
	s_movk_i32 s2, 0xff
	v_and_b32_sdwa v27, v11, s2 dst_sel:DWORD dst_unused:UNUSED_PAD src0_sel:WORD_1 src1_sel:DWORD
	v_lshrrev_b32_e32 v10, 16, v11
	v_cmp_ne_u16_e32 vcc, 0, v27
	v_mov_b32_e32 v25, 0
	v_mov_b32_e32 v26, 0
	s_and_saveexec_b64 s[2:3], vcc
	s_cbranch_execz .LBB851_537
; %bb.532:
	s_movk_i32 s7, 0x80
	v_cmp_ne_u16_e32 vcc, s7, v27
	v_mov_b32_e32 v26, 0xffff8000
	s_and_saveexec_b64 s[8:9], vcc
	s_cbranch_execz .LBB851_536
; %bb.533:
	v_bfe_u32 v27, v11, 16, 7
	s_movk_i32 s7, 0x7f
	v_cmp_ne_u32_e32 vcc, s7, v27
	v_mov_b32_e32 v26, 0x7f80
	s_and_saveexec_b64 s[10:11], vcc
	s_cbranch_execz .LBB851_535
; %bb.534:
	v_and_b32_e32 v26, 7, v10
	v_ffbh_u32_e32 v30, v26
	v_min_u32_e32 v32, 32, v30
	v_subrev_u32_e32 v30, 28, v32
	v_lshlrev_b64 v[30:31], v30, v[10:11]
	v_lshrrev_b32_e32 v29, 3, v27
	v_sub_u32_e32 v10, 29, v32
	v_and_b32_e32 v30, 7, v30
	v_cmp_gt_u32_e32 vcc, 8, v27
	v_mov_b32_e32 v27, 24
	v_cndmask_b32_e32 v10, v29, v10, vcc
	v_cndmask_b32_e32 v26, v26, v30, vcc
	v_lshlrev_b32_sdwa v27, v27, v11 dst_sel:DWORD dst_unused:UNUSED_PAD src0_sel:DWORD src1_sel:WORD_1
	v_bfrev_b32_e32 v29, 60
	v_lshlrev_b32_e32 v26, 20, v26
	v_and_b32_e32 v27, 0x80000000, v27
	v_lshl_add_u32 v10, v10, 23, v29
	v_or3_b32 v10, v27, v10, v26
	v_lshrrev_b32_e32 v26, 16, v10
.LBB851_535:
	s_or_b64 exec, exec, s[10:11]
.LBB851_536:
	s_or_b64 exec, exec, s[8:9]
.LBB851_537:
	s_or_b64 exec, exec, s[2:3]
	s_mov_b32 s2, 0xffffff
	v_cmp_lt_u32_e32 vcc, s2, v11
	s_and_saveexec_b64 s[2:3], vcc
	s_cbranch_execz .LBB851_543
; %bb.538:
	v_lshrrev_b32_e32 v10, 24, v11
	s_movk_i32 s7, 0x80
	v_cmp_ne_u32_e32 vcc, s7, v10
	v_mov_b32_e32 v25, 0xffff8000
	s_and_saveexec_b64 s[8:9], vcc
	s_cbranch_execz .LBB851_542
; %bb.539:
	v_bfe_u32 v11, v11, 24, 7
	s_movk_i32 s7, 0x7f
	v_cmp_ne_u32_e32 vcc, s7, v11
	v_mov_b32_e32 v25, 0x7f80
	s_and_saveexec_b64 s[10:11], vcc
	s_cbranch_execz .LBB851_541
; %bb.540:
	v_and_b32_e32 v25, 7, v10
	v_ffbh_u32_e32 v29, v25
	v_min_u32_e32 v29, 32, v29
	v_subrev_u32_e32 v30, 28, v29
	v_lshlrev_b64 v[30:31], v30, v[10:11]
	v_lshrrev_b32_e32 v27, 3, v11
	v_sub_u32_e32 v29, 29, v29
	v_and_b32_e32 v30, 7, v30
	v_cmp_gt_u32_e32 vcc, 8, v11
	v_cndmask_b32_e32 v11, v27, v29, vcc
	v_cndmask_b32_e32 v25, v25, v30, vcc
	v_lshlrev_b32_e32 v10, 24, v10
	v_bfrev_b32_e32 v27, 60
	v_lshlrev_b32_e32 v25, 20, v25
	v_and_b32_e32 v10, 0x80000000, v10
	v_lshl_add_u32 v11, v11, 23, v27
	v_or3_b32 v10, v10, v11, v25
	v_lshrrev_b32_e32 v25, 16, v10
.LBB851_541:
	s_or_b64 exec, exec, s[10:11]
.LBB851_542:
	s_or_b64 exec, exec, s[8:9]
.LBB851_543:
	s_or_b64 exec, exec, s[2:3]
	s_mov_b32 s2, 0x5040100
	v_perm_b32 v11, v21, v23, s2
	v_perm_b32 v10, v19, v20, s2
	ds_read_b128 v[30:33], v22 offset:2048
	v_perm_b32 v21, v25, v26, s2
	v_perm_b32 v20, v18, v24, s2
	s_waitcnt lgkmcnt(0)
	v_mfma_f32_16x16x16bf16_1k v[14:17], v[10:11], v[30:31], v[14:17]
	v_mov_b32_e32 v11, 0
	v_cmp_ne_u16_sdwa s[8:9], v12, v11 src0_sel:BYTE_0 src1_sel:DWORD
	v_mov_b32_e32 v18, 0
	v_mfma_f32_16x16x16bf16_1k v[14:17], v[20:21], v[32:33], v[14:17]
	s_and_saveexec_b64 s[2:3], s[8:9]
	s_cbranch_execz .LBB851_549
; %bb.544:
	s_movk_i32 s7, 0x80
	v_cmp_ne_u16_sdwa s[10:11], v12, s7 src0_sel:BYTE_0 src1_sel:DWORD
	v_mov_b32_e32 v18, 0xffff8000
	s_and_saveexec_b64 s[8:9], s[10:11]
	s_cbranch_execz .LBB851_548
; %bb.545:
	s_movk_i32 s7, 0x7f
	v_and_b32_e32 v10, 0x7f, v12
	v_cmp_ne_u32_e32 vcc, s7, v10
	v_mov_b32_e32 v18, 0x7f80
	s_and_saveexec_b64 s[10:11], vcc
	s_cbranch_execz .LBB851_547
; %bb.546:
	v_and_b32_e32 v20, 7, v12
	v_ffbh_u32_e32 v18, v20
	v_min_u32_e32 v23, 32, v18
	v_subrev_u32_e32 v18, 28, v23
	v_lshlrev_b64 v[18:19], v18, v[12:13]
	v_lshrrev_b32_e32 v21, 3, v10
	v_sub_u32_e32 v19, 29, v23
	v_and_b32_e32 v18, 7, v18
	v_cmp_gt_u32_e32 vcc, 8, v10
	v_cndmask_b32_e32 v10, v21, v19, vcc
	v_cndmask_b32_e32 v18, v20, v18, vcc
	v_lshlrev_b32_e32 v19, 24, v12
	v_bfrev_b32_e32 v20, 60
	v_lshlrev_b32_e32 v18, 20, v18
	v_and_b32_e32 v19, 0x80000000, v19
	v_lshl_add_u32 v10, v10, 23, v20
	v_or3_b32 v10, v19, v10, v18
	v_lshrrev_b32_e32 v18, 16, v10
.LBB851_547:
	s_or_b64 exec, exec, s[10:11]
.LBB851_548:
	s_or_b64 exec, exec, s[8:9]
.LBB851_549:
	s_or_b64 exec, exec, s[2:3]
	v_lshrrev_b16_e32 v10, 8, v12
	v_cmp_ne_u16_e32 vcc, 0, v10
	s_and_saveexec_b64 s[2:3], vcc
	s_cbranch_execz .LBB851_555
; %bb.550:
	s_movk_i32 s7, 0x80
	v_cmp_ne_u16_e32 vcc, s7, v10
	v_mov_b32_e32 v11, 0xffff8000
	s_and_saveexec_b64 s[8:9], vcc
	s_cbranch_execz .LBB851_554
; %bb.551:
	s_movk_i32 s7, 0x7f
	v_and_b32_e32 v19, 0x7f, v10
	v_cmp_ne_u32_e32 vcc, s7, v19
	v_mov_b32_e32 v11, 0x7f80
	s_and_saveexec_b64 s[10:11], vcc
	s_cbranch_execz .LBB851_553
; %bb.552:
	v_and_b32_e32 v20, 7, v10
	v_ffbh_u32_e32 v11, v20
	v_min_u32_e32 v23, 32, v11
	v_subrev_u32_e32 v11, 28, v23
	v_lshlrev_b64 v[10:11], v11, v[10:11]
	v_lshrrev_b32_e32 v21, 3, v19
	v_sub_u32_e32 v11, 29, v23
	v_and_b32_e32 v10, 7, v10
	v_cmp_gt_u32_e32 vcc, 8, v19
	v_cndmask_b32_e32 v11, v21, v11, vcc
	v_cndmask_b32_e32 v10, v20, v10, vcc
	v_lshlrev_b32_e32 v19, 16, v12
	v_bfrev_b32_e32 v20, 60
	v_lshlrev_b32_e32 v10, 20, v10
	v_and_b32_e32 v19, 0x80000000, v19
	v_lshl_add_u32 v11, v11, 23, v20
	v_or3_b32 v10, v19, v11, v10
	v_lshrrev_b32_e32 v11, 16, v10
.LBB851_553:
	s_or_b64 exec, exec, s[10:11]
.LBB851_554:
	s_or_b64 exec, exec, s[8:9]
.LBB851_555:
	s_or_b64 exec, exec, s[2:3]
	s_movk_i32 s2, 0xff
	v_and_b32_sdwa v21, v12, s2 dst_sel:DWORD dst_unused:UNUSED_PAD src0_sel:WORD_1 src1_sel:DWORD
	v_lshrrev_b32_e32 v10, 16, v12
	v_cmp_ne_u16_e32 vcc, 0, v21
	v_mov_b32_e32 v19, 0
	v_mov_b32_e32 v20, 0
	s_and_saveexec_b64 s[2:3], vcc
	s_cbranch_execz .LBB851_561
; %bb.556:
	s_movk_i32 s7, 0x80
	v_cmp_ne_u16_e32 vcc, s7, v21
	v_mov_b32_e32 v20, 0xffff8000
	s_and_saveexec_b64 s[8:9], vcc
	s_cbranch_execz .LBB851_560
; %bb.557:
	v_bfe_u32 v21, v12, 16, 7
	s_movk_i32 s7, 0x7f
	v_cmp_ne_u32_e32 vcc, s7, v21
	v_mov_b32_e32 v20, 0x7f80
	s_and_saveexec_b64 s[10:11], vcc
	s_cbranch_execz .LBB851_559
; %bb.558:
	v_and_b32_e32 v20, 7, v10
	v_ffbh_u32_e32 v24, v20
	v_min_u32_e32 v26, 32, v24
	v_subrev_u32_e32 v24, 28, v26
	v_lshlrev_b64 v[24:25], v24, v[10:11]
	v_lshrrev_b32_e32 v23, 3, v21
	v_sub_u32_e32 v10, 29, v26
	v_and_b32_e32 v24, 7, v24
	v_cmp_gt_u32_e32 vcc, 8, v21
	v_mov_b32_e32 v21, 24
	v_cndmask_b32_e32 v10, v23, v10, vcc
	v_cndmask_b32_e32 v20, v20, v24, vcc
	v_lshlrev_b32_sdwa v21, v21, v12 dst_sel:DWORD dst_unused:UNUSED_PAD src0_sel:DWORD src1_sel:WORD_1
	v_bfrev_b32_e32 v23, 60
	v_lshlrev_b32_e32 v20, 20, v20
	v_and_b32_e32 v21, 0x80000000, v21
	v_lshl_add_u32 v10, v10, 23, v23
	v_or3_b32 v10, v21, v10, v20
	v_lshrrev_b32_e32 v20, 16, v10
.LBB851_559:
	s_or_b64 exec, exec, s[10:11]
.LBB851_560:
	s_or_b64 exec, exec, s[8:9]
.LBB851_561:
	s_or_b64 exec, exec, s[2:3]
	s_mov_b32 s2, 0xffffff
	v_cmp_lt_u32_e32 vcc, s2, v12
	s_and_saveexec_b64 s[2:3], vcc
	s_cbranch_execz .LBB851_567
; %bb.562:
	v_lshrrev_b32_e32 v10, 24, v12
	s_movk_i32 s7, 0x80
	v_cmp_ne_u32_e32 vcc, s7, v10
	v_mov_b32_e32 v19, 0xffff8000
	s_and_saveexec_b64 s[8:9], vcc
	s_cbranch_execz .LBB851_566
; %bb.563:
	v_bfe_u32 v12, v12, 24, 7
	s_movk_i32 s7, 0x7f
	v_cmp_ne_u32_e32 vcc, s7, v12
	v_mov_b32_e32 v19, 0x7f80
	s_and_saveexec_b64 s[10:11], vcc
	s_cbranch_execz .LBB851_565
; %bb.564:
	v_and_b32_e32 v19, 7, v10
	v_ffbh_u32_e32 v23, v19
	v_min_u32_e32 v23, 32, v23
	v_subrev_u32_e32 v24, 28, v23
	v_lshlrev_b64 v[24:25], v24, v[10:11]
	v_lshrrev_b32_e32 v21, 3, v12
	v_sub_u32_e32 v23, 29, v23
	v_and_b32_e32 v24, 7, v24
	v_cmp_gt_u32_e32 vcc, 8, v12
	v_cndmask_b32_e32 v12, v21, v23, vcc
	v_cndmask_b32_e32 v19, v19, v24, vcc
	v_lshlrev_b32_e32 v10, 24, v10
	v_bfrev_b32_e32 v21, 60
	v_lshlrev_b32_e32 v19, 20, v19
	v_and_b32_e32 v10, 0x80000000, v10
	v_lshl_add_u32 v12, v12, 23, v21
	v_or3_b32 v10, v10, v12, v19
	v_lshrrev_b32_e32 v19, 16, v10
.LBB851_565:
	s_or_b64 exec, exec, s[10:11]
.LBB851_566:
	s_or_b64 exec, exec, s[8:9]
.LBB851_567:
	s_or_b64 exec, exec, s[2:3]
	v_mov_b32_e32 v12, 0
	v_cmp_ne_u16_sdwa s[8:9], v13, v12 src0_sel:BYTE_0 src1_sel:DWORD
	v_mov_b32_e32 v21, 0
	s_and_saveexec_b64 s[2:3], s[8:9]
	s_cbranch_execz .LBB851_573
; %bb.568:
	s_movk_i32 s7, 0x80
	v_cmp_ne_u16_sdwa s[10:11], v13, s7 src0_sel:BYTE_0 src1_sel:DWORD
	v_mov_b32_e32 v21, 0xffff8000
	s_and_saveexec_b64 s[8:9], s[10:11]
	s_cbranch_execz .LBB851_572
; %bb.569:
	s_movk_i32 s7, 0x7f
	v_and_b32_e32 v10, 0x7f, v13
	v_cmp_ne_u32_e32 vcc, s7, v10
	v_mov_b32_e32 v21, 0x7f80
	s_and_saveexec_b64 s[10:11], vcc
	s_cbranch_execz .LBB851_571
; %bb.570:
	v_and_b32_e32 v21, 7, v13
	v_ffbh_u32_e32 v25, v21
	v_min_u32_e32 v26, 32, v25
	v_mov_b32_e32 v24, v13
	v_subrev_u32_e32 v25, 28, v26
	v_lshlrev_b64 v[24:25], v25, v[24:25]
	v_lshrrev_b32_e32 v23, 3, v10
	v_sub_u32_e32 v25, 29, v26
	v_and_b32_e32 v24, 7, v24
	v_cmp_gt_u32_e32 vcc, 8, v10
	v_cndmask_b32_e32 v10, v23, v25, vcc
	v_cndmask_b32_e32 v21, v21, v24, vcc
	v_lshlrev_b32_e32 v23, 24, v13
	v_bfrev_b32_e32 v24, 60
	v_lshlrev_b32_e32 v21, 20, v21
	v_and_b32_e32 v23, 0x80000000, v23
	v_lshl_add_u32 v10, v10, 23, v24
	v_or3_b32 v10, v23, v10, v21
	v_lshrrev_b32_e32 v21, 16, v10
.LBB851_571:
	s_or_b64 exec, exec, s[10:11]
.LBB851_572:
	s_or_b64 exec, exec, s[8:9]
.LBB851_573:
	s_or_b64 exec, exec, s[2:3]
	v_lshrrev_b16_e32 v10, 8, v13
	v_cmp_ne_u16_e32 vcc, 0, v10
	s_and_saveexec_b64 s[2:3], vcc
	s_cbranch_execz .LBB851_579
; %bb.574:
	s_movk_i32 s7, 0x80
	v_cmp_ne_u16_e32 vcc, s7, v10
	v_mov_b32_e32 v12, 0xffff8000
	s_and_saveexec_b64 s[8:9], vcc
	s_cbranch_execz .LBB851_578
; %bb.575:
	s_movk_i32 s7, 0x7f
	v_and_b32_e32 v23, 0x7f, v10
	v_cmp_ne_u32_e32 vcc, s7, v23
	v_mov_b32_e32 v12, 0x7f80
	s_and_saveexec_b64 s[10:11], vcc
	s_cbranch_execz .LBB851_577
; %bb.576:
	v_and_b32_e32 v12, 7, v10
	v_ffbh_u32_e32 v24, v12
	v_min_u32_e32 v27, 32, v24
	v_subrev_u32_e32 v24, 28, v27
	v_lshlrev_b64 v[24:25], v24, v[10:11]
	v_lshrrev_b32_e32 v26, 3, v23
	v_sub_u32_e32 v10, 29, v27
	v_and_b32_e32 v24, 7, v24
	v_cmp_gt_u32_e32 vcc, 8, v23
	v_cndmask_b32_e32 v10, v26, v10, vcc
	v_cndmask_b32_e32 v12, v12, v24, vcc
	v_lshlrev_b32_e32 v23, 16, v13
	v_bfrev_b32_e32 v24, 60
	v_lshlrev_b32_e32 v12, 20, v12
	v_and_b32_e32 v23, 0x80000000, v23
	v_lshl_add_u32 v10, v10, 23, v24
	v_or3_b32 v10, v23, v10, v12
	v_lshrrev_b32_e32 v12, 16, v10
.LBB851_577:
	s_or_b64 exec, exec, s[10:11]
.LBB851_578:
	s_or_b64 exec, exec, s[8:9]
.LBB851_579:
	s_or_b64 exec, exec, s[2:3]
	s_movk_i32 s2, 0xff
	v_and_b32_sdwa v25, v13, s2 dst_sel:DWORD dst_unused:UNUSED_PAD src0_sel:WORD_1 src1_sel:DWORD
	v_lshrrev_b32_e32 v10, 16, v13
	v_cmp_ne_u16_e32 vcc, 0, v25
	v_mov_b32_e32 v23, 0
	v_mov_b32_e32 v24, 0
	s_and_saveexec_b64 s[2:3], vcc
	s_cbranch_execz .LBB851_585
; %bb.580:
	s_movk_i32 s7, 0x80
	v_cmp_ne_u16_e32 vcc, s7, v25
	v_mov_b32_e32 v24, 0xffff8000
	s_and_saveexec_b64 s[8:9], vcc
	s_cbranch_execz .LBB851_584
; %bb.581:
	v_bfe_u32 v25, v13, 16, 7
	s_movk_i32 s7, 0x7f
	v_cmp_ne_u32_e32 vcc, s7, v25
	v_mov_b32_e32 v24, 0x7f80
	s_and_saveexec_b64 s[10:11], vcc
	s_cbranch_execz .LBB851_583
; %bb.582:
	v_and_b32_e32 v24, 7, v10
	v_ffbh_u32_e32 v26, v24
	v_min_u32_e32 v30, 32, v26
	v_subrev_u32_e32 v26, 28, v30
	v_lshlrev_b64 v[26:27], v26, v[10:11]
	v_lshrrev_b32_e32 v29, 3, v25
	v_sub_u32_e32 v10, 29, v30
	v_and_b32_e32 v26, 7, v26
	v_cmp_gt_u32_e32 vcc, 8, v25
	v_mov_b32_e32 v25, 24
	v_cndmask_b32_e32 v10, v29, v10, vcc
	v_cndmask_b32_e32 v24, v24, v26, vcc
	v_lshlrev_b32_sdwa v25, v25, v13 dst_sel:DWORD dst_unused:UNUSED_PAD src0_sel:DWORD src1_sel:WORD_1
	v_bfrev_b32_e32 v26, 60
	v_lshlrev_b32_e32 v24, 20, v24
	v_and_b32_e32 v25, 0x80000000, v25
	v_lshl_add_u32 v10, v10, 23, v26
	v_or3_b32 v10, v25, v10, v24
	v_lshrrev_b32_e32 v24, 16, v10
.LBB851_583:
	s_or_b64 exec, exec, s[10:11]
.LBB851_584:
	s_or_b64 exec, exec, s[8:9]
.LBB851_585:
	s_or_b64 exec, exec, s[2:3]
	s_mov_b32 s2, 0xffffff
	v_cmp_lt_u32_e32 vcc, s2, v13
	s_and_saveexec_b64 s[2:3], vcc
	s_cbranch_execz .LBB851_591
; %bb.586:
	v_lshrrev_b32_e32 v10, 24, v13
	s_movk_i32 s7, 0x80
	v_cmp_ne_u32_e32 vcc, s7, v10
	v_mov_b32_e32 v23, 0xffff8000
	s_and_saveexec_b64 s[8:9], vcc
	s_cbranch_execz .LBB851_590
; %bb.587:
	v_bfe_u32 v13, v13, 24, 7
	s_movk_i32 s7, 0x7f
	v_cmp_ne_u32_e32 vcc, s7, v13
	v_mov_b32_e32 v23, 0x7f80
	s_and_saveexec_b64 s[10:11], vcc
	s_cbranch_execz .LBB851_589
; %bb.588:
	v_and_b32_e32 v23, 7, v10
	v_ffbh_u32_e32 v26, v23
	v_min_u32_e32 v29, 32, v26
	v_subrev_u32_e32 v26, 28, v29
	v_lshlrev_b64 v[26:27], v26, v[10:11]
	v_lshrrev_b32_e32 v25, 3, v13
	v_sub_u32_e32 v27, 29, v29
	v_and_b32_e32 v26, 7, v26
	v_cmp_gt_u32_e32 vcc, 8, v13
	v_cndmask_b32_e32 v13, v25, v27, vcc
	v_cndmask_b32_e32 v23, v23, v26, vcc
	v_lshlrev_b32_e32 v10, 24, v10
	v_bfrev_b32_e32 v25, 60
	v_lshlrev_b32_e32 v23, 20, v23
	v_and_b32_e32 v10, 0x80000000, v10
	v_lshl_add_u32 v13, v13, 23, v25
	v_or3_b32 v10, v10, v13, v23
	v_lshrrev_b32_e32 v23, 16, v10
.LBB851_589:
	s_or_b64 exec, exec, s[10:11]
.LBB851_590:
	s_or_b64 exec, exec, s[8:9]
.LBB851_591:
	s_or_b64 exec, exec, s[2:3]
	s_mov_b32 s2, 0x5040100
	v_perm_b32 v19, v19, v20, s2
	v_perm_b32 v18, v11, v18, s2
	ds_read_b128 v[30:33], v22 offset:2064
	v_perm_b32 v11, v23, v24, s2
	v_perm_b32 v10, v12, v21, s2
	s_waitcnt lgkmcnt(0)
	v_mfma_f32_16x16x16bf16_1k v[34:37], v[18:19], v[30:31], v[14:17]
	s_nop 6
	v_mov_b32_e32 v15, 0
	s_waitcnt vmcnt(1)
	v_cmp_ne_u16_sdwa s[8:9], v6, v15 src0_sel:BYTE_0 src1_sel:DWORD
	v_mfma_f32_16x16x16bf16_1k v[10:13], v[10:11], v[32:33], v[34:37]
	v_mov_b32_e32 v16, 0
	s_and_saveexec_b64 s[2:3], s[8:9]
	s_cbranch_execz .LBB851_597
; %bb.592:
	s_movk_i32 s7, 0x80
	v_cmp_ne_u16_sdwa s[10:11], v6, s7 src0_sel:BYTE_0 src1_sel:DWORD
	v_mov_b32_e32 v16, 0xffff8000
	s_and_saveexec_b64 s[8:9], s[10:11]
	s_cbranch_execz .LBB851_596
; %bb.593:
	s_movk_i32 s7, 0x7f
	v_and_b32_e32 v14, 0x7f, v6
	v_cmp_ne_u32_e32 vcc, s7, v14
	v_mov_b32_e32 v16, 0x7f80
	s_and_saveexec_b64 s[10:11], vcc
	s_cbranch_execz .LBB851_595
; %bb.594:
	v_and_b32_e32 v18, 7, v6
	v_ffbh_u32_e32 v16, v18
	v_min_u32_e32 v20, 32, v16
	v_subrev_u32_e32 v16, 28, v20
	v_lshlrev_b64 v[16:17], v16, v[6:7]
	v_lshrrev_b32_e32 v19, 3, v14
	v_sub_u32_e32 v17, 29, v20
	v_and_b32_e32 v16, 7, v16
	v_cmp_gt_u32_e32 vcc, 8, v14
	v_cndmask_b32_e32 v14, v19, v17, vcc
	v_cndmask_b32_e32 v16, v18, v16, vcc
	v_lshlrev_b32_e32 v17, 24, v6
	v_bfrev_b32_e32 v18, 60
	v_lshlrev_b32_e32 v16, 20, v16
	v_and_b32_e32 v17, 0x80000000, v17
	v_lshl_add_u32 v14, v14, 23, v18
	v_or3_b32 v14, v17, v14, v16
	v_lshrrev_b32_e32 v16, 16, v14
.LBB851_595:
	s_or_b64 exec, exec, s[10:11]
.LBB851_596:
	s_or_b64 exec, exec, s[8:9]
.LBB851_597:
	s_or_b64 exec, exec, s[2:3]
	v_lshrrev_b16_e32 v14, 8, v6
	v_cmp_ne_u16_e32 vcc, 0, v14
	s_and_saveexec_b64 s[2:3], vcc
	s_cbranch_execz .LBB851_603
; %bb.598:
	s_movk_i32 s7, 0x80
	v_cmp_ne_u16_e32 vcc, s7, v14
	v_mov_b32_e32 v15, 0xffff8000
	s_and_saveexec_b64 s[8:9], vcc
	s_cbranch_execz .LBB851_602
; %bb.599:
	s_movk_i32 s7, 0x7f
	v_and_b32_e32 v17, 0x7f, v14
	v_cmp_ne_u32_e32 vcc, s7, v17
	v_mov_b32_e32 v15, 0x7f80
	s_and_saveexec_b64 s[10:11], vcc
	s_cbranch_execz .LBB851_601
; %bb.600:
	v_and_b32_e32 v18, 7, v14
	v_ffbh_u32_e32 v15, v18
	v_min_u32_e32 v20, 32, v15
	v_subrev_u32_e32 v15, 28, v20
	v_lshlrev_b64 v[14:15], v15, v[14:15]
	v_lshrrev_b32_e32 v19, 3, v17
	v_sub_u32_e32 v15, 29, v20
	v_and_b32_e32 v14, 7, v14
	v_cmp_gt_u32_e32 vcc, 8, v17
	v_cndmask_b32_e32 v15, v19, v15, vcc
	v_cndmask_b32_e32 v14, v18, v14, vcc
	v_lshlrev_b32_e32 v17, 16, v6
	v_bfrev_b32_e32 v18, 60
	v_lshlrev_b32_e32 v14, 20, v14
	v_and_b32_e32 v17, 0x80000000, v17
	v_lshl_add_u32 v15, v15, 23, v18
	v_or3_b32 v14, v17, v15, v14
	v_lshrrev_b32_e32 v15, 16, v14
.LBB851_601:
	s_or_b64 exec, exec, s[10:11]
.LBB851_602:
	s_or_b64 exec, exec, s[8:9]
.LBB851_603:
	s_or_b64 exec, exec, s[2:3]
	s_movk_i32 s2, 0xff
	v_and_b32_sdwa v19, v6, s2 dst_sel:DWORD dst_unused:UNUSED_PAD src0_sel:WORD_1 src1_sel:DWORD
	v_lshrrev_b32_e32 v14, 16, v6
	v_cmp_ne_u16_e32 vcc, 0, v19
	v_mov_b32_e32 v17, 0
	v_mov_b32_e32 v18, 0
	s_and_saveexec_b64 s[2:3], vcc
	s_cbranch_execz .LBB851_609
; %bb.604:
	s_movk_i32 s7, 0x80
	v_cmp_ne_u16_e32 vcc, s7, v19
	v_mov_b32_e32 v18, 0xffff8000
	s_and_saveexec_b64 s[8:9], vcc
	s_cbranch_execz .LBB851_608
; %bb.605:
	v_bfe_u32 v19, v6, 16, 7
	s_movk_i32 s7, 0x7f
	v_cmp_ne_u32_e32 vcc, s7, v19
	v_mov_b32_e32 v18, 0x7f80
	s_and_saveexec_b64 s[10:11], vcc
	s_cbranch_execz .LBB851_607
; %bb.606:
	v_and_b32_e32 v18, 7, v14
	v_ffbh_u32_e32 v20, v18
	v_min_u32_e32 v24, 32, v20
	v_subrev_u32_e32 v20, 28, v24
	v_lshlrev_b64 v[20:21], v20, v[14:15]
	v_lshrrev_b32_e32 v23, 3, v19
	v_sub_u32_e32 v14, 29, v24
	v_and_b32_e32 v20, 7, v20
	v_cmp_gt_u32_e32 vcc, 8, v19
	v_mov_b32_e32 v19, 24
	v_cndmask_b32_e32 v14, v23, v14, vcc
	v_cndmask_b32_e32 v18, v18, v20, vcc
	v_lshlrev_b32_sdwa v19, v19, v6 dst_sel:DWORD dst_unused:UNUSED_PAD src0_sel:DWORD src1_sel:WORD_1
	v_bfrev_b32_e32 v20, 60
	v_lshlrev_b32_e32 v18, 20, v18
	v_and_b32_e32 v19, 0x80000000, v19
	v_lshl_add_u32 v14, v14, 23, v20
	v_or3_b32 v14, v19, v14, v18
	v_lshrrev_b32_e32 v18, 16, v14
.LBB851_607:
	s_or_b64 exec, exec, s[10:11]
.LBB851_608:
	s_or_b64 exec, exec, s[8:9]
.LBB851_609:
	s_or_b64 exec, exec, s[2:3]
	s_mov_b32 s2, 0xffffff
	v_cmp_lt_u32_e32 vcc, s2, v6
	s_and_saveexec_b64 s[2:3], vcc
	s_cbranch_execz .LBB851_615
; %bb.610:
	v_lshrrev_b32_e32 v14, 24, v6
	s_movk_i32 s7, 0x80
	v_cmp_ne_u32_e32 vcc, s7, v14
	v_mov_b32_e32 v17, 0xffff8000
	s_and_saveexec_b64 s[8:9], vcc
	s_cbranch_execz .LBB851_614
; %bb.611:
	v_bfe_u32 v6, v6, 24, 7
	s_movk_i32 s7, 0x7f
	v_cmp_ne_u32_e32 vcc, s7, v6
	v_mov_b32_e32 v17, 0x7f80
	s_and_saveexec_b64 s[10:11], vcc
	s_cbranch_execz .LBB851_613
; %bb.612:
	v_and_b32_e32 v17, 7, v14
	v_ffbh_u32_e32 v20, v17
	v_min_u32_e32 v23, 32, v20
	v_subrev_u32_e32 v20, 28, v23
	v_lshlrev_b64 v[20:21], v20, v[14:15]
	v_lshrrev_b32_e32 v19, 3, v6
	v_sub_u32_e32 v21, 29, v23
	v_and_b32_e32 v20, 7, v20
	v_cmp_gt_u32_e32 vcc, 8, v6
	v_cndmask_b32_e32 v6, v19, v21, vcc
	v_cndmask_b32_e32 v17, v17, v20, vcc
	v_lshlrev_b32_e32 v14, 24, v14
	v_bfrev_b32_e32 v19, 60
	v_lshlrev_b32_e32 v17, 20, v17
	v_and_b32_e32 v14, 0x80000000, v14
	v_lshl_add_u32 v6, v6, 23, v19
	v_or3_b32 v6, v14, v6, v17
	v_lshrrev_b32_e32 v17, 16, v6
.LBB851_613:
	s_or_b64 exec, exec, s[10:11]
.LBB851_614:
	s_or_b64 exec, exec, s[8:9]
.LBB851_615:
	s_or_b64 exec, exec, s[2:3]
	v_mov_b32_e32 v14, 0
	v_cmp_ne_u16_sdwa s[8:9], v7, v14 src0_sel:BYTE_0 src1_sel:DWORD
	v_mov_b32_e32 v19, 0
	s_and_saveexec_b64 s[2:3], s[8:9]
	s_cbranch_execz .LBB851_621
; %bb.616:
	s_movk_i32 s7, 0x80
	v_cmp_ne_u16_sdwa s[10:11], v7, s7 src0_sel:BYTE_0 src1_sel:DWORD
	v_mov_b32_e32 v19, 0xffff8000
	s_and_saveexec_b64 s[8:9], s[10:11]
	s_cbranch_execz .LBB851_620
; %bb.617:
	s_movk_i32 s7, 0x7f
	v_and_b32_e32 v6, 0x7f, v7
	v_cmp_ne_u32_e32 vcc, s7, v6
	v_mov_b32_e32 v19, 0x7f80
	s_and_saveexec_b64 s[10:11], vcc
	s_cbranch_execz .LBB851_619
; %bb.618:
	v_and_b32_e32 v19, 7, v7
	v_ffbh_u32_e32 v21, v19
	v_min_u32_e32 v24, 32, v21
	v_mov_b32_e32 v20, v7
	v_subrev_u32_e32 v21, 28, v24
	v_lshlrev_b64 v[20:21], v21, v[20:21]
	v_lshrrev_b32_e32 v23, 3, v6
	v_sub_u32_e32 v21, 29, v24
	v_and_b32_e32 v20, 7, v20
	v_cmp_gt_u32_e32 vcc, 8, v6
	v_cndmask_b32_e32 v6, v23, v21, vcc
	v_cndmask_b32_e32 v19, v19, v20, vcc
	v_lshlrev_b32_e32 v20, 24, v7
	v_bfrev_b32_e32 v21, 60
	v_lshlrev_b32_e32 v19, 20, v19
	v_and_b32_e32 v20, 0x80000000, v20
	v_lshl_add_u32 v6, v6, 23, v21
	v_or3_b32 v6, v20, v6, v19
	v_lshrrev_b32_e32 v19, 16, v6
.LBB851_619:
	s_or_b64 exec, exec, s[10:11]
.LBB851_620:
	s_or_b64 exec, exec, s[8:9]
.LBB851_621:
	s_or_b64 exec, exec, s[2:3]
	v_lshrrev_b16_e32 v6, 8, v7
	v_cmp_ne_u16_e32 vcc, 0, v6
	s_and_saveexec_b64 s[2:3], vcc
	s_cbranch_execz .LBB851_627
; %bb.622:
	s_movk_i32 s7, 0x80
	v_cmp_ne_u16_e32 vcc, s7, v6
	v_mov_b32_e32 v14, 0xffff8000
	s_and_saveexec_b64 s[8:9], vcc
	s_cbranch_execz .LBB851_626
; %bb.623:
	s_movk_i32 s7, 0x7f
	v_and_b32_e32 v20, 0x7f, v6
	v_cmp_ne_u32_e32 vcc, s7, v20
	v_mov_b32_e32 v14, 0x7f80
	s_and_saveexec_b64 s[10:11], vcc
	s_cbranch_execz .LBB851_625
; %bb.624:
	v_and_b32_e32 v14, 7, v6
	v_ffbh_u32_e32 v23, v14
	v_min_u32_e32 v23, 32, v23
	v_subrev_u32_e32 v24, 28, v23
	v_lshlrev_b64 v[24:25], v24, v[6:7]
	v_lshrrev_b32_e32 v21, 3, v20
	v_sub_u32_e32 v6, 29, v23
	v_and_b32_e32 v23, 7, v24
	v_cmp_gt_u32_e32 vcc, 8, v20
	v_cndmask_b32_e32 v6, v21, v6, vcc
	v_cndmask_b32_e32 v14, v14, v23, vcc
	v_lshlrev_b32_e32 v20, 16, v7
	v_bfrev_b32_e32 v21, 60
	v_lshlrev_b32_e32 v14, 20, v14
	v_and_b32_e32 v20, 0x80000000, v20
	v_lshl_add_u32 v6, v6, 23, v21
	v_or3_b32 v6, v20, v6, v14
	v_lshrrev_b32_e32 v14, 16, v6
.LBB851_625:
	s_or_b64 exec, exec, s[10:11]
.LBB851_626:
	s_or_b64 exec, exec, s[8:9]
.LBB851_627:
	s_or_b64 exec, exec, s[2:3]
	s_movk_i32 s2, 0xff
	v_and_b32_sdwa v23, v7, s2 dst_sel:DWORD dst_unused:UNUSED_PAD src0_sel:WORD_1 src1_sel:DWORD
	v_lshrrev_b32_e32 v6, 16, v7
	v_cmp_ne_u16_e32 vcc, 0, v23
	v_mov_b32_e32 v20, 0
	v_mov_b32_e32 v21, 0
	s_and_saveexec_b64 s[2:3], vcc
	s_cbranch_execz .LBB851_633
; %bb.628:
	s_movk_i32 s7, 0x80
	v_cmp_ne_u16_e32 vcc, s7, v23
	v_mov_b32_e32 v21, 0xffff8000
	s_and_saveexec_b64 s[8:9], vcc
	s_cbranch_execz .LBB851_632
; %bb.629:
	v_bfe_u32 v23, v7, 16, 7
	s_movk_i32 s7, 0x7f
	v_cmp_ne_u32_e32 vcc, s7, v23
	v_mov_b32_e32 v21, 0x7f80
	s_and_saveexec_b64 s[10:11], vcc
	s_cbranch_execz .LBB851_631
; %bb.630:
	v_and_b32_e32 v21, 7, v6
	v_ffbh_u32_e32 v24, v21
	v_min_u32_e32 v27, 32, v24
	v_subrev_u32_e32 v24, 28, v27
	v_lshlrev_b64 v[24:25], v24, v[6:7]
	v_lshrrev_b32_e32 v26, 3, v23
	v_sub_u32_e32 v6, 29, v27
	v_and_b32_e32 v24, 7, v24
	v_cmp_gt_u32_e32 vcc, 8, v23
	v_mov_b32_e32 v23, 24
	v_cndmask_b32_e32 v6, v26, v6, vcc
	v_cndmask_b32_e32 v21, v21, v24, vcc
	v_lshlrev_b32_sdwa v23, v23, v7 dst_sel:DWORD dst_unused:UNUSED_PAD src0_sel:DWORD src1_sel:WORD_1
	v_bfrev_b32_e32 v24, 60
	v_lshlrev_b32_e32 v21, 20, v21
	v_and_b32_e32 v23, 0x80000000, v23
	v_lshl_add_u32 v6, v6, 23, v24
	v_or3_b32 v6, v23, v6, v21
	v_lshrrev_b32_e32 v21, 16, v6
.LBB851_631:
	s_or_b64 exec, exec, s[10:11]
.LBB851_632:
	s_or_b64 exec, exec, s[8:9]
.LBB851_633:
	s_or_b64 exec, exec, s[2:3]
	s_mov_b32 s2, 0xffffff
	v_cmp_lt_u32_e32 vcc, s2, v7
	s_and_saveexec_b64 s[2:3], vcc
	s_cbranch_execz .LBB851_639
; %bb.634:
	v_lshrrev_b32_e32 v6, 24, v7
	s_movk_i32 s7, 0x80
	v_cmp_ne_u32_e32 vcc, s7, v6
	v_mov_b32_e32 v20, 0xffff8000
	s_and_saveexec_b64 s[8:9], vcc
	s_cbranch_execz .LBB851_638
; %bb.635:
	v_bfe_u32 v7, v7, 24, 7
	s_movk_i32 s7, 0x7f
	v_cmp_ne_u32_e32 vcc, s7, v7
	v_mov_b32_e32 v20, 0x7f80
	s_and_saveexec_b64 s[10:11], vcc
	s_cbranch_execz .LBB851_637
; %bb.636:
	v_and_b32_e32 v20, 7, v6
	v_ffbh_u32_e32 v24, v20
	v_min_u32_e32 v26, 32, v24
	v_subrev_u32_e32 v24, 28, v26
	v_lshlrev_b64 v[24:25], v24, v[6:7]
	v_lshrrev_b32_e32 v23, 3, v7
	v_sub_u32_e32 v25, 29, v26
	v_and_b32_e32 v24, 7, v24
	v_cmp_gt_u32_e32 vcc, 8, v7
	v_cndmask_b32_e32 v7, v23, v25, vcc
	v_cndmask_b32_e32 v20, v20, v24, vcc
	v_lshlrev_b32_e32 v6, 24, v6
	v_bfrev_b32_e32 v23, 60
	v_lshlrev_b32_e32 v20, 20, v20
	v_and_b32_e32 v6, 0x80000000, v6
	v_lshl_add_u32 v7, v7, 23, v23
	v_or3_b32 v6, v6, v7, v20
	v_lshrrev_b32_e32 v20, 16, v6
.LBB851_637:
	s_or_b64 exec, exec, s[10:11]
.LBB851_638:
	s_or_b64 exec, exec, s[8:9]
.LBB851_639:
	s_or_b64 exec, exec, s[2:3]
	s_mov_b32 s2, 0x5040100
	v_perm_b32 v7, v17, v18, s2
	v_perm_b32 v6, v15, v16, s2
	ds_read_b128 v[24:27], v22 offset:4096
	v_perm_b32 v17, v20, v21, s2
	v_perm_b32 v16, v14, v19, s2
	s_waitcnt lgkmcnt(0)
	v_mfma_f32_16x16x16bf16_1k v[10:13], v[6:7], v[24:25], v[10:13]
	v_mov_b32_e32 v7, 0
	v_cmp_ne_u16_sdwa s[8:9], v8, v7 src0_sel:BYTE_0 src1_sel:DWORD
	v_mov_b32_e32 v14, 0
	v_mfma_f32_16x16x16bf16_1k v[10:13], v[16:17], v[26:27], v[10:13]
	s_and_saveexec_b64 s[2:3], s[8:9]
	s_cbranch_execz .LBB851_645
; %bb.640:
	s_movk_i32 s7, 0x80
	v_cmp_ne_u16_sdwa s[10:11], v8, s7 src0_sel:BYTE_0 src1_sel:DWORD
	v_mov_b32_e32 v14, 0xffff8000
	s_and_saveexec_b64 s[8:9], s[10:11]
	s_cbranch_execz .LBB851_644
; %bb.641:
	s_movk_i32 s7, 0x7f
	v_and_b32_e32 v6, 0x7f, v8
	v_cmp_ne_u32_e32 vcc, s7, v6
	v_mov_b32_e32 v14, 0x7f80
	s_and_saveexec_b64 s[10:11], vcc
	s_cbranch_execz .LBB851_643
; %bb.642:
	v_and_b32_e32 v16, 7, v8
	v_ffbh_u32_e32 v14, v16
	v_min_u32_e32 v18, 32, v14
	v_subrev_u32_e32 v14, 28, v18
	v_lshlrev_b64 v[14:15], v14, v[8:9]
	v_lshrrev_b32_e32 v17, 3, v6
	v_sub_u32_e32 v15, 29, v18
	v_and_b32_e32 v14, 7, v14
	v_cmp_gt_u32_e32 vcc, 8, v6
	v_cndmask_b32_e32 v6, v17, v15, vcc
	v_cndmask_b32_e32 v14, v16, v14, vcc
	v_lshlrev_b32_e32 v15, 24, v8
	v_bfrev_b32_e32 v16, 60
	v_lshlrev_b32_e32 v14, 20, v14
	v_and_b32_e32 v15, 0x80000000, v15
	v_lshl_add_u32 v6, v6, 23, v16
	v_or3_b32 v6, v15, v6, v14
	v_lshrrev_b32_e32 v14, 16, v6
.LBB851_643:
	s_or_b64 exec, exec, s[10:11]
.LBB851_644:
	s_or_b64 exec, exec, s[8:9]
.LBB851_645:
	s_or_b64 exec, exec, s[2:3]
	v_lshrrev_b16_e32 v6, 8, v8
	v_cmp_ne_u16_e32 vcc, 0, v6
	s_and_saveexec_b64 s[2:3], vcc
	s_cbranch_execz .LBB851_651
; %bb.646:
	s_movk_i32 s7, 0x80
	v_cmp_ne_u16_e32 vcc, s7, v6
	v_mov_b32_e32 v7, 0xffff8000
	s_and_saveexec_b64 s[8:9], vcc
	s_cbranch_execz .LBB851_650
; %bb.647:
	s_movk_i32 s7, 0x7f
	v_and_b32_e32 v15, 0x7f, v6
	v_cmp_ne_u32_e32 vcc, s7, v15
	v_mov_b32_e32 v7, 0x7f80
	s_and_saveexec_b64 s[10:11], vcc
	s_cbranch_execz .LBB851_649
; %bb.648:
	v_and_b32_e32 v16, 7, v6
	v_ffbh_u32_e32 v7, v16
	v_min_u32_e32 v18, 32, v7
	v_subrev_u32_e32 v7, 28, v18
	v_lshlrev_b64 v[6:7], v7, v[6:7]
	v_lshrrev_b32_e32 v17, 3, v15
	v_sub_u32_e32 v7, 29, v18
	v_and_b32_e32 v6, 7, v6
	v_cmp_gt_u32_e32 vcc, 8, v15
	v_cndmask_b32_e32 v7, v17, v7, vcc
	v_cndmask_b32_e32 v6, v16, v6, vcc
	v_lshlrev_b32_e32 v15, 16, v8
	v_bfrev_b32_e32 v16, 60
	v_lshlrev_b32_e32 v6, 20, v6
	v_and_b32_e32 v15, 0x80000000, v15
	v_lshl_add_u32 v7, v7, 23, v16
	v_or3_b32 v6, v15, v7, v6
	v_lshrrev_b32_e32 v7, 16, v6
.LBB851_649:
	s_or_b64 exec, exec, s[10:11]
.LBB851_650:
	s_or_b64 exec, exec, s[8:9]
.LBB851_651:
	s_or_b64 exec, exec, s[2:3]
	s_movk_i32 s2, 0xff
	v_and_b32_sdwa v17, v8, s2 dst_sel:DWORD dst_unused:UNUSED_PAD src0_sel:WORD_1 src1_sel:DWORD
	v_lshrrev_b32_e32 v6, 16, v8
	v_cmp_ne_u16_e32 vcc, 0, v17
	v_mov_b32_e32 v15, 0
	v_mov_b32_e32 v16, 0
	s_and_saveexec_b64 s[2:3], vcc
	s_cbranch_execz .LBB851_657
; %bb.652:
	s_movk_i32 s7, 0x80
	v_cmp_ne_u16_e32 vcc, s7, v17
	v_mov_b32_e32 v16, 0xffff8000
	s_and_saveexec_b64 s[8:9], vcc
	s_cbranch_execz .LBB851_656
; %bb.653:
	v_bfe_u32 v17, v8, 16, 7
	s_movk_i32 s7, 0x7f
	v_cmp_ne_u32_e32 vcc, s7, v17
	v_mov_b32_e32 v16, 0x7f80
	s_and_saveexec_b64 s[10:11], vcc
	s_cbranch_execz .LBB851_655
; %bb.654:
	v_and_b32_e32 v16, 7, v6
	v_ffbh_u32_e32 v18, v16
	v_min_u32_e32 v21, 32, v18
	v_subrev_u32_e32 v18, 28, v21
	v_lshlrev_b64 v[18:19], v18, v[6:7]
	v_lshrrev_b32_e32 v20, 3, v17
	v_sub_u32_e32 v6, 29, v21
	v_and_b32_e32 v18, 7, v18
	v_cmp_gt_u32_e32 vcc, 8, v17
	v_mov_b32_e32 v17, 24
	v_cndmask_b32_e32 v6, v20, v6, vcc
	v_cndmask_b32_e32 v16, v16, v18, vcc
	v_lshlrev_b32_sdwa v17, v17, v8 dst_sel:DWORD dst_unused:UNUSED_PAD src0_sel:DWORD src1_sel:WORD_1
	v_bfrev_b32_e32 v18, 60
	v_lshlrev_b32_e32 v16, 20, v16
	v_and_b32_e32 v17, 0x80000000, v17
	v_lshl_add_u32 v6, v6, 23, v18
	v_or3_b32 v6, v17, v6, v16
	v_lshrrev_b32_e32 v16, 16, v6
.LBB851_655:
	s_or_b64 exec, exec, s[10:11]
.LBB851_656:
	s_or_b64 exec, exec, s[8:9]
.LBB851_657:
	s_or_b64 exec, exec, s[2:3]
	s_mov_b32 s2, 0xffffff
	v_cmp_lt_u32_e32 vcc, s2, v8
	s_and_saveexec_b64 s[2:3], vcc
	s_cbranch_execz .LBB851_663
; %bb.658:
	v_lshrrev_b32_e32 v6, 24, v8
	s_movk_i32 s7, 0x80
	v_cmp_ne_u32_e32 vcc, s7, v6
	v_mov_b32_e32 v15, 0xffff8000
	s_and_saveexec_b64 s[8:9], vcc
	s_cbranch_execz .LBB851_662
; %bb.659:
	v_bfe_u32 v8, v8, 24, 7
	s_movk_i32 s7, 0x7f
	v_cmp_ne_u32_e32 vcc, s7, v8
	v_mov_b32_e32 v15, 0x7f80
	s_and_saveexec_b64 s[10:11], vcc
	s_cbranch_execz .LBB851_661
; %bb.660:
	v_and_b32_e32 v15, 7, v6
	v_ffbh_u32_e32 v18, v15
	v_min_u32_e32 v20, 32, v18
	v_subrev_u32_e32 v18, 28, v20
	v_lshlrev_b64 v[18:19], v18, v[6:7]
	v_lshrrev_b32_e32 v17, 3, v8
	v_sub_u32_e32 v19, 29, v20
	v_and_b32_e32 v18, 7, v18
	v_cmp_gt_u32_e32 vcc, 8, v8
	v_cndmask_b32_e32 v8, v17, v19, vcc
	v_cndmask_b32_e32 v15, v15, v18, vcc
	v_lshlrev_b32_e32 v6, 24, v6
	v_bfrev_b32_e32 v17, 60
	v_lshlrev_b32_e32 v15, 20, v15
	v_and_b32_e32 v6, 0x80000000, v6
	v_lshl_add_u32 v8, v8, 23, v17
	v_or3_b32 v6, v6, v8, v15
	v_lshrrev_b32_e32 v15, 16, v6
.LBB851_661:
	s_or_b64 exec, exec, s[10:11]
.LBB851_662:
	s_or_b64 exec, exec, s[8:9]
.LBB851_663:
	s_or_b64 exec, exec, s[2:3]
	v_mov_b32_e32 v8, 0
	v_cmp_ne_u16_sdwa s[8:9], v9, v8 src0_sel:BYTE_0 src1_sel:DWORD
	v_mov_b32_e32 v17, 0
	s_and_saveexec_b64 s[2:3], s[8:9]
	s_cbranch_execz .LBB851_669
; %bb.664:
	s_movk_i32 s7, 0x80
	v_cmp_ne_u16_sdwa s[10:11], v9, s7 src0_sel:BYTE_0 src1_sel:DWORD
	v_mov_b32_e32 v17, 0xffff8000
	s_and_saveexec_b64 s[8:9], s[10:11]
	s_cbranch_execz .LBB851_668
; %bb.665:
	s_movk_i32 s7, 0x7f
	v_and_b32_e32 v6, 0x7f, v9
	v_cmp_ne_u32_e32 vcc, s7, v6
	v_mov_b32_e32 v17, 0x7f80
	s_and_saveexec_b64 s[10:11], vcc
	s_cbranch_execz .LBB851_667
; %bb.666:
	v_and_b32_e32 v17, 7, v9
	v_ffbh_u32_e32 v19, v17
	v_min_u32_e32 v21, 32, v19
	v_mov_b32_e32 v18, v9
	v_subrev_u32_e32 v19, 28, v21
	v_lshlrev_b64 v[18:19], v19, v[18:19]
	v_lshrrev_b32_e32 v20, 3, v6
	v_sub_u32_e32 v19, 29, v21
	v_and_b32_e32 v18, 7, v18
	v_cmp_gt_u32_e32 vcc, 8, v6
	v_cndmask_b32_e32 v6, v20, v19, vcc
	v_cndmask_b32_e32 v17, v17, v18, vcc
	v_lshlrev_b32_e32 v18, 24, v9
	v_bfrev_b32_e32 v19, 60
	v_lshlrev_b32_e32 v17, 20, v17
	v_and_b32_e32 v18, 0x80000000, v18
	v_lshl_add_u32 v6, v6, 23, v19
	v_or3_b32 v6, v18, v6, v17
	v_lshrrev_b32_e32 v17, 16, v6
.LBB851_667:
	s_or_b64 exec, exec, s[10:11]
.LBB851_668:
	s_or_b64 exec, exec, s[8:9]
.LBB851_669:
	s_or_b64 exec, exec, s[2:3]
	v_lshrrev_b16_e32 v6, 8, v9
	v_cmp_ne_u16_e32 vcc, 0, v6
	s_and_saveexec_b64 s[2:3], vcc
	s_cbranch_execz .LBB851_675
; %bb.670:
	s_movk_i32 s7, 0x80
	v_cmp_ne_u16_e32 vcc, s7, v6
	v_mov_b32_e32 v8, 0xffff8000
	s_and_saveexec_b64 s[8:9], vcc
	s_cbranch_execz .LBB851_674
; %bb.671:
	s_movk_i32 s7, 0x7f
	v_and_b32_e32 v18, 0x7f, v6
	v_cmp_ne_u32_e32 vcc, s7, v18
	v_mov_b32_e32 v8, 0x7f80
	s_and_saveexec_b64 s[10:11], vcc
	s_cbranch_execz .LBB851_673
; %bb.672:
	v_and_b32_e32 v8, 7, v6
	v_ffbh_u32_e32 v20, v8
	v_min_u32_e32 v23, 32, v20
	v_subrev_u32_e32 v20, 28, v23
	v_lshlrev_b64 v[20:21], v20, v[6:7]
	v_lshrrev_b32_e32 v19, 3, v18
	v_sub_u32_e32 v6, 29, v23
	v_and_b32_e32 v20, 7, v20
	v_cmp_gt_u32_e32 vcc, 8, v18
	v_cndmask_b32_e32 v6, v19, v6, vcc
	v_cndmask_b32_e32 v8, v8, v20, vcc
	v_lshlrev_b32_e32 v18, 16, v9
	v_bfrev_b32_e32 v19, 60
	v_lshlrev_b32_e32 v8, 20, v8
	v_and_b32_e32 v18, 0x80000000, v18
	v_lshl_add_u32 v6, v6, 23, v19
	v_or3_b32 v6, v18, v6, v8
	v_lshrrev_b32_e32 v8, 16, v6
.LBB851_673:
	s_or_b64 exec, exec, s[10:11]
.LBB851_674:
	s_or_b64 exec, exec, s[8:9]
.LBB851_675:
	s_or_b64 exec, exec, s[2:3]
	s_movk_i32 s2, 0xff
	v_and_b32_sdwa v20, v9, s2 dst_sel:DWORD dst_unused:UNUSED_PAD src0_sel:WORD_1 src1_sel:DWORD
	v_lshrrev_b32_e32 v6, 16, v9
	v_cmp_ne_u16_e32 vcc, 0, v20
	v_mov_b32_e32 v18, 0
	v_mov_b32_e32 v19, 0
	s_and_saveexec_b64 s[2:3], vcc
	s_cbranch_execz .LBB851_681
; %bb.676:
	s_movk_i32 s7, 0x80
	v_cmp_ne_u16_e32 vcc, s7, v20
	v_mov_b32_e32 v19, 0xffff8000
	s_and_saveexec_b64 s[8:9], vcc
	s_cbranch_execz .LBB851_680
; %bb.677:
	v_bfe_u32 v20, v9, 16, 7
	s_movk_i32 s7, 0x7f
	v_cmp_ne_u32_e32 vcc, s7, v20
	v_mov_b32_e32 v19, 0x7f80
	s_and_saveexec_b64 s[10:11], vcc
	s_cbranch_execz .LBB851_679
; %bb.678:
	v_and_b32_e32 v19, 7, v6
	v_ffbh_u32_e32 v23, v19
	v_min_u32_e32 v23, 32, v23
	v_subrev_u32_e32 v24, 28, v23
	v_lshlrev_b64 v[24:25], v24, v[6:7]
	v_lshrrev_b32_e32 v21, 3, v20
	v_sub_u32_e32 v6, 29, v23
	v_and_b32_e32 v23, 7, v24
	v_cmp_gt_u32_e32 vcc, 8, v20
	v_mov_b32_e32 v20, 24
	v_cndmask_b32_e32 v6, v21, v6, vcc
	v_cndmask_b32_e32 v19, v19, v23, vcc
	v_lshlrev_b32_sdwa v20, v20, v9 dst_sel:DWORD dst_unused:UNUSED_PAD src0_sel:DWORD src1_sel:WORD_1
	v_bfrev_b32_e32 v21, 60
	v_lshlrev_b32_e32 v19, 20, v19
	v_and_b32_e32 v20, 0x80000000, v20
	v_lshl_add_u32 v6, v6, 23, v21
	v_or3_b32 v6, v20, v6, v19
	v_lshrrev_b32_e32 v19, 16, v6
.LBB851_679:
	s_or_b64 exec, exec, s[10:11]
.LBB851_680:
	s_or_b64 exec, exec, s[8:9]
.LBB851_681:
	s_or_b64 exec, exec, s[2:3]
	s_mov_b32 s2, 0xffffff
	v_cmp_lt_u32_e32 vcc, s2, v9
	s_and_saveexec_b64 s[2:3], vcc
	s_cbranch_execz .LBB851_687
; %bb.682:
	v_lshrrev_b32_e32 v6, 24, v9
	s_movk_i32 s7, 0x80
	v_cmp_ne_u32_e32 vcc, s7, v6
	v_mov_b32_e32 v18, 0xffff8000
	s_and_saveexec_b64 s[8:9], vcc
	s_cbranch_execz .LBB851_686
; %bb.683:
	v_bfe_u32 v9, v9, 24, 7
	s_movk_i32 s7, 0x7f
	v_cmp_ne_u32_e32 vcc, s7, v9
	v_mov_b32_e32 v18, 0x7f80
	s_and_saveexec_b64 s[10:11], vcc
	s_cbranch_execz .LBB851_685
; %bb.684:
	v_and_b32_e32 v18, 7, v6
	v_ffbh_u32_e32 v20, v18
	v_min_u32_e32 v24, 32, v20
	v_subrev_u32_e32 v20, 28, v24
	v_lshlrev_b64 v[20:21], v20, v[6:7]
	v_lshrrev_b32_e32 v23, 3, v9
	v_sub_u32_e32 v21, 29, v24
	v_and_b32_e32 v20, 7, v20
	v_cmp_gt_u32_e32 vcc, 8, v9
	v_cndmask_b32_e32 v9, v23, v21, vcc
	v_cndmask_b32_e32 v18, v18, v20, vcc
	v_lshlrev_b32_e32 v6, 24, v6
	v_bfrev_b32_e32 v20, 60
	v_lshlrev_b32_e32 v18, 20, v18
	v_and_b32_e32 v6, 0x80000000, v6
	v_lshl_add_u32 v9, v9, 23, v20
	v_or3_b32 v6, v6, v9, v18
	v_lshrrev_b32_e32 v18, 16, v6
.LBB851_685:
	s_or_b64 exec, exec, s[10:11]
.LBB851_686:
	s_or_b64 exec, exec, s[8:9]
.LBB851_687:
	s_or_b64 exec, exec, s[2:3]
	s_mov_b32 s2, 0x5040100
	v_perm_b32 v15, v15, v16, s2
	v_perm_b32 v14, v7, v14, s2
	ds_read_b128 v[24:27], v22 offset:4112
	v_perm_b32 v7, v18, v19, s2
	v_perm_b32 v6, v8, v17, s2
	s_waitcnt lgkmcnt(0)
	v_mfma_f32_16x16x16bf16_1k v[30:33], v[14:15], v[24:25], v[10:13]
	s_nop 6
	v_mov_b32_e32 v11, 0
	s_waitcnt vmcnt(0)
	v_cmp_ne_u16_sdwa s[8:9], v2, v11 src0_sel:BYTE_0 src1_sel:DWORD
	v_mfma_f32_16x16x16bf16_1k v[6:9], v[6:7], v[26:27], v[30:33]
	v_mov_b32_e32 v12, 0
	s_and_saveexec_b64 s[2:3], s[8:9]
	s_cbranch_execz .LBB851_693
; %bb.688:
	s_movk_i32 s7, 0x80
	v_cmp_ne_u16_sdwa s[10:11], v2, s7 src0_sel:BYTE_0 src1_sel:DWORD
	v_mov_b32_e32 v12, 0xffff8000
	s_and_saveexec_b64 s[8:9], s[10:11]
	s_cbranch_execz .LBB851_692
; %bb.689:
	s_movk_i32 s7, 0x7f
	v_and_b32_e32 v10, 0x7f, v2
	v_cmp_ne_u32_e32 vcc, s7, v10
	v_mov_b32_e32 v12, 0x7f80
	s_and_saveexec_b64 s[10:11], vcc
	s_cbranch_execz .LBB851_691
; %bb.690:
	v_and_b32_e32 v14, 7, v2
	v_ffbh_u32_e32 v12, v14
	v_min_u32_e32 v16, 32, v12
	v_subrev_u32_e32 v12, 28, v16
	v_lshlrev_b64 v[12:13], v12, v[2:3]
	v_lshrrev_b32_e32 v15, 3, v10
	v_sub_u32_e32 v13, 29, v16
	v_and_b32_e32 v12, 7, v12
	v_cmp_gt_u32_e32 vcc, 8, v10
	v_cndmask_b32_e32 v10, v15, v13, vcc
	v_cndmask_b32_e32 v12, v14, v12, vcc
	v_lshlrev_b32_e32 v13, 24, v2
	v_bfrev_b32_e32 v14, 60
	v_lshlrev_b32_e32 v12, 20, v12
	v_and_b32_e32 v13, 0x80000000, v13
	v_lshl_add_u32 v10, v10, 23, v14
	v_or3_b32 v10, v13, v10, v12
	v_lshrrev_b32_e32 v12, 16, v10
.LBB851_691:
	s_or_b64 exec, exec, s[10:11]
.LBB851_692:
	s_or_b64 exec, exec, s[8:9]
.LBB851_693:
	s_or_b64 exec, exec, s[2:3]
	v_lshrrev_b16_e32 v10, 8, v2
	v_cmp_ne_u16_e32 vcc, 0, v10
	s_and_saveexec_b64 s[2:3], vcc
	s_cbranch_execz .LBB851_699
; %bb.694:
	s_movk_i32 s7, 0x80
	v_cmp_ne_u16_e32 vcc, s7, v10
	v_mov_b32_e32 v11, 0xffff8000
	s_and_saveexec_b64 s[8:9], vcc
	s_cbranch_execz .LBB851_698
; %bb.695:
	s_movk_i32 s7, 0x7f
	v_and_b32_e32 v13, 0x7f, v10
	v_cmp_ne_u32_e32 vcc, s7, v13
	v_mov_b32_e32 v11, 0x7f80
	s_and_saveexec_b64 s[10:11], vcc
	s_cbranch_execz .LBB851_697
; %bb.696:
	v_and_b32_e32 v14, 7, v10
	v_ffbh_u32_e32 v11, v14
	v_min_u32_e32 v16, 32, v11
	v_subrev_u32_e32 v11, 28, v16
	v_lshlrev_b64 v[10:11], v11, v[10:11]
	v_lshrrev_b32_e32 v15, 3, v13
	v_sub_u32_e32 v11, 29, v16
	v_and_b32_e32 v10, 7, v10
	v_cmp_gt_u32_e32 vcc, 8, v13
	v_cndmask_b32_e32 v11, v15, v11, vcc
	v_cndmask_b32_e32 v10, v14, v10, vcc
	v_lshlrev_b32_e32 v13, 16, v2
	v_bfrev_b32_e32 v14, 60
	v_lshlrev_b32_e32 v10, 20, v10
	v_and_b32_e32 v13, 0x80000000, v13
	v_lshl_add_u32 v11, v11, 23, v14
	v_or3_b32 v10, v13, v11, v10
	v_lshrrev_b32_e32 v11, 16, v10
.LBB851_697:
	s_or_b64 exec, exec, s[10:11]
.LBB851_698:
	s_or_b64 exec, exec, s[8:9]
.LBB851_699:
	s_or_b64 exec, exec, s[2:3]
	s_movk_i32 s2, 0xff
	v_and_b32_sdwa v15, v2, s2 dst_sel:DWORD dst_unused:UNUSED_PAD src0_sel:WORD_1 src1_sel:DWORD
	v_lshrrev_b32_e32 v10, 16, v2
	v_cmp_ne_u16_e32 vcc, 0, v15
	v_mov_b32_e32 v13, 0
	v_mov_b32_e32 v14, 0
	s_and_saveexec_b64 s[2:3], vcc
	s_cbranch_execz .LBB851_705
; %bb.700:
	s_movk_i32 s7, 0x80
	v_cmp_ne_u16_e32 vcc, s7, v15
	v_mov_b32_e32 v14, 0xffff8000
	s_and_saveexec_b64 s[8:9], vcc
	s_cbranch_execz .LBB851_704
; %bb.701:
	v_bfe_u32 v15, v2, 16, 7
	s_movk_i32 s7, 0x7f
	v_cmp_ne_u32_e32 vcc, s7, v15
	v_mov_b32_e32 v14, 0x7f80
	s_and_saveexec_b64 s[10:11], vcc
	s_cbranch_execz .LBB851_703
; %bb.702:
	v_and_b32_e32 v14, 7, v10
	v_ffbh_u32_e32 v16, v14
	v_min_u32_e32 v19, 32, v16
	v_subrev_u32_e32 v16, 28, v19
	v_lshlrev_b64 v[16:17], v16, v[10:11]
	v_lshrrev_b32_e32 v18, 3, v15
	v_sub_u32_e32 v10, 29, v19
	v_and_b32_e32 v16, 7, v16
	v_cmp_gt_u32_e32 vcc, 8, v15
	v_mov_b32_e32 v15, 24
	v_cndmask_b32_e32 v10, v18, v10, vcc
	v_cndmask_b32_e32 v14, v14, v16, vcc
	v_lshlrev_b32_sdwa v15, v15, v2 dst_sel:DWORD dst_unused:UNUSED_PAD src0_sel:DWORD src1_sel:WORD_1
	v_bfrev_b32_e32 v16, 60
	v_lshlrev_b32_e32 v14, 20, v14
	v_and_b32_e32 v15, 0x80000000, v15
	v_lshl_add_u32 v10, v10, 23, v16
	v_or3_b32 v10, v15, v10, v14
	v_lshrrev_b32_e32 v14, 16, v10
.LBB851_703:
	s_or_b64 exec, exec, s[10:11]
.LBB851_704:
	s_or_b64 exec, exec, s[8:9]
.LBB851_705:
	s_or_b64 exec, exec, s[2:3]
	s_mov_b32 s2, 0xffffff
	v_cmp_lt_u32_e32 vcc, s2, v2
	s_and_saveexec_b64 s[2:3], vcc
	s_cbranch_execz .LBB851_711
; %bb.706:
	v_lshrrev_b32_e32 v10, 24, v2
	s_movk_i32 s7, 0x80
	v_cmp_ne_u32_e32 vcc, s7, v10
	v_mov_b32_e32 v13, 0xffff8000
	s_and_saveexec_b64 s[8:9], vcc
	s_cbranch_execz .LBB851_710
; %bb.707:
	v_bfe_u32 v2, v2, 24, 7
	s_movk_i32 s7, 0x7f
	v_cmp_ne_u32_e32 vcc, s7, v2
	v_mov_b32_e32 v13, 0x7f80
	s_and_saveexec_b64 s[10:11], vcc
	s_cbranch_execz .LBB851_709
; %bb.708:
	v_and_b32_e32 v13, 7, v10
	v_ffbh_u32_e32 v16, v13
	v_min_u32_e32 v18, 32, v16
	v_subrev_u32_e32 v16, 28, v18
	v_lshlrev_b64 v[16:17], v16, v[10:11]
	v_lshrrev_b32_e32 v15, 3, v2
	v_sub_u32_e32 v17, 29, v18
	v_and_b32_e32 v16, 7, v16
	v_cmp_gt_u32_e32 vcc, 8, v2
	v_cndmask_b32_e32 v2, v15, v17, vcc
	v_cndmask_b32_e32 v13, v13, v16, vcc
	v_lshlrev_b32_e32 v10, 24, v10
	v_bfrev_b32_e32 v15, 60
	v_lshlrev_b32_e32 v13, 20, v13
	v_and_b32_e32 v10, 0x80000000, v10
	v_lshl_add_u32 v2, v2, 23, v15
	v_or3_b32 v2, v10, v2, v13
	v_lshrrev_b32_e32 v13, 16, v2
.LBB851_709:
	s_or_b64 exec, exec, s[10:11]
.LBB851_710:
	s_or_b64 exec, exec, s[8:9]
.LBB851_711:
	s_or_b64 exec, exec, s[2:3]
	v_mov_b32_e32 v10, 0
	v_cmp_ne_u16_sdwa s[8:9], v3, v10 src0_sel:BYTE_0 src1_sel:DWORD
	v_mov_b32_e32 v15, 0
	s_and_saveexec_b64 s[2:3], s[8:9]
	s_cbranch_execz .LBB851_717
; %bb.712:
	s_movk_i32 s7, 0x80
	v_cmp_ne_u16_sdwa s[10:11], v3, s7 src0_sel:BYTE_0 src1_sel:DWORD
	v_mov_b32_e32 v15, 0xffff8000
	s_and_saveexec_b64 s[8:9], s[10:11]
	s_cbranch_execz .LBB851_716
; %bb.713:
	s_movk_i32 s7, 0x7f
	v_and_b32_e32 v2, 0x7f, v3
	v_cmp_ne_u32_e32 vcc, s7, v2
	v_mov_b32_e32 v15, 0x7f80
	s_and_saveexec_b64 s[10:11], vcc
	s_cbranch_execz .LBB851_715
; %bb.714:
	v_and_b32_e32 v15, 7, v3
	v_ffbh_u32_e32 v17, v15
	v_min_u32_e32 v19, 32, v17
	v_mov_b32_e32 v16, v3
	v_subrev_u32_e32 v17, 28, v19
	v_lshlrev_b64 v[16:17], v17, v[16:17]
	v_lshrrev_b32_e32 v18, 3, v2
	v_sub_u32_e32 v17, 29, v19
	v_and_b32_e32 v16, 7, v16
	v_cmp_gt_u32_e32 vcc, 8, v2
	v_cndmask_b32_e32 v2, v18, v17, vcc
	v_cndmask_b32_e32 v15, v15, v16, vcc
	v_lshlrev_b32_e32 v16, 24, v3
	v_bfrev_b32_e32 v17, 60
	v_lshlrev_b32_e32 v15, 20, v15
	v_and_b32_e32 v16, 0x80000000, v16
	v_lshl_add_u32 v2, v2, 23, v17
	v_or3_b32 v2, v16, v2, v15
	v_lshrrev_b32_e32 v15, 16, v2
.LBB851_715:
	s_or_b64 exec, exec, s[10:11]
.LBB851_716:
	s_or_b64 exec, exec, s[8:9]
.LBB851_717:
	s_or_b64 exec, exec, s[2:3]
	v_lshrrev_b16_e32 v2, 8, v3
	v_cmp_ne_u16_e32 vcc, 0, v2
	s_and_saveexec_b64 s[2:3], vcc
	s_cbranch_execz .LBB851_723
; %bb.718:
	s_movk_i32 s7, 0x80
	v_cmp_ne_u16_e32 vcc, s7, v2
	v_mov_b32_e32 v10, 0xffff8000
	s_and_saveexec_b64 s[8:9], vcc
	s_cbranch_execz .LBB851_722
; %bb.719:
	s_movk_i32 s7, 0x7f
	v_and_b32_e32 v16, 0x7f, v2
	v_cmp_ne_u32_e32 vcc, s7, v16
	v_mov_b32_e32 v10, 0x7f80
	s_and_saveexec_b64 s[10:11], vcc
	s_cbranch_execz .LBB851_721
; %bb.720:
	v_and_b32_e32 v10, 7, v2
	v_ffbh_u32_e32 v18, v10
	v_min_u32_e32 v20, 32, v18
	v_subrev_u32_e32 v18, 28, v20
	v_lshlrev_b64 v[18:19], v18, v[2:3]
	v_lshrrev_b32_e32 v17, 3, v16
	v_sub_u32_e32 v2, 29, v20
	v_and_b32_e32 v18, 7, v18
	v_cmp_gt_u32_e32 vcc, 8, v16
	v_cndmask_b32_e32 v2, v17, v2, vcc
	v_cndmask_b32_e32 v10, v10, v18, vcc
	v_lshlrev_b32_e32 v16, 16, v3
	v_bfrev_b32_e32 v17, 60
	v_lshlrev_b32_e32 v10, 20, v10
	v_and_b32_e32 v16, 0x80000000, v16
	v_lshl_add_u32 v2, v2, 23, v17
	v_or3_b32 v2, v16, v2, v10
	v_lshrrev_b32_e32 v10, 16, v2
.LBB851_721:
	s_or_b64 exec, exec, s[10:11]
.LBB851_722:
	s_or_b64 exec, exec, s[8:9]
.LBB851_723:
	s_or_b64 exec, exec, s[2:3]
	s_movk_i32 s2, 0xff
	v_and_b32_sdwa v18, v3, s2 dst_sel:DWORD dst_unused:UNUSED_PAD src0_sel:WORD_1 src1_sel:DWORD
	v_lshrrev_b32_e32 v2, 16, v3
	v_cmp_ne_u16_e32 vcc, 0, v18
	v_mov_b32_e32 v16, 0
	v_mov_b32_e32 v17, 0
	s_and_saveexec_b64 s[2:3], vcc
	s_cbranch_execz .LBB851_729
; %bb.724:
	s_movk_i32 s7, 0x80
	v_cmp_ne_u16_e32 vcc, s7, v18
	v_mov_b32_e32 v17, 0xffff8000
	s_and_saveexec_b64 s[8:9], vcc
	s_cbranch_execz .LBB851_728
; %bb.725:
	v_bfe_u32 v18, v3, 16, 7
	s_movk_i32 s7, 0x7f
	v_cmp_ne_u32_e32 vcc, s7, v18
	v_mov_b32_e32 v17, 0x7f80
	s_and_saveexec_b64 s[10:11], vcc
	s_cbranch_execz .LBB851_727
; %bb.726:
	v_and_b32_e32 v17, 7, v2
	v_ffbh_u32_e32 v20, v17
	v_min_u32_e32 v23, 32, v20
	v_subrev_u32_e32 v20, 28, v23
	v_lshlrev_b64 v[20:21], v20, v[2:3]
	v_lshrrev_b32_e32 v19, 3, v18
	v_sub_u32_e32 v2, 29, v23
	v_and_b32_e32 v20, 7, v20
	v_cmp_gt_u32_e32 vcc, 8, v18
	v_mov_b32_e32 v18, 24
	v_cndmask_b32_e32 v2, v19, v2, vcc
	v_cndmask_b32_e32 v17, v17, v20, vcc
	v_lshlrev_b32_sdwa v18, v18, v3 dst_sel:DWORD dst_unused:UNUSED_PAD src0_sel:DWORD src1_sel:WORD_1
	v_bfrev_b32_e32 v19, 60
	v_lshlrev_b32_e32 v17, 20, v17
	v_and_b32_e32 v18, 0x80000000, v18
	v_lshl_add_u32 v2, v2, 23, v19
	v_or3_b32 v2, v18, v2, v17
	v_lshrrev_b32_e32 v17, 16, v2
.LBB851_727:
	s_or_b64 exec, exec, s[10:11]
.LBB851_728:
	s_or_b64 exec, exec, s[8:9]
.LBB851_729:
	s_or_b64 exec, exec, s[2:3]
	s_mov_b32 s2, 0xffffff
	v_cmp_lt_u32_e32 vcc, s2, v3
	s_and_saveexec_b64 s[2:3], vcc
	s_cbranch_execz .LBB851_735
; %bb.730:
	v_lshrrev_b32_e32 v2, 24, v3
	s_movk_i32 s7, 0x80
	v_cmp_ne_u32_e32 vcc, s7, v2
	v_mov_b32_e32 v16, 0xffff8000
	s_and_saveexec_b64 s[8:9], vcc
	s_cbranch_execz .LBB851_734
; %bb.731:
	v_bfe_u32 v3, v3, 24, 7
	s_movk_i32 s7, 0x7f
	v_cmp_ne_u32_e32 vcc, s7, v3
	v_mov_b32_e32 v16, 0x7f80
	s_and_saveexec_b64 s[10:11], vcc
	s_cbranch_execz .LBB851_733
; %bb.732:
	v_and_b32_e32 v16, 7, v2
	v_ffbh_u32_e32 v18, v16
	v_min_u32_e32 v21, 32, v18
	v_subrev_u32_e32 v18, 28, v21
	v_lshlrev_b64 v[18:19], v18, v[2:3]
	v_lshrrev_b32_e32 v20, 3, v3
	v_sub_u32_e32 v19, 29, v21
	v_and_b32_e32 v18, 7, v18
	v_cmp_gt_u32_e32 vcc, 8, v3
	v_cndmask_b32_e32 v3, v20, v19, vcc
	v_cndmask_b32_e32 v16, v16, v18, vcc
	v_lshlrev_b32_e32 v2, 24, v2
	v_bfrev_b32_e32 v18, 60
	v_lshlrev_b32_e32 v16, 20, v16
	v_and_b32_e32 v2, 0x80000000, v2
	v_lshl_add_u32 v3, v3, 23, v18
	v_or3_b32 v2, v2, v3, v16
	v_lshrrev_b32_e32 v16, 16, v2
.LBB851_733:
	s_or_b64 exec, exec, s[10:11]
.LBB851_734:
	s_or_b64 exec, exec, s[8:9]
.LBB851_735:
	s_or_b64 exec, exec, s[2:3]
	s_mov_b32 s2, 0x5040100
	v_perm_b32 v3, v13, v14, s2
	v_perm_b32 v2, v11, v12, s2
	ds_read_b128 v[18:21], v22 offset:6144
	v_perm_b32 v13, v16, v17, s2
	v_perm_b32 v12, v10, v15, s2
	s_waitcnt lgkmcnt(0)
	v_mfma_f32_16x16x16bf16_1k v[6:9], v[2:3], v[18:19], v[6:9]
	v_mov_b32_e32 v3, 0
	v_cmp_ne_u16_sdwa s[8:9], v4, v3 src0_sel:BYTE_0 src1_sel:DWORD
	v_mov_b32_e32 v10, 0
	v_mfma_f32_16x16x16bf16_1k v[6:9], v[12:13], v[20:21], v[6:9]
	s_and_saveexec_b64 s[2:3], s[8:9]
	s_cbranch_execz .LBB851_741
; %bb.736:
	s_movk_i32 s7, 0x80
	v_cmp_ne_u16_sdwa s[10:11], v4, s7 src0_sel:BYTE_0 src1_sel:DWORD
	v_mov_b32_e32 v10, 0xffff8000
	s_and_saveexec_b64 s[8:9], s[10:11]
	s_cbranch_execz .LBB851_740
; %bb.737:
	s_movk_i32 s7, 0x7f
	v_and_b32_e32 v2, 0x7f, v4
	v_cmp_ne_u32_e32 vcc, s7, v2
	v_mov_b32_e32 v10, 0x7f80
	s_and_saveexec_b64 s[10:11], vcc
	s_cbranch_execz .LBB851_739
; %bb.738:
	v_and_b32_e32 v12, 7, v4
	v_ffbh_u32_e32 v10, v12
	v_min_u32_e32 v14, 32, v10
	v_subrev_u32_e32 v10, 28, v14
	v_lshlrev_b64 v[10:11], v10, v[4:5]
	v_lshrrev_b32_e32 v13, 3, v2
	v_sub_u32_e32 v11, 29, v14
	v_and_b32_e32 v10, 7, v10
	v_cmp_gt_u32_e32 vcc, 8, v2
	v_cndmask_b32_e32 v2, v13, v11, vcc
	v_cndmask_b32_e32 v10, v12, v10, vcc
	v_lshlrev_b32_e32 v11, 24, v4
	v_bfrev_b32_e32 v12, 60
	v_lshlrev_b32_e32 v10, 20, v10
	v_and_b32_e32 v11, 0x80000000, v11
	v_lshl_add_u32 v2, v2, 23, v12
	v_or3_b32 v2, v11, v2, v10
	v_lshrrev_b32_e32 v10, 16, v2
.LBB851_739:
	s_or_b64 exec, exec, s[10:11]
.LBB851_740:
	s_or_b64 exec, exec, s[8:9]
.LBB851_741:
	s_or_b64 exec, exec, s[2:3]
	v_lshrrev_b16_e32 v2, 8, v4
	v_cmp_ne_u16_e32 vcc, 0, v2
	s_and_saveexec_b64 s[2:3], vcc
	s_cbranch_execz .LBB851_747
; %bb.742:
	s_movk_i32 s7, 0x80
	v_cmp_ne_u16_e32 vcc, s7, v2
	v_mov_b32_e32 v3, 0xffff8000
	s_and_saveexec_b64 s[8:9], vcc
	s_cbranch_execz .LBB851_746
; %bb.743:
	s_movk_i32 s7, 0x7f
	v_and_b32_e32 v11, 0x7f, v2
	v_cmp_ne_u32_e32 vcc, s7, v11
	v_mov_b32_e32 v3, 0x7f80
	s_and_saveexec_b64 s[10:11], vcc
	s_cbranch_execz .LBB851_745
; %bb.744:
	v_and_b32_e32 v12, 7, v2
	v_ffbh_u32_e32 v3, v12
	v_min_u32_e32 v14, 32, v3
	v_subrev_u32_e32 v3, 28, v14
	v_lshlrev_b64 v[2:3], v3, v[2:3]
	v_lshrrev_b32_e32 v13, 3, v11
	v_sub_u32_e32 v3, 29, v14
	v_and_b32_e32 v2, 7, v2
	v_cmp_gt_u32_e32 vcc, 8, v11
	v_cndmask_b32_e32 v3, v13, v3, vcc
	v_cndmask_b32_e32 v2, v12, v2, vcc
	v_lshlrev_b32_e32 v11, 16, v4
	v_bfrev_b32_e32 v12, 60
	v_lshlrev_b32_e32 v2, 20, v2
	v_and_b32_e32 v11, 0x80000000, v11
	v_lshl_add_u32 v3, v3, 23, v12
	v_or3_b32 v2, v11, v3, v2
	v_lshrrev_b32_e32 v3, 16, v2
.LBB851_745:
	s_or_b64 exec, exec, s[10:11]
.LBB851_746:
	s_or_b64 exec, exec, s[8:9]
.LBB851_747:
	s_or_b64 exec, exec, s[2:3]
	s_movk_i32 s2, 0xff
	v_and_b32_sdwa v13, v4, s2 dst_sel:DWORD dst_unused:UNUSED_PAD src0_sel:WORD_1 src1_sel:DWORD
	v_lshrrev_b32_e32 v2, 16, v4
	v_cmp_ne_u16_e32 vcc, 0, v13
	v_mov_b32_e32 v11, 0
	v_mov_b32_e32 v12, 0
	s_and_saveexec_b64 s[2:3], vcc
	s_cbranch_execz .LBB851_753
; %bb.748:
	s_movk_i32 s7, 0x80
	v_cmp_ne_u16_e32 vcc, s7, v13
	v_mov_b32_e32 v12, 0xffff8000
	s_and_saveexec_b64 s[8:9], vcc
	s_cbranch_execz .LBB851_752
; %bb.749:
	v_bfe_u32 v13, v4, 16, 7
	s_movk_i32 s7, 0x7f
	v_cmp_ne_u32_e32 vcc, s7, v13
	v_mov_b32_e32 v12, 0x7f80
	s_and_saveexec_b64 s[10:11], vcc
	s_cbranch_execz .LBB851_751
; %bb.750:
	v_and_b32_e32 v12, 7, v2
	v_ffbh_u32_e32 v14, v12
	v_min_u32_e32 v17, 32, v14
	v_subrev_u32_e32 v14, 28, v17
	v_lshlrev_b64 v[14:15], v14, v[2:3]
	v_lshrrev_b32_e32 v16, 3, v13
	v_sub_u32_e32 v2, 29, v17
	v_and_b32_e32 v14, 7, v14
	v_cmp_gt_u32_e32 vcc, 8, v13
	v_mov_b32_e32 v13, 24
	v_cndmask_b32_e32 v2, v16, v2, vcc
	v_cndmask_b32_e32 v12, v12, v14, vcc
	v_lshlrev_b32_sdwa v13, v13, v4 dst_sel:DWORD dst_unused:UNUSED_PAD src0_sel:DWORD src1_sel:WORD_1
	v_bfrev_b32_e32 v14, 60
	v_lshlrev_b32_e32 v12, 20, v12
	v_and_b32_e32 v13, 0x80000000, v13
	v_lshl_add_u32 v2, v2, 23, v14
	v_or3_b32 v2, v13, v2, v12
	v_lshrrev_b32_e32 v12, 16, v2
.LBB851_751:
	s_or_b64 exec, exec, s[10:11]
.LBB851_752:
	s_or_b64 exec, exec, s[8:9]
.LBB851_753:
	s_or_b64 exec, exec, s[2:3]
	s_mov_b32 s2, 0xffffff
	v_cmp_lt_u32_e32 vcc, s2, v4
	s_and_saveexec_b64 s[2:3], vcc
	s_cbranch_execz .LBB851_759
; %bb.754:
	v_lshrrev_b32_e32 v2, 24, v4
	s_movk_i32 s7, 0x80
	v_cmp_ne_u32_e32 vcc, s7, v2
	v_mov_b32_e32 v11, 0xffff8000
	s_and_saveexec_b64 s[8:9], vcc
	s_cbranch_execz .LBB851_758
; %bb.755:
	v_bfe_u32 v4, v4, 24, 7
	s_movk_i32 s7, 0x7f
	v_cmp_ne_u32_e32 vcc, s7, v4
	v_mov_b32_e32 v11, 0x7f80
	s_and_saveexec_b64 s[10:11], vcc
	s_cbranch_execz .LBB851_757
; %bb.756:
	v_and_b32_e32 v11, 7, v2
	v_ffbh_u32_e32 v14, v11
	v_min_u32_e32 v16, 32, v14
	v_subrev_u32_e32 v14, 28, v16
	v_lshlrev_b64 v[14:15], v14, v[2:3]
	v_lshrrev_b32_e32 v13, 3, v4
	v_sub_u32_e32 v15, 29, v16
	v_and_b32_e32 v14, 7, v14
	v_cmp_gt_u32_e32 vcc, 8, v4
	v_cndmask_b32_e32 v4, v13, v15, vcc
	v_cndmask_b32_e32 v11, v11, v14, vcc
	v_lshlrev_b32_e32 v2, 24, v2
	v_bfrev_b32_e32 v13, 60
	v_lshlrev_b32_e32 v11, 20, v11
	v_and_b32_e32 v2, 0x80000000, v2
	v_lshl_add_u32 v4, v4, 23, v13
	v_or3_b32 v2, v2, v4, v11
	v_lshrrev_b32_e32 v11, 16, v2
.LBB851_757:
	s_or_b64 exec, exec, s[10:11]
.LBB851_758:
	s_or_b64 exec, exec, s[8:9]
.LBB851_759:
	s_or_b64 exec, exec, s[2:3]
	v_mov_b32_e32 v4, 0
	v_cmp_ne_u16_sdwa s[8:9], v5, v4 src0_sel:BYTE_0 src1_sel:DWORD
	v_mov_b32_e32 v13, 0
	s_and_saveexec_b64 s[2:3], s[8:9]
	s_cbranch_execz .LBB851_765
; %bb.760:
	s_movk_i32 s7, 0x80
	v_cmp_ne_u16_sdwa s[10:11], v5, s7 src0_sel:BYTE_0 src1_sel:DWORD
	v_mov_b32_e32 v13, 0xffff8000
	s_and_saveexec_b64 s[8:9], s[10:11]
	s_cbranch_execz .LBB851_764
; %bb.761:
	s_movk_i32 s7, 0x7f
	v_and_b32_e32 v2, 0x7f, v5
	v_cmp_ne_u32_e32 vcc, s7, v2
	v_mov_b32_e32 v13, 0x7f80
	s_and_saveexec_b64 s[10:11], vcc
	s_cbranch_execz .LBB851_763
; %bb.762:
	v_and_b32_e32 v13, 7, v5
	v_ffbh_u32_e32 v15, v13
	v_min_u32_e32 v17, 32, v15
	v_mov_b32_e32 v14, v5
	v_subrev_u32_e32 v15, 28, v17
	v_lshlrev_b64 v[14:15], v15, v[14:15]
	v_lshrrev_b32_e32 v16, 3, v2
	v_sub_u32_e32 v15, 29, v17
	v_and_b32_e32 v14, 7, v14
	v_cmp_gt_u32_e32 vcc, 8, v2
	v_cndmask_b32_e32 v2, v16, v15, vcc
	v_cndmask_b32_e32 v13, v13, v14, vcc
	v_lshlrev_b32_e32 v14, 24, v5
	v_bfrev_b32_e32 v15, 60
	v_lshlrev_b32_e32 v13, 20, v13
	v_and_b32_e32 v14, 0x80000000, v14
	v_lshl_add_u32 v2, v2, 23, v15
	v_or3_b32 v2, v14, v2, v13
	v_lshrrev_b32_e32 v13, 16, v2
.LBB851_763:
	s_or_b64 exec, exec, s[10:11]
.LBB851_764:
	s_or_b64 exec, exec, s[8:9]
.LBB851_765:
	s_or_b64 exec, exec, s[2:3]
	v_lshrrev_b16_e32 v2, 8, v5
	v_cmp_ne_u16_e32 vcc, 0, v2
	s_and_saveexec_b64 s[2:3], vcc
	s_cbranch_execz .LBB851_771
; %bb.766:
	s_movk_i32 s7, 0x80
	v_cmp_ne_u16_e32 vcc, s7, v2
	v_mov_b32_e32 v4, 0xffff8000
	s_and_saveexec_b64 s[8:9], vcc
	s_cbranch_execz .LBB851_770
; %bb.767:
	s_movk_i32 s7, 0x7f
	v_and_b32_e32 v14, 0x7f, v2
	v_cmp_ne_u32_e32 vcc, s7, v14
	v_mov_b32_e32 v4, 0x7f80
	s_and_saveexec_b64 s[10:11], vcc
	s_cbranch_execz .LBB851_769
; %bb.768:
	v_and_b32_e32 v4, 7, v2
	v_ffbh_u32_e32 v16, v4
	v_min_u32_e32 v18, 32, v16
	v_subrev_u32_e32 v16, 28, v18
	v_lshlrev_b64 v[16:17], v16, v[2:3]
	v_lshrrev_b32_e32 v15, 3, v14
	v_sub_u32_e32 v2, 29, v18
	v_and_b32_e32 v16, 7, v16
	v_cmp_gt_u32_e32 vcc, 8, v14
	v_cndmask_b32_e32 v2, v15, v2, vcc
	v_cndmask_b32_e32 v4, v4, v16, vcc
	v_lshlrev_b32_e32 v14, 16, v5
	v_bfrev_b32_e32 v15, 60
	v_lshlrev_b32_e32 v4, 20, v4
	v_and_b32_e32 v14, 0x80000000, v14
	v_lshl_add_u32 v2, v2, 23, v15
	v_or3_b32 v2, v14, v2, v4
	v_lshrrev_b32_e32 v4, 16, v2
.LBB851_769:
	s_or_b64 exec, exec, s[10:11]
.LBB851_770:
	s_or_b64 exec, exec, s[8:9]
.LBB851_771:
	s_or_b64 exec, exec, s[2:3]
	s_movk_i32 s2, 0xff
	v_and_b32_sdwa v16, v5, s2 dst_sel:DWORD dst_unused:UNUSED_PAD src0_sel:WORD_1 src1_sel:DWORD
	v_lshrrev_b32_e32 v2, 16, v5
	v_cmp_ne_u16_e32 vcc, 0, v16
	v_mov_b32_e32 v14, 0
	v_mov_b32_e32 v15, 0
	s_and_saveexec_b64 s[2:3], vcc
	s_cbranch_execz .LBB851_777
; %bb.772:
	s_movk_i32 s7, 0x80
	v_cmp_ne_u16_e32 vcc, s7, v16
	v_mov_b32_e32 v15, 0xffff8000
	s_and_saveexec_b64 s[8:9], vcc
	s_cbranch_execz .LBB851_776
; %bb.773:
	v_bfe_u32 v16, v5, 16, 7
	s_movk_i32 s7, 0x7f
	v_cmp_ne_u32_e32 vcc, s7, v16
	v_mov_b32_e32 v15, 0x7f80
	s_and_saveexec_b64 s[10:11], vcc
	s_cbranch_execz .LBB851_775
; %bb.774:
	v_and_b32_e32 v15, 7, v2
	v_ffbh_u32_e32 v18, v15
	v_min_u32_e32 v20, 32, v18
	v_subrev_u32_e32 v18, 28, v20
	v_lshlrev_b64 v[18:19], v18, v[2:3]
	v_lshrrev_b32_e32 v17, 3, v16
	v_sub_u32_e32 v2, 29, v20
	v_and_b32_e32 v18, 7, v18
	v_cmp_gt_u32_e32 vcc, 8, v16
	v_mov_b32_e32 v16, 24
	v_cndmask_b32_e32 v2, v17, v2, vcc
	v_cndmask_b32_e32 v15, v15, v18, vcc
	v_lshlrev_b32_sdwa v16, v16, v5 dst_sel:DWORD dst_unused:UNUSED_PAD src0_sel:DWORD src1_sel:WORD_1
	v_bfrev_b32_e32 v17, 60
	v_lshlrev_b32_e32 v15, 20, v15
	v_and_b32_e32 v16, 0x80000000, v16
	v_lshl_add_u32 v2, v2, 23, v17
	v_or3_b32 v2, v16, v2, v15
	v_lshrrev_b32_e32 v15, 16, v2
.LBB851_775:
	s_or_b64 exec, exec, s[10:11]
.LBB851_776:
	s_or_b64 exec, exec, s[8:9]
.LBB851_777:
	s_or_b64 exec, exec, s[2:3]
	s_mov_b32 s2, 0xffffff
	v_cmp_lt_u32_e32 vcc, s2, v5
	s_and_saveexec_b64 s[2:3], vcc
	s_cbranch_execz .LBB851_783
; %bb.778:
	v_lshrrev_b32_e32 v2, 24, v5
	s_movk_i32 s7, 0x80
	v_cmp_ne_u32_e32 vcc, s7, v2
	v_mov_b32_e32 v14, 0xffff8000
	s_and_saveexec_b64 s[8:9], vcc
	s_cbranch_execz .LBB851_782
; %bb.779:
	v_bfe_u32 v5, v5, 24, 7
	s_movk_i32 s7, 0x7f
	v_cmp_ne_u32_e32 vcc, s7, v5
	v_mov_b32_e32 v14, 0x7f80
	s_and_saveexec_b64 s[10:11], vcc
	s_cbranch_execz .LBB851_781
; %bb.780:
	v_and_b32_e32 v14, 7, v2
	v_ffbh_u32_e32 v16, v14
	v_min_u32_e32 v19, 32, v16
	v_subrev_u32_e32 v16, 28, v19
	v_lshlrev_b64 v[16:17], v16, v[2:3]
	v_lshrrev_b32_e32 v18, 3, v5
	v_sub_u32_e32 v17, 29, v19
	v_and_b32_e32 v16, 7, v16
	v_cmp_gt_u32_e32 vcc, 8, v5
	v_cndmask_b32_e32 v5, v18, v17, vcc
	v_cndmask_b32_e32 v14, v14, v16, vcc
	v_lshlrev_b32_e32 v2, 24, v2
	v_bfrev_b32_e32 v16, 60
	v_lshlrev_b32_e32 v14, 20, v14
	v_and_b32_e32 v2, 0x80000000, v2
	v_lshl_add_u32 v5, v5, 23, v16
	v_or3_b32 v2, v2, v5, v14
	v_lshrrev_b32_e32 v14, 16, v2
.LBB851_781:
	s_or_b64 exec, exec, s[10:11]
.LBB851_782:
	s_or_b64 exec, exec, s[8:9]
.LBB851_783:
	s_or_b64 exec, exec, s[2:3]
	s_mov_b32 s3, 0x5040100
	v_perm_b32 v11, v11, v12, s3
	ds_read_b128 v[16:19], v22 offset:6160
	v_perm_b32 v10, v3, v10, s3
	v_perm_b32 v3, v14, v15, s3
	;; [unrolled: 1-line block ×3, first 2 shown]
	s_waitcnt lgkmcnt(0)
	v_mfma_f32_16x16x16bf16_1k v[6:9], v[10:11], v[16:17], v[6:9]
	s_load_dword s2, s[42:43], 0x0
	s_mov_b32 s3, 0x7060302
	s_movk_i32 s7, 0x7fff
	v_cmp_gt_u32_e32 vcc, 64, v0
	s_and_b64 s[0:1], vcc, s[0:1]
	s_waitcnt lgkmcnt(0)
	s_barrier
	v_mfma_f32_16x16x16bf16_1k v[2:5], v[2:3], v[18:19], v[6:9]
	s_nop 7
	s_nop 2
	v_pk_mul_f32 v[4:5], v[4:5], s[2:3] op_sel_hi:[1,0]
	v_pk_mul_f32 v[2:3], v[2:3], s[2:3] op_sel_hi:[1,0]
	v_bfe_u32 v6, v3, 16, 1
	v_bfe_u32 v7, v2, 16, 1
	;; [unrolled: 1-line block ×4, first 2 shown]
	v_add3_u32 v2, v2, v7, s7
	v_add3_u32 v3, v3, v6, s7
	;; [unrolled: 1-line block ×4, first 2 shown]
	v_perm_b32 v2, v3, v2, s3
	v_perm_b32 v3, v5, v4, s3
	ds_write_b64 v28, v[2:3]
	s_waitcnt lgkmcnt(0)
	s_barrier
	s_and_saveexec_b64 s[2:3], s[0:1]
	s_cbranch_execz .LBB851_786
; %bb.784:
	s_load_dwordx2 s[2:3], s[4:5], 0x68
	s_lshl_b32 s0, s44, 6
	s_mul_i32 s1, s12, s6
	s_mul_hi_u32 s7, s1, s0
	s_mul_i32 s6, s1, s0
	s_lshl_b64 s[6:7], s[6:7], 1
	s_waitcnt lgkmcnt(0)
	s_add_u32 s1, s2, s6
	s_mov_b32 s5, 0
	s_addc_u32 s6, s3, s7
	s_lshl_b32 s4, s24, 6
	v_lshlrev_b32_e32 v0, 10, v0
	s_lshl_b64 s[2:3], s[4:5], 1
	v_and_b32_e32 v2, 0x1800, v0
	v_lshlrev_b32_e32 v3, 5, v1
	v_and_b32_e32 v4, 16, v47
	s_add_u32 s1, s1, s2
	v_or_b32_e32 v0, 4, v1
	v_or3_b32 v2, v2, v3, v4
	s_addc_u32 s2, s6, s3
	v_add_u32_e32 v1, s25, v1
	v_mov_b32_e32 v4, s2
	v_add_co_u32_e32 v3, vcc, s1, v46
	ds_read_b128 v[6:9], v2
	v_mad_u64_u32 v[10:11], s[2:3], v1, s0, 0
	v_addc_co_u32_e32 v4, vcc, 0, v4, vcc
	v_lshlrev_b64 v[10:11], 1, v[10:11]
	v_add_co_u32_e32 v10, vcc, v3, v10
	v_addc_co_u32_e32 v11, vcc, v4, v11, vcc
	v_cmp_gt_u32_e32 vcc, 6, v0
	s_waitcnt lgkmcnt(0)
	global_store_dwordx4 v[10:11], v[6:9], off
	s_and_b64 exec, exec, vcc
	s_cbranch_execz .LBB851_786
; %bb.785:
	ds_read_b128 v[6:9], v2 offset:128
	v_add_u32_e32 v0, s25, v0
	v_mad_u64_u32 v[0:1], s[0:1], v0, s0, 0
	v_lshlrev_b64 v[0:1], 1, v[0:1]
	v_add_co_u32_e32 v0, vcc, v3, v0
	v_addc_co_u32_e32 v1, vcc, v4, v1, vcc
	s_waitcnt lgkmcnt(0)
	global_store_dwordx4 v[0:1], v[6:9], off
.LBB851_786:
	s_endpgm
	.section	.rodata,"a",@progbits
	.p2align	6, 0x0
	.amdhsa_kernel _Z39paged_attention_ll4mi_QKV_mfma16_kernelI14__hip_bfloat16hLN4vllm18Fp8KVCacheDataTypeE1ES0_Li16ELi64ELi256ELb0ELi6EL8MFMAType0EEvPKT_PKT0_S9_ifPKiSB_SB_iPKfiiiPfSE_PS4_PT2_iSD_SD_
		.amdhsa_group_segment_fixed_size 8192
		.amdhsa_private_segment_fixed_size 0
		.amdhsa_kernarg_size 400
		.amdhsa_user_sgpr_count 6
		.amdhsa_user_sgpr_private_segment_buffer 1
		.amdhsa_user_sgpr_dispatch_ptr 0
		.amdhsa_user_sgpr_queue_ptr 0
		.amdhsa_user_sgpr_kernarg_segment_ptr 1
		.amdhsa_user_sgpr_dispatch_id 0
		.amdhsa_user_sgpr_flat_scratch_init 0
		.amdhsa_user_sgpr_kernarg_preload_length 0
		.amdhsa_user_sgpr_kernarg_preload_offset 0
		.amdhsa_user_sgpr_private_segment_size 0
		.amdhsa_uses_dynamic_stack 0
		.amdhsa_system_sgpr_private_segment_wavefront_offset 0
		.amdhsa_system_sgpr_workgroup_id_x 1
		.amdhsa_system_sgpr_workgroup_id_y 1
		.amdhsa_system_sgpr_workgroup_id_z 1
		.amdhsa_system_sgpr_workgroup_info 0
		.amdhsa_system_vgpr_workitem_id 0
		.amdhsa_next_free_vgpr 61
		.amdhsa_next_free_sgpr 47
		.amdhsa_accum_offset 64
		.amdhsa_reserve_vcc 1
		.amdhsa_reserve_flat_scratch 0
		.amdhsa_float_round_mode_32 0
		.amdhsa_float_round_mode_16_64 0
		.amdhsa_float_denorm_mode_32 3
		.amdhsa_float_denorm_mode_16_64 3
		.amdhsa_dx10_clamp 1
		.amdhsa_ieee_mode 1
		.amdhsa_fp16_overflow 0
		.amdhsa_tg_split 0
		.amdhsa_exception_fp_ieee_invalid_op 0
		.amdhsa_exception_fp_denorm_src 0
		.amdhsa_exception_fp_ieee_div_zero 0
		.amdhsa_exception_fp_ieee_overflow 0
		.amdhsa_exception_fp_ieee_underflow 0
		.amdhsa_exception_fp_ieee_inexact 0
		.amdhsa_exception_int_div_zero 0
	.end_amdhsa_kernel
	.section	.text._Z39paged_attention_ll4mi_QKV_mfma16_kernelI14__hip_bfloat16hLN4vllm18Fp8KVCacheDataTypeE1ES0_Li16ELi64ELi256ELb0ELi6EL8MFMAType0EEvPKT_PKT0_S9_ifPKiSB_SB_iPKfiiiPfSE_PS4_PT2_iSD_SD_,"axG",@progbits,_Z39paged_attention_ll4mi_QKV_mfma16_kernelI14__hip_bfloat16hLN4vllm18Fp8KVCacheDataTypeE1ES0_Li16ELi64ELi256ELb0ELi6EL8MFMAType0EEvPKT_PKT0_S9_ifPKiSB_SB_iPKfiiiPfSE_PS4_PT2_iSD_SD_,comdat
.Lfunc_end851:
	.size	_Z39paged_attention_ll4mi_QKV_mfma16_kernelI14__hip_bfloat16hLN4vllm18Fp8KVCacheDataTypeE1ES0_Li16ELi64ELi256ELb0ELi6EL8MFMAType0EEvPKT_PKT0_S9_ifPKiSB_SB_iPKfiiiPfSE_PS4_PT2_iSD_SD_, .Lfunc_end851-_Z39paged_attention_ll4mi_QKV_mfma16_kernelI14__hip_bfloat16hLN4vllm18Fp8KVCacheDataTypeE1ES0_Li16ELi64ELi256ELb0ELi6EL8MFMAType0EEvPKT_PKT0_S9_ifPKiSB_SB_iPKfiiiPfSE_PS4_PT2_iSD_SD_
                                        ; -- End function
	.section	.AMDGPU.csdata,"",@progbits
; Kernel info:
; codeLenInByte = 28296
; NumSgprs: 51
; NumVgprs: 61
; NumAgprs: 0
; TotalNumVgprs: 61
; ScratchSize: 0
; MemoryBound: 0
; FloatMode: 240
; IeeeMode: 1
; LDSByteSize: 8192 bytes/workgroup (compile time only)
; SGPRBlocks: 6
; VGPRBlocks: 7
; NumSGPRsForWavesPerEU: 51
; NumVGPRsForWavesPerEU: 61
; AccumOffset: 64
; Occupancy: 8
; WaveLimiterHint : 1
; COMPUTE_PGM_RSRC2:SCRATCH_EN: 0
; COMPUTE_PGM_RSRC2:USER_SGPR: 6
; COMPUTE_PGM_RSRC2:TRAP_HANDLER: 0
; COMPUTE_PGM_RSRC2:TGID_X_EN: 1
; COMPUTE_PGM_RSRC2:TGID_Y_EN: 1
; COMPUTE_PGM_RSRC2:TGID_Z_EN: 1
; COMPUTE_PGM_RSRC2:TIDIG_COMP_CNT: 0
; COMPUTE_PGM_RSRC3_GFX90A:ACCUM_OFFSET: 15
; COMPUTE_PGM_RSRC3_GFX90A:TG_SPLIT: 0
	.section	.text._Z39paged_attention_ll4mi_QKV_mfma16_kernelI14__hip_bfloat16hLN4vllm18Fp8KVCacheDataTypeE1ES0_Li16ELi64ELi256ELb0ELi7EL8MFMAType0EEvPKT_PKT0_S9_ifPKiSB_SB_iPKfiiiPfSE_PS4_PT2_iSD_SD_,"axG",@progbits,_Z39paged_attention_ll4mi_QKV_mfma16_kernelI14__hip_bfloat16hLN4vllm18Fp8KVCacheDataTypeE1ES0_Li16ELi64ELi256ELb0ELi7EL8MFMAType0EEvPKT_PKT0_S9_ifPKiSB_SB_iPKfiiiPfSE_PS4_PT2_iSD_SD_,comdat
	.protected	_Z39paged_attention_ll4mi_QKV_mfma16_kernelI14__hip_bfloat16hLN4vllm18Fp8KVCacheDataTypeE1ES0_Li16ELi64ELi256ELb0ELi7EL8MFMAType0EEvPKT_PKT0_S9_ifPKiSB_SB_iPKfiiiPfSE_PS4_PT2_iSD_SD_ ; -- Begin function _Z39paged_attention_ll4mi_QKV_mfma16_kernelI14__hip_bfloat16hLN4vllm18Fp8KVCacheDataTypeE1ES0_Li16ELi64ELi256ELb0ELi7EL8MFMAType0EEvPKT_PKT0_S9_ifPKiSB_SB_iPKfiiiPfSE_PS4_PT2_iSD_SD_
	.globl	_Z39paged_attention_ll4mi_QKV_mfma16_kernelI14__hip_bfloat16hLN4vllm18Fp8KVCacheDataTypeE1ES0_Li16ELi64ELi256ELb0ELi7EL8MFMAType0EEvPKT_PKT0_S9_ifPKiSB_SB_iPKfiiiPfSE_PS4_PT2_iSD_SD_
	.p2align	8
	.type	_Z39paged_attention_ll4mi_QKV_mfma16_kernelI14__hip_bfloat16hLN4vllm18Fp8KVCacheDataTypeE1ES0_Li16ELi64ELi256ELb0ELi7EL8MFMAType0EEvPKT_PKT0_S9_ifPKiSB_SB_iPKfiiiPfSE_PS4_PT2_iSD_SD_,@function
_Z39paged_attention_ll4mi_QKV_mfma16_kernelI14__hip_bfloat16hLN4vllm18Fp8KVCacheDataTypeE1ES0_Li16ELi64ELi256ELb0ELi7EL8MFMAType0EEvPKT_PKT0_S9_ifPKiSB_SB_iPKfiiiPfSE_PS4_PT2_iSD_SD_: ; @_Z39paged_attention_ll4mi_QKV_mfma16_kernelI14__hip_bfloat16hLN4vllm18Fp8KVCacheDataTypeE1ES0_Li16ELi64ELi256ELb0ELi7EL8MFMAType0EEvPKT_PKT0_S9_ifPKiSB_SB_iPKfiiiPfSE_PS4_PT2_iSD_SD_
; %bb.0:
	s_load_dwordx2 s[0:1], s[4:5], 0x30
	s_mov_b32 s24, s7
	s_mov_b64 s[10:11], 0
	s_waitcnt lgkmcnt(0)
	s_cmp_lg_u64 s[0:1], 0
	s_cselect_b64 s[2:3], -1, 0
	s_and_b64 vcc, exec, s[2:3]
	s_cbranch_vccz .LBB852_7
; %bb.1:
	s_add_i32 s12, s6, 1
	s_mov_b32 s13, 0
	s_lshl_b64 s[14:15], s[12:13], 2
	s_add_u32 s14, s0, s14
	s_mov_b32 s7, s13
	s_addc_u32 s15, s1, s15
	s_lshl_b64 s[12:13], s[6:7], 2
	s_add_u32 s12, s0, s12
	s_addc_u32 s13, s1, s13
	s_load_dword s9, s[14:15], 0x0
	s_load_dword s16, s[12:13], 0x0
	s_waitcnt lgkmcnt(0)
	s_sub_i32 s9, s9, s16
	s_cmp_eq_u32 s9, 1
	s_cselect_b64 s[12:13], -1, 0
	s_andn2_b64 vcc, exec, s[10:11]
	s_cbranch_vccnz .LBB852_3
.LBB852_2:
	s_mov_b32 s7, 0
	s_mov_b64 s[12:13], -1
.LBB852_3:
	s_andn2_b64 vcc, exec, s[12:13]
	s_cbranch_vccnz .LBB852_786
; %bb.4:
	s_load_dwordx2 s[12:13], s[4:5], 0x28
	s_lshl_b64 s[10:11], s[6:7], 2
	s_waitcnt lgkmcnt(0)
	s_add_u32 s12, s12, s10
	s_addc_u32 s13, s13, s11
	s_load_dword s33, s[12:13], 0x0
	s_lshl_b32 s20, s24, 8
	s_waitcnt lgkmcnt(0)
	s_cmp_ge_i32 s20, s33
	s_cbranch_scc1 .LBB852_786
; %bb.5:
	s_add_i32 s14, s33, 15
	s_load_dwordx2 s[12:13], s[4:5], 0x20
	s_load_dword s9, s[4:5], 0x38
	s_ashr_i32 s15, s14, 31
	v_and_b32_e32 v1, 0xcf, v0
	s_lshr_b32 s15, s15, 28
	v_add_u32_e32 v1, s20, v1
	s_add_i32 s14, s14, s15
	v_ashrrev_i32_e32 v2, 31, v1
	s_ashr_i32 s22, s14, 4
	v_lshrrev_b32_e32 v4, 28, v2
	s_add_i32 s22, s22, -1
	v_add_u32_e32 v2, v1, v4
	s_waitcnt lgkmcnt(0)
	s_mul_i32 s14, s6, s9
	s_mov_b32 s15, 0
	v_ashrrev_i32_e32 v2, 4, v2
	v_mov_b32_e32 v5, s22
	v_cmp_gt_i32_e32 vcc, s33, v1
	s_lshl_b64 s[14:15], s[14:15], 2
	v_cndmask_b32_e32 v2, v5, v2, vcc
	s_add_u32 s9, s12, s14
	v_ashrrev_i32_e32 v3, 31, v2
	s_addc_u32 s21, s13, s15
	v_lshlrev_b64 v[2:3], 2, v[2:3]
	v_mov_b32_e32 v7, s21
	v_add_co_u32_e32 v6, vcc, s9, v2
	v_or_b32_e32 v2, 16, v1
	v_addc_co_u32_e32 v7, vcc, v7, v3, vcc
	v_add_u32_e32 v3, v2, v4
	v_ashrrev_i32_e32 v3, 4, v3
	v_cmp_gt_i32_e32 vcc, s33, v2
	v_cndmask_b32_e32 v2, v5, v3, vcc
	v_ashrrev_i32_e32 v3, 31, v2
	v_lshlrev_b64 v[2:3], 2, v[2:3]
	v_mov_b32_e32 v9, s21
	v_add_co_u32_e32 v8, vcc, s9, v2
	v_or_b32_e32 v2, 32, v1
	v_addc_co_u32_e32 v9, vcc, v9, v3, vcc
	v_add_u32_e32 v3, v2, v4
	v_ashrrev_i32_e32 v3, 4, v3
	v_cmp_gt_i32_e32 vcc, s33, v2
	v_cndmask_b32_e32 v2, v5, v3, vcc
	v_ashrrev_i32_e32 v3, 31, v2
	;; [unrolled: 10-line block ×3, first 2 shown]
	v_lshlrev_b64 v[2:3], 2, v[2:3]
	v_mov_b32_e32 v1, s21
	v_add_co_u32_e32 v12, vcc, s9, v2
	v_addc_co_u32_e32 v13, vcc, v1, v3, vcc
	global_load_dword v4, v[6:7], off
	global_load_dword v5, v[8:9], off
	;; [unrolled: 1-line block ×4, first 2 shown]
	s_load_dwordx4 s[12:15], s[4:5], 0x8
	s_andn2_b64 vcc, exec, s[2:3]
	s_cbranch_vccnz .LBB852_8
; %bb.6:
	s_add_u32 s0, s0, s10
	s_addc_u32 s1, s1, s11
	s_load_dword s10, s[0:1], 0x0
	s_branch .LBB852_9
.LBB852_7:
	s_mov_b64 s[12:13], 0
	s_branch .LBB852_2
.LBB852_8:
	s_mov_b32 s10, s6
.LBB852_9:
	s_load_dwordx4 s[16:19], s[4:5], 0x48
	v_lshrrev_b32_e32 v49, 6, v0
	v_bfe_u32 v1, v0, 4, 2
	v_lshl_or_b32 v6, v49, 2, v1
	v_and_b32_e32 v48, 15, v0
	v_lshlrev_b32_e32 v7, 3, v48
	v_cmp_gt_u32_e32 vcc, 7, v6
	v_cmp_gt_u32_e64 s[0:1], 8, v48
	s_mul_i32 s25, s8, 7
	s_and_b64 s[26:27], s[0:1], vcc
	v_lshlrev_b32_e32 v46, 1, v7
	v_lshlrev_b32_e32 v47, 4, v0
	s_and_saveexec_b64 s[2:3], s[26:27]
	s_cbranch_execz .LBB852_11
; %bb.10:
	s_load_dwordx2 s[26:27], s[4:5], 0x0
	s_waitcnt lgkmcnt(0)
	s_ashr_i32 s11, s16, 31
	s_mul_hi_u32 s19, s10, s16
	s_mul_i32 s11, s10, s11
	s_add_i32 s11, s19, s11
	s_mul_i32 s10, s10, s16
	s_lshl_b64 s[10:11], s[10:11], 1
	v_add_lshl_u32 v8, v6, s25, 6
	s_add_u32 s10, s26, s10
	v_ashrrev_i32_e32 v9, 31, v8
	s_addc_u32 s11, s27, s11
	v_lshlrev_b64 v[8:9], 1, v[8:9]
	v_mov_b32_e32 v7, s11
	v_add_co_u32_e32 v8, vcc, s10, v8
	v_addc_co_u32_e32 v7, vcc, v7, v9, vcc
	v_add_co_u32_e32 v8, vcc, v8, v46
	v_addc_co_u32_e32 v9, vcc, 0, v7, vcc
	global_load_dwordx4 v[8:11], v[8:9], off
	v_lshlrev_b32_e32 v12, 8, v48
	v_lshlrev_b32_e32 v6, 5, v6
	v_and_b32_e32 v7, 16, v47
	v_and_b32_e32 v12, 0xe00, v12
	v_or3_b32 v6, v12, v6, v7
	s_waitcnt vmcnt(0)
	ds_write_b128 v6, v[8:11]
.LBB852_11:
	s_or_b64 exec, exec, s[2:3]
	v_and_b32_e32 v12, 48, v0
	v_or_b32_e32 v13, s20, v12
	v_ashrrev_i32_e32 v6, 4, v13
	v_mov_b32_e32 v14, s22
	v_cmp_gt_i32_e32 vcc, s33, v13
	v_cndmask_b32_e32 v6, v14, v6, vcc
	v_ashrrev_i32_e32 v7, 31, v6
	v_lshlrev_b64 v[6:7], 2, v[6:7]
	v_mov_b32_e32 v8, s21
	v_add_co_u32_e32 v6, vcc, s9, v6
	v_addc_co_u32_e32 v7, vcc, v8, v7, vcc
	v_or_b32_e32 v8, 64, v13
	v_ashrrev_i32_e32 v9, 4, v8
	v_cmp_gt_i32_e32 vcc, s33, v8
	v_cndmask_b32_e32 v8, v14, v9, vcc
	v_ashrrev_i32_e32 v9, 31, v8
	v_lshlrev_b64 v[8:9], 2, v[8:9]
	v_mov_b32_e32 v10, s21
	v_add_co_u32_e32 v8, vcc, s9, v8
	v_addc_co_u32_e32 v9, vcc, v10, v9, vcc
	v_or_b32_e32 v10, 0x80, v13
	v_ashrrev_i32_e32 v11, 4, v10
	v_cmp_gt_i32_e32 vcc, s33, v10
	v_cndmask_b32_e32 v10, v14, v11, vcc
	v_ashrrev_i32_e32 v11, 31, v10
	v_lshlrev_b64 v[10:11], 2, v[10:11]
	v_mov_b32_e32 v15, s21
	v_add_co_u32_e32 v10, vcc, s9, v10
	s_load_dwordx2 s[44:45], s[4:5], 0x94
	s_load_dwordx4 s[40:43], s[4:5], 0x80
	s_waitcnt lgkmcnt(0)
	s_barrier
	v_addc_co_u32_e32 v11, vcc, v15, v11, vcc
	global_load_dword v15, v[6:7], off
	global_load_dword v16, v[8:9], off
	;; [unrolled: 1-line block ×3, first 2 shown]
	v_or_b32_e32 v6, 0xc0, v13
	v_ashrrev_i32_e32 v7, 4, v6
	v_cmp_gt_i32_e32 vcc, s33, v6
	v_cndmask_b32_e32 v6, v14, v7, vcc
	v_ashrrev_i32_e32 v7, 31, v6
	v_lshlrev_b64 v[6:7], 2, v[6:7]
	v_mov_b32_e32 v8, s21
	v_add_co_u32_e32 v6, vcc, s9, v6
	v_addc_co_u32_e32 v7, vcc, v8, v7, vcc
	global_load_dword v20, v[6:7], off
	s_mul_i32 s8, s8, s18
	s_add_u32 s2, s12, s8
	s_addc_u32 s3, s13, 0
	v_and_b32_e32 v6, 0xf0, v47
	v_mov_b32_e32 v7, s3
	v_add_co_u32_e32 v6, vcc, s2, v6
	v_addc_co_u32_e32 v7, vcc, 0, v7, vcc
	v_lshlrev_b32_e32 v8, 4, v12
	v_add_co_u32_e32 v6, vcc, v6, v8
	v_addc_co_u32_e32 v7, vcc, 0, v7, vcc
	s_waitcnt vmcnt(7)
	v_mad_i64_i32 v[8:9], s[2:3], v4, s17, v[6:7]
	s_waitcnt vmcnt(6)
	v_mad_i64_i32 v[4:5], s[2:3], v5, s17, v[6:7]
	global_load_dwordx4 v[30:33], v[8:9], off
	global_load_dwordx4 v[38:41], v[4:5], off
	s_waitcnt vmcnt(7)
	v_mad_i64_i32 v[4:5], s[2:3], v2, s17, v[6:7]
	s_waitcnt vmcnt(6)
	v_mad_i64_i32 v[2:3], s[2:3], v3, s17, v[6:7]
	global_load_dwordx4 v[34:37], v[4:5], off
	global_load_dwordx4 v[22:25], v[2:3], off
	s_add_u32 s2, s14, s8
	v_lshlrev_b32_e32 v2, 4, v48
	s_addc_u32 s3, s15, 0
	v_lshl_or_b32 v2, v49, 8, v2
	v_mov_b32_e32 v3, s3
	v_add_co_u32_e32 v2, vcc, s2, v2
	v_addc_co_u32_e32 v3, vcc, 0, v3, vcc
	v_mov_b32_e32 v44, 0
	v_mov_b32_e32 v43, 0
	s_movk_i32 s8, 0x80
	s_waitcnt vmcnt(7)
	v_mad_i64_i32 v[4:5], s[2:3], v15, s17, v[2:3]
	s_waitcnt vmcnt(6)
	v_mad_i64_i32 v[6:7], s[2:3], v16, s17, v[2:3]
	;; [unrolled: 2-line block ×3, first 2 shown]
	global_load_dwordx4 v[14:17], v[4:5], off
	global_load_dwordx4 v[10:13], v[6:7], off
	s_waitcnt vmcnt(6)
	v_mad_i64_i32 v[20:21], s[2:3], v20, s17, v[2:3]
	global_load_dwordx4 v[6:9], v[18:19], off
	global_load_dwordx4 v[2:5], v[20:21], off
	v_mul_lo_u16_e32 v18, 37, v48
	v_mov_b32_e32 v19, 7
	v_mul_lo_u16_sdwa v18, v18, v19 dst_sel:DWORD dst_unused:UNUSED_PAD src0_sel:BYTE_1 src1_sel:DWORD
	v_sub_u16_e32 v18, v48, v18
	v_mov_b32_e32 v19, 5
	v_lshlrev_b32_sdwa v18, v19, v18 dst_sel:DWORD dst_unused:UNUSED_PAD src0_sel:DWORD src1_sel:BYTE_0
	v_lshl_add_u32 v18, v1, 9, v18
	ds_read_b128 v[26:29], v18
	ds_read_b128 v[18:21], v18 offset:16
	s_load_dword s12, s[40:41], 0x0
	s_waitcnt vmcnt(7)
	v_cmp_ne_u16_sdwa s[10:11], v30, v44 src0_sel:BYTE_0 src1_sel:DWORD
	s_and_saveexec_b64 s[2:3], s[10:11]
	s_cbranch_execz .LBB852_17
; %bb.12:
	v_cmp_ne_u16_sdwa s[10:11], v30, s8 src0_sel:BYTE_0 src1_sel:DWORD
	v_mov_b32_e32 v43, 0xffff8000
	s_and_saveexec_b64 s[8:9], s[10:11]
	s_cbranch_execz .LBB852_16
; %bb.13:
	s_movk_i32 s10, 0x7f
	v_and_b32_e32 v42, 0x7f, v30
	v_cmp_ne_u32_e32 vcc, s10, v42
	v_mov_b32_e32 v43, 0x7f80
	s_and_saveexec_b64 s[10:11], vcc
	s_cbranch_execz .LBB852_15
; %bb.14:
	v_and_b32_e32 v43, 7, v30
	v_ffbh_u32_e32 v50, v43
	v_min_u32_e32 v52, 32, v50
	v_subrev_u32_e32 v50, 28, v52
	v_lshlrev_b64 v[50:51], v50, v[30:31]
	v_lshrrev_b32_e32 v45, 3, v42
	v_sub_u32_e32 v51, 29, v52
	v_and_b32_e32 v50, 7, v50
	v_cmp_gt_u32_e32 vcc, 8, v42
	v_cndmask_b32_e32 v42, v45, v51, vcc
	v_cndmask_b32_e32 v43, v43, v50, vcc
	v_lshlrev_b32_e32 v45, 24, v30
	v_bfrev_b32_e32 v50, 60
	v_lshlrev_b32_e32 v43, 20, v43
	v_and_b32_e32 v45, 0x80000000, v45
	v_lshl_add_u32 v42, v42, 23, v50
	v_or3_b32 v42, v45, v42, v43
	v_lshrrev_b32_e32 v43, 16, v42
.LBB852_15:
	s_or_b64 exec, exec, s[10:11]
.LBB852_16:
	s_or_b64 exec, exec, s[8:9]
.LBB852_17:
	s_or_b64 exec, exec, s[2:3]
	v_lshrrev_b16_e32 v42, 8, v30
	v_cmp_ne_u16_e32 vcc, 0, v42
	s_and_saveexec_b64 s[2:3], vcc
	s_cbranch_execz .LBB852_23
; %bb.18:
	s_movk_i32 s8, 0x80
	v_cmp_ne_u16_e32 vcc, s8, v42
	v_mov_b32_e32 v44, 0xffff8000
	s_and_saveexec_b64 s[8:9], vcc
	s_cbranch_execz .LBB852_22
; %bb.19:
	s_movk_i32 s10, 0x7f
	v_and_b32_e32 v45, 0x7f, v42
	v_cmp_ne_u32_e32 vcc, s10, v45
	v_mov_b32_e32 v44, 0x7f80
	s_and_saveexec_b64 s[10:11], vcc
	s_cbranch_execz .LBB852_21
; %bb.20:
	v_and_b32_e32 v44, 7, v42
	v_ffbh_u32_e32 v50, v44
	v_min_u32_e32 v53, 32, v50
	v_subrev_u32_e32 v50, 28, v53
	v_lshlrev_b64 v[50:51], v50, v[42:43]
	v_lshrrev_b32_e32 v52, 3, v45
	v_sub_u32_e32 v42, 29, v53
	v_and_b32_e32 v50, 7, v50
	v_cmp_gt_u32_e32 vcc, 8, v45
	v_cndmask_b32_e32 v42, v52, v42, vcc
	v_cndmask_b32_e32 v44, v44, v50, vcc
	v_lshlrev_b32_e32 v45, 16, v30
	v_bfrev_b32_e32 v50, 60
	v_lshlrev_b32_e32 v44, 20, v44
	v_and_b32_e32 v45, 0x80000000, v45
	v_lshl_add_u32 v42, v42, 23, v50
	v_or3_b32 v42, v45, v42, v44
	v_lshrrev_b32_e32 v44, 16, v42
.LBB852_21:
	s_or_b64 exec, exec, s[10:11]
.LBB852_22:
	s_or_b64 exec, exec, s[8:9]
.LBB852_23:
	s_or_b64 exec, exec, s[2:3]
	s_movk_i32 s2, 0xff
	v_and_b32_sdwa v51, v30, s2 dst_sel:DWORD dst_unused:UNUSED_PAD src0_sel:WORD_1 src1_sel:DWORD
	v_lshrrev_b32_e32 v42, 16, v30
	v_cmp_ne_u16_e32 vcc, 0, v51
	v_mov_b32_e32 v45, 0
	v_mov_b32_e32 v50, 0
	s_and_saveexec_b64 s[2:3], vcc
	s_cbranch_execz .LBB852_29
; %bb.24:
	s_movk_i32 s8, 0x80
	v_cmp_ne_u16_e32 vcc, s8, v51
	v_mov_b32_e32 v50, 0xffff8000
	s_and_saveexec_b64 s[8:9], vcc
	s_cbranch_execz .LBB852_28
; %bb.25:
	v_bfe_u32 v51, v30, 16, 7
	s_movk_i32 s10, 0x7f
	v_cmp_ne_u32_e32 vcc, s10, v51
	v_mov_b32_e32 v50, 0x7f80
	s_and_saveexec_b64 s[10:11], vcc
	s_cbranch_execz .LBB852_27
; %bb.26:
	v_and_b32_e32 v50, 7, v42
	v_ffbh_u32_e32 v52, v50
	v_min_u32_e32 v55, 32, v52
	v_subrev_u32_e32 v52, 28, v55
	v_lshlrev_b64 v[52:53], v52, v[42:43]
	v_lshrrev_b32_e32 v54, 3, v51
	v_sub_u32_e32 v42, 29, v55
	v_and_b32_e32 v52, 7, v52
	v_cmp_gt_u32_e32 vcc, 8, v51
	v_mov_b32_e32 v51, 24
	v_cndmask_b32_e32 v42, v54, v42, vcc
	v_cndmask_b32_e32 v50, v50, v52, vcc
	v_lshlrev_b32_sdwa v51, v51, v30 dst_sel:DWORD dst_unused:UNUSED_PAD src0_sel:DWORD src1_sel:WORD_1
	v_bfrev_b32_e32 v52, 60
	v_lshlrev_b32_e32 v50, 20, v50
	v_and_b32_e32 v51, 0x80000000, v51
	v_lshl_add_u32 v42, v42, 23, v52
	v_or3_b32 v42, v51, v42, v50
	v_lshrrev_b32_e32 v50, 16, v42
.LBB852_27:
	s_or_b64 exec, exec, s[10:11]
.LBB852_28:
	s_or_b64 exec, exec, s[8:9]
.LBB852_29:
	s_or_b64 exec, exec, s[2:3]
	s_mov_b32 s2, 0xffffff
	v_cmp_lt_u32_e32 vcc, s2, v30
	s_and_saveexec_b64 s[2:3], vcc
	s_cbranch_execz .LBB852_35
; %bb.30:
	v_lshrrev_b32_e32 v42, 24, v30
	s_movk_i32 s8, 0x80
	v_cmp_ne_u32_e32 vcc, s8, v42
	v_mov_b32_e32 v45, 0xffff8000
	s_and_saveexec_b64 s[8:9], vcc
	s_cbranch_execz .LBB852_34
; %bb.31:
	v_bfe_u32 v30, v30, 24, 7
	s_movk_i32 s10, 0x7f
	v_cmp_ne_u32_e32 vcc, s10, v30
	v_mov_b32_e32 v45, 0x7f80
	s_and_saveexec_b64 s[10:11], vcc
	s_cbranch_execz .LBB852_33
; %bb.32:
	v_and_b32_e32 v45, 7, v42
	v_ffbh_u32_e32 v52, v45
	v_min_u32_e32 v54, 32, v52
	v_subrev_u32_e32 v52, 28, v54
	v_lshlrev_b64 v[52:53], v52, v[42:43]
	v_lshrrev_b32_e32 v51, 3, v30
	v_sub_u32_e32 v53, 29, v54
	v_and_b32_e32 v52, 7, v52
	v_cmp_gt_u32_e32 vcc, 8, v30
	v_cndmask_b32_e32 v30, v51, v53, vcc
	v_cndmask_b32_e32 v45, v45, v52, vcc
	v_lshlrev_b32_e32 v42, 24, v42
	v_bfrev_b32_e32 v51, 60
	v_lshlrev_b32_e32 v45, 20, v45
	v_and_b32_e32 v42, 0x80000000, v42
	v_lshl_add_u32 v30, v30, 23, v51
	v_or3_b32 v30, v42, v30, v45
	v_lshrrev_b32_e32 v45, 16, v30
.LBB852_33:
	s_or_b64 exec, exec, s[10:11]
.LBB852_34:
	s_or_b64 exec, exec, s[8:9]
.LBB852_35:
	s_or_b64 exec, exec, s[2:3]
	v_mov_b32_e32 v42, 0
	v_cmp_ne_u16_sdwa s[8:9], v31, v42 src0_sel:BYTE_0 src1_sel:DWORD
	v_mov_b32_e32 v51, 0
	s_and_saveexec_b64 s[2:3], s[8:9]
	s_cbranch_execz .LBB852_41
; %bb.36:
	s_movk_i32 s8, 0x80
	v_cmp_ne_u16_sdwa s[10:11], v31, s8 src0_sel:BYTE_0 src1_sel:DWORD
	v_mov_b32_e32 v51, 0xffff8000
	s_and_saveexec_b64 s[8:9], s[10:11]
	s_cbranch_execz .LBB852_40
; %bb.37:
	s_movk_i32 s10, 0x7f
	v_and_b32_e32 v30, 0x7f, v31
	v_cmp_ne_u32_e32 vcc, s10, v30
	v_mov_b32_e32 v51, 0x7f80
	s_and_saveexec_b64 s[10:11], vcc
	s_cbranch_execz .LBB852_39
; %bb.38:
	v_and_b32_e32 v51, 7, v31
	v_ffbh_u32_e32 v53, v51
	v_min_u32_e32 v55, 32, v53
	v_mov_b32_e32 v52, v31
	v_subrev_u32_e32 v53, 28, v55
	v_lshlrev_b64 v[52:53], v53, v[52:53]
	v_lshrrev_b32_e32 v54, 3, v30
	v_sub_u32_e32 v53, 29, v55
	v_and_b32_e32 v52, 7, v52
	v_cmp_gt_u32_e32 vcc, 8, v30
	v_cndmask_b32_e32 v30, v54, v53, vcc
	v_cndmask_b32_e32 v51, v51, v52, vcc
	v_lshlrev_b32_e32 v52, 24, v31
	v_bfrev_b32_e32 v53, 60
	v_lshlrev_b32_e32 v51, 20, v51
	v_and_b32_e32 v52, 0x80000000, v52
	v_lshl_add_u32 v30, v30, 23, v53
	v_or3_b32 v30, v52, v30, v51
	v_lshrrev_b32_e32 v51, 16, v30
.LBB852_39:
	s_or_b64 exec, exec, s[10:11]
.LBB852_40:
	s_or_b64 exec, exec, s[8:9]
.LBB852_41:
	s_or_b64 exec, exec, s[2:3]
	v_lshrrev_b16_e32 v30, 8, v31
	v_cmp_ne_u16_e32 vcc, 0, v30
	s_and_saveexec_b64 s[2:3], vcc
	s_cbranch_execz .LBB852_47
; %bb.42:
	s_movk_i32 s8, 0x80
	v_cmp_ne_u16_e32 vcc, s8, v30
	v_mov_b32_e32 v42, 0xffff8000
	s_and_saveexec_b64 s[8:9], vcc
	s_cbranch_execz .LBB852_46
; %bb.43:
	s_movk_i32 s10, 0x7f
	v_and_b32_e32 v52, 0x7f, v30
	v_cmp_ne_u32_e32 vcc, s10, v52
	v_mov_b32_e32 v42, 0x7f80
	s_and_saveexec_b64 s[10:11], vcc
	s_cbranch_execz .LBB852_45
; %bb.44:
	v_and_b32_e32 v42, 7, v30
	v_ffbh_u32_e32 v54, v42
	v_min_u32_e32 v56, 32, v54
	v_subrev_u32_e32 v54, 28, v56
	v_lshlrev_b64 v[54:55], v54, v[30:31]
	v_lshrrev_b32_e32 v53, 3, v52
	v_sub_u32_e32 v30, 29, v56
	v_and_b32_e32 v54, 7, v54
	v_cmp_gt_u32_e32 vcc, 8, v52
	v_cndmask_b32_e32 v30, v53, v30, vcc
	v_cndmask_b32_e32 v42, v42, v54, vcc
	v_lshlrev_b32_e32 v52, 16, v31
	v_bfrev_b32_e32 v53, 60
	v_lshlrev_b32_e32 v42, 20, v42
	v_and_b32_e32 v52, 0x80000000, v52
	v_lshl_add_u32 v30, v30, 23, v53
	v_or3_b32 v30, v52, v30, v42
	v_lshrrev_b32_e32 v42, 16, v30
.LBB852_45:
	s_or_b64 exec, exec, s[10:11]
.LBB852_46:
	s_or_b64 exec, exec, s[8:9]
.LBB852_47:
	s_or_b64 exec, exec, s[2:3]
	s_movk_i32 s2, 0xff
	v_and_b32_sdwa v54, v31, s2 dst_sel:DWORD dst_unused:UNUSED_PAD src0_sel:WORD_1 src1_sel:DWORD
	v_lshrrev_b32_e32 v30, 16, v31
	v_cmp_ne_u16_e32 vcc, 0, v54
	v_mov_b32_e32 v52, 0
	v_mov_b32_e32 v53, 0
	s_and_saveexec_b64 s[2:3], vcc
	s_cbranch_execz .LBB852_53
; %bb.48:
	s_movk_i32 s8, 0x80
	v_cmp_ne_u16_e32 vcc, s8, v54
	v_mov_b32_e32 v53, 0xffff8000
	s_and_saveexec_b64 s[8:9], vcc
	s_cbranch_execz .LBB852_52
; %bb.49:
	v_bfe_u32 v54, v31, 16, 7
	s_movk_i32 s10, 0x7f
	v_cmp_ne_u32_e32 vcc, s10, v54
	v_mov_b32_e32 v53, 0x7f80
	s_and_saveexec_b64 s[10:11], vcc
	s_cbranch_execz .LBB852_51
; %bb.50:
	v_and_b32_e32 v53, 7, v30
	v_ffbh_u32_e32 v56, v53
	v_min_u32_e32 v58, 32, v56
	v_subrev_u32_e32 v56, 28, v58
	v_lshlrev_b64 v[56:57], v56, v[30:31]
	v_lshrrev_b32_e32 v55, 3, v54
	v_sub_u32_e32 v30, 29, v58
	v_and_b32_e32 v56, 7, v56
	v_cmp_gt_u32_e32 vcc, 8, v54
	v_mov_b32_e32 v54, 24
	v_cndmask_b32_e32 v30, v55, v30, vcc
	v_cndmask_b32_e32 v53, v53, v56, vcc
	v_lshlrev_b32_sdwa v54, v54, v31 dst_sel:DWORD dst_unused:UNUSED_PAD src0_sel:DWORD src1_sel:WORD_1
	v_bfrev_b32_e32 v55, 60
	v_lshlrev_b32_e32 v53, 20, v53
	v_and_b32_e32 v54, 0x80000000, v54
	v_lshl_add_u32 v30, v30, 23, v55
	v_or3_b32 v30, v54, v30, v53
	v_lshrrev_b32_e32 v53, 16, v30
.LBB852_51:
	s_or_b64 exec, exec, s[10:11]
.LBB852_52:
	s_or_b64 exec, exec, s[8:9]
.LBB852_53:
	s_or_b64 exec, exec, s[2:3]
	s_mov_b32 s2, 0xffffff
	v_cmp_lt_u32_e32 vcc, s2, v31
	s_and_saveexec_b64 s[2:3], vcc
	s_cbranch_execz .LBB852_59
; %bb.54:
	v_lshrrev_b32_e32 v30, 24, v31
	s_movk_i32 s8, 0x80
	v_cmp_ne_u32_e32 vcc, s8, v30
	v_mov_b32_e32 v52, 0xffff8000
	s_and_saveexec_b64 s[8:9], vcc
	s_cbranch_execz .LBB852_58
; %bb.55:
	v_bfe_u32 v31, v31, 24, 7
	s_movk_i32 s10, 0x7f
	v_cmp_ne_u32_e32 vcc, s10, v31
	v_mov_b32_e32 v52, 0x7f80
	s_and_saveexec_b64 s[10:11], vcc
	s_cbranch_execz .LBB852_57
; %bb.56:
	v_and_b32_e32 v52, 7, v30
	v_ffbh_u32_e32 v54, v52
	v_min_u32_e32 v57, 32, v54
	v_subrev_u32_e32 v54, 28, v57
	v_lshlrev_b64 v[54:55], v54, v[30:31]
	v_lshrrev_b32_e32 v56, 3, v31
	v_sub_u32_e32 v55, 29, v57
	v_and_b32_e32 v54, 7, v54
	v_cmp_gt_u32_e32 vcc, 8, v31
	v_cndmask_b32_e32 v31, v56, v55, vcc
	v_cndmask_b32_e32 v52, v52, v54, vcc
	v_lshlrev_b32_e32 v30, 24, v30
	v_bfrev_b32_e32 v54, 60
	v_lshlrev_b32_e32 v52, 20, v52
	v_and_b32_e32 v30, 0x80000000, v30
	v_lshl_add_u32 v31, v31, 23, v54
	v_or3_b32 v30, v30, v31, v52
	v_lshrrev_b32_e32 v52, 16, v30
.LBB852_57:
	s_or_b64 exec, exec, s[10:11]
.LBB852_58:
	s_or_b64 exec, exec, s[8:9]
.LBB852_59:
	s_or_b64 exec, exec, s[2:3]
	s_mov_b32 s2, 0x5040100
	v_perm_b32 v31, v45, v50, s2
	v_perm_b32 v30, v44, v43, s2
	;; [unrolled: 1-line block ×4, first 2 shown]
	v_mov_b32_e32 v50, 0
	s_waitcnt lgkmcnt(0)
	v_mfma_f32_16x16x16bf16_1k v[54:57], v[30:31], v[26:27], 0
	v_mov_b32_e32 v31, 0
	v_cmp_ne_u16_sdwa s[8:9], v32, v31 src0_sel:BYTE_0 src1_sel:DWORD
	v_mfma_f32_16x16x16bf16_1k v[42:45], v[42:43], v[28:29], v[54:57]
	s_and_saveexec_b64 s[2:3], s[8:9]
	s_cbranch_execz .LBB852_65
; %bb.60:
	s_movk_i32 s8, 0x80
	v_cmp_ne_u16_sdwa s[10:11], v32, s8 src0_sel:BYTE_0 src1_sel:DWORD
	v_mov_b32_e32 v50, 0xffff8000
	s_and_saveexec_b64 s[8:9], s[10:11]
	s_cbranch_execz .LBB852_64
; %bb.61:
	s_movk_i32 s10, 0x7f
	v_and_b32_e32 v30, 0x7f, v32
	v_cmp_ne_u32_e32 vcc, s10, v30
	v_mov_b32_e32 v50, 0x7f80
	s_and_saveexec_b64 s[10:11], vcc
	s_cbranch_execz .LBB852_63
; %bb.62:
	v_and_b32_e32 v52, 7, v32
	v_ffbh_u32_e32 v50, v52
	v_min_u32_e32 v54, 32, v50
	v_subrev_u32_e32 v50, 28, v54
	v_lshlrev_b64 v[50:51], v50, v[32:33]
	v_lshrrev_b32_e32 v53, 3, v30
	v_sub_u32_e32 v51, 29, v54
	v_and_b32_e32 v50, 7, v50
	v_cmp_gt_u32_e32 vcc, 8, v30
	v_cndmask_b32_e32 v30, v53, v51, vcc
	v_cndmask_b32_e32 v50, v52, v50, vcc
	v_lshlrev_b32_e32 v51, 24, v32
	v_bfrev_b32_e32 v52, 60
	v_lshlrev_b32_e32 v50, 20, v50
	v_and_b32_e32 v51, 0x80000000, v51
	v_lshl_add_u32 v30, v30, 23, v52
	v_or3_b32 v30, v51, v30, v50
	v_lshrrev_b32_e32 v50, 16, v30
.LBB852_63:
	s_or_b64 exec, exec, s[10:11]
.LBB852_64:
	s_or_b64 exec, exec, s[8:9]
.LBB852_65:
	s_or_b64 exec, exec, s[2:3]
	v_lshrrev_b16_e32 v30, 8, v32
	v_cmp_ne_u16_e32 vcc, 0, v30
	s_and_saveexec_b64 s[2:3], vcc
	s_cbranch_execz .LBB852_71
; %bb.66:
	s_movk_i32 s8, 0x80
	v_cmp_ne_u16_e32 vcc, s8, v30
	v_mov_b32_e32 v31, 0xffff8000
	s_and_saveexec_b64 s[8:9], vcc
	s_cbranch_execz .LBB852_70
; %bb.67:
	s_movk_i32 s10, 0x7f
	v_and_b32_e32 v51, 0x7f, v30
	v_cmp_ne_u32_e32 vcc, s10, v51
	v_mov_b32_e32 v31, 0x7f80
	s_and_saveexec_b64 s[10:11], vcc
	s_cbranch_execz .LBB852_69
; %bb.68:
	v_and_b32_e32 v52, 7, v30
	v_ffbh_u32_e32 v31, v52
	v_min_u32_e32 v54, 32, v31
	v_subrev_u32_e32 v31, 28, v54
	v_lshlrev_b64 v[30:31], v31, v[30:31]
	v_lshrrev_b32_e32 v53, 3, v51
	v_sub_u32_e32 v31, 29, v54
	v_and_b32_e32 v30, 7, v30
	v_cmp_gt_u32_e32 vcc, 8, v51
	v_cndmask_b32_e32 v31, v53, v31, vcc
	v_cndmask_b32_e32 v30, v52, v30, vcc
	v_lshlrev_b32_e32 v51, 16, v32
	v_bfrev_b32_e32 v52, 60
	v_lshlrev_b32_e32 v30, 20, v30
	v_and_b32_e32 v51, 0x80000000, v51
	v_lshl_add_u32 v31, v31, 23, v52
	v_or3_b32 v30, v51, v31, v30
	v_lshrrev_b32_e32 v31, 16, v30
.LBB852_69:
	s_or_b64 exec, exec, s[10:11]
.LBB852_70:
	s_or_b64 exec, exec, s[8:9]
.LBB852_71:
	s_or_b64 exec, exec, s[2:3]
	s_movk_i32 s2, 0xff
	v_and_b32_sdwa v53, v32, s2 dst_sel:DWORD dst_unused:UNUSED_PAD src0_sel:WORD_1 src1_sel:DWORD
	v_lshrrev_b32_e32 v30, 16, v32
	v_cmp_ne_u16_e32 vcc, 0, v53
	v_mov_b32_e32 v51, 0
	v_mov_b32_e32 v52, 0
	s_and_saveexec_b64 s[2:3], vcc
	s_cbranch_execz .LBB852_77
; %bb.72:
	s_movk_i32 s8, 0x80
	v_cmp_ne_u16_e32 vcc, s8, v53
	v_mov_b32_e32 v52, 0xffff8000
	s_and_saveexec_b64 s[8:9], vcc
	s_cbranch_execz .LBB852_76
; %bb.73:
	v_bfe_u32 v53, v32, 16, 7
	s_movk_i32 s10, 0x7f
	v_cmp_ne_u32_e32 vcc, s10, v53
	v_mov_b32_e32 v52, 0x7f80
	s_and_saveexec_b64 s[10:11], vcc
	s_cbranch_execz .LBB852_75
; %bb.74:
	v_and_b32_e32 v52, 7, v30
	v_ffbh_u32_e32 v54, v52
	v_min_u32_e32 v57, 32, v54
	v_subrev_u32_e32 v54, 28, v57
	v_lshlrev_b64 v[54:55], v54, v[30:31]
	v_lshrrev_b32_e32 v56, 3, v53
	v_sub_u32_e32 v30, 29, v57
	v_and_b32_e32 v54, 7, v54
	v_cmp_gt_u32_e32 vcc, 8, v53
	v_mov_b32_e32 v53, 24
	v_cndmask_b32_e32 v30, v56, v30, vcc
	v_cndmask_b32_e32 v52, v52, v54, vcc
	v_lshlrev_b32_sdwa v53, v53, v32 dst_sel:DWORD dst_unused:UNUSED_PAD src0_sel:DWORD src1_sel:WORD_1
	v_bfrev_b32_e32 v54, 60
	v_lshlrev_b32_e32 v52, 20, v52
	v_and_b32_e32 v53, 0x80000000, v53
	v_lshl_add_u32 v30, v30, 23, v54
	v_or3_b32 v30, v53, v30, v52
	v_lshrrev_b32_e32 v52, 16, v30
.LBB852_75:
	s_or_b64 exec, exec, s[10:11]
.LBB852_76:
	s_or_b64 exec, exec, s[8:9]
.LBB852_77:
	s_or_b64 exec, exec, s[2:3]
	s_mov_b32 s2, 0xffffff
	v_cmp_lt_u32_e32 vcc, s2, v32
	s_and_saveexec_b64 s[2:3], vcc
	s_cbranch_execz .LBB852_83
; %bb.78:
	v_lshrrev_b32_e32 v30, 24, v32
	s_movk_i32 s8, 0x80
	v_cmp_ne_u32_e32 vcc, s8, v30
	v_mov_b32_e32 v51, 0xffff8000
	s_and_saveexec_b64 s[8:9], vcc
	s_cbranch_execz .LBB852_82
; %bb.79:
	v_bfe_u32 v32, v32, 24, 7
	s_movk_i32 s10, 0x7f
	v_cmp_ne_u32_e32 vcc, s10, v32
	v_mov_b32_e32 v51, 0x7f80
	s_and_saveexec_b64 s[10:11], vcc
	s_cbranch_execz .LBB852_81
; %bb.80:
	v_and_b32_e32 v51, 7, v30
	v_ffbh_u32_e32 v54, v51
	v_min_u32_e32 v56, 32, v54
	v_subrev_u32_e32 v54, 28, v56
	v_lshlrev_b64 v[54:55], v54, v[30:31]
	v_lshrrev_b32_e32 v53, 3, v32
	v_sub_u32_e32 v55, 29, v56
	v_and_b32_e32 v54, 7, v54
	v_cmp_gt_u32_e32 vcc, 8, v32
	v_cndmask_b32_e32 v32, v53, v55, vcc
	v_cndmask_b32_e32 v51, v51, v54, vcc
	v_lshlrev_b32_e32 v30, 24, v30
	v_bfrev_b32_e32 v53, 60
	v_lshlrev_b32_e32 v51, 20, v51
	v_and_b32_e32 v30, 0x80000000, v30
	v_lshl_add_u32 v32, v32, 23, v53
	v_or3_b32 v30, v30, v32, v51
	v_lshrrev_b32_e32 v51, 16, v30
.LBB852_81:
	s_or_b64 exec, exec, s[10:11]
.LBB852_82:
	s_or_b64 exec, exec, s[8:9]
.LBB852_83:
	s_or_b64 exec, exec, s[2:3]
	v_mov_b32_e32 v32, 0
	v_cmp_ne_u16_sdwa s[8:9], v33, v32 src0_sel:BYTE_0 src1_sel:DWORD
	v_mov_b32_e32 v53, 0
	s_and_saveexec_b64 s[2:3], s[8:9]
	s_cbranch_execz .LBB852_89
; %bb.84:
	s_movk_i32 s8, 0x80
	v_cmp_ne_u16_sdwa s[10:11], v33, s8 src0_sel:BYTE_0 src1_sel:DWORD
	v_mov_b32_e32 v53, 0xffff8000
	s_and_saveexec_b64 s[8:9], s[10:11]
	s_cbranch_execz .LBB852_88
; %bb.85:
	s_movk_i32 s10, 0x7f
	v_and_b32_e32 v30, 0x7f, v33
	v_cmp_ne_u32_e32 vcc, s10, v30
	v_mov_b32_e32 v53, 0x7f80
	s_and_saveexec_b64 s[10:11], vcc
	s_cbranch_execz .LBB852_87
; %bb.86:
	v_and_b32_e32 v53, 7, v33
	v_ffbh_u32_e32 v55, v53
	v_min_u32_e32 v57, 32, v55
	v_mov_b32_e32 v54, v33
	v_subrev_u32_e32 v55, 28, v57
	v_lshlrev_b64 v[54:55], v55, v[54:55]
	v_lshrrev_b32_e32 v56, 3, v30
	v_sub_u32_e32 v55, 29, v57
	v_and_b32_e32 v54, 7, v54
	v_cmp_gt_u32_e32 vcc, 8, v30
	v_cndmask_b32_e32 v30, v56, v55, vcc
	v_cndmask_b32_e32 v53, v53, v54, vcc
	v_lshlrev_b32_e32 v54, 24, v33
	v_bfrev_b32_e32 v55, 60
	v_lshlrev_b32_e32 v53, 20, v53
	v_and_b32_e32 v54, 0x80000000, v54
	v_lshl_add_u32 v30, v30, 23, v55
	v_or3_b32 v30, v54, v30, v53
	v_lshrrev_b32_e32 v53, 16, v30
.LBB852_87:
	s_or_b64 exec, exec, s[10:11]
.LBB852_88:
	s_or_b64 exec, exec, s[8:9]
.LBB852_89:
	s_or_b64 exec, exec, s[2:3]
	v_lshrrev_b16_e32 v30, 8, v33
	v_cmp_ne_u16_e32 vcc, 0, v30
	s_and_saveexec_b64 s[2:3], vcc
	s_cbranch_execz .LBB852_95
; %bb.90:
	s_movk_i32 s8, 0x80
	v_cmp_ne_u16_e32 vcc, s8, v30
	v_mov_b32_e32 v32, 0xffff8000
	s_and_saveexec_b64 s[8:9], vcc
	s_cbranch_execz .LBB852_94
; %bb.91:
	s_movk_i32 s10, 0x7f
	v_and_b32_e32 v54, 0x7f, v30
	v_cmp_ne_u32_e32 vcc, s10, v54
	v_mov_b32_e32 v32, 0x7f80
	s_and_saveexec_b64 s[10:11], vcc
	s_cbranch_execz .LBB852_93
; %bb.92:
	v_and_b32_e32 v32, 7, v30
	v_ffbh_u32_e32 v56, v32
	v_min_u32_e32 v58, 32, v56
	v_subrev_u32_e32 v56, 28, v58
	v_lshlrev_b64 v[56:57], v56, v[30:31]
	v_lshrrev_b32_e32 v55, 3, v54
	v_sub_u32_e32 v30, 29, v58
	v_and_b32_e32 v56, 7, v56
	v_cmp_gt_u32_e32 vcc, 8, v54
	v_cndmask_b32_e32 v30, v55, v30, vcc
	v_cndmask_b32_e32 v32, v32, v56, vcc
	v_lshlrev_b32_e32 v54, 16, v33
	v_bfrev_b32_e32 v55, 60
	v_lshlrev_b32_e32 v32, 20, v32
	v_and_b32_e32 v54, 0x80000000, v54
	v_lshl_add_u32 v30, v30, 23, v55
	v_or3_b32 v30, v54, v30, v32
	v_lshrrev_b32_e32 v32, 16, v30
.LBB852_93:
	s_or_b64 exec, exec, s[10:11]
.LBB852_94:
	s_or_b64 exec, exec, s[8:9]
.LBB852_95:
	s_or_b64 exec, exec, s[2:3]
	s_movk_i32 s2, 0xff
	v_and_b32_sdwa v56, v33, s2 dst_sel:DWORD dst_unused:UNUSED_PAD src0_sel:WORD_1 src1_sel:DWORD
	v_lshrrev_b32_e32 v30, 16, v33
	v_cmp_ne_u16_e32 vcc, 0, v56
	v_mov_b32_e32 v54, 0
	v_mov_b32_e32 v55, 0
	s_and_saveexec_b64 s[2:3], vcc
	s_cbranch_execz .LBB852_101
; %bb.96:
	s_movk_i32 s8, 0x80
	v_cmp_ne_u16_e32 vcc, s8, v56
	v_mov_b32_e32 v55, 0xffff8000
	s_and_saveexec_b64 s[8:9], vcc
	s_cbranch_execz .LBB852_100
; %bb.97:
	v_bfe_u32 v56, v33, 16, 7
	s_movk_i32 s10, 0x7f
	v_cmp_ne_u32_e32 vcc, s10, v56
	v_mov_b32_e32 v55, 0x7f80
	s_and_saveexec_b64 s[10:11], vcc
	s_cbranch_execz .LBB852_99
; %bb.98:
	v_and_b32_e32 v55, 7, v30
	v_ffbh_u32_e32 v58, v55
	v_min_u32_e32 v60, 32, v58
	v_subrev_u32_e32 v58, 28, v60
	v_lshlrev_b64 v[58:59], v58, v[30:31]
	v_lshrrev_b32_e32 v57, 3, v56
	v_sub_u32_e32 v30, 29, v60
	v_and_b32_e32 v58, 7, v58
	v_cmp_gt_u32_e32 vcc, 8, v56
	v_mov_b32_e32 v56, 24
	v_cndmask_b32_e32 v30, v57, v30, vcc
	v_cndmask_b32_e32 v55, v55, v58, vcc
	v_lshlrev_b32_sdwa v56, v56, v33 dst_sel:DWORD dst_unused:UNUSED_PAD src0_sel:DWORD src1_sel:WORD_1
	v_bfrev_b32_e32 v57, 60
	v_lshlrev_b32_e32 v55, 20, v55
	v_and_b32_e32 v56, 0x80000000, v56
	v_lshl_add_u32 v30, v30, 23, v57
	v_or3_b32 v30, v56, v30, v55
	v_lshrrev_b32_e32 v55, 16, v30
.LBB852_99:
	s_or_b64 exec, exec, s[10:11]
.LBB852_100:
	s_or_b64 exec, exec, s[8:9]
.LBB852_101:
	s_or_b64 exec, exec, s[2:3]
	s_mov_b32 s2, 0xffffff
	v_cmp_lt_u32_e32 vcc, s2, v33
	s_and_saveexec_b64 s[2:3], vcc
	s_cbranch_execz .LBB852_107
; %bb.102:
	v_lshrrev_b32_e32 v30, 24, v33
	s_movk_i32 s8, 0x80
	v_cmp_ne_u32_e32 vcc, s8, v30
	v_mov_b32_e32 v54, 0xffff8000
	s_and_saveexec_b64 s[8:9], vcc
	s_cbranch_execz .LBB852_106
; %bb.103:
	v_bfe_u32 v33, v33, 24, 7
	s_movk_i32 s10, 0x7f
	v_cmp_ne_u32_e32 vcc, s10, v33
	v_mov_b32_e32 v54, 0x7f80
	s_and_saveexec_b64 s[10:11], vcc
	s_cbranch_execz .LBB852_105
; %bb.104:
	v_and_b32_e32 v54, 7, v30
	v_ffbh_u32_e32 v56, v54
	v_min_u32_e32 v59, 32, v56
	v_subrev_u32_e32 v56, 28, v59
	v_lshlrev_b64 v[56:57], v56, v[30:31]
	v_lshrrev_b32_e32 v58, 3, v33
	v_sub_u32_e32 v57, 29, v59
	v_and_b32_e32 v56, 7, v56
	v_cmp_gt_u32_e32 vcc, 8, v33
	v_cndmask_b32_e32 v33, v58, v57, vcc
	v_cndmask_b32_e32 v54, v54, v56, vcc
	v_lshlrev_b32_e32 v30, 24, v30
	v_bfrev_b32_e32 v56, 60
	v_lshlrev_b32_e32 v54, 20, v54
	v_and_b32_e32 v30, 0x80000000, v30
	v_lshl_add_u32 v33, v33, 23, v56
	v_or3_b32 v30, v30, v33, v54
	v_lshrrev_b32_e32 v54, 16, v30
.LBB852_105:
	s_or_b64 exec, exec, s[10:11]
.LBB852_106:
	s_or_b64 exec, exec, s[8:9]
.LBB852_107:
	s_or_b64 exec, exec, s[2:3]
	s_mov_b32 s2, 0x5040100
	v_perm_b32 v51, v51, v52, s2
	v_perm_b32 v50, v31, v50, s2
	;; [unrolled: 1-line block ×4, first 2 shown]
	v_mfma_f32_16x16x16bf16_1k v[56:59], v[50:51], v[18:19], v[42:45]
	s_nop 6
	v_mov_b32_e32 v43, 0
	s_waitcnt vmcnt(6)
	v_cmp_ne_u16_sdwa s[8:9], v38, v43 src0_sel:BYTE_0 src1_sel:DWORD
	v_mfma_f32_16x16x16bf16_1k v[30:33], v[30:31], v[20:21], v[56:59]
	v_mov_b32_e32 v44, 0
	s_and_saveexec_b64 s[2:3], s[8:9]
	s_cbranch_execz .LBB852_113
; %bb.108:
	s_movk_i32 s8, 0x80
	v_cmp_ne_u16_sdwa s[10:11], v38, s8 src0_sel:BYTE_0 src1_sel:DWORD
	v_mov_b32_e32 v44, 0xffff8000
	s_and_saveexec_b64 s[8:9], s[10:11]
	s_cbranch_execz .LBB852_112
; %bb.109:
	s_movk_i32 s10, 0x7f
	v_and_b32_e32 v42, 0x7f, v38
	v_cmp_ne_u32_e32 vcc, s10, v42
	v_mov_b32_e32 v44, 0x7f80
	s_and_saveexec_b64 s[10:11], vcc
	s_cbranch_execz .LBB852_111
; %bb.110:
	v_and_b32_e32 v50, 7, v38
	v_ffbh_u32_e32 v44, v50
	v_min_u32_e32 v52, 32, v44
	v_subrev_u32_e32 v44, 28, v52
	v_lshlrev_b64 v[44:45], v44, v[38:39]
	v_lshrrev_b32_e32 v51, 3, v42
	v_sub_u32_e32 v45, 29, v52
	v_and_b32_e32 v44, 7, v44
	v_cmp_gt_u32_e32 vcc, 8, v42
	v_cndmask_b32_e32 v42, v51, v45, vcc
	v_cndmask_b32_e32 v44, v50, v44, vcc
	v_lshlrev_b32_e32 v45, 24, v38
	v_bfrev_b32_e32 v50, 60
	v_lshlrev_b32_e32 v44, 20, v44
	v_and_b32_e32 v45, 0x80000000, v45
	v_lshl_add_u32 v42, v42, 23, v50
	v_or3_b32 v42, v45, v42, v44
	v_lshrrev_b32_e32 v44, 16, v42
.LBB852_111:
	s_or_b64 exec, exec, s[10:11]
.LBB852_112:
	s_or_b64 exec, exec, s[8:9]
.LBB852_113:
	s_or_b64 exec, exec, s[2:3]
	v_lshrrev_b16_e32 v42, 8, v38
	v_cmp_ne_u16_e32 vcc, 0, v42
	s_and_saveexec_b64 s[2:3], vcc
	s_cbranch_execz .LBB852_119
; %bb.114:
	s_movk_i32 s8, 0x80
	v_cmp_ne_u16_e32 vcc, s8, v42
	v_mov_b32_e32 v43, 0xffff8000
	s_and_saveexec_b64 s[8:9], vcc
	s_cbranch_execz .LBB852_118
; %bb.115:
	s_movk_i32 s10, 0x7f
	v_and_b32_e32 v45, 0x7f, v42
	v_cmp_ne_u32_e32 vcc, s10, v45
	v_mov_b32_e32 v43, 0x7f80
	s_and_saveexec_b64 s[10:11], vcc
	s_cbranch_execz .LBB852_117
; %bb.116:
	v_and_b32_e32 v50, 7, v42
	v_ffbh_u32_e32 v43, v50
	v_min_u32_e32 v52, 32, v43
	v_subrev_u32_e32 v43, 28, v52
	v_lshlrev_b64 v[42:43], v43, v[42:43]
	v_lshrrev_b32_e32 v51, 3, v45
	v_sub_u32_e32 v43, 29, v52
	v_and_b32_e32 v42, 7, v42
	v_cmp_gt_u32_e32 vcc, 8, v45
	v_cndmask_b32_e32 v43, v51, v43, vcc
	v_cndmask_b32_e32 v42, v50, v42, vcc
	v_lshlrev_b32_e32 v45, 16, v38
	v_bfrev_b32_e32 v50, 60
	v_lshlrev_b32_e32 v42, 20, v42
	v_and_b32_e32 v45, 0x80000000, v45
	v_lshl_add_u32 v43, v43, 23, v50
	v_or3_b32 v42, v45, v43, v42
	v_lshrrev_b32_e32 v43, 16, v42
.LBB852_117:
	s_or_b64 exec, exec, s[10:11]
.LBB852_118:
	s_or_b64 exec, exec, s[8:9]
.LBB852_119:
	s_or_b64 exec, exec, s[2:3]
	s_movk_i32 s2, 0xff
	v_and_b32_sdwa v51, v38, s2 dst_sel:DWORD dst_unused:UNUSED_PAD src0_sel:WORD_1 src1_sel:DWORD
	v_lshrrev_b32_e32 v42, 16, v38
	v_cmp_ne_u16_e32 vcc, 0, v51
	v_mov_b32_e32 v45, 0
	v_mov_b32_e32 v50, 0
	s_and_saveexec_b64 s[2:3], vcc
	s_cbranch_execz .LBB852_125
; %bb.120:
	s_movk_i32 s8, 0x80
	v_cmp_ne_u16_e32 vcc, s8, v51
	v_mov_b32_e32 v50, 0xffff8000
	s_and_saveexec_b64 s[8:9], vcc
	s_cbranch_execz .LBB852_124
; %bb.121:
	v_bfe_u32 v51, v38, 16, 7
	s_movk_i32 s10, 0x7f
	v_cmp_ne_u32_e32 vcc, s10, v51
	v_mov_b32_e32 v50, 0x7f80
	s_and_saveexec_b64 s[10:11], vcc
	s_cbranch_execz .LBB852_123
; %bb.122:
	v_and_b32_e32 v50, 7, v42
	v_ffbh_u32_e32 v52, v50
	v_min_u32_e32 v55, 32, v52
	v_subrev_u32_e32 v52, 28, v55
	v_lshlrev_b64 v[52:53], v52, v[42:43]
	v_lshrrev_b32_e32 v54, 3, v51
	v_sub_u32_e32 v42, 29, v55
	v_and_b32_e32 v52, 7, v52
	v_cmp_gt_u32_e32 vcc, 8, v51
	v_mov_b32_e32 v51, 24
	v_cndmask_b32_e32 v42, v54, v42, vcc
	v_cndmask_b32_e32 v50, v50, v52, vcc
	v_lshlrev_b32_sdwa v51, v51, v38 dst_sel:DWORD dst_unused:UNUSED_PAD src0_sel:DWORD src1_sel:WORD_1
	v_bfrev_b32_e32 v52, 60
	v_lshlrev_b32_e32 v50, 20, v50
	v_and_b32_e32 v51, 0x80000000, v51
	v_lshl_add_u32 v42, v42, 23, v52
	v_or3_b32 v42, v51, v42, v50
	v_lshrrev_b32_e32 v50, 16, v42
.LBB852_123:
	s_or_b64 exec, exec, s[10:11]
.LBB852_124:
	s_or_b64 exec, exec, s[8:9]
.LBB852_125:
	s_or_b64 exec, exec, s[2:3]
	s_mov_b32 s2, 0xffffff
	v_cmp_lt_u32_e32 vcc, s2, v38
	s_and_saveexec_b64 s[2:3], vcc
	s_cbranch_execz .LBB852_131
; %bb.126:
	v_lshrrev_b32_e32 v42, 24, v38
	s_movk_i32 s8, 0x80
	v_cmp_ne_u32_e32 vcc, s8, v42
	v_mov_b32_e32 v45, 0xffff8000
	s_and_saveexec_b64 s[8:9], vcc
	s_cbranch_execz .LBB852_130
; %bb.127:
	v_bfe_u32 v38, v38, 24, 7
	s_movk_i32 s10, 0x7f
	v_cmp_ne_u32_e32 vcc, s10, v38
	v_mov_b32_e32 v45, 0x7f80
	s_and_saveexec_b64 s[10:11], vcc
	s_cbranch_execz .LBB852_129
; %bb.128:
	v_and_b32_e32 v45, 7, v42
	v_ffbh_u32_e32 v52, v45
	v_min_u32_e32 v54, 32, v52
	v_subrev_u32_e32 v52, 28, v54
	v_lshlrev_b64 v[52:53], v52, v[42:43]
	v_lshrrev_b32_e32 v51, 3, v38
	v_sub_u32_e32 v53, 29, v54
	v_and_b32_e32 v52, 7, v52
	v_cmp_gt_u32_e32 vcc, 8, v38
	v_cndmask_b32_e32 v38, v51, v53, vcc
	v_cndmask_b32_e32 v45, v45, v52, vcc
	v_lshlrev_b32_e32 v42, 24, v42
	v_bfrev_b32_e32 v51, 60
	v_lshlrev_b32_e32 v45, 20, v45
	v_and_b32_e32 v42, 0x80000000, v42
	v_lshl_add_u32 v38, v38, 23, v51
	v_or3_b32 v38, v42, v38, v45
	v_lshrrev_b32_e32 v45, 16, v38
.LBB852_129:
	s_or_b64 exec, exec, s[10:11]
.LBB852_130:
	s_or_b64 exec, exec, s[8:9]
.LBB852_131:
	s_or_b64 exec, exec, s[2:3]
	v_mov_b32_e32 v42, 0
	v_cmp_ne_u16_sdwa s[8:9], v39, v42 src0_sel:BYTE_0 src1_sel:DWORD
	v_mov_b32_e32 v51, 0
	s_and_saveexec_b64 s[2:3], s[8:9]
	s_cbranch_execz .LBB852_137
; %bb.132:
	s_movk_i32 s8, 0x80
	v_cmp_ne_u16_sdwa s[10:11], v39, s8 src0_sel:BYTE_0 src1_sel:DWORD
	v_mov_b32_e32 v51, 0xffff8000
	s_and_saveexec_b64 s[8:9], s[10:11]
	s_cbranch_execz .LBB852_136
; %bb.133:
	s_movk_i32 s10, 0x7f
	v_and_b32_e32 v38, 0x7f, v39
	v_cmp_ne_u32_e32 vcc, s10, v38
	v_mov_b32_e32 v51, 0x7f80
	s_and_saveexec_b64 s[10:11], vcc
	s_cbranch_execz .LBB852_135
; %bb.134:
	v_and_b32_e32 v51, 7, v39
	v_ffbh_u32_e32 v53, v51
	v_min_u32_e32 v55, 32, v53
	v_mov_b32_e32 v52, v39
	v_subrev_u32_e32 v53, 28, v55
	v_lshlrev_b64 v[52:53], v53, v[52:53]
	v_lshrrev_b32_e32 v54, 3, v38
	v_sub_u32_e32 v53, 29, v55
	v_and_b32_e32 v52, 7, v52
	v_cmp_gt_u32_e32 vcc, 8, v38
	v_cndmask_b32_e32 v38, v54, v53, vcc
	v_cndmask_b32_e32 v51, v51, v52, vcc
	v_lshlrev_b32_e32 v52, 24, v39
	v_bfrev_b32_e32 v53, 60
	v_lshlrev_b32_e32 v51, 20, v51
	v_and_b32_e32 v52, 0x80000000, v52
	v_lshl_add_u32 v38, v38, 23, v53
	v_or3_b32 v38, v52, v38, v51
	v_lshrrev_b32_e32 v51, 16, v38
.LBB852_135:
	s_or_b64 exec, exec, s[10:11]
.LBB852_136:
	s_or_b64 exec, exec, s[8:9]
.LBB852_137:
	s_or_b64 exec, exec, s[2:3]
	v_lshrrev_b16_e32 v38, 8, v39
	v_cmp_ne_u16_e32 vcc, 0, v38
	s_and_saveexec_b64 s[2:3], vcc
	s_cbranch_execz .LBB852_143
; %bb.138:
	s_movk_i32 s8, 0x80
	v_cmp_ne_u16_e32 vcc, s8, v38
	v_mov_b32_e32 v42, 0xffff8000
	s_and_saveexec_b64 s[8:9], vcc
	s_cbranch_execz .LBB852_142
; %bb.139:
	s_movk_i32 s10, 0x7f
	v_and_b32_e32 v52, 0x7f, v38
	v_cmp_ne_u32_e32 vcc, s10, v52
	v_mov_b32_e32 v42, 0x7f80
	s_and_saveexec_b64 s[10:11], vcc
	s_cbranch_execz .LBB852_141
; %bb.140:
	v_and_b32_e32 v42, 7, v38
	v_ffbh_u32_e32 v54, v42
	v_min_u32_e32 v56, 32, v54
	v_subrev_u32_e32 v54, 28, v56
	v_lshlrev_b64 v[54:55], v54, v[38:39]
	v_lshrrev_b32_e32 v53, 3, v52
	v_sub_u32_e32 v38, 29, v56
	v_and_b32_e32 v54, 7, v54
	v_cmp_gt_u32_e32 vcc, 8, v52
	v_cndmask_b32_e32 v38, v53, v38, vcc
	v_cndmask_b32_e32 v42, v42, v54, vcc
	v_lshlrev_b32_e32 v52, 16, v39
	v_bfrev_b32_e32 v53, 60
	v_lshlrev_b32_e32 v42, 20, v42
	v_and_b32_e32 v52, 0x80000000, v52
	v_lshl_add_u32 v38, v38, 23, v53
	v_or3_b32 v38, v52, v38, v42
	v_lshrrev_b32_e32 v42, 16, v38
.LBB852_141:
	s_or_b64 exec, exec, s[10:11]
.LBB852_142:
	s_or_b64 exec, exec, s[8:9]
.LBB852_143:
	s_or_b64 exec, exec, s[2:3]
	s_movk_i32 s2, 0xff
	v_and_b32_sdwa v54, v39, s2 dst_sel:DWORD dst_unused:UNUSED_PAD src0_sel:WORD_1 src1_sel:DWORD
	v_lshrrev_b32_e32 v38, 16, v39
	v_cmp_ne_u16_e32 vcc, 0, v54
	v_mov_b32_e32 v52, 0
	v_mov_b32_e32 v53, 0
	s_and_saveexec_b64 s[2:3], vcc
	s_cbranch_execz .LBB852_149
; %bb.144:
	s_movk_i32 s8, 0x80
	v_cmp_ne_u16_e32 vcc, s8, v54
	v_mov_b32_e32 v53, 0xffff8000
	s_and_saveexec_b64 s[8:9], vcc
	s_cbranch_execz .LBB852_148
; %bb.145:
	v_bfe_u32 v54, v39, 16, 7
	s_movk_i32 s10, 0x7f
	v_cmp_ne_u32_e32 vcc, s10, v54
	v_mov_b32_e32 v53, 0x7f80
	s_and_saveexec_b64 s[10:11], vcc
	s_cbranch_execz .LBB852_147
; %bb.146:
	v_and_b32_e32 v53, 7, v38
	v_ffbh_u32_e32 v56, v53
	v_min_u32_e32 v58, 32, v56
	v_subrev_u32_e32 v56, 28, v58
	v_lshlrev_b64 v[56:57], v56, v[38:39]
	v_lshrrev_b32_e32 v55, 3, v54
	v_sub_u32_e32 v38, 29, v58
	v_and_b32_e32 v56, 7, v56
	v_cmp_gt_u32_e32 vcc, 8, v54
	v_mov_b32_e32 v54, 24
	v_cndmask_b32_e32 v38, v55, v38, vcc
	v_cndmask_b32_e32 v53, v53, v56, vcc
	v_lshlrev_b32_sdwa v54, v54, v39 dst_sel:DWORD dst_unused:UNUSED_PAD src0_sel:DWORD src1_sel:WORD_1
	v_bfrev_b32_e32 v55, 60
	v_lshlrev_b32_e32 v53, 20, v53
	v_and_b32_e32 v54, 0x80000000, v54
	v_lshl_add_u32 v38, v38, 23, v55
	v_or3_b32 v38, v54, v38, v53
	v_lshrrev_b32_e32 v53, 16, v38
.LBB852_147:
	s_or_b64 exec, exec, s[10:11]
.LBB852_148:
	s_or_b64 exec, exec, s[8:9]
.LBB852_149:
	s_or_b64 exec, exec, s[2:3]
	s_mov_b32 s2, 0xffffff
	v_cmp_lt_u32_e32 vcc, s2, v39
	s_and_saveexec_b64 s[2:3], vcc
	s_cbranch_execz .LBB852_155
; %bb.150:
	v_lshrrev_b32_e32 v38, 24, v39
	s_movk_i32 s8, 0x80
	v_cmp_ne_u32_e32 vcc, s8, v38
	v_mov_b32_e32 v52, 0xffff8000
	s_and_saveexec_b64 s[8:9], vcc
	s_cbranch_execz .LBB852_154
; %bb.151:
	v_bfe_u32 v39, v39, 24, 7
	s_movk_i32 s10, 0x7f
	v_cmp_ne_u32_e32 vcc, s10, v39
	v_mov_b32_e32 v52, 0x7f80
	s_and_saveexec_b64 s[10:11], vcc
	s_cbranch_execz .LBB852_153
; %bb.152:
	v_and_b32_e32 v52, 7, v38
	v_ffbh_u32_e32 v54, v52
	v_min_u32_e32 v57, 32, v54
	v_subrev_u32_e32 v54, 28, v57
	v_lshlrev_b64 v[54:55], v54, v[38:39]
	v_lshrrev_b32_e32 v56, 3, v39
	v_sub_u32_e32 v55, 29, v57
	v_and_b32_e32 v54, 7, v54
	v_cmp_gt_u32_e32 vcc, 8, v39
	v_cndmask_b32_e32 v39, v56, v55, vcc
	v_cndmask_b32_e32 v52, v52, v54, vcc
	v_lshlrev_b32_e32 v38, 24, v38
	v_bfrev_b32_e32 v54, 60
	v_lshlrev_b32_e32 v52, 20, v52
	v_and_b32_e32 v38, 0x80000000, v38
	v_lshl_add_u32 v39, v39, 23, v54
	v_or3_b32 v38, v38, v39, v52
	v_lshrrev_b32_e32 v52, 16, v38
.LBB852_153:
	s_or_b64 exec, exec, s[10:11]
.LBB852_154:
	s_or_b64 exec, exec, s[8:9]
.LBB852_155:
	s_or_b64 exec, exec, s[2:3]
	s_mov_b32 s2, 0x5040100
	v_perm_b32 v39, v45, v50, s2
	v_perm_b32 v38, v43, v44, s2
	;; [unrolled: 1-line block ×4, first 2 shown]
	v_mov_b32_e32 v50, 0
	v_mfma_f32_16x16x16bf16_1k v[54:57], v[38:39], v[26:27], 0
	v_mov_b32_e32 v39, 0
	v_cmp_ne_u16_sdwa s[8:9], v40, v39 src0_sel:BYTE_0 src1_sel:DWORD
	v_mfma_f32_16x16x16bf16_1k v[42:45], v[42:43], v[28:29], v[54:57]
	s_and_saveexec_b64 s[2:3], s[8:9]
	s_cbranch_execz .LBB852_161
; %bb.156:
	s_movk_i32 s8, 0x80
	v_cmp_ne_u16_sdwa s[10:11], v40, s8 src0_sel:BYTE_0 src1_sel:DWORD
	v_mov_b32_e32 v50, 0xffff8000
	s_and_saveexec_b64 s[8:9], s[10:11]
	s_cbranch_execz .LBB852_160
; %bb.157:
	s_movk_i32 s10, 0x7f
	v_and_b32_e32 v38, 0x7f, v40
	v_cmp_ne_u32_e32 vcc, s10, v38
	v_mov_b32_e32 v50, 0x7f80
	s_and_saveexec_b64 s[10:11], vcc
	s_cbranch_execz .LBB852_159
; %bb.158:
	v_and_b32_e32 v52, 7, v40
	v_ffbh_u32_e32 v50, v52
	v_min_u32_e32 v54, 32, v50
	v_subrev_u32_e32 v50, 28, v54
	v_lshlrev_b64 v[50:51], v50, v[40:41]
	v_lshrrev_b32_e32 v53, 3, v38
	v_sub_u32_e32 v51, 29, v54
	v_and_b32_e32 v50, 7, v50
	v_cmp_gt_u32_e32 vcc, 8, v38
	v_cndmask_b32_e32 v38, v53, v51, vcc
	v_cndmask_b32_e32 v50, v52, v50, vcc
	v_lshlrev_b32_e32 v51, 24, v40
	v_bfrev_b32_e32 v52, 60
	v_lshlrev_b32_e32 v50, 20, v50
	v_and_b32_e32 v51, 0x80000000, v51
	v_lshl_add_u32 v38, v38, 23, v52
	v_or3_b32 v38, v51, v38, v50
	v_lshrrev_b32_e32 v50, 16, v38
.LBB852_159:
	s_or_b64 exec, exec, s[10:11]
.LBB852_160:
	s_or_b64 exec, exec, s[8:9]
.LBB852_161:
	s_or_b64 exec, exec, s[2:3]
	v_lshrrev_b16_e32 v38, 8, v40
	v_cmp_ne_u16_e32 vcc, 0, v38
	s_and_saveexec_b64 s[2:3], vcc
	s_cbranch_execz .LBB852_167
; %bb.162:
	s_movk_i32 s8, 0x80
	v_cmp_ne_u16_e32 vcc, s8, v38
	v_mov_b32_e32 v39, 0xffff8000
	s_and_saveexec_b64 s[8:9], vcc
	s_cbranch_execz .LBB852_166
; %bb.163:
	s_movk_i32 s10, 0x7f
	v_and_b32_e32 v51, 0x7f, v38
	v_cmp_ne_u32_e32 vcc, s10, v51
	v_mov_b32_e32 v39, 0x7f80
	s_and_saveexec_b64 s[10:11], vcc
	s_cbranch_execz .LBB852_165
; %bb.164:
	v_and_b32_e32 v52, 7, v38
	v_ffbh_u32_e32 v39, v52
	v_min_u32_e32 v54, 32, v39
	v_subrev_u32_e32 v39, 28, v54
	v_lshlrev_b64 v[38:39], v39, v[38:39]
	v_lshrrev_b32_e32 v53, 3, v51
	v_sub_u32_e32 v39, 29, v54
	v_and_b32_e32 v38, 7, v38
	v_cmp_gt_u32_e32 vcc, 8, v51
	v_cndmask_b32_e32 v39, v53, v39, vcc
	v_cndmask_b32_e32 v38, v52, v38, vcc
	v_lshlrev_b32_e32 v51, 16, v40
	v_bfrev_b32_e32 v52, 60
	v_lshlrev_b32_e32 v38, 20, v38
	v_and_b32_e32 v51, 0x80000000, v51
	v_lshl_add_u32 v39, v39, 23, v52
	v_or3_b32 v38, v51, v39, v38
	v_lshrrev_b32_e32 v39, 16, v38
.LBB852_165:
	s_or_b64 exec, exec, s[10:11]
.LBB852_166:
	s_or_b64 exec, exec, s[8:9]
.LBB852_167:
	s_or_b64 exec, exec, s[2:3]
	s_movk_i32 s2, 0xff
	v_and_b32_sdwa v53, v40, s2 dst_sel:DWORD dst_unused:UNUSED_PAD src0_sel:WORD_1 src1_sel:DWORD
	v_lshrrev_b32_e32 v38, 16, v40
	v_cmp_ne_u16_e32 vcc, 0, v53
	v_mov_b32_e32 v51, 0
	v_mov_b32_e32 v52, 0
	s_and_saveexec_b64 s[2:3], vcc
	s_cbranch_execz .LBB852_173
; %bb.168:
	s_movk_i32 s8, 0x80
	v_cmp_ne_u16_e32 vcc, s8, v53
	v_mov_b32_e32 v52, 0xffff8000
	s_and_saveexec_b64 s[8:9], vcc
	s_cbranch_execz .LBB852_172
; %bb.169:
	v_bfe_u32 v53, v40, 16, 7
	s_movk_i32 s10, 0x7f
	v_cmp_ne_u32_e32 vcc, s10, v53
	v_mov_b32_e32 v52, 0x7f80
	s_and_saveexec_b64 s[10:11], vcc
	s_cbranch_execz .LBB852_171
; %bb.170:
	v_and_b32_e32 v52, 7, v38
	v_ffbh_u32_e32 v54, v52
	v_min_u32_e32 v57, 32, v54
	v_subrev_u32_e32 v54, 28, v57
	v_lshlrev_b64 v[54:55], v54, v[38:39]
	v_lshrrev_b32_e32 v56, 3, v53
	v_sub_u32_e32 v38, 29, v57
	v_and_b32_e32 v54, 7, v54
	v_cmp_gt_u32_e32 vcc, 8, v53
	v_mov_b32_e32 v53, 24
	v_cndmask_b32_e32 v38, v56, v38, vcc
	v_cndmask_b32_e32 v52, v52, v54, vcc
	v_lshlrev_b32_sdwa v53, v53, v40 dst_sel:DWORD dst_unused:UNUSED_PAD src0_sel:DWORD src1_sel:WORD_1
	v_bfrev_b32_e32 v54, 60
	v_lshlrev_b32_e32 v52, 20, v52
	v_and_b32_e32 v53, 0x80000000, v53
	v_lshl_add_u32 v38, v38, 23, v54
	v_or3_b32 v38, v53, v38, v52
	v_lshrrev_b32_e32 v52, 16, v38
.LBB852_171:
	s_or_b64 exec, exec, s[10:11]
.LBB852_172:
	s_or_b64 exec, exec, s[8:9]
.LBB852_173:
	s_or_b64 exec, exec, s[2:3]
	s_mov_b32 s2, 0xffffff
	v_cmp_lt_u32_e32 vcc, s2, v40
	s_and_saveexec_b64 s[2:3], vcc
	s_cbranch_execz .LBB852_179
; %bb.174:
	v_lshrrev_b32_e32 v38, 24, v40
	s_movk_i32 s8, 0x80
	v_cmp_ne_u32_e32 vcc, s8, v38
	v_mov_b32_e32 v51, 0xffff8000
	s_and_saveexec_b64 s[8:9], vcc
	s_cbranch_execz .LBB852_178
; %bb.175:
	v_bfe_u32 v40, v40, 24, 7
	s_movk_i32 s10, 0x7f
	v_cmp_ne_u32_e32 vcc, s10, v40
	v_mov_b32_e32 v51, 0x7f80
	s_and_saveexec_b64 s[10:11], vcc
	s_cbranch_execz .LBB852_177
; %bb.176:
	v_and_b32_e32 v51, 7, v38
	v_ffbh_u32_e32 v54, v51
	v_min_u32_e32 v56, 32, v54
	v_subrev_u32_e32 v54, 28, v56
	v_lshlrev_b64 v[54:55], v54, v[38:39]
	v_lshrrev_b32_e32 v53, 3, v40
	v_sub_u32_e32 v55, 29, v56
	v_and_b32_e32 v54, 7, v54
	v_cmp_gt_u32_e32 vcc, 8, v40
	v_cndmask_b32_e32 v40, v53, v55, vcc
	v_cndmask_b32_e32 v51, v51, v54, vcc
	v_lshlrev_b32_e32 v38, 24, v38
	v_bfrev_b32_e32 v53, 60
	v_lshlrev_b32_e32 v51, 20, v51
	v_and_b32_e32 v38, 0x80000000, v38
	v_lshl_add_u32 v40, v40, 23, v53
	v_or3_b32 v38, v38, v40, v51
	v_lshrrev_b32_e32 v51, 16, v38
.LBB852_177:
	s_or_b64 exec, exec, s[10:11]
.LBB852_178:
	s_or_b64 exec, exec, s[8:9]
.LBB852_179:
	s_or_b64 exec, exec, s[2:3]
	v_mov_b32_e32 v40, 0
	v_cmp_ne_u16_sdwa s[8:9], v41, v40 src0_sel:BYTE_0 src1_sel:DWORD
	v_mov_b32_e32 v53, 0
	s_and_saveexec_b64 s[2:3], s[8:9]
	s_cbranch_execz .LBB852_185
; %bb.180:
	s_movk_i32 s8, 0x80
	v_cmp_ne_u16_sdwa s[10:11], v41, s8 src0_sel:BYTE_0 src1_sel:DWORD
	v_mov_b32_e32 v53, 0xffff8000
	s_and_saveexec_b64 s[8:9], s[10:11]
	s_cbranch_execz .LBB852_184
; %bb.181:
	s_movk_i32 s10, 0x7f
	v_and_b32_e32 v38, 0x7f, v41
	v_cmp_ne_u32_e32 vcc, s10, v38
	v_mov_b32_e32 v53, 0x7f80
	s_and_saveexec_b64 s[10:11], vcc
	s_cbranch_execz .LBB852_183
; %bb.182:
	v_and_b32_e32 v53, 7, v41
	v_ffbh_u32_e32 v55, v53
	v_min_u32_e32 v57, 32, v55
	v_mov_b32_e32 v54, v41
	v_subrev_u32_e32 v55, 28, v57
	v_lshlrev_b64 v[54:55], v55, v[54:55]
	v_lshrrev_b32_e32 v56, 3, v38
	v_sub_u32_e32 v55, 29, v57
	v_and_b32_e32 v54, 7, v54
	v_cmp_gt_u32_e32 vcc, 8, v38
	v_cndmask_b32_e32 v38, v56, v55, vcc
	v_cndmask_b32_e32 v53, v53, v54, vcc
	v_lshlrev_b32_e32 v54, 24, v41
	v_bfrev_b32_e32 v55, 60
	v_lshlrev_b32_e32 v53, 20, v53
	v_and_b32_e32 v54, 0x80000000, v54
	v_lshl_add_u32 v38, v38, 23, v55
	v_or3_b32 v38, v54, v38, v53
	v_lshrrev_b32_e32 v53, 16, v38
.LBB852_183:
	s_or_b64 exec, exec, s[10:11]
.LBB852_184:
	s_or_b64 exec, exec, s[8:9]
.LBB852_185:
	s_or_b64 exec, exec, s[2:3]
	v_lshrrev_b16_e32 v38, 8, v41
	v_cmp_ne_u16_e32 vcc, 0, v38
	s_and_saveexec_b64 s[2:3], vcc
	s_cbranch_execz .LBB852_191
; %bb.186:
	s_movk_i32 s8, 0x80
	v_cmp_ne_u16_e32 vcc, s8, v38
	v_mov_b32_e32 v40, 0xffff8000
	s_and_saveexec_b64 s[8:9], vcc
	s_cbranch_execz .LBB852_190
; %bb.187:
	s_movk_i32 s10, 0x7f
	v_and_b32_e32 v54, 0x7f, v38
	v_cmp_ne_u32_e32 vcc, s10, v54
	v_mov_b32_e32 v40, 0x7f80
	s_and_saveexec_b64 s[10:11], vcc
	s_cbranch_execz .LBB852_189
; %bb.188:
	v_and_b32_e32 v40, 7, v38
	v_ffbh_u32_e32 v56, v40
	v_min_u32_e32 v58, 32, v56
	v_subrev_u32_e32 v56, 28, v58
	v_lshlrev_b64 v[56:57], v56, v[38:39]
	v_lshrrev_b32_e32 v55, 3, v54
	v_sub_u32_e32 v38, 29, v58
	v_and_b32_e32 v56, 7, v56
	v_cmp_gt_u32_e32 vcc, 8, v54
	v_cndmask_b32_e32 v38, v55, v38, vcc
	v_cndmask_b32_e32 v40, v40, v56, vcc
	v_lshlrev_b32_e32 v54, 16, v41
	v_bfrev_b32_e32 v55, 60
	v_lshlrev_b32_e32 v40, 20, v40
	v_and_b32_e32 v54, 0x80000000, v54
	v_lshl_add_u32 v38, v38, 23, v55
	v_or3_b32 v38, v54, v38, v40
	v_lshrrev_b32_e32 v40, 16, v38
.LBB852_189:
	s_or_b64 exec, exec, s[10:11]
.LBB852_190:
	s_or_b64 exec, exec, s[8:9]
.LBB852_191:
	s_or_b64 exec, exec, s[2:3]
	s_movk_i32 s2, 0xff
	v_and_b32_sdwa v56, v41, s2 dst_sel:DWORD dst_unused:UNUSED_PAD src0_sel:WORD_1 src1_sel:DWORD
	v_lshrrev_b32_e32 v38, 16, v41
	v_cmp_ne_u16_e32 vcc, 0, v56
	v_mov_b32_e32 v54, 0
	v_mov_b32_e32 v55, 0
	s_and_saveexec_b64 s[2:3], vcc
	s_cbranch_execz .LBB852_197
; %bb.192:
	s_movk_i32 s8, 0x80
	v_cmp_ne_u16_e32 vcc, s8, v56
	v_mov_b32_e32 v55, 0xffff8000
	s_and_saveexec_b64 s[8:9], vcc
	s_cbranch_execz .LBB852_196
; %bb.193:
	v_bfe_u32 v56, v41, 16, 7
	s_movk_i32 s10, 0x7f
	v_cmp_ne_u32_e32 vcc, s10, v56
	v_mov_b32_e32 v55, 0x7f80
	s_and_saveexec_b64 s[10:11], vcc
	s_cbranch_execz .LBB852_195
; %bb.194:
	v_and_b32_e32 v55, 7, v38
	v_ffbh_u32_e32 v58, v55
	v_min_u32_e32 v60, 32, v58
	v_subrev_u32_e32 v58, 28, v60
	v_lshlrev_b64 v[58:59], v58, v[38:39]
	v_lshrrev_b32_e32 v57, 3, v56
	v_sub_u32_e32 v38, 29, v60
	v_and_b32_e32 v58, 7, v58
	v_cmp_gt_u32_e32 vcc, 8, v56
	v_mov_b32_e32 v56, 24
	v_cndmask_b32_e32 v38, v57, v38, vcc
	v_cndmask_b32_e32 v55, v55, v58, vcc
	v_lshlrev_b32_sdwa v56, v56, v41 dst_sel:DWORD dst_unused:UNUSED_PAD src0_sel:DWORD src1_sel:WORD_1
	v_bfrev_b32_e32 v57, 60
	v_lshlrev_b32_e32 v55, 20, v55
	v_and_b32_e32 v56, 0x80000000, v56
	v_lshl_add_u32 v38, v38, 23, v57
	v_or3_b32 v38, v56, v38, v55
	v_lshrrev_b32_e32 v55, 16, v38
.LBB852_195:
	s_or_b64 exec, exec, s[10:11]
.LBB852_196:
	s_or_b64 exec, exec, s[8:9]
.LBB852_197:
	s_or_b64 exec, exec, s[2:3]
	s_mov_b32 s2, 0xffffff
	v_cmp_lt_u32_e32 vcc, s2, v41
	s_and_saveexec_b64 s[2:3], vcc
	s_cbranch_execz .LBB852_203
; %bb.198:
	v_lshrrev_b32_e32 v38, 24, v41
	s_movk_i32 s8, 0x80
	v_cmp_ne_u32_e32 vcc, s8, v38
	v_mov_b32_e32 v54, 0xffff8000
	s_and_saveexec_b64 s[8:9], vcc
	s_cbranch_execz .LBB852_202
; %bb.199:
	v_bfe_u32 v41, v41, 24, 7
	s_movk_i32 s10, 0x7f
	v_cmp_ne_u32_e32 vcc, s10, v41
	v_mov_b32_e32 v54, 0x7f80
	s_and_saveexec_b64 s[10:11], vcc
	s_cbranch_execz .LBB852_201
; %bb.200:
	v_and_b32_e32 v54, 7, v38
	v_ffbh_u32_e32 v56, v54
	v_min_u32_e32 v59, 32, v56
	v_subrev_u32_e32 v56, 28, v59
	v_lshlrev_b64 v[56:57], v56, v[38:39]
	v_lshrrev_b32_e32 v58, 3, v41
	v_sub_u32_e32 v57, 29, v59
	v_and_b32_e32 v56, 7, v56
	v_cmp_gt_u32_e32 vcc, 8, v41
	v_cndmask_b32_e32 v41, v58, v57, vcc
	v_cndmask_b32_e32 v54, v54, v56, vcc
	v_lshlrev_b32_e32 v38, 24, v38
	v_bfrev_b32_e32 v56, 60
	v_lshlrev_b32_e32 v54, 20, v54
	v_and_b32_e32 v38, 0x80000000, v38
	v_lshl_add_u32 v41, v41, 23, v56
	v_or3_b32 v38, v38, v41, v54
	v_lshrrev_b32_e32 v54, 16, v38
.LBB852_201:
	s_or_b64 exec, exec, s[10:11]
.LBB852_202:
	s_or_b64 exec, exec, s[8:9]
.LBB852_203:
	s_or_b64 exec, exec, s[2:3]
	s_mov_b32 s2, 0x5040100
	v_perm_b32 v51, v51, v52, s2
	v_perm_b32 v50, v39, v50, s2
	;; [unrolled: 1-line block ×4, first 2 shown]
	v_mfma_f32_16x16x16bf16_1k v[56:59], v[50:51], v[18:19], v[42:45]
	s_nop 6
	v_mov_b32_e32 v43, 0
	s_waitcnt vmcnt(5)
	v_cmp_ne_u16_sdwa s[8:9], v34, v43 src0_sel:BYTE_0 src1_sel:DWORD
	v_mfma_f32_16x16x16bf16_1k v[38:41], v[38:39], v[20:21], v[56:59]
	v_mov_b32_e32 v44, 0
	s_and_saveexec_b64 s[2:3], s[8:9]
	s_cbranch_execz .LBB852_209
; %bb.204:
	s_movk_i32 s8, 0x80
	v_cmp_ne_u16_sdwa s[10:11], v34, s8 src0_sel:BYTE_0 src1_sel:DWORD
	v_mov_b32_e32 v44, 0xffff8000
	s_and_saveexec_b64 s[8:9], s[10:11]
	s_cbranch_execz .LBB852_208
; %bb.205:
	s_movk_i32 s10, 0x7f
	v_and_b32_e32 v42, 0x7f, v34
	v_cmp_ne_u32_e32 vcc, s10, v42
	v_mov_b32_e32 v44, 0x7f80
	s_and_saveexec_b64 s[10:11], vcc
	s_cbranch_execz .LBB852_207
; %bb.206:
	v_and_b32_e32 v50, 7, v34
	v_ffbh_u32_e32 v44, v50
	v_min_u32_e32 v52, 32, v44
	v_subrev_u32_e32 v44, 28, v52
	v_lshlrev_b64 v[44:45], v44, v[34:35]
	v_lshrrev_b32_e32 v51, 3, v42
	v_sub_u32_e32 v45, 29, v52
	v_and_b32_e32 v44, 7, v44
	v_cmp_gt_u32_e32 vcc, 8, v42
	v_cndmask_b32_e32 v42, v51, v45, vcc
	v_cndmask_b32_e32 v44, v50, v44, vcc
	v_lshlrev_b32_e32 v45, 24, v34
	v_bfrev_b32_e32 v50, 60
	v_lshlrev_b32_e32 v44, 20, v44
	v_and_b32_e32 v45, 0x80000000, v45
	v_lshl_add_u32 v42, v42, 23, v50
	v_or3_b32 v42, v45, v42, v44
	v_lshrrev_b32_e32 v44, 16, v42
.LBB852_207:
	s_or_b64 exec, exec, s[10:11]
.LBB852_208:
	s_or_b64 exec, exec, s[8:9]
.LBB852_209:
	s_or_b64 exec, exec, s[2:3]
	v_lshrrev_b16_e32 v42, 8, v34
	v_cmp_ne_u16_e32 vcc, 0, v42
	s_and_saveexec_b64 s[2:3], vcc
	s_cbranch_execz .LBB852_215
; %bb.210:
	s_movk_i32 s8, 0x80
	v_cmp_ne_u16_e32 vcc, s8, v42
	v_mov_b32_e32 v43, 0xffff8000
	s_and_saveexec_b64 s[8:9], vcc
	s_cbranch_execz .LBB852_214
; %bb.211:
	s_movk_i32 s10, 0x7f
	v_and_b32_e32 v45, 0x7f, v42
	v_cmp_ne_u32_e32 vcc, s10, v45
	v_mov_b32_e32 v43, 0x7f80
	s_and_saveexec_b64 s[10:11], vcc
	s_cbranch_execz .LBB852_213
; %bb.212:
	v_and_b32_e32 v50, 7, v42
	v_ffbh_u32_e32 v43, v50
	v_min_u32_e32 v52, 32, v43
	v_subrev_u32_e32 v43, 28, v52
	v_lshlrev_b64 v[42:43], v43, v[42:43]
	v_lshrrev_b32_e32 v51, 3, v45
	v_sub_u32_e32 v43, 29, v52
	v_and_b32_e32 v42, 7, v42
	v_cmp_gt_u32_e32 vcc, 8, v45
	v_cndmask_b32_e32 v43, v51, v43, vcc
	v_cndmask_b32_e32 v42, v50, v42, vcc
	v_lshlrev_b32_e32 v45, 16, v34
	v_bfrev_b32_e32 v50, 60
	v_lshlrev_b32_e32 v42, 20, v42
	v_and_b32_e32 v45, 0x80000000, v45
	v_lshl_add_u32 v43, v43, 23, v50
	v_or3_b32 v42, v45, v43, v42
	v_lshrrev_b32_e32 v43, 16, v42
.LBB852_213:
	s_or_b64 exec, exec, s[10:11]
.LBB852_214:
	s_or_b64 exec, exec, s[8:9]
.LBB852_215:
	s_or_b64 exec, exec, s[2:3]
	s_movk_i32 s2, 0xff
	v_and_b32_sdwa v51, v34, s2 dst_sel:DWORD dst_unused:UNUSED_PAD src0_sel:WORD_1 src1_sel:DWORD
	v_lshrrev_b32_e32 v42, 16, v34
	v_cmp_ne_u16_e32 vcc, 0, v51
	v_mov_b32_e32 v45, 0
	v_mov_b32_e32 v50, 0
	s_and_saveexec_b64 s[2:3], vcc
	s_cbranch_execz .LBB852_221
; %bb.216:
	s_movk_i32 s8, 0x80
	v_cmp_ne_u16_e32 vcc, s8, v51
	v_mov_b32_e32 v50, 0xffff8000
	s_and_saveexec_b64 s[8:9], vcc
	s_cbranch_execz .LBB852_220
; %bb.217:
	v_bfe_u32 v51, v34, 16, 7
	s_movk_i32 s10, 0x7f
	v_cmp_ne_u32_e32 vcc, s10, v51
	v_mov_b32_e32 v50, 0x7f80
	s_and_saveexec_b64 s[10:11], vcc
	s_cbranch_execz .LBB852_219
; %bb.218:
	v_and_b32_e32 v50, 7, v42
	v_ffbh_u32_e32 v52, v50
	v_min_u32_e32 v55, 32, v52
	v_subrev_u32_e32 v52, 28, v55
	v_lshlrev_b64 v[52:53], v52, v[42:43]
	v_lshrrev_b32_e32 v54, 3, v51
	v_sub_u32_e32 v42, 29, v55
	v_and_b32_e32 v52, 7, v52
	v_cmp_gt_u32_e32 vcc, 8, v51
	v_mov_b32_e32 v51, 24
	v_cndmask_b32_e32 v42, v54, v42, vcc
	v_cndmask_b32_e32 v50, v50, v52, vcc
	v_lshlrev_b32_sdwa v51, v51, v34 dst_sel:DWORD dst_unused:UNUSED_PAD src0_sel:DWORD src1_sel:WORD_1
	v_bfrev_b32_e32 v52, 60
	v_lshlrev_b32_e32 v50, 20, v50
	v_and_b32_e32 v51, 0x80000000, v51
	v_lshl_add_u32 v42, v42, 23, v52
	v_or3_b32 v42, v51, v42, v50
	v_lshrrev_b32_e32 v50, 16, v42
.LBB852_219:
	s_or_b64 exec, exec, s[10:11]
.LBB852_220:
	s_or_b64 exec, exec, s[8:9]
.LBB852_221:
	s_or_b64 exec, exec, s[2:3]
	s_mov_b32 s2, 0xffffff
	v_cmp_lt_u32_e32 vcc, s2, v34
	s_and_saveexec_b64 s[2:3], vcc
	s_cbranch_execz .LBB852_227
; %bb.222:
	v_lshrrev_b32_e32 v42, 24, v34
	s_movk_i32 s8, 0x80
	v_cmp_ne_u32_e32 vcc, s8, v42
	v_mov_b32_e32 v45, 0xffff8000
	s_and_saveexec_b64 s[8:9], vcc
	s_cbranch_execz .LBB852_226
; %bb.223:
	v_bfe_u32 v34, v34, 24, 7
	s_movk_i32 s10, 0x7f
	v_cmp_ne_u32_e32 vcc, s10, v34
	v_mov_b32_e32 v45, 0x7f80
	s_and_saveexec_b64 s[10:11], vcc
	s_cbranch_execz .LBB852_225
; %bb.224:
	v_and_b32_e32 v45, 7, v42
	v_ffbh_u32_e32 v52, v45
	v_min_u32_e32 v54, 32, v52
	v_subrev_u32_e32 v52, 28, v54
	v_lshlrev_b64 v[52:53], v52, v[42:43]
	v_lshrrev_b32_e32 v51, 3, v34
	v_sub_u32_e32 v53, 29, v54
	v_and_b32_e32 v52, 7, v52
	v_cmp_gt_u32_e32 vcc, 8, v34
	v_cndmask_b32_e32 v34, v51, v53, vcc
	v_cndmask_b32_e32 v45, v45, v52, vcc
	v_lshlrev_b32_e32 v42, 24, v42
	v_bfrev_b32_e32 v51, 60
	v_lshlrev_b32_e32 v45, 20, v45
	v_and_b32_e32 v42, 0x80000000, v42
	v_lshl_add_u32 v34, v34, 23, v51
	v_or3_b32 v34, v42, v34, v45
	v_lshrrev_b32_e32 v45, 16, v34
.LBB852_225:
	s_or_b64 exec, exec, s[10:11]
.LBB852_226:
	s_or_b64 exec, exec, s[8:9]
.LBB852_227:
	s_or_b64 exec, exec, s[2:3]
	v_mov_b32_e32 v42, 0
	v_cmp_ne_u16_sdwa s[8:9], v35, v42 src0_sel:BYTE_0 src1_sel:DWORD
	v_mov_b32_e32 v51, 0
	s_and_saveexec_b64 s[2:3], s[8:9]
	s_cbranch_execz .LBB852_233
; %bb.228:
	s_movk_i32 s8, 0x80
	v_cmp_ne_u16_sdwa s[10:11], v35, s8 src0_sel:BYTE_0 src1_sel:DWORD
	v_mov_b32_e32 v51, 0xffff8000
	s_and_saveexec_b64 s[8:9], s[10:11]
	s_cbranch_execz .LBB852_232
; %bb.229:
	s_movk_i32 s10, 0x7f
	v_and_b32_e32 v34, 0x7f, v35
	v_cmp_ne_u32_e32 vcc, s10, v34
	v_mov_b32_e32 v51, 0x7f80
	s_and_saveexec_b64 s[10:11], vcc
	s_cbranch_execz .LBB852_231
; %bb.230:
	v_and_b32_e32 v51, 7, v35
	v_ffbh_u32_e32 v53, v51
	v_min_u32_e32 v55, 32, v53
	v_mov_b32_e32 v52, v35
	v_subrev_u32_e32 v53, 28, v55
	v_lshlrev_b64 v[52:53], v53, v[52:53]
	v_lshrrev_b32_e32 v54, 3, v34
	v_sub_u32_e32 v53, 29, v55
	v_and_b32_e32 v52, 7, v52
	v_cmp_gt_u32_e32 vcc, 8, v34
	v_cndmask_b32_e32 v34, v54, v53, vcc
	v_cndmask_b32_e32 v51, v51, v52, vcc
	v_lshlrev_b32_e32 v52, 24, v35
	v_bfrev_b32_e32 v53, 60
	v_lshlrev_b32_e32 v51, 20, v51
	v_and_b32_e32 v52, 0x80000000, v52
	v_lshl_add_u32 v34, v34, 23, v53
	v_or3_b32 v34, v52, v34, v51
	v_lshrrev_b32_e32 v51, 16, v34
.LBB852_231:
	s_or_b64 exec, exec, s[10:11]
.LBB852_232:
	s_or_b64 exec, exec, s[8:9]
.LBB852_233:
	s_or_b64 exec, exec, s[2:3]
	v_lshrrev_b16_e32 v34, 8, v35
	v_cmp_ne_u16_e32 vcc, 0, v34
	s_and_saveexec_b64 s[2:3], vcc
	s_cbranch_execz .LBB852_239
; %bb.234:
	s_movk_i32 s8, 0x80
	v_cmp_ne_u16_e32 vcc, s8, v34
	v_mov_b32_e32 v42, 0xffff8000
	s_and_saveexec_b64 s[8:9], vcc
	s_cbranch_execz .LBB852_238
; %bb.235:
	s_movk_i32 s10, 0x7f
	v_and_b32_e32 v52, 0x7f, v34
	v_cmp_ne_u32_e32 vcc, s10, v52
	v_mov_b32_e32 v42, 0x7f80
	s_and_saveexec_b64 s[10:11], vcc
	s_cbranch_execz .LBB852_237
; %bb.236:
	v_and_b32_e32 v42, 7, v34
	v_ffbh_u32_e32 v54, v42
	v_min_u32_e32 v56, 32, v54
	v_subrev_u32_e32 v54, 28, v56
	v_lshlrev_b64 v[54:55], v54, v[34:35]
	v_lshrrev_b32_e32 v53, 3, v52
	v_sub_u32_e32 v34, 29, v56
	v_and_b32_e32 v54, 7, v54
	v_cmp_gt_u32_e32 vcc, 8, v52
	v_cndmask_b32_e32 v34, v53, v34, vcc
	v_cndmask_b32_e32 v42, v42, v54, vcc
	v_lshlrev_b32_e32 v52, 16, v35
	v_bfrev_b32_e32 v53, 60
	v_lshlrev_b32_e32 v42, 20, v42
	v_and_b32_e32 v52, 0x80000000, v52
	v_lshl_add_u32 v34, v34, 23, v53
	v_or3_b32 v34, v52, v34, v42
	v_lshrrev_b32_e32 v42, 16, v34
.LBB852_237:
	s_or_b64 exec, exec, s[10:11]
.LBB852_238:
	s_or_b64 exec, exec, s[8:9]
.LBB852_239:
	s_or_b64 exec, exec, s[2:3]
	s_movk_i32 s2, 0xff
	v_and_b32_sdwa v54, v35, s2 dst_sel:DWORD dst_unused:UNUSED_PAD src0_sel:WORD_1 src1_sel:DWORD
	v_lshrrev_b32_e32 v34, 16, v35
	v_cmp_ne_u16_e32 vcc, 0, v54
	v_mov_b32_e32 v52, 0
	v_mov_b32_e32 v53, 0
	s_and_saveexec_b64 s[2:3], vcc
	s_cbranch_execz .LBB852_245
; %bb.240:
	s_movk_i32 s8, 0x80
	v_cmp_ne_u16_e32 vcc, s8, v54
	v_mov_b32_e32 v53, 0xffff8000
	s_and_saveexec_b64 s[8:9], vcc
	s_cbranch_execz .LBB852_244
; %bb.241:
	v_bfe_u32 v54, v35, 16, 7
	s_movk_i32 s10, 0x7f
	v_cmp_ne_u32_e32 vcc, s10, v54
	v_mov_b32_e32 v53, 0x7f80
	s_and_saveexec_b64 s[10:11], vcc
	s_cbranch_execz .LBB852_243
; %bb.242:
	v_and_b32_e32 v53, 7, v34
	v_ffbh_u32_e32 v56, v53
	v_min_u32_e32 v58, 32, v56
	v_subrev_u32_e32 v56, 28, v58
	v_lshlrev_b64 v[56:57], v56, v[34:35]
	v_lshrrev_b32_e32 v55, 3, v54
	v_sub_u32_e32 v34, 29, v58
	v_and_b32_e32 v56, 7, v56
	v_cmp_gt_u32_e32 vcc, 8, v54
	v_mov_b32_e32 v54, 24
	v_cndmask_b32_e32 v34, v55, v34, vcc
	v_cndmask_b32_e32 v53, v53, v56, vcc
	v_lshlrev_b32_sdwa v54, v54, v35 dst_sel:DWORD dst_unused:UNUSED_PAD src0_sel:DWORD src1_sel:WORD_1
	v_bfrev_b32_e32 v55, 60
	v_lshlrev_b32_e32 v53, 20, v53
	v_and_b32_e32 v54, 0x80000000, v54
	v_lshl_add_u32 v34, v34, 23, v55
	v_or3_b32 v34, v54, v34, v53
	v_lshrrev_b32_e32 v53, 16, v34
.LBB852_243:
	s_or_b64 exec, exec, s[10:11]
.LBB852_244:
	s_or_b64 exec, exec, s[8:9]
.LBB852_245:
	s_or_b64 exec, exec, s[2:3]
	s_mov_b32 s2, 0xffffff
	v_cmp_lt_u32_e32 vcc, s2, v35
	s_and_saveexec_b64 s[2:3], vcc
	s_cbranch_execz .LBB852_251
; %bb.246:
	v_lshrrev_b32_e32 v34, 24, v35
	s_movk_i32 s8, 0x80
	v_cmp_ne_u32_e32 vcc, s8, v34
	v_mov_b32_e32 v52, 0xffff8000
	s_and_saveexec_b64 s[8:9], vcc
	s_cbranch_execz .LBB852_250
; %bb.247:
	v_bfe_u32 v35, v35, 24, 7
	s_movk_i32 s10, 0x7f
	v_cmp_ne_u32_e32 vcc, s10, v35
	v_mov_b32_e32 v52, 0x7f80
	s_and_saveexec_b64 s[10:11], vcc
	s_cbranch_execz .LBB852_249
; %bb.248:
	v_and_b32_e32 v52, 7, v34
	v_ffbh_u32_e32 v54, v52
	v_min_u32_e32 v57, 32, v54
	v_subrev_u32_e32 v54, 28, v57
	v_lshlrev_b64 v[54:55], v54, v[34:35]
	v_lshrrev_b32_e32 v56, 3, v35
	v_sub_u32_e32 v55, 29, v57
	v_and_b32_e32 v54, 7, v54
	v_cmp_gt_u32_e32 vcc, 8, v35
	v_cndmask_b32_e32 v35, v56, v55, vcc
	v_cndmask_b32_e32 v52, v52, v54, vcc
	v_lshlrev_b32_e32 v34, 24, v34
	v_bfrev_b32_e32 v54, 60
	v_lshlrev_b32_e32 v52, 20, v52
	v_and_b32_e32 v34, 0x80000000, v34
	v_lshl_add_u32 v35, v35, 23, v54
	v_or3_b32 v34, v34, v35, v52
	v_lshrrev_b32_e32 v52, 16, v34
.LBB852_249:
	s_or_b64 exec, exec, s[10:11]
.LBB852_250:
	s_or_b64 exec, exec, s[8:9]
.LBB852_251:
	s_or_b64 exec, exec, s[2:3]
	s_mov_b32 s2, 0x5040100
	v_perm_b32 v35, v45, v50, s2
	v_perm_b32 v34, v43, v44, s2
	;; [unrolled: 1-line block ×4, first 2 shown]
	v_mov_b32_e32 v50, 0
	v_mfma_f32_16x16x16bf16_1k v[54:57], v[34:35], v[26:27], 0
	v_mov_b32_e32 v35, 0
	v_cmp_ne_u16_sdwa s[8:9], v36, v35 src0_sel:BYTE_0 src1_sel:DWORD
	v_mfma_f32_16x16x16bf16_1k v[42:45], v[42:43], v[28:29], v[54:57]
	s_and_saveexec_b64 s[2:3], s[8:9]
	s_cbranch_execz .LBB852_257
; %bb.252:
	s_movk_i32 s8, 0x80
	v_cmp_ne_u16_sdwa s[10:11], v36, s8 src0_sel:BYTE_0 src1_sel:DWORD
	v_mov_b32_e32 v50, 0xffff8000
	s_and_saveexec_b64 s[8:9], s[10:11]
	s_cbranch_execz .LBB852_256
; %bb.253:
	s_movk_i32 s10, 0x7f
	v_and_b32_e32 v34, 0x7f, v36
	v_cmp_ne_u32_e32 vcc, s10, v34
	v_mov_b32_e32 v50, 0x7f80
	s_and_saveexec_b64 s[10:11], vcc
	s_cbranch_execz .LBB852_255
; %bb.254:
	v_and_b32_e32 v52, 7, v36
	v_ffbh_u32_e32 v50, v52
	v_min_u32_e32 v54, 32, v50
	v_subrev_u32_e32 v50, 28, v54
	v_lshlrev_b64 v[50:51], v50, v[36:37]
	v_lshrrev_b32_e32 v53, 3, v34
	v_sub_u32_e32 v51, 29, v54
	v_and_b32_e32 v50, 7, v50
	v_cmp_gt_u32_e32 vcc, 8, v34
	v_cndmask_b32_e32 v34, v53, v51, vcc
	v_cndmask_b32_e32 v50, v52, v50, vcc
	v_lshlrev_b32_e32 v51, 24, v36
	v_bfrev_b32_e32 v52, 60
	v_lshlrev_b32_e32 v50, 20, v50
	v_and_b32_e32 v51, 0x80000000, v51
	v_lshl_add_u32 v34, v34, 23, v52
	v_or3_b32 v34, v51, v34, v50
	v_lshrrev_b32_e32 v50, 16, v34
.LBB852_255:
	s_or_b64 exec, exec, s[10:11]
.LBB852_256:
	s_or_b64 exec, exec, s[8:9]
.LBB852_257:
	s_or_b64 exec, exec, s[2:3]
	v_lshrrev_b16_e32 v34, 8, v36
	v_cmp_ne_u16_e32 vcc, 0, v34
	s_and_saveexec_b64 s[2:3], vcc
	s_cbranch_execz .LBB852_263
; %bb.258:
	s_movk_i32 s8, 0x80
	v_cmp_ne_u16_e32 vcc, s8, v34
	v_mov_b32_e32 v35, 0xffff8000
	s_and_saveexec_b64 s[8:9], vcc
	s_cbranch_execz .LBB852_262
; %bb.259:
	s_movk_i32 s10, 0x7f
	v_and_b32_e32 v51, 0x7f, v34
	v_cmp_ne_u32_e32 vcc, s10, v51
	v_mov_b32_e32 v35, 0x7f80
	s_and_saveexec_b64 s[10:11], vcc
	s_cbranch_execz .LBB852_261
; %bb.260:
	v_and_b32_e32 v52, 7, v34
	v_ffbh_u32_e32 v35, v52
	v_min_u32_e32 v54, 32, v35
	v_subrev_u32_e32 v35, 28, v54
	v_lshlrev_b64 v[34:35], v35, v[34:35]
	v_lshrrev_b32_e32 v53, 3, v51
	v_sub_u32_e32 v35, 29, v54
	v_and_b32_e32 v34, 7, v34
	v_cmp_gt_u32_e32 vcc, 8, v51
	v_cndmask_b32_e32 v35, v53, v35, vcc
	v_cndmask_b32_e32 v34, v52, v34, vcc
	v_lshlrev_b32_e32 v51, 16, v36
	v_bfrev_b32_e32 v52, 60
	v_lshlrev_b32_e32 v34, 20, v34
	v_and_b32_e32 v51, 0x80000000, v51
	v_lshl_add_u32 v35, v35, 23, v52
	v_or3_b32 v34, v51, v35, v34
	v_lshrrev_b32_e32 v35, 16, v34
.LBB852_261:
	s_or_b64 exec, exec, s[10:11]
.LBB852_262:
	s_or_b64 exec, exec, s[8:9]
.LBB852_263:
	s_or_b64 exec, exec, s[2:3]
	s_movk_i32 s2, 0xff
	v_and_b32_sdwa v53, v36, s2 dst_sel:DWORD dst_unused:UNUSED_PAD src0_sel:WORD_1 src1_sel:DWORD
	v_lshrrev_b32_e32 v34, 16, v36
	v_cmp_ne_u16_e32 vcc, 0, v53
	v_mov_b32_e32 v51, 0
	v_mov_b32_e32 v52, 0
	s_and_saveexec_b64 s[2:3], vcc
	s_cbranch_execz .LBB852_269
; %bb.264:
	s_movk_i32 s8, 0x80
	v_cmp_ne_u16_e32 vcc, s8, v53
	v_mov_b32_e32 v52, 0xffff8000
	s_and_saveexec_b64 s[8:9], vcc
	s_cbranch_execz .LBB852_268
; %bb.265:
	v_bfe_u32 v53, v36, 16, 7
	s_movk_i32 s10, 0x7f
	v_cmp_ne_u32_e32 vcc, s10, v53
	v_mov_b32_e32 v52, 0x7f80
	s_and_saveexec_b64 s[10:11], vcc
	s_cbranch_execz .LBB852_267
; %bb.266:
	v_and_b32_e32 v52, 7, v34
	v_ffbh_u32_e32 v54, v52
	v_min_u32_e32 v57, 32, v54
	v_subrev_u32_e32 v54, 28, v57
	v_lshlrev_b64 v[54:55], v54, v[34:35]
	v_lshrrev_b32_e32 v56, 3, v53
	v_sub_u32_e32 v34, 29, v57
	v_and_b32_e32 v54, 7, v54
	v_cmp_gt_u32_e32 vcc, 8, v53
	v_mov_b32_e32 v53, 24
	v_cndmask_b32_e32 v34, v56, v34, vcc
	v_cndmask_b32_e32 v52, v52, v54, vcc
	v_lshlrev_b32_sdwa v53, v53, v36 dst_sel:DWORD dst_unused:UNUSED_PAD src0_sel:DWORD src1_sel:WORD_1
	v_bfrev_b32_e32 v54, 60
	v_lshlrev_b32_e32 v52, 20, v52
	v_and_b32_e32 v53, 0x80000000, v53
	v_lshl_add_u32 v34, v34, 23, v54
	v_or3_b32 v34, v53, v34, v52
	v_lshrrev_b32_e32 v52, 16, v34
.LBB852_267:
	s_or_b64 exec, exec, s[10:11]
.LBB852_268:
	s_or_b64 exec, exec, s[8:9]
.LBB852_269:
	s_or_b64 exec, exec, s[2:3]
	s_mov_b32 s2, 0xffffff
	v_cmp_lt_u32_e32 vcc, s2, v36
	s_and_saveexec_b64 s[2:3], vcc
	s_cbranch_execz .LBB852_275
; %bb.270:
	v_lshrrev_b32_e32 v34, 24, v36
	s_movk_i32 s8, 0x80
	v_cmp_ne_u32_e32 vcc, s8, v34
	v_mov_b32_e32 v51, 0xffff8000
	s_and_saveexec_b64 s[8:9], vcc
	s_cbranch_execz .LBB852_274
; %bb.271:
	v_bfe_u32 v36, v36, 24, 7
	s_movk_i32 s10, 0x7f
	v_cmp_ne_u32_e32 vcc, s10, v36
	v_mov_b32_e32 v51, 0x7f80
	s_and_saveexec_b64 s[10:11], vcc
	s_cbranch_execz .LBB852_273
; %bb.272:
	v_and_b32_e32 v51, 7, v34
	v_ffbh_u32_e32 v54, v51
	v_min_u32_e32 v56, 32, v54
	v_subrev_u32_e32 v54, 28, v56
	v_lshlrev_b64 v[54:55], v54, v[34:35]
	v_lshrrev_b32_e32 v53, 3, v36
	v_sub_u32_e32 v55, 29, v56
	v_and_b32_e32 v54, 7, v54
	v_cmp_gt_u32_e32 vcc, 8, v36
	v_cndmask_b32_e32 v36, v53, v55, vcc
	v_cndmask_b32_e32 v51, v51, v54, vcc
	v_lshlrev_b32_e32 v34, 24, v34
	v_bfrev_b32_e32 v53, 60
	v_lshlrev_b32_e32 v51, 20, v51
	v_and_b32_e32 v34, 0x80000000, v34
	v_lshl_add_u32 v36, v36, 23, v53
	v_or3_b32 v34, v34, v36, v51
	v_lshrrev_b32_e32 v51, 16, v34
.LBB852_273:
	s_or_b64 exec, exec, s[10:11]
.LBB852_274:
	s_or_b64 exec, exec, s[8:9]
.LBB852_275:
	s_or_b64 exec, exec, s[2:3]
	v_mov_b32_e32 v36, 0
	v_cmp_ne_u16_sdwa s[8:9], v37, v36 src0_sel:BYTE_0 src1_sel:DWORD
	v_mov_b32_e32 v53, 0
	s_and_saveexec_b64 s[2:3], s[8:9]
	s_cbranch_execz .LBB852_281
; %bb.276:
	s_movk_i32 s8, 0x80
	v_cmp_ne_u16_sdwa s[10:11], v37, s8 src0_sel:BYTE_0 src1_sel:DWORD
	v_mov_b32_e32 v53, 0xffff8000
	s_and_saveexec_b64 s[8:9], s[10:11]
	s_cbranch_execz .LBB852_280
; %bb.277:
	s_movk_i32 s10, 0x7f
	v_and_b32_e32 v34, 0x7f, v37
	v_cmp_ne_u32_e32 vcc, s10, v34
	v_mov_b32_e32 v53, 0x7f80
	s_and_saveexec_b64 s[10:11], vcc
	s_cbranch_execz .LBB852_279
; %bb.278:
	v_and_b32_e32 v53, 7, v37
	v_ffbh_u32_e32 v55, v53
	v_min_u32_e32 v57, 32, v55
	v_mov_b32_e32 v54, v37
	v_subrev_u32_e32 v55, 28, v57
	v_lshlrev_b64 v[54:55], v55, v[54:55]
	v_lshrrev_b32_e32 v56, 3, v34
	v_sub_u32_e32 v55, 29, v57
	v_and_b32_e32 v54, 7, v54
	v_cmp_gt_u32_e32 vcc, 8, v34
	v_cndmask_b32_e32 v34, v56, v55, vcc
	v_cndmask_b32_e32 v53, v53, v54, vcc
	v_lshlrev_b32_e32 v54, 24, v37
	v_bfrev_b32_e32 v55, 60
	v_lshlrev_b32_e32 v53, 20, v53
	v_and_b32_e32 v54, 0x80000000, v54
	v_lshl_add_u32 v34, v34, 23, v55
	v_or3_b32 v34, v54, v34, v53
	v_lshrrev_b32_e32 v53, 16, v34
.LBB852_279:
	s_or_b64 exec, exec, s[10:11]
.LBB852_280:
	s_or_b64 exec, exec, s[8:9]
.LBB852_281:
	s_or_b64 exec, exec, s[2:3]
	v_lshrrev_b16_e32 v34, 8, v37
	v_cmp_ne_u16_e32 vcc, 0, v34
	s_and_saveexec_b64 s[2:3], vcc
	s_cbranch_execz .LBB852_287
; %bb.282:
	s_movk_i32 s8, 0x80
	v_cmp_ne_u16_e32 vcc, s8, v34
	v_mov_b32_e32 v36, 0xffff8000
	s_and_saveexec_b64 s[8:9], vcc
	s_cbranch_execz .LBB852_286
; %bb.283:
	s_movk_i32 s10, 0x7f
	v_and_b32_e32 v54, 0x7f, v34
	v_cmp_ne_u32_e32 vcc, s10, v54
	v_mov_b32_e32 v36, 0x7f80
	s_and_saveexec_b64 s[10:11], vcc
	s_cbranch_execz .LBB852_285
; %bb.284:
	v_and_b32_e32 v36, 7, v34
	v_ffbh_u32_e32 v56, v36
	v_min_u32_e32 v58, 32, v56
	v_subrev_u32_e32 v56, 28, v58
	v_lshlrev_b64 v[56:57], v56, v[34:35]
	v_lshrrev_b32_e32 v55, 3, v54
	v_sub_u32_e32 v34, 29, v58
	v_and_b32_e32 v56, 7, v56
	v_cmp_gt_u32_e32 vcc, 8, v54
	v_cndmask_b32_e32 v34, v55, v34, vcc
	v_cndmask_b32_e32 v36, v36, v56, vcc
	v_lshlrev_b32_e32 v54, 16, v37
	v_bfrev_b32_e32 v55, 60
	v_lshlrev_b32_e32 v36, 20, v36
	v_and_b32_e32 v54, 0x80000000, v54
	v_lshl_add_u32 v34, v34, 23, v55
	v_or3_b32 v34, v54, v34, v36
	v_lshrrev_b32_e32 v36, 16, v34
.LBB852_285:
	s_or_b64 exec, exec, s[10:11]
.LBB852_286:
	s_or_b64 exec, exec, s[8:9]
.LBB852_287:
	s_or_b64 exec, exec, s[2:3]
	s_movk_i32 s2, 0xff
	v_and_b32_sdwa v56, v37, s2 dst_sel:DWORD dst_unused:UNUSED_PAD src0_sel:WORD_1 src1_sel:DWORD
	v_lshrrev_b32_e32 v34, 16, v37
	v_cmp_ne_u16_e32 vcc, 0, v56
	v_mov_b32_e32 v54, 0
	v_mov_b32_e32 v55, 0
	s_and_saveexec_b64 s[2:3], vcc
	s_cbranch_execz .LBB852_293
; %bb.288:
	s_movk_i32 s8, 0x80
	v_cmp_ne_u16_e32 vcc, s8, v56
	v_mov_b32_e32 v55, 0xffff8000
	s_and_saveexec_b64 s[8:9], vcc
	s_cbranch_execz .LBB852_292
; %bb.289:
	v_bfe_u32 v56, v37, 16, 7
	s_movk_i32 s10, 0x7f
	v_cmp_ne_u32_e32 vcc, s10, v56
	v_mov_b32_e32 v55, 0x7f80
	s_and_saveexec_b64 s[10:11], vcc
	s_cbranch_execz .LBB852_291
; %bb.290:
	v_and_b32_e32 v55, 7, v34
	v_ffbh_u32_e32 v58, v55
	v_min_u32_e32 v60, 32, v58
	v_subrev_u32_e32 v58, 28, v60
	v_lshlrev_b64 v[58:59], v58, v[34:35]
	v_lshrrev_b32_e32 v57, 3, v56
	v_sub_u32_e32 v34, 29, v60
	v_and_b32_e32 v58, 7, v58
	v_cmp_gt_u32_e32 vcc, 8, v56
	v_mov_b32_e32 v56, 24
	v_cndmask_b32_e32 v34, v57, v34, vcc
	v_cndmask_b32_e32 v55, v55, v58, vcc
	v_lshlrev_b32_sdwa v56, v56, v37 dst_sel:DWORD dst_unused:UNUSED_PAD src0_sel:DWORD src1_sel:WORD_1
	v_bfrev_b32_e32 v57, 60
	v_lshlrev_b32_e32 v55, 20, v55
	v_and_b32_e32 v56, 0x80000000, v56
	v_lshl_add_u32 v34, v34, 23, v57
	v_or3_b32 v34, v56, v34, v55
	v_lshrrev_b32_e32 v55, 16, v34
.LBB852_291:
	s_or_b64 exec, exec, s[10:11]
.LBB852_292:
	s_or_b64 exec, exec, s[8:9]
.LBB852_293:
	s_or_b64 exec, exec, s[2:3]
	s_mov_b32 s2, 0xffffff
	v_cmp_lt_u32_e32 vcc, s2, v37
	s_and_saveexec_b64 s[2:3], vcc
	s_cbranch_execz .LBB852_299
; %bb.294:
	v_lshrrev_b32_e32 v34, 24, v37
	s_movk_i32 s8, 0x80
	v_cmp_ne_u32_e32 vcc, s8, v34
	v_mov_b32_e32 v54, 0xffff8000
	s_and_saveexec_b64 s[8:9], vcc
	s_cbranch_execz .LBB852_298
; %bb.295:
	v_bfe_u32 v37, v37, 24, 7
	s_movk_i32 s10, 0x7f
	v_cmp_ne_u32_e32 vcc, s10, v37
	v_mov_b32_e32 v54, 0x7f80
	s_and_saveexec_b64 s[10:11], vcc
	s_cbranch_execz .LBB852_297
; %bb.296:
	v_and_b32_e32 v54, 7, v34
	v_ffbh_u32_e32 v56, v54
	v_min_u32_e32 v59, 32, v56
	v_subrev_u32_e32 v56, 28, v59
	v_lshlrev_b64 v[56:57], v56, v[34:35]
	v_lshrrev_b32_e32 v58, 3, v37
	v_sub_u32_e32 v57, 29, v59
	v_and_b32_e32 v56, 7, v56
	v_cmp_gt_u32_e32 vcc, 8, v37
	v_cndmask_b32_e32 v37, v58, v57, vcc
	v_cndmask_b32_e32 v54, v54, v56, vcc
	v_lshlrev_b32_e32 v34, 24, v34
	v_bfrev_b32_e32 v56, 60
	v_lshlrev_b32_e32 v54, 20, v54
	v_and_b32_e32 v34, 0x80000000, v34
	v_lshl_add_u32 v37, v37, 23, v56
	v_or3_b32 v34, v34, v37, v54
	v_lshrrev_b32_e32 v54, 16, v34
.LBB852_297:
	s_or_b64 exec, exec, s[10:11]
.LBB852_298:
	s_or_b64 exec, exec, s[8:9]
.LBB852_299:
	s_or_b64 exec, exec, s[2:3]
	s_mov_b32 s2, 0x5040100
	v_perm_b32 v51, v51, v52, s2
	v_perm_b32 v50, v35, v50, s2
	;; [unrolled: 1-line block ×4, first 2 shown]
	v_mfma_f32_16x16x16bf16_1k v[56:59], v[50:51], v[18:19], v[42:45]
	s_nop 6
	v_mov_b32_e32 v43, 0
	s_waitcnt vmcnt(4)
	v_cmp_ne_u16_sdwa s[8:9], v22, v43 src0_sel:BYTE_0 src1_sel:DWORD
	v_mfma_f32_16x16x16bf16_1k v[34:37], v[34:35], v[20:21], v[56:59]
	v_mov_b32_e32 v44, 0
	s_and_saveexec_b64 s[2:3], s[8:9]
	s_cbranch_execz .LBB852_305
; %bb.300:
	s_movk_i32 s8, 0x80
	v_cmp_ne_u16_sdwa s[10:11], v22, s8 src0_sel:BYTE_0 src1_sel:DWORD
	v_mov_b32_e32 v44, 0xffff8000
	s_and_saveexec_b64 s[8:9], s[10:11]
	s_cbranch_execz .LBB852_304
; %bb.301:
	s_movk_i32 s10, 0x7f
	v_and_b32_e32 v42, 0x7f, v22
	v_cmp_ne_u32_e32 vcc, s10, v42
	v_mov_b32_e32 v44, 0x7f80
	s_and_saveexec_b64 s[10:11], vcc
	s_cbranch_execz .LBB852_303
; %bb.302:
	v_and_b32_e32 v50, 7, v22
	v_ffbh_u32_e32 v44, v50
	v_min_u32_e32 v52, 32, v44
	v_subrev_u32_e32 v44, 28, v52
	v_lshlrev_b64 v[44:45], v44, v[22:23]
	v_lshrrev_b32_e32 v51, 3, v42
	v_sub_u32_e32 v45, 29, v52
	v_and_b32_e32 v44, 7, v44
	v_cmp_gt_u32_e32 vcc, 8, v42
	v_cndmask_b32_e32 v42, v51, v45, vcc
	v_cndmask_b32_e32 v44, v50, v44, vcc
	v_lshlrev_b32_e32 v45, 24, v22
	v_bfrev_b32_e32 v50, 60
	v_lshlrev_b32_e32 v44, 20, v44
	v_and_b32_e32 v45, 0x80000000, v45
	v_lshl_add_u32 v42, v42, 23, v50
	v_or3_b32 v42, v45, v42, v44
	v_lshrrev_b32_e32 v44, 16, v42
.LBB852_303:
	s_or_b64 exec, exec, s[10:11]
.LBB852_304:
	s_or_b64 exec, exec, s[8:9]
.LBB852_305:
	s_or_b64 exec, exec, s[2:3]
	v_lshrrev_b16_e32 v42, 8, v22
	v_cmp_ne_u16_e32 vcc, 0, v42
	s_and_saveexec_b64 s[2:3], vcc
	s_cbranch_execz .LBB852_311
; %bb.306:
	s_movk_i32 s8, 0x80
	v_cmp_ne_u16_e32 vcc, s8, v42
	v_mov_b32_e32 v43, 0xffff8000
	s_and_saveexec_b64 s[8:9], vcc
	s_cbranch_execz .LBB852_310
; %bb.307:
	s_movk_i32 s10, 0x7f
	v_and_b32_e32 v45, 0x7f, v42
	v_cmp_ne_u32_e32 vcc, s10, v45
	v_mov_b32_e32 v43, 0x7f80
	s_and_saveexec_b64 s[10:11], vcc
	s_cbranch_execz .LBB852_309
; %bb.308:
	v_and_b32_e32 v50, 7, v42
	v_ffbh_u32_e32 v43, v50
	v_min_u32_e32 v52, 32, v43
	v_subrev_u32_e32 v43, 28, v52
	v_lshlrev_b64 v[42:43], v43, v[42:43]
	v_lshrrev_b32_e32 v51, 3, v45
	v_sub_u32_e32 v43, 29, v52
	v_and_b32_e32 v42, 7, v42
	v_cmp_gt_u32_e32 vcc, 8, v45
	v_cndmask_b32_e32 v43, v51, v43, vcc
	v_cndmask_b32_e32 v42, v50, v42, vcc
	v_lshlrev_b32_e32 v45, 16, v22
	v_bfrev_b32_e32 v50, 60
	v_lshlrev_b32_e32 v42, 20, v42
	v_and_b32_e32 v45, 0x80000000, v45
	v_lshl_add_u32 v43, v43, 23, v50
	v_or3_b32 v42, v45, v43, v42
	v_lshrrev_b32_e32 v43, 16, v42
.LBB852_309:
	s_or_b64 exec, exec, s[10:11]
.LBB852_310:
	s_or_b64 exec, exec, s[8:9]
.LBB852_311:
	s_or_b64 exec, exec, s[2:3]
	s_movk_i32 s2, 0xff
	v_and_b32_sdwa v51, v22, s2 dst_sel:DWORD dst_unused:UNUSED_PAD src0_sel:WORD_1 src1_sel:DWORD
	v_lshrrev_b32_e32 v42, 16, v22
	v_cmp_ne_u16_e32 vcc, 0, v51
	v_mov_b32_e32 v45, 0
	v_mov_b32_e32 v50, 0
	s_and_saveexec_b64 s[2:3], vcc
	s_cbranch_execz .LBB852_317
; %bb.312:
	s_movk_i32 s8, 0x80
	v_cmp_ne_u16_e32 vcc, s8, v51
	v_mov_b32_e32 v50, 0xffff8000
	s_and_saveexec_b64 s[8:9], vcc
	s_cbranch_execz .LBB852_316
; %bb.313:
	v_bfe_u32 v51, v22, 16, 7
	s_movk_i32 s10, 0x7f
	v_cmp_ne_u32_e32 vcc, s10, v51
	v_mov_b32_e32 v50, 0x7f80
	s_and_saveexec_b64 s[10:11], vcc
	s_cbranch_execz .LBB852_315
; %bb.314:
	v_and_b32_e32 v50, 7, v42
	v_ffbh_u32_e32 v52, v50
	v_min_u32_e32 v55, 32, v52
	v_subrev_u32_e32 v52, 28, v55
	v_lshlrev_b64 v[52:53], v52, v[42:43]
	v_lshrrev_b32_e32 v54, 3, v51
	v_sub_u32_e32 v42, 29, v55
	v_and_b32_e32 v52, 7, v52
	v_cmp_gt_u32_e32 vcc, 8, v51
	v_mov_b32_e32 v51, 24
	v_cndmask_b32_e32 v42, v54, v42, vcc
	v_cndmask_b32_e32 v50, v50, v52, vcc
	v_lshlrev_b32_sdwa v51, v51, v22 dst_sel:DWORD dst_unused:UNUSED_PAD src0_sel:DWORD src1_sel:WORD_1
	v_bfrev_b32_e32 v52, 60
	v_lshlrev_b32_e32 v50, 20, v50
	v_and_b32_e32 v51, 0x80000000, v51
	v_lshl_add_u32 v42, v42, 23, v52
	v_or3_b32 v42, v51, v42, v50
	v_lshrrev_b32_e32 v50, 16, v42
.LBB852_315:
	s_or_b64 exec, exec, s[10:11]
.LBB852_316:
	s_or_b64 exec, exec, s[8:9]
.LBB852_317:
	s_or_b64 exec, exec, s[2:3]
	s_mov_b32 s2, 0xffffff
	v_cmp_lt_u32_e32 vcc, s2, v22
	s_and_saveexec_b64 s[2:3], vcc
	s_cbranch_execz .LBB852_323
; %bb.318:
	v_lshrrev_b32_e32 v42, 24, v22
	s_movk_i32 s8, 0x80
	v_cmp_ne_u32_e32 vcc, s8, v42
	v_mov_b32_e32 v45, 0xffff8000
	s_and_saveexec_b64 s[8:9], vcc
	s_cbranch_execz .LBB852_322
; %bb.319:
	v_bfe_u32 v22, v22, 24, 7
	s_movk_i32 s10, 0x7f
	v_cmp_ne_u32_e32 vcc, s10, v22
	v_mov_b32_e32 v45, 0x7f80
	s_and_saveexec_b64 s[10:11], vcc
	s_cbranch_execz .LBB852_321
; %bb.320:
	v_and_b32_e32 v45, 7, v42
	v_ffbh_u32_e32 v52, v45
	v_min_u32_e32 v54, 32, v52
	v_subrev_u32_e32 v52, 28, v54
	v_lshlrev_b64 v[52:53], v52, v[42:43]
	v_lshrrev_b32_e32 v51, 3, v22
	v_sub_u32_e32 v53, 29, v54
	v_and_b32_e32 v52, 7, v52
	v_cmp_gt_u32_e32 vcc, 8, v22
	v_cndmask_b32_e32 v22, v51, v53, vcc
	v_cndmask_b32_e32 v45, v45, v52, vcc
	v_lshlrev_b32_e32 v42, 24, v42
	v_bfrev_b32_e32 v51, 60
	v_lshlrev_b32_e32 v45, 20, v45
	v_and_b32_e32 v42, 0x80000000, v42
	v_lshl_add_u32 v22, v22, 23, v51
	v_or3_b32 v22, v42, v22, v45
	v_lshrrev_b32_e32 v45, 16, v22
.LBB852_321:
	s_or_b64 exec, exec, s[10:11]
.LBB852_322:
	s_or_b64 exec, exec, s[8:9]
.LBB852_323:
	s_or_b64 exec, exec, s[2:3]
	v_mov_b32_e32 v42, 0
	v_cmp_ne_u16_sdwa s[8:9], v23, v42 src0_sel:BYTE_0 src1_sel:DWORD
	v_mov_b32_e32 v51, 0
	s_and_saveexec_b64 s[2:3], s[8:9]
	s_cbranch_execz .LBB852_329
; %bb.324:
	s_movk_i32 s8, 0x80
	v_cmp_ne_u16_sdwa s[10:11], v23, s8 src0_sel:BYTE_0 src1_sel:DWORD
	v_mov_b32_e32 v51, 0xffff8000
	s_and_saveexec_b64 s[8:9], s[10:11]
	s_cbranch_execz .LBB852_328
; %bb.325:
	s_movk_i32 s10, 0x7f
	v_and_b32_e32 v22, 0x7f, v23
	v_cmp_ne_u32_e32 vcc, s10, v22
	v_mov_b32_e32 v51, 0x7f80
	s_and_saveexec_b64 s[10:11], vcc
	s_cbranch_execz .LBB852_327
; %bb.326:
	v_and_b32_e32 v51, 7, v23
	v_ffbh_u32_e32 v53, v51
	v_min_u32_e32 v55, 32, v53
	v_mov_b32_e32 v52, v23
	v_subrev_u32_e32 v53, 28, v55
	v_lshlrev_b64 v[52:53], v53, v[52:53]
	v_lshrrev_b32_e32 v54, 3, v22
	v_sub_u32_e32 v53, 29, v55
	v_and_b32_e32 v52, 7, v52
	v_cmp_gt_u32_e32 vcc, 8, v22
	v_cndmask_b32_e32 v22, v54, v53, vcc
	v_cndmask_b32_e32 v51, v51, v52, vcc
	v_lshlrev_b32_e32 v52, 24, v23
	v_bfrev_b32_e32 v53, 60
	v_lshlrev_b32_e32 v51, 20, v51
	v_and_b32_e32 v52, 0x80000000, v52
	v_lshl_add_u32 v22, v22, 23, v53
	v_or3_b32 v22, v52, v22, v51
	v_lshrrev_b32_e32 v51, 16, v22
.LBB852_327:
	s_or_b64 exec, exec, s[10:11]
.LBB852_328:
	s_or_b64 exec, exec, s[8:9]
.LBB852_329:
	s_or_b64 exec, exec, s[2:3]
	v_lshrrev_b16_e32 v22, 8, v23
	v_cmp_ne_u16_e32 vcc, 0, v22
	s_and_saveexec_b64 s[2:3], vcc
	s_cbranch_execz .LBB852_335
; %bb.330:
	s_movk_i32 s8, 0x80
	v_cmp_ne_u16_e32 vcc, s8, v22
	v_mov_b32_e32 v42, 0xffff8000
	s_and_saveexec_b64 s[8:9], vcc
	s_cbranch_execz .LBB852_334
; %bb.331:
	s_movk_i32 s10, 0x7f
	v_and_b32_e32 v52, 0x7f, v22
	v_cmp_ne_u32_e32 vcc, s10, v52
	v_mov_b32_e32 v42, 0x7f80
	s_and_saveexec_b64 s[10:11], vcc
	s_cbranch_execz .LBB852_333
; %bb.332:
	v_and_b32_e32 v42, 7, v22
	v_ffbh_u32_e32 v54, v42
	v_min_u32_e32 v56, 32, v54
	v_subrev_u32_e32 v54, 28, v56
	v_lshlrev_b64 v[54:55], v54, v[22:23]
	v_lshrrev_b32_e32 v53, 3, v52
	v_sub_u32_e32 v22, 29, v56
	v_and_b32_e32 v54, 7, v54
	v_cmp_gt_u32_e32 vcc, 8, v52
	v_cndmask_b32_e32 v22, v53, v22, vcc
	v_cndmask_b32_e32 v42, v42, v54, vcc
	v_lshlrev_b32_e32 v52, 16, v23
	v_bfrev_b32_e32 v53, 60
	v_lshlrev_b32_e32 v42, 20, v42
	v_and_b32_e32 v52, 0x80000000, v52
	v_lshl_add_u32 v22, v22, 23, v53
	v_or3_b32 v22, v52, v22, v42
	v_lshrrev_b32_e32 v42, 16, v22
.LBB852_333:
	s_or_b64 exec, exec, s[10:11]
.LBB852_334:
	s_or_b64 exec, exec, s[8:9]
.LBB852_335:
	s_or_b64 exec, exec, s[2:3]
	s_movk_i32 s2, 0xff
	v_and_b32_sdwa v54, v23, s2 dst_sel:DWORD dst_unused:UNUSED_PAD src0_sel:WORD_1 src1_sel:DWORD
	v_lshrrev_b32_e32 v22, 16, v23
	v_cmp_ne_u16_e32 vcc, 0, v54
	v_mov_b32_e32 v52, 0
	v_mov_b32_e32 v53, 0
	s_and_saveexec_b64 s[2:3], vcc
	s_cbranch_execz .LBB852_341
; %bb.336:
	s_movk_i32 s8, 0x80
	v_cmp_ne_u16_e32 vcc, s8, v54
	v_mov_b32_e32 v53, 0xffff8000
	s_and_saveexec_b64 s[8:9], vcc
	s_cbranch_execz .LBB852_340
; %bb.337:
	v_bfe_u32 v54, v23, 16, 7
	s_movk_i32 s10, 0x7f
	v_cmp_ne_u32_e32 vcc, s10, v54
	v_mov_b32_e32 v53, 0x7f80
	s_and_saveexec_b64 s[10:11], vcc
	s_cbranch_execz .LBB852_339
; %bb.338:
	v_and_b32_e32 v53, 7, v22
	v_ffbh_u32_e32 v56, v53
	v_min_u32_e32 v58, 32, v56
	v_subrev_u32_e32 v56, 28, v58
	v_lshlrev_b64 v[56:57], v56, v[22:23]
	v_lshrrev_b32_e32 v55, 3, v54
	v_sub_u32_e32 v22, 29, v58
	v_and_b32_e32 v56, 7, v56
	v_cmp_gt_u32_e32 vcc, 8, v54
	v_mov_b32_e32 v54, 24
	v_cndmask_b32_e32 v22, v55, v22, vcc
	v_cndmask_b32_e32 v53, v53, v56, vcc
	v_lshlrev_b32_sdwa v54, v54, v23 dst_sel:DWORD dst_unused:UNUSED_PAD src0_sel:DWORD src1_sel:WORD_1
	v_bfrev_b32_e32 v55, 60
	v_lshlrev_b32_e32 v53, 20, v53
	v_and_b32_e32 v54, 0x80000000, v54
	v_lshl_add_u32 v22, v22, 23, v55
	v_or3_b32 v22, v54, v22, v53
	v_lshrrev_b32_e32 v53, 16, v22
.LBB852_339:
	s_or_b64 exec, exec, s[10:11]
.LBB852_340:
	s_or_b64 exec, exec, s[8:9]
.LBB852_341:
	s_or_b64 exec, exec, s[2:3]
	s_mov_b32 s2, 0xffffff
	v_cmp_lt_u32_e32 vcc, s2, v23
	s_and_saveexec_b64 s[2:3], vcc
	s_cbranch_execz .LBB852_347
; %bb.342:
	v_lshrrev_b32_e32 v22, 24, v23
	s_movk_i32 s8, 0x80
	v_cmp_ne_u32_e32 vcc, s8, v22
	v_mov_b32_e32 v52, 0xffff8000
	s_and_saveexec_b64 s[8:9], vcc
	s_cbranch_execz .LBB852_346
; %bb.343:
	v_bfe_u32 v23, v23, 24, 7
	s_movk_i32 s10, 0x7f
	v_cmp_ne_u32_e32 vcc, s10, v23
	v_mov_b32_e32 v52, 0x7f80
	s_and_saveexec_b64 s[10:11], vcc
	s_cbranch_execz .LBB852_345
; %bb.344:
	v_and_b32_e32 v52, 7, v22
	v_ffbh_u32_e32 v54, v52
	v_min_u32_e32 v57, 32, v54
	v_subrev_u32_e32 v54, 28, v57
	v_lshlrev_b64 v[54:55], v54, v[22:23]
	v_lshrrev_b32_e32 v56, 3, v23
	v_sub_u32_e32 v55, 29, v57
	v_and_b32_e32 v54, 7, v54
	v_cmp_gt_u32_e32 vcc, 8, v23
	v_cndmask_b32_e32 v23, v56, v55, vcc
	v_cndmask_b32_e32 v52, v52, v54, vcc
	v_lshlrev_b32_e32 v22, 24, v22
	v_bfrev_b32_e32 v54, 60
	v_lshlrev_b32_e32 v52, 20, v52
	v_and_b32_e32 v22, 0x80000000, v22
	v_lshl_add_u32 v23, v23, 23, v54
	v_or3_b32 v22, v22, v23, v52
	v_lshrrev_b32_e32 v52, 16, v22
.LBB852_345:
	s_or_b64 exec, exec, s[10:11]
.LBB852_346:
	s_or_b64 exec, exec, s[8:9]
.LBB852_347:
	s_or_b64 exec, exec, s[2:3]
	s_mov_b32 s2, 0x5040100
	v_perm_b32 v23, v45, v50, s2
	v_perm_b32 v22, v43, v44, s2
	s_nop 1
	v_mfma_f32_16x16x16bf16_1k v[54:57], v[22:23], v[26:27], 0
	v_perm_b32 v27, v52, v53, s2
	v_perm_b32 v26, v42, v51, s2
	v_mov_b32_e32 v23, 0
	v_cmp_ne_u16_sdwa s[8:9], v24, v23 src0_sel:BYTE_0 src1_sel:DWORD
	v_mov_b32_e32 v42, 0
	v_mfma_f32_16x16x16bf16_1k v[26:29], v[26:27], v[28:29], v[54:57]
	s_and_saveexec_b64 s[2:3], s[8:9]
	s_cbranch_execz .LBB852_353
; %bb.348:
	s_movk_i32 s8, 0x80
	v_cmp_ne_u16_sdwa s[10:11], v24, s8 src0_sel:BYTE_0 src1_sel:DWORD
	v_mov_b32_e32 v42, 0xffff8000
	s_and_saveexec_b64 s[8:9], s[10:11]
	s_cbranch_execz .LBB852_352
; %bb.349:
	s_movk_i32 s10, 0x7f
	v_and_b32_e32 v22, 0x7f, v24
	v_cmp_ne_u32_e32 vcc, s10, v22
	v_mov_b32_e32 v42, 0x7f80
	s_and_saveexec_b64 s[10:11], vcc
	s_cbranch_execz .LBB852_351
; %bb.350:
	v_and_b32_e32 v44, 7, v24
	v_ffbh_u32_e32 v42, v44
	v_min_u32_e32 v50, 32, v42
	v_subrev_u32_e32 v42, 28, v50
	v_lshlrev_b64 v[42:43], v42, v[24:25]
	v_lshrrev_b32_e32 v45, 3, v22
	v_sub_u32_e32 v43, 29, v50
	v_and_b32_e32 v42, 7, v42
	v_cmp_gt_u32_e32 vcc, 8, v22
	v_cndmask_b32_e32 v22, v45, v43, vcc
	v_cndmask_b32_e32 v42, v44, v42, vcc
	v_lshlrev_b32_e32 v43, 24, v24
	v_bfrev_b32_e32 v44, 60
	v_lshlrev_b32_e32 v42, 20, v42
	v_and_b32_e32 v43, 0x80000000, v43
	v_lshl_add_u32 v22, v22, 23, v44
	v_or3_b32 v22, v43, v22, v42
	v_lshrrev_b32_e32 v42, 16, v22
.LBB852_351:
	s_or_b64 exec, exec, s[10:11]
.LBB852_352:
	s_or_b64 exec, exec, s[8:9]
.LBB852_353:
	s_or_b64 exec, exec, s[2:3]
	v_lshrrev_b16_e32 v22, 8, v24
	v_cmp_ne_u16_e32 vcc, 0, v22
	s_and_saveexec_b64 s[2:3], vcc
	s_cbranch_execz .LBB852_359
; %bb.354:
	s_movk_i32 s8, 0x80
	v_cmp_ne_u16_e32 vcc, s8, v22
	v_mov_b32_e32 v23, 0xffff8000
	s_and_saveexec_b64 s[8:9], vcc
	s_cbranch_execz .LBB852_358
; %bb.355:
	s_movk_i32 s10, 0x7f
	v_and_b32_e32 v43, 0x7f, v22
	v_cmp_ne_u32_e32 vcc, s10, v43
	v_mov_b32_e32 v23, 0x7f80
	s_and_saveexec_b64 s[10:11], vcc
	s_cbranch_execz .LBB852_357
; %bb.356:
	v_and_b32_e32 v44, 7, v22
	v_ffbh_u32_e32 v23, v44
	v_min_u32_e32 v50, 32, v23
	v_subrev_u32_e32 v23, 28, v50
	v_lshlrev_b64 v[22:23], v23, v[22:23]
	v_lshrrev_b32_e32 v45, 3, v43
	v_sub_u32_e32 v23, 29, v50
	v_and_b32_e32 v22, 7, v22
	v_cmp_gt_u32_e32 vcc, 8, v43
	v_cndmask_b32_e32 v23, v45, v23, vcc
	v_cndmask_b32_e32 v22, v44, v22, vcc
	v_lshlrev_b32_e32 v43, 16, v24
	v_bfrev_b32_e32 v44, 60
	v_lshlrev_b32_e32 v22, 20, v22
	v_and_b32_e32 v43, 0x80000000, v43
	v_lshl_add_u32 v23, v23, 23, v44
	v_or3_b32 v22, v43, v23, v22
	v_lshrrev_b32_e32 v23, 16, v22
.LBB852_357:
	s_or_b64 exec, exec, s[10:11]
.LBB852_358:
	s_or_b64 exec, exec, s[8:9]
.LBB852_359:
	s_or_b64 exec, exec, s[2:3]
	s_movk_i32 s2, 0xff
	v_and_b32_sdwa v45, v24, s2 dst_sel:DWORD dst_unused:UNUSED_PAD src0_sel:WORD_1 src1_sel:DWORD
	v_lshrrev_b32_e32 v22, 16, v24
	v_cmp_ne_u16_e32 vcc, 0, v45
	v_mov_b32_e32 v43, 0
	v_mov_b32_e32 v44, 0
	s_and_saveexec_b64 s[2:3], vcc
	s_cbranch_execz .LBB852_365
; %bb.360:
	s_movk_i32 s8, 0x80
	v_cmp_ne_u16_e32 vcc, s8, v45
	v_mov_b32_e32 v44, 0xffff8000
	s_and_saveexec_b64 s[8:9], vcc
	s_cbranch_execz .LBB852_364
; %bb.361:
	v_bfe_u32 v45, v24, 16, 7
	s_movk_i32 s10, 0x7f
	v_cmp_ne_u32_e32 vcc, s10, v45
	v_mov_b32_e32 v44, 0x7f80
	s_and_saveexec_b64 s[10:11], vcc
	s_cbranch_execz .LBB852_363
; %bb.362:
	v_and_b32_e32 v44, 7, v22
	v_ffbh_u32_e32 v50, v44
	v_min_u32_e32 v53, 32, v50
	v_subrev_u32_e32 v50, 28, v53
	v_lshlrev_b64 v[50:51], v50, v[22:23]
	v_lshrrev_b32_e32 v52, 3, v45
	v_sub_u32_e32 v22, 29, v53
	v_and_b32_e32 v50, 7, v50
	v_cmp_gt_u32_e32 vcc, 8, v45
	v_mov_b32_e32 v45, 24
	v_cndmask_b32_e32 v22, v52, v22, vcc
	v_cndmask_b32_e32 v44, v44, v50, vcc
	v_lshlrev_b32_sdwa v45, v45, v24 dst_sel:DWORD dst_unused:UNUSED_PAD src0_sel:DWORD src1_sel:WORD_1
	v_bfrev_b32_e32 v50, 60
	v_lshlrev_b32_e32 v44, 20, v44
	v_and_b32_e32 v45, 0x80000000, v45
	v_lshl_add_u32 v22, v22, 23, v50
	v_or3_b32 v22, v45, v22, v44
	v_lshrrev_b32_e32 v44, 16, v22
.LBB852_363:
	s_or_b64 exec, exec, s[10:11]
.LBB852_364:
	s_or_b64 exec, exec, s[8:9]
.LBB852_365:
	s_or_b64 exec, exec, s[2:3]
	s_mov_b32 s2, 0xffffff
	v_cmp_lt_u32_e32 vcc, s2, v24
	s_and_saveexec_b64 s[2:3], vcc
	s_cbranch_execz .LBB852_371
; %bb.366:
	v_lshrrev_b32_e32 v22, 24, v24
	s_movk_i32 s8, 0x80
	v_cmp_ne_u32_e32 vcc, s8, v22
	v_mov_b32_e32 v43, 0xffff8000
	s_and_saveexec_b64 s[8:9], vcc
	s_cbranch_execz .LBB852_370
; %bb.367:
	v_bfe_u32 v24, v24, 24, 7
	s_movk_i32 s10, 0x7f
	v_cmp_ne_u32_e32 vcc, s10, v24
	v_mov_b32_e32 v43, 0x7f80
	s_and_saveexec_b64 s[10:11], vcc
	s_cbranch_execz .LBB852_369
; %bb.368:
	v_and_b32_e32 v43, 7, v22
	v_ffbh_u32_e32 v50, v43
	v_min_u32_e32 v52, 32, v50
	v_subrev_u32_e32 v50, 28, v52
	v_lshlrev_b64 v[50:51], v50, v[22:23]
	v_lshrrev_b32_e32 v45, 3, v24
	v_sub_u32_e32 v51, 29, v52
	v_and_b32_e32 v50, 7, v50
	v_cmp_gt_u32_e32 vcc, 8, v24
	v_cndmask_b32_e32 v24, v45, v51, vcc
	v_cndmask_b32_e32 v43, v43, v50, vcc
	v_lshlrev_b32_e32 v22, 24, v22
	v_bfrev_b32_e32 v45, 60
	v_lshlrev_b32_e32 v43, 20, v43
	v_and_b32_e32 v22, 0x80000000, v22
	v_lshl_add_u32 v24, v24, 23, v45
	v_or3_b32 v22, v22, v24, v43
	v_lshrrev_b32_e32 v43, 16, v22
.LBB852_369:
	s_or_b64 exec, exec, s[10:11]
.LBB852_370:
	s_or_b64 exec, exec, s[8:9]
.LBB852_371:
	s_or_b64 exec, exec, s[2:3]
	v_mov_b32_e32 v24, 0
	v_cmp_ne_u16_sdwa s[8:9], v25, v24 src0_sel:BYTE_0 src1_sel:DWORD
	v_mov_b32_e32 v50, 0
	s_and_saveexec_b64 s[2:3], s[8:9]
	s_cbranch_execz .LBB852_377
; %bb.372:
	s_movk_i32 s8, 0x80
	v_cmp_ne_u16_sdwa s[10:11], v25, s8 src0_sel:BYTE_0 src1_sel:DWORD
	v_mov_b32_e32 v50, 0xffff8000
	s_and_saveexec_b64 s[8:9], s[10:11]
	s_cbranch_execz .LBB852_376
; %bb.373:
	s_movk_i32 s10, 0x7f
	v_and_b32_e32 v22, 0x7f, v25
	v_cmp_ne_u32_e32 vcc, s10, v22
	v_mov_b32_e32 v50, 0x7f80
	s_and_saveexec_b64 s[10:11], vcc
	s_cbranch_execz .LBB852_375
; %bb.374:
	v_and_b32_e32 v45, 7, v25
	v_ffbh_u32_e32 v51, v45
	v_min_u32_e32 v53, 32, v51
	v_mov_b32_e32 v50, v25
	v_subrev_u32_e32 v51, 28, v53
	v_lshlrev_b64 v[50:51], v51, v[50:51]
	v_lshrrev_b32_e32 v52, 3, v22
	v_sub_u32_e32 v51, 29, v53
	v_and_b32_e32 v50, 7, v50
	v_cmp_gt_u32_e32 vcc, 8, v22
	v_cndmask_b32_e32 v22, v52, v51, vcc
	v_cndmask_b32_e32 v45, v45, v50, vcc
	v_lshlrev_b32_e32 v50, 24, v25
	v_bfrev_b32_e32 v51, 60
	v_lshlrev_b32_e32 v45, 20, v45
	v_and_b32_e32 v50, 0x80000000, v50
	v_lshl_add_u32 v22, v22, 23, v51
	v_or3_b32 v22, v50, v22, v45
	v_lshrrev_b32_e32 v50, 16, v22
.LBB852_375:
	s_or_b64 exec, exec, s[10:11]
.LBB852_376:
	s_or_b64 exec, exec, s[8:9]
.LBB852_377:
	s_or_b64 exec, exec, s[2:3]
	v_lshrrev_b16_e32 v22, 8, v25
	v_cmp_ne_u16_e32 vcc, 0, v22
	s_and_saveexec_b64 s[2:3], vcc
	s_cbranch_execz .LBB852_383
; %bb.378:
	s_movk_i32 s8, 0x80
	v_cmp_ne_u16_e32 vcc, s8, v22
	v_mov_b32_e32 v24, 0xffff8000
	s_and_saveexec_b64 s[8:9], vcc
	s_cbranch_execz .LBB852_382
; %bb.379:
	s_movk_i32 s10, 0x7f
	v_and_b32_e32 v45, 0x7f, v22
	v_cmp_ne_u32_e32 vcc, s10, v45
	v_mov_b32_e32 v24, 0x7f80
	s_and_saveexec_b64 s[10:11], vcc
	s_cbranch_execz .LBB852_381
; %bb.380:
	v_and_b32_e32 v24, 7, v22
	v_ffbh_u32_e32 v52, v24
	v_min_u32_e32 v54, 32, v52
	v_subrev_u32_e32 v52, 28, v54
	v_lshlrev_b64 v[52:53], v52, v[22:23]
	v_lshrrev_b32_e32 v51, 3, v45
	v_sub_u32_e32 v22, 29, v54
	v_and_b32_e32 v52, 7, v52
	v_cmp_gt_u32_e32 vcc, 8, v45
	v_cndmask_b32_e32 v22, v51, v22, vcc
	v_cndmask_b32_e32 v24, v24, v52, vcc
	v_lshlrev_b32_e32 v45, 16, v25
	v_bfrev_b32_e32 v51, 60
	v_lshlrev_b32_e32 v24, 20, v24
	v_and_b32_e32 v45, 0x80000000, v45
	v_lshl_add_u32 v22, v22, 23, v51
	v_or3_b32 v22, v45, v22, v24
	v_lshrrev_b32_e32 v24, 16, v22
.LBB852_381:
	s_or_b64 exec, exec, s[10:11]
.LBB852_382:
	s_or_b64 exec, exec, s[8:9]
.LBB852_383:
	s_or_b64 exec, exec, s[2:3]
	s_movk_i32 s2, 0xff
	v_and_b32_sdwa v45, v25, s2 dst_sel:DWORD dst_unused:UNUSED_PAD src0_sel:WORD_1 src1_sel:DWORD
	v_lshrrev_b32_e32 v22, 16, v25
	v_cmp_ne_u16_e32 vcc, 0, v45
	v_mov_b32_e32 v51, 0
	v_mov_b32_e32 v52, 0
	s_and_saveexec_b64 s[2:3], vcc
	s_cbranch_execz .LBB852_389
; %bb.384:
	s_movk_i32 s8, 0x80
	v_cmp_ne_u16_e32 vcc, s8, v45
	v_mov_b32_e32 v52, 0xffff8000
	s_and_saveexec_b64 s[8:9], vcc
	s_cbranch_execz .LBB852_388
; %bb.385:
	v_bfe_u32 v45, v25, 16, 7
	s_movk_i32 s10, 0x7f
	v_cmp_ne_u32_e32 vcc, s10, v45
	v_mov_b32_e32 v52, 0x7f80
	s_and_saveexec_b64 s[10:11], vcc
	s_cbranch_execz .LBB852_387
; %bb.386:
	v_and_b32_e32 v54, 7, v22
	v_ffbh_u32_e32 v52, v54
	v_min_u32_e32 v56, 32, v52
	v_subrev_u32_e32 v52, 28, v56
	v_lshlrev_b64 v[52:53], v52, v[22:23]
	v_and_b32_e32 v52, 7, v52
	v_cmp_gt_u32_e32 vcc, 8, v45
	v_lshrrev_b32_e32 v55, 3, v45
	v_sub_u32_e32 v22, 29, v56
	v_cndmask_b32_e32 v45, v54, v52, vcc
	v_mov_b32_e32 v52, 24
	v_cndmask_b32_e32 v22, v55, v22, vcc
	v_lshlrev_b32_sdwa v52, v52, v25 dst_sel:DWORD dst_unused:UNUSED_PAD src0_sel:DWORD src1_sel:WORD_1
	v_bfrev_b32_e32 v53, 60
	v_lshlrev_b32_e32 v45, 20, v45
	v_and_b32_e32 v52, 0x80000000, v52
	v_lshl_add_u32 v22, v22, 23, v53
	v_or3_b32 v22, v52, v22, v45
	v_lshrrev_b32_e32 v52, 16, v22
.LBB852_387:
	s_or_b64 exec, exec, s[10:11]
.LBB852_388:
	s_or_b64 exec, exec, s[8:9]
.LBB852_389:
	s_or_b64 exec, exec, s[2:3]
	s_mov_b32 s2, 0xffffff
	v_and_b32_e32 v45, 63, v0
	v_cmp_lt_u32_e32 vcc, s2, v25
	s_and_saveexec_b64 s[2:3], vcc
	s_cbranch_execz .LBB852_395
; %bb.390:
	v_lshrrev_b32_e32 v22, 24, v25
	s_movk_i32 s8, 0x80
	v_cmp_ne_u32_e32 vcc, s8, v22
	v_mov_b32_e32 v51, 0xffff8000
	s_and_saveexec_b64 s[8:9], vcc
	s_cbranch_execz .LBB852_394
; %bb.391:
	v_bfe_u32 v25, v25, 24, 7
	s_movk_i32 s10, 0x7f
	v_cmp_ne_u32_e32 vcc, s10, v25
	v_mov_b32_e32 v51, 0x7f80
	s_and_saveexec_b64 s[10:11], vcc
	s_cbranch_execz .LBB852_393
; %bb.392:
	v_and_b32_e32 v51, 7, v22
	v_ffbh_u32_e32 v54, v51
	v_min_u32_e32 v56, 32, v54
	v_subrev_u32_e32 v54, 28, v56
	v_lshlrev_b64 v[54:55], v54, v[22:23]
	v_lshrrev_b32_e32 v53, 3, v25
	v_sub_u32_e32 v55, 29, v56
	v_and_b32_e32 v54, 7, v54
	v_cmp_gt_u32_e32 vcc, 8, v25
	v_cndmask_b32_e32 v25, v53, v55, vcc
	v_cndmask_b32_e32 v51, v51, v54, vcc
	v_lshlrev_b32_e32 v22, 24, v22
	v_bfrev_b32_e32 v53, 60
	v_lshlrev_b32_e32 v51, 20, v51
	v_and_b32_e32 v22, 0x80000000, v22
	v_lshl_add_u32 v25, v25, 23, v53
	v_or3_b32 v22, v22, v25, v51
	v_lshrrev_b32_e32 v51, 16, v22
.LBB852_393:
	s_or_b64 exec, exec, s[10:11]
.LBB852_394:
	s_or_b64 exec, exec, s[8:9]
.LBB852_395:
	s_or_b64 exec, exec, s[2:3]
	s_mov_b32 s3, 0x5040100
	v_perm_b32 v43, v43, v44, s3
	v_perm_b32 v42, v23, v42, s3
	s_load_dword s2, s[4:5], 0x1c
	s_mov_b32 s46, 0xff7fffff
	s_waitcnt lgkmcnt(0)
	v_mfma_f32_16x16x16bf16_1k v[26:29], v[42:43], v[18:19], v[26:29]
	v_perm_b32 v19, v51, v52, s3
	v_perm_b32 v18, v24, v50, s3
	v_and_b32_e32 v24, 0xc0, v0
	v_mov_b32_e32 v22, s2
	v_add_u32_e32 v24, s20, v24
	v_mul_f32_e32 v44, s12, v22
	v_lshl_or_b32 v42, v1, 2, v24
	v_mfma_f32_16x16x16bf16_1k v[18:21], v[18:19], v[20:21], v[26:29]
	v_pk_mul_f32 v[22:23], v[44:45], v[36:37] op_sel_hi:[0,1]
	v_pk_mul_f32 v[36:37], v[44:45], v[40:41] op_sel_hi:[0,1]
	;; [unrolled: 1-line block ×4, first 2 shown]
	v_mov_b32_e32 v43, 0xff7fffff
	v_cmp_gt_i32_e64 s[26:27], s33, v42
	v_pk_mul_f32 v[38:39], v[44:45], v[38:39] op_sel_hi:[0,1]
	s_nop 3
	v_pk_mul_f32 v[32:33], v[44:45], v[18:19] op_sel_hi:[0,1]
	v_or_b32_e32 v19, 1, v42
	v_cmp_gt_i32_e64 s[28:29], s33, v19
	v_cndmask_b32_e64 v18, v43, v30, s[26:27]
	v_cndmask_b32_e64 v19, v43, v31, s[28:29]
	v_pk_mul_f32 v[24:25], v[44:45], v[20:21] op_sel_hi:[0,1]
	v_max3_f32 v18, v18, s46, v19
	v_or_b32_e32 v19, 2, v42
	v_or_b32_e32 v20, 3, v42
	v_cmp_gt_i32_e64 s[30:31], s33, v19
	v_cmp_gt_i32_e64 s[34:35], s33, v20
	v_cndmask_b32_e64 v19, v43, v40, s[30:31]
	v_cndmask_b32_e64 v20, v43, v41, s[34:35]
	v_max3_f32 v18, v18, v19, v20
	v_or_b32_e32 v19, 16, v42
	v_or_b32_e32 v20, 17, v42
	v_cmp_gt_i32_e64 s[36:37], s33, v19
	v_cmp_gt_i32_e64 s[38:39], s33, v20
	v_cndmask_b32_e64 v19, v43, v38, s[36:37]
	v_cndmask_b32_e64 v20, v43, v39, s[38:39]
	;; [unrolled: 7-line block ×3, first 2 shown]
	v_max3_f32 v18, v18, v19, v20
	v_or_b32_e32 v19, 32, v42
	v_or_b32_e32 v20, 33, v42
	v_pk_mul_f32 v[34:35], v[44:45], v[34:35] op_sel_hi:[0,1]
	v_cmp_gt_i32_e64 s[16:17], s33, v19
	v_cmp_gt_i32_e64 s[18:19], s33, v20
	v_cndmask_b32_e64 v19, v43, v34, s[16:17]
	v_cndmask_b32_e64 v20, v43, v35, s[18:19]
	v_max3_f32 v18, v18, v19, v20
	v_or_b32_e32 v19, 34, v42
	v_or_b32_e32 v20, 35, v42
	v_cmp_gt_i32_e64 s[12:13], s33, v19
	v_cmp_gt_i32_e64 s[14:15], s33, v20
	v_cndmask_b32_e64 v19, v43, v22, s[12:13]
	v_cndmask_b32_e64 v20, v43, v23, s[14:15]
	v_max3_f32 v18, v18, v19, v20
	v_or_b32_e32 v19, 48, v42
	v_or_b32_e32 v20, 49, v42
	;; [unrolled: 7-line block ×3, first 2 shown]
	v_cmp_gt_i32_e32 vcc, s33, v19
	v_cmp_gt_i32_e64 s[2:3], s33, v20
	v_cndmask_b32_e32 v19, v43, v24, vcc
	v_cndmask_b32_e64 v20, v43, v25, s[2:3]
	v_max3_f32 v18, v18, v19, v20
	v_mbcnt_lo_u32_b32 v19, -1, 0
	v_mbcnt_hi_u32_b32 v19, -1, v19
	v_and_b32_e32 v20, 64, v19
	v_add_u32_e32 v20, 64, v20
	v_xor_b32_e32 v21, 32, v19
	v_cmp_lt_i32_e64 s[40:41], v21, v20
	v_cndmask_b32_e64 v21, v19, v21, s[40:41]
	v_lshlrev_b32_e32 v43, 2, v21
	ds_bpermute_b32 v21, v43, v18
	s_barrier
	s_waitcnt lgkmcnt(0)
	v_max_f32_e32 v21, v21, v21
	v_max_f32_e32 v18, v18, v21
	v_xor_b32_e32 v21, 16, v19
	v_cmp_lt_i32_e64 s[40:41], v21, v20
	v_cndmask_b32_e64 v19, v19, v21, s[40:41]
	v_lshlrev_b32_e32 v44, 2, v19
	ds_bpermute_b32 v19, v44, v18
	s_waitcnt lgkmcnt(0)
	v_max_f32_e32 v19, v19, v19
	v_max_f32_e32 v42, v18, v19
	v_sub_f32_e32 v21, v40, v42
	v_sub_f32_e32 v26, v41, v42
	v_mul_f32_e32 v21, 0x3fb8aa3b, v21
	v_mul_f32_e32 v26, 0x3fb8aa3b, v26
	v_sub_f32_e32 v18, v30, v42
	v_exp_f32_e32 v21, v21
	v_exp_f32_e32 v26, v26
	v_mul_f32_e32 v18, 0x3fb8aa3b, v18
	v_sub_f32_e32 v19, v31, v42
	v_exp_f32_e32 v18, v18
	v_mul_f32_e32 v19, 0x3fb8aa3b, v19
	v_exp_f32_e32 v19, v19
	v_cndmask_b32_e64 v28, 0, v21, s[30:31]
	v_cndmask_b32_e64 v29, 0, v26, s[34:35]
	v_sub_f32_e32 v21, v38, v42
	v_sub_f32_e32 v26, v39, v42
	v_mul_f32_e32 v21, 0x3fb8aa3b, v21
	v_mul_f32_e32 v26, 0x3fb8aa3b, v26
	v_cndmask_b32_e64 v18, 0, v18, s[26:27]
	v_exp_f32_e32 v21, v21
	v_exp_f32_e32 v26, v26
	v_add_f32_e32 v20, 0, v18
	v_cndmask_b32_e64 v19, 0, v19, s[28:29]
	v_add_f32_e32 v20, v20, v19
	v_add_f32_e32 v20, v20, v28
	;; [unrolled: 1-line block ×3, first 2 shown]
	v_cndmask_b32_e64 v20, 0, v21, s[36:37]
	v_cndmask_b32_e64 v21, 0, v26, s[38:39]
	v_sub_f32_e32 v26, v36, v42
	v_mul_f32_e32 v26, 0x3fb8aa3b, v26
	v_exp_f32_e32 v26, v26
	v_sub_f32_e32 v30, v37, v42
	v_add_f32_e32 v27, v27, v20
	v_mul_f32_e32 v30, 0x3fb8aa3b, v30
	v_exp_f32_e32 v31, v30
	v_add_f32_e32 v27, v27, v21
	v_cndmask_b32_e64 v30, 0, v26, s[20:21]
	v_add_f32_e32 v26, v27, v30
	v_sub_f32_e32 v27, v34, v42
	v_mul_f32_e32 v27, 0x3fb8aa3b, v27
	v_sub_f32_e32 v34, v35, v42
	v_exp_f32_e32 v27, v27
	v_mul_f32_e32 v34, 0x3fb8aa3b, v34
	v_sub_f32_e32 v22, v22, v42
	v_exp_f32_e32 v34, v34
	;; [unrolled: 3-line block ×3, first 2 shown]
	v_mul_f32_e32 v23, 0x3fb8aa3b, v23
	v_cndmask_b32_e64 v31, 0, v31, s[22:23]
	v_exp_f32_e32 v23, v23
	v_add_f32_e32 v35, v26, v31
	v_cndmask_b32_e64 v26, 0, v27, s[16:17]
	v_add_f32_e32 v35, v35, v26
	v_cndmask_b32_e64 v27, 0, v34, s[18:19]
	;; [unrolled: 2-line block ×4, first 2 shown]
	v_sub_f32_e32 v23, v32, v42
	v_mul_f32_e32 v23, 0x3fb8aa3b, v23
	v_sub_f32_e32 v32, v33, v42
	v_exp_f32_e32 v23, v23
	v_mul_f32_e32 v32, 0x3fb8aa3b, v32
	v_sub_f32_e32 v24, v24, v42
	v_exp_f32_e32 v32, v32
	;; [unrolled: 3-line block ×3, first 2 shown]
	v_mul_f32_e32 v25, 0x3fb8aa3b, v25
	v_exp_f32_e32 v25, v25
	v_add_f32_e32 v33, v22, v35
	v_cndmask_b32_e64 v22, 0, v23, s[8:9]
	v_add_f32_e32 v33, v33, v22
	v_cndmask_b32_e64 v23, 0, v32, s[10:11]
	v_add_f32_e32 v32, v33, v23
	v_cndmask_b32_e32 v24, 0, v24, vcc
	v_add_f32_e32 v32, v32, v24
	v_cndmask_b32_e64 v25, 0, v25, s[2:3]
	v_add_f32_e32 v32, v32, v25
	ds_bpermute_b32 v33, v43, v32
	v_cmp_gt_u32_e32 vcc, 16, v45
	s_waitcnt lgkmcnt(0)
	v_add_f32_e32 v32, v32, v33
	ds_bpermute_b32 v36, v44, v32
	v_lshlrev_b32_e32 v33, 2, v48
	s_and_saveexec_b64 s[2:3], vcc
	s_cbranch_execz .LBB852_397
; %bb.396:
	s_waitcnt lgkmcnt(0)
	v_add_f32_e32 v32, v32, v36
	v_lshl_or_b32 v36, v49, 6, v33
	ds_write2st64_b32 v36, v42, v32 offset1:1
.LBB852_397:
	s_or_b64 exec, exec, s[2:3]
	s_waitcnt lgkmcnt(0)
	s_barrier
	ds_read2_b32 v[36:37], v33 offset1:16
	ds_read2_b32 v[38:39], v33 offset0:32 offset1:48
	ds_read2_b32 v[40:41], v33 offset0:64 offset1:80
	s_mul_i32 s12, s45, 7
	s_waitcnt lgkmcnt(2)
	v_max3_f32 v32, v36, s46, v37
	s_waitcnt lgkmcnt(1)
	v_max3_f32 v32, v32, v38, v39
	v_sub_f32_e32 v36, v36, v32
	v_mul_f32_e32 v36, 0x3fb8aa3b, v36
	v_exp_f32_e32 v42, v36
	v_sub_f32_e32 v36, v37, v32
	v_mul_f32_e32 v36, 0x3fb8aa3b, v36
	v_exp_f32_e32 v43, v36
	;; [unrolled: 3-line block ×3, first 2 shown]
	ds_read2_b32 v[36:37], v33 offset0:96 offset1:112
	v_sub_f32_e32 v33, v39, v32
	v_mul_f32_e32 v33, 0x3fb8aa3b, v33
	v_exp_f32_e32 v39, v33
	s_waitcnt lgkmcnt(1)
	v_fma_f32 v33, v42, v40, 0
	v_fmac_f32_e32 v33, v43, v41
	s_waitcnt lgkmcnt(0)
	v_fmac_f32_e32 v33, v38, v36
	v_fmac_f32_e32 v33, v39, v37
	v_add_f32_e32 v36, 0x358637bd, v33
	v_div_scale_f32 v37, s[2:3], v36, v36, 1.0
	v_rcp_f32_e32 v40, v37
	s_movk_i32 s2, 0x7fff
	s_mov_b32 s3, 0x7060302
	v_fma_f32 v41, -v37, v40, 1.0
	v_fmac_f32_e32 v40, v41, v40
	v_div_scale_f32 v41, vcc, 1.0, v36, 1.0
	v_mul_f32_e32 v44, v41, v40
	v_fma_f32 v45, -v37, v44, v41
	v_fmac_f32_e32 v44, v45, v40
	v_fma_f32 v37, -v37, v44, v41
	v_div_fmas_f32 v37, v37, v40, v44
	v_cmp_eq_u32_e32 vcc, 1, v49
	v_div_fixup_f32 v36, v37, v36, 1.0
	v_cndmask_b32_e32 v37, v42, v43, vcc
	v_cmp_eq_u32_e32 vcc, 2, v49
	v_cndmask_b32_e32 v37, v37, v38, vcc
	v_cmp_eq_u32_e32 vcc, 3, v49
	v_cndmask_b32_e32 v37, v37, v39, vcc
	v_mul_f32_e32 v36, v37, v36
	v_pk_mul_f32 v[18:19], v[36:37], v[18:19] op_sel_hi:[0,1]
	v_pk_mul_f32 v[28:29], v[36:37], v[28:29] op_sel_hi:[0,1]
	v_bfe_u32 v37, v19, 16, 1
	v_bfe_u32 v38, v18, 16, 1
	v_add3_u32 v18, v18, v38, s2
	v_add3_u32 v19, v19, v37, s2
	v_perm_b32 v38, v19, v18, s3
	v_bfe_u32 v18, v29, 16, 1
	v_bfe_u32 v19, v28, 16, 1
	v_add3_u32 v19, v28, v19, s2
	v_add3_u32 v18, v29, v18, s2
	v_perm_b32 v39, v18, v19, s3
	v_lshlrev_b32_e32 v18, 3, v1
	v_lshlrev_b32_e32 v19, 5, v48
	;; [unrolled: 1-line block ×3, first 2 shown]
	v_pk_mul_f32 v[20:21], v[36:37], v[20:21] op_sel_hi:[0,1]
	v_or3_b32 v28, v28, v19, v18
	v_bfe_u32 v18, v21, 16, 1
	v_bfe_u32 v29, v20, 16, 1
	v_pk_mul_f32 v[30:31], v[36:37], v[30:31] op_sel_hi:[0,1]
	v_add3_u32 v20, v20, v29, s2
	v_add3_u32 v18, v21, v18, s2
	v_perm_b32 v20, v18, v20, s3
	v_bfe_u32 v18, v31, 16, 1
	v_bfe_u32 v21, v30, 16, 1
	v_add3_u32 v21, v30, v21, s2
	v_add3_u32 v18, v31, v18, s2
	v_pk_mul_f32 v[26:27], v[36:37], v[26:27] op_sel_hi:[0,1]
	v_perm_b32 v21, v18, v21, s3
	v_bfe_u32 v18, v27, 16, 1
	v_bfe_u32 v29, v26, 16, 1
	s_barrier
	ds_write2st64_b64 v28, v[38:39], v[20:21] offset1:1
	v_pk_mul_f32 v[20:21], v[36:37], v[34:35] op_sel_hi:[0,1]
	v_add3_u32 v26, v26, v29, s2
	v_add3_u32 v18, v27, v18, s2
	v_perm_b32 v26, v18, v26, s3
	v_bfe_u32 v18, v21, 16, 1
	v_bfe_u32 v27, v20, 16, 1
	v_add3_u32 v20, v20, v27, s2
	v_add3_u32 v18, v21, v18, s2
	v_pk_mul_f32 v[22:23], v[36:37], v[22:23] op_sel_hi:[0,1]
	v_perm_b32 v27, v18, v20, s3
	v_pk_mul_f32 v[20:21], v[36:37], v[24:25] op_sel_hi:[0,1]
	v_bfe_u32 v18, v23, 16, 1
	v_bfe_u32 v24, v22, 16, 1
	v_add3_u32 v22, v22, v24, s2
	v_add3_u32 v18, v23, v18, s2
	v_perm_b32 v22, v18, v22, s3
	v_bfe_u32 v18, v21, 16, 1
	v_bfe_u32 v23, v20, 16, 1
	v_add3_u32 v20, v20, v23, s2
	v_add3_u32 v18, v21, v18, s2
	v_perm_b32 v23, v18, v20, s3
	v_cmp_gt_u32_e32 vcc, 7, v0
	ds_write2st64_b64 v28, v[26:27], v[22:23] offset0:2 offset1:3
	s_and_saveexec_b64 s[2:3], vcc
	s_cbranch_execz .LBB852_399
; %bb.398:
	v_add_co_u32_e32 v22, vcc, s25, v48
	v_addc_co_u32_e64 v23, s[14:15], 0, 0, vcc
	v_mov_b32_e32 v18, s12
	v_mov_b32_e32 v21, 0
	v_mad_u64_u32 v[22:23], s[14:15], s6, v18, v[22:23]
	v_mov_b32_e32 v20, s24
	s_load_dwordx4 s[8:11], s[4:5], 0x58
	s_mul_i32 s7, s7, s12
	v_mad_u64_u32 v[20:21], s[14:15], v22, s44, v[20:21]
	v_add_u32_e32 v23, s7, v23
	v_mov_b32_e32 v18, v21
	v_mad_u64_u32 v[22:23], s[14:15], v23, s44, v[18:19]
	v_mov_b32_e32 v21, v22
	v_lshlrev_b64 v[20:21], 2, v[20:21]
	s_waitcnt lgkmcnt(0)
	v_mov_b32_e32 v18, s11
	v_add_co_u32_e32 v22, vcc, s10, v20
	v_addc_co_u32_e32 v23, vcc, v18, v21, vcc
	v_mov_b32_e32 v18, s9
	v_add_co_u32_e32 v20, vcc, s8, v20
	v_addc_co_u32_e32 v21, vcc, v18, v21, vcc
	global_store_dword v[22:23], v32, off
	global_store_dword v[20:21], v33, off
.LBB852_399:
	s_or_b64 exec, exec, s[2:3]
	v_mov_b32_e32 v20, 0
	s_waitcnt vmcnt(3)
	v_cmp_ne_u16_sdwa s[8:9], v14, v20 src0_sel:BYTE_0 src1_sel:DWORD
	v_mov_b32_e32 v21, 0
	s_waitcnt lgkmcnt(0)
	s_barrier
	s_and_saveexec_b64 s[2:3], s[8:9]
	s_cbranch_execz .LBB852_405
; %bb.400:
	s_movk_i32 s7, 0x80
	v_cmp_ne_u16_sdwa s[10:11], v14, s7 src0_sel:BYTE_0 src1_sel:DWORD
	v_mov_b32_e32 v21, 0xffff8000
	s_and_saveexec_b64 s[8:9], s[10:11]
	s_cbranch_execz .LBB852_404
; %bb.401:
	s_movk_i32 s7, 0x7f
	v_and_b32_e32 v18, 0x7f, v14
	v_cmp_ne_u32_e32 vcc, s7, v18
	v_mov_b32_e32 v21, 0x7f80
	s_and_saveexec_b64 s[10:11], vcc
	s_cbranch_execz .LBB852_403
; %bb.402:
	v_and_b32_e32 v21, 7, v14
	v_ffbh_u32_e32 v22, v21
	v_min_u32_e32 v25, 32, v22
	v_subrev_u32_e32 v22, 28, v25
	v_lshlrev_b64 v[22:23], v22, v[14:15]
	v_lshrrev_b32_e32 v24, 3, v18
	v_sub_u32_e32 v23, 29, v25
	v_and_b32_e32 v22, 7, v22
	v_cmp_gt_u32_e32 vcc, 8, v18
	v_cndmask_b32_e32 v18, v24, v23, vcc
	v_cndmask_b32_e32 v21, v21, v22, vcc
	v_lshlrev_b32_e32 v22, 24, v14
	v_bfrev_b32_e32 v23, 60
	v_lshlrev_b32_e32 v21, 20, v21
	v_and_b32_e32 v22, 0x80000000, v22
	v_lshl_add_u32 v18, v18, 23, v23
	v_or3_b32 v18, v22, v18, v21
	v_lshrrev_b32_e32 v21, 16, v18
.LBB852_403:
	s_or_b64 exec, exec, s[10:11]
.LBB852_404:
	s_or_b64 exec, exec, s[8:9]
.LBB852_405:
	s_or_b64 exec, exec, s[2:3]
	v_lshrrev_b16_e32 v18, 8, v14
	v_cmp_ne_u16_e32 vcc, 0, v18
	s_and_saveexec_b64 s[2:3], vcc
	s_cbranch_execz .LBB852_411
; %bb.406:
	s_movk_i32 s7, 0x80
	v_cmp_ne_u16_e32 vcc, s7, v18
	v_mov_b32_e32 v20, 0xffff8000
	s_and_saveexec_b64 s[8:9], vcc
	s_cbranch_execz .LBB852_410
; %bb.407:
	s_movk_i32 s7, 0x7f
	v_and_b32_e32 v22, 0x7f, v18
	v_cmp_ne_u32_e32 vcc, s7, v22
	v_mov_b32_e32 v20, 0x7f80
	s_and_saveexec_b64 s[10:11], vcc
	s_cbranch_execz .LBB852_409
; %bb.408:
	v_and_b32_e32 v20, 7, v18
	v_ffbh_u32_e32 v24, v20
	v_min_u32_e32 v26, 32, v24
	v_subrev_u32_e32 v24, 28, v26
	v_lshlrev_b64 v[24:25], v24, v[18:19]
	v_lshrrev_b32_e32 v23, 3, v22
	v_sub_u32_e32 v18, 29, v26
	v_and_b32_e32 v24, 7, v24
	v_cmp_gt_u32_e32 vcc, 8, v22
	v_cndmask_b32_e32 v18, v23, v18, vcc
	v_cndmask_b32_e32 v20, v20, v24, vcc
	v_lshlrev_b32_e32 v22, 16, v14
	v_bfrev_b32_e32 v23, 60
	v_lshlrev_b32_e32 v20, 20, v20
	v_and_b32_e32 v22, 0x80000000, v22
	v_lshl_add_u32 v18, v18, 23, v23
	v_or3_b32 v18, v22, v18, v20
	v_lshrrev_b32_e32 v20, 16, v18
.LBB852_409:
	s_or_b64 exec, exec, s[10:11]
.LBB852_410:
	s_or_b64 exec, exec, s[8:9]
.LBB852_411:
	s_or_b64 exec, exec, s[2:3]
	s_movk_i32 s2, 0xff
	v_and_b32_sdwa v24, v14, s2 dst_sel:DWORD dst_unused:UNUSED_PAD src0_sel:WORD_1 src1_sel:DWORD
	v_lshrrev_b32_e32 v18, 16, v14
	v_cmp_ne_u16_e32 vcc, 0, v24
	v_mov_b32_e32 v22, 0
	v_mov_b32_e32 v23, 0
	s_and_saveexec_b64 s[2:3], vcc
	s_cbranch_execz .LBB852_417
; %bb.412:
	s_movk_i32 s7, 0x80
	v_cmp_ne_u16_e32 vcc, s7, v24
	v_mov_b32_e32 v23, 0xffff8000
	s_and_saveexec_b64 s[8:9], vcc
	s_cbranch_execz .LBB852_416
; %bb.413:
	v_bfe_u32 v24, v14, 16, 7
	s_movk_i32 s7, 0x7f
	v_cmp_ne_u32_e32 vcc, s7, v24
	v_mov_b32_e32 v23, 0x7f80
	s_and_saveexec_b64 s[10:11], vcc
	s_cbranch_execz .LBB852_415
; %bb.414:
	v_and_b32_e32 v23, 7, v18
	v_ffbh_u32_e32 v26, v23
	v_min_u32_e32 v29, 32, v26
	v_subrev_u32_e32 v26, 28, v29
	v_lshlrev_b64 v[26:27], v26, v[18:19]
	v_lshrrev_b32_e32 v25, 3, v24
	v_sub_u32_e32 v18, 29, v29
	v_and_b32_e32 v26, 7, v26
	v_cmp_gt_u32_e32 vcc, 8, v24
	v_mov_b32_e32 v24, 24
	v_cndmask_b32_e32 v18, v25, v18, vcc
	v_cndmask_b32_e32 v23, v23, v26, vcc
	v_lshlrev_b32_sdwa v24, v24, v14 dst_sel:DWORD dst_unused:UNUSED_PAD src0_sel:DWORD src1_sel:WORD_1
	v_bfrev_b32_e32 v25, 60
	v_lshlrev_b32_e32 v23, 20, v23
	v_and_b32_e32 v24, 0x80000000, v24
	v_lshl_add_u32 v18, v18, 23, v25
	v_or3_b32 v18, v24, v18, v23
	v_lshrrev_b32_e32 v23, 16, v18
.LBB852_415:
	s_or_b64 exec, exec, s[10:11]
.LBB852_416:
	s_or_b64 exec, exec, s[8:9]
.LBB852_417:
	s_or_b64 exec, exec, s[2:3]
	s_mov_b32 s2, 0xffffff
	v_cmp_lt_u32_e32 vcc, s2, v14
	s_and_saveexec_b64 s[2:3], vcc
	s_cbranch_execz .LBB852_423
; %bb.418:
	v_lshrrev_b32_e32 v18, 24, v14
	s_movk_i32 s7, 0x80
	v_cmp_ne_u32_e32 vcc, s7, v18
	v_mov_b32_e32 v22, 0xffff8000
	s_and_saveexec_b64 s[8:9], vcc
	s_cbranch_execz .LBB852_422
; %bb.419:
	v_bfe_u32 v14, v14, 24, 7
	s_movk_i32 s7, 0x7f
	v_cmp_ne_u32_e32 vcc, s7, v14
	v_mov_b32_e32 v22, 0x7f80
	s_and_saveexec_b64 s[10:11], vcc
	s_cbranch_execz .LBB852_421
; %bb.420:
	v_and_b32_e32 v22, 7, v18
	v_ffbh_u32_e32 v24, v22
	v_min_u32_e32 v27, 32, v24
	v_subrev_u32_e32 v24, 28, v27
	v_lshlrev_b64 v[24:25], v24, v[18:19]
	v_lshrrev_b32_e32 v26, 3, v14
	v_sub_u32_e32 v25, 29, v27
	v_and_b32_e32 v24, 7, v24
	v_cmp_gt_u32_e32 vcc, 8, v14
	v_cndmask_b32_e32 v14, v26, v25, vcc
	v_cndmask_b32_e32 v22, v22, v24, vcc
	v_lshlrev_b32_e32 v18, 24, v18
	v_bfrev_b32_e32 v24, 60
	v_lshlrev_b32_e32 v22, 20, v22
	v_and_b32_e32 v18, 0x80000000, v18
	v_lshl_add_u32 v14, v14, 23, v24
	v_or3_b32 v14, v18, v14, v22
	v_lshrrev_b32_e32 v22, 16, v14
.LBB852_421:
	s_or_b64 exec, exec, s[10:11]
.LBB852_422:
	s_or_b64 exec, exec, s[8:9]
.LBB852_423:
	s_or_b64 exec, exec, s[2:3]
	v_mov_b32_e32 v18, 0
	v_cmp_ne_u16_sdwa s[8:9], v15, v18 src0_sel:BYTE_0 src1_sel:DWORD
	v_mov_b32_e32 v24, 0
	s_and_saveexec_b64 s[2:3], s[8:9]
	s_cbranch_execz .LBB852_429
; %bb.424:
	s_movk_i32 s7, 0x80
	v_cmp_ne_u16_sdwa s[10:11], v15, s7 src0_sel:BYTE_0 src1_sel:DWORD
	v_mov_b32_e32 v24, 0xffff8000
	s_and_saveexec_b64 s[8:9], s[10:11]
	s_cbranch_execz .LBB852_428
; %bb.425:
	s_movk_i32 s7, 0x7f
	v_and_b32_e32 v14, 0x7f, v15
	v_cmp_ne_u32_e32 vcc, s7, v14
	v_mov_b32_e32 v24, 0x7f80
	s_and_saveexec_b64 s[10:11], vcc
	s_cbranch_execz .LBB852_427
; %bb.426:
	v_and_b32_e32 v26, 7, v15
	v_ffbh_u32_e32 v25, v26
	v_min_u32_e32 v29, 32, v25
	v_mov_b32_e32 v24, v15
	v_subrev_u32_e32 v25, 28, v29
	v_lshlrev_b64 v[24:25], v25, v[24:25]
	v_lshrrev_b32_e32 v27, 3, v14
	v_sub_u32_e32 v25, 29, v29
	v_and_b32_e32 v24, 7, v24
	v_cmp_gt_u32_e32 vcc, 8, v14
	v_cndmask_b32_e32 v14, v27, v25, vcc
	v_cndmask_b32_e32 v24, v26, v24, vcc
	v_lshlrev_b32_e32 v25, 24, v15
	v_bfrev_b32_e32 v26, 60
	v_lshlrev_b32_e32 v24, 20, v24
	v_and_b32_e32 v25, 0x80000000, v25
	v_lshl_add_u32 v14, v14, 23, v26
	v_or3_b32 v14, v25, v14, v24
	v_lshrrev_b32_e32 v24, 16, v14
.LBB852_427:
	s_or_b64 exec, exec, s[10:11]
.LBB852_428:
	s_or_b64 exec, exec, s[8:9]
.LBB852_429:
	s_or_b64 exec, exec, s[2:3]
	v_lshrrev_b16_e32 v14, 8, v15
	v_cmp_ne_u16_e32 vcc, 0, v14
	s_and_saveexec_b64 s[2:3], vcc
	s_cbranch_execz .LBB852_435
; %bb.430:
	s_movk_i32 s7, 0x80
	v_cmp_ne_u16_e32 vcc, s7, v14
	v_mov_b32_e32 v18, 0xffff8000
	s_and_saveexec_b64 s[8:9], vcc
	s_cbranch_execz .LBB852_434
; %bb.431:
	s_movk_i32 s7, 0x7f
	v_and_b32_e32 v25, 0x7f, v14
	v_cmp_ne_u32_e32 vcc, s7, v25
	v_mov_b32_e32 v18, 0x7f80
	s_and_saveexec_b64 s[10:11], vcc
	s_cbranch_execz .LBB852_433
; %bb.432:
	v_and_b32_e32 v18, 7, v14
	v_ffbh_u32_e32 v26, v18
	v_min_u32_e32 v30, 32, v26
	v_subrev_u32_e32 v26, 28, v30
	v_lshlrev_b64 v[26:27], v26, v[14:15]
	v_lshrrev_b32_e32 v29, 3, v25
	v_sub_u32_e32 v14, 29, v30
	v_and_b32_e32 v26, 7, v26
	v_cmp_gt_u32_e32 vcc, 8, v25
	v_cndmask_b32_e32 v14, v29, v14, vcc
	v_cndmask_b32_e32 v18, v18, v26, vcc
	v_lshlrev_b32_e32 v25, 16, v15
	v_bfrev_b32_e32 v26, 60
	v_lshlrev_b32_e32 v18, 20, v18
	v_and_b32_e32 v25, 0x80000000, v25
	v_lshl_add_u32 v14, v14, 23, v26
	v_or3_b32 v14, v25, v14, v18
	v_lshrrev_b32_e32 v18, 16, v14
.LBB852_433:
	s_or_b64 exec, exec, s[10:11]
.LBB852_434:
	s_or_b64 exec, exec, s[8:9]
.LBB852_435:
	s_or_b64 exec, exec, s[2:3]
	s_movk_i32 s2, 0xff
	v_and_b32_sdwa v27, v15, s2 dst_sel:DWORD dst_unused:UNUSED_PAD src0_sel:WORD_1 src1_sel:DWORD
	v_lshrrev_b32_e32 v14, 16, v15
	v_cmp_ne_u16_e32 vcc, 0, v27
	v_mov_b32_e32 v25, 0
	v_mov_b32_e32 v26, 0
	s_and_saveexec_b64 s[2:3], vcc
	s_cbranch_execz .LBB852_441
; %bb.436:
	s_movk_i32 s7, 0x80
	v_cmp_ne_u16_e32 vcc, s7, v27
	v_mov_b32_e32 v26, 0xffff8000
	s_and_saveexec_b64 s[8:9], vcc
	s_cbranch_execz .LBB852_440
; %bb.437:
	v_bfe_u32 v27, v15, 16, 7
	s_movk_i32 s7, 0x7f
	v_cmp_ne_u32_e32 vcc, s7, v27
	v_mov_b32_e32 v26, 0x7f80
	s_and_saveexec_b64 s[10:11], vcc
	s_cbranch_execz .LBB852_439
; %bb.438:
	v_and_b32_e32 v26, 7, v14
	v_ffbh_u32_e32 v30, v26
	v_min_u32_e32 v32, 32, v30
	v_subrev_u32_e32 v30, 28, v32
	v_lshlrev_b64 v[30:31], v30, v[14:15]
	v_lshrrev_b32_e32 v29, 3, v27
	v_sub_u32_e32 v14, 29, v32
	v_and_b32_e32 v30, 7, v30
	v_cmp_gt_u32_e32 vcc, 8, v27
	v_mov_b32_e32 v27, 24
	v_cndmask_b32_e32 v14, v29, v14, vcc
	v_cndmask_b32_e32 v26, v26, v30, vcc
	v_lshlrev_b32_sdwa v27, v27, v15 dst_sel:DWORD dst_unused:UNUSED_PAD src0_sel:DWORD src1_sel:WORD_1
	v_bfrev_b32_e32 v29, 60
	v_lshlrev_b32_e32 v26, 20, v26
	v_and_b32_e32 v27, 0x80000000, v27
	v_lshl_add_u32 v14, v14, 23, v29
	v_or3_b32 v14, v27, v14, v26
	v_lshrrev_b32_e32 v26, 16, v14
.LBB852_439:
	s_or_b64 exec, exec, s[10:11]
.LBB852_440:
	s_or_b64 exec, exec, s[8:9]
.LBB852_441:
	s_or_b64 exec, exec, s[2:3]
	s_mov_b32 s2, 0xffffff
	v_cmp_lt_u32_e32 vcc, s2, v15
	s_and_saveexec_b64 s[2:3], vcc
	s_cbranch_execz .LBB852_447
; %bb.442:
	v_lshrrev_b32_e32 v14, 24, v15
	s_movk_i32 s7, 0x80
	v_cmp_ne_u32_e32 vcc, s7, v14
	v_mov_b32_e32 v25, 0xffff8000
	s_and_saveexec_b64 s[8:9], vcc
	s_cbranch_execz .LBB852_446
; %bb.443:
	v_bfe_u32 v15, v15, 24, 7
	s_movk_i32 s7, 0x7f
	v_cmp_ne_u32_e32 vcc, s7, v15
	v_mov_b32_e32 v25, 0x7f80
	s_and_saveexec_b64 s[10:11], vcc
	s_cbranch_execz .LBB852_445
; %bb.444:
	v_and_b32_e32 v25, 7, v14
	v_ffbh_u32_e32 v29, v25
	v_min_u32_e32 v29, 32, v29
	v_subrev_u32_e32 v30, 28, v29
	v_lshlrev_b64 v[30:31], v30, v[14:15]
	v_lshrrev_b32_e32 v27, 3, v15
	v_sub_u32_e32 v29, 29, v29
	v_and_b32_e32 v30, 7, v30
	v_cmp_gt_u32_e32 vcc, 8, v15
	v_cndmask_b32_e32 v15, v27, v29, vcc
	v_cndmask_b32_e32 v25, v25, v30, vcc
	v_lshlrev_b32_e32 v14, 24, v14
	v_bfrev_b32_e32 v27, 60
	v_lshlrev_b32_e32 v25, 20, v25
	v_and_b32_e32 v14, 0x80000000, v14
	v_lshl_add_u32 v15, v15, 23, v27
	v_or3_b32 v14, v14, v15, v25
	v_lshrrev_b32_e32 v25, 16, v14
.LBB852_445:
	s_or_b64 exec, exec, s[10:11]
.LBB852_446:
	s_or_b64 exec, exec, s[8:9]
.LBB852_447:
	s_or_b64 exec, exec, s[2:3]
	s_mov_b32 s2, 0x5040100
	v_perm_b32 v15, v22, v23, s2
	v_lshl_or_b32 v22, v1, 9, v19
	v_perm_b32 v14, v20, v21, s2
	ds_read_b128 v[30:33], v22
	v_perm_b32 v19, v25, v26, s2
	v_perm_b32 v18, v18, v24, s2
	s_waitcnt lgkmcnt(0)
	v_mfma_f32_16x16x16bf16_1k v[34:37], v[14:15], v[30:31], 0
	v_mov_b32_e32 v15, 0
	v_cmp_ne_u16_sdwa s[8:9], v16, v15 src0_sel:BYTE_0 src1_sel:DWORD
	v_mov_b32_e32 v23, 0
	v_mfma_f32_16x16x16bf16_1k v[18:21], v[18:19], v[32:33], v[34:37]
	s_and_saveexec_b64 s[2:3], s[8:9]
	s_cbranch_execz .LBB852_453
; %bb.448:
	s_movk_i32 s7, 0x80
	v_cmp_ne_u16_sdwa s[10:11], v16, s7 src0_sel:BYTE_0 src1_sel:DWORD
	v_mov_b32_e32 v23, 0xffff8000
	s_and_saveexec_b64 s[8:9], s[10:11]
	s_cbranch_execz .LBB852_452
; %bb.449:
	s_movk_i32 s7, 0x7f
	v_and_b32_e32 v14, 0x7f, v16
	v_cmp_ne_u32_e32 vcc, s7, v14
	v_mov_b32_e32 v23, 0x7f80
	s_and_saveexec_b64 s[10:11], vcc
	s_cbranch_execz .LBB852_451
; %bb.450:
	v_and_b32_e32 v23, 7, v16
	v_ffbh_u32_e32 v24, v23
	v_min_u32_e32 v27, 32, v24
	v_subrev_u32_e32 v24, 28, v27
	v_lshlrev_b64 v[24:25], v24, v[16:17]
	v_lshrrev_b32_e32 v26, 3, v14
	v_sub_u32_e32 v25, 29, v27
	v_and_b32_e32 v24, 7, v24
	v_cmp_gt_u32_e32 vcc, 8, v14
	v_cndmask_b32_e32 v14, v26, v25, vcc
	v_cndmask_b32_e32 v23, v23, v24, vcc
	v_lshlrev_b32_e32 v24, 24, v16
	v_bfrev_b32_e32 v25, 60
	v_lshlrev_b32_e32 v23, 20, v23
	v_and_b32_e32 v24, 0x80000000, v24
	v_lshl_add_u32 v14, v14, 23, v25
	v_or3_b32 v14, v24, v14, v23
	v_lshrrev_b32_e32 v23, 16, v14
.LBB852_451:
	s_or_b64 exec, exec, s[10:11]
.LBB852_452:
	s_or_b64 exec, exec, s[8:9]
.LBB852_453:
	s_or_b64 exec, exec, s[2:3]
	v_lshrrev_b16_e32 v14, 8, v16
	v_cmp_ne_u16_e32 vcc, 0, v14
	s_and_saveexec_b64 s[2:3], vcc
	s_cbranch_execz .LBB852_459
; %bb.454:
	s_movk_i32 s7, 0x80
	v_cmp_ne_u16_e32 vcc, s7, v14
	v_mov_b32_e32 v15, 0xffff8000
	s_and_saveexec_b64 s[8:9], vcc
	s_cbranch_execz .LBB852_458
; %bb.455:
	s_movk_i32 s7, 0x7f
	v_and_b32_e32 v24, 0x7f, v14
	v_cmp_ne_u32_e32 vcc, s7, v24
	v_mov_b32_e32 v15, 0x7f80
	s_and_saveexec_b64 s[10:11], vcc
	s_cbranch_execz .LBB852_457
; %bb.456:
	v_and_b32_e32 v25, 7, v14
	v_ffbh_u32_e32 v15, v25
	v_min_u32_e32 v27, 32, v15
	v_subrev_u32_e32 v15, 28, v27
	v_lshlrev_b64 v[14:15], v15, v[14:15]
	v_lshrrev_b32_e32 v26, 3, v24
	v_sub_u32_e32 v15, 29, v27
	v_and_b32_e32 v14, 7, v14
	v_cmp_gt_u32_e32 vcc, 8, v24
	v_cndmask_b32_e32 v15, v26, v15, vcc
	v_cndmask_b32_e32 v14, v25, v14, vcc
	v_lshlrev_b32_e32 v24, 16, v16
	v_bfrev_b32_e32 v25, 60
	v_lshlrev_b32_e32 v14, 20, v14
	v_and_b32_e32 v24, 0x80000000, v24
	v_lshl_add_u32 v15, v15, 23, v25
	v_or3_b32 v14, v24, v15, v14
	v_lshrrev_b32_e32 v15, 16, v14
.LBB852_457:
	s_or_b64 exec, exec, s[10:11]
.LBB852_458:
	s_or_b64 exec, exec, s[8:9]
.LBB852_459:
	s_or_b64 exec, exec, s[2:3]
	s_movk_i32 s2, 0xff
	v_and_b32_sdwa v26, v16, s2 dst_sel:DWORD dst_unused:UNUSED_PAD src0_sel:WORD_1 src1_sel:DWORD
	v_lshrrev_b32_e32 v14, 16, v16
	v_cmp_ne_u16_e32 vcc, 0, v26
	v_mov_b32_e32 v24, 0
	v_mov_b32_e32 v25, 0
	s_and_saveexec_b64 s[2:3], vcc
	s_cbranch_execz .LBB852_465
; %bb.460:
	s_movk_i32 s7, 0x80
	v_cmp_ne_u16_e32 vcc, s7, v26
	v_mov_b32_e32 v25, 0xffff8000
	s_and_saveexec_b64 s[8:9], vcc
	s_cbranch_execz .LBB852_464
; %bb.461:
	v_bfe_u32 v26, v16, 16, 7
	s_movk_i32 s7, 0x7f
	v_cmp_ne_u32_e32 vcc, s7, v26
	v_mov_b32_e32 v25, 0x7f80
	s_and_saveexec_b64 s[10:11], vcc
	s_cbranch_execz .LBB852_463
; %bb.462:
	v_and_b32_e32 v25, 7, v14
	v_ffbh_u32_e32 v29, v25
	v_min_u32_e32 v29, 32, v29
	v_subrev_u32_e32 v30, 28, v29
	v_lshlrev_b64 v[30:31], v30, v[14:15]
	v_lshrrev_b32_e32 v27, 3, v26
	v_sub_u32_e32 v14, 29, v29
	v_and_b32_e32 v29, 7, v30
	v_cmp_gt_u32_e32 vcc, 8, v26
	v_mov_b32_e32 v26, 24
	v_cndmask_b32_e32 v14, v27, v14, vcc
	v_cndmask_b32_e32 v25, v25, v29, vcc
	v_lshlrev_b32_sdwa v26, v26, v16 dst_sel:DWORD dst_unused:UNUSED_PAD src0_sel:DWORD src1_sel:WORD_1
	v_bfrev_b32_e32 v27, 60
	v_lshlrev_b32_e32 v25, 20, v25
	v_and_b32_e32 v26, 0x80000000, v26
	v_lshl_add_u32 v14, v14, 23, v27
	v_or3_b32 v14, v26, v14, v25
	v_lshrrev_b32_e32 v25, 16, v14
.LBB852_463:
	s_or_b64 exec, exec, s[10:11]
.LBB852_464:
	s_or_b64 exec, exec, s[8:9]
.LBB852_465:
	s_or_b64 exec, exec, s[2:3]
	s_mov_b32 s2, 0xffffff
	v_cmp_lt_u32_e32 vcc, s2, v16
	s_and_saveexec_b64 s[2:3], vcc
	s_cbranch_execz .LBB852_471
; %bb.466:
	v_lshrrev_b32_e32 v14, 24, v16
	s_movk_i32 s7, 0x80
	v_cmp_ne_u32_e32 vcc, s7, v14
	v_mov_b32_e32 v24, 0xffff8000
	s_and_saveexec_b64 s[8:9], vcc
	s_cbranch_execz .LBB852_470
; %bb.467:
	v_bfe_u32 v16, v16, 24, 7
	s_movk_i32 s7, 0x7f
	v_cmp_ne_u32_e32 vcc, s7, v16
	v_mov_b32_e32 v24, 0x7f80
	s_and_saveexec_b64 s[10:11], vcc
	s_cbranch_execz .LBB852_469
; %bb.468:
	v_and_b32_e32 v24, 7, v14
	v_ffbh_u32_e32 v26, v24
	v_min_u32_e32 v30, 32, v26
	v_subrev_u32_e32 v26, 28, v30
	v_lshlrev_b64 v[26:27], v26, v[14:15]
	v_lshrrev_b32_e32 v29, 3, v16
	v_sub_u32_e32 v27, 29, v30
	v_and_b32_e32 v26, 7, v26
	v_cmp_gt_u32_e32 vcc, 8, v16
	v_cndmask_b32_e32 v16, v29, v27, vcc
	v_cndmask_b32_e32 v24, v24, v26, vcc
	v_lshlrev_b32_e32 v14, 24, v14
	v_bfrev_b32_e32 v26, 60
	v_lshlrev_b32_e32 v24, 20, v24
	v_and_b32_e32 v14, 0x80000000, v14
	v_lshl_add_u32 v16, v16, 23, v26
	v_or3_b32 v14, v14, v16, v24
	v_lshrrev_b32_e32 v24, 16, v14
.LBB852_469:
	s_or_b64 exec, exec, s[10:11]
.LBB852_470:
	s_or_b64 exec, exec, s[8:9]
.LBB852_471:
	s_or_b64 exec, exec, s[2:3]
	v_mov_b32_e32 v16, 0
	v_cmp_ne_u16_sdwa s[8:9], v17, v16 src0_sel:BYTE_0 src1_sel:DWORD
	v_mov_b32_e32 v26, 0
	s_and_saveexec_b64 s[2:3], s[8:9]
	s_cbranch_execz .LBB852_477
; %bb.472:
	s_movk_i32 s7, 0x80
	v_cmp_ne_u16_sdwa s[10:11], v17, s7 src0_sel:BYTE_0 src1_sel:DWORD
	v_mov_b32_e32 v26, 0xffff8000
	s_and_saveexec_b64 s[8:9], s[10:11]
	s_cbranch_execz .LBB852_476
; %bb.473:
	s_movk_i32 s7, 0x7f
	v_and_b32_e32 v14, 0x7f, v17
	v_cmp_ne_u32_e32 vcc, s7, v14
	v_mov_b32_e32 v26, 0x7f80
	s_and_saveexec_b64 s[10:11], vcc
	s_cbranch_execz .LBB852_475
; %bb.474:
	v_and_b32_e32 v29, 7, v17
	v_ffbh_u32_e32 v27, v29
	v_min_u32_e32 v31, 32, v27
	v_mov_b32_e32 v26, v17
	v_subrev_u32_e32 v27, 28, v31
	v_lshlrev_b64 v[26:27], v27, v[26:27]
	v_lshrrev_b32_e32 v30, 3, v14
	v_sub_u32_e32 v27, 29, v31
	v_and_b32_e32 v26, 7, v26
	v_cmp_gt_u32_e32 vcc, 8, v14
	v_cndmask_b32_e32 v14, v30, v27, vcc
	v_cndmask_b32_e32 v26, v29, v26, vcc
	v_lshlrev_b32_e32 v27, 24, v17
	v_bfrev_b32_e32 v29, 60
	v_lshlrev_b32_e32 v26, 20, v26
	v_and_b32_e32 v27, 0x80000000, v27
	v_lshl_add_u32 v14, v14, 23, v29
	v_or3_b32 v14, v27, v14, v26
	v_lshrrev_b32_e32 v26, 16, v14
.LBB852_475:
	s_or_b64 exec, exec, s[10:11]
.LBB852_476:
	s_or_b64 exec, exec, s[8:9]
.LBB852_477:
	s_or_b64 exec, exec, s[2:3]
	v_lshrrev_b16_e32 v14, 8, v17
	v_cmp_ne_u16_e32 vcc, 0, v14
	s_and_saveexec_b64 s[2:3], vcc
	s_cbranch_execz .LBB852_483
; %bb.478:
	s_movk_i32 s7, 0x80
	v_cmp_ne_u16_e32 vcc, s7, v14
	v_mov_b32_e32 v16, 0xffff8000
	s_and_saveexec_b64 s[8:9], vcc
	s_cbranch_execz .LBB852_482
; %bb.479:
	s_movk_i32 s7, 0x7f
	v_and_b32_e32 v27, 0x7f, v14
	v_cmp_ne_u32_e32 vcc, s7, v27
	v_mov_b32_e32 v16, 0x7f80
	s_and_saveexec_b64 s[10:11], vcc
	s_cbranch_execz .LBB852_481
; %bb.480:
	v_and_b32_e32 v16, 7, v14
	v_ffbh_u32_e32 v30, v16
	v_min_u32_e32 v32, 32, v30
	v_subrev_u32_e32 v30, 28, v32
	v_lshlrev_b64 v[30:31], v30, v[14:15]
	v_lshrrev_b32_e32 v29, 3, v27
	v_sub_u32_e32 v14, 29, v32
	v_and_b32_e32 v30, 7, v30
	v_cmp_gt_u32_e32 vcc, 8, v27
	v_cndmask_b32_e32 v14, v29, v14, vcc
	v_cndmask_b32_e32 v16, v16, v30, vcc
	v_lshlrev_b32_e32 v27, 16, v17
	v_bfrev_b32_e32 v29, 60
	v_lshlrev_b32_e32 v16, 20, v16
	v_and_b32_e32 v27, 0x80000000, v27
	v_lshl_add_u32 v14, v14, 23, v29
	v_or3_b32 v14, v27, v14, v16
	v_lshrrev_b32_e32 v16, 16, v14
.LBB852_481:
	s_or_b64 exec, exec, s[10:11]
.LBB852_482:
	s_or_b64 exec, exec, s[8:9]
.LBB852_483:
	s_or_b64 exec, exec, s[2:3]
	s_movk_i32 s2, 0xff
	v_and_b32_sdwa v30, v17, s2 dst_sel:DWORD dst_unused:UNUSED_PAD src0_sel:WORD_1 src1_sel:DWORD
	v_lshrrev_b32_e32 v14, 16, v17
	v_cmp_ne_u16_e32 vcc, 0, v30
	v_mov_b32_e32 v27, 0
	v_mov_b32_e32 v29, 0
	s_and_saveexec_b64 s[2:3], vcc
	s_cbranch_execz .LBB852_489
; %bb.484:
	s_movk_i32 s7, 0x80
	v_cmp_ne_u16_e32 vcc, s7, v30
	v_mov_b32_e32 v29, 0xffff8000
	s_and_saveexec_b64 s[8:9], vcc
	s_cbranch_execz .LBB852_488
; %bb.485:
	v_bfe_u32 v30, v17, 16, 7
	s_movk_i32 s7, 0x7f
	v_cmp_ne_u32_e32 vcc, s7, v30
	v_mov_b32_e32 v29, 0x7f80
	s_and_saveexec_b64 s[10:11], vcc
	s_cbranch_execz .LBB852_487
; %bb.486:
	v_and_b32_e32 v29, 7, v14
	v_ffbh_u32_e32 v32, v29
	v_min_u32_e32 v34, 32, v32
	v_subrev_u32_e32 v32, 28, v34
	v_lshlrev_b64 v[32:33], v32, v[14:15]
	v_lshrrev_b32_e32 v31, 3, v30
	v_sub_u32_e32 v14, 29, v34
	v_and_b32_e32 v32, 7, v32
	v_cmp_gt_u32_e32 vcc, 8, v30
	v_mov_b32_e32 v30, 24
	v_cndmask_b32_e32 v14, v31, v14, vcc
	v_cndmask_b32_e32 v29, v29, v32, vcc
	v_lshlrev_b32_sdwa v30, v30, v17 dst_sel:DWORD dst_unused:UNUSED_PAD src0_sel:DWORD src1_sel:WORD_1
	v_bfrev_b32_e32 v31, 60
	v_lshlrev_b32_e32 v29, 20, v29
	v_and_b32_e32 v30, 0x80000000, v30
	v_lshl_add_u32 v14, v14, 23, v31
	v_or3_b32 v14, v30, v14, v29
	v_lshrrev_b32_e32 v29, 16, v14
.LBB852_487:
	s_or_b64 exec, exec, s[10:11]
.LBB852_488:
	s_or_b64 exec, exec, s[8:9]
.LBB852_489:
	s_or_b64 exec, exec, s[2:3]
	s_mov_b32 s2, 0xffffff
	v_cmp_lt_u32_e32 vcc, s2, v17
	s_and_saveexec_b64 s[2:3], vcc
	s_cbranch_execz .LBB852_495
; %bb.490:
	v_lshrrev_b32_e32 v14, 24, v17
	s_movk_i32 s7, 0x80
	v_cmp_ne_u32_e32 vcc, s7, v14
	v_mov_b32_e32 v27, 0xffff8000
	s_and_saveexec_b64 s[8:9], vcc
	s_cbranch_execz .LBB852_494
; %bb.491:
	v_bfe_u32 v17, v17, 24, 7
	s_movk_i32 s7, 0x7f
	v_cmp_ne_u32_e32 vcc, s7, v17
	v_mov_b32_e32 v27, 0x7f80
	s_and_saveexec_b64 s[10:11], vcc
	s_cbranch_execz .LBB852_493
; %bb.492:
	v_and_b32_e32 v27, 7, v14
	v_ffbh_u32_e32 v30, v27
	v_min_u32_e32 v33, 32, v30
	v_subrev_u32_e32 v30, 28, v33
	v_lshlrev_b64 v[30:31], v30, v[14:15]
	v_lshrrev_b32_e32 v32, 3, v17
	v_sub_u32_e32 v31, 29, v33
	v_and_b32_e32 v30, 7, v30
	v_cmp_gt_u32_e32 vcc, 8, v17
	v_cndmask_b32_e32 v17, v32, v31, vcc
	v_cndmask_b32_e32 v27, v27, v30, vcc
	v_lshlrev_b32_e32 v14, 24, v14
	v_bfrev_b32_e32 v30, 60
	v_lshlrev_b32_e32 v27, 20, v27
	v_and_b32_e32 v14, 0x80000000, v14
	v_lshl_add_u32 v17, v17, 23, v30
	v_or3_b32 v14, v14, v17, v27
	v_lshrrev_b32_e32 v27, 16, v14
.LBB852_493:
	s_or_b64 exec, exec, s[10:11]
.LBB852_494:
	s_or_b64 exec, exec, s[8:9]
.LBB852_495:
	s_or_b64 exec, exec, s[2:3]
	s_mov_b32 s2, 0x5040100
	v_perm_b32 v25, v24, v25, s2
	v_perm_b32 v24, v15, v23, s2
	ds_read_b128 v[30:33], v22 offset:16
	v_perm_b32 v15, v27, v29, s2
	v_perm_b32 v14, v16, v26, s2
	s_waitcnt lgkmcnt(0)
	v_mfma_f32_16x16x16bf16_1k v[34:37], v[24:25], v[30:31], v[18:21]
	s_nop 6
	v_mov_b32_e32 v19, 0
	s_waitcnt vmcnt(2)
	v_cmp_ne_u16_sdwa s[8:9], v10, v19 src0_sel:BYTE_0 src1_sel:DWORD
	v_mfma_f32_16x16x16bf16_1k v[14:17], v[14:15], v[32:33], v[34:37]
	v_mov_b32_e32 v20, 0
	s_and_saveexec_b64 s[2:3], s[8:9]
	s_cbranch_execz .LBB852_501
; %bb.496:
	s_movk_i32 s7, 0x80
	v_cmp_ne_u16_sdwa s[10:11], v10, s7 src0_sel:BYTE_0 src1_sel:DWORD
	v_mov_b32_e32 v20, 0xffff8000
	s_and_saveexec_b64 s[8:9], s[10:11]
	s_cbranch_execz .LBB852_500
; %bb.497:
	s_movk_i32 s7, 0x7f
	v_and_b32_e32 v18, 0x7f, v10
	v_cmp_ne_u32_e32 vcc, s7, v18
	v_mov_b32_e32 v20, 0x7f80
	s_and_saveexec_b64 s[10:11], vcc
	s_cbranch_execz .LBB852_499
; %bb.498:
	v_and_b32_e32 v23, 7, v10
	v_ffbh_u32_e32 v20, v23
	v_min_u32_e32 v25, 32, v20
	v_subrev_u32_e32 v20, 28, v25
	v_lshlrev_b64 v[20:21], v20, v[10:11]
	v_lshrrev_b32_e32 v24, 3, v18
	v_sub_u32_e32 v21, 29, v25
	v_and_b32_e32 v20, 7, v20
	v_cmp_gt_u32_e32 vcc, 8, v18
	v_cndmask_b32_e32 v18, v24, v21, vcc
	v_cndmask_b32_e32 v20, v23, v20, vcc
	v_lshlrev_b32_e32 v21, 24, v10
	v_bfrev_b32_e32 v23, 60
	v_lshlrev_b32_e32 v20, 20, v20
	v_and_b32_e32 v21, 0x80000000, v21
	v_lshl_add_u32 v18, v18, 23, v23
	v_or3_b32 v18, v21, v18, v20
	v_lshrrev_b32_e32 v20, 16, v18
.LBB852_499:
	s_or_b64 exec, exec, s[10:11]
.LBB852_500:
	s_or_b64 exec, exec, s[8:9]
.LBB852_501:
	s_or_b64 exec, exec, s[2:3]
	v_lshrrev_b16_e32 v18, 8, v10
	v_cmp_ne_u16_e32 vcc, 0, v18
	s_and_saveexec_b64 s[2:3], vcc
	s_cbranch_execz .LBB852_507
; %bb.502:
	s_movk_i32 s7, 0x80
	v_cmp_ne_u16_e32 vcc, s7, v18
	v_mov_b32_e32 v19, 0xffff8000
	s_and_saveexec_b64 s[8:9], vcc
	s_cbranch_execz .LBB852_506
; %bb.503:
	s_movk_i32 s7, 0x7f
	v_and_b32_e32 v21, 0x7f, v18
	v_cmp_ne_u32_e32 vcc, s7, v21
	v_mov_b32_e32 v19, 0x7f80
	s_and_saveexec_b64 s[10:11], vcc
	s_cbranch_execz .LBB852_505
; %bb.504:
	v_and_b32_e32 v23, 7, v18
	v_ffbh_u32_e32 v19, v23
	v_min_u32_e32 v25, 32, v19
	v_subrev_u32_e32 v19, 28, v25
	v_lshlrev_b64 v[18:19], v19, v[18:19]
	v_lshrrev_b32_e32 v24, 3, v21
	v_sub_u32_e32 v19, 29, v25
	v_and_b32_e32 v18, 7, v18
	v_cmp_gt_u32_e32 vcc, 8, v21
	v_cndmask_b32_e32 v19, v24, v19, vcc
	v_cndmask_b32_e32 v18, v23, v18, vcc
	v_lshlrev_b32_e32 v21, 16, v10
	v_bfrev_b32_e32 v23, 60
	v_lshlrev_b32_e32 v18, 20, v18
	v_and_b32_e32 v21, 0x80000000, v21
	v_lshl_add_u32 v19, v19, 23, v23
	v_or3_b32 v18, v21, v19, v18
	v_lshrrev_b32_e32 v19, 16, v18
.LBB852_505:
	s_or_b64 exec, exec, s[10:11]
.LBB852_506:
	s_or_b64 exec, exec, s[8:9]
.LBB852_507:
	s_or_b64 exec, exec, s[2:3]
	s_movk_i32 s2, 0xff
	v_and_b32_sdwa v24, v10, s2 dst_sel:DWORD dst_unused:UNUSED_PAD src0_sel:WORD_1 src1_sel:DWORD
	v_lshrrev_b32_e32 v18, 16, v10
	v_cmp_ne_u16_e32 vcc, 0, v24
	v_mov_b32_e32 v21, 0
	v_mov_b32_e32 v23, 0
	s_and_saveexec_b64 s[2:3], vcc
	s_cbranch_execz .LBB852_513
; %bb.508:
	s_movk_i32 s7, 0x80
	v_cmp_ne_u16_e32 vcc, s7, v24
	v_mov_b32_e32 v23, 0xffff8000
	s_and_saveexec_b64 s[8:9], vcc
	s_cbranch_execz .LBB852_512
; %bb.509:
	v_bfe_u32 v24, v10, 16, 7
	s_movk_i32 s7, 0x7f
	v_cmp_ne_u32_e32 vcc, s7, v24
	v_mov_b32_e32 v23, 0x7f80
	s_and_saveexec_b64 s[10:11], vcc
	s_cbranch_execz .LBB852_511
; %bb.510:
	v_and_b32_e32 v23, 7, v18
	v_ffbh_u32_e32 v26, v23
	v_min_u32_e32 v29, 32, v26
	v_subrev_u32_e32 v26, 28, v29
	v_lshlrev_b64 v[26:27], v26, v[18:19]
	v_lshrrev_b32_e32 v25, 3, v24
	v_sub_u32_e32 v18, 29, v29
	v_and_b32_e32 v26, 7, v26
	v_cmp_gt_u32_e32 vcc, 8, v24
	v_mov_b32_e32 v24, 24
	v_cndmask_b32_e32 v18, v25, v18, vcc
	v_cndmask_b32_e32 v23, v23, v26, vcc
	v_lshlrev_b32_sdwa v24, v24, v10 dst_sel:DWORD dst_unused:UNUSED_PAD src0_sel:DWORD src1_sel:WORD_1
	v_bfrev_b32_e32 v25, 60
	v_lshlrev_b32_e32 v23, 20, v23
	v_and_b32_e32 v24, 0x80000000, v24
	v_lshl_add_u32 v18, v18, 23, v25
	v_or3_b32 v18, v24, v18, v23
	v_lshrrev_b32_e32 v23, 16, v18
.LBB852_511:
	s_or_b64 exec, exec, s[10:11]
.LBB852_512:
	s_or_b64 exec, exec, s[8:9]
.LBB852_513:
	s_or_b64 exec, exec, s[2:3]
	s_mov_b32 s2, 0xffffff
	v_cmp_lt_u32_e32 vcc, s2, v10
	s_and_saveexec_b64 s[2:3], vcc
	s_cbranch_execz .LBB852_519
; %bb.514:
	v_lshrrev_b32_e32 v18, 24, v10
	s_movk_i32 s7, 0x80
	v_cmp_ne_u32_e32 vcc, s7, v18
	v_mov_b32_e32 v21, 0xffff8000
	s_and_saveexec_b64 s[8:9], vcc
	s_cbranch_execz .LBB852_518
; %bb.515:
	v_bfe_u32 v10, v10, 24, 7
	s_movk_i32 s7, 0x7f
	v_cmp_ne_u32_e32 vcc, s7, v10
	v_mov_b32_e32 v21, 0x7f80
	s_and_saveexec_b64 s[10:11], vcc
	s_cbranch_execz .LBB852_517
; %bb.516:
	v_and_b32_e32 v21, 7, v18
	v_ffbh_u32_e32 v24, v21
	v_min_u32_e32 v27, 32, v24
	v_subrev_u32_e32 v24, 28, v27
	v_lshlrev_b64 v[24:25], v24, v[18:19]
	v_lshrrev_b32_e32 v26, 3, v10
	v_sub_u32_e32 v25, 29, v27
	v_and_b32_e32 v24, 7, v24
	v_cmp_gt_u32_e32 vcc, 8, v10
	v_cndmask_b32_e32 v10, v26, v25, vcc
	v_cndmask_b32_e32 v21, v21, v24, vcc
	v_lshlrev_b32_e32 v18, 24, v18
	v_bfrev_b32_e32 v24, 60
	v_lshlrev_b32_e32 v21, 20, v21
	v_and_b32_e32 v18, 0x80000000, v18
	v_lshl_add_u32 v10, v10, 23, v24
	v_or3_b32 v10, v18, v10, v21
	v_lshrrev_b32_e32 v21, 16, v10
.LBB852_517:
	s_or_b64 exec, exec, s[10:11]
.LBB852_518:
	s_or_b64 exec, exec, s[8:9]
.LBB852_519:
	s_or_b64 exec, exec, s[2:3]
	v_mov_b32_e32 v18, 0
	v_cmp_ne_u16_sdwa s[8:9], v11, v18 src0_sel:BYTE_0 src1_sel:DWORD
	v_mov_b32_e32 v24, 0
	s_and_saveexec_b64 s[2:3], s[8:9]
	s_cbranch_execz .LBB852_525
; %bb.520:
	s_movk_i32 s7, 0x80
	v_cmp_ne_u16_sdwa s[10:11], v11, s7 src0_sel:BYTE_0 src1_sel:DWORD
	v_mov_b32_e32 v24, 0xffff8000
	s_and_saveexec_b64 s[8:9], s[10:11]
	s_cbranch_execz .LBB852_524
; %bb.521:
	s_movk_i32 s7, 0x7f
	v_and_b32_e32 v10, 0x7f, v11
	v_cmp_ne_u32_e32 vcc, s7, v10
	v_mov_b32_e32 v24, 0x7f80
	s_and_saveexec_b64 s[10:11], vcc
	s_cbranch_execz .LBB852_523
; %bb.522:
	v_and_b32_e32 v26, 7, v11
	v_ffbh_u32_e32 v25, v26
	v_min_u32_e32 v29, 32, v25
	v_mov_b32_e32 v24, v11
	v_subrev_u32_e32 v25, 28, v29
	v_lshlrev_b64 v[24:25], v25, v[24:25]
	v_lshrrev_b32_e32 v27, 3, v10
	v_sub_u32_e32 v25, 29, v29
	v_and_b32_e32 v24, 7, v24
	v_cmp_gt_u32_e32 vcc, 8, v10
	v_cndmask_b32_e32 v10, v27, v25, vcc
	v_cndmask_b32_e32 v24, v26, v24, vcc
	v_lshlrev_b32_e32 v25, 24, v11
	v_bfrev_b32_e32 v26, 60
	v_lshlrev_b32_e32 v24, 20, v24
	v_and_b32_e32 v25, 0x80000000, v25
	v_lshl_add_u32 v10, v10, 23, v26
	v_or3_b32 v10, v25, v10, v24
	v_lshrrev_b32_e32 v24, 16, v10
.LBB852_523:
	s_or_b64 exec, exec, s[10:11]
.LBB852_524:
	s_or_b64 exec, exec, s[8:9]
.LBB852_525:
	s_or_b64 exec, exec, s[2:3]
	v_lshrrev_b16_e32 v10, 8, v11
	v_cmp_ne_u16_e32 vcc, 0, v10
	s_and_saveexec_b64 s[2:3], vcc
	s_cbranch_execz .LBB852_531
; %bb.526:
	s_movk_i32 s7, 0x80
	v_cmp_ne_u16_e32 vcc, s7, v10
	v_mov_b32_e32 v18, 0xffff8000
	s_and_saveexec_b64 s[8:9], vcc
	s_cbranch_execz .LBB852_530
; %bb.527:
	s_movk_i32 s7, 0x7f
	v_and_b32_e32 v25, 0x7f, v10
	v_cmp_ne_u32_e32 vcc, s7, v25
	v_mov_b32_e32 v18, 0x7f80
	s_and_saveexec_b64 s[10:11], vcc
	s_cbranch_execz .LBB852_529
; %bb.528:
	v_and_b32_e32 v18, 7, v10
	v_ffbh_u32_e32 v26, v18
	v_min_u32_e32 v30, 32, v26
	v_subrev_u32_e32 v26, 28, v30
	v_lshlrev_b64 v[26:27], v26, v[10:11]
	v_lshrrev_b32_e32 v29, 3, v25
	v_sub_u32_e32 v10, 29, v30
	v_and_b32_e32 v26, 7, v26
	v_cmp_gt_u32_e32 vcc, 8, v25
	v_cndmask_b32_e32 v10, v29, v10, vcc
	v_cndmask_b32_e32 v18, v18, v26, vcc
	v_lshlrev_b32_e32 v25, 16, v11
	v_bfrev_b32_e32 v26, 60
	v_lshlrev_b32_e32 v18, 20, v18
	v_and_b32_e32 v25, 0x80000000, v25
	v_lshl_add_u32 v10, v10, 23, v26
	v_or3_b32 v10, v25, v10, v18
	v_lshrrev_b32_e32 v18, 16, v10
.LBB852_529:
	s_or_b64 exec, exec, s[10:11]
.LBB852_530:
	s_or_b64 exec, exec, s[8:9]
.LBB852_531:
	s_or_b64 exec, exec, s[2:3]
	s_movk_i32 s2, 0xff
	v_and_b32_sdwa v27, v11, s2 dst_sel:DWORD dst_unused:UNUSED_PAD src0_sel:WORD_1 src1_sel:DWORD
	v_lshrrev_b32_e32 v10, 16, v11
	v_cmp_ne_u16_e32 vcc, 0, v27
	v_mov_b32_e32 v25, 0
	v_mov_b32_e32 v26, 0
	s_and_saveexec_b64 s[2:3], vcc
	s_cbranch_execz .LBB852_537
; %bb.532:
	s_movk_i32 s7, 0x80
	v_cmp_ne_u16_e32 vcc, s7, v27
	v_mov_b32_e32 v26, 0xffff8000
	s_and_saveexec_b64 s[8:9], vcc
	s_cbranch_execz .LBB852_536
; %bb.533:
	v_bfe_u32 v27, v11, 16, 7
	s_movk_i32 s7, 0x7f
	v_cmp_ne_u32_e32 vcc, s7, v27
	v_mov_b32_e32 v26, 0x7f80
	s_and_saveexec_b64 s[10:11], vcc
	s_cbranch_execz .LBB852_535
; %bb.534:
	v_and_b32_e32 v26, 7, v10
	v_ffbh_u32_e32 v30, v26
	v_min_u32_e32 v32, 32, v30
	v_subrev_u32_e32 v30, 28, v32
	v_lshlrev_b64 v[30:31], v30, v[10:11]
	v_lshrrev_b32_e32 v29, 3, v27
	v_sub_u32_e32 v10, 29, v32
	v_and_b32_e32 v30, 7, v30
	v_cmp_gt_u32_e32 vcc, 8, v27
	v_mov_b32_e32 v27, 24
	v_cndmask_b32_e32 v10, v29, v10, vcc
	v_cndmask_b32_e32 v26, v26, v30, vcc
	v_lshlrev_b32_sdwa v27, v27, v11 dst_sel:DWORD dst_unused:UNUSED_PAD src0_sel:DWORD src1_sel:WORD_1
	v_bfrev_b32_e32 v29, 60
	v_lshlrev_b32_e32 v26, 20, v26
	v_and_b32_e32 v27, 0x80000000, v27
	v_lshl_add_u32 v10, v10, 23, v29
	v_or3_b32 v10, v27, v10, v26
	v_lshrrev_b32_e32 v26, 16, v10
.LBB852_535:
	s_or_b64 exec, exec, s[10:11]
.LBB852_536:
	s_or_b64 exec, exec, s[8:9]
.LBB852_537:
	s_or_b64 exec, exec, s[2:3]
	s_mov_b32 s2, 0xffffff
	v_cmp_lt_u32_e32 vcc, s2, v11
	s_and_saveexec_b64 s[2:3], vcc
	s_cbranch_execz .LBB852_543
; %bb.538:
	v_lshrrev_b32_e32 v10, 24, v11
	s_movk_i32 s7, 0x80
	v_cmp_ne_u32_e32 vcc, s7, v10
	v_mov_b32_e32 v25, 0xffff8000
	s_and_saveexec_b64 s[8:9], vcc
	s_cbranch_execz .LBB852_542
; %bb.539:
	v_bfe_u32 v11, v11, 24, 7
	s_movk_i32 s7, 0x7f
	v_cmp_ne_u32_e32 vcc, s7, v11
	v_mov_b32_e32 v25, 0x7f80
	s_and_saveexec_b64 s[10:11], vcc
	s_cbranch_execz .LBB852_541
; %bb.540:
	v_and_b32_e32 v25, 7, v10
	v_ffbh_u32_e32 v29, v25
	v_min_u32_e32 v29, 32, v29
	v_subrev_u32_e32 v30, 28, v29
	v_lshlrev_b64 v[30:31], v30, v[10:11]
	v_lshrrev_b32_e32 v27, 3, v11
	v_sub_u32_e32 v29, 29, v29
	v_and_b32_e32 v30, 7, v30
	v_cmp_gt_u32_e32 vcc, 8, v11
	v_cndmask_b32_e32 v11, v27, v29, vcc
	v_cndmask_b32_e32 v25, v25, v30, vcc
	v_lshlrev_b32_e32 v10, 24, v10
	v_bfrev_b32_e32 v27, 60
	v_lshlrev_b32_e32 v25, 20, v25
	v_and_b32_e32 v10, 0x80000000, v10
	v_lshl_add_u32 v11, v11, 23, v27
	v_or3_b32 v10, v10, v11, v25
	v_lshrrev_b32_e32 v25, 16, v10
.LBB852_541:
	s_or_b64 exec, exec, s[10:11]
.LBB852_542:
	s_or_b64 exec, exec, s[8:9]
.LBB852_543:
	s_or_b64 exec, exec, s[2:3]
	s_mov_b32 s2, 0x5040100
	v_perm_b32 v11, v21, v23, s2
	v_perm_b32 v10, v19, v20, s2
	ds_read_b128 v[30:33], v22 offset:2048
	v_perm_b32 v21, v25, v26, s2
	v_perm_b32 v20, v18, v24, s2
	s_waitcnt lgkmcnt(0)
	v_mfma_f32_16x16x16bf16_1k v[14:17], v[10:11], v[30:31], v[14:17]
	v_mov_b32_e32 v11, 0
	v_cmp_ne_u16_sdwa s[8:9], v12, v11 src0_sel:BYTE_0 src1_sel:DWORD
	v_mov_b32_e32 v18, 0
	v_mfma_f32_16x16x16bf16_1k v[14:17], v[20:21], v[32:33], v[14:17]
	s_and_saveexec_b64 s[2:3], s[8:9]
	s_cbranch_execz .LBB852_549
; %bb.544:
	s_movk_i32 s7, 0x80
	v_cmp_ne_u16_sdwa s[10:11], v12, s7 src0_sel:BYTE_0 src1_sel:DWORD
	v_mov_b32_e32 v18, 0xffff8000
	s_and_saveexec_b64 s[8:9], s[10:11]
	s_cbranch_execz .LBB852_548
; %bb.545:
	s_movk_i32 s7, 0x7f
	v_and_b32_e32 v10, 0x7f, v12
	v_cmp_ne_u32_e32 vcc, s7, v10
	v_mov_b32_e32 v18, 0x7f80
	s_and_saveexec_b64 s[10:11], vcc
	s_cbranch_execz .LBB852_547
; %bb.546:
	v_and_b32_e32 v20, 7, v12
	v_ffbh_u32_e32 v18, v20
	v_min_u32_e32 v23, 32, v18
	v_subrev_u32_e32 v18, 28, v23
	v_lshlrev_b64 v[18:19], v18, v[12:13]
	v_lshrrev_b32_e32 v21, 3, v10
	v_sub_u32_e32 v19, 29, v23
	v_and_b32_e32 v18, 7, v18
	v_cmp_gt_u32_e32 vcc, 8, v10
	v_cndmask_b32_e32 v10, v21, v19, vcc
	v_cndmask_b32_e32 v18, v20, v18, vcc
	v_lshlrev_b32_e32 v19, 24, v12
	v_bfrev_b32_e32 v20, 60
	v_lshlrev_b32_e32 v18, 20, v18
	v_and_b32_e32 v19, 0x80000000, v19
	v_lshl_add_u32 v10, v10, 23, v20
	v_or3_b32 v10, v19, v10, v18
	v_lshrrev_b32_e32 v18, 16, v10
.LBB852_547:
	s_or_b64 exec, exec, s[10:11]
.LBB852_548:
	s_or_b64 exec, exec, s[8:9]
.LBB852_549:
	s_or_b64 exec, exec, s[2:3]
	v_lshrrev_b16_e32 v10, 8, v12
	v_cmp_ne_u16_e32 vcc, 0, v10
	s_and_saveexec_b64 s[2:3], vcc
	s_cbranch_execz .LBB852_555
; %bb.550:
	s_movk_i32 s7, 0x80
	v_cmp_ne_u16_e32 vcc, s7, v10
	v_mov_b32_e32 v11, 0xffff8000
	s_and_saveexec_b64 s[8:9], vcc
	s_cbranch_execz .LBB852_554
; %bb.551:
	s_movk_i32 s7, 0x7f
	v_and_b32_e32 v19, 0x7f, v10
	v_cmp_ne_u32_e32 vcc, s7, v19
	v_mov_b32_e32 v11, 0x7f80
	s_and_saveexec_b64 s[10:11], vcc
	s_cbranch_execz .LBB852_553
; %bb.552:
	v_and_b32_e32 v20, 7, v10
	v_ffbh_u32_e32 v11, v20
	v_min_u32_e32 v23, 32, v11
	v_subrev_u32_e32 v11, 28, v23
	v_lshlrev_b64 v[10:11], v11, v[10:11]
	v_lshrrev_b32_e32 v21, 3, v19
	v_sub_u32_e32 v11, 29, v23
	v_and_b32_e32 v10, 7, v10
	v_cmp_gt_u32_e32 vcc, 8, v19
	v_cndmask_b32_e32 v11, v21, v11, vcc
	v_cndmask_b32_e32 v10, v20, v10, vcc
	v_lshlrev_b32_e32 v19, 16, v12
	v_bfrev_b32_e32 v20, 60
	v_lshlrev_b32_e32 v10, 20, v10
	v_and_b32_e32 v19, 0x80000000, v19
	v_lshl_add_u32 v11, v11, 23, v20
	v_or3_b32 v10, v19, v11, v10
	v_lshrrev_b32_e32 v11, 16, v10
.LBB852_553:
	s_or_b64 exec, exec, s[10:11]
.LBB852_554:
	s_or_b64 exec, exec, s[8:9]
.LBB852_555:
	s_or_b64 exec, exec, s[2:3]
	s_movk_i32 s2, 0xff
	v_and_b32_sdwa v21, v12, s2 dst_sel:DWORD dst_unused:UNUSED_PAD src0_sel:WORD_1 src1_sel:DWORD
	v_lshrrev_b32_e32 v10, 16, v12
	v_cmp_ne_u16_e32 vcc, 0, v21
	v_mov_b32_e32 v19, 0
	v_mov_b32_e32 v20, 0
	s_and_saveexec_b64 s[2:3], vcc
	s_cbranch_execz .LBB852_561
; %bb.556:
	s_movk_i32 s7, 0x80
	v_cmp_ne_u16_e32 vcc, s7, v21
	v_mov_b32_e32 v20, 0xffff8000
	s_and_saveexec_b64 s[8:9], vcc
	s_cbranch_execz .LBB852_560
; %bb.557:
	v_bfe_u32 v21, v12, 16, 7
	s_movk_i32 s7, 0x7f
	v_cmp_ne_u32_e32 vcc, s7, v21
	v_mov_b32_e32 v20, 0x7f80
	s_and_saveexec_b64 s[10:11], vcc
	s_cbranch_execz .LBB852_559
; %bb.558:
	v_and_b32_e32 v20, 7, v10
	v_ffbh_u32_e32 v24, v20
	v_min_u32_e32 v26, 32, v24
	v_subrev_u32_e32 v24, 28, v26
	v_lshlrev_b64 v[24:25], v24, v[10:11]
	v_lshrrev_b32_e32 v23, 3, v21
	v_sub_u32_e32 v10, 29, v26
	v_and_b32_e32 v24, 7, v24
	v_cmp_gt_u32_e32 vcc, 8, v21
	v_mov_b32_e32 v21, 24
	v_cndmask_b32_e32 v10, v23, v10, vcc
	v_cndmask_b32_e32 v20, v20, v24, vcc
	v_lshlrev_b32_sdwa v21, v21, v12 dst_sel:DWORD dst_unused:UNUSED_PAD src0_sel:DWORD src1_sel:WORD_1
	v_bfrev_b32_e32 v23, 60
	v_lshlrev_b32_e32 v20, 20, v20
	v_and_b32_e32 v21, 0x80000000, v21
	v_lshl_add_u32 v10, v10, 23, v23
	v_or3_b32 v10, v21, v10, v20
	v_lshrrev_b32_e32 v20, 16, v10
.LBB852_559:
	s_or_b64 exec, exec, s[10:11]
.LBB852_560:
	s_or_b64 exec, exec, s[8:9]
.LBB852_561:
	s_or_b64 exec, exec, s[2:3]
	s_mov_b32 s2, 0xffffff
	v_cmp_lt_u32_e32 vcc, s2, v12
	s_and_saveexec_b64 s[2:3], vcc
	s_cbranch_execz .LBB852_567
; %bb.562:
	v_lshrrev_b32_e32 v10, 24, v12
	s_movk_i32 s7, 0x80
	v_cmp_ne_u32_e32 vcc, s7, v10
	v_mov_b32_e32 v19, 0xffff8000
	s_and_saveexec_b64 s[8:9], vcc
	s_cbranch_execz .LBB852_566
; %bb.563:
	v_bfe_u32 v12, v12, 24, 7
	s_movk_i32 s7, 0x7f
	v_cmp_ne_u32_e32 vcc, s7, v12
	v_mov_b32_e32 v19, 0x7f80
	s_and_saveexec_b64 s[10:11], vcc
	s_cbranch_execz .LBB852_565
; %bb.564:
	v_and_b32_e32 v19, 7, v10
	v_ffbh_u32_e32 v23, v19
	v_min_u32_e32 v23, 32, v23
	v_subrev_u32_e32 v24, 28, v23
	v_lshlrev_b64 v[24:25], v24, v[10:11]
	v_lshrrev_b32_e32 v21, 3, v12
	v_sub_u32_e32 v23, 29, v23
	v_and_b32_e32 v24, 7, v24
	v_cmp_gt_u32_e32 vcc, 8, v12
	v_cndmask_b32_e32 v12, v21, v23, vcc
	v_cndmask_b32_e32 v19, v19, v24, vcc
	v_lshlrev_b32_e32 v10, 24, v10
	v_bfrev_b32_e32 v21, 60
	v_lshlrev_b32_e32 v19, 20, v19
	v_and_b32_e32 v10, 0x80000000, v10
	v_lshl_add_u32 v12, v12, 23, v21
	v_or3_b32 v10, v10, v12, v19
	v_lshrrev_b32_e32 v19, 16, v10
.LBB852_565:
	s_or_b64 exec, exec, s[10:11]
.LBB852_566:
	s_or_b64 exec, exec, s[8:9]
.LBB852_567:
	s_or_b64 exec, exec, s[2:3]
	v_mov_b32_e32 v12, 0
	v_cmp_ne_u16_sdwa s[8:9], v13, v12 src0_sel:BYTE_0 src1_sel:DWORD
	v_mov_b32_e32 v21, 0
	s_and_saveexec_b64 s[2:3], s[8:9]
	s_cbranch_execz .LBB852_573
; %bb.568:
	s_movk_i32 s7, 0x80
	v_cmp_ne_u16_sdwa s[10:11], v13, s7 src0_sel:BYTE_0 src1_sel:DWORD
	v_mov_b32_e32 v21, 0xffff8000
	s_and_saveexec_b64 s[8:9], s[10:11]
	s_cbranch_execz .LBB852_572
; %bb.569:
	s_movk_i32 s7, 0x7f
	v_and_b32_e32 v10, 0x7f, v13
	v_cmp_ne_u32_e32 vcc, s7, v10
	v_mov_b32_e32 v21, 0x7f80
	s_and_saveexec_b64 s[10:11], vcc
	s_cbranch_execz .LBB852_571
; %bb.570:
	v_and_b32_e32 v21, 7, v13
	v_ffbh_u32_e32 v25, v21
	v_min_u32_e32 v26, 32, v25
	v_mov_b32_e32 v24, v13
	v_subrev_u32_e32 v25, 28, v26
	v_lshlrev_b64 v[24:25], v25, v[24:25]
	v_lshrrev_b32_e32 v23, 3, v10
	v_sub_u32_e32 v25, 29, v26
	v_and_b32_e32 v24, 7, v24
	v_cmp_gt_u32_e32 vcc, 8, v10
	v_cndmask_b32_e32 v10, v23, v25, vcc
	v_cndmask_b32_e32 v21, v21, v24, vcc
	v_lshlrev_b32_e32 v23, 24, v13
	v_bfrev_b32_e32 v24, 60
	v_lshlrev_b32_e32 v21, 20, v21
	v_and_b32_e32 v23, 0x80000000, v23
	v_lshl_add_u32 v10, v10, 23, v24
	v_or3_b32 v10, v23, v10, v21
	v_lshrrev_b32_e32 v21, 16, v10
.LBB852_571:
	s_or_b64 exec, exec, s[10:11]
.LBB852_572:
	s_or_b64 exec, exec, s[8:9]
.LBB852_573:
	s_or_b64 exec, exec, s[2:3]
	v_lshrrev_b16_e32 v10, 8, v13
	v_cmp_ne_u16_e32 vcc, 0, v10
	s_and_saveexec_b64 s[2:3], vcc
	s_cbranch_execz .LBB852_579
; %bb.574:
	s_movk_i32 s7, 0x80
	v_cmp_ne_u16_e32 vcc, s7, v10
	v_mov_b32_e32 v12, 0xffff8000
	s_and_saveexec_b64 s[8:9], vcc
	s_cbranch_execz .LBB852_578
; %bb.575:
	s_movk_i32 s7, 0x7f
	v_and_b32_e32 v23, 0x7f, v10
	v_cmp_ne_u32_e32 vcc, s7, v23
	v_mov_b32_e32 v12, 0x7f80
	s_and_saveexec_b64 s[10:11], vcc
	s_cbranch_execz .LBB852_577
; %bb.576:
	v_and_b32_e32 v12, 7, v10
	v_ffbh_u32_e32 v24, v12
	v_min_u32_e32 v27, 32, v24
	v_subrev_u32_e32 v24, 28, v27
	v_lshlrev_b64 v[24:25], v24, v[10:11]
	v_lshrrev_b32_e32 v26, 3, v23
	v_sub_u32_e32 v10, 29, v27
	v_and_b32_e32 v24, 7, v24
	v_cmp_gt_u32_e32 vcc, 8, v23
	v_cndmask_b32_e32 v10, v26, v10, vcc
	v_cndmask_b32_e32 v12, v12, v24, vcc
	v_lshlrev_b32_e32 v23, 16, v13
	v_bfrev_b32_e32 v24, 60
	v_lshlrev_b32_e32 v12, 20, v12
	v_and_b32_e32 v23, 0x80000000, v23
	v_lshl_add_u32 v10, v10, 23, v24
	v_or3_b32 v10, v23, v10, v12
	v_lshrrev_b32_e32 v12, 16, v10
.LBB852_577:
	s_or_b64 exec, exec, s[10:11]
.LBB852_578:
	s_or_b64 exec, exec, s[8:9]
.LBB852_579:
	s_or_b64 exec, exec, s[2:3]
	s_movk_i32 s2, 0xff
	v_and_b32_sdwa v25, v13, s2 dst_sel:DWORD dst_unused:UNUSED_PAD src0_sel:WORD_1 src1_sel:DWORD
	v_lshrrev_b32_e32 v10, 16, v13
	v_cmp_ne_u16_e32 vcc, 0, v25
	v_mov_b32_e32 v23, 0
	v_mov_b32_e32 v24, 0
	s_and_saveexec_b64 s[2:3], vcc
	s_cbranch_execz .LBB852_585
; %bb.580:
	s_movk_i32 s7, 0x80
	v_cmp_ne_u16_e32 vcc, s7, v25
	v_mov_b32_e32 v24, 0xffff8000
	s_and_saveexec_b64 s[8:9], vcc
	s_cbranch_execz .LBB852_584
; %bb.581:
	v_bfe_u32 v25, v13, 16, 7
	s_movk_i32 s7, 0x7f
	v_cmp_ne_u32_e32 vcc, s7, v25
	v_mov_b32_e32 v24, 0x7f80
	s_and_saveexec_b64 s[10:11], vcc
	s_cbranch_execz .LBB852_583
; %bb.582:
	v_and_b32_e32 v24, 7, v10
	v_ffbh_u32_e32 v26, v24
	v_min_u32_e32 v30, 32, v26
	v_subrev_u32_e32 v26, 28, v30
	v_lshlrev_b64 v[26:27], v26, v[10:11]
	v_lshrrev_b32_e32 v29, 3, v25
	v_sub_u32_e32 v10, 29, v30
	v_and_b32_e32 v26, 7, v26
	v_cmp_gt_u32_e32 vcc, 8, v25
	v_mov_b32_e32 v25, 24
	v_cndmask_b32_e32 v10, v29, v10, vcc
	v_cndmask_b32_e32 v24, v24, v26, vcc
	v_lshlrev_b32_sdwa v25, v25, v13 dst_sel:DWORD dst_unused:UNUSED_PAD src0_sel:DWORD src1_sel:WORD_1
	v_bfrev_b32_e32 v26, 60
	v_lshlrev_b32_e32 v24, 20, v24
	v_and_b32_e32 v25, 0x80000000, v25
	v_lshl_add_u32 v10, v10, 23, v26
	v_or3_b32 v10, v25, v10, v24
	v_lshrrev_b32_e32 v24, 16, v10
.LBB852_583:
	s_or_b64 exec, exec, s[10:11]
.LBB852_584:
	s_or_b64 exec, exec, s[8:9]
.LBB852_585:
	s_or_b64 exec, exec, s[2:3]
	s_mov_b32 s2, 0xffffff
	v_cmp_lt_u32_e32 vcc, s2, v13
	s_and_saveexec_b64 s[2:3], vcc
	s_cbranch_execz .LBB852_591
; %bb.586:
	v_lshrrev_b32_e32 v10, 24, v13
	s_movk_i32 s7, 0x80
	v_cmp_ne_u32_e32 vcc, s7, v10
	v_mov_b32_e32 v23, 0xffff8000
	s_and_saveexec_b64 s[8:9], vcc
	s_cbranch_execz .LBB852_590
; %bb.587:
	v_bfe_u32 v13, v13, 24, 7
	s_movk_i32 s7, 0x7f
	v_cmp_ne_u32_e32 vcc, s7, v13
	v_mov_b32_e32 v23, 0x7f80
	s_and_saveexec_b64 s[10:11], vcc
	s_cbranch_execz .LBB852_589
; %bb.588:
	v_and_b32_e32 v23, 7, v10
	v_ffbh_u32_e32 v26, v23
	v_min_u32_e32 v29, 32, v26
	v_subrev_u32_e32 v26, 28, v29
	v_lshlrev_b64 v[26:27], v26, v[10:11]
	v_lshrrev_b32_e32 v25, 3, v13
	v_sub_u32_e32 v27, 29, v29
	v_and_b32_e32 v26, 7, v26
	v_cmp_gt_u32_e32 vcc, 8, v13
	v_cndmask_b32_e32 v13, v25, v27, vcc
	v_cndmask_b32_e32 v23, v23, v26, vcc
	v_lshlrev_b32_e32 v10, 24, v10
	v_bfrev_b32_e32 v25, 60
	v_lshlrev_b32_e32 v23, 20, v23
	v_and_b32_e32 v10, 0x80000000, v10
	v_lshl_add_u32 v13, v13, 23, v25
	v_or3_b32 v10, v10, v13, v23
	v_lshrrev_b32_e32 v23, 16, v10
.LBB852_589:
	s_or_b64 exec, exec, s[10:11]
.LBB852_590:
	s_or_b64 exec, exec, s[8:9]
.LBB852_591:
	s_or_b64 exec, exec, s[2:3]
	s_mov_b32 s2, 0x5040100
	v_perm_b32 v19, v19, v20, s2
	v_perm_b32 v18, v11, v18, s2
	ds_read_b128 v[30:33], v22 offset:2064
	v_perm_b32 v11, v23, v24, s2
	v_perm_b32 v10, v12, v21, s2
	s_waitcnt lgkmcnt(0)
	v_mfma_f32_16x16x16bf16_1k v[34:37], v[18:19], v[30:31], v[14:17]
	s_nop 6
	v_mov_b32_e32 v15, 0
	s_waitcnt vmcnt(1)
	v_cmp_ne_u16_sdwa s[8:9], v6, v15 src0_sel:BYTE_0 src1_sel:DWORD
	v_mfma_f32_16x16x16bf16_1k v[10:13], v[10:11], v[32:33], v[34:37]
	v_mov_b32_e32 v16, 0
	s_and_saveexec_b64 s[2:3], s[8:9]
	s_cbranch_execz .LBB852_597
; %bb.592:
	s_movk_i32 s7, 0x80
	v_cmp_ne_u16_sdwa s[10:11], v6, s7 src0_sel:BYTE_0 src1_sel:DWORD
	v_mov_b32_e32 v16, 0xffff8000
	s_and_saveexec_b64 s[8:9], s[10:11]
	s_cbranch_execz .LBB852_596
; %bb.593:
	s_movk_i32 s7, 0x7f
	v_and_b32_e32 v14, 0x7f, v6
	v_cmp_ne_u32_e32 vcc, s7, v14
	v_mov_b32_e32 v16, 0x7f80
	s_and_saveexec_b64 s[10:11], vcc
	s_cbranch_execz .LBB852_595
; %bb.594:
	v_and_b32_e32 v18, 7, v6
	v_ffbh_u32_e32 v16, v18
	v_min_u32_e32 v20, 32, v16
	v_subrev_u32_e32 v16, 28, v20
	v_lshlrev_b64 v[16:17], v16, v[6:7]
	v_lshrrev_b32_e32 v19, 3, v14
	v_sub_u32_e32 v17, 29, v20
	v_and_b32_e32 v16, 7, v16
	v_cmp_gt_u32_e32 vcc, 8, v14
	v_cndmask_b32_e32 v14, v19, v17, vcc
	v_cndmask_b32_e32 v16, v18, v16, vcc
	v_lshlrev_b32_e32 v17, 24, v6
	v_bfrev_b32_e32 v18, 60
	v_lshlrev_b32_e32 v16, 20, v16
	v_and_b32_e32 v17, 0x80000000, v17
	v_lshl_add_u32 v14, v14, 23, v18
	v_or3_b32 v14, v17, v14, v16
	v_lshrrev_b32_e32 v16, 16, v14
.LBB852_595:
	s_or_b64 exec, exec, s[10:11]
.LBB852_596:
	s_or_b64 exec, exec, s[8:9]
.LBB852_597:
	s_or_b64 exec, exec, s[2:3]
	v_lshrrev_b16_e32 v14, 8, v6
	v_cmp_ne_u16_e32 vcc, 0, v14
	s_and_saveexec_b64 s[2:3], vcc
	s_cbranch_execz .LBB852_603
; %bb.598:
	s_movk_i32 s7, 0x80
	v_cmp_ne_u16_e32 vcc, s7, v14
	v_mov_b32_e32 v15, 0xffff8000
	s_and_saveexec_b64 s[8:9], vcc
	s_cbranch_execz .LBB852_602
; %bb.599:
	s_movk_i32 s7, 0x7f
	v_and_b32_e32 v17, 0x7f, v14
	v_cmp_ne_u32_e32 vcc, s7, v17
	v_mov_b32_e32 v15, 0x7f80
	s_and_saveexec_b64 s[10:11], vcc
	s_cbranch_execz .LBB852_601
; %bb.600:
	v_and_b32_e32 v18, 7, v14
	v_ffbh_u32_e32 v15, v18
	v_min_u32_e32 v20, 32, v15
	v_subrev_u32_e32 v15, 28, v20
	v_lshlrev_b64 v[14:15], v15, v[14:15]
	v_lshrrev_b32_e32 v19, 3, v17
	v_sub_u32_e32 v15, 29, v20
	v_and_b32_e32 v14, 7, v14
	v_cmp_gt_u32_e32 vcc, 8, v17
	v_cndmask_b32_e32 v15, v19, v15, vcc
	v_cndmask_b32_e32 v14, v18, v14, vcc
	v_lshlrev_b32_e32 v17, 16, v6
	v_bfrev_b32_e32 v18, 60
	v_lshlrev_b32_e32 v14, 20, v14
	v_and_b32_e32 v17, 0x80000000, v17
	v_lshl_add_u32 v15, v15, 23, v18
	v_or3_b32 v14, v17, v15, v14
	v_lshrrev_b32_e32 v15, 16, v14
.LBB852_601:
	s_or_b64 exec, exec, s[10:11]
.LBB852_602:
	s_or_b64 exec, exec, s[8:9]
.LBB852_603:
	s_or_b64 exec, exec, s[2:3]
	s_movk_i32 s2, 0xff
	v_and_b32_sdwa v19, v6, s2 dst_sel:DWORD dst_unused:UNUSED_PAD src0_sel:WORD_1 src1_sel:DWORD
	v_lshrrev_b32_e32 v14, 16, v6
	v_cmp_ne_u16_e32 vcc, 0, v19
	v_mov_b32_e32 v17, 0
	v_mov_b32_e32 v18, 0
	s_and_saveexec_b64 s[2:3], vcc
	s_cbranch_execz .LBB852_609
; %bb.604:
	s_movk_i32 s7, 0x80
	v_cmp_ne_u16_e32 vcc, s7, v19
	v_mov_b32_e32 v18, 0xffff8000
	s_and_saveexec_b64 s[8:9], vcc
	s_cbranch_execz .LBB852_608
; %bb.605:
	v_bfe_u32 v19, v6, 16, 7
	s_movk_i32 s7, 0x7f
	v_cmp_ne_u32_e32 vcc, s7, v19
	v_mov_b32_e32 v18, 0x7f80
	s_and_saveexec_b64 s[10:11], vcc
	s_cbranch_execz .LBB852_607
; %bb.606:
	v_and_b32_e32 v18, 7, v14
	v_ffbh_u32_e32 v20, v18
	v_min_u32_e32 v24, 32, v20
	v_subrev_u32_e32 v20, 28, v24
	v_lshlrev_b64 v[20:21], v20, v[14:15]
	v_lshrrev_b32_e32 v23, 3, v19
	v_sub_u32_e32 v14, 29, v24
	v_and_b32_e32 v20, 7, v20
	v_cmp_gt_u32_e32 vcc, 8, v19
	v_mov_b32_e32 v19, 24
	v_cndmask_b32_e32 v14, v23, v14, vcc
	v_cndmask_b32_e32 v18, v18, v20, vcc
	v_lshlrev_b32_sdwa v19, v19, v6 dst_sel:DWORD dst_unused:UNUSED_PAD src0_sel:DWORD src1_sel:WORD_1
	v_bfrev_b32_e32 v20, 60
	v_lshlrev_b32_e32 v18, 20, v18
	v_and_b32_e32 v19, 0x80000000, v19
	v_lshl_add_u32 v14, v14, 23, v20
	v_or3_b32 v14, v19, v14, v18
	v_lshrrev_b32_e32 v18, 16, v14
.LBB852_607:
	s_or_b64 exec, exec, s[10:11]
.LBB852_608:
	s_or_b64 exec, exec, s[8:9]
.LBB852_609:
	s_or_b64 exec, exec, s[2:3]
	s_mov_b32 s2, 0xffffff
	v_cmp_lt_u32_e32 vcc, s2, v6
	s_and_saveexec_b64 s[2:3], vcc
	s_cbranch_execz .LBB852_615
; %bb.610:
	v_lshrrev_b32_e32 v14, 24, v6
	s_movk_i32 s7, 0x80
	v_cmp_ne_u32_e32 vcc, s7, v14
	v_mov_b32_e32 v17, 0xffff8000
	s_and_saveexec_b64 s[8:9], vcc
	s_cbranch_execz .LBB852_614
; %bb.611:
	v_bfe_u32 v6, v6, 24, 7
	s_movk_i32 s7, 0x7f
	v_cmp_ne_u32_e32 vcc, s7, v6
	v_mov_b32_e32 v17, 0x7f80
	s_and_saveexec_b64 s[10:11], vcc
	s_cbranch_execz .LBB852_613
; %bb.612:
	v_and_b32_e32 v17, 7, v14
	v_ffbh_u32_e32 v20, v17
	v_min_u32_e32 v23, 32, v20
	v_subrev_u32_e32 v20, 28, v23
	v_lshlrev_b64 v[20:21], v20, v[14:15]
	v_lshrrev_b32_e32 v19, 3, v6
	v_sub_u32_e32 v21, 29, v23
	v_and_b32_e32 v20, 7, v20
	v_cmp_gt_u32_e32 vcc, 8, v6
	v_cndmask_b32_e32 v6, v19, v21, vcc
	v_cndmask_b32_e32 v17, v17, v20, vcc
	v_lshlrev_b32_e32 v14, 24, v14
	v_bfrev_b32_e32 v19, 60
	v_lshlrev_b32_e32 v17, 20, v17
	v_and_b32_e32 v14, 0x80000000, v14
	v_lshl_add_u32 v6, v6, 23, v19
	v_or3_b32 v6, v14, v6, v17
	v_lshrrev_b32_e32 v17, 16, v6
.LBB852_613:
	s_or_b64 exec, exec, s[10:11]
.LBB852_614:
	s_or_b64 exec, exec, s[8:9]
.LBB852_615:
	s_or_b64 exec, exec, s[2:3]
	v_mov_b32_e32 v14, 0
	v_cmp_ne_u16_sdwa s[8:9], v7, v14 src0_sel:BYTE_0 src1_sel:DWORD
	v_mov_b32_e32 v19, 0
	s_and_saveexec_b64 s[2:3], s[8:9]
	s_cbranch_execz .LBB852_621
; %bb.616:
	s_movk_i32 s7, 0x80
	v_cmp_ne_u16_sdwa s[10:11], v7, s7 src0_sel:BYTE_0 src1_sel:DWORD
	v_mov_b32_e32 v19, 0xffff8000
	s_and_saveexec_b64 s[8:9], s[10:11]
	s_cbranch_execz .LBB852_620
; %bb.617:
	s_movk_i32 s7, 0x7f
	v_and_b32_e32 v6, 0x7f, v7
	v_cmp_ne_u32_e32 vcc, s7, v6
	v_mov_b32_e32 v19, 0x7f80
	s_and_saveexec_b64 s[10:11], vcc
	s_cbranch_execz .LBB852_619
; %bb.618:
	v_and_b32_e32 v19, 7, v7
	v_ffbh_u32_e32 v21, v19
	v_min_u32_e32 v24, 32, v21
	v_mov_b32_e32 v20, v7
	v_subrev_u32_e32 v21, 28, v24
	v_lshlrev_b64 v[20:21], v21, v[20:21]
	v_lshrrev_b32_e32 v23, 3, v6
	v_sub_u32_e32 v21, 29, v24
	v_and_b32_e32 v20, 7, v20
	v_cmp_gt_u32_e32 vcc, 8, v6
	v_cndmask_b32_e32 v6, v23, v21, vcc
	v_cndmask_b32_e32 v19, v19, v20, vcc
	v_lshlrev_b32_e32 v20, 24, v7
	v_bfrev_b32_e32 v21, 60
	v_lshlrev_b32_e32 v19, 20, v19
	v_and_b32_e32 v20, 0x80000000, v20
	v_lshl_add_u32 v6, v6, 23, v21
	v_or3_b32 v6, v20, v6, v19
	v_lshrrev_b32_e32 v19, 16, v6
.LBB852_619:
	s_or_b64 exec, exec, s[10:11]
.LBB852_620:
	s_or_b64 exec, exec, s[8:9]
.LBB852_621:
	s_or_b64 exec, exec, s[2:3]
	v_lshrrev_b16_e32 v6, 8, v7
	v_cmp_ne_u16_e32 vcc, 0, v6
	s_and_saveexec_b64 s[2:3], vcc
	s_cbranch_execz .LBB852_627
; %bb.622:
	s_movk_i32 s7, 0x80
	v_cmp_ne_u16_e32 vcc, s7, v6
	v_mov_b32_e32 v14, 0xffff8000
	s_and_saveexec_b64 s[8:9], vcc
	s_cbranch_execz .LBB852_626
; %bb.623:
	s_movk_i32 s7, 0x7f
	v_and_b32_e32 v20, 0x7f, v6
	v_cmp_ne_u32_e32 vcc, s7, v20
	v_mov_b32_e32 v14, 0x7f80
	s_and_saveexec_b64 s[10:11], vcc
	s_cbranch_execz .LBB852_625
; %bb.624:
	v_and_b32_e32 v14, 7, v6
	v_ffbh_u32_e32 v23, v14
	v_min_u32_e32 v23, 32, v23
	v_subrev_u32_e32 v24, 28, v23
	v_lshlrev_b64 v[24:25], v24, v[6:7]
	v_lshrrev_b32_e32 v21, 3, v20
	v_sub_u32_e32 v6, 29, v23
	v_and_b32_e32 v23, 7, v24
	v_cmp_gt_u32_e32 vcc, 8, v20
	v_cndmask_b32_e32 v6, v21, v6, vcc
	v_cndmask_b32_e32 v14, v14, v23, vcc
	v_lshlrev_b32_e32 v20, 16, v7
	v_bfrev_b32_e32 v21, 60
	v_lshlrev_b32_e32 v14, 20, v14
	v_and_b32_e32 v20, 0x80000000, v20
	v_lshl_add_u32 v6, v6, 23, v21
	v_or3_b32 v6, v20, v6, v14
	v_lshrrev_b32_e32 v14, 16, v6
.LBB852_625:
	s_or_b64 exec, exec, s[10:11]
.LBB852_626:
	s_or_b64 exec, exec, s[8:9]
.LBB852_627:
	s_or_b64 exec, exec, s[2:3]
	s_movk_i32 s2, 0xff
	v_and_b32_sdwa v23, v7, s2 dst_sel:DWORD dst_unused:UNUSED_PAD src0_sel:WORD_1 src1_sel:DWORD
	v_lshrrev_b32_e32 v6, 16, v7
	v_cmp_ne_u16_e32 vcc, 0, v23
	v_mov_b32_e32 v20, 0
	v_mov_b32_e32 v21, 0
	s_and_saveexec_b64 s[2:3], vcc
	s_cbranch_execz .LBB852_633
; %bb.628:
	s_movk_i32 s7, 0x80
	v_cmp_ne_u16_e32 vcc, s7, v23
	v_mov_b32_e32 v21, 0xffff8000
	s_and_saveexec_b64 s[8:9], vcc
	s_cbranch_execz .LBB852_632
; %bb.629:
	v_bfe_u32 v23, v7, 16, 7
	s_movk_i32 s7, 0x7f
	v_cmp_ne_u32_e32 vcc, s7, v23
	v_mov_b32_e32 v21, 0x7f80
	s_and_saveexec_b64 s[10:11], vcc
	s_cbranch_execz .LBB852_631
; %bb.630:
	v_and_b32_e32 v21, 7, v6
	v_ffbh_u32_e32 v24, v21
	v_min_u32_e32 v27, 32, v24
	v_subrev_u32_e32 v24, 28, v27
	v_lshlrev_b64 v[24:25], v24, v[6:7]
	v_lshrrev_b32_e32 v26, 3, v23
	v_sub_u32_e32 v6, 29, v27
	v_and_b32_e32 v24, 7, v24
	v_cmp_gt_u32_e32 vcc, 8, v23
	v_mov_b32_e32 v23, 24
	v_cndmask_b32_e32 v6, v26, v6, vcc
	v_cndmask_b32_e32 v21, v21, v24, vcc
	v_lshlrev_b32_sdwa v23, v23, v7 dst_sel:DWORD dst_unused:UNUSED_PAD src0_sel:DWORD src1_sel:WORD_1
	v_bfrev_b32_e32 v24, 60
	v_lshlrev_b32_e32 v21, 20, v21
	v_and_b32_e32 v23, 0x80000000, v23
	v_lshl_add_u32 v6, v6, 23, v24
	v_or3_b32 v6, v23, v6, v21
	v_lshrrev_b32_e32 v21, 16, v6
.LBB852_631:
	s_or_b64 exec, exec, s[10:11]
.LBB852_632:
	s_or_b64 exec, exec, s[8:9]
.LBB852_633:
	s_or_b64 exec, exec, s[2:3]
	s_mov_b32 s2, 0xffffff
	v_cmp_lt_u32_e32 vcc, s2, v7
	s_and_saveexec_b64 s[2:3], vcc
	s_cbranch_execz .LBB852_639
; %bb.634:
	v_lshrrev_b32_e32 v6, 24, v7
	s_movk_i32 s7, 0x80
	v_cmp_ne_u32_e32 vcc, s7, v6
	v_mov_b32_e32 v20, 0xffff8000
	s_and_saveexec_b64 s[8:9], vcc
	s_cbranch_execz .LBB852_638
; %bb.635:
	v_bfe_u32 v7, v7, 24, 7
	s_movk_i32 s7, 0x7f
	v_cmp_ne_u32_e32 vcc, s7, v7
	v_mov_b32_e32 v20, 0x7f80
	s_and_saveexec_b64 s[10:11], vcc
	s_cbranch_execz .LBB852_637
; %bb.636:
	v_and_b32_e32 v20, 7, v6
	v_ffbh_u32_e32 v24, v20
	v_min_u32_e32 v26, 32, v24
	v_subrev_u32_e32 v24, 28, v26
	v_lshlrev_b64 v[24:25], v24, v[6:7]
	v_lshrrev_b32_e32 v23, 3, v7
	v_sub_u32_e32 v25, 29, v26
	v_and_b32_e32 v24, 7, v24
	v_cmp_gt_u32_e32 vcc, 8, v7
	v_cndmask_b32_e32 v7, v23, v25, vcc
	v_cndmask_b32_e32 v20, v20, v24, vcc
	v_lshlrev_b32_e32 v6, 24, v6
	v_bfrev_b32_e32 v23, 60
	v_lshlrev_b32_e32 v20, 20, v20
	v_and_b32_e32 v6, 0x80000000, v6
	v_lshl_add_u32 v7, v7, 23, v23
	v_or3_b32 v6, v6, v7, v20
	v_lshrrev_b32_e32 v20, 16, v6
.LBB852_637:
	s_or_b64 exec, exec, s[10:11]
.LBB852_638:
	s_or_b64 exec, exec, s[8:9]
.LBB852_639:
	s_or_b64 exec, exec, s[2:3]
	s_mov_b32 s2, 0x5040100
	v_perm_b32 v7, v17, v18, s2
	v_perm_b32 v6, v15, v16, s2
	ds_read_b128 v[24:27], v22 offset:4096
	v_perm_b32 v17, v20, v21, s2
	v_perm_b32 v16, v14, v19, s2
	s_waitcnt lgkmcnt(0)
	v_mfma_f32_16x16x16bf16_1k v[10:13], v[6:7], v[24:25], v[10:13]
	v_mov_b32_e32 v7, 0
	v_cmp_ne_u16_sdwa s[8:9], v8, v7 src0_sel:BYTE_0 src1_sel:DWORD
	v_mov_b32_e32 v14, 0
	v_mfma_f32_16x16x16bf16_1k v[10:13], v[16:17], v[26:27], v[10:13]
	s_and_saveexec_b64 s[2:3], s[8:9]
	s_cbranch_execz .LBB852_645
; %bb.640:
	s_movk_i32 s7, 0x80
	v_cmp_ne_u16_sdwa s[10:11], v8, s7 src0_sel:BYTE_0 src1_sel:DWORD
	v_mov_b32_e32 v14, 0xffff8000
	s_and_saveexec_b64 s[8:9], s[10:11]
	s_cbranch_execz .LBB852_644
; %bb.641:
	s_movk_i32 s7, 0x7f
	v_and_b32_e32 v6, 0x7f, v8
	v_cmp_ne_u32_e32 vcc, s7, v6
	v_mov_b32_e32 v14, 0x7f80
	s_and_saveexec_b64 s[10:11], vcc
	s_cbranch_execz .LBB852_643
; %bb.642:
	v_and_b32_e32 v16, 7, v8
	v_ffbh_u32_e32 v14, v16
	v_min_u32_e32 v18, 32, v14
	v_subrev_u32_e32 v14, 28, v18
	v_lshlrev_b64 v[14:15], v14, v[8:9]
	v_lshrrev_b32_e32 v17, 3, v6
	v_sub_u32_e32 v15, 29, v18
	v_and_b32_e32 v14, 7, v14
	v_cmp_gt_u32_e32 vcc, 8, v6
	v_cndmask_b32_e32 v6, v17, v15, vcc
	v_cndmask_b32_e32 v14, v16, v14, vcc
	v_lshlrev_b32_e32 v15, 24, v8
	v_bfrev_b32_e32 v16, 60
	v_lshlrev_b32_e32 v14, 20, v14
	v_and_b32_e32 v15, 0x80000000, v15
	v_lshl_add_u32 v6, v6, 23, v16
	v_or3_b32 v6, v15, v6, v14
	v_lshrrev_b32_e32 v14, 16, v6
.LBB852_643:
	s_or_b64 exec, exec, s[10:11]
.LBB852_644:
	s_or_b64 exec, exec, s[8:9]
.LBB852_645:
	s_or_b64 exec, exec, s[2:3]
	v_lshrrev_b16_e32 v6, 8, v8
	v_cmp_ne_u16_e32 vcc, 0, v6
	s_and_saveexec_b64 s[2:3], vcc
	s_cbranch_execz .LBB852_651
; %bb.646:
	s_movk_i32 s7, 0x80
	v_cmp_ne_u16_e32 vcc, s7, v6
	v_mov_b32_e32 v7, 0xffff8000
	s_and_saveexec_b64 s[8:9], vcc
	s_cbranch_execz .LBB852_650
; %bb.647:
	s_movk_i32 s7, 0x7f
	v_and_b32_e32 v15, 0x7f, v6
	v_cmp_ne_u32_e32 vcc, s7, v15
	v_mov_b32_e32 v7, 0x7f80
	s_and_saveexec_b64 s[10:11], vcc
	s_cbranch_execz .LBB852_649
; %bb.648:
	v_and_b32_e32 v16, 7, v6
	v_ffbh_u32_e32 v7, v16
	v_min_u32_e32 v18, 32, v7
	v_subrev_u32_e32 v7, 28, v18
	v_lshlrev_b64 v[6:7], v7, v[6:7]
	v_lshrrev_b32_e32 v17, 3, v15
	v_sub_u32_e32 v7, 29, v18
	v_and_b32_e32 v6, 7, v6
	v_cmp_gt_u32_e32 vcc, 8, v15
	v_cndmask_b32_e32 v7, v17, v7, vcc
	v_cndmask_b32_e32 v6, v16, v6, vcc
	v_lshlrev_b32_e32 v15, 16, v8
	v_bfrev_b32_e32 v16, 60
	v_lshlrev_b32_e32 v6, 20, v6
	v_and_b32_e32 v15, 0x80000000, v15
	v_lshl_add_u32 v7, v7, 23, v16
	v_or3_b32 v6, v15, v7, v6
	v_lshrrev_b32_e32 v7, 16, v6
.LBB852_649:
	s_or_b64 exec, exec, s[10:11]
.LBB852_650:
	s_or_b64 exec, exec, s[8:9]
.LBB852_651:
	s_or_b64 exec, exec, s[2:3]
	s_movk_i32 s2, 0xff
	v_and_b32_sdwa v17, v8, s2 dst_sel:DWORD dst_unused:UNUSED_PAD src0_sel:WORD_1 src1_sel:DWORD
	v_lshrrev_b32_e32 v6, 16, v8
	v_cmp_ne_u16_e32 vcc, 0, v17
	v_mov_b32_e32 v15, 0
	v_mov_b32_e32 v16, 0
	s_and_saveexec_b64 s[2:3], vcc
	s_cbranch_execz .LBB852_657
; %bb.652:
	s_movk_i32 s7, 0x80
	v_cmp_ne_u16_e32 vcc, s7, v17
	v_mov_b32_e32 v16, 0xffff8000
	s_and_saveexec_b64 s[8:9], vcc
	s_cbranch_execz .LBB852_656
; %bb.653:
	v_bfe_u32 v17, v8, 16, 7
	s_movk_i32 s7, 0x7f
	v_cmp_ne_u32_e32 vcc, s7, v17
	v_mov_b32_e32 v16, 0x7f80
	s_and_saveexec_b64 s[10:11], vcc
	s_cbranch_execz .LBB852_655
; %bb.654:
	v_and_b32_e32 v16, 7, v6
	v_ffbh_u32_e32 v18, v16
	v_min_u32_e32 v21, 32, v18
	v_subrev_u32_e32 v18, 28, v21
	v_lshlrev_b64 v[18:19], v18, v[6:7]
	v_lshrrev_b32_e32 v20, 3, v17
	v_sub_u32_e32 v6, 29, v21
	v_and_b32_e32 v18, 7, v18
	v_cmp_gt_u32_e32 vcc, 8, v17
	v_mov_b32_e32 v17, 24
	v_cndmask_b32_e32 v6, v20, v6, vcc
	v_cndmask_b32_e32 v16, v16, v18, vcc
	v_lshlrev_b32_sdwa v17, v17, v8 dst_sel:DWORD dst_unused:UNUSED_PAD src0_sel:DWORD src1_sel:WORD_1
	v_bfrev_b32_e32 v18, 60
	v_lshlrev_b32_e32 v16, 20, v16
	v_and_b32_e32 v17, 0x80000000, v17
	v_lshl_add_u32 v6, v6, 23, v18
	v_or3_b32 v6, v17, v6, v16
	v_lshrrev_b32_e32 v16, 16, v6
.LBB852_655:
	s_or_b64 exec, exec, s[10:11]
.LBB852_656:
	s_or_b64 exec, exec, s[8:9]
.LBB852_657:
	s_or_b64 exec, exec, s[2:3]
	s_mov_b32 s2, 0xffffff
	v_cmp_lt_u32_e32 vcc, s2, v8
	s_and_saveexec_b64 s[2:3], vcc
	s_cbranch_execz .LBB852_663
; %bb.658:
	v_lshrrev_b32_e32 v6, 24, v8
	s_movk_i32 s7, 0x80
	v_cmp_ne_u32_e32 vcc, s7, v6
	v_mov_b32_e32 v15, 0xffff8000
	s_and_saveexec_b64 s[8:9], vcc
	s_cbranch_execz .LBB852_662
; %bb.659:
	v_bfe_u32 v8, v8, 24, 7
	s_movk_i32 s7, 0x7f
	v_cmp_ne_u32_e32 vcc, s7, v8
	v_mov_b32_e32 v15, 0x7f80
	s_and_saveexec_b64 s[10:11], vcc
	s_cbranch_execz .LBB852_661
; %bb.660:
	v_and_b32_e32 v15, 7, v6
	v_ffbh_u32_e32 v18, v15
	v_min_u32_e32 v20, 32, v18
	v_subrev_u32_e32 v18, 28, v20
	v_lshlrev_b64 v[18:19], v18, v[6:7]
	v_lshrrev_b32_e32 v17, 3, v8
	v_sub_u32_e32 v19, 29, v20
	v_and_b32_e32 v18, 7, v18
	v_cmp_gt_u32_e32 vcc, 8, v8
	v_cndmask_b32_e32 v8, v17, v19, vcc
	v_cndmask_b32_e32 v15, v15, v18, vcc
	v_lshlrev_b32_e32 v6, 24, v6
	v_bfrev_b32_e32 v17, 60
	v_lshlrev_b32_e32 v15, 20, v15
	v_and_b32_e32 v6, 0x80000000, v6
	v_lshl_add_u32 v8, v8, 23, v17
	v_or3_b32 v6, v6, v8, v15
	v_lshrrev_b32_e32 v15, 16, v6
.LBB852_661:
	s_or_b64 exec, exec, s[10:11]
.LBB852_662:
	s_or_b64 exec, exec, s[8:9]
.LBB852_663:
	s_or_b64 exec, exec, s[2:3]
	v_mov_b32_e32 v8, 0
	v_cmp_ne_u16_sdwa s[8:9], v9, v8 src0_sel:BYTE_0 src1_sel:DWORD
	v_mov_b32_e32 v17, 0
	s_and_saveexec_b64 s[2:3], s[8:9]
	s_cbranch_execz .LBB852_669
; %bb.664:
	s_movk_i32 s7, 0x80
	v_cmp_ne_u16_sdwa s[10:11], v9, s7 src0_sel:BYTE_0 src1_sel:DWORD
	v_mov_b32_e32 v17, 0xffff8000
	s_and_saveexec_b64 s[8:9], s[10:11]
	s_cbranch_execz .LBB852_668
; %bb.665:
	s_movk_i32 s7, 0x7f
	v_and_b32_e32 v6, 0x7f, v9
	v_cmp_ne_u32_e32 vcc, s7, v6
	v_mov_b32_e32 v17, 0x7f80
	s_and_saveexec_b64 s[10:11], vcc
	s_cbranch_execz .LBB852_667
; %bb.666:
	v_and_b32_e32 v17, 7, v9
	v_ffbh_u32_e32 v19, v17
	v_min_u32_e32 v21, 32, v19
	v_mov_b32_e32 v18, v9
	v_subrev_u32_e32 v19, 28, v21
	v_lshlrev_b64 v[18:19], v19, v[18:19]
	v_lshrrev_b32_e32 v20, 3, v6
	v_sub_u32_e32 v19, 29, v21
	v_and_b32_e32 v18, 7, v18
	v_cmp_gt_u32_e32 vcc, 8, v6
	v_cndmask_b32_e32 v6, v20, v19, vcc
	v_cndmask_b32_e32 v17, v17, v18, vcc
	v_lshlrev_b32_e32 v18, 24, v9
	v_bfrev_b32_e32 v19, 60
	v_lshlrev_b32_e32 v17, 20, v17
	v_and_b32_e32 v18, 0x80000000, v18
	v_lshl_add_u32 v6, v6, 23, v19
	v_or3_b32 v6, v18, v6, v17
	v_lshrrev_b32_e32 v17, 16, v6
.LBB852_667:
	s_or_b64 exec, exec, s[10:11]
.LBB852_668:
	s_or_b64 exec, exec, s[8:9]
.LBB852_669:
	s_or_b64 exec, exec, s[2:3]
	v_lshrrev_b16_e32 v6, 8, v9
	v_cmp_ne_u16_e32 vcc, 0, v6
	s_and_saveexec_b64 s[2:3], vcc
	s_cbranch_execz .LBB852_675
; %bb.670:
	s_movk_i32 s7, 0x80
	v_cmp_ne_u16_e32 vcc, s7, v6
	v_mov_b32_e32 v8, 0xffff8000
	s_and_saveexec_b64 s[8:9], vcc
	s_cbranch_execz .LBB852_674
; %bb.671:
	s_movk_i32 s7, 0x7f
	v_and_b32_e32 v18, 0x7f, v6
	v_cmp_ne_u32_e32 vcc, s7, v18
	v_mov_b32_e32 v8, 0x7f80
	s_and_saveexec_b64 s[10:11], vcc
	s_cbranch_execz .LBB852_673
; %bb.672:
	v_and_b32_e32 v8, 7, v6
	v_ffbh_u32_e32 v20, v8
	v_min_u32_e32 v23, 32, v20
	v_subrev_u32_e32 v20, 28, v23
	v_lshlrev_b64 v[20:21], v20, v[6:7]
	v_lshrrev_b32_e32 v19, 3, v18
	v_sub_u32_e32 v6, 29, v23
	v_and_b32_e32 v20, 7, v20
	v_cmp_gt_u32_e32 vcc, 8, v18
	v_cndmask_b32_e32 v6, v19, v6, vcc
	v_cndmask_b32_e32 v8, v8, v20, vcc
	v_lshlrev_b32_e32 v18, 16, v9
	v_bfrev_b32_e32 v19, 60
	v_lshlrev_b32_e32 v8, 20, v8
	v_and_b32_e32 v18, 0x80000000, v18
	v_lshl_add_u32 v6, v6, 23, v19
	v_or3_b32 v6, v18, v6, v8
	v_lshrrev_b32_e32 v8, 16, v6
.LBB852_673:
	s_or_b64 exec, exec, s[10:11]
.LBB852_674:
	s_or_b64 exec, exec, s[8:9]
.LBB852_675:
	s_or_b64 exec, exec, s[2:3]
	s_movk_i32 s2, 0xff
	v_and_b32_sdwa v20, v9, s2 dst_sel:DWORD dst_unused:UNUSED_PAD src0_sel:WORD_1 src1_sel:DWORD
	v_lshrrev_b32_e32 v6, 16, v9
	v_cmp_ne_u16_e32 vcc, 0, v20
	v_mov_b32_e32 v18, 0
	v_mov_b32_e32 v19, 0
	s_and_saveexec_b64 s[2:3], vcc
	s_cbranch_execz .LBB852_681
; %bb.676:
	s_movk_i32 s7, 0x80
	v_cmp_ne_u16_e32 vcc, s7, v20
	v_mov_b32_e32 v19, 0xffff8000
	s_and_saveexec_b64 s[8:9], vcc
	s_cbranch_execz .LBB852_680
; %bb.677:
	v_bfe_u32 v20, v9, 16, 7
	s_movk_i32 s7, 0x7f
	v_cmp_ne_u32_e32 vcc, s7, v20
	v_mov_b32_e32 v19, 0x7f80
	s_and_saveexec_b64 s[10:11], vcc
	s_cbranch_execz .LBB852_679
; %bb.678:
	v_and_b32_e32 v19, 7, v6
	v_ffbh_u32_e32 v23, v19
	v_min_u32_e32 v23, 32, v23
	v_subrev_u32_e32 v24, 28, v23
	v_lshlrev_b64 v[24:25], v24, v[6:7]
	v_lshrrev_b32_e32 v21, 3, v20
	v_sub_u32_e32 v6, 29, v23
	v_and_b32_e32 v23, 7, v24
	v_cmp_gt_u32_e32 vcc, 8, v20
	v_mov_b32_e32 v20, 24
	v_cndmask_b32_e32 v6, v21, v6, vcc
	v_cndmask_b32_e32 v19, v19, v23, vcc
	v_lshlrev_b32_sdwa v20, v20, v9 dst_sel:DWORD dst_unused:UNUSED_PAD src0_sel:DWORD src1_sel:WORD_1
	v_bfrev_b32_e32 v21, 60
	v_lshlrev_b32_e32 v19, 20, v19
	v_and_b32_e32 v20, 0x80000000, v20
	v_lshl_add_u32 v6, v6, 23, v21
	v_or3_b32 v6, v20, v6, v19
	v_lshrrev_b32_e32 v19, 16, v6
.LBB852_679:
	s_or_b64 exec, exec, s[10:11]
.LBB852_680:
	s_or_b64 exec, exec, s[8:9]
.LBB852_681:
	s_or_b64 exec, exec, s[2:3]
	s_mov_b32 s2, 0xffffff
	v_cmp_lt_u32_e32 vcc, s2, v9
	s_and_saveexec_b64 s[2:3], vcc
	s_cbranch_execz .LBB852_687
; %bb.682:
	v_lshrrev_b32_e32 v6, 24, v9
	s_movk_i32 s7, 0x80
	v_cmp_ne_u32_e32 vcc, s7, v6
	v_mov_b32_e32 v18, 0xffff8000
	s_and_saveexec_b64 s[8:9], vcc
	s_cbranch_execz .LBB852_686
; %bb.683:
	v_bfe_u32 v9, v9, 24, 7
	s_movk_i32 s7, 0x7f
	v_cmp_ne_u32_e32 vcc, s7, v9
	v_mov_b32_e32 v18, 0x7f80
	s_and_saveexec_b64 s[10:11], vcc
	s_cbranch_execz .LBB852_685
; %bb.684:
	v_and_b32_e32 v18, 7, v6
	v_ffbh_u32_e32 v20, v18
	v_min_u32_e32 v24, 32, v20
	v_subrev_u32_e32 v20, 28, v24
	v_lshlrev_b64 v[20:21], v20, v[6:7]
	v_lshrrev_b32_e32 v23, 3, v9
	v_sub_u32_e32 v21, 29, v24
	v_and_b32_e32 v20, 7, v20
	v_cmp_gt_u32_e32 vcc, 8, v9
	v_cndmask_b32_e32 v9, v23, v21, vcc
	v_cndmask_b32_e32 v18, v18, v20, vcc
	v_lshlrev_b32_e32 v6, 24, v6
	v_bfrev_b32_e32 v20, 60
	v_lshlrev_b32_e32 v18, 20, v18
	v_and_b32_e32 v6, 0x80000000, v6
	v_lshl_add_u32 v9, v9, 23, v20
	v_or3_b32 v6, v6, v9, v18
	v_lshrrev_b32_e32 v18, 16, v6
.LBB852_685:
	s_or_b64 exec, exec, s[10:11]
.LBB852_686:
	s_or_b64 exec, exec, s[8:9]
.LBB852_687:
	s_or_b64 exec, exec, s[2:3]
	s_mov_b32 s2, 0x5040100
	v_perm_b32 v15, v15, v16, s2
	v_perm_b32 v14, v7, v14, s2
	ds_read_b128 v[24:27], v22 offset:4112
	v_perm_b32 v7, v18, v19, s2
	v_perm_b32 v6, v8, v17, s2
	s_waitcnt lgkmcnt(0)
	v_mfma_f32_16x16x16bf16_1k v[30:33], v[14:15], v[24:25], v[10:13]
	s_nop 6
	v_mov_b32_e32 v11, 0
	s_waitcnt vmcnt(0)
	v_cmp_ne_u16_sdwa s[8:9], v2, v11 src0_sel:BYTE_0 src1_sel:DWORD
	v_mfma_f32_16x16x16bf16_1k v[6:9], v[6:7], v[26:27], v[30:33]
	v_mov_b32_e32 v12, 0
	s_and_saveexec_b64 s[2:3], s[8:9]
	s_cbranch_execz .LBB852_693
; %bb.688:
	s_movk_i32 s7, 0x80
	v_cmp_ne_u16_sdwa s[10:11], v2, s7 src0_sel:BYTE_0 src1_sel:DWORD
	v_mov_b32_e32 v12, 0xffff8000
	s_and_saveexec_b64 s[8:9], s[10:11]
	s_cbranch_execz .LBB852_692
; %bb.689:
	s_movk_i32 s7, 0x7f
	v_and_b32_e32 v10, 0x7f, v2
	v_cmp_ne_u32_e32 vcc, s7, v10
	v_mov_b32_e32 v12, 0x7f80
	s_and_saveexec_b64 s[10:11], vcc
	s_cbranch_execz .LBB852_691
; %bb.690:
	v_and_b32_e32 v14, 7, v2
	v_ffbh_u32_e32 v12, v14
	v_min_u32_e32 v16, 32, v12
	v_subrev_u32_e32 v12, 28, v16
	v_lshlrev_b64 v[12:13], v12, v[2:3]
	v_lshrrev_b32_e32 v15, 3, v10
	v_sub_u32_e32 v13, 29, v16
	v_and_b32_e32 v12, 7, v12
	v_cmp_gt_u32_e32 vcc, 8, v10
	v_cndmask_b32_e32 v10, v15, v13, vcc
	v_cndmask_b32_e32 v12, v14, v12, vcc
	v_lshlrev_b32_e32 v13, 24, v2
	v_bfrev_b32_e32 v14, 60
	v_lshlrev_b32_e32 v12, 20, v12
	v_and_b32_e32 v13, 0x80000000, v13
	v_lshl_add_u32 v10, v10, 23, v14
	v_or3_b32 v10, v13, v10, v12
	v_lshrrev_b32_e32 v12, 16, v10
.LBB852_691:
	s_or_b64 exec, exec, s[10:11]
.LBB852_692:
	s_or_b64 exec, exec, s[8:9]
.LBB852_693:
	s_or_b64 exec, exec, s[2:3]
	v_lshrrev_b16_e32 v10, 8, v2
	v_cmp_ne_u16_e32 vcc, 0, v10
	s_and_saveexec_b64 s[2:3], vcc
	s_cbranch_execz .LBB852_699
; %bb.694:
	s_movk_i32 s7, 0x80
	v_cmp_ne_u16_e32 vcc, s7, v10
	v_mov_b32_e32 v11, 0xffff8000
	s_and_saveexec_b64 s[8:9], vcc
	s_cbranch_execz .LBB852_698
; %bb.695:
	s_movk_i32 s7, 0x7f
	v_and_b32_e32 v13, 0x7f, v10
	v_cmp_ne_u32_e32 vcc, s7, v13
	v_mov_b32_e32 v11, 0x7f80
	s_and_saveexec_b64 s[10:11], vcc
	s_cbranch_execz .LBB852_697
; %bb.696:
	v_and_b32_e32 v14, 7, v10
	v_ffbh_u32_e32 v11, v14
	v_min_u32_e32 v16, 32, v11
	v_subrev_u32_e32 v11, 28, v16
	v_lshlrev_b64 v[10:11], v11, v[10:11]
	v_lshrrev_b32_e32 v15, 3, v13
	v_sub_u32_e32 v11, 29, v16
	v_and_b32_e32 v10, 7, v10
	v_cmp_gt_u32_e32 vcc, 8, v13
	v_cndmask_b32_e32 v11, v15, v11, vcc
	v_cndmask_b32_e32 v10, v14, v10, vcc
	v_lshlrev_b32_e32 v13, 16, v2
	v_bfrev_b32_e32 v14, 60
	v_lshlrev_b32_e32 v10, 20, v10
	v_and_b32_e32 v13, 0x80000000, v13
	v_lshl_add_u32 v11, v11, 23, v14
	v_or3_b32 v10, v13, v11, v10
	v_lshrrev_b32_e32 v11, 16, v10
.LBB852_697:
	s_or_b64 exec, exec, s[10:11]
.LBB852_698:
	s_or_b64 exec, exec, s[8:9]
.LBB852_699:
	s_or_b64 exec, exec, s[2:3]
	s_movk_i32 s2, 0xff
	v_and_b32_sdwa v15, v2, s2 dst_sel:DWORD dst_unused:UNUSED_PAD src0_sel:WORD_1 src1_sel:DWORD
	v_lshrrev_b32_e32 v10, 16, v2
	v_cmp_ne_u16_e32 vcc, 0, v15
	v_mov_b32_e32 v13, 0
	v_mov_b32_e32 v14, 0
	s_and_saveexec_b64 s[2:3], vcc
	s_cbranch_execz .LBB852_705
; %bb.700:
	s_movk_i32 s7, 0x80
	v_cmp_ne_u16_e32 vcc, s7, v15
	v_mov_b32_e32 v14, 0xffff8000
	s_and_saveexec_b64 s[8:9], vcc
	s_cbranch_execz .LBB852_704
; %bb.701:
	v_bfe_u32 v15, v2, 16, 7
	s_movk_i32 s7, 0x7f
	v_cmp_ne_u32_e32 vcc, s7, v15
	v_mov_b32_e32 v14, 0x7f80
	s_and_saveexec_b64 s[10:11], vcc
	s_cbranch_execz .LBB852_703
; %bb.702:
	v_and_b32_e32 v14, 7, v10
	v_ffbh_u32_e32 v16, v14
	v_min_u32_e32 v19, 32, v16
	v_subrev_u32_e32 v16, 28, v19
	v_lshlrev_b64 v[16:17], v16, v[10:11]
	v_lshrrev_b32_e32 v18, 3, v15
	v_sub_u32_e32 v10, 29, v19
	v_and_b32_e32 v16, 7, v16
	v_cmp_gt_u32_e32 vcc, 8, v15
	v_mov_b32_e32 v15, 24
	v_cndmask_b32_e32 v10, v18, v10, vcc
	v_cndmask_b32_e32 v14, v14, v16, vcc
	v_lshlrev_b32_sdwa v15, v15, v2 dst_sel:DWORD dst_unused:UNUSED_PAD src0_sel:DWORD src1_sel:WORD_1
	v_bfrev_b32_e32 v16, 60
	v_lshlrev_b32_e32 v14, 20, v14
	v_and_b32_e32 v15, 0x80000000, v15
	v_lshl_add_u32 v10, v10, 23, v16
	v_or3_b32 v10, v15, v10, v14
	v_lshrrev_b32_e32 v14, 16, v10
.LBB852_703:
	s_or_b64 exec, exec, s[10:11]
.LBB852_704:
	s_or_b64 exec, exec, s[8:9]
.LBB852_705:
	s_or_b64 exec, exec, s[2:3]
	s_mov_b32 s2, 0xffffff
	v_cmp_lt_u32_e32 vcc, s2, v2
	s_and_saveexec_b64 s[2:3], vcc
	s_cbranch_execz .LBB852_711
; %bb.706:
	v_lshrrev_b32_e32 v10, 24, v2
	s_movk_i32 s7, 0x80
	v_cmp_ne_u32_e32 vcc, s7, v10
	v_mov_b32_e32 v13, 0xffff8000
	s_and_saveexec_b64 s[8:9], vcc
	s_cbranch_execz .LBB852_710
; %bb.707:
	v_bfe_u32 v2, v2, 24, 7
	s_movk_i32 s7, 0x7f
	v_cmp_ne_u32_e32 vcc, s7, v2
	v_mov_b32_e32 v13, 0x7f80
	s_and_saveexec_b64 s[10:11], vcc
	s_cbranch_execz .LBB852_709
; %bb.708:
	v_and_b32_e32 v13, 7, v10
	v_ffbh_u32_e32 v16, v13
	v_min_u32_e32 v18, 32, v16
	v_subrev_u32_e32 v16, 28, v18
	v_lshlrev_b64 v[16:17], v16, v[10:11]
	v_lshrrev_b32_e32 v15, 3, v2
	v_sub_u32_e32 v17, 29, v18
	v_and_b32_e32 v16, 7, v16
	v_cmp_gt_u32_e32 vcc, 8, v2
	v_cndmask_b32_e32 v2, v15, v17, vcc
	v_cndmask_b32_e32 v13, v13, v16, vcc
	v_lshlrev_b32_e32 v10, 24, v10
	v_bfrev_b32_e32 v15, 60
	v_lshlrev_b32_e32 v13, 20, v13
	v_and_b32_e32 v10, 0x80000000, v10
	v_lshl_add_u32 v2, v2, 23, v15
	v_or3_b32 v2, v10, v2, v13
	v_lshrrev_b32_e32 v13, 16, v2
.LBB852_709:
	s_or_b64 exec, exec, s[10:11]
.LBB852_710:
	s_or_b64 exec, exec, s[8:9]
.LBB852_711:
	s_or_b64 exec, exec, s[2:3]
	v_mov_b32_e32 v10, 0
	v_cmp_ne_u16_sdwa s[8:9], v3, v10 src0_sel:BYTE_0 src1_sel:DWORD
	v_mov_b32_e32 v15, 0
	s_and_saveexec_b64 s[2:3], s[8:9]
	s_cbranch_execz .LBB852_717
; %bb.712:
	s_movk_i32 s7, 0x80
	v_cmp_ne_u16_sdwa s[10:11], v3, s7 src0_sel:BYTE_0 src1_sel:DWORD
	v_mov_b32_e32 v15, 0xffff8000
	s_and_saveexec_b64 s[8:9], s[10:11]
	s_cbranch_execz .LBB852_716
; %bb.713:
	s_movk_i32 s7, 0x7f
	v_and_b32_e32 v2, 0x7f, v3
	v_cmp_ne_u32_e32 vcc, s7, v2
	v_mov_b32_e32 v15, 0x7f80
	s_and_saveexec_b64 s[10:11], vcc
	s_cbranch_execz .LBB852_715
; %bb.714:
	v_and_b32_e32 v15, 7, v3
	v_ffbh_u32_e32 v17, v15
	v_min_u32_e32 v19, 32, v17
	v_mov_b32_e32 v16, v3
	v_subrev_u32_e32 v17, 28, v19
	v_lshlrev_b64 v[16:17], v17, v[16:17]
	v_lshrrev_b32_e32 v18, 3, v2
	v_sub_u32_e32 v17, 29, v19
	v_and_b32_e32 v16, 7, v16
	v_cmp_gt_u32_e32 vcc, 8, v2
	v_cndmask_b32_e32 v2, v18, v17, vcc
	v_cndmask_b32_e32 v15, v15, v16, vcc
	v_lshlrev_b32_e32 v16, 24, v3
	v_bfrev_b32_e32 v17, 60
	v_lshlrev_b32_e32 v15, 20, v15
	v_and_b32_e32 v16, 0x80000000, v16
	v_lshl_add_u32 v2, v2, 23, v17
	v_or3_b32 v2, v16, v2, v15
	v_lshrrev_b32_e32 v15, 16, v2
.LBB852_715:
	s_or_b64 exec, exec, s[10:11]
.LBB852_716:
	s_or_b64 exec, exec, s[8:9]
.LBB852_717:
	s_or_b64 exec, exec, s[2:3]
	v_lshrrev_b16_e32 v2, 8, v3
	v_cmp_ne_u16_e32 vcc, 0, v2
	s_and_saveexec_b64 s[2:3], vcc
	s_cbranch_execz .LBB852_723
; %bb.718:
	s_movk_i32 s7, 0x80
	v_cmp_ne_u16_e32 vcc, s7, v2
	v_mov_b32_e32 v10, 0xffff8000
	s_and_saveexec_b64 s[8:9], vcc
	s_cbranch_execz .LBB852_722
; %bb.719:
	s_movk_i32 s7, 0x7f
	v_and_b32_e32 v16, 0x7f, v2
	v_cmp_ne_u32_e32 vcc, s7, v16
	v_mov_b32_e32 v10, 0x7f80
	s_and_saveexec_b64 s[10:11], vcc
	s_cbranch_execz .LBB852_721
; %bb.720:
	v_and_b32_e32 v10, 7, v2
	v_ffbh_u32_e32 v18, v10
	v_min_u32_e32 v20, 32, v18
	v_subrev_u32_e32 v18, 28, v20
	v_lshlrev_b64 v[18:19], v18, v[2:3]
	v_lshrrev_b32_e32 v17, 3, v16
	v_sub_u32_e32 v2, 29, v20
	v_and_b32_e32 v18, 7, v18
	v_cmp_gt_u32_e32 vcc, 8, v16
	v_cndmask_b32_e32 v2, v17, v2, vcc
	v_cndmask_b32_e32 v10, v10, v18, vcc
	v_lshlrev_b32_e32 v16, 16, v3
	v_bfrev_b32_e32 v17, 60
	v_lshlrev_b32_e32 v10, 20, v10
	v_and_b32_e32 v16, 0x80000000, v16
	v_lshl_add_u32 v2, v2, 23, v17
	v_or3_b32 v2, v16, v2, v10
	v_lshrrev_b32_e32 v10, 16, v2
.LBB852_721:
	s_or_b64 exec, exec, s[10:11]
.LBB852_722:
	s_or_b64 exec, exec, s[8:9]
.LBB852_723:
	s_or_b64 exec, exec, s[2:3]
	s_movk_i32 s2, 0xff
	v_and_b32_sdwa v18, v3, s2 dst_sel:DWORD dst_unused:UNUSED_PAD src0_sel:WORD_1 src1_sel:DWORD
	v_lshrrev_b32_e32 v2, 16, v3
	v_cmp_ne_u16_e32 vcc, 0, v18
	v_mov_b32_e32 v16, 0
	v_mov_b32_e32 v17, 0
	s_and_saveexec_b64 s[2:3], vcc
	s_cbranch_execz .LBB852_729
; %bb.724:
	s_movk_i32 s7, 0x80
	v_cmp_ne_u16_e32 vcc, s7, v18
	v_mov_b32_e32 v17, 0xffff8000
	s_and_saveexec_b64 s[8:9], vcc
	s_cbranch_execz .LBB852_728
; %bb.725:
	v_bfe_u32 v18, v3, 16, 7
	s_movk_i32 s7, 0x7f
	v_cmp_ne_u32_e32 vcc, s7, v18
	v_mov_b32_e32 v17, 0x7f80
	s_and_saveexec_b64 s[10:11], vcc
	s_cbranch_execz .LBB852_727
; %bb.726:
	v_and_b32_e32 v17, 7, v2
	v_ffbh_u32_e32 v20, v17
	v_min_u32_e32 v23, 32, v20
	v_subrev_u32_e32 v20, 28, v23
	v_lshlrev_b64 v[20:21], v20, v[2:3]
	v_lshrrev_b32_e32 v19, 3, v18
	v_sub_u32_e32 v2, 29, v23
	v_and_b32_e32 v20, 7, v20
	v_cmp_gt_u32_e32 vcc, 8, v18
	v_mov_b32_e32 v18, 24
	v_cndmask_b32_e32 v2, v19, v2, vcc
	v_cndmask_b32_e32 v17, v17, v20, vcc
	v_lshlrev_b32_sdwa v18, v18, v3 dst_sel:DWORD dst_unused:UNUSED_PAD src0_sel:DWORD src1_sel:WORD_1
	v_bfrev_b32_e32 v19, 60
	v_lshlrev_b32_e32 v17, 20, v17
	v_and_b32_e32 v18, 0x80000000, v18
	v_lshl_add_u32 v2, v2, 23, v19
	v_or3_b32 v2, v18, v2, v17
	v_lshrrev_b32_e32 v17, 16, v2
.LBB852_727:
	s_or_b64 exec, exec, s[10:11]
.LBB852_728:
	s_or_b64 exec, exec, s[8:9]
.LBB852_729:
	s_or_b64 exec, exec, s[2:3]
	s_mov_b32 s2, 0xffffff
	v_cmp_lt_u32_e32 vcc, s2, v3
	s_and_saveexec_b64 s[2:3], vcc
	s_cbranch_execz .LBB852_735
; %bb.730:
	v_lshrrev_b32_e32 v2, 24, v3
	s_movk_i32 s7, 0x80
	v_cmp_ne_u32_e32 vcc, s7, v2
	v_mov_b32_e32 v16, 0xffff8000
	s_and_saveexec_b64 s[8:9], vcc
	s_cbranch_execz .LBB852_734
; %bb.731:
	v_bfe_u32 v3, v3, 24, 7
	s_movk_i32 s7, 0x7f
	v_cmp_ne_u32_e32 vcc, s7, v3
	v_mov_b32_e32 v16, 0x7f80
	s_and_saveexec_b64 s[10:11], vcc
	s_cbranch_execz .LBB852_733
; %bb.732:
	v_and_b32_e32 v16, 7, v2
	v_ffbh_u32_e32 v18, v16
	v_min_u32_e32 v21, 32, v18
	v_subrev_u32_e32 v18, 28, v21
	v_lshlrev_b64 v[18:19], v18, v[2:3]
	v_lshrrev_b32_e32 v20, 3, v3
	v_sub_u32_e32 v19, 29, v21
	v_and_b32_e32 v18, 7, v18
	v_cmp_gt_u32_e32 vcc, 8, v3
	v_cndmask_b32_e32 v3, v20, v19, vcc
	v_cndmask_b32_e32 v16, v16, v18, vcc
	v_lshlrev_b32_e32 v2, 24, v2
	v_bfrev_b32_e32 v18, 60
	v_lshlrev_b32_e32 v16, 20, v16
	v_and_b32_e32 v2, 0x80000000, v2
	v_lshl_add_u32 v3, v3, 23, v18
	v_or3_b32 v2, v2, v3, v16
	v_lshrrev_b32_e32 v16, 16, v2
.LBB852_733:
	s_or_b64 exec, exec, s[10:11]
.LBB852_734:
	s_or_b64 exec, exec, s[8:9]
.LBB852_735:
	s_or_b64 exec, exec, s[2:3]
	s_mov_b32 s2, 0x5040100
	v_perm_b32 v3, v13, v14, s2
	v_perm_b32 v2, v11, v12, s2
	ds_read_b128 v[18:21], v22 offset:6144
	v_perm_b32 v13, v16, v17, s2
	v_perm_b32 v12, v10, v15, s2
	s_waitcnt lgkmcnt(0)
	v_mfma_f32_16x16x16bf16_1k v[6:9], v[2:3], v[18:19], v[6:9]
	v_mov_b32_e32 v3, 0
	v_cmp_ne_u16_sdwa s[8:9], v4, v3 src0_sel:BYTE_0 src1_sel:DWORD
	v_mov_b32_e32 v10, 0
	v_mfma_f32_16x16x16bf16_1k v[6:9], v[12:13], v[20:21], v[6:9]
	s_and_saveexec_b64 s[2:3], s[8:9]
	s_cbranch_execz .LBB852_741
; %bb.736:
	s_movk_i32 s7, 0x80
	v_cmp_ne_u16_sdwa s[10:11], v4, s7 src0_sel:BYTE_0 src1_sel:DWORD
	v_mov_b32_e32 v10, 0xffff8000
	s_and_saveexec_b64 s[8:9], s[10:11]
	s_cbranch_execz .LBB852_740
; %bb.737:
	s_movk_i32 s7, 0x7f
	v_and_b32_e32 v2, 0x7f, v4
	v_cmp_ne_u32_e32 vcc, s7, v2
	v_mov_b32_e32 v10, 0x7f80
	s_and_saveexec_b64 s[10:11], vcc
	s_cbranch_execz .LBB852_739
; %bb.738:
	v_and_b32_e32 v12, 7, v4
	v_ffbh_u32_e32 v10, v12
	v_min_u32_e32 v14, 32, v10
	v_subrev_u32_e32 v10, 28, v14
	v_lshlrev_b64 v[10:11], v10, v[4:5]
	v_lshrrev_b32_e32 v13, 3, v2
	v_sub_u32_e32 v11, 29, v14
	v_and_b32_e32 v10, 7, v10
	v_cmp_gt_u32_e32 vcc, 8, v2
	v_cndmask_b32_e32 v2, v13, v11, vcc
	v_cndmask_b32_e32 v10, v12, v10, vcc
	v_lshlrev_b32_e32 v11, 24, v4
	v_bfrev_b32_e32 v12, 60
	v_lshlrev_b32_e32 v10, 20, v10
	v_and_b32_e32 v11, 0x80000000, v11
	v_lshl_add_u32 v2, v2, 23, v12
	v_or3_b32 v2, v11, v2, v10
	v_lshrrev_b32_e32 v10, 16, v2
.LBB852_739:
	s_or_b64 exec, exec, s[10:11]
.LBB852_740:
	s_or_b64 exec, exec, s[8:9]
.LBB852_741:
	s_or_b64 exec, exec, s[2:3]
	v_lshrrev_b16_e32 v2, 8, v4
	v_cmp_ne_u16_e32 vcc, 0, v2
	s_and_saveexec_b64 s[2:3], vcc
	s_cbranch_execz .LBB852_747
; %bb.742:
	s_movk_i32 s7, 0x80
	v_cmp_ne_u16_e32 vcc, s7, v2
	v_mov_b32_e32 v3, 0xffff8000
	s_and_saveexec_b64 s[8:9], vcc
	s_cbranch_execz .LBB852_746
; %bb.743:
	s_movk_i32 s7, 0x7f
	v_and_b32_e32 v11, 0x7f, v2
	v_cmp_ne_u32_e32 vcc, s7, v11
	v_mov_b32_e32 v3, 0x7f80
	s_and_saveexec_b64 s[10:11], vcc
	s_cbranch_execz .LBB852_745
; %bb.744:
	v_and_b32_e32 v12, 7, v2
	v_ffbh_u32_e32 v3, v12
	v_min_u32_e32 v14, 32, v3
	v_subrev_u32_e32 v3, 28, v14
	v_lshlrev_b64 v[2:3], v3, v[2:3]
	v_lshrrev_b32_e32 v13, 3, v11
	v_sub_u32_e32 v3, 29, v14
	v_and_b32_e32 v2, 7, v2
	v_cmp_gt_u32_e32 vcc, 8, v11
	v_cndmask_b32_e32 v3, v13, v3, vcc
	v_cndmask_b32_e32 v2, v12, v2, vcc
	v_lshlrev_b32_e32 v11, 16, v4
	v_bfrev_b32_e32 v12, 60
	v_lshlrev_b32_e32 v2, 20, v2
	v_and_b32_e32 v11, 0x80000000, v11
	v_lshl_add_u32 v3, v3, 23, v12
	v_or3_b32 v2, v11, v3, v2
	v_lshrrev_b32_e32 v3, 16, v2
.LBB852_745:
	s_or_b64 exec, exec, s[10:11]
.LBB852_746:
	s_or_b64 exec, exec, s[8:9]
.LBB852_747:
	s_or_b64 exec, exec, s[2:3]
	s_movk_i32 s2, 0xff
	v_and_b32_sdwa v13, v4, s2 dst_sel:DWORD dst_unused:UNUSED_PAD src0_sel:WORD_1 src1_sel:DWORD
	v_lshrrev_b32_e32 v2, 16, v4
	v_cmp_ne_u16_e32 vcc, 0, v13
	v_mov_b32_e32 v11, 0
	v_mov_b32_e32 v12, 0
	s_and_saveexec_b64 s[2:3], vcc
	s_cbranch_execz .LBB852_753
; %bb.748:
	s_movk_i32 s7, 0x80
	v_cmp_ne_u16_e32 vcc, s7, v13
	v_mov_b32_e32 v12, 0xffff8000
	s_and_saveexec_b64 s[8:9], vcc
	s_cbranch_execz .LBB852_752
; %bb.749:
	v_bfe_u32 v13, v4, 16, 7
	s_movk_i32 s7, 0x7f
	v_cmp_ne_u32_e32 vcc, s7, v13
	v_mov_b32_e32 v12, 0x7f80
	s_and_saveexec_b64 s[10:11], vcc
	s_cbranch_execz .LBB852_751
; %bb.750:
	v_and_b32_e32 v12, 7, v2
	v_ffbh_u32_e32 v14, v12
	v_min_u32_e32 v17, 32, v14
	v_subrev_u32_e32 v14, 28, v17
	v_lshlrev_b64 v[14:15], v14, v[2:3]
	v_lshrrev_b32_e32 v16, 3, v13
	v_sub_u32_e32 v2, 29, v17
	v_and_b32_e32 v14, 7, v14
	v_cmp_gt_u32_e32 vcc, 8, v13
	v_mov_b32_e32 v13, 24
	v_cndmask_b32_e32 v2, v16, v2, vcc
	v_cndmask_b32_e32 v12, v12, v14, vcc
	v_lshlrev_b32_sdwa v13, v13, v4 dst_sel:DWORD dst_unused:UNUSED_PAD src0_sel:DWORD src1_sel:WORD_1
	v_bfrev_b32_e32 v14, 60
	v_lshlrev_b32_e32 v12, 20, v12
	v_and_b32_e32 v13, 0x80000000, v13
	v_lshl_add_u32 v2, v2, 23, v14
	v_or3_b32 v2, v13, v2, v12
	v_lshrrev_b32_e32 v12, 16, v2
.LBB852_751:
	s_or_b64 exec, exec, s[10:11]
.LBB852_752:
	s_or_b64 exec, exec, s[8:9]
.LBB852_753:
	s_or_b64 exec, exec, s[2:3]
	s_mov_b32 s2, 0xffffff
	v_cmp_lt_u32_e32 vcc, s2, v4
	s_and_saveexec_b64 s[2:3], vcc
	s_cbranch_execz .LBB852_759
; %bb.754:
	v_lshrrev_b32_e32 v2, 24, v4
	s_movk_i32 s7, 0x80
	v_cmp_ne_u32_e32 vcc, s7, v2
	v_mov_b32_e32 v11, 0xffff8000
	s_and_saveexec_b64 s[8:9], vcc
	s_cbranch_execz .LBB852_758
; %bb.755:
	v_bfe_u32 v4, v4, 24, 7
	s_movk_i32 s7, 0x7f
	v_cmp_ne_u32_e32 vcc, s7, v4
	v_mov_b32_e32 v11, 0x7f80
	s_and_saveexec_b64 s[10:11], vcc
	s_cbranch_execz .LBB852_757
; %bb.756:
	v_and_b32_e32 v11, 7, v2
	v_ffbh_u32_e32 v14, v11
	v_min_u32_e32 v16, 32, v14
	v_subrev_u32_e32 v14, 28, v16
	v_lshlrev_b64 v[14:15], v14, v[2:3]
	v_lshrrev_b32_e32 v13, 3, v4
	v_sub_u32_e32 v15, 29, v16
	v_and_b32_e32 v14, 7, v14
	v_cmp_gt_u32_e32 vcc, 8, v4
	v_cndmask_b32_e32 v4, v13, v15, vcc
	v_cndmask_b32_e32 v11, v11, v14, vcc
	v_lshlrev_b32_e32 v2, 24, v2
	v_bfrev_b32_e32 v13, 60
	v_lshlrev_b32_e32 v11, 20, v11
	v_and_b32_e32 v2, 0x80000000, v2
	v_lshl_add_u32 v4, v4, 23, v13
	v_or3_b32 v2, v2, v4, v11
	v_lshrrev_b32_e32 v11, 16, v2
.LBB852_757:
	s_or_b64 exec, exec, s[10:11]
.LBB852_758:
	s_or_b64 exec, exec, s[8:9]
.LBB852_759:
	s_or_b64 exec, exec, s[2:3]
	v_mov_b32_e32 v4, 0
	v_cmp_ne_u16_sdwa s[8:9], v5, v4 src0_sel:BYTE_0 src1_sel:DWORD
	v_mov_b32_e32 v13, 0
	s_and_saveexec_b64 s[2:3], s[8:9]
	s_cbranch_execz .LBB852_765
; %bb.760:
	s_movk_i32 s7, 0x80
	v_cmp_ne_u16_sdwa s[10:11], v5, s7 src0_sel:BYTE_0 src1_sel:DWORD
	v_mov_b32_e32 v13, 0xffff8000
	s_and_saveexec_b64 s[8:9], s[10:11]
	s_cbranch_execz .LBB852_764
; %bb.761:
	s_movk_i32 s7, 0x7f
	v_and_b32_e32 v2, 0x7f, v5
	v_cmp_ne_u32_e32 vcc, s7, v2
	v_mov_b32_e32 v13, 0x7f80
	s_and_saveexec_b64 s[10:11], vcc
	s_cbranch_execz .LBB852_763
; %bb.762:
	v_and_b32_e32 v13, 7, v5
	v_ffbh_u32_e32 v15, v13
	v_min_u32_e32 v17, 32, v15
	v_mov_b32_e32 v14, v5
	v_subrev_u32_e32 v15, 28, v17
	v_lshlrev_b64 v[14:15], v15, v[14:15]
	v_lshrrev_b32_e32 v16, 3, v2
	v_sub_u32_e32 v15, 29, v17
	v_and_b32_e32 v14, 7, v14
	v_cmp_gt_u32_e32 vcc, 8, v2
	v_cndmask_b32_e32 v2, v16, v15, vcc
	v_cndmask_b32_e32 v13, v13, v14, vcc
	v_lshlrev_b32_e32 v14, 24, v5
	v_bfrev_b32_e32 v15, 60
	v_lshlrev_b32_e32 v13, 20, v13
	v_and_b32_e32 v14, 0x80000000, v14
	v_lshl_add_u32 v2, v2, 23, v15
	v_or3_b32 v2, v14, v2, v13
	v_lshrrev_b32_e32 v13, 16, v2
.LBB852_763:
	s_or_b64 exec, exec, s[10:11]
.LBB852_764:
	s_or_b64 exec, exec, s[8:9]
.LBB852_765:
	s_or_b64 exec, exec, s[2:3]
	v_lshrrev_b16_e32 v2, 8, v5
	v_cmp_ne_u16_e32 vcc, 0, v2
	s_and_saveexec_b64 s[2:3], vcc
	s_cbranch_execz .LBB852_771
; %bb.766:
	s_movk_i32 s7, 0x80
	v_cmp_ne_u16_e32 vcc, s7, v2
	v_mov_b32_e32 v4, 0xffff8000
	s_and_saveexec_b64 s[8:9], vcc
	s_cbranch_execz .LBB852_770
; %bb.767:
	s_movk_i32 s7, 0x7f
	v_and_b32_e32 v14, 0x7f, v2
	v_cmp_ne_u32_e32 vcc, s7, v14
	v_mov_b32_e32 v4, 0x7f80
	s_and_saveexec_b64 s[10:11], vcc
	s_cbranch_execz .LBB852_769
; %bb.768:
	v_and_b32_e32 v4, 7, v2
	v_ffbh_u32_e32 v16, v4
	v_min_u32_e32 v18, 32, v16
	v_subrev_u32_e32 v16, 28, v18
	v_lshlrev_b64 v[16:17], v16, v[2:3]
	v_lshrrev_b32_e32 v15, 3, v14
	v_sub_u32_e32 v2, 29, v18
	v_and_b32_e32 v16, 7, v16
	v_cmp_gt_u32_e32 vcc, 8, v14
	v_cndmask_b32_e32 v2, v15, v2, vcc
	v_cndmask_b32_e32 v4, v4, v16, vcc
	v_lshlrev_b32_e32 v14, 16, v5
	v_bfrev_b32_e32 v15, 60
	v_lshlrev_b32_e32 v4, 20, v4
	v_and_b32_e32 v14, 0x80000000, v14
	v_lshl_add_u32 v2, v2, 23, v15
	v_or3_b32 v2, v14, v2, v4
	v_lshrrev_b32_e32 v4, 16, v2
.LBB852_769:
	s_or_b64 exec, exec, s[10:11]
.LBB852_770:
	s_or_b64 exec, exec, s[8:9]
.LBB852_771:
	s_or_b64 exec, exec, s[2:3]
	s_movk_i32 s2, 0xff
	v_and_b32_sdwa v16, v5, s2 dst_sel:DWORD dst_unused:UNUSED_PAD src0_sel:WORD_1 src1_sel:DWORD
	v_lshrrev_b32_e32 v2, 16, v5
	v_cmp_ne_u16_e32 vcc, 0, v16
	v_mov_b32_e32 v14, 0
	v_mov_b32_e32 v15, 0
	s_and_saveexec_b64 s[2:3], vcc
	s_cbranch_execz .LBB852_777
; %bb.772:
	s_movk_i32 s7, 0x80
	v_cmp_ne_u16_e32 vcc, s7, v16
	v_mov_b32_e32 v15, 0xffff8000
	s_and_saveexec_b64 s[8:9], vcc
	s_cbranch_execz .LBB852_776
; %bb.773:
	v_bfe_u32 v16, v5, 16, 7
	s_movk_i32 s7, 0x7f
	v_cmp_ne_u32_e32 vcc, s7, v16
	v_mov_b32_e32 v15, 0x7f80
	s_and_saveexec_b64 s[10:11], vcc
	s_cbranch_execz .LBB852_775
; %bb.774:
	v_and_b32_e32 v15, 7, v2
	v_ffbh_u32_e32 v18, v15
	v_min_u32_e32 v20, 32, v18
	v_subrev_u32_e32 v18, 28, v20
	v_lshlrev_b64 v[18:19], v18, v[2:3]
	v_lshrrev_b32_e32 v17, 3, v16
	v_sub_u32_e32 v2, 29, v20
	v_and_b32_e32 v18, 7, v18
	v_cmp_gt_u32_e32 vcc, 8, v16
	v_mov_b32_e32 v16, 24
	v_cndmask_b32_e32 v2, v17, v2, vcc
	v_cndmask_b32_e32 v15, v15, v18, vcc
	v_lshlrev_b32_sdwa v16, v16, v5 dst_sel:DWORD dst_unused:UNUSED_PAD src0_sel:DWORD src1_sel:WORD_1
	v_bfrev_b32_e32 v17, 60
	v_lshlrev_b32_e32 v15, 20, v15
	v_and_b32_e32 v16, 0x80000000, v16
	v_lshl_add_u32 v2, v2, 23, v17
	v_or3_b32 v2, v16, v2, v15
	v_lshrrev_b32_e32 v15, 16, v2
.LBB852_775:
	s_or_b64 exec, exec, s[10:11]
.LBB852_776:
	s_or_b64 exec, exec, s[8:9]
.LBB852_777:
	s_or_b64 exec, exec, s[2:3]
	s_mov_b32 s2, 0xffffff
	v_cmp_lt_u32_e32 vcc, s2, v5
	s_and_saveexec_b64 s[2:3], vcc
	s_cbranch_execz .LBB852_783
; %bb.778:
	v_lshrrev_b32_e32 v2, 24, v5
	s_movk_i32 s7, 0x80
	v_cmp_ne_u32_e32 vcc, s7, v2
	v_mov_b32_e32 v14, 0xffff8000
	s_and_saveexec_b64 s[8:9], vcc
	s_cbranch_execz .LBB852_782
; %bb.779:
	v_bfe_u32 v5, v5, 24, 7
	s_movk_i32 s7, 0x7f
	v_cmp_ne_u32_e32 vcc, s7, v5
	v_mov_b32_e32 v14, 0x7f80
	s_and_saveexec_b64 s[10:11], vcc
	s_cbranch_execz .LBB852_781
; %bb.780:
	v_and_b32_e32 v14, 7, v2
	v_ffbh_u32_e32 v16, v14
	v_min_u32_e32 v19, 32, v16
	v_subrev_u32_e32 v16, 28, v19
	v_lshlrev_b64 v[16:17], v16, v[2:3]
	v_lshrrev_b32_e32 v18, 3, v5
	v_sub_u32_e32 v17, 29, v19
	v_and_b32_e32 v16, 7, v16
	v_cmp_gt_u32_e32 vcc, 8, v5
	v_cndmask_b32_e32 v5, v18, v17, vcc
	v_cndmask_b32_e32 v14, v14, v16, vcc
	v_lshlrev_b32_e32 v2, 24, v2
	v_bfrev_b32_e32 v16, 60
	v_lshlrev_b32_e32 v14, 20, v14
	v_and_b32_e32 v2, 0x80000000, v2
	v_lshl_add_u32 v5, v5, 23, v16
	v_or3_b32 v2, v2, v5, v14
	v_lshrrev_b32_e32 v14, 16, v2
.LBB852_781:
	s_or_b64 exec, exec, s[10:11]
.LBB852_782:
	s_or_b64 exec, exec, s[8:9]
.LBB852_783:
	s_or_b64 exec, exec, s[2:3]
	s_mov_b32 s3, 0x5040100
	v_perm_b32 v11, v11, v12, s3
	ds_read_b128 v[16:19], v22 offset:6160
	v_perm_b32 v10, v3, v10, s3
	v_perm_b32 v3, v14, v15, s3
	;; [unrolled: 1-line block ×3, first 2 shown]
	s_waitcnt lgkmcnt(0)
	v_mfma_f32_16x16x16bf16_1k v[6:9], v[10:11], v[16:17], v[6:9]
	s_load_dword s2, s[42:43], 0x0
	s_mov_b32 s3, 0x7060302
	s_movk_i32 s7, 0x7fff
	v_cmp_gt_u32_e32 vcc, 64, v0
	s_and_b64 s[0:1], vcc, s[0:1]
	s_waitcnt lgkmcnt(0)
	s_barrier
	v_mfma_f32_16x16x16bf16_1k v[2:5], v[2:3], v[18:19], v[6:9]
	s_nop 7
	s_nop 2
	v_pk_mul_f32 v[4:5], v[4:5], s[2:3] op_sel_hi:[1,0]
	v_pk_mul_f32 v[2:3], v[2:3], s[2:3] op_sel_hi:[1,0]
	v_bfe_u32 v6, v3, 16, 1
	v_bfe_u32 v7, v2, 16, 1
	;; [unrolled: 1-line block ×4, first 2 shown]
	v_add3_u32 v2, v2, v7, s7
	v_add3_u32 v3, v3, v6, s7
	;; [unrolled: 1-line block ×4, first 2 shown]
	v_perm_b32 v2, v3, v2, s3
	v_perm_b32 v3, v5, v4, s3
	ds_write_b64 v28, v[2:3]
	s_waitcnt lgkmcnt(0)
	s_barrier
	s_and_saveexec_b64 s[2:3], s[0:1]
	s_cbranch_execz .LBB852_786
; %bb.784:
	s_load_dwordx2 s[2:3], s[4:5], 0x68
	s_lshl_b32 s0, s44, 6
	s_mul_i32 s1, s12, s6
	s_mul_hi_u32 s7, s1, s0
	s_mul_i32 s6, s1, s0
	s_lshl_b64 s[6:7], s[6:7], 1
	s_waitcnt lgkmcnt(0)
	s_add_u32 s1, s2, s6
	s_mov_b32 s5, 0
	s_addc_u32 s6, s3, s7
	s_lshl_b32 s4, s24, 6
	v_lshlrev_b32_e32 v0, 10, v0
	s_lshl_b64 s[2:3], s[4:5], 1
	v_and_b32_e32 v0, 0x1800, v0
	v_lshlrev_b32_e32 v2, 5, v1
	v_and_b32_e32 v3, 16, v47
	s_add_u32 s1, s1, s2
	v_or3_b32 v0, v0, v2, v3
	s_addc_u32 s2, s6, s3
	v_add_u32_e32 v8, s25, v1
	v_mov_b32_e32 v3, s2
	v_add_co_u32_e32 v2, vcc, s1, v46
	ds_read_b128 v[4:7], v0
	v_mad_u64_u32 v[8:9], s[2:3], v8, s0, 0
	v_addc_co_u32_e32 v3, vcc, 0, v3, vcc
	v_lshlrev_b64 v[8:9], 1, v[8:9]
	v_add_co_u32_e32 v8, vcc, v2, v8
	v_addc_co_u32_e32 v9, vcc, v3, v9, vcc
	v_cmp_ne_u32_e32 vcc, 3, v1
	s_waitcnt lgkmcnt(0)
	global_store_dwordx4 v[8:9], v[4:7], off
	s_and_b64 exec, exec, vcc
	s_cbranch_execz .LBB852_786
; %bb.785:
	ds_read_b128 v[4:7], v0 offset:128
	v_add3_u32 v0, s25, v1, 4
	v_mad_u64_u32 v[0:1], s[0:1], v0, s0, 0
	v_lshlrev_b64 v[0:1], 1, v[0:1]
	v_add_co_u32_e32 v0, vcc, v2, v0
	v_addc_co_u32_e32 v1, vcc, v3, v1, vcc
	s_waitcnt lgkmcnt(0)
	global_store_dwordx4 v[0:1], v[4:7], off
.LBB852_786:
	s_endpgm
	.section	.rodata,"a",@progbits
	.p2align	6, 0x0
	.amdhsa_kernel _Z39paged_attention_ll4mi_QKV_mfma16_kernelI14__hip_bfloat16hLN4vllm18Fp8KVCacheDataTypeE1ES0_Li16ELi64ELi256ELb0ELi7EL8MFMAType0EEvPKT_PKT0_S9_ifPKiSB_SB_iPKfiiiPfSE_PS4_PT2_iSD_SD_
		.amdhsa_group_segment_fixed_size 8192
		.amdhsa_private_segment_fixed_size 0
		.amdhsa_kernarg_size 400
		.amdhsa_user_sgpr_count 6
		.amdhsa_user_sgpr_private_segment_buffer 1
		.amdhsa_user_sgpr_dispatch_ptr 0
		.amdhsa_user_sgpr_queue_ptr 0
		.amdhsa_user_sgpr_kernarg_segment_ptr 1
		.amdhsa_user_sgpr_dispatch_id 0
		.amdhsa_user_sgpr_flat_scratch_init 0
		.amdhsa_user_sgpr_kernarg_preload_length 0
		.amdhsa_user_sgpr_kernarg_preload_offset 0
		.amdhsa_user_sgpr_private_segment_size 0
		.amdhsa_uses_dynamic_stack 0
		.amdhsa_system_sgpr_private_segment_wavefront_offset 0
		.amdhsa_system_sgpr_workgroup_id_x 1
		.amdhsa_system_sgpr_workgroup_id_y 1
		.amdhsa_system_sgpr_workgroup_id_z 1
		.amdhsa_system_sgpr_workgroup_info 0
		.amdhsa_system_vgpr_workitem_id 0
		.amdhsa_next_free_vgpr 61
		.amdhsa_next_free_sgpr 47
		.amdhsa_accum_offset 64
		.amdhsa_reserve_vcc 1
		.amdhsa_reserve_flat_scratch 0
		.amdhsa_float_round_mode_32 0
		.amdhsa_float_round_mode_16_64 0
		.amdhsa_float_denorm_mode_32 3
		.amdhsa_float_denorm_mode_16_64 3
		.amdhsa_dx10_clamp 1
		.amdhsa_ieee_mode 1
		.amdhsa_fp16_overflow 0
		.amdhsa_tg_split 0
		.amdhsa_exception_fp_ieee_invalid_op 0
		.amdhsa_exception_fp_denorm_src 0
		.amdhsa_exception_fp_ieee_div_zero 0
		.amdhsa_exception_fp_ieee_overflow 0
		.amdhsa_exception_fp_ieee_underflow 0
		.amdhsa_exception_fp_ieee_inexact 0
		.amdhsa_exception_int_div_zero 0
	.end_amdhsa_kernel
	.section	.text._Z39paged_attention_ll4mi_QKV_mfma16_kernelI14__hip_bfloat16hLN4vllm18Fp8KVCacheDataTypeE1ES0_Li16ELi64ELi256ELb0ELi7EL8MFMAType0EEvPKT_PKT0_S9_ifPKiSB_SB_iPKfiiiPfSE_PS4_PT2_iSD_SD_,"axG",@progbits,_Z39paged_attention_ll4mi_QKV_mfma16_kernelI14__hip_bfloat16hLN4vllm18Fp8KVCacheDataTypeE1ES0_Li16ELi64ELi256ELb0ELi7EL8MFMAType0EEvPKT_PKT0_S9_ifPKiSB_SB_iPKfiiiPfSE_PS4_PT2_iSD_SD_,comdat
.Lfunc_end852:
	.size	_Z39paged_attention_ll4mi_QKV_mfma16_kernelI14__hip_bfloat16hLN4vllm18Fp8KVCacheDataTypeE1ES0_Li16ELi64ELi256ELb0ELi7EL8MFMAType0EEvPKT_PKT0_S9_ifPKiSB_SB_iPKfiiiPfSE_PS4_PT2_iSD_SD_, .Lfunc_end852-_Z39paged_attention_ll4mi_QKV_mfma16_kernelI14__hip_bfloat16hLN4vllm18Fp8KVCacheDataTypeE1ES0_Li16ELi64ELi256ELb0ELi7EL8MFMAType0EEvPKT_PKT0_S9_ifPKiSB_SB_iPKfiiiPfSE_PS4_PT2_iSD_SD_
                                        ; -- End function
	.section	.AMDGPU.csdata,"",@progbits
; Kernel info:
; codeLenInByte = 28296
; NumSgprs: 51
; NumVgprs: 61
; NumAgprs: 0
; TotalNumVgprs: 61
; ScratchSize: 0
; MemoryBound: 0
; FloatMode: 240
; IeeeMode: 1
; LDSByteSize: 8192 bytes/workgroup (compile time only)
; SGPRBlocks: 6
; VGPRBlocks: 7
; NumSGPRsForWavesPerEU: 51
; NumVGPRsForWavesPerEU: 61
; AccumOffset: 64
; Occupancy: 8
; WaveLimiterHint : 1
; COMPUTE_PGM_RSRC2:SCRATCH_EN: 0
; COMPUTE_PGM_RSRC2:USER_SGPR: 6
; COMPUTE_PGM_RSRC2:TRAP_HANDLER: 0
; COMPUTE_PGM_RSRC2:TGID_X_EN: 1
; COMPUTE_PGM_RSRC2:TGID_Y_EN: 1
; COMPUTE_PGM_RSRC2:TGID_Z_EN: 1
; COMPUTE_PGM_RSRC2:TIDIG_COMP_CNT: 0
; COMPUTE_PGM_RSRC3_GFX90A:ACCUM_OFFSET: 15
; COMPUTE_PGM_RSRC3_GFX90A:TG_SPLIT: 0
	.section	.text._Z39paged_attention_ll4mi_QKV_mfma16_kernelI14__hip_bfloat16hLN4vllm18Fp8KVCacheDataTypeE1ES0_Li16ELi64ELi256ELb0ELi8EL8MFMAType0EEvPKT_PKT0_S9_ifPKiSB_SB_iPKfiiiPfSE_PS4_PT2_iSD_SD_,"axG",@progbits,_Z39paged_attention_ll4mi_QKV_mfma16_kernelI14__hip_bfloat16hLN4vllm18Fp8KVCacheDataTypeE1ES0_Li16ELi64ELi256ELb0ELi8EL8MFMAType0EEvPKT_PKT0_S9_ifPKiSB_SB_iPKfiiiPfSE_PS4_PT2_iSD_SD_,comdat
	.protected	_Z39paged_attention_ll4mi_QKV_mfma16_kernelI14__hip_bfloat16hLN4vllm18Fp8KVCacheDataTypeE1ES0_Li16ELi64ELi256ELb0ELi8EL8MFMAType0EEvPKT_PKT0_S9_ifPKiSB_SB_iPKfiiiPfSE_PS4_PT2_iSD_SD_ ; -- Begin function _Z39paged_attention_ll4mi_QKV_mfma16_kernelI14__hip_bfloat16hLN4vllm18Fp8KVCacheDataTypeE1ES0_Li16ELi64ELi256ELb0ELi8EL8MFMAType0EEvPKT_PKT0_S9_ifPKiSB_SB_iPKfiiiPfSE_PS4_PT2_iSD_SD_
	.globl	_Z39paged_attention_ll4mi_QKV_mfma16_kernelI14__hip_bfloat16hLN4vllm18Fp8KVCacheDataTypeE1ES0_Li16ELi64ELi256ELb0ELi8EL8MFMAType0EEvPKT_PKT0_S9_ifPKiSB_SB_iPKfiiiPfSE_PS4_PT2_iSD_SD_
	.p2align	8
	.type	_Z39paged_attention_ll4mi_QKV_mfma16_kernelI14__hip_bfloat16hLN4vllm18Fp8KVCacheDataTypeE1ES0_Li16ELi64ELi256ELb0ELi8EL8MFMAType0EEvPKT_PKT0_S9_ifPKiSB_SB_iPKfiiiPfSE_PS4_PT2_iSD_SD_,@function
_Z39paged_attention_ll4mi_QKV_mfma16_kernelI14__hip_bfloat16hLN4vllm18Fp8KVCacheDataTypeE1ES0_Li16ELi64ELi256ELb0ELi8EL8MFMAType0EEvPKT_PKT0_S9_ifPKiSB_SB_iPKfiiiPfSE_PS4_PT2_iSD_SD_: ; @_Z39paged_attention_ll4mi_QKV_mfma16_kernelI14__hip_bfloat16hLN4vllm18Fp8KVCacheDataTypeE1ES0_Li16ELi64ELi256ELb0ELi8EL8MFMAType0EEvPKT_PKT0_S9_ifPKiSB_SB_iPKfiiiPfSE_PS4_PT2_iSD_SD_
; %bb.0:
	s_load_dwordx2 s[0:1], s[4:5], 0x30
	s_mov_b32 s24, s7
	s_mov_b64 s[10:11], 0
	s_waitcnt lgkmcnt(0)
	s_cmp_lg_u64 s[0:1], 0
	s_cselect_b64 s[2:3], -1, 0
	s_and_b64 vcc, exec, s[2:3]
	s_cbranch_vccz .LBB853_7
; %bb.1:
	s_add_i32 s12, s6, 1
	s_mov_b32 s13, 0
	s_lshl_b64 s[14:15], s[12:13], 2
	s_add_u32 s14, s0, s14
	s_mov_b32 s7, s13
	s_addc_u32 s15, s1, s15
	s_lshl_b64 s[12:13], s[6:7], 2
	s_add_u32 s12, s0, s12
	s_addc_u32 s13, s1, s13
	s_load_dword s9, s[14:15], 0x0
	s_load_dword s16, s[12:13], 0x0
	s_waitcnt lgkmcnt(0)
	s_sub_i32 s9, s9, s16
	s_cmp_eq_u32 s9, 1
	s_cselect_b64 s[12:13], -1, 0
	s_andn2_b64 vcc, exec, s[10:11]
	s_cbranch_vccnz .LBB853_3
.LBB853_2:
	s_mov_b32 s7, 0
	s_mov_b64 s[12:13], -1
.LBB853_3:
	s_andn2_b64 vcc, exec, s[12:13]
	s_cbranch_vccnz .LBB853_785
; %bb.4:
	s_load_dwordx2 s[12:13], s[4:5], 0x28
	s_lshl_b64 s[10:11], s[6:7], 2
	s_waitcnt lgkmcnt(0)
	s_add_u32 s12, s12, s10
	s_addc_u32 s13, s13, s11
	s_load_dword s33, s[12:13], 0x0
	s_lshl_b32 s20, s24, 8
	s_waitcnt lgkmcnt(0)
	s_cmp_ge_i32 s20, s33
	s_cbranch_scc1 .LBB853_785
; %bb.5:
	s_add_i32 s14, s33, 15
	s_load_dwordx2 s[12:13], s[4:5], 0x20
	s_load_dword s9, s[4:5], 0x38
	s_ashr_i32 s15, s14, 31
	v_and_b32_e32 v1, 0xcf, v0
	s_lshr_b32 s15, s15, 28
	v_add_u32_e32 v1, s20, v1
	s_add_i32 s14, s14, s15
	v_ashrrev_i32_e32 v2, 31, v1
	s_ashr_i32 s22, s14, 4
	v_lshrrev_b32_e32 v4, 28, v2
	s_add_i32 s22, s22, -1
	v_add_u32_e32 v2, v1, v4
	s_waitcnt lgkmcnt(0)
	s_mul_i32 s14, s6, s9
	s_mov_b32 s15, 0
	v_ashrrev_i32_e32 v2, 4, v2
	v_mov_b32_e32 v5, s22
	v_cmp_gt_i32_e32 vcc, s33, v1
	s_lshl_b64 s[14:15], s[14:15], 2
	v_cndmask_b32_e32 v2, v5, v2, vcc
	s_add_u32 s9, s12, s14
	v_ashrrev_i32_e32 v3, 31, v2
	s_addc_u32 s21, s13, s15
	v_lshlrev_b64 v[2:3], 2, v[2:3]
	v_mov_b32_e32 v7, s21
	v_add_co_u32_e32 v6, vcc, s9, v2
	v_or_b32_e32 v2, 16, v1
	v_addc_co_u32_e32 v7, vcc, v7, v3, vcc
	v_add_u32_e32 v3, v2, v4
	v_ashrrev_i32_e32 v3, 4, v3
	v_cmp_gt_i32_e32 vcc, s33, v2
	v_cndmask_b32_e32 v2, v5, v3, vcc
	v_ashrrev_i32_e32 v3, 31, v2
	v_lshlrev_b64 v[2:3], 2, v[2:3]
	v_mov_b32_e32 v9, s21
	v_add_co_u32_e32 v8, vcc, s9, v2
	v_or_b32_e32 v2, 32, v1
	v_addc_co_u32_e32 v9, vcc, v9, v3, vcc
	v_add_u32_e32 v3, v2, v4
	v_ashrrev_i32_e32 v3, 4, v3
	v_cmp_gt_i32_e32 vcc, s33, v2
	v_cndmask_b32_e32 v2, v5, v3, vcc
	v_ashrrev_i32_e32 v3, 31, v2
	;; [unrolled: 10-line block ×3, first 2 shown]
	v_lshlrev_b64 v[2:3], 2, v[2:3]
	v_mov_b32_e32 v1, s21
	v_add_co_u32_e32 v12, vcc, s9, v2
	v_addc_co_u32_e32 v13, vcc, v1, v3, vcc
	global_load_dword v4, v[6:7], off
	global_load_dword v5, v[8:9], off
	;; [unrolled: 1-line block ×4, first 2 shown]
	s_load_dwordx4 s[12:15], s[4:5], 0x8
	s_andn2_b64 vcc, exec, s[2:3]
	s_cbranch_vccnz .LBB853_8
; %bb.6:
	s_add_u32 s0, s0, s10
	s_addc_u32 s1, s1, s11
	s_load_dword s10, s[0:1], 0x0
	s_branch .LBB853_9
.LBB853_7:
	s_mov_b64 s[12:13], 0
	s_branch .LBB853_2
.LBB853_8:
	s_mov_b32 s10, s6
.LBB853_9:
	s_load_dwordx4 s[16:19], s[4:5], 0x48
	v_and_b32_e32 v49, 15, v0
	s_movk_i32 s0, 0x80
	v_lshlrev_b32_e32 v6, 3, v49
	v_cmp_gt_u32_e32 vcc, s0, v0
	v_cmp_gt_u32_e64 s[0:1], 8, v49
	v_lshrrev_b32_e32 v48, 6, v0
	v_bfe_u32 v1, v0, 4, 2
	s_lshl_b32 s25, s8, 3
	s_and_b64 s[26:27], vcc, s[0:1]
	v_lshlrev_b32_e32 v46, 1, v6
	v_lshlrev_b32_e32 v47, 4, v0
	s_and_saveexec_b64 s[2:3], s[26:27]
	s_cbranch_execz .LBB853_11
; %bb.10:
	s_load_dwordx2 s[26:27], s[4:5], 0x0
	s_waitcnt lgkmcnt(0)
	s_ashr_i32 s11, s16, 31
	s_mul_hi_u32 s19, s10, s16
	s_mul_i32 s11, s10, s11
	v_lshl_or_b32 v10, v48, 2, v1
	s_add_i32 s11, s19, s11
	s_mul_i32 s10, s10, s16
	s_lshl_b64 s[10:11], s[10:11], 1
	v_add_lshl_u32 v6, v10, s25, 6
	s_add_u32 s10, s26, s10
	v_ashrrev_i32_e32 v7, 31, v6
	s_addc_u32 s11, s27, s11
	v_lshlrev_b64 v[6:7], 1, v[6:7]
	v_mov_b32_e32 v8, s11
	v_add_co_u32_e32 v6, vcc, s10, v6
	v_addc_co_u32_e32 v7, vcc, v8, v7, vcc
	v_add_co_u32_e32 v6, vcc, v6, v46
	v_addc_co_u32_e32 v7, vcc, 0, v7, vcc
	global_load_dwordx4 v[6:9], v[6:7], off
	v_lshlrev_b32_e32 v12, 8, v49
	v_lshlrev_b32_e32 v10, 5, v10
	v_and_b32_e32 v11, 16, v47
	v_and_b32_e32 v12, 0xe00, v12
	v_or3_b32 v10, v12, v10, v11
	s_waitcnt vmcnt(0)
	ds_write_b128 v10, v[6:9]
.LBB853_11:
	s_or_b64 exec, exec, s[2:3]
	v_and_b32_e32 v12, 48, v0
	v_or_b32_e32 v13, s20, v12
	v_ashrrev_i32_e32 v6, 4, v13
	v_mov_b32_e32 v14, s22
	v_cmp_gt_i32_e32 vcc, s33, v13
	v_cndmask_b32_e32 v6, v14, v6, vcc
	v_ashrrev_i32_e32 v7, 31, v6
	v_lshlrev_b64 v[6:7], 2, v[6:7]
	v_mov_b32_e32 v8, s21
	v_add_co_u32_e32 v6, vcc, s9, v6
	v_addc_co_u32_e32 v7, vcc, v8, v7, vcc
	v_or_b32_e32 v8, 64, v13
	v_ashrrev_i32_e32 v9, 4, v8
	v_cmp_gt_i32_e32 vcc, s33, v8
	v_cndmask_b32_e32 v8, v14, v9, vcc
	v_ashrrev_i32_e32 v9, 31, v8
	v_lshlrev_b64 v[8:9], 2, v[8:9]
	v_mov_b32_e32 v10, s21
	v_add_co_u32_e32 v8, vcc, s9, v8
	v_addc_co_u32_e32 v9, vcc, v10, v9, vcc
	v_or_b32_e32 v10, 0x80, v13
	v_ashrrev_i32_e32 v11, 4, v10
	v_cmp_gt_i32_e32 vcc, s33, v10
	v_cndmask_b32_e32 v10, v14, v11, vcc
	v_ashrrev_i32_e32 v11, 31, v10
	v_lshlrev_b64 v[10:11], 2, v[10:11]
	v_mov_b32_e32 v15, s21
	v_add_co_u32_e32 v10, vcc, s9, v10
	s_load_dwordx2 s[44:45], s[4:5], 0x94
	s_load_dwordx4 s[40:43], s[4:5], 0x80
	s_waitcnt lgkmcnt(0)
	s_barrier
	v_addc_co_u32_e32 v11, vcc, v15, v11, vcc
	global_load_dword v15, v[6:7], off
	global_load_dword v16, v[8:9], off
	global_load_dword v18, v[10:11], off
	v_or_b32_e32 v6, 0xc0, v13
	v_ashrrev_i32_e32 v7, 4, v6
	v_cmp_gt_i32_e32 vcc, s33, v6
	v_cndmask_b32_e32 v6, v14, v7, vcc
	v_ashrrev_i32_e32 v7, 31, v6
	v_lshlrev_b64 v[6:7], 2, v[6:7]
	v_mov_b32_e32 v8, s21
	v_add_co_u32_e32 v6, vcc, s9, v6
	v_addc_co_u32_e32 v7, vcc, v8, v7, vcc
	global_load_dword v20, v[6:7], off
	s_mul_i32 s8, s8, s18
	s_add_u32 s2, s12, s8
	s_addc_u32 s3, s13, 0
	v_and_b32_e32 v6, 0xf0, v47
	v_mov_b32_e32 v7, s3
	v_add_co_u32_e32 v6, vcc, s2, v6
	v_addc_co_u32_e32 v7, vcc, 0, v7, vcc
	v_lshlrev_b32_e32 v8, 4, v12
	v_add_co_u32_e32 v6, vcc, v6, v8
	v_addc_co_u32_e32 v7, vcc, 0, v7, vcc
	s_waitcnt vmcnt(7)
	v_mad_i64_i32 v[8:9], s[2:3], v4, s17, v[6:7]
	s_waitcnt vmcnt(6)
	v_mad_i64_i32 v[4:5], s[2:3], v5, s17, v[6:7]
	global_load_dwordx4 v[30:33], v[8:9], off
	global_load_dwordx4 v[38:41], v[4:5], off
	s_waitcnt vmcnt(7)
	v_mad_i64_i32 v[4:5], s[2:3], v2, s17, v[6:7]
	s_waitcnt vmcnt(6)
	v_mad_i64_i32 v[2:3], s[2:3], v3, s17, v[6:7]
	global_load_dwordx4 v[34:37], v[4:5], off
	global_load_dwordx4 v[22:25], v[2:3], off
	s_add_u32 s2, s14, s8
	v_lshlrev_b32_e32 v2, 4, v49
	s_addc_u32 s3, s15, 0
	v_lshl_or_b32 v2, v48, 8, v2
	v_mov_b32_e32 v3, s3
	v_add_co_u32_e32 v2, vcc, s2, v2
	v_addc_co_u32_e32 v3, vcc, 0, v3, vcc
	v_mov_b32_e32 v44, 0
	v_mov_b32_e32 v43, 0
	s_waitcnt vmcnt(7)
	v_mad_i64_i32 v[4:5], s[2:3], v15, s17, v[2:3]
	s_waitcnt vmcnt(6)
	v_mad_i64_i32 v[6:7], s[2:3], v16, s17, v[2:3]
	;; [unrolled: 2-line block ×3, first 2 shown]
	global_load_dwordx4 v[14:17], v[4:5], off
	global_load_dwordx4 v[10:13], v[6:7], off
	s_waitcnt vmcnt(6)
	v_mad_i64_i32 v[20:21], s[2:3], v20, s17, v[2:3]
	global_load_dwordx4 v[6:9], v[18:19], off
	global_load_dwordx4 v[2:5], v[20:21], off
	v_and_b32_e32 v18, 7, v0
	v_lshlrev_b32_e32 v18, 5, v18
	v_lshl_or_b32 v18, v1, 9, v18
	ds_read_b128 v[26:29], v18
	ds_read_b128 v[18:21], v18 offset:16
	s_load_dword s12, s[40:41], 0x0
	s_waitcnt vmcnt(7)
	v_cmp_ne_u16_sdwa s[8:9], v30, v44 src0_sel:BYTE_0 src1_sel:DWORD
	s_and_saveexec_b64 s[2:3], s[8:9]
	s_cbranch_execz .LBB853_17
; %bb.12:
	s_movk_i32 s8, 0x80
	v_cmp_ne_u16_sdwa s[10:11], v30, s8 src0_sel:BYTE_0 src1_sel:DWORD
	v_mov_b32_e32 v43, 0xffff8000
	s_and_saveexec_b64 s[8:9], s[10:11]
	s_cbranch_execz .LBB853_16
; %bb.13:
	s_movk_i32 s10, 0x7f
	v_and_b32_e32 v42, 0x7f, v30
	v_cmp_ne_u32_e32 vcc, s10, v42
	v_mov_b32_e32 v43, 0x7f80
	s_and_saveexec_b64 s[10:11], vcc
	s_cbranch_execz .LBB853_15
; %bb.14:
	v_and_b32_e32 v43, 7, v30
	v_ffbh_u32_e32 v50, v43
	v_min_u32_e32 v52, 32, v50
	v_subrev_u32_e32 v50, 28, v52
	v_lshlrev_b64 v[50:51], v50, v[30:31]
	v_lshrrev_b32_e32 v45, 3, v42
	v_sub_u32_e32 v51, 29, v52
	v_and_b32_e32 v50, 7, v50
	v_cmp_gt_u32_e32 vcc, 8, v42
	v_cndmask_b32_e32 v42, v45, v51, vcc
	v_cndmask_b32_e32 v43, v43, v50, vcc
	v_lshlrev_b32_e32 v45, 24, v30
	v_bfrev_b32_e32 v50, 60
	v_lshlrev_b32_e32 v43, 20, v43
	v_and_b32_e32 v45, 0x80000000, v45
	v_lshl_add_u32 v42, v42, 23, v50
	v_or3_b32 v42, v45, v42, v43
	v_lshrrev_b32_e32 v43, 16, v42
.LBB853_15:
	s_or_b64 exec, exec, s[10:11]
.LBB853_16:
	s_or_b64 exec, exec, s[8:9]
.LBB853_17:
	s_or_b64 exec, exec, s[2:3]
	v_lshrrev_b16_e32 v42, 8, v30
	v_cmp_ne_u16_e32 vcc, 0, v42
	s_and_saveexec_b64 s[2:3], vcc
	s_cbranch_execz .LBB853_23
; %bb.18:
	s_movk_i32 s8, 0x80
	v_cmp_ne_u16_e32 vcc, s8, v42
	v_mov_b32_e32 v44, 0xffff8000
	s_and_saveexec_b64 s[8:9], vcc
	s_cbranch_execz .LBB853_22
; %bb.19:
	s_movk_i32 s10, 0x7f
	v_and_b32_e32 v45, 0x7f, v42
	v_cmp_ne_u32_e32 vcc, s10, v45
	v_mov_b32_e32 v44, 0x7f80
	s_and_saveexec_b64 s[10:11], vcc
	s_cbranch_execz .LBB853_21
; %bb.20:
	v_and_b32_e32 v44, 7, v42
	v_ffbh_u32_e32 v50, v44
	v_min_u32_e32 v53, 32, v50
	v_subrev_u32_e32 v50, 28, v53
	v_lshlrev_b64 v[50:51], v50, v[42:43]
	v_lshrrev_b32_e32 v52, 3, v45
	v_sub_u32_e32 v42, 29, v53
	v_and_b32_e32 v50, 7, v50
	v_cmp_gt_u32_e32 vcc, 8, v45
	v_cndmask_b32_e32 v42, v52, v42, vcc
	v_cndmask_b32_e32 v44, v44, v50, vcc
	v_lshlrev_b32_e32 v45, 16, v30
	v_bfrev_b32_e32 v50, 60
	v_lshlrev_b32_e32 v44, 20, v44
	v_and_b32_e32 v45, 0x80000000, v45
	v_lshl_add_u32 v42, v42, 23, v50
	v_or3_b32 v42, v45, v42, v44
	v_lshrrev_b32_e32 v44, 16, v42
.LBB853_21:
	s_or_b64 exec, exec, s[10:11]
.LBB853_22:
	s_or_b64 exec, exec, s[8:9]
.LBB853_23:
	s_or_b64 exec, exec, s[2:3]
	s_movk_i32 s2, 0xff
	v_and_b32_sdwa v51, v30, s2 dst_sel:DWORD dst_unused:UNUSED_PAD src0_sel:WORD_1 src1_sel:DWORD
	v_lshrrev_b32_e32 v42, 16, v30
	v_cmp_ne_u16_e32 vcc, 0, v51
	v_mov_b32_e32 v45, 0
	v_mov_b32_e32 v50, 0
	s_and_saveexec_b64 s[2:3], vcc
	s_cbranch_execz .LBB853_29
; %bb.24:
	s_movk_i32 s8, 0x80
	v_cmp_ne_u16_e32 vcc, s8, v51
	v_mov_b32_e32 v50, 0xffff8000
	s_and_saveexec_b64 s[8:9], vcc
	s_cbranch_execz .LBB853_28
; %bb.25:
	v_bfe_u32 v51, v30, 16, 7
	s_movk_i32 s10, 0x7f
	v_cmp_ne_u32_e32 vcc, s10, v51
	v_mov_b32_e32 v50, 0x7f80
	s_and_saveexec_b64 s[10:11], vcc
	s_cbranch_execz .LBB853_27
; %bb.26:
	v_and_b32_e32 v50, 7, v42
	v_ffbh_u32_e32 v52, v50
	v_min_u32_e32 v55, 32, v52
	v_subrev_u32_e32 v52, 28, v55
	v_lshlrev_b64 v[52:53], v52, v[42:43]
	v_lshrrev_b32_e32 v54, 3, v51
	v_sub_u32_e32 v42, 29, v55
	v_and_b32_e32 v52, 7, v52
	v_cmp_gt_u32_e32 vcc, 8, v51
	v_mov_b32_e32 v51, 24
	v_cndmask_b32_e32 v42, v54, v42, vcc
	v_cndmask_b32_e32 v50, v50, v52, vcc
	v_lshlrev_b32_sdwa v51, v51, v30 dst_sel:DWORD dst_unused:UNUSED_PAD src0_sel:DWORD src1_sel:WORD_1
	v_bfrev_b32_e32 v52, 60
	v_lshlrev_b32_e32 v50, 20, v50
	v_and_b32_e32 v51, 0x80000000, v51
	v_lshl_add_u32 v42, v42, 23, v52
	v_or3_b32 v42, v51, v42, v50
	v_lshrrev_b32_e32 v50, 16, v42
.LBB853_27:
	s_or_b64 exec, exec, s[10:11]
.LBB853_28:
	s_or_b64 exec, exec, s[8:9]
.LBB853_29:
	s_or_b64 exec, exec, s[2:3]
	s_mov_b32 s2, 0xffffff
	v_cmp_lt_u32_e32 vcc, s2, v30
	s_and_saveexec_b64 s[2:3], vcc
	s_cbranch_execz .LBB853_35
; %bb.30:
	v_lshrrev_b32_e32 v42, 24, v30
	s_movk_i32 s8, 0x80
	v_cmp_ne_u32_e32 vcc, s8, v42
	v_mov_b32_e32 v45, 0xffff8000
	s_and_saveexec_b64 s[8:9], vcc
	s_cbranch_execz .LBB853_34
; %bb.31:
	v_bfe_u32 v30, v30, 24, 7
	s_movk_i32 s10, 0x7f
	v_cmp_ne_u32_e32 vcc, s10, v30
	v_mov_b32_e32 v45, 0x7f80
	s_and_saveexec_b64 s[10:11], vcc
	s_cbranch_execz .LBB853_33
; %bb.32:
	v_and_b32_e32 v45, 7, v42
	v_ffbh_u32_e32 v52, v45
	v_min_u32_e32 v54, 32, v52
	v_subrev_u32_e32 v52, 28, v54
	v_lshlrev_b64 v[52:53], v52, v[42:43]
	v_lshrrev_b32_e32 v51, 3, v30
	v_sub_u32_e32 v53, 29, v54
	v_and_b32_e32 v52, 7, v52
	v_cmp_gt_u32_e32 vcc, 8, v30
	v_cndmask_b32_e32 v30, v51, v53, vcc
	v_cndmask_b32_e32 v45, v45, v52, vcc
	v_lshlrev_b32_e32 v42, 24, v42
	v_bfrev_b32_e32 v51, 60
	v_lshlrev_b32_e32 v45, 20, v45
	v_and_b32_e32 v42, 0x80000000, v42
	v_lshl_add_u32 v30, v30, 23, v51
	v_or3_b32 v30, v42, v30, v45
	v_lshrrev_b32_e32 v45, 16, v30
.LBB853_33:
	s_or_b64 exec, exec, s[10:11]
.LBB853_34:
	s_or_b64 exec, exec, s[8:9]
.LBB853_35:
	s_or_b64 exec, exec, s[2:3]
	v_mov_b32_e32 v42, 0
	v_cmp_ne_u16_sdwa s[8:9], v31, v42 src0_sel:BYTE_0 src1_sel:DWORD
	v_mov_b32_e32 v51, 0
	s_and_saveexec_b64 s[2:3], s[8:9]
	s_cbranch_execz .LBB853_41
; %bb.36:
	s_movk_i32 s8, 0x80
	v_cmp_ne_u16_sdwa s[10:11], v31, s8 src0_sel:BYTE_0 src1_sel:DWORD
	v_mov_b32_e32 v51, 0xffff8000
	s_and_saveexec_b64 s[8:9], s[10:11]
	s_cbranch_execz .LBB853_40
; %bb.37:
	s_movk_i32 s10, 0x7f
	v_and_b32_e32 v30, 0x7f, v31
	v_cmp_ne_u32_e32 vcc, s10, v30
	v_mov_b32_e32 v51, 0x7f80
	s_and_saveexec_b64 s[10:11], vcc
	s_cbranch_execz .LBB853_39
; %bb.38:
	v_and_b32_e32 v51, 7, v31
	v_ffbh_u32_e32 v53, v51
	v_min_u32_e32 v55, 32, v53
	v_mov_b32_e32 v52, v31
	v_subrev_u32_e32 v53, 28, v55
	v_lshlrev_b64 v[52:53], v53, v[52:53]
	v_lshrrev_b32_e32 v54, 3, v30
	v_sub_u32_e32 v53, 29, v55
	v_and_b32_e32 v52, 7, v52
	v_cmp_gt_u32_e32 vcc, 8, v30
	v_cndmask_b32_e32 v30, v54, v53, vcc
	v_cndmask_b32_e32 v51, v51, v52, vcc
	v_lshlrev_b32_e32 v52, 24, v31
	v_bfrev_b32_e32 v53, 60
	v_lshlrev_b32_e32 v51, 20, v51
	v_and_b32_e32 v52, 0x80000000, v52
	v_lshl_add_u32 v30, v30, 23, v53
	v_or3_b32 v30, v52, v30, v51
	v_lshrrev_b32_e32 v51, 16, v30
.LBB853_39:
	s_or_b64 exec, exec, s[10:11]
.LBB853_40:
	s_or_b64 exec, exec, s[8:9]
.LBB853_41:
	s_or_b64 exec, exec, s[2:3]
	v_lshrrev_b16_e32 v30, 8, v31
	v_cmp_ne_u16_e32 vcc, 0, v30
	s_and_saveexec_b64 s[2:3], vcc
	s_cbranch_execz .LBB853_47
; %bb.42:
	s_movk_i32 s8, 0x80
	v_cmp_ne_u16_e32 vcc, s8, v30
	v_mov_b32_e32 v42, 0xffff8000
	s_and_saveexec_b64 s[8:9], vcc
	s_cbranch_execz .LBB853_46
; %bb.43:
	s_movk_i32 s10, 0x7f
	v_and_b32_e32 v52, 0x7f, v30
	v_cmp_ne_u32_e32 vcc, s10, v52
	v_mov_b32_e32 v42, 0x7f80
	s_and_saveexec_b64 s[10:11], vcc
	s_cbranch_execz .LBB853_45
; %bb.44:
	v_and_b32_e32 v42, 7, v30
	v_ffbh_u32_e32 v54, v42
	v_min_u32_e32 v56, 32, v54
	v_subrev_u32_e32 v54, 28, v56
	v_lshlrev_b64 v[54:55], v54, v[30:31]
	v_lshrrev_b32_e32 v53, 3, v52
	v_sub_u32_e32 v30, 29, v56
	v_and_b32_e32 v54, 7, v54
	v_cmp_gt_u32_e32 vcc, 8, v52
	v_cndmask_b32_e32 v30, v53, v30, vcc
	v_cndmask_b32_e32 v42, v42, v54, vcc
	v_lshlrev_b32_e32 v52, 16, v31
	v_bfrev_b32_e32 v53, 60
	v_lshlrev_b32_e32 v42, 20, v42
	v_and_b32_e32 v52, 0x80000000, v52
	v_lshl_add_u32 v30, v30, 23, v53
	v_or3_b32 v30, v52, v30, v42
	v_lshrrev_b32_e32 v42, 16, v30
.LBB853_45:
	s_or_b64 exec, exec, s[10:11]
.LBB853_46:
	s_or_b64 exec, exec, s[8:9]
.LBB853_47:
	s_or_b64 exec, exec, s[2:3]
	s_movk_i32 s2, 0xff
	v_and_b32_sdwa v54, v31, s2 dst_sel:DWORD dst_unused:UNUSED_PAD src0_sel:WORD_1 src1_sel:DWORD
	v_lshrrev_b32_e32 v30, 16, v31
	v_cmp_ne_u16_e32 vcc, 0, v54
	v_mov_b32_e32 v52, 0
	v_mov_b32_e32 v53, 0
	s_and_saveexec_b64 s[2:3], vcc
	s_cbranch_execz .LBB853_53
; %bb.48:
	s_movk_i32 s8, 0x80
	v_cmp_ne_u16_e32 vcc, s8, v54
	v_mov_b32_e32 v53, 0xffff8000
	s_and_saveexec_b64 s[8:9], vcc
	s_cbranch_execz .LBB853_52
; %bb.49:
	v_bfe_u32 v54, v31, 16, 7
	s_movk_i32 s10, 0x7f
	v_cmp_ne_u32_e32 vcc, s10, v54
	v_mov_b32_e32 v53, 0x7f80
	s_and_saveexec_b64 s[10:11], vcc
	s_cbranch_execz .LBB853_51
; %bb.50:
	v_and_b32_e32 v53, 7, v30
	v_ffbh_u32_e32 v56, v53
	v_min_u32_e32 v58, 32, v56
	v_subrev_u32_e32 v56, 28, v58
	v_lshlrev_b64 v[56:57], v56, v[30:31]
	v_lshrrev_b32_e32 v55, 3, v54
	v_sub_u32_e32 v30, 29, v58
	v_and_b32_e32 v56, 7, v56
	v_cmp_gt_u32_e32 vcc, 8, v54
	v_mov_b32_e32 v54, 24
	v_cndmask_b32_e32 v30, v55, v30, vcc
	v_cndmask_b32_e32 v53, v53, v56, vcc
	v_lshlrev_b32_sdwa v54, v54, v31 dst_sel:DWORD dst_unused:UNUSED_PAD src0_sel:DWORD src1_sel:WORD_1
	v_bfrev_b32_e32 v55, 60
	v_lshlrev_b32_e32 v53, 20, v53
	v_and_b32_e32 v54, 0x80000000, v54
	v_lshl_add_u32 v30, v30, 23, v55
	v_or3_b32 v30, v54, v30, v53
	v_lshrrev_b32_e32 v53, 16, v30
.LBB853_51:
	s_or_b64 exec, exec, s[10:11]
.LBB853_52:
	s_or_b64 exec, exec, s[8:9]
.LBB853_53:
	s_or_b64 exec, exec, s[2:3]
	s_mov_b32 s2, 0xffffff
	v_cmp_lt_u32_e32 vcc, s2, v31
	s_and_saveexec_b64 s[2:3], vcc
	s_cbranch_execz .LBB853_59
; %bb.54:
	v_lshrrev_b32_e32 v30, 24, v31
	s_movk_i32 s8, 0x80
	v_cmp_ne_u32_e32 vcc, s8, v30
	v_mov_b32_e32 v52, 0xffff8000
	s_and_saveexec_b64 s[8:9], vcc
	s_cbranch_execz .LBB853_58
; %bb.55:
	v_bfe_u32 v31, v31, 24, 7
	s_movk_i32 s10, 0x7f
	v_cmp_ne_u32_e32 vcc, s10, v31
	v_mov_b32_e32 v52, 0x7f80
	s_and_saveexec_b64 s[10:11], vcc
	s_cbranch_execz .LBB853_57
; %bb.56:
	v_and_b32_e32 v52, 7, v30
	v_ffbh_u32_e32 v54, v52
	v_min_u32_e32 v57, 32, v54
	v_subrev_u32_e32 v54, 28, v57
	v_lshlrev_b64 v[54:55], v54, v[30:31]
	v_lshrrev_b32_e32 v56, 3, v31
	v_sub_u32_e32 v55, 29, v57
	v_and_b32_e32 v54, 7, v54
	v_cmp_gt_u32_e32 vcc, 8, v31
	v_cndmask_b32_e32 v31, v56, v55, vcc
	v_cndmask_b32_e32 v52, v52, v54, vcc
	v_lshlrev_b32_e32 v30, 24, v30
	v_bfrev_b32_e32 v54, 60
	v_lshlrev_b32_e32 v52, 20, v52
	v_and_b32_e32 v30, 0x80000000, v30
	v_lshl_add_u32 v31, v31, 23, v54
	v_or3_b32 v30, v30, v31, v52
	v_lshrrev_b32_e32 v52, 16, v30
.LBB853_57:
	s_or_b64 exec, exec, s[10:11]
.LBB853_58:
	s_or_b64 exec, exec, s[8:9]
.LBB853_59:
	s_or_b64 exec, exec, s[2:3]
	s_mov_b32 s2, 0x5040100
	v_perm_b32 v31, v45, v50, s2
	v_perm_b32 v30, v44, v43, s2
	v_perm_b32 v43, v52, v53, s2
	v_perm_b32 v42, v42, v51, s2
	v_mov_b32_e32 v50, 0
	s_waitcnt lgkmcnt(0)
	v_mfma_f32_16x16x16bf16_1k v[54:57], v[30:31], v[26:27], 0
	v_mov_b32_e32 v31, 0
	v_cmp_ne_u16_sdwa s[8:9], v32, v31 src0_sel:BYTE_0 src1_sel:DWORD
	v_mfma_f32_16x16x16bf16_1k v[42:45], v[42:43], v[28:29], v[54:57]
	s_and_saveexec_b64 s[2:3], s[8:9]
	s_cbranch_execz .LBB853_65
; %bb.60:
	s_movk_i32 s8, 0x80
	v_cmp_ne_u16_sdwa s[10:11], v32, s8 src0_sel:BYTE_0 src1_sel:DWORD
	v_mov_b32_e32 v50, 0xffff8000
	s_and_saveexec_b64 s[8:9], s[10:11]
	s_cbranch_execz .LBB853_64
; %bb.61:
	s_movk_i32 s10, 0x7f
	v_and_b32_e32 v30, 0x7f, v32
	v_cmp_ne_u32_e32 vcc, s10, v30
	v_mov_b32_e32 v50, 0x7f80
	s_and_saveexec_b64 s[10:11], vcc
	s_cbranch_execz .LBB853_63
; %bb.62:
	v_and_b32_e32 v52, 7, v32
	v_ffbh_u32_e32 v50, v52
	v_min_u32_e32 v54, 32, v50
	v_subrev_u32_e32 v50, 28, v54
	v_lshlrev_b64 v[50:51], v50, v[32:33]
	v_lshrrev_b32_e32 v53, 3, v30
	v_sub_u32_e32 v51, 29, v54
	v_and_b32_e32 v50, 7, v50
	v_cmp_gt_u32_e32 vcc, 8, v30
	v_cndmask_b32_e32 v30, v53, v51, vcc
	v_cndmask_b32_e32 v50, v52, v50, vcc
	v_lshlrev_b32_e32 v51, 24, v32
	v_bfrev_b32_e32 v52, 60
	v_lshlrev_b32_e32 v50, 20, v50
	v_and_b32_e32 v51, 0x80000000, v51
	v_lshl_add_u32 v30, v30, 23, v52
	v_or3_b32 v30, v51, v30, v50
	v_lshrrev_b32_e32 v50, 16, v30
.LBB853_63:
	s_or_b64 exec, exec, s[10:11]
.LBB853_64:
	s_or_b64 exec, exec, s[8:9]
.LBB853_65:
	s_or_b64 exec, exec, s[2:3]
	v_lshrrev_b16_e32 v30, 8, v32
	v_cmp_ne_u16_e32 vcc, 0, v30
	s_and_saveexec_b64 s[2:3], vcc
	s_cbranch_execz .LBB853_71
; %bb.66:
	s_movk_i32 s8, 0x80
	v_cmp_ne_u16_e32 vcc, s8, v30
	v_mov_b32_e32 v31, 0xffff8000
	s_and_saveexec_b64 s[8:9], vcc
	s_cbranch_execz .LBB853_70
; %bb.67:
	s_movk_i32 s10, 0x7f
	v_and_b32_e32 v51, 0x7f, v30
	v_cmp_ne_u32_e32 vcc, s10, v51
	v_mov_b32_e32 v31, 0x7f80
	s_and_saveexec_b64 s[10:11], vcc
	s_cbranch_execz .LBB853_69
; %bb.68:
	v_and_b32_e32 v52, 7, v30
	v_ffbh_u32_e32 v31, v52
	v_min_u32_e32 v54, 32, v31
	v_subrev_u32_e32 v31, 28, v54
	v_lshlrev_b64 v[30:31], v31, v[30:31]
	v_lshrrev_b32_e32 v53, 3, v51
	v_sub_u32_e32 v31, 29, v54
	v_and_b32_e32 v30, 7, v30
	v_cmp_gt_u32_e32 vcc, 8, v51
	v_cndmask_b32_e32 v31, v53, v31, vcc
	v_cndmask_b32_e32 v30, v52, v30, vcc
	v_lshlrev_b32_e32 v51, 16, v32
	v_bfrev_b32_e32 v52, 60
	v_lshlrev_b32_e32 v30, 20, v30
	v_and_b32_e32 v51, 0x80000000, v51
	v_lshl_add_u32 v31, v31, 23, v52
	v_or3_b32 v30, v51, v31, v30
	v_lshrrev_b32_e32 v31, 16, v30
.LBB853_69:
	s_or_b64 exec, exec, s[10:11]
.LBB853_70:
	s_or_b64 exec, exec, s[8:9]
.LBB853_71:
	s_or_b64 exec, exec, s[2:3]
	s_movk_i32 s2, 0xff
	v_and_b32_sdwa v53, v32, s2 dst_sel:DWORD dst_unused:UNUSED_PAD src0_sel:WORD_1 src1_sel:DWORD
	v_lshrrev_b32_e32 v30, 16, v32
	v_cmp_ne_u16_e32 vcc, 0, v53
	v_mov_b32_e32 v51, 0
	v_mov_b32_e32 v52, 0
	s_and_saveexec_b64 s[2:3], vcc
	s_cbranch_execz .LBB853_77
; %bb.72:
	s_movk_i32 s8, 0x80
	v_cmp_ne_u16_e32 vcc, s8, v53
	v_mov_b32_e32 v52, 0xffff8000
	s_and_saveexec_b64 s[8:9], vcc
	s_cbranch_execz .LBB853_76
; %bb.73:
	v_bfe_u32 v53, v32, 16, 7
	s_movk_i32 s10, 0x7f
	v_cmp_ne_u32_e32 vcc, s10, v53
	v_mov_b32_e32 v52, 0x7f80
	s_and_saveexec_b64 s[10:11], vcc
	s_cbranch_execz .LBB853_75
; %bb.74:
	v_and_b32_e32 v52, 7, v30
	v_ffbh_u32_e32 v54, v52
	v_min_u32_e32 v57, 32, v54
	v_subrev_u32_e32 v54, 28, v57
	v_lshlrev_b64 v[54:55], v54, v[30:31]
	v_lshrrev_b32_e32 v56, 3, v53
	v_sub_u32_e32 v30, 29, v57
	v_and_b32_e32 v54, 7, v54
	v_cmp_gt_u32_e32 vcc, 8, v53
	v_mov_b32_e32 v53, 24
	v_cndmask_b32_e32 v30, v56, v30, vcc
	v_cndmask_b32_e32 v52, v52, v54, vcc
	v_lshlrev_b32_sdwa v53, v53, v32 dst_sel:DWORD dst_unused:UNUSED_PAD src0_sel:DWORD src1_sel:WORD_1
	v_bfrev_b32_e32 v54, 60
	v_lshlrev_b32_e32 v52, 20, v52
	v_and_b32_e32 v53, 0x80000000, v53
	v_lshl_add_u32 v30, v30, 23, v54
	v_or3_b32 v30, v53, v30, v52
	v_lshrrev_b32_e32 v52, 16, v30
.LBB853_75:
	s_or_b64 exec, exec, s[10:11]
.LBB853_76:
	s_or_b64 exec, exec, s[8:9]
.LBB853_77:
	s_or_b64 exec, exec, s[2:3]
	s_mov_b32 s2, 0xffffff
	v_cmp_lt_u32_e32 vcc, s2, v32
	s_and_saveexec_b64 s[2:3], vcc
	s_cbranch_execz .LBB853_83
; %bb.78:
	v_lshrrev_b32_e32 v30, 24, v32
	s_movk_i32 s8, 0x80
	v_cmp_ne_u32_e32 vcc, s8, v30
	v_mov_b32_e32 v51, 0xffff8000
	s_and_saveexec_b64 s[8:9], vcc
	s_cbranch_execz .LBB853_82
; %bb.79:
	v_bfe_u32 v32, v32, 24, 7
	s_movk_i32 s10, 0x7f
	v_cmp_ne_u32_e32 vcc, s10, v32
	v_mov_b32_e32 v51, 0x7f80
	s_and_saveexec_b64 s[10:11], vcc
	s_cbranch_execz .LBB853_81
; %bb.80:
	v_and_b32_e32 v51, 7, v30
	v_ffbh_u32_e32 v54, v51
	v_min_u32_e32 v56, 32, v54
	v_subrev_u32_e32 v54, 28, v56
	v_lshlrev_b64 v[54:55], v54, v[30:31]
	v_lshrrev_b32_e32 v53, 3, v32
	v_sub_u32_e32 v55, 29, v56
	v_and_b32_e32 v54, 7, v54
	v_cmp_gt_u32_e32 vcc, 8, v32
	v_cndmask_b32_e32 v32, v53, v55, vcc
	v_cndmask_b32_e32 v51, v51, v54, vcc
	v_lshlrev_b32_e32 v30, 24, v30
	v_bfrev_b32_e32 v53, 60
	v_lshlrev_b32_e32 v51, 20, v51
	v_and_b32_e32 v30, 0x80000000, v30
	v_lshl_add_u32 v32, v32, 23, v53
	v_or3_b32 v30, v30, v32, v51
	v_lshrrev_b32_e32 v51, 16, v30
.LBB853_81:
	s_or_b64 exec, exec, s[10:11]
.LBB853_82:
	s_or_b64 exec, exec, s[8:9]
.LBB853_83:
	s_or_b64 exec, exec, s[2:3]
	v_mov_b32_e32 v32, 0
	v_cmp_ne_u16_sdwa s[8:9], v33, v32 src0_sel:BYTE_0 src1_sel:DWORD
	v_mov_b32_e32 v53, 0
	s_and_saveexec_b64 s[2:3], s[8:9]
	s_cbranch_execz .LBB853_89
; %bb.84:
	s_movk_i32 s8, 0x80
	v_cmp_ne_u16_sdwa s[10:11], v33, s8 src0_sel:BYTE_0 src1_sel:DWORD
	v_mov_b32_e32 v53, 0xffff8000
	s_and_saveexec_b64 s[8:9], s[10:11]
	s_cbranch_execz .LBB853_88
; %bb.85:
	s_movk_i32 s10, 0x7f
	v_and_b32_e32 v30, 0x7f, v33
	v_cmp_ne_u32_e32 vcc, s10, v30
	v_mov_b32_e32 v53, 0x7f80
	s_and_saveexec_b64 s[10:11], vcc
	s_cbranch_execz .LBB853_87
; %bb.86:
	v_and_b32_e32 v53, 7, v33
	v_ffbh_u32_e32 v55, v53
	v_min_u32_e32 v57, 32, v55
	v_mov_b32_e32 v54, v33
	v_subrev_u32_e32 v55, 28, v57
	v_lshlrev_b64 v[54:55], v55, v[54:55]
	v_lshrrev_b32_e32 v56, 3, v30
	v_sub_u32_e32 v55, 29, v57
	v_and_b32_e32 v54, 7, v54
	v_cmp_gt_u32_e32 vcc, 8, v30
	v_cndmask_b32_e32 v30, v56, v55, vcc
	v_cndmask_b32_e32 v53, v53, v54, vcc
	v_lshlrev_b32_e32 v54, 24, v33
	v_bfrev_b32_e32 v55, 60
	v_lshlrev_b32_e32 v53, 20, v53
	v_and_b32_e32 v54, 0x80000000, v54
	v_lshl_add_u32 v30, v30, 23, v55
	v_or3_b32 v30, v54, v30, v53
	v_lshrrev_b32_e32 v53, 16, v30
.LBB853_87:
	s_or_b64 exec, exec, s[10:11]
.LBB853_88:
	s_or_b64 exec, exec, s[8:9]
.LBB853_89:
	s_or_b64 exec, exec, s[2:3]
	v_lshrrev_b16_e32 v30, 8, v33
	v_cmp_ne_u16_e32 vcc, 0, v30
	s_and_saveexec_b64 s[2:3], vcc
	s_cbranch_execz .LBB853_95
; %bb.90:
	s_movk_i32 s8, 0x80
	v_cmp_ne_u16_e32 vcc, s8, v30
	v_mov_b32_e32 v32, 0xffff8000
	s_and_saveexec_b64 s[8:9], vcc
	s_cbranch_execz .LBB853_94
; %bb.91:
	s_movk_i32 s10, 0x7f
	v_and_b32_e32 v54, 0x7f, v30
	v_cmp_ne_u32_e32 vcc, s10, v54
	v_mov_b32_e32 v32, 0x7f80
	s_and_saveexec_b64 s[10:11], vcc
	s_cbranch_execz .LBB853_93
; %bb.92:
	v_and_b32_e32 v32, 7, v30
	v_ffbh_u32_e32 v56, v32
	v_min_u32_e32 v58, 32, v56
	v_subrev_u32_e32 v56, 28, v58
	v_lshlrev_b64 v[56:57], v56, v[30:31]
	v_lshrrev_b32_e32 v55, 3, v54
	v_sub_u32_e32 v30, 29, v58
	v_and_b32_e32 v56, 7, v56
	v_cmp_gt_u32_e32 vcc, 8, v54
	v_cndmask_b32_e32 v30, v55, v30, vcc
	v_cndmask_b32_e32 v32, v32, v56, vcc
	v_lshlrev_b32_e32 v54, 16, v33
	v_bfrev_b32_e32 v55, 60
	v_lshlrev_b32_e32 v32, 20, v32
	v_and_b32_e32 v54, 0x80000000, v54
	v_lshl_add_u32 v30, v30, 23, v55
	v_or3_b32 v30, v54, v30, v32
	v_lshrrev_b32_e32 v32, 16, v30
.LBB853_93:
	s_or_b64 exec, exec, s[10:11]
.LBB853_94:
	s_or_b64 exec, exec, s[8:9]
.LBB853_95:
	s_or_b64 exec, exec, s[2:3]
	s_movk_i32 s2, 0xff
	v_and_b32_sdwa v56, v33, s2 dst_sel:DWORD dst_unused:UNUSED_PAD src0_sel:WORD_1 src1_sel:DWORD
	v_lshrrev_b32_e32 v30, 16, v33
	v_cmp_ne_u16_e32 vcc, 0, v56
	v_mov_b32_e32 v54, 0
	v_mov_b32_e32 v55, 0
	s_and_saveexec_b64 s[2:3], vcc
	s_cbranch_execz .LBB853_101
; %bb.96:
	s_movk_i32 s8, 0x80
	v_cmp_ne_u16_e32 vcc, s8, v56
	v_mov_b32_e32 v55, 0xffff8000
	s_and_saveexec_b64 s[8:9], vcc
	s_cbranch_execz .LBB853_100
; %bb.97:
	v_bfe_u32 v56, v33, 16, 7
	s_movk_i32 s10, 0x7f
	v_cmp_ne_u32_e32 vcc, s10, v56
	v_mov_b32_e32 v55, 0x7f80
	s_and_saveexec_b64 s[10:11], vcc
	s_cbranch_execz .LBB853_99
; %bb.98:
	v_and_b32_e32 v55, 7, v30
	v_ffbh_u32_e32 v58, v55
	v_min_u32_e32 v60, 32, v58
	v_subrev_u32_e32 v58, 28, v60
	v_lshlrev_b64 v[58:59], v58, v[30:31]
	v_lshrrev_b32_e32 v57, 3, v56
	v_sub_u32_e32 v30, 29, v60
	v_and_b32_e32 v58, 7, v58
	v_cmp_gt_u32_e32 vcc, 8, v56
	v_mov_b32_e32 v56, 24
	v_cndmask_b32_e32 v30, v57, v30, vcc
	v_cndmask_b32_e32 v55, v55, v58, vcc
	v_lshlrev_b32_sdwa v56, v56, v33 dst_sel:DWORD dst_unused:UNUSED_PAD src0_sel:DWORD src1_sel:WORD_1
	v_bfrev_b32_e32 v57, 60
	v_lshlrev_b32_e32 v55, 20, v55
	v_and_b32_e32 v56, 0x80000000, v56
	v_lshl_add_u32 v30, v30, 23, v57
	v_or3_b32 v30, v56, v30, v55
	v_lshrrev_b32_e32 v55, 16, v30
.LBB853_99:
	s_or_b64 exec, exec, s[10:11]
.LBB853_100:
	s_or_b64 exec, exec, s[8:9]
.LBB853_101:
	s_or_b64 exec, exec, s[2:3]
	s_mov_b32 s2, 0xffffff
	v_cmp_lt_u32_e32 vcc, s2, v33
	s_and_saveexec_b64 s[2:3], vcc
	s_cbranch_execz .LBB853_107
; %bb.102:
	v_lshrrev_b32_e32 v30, 24, v33
	s_movk_i32 s8, 0x80
	v_cmp_ne_u32_e32 vcc, s8, v30
	v_mov_b32_e32 v54, 0xffff8000
	s_and_saveexec_b64 s[8:9], vcc
	s_cbranch_execz .LBB853_106
; %bb.103:
	v_bfe_u32 v33, v33, 24, 7
	s_movk_i32 s10, 0x7f
	v_cmp_ne_u32_e32 vcc, s10, v33
	v_mov_b32_e32 v54, 0x7f80
	s_and_saveexec_b64 s[10:11], vcc
	s_cbranch_execz .LBB853_105
; %bb.104:
	v_and_b32_e32 v54, 7, v30
	v_ffbh_u32_e32 v56, v54
	v_min_u32_e32 v59, 32, v56
	v_subrev_u32_e32 v56, 28, v59
	v_lshlrev_b64 v[56:57], v56, v[30:31]
	v_lshrrev_b32_e32 v58, 3, v33
	v_sub_u32_e32 v57, 29, v59
	v_and_b32_e32 v56, 7, v56
	v_cmp_gt_u32_e32 vcc, 8, v33
	v_cndmask_b32_e32 v33, v58, v57, vcc
	v_cndmask_b32_e32 v54, v54, v56, vcc
	v_lshlrev_b32_e32 v30, 24, v30
	v_bfrev_b32_e32 v56, 60
	v_lshlrev_b32_e32 v54, 20, v54
	v_and_b32_e32 v30, 0x80000000, v30
	v_lshl_add_u32 v33, v33, 23, v56
	v_or3_b32 v30, v30, v33, v54
	v_lshrrev_b32_e32 v54, 16, v30
.LBB853_105:
	s_or_b64 exec, exec, s[10:11]
.LBB853_106:
	s_or_b64 exec, exec, s[8:9]
.LBB853_107:
	s_or_b64 exec, exec, s[2:3]
	s_mov_b32 s2, 0x5040100
	v_perm_b32 v51, v51, v52, s2
	v_perm_b32 v50, v31, v50, s2
	;; [unrolled: 1-line block ×4, first 2 shown]
	v_mfma_f32_16x16x16bf16_1k v[56:59], v[50:51], v[18:19], v[42:45]
	s_nop 6
	v_mov_b32_e32 v43, 0
	s_waitcnt vmcnt(6)
	v_cmp_ne_u16_sdwa s[8:9], v38, v43 src0_sel:BYTE_0 src1_sel:DWORD
	v_mfma_f32_16x16x16bf16_1k v[30:33], v[30:31], v[20:21], v[56:59]
	v_mov_b32_e32 v44, 0
	s_and_saveexec_b64 s[2:3], s[8:9]
	s_cbranch_execz .LBB853_113
; %bb.108:
	s_movk_i32 s8, 0x80
	v_cmp_ne_u16_sdwa s[10:11], v38, s8 src0_sel:BYTE_0 src1_sel:DWORD
	v_mov_b32_e32 v44, 0xffff8000
	s_and_saveexec_b64 s[8:9], s[10:11]
	s_cbranch_execz .LBB853_112
; %bb.109:
	s_movk_i32 s10, 0x7f
	v_and_b32_e32 v42, 0x7f, v38
	v_cmp_ne_u32_e32 vcc, s10, v42
	v_mov_b32_e32 v44, 0x7f80
	s_and_saveexec_b64 s[10:11], vcc
	s_cbranch_execz .LBB853_111
; %bb.110:
	v_and_b32_e32 v50, 7, v38
	v_ffbh_u32_e32 v44, v50
	v_min_u32_e32 v52, 32, v44
	v_subrev_u32_e32 v44, 28, v52
	v_lshlrev_b64 v[44:45], v44, v[38:39]
	v_lshrrev_b32_e32 v51, 3, v42
	v_sub_u32_e32 v45, 29, v52
	v_and_b32_e32 v44, 7, v44
	v_cmp_gt_u32_e32 vcc, 8, v42
	v_cndmask_b32_e32 v42, v51, v45, vcc
	v_cndmask_b32_e32 v44, v50, v44, vcc
	v_lshlrev_b32_e32 v45, 24, v38
	v_bfrev_b32_e32 v50, 60
	v_lshlrev_b32_e32 v44, 20, v44
	v_and_b32_e32 v45, 0x80000000, v45
	v_lshl_add_u32 v42, v42, 23, v50
	v_or3_b32 v42, v45, v42, v44
	v_lshrrev_b32_e32 v44, 16, v42
.LBB853_111:
	s_or_b64 exec, exec, s[10:11]
.LBB853_112:
	s_or_b64 exec, exec, s[8:9]
.LBB853_113:
	s_or_b64 exec, exec, s[2:3]
	v_lshrrev_b16_e32 v42, 8, v38
	v_cmp_ne_u16_e32 vcc, 0, v42
	s_and_saveexec_b64 s[2:3], vcc
	s_cbranch_execz .LBB853_119
; %bb.114:
	s_movk_i32 s8, 0x80
	v_cmp_ne_u16_e32 vcc, s8, v42
	v_mov_b32_e32 v43, 0xffff8000
	s_and_saveexec_b64 s[8:9], vcc
	s_cbranch_execz .LBB853_118
; %bb.115:
	s_movk_i32 s10, 0x7f
	v_and_b32_e32 v45, 0x7f, v42
	v_cmp_ne_u32_e32 vcc, s10, v45
	v_mov_b32_e32 v43, 0x7f80
	s_and_saveexec_b64 s[10:11], vcc
	s_cbranch_execz .LBB853_117
; %bb.116:
	v_and_b32_e32 v50, 7, v42
	v_ffbh_u32_e32 v43, v50
	v_min_u32_e32 v52, 32, v43
	v_subrev_u32_e32 v43, 28, v52
	v_lshlrev_b64 v[42:43], v43, v[42:43]
	v_lshrrev_b32_e32 v51, 3, v45
	v_sub_u32_e32 v43, 29, v52
	v_and_b32_e32 v42, 7, v42
	v_cmp_gt_u32_e32 vcc, 8, v45
	v_cndmask_b32_e32 v43, v51, v43, vcc
	v_cndmask_b32_e32 v42, v50, v42, vcc
	v_lshlrev_b32_e32 v45, 16, v38
	v_bfrev_b32_e32 v50, 60
	v_lshlrev_b32_e32 v42, 20, v42
	v_and_b32_e32 v45, 0x80000000, v45
	v_lshl_add_u32 v43, v43, 23, v50
	v_or3_b32 v42, v45, v43, v42
	v_lshrrev_b32_e32 v43, 16, v42
.LBB853_117:
	s_or_b64 exec, exec, s[10:11]
.LBB853_118:
	s_or_b64 exec, exec, s[8:9]
.LBB853_119:
	s_or_b64 exec, exec, s[2:3]
	s_movk_i32 s2, 0xff
	v_and_b32_sdwa v51, v38, s2 dst_sel:DWORD dst_unused:UNUSED_PAD src0_sel:WORD_1 src1_sel:DWORD
	v_lshrrev_b32_e32 v42, 16, v38
	v_cmp_ne_u16_e32 vcc, 0, v51
	v_mov_b32_e32 v45, 0
	v_mov_b32_e32 v50, 0
	s_and_saveexec_b64 s[2:3], vcc
	s_cbranch_execz .LBB853_125
; %bb.120:
	s_movk_i32 s8, 0x80
	v_cmp_ne_u16_e32 vcc, s8, v51
	v_mov_b32_e32 v50, 0xffff8000
	s_and_saveexec_b64 s[8:9], vcc
	s_cbranch_execz .LBB853_124
; %bb.121:
	v_bfe_u32 v51, v38, 16, 7
	s_movk_i32 s10, 0x7f
	v_cmp_ne_u32_e32 vcc, s10, v51
	v_mov_b32_e32 v50, 0x7f80
	s_and_saveexec_b64 s[10:11], vcc
	s_cbranch_execz .LBB853_123
; %bb.122:
	v_and_b32_e32 v50, 7, v42
	v_ffbh_u32_e32 v52, v50
	v_min_u32_e32 v55, 32, v52
	v_subrev_u32_e32 v52, 28, v55
	v_lshlrev_b64 v[52:53], v52, v[42:43]
	v_lshrrev_b32_e32 v54, 3, v51
	v_sub_u32_e32 v42, 29, v55
	v_and_b32_e32 v52, 7, v52
	v_cmp_gt_u32_e32 vcc, 8, v51
	v_mov_b32_e32 v51, 24
	v_cndmask_b32_e32 v42, v54, v42, vcc
	v_cndmask_b32_e32 v50, v50, v52, vcc
	v_lshlrev_b32_sdwa v51, v51, v38 dst_sel:DWORD dst_unused:UNUSED_PAD src0_sel:DWORD src1_sel:WORD_1
	v_bfrev_b32_e32 v52, 60
	v_lshlrev_b32_e32 v50, 20, v50
	v_and_b32_e32 v51, 0x80000000, v51
	v_lshl_add_u32 v42, v42, 23, v52
	v_or3_b32 v42, v51, v42, v50
	v_lshrrev_b32_e32 v50, 16, v42
.LBB853_123:
	s_or_b64 exec, exec, s[10:11]
.LBB853_124:
	s_or_b64 exec, exec, s[8:9]
.LBB853_125:
	s_or_b64 exec, exec, s[2:3]
	s_mov_b32 s2, 0xffffff
	v_cmp_lt_u32_e32 vcc, s2, v38
	s_and_saveexec_b64 s[2:3], vcc
	s_cbranch_execz .LBB853_131
; %bb.126:
	v_lshrrev_b32_e32 v42, 24, v38
	s_movk_i32 s8, 0x80
	v_cmp_ne_u32_e32 vcc, s8, v42
	v_mov_b32_e32 v45, 0xffff8000
	s_and_saveexec_b64 s[8:9], vcc
	s_cbranch_execz .LBB853_130
; %bb.127:
	v_bfe_u32 v38, v38, 24, 7
	s_movk_i32 s10, 0x7f
	v_cmp_ne_u32_e32 vcc, s10, v38
	v_mov_b32_e32 v45, 0x7f80
	s_and_saveexec_b64 s[10:11], vcc
	s_cbranch_execz .LBB853_129
; %bb.128:
	v_and_b32_e32 v45, 7, v42
	v_ffbh_u32_e32 v52, v45
	v_min_u32_e32 v54, 32, v52
	v_subrev_u32_e32 v52, 28, v54
	v_lshlrev_b64 v[52:53], v52, v[42:43]
	v_lshrrev_b32_e32 v51, 3, v38
	v_sub_u32_e32 v53, 29, v54
	v_and_b32_e32 v52, 7, v52
	v_cmp_gt_u32_e32 vcc, 8, v38
	v_cndmask_b32_e32 v38, v51, v53, vcc
	v_cndmask_b32_e32 v45, v45, v52, vcc
	v_lshlrev_b32_e32 v42, 24, v42
	v_bfrev_b32_e32 v51, 60
	v_lshlrev_b32_e32 v45, 20, v45
	v_and_b32_e32 v42, 0x80000000, v42
	v_lshl_add_u32 v38, v38, 23, v51
	v_or3_b32 v38, v42, v38, v45
	v_lshrrev_b32_e32 v45, 16, v38
.LBB853_129:
	s_or_b64 exec, exec, s[10:11]
.LBB853_130:
	s_or_b64 exec, exec, s[8:9]
.LBB853_131:
	s_or_b64 exec, exec, s[2:3]
	v_mov_b32_e32 v42, 0
	v_cmp_ne_u16_sdwa s[8:9], v39, v42 src0_sel:BYTE_0 src1_sel:DWORD
	v_mov_b32_e32 v51, 0
	s_and_saveexec_b64 s[2:3], s[8:9]
	s_cbranch_execz .LBB853_137
; %bb.132:
	s_movk_i32 s8, 0x80
	v_cmp_ne_u16_sdwa s[10:11], v39, s8 src0_sel:BYTE_0 src1_sel:DWORD
	v_mov_b32_e32 v51, 0xffff8000
	s_and_saveexec_b64 s[8:9], s[10:11]
	s_cbranch_execz .LBB853_136
; %bb.133:
	s_movk_i32 s10, 0x7f
	v_and_b32_e32 v38, 0x7f, v39
	v_cmp_ne_u32_e32 vcc, s10, v38
	v_mov_b32_e32 v51, 0x7f80
	s_and_saveexec_b64 s[10:11], vcc
	s_cbranch_execz .LBB853_135
; %bb.134:
	v_and_b32_e32 v51, 7, v39
	v_ffbh_u32_e32 v53, v51
	v_min_u32_e32 v55, 32, v53
	v_mov_b32_e32 v52, v39
	v_subrev_u32_e32 v53, 28, v55
	v_lshlrev_b64 v[52:53], v53, v[52:53]
	v_lshrrev_b32_e32 v54, 3, v38
	v_sub_u32_e32 v53, 29, v55
	v_and_b32_e32 v52, 7, v52
	v_cmp_gt_u32_e32 vcc, 8, v38
	v_cndmask_b32_e32 v38, v54, v53, vcc
	v_cndmask_b32_e32 v51, v51, v52, vcc
	v_lshlrev_b32_e32 v52, 24, v39
	v_bfrev_b32_e32 v53, 60
	v_lshlrev_b32_e32 v51, 20, v51
	v_and_b32_e32 v52, 0x80000000, v52
	v_lshl_add_u32 v38, v38, 23, v53
	v_or3_b32 v38, v52, v38, v51
	v_lshrrev_b32_e32 v51, 16, v38
.LBB853_135:
	s_or_b64 exec, exec, s[10:11]
.LBB853_136:
	s_or_b64 exec, exec, s[8:9]
.LBB853_137:
	s_or_b64 exec, exec, s[2:3]
	v_lshrrev_b16_e32 v38, 8, v39
	v_cmp_ne_u16_e32 vcc, 0, v38
	s_and_saveexec_b64 s[2:3], vcc
	s_cbranch_execz .LBB853_143
; %bb.138:
	s_movk_i32 s8, 0x80
	v_cmp_ne_u16_e32 vcc, s8, v38
	v_mov_b32_e32 v42, 0xffff8000
	s_and_saveexec_b64 s[8:9], vcc
	s_cbranch_execz .LBB853_142
; %bb.139:
	s_movk_i32 s10, 0x7f
	v_and_b32_e32 v52, 0x7f, v38
	v_cmp_ne_u32_e32 vcc, s10, v52
	v_mov_b32_e32 v42, 0x7f80
	s_and_saveexec_b64 s[10:11], vcc
	s_cbranch_execz .LBB853_141
; %bb.140:
	v_and_b32_e32 v42, 7, v38
	v_ffbh_u32_e32 v54, v42
	v_min_u32_e32 v56, 32, v54
	v_subrev_u32_e32 v54, 28, v56
	v_lshlrev_b64 v[54:55], v54, v[38:39]
	v_lshrrev_b32_e32 v53, 3, v52
	v_sub_u32_e32 v38, 29, v56
	v_and_b32_e32 v54, 7, v54
	v_cmp_gt_u32_e32 vcc, 8, v52
	v_cndmask_b32_e32 v38, v53, v38, vcc
	v_cndmask_b32_e32 v42, v42, v54, vcc
	v_lshlrev_b32_e32 v52, 16, v39
	v_bfrev_b32_e32 v53, 60
	v_lshlrev_b32_e32 v42, 20, v42
	v_and_b32_e32 v52, 0x80000000, v52
	v_lshl_add_u32 v38, v38, 23, v53
	v_or3_b32 v38, v52, v38, v42
	v_lshrrev_b32_e32 v42, 16, v38
.LBB853_141:
	s_or_b64 exec, exec, s[10:11]
.LBB853_142:
	s_or_b64 exec, exec, s[8:9]
.LBB853_143:
	s_or_b64 exec, exec, s[2:3]
	s_movk_i32 s2, 0xff
	v_and_b32_sdwa v54, v39, s2 dst_sel:DWORD dst_unused:UNUSED_PAD src0_sel:WORD_1 src1_sel:DWORD
	v_lshrrev_b32_e32 v38, 16, v39
	v_cmp_ne_u16_e32 vcc, 0, v54
	v_mov_b32_e32 v52, 0
	v_mov_b32_e32 v53, 0
	s_and_saveexec_b64 s[2:3], vcc
	s_cbranch_execz .LBB853_149
; %bb.144:
	s_movk_i32 s8, 0x80
	v_cmp_ne_u16_e32 vcc, s8, v54
	v_mov_b32_e32 v53, 0xffff8000
	s_and_saveexec_b64 s[8:9], vcc
	s_cbranch_execz .LBB853_148
; %bb.145:
	v_bfe_u32 v54, v39, 16, 7
	s_movk_i32 s10, 0x7f
	v_cmp_ne_u32_e32 vcc, s10, v54
	v_mov_b32_e32 v53, 0x7f80
	s_and_saveexec_b64 s[10:11], vcc
	s_cbranch_execz .LBB853_147
; %bb.146:
	v_and_b32_e32 v53, 7, v38
	v_ffbh_u32_e32 v56, v53
	v_min_u32_e32 v58, 32, v56
	v_subrev_u32_e32 v56, 28, v58
	v_lshlrev_b64 v[56:57], v56, v[38:39]
	v_lshrrev_b32_e32 v55, 3, v54
	v_sub_u32_e32 v38, 29, v58
	v_and_b32_e32 v56, 7, v56
	v_cmp_gt_u32_e32 vcc, 8, v54
	v_mov_b32_e32 v54, 24
	v_cndmask_b32_e32 v38, v55, v38, vcc
	v_cndmask_b32_e32 v53, v53, v56, vcc
	v_lshlrev_b32_sdwa v54, v54, v39 dst_sel:DWORD dst_unused:UNUSED_PAD src0_sel:DWORD src1_sel:WORD_1
	v_bfrev_b32_e32 v55, 60
	v_lshlrev_b32_e32 v53, 20, v53
	v_and_b32_e32 v54, 0x80000000, v54
	v_lshl_add_u32 v38, v38, 23, v55
	v_or3_b32 v38, v54, v38, v53
	v_lshrrev_b32_e32 v53, 16, v38
.LBB853_147:
	s_or_b64 exec, exec, s[10:11]
.LBB853_148:
	s_or_b64 exec, exec, s[8:9]
.LBB853_149:
	s_or_b64 exec, exec, s[2:3]
	s_mov_b32 s2, 0xffffff
	v_cmp_lt_u32_e32 vcc, s2, v39
	s_and_saveexec_b64 s[2:3], vcc
	s_cbranch_execz .LBB853_155
; %bb.150:
	v_lshrrev_b32_e32 v38, 24, v39
	s_movk_i32 s8, 0x80
	v_cmp_ne_u32_e32 vcc, s8, v38
	v_mov_b32_e32 v52, 0xffff8000
	s_and_saveexec_b64 s[8:9], vcc
	s_cbranch_execz .LBB853_154
; %bb.151:
	v_bfe_u32 v39, v39, 24, 7
	s_movk_i32 s10, 0x7f
	v_cmp_ne_u32_e32 vcc, s10, v39
	v_mov_b32_e32 v52, 0x7f80
	s_and_saveexec_b64 s[10:11], vcc
	s_cbranch_execz .LBB853_153
; %bb.152:
	v_and_b32_e32 v52, 7, v38
	v_ffbh_u32_e32 v54, v52
	v_min_u32_e32 v57, 32, v54
	v_subrev_u32_e32 v54, 28, v57
	v_lshlrev_b64 v[54:55], v54, v[38:39]
	v_lshrrev_b32_e32 v56, 3, v39
	v_sub_u32_e32 v55, 29, v57
	v_and_b32_e32 v54, 7, v54
	v_cmp_gt_u32_e32 vcc, 8, v39
	v_cndmask_b32_e32 v39, v56, v55, vcc
	v_cndmask_b32_e32 v52, v52, v54, vcc
	v_lshlrev_b32_e32 v38, 24, v38
	v_bfrev_b32_e32 v54, 60
	v_lshlrev_b32_e32 v52, 20, v52
	v_and_b32_e32 v38, 0x80000000, v38
	v_lshl_add_u32 v39, v39, 23, v54
	v_or3_b32 v38, v38, v39, v52
	v_lshrrev_b32_e32 v52, 16, v38
.LBB853_153:
	s_or_b64 exec, exec, s[10:11]
.LBB853_154:
	s_or_b64 exec, exec, s[8:9]
.LBB853_155:
	s_or_b64 exec, exec, s[2:3]
	s_mov_b32 s2, 0x5040100
	v_perm_b32 v39, v45, v50, s2
	v_perm_b32 v38, v43, v44, s2
	;; [unrolled: 1-line block ×4, first 2 shown]
	v_mov_b32_e32 v50, 0
	v_mfma_f32_16x16x16bf16_1k v[54:57], v[38:39], v[26:27], 0
	v_mov_b32_e32 v39, 0
	v_cmp_ne_u16_sdwa s[8:9], v40, v39 src0_sel:BYTE_0 src1_sel:DWORD
	v_mfma_f32_16x16x16bf16_1k v[42:45], v[42:43], v[28:29], v[54:57]
	s_and_saveexec_b64 s[2:3], s[8:9]
	s_cbranch_execz .LBB853_161
; %bb.156:
	s_movk_i32 s8, 0x80
	v_cmp_ne_u16_sdwa s[10:11], v40, s8 src0_sel:BYTE_0 src1_sel:DWORD
	v_mov_b32_e32 v50, 0xffff8000
	s_and_saveexec_b64 s[8:9], s[10:11]
	s_cbranch_execz .LBB853_160
; %bb.157:
	s_movk_i32 s10, 0x7f
	v_and_b32_e32 v38, 0x7f, v40
	v_cmp_ne_u32_e32 vcc, s10, v38
	v_mov_b32_e32 v50, 0x7f80
	s_and_saveexec_b64 s[10:11], vcc
	s_cbranch_execz .LBB853_159
; %bb.158:
	v_and_b32_e32 v52, 7, v40
	v_ffbh_u32_e32 v50, v52
	v_min_u32_e32 v54, 32, v50
	v_subrev_u32_e32 v50, 28, v54
	v_lshlrev_b64 v[50:51], v50, v[40:41]
	v_lshrrev_b32_e32 v53, 3, v38
	v_sub_u32_e32 v51, 29, v54
	v_and_b32_e32 v50, 7, v50
	v_cmp_gt_u32_e32 vcc, 8, v38
	v_cndmask_b32_e32 v38, v53, v51, vcc
	v_cndmask_b32_e32 v50, v52, v50, vcc
	v_lshlrev_b32_e32 v51, 24, v40
	v_bfrev_b32_e32 v52, 60
	v_lshlrev_b32_e32 v50, 20, v50
	v_and_b32_e32 v51, 0x80000000, v51
	v_lshl_add_u32 v38, v38, 23, v52
	v_or3_b32 v38, v51, v38, v50
	v_lshrrev_b32_e32 v50, 16, v38
.LBB853_159:
	s_or_b64 exec, exec, s[10:11]
.LBB853_160:
	s_or_b64 exec, exec, s[8:9]
.LBB853_161:
	s_or_b64 exec, exec, s[2:3]
	v_lshrrev_b16_e32 v38, 8, v40
	v_cmp_ne_u16_e32 vcc, 0, v38
	s_and_saveexec_b64 s[2:3], vcc
	s_cbranch_execz .LBB853_167
; %bb.162:
	s_movk_i32 s8, 0x80
	v_cmp_ne_u16_e32 vcc, s8, v38
	v_mov_b32_e32 v39, 0xffff8000
	s_and_saveexec_b64 s[8:9], vcc
	s_cbranch_execz .LBB853_166
; %bb.163:
	s_movk_i32 s10, 0x7f
	v_and_b32_e32 v51, 0x7f, v38
	v_cmp_ne_u32_e32 vcc, s10, v51
	v_mov_b32_e32 v39, 0x7f80
	s_and_saveexec_b64 s[10:11], vcc
	s_cbranch_execz .LBB853_165
; %bb.164:
	v_and_b32_e32 v52, 7, v38
	v_ffbh_u32_e32 v39, v52
	v_min_u32_e32 v54, 32, v39
	v_subrev_u32_e32 v39, 28, v54
	v_lshlrev_b64 v[38:39], v39, v[38:39]
	v_lshrrev_b32_e32 v53, 3, v51
	v_sub_u32_e32 v39, 29, v54
	v_and_b32_e32 v38, 7, v38
	v_cmp_gt_u32_e32 vcc, 8, v51
	v_cndmask_b32_e32 v39, v53, v39, vcc
	v_cndmask_b32_e32 v38, v52, v38, vcc
	v_lshlrev_b32_e32 v51, 16, v40
	v_bfrev_b32_e32 v52, 60
	v_lshlrev_b32_e32 v38, 20, v38
	v_and_b32_e32 v51, 0x80000000, v51
	v_lshl_add_u32 v39, v39, 23, v52
	v_or3_b32 v38, v51, v39, v38
	v_lshrrev_b32_e32 v39, 16, v38
.LBB853_165:
	s_or_b64 exec, exec, s[10:11]
.LBB853_166:
	s_or_b64 exec, exec, s[8:9]
.LBB853_167:
	s_or_b64 exec, exec, s[2:3]
	s_movk_i32 s2, 0xff
	v_and_b32_sdwa v53, v40, s2 dst_sel:DWORD dst_unused:UNUSED_PAD src0_sel:WORD_1 src1_sel:DWORD
	v_lshrrev_b32_e32 v38, 16, v40
	v_cmp_ne_u16_e32 vcc, 0, v53
	v_mov_b32_e32 v51, 0
	v_mov_b32_e32 v52, 0
	s_and_saveexec_b64 s[2:3], vcc
	s_cbranch_execz .LBB853_173
; %bb.168:
	s_movk_i32 s8, 0x80
	v_cmp_ne_u16_e32 vcc, s8, v53
	v_mov_b32_e32 v52, 0xffff8000
	s_and_saveexec_b64 s[8:9], vcc
	s_cbranch_execz .LBB853_172
; %bb.169:
	v_bfe_u32 v53, v40, 16, 7
	s_movk_i32 s10, 0x7f
	v_cmp_ne_u32_e32 vcc, s10, v53
	v_mov_b32_e32 v52, 0x7f80
	s_and_saveexec_b64 s[10:11], vcc
	s_cbranch_execz .LBB853_171
; %bb.170:
	v_and_b32_e32 v52, 7, v38
	v_ffbh_u32_e32 v54, v52
	v_min_u32_e32 v57, 32, v54
	v_subrev_u32_e32 v54, 28, v57
	v_lshlrev_b64 v[54:55], v54, v[38:39]
	v_lshrrev_b32_e32 v56, 3, v53
	v_sub_u32_e32 v38, 29, v57
	v_and_b32_e32 v54, 7, v54
	v_cmp_gt_u32_e32 vcc, 8, v53
	v_mov_b32_e32 v53, 24
	v_cndmask_b32_e32 v38, v56, v38, vcc
	v_cndmask_b32_e32 v52, v52, v54, vcc
	v_lshlrev_b32_sdwa v53, v53, v40 dst_sel:DWORD dst_unused:UNUSED_PAD src0_sel:DWORD src1_sel:WORD_1
	v_bfrev_b32_e32 v54, 60
	v_lshlrev_b32_e32 v52, 20, v52
	v_and_b32_e32 v53, 0x80000000, v53
	v_lshl_add_u32 v38, v38, 23, v54
	v_or3_b32 v38, v53, v38, v52
	v_lshrrev_b32_e32 v52, 16, v38
.LBB853_171:
	s_or_b64 exec, exec, s[10:11]
.LBB853_172:
	s_or_b64 exec, exec, s[8:9]
.LBB853_173:
	s_or_b64 exec, exec, s[2:3]
	s_mov_b32 s2, 0xffffff
	v_cmp_lt_u32_e32 vcc, s2, v40
	s_and_saveexec_b64 s[2:3], vcc
	s_cbranch_execz .LBB853_179
; %bb.174:
	v_lshrrev_b32_e32 v38, 24, v40
	s_movk_i32 s8, 0x80
	v_cmp_ne_u32_e32 vcc, s8, v38
	v_mov_b32_e32 v51, 0xffff8000
	s_and_saveexec_b64 s[8:9], vcc
	s_cbranch_execz .LBB853_178
; %bb.175:
	v_bfe_u32 v40, v40, 24, 7
	s_movk_i32 s10, 0x7f
	v_cmp_ne_u32_e32 vcc, s10, v40
	v_mov_b32_e32 v51, 0x7f80
	s_and_saveexec_b64 s[10:11], vcc
	s_cbranch_execz .LBB853_177
; %bb.176:
	v_and_b32_e32 v51, 7, v38
	v_ffbh_u32_e32 v54, v51
	v_min_u32_e32 v56, 32, v54
	v_subrev_u32_e32 v54, 28, v56
	v_lshlrev_b64 v[54:55], v54, v[38:39]
	v_lshrrev_b32_e32 v53, 3, v40
	v_sub_u32_e32 v55, 29, v56
	v_and_b32_e32 v54, 7, v54
	v_cmp_gt_u32_e32 vcc, 8, v40
	v_cndmask_b32_e32 v40, v53, v55, vcc
	v_cndmask_b32_e32 v51, v51, v54, vcc
	v_lshlrev_b32_e32 v38, 24, v38
	v_bfrev_b32_e32 v53, 60
	v_lshlrev_b32_e32 v51, 20, v51
	v_and_b32_e32 v38, 0x80000000, v38
	v_lshl_add_u32 v40, v40, 23, v53
	v_or3_b32 v38, v38, v40, v51
	v_lshrrev_b32_e32 v51, 16, v38
.LBB853_177:
	s_or_b64 exec, exec, s[10:11]
.LBB853_178:
	s_or_b64 exec, exec, s[8:9]
.LBB853_179:
	s_or_b64 exec, exec, s[2:3]
	v_mov_b32_e32 v40, 0
	v_cmp_ne_u16_sdwa s[8:9], v41, v40 src0_sel:BYTE_0 src1_sel:DWORD
	v_mov_b32_e32 v53, 0
	s_and_saveexec_b64 s[2:3], s[8:9]
	s_cbranch_execz .LBB853_185
; %bb.180:
	s_movk_i32 s8, 0x80
	v_cmp_ne_u16_sdwa s[10:11], v41, s8 src0_sel:BYTE_0 src1_sel:DWORD
	v_mov_b32_e32 v53, 0xffff8000
	s_and_saveexec_b64 s[8:9], s[10:11]
	s_cbranch_execz .LBB853_184
; %bb.181:
	s_movk_i32 s10, 0x7f
	v_and_b32_e32 v38, 0x7f, v41
	v_cmp_ne_u32_e32 vcc, s10, v38
	v_mov_b32_e32 v53, 0x7f80
	s_and_saveexec_b64 s[10:11], vcc
	s_cbranch_execz .LBB853_183
; %bb.182:
	v_and_b32_e32 v53, 7, v41
	v_ffbh_u32_e32 v55, v53
	v_min_u32_e32 v57, 32, v55
	v_mov_b32_e32 v54, v41
	v_subrev_u32_e32 v55, 28, v57
	v_lshlrev_b64 v[54:55], v55, v[54:55]
	v_lshrrev_b32_e32 v56, 3, v38
	v_sub_u32_e32 v55, 29, v57
	v_and_b32_e32 v54, 7, v54
	v_cmp_gt_u32_e32 vcc, 8, v38
	v_cndmask_b32_e32 v38, v56, v55, vcc
	v_cndmask_b32_e32 v53, v53, v54, vcc
	v_lshlrev_b32_e32 v54, 24, v41
	v_bfrev_b32_e32 v55, 60
	v_lshlrev_b32_e32 v53, 20, v53
	v_and_b32_e32 v54, 0x80000000, v54
	v_lshl_add_u32 v38, v38, 23, v55
	v_or3_b32 v38, v54, v38, v53
	v_lshrrev_b32_e32 v53, 16, v38
.LBB853_183:
	s_or_b64 exec, exec, s[10:11]
.LBB853_184:
	s_or_b64 exec, exec, s[8:9]
.LBB853_185:
	s_or_b64 exec, exec, s[2:3]
	v_lshrrev_b16_e32 v38, 8, v41
	v_cmp_ne_u16_e32 vcc, 0, v38
	s_and_saveexec_b64 s[2:3], vcc
	s_cbranch_execz .LBB853_191
; %bb.186:
	s_movk_i32 s8, 0x80
	v_cmp_ne_u16_e32 vcc, s8, v38
	v_mov_b32_e32 v40, 0xffff8000
	s_and_saveexec_b64 s[8:9], vcc
	s_cbranch_execz .LBB853_190
; %bb.187:
	s_movk_i32 s10, 0x7f
	v_and_b32_e32 v54, 0x7f, v38
	v_cmp_ne_u32_e32 vcc, s10, v54
	v_mov_b32_e32 v40, 0x7f80
	s_and_saveexec_b64 s[10:11], vcc
	s_cbranch_execz .LBB853_189
; %bb.188:
	v_and_b32_e32 v40, 7, v38
	v_ffbh_u32_e32 v56, v40
	v_min_u32_e32 v58, 32, v56
	v_subrev_u32_e32 v56, 28, v58
	v_lshlrev_b64 v[56:57], v56, v[38:39]
	v_lshrrev_b32_e32 v55, 3, v54
	v_sub_u32_e32 v38, 29, v58
	v_and_b32_e32 v56, 7, v56
	v_cmp_gt_u32_e32 vcc, 8, v54
	v_cndmask_b32_e32 v38, v55, v38, vcc
	v_cndmask_b32_e32 v40, v40, v56, vcc
	v_lshlrev_b32_e32 v54, 16, v41
	v_bfrev_b32_e32 v55, 60
	v_lshlrev_b32_e32 v40, 20, v40
	v_and_b32_e32 v54, 0x80000000, v54
	v_lshl_add_u32 v38, v38, 23, v55
	v_or3_b32 v38, v54, v38, v40
	v_lshrrev_b32_e32 v40, 16, v38
.LBB853_189:
	s_or_b64 exec, exec, s[10:11]
.LBB853_190:
	s_or_b64 exec, exec, s[8:9]
.LBB853_191:
	s_or_b64 exec, exec, s[2:3]
	s_movk_i32 s2, 0xff
	v_and_b32_sdwa v56, v41, s2 dst_sel:DWORD dst_unused:UNUSED_PAD src0_sel:WORD_1 src1_sel:DWORD
	v_lshrrev_b32_e32 v38, 16, v41
	v_cmp_ne_u16_e32 vcc, 0, v56
	v_mov_b32_e32 v54, 0
	v_mov_b32_e32 v55, 0
	s_and_saveexec_b64 s[2:3], vcc
	s_cbranch_execz .LBB853_197
; %bb.192:
	s_movk_i32 s8, 0x80
	v_cmp_ne_u16_e32 vcc, s8, v56
	v_mov_b32_e32 v55, 0xffff8000
	s_and_saveexec_b64 s[8:9], vcc
	s_cbranch_execz .LBB853_196
; %bb.193:
	v_bfe_u32 v56, v41, 16, 7
	s_movk_i32 s10, 0x7f
	v_cmp_ne_u32_e32 vcc, s10, v56
	v_mov_b32_e32 v55, 0x7f80
	s_and_saveexec_b64 s[10:11], vcc
	s_cbranch_execz .LBB853_195
; %bb.194:
	v_and_b32_e32 v55, 7, v38
	v_ffbh_u32_e32 v58, v55
	v_min_u32_e32 v60, 32, v58
	v_subrev_u32_e32 v58, 28, v60
	v_lshlrev_b64 v[58:59], v58, v[38:39]
	v_lshrrev_b32_e32 v57, 3, v56
	v_sub_u32_e32 v38, 29, v60
	v_and_b32_e32 v58, 7, v58
	v_cmp_gt_u32_e32 vcc, 8, v56
	v_mov_b32_e32 v56, 24
	v_cndmask_b32_e32 v38, v57, v38, vcc
	v_cndmask_b32_e32 v55, v55, v58, vcc
	v_lshlrev_b32_sdwa v56, v56, v41 dst_sel:DWORD dst_unused:UNUSED_PAD src0_sel:DWORD src1_sel:WORD_1
	v_bfrev_b32_e32 v57, 60
	v_lshlrev_b32_e32 v55, 20, v55
	v_and_b32_e32 v56, 0x80000000, v56
	v_lshl_add_u32 v38, v38, 23, v57
	v_or3_b32 v38, v56, v38, v55
	v_lshrrev_b32_e32 v55, 16, v38
.LBB853_195:
	s_or_b64 exec, exec, s[10:11]
.LBB853_196:
	s_or_b64 exec, exec, s[8:9]
.LBB853_197:
	s_or_b64 exec, exec, s[2:3]
	s_mov_b32 s2, 0xffffff
	v_cmp_lt_u32_e32 vcc, s2, v41
	s_and_saveexec_b64 s[2:3], vcc
	s_cbranch_execz .LBB853_203
; %bb.198:
	v_lshrrev_b32_e32 v38, 24, v41
	s_movk_i32 s8, 0x80
	v_cmp_ne_u32_e32 vcc, s8, v38
	v_mov_b32_e32 v54, 0xffff8000
	s_and_saveexec_b64 s[8:9], vcc
	s_cbranch_execz .LBB853_202
; %bb.199:
	v_bfe_u32 v41, v41, 24, 7
	s_movk_i32 s10, 0x7f
	v_cmp_ne_u32_e32 vcc, s10, v41
	v_mov_b32_e32 v54, 0x7f80
	s_and_saveexec_b64 s[10:11], vcc
	s_cbranch_execz .LBB853_201
; %bb.200:
	v_and_b32_e32 v54, 7, v38
	v_ffbh_u32_e32 v56, v54
	v_min_u32_e32 v59, 32, v56
	v_subrev_u32_e32 v56, 28, v59
	v_lshlrev_b64 v[56:57], v56, v[38:39]
	v_lshrrev_b32_e32 v58, 3, v41
	v_sub_u32_e32 v57, 29, v59
	v_and_b32_e32 v56, 7, v56
	v_cmp_gt_u32_e32 vcc, 8, v41
	v_cndmask_b32_e32 v41, v58, v57, vcc
	v_cndmask_b32_e32 v54, v54, v56, vcc
	v_lshlrev_b32_e32 v38, 24, v38
	v_bfrev_b32_e32 v56, 60
	v_lshlrev_b32_e32 v54, 20, v54
	v_and_b32_e32 v38, 0x80000000, v38
	v_lshl_add_u32 v41, v41, 23, v56
	v_or3_b32 v38, v38, v41, v54
	v_lshrrev_b32_e32 v54, 16, v38
.LBB853_201:
	s_or_b64 exec, exec, s[10:11]
.LBB853_202:
	s_or_b64 exec, exec, s[8:9]
.LBB853_203:
	s_or_b64 exec, exec, s[2:3]
	s_mov_b32 s2, 0x5040100
	v_perm_b32 v51, v51, v52, s2
	v_perm_b32 v50, v39, v50, s2
	v_perm_b32 v39, v54, v55, s2
	v_perm_b32 v38, v40, v53, s2
	v_mfma_f32_16x16x16bf16_1k v[56:59], v[50:51], v[18:19], v[42:45]
	s_nop 6
	v_mov_b32_e32 v43, 0
	s_waitcnt vmcnt(5)
	v_cmp_ne_u16_sdwa s[8:9], v34, v43 src0_sel:BYTE_0 src1_sel:DWORD
	v_mfma_f32_16x16x16bf16_1k v[38:41], v[38:39], v[20:21], v[56:59]
	v_mov_b32_e32 v44, 0
	s_and_saveexec_b64 s[2:3], s[8:9]
	s_cbranch_execz .LBB853_209
; %bb.204:
	s_movk_i32 s8, 0x80
	v_cmp_ne_u16_sdwa s[10:11], v34, s8 src0_sel:BYTE_0 src1_sel:DWORD
	v_mov_b32_e32 v44, 0xffff8000
	s_and_saveexec_b64 s[8:9], s[10:11]
	s_cbranch_execz .LBB853_208
; %bb.205:
	s_movk_i32 s10, 0x7f
	v_and_b32_e32 v42, 0x7f, v34
	v_cmp_ne_u32_e32 vcc, s10, v42
	v_mov_b32_e32 v44, 0x7f80
	s_and_saveexec_b64 s[10:11], vcc
	s_cbranch_execz .LBB853_207
; %bb.206:
	v_and_b32_e32 v50, 7, v34
	v_ffbh_u32_e32 v44, v50
	v_min_u32_e32 v52, 32, v44
	v_subrev_u32_e32 v44, 28, v52
	v_lshlrev_b64 v[44:45], v44, v[34:35]
	v_lshrrev_b32_e32 v51, 3, v42
	v_sub_u32_e32 v45, 29, v52
	v_and_b32_e32 v44, 7, v44
	v_cmp_gt_u32_e32 vcc, 8, v42
	v_cndmask_b32_e32 v42, v51, v45, vcc
	v_cndmask_b32_e32 v44, v50, v44, vcc
	v_lshlrev_b32_e32 v45, 24, v34
	v_bfrev_b32_e32 v50, 60
	v_lshlrev_b32_e32 v44, 20, v44
	v_and_b32_e32 v45, 0x80000000, v45
	v_lshl_add_u32 v42, v42, 23, v50
	v_or3_b32 v42, v45, v42, v44
	v_lshrrev_b32_e32 v44, 16, v42
.LBB853_207:
	s_or_b64 exec, exec, s[10:11]
.LBB853_208:
	s_or_b64 exec, exec, s[8:9]
.LBB853_209:
	s_or_b64 exec, exec, s[2:3]
	v_lshrrev_b16_e32 v42, 8, v34
	v_cmp_ne_u16_e32 vcc, 0, v42
	s_and_saveexec_b64 s[2:3], vcc
	s_cbranch_execz .LBB853_215
; %bb.210:
	s_movk_i32 s8, 0x80
	v_cmp_ne_u16_e32 vcc, s8, v42
	v_mov_b32_e32 v43, 0xffff8000
	s_and_saveexec_b64 s[8:9], vcc
	s_cbranch_execz .LBB853_214
; %bb.211:
	s_movk_i32 s10, 0x7f
	v_and_b32_e32 v45, 0x7f, v42
	v_cmp_ne_u32_e32 vcc, s10, v45
	v_mov_b32_e32 v43, 0x7f80
	s_and_saveexec_b64 s[10:11], vcc
	s_cbranch_execz .LBB853_213
; %bb.212:
	v_and_b32_e32 v50, 7, v42
	v_ffbh_u32_e32 v43, v50
	v_min_u32_e32 v52, 32, v43
	v_subrev_u32_e32 v43, 28, v52
	v_lshlrev_b64 v[42:43], v43, v[42:43]
	v_lshrrev_b32_e32 v51, 3, v45
	v_sub_u32_e32 v43, 29, v52
	v_and_b32_e32 v42, 7, v42
	v_cmp_gt_u32_e32 vcc, 8, v45
	v_cndmask_b32_e32 v43, v51, v43, vcc
	v_cndmask_b32_e32 v42, v50, v42, vcc
	v_lshlrev_b32_e32 v45, 16, v34
	v_bfrev_b32_e32 v50, 60
	v_lshlrev_b32_e32 v42, 20, v42
	v_and_b32_e32 v45, 0x80000000, v45
	v_lshl_add_u32 v43, v43, 23, v50
	v_or3_b32 v42, v45, v43, v42
	v_lshrrev_b32_e32 v43, 16, v42
.LBB853_213:
	s_or_b64 exec, exec, s[10:11]
.LBB853_214:
	s_or_b64 exec, exec, s[8:9]
.LBB853_215:
	s_or_b64 exec, exec, s[2:3]
	s_movk_i32 s2, 0xff
	v_and_b32_sdwa v51, v34, s2 dst_sel:DWORD dst_unused:UNUSED_PAD src0_sel:WORD_1 src1_sel:DWORD
	v_lshrrev_b32_e32 v42, 16, v34
	v_cmp_ne_u16_e32 vcc, 0, v51
	v_mov_b32_e32 v45, 0
	v_mov_b32_e32 v50, 0
	s_and_saveexec_b64 s[2:3], vcc
	s_cbranch_execz .LBB853_221
; %bb.216:
	s_movk_i32 s8, 0x80
	v_cmp_ne_u16_e32 vcc, s8, v51
	v_mov_b32_e32 v50, 0xffff8000
	s_and_saveexec_b64 s[8:9], vcc
	s_cbranch_execz .LBB853_220
; %bb.217:
	v_bfe_u32 v51, v34, 16, 7
	s_movk_i32 s10, 0x7f
	v_cmp_ne_u32_e32 vcc, s10, v51
	v_mov_b32_e32 v50, 0x7f80
	s_and_saveexec_b64 s[10:11], vcc
	s_cbranch_execz .LBB853_219
; %bb.218:
	v_and_b32_e32 v50, 7, v42
	v_ffbh_u32_e32 v52, v50
	v_min_u32_e32 v55, 32, v52
	v_subrev_u32_e32 v52, 28, v55
	v_lshlrev_b64 v[52:53], v52, v[42:43]
	v_lshrrev_b32_e32 v54, 3, v51
	v_sub_u32_e32 v42, 29, v55
	v_and_b32_e32 v52, 7, v52
	v_cmp_gt_u32_e32 vcc, 8, v51
	v_mov_b32_e32 v51, 24
	v_cndmask_b32_e32 v42, v54, v42, vcc
	v_cndmask_b32_e32 v50, v50, v52, vcc
	v_lshlrev_b32_sdwa v51, v51, v34 dst_sel:DWORD dst_unused:UNUSED_PAD src0_sel:DWORD src1_sel:WORD_1
	v_bfrev_b32_e32 v52, 60
	v_lshlrev_b32_e32 v50, 20, v50
	v_and_b32_e32 v51, 0x80000000, v51
	v_lshl_add_u32 v42, v42, 23, v52
	v_or3_b32 v42, v51, v42, v50
	v_lshrrev_b32_e32 v50, 16, v42
.LBB853_219:
	s_or_b64 exec, exec, s[10:11]
.LBB853_220:
	s_or_b64 exec, exec, s[8:9]
.LBB853_221:
	s_or_b64 exec, exec, s[2:3]
	s_mov_b32 s2, 0xffffff
	v_cmp_lt_u32_e32 vcc, s2, v34
	s_and_saveexec_b64 s[2:3], vcc
	s_cbranch_execz .LBB853_227
; %bb.222:
	v_lshrrev_b32_e32 v42, 24, v34
	s_movk_i32 s8, 0x80
	v_cmp_ne_u32_e32 vcc, s8, v42
	v_mov_b32_e32 v45, 0xffff8000
	s_and_saveexec_b64 s[8:9], vcc
	s_cbranch_execz .LBB853_226
; %bb.223:
	v_bfe_u32 v34, v34, 24, 7
	s_movk_i32 s10, 0x7f
	v_cmp_ne_u32_e32 vcc, s10, v34
	v_mov_b32_e32 v45, 0x7f80
	s_and_saveexec_b64 s[10:11], vcc
	s_cbranch_execz .LBB853_225
; %bb.224:
	v_and_b32_e32 v45, 7, v42
	v_ffbh_u32_e32 v52, v45
	v_min_u32_e32 v54, 32, v52
	v_subrev_u32_e32 v52, 28, v54
	v_lshlrev_b64 v[52:53], v52, v[42:43]
	v_lshrrev_b32_e32 v51, 3, v34
	v_sub_u32_e32 v53, 29, v54
	v_and_b32_e32 v52, 7, v52
	v_cmp_gt_u32_e32 vcc, 8, v34
	v_cndmask_b32_e32 v34, v51, v53, vcc
	v_cndmask_b32_e32 v45, v45, v52, vcc
	v_lshlrev_b32_e32 v42, 24, v42
	v_bfrev_b32_e32 v51, 60
	v_lshlrev_b32_e32 v45, 20, v45
	v_and_b32_e32 v42, 0x80000000, v42
	v_lshl_add_u32 v34, v34, 23, v51
	v_or3_b32 v34, v42, v34, v45
	v_lshrrev_b32_e32 v45, 16, v34
.LBB853_225:
	s_or_b64 exec, exec, s[10:11]
.LBB853_226:
	s_or_b64 exec, exec, s[8:9]
.LBB853_227:
	s_or_b64 exec, exec, s[2:3]
	v_mov_b32_e32 v42, 0
	v_cmp_ne_u16_sdwa s[8:9], v35, v42 src0_sel:BYTE_0 src1_sel:DWORD
	v_mov_b32_e32 v51, 0
	s_and_saveexec_b64 s[2:3], s[8:9]
	s_cbranch_execz .LBB853_233
; %bb.228:
	s_movk_i32 s8, 0x80
	v_cmp_ne_u16_sdwa s[10:11], v35, s8 src0_sel:BYTE_0 src1_sel:DWORD
	v_mov_b32_e32 v51, 0xffff8000
	s_and_saveexec_b64 s[8:9], s[10:11]
	s_cbranch_execz .LBB853_232
; %bb.229:
	s_movk_i32 s10, 0x7f
	v_and_b32_e32 v34, 0x7f, v35
	v_cmp_ne_u32_e32 vcc, s10, v34
	v_mov_b32_e32 v51, 0x7f80
	s_and_saveexec_b64 s[10:11], vcc
	s_cbranch_execz .LBB853_231
; %bb.230:
	v_and_b32_e32 v51, 7, v35
	v_ffbh_u32_e32 v53, v51
	v_min_u32_e32 v55, 32, v53
	v_mov_b32_e32 v52, v35
	v_subrev_u32_e32 v53, 28, v55
	v_lshlrev_b64 v[52:53], v53, v[52:53]
	v_lshrrev_b32_e32 v54, 3, v34
	v_sub_u32_e32 v53, 29, v55
	v_and_b32_e32 v52, 7, v52
	v_cmp_gt_u32_e32 vcc, 8, v34
	v_cndmask_b32_e32 v34, v54, v53, vcc
	v_cndmask_b32_e32 v51, v51, v52, vcc
	v_lshlrev_b32_e32 v52, 24, v35
	v_bfrev_b32_e32 v53, 60
	v_lshlrev_b32_e32 v51, 20, v51
	v_and_b32_e32 v52, 0x80000000, v52
	v_lshl_add_u32 v34, v34, 23, v53
	v_or3_b32 v34, v52, v34, v51
	v_lshrrev_b32_e32 v51, 16, v34
.LBB853_231:
	s_or_b64 exec, exec, s[10:11]
.LBB853_232:
	s_or_b64 exec, exec, s[8:9]
.LBB853_233:
	s_or_b64 exec, exec, s[2:3]
	v_lshrrev_b16_e32 v34, 8, v35
	v_cmp_ne_u16_e32 vcc, 0, v34
	s_and_saveexec_b64 s[2:3], vcc
	s_cbranch_execz .LBB853_239
; %bb.234:
	s_movk_i32 s8, 0x80
	v_cmp_ne_u16_e32 vcc, s8, v34
	v_mov_b32_e32 v42, 0xffff8000
	s_and_saveexec_b64 s[8:9], vcc
	s_cbranch_execz .LBB853_238
; %bb.235:
	s_movk_i32 s10, 0x7f
	v_and_b32_e32 v52, 0x7f, v34
	v_cmp_ne_u32_e32 vcc, s10, v52
	v_mov_b32_e32 v42, 0x7f80
	s_and_saveexec_b64 s[10:11], vcc
	s_cbranch_execz .LBB853_237
; %bb.236:
	v_and_b32_e32 v42, 7, v34
	v_ffbh_u32_e32 v54, v42
	v_min_u32_e32 v56, 32, v54
	v_subrev_u32_e32 v54, 28, v56
	v_lshlrev_b64 v[54:55], v54, v[34:35]
	v_lshrrev_b32_e32 v53, 3, v52
	v_sub_u32_e32 v34, 29, v56
	v_and_b32_e32 v54, 7, v54
	v_cmp_gt_u32_e32 vcc, 8, v52
	v_cndmask_b32_e32 v34, v53, v34, vcc
	v_cndmask_b32_e32 v42, v42, v54, vcc
	v_lshlrev_b32_e32 v52, 16, v35
	v_bfrev_b32_e32 v53, 60
	v_lshlrev_b32_e32 v42, 20, v42
	v_and_b32_e32 v52, 0x80000000, v52
	v_lshl_add_u32 v34, v34, 23, v53
	v_or3_b32 v34, v52, v34, v42
	v_lshrrev_b32_e32 v42, 16, v34
.LBB853_237:
	s_or_b64 exec, exec, s[10:11]
.LBB853_238:
	s_or_b64 exec, exec, s[8:9]
.LBB853_239:
	s_or_b64 exec, exec, s[2:3]
	s_movk_i32 s2, 0xff
	v_and_b32_sdwa v54, v35, s2 dst_sel:DWORD dst_unused:UNUSED_PAD src0_sel:WORD_1 src1_sel:DWORD
	v_lshrrev_b32_e32 v34, 16, v35
	v_cmp_ne_u16_e32 vcc, 0, v54
	v_mov_b32_e32 v52, 0
	v_mov_b32_e32 v53, 0
	s_and_saveexec_b64 s[2:3], vcc
	s_cbranch_execz .LBB853_245
; %bb.240:
	s_movk_i32 s8, 0x80
	v_cmp_ne_u16_e32 vcc, s8, v54
	v_mov_b32_e32 v53, 0xffff8000
	s_and_saveexec_b64 s[8:9], vcc
	s_cbranch_execz .LBB853_244
; %bb.241:
	v_bfe_u32 v54, v35, 16, 7
	s_movk_i32 s10, 0x7f
	v_cmp_ne_u32_e32 vcc, s10, v54
	v_mov_b32_e32 v53, 0x7f80
	s_and_saveexec_b64 s[10:11], vcc
	s_cbranch_execz .LBB853_243
; %bb.242:
	v_and_b32_e32 v53, 7, v34
	v_ffbh_u32_e32 v56, v53
	v_min_u32_e32 v58, 32, v56
	v_subrev_u32_e32 v56, 28, v58
	v_lshlrev_b64 v[56:57], v56, v[34:35]
	v_lshrrev_b32_e32 v55, 3, v54
	v_sub_u32_e32 v34, 29, v58
	v_and_b32_e32 v56, 7, v56
	v_cmp_gt_u32_e32 vcc, 8, v54
	v_mov_b32_e32 v54, 24
	v_cndmask_b32_e32 v34, v55, v34, vcc
	v_cndmask_b32_e32 v53, v53, v56, vcc
	v_lshlrev_b32_sdwa v54, v54, v35 dst_sel:DWORD dst_unused:UNUSED_PAD src0_sel:DWORD src1_sel:WORD_1
	v_bfrev_b32_e32 v55, 60
	v_lshlrev_b32_e32 v53, 20, v53
	v_and_b32_e32 v54, 0x80000000, v54
	v_lshl_add_u32 v34, v34, 23, v55
	v_or3_b32 v34, v54, v34, v53
	v_lshrrev_b32_e32 v53, 16, v34
.LBB853_243:
	s_or_b64 exec, exec, s[10:11]
.LBB853_244:
	s_or_b64 exec, exec, s[8:9]
.LBB853_245:
	s_or_b64 exec, exec, s[2:3]
	s_mov_b32 s2, 0xffffff
	v_cmp_lt_u32_e32 vcc, s2, v35
	s_and_saveexec_b64 s[2:3], vcc
	s_cbranch_execz .LBB853_251
; %bb.246:
	v_lshrrev_b32_e32 v34, 24, v35
	s_movk_i32 s8, 0x80
	v_cmp_ne_u32_e32 vcc, s8, v34
	v_mov_b32_e32 v52, 0xffff8000
	s_and_saveexec_b64 s[8:9], vcc
	s_cbranch_execz .LBB853_250
; %bb.247:
	v_bfe_u32 v35, v35, 24, 7
	s_movk_i32 s10, 0x7f
	v_cmp_ne_u32_e32 vcc, s10, v35
	v_mov_b32_e32 v52, 0x7f80
	s_and_saveexec_b64 s[10:11], vcc
	s_cbranch_execz .LBB853_249
; %bb.248:
	v_and_b32_e32 v52, 7, v34
	v_ffbh_u32_e32 v54, v52
	v_min_u32_e32 v57, 32, v54
	v_subrev_u32_e32 v54, 28, v57
	v_lshlrev_b64 v[54:55], v54, v[34:35]
	v_lshrrev_b32_e32 v56, 3, v35
	v_sub_u32_e32 v55, 29, v57
	v_and_b32_e32 v54, 7, v54
	v_cmp_gt_u32_e32 vcc, 8, v35
	v_cndmask_b32_e32 v35, v56, v55, vcc
	v_cndmask_b32_e32 v52, v52, v54, vcc
	v_lshlrev_b32_e32 v34, 24, v34
	v_bfrev_b32_e32 v54, 60
	v_lshlrev_b32_e32 v52, 20, v52
	v_and_b32_e32 v34, 0x80000000, v34
	v_lshl_add_u32 v35, v35, 23, v54
	v_or3_b32 v34, v34, v35, v52
	v_lshrrev_b32_e32 v52, 16, v34
.LBB853_249:
	s_or_b64 exec, exec, s[10:11]
.LBB853_250:
	s_or_b64 exec, exec, s[8:9]
.LBB853_251:
	s_or_b64 exec, exec, s[2:3]
	s_mov_b32 s2, 0x5040100
	v_perm_b32 v35, v45, v50, s2
	v_perm_b32 v34, v43, v44, s2
	;; [unrolled: 1-line block ×4, first 2 shown]
	v_mov_b32_e32 v50, 0
	v_mfma_f32_16x16x16bf16_1k v[54:57], v[34:35], v[26:27], 0
	v_mov_b32_e32 v35, 0
	v_cmp_ne_u16_sdwa s[8:9], v36, v35 src0_sel:BYTE_0 src1_sel:DWORD
	v_mfma_f32_16x16x16bf16_1k v[42:45], v[42:43], v[28:29], v[54:57]
	s_and_saveexec_b64 s[2:3], s[8:9]
	s_cbranch_execz .LBB853_257
; %bb.252:
	s_movk_i32 s8, 0x80
	v_cmp_ne_u16_sdwa s[10:11], v36, s8 src0_sel:BYTE_0 src1_sel:DWORD
	v_mov_b32_e32 v50, 0xffff8000
	s_and_saveexec_b64 s[8:9], s[10:11]
	s_cbranch_execz .LBB853_256
; %bb.253:
	s_movk_i32 s10, 0x7f
	v_and_b32_e32 v34, 0x7f, v36
	v_cmp_ne_u32_e32 vcc, s10, v34
	v_mov_b32_e32 v50, 0x7f80
	s_and_saveexec_b64 s[10:11], vcc
	s_cbranch_execz .LBB853_255
; %bb.254:
	v_and_b32_e32 v52, 7, v36
	v_ffbh_u32_e32 v50, v52
	v_min_u32_e32 v54, 32, v50
	v_subrev_u32_e32 v50, 28, v54
	v_lshlrev_b64 v[50:51], v50, v[36:37]
	v_lshrrev_b32_e32 v53, 3, v34
	v_sub_u32_e32 v51, 29, v54
	v_and_b32_e32 v50, 7, v50
	v_cmp_gt_u32_e32 vcc, 8, v34
	v_cndmask_b32_e32 v34, v53, v51, vcc
	v_cndmask_b32_e32 v50, v52, v50, vcc
	v_lshlrev_b32_e32 v51, 24, v36
	v_bfrev_b32_e32 v52, 60
	v_lshlrev_b32_e32 v50, 20, v50
	v_and_b32_e32 v51, 0x80000000, v51
	v_lshl_add_u32 v34, v34, 23, v52
	v_or3_b32 v34, v51, v34, v50
	v_lshrrev_b32_e32 v50, 16, v34
.LBB853_255:
	s_or_b64 exec, exec, s[10:11]
.LBB853_256:
	s_or_b64 exec, exec, s[8:9]
.LBB853_257:
	s_or_b64 exec, exec, s[2:3]
	v_lshrrev_b16_e32 v34, 8, v36
	v_cmp_ne_u16_e32 vcc, 0, v34
	s_and_saveexec_b64 s[2:3], vcc
	s_cbranch_execz .LBB853_263
; %bb.258:
	s_movk_i32 s8, 0x80
	v_cmp_ne_u16_e32 vcc, s8, v34
	v_mov_b32_e32 v35, 0xffff8000
	s_and_saveexec_b64 s[8:9], vcc
	s_cbranch_execz .LBB853_262
; %bb.259:
	s_movk_i32 s10, 0x7f
	v_and_b32_e32 v51, 0x7f, v34
	v_cmp_ne_u32_e32 vcc, s10, v51
	v_mov_b32_e32 v35, 0x7f80
	s_and_saveexec_b64 s[10:11], vcc
	s_cbranch_execz .LBB853_261
; %bb.260:
	v_and_b32_e32 v52, 7, v34
	v_ffbh_u32_e32 v35, v52
	v_min_u32_e32 v54, 32, v35
	v_subrev_u32_e32 v35, 28, v54
	v_lshlrev_b64 v[34:35], v35, v[34:35]
	v_lshrrev_b32_e32 v53, 3, v51
	v_sub_u32_e32 v35, 29, v54
	v_and_b32_e32 v34, 7, v34
	v_cmp_gt_u32_e32 vcc, 8, v51
	v_cndmask_b32_e32 v35, v53, v35, vcc
	v_cndmask_b32_e32 v34, v52, v34, vcc
	v_lshlrev_b32_e32 v51, 16, v36
	v_bfrev_b32_e32 v52, 60
	v_lshlrev_b32_e32 v34, 20, v34
	v_and_b32_e32 v51, 0x80000000, v51
	v_lshl_add_u32 v35, v35, 23, v52
	v_or3_b32 v34, v51, v35, v34
	v_lshrrev_b32_e32 v35, 16, v34
.LBB853_261:
	s_or_b64 exec, exec, s[10:11]
.LBB853_262:
	s_or_b64 exec, exec, s[8:9]
.LBB853_263:
	s_or_b64 exec, exec, s[2:3]
	s_movk_i32 s2, 0xff
	v_and_b32_sdwa v53, v36, s2 dst_sel:DWORD dst_unused:UNUSED_PAD src0_sel:WORD_1 src1_sel:DWORD
	v_lshrrev_b32_e32 v34, 16, v36
	v_cmp_ne_u16_e32 vcc, 0, v53
	v_mov_b32_e32 v51, 0
	v_mov_b32_e32 v52, 0
	s_and_saveexec_b64 s[2:3], vcc
	s_cbranch_execz .LBB853_269
; %bb.264:
	s_movk_i32 s8, 0x80
	v_cmp_ne_u16_e32 vcc, s8, v53
	v_mov_b32_e32 v52, 0xffff8000
	s_and_saveexec_b64 s[8:9], vcc
	s_cbranch_execz .LBB853_268
; %bb.265:
	v_bfe_u32 v53, v36, 16, 7
	s_movk_i32 s10, 0x7f
	v_cmp_ne_u32_e32 vcc, s10, v53
	v_mov_b32_e32 v52, 0x7f80
	s_and_saveexec_b64 s[10:11], vcc
	s_cbranch_execz .LBB853_267
; %bb.266:
	v_and_b32_e32 v52, 7, v34
	v_ffbh_u32_e32 v54, v52
	v_min_u32_e32 v57, 32, v54
	v_subrev_u32_e32 v54, 28, v57
	v_lshlrev_b64 v[54:55], v54, v[34:35]
	v_lshrrev_b32_e32 v56, 3, v53
	v_sub_u32_e32 v34, 29, v57
	v_and_b32_e32 v54, 7, v54
	v_cmp_gt_u32_e32 vcc, 8, v53
	v_mov_b32_e32 v53, 24
	v_cndmask_b32_e32 v34, v56, v34, vcc
	v_cndmask_b32_e32 v52, v52, v54, vcc
	v_lshlrev_b32_sdwa v53, v53, v36 dst_sel:DWORD dst_unused:UNUSED_PAD src0_sel:DWORD src1_sel:WORD_1
	v_bfrev_b32_e32 v54, 60
	v_lshlrev_b32_e32 v52, 20, v52
	v_and_b32_e32 v53, 0x80000000, v53
	v_lshl_add_u32 v34, v34, 23, v54
	v_or3_b32 v34, v53, v34, v52
	v_lshrrev_b32_e32 v52, 16, v34
.LBB853_267:
	s_or_b64 exec, exec, s[10:11]
.LBB853_268:
	s_or_b64 exec, exec, s[8:9]
.LBB853_269:
	s_or_b64 exec, exec, s[2:3]
	s_mov_b32 s2, 0xffffff
	v_cmp_lt_u32_e32 vcc, s2, v36
	s_and_saveexec_b64 s[2:3], vcc
	s_cbranch_execz .LBB853_275
; %bb.270:
	v_lshrrev_b32_e32 v34, 24, v36
	s_movk_i32 s8, 0x80
	v_cmp_ne_u32_e32 vcc, s8, v34
	v_mov_b32_e32 v51, 0xffff8000
	s_and_saveexec_b64 s[8:9], vcc
	s_cbranch_execz .LBB853_274
; %bb.271:
	v_bfe_u32 v36, v36, 24, 7
	s_movk_i32 s10, 0x7f
	v_cmp_ne_u32_e32 vcc, s10, v36
	v_mov_b32_e32 v51, 0x7f80
	s_and_saveexec_b64 s[10:11], vcc
	s_cbranch_execz .LBB853_273
; %bb.272:
	v_and_b32_e32 v51, 7, v34
	v_ffbh_u32_e32 v54, v51
	v_min_u32_e32 v56, 32, v54
	v_subrev_u32_e32 v54, 28, v56
	v_lshlrev_b64 v[54:55], v54, v[34:35]
	v_lshrrev_b32_e32 v53, 3, v36
	v_sub_u32_e32 v55, 29, v56
	v_and_b32_e32 v54, 7, v54
	v_cmp_gt_u32_e32 vcc, 8, v36
	v_cndmask_b32_e32 v36, v53, v55, vcc
	v_cndmask_b32_e32 v51, v51, v54, vcc
	v_lshlrev_b32_e32 v34, 24, v34
	v_bfrev_b32_e32 v53, 60
	v_lshlrev_b32_e32 v51, 20, v51
	v_and_b32_e32 v34, 0x80000000, v34
	v_lshl_add_u32 v36, v36, 23, v53
	v_or3_b32 v34, v34, v36, v51
	v_lshrrev_b32_e32 v51, 16, v34
.LBB853_273:
	s_or_b64 exec, exec, s[10:11]
.LBB853_274:
	s_or_b64 exec, exec, s[8:9]
.LBB853_275:
	s_or_b64 exec, exec, s[2:3]
	v_mov_b32_e32 v36, 0
	v_cmp_ne_u16_sdwa s[8:9], v37, v36 src0_sel:BYTE_0 src1_sel:DWORD
	v_mov_b32_e32 v53, 0
	s_and_saveexec_b64 s[2:3], s[8:9]
	s_cbranch_execz .LBB853_281
; %bb.276:
	s_movk_i32 s8, 0x80
	v_cmp_ne_u16_sdwa s[10:11], v37, s8 src0_sel:BYTE_0 src1_sel:DWORD
	v_mov_b32_e32 v53, 0xffff8000
	s_and_saveexec_b64 s[8:9], s[10:11]
	s_cbranch_execz .LBB853_280
; %bb.277:
	s_movk_i32 s10, 0x7f
	v_and_b32_e32 v34, 0x7f, v37
	v_cmp_ne_u32_e32 vcc, s10, v34
	v_mov_b32_e32 v53, 0x7f80
	s_and_saveexec_b64 s[10:11], vcc
	s_cbranch_execz .LBB853_279
; %bb.278:
	v_and_b32_e32 v53, 7, v37
	v_ffbh_u32_e32 v55, v53
	v_min_u32_e32 v57, 32, v55
	v_mov_b32_e32 v54, v37
	v_subrev_u32_e32 v55, 28, v57
	v_lshlrev_b64 v[54:55], v55, v[54:55]
	v_lshrrev_b32_e32 v56, 3, v34
	v_sub_u32_e32 v55, 29, v57
	v_and_b32_e32 v54, 7, v54
	v_cmp_gt_u32_e32 vcc, 8, v34
	v_cndmask_b32_e32 v34, v56, v55, vcc
	v_cndmask_b32_e32 v53, v53, v54, vcc
	v_lshlrev_b32_e32 v54, 24, v37
	v_bfrev_b32_e32 v55, 60
	v_lshlrev_b32_e32 v53, 20, v53
	v_and_b32_e32 v54, 0x80000000, v54
	v_lshl_add_u32 v34, v34, 23, v55
	v_or3_b32 v34, v54, v34, v53
	v_lshrrev_b32_e32 v53, 16, v34
.LBB853_279:
	s_or_b64 exec, exec, s[10:11]
.LBB853_280:
	s_or_b64 exec, exec, s[8:9]
.LBB853_281:
	s_or_b64 exec, exec, s[2:3]
	v_lshrrev_b16_e32 v34, 8, v37
	v_cmp_ne_u16_e32 vcc, 0, v34
	s_and_saveexec_b64 s[2:3], vcc
	s_cbranch_execz .LBB853_287
; %bb.282:
	s_movk_i32 s8, 0x80
	v_cmp_ne_u16_e32 vcc, s8, v34
	v_mov_b32_e32 v36, 0xffff8000
	s_and_saveexec_b64 s[8:9], vcc
	s_cbranch_execz .LBB853_286
; %bb.283:
	s_movk_i32 s10, 0x7f
	v_and_b32_e32 v54, 0x7f, v34
	v_cmp_ne_u32_e32 vcc, s10, v54
	v_mov_b32_e32 v36, 0x7f80
	s_and_saveexec_b64 s[10:11], vcc
	s_cbranch_execz .LBB853_285
; %bb.284:
	v_and_b32_e32 v36, 7, v34
	v_ffbh_u32_e32 v56, v36
	v_min_u32_e32 v58, 32, v56
	v_subrev_u32_e32 v56, 28, v58
	v_lshlrev_b64 v[56:57], v56, v[34:35]
	v_lshrrev_b32_e32 v55, 3, v54
	v_sub_u32_e32 v34, 29, v58
	v_and_b32_e32 v56, 7, v56
	v_cmp_gt_u32_e32 vcc, 8, v54
	v_cndmask_b32_e32 v34, v55, v34, vcc
	v_cndmask_b32_e32 v36, v36, v56, vcc
	v_lshlrev_b32_e32 v54, 16, v37
	v_bfrev_b32_e32 v55, 60
	v_lshlrev_b32_e32 v36, 20, v36
	v_and_b32_e32 v54, 0x80000000, v54
	v_lshl_add_u32 v34, v34, 23, v55
	v_or3_b32 v34, v54, v34, v36
	v_lshrrev_b32_e32 v36, 16, v34
.LBB853_285:
	s_or_b64 exec, exec, s[10:11]
.LBB853_286:
	s_or_b64 exec, exec, s[8:9]
.LBB853_287:
	s_or_b64 exec, exec, s[2:3]
	s_movk_i32 s2, 0xff
	v_and_b32_sdwa v56, v37, s2 dst_sel:DWORD dst_unused:UNUSED_PAD src0_sel:WORD_1 src1_sel:DWORD
	v_lshrrev_b32_e32 v34, 16, v37
	v_cmp_ne_u16_e32 vcc, 0, v56
	v_mov_b32_e32 v54, 0
	v_mov_b32_e32 v55, 0
	s_and_saveexec_b64 s[2:3], vcc
	s_cbranch_execz .LBB853_293
; %bb.288:
	s_movk_i32 s8, 0x80
	v_cmp_ne_u16_e32 vcc, s8, v56
	v_mov_b32_e32 v55, 0xffff8000
	s_and_saveexec_b64 s[8:9], vcc
	s_cbranch_execz .LBB853_292
; %bb.289:
	v_bfe_u32 v56, v37, 16, 7
	s_movk_i32 s10, 0x7f
	v_cmp_ne_u32_e32 vcc, s10, v56
	v_mov_b32_e32 v55, 0x7f80
	s_and_saveexec_b64 s[10:11], vcc
	s_cbranch_execz .LBB853_291
; %bb.290:
	v_and_b32_e32 v55, 7, v34
	v_ffbh_u32_e32 v58, v55
	v_min_u32_e32 v60, 32, v58
	v_subrev_u32_e32 v58, 28, v60
	v_lshlrev_b64 v[58:59], v58, v[34:35]
	v_lshrrev_b32_e32 v57, 3, v56
	v_sub_u32_e32 v34, 29, v60
	v_and_b32_e32 v58, 7, v58
	v_cmp_gt_u32_e32 vcc, 8, v56
	v_mov_b32_e32 v56, 24
	v_cndmask_b32_e32 v34, v57, v34, vcc
	v_cndmask_b32_e32 v55, v55, v58, vcc
	v_lshlrev_b32_sdwa v56, v56, v37 dst_sel:DWORD dst_unused:UNUSED_PAD src0_sel:DWORD src1_sel:WORD_1
	v_bfrev_b32_e32 v57, 60
	v_lshlrev_b32_e32 v55, 20, v55
	v_and_b32_e32 v56, 0x80000000, v56
	v_lshl_add_u32 v34, v34, 23, v57
	v_or3_b32 v34, v56, v34, v55
	v_lshrrev_b32_e32 v55, 16, v34
.LBB853_291:
	s_or_b64 exec, exec, s[10:11]
.LBB853_292:
	s_or_b64 exec, exec, s[8:9]
.LBB853_293:
	s_or_b64 exec, exec, s[2:3]
	s_mov_b32 s2, 0xffffff
	v_cmp_lt_u32_e32 vcc, s2, v37
	s_and_saveexec_b64 s[2:3], vcc
	s_cbranch_execz .LBB853_299
; %bb.294:
	v_lshrrev_b32_e32 v34, 24, v37
	s_movk_i32 s8, 0x80
	v_cmp_ne_u32_e32 vcc, s8, v34
	v_mov_b32_e32 v54, 0xffff8000
	s_and_saveexec_b64 s[8:9], vcc
	s_cbranch_execz .LBB853_298
; %bb.295:
	v_bfe_u32 v37, v37, 24, 7
	s_movk_i32 s10, 0x7f
	v_cmp_ne_u32_e32 vcc, s10, v37
	v_mov_b32_e32 v54, 0x7f80
	s_and_saveexec_b64 s[10:11], vcc
	s_cbranch_execz .LBB853_297
; %bb.296:
	v_and_b32_e32 v54, 7, v34
	v_ffbh_u32_e32 v56, v54
	v_min_u32_e32 v59, 32, v56
	v_subrev_u32_e32 v56, 28, v59
	v_lshlrev_b64 v[56:57], v56, v[34:35]
	v_lshrrev_b32_e32 v58, 3, v37
	v_sub_u32_e32 v57, 29, v59
	v_and_b32_e32 v56, 7, v56
	v_cmp_gt_u32_e32 vcc, 8, v37
	v_cndmask_b32_e32 v37, v58, v57, vcc
	v_cndmask_b32_e32 v54, v54, v56, vcc
	v_lshlrev_b32_e32 v34, 24, v34
	v_bfrev_b32_e32 v56, 60
	v_lshlrev_b32_e32 v54, 20, v54
	v_and_b32_e32 v34, 0x80000000, v34
	v_lshl_add_u32 v37, v37, 23, v56
	v_or3_b32 v34, v34, v37, v54
	v_lshrrev_b32_e32 v54, 16, v34
.LBB853_297:
	s_or_b64 exec, exec, s[10:11]
.LBB853_298:
	s_or_b64 exec, exec, s[8:9]
.LBB853_299:
	s_or_b64 exec, exec, s[2:3]
	s_mov_b32 s2, 0x5040100
	v_perm_b32 v51, v51, v52, s2
	v_perm_b32 v50, v35, v50, s2
	;; [unrolled: 1-line block ×4, first 2 shown]
	v_mfma_f32_16x16x16bf16_1k v[56:59], v[50:51], v[18:19], v[42:45]
	s_nop 6
	v_mov_b32_e32 v43, 0
	s_waitcnt vmcnt(4)
	v_cmp_ne_u16_sdwa s[8:9], v22, v43 src0_sel:BYTE_0 src1_sel:DWORD
	v_mfma_f32_16x16x16bf16_1k v[34:37], v[34:35], v[20:21], v[56:59]
	v_mov_b32_e32 v44, 0
	s_and_saveexec_b64 s[2:3], s[8:9]
	s_cbranch_execz .LBB853_305
; %bb.300:
	s_movk_i32 s8, 0x80
	v_cmp_ne_u16_sdwa s[10:11], v22, s8 src0_sel:BYTE_0 src1_sel:DWORD
	v_mov_b32_e32 v44, 0xffff8000
	s_and_saveexec_b64 s[8:9], s[10:11]
	s_cbranch_execz .LBB853_304
; %bb.301:
	s_movk_i32 s10, 0x7f
	v_and_b32_e32 v42, 0x7f, v22
	v_cmp_ne_u32_e32 vcc, s10, v42
	v_mov_b32_e32 v44, 0x7f80
	s_and_saveexec_b64 s[10:11], vcc
	s_cbranch_execz .LBB853_303
; %bb.302:
	v_and_b32_e32 v50, 7, v22
	v_ffbh_u32_e32 v44, v50
	v_min_u32_e32 v52, 32, v44
	v_subrev_u32_e32 v44, 28, v52
	v_lshlrev_b64 v[44:45], v44, v[22:23]
	v_lshrrev_b32_e32 v51, 3, v42
	v_sub_u32_e32 v45, 29, v52
	v_and_b32_e32 v44, 7, v44
	v_cmp_gt_u32_e32 vcc, 8, v42
	v_cndmask_b32_e32 v42, v51, v45, vcc
	v_cndmask_b32_e32 v44, v50, v44, vcc
	v_lshlrev_b32_e32 v45, 24, v22
	v_bfrev_b32_e32 v50, 60
	v_lshlrev_b32_e32 v44, 20, v44
	v_and_b32_e32 v45, 0x80000000, v45
	v_lshl_add_u32 v42, v42, 23, v50
	v_or3_b32 v42, v45, v42, v44
	v_lshrrev_b32_e32 v44, 16, v42
.LBB853_303:
	s_or_b64 exec, exec, s[10:11]
.LBB853_304:
	s_or_b64 exec, exec, s[8:9]
.LBB853_305:
	s_or_b64 exec, exec, s[2:3]
	v_lshrrev_b16_e32 v42, 8, v22
	v_cmp_ne_u16_e32 vcc, 0, v42
	s_and_saveexec_b64 s[2:3], vcc
	s_cbranch_execz .LBB853_311
; %bb.306:
	s_movk_i32 s8, 0x80
	v_cmp_ne_u16_e32 vcc, s8, v42
	v_mov_b32_e32 v43, 0xffff8000
	s_and_saveexec_b64 s[8:9], vcc
	s_cbranch_execz .LBB853_310
; %bb.307:
	s_movk_i32 s10, 0x7f
	v_and_b32_e32 v45, 0x7f, v42
	v_cmp_ne_u32_e32 vcc, s10, v45
	v_mov_b32_e32 v43, 0x7f80
	s_and_saveexec_b64 s[10:11], vcc
	s_cbranch_execz .LBB853_309
; %bb.308:
	v_and_b32_e32 v50, 7, v42
	v_ffbh_u32_e32 v43, v50
	v_min_u32_e32 v52, 32, v43
	v_subrev_u32_e32 v43, 28, v52
	v_lshlrev_b64 v[42:43], v43, v[42:43]
	v_lshrrev_b32_e32 v51, 3, v45
	v_sub_u32_e32 v43, 29, v52
	v_and_b32_e32 v42, 7, v42
	v_cmp_gt_u32_e32 vcc, 8, v45
	v_cndmask_b32_e32 v43, v51, v43, vcc
	v_cndmask_b32_e32 v42, v50, v42, vcc
	v_lshlrev_b32_e32 v45, 16, v22
	v_bfrev_b32_e32 v50, 60
	v_lshlrev_b32_e32 v42, 20, v42
	v_and_b32_e32 v45, 0x80000000, v45
	v_lshl_add_u32 v43, v43, 23, v50
	v_or3_b32 v42, v45, v43, v42
	v_lshrrev_b32_e32 v43, 16, v42
.LBB853_309:
	s_or_b64 exec, exec, s[10:11]
.LBB853_310:
	s_or_b64 exec, exec, s[8:9]
.LBB853_311:
	s_or_b64 exec, exec, s[2:3]
	s_movk_i32 s2, 0xff
	v_and_b32_sdwa v51, v22, s2 dst_sel:DWORD dst_unused:UNUSED_PAD src0_sel:WORD_1 src1_sel:DWORD
	v_lshrrev_b32_e32 v42, 16, v22
	v_cmp_ne_u16_e32 vcc, 0, v51
	v_mov_b32_e32 v45, 0
	v_mov_b32_e32 v50, 0
	s_and_saveexec_b64 s[2:3], vcc
	s_cbranch_execz .LBB853_317
; %bb.312:
	s_movk_i32 s8, 0x80
	v_cmp_ne_u16_e32 vcc, s8, v51
	v_mov_b32_e32 v50, 0xffff8000
	s_and_saveexec_b64 s[8:9], vcc
	s_cbranch_execz .LBB853_316
; %bb.313:
	v_bfe_u32 v51, v22, 16, 7
	s_movk_i32 s10, 0x7f
	v_cmp_ne_u32_e32 vcc, s10, v51
	v_mov_b32_e32 v50, 0x7f80
	s_and_saveexec_b64 s[10:11], vcc
	s_cbranch_execz .LBB853_315
; %bb.314:
	v_and_b32_e32 v50, 7, v42
	v_ffbh_u32_e32 v52, v50
	v_min_u32_e32 v55, 32, v52
	v_subrev_u32_e32 v52, 28, v55
	v_lshlrev_b64 v[52:53], v52, v[42:43]
	v_lshrrev_b32_e32 v54, 3, v51
	v_sub_u32_e32 v42, 29, v55
	v_and_b32_e32 v52, 7, v52
	v_cmp_gt_u32_e32 vcc, 8, v51
	v_mov_b32_e32 v51, 24
	v_cndmask_b32_e32 v42, v54, v42, vcc
	v_cndmask_b32_e32 v50, v50, v52, vcc
	v_lshlrev_b32_sdwa v51, v51, v22 dst_sel:DWORD dst_unused:UNUSED_PAD src0_sel:DWORD src1_sel:WORD_1
	v_bfrev_b32_e32 v52, 60
	v_lshlrev_b32_e32 v50, 20, v50
	v_and_b32_e32 v51, 0x80000000, v51
	v_lshl_add_u32 v42, v42, 23, v52
	v_or3_b32 v42, v51, v42, v50
	v_lshrrev_b32_e32 v50, 16, v42
.LBB853_315:
	s_or_b64 exec, exec, s[10:11]
.LBB853_316:
	s_or_b64 exec, exec, s[8:9]
.LBB853_317:
	s_or_b64 exec, exec, s[2:3]
	s_mov_b32 s2, 0xffffff
	v_cmp_lt_u32_e32 vcc, s2, v22
	s_and_saveexec_b64 s[2:3], vcc
	s_cbranch_execz .LBB853_323
; %bb.318:
	v_lshrrev_b32_e32 v42, 24, v22
	s_movk_i32 s8, 0x80
	v_cmp_ne_u32_e32 vcc, s8, v42
	v_mov_b32_e32 v45, 0xffff8000
	s_and_saveexec_b64 s[8:9], vcc
	s_cbranch_execz .LBB853_322
; %bb.319:
	v_bfe_u32 v22, v22, 24, 7
	s_movk_i32 s10, 0x7f
	v_cmp_ne_u32_e32 vcc, s10, v22
	v_mov_b32_e32 v45, 0x7f80
	s_and_saveexec_b64 s[10:11], vcc
	s_cbranch_execz .LBB853_321
; %bb.320:
	v_and_b32_e32 v45, 7, v42
	v_ffbh_u32_e32 v52, v45
	v_min_u32_e32 v54, 32, v52
	v_subrev_u32_e32 v52, 28, v54
	v_lshlrev_b64 v[52:53], v52, v[42:43]
	v_lshrrev_b32_e32 v51, 3, v22
	v_sub_u32_e32 v53, 29, v54
	v_and_b32_e32 v52, 7, v52
	v_cmp_gt_u32_e32 vcc, 8, v22
	v_cndmask_b32_e32 v22, v51, v53, vcc
	v_cndmask_b32_e32 v45, v45, v52, vcc
	v_lshlrev_b32_e32 v42, 24, v42
	v_bfrev_b32_e32 v51, 60
	v_lshlrev_b32_e32 v45, 20, v45
	v_and_b32_e32 v42, 0x80000000, v42
	v_lshl_add_u32 v22, v22, 23, v51
	v_or3_b32 v22, v42, v22, v45
	v_lshrrev_b32_e32 v45, 16, v22
.LBB853_321:
	s_or_b64 exec, exec, s[10:11]
.LBB853_322:
	s_or_b64 exec, exec, s[8:9]
.LBB853_323:
	s_or_b64 exec, exec, s[2:3]
	v_mov_b32_e32 v42, 0
	v_cmp_ne_u16_sdwa s[8:9], v23, v42 src0_sel:BYTE_0 src1_sel:DWORD
	v_mov_b32_e32 v51, 0
	s_and_saveexec_b64 s[2:3], s[8:9]
	s_cbranch_execz .LBB853_329
; %bb.324:
	s_movk_i32 s8, 0x80
	v_cmp_ne_u16_sdwa s[10:11], v23, s8 src0_sel:BYTE_0 src1_sel:DWORD
	v_mov_b32_e32 v51, 0xffff8000
	s_and_saveexec_b64 s[8:9], s[10:11]
	s_cbranch_execz .LBB853_328
; %bb.325:
	s_movk_i32 s10, 0x7f
	v_and_b32_e32 v22, 0x7f, v23
	v_cmp_ne_u32_e32 vcc, s10, v22
	v_mov_b32_e32 v51, 0x7f80
	s_and_saveexec_b64 s[10:11], vcc
	s_cbranch_execz .LBB853_327
; %bb.326:
	v_and_b32_e32 v51, 7, v23
	v_ffbh_u32_e32 v53, v51
	v_min_u32_e32 v55, 32, v53
	v_mov_b32_e32 v52, v23
	v_subrev_u32_e32 v53, 28, v55
	v_lshlrev_b64 v[52:53], v53, v[52:53]
	v_lshrrev_b32_e32 v54, 3, v22
	v_sub_u32_e32 v53, 29, v55
	v_and_b32_e32 v52, 7, v52
	v_cmp_gt_u32_e32 vcc, 8, v22
	v_cndmask_b32_e32 v22, v54, v53, vcc
	v_cndmask_b32_e32 v51, v51, v52, vcc
	v_lshlrev_b32_e32 v52, 24, v23
	v_bfrev_b32_e32 v53, 60
	v_lshlrev_b32_e32 v51, 20, v51
	v_and_b32_e32 v52, 0x80000000, v52
	v_lshl_add_u32 v22, v22, 23, v53
	v_or3_b32 v22, v52, v22, v51
	v_lshrrev_b32_e32 v51, 16, v22
.LBB853_327:
	s_or_b64 exec, exec, s[10:11]
.LBB853_328:
	s_or_b64 exec, exec, s[8:9]
.LBB853_329:
	s_or_b64 exec, exec, s[2:3]
	v_lshrrev_b16_e32 v22, 8, v23
	v_cmp_ne_u16_e32 vcc, 0, v22
	s_and_saveexec_b64 s[2:3], vcc
	s_cbranch_execz .LBB853_335
; %bb.330:
	s_movk_i32 s8, 0x80
	v_cmp_ne_u16_e32 vcc, s8, v22
	v_mov_b32_e32 v42, 0xffff8000
	s_and_saveexec_b64 s[8:9], vcc
	s_cbranch_execz .LBB853_334
; %bb.331:
	s_movk_i32 s10, 0x7f
	v_and_b32_e32 v52, 0x7f, v22
	v_cmp_ne_u32_e32 vcc, s10, v52
	v_mov_b32_e32 v42, 0x7f80
	s_and_saveexec_b64 s[10:11], vcc
	s_cbranch_execz .LBB853_333
; %bb.332:
	v_and_b32_e32 v42, 7, v22
	v_ffbh_u32_e32 v54, v42
	v_min_u32_e32 v56, 32, v54
	v_subrev_u32_e32 v54, 28, v56
	v_lshlrev_b64 v[54:55], v54, v[22:23]
	v_lshrrev_b32_e32 v53, 3, v52
	v_sub_u32_e32 v22, 29, v56
	v_and_b32_e32 v54, 7, v54
	v_cmp_gt_u32_e32 vcc, 8, v52
	v_cndmask_b32_e32 v22, v53, v22, vcc
	v_cndmask_b32_e32 v42, v42, v54, vcc
	v_lshlrev_b32_e32 v52, 16, v23
	v_bfrev_b32_e32 v53, 60
	v_lshlrev_b32_e32 v42, 20, v42
	v_and_b32_e32 v52, 0x80000000, v52
	v_lshl_add_u32 v22, v22, 23, v53
	v_or3_b32 v22, v52, v22, v42
	v_lshrrev_b32_e32 v42, 16, v22
.LBB853_333:
	s_or_b64 exec, exec, s[10:11]
.LBB853_334:
	s_or_b64 exec, exec, s[8:9]
.LBB853_335:
	s_or_b64 exec, exec, s[2:3]
	s_movk_i32 s2, 0xff
	v_and_b32_sdwa v54, v23, s2 dst_sel:DWORD dst_unused:UNUSED_PAD src0_sel:WORD_1 src1_sel:DWORD
	v_lshrrev_b32_e32 v22, 16, v23
	v_cmp_ne_u16_e32 vcc, 0, v54
	v_mov_b32_e32 v52, 0
	v_mov_b32_e32 v53, 0
	s_and_saveexec_b64 s[2:3], vcc
	s_cbranch_execz .LBB853_341
; %bb.336:
	s_movk_i32 s8, 0x80
	v_cmp_ne_u16_e32 vcc, s8, v54
	v_mov_b32_e32 v53, 0xffff8000
	s_and_saveexec_b64 s[8:9], vcc
	s_cbranch_execz .LBB853_340
; %bb.337:
	v_bfe_u32 v54, v23, 16, 7
	s_movk_i32 s10, 0x7f
	v_cmp_ne_u32_e32 vcc, s10, v54
	v_mov_b32_e32 v53, 0x7f80
	s_and_saveexec_b64 s[10:11], vcc
	s_cbranch_execz .LBB853_339
; %bb.338:
	v_and_b32_e32 v53, 7, v22
	v_ffbh_u32_e32 v56, v53
	v_min_u32_e32 v58, 32, v56
	v_subrev_u32_e32 v56, 28, v58
	v_lshlrev_b64 v[56:57], v56, v[22:23]
	v_lshrrev_b32_e32 v55, 3, v54
	v_sub_u32_e32 v22, 29, v58
	v_and_b32_e32 v56, 7, v56
	v_cmp_gt_u32_e32 vcc, 8, v54
	v_mov_b32_e32 v54, 24
	v_cndmask_b32_e32 v22, v55, v22, vcc
	v_cndmask_b32_e32 v53, v53, v56, vcc
	v_lshlrev_b32_sdwa v54, v54, v23 dst_sel:DWORD dst_unused:UNUSED_PAD src0_sel:DWORD src1_sel:WORD_1
	v_bfrev_b32_e32 v55, 60
	v_lshlrev_b32_e32 v53, 20, v53
	v_and_b32_e32 v54, 0x80000000, v54
	v_lshl_add_u32 v22, v22, 23, v55
	v_or3_b32 v22, v54, v22, v53
	v_lshrrev_b32_e32 v53, 16, v22
.LBB853_339:
	s_or_b64 exec, exec, s[10:11]
.LBB853_340:
	s_or_b64 exec, exec, s[8:9]
.LBB853_341:
	s_or_b64 exec, exec, s[2:3]
	s_mov_b32 s2, 0xffffff
	v_cmp_lt_u32_e32 vcc, s2, v23
	s_and_saveexec_b64 s[2:3], vcc
	s_cbranch_execz .LBB853_347
; %bb.342:
	v_lshrrev_b32_e32 v22, 24, v23
	s_movk_i32 s8, 0x80
	v_cmp_ne_u32_e32 vcc, s8, v22
	v_mov_b32_e32 v52, 0xffff8000
	s_and_saveexec_b64 s[8:9], vcc
	s_cbranch_execz .LBB853_346
; %bb.343:
	v_bfe_u32 v23, v23, 24, 7
	s_movk_i32 s10, 0x7f
	v_cmp_ne_u32_e32 vcc, s10, v23
	v_mov_b32_e32 v52, 0x7f80
	s_and_saveexec_b64 s[10:11], vcc
	s_cbranch_execz .LBB853_345
; %bb.344:
	v_and_b32_e32 v52, 7, v22
	v_ffbh_u32_e32 v54, v52
	v_min_u32_e32 v57, 32, v54
	v_subrev_u32_e32 v54, 28, v57
	v_lshlrev_b64 v[54:55], v54, v[22:23]
	v_lshrrev_b32_e32 v56, 3, v23
	v_sub_u32_e32 v55, 29, v57
	v_and_b32_e32 v54, 7, v54
	v_cmp_gt_u32_e32 vcc, 8, v23
	v_cndmask_b32_e32 v23, v56, v55, vcc
	v_cndmask_b32_e32 v52, v52, v54, vcc
	v_lshlrev_b32_e32 v22, 24, v22
	v_bfrev_b32_e32 v54, 60
	v_lshlrev_b32_e32 v52, 20, v52
	v_and_b32_e32 v22, 0x80000000, v22
	v_lshl_add_u32 v23, v23, 23, v54
	v_or3_b32 v22, v22, v23, v52
	v_lshrrev_b32_e32 v52, 16, v22
.LBB853_345:
	s_or_b64 exec, exec, s[10:11]
.LBB853_346:
	s_or_b64 exec, exec, s[8:9]
.LBB853_347:
	s_or_b64 exec, exec, s[2:3]
	s_mov_b32 s2, 0x5040100
	v_perm_b32 v23, v45, v50, s2
	v_perm_b32 v22, v43, v44, s2
	s_nop 1
	v_mfma_f32_16x16x16bf16_1k v[54:57], v[22:23], v[26:27], 0
	v_perm_b32 v27, v52, v53, s2
	v_perm_b32 v26, v42, v51, s2
	v_mov_b32_e32 v23, 0
	v_cmp_ne_u16_sdwa s[8:9], v24, v23 src0_sel:BYTE_0 src1_sel:DWORD
	v_mov_b32_e32 v42, 0
	v_mfma_f32_16x16x16bf16_1k v[26:29], v[26:27], v[28:29], v[54:57]
	s_and_saveexec_b64 s[2:3], s[8:9]
	s_cbranch_execz .LBB853_353
; %bb.348:
	s_movk_i32 s8, 0x80
	v_cmp_ne_u16_sdwa s[10:11], v24, s8 src0_sel:BYTE_0 src1_sel:DWORD
	v_mov_b32_e32 v42, 0xffff8000
	s_and_saveexec_b64 s[8:9], s[10:11]
	s_cbranch_execz .LBB853_352
; %bb.349:
	s_movk_i32 s10, 0x7f
	v_and_b32_e32 v22, 0x7f, v24
	v_cmp_ne_u32_e32 vcc, s10, v22
	v_mov_b32_e32 v42, 0x7f80
	s_and_saveexec_b64 s[10:11], vcc
	s_cbranch_execz .LBB853_351
; %bb.350:
	v_and_b32_e32 v44, 7, v24
	v_ffbh_u32_e32 v42, v44
	v_min_u32_e32 v50, 32, v42
	v_subrev_u32_e32 v42, 28, v50
	v_lshlrev_b64 v[42:43], v42, v[24:25]
	v_lshrrev_b32_e32 v45, 3, v22
	v_sub_u32_e32 v43, 29, v50
	v_and_b32_e32 v42, 7, v42
	v_cmp_gt_u32_e32 vcc, 8, v22
	v_cndmask_b32_e32 v22, v45, v43, vcc
	v_cndmask_b32_e32 v42, v44, v42, vcc
	v_lshlrev_b32_e32 v43, 24, v24
	v_bfrev_b32_e32 v44, 60
	v_lshlrev_b32_e32 v42, 20, v42
	v_and_b32_e32 v43, 0x80000000, v43
	v_lshl_add_u32 v22, v22, 23, v44
	v_or3_b32 v22, v43, v22, v42
	v_lshrrev_b32_e32 v42, 16, v22
.LBB853_351:
	s_or_b64 exec, exec, s[10:11]
.LBB853_352:
	s_or_b64 exec, exec, s[8:9]
.LBB853_353:
	s_or_b64 exec, exec, s[2:3]
	v_lshrrev_b16_e32 v22, 8, v24
	v_cmp_ne_u16_e32 vcc, 0, v22
	s_and_saveexec_b64 s[2:3], vcc
	s_cbranch_execz .LBB853_359
; %bb.354:
	s_movk_i32 s8, 0x80
	v_cmp_ne_u16_e32 vcc, s8, v22
	v_mov_b32_e32 v23, 0xffff8000
	s_and_saveexec_b64 s[8:9], vcc
	s_cbranch_execz .LBB853_358
; %bb.355:
	s_movk_i32 s10, 0x7f
	v_and_b32_e32 v43, 0x7f, v22
	v_cmp_ne_u32_e32 vcc, s10, v43
	v_mov_b32_e32 v23, 0x7f80
	s_and_saveexec_b64 s[10:11], vcc
	s_cbranch_execz .LBB853_357
; %bb.356:
	v_and_b32_e32 v44, 7, v22
	v_ffbh_u32_e32 v23, v44
	v_min_u32_e32 v50, 32, v23
	v_subrev_u32_e32 v23, 28, v50
	v_lshlrev_b64 v[22:23], v23, v[22:23]
	v_lshrrev_b32_e32 v45, 3, v43
	v_sub_u32_e32 v23, 29, v50
	v_and_b32_e32 v22, 7, v22
	v_cmp_gt_u32_e32 vcc, 8, v43
	v_cndmask_b32_e32 v23, v45, v23, vcc
	v_cndmask_b32_e32 v22, v44, v22, vcc
	v_lshlrev_b32_e32 v43, 16, v24
	v_bfrev_b32_e32 v44, 60
	v_lshlrev_b32_e32 v22, 20, v22
	v_and_b32_e32 v43, 0x80000000, v43
	v_lshl_add_u32 v23, v23, 23, v44
	v_or3_b32 v22, v43, v23, v22
	v_lshrrev_b32_e32 v23, 16, v22
.LBB853_357:
	s_or_b64 exec, exec, s[10:11]
.LBB853_358:
	s_or_b64 exec, exec, s[8:9]
.LBB853_359:
	s_or_b64 exec, exec, s[2:3]
	s_movk_i32 s2, 0xff
	v_and_b32_sdwa v45, v24, s2 dst_sel:DWORD dst_unused:UNUSED_PAD src0_sel:WORD_1 src1_sel:DWORD
	v_lshrrev_b32_e32 v22, 16, v24
	v_cmp_ne_u16_e32 vcc, 0, v45
	v_mov_b32_e32 v43, 0
	v_mov_b32_e32 v44, 0
	s_and_saveexec_b64 s[2:3], vcc
	s_cbranch_execz .LBB853_365
; %bb.360:
	s_movk_i32 s8, 0x80
	v_cmp_ne_u16_e32 vcc, s8, v45
	v_mov_b32_e32 v44, 0xffff8000
	s_and_saveexec_b64 s[8:9], vcc
	s_cbranch_execz .LBB853_364
; %bb.361:
	v_bfe_u32 v45, v24, 16, 7
	s_movk_i32 s10, 0x7f
	v_cmp_ne_u32_e32 vcc, s10, v45
	v_mov_b32_e32 v44, 0x7f80
	s_and_saveexec_b64 s[10:11], vcc
	s_cbranch_execz .LBB853_363
; %bb.362:
	v_and_b32_e32 v44, 7, v22
	v_ffbh_u32_e32 v50, v44
	v_min_u32_e32 v53, 32, v50
	v_subrev_u32_e32 v50, 28, v53
	v_lshlrev_b64 v[50:51], v50, v[22:23]
	v_lshrrev_b32_e32 v52, 3, v45
	v_sub_u32_e32 v22, 29, v53
	v_and_b32_e32 v50, 7, v50
	v_cmp_gt_u32_e32 vcc, 8, v45
	v_mov_b32_e32 v45, 24
	v_cndmask_b32_e32 v22, v52, v22, vcc
	v_cndmask_b32_e32 v44, v44, v50, vcc
	v_lshlrev_b32_sdwa v45, v45, v24 dst_sel:DWORD dst_unused:UNUSED_PAD src0_sel:DWORD src1_sel:WORD_1
	v_bfrev_b32_e32 v50, 60
	v_lshlrev_b32_e32 v44, 20, v44
	v_and_b32_e32 v45, 0x80000000, v45
	v_lshl_add_u32 v22, v22, 23, v50
	v_or3_b32 v22, v45, v22, v44
	v_lshrrev_b32_e32 v44, 16, v22
.LBB853_363:
	s_or_b64 exec, exec, s[10:11]
.LBB853_364:
	s_or_b64 exec, exec, s[8:9]
.LBB853_365:
	s_or_b64 exec, exec, s[2:3]
	s_mov_b32 s2, 0xffffff
	v_cmp_lt_u32_e32 vcc, s2, v24
	s_and_saveexec_b64 s[2:3], vcc
	s_cbranch_execz .LBB853_371
; %bb.366:
	v_lshrrev_b32_e32 v22, 24, v24
	s_movk_i32 s8, 0x80
	v_cmp_ne_u32_e32 vcc, s8, v22
	v_mov_b32_e32 v43, 0xffff8000
	s_and_saveexec_b64 s[8:9], vcc
	s_cbranch_execz .LBB853_370
; %bb.367:
	v_bfe_u32 v24, v24, 24, 7
	s_movk_i32 s10, 0x7f
	v_cmp_ne_u32_e32 vcc, s10, v24
	v_mov_b32_e32 v43, 0x7f80
	s_and_saveexec_b64 s[10:11], vcc
	s_cbranch_execz .LBB853_369
; %bb.368:
	v_and_b32_e32 v43, 7, v22
	v_ffbh_u32_e32 v50, v43
	v_min_u32_e32 v52, 32, v50
	v_subrev_u32_e32 v50, 28, v52
	v_lshlrev_b64 v[50:51], v50, v[22:23]
	v_lshrrev_b32_e32 v45, 3, v24
	v_sub_u32_e32 v51, 29, v52
	v_and_b32_e32 v50, 7, v50
	v_cmp_gt_u32_e32 vcc, 8, v24
	v_cndmask_b32_e32 v24, v45, v51, vcc
	v_cndmask_b32_e32 v43, v43, v50, vcc
	v_lshlrev_b32_e32 v22, 24, v22
	v_bfrev_b32_e32 v45, 60
	v_lshlrev_b32_e32 v43, 20, v43
	v_and_b32_e32 v22, 0x80000000, v22
	v_lshl_add_u32 v24, v24, 23, v45
	v_or3_b32 v22, v22, v24, v43
	v_lshrrev_b32_e32 v43, 16, v22
.LBB853_369:
	s_or_b64 exec, exec, s[10:11]
.LBB853_370:
	s_or_b64 exec, exec, s[8:9]
.LBB853_371:
	s_or_b64 exec, exec, s[2:3]
	v_mov_b32_e32 v24, 0
	v_cmp_ne_u16_sdwa s[8:9], v25, v24 src0_sel:BYTE_0 src1_sel:DWORD
	v_mov_b32_e32 v50, 0
	s_and_saveexec_b64 s[2:3], s[8:9]
	s_cbranch_execz .LBB853_377
; %bb.372:
	s_movk_i32 s8, 0x80
	v_cmp_ne_u16_sdwa s[10:11], v25, s8 src0_sel:BYTE_0 src1_sel:DWORD
	v_mov_b32_e32 v50, 0xffff8000
	s_and_saveexec_b64 s[8:9], s[10:11]
	s_cbranch_execz .LBB853_376
; %bb.373:
	s_movk_i32 s10, 0x7f
	v_and_b32_e32 v22, 0x7f, v25
	v_cmp_ne_u32_e32 vcc, s10, v22
	v_mov_b32_e32 v50, 0x7f80
	s_and_saveexec_b64 s[10:11], vcc
	s_cbranch_execz .LBB853_375
; %bb.374:
	v_and_b32_e32 v45, 7, v25
	v_ffbh_u32_e32 v51, v45
	v_min_u32_e32 v53, 32, v51
	v_mov_b32_e32 v50, v25
	v_subrev_u32_e32 v51, 28, v53
	v_lshlrev_b64 v[50:51], v51, v[50:51]
	v_lshrrev_b32_e32 v52, 3, v22
	v_sub_u32_e32 v51, 29, v53
	v_and_b32_e32 v50, 7, v50
	v_cmp_gt_u32_e32 vcc, 8, v22
	v_cndmask_b32_e32 v22, v52, v51, vcc
	v_cndmask_b32_e32 v45, v45, v50, vcc
	v_lshlrev_b32_e32 v50, 24, v25
	v_bfrev_b32_e32 v51, 60
	v_lshlrev_b32_e32 v45, 20, v45
	v_and_b32_e32 v50, 0x80000000, v50
	v_lshl_add_u32 v22, v22, 23, v51
	v_or3_b32 v22, v50, v22, v45
	v_lshrrev_b32_e32 v50, 16, v22
.LBB853_375:
	s_or_b64 exec, exec, s[10:11]
.LBB853_376:
	s_or_b64 exec, exec, s[8:9]
.LBB853_377:
	s_or_b64 exec, exec, s[2:3]
	v_lshrrev_b16_e32 v22, 8, v25
	v_cmp_ne_u16_e32 vcc, 0, v22
	s_and_saveexec_b64 s[2:3], vcc
	s_cbranch_execz .LBB853_383
; %bb.378:
	s_movk_i32 s8, 0x80
	v_cmp_ne_u16_e32 vcc, s8, v22
	v_mov_b32_e32 v24, 0xffff8000
	s_and_saveexec_b64 s[8:9], vcc
	s_cbranch_execz .LBB853_382
; %bb.379:
	s_movk_i32 s10, 0x7f
	v_and_b32_e32 v45, 0x7f, v22
	v_cmp_ne_u32_e32 vcc, s10, v45
	v_mov_b32_e32 v24, 0x7f80
	s_and_saveexec_b64 s[10:11], vcc
	s_cbranch_execz .LBB853_381
; %bb.380:
	v_and_b32_e32 v24, 7, v22
	v_ffbh_u32_e32 v52, v24
	v_min_u32_e32 v54, 32, v52
	v_subrev_u32_e32 v52, 28, v54
	v_lshlrev_b64 v[52:53], v52, v[22:23]
	v_lshrrev_b32_e32 v51, 3, v45
	v_sub_u32_e32 v22, 29, v54
	v_and_b32_e32 v52, 7, v52
	v_cmp_gt_u32_e32 vcc, 8, v45
	v_cndmask_b32_e32 v22, v51, v22, vcc
	v_cndmask_b32_e32 v24, v24, v52, vcc
	v_lshlrev_b32_e32 v45, 16, v25
	v_bfrev_b32_e32 v51, 60
	v_lshlrev_b32_e32 v24, 20, v24
	v_and_b32_e32 v45, 0x80000000, v45
	v_lshl_add_u32 v22, v22, 23, v51
	v_or3_b32 v22, v45, v22, v24
	v_lshrrev_b32_e32 v24, 16, v22
.LBB853_381:
	s_or_b64 exec, exec, s[10:11]
.LBB853_382:
	s_or_b64 exec, exec, s[8:9]
.LBB853_383:
	s_or_b64 exec, exec, s[2:3]
	s_movk_i32 s2, 0xff
	v_and_b32_sdwa v45, v25, s2 dst_sel:DWORD dst_unused:UNUSED_PAD src0_sel:WORD_1 src1_sel:DWORD
	v_lshrrev_b32_e32 v22, 16, v25
	v_cmp_ne_u16_e32 vcc, 0, v45
	v_mov_b32_e32 v51, 0
	v_mov_b32_e32 v52, 0
	s_and_saveexec_b64 s[2:3], vcc
	s_cbranch_execz .LBB853_389
; %bb.384:
	s_movk_i32 s8, 0x80
	v_cmp_ne_u16_e32 vcc, s8, v45
	v_mov_b32_e32 v52, 0xffff8000
	s_and_saveexec_b64 s[8:9], vcc
	s_cbranch_execz .LBB853_388
; %bb.385:
	v_bfe_u32 v45, v25, 16, 7
	s_movk_i32 s10, 0x7f
	v_cmp_ne_u32_e32 vcc, s10, v45
	v_mov_b32_e32 v52, 0x7f80
	s_and_saveexec_b64 s[10:11], vcc
	s_cbranch_execz .LBB853_387
; %bb.386:
	v_and_b32_e32 v54, 7, v22
	v_ffbh_u32_e32 v52, v54
	v_min_u32_e32 v56, 32, v52
	v_subrev_u32_e32 v52, 28, v56
	v_lshlrev_b64 v[52:53], v52, v[22:23]
	v_and_b32_e32 v52, 7, v52
	v_cmp_gt_u32_e32 vcc, 8, v45
	v_lshrrev_b32_e32 v55, 3, v45
	v_sub_u32_e32 v22, 29, v56
	v_cndmask_b32_e32 v45, v54, v52, vcc
	v_mov_b32_e32 v52, 24
	v_cndmask_b32_e32 v22, v55, v22, vcc
	v_lshlrev_b32_sdwa v52, v52, v25 dst_sel:DWORD dst_unused:UNUSED_PAD src0_sel:DWORD src1_sel:WORD_1
	v_bfrev_b32_e32 v53, 60
	v_lshlrev_b32_e32 v45, 20, v45
	v_and_b32_e32 v52, 0x80000000, v52
	v_lshl_add_u32 v22, v22, 23, v53
	v_or3_b32 v22, v52, v22, v45
	v_lshrrev_b32_e32 v52, 16, v22
.LBB853_387:
	s_or_b64 exec, exec, s[10:11]
.LBB853_388:
	s_or_b64 exec, exec, s[8:9]
.LBB853_389:
	s_or_b64 exec, exec, s[2:3]
	s_mov_b32 s2, 0xffffff
	v_and_b32_e32 v45, 63, v0
	v_cmp_lt_u32_e32 vcc, s2, v25
	s_and_saveexec_b64 s[2:3], vcc
	s_cbranch_execz .LBB853_395
; %bb.390:
	v_lshrrev_b32_e32 v22, 24, v25
	s_movk_i32 s8, 0x80
	v_cmp_ne_u32_e32 vcc, s8, v22
	v_mov_b32_e32 v51, 0xffff8000
	s_and_saveexec_b64 s[8:9], vcc
	s_cbranch_execz .LBB853_394
; %bb.391:
	v_bfe_u32 v25, v25, 24, 7
	s_movk_i32 s10, 0x7f
	v_cmp_ne_u32_e32 vcc, s10, v25
	v_mov_b32_e32 v51, 0x7f80
	s_and_saveexec_b64 s[10:11], vcc
	s_cbranch_execz .LBB853_393
; %bb.392:
	v_and_b32_e32 v51, 7, v22
	v_ffbh_u32_e32 v54, v51
	v_min_u32_e32 v56, 32, v54
	v_subrev_u32_e32 v54, 28, v56
	v_lshlrev_b64 v[54:55], v54, v[22:23]
	v_lshrrev_b32_e32 v53, 3, v25
	v_sub_u32_e32 v55, 29, v56
	v_and_b32_e32 v54, 7, v54
	v_cmp_gt_u32_e32 vcc, 8, v25
	v_cndmask_b32_e32 v25, v53, v55, vcc
	v_cndmask_b32_e32 v51, v51, v54, vcc
	v_lshlrev_b32_e32 v22, 24, v22
	v_bfrev_b32_e32 v53, 60
	v_lshlrev_b32_e32 v51, 20, v51
	v_and_b32_e32 v22, 0x80000000, v22
	v_lshl_add_u32 v25, v25, 23, v53
	v_or3_b32 v22, v22, v25, v51
	v_lshrrev_b32_e32 v51, 16, v22
.LBB853_393:
	s_or_b64 exec, exec, s[10:11]
.LBB853_394:
	s_or_b64 exec, exec, s[8:9]
.LBB853_395:
	s_or_b64 exec, exec, s[2:3]
	s_mov_b32 s3, 0x5040100
	v_perm_b32 v43, v43, v44, s3
	v_perm_b32 v42, v23, v42, s3
	s_load_dword s2, s[4:5], 0x1c
	s_mov_b32 s46, 0xff7fffff
	s_waitcnt lgkmcnt(0)
	v_mfma_f32_16x16x16bf16_1k v[26:29], v[42:43], v[18:19], v[26:29]
	v_perm_b32 v19, v51, v52, s3
	v_perm_b32 v18, v24, v50, s3
	v_and_b32_e32 v24, 0xc0, v0
	v_mov_b32_e32 v22, s2
	v_add_u32_e32 v24, s20, v24
	v_mul_f32_e32 v44, s12, v22
	v_lshl_or_b32 v42, v1, 2, v24
	v_mfma_f32_16x16x16bf16_1k v[18:21], v[18:19], v[20:21], v[26:29]
	v_pk_mul_f32 v[22:23], v[44:45], v[36:37] op_sel_hi:[0,1]
	v_pk_mul_f32 v[36:37], v[44:45], v[40:41] op_sel_hi:[0,1]
	;; [unrolled: 1-line block ×4, first 2 shown]
	v_mov_b32_e32 v43, 0xff7fffff
	v_cmp_gt_i32_e64 s[26:27], s33, v42
	v_pk_mul_f32 v[38:39], v[44:45], v[38:39] op_sel_hi:[0,1]
	s_nop 3
	v_pk_mul_f32 v[32:33], v[44:45], v[18:19] op_sel_hi:[0,1]
	v_or_b32_e32 v19, 1, v42
	v_cmp_gt_i32_e64 s[28:29], s33, v19
	v_cndmask_b32_e64 v18, v43, v30, s[26:27]
	v_cndmask_b32_e64 v19, v43, v31, s[28:29]
	v_pk_mul_f32 v[24:25], v[44:45], v[20:21] op_sel_hi:[0,1]
	v_max3_f32 v18, v18, s46, v19
	v_or_b32_e32 v19, 2, v42
	v_or_b32_e32 v20, 3, v42
	v_cmp_gt_i32_e64 s[30:31], s33, v19
	v_cmp_gt_i32_e64 s[34:35], s33, v20
	v_cndmask_b32_e64 v19, v43, v40, s[30:31]
	v_cndmask_b32_e64 v20, v43, v41, s[34:35]
	v_max3_f32 v18, v18, v19, v20
	v_or_b32_e32 v19, 16, v42
	v_or_b32_e32 v20, 17, v42
	v_cmp_gt_i32_e64 s[36:37], s33, v19
	v_cmp_gt_i32_e64 s[38:39], s33, v20
	v_cndmask_b32_e64 v19, v43, v38, s[36:37]
	v_cndmask_b32_e64 v20, v43, v39, s[38:39]
	;; [unrolled: 7-line block ×3, first 2 shown]
	v_max3_f32 v18, v18, v19, v20
	v_or_b32_e32 v19, 32, v42
	v_or_b32_e32 v20, 33, v42
	v_pk_mul_f32 v[34:35], v[44:45], v[34:35] op_sel_hi:[0,1]
	v_cmp_gt_i32_e64 s[16:17], s33, v19
	v_cmp_gt_i32_e64 s[18:19], s33, v20
	v_cndmask_b32_e64 v19, v43, v34, s[16:17]
	v_cndmask_b32_e64 v20, v43, v35, s[18:19]
	v_max3_f32 v18, v18, v19, v20
	v_or_b32_e32 v19, 34, v42
	v_or_b32_e32 v20, 35, v42
	v_cmp_gt_i32_e64 s[12:13], s33, v19
	v_cmp_gt_i32_e64 s[14:15], s33, v20
	v_cndmask_b32_e64 v19, v43, v22, s[12:13]
	v_cndmask_b32_e64 v20, v43, v23, s[14:15]
	v_max3_f32 v18, v18, v19, v20
	v_or_b32_e32 v19, 48, v42
	v_or_b32_e32 v20, 49, v42
	;; [unrolled: 7-line block ×3, first 2 shown]
	v_cmp_gt_i32_e32 vcc, s33, v19
	v_cmp_gt_i32_e64 s[2:3], s33, v20
	v_cndmask_b32_e32 v19, v43, v24, vcc
	v_cndmask_b32_e64 v20, v43, v25, s[2:3]
	v_max3_f32 v18, v18, v19, v20
	v_mbcnt_lo_u32_b32 v19, -1, 0
	v_mbcnt_hi_u32_b32 v19, -1, v19
	v_and_b32_e32 v20, 64, v19
	v_add_u32_e32 v20, 64, v20
	v_xor_b32_e32 v21, 32, v19
	v_cmp_lt_i32_e64 s[40:41], v21, v20
	v_cndmask_b32_e64 v21, v19, v21, s[40:41]
	v_lshlrev_b32_e32 v43, 2, v21
	ds_bpermute_b32 v21, v43, v18
	s_barrier
	s_waitcnt lgkmcnt(0)
	v_max_f32_e32 v21, v21, v21
	v_max_f32_e32 v18, v18, v21
	v_xor_b32_e32 v21, 16, v19
	v_cmp_lt_i32_e64 s[40:41], v21, v20
	v_cndmask_b32_e64 v19, v19, v21, s[40:41]
	v_lshlrev_b32_e32 v44, 2, v19
	ds_bpermute_b32 v19, v44, v18
	s_waitcnt lgkmcnt(0)
	v_max_f32_e32 v19, v19, v19
	v_max_f32_e32 v42, v18, v19
	v_sub_f32_e32 v21, v40, v42
	v_sub_f32_e32 v26, v41, v42
	v_mul_f32_e32 v21, 0x3fb8aa3b, v21
	v_mul_f32_e32 v26, 0x3fb8aa3b, v26
	v_sub_f32_e32 v18, v30, v42
	v_exp_f32_e32 v21, v21
	v_exp_f32_e32 v26, v26
	v_mul_f32_e32 v18, 0x3fb8aa3b, v18
	v_sub_f32_e32 v19, v31, v42
	v_exp_f32_e32 v18, v18
	v_mul_f32_e32 v19, 0x3fb8aa3b, v19
	v_exp_f32_e32 v19, v19
	v_cndmask_b32_e64 v28, 0, v21, s[30:31]
	v_cndmask_b32_e64 v29, 0, v26, s[34:35]
	v_sub_f32_e32 v21, v38, v42
	v_sub_f32_e32 v26, v39, v42
	v_mul_f32_e32 v21, 0x3fb8aa3b, v21
	v_mul_f32_e32 v26, 0x3fb8aa3b, v26
	v_cndmask_b32_e64 v18, 0, v18, s[26:27]
	v_exp_f32_e32 v21, v21
	v_exp_f32_e32 v26, v26
	v_add_f32_e32 v20, 0, v18
	v_cndmask_b32_e64 v19, 0, v19, s[28:29]
	v_add_f32_e32 v20, v20, v19
	v_add_f32_e32 v20, v20, v28
	;; [unrolled: 1-line block ×3, first 2 shown]
	v_cndmask_b32_e64 v20, 0, v21, s[36:37]
	v_cndmask_b32_e64 v21, 0, v26, s[38:39]
	v_sub_f32_e32 v26, v36, v42
	v_mul_f32_e32 v26, 0x3fb8aa3b, v26
	v_exp_f32_e32 v26, v26
	v_sub_f32_e32 v30, v37, v42
	v_add_f32_e32 v27, v27, v20
	v_mul_f32_e32 v30, 0x3fb8aa3b, v30
	v_exp_f32_e32 v31, v30
	v_add_f32_e32 v27, v27, v21
	v_cndmask_b32_e64 v30, 0, v26, s[20:21]
	v_add_f32_e32 v26, v27, v30
	v_sub_f32_e32 v27, v34, v42
	v_mul_f32_e32 v27, 0x3fb8aa3b, v27
	v_sub_f32_e32 v34, v35, v42
	v_exp_f32_e32 v27, v27
	v_mul_f32_e32 v34, 0x3fb8aa3b, v34
	v_sub_f32_e32 v22, v22, v42
	v_exp_f32_e32 v34, v34
	;; [unrolled: 3-line block ×3, first 2 shown]
	v_mul_f32_e32 v23, 0x3fb8aa3b, v23
	v_cndmask_b32_e64 v31, 0, v31, s[22:23]
	v_exp_f32_e32 v23, v23
	v_add_f32_e32 v35, v26, v31
	v_cndmask_b32_e64 v26, 0, v27, s[16:17]
	v_add_f32_e32 v35, v35, v26
	v_cndmask_b32_e64 v27, 0, v34, s[18:19]
	;; [unrolled: 2-line block ×4, first 2 shown]
	v_sub_f32_e32 v23, v32, v42
	v_mul_f32_e32 v23, 0x3fb8aa3b, v23
	v_sub_f32_e32 v32, v33, v42
	v_exp_f32_e32 v23, v23
	v_mul_f32_e32 v32, 0x3fb8aa3b, v32
	v_sub_f32_e32 v24, v24, v42
	v_exp_f32_e32 v32, v32
	;; [unrolled: 3-line block ×3, first 2 shown]
	v_mul_f32_e32 v25, 0x3fb8aa3b, v25
	v_exp_f32_e32 v25, v25
	v_add_f32_e32 v33, v22, v35
	v_cndmask_b32_e64 v22, 0, v23, s[8:9]
	v_add_f32_e32 v33, v33, v22
	v_cndmask_b32_e64 v23, 0, v32, s[10:11]
	v_add_f32_e32 v32, v33, v23
	v_cndmask_b32_e32 v24, 0, v24, vcc
	v_add_f32_e32 v32, v32, v24
	v_cndmask_b32_e64 v25, 0, v25, s[2:3]
	v_add_f32_e32 v32, v32, v25
	ds_bpermute_b32 v33, v43, v32
	v_cmp_gt_u32_e32 vcc, 16, v45
	s_waitcnt lgkmcnt(0)
	v_add_f32_e32 v32, v32, v33
	ds_bpermute_b32 v36, v44, v32
	v_lshlrev_b32_e32 v33, 2, v49
	s_and_saveexec_b64 s[2:3], vcc
	s_cbranch_execz .LBB853_397
; %bb.396:
	s_waitcnt lgkmcnt(0)
	v_add_f32_e32 v32, v32, v36
	v_lshl_or_b32 v36, v48, 6, v33
	ds_write2st64_b32 v36, v42, v32 offset1:1
.LBB853_397:
	s_or_b64 exec, exec, s[2:3]
	s_waitcnt lgkmcnt(0)
	s_barrier
	ds_read2_b32 v[36:37], v33 offset1:16
	ds_read2_b32 v[38:39], v33 offset0:32 offset1:48
	ds_read2_b32 v[40:41], v33 offset0:64 offset1:80
	s_lshl_b32 s12, s45, 3
	s_waitcnt lgkmcnt(2)
	v_max3_f32 v32, v36, s46, v37
	s_waitcnt lgkmcnt(1)
	v_max3_f32 v32, v32, v38, v39
	v_sub_f32_e32 v36, v36, v32
	v_mul_f32_e32 v36, 0x3fb8aa3b, v36
	v_exp_f32_e32 v42, v36
	v_sub_f32_e32 v36, v37, v32
	v_mul_f32_e32 v36, 0x3fb8aa3b, v36
	v_exp_f32_e32 v43, v36
	;; [unrolled: 3-line block ×3, first 2 shown]
	ds_read2_b32 v[36:37], v33 offset0:96 offset1:112
	v_sub_f32_e32 v33, v39, v32
	v_mul_f32_e32 v33, 0x3fb8aa3b, v33
	v_exp_f32_e32 v39, v33
	s_waitcnt lgkmcnt(1)
	v_fma_f32 v33, v42, v40, 0
	v_fmac_f32_e32 v33, v43, v41
	s_waitcnt lgkmcnt(0)
	v_fmac_f32_e32 v33, v38, v36
	v_fmac_f32_e32 v33, v39, v37
	v_add_f32_e32 v36, 0x358637bd, v33
	v_div_scale_f32 v37, s[2:3], v36, v36, 1.0
	v_rcp_f32_e32 v40, v37
	s_movk_i32 s2, 0x7fff
	s_mov_b32 s3, 0x7060302
	v_fma_f32 v41, -v37, v40, 1.0
	v_fmac_f32_e32 v40, v41, v40
	v_div_scale_f32 v41, vcc, 1.0, v36, 1.0
	v_mul_f32_e32 v44, v41, v40
	v_fma_f32 v45, -v37, v44, v41
	v_fmac_f32_e32 v44, v45, v40
	v_fma_f32 v37, -v37, v44, v41
	v_div_fmas_f32 v37, v37, v40, v44
	v_cmp_eq_u32_e32 vcc, 1, v48
	v_div_fixup_f32 v36, v37, v36, 1.0
	v_cndmask_b32_e32 v37, v42, v43, vcc
	v_cmp_eq_u32_e32 vcc, 2, v48
	v_cndmask_b32_e32 v37, v37, v38, vcc
	v_cmp_eq_u32_e32 vcc, 3, v48
	v_cndmask_b32_e32 v37, v37, v39, vcc
	v_mul_f32_e32 v36, v37, v36
	v_pk_mul_f32 v[18:19], v[36:37], v[18:19] op_sel_hi:[0,1]
	v_pk_mul_f32 v[28:29], v[36:37], v[28:29] op_sel_hi:[0,1]
	v_bfe_u32 v37, v19, 16, 1
	v_bfe_u32 v38, v18, 16, 1
	v_add3_u32 v18, v18, v38, s2
	v_add3_u32 v19, v19, v37, s2
	v_perm_b32 v38, v19, v18, s3
	v_bfe_u32 v18, v29, 16, 1
	v_bfe_u32 v19, v28, 16, 1
	v_add3_u32 v19, v28, v19, s2
	v_add3_u32 v18, v29, v18, s2
	v_perm_b32 v39, v18, v19, s3
	v_lshlrev_b32_e32 v18, 3, v1
	v_lshlrev_b32_e32 v19, 5, v49
	;; [unrolled: 1-line block ×3, first 2 shown]
	v_pk_mul_f32 v[20:21], v[36:37], v[20:21] op_sel_hi:[0,1]
	v_or3_b32 v28, v28, v19, v18
	v_bfe_u32 v18, v21, 16, 1
	v_bfe_u32 v29, v20, 16, 1
	v_pk_mul_f32 v[30:31], v[36:37], v[30:31] op_sel_hi:[0,1]
	v_add3_u32 v20, v20, v29, s2
	v_add3_u32 v18, v21, v18, s2
	v_perm_b32 v20, v18, v20, s3
	v_bfe_u32 v18, v31, 16, 1
	v_bfe_u32 v21, v30, 16, 1
	v_add3_u32 v21, v30, v21, s2
	v_add3_u32 v18, v31, v18, s2
	v_pk_mul_f32 v[26:27], v[36:37], v[26:27] op_sel_hi:[0,1]
	v_perm_b32 v21, v18, v21, s3
	v_bfe_u32 v18, v27, 16, 1
	v_bfe_u32 v29, v26, 16, 1
	s_barrier
	ds_write2st64_b64 v28, v[38:39], v[20:21] offset1:1
	v_pk_mul_f32 v[20:21], v[36:37], v[34:35] op_sel_hi:[0,1]
	v_add3_u32 v26, v26, v29, s2
	v_add3_u32 v18, v27, v18, s2
	v_perm_b32 v26, v18, v26, s3
	v_bfe_u32 v18, v21, 16, 1
	v_bfe_u32 v27, v20, 16, 1
	v_add3_u32 v20, v20, v27, s2
	v_add3_u32 v18, v21, v18, s2
	v_pk_mul_f32 v[22:23], v[36:37], v[22:23] op_sel_hi:[0,1]
	v_perm_b32 v27, v18, v20, s3
	v_pk_mul_f32 v[20:21], v[36:37], v[24:25] op_sel_hi:[0,1]
	v_bfe_u32 v18, v23, 16, 1
	v_bfe_u32 v24, v22, 16, 1
	v_add3_u32 v22, v22, v24, s2
	v_add3_u32 v18, v23, v18, s2
	v_perm_b32 v22, v18, v22, s3
	v_bfe_u32 v18, v21, 16, 1
	v_bfe_u32 v23, v20, 16, 1
	v_add3_u32 v20, v20, v23, s2
	v_add3_u32 v18, v21, v18, s2
	v_perm_b32 v23, v18, v20, s3
	v_cmp_gt_u32_e32 vcc, 8, v0
	ds_write2st64_b64 v28, v[26:27], v[22:23] offset0:2 offset1:3
	s_and_saveexec_b64 s[2:3], vcc
	s_cbranch_execz .LBB853_399
; %bb.398:
	v_or_b32_e32 v20, s25, v0
	v_mov_b32_e32 v21, 0
	v_mov_b32_e32 v18, s12
	v_mad_u64_u32 v[22:23], s[14:15], s6, v18, v[20:21]
	v_mov_b32_e32 v20, s24
	s_load_dwordx4 s[8:11], s[4:5], 0x58
	s_mul_i32 s7, s7, s12
	v_mad_u64_u32 v[20:21], s[14:15], v22, s44, v[20:21]
	v_add_u32_e32 v23, s7, v23
	v_mov_b32_e32 v18, v21
	v_mad_u64_u32 v[22:23], s[14:15], v23, s44, v[18:19]
	v_mov_b32_e32 v21, v22
	v_lshlrev_b64 v[20:21], 2, v[20:21]
	s_waitcnt lgkmcnt(0)
	v_mov_b32_e32 v18, s11
	v_add_co_u32_e32 v22, vcc, s10, v20
	v_addc_co_u32_e32 v23, vcc, v18, v21, vcc
	v_mov_b32_e32 v18, s9
	v_add_co_u32_e32 v20, vcc, s8, v20
	v_addc_co_u32_e32 v21, vcc, v18, v21, vcc
	global_store_dword v[22:23], v32, off
	global_store_dword v[20:21], v33, off
.LBB853_399:
	s_or_b64 exec, exec, s[2:3]
	v_mov_b32_e32 v20, 0
	s_waitcnt vmcnt(3)
	v_cmp_ne_u16_sdwa s[8:9], v14, v20 src0_sel:BYTE_0 src1_sel:DWORD
	v_mov_b32_e32 v21, 0
	s_waitcnt lgkmcnt(0)
	s_barrier
	s_and_saveexec_b64 s[2:3], s[8:9]
	s_cbranch_execz .LBB853_405
; %bb.400:
	s_movk_i32 s7, 0x80
	v_cmp_ne_u16_sdwa s[10:11], v14, s7 src0_sel:BYTE_0 src1_sel:DWORD
	v_mov_b32_e32 v21, 0xffff8000
	s_and_saveexec_b64 s[8:9], s[10:11]
	s_cbranch_execz .LBB853_404
; %bb.401:
	s_movk_i32 s7, 0x7f
	v_and_b32_e32 v18, 0x7f, v14
	v_cmp_ne_u32_e32 vcc, s7, v18
	v_mov_b32_e32 v21, 0x7f80
	s_and_saveexec_b64 s[10:11], vcc
	s_cbranch_execz .LBB853_403
; %bb.402:
	v_and_b32_e32 v21, 7, v14
	v_ffbh_u32_e32 v22, v21
	v_min_u32_e32 v25, 32, v22
	v_subrev_u32_e32 v22, 28, v25
	v_lshlrev_b64 v[22:23], v22, v[14:15]
	v_lshrrev_b32_e32 v24, 3, v18
	v_sub_u32_e32 v23, 29, v25
	v_and_b32_e32 v22, 7, v22
	v_cmp_gt_u32_e32 vcc, 8, v18
	v_cndmask_b32_e32 v18, v24, v23, vcc
	v_cndmask_b32_e32 v21, v21, v22, vcc
	v_lshlrev_b32_e32 v22, 24, v14
	v_bfrev_b32_e32 v23, 60
	v_lshlrev_b32_e32 v21, 20, v21
	v_and_b32_e32 v22, 0x80000000, v22
	v_lshl_add_u32 v18, v18, 23, v23
	v_or3_b32 v18, v22, v18, v21
	v_lshrrev_b32_e32 v21, 16, v18
.LBB853_403:
	s_or_b64 exec, exec, s[10:11]
.LBB853_404:
	s_or_b64 exec, exec, s[8:9]
.LBB853_405:
	s_or_b64 exec, exec, s[2:3]
	v_lshrrev_b16_e32 v18, 8, v14
	v_cmp_ne_u16_e32 vcc, 0, v18
	s_and_saveexec_b64 s[2:3], vcc
	s_cbranch_execz .LBB853_411
; %bb.406:
	s_movk_i32 s7, 0x80
	v_cmp_ne_u16_e32 vcc, s7, v18
	v_mov_b32_e32 v20, 0xffff8000
	s_and_saveexec_b64 s[8:9], vcc
	s_cbranch_execz .LBB853_410
; %bb.407:
	s_movk_i32 s7, 0x7f
	v_and_b32_e32 v22, 0x7f, v18
	v_cmp_ne_u32_e32 vcc, s7, v22
	v_mov_b32_e32 v20, 0x7f80
	s_and_saveexec_b64 s[10:11], vcc
	s_cbranch_execz .LBB853_409
; %bb.408:
	v_and_b32_e32 v20, 7, v18
	v_ffbh_u32_e32 v24, v20
	v_min_u32_e32 v26, 32, v24
	v_subrev_u32_e32 v24, 28, v26
	v_lshlrev_b64 v[24:25], v24, v[18:19]
	v_lshrrev_b32_e32 v23, 3, v22
	v_sub_u32_e32 v18, 29, v26
	v_and_b32_e32 v24, 7, v24
	v_cmp_gt_u32_e32 vcc, 8, v22
	v_cndmask_b32_e32 v18, v23, v18, vcc
	v_cndmask_b32_e32 v20, v20, v24, vcc
	v_lshlrev_b32_e32 v22, 16, v14
	v_bfrev_b32_e32 v23, 60
	v_lshlrev_b32_e32 v20, 20, v20
	v_and_b32_e32 v22, 0x80000000, v22
	v_lshl_add_u32 v18, v18, 23, v23
	v_or3_b32 v18, v22, v18, v20
	v_lshrrev_b32_e32 v20, 16, v18
.LBB853_409:
	s_or_b64 exec, exec, s[10:11]
.LBB853_410:
	s_or_b64 exec, exec, s[8:9]
.LBB853_411:
	s_or_b64 exec, exec, s[2:3]
	s_movk_i32 s2, 0xff
	v_and_b32_sdwa v24, v14, s2 dst_sel:DWORD dst_unused:UNUSED_PAD src0_sel:WORD_1 src1_sel:DWORD
	v_lshrrev_b32_e32 v18, 16, v14
	v_cmp_ne_u16_e32 vcc, 0, v24
	v_mov_b32_e32 v22, 0
	v_mov_b32_e32 v23, 0
	s_and_saveexec_b64 s[2:3], vcc
	s_cbranch_execz .LBB853_417
; %bb.412:
	s_movk_i32 s7, 0x80
	v_cmp_ne_u16_e32 vcc, s7, v24
	v_mov_b32_e32 v23, 0xffff8000
	s_and_saveexec_b64 s[8:9], vcc
	s_cbranch_execz .LBB853_416
; %bb.413:
	v_bfe_u32 v24, v14, 16, 7
	s_movk_i32 s7, 0x7f
	v_cmp_ne_u32_e32 vcc, s7, v24
	v_mov_b32_e32 v23, 0x7f80
	s_and_saveexec_b64 s[10:11], vcc
	s_cbranch_execz .LBB853_415
; %bb.414:
	v_and_b32_e32 v23, 7, v18
	v_ffbh_u32_e32 v26, v23
	v_min_u32_e32 v29, 32, v26
	v_subrev_u32_e32 v26, 28, v29
	v_lshlrev_b64 v[26:27], v26, v[18:19]
	v_lshrrev_b32_e32 v25, 3, v24
	v_sub_u32_e32 v18, 29, v29
	v_and_b32_e32 v26, 7, v26
	v_cmp_gt_u32_e32 vcc, 8, v24
	v_mov_b32_e32 v24, 24
	v_cndmask_b32_e32 v18, v25, v18, vcc
	v_cndmask_b32_e32 v23, v23, v26, vcc
	v_lshlrev_b32_sdwa v24, v24, v14 dst_sel:DWORD dst_unused:UNUSED_PAD src0_sel:DWORD src1_sel:WORD_1
	v_bfrev_b32_e32 v25, 60
	v_lshlrev_b32_e32 v23, 20, v23
	v_and_b32_e32 v24, 0x80000000, v24
	v_lshl_add_u32 v18, v18, 23, v25
	v_or3_b32 v18, v24, v18, v23
	v_lshrrev_b32_e32 v23, 16, v18
.LBB853_415:
	s_or_b64 exec, exec, s[10:11]
.LBB853_416:
	s_or_b64 exec, exec, s[8:9]
.LBB853_417:
	s_or_b64 exec, exec, s[2:3]
	s_mov_b32 s2, 0xffffff
	v_cmp_lt_u32_e32 vcc, s2, v14
	s_and_saveexec_b64 s[2:3], vcc
	s_cbranch_execz .LBB853_423
; %bb.418:
	v_lshrrev_b32_e32 v18, 24, v14
	s_movk_i32 s7, 0x80
	v_cmp_ne_u32_e32 vcc, s7, v18
	v_mov_b32_e32 v22, 0xffff8000
	s_and_saveexec_b64 s[8:9], vcc
	s_cbranch_execz .LBB853_422
; %bb.419:
	v_bfe_u32 v14, v14, 24, 7
	s_movk_i32 s7, 0x7f
	v_cmp_ne_u32_e32 vcc, s7, v14
	v_mov_b32_e32 v22, 0x7f80
	s_and_saveexec_b64 s[10:11], vcc
	s_cbranch_execz .LBB853_421
; %bb.420:
	v_and_b32_e32 v22, 7, v18
	v_ffbh_u32_e32 v24, v22
	v_min_u32_e32 v27, 32, v24
	v_subrev_u32_e32 v24, 28, v27
	v_lshlrev_b64 v[24:25], v24, v[18:19]
	v_lshrrev_b32_e32 v26, 3, v14
	v_sub_u32_e32 v25, 29, v27
	v_and_b32_e32 v24, 7, v24
	v_cmp_gt_u32_e32 vcc, 8, v14
	v_cndmask_b32_e32 v14, v26, v25, vcc
	v_cndmask_b32_e32 v22, v22, v24, vcc
	v_lshlrev_b32_e32 v18, 24, v18
	v_bfrev_b32_e32 v24, 60
	v_lshlrev_b32_e32 v22, 20, v22
	v_and_b32_e32 v18, 0x80000000, v18
	v_lshl_add_u32 v14, v14, 23, v24
	v_or3_b32 v14, v18, v14, v22
	v_lshrrev_b32_e32 v22, 16, v14
.LBB853_421:
	s_or_b64 exec, exec, s[10:11]
.LBB853_422:
	s_or_b64 exec, exec, s[8:9]
.LBB853_423:
	s_or_b64 exec, exec, s[2:3]
	v_mov_b32_e32 v18, 0
	v_cmp_ne_u16_sdwa s[8:9], v15, v18 src0_sel:BYTE_0 src1_sel:DWORD
	v_mov_b32_e32 v24, 0
	s_and_saveexec_b64 s[2:3], s[8:9]
	s_cbranch_execz .LBB853_429
; %bb.424:
	s_movk_i32 s7, 0x80
	v_cmp_ne_u16_sdwa s[10:11], v15, s7 src0_sel:BYTE_0 src1_sel:DWORD
	v_mov_b32_e32 v24, 0xffff8000
	s_and_saveexec_b64 s[8:9], s[10:11]
	s_cbranch_execz .LBB853_428
; %bb.425:
	s_movk_i32 s7, 0x7f
	v_and_b32_e32 v14, 0x7f, v15
	v_cmp_ne_u32_e32 vcc, s7, v14
	v_mov_b32_e32 v24, 0x7f80
	s_and_saveexec_b64 s[10:11], vcc
	s_cbranch_execz .LBB853_427
; %bb.426:
	v_and_b32_e32 v26, 7, v15
	v_ffbh_u32_e32 v25, v26
	v_min_u32_e32 v29, 32, v25
	v_mov_b32_e32 v24, v15
	v_subrev_u32_e32 v25, 28, v29
	v_lshlrev_b64 v[24:25], v25, v[24:25]
	v_lshrrev_b32_e32 v27, 3, v14
	v_sub_u32_e32 v25, 29, v29
	v_and_b32_e32 v24, 7, v24
	v_cmp_gt_u32_e32 vcc, 8, v14
	v_cndmask_b32_e32 v14, v27, v25, vcc
	v_cndmask_b32_e32 v24, v26, v24, vcc
	v_lshlrev_b32_e32 v25, 24, v15
	v_bfrev_b32_e32 v26, 60
	v_lshlrev_b32_e32 v24, 20, v24
	v_and_b32_e32 v25, 0x80000000, v25
	v_lshl_add_u32 v14, v14, 23, v26
	v_or3_b32 v14, v25, v14, v24
	v_lshrrev_b32_e32 v24, 16, v14
.LBB853_427:
	s_or_b64 exec, exec, s[10:11]
.LBB853_428:
	s_or_b64 exec, exec, s[8:9]
.LBB853_429:
	s_or_b64 exec, exec, s[2:3]
	v_lshrrev_b16_e32 v14, 8, v15
	v_cmp_ne_u16_e32 vcc, 0, v14
	s_and_saveexec_b64 s[2:3], vcc
	s_cbranch_execz .LBB853_435
; %bb.430:
	s_movk_i32 s7, 0x80
	v_cmp_ne_u16_e32 vcc, s7, v14
	v_mov_b32_e32 v18, 0xffff8000
	s_and_saveexec_b64 s[8:9], vcc
	s_cbranch_execz .LBB853_434
; %bb.431:
	s_movk_i32 s7, 0x7f
	v_and_b32_e32 v25, 0x7f, v14
	v_cmp_ne_u32_e32 vcc, s7, v25
	v_mov_b32_e32 v18, 0x7f80
	s_and_saveexec_b64 s[10:11], vcc
	s_cbranch_execz .LBB853_433
; %bb.432:
	v_and_b32_e32 v18, 7, v14
	v_ffbh_u32_e32 v26, v18
	v_min_u32_e32 v30, 32, v26
	v_subrev_u32_e32 v26, 28, v30
	v_lshlrev_b64 v[26:27], v26, v[14:15]
	v_lshrrev_b32_e32 v29, 3, v25
	v_sub_u32_e32 v14, 29, v30
	v_and_b32_e32 v26, 7, v26
	v_cmp_gt_u32_e32 vcc, 8, v25
	v_cndmask_b32_e32 v14, v29, v14, vcc
	v_cndmask_b32_e32 v18, v18, v26, vcc
	v_lshlrev_b32_e32 v25, 16, v15
	v_bfrev_b32_e32 v26, 60
	v_lshlrev_b32_e32 v18, 20, v18
	v_and_b32_e32 v25, 0x80000000, v25
	v_lshl_add_u32 v14, v14, 23, v26
	v_or3_b32 v14, v25, v14, v18
	v_lshrrev_b32_e32 v18, 16, v14
.LBB853_433:
	s_or_b64 exec, exec, s[10:11]
.LBB853_434:
	s_or_b64 exec, exec, s[8:9]
.LBB853_435:
	s_or_b64 exec, exec, s[2:3]
	s_movk_i32 s2, 0xff
	v_and_b32_sdwa v27, v15, s2 dst_sel:DWORD dst_unused:UNUSED_PAD src0_sel:WORD_1 src1_sel:DWORD
	v_lshrrev_b32_e32 v14, 16, v15
	v_cmp_ne_u16_e32 vcc, 0, v27
	v_mov_b32_e32 v25, 0
	v_mov_b32_e32 v26, 0
	s_and_saveexec_b64 s[2:3], vcc
	s_cbranch_execz .LBB853_441
; %bb.436:
	s_movk_i32 s7, 0x80
	v_cmp_ne_u16_e32 vcc, s7, v27
	v_mov_b32_e32 v26, 0xffff8000
	s_and_saveexec_b64 s[8:9], vcc
	s_cbranch_execz .LBB853_440
; %bb.437:
	v_bfe_u32 v27, v15, 16, 7
	s_movk_i32 s7, 0x7f
	v_cmp_ne_u32_e32 vcc, s7, v27
	v_mov_b32_e32 v26, 0x7f80
	s_and_saveexec_b64 s[10:11], vcc
	s_cbranch_execz .LBB853_439
; %bb.438:
	v_and_b32_e32 v26, 7, v14
	v_ffbh_u32_e32 v30, v26
	v_min_u32_e32 v32, 32, v30
	v_subrev_u32_e32 v30, 28, v32
	v_lshlrev_b64 v[30:31], v30, v[14:15]
	v_lshrrev_b32_e32 v29, 3, v27
	v_sub_u32_e32 v14, 29, v32
	v_and_b32_e32 v30, 7, v30
	v_cmp_gt_u32_e32 vcc, 8, v27
	v_mov_b32_e32 v27, 24
	v_cndmask_b32_e32 v14, v29, v14, vcc
	v_cndmask_b32_e32 v26, v26, v30, vcc
	v_lshlrev_b32_sdwa v27, v27, v15 dst_sel:DWORD dst_unused:UNUSED_PAD src0_sel:DWORD src1_sel:WORD_1
	v_bfrev_b32_e32 v29, 60
	v_lshlrev_b32_e32 v26, 20, v26
	v_and_b32_e32 v27, 0x80000000, v27
	v_lshl_add_u32 v14, v14, 23, v29
	v_or3_b32 v14, v27, v14, v26
	v_lshrrev_b32_e32 v26, 16, v14
.LBB853_439:
	s_or_b64 exec, exec, s[10:11]
.LBB853_440:
	s_or_b64 exec, exec, s[8:9]
.LBB853_441:
	s_or_b64 exec, exec, s[2:3]
	s_mov_b32 s2, 0xffffff
	v_cmp_lt_u32_e32 vcc, s2, v15
	s_and_saveexec_b64 s[2:3], vcc
	s_cbranch_execz .LBB853_447
; %bb.442:
	v_lshrrev_b32_e32 v14, 24, v15
	s_movk_i32 s7, 0x80
	v_cmp_ne_u32_e32 vcc, s7, v14
	v_mov_b32_e32 v25, 0xffff8000
	s_and_saveexec_b64 s[8:9], vcc
	s_cbranch_execz .LBB853_446
; %bb.443:
	v_bfe_u32 v15, v15, 24, 7
	s_movk_i32 s7, 0x7f
	v_cmp_ne_u32_e32 vcc, s7, v15
	v_mov_b32_e32 v25, 0x7f80
	s_and_saveexec_b64 s[10:11], vcc
	s_cbranch_execz .LBB853_445
; %bb.444:
	v_and_b32_e32 v25, 7, v14
	v_ffbh_u32_e32 v29, v25
	v_min_u32_e32 v29, 32, v29
	v_subrev_u32_e32 v30, 28, v29
	v_lshlrev_b64 v[30:31], v30, v[14:15]
	v_lshrrev_b32_e32 v27, 3, v15
	v_sub_u32_e32 v29, 29, v29
	v_and_b32_e32 v30, 7, v30
	v_cmp_gt_u32_e32 vcc, 8, v15
	v_cndmask_b32_e32 v15, v27, v29, vcc
	v_cndmask_b32_e32 v25, v25, v30, vcc
	v_lshlrev_b32_e32 v14, 24, v14
	v_bfrev_b32_e32 v27, 60
	v_lshlrev_b32_e32 v25, 20, v25
	v_and_b32_e32 v14, 0x80000000, v14
	v_lshl_add_u32 v15, v15, 23, v27
	v_or3_b32 v14, v14, v15, v25
	v_lshrrev_b32_e32 v25, 16, v14
.LBB853_445:
	s_or_b64 exec, exec, s[10:11]
.LBB853_446:
	s_or_b64 exec, exec, s[8:9]
.LBB853_447:
	s_or_b64 exec, exec, s[2:3]
	s_mov_b32 s2, 0x5040100
	v_perm_b32 v15, v22, v23, s2
	v_lshl_or_b32 v22, v1, 9, v19
	v_perm_b32 v14, v20, v21, s2
	ds_read_b128 v[30:33], v22
	v_perm_b32 v19, v25, v26, s2
	v_perm_b32 v18, v18, v24, s2
	s_waitcnt lgkmcnt(0)
	v_mfma_f32_16x16x16bf16_1k v[34:37], v[14:15], v[30:31], 0
	v_mov_b32_e32 v15, 0
	v_cmp_ne_u16_sdwa s[8:9], v16, v15 src0_sel:BYTE_0 src1_sel:DWORD
	v_mov_b32_e32 v23, 0
	v_mfma_f32_16x16x16bf16_1k v[18:21], v[18:19], v[32:33], v[34:37]
	s_and_saveexec_b64 s[2:3], s[8:9]
	s_cbranch_execz .LBB853_453
; %bb.448:
	s_movk_i32 s7, 0x80
	v_cmp_ne_u16_sdwa s[10:11], v16, s7 src0_sel:BYTE_0 src1_sel:DWORD
	v_mov_b32_e32 v23, 0xffff8000
	s_and_saveexec_b64 s[8:9], s[10:11]
	s_cbranch_execz .LBB853_452
; %bb.449:
	s_movk_i32 s7, 0x7f
	v_and_b32_e32 v14, 0x7f, v16
	v_cmp_ne_u32_e32 vcc, s7, v14
	v_mov_b32_e32 v23, 0x7f80
	s_and_saveexec_b64 s[10:11], vcc
	s_cbranch_execz .LBB853_451
; %bb.450:
	v_and_b32_e32 v23, 7, v16
	v_ffbh_u32_e32 v24, v23
	v_min_u32_e32 v27, 32, v24
	v_subrev_u32_e32 v24, 28, v27
	v_lshlrev_b64 v[24:25], v24, v[16:17]
	v_lshrrev_b32_e32 v26, 3, v14
	v_sub_u32_e32 v25, 29, v27
	v_and_b32_e32 v24, 7, v24
	v_cmp_gt_u32_e32 vcc, 8, v14
	v_cndmask_b32_e32 v14, v26, v25, vcc
	v_cndmask_b32_e32 v23, v23, v24, vcc
	v_lshlrev_b32_e32 v24, 24, v16
	v_bfrev_b32_e32 v25, 60
	v_lshlrev_b32_e32 v23, 20, v23
	v_and_b32_e32 v24, 0x80000000, v24
	v_lshl_add_u32 v14, v14, 23, v25
	v_or3_b32 v14, v24, v14, v23
	v_lshrrev_b32_e32 v23, 16, v14
.LBB853_451:
	s_or_b64 exec, exec, s[10:11]
.LBB853_452:
	s_or_b64 exec, exec, s[8:9]
.LBB853_453:
	s_or_b64 exec, exec, s[2:3]
	v_lshrrev_b16_e32 v14, 8, v16
	v_cmp_ne_u16_e32 vcc, 0, v14
	s_and_saveexec_b64 s[2:3], vcc
	s_cbranch_execz .LBB853_459
; %bb.454:
	s_movk_i32 s7, 0x80
	v_cmp_ne_u16_e32 vcc, s7, v14
	v_mov_b32_e32 v15, 0xffff8000
	s_and_saveexec_b64 s[8:9], vcc
	s_cbranch_execz .LBB853_458
; %bb.455:
	s_movk_i32 s7, 0x7f
	v_and_b32_e32 v24, 0x7f, v14
	v_cmp_ne_u32_e32 vcc, s7, v24
	v_mov_b32_e32 v15, 0x7f80
	s_and_saveexec_b64 s[10:11], vcc
	s_cbranch_execz .LBB853_457
; %bb.456:
	v_and_b32_e32 v25, 7, v14
	v_ffbh_u32_e32 v15, v25
	v_min_u32_e32 v27, 32, v15
	v_subrev_u32_e32 v15, 28, v27
	v_lshlrev_b64 v[14:15], v15, v[14:15]
	v_lshrrev_b32_e32 v26, 3, v24
	v_sub_u32_e32 v15, 29, v27
	v_and_b32_e32 v14, 7, v14
	v_cmp_gt_u32_e32 vcc, 8, v24
	v_cndmask_b32_e32 v15, v26, v15, vcc
	v_cndmask_b32_e32 v14, v25, v14, vcc
	v_lshlrev_b32_e32 v24, 16, v16
	v_bfrev_b32_e32 v25, 60
	v_lshlrev_b32_e32 v14, 20, v14
	v_and_b32_e32 v24, 0x80000000, v24
	v_lshl_add_u32 v15, v15, 23, v25
	v_or3_b32 v14, v24, v15, v14
	v_lshrrev_b32_e32 v15, 16, v14
.LBB853_457:
	s_or_b64 exec, exec, s[10:11]
.LBB853_458:
	s_or_b64 exec, exec, s[8:9]
.LBB853_459:
	s_or_b64 exec, exec, s[2:3]
	s_movk_i32 s2, 0xff
	v_and_b32_sdwa v26, v16, s2 dst_sel:DWORD dst_unused:UNUSED_PAD src0_sel:WORD_1 src1_sel:DWORD
	v_lshrrev_b32_e32 v14, 16, v16
	v_cmp_ne_u16_e32 vcc, 0, v26
	v_mov_b32_e32 v24, 0
	v_mov_b32_e32 v25, 0
	s_and_saveexec_b64 s[2:3], vcc
	s_cbranch_execz .LBB853_465
; %bb.460:
	s_movk_i32 s7, 0x80
	v_cmp_ne_u16_e32 vcc, s7, v26
	v_mov_b32_e32 v25, 0xffff8000
	s_and_saveexec_b64 s[8:9], vcc
	s_cbranch_execz .LBB853_464
; %bb.461:
	v_bfe_u32 v26, v16, 16, 7
	s_movk_i32 s7, 0x7f
	v_cmp_ne_u32_e32 vcc, s7, v26
	v_mov_b32_e32 v25, 0x7f80
	s_and_saveexec_b64 s[10:11], vcc
	s_cbranch_execz .LBB853_463
; %bb.462:
	v_and_b32_e32 v25, 7, v14
	v_ffbh_u32_e32 v29, v25
	v_min_u32_e32 v29, 32, v29
	v_subrev_u32_e32 v30, 28, v29
	v_lshlrev_b64 v[30:31], v30, v[14:15]
	v_lshrrev_b32_e32 v27, 3, v26
	v_sub_u32_e32 v14, 29, v29
	v_and_b32_e32 v29, 7, v30
	v_cmp_gt_u32_e32 vcc, 8, v26
	v_mov_b32_e32 v26, 24
	v_cndmask_b32_e32 v14, v27, v14, vcc
	v_cndmask_b32_e32 v25, v25, v29, vcc
	v_lshlrev_b32_sdwa v26, v26, v16 dst_sel:DWORD dst_unused:UNUSED_PAD src0_sel:DWORD src1_sel:WORD_1
	v_bfrev_b32_e32 v27, 60
	v_lshlrev_b32_e32 v25, 20, v25
	v_and_b32_e32 v26, 0x80000000, v26
	v_lshl_add_u32 v14, v14, 23, v27
	v_or3_b32 v14, v26, v14, v25
	v_lshrrev_b32_e32 v25, 16, v14
.LBB853_463:
	s_or_b64 exec, exec, s[10:11]
.LBB853_464:
	s_or_b64 exec, exec, s[8:9]
.LBB853_465:
	s_or_b64 exec, exec, s[2:3]
	s_mov_b32 s2, 0xffffff
	v_cmp_lt_u32_e32 vcc, s2, v16
	s_and_saveexec_b64 s[2:3], vcc
	s_cbranch_execz .LBB853_471
; %bb.466:
	v_lshrrev_b32_e32 v14, 24, v16
	s_movk_i32 s7, 0x80
	v_cmp_ne_u32_e32 vcc, s7, v14
	v_mov_b32_e32 v24, 0xffff8000
	s_and_saveexec_b64 s[8:9], vcc
	s_cbranch_execz .LBB853_470
; %bb.467:
	v_bfe_u32 v16, v16, 24, 7
	s_movk_i32 s7, 0x7f
	v_cmp_ne_u32_e32 vcc, s7, v16
	v_mov_b32_e32 v24, 0x7f80
	s_and_saveexec_b64 s[10:11], vcc
	s_cbranch_execz .LBB853_469
; %bb.468:
	v_and_b32_e32 v24, 7, v14
	v_ffbh_u32_e32 v26, v24
	v_min_u32_e32 v30, 32, v26
	v_subrev_u32_e32 v26, 28, v30
	v_lshlrev_b64 v[26:27], v26, v[14:15]
	v_lshrrev_b32_e32 v29, 3, v16
	v_sub_u32_e32 v27, 29, v30
	v_and_b32_e32 v26, 7, v26
	v_cmp_gt_u32_e32 vcc, 8, v16
	v_cndmask_b32_e32 v16, v29, v27, vcc
	v_cndmask_b32_e32 v24, v24, v26, vcc
	v_lshlrev_b32_e32 v14, 24, v14
	v_bfrev_b32_e32 v26, 60
	v_lshlrev_b32_e32 v24, 20, v24
	v_and_b32_e32 v14, 0x80000000, v14
	v_lshl_add_u32 v16, v16, 23, v26
	v_or3_b32 v14, v14, v16, v24
	v_lshrrev_b32_e32 v24, 16, v14
.LBB853_469:
	s_or_b64 exec, exec, s[10:11]
.LBB853_470:
	s_or_b64 exec, exec, s[8:9]
.LBB853_471:
	s_or_b64 exec, exec, s[2:3]
	v_mov_b32_e32 v16, 0
	v_cmp_ne_u16_sdwa s[8:9], v17, v16 src0_sel:BYTE_0 src1_sel:DWORD
	v_mov_b32_e32 v26, 0
	s_and_saveexec_b64 s[2:3], s[8:9]
	s_cbranch_execz .LBB853_477
; %bb.472:
	s_movk_i32 s7, 0x80
	v_cmp_ne_u16_sdwa s[10:11], v17, s7 src0_sel:BYTE_0 src1_sel:DWORD
	v_mov_b32_e32 v26, 0xffff8000
	s_and_saveexec_b64 s[8:9], s[10:11]
	s_cbranch_execz .LBB853_476
; %bb.473:
	s_movk_i32 s7, 0x7f
	v_and_b32_e32 v14, 0x7f, v17
	v_cmp_ne_u32_e32 vcc, s7, v14
	v_mov_b32_e32 v26, 0x7f80
	s_and_saveexec_b64 s[10:11], vcc
	s_cbranch_execz .LBB853_475
; %bb.474:
	v_and_b32_e32 v29, 7, v17
	v_ffbh_u32_e32 v27, v29
	v_min_u32_e32 v31, 32, v27
	v_mov_b32_e32 v26, v17
	v_subrev_u32_e32 v27, 28, v31
	v_lshlrev_b64 v[26:27], v27, v[26:27]
	v_lshrrev_b32_e32 v30, 3, v14
	v_sub_u32_e32 v27, 29, v31
	v_and_b32_e32 v26, 7, v26
	v_cmp_gt_u32_e32 vcc, 8, v14
	v_cndmask_b32_e32 v14, v30, v27, vcc
	v_cndmask_b32_e32 v26, v29, v26, vcc
	v_lshlrev_b32_e32 v27, 24, v17
	v_bfrev_b32_e32 v29, 60
	v_lshlrev_b32_e32 v26, 20, v26
	v_and_b32_e32 v27, 0x80000000, v27
	v_lshl_add_u32 v14, v14, 23, v29
	v_or3_b32 v14, v27, v14, v26
	v_lshrrev_b32_e32 v26, 16, v14
.LBB853_475:
	s_or_b64 exec, exec, s[10:11]
.LBB853_476:
	s_or_b64 exec, exec, s[8:9]
.LBB853_477:
	s_or_b64 exec, exec, s[2:3]
	v_lshrrev_b16_e32 v14, 8, v17
	v_cmp_ne_u16_e32 vcc, 0, v14
	s_and_saveexec_b64 s[2:3], vcc
	s_cbranch_execz .LBB853_483
; %bb.478:
	s_movk_i32 s7, 0x80
	v_cmp_ne_u16_e32 vcc, s7, v14
	v_mov_b32_e32 v16, 0xffff8000
	s_and_saveexec_b64 s[8:9], vcc
	s_cbranch_execz .LBB853_482
; %bb.479:
	s_movk_i32 s7, 0x7f
	v_and_b32_e32 v27, 0x7f, v14
	v_cmp_ne_u32_e32 vcc, s7, v27
	v_mov_b32_e32 v16, 0x7f80
	s_and_saveexec_b64 s[10:11], vcc
	s_cbranch_execz .LBB853_481
; %bb.480:
	v_and_b32_e32 v16, 7, v14
	v_ffbh_u32_e32 v30, v16
	v_min_u32_e32 v32, 32, v30
	v_subrev_u32_e32 v30, 28, v32
	v_lshlrev_b64 v[30:31], v30, v[14:15]
	v_lshrrev_b32_e32 v29, 3, v27
	v_sub_u32_e32 v14, 29, v32
	v_and_b32_e32 v30, 7, v30
	v_cmp_gt_u32_e32 vcc, 8, v27
	v_cndmask_b32_e32 v14, v29, v14, vcc
	v_cndmask_b32_e32 v16, v16, v30, vcc
	v_lshlrev_b32_e32 v27, 16, v17
	v_bfrev_b32_e32 v29, 60
	v_lshlrev_b32_e32 v16, 20, v16
	v_and_b32_e32 v27, 0x80000000, v27
	v_lshl_add_u32 v14, v14, 23, v29
	v_or3_b32 v14, v27, v14, v16
	v_lshrrev_b32_e32 v16, 16, v14
.LBB853_481:
	s_or_b64 exec, exec, s[10:11]
.LBB853_482:
	s_or_b64 exec, exec, s[8:9]
.LBB853_483:
	s_or_b64 exec, exec, s[2:3]
	s_movk_i32 s2, 0xff
	v_and_b32_sdwa v30, v17, s2 dst_sel:DWORD dst_unused:UNUSED_PAD src0_sel:WORD_1 src1_sel:DWORD
	v_lshrrev_b32_e32 v14, 16, v17
	v_cmp_ne_u16_e32 vcc, 0, v30
	v_mov_b32_e32 v27, 0
	v_mov_b32_e32 v29, 0
	s_and_saveexec_b64 s[2:3], vcc
	s_cbranch_execz .LBB853_489
; %bb.484:
	s_movk_i32 s7, 0x80
	v_cmp_ne_u16_e32 vcc, s7, v30
	v_mov_b32_e32 v29, 0xffff8000
	s_and_saveexec_b64 s[8:9], vcc
	s_cbranch_execz .LBB853_488
; %bb.485:
	v_bfe_u32 v30, v17, 16, 7
	s_movk_i32 s7, 0x7f
	v_cmp_ne_u32_e32 vcc, s7, v30
	v_mov_b32_e32 v29, 0x7f80
	s_and_saveexec_b64 s[10:11], vcc
	s_cbranch_execz .LBB853_487
; %bb.486:
	v_and_b32_e32 v29, 7, v14
	v_ffbh_u32_e32 v32, v29
	v_min_u32_e32 v34, 32, v32
	v_subrev_u32_e32 v32, 28, v34
	v_lshlrev_b64 v[32:33], v32, v[14:15]
	v_lshrrev_b32_e32 v31, 3, v30
	v_sub_u32_e32 v14, 29, v34
	v_and_b32_e32 v32, 7, v32
	v_cmp_gt_u32_e32 vcc, 8, v30
	v_mov_b32_e32 v30, 24
	v_cndmask_b32_e32 v14, v31, v14, vcc
	v_cndmask_b32_e32 v29, v29, v32, vcc
	v_lshlrev_b32_sdwa v30, v30, v17 dst_sel:DWORD dst_unused:UNUSED_PAD src0_sel:DWORD src1_sel:WORD_1
	v_bfrev_b32_e32 v31, 60
	v_lshlrev_b32_e32 v29, 20, v29
	v_and_b32_e32 v30, 0x80000000, v30
	v_lshl_add_u32 v14, v14, 23, v31
	v_or3_b32 v14, v30, v14, v29
	v_lshrrev_b32_e32 v29, 16, v14
.LBB853_487:
	s_or_b64 exec, exec, s[10:11]
.LBB853_488:
	s_or_b64 exec, exec, s[8:9]
.LBB853_489:
	s_or_b64 exec, exec, s[2:3]
	s_mov_b32 s2, 0xffffff
	v_cmp_lt_u32_e32 vcc, s2, v17
	s_and_saveexec_b64 s[2:3], vcc
	s_cbranch_execz .LBB853_495
; %bb.490:
	v_lshrrev_b32_e32 v14, 24, v17
	s_movk_i32 s7, 0x80
	v_cmp_ne_u32_e32 vcc, s7, v14
	v_mov_b32_e32 v27, 0xffff8000
	s_and_saveexec_b64 s[8:9], vcc
	s_cbranch_execz .LBB853_494
; %bb.491:
	v_bfe_u32 v17, v17, 24, 7
	s_movk_i32 s7, 0x7f
	v_cmp_ne_u32_e32 vcc, s7, v17
	v_mov_b32_e32 v27, 0x7f80
	s_and_saveexec_b64 s[10:11], vcc
	s_cbranch_execz .LBB853_493
; %bb.492:
	v_and_b32_e32 v27, 7, v14
	v_ffbh_u32_e32 v30, v27
	v_min_u32_e32 v33, 32, v30
	v_subrev_u32_e32 v30, 28, v33
	v_lshlrev_b64 v[30:31], v30, v[14:15]
	v_lshrrev_b32_e32 v32, 3, v17
	v_sub_u32_e32 v31, 29, v33
	v_and_b32_e32 v30, 7, v30
	v_cmp_gt_u32_e32 vcc, 8, v17
	v_cndmask_b32_e32 v17, v32, v31, vcc
	v_cndmask_b32_e32 v27, v27, v30, vcc
	v_lshlrev_b32_e32 v14, 24, v14
	v_bfrev_b32_e32 v30, 60
	v_lshlrev_b32_e32 v27, 20, v27
	v_and_b32_e32 v14, 0x80000000, v14
	v_lshl_add_u32 v17, v17, 23, v30
	v_or3_b32 v14, v14, v17, v27
	v_lshrrev_b32_e32 v27, 16, v14
.LBB853_493:
	s_or_b64 exec, exec, s[10:11]
.LBB853_494:
	s_or_b64 exec, exec, s[8:9]
.LBB853_495:
	s_or_b64 exec, exec, s[2:3]
	s_mov_b32 s2, 0x5040100
	v_perm_b32 v25, v24, v25, s2
	v_perm_b32 v24, v15, v23, s2
	ds_read_b128 v[30:33], v22 offset:16
	v_perm_b32 v15, v27, v29, s2
	v_perm_b32 v14, v16, v26, s2
	s_waitcnt lgkmcnt(0)
	v_mfma_f32_16x16x16bf16_1k v[34:37], v[24:25], v[30:31], v[18:21]
	s_nop 6
	v_mov_b32_e32 v19, 0
	s_waitcnt vmcnt(2)
	v_cmp_ne_u16_sdwa s[8:9], v10, v19 src0_sel:BYTE_0 src1_sel:DWORD
	v_mfma_f32_16x16x16bf16_1k v[14:17], v[14:15], v[32:33], v[34:37]
	v_mov_b32_e32 v20, 0
	s_and_saveexec_b64 s[2:3], s[8:9]
	s_cbranch_execz .LBB853_501
; %bb.496:
	s_movk_i32 s7, 0x80
	v_cmp_ne_u16_sdwa s[10:11], v10, s7 src0_sel:BYTE_0 src1_sel:DWORD
	v_mov_b32_e32 v20, 0xffff8000
	s_and_saveexec_b64 s[8:9], s[10:11]
	s_cbranch_execz .LBB853_500
; %bb.497:
	s_movk_i32 s7, 0x7f
	v_and_b32_e32 v18, 0x7f, v10
	v_cmp_ne_u32_e32 vcc, s7, v18
	v_mov_b32_e32 v20, 0x7f80
	s_and_saveexec_b64 s[10:11], vcc
	s_cbranch_execz .LBB853_499
; %bb.498:
	v_and_b32_e32 v23, 7, v10
	v_ffbh_u32_e32 v20, v23
	v_min_u32_e32 v25, 32, v20
	v_subrev_u32_e32 v20, 28, v25
	v_lshlrev_b64 v[20:21], v20, v[10:11]
	v_lshrrev_b32_e32 v24, 3, v18
	v_sub_u32_e32 v21, 29, v25
	v_and_b32_e32 v20, 7, v20
	v_cmp_gt_u32_e32 vcc, 8, v18
	v_cndmask_b32_e32 v18, v24, v21, vcc
	v_cndmask_b32_e32 v20, v23, v20, vcc
	v_lshlrev_b32_e32 v21, 24, v10
	v_bfrev_b32_e32 v23, 60
	v_lshlrev_b32_e32 v20, 20, v20
	v_and_b32_e32 v21, 0x80000000, v21
	v_lshl_add_u32 v18, v18, 23, v23
	v_or3_b32 v18, v21, v18, v20
	v_lshrrev_b32_e32 v20, 16, v18
.LBB853_499:
	s_or_b64 exec, exec, s[10:11]
.LBB853_500:
	s_or_b64 exec, exec, s[8:9]
.LBB853_501:
	s_or_b64 exec, exec, s[2:3]
	v_lshrrev_b16_e32 v18, 8, v10
	v_cmp_ne_u16_e32 vcc, 0, v18
	s_and_saveexec_b64 s[2:3], vcc
	s_cbranch_execz .LBB853_507
; %bb.502:
	s_movk_i32 s7, 0x80
	v_cmp_ne_u16_e32 vcc, s7, v18
	v_mov_b32_e32 v19, 0xffff8000
	s_and_saveexec_b64 s[8:9], vcc
	s_cbranch_execz .LBB853_506
; %bb.503:
	s_movk_i32 s7, 0x7f
	v_and_b32_e32 v21, 0x7f, v18
	v_cmp_ne_u32_e32 vcc, s7, v21
	v_mov_b32_e32 v19, 0x7f80
	s_and_saveexec_b64 s[10:11], vcc
	s_cbranch_execz .LBB853_505
; %bb.504:
	v_and_b32_e32 v23, 7, v18
	v_ffbh_u32_e32 v19, v23
	v_min_u32_e32 v25, 32, v19
	v_subrev_u32_e32 v19, 28, v25
	v_lshlrev_b64 v[18:19], v19, v[18:19]
	v_lshrrev_b32_e32 v24, 3, v21
	v_sub_u32_e32 v19, 29, v25
	v_and_b32_e32 v18, 7, v18
	v_cmp_gt_u32_e32 vcc, 8, v21
	v_cndmask_b32_e32 v19, v24, v19, vcc
	v_cndmask_b32_e32 v18, v23, v18, vcc
	v_lshlrev_b32_e32 v21, 16, v10
	v_bfrev_b32_e32 v23, 60
	v_lshlrev_b32_e32 v18, 20, v18
	v_and_b32_e32 v21, 0x80000000, v21
	v_lshl_add_u32 v19, v19, 23, v23
	v_or3_b32 v18, v21, v19, v18
	v_lshrrev_b32_e32 v19, 16, v18
.LBB853_505:
	s_or_b64 exec, exec, s[10:11]
.LBB853_506:
	s_or_b64 exec, exec, s[8:9]
.LBB853_507:
	s_or_b64 exec, exec, s[2:3]
	s_movk_i32 s2, 0xff
	v_and_b32_sdwa v24, v10, s2 dst_sel:DWORD dst_unused:UNUSED_PAD src0_sel:WORD_1 src1_sel:DWORD
	v_lshrrev_b32_e32 v18, 16, v10
	v_cmp_ne_u16_e32 vcc, 0, v24
	v_mov_b32_e32 v21, 0
	v_mov_b32_e32 v23, 0
	s_and_saveexec_b64 s[2:3], vcc
	s_cbranch_execz .LBB853_513
; %bb.508:
	s_movk_i32 s7, 0x80
	v_cmp_ne_u16_e32 vcc, s7, v24
	v_mov_b32_e32 v23, 0xffff8000
	s_and_saveexec_b64 s[8:9], vcc
	s_cbranch_execz .LBB853_512
; %bb.509:
	v_bfe_u32 v24, v10, 16, 7
	s_movk_i32 s7, 0x7f
	v_cmp_ne_u32_e32 vcc, s7, v24
	v_mov_b32_e32 v23, 0x7f80
	s_and_saveexec_b64 s[10:11], vcc
	s_cbranch_execz .LBB853_511
; %bb.510:
	v_and_b32_e32 v23, 7, v18
	v_ffbh_u32_e32 v26, v23
	v_min_u32_e32 v29, 32, v26
	v_subrev_u32_e32 v26, 28, v29
	v_lshlrev_b64 v[26:27], v26, v[18:19]
	v_lshrrev_b32_e32 v25, 3, v24
	v_sub_u32_e32 v18, 29, v29
	v_and_b32_e32 v26, 7, v26
	v_cmp_gt_u32_e32 vcc, 8, v24
	v_mov_b32_e32 v24, 24
	v_cndmask_b32_e32 v18, v25, v18, vcc
	v_cndmask_b32_e32 v23, v23, v26, vcc
	v_lshlrev_b32_sdwa v24, v24, v10 dst_sel:DWORD dst_unused:UNUSED_PAD src0_sel:DWORD src1_sel:WORD_1
	v_bfrev_b32_e32 v25, 60
	v_lshlrev_b32_e32 v23, 20, v23
	v_and_b32_e32 v24, 0x80000000, v24
	v_lshl_add_u32 v18, v18, 23, v25
	v_or3_b32 v18, v24, v18, v23
	v_lshrrev_b32_e32 v23, 16, v18
.LBB853_511:
	s_or_b64 exec, exec, s[10:11]
.LBB853_512:
	s_or_b64 exec, exec, s[8:9]
.LBB853_513:
	s_or_b64 exec, exec, s[2:3]
	s_mov_b32 s2, 0xffffff
	v_cmp_lt_u32_e32 vcc, s2, v10
	s_and_saveexec_b64 s[2:3], vcc
	s_cbranch_execz .LBB853_519
; %bb.514:
	v_lshrrev_b32_e32 v18, 24, v10
	s_movk_i32 s7, 0x80
	v_cmp_ne_u32_e32 vcc, s7, v18
	v_mov_b32_e32 v21, 0xffff8000
	s_and_saveexec_b64 s[8:9], vcc
	s_cbranch_execz .LBB853_518
; %bb.515:
	v_bfe_u32 v10, v10, 24, 7
	s_movk_i32 s7, 0x7f
	v_cmp_ne_u32_e32 vcc, s7, v10
	v_mov_b32_e32 v21, 0x7f80
	s_and_saveexec_b64 s[10:11], vcc
	s_cbranch_execz .LBB853_517
; %bb.516:
	v_and_b32_e32 v21, 7, v18
	v_ffbh_u32_e32 v24, v21
	v_min_u32_e32 v27, 32, v24
	v_subrev_u32_e32 v24, 28, v27
	v_lshlrev_b64 v[24:25], v24, v[18:19]
	v_lshrrev_b32_e32 v26, 3, v10
	v_sub_u32_e32 v25, 29, v27
	v_and_b32_e32 v24, 7, v24
	v_cmp_gt_u32_e32 vcc, 8, v10
	v_cndmask_b32_e32 v10, v26, v25, vcc
	v_cndmask_b32_e32 v21, v21, v24, vcc
	v_lshlrev_b32_e32 v18, 24, v18
	v_bfrev_b32_e32 v24, 60
	v_lshlrev_b32_e32 v21, 20, v21
	v_and_b32_e32 v18, 0x80000000, v18
	v_lshl_add_u32 v10, v10, 23, v24
	v_or3_b32 v10, v18, v10, v21
	v_lshrrev_b32_e32 v21, 16, v10
.LBB853_517:
	s_or_b64 exec, exec, s[10:11]
.LBB853_518:
	s_or_b64 exec, exec, s[8:9]
.LBB853_519:
	s_or_b64 exec, exec, s[2:3]
	v_mov_b32_e32 v18, 0
	v_cmp_ne_u16_sdwa s[8:9], v11, v18 src0_sel:BYTE_0 src1_sel:DWORD
	v_mov_b32_e32 v24, 0
	s_and_saveexec_b64 s[2:3], s[8:9]
	s_cbranch_execz .LBB853_525
; %bb.520:
	s_movk_i32 s7, 0x80
	v_cmp_ne_u16_sdwa s[10:11], v11, s7 src0_sel:BYTE_0 src1_sel:DWORD
	v_mov_b32_e32 v24, 0xffff8000
	s_and_saveexec_b64 s[8:9], s[10:11]
	s_cbranch_execz .LBB853_524
; %bb.521:
	s_movk_i32 s7, 0x7f
	v_and_b32_e32 v10, 0x7f, v11
	v_cmp_ne_u32_e32 vcc, s7, v10
	v_mov_b32_e32 v24, 0x7f80
	s_and_saveexec_b64 s[10:11], vcc
	s_cbranch_execz .LBB853_523
; %bb.522:
	v_and_b32_e32 v26, 7, v11
	v_ffbh_u32_e32 v25, v26
	v_min_u32_e32 v29, 32, v25
	v_mov_b32_e32 v24, v11
	v_subrev_u32_e32 v25, 28, v29
	v_lshlrev_b64 v[24:25], v25, v[24:25]
	v_lshrrev_b32_e32 v27, 3, v10
	v_sub_u32_e32 v25, 29, v29
	v_and_b32_e32 v24, 7, v24
	v_cmp_gt_u32_e32 vcc, 8, v10
	v_cndmask_b32_e32 v10, v27, v25, vcc
	v_cndmask_b32_e32 v24, v26, v24, vcc
	v_lshlrev_b32_e32 v25, 24, v11
	v_bfrev_b32_e32 v26, 60
	v_lshlrev_b32_e32 v24, 20, v24
	v_and_b32_e32 v25, 0x80000000, v25
	v_lshl_add_u32 v10, v10, 23, v26
	v_or3_b32 v10, v25, v10, v24
	v_lshrrev_b32_e32 v24, 16, v10
.LBB853_523:
	s_or_b64 exec, exec, s[10:11]
.LBB853_524:
	s_or_b64 exec, exec, s[8:9]
.LBB853_525:
	s_or_b64 exec, exec, s[2:3]
	v_lshrrev_b16_e32 v10, 8, v11
	v_cmp_ne_u16_e32 vcc, 0, v10
	s_and_saveexec_b64 s[2:3], vcc
	s_cbranch_execz .LBB853_531
; %bb.526:
	s_movk_i32 s7, 0x80
	v_cmp_ne_u16_e32 vcc, s7, v10
	v_mov_b32_e32 v18, 0xffff8000
	s_and_saveexec_b64 s[8:9], vcc
	s_cbranch_execz .LBB853_530
; %bb.527:
	s_movk_i32 s7, 0x7f
	v_and_b32_e32 v25, 0x7f, v10
	v_cmp_ne_u32_e32 vcc, s7, v25
	v_mov_b32_e32 v18, 0x7f80
	s_and_saveexec_b64 s[10:11], vcc
	s_cbranch_execz .LBB853_529
; %bb.528:
	v_and_b32_e32 v18, 7, v10
	v_ffbh_u32_e32 v26, v18
	v_min_u32_e32 v30, 32, v26
	v_subrev_u32_e32 v26, 28, v30
	v_lshlrev_b64 v[26:27], v26, v[10:11]
	v_lshrrev_b32_e32 v29, 3, v25
	v_sub_u32_e32 v10, 29, v30
	v_and_b32_e32 v26, 7, v26
	v_cmp_gt_u32_e32 vcc, 8, v25
	v_cndmask_b32_e32 v10, v29, v10, vcc
	v_cndmask_b32_e32 v18, v18, v26, vcc
	v_lshlrev_b32_e32 v25, 16, v11
	v_bfrev_b32_e32 v26, 60
	v_lshlrev_b32_e32 v18, 20, v18
	v_and_b32_e32 v25, 0x80000000, v25
	v_lshl_add_u32 v10, v10, 23, v26
	v_or3_b32 v10, v25, v10, v18
	v_lshrrev_b32_e32 v18, 16, v10
.LBB853_529:
	s_or_b64 exec, exec, s[10:11]
.LBB853_530:
	s_or_b64 exec, exec, s[8:9]
.LBB853_531:
	s_or_b64 exec, exec, s[2:3]
	s_movk_i32 s2, 0xff
	v_and_b32_sdwa v27, v11, s2 dst_sel:DWORD dst_unused:UNUSED_PAD src0_sel:WORD_1 src1_sel:DWORD
	v_lshrrev_b32_e32 v10, 16, v11
	v_cmp_ne_u16_e32 vcc, 0, v27
	v_mov_b32_e32 v25, 0
	v_mov_b32_e32 v26, 0
	s_and_saveexec_b64 s[2:3], vcc
	s_cbranch_execz .LBB853_537
; %bb.532:
	s_movk_i32 s7, 0x80
	v_cmp_ne_u16_e32 vcc, s7, v27
	v_mov_b32_e32 v26, 0xffff8000
	s_and_saveexec_b64 s[8:9], vcc
	s_cbranch_execz .LBB853_536
; %bb.533:
	v_bfe_u32 v27, v11, 16, 7
	s_movk_i32 s7, 0x7f
	v_cmp_ne_u32_e32 vcc, s7, v27
	v_mov_b32_e32 v26, 0x7f80
	s_and_saveexec_b64 s[10:11], vcc
	s_cbranch_execz .LBB853_535
; %bb.534:
	v_and_b32_e32 v26, 7, v10
	v_ffbh_u32_e32 v30, v26
	v_min_u32_e32 v32, 32, v30
	v_subrev_u32_e32 v30, 28, v32
	v_lshlrev_b64 v[30:31], v30, v[10:11]
	v_lshrrev_b32_e32 v29, 3, v27
	v_sub_u32_e32 v10, 29, v32
	v_and_b32_e32 v30, 7, v30
	v_cmp_gt_u32_e32 vcc, 8, v27
	v_mov_b32_e32 v27, 24
	v_cndmask_b32_e32 v10, v29, v10, vcc
	v_cndmask_b32_e32 v26, v26, v30, vcc
	v_lshlrev_b32_sdwa v27, v27, v11 dst_sel:DWORD dst_unused:UNUSED_PAD src0_sel:DWORD src1_sel:WORD_1
	v_bfrev_b32_e32 v29, 60
	v_lshlrev_b32_e32 v26, 20, v26
	v_and_b32_e32 v27, 0x80000000, v27
	v_lshl_add_u32 v10, v10, 23, v29
	v_or3_b32 v10, v27, v10, v26
	v_lshrrev_b32_e32 v26, 16, v10
.LBB853_535:
	s_or_b64 exec, exec, s[10:11]
.LBB853_536:
	s_or_b64 exec, exec, s[8:9]
.LBB853_537:
	s_or_b64 exec, exec, s[2:3]
	s_mov_b32 s2, 0xffffff
	v_cmp_lt_u32_e32 vcc, s2, v11
	s_and_saveexec_b64 s[2:3], vcc
	s_cbranch_execz .LBB853_543
; %bb.538:
	v_lshrrev_b32_e32 v10, 24, v11
	s_movk_i32 s7, 0x80
	v_cmp_ne_u32_e32 vcc, s7, v10
	v_mov_b32_e32 v25, 0xffff8000
	s_and_saveexec_b64 s[8:9], vcc
	s_cbranch_execz .LBB853_542
; %bb.539:
	v_bfe_u32 v11, v11, 24, 7
	s_movk_i32 s7, 0x7f
	v_cmp_ne_u32_e32 vcc, s7, v11
	v_mov_b32_e32 v25, 0x7f80
	s_and_saveexec_b64 s[10:11], vcc
	s_cbranch_execz .LBB853_541
; %bb.540:
	v_and_b32_e32 v25, 7, v10
	v_ffbh_u32_e32 v29, v25
	v_min_u32_e32 v29, 32, v29
	v_subrev_u32_e32 v30, 28, v29
	v_lshlrev_b64 v[30:31], v30, v[10:11]
	v_lshrrev_b32_e32 v27, 3, v11
	v_sub_u32_e32 v29, 29, v29
	v_and_b32_e32 v30, 7, v30
	v_cmp_gt_u32_e32 vcc, 8, v11
	v_cndmask_b32_e32 v11, v27, v29, vcc
	v_cndmask_b32_e32 v25, v25, v30, vcc
	v_lshlrev_b32_e32 v10, 24, v10
	v_bfrev_b32_e32 v27, 60
	v_lshlrev_b32_e32 v25, 20, v25
	v_and_b32_e32 v10, 0x80000000, v10
	v_lshl_add_u32 v11, v11, 23, v27
	v_or3_b32 v10, v10, v11, v25
	v_lshrrev_b32_e32 v25, 16, v10
.LBB853_541:
	s_or_b64 exec, exec, s[10:11]
.LBB853_542:
	s_or_b64 exec, exec, s[8:9]
.LBB853_543:
	s_or_b64 exec, exec, s[2:3]
	s_mov_b32 s2, 0x5040100
	v_perm_b32 v11, v21, v23, s2
	v_perm_b32 v10, v19, v20, s2
	ds_read_b128 v[30:33], v22 offset:2048
	v_perm_b32 v21, v25, v26, s2
	v_perm_b32 v20, v18, v24, s2
	s_waitcnt lgkmcnt(0)
	v_mfma_f32_16x16x16bf16_1k v[14:17], v[10:11], v[30:31], v[14:17]
	v_mov_b32_e32 v11, 0
	v_cmp_ne_u16_sdwa s[8:9], v12, v11 src0_sel:BYTE_0 src1_sel:DWORD
	v_mov_b32_e32 v18, 0
	v_mfma_f32_16x16x16bf16_1k v[14:17], v[20:21], v[32:33], v[14:17]
	s_and_saveexec_b64 s[2:3], s[8:9]
	s_cbranch_execz .LBB853_549
; %bb.544:
	s_movk_i32 s7, 0x80
	v_cmp_ne_u16_sdwa s[10:11], v12, s7 src0_sel:BYTE_0 src1_sel:DWORD
	v_mov_b32_e32 v18, 0xffff8000
	s_and_saveexec_b64 s[8:9], s[10:11]
	s_cbranch_execz .LBB853_548
; %bb.545:
	s_movk_i32 s7, 0x7f
	v_and_b32_e32 v10, 0x7f, v12
	v_cmp_ne_u32_e32 vcc, s7, v10
	v_mov_b32_e32 v18, 0x7f80
	s_and_saveexec_b64 s[10:11], vcc
	s_cbranch_execz .LBB853_547
; %bb.546:
	v_and_b32_e32 v20, 7, v12
	v_ffbh_u32_e32 v18, v20
	v_min_u32_e32 v23, 32, v18
	v_subrev_u32_e32 v18, 28, v23
	v_lshlrev_b64 v[18:19], v18, v[12:13]
	v_lshrrev_b32_e32 v21, 3, v10
	v_sub_u32_e32 v19, 29, v23
	v_and_b32_e32 v18, 7, v18
	v_cmp_gt_u32_e32 vcc, 8, v10
	v_cndmask_b32_e32 v10, v21, v19, vcc
	v_cndmask_b32_e32 v18, v20, v18, vcc
	v_lshlrev_b32_e32 v19, 24, v12
	v_bfrev_b32_e32 v20, 60
	v_lshlrev_b32_e32 v18, 20, v18
	v_and_b32_e32 v19, 0x80000000, v19
	v_lshl_add_u32 v10, v10, 23, v20
	v_or3_b32 v10, v19, v10, v18
	v_lshrrev_b32_e32 v18, 16, v10
.LBB853_547:
	s_or_b64 exec, exec, s[10:11]
.LBB853_548:
	s_or_b64 exec, exec, s[8:9]
.LBB853_549:
	s_or_b64 exec, exec, s[2:3]
	v_lshrrev_b16_e32 v10, 8, v12
	v_cmp_ne_u16_e32 vcc, 0, v10
	s_and_saveexec_b64 s[2:3], vcc
	s_cbranch_execz .LBB853_555
; %bb.550:
	s_movk_i32 s7, 0x80
	v_cmp_ne_u16_e32 vcc, s7, v10
	v_mov_b32_e32 v11, 0xffff8000
	s_and_saveexec_b64 s[8:9], vcc
	s_cbranch_execz .LBB853_554
; %bb.551:
	s_movk_i32 s7, 0x7f
	v_and_b32_e32 v19, 0x7f, v10
	v_cmp_ne_u32_e32 vcc, s7, v19
	v_mov_b32_e32 v11, 0x7f80
	s_and_saveexec_b64 s[10:11], vcc
	s_cbranch_execz .LBB853_553
; %bb.552:
	v_and_b32_e32 v20, 7, v10
	v_ffbh_u32_e32 v11, v20
	v_min_u32_e32 v23, 32, v11
	v_subrev_u32_e32 v11, 28, v23
	v_lshlrev_b64 v[10:11], v11, v[10:11]
	v_lshrrev_b32_e32 v21, 3, v19
	v_sub_u32_e32 v11, 29, v23
	v_and_b32_e32 v10, 7, v10
	v_cmp_gt_u32_e32 vcc, 8, v19
	v_cndmask_b32_e32 v11, v21, v11, vcc
	v_cndmask_b32_e32 v10, v20, v10, vcc
	v_lshlrev_b32_e32 v19, 16, v12
	v_bfrev_b32_e32 v20, 60
	v_lshlrev_b32_e32 v10, 20, v10
	v_and_b32_e32 v19, 0x80000000, v19
	v_lshl_add_u32 v11, v11, 23, v20
	v_or3_b32 v10, v19, v11, v10
	v_lshrrev_b32_e32 v11, 16, v10
.LBB853_553:
	s_or_b64 exec, exec, s[10:11]
.LBB853_554:
	s_or_b64 exec, exec, s[8:9]
.LBB853_555:
	s_or_b64 exec, exec, s[2:3]
	s_movk_i32 s2, 0xff
	v_and_b32_sdwa v21, v12, s2 dst_sel:DWORD dst_unused:UNUSED_PAD src0_sel:WORD_1 src1_sel:DWORD
	v_lshrrev_b32_e32 v10, 16, v12
	v_cmp_ne_u16_e32 vcc, 0, v21
	v_mov_b32_e32 v19, 0
	v_mov_b32_e32 v20, 0
	s_and_saveexec_b64 s[2:3], vcc
	s_cbranch_execz .LBB853_561
; %bb.556:
	s_movk_i32 s7, 0x80
	v_cmp_ne_u16_e32 vcc, s7, v21
	v_mov_b32_e32 v20, 0xffff8000
	s_and_saveexec_b64 s[8:9], vcc
	s_cbranch_execz .LBB853_560
; %bb.557:
	v_bfe_u32 v21, v12, 16, 7
	s_movk_i32 s7, 0x7f
	v_cmp_ne_u32_e32 vcc, s7, v21
	v_mov_b32_e32 v20, 0x7f80
	s_and_saveexec_b64 s[10:11], vcc
	s_cbranch_execz .LBB853_559
; %bb.558:
	v_and_b32_e32 v20, 7, v10
	v_ffbh_u32_e32 v24, v20
	v_min_u32_e32 v26, 32, v24
	v_subrev_u32_e32 v24, 28, v26
	v_lshlrev_b64 v[24:25], v24, v[10:11]
	v_lshrrev_b32_e32 v23, 3, v21
	v_sub_u32_e32 v10, 29, v26
	v_and_b32_e32 v24, 7, v24
	v_cmp_gt_u32_e32 vcc, 8, v21
	v_mov_b32_e32 v21, 24
	v_cndmask_b32_e32 v10, v23, v10, vcc
	v_cndmask_b32_e32 v20, v20, v24, vcc
	v_lshlrev_b32_sdwa v21, v21, v12 dst_sel:DWORD dst_unused:UNUSED_PAD src0_sel:DWORD src1_sel:WORD_1
	v_bfrev_b32_e32 v23, 60
	v_lshlrev_b32_e32 v20, 20, v20
	v_and_b32_e32 v21, 0x80000000, v21
	v_lshl_add_u32 v10, v10, 23, v23
	v_or3_b32 v10, v21, v10, v20
	v_lshrrev_b32_e32 v20, 16, v10
.LBB853_559:
	s_or_b64 exec, exec, s[10:11]
.LBB853_560:
	s_or_b64 exec, exec, s[8:9]
.LBB853_561:
	s_or_b64 exec, exec, s[2:3]
	s_mov_b32 s2, 0xffffff
	v_cmp_lt_u32_e32 vcc, s2, v12
	s_and_saveexec_b64 s[2:3], vcc
	s_cbranch_execz .LBB853_567
; %bb.562:
	v_lshrrev_b32_e32 v10, 24, v12
	s_movk_i32 s7, 0x80
	v_cmp_ne_u32_e32 vcc, s7, v10
	v_mov_b32_e32 v19, 0xffff8000
	s_and_saveexec_b64 s[8:9], vcc
	s_cbranch_execz .LBB853_566
; %bb.563:
	v_bfe_u32 v12, v12, 24, 7
	s_movk_i32 s7, 0x7f
	v_cmp_ne_u32_e32 vcc, s7, v12
	v_mov_b32_e32 v19, 0x7f80
	s_and_saveexec_b64 s[10:11], vcc
	s_cbranch_execz .LBB853_565
; %bb.564:
	v_and_b32_e32 v19, 7, v10
	v_ffbh_u32_e32 v23, v19
	v_min_u32_e32 v23, 32, v23
	v_subrev_u32_e32 v24, 28, v23
	v_lshlrev_b64 v[24:25], v24, v[10:11]
	v_lshrrev_b32_e32 v21, 3, v12
	v_sub_u32_e32 v23, 29, v23
	v_and_b32_e32 v24, 7, v24
	v_cmp_gt_u32_e32 vcc, 8, v12
	v_cndmask_b32_e32 v12, v21, v23, vcc
	v_cndmask_b32_e32 v19, v19, v24, vcc
	v_lshlrev_b32_e32 v10, 24, v10
	v_bfrev_b32_e32 v21, 60
	v_lshlrev_b32_e32 v19, 20, v19
	v_and_b32_e32 v10, 0x80000000, v10
	v_lshl_add_u32 v12, v12, 23, v21
	v_or3_b32 v10, v10, v12, v19
	v_lshrrev_b32_e32 v19, 16, v10
.LBB853_565:
	s_or_b64 exec, exec, s[10:11]
.LBB853_566:
	s_or_b64 exec, exec, s[8:9]
.LBB853_567:
	s_or_b64 exec, exec, s[2:3]
	v_mov_b32_e32 v12, 0
	v_cmp_ne_u16_sdwa s[8:9], v13, v12 src0_sel:BYTE_0 src1_sel:DWORD
	v_mov_b32_e32 v21, 0
	s_and_saveexec_b64 s[2:3], s[8:9]
	s_cbranch_execz .LBB853_573
; %bb.568:
	s_movk_i32 s7, 0x80
	v_cmp_ne_u16_sdwa s[10:11], v13, s7 src0_sel:BYTE_0 src1_sel:DWORD
	v_mov_b32_e32 v21, 0xffff8000
	s_and_saveexec_b64 s[8:9], s[10:11]
	s_cbranch_execz .LBB853_572
; %bb.569:
	s_movk_i32 s7, 0x7f
	v_and_b32_e32 v10, 0x7f, v13
	v_cmp_ne_u32_e32 vcc, s7, v10
	v_mov_b32_e32 v21, 0x7f80
	s_and_saveexec_b64 s[10:11], vcc
	s_cbranch_execz .LBB853_571
; %bb.570:
	v_and_b32_e32 v21, 7, v13
	v_ffbh_u32_e32 v25, v21
	v_min_u32_e32 v26, 32, v25
	v_mov_b32_e32 v24, v13
	v_subrev_u32_e32 v25, 28, v26
	v_lshlrev_b64 v[24:25], v25, v[24:25]
	v_lshrrev_b32_e32 v23, 3, v10
	v_sub_u32_e32 v25, 29, v26
	v_and_b32_e32 v24, 7, v24
	v_cmp_gt_u32_e32 vcc, 8, v10
	v_cndmask_b32_e32 v10, v23, v25, vcc
	v_cndmask_b32_e32 v21, v21, v24, vcc
	v_lshlrev_b32_e32 v23, 24, v13
	v_bfrev_b32_e32 v24, 60
	v_lshlrev_b32_e32 v21, 20, v21
	v_and_b32_e32 v23, 0x80000000, v23
	v_lshl_add_u32 v10, v10, 23, v24
	v_or3_b32 v10, v23, v10, v21
	v_lshrrev_b32_e32 v21, 16, v10
.LBB853_571:
	s_or_b64 exec, exec, s[10:11]
.LBB853_572:
	s_or_b64 exec, exec, s[8:9]
.LBB853_573:
	s_or_b64 exec, exec, s[2:3]
	v_lshrrev_b16_e32 v10, 8, v13
	v_cmp_ne_u16_e32 vcc, 0, v10
	s_and_saveexec_b64 s[2:3], vcc
	s_cbranch_execz .LBB853_579
; %bb.574:
	s_movk_i32 s7, 0x80
	v_cmp_ne_u16_e32 vcc, s7, v10
	v_mov_b32_e32 v12, 0xffff8000
	s_and_saveexec_b64 s[8:9], vcc
	s_cbranch_execz .LBB853_578
; %bb.575:
	s_movk_i32 s7, 0x7f
	v_and_b32_e32 v23, 0x7f, v10
	v_cmp_ne_u32_e32 vcc, s7, v23
	v_mov_b32_e32 v12, 0x7f80
	s_and_saveexec_b64 s[10:11], vcc
	s_cbranch_execz .LBB853_577
; %bb.576:
	v_and_b32_e32 v12, 7, v10
	v_ffbh_u32_e32 v24, v12
	v_min_u32_e32 v27, 32, v24
	v_subrev_u32_e32 v24, 28, v27
	v_lshlrev_b64 v[24:25], v24, v[10:11]
	v_lshrrev_b32_e32 v26, 3, v23
	v_sub_u32_e32 v10, 29, v27
	v_and_b32_e32 v24, 7, v24
	v_cmp_gt_u32_e32 vcc, 8, v23
	v_cndmask_b32_e32 v10, v26, v10, vcc
	v_cndmask_b32_e32 v12, v12, v24, vcc
	v_lshlrev_b32_e32 v23, 16, v13
	v_bfrev_b32_e32 v24, 60
	v_lshlrev_b32_e32 v12, 20, v12
	v_and_b32_e32 v23, 0x80000000, v23
	v_lshl_add_u32 v10, v10, 23, v24
	v_or3_b32 v10, v23, v10, v12
	v_lshrrev_b32_e32 v12, 16, v10
.LBB853_577:
	s_or_b64 exec, exec, s[10:11]
.LBB853_578:
	s_or_b64 exec, exec, s[8:9]
.LBB853_579:
	s_or_b64 exec, exec, s[2:3]
	s_movk_i32 s2, 0xff
	v_and_b32_sdwa v25, v13, s2 dst_sel:DWORD dst_unused:UNUSED_PAD src0_sel:WORD_1 src1_sel:DWORD
	v_lshrrev_b32_e32 v10, 16, v13
	v_cmp_ne_u16_e32 vcc, 0, v25
	v_mov_b32_e32 v23, 0
	v_mov_b32_e32 v24, 0
	s_and_saveexec_b64 s[2:3], vcc
	s_cbranch_execz .LBB853_585
; %bb.580:
	s_movk_i32 s7, 0x80
	v_cmp_ne_u16_e32 vcc, s7, v25
	v_mov_b32_e32 v24, 0xffff8000
	s_and_saveexec_b64 s[8:9], vcc
	s_cbranch_execz .LBB853_584
; %bb.581:
	v_bfe_u32 v25, v13, 16, 7
	s_movk_i32 s7, 0x7f
	v_cmp_ne_u32_e32 vcc, s7, v25
	v_mov_b32_e32 v24, 0x7f80
	s_and_saveexec_b64 s[10:11], vcc
	s_cbranch_execz .LBB853_583
; %bb.582:
	v_and_b32_e32 v24, 7, v10
	v_ffbh_u32_e32 v26, v24
	v_min_u32_e32 v30, 32, v26
	v_subrev_u32_e32 v26, 28, v30
	v_lshlrev_b64 v[26:27], v26, v[10:11]
	v_lshrrev_b32_e32 v29, 3, v25
	v_sub_u32_e32 v10, 29, v30
	v_and_b32_e32 v26, 7, v26
	v_cmp_gt_u32_e32 vcc, 8, v25
	v_mov_b32_e32 v25, 24
	v_cndmask_b32_e32 v10, v29, v10, vcc
	v_cndmask_b32_e32 v24, v24, v26, vcc
	v_lshlrev_b32_sdwa v25, v25, v13 dst_sel:DWORD dst_unused:UNUSED_PAD src0_sel:DWORD src1_sel:WORD_1
	v_bfrev_b32_e32 v26, 60
	v_lshlrev_b32_e32 v24, 20, v24
	v_and_b32_e32 v25, 0x80000000, v25
	v_lshl_add_u32 v10, v10, 23, v26
	v_or3_b32 v10, v25, v10, v24
	v_lshrrev_b32_e32 v24, 16, v10
.LBB853_583:
	s_or_b64 exec, exec, s[10:11]
.LBB853_584:
	s_or_b64 exec, exec, s[8:9]
.LBB853_585:
	s_or_b64 exec, exec, s[2:3]
	s_mov_b32 s2, 0xffffff
	v_cmp_lt_u32_e32 vcc, s2, v13
	s_and_saveexec_b64 s[2:3], vcc
	s_cbranch_execz .LBB853_591
; %bb.586:
	v_lshrrev_b32_e32 v10, 24, v13
	s_movk_i32 s7, 0x80
	v_cmp_ne_u32_e32 vcc, s7, v10
	v_mov_b32_e32 v23, 0xffff8000
	s_and_saveexec_b64 s[8:9], vcc
	s_cbranch_execz .LBB853_590
; %bb.587:
	v_bfe_u32 v13, v13, 24, 7
	s_movk_i32 s7, 0x7f
	v_cmp_ne_u32_e32 vcc, s7, v13
	v_mov_b32_e32 v23, 0x7f80
	s_and_saveexec_b64 s[10:11], vcc
	s_cbranch_execz .LBB853_589
; %bb.588:
	v_and_b32_e32 v23, 7, v10
	v_ffbh_u32_e32 v26, v23
	v_min_u32_e32 v29, 32, v26
	v_subrev_u32_e32 v26, 28, v29
	v_lshlrev_b64 v[26:27], v26, v[10:11]
	v_lshrrev_b32_e32 v25, 3, v13
	v_sub_u32_e32 v27, 29, v29
	v_and_b32_e32 v26, 7, v26
	v_cmp_gt_u32_e32 vcc, 8, v13
	v_cndmask_b32_e32 v13, v25, v27, vcc
	v_cndmask_b32_e32 v23, v23, v26, vcc
	v_lshlrev_b32_e32 v10, 24, v10
	v_bfrev_b32_e32 v25, 60
	v_lshlrev_b32_e32 v23, 20, v23
	v_and_b32_e32 v10, 0x80000000, v10
	v_lshl_add_u32 v13, v13, 23, v25
	v_or3_b32 v10, v10, v13, v23
	v_lshrrev_b32_e32 v23, 16, v10
.LBB853_589:
	s_or_b64 exec, exec, s[10:11]
.LBB853_590:
	s_or_b64 exec, exec, s[8:9]
.LBB853_591:
	s_or_b64 exec, exec, s[2:3]
	s_mov_b32 s2, 0x5040100
	v_perm_b32 v19, v19, v20, s2
	v_perm_b32 v18, v11, v18, s2
	ds_read_b128 v[30:33], v22 offset:2064
	v_perm_b32 v11, v23, v24, s2
	v_perm_b32 v10, v12, v21, s2
	s_waitcnt lgkmcnt(0)
	v_mfma_f32_16x16x16bf16_1k v[34:37], v[18:19], v[30:31], v[14:17]
	s_nop 6
	v_mov_b32_e32 v15, 0
	s_waitcnt vmcnt(1)
	v_cmp_ne_u16_sdwa s[8:9], v6, v15 src0_sel:BYTE_0 src1_sel:DWORD
	v_mfma_f32_16x16x16bf16_1k v[10:13], v[10:11], v[32:33], v[34:37]
	v_mov_b32_e32 v16, 0
	s_and_saveexec_b64 s[2:3], s[8:9]
	s_cbranch_execz .LBB853_597
; %bb.592:
	s_movk_i32 s7, 0x80
	v_cmp_ne_u16_sdwa s[10:11], v6, s7 src0_sel:BYTE_0 src1_sel:DWORD
	v_mov_b32_e32 v16, 0xffff8000
	s_and_saveexec_b64 s[8:9], s[10:11]
	s_cbranch_execz .LBB853_596
; %bb.593:
	s_movk_i32 s7, 0x7f
	v_and_b32_e32 v14, 0x7f, v6
	v_cmp_ne_u32_e32 vcc, s7, v14
	v_mov_b32_e32 v16, 0x7f80
	s_and_saveexec_b64 s[10:11], vcc
	s_cbranch_execz .LBB853_595
; %bb.594:
	v_and_b32_e32 v18, 7, v6
	v_ffbh_u32_e32 v16, v18
	v_min_u32_e32 v20, 32, v16
	v_subrev_u32_e32 v16, 28, v20
	v_lshlrev_b64 v[16:17], v16, v[6:7]
	v_lshrrev_b32_e32 v19, 3, v14
	v_sub_u32_e32 v17, 29, v20
	v_and_b32_e32 v16, 7, v16
	v_cmp_gt_u32_e32 vcc, 8, v14
	v_cndmask_b32_e32 v14, v19, v17, vcc
	v_cndmask_b32_e32 v16, v18, v16, vcc
	v_lshlrev_b32_e32 v17, 24, v6
	v_bfrev_b32_e32 v18, 60
	v_lshlrev_b32_e32 v16, 20, v16
	v_and_b32_e32 v17, 0x80000000, v17
	v_lshl_add_u32 v14, v14, 23, v18
	v_or3_b32 v14, v17, v14, v16
	v_lshrrev_b32_e32 v16, 16, v14
.LBB853_595:
	s_or_b64 exec, exec, s[10:11]
.LBB853_596:
	s_or_b64 exec, exec, s[8:9]
.LBB853_597:
	s_or_b64 exec, exec, s[2:3]
	v_lshrrev_b16_e32 v14, 8, v6
	v_cmp_ne_u16_e32 vcc, 0, v14
	s_and_saveexec_b64 s[2:3], vcc
	s_cbranch_execz .LBB853_603
; %bb.598:
	s_movk_i32 s7, 0x80
	v_cmp_ne_u16_e32 vcc, s7, v14
	v_mov_b32_e32 v15, 0xffff8000
	s_and_saveexec_b64 s[8:9], vcc
	s_cbranch_execz .LBB853_602
; %bb.599:
	s_movk_i32 s7, 0x7f
	v_and_b32_e32 v17, 0x7f, v14
	v_cmp_ne_u32_e32 vcc, s7, v17
	v_mov_b32_e32 v15, 0x7f80
	s_and_saveexec_b64 s[10:11], vcc
	s_cbranch_execz .LBB853_601
; %bb.600:
	v_and_b32_e32 v18, 7, v14
	v_ffbh_u32_e32 v15, v18
	v_min_u32_e32 v20, 32, v15
	v_subrev_u32_e32 v15, 28, v20
	v_lshlrev_b64 v[14:15], v15, v[14:15]
	v_lshrrev_b32_e32 v19, 3, v17
	v_sub_u32_e32 v15, 29, v20
	v_and_b32_e32 v14, 7, v14
	v_cmp_gt_u32_e32 vcc, 8, v17
	v_cndmask_b32_e32 v15, v19, v15, vcc
	v_cndmask_b32_e32 v14, v18, v14, vcc
	v_lshlrev_b32_e32 v17, 16, v6
	v_bfrev_b32_e32 v18, 60
	v_lshlrev_b32_e32 v14, 20, v14
	v_and_b32_e32 v17, 0x80000000, v17
	v_lshl_add_u32 v15, v15, 23, v18
	v_or3_b32 v14, v17, v15, v14
	v_lshrrev_b32_e32 v15, 16, v14
.LBB853_601:
	s_or_b64 exec, exec, s[10:11]
.LBB853_602:
	s_or_b64 exec, exec, s[8:9]
.LBB853_603:
	s_or_b64 exec, exec, s[2:3]
	s_movk_i32 s2, 0xff
	v_and_b32_sdwa v19, v6, s2 dst_sel:DWORD dst_unused:UNUSED_PAD src0_sel:WORD_1 src1_sel:DWORD
	v_lshrrev_b32_e32 v14, 16, v6
	v_cmp_ne_u16_e32 vcc, 0, v19
	v_mov_b32_e32 v17, 0
	v_mov_b32_e32 v18, 0
	s_and_saveexec_b64 s[2:3], vcc
	s_cbranch_execz .LBB853_609
; %bb.604:
	s_movk_i32 s7, 0x80
	v_cmp_ne_u16_e32 vcc, s7, v19
	v_mov_b32_e32 v18, 0xffff8000
	s_and_saveexec_b64 s[8:9], vcc
	s_cbranch_execz .LBB853_608
; %bb.605:
	v_bfe_u32 v19, v6, 16, 7
	s_movk_i32 s7, 0x7f
	v_cmp_ne_u32_e32 vcc, s7, v19
	v_mov_b32_e32 v18, 0x7f80
	s_and_saveexec_b64 s[10:11], vcc
	s_cbranch_execz .LBB853_607
; %bb.606:
	v_and_b32_e32 v18, 7, v14
	v_ffbh_u32_e32 v20, v18
	v_min_u32_e32 v24, 32, v20
	v_subrev_u32_e32 v20, 28, v24
	v_lshlrev_b64 v[20:21], v20, v[14:15]
	v_lshrrev_b32_e32 v23, 3, v19
	v_sub_u32_e32 v14, 29, v24
	v_and_b32_e32 v20, 7, v20
	v_cmp_gt_u32_e32 vcc, 8, v19
	v_mov_b32_e32 v19, 24
	v_cndmask_b32_e32 v14, v23, v14, vcc
	v_cndmask_b32_e32 v18, v18, v20, vcc
	v_lshlrev_b32_sdwa v19, v19, v6 dst_sel:DWORD dst_unused:UNUSED_PAD src0_sel:DWORD src1_sel:WORD_1
	v_bfrev_b32_e32 v20, 60
	v_lshlrev_b32_e32 v18, 20, v18
	v_and_b32_e32 v19, 0x80000000, v19
	v_lshl_add_u32 v14, v14, 23, v20
	v_or3_b32 v14, v19, v14, v18
	v_lshrrev_b32_e32 v18, 16, v14
.LBB853_607:
	s_or_b64 exec, exec, s[10:11]
.LBB853_608:
	s_or_b64 exec, exec, s[8:9]
.LBB853_609:
	s_or_b64 exec, exec, s[2:3]
	s_mov_b32 s2, 0xffffff
	v_cmp_lt_u32_e32 vcc, s2, v6
	s_and_saveexec_b64 s[2:3], vcc
	s_cbranch_execz .LBB853_615
; %bb.610:
	v_lshrrev_b32_e32 v14, 24, v6
	s_movk_i32 s7, 0x80
	v_cmp_ne_u32_e32 vcc, s7, v14
	v_mov_b32_e32 v17, 0xffff8000
	s_and_saveexec_b64 s[8:9], vcc
	s_cbranch_execz .LBB853_614
; %bb.611:
	v_bfe_u32 v6, v6, 24, 7
	s_movk_i32 s7, 0x7f
	v_cmp_ne_u32_e32 vcc, s7, v6
	v_mov_b32_e32 v17, 0x7f80
	s_and_saveexec_b64 s[10:11], vcc
	s_cbranch_execz .LBB853_613
; %bb.612:
	v_and_b32_e32 v17, 7, v14
	v_ffbh_u32_e32 v20, v17
	v_min_u32_e32 v23, 32, v20
	v_subrev_u32_e32 v20, 28, v23
	v_lshlrev_b64 v[20:21], v20, v[14:15]
	v_lshrrev_b32_e32 v19, 3, v6
	v_sub_u32_e32 v21, 29, v23
	v_and_b32_e32 v20, 7, v20
	v_cmp_gt_u32_e32 vcc, 8, v6
	v_cndmask_b32_e32 v6, v19, v21, vcc
	v_cndmask_b32_e32 v17, v17, v20, vcc
	v_lshlrev_b32_e32 v14, 24, v14
	v_bfrev_b32_e32 v19, 60
	v_lshlrev_b32_e32 v17, 20, v17
	v_and_b32_e32 v14, 0x80000000, v14
	v_lshl_add_u32 v6, v6, 23, v19
	v_or3_b32 v6, v14, v6, v17
	v_lshrrev_b32_e32 v17, 16, v6
.LBB853_613:
	s_or_b64 exec, exec, s[10:11]
.LBB853_614:
	s_or_b64 exec, exec, s[8:9]
.LBB853_615:
	s_or_b64 exec, exec, s[2:3]
	v_mov_b32_e32 v14, 0
	v_cmp_ne_u16_sdwa s[8:9], v7, v14 src0_sel:BYTE_0 src1_sel:DWORD
	v_mov_b32_e32 v19, 0
	s_and_saveexec_b64 s[2:3], s[8:9]
	s_cbranch_execz .LBB853_621
; %bb.616:
	s_movk_i32 s7, 0x80
	v_cmp_ne_u16_sdwa s[10:11], v7, s7 src0_sel:BYTE_0 src1_sel:DWORD
	v_mov_b32_e32 v19, 0xffff8000
	s_and_saveexec_b64 s[8:9], s[10:11]
	s_cbranch_execz .LBB853_620
; %bb.617:
	s_movk_i32 s7, 0x7f
	v_and_b32_e32 v6, 0x7f, v7
	v_cmp_ne_u32_e32 vcc, s7, v6
	v_mov_b32_e32 v19, 0x7f80
	s_and_saveexec_b64 s[10:11], vcc
	s_cbranch_execz .LBB853_619
; %bb.618:
	v_and_b32_e32 v19, 7, v7
	v_ffbh_u32_e32 v21, v19
	v_min_u32_e32 v24, 32, v21
	v_mov_b32_e32 v20, v7
	v_subrev_u32_e32 v21, 28, v24
	v_lshlrev_b64 v[20:21], v21, v[20:21]
	v_lshrrev_b32_e32 v23, 3, v6
	v_sub_u32_e32 v21, 29, v24
	v_and_b32_e32 v20, 7, v20
	v_cmp_gt_u32_e32 vcc, 8, v6
	v_cndmask_b32_e32 v6, v23, v21, vcc
	v_cndmask_b32_e32 v19, v19, v20, vcc
	v_lshlrev_b32_e32 v20, 24, v7
	v_bfrev_b32_e32 v21, 60
	v_lshlrev_b32_e32 v19, 20, v19
	v_and_b32_e32 v20, 0x80000000, v20
	v_lshl_add_u32 v6, v6, 23, v21
	v_or3_b32 v6, v20, v6, v19
	v_lshrrev_b32_e32 v19, 16, v6
.LBB853_619:
	s_or_b64 exec, exec, s[10:11]
.LBB853_620:
	s_or_b64 exec, exec, s[8:9]
.LBB853_621:
	s_or_b64 exec, exec, s[2:3]
	v_lshrrev_b16_e32 v6, 8, v7
	v_cmp_ne_u16_e32 vcc, 0, v6
	s_and_saveexec_b64 s[2:3], vcc
	s_cbranch_execz .LBB853_627
; %bb.622:
	s_movk_i32 s7, 0x80
	v_cmp_ne_u16_e32 vcc, s7, v6
	v_mov_b32_e32 v14, 0xffff8000
	s_and_saveexec_b64 s[8:9], vcc
	s_cbranch_execz .LBB853_626
; %bb.623:
	s_movk_i32 s7, 0x7f
	v_and_b32_e32 v20, 0x7f, v6
	v_cmp_ne_u32_e32 vcc, s7, v20
	v_mov_b32_e32 v14, 0x7f80
	s_and_saveexec_b64 s[10:11], vcc
	s_cbranch_execz .LBB853_625
; %bb.624:
	v_and_b32_e32 v14, 7, v6
	v_ffbh_u32_e32 v23, v14
	v_min_u32_e32 v23, 32, v23
	v_subrev_u32_e32 v24, 28, v23
	v_lshlrev_b64 v[24:25], v24, v[6:7]
	v_lshrrev_b32_e32 v21, 3, v20
	v_sub_u32_e32 v6, 29, v23
	v_and_b32_e32 v23, 7, v24
	v_cmp_gt_u32_e32 vcc, 8, v20
	v_cndmask_b32_e32 v6, v21, v6, vcc
	v_cndmask_b32_e32 v14, v14, v23, vcc
	v_lshlrev_b32_e32 v20, 16, v7
	v_bfrev_b32_e32 v21, 60
	v_lshlrev_b32_e32 v14, 20, v14
	v_and_b32_e32 v20, 0x80000000, v20
	v_lshl_add_u32 v6, v6, 23, v21
	v_or3_b32 v6, v20, v6, v14
	v_lshrrev_b32_e32 v14, 16, v6
.LBB853_625:
	s_or_b64 exec, exec, s[10:11]
.LBB853_626:
	s_or_b64 exec, exec, s[8:9]
.LBB853_627:
	s_or_b64 exec, exec, s[2:3]
	s_movk_i32 s2, 0xff
	v_and_b32_sdwa v23, v7, s2 dst_sel:DWORD dst_unused:UNUSED_PAD src0_sel:WORD_1 src1_sel:DWORD
	v_lshrrev_b32_e32 v6, 16, v7
	v_cmp_ne_u16_e32 vcc, 0, v23
	v_mov_b32_e32 v20, 0
	v_mov_b32_e32 v21, 0
	s_and_saveexec_b64 s[2:3], vcc
	s_cbranch_execz .LBB853_633
; %bb.628:
	s_movk_i32 s7, 0x80
	v_cmp_ne_u16_e32 vcc, s7, v23
	v_mov_b32_e32 v21, 0xffff8000
	s_and_saveexec_b64 s[8:9], vcc
	s_cbranch_execz .LBB853_632
; %bb.629:
	v_bfe_u32 v23, v7, 16, 7
	s_movk_i32 s7, 0x7f
	v_cmp_ne_u32_e32 vcc, s7, v23
	v_mov_b32_e32 v21, 0x7f80
	s_and_saveexec_b64 s[10:11], vcc
	s_cbranch_execz .LBB853_631
; %bb.630:
	v_and_b32_e32 v21, 7, v6
	v_ffbh_u32_e32 v24, v21
	v_min_u32_e32 v27, 32, v24
	v_subrev_u32_e32 v24, 28, v27
	v_lshlrev_b64 v[24:25], v24, v[6:7]
	v_lshrrev_b32_e32 v26, 3, v23
	v_sub_u32_e32 v6, 29, v27
	v_and_b32_e32 v24, 7, v24
	v_cmp_gt_u32_e32 vcc, 8, v23
	v_mov_b32_e32 v23, 24
	v_cndmask_b32_e32 v6, v26, v6, vcc
	v_cndmask_b32_e32 v21, v21, v24, vcc
	v_lshlrev_b32_sdwa v23, v23, v7 dst_sel:DWORD dst_unused:UNUSED_PAD src0_sel:DWORD src1_sel:WORD_1
	v_bfrev_b32_e32 v24, 60
	v_lshlrev_b32_e32 v21, 20, v21
	v_and_b32_e32 v23, 0x80000000, v23
	v_lshl_add_u32 v6, v6, 23, v24
	v_or3_b32 v6, v23, v6, v21
	v_lshrrev_b32_e32 v21, 16, v6
.LBB853_631:
	s_or_b64 exec, exec, s[10:11]
.LBB853_632:
	s_or_b64 exec, exec, s[8:9]
.LBB853_633:
	s_or_b64 exec, exec, s[2:3]
	s_mov_b32 s2, 0xffffff
	v_cmp_lt_u32_e32 vcc, s2, v7
	s_and_saveexec_b64 s[2:3], vcc
	s_cbranch_execz .LBB853_639
; %bb.634:
	v_lshrrev_b32_e32 v6, 24, v7
	s_movk_i32 s7, 0x80
	v_cmp_ne_u32_e32 vcc, s7, v6
	v_mov_b32_e32 v20, 0xffff8000
	s_and_saveexec_b64 s[8:9], vcc
	s_cbranch_execz .LBB853_638
; %bb.635:
	v_bfe_u32 v7, v7, 24, 7
	s_movk_i32 s7, 0x7f
	v_cmp_ne_u32_e32 vcc, s7, v7
	v_mov_b32_e32 v20, 0x7f80
	s_and_saveexec_b64 s[10:11], vcc
	s_cbranch_execz .LBB853_637
; %bb.636:
	v_and_b32_e32 v20, 7, v6
	v_ffbh_u32_e32 v24, v20
	v_min_u32_e32 v26, 32, v24
	v_subrev_u32_e32 v24, 28, v26
	v_lshlrev_b64 v[24:25], v24, v[6:7]
	v_lshrrev_b32_e32 v23, 3, v7
	v_sub_u32_e32 v25, 29, v26
	v_and_b32_e32 v24, 7, v24
	v_cmp_gt_u32_e32 vcc, 8, v7
	v_cndmask_b32_e32 v7, v23, v25, vcc
	v_cndmask_b32_e32 v20, v20, v24, vcc
	v_lshlrev_b32_e32 v6, 24, v6
	v_bfrev_b32_e32 v23, 60
	v_lshlrev_b32_e32 v20, 20, v20
	v_and_b32_e32 v6, 0x80000000, v6
	v_lshl_add_u32 v7, v7, 23, v23
	v_or3_b32 v6, v6, v7, v20
	v_lshrrev_b32_e32 v20, 16, v6
.LBB853_637:
	s_or_b64 exec, exec, s[10:11]
.LBB853_638:
	s_or_b64 exec, exec, s[8:9]
.LBB853_639:
	s_or_b64 exec, exec, s[2:3]
	s_mov_b32 s2, 0x5040100
	v_perm_b32 v7, v17, v18, s2
	v_perm_b32 v6, v15, v16, s2
	ds_read_b128 v[24:27], v22 offset:4096
	v_perm_b32 v17, v20, v21, s2
	v_perm_b32 v16, v14, v19, s2
	s_waitcnt lgkmcnt(0)
	v_mfma_f32_16x16x16bf16_1k v[10:13], v[6:7], v[24:25], v[10:13]
	v_mov_b32_e32 v7, 0
	v_cmp_ne_u16_sdwa s[8:9], v8, v7 src0_sel:BYTE_0 src1_sel:DWORD
	v_mov_b32_e32 v14, 0
	v_mfma_f32_16x16x16bf16_1k v[10:13], v[16:17], v[26:27], v[10:13]
	s_and_saveexec_b64 s[2:3], s[8:9]
	s_cbranch_execz .LBB853_645
; %bb.640:
	s_movk_i32 s7, 0x80
	v_cmp_ne_u16_sdwa s[10:11], v8, s7 src0_sel:BYTE_0 src1_sel:DWORD
	v_mov_b32_e32 v14, 0xffff8000
	s_and_saveexec_b64 s[8:9], s[10:11]
	s_cbranch_execz .LBB853_644
; %bb.641:
	s_movk_i32 s7, 0x7f
	v_and_b32_e32 v6, 0x7f, v8
	v_cmp_ne_u32_e32 vcc, s7, v6
	v_mov_b32_e32 v14, 0x7f80
	s_and_saveexec_b64 s[10:11], vcc
	s_cbranch_execz .LBB853_643
; %bb.642:
	v_and_b32_e32 v16, 7, v8
	v_ffbh_u32_e32 v14, v16
	v_min_u32_e32 v18, 32, v14
	v_subrev_u32_e32 v14, 28, v18
	v_lshlrev_b64 v[14:15], v14, v[8:9]
	v_lshrrev_b32_e32 v17, 3, v6
	v_sub_u32_e32 v15, 29, v18
	v_and_b32_e32 v14, 7, v14
	v_cmp_gt_u32_e32 vcc, 8, v6
	v_cndmask_b32_e32 v6, v17, v15, vcc
	v_cndmask_b32_e32 v14, v16, v14, vcc
	v_lshlrev_b32_e32 v15, 24, v8
	v_bfrev_b32_e32 v16, 60
	v_lshlrev_b32_e32 v14, 20, v14
	v_and_b32_e32 v15, 0x80000000, v15
	v_lshl_add_u32 v6, v6, 23, v16
	v_or3_b32 v6, v15, v6, v14
	v_lshrrev_b32_e32 v14, 16, v6
.LBB853_643:
	s_or_b64 exec, exec, s[10:11]
.LBB853_644:
	s_or_b64 exec, exec, s[8:9]
.LBB853_645:
	s_or_b64 exec, exec, s[2:3]
	v_lshrrev_b16_e32 v6, 8, v8
	v_cmp_ne_u16_e32 vcc, 0, v6
	s_and_saveexec_b64 s[2:3], vcc
	s_cbranch_execz .LBB853_651
; %bb.646:
	s_movk_i32 s7, 0x80
	v_cmp_ne_u16_e32 vcc, s7, v6
	v_mov_b32_e32 v7, 0xffff8000
	s_and_saveexec_b64 s[8:9], vcc
	s_cbranch_execz .LBB853_650
; %bb.647:
	s_movk_i32 s7, 0x7f
	v_and_b32_e32 v15, 0x7f, v6
	v_cmp_ne_u32_e32 vcc, s7, v15
	v_mov_b32_e32 v7, 0x7f80
	s_and_saveexec_b64 s[10:11], vcc
	s_cbranch_execz .LBB853_649
; %bb.648:
	v_and_b32_e32 v16, 7, v6
	v_ffbh_u32_e32 v7, v16
	v_min_u32_e32 v18, 32, v7
	v_subrev_u32_e32 v7, 28, v18
	v_lshlrev_b64 v[6:7], v7, v[6:7]
	v_lshrrev_b32_e32 v17, 3, v15
	v_sub_u32_e32 v7, 29, v18
	v_and_b32_e32 v6, 7, v6
	v_cmp_gt_u32_e32 vcc, 8, v15
	v_cndmask_b32_e32 v7, v17, v7, vcc
	v_cndmask_b32_e32 v6, v16, v6, vcc
	v_lshlrev_b32_e32 v15, 16, v8
	v_bfrev_b32_e32 v16, 60
	v_lshlrev_b32_e32 v6, 20, v6
	v_and_b32_e32 v15, 0x80000000, v15
	v_lshl_add_u32 v7, v7, 23, v16
	v_or3_b32 v6, v15, v7, v6
	v_lshrrev_b32_e32 v7, 16, v6
.LBB853_649:
	s_or_b64 exec, exec, s[10:11]
.LBB853_650:
	s_or_b64 exec, exec, s[8:9]
.LBB853_651:
	s_or_b64 exec, exec, s[2:3]
	s_movk_i32 s2, 0xff
	v_and_b32_sdwa v17, v8, s2 dst_sel:DWORD dst_unused:UNUSED_PAD src0_sel:WORD_1 src1_sel:DWORD
	v_lshrrev_b32_e32 v6, 16, v8
	v_cmp_ne_u16_e32 vcc, 0, v17
	v_mov_b32_e32 v15, 0
	v_mov_b32_e32 v16, 0
	s_and_saveexec_b64 s[2:3], vcc
	s_cbranch_execz .LBB853_657
; %bb.652:
	s_movk_i32 s7, 0x80
	v_cmp_ne_u16_e32 vcc, s7, v17
	v_mov_b32_e32 v16, 0xffff8000
	s_and_saveexec_b64 s[8:9], vcc
	s_cbranch_execz .LBB853_656
; %bb.653:
	v_bfe_u32 v17, v8, 16, 7
	s_movk_i32 s7, 0x7f
	v_cmp_ne_u32_e32 vcc, s7, v17
	v_mov_b32_e32 v16, 0x7f80
	s_and_saveexec_b64 s[10:11], vcc
	s_cbranch_execz .LBB853_655
; %bb.654:
	v_and_b32_e32 v16, 7, v6
	v_ffbh_u32_e32 v18, v16
	v_min_u32_e32 v21, 32, v18
	v_subrev_u32_e32 v18, 28, v21
	v_lshlrev_b64 v[18:19], v18, v[6:7]
	v_lshrrev_b32_e32 v20, 3, v17
	v_sub_u32_e32 v6, 29, v21
	v_and_b32_e32 v18, 7, v18
	v_cmp_gt_u32_e32 vcc, 8, v17
	v_mov_b32_e32 v17, 24
	v_cndmask_b32_e32 v6, v20, v6, vcc
	v_cndmask_b32_e32 v16, v16, v18, vcc
	v_lshlrev_b32_sdwa v17, v17, v8 dst_sel:DWORD dst_unused:UNUSED_PAD src0_sel:DWORD src1_sel:WORD_1
	v_bfrev_b32_e32 v18, 60
	v_lshlrev_b32_e32 v16, 20, v16
	v_and_b32_e32 v17, 0x80000000, v17
	v_lshl_add_u32 v6, v6, 23, v18
	v_or3_b32 v6, v17, v6, v16
	v_lshrrev_b32_e32 v16, 16, v6
.LBB853_655:
	s_or_b64 exec, exec, s[10:11]
.LBB853_656:
	s_or_b64 exec, exec, s[8:9]
.LBB853_657:
	s_or_b64 exec, exec, s[2:3]
	s_mov_b32 s2, 0xffffff
	v_cmp_lt_u32_e32 vcc, s2, v8
	s_and_saveexec_b64 s[2:3], vcc
	s_cbranch_execz .LBB853_663
; %bb.658:
	v_lshrrev_b32_e32 v6, 24, v8
	s_movk_i32 s7, 0x80
	v_cmp_ne_u32_e32 vcc, s7, v6
	v_mov_b32_e32 v15, 0xffff8000
	s_and_saveexec_b64 s[8:9], vcc
	s_cbranch_execz .LBB853_662
; %bb.659:
	v_bfe_u32 v8, v8, 24, 7
	s_movk_i32 s7, 0x7f
	v_cmp_ne_u32_e32 vcc, s7, v8
	v_mov_b32_e32 v15, 0x7f80
	s_and_saveexec_b64 s[10:11], vcc
	s_cbranch_execz .LBB853_661
; %bb.660:
	v_and_b32_e32 v15, 7, v6
	v_ffbh_u32_e32 v18, v15
	v_min_u32_e32 v20, 32, v18
	v_subrev_u32_e32 v18, 28, v20
	v_lshlrev_b64 v[18:19], v18, v[6:7]
	v_lshrrev_b32_e32 v17, 3, v8
	v_sub_u32_e32 v19, 29, v20
	v_and_b32_e32 v18, 7, v18
	v_cmp_gt_u32_e32 vcc, 8, v8
	v_cndmask_b32_e32 v8, v17, v19, vcc
	v_cndmask_b32_e32 v15, v15, v18, vcc
	v_lshlrev_b32_e32 v6, 24, v6
	v_bfrev_b32_e32 v17, 60
	v_lshlrev_b32_e32 v15, 20, v15
	v_and_b32_e32 v6, 0x80000000, v6
	v_lshl_add_u32 v8, v8, 23, v17
	v_or3_b32 v6, v6, v8, v15
	v_lshrrev_b32_e32 v15, 16, v6
.LBB853_661:
	s_or_b64 exec, exec, s[10:11]
.LBB853_662:
	s_or_b64 exec, exec, s[8:9]
.LBB853_663:
	s_or_b64 exec, exec, s[2:3]
	v_mov_b32_e32 v8, 0
	v_cmp_ne_u16_sdwa s[8:9], v9, v8 src0_sel:BYTE_0 src1_sel:DWORD
	v_mov_b32_e32 v17, 0
	s_and_saveexec_b64 s[2:3], s[8:9]
	s_cbranch_execz .LBB853_669
; %bb.664:
	s_movk_i32 s7, 0x80
	v_cmp_ne_u16_sdwa s[10:11], v9, s7 src0_sel:BYTE_0 src1_sel:DWORD
	v_mov_b32_e32 v17, 0xffff8000
	s_and_saveexec_b64 s[8:9], s[10:11]
	s_cbranch_execz .LBB853_668
; %bb.665:
	s_movk_i32 s7, 0x7f
	v_and_b32_e32 v6, 0x7f, v9
	v_cmp_ne_u32_e32 vcc, s7, v6
	v_mov_b32_e32 v17, 0x7f80
	s_and_saveexec_b64 s[10:11], vcc
	s_cbranch_execz .LBB853_667
; %bb.666:
	v_and_b32_e32 v17, 7, v9
	v_ffbh_u32_e32 v19, v17
	v_min_u32_e32 v21, 32, v19
	v_mov_b32_e32 v18, v9
	v_subrev_u32_e32 v19, 28, v21
	v_lshlrev_b64 v[18:19], v19, v[18:19]
	v_lshrrev_b32_e32 v20, 3, v6
	v_sub_u32_e32 v19, 29, v21
	v_and_b32_e32 v18, 7, v18
	v_cmp_gt_u32_e32 vcc, 8, v6
	v_cndmask_b32_e32 v6, v20, v19, vcc
	v_cndmask_b32_e32 v17, v17, v18, vcc
	v_lshlrev_b32_e32 v18, 24, v9
	v_bfrev_b32_e32 v19, 60
	v_lshlrev_b32_e32 v17, 20, v17
	v_and_b32_e32 v18, 0x80000000, v18
	v_lshl_add_u32 v6, v6, 23, v19
	v_or3_b32 v6, v18, v6, v17
	v_lshrrev_b32_e32 v17, 16, v6
.LBB853_667:
	s_or_b64 exec, exec, s[10:11]
.LBB853_668:
	s_or_b64 exec, exec, s[8:9]
.LBB853_669:
	s_or_b64 exec, exec, s[2:3]
	v_lshrrev_b16_e32 v6, 8, v9
	v_cmp_ne_u16_e32 vcc, 0, v6
	s_and_saveexec_b64 s[2:3], vcc
	s_cbranch_execz .LBB853_675
; %bb.670:
	s_movk_i32 s7, 0x80
	v_cmp_ne_u16_e32 vcc, s7, v6
	v_mov_b32_e32 v8, 0xffff8000
	s_and_saveexec_b64 s[8:9], vcc
	s_cbranch_execz .LBB853_674
; %bb.671:
	s_movk_i32 s7, 0x7f
	v_and_b32_e32 v18, 0x7f, v6
	v_cmp_ne_u32_e32 vcc, s7, v18
	v_mov_b32_e32 v8, 0x7f80
	s_and_saveexec_b64 s[10:11], vcc
	s_cbranch_execz .LBB853_673
; %bb.672:
	v_and_b32_e32 v8, 7, v6
	v_ffbh_u32_e32 v20, v8
	v_min_u32_e32 v23, 32, v20
	v_subrev_u32_e32 v20, 28, v23
	v_lshlrev_b64 v[20:21], v20, v[6:7]
	v_lshrrev_b32_e32 v19, 3, v18
	v_sub_u32_e32 v6, 29, v23
	v_and_b32_e32 v20, 7, v20
	v_cmp_gt_u32_e32 vcc, 8, v18
	v_cndmask_b32_e32 v6, v19, v6, vcc
	v_cndmask_b32_e32 v8, v8, v20, vcc
	v_lshlrev_b32_e32 v18, 16, v9
	v_bfrev_b32_e32 v19, 60
	v_lshlrev_b32_e32 v8, 20, v8
	v_and_b32_e32 v18, 0x80000000, v18
	v_lshl_add_u32 v6, v6, 23, v19
	v_or3_b32 v6, v18, v6, v8
	v_lshrrev_b32_e32 v8, 16, v6
.LBB853_673:
	s_or_b64 exec, exec, s[10:11]
.LBB853_674:
	s_or_b64 exec, exec, s[8:9]
.LBB853_675:
	s_or_b64 exec, exec, s[2:3]
	s_movk_i32 s2, 0xff
	v_and_b32_sdwa v20, v9, s2 dst_sel:DWORD dst_unused:UNUSED_PAD src0_sel:WORD_1 src1_sel:DWORD
	v_lshrrev_b32_e32 v6, 16, v9
	v_cmp_ne_u16_e32 vcc, 0, v20
	v_mov_b32_e32 v18, 0
	v_mov_b32_e32 v19, 0
	s_and_saveexec_b64 s[2:3], vcc
	s_cbranch_execz .LBB853_681
; %bb.676:
	s_movk_i32 s7, 0x80
	v_cmp_ne_u16_e32 vcc, s7, v20
	v_mov_b32_e32 v19, 0xffff8000
	s_and_saveexec_b64 s[8:9], vcc
	s_cbranch_execz .LBB853_680
; %bb.677:
	v_bfe_u32 v20, v9, 16, 7
	s_movk_i32 s7, 0x7f
	v_cmp_ne_u32_e32 vcc, s7, v20
	v_mov_b32_e32 v19, 0x7f80
	s_and_saveexec_b64 s[10:11], vcc
	s_cbranch_execz .LBB853_679
; %bb.678:
	v_and_b32_e32 v19, 7, v6
	v_ffbh_u32_e32 v23, v19
	v_min_u32_e32 v23, 32, v23
	v_subrev_u32_e32 v24, 28, v23
	v_lshlrev_b64 v[24:25], v24, v[6:7]
	v_lshrrev_b32_e32 v21, 3, v20
	v_sub_u32_e32 v6, 29, v23
	v_and_b32_e32 v23, 7, v24
	v_cmp_gt_u32_e32 vcc, 8, v20
	v_mov_b32_e32 v20, 24
	v_cndmask_b32_e32 v6, v21, v6, vcc
	v_cndmask_b32_e32 v19, v19, v23, vcc
	v_lshlrev_b32_sdwa v20, v20, v9 dst_sel:DWORD dst_unused:UNUSED_PAD src0_sel:DWORD src1_sel:WORD_1
	v_bfrev_b32_e32 v21, 60
	v_lshlrev_b32_e32 v19, 20, v19
	v_and_b32_e32 v20, 0x80000000, v20
	v_lshl_add_u32 v6, v6, 23, v21
	v_or3_b32 v6, v20, v6, v19
	v_lshrrev_b32_e32 v19, 16, v6
.LBB853_679:
	s_or_b64 exec, exec, s[10:11]
.LBB853_680:
	s_or_b64 exec, exec, s[8:9]
.LBB853_681:
	s_or_b64 exec, exec, s[2:3]
	s_mov_b32 s2, 0xffffff
	v_cmp_lt_u32_e32 vcc, s2, v9
	s_and_saveexec_b64 s[2:3], vcc
	s_cbranch_execz .LBB853_687
; %bb.682:
	v_lshrrev_b32_e32 v6, 24, v9
	s_movk_i32 s7, 0x80
	v_cmp_ne_u32_e32 vcc, s7, v6
	v_mov_b32_e32 v18, 0xffff8000
	s_and_saveexec_b64 s[8:9], vcc
	s_cbranch_execz .LBB853_686
; %bb.683:
	v_bfe_u32 v9, v9, 24, 7
	s_movk_i32 s7, 0x7f
	v_cmp_ne_u32_e32 vcc, s7, v9
	v_mov_b32_e32 v18, 0x7f80
	s_and_saveexec_b64 s[10:11], vcc
	s_cbranch_execz .LBB853_685
; %bb.684:
	v_and_b32_e32 v18, 7, v6
	v_ffbh_u32_e32 v20, v18
	v_min_u32_e32 v24, 32, v20
	v_subrev_u32_e32 v20, 28, v24
	v_lshlrev_b64 v[20:21], v20, v[6:7]
	v_lshrrev_b32_e32 v23, 3, v9
	v_sub_u32_e32 v21, 29, v24
	v_and_b32_e32 v20, 7, v20
	v_cmp_gt_u32_e32 vcc, 8, v9
	v_cndmask_b32_e32 v9, v23, v21, vcc
	v_cndmask_b32_e32 v18, v18, v20, vcc
	v_lshlrev_b32_e32 v6, 24, v6
	v_bfrev_b32_e32 v20, 60
	v_lshlrev_b32_e32 v18, 20, v18
	v_and_b32_e32 v6, 0x80000000, v6
	v_lshl_add_u32 v9, v9, 23, v20
	v_or3_b32 v6, v6, v9, v18
	v_lshrrev_b32_e32 v18, 16, v6
.LBB853_685:
	s_or_b64 exec, exec, s[10:11]
.LBB853_686:
	s_or_b64 exec, exec, s[8:9]
.LBB853_687:
	s_or_b64 exec, exec, s[2:3]
	s_mov_b32 s2, 0x5040100
	v_perm_b32 v15, v15, v16, s2
	v_perm_b32 v14, v7, v14, s2
	ds_read_b128 v[24:27], v22 offset:4112
	v_perm_b32 v7, v18, v19, s2
	v_perm_b32 v6, v8, v17, s2
	s_waitcnt lgkmcnt(0)
	v_mfma_f32_16x16x16bf16_1k v[30:33], v[14:15], v[24:25], v[10:13]
	s_nop 6
	v_mov_b32_e32 v11, 0
	s_waitcnt vmcnt(0)
	v_cmp_ne_u16_sdwa s[8:9], v2, v11 src0_sel:BYTE_0 src1_sel:DWORD
	v_mfma_f32_16x16x16bf16_1k v[6:9], v[6:7], v[26:27], v[30:33]
	v_mov_b32_e32 v12, 0
	s_and_saveexec_b64 s[2:3], s[8:9]
	s_cbranch_execz .LBB853_693
; %bb.688:
	s_movk_i32 s7, 0x80
	v_cmp_ne_u16_sdwa s[10:11], v2, s7 src0_sel:BYTE_0 src1_sel:DWORD
	v_mov_b32_e32 v12, 0xffff8000
	s_and_saveexec_b64 s[8:9], s[10:11]
	s_cbranch_execz .LBB853_692
; %bb.689:
	s_movk_i32 s7, 0x7f
	v_and_b32_e32 v10, 0x7f, v2
	v_cmp_ne_u32_e32 vcc, s7, v10
	v_mov_b32_e32 v12, 0x7f80
	s_and_saveexec_b64 s[10:11], vcc
	s_cbranch_execz .LBB853_691
; %bb.690:
	v_and_b32_e32 v14, 7, v2
	v_ffbh_u32_e32 v12, v14
	v_min_u32_e32 v16, 32, v12
	v_subrev_u32_e32 v12, 28, v16
	v_lshlrev_b64 v[12:13], v12, v[2:3]
	v_lshrrev_b32_e32 v15, 3, v10
	v_sub_u32_e32 v13, 29, v16
	v_and_b32_e32 v12, 7, v12
	v_cmp_gt_u32_e32 vcc, 8, v10
	v_cndmask_b32_e32 v10, v15, v13, vcc
	v_cndmask_b32_e32 v12, v14, v12, vcc
	v_lshlrev_b32_e32 v13, 24, v2
	v_bfrev_b32_e32 v14, 60
	v_lshlrev_b32_e32 v12, 20, v12
	v_and_b32_e32 v13, 0x80000000, v13
	v_lshl_add_u32 v10, v10, 23, v14
	v_or3_b32 v10, v13, v10, v12
	v_lshrrev_b32_e32 v12, 16, v10
.LBB853_691:
	s_or_b64 exec, exec, s[10:11]
.LBB853_692:
	s_or_b64 exec, exec, s[8:9]
.LBB853_693:
	s_or_b64 exec, exec, s[2:3]
	v_lshrrev_b16_e32 v10, 8, v2
	v_cmp_ne_u16_e32 vcc, 0, v10
	s_and_saveexec_b64 s[2:3], vcc
	s_cbranch_execz .LBB853_699
; %bb.694:
	s_movk_i32 s7, 0x80
	v_cmp_ne_u16_e32 vcc, s7, v10
	v_mov_b32_e32 v11, 0xffff8000
	s_and_saveexec_b64 s[8:9], vcc
	s_cbranch_execz .LBB853_698
; %bb.695:
	s_movk_i32 s7, 0x7f
	v_and_b32_e32 v13, 0x7f, v10
	v_cmp_ne_u32_e32 vcc, s7, v13
	v_mov_b32_e32 v11, 0x7f80
	s_and_saveexec_b64 s[10:11], vcc
	s_cbranch_execz .LBB853_697
; %bb.696:
	v_and_b32_e32 v14, 7, v10
	v_ffbh_u32_e32 v11, v14
	v_min_u32_e32 v16, 32, v11
	v_subrev_u32_e32 v11, 28, v16
	v_lshlrev_b64 v[10:11], v11, v[10:11]
	v_lshrrev_b32_e32 v15, 3, v13
	v_sub_u32_e32 v11, 29, v16
	v_and_b32_e32 v10, 7, v10
	v_cmp_gt_u32_e32 vcc, 8, v13
	v_cndmask_b32_e32 v11, v15, v11, vcc
	v_cndmask_b32_e32 v10, v14, v10, vcc
	v_lshlrev_b32_e32 v13, 16, v2
	v_bfrev_b32_e32 v14, 60
	v_lshlrev_b32_e32 v10, 20, v10
	v_and_b32_e32 v13, 0x80000000, v13
	v_lshl_add_u32 v11, v11, 23, v14
	v_or3_b32 v10, v13, v11, v10
	v_lshrrev_b32_e32 v11, 16, v10
.LBB853_697:
	s_or_b64 exec, exec, s[10:11]
.LBB853_698:
	s_or_b64 exec, exec, s[8:9]
.LBB853_699:
	s_or_b64 exec, exec, s[2:3]
	s_movk_i32 s2, 0xff
	v_and_b32_sdwa v15, v2, s2 dst_sel:DWORD dst_unused:UNUSED_PAD src0_sel:WORD_1 src1_sel:DWORD
	v_lshrrev_b32_e32 v10, 16, v2
	v_cmp_ne_u16_e32 vcc, 0, v15
	v_mov_b32_e32 v13, 0
	v_mov_b32_e32 v14, 0
	s_and_saveexec_b64 s[2:3], vcc
	s_cbranch_execz .LBB853_705
; %bb.700:
	s_movk_i32 s7, 0x80
	v_cmp_ne_u16_e32 vcc, s7, v15
	v_mov_b32_e32 v14, 0xffff8000
	s_and_saveexec_b64 s[8:9], vcc
	s_cbranch_execz .LBB853_704
; %bb.701:
	v_bfe_u32 v15, v2, 16, 7
	s_movk_i32 s7, 0x7f
	v_cmp_ne_u32_e32 vcc, s7, v15
	v_mov_b32_e32 v14, 0x7f80
	s_and_saveexec_b64 s[10:11], vcc
	s_cbranch_execz .LBB853_703
; %bb.702:
	v_and_b32_e32 v14, 7, v10
	v_ffbh_u32_e32 v16, v14
	v_min_u32_e32 v19, 32, v16
	v_subrev_u32_e32 v16, 28, v19
	v_lshlrev_b64 v[16:17], v16, v[10:11]
	v_lshrrev_b32_e32 v18, 3, v15
	v_sub_u32_e32 v10, 29, v19
	v_and_b32_e32 v16, 7, v16
	v_cmp_gt_u32_e32 vcc, 8, v15
	v_mov_b32_e32 v15, 24
	v_cndmask_b32_e32 v10, v18, v10, vcc
	v_cndmask_b32_e32 v14, v14, v16, vcc
	v_lshlrev_b32_sdwa v15, v15, v2 dst_sel:DWORD dst_unused:UNUSED_PAD src0_sel:DWORD src1_sel:WORD_1
	v_bfrev_b32_e32 v16, 60
	v_lshlrev_b32_e32 v14, 20, v14
	v_and_b32_e32 v15, 0x80000000, v15
	v_lshl_add_u32 v10, v10, 23, v16
	v_or3_b32 v10, v15, v10, v14
	v_lshrrev_b32_e32 v14, 16, v10
.LBB853_703:
	s_or_b64 exec, exec, s[10:11]
.LBB853_704:
	s_or_b64 exec, exec, s[8:9]
.LBB853_705:
	s_or_b64 exec, exec, s[2:3]
	s_mov_b32 s2, 0xffffff
	v_cmp_lt_u32_e32 vcc, s2, v2
	s_and_saveexec_b64 s[2:3], vcc
	s_cbranch_execz .LBB853_711
; %bb.706:
	v_lshrrev_b32_e32 v10, 24, v2
	s_movk_i32 s7, 0x80
	v_cmp_ne_u32_e32 vcc, s7, v10
	v_mov_b32_e32 v13, 0xffff8000
	s_and_saveexec_b64 s[8:9], vcc
	s_cbranch_execz .LBB853_710
; %bb.707:
	v_bfe_u32 v2, v2, 24, 7
	s_movk_i32 s7, 0x7f
	v_cmp_ne_u32_e32 vcc, s7, v2
	v_mov_b32_e32 v13, 0x7f80
	s_and_saveexec_b64 s[10:11], vcc
	s_cbranch_execz .LBB853_709
; %bb.708:
	v_and_b32_e32 v13, 7, v10
	v_ffbh_u32_e32 v16, v13
	v_min_u32_e32 v18, 32, v16
	v_subrev_u32_e32 v16, 28, v18
	v_lshlrev_b64 v[16:17], v16, v[10:11]
	v_lshrrev_b32_e32 v15, 3, v2
	v_sub_u32_e32 v17, 29, v18
	v_and_b32_e32 v16, 7, v16
	v_cmp_gt_u32_e32 vcc, 8, v2
	v_cndmask_b32_e32 v2, v15, v17, vcc
	v_cndmask_b32_e32 v13, v13, v16, vcc
	v_lshlrev_b32_e32 v10, 24, v10
	v_bfrev_b32_e32 v15, 60
	v_lshlrev_b32_e32 v13, 20, v13
	v_and_b32_e32 v10, 0x80000000, v10
	v_lshl_add_u32 v2, v2, 23, v15
	v_or3_b32 v2, v10, v2, v13
	v_lshrrev_b32_e32 v13, 16, v2
.LBB853_709:
	s_or_b64 exec, exec, s[10:11]
.LBB853_710:
	s_or_b64 exec, exec, s[8:9]
.LBB853_711:
	s_or_b64 exec, exec, s[2:3]
	v_mov_b32_e32 v10, 0
	v_cmp_ne_u16_sdwa s[8:9], v3, v10 src0_sel:BYTE_0 src1_sel:DWORD
	v_mov_b32_e32 v15, 0
	s_and_saveexec_b64 s[2:3], s[8:9]
	s_cbranch_execz .LBB853_717
; %bb.712:
	s_movk_i32 s7, 0x80
	v_cmp_ne_u16_sdwa s[10:11], v3, s7 src0_sel:BYTE_0 src1_sel:DWORD
	v_mov_b32_e32 v15, 0xffff8000
	s_and_saveexec_b64 s[8:9], s[10:11]
	s_cbranch_execz .LBB853_716
; %bb.713:
	s_movk_i32 s7, 0x7f
	v_and_b32_e32 v2, 0x7f, v3
	v_cmp_ne_u32_e32 vcc, s7, v2
	v_mov_b32_e32 v15, 0x7f80
	s_and_saveexec_b64 s[10:11], vcc
	s_cbranch_execz .LBB853_715
; %bb.714:
	v_and_b32_e32 v15, 7, v3
	v_ffbh_u32_e32 v17, v15
	v_min_u32_e32 v19, 32, v17
	v_mov_b32_e32 v16, v3
	v_subrev_u32_e32 v17, 28, v19
	v_lshlrev_b64 v[16:17], v17, v[16:17]
	v_lshrrev_b32_e32 v18, 3, v2
	v_sub_u32_e32 v17, 29, v19
	v_and_b32_e32 v16, 7, v16
	v_cmp_gt_u32_e32 vcc, 8, v2
	v_cndmask_b32_e32 v2, v18, v17, vcc
	v_cndmask_b32_e32 v15, v15, v16, vcc
	v_lshlrev_b32_e32 v16, 24, v3
	v_bfrev_b32_e32 v17, 60
	v_lshlrev_b32_e32 v15, 20, v15
	v_and_b32_e32 v16, 0x80000000, v16
	v_lshl_add_u32 v2, v2, 23, v17
	v_or3_b32 v2, v16, v2, v15
	v_lshrrev_b32_e32 v15, 16, v2
.LBB853_715:
	s_or_b64 exec, exec, s[10:11]
.LBB853_716:
	s_or_b64 exec, exec, s[8:9]
.LBB853_717:
	s_or_b64 exec, exec, s[2:3]
	v_lshrrev_b16_e32 v2, 8, v3
	v_cmp_ne_u16_e32 vcc, 0, v2
	s_and_saveexec_b64 s[2:3], vcc
	s_cbranch_execz .LBB853_723
; %bb.718:
	s_movk_i32 s7, 0x80
	v_cmp_ne_u16_e32 vcc, s7, v2
	v_mov_b32_e32 v10, 0xffff8000
	s_and_saveexec_b64 s[8:9], vcc
	s_cbranch_execz .LBB853_722
; %bb.719:
	s_movk_i32 s7, 0x7f
	v_and_b32_e32 v16, 0x7f, v2
	v_cmp_ne_u32_e32 vcc, s7, v16
	v_mov_b32_e32 v10, 0x7f80
	s_and_saveexec_b64 s[10:11], vcc
	s_cbranch_execz .LBB853_721
; %bb.720:
	v_and_b32_e32 v10, 7, v2
	v_ffbh_u32_e32 v18, v10
	v_min_u32_e32 v20, 32, v18
	v_subrev_u32_e32 v18, 28, v20
	v_lshlrev_b64 v[18:19], v18, v[2:3]
	v_lshrrev_b32_e32 v17, 3, v16
	v_sub_u32_e32 v2, 29, v20
	v_and_b32_e32 v18, 7, v18
	v_cmp_gt_u32_e32 vcc, 8, v16
	v_cndmask_b32_e32 v2, v17, v2, vcc
	v_cndmask_b32_e32 v10, v10, v18, vcc
	v_lshlrev_b32_e32 v16, 16, v3
	v_bfrev_b32_e32 v17, 60
	v_lshlrev_b32_e32 v10, 20, v10
	v_and_b32_e32 v16, 0x80000000, v16
	v_lshl_add_u32 v2, v2, 23, v17
	v_or3_b32 v2, v16, v2, v10
	v_lshrrev_b32_e32 v10, 16, v2
.LBB853_721:
	s_or_b64 exec, exec, s[10:11]
.LBB853_722:
	s_or_b64 exec, exec, s[8:9]
.LBB853_723:
	s_or_b64 exec, exec, s[2:3]
	s_movk_i32 s2, 0xff
	v_and_b32_sdwa v18, v3, s2 dst_sel:DWORD dst_unused:UNUSED_PAD src0_sel:WORD_1 src1_sel:DWORD
	v_lshrrev_b32_e32 v2, 16, v3
	v_cmp_ne_u16_e32 vcc, 0, v18
	v_mov_b32_e32 v16, 0
	v_mov_b32_e32 v17, 0
	s_and_saveexec_b64 s[2:3], vcc
	s_cbranch_execz .LBB853_729
; %bb.724:
	s_movk_i32 s7, 0x80
	v_cmp_ne_u16_e32 vcc, s7, v18
	v_mov_b32_e32 v17, 0xffff8000
	s_and_saveexec_b64 s[8:9], vcc
	s_cbranch_execz .LBB853_728
; %bb.725:
	v_bfe_u32 v18, v3, 16, 7
	s_movk_i32 s7, 0x7f
	v_cmp_ne_u32_e32 vcc, s7, v18
	v_mov_b32_e32 v17, 0x7f80
	s_and_saveexec_b64 s[10:11], vcc
	s_cbranch_execz .LBB853_727
; %bb.726:
	v_and_b32_e32 v17, 7, v2
	v_ffbh_u32_e32 v20, v17
	v_min_u32_e32 v23, 32, v20
	v_subrev_u32_e32 v20, 28, v23
	v_lshlrev_b64 v[20:21], v20, v[2:3]
	v_lshrrev_b32_e32 v19, 3, v18
	v_sub_u32_e32 v2, 29, v23
	v_and_b32_e32 v20, 7, v20
	v_cmp_gt_u32_e32 vcc, 8, v18
	v_mov_b32_e32 v18, 24
	v_cndmask_b32_e32 v2, v19, v2, vcc
	v_cndmask_b32_e32 v17, v17, v20, vcc
	v_lshlrev_b32_sdwa v18, v18, v3 dst_sel:DWORD dst_unused:UNUSED_PAD src0_sel:DWORD src1_sel:WORD_1
	v_bfrev_b32_e32 v19, 60
	v_lshlrev_b32_e32 v17, 20, v17
	v_and_b32_e32 v18, 0x80000000, v18
	v_lshl_add_u32 v2, v2, 23, v19
	v_or3_b32 v2, v18, v2, v17
	v_lshrrev_b32_e32 v17, 16, v2
.LBB853_727:
	s_or_b64 exec, exec, s[10:11]
.LBB853_728:
	s_or_b64 exec, exec, s[8:9]
.LBB853_729:
	s_or_b64 exec, exec, s[2:3]
	s_mov_b32 s2, 0xffffff
	v_cmp_lt_u32_e32 vcc, s2, v3
	s_and_saveexec_b64 s[2:3], vcc
	s_cbranch_execz .LBB853_735
; %bb.730:
	v_lshrrev_b32_e32 v2, 24, v3
	s_movk_i32 s7, 0x80
	v_cmp_ne_u32_e32 vcc, s7, v2
	v_mov_b32_e32 v16, 0xffff8000
	s_and_saveexec_b64 s[8:9], vcc
	s_cbranch_execz .LBB853_734
; %bb.731:
	v_bfe_u32 v3, v3, 24, 7
	s_movk_i32 s7, 0x7f
	v_cmp_ne_u32_e32 vcc, s7, v3
	v_mov_b32_e32 v16, 0x7f80
	s_and_saveexec_b64 s[10:11], vcc
	s_cbranch_execz .LBB853_733
; %bb.732:
	v_and_b32_e32 v16, 7, v2
	v_ffbh_u32_e32 v18, v16
	v_min_u32_e32 v21, 32, v18
	v_subrev_u32_e32 v18, 28, v21
	v_lshlrev_b64 v[18:19], v18, v[2:3]
	v_lshrrev_b32_e32 v20, 3, v3
	v_sub_u32_e32 v19, 29, v21
	v_and_b32_e32 v18, 7, v18
	v_cmp_gt_u32_e32 vcc, 8, v3
	v_cndmask_b32_e32 v3, v20, v19, vcc
	v_cndmask_b32_e32 v16, v16, v18, vcc
	v_lshlrev_b32_e32 v2, 24, v2
	v_bfrev_b32_e32 v18, 60
	v_lshlrev_b32_e32 v16, 20, v16
	v_and_b32_e32 v2, 0x80000000, v2
	v_lshl_add_u32 v3, v3, 23, v18
	v_or3_b32 v2, v2, v3, v16
	v_lshrrev_b32_e32 v16, 16, v2
.LBB853_733:
	s_or_b64 exec, exec, s[10:11]
.LBB853_734:
	s_or_b64 exec, exec, s[8:9]
.LBB853_735:
	s_or_b64 exec, exec, s[2:3]
	s_mov_b32 s2, 0x5040100
	v_perm_b32 v3, v13, v14, s2
	v_perm_b32 v2, v11, v12, s2
	ds_read_b128 v[18:21], v22 offset:6144
	v_perm_b32 v13, v16, v17, s2
	v_perm_b32 v12, v10, v15, s2
	s_waitcnt lgkmcnt(0)
	v_mfma_f32_16x16x16bf16_1k v[6:9], v[2:3], v[18:19], v[6:9]
	v_mov_b32_e32 v3, 0
	v_cmp_ne_u16_sdwa s[8:9], v4, v3 src0_sel:BYTE_0 src1_sel:DWORD
	v_mov_b32_e32 v10, 0
	v_mfma_f32_16x16x16bf16_1k v[6:9], v[12:13], v[20:21], v[6:9]
	s_and_saveexec_b64 s[2:3], s[8:9]
	s_cbranch_execz .LBB853_741
; %bb.736:
	s_movk_i32 s7, 0x80
	v_cmp_ne_u16_sdwa s[10:11], v4, s7 src0_sel:BYTE_0 src1_sel:DWORD
	v_mov_b32_e32 v10, 0xffff8000
	s_and_saveexec_b64 s[8:9], s[10:11]
	s_cbranch_execz .LBB853_740
; %bb.737:
	s_movk_i32 s7, 0x7f
	v_and_b32_e32 v2, 0x7f, v4
	v_cmp_ne_u32_e32 vcc, s7, v2
	v_mov_b32_e32 v10, 0x7f80
	s_and_saveexec_b64 s[10:11], vcc
	s_cbranch_execz .LBB853_739
; %bb.738:
	v_and_b32_e32 v12, 7, v4
	v_ffbh_u32_e32 v10, v12
	v_min_u32_e32 v14, 32, v10
	v_subrev_u32_e32 v10, 28, v14
	v_lshlrev_b64 v[10:11], v10, v[4:5]
	v_lshrrev_b32_e32 v13, 3, v2
	v_sub_u32_e32 v11, 29, v14
	v_and_b32_e32 v10, 7, v10
	v_cmp_gt_u32_e32 vcc, 8, v2
	v_cndmask_b32_e32 v2, v13, v11, vcc
	v_cndmask_b32_e32 v10, v12, v10, vcc
	v_lshlrev_b32_e32 v11, 24, v4
	v_bfrev_b32_e32 v12, 60
	v_lshlrev_b32_e32 v10, 20, v10
	v_and_b32_e32 v11, 0x80000000, v11
	v_lshl_add_u32 v2, v2, 23, v12
	v_or3_b32 v2, v11, v2, v10
	v_lshrrev_b32_e32 v10, 16, v2
.LBB853_739:
	s_or_b64 exec, exec, s[10:11]
.LBB853_740:
	s_or_b64 exec, exec, s[8:9]
.LBB853_741:
	s_or_b64 exec, exec, s[2:3]
	v_lshrrev_b16_e32 v2, 8, v4
	v_cmp_ne_u16_e32 vcc, 0, v2
	s_and_saveexec_b64 s[2:3], vcc
	s_cbranch_execz .LBB853_747
; %bb.742:
	s_movk_i32 s7, 0x80
	v_cmp_ne_u16_e32 vcc, s7, v2
	v_mov_b32_e32 v3, 0xffff8000
	s_and_saveexec_b64 s[8:9], vcc
	s_cbranch_execz .LBB853_746
; %bb.743:
	s_movk_i32 s7, 0x7f
	v_and_b32_e32 v11, 0x7f, v2
	v_cmp_ne_u32_e32 vcc, s7, v11
	v_mov_b32_e32 v3, 0x7f80
	s_and_saveexec_b64 s[10:11], vcc
	s_cbranch_execz .LBB853_745
; %bb.744:
	v_and_b32_e32 v12, 7, v2
	v_ffbh_u32_e32 v3, v12
	v_min_u32_e32 v14, 32, v3
	v_subrev_u32_e32 v3, 28, v14
	v_lshlrev_b64 v[2:3], v3, v[2:3]
	v_lshrrev_b32_e32 v13, 3, v11
	v_sub_u32_e32 v3, 29, v14
	v_and_b32_e32 v2, 7, v2
	v_cmp_gt_u32_e32 vcc, 8, v11
	v_cndmask_b32_e32 v3, v13, v3, vcc
	v_cndmask_b32_e32 v2, v12, v2, vcc
	v_lshlrev_b32_e32 v11, 16, v4
	v_bfrev_b32_e32 v12, 60
	v_lshlrev_b32_e32 v2, 20, v2
	v_and_b32_e32 v11, 0x80000000, v11
	v_lshl_add_u32 v3, v3, 23, v12
	v_or3_b32 v2, v11, v3, v2
	v_lshrrev_b32_e32 v3, 16, v2
.LBB853_745:
	s_or_b64 exec, exec, s[10:11]
.LBB853_746:
	s_or_b64 exec, exec, s[8:9]
.LBB853_747:
	s_or_b64 exec, exec, s[2:3]
	s_movk_i32 s2, 0xff
	v_and_b32_sdwa v13, v4, s2 dst_sel:DWORD dst_unused:UNUSED_PAD src0_sel:WORD_1 src1_sel:DWORD
	v_lshrrev_b32_e32 v2, 16, v4
	v_cmp_ne_u16_e32 vcc, 0, v13
	v_mov_b32_e32 v11, 0
	v_mov_b32_e32 v12, 0
	s_and_saveexec_b64 s[2:3], vcc
	s_cbranch_execz .LBB853_753
; %bb.748:
	s_movk_i32 s7, 0x80
	v_cmp_ne_u16_e32 vcc, s7, v13
	v_mov_b32_e32 v12, 0xffff8000
	s_and_saveexec_b64 s[8:9], vcc
	s_cbranch_execz .LBB853_752
; %bb.749:
	v_bfe_u32 v13, v4, 16, 7
	s_movk_i32 s7, 0x7f
	v_cmp_ne_u32_e32 vcc, s7, v13
	v_mov_b32_e32 v12, 0x7f80
	s_and_saveexec_b64 s[10:11], vcc
	s_cbranch_execz .LBB853_751
; %bb.750:
	v_and_b32_e32 v12, 7, v2
	v_ffbh_u32_e32 v14, v12
	v_min_u32_e32 v17, 32, v14
	v_subrev_u32_e32 v14, 28, v17
	v_lshlrev_b64 v[14:15], v14, v[2:3]
	v_lshrrev_b32_e32 v16, 3, v13
	v_sub_u32_e32 v2, 29, v17
	v_and_b32_e32 v14, 7, v14
	v_cmp_gt_u32_e32 vcc, 8, v13
	v_mov_b32_e32 v13, 24
	v_cndmask_b32_e32 v2, v16, v2, vcc
	v_cndmask_b32_e32 v12, v12, v14, vcc
	v_lshlrev_b32_sdwa v13, v13, v4 dst_sel:DWORD dst_unused:UNUSED_PAD src0_sel:DWORD src1_sel:WORD_1
	v_bfrev_b32_e32 v14, 60
	v_lshlrev_b32_e32 v12, 20, v12
	v_and_b32_e32 v13, 0x80000000, v13
	v_lshl_add_u32 v2, v2, 23, v14
	v_or3_b32 v2, v13, v2, v12
	v_lshrrev_b32_e32 v12, 16, v2
.LBB853_751:
	s_or_b64 exec, exec, s[10:11]
.LBB853_752:
	s_or_b64 exec, exec, s[8:9]
.LBB853_753:
	s_or_b64 exec, exec, s[2:3]
	s_mov_b32 s2, 0xffffff
	v_cmp_lt_u32_e32 vcc, s2, v4
	s_and_saveexec_b64 s[2:3], vcc
	s_cbranch_execz .LBB853_759
; %bb.754:
	v_lshrrev_b32_e32 v2, 24, v4
	s_movk_i32 s7, 0x80
	v_cmp_ne_u32_e32 vcc, s7, v2
	v_mov_b32_e32 v11, 0xffff8000
	s_and_saveexec_b64 s[8:9], vcc
	s_cbranch_execz .LBB853_758
; %bb.755:
	v_bfe_u32 v4, v4, 24, 7
	s_movk_i32 s7, 0x7f
	v_cmp_ne_u32_e32 vcc, s7, v4
	v_mov_b32_e32 v11, 0x7f80
	s_and_saveexec_b64 s[10:11], vcc
	s_cbranch_execz .LBB853_757
; %bb.756:
	v_and_b32_e32 v11, 7, v2
	v_ffbh_u32_e32 v14, v11
	v_min_u32_e32 v16, 32, v14
	v_subrev_u32_e32 v14, 28, v16
	v_lshlrev_b64 v[14:15], v14, v[2:3]
	v_lshrrev_b32_e32 v13, 3, v4
	v_sub_u32_e32 v15, 29, v16
	v_and_b32_e32 v14, 7, v14
	v_cmp_gt_u32_e32 vcc, 8, v4
	v_cndmask_b32_e32 v4, v13, v15, vcc
	v_cndmask_b32_e32 v11, v11, v14, vcc
	v_lshlrev_b32_e32 v2, 24, v2
	v_bfrev_b32_e32 v13, 60
	v_lshlrev_b32_e32 v11, 20, v11
	v_and_b32_e32 v2, 0x80000000, v2
	v_lshl_add_u32 v4, v4, 23, v13
	v_or3_b32 v2, v2, v4, v11
	v_lshrrev_b32_e32 v11, 16, v2
.LBB853_757:
	s_or_b64 exec, exec, s[10:11]
.LBB853_758:
	s_or_b64 exec, exec, s[8:9]
.LBB853_759:
	s_or_b64 exec, exec, s[2:3]
	v_mov_b32_e32 v4, 0
	v_cmp_ne_u16_sdwa s[8:9], v5, v4 src0_sel:BYTE_0 src1_sel:DWORD
	v_mov_b32_e32 v13, 0
	s_and_saveexec_b64 s[2:3], s[8:9]
	s_cbranch_execz .LBB853_765
; %bb.760:
	s_movk_i32 s7, 0x80
	v_cmp_ne_u16_sdwa s[10:11], v5, s7 src0_sel:BYTE_0 src1_sel:DWORD
	v_mov_b32_e32 v13, 0xffff8000
	s_and_saveexec_b64 s[8:9], s[10:11]
	s_cbranch_execz .LBB853_764
; %bb.761:
	s_movk_i32 s7, 0x7f
	v_and_b32_e32 v2, 0x7f, v5
	v_cmp_ne_u32_e32 vcc, s7, v2
	v_mov_b32_e32 v13, 0x7f80
	s_and_saveexec_b64 s[10:11], vcc
	s_cbranch_execz .LBB853_763
; %bb.762:
	v_and_b32_e32 v13, 7, v5
	v_ffbh_u32_e32 v15, v13
	v_min_u32_e32 v17, 32, v15
	v_mov_b32_e32 v14, v5
	v_subrev_u32_e32 v15, 28, v17
	v_lshlrev_b64 v[14:15], v15, v[14:15]
	v_lshrrev_b32_e32 v16, 3, v2
	v_sub_u32_e32 v15, 29, v17
	v_and_b32_e32 v14, 7, v14
	v_cmp_gt_u32_e32 vcc, 8, v2
	v_cndmask_b32_e32 v2, v16, v15, vcc
	v_cndmask_b32_e32 v13, v13, v14, vcc
	v_lshlrev_b32_e32 v14, 24, v5
	v_bfrev_b32_e32 v15, 60
	v_lshlrev_b32_e32 v13, 20, v13
	v_and_b32_e32 v14, 0x80000000, v14
	v_lshl_add_u32 v2, v2, 23, v15
	v_or3_b32 v2, v14, v2, v13
	v_lshrrev_b32_e32 v13, 16, v2
.LBB853_763:
	s_or_b64 exec, exec, s[10:11]
.LBB853_764:
	s_or_b64 exec, exec, s[8:9]
.LBB853_765:
	s_or_b64 exec, exec, s[2:3]
	v_lshrrev_b16_e32 v2, 8, v5
	v_cmp_ne_u16_e32 vcc, 0, v2
	s_and_saveexec_b64 s[2:3], vcc
	s_cbranch_execz .LBB853_771
; %bb.766:
	s_movk_i32 s7, 0x80
	v_cmp_ne_u16_e32 vcc, s7, v2
	v_mov_b32_e32 v4, 0xffff8000
	s_and_saveexec_b64 s[8:9], vcc
	s_cbranch_execz .LBB853_770
; %bb.767:
	s_movk_i32 s7, 0x7f
	v_and_b32_e32 v14, 0x7f, v2
	v_cmp_ne_u32_e32 vcc, s7, v14
	v_mov_b32_e32 v4, 0x7f80
	s_and_saveexec_b64 s[10:11], vcc
	s_cbranch_execz .LBB853_769
; %bb.768:
	v_and_b32_e32 v4, 7, v2
	v_ffbh_u32_e32 v16, v4
	v_min_u32_e32 v18, 32, v16
	v_subrev_u32_e32 v16, 28, v18
	v_lshlrev_b64 v[16:17], v16, v[2:3]
	v_lshrrev_b32_e32 v15, 3, v14
	v_sub_u32_e32 v2, 29, v18
	v_and_b32_e32 v16, 7, v16
	v_cmp_gt_u32_e32 vcc, 8, v14
	v_cndmask_b32_e32 v2, v15, v2, vcc
	v_cndmask_b32_e32 v4, v4, v16, vcc
	v_lshlrev_b32_e32 v14, 16, v5
	v_bfrev_b32_e32 v15, 60
	v_lshlrev_b32_e32 v4, 20, v4
	v_and_b32_e32 v14, 0x80000000, v14
	v_lshl_add_u32 v2, v2, 23, v15
	v_or3_b32 v2, v14, v2, v4
	v_lshrrev_b32_e32 v4, 16, v2
.LBB853_769:
	s_or_b64 exec, exec, s[10:11]
.LBB853_770:
	s_or_b64 exec, exec, s[8:9]
.LBB853_771:
	s_or_b64 exec, exec, s[2:3]
	s_movk_i32 s2, 0xff
	v_and_b32_sdwa v16, v5, s2 dst_sel:DWORD dst_unused:UNUSED_PAD src0_sel:WORD_1 src1_sel:DWORD
	v_lshrrev_b32_e32 v2, 16, v5
	v_cmp_ne_u16_e32 vcc, 0, v16
	v_mov_b32_e32 v14, 0
	v_mov_b32_e32 v15, 0
	s_and_saveexec_b64 s[2:3], vcc
	s_cbranch_execz .LBB853_777
; %bb.772:
	s_movk_i32 s7, 0x80
	v_cmp_ne_u16_e32 vcc, s7, v16
	v_mov_b32_e32 v15, 0xffff8000
	s_and_saveexec_b64 s[8:9], vcc
	s_cbranch_execz .LBB853_776
; %bb.773:
	v_bfe_u32 v16, v5, 16, 7
	s_movk_i32 s7, 0x7f
	v_cmp_ne_u32_e32 vcc, s7, v16
	v_mov_b32_e32 v15, 0x7f80
	s_and_saveexec_b64 s[10:11], vcc
	s_cbranch_execz .LBB853_775
; %bb.774:
	v_and_b32_e32 v15, 7, v2
	v_ffbh_u32_e32 v18, v15
	v_min_u32_e32 v20, 32, v18
	v_subrev_u32_e32 v18, 28, v20
	v_lshlrev_b64 v[18:19], v18, v[2:3]
	v_lshrrev_b32_e32 v17, 3, v16
	v_sub_u32_e32 v2, 29, v20
	v_and_b32_e32 v18, 7, v18
	v_cmp_gt_u32_e32 vcc, 8, v16
	v_mov_b32_e32 v16, 24
	v_cndmask_b32_e32 v2, v17, v2, vcc
	v_cndmask_b32_e32 v15, v15, v18, vcc
	v_lshlrev_b32_sdwa v16, v16, v5 dst_sel:DWORD dst_unused:UNUSED_PAD src0_sel:DWORD src1_sel:WORD_1
	v_bfrev_b32_e32 v17, 60
	v_lshlrev_b32_e32 v15, 20, v15
	v_and_b32_e32 v16, 0x80000000, v16
	v_lshl_add_u32 v2, v2, 23, v17
	v_or3_b32 v2, v16, v2, v15
	v_lshrrev_b32_e32 v15, 16, v2
.LBB853_775:
	s_or_b64 exec, exec, s[10:11]
.LBB853_776:
	s_or_b64 exec, exec, s[8:9]
.LBB853_777:
	s_or_b64 exec, exec, s[2:3]
	s_mov_b32 s2, 0xffffff
	v_cmp_lt_u32_e32 vcc, s2, v5
	s_and_saveexec_b64 s[2:3], vcc
	s_cbranch_execz .LBB853_783
; %bb.778:
	v_lshrrev_b32_e32 v2, 24, v5
	s_movk_i32 s7, 0x80
	v_cmp_ne_u32_e32 vcc, s7, v2
	v_mov_b32_e32 v14, 0xffff8000
	s_and_saveexec_b64 s[8:9], vcc
	s_cbranch_execz .LBB853_782
; %bb.779:
	v_bfe_u32 v5, v5, 24, 7
	s_movk_i32 s7, 0x7f
	v_cmp_ne_u32_e32 vcc, s7, v5
	v_mov_b32_e32 v14, 0x7f80
	s_and_saveexec_b64 s[10:11], vcc
	s_cbranch_execz .LBB853_781
; %bb.780:
	v_and_b32_e32 v14, 7, v2
	v_ffbh_u32_e32 v16, v14
	v_min_u32_e32 v19, 32, v16
	v_subrev_u32_e32 v16, 28, v19
	v_lshlrev_b64 v[16:17], v16, v[2:3]
	v_lshrrev_b32_e32 v18, 3, v5
	v_sub_u32_e32 v17, 29, v19
	v_and_b32_e32 v16, 7, v16
	v_cmp_gt_u32_e32 vcc, 8, v5
	v_cndmask_b32_e32 v5, v18, v17, vcc
	v_cndmask_b32_e32 v14, v14, v16, vcc
	v_lshlrev_b32_e32 v2, 24, v2
	v_bfrev_b32_e32 v16, 60
	v_lshlrev_b32_e32 v14, 20, v14
	v_and_b32_e32 v2, 0x80000000, v2
	v_lshl_add_u32 v5, v5, 23, v16
	v_or3_b32 v2, v2, v5, v14
	v_lshrrev_b32_e32 v14, 16, v2
.LBB853_781:
	s_or_b64 exec, exec, s[10:11]
.LBB853_782:
	s_or_b64 exec, exec, s[8:9]
.LBB853_783:
	s_or_b64 exec, exec, s[2:3]
	s_mov_b32 s3, 0x5040100
	v_perm_b32 v11, v11, v12, s3
	ds_read_b128 v[16:19], v22 offset:6160
	v_perm_b32 v10, v3, v10, s3
	v_perm_b32 v3, v14, v15, s3
	;; [unrolled: 1-line block ×3, first 2 shown]
	s_waitcnt lgkmcnt(0)
	v_mfma_f32_16x16x16bf16_1k v[6:9], v[10:11], v[16:17], v[6:9]
	s_load_dword s2, s[42:43], 0x0
	s_mov_b32 s3, 0x7060302
	s_movk_i32 s7, 0x7fff
	v_cmp_gt_u32_e32 vcc, 64, v0
	s_and_b64 s[0:1], vcc, s[0:1]
	s_waitcnt lgkmcnt(0)
	s_barrier
	v_mfma_f32_16x16x16bf16_1k v[2:5], v[2:3], v[18:19], v[6:9]
	s_nop 7
	s_nop 2
	v_pk_mul_f32 v[4:5], v[4:5], s[2:3] op_sel_hi:[1,0]
	v_pk_mul_f32 v[2:3], v[2:3], s[2:3] op_sel_hi:[1,0]
	v_bfe_u32 v6, v3, 16, 1
	v_bfe_u32 v7, v2, 16, 1
	;; [unrolled: 1-line block ×4, first 2 shown]
	v_add3_u32 v2, v2, v7, s7
	v_add3_u32 v3, v3, v6, s7
	;; [unrolled: 1-line block ×4, first 2 shown]
	v_perm_b32 v2, v3, v2, s3
	v_perm_b32 v3, v5, v4, s3
	ds_write_b64 v28, v[2:3]
	s_waitcnt lgkmcnt(0)
	s_barrier
	s_and_saveexec_b64 s[2:3], s[0:1]
	s_cbranch_execz .LBB853_785
; %bb.784:
	s_load_dwordx2 s[0:1], s[4:5], 0x68
	s_lshl_b32 s4, s44, 6
	s_mul_i32 s2, s12, s6
	s_mul_hi_u32 s3, s2, s4
	s_mul_i32 s2, s2, s4
	s_lshl_b64 s[2:3], s[2:3], 1
	s_waitcnt lgkmcnt(0)
	s_add_u32 s2, s0, s2
	s_addc_u32 s3, s1, s3
	s_lshl_b32 s0, s24, 6
	s_mov_b32 s1, 0
	v_lshlrev_b32_e32 v0, 10, v0
	s_lshl_b64 s[0:1], s[0:1], 1
	v_and_b32_e32 v0, 0x1800, v0
	v_lshlrev_b32_e32 v2, 5, v1
	v_and_b32_e32 v3, 16, v47
	s_add_u32 s0, s2, s0
	v_or3_b32 v0, v0, v2, v3
	s_addc_u32 s1, s3, s1
	ds_read_b128 v[2:5], v0
	ds_read_b128 v[6:9], v0 offset:128
	v_mov_b32_e32 v0, s1
	v_add_co_u32_e32 v10, vcc, s0, v46
	v_or_b32_e32 v12, s25, v1
	v_addc_co_u32_e32 v11, vcc, 0, v0, vcc
	v_mad_u64_u32 v[0:1], s[0:1], v12, s4, 0
	v_lshlrev_b64 v[0:1], 1, v[0:1]
	v_add_co_u32_e32 v0, vcc, v10, v0
	v_addc_co_u32_e32 v1, vcc, v11, v1, vcc
	s_waitcnt lgkmcnt(1)
	global_store_dwordx4 v[0:1], v[2:5], off
	v_or_b32_e32 v0, 4, v12
	v_mad_u64_u32 v[0:1], s[0:1], v0, s4, 0
	v_lshlrev_b64 v[0:1], 1, v[0:1]
	v_add_co_u32_e32 v0, vcc, v10, v0
	v_addc_co_u32_e32 v1, vcc, v11, v1, vcc
	s_waitcnt lgkmcnt(0)
	global_store_dwordx4 v[0:1], v[6:9], off
.LBB853_785:
	s_endpgm
	.section	.rodata,"a",@progbits
	.p2align	6, 0x0
	.amdhsa_kernel _Z39paged_attention_ll4mi_QKV_mfma16_kernelI14__hip_bfloat16hLN4vllm18Fp8KVCacheDataTypeE1ES0_Li16ELi64ELi256ELb0ELi8EL8MFMAType0EEvPKT_PKT0_S9_ifPKiSB_SB_iPKfiiiPfSE_PS4_PT2_iSD_SD_
		.amdhsa_group_segment_fixed_size 8192
		.amdhsa_private_segment_fixed_size 0
		.amdhsa_kernarg_size 400
		.amdhsa_user_sgpr_count 6
		.amdhsa_user_sgpr_private_segment_buffer 1
		.amdhsa_user_sgpr_dispatch_ptr 0
		.amdhsa_user_sgpr_queue_ptr 0
		.amdhsa_user_sgpr_kernarg_segment_ptr 1
		.amdhsa_user_sgpr_dispatch_id 0
		.amdhsa_user_sgpr_flat_scratch_init 0
		.amdhsa_user_sgpr_kernarg_preload_length 0
		.amdhsa_user_sgpr_kernarg_preload_offset 0
		.amdhsa_user_sgpr_private_segment_size 0
		.amdhsa_uses_dynamic_stack 0
		.amdhsa_system_sgpr_private_segment_wavefront_offset 0
		.amdhsa_system_sgpr_workgroup_id_x 1
		.amdhsa_system_sgpr_workgroup_id_y 1
		.amdhsa_system_sgpr_workgroup_id_z 1
		.amdhsa_system_sgpr_workgroup_info 0
		.amdhsa_system_vgpr_workitem_id 0
		.amdhsa_next_free_vgpr 61
		.amdhsa_next_free_sgpr 47
		.amdhsa_accum_offset 64
		.amdhsa_reserve_vcc 1
		.amdhsa_reserve_flat_scratch 0
		.amdhsa_float_round_mode_32 0
		.amdhsa_float_round_mode_16_64 0
		.amdhsa_float_denorm_mode_32 3
		.amdhsa_float_denorm_mode_16_64 3
		.amdhsa_dx10_clamp 1
		.amdhsa_ieee_mode 1
		.amdhsa_fp16_overflow 0
		.amdhsa_tg_split 0
		.amdhsa_exception_fp_ieee_invalid_op 0
		.amdhsa_exception_fp_denorm_src 0
		.amdhsa_exception_fp_ieee_div_zero 0
		.amdhsa_exception_fp_ieee_overflow 0
		.amdhsa_exception_fp_ieee_underflow 0
		.amdhsa_exception_fp_ieee_inexact 0
		.amdhsa_exception_int_div_zero 0
	.end_amdhsa_kernel
	.section	.text._Z39paged_attention_ll4mi_QKV_mfma16_kernelI14__hip_bfloat16hLN4vllm18Fp8KVCacheDataTypeE1ES0_Li16ELi64ELi256ELb0ELi8EL8MFMAType0EEvPKT_PKT0_S9_ifPKiSB_SB_iPKfiiiPfSE_PS4_PT2_iSD_SD_,"axG",@progbits,_Z39paged_attention_ll4mi_QKV_mfma16_kernelI14__hip_bfloat16hLN4vllm18Fp8KVCacheDataTypeE1ES0_Li16ELi64ELi256ELb0ELi8EL8MFMAType0EEvPKT_PKT0_S9_ifPKiSB_SB_iPKfiiiPfSE_PS4_PT2_iSD_SD_,comdat
.Lfunc_end853:
	.size	_Z39paged_attention_ll4mi_QKV_mfma16_kernelI14__hip_bfloat16hLN4vllm18Fp8KVCacheDataTypeE1ES0_Li16ELi64ELi256ELb0ELi8EL8MFMAType0EEvPKT_PKT0_S9_ifPKiSB_SB_iPKfiiiPfSE_PS4_PT2_iSD_SD_, .Lfunc_end853-_Z39paged_attention_ll4mi_QKV_mfma16_kernelI14__hip_bfloat16hLN4vllm18Fp8KVCacheDataTypeE1ES0_Li16ELi64ELi256ELb0ELi8EL8MFMAType0EEvPKT_PKT0_S9_ifPKiSB_SB_iPKfiiiPfSE_PS4_PT2_iSD_SD_
                                        ; -- End function
	.section	.AMDGPU.csdata,"",@progbits
; Kernel info:
; codeLenInByte = 28252
; NumSgprs: 51
; NumVgprs: 61
; NumAgprs: 0
; TotalNumVgprs: 61
; ScratchSize: 0
; MemoryBound: 0
; FloatMode: 240
; IeeeMode: 1
; LDSByteSize: 8192 bytes/workgroup (compile time only)
; SGPRBlocks: 6
; VGPRBlocks: 7
; NumSGPRsForWavesPerEU: 51
; NumVGPRsForWavesPerEU: 61
; AccumOffset: 64
; Occupancy: 8
; WaveLimiterHint : 1
; COMPUTE_PGM_RSRC2:SCRATCH_EN: 0
; COMPUTE_PGM_RSRC2:USER_SGPR: 6
; COMPUTE_PGM_RSRC2:TRAP_HANDLER: 0
; COMPUTE_PGM_RSRC2:TGID_X_EN: 1
; COMPUTE_PGM_RSRC2:TGID_Y_EN: 1
; COMPUTE_PGM_RSRC2:TGID_Z_EN: 1
; COMPUTE_PGM_RSRC2:TIDIG_COMP_CNT: 0
; COMPUTE_PGM_RSRC3_GFX90A:ACCUM_OFFSET: 15
; COMPUTE_PGM_RSRC3_GFX90A:TG_SPLIT: 0
	.section	.text._Z39paged_attention_ll4mi_QKV_mfma16_kernelI14__hip_bfloat16hLN4vllm18Fp8KVCacheDataTypeE1ES0_Li16ELi64ELi256ELb0ELi9EL8MFMAType0EEvPKT_PKT0_S9_ifPKiSB_SB_iPKfiiiPfSE_PS4_PT2_iSD_SD_,"axG",@progbits,_Z39paged_attention_ll4mi_QKV_mfma16_kernelI14__hip_bfloat16hLN4vllm18Fp8KVCacheDataTypeE1ES0_Li16ELi64ELi256ELb0ELi9EL8MFMAType0EEvPKT_PKT0_S9_ifPKiSB_SB_iPKfiiiPfSE_PS4_PT2_iSD_SD_,comdat
	.protected	_Z39paged_attention_ll4mi_QKV_mfma16_kernelI14__hip_bfloat16hLN4vllm18Fp8KVCacheDataTypeE1ES0_Li16ELi64ELi256ELb0ELi9EL8MFMAType0EEvPKT_PKT0_S9_ifPKiSB_SB_iPKfiiiPfSE_PS4_PT2_iSD_SD_ ; -- Begin function _Z39paged_attention_ll4mi_QKV_mfma16_kernelI14__hip_bfloat16hLN4vllm18Fp8KVCacheDataTypeE1ES0_Li16ELi64ELi256ELb0ELi9EL8MFMAType0EEvPKT_PKT0_S9_ifPKiSB_SB_iPKfiiiPfSE_PS4_PT2_iSD_SD_
	.globl	_Z39paged_attention_ll4mi_QKV_mfma16_kernelI14__hip_bfloat16hLN4vllm18Fp8KVCacheDataTypeE1ES0_Li16ELi64ELi256ELb0ELi9EL8MFMAType0EEvPKT_PKT0_S9_ifPKiSB_SB_iPKfiiiPfSE_PS4_PT2_iSD_SD_
	.p2align	8
	.type	_Z39paged_attention_ll4mi_QKV_mfma16_kernelI14__hip_bfloat16hLN4vllm18Fp8KVCacheDataTypeE1ES0_Li16ELi64ELi256ELb0ELi9EL8MFMAType0EEvPKT_PKT0_S9_ifPKiSB_SB_iPKfiiiPfSE_PS4_PT2_iSD_SD_,@function
_Z39paged_attention_ll4mi_QKV_mfma16_kernelI14__hip_bfloat16hLN4vllm18Fp8KVCacheDataTypeE1ES0_Li16ELi64ELi256ELb0ELi9EL8MFMAType0EEvPKT_PKT0_S9_ifPKiSB_SB_iPKfiiiPfSE_PS4_PT2_iSD_SD_: ; @_Z39paged_attention_ll4mi_QKV_mfma16_kernelI14__hip_bfloat16hLN4vllm18Fp8KVCacheDataTypeE1ES0_Li16ELi64ELi256ELb0ELi9EL8MFMAType0EEvPKT_PKT0_S9_ifPKiSB_SB_iPKfiiiPfSE_PS4_PT2_iSD_SD_
; %bb.0:
	s_load_dwordx2 s[0:1], s[4:5], 0x30
	s_mov_b32 s24, s7
	s_mov_b64 s[10:11], 0
	s_waitcnt lgkmcnt(0)
	s_cmp_lg_u64 s[0:1], 0
	s_cselect_b64 s[2:3], -1, 0
	s_and_b64 vcc, exec, s[2:3]
	s_cbranch_vccz .LBB854_7
; %bb.1:
	s_add_i32 s12, s6, 1
	s_mov_b32 s13, 0
	s_lshl_b64 s[14:15], s[12:13], 2
	s_add_u32 s14, s0, s14
	s_mov_b32 s7, s13
	s_addc_u32 s15, s1, s15
	s_lshl_b64 s[12:13], s[6:7], 2
	s_add_u32 s12, s0, s12
	s_addc_u32 s13, s1, s13
	s_load_dword s9, s[14:15], 0x0
	s_load_dword s16, s[12:13], 0x0
	s_waitcnt lgkmcnt(0)
	s_sub_i32 s9, s9, s16
	s_cmp_eq_u32 s9, 1
	s_cselect_b64 s[12:13], -1, 0
	s_andn2_b64 vcc, exec, s[10:11]
	s_cbranch_vccnz .LBB854_3
.LBB854_2:
	s_mov_b32 s7, 0
	s_mov_b64 s[12:13], -1
.LBB854_3:
	s_andn2_b64 vcc, exec, s[12:13]
	s_cbranch_vccnz .LBB854_786
; %bb.4:
	s_load_dwordx2 s[12:13], s[4:5], 0x28
	s_lshl_b64 s[10:11], s[6:7], 2
	s_waitcnt lgkmcnt(0)
	s_add_u32 s12, s12, s10
	s_addc_u32 s13, s13, s11
	s_load_dword s33, s[12:13], 0x0
	s_lshl_b32 s20, s24, 8
	s_waitcnt lgkmcnt(0)
	s_cmp_ge_i32 s20, s33
	s_cbranch_scc1 .LBB854_786
; %bb.5:
	s_add_i32 s14, s33, 15
	s_load_dwordx2 s[12:13], s[4:5], 0x20
	s_load_dword s9, s[4:5], 0x38
	s_ashr_i32 s15, s14, 31
	v_and_b32_e32 v1, 0xcf, v0
	s_lshr_b32 s15, s15, 28
	v_add_u32_e32 v1, s20, v1
	s_add_i32 s14, s14, s15
	v_ashrrev_i32_e32 v2, 31, v1
	s_ashr_i32 s22, s14, 4
	v_lshrrev_b32_e32 v4, 28, v2
	s_add_i32 s22, s22, -1
	v_add_u32_e32 v2, v1, v4
	s_waitcnt lgkmcnt(0)
	s_mul_i32 s14, s6, s9
	s_mov_b32 s15, 0
	v_ashrrev_i32_e32 v2, 4, v2
	v_mov_b32_e32 v5, s22
	v_cmp_gt_i32_e32 vcc, s33, v1
	s_lshl_b64 s[14:15], s[14:15], 2
	v_cndmask_b32_e32 v2, v5, v2, vcc
	s_add_u32 s9, s12, s14
	v_ashrrev_i32_e32 v3, 31, v2
	s_addc_u32 s21, s13, s15
	v_lshlrev_b64 v[2:3], 2, v[2:3]
	v_mov_b32_e32 v7, s21
	v_add_co_u32_e32 v6, vcc, s9, v2
	v_or_b32_e32 v2, 16, v1
	v_addc_co_u32_e32 v7, vcc, v7, v3, vcc
	v_add_u32_e32 v3, v2, v4
	v_ashrrev_i32_e32 v3, 4, v3
	v_cmp_gt_i32_e32 vcc, s33, v2
	v_cndmask_b32_e32 v2, v5, v3, vcc
	v_ashrrev_i32_e32 v3, 31, v2
	v_lshlrev_b64 v[2:3], 2, v[2:3]
	v_mov_b32_e32 v9, s21
	v_add_co_u32_e32 v8, vcc, s9, v2
	v_or_b32_e32 v2, 32, v1
	v_addc_co_u32_e32 v9, vcc, v9, v3, vcc
	v_add_u32_e32 v3, v2, v4
	v_ashrrev_i32_e32 v3, 4, v3
	v_cmp_gt_i32_e32 vcc, s33, v2
	v_cndmask_b32_e32 v2, v5, v3, vcc
	v_ashrrev_i32_e32 v3, 31, v2
	;; [unrolled: 10-line block ×3, first 2 shown]
	v_lshlrev_b64 v[2:3], 2, v[2:3]
	v_mov_b32_e32 v1, s21
	v_add_co_u32_e32 v12, vcc, s9, v2
	v_addc_co_u32_e32 v13, vcc, v1, v3, vcc
	global_load_dword v4, v[6:7], off
	global_load_dword v5, v[8:9], off
	;; [unrolled: 1-line block ×4, first 2 shown]
	s_load_dwordx4 s[12:15], s[4:5], 0x8
	s_andn2_b64 vcc, exec, s[2:3]
	s_cbranch_vccnz .LBB854_8
; %bb.6:
	s_add_u32 s0, s0, s10
	s_addc_u32 s1, s1, s11
	s_load_dword s10, s[0:1], 0x0
	s_branch .LBB854_9
.LBB854_7:
	s_mov_b64 s[12:13], 0
	s_branch .LBB854_2
.LBB854_8:
	s_mov_b32 s10, s6
.LBB854_9:
	s_load_dwordx4 s[16:19], s[4:5], 0x48
	v_lshrrev_b32_e32 v49, 6, v0
	v_bfe_u32 v1, v0, 4, 2
	v_lshl_or_b32 v6, v49, 2, v1
	v_and_b32_e32 v48, 15, v0
	v_lshlrev_b32_e32 v7, 3, v48
	v_cmp_gt_u32_e32 vcc, 9, v6
	v_cmp_gt_u32_e64 s[0:1], 8, v48
	s_mul_i32 s25, s8, 9
	s_and_b64 s[26:27], s[0:1], vcc
	v_lshlrev_b32_e32 v46, 1, v7
	v_lshlrev_b32_e32 v47, 4, v0
	s_and_saveexec_b64 s[2:3], s[26:27]
	s_cbranch_execz .LBB854_11
; %bb.10:
	s_load_dwordx2 s[26:27], s[4:5], 0x0
	s_waitcnt lgkmcnt(0)
	s_ashr_i32 s11, s16, 31
	s_mul_hi_u32 s19, s10, s16
	s_mul_i32 s11, s10, s11
	s_add_i32 s11, s19, s11
	s_mul_i32 s10, s10, s16
	s_lshl_b64 s[10:11], s[10:11], 1
	v_add_lshl_u32 v8, v6, s25, 6
	s_add_u32 s10, s26, s10
	v_ashrrev_i32_e32 v9, 31, v8
	s_addc_u32 s11, s27, s11
	v_lshlrev_b64 v[8:9], 1, v[8:9]
	v_mov_b32_e32 v7, s11
	v_add_co_u32_e32 v8, vcc, s10, v8
	v_addc_co_u32_e32 v7, vcc, v7, v9, vcc
	v_add_co_u32_e32 v8, vcc, v8, v46
	v_addc_co_u32_e32 v9, vcc, 0, v7, vcc
	global_load_dwordx4 v[8:11], v[8:9], off
	v_lshlrev_b32_e32 v12, 8, v48
	v_lshlrev_b32_e32 v6, 5, v6
	v_and_b32_e32 v7, 16, v47
	v_and_b32_e32 v12, 0xe00, v12
	v_or3_b32 v6, v12, v6, v7
	s_waitcnt vmcnt(0)
	ds_write_b128 v6, v[8:11]
.LBB854_11:
	s_or_b64 exec, exec, s[2:3]
	v_and_b32_e32 v12, 48, v0
	v_or_b32_e32 v13, s20, v12
	v_ashrrev_i32_e32 v6, 4, v13
	v_mov_b32_e32 v14, s22
	v_cmp_gt_i32_e32 vcc, s33, v13
	v_cndmask_b32_e32 v6, v14, v6, vcc
	v_ashrrev_i32_e32 v7, 31, v6
	v_lshlrev_b64 v[6:7], 2, v[6:7]
	v_mov_b32_e32 v8, s21
	v_add_co_u32_e32 v6, vcc, s9, v6
	v_addc_co_u32_e32 v7, vcc, v8, v7, vcc
	v_or_b32_e32 v8, 64, v13
	v_ashrrev_i32_e32 v9, 4, v8
	v_cmp_gt_i32_e32 vcc, s33, v8
	v_cndmask_b32_e32 v8, v14, v9, vcc
	v_ashrrev_i32_e32 v9, 31, v8
	v_lshlrev_b64 v[8:9], 2, v[8:9]
	v_mov_b32_e32 v10, s21
	v_add_co_u32_e32 v8, vcc, s9, v8
	v_addc_co_u32_e32 v9, vcc, v10, v9, vcc
	v_or_b32_e32 v10, 0x80, v13
	v_ashrrev_i32_e32 v11, 4, v10
	v_cmp_gt_i32_e32 vcc, s33, v10
	v_cndmask_b32_e32 v10, v14, v11, vcc
	v_ashrrev_i32_e32 v11, 31, v10
	v_lshlrev_b64 v[10:11], 2, v[10:11]
	v_mov_b32_e32 v15, s21
	v_add_co_u32_e32 v10, vcc, s9, v10
	s_load_dwordx2 s[44:45], s[4:5], 0x94
	s_load_dwordx4 s[40:43], s[4:5], 0x80
	s_waitcnt lgkmcnt(0)
	s_barrier
	v_addc_co_u32_e32 v11, vcc, v15, v11, vcc
	global_load_dword v15, v[6:7], off
	global_load_dword v16, v[8:9], off
	;; [unrolled: 1-line block ×3, first 2 shown]
	v_or_b32_e32 v6, 0xc0, v13
	v_ashrrev_i32_e32 v7, 4, v6
	v_cmp_gt_i32_e32 vcc, s33, v6
	v_cndmask_b32_e32 v6, v14, v7, vcc
	v_ashrrev_i32_e32 v7, 31, v6
	v_lshlrev_b64 v[6:7], 2, v[6:7]
	v_mov_b32_e32 v8, s21
	v_add_co_u32_e32 v6, vcc, s9, v6
	v_addc_co_u32_e32 v7, vcc, v8, v7, vcc
	global_load_dword v20, v[6:7], off
	s_mul_i32 s8, s8, s18
	s_add_u32 s2, s12, s8
	s_addc_u32 s3, s13, 0
	v_and_b32_e32 v6, 0xf0, v47
	v_mov_b32_e32 v7, s3
	v_add_co_u32_e32 v6, vcc, s2, v6
	v_addc_co_u32_e32 v7, vcc, 0, v7, vcc
	v_lshlrev_b32_e32 v8, 4, v12
	v_add_co_u32_e32 v6, vcc, v6, v8
	v_addc_co_u32_e32 v7, vcc, 0, v7, vcc
	s_waitcnt vmcnt(7)
	v_mad_i64_i32 v[8:9], s[2:3], v4, s17, v[6:7]
	s_waitcnt vmcnt(6)
	v_mad_i64_i32 v[4:5], s[2:3], v5, s17, v[6:7]
	global_load_dwordx4 v[30:33], v[8:9], off
	global_load_dwordx4 v[38:41], v[4:5], off
	s_waitcnt vmcnt(7)
	v_mad_i64_i32 v[4:5], s[2:3], v2, s17, v[6:7]
	s_waitcnt vmcnt(6)
	v_mad_i64_i32 v[2:3], s[2:3], v3, s17, v[6:7]
	global_load_dwordx4 v[34:37], v[4:5], off
	global_load_dwordx4 v[22:25], v[2:3], off
	s_add_u32 s2, s14, s8
	v_lshlrev_b32_e32 v2, 4, v48
	s_addc_u32 s3, s15, 0
	v_lshl_or_b32 v2, v49, 8, v2
	v_mov_b32_e32 v3, s3
	v_add_co_u32_e32 v2, vcc, s2, v2
	v_addc_co_u32_e32 v3, vcc, 0, v3, vcc
	v_cmp_gt_u32_e32 vcc, 9, v48
	v_mov_b32_e32 v44, 0
	v_mov_b32_e32 v43, 0
	s_movk_i32 s8, 0x80
	s_waitcnt vmcnt(7)
	v_mad_i64_i32 v[4:5], s[2:3], v15, s17, v[2:3]
	s_waitcnt vmcnt(6)
	v_mad_i64_i32 v[6:7], s[2:3], v16, s17, v[2:3]
	;; [unrolled: 2-line block ×3, first 2 shown]
	global_load_dwordx4 v[14:17], v[4:5], off
	global_load_dwordx4 v[10:13], v[6:7], off
	s_waitcnt vmcnt(6)
	v_mad_i64_i32 v[20:21], s[2:3], v20, s17, v[2:3]
	global_load_dwordx4 v[6:9], v[18:19], off
	global_load_dwordx4 v[2:5], v[20:21], off
	v_add_u32_e32 v18, -9, v48
	v_cndmask_b32_e32 v18, v18, v48, vcc
	v_lshlrev_b32_e32 v18, 5, v18
	v_lshl_add_u32 v18, v1, 9, v18
	ds_read_b128 v[26:29], v18
	ds_read_b128 v[18:21], v18 offset:16
	s_load_dword s12, s[40:41], 0x0
	s_waitcnt vmcnt(7)
	v_cmp_ne_u16_sdwa s[10:11], v30, v44 src0_sel:BYTE_0 src1_sel:DWORD
	s_and_saveexec_b64 s[2:3], s[10:11]
	s_cbranch_execz .LBB854_17
; %bb.12:
	v_cmp_ne_u16_sdwa s[10:11], v30, s8 src0_sel:BYTE_0 src1_sel:DWORD
	v_mov_b32_e32 v43, 0xffff8000
	s_and_saveexec_b64 s[8:9], s[10:11]
	s_cbranch_execz .LBB854_16
; %bb.13:
	s_movk_i32 s10, 0x7f
	v_and_b32_e32 v42, 0x7f, v30
	v_cmp_ne_u32_e32 vcc, s10, v42
	v_mov_b32_e32 v43, 0x7f80
	s_and_saveexec_b64 s[10:11], vcc
	s_cbranch_execz .LBB854_15
; %bb.14:
	v_and_b32_e32 v43, 7, v30
	v_ffbh_u32_e32 v50, v43
	v_min_u32_e32 v52, 32, v50
	v_subrev_u32_e32 v50, 28, v52
	v_lshlrev_b64 v[50:51], v50, v[30:31]
	v_lshrrev_b32_e32 v45, 3, v42
	v_sub_u32_e32 v51, 29, v52
	v_and_b32_e32 v50, 7, v50
	v_cmp_gt_u32_e32 vcc, 8, v42
	v_cndmask_b32_e32 v42, v45, v51, vcc
	v_cndmask_b32_e32 v43, v43, v50, vcc
	v_lshlrev_b32_e32 v45, 24, v30
	v_bfrev_b32_e32 v50, 60
	v_lshlrev_b32_e32 v43, 20, v43
	v_and_b32_e32 v45, 0x80000000, v45
	v_lshl_add_u32 v42, v42, 23, v50
	v_or3_b32 v42, v45, v42, v43
	v_lshrrev_b32_e32 v43, 16, v42
.LBB854_15:
	s_or_b64 exec, exec, s[10:11]
.LBB854_16:
	s_or_b64 exec, exec, s[8:9]
.LBB854_17:
	s_or_b64 exec, exec, s[2:3]
	v_lshrrev_b16_e32 v42, 8, v30
	v_cmp_ne_u16_e32 vcc, 0, v42
	s_and_saveexec_b64 s[2:3], vcc
	s_cbranch_execz .LBB854_23
; %bb.18:
	s_movk_i32 s8, 0x80
	v_cmp_ne_u16_e32 vcc, s8, v42
	v_mov_b32_e32 v44, 0xffff8000
	s_and_saveexec_b64 s[8:9], vcc
	s_cbranch_execz .LBB854_22
; %bb.19:
	s_movk_i32 s10, 0x7f
	v_and_b32_e32 v45, 0x7f, v42
	v_cmp_ne_u32_e32 vcc, s10, v45
	v_mov_b32_e32 v44, 0x7f80
	s_and_saveexec_b64 s[10:11], vcc
	s_cbranch_execz .LBB854_21
; %bb.20:
	v_and_b32_e32 v44, 7, v42
	v_ffbh_u32_e32 v50, v44
	v_min_u32_e32 v53, 32, v50
	v_subrev_u32_e32 v50, 28, v53
	v_lshlrev_b64 v[50:51], v50, v[42:43]
	v_lshrrev_b32_e32 v52, 3, v45
	v_sub_u32_e32 v42, 29, v53
	v_and_b32_e32 v50, 7, v50
	v_cmp_gt_u32_e32 vcc, 8, v45
	v_cndmask_b32_e32 v42, v52, v42, vcc
	v_cndmask_b32_e32 v44, v44, v50, vcc
	v_lshlrev_b32_e32 v45, 16, v30
	v_bfrev_b32_e32 v50, 60
	v_lshlrev_b32_e32 v44, 20, v44
	v_and_b32_e32 v45, 0x80000000, v45
	v_lshl_add_u32 v42, v42, 23, v50
	v_or3_b32 v42, v45, v42, v44
	v_lshrrev_b32_e32 v44, 16, v42
.LBB854_21:
	s_or_b64 exec, exec, s[10:11]
.LBB854_22:
	s_or_b64 exec, exec, s[8:9]
.LBB854_23:
	s_or_b64 exec, exec, s[2:3]
	s_movk_i32 s2, 0xff
	v_and_b32_sdwa v51, v30, s2 dst_sel:DWORD dst_unused:UNUSED_PAD src0_sel:WORD_1 src1_sel:DWORD
	v_lshrrev_b32_e32 v42, 16, v30
	v_cmp_ne_u16_e32 vcc, 0, v51
	v_mov_b32_e32 v45, 0
	v_mov_b32_e32 v50, 0
	s_and_saveexec_b64 s[2:3], vcc
	s_cbranch_execz .LBB854_29
; %bb.24:
	s_movk_i32 s8, 0x80
	v_cmp_ne_u16_e32 vcc, s8, v51
	v_mov_b32_e32 v50, 0xffff8000
	s_and_saveexec_b64 s[8:9], vcc
	s_cbranch_execz .LBB854_28
; %bb.25:
	v_bfe_u32 v51, v30, 16, 7
	s_movk_i32 s10, 0x7f
	v_cmp_ne_u32_e32 vcc, s10, v51
	v_mov_b32_e32 v50, 0x7f80
	s_and_saveexec_b64 s[10:11], vcc
	s_cbranch_execz .LBB854_27
; %bb.26:
	v_and_b32_e32 v50, 7, v42
	v_ffbh_u32_e32 v52, v50
	v_min_u32_e32 v55, 32, v52
	v_subrev_u32_e32 v52, 28, v55
	v_lshlrev_b64 v[52:53], v52, v[42:43]
	v_lshrrev_b32_e32 v54, 3, v51
	v_sub_u32_e32 v42, 29, v55
	v_and_b32_e32 v52, 7, v52
	v_cmp_gt_u32_e32 vcc, 8, v51
	v_mov_b32_e32 v51, 24
	v_cndmask_b32_e32 v42, v54, v42, vcc
	v_cndmask_b32_e32 v50, v50, v52, vcc
	v_lshlrev_b32_sdwa v51, v51, v30 dst_sel:DWORD dst_unused:UNUSED_PAD src0_sel:DWORD src1_sel:WORD_1
	v_bfrev_b32_e32 v52, 60
	v_lshlrev_b32_e32 v50, 20, v50
	v_and_b32_e32 v51, 0x80000000, v51
	v_lshl_add_u32 v42, v42, 23, v52
	v_or3_b32 v42, v51, v42, v50
	v_lshrrev_b32_e32 v50, 16, v42
.LBB854_27:
	s_or_b64 exec, exec, s[10:11]
.LBB854_28:
	s_or_b64 exec, exec, s[8:9]
.LBB854_29:
	s_or_b64 exec, exec, s[2:3]
	s_mov_b32 s2, 0xffffff
	v_cmp_lt_u32_e32 vcc, s2, v30
	s_and_saveexec_b64 s[2:3], vcc
	s_cbranch_execz .LBB854_35
; %bb.30:
	v_lshrrev_b32_e32 v42, 24, v30
	s_movk_i32 s8, 0x80
	v_cmp_ne_u32_e32 vcc, s8, v42
	v_mov_b32_e32 v45, 0xffff8000
	s_and_saveexec_b64 s[8:9], vcc
	s_cbranch_execz .LBB854_34
; %bb.31:
	v_bfe_u32 v30, v30, 24, 7
	s_movk_i32 s10, 0x7f
	v_cmp_ne_u32_e32 vcc, s10, v30
	v_mov_b32_e32 v45, 0x7f80
	s_and_saveexec_b64 s[10:11], vcc
	s_cbranch_execz .LBB854_33
; %bb.32:
	v_and_b32_e32 v45, 7, v42
	v_ffbh_u32_e32 v52, v45
	v_min_u32_e32 v54, 32, v52
	v_subrev_u32_e32 v52, 28, v54
	v_lshlrev_b64 v[52:53], v52, v[42:43]
	v_lshrrev_b32_e32 v51, 3, v30
	v_sub_u32_e32 v53, 29, v54
	v_and_b32_e32 v52, 7, v52
	v_cmp_gt_u32_e32 vcc, 8, v30
	v_cndmask_b32_e32 v30, v51, v53, vcc
	v_cndmask_b32_e32 v45, v45, v52, vcc
	v_lshlrev_b32_e32 v42, 24, v42
	v_bfrev_b32_e32 v51, 60
	v_lshlrev_b32_e32 v45, 20, v45
	v_and_b32_e32 v42, 0x80000000, v42
	v_lshl_add_u32 v30, v30, 23, v51
	v_or3_b32 v30, v42, v30, v45
	v_lshrrev_b32_e32 v45, 16, v30
.LBB854_33:
	s_or_b64 exec, exec, s[10:11]
.LBB854_34:
	s_or_b64 exec, exec, s[8:9]
.LBB854_35:
	s_or_b64 exec, exec, s[2:3]
	v_mov_b32_e32 v42, 0
	v_cmp_ne_u16_sdwa s[8:9], v31, v42 src0_sel:BYTE_0 src1_sel:DWORD
	v_mov_b32_e32 v51, 0
	s_and_saveexec_b64 s[2:3], s[8:9]
	s_cbranch_execz .LBB854_41
; %bb.36:
	s_movk_i32 s8, 0x80
	v_cmp_ne_u16_sdwa s[10:11], v31, s8 src0_sel:BYTE_0 src1_sel:DWORD
	v_mov_b32_e32 v51, 0xffff8000
	s_and_saveexec_b64 s[8:9], s[10:11]
	s_cbranch_execz .LBB854_40
; %bb.37:
	s_movk_i32 s10, 0x7f
	v_and_b32_e32 v30, 0x7f, v31
	v_cmp_ne_u32_e32 vcc, s10, v30
	v_mov_b32_e32 v51, 0x7f80
	s_and_saveexec_b64 s[10:11], vcc
	s_cbranch_execz .LBB854_39
; %bb.38:
	v_and_b32_e32 v51, 7, v31
	v_ffbh_u32_e32 v53, v51
	v_min_u32_e32 v55, 32, v53
	v_mov_b32_e32 v52, v31
	v_subrev_u32_e32 v53, 28, v55
	v_lshlrev_b64 v[52:53], v53, v[52:53]
	v_lshrrev_b32_e32 v54, 3, v30
	v_sub_u32_e32 v53, 29, v55
	v_and_b32_e32 v52, 7, v52
	v_cmp_gt_u32_e32 vcc, 8, v30
	v_cndmask_b32_e32 v30, v54, v53, vcc
	v_cndmask_b32_e32 v51, v51, v52, vcc
	v_lshlrev_b32_e32 v52, 24, v31
	v_bfrev_b32_e32 v53, 60
	v_lshlrev_b32_e32 v51, 20, v51
	v_and_b32_e32 v52, 0x80000000, v52
	v_lshl_add_u32 v30, v30, 23, v53
	v_or3_b32 v30, v52, v30, v51
	v_lshrrev_b32_e32 v51, 16, v30
.LBB854_39:
	s_or_b64 exec, exec, s[10:11]
.LBB854_40:
	s_or_b64 exec, exec, s[8:9]
.LBB854_41:
	s_or_b64 exec, exec, s[2:3]
	v_lshrrev_b16_e32 v30, 8, v31
	v_cmp_ne_u16_e32 vcc, 0, v30
	s_and_saveexec_b64 s[2:3], vcc
	s_cbranch_execz .LBB854_47
; %bb.42:
	s_movk_i32 s8, 0x80
	v_cmp_ne_u16_e32 vcc, s8, v30
	v_mov_b32_e32 v42, 0xffff8000
	s_and_saveexec_b64 s[8:9], vcc
	s_cbranch_execz .LBB854_46
; %bb.43:
	s_movk_i32 s10, 0x7f
	v_and_b32_e32 v52, 0x7f, v30
	v_cmp_ne_u32_e32 vcc, s10, v52
	v_mov_b32_e32 v42, 0x7f80
	s_and_saveexec_b64 s[10:11], vcc
	s_cbranch_execz .LBB854_45
; %bb.44:
	v_and_b32_e32 v42, 7, v30
	v_ffbh_u32_e32 v54, v42
	v_min_u32_e32 v56, 32, v54
	v_subrev_u32_e32 v54, 28, v56
	v_lshlrev_b64 v[54:55], v54, v[30:31]
	v_lshrrev_b32_e32 v53, 3, v52
	v_sub_u32_e32 v30, 29, v56
	v_and_b32_e32 v54, 7, v54
	v_cmp_gt_u32_e32 vcc, 8, v52
	v_cndmask_b32_e32 v30, v53, v30, vcc
	v_cndmask_b32_e32 v42, v42, v54, vcc
	v_lshlrev_b32_e32 v52, 16, v31
	v_bfrev_b32_e32 v53, 60
	v_lshlrev_b32_e32 v42, 20, v42
	v_and_b32_e32 v52, 0x80000000, v52
	v_lshl_add_u32 v30, v30, 23, v53
	v_or3_b32 v30, v52, v30, v42
	v_lshrrev_b32_e32 v42, 16, v30
.LBB854_45:
	s_or_b64 exec, exec, s[10:11]
.LBB854_46:
	s_or_b64 exec, exec, s[8:9]
.LBB854_47:
	s_or_b64 exec, exec, s[2:3]
	s_movk_i32 s2, 0xff
	v_and_b32_sdwa v54, v31, s2 dst_sel:DWORD dst_unused:UNUSED_PAD src0_sel:WORD_1 src1_sel:DWORD
	v_lshrrev_b32_e32 v30, 16, v31
	v_cmp_ne_u16_e32 vcc, 0, v54
	v_mov_b32_e32 v52, 0
	v_mov_b32_e32 v53, 0
	s_and_saveexec_b64 s[2:3], vcc
	s_cbranch_execz .LBB854_53
; %bb.48:
	s_movk_i32 s8, 0x80
	v_cmp_ne_u16_e32 vcc, s8, v54
	v_mov_b32_e32 v53, 0xffff8000
	s_and_saveexec_b64 s[8:9], vcc
	s_cbranch_execz .LBB854_52
; %bb.49:
	v_bfe_u32 v54, v31, 16, 7
	s_movk_i32 s10, 0x7f
	v_cmp_ne_u32_e32 vcc, s10, v54
	v_mov_b32_e32 v53, 0x7f80
	s_and_saveexec_b64 s[10:11], vcc
	s_cbranch_execz .LBB854_51
; %bb.50:
	v_and_b32_e32 v53, 7, v30
	v_ffbh_u32_e32 v56, v53
	v_min_u32_e32 v58, 32, v56
	v_subrev_u32_e32 v56, 28, v58
	v_lshlrev_b64 v[56:57], v56, v[30:31]
	v_lshrrev_b32_e32 v55, 3, v54
	v_sub_u32_e32 v30, 29, v58
	v_and_b32_e32 v56, 7, v56
	v_cmp_gt_u32_e32 vcc, 8, v54
	v_mov_b32_e32 v54, 24
	v_cndmask_b32_e32 v30, v55, v30, vcc
	v_cndmask_b32_e32 v53, v53, v56, vcc
	v_lshlrev_b32_sdwa v54, v54, v31 dst_sel:DWORD dst_unused:UNUSED_PAD src0_sel:DWORD src1_sel:WORD_1
	v_bfrev_b32_e32 v55, 60
	v_lshlrev_b32_e32 v53, 20, v53
	v_and_b32_e32 v54, 0x80000000, v54
	v_lshl_add_u32 v30, v30, 23, v55
	v_or3_b32 v30, v54, v30, v53
	v_lshrrev_b32_e32 v53, 16, v30
.LBB854_51:
	s_or_b64 exec, exec, s[10:11]
.LBB854_52:
	s_or_b64 exec, exec, s[8:9]
.LBB854_53:
	s_or_b64 exec, exec, s[2:3]
	s_mov_b32 s2, 0xffffff
	v_cmp_lt_u32_e32 vcc, s2, v31
	s_and_saveexec_b64 s[2:3], vcc
	s_cbranch_execz .LBB854_59
; %bb.54:
	v_lshrrev_b32_e32 v30, 24, v31
	s_movk_i32 s8, 0x80
	v_cmp_ne_u32_e32 vcc, s8, v30
	v_mov_b32_e32 v52, 0xffff8000
	s_and_saveexec_b64 s[8:9], vcc
	s_cbranch_execz .LBB854_58
; %bb.55:
	v_bfe_u32 v31, v31, 24, 7
	s_movk_i32 s10, 0x7f
	v_cmp_ne_u32_e32 vcc, s10, v31
	v_mov_b32_e32 v52, 0x7f80
	s_and_saveexec_b64 s[10:11], vcc
	s_cbranch_execz .LBB854_57
; %bb.56:
	v_and_b32_e32 v52, 7, v30
	v_ffbh_u32_e32 v54, v52
	v_min_u32_e32 v57, 32, v54
	v_subrev_u32_e32 v54, 28, v57
	v_lshlrev_b64 v[54:55], v54, v[30:31]
	v_lshrrev_b32_e32 v56, 3, v31
	v_sub_u32_e32 v55, 29, v57
	v_and_b32_e32 v54, 7, v54
	v_cmp_gt_u32_e32 vcc, 8, v31
	v_cndmask_b32_e32 v31, v56, v55, vcc
	v_cndmask_b32_e32 v52, v52, v54, vcc
	v_lshlrev_b32_e32 v30, 24, v30
	v_bfrev_b32_e32 v54, 60
	v_lshlrev_b32_e32 v52, 20, v52
	v_and_b32_e32 v30, 0x80000000, v30
	v_lshl_add_u32 v31, v31, 23, v54
	v_or3_b32 v30, v30, v31, v52
	v_lshrrev_b32_e32 v52, 16, v30
.LBB854_57:
	s_or_b64 exec, exec, s[10:11]
.LBB854_58:
	s_or_b64 exec, exec, s[8:9]
.LBB854_59:
	s_or_b64 exec, exec, s[2:3]
	s_mov_b32 s2, 0x5040100
	v_perm_b32 v31, v45, v50, s2
	v_perm_b32 v30, v44, v43, s2
	;; [unrolled: 1-line block ×4, first 2 shown]
	v_mov_b32_e32 v50, 0
	s_waitcnt lgkmcnt(0)
	v_mfma_f32_16x16x16bf16_1k v[54:57], v[30:31], v[26:27], 0
	v_mov_b32_e32 v31, 0
	v_cmp_ne_u16_sdwa s[8:9], v32, v31 src0_sel:BYTE_0 src1_sel:DWORD
	v_mfma_f32_16x16x16bf16_1k v[42:45], v[42:43], v[28:29], v[54:57]
	s_and_saveexec_b64 s[2:3], s[8:9]
	s_cbranch_execz .LBB854_65
; %bb.60:
	s_movk_i32 s8, 0x80
	v_cmp_ne_u16_sdwa s[10:11], v32, s8 src0_sel:BYTE_0 src1_sel:DWORD
	v_mov_b32_e32 v50, 0xffff8000
	s_and_saveexec_b64 s[8:9], s[10:11]
	s_cbranch_execz .LBB854_64
; %bb.61:
	s_movk_i32 s10, 0x7f
	v_and_b32_e32 v30, 0x7f, v32
	v_cmp_ne_u32_e32 vcc, s10, v30
	v_mov_b32_e32 v50, 0x7f80
	s_and_saveexec_b64 s[10:11], vcc
	s_cbranch_execz .LBB854_63
; %bb.62:
	v_and_b32_e32 v52, 7, v32
	v_ffbh_u32_e32 v50, v52
	v_min_u32_e32 v54, 32, v50
	v_subrev_u32_e32 v50, 28, v54
	v_lshlrev_b64 v[50:51], v50, v[32:33]
	v_lshrrev_b32_e32 v53, 3, v30
	v_sub_u32_e32 v51, 29, v54
	v_and_b32_e32 v50, 7, v50
	v_cmp_gt_u32_e32 vcc, 8, v30
	v_cndmask_b32_e32 v30, v53, v51, vcc
	v_cndmask_b32_e32 v50, v52, v50, vcc
	v_lshlrev_b32_e32 v51, 24, v32
	v_bfrev_b32_e32 v52, 60
	v_lshlrev_b32_e32 v50, 20, v50
	v_and_b32_e32 v51, 0x80000000, v51
	v_lshl_add_u32 v30, v30, 23, v52
	v_or3_b32 v30, v51, v30, v50
	v_lshrrev_b32_e32 v50, 16, v30
.LBB854_63:
	s_or_b64 exec, exec, s[10:11]
.LBB854_64:
	s_or_b64 exec, exec, s[8:9]
.LBB854_65:
	s_or_b64 exec, exec, s[2:3]
	v_lshrrev_b16_e32 v30, 8, v32
	v_cmp_ne_u16_e32 vcc, 0, v30
	s_and_saveexec_b64 s[2:3], vcc
	s_cbranch_execz .LBB854_71
; %bb.66:
	s_movk_i32 s8, 0x80
	v_cmp_ne_u16_e32 vcc, s8, v30
	v_mov_b32_e32 v31, 0xffff8000
	s_and_saveexec_b64 s[8:9], vcc
	s_cbranch_execz .LBB854_70
; %bb.67:
	s_movk_i32 s10, 0x7f
	v_and_b32_e32 v51, 0x7f, v30
	v_cmp_ne_u32_e32 vcc, s10, v51
	v_mov_b32_e32 v31, 0x7f80
	s_and_saveexec_b64 s[10:11], vcc
	s_cbranch_execz .LBB854_69
; %bb.68:
	v_and_b32_e32 v52, 7, v30
	v_ffbh_u32_e32 v31, v52
	v_min_u32_e32 v54, 32, v31
	v_subrev_u32_e32 v31, 28, v54
	v_lshlrev_b64 v[30:31], v31, v[30:31]
	v_lshrrev_b32_e32 v53, 3, v51
	v_sub_u32_e32 v31, 29, v54
	v_and_b32_e32 v30, 7, v30
	v_cmp_gt_u32_e32 vcc, 8, v51
	v_cndmask_b32_e32 v31, v53, v31, vcc
	v_cndmask_b32_e32 v30, v52, v30, vcc
	v_lshlrev_b32_e32 v51, 16, v32
	v_bfrev_b32_e32 v52, 60
	v_lshlrev_b32_e32 v30, 20, v30
	v_and_b32_e32 v51, 0x80000000, v51
	v_lshl_add_u32 v31, v31, 23, v52
	v_or3_b32 v30, v51, v31, v30
	v_lshrrev_b32_e32 v31, 16, v30
.LBB854_69:
	s_or_b64 exec, exec, s[10:11]
.LBB854_70:
	s_or_b64 exec, exec, s[8:9]
.LBB854_71:
	s_or_b64 exec, exec, s[2:3]
	s_movk_i32 s2, 0xff
	v_and_b32_sdwa v53, v32, s2 dst_sel:DWORD dst_unused:UNUSED_PAD src0_sel:WORD_1 src1_sel:DWORD
	v_lshrrev_b32_e32 v30, 16, v32
	v_cmp_ne_u16_e32 vcc, 0, v53
	v_mov_b32_e32 v51, 0
	v_mov_b32_e32 v52, 0
	s_and_saveexec_b64 s[2:3], vcc
	s_cbranch_execz .LBB854_77
; %bb.72:
	s_movk_i32 s8, 0x80
	v_cmp_ne_u16_e32 vcc, s8, v53
	v_mov_b32_e32 v52, 0xffff8000
	s_and_saveexec_b64 s[8:9], vcc
	s_cbranch_execz .LBB854_76
; %bb.73:
	v_bfe_u32 v53, v32, 16, 7
	s_movk_i32 s10, 0x7f
	v_cmp_ne_u32_e32 vcc, s10, v53
	v_mov_b32_e32 v52, 0x7f80
	s_and_saveexec_b64 s[10:11], vcc
	s_cbranch_execz .LBB854_75
; %bb.74:
	v_and_b32_e32 v52, 7, v30
	v_ffbh_u32_e32 v54, v52
	v_min_u32_e32 v57, 32, v54
	v_subrev_u32_e32 v54, 28, v57
	v_lshlrev_b64 v[54:55], v54, v[30:31]
	v_lshrrev_b32_e32 v56, 3, v53
	v_sub_u32_e32 v30, 29, v57
	v_and_b32_e32 v54, 7, v54
	v_cmp_gt_u32_e32 vcc, 8, v53
	v_mov_b32_e32 v53, 24
	v_cndmask_b32_e32 v30, v56, v30, vcc
	v_cndmask_b32_e32 v52, v52, v54, vcc
	v_lshlrev_b32_sdwa v53, v53, v32 dst_sel:DWORD dst_unused:UNUSED_PAD src0_sel:DWORD src1_sel:WORD_1
	v_bfrev_b32_e32 v54, 60
	v_lshlrev_b32_e32 v52, 20, v52
	v_and_b32_e32 v53, 0x80000000, v53
	v_lshl_add_u32 v30, v30, 23, v54
	v_or3_b32 v30, v53, v30, v52
	v_lshrrev_b32_e32 v52, 16, v30
.LBB854_75:
	s_or_b64 exec, exec, s[10:11]
.LBB854_76:
	s_or_b64 exec, exec, s[8:9]
.LBB854_77:
	s_or_b64 exec, exec, s[2:3]
	s_mov_b32 s2, 0xffffff
	v_cmp_lt_u32_e32 vcc, s2, v32
	s_and_saveexec_b64 s[2:3], vcc
	s_cbranch_execz .LBB854_83
; %bb.78:
	v_lshrrev_b32_e32 v30, 24, v32
	s_movk_i32 s8, 0x80
	v_cmp_ne_u32_e32 vcc, s8, v30
	v_mov_b32_e32 v51, 0xffff8000
	s_and_saveexec_b64 s[8:9], vcc
	s_cbranch_execz .LBB854_82
; %bb.79:
	v_bfe_u32 v32, v32, 24, 7
	s_movk_i32 s10, 0x7f
	v_cmp_ne_u32_e32 vcc, s10, v32
	v_mov_b32_e32 v51, 0x7f80
	s_and_saveexec_b64 s[10:11], vcc
	s_cbranch_execz .LBB854_81
; %bb.80:
	v_and_b32_e32 v51, 7, v30
	v_ffbh_u32_e32 v54, v51
	v_min_u32_e32 v56, 32, v54
	v_subrev_u32_e32 v54, 28, v56
	v_lshlrev_b64 v[54:55], v54, v[30:31]
	v_lshrrev_b32_e32 v53, 3, v32
	v_sub_u32_e32 v55, 29, v56
	v_and_b32_e32 v54, 7, v54
	v_cmp_gt_u32_e32 vcc, 8, v32
	v_cndmask_b32_e32 v32, v53, v55, vcc
	v_cndmask_b32_e32 v51, v51, v54, vcc
	v_lshlrev_b32_e32 v30, 24, v30
	v_bfrev_b32_e32 v53, 60
	v_lshlrev_b32_e32 v51, 20, v51
	v_and_b32_e32 v30, 0x80000000, v30
	v_lshl_add_u32 v32, v32, 23, v53
	v_or3_b32 v30, v30, v32, v51
	v_lshrrev_b32_e32 v51, 16, v30
.LBB854_81:
	s_or_b64 exec, exec, s[10:11]
.LBB854_82:
	s_or_b64 exec, exec, s[8:9]
.LBB854_83:
	s_or_b64 exec, exec, s[2:3]
	v_mov_b32_e32 v32, 0
	v_cmp_ne_u16_sdwa s[8:9], v33, v32 src0_sel:BYTE_0 src1_sel:DWORD
	v_mov_b32_e32 v53, 0
	s_and_saveexec_b64 s[2:3], s[8:9]
	s_cbranch_execz .LBB854_89
; %bb.84:
	s_movk_i32 s8, 0x80
	v_cmp_ne_u16_sdwa s[10:11], v33, s8 src0_sel:BYTE_0 src1_sel:DWORD
	v_mov_b32_e32 v53, 0xffff8000
	s_and_saveexec_b64 s[8:9], s[10:11]
	s_cbranch_execz .LBB854_88
; %bb.85:
	s_movk_i32 s10, 0x7f
	v_and_b32_e32 v30, 0x7f, v33
	v_cmp_ne_u32_e32 vcc, s10, v30
	v_mov_b32_e32 v53, 0x7f80
	s_and_saveexec_b64 s[10:11], vcc
	s_cbranch_execz .LBB854_87
; %bb.86:
	v_and_b32_e32 v53, 7, v33
	v_ffbh_u32_e32 v55, v53
	v_min_u32_e32 v57, 32, v55
	v_mov_b32_e32 v54, v33
	v_subrev_u32_e32 v55, 28, v57
	v_lshlrev_b64 v[54:55], v55, v[54:55]
	v_lshrrev_b32_e32 v56, 3, v30
	v_sub_u32_e32 v55, 29, v57
	v_and_b32_e32 v54, 7, v54
	v_cmp_gt_u32_e32 vcc, 8, v30
	v_cndmask_b32_e32 v30, v56, v55, vcc
	v_cndmask_b32_e32 v53, v53, v54, vcc
	v_lshlrev_b32_e32 v54, 24, v33
	v_bfrev_b32_e32 v55, 60
	v_lshlrev_b32_e32 v53, 20, v53
	v_and_b32_e32 v54, 0x80000000, v54
	v_lshl_add_u32 v30, v30, 23, v55
	v_or3_b32 v30, v54, v30, v53
	v_lshrrev_b32_e32 v53, 16, v30
.LBB854_87:
	s_or_b64 exec, exec, s[10:11]
.LBB854_88:
	s_or_b64 exec, exec, s[8:9]
.LBB854_89:
	s_or_b64 exec, exec, s[2:3]
	v_lshrrev_b16_e32 v30, 8, v33
	v_cmp_ne_u16_e32 vcc, 0, v30
	s_and_saveexec_b64 s[2:3], vcc
	s_cbranch_execz .LBB854_95
; %bb.90:
	s_movk_i32 s8, 0x80
	v_cmp_ne_u16_e32 vcc, s8, v30
	v_mov_b32_e32 v32, 0xffff8000
	s_and_saveexec_b64 s[8:9], vcc
	s_cbranch_execz .LBB854_94
; %bb.91:
	s_movk_i32 s10, 0x7f
	v_and_b32_e32 v54, 0x7f, v30
	v_cmp_ne_u32_e32 vcc, s10, v54
	v_mov_b32_e32 v32, 0x7f80
	s_and_saveexec_b64 s[10:11], vcc
	s_cbranch_execz .LBB854_93
; %bb.92:
	v_and_b32_e32 v32, 7, v30
	v_ffbh_u32_e32 v56, v32
	v_min_u32_e32 v58, 32, v56
	v_subrev_u32_e32 v56, 28, v58
	v_lshlrev_b64 v[56:57], v56, v[30:31]
	v_lshrrev_b32_e32 v55, 3, v54
	v_sub_u32_e32 v30, 29, v58
	v_and_b32_e32 v56, 7, v56
	v_cmp_gt_u32_e32 vcc, 8, v54
	v_cndmask_b32_e32 v30, v55, v30, vcc
	v_cndmask_b32_e32 v32, v32, v56, vcc
	v_lshlrev_b32_e32 v54, 16, v33
	v_bfrev_b32_e32 v55, 60
	v_lshlrev_b32_e32 v32, 20, v32
	v_and_b32_e32 v54, 0x80000000, v54
	v_lshl_add_u32 v30, v30, 23, v55
	v_or3_b32 v30, v54, v30, v32
	v_lshrrev_b32_e32 v32, 16, v30
.LBB854_93:
	s_or_b64 exec, exec, s[10:11]
.LBB854_94:
	s_or_b64 exec, exec, s[8:9]
.LBB854_95:
	s_or_b64 exec, exec, s[2:3]
	s_movk_i32 s2, 0xff
	v_and_b32_sdwa v56, v33, s2 dst_sel:DWORD dst_unused:UNUSED_PAD src0_sel:WORD_1 src1_sel:DWORD
	v_lshrrev_b32_e32 v30, 16, v33
	v_cmp_ne_u16_e32 vcc, 0, v56
	v_mov_b32_e32 v54, 0
	v_mov_b32_e32 v55, 0
	s_and_saveexec_b64 s[2:3], vcc
	s_cbranch_execz .LBB854_101
; %bb.96:
	s_movk_i32 s8, 0x80
	v_cmp_ne_u16_e32 vcc, s8, v56
	v_mov_b32_e32 v55, 0xffff8000
	s_and_saveexec_b64 s[8:9], vcc
	s_cbranch_execz .LBB854_100
; %bb.97:
	v_bfe_u32 v56, v33, 16, 7
	s_movk_i32 s10, 0x7f
	v_cmp_ne_u32_e32 vcc, s10, v56
	v_mov_b32_e32 v55, 0x7f80
	s_and_saveexec_b64 s[10:11], vcc
	s_cbranch_execz .LBB854_99
; %bb.98:
	v_and_b32_e32 v55, 7, v30
	v_ffbh_u32_e32 v58, v55
	v_min_u32_e32 v60, 32, v58
	v_subrev_u32_e32 v58, 28, v60
	v_lshlrev_b64 v[58:59], v58, v[30:31]
	v_lshrrev_b32_e32 v57, 3, v56
	v_sub_u32_e32 v30, 29, v60
	v_and_b32_e32 v58, 7, v58
	v_cmp_gt_u32_e32 vcc, 8, v56
	v_mov_b32_e32 v56, 24
	v_cndmask_b32_e32 v30, v57, v30, vcc
	v_cndmask_b32_e32 v55, v55, v58, vcc
	v_lshlrev_b32_sdwa v56, v56, v33 dst_sel:DWORD dst_unused:UNUSED_PAD src0_sel:DWORD src1_sel:WORD_1
	v_bfrev_b32_e32 v57, 60
	v_lshlrev_b32_e32 v55, 20, v55
	v_and_b32_e32 v56, 0x80000000, v56
	v_lshl_add_u32 v30, v30, 23, v57
	v_or3_b32 v30, v56, v30, v55
	v_lshrrev_b32_e32 v55, 16, v30
.LBB854_99:
	s_or_b64 exec, exec, s[10:11]
.LBB854_100:
	s_or_b64 exec, exec, s[8:9]
.LBB854_101:
	s_or_b64 exec, exec, s[2:3]
	s_mov_b32 s2, 0xffffff
	v_cmp_lt_u32_e32 vcc, s2, v33
	s_and_saveexec_b64 s[2:3], vcc
	s_cbranch_execz .LBB854_107
; %bb.102:
	v_lshrrev_b32_e32 v30, 24, v33
	s_movk_i32 s8, 0x80
	v_cmp_ne_u32_e32 vcc, s8, v30
	v_mov_b32_e32 v54, 0xffff8000
	s_and_saveexec_b64 s[8:9], vcc
	s_cbranch_execz .LBB854_106
; %bb.103:
	v_bfe_u32 v33, v33, 24, 7
	s_movk_i32 s10, 0x7f
	v_cmp_ne_u32_e32 vcc, s10, v33
	v_mov_b32_e32 v54, 0x7f80
	s_and_saveexec_b64 s[10:11], vcc
	s_cbranch_execz .LBB854_105
; %bb.104:
	v_and_b32_e32 v54, 7, v30
	v_ffbh_u32_e32 v56, v54
	v_min_u32_e32 v59, 32, v56
	v_subrev_u32_e32 v56, 28, v59
	v_lshlrev_b64 v[56:57], v56, v[30:31]
	v_lshrrev_b32_e32 v58, 3, v33
	v_sub_u32_e32 v57, 29, v59
	v_and_b32_e32 v56, 7, v56
	v_cmp_gt_u32_e32 vcc, 8, v33
	v_cndmask_b32_e32 v33, v58, v57, vcc
	v_cndmask_b32_e32 v54, v54, v56, vcc
	v_lshlrev_b32_e32 v30, 24, v30
	v_bfrev_b32_e32 v56, 60
	v_lshlrev_b32_e32 v54, 20, v54
	v_and_b32_e32 v30, 0x80000000, v30
	v_lshl_add_u32 v33, v33, 23, v56
	v_or3_b32 v30, v30, v33, v54
	v_lshrrev_b32_e32 v54, 16, v30
.LBB854_105:
	s_or_b64 exec, exec, s[10:11]
.LBB854_106:
	s_or_b64 exec, exec, s[8:9]
.LBB854_107:
	s_or_b64 exec, exec, s[2:3]
	s_mov_b32 s2, 0x5040100
	v_perm_b32 v51, v51, v52, s2
	v_perm_b32 v50, v31, v50, s2
	;; [unrolled: 1-line block ×4, first 2 shown]
	v_mfma_f32_16x16x16bf16_1k v[56:59], v[50:51], v[18:19], v[42:45]
	s_nop 6
	v_mov_b32_e32 v43, 0
	s_waitcnt vmcnt(6)
	v_cmp_ne_u16_sdwa s[8:9], v38, v43 src0_sel:BYTE_0 src1_sel:DWORD
	v_mfma_f32_16x16x16bf16_1k v[30:33], v[30:31], v[20:21], v[56:59]
	v_mov_b32_e32 v44, 0
	s_and_saveexec_b64 s[2:3], s[8:9]
	s_cbranch_execz .LBB854_113
; %bb.108:
	s_movk_i32 s8, 0x80
	v_cmp_ne_u16_sdwa s[10:11], v38, s8 src0_sel:BYTE_0 src1_sel:DWORD
	v_mov_b32_e32 v44, 0xffff8000
	s_and_saveexec_b64 s[8:9], s[10:11]
	s_cbranch_execz .LBB854_112
; %bb.109:
	s_movk_i32 s10, 0x7f
	v_and_b32_e32 v42, 0x7f, v38
	v_cmp_ne_u32_e32 vcc, s10, v42
	v_mov_b32_e32 v44, 0x7f80
	s_and_saveexec_b64 s[10:11], vcc
	s_cbranch_execz .LBB854_111
; %bb.110:
	v_and_b32_e32 v50, 7, v38
	v_ffbh_u32_e32 v44, v50
	v_min_u32_e32 v52, 32, v44
	v_subrev_u32_e32 v44, 28, v52
	v_lshlrev_b64 v[44:45], v44, v[38:39]
	v_lshrrev_b32_e32 v51, 3, v42
	v_sub_u32_e32 v45, 29, v52
	v_and_b32_e32 v44, 7, v44
	v_cmp_gt_u32_e32 vcc, 8, v42
	v_cndmask_b32_e32 v42, v51, v45, vcc
	v_cndmask_b32_e32 v44, v50, v44, vcc
	v_lshlrev_b32_e32 v45, 24, v38
	v_bfrev_b32_e32 v50, 60
	v_lshlrev_b32_e32 v44, 20, v44
	v_and_b32_e32 v45, 0x80000000, v45
	v_lshl_add_u32 v42, v42, 23, v50
	v_or3_b32 v42, v45, v42, v44
	v_lshrrev_b32_e32 v44, 16, v42
.LBB854_111:
	s_or_b64 exec, exec, s[10:11]
.LBB854_112:
	s_or_b64 exec, exec, s[8:9]
.LBB854_113:
	s_or_b64 exec, exec, s[2:3]
	v_lshrrev_b16_e32 v42, 8, v38
	v_cmp_ne_u16_e32 vcc, 0, v42
	s_and_saveexec_b64 s[2:3], vcc
	s_cbranch_execz .LBB854_119
; %bb.114:
	s_movk_i32 s8, 0x80
	v_cmp_ne_u16_e32 vcc, s8, v42
	v_mov_b32_e32 v43, 0xffff8000
	s_and_saveexec_b64 s[8:9], vcc
	s_cbranch_execz .LBB854_118
; %bb.115:
	s_movk_i32 s10, 0x7f
	v_and_b32_e32 v45, 0x7f, v42
	v_cmp_ne_u32_e32 vcc, s10, v45
	v_mov_b32_e32 v43, 0x7f80
	s_and_saveexec_b64 s[10:11], vcc
	s_cbranch_execz .LBB854_117
; %bb.116:
	v_and_b32_e32 v50, 7, v42
	v_ffbh_u32_e32 v43, v50
	v_min_u32_e32 v52, 32, v43
	v_subrev_u32_e32 v43, 28, v52
	v_lshlrev_b64 v[42:43], v43, v[42:43]
	v_lshrrev_b32_e32 v51, 3, v45
	v_sub_u32_e32 v43, 29, v52
	v_and_b32_e32 v42, 7, v42
	v_cmp_gt_u32_e32 vcc, 8, v45
	v_cndmask_b32_e32 v43, v51, v43, vcc
	v_cndmask_b32_e32 v42, v50, v42, vcc
	v_lshlrev_b32_e32 v45, 16, v38
	v_bfrev_b32_e32 v50, 60
	v_lshlrev_b32_e32 v42, 20, v42
	v_and_b32_e32 v45, 0x80000000, v45
	v_lshl_add_u32 v43, v43, 23, v50
	v_or3_b32 v42, v45, v43, v42
	v_lshrrev_b32_e32 v43, 16, v42
.LBB854_117:
	s_or_b64 exec, exec, s[10:11]
.LBB854_118:
	s_or_b64 exec, exec, s[8:9]
.LBB854_119:
	s_or_b64 exec, exec, s[2:3]
	s_movk_i32 s2, 0xff
	v_and_b32_sdwa v51, v38, s2 dst_sel:DWORD dst_unused:UNUSED_PAD src0_sel:WORD_1 src1_sel:DWORD
	v_lshrrev_b32_e32 v42, 16, v38
	v_cmp_ne_u16_e32 vcc, 0, v51
	v_mov_b32_e32 v45, 0
	v_mov_b32_e32 v50, 0
	s_and_saveexec_b64 s[2:3], vcc
	s_cbranch_execz .LBB854_125
; %bb.120:
	s_movk_i32 s8, 0x80
	v_cmp_ne_u16_e32 vcc, s8, v51
	v_mov_b32_e32 v50, 0xffff8000
	s_and_saveexec_b64 s[8:9], vcc
	s_cbranch_execz .LBB854_124
; %bb.121:
	v_bfe_u32 v51, v38, 16, 7
	s_movk_i32 s10, 0x7f
	v_cmp_ne_u32_e32 vcc, s10, v51
	v_mov_b32_e32 v50, 0x7f80
	s_and_saveexec_b64 s[10:11], vcc
	s_cbranch_execz .LBB854_123
; %bb.122:
	v_and_b32_e32 v50, 7, v42
	v_ffbh_u32_e32 v52, v50
	v_min_u32_e32 v55, 32, v52
	v_subrev_u32_e32 v52, 28, v55
	v_lshlrev_b64 v[52:53], v52, v[42:43]
	v_lshrrev_b32_e32 v54, 3, v51
	v_sub_u32_e32 v42, 29, v55
	v_and_b32_e32 v52, 7, v52
	v_cmp_gt_u32_e32 vcc, 8, v51
	v_mov_b32_e32 v51, 24
	v_cndmask_b32_e32 v42, v54, v42, vcc
	v_cndmask_b32_e32 v50, v50, v52, vcc
	v_lshlrev_b32_sdwa v51, v51, v38 dst_sel:DWORD dst_unused:UNUSED_PAD src0_sel:DWORD src1_sel:WORD_1
	v_bfrev_b32_e32 v52, 60
	v_lshlrev_b32_e32 v50, 20, v50
	v_and_b32_e32 v51, 0x80000000, v51
	v_lshl_add_u32 v42, v42, 23, v52
	v_or3_b32 v42, v51, v42, v50
	v_lshrrev_b32_e32 v50, 16, v42
.LBB854_123:
	s_or_b64 exec, exec, s[10:11]
.LBB854_124:
	s_or_b64 exec, exec, s[8:9]
.LBB854_125:
	s_or_b64 exec, exec, s[2:3]
	s_mov_b32 s2, 0xffffff
	v_cmp_lt_u32_e32 vcc, s2, v38
	s_and_saveexec_b64 s[2:3], vcc
	s_cbranch_execz .LBB854_131
; %bb.126:
	v_lshrrev_b32_e32 v42, 24, v38
	s_movk_i32 s8, 0x80
	v_cmp_ne_u32_e32 vcc, s8, v42
	v_mov_b32_e32 v45, 0xffff8000
	s_and_saveexec_b64 s[8:9], vcc
	s_cbranch_execz .LBB854_130
; %bb.127:
	v_bfe_u32 v38, v38, 24, 7
	s_movk_i32 s10, 0x7f
	v_cmp_ne_u32_e32 vcc, s10, v38
	v_mov_b32_e32 v45, 0x7f80
	s_and_saveexec_b64 s[10:11], vcc
	s_cbranch_execz .LBB854_129
; %bb.128:
	v_and_b32_e32 v45, 7, v42
	v_ffbh_u32_e32 v52, v45
	v_min_u32_e32 v54, 32, v52
	v_subrev_u32_e32 v52, 28, v54
	v_lshlrev_b64 v[52:53], v52, v[42:43]
	v_lshrrev_b32_e32 v51, 3, v38
	v_sub_u32_e32 v53, 29, v54
	v_and_b32_e32 v52, 7, v52
	v_cmp_gt_u32_e32 vcc, 8, v38
	v_cndmask_b32_e32 v38, v51, v53, vcc
	v_cndmask_b32_e32 v45, v45, v52, vcc
	v_lshlrev_b32_e32 v42, 24, v42
	v_bfrev_b32_e32 v51, 60
	v_lshlrev_b32_e32 v45, 20, v45
	v_and_b32_e32 v42, 0x80000000, v42
	v_lshl_add_u32 v38, v38, 23, v51
	v_or3_b32 v38, v42, v38, v45
	v_lshrrev_b32_e32 v45, 16, v38
.LBB854_129:
	s_or_b64 exec, exec, s[10:11]
.LBB854_130:
	s_or_b64 exec, exec, s[8:9]
.LBB854_131:
	s_or_b64 exec, exec, s[2:3]
	v_mov_b32_e32 v42, 0
	v_cmp_ne_u16_sdwa s[8:9], v39, v42 src0_sel:BYTE_0 src1_sel:DWORD
	v_mov_b32_e32 v51, 0
	s_and_saveexec_b64 s[2:3], s[8:9]
	s_cbranch_execz .LBB854_137
; %bb.132:
	s_movk_i32 s8, 0x80
	v_cmp_ne_u16_sdwa s[10:11], v39, s8 src0_sel:BYTE_0 src1_sel:DWORD
	v_mov_b32_e32 v51, 0xffff8000
	s_and_saveexec_b64 s[8:9], s[10:11]
	s_cbranch_execz .LBB854_136
; %bb.133:
	s_movk_i32 s10, 0x7f
	v_and_b32_e32 v38, 0x7f, v39
	v_cmp_ne_u32_e32 vcc, s10, v38
	v_mov_b32_e32 v51, 0x7f80
	s_and_saveexec_b64 s[10:11], vcc
	s_cbranch_execz .LBB854_135
; %bb.134:
	v_and_b32_e32 v51, 7, v39
	v_ffbh_u32_e32 v53, v51
	v_min_u32_e32 v55, 32, v53
	v_mov_b32_e32 v52, v39
	v_subrev_u32_e32 v53, 28, v55
	v_lshlrev_b64 v[52:53], v53, v[52:53]
	v_lshrrev_b32_e32 v54, 3, v38
	v_sub_u32_e32 v53, 29, v55
	v_and_b32_e32 v52, 7, v52
	v_cmp_gt_u32_e32 vcc, 8, v38
	v_cndmask_b32_e32 v38, v54, v53, vcc
	v_cndmask_b32_e32 v51, v51, v52, vcc
	v_lshlrev_b32_e32 v52, 24, v39
	v_bfrev_b32_e32 v53, 60
	v_lshlrev_b32_e32 v51, 20, v51
	v_and_b32_e32 v52, 0x80000000, v52
	v_lshl_add_u32 v38, v38, 23, v53
	v_or3_b32 v38, v52, v38, v51
	v_lshrrev_b32_e32 v51, 16, v38
.LBB854_135:
	s_or_b64 exec, exec, s[10:11]
.LBB854_136:
	s_or_b64 exec, exec, s[8:9]
.LBB854_137:
	s_or_b64 exec, exec, s[2:3]
	v_lshrrev_b16_e32 v38, 8, v39
	v_cmp_ne_u16_e32 vcc, 0, v38
	s_and_saveexec_b64 s[2:3], vcc
	s_cbranch_execz .LBB854_143
; %bb.138:
	s_movk_i32 s8, 0x80
	v_cmp_ne_u16_e32 vcc, s8, v38
	v_mov_b32_e32 v42, 0xffff8000
	s_and_saveexec_b64 s[8:9], vcc
	s_cbranch_execz .LBB854_142
; %bb.139:
	s_movk_i32 s10, 0x7f
	v_and_b32_e32 v52, 0x7f, v38
	v_cmp_ne_u32_e32 vcc, s10, v52
	v_mov_b32_e32 v42, 0x7f80
	s_and_saveexec_b64 s[10:11], vcc
	s_cbranch_execz .LBB854_141
; %bb.140:
	v_and_b32_e32 v42, 7, v38
	v_ffbh_u32_e32 v54, v42
	v_min_u32_e32 v56, 32, v54
	v_subrev_u32_e32 v54, 28, v56
	v_lshlrev_b64 v[54:55], v54, v[38:39]
	v_lshrrev_b32_e32 v53, 3, v52
	v_sub_u32_e32 v38, 29, v56
	v_and_b32_e32 v54, 7, v54
	v_cmp_gt_u32_e32 vcc, 8, v52
	v_cndmask_b32_e32 v38, v53, v38, vcc
	v_cndmask_b32_e32 v42, v42, v54, vcc
	v_lshlrev_b32_e32 v52, 16, v39
	v_bfrev_b32_e32 v53, 60
	v_lshlrev_b32_e32 v42, 20, v42
	v_and_b32_e32 v52, 0x80000000, v52
	v_lshl_add_u32 v38, v38, 23, v53
	v_or3_b32 v38, v52, v38, v42
	v_lshrrev_b32_e32 v42, 16, v38
.LBB854_141:
	s_or_b64 exec, exec, s[10:11]
.LBB854_142:
	s_or_b64 exec, exec, s[8:9]
.LBB854_143:
	s_or_b64 exec, exec, s[2:3]
	s_movk_i32 s2, 0xff
	v_and_b32_sdwa v54, v39, s2 dst_sel:DWORD dst_unused:UNUSED_PAD src0_sel:WORD_1 src1_sel:DWORD
	v_lshrrev_b32_e32 v38, 16, v39
	v_cmp_ne_u16_e32 vcc, 0, v54
	v_mov_b32_e32 v52, 0
	v_mov_b32_e32 v53, 0
	s_and_saveexec_b64 s[2:3], vcc
	s_cbranch_execz .LBB854_149
; %bb.144:
	s_movk_i32 s8, 0x80
	v_cmp_ne_u16_e32 vcc, s8, v54
	v_mov_b32_e32 v53, 0xffff8000
	s_and_saveexec_b64 s[8:9], vcc
	s_cbranch_execz .LBB854_148
; %bb.145:
	v_bfe_u32 v54, v39, 16, 7
	s_movk_i32 s10, 0x7f
	v_cmp_ne_u32_e32 vcc, s10, v54
	v_mov_b32_e32 v53, 0x7f80
	s_and_saveexec_b64 s[10:11], vcc
	s_cbranch_execz .LBB854_147
; %bb.146:
	v_and_b32_e32 v53, 7, v38
	v_ffbh_u32_e32 v56, v53
	v_min_u32_e32 v58, 32, v56
	v_subrev_u32_e32 v56, 28, v58
	v_lshlrev_b64 v[56:57], v56, v[38:39]
	v_lshrrev_b32_e32 v55, 3, v54
	v_sub_u32_e32 v38, 29, v58
	v_and_b32_e32 v56, 7, v56
	v_cmp_gt_u32_e32 vcc, 8, v54
	v_mov_b32_e32 v54, 24
	v_cndmask_b32_e32 v38, v55, v38, vcc
	v_cndmask_b32_e32 v53, v53, v56, vcc
	v_lshlrev_b32_sdwa v54, v54, v39 dst_sel:DWORD dst_unused:UNUSED_PAD src0_sel:DWORD src1_sel:WORD_1
	v_bfrev_b32_e32 v55, 60
	v_lshlrev_b32_e32 v53, 20, v53
	v_and_b32_e32 v54, 0x80000000, v54
	v_lshl_add_u32 v38, v38, 23, v55
	v_or3_b32 v38, v54, v38, v53
	v_lshrrev_b32_e32 v53, 16, v38
.LBB854_147:
	s_or_b64 exec, exec, s[10:11]
.LBB854_148:
	s_or_b64 exec, exec, s[8:9]
.LBB854_149:
	s_or_b64 exec, exec, s[2:3]
	s_mov_b32 s2, 0xffffff
	v_cmp_lt_u32_e32 vcc, s2, v39
	s_and_saveexec_b64 s[2:3], vcc
	s_cbranch_execz .LBB854_155
; %bb.150:
	v_lshrrev_b32_e32 v38, 24, v39
	s_movk_i32 s8, 0x80
	v_cmp_ne_u32_e32 vcc, s8, v38
	v_mov_b32_e32 v52, 0xffff8000
	s_and_saveexec_b64 s[8:9], vcc
	s_cbranch_execz .LBB854_154
; %bb.151:
	v_bfe_u32 v39, v39, 24, 7
	s_movk_i32 s10, 0x7f
	v_cmp_ne_u32_e32 vcc, s10, v39
	v_mov_b32_e32 v52, 0x7f80
	s_and_saveexec_b64 s[10:11], vcc
	s_cbranch_execz .LBB854_153
; %bb.152:
	v_and_b32_e32 v52, 7, v38
	v_ffbh_u32_e32 v54, v52
	v_min_u32_e32 v57, 32, v54
	v_subrev_u32_e32 v54, 28, v57
	v_lshlrev_b64 v[54:55], v54, v[38:39]
	v_lshrrev_b32_e32 v56, 3, v39
	v_sub_u32_e32 v55, 29, v57
	v_and_b32_e32 v54, 7, v54
	v_cmp_gt_u32_e32 vcc, 8, v39
	v_cndmask_b32_e32 v39, v56, v55, vcc
	v_cndmask_b32_e32 v52, v52, v54, vcc
	v_lshlrev_b32_e32 v38, 24, v38
	v_bfrev_b32_e32 v54, 60
	v_lshlrev_b32_e32 v52, 20, v52
	v_and_b32_e32 v38, 0x80000000, v38
	v_lshl_add_u32 v39, v39, 23, v54
	v_or3_b32 v38, v38, v39, v52
	v_lshrrev_b32_e32 v52, 16, v38
.LBB854_153:
	s_or_b64 exec, exec, s[10:11]
.LBB854_154:
	s_or_b64 exec, exec, s[8:9]
.LBB854_155:
	s_or_b64 exec, exec, s[2:3]
	s_mov_b32 s2, 0x5040100
	v_perm_b32 v39, v45, v50, s2
	v_perm_b32 v38, v43, v44, s2
	;; [unrolled: 1-line block ×4, first 2 shown]
	v_mov_b32_e32 v50, 0
	v_mfma_f32_16x16x16bf16_1k v[54:57], v[38:39], v[26:27], 0
	v_mov_b32_e32 v39, 0
	v_cmp_ne_u16_sdwa s[8:9], v40, v39 src0_sel:BYTE_0 src1_sel:DWORD
	v_mfma_f32_16x16x16bf16_1k v[42:45], v[42:43], v[28:29], v[54:57]
	s_and_saveexec_b64 s[2:3], s[8:9]
	s_cbranch_execz .LBB854_161
; %bb.156:
	s_movk_i32 s8, 0x80
	v_cmp_ne_u16_sdwa s[10:11], v40, s8 src0_sel:BYTE_0 src1_sel:DWORD
	v_mov_b32_e32 v50, 0xffff8000
	s_and_saveexec_b64 s[8:9], s[10:11]
	s_cbranch_execz .LBB854_160
; %bb.157:
	s_movk_i32 s10, 0x7f
	v_and_b32_e32 v38, 0x7f, v40
	v_cmp_ne_u32_e32 vcc, s10, v38
	v_mov_b32_e32 v50, 0x7f80
	s_and_saveexec_b64 s[10:11], vcc
	s_cbranch_execz .LBB854_159
; %bb.158:
	v_and_b32_e32 v52, 7, v40
	v_ffbh_u32_e32 v50, v52
	v_min_u32_e32 v54, 32, v50
	v_subrev_u32_e32 v50, 28, v54
	v_lshlrev_b64 v[50:51], v50, v[40:41]
	v_lshrrev_b32_e32 v53, 3, v38
	v_sub_u32_e32 v51, 29, v54
	v_and_b32_e32 v50, 7, v50
	v_cmp_gt_u32_e32 vcc, 8, v38
	v_cndmask_b32_e32 v38, v53, v51, vcc
	v_cndmask_b32_e32 v50, v52, v50, vcc
	v_lshlrev_b32_e32 v51, 24, v40
	v_bfrev_b32_e32 v52, 60
	v_lshlrev_b32_e32 v50, 20, v50
	v_and_b32_e32 v51, 0x80000000, v51
	v_lshl_add_u32 v38, v38, 23, v52
	v_or3_b32 v38, v51, v38, v50
	v_lshrrev_b32_e32 v50, 16, v38
.LBB854_159:
	s_or_b64 exec, exec, s[10:11]
.LBB854_160:
	s_or_b64 exec, exec, s[8:9]
.LBB854_161:
	s_or_b64 exec, exec, s[2:3]
	v_lshrrev_b16_e32 v38, 8, v40
	v_cmp_ne_u16_e32 vcc, 0, v38
	s_and_saveexec_b64 s[2:3], vcc
	s_cbranch_execz .LBB854_167
; %bb.162:
	s_movk_i32 s8, 0x80
	v_cmp_ne_u16_e32 vcc, s8, v38
	v_mov_b32_e32 v39, 0xffff8000
	s_and_saveexec_b64 s[8:9], vcc
	s_cbranch_execz .LBB854_166
; %bb.163:
	s_movk_i32 s10, 0x7f
	v_and_b32_e32 v51, 0x7f, v38
	v_cmp_ne_u32_e32 vcc, s10, v51
	v_mov_b32_e32 v39, 0x7f80
	s_and_saveexec_b64 s[10:11], vcc
	s_cbranch_execz .LBB854_165
; %bb.164:
	v_and_b32_e32 v52, 7, v38
	v_ffbh_u32_e32 v39, v52
	v_min_u32_e32 v54, 32, v39
	v_subrev_u32_e32 v39, 28, v54
	v_lshlrev_b64 v[38:39], v39, v[38:39]
	v_lshrrev_b32_e32 v53, 3, v51
	v_sub_u32_e32 v39, 29, v54
	v_and_b32_e32 v38, 7, v38
	v_cmp_gt_u32_e32 vcc, 8, v51
	v_cndmask_b32_e32 v39, v53, v39, vcc
	v_cndmask_b32_e32 v38, v52, v38, vcc
	v_lshlrev_b32_e32 v51, 16, v40
	v_bfrev_b32_e32 v52, 60
	v_lshlrev_b32_e32 v38, 20, v38
	v_and_b32_e32 v51, 0x80000000, v51
	v_lshl_add_u32 v39, v39, 23, v52
	v_or3_b32 v38, v51, v39, v38
	v_lshrrev_b32_e32 v39, 16, v38
.LBB854_165:
	s_or_b64 exec, exec, s[10:11]
.LBB854_166:
	s_or_b64 exec, exec, s[8:9]
.LBB854_167:
	s_or_b64 exec, exec, s[2:3]
	s_movk_i32 s2, 0xff
	v_and_b32_sdwa v53, v40, s2 dst_sel:DWORD dst_unused:UNUSED_PAD src0_sel:WORD_1 src1_sel:DWORD
	v_lshrrev_b32_e32 v38, 16, v40
	v_cmp_ne_u16_e32 vcc, 0, v53
	v_mov_b32_e32 v51, 0
	v_mov_b32_e32 v52, 0
	s_and_saveexec_b64 s[2:3], vcc
	s_cbranch_execz .LBB854_173
; %bb.168:
	s_movk_i32 s8, 0x80
	v_cmp_ne_u16_e32 vcc, s8, v53
	v_mov_b32_e32 v52, 0xffff8000
	s_and_saveexec_b64 s[8:9], vcc
	s_cbranch_execz .LBB854_172
; %bb.169:
	v_bfe_u32 v53, v40, 16, 7
	s_movk_i32 s10, 0x7f
	v_cmp_ne_u32_e32 vcc, s10, v53
	v_mov_b32_e32 v52, 0x7f80
	s_and_saveexec_b64 s[10:11], vcc
	s_cbranch_execz .LBB854_171
; %bb.170:
	v_and_b32_e32 v52, 7, v38
	v_ffbh_u32_e32 v54, v52
	v_min_u32_e32 v57, 32, v54
	v_subrev_u32_e32 v54, 28, v57
	v_lshlrev_b64 v[54:55], v54, v[38:39]
	v_lshrrev_b32_e32 v56, 3, v53
	v_sub_u32_e32 v38, 29, v57
	v_and_b32_e32 v54, 7, v54
	v_cmp_gt_u32_e32 vcc, 8, v53
	v_mov_b32_e32 v53, 24
	v_cndmask_b32_e32 v38, v56, v38, vcc
	v_cndmask_b32_e32 v52, v52, v54, vcc
	v_lshlrev_b32_sdwa v53, v53, v40 dst_sel:DWORD dst_unused:UNUSED_PAD src0_sel:DWORD src1_sel:WORD_1
	v_bfrev_b32_e32 v54, 60
	v_lshlrev_b32_e32 v52, 20, v52
	v_and_b32_e32 v53, 0x80000000, v53
	v_lshl_add_u32 v38, v38, 23, v54
	v_or3_b32 v38, v53, v38, v52
	v_lshrrev_b32_e32 v52, 16, v38
.LBB854_171:
	s_or_b64 exec, exec, s[10:11]
.LBB854_172:
	s_or_b64 exec, exec, s[8:9]
.LBB854_173:
	s_or_b64 exec, exec, s[2:3]
	s_mov_b32 s2, 0xffffff
	v_cmp_lt_u32_e32 vcc, s2, v40
	s_and_saveexec_b64 s[2:3], vcc
	s_cbranch_execz .LBB854_179
; %bb.174:
	v_lshrrev_b32_e32 v38, 24, v40
	s_movk_i32 s8, 0x80
	v_cmp_ne_u32_e32 vcc, s8, v38
	v_mov_b32_e32 v51, 0xffff8000
	s_and_saveexec_b64 s[8:9], vcc
	s_cbranch_execz .LBB854_178
; %bb.175:
	v_bfe_u32 v40, v40, 24, 7
	s_movk_i32 s10, 0x7f
	v_cmp_ne_u32_e32 vcc, s10, v40
	v_mov_b32_e32 v51, 0x7f80
	s_and_saveexec_b64 s[10:11], vcc
	s_cbranch_execz .LBB854_177
; %bb.176:
	v_and_b32_e32 v51, 7, v38
	v_ffbh_u32_e32 v54, v51
	v_min_u32_e32 v56, 32, v54
	v_subrev_u32_e32 v54, 28, v56
	v_lshlrev_b64 v[54:55], v54, v[38:39]
	v_lshrrev_b32_e32 v53, 3, v40
	v_sub_u32_e32 v55, 29, v56
	v_and_b32_e32 v54, 7, v54
	v_cmp_gt_u32_e32 vcc, 8, v40
	v_cndmask_b32_e32 v40, v53, v55, vcc
	v_cndmask_b32_e32 v51, v51, v54, vcc
	v_lshlrev_b32_e32 v38, 24, v38
	v_bfrev_b32_e32 v53, 60
	v_lshlrev_b32_e32 v51, 20, v51
	v_and_b32_e32 v38, 0x80000000, v38
	v_lshl_add_u32 v40, v40, 23, v53
	v_or3_b32 v38, v38, v40, v51
	v_lshrrev_b32_e32 v51, 16, v38
.LBB854_177:
	s_or_b64 exec, exec, s[10:11]
.LBB854_178:
	s_or_b64 exec, exec, s[8:9]
.LBB854_179:
	s_or_b64 exec, exec, s[2:3]
	v_mov_b32_e32 v40, 0
	v_cmp_ne_u16_sdwa s[8:9], v41, v40 src0_sel:BYTE_0 src1_sel:DWORD
	v_mov_b32_e32 v53, 0
	s_and_saveexec_b64 s[2:3], s[8:9]
	s_cbranch_execz .LBB854_185
; %bb.180:
	s_movk_i32 s8, 0x80
	v_cmp_ne_u16_sdwa s[10:11], v41, s8 src0_sel:BYTE_0 src1_sel:DWORD
	v_mov_b32_e32 v53, 0xffff8000
	s_and_saveexec_b64 s[8:9], s[10:11]
	s_cbranch_execz .LBB854_184
; %bb.181:
	s_movk_i32 s10, 0x7f
	v_and_b32_e32 v38, 0x7f, v41
	v_cmp_ne_u32_e32 vcc, s10, v38
	v_mov_b32_e32 v53, 0x7f80
	s_and_saveexec_b64 s[10:11], vcc
	s_cbranch_execz .LBB854_183
; %bb.182:
	v_and_b32_e32 v53, 7, v41
	v_ffbh_u32_e32 v55, v53
	v_min_u32_e32 v57, 32, v55
	v_mov_b32_e32 v54, v41
	v_subrev_u32_e32 v55, 28, v57
	v_lshlrev_b64 v[54:55], v55, v[54:55]
	v_lshrrev_b32_e32 v56, 3, v38
	v_sub_u32_e32 v55, 29, v57
	v_and_b32_e32 v54, 7, v54
	v_cmp_gt_u32_e32 vcc, 8, v38
	v_cndmask_b32_e32 v38, v56, v55, vcc
	v_cndmask_b32_e32 v53, v53, v54, vcc
	v_lshlrev_b32_e32 v54, 24, v41
	v_bfrev_b32_e32 v55, 60
	v_lshlrev_b32_e32 v53, 20, v53
	v_and_b32_e32 v54, 0x80000000, v54
	v_lshl_add_u32 v38, v38, 23, v55
	v_or3_b32 v38, v54, v38, v53
	v_lshrrev_b32_e32 v53, 16, v38
.LBB854_183:
	s_or_b64 exec, exec, s[10:11]
.LBB854_184:
	s_or_b64 exec, exec, s[8:9]
.LBB854_185:
	s_or_b64 exec, exec, s[2:3]
	v_lshrrev_b16_e32 v38, 8, v41
	v_cmp_ne_u16_e32 vcc, 0, v38
	s_and_saveexec_b64 s[2:3], vcc
	s_cbranch_execz .LBB854_191
; %bb.186:
	s_movk_i32 s8, 0x80
	v_cmp_ne_u16_e32 vcc, s8, v38
	v_mov_b32_e32 v40, 0xffff8000
	s_and_saveexec_b64 s[8:9], vcc
	s_cbranch_execz .LBB854_190
; %bb.187:
	s_movk_i32 s10, 0x7f
	v_and_b32_e32 v54, 0x7f, v38
	v_cmp_ne_u32_e32 vcc, s10, v54
	v_mov_b32_e32 v40, 0x7f80
	s_and_saveexec_b64 s[10:11], vcc
	s_cbranch_execz .LBB854_189
; %bb.188:
	v_and_b32_e32 v40, 7, v38
	v_ffbh_u32_e32 v56, v40
	v_min_u32_e32 v58, 32, v56
	v_subrev_u32_e32 v56, 28, v58
	v_lshlrev_b64 v[56:57], v56, v[38:39]
	v_lshrrev_b32_e32 v55, 3, v54
	v_sub_u32_e32 v38, 29, v58
	v_and_b32_e32 v56, 7, v56
	v_cmp_gt_u32_e32 vcc, 8, v54
	v_cndmask_b32_e32 v38, v55, v38, vcc
	v_cndmask_b32_e32 v40, v40, v56, vcc
	v_lshlrev_b32_e32 v54, 16, v41
	v_bfrev_b32_e32 v55, 60
	v_lshlrev_b32_e32 v40, 20, v40
	v_and_b32_e32 v54, 0x80000000, v54
	v_lshl_add_u32 v38, v38, 23, v55
	v_or3_b32 v38, v54, v38, v40
	v_lshrrev_b32_e32 v40, 16, v38
.LBB854_189:
	s_or_b64 exec, exec, s[10:11]
.LBB854_190:
	s_or_b64 exec, exec, s[8:9]
.LBB854_191:
	s_or_b64 exec, exec, s[2:3]
	s_movk_i32 s2, 0xff
	v_and_b32_sdwa v56, v41, s2 dst_sel:DWORD dst_unused:UNUSED_PAD src0_sel:WORD_1 src1_sel:DWORD
	v_lshrrev_b32_e32 v38, 16, v41
	v_cmp_ne_u16_e32 vcc, 0, v56
	v_mov_b32_e32 v54, 0
	v_mov_b32_e32 v55, 0
	s_and_saveexec_b64 s[2:3], vcc
	s_cbranch_execz .LBB854_197
; %bb.192:
	s_movk_i32 s8, 0x80
	v_cmp_ne_u16_e32 vcc, s8, v56
	v_mov_b32_e32 v55, 0xffff8000
	s_and_saveexec_b64 s[8:9], vcc
	s_cbranch_execz .LBB854_196
; %bb.193:
	v_bfe_u32 v56, v41, 16, 7
	s_movk_i32 s10, 0x7f
	v_cmp_ne_u32_e32 vcc, s10, v56
	v_mov_b32_e32 v55, 0x7f80
	s_and_saveexec_b64 s[10:11], vcc
	s_cbranch_execz .LBB854_195
; %bb.194:
	v_and_b32_e32 v55, 7, v38
	v_ffbh_u32_e32 v58, v55
	v_min_u32_e32 v60, 32, v58
	v_subrev_u32_e32 v58, 28, v60
	v_lshlrev_b64 v[58:59], v58, v[38:39]
	v_lshrrev_b32_e32 v57, 3, v56
	v_sub_u32_e32 v38, 29, v60
	v_and_b32_e32 v58, 7, v58
	v_cmp_gt_u32_e32 vcc, 8, v56
	v_mov_b32_e32 v56, 24
	v_cndmask_b32_e32 v38, v57, v38, vcc
	v_cndmask_b32_e32 v55, v55, v58, vcc
	v_lshlrev_b32_sdwa v56, v56, v41 dst_sel:DWORD dst_unused:UNUSED_PAD src0_sel:DWORD src1_sel:WORD_1
	v_bfrev_b32_e32 v57, 60
	v_lshlrev_b32_e32 v55, 20, v55
	v_and_b32_e32 v56, 0x80000000, v56
	v_lshl_add_u32 v38, v38, 23, v57
	v_or3_b32 v38, v56, v38, v55
	v_lshrrev_b32_e32 v55, 16, v38
.LBB854_195:
	s_or_b64 exec, exec, s[10:11]
.LBB854_196:
	s_or_b64 exec, exec, s[8:9]
.LBB854_197:
	s_or_b64 exec, exec, s[2:3]
	s_mov_b32 s2, 0xffffff
	v_cmp_lt_u32_e32 vcc, s2, v41
	s_and_saveexec_b64 s[2:3], vcc
	s_cbranch_execz .LBB854_203
; %bb.198:
	v_lshrrev_b32_e32 v38, 24, v41
	s_movk_i32 s8, 0x80
	v_cmp_ne_u32_e32 vcc, s8, v38
	v_mov_b32_e32 v54, 0xffff8000
	s_and_saveexec_b64 s[8:9], vcc
	s_cbranch_execz .LBB854_202
; %bb.199:
	v_bfe_u32 v41, v41, 24, 7
	s_movk_i32 s10, 0x7f
	v_cmp_ne_u32_e32 vcc, s10, v41
	v_mov_b32_e32 v54, 0x7f80
	s_and_saveexec_b64 s[10:11], vcc
	s_cbranch_execz .LBB854_201
; %bb.200:
	v_and_b32_e32 v54, 7, v38
	v_ffbh_u32_e32 v56, v54
	v_min_u32_e32 v59, 32, v56
	v_subrev_u32_e32 v56, 28, v59
	v_lshlrev_b64 v[56:57], v56, v[38:39]
	v_lshrrev_b32_e32 v58, 3, v41
	v_sub_u32_e32 v57, 29, v59
	v_and_b32_e32 v56, 7, v56
	v_cmp_gt_u32_e32 vcc, 8, v41
	v_cndmask_b32_e32 v41, v58, v57, vcc
	v_cndmask_b32_e32 v54, v54, v56, vcc
	v_lshlrev_b32_e32 v38, 24, v38
	v_bfrev_b32_e32 v56, 60
	v_lshlrev_b32_e32 v54, 20, v54
	v_and_b32_e32 v38, 0x80000000, v38
	v_lshl_add_u32 v41, v41, 23, v56
	v_or3_b32 v38, v38, v41, v54
	v_lshrrev_b32_e32 v54, 16, v38
.LBB854_201:
	s_or_b64 exec, exec, s[10:11]
.LBB854_202:
	s_or_b64 exec, exec, s[8:9]
.LBB854_203:
	s_or_b64 exec, exec, s[2:3]
	s_mov_b32 s2, 0x5040100
	v_perm_b32 v51, v51, v52, s2
	v_perm_b32 v50, v39, v50, s2
	;; [unrolled: 1-line block ×4, first 2 shown]
	v_mfma_f32_16x16x16bf16_1k v[56:59], v[50:51], v[18:19], v[42:45]
	s_nop 6
	v_mov_b32_e32 v43, 0
	s_waitcnt vmcnt(5)
	v_cmp_ne_u16_sdwa s[8:9], v34, v43 src0_sel:BYTE_0 src1_sel:DWORD
	v_mfma_f32_16x16x16bf16_1k v[38:41], v[38:39], v[20:21], v[56:59]
	v_mov_b32_e32 v44, 0
	s_and_saveexec_b64 s[2:3], s[8:9]
	s_cbranch_execz .LBB854_209
; %bb.204:
	s_movk_i32 s8, 0x80
	v_cmp_ne_u16_sdwa s[10:11], v34, s8 src0_sel:BYTE_0 src1_sel:DWORD
	v_mov_b32_e32 v44, 0xffff8000
	s_and_saveexec_b64 s[8:9], s[10:11]
	s_cbranch_execz .LBB854_208
; %bb.205:
	s_movk_i32 s10, 0x7f
	v_and_b32_e32 v42, 0x7f, v34
	v_cmp_ne_u32_e32 vcc, s10, v42
	v_mov_b32_e32 v44, 0x7f80
	s_and_saveexec_b64 s[10:11], vcc
	s_cbranch_execz .LBB854_207
; %bb.206:
	v_and_b32_e32 v50, 7, v34
	v_ffbh_u32_e32 v44, v50
	v_min_u32_e32 v52, 32, v44
	v_subrev_u32_e32 v44, 28, v52
	v_lshlrev_b64 v[44:45], v44, v[34:35]
	v_lshrrev_b32_e32 v51, 3, v42
	v_sub_u32_e32 v45, 29, v52
	v_and_b32_e32 v44, 7, v44
	v_cmp_gt_u32_e32 vcc, 8, v42
	v_cndmask_b32_e32 v42, v51, v45, vcc
	v_cndmask_b32_e32 v44, v50, v44, vcc
	v_lshlrev_b32_e32 v45, 24, v34
	v_bfrev_b32_e32 v50, 60
	v_lshlrev_b32_e32 v44, 20, v44
	v_and_b32_e32 v45, 0x80000000, v45
	v_lshl_add_u32 v42, v42, 23, v50
	v_or3_b32 v42, v45, v42, v44
	v_lshrrev_b32_e32 v44, 16, v42
.LBB854_207:
	s_or_b64 exec, exec, s[10:11]
.LBB854_208:
	s_or_b64 exec, exec, s[8:9]
.LBB854_209:
	s_or_b64 exec, exec, s[2:3]
	v_lshrrev_b16_e32 v42, 8, v34
	v_cmp_ne_u16_e32 vcc, 0, v42
	s_and_saveexec_b64 s[2:3], vcc
	s_cbranch_execz .LBB854_215
; %bb.210:
	s_movk_i32 s8, 0x80
	v_cmp_ne_u16_e32 vcc, s8, v42
	v_mov_b32_e32 v43, 0xffff8000
	s_and_saveexec_b64 s[8:9], vcc
	s_cbranch_execz .LBB854_214
; %bb.211:
	s_movk_i32 s10, 0x7f
	v_and_b32_e32 v45, 0x7f, v42
	v_cmp_ne_u32_e32 vcc, s10, v45
	v_mov_b32_e32 v43, 0x7f80
	s_and_saveexec_b64 s[10:11], vcc
	s_cbranch_execz .LBB854_213
; %bb.212:
	v_and_b32_e32 v50, 7, v42
	v_ffbh_u32_e32 v43, v50
	v_min_u32_e32 v52, 32, v43
	v_subrev_u32_e32 v43, 28, v52
	v_lshlrev_b64 v[42:43], v43, v[42:43]
	v_lshrrev_b32_e32 v51, 3, v45
	v_sub_u32_e32 v43, 29, v52
	v_and_b32_e32 v42, 7, v42
	v_cmp_gt_u32_e32 vcc, 8, v45
	v_cndmask_b32_e32 v43, v51, v43, vcc
	v_cndmask_b32_e32 v42, v50, v42, vcc
	v_lshlrev_b32_e32 v45, 16, v34
	v_bfrev_b32_e32 v50, 60
	v_lshlrev_b32_e32 v42, 20, v42
	v_and_b32_e32 v45, 0x80000000, v45
	v_lshl_add_u32 v43, v43, 23, v50
	v_or3_b32 v42, v45, v43, v42
	v_lshrrev_b32_e32 v43, 16, v42
.LBB854_213:
	s_or_b64 exec, exec, s[10:11]
.LBB854_214:
	s_or_b64 exec, exec, s[8:9]
.LBB854_215:
	s_or_b64 exec, exec, s[2:3]
	s_movk_i32 s2, 0xff
	v_and_b32_sdwa v51, v34, s2 dst_sel:DWORD dst_unused:UNUSED_PAD src0_sel:WORD_1 src1_sel:DWORD
	v_lshrrev_b32_e32 v42, 16, v34
	v_cmp_ne_u16_e32 vcc, 0, v51
	v_mov_b32_e32 v45, 0
	v_mov_b32_e32 v50, 0
	s_and_saveexec_b64 s[2:3], vcc
	s_cbranch_execz .LBB854_221
; %bb.216:
	s_movk_i32 s8, 0x80
	v_cmp_ne_u16_e32 vcc, s8, v51
	v_mov_b32_e32 v50, 0xffff8000
	s_and_saveexec_b64 s[8:9], vcc
	s_cbranch_execz .LBB854_220
; %bb.217:
	v_bfe_u32 v51, v34, 16, 7
	s_movk_i32 s10, 0x7f
	v_cmp_ne_u32_e32 vcc, s10, v51
	v_mov_b32_e32 v50, 0x7f80
	s_and_saveexec_b64 s[10:11], vcc
	s_cbranch_execz .LBB854_219
; %bb.218:
	v_and_b32_e32 v50, 7, v42
	v_ffbh_u32_e32 v52, v50
	v_min_u32_e32 v55, 32, v52
	v_subrev_u32_e32 v52, 28, v55
	v_lshlrev_b64 v[52:53], v52, v[42:43]
	v_lshrrev_b32_e32 v54, 3, v51
	v_sub_u32_e32 v42, 29, v55
	v_and_b32_e32 v52, 7, v52
	v_cmp_gt_u32_e32 vcc, 8, v51
	v_mov_b32_e32 v51, 24
	v_cndmask_b32_e32 v42, v54, v42, vcc
	v_cndmask_b32_e32 v50, v50, v52, vcc
	v_lshlrev_b32_sdwa v51, v51, v34 dst_sel:DWORD dst_unused:UNUSED_PAD src0_sel:DWORD src1_sel:WORD_1
	v_bfrev_b32_e32 v52, 60
	v_lshlrev_b32_e32 v50, 20, v50
	v_and_b32_e32 v51, 0x80000000, v51
	v_lshl_add_u32 v42, v42, 23, v52
	v_or3_b32 v42, v51, v42, v50
	v_lshrrev_b32_e32 v50, 16, v42
.LBB854_219:
	s_or_b64 exec, exec, s[10:11]
.LBB854_220:
	s_or_b64 exec, exec, s[8:9]
.LBB854_221:
	s_or_b64 exec, exec, s[2:3]
	s_mov_b32 s2, 0xffffff
	v_cmp_lt_u32_e32 vcc, s2, v34
	s_and_saveexec_b64 s[2:3], vcc
	s_cbranch_execz .LBB854_227
; %bb.222:
	v_lshrrev_b32_e32 v42, 24, v34
	s_movk_i32 s8, 0x80
	v_cmp_ne_u32_e32 vcc, s8, v42
	v_mov_b32_e32 v45, 0xffff8000
	s_and_saveexec_b64 s[8:9], vcc
	s_cbranch_execz .LBB854_226
; %bb.223:
	v_bfe_u32 v34, v34, 24, 7
	s_movk_i32 s10, 0x7f
	v_cmp_ne_u32_e32 vcc, s10, v34
	v_mov_b32_e32 v45, 0x7f80
	s_and_saveexec_b64 s[10:11], vcc
	s_cbranch_execz .LBB854_225
; %bb.224:
	v_and_b32_e32 v45, 7, v42
	v_ffbh_u32_e32 v52, v45
	v_min_u32_e32 v54, 32, v52
	v_subrev_u32_e32 v52, 28, v54
	v_lshlrev_b64 v[52:53], v52, v[42:43]
	v_lshrrev_b32_e32 v51, 3, v34
	v_sub_u32_e32 v53, 29, v54
	v_and_b32_e32 v52, 7, v52
	v_cmp_gt_u32_e32 vcc, 8, v34
	v_cndmask_b32_e32 v34, v51, v53, vcc
	v_cndmask_b32_e32 v45, v45, v52, vcc
	v_lshlrev_b32_e32 v42, 24, v42
	v_bfrev_b32_e32 v51, 60
	v_lshlrev_b32_e32 v45, 20, v45
	v_and_b32_e32 v42, 0x80000000, v42
	v_lshl_add_u32 v34, v34, 23, v51
	v_or3_b32 v34, v42, v34, v45
	v_lshrrev_b32_e32 v45, 16, v34
.LBB854_225:
	s_or_b64 exec, exec, s[10:11]
.LBB854_226:
	s_or_b64 exec, exec, s[8:9]
.LBB854_227:
	s_or_b64 exec, exec, s[2:3]
	v_mov_b32_e32 v42, 0
	v_cmp_ne_u16_sdwa s[8:9], v35, v42 src0_sel:BYTE_0 src1_sel:DWORD
	v_mov_b32_e32 v51, 0
	s_and_saveexec_b64 s[2:3], s[8:9]
	s_cbranch_execz .LBB854_233
; %bb.228:
	s_movk_i32 s8, 0x80
	v_cmp_ne_u16_sdwa s[10:11], v35, s8 src0_sel:BYTE_0 src1_sel:DWORD
	v_mov_b32_e32 v51, 0xffff8000
	s_and_saveexec_b64 s[8:9], s[10:11]
	s_cbranch_execz .LBB854_232
; %bb.229:
	s_movk_i32 s10, 0x7f
	v_and_b32_e32 v34, 0x7f, v35
	v_cmp_ne_u32_e32 vcc, s10, v34
	v_mov_b32_e32 v51, 0x7f80
	s_and_saveexec_b64 s[10:11], vcc
	s_cbranch_execz .LBB854_231
; %bb.230:
	v_and_b32_e32 v51, 7, v35
	v_ffbh_u32_e32 v53, v51
	v_min_u32_e32 v55, 32, v53
	v_mov_b32_e32 v52, v35
	v_subrev_u32_e32 v53, 28, v55
	v_lshlrev_b64 v[52:53], v53, v[52:53]
	v_lshrrev_b32_e32 v54, 3, v34
	v_sub_u32_e32 v53, 29, v55
	v_and_b32_e32 v52, 7, v52
	v_cmp_gt_u32_e32 vcc, 8, v34
	v_cndmask_b32_e32 v34, v54, v53, vcc
	v_cndmask_b32_e32 v51, v51, v52, vcc
	v_lshlrev_b32_e32 v52, 24, v35
	v_bfrev_b32_e32 v53, 60
	v_lshlrev_b32_e32 v51, 20, v51
	v_and_b32_e32 v52, 0x80000000, v52
	v_lshl_add_u32 v34, v34, 23, v53
	v_or3_b32 v34, v52, v34, v51
	v_lshrrev_b32_e32 v51, 16, v34
.LBB854_231:
	s_or_b64 exec, exec, s[10:11]
.LBB854_232:
	s_or_b64 exec, exec, s[8:9]
.LBB854_233:
	s_or_b64 exec, exec, s[2:3]
	v_lshrrev_b16_e32 v34, 8, v35
	v_cmp_ne_u16_e32 vcc, 0, v34
	s_and_saveexec_b64 s[2:3], vcc
	s_cbranch_execz .LBB854_239
; %bb.234:
	s_movk_i32 s8, 0x80
	v_cmp_ne_u16_e32 vcc, s8, v34
	v_mov_b32_e32 v42, 0xffff8000
	s_and_saveexec_b64 s[8:9], vcc
	s_cbranch_execz .LBB854_238
; %bb.235:
	s_movk_i32 s10, 0x7f
	v_and_b32_e32 v52, 0x7f, v34
	v_cmp_ne_u32_e32 vcc, s10, v52
	v_mov_b32_e32 v42, 0x7f80
	s_and_saveexec_b64 s[10:11], vcc
	s_cbranch_execz .LBB854_237
; %bb.236:
	v_and_b32_e32 v42, 7, v34
	v_ffbh_u32_e32 v54, v42
	v_min_u32_e32 v56, 32, v54
	v_subrev_u32_e32 v54, 28, v56
	v_lshlrev_b64 v[54:55], v54, v[34:35]
	v_lshrrev_b32_e32 v53, 3, v52
	v_sub_u32_e32 v34, 29, v56
	v_and_b32_e32 v54, 7, v54
	v_cmp_gt_u32_e32 vcc, 8, v52
	v_cndmask_b32_e32 v34, v53, v34, vcc
	v_cndmask_b32_e32 v42, v42, v54, vcc
	v_lshlrev_b32_e32 v52, 16, v35
	v_bfrev_b32_e32 v53, 60
	v_lshlrev_b32_e32 v42, 20, v42
	v_and_b32_e32 v52, 0x80000000, v52
	v_lshl_add_u32 v34, v34, 23, v53
	v_or3_b32 v34, v52, v34, v42
	v_lshrrev_b32_e32 v42, 16, v34
.LBB854_237:
	s_or_b64 exec, exec, s[10:11]
.LBB854_238:
	s_or_b64 exec, exec, s[8:9]
.LBB854_239:
	s_or_b64 exec, exec, s[2:3]
	s_movk_i32 s2, 0xff
	v_and_b32_sdwa v54, v35, s2 dst_sel:DWORD dst_unused:UNUSED_PAD src0_sel:WORD_1 src1_sel:DWORD
	v_lshrrev_b32_e32 v34, 16, v35
	v_cmp_ne_u16_e32 vcc, 0, v54
	v_mov_b32_e32 v52, 0
	v_mov_b32_e32 v53, 0
	s_and_saveexec_b64 s[2:3], vcc
	s_cbranch_execz .LBB854_245
; %bb.240:
	s_movk_i32 s8, 0x80
	v_cmp_ne_u16_e32 vcc, s8, v54
	v_mov_b32_e32 v53, 0xffff8000
	s_and_saveexec_b64 s[8:9], vcc
	s_cbranch_execz .LBB854_244
; %bb.241:
	v_bfe_u32 v54, v35, 16, 7
	s_movk_i32 s10, 0x7f
	v_cmp_ne_u32_e32 vcc, s10, v54
	v_mov_b32_e32 v53, 0x7f80
	s_and_saveexec_b64 s[10:11], vcc
	s_cbranch_execz .LBB854_243
; %bb.242:
	v_and_b32_e32 v53, 7, v34
	v_ffbh_u32_e32 v56, v53
	v_min_u32_e32 v58, 32, v56
	v_subrev_u32_e32 v56, 28, v58
	v_lshlrev_b64 v[56:57], v56, v[34:35]
	v_lshrrev_b32_e32 v55, 3, v54
	v_sub_u32_e32 v34, 29, v58
	v_and_b32_e32 v56, 7, v56
	v_cmp_gt_u32_e32 vcc, 8, v54
	v_mov_b32_e32 v54, 24
	v_cndmask_b32_e32 v34, v55, v34, vcc
	v_cndmask_b32_e32 v53, v53, v56, vcc
	v_lshlrev_b32_sdwa v54, v54, v35 dst_sel:DWORD dst_unused:UNUSED_PAD src0_sel:DWORD src1_sel:WORD_1
	v_bfrev_b32_e32 v55, 60
	v_lshlrev_b32_e32 v53, 20, v53
	v_and_b32_e32 v54, 0x80000000, v54
	v_lshl_add_u32 v34, v34, 23, v55
	v_or3_b32 v34, v54, v34, v53
	v_lshrrev_b32_e32 v53, 16, v34
.LBB854_243:
	s_or_b64 exec, exec, s[10:11]
.LBB854_244:
	s_or_b64 exec, exec, s[8:9]
.LBB854_245:
	s_or_b64 exec, exec, s[2:3]
	s_mov_b32 s2, 0xffffff
	v_cmp_lt_u32_e32 vcc, s2, v35
	s_and_saveexec_b64 s[2:3], vcc
	s_cbranch_execz .LBB854_251
; %bb.246:
	v_lshrrev_b32_e32 v34, 24, v35
	s_movk_i32 s8, 0x80
	v_cmp_ne_u32_e32 vcc, s8, v34
	v_mov_b32_e32 v52, 0xffff8000
	s_and_saveexec_b64 s[8:9], vcc
	s_cbranch_execz .LBB854_250
; %bb.247:
	v_bfe_u32 v35, v35, 24, 7
	s_movk_i32 s10, 0x7f
	v_cmp_ne_u32_e32 vcc, s10, v35
	v_mov_b32_e32 v52, 0x7f80
	s_and_saveexec_b64 s[10:11], vcc
	s_cbranch_execz .LBB854_249
; %bb.248:
	v_and_b32_e32 v52, 7, v34
	v_ffbh_u32_e32 v54, v52
	v_min_u32_e32 v57, 32, v54
	v_subrev_u32_e32 v54, 28, v57
	v_lshlrev_b64 v[54:55], v54, v[34:35]
	v_lshrrev_b32_e32 v56, 3, v35
	v_sub_u32_e32 v55, 29, v57
	v_and_b32_e32 v54, 7, v54
	v_cmp_gt_u32_e32 vcc, 8, v35
	v_cndmask_b32_e32 v35, v56, v55, vcc
	v_cndmask_b32_e32 v52, v52, v54, vcc
	v_lshlrev_b32_e32 v34, 24, v34
	v_bfrev_b32_e32 v54, 60
	v_lshlrev_b32_e32 v52, 20, v52
	v_and_b32_e32 v34, 0x80000000, v34
	v_lshl_add_u32 v35, v35, 23, v54
	v_or3_b32 v34, v34, v35, v52
	v_lshrrev_b32_e32 v52, 16, v34
.LBB854_249:
	s_or_b64 exec, exec, s[10:11]
.LBB854_250:
	s_or_b64 exec, exec, s[8:9]
.LBB854_251:
	s_or_b64 exec, exec, s[2:3]
	s_mov_b32 s2, 0x5040100
	v_perm_b32 v35, v45, v50, s2
	v_perm_b32 v34, v43, v44, s2
	;; [unrolled: 1-line block ×4, first 2 shown]
	v_mov_b32_e32 v50, 0
	v_mfma_f32_16x16x16bf16_1k v[54:57], v[34:35], v[26:27], 0
	v_mov_b32_e32 v35, 0
	v_cmp_ne_u16_sdwa s[8:9], v36, v35 src0_sel:BYTE_0 src1_sel:DWORD
	v_mfma_f32_16x16x16bf16_1k v[42:45], v[42:43], v[28:29], v[54:57]
	s_and_saveexec_b64 s[2:3], s[8:9]
	s_cbranch_execz .LBB854_257
; %bb.252:
	s_movk_i32 s8, 0x80
	v_cmp_ne_u16_sdwa s[10:11], v36, s8 src0_sel:BYTE_0 src1_sel:DWORD
	v_mov_b32_e32 v50, 0xffff8000
	s_and_saveexec_b64 s[8:9], s[10:11]
	s_cbranch_execz .LBB854_256
; %bb.253:
	s_movk_i32 s10, 0x7f
	v_and_b32_e32 v34, 0x7f, v36
	v_cmp_ne_u32_e32 vcc, s10, v34
	v_mov_b32_e32 v50, 0x7f80
	s_and_saveexec_b64 s[10:11], vcc
	s_cbranch_execz .LBB854_255
; %bb.254:
	v_and_b32_e32 v52, 7, v36
	v_ffbh_u32_e32 v50, v52
	v_min_u32_e32 v54, 32, v50
	v_subrev_u32_e32 v50, 28, v54
	v_lshlrev_b64 v[50:51], v50, v[36:37]
	v_lshrrev_b32_e32 v53, 3, v34
	v_sub_u32_e32 v51, 29, v54
	v_and_b32_e32 v50, 7, v50
	v_cmp_gt_u32_e32 vcc, 8, v34
	v_cndmask_b32_e32 v34, v53, v51, vcc
	v_cndmask_b32_e32 v50, v52, v50, vcc
	v_lshlrev_b32_e32 v51, 24, v36
	v_bfrev_b32_e32 v52, 60
	v_lshlrev_b32_e32 v50, 20, v50
	v_and_b32_e32 v51, 0x80000000, v51
	v_lshl_add_u32 v34, v34, 23, v52
	v_or3_b32 v34, v51, v34, v50
	v_lshrrev_b32_e32 v50, 16, v34
.LBB854_255:
	s_or_b64 exec, exec, s[10:11]
.LBB854_256:
	s_or_b64 exec, exec, s[8:9]
.LBB854_257:
	s_or_b64 exec, exec, s[2:3]
	v_lshrrev_b16_e32 v34, 8, v36
	v_cmp_ne_u16_e32 vcc, 0, v34
	s_and_saveexec_b64 s[2:3], vcc
	s_cbranch_execz .LBB854_263
; %bb.258:
	s_movk_i32 s8, 0x80
	v_cmp_ne_u16_e32 vcc, s8, v34
	v_mov_b32_e32 v35, 0xffff8000
	s_and_saveexec_b64 s[8:9], vcc
	s_cbranch_execz .LBB854_262
; %bb.259:
	s_movk_i32 s10, 0x7f
	v_and_b32_e32 v51, 0x7f, v34
	v_cmp_ne_u32_e32 vcc, s10, v51
	v_mov_b32_e32 v35, 0x7f80
	s_and_saveexec_b64 s[10:11], vcc
	s_cbranch_execz .LBB854_261
; %bb.260:
	v_and_b32_e32 v52, 7, v34
	v_ffbh_u32_e32 v35, v52
	v_min_u32_e32 v54, 32, v35
	v_subrev_u32_e32 v35, 28, v54
	v_lshlrev_b64 v[34:35], v35, v[34:35]
	v_lshrrev_b32_e32 v53, 3, v51
	v_sub_u32_e32 v35, 29, v54
	v_and_b32_e32 v34, 7, v34
	v_cmp_gt_u32_e32 vcc, 8, v51
	v_cndmask_b32_e32 v35, v53, v35, vcc
	v_cndmask_b32_e32 v34, v52, v34, vcc
	v_lshlrev_b32_e32 v51, 16, v36
	v_bfrev_b32_e32 v52, 60
	v_lshlrev_b32_e32 v34, 20, v34
	v_and_b32_e32 v51, 0x80000000, v51
	v_lshl_add_u32 v35, v35, 23, v52
	v_or3_b32 v34, v51, v35, v34
	v_lshrrev_b32_e32 v35, 16, v34
.LBB854_261:
	s_or_b64 exec, exec, s[10:11]
.LBB854_262:
	s_or_b64 exec, exec, s[8:9]
.LBB854_263:
	s_or_b64 exec, exec, s[2:3]
	s_movk_i32 s2, 0xff
	v_and_b32_sdwa v53, v36, s2 dst_sel:DWORD dst_unused:UNUSED_PAD src0_sel:WORD_1 src1_sel:DWORD
	v_lshrrev_b32_e32 v34, 16, v36
	v_cmp_ne_u16_e32 vcc, 0, v53
	v_mov_b32_e32 v51, 0
	v_mov_b32_e32 v52, 0
	s_and_saveexec_b64 s[2:3], vcc
	s_cbranch_execz .LBB854_269
; %bb.264:
	s_movk_i32 s8, 0x80
	v_cmp_ne_u16_e32 vcc, s8, v53
	v_mov_b32_e32 v52, 0xffff8000
	s_and_saveexec_b64 s[8:9], vcc
	s_cbranch_execz .LBB854_268
; %bb.265:
	v_bfe_u32 v53, v36, 16, 7
	s_movk_i32 s10, 0x7f
	v_cmp_ne_u32_e32 vcc, s10, v53
	v_mov_b32_e32 v52, 0x7f80
	s_and_saveexec_b64 s[10:11], vcc
	s_cbranch_execz .LBB854_267
; %bb.266:
	v_and_b32_e32 v52, 7, v34
	v_ffbh_u32_e32 v54, v52
	v_min_u32_e32 v57, 32, v54
	v_subrev_u32_e32 v54, 28, v57
	v_lshlrev_b64 v[54:55], v54, v[34:35]
	v_lshrrev_b32_e32 v56, 3, v53
	v_sub_u32_e32 v34, 29, v57
	v_and_b32_e32 v54, 7, v54
	v_cmp_gt_u32_e32 vcc, 8, v53
	v_mov_b32_e32 v53, 24
	v_cndmask_b32_e32 v34, v56, v34, vcc
	v_cndmask_b32_e32 v52, v52, v54, vcc
	v_lshlrev_b32_sdwa v53, v53, v36 dst_sel:DWORD dst_unused:UNUSED_PAD src0_sel:DWORD src1_sel:WORD_1
	v_bfrev_b32_e32 v54, 60
	v_lshlrev_b32_e32 v52, 20, v52
	v_and_b32_e32 v53, 0x80000000, v53
	v_lshl_add_u32 v34, v34, 23, v54
	v_or3_b32 v34, v53, v34, v52
	v_lshrrev_b32_e32 v52, 16, v34
.LBB854_267:
	s_or_b64 exec, exec, s[10:11]
.LBB854_268:
	s_or_b64 exec, exec, s[8:9]
.LBB854_269:
	s_or_b64 exec, exec, s[2:3]
	s_mov_b32 s2, 0xffffff
	v_cmp_lt_u32_e32 vcc, s2, v36
	s_and_saveexec_b64 s[2:3], vcc
	s_cbranch_execz .LBB854_275
; %bb.270:
	v_lshrrev_b32_e32 v34, 24, v36
	s_movk_i32 s8, 0x80
	v_cmp_ne_u32_e32 vcc, s8, v34
	v_mov_b32_e32 v51, 0xffff8000
	s_and_saveexec_b64 s[8:9], vcc
	s_cbranch_execz .LBB854_274
; %bb.271:
	v_bfe_u32 v36, v36, 24, 7
	s_movk_i32 s10, 0x7f
	v_cmp_ne_u32_e32 vcc, s10, v36
	v_mov_b32_e32 v51, 0x7f80
	s_and_saveexec_b64 s[10:11], vcc
	s_cbranch_execz .LBB854_273
; %bb.272:
	v_and_b32_e32 v51, 7, v34
	v_ffbh_u32_e32 v54, v51
	v_min_u32_e32 v56, 32, v54
	v_subrev_u32_e32 v54, 28, v56
	v_lshlrev_b64 v[54:55], v54, v[34:35]
	v_lshrrev_b32_e32 v53, 3, v36
	v_sub_u32_e32 v55, 29, v56
	v_and_b32_e32 v54, 7, v54
	v_cmp_gt_u32_e32 vcc, 8, v36
	v_cndmask_b32_e32 v36, v53, v55, vcc
	v_cndmask_b32_e32 v51, v51, v54, vcc
	v_lshlrev_b32_e32 v34, 24, v34
	v_bfrev_b32_e32 v53, 60
	v_lshlrev_b32_e32 v51, 20, v51
	v_and_b32_e32 v34, 0x80000000, v34
	v_lshl_add_u32 v36, v36, 23, v53
	v_or3_b32 v34, v34, v36, v51
	v_lshrrev_b32_e32 v51, 16, v34
.LBB854_273:
	s_or_b64 exec, exec, s[10:11]
.LBB854_274:
	s_or_b64 exec, exec, s[8:9]
.LBB854_275:
	s_or_b64 exec, exec, s[2:3]
	v_mov_b32_e32 v36, 0
	v_cmp_ne_u16_sdwa s[8:9], v37, v36 src0_sel:BYTE_0 src1_sel:DWORD
	v_mov_b32_e32 v53, 0
	s_and_saveexec_b64 s[2:3], s[8:9]
	s_cbranch_execz .LBB854_281
; %bb.276:
	s_movk_i32 s8, 0x80
	v_cmp_ne_u16_sdwa s[10:11], v37, s8 src0_sel:BYTE_0 src1_sel:DWORD
	v_mov_b32_e32 v53, 0xffff8000
	s_and_saveexec_b64 s[8:9], s[10:11]
	s_cbranch_execz .LBB854_280
; %bb.277:
	s_movk_i32 s10, 0x7f
	v_and_b32_e32 v34, 0x7f, v37
	v_cmp_ne_u32_e32 vcc, s10, v34
	v_mov_b32_e32 v53, 0x7f80
	s_and_saveexec_b64 s[10:11], vcc
	s_cbranch_execz .LBB854_279
; %bb.278:
	v_and_b32_e32 v53, 7, v37
	v_ffbh_u32_e32 v55, v53
	v_min_u32_e32 v57, 32, v55
	v_mov_b32_e32 v54, v37
	v_subrev_u32_e32 v55, 28, v57
	v_lshlrev_b64 v[54:55], v55, v[54:55]
	v_lshrrev_b32_e32 v56, 3, v34
	v_sub_u32_e32 v55, 29, v57
	v_and_b32_e32 v54, 7, v54
	v_cmp_gt_u32_e32 vcc, 8, v34
	v_cndmask_b32_e32 v34, v56, v55, vcc
	v_cndmask_b32_e32 v53, v53, v54, vcc
	v_lshlrev_b32_e32 v54, 24, v37
	v_bfrev_b32_e32 v55, 60
	v_lshlrev_b32_e32 v53, 20, v53
	v_and_b32_e32 v54, 0x80000000, v54
	v_lshl_add_u32 v34, v34, 23, v55
	v_or3_b32 v34, v54, v34, v53
	v_lshrrev_b32_e32 v53, 16, v34
.LBB854_279:
	s_or_b64 exec, exec, s[10:11]
.LBB854_280:
	s_or_b64 exec, exec, s[8:9]
.LBB854_281:
	s_or_b64 exec, exec, s[2:3]
	v_lshrrev_b16_e32 v34, 8, v37
	v_cmp_ne_u16_e32 vcc, 0, v34
	s_and_saveexec_b64 s[2:3], vcc
	s_cbranch_execz .LBB854_287
; %bb.282:
	s_movk_i32 s8, 0x80
	v_cmp_ne_u16_e32 vcc, s8, v34
	v_mov_b32_e32 v36, 0xffff8000
	s_and_saveexec_b64 s[8:9], vcc
	s_cbranch_execz .LBB854_286
; %bb.283:
	s_movk_i32 s10, 0x7f
	v_and_b32_e32 v54, 0x7f, v34
	v_cmp_ne_u32_e32 vcc, s10, v54
	v_mov_b32_e32 v36, 0x7f80
	s_and_saveexec_b64 s[10:11], vcc
	s_cbranch_execz .LBB854_285
; %bb.284:
	v_and_b32_e32 v36, 7, v34
	v_ffbh_u32_e32 v56, v36
	v_min_u32_e32 v58, 32, v56
	v_subrev_u32_e32 v56, 28, v58
	v_lshlrev_b64 v[56:57], v56, v[34:35]
	v_lshrrev_b32_e32 v55, 3, v54
	v_sub_u32_e32 v34, 29, v58
	v_and_b32_e32 v56, 7, v56
	v_cmp_gt_u32_e32 vcc, 8, v54
	v_cndmask_b32_e32 v34, v55, v34, vcc
	v_cndmask_b32_e32 v36, v36, v56, vcc
	v_lshlrev_b32_e32 v54, 16, v37
	v_bfrev_b32_e32 v55, 60
	v_lshlrev_b32_e32 v36, 20, v36
	v_and_b32_e32 v54, 0x80000000, v54
	v_lshl_add_u32 v34, v34, 23, v55
	v_or3_b32 v34, v54, v34, v36
	v_lshrrev_b32_e32 v36, 16, v34
.LBB854_285:
	s_or_b64 exec, exec, s[10:11]
.LBB854_286:
	s_or_b64 exec, exec, s[8:9]
.LBB854_287:
	s_or_b64 exec, exec, s[2:3]
	s_movk_i32 s2, 0xff
	v_and_b32_sdwa v56, v37, s2 dst_sel:DWORD dst_unused:UNUSED_PAD src0_sel:WORD_1 src1_sel:DWORD
	v_lshrrev_b32_e32 v34, 16, v37
	v_cmp_ne_u16_e32 vcc, 0, v56
	v_mov_b32_e32 v54, 0
	v_mov_b32_e32 v55, 0
	s_and_saveexec_b64 s[2:3], vcc
	s_cbranch_execz .LBB854_293
; %bb.288:
	s_movk_i32 s8, 0x80
	v_cmp_ne_u16_e32 vcc, s8, v56
	v_mov_b32_e32 v55, 0xffff8000
	s_and_saveexec_b64 s[8:9], vcc
	s_cbranch_execz .LBB854_292
; %bb.289:
	v_bfe_u32 v56, v37, 16, 7
	s_movk_i32 s10, 0x7f
	v_cmp_ne_u32_e32 vcc, s10, v56
	v_mov_b32_e32 v55, 0x7f80
	s_and_saveexec_b64 s[10:11], vcc
	s_cbranch_execz .LBB854_291
; %bb.290:
	v_and_b32_e32 v55, 7, v34
	v_ffbh_u32_e32 v58, v55
	v_min_u32_e32 v60, 32, v58
	v_subrev_u32_e32 v58, 28, v60
	v_lshlrev_b64 v[58:59], v58, v[34:35]
	v_lshrrev_b32_e32 v57, 3, v56
	v_sub_u32_e32 v34, 29, v60
	v_and_b32_e32 v58, 7, v58
	v_cmp_gt_u32_e32 vcc, 8, v56
	v_mov_b32_e32 v56, 24
	v_cndmask_b32_e32 v34, v57, v34, vcc
	v_cndmask_b32_e32 v55, v55, v58, vcc
	v_lshlrev_b32_sdwa v56, v56, v37 dst_sel:DWORD dst_unused:UNUSED_PAD src0_sel:DWORD src1_sel:WORD_1
	v_bfrev_b32_e32 v57, 60
	v_lshlrev_b32_e32 v55, 20, v55
	v_and_b32_e32 v56, 0x80000000, v56
	v_lshl_add_u32 v34, v34, 23, v57
	v_or3_b32 v34, v56, v34, v55
	v_lshrrev_b32_e32 v55, 16, v34
.LBB854_291:
	s_or_b64 exec, exec, s[10:11]
.LBB854_292:
	s_or_b64 exec, exec, s[8:9]
.LBB854_293:
	s_or_b64 exec, exec, s[2:3]
	s_mov_b32 s2, 0xffffff
	v_cmp_lt_u32_e32 vcc, s2, v37
	s_and_saveexec_b64 s[2:3], vcc
	s_cbranch_execz .LBB854_299
; %bb.294:
	v_lshrrev_b32_e32 v34, 24, v37
	s_movk_i32 s8, 0x80
	v_cmp_ne_u32_e32 vcc, s8, v34
	v_mov_b32_e32 v54, 0xffff8000
	s_and_saveexec_b64 s[8:9], vcc
	s_cbranch_execz .LBB854_298
; %bb.295:
	v_bfe_u32 v37, v37, 24, 7
	s_movk_i32 s10, 0x7f
	v_cmp_ne_u32_e32 vcc, s10, v37
	v_mov_b32_e32 v54, 0x7f80
	s_and_saveexec_b64 s[10:11], vcc
	s_cbranch_execz .LBB854_297
; %bb.296:
	v_and_b32_e32 v54, 7, v34
	v_ffbh_u32_e32 v56, v54
	v_min_u32_e32 v59, 32, v56
	v_subrev_u32_e32 v56, 28, v59
	v_lshlrev_b64 v[56:57], v56, v[34:35]
	v_lshrrev_b32_e32 v58, 3, v37
	v_sub_u32_e32 v57, 29, v59
	v_and_b32_e32 v56, 7, v56
	v_cmp_gt_u32_e32 vcc, 8, v37
	v_cndmask_b32_e32 v37, v58, v57, vcc
	v_cndmask_b32_e32 v54, v54, v56, vcc
	v_lshlrev_b32_e32 v34, 24, v34
	v_bfrev_b32_e32 v56, 60
	v_lshlrev_b32_e32 v54, 20, v54
	v_and_b32_e32 v34, 0x80000000, v34
	v_lshl_add_u32 v37, v37, 23, v56
	v_or3_b32 v34, v34, v37, v54
	v_lshrrev_b32_e32 v54, 16, v34
.LBB854_297:
	s_or_b64 exec, exec, s[10:11]
.LBB854_298:
	s_or_b64 exec, exec, s[8:9]
.LBB854_299:
	s_or_b64 exec, exec, s[2:3]
	s_mov_b32 s2, 0x5040100
	v_perm_b32 v51, v51, v52, s2
	v_perm_b32 v50, v35, v50, s2
	;; [unrolled: 1-line block ×4, first 2 shown]
	v_mfma_f32_16x16x16bf16_1k v[56:59], v[50:51], v[18:19], v[42:45]
	s_nop 6
	v_mov_b32_e32 v43, 0
	s_waitcnt vmcnt(4)
	v_cmp_ne_u16_sdwa s[8:9], v22, v43 src0_sel:BYTE_0 src1_sel:DWORD
	v_mfma_f32_16x16x16bf16_1k v[34:37], v[34:35], v[20:21], v[56:59]
	v_mov_b32_e32 v44, 0
	s_and_saveexec_b64 s[2:3], s[8:9]
	s_cbranch_execz .LBB854_305
; %bb.300:
	s_movk_i32 s8, 0x80
	v_cmp_ne_u16_sdwa s[10:11], v22, s8 src0_sel:BYTE_0 src1_sel:DWORD
	v_mov_b32_e32 v44, 0xffff8000
	s_and_saveexec_b64 s[8:9], s[10:11]
	s_cbranch_execz .LBB854_304
; %bb.301:
	s_movk_i32 s10, 0x7f
	v_and_b32_e32 v42, 0x7f, v22
	v_cmp_ne_u32_e32 vcc, s10, v42
	v_mov_b32_e32 v44, 0x7f80
	s_and_saveexec_b64 s[10:11], vcc
	s_cbranch_execz .LBB854_303
; %bb.302:
	v_and_b32_e32 v50, 7, v22
	v_ffbh_u32_e32 v44, v50
	v_min_u32_e32 v52, 32, v44
	v_subrev_u32_e32 v44, 28, v52
	v_lshlrev_b64 v[44:45], v44, v[22:23]
	v_lshrrev_b32_e32 v51, 3, v42
	v_sub_u32_e32 v45, 29, v52
	v_and_b32_e32 v44, 7, v44
	v_cmp_gt_u32_e32 vcc, 8, v42
	v_cndmask_b32_e32 v42, v51, v45, vcc
	v_cndmask_b32_e32 v44, v50, v44, vcc
	v_lshlrev_b32_e32 v45, 24, v22
	v_bfrev_b32_e32 v50, 60
	v_lshlrev_b32_e32 v44, 20, v44
	v_and_b32_e32 v45, 0x80000000, v45
	v_lshl_add_u32 v42, v42, 23, v50
	v_or3_b32 v42, v45, v42, v44
	v_lshrrev_b32_e32 v44, 16, v42
.LBB854_303:
	s_or_b64 exec, exec, s[10:11]
.LBB854_304:
	s_or_b64 exec, exec, s[8:9]
.LBB854_305:
	s_or_b64 exec, exec, s[2:3]
	v_lshrrev_b16_e32 v42, 8, v22
	v_cmp_ne_u16_e32 vcc, 0, v42
	s_and_saveexec_b64 s[2:3], vcc
	s_cbranch_execz .LBB854_311
; %bb.306:
	s_movk_i32 s8, 0x80
	v_cmp_ne_u16_e32 vcc, s8, v42
	v_mov_b32_e32 v43, 0xffff8000
	s_and_saveexec_b64 s[8:9], vcc
	s_cbranch_execz .LBB854_310
; %bb.307:
	s_movk_i32 s10, 0x7f
	v_and_b32_e32 v45, 0x7f, v42
	v_cmp_ne_u32_e32 vcc, s10, v45
	v_mov_b32_e32 v43, 0x7f80
	s_and_saveexec_b64 s[10:11], vcc
	s_cbranch_execz .LBB854_309
; %bb.308:
	v_and_b32_e32 v50, 7, v42
	v_ffbh_u32_e32 v43, v50
	v_min_u32_e32 v52, 32, v43
	v_subrev_u32_e32 v43, 28, v52
	v_lshlrev_b64 v[42:43], v43, v[42:43]
	v_lshrrev_b32_e32 v51, 3, v45
	v_sub_u32_e32 v43, 29, v52
	v_and_b32_e32 v42, 7, v42
	v_cmp_gt_u32_e32 vcc, 8, v45
	v_cndmask_b32_e32 v43, v51, v43, vcc
	v_cndmask_b32_e32 v42, v50, v42, vcc
	v_lshlrev_b32_e32 v45, 16, v22
	v_bfrev_b32_e32 v50, 60
	v_lshlrev_b32_e32 v42, 20, v42
	v_and_b32_e32 v45, 0x80000000, v45
	v_lshl_add_u32 v43, v43, 23, v50
	v_or3_b32 v42, v45, v43, v42
	v_lshrrev_b32_e32 v43, 16, v42
.LBB854_309:
	s_or_b64 exec, exec, s[10:11]
.LBB854_310:
	s_or_b64 exec, exec, s[8:9]
.LBB854_311:
	s_or_b64 exec, exec, s[2:3]
	s_movk_i32 s2, 0xff
	v_and_b32_sdwa v51, v22, s2 dst_sel:DWORD dst_unused:UNUSED_PAD src0_sel:WORD_1 src1_sel:DWORD
	v_lshrrev_b32_e32 v42, 16, v22
	v_cmp_ne_u16_e32 vcc, 0, v51
	v_mov_b32_e32 v45, 0
	v_mov_b32_e32 v50, 0
	s_and_saveexec_b64 s[2:3], vcc
	s_cbranch_execz .LBB854_317
; %bb.312:
	s_movk_i32 s8, 0x80
	v_cmp_ne_u16_e32 vcc, s8, v51
	v_mov_b32_e32 v50, 0xffff8000
	s_and_saveexec_b64 s[8:9], vcc
	s_cbranch_execz .LBB854_316
; %bb.313:
	v_bfe_u32 v51, v22, 16, 7
	s_movk_i32 s10, 0x7f
	v_cmp_ne_u32_e32 vcc, s10, v51
	v_mov_b32_e32 v50, 0x7f80
	s_and_saveexec_b64 s[10:11], vcc
	s_cbranch_execz .LBB854_315
; %bb.314:
	v_and_b32_e32 v50, 7, v42
	v_ffbh_u32_e32 v52, v50
	v_min_u32_e32 v55, 32, v52
	v_subrev_u32_e32 v52, 28, v55
	v_lshlrev_b64 v[52:53], v52, v[42:43]
	v_lshrrev_b32_e32 v54, 3, v51
	v_sub_u32_e32 v42, 29, v55
	v_and_b32_e32 v52, 7, v52
	v_cmp_gt_u32_e32 vcc, 8, v51
	v_mov_b32_e32 v51, 24
	v_cndmask_b32_e32 v42, v54, v42, vcc
	v_cndmask_b32_e32 v50, v50, v52, vcc
	v_lshlrev_b32_sdwa v51, v51, v22 dst_sel:DWORD dst_unused:UNUSED_PAD src0_sel:DWORD src1_sel:WORD_1
	v_bfrev_b32_e32 v52, 60
	v_lshlrev_b32_e32 v50, 20, v50
	v_and_b32_e32 v51, 0x80000000, v51
	v_lshl_add_u32 v42, v42, 23, v52
	v_or3_b32 v42, v51, v42, v50
	v_lshrrev_b32_e32 v50, 16, v42
.LBB854_315:
	s_or_b64 exec, exec, s[10:11]
.LBB854_316:
	s_or_b64 exec, exec, s[8:9]
.LBB854_317:
	s_or_b64 exec, exec, s[2:3]
	s_mov_b32 s2, 0xffffff
	v_cmp_lt_u32_e32 vcc, s2, v22
	s_and_saveexec_b64 s[2:3], vcc
	s_cbranch_execz .LBB854_323
; %bb.318:
	v_lshrrev_b32_e32 v42, 24, v22
	s_movk_i32 s8, 0x80
	v_cmp_ne_u32_e32 vcc, s8, v42
	v_mov_b32_e32 v45, 0xffff8000
	s_and_saveexec_b64 s[8:9], vcc
	s_cbranch_execz .LBB854_322
; %bb.319:
	v_bfe_u32 v22, v22, 24, 7
	s_movk_i32 s10, 0x7f
	v_cmp_ne_u32_e32 vcc, s10, v22
	v_mov_b32_e32 v45, 0x7f80
	s_and_saveexec_b64 s[10:11], vcc
	s_cbranch_execz .LBB854_321
; %bb.320:
	v_and_b32_e32 v45, 7, v42
	v_ffbh_u32_e32 v52, v45
	v_min_u32_e32 v54, 32, v52
	v_subrev_u32_e32 v52, 28, v54
	v_lshlrev_b64 v[52:53], v52, v[42:43]
	v_lshrrev_b32_e32 v51, 3, v22
	v_sub_u32_e32 v53, 29, v54
	v_and_b32_e32 v52, 7, v52
	v_cmp_gt_u32_e32 vcc, 8, v22
	v_cndmask_b32_e32 v22, v51, v53, vcc
	v_cndmask_b32_e32 v45, v45, v52, vcc
	v_lshlrev_b32_e32 v42, 24, v42
	v_bfrev_b32_e32 v51, 60
	v_lshlrev_b32_e32 v45, 20, v45
	v_and_b32_e32 v42, 0x80000000, v42
	v_lshl_add_u32 v22, v22, 23, v51
	v_or3_b32 v22, v42, v22, v45
	v_lshrrev_b32_e32 v45, 16, v22
.LBB854_321:
	s_or_b64 exec, exec, s[10:11]
.LBB854_322:
	s_or_b64 exec, exec, s[8:9]
.LBB854_323:
	s_or_b64 exec, exec, s[2:3]
	v_mov_b32_e32 v42, 0
	v_cmp_ne_u16_sdwa s[8:9], v23, v42 src0_sel:BYTE_0 src1_sel:DWORD
	v_mov_b32_e32 v51, 0
	s_and_saveexec_b64 s[2:3], s[8:9]
	s_cbranch_execz .LBB854_329
; %bb.324:
	s_movk_i32 s8, 0x80
	v_cmp_ne_u16_sdwa s[10:11], v23, s8 src0_sel:BYTE_0 src1_sel:DWORD
	v_mov_b32_e32 v51, 0xffff8000
	s_and_saveexec_b64 s[8:9], s[10:11]
	s_cbranch_execz .LBB854_328
; %bb.325:
	s_movk_i32 s10, 0x7f
	v_and_b32_e32 v22, 0x7f, v23
	v_cmp_ne_u32_e32 vcc, s10, v22
	v_mov_b32_e32 v51, 0x7f80
	s_and_saveexec_b64 s[10:11], vcc
	s_cbranch_execz .LBB854_327
; %bb.326:
	v_and_b32_e32 v51, 7, v23
	v_ffbh_u32_e32 v53, v51
	v_min_u32_e32 v55, 32, v53
	v_mov_b32_e32 v52, v23
	v_subrev_u32_e32 v53, 28, v55
	v_lshlrev_b64 v[52:53], v53, v[52:53]
	v_lshrrev_b32_e32 v54, 3, v22
	v_sub_u32_e32 v53, 29, v55
	v_and_b32_e32 v52, 7, v52
	v_cmp_gt_u32_e32 vcc, 8, v22
	v_cndmask_b32_e32 v22, v54, v53, vcc
	v_cndmask_b32_e32 v51, v51, v52, vcc
	v_lshlrev_b32_e32 v52, 24, v23
	v_bfrev_b32_e32 v53, 60
	v_lshlrev_b32_e32 v51, 20, v51
	v_and_b32_e32 v52, 0x80000000, v52
	v_lshl_add_u32 v22, v22, 23, v53
	v_or3_b32 v22, v52, v22, v51
	v_lshrrev_b32_e32 v51, 16, v22
.LBB854_327:
	s_or_b64 exec, exec, s[10:11]
.LBB854_328:
	s_or_b64 exec, exec, s[8:9]
.LBB854_329:
	s_or_b64 exec, exec, s[2:3]
	v_lshrrev_b16_e32 v22, 8, v23
	v_cmp_ne_u16_e32 vcc, 0, v22
	s_and_saveexec_b64 s[2:3], vcc
	s_cbranch_execz .LBB854_335
; %bb.330:
	s_movk_i32 s8, 0x80
	v_cmp_ne_u16_e32 vcc, s8, v22
	v_mov_b32_e32 v42, 0xffff8000
	s_and_saveexec_b64 s[8:9], vcc
	s_cbranch_execz .LBB854_334
; %bb.331:
	s_movk_i32 s10, 0x7f
	v_and_b32_e32 v52, 0x7f, v22
	v_cmp_ne_u32_e32 vcc, s10, v52
	v_mov_b32_e32 v42, 0x7f80
	s_and_saveexec_b64 s[10:11], vcc
	s_cbranch_execz .LBB854_333
; %bb.332:
	v_and_b32_e32 v42, 7, v22
	v_ffbh_u32_e32 v54, v42
	v_min_u32_e32 v56, 32, v54
	v_subrev_u32_e32 v54, 28, v56
	v_lshlrev_b64 v[54:55], v54, v[22:23]
	v_lshrrev_b32_e32 v53, 3, v52
	v_sub_u32_e32 v22, 29, v56
	v_and_b32_e32 v54, 7, v54
	v_cmp_gt_u32_e32 vcc, 8, v52
	v_cndmask_b32_e32 v22, v53, v22, vcc
	v_cndmask_b32_e32 v42, v42, v54, vcc
	v_lshlrev_b32_e32 v52, 16, v23
	v_bfrev_b32_e32 v53, 60
	v_lshlrev_b32_e32 v42, 20, v42
	v_and_b32_e32 v52, 0x80000000, v52
	v_lshl_add_u32 v22, v22, 23, v53
	v_or3_b32 v22, v52, v22, v42
	v_lshrrev_b32_e32 v42, 16, v22
.LBB854_333:
	s_or_b64 exec, exec, s[10:11]
.LBB854_334:
	s_or_b64 exec, exec, s[8:9]
.LBB854_335:
	s_or_b64 exec, exec, s[2:3]
	s_movk_i32 s2, 0xff
	v_and_b32_sdwa v54, v23, s2 dst_sel:DWORD dst_unused:UNUSED_PAD src0_sel:WORD_1 src1_sel:DWORD
	v_lshrrev_b32_e32 v22, 16, v23
	v_cmp_ne_u16_e32 vcc, 0, v54
	v_mov_b32_e32 v52, 0
	v_mov_b32_e32 v53, 0
	s_and_saveexec_b64 s[2:3], vcc
	s_cbranch_execz .LBB854_341
; %bb.336:
	s_movk_i32 s8, 0x80
	v_cmp_ne_u16_e32 vcc, s8, v54
	v_mov_b32_e32 v53, 0xffff8000
	s_and_saveexec_b64 s[8:9], vcc
	s_cbranch_execz .LBB854_340
; %bb.337:
	v_bfe_u32 v54, v23, 16, 7
	s_movk_i32 s10, 0x7f
	v_cmp_ne_u32_e32 vcc, s10, v54
	v_mov_b32_e32 v53, 0x7f80
	s_and_saveexec_b64 s[10:11], vcc
	s_cbranch_execz .LBB854_339
; %bb.338:
	v_and_b32_e32 v53, 7, v22
	v_ffbh_u32_e32 v56, v53
	v_min_u32_e32 v58, 32, v56
	v_subrev_u32_e32 v56, 28, v58
	v_lshlrev_b64 v[56:57], v56, v[22:23]
	v_lshrrev_b32_e32 v55, 3, v54
	v_sub_u32_e32 v22, 29, v58
	v_and_b32_e32 v56, 7, v56
	v_cmp_gt_u32_e32 vcc, 8, v54
	v_mov_b32_e32 v54, 24
	v_cndmask_b32_e32 v22, v55, v22, vcc
	v_cndmask_b32_e32 v53, v53, v56, vcc
	v_lshlrev_b32_sdwa v54, v54, v23 dst_sel:DWORD dst_unused:UNUSED_PAD src0_sel:DWORD src1_sel:WORD_1
	v_bfrev_b32_e32 v55, 60
	v_lshlrev_b32_e32 v53, 20, v53
	v_and_b32_e32 v54, 0x80000000, v54
	v_lshl_add_u32 v22, v22, 23, v55
	v_or3_b32 v22, v54, v22, v53
	v_lshrrev_b32_e32 v53, 16, v22
.LBB854_339:
	s_or_b64 exec, exec, s[10:11]
.LBB854_340:
	s_or_b64 exec, exec, s[8:9]
.LBB854_341:
	s_or_b64 exec, exec, s[2:3]
	s_mov_b32 s2, 0xffffff
	v_cmp_lt_u32_e32 vcc, s2, v23
	s_and_saveexec_b64 s[2:3], vcc
	s_cbranch_execz .LBB854_347
; %bb.342:
	v_lshrrev_b32_e32 v22, 24, v23
	s_movk_i32 s8, 0x80
	v_cmp_ne_u32_e32 vcc, s8, v22
	v_mov_b32_e32 v52, 0xffff8000
	s_and_saveexec_b64 s[8:9], vcc
	s_cbranch_execz .LBB854_346
; %bb.343:
	v_bfe_u32 v23, v23, 24, 7
	s_movk_i32 s10, 0x7f
	v_cmp_ne_u32_e32 vcc, s10, v23
	v_mov_b32_e32 v52, 0x7f80
	s_and_saveexec_b64 s[10:11], vcc
	s_cbranch_execz .LBB854_345
; %bb.344:
	v_and_b32_e32 v52, 7, v22
	v_ffbh_u32_e32 v54, v52
	v_min_u32_e32 v57, 32, v54
	v_subrev_u32_e32 v54, 28, v57
	v_lshlrev_b64 v[54:55], v54, v[22:23]
	v_lshrrev_b32_e32 v56, 3, v23
	v_sub_u32_e32 v55, 29, v57
	v_and_b32_e32 v54, 7, v54
	v_cmp_gt_u32_e32 vcc, 8, v23
	v_cndmask_b32_e32 v23, v56, v55, vcc
	v_cndmask_b32_e32 v52, v52, v54, vcc
	v_lshlrev_b32_e32 v22, 24, v22
	v_bfrev_b32_e32 v54, 60
	v_lshlrev_b32_e32 v52, 20, v52
	v_and_b32_e32 v22, 0x80000000, v22
	v_lshl_add_u32 v23, v23, 23, v54
	v_or3_b32 v22, v22, v23, v52
	v_lshrrev_b32_e32 v52, 16, v22
.LBB854_345:
	s_or_b64 exec, exec, s[10:11]
.LBB854_346:
	s_or_b64 exec, exec, s[8:9]
.LBB854_347:
	s_or_b64 exec, exec, s[2:3]
	s_mov_b32 s2, 0x5040100
	v_perm_b32 v23, v45, v50, s2
	v_perm_b32 v22, v43, v44, s2
	s_nop 1
	v_mfma_f32_16x16x16bf16_1k v[54:57], v[22:23], v[26:27], 0
	v_perm_b32 v27, v52, v53, s2
	v_perm_b32 v26, v42, v51, s2
	v_mov_b32_e32 v23, 0
	v_cmp_ne_u16_sdwa s[8:9], v24, v23 src0_sel:BYTE_0 src1_sel:DWORD
	v_mov_b32_e32 v42, 0
	v_mfma_f32_16x16x16bf16_1k v[26:29], v[26:27], v[28:29], v[54:57]
	s_and_saveexec_b64 s[2:3], s[8:9]
	s_cbranch_execz .LBB854_353
; %bb.348:
	s_movk_i32 s8, 0x80
	v_cmp_ne_u16_sdwa s[10:11], v24, s8 src0_sel:BYTE_0 src1_sel:DWORD
	v_mov_b32_e32 v42, 0xffff8000
	s_and_saveexec_b64 s[8:9], s[10:11]
	s_cbranch_execz .LBB854_352
; %bb.349:
	s_movk_i32 s10, 0x7f
	v_and_b32_e32 v22, 0x7f, v24
	v_cmp_ne_u32_e32 vcc, s10, v22
	v_mov_b32_e32 v42, 0x7f80
	s_and_saveexec_b64 s[10:11], vcc
	s_cbranch_execz .LBB854_351
; %bb.350:
	v_and_b32_e32 v44, 7, v24
	v_ffbh_u32_e32 v42, v44
	v_min_u32_e32 v50, 32, v42
	v_subrev_u32_e32 v42, 28, v50
	v_lshlrev_b64 v[42:43], v42, v[24:25]
	v_lshrrev_b32_e32 v45, 3, v22
	v_sub_u32_e32 v43, 29, v50
	v_and_b32_e32 v42, 7, v42
	v_cmp_gt_u32_e32 vcc, 8, v22
	v_cndmask_b32_e32 v22, v45, v43, vcc
	v_cndmask_b32_e32 v42, v44, v42, vcc
	v_lshlrev_b32_e32 v43, 24, v24
	v_bfrev_b32_e32 v44, 60
	v_lshlrev_b32_e32 v42, 20, v42
	v_and_b32_e32 v43, 0x80000000, v43
	v_lshl_add_u32 v22, v22, 23, v44
	v_or3_b32 v22, v43, v22, v42
	v_lshrrev_b32_e32 v42, 16, v22
.LBB854_351:
	s_or_b64 exec, exec, s[10:11]
.LBB854_352:
	s_or_b64 exec, exec, s[8:9]
.LBB854_353:
	s_or_b64 exec, exec, s[2:3]
	v_lshrrev_b16_e32 v22, 8, v24
	v_cmp_ne_u16_e32 vcc, 0, v22
	s_and_saveexec_b64 s[2:3], vcc
	s_cbranch_execz .LBB854_359
; %bb.354:
	s_movk_i32 s8, 0x80
	v_cmp_ne_u16_e32 vcc, s8, v22
	v_mov_b32_e32 v23, 0xffff8000
	s_and_saveexec_b64 s[8:9], vcc
	s_cbranch_execz .LBB854_358
; %bb.355:
	s_movk_i32 s10, 0x7f
	v_and_b32_e32 v43, 0x7f, v22
	v_cmp_ne_u32_e32 vcc, s10, v43
	v_mov_b32_e32 v23, 0x7f80
	s_and_saveexec_b64 s[10:11], vcc
	s_cbranch_execz .LBB854_357
; %bb.356:
	v_and_b32_e32 v44, 7, v22
	v_ffbh_u32_e32 v23, v44
	v_min_u32_e32 v50, 32, v23
	v_subrev_u32_e32 v23, 28, v50
	v_lshlrev_b64 v[22:23], v23, v[22:23]
	v_lshrrev_b32_e32 v45, 3, v43
	v_sub_u32_e32 v23, 29, v50
	v_and_b32_e32 v22, 7, v22
	v_cmp_gt_u32_e32 vcc, 8, v43
	v_cndmask_b32_e32 v23, v45, v23, vcc
	v_cndmask_b32_e32 v22, v44, v22, vcc
	v_lshlrev_b32_e32 v43, 16, v24
	v_bfrev_b32_e32 v44, 60
	v_lshlrev_b32_e32 v22, 20, v22
	v_and_b32_e32 v43, 0x80000000, v43
	v_lshl_add_u32 v23, v23, 23, v44
	v_or3_b32 v22, v43, v23, v22
	v_lshrrev_b32_e32 v23, 16, v22
.LBB854_357:
	s_or_b64 exec, exec, s[10:11]
.LBB854_358:
	s_or_b64 exec, exec, s[8:9]
.LBB854_359:
	s_or_b64 exec, exec, s[2:3]
	s_movk_i32 s2, 0xff
	v_and_b32_sdwa v45, v24, s2 dst_sel:DWORD dst_unused:UNUSED_PAD src0_sel:WORD_1 src1_sel:DWORD
	v_lshrrev_b32_e32 v22, 16, v24
	v_cmp_ne_u16_e32 vcc, 0, v45
	v_mov_b32_e32 v43, 0
	v_mov_b32_e32 v44, 0
	s_and_saveexec_b64 s[2:3], vcc
	s_cbranch_execz .LBB854_365
; %bb.360:
	s_movk_i32 s8, 0x80
	v_cmp_ne_u16_e32 vcc, s8, v45
	v_mov_b32_e32 v44, 0xffff8000
	s_and_saveexec_b64 s[8:9], vcc
	s_cbranch_execz .LBB854_364
; %bb.361:
	v_bfe_u32 v45, v24, 16, 7
	s_movk_i32 s10, 0x7f
	v_cmp_ne_u32_e32 vcc, s10, v45
	v_mov_b32_e32 v44, 0x7f80
	s_and_saveexec_b64 s[10:11], vcc
	s_cbranch_execz .LBB854_363
; %bb.362:
	v_and_b32_e32 v44, 7, v22
	v_ffbh_u32_e32 v50, v44
	v_min_u32_e32 v53, 32, v50
	v_subrev_u32_e32 v50, 28, v53
	v_lshlrev_b64 v[50:51], v50, v[22:23]
	v_lshrrev_b32_e32 v52, 3, v45
	v_sub_u32_e32 v22, 29, v53
	v_and_b32_e32 v50, 7, v50
	v_cmp_gt_u32_e32 vcc, 8, v45
	v_mov_b32_e32 v45, 24
	v_cndmask_b32_e32 v22, v52, v22, vcc
	v_cndmask_b32_e32 v44, v44, v50, vcc
	v_lshlrev_b32_sdwa v45, v45, v24 dst_sel:DWORD dst_unused:UNUSED_PAD src0_sel:DWORD src1_sel:WORD_1
	v_bfrev_b32_e32 v50, 60
	v_lshlrev_b32_e32 v44, 20, v44
	v_and_b32_e32 v45, 0x80000000, v45
	v_lshl_add_u32 v22, v22, 23, v50
	v_or3_b32 v22, v45, v22, v44
	v_lshrrev_b32_e32 v44, 16, v22
.LBB854_363:
	s_or_b64 exec, exec, s[10:11]
.LBB854_364:
	s_or_b64 exec, exec, s[8:9]
.LBB854_365:
	s_or_b64 exec, exec, s[2:3]
	s_mov_b32 s2, 0xffffff
	v_cmp_lt_u32_e32 vcc, s2, v24
	s_and_saveexec_b64 s[2:3], vcc
	s_cbranch_execz .LBB854_371
; %bb.366:
	v_lshrrev_b32_e32 v22, 24, v24
	s_movk_i32 s8, 0x80
	v_cmp_ne_u32_e32 vcc, s8, v22
	v_mov_b32_e32 v43, 0xffff8000
	s_and_saveexec_b64 s[8:9], vcc
	s_cbranch_execz .LBB854_370
; %bb.367:
	v_bfe_u32 v24, v24, 24, 7
	s_movk_i32 s10, 0x7f
	v_cmp_ne_u32_e32 vcc, s10, v24
	v_mov_b32_e32 v43, 0x7f80
	s_and_saveexec_b64 s[10:11], vcc
	s_cbranch_execz .LBB854_369
; %bb.368:
	v_and_b32_e32 v43, 7, v22
	v_ffbh_u32_e32 v50, v43
	v_min_u32_e32 v52, 32, v50
	v_subrev_u32_e32 v50, 28, v52
	v_lshlrev_b64 v[50:51], v50, v[22:23]
	v_lshrrev_b32_e32 v45, 3, v24
	v_sub_u32_e32 v51, 29, v52
	v_and_b32_e32 v50, 7, v50
	v_cmp_gt_u32_e32 vcc, 8, v24
	v_cndmask_b32_e32 v24, v45, v51, vcc
	v_cndmask_b32_e32 v43, v43, v50, vcc
	v_lshlrev_b32_e32 v22, 24, v22
	v_bfrev_b32_e32 v45, 60
	v_lshlrev_b32_e32 v43, 20, v43
	v_and_b32_e32 v22, 0x80000000, v22
	v_lshl_add_u32 v24, v24, 23, v45
	v_or3_b32 v22, v22, v24, v43
	v_lshrrev_b32_e32 v43, 16, v22
.LBB854_369:
	s_or_b64 exec, exec, s[10:11]
.LBB854_370:
	s_or_b64 exec, exec, s[8:9]
.LBB854_371:
	s_or_b64 exec, exec, s[2:3]
	v_mov_b32_e32 v24, 0
	v_cmp_ne_u16_sdwa s[8:9], v25, v24 src0_sel:BYTE_0 src1_sel:DWORD
	v_mov_b32_e32 v50, 0
	s_and_saveexec_b64 s[2:3], s[8:9]
	s_cbranch_execz .LBB854_377
; %bb.372:
	s_movk_i32 s8, 0x80
	v_cmp_ne_u16_sdwa s[10:11], v25, s8 src0_sel:BYTE_0 src1_sel:DWORD
	v_mov_b32_e32 v50, 0xffff8000
	s_and_saveexec_b64 s[8:9], s[10:11]
	s_cbranch_execz .LBB854_376
; %bb.373:
	s_movk_i32 s10, 0x7f
	v_and_b32_e32 v22, 0x7f, v25
	v_cmp_ne_u32_e32 vcc, s10, v22
	v_mov_b32_e32 v50, 0x7f80
	s_and_saveexec_b64 s[10:11], vcc
	s_cbranch_execz .LBB854_375
; %bb.374:
	v_and_b32_e32 v45, 7, v25
	v_ffbh_u32_e32 v51, v45
	v_min_u32_e32 v53, 32, v51
	v_mov_b32_e32 v50, v25
	v_subrev_u32_e32 v51, 28, v53
	v_lshlrev_b64 v[50:51], v51, v[50:51]
	v_lshrrev_b32_e32 v52, 3, v22
	v_sub_u32_e32 v51, 29, v53
	v_and_b32_e32 v50, 7, v50
	v_cmp_gt_u32_e32 vcc, 8, v22
	v_cndmask_b32_e32 v22, v52, v51, vcc
	v_cndmask_b32_e32 v45, v45, v50, vcc
	v_lshlrev_b32_e32 v50, 24, v25
	v_bfrev_b32_e32 v51, 60
	v_lshlrev_b32_e32 v45, 20, v45
	v_and_b32_e32 v50, 0x80000000, v50
	v_lshl_add_u32 v22, v22, 23, v51
	v_or3_b32 v22, v50, v22, v45
	v_lshrrev_b32_e32 v50, 16, v22
.LBB854_375:
	s_or_b64 exec, exec, s[10:11]
.LBB854_376:
	s_or_b64 exec, exec, s[8:9]
.LBB854_377:
	s_or_b64 exec, exec, s[2:3]
	v_lshrrev_b16_e32 v22, 8, v25
	v_cmp_ne_u16_e32 vcc, 0, v22
	s_and_saveexec_b64 s[2:3], vcc
	s_cbranch_execz .LBB854_383
; %bb.378:
	s_movk_i32 s8, 0x80
	v_cmp_ne_u16_e32 vcc, s8, v22
	v_mov_b32_e32 v24, 0xffff8000
	s_and_saveexec_b64 s[8:9], vcc
	s_cbranch_execz .LBB854_382
; %bb.379:
	s_movk_i32 s10, 0x7f
	v_and_b32_e32 v45, 0x7f, v22
	v_cmp_ne_u32_e32 vcc, s10, v45
	v_mov_b32_e32 v24, 0x7f80
	s_and_saveexec_b64 s[10:11], vcc
	s_cbranch_execz .LBB854_381
; %bb.380:
	v_and_b32_e32 v24, 7, v22
	v_ffbh_u32_e32 v52, v24
	v_min_u32_e32 v54, 32, v52
	v_subrev_u32_e32 v52, 28, v54
	v_lshlrev_b64 v[52:53], v52, v[22:23]
	v_lshrrev_b32_e32 v51, 3, v45
	v_sub_u32_e32 v22, 29, v54
	v_and_b32_e32 v52, 7, v52
	v_cmp_gt_u32_e32 vcc, 8, v45
	v_cndmask_b32_e32 v22, v51, v22, vcc
	v_cndmask_b32_e32 v24, v24, v52, vcc
	v_lshlrev_b32_e32 v45, 16, v25
	v_bfrev_b32_e32 v51, 60
	v_lshlrev_b32_e32 v24, 20, v24
	v_and_b32_e32 v45, 0x80000000, v45
	v_lshl_add_u32 v22, v22, 23, v51
	v_or3_b32 v22, v45, v22, v24
	v_lshrrev_b32_e32 v24, 16, v22
.LBB854_381:
	s_or_b64 exec, exec, s[10:11]
.LBB854_382:
	s_or_b64 exec, exec, s[8:9]
.LBB854_383:
	s_or_b64 exec, exec, s[2:3]
	s_movk_i32 s2, 0xff
	v_and_b32_sdwa v45, v25, s2 dst_sel:DWORD dst_unused:UNUSED_PAD src0_sel:WORD_1 src1_sel:DWORD
	v_lshrrev_b32_e32 v22, 16, v25
	v_cmp_ne_u16_e32 vcc, 0, v45
	v_mov_b32_e32 v51, 0
	v_mov_b32_e32 v52, 0
	s_and_saveexec_b64 s[2:3], vcc
	s_cbranch_execz .LBB854_389
; %bb.384:
	s_movk_i32 s8, 0x80
	v_cmp_ne_u16_e32 vcc, s8, v45
	v_mov_b32_e32 v52, 0xffff8000
	s_and_saveexec_b64 s[8:9], vcc
	s_cbranch_execz .LBB854_388
; %bb.385:
	v_bfe_u32 v45, v25, 16, 7
	s_movk_i32 s10, 0x7f
	v_cmp_ne_u32_e32 vcc, s10, v45
	v_mov_b32_e32 v52, 0x7f80
	s_and_saveexec_b64 s[10:11], vcc
	s_cbranch_execz .LBB854_387
; %bb.386:
	v_and_b32_e32 v54, 7, v22
	v_ffbh_u32_e32 v52, v54
	v_min_u32_e32 v56, 32, v52
	v_subrev_u32_e32 v52, 28, v56
	v_lshlrev_b64 v[52:53], v52, v[22:23]
	v_and_b32_e32 v52, 7, v52
	v_cmp_gt_u32_e32 vcc, 8, v45
	v_lshrrev_b32_e32 v55, 3, v45
	v_sub_u32_e32 v22, 29, v56
	v_cndmask_b32_e32 v45, v54, v52, vcc
	v_mov_b32_e32 v52, 24
	v_cndmask_b32_e32 v22, v55, v22, vcc
	v_lshlrev_b32_sdwa v52, v52, v25 dst_sel:DWORD dst_unused:UNUSED_PAD src0_sel:DWORD src1_sel:WORD_1
	v_bfrev_b32_e32 v53, 60
	v_lshlrev_b32_e32 v45, 20, v45
	v_and_b32_e32 v52, 0x80000000, v52
	v_lshl_add_u32 v22, v22, 23, v53
	v_or3_b32 v22, v52, v22, v45
	v_lshrrev_b32_e32 v52, 16, v22
.LBB854_387:
	s_or_b64 exec, exec, s[10:11]
.LBB854_388:
	s_or_b64 exec, exec, s[8:9]
.LBB854_389:
	s_or_b64 exec, exec, s[2:3]
	s_mov_b32 s2, 0xffffff
	v_and_b32_e32 v45, 63, v0
	v_cmp_lt_u32_e32 vcc, s2, v25
	s_and_saveexec_b64 s[2:3], vcc
	s_cbranch_execz .LBB854_395
; %bb.390:
	v_lshrrev_b32_e32 v22, 24, v25
	s_movk_i32 s8, 0x80
	v_cmp_ne_u32_e32 vcc, s8, v22
	v_mov_b32_e32 v51, 0xffff8000
	s_and_saveexec_b64 s[8:9], vcc
	s_cbranch_execz .LBB854_394
; %bb.391:
	v_bfe_u32 v25, v25, 24, 7
	s_movk_i32 s10, 0x7f
	v_cmp_ne_u32_e32 vcc, s10, v25
	v_mov_b32_e32 v51, 0x7f80
	s_and_saveexec_b64 s[10:11], vcc
	s_cbranch_execz .LBB854_393
; %bb.392:
	v_and_b32_e32 v51, 7, v22
	v_ffbh_u32_e32 v54, v51
	v_min_u32_e32 v56, 32, v54
	v_subrev_u32_e32 v54, 28, v56
	v_lshlrev_b64 v[54:55], v54, v[22:23]
	v_lshrrev_b32_e32 v53, 3, v25
	v_sub_u32_e32 v55, 29, v56
	v_and_b32_e32 v54, 7, v54
	v_cmp_gt_u32_e32 vcc, 8, v25
	v_cndmask_b32_e32 v25, v53, v55, vcc
	v_cndmask_b32_e32 v51, v51, v54, vcc
	v_lshlrev_b32_e32 v22, 24, v22
	v_bfrev_b32_e32 v53, 60
	v_lshlrev_b32_e32 v51, 20, v51
	v_and_b32_e32 v22, 0x80000000, v22
	v_lshl_add_u32 v25, v25, 23, v53
	v_or3_b32 v22, v22, v25, v51
	v_lshrrev_b32_e32 v51, 16, v22
.LBB854_393:
	s_or_b64 exec, exec, s[10:11]
.LBB854_394:
	s_or_b64 exec, exec, s[8:9]
.LBB854_395:
	s_or_b64 exec, exec, s[2:3]
	s_mov_b32 s3, 0x5040100
	v_perm_b32 v43, v43, v44, s3
	v_perm_b32 v42, v23, v42, s3
	s_load_dword s2, s[4:5], 0x1c
	s_mov_b32 s46, 0xff7fffff
	s_waitcnt lgkmcnt(0)
	v_mfma_f32_16x16x16bf16_1k v[26:29], v[42:43], v[18:19], v[26:29]
	v_perm_b32 v19, v51, v52, s3
	v_perm_b32 v18, v24, v50, s3
	v_and_b32_e32 v24, 0xc0, v0
	v_mov_b32_e32 v22, s2
	v_add_u32_e32 v24, s20, v24
	v_mul_f32_e32 v44, s12, v22
	v_lshl_or_b32 v42, v1, 2, v24
	v_mfma_f32_16x16x16bf16_1k v[18:21], v[18:19], v[20:21], v[26:29]
	v_pk_mul_f32 v[22:23], v[44:45], v[36:37] op_sel_hi:[0,1]
	v_pk_mul_f32 v[36:37], v[44:45], v[40:41] op_sel_hi:[0,1]
	;; [unrolled: 1-line block ×4, first 2 shown]
	v_mov_b32_e32 v43, 0xff7fffff
	v_cmp_gt_i32_e64 s[26:27], s33, v42
	v_pk_mul_f32 v[38:39], v[44:45], v[38:39] op_sel_hi:[0,1]
	s_nop 3
	v_pk_mul_f32 v[32:33], v[44:45], v[18:19] op_sel_hi:[0,1]
	v_or_b32_e32 v19, 1, v42
	v_cmp_gt_i32_e64 s[28:29], s33, v19
	v_cndmask_b32_e64 v18, v43, v30, s[26:27]
	v_cndmask_b32_e64 v19, v43, v31, s[28:29]
	v_pk_mul_f32 v[24:25], v[44:45], v[20:21] op_sel_hi:[0,1]
	v_max3_f32 v18, v18, s46, v19
	v_or_b32_e32 v19, 2, v42
	v_or_b32_e32 v20, 3, v42
	v_cmp_gt_i32_e64 s[30:31], s33, v19
	v_cmp_gt_i32_e64 s[34:35], s33, v20
	v_cndmask_b32_e64 v19, v43, v40, s[30:31]
	v_cndmask_b32_e64 v20, v43, v41, s[34:35]
	v_max3_f32 v18, v18, v19, v20
	v_or_b32_e32 v19, 16, v42
	v_or_b32_e32 v20, 17, v42
	v_cmp_gt_i32_e64 s[36:37], s33, v19
	v_cmp_gt_i32_e64 s[38:39], s33, v20
	v_cndmask_b32_e64 v19, v43, v38, s[36:37]
	v_cndmask_b32_e64 v20, v43, v39, s[38:39]
	;; [unrolled: 7-line block ×3, first 2 shown]
	v_max3_f32 v18, v18, v19, v20
	v_or_b32_e32 v19, 32, v42
	v_or_b32_e32 v20, 33, v42
	v_pk_mul_f32 v[34:35], v[44:45], v[34:35] op_sel_hi:[0,1]
	v_cmp_gt_i32_e64 s[16:17], s33, v19
	v_cmp_gt_i32_e64 s[18:19], s33, v20
	v_cndmask_b32_e64 v19, v43, v34, s[16:17]
	v_cndmask_b32_e64 v20, v43, v35, s[18:19]
	v_max3_f32 v18, v18, v19, v20
	v_or_b32_e32 v19, 34, v42
	v_or_b32_e32 v20, 35, v42
	v_cmp_gt_i32_e64 s[12:13], s33, v19
	v_cmp_gt_i32_e64 s[14:15], s33, v20
	v_cndmask_b32_e64 v19, v43, v22, s[12:13]
	v_cndmask_b32_e64 v20, v43, v23, s[14:15]
	v_max3_f32 v18, v18, v19, v20
	v_or_b32_e32 v19, 48, v42
	v_or_b32_e32 v20, 49, v42
	;; [unrolled: 7-line block ×3, first 2 shown]
	v_cmp_gt_i32_e32 vcc, s33, v19
	v_cmp_gt_i32_e64 s[2:3], s33, v20
	v_cndmask_b32_e32 v19, v43, v24, vcc
	v_cndmask_b32_e64 v20, v43, v25, s[2:3]
	v_max3_f32 v18, v18, v19, v20
	v_mbcnt_lo_u32_b32 v19, -1, 0
	v_mbcnt_hi_u32_b32 v19, -1, v19
	v_and_b32_e32 v20, 64, v19
	v_add_u32_e32 v20, 64, v20
	v_xor_b32_e32 v21, 32, v19
	v_cmp_lt_i32_e64 s[40:41], v21, v20
	v_cndmask_b32_e64 v21, v19, v21, s[40:41]
	v_lshlrev_b32_e32 v43, 2, v21
	ds_bpermute_b32 v21, v43, v18
	s_barrier
	s_waitcnt lgkmcnt(0)
	v_max_f32_e32 v21, v21, v21
	v_max_f32_e32 v18, v18, v21
	v_xor_b32_e32 v21, 16, v19
	v_cmp_lt_i32_e64 s[40:41], v21, v20
	v_cndmask_b32_e64 v19, v19, v21, s[40:41]
	v_lshlrev_b32_e32 v44, 2, v19
	ds_bpermute_b32 v19, v44, v18
	s_waitcnt lgkmcnt(0)
	v_max_f32_e32 v19, v19, v19
	v_max_f32_e32 v42, v18, v19
	v_sub_f32_e32 v21, v40, v42
	v_sub_f32_e32 v26, v41, v42
	v_mul_f32_e32 v21, 0x3fb8aa3b, v21
	v_mul_f32_e32 v26, 0x3fb8aa3b, v26
	v_sub_f32_e32 v18, v30, v42
	v_exp_f32_e32 v21, v21
	v_exp_f32_e32 v26, v26
	v_mul_f32_e32 v18, 0x3fb8aa3b, v18
	v_sub_f32_e32 v19, v31, v42
	v_exp_f32_e32 v18, v18
	v_mul_f32_e32 v19, 0x3fb8aa3b, v19
	v_exp_f32_e32 v19, v19
	v_cndmask_b32_e64 v28, 0, v21, s[30:31]
	v_cndmask_b32_e64 v29, 0, v26, s[34:35]
	v_sub_f32_e32 v21, v38, v42
	v_sub_f32_e32 v26, v39, v42
	v_mul_f32_e32 v21, 0x3fb8aa3b, v21
	v_mul_f32_e32 v26, 0x3fb8aa3b, v26
	v_cndmask_b32_e64 v18, 0, v18, s[26:27]
	v_exp_f32_e32 v21, v21
	v_exp_f32_e32 v26, v26
	v_add_f32_e32 v20, 0, v18
	v_cndmask_b32_e64 v19, 0, v19, s[28:29]
	v_add_f32_e32 v20, v20, v19
	v_add_f32_e32 v20, v20, v28
	;; [unrolled: 1-line block ×3, first 2 shown]
	v_cndmask_b32_e64 v20, 0, v21, s[36:37]
	v_cndmask_b32_e64 v21, 0, v26, s[38:39]
	v_sub_f32_e32 v26, v36, v42
	v_mul_f32_e32 v26, 0x3fb8aa3b, v26
	v_exp_f32_e32 v26, v26
	v_sub_f32_e32 v30, v37, v42
	v_add_f32_e32 v27, v27, v20
	v_mul_f32_e32 v30, 0x3fb8aa3b, v30
	v_exp_f32_e32 v31, v30
	v_add_f32_e32 v27, v27, v21
	v_cndmask_b32_e64 v30, 0, v26, s[20:21]
	v_add_f32_e32 v26, v27, v30
	v_sub_f32_e32 v27, v34, v42
	v_mul_f32_e32 v27, 0x3fb8aa3b, v27
	v_sub_f32_e32 v34, v35, v42
	v_exp_f32_e32 v27, v27
	v_mul_f32_e32 v34, 0x3fb8aa3b, v34
	v_sub_f32_e32 v22, v22, v42
	v_exp_f32_e32 v34, v34
	;; [unrolled: 3-line block ×3, first 2 shown]
	v_mul_f32_e32 v23, 0x3fb8aa3b, v23
	v_cndmask_b32_e64 v31, 0, v31, s[22:23]
	v_exp_f32_e32 v23, v23
	v_add_f32_e32 v35, v26, v31
	v_cndmask_b32_e64 v26, 0, v27, s[16:17]
	v_add_f32_e32 v35, v35, v26
	v_cndmask_b32_e64 v27, 0, v34, s[18:19]
	;; [unrolled: 2-line block ×4, first 2 shown]
	v_sub_f32_e32 v23, v32, v42
	v_mul_f32_e32 v23, 0x3fb8aa3b, v23
	v_sub_f32_e32 v32, v33, v42
	v_exp_f32_e32 v23, v23
	v_mul_f32_e32 v32, 0x3fb8aa3b, v32
	v_sub_f32_e32 v24, v24, v42
	v_exp_f32_e32 v32, v32
	v_mul_f32_e32 v24, 0x3fb8aa3b, v24
	v_sub_f32_e32 v25, v25, v42
	v_exp_f32_e32 v24, v24
	v_mul_f32_e32 v25, 0x3fb8aa3b, v25
	v_exp_f32_e32 v25, v25
	v_add_f32_e32 v33, v22, v35
	v_cndmask_b32_e64 v22, 0, v23, s[8:9]
	v_add_f32_e32 v33, v33, v22
	v_cndmask_b32_e64 v23, 0, v32, s[10:11]
	v_add_f32_e32 v32, v33, v23
	v_cndmask_b32_e32 v24, 0, v24, vcc
	v_add_f32_e32 v32, v32, v24
	v_cndmask_b32_e64 v25, 0, v25, s[2:3]
	v_add_f32_e32 v32, v32, v25
	ds_bpermute_b32 v33, v43, v32
	v_cmp_gt_u32_e64 s[2:3], 16, v45
	s_waitcnt lgkmcnt(0)
	v_add_f32_e32 v32, v32, v33
	ds_bpermute_b32 v36, v44, v32
	v_lshlrev_b32_e32 v33, 2, v48
	s_and_saveexec_b64 s[8:9], s[2:3]
	s_cbranch_execz .LBB854_397
; %bb.396:
	s_waitcnt lgkmcnt(0)
	v_add_f32_e32 v32, v32, v36
	v_lshl_or_b32 v36, v49, 6, v33
	ds_write2st64_b32 v36, v42, v32 offset1:1
.LBB854_397:
	s_or_b64 exec, exec, s[8:9]
	s_waitcnt lgkmcnt(0)
	s_barrier
	ds_read2_b32 v[36:37], v33 offset1:16
	ds_read2_b32 v[38:39], v33 offset0:32 offset1:48
	ds_read2_b32 v[40:41], v33 offset0:64 offset1:80
	s_mul_i32 s14, s45, 9
	s_waitcnt lgkmcnt(2)
	v_max3_f32 v32, v36, s46, v37
	s_waitcnt lgkmcnt(1)
	v_max3_f32 v32, v32, v38, v39
	v_sub_f32_e32 v36, v36, v32
	v_mul_f32_e32 v36, 0x3fb8aa3b, v36
	v_exp_f32_e32 v42, v36
	v_sub_f32_e32 v36, v37, v32
	v_mul_f32_e32 v36, 0x3fb8aa3b, v36
	v_exp_f32_e32 v43, v36
	;; [unrolled: 3-line block ×3, first 2 shown]
	ds_read2_b32 v[36:37], v33 offset0:96 offset1:112
	v_sub_f32_e32 v33, v39, v32
	v_mul_f32_e32 v33, 0x3fb8aa3b, v33
	v_exp_f32_e32 v39, v33
	s_waitcnt lgkmcnt(1)
	v_fma_f32 v33, v42, v40, 0
	v_fmac_f32_e32 v33, v43, v41
	s_waitcnt lgkmcnt(0)
	v_fmac_f32_e32 v33, v38, v36
	v_fmac_f32_e32 v33, v39, v37
	v_add_f32_e32 v36, 0x358637bd, v33
	v_div_scale_f32 v37, s[8:9], v36, v36, 1.0
	v_rcp_f32_e32 v40, v37
	s_movk_i32 s8, 0x7fff
	s_mov_b32 s9, 0x7060302
	v_fma_f32 v41, -v37, v40, 1.0
	v_fmac_f32_e32 v40, v41, v40
	v_div_scale_f32 v41, vcc, 1.0, v36, 1.0
	v_mul_f32_e32 v44, v41, v40
	v_fma_f32 v45, -v37, v44, v41
	v_fmac_f32_e32 v44, v45, v40
	v_fma_f32 v37, -v37, v44, v41
	v_div_fmas_f32 v37, v37, v40, v44
	v_cmp_eq_u32_e32 vcc, 1, v49
	v_div_fixup_f32 v36, v37, v36, 1.0
	v_cndmask_b32_e32 v37, v42, v43, vcc
	v_cmp_eq_u32_e32 vcc, 2, v49
	v_cndmask_b32_e32 v37, v37, v38, vcc
	v_cmp_eq_u32_e32 vcc, 3, v49
	v_cndmask_b32_e32 v37, v37, v39, vcc
	v_mul_f32_e32 v36, v37, v36
	v_pk_mul_f32 v[18:19], v[36:37], v[18:19] op_sel_hi:[0,1]
	v_pk_mul_f32 v[28:29], v[36:37], v[28:29] op_sel_hi:[0,1]
	v_bfe_u32 v37, v19, 16, 1
	v_bfe_u32 v38, v18, 16, 1
	v_add3_u32 v18, v18, v38, s8
	v_add3_u32 v19, v19, v37, s8
	v_perm_b32 v38, v19, v18, s9
	v_bfe_u32 v18, v29, 16, 1
	v_bfe_u32 v19, v28, 16, 1
	v_add3_u32 v19, v28, v19, s8
	v_add3_u32 v18, v29, v18, s8
	v_perm_b32 v39, v18, v19, s9
	v_lshlrev_b32_e32 v18, 3, v1
	v_lshlrev_b32_e32 v19, 5, v48
	;; [unrolled: 1-line block ×3, first 2 shown]
	v_pk_mul_f32 v[20:21], v[36:37], v[20:21] op_sel_hi:[0,1]
	v_or3_b32 v28, v28, v19, v18
	v_bfe_u32 v18, v21, 16, 1
	v_bfe_u32 v29, v20, 16, 1
	v_pk_mul_f32 v[30:31], v[36:37], v[30:31] op_sel_hi:[0,1]
	v_add3_u32 v20, v20, v29, s8
	v_add3_u32 v18, v21, v18, s8
	v_perm_b32 v20, v18, v20, s9
	v_bfe_u32 v18, v31, 16, 1
	v_bfe_u32 v21, v30, 16, 1
	v_add3_u32 v21, v30, v21, s8
	v_add3_u32 v18, v31, v18, s8
	v_pk_mul_f32 v[26:27], v[36:37], v[26:27] op_sel_hi:[0,1]
	v_perm_b32 v21, v18, v21, s9
	v_bfe_u32 v18, v27, 16, 1
	v_bfe_u32 v29, v26, 16, 1
	s_barrier
	ds_write2st64_b64 v28, v[38:39], v[20:21] offset1:1
	v_pk_mul_f32 v[20:21], v[36:37], v[34:35] op_sel_hi:[0,1]
	v_add3_u32 v26, v26, v29, s8
	v_add3_u32 v18, v27, v18, s8
	v_perm_b32 v26, v18, v26, s9
	v_bfe_u32 v18, v21, 16, 1
	v_bfe_u32 v27, v20, 16, 1
	v_add3_u32 v20, v20, v27, s8
	v_add3_u32 v18, v21, v18, s8
	v_pk_mul_f32 v[22:23], v[36:37], v[22:23] op_sel_hi:[0,1]
	v_perm_b32 v27, v18, v20, s9
	v_pk_mul_f32 v[20:21], v[36:37], v[24:25] op_sel_hi:[0,1]
	v_bfe_u32 v18, v23, 16, 1
	v_bfe_u32 v24, v22, 16, 1
	v_add3_u32 v22, v22, v24, s8
	v_add3_u32 v18, v23, v18, s8
	v_perm_b32 v22, v18, v22, s9
	v_bfe_u32 v18, v21, 16, 1
	v_bfe_u32 v23, v20, 16, 1
	v_add3_u32 v20, v20, v23, s8
	v_add3_u32 v18, v21, v18, s8
	v_perm_b32 v23, v18, v20, s9
	v_cmp_gt_u32_e32 vcc, 9, v0
	ds_write2st64_b64 v28, v[26:27], v[22:23] offset0:2 offset1:3
	s_and_saveexec_b64 s[8:9], vcc
	s_cbranch_execz .LBB854_399
; %bb.398:
	v_add_co_u32_e32 v22, vcc, s25, v48
	v_addc_co_u32_e64 v23, s[10:11], 0, 0, vcc
	v_mov_b32_e32 v18, s14
	v_mov_b32_e32 v21, 0
	v_mad_u64_u32 v[22:23], s[10:11], s6, v18, v[22:23]
	v_mov_b32_e32 v20, s24
	s_load_dwordx4 s[16:19], s[4:5], 0x58
	s_mul_i32 s7, s7, s14
	v_mad_u64_u32 v[20:21], s[10:11], v22, s44, v[20:21]
	v_add_u32_e32 v23, s7, v23
	v_mov_b32_e32 v18, v21
	v_mad_u64_u32 v[22:23], s[10:11], v23, s44, v[18:19]
	v_mov_b32_e32 v21, v22
	v_lshlrev_b64 v[20:21], 2, v[20:21]
	s_waitcnt lgkmcnt(0)
	v_mov_b32_e32 v18, s19
	v_add_co_u32_e32 v22, vcc, s18, v20
	v_addc_co_u32_e32 v23, vcc, v18, v21, vcc
	v_mov_b32_e32 v18, s17
	v_add_co_u32_e32 v20, vcc, s16, v20
	v_addc_co_u32_e32 v21, vcc, v18, v21, vcc
	global_store_dword v[22:23], v32, off
	global_store_dword v[20:21], v33, off
.LBB854_399:
	s_or_b64 exec, exec, s[8:9]
	v_mov_b32_e32 v20, 0
	s_waitcnt vmcnt(3)
	v_cmp_ne_u16_sdwa s[10:11], v14, v20 src0_sel:BYTE_0 src1_sel:DWORD
	v_mov_b32_e32 v21, 0
	s_waitcnt lgkmcnt(0)
	s_barrier
	s_and_saveexec_b64 s[8:9], s[10:11]
	s_cbranch_execz .LBB854_405
; %bb.400:
	s_movk_i32 s7, 0x80
	v_cmp_ne_u16_sdwa s[12:13], v14, s7 src0_sel:BYTE_0 src1_sel:DWORD
	v_mov_b32_e32 v21, 0xffff8000
	s_and_saveexec_b64 s[10:11], s[12:13]
	s_cbranch_execz .LBB854_404
; %bb.401:
	s_movk_i32 s7, 0x7f
	v_and_b32_e32 v18, 0x7f, v14
	v_cmp_ne_u32_e32 vcc, s7, v18
	v_mov_b32_e32 v21, 0x7f80
	s_and_saveexec_b64 s[12:13], vcc
	s_cbranch_execz .LBB854_403
; %bb.402:
	v_and_b32_e32 v21, 7, v14
	v_ffbh_u32_e32 v22, v21
	v_min_u32_e32 v25, 32, v22
	v_subrev_u32_e32 v22, 28, v25
	v_lshlrev_b64 v[22:23], v22, v[14:15]
	v_lshrrev_b32_e32 v24, 3, v18
	v_sub_u32_e32 v23, 29, v25
	v_and_b32_e32 v22, 7, v22
	v_cmp_gt_u32_e32 vcc, 8, v18
	v_cndmask_b32_e32 v18, v24, v23, vcc
	v_cndmask_b32_e32 v21, v21, v22, vcc
	v_lshlrev_b32_e32 v22, 24, v14
	v_bfrev_b32_e32 v23, 60
	v_lshlrev_b32_e32 v21, 20, v21
	v_and_b32_e32 v22, 0x80000000, v22
	v_lshl_add_u32 v18, v18, 23, v23
	v_or3_b32 v18, v22, v18, v21
	v_lshrrev_b32_e32 v21, 16, v18
.LBB854_403:
	s_or_b64 exec, exec, s[12:13]
.LBB854_404:
	s_or_b64 exec, exec, s[10:11]
.LBB854_405:
	s_or_b64 exec, exec, s[8:9]
	v_lshrrev_b16_e32 v18, 8, v14
	v_cmp_ne_u16_e32 vcc, 0, v18
	s_and_saveexec_b64 s[8:9], vcc
	s_cbranch_execz .LBB854_411
; %bb.406:
	s_movk_i32 s7, 0x80
	v_cmp_ne_u16_e32 vcc, s7, v18
	v_mov_b32_e32 v20, 0xffff8000
	s_and_saveexec_b64 s[10:11], vcc
	s_cbranch_execz .LBB854_410
; %bb.407:
	s_movk_i32 s7, 0x7f
	v_and_b32_e32 v22, 0x7f, v18
	v_cmp_ne_u32_e32 vcc, s7, v22
	v_mov_b32_e32 v20, 0x7f80
	s_and_saveexec_b64 s[12:13], vcc
	s_cbranch_execz .LBB854_409
; %bb.408:
	v_and_b32_e32 v20, 7, v18
	v_ffbh_u32_e32 v24, v20
	v_min_u32_e32 v26, 32, v24
	v_subrev_u32_e32 v24, 28, v26
	v_lshlrev_b64 v[24:25], v24, v[18:19]
	v_lshrrev_b32_e32 v23, 3, v22
	v_sub_u32_e32 v18, 29, v26
	v_and_b32_e32 v24, 7, v24
	v_cmp_gt_u32_e32 vcc, 8, v22
	v_cndmask_b32_e32 v18, v23, v18, vcc
	v_cndmask_b32_e32 v20, v20, v24, vcc
	v_lshlrev_b32_e32 v22, 16, v14
	v_bfrev_b32_e32 v23, 60
	v_lshlrev_b32_e32 v20, 20, v20
	v_and_b32_e32 v22, 0x80000000, v22
	v_lshl_add_u32 v18, v18, 23, v23
	v_or3_b32 v18, v22, v18, v20
	v_lshrrev_b32_e32 v20, 16, v18
.LBB854_409:
	s_or_b64 exec, exec, s[12:13]
.LBB854_410:
	s_or_b64 exec, exec, s[10:11]
.LBB854_411:
	s_or_b64 exec, exec, s[8:9]
	s_movk_i32 s7, 0xff
	v_and_b32_sdwa v24, v14, s7 dst_sel:DWORD dst_unused:UNUSED_PAD src0_sel:WORD_1 src1_sel:DWORD
	v_lshrrev_b32_e32 v18, 16, v14
	v_cmp_ne_u16_e32 vcc, 0, v24
	v_mov_b32_e32 v22, 0
	v_mov_b32_e32 v23, 0
	s_and_saveexec_b64 s[8:9], vcc
	s_cbranch_execz .LBB854_417
; %bb.412:
	s_movk_i32 s7, 0x80
	v_cmp_ne_u16_e32 vcc, s7, v24
	v_mov_b32_e32 v23, 0xffff8000
	s_and_saveexec_b64 s[10:11], vcc
	s_cbranch_execz .LBB854_416
; %bb.413:
	v_bfe_u32 v24, v14, 16, 7
	s_movk_i32 s7, 0x7f
	v_cmp_ne_u32_e32 vcc, s7, v24
	v_mov_b32_e32 v23, 0x7f80
	s_and_saveexec_b64 s[12:13], vcc
	s_cbranch_execz .LBB854_415
; %bb.414:
	v_and_b32_e32 v23, 7, v18
	v_ffbh_u32_e32 v26, v23
	v_min_u32_e32 v29, 32, v26
	v_subrev_u32_e32 v26, 28, v29
	v_lshlrev_b64 v[26:27], v26, v[18:19]
	v_lshrrev_b32_e32 v25, 3, v24
	v_sub_u32_e32 v18, 29, v29
	v_and_b32_e32 v26, 7, v26
	v_cmp_gt_u32_e32 vcc, 8, v24
	v_mov_b32_e32 v24, 24
	v_cndmask_b32_e32 v18, v25, v18, vcc
	v_cndmask_b32_e32 v23, v23, v26, vcc
	v_lshlrev_b32_sdwa v24, v24, v14 dst_sel:DWORD dst_unused:UNUSED_PAD src0_sel:DWORD src1_sel:WORD_1
	v_bfrev_b32_e32 v25, 60
	v_lshlrev_b32_e32 v23, 20, v23
	v_and_b32_e32 v24, 0x80000000, v24
	v_lshl_add_u32 v18, v18, 23, v25
	v_or3_b32 v18, v24, v18, v23
	v_lshrrev_b32_e32 v23, 16, v18
.LBB854_415:
	s_or_b64 exec, exec, s[12:13]
.LBB854_416:
	s_or_b64 exec, exec, s[10:11]
.LBB854_417:
	s_or_b64 exec, exec, s[8:9]
	s_mov_b32 s7, 0xffffff
	v_cmp_lt_u32_e32 vcc, s7, v14
	s_and_saveexec_b64 s[8:9], vcc
	s_cbranch_execz .LBB854_423
; %bb.418:
	v_lshrrev_b32_e32 v18, 24, v14
	s_movk_i32 s7, 0x80
	v_cmp_ne_u32_e32 vcc, s7, v18
	v_mov_b32_e32 v22, 0xffff8000
	s_and_saveexec_b64 s[10:11], vcc
	s_cbranch_execz .LBB854_422
; %bb.419:
	v_bfe_u32 v14, v14, 24, 7
	s_movk_i32 s7, 0x7f
	v_cmp_ne_u32_e32 vcc, s7, v14
	v_mov_b32_e32 v22, 0x7f80
	s_and_saveexec_b64 s[12:13], vcc
	s_cbranch_execz .LBB854_421
; %bb.420:
	v_and_b32_e32 v22, 7, v18
	v_ffbh_u32_e32 v24, v22
	v_min_u32_e32 v27, 32, v24
	v_subrev_u32_e32 v24, 28, v27
	v_lshlrev_b64 v[24:25], v24, v[18:19]
	v_lshrrev_b32_e32 v26, 3, v14
	v_sub_u32_e32 v25, 29, v27
	v_and_b32_e32 v24, 7, v24
	v_cmp_gt_u32_e32 vcc, 8, v14
	v_cndmask_b32_e32 v14, v26, v25, vcc
	v_cndmask_b32_e32 v22, v22, v24, vcc
	v_lshlrev_b32_e32 v18, 24, v18
	v_bfrev_b32_e32 v24, 60
	v_lshlrev_b32_e32 v22, 20, v22
	v_and_b32_e32 v18, 0x80000000, v18
	v_lshl_add_u32 v14, v14, 23, v24
	v_or3_b32 v14, v18, v14, v22
	v_lshrrev_b32_e32 v22, 16, v14
.LBB854_421:
	s_or_b64 exec, exec, s[12:13]
.LBB854_422:
	s_or_b64 exec, exec, s[10:11]
.LBB854_423:
	s_or_b64 exec, exec, s[8:9]
	v_mov_b32_e32 v18, 0
	v_cmp_ne_u16_sdwa s[10:11], v15, v18 src0_sel:BYTE_0 src1_sel:DWORD
	v_mov_b32_e32 v24, 0
	s_and_saveexec_b64 s[8:9], s[10:11]
	s_cbranch_execz .LBB854_429
; %bb.424:
	s_movk_i32 s7, 0x80
	v_cmp_ne_u16_sdwa s[12:13], v15, s7 src0_sel:BYTE_0 src1_sel:DWORD
	v_mov_b32_e32 v24, 0xffff8000
	s_and_saveexec_b64 s[10:11], s[12:13]
	s_cbranch_execz .LBB854_428
; %bb.425:
	s_movk_i32 s7, 0x7f
	v_and_b32_e32 v14, 0x7f, v15
	v_cmp_ne_u32_e32 vcc, s7, v14
	v_mov_b32_e32 v24, 0x7f80
	s_and_saveexec_b64 s[12:13], vcc
	s_cbranch_execz .LBB854_427
; %bb.426:
	v_and_b32_e32 v26, 7, v15
	v_ffbh_u32_e32 v25, v26
	v_min_u32_e32 v29, 32, v25
	v_mov_b32_e32 v24, v15
	v_subrev_u32_e32 v25, 28, v29
	v_lshlrev_b64 v[24:25], v25, v[24:25]
	v_lshrrev_b32_e32 v27, 3, v14
	v_sub_u32_e32 v25, 29, v29
	v_and_b32_e32 v24, 7, v24
	v_cmp_gt_u32_e32 vcc, 8, v14
	v_cndmask_b32_e32 v14, v27, v25, vcc
	v_cndmask_b32_e32 v24, v26, v24, vcc
	v_lshlrev_b32_e32 v25, 24, v15
	v_bfrev_b32_e32 v26, 60
	v_lshlrev_b32_e32 v24, 20, v24
	v_and_b32_e32 v25, 0x80000000, v25
	v_lshl_add_u32 v14, v14, 23, v26
	v_or3_b32 v14, v25, v14, v24
	v_lshrrev_b32_e32 v24, 16, v14
.LBB854_427:
	s_or_b64 exec, exec, s[12:13]
.LBB854_428:
	s_or_b64 exec, exec, s[10:11]
.LBB854_429:
	s_or_b64 exec, exec, s[8:9]
	v_lshrrev_b16_e32 v14, 8, v15
	v_cmp_ne_u16_e32 vcc, 0, v14
	s_and_saveexec_b64 s[8:9], vcc
	s_cbranch_execz .LBB854_435
; %bb.430:
	s_movk_i32 s7, 0x80
	v_cmp_ne_u16_e32 vcc, s7, v14
	v_mov_b32_e32 v18, 0xffff8000
	s_and_saveexec_b64 s[10:11], vcc
	s_cbranch_execz .LBB854_434
; %bb.431:
	s_movk_i32 s7, 0x7f
	v_and_b32_e32 v25, 0x7f, v14
	v_cmp_ne_u32_e32 vcc, s7, v25
	v_mov_b32_e32 v18, 0x7f80
	s_and_saveexec_b64 s[12:13], vcc
	s_cbranch_execz .LBB854_433
; %bb.432:
	v_and_b32_e32 v18, 7, v14
	v_ffbh_u32_e32 v26, v18
	v_min_u32_e32 v30, 32, v26
	v_subrev_u32_e32 v26, 28, v30
	v_lshlrev_b64 v[26:27], v26, v[14:15]
	v_lshrrev_b32_e32 v29, 3, v25
	v_sub_u32_e32 v14, 29, v30
	v_and_b32_e32 v26, 7, v26
	v_cmp_gt_u32_e32 vcc, 8, v25
	v_cndmask_b32_e32 v14, v29, v14, vcc
	v_cndmask_b32_e32 v18, v18, v26, vcc
	v_lshlrev_b32_e32 v25, 16, v15
	v_bfrev_b32_e32 v26, 60
	v_lshlrev_b32_e32 v18, 20, v18
	v_and_b32_e32 v25, 0x80000000, v25
	v_lshl_add_u32 v14, v14, 23, v26
	v_or3_b32 v14, v25, v14, v18
	v_lshrrev_b32_e32 v18, 16, v14
.LBB854_433:
	s_or_b64 exec, exec, s[12:13]
.LBB854_434:
	s_or_b64 exec, exec, s[10:11]
.LBB854_435:
	s_or_b64 exec, exec, s[8:9]
	s_movk_i32 s7, 0xff
	v_and_b32_sdwa v27, v15, s7 dst_sel:DWORD dst_unused:UNUSED_PAD src0_sel:WORD_1 src1_sel:DWORD
	v_lshrrev_b32_e32 v14, 16, v15
	v_cmp_ne_u16_e32 vcc, 0, v27
	v_mov_b32_e32 v25, 0
	v_mov_b32_e32 v26, 0
	s_and_saveexec_b64 s[8:9], vcc
	s_cbranch_execz .LBB854_441
; %bb.436:
	s_movk_i32 s7, 0x80
	v_cmp_ne_u16_e32 vcc, s7, v27
	v_mov_b32_e32 v26, 0xffff8000
	s_and_saveexec_b64 s[10:11], vcc
	s_cbranch_execz .LBB854_440
; %bb.437:
	v_bfe_u32 v27, v15, 16, 7
	s_movk_i32 s7, 0x7f
	v_cmp_ne_u32_e32 vcc, s7, v27
	v_mov_b32_e32 v26, 0x7f80
	s_and_saveexec_b64 s[12:13], vcc
	s_cbranch_execz .LBB854_439
; %bb.438:
	v_and_b32_e32 v26, 7, v14
	v_ffbh_u32_e32 v30, v26
	v_min_u32_e32 v32, 32, v30
	v_subrev_u32_e32 v30, 28, v32
	v_lshlrev_b64 v[30:31], v30, v[14:15]
	v_lshrrev_b32_e32 v29, 3, v27
	v_sub_u32_e32 v14, 29, v32
	v_and_b32_e32 v30, 7, v30
	v_cmp_gt_u32_e32 vcc, 8, v27
	v_mov_b32_e32 v27, 24
	v_cndmask_b32_e32 v14, v29, v14, vcc
	v_cndmask_b32_e32 v26, v26, v30, vcc
	v_lshlrev_b32_sdwa v27, v27, v15 dst_sel:DWORD dst_unused:UNUSED_PAD src0_sel:DWORD src1_sel:WORD_1
	v_bfrev_b32_e32 v29, 60
	v_lshlrev_b32_e32 v26, 20, v26
	v_and_b32_e32 v27, 0x80000000, v27
	v_lshl_add_u32 v14, v14, 23, v29
	v_or3_b32 v14, v27, v14, v26
	v_lshrrev_b32_e32 v26, 16, v14
.LBB854_439:
	s_or_b64 exec, exec, s[12:13]
.LBB854_440:
	s_or_b64 exec, exec, s[10:11]
.LBB854_441:
	s_or_b64 exec, exec, s[8:9]
	s_mov_b32 s7, 0xffffff
	v_cmp_lt_u32_e32 vcc, s7, v15
	s_and_saveexec_b64 s[8:9], vcc
	s_cbranch_execz .LBB854_447
; %bb.442:
	v_lshrrev_b32_e32 v14, 24, v15
	s_movk_i32 s7, 0x80
	v_cmp_ne_u32_e32 vcc, s7, v14
	v_mov_b32_e32 v25, 0xffff8000
	s_and_saveexec_b64 s[10:11], vcc
	s_cbranch_execz .LBB854_446
; %bb.443:
	v_bfe_u32 v15, v15, 24, 7
	s_movk_i32 s7, 0x7f
	v_cmp_ne_u32_e32 vcc, s7, v15
	v_mov_b32_e32 v25, 0x7f80
	s_and_saveexec_b64 s[12:13], vcc
	s_cbranch_execz .LBB854_445
; %bb.444:
	v_and_b32_e32 v25, 7, v14
	v_ffbh_u32_e32 v29, v25
	v_min_u32_e32 v29, 32, v29
	v_subrev_u32_e32 v30, 28, v29
	v_lshlrev_b64 v[30:31], v30, v[14:15]
	v_lshrrev_b32_e32 v27, 3, v15
	v_sub_u32_e32 v29, 29, v29
	v_and_b32_e32 v30, 7, v30
	v_cmp_gt_u32_e32 vcc, 8, v15
	v_cndmask_b32_e32 v15, v27, v29, vcc
	v_cndmask_b32_e32 v25, v25, v30, vcc
	v_lshlrev_b32_e32 v14, 24, v14
	v_bfrev_b32_e32 v27, 60
	v_lshlrev_b32_e32 v25, 20, v25
	v_and_b32_e32 v14, 0x80000000, v14
	v_lshl_add_u32 v15, v15, 23, v27
	v_or3_b32 v14, v14, v15, v25
	v_lshrrev_b32_e32 v25, 16, v14
.LBB854_445:
	s_or_b64 exec, exec, s[12:13]
.LBB854_446:
	s_or_b64 exec, exec, s[10:11]
.LBB854_447:
	s_or_b64 exec, exec, s[8:9]
	s_mov_b32 s7, 0x5040100
	v_perm_b32 v15, v22, v23, s7
	v_lshl_or_b32 v22, v1, 9, v19
	v_perm_b32 v14, v20, v21, s7
	ds_read_b128 v[30:33], v22
	v_perm_b32 v19, v25, v26, s7
	v_perm_b32 v18, v18, v24, s7
	s_waitcnt lgkmcnt(0)
	v_mfma_f32_16x16x16bf16_1k v[34:37], v[14:15], v[30:31], 0
	v_mov_b32_e32 v15, 0
	v_cmp_ne_u16_sdwa s[10:11], v16, v15 src0_sel:BYTE_0 src1_sel:DWORD
	v_mov_b32_e32 v23, 0
	v_mfma_f32_16x16x16bf16_1k v[18:21], v[18:19], v[32:33], v[34:37]
	s_and_saveexec_b64 s[8:9], s[10:11]
	s_cbranch_execz .LBB854_453
; %bb.448:
	s_movk_i32 s7, 0x80
	v_cmp_ne_u16_sdwa s[12:13], v16, s7 src0_sel:BYTE_0 src1_sel:DWORD
	v_mov_b32_e32 v23, 0xffff8000
	s_and_saveexec_b64 s[10:11], s[12:13]
	s_cbranch_execz .LBB854_452
; %bb.449:
	s_movk_i32 s7, 0x7f
	v_and_b32_e32 v14, 0x7f, v16
	v_cmp_ne_u32_e32 vcc, s7, v14
	v_mov_b32_e32 v23, 0x7f80
	s_and_saveexec_b64 s[12:13], vcc
	s_cbranch_execz .LBB854_451
; %bb.450:
	v_and_b32_e32 v23, 7, v16
	v_ffbh_u32_e32 v24, v23
	v_min_u32_e32 v27, 32, v24
	v_subrev_u32_e32 v24, 28, v27
	v_lshlrev_b64 v[24:25], v24, v[16:17]
	v_lshrrev_b32_e32 v26, 3, v14
	v_sub_u32_e32 v25, 29, v27
	v_and_b32_e32 v24, 7, v24
	v_cmp_gt_u32_e32 vcc, 8, v14
	v_cndmask_b32_e32 v14, v26, v25, vcc
	v_cndmask_b32_e32 v23, v23, v24, vcc
	v_lshlrev_b32_e32 v24, 24, v16
	v_bfrev_b32_e32 v25, 60
	v_lshlrev_b32_e32 v23, 20, v23
	v_and_b32_e32 v24, 0x80000000, v24
	v_lshl_add_u32 v14, v14, 23, v25
	v_or3_b32 v14, v24, v14, v23
	v_lshrrev_b32_e32 v23, 16, v14
.LBB854_451:
	s_or_b64 exec, exec, s[12:13]
.LBB854_452:
	s_or_b64 exec, exec, s[10:11]
.LBB854_453:
	s_or_b64 exec, exec, s[8:9]
	v_lshrrev_b16_e32 v14, 8, v16
	v_cmp_ne_u16_e32 vcc, 0, v14
	s_and_saveexec_b64 s[8:9], vcc
	s_cbranch_execz .LBB854_459
; %bb.454:
	s_movk_i32 s7, 0x80
	v_cmp_ne_u16_e32 vcc, s7, v14
	v_mov_b32_e32 v15, 0xffff8000
	s_and_saveexec_b64 s[10:11], vcc
	s_cbranch_execz .LBB854_458
; %bb.455:
	s_movk_i32 s7, 0x7f
	v_and_b32_e32 v24, 0x7f, v14
	v_cmp_ne_u32_e32 vcc, s7, v24
	v_mov_b32_e32 v15, 0x7f80
	s_and_saveexec_b64 s[12:13], vcc
	s_cbranch_execz .LBB854_457
; %bb.456:
	v_and_b32_e32 v25, 7, v14
	v_ffbh_u32_e32 v15, v25
	v_min_u32_e32 v27, 32, v15
	v_subrev_u32_e32 v15, 28, v27
	v_lshlrev_b64 v[14:15], v15, v[14:15]
	v_lshrrev_b32_e32 v26, 3, v24
	v_sub_u32_e32 v15, 29, v27
	v_and_b32_e32 v14, 7, v14
	v_cmp_gt_u32_e32 vcc, 8, v24
	v_cndmask_b32_e32 v15, v26, v15, vcc
	v_cndmask_b32_e32 v14, v25, v14, vcc
	v_lshlrev_b32_e32 v24, 16, v16
	v_bfrev_b32_e32 v25, 60
	v_lshlrev_b32_e32 v14, 20, v14
	v_and_b32_e32 v24, 0x80000000, v24
	v_lshl_add_u32 v15, v15, 23, v25
	v_or3_b32 v14, v24, v15, v14
	v_lshrrev_b32_e32 v15, 16, v14
.LBB854_457:
	s_or_b64 exec, exec, s[12:13]
.LBB854_458:
	s_or_b64 exec, exec, s[10:11]
.LBB854_459:
	s_or_b64 exec, exec, s[8:9]
	s_movk_i32 s7, 0xff
	v_and_b32_sdwa v26, v16, s7 dst_sel:DWORD dst_unused:UNUSED_PAD src0_sel:WORD_1 src1_sel:DWORD
	v_lshrrev_b32_e32 v14, 16, v16
	v_cmp_ne_u16_e32 vcc, 0, v26
	v_mov_b32_e32 v24, 0
	v_mov_b32_e32 v25, 0
	s_and_saveexec_b64 s[8:9], vcc
	s_cbranch_execz .LBB854_465
; %bb.460:
	s_movk_i32 s7, 0x80
	v_cmp_ne_u16_e32 vcc, s7, v26
	v_mov_b32_e32 v25, 0xffff8000
	s_and_saveexec_b64 s[10:11], vcc
	s_cbranch_execz .LBB854_464
; %bb.461:
	v_bfe_u32 v26, v16, 16, 7
	s_movk_i32 s7, 0x7f
	v_cmp_ne_u32_e32 vcc, s7, v26
	v_mov_b32_e32 v25, 0x7f80
	s_and_saveexec_b64 s[12:13], vcc
	s_cbranch_execz .LBB854_463
; %bb.462:
	v_and_b32_e32 v25, 7, v14
	v_ffbh_u32_e32 v29, v25
	v_min_u32_e32 v29, 32, v29
	v_subrev_u32_e32 v30, 28, v29
	v_lshlrev_b64 v[30:31], v30, v[14:15]
	v_lshrrev_b32_e32 v27, 3, v26
	v_sub_u32_e32 v14, 29, v29
	v_and_b32_e32 v29, 7, v30
	v_cmp_gt_u32_e32 vcc, 8, v26
	v_mov_b32_e32 v26, 24
	v_cndmask_b32_e32 v14, v27, v14, vcc
	v_cndmask_b32_e32 v25, v25, v29, vcc
	v_lshlrev_b32_sdwa v26, v26, v16 dst_sel:DWORD dst_unused:UNUSED_PAD src0_sel:DWORD src1_sel:WORD_1
	v_bfrev_b32_e32 v27, 60
	v_lshlrev_b32_e32 v25, 20, v25
	v_and_b32_e32 v26, 0x80000000, v26
	v_lshl_add_u32 v14, v14, 23, v27
	v_or3_b32 v14, v26, v14, v25
	v_lshrrev_b32_e32 v25, 16, v14
.LBB854_463:
	s_or_b64 exec, exec, s[12:13]
.LBB854_464:
	s_or_b64 exec, exec, s[10:11]
.LBB854_465:
	s_or_b64 exec, exec, s[8:9]
	s_mov_b32 s7, 0xffffff
	v_cmp_lt_u32_e32 vcc, s7, v16
	s_and_saveexec_b64 s[8:9], vcc
	s_cbranch_execz .LBB854_471
; %bb.466:
	v_lshrrev_b32_e32 v14, 24, v16
	s_movk_i32 s7, 0x80
	v_cmp_ne_u32_e32 vcc, s7, v14
	v_mov_b32_e32 v24, 0xffff8000
	s_and_saveexec_b64 s[10:11], vcc
	s_cbranch_execz .LBB854_470
; %bb.467:
	v_bfe_u32 v16, v16, 24, 7
	s_movk_i32 s7, 0x7f
	v_cmp_ne_u32_e32 vcc, s7, v16
	v_mov_b32_e32 v24, 0x7f80
	s_and_saveexec_b64 s[12:13], vcc
	s_cbranch_execz .LBB854_469
; %bb.468:
	v_and_b32_e32 v24, 7, v14
	v_ffbh_u32_e32 v26, v24
	v_min_u32_e32 v30, 32, v26
	v_subrev_u32_e32 v26, 28, v30
	v_lshlrev_b64 v[26:27], v26, v[14:15]
	v_lshrrev_b32_e32 v29, 3, v16
	v_sub_u32_e32 v27, 29, v30
	v_and_b32_e32 v26, 7, v26
	v_cmp_gt_u32_e32 vcc, 8, v16
	v_cndmask_b32_e32 v16, v29, v27, vcc
	v_cndmask_b32_e32 v24, v24, v26, vcc
	v_lshlrev_b32_e32 v14, 24, v14
	v_bfrev_b32_e32 v26, 60
	v_lshlrev_b32_e32 v24, 20, v24
	v_and_b32_e32 v14, 0x80000000, v14
	v_lshl_add_u32 v16, v16, 23, v26
	v_or3_b32 v14, v14, v16, v24
	v_lshrrev_b32_e32 v24, 16, v14
.LBB854_469:
	s_or_b64 exec, exec, s[12:13]
.LBB854_470:
	s_or_b64 exec, exec, s[10:11]
.LBB854_471:
	s_or_b64 exec, exec, s[8:9]
	v_mov_b32_e32 v16, 0
	v_cmp_ne_u16_sdwa s[10:11], v17, v16 src0_sel:BYTE_0 src1_sel:DWORD
	v_mov_b32_e32 v26, 0
	s_and_saveexec_b64 s[8:9], s[10:11]
	s_cbranch_execz .LBB854_477
; %bb.472:
	s_movk_i32 s7, 0x80
	v_cmp_ne_u16_sdwa s[12:13], v17, s7 src0_sel:BYTE_0 src1_sel:DWORD
	v_mov_b32_e32 v26, 0xffff8000
	s_and_saveexec_b64 s[10:11], s[12:13]
	s_cbranch_execz .LBB854_476
; %bb.473:
	s_movk_i32 s7, 0x7f
	v_and_b32_e32 v14, 0x7f, v17
	v_cmp_ne_u32_e32 vcc, s7, v14
	v_mov_b32_e32 v26, 0x7f80
	s_and_saveexec_b64 s[12:13], vcc
	s_cbranch_execz .LBB854_475
; %bb.474:
	v_and_b32_e32 v29, 7, v17
	v_ffbh_u32_e32 v27, v29
	v_min_u32_e32 v31, 32, v27
	v_mov_b32_e32 v26, v17
	v_subrev_u32_e32 v27, 28, v31
	v_lshlrev_b64 v[26:27], v27, v[26:27]
	v_lshrrev_b32_e32 v30, 3, v14
	v_sub_u32_e32 v27, 29, v31
	v_and_b32_e32 v26, 7, v26
	v_cmp_gt_u32_e32 vcc, 8, v14
	v_cndmask_b32_e32 v14, v30, v27, vcc
	v_cndmask_b32_e32 v26, v29, v26, vcc
	v_lshlrev_b32_e32 v27, 24, v17
	v_bfrev_b32_e32 v29, 60
	v_lshlrev_b32_e32 v26, 20, v26
	v_and_b32_e32 v27, 0x80000000, v27
	v_lshl_add_u32 v14, v14, 23, v29
	v_or3_b32 v14, v27, v14, v26
	v_lshrrev_b32_e32 v26, 16, v14
.LBB854_475:
	s_or_b64 exec, exec, s[12:13]
.LBB854_476:
	s_or_b64 exec, exec, s[10:11]
.LBB854_477:
	s_or_b64 exec, exec, s[8:9]
	v_lshrrev_b16_e32 v14, 8, v17
	v_cmp_ne_u16_e32 vcc, 0, v14
	s_and_saveexec_b64 s[8:9], vcc
	s_cbranch_execz .LBB854_483
; %bb.478:
	s_movk_i32 s7, 0x80
	v_cmp_ne_u16_e32 vcc, s7, v14
	v_mov_b32_e32 v16, 0xffff8000
	s_and_saveexec_b64 s[10:11], vcc
	s_cbranch_execz .LBB854_482
; %bb.479:
	s_movk_i32 s7, 0x7f
	v_and_b32_e32 v27, 0x7f, v14
	v_cmp_ne_u32_e32 vcc, s7, v27
	v_mov_b32_e32 v16, 0x7f80
	s_and_saveexec_b64 s[12:13], vcc
	s_cbranch_execz .LBB854_481
; %bb.480:
	v_and_b32_e32 v16, 7, v14
	v_ffbh_u32_e32 v30, v16
	v_min_u32_e32 v32, 32, v30
	v_subrev_u32_e32 v30, 28, v32
	v_lshlrev_b64 v[30:31], v30, v[14:15]
	v_lshrrev_b32_e32 v29, 3, v27
	v_sub_u32_e32 v14, 29, v32
	v_and_b32_e32 v30, 7, v30
	v_cmp_gt_u32_e32 vcc, 8, v27
	v_cndmask_b32_e32 v14, v29, v14, vcc
	v_cndmask_b32_e32 v16, v16, v30, vcc
	v_lshlrev_b32_e32 v27, 16, v17
	v_bfrev_b32_e32 v29, 60
	v_lshlrev_b32_e32 v16, 20, v16
	v_and_b32_e32 v27, 0x80000000, v27
	v_lshl_add_u32 v14, v14, 23, v29
	v_or3_b32 v14, v27, v14, v16
	v_lshrrev_b32_e32 v16, 16, v14
.LBB854_481:
	s_or_b64 exec, exec, s[12:13]
.LBB854_482:
	s_or_b64 exec, exec, s[10:11]
.LBB854_483:
	s_or_b64 exec, exec, s[8:9]
	s_movk_i32 s7, 0xff
	v_and_b32_sdwa v30, v17, s7 dst_sel:DWORD dst_unused:UNUSED_PAD src0_sel:WORD_1 src1_sel:DWORD
	v_lshrrev_b32_e32 v14, 16, v17
	v_cmp_ne_u16_e32 vcc, 0, v30
	v_mov_b32_e32 v27, 0
	v_mov_b32_e32 v29, 0
	s_and_saveexec_b64 s[8:9], vcc
	s_cbranch_execz .LBB854_489
; %bb.484:
	s_movk_i32 s7, 0x80
	v_cmp_ne_u16_e32 vcc, s7, v30
	v_mov_b32_e32 v29, 0xffff8000
	s_and_saveexec_b64 s[10:11], vcc
	s_cbranch_execz .LBB854_488
; %bb.485:
	v_bfe_u32 v30, v17, 16, 7
	s_movk_i32 s7, 0x7f
	v_cmp_ne_u32_e32 vcc, s7, v30
	v_mov_b32_e32 v29, 0x7f80
	s_and_saveexec_b64 s[12:13], vcc
	s_cbranch_execz .LBB854_487
; %bb.486:
	v_and_b32_e32 v29, 7, v14
	v_ffbh_u32_e32 v32, v29
	v_min_u32_e32 v34, 32, v32
	v_subrev_u32_e32 v32, 28, v34
	v_lshlrev_b64 v[32:33], v32, v[14:15]
	v_lshrrev_b32_e32 v31, 3, v30
	v_sub_u32_e32 v14, 29, v34
	v_and_b32_e32 v32, 7, v32
	v_cmp_gt_u32_e32 vcc, 8, v30
	v_mov_b32_e32 v30, 24
	v_cndmask_b32_e32 v14, v31, v14, vcc
	v_cndmask_b32_e32 v29, v29, v32, vcc
	v_lshlrev_b32_sdwa v30, v30, v17 dst_sel:DWORD dst_unused:UNUSED_PAD src0_sel:DWORD src1_sel:WORD_1
	v_bfrev_b32_e32 v31, 60
	v_lshlrev_b32_e32 v29, 20, v29
	v_and_b32_e32 v30, 0x80000000, v30
	v_lshl_add_u32 v14, v14, 23, v31
	v_or3_b32 v14, v30, v14, v29
	v_lshrrev_b32_e32 v29, 16, v14
.LBB854_487:
	s_or_b64 exec, exec, s[12:13]
.LBB854_488:
	s_or_b64 exec, exec, s[10:11]
.LBB854_489:
	s_or_b64 exec, exec, s[8:9]
	s_mov_b32 s7, 0xffffff
	v_cmp_lt_u32_e32 vcc, s7, v17
	s_and_saveexec_b64 s[8:9], vcc
	s_cbranch_execz .LBB854_495
; %bb.490:
	v_lshrrev_b32_e32 v14, 24, v17
	s_movk_i32 s7, 0x80
	v_cmp_ne_u32_e32 vcc, s7, v14
	v_mov_b32_e32 v27, 0xffff8000
	s_and_saveexec_b64 s[10:11], vcc
	s_cbranch_execz .LBB854_494
; %bb.491:
	v_bfe_u32 v17, v17, 24, 7
	s_movk_i32 s7, 0x7f
	v_cmp_ne_u32_e32 vcc, s7, v17
	v_mov_b32_e32 v27, 0x7f80
	s_and_saveexec_b64 s[12:13], vcc
	s_cbranch_execz .LBB854_493
; %bb.492:
	v_and_b32_e32 v27, 7, v14
	v_ffbh_u32_e32 v30, v27
	v_min_u32_e32 v33, 32, v30
	v_subrev_u32_e32 v30, 28, v33
	v_lshlrev_b64 v[30:31], v30, v[14:15]
	v_lshrrev_b32_e32 v32, 3, v17
	v_sub_u32_e32 v31, 29, v33
	v_and_b32_e32 v30, 7, v30
	v_cmp_gt_u32_e32 vcc, 8, v17
	v_cndmask_b32_e32 v17, v32, v31, vcc
	v_cndmask_b32_e32 v27, v27, v30, vcc
	v_lshlrev_b32_e32 v14, 24, v14
	v_bfrev_b32_e32 v30, 60
	v_lshlrev_b32_e32 v27, 20, v27
	v_and_b32_e32 v14, 0x80000000, v14
	v_lshl_add_u32 v17, v17, 23, v30
	v_or3_b32 v14, v14, v17, v27
	v_lshrrev_b32_e32 v27, 16, v14
.LBB854_493:
	s_or_b64 exec, exec, s[12:13]
.LBB854_494:
	s_or_b64 exec, exec, s[10:11]
.LBB854_495:
	s_or_b64 exec, exec, s[8:9]
	s_mov_b32 s7, 0x5040100
	v_perm_b32 v25, v24, v25, s7
	v_perm_b32 v24, v15, v23, s7
	ds_read_b128 v[30:33], v22 offset:16
	v_perm_b32 v15, v27, v29, s7
	v_perm_b32 v14, v16, v26, s7
	s_waitcnt lgkmcnt(0)
	v_mfma_f32_16x16x16bf16_1k v[34:37], v[24:25], v[30:31], v[18:21]
	s_nop 6
	v_mov_b32_e32 v19, 0
	s_waitcnt vmcnt(2)
	v_cmp_ne_u16_sdwa s[10:11], v10, v19 src0_sel:BYTE_0 src1_sel:DWORD
	v_mfma_f32_16x16x16bf16_1k v[14:17], v[14:15], v[32:33], v[34:37]
	v_mov_b32_e32 v20, 0
	s_and_saveexec_b64 s[8:9], s[10:11]
	s_cbranch_execz .LBB854_501
; %bb.496:
	s_movk_i32 s7, 0x80
	v_cmp_ne_u16_sdwa s[12:13], v10, s7 src0_sel:BYTE_0 src1_sel:DWORD
	v_mov_b32_e32 v20, 0xffff8000
	s_and_saveexec_b64 s[10:11], s[12:13]
	s_cbranch_execz .LBB854_500
; %bb.497:
	s_movk_i32 s7, 0x7f
	v_and_b32_e32 v18, 0x7f, v10
	v_cmp_ne_u32_e32 vcc, s7, v18
	v_mov_b32_e32 v20, 0x7f80
	s_and_saveexec_b64 s[12:13], vcc
	s_cbranch_execz .LBB854_499
; %bb.498:
	v_and_b32_e32 v23, 7, v10
	v_ffbh_u32_e32 v20, v23
	v_min_u32_e32 v25, 32, v20
	v_subrev_u32_e32 v20, 28, v25
	v_lshlrev_b64 v[20:21], v20, v[10:11]
	v_lshrrev_b32_e32 v24, 3, v18
	v_sub_u32_e32 v21, 29, v25
	v_and_b32_e32 v20, 7, v20
	v_cmp_gt_u32_e32 vcc, 8, v18
	v_cndmask_b32_e32 v18, v24, v21, vcc
	v_cndmask_b32_e32 v20, v23, v20, vcc
	v_lshlrev_b32_e32 v21, 24, v10
	v_bfrev_b32_e32 v23, 60
	v_lshlrev_b32_e32 v20, 20, v20
	v_and_b32_e32 v21, 0x80000000, v21
	v_lshl_add_u32 v18, v18, 23, v23
	v_or3_b32 v18, v21, v18, v20
	v_lshrrev_b32_e32 v20, 16, v18
.LBB854_499:
	s_or_b64 exec, exec, s[12:13]
.LBB854_500:
	s_or_b64 exec, exec, s[10:11]
.LBB854_501:
	s_or_b64 exec, exec, s[8:9]
	v_lshrrev_b16_e32 v18, 8, v10
	v_cmp_ne_u16_e32 vcc, 0, v18
	s_and_saveexec_b64 s[8:9], vcc
	s_cbranch_execz .LBB854_507
; %bb.502:
	s_movk_i32 s7, 0x80
	v_cmp_ne_u16_e32 vcc, s7, v18
	v_mov_b32_e32 v19, 0xffff8000
	s_and_saveexec_b64 s[10:11], vcc
	s_cbranch_execz .LBB854_506
; %bb.503:
	s_movk_i32 s7, 0x7f
	v_and_b32_e32 v21, 0x7f, v18
	v_cmp_ne_u32_e32 vcc, s7, v21
	v_mov_b32_e32 v19, 0x7f80
	s_and_saveexec_b64 s[12:13], vcc
	s_cbranch_execz .LBB854_505
; %bb.504:
	v_and_b32_e32 v23, 7, v18
	v_ffbh_u32_e32 v19, v23
	v_min_u32_e32 v25, 32, v19
	v_subrev_u32_e32 v19, 28, v25
	v_lshlrev_b64 v[18:19], v19, v[18:19]
	v_lshrrev_b32_e32 v24, 3, v21
	v_sub_u32_e32 v19, 29, v25
	v_and_b32_e32 v18, 7, v18
	v_cmp_gt_u32_e32 vcc, 8, v21
	v_cndmask_b32_e32 v19, v24, v19, vcc
	v_cndmask_b32_e32 v18, v23, v18, vcc
	v_lshlrev_b32_e32 v21, 16, v10
	v_bfrev_b32_e32 v23, 60
	v_lshlrev_b32_e32 v18, 20, v18
	v_and_b32_e32 v21, 0x80000000, v21
	v_lshl_add_u32 v19, v19, 23, v23
	v_or3_b32 v18, v21, v19, v18
	v_lshrrev_b32_e32 v19, 16, v18
.LBB854_505:
	s_or_b64 exec, exec, s[12:13]
.LBB854_506:
	s_or_b64 exec, exec, s[10:11]
.LBB854_507:
	s_or_b64 exec, exec, s[8:9]
	s_movk_i32 s7, 0xff
	v_and_b32_sdwa v24, v10, s7 dst_sel:DWORD dst_unused:UNUSED_PAD src0_sel:WORD_1 src1_sel:DWORD
	v_lshrrev_b32_e32 v18, 16, v10
	v_cmp_ne_u16_e32 vcc, 0, v24
	v_mov_b32_e32 v21, 0
	v_mov_b32_e32 v23, 0
	s_and_saveexec_b64 s[8:9], vcc
	s_cbranch_execz .LBB854_513
; %bb.508:
	s_movk_i32 s7, 0x80
	v_cmp_ne_u16_e32 vcc, s7, v24
	v_mov_b32_e32 v23, 0xffff8000
	s_and_saveexec_b64 s[10:11], vcc
	s_cbranch_execz .LBB854_512
; %bb.509:
	v_bfe_u32 v24, v10, 16, 7
	s_movk_i32 s7, 0x7f
	v_cmp_ne_u32_e32 vcc, s7, v24
	v_mov_b32_e32 v23, 0x7f80
	s_and_saveexec_b64 s[12:13], vcc
	s_cbranch_execz .LBB854_511
; %bb.510:
	v_and_b32_e32 v23, 7, v18
	v_ffbh_u32_e32 v26, v23
	v_min_u32_e32 v29, 32, v26
	v_subrev_u32_e32 v26, 28, v29
	v_lshlrev_b64 v[26:27], v26, v[18:19]
	v_lshrrev_b32_e32 v25, 3, v24
	v_sub_u32_e32 v18, 29, v29
	v_and_b32_e32 v26, 7, v26
	v_cmp_gt_u32_e32 vcc, 8, v24
	v_mov_b32_e32 v24, 24
	v_cndmask_b32_e32 v18, v25, v18, vcc
	v_cndmask_b32_e32 v23, v23, v26, vcc
	v_lshlrev_b32_sdwa v24, v24, v10 dst_sel:DWORD dst_unused:UNUSED_PAD src0_sel:DWORD src1_sel:WORD_1
	v_bfrev_b32_e32 v25, 60
	v_lshlrev_b32_e32 v23, 20, v23
	v_and_b32_e32 v24, 0x80000000, v24
	v_lshl_add_u32 v18, v18, 23, v25
	v_or3_b32 v18, v24, v18, v23
	v_lshrrev_b32_e32 v23, 16, v18
.LBB854_511:
	s_or_b64 exec, exec, s[12:13]
.LBB854_512:
	s_or_b64 exec, exec, s[10:11]
.LBB854_513:
	s_or_b64 exec, exec, s[8:9]
	s_mov_b32 s7, 0xffffff
	v_cmp_lt_u32_e32 vcc, s7, v10
	s_and_saveexec_b64 s[8:9], vcc
	s_cbranch_execz .LBB854_519
; %bb.514:
	v_lshrrev_b32_e32 v18, 24, v10
	s_movk_i32 s7, 0x80
	v_cmp_ne_u32_e32 vcc, s7, v18
	v_mov_b32_e32 v21, 0xffff8000
	s_and_saveexec_b64 s[10:11], vcc
	s_cbranch_execz .LBB854_518
; %bb.515:
	v_bfe_u32 v10, v10, 24, 7
	s_movk_i32 s7, 0x7f
	v_cmp_ne_u32_e32 vcc, s7, v10
	v_mov_b32_e32 v21, 0x7f80
	s_and_saveexec_b64 s[12:13], vcc
	s_cbranch_execz .LBB854_517
; %bb.516:
	v_and_b32_e32 v21, 7, v18
	v_ffbh_u32_e32 v24, v21
	v_min_u32_e32 v27, 32, v24
	v_subrev_u32_e32 v24, 28, v27
	v_lshlrev_b64 v[24:25], v24, v[18:19]
	v_lshrrev_b32_e32 v26, 3, v10
	v_sub_u32_e32 v25, 29, v27
	v_and_b32_e32 v24, 7, v24
	v_cmp_gt_u32_e32 vcc, 8, v10
	v_cndmask_b32_e32 v10, v26, v25, vcc
	v_cndmask_b32_e32 v21, v21, v24, vcc
	v_lshlrev_b32_e32 v18, 24, v18
	v_bfrev_b32_e32 v24, 60
	v_lshlrev_b32_e32 v21, 20, v21
	v_and_b32_e32 v18, 0x80000000, v18
	v_lshl_add_u32 v10, v10, 23, v24
	v_or3_b32 v10, v18, v10, v21
	v_lshrrev_b32_e32 v21, 16, v10
.LBB854_517:
	s_or_b64 exec, exec, s[12:13]
.LBB854_518:
	s_or_b64 exec, exec, s[10:11]
.LBB854_519:
	s_or_b64 exec, exec, s[8:9]
	v_mov_b32_e32 v18, 0
	v_cmp_ne_u16_sdwa s[10:11], v11, v18 src0_sel:BYTE_0 src1_sel:DWORD
	v_mov_b32_e32 v24, 0
	s_and_saveexec_b64 s[8:9], s[10:11]
	s_cbranch_execz .LBB854_525
; %bb.520:
	s_movk_i32 s7, 0x80
	v_cmp_ne_u16_sdwa s[12:13], v11, s7 src0_sel:BYTE_0 src1_sel:DWORD
	v_mov_b32_e32 v24, 0xffff8000
	s_and_saveexec_b64 s[10:11], s[12:13]
	s_cbranch_execz .LBB854_524
; %bb.521:
	s_movk_i32 s7, 0x7f
	v_and_b32_e32 v10, 0x7f, v11
	v_cmp_ne_u32_e32 vcc, s7, v10
	v_mov_b32_e32 v24, 0x7f80
	s_and_saveexec_b64 s[12:13], vcc
	s_cbranch_execz .LBB854_523
; %bb.522:
	v_and_b32_e32 v26, 7, v11
	v_ffbh_u32_e32 v25, v26
	v_min_u32_e32 v29, 32, v25
	v_mov_b32_e32 v24, v11
	v_subrev_u32_e32 v25, 28, v29
	v_lshlrev_b64 v[24:25], v25, v[24:25]
	v_lshrrev_b32_e32 v27, 3, v10
	v_sub_u32_e32 v25, 29, v29
	v_and_b32_e32 v24, 7, v24
	v_cmp_gt_u32_e32 vcc, 8, v10
	v_cndmask_b32_e32 v10, v27, v25, vcc
	v_cndmask_b32_e32 v24, v26, v24, vcc
	v_lshlrev_b32_e32 v25, 24, v11
	v_bfrev_b32_e32 v26, 60
	v_lshlrev_b32_e32 v24, 20, v24
	v_and_b32_e32 v25, 0x80000000, v25
	v_lshl_add_u32 v10, v10, 23, v26
	v_or3_b32 v10, v25, v10, v24
	v_lshrrev_b32_e32 v24, 16, v10
.LBB854_523:
	s_or_b64 exec, exec, s[12:13]
.LBB854_524:
	s_or_b64 exec, exec, s[10:11]
.LBB854_525:
	s_or_b64 exec, exec, s[8:9]
	v_lshrrev_b16_e32 v10, 8, v11
	v_cmp_ne_u16_e32 vcc, 0, v10
	s_and_saveexec_b64 s[8:9], vcc
	s_cbranch_execz .LBB854_531
; %bb.526:
	s_movk_i32 s7, 0x80
	v_cmp_ne_u16_e32 vcc, s7, v10
	v_mov_b32_e32 v18, 0xffff8000
	s_and_saveexec_b64 s[10:11], vcc
	s_cbranch_execz .LBB854_530
; %bb.527:
	s_movk_i32 s7, 0x7f
	v_and_b32_e32 v25, 0x7f, v10
	v_cmp_ne_u32_e32 vcc, s7, v25
	v_mov_b32_e32 v18, 0x7f80
	s_and_saveexec_b64 s[12:13], vcc
	s_cbranch_execz .LBB854_529
; %bb.528:
	v_and_b32_e32 v18, 7, v10
	v_ffbh_u32_e32 v26, v18
	v_min_u32_e32 v30, 32, v26
	v_subrev_u32_e32 v26, 28, v30
	v_lshlrev_b64 v[26:27], v26, v[10:11]
	v_lshrrev_b32_e32 v29, 3, v25
	v_sub_u32_e32 v10, 29, v30
	v_and_b32_e32 v26, 7, v26
	v_cmp_gt_u32_e32 vcc, 8, v25
	v_cndmask_b32_e32 v10, v29, v10, vcc
	v_cndmask_b32_e32 v18, v18, v26, vcc
	v_lshlrev_b32_e32 v25, 16, v11
	v_bfrev_b32_e32 v26, 60
	v_lshlrev_b32_e32 v18, 20, v18
	v_and_b32_e32 v25, 0x80000000, v25
	v_lshl_add_u32 v10, v10, 23, v26
	v_or3_b32 v10, v25, v10, v18
	v_lshrrev_b32_e32 v18, 16, v10
.LBB854_529:
	s_or_b64 exec, exec, s[12:13]
.LBB854_530:
	s_or_b64 exec, exec, s[10:11]
.LBB854_531:
	s_or_b64 exec, exec, s[8:9]
	s_movk_i32 s7, 0xff
	v_and_b32_sdwa v27, v11, s7 dst_sel:DWORD dst_unused:UNUSED_PAD src0_sel:WORD_1 src1_sel:DWORD
	v_lshrrev_b32_e32 v10, 16, v11
	v_cmp_ne_u16_e32 vcc, 0, v27
	v_mov_b32_e32 v25, 0
	v_mov_b32_e32 v26, 0
	s_and_saveexec_b64 s[8:9], vcc
	s_cbranch_execz .LBB854_537
; %bb.532:
	s_movk_i32 s7, 0x80
	v_cmp_ne_u16_e32 vcc, s7, v27
	v_mov_b32_e32 v26, 0xffff8000
	s_and_saveexec_b64 s[10:11], vcc
	s_cbranch_execz .LBB854_536
; %bb.533:
	v_bfe_u32 v27, v11, 16, 7
	s_movk_i32 s7, 0x7f
	v_cmp_ne_u32_e32 vcc, s7, v27
	v_mov_b32_e32 v26, 0x7f80
	s_and_saveexec_b64 s[12:13], vcc
	s_cbranch_execz .LBB854_535
; %bb.534:
	v_and_b32_e32 v26, 7, v10
	v_ffbh_u32_e32 v30, v26
	v_min_u32_e32 v32, 32, v30
	v_subrev_u32_e32 v30, 28, v32
	v_lshlrev_b64 v[30:31], v30, v[10:11]
	v_lshrrev_b32_e32 v29, 3, v27
	v_sub_u32_e32 v10, 29, v32
	v_and_b32_e32 v30, 7, v30
	v_cmp_gt_u32_e32 vcc, 8, v27
	v_mov_b32_e32 v27, 24
	v_cndmask_b32_e32 v10, v29, v10, vcc
	v_cndmask_b32_e32 v26, v26, v30, vcc
	v_lshlrev_b32_sdwa v27, v27, v11 dst_sel:DWORD dst_unused:UNUSED_PAD src0_sel:DWORD src1_sel:WORD_1
	v_bfrev_b32_e32 v29, 60
	v_lshlrev_b32_e32 v26, 20, v26
	v_and_b32_e32 v27, 0x80000000, v27
	v_lshl_add_u32 v10, v10, 23, v29
	v_or3_b32 v10, v27, v10, v26
	v_lshrrev_b32_e32 v26, 16, v10
.LBB854_535:
	s_or_b64 exec, exec, s[12:13]
.LBB854_536:
	s_or_b64 exec, exec, s[10:11]
.LBB854_537:
	s_or_b64 exec, exec, s[8:9]
	s_mov_b32 s7, 0xffffff
	v_cmp_lt_u32_e32 vcc, s7, v11
	s_and_saveexec_b64 s[8:9], vcc
	s_cbranch_execz .LBB854_543
; %bb.538:
	v_lshrrev_b32_e32 v10, 24, v11
	s_movk_i32 s7, 0x80
	v_cmp_ne_u32_e32 vcc, s7, v10
	v_mov_b32_e32 v25, 0xffff8000
	s_and_saveexec_b64 s[10:11], vcc
	s_cbranch_execz .LBB854_542
; %bb.539:
	v_bfe_u32 v11, v11, 24, 7
	s_movk_i32 s7, 0x7f
	v_cmp_ne_u32_e32 vcc, s7, v11
	v_mov_b32_e32 v25, 0x7f80
	s_and_saveexec_b64 s[12:13], vcc
	s_cbranch_execz .LBB854_541
; %bb.540:
	v_and_b32_e32 v25, 7, v10
	v_ffbh_u32_e32 v29, v25
	v_min_u32_e32 v29, 32, v29
	v_subrev_u32_e32 v30, 28, v29
	v_lshlrev_b64 v[30:31], v30, v[10:11]
	v_lshrrev_b32_e32 v27, 3, v11
	v_sub_u32_e32 v29, 29, v29
	v_and_b32_e32 v30, 7, v30
	v_cmp_gt_u32_e32 vcc, 8, v11
	v_cndmask_b32_e32 v11, v27, v29, vcc
	v_cndmask_b32_e32 v25, v25, v30, vcc
	v_lshlrev_b32_e32 v10, 24, v10
	v_bfrev_b32_e32 v27, 60
	v_lshlrev_b32_e32 v25, 20, v25
	v_and_b32_e32 v10, 0x80000000, v10
	v_lshl_add_u32 v11, v11, 23, v27
	v_or3_b32 v10, v10, v11, v25
	v_lshrrev_b32_e32 v25, 16, v10
.LBB854_541:
	s_or_b64 exec, exec, s[12:13]
.LBB854_542:
	s_or_b64 exec, exec, s[10:11]
.LBB854_543:
	s_or_b64 exec, exec, s[8:9]
	s_mov_b32 s7, 0x5040100
	v_perm_b32 v11, v21, v23, s7
	v_perm_b32 v10, v19, v20, s7
	ds_read_b128 v[30:33], v22 offset:2048
	v_perm_b32 v21, v25, v26, s7
	v_perm_b32 v20, v18, v24, s7
	s_waitcnt lgkmcnt(0)
	v_mfma_f32_16x16x16bf16_1k v[14:17], v[10:11], v[30:31], v[14:17]
	v_mov_b32_e32 v11, 0
	v_cmp_ne_u16_sdwa s[10:11], v12, v11 src0_sel:BYTE_0 src1_sel:DWORD
	v_mov_b32_e32 v18, 0
	v_mfma_f32_16x16x16bf16_1k v[14:17], v[20:21], v[32:33], v[14:17]
	s_and_saveexec_b64 s[8:9], s[10:11]
	s_cbranch_execz .LBB854_549
; %bb.544:
	s_movk_i32 s7, 0x80
	v_cmp_ne_u16_sdwa s[12:13], v12, s7 src0_sel:BYTE_0 src1_sel:DWORD
	v_mov_b32_e32 v18, 0xffff8000
	s_and_saveexec_b64 s[10:11], s[12:13]
	s_cbranch_execz .LBB854_548
; %bb.545:
	s_movk_i32 s7, 0x7f
	v_and_b32_e32 v10, 0x7f, v12
	v_cmp_ne_u32_e32 vcc, s7, v10
	v_mov_b32_e32 v18, 0x7f80
	s_and_saveexec_b64 s[12:13], vcc
	s_cbranch_execz .LBB854_547
; %bb.546:
	v_and_b32_e32 v20, 7, v12
	v_ffbh_u32_e32 v18, v20
	v_min_u32_e32 v23, 32, v18
	v_subrev_u32_e32 v18, 28, v23
	v_lshlrev_b64 v[18:19], v18, v[12:13]
	v_lshrrev_b32_e32 v21, 3, v10
	v_sub_u32_e32 v19, 29, v23
	v_and_b32_e32 v18, 7, v18
	v_cmp_gt_u32_e32 vcc, 8, v10
	v_cndmask_b32_e32 v10, v21, v19, vcc
	v_cndmask_b32_e32 v18, v20, v18, vcc
	v_lshlrev_b32_e32 v19, 24, v12
	v_bfrev_b32_e32 v20, 60
	v_lshlrev_b32_e32 v18, 20, v18
	v_and_b32_e32 v19, 0x80000000, v19
	v_lshl_add_u32 v10, v10, 23, v20
	v_or3_b32 v10, v19, v10, v18
	v_lshrrev_b32_e32 v18, 16, v10
.LBB854_547:
	s_or_b64 exec, exec, s[12:13]
.LBB854_548:
	s_or_b64 exec, exec, s[10:11]
.LBB854_549:
	s_or_b64 exec, exec, s[8:9]
	v_lshrrev_b16_e32 v10, 8, v12
	v_cmp_ne_u16_e32 vcc, 0, v10
	s_and_saveexec_b64 s[8:9], vcc
	s_cbranch_execz .LBB854_555
; %bb.550:
	s_movk_i32 s7, 0x80
	v_cmp_ne_u16_e32 vcc, s7, v10
	v_mov_b32_e32 v11, 0xffff8000
	s_and_saveexec_b64 s[10:11], vcc
	s_cbranch_execz .LBB854_554
; %bb.551:
	s_movk_i32 s7, 0x7f
	v_and_b32_e32 v19, 0x7f, v10
	v_cmp_ne_u32_e32 vcc, s7, v19
	v_mov_b32_e32 v11, 0x7f80
	s_and_saveexec_b64 s[12:13], vcc
	s_cbranch_execz .LBB854_553
; %bb.552:
	v_and_b32_e32 v20, 7, v10
	v_ffbh_u32_e32 v11, v20
	v_min_u32_e32 v23, 32, v11
	v_subrev_u32_e32 v11, 28, v23
	v_lshlrev_b64 v[10:11], v11, v[10:11]
	v_lshrrev_b32_e32 v21, 3, v19
	v_sub_u32_e32 v11, 29, v23
	v_and_b32_e32 v10, 7, v10
	v_cmp_gt_u32_e32 vcc, 8, v19
	v_cndmask_b32_e32 v11, v21, v11, vcc
	v_cndmask_b32_e32 v10, v20, v10, vcc
	v_lshlrev_b32_e32 v19, 16, v12
	v_bfrev_b32_e32 v20, 60
	v_lshlrev_b32_e32 v10, 20, v10
	v_and_b32_e32 v19, 0x80000000, v19
	v_lshl_add_u32 v11, v11, 23, v20
	v_or3_b32 v10, v19, v11, v10
	v_lshrrev_b32_e32 v11, 16, v10
.LBB854_553:
	s_or_b64 exec, exec, s[12:13]
.LBB854_554:
	s_or_b64 exec, exec, s[10:11]
.LBB854_555:
	s_or_b64 exec, exec, s[8:9]
	s_movk_i32 s7, 0xff
	v_and_b32_sdwa v21, v12, s7 dst_sel:DWORD dst_unused:UNUSED_PAD src0_sel:WORD_1 src1_sel:DWORD
	v_lshrrev_b32_e32 v10, 16, v12
	v_cmp_ne_u16_e32 vcc, 0, v21
	v_mov_b32_e32 v19, 0
	v_mov_b32_e32 v20, 0
	s_and_saveexec_b64 s[8:9], vcc
	s_cbranch_execz .LBB854_561
; %bb.556:
	s_movk_i32 s7, 0x80
	v_cmp_ne_u16_e32 vcc, s7, v21
	v_mov_b32_e32 v20, 0xffff8000
	s_and_saveexec_b64 s[10:11], vcc
	s_cbranch_execz .LBB854_560
; %bb.557:
	v_bfe_u32 v21, v12, 16, 7
	s_movk_i32 s7, 0x7f
	v_cmp_ne_u32_e32 vcc, s7, v21
	v_mov_b32_e32 v20, 0x7f80
	s_and_saveexec_b64 s[12:13], vcc
	s_cbranch_execz .LBB854_559
; %bb.558:
	v_and_b32_e32 v20, 7, v10
	v_ffbh_u32_e32 v24, v20
	v_min_u32_e32 v26, 32, v24
	v_subrev_u32_e32 v24, 28, v26
	v_lshlrev_b64 v[24:25], v24, v[10:11]
	v_lshrrev_b32_e32 v23, 3, v21
	v_sub_u32_e32 v10, 29, v26
	v_and_b32_e32 v24, 7, v24
	v_cmp_gt_u32_e32 vcc, 8, v21
	v_mov_b32_e32 v21, 24
	v_cndmask_b32_e32 v10, v23, v10, vcc
	v_cndmask_b32_e32 v20, v20, v24, vcc
	v_lshlrev_b32_sdwa v21, v21, v12 dst_sel:DWORD dst_unused:UNUSED_PAD src0_sel:DWORD src1_sel:WORD_1
	v_bfrev_b32_e32 v23, 60
	v_lshlrev_b32_e32 v20, 20, v20
	v_and_b32_e32 v21, 0x80000000, v21
	v_lshl_add_u32 v10, v10, 23, v23
	v_or3_b32 v10, v21, v10, v20
	v_lshrrev_b32_e32 v20, 16, v10
.LBB854_559:
	s_or_b64 exec, exec, s[12:13]
.LBB854_560:
	s_or_b64 exec, exec, s[10:11]
.LBB854_561:
	s_or_b64 exec, exec, s[8:9]
	s_mov_b32 s7, 0xffffff
	v_cmp_lt_u32_e32 vcc, s7, v12
	s_and_saveexec_b64 s[8:9], vcc
	s_cbranch_execz .LBB854_567
; %bb.562:
	v_lshrrev_b32_e32 v10, 24, v12
	s_movk_i32 s7, 0x80
	v_cmp_ne_u32_e32 vcc, s7, v10
	v_mov_b32_e32 v19, 0xffff8000
	s_and_saveexec_b64 s[10:11], vcc
	s_cbranch_execz .LBB854_566
; %bb.563:
	v_bfe_u32 v12, v12, 24, 7
	s_movk_i32 s7, 0x7f
	v_cmp_ne_u32_e32 vcc, s7, v12
	v_mov_b32_e32 v19, 0x7f80
	s_and_saveexec_b64 s[12:13], vcc
	s_cbranch_execz .LBB854_565
; %bb.564:
	v_and_b32_e32 v19, 7, v10
	v_ffbh_u32_e32 v23, v19
	v_min_u32_e32 v23, 32, v23
	v_subrev_u32_e32 v24, 28, v23
	v_lshlrev_b64 v[24:25], v24, v[10:11]
	v_lshrrev_b32_e32 v21, 3, v12
	v_sub_u32_e32 v23, 29, v23
	v_and_b32_e32 v24, 7, v24
	v_cmp_gt_u32_e32 vcc, 8, v12
	v_cndmask_b32_e32 v12, v21, v23, vcc
	v_cndmask_b32_e32 v19, v19, v24, vcc
	v_lshlrev_b32_e32 v10, 24, v10
	v_bfrev_b32_e32 v21, 60
	v_lshlrev_b32_e32 v19, 20, v19
	v_and_b32_e32 v10, 0x80000000, v10
	v_lshl_add_u32 v12, v12, 23, v21
	v_or3_b32 v10, v10, v12, v19
	v_lshrrev_b32_e32 v19, 16, v10
.LBB854_565:
	s_or_b64 exec, exec, s[12:13]
.LBB854_566:
	s_or_b64 exec, exec, s[10:11]
.LBB854_567:
	s_or_b64 exec, exec, s[8:9]
	v_mov_b32_e32 v12, 0
	v_cmp_ne_u16_sdwa s[10:11], v13, v12 src0_sel:BYTE_0 src1_sel:DWORD
	v_mov_b32_e32 v21, 0
	s_and_saveexec_b64 s[8:9], s[10:11]
	s_cbranch_execz .LBB854_573
; %bb.568:
	s_movk_i32 s7, 0x80
	v_cmp_ne_u16_sdwa s[12:13], v13, s7 src0_sel:BYTE_0 src1_sel:DWORD
	v_mov_b32_e32 v21, 0xffff8000
	s_and_saveexec_b64 s[10:11], s[12:13]
	s_cbranch_execz .LBB854_572
; %bb.569:
	s_movk_i32 s7, 0x7f
	v_and_b32_e32 v10, 0x7f, v13
	v_cmp_ne_u32_e32 vcc, s7, v10
	v_mov_b32_e32 v21, 0x7f80
	s_and_saveexec_b64 s[12:13], vcc
	s_cbranch_execz .LBB854_571
; %bb.570:
	v_and_b32_e32 v21, 7, v13
	v_ffbh_u32_e32 v25, v21
	v_min_u32_e32 v26, 32, v25
	v_mov_b32_e32 v24, v13
	v_subrev_u32_e32 v25, 28, v26
	v_lshlrev_b64 v[24:25], v25, v[24:25]
	v_lshrrev_b32_e32 v23, 3, v10
	v_sub_u32_e32 v25, 29, v26
	v_and_b32_e32 v24, 7, v24
	v_cmp_gt_u32_e32 vcc, 8, v10
	v_cndmask_b32_e32 v10, v23, v25, vcc
	v_cndmask_b32_e32 v21, v21, v24, vcc
	v_lshlrev_b32_e32 v23, 24, v13
	v_bfrev_b32_e32 v24, 60
	v_lshlrev_b32_e32 v21, 20, v21
	v_and_b32_e32 v23, 0x80000000, v23
	v_lshl_add_u32 v10, v10, 23, v24
	v_or3_b32 v10, v23, v10, v21
	v_lshrrev_b32_e32 v21, 16, v10
.LBB854_571:
	s_or_b64 exec, exec, s[12:13]
.LBB854_572:
	s_or_b64 exec, exec, s[10:11]
.LBB854_573:
	s_or_b64 exec, exec, s[8:9]
	v_lshrrev_b16_e32 v10, 8, v13
	v_cmp_ne_u16_e32 vcc, 0, v10
	s_and_saveexec_b64 s[8:9], vcc
	s_cbranch_execz .LBB854_579
; %bb.574:
	s_movk_i32 s7, 0x80
	v_cmp_ne_u16_e32 vcc, s7, v10
	v_mov_b32_e32 v12, 0xffff8000
	s_and_saveexec_b64 s[10:11], vcc
	s_cbranch_execz .LBB854_578
; %bb.575:
	s_movk_i32 s7, 0x7f
	v_and_b32_e32 v23, 0x7f, v10
	v_cmp_ne_u32_e32 vcc, s7, v23
	v_mov_b32_e32 v12, 0x7f80
	s_and_saveexec_b64 s[12:13], vcc
	s_cbranch_execz .LBB854_577
; %bb.576:
	v_and_b32_e32 v12, 7, v10
	v_ffbh_u32_e32 v24, v12
	v_min_u32_e32 v27, 32, v24
	v_subrev_u32_e32 v24, 28, v27
	v_lshlrev_b64 v[24:25], v24, v[10:11]
	v_lshrrev_b32_e32 v26, 3, v23
	v_sub_u32_e32 v10, 29, v27
	v_and_b32_e32 v24, 7, v24
	v_cmp_gt_u32_e32 vcc, 8, v23
	v_cndmask_b32_e32 v10, v26, v10, vcc
	v_cndmask_b32_e32 v12, v12, v24, vcc
	v_lshlrev_b32_e32 v23, 16, v13
	v_bfrev_b32_e32 v24, 60
	v_lshlrev_b32_e32 v12, 20, v12
	v_and_b32_e32 v23, 0x80000000, v23
	v_lshl_add_u32 v10, v10, 23, v24
	v_or3_b32 v10, v23, v10, v12
	v_lshrrev_b32_e32 v12, 16, v10
.LBB854_577:
	s_or_b64 exec, exec, s[12:13]
.LBB854_578:
	s_or_b64 exec, exec, s[10:11]
.LBB854_579:
	s_or_b64 exec, exec, s[8:9]
	s_movk_i32 s7, 0xff
	v_and_b32_sdwa v25, v13, s7 dst_sel:DWORD dst_unused:UNUSED_PAD src0_sel:WORD_1 src1_sel:DWORD
	v_lshrrev_b32_e32 v10, 16, v13
	v_cmp_ne_u16_e32 vcc, 0, v25
	v_mov_b32_e32 v23, 0
	v_mov_b32_e32 v24, 0
	s_and_saveexec_b64 s[8:9], vcc
	s_cbranch_execz .LBB854_585
; %bb.580:
	s_movk_i32 s7, 0x80
	v_cmp_ne_u16_e32 vcc, s7, v25
	v_mov_b32_e32 v24, 0xffff8000
	s_and_saveexec_b64 s[10:11], vcc
	s_cbranch_execz .LBB854_584
; %bb.581:
	v_bfe_u32 v25, v13, 16, 7
	s_movk_i32 s7, 0x7f
	v_cmp_ne_u32_e32 vcc, s7, v25
	v_mov_b32_e32 v24, 0x7f80
	s_and_saveexec_b64 s[12:13], vcc
	s_cbranch_execz .LBB854_583
; %bb.582:
	v_and_b32_e32 v24, 7, v10
	v_ffbh_u32_e32 v26, v24
	v_min_u32_e32 v30, 32, v26
	v_subrev_u32_e32 v26, 28, v30
	v_lshlrev_b64 v[26:27], v26, v[10:11]
	v_lshrrev_b32_e32 v29, 3, v25
	v_sub_u32_e32 v10, 29, v30
	v_and_b32_e32 v26, 7, v26
	v_cmp_gt_u32_e32 vcc, 8, v25
	v_mov_b32_e32 v25, 24
	v_cndmask_b32_e32 v10, v29, v10, vcc
	v_cndmask_b32_e32 v24, v24, v26, vcc
	v_lshlrev_b32_sdwa v25, v25, v13 dst_sel:DWORD dst_unused:UNUSED_PAD src0_sel:DWORD src1_sel:WORD_1
	v_bfrev_b32_e32 v26, 60
	v_lshlrev_b32_e32 v24, 20, v24
	v_and_b32_e32 v25, 0x80000000, v25
	v_lshl_add_u32 v10, v10, 23, v26
	v_or3_b32 v10, v25, v10, v24
	v_lshrrev_b32_e32 v24, 16, v10
.LBB854_583:
	s_or_b64 exec, exec, s[12:13]
.LBB854_584:
	s_or_b64 exec, exec, s[10:11]
.LBB854_585:
	s_or_b64 exec, exec, s[8:9]
	s_mov_b32 s7, 0xffffff
	v_cmp_lt_u32_e32 vcc, s7, v13
	s_and_saveexec_b64 s[8:9], vcc
	s_cbranch_execz .LBB854_591
; %bb.586:
	v_lshrrev_b32_e32 v10, 24, v13
	s_movk_i32 s7, 0x80
	v_cmp_ne_u32_e32 vcc, s7, v10
	v_mov_b32_e32 v23, 0xffff8000
	s_and_saveexec_b64 s[10:11], vcc
	s_cbranch_execz .LBB854_590
; %bb.587:
	v_bfe_u32 v13, v13, 24, 7
	s_movk_i32 s7, 0x7f
	v_cmp_ne_u32_e32 vcc, s7, v13
	v_mov_b32_e32 v23, 0x7f80
	s_and_saveexec_b64 s[12:13], vcc
	s_cbranch_execz .LBB854_589
; %bb.588:
	v_and_b32_e32 v23, 7, v10
	v_ffbh_u32_e32 v26, v23
	v_min_u32_e32 v29, 32, v26
	v_subrev_u32_e32 v26, 28, v29
	v_lshlrev_b64 v[26:27], v26, v[10:11]
	v_lshrrev_b32_e32 v25, 3, v13
	v_sub_u32_e32 v27, 29, v29
	v_and_b32_e32 v26, 7, v26
	v_cmp_gt_u32_e32 vcc, 8, v13
	v_cndmask_b32_e32 v13, v25, v27, vcc
	v_cndmask_b32_e32 v23, v23, v26, vcc
	v_lshlrev_b32_e32 v10, 24, v10
	v_bfrev_b32_e32 v25, 60
	v_lshlrev_b32_e32 v23, 20, v23
	v_and_b32_e32 v10, 0x80000000, v10
	v_lshl_add_u32 v13, v13, 23, v25
	v_or3_b32 v10, v10, v13, v23
	v_lshrrev_b32_e32 v23, 16, v10
.LBB854_589:
	s_or_b64 exec, exec, s[12:13]
.LBB854_590:
	s_or_b64 exec, exec, s[10:11]
.LBB854_591:
	s_or_b64 exec, exec, s[8:9]
	s_mov_b32 s7, 0x5040100
	v_perm_b32 v19, v19, v20, s7
	v_perm_b32 v18, v11, v18, s7
	ds_read_b128 v[30:33], v22 offset:2064
	v_perm_b32 v11, v23, v24, s7
	v_perm_b32 v10, v12, v21, s7
	s_waitcnt lgkmcnt(0)
	v_mfma_f32_16x16x16bf16_1k v[34:37], v[18:19], v[30:31], v[14:17]
	s_nop 6
	v_mov_b32_e32 v15, 0
	s_waitcnt vmcnt(1)
	v_cmp_ne_u16_sdwa s[10:11], v6, v15 src0_sel:BYTE_0 src1_sel:DWORD
	v_mfma_f32_16x16x16bf16_1k v[10:13], v[10:11], v[32:33], v[34:37]
	v_mov_b32_e32 v16, 0
	s_and_saveexec_b64 s[8:9], s[10:11]
	s_cbranch_execz .LBB854_597
; %bb.592:
	s_movk_i32 s7, 0x80
	v_cmp_ne_u16_sdwa s[12:13], v6, s7 src0_sel:BYTE_0 src1_sel:DWORD
	v_mov_b32_e32 v16, 0xffff8000
	s_and_saveexec_b64 s[10:11], s[12:13]
	s_cbranch_execz .LBB854_596
; %bb.593:
	s_movk_i32 s7, 0x7f
	v_and_b32_e32 v14, 0x7f, v6
	v_cmp_ne_u32_e32 vcc, s7, v14
	v_mov_b32_e32 v16, 0x7f80
	s_and_saveexec_b64 s[12:13], vcc
	s_cbranch_execz .LBB854_595
; %bb.594:
	v_and_b32_e32 v18, 7, v6
	v_ffbh_u32_e32 v16, v18
	v_min_u32_e32 v20, 32, v16
	v_subrev_u32_e32 v16, 28, v20
	v_lshlrev_b64 v[16:17], v16, v[6:7]
	v_lshrrev_b32_e32 v19, 3, v14
	v_sub_u32_e32 v17, 29, v20
	v_and_b32_e32 v16, 7, v16
	v_cmp_gt_u32_e32 vcc, 8, v14
	v_cndmask_b32_e32 v14, v19, v17, vcc
	v_cndmask_b32_e32 v16, v18, v16, vcc
	v_lshlrev_b32_e32 v17, 24, v6
	v_bfrev_b32_e32 v18, 60
	v_lshlrev_b32_e32 v16, 20, v16
	v_and_b32_e32 v17, 0x80000000, v17
	v_lshl_add_u32 v14, v14, 23, v18
	v_or3_b32 v14, v17, v14, v16
	v_lshrrev_b32_e32 v16, 16, v14
.LBB854_595:
	s_or_b64 exec, exec, s[12:13]
.LBB854_596:
	s_or_b64 exec, exec, s[10:11]
.LBB854_597:
	s_or_b64 exec, exec, s[8:9]
	v_lshrrev_b16_e32 v14, 8, v6
	v_cmp_ne_u16_e32 vcc, 0, v14
	s_and_saveexec_b64 s[8:9], vcc
	s_cbranch_execz .LBB854_603
; %bb.598:
	s_movk_i32 s7, 0x80
	v_cmp_ne_u16_e32 vcc, s7, v14
	v_mov_b32_e32 v15, 0xffff8000
	s_and_saveexec_b64 s[10:11], vcc
	s_cbranch_execz .LBB854_602
; %bb.599:
	s_movk_i32 s7, 0x7f
	v_and_b32_e32 v17, 0x7f, v14
	v_cmp_ne_u32_e32 vcc, s7, v17
	v_mov_b32_e32 v15, 0x7f80
	s_and_saveexec_b64 s[12:13], vcc
	s_cbranch_execz .LBB854_601
; %bb.600:
	v_and_b32_e32 v18, 7, v14
	v_ffbh_u32_e32 v15, v18
	v_min_u32_e32 v20, 32, v15
	v_subrev_u32_e32 v15, 28, v20
	v_lshlrev_b64 v[14:15], v15, v[14:15]
	v_lshrrev_b32_e32 v19, 3, v17
	v_sub_u32_e32 v15, 29, v20
	v_and_b32_e32 v14, 7, v14
	v_cmp_gt_u32_e32 vcc, 8, v17
	v_cndmask_b32_e32 v15, v19, v15, vcc
	v_cndmask_b32_e32 v14, v18, v14, vcc
	v_lshlrev_b32_e32 v17, 16, v6
	v_bfrev_b32_e32 v18, 60
	v_lshlrev_b32_e32 v14, 20, v14
	v_and_b32_e32 v17, 0x80000000, v17
	v_lshl_add_u32 v15, v15, 23, v18
	v_or3_b32 v14, v17, v15, v14
	v_lshrrev_b32_e32 v15, 16, v14
.LBB854_601:
	s_or_b64 exec, exec, s[12:13]
.LBB854_602:
	s_or_b64 exec, exec, s[10:11]
.LBB854_603:
	s_or_b64 exec, exec, s[8:9]
	s_movk_i32 s7, 0xff
	v_and_b32_sdwa v19, v6, s7 dst_sel:DWORD dst_unused:UNUSED_PAD src0_sel:WORD_1 src1_sel:DWORD
	v_lshrrev_b32_e32 v14, 16, v6
	v_cmp_ne_u16_e32 vcc, 0, v19
	v_mov_b32_e32 v17, 0
	v_mov_b32_e32 v18, 0
	s_and_saveexec_b64 s[8:9], vcc
	s_cbranch_execz .LBB854_609
; %bb.604:
	s_movk_i32 s7, 0x80
	v_cmp_ne_u16_e32 vcc, s7, v19
	v_mov_b32_e32 v18, 0xffff8000
	s_and_saveexec_b64 s[10:11], vcc
	s_cbranch_execz .LBB854_608
; %bb.605:
	v_bfe_u32 v19, v6, 16, 7
	s_movk_i32 s7, 0x7f
	v_cmp_ne_u32_e32 vcc, s7, v19
	v_mov_b32_e32 v18, 0x7f80
	s_and_saveexec_b64 s[12:13], vcc
	s_cbranch_execz .LBB854_607
; %bb.606:
	v_and_b32_e32 v18, 7, v14
	v_ffbh_u32_e32 v20, v18
	v_min_u32_e32 v24, 32, v20
	v_subrev_u32_e32 v20, 28, v24
	v_lshlrev_b64 v[20:21], v20, v[14:15]
	v_lshrrev_b32_e32 v23, 3, v19
	v_sub_u32_e32 v14, 29, v24
	v_and_b32_e32 v20, 7, v20
	v_cmp_gt_u32_e32 vcc, 8, v19
	v_mov_b32_e32 v19, 24
	v_cndmask_b32_e32 v14, v23, v14, vcc
	v_cndmask_b32_e32 v18, v18, v20, vcc
	v_lshlrev_b32_sdwa v19, v19, v6 dst_sel:DWORD dst_unused:UNUSED_PAD src0_sel:DWORD src1_sel:WORD_1
	v_bfrev_b32_e32 v20, 60
	v_lshlrev_b32_e32 v18, 20, v18
	v_and_b32_e32 v19, 0x80000000, v19
	v_lshl_add_u32 v14, v14, 23, v20
	v_or3_b32 v14, v19, v14, v18
	v_lshrrev_b32_e32 v18, 16, v14
.LBB854_607:
	s_or_b64 exec, exec, s[12:13]
.LBB854_608:
	s_or_b64 exec, exec, s[10:11]
.LBB854_609:
	s_or_b64 exec, exec, s[8:9]
	s_mov_b32 s7, 0xffffff
	v_cmp_lt_u32_e32 vcc, s7, v6
	s_and_saveexec_b64 s[8:9], vcc
	s_cbranch_execz .LBB854_615
; %bb.610:
	v_lshrrev_b32_e32 v14, 24, v6
	s_movk_i32 s7, 0x80
	v_cmp_ne_u32_e32 vcc, s7, v14
	v_mov_b32_e32 v17, 0xffff8000
	s_and_saveexec_b64 s[10:11], vcc
	s_cbranch_execz .LBB854_614
; %bb.611:
	v_bfe_u32 v6, v6, 24, 7
	s_movk_i32 s7, 0x7f
	v_cmp_ne_u32_e32 vcc, s7, v6
	v_mov_b32_e32 v17, 0x7f80
	s_and_saveexec_b64 s[12:13], vcc
	s_cbranch_execz .LBB854_613
; %bb.612:
	v_and_b32_e32 v17, 7, v14
	v_ffbh_u32_e32 v20, v17
	v_min_u32_e32 v23, 32, v20
	v_subrev_u32_e32 v20, 28, v23
	v_lshlrev_b64 v[20:21], v20, v[14:15]
	v_lshrrev_b32_e32 v19, 3, v6
	v_sub_u32_e32 v21, 29, v23
	v_and_b32_e32 v20, 7, v20
	v_cmp_gt_u32_e32 vcc, 8, v6
	v_cndmask_b32_e32 v6, v19, v21, vcc
	v_cndmask_b32_e32 v17, v17, v20, vcc
	v_lshlrev_b32_e32 v14, 24, v14
	v_bfrev_b32_e32 v19, 60
	v_lshlrev_b32_e32 v17, 20, v17
	v_and_b32_e32 v14, 0x80000000, v14
	v_lshl_add_u32 v6, v6, 23, v19
	v_or3_b32 v6, v14, v6, v17
	v_lshrrev_b32_e32 v17, 16, v6
.LBB854_613:
	s_or_b64 exec, exec, s[12:13]
.LBB854_614:
	s_or_b64 exec, exec, s[10:11]
.LBB854_615:
	s_or_b64 exec, exec, s[8:9]
	v_mov_b32_e32 v14, 0
	v_cmp_ne_u16_sdwa s[10:11], v7, v14 src0_sel:BYTE_0 src1_sel:DWORD
	v_mov_b32_e32 v19, 0
	s_and_saveexec_b64 s[8:9], s[10:11]
	s_cbranch_execz .LBB854_621
; %bb.616:
	s_movk_i32 s7, 0x80
	v_cmp_ne_u16_sdwa s[12:13], v7, s7 src0_sel:BYTE_0 src1_sel:DWORD
	v_mov_b32_e32 v19, 0xffff8000
	s_and_saveexec_b64 s[10:11], s[12:13]
	s_cbranch_execz .LBB854_620
; %bb.617:
	s_movk_i32 s7, 0x7f
	v_and_b32_e32 v6, 0x7f, v7
	v_cmp_ne_u32_e32 vcc, s7, v6
	v_mov_b32_e32 v19, 0x7f80
	s_and_saveexec_b64 s[12:13], vcc
	s_cbranch_execz .LBB854_619
; %bb.618:
	v_and_b32_e32 v19, 7, v7
	v_ffbh_u32_e32 v21, v19
	v_min_u32_e32 v24, 32, v21
	v_mov_b32_e32 v20, v7
	v_subrev_u32_e32 v21, 28, v24
	v_lshlrev_b64 v[20:21], v21, v[20:21]
	v_lshrrev_b32_e32 v23, 3, v6
	v_sub_u32_e32 v21, 29, v24
	v_and_b32_e32 v20, 7, v20
	v_cmp_gt_u32_e32 vcc, 8, v6
	v_cndmask_b32_e32 v6, v23, v21, vcc
	v_cndmask_b32_e32 v19, v19, v20, vcc
	v_lshlrev_b32_e32 v20, 24, v7
	v_bfrev_b32_e32 v21, 60
	v_lshlrev_b32_e32 v19, 20, v19
	v_and_b32_e32 v20, 0x80000000, v20
	v_lshl_add_u32 v6, v6, 23, v21
	v_or3_b32 v6, v20, v6, v19
	v_lshrrev_b32_e32 v19, 16, v6
.LBB854_619:
	s_or_b64 exec, exec, s[12:13]
.LBB854_620:
	s_or_b64 exec, exec, s[10:11]
.LBB854_621:
	s_or_b64 exec, exec, s[8:9]
	v_lshrrev_b16_e32 v6, 8, v7
	v_cmp_ne_u16_e32 vcc, 0, v6
	s_and_saveexec_b64 s[8:9], vcc
	s_cbranch_execz .LBB854_627
; %bb.622:
	s_movk_i32 s7, 0x80
	v_cmp_ne_u16_e32 vcc, s7, v6
	v_mov_b32_e32 v14, 0xffff8000
	s_and_saveexec_b64 s[10:11], vcc
	s_cbranch_execz .LBB854_626
; %bb.623:
	s_movk_i32 s7, 0x7f
	v_and_b32_e32 v20, 0x7f, v6
	v_cmp_ne_u32_e32 vcc, s7, v20
	v_mov_b32_e32 v14, 0x7f80
	s_and_saveexec_b64 s[12:13], vcc
	s_cbranch_execz .LBB854_625
; %bb.624:
	v_and_b32_e32 v14, 7, v6
	v_ffbh_u32_e32 v23, v14
	v_min_u32_e32 v23, 32, v23
	v_subrev_u32_e32 v24, 28, v23
	v_lshlrev_b64 v[24:25], v24, v[6:7]
	v_lshrrev_b32_e32 v21, 3, v20
	v_sub_u32_e32 v6, 29, v23
	v_and_b32_e32 v23, 7, v24
	v_cmp_gt_u32_e32 vcc, 8, v20
	v_cndmask_b32_e32 v6, v21, v6, vcc
	v_cndmask_b32_e32 v14, v14, v23, vcc
	v_lshlrev_b32_e32 v20, 16, v7
	v_bfrev_b32_e32 v21, 60
	v_lshlrev_b32_e32 v14, 20, v14
	v_and_b32_e32 v20, 0x80000000, v20
	v_lshl_add_u32 v6, v6, 23, v21
	v_or3_b32 v6, v20, v6, v14
	v_lshrrev_b32_e32 v14, 16, v6
.LBB854_625:
	s_or_b64 exec, exec, s[12:13]
.LBB854_626:
	s_or_b64 exec, exec, s[10:11]
.LBB854_627:
	s_or_b64 exec, exec, s[8:9]
	s_movk_i32 s7, 0xff
	v_and_b32_sdwa v23, v7, s7 dst_sel:DWORD dst_unused:UNUSED_PAD src0_sel:WORD_1 src1_sel:DWORD
	v_lshrrev_b32_e32 v6, 16, v7
	v_cmp_ne_u16_e32 vcc, 0, v23
	v_mov_b32_e32 v20, 0
	v_mov_b32_e32 v21, 0
	s_and_saveexec_b64 s[8:9], vcc
	s_cbranch_execz .LBB854_633
; %bb.628:
	s_movk_i32 s7, 0x80
	v_cmp_ne_u16_e32 vcc, s7, v23
	v_mov_b32_e32 v21, 0xffff8000
	s_and_saveexec_b64 s[10:11], vcc
	s_cbranch_execz .LBB854_632
; %bb.629:
	v_bfe_u32 v23, v7, 16, 7
	s_movk_i32 s7, 0x7f
	v_cmp_ne_u32_e32 vcc, s7, v23
	v_mov_b32_e32 v21, 0x7f80
	s_and_saveexec_b64 s[12:13], vcc
	s_cbranch_execz .LBB854_631
; %bb.630:
	v_and_b32_e32 v21, 7, v6
	v_ffbh_u32_e32 v24, v21
	v_min_u32_e32 v27, 32, v24
	v_subrev_u32_e32 v24, 28, v27
	v_lshlrev_b64 v[24:25], v24, v[6:7]
	v_lshrrev_b32_e32 v26, 3, v23
	v_sub_u32_e32 v6, 29, v27
	v_and_b32_e32 v24, 7, v24
	v_cmp_gt_u32_e32 vcc, 8, v23
	v_mov_b32_e32 v23, 24
	v_cndmask_b32_e32 v6, v26, v6, vcc
	v_cndmask_b32_e32 v21, v21, v24, vcc
	v_lshlrev_b32_sdwa v23, v23, v7 dst_sel:DWORD dst_unused:UNUSED_PAD src0_sel:DWORD src1_sel:WORD_1
	v_bfrev_b32_e32 v24, 60
	v_lshlrev_b32_e32 v21, 20, v21
	v_and_b32_e32 v23, 0x80000000, v23
	v_lshl_add_u32 v6, v6, 23, v24
	v_or3_b32 v6, v23, v6, v21
	v_lshrrev_b32_e32 v21, 16, v6
.LBB854_631:
	s_or_b64 exec, exec, s[12:13]
.LBB854_632:
	s_or_b64 exec, exec, s[10:11]
.LBB854_633:
	s_or_b64 exec, exec, s[8:9]
	s_mov_b32 s7, 0xffffff
	v_cmp_lt_u32_e32 vcc, s7, v7
	s_and_saveexec_b64 s[8:9], vcc
	s_cbranch_execz .LBB854_639
; %bb.634:
	v_lshrrev_b32_e32 v6, 24, v7
	s_movk_i32 s7, 0x80
	v_cmp_ne_u32_e32 vcc, s7, v6
	v_mov_b32_e32 v20, 0xffff8000
	s_and_saveexec_b64 s[10:11], vcc
	s_cbranch_execz .LBB854_638
; %bb.635:
	v_bfe_u32 v7, v7, 24, 7
	s_movk_i32 s7, 0x7f
	v_cmp_ne_u32_e32 vcc, s7, v7
	v_mov_b32_e32 v20, 0x7f80
	s_and_saveexec_b64 s[12:13], vcc
	s_cbranch_execz .LBB854_637
; %bb.636:
	v_and_b32_e32 v20, 7, v6
	v_ffbh_u32_e32 v24, v20
	v_min_u32_e32 v26, 32, v24
	v_subrev_u32_e32 v24, 28, v26
	v_lshlrev_b64 v[24:25], v24, v[6:7]
	v_lshrrev_b32_e32 v23, 3, v7
	v_sub_u32_e32 v25, 29, v26
	v_and_b32_e32 v24, 7, v24
	v_cmp_gt_u32_e32 vcc, 8, v7
	v_cndmask_b32_e32 v7, v23, v25, vcc
	v_cndmask_b32_e32 v20, v20, v24, vcc
	v_lshlrev_b32_e32 v6, 24, v6
	v_bfrev_b32_e32 v23, 60
	v_lshlrev_b32_e32 v20, 20, v20
	v_and_b32_e32 v6, 0x80000000, v6
	v_lshl_add_u32 v7, v7, 23, v23
	v_or3_b32 v6, v6, v7, v20
	v_lshrrev_b32_e32 v20, 16, v6
.LBB854_637:
	s_or_b64 exec, exec, s[12:13]
.LBB854_638:
	s_or_b64 exec, exec, s[10:11]
.LBB854_639:
	s_or_b64 exec, exec, s[8:9]
	s_mov_b32 s7, 0x5040100
	v_perm_b32 v7, v17, v18, s7
	v_perm_b32 v6, v15, v16, s7
	ds_read_b128 v[24:27], v22 offset:4096
	v_perm_b32 v17, v20, v21, s7
	v_perm_b32 v16, v14, v19, s7
	s_waitcnt lgkmcnt(0)
	v_mfma_f32_16x16x16bf16_1k v[10:13], v[6:7], v[24:25], v[10:13]
	v_mov_b32_e32 v7, 0
	v_cmp_ne_u16_sdwa s[10:11], v8, v7 src0_sel:BYTE_0 src1_sel:DWORD
	v_mov_b32_e32 v14, 0
	v_mfma_f32_16x16x16bf16_1k v[10:13], v[16:17], v[26:27], v[10:13]
	s_and_saveexec_b64 s[8:9], s[10:11]
	s_cbranch_execz .LBB854_645
; %bb.640:
	s_movk_i32 s7, 0x80
	v_cmp_ne_u16_sdwa s[12:13], v8, s7 src0_sel:BYTE_0 src1_sel:DWORD
	v_mov_b32_e32 v14, 0xffff8000
	s_and_saveexec_b64 s[10:11], s[12:13]
	s_cbranch_execz .LBB854_644
; %bb.641:
	s_movk_i32 s7, 0x7f
	v_and_b32_e32 v6, 0x7f, v8
	v_cmp_ne_u32_e32 vcc, s7, v6
	v_mov_b32_e32 v14, 0x7f80
	s_and_saveexec_b64 s[12:13], vcc
	s_cbranch_execz .LBB854_643
; %bb.642:
	v_and_b32_e32 v16, 7, v8
	v_ffbh_u32_e32 v14, v16
	v_min_u32_e32 v18, 32, v14
	v_subrev_u32_e32 v14, 28, v18
	v_lshlrev_b64 v[14:15], v14, v[8:9]
	v_lshrrev_b32_e32 v17, 3, v6
	v_sub_u32_e32 v15, 29, v18
	v_and_b32_e32 v14, 7, v14
	v_cmp_gt_u32_e32 vcc, 8, v6
	v_cndmask_b32_e32 v6, v17, v15, vcc
	v_cndmask_b32_e32 v14, v16, v14, vcc
	v_lshlrev_b32_e32 v15, 24, v8
	v_bfrev_b32_e32 v16, 60
	v_lshlrev_b32_e32 v14, 20, v14
	v_and_b32_e32 v15, 0x80000000, v15
	v_lshl_add_u32 v6, v6, 23, v16
	v_or3_b32 v6, v15, v6, v14
	v_lshrrev_b32_e32 v14, 16, v6
.LBB854_643:
	s_or_b64 exec, exec, s[12:13]
.LBB854_644:
	s_or_b64 exec, exec, s[10:11]
.LBB854_645:
	s_or_b64 exec, exec, s[8:9]
	v_lshrrev_b16_e32 v6, 8, v8
	v_cmp_ne_u16_e32 vcc, 0, v6
	s_and_saveexec_b64 s[8:9], vcc
	s_cbranch_execz .LBB854_651
; %bb.646:
	s_movk_i32 s7, 0x80
	v_cmp_ne_u16_e32 vcc, s7, v6
	v_mov_b32_e32 v7, 0xffff8000
	s_and_saveexec_b64 s[10:11], vcc
	s_cbranch_execz .LBB854_650
; %bb.647:
	s_movk_i32 s7, 0x7f
	v_and_b32_e32 v15, 0x7f, v6
	v_cmp_ne_u32_e32 vcc, s7, v15
	v_mov_b32_e32 v7, 0x7f80
	s_and_saveexec_b64 s[12:13], vcc
	s_cbranch_execz .LBB854_649
; %bb.648:
	v_and_b32_e32 v16, 7, v6
	v_ffbh_u32_e32 v7, v16
	v_min_u32_e32 v18, 32, v7
	v_subrev_u32_e32 v7, 28, v18
	v_lshlrev_b64 v[6:7], v7, v[6:7]
	v_lshrrev_b32_e32 v17, 3, v15
	v_sub_u32_e32 v7, 29, v18
	v_and_b32_e32 v6, 7, v6
	v_cmp_gt_u32_e32 vcc, 8, v15
	v_cndmask_b32_e32 v7, v17, v7, vcc
	v_cndmask_b32_e32 v6, v16, v6, vcc
	v_lshlrev_b32_e32 v15, 16, v8
	v_bfrev_b32_e32 v16, 60
	v_lshlrev_b32_e32 v6, 20, v6
	v_and_b32_e32 v15, 0x80000000, v15
	v_lshl_add_u32 v7, v7, 23, v16
	v_or3_b32 v6, v15, v7, v6
	v_lshrrev_b32_e32 v7, 16, v6
.LBB854_649:
	s_or_b64 exec, exec, s[12:13]
.LBB854_650:
	s_or_b64 exec, exec, s[10:11]
.LBB854_651:
	s_or_b64 exec, exec, s[8:9]
	s_movk_i32 s7, 0xff
	v_and_b32_sdwa v17, v8, s7 dst_sel:DWORD dst_unused:UNUSED_PAD src0_sel:WORD_1 src1_sel:DWORD
	v_lshrrev_b32_e32 v6, 16, v8
	v_cmp_ne_u16_e32 vcc, 0, v17
	v_mov_b32_e32 v15, 0
	v_mov_b32_e32 v16, 0
	s_and_saveexec_b64 s[8:9], vcc
	s_cbranch_execz .LBB854_657
; %bb.652:
	s_movk_i32 s7, 0x80
	v_cmp_ne_u16_e32 vcc, s7, v17
	v_mov_b32_e32 v16, 0xffff8000
	s_and_saveexec_b64 s[10:11], vcc
	s_cbranch_execz .LBB854_656
; %bb.653:
	v_bfe_u32 v17, v8, 16, 7
	s_movk_i32 s7, 0x7f
	v_cmp_ne_u32_e32 vcc, s7, v17
	v_mov_b32_e32 v16, 0x7f80
	s_and_saveexec_b64 s[12:13], vcc
	s_cbranch_execz .LBB854_655
; %bb.654:
	v_and_b32_e32 v16, 7, v6
	v_ffbh_u32_e32 v18, v16
	v_min_u32_e32 v21, 32, v18
	v_subrev_u32_e32 v18, 28, v21
	v_lshlrev_b64 v[18:19], v18, v[6:7]
	v_lshrrev_b32_e32 v20, 3, v17
	v_sub_u32_e32 v6, 29, v21
	v_and_b32_e32 v18, 7, v18
	v_cmp_gt_u32_e32 vcc, 8, v17
	v_mov_b32_e32 v17, 24
	v_cndmask_b32_e32 v6, v20, v6, vcc
	v_cndmask_b32_e32 v16, v16, v18, vcc
	v_lshlrev_b32_sdwa v17, v17, v8 dst_sel:DWORD dst_unused:UNUSED_PAD src0_sel:DWORD src1_sel:WORD_1
	v_bfrev_b32_e32 v18, 60
	v_lshlrev_b32_e32 v16, 20, v16
	v_and_b32_e32 v17, 0x80000000, v17
	v_lshl_add_u32 v6, v6, 23, v18
	v_or3_b32 v6, v17, v6, v16
	v_lshrrev_b32_e32 v16, 16, v6
.LBB854_655:
	s_or_b64 exec, exec, s[12:13]
.LBB854_656:
	s_or_b64 exec, exec, s[10:11]
.LBB854_657:
	s_or_b64 exec, exec, s[8:9]
	s_mov_b32 s7, 0xffffff
	v_cmp_lt_u32_e32 vcc, s7, v8
	s_and_saveexec_b64 s[8:9], vcc
	s_cbranch_execz .LBB854_663
; %bb.658:
	v_lshrrev_b32_e32 v6, 24, v8
	s_movk_i32 s7, 0x80
	v_cmp_ne_u32_e32 vcc, s7, v6
	v_mov_b32_e32 v15, 0xffff8000
	s_and_saveexec_b64 s[10:11], vcc
	s_cbranch_execz .LBB854_662
; %bb.659:
	v_bfe_u32 v8, v8, 24, 7
	s_movk_i32 s7, 0x7f
	v_cmp_ne_u32_e32 vcc, s7, v8
	v_mov_b32_e32 v15, 0x7f80
	s_and_saveexec_b64 s[12:13], vcc
	s_cbranch_execz .LBB854_661
; %bb.660:
	v_and_b32_e32 v15, 7, v6
	v_ffbh_u32_e32 v18, v15
	v_min_u32_e32 v20, 32, v18
	v_subrev_u32_e32 v18, 28, v20
	v_lshlrev_b64 v[18:19], v18, v[6:7]
	v_lshrrev_b32_e32 v17, 3, v8
	v_sub_u32_e32 v19, 29, v20
	v_and_b32_e32 v18, 7, v18
	v_cmp_gt_u32_e32 vcc, 8, v8
	v_cndmask_b32_e32 v8, v17, v19, vcc
	v_cndmask_b32_e32 v15, v15, v18, vcc
	v_lshlrev_b32_e32 v6, 24, v6
	v_bfrev_b32_e32 v17, 60
	v_lshlrev_b32_e32 v15, 20, v15
	v_and_b32_e32 v6, 0x80000000, v6
	v_lshl_add_u32 v8, v8, 23, v17
	v_or3_b32 v6, v6, v8, v15
	v_lshrrev_b32_e32 v15, 16, v6
.LBB854_661:
	s_or_b64 exec, exec, s[12:13]
.LBB854_662:
	s_or_b64 exec, exec, s[10:11]
.LBB854_663:
	s_or_b64 exec, exec, s[8:9]
	v_mov_b32_e32 v8, 0
	v_cmp_ne_u16_sdwa s[10:11], v9, v8 src0_sel:BYTE_0 src1_sel:DWORD
	v_mov_b32_e32 v17, 0
	s_and_saveexec_b64 s[8:9], s[10:11]
	s_cbranch_execz .LBB854_669
; %bb.664:
	s_movk_i32 s7, 0x80
	v_cmp_ne_u16_sdwa s[12:13], v9, s7 src0_sel:BYTE_0 src1_sel:DWORD
	v_mov_b32_e32 v17, 0xffff8000
	s_and_saveexec_b64 s[10:11], s[12:13]
	s_cbranch_execz .LBB854_668
; %bb.665:
	s_movk_i32 s7, 0x7f
	v_and_b32_e32 v6, 0x7f, v9
	v_cmp_ne_u32_e32 vcc, s7, v6
	v_mov_b32_e32 v17, 0x7f80
	s_and_saveexec_b64 s[12:13], vcc
	s_cbranch_execz .LBB854_667
; %bb.666:
	v_and_b32_e32 v17, 7, v9
	v_ffbh_u32_e32 v19, v17
	v_min_u32_e32 v21, 32, v19
	v_mov_b32_e32 v18, v9
	v_subrev_u32_e32 v19, 28, v21
	v_lshlrev_b64 v[18:19], v19, v[18:19]
	v_lshrrev_b32_e32 v20, 3, v6
	v_sub_u32_e32 v19, 29, v21
	v_and_b32_e32 v18, 7, v18
	v_cmp_gt_u32_e32 vcc, 8, v6
	v_cndmask_b32_e32 v6, v20, v19, vcc
	v_cndmask_b32_e32 v17, v17, v18, vcc
	v_lshlrev_b32_e32 v18, 24, v9
	v_bfrev_b32_e32 v19, 60
	v_lshlrev_b32_e32 v17, 20, v17
	v_and_b32_e32 v18, 0x80000000, v18
	v_lshl_add_u32 v6, v6, 23, v19
	v_or3_b32 v6, v18, v6, v17
	v_lshrrev_b32_e32 v17, 16, v6
.LBB854_667:
	s_or_b64 exec, exec, s[12:13]
.LBB854_668:
	s_or_b64 exec, exec, s[10:11]
.LBB854_669:
	s_or_b64 exec, exec, s[8:9]
	v_lshrrev_b16_e32 v6, 8, v9
	v_cmp_ne_u16_e32 vcc, 0, v6
	s_and_saveexec_b64 s[8:9], vcc
	s_cbranch_execz .LBB854_675
; %bb.670:
	s_movk_i32 s7, 0x80
	v_cmp_ne_u16_e32 vcc, s7, v6
	v_mov_b32_e32 v8, 0xffff8000
	s_and_saveexec_b64 s[10:11], vcc
	s_cbranch_execz .LBB854_674
; %bb.671:
	s_movk_i32 s7, 0x7f
	v_and_b32_e32 v18, 0x7f, v6
	v_cmp_ne_u32_e32 vcc, s7, v18
	v_mov_b32_e32 v8, 0x7f80
	s_and_saveexec_b64 s[12:13], vcc
	s_cbranch_execz .LBB854_673
; %bb.672:
	v_and_b32_e32 v8, 7, v6
	v_ffbh_u32_e32 v20, v8
	v_min_u32_e32 v23, 32, v20
	v_subrev_u32_e32 v20, 28, v23
	v_lshlrev_b64 v[20:21], v20, v[6:7]
	v_lshrrev_b32_e32 v19, 3, v18
	v_sub_u32_e32 v6, 29, v23
	v_and_b32_e32 v20, 7, v20
	v_cmp_gt_u32_e32 vcc, 8, v18
	v_cndmask_b32_e32 v6, v19, v6, vcc
	v_cndmask_b32_e32 v8, v8, v20, vcc
	v_lshlrev_b32_e32 v18, 16, v9
	v_bfrev_b32_e32 v19, 60
	v_lshlrev_b32_e32 v8, 20, v8
	v_and_b32_e32 v18, 0x80000000, v18
	v_lshl_add_u32 v6, v6, 23, v19
	v_or3_b32 v6, v18, v6, v8
	v_lshrrev_b32_e32 v8, 16, v6
.LBB854_673:
	s_or_b64 exec, exec, s[12:13]
.LBB854_674:
	s_or_b64 exec, exec, s[10:11]
.LBB854_675:
	s_or_b64 exec, exec, s[8:9]
	s_movk_i32 s7, 0xff
	v_and_b32_sdwa v20, v9, s7 dst_sel:DWORD dst_unused:UNUSED_PAD src0_sel:WORD_1 src1_sel:DWORD
	v_lshrrev_b32_e32 v6, 16, v9
	v_cmp_ne_u16_e32 vcc, 0, v20
	v_mov_b32_e32 v18, 0
	v_mov_b32_e32 v19, 0
	s_and_saveexec_b64 s[8:9], vcc
	s_cbranch_execz .LBB854_681
; %bb.676:
	s_movk_i32 s7, 0x80
	v_cmp_ne_u16_e32 vcc, s7, v20
	v_mov_b32_e32 v19, 0xffff8000
	s_and_saveexec_b64 s[10:11], vcc
	s_cbranch_execz .LBB854_680
; %bb.677:
	v_bfe_u32 v20, v9, 16, 7
	s_movk_i32 s7, 0x7f
	v_cmp_ne_u32_e32 vcc, s7, v20
	v_mov_b32_e32 v19, 0x7f80
	s_and_saveexec_b64 s[12:13], vcc
	s_cbranch_execz .LBB854_679
; %bb.678:
	v_and_b32_e32 v19, 7, v6
	v_ffbh_u32_e32 v23, v19
	v_min_u32_e32 v23, 32, v23
	v_subrev_u32_e32 v24, 28, v23
	v_lshlrev_b64 v[24:25], v24, v[6:7]
	v_lshrrev_b32_e32 v21, 3, v20
	v_sub_u32_e32 v6, 29, v23
	v_and_b32_e32 v23, 7, v24
	v_cmp_gt_u32_e32 vcc, 8, v20
	v_mov_b32_e32 v20, 24
	v_cndmask_b32_e32 v6, v21, v6, vcc
	v_cndmask_b32_e32 v19, v19, v23, vcc
	v_lshlrev_b32_sdwa v20, v20, v9 dst_sel:DWORD dst_unused:UNUSED_PAD src0_sel:DWORD src1_sel:WORD_1
	v_bfrev_b32_e32 v21, 60
	v_lshlrev_b32_e32 v19, 20, v19
	v_and_b32_e32 v20, 0x80000000, v20
	v_lshl_add_u32 v6, v6, 23, v21
	v_or3_b32 v6, v20, v6, v19
	v_lshrrev_b32_e32 v19, 16, v6
.LBB854_679:
	s_or_b64 exec, exec, s[12:13]
.LBB854_680:
	s_or_b64 exec, exec, s[10:11]
.LBB854_681:
	s_or_b64 exec, exec, s[8:9]
	s_mov_b32 s7, 0xffffff
	v_cmp_lt_u32_e32 vcc, s7, v9
	s_and_saveexec_b64 s[8:9], vcc
	s_cbranch_execz .LBB854_687
; %bb.682:
	v_lshrrev_b32_e32 v6, 24, v9
	s_movk_i32 s7, 0x80
	v_cmp_ne_u32_e32 vcc, s7, v6
	v_mov_b32_e32 v18, 0xffff8000
	s_and_saveexec_b64 s[10:11], vcc
	s_cbranch_execz .LBB854_686
; %bb.683:
	v_bfe_u32 v9, v9, 24, 7
	s_movk_i32 s7, 0x7f
	v_cmp_ne_u32_e32 vcc, s7, v9
	v_mov_b32_e32 v18, 0x7f80
	s_and_saveexec_b64 s[12:13], vcc
	s_cbranch_execz .LBB854_685
; %bb.684:
	v_and_b32_e32 v18, 7, v6
	v_ffbh_u32_e32 v20, v18
	v_min_u32_e32 v24, 32, v20
	v_subrev_u32_e32 v20, 28, v24
	v_lshlrev_b64 v[20:21], v20, v[6:7]
	v_lshrrev_b32_e32 v23, 3, v9
	v_sub_u32_e32 v21, 29, v24
	v_and_b32_e32 v20, 7, v20
	v_cmp_gt_u32_e32 vcc, 8, v9
	v_cndmask_b32_e32 v9, v23, v21, vcc
	v_cndmask_b32_e32 v18, v18, v20, vcc
	v_lshlrev_b32_e32 v6, 24, v6
	v_bfrev_b32_e32 v20, 60
	v_lshlrev_b32_e32 v18, 20, v18
	v_and_b32_e32 v6, 0x80000000, v6
	v_lshl_add_u32 v9, v9, 23, v20
	v_or3_b32 v6, v6, v9, v18
	v_lshrrev_b32_e32 v18, 16, v6
.LBB854_685:
	s_or_b64 exec, exec, s[12:13]
.LBB854_686:
	s_or_b64 exec, exec, s[10:11]
.LBB854_687:
	s_or_b64 exec, exec, s[8:9]
	s_mov_b32 s7, 0x5040100
	v_perm_b32 v15, v15, v16, s7
	v_perm_b32 v14, v7, v14, s7
	ds_read_b128 v[24:27], v22 offset:4112
	v_perm_b32 v7, v18, v19, s7
	v_perm_b32 v6, v8, v17, s7
	s_waitcnt lgkmcnt(0)
	v_mfma_f32_16x16x16bf16_1k v[30:33], v[14:15], v[24:25], v[10:13]
	s_nop 6
	v_mov_b32_e32 v11, 0
	s_waitcnt vmcnt(0)
	v_cmp_ne_u16_sdwa s[10:11], v2, v11 src0_sel:BYTE_0 src1_sel:DWORD
	v_mfma_f32_16x16x16bf16_1k v[6:9], v[6:7], v[26:27], v[30:33]
	v_mov_b32_e32 v12, 0
	s_and_saveexec_b64 s[8:9], s[10:11]
	s_cbranch_execz .LBB854_693
; %bb.688:
	s_movk_i32 s7, 0x80
	v_cmp_ne_u16_sdwa s[12:13], v2, s7 src0_sel:BYTE_0 src1_sel:DWORD
	v_mov_b32_e32 v12, 0xffff8000
	s_and_saveexec_b64 s[10:11], s[12:13]
	s_cbranch_execz .LBB854_692
; %bb.689:
	s_movk_i32 s7, 0x7f
	v_and_b32_e32 v10, 0x7f, v2
	v_cmp_ne_u32_e32 vcc, s7, v10
	v_mov_b32_e32 v12, 0x7f80
	s_and_saveexec_b64 s[12:13], vcc
	s_cbranch_execz .LBB854_691
; %bb.690:
	v_and_b32_e32 v14, 7, v2
	v_ffbh_u32_e32 v12, v14
	v_min_u32_e32 v16, 32, v12
	v_subrev_u32_e32 v12, 28, v16
	v_lshlrev_b64 v[12:13], v12, v[2:3]
	v_lshrrev_b32_e32 v15, 3, v10
	v_sub_u32_e32 v13, 29, v16
	v_and_b32_e32 v12, 7, v12
	v_cmp_gt_u32_e32 vcc, 8, v10
	v_cndmask_b32_e32 v10, v15, v13, vcc
	v_cndmask_b32_e32 v12, v14, v12, vcc
	v_lshlrev_b32_e32 v13, 24, v2
	v_bfrev_b32_e32 v14, 60
	v_lshlrev_b32_e32 v12, 20, v12
	v_and_b32_e32 v13, 0x80000000, v13
	v_lshl_add_u32 v10, v10, 23, v14
	v_or3_b32 v10, v13, v10, v12
	v_lshrrev_b32_e32 v12, 16, v10
.LBB854_691:
	s_or_b64 exec, exec, s[12:13]
.LBB854_692:
	s_or_b64 exec, exec, s[10:11]
.LBB854_693:
	s_or_b64 exec, exec, s[8:9]
	v_lshrrev_b16_e32 v10, 8, v2
	v_cmp_ne_u16_e32 vcc, 0, v10
	s_and_saveexec_b64 s[8:9], vcc
	s_cbranch_execz .LBB854_699
; %bb.694:
	s_movk_i32 s7, 0x80
	v_cmp_ne_u16_e32 vcc, s7, v10
	v_mov_b32_e32 v11, 0xffff8000
	s_and_saveexec_b64 s[10:11], vcc
	s_cbranch_execz .LBB854_698
; %bb.695:
	s_movk_i32 s7, 0x7f
	v_and_b32_e32 v13, 0x7f, v10
	v_cmp_ne_u32_e32 vcc, s7, v13
	v_mov_b32_e32 v11, 0x7f80
	s_and_saveexec_b64 s[12:13], vcc
	s_cbranch_execz .LBB854_697
; %bb.696:
	v_and_b32_e32 v14, 7, v10
	v_ffbh_u32_e32 v11, v14
	v_min_u32_e32 v16, 32, v11
	v_subrev_u32_e32 v11, 28, v16
	v_lshlrev_b64 v[10:11], v11, v[10:11]
	v_lshrrev_b32_e32 v15, 3, v13
	v_sub_u32_e32 v11, 29, v16
	v_and_b32_e32 v10, 7, v10
	v_cmp_gt_u32_e32 vcc, 8, v13
	v_cndmask_b32_e32 v11, v15, v11, vcc
	v_cndmask_b32_e32 v10, v14, v10, vcc
	v_lshlrev_b32_e32 v13, 16, v2
	v_bfrev_b32_e32 v14, 60
	v_lshlrev_b32_e32 v10, 20, v10
	v_and_b32_e32 v13, 0x80000000, v13
	v_lshl_add_u32 v11, v11, 23, v14
	v_or3_b32 v10, v13, v11, v10
	v_lshrrev_b32_e32 v11, 16, v10
.LBB854_697:
	s_or_b64 exec, exec, s[12:13]
.LBB854_698:
	s_or_b64 exec, exec, s[10:11]
.LBB854_699:
	s_or_b64 exec, exec, s[8:9]
	s_movk_i32 s7, 0xff
	v_and_b32_sdwa v15, v2, s7 dst_sel:DWORD dst_unused:UNUSED_PAD src0_sel:WORD_1 src1_sel:DWORD
	v_lshrrev_b32_e32 v10, 16, v2
	v_cmp_ne_u16_e32 vcc, 0, v15
	v_mov_b32_e32 v13, 0
	v_mov_b32_e32 v14, 0
	s_and_saveexec_b64 s[8:9], vcc
	s_cbranch_execz .LBB854_705
; %bb.700:
	s_movk_i32 s7, 0x80
	v_cmp_ne_u16_e32 vcc, s7, v15
	v_mov_b32_e32 v14, 0xffff8000
	s_and_saveexec_b64 s[10:11], vcc
	s_cbranch_execz .LBB854_704
; %bb.701:
	v_bfe_u32 v15, v2, 16, 7
	s_movk_i32 s7, 0x7f
	v_cmp_ne_u32_e32 vcc, s7, v15
	v_mov_b32_e32 v14, 0x7f80
	s_and_saveexec_b64 s[12:13], vcc
	s_cbranch_execz .LBB854_703
; %bb.702:
	v_and_b32_e32 v14, 7, v10
	v_ffbh_u32_e32 v16, v14
	v_min_u32_e32 v19, 32, v16
	v_subrev_u32_e32 v16, 28, v19
	v_lshlrev_b64 v[16:17], v16, v[10:11]
	v_lshrrev_b32_e32 v18, 3, v15
	v_sub_u32_e32 v10, 29, v19
	v_and_b32_e32 v16, 7, v16
	v_cmp_gt_u32_e32 vcc, 8, v15
	v_mov_b32_e32 v15, 24
	v_cndmask_b32_e32 v10, v18, v10, vcc
	v_cndmask_b32_e32 v14, v14, v16, vcc
	v_lshlrev_b32_sdwa v15, v15, v2 dst_sel:DWORD dst_unused:UNUSED_PAD src0_sel:DWORD src1_sel:WORD_1
	v_bfrev_b32_e32 v16, 60
	v_lshlrev_b32_e32 v14, 20, v14
	v_and_b32_e32 v15, 0x80000000, v15
	v_lshl_add_u32 v10, v10, 23, v16
	v_or3_b32 v10, v15, v10, v14
	v_lshrrev_b32_e32 v14, 16, v10
.LBB854_703:
	s_or_b64 exec, exec, s[12:13]
.LBB854_704:
	s_or_b64 exec, exec, s[10:11]
.LBB854_705:
	s_or_b64 exec, exec, s[8:9]
	s_mov_b32 s7, 0xffffff
	v_cmp_lt_u32_e32 vcc, s7, v2
	s_and_saveexec_b64 s[8:9], vcc
	s_cbranch_execz .LBB854_711
; %bb.706:
	v_lshrrev_b32_e32 v10, 24, v2
	s_movk_i32 s7, 0x80
	v_cmp_ne_u32_e32 vcc, s7, v10
	v_mov_b32_e32 v13, 0xffff8000
	s_and_saveexec_b64 s[10:11], vcc
	s_cbranch_execz .LBB854_710
; %bb.707:
	v_bfe_u32 v2, v2, 24, 7
	s_movk_i32 s7, 0x7f
	v_cmp_ne_u32_e32 vcc, s7, v2
	v_mov_b32_e32 v13, 0x7f80
	s_and_saveexec_b64 s[12:13], vcc
	s_cbranch_execz .LBB854_709
; %bb.708:
	v_and_b32_e32 v13, 7, v10
	v_ffbh_u32_e32 v16, v13
	v_min_u32_e32 v18, 32, v16
	v_subrev_u32_e32 v16, 28, v18
	v_lshlrev_b64 v[16:17], v16, v[10:11]
	v_lshrrev_b32_e32 v15, 3, v2
	v_sub_u32_e32 v17, 29, v18
	v_and_b32_e32 v16, 7, v16
	v_cmp_gt_u32_e32 vcc, 8, v2
	v_cndmask_b32_e32 v2, v15, v17, vcc
	v_cndmask_b32_e32 v13, v13, v16, vcc
	v_lshlrev_b32_e32 v10, 24, v10
	v_bfrev_b32_e32 v15, 60
	v_lshlrev_b32_e32 v13, 20, v13
	v_and_b32_e32 v10, 0x80000000, v10
	v_lshl_add_u32 v2, v2, 23, v15
	v_or3_b32 v2, v10, v2, v13
	v_lshrrev_b32_e32 v13, 16, v2
.LBB854_709:
	s_or_b64 exec, exec, s[12:13]
.LBB854_710:
	s_or_b64 exec, exec, s[10:11]
.LBB854_711:
	s_or_b64 exec, exec, s[8:9]
	v_mov_b32_e32 v10, 0
	v_cmp_ne_u16_sdwa s[10:11], v3, v10 src0_sel:BYTE_0 src1_sel:DWORD
	v_mov_b32_e32 v15, 0
	s_and_saveexec_b64 s[8:9], s[10:11]
	s_cbranch_execz .LBB854_717
; %bb.712:
	s_movk_i32 s7, 0x80
	v_cmp_ne_u16_sdwa s[12:13], v3, s7 src0_sel:BYTE_0 src1_sel:DWORD
	v_mov_b32_e32 v15, 0xffff8000
	s_and_saveexec_b64 s[10:11], s[12:13]
	s_cbranch_execz .LBB854_716
; %bb.713:
	s_movk_i32 s7, 0x7f
	v_and_b32_e32 v2, 0x7f, v3
	v_cmp_ne_u32_e32 vcc, s7, v2
	v_mov_b32_e32 v15, 0x7f80
	s_and_saveexec_b64 s[12:13], vcc
	s_cbranch_execz .LBB854_715
; %bb.714:
	v_and_b32_e32 v15, 7, v3
	v_ffbh_u32_e32 v17, v15
	v_min_u32_e32 v19, 32, v17
	v_mov_b32_e32 v16, v3
	v_subrev_u32_e32 v17, 28, v19
	v_lshlrev_b64 v[16:17], v17, v[16:17]
	v_lshrrev_b32_e32 v18, 3, v2
	v_sub_u32_e32 v17, 29, v19
	v_and_b32_e32 v16, 7, v16
	v_cmp_gt_u32_e32 vcc, 8, v2
	v_cndmask_b32_e32 v2, v18, v17, vcc
	v_cndmask_b32_e32 v15, v15, v16, vcc
	v_lshlrev_b32_e32 v16, 24, v3
	v_bfrev_b32_e32 v17, 60
	v_lshlrev_b32_e32 v15, 20, v15
	v_and_b32_e32 v16, 0x80000000, v16
	v_lshl_add_u32 v2, v2, 23, v17
	v_or3_b32 v2, v16, v2, v15
	v_lshrrev_b32_e32 v15, 16, v2
.LBB854_715:
	s_or_b64 exec, exec, s[12:13]
.LBB854_716:
	s_or_b64 exec, exec, s[10:11]
.LBB854_717:
	s_or_b64 exec, exec, s[8:9]
	v_lshrrev_b16_e32 v2, 8, v3
	v_cmp_ne_u16_e32 vcc, 0, v2
	s_and_saveexec_b64 s[8:9], vcc
	s_cbranch_execz .LBB854_723
; %bb.718:
	s_movk_i32 s7, 0x80
	v_cmp_ne_u16_e32 vcc, s7, v2
	v_mov_b32_e32 v10, 0xffff8000
	s_and_saveexec_b64 s[10:11], vcc
	s_cbranch_execz .LBB854_722
; %bb.719:
	s_movk_i32 s7, 0x7f
	v_and_b32_e32 v16, 0x7f, v2
	v_cmp_ne_u32_e32 vcc, s7, v16
	v_mov_b32_e32 v10, 0x7f80
	s_and_saveexec_b64 s[12:13], vcc
	s_cbranch_execz .LBB854_721
; %bb.720:
	v_and_b32_e32 v10, 7, v2
	v_ffbh_u32_e32 v18, v10
	v_min_u32_e32 v20, 32, v18
	v_subrev_u32_e32 v18, 28, v20
	v_lshlrev_b64 v[18:19], v18, v[2:3]
	v_lshrrev_b32_e32 v17, 3, v16
	v_sub_u32_e32 v2, 29, v20
	v_and_b32_e32 v18, 7, v18
	v_cmp_gt_u32_e32 vcc, 8, v16
	v_cndmask_b32_e32 v2, v17, v2, vcc
	v_cndmask_b32_e32 v10, v10, v18, vcc
	v_lshlrev_b32_e32 v16, 16, v3
	v_bfrev_b32_e32 v17, 60
	v_lshlrev_b32_e32 v10, 20, v10
	v_and_b32_e32 v16, 0x80000000, v16
	v_lshl_add_u32 v2, v2, 23, v17
	v_or3_b32 v2, v16, v2, v10
	v_lshrrev_b32_e32 v10, 16, v2
.LBB854_721:
	s_or_b64 exec, exec, s[12:13]
.LBB854_722:
	s_or_b64 exec, exec, s[10:11]
.LBB854_723:
	s_or_b64 exec, exec, s[8:9]
	s_movk_i32 s7, 0xff
	v_and_b32_sdwa v18, v3, s7 dst_sel:DWORD dst_unused:UNUSED_PAD src0_sel:WORD_1 src1_sel:DWORD
	v_lshrrev_b32_e32 v2, 16, v3
	v_cmp_ne_u16_e32 vcc, 0, v18
	v_mov_b32_e32 v16, 0
	v_mov_b32_e32 v17, 0
	s_and_saveexec_b64 s[8:9], vcc
	s_cbranch_execz .LBB854_729
; %bb.724:
	s_movk_i32 s7, 0x80
	v_cmp_ne_u16_e32 vcc, s7, v18
	v_mov_b32_e32 v17, 0xffff8000
	s_and_saveexec_b64 s[10:11], vcc
	s_cbranch_execz .LBB854_728
; %bb.725:
	v_bfe_u32 v18, v3, 16, 7
	s_movk_i32 s7, 0x7f
	v_cmp_ne_u32_e32 vcc, s7, v18
	v_mov_b32_e32 v17, 0x7f80
	s_and_saveexec_b64 s[12:13], vcc
	s_cbranch_execz .LBB854_727
; %bb.726:
	v_and_b32_e32 v17, 7, v2
	v_ffbh_u32_e32 v20, v17
	v_min_u32_e32 v23, 32, v20
	v_subrev_u32_e32 v20, 28, v23
	v_lshlrev_b64 v[20:21], v20, v[2:3]
	v_lshrrev_b32_e32 v19, 3, v18
	v_sub_u32_e32 v2, 29, v23
	v_and_b32_e32 v20, 7, v20
	v_cmp_gt_u32_e32 vcc, 8, v18
	v_mov_b32_e32 v18, 24
	v_cndmask_b32_e32 v2, v19, v2, vcc
	v_cndmask_b32_e32 v17, v17, v20, vcc
	v_lshlrev_b32_sdwa v18, v18, v3 dst_sel:DWORD dst_unused:UNUSED_PAD src0_sel:DWORD src1_sel:WORD_1
	v_bfrev_b32_e32 v19, 60
	v_lshlrev_b32_e32 v17, 20, v17
	v_and_b32_e32 v18, 0x80000000, v18
	v_lshl_add_u32 v2, v2, 23, v19
	v_or3_b32 v2, v18, v2, v17
	v_lshrrev_b32_e32 v17, 16, v2
.LBB854_727:
	s_or_b64 exec, exec, s[12:13]
.LBB854_728:
	s_or_b64 exec, exec, s[10:11]
.LBB854_729:
	s_or_b64 exec, exec, s[8:9]
	s_mov_b32 s7, 0xffffff
	v_cmp_lt_u32_e32 vcc, s7, v3
	s_and_saveexec_b64 s[8:9], vcc
	s_cbranch_execz .LBB854_735
; %bb.730:
	v_lshrrev_b32_e32 v2, 24, v3
	s_movk_i32 s7, 0x80
	v_cmp_ne_u32_e32 vcc, s7, v2
	v_mov_b32_e32 v16, 0xffff8000
	s_and_saveexec_b64 s[10:11], vcc
	s_cbranch_execz .LBB854_734
; %bb.731:
	v_bfe_u32 v3, v3, 24, 7
	s_movk_i32 s7, 0x7f
	v_cmp_ne_u32_e32 vcc, s7, v3
	v_mov_b32_e32 v16, 0x7f80
	s_and_saveexec_b64 s[12:13], vcc
	s_cbranch_execz .LBB854_733
; %bb.732:
	v_and_b32_e32 v16, 7, v2
	v_ffbh_u32_e32 v18, v16
	v_min_u32_e32 v21, 32, v18
	v_subrev_u32_e32 v18, 28, v21
	v_lshlrev_b64 v[18:19], v18, v[2:3]
	v_lshrrev_b32_e32 v20, 3, v3
	v_sub_u32_e32 v19, 29, v21
	v_and_b32_e32 v18, 7, v18
	v_cmp_gt_u32_e32 vcc, 8, v3
	v_cndmask_b32_e32 v3, v20, v19, vcc
	v_cndmask_b32_e32 v16, v16, v18, vcc
	v_lshlrev_b32_e32 v2, 24, v2
	v_bfrev_b32_e32 v18, 60
	v_lshlrev_b32_e32 v16, 20, v16
	v_and_b32_e32 v2, 0x80000000, v2
	v_lshl_add_u32 v3, v3, 23, v18
	v_or3_b32 v2, v2, v3, v16
	v_lshrrev_b32_e32 v16, 16, v2
.LBB854_733:
	s_or_b64 exec, exec, s[12:13]
.LBB854_734:
	s_or_b64 exec, exec, s[10:11]
.LBB854_735:
	s_or_b64 exec, exec, s[8:9]
	s_mov_b32 s7, 0x5040100
	v_perm_b32 v3, v13, v14, s7
	v_perm_b32 v2, v11, v12, s7
	ds_read_b128 v[18:21], v22 offset:6144
	v_perm_b32 v13, v16, v17, s7
	v_perm_b32 v12, v10, v15, s7
	s_waitcnt lgkmcnt(0)
	v_mfma_f32_16x16x16bf16_1k v[6:9], v[2:3], v[18:19], v[6:9]
	v_mov_b32_e32 v3, 0
	v_cmp_ne_u16_sdwa s[10:11], v4, v3 src0_sel:BYTE_0 src1_sel:DWORD
	v_mov_b32_e32 v10, 0
	v_mfma_f32_16x16x16bf16_1k v[6:9], v[12:13], v[20:21], v[6:9]
	s_and_saveexec_b64 s[8:9], s[10:11]
	s_cbranch_execz .LBB854_741
; %bb.736:
	s_movk_i32 s7, 0x80
	v_cmp_ne_u16_sdwa s[12:13], v4, s7 src0_sel:BYTE_0 src1_sel:DWORD
	v_mov_b32_e32 v10, 0xffff8000
	s_and_saveexec_b64 s[10:11], s[12:13]
	s_cbranch_execz .LBB854_740
; %bb.737:
	s_movk_i32 s7, 0x7f
	v_and_b32_e32 v2, 0x7f, v4
	v_cmp_ne_u32_e32 vcc, s7, v2
	v_mov_b32_e32 v10, 0x7f80
	s_and_saveexec_b64 s[12:13], vcc
	s_cbranch_execz .LBB854_739
; %bb.738:
	v_and_b32_e32 v12, 7, v4
	v_ffbh_u32_e32 v10, v12
	v_min_u32_e32 v14, 32, v10
	v_subrev_u32_e32 v10, 28, v14
	v_lshlrev_b64 v[10:11], v10, v[4:5]
	v_lshrrev_b32_e32 v13, 3, v2
	v_sub_u32_e32 v11, 29, v14
	v_and_b32_e32 v10, 7, v10
	v_cmp_gt_u32_e32 vcc, 8, v2
	v_cndmask_b32_e32 v2, v13, v11, vcc
	v_cndmask_b32_e32 v10, v12, v10, vcc
	v_lshlrev_b32_e32 v11, 24, v4
	v_bfrev_b32_e32 v12, 60
	v_lshlrev_b32_e32 v10, 20, v10
	v_and_b32_e32 v11, 0x80000000, v11
	v_lshl_add_u32 v2, v2, 23, v12
	v_or3_b32 v2, v11, v2, v10
	v_lshrrev_b32_e32 v10, 16, v2
.LBB854_739:
	s_or_b64 exec, exec, s[12:13]
.LBB854_740:
	s_or_b64 exec, exec, s[10:11]
.LBB854_741:
	s_or_b64 exec, exec, s[8:9]
	v_lshrrev_b16_e32 v2, 8, v4
	v_cmp_ne_u16_e32 vcc, 0, v2
	s_and_saveexec_b64 s[8:9], vcc
	s_cbranch_execz .LBB854_747
; %bb.742:
	s_movk_i32 s7, 0x80
	v_cmp_ne_u16_e32 vcc, s7, v2
	v_mov_b32_e32 v3, 0xffff8000
	s_and_saveexec_b64 s[10:11], vcc
	s_cbranch_execz .LBB854_746
; %bb.743:
	s_movk_i32 s7, 0x7f
	v_and_b32_e32 v11, 0x7f, v2
	v_cmp_ne_u32_e32 vcc, s7, v11
	v_mov_b32_e32 v3, 0x7f80
	s_and_saveexec_b64 s[12:13], vcc
	s_cbranch_execz .LBB854_745
; %bb.744:
	v_and_b32_e32 v12, 7, v2
	v_ffbh_u32_e32 v3, v12
	v_min_u32_e32 v14, 32, v3
	v_subrev_u32_e32 v3, 28, v14
	v_lshlrev_b64 v[2:3], v3, v[2:3]
	v_lshrrev_b32_e32 v13, 3, v11
	v_sub_u32_e32 v3, 29, v14
	v_and_b32_e32 v2, 7, v2
	v_cmp_gt_u32_e32 vcc, 8, v11
	v_cndmask_b32_e32 v3, v13, v3, vcc
	v_cndmask_b32_e32 v2, v12, v2, vcc
	v_lshlrev_b32_e32 v11, 16, v4
	v_bfrev_b32_e32 v12, 60
	v_lshlrev_b32_e32 v2, 20, v2
	v_and_b32_e32 v11, 0x80000000, v11
	v_lshl_add_u32 v3, v3, 23, v12
	v_or3_b32 v2, v11, v3, v2
	v_lshrrev_b32_e32 v3, 16, v2
.LBB854_745:
	s_or_b64 exec, exec, s[12:13]
.LBB854_746:
	s_or_b64 exec, exec, s[10:11]
.LBB854_747:
	s_or_b64 exec, exec, s[8:9]
	s_movk_i32 s7, 0xff
	v_and_b32_sdwa v13, v4, s7 dst_sel:DWORD dst_unused:UNUSED_PAD src0_sel:WORD_1 src1_sel:DWORD
	v_lshrrev_b32_e32 v2, 16, v4
	v_cmp_ne_u16_e32 vcc, 0, v13
	v_mov_b32_e32 v11, 0
	v_mov_b32_e32 v12, 0
	s_and_saveexec_b64 s[8:9], vcc
	s_cbranch_execz .LBB854_753
; %bb.748:
	s_movk_i32 s7, 0x80
	v_cmp_ne_u16_e32 vcc, s7, v13
	v_mov_b32_e32 v12, 0xffff8000
	s_and_saveexec_b64 s[10:11], vcc
	s_cbranch_execz .LBB854_752
; %bb.749:
	v_bfe_u32 v13, v4, 16, 7
	s_movk_i32 s7, 0x7f
	v_cmp_ne_u32_e32 vcc, s7, v13
	v_mov_b32_e32 v12, 0x7f80
	s_and_saveexec_b64 s[12:13], vcc
	s_cbranch_execz .LBB854_751
; %bb.750:
	v_and_b32_e32 v12, 7, v2
	v_ffbh_u32_e32 v14, v12
	v_min_u32_e32 v17, 32, v14
	v_subrev_u32_e32 v14, 28, v17
	v_lshlrev_b64 v[14:15], v14, v[2:3]
	v_lshrrev_b32_e32 v16, 3, v13
	v_sub_u32_e32 v2, 29, v17
	v_and_b32_e32 v14, 7, v14
	v_cmp_gt_u32_e32 vcc, 8, v13
	v_mov_b32_e32 v13, 24
	v_cndmask_b32_e32 v2, v16, v2, vcc
	v_cndmask_b32_e32 v12, v12, v14, vcc
	v_lshlrev_b32_sdwa v13, v13, v4 dst_sel:DWORD dst_unused:UNUSED_PAD src0_sel:DWORD src1_sel:WORD_1
	v_bfrev_b32_e32 v14, 60
	v_lshlrev_b32_e32 v12, 20, v12
	v_and_b32_e32 v13, 0x80000000, v13
	v_lshl_add_u32 v2, v2, 23, v14
	v_or3_b32 v2, v13, v2, v12
	v_lshrrev_b32_e32 v12, 16, v2
.LBB854_751:
	s_or_b64 exec, exec, s[12:13]
.LBB854_752:
	s_or_b64 exec, exec, s[10:11]
.LBB854_753:
	s_or_b64 exec, exec, s[8:9]
	s_mov_b32 s7, 0xffffff
	v_cmp_lt_u32_e32 vcc, s7, v4
	s_and_saveexec_b64 s[8:9], vcc
	s_cbranch_execz .LBB854_759
; %bb.754:
	v_lshrrev_b32_e32 v2, 24, v4
	s_movk_i32 s7, 0x80
	v_cmp_ne_u32_e32 vcc, s7, v2
	v_mov_b32_e32 v11, 0xffff8000
	s_and_saveexec_b64 s[10:11], vcc
	s_cbranch_execz .LBB854_758
; %bb.755:
	v_bfe_u32 v4, v4, 24, 7
	s_movk_i32 s7, 0x7f
	v_cmp_ne_u32_e32 vcc, s7, v4
	v_mov_b32_e32 v11, 0x7f80
	s_and_saveexec_b64 s[12:13], vcc
	s_cbranch_execz .LBB854_757
; %bb.756:
	v_and_b32_e32 v11, 7, v2
	v_ffbh_u32_e32 v14, v11
	v_min_u32_e32 v16, 32, v14
	v_subrev_u32_e32 v14, 28, v16
	v_lshlrev_b64 v[14:15], v14, v[2:3]
	v_lshrrev_b32_e32 v13, 3, v4
	v_sub_u32_e32 v15, 29, v16
	v_and_b32_e32 v14, 7, v14
	v_cmp_gt_u32_e32 vcc, 8, v4
	v_cndmask_b32_e32 v4, v13, v15, vcc
	v_cndmask_b32_e32 v11, v11, v14, vcc
	v_lshlrev_b32_e32 v2, 24, v2
	v_bfrev_b32_e32 v13, 60
	v_lshlrev_b32_e32 v11, 20, v11
	v_and_b32_e32 v2, 0x80000000, v2
	v_lshl_add_u32 v4, v4, 23, v13
	v_or3_b32 v2, v2, v4, v11
	v_lshrrev_b32_e32 v11, 16, v2
.LBB854_757:
	s_or_b64 exec, exec, s[12:13]
.LBB854_758:
	s_or_b64 exec, exec, s[10:11]
.LBB854_759:
	s_or_b64 exec, exec, s[8:9]
	v_mov_b32_e32 v4, 0
	v_cmp_ne_u16_sdwa s[10:11], v5, v4 src0_sel:BYTE_0 src1_sel:DWORD
	v_mov_b32_e32 v13, 0
	s_and_saveexec_b64 s[8:9], s[10:11]
	s_cbranch_execz .LBB854_765
; %bb.760:
	s_movk_i32 s7, 0x80
	v_cmp_ne_u16_sdwa s[12:13], v5, s7 src0_sel:BYTE_0 src1_sel:DWORD
	v_mov_b32_e32 v13, 0xffff8000
	s_and_saveexec_b64 s[10:11], s[12:13]
	s_cbranch_execz .LBB854_764
; %bb.761:
	s_movk_i32 s7, 0x7f
	v_and_b32_e32 v2, 0x7f, v5
	v_cmp_ne_u32_e32 vcc, s7, v2
	v_mov_b32_e32 v13, 0x7f80
	s_and_saveexec_b64 s[12:13], vcc
	s_cbranch_execz .LBB854_763
; %bb.762:
	v_and_b32_e32 v13, 7, v5
	v_ffbh_u32_e32 v15, v13
	v_min_u32_e32 v17, 32, v15
	v_mov_b32_e32 v14, v5
	v_subrev_u32_e32 v15, 28, v17
	v_lshlrev_b64 v[14:15], v15, v[14:15]
	v_lshrrev_b32_e32 v16, 3, v2
	v_sub_u32_e32 v15, 29, v17
	v_and_b32_e32 v14, 7, v14
	v_cmp_gt_u32_e32 vcc, 8, v2
	v_cndmask_b32_e32 v2, v16, v15, vcc
	v_cndmask_b32_e32 v13, v13, v14, vcc
	v_lshlrev_b32_e32 v14, 24, v5
	v_bfrev_b32_e32 v15, 60
	v_lshlrev_b32_e32 v13, 20, v13
	v_and_b32_e32 v14, 0x80000000, v14
	v_lshl_add_u32 v2, v2, 23, v15
	v_or3_b32 v2, v14, v2, v13
	v_lshrrev_b32_e32 v13, 16, v2
.LBB854_763:
	s_or_b64 exec, exec, s[12:13]
.LBB854_764:
	s_or_b64 exec, exec, s[10:11]
.LBB854_765:
	s_or_b64 exec, exec, s[8:9]
	v_lshrrev_b16_e32 v2, 8, v5
	v_cmp_ne_u16_e32 vcc, 0, v2
	s_and_saveexec_b64 s[8:9], vcc
	s_cbranch_execz .LBB854_771
; %bb.766:
	s_movk_i32 s7, 0x80
	v_cmp_ne_u16_e32 vcc, s7, v2
	v_mov_b32_e32 v4, 0xffff8000
	s_and_saveexec_b64 s[10:11], vcc
	s_cbranch_execz .LBB854_770
; %bb.767:
	s_movk_i32 s7, 0x7f
	v_and_b32_e32 v14, 0x7f, v2
	v_cmp_ne_u32_e32 vcc, s7, v14
	v_mov_b32_e32 v4, 0x7f80
	s_and_saveexec_b64 s[12:13], vcc
	s_cbranch_execz .LBB854_769
; %bb.768:
	v_and_b32_e32 v4, 7, v2
	v_ffbh_u32_e32 v16, v4
	v_min_u32_e32 v18, 32, v16
	v_subrev_u32_e32 v16, 28, v18
	v_lshlrev_b64 v[16:17], v16, v[2:3]
	v_lshrrev_b32_e32 v15, 3, v14
	v_sub_u32_e32 v2, 29, v18
	v_and_b32_e32 v16, 7, v16
	v_cmp_gt_u32_e32 vcc, 8, v14
	v_cndmask_b32_e32 v2, v15, v2, vcc
	v_cndmask_b32_e32 v4, v4, v16, vcc
	v_lshlrev_b32_e32 v14, 16, v5
	v_bfrev_b32_e32 v15, 60
	v_lshlrev_b32_e32 v4, 20, v4
	v_and_b32_e32 v14, 0x80000000, v14
	v_lshl_add_u32 v2, v2, 23, v15
	v_or3_b32 v2, v14, v2, v4
	v_lshrrev_b32_e32 v4, 16, v2
.LBB854_769:
	s_or_b64 exec, exec, s[12:13]
.LBB854_770:
	s_or_b64 exec, exec, s[10:11]
.LBB854_771:
	s_or_b64 exec, exec, s[8:9]
	s_movk_i32 s7, 0xff
	v_and_b32_sdwa v16, v5, s7 dst_sel:DWORD dst_unused:UNUSED_PAD src0_sel:WORD_1 src1_sel:DWORD
	v_lshrrev_b32_e32 v2, 16, v5
	v_cmp_ne_u16_e32 vcc, 0, v16
	v_mov_b32_e32 v14, 0
	v_mov_b32_e32 v15, 0
	s_and_saveexec_b64 s[8:9], vcc
	s_cbranch_execz .LBB854_777
; %bb.772:
	s_movk_i32 s7, 0x80
	v_cmp_ne_u16_e32 vcc, s7, v16
	v_mov_b32_e32 v15, 0xffff8000
	s_and_saveexec_b64 s[10:11], vcc
	s_cbranch_execz .LBB854_776
; %bb.773:
	v_bfe_u32 v16, v5, 16, 7
	s_movk_i32 s7, 0x7f
	v_cmp_ne_u32_e32 vcc, s7, v16
	v_mov_b32_e32 v15, 0x7f80
	s_and_saveexec_b64 s[12:13], vcc
	s_cbranch_execz .LBB854_775
; %bb.774:
	v_and_b32_e32 v15, 7, v2
	v_ffbh_u32_e32 v18, v15
	v_min_u32_e32 v20, 32, v18
	v_subrev_u32_e32 v18, 28, v20
	v_lshlrev_b64 v[18:19], v18, v[2:3]
	v_lshrrev_b32_e32 v17, 3, v16
	v_sub_u32_e32 v2, 29, v20
	v_and_b32_e32 v18, 7, v18
	v_cmp_gt_u32_e32 vcc, 8, v16
	v_mov_b32_e32 v16, 24
	v_cndmask_b32_e32 v2, v17, v2, vcc
	v_cndmask_b32_e32 v15, v15, v18, vcc
	v_lshlrev_b32_sdwa v16, v16, v5 dst_sel:DWORD dst_unused:UNUSED_PAD src0_sel:DWORD src1_sel:WORD_1
	v_bfrev_b32_e32 v17, 60
	v_lshlrev_b32_e32 v15, 20, v15
	v_and_b32_e32 v16, 0x80000000, v16
	v_lshl_add_u32 v2, v2, 23, v17
	v_or3_b32 v2, v16, v2, v15
	v_lshrrev_b32_e32 v15, 16, v2
.LBB854_775:
	s_or_b64 exec, exec, s[12:13]
.LBB854_776:
	s_or_b64 exec, exec, s[10:11]
.LBB854_777:
	s_or_b64 exec, exec, s[8:9]
	s_mov_b32 s7, 0xffffff
	v_cmp_lt_u32_e32 vcc, s7, v5
	s_and_saveexec_b64 s[8:9], vcc
	s_cbranch_execz .LBB854_783
; %bb.778:
	v_lshrrev_b32_e32 v2, 24, v5
	s_movk_i32 s7, 0x80
	v_cmp_ne_u32_e32 vcc, s7, v2
	v_mov_b32_e32 v14, 0xffff8000
	s_and_saveexec_b64 s[10:11], vcc
	s_cbranch_execz .LBB854_782
; %bb.779:
	v_bfe_u32 v5, v5, 24, 7
	s_movk_i32 s7, 0x7f
	v_cmp_ne_u32_e32 vcc, s7, v5
	v_mov_b32_e32 v14, 0x7f80
	s_and_saveexec_b64 s[12:13], vcc
	s_cbranch_execz .LBB854_781
; %bb.780:
	v_and_b32_e32 v14, 7, v2
	v_ffbh_u32_e32 v16, v14
	v_min_u32_e32 v19, 32, v16
	v_subrev_u32_e32 v16, 28, v19
	v_lshlrev_b64 v[16:17], v16, v[2:3]
	v_lshrrev_b32_e32 v18, 3, v5
	v_sub_u32_e32 v17, 29, v19
	v_and_b32_e32 v16, 7, v16
	v_cmp_gt_u32_e32 vcc, 8, v5
	v_cndmask_b32_e32 v5, v18, v17, vcc
	v_cndmask_b32_e32 v14, v14, v16, vcc
	v_lshlrev_b32_e32 v2, 24, v2
	v_bfrev_b32_e32 v16, 60
	v_lshlrev_b32_e32 v14, 20, v14
	v_and_b32_e32 v2, 0x80000000, v2
	v_lshl_add_u32 v5, v5, 23, v16
	v_or3_b32 v2, v2, v5, v14
	v_lshrrev_b32_e32 v14, 16, v2
.LBB854_781:
	s_or_b64 exec, exec, s[12:13]
.LBB854_782:
	s_or_b64 exec, exec, s[10:11]
.LBB854_783:
	s_or_b64 exec, exec, s[8:9]
	s_mov_b32 s7, 0x5040100
	v_perm_b32 v11, v11, v12, s7
	ds_read_b128 v[16:19], v22 offset:6160
	v_perm_b32 v10, v3, v10, s7
	v_perm_b32 v3, v14, v15, s7
	;; [unrolled: 1-line block ×3, first 2 shown]
	s_waitcnt lgkmcnt(0)
	v_mfma_f32_16x16x16bf16_1k v[6:9], v[10:11], v[16:17], v[6:9]
	s_load_dword s8, s[42:43], 0x0
	s_movk_i32 s9, 0x7fff
	s_mov_b32 s7, 0x7060302
	v_cmp_gt_u32_e32 vcc, 64, v0
	s_and_b64 s[0:1], vcc, s[0:1]
	s_waitcnt lgkmcnt(0)
	s_barrier
	v_mfma_f32_16x16x16bf16_1k v[2:5], v[2:3], v[18:19], v[6:9]
	s_nop 7
	s_nop 2
	v_pk_mul_f32 v[4:5], v[4:5], s[8:9] op_sel_hi:[1,0]
	v_pk_mul_f32 v[2:3], v[2:3], s[8:9] op_sel_hi:[1,0]
	v_bfe_u32 v6, v3, 16, 1
	v_bfe_u32 v7, v2, 16, 1
	;; [unrolled: 1-line block ×4, first 2 shown]
	v_add3_u32 v2, v2, v7, s9
	v_add3_u32 v3, v3, v6, s9
	;; [unrolled: 1-line block ×4, first 2 shown]
	v_perm_b32 v2, v3, v2, s7
	v_perm_b32 v3, v5, v4, s7
	ds_write_b64 v28, v[2:3]
	s_waitcnt lgkmcnt(0)
	s_barrier
	s_and_saveexec_b64 s[8:9], s[0:1]
	s_cbranch_execz .LBB854_786
; %bb.784:
	s_load_dwordx2 s[4:5], s[4:5], 0x68
	s_lshl_b32 s0, s44, 6
	s_mul_i32 s1, s14, s6
	s_mul_hi_u32 s9, s1, s0
	s_mul_i32 s8, s1, s0
	s_lshl_b64 s[8:9], s[8:9], 1
	s_waitcnt lgkmcnt(0)
	s_add_u32 s1, s4, s8
	v_lshlrev_b32_e32 v0, 10, v0
	s_mov_b32 s7, 0
	s_addc_u32 s8, s5, s9
	s_lshl_b32 s6, s24, 6
	v_and_b32_e32 v0, 0x1800, v0
	v_lshlrev_b32_e32 v2, 5, v1
	v_and_b32_e32 v3, 16, v47
	s_lshl_b64 s[4:5], s[6:7], 1
	v_or3_b32 v0, v0, v2, v3
	s_add_u32 s1, s1, s4
	s_addc_u32 s4, s8, s5
	ds_read_b128 v[4:7], v0 offset:128
	ds_read_b128 v[8:11], v0
	v_add_u32_e32 v14, s25, v1
	v_mov_b32_e32 v3, s4
	v_add_co_u32_e32 v2, vcc, s1, v46
	v_mad_u64_u32 v[12:13], s[4:5], v14, s0, 0
	v_addc_co_u32_e32 v3, vcc, 0, v3, vcc
	v_lshlrev_b64 v[12:13], 1, v[12:13]
	v_add_co_u32_e32 v12, vcc, v2, v12
	v_addc_co_u32_e32 v13, vcc, v3, v13, vcc
	s_waitcnt lgkmcnt(0)
	global_store_dwordx4 v[12:13], v[8:11], off
	s_nop 0
	v_add_u32_e32 v8, 4, v14
	v_mad_u64_u32 v[8:9], s[4:5], v8, s0, 0
	v_lshlrev_b64 v[8:9], 1, v[8:9]
	v_add_co_u32_e32 v8, vcc, v2, v8
	v_addc_co_u32_e32 v9, vcc, v3, v9, vcc
	global_store_dwordx4 v[8:9], v[4:7], off
	s_and_b64 exec, exec, s[2:3]
	s_cbranch_execz .LBB854_786
; %bb.785:
	ds_read_b128 v[4:7], v0 offset:256
	v_add3_u32 v0, s25, v1, 8
	v_mad_u64_u32 v[0:1], s[0:1], v0, s0, 0
	v_lshlrev_b64 v[0:1], 1, v[0:1]
	v_add_co_u32_e32 v0, vcc, v2, v0
	v_addc_co_u32_e32 v1, vcc, v3, v1, vcc
	s_waitcnt lgkmcnt(0)
	global_store_dwordx4 v[0:1], v[4:7], off
.LBB854_786:
	s_endpgm
	.section	.rodata,"a",@progbits
	.p2align	6, 0x0
	.amdhsa_kernel _Z39paged_attention_ll4mi_QKV_mfma16_kernelI14__hip_bfloat16hLN4vllm18Fp8KVCacheDataTypeE1ES0_Li16ELi64ELi256ELb0ELi9EL8MFMAType0EEvPKT_PKT0_S9_ifPKiSB_SB_iPKfiiiPfSE_PS4_PT2_iSD_SD_
		.amdhsa_group_segment_fixed_size 8192
		.amdhsa_private_segment_fixed_size 0
		.amdhsa_kernarg_size 400
		.amdhsa_user_sgpr_count 6
		.amdhsa_user_sgpr_private_segment_buffer 1
		.amdhsa_user_sgpr_dispatch_ptr 0
		.amdhsa_user_sgpr_queue_ptr 0
		.amdhsa_user_sgpr_kernarg_segment_ptr 1
		.amdhsa_user_sgpr_dispatch_id 0
		.amdhsa_user_sgpr_flat_scratch_init 0
		.amdhsa_user_sgpr_kernarg_preload_length 0
		.amdhsa_user_sgpr_kernarg_preload_offset 0
		.amdhsa_user_sgpr_private_segment_size 0
		.amdhsa_uses_dynamic_stack 0
		.amdhsa_system_sgpr_private_segment_wavefront_offset 0
		.amdhsa_system_sgpr_workgroup_id_x 1
		.amdhsa_system_sgpr_workgroup_id_y 1
		.amdhsa_system_sgpr_workgroup_id_z 1
		.amdhsa_system_sgpr_workgroup_info 0
		.amdhsa_system_vgpr_workitem_id 0
		.amdhsa_next_free_vgpr 61
		.amdhsa_next_free_sgpr 47
		.amdhsa_accum_offset 64
		.amdhsa_reserve_vcc 1
		.amdhsa_reserve_flat_scratch 0
		.amdhsa_float_round_mode_32 0
		.amdhsa_float_round_mode_16_64 0
		.amdhsa_float_denorm_mode_32 3
		.amdhsa_float_denorm_mode_16_64 3
		.amdhsa_dx10_clamp 1
		.amdhsa_ieee_mode 1
		.amdhsa_fp16_overflow 0
		.amdhsa_tg_split 0
		.amdhsa_exception_fp_ieee_invalid_op 0
		.amdhsa_exception_fp_denorm_src 0
		.amdhsa_exception_fp_ieee_div_zero 0
		.amdhsa_exception_fp_ieee_overflow 0
		.amdhsa_exception_fp_ieee_underflow 0
		.amdhsa_exception_fp_ieee_inexact 0
		.amdhsa_exception_int_div_zero 0
	.end_amdhsa_kernel
	.section	.text._Z39paged_attention_ll4mi_QKV_mfma16_kernelI14__hip_bfloat16hLN4vllm18Fp8KVCacheDataTypeE1ES0_Li16ELi64ELi256ELb0ELi9EL8MFMAType0EEvPKT_PKT0_S9_ifPKiSB_SB_iPKfiiiPfSE_PS4_PT2_iSD_SD_,"axG",@progbits,_Z39paged_attention_ll4mi_QKV_mfma16_kernelI14__hip_bfloat16hLN4vllm18Fp8KVCacheDataTypeE1ES0_Li16ELi64ELi256ELb0ELi9EL8MFMAType0EEvPKT_PKT0_S9_ifPKiSB_SB_iPKfiiiPfSE_PS4_PT2_iSD_SD_,comdat
.Lfunc_end854:
	.size	_Z39paged_attention_ll4mi_QKV_mfma16_kernelI14__hip_bfloat16hLN4vllm18Fp8KVCacheDataTypeE1ES0_Li16ELi64ELi256ELb0ELi9EL8MFMAType0EEvPKT_PKT0_S9_ifPKiSB_SB_iPKfiiiPfSE_PS4_PT2_iSD_SD_, .Lfunc_end854-_Z39paged_attention_ll4mi_QKV_mfma16_kernelI14__hip_bfloat16hLN4vllm18Fp8KVCacheDataTypeE1ES0_Li16ELi64ELi256ELb0ELi9EL8MFMAType0EEvPKT_PKT0_S9_ifPKiSB_SB_iPKfiiiPfSE_PS4_PT2_iSD_SD_
                                        ; -- End function
	.section	.AMDGPU.csdata,"",@progbits
; Kernel info:
; codeLenInByte = 28328
; NumSgprs: 51
; NumVgprs: 61
; NumAgprs: 0
; TotalNumVgprs: 61
; ScratchSize: 0
; MemoryBound: 0
; FloatMode: 240
; IeeeMode: 1
; LDSByteSize: 8192 bytes/workgroup (compile time only)
; SGPRBlocks: 6
; VGPRBlocks: 7
; NumSGPRsForWavesPerEU: 51
; NumVGPRsForWavesPerEU: 61
; AccumOffset: 64
; Occupancy: 8
; WaveLimiterHint : 1
; COMPUTE_PGM_RSRC2:SCRATCH_EN: 0
; COMPUTE_PGM_RSRC2:USER_SGPR: 6
; COMPUTE_PGM_RSRC2:TRAP_HANDLER: 0
; COMPUTE_PGM_RSRC2:TGID_X_EN: 1
; COMPUTE_PGM_RSRC2:TGID_Y_EN: 1
; COMPUTE_PGM_RSRC2:TGID_Z_EN: 1
; COMPUTE_PGM_RSRC2:TIDIG_COMP_CNT: 0
; COMPUTE_PGM_RSRC3_GFX90A:ACCUM_OFFSET: 15
; COMPUTE_PGM_RSRC3_GFX90A:TG_SPLIT: 0
	.section	.text._Z39paged_attention_ll4mi_QKV_mfma16_kernelI14__hip_bfloat16hLN4vllm18Fp8KVCacheDataTypeE1ES0_Li16ELi64ELi256ELb0ELi10EL8MFMAType0EEvPKT_PKT0_S9_ifPKiSB_SB_iPKfiiiPfSE_PS4_PT2_iSD_SD_,"axG",@progbits,_Z39paged_attention_ll4mi_QKV_mfma16_kernelI14__hip_bfloat16hLN4vllm18Fp8KVCacheDataTypeE1ES0_Li16ELi64ELi256ELb0ELi10EL8MFMAType0EEvPKT_PKT0_S9_ifPKiSB_SB_iPKfiiiPfSE_PS4_PT2_iSD_SD_,comdat
	.protected	_Z39paged_attention_ll4mi_QKV_mfma16_kernelI14__hip_bfloat16hLN4vllm18Fp8KVCacheDataTypeE1ES0_Li16ELi64ELi256ELb0ELi10EL8MFMAType0EEvPKT_PKT0_S9_ifPKiSB_SB_iPKfiiiPfSE_PS4_PT2_iSD_SD_ ; -- Begin function _Z39paged_attention_ll4mi_QKV_mfma16_kernelI14__hip_bfloat16hLN4vllm18Fp8KVCacheDataTypeE1ES0_Li16ELi64ELi256ELb0ELi10EL8MFMAType0EEvPKT_PKT0_S9_ifPKiSB_SB_iPKfiiiPfSE_PS4_PT2_iSD_SD_
	.globl	_Z39paged_attention_ll4mi_QKV_mfma16_kernelI14__hip_bfloat16hLN4vllm18Fp8KVCacheDataTypeE1ES0_Li16ELi64ELi256ELb0ELi10EL8MFMAType0EEvPKT_PKT0_S9_ifPKiSB_SB_iPKfiiiPfSE_PS4_PT2_iSD_SD_
	.p2align	8
	.type	_Z39paged_attention_ll4mi_QKV_mfma16_kernelI14__hip_bfloat16hLN4vllm18Fp8KVCacheDataTypeE1ES0_Li16ELi64ELi256ELb0ELi10EL8MFMAType0EEvPKT_PKT0_S9_ifPKiSB_SB_iPKfiiiPfSE_PS4_PT2_iSD_SD_,@function
_Z39paged_attention_ll4mi_QKV_mfma16_kernelI14__hip_bfloat16hLN4vllm18Fp8KVCacheDataTypeE1ES0_Li16ELi64ELi256ELb0ELi10EL8MFMAType0EEvPKT_PKT0_S9_ifPKiSB_SB_iPKfiiiPfSE_PS4_PT2_iSD_SD_: ; @_Z39paged_attention_ll4mi_QKV_mfma16_kernelI14__hip_bfloat16hLN4vllm18Fp8KVCacheDataTypeE1ES0_Li16ELi64ELi256ELb0ELi10EL8MFMAType0EEvPKT_PKT0_S9_ifPKiSB_SB_iPKfiiiPfSE_PS4_PT2_iSD_SD_
; %bb.0:
	s_load_dwordx2 s[0:1], s[4:5], 0x30
	s_mov_b32 s24, s7
	s_mov_b64 s[10:11], 0
	s_waitcnt lgkmcnt(0)
	s_cmp_lg_u64 s[0:1], 0
	s_cselect_b64 s[2:3], -1, 0
	s_and_b64 vcc, exec, s[2:3]
	s_cbranch_vccz .LBB855_7
; %bb.1:
	s_add_i32 s12, s6, 1
	s_mov_b32 s13, 0
	s_lshl_b64 s[14:15], s[12:13], 2
	s_add_u32 s14, s0, s14
	s_mov_b32 s7, s13
	s_addc_u32 s15, s1, s15
	s_lshl_b64 s[12:13], s[6:7], 2
	s_add_u32 s12, s0, s12
	s_addc_u32 s13, s1, s13
	s_load_dword s9, s[14:15], 0x0
	s_load_dword s16, s[12:13], 0x0
	s_waitcnt lgkmcnt(0)
	s_sub_i32 s9, s9, s16
	s_cmp_eq_u32 s9, 1
	s_cselect_b64 s[12:13], -1, 0
	s_andn2_b64 vcc, exec, s[10:11]
	s_cbranch_vccnz .LBB855_3
.LBB855_2:
	s_mov_b32 s7, 0
	s_mov_b64 s[12:13], -1
.LBB855_3:
	s_andn2_b64 vcc, exec, s[12:13]
	s_cbranch_vccnz .LBB855_786
; %bb.4:
	s_load_dwordx2 s[12:13], s[4:5], 0x28
	s_lshl_b64 s[10:11], s[6:7], 2
	s_waitcnt lgkmcnt(0)
	s_add_u32 s12, s12, s10
	s_addc_u32 s13, s13, s11
	s_load_dword s33, s[12:13], 0x0
	s_lshl_b32 s20, s24, 8
	s_waitcnt lgkmcnt(0)
	s_cmp_ge_i32 s20, s33
	s_cbranch_scc1 .LBB855_786
; %bb.5:
	s_add_i32 s14, s33, 15
	s_load_dwordx2 s[12:13], s[4:5], 0x20
	s_load_dword s9, s[4:5], 0x38
	s_ashr_i32 s15, s14, 31
	v_and_b32_e32 v1, 0xcf, v0
	s_lshr_b32 s15, s15, 28
	v_add_u32_e32 v1, s20, v1
	s_add_i32 s14, s14, s15
	v_ashrrev_i32_e32 v2, 31, v1
	s_ashr_i32 s22, s14, 4
	v_lshrrev_b32_e32 v4, 28, v2
	s_add_i32 s22, s22, -1
	v_add_u32_e32 v2, v1, v4
	s_waitcnt lgkmcnt(0)
	s_mul_i32 s14, s6, s9
	s_mov_b32 s15, 0
	v_ashrrev_i32_e32 v2, 4, v2
	v_mov_b32_e32 v5, s22
	v_cmp_gt_i32_e32 vcc, s33, v1
	s_lshl_b64 s[14:15], s[14:15], 2
	v_cndmask_b32_e32 v2, v5, v2, vcc
	s_add_u32 s9, s12, s14
	v_ashrrev_i32_e32 v3, 31, v2
	s_addc_u32 s21, s13, s15
	v_lshlrev_b64 v[2:3], 2, v[2:3]
	v_mov_b32_e32 v7, s21
	v_add_co_u32_e32 v6, vcc, s9, v2
	v_or_b32_e32 v2, 16, v1
	v_addc_co_u32_e32 v7, vcc, v7, v3, vcc
	v_add_u32_e32 v3, v2, v4
	v_ashrrev_i32_e32 v3, 4, v3
	v_cmp_gt_i32_e32 vcc, s33, v2
	v_cndmask_b32_e32 v2, v5, v3, vcc
	v_ashrrev_i32_e32 v3, 31, v2
	v_lshlrev_b64 v[2:3], 2, v[2:3]
	v_mov_b32_e32 v9, s21
	v_add_co_u32_e32 v8, vcc, s9, v2
	v_or_b32_e32 v2, 32, v1
	v_addc_co_u32_e32 v9, vcc, v9, v3, vcc
	v_add_u32_e32 v3, v2, v4
	v_ashrrev_i32_e32 v3, 4, v3
	v_cmp_gt_i32_e32 vcc, s33, v2
	v_cndmask_b32_e32 v2, v5, v3, vcc
	v_ashrrev_i32_e32 v3, 31, v2
	;; [unrolled: 10-line block ×3, first 2 shown]
	v_lshlrev_b64 v[2:3], 2, v[2:3]
	v_mov_b32_e32 v1, s21
	v_add_co_u32_e32 v12, vcc, s9, v2
	v_addc_co_u32_e32 v13, vcc, v1, v3, vcc
	global_load_dword v4, v[6:7], off
	global_load_dword v5, v[8:9], off
	;; [unrolled: 1-line block ×4, first 2 shown]
	s_load_dwordx4 s[12:15], s[4:5], 0x8
	s_andn2_b64 vcc, exec, s[2:3]
	s_cbranch_vccnz .LBB855_8
; %bb.6:
	s_add_u32 s0, s0, s10
	s_addc_u32 s1, s1, s11
	s_load_dword s10, s[0:1], 0x0
	s_branch .LBB855_9
.LBB855_7:
	s_mov_b64 s[12:13], 0
	s_branch .LBB855_2
.LBB855_8:
	s_mov_b32 s10, s6
.LBB855_9:
	s_load_dwordx4 s[16:19], s[4:5], 0x48
	v_lshrrev_b32_e32 v49, 6, v0
	v_bfe_u32 v1, v0, 4, 2
	v_lshl_or_b32 v6, v49, 2, v1
	v_and_b32_e32 v48, 15, v0
	v_lshlrev_b32_e32 v7, 3, v48
	v_cmp_gt_u32_e32 vcc, 10, v6
	v_cmp_gt_u32_e64 s[0:1], 8, v48
	s_mul_i32 s25, s8, 10
	s_and_b64 s[26:27], s[0:1], vcc
	v_lshlrev_b32_e32 v46, 1, v7
	v_lshlrev_b32_e32 v47, 4, v0
	s_and_saveexec_b64 s[2:3], s[26:27]
	s_cbranch_execz .LBB855_11
; %bb.10:
	s_load_dwordx2 s[26:27], s[4:5], 0x0
	s_waitcnt lgkmcnt(0)
	s_ashr_i32 s11, s16, 31
	s_mul_hi_u32 s19, s10, s16
	s_mul_i32 s11, s10, s11
	s_add_i32 s11, s19, s11
	s_mul_i32 s10, s10, s16
	s_lshl_b64 s[10:11], s[10:11], 1
	v_add_lshl_u32 v8, v6, s25, 6
	s_add_u32 s10, s26, s10
	v_ashrrev_i32_e32 v9, 31, v8
	s_addc_u32 s11, s27, s11
	v_lshlrev_b64 v[8:9], 1, v[8:9]
	v_mov_b32_e32 v7, s11
	v_add_co_u32_e32 v8, vcc, s10, v8
	v_addc_co_u32_e32 v7, vcc, v7, v9, vcc
	v_add_co_u32_e32 v8, vcc, v8, v46
	v_addc_co_u32_e32 v9, vcc, 0, v7, vcc
	global_load_dwordx4 v[8:11], v[8:9], off
	v_lshlrev_b32_e32 v12, 8, v48
	v_lshlrev_b32_e32 v6, 5, v6
	v_and_b32_e32 v7, 16, v47
	v_and_b32_e32 v12, 0xe00, v12
	v_or3_b32 v6, v12, v6, v7
	s_waitcnt vmcnt(0)
	ds_write_b128 v6, v[8:11]
.LBB855_11:
	s_or_b64 exec, exec, s[2:3]
	v_and_b32_e32 v12, 48, v0
	v_or_b32_e32 v13, s20, v12
	v_ashrrev_i32_e32 v6, 4, v13
	v_mov_b32_e32 v14, s22
	v_cmp_gt_i32_e32 vcc, s33, v13
	v_cndmask_b32_e32 v6, v14, v6, vcc
	v_ashrrev_i32_e32 v7, 31, v6
	v_lshlrev_b64 v[6:7], 2, v[6:7]
	v_mov_b32_e32 v8, s21
	v_add_co_u32_e32 v6, vcc, s9, v6
	v_addc_co_u32_e32 v7, vcc, v8, v7, vcc
	v_or_b32_e32 v8, 64, v13
	v_ashrrev_i32_e32 v9, 4, v8
	v_cmp_gt_i32_e32 vcc, s33, v8
	v_cndmask_b32_e32 v8, v14, v9, vcc
	v_ashrrev_i32_e32 v9, 31, v8
	v_lshlrev_b64 v[8:9], 2, v[8:9]
	v_mov_b32_e32 v10, s21
	v_add_co_u32_e32 v8, vcc, s9, v8
	v_addc_co_u32_e32 v9, vcc, v10, v9, vcc
	v_or_b32_e32 v10, 0x80, v13
	v_ashrrev_i32_e32 v11, 4, v10
	v_cmp_gt_i32_e32 vcc, s33, v10
	v_cndmask_b32_e32 v10, v14, v11, vcc
	v_ashrrev_i32_e32 v11, 31, v10
	v_lshlrev_b64 v[10:11], 2, v[10:11]
	v_mov_b32_e32 v15, s21
	v_add_co_u32_e32 v10, vcc, s9, v10
	s_load_dwordx2 s[44:45], s[4:5], 0x94
	s_load_dwordx4 s[40:43], s[4:5], 0x80
	s_waitcnt lgkmcnt(0)
	s_barrier
	v_addc_co_u32_e32 v11, vcc, v15, v11, vcc
	global_load_dword v15, v[6:7], off
	global_load_dword v16, v[8:9], off
	;; [unrolled: 1-line block ×3, first 2 shown]
	v_or_b32_e32 v6, 0xc0, v13
	v_ashrrev_i32_e32 v7, 4, v6
	v_cmp_gt_i32_e32 vcc, s33, v6
	v_cndmask_b32_e32 v6, v14, v7, vcc
	v_ashrrev_i32_e32 v7, 31, v6
	v_lshlrev_b64 v[6:7], 2, v[6:7]
	v_mov_b32_e32 v8, s21
	v_add_co_u32_e32 v6, vcc, s9, v6
	v_addc_co_u32_e32 v7, vcc, v8, v7, vcc
	global_load_dword v20, v[6:7], off
	s_mul_i32 s8, s8, s18
	s_add_u32 s2, s12, s8
	s_addc_u32 s3, s13, 0
	v_and_b32_e32 v6, 0xf0, v47
	v_mov_b32_e32 v7, s3
	v_add_co_u32_e32 v6, vcc, s2, v6
	v_addc_co_u32_e32 v7, vcc, 0, v7, vcc
	v_lshlrev_b32_e32 v8, 4, v12
	v_add_co_u32_e32 v6, vcc, v6, v8
	v_addc_co_u32_e32 v7, vcc, 0, v7, vcc
	s_waitcnt vmcnt(7)
	v_mad_i64_i32 v[8:9], s[2:3], v4, s17, v[6:7]
	s_waitcnt vmcnt(6)
	v_mad_i64_i32 v[4:5], s[2:3], v5, s17, v[6:7]
	global_load_dwordx4 v[30:33], v[8:9], off
	global_load_dwordx4 v[38:41], v[4:5], off
	s_waitcnt vmcnt(7)
	v_mad_i64_i32 v[4:5], s[2:3], v2, s17, v[6:7]
	s_waitcnt vmcnt(6)
	v_mad_i64_i32 v[2:3], s[2:3], v3, s17, v[6:7]
	global_load_dwordx4 v[34:37], v[4:5], off
	global_load_dwordx4 v[22:25], v[2:3], off
	s_add_u32 s2, s14, s8
	v_lshlrev_b32_e32 v2, 4, v48
	s_addc_u32 s3, s15, 0
	v_lshl_or_b32 v2, v49, 8, v2
	v_mov_b32_e32 v3, s3
	v_add_co_u32_e32 v2, vcc, s2, v2
	v_addc_co_u32_e32 v3, vcc, 0, v3, vcc
	v_cmp_gt_u32_e32 vcc, 10, v48
	v_mov_b32_e32 v44, 0
	v_mov_b32_e32 v43, 0
	s_movk_i32 s8, 0x80
	s_waitcnt vmcnt(7)
	v_mad_i64_i32 v[4:5], s[2:3], v15, s17, v[2:3]
	s_waitcnt vmcnt(6)
	v_mad_i64_i32 v[6:7], s[2:3], v16, s17, v[2:3]
	;; [unrolled: 2-line block ×3, first 2 shown]
	global_load_dwordx4 v[14:17], v[4:5], off
	global_load_dwordx4 v[10:13], v[6:7], off
	s_waitcnt vmcnt(6)
	v_mad_i64_i32 v[20:21], s[2:3], v20, s17, v[2:3]
	global_load_dwordx4 v[6:9], v[18:19], off
	global_load_dwordx4 v[2:5], v[20:21], off
	v_add_u32_e32 v18, -10, v48
	v_cndmask_b32_e32 v18, v18, v48, vcc
	v_lshlrev_b32_e32 v18, 5, v18
	v_lshl_add_u32 v18, v1, 9, v18
	ds_read_b128 v[26:29], v18
	ds_read_b128 v[18:21], v18 offset:16
	s_load_dword s12, s[40:41], 0x0
	s_waitcnt vmcnt(7)
	v_cmp_ne_u16_sdwa s[10:11], v30, v44 src0_sel:BYTE_0 src1_sel:DWORD
	s_and_saveexec_b64 s[2:3], s[10:11]
	s_cbranch_execz .LBB855_17
; %bb.12:
	v_cmp_ne_u16_sdwa s[10:11], v30, s8 src0_sel:BYTE_0 src1_sel:DWORD
	v_mov_b32_e32 v43, 0xffff8000
	s_and_saveexec_b64 s[8:9], s[10:11]
	s_cbranch_execz .LBB855_16
; %bb.13:
	s_movk_i32 s10, 0x7f
	v_and_b32_e32 v42, 0x7f, v30
	v_cmp_ne_u32_e32 vcc, s10, v42
	v_mov_b32_e32 v43, 0x7f80
	s_and_saveexec_b64 s[10:11], vcc
	s_cbranch_execz .LBB855_15
; %bb.14:
	v_and_b32_e32 v43, 7, v30
	v_ffbh_u32_e32 v50, v43
	v_min_u32_e32 v52, 32, v50
	v_subrev_u32_e32 v50, 28, v52
	v_lshlrev_b64 v[50:51], v50, v[30:31]
	v_lshrrev_b32_e32 v45, 3, v42
	v_sub_u32_e32 v51, 29, v52
	v_and_b32_e32 v50, 7, v50
	v_cmp_gt_u32_e32 vcc, 8, v42
	v_cndmask_b32_e32 v42, v45, v51, vcc
	v_cndmask_b32_e32 v43, v43, v50, vcc
	v_lshlrev_b32_e32 v45, 24, v30
	v_bfrev_b32_e32 v50, 60
	v_lshlrev_b32_e32 v43, 20, v43
	v_and_b32_e32 v45, 0x80000000, v45
	v_lshl_add_u32 v42, v42, 23, v50
	v_or3_b32 v42, v45, v42, v43
	v_lshrrev_b32_e32 v43, 16, v42
.LBB855_15:
	s_or_b64 exec, exec, s[10:11]
.LBB855_16:
	s_or_b64 exec, exec, s[8:9]
.LBB855_17:
	s_or_b64 exec, exec, s[2:3]
	v_lshrrev_b16_e32 v42, 8, v30
	v_cmp_ne_u16_e32 vcc, 0, v42
	s_and_saveexec_b64 s[2:3], vcc
	s_cbranch_execz .LBB855_23
; %bb.18:
	s_movk_i32 s8, 0x80
	v_cmp_ne_u16_e32 vcc, s8, v42
	v_mov_b32_e32 v44, 0xffff8000
	s_and_saveexec_b64 s[8:9], vcc
	s_cbranch_execz .LBB855_22
; %bb.19:
	s_movk_i32 s10, 0x7f
	v_and_b32_e32 v45, 0x7f, v42
	v_cmp_ne_u32_e32 vcc, s10, v45
	v_mov_b32_e32 v44, 0x7f80
	s_and_saveexec_b64 s[10:11], vcc
	s_cbranch_execz .LBB855_21
; %bb.20:
	v_and_b32_e32 v44, 7, v42
	v_ffbh_u32_e32 v50, v44
	v_min_u32_e32 v53, 32, v50
	v_subrev_u32_e32 v50, 28, v53
	v_lshlrev_b64 v[50:51], v50, v[42:43]
	v_lshrrev_b32_e32 v52, 3, v45
	v_sub_u32_e32 v42, 29, v53
	v_and_b32_e32 v50, 7, v50
	v_cmp_gt_u32_e32 vcc, 8, v45
	v_cndmask_b32_e32 v42, v52, v42, vcc
	v_cndmask_b32_e32 v44, v44, v50, vcc
	v_lshlrev_b32_e32 v45, 16, v30
	v_bfrev_b32_e32 v50, 60
	v_lshlrev_b32_e32 v44, 20, v44
	v_and_b32_e32 v45, 0x80000000, v45
	v_lshl_add_u32 v42, v42, 23, v50
	v_or3_b32 v42, v45, v42, v44
	v_lshrrev_b32_e32 v44, 16, v42
.LBB855_21:
	s_or_b64 exec, exec, s[10:11]
.LBB855_22:
	s_or_b64 exec, exec, s[8:9]
.LBB855_23:
	s_or_b64 exec, exec, s[2:3]
	s_movk_i32 s2, 0xff
	v_and_b32_sdwa v51, v30, s2 dst_sel:DWORD dst_unused:UNUSED_PAD src0_sel:WORD_1 src1_sel:DWORD
	v_lshrrev_b32_e32 v42, 16, v30
	v_cmp_ne_u16_e32 vcc, 0, v51
	v_mov_b32_e32 v45, 0
	v_mov_b32_e32 v50, 0
	s_and_saveexec_b64 s[2:3], vcc
	s_cbranch_execz .LBB855_29
; %bb.24:
	s_movk_i32 s8, 0x80
	v_cmp_ne_u16_e32 vcc, s8, v51
	v_mov_b32_e32 v50, 0xffff8000
	s_and_saveexec_b64 s[8:9], vcc
	s_cbranch_execz .LBB855_28
; %bb.25:
	v_bfe_u32 v51, v30, 16, 7
	s_movk_i32 s10, 0x7f
	v_cmp_ne_u32_e32 vcc, s10, v51
	v_mov_b32_e32 v50, 0x7f80
	s_and_saveexec_b64 s[10:11], vcc
	s_cbranch_execz .LBB855_27
; %bb.26:
	v_and_b32_e32 v50, 7, v42
	v_ffbh_u32_e32 v52, v50
	v_min_u32_e32 v55, 32, v52
	v_subrev_u32_e32 v52, 28, v55
	v_lshlrev_b64 v[52:53], v52, v[42:43]
	v_lshrrev_b32_e32 v54, 3, v51
	v_sub_u32_e32 v42, 29, v55
	v_and_b32_e32 v52, 7, v52
	v_cmp_gt_u32_e32 vcc, 8, v51
	v_mov_b32_e32 v51, 24
	v_cndmask_b32_e32 v42, v54, v42, vcc
	v_cndmask_b32_e32 v50, v50, v52, vcc
	v_lshlrev_b32_sdwa v51, v51, v30 dst_sel:DWORD dst_unused:UNUSED_PAD src0_sel:DWORD src1_sel:WORD_1
	v_bfrev_b32_e32 v52, 60
	v_lshlrev_b32_e32 v50, 20, v50
	v_and_b32_e32 v51, 0x80000000, v51
	v_lshl_add_u32 v42, v42, 23, v52
	v_or3_b32 v42, v51, v42, v50
	v_lshrrev_b32_e32 v50, 16, v42
.LBB855_27:
	s_or_b64 exec, exec, s[10:11]
.LBB855_28:
	s_or_b64 exec, exec, s[8:9]
.LBB855_29:
	s_or_b64 exec, exec, s[2:3]
	s_mov_b32 s2, 0xffffff
	v_cmp_lt_u32_e32 vcc, s2, v30
	s_and_saveexec_b64 s[2:3], vcc
	s_cbranch_execz .LBB855_35
; %bb.30:
	v_lshrrev_b32_e32 v42, 24, v30
	s_movk_i32 s8, 0x80
	v_cmp_ne_u32_e32 vcc, s8, v42
	v_mov_b32_e32 v45, 0xffff8000
	s_and_saveexec_b64 s[8:9], vcc
	s_cbranch_execz .LBB855_34
; %bb.31:
	v_bfe_u32 v30, v30, 24, 7
	s_movk_i32 s10, 0x7f
	v_cmp_ne_u32_e32 vcc, s10, v30
	v_mov_b32_e32 v45, 0x7f80
	s_and_saveexec_b64 s[10:11], vcc
	s_cbranch_execz .LBB855_33
; %bb.32:
	v_and_b32_e32 v45, 7, v42
	v_ffbh_u32_e32 v52, v45
	v_min_u32_e32 v54, 32, v52
	v_subrev_u32_e32 v52, 28, v54
	v_lshlrev_b64 v[52:53], v52, v[42:43]
	v_lshrrev_b32_e32 v51, 3, v30
	v_sub_u32_e32 v53, 29, v54
	v_and_b32_e32 v52, 7, v52
	v_cmp_gt_u32_e32 vcc, 8, v30
	v_cndmask_b32_e32 v30, v51, v53, vcc
	v_cndmask_b32_e32 v45, v45, v52, vcc
	v_lshlrev_b32_e32 v42, 24, v42
	v_bfrev_b32_e32 v51, 60
	v_lshlrev_b32_e32 v45, 20, v45
	v_and_b32_e32 v42, 0x80000000, v42
	v_lshl_add_u32 v30, v30, 23, v51
	v_or3_b32 v30, v42, v30, v45
	v_lshrrev_b32_e32 v45, 16, v30
.LBB855_33:
	s_or_b64 exec, exec, s[10:11]
.LBB855_34:
	s_or_b64 exec, exec, s[8:9]
.LBB855_35:
	s_or_b64 exec, exec, s[2:3]
	v_mov_b32_e32 v42, 0
	v_cmp_ne_u16_sdwa s[8:9], v31, v42 src0_sel:BYTE_0 src1_sel:DWORD
	v_mov_b32_e32 v51, 0
	s_and_saveexec_b64 s[2:3], s[8:9]
	s_cbranch_execz .LBB855_41
; %bb.36:
	s_movk_i32 s8, 0x80
	v_cmp_ne_u16_sdwa s[10:11], v31, s8 src0_sel:BYTE_0 src1_sel:DWORD
	v_mov_b32_e32 v51, 0xffff8000
	s_and_saveexec_b64 s[8:9], s[10:11]
	s_cbranch_execz .LBB855_40
; %bb.37:
	s_movk_i32 s10, 0x7f
	v_and_b32_e32 v30, 0x7f, v31
	v_cmp_ne_u32_e32 vcc, s10, v30
	v_mov_b32_e32 v51, 0x7f80
	s_and_saveexec_b64 s[10:11], vcc
	s_cbranch_execz .LBB855_39
; %bb.38:
	v_and_b32_e32 v51, 7, v31
	v_ffbh_u32_e32 v53, v51
	v_min_u32_e32 v55, 32, v53
	v_mov_b32_e32 v52, v31
	v_subrev_u32_e32 v53, 28, v55
	v_lshlrev_b64 v[52:53], v53, v[52:53]
	v_lshrrev_b32_e32 v54, 3, v30
	v_sub_u32_e32 v53, 29, v55
	v_and_b32_e32 v52, 7, v52
	v_cmp_gt_u32_e32 vcc, 8, v30
	v_cndmask_b32_e32 v30, v54, v53, vcc
	v_cndmask_b32_e32 v51, v51, v52, vcc
	v_lshlrev_b32_e32 v52, 24, v31
	v_bfrev_b32_e32 v53, 60
	v_lshlrev_b32_e32 v51, 20, v51
	v_and_b32_e32 v52, 0x80000000, v52
	v_lshl_add_u32 v30, v30, 23, v53
	v_or3_b32 v30, v52, v30, v51
	v_lshrrev_b32_e32 v51, 16, v30
.LBB855_39:
	s_or_b64 exec, exec, s[10:11]
.LBB855_40:
	s_or_b64 exec, exec, s[8:9]
.LBB855_41:
	s_or_b64 exec, exec, s[2:3]
	v_lshrrev_b16_e32 v30, 8, v31
	v_cmp_ne_u16_e32 vcc, 0, v30
	s_and_saveexec_b64 s[2:3], vcc
	s_cbranch_execz .LBB855_47
; %bb.42:
	s_movk_i32 s8, 0x80
	v_cmp_ne_u16_e32 vcc, s8, v30
	v_mov_b32_e32 v42, 0xffff8000
	s_and_saveexec_b64 s[8:9], vcc
	s_cbranch_execz .LBB855_46
; %bb.43:
	s_movk_i32 s10, 0x7f
	v_and_b32_e32 v52, 0x7f, v30
	v_cmp_ne_u32_e32 vcc, s10, v52
	v_mov_b32_e32 v42, 0x7f80
	s_and_saveexec_b64 s[10:11], vcc
	s_cbranch_execz .LBB855_45
; %bb.44:
	v_and_b32_e32 v42, 7, v30
	v_ffbh_u32_e32 v54, v42
	v_min_u32_e32 v56, 32, v54
	v_subrev_u32_e32 v54, 28, v56
	v_lshlrev_b64 v[54:55], v54, v[30:31]
	v_lshrrev_b32_e32 v53, 3, v52
	v_sub_u32_e32 v30, 29, v56
	v_and_b32_e32 v54, 7, v54
	v_cmp_gt_u32_e32 vcc, 8, v52
	v_cndmask_b32_e32 v30, v53, v30, vcc
	v_cndmask_b32_e32 v42, v42, v54, vcc
	v_lshlrev_b32_e32 v52, 16, v31
	v_bfrev_b32_e32 v53, 60
	v_lshlrev_b32_e32 v42, 20, v42
	v_and_b32_e32 v52, 0x80000000, v52
	v_lshl_add_u32 v30, v30, 23, v53
	v_or3_b32 v30, v52, v30, v42
	v_lshrrev_b32_e32 v42, 16, v30
.LBB855_45:
	s_or_b64 exec, exec, s[10:11]
.LBB855_46:
	s_or_b64 exec, exec, s[8:9]
.LBB855_47:
	s_or_b64 exec, exec, s[2:3]
	s_movk_i32 s2, 0xff
	v_and_b32_sdwa v54, v31, s2 dst_sel:DWORD dst_unused:UNUSED_PAD src0_sel:WORD_1 src1_sel:DWORD
	v_lshrrev_b32_e32 v30, 16, v31
	v_cmp_ne_u16_e32 vcc, 0, v54
	v_mov_b32_e32 v52, 0
	v_mov_b32_e32 v53, 0
	s_and_saveexec_b64 s[2:3], vcc
	s_cbranch_execz .LBB855_53
; %bb.48:
	s_movk_i32 s8, 0x80
	v_cmp_ne_u16_e32 vcc, s8, v54
	v_mov_b32_e32 v53, 0xffff8000
	s_and_saveexec_b64 s[8:9], vcc
	s_cbranch_execz .LBB855_52
; %bb.49:
	v_bfe_u32 v54, v31, 16, 7
	s_movk_i32 s10, 0x7f
	v_cmp_ne_u32_e32 vcc, s10, v54
	v_mov_b32_e32 v53, 0x7f80
	s_and_saveexec_b64 s[10:11], vcc
	s_cbranch_execz .LBB855_51
; %bb.50:
	v_and_b32_e32 v53, 7, v30
	v_ffbh_u32_e32 v56, v53
	v_min_u32_e32 v58, 32, v56
	v_subrev_u32_e32 v56, 28, v58
	v_lshlrev_b64 v[56:57], v56, v[30:31]
	v_lshrrev_b32_e32 v55, 3, v54
	v_sub_u32_e32 v30, 29, v58
	v_and_b32_e32 v56, 7, v56
	v_cmp_gt_u32_e32 vcc, 8, v54
	v_mov_b32_e32 v54, 24
	v_cndmask_b32_e32 v30, v55, v30, vcc
	v_cndmask_b32_e32 v53, v53, v56, vcc
	v_lshlrev_b32_sdwa v54, v54, v31 dst_sel:DWORD dst_unused:UNUSED_PAD src0_sel:DWORD src1_sel:WORD_1
	v_bfrev_b32_e32 v55, 60
	v_lshlrev_b32_e32 v53, 20, v53
	v_and_b32_e32 v54, 0x80000000, v54
	v_lshl_add_u32 v30, v30, 23, v55
	v_or3_b32 v30, v54, v30, v53
	v_lshrrev_b32_e32 v53, 16, v30
.LBB855_51:
	s_or_b64 exec, exec, s[10:11]
.LBB855_52:
	s_or_b64 exec, exec, s[8:9]
.LBB855_53:
	s_or_b64 exec, exec, s[2:3]
	s_mov_b32 s2, 0xffffff
	v_cmp_lt_u32_e32 vcc, s2, v31
	s_and_saveexec_b64 s[2:3], vcc
	s_cbranch_execz .LBB855_59
; %bb.54:
	v_lshrrev_b32_e32 v30, 24, v31
	s_movk_i32 s8, 0x80
	v_cmp_ne_u32_e32 vcc, s8, v30
	v_mov_b32_e32 v52, 0xffff8000
	s_and_saveexec_b64 s[8:9], vcc
	s_cbranch_execz .LBB855_58
; %bb.55:
	v_bfe_u32 v31, v31, 24, 7
	s_movk_i32 s10, 0x7f
	v_cmp_ne_u32_e32 vcc, s10, v31
	v_mov_b32_e32 v52, 0x7f80
	s_and_saveexec_b64 s[10:11], vcc
	s_cbranch_execz .LBB855_57
; %bb.56:
	v_and_b32_e32 v52, 7, v30
	v_ffbh_u32_e32 v54, v52
	v_min_u32_e32 v57, 32, v54
	v_subrev_u32_e32 v54, 28, v57
	v_lshlrev_b64 v[54:55], v54, v[30:31]
	v_lshrrev_b32_e32 v56, 3, v31
	v_sub_u32_e32 v55, 29, v57
	v_and_b32_e32 v54, 7, v54
	v_cmp_gt_u32_e32 vcc, 8, v31
	v_cndmask_b32_e32 v31, v56, v55, vcc
	v_cndmask_b32_e32 v52, v52, v54, vcc
	v_lshlrev_b32_e32 v30, 24, v30
	v_bfrev_b32_e32 v54, 60
	v_lshlrev_b32_e32 v52, 20, v52
	v_and_b32_e32 v30, 0x80000000, v30
	v_lshl_add_u32 v31, v31, 23, v54
	v_or3_b32 v30, v30, v31, v52
	v_lshrrev_b32_e32 v52, 16, v30
.LBB855_57:
	s_or_b64 exec, exec, s[10:11]
.LBB855_58:
	s_or_b64 exec, exec, s[8:9]
.LBB855_59:
	s_or_b64 exec, exec, s[2:3]
	s_mov_b32 s2, 0x5040100
	v_perm_b32 v31, v45, v50, s2
	v_perm_b32 v30, v44, v43, s2
	;; [unrolled: 1-line block ×4, first 2 shown]
	v_mov_b32_e32 v50, 0
	s_waitcnt lgkmcnt(0)
	v_mfma_f32_16x16x16bf16_1k v[54:57], v[30:31], v[26:27], 0
	v_mov_b32_e32 v31, 0
	v_cmp_ne_u16_sdwa s[8:9], v32, v31 src0_sel:BYTE_0 src1_sel:DWORD
	v_mfma_f32_16x16x16bf16_1k v[42:45], v[42:43], v[28:29], v[54:57]
	s_and_saveexec_b64 s[2:3], s[8:9]
	s_cbranch_execz .LBB855_65
; %bb.60:
	s_movk_i32 s8, 0x80
	v_cmp_ne_u16_sdwa s[10:11], v32, s8 src0_sel:BYTE_0 src1_sel:DWORD
	v_mov_b32_e32 v50, 0xffff8000
	s_and_saveexec_b64 s[8:9], s[10:11]
	s_cbranch_execz .LBB855_64
; %bb.61:
	s_movk_i32 s10, 0x7f
	v_and_b32_e32 v30, 0x7f, v32
	v_cmp_ne_u32_e32 vcc, s10, v30
	v_mov_b32_e32 v50, 0x7f80
	s_and_saveexec_b64 s[10:11], vcc
	s_cbranch_execz .LBB855_63
; %bb.62:
	v_and_b32_e32 v52, 7, v32
	v_ffbh_u32_e32 v50, v52
	v_min_u32_e32 v54, 32, v50
	v_subrev_u32_e32 v50, 28, v54
	v_lshlrev_b64 v[50:51], v50, v[32:33]
	v_lshrrev_b32_e32 v53, 3, v30
	v_sub_u32_e32 v51, 29, v54
	v_and_b32_e32 v50, 7, v50
	v_cmp_gt_u32_e32 vcc, 8, v30
	v_cndmask_b32_e32 v30, v53, v51, vcc
	v_cndmask_b32_e32 v50, v52, v50, vcc
	v_lshlrev_b32_e32 v51, 24, v32
	v_bfrev_b32_e32 v52, 60
	v_lshlrev_b32_e32 v50, 20, v50
	v_and_b32_e32 v51, 0x80000000, v51
	v_lshl_add_u32 v30, v30, 23, v52
	v_or3_b32 v30, v51, v30, v50
	v_lshrrev_b32_e32 v50, 16, v30
.LBB855_63:
	s_or_b64 exec, exec, s[10:11]
.LBB855_64:
	s_or_b64 exec, exec, s[8:9]
.LBB855_65:
	s_or_b64 exec, exec, s[2:3]
	v_lshrrev_b16_e32 v30, 8, v32
	v_cmp_ne_u16_e32 vcc, 0, v30
	s_and_saveexec_b64 s[2:3], vcc
	s_cbranch_execz .LBB855_71
; %bb.66:
	s_movk_i32 s8, 0x80
	v_cmp_ne_u16_e32 vcc, s8, v30
	v_mov_b32_e32 v31, 0xffff8000
	s_and_saveexec_b64 s[8:9], vcc
	s_cbranch_execz .LBB855_70
; %bb.67:
	s_movk_i32 s10, 0x7f
	v_and_b32_e32 v51, 0x7f, v30
	v_cmp_ne_u32_e32 vcc, s10, v51
	v_mov_b32_e32 v31, 0x7f80
	s_and_saveexec_b64 s[10:11], vcc
	s_cbranch_execz .LBB855_69
; %bb.68:
	v_and_b32_e32 v52, 7, v30
	v_ffbh_u32_e32 v31, v52
	v_min_u32_e32 v54, 32, v31
	v_subrev_u32_e32 v31, 28, v54
	v_lshlrev_b64 v[30:31], v31, v[30:31]
	v_lshrrev_b32_e32 v53, 3, v51
	v_sub_u32_e32 v31, 29, v54
	v_and_b32_e32 v30, 7, v30
	v_cmp_gt_u32_e32 vcc, 8, v51
	v_cndmask_b32_e32 v31, v53, v31, vcc
	v_cndmask_b32_e32 v30, v52, v30, vcc
	v_lshlrev_b32_e32 v51, 16, v32
	v_bfrev_b32_e32 v52, 60
	v_lshlrev_b32_e32 v30, 20, v30
	v_and_b32_e32 v51, 0x80000000, v51
	v_lshl_add_u32 v31, v31, 23, v52
	v_or3_b32 v30, v51, v31, v30
	v_lshrrev_b32_e32 v31, 16, v30
.LBB855_69:
	s_or_b64 exec, exec, s[10:11]
.LBB855_70:
	s_or_b64 exec, exec, s[8:9]
.LBB855_71:
	s_or_b64 exec, exec, s[2:3]
	s_movk_i32 s2, 0xff
	v_and_b32_sdwa v53, v32, s2 dst_sel:DWORD dst_unused:UNUSED_PAD src0_sel:WORD_1 src1_sel:DWORD
	v_lshrrev_b32_e32 v30, 16, v32
	v_cmp_ne_u16_e32 vcc, 0, v53
	v_mov_b32_e32 v51, 0
	v_mov_b32_e32 v52, 0
	s_and_saveexec_b64 s[2:3], vcc
	s_cbranch_execz .LBB855_77
; %bb.72:
	s_movk_i32 s8, 0x80
	v_cmp_ne_u16_e32 vcc, s8, v53
	v_mov_b32_e32 v52, 0xffff8000
	s_and_saveexec_b64 s[8:9], vcc
	s_cbranch_execz .LBB855_76
; %bb.73:
	v_bfe_u32 v53, v32, 16, 7
	s_movk_i32 s10, 0x7f
	v_cmp_ne_u32_e32 vcc, s10, v53
	v_mov_b32_e32 v52, 0x7f80
	s_and_saveexec_b64 s[10:11], vcc
	s_cbranch_execz .LBB855_75
; %bb.74:
	v_and_b32_e32 v52, 7, v30
	v_ffbh_u32_e32 v54, v52
	v_min_u32_e32 v57, 32, v54
	v_subrev_u32_e32 v54, 28, v57
	v_lshlrev_b64 v[54:55], v54, v[30:31]
	v_lshrrev_b32_e32 v56, 3, v53
	v_sub_u32_e32 v30, 29, v57
	v_and_b32_e32 v54, 7, v54
	v_cmp_gt_u32_e32 vcc, 8, v53
	v_mov_b32_e32 v53, 24
	v_cndmask_b32_e32 v30, v56, v30, vcc
	v_cndmask_b32_e32 v52, v52, v54, vcc
	v_lshlrev_b32_sdwa v53, v53, v32 dst_sel:DWORD dst_unused:UNUSED_PAD src0_sel:DWORD src1_sel:WORD_1
	v_bfrev_b32_e32 v54, 60
	v_lshlrev_b32_e32 v52, 20, v52
	v_and_b32_e32 v53, 0x80000000, v53
	v_lshl_add_u32 v30, v30, 23, v54
	v_or3_b32 v30, v53, v30, v52
	v_lshrrev_b32_e32 v52, 16, v30
.LBB855_75:
	s_or_b64 exec, exec, s[10:11]
.LBB855_76:
	s_or_b64 exec, exec, s[8:9]
.LBB855_77:
	s_or_b64 exec, exec, s[2:3]
	s_mov_b32 s2, 0xffffff
	v_cmp_lt_u32_e32 vcc, s2, v32
	s_and_saveexec_b64 s[2:3], vcc
	s_cbranch_execz .LBB855_83
; %bb.78:
	v_lshrrev_b32_e32 v30, 24, v32
	s_movk_i32 s8, 0x80
	v_cmp_ne_u32_e32 vcc, s8, v30
	v_mov_b32_e32 v51, 0xffff8000
	s_and_saveexec_b64 s[8:9], vcc
	s_cbranch_execz .LBB855_82
; %bb.79:
	v_bfe_u32 v32, v32, 24, 7
	s_movk_i32 s10, 0x7f
	v_cmp_ne_u32_e32 vcc, s10, v32
	v_mov_b32_e32 v51, 0x7f80
	s_and_saveexec_b64 s[10:11], vcc
	s_cbranch_execz .LBB855_81
; %bb.80:
	v_and_b32_e32 v51, 7, v30
	v_ffbh_u32_e32 v54, v51
	v_min_u32_e32 v56, 32, v54
	v_subrev_u32_e32 v54, 28, v56
	v_lshlrev_b64 v[54:55], v54, v[30:31]
	v_lshrrev_b32_e32 v53, 3, v32
	v_sub_u32_e32 v55, 29, v56
	v_and_b32_e32 v54, 7, v54
	v_cmp_gt_u32_e32 vcc, 8, v32
	v_cndmask_b32_e32 v32, v53, v55, vcc
	v_cndmask_b32_e32 v51, v51, v54, vcc
	v_lshlrev_b32_e32 v30, 24, v30
	v_bfrev_b32_e32 v53, 60
	v_lshlrev_b32_e32 v51, 20, v51
	v_and_b32_e32 v30, 0x80000000, v30
	v_lshl_add_u32 v32, v32, 23, v53
	v_or3_b32 v30, v30, v32, v51
	v_lshrrev_b32_e32 v51, 16, v30
.LBB855_81:
	s_or_b64 exec, exec, s[10:11]
.LBB855_82:
	s_or_b64 exec, exec, s[8:9]
.LBB855_83:
	s_or_b64 exec, exec, s[2:3]
	v_mov_b32_e32 v32, 0
	v_cmp_ne_u16_sdwa s[8:9], v33, v32 src0_sel:BYTE_0 src1_sel:DWORD
	v_mov_b32_e32 v53, 0
	s_and_saveexec_b64 s[2:3], s[8:9]
	s_cbranch_execz .LBB855_89
; %bb.84:
	s_movk_i32 s8, 0x80
	v_cmp_ne_u16_sdwa s[10:11], v33, s8 src0_sel:BYTE_0 src1_sel:DWORD
	v_mov_b32_e32 v53, 0xffff8000
	s_and_saveexec_b64 s[8:9], s[10:11]
	s_cbranch_execz .LBB855_88
; %bb.85:
	s_movk_i32 s10, 0x7f
	v_and_b32_e32 v30, 0x7f, v33
	v_cmp_ne_u32_e32 vcc, s10, v30
	v_mov_b32_e32 v53, 0x7f80
	s_and_saveexec_b64 s[10:11], vcc
	s_cbranch_execz .LBB855_87
; %bb.86:
	v_and_b32_e32 v53, 7, v33
	v_ffbh_u32_e32 v55, v53
	v_min_u32_e32 v57, 32, v55
	v_mov_b32_e32 v54, v33
	v_subrev_u32_e32 v55, 28, v57
	v_lshlrev_b64 v[54:55], v55, v[54:55]
	v_lshrrev_b32_e32 v56, 3, v30
	v_sub_u32_e32 v55, 29, v57
	v_and_b32_e32 v54, 7, v54
	v_cmp_gt_u32_e32 vcc, 8, v30
	v_cndmask_b32_e32 v30, v56, v55, vcc
	v_cndmask_b32_e32 v53, v53, v54, vcc
	v_lshlrev_b32_e32 v54, 24, v33
	v_bfrev_b32_e32 v55, 60
	v_lshlrev_b32_e32 v53, 20, v53
	v_and_b32_e32 v54, 0x80000000, v54
	v_lshl_add_u32 v30, v30, 23, v55
	v_or3_b32 v30, v54, v30, v53
	v_lshrrev_b32_e32 v53, 16, v30
.LBB855_87:
	s_or_b64 exec, exec, s[10:11]
.LBB855_88:
	s_or_b64 exec, exec, s[8:9]
.LBB855_89:
	s_or_b64 exec, exec, s[2:3]
	v_lshrrev_b16_e32 v30, 8, v33
	v_cmp_ne_u16_e32 vcc, 0, v30
	s_and_saveexec_b64 s[2:3], vcc
	s_cbranch_execz .LBB855_95
; %bb.90:
	s_movk_i32 s8, 0x80
	v_cmp_ne_u16_e32 vcc, s8, v30
	v_mov_b32_e32 v32, 0xffff8000
	s_and_saveexec_b64 s[8:9], vcc
	s_cbranch_execz .LBB855_94
; %bb.91:
	s_movk_i32 s10, 0x7f
	v_and_b32_e32 v54, 0x7f, v30
	v_cmp_ne_u32_e32 vcc, s10, v54
	v_mov_b32_e32 v32, 0x7f80
	s_and_saveexec_b64 s[10:11], vcc
	s_cbranch_execz .LBB855_93
; %bb.92:
	v_and_b32_e32 v32, 7, v30
	v_ffbh_u32_e32 v56, v32
	v_min_u32_e32 v58, 32, v56
	v_subrev_u32_e32 v56, 28, v58
	v_lshlrev_b64 v[56:57], v56, v[30:31]
	v_lshrrev_b32_e32 v55, 3, v54
	v_sub_u32_e32 v30, 29, v58
	v_and_b32_e32 v56, 7, v56
	v_cmp_gt_u32_e32 vcc, 8, v54
	v_cndmask_b32_e32 v30, v55, v30, vcc
	v_cndmask_b32_e32 v32, v32, v56, vcc
	v_lshlrev_b32_e32 v54, 16, v33
	v_bfrev_b32_e32 v55, 60
	v_lshlrev_b32_e32 v32, 20, v32
	v_and_b32_e32 v54, 0x80000000, v54
	v_lshl_add_u32 v30, v30, 23, v55
	v_or3_b32 v30, v54, v30, v32
	v_lshrrev_b32_e32 v32, 16, v30
.LBB855_93:
	s_or_b64 exec, exec, s[10:11]
.LBB855_94:
	s_or_b64 exec, exec, s[8:9]
.LBB855_95:
	s_or_b64 exec, exec, s[2:3]
	s_movk_i32 s2, 0xff
	v_and_b32_sdwa v56, v33, s2 dst_sel:DWORD dst_unused:UNUSED_PAD src0_sel:WORD_1 src1_sel:DWORD
	v_lshrrev_b32_e32 v30, 16, v33
	v_cmp_ne_u16_e32 vcc, 0, v56
	v_mov_b32_e32 v54, 0
	v_mov_b32_e32 v55, 0
	s_and_saveexec_b64 s[2:3], vcc
	s_cbranch_execz .LBB855_101
; %bb.96:
	s_movk_i32 s8, 0x80
	v_cmp_ne_u16_e32 vcc, s8, v56
	v_mov_b32_e32 v55, 0xffff8000
	s_and_saveexec_b64 s[8:9], vcc
	s_cbranch_execz .LBB855_100
; %bb.97:
	v_bfe_u32 v56, v33, 16, 7
	s_movk_i32 s10, 0x7f
	v_cmp_ne_u32_e32 vcc, s10, v56
	v_mov_b32_e32 v55, 0x7f80
	s_and_saveexec_b64 s[10:11], vcc
	s_cbranch_execz .LBB855_99
; %bb.98:
	v_and_b32_e32 v55, 7, v30
	v_ffbh_u32_e32 v58, v55
	v_min_u32_e32 v60, 32, v58
	v_subrev_u32_e32 v58, 28, v60
	v_lshlrev_b64 v[58:59], v58, v[30:31]
	v_lshrrev_b32_e32 v57, 3, v56
	v_sub_u32_e32 v30, 29, v60
	v_and_b32_e32 v58, 7, v58
	v_cmp_gt_u32_e32 vcc, 8, v56
	v_mov_b32_e32 v56, 24
	v_cndmask_b32_e32 v30, v57, v30, vcc
	v_cndmask_b32_e32 v55, v55, v58, vcc
	v_lshlrev_b32_sdwa v56, v56, v33 dst_sel:DWORD dst_unused:UNUSED_PAD src0_sel:DWORD src1_sel:WORD_1
	v_bfrev_b32_e32 v57, 60
	v_lshlrev_b32_e32 v55, 20, v55
	v_and_b32_e32 v56, 0x80000000, v56
	v_lshl_add_u32 v30, v30, 23, v57
	v_or3_b32 v30, v56, v30, v55
	v_lshrrev_b32_e32 v55, 16, v30
.LBB855_99:
	s_or_b64 exec, exec, s[10:11]
.LBB855_100:
	s_or_b64 exec, exec, s[8:9]
.LBB855_101:
	s_or_b64 exec, exec, s[2:3]
	s_mov_b32 s2, 0xffffff
	v_cmp_lt_u32_e32 vcc, s2, v33
	s_and_saveexec_b64 s[2:3], vcc
	s_cbranch_execz .LBB855_107
; %bb.102:
	v_lshrrev_b32_e32 v30, 24, v33
	s_movk_i32 s8, 0x80
	v_cmp_ne_u32_e32 vcc, s8, v30
	v_mov_b32_e32 v54, 0xffff8000
	s_and_saveexec_b64 s[8:9], vcc
	s_cbranch_execz .LBB855_106
; %bb.103:
	v_bfe_u32 v33, v33, 24, 7
	s_movk_i32 s10, 0x7f
	v_cmp_ne_u32_e32 vcc, s10, v33
	v_mov_b32_e32 v54, 0x7f80
	s_and_saveexec_b64 s[10:11], vcc
	s_cbranch_execz .LBB855_105
; %bb.104:
	v_and_b32_e32 v54, 7, v30
	v_ffbh_u32_e32 v56, v54
	v_min_u32_e32 v59, 32, v56
	v_subrev_u32_e32 v56, 28, v59
	v_lshlrev_b64 v[56:57], v56, v[30:31]
	v_lshrrev_b32_e32 v58, 3, v33
	v_sub_u32_e32 v57, 29, v59
	v_and_b32_e32 v56, 7, v56
	v_cmp_gt_u32_e32 vcc, 8, v33
	v_cndmask_b32_e32 v33, v58, v57, vcc
	v_cndmask_b32_e32 v54, v54, v56, vcc
	v_lshlrev_b32_e32 v30, 24, v30
	v_bfrev_b32_e32 v56, 60
	v_lshlrev_b32_e32 v54, 20, v54
	v_and_b32_e32 v30, 0x80000000, v30
	v_lshl_add_u32 v33, v33, 23, v56
	v_or3_b32 v30, v30, v33, v54
	v_lshrrev_b32_e32 v54, 16, v30
.LBB855_105:
	s_or_b64 exec, exec, s[10:11]
.LBB855_106:
	s_or_b64 exec, exec, s[8:9]
.LBB855_107:
	s_or_b64 exec, exec, s[2:3]
	s_mov_b32 s2, 0x5040100
	v_perm_b32 v51, v51, v52, s2
	v_perm_b32 v50, v31, v50, s2
	;; [unrolled: 1-line block ×4, first 2 shown]
	v_mfma_f32_16x16x16bf16_1k v[56:59], v[50:51], v[18:19], v[42:45]
	s_nop 6
	v_mov_b32_e32 v43, 0
	s_waitcnt vmcnt(6)
	v_cmp_ne_u16_sdwa s[8:9], v38, v43 src0_sel:BYTE_0 src1_sel:DWORD
	v_mfma_f32_16x16x16bf16_1k v[30:33], v[30:31], v[20:21], v[56:59]
	v_mov_b32_e32 v44, 0
	s_and_saveexec_b64 s[2:3], s[8:9]
	s_cbranch_execz .LBB855_113
; %bb.108:
	s_movk_i32 s8, 0x80
	v_cmp_ne_u16_sdwa s[10:11], v38, s8 src0_sel:BYTE_0 src1_sel:DWORD
	v_mov_b32_e32 v44, 0xffff8000
	s_and_saveexec_b64 s[8:9], s[10:11]
	s_cbranch_execz .LBB855_112
; %bb.109:
	s_movk_i32 s10, 0x7f
	v_and_b32_e32 v42, 0x7f, v38
	v_cmp_ne_u32_e32 vcc, s10, v42
	v_mov_b32_e32 v44, 0x7f80
	s_and_saveexec_b64 s[10:11], vcc
	s_cbranch_execz .LBB855_111
; %bb.110:
	v_and_b32_e32 v50, 7, v38
	v_ffbh_u32_e32 v44, v50
	v_min_u32_e32 v52, 32, v44
	v_subrev_u32_e32 v44, 28, v52
	v_lshlrev_b64 v[44:45], v44, v[38:39]
	v_lshrrev_b32_e32 v51, 3, v42
	v_sub_u32_e32 v45, 29, v52
	v_and_b32_e32 v44, 7, v44
	v_cmp_gt_u32_e32 vcc, 8, v42
	v_cndmask_b32_e32 v42, v51, v45, vcc
	v_cndmask_b32_e32 v44, v50, v44, vcc
	v_lshlrev_b32_e32 v45, 24, v38
	v_bfrev_b32_e32 v50, 60
	v_lshlrev_b32_e32 v44, 20, v44
	v_and_b32_e32 v45, 0x80000000, v45
	v_lshl_add_u32 v42, v42, 23, v50
	v_or3_b32 v42, v45, v42, v44
	v_lshrrev_b32_e32 v44, 16, v42
.LBB855_111:
	s_or_b64 exec, exec, s[10:11]
.LBB855_112:
	s_or_b64 exec, exec, s[8:9]
.LBB855_113:
	s_or_b64 exec, exec, s[2:3]
	v_lshrrev_b16_e32 v42, 8, v38
	v_cmp_ne_u16_e32 vcc, 0, v42
	s_and_saveexec_b64 s[2:3], vcc
	s_cbranch_execz .LBB855_119
; %bb.114:
	s_movk_i32 s8, 0x80
	v_cmp_ne_u16_e32 vcc, s8, v42
	v_mov_b32_e32 v43, 0xffff8000
	s_and_saveexec_b64 s[8:9], vcc
	s_cbranch_execz .LBB855_118
; %bb.115:
	s_movk_i32 s10, 0x7f
	v_and_b32_e32 v45, 0x7f, v42
	v_cmp_ne_u32_e32 vcc, s10, v45
	v_mov_b32_e32 v43, 0x7f80
	s_and_saveexec_b64 s[10:11], vcc
	s_cbranch_execz .LBB855_117
; %bb.116:
	v_and_b32_e32 v50, 7, v42
	v_ffbh_u32_e32 v43, v50
	v_min_u32_e32 v52, 32, v43
	v_subrev_u32_e32 v43, 28, v52
	v_lshlrev_b64 v[42:43], v43, v[42:43]
	v_lshrrev_b32_e32 v51, 3, v45
	v_sub_u32_e32 v43, 29, v52
	v_and_b32_e32 v42, 7, v42
	v_cmp_gt_u32_e32 vcc, 8, v45
	v_cndmask_b32_e32 v43, v51, v43, vcc
	v_cndmask_b32_e32 v42, v50, v42, vcc
	v_lshlrev_b32_e32 v45, 16, v38
	v_bfrev_b32_e32 v50, 60
	v_lshlrev_b32_e32 v42, 20, v42
	v_and_b32_e32 v45, 0x80000000, v45
	v_lshl_add_u32 v43, v43, 23, v50
	v_or3_b32 v42, v45, v43, v42
	v_lshrrev_b32_e32 v43, 16, v42
.LBB855_117:
	s_or_b64 exec, exec, s[10:11]
.LBB855_118:
	s_or_b64 exec, exec, s[8:9]
.LBB855_119:
	s_or_b64 exec, exec, s[2:3]
	s_movk_i32 s2, 0xff
	v_and_b32_sdwa v51, v38, s2 dst_sel:DWORD dst_unused:UNUSED_PAD src0_sel:WORD_1 src1_sel:DWORD
	v_lshrrev_b32_e32 v42, 16, v38
	v_cmp_ne_u16_e32 vcc, 0, v51
	v_mov_b32_e32 v45, 0
	v_mov_b32_e32 v50, 0
	s_and_saveexec_b64 s[2:3], vcc
	s_cbranch_execz .LBB855_125
; %bb.120:
	s_movk_i32 s8, 0x80
	v_cmp_ne_u16_e32 vcc, s8, v51
	v_mov_b32_e32 v50, 0xffff8000
	s_and_saveexec_b64 s[8:9], vcc
	s_cbranch_execz .LBB855_124
; %bb.121:
	v_bfe_u32 v51, v38, 16, 7
	s_movk_i32 s10, 0x7f
	v_cmp_ne_u32_e32 vcc, s10, v51
	v_mov_b32_e32 v50, 0x7f80
	s_and_saveexec_b64 s[10:11], vcc
	s_cbranch_execz .LBB855_123
; %bb.122:
	v_and_b32_e32 v50, 7, v42
	v_ffbh_u32_e32 v52, v50
	v_min_u32_e32 v55, 32, v52
	v_subrev_u32_e32 v52, 28, v55
	v_lshlrev_b64 v[52:53], v52, v[42:43]
	v_lshrrev_b32_e32 v54, 3, v51
	v_sub_u32_e32 v42, 29, v55
	v_and_b32_e32 v52, 7, v52
	v_cmp_gt_u32_e32 vcc, 8, v51
	v_mov_b32_e32 v51, 24
	v_cndmask_b32_e32 v42, v54, v42, vcc
	v_cndmask_b32_e32 v50, v50, v52, vcc
	v_lshlrev_b32_sdwa v51, v51, v38 dst_sel:DWORD dst_unused:UNUSED_PAD src0_sel:DWORD src1_sel:WORD_1
	v_bfrev_b32_e32 v52, 60
	v_lshlrev_b32_e32 v50, 20, v50
	v_and_b32_e32 v51, 0x80000000, v51
	v_lshl_add_u32 v42, v42, 23, v52
	v_or3_b32 v42, v51, v42, v50
	v_lshrrev_b32_e32 v50, 16, v42
.LBB855_123:
	s_or_b64 exec, exec, s[10:11]
.LBB855_124:
	s_or_b64 exec, exec, s[8:9]
.LBB855_125:
	s_or_b64 exec, exec, s[2:3]
	s_mov_b32 s2, 0xffffff
	v_cmp_lt_u32_e32 vcc, s2, v38
	s_and_saveexec_b64 s[2:3], vcc
	s_cbranch_execz .LBB855_131
; %bb.126:
	v_lshrrev_b32_e32 v42, 24, v38
	s_movk_i32 s8, 0x80
	v_cmp_ne_u32_e32 vcc, s8, v42
	v_mov_b32_e32 v45, 0xffff8000
	s_and_saveexec_b64 s[8:9], vcc
	s_cbranch_execz .LBB855_130
; %bb.127:
	v_bfe_u32 v38, v38, 24, 7
	s_movk_i32 s10, 0x7f
	v_cmp_ne_u32_e32 vcc, s10, v38
	v_mov_b32_e32 v45, 0x7f80
	s_and_saveexec_b64 s[10:11], vcc
	s_cbranch_execz .LBB855_129
; %bb.128:
	v_and_b32_e32 v45, 7, v42
	v_ffbh_u32_e32 v52, v45
	v_min_u32_e32 v54, 32, v52
	v_subrev_u32_e32 v52, 28, v54
	v_lshlrev_b64 v[52:53], v52, v[42:43]
	v_lshrrev_b32_e32 v51, 3, v38
	v_sub_u32_e32 v53, 29, v54
	v_and_b32_e32 v52, 7, v52
	v_cmp_gt_u32_e32 vcc, 8, v38
	v_cndmask_b32_e32 v38, v51, v53, vcc
	v_cndmask_b32_e32 v45, v45, v52, vcc
	v_lshlrev_b32_e32 v42, 24, v42
	v_bfrev_b32_e32 v51, 60
	v_lshlrev_b32_e32 v45, 20, v45
	v_and_b32_e32 v42, 0x80000000, v42
	v_lshl_add_u32 v38, v38, 23, v51
	v_or3_b32 v38, v42, v38, v45
	v_lshrrev_b32_e32 v45, 16, v38
.LBB855_129:
	s_or_b64 exec, exec, s[10:11]
.LBB855_130:
	s_or_b64 exec, exec, s[8:9]
.LBB855_131:
	s_or_b64 exec, exec, s[2:3]
	v_mov_b32_e32 v42, 0
	v_cmp_ne_u16_sdwa s[8:9], v39, v42 src0_sel:BYTE_0 src1_sel:DWORD
	v_mov_b32_e32 v51, 0
	s_and_saveexec_b64 s[2:3], s[8:9]
	s_cbranch_execz .LBB855_137
; %bb.132:
	s_movk_i32 s8, 0x80
	v_cmp_ne_u16_sdwa s[10:11], v39, s8 src0_sel:BYTE_0 src1_sel:DWORD
	v_mov_b32_e32 v51, 0xffff8000
	s_and_saveexec_b64 s[8:9], s[10:11]
	s_cbranch_execz .LBB855_136
; %bb.133:
	s_movk_i32 s10, 0x7f
	v_and_b32_e32 v38, 0x7f, v39
	v_cmp_ne_u32_e32 vcc, s10, v38
	v_mov_b32_e32 v51, 0x7f80
	s_and_saveexec_b64 s[10:11], vcc
	s_cbranch_execz .LBB855_135
; %bb.134:
	v_and_b32_e32 v51, 7, v39
	v_ffbh_u32_e32 v53, v51
	v_min_u32_e32 v55, 32, v53
	v_mov_b32_e32 v52, v39
	v_subrev_u32_e32 v53, 28, v55
	v_lshlrev_b64 v[52:53], v53, v[52:53]
	v_lshrrev_b32_e32 v54, 3, v38
	v_sub_u32_e32 v53, 29, v55
	v_and_b32_e32 v52, 7, v52
	v_cmp_gt_u32_e32 vcc, 8, v38
	v_cndmask_b32_e32 v38, v54, v53, vcc
	v_cndmask_b32_e32 v51, v51, v52, vcc
	v_lshlrev_b32_e32 v52, 24, v39
	v_bfrev_b32_e32 v53, 60
	v_lshlrev_b32_e32 v51, 20, v51
	v_and_b32_e32 v52, 0x80000000, v52
	v_lshl_add_u32 v38, v38, 23, v53
	v_or3_b32 v38, v52, v38, v51
	v_lshrrev_b32_e32 v51, 16, v38
.LBB855_135:
	s_or_b64 exec, exec, s[10:11]
.LBB855_136:
	s_or_b64 exec, exec, s[8:9]
.LBB855_137:
	s_or_b64 exec, exec, s[2:3]
	v_lshrrev_b16_e32 v38, 8, v39
	v_cmp_ne_u16_e32 vcc, 0, v38
	s_and_saveexec_b64 s[2:3], vcc
	s_cbranch_execz .LBB855_143
; %bb.138:
	s_movk_i32 s8, 0x80
	v_cmp_ne_u16_e32 vcc, s8, v38
	v_mov_b32_e32 v42, 0xffff8000
	s_and_saveexec_b64 s[8:9], vcc
	s_cbranch_execz .LBB855_142
; %bb.139:
	s_movk_i32 s10, 0x7f
	v_and_b32_e32 v52, 0x7f, v38
	v_cmp_ne_u32_e32 vcc, s10, v52
	v_mov_b32_e32 v42, 0x7f80
	s_and_saveexec_b64 s[10:11], vcc
	s_cbranch_execz .LBB855_141
; %bb.140:
	v_and_b32_e32 v42, 7, v38
	v_ffbh_u32_e32 v54, v42
	v_min_u32_e32 v56, 32, v54
	v_subrev_u32_e32 v54, 28, v56
	v_lshlrev_b64 v[54:55], v54, v[38:39]
	v_lshrrev_b32_e32 v53, 3, v52
	v_sub_u32_e32 v38, 29, v56
	v_and_b32_e32 v54, 7, v54
	v_cmp_gt_u32_e32 vcc, 8, v52
	v_cndmask_b32_e32 v38, v53, v38, vcc
	v_cndmask_b32_e32 v42, v42, v54, vcc
	v_lshlrev_b32_e32 v52, 16, v39
	v_bfrev_b32_e32 v53, 60
	v_lshlrev_b32_e32 v42, 20, v42
	v_and_b32_e32 v52, 0x80000000, v52
	v_lshl_add_u32 v38, v38, 23, v53
	v_or3_b32 v38, v52, v38, v42
	v_lshrrev_b32_e32 v42, 16, v38
.LBB855_141:
	s_or_b64 exec, exec, s[10:11]
.LBB855_142:
	s_or_b64 exec, exec, s[8:9]
.LBB855_143:
	s_or_b64 exec, exec, s[2:3]
	s_movk_i32 s2, 0xff
	v_and_b32_sdwa v54, v39, s2 dst_sel:DWORD dst_unused:UNUSED_PAD src0_sel:WORD_1 src1_sel:DWORD
	v_lshrrev_b32_e32 v38, 16, v39
	v_cmp_ne_u16_e32 vcc, 0, v54
	v_mov_b32_e32 v52, 0
	v_mov_b32_e32 v53, 0
	s_and_saveexec_b64 s[2:3], vcc
	s_cbranch_execz .LBB855_149
; %bb.144:
	s_movk_i32 s8, 0x80
	v_cmp_ne_u16_e32 vcc, s8, v54
	v_mov_b32_e32 v53, 0xffff8000
	s_and_saveexec_b64 s[8:9], vcc
	s_cbranch_execz .LBB855_148
; %bb.145:
	v_bfe_u32 v54, v39, 16, 7
	s_movk_i32 s10, 0x7f
	v_cmp_ne_u32_e32 vcc, s10, v54
	v_mov_b32_e32 v53, 0x7f80
	s_and_saveexec_b64 s[10:11], vcc
	s_cbranch_execz .LBB855_147
; %bb.146:
	v_and_b32_e32 v53, 7, v38
	v_ffbh_u32_e32 v56, v53
	v_min_u32_e32 v58, 32, v56
	v_subrev_u32_e32 v56, 28, v58
	v_lshlrev_b64 v[56:57], v56, v[38:39]
	v_lshrrev_b32_e32 v55, 3, v54
	v_sub_u32_e32 v38, 29, v58
	v_and_b32_e32 v56, 7, v56
	v_cmp_gt_u32_e32 vcc, 8, v54
	v_mov_b32_e32 v54, 24
	v_cndmask_b32_e32 v38, v55, v38, vcc
	v_cndmask_b32_e32 v53, v53, v56, vcc
	v_lshlrev_b32_sdwa v54, v54, v39 dst_sel:DWORD dst_unused:UNUSED_PAD src0_sel:DWORD src1_sel:WORD_1
	v_bfrev_b32_e32 v55, 60
	v_lshlrev_b32_e32 v53, 20, v53
	v_and_b32_e32 v54, 0x80000000, v54
	v_lshl_add_u32 v38, v38, 23, v55
	v_or3_b32 v38, v54, v38, v53
	v_lshrrev_b32_e32 v53, 16, v38
.LBB855_147:
	s_or_b64 exec, exec, s[10:11]
.LBB855_148:
	s_or_b64 exec, exec, s[8:9]
.LBB855_149:
	s_or_b64 exec, exec, s[2:3]
	s_mov_b32 s2, 0xffffff
	v_cmp_lt_u32_e32 vcc, s2, v39
	s_and_saveexec_b64 s[2:3], vcc
	s_cbranch_execz .LBB855_155
; %bb.150:
	v_lshrrev_b32_e32 v38, 24, v39
	s_movk_i32 s8, 0x80
	v_cmp_ne_u32_e32 vcc, s8, v38
	v_mov_b32_e32 v52, 0xffff8000
	s_and_saveexec_b64 s[8:9], vcc
	s_cbranch_execz .LBB855_154
; %bb.151:
	v_bfe_u32 v39, v39, 24, 7
	s_movk_i32 s10, 0x7f
	v_cmp_ne_u32_e32 vcc, s10, v39
	v_mov_b32_e32 v52, 0x7f80
	s_and_saveexec_b64 s[10:11], vcc
	s_cbranch_execz .LBB855_153
; %bb.152:
	v_and_b32_e32 v52, 7, v38
	v_ffbh_u32_e32 v54, v52
	v_min_u32_e32 v57, 32, v54
	v_subrev_u32_e32 v54, 28, v57
	v_lshlrev_b64 v[54:55], v54, v[38:39]
	v_lshrrev_b32_e32 v56, 3, v39
	v_sub_u32_e32 v55, 29, v57
	v_and_b32_e32 v54, 7, v54
	v_cmp_gt_u32_e32 vcc, 8, v39
	v_cndmask_b32_e32 v39, v56, v55, vcc
	v_cndmask_b32_e32 v52, v52, v54, vcc
	v_lshlrev_b32_e32 v38, 24, v38
	v_bfrev_b32_e32 v54, 60
	v_lshlrev_b32_e32 v52, 20, v52
	v_and_b32_e32 v38, 0x80000000, v38
	v_lshl_add_u32 v39, v39, 23, v54
	v_or3_b32 v38, v38, v39, v52
	v_lshrrev_b32_e32 v52, 16, v38
.LBB855_153:
	s_or_b64 exec, exec, s[10:11]
.LBB855_154:
	s_or_b64 exec, exec, s[8:9]
.LBB855_155:
	s_or_b64 exec, exec, s[2:3]
	s_mov_b32 s2, 0x5040100
	v_perm_b32 v39, v45, v50, s2
	v_perm_b32 v38, v43, v44, s2
	;; [unrolled: 1-line block ×4, first 2 shown]
	v_mov_b32_e32 v50, 0
	v_mfma_f32_16x16x16bf16_1k v[54:57], v[38:39], v[26:27], 0
	v_mov_b32_e32 v39, 0
	v_cmp_ne_u16_sdwa s[8:9], v40, v39 src0_sel:BYTE_0 src1_sel:DWORD
	v_mfma_f32_16x16x16bf16_1k v[42:45], v[42:43], v[28:29], v[54:57]
	s_and_saveexec_b64 s[2:3], s[8:9]
	s_cbranch_execz .LBB855_161
; %bb.156:
	s_movk_i32 s8, 0x80
	v_cmp_ne_u16_sdwa s[10:11], v40, s8 src0_sel:BYTE_0 src1_sel:DWORD
	v_mov_b32_e32 v50, 0xffff8000
	s_and_saveexec_b64 s[8:9], s[10:11]
	s_cbranch_execz .LBB855_160
; %bb.157:
	s_movk_i32 s10, 0x7f
	v_and_b32_e32 v38, 0x7f, v40
	v_cmp_ne_u32_e32 vcc, s10, v38
	v_mov_b32_e32 v50, 0x7f80
	s_and_saveexec_b64 s[10:11], vcc
	s_cbranch_execz .LBB855_159
; %bb.158:
	v_and_b32_e32 v52, 7, v40
	v_ffbh_u32_e32 v50, v52
	v_min_u32_e32 v54, 32, v50
	v_subrev_u32_e32 v50, 28, v54
	v_lshlrev_b64 v[50:51], v50, v[40:41]
	v_lshrrev_b32_e32 v53, 3, v38
	v_sub_u32_e32 v51, 29, v54
	v_and_b32_e32 v50, 7, v50
	v_cmp_gt_u32_e32 vcc, 8, v38
	v_cndmask_b32_e32 v38, v53, v51, vcc
	v_cndmask_b32_e32 v50, v52, v50, vcc
	v_lshlrev_b32_e32 v51, 24, v40
	v_bfrev_b32_e32 v52, 60
	v_lshlrev_b32_e32 v50, 20, v50
	v_and_b32_e32 v51, 0x80000000, v51
	v_lshl_add_u32 v38, v38, 23, v52
	v_or3_b32 v38, v51, v38, v50
	v_lshrrev_b32_e32 v50, 16, v38
.LBB855_159:
	s_or_b64 exec, exec, s[10:11]
.LBB855_160:
	s_or_b64 exec, exec, s[8:9]
.LBB855_161:
	s_or_b64 exec, exec, s[2:3]
	v_lshrrev_b16_e32 v38, 8, v40
	v_cmp_ne_u16_e32 vcc, 0, v38
	s_and_saveexec_b64 s[2:3], vcc
	s_cbranch_execz .LBB855_167
; %bb.162:
	s_movk_i32 s8, 0x80
	v_cmp_ne_u16_e32 vcc, s8, v38
	v_mov_b32_e32 v39, 0xffff8000
	s_and_saveexec_b64 s[8:9], vcc
	s_cbranch_execz .LBB855_166
; %bb.163:
	s_movk_i32 s10, 0x7f
	v_and_b32_e32 v51, 0x7f, v38
	v_cmp_ne_u32_e32 vcc, s10, v51
	v_mov_b32_e32 v39, 0x7f80
	s_and_saveexec_b64 s[10:11], vcc
	s_cbranch_execz .LBB855_165
; %bb.164:
	v_and_b32_e32 v52, 7, v38
	v_ffbh_u32_e32 v39, v52
	v_min_u32_e32 v54, 32, v39
	v_subrev_u32_e32 v39, 28, v54
	v_lshlrev_b64 v[38:39], v39, v[38:39]
	v_lshrrev_b32_e32 v53, 3, v51
	v_sub_u32_e32 v39, 29, v54
	v_and_b32_e32 v38, 7, v38
	v_cmp_gt_u32_e32 vcc, 8, v51
	v_cndmask_b32_e32 v39, v53, v39, vcc
	v_cndmask_b32_e32 v38, v52, v38, vcc
	v_lshlrev_b32_e32 v51, 16, v40
	v_bfrev_b32_e32 v52, 60
	v_lshlrev_b32_e32 v38, 20, v38
	v_and_b32_e32 v51, 0x80000000, v51
	v_lshl_add_u32 v39, v39, 23, v52
	v_or3_b32 v38, v51, v39, v38
	v_lshrrev_b32_e32 v39, 16, v38
.LBB855_165:
	s_or_b64 exec, exec, s[10:11]
.LBB855_166:
	s_or_b64 exec, exec, s[8:9]
.LBB855_167:
	s_or_b64 exec, exec, s[2:3]
	s_movk_i32 s2, 0xff
	v_and_b32_sdwa v53, v40, s2 dst_sel:DWORD dst_unused:UNUSED_PAD src0_sel:WORD_1 src1_sel:DWORD
	v_lshrrev_b32_e32 v38, 16, v40
	v_cmp_ne_u16_e32 vcc, 0, v53
	v_mov_b32_e32 v51, 0
	v_mov_b32_e32 v52, 0
	s_and_saveexec_b64 s[2:3], vcc
	s_cbranch_execz .LBB855_173
; %bb.168:
	s_movk_i32 s8, 0x80
	v_cmp_ne_u16_e32 vcc, s8, v53
	v_mov_b32_e32 v52, 0xffff8000
	s_and_saveexec_b64 s[8:9], vcc
	s_cbranch_execz .LBB855_172
; %bb.169:
	v_bfe_u32 v53, v40, 16, 7
	s_movk_i32 s10, 0x7f
	v_cmp_ne_u32_e32 vcc, s10, v53
	v_mov_b32_e32 v52, 0x7f80
	s_and_saveexec_b64 s[10:11], vcc
	s_cbranch_execz .LBB855_171
; %bb.170:
	v_and_b32_e32 v52, 7, v38
	v_ffbh_u32_e32 v54, v52
	v_min_u32_e32 v57, 32, v54
	v_subrev_u32_e32 v54, 28, v57
	v_lshlrev_b64 v[54:55], v54, v[38:39]
	v_lshrrev_b32_e32 v56, 3, v53
	v_sub_u32_e32 v38, 29, v57
	v_and_b32_e32 v54, 7, v54
	v_cmp_gt_u32_e32 vcc, 8, v53
	v_mov_b32_e32 v53, 24
	v_cndmask_b32_e32 v38, v56, v38, vcc
	v_cndmask_b32_e32 v52, v52, v54, vcc
	v_lshlrev_b32_sdwa v53, v53, v40 dst_sel:DWORD dst_unused:UNUSED_PAD src0_sel:DWORD src1_sel:WORD_1
	v_bfrev_b32_e32 v54, 60
	v_lshlrev_b32_e32 v52, 20, v52
	v_and_b32_e32 v53, 0x80000000, v53
	v_lshl_add_u32 v38, v38, 23, v54
	v_or3_b32 v38, v53, v38, v52
	v_lshrrev_b32_e32 v52, 16, v38
.LBB855_171:
	s_or_b64 exec, exec, s[10:11]
.LBB855_172:
	s_or_b64 exec, exec, s[8:9]
.LBB855_173:
	s_or_b64 exec, exec, s[2:3]
	s_mov_b32 s2, 0xffffff
	v_cmp_lt_u32_e32 vcc, s2, v40
	s_and_saveexec_b64 s[2:3], vcc
	s_cbranch_execz .LBB855_179
; %bb.174:
	v_lshrrev_b32_e32 v38, 24, v40
	s_movk_i32 s8, 0x80
	v_cmp_ne_u32_e32 vcc, s8, v38
	v_mov_b32_e32 v51, 0xffff8000
	s_and_saveexec_b64 s[8:9], vcc
	s_cbranch_execz .LBB855_178
; %bb.175:
	v_bfe_u32 v40, v40, 24, 7
	s_movk_i32 s10, 0x7f
	v_cmp_ne_u32_e32 vcc, s10, v40
	v_mov_b32_e32 v51, 0x7f80
	s_and_saveexec_b64 s[10:11], vcc
	s_cbranch_execz .LBB855_177
; %bb.176:
	v_and_b32_e32 v51, 7, v38
	v_ffbh_u32_e32 v54, v51
	v_min_u32_e32 v56, 32, v54
	v_subrev_u32_e32 v54, 28, v56
	v_lshlrev_b64 v[54:55], v54, v[38:39]
	v_lshrrev_b32_e32 v53, 3, v40
	v_sub_u32_e32 v55, 29, v56
	v_and_b32_e32 v54, 7, v54
	v_cmp_gt_u32_e32 vcc, 8, v40
	v_cndmask_b32_e32 v40, v53, v55, vcc
	v_cndmask_b32_e32 v51, v51, v54, vcc
	v_lshlrev_b32_e32 v38, 24, v38
	v_bfrev_b32_e32 v53, 60
	v_lshlrev_b32_e32 v51, 20, v51
	v_and_b32_e32 v38, 0x80000000, v38
	v_lshl_add_u32 v40, v40, 23, v53
	v_or3_b32 v38, v38, v40, v51
	v_lshrrev_b32_e32 v51, 16, v38
.LBB855_177:
	s_or_b64 exec, exec, s[10:11]
.LBB855_178:
	s_or_b64 exec, exec, s[8:9]
.LBB855_179:
	s_or_b64 exec, exec, s[2:3]
	v_mov_b32_e32 v40, 0
	v_cmp_ne_u16_sdwa s[8:9], v41, v40 src0_sel:BYTE_0 src1_sel:DWORD
	v_mov_b32_e32 v53, 0
	s_and_saveexec_b64 s[2:3], s[8:9]
	s_cbranch_execz .LBB855_185
; %bb.180:
	s_movk_i32 s8, 0x80
	v_cmp_ne_u16_sdwa s[10:11], v41, s8 src0_sel:BYTE_0 src1_sel:DWORD
	v_mov_b32_e32 v53, 0xffff8000
	s_and_saveexec_b64 s[8:9], s[10:11]
	s_cbranch_execz .LBB855_184
; %bb.181:
	s_movk_i32 s10, 0x7f
	v_and_b32_e32 v38, 0x7f, v41
	v_cmp_ne_u32_e32 vcc, s10, v38
	v_mov_b32_e32 v53, 0x7f80
	s_and_saveexec_b64 s[10:11], vcc
	s_cbranch_execz .LBB855_183
; %bb.182:
	v_and_b32_e32 v53, 7, v41
	v_ffbh_u32_e32 v55, v53
	v_min_u32_e32 v57, 32, v55
	v_mov_b32_e32 v54, v41
	v_subrev_u32_e32 v55, 28, v57
	v_lshlrev_b64 v[54:55], v55, v[54:55]
	v_lshrrev_b32_e32 v56, 3, v38
	v_sub_u32_e32 v55, 29, v57
	v_and_b32_e32 v54, 7, v54
	v_cmp_gt_u32_e32 vcc, 8, v38
	v_cndmask_b32_e32 v38, v56, v55, vcc
	v_cndmask_b32_e32 v53, v53, v54, vcc
	v_lshlrev_b32_e32 v54, 24, v41
	v_bfrev_b32_e32 v55, 60
	v_lshlrev_b32_e32 v53, 20, v53
	v_and_b32_e32 v54, 0x80000000, v54
	v_lshl_add_u32 v38, v38, 23, v55
	v_or3_b32 v38, v54, v38, v53
	v_lshrrev_b32_e32 v53, 16, v38
.LBB855_183:
	s_or_b64 exec, exec, s[10:11]
.LBB855_184:
	s_or_b64 exec, exec, s[8:9]
.LBB855_185:
	s_or_b64 exec, exec, s[2:3]
	v_lshrrev_b16_e32 v38, 8, v41
	v_cmp_ne_u16_e32 vcc, 0, v38
	s_and_saveexec_b64 s[2:3], vcc
	s_cbranch_execz .LBB855_191
; %bb.186:
	s_movk_i32 s8, 0x80
	v_cmp_ne_u16_e32 vcc, s8, v38
	v_mov_b32_e32 v40, 0xffff8000
	s_and_saveexec_b64 s[8:9], vcc
	s_cbranch_execz .LBB855_190
; %bb.187:
	s_movk_i32 s10, 0x7f
	v_and_b32_e32 v54, 0x7f, v38
	v_cmp_ne_u32_e32 vcc, s10, v54
	v_mov_b32_e32 v40, 0x7f80
	s_and_saveexec_b64 s[10:11], vcc
	s_cbranch_execz .LBB855_189
; %bb.188:
	v_and_b32_e32 v40, 7, v38
	v_ffbh_u32_e32 v56, v40
	v_min_u32_e32 v58, 32, v56
	v_subrev_u32_e32 v56, 28, v58
	v_lshlrev_b64 v[56:57], v56, v[38:39]
	v_lshrrev_b32_e32 v55, 3, v54
	v_sub_u32_e32 v38, 29, v58
	v_and_b32_e32 v56, 7, v56
	v_cmp_gt_u32_e32 vcc, 8, v54
	v_cndmask_b32_e32 v38, v55, v38, vcc
	v_cndmask_b32_e32 v40, v40, v56, vcc
	v_lshlrev_b32_e32 v54, 16, v41
	v_bfrev_b32_e32 v55, 60
	v_lshlrev_b32_e32 v40, 20, v40
	v_and_b32_e32 v54, 0x80000000, v54
	v_lshl_add_u32 v38, v38, 23, v55
	v_or3_b32 v38, v54, v38, v40
	v_lshrrev_b32_e32 v40, 16, v38
.LBB855_189:
	s_or_b64 exec, exec, s[10:11]
.LBB855_190:
	s_or_b64 exec, exec, s[8:9]
.LBB855_191:
	s_or_b64 exec, exec, s[2:3]
	s_movk_i32 s2, 0xff
	v_and_b32_sdwa v56, v41, s2 dst_sel:DWORD dst_unused:UNUSED_PAD src0_sel:WORD_1 src1_sel:DWORD
	v_lshrrev_b32_e32 v38, 16, v41
	v_cmp_ne_u16_e32 vcc, 0, v56
	v_mov_b32_e32 v54, 0
	v_mov_b32_e32 v55, 0
	s_and_saveexec_b64 s[2:3], vcc
	s_cbranch_execz .LBB855_197
; %bb.192:
	s_movk_i32 s8, 0x80
	v_cmp_ne_u16_e32 vcc, s8, v56
	v_mov_b32_e32 v55, 0xffff8000
	s_and_saveexec_b64 s[8:9], vcc
	s_cbranch_execz .LBB855_196
; %bb.193:
	v_bfe_u32 v56, v41, 16, 7
	s_movk_i32 s10, 0x7f
	v_cmp_ne_u32_e32 vcc, s10, v56
	v_mov_b32_e32 v55, 0x7f80
	s_and_saveexec_b64 s[10:11], vcc
	s_cbranch_execz .LBB855_195
; %bb.194:
	v_and_b32_e32 v55, 7, v38
	v_ffbh_u32_e32 v58, v55
	v_min_u32_e32 v60, 32, v58
	v_subrev_u32_e32 v58, 28, v60
	v_lshlrev_b64 v[58:59], v58, v[38:39]
	v_lshrrev_b32_e32 v57, 3, v56
	v_sub_u32_e32 v38, 29, v60
	v_and_b32_e32 v58, 7, v58
	v_cmp_gt_u32_e32 vcc, 8, v56
	v_mov_b32_e32 v56, 24
	v_cndmask_b32_e32 v38, v57, v38, vcc
	v_cndmask_b32_e32 v55, v55, v58, vcc
	v_lshlrev_b32_sdwa v56, v56, v41 dst_sel:DWORD dst_unused:UNUSED_PAD src0_sel:DWORD src1_sel:WORD_1
	v_bfrev_b32_e32 v57, 60
	v_lshlrev_b32_e32 v55, 20, v55
	v_and_b32_e32 v56, 0x80000000, v56
	v_lshl_add_u32 v38, v38, 23, v57
	v_or3_b32 v38, v56, v38, v55
	v_lshrrev_b32_e32 v55, 16, v38
.LBB855_195:
	s_or_b64 exec, exec, s[10:11]
.LBB855_196:
	s_or_b64 exec, exec, s[8:9]
.LBB855_197:
	s_or_b64 exec, exec, s[2:3]
	s_mov_b32 s2, 0xffffff
	v_cmp_lt_u32_e32 vcc, s2, v41
	s_and_saveexec_b64 s[2:3], vcc
	s_cbranch_execz .LBB855_203
; %bb.198:
	v_lshrrev_b32_e32 v38, 24, v41
	s_movk_i32 s8, 0x80
	v_cmp_ne_u32_e32 vcc, s8, v38
	v_mov_b32_e32 v54, 0xffff8000
	s_and_saveexec_b64 s[8:9], vcc
	s_cbranch_execz .LBB855_202
; %bb.199:
	v_bfe_u32 v41, v41, 24, 7
	s_movk_i32 s10, 0x7f
	v_cmp_ne_u32_e32 vcc, s10, v41
	v_mov_b32_e32 v54, 0x7f80
	s_and_saveexec_b64 s[10:11], vcc
	s_cbranch_execz .LBB855_201
; %bb.200:
	v_and_b32_e32 v54, 7, v38
	v_ffbh_u32_e32 v56, v54
	v_min_u32_e32 v59, 32, v56
	v_subrev_u32_e32 v56, 28, v59
	v_lshlrev_b64 v[56:57], v56, v[38:39]
	v_lshrrev_b32_e32 v58, 3, v41
	v_sub_u32_e32 v57, 29, v59
	v_and_b32_e32 v56, 7, v56
	v_cmp_gt_u32_e32 vcc, 8, v41
	v_cndmask_b32_e32 v41, v58, v57, vcc
	v_cndmask_b32_e32 v54, v54, v56, vcc
	v_lshlrev_b32_e32 v38, 24, v38
	v_bfrev_b32_e32 v56, 60
	v_lshlrev_b32_e32 v54, 20, v54
	v_and_b32_e32 v38, 0x80000000, v38
	v_lshl_add_u32 v41, v41, 23, v56
	v_or3_b32 v38, v38, v41, v54
	v_lshrrev_b32_e32 v54, 16, v38
.LBB855_201:
	s_or_b64 exec, exec, s[10:11]
.LBB855_202:
	s_or_b64 exec, exec, s[8:9]
.LBB855_203:
	s_or_b64 exec, exec, s[2:3]
	s_mov_b32 s2, 0x5040100
	v_perm_b32 v51, v51, v52, s2
	v_perm_b32 v50, v39, v50, s2
	;; [unrolled: 1-line block ×4, first 2 shown]
	v_mfma_f32_16x16x16bf16_1k v[56:59], v[50:51], v[18:19], v[42:45]
	s_nop 6
	v_mov_b32_e32 v43, 0
	s_waitcnt vmcnt(5)
	v_cmp_ne_u16_sdwa s[8:9], v34, v43 src0_sel:BYTE_0 src1_sel:DWORD
	v_mfma_f32_16x16x16bf16_1k v[38:41], v[38:39], v[20:21], v[56:59]
	v_mov_b32_e32 v44, 0
	s_and_saveexec_b64 s[2:3], s[8:9]
	s_cbranch_execz .LBB855_209
; %bb.204:
	s_movk_i32 s8, 0x80
	v_cmp_ne_u16_sdwa s[10:11], v34, s8 src0_sel:BYTE_0 src1_sel:DWORD
	v_mov_b32_e32 v44, 0xffff8000
	s_and_saveexec_b64 s[8:9], s[10:11]
	s_cbranch_execz .LBB855_208
; %bb.205:
	s_movk_i32 s10, 0x7f
	v_and_b32_e32 v42, 0x7f, v34
	v_cmp_ne_u32_e32 vcc, s10, v42
	v_mov_b32_e32 v44, 0x7f80
	s_and_saveexec_b64 s[10:11], vcc
	s_cbranch_execz .LBB855_207
; %bb.206:
	v_and_b32_e32 v50, 7, v34
	v_ffbh_u32_e32 v44, v50
	v_min_u32_e32 v52, 32, v44
	v_subrev_u32_e32 v44, 28, v52
	v_lshlrev_b64 v[44:45], v44, v[34:35]
	v_lshrrev_b32_e32 v51, 3, v42
	v_sub_u32_e32 v45, 29, v52
	v_and_b32_e32 v44, 7, v44
	v_cmp_gt_u32_e32 vcc, 8, v42
	v_cndmask_b32_e32 v42, v51, v45, vcc
	v_cndmask_b32_e32 v44, v50, v44, vcc
	v_lshlrev_b32_e32 v45, 24, v34
	v_bfrev_b32_e32 v50, 60
	v_lshlrev_b32_e32 v44, 20, v44
	v_and_b32_e32 v45, 0x80000000, v45
	v_lshl_add_u32 v42, v42, 23, v50
	v_or3_b32 v42, v45, v42, v44
	v_lshrrev_b32_e32 v44, 16, v42
.LBB855_207:
	s_or_b64 exec, exec, s[10:11]
.LBB855_208:
	s_or_b64 exec, exec, s[8:9]
.LBB855_209:
	s_or_b64 exec, exec, s[2:3]
	v_lshrrev_b16_e32 v42, 8, v34
	v_cmp_ne_u16_e32 vcc, 0, v42
	s_and_saveexec_b64 s[2:3], vcc
	s_cbranch_execz .LBB855_215
; %bb.210:
	s_movk_i32 s8, 0x80
	v_cmp_ne_u16_e32 vcc, s8, v42
	v_mov_b32_e32 v43, 0xffff8000
	s_and_saveexec_b64 s[8:9], vcc
	s_cbranch_execz .LBB855_214
; %bb.211:
	s_movk_i32 s10, 0x7f
	v_and_b32_e32 v45, 0x7f, v42
	v_cmp_ne_u32_e32 vcc, s10, v45
	v_mov_b32_e32 v43, 0x7f80
	s_and_saveexec_b64 s[10:11], vcc
	s_cbranch_execz .LBB855_213
; %bb.212:
	v_and_b32_e32 v50, 7, v42
	v_ffbh_u32_e32 v43, v50
	v_min_u32_e32 v52, 32, v43
	v_subrev_u32_e32 v43, 28, v52
	v_lshlrev_b64 v[42:43], v43, v[42:43]
	v_lshrrev_b32_e32 v51, 3, v45
	v_sub_u32_e32 v43, 29, v52
	v_and_b32_e32 v42, 7, v42
	v_cmp_gt_u32_e32 vcc, 8, v45
	v_cndmask_b32_e32 v43, v51, v43, vcc
	v_cndmask_b32_e32 v42, v50, v42, vcc
	v_lshlrev_b32_e32 v45, 16, v34
	v_bfrev_b32_e32 v50, 60
	v_lshlrev_b32_e32 v42, 20, v42
	v_and_b32_e32 v45, 0x80000000, v45
	v_lshl_add_u32 v43, v43, 23, v50
	v_or3_b32 v42, v45, v43, v42
	v_lshrrev_b32_e32 v43, 16, v42
.LBB855_213:
	s_or_b64 exec, exec, s[10:11]
.LBB855_214:
	s_or_b64 exec, exec, s[8:9]
.LBB855_215:
	s_or_b64 exec, exec, s[2:3]
	s_movk_i32 s2, 0xff
	v_and_b32_sdwa v51, v34, s2 dst_sel:DWORD dst_unused:UNUSED_PAD src0_sel:WORD_1 src1_sel:DWORD
	v_lshrrev_b32_e32 v42, 16, v34
	v_cmp_ne_u16_e32 vcc, 0, v51
	v_mov_b32_e32 v45, 0
	v_mov_b32_e32 v50, 0
	s_and_saveexec_b64 s[2:3], vcc
	s_cbranch_execz .LBB855_221
; %bb.216:
	s_movk_i32 s8, 0x80
	v_cmp_ne_u16_e32 vcc, s8, v51
	v_mov_b32_e32 v50, 0xffff8000
	s_and_saveexec_b64 s[8:9], vcc
	s_cbranch_execz .LBB855_220
; %bb.217:
	v_bfe_u32 v51, v34, 16, 7
	s_movk_i32 s10, 0x7f
	v_cmp_ne_u32_e32 vcc, s10, v51
	v_mov_b32_e32 v50, 0x7f80
	s_and_saveexec_b64 s[10:11], vcc
	s_cbranch_execz .LBB855_219
; %bb.218:
	v_and_b32_e32 v50, 7, v42
	v_ffbh_u32_e32 v52, v50
	v_min_u32_e32 v55, 32, v52
	v_subrev_u32_e32 v52, 28, v55
	v_lshlrev_b64 v[52:53], v52, v[42:43]
	v_lshrrev_b32_e32 v54, 3, v51
	v_sub_u32_e32 v42, 29, v55
	v_and_b32_e32 v52, 7, v52
	v_cmp_gt_u32_e32 vcc, 8, v51
	v_mov_b32_e32 v51, 24
	v_cndmask_b32_e32 v42, v54, v42, vcc
	v_cndmask_b32_e32 v50, v50, v52, vcc
	v_lshlrev_b32_sdwa v51, v51, v34 dst_sel:DWORD dst_unused:UNUSED_PAD src0_sel:DWORD src1_sel:WORD_1
	v_bfrev_b32_e32 v52, 60
	v_lshlrev_b32_e32 v50, 20, v50
	v_and_b32_e32 v51, 0x80000000, v51
	v_lshl_add_u32 v42, v42, 23, v52
	v_or3_b32 v42, v51, v42, v50
	v_lshrrev_b32_e32 v50, 16, v42
.LBB855_219:
	s_or_b64 exec, exec, s[10:11]
.LBB855_220:
	s_or_b64 exec, exec, s[8:9]
.LBB855_221:
	s_or_b64 exec, exec, s[2:3]
	s_mov_b32 s2, 0xffffff
	v_cmp_lt_u32_e32 vcc, s2, v34
	s_and_saveexec_b64 s[2:3], vcc
	s_cbranch_execz .LBB855_227
; %bb.222:
	v_lshrrev_b32_e32 v42, 24, v34
	s_movk_i32 s8, 0x80
	v_cmp_ne_u32_e32 vcc, s8, v42
	v_mov_b32_e32 v45, 0xffff8000
	s_and_saveexec_b64 s[8:9], vcc
	s_cbranch_execz .LBB855_226
; %bb.223:
	v_bfe_u32 v34, v34, 24, 7
	s_movk_i32 s10, 0x7f
	v_cmp_ne_u32_e32 vcc, s10, v34
	v_mov_b32_e32 v45, 0x7f80
	s_and_saveexec_b64 s[10:11], vcc
	s_cbranch_execz .LBB855_225
; %bb.224:
	v_and_b32_e32 v45, 7, v42
	v_ffbh_u32_e32 v52, v45
	v_min_u32_e32 v54, 32, v52
	v_subrev_u32_e32 v52, 28, v54
	v_lshlrev_b64 v[52:53], v52, v[42:43]
	v_lshrrev_b32_e32 v51, 3, v34
	v_sub_u32_e32 v53, 29, v54
	v_and_b32_e32 v52, 7, v52
	v_cmp_gt_u32_e32 vcc, 8, v34
	v_cndmask_b32_e32 v34, v51, v53, vcc
	v_cndmask_b32_e32 v45, v45, v52, vcc
	v_lshlrev_b32_e32 v42, 24, v42
	v_bfrev_b32_e32 v51, 60
	v_lshlrev_b32_e32 v45, 20, v45
	v_and_b32_e32 v42, 0x80000000, v42
	v_lshl_add_u32 v34, v34, 23, v51
	v_or3_b32 v34, v42, v34, v45
	v_lshrrev_b32_e32 v45, 16, v34
.LBB855_225:
	s_or_b64 exec, exec, s[10:11]
.LBB855_226:
	s_or_b64 exec, exec, s[8:9]
.LBB855_227:
	s_or_b64 exec, exec, s[2:3]
	v_mov_b32_e32 v42, 0
	v_cmp_ne_u16_sdwa s[8:9], v35, v42 src0_sel:BYTE_0 src1_sel:DWORD
	v_mov_b32_e32 v51, 0
	s_and_saveexec_b64 s[2:3], s[8:9]
	s_cbranch_execz .LBB855_233
; %bb.228:
	s_movk_i32 s8, 0x80
	v_cmp_ne_u16_sdwa s[10:11], v35, s8 src0_sel:BYTE_0 src1_sel:DWORD
	v_mov_b32_e32 v51, 0xffff8000
	s_and_saveexec_b64 s[8:9], s[10:11]
	s_cbranch_execz .LBB855_232
; %bb.229:
	s_movk_i32 s10, 0x7f
	v_and_b32_e32 v34, 0x7f, v35
	v_cmp_ne_u32_e32 vcc, s10, v34
	v_mov_b32_e32 v51, 0x7f80
	s_and_saveexec_b64 s[10:11], vcc
	s_cbranch_execz .LBB855_231
; %bb.230:
	v_and_b32_e32 v51, 7, v35
	v_ffbh_u32_e32 v53, v51
	v_min_u32_e32 v55, 32, v53
	v_mov_b32_e32 v52, v35
	v_subrev_u32_e32 v53, 28, v55
	v_lshlrev_b64 v[52:53], v53, v[52:53]
	v_lshrrev_b32_e32 v54, 3, v34
	v_sub_u32_e32 v53, 29, v55
	v_and_b32_e32 v52, 7, v52
	v_cmp_gt_u32_e32 vcc, 8, v34
	v_cndmask_b32_e32 v34, v54, v53, vcc
	v_cndmask_b32_e32 v51, v51, v52, vcc
	v_lshlrev_b32_e32 v52, 24, v35
	v_bfrev_b32_e32 v53, 60
	v_lshlrev_b32_e32 v51, 20, v51
	v_and_b32_e32 v52, 0x80000000, v52
	v_lshl_add_u32 v34, v34, 23, v53
	v_or3_b32 v34, v52, v34, v51
	v_lshrrev_b32_e32 v51, 16, v34
.LBB855_231:
	s_or_b64 exec, exec, s[10:11]
.LBB855_232:
	s_or_b64 exec, exec, s[8:9]
.LBB855_233:
	s_or_b64 exec, exec, s[2:3]
	v_lshrrev_b16_e32 v34, 8, v35
	v_cmp_ne_u16_e32 vcc, 0, v34
	s_and_saveexec_b64 s[2:3], vcc
	s_cbranch_execz .LBB855_239
; %bb.234:
	s_movk_i32 s8, 0x80
	v_cmp_ne_u16_e32 vcc, s8, v34
	v_mov_b32_e32 v42, 0xffff8000
	s_and_saveexec_b64 s[8:9], vcc
	s_cbranch_execz .LBB855_238
; %bb.235:
	s_movk_i32 s10, 0x7f
	v_and_b32_e32 v52, 0x7f, v34
	v_cmp_ne_u32_e32 vcc, s10, v52
	v_mov_b32_e32 v42, 0x7f80
	s_and_saveexec_b64 s[10:11], vcc
	s_cbranch_execz .LBB855_237
; %bb.236:
	v_and_b32_e32 v42, 7, v34
	v_ffbh_u32_e32 v54, v42
	v_min_u32_e32 v56, 32, v54
	v_subrev_u32_e32 v54, 28, v56
	v_lshlrev_b64 v[54:55], v54, v[34:35]
	v_lshrrev_b32_e32 v53, 3, v52
	v_sub_u32_e32 v34, 29, v56
	v_and_b32_e32 v54, 7, v54
	v_cmp_gt_u32_e32 vcc, 8, v52
	v_cndmask_b32_e32 v34, v53, v34, vcc
	v_cndmask_b32_e32 v42, v42, v54, vcc
	v_lshlrev_b32_e32 v52, 16, v35
	v_bfrev_b32_e32 v53, 60
	v_lshlrev_b32_e32 v42, 20, v42
	v_and_b32_e32 v52, 0x80000000, v52
	v_lshl_add_u32 v34, v34, 23, v53
	v_or3_b32 v34, v52, v34, v42
	v_lshrrev_b32_e32 v42, 16, v34
.LBB855_237:
	s_or_b64 exec, exec, s[10:11]
.LBB855_238:
	s_or_b64 exec, exec, s[8:9]
.LBB855_239:
	s_or_b64 exec, exec, s[2:3]
	s_movk_i32 s2, 0xff
	v_and_b32_sdwa v54, v35, s2 dst_sel:DWORD dst_unused:UNUSED_PAD src0_sel:WORD_1 src1_sel:DWORD
	v_lshrrev_b32_e32 v34, 16, v35
	v_cmp_ne_u16_e32 vcc, 0, v54
	v_mov_b32_e32 v52, 0
	v_mov_b32_e32 v53, 0
	s_and_saveexec_b64 s[2:3], vcc
	s_cbranch_execz .LBB855_245
; %bb.240:
	s_movk_i32 s8, 0x80
	v_cmp_ne_u16_e32 vcc, s8, v54
	v_mov_b32_e32 v53, 0xffff8000
	s_and_saveexec_b64 s[8:9], vcc
	s_cbranch_execz .LBB855_244
; %bb.241:
	v_bfe_u32 v54, v35, 16, 7
	s_movk_i32 s10, 0x7f
	v_cmp_ne_u32_e32 vcc, s10, v54
	v_mov_b32_e32 v53, 0x7f80
	s_and_saveexec_b64 s[10:11], vcc
	s_cbranch_execz .LBB855_243
; %bb.242:
	v_and_b32_e32 v53, 7, v34
	v_ffbh_u32_e32 v56, v53
	v_min_u32_e32 v58, 32, v56
	v_subrev_u32_e32 v56, 28, v58
	v_lshlrev_b64 v[56:57], v56, v[34:35]
	v_lshrrev_b32_e32 v55, 3, v54
	v_sub_u32_e32 v34, 29, v58
	v_and_b32_e32 v56, 7, v56
	v_cmp_gt_u32_e32 vcc, 8, v54
	v_mov_b32_e32 v54, 24
	v_cndmask_b32_e32 v34, v55, v34, vcc
	v_cndmask_b32_e32 v53, v53, v56, vcc
	v_lshlrev_b32_sdwa v54, v54, v35 dst_sel:DWORD dst_unused:UNUSED_PAD src0_sel:DWORD src1_sel:WORD_1
	v_bfrev_b32_e32 v55, 60
	v_lshlrev_b32_e32 v53, 20, v53
	v_and_b32_e32 v54, 0x80000000, v54
	v_lshl_add_u32 v34, v34, 23, v55
	v_or3_b32 v34, v54, v34, v53
	v_lshrrev_b32_e32 v53, 16, v34
.LBB855_243:
	s_or_b64 exec, exec, s[10:11]
.LBB855_244:
	s_or_b64 exec, exec, s[8:9]
.LBB855_245:
	s_or_b64 exec, exec, s[2:3]
	s_mov_b32 s2, 0xffffff
	v_cmp_lt_u32_e32 vcc, s2, v35
	s_and_saveexec_b64 s[2:3], vcc
	s_cbranch_execz .LBB855_251
; %bb.246:
	v_lshrrev_b32_e32 v34, 24, v35
	s_movk_i32 s8, 0x80
	v_cmp_ne_u32_e32 vcc, s8, v34
	v_mov_b32_e32 v52, 0xffff8000
	s_and_saveexec_b64 s[8:9], vcc
	s_cbranch_execz .LBB855_250
; %bb.247:
	v_bfe_u32 v35, v35, 24, 7
	s_movk_i32 s10, 0x7f
	v_cmp_ne_u32_e32 vcc, s10, v35
	v_mov_b32_e32 v52, 0x7f80
	s_and_saveexec_b64 s[10:11], vcc
	s_cbranch_execz .LBB855_249
; %bb.248:
	v_and_b32_e32 v52, 7, v34
	v_ffbh_u32_e32 v54, v52
	v_min_u32_e32 v57, 32, v54
	v_subrev_u32_e32 v54, 28, v57
	v_lshlrev_b64 v[54:55], v54, v[34:35]
	v_lshrrev_b32_e32 v56, 3, v35
	v_sub_u32_e32 v55, 29, v57
	v_and_b32_e32 v54, 7, v54
	v_cmp_gt_u32_e32 vcc, 8, v35
	v_cndmask_b32_e32 v35, v56, v55, vcc
	v_cndmask_b32_e32 v52, v52, v54, vcc
	v_lshlrev_b32_e32 v34, 24, v34
	v_bfrev_b32_e32 v54, 60
	v_lshlrev_b32_e32 v52, 20, v52
	v_and_b32_e32 v34, 0x80000000, v34
	v_lshl_add_u32 v35, v35, 23, v54
	v_or3_b32 v34, v34, v35, v52
	v_lshrrev_b32_e32 v52, 16, v34
.LBB855_249:
	s_or_b64 exec, exec, s[10:11]
.LBB855_250:
	s_or_b64 exec, exec, s[8:9]
.LBB855_251:
	s_or_b64 exec, exec, s[2:3]
	s_mov_b32 s2, 0x5040100
	v_perm_b32 v35, v45, v50, s2
	v_perm_b32 v34, v43, v44, s2
	;; [unrolled: 1-line block ×4, first 2 shown]
	v_mov_b32_e32 v50, 0
	v_mfma_f32_16x16x16bf16_1k v[54:57], v[34:35], v[26:27], 0
	v_mov_b32_e32 v35, 0
	v_cmp_ne_u16_sdwa s[8:9], v36, v35 src0_sel:BYTE_0 src1_sel:DWORD
	v_mfma_f32_16x16x16bf16_1k v[42:45], v[42:43], v[28:29], v[54:57]
	s_and_saveexec_b64 s[2:3], s[8:9]
	s_cbranch_execz .LBB855_257
; %bb.252:
	s_movk_i32 s8, 0x80
	v_cmp_ne_u16_sdwa s[10:11], v36, s8 src0_sel:BYTE_0 src1_sel:DWORD
	v_mov_b32_e32 v50, 0xffff8000
	s_and_saveexec_b64 s[8:9], s[10:11]
	s_cbranch_execz .LBB855_256
; %bb.253:
	s_movk_i32 s10, 0x7f
	v_and_b32_e32 v34, 0x7f, v36
	v_cmp_ne_u32_e32 vcc, s10, v34
	v_mov_b32_e32 v50, 0x7f80
	s_and_saveexec_b64 s[10:11], vcc
	s_cbranch_execz .LBB855_255
; %bb.254:
	v_and_b32_e32 v52, 7, v36
	v_ffbh_u32_e32 v50, v52
	v_min_u32_e32 v54, 32, v50
	v_subrev_u32_e32 v50, 28, v54
	v_lshlrev_b64 v[50:51], v50, v[36:37]
	v_lshrrev_b32_e32 v53, 3, v34
	v_sub_u32_e32 v51, 29, v54
	v_and_b32_e32 v50, 7, v50
	v_cmp_gt_u32_e32 vcc, 8, v34
	v_cndmask_b32_e32 v34, v53, v51, vcc
	v_cndmask_b32_e32 v50, v52, v50, vcc
	v_lshlrev_b32_e32 v51, 24, v36
	v_bfrev_b32_e32 v52, 60
	v_lshlrev_b32_e32 v50, 20, v50
	v_and_b32_e32 v51, 0x80000000, v51
	v_lshl_add_u32 v34, v34, 23, v52
	v_or3_b32 v34, v51, v34, v50
	v_lshrrev_b32_e32 v50, 16, v34
.LBB855_255:
	s_or_b64 exec, exec, s[10:11]
.LBB855_256:
	s_or_b64 exec, exec, s[8:9]
.LBB855_257:
	s_or_b64 exec, exec, s[2:3]
	v_lshrrev_b16_e32 v34, 8, v36
	v_cmp_ne_u16_e32 vcc, 0, v34
	s_and_saveexec_b64 s[2:3], vcc
	s_cbranch_execz .LBB855_263
; %bb.258:
	s_movk_i32 s8, 0x80
	v_cmp_ne_u16_e32 vcc, s8, v34
	v_mov_b32_e32 v35, 0xffff8000
	s_and_saveexec_b64 s[8:9], vcc
	s_cbranch_execz .LBB855_262
; %bb.259:
	s_movk_i32 s10, 0x7f
	v_and_b32_e32 v51, 0x7f, v34
	v_cmp_ne_u32_e32 vcc, s10, v51
	v_mov_b32_e32 v35, 0x7f80
	s_and_saveexec_b64 s[10:11], vcc
	s_cbranch_execz .LBB855_261
; %bb.260:
	v_and_b32_e32 v52, 7, v34
	v_ffbh_u32_e32 v35, v52
	v_min_u32_e32 v54, 32, v35
	v_subrev_u32_e32 v35, 28, v54
	v_lshlrev_b64 v[34:35], v35, v[34:35]
	v_lshrrev_b32_e32 v53, 3, v51
	v_sub_u32_e32 v35, 29, v54
	v_and_b32_e32 v34, 7, v34
	v_cmp_gt_u32_e32 vcc, 8, v51
	v_cndmask_b32_e32 v35, v53, v35, vcc
	v_cndmask_b32_e32 v34, v52, v34, vcc
	v_lshlrev_b32_e32 v51, 16, v36
	v_bfrev_b32_e32 v52, 60
	v_lshlrev_b32_e32 v34, 20, v34
	v_and_b32_e32 v51, 0x80000000, v51
	v_lshl_add_u32 v35, v35, 23, v52
	v_or3_b32 v34, v51, v35, v34
	v_lshrrev_b32_e32 v35, 16, v34
.LBB855_261:
	s_or_b64 exec, exec, s[10:11]
.LBB855_262:
	s_or_b64 exec, exec, s[8:9]
.LBB855_263:
	s_or_b64 exec, exec, s[2:3]
	s_movk_i32 s2, 0xff
	v_and_b32_sdwa v53, v36, s2 dst_sel:DWORD dst_unused:UNUSED_PAD src0_sel:WORD_1 src1_sel:DWORD
	v_lshrrev_b32_e32 v34, 16, v36
	v_cmp_ne_u16_e32 vcc, 0, v53
	v_mov_b32_e32 v51, 0
	v_mov_b32_e32 v52, 0
	s_and_saveexec_b64 s[2:3], vcc
	s_cbranch_execz .LBB855_269
; %bb.264:
	s_movk_i32 s8, 0x80
	v_cmp_ne_u16_e32 vcc, s8, v53
	v_mov_b32_e32 v52, 0xffff8000
	s_and_saveexec_b64 s[8:9], vcc
	s_cbranch_execz .LBB855_268
; %bb.265:
	v_bfe_u32 v53, v36, 16, 7
	s_movk_i32 s10, 0x7f
	v_cmp_ne_u32_e32 vcc, s10, v53
	v_mov_b32_e32 v52, 0x7f80
	s_and_saveexec_b64 s[10:11], vcc
	s_cbranch_execz .LBB855_267
; %bb.266:
	v_and_b32_e32 v52, 7, v34
	v_ffbh_u32_e32 v54, v52
	v_min_u32_e32 v57, 32, v54
	v_subrev_u32_e32 v54, 28, v57
	v_lshlrev_b64 v[54:55], v54, v[34:35]
	v_lshrrev_b32_e32 v56, 3, v53
	v_sub_u32_e32 v34, 29, v57
	v_and_b32_e32 v54, 7, v54
	v_cmp_gt_u32_e32 vcc, 8, v53
	v_mov_b32_e32 v53, 24
	v_cndmask_b32_e32 v34, v56, v34, vcc
	v_cndmask_b32_e32 v52, v52, v54, vcc
	v_lshlrev_b32_sdwa v53, v53, v36 dst_sel:DWORD dst_unused:UNUSED_PAD src0_sel:DWORD src1_sel:WORD_1
	v_bfrev_b32_e32 v54, 60
	v_lshlrev_b32_e32 v52, 20, v52
	v_and_b32_e32 v53, 0x80000000, v53
	v_lshl_add_u32 v34, v34, 23, v54
	v_or3_b32 v34, v53, v34, v52
	v_lshrrev_b32_e32 v52, 16, v34
.LBB855_267:
	s_or_b64 exec, exec, s[10:11]
.LBB855_268:
	s_or_b64 exec, exec, s[8:9]
.LBB855_269:
	s_or_b64 exec, exec, s[2:3]
	s_mov_b32 s2, 0xffffff
	v_cmp_lt_u32_e32 vcc, s2, v36
	s_and_saveexec_b64 s[2:3], vcc
	s_cbranch_execz .LBB855_275
; %bb.270:
	v_lshrrev_b32_e32 v34, 24, v36
	s_movk_i32 s8, 0x80
	v_cmp_ne_u32_e32 vcc, s8, v34
	v_mov_b32_e32 v51, 0xffff8000
	s_and_saveexec_b64 s[8:9], vcc
	s_cbranch_execz .LBB855_274
; %bb.271:
	v_bfe_u32 v36, v36, 24, 7
	s_movk_i32 s10, 0x7f
	v_cmp_ne_u32_e32 vcc, s10, v36
	v_mov_b32_e32 v51, 0x7f80
	s_and_saveexec_b64 s[10:11], vcc
	s_cbranch_execz .LBB855_273
; %bb.272:
	v_and_b32_e32 v51, 7, v34
	v_ffbh_u32_e32 v54, v51
	v_min_u32_e32 v56, 32, v54
	v_subrev_u32_e32 v54, 28, v56
	v_lshlrev_b64 v[54:55], v54, v[34:35]
	v_lshrrev_b32_e32 v53, 3, v36
	v_sub_u32_e32 v55, 29, v56
	v_and_b32_e32 v54, 7, v54
	v_cmp_gt_u32_e32 vcc, 8, v36
	v_cndmask_b32_e32 v36, v53, v55, vcc
	v_cndmask_b32_e32 v51, v51, v54, vcc
	v_lshlrev_b32_e32 v34, 24, v34
	v_bfrev_b32_e32 v53, 60
	v_lshlrev_b32_e32 v51, 20, v51
	v_and_b32_e32 v34, 0x80000000, v34
	v_lshl_add_u32 v36, v36, 23, v53
	v_or3_b32 v34, v34, v36, v51
	v_lshrrev_b32_e32 v51, 16, v34
.LBB855_273:
	s_or_b64 exec, exec, s[10:11]
.LBB855_274:
	s_or_b64 exec, exec, s[8:9]
.LBB855_275:
	s_or_b64 exec, exec, s[2:3]
	v_mov_b32_e32 v36, 0
	v_cmp_ne_u16_sdwa s[8:9], v37, v36 src0_sel:BYTE_0 src1_sel:DWORD
	v_mov_b32_e32 v53, 0
	s_and_saveexec_b64 s[2:3], s[8:9]
	s_cbranch_execz .LBB855_281
; %bb.276:
	s_movk_i32 s8, 0x80
	v_cmp_ne_u16_sdwa s[10:11], v37, s8 src0_sel:BYTE_0 src1_sel:DWORD
	v_mov_b32_e32 v53, 0xffff8000
	s_and_saveexec_b64 s[8:9], s[10:11]
	s_cbranch_execz .LBB855_280
; %bb.277:
	s_movk_i32 s10, 0x7f
	v_and_b32_e32 v34, 0x7f, v37
	v_cmp_ne_u32_e32 vcc, s10, v34
	v_mov_b32_e32 v53, 0x7f80
	s_and_saveexec_b64 s[10:11], vcc
	s_cbranch_execz .LBB855_279
; %bb.278:
	v_and_b32_e32 v53, 7, v37
	v_ffbh_u32_e32 v55, v53
	v_min_u32_e32 v57, 32, v55
	v_mov_b32_e32 v54, v37
	v_subrev_u32_e32 v55, 28, v57
	v_lshlrev_b64 v[54:55], v55, v[54:55]
	v_lshrrev_b32_e32 v56, 3, v34
	v_sub_u32_e32 v55, 29, v57
	v_and_b32_e32 v54, 7, v54
	v_cmp_gt_u32_e32 vcc, 8, v34
	v_cndmask_b32_e32 v34, v56, v55, vcc
	v_cndmask_b32_e32 v53, v53, v54, vcc
	v_lshlrev_b32_e32 v54, 24, v37
	v_bfrev_b32_e32 v55, 60
	v_lshlrev_b32_e32 v53, 20, v53
	v_and_b32_e32 v54, 0x80000000, v54
	v_lshl_add_u32 v34, v34, 23, v55
	v_or3_b32 v34, v54, v34, v53
	v_lshrrev_b32_e32 v53, 16, v34
.LBB855_279:
	s_or_b64 exec, exec, s[10:11]
.LBB855_280:
	s_or_b64 exec, exec, s[8:9]
.LBB855_281:
	s_or_b64 exec, exec, s[2:3]
	v_lshrrev_b16_e32 v34, 8, v37
	v_cmp_ne_u16_e32 vcc, 0, v34
	s_and_saveexec_b64 s[2:3], vcc
	s_cbranch_execz .LBB855_287
; %bb.282:
	s_movk_i32 s8, 0x80
	v_cmp_ne_u16_e32 vcc, s8, v34
	v_mov_b32_e32 v36, 0xffff8000
	s_and_saveexec_b64 s[8:9], vcc
	s_cbranch_execz .LBB855_286
; %bb.283:
	s_movk_i32 s10, 0x7f
	v_and_b32_e32 v54, 0x7f, v34
	v_cmp_ne_u32_e32 vcc, s10, v54
	v_mov_b32_e32 v36, 0x7f80
	s_and_saveexec_b64 s[10:11], vcc
	s_cbranch_execz .LBB855_285
; %bb.284:
	v_and_b32_e32 v36, 7, v34
	v_ffbh_u32_e32 v56, v36
	v_min_u32_e32 v58, 32, v56
	v_subrev_u32_e32 v56, 28, v58
	v_lshlrev_b64 v[56:57], v56, v[34:35]
	v_lshrrev_b32_e32 v55, 3, v54
	v_sub_u32_e32 v34, 29, v58
	v_and_b32_e32 v56, 7, v56
	v_cmp_gt_u32_e32 vcc, 8, v54
	v_cndmask_b32_e32 v34, v55, v34, vcc
	v_cndmask_b32_e32 v36, v36, v56, vcc
	v_lshlrev_b32_e32 v54, 16, v37
	v_bfrev_b32_e32 v55, 60
	v_lshlrev_b32_e32 v36, 20, v36
	v_and_b32_e32 v54, 0x80000000, v54
	v_lshl_add_u32 v34, v34, 23, v55
	v_or3_b32 v34, v54, v34, v36
	v_lshrrev_b32_e32 v36, 16, v34
.LBB855_285:
	s_or_b64 exec, exec, s[10:11]
.LBB855_286:
	s_or_b64 exec, exec, s[8:9]
.LBB855_287:
	s_or_b64 exec, exec, s[2:3]
	s_movk_i32 s2, 0xff
	v_and_b32_sdwa v56, v37, s2 dst_sel:DWORD dst_unused:UNUSED_PAD src0_sel:WORD_1 src1_sel:DWORD
	v_lshrrev_b32_e32 v34, 16, v37
	v_cmp_ne_u16_e32 vcc, 0, v56
	v_mov_b32_e32 v54, 0
	v_mov_b32_e32 v55, 0
	s_and_saveexec_b64 s[2:3], vcc
	s_cbranch_execz .LBB855_293
; %bb.288:
	s_movk_i32 s8, 0x80
	v_cmp_ne_u16_e32 vcc, s8, v56
	v_mov_b32_e32 v55, 0xffff8000
	s_and_saveexec_b64 s[8:9], vcc
	s_cbranch_execz .LBB855_292
; %bb.289:
	v_bfe_u32 v56, v37, 16, 7
	s_movk_i32 s10, 0x7f
	v_cmp_ne_u32_e32 vcc, s10, v56
	v_mov_b32_e32 v55, 0x7f80
	s_and_saveexec_b64 s[10:11], vcc
	s_cbranch_execz .LBB855_291
; %bb.290:
	v_and_b32_e32 v55, 7, v34
	v_ffbh_u32_e32 v58, v55
	v_min_u32_e32 v60, 32, v58
	v_subrev_u32_e32 v58, 28, v60
	v_lshlrev_b64 v[58:59], v58, v[34:35]
	v_lshrrev_b32_e32 v57, 3, v56
	v_sub_u32_e32 v34, 29, v60
	v_and_b32_e32 v58, 7, v58
	v_cmp_gt_u32_e32 vcc, 8, v56
	v_mov_b32_e32 v56, 24
	v_cndmask_b32_e32 v34, v57, v34, vcc
	v_cndmask_b32_e32 v55, v55, v58, vcc
	v_lshlrev_b32_sdwa v56, v56, v37 dst_sel:DWORD dst_unused:UNUSED_PAD src0_sel:DWORD src1_sel:WORD_1
	v_bfrev_b32_e32 v57, 60
	v_lshlrev_b32_e32 v55, 20, v55
	v_and_b32_e32 v56, 0x80000000, v56
	v_lshl_add_u32 v34, v34, 23, v57
	v_or3_b32 v34, v56, v34, v55
	v_lshrrev_b32_e32 v55, 16, v34
.LBB855_291:
	s_or_b64 exec, exec, s[10:11]
.LBB855_292:
	s_or_b64 exec, exec, s[8:9]
.LBB855_293:
	s_or_b64 exec, exec, s[2:3]
	s_mov_b32 s2, 0xffffff
	v_cmp_lt_u32_e32 vcc, s2, v37
	s_and_saveexec_b64 s[2:3], vcc
	s_cbranch_execz .LBB855_299
; %bb.294:
	v_lshrrev_b32_e32 v34, 24, v37
	s_movk_i32 s8, 0x80
	v_cmp_ne_u32_e32 vcc, s8, v34
	v_mov_b32_e32 v54, 0xffff8000
	s_and_saveexec_b64 s[8:9], vcc
	s_cbranch_execz .LBB855_298
; %bb.295:
	v_bfe_u32 v37, v37, 24, 7
	s_movk_i32 s10, 0x7f
	v_cmp_ne_u32_e32 vcc, s10, v37
	v_mov_b32_e32 v54, 0x7f80
	s_and_saveexec_b64 s[10:11], vcc
	s_cbranch_execz .LBB855_297
; %bb.296:
	v_and_b32_e32 v54, 7, v34
	v_ffbh_u32_e32 v56, v54
	v_min_u32_e32 v59, 32, v56
	v_subrev_u32_e32 v56, 28, v59
	v_lshlrev_b64 v[56:57], v56, v[34:35]
	v_lshrrev_b32_e32 v58, 3, v37
	v_sub_u32_e32 v57, 29, v59
	v_and_b32_e32 v56, 7, v56
	v_cmp_gt_u32_e32 vcc, 8, v37
	v_cndmask_b32_e32 v37, v58, v57, vcc
	v_cndmask_b32_e32 v54, v54, v56, vcc
	v_lshlrev_b32_e32 v34, 24, v34
	v_bfrev_b32_e32 v56, 60
	v_lshlrev_b32_e32 v54, 20, v54
	v_and_b32_e32 v34, 0x80000000, v34
	v_lshl_add_u32 v37, v37, 23, v56
	v_or3_b32 v34, v34, v37, v54
	v_lshrrev_b32_e32 v54, 16, v34
.LBB855_297:
	s_or_b64 exec, exec, s[10:11]
.LBB855_298:
	s_or_b64 exec, exec, s[8:9]
.LBB855_299:
	s_or_b64 exec, exec, s[2:3]
	s_mov_b32 s2, 0x5040100
	v_perm_b32 v51, v51, v52, s2
	v_perm_b32 v50, v35, v50, s2
	;; [unrolled: 1-line block ×4, first 2 shown]
	v_mfma_f32_16x16x16bf16_1k v[56:59], v[50:51], v[18:19], v[42:45]
	s_nop 6
	v_mov_b32_e32 v43, 0
	s_waitcnt vmcnt(4)
	v_cmp_ne_u16_sdwa s[8:9], v22, v43 src0_sel:BYTE_0 src1_sel:DWORD
	v_mfma_f32_16x16x16bf16_1k v[34:37], v[34:35], v[20:21], v[56:59]
	v_mov_b32_e32 v44, 0
	s_and_saveexec_b64 s[2:3], s[8:9]
	s_cbranch_execz .LBB855_305
; %bb.300:
	s_movk_i32 s8, 0x80
	v_cmp_ne_u16_sdwa s[10:11], v22, s8 src0_sel:BYTE_0 src1_sel:DWORD
	v_mov_b32_e32 v44, 0xffff8000
	s_and_saveexec_b64 s[8:9], s[10:11]
	s_cbranch_execz .LBB855_304
; %bb.301:
	s_movk_i32 s10, 0x7f
	v_and_b32_e32 v42, 0x7f, v22
	v_cmp_ne_u32_e32 vcc, s10, v42
	v_mov_b32_e32 v44, 0x7f80
	s_and_saveexec_b64 s[10:11], vcc
	s_cbranch_execz .LBB855_303
; %bb.302:
	v_and_b32_e32 v50, 7, v22
	v_ffbh_u32_e32 v44, v50
	v_min_u32_e32 v52, 32, v44
	v_subrev_u32_e32 v44, 28, v52
	v_lshlrev_b64 v[44:45], v44, v[22:23]
	v_lshrrev_b32_e32 v51, 3, v42
	v_sub_u32_e32 v45, 29, v52
	v_and_b32_e32 v44, 7, v44
	v_cmp_gt_u32_e32 vcc, 8, v42
	v_cndmask_b32_e32 v42, v51, v45, vcc
	v_cndmask_b32_e32 v44, v50, v44, vcc
	v_lshlrev_b32_e32 v45, 24, v22
	v_bfrev_b32_e32 v50, 60
	v_lshlrev_b32_e32 v44, 20, v44
	v_and_b32_e32 v45, 0x80000000, v45
	v_lshl_add_u32 v42, v42, 23, v50
	v_or3_b32 v42, v45, v42, v44
	v_lshrrev_b32_e32 v44, 16, v42
.LBB855_303:
	s_or_b64 exec, exec, s[10:11]
.LBB855_304:
	s_or_b64 exec, exec, s[8:9]
.LBB855_305:
	s_or_b64 exec, exec, s[2:3]
	v_lshrrev_b16_e32 v42, 8, v22
	v_cmp_ne_u16_e32 vcc, 0, v42
	s_and_saveexec_b64 s[2:3], vcc
	s_cbranch_execz .LBB855_311
; %bb.306:
	s_movk_i32 s8, 0x80
	v_cmp_ne_u16_e32 vcc, s8, v42
	v_mov_b32_e32 v43, 0xffff8000
	s_and_saveexec_b64 s[8:9], vcc
	s_cbranch_execz .LBB855_310
; %bb.307:
	s_movk_i32 s10, 0x7f
	v_and_b32_e32 v45, 0x7f, v42
	v_cmp_ne_u32_e32 vcc, s10, v45
	v_mov_b32_e32 v43, 0x7f80
	s_and_saveexec_b64 s[10:11], vcc
	s_cbranch_execz .LBB855_309
; %bb.308:
	v_and_b32_e32 v50, 7, v42
	v_ffbh_u32_e32 v43, v50
	v_min_u32_e32 v52, 32, v43
	v_subrev_u32_e32 v43, 28, v52
	v_lshlrev_b64 v[42:43], v43, v[42:43]
	v_lshrrev_b32_e32 v51, 3, v45
	v_sub_u32_e32 v43, 29, v52
	v_and_b32_e32 v42, 7, v42
	v_cmp_gt_u32_e32 vcc, 8, v45
	v_cndmask_b32_e32 v43, v51, v43, vcc
	v_cndmask_b32_e32 v42, v50, v42, vcc
	v_lshlrev_b32_e32 v45, 16, v22
	v_bfrev_b32_e32 v50, 60
	v_lshlrev_b32_e32 v42, 20, v42
	v_and_b32_e32 v45, 0x80000000, v45
	v_lshl_add_u32 v43, v43, 23, v50
	v_or3_b32 v42, v45, v43, v42
	v_lshrrev_b32_e32 v43, 16, v42
.LBB855_309:
	s_or_b64 exec, exec, s[10:11]
.LBB855_310:
	s_or_b64 exec, exec, s[8:9]
.LBB855_311:
	s_or_b64 exec, exec, s[2:3]
	s_movk_i32 s2, 0xff
	v_and_b32_sdwa v51, v22, s2 dst_sel:DWORD dst_unused:UNUSED_PAD src0_sel:WORD_1 src1_sel:DWORD
	v_lshrrev_b32_e32 v42, 16, v22
	v_cmp_ne_u16_e32 vcc, 0, v51
	v_mov_b32_e32 v45, 0
	v_mov_b32_e32 v50, 0
	s_and_saveexec_b64 s[2:3], vcc
	s_cbranch_execz .LBB855_317
; %bb.312:
	s_movk_i32 s8, 0x80
	v_cmp_ne_u16_e32 vcc, s8, v51
	v_mov_b32_e32 v50, 0xffff8000
	s_and_saveexec_b64 s[8:9], vcc
	s_cbranch_execz .LBB855_316
; %bb.313:
	v_bfe_u32 v51, v22, 16, 7
	s_movk_i32 s10, 0x7f
	v_cmp_ne_u32_e32 vcc, s10, v51
	v_mov_b32_e32 v50, 0x7f80
	s_and_saveexec_b64 s[10:11], vcc
	s_cbranch_execz .LBB855_315
; %bb.314:
	v_and_b32_e32 v50, 7, v42
	v_ffbh_u32_e32 v52, v50
	v_min_u32_e32 v55, 32, v52
	v_subrev_u32_e32 v52, 28, v55
	v_lshlrev_b64 v[52:53], v52, v[42:43]
	v_lshrrev_b32_e32 v54, 3, v51
	v_sub_u32_e32 v42, 29, v55
	v_and_b32_e32 v52, 7, v52
	v_cmp_gt_u32_e32 vcc, 8, v51
	v_mov_b32_e32 v51, 24
	v_cndmask_b32_e32 v42, v54, v42, vcc
	v_cndmask_b32_e32 v50, v50, v52, vcc
	v_lshlrev_b32_sdwa v51, v51, v22 dst_sel:DWORD dst_unused:UNUSED_PAD src0_sel:DWORD src1_sel:WORD_1
	v_bfrev_b32_e32 v52, 60
	v_lshlrev_b32_e32 v50, 20, v50
	v_and_b32_e32 v51, 0x80000000, v51
	v_lshl_add_u32 v42, v42, 23, v52
	v_or3_b32 v42, v51, v42, v50
	v_lshrrev_b32_e32 v50, 16, v42
.LBB855_315:
	s_or_b64 exec, exec, s[10:11]
.LBB855_316:
	s_or_b64 exec, exec, s[8:9]
.LBB855_317:
	s_or_b64 exec, exec, s[2:3]
	s_mov_b32 s2, 0xffffff
	v_cmp_lt_u32_e32 vcc, s2, v22
	s_and_saveexec_b64 s[2:3], vcc
	s_cbranch_execz .LBB855_323
; %bb.318:
	v_lshrrev_b32_e32 v42, 24, v22
	s_movk_i32 s8, 0x80
	v_cmp_ne_u32_e32 vcc, s8, v42
	v_mov_b32_e32 v45, 0xffff8000
	s_and_saveexec_b64 s[8:9], vcc
	s_cbranch_execz .LBB855_322
; %bb.319:
	v_bfe_u32 v22, v22, 24, 7
	s_movk_i32 s10, 0x7f
	v_cmp_ne_u32_e32 vcc, s10, v22
	v_mov_b32_e32 v45, 0x7f80
	s_and_saveexec_b64 s[10:11], vcc
	s_cbranch_execz .LBB855_321
; %bb.320:
	v_and_b32_e32 v45, 7, v42
	v_ffbh_u32_e32 v52, v45
	v_min_u32_e32 v54, 32, v52
	v_subrev_u32_e32 v52, 28, v54
	v_lshlrev_b64 v[52:53], v52, v[42:43]
	v_lshrrev_b32_e32 v51, 3, v22
	v_sub_u32_e32 v53, 29, v54
	v_and_b32_e32 v52, 7, v52
	v_cmp_gt_u32_e32 vcc, 8, v22
	v_cndmask_b32_e32 v22, v51, v53, vcc
	v_cndmask_b32_e32 v45, v45, v52, vcc
	v_lshlrev_b32_e32 v42, 24, v42
	v_bfrev_b32_e32 v51, 60
	v_lshlrev_b32_e32 v45, 20, v45
	v_and_b32_e32 v42, 0x80000000, v42
	v_lshl_add_u32 v22, v22, 23, v51
	v_or3_b32 v22, v42, v22, v45
	v_lshrrev_b32_e32 v45, 16, v22
.LBB855_321:
	s_or_b64 exec, exec, s[10:11]
.LBB855_322:
	s_or_b64 exec, exec, s[8:9]
.LBB855_323:
	s_or_b64 exec, exec, s[2:3]
	v_mov_b32_e32 v42, 0
	v_cmp_ne_u16_sdwa s[8:9], v23, v42 src0_sel:BYTE_0 src1_sel:DWORD
	v_mov_b32_e32 v51, 0
	s_and_saveexec_b64 s[2:3], s[8:9]
	s_cbranch_execz .LBB855_329
; %bb.324:
	s_movk_i32 s8, 0x80
	v_cmp_ne_u16_sdwa s[10:11], v23, s8 src0_sel:BYTE_0 src1_sel:DWORD
	v_mov_b32_e32 v51, 0xffff8000
	s_and_saveexec_b64 s[8:9], s[10:11]
	s_cbranch_execz .LBB855_328
; %bb.325:
	s_movk_i32 s10, 0x7f
	v_and_b32_e32 v22, 0x7f, v23
	v_cmp_ne_u32_e32 vcc, s10, v22
	v_mov_b32_e32 v51, 0x7f80
	s_and_saveexec_b64 s[10:11], vcc
	s_cbranch_execz .LBB855_327
; %bb.326:
	v_and_b32_e32 v51, 7, v23
	v_ffbh_u32_e32 v53, v51
	v_min_u32_e32 v55, 32, v53
	v_mov_b32_e32 v52, v23
	v_subrev_u32_e32 v53, 28, v55
	v_lshlrev_b64 v[52:53], v53, v[52:53]
	v_lshrrev_b32_e32 v54, 3, v22
	v_sub_u32_e32 v53, 29, v55
	v_and_b32_e32 v52, 7, v52
	v_cmp_gt_u32_e32 vcc, 8, v22
	v_cndmask_b32_e32 v22, v54, v53, vcc
	v_cndmask_b32_e32 v51, v51, v52, vcc
	v_lshlrev_b32_e32 v52, 24, v23
	v_bfrev_b32_e32 v53, 60
	v_lshlrev_b32_e32 v51, 20, v51
	v_and_b32_e32 v52, 0x80000000, v52
	v_lshl_add_u32 v22, v22, 23, v53
	v_or3_b32 v22, v52, v22, v51
	v_lshrrev_b32_e32 v51, 16, v22
.LBB855_327:
	s_or_b64 exec, exec, s[10:11]
.LBB855_328:
	s_or_b64 exec, exec, s[8:9]
.LBB855_329:
	s_or_b64 exec, exec, s[2:3]
	v_lshrrev_b16_e32 v22, 8, v23
	v_cmp_ne_u16_e32 vcc, 0, v22
	s_and_saveexec_b64 s[2:3], vcc
	s_cbranch_execz .LBB855_335
; %bb.330:
	s_movk_i32 s8, 0x80
	v_cmp_ne_u16_e32 vcc, s8, v22
	v_mov_b32_e32 v42, 0xffff8000
	s_and_saveexec_b64 s[8:9], vcc
	s_cbranch_execz .LBB855_334
; %bb.331:
	s_movk_i32 s10, 0x7f
	v_and_b32_e32 v52, 0x7f, v22
	v_cmp_ne_u32_e32 vcc, s10, v52
	v_mov_b32_e32 v42, 0x7f80
	s_and_saveexec_b64 s[10:11], vcc
	s_cbranch_execz .LBB855_333
; %bb.332:
	v_and_b32_e32 v42, 7, v22
	v_ffbh_u32_e32 v54, v42
	v_min_u32_e32 v56, 32, v54
	v_subrev_u32_e32 v54, 28, v56
	v_lshlrev_b64 v[54:55], v54, v[22:23]
	v_lshrrev_b32_e32 v53, 3, v52
	v_sub_u32_e32 v22, 29, v56
	v_and_b32_e32 v54, 7, v54
	v_cmp_gt_u32_e32 vcc, 8, v52
	v_cndmask_b32_e32 v22, v53, v22, vcc
	v_cndmask_b32_e32 v42, v42, v54, vcc
	v_lshlrev_b32_e32 v52, 16, v23
	v_bfrev_b32_e32 v53, 60
	v_lshlrev_b32_e32 v42, 20, v42
	v_and_b32_e32 v52, 0x80000000, v52
	v_lshl_add_u32 v22, v22, 23, v53
	v_or3_b32 v22, v52, v22, v42
	v_lshrrev_b32_e32 v42, 16, v22
.LBB855_333:
	s_or_b64 exec, exec, s[10:11]
.LBB855_334:
	s_or_b64 exec, exec, s[8:9]
.LBB855_335:
	s_or_b64 exec, exec, s[2:3]
	s_movk_i32 s2, 0xff
	v_and_b32_sdwa v54, v23, s2 dst_sel:DWORD dst_unused:UNUSED_PAD src0_sel:WORD_1 src1_sel:DWORD
	v_lshrrev_b32_e32 v22, 16, v23
	v_cmp_ne_u16_e32 vcc, 0, v54
	v_mov_b32_e32 v52, 0
	v_mov_b32_e32 v53, 0
	s_and_saveexec_b64 s[2:3], vcc
	s_cbranch_execz .LBB855_341
; %bb.336:
	s_movk_i32 s8, 0x80
	v_cmp_ne_u16_e32 vcc, s8, v54
	v_mov_b32_e32 v53, 0xffff8000
	s_and_saveexec_b64 s[8:9], vcc
	s_cbranch_execz .LBB855_340
; %bb.337:
	v_bfe_u32 v54, v23, 16, 7
	s_movk_i32 s10, 0x7f
	v_cmp_ne_u32_e32 vcc, s10, v54
	v_mov_b32_e32 v53, 0x7f80
	s_and_saveexec_b64 s[10:11], vcc
	s_cbranch_execz .LBB855_339
; %bb.338:
	v_and_b32_e32 v53, 7, v22
	v_ffbh_u32_e32 v56, v53
	v_min_u32_e32 v58, 32, v56
	v_subrev_u32_e32 v56, 28, v58
	v_lshlrev_b64 v[56:57], v56, v[22:23]
	v_lshrrev_b32_e32 v55, 3, v54
	v_sub_u32_e32 v22, 29, v58
	v_and_b32_e32 v56, 7, v56
	v_cmp_gt_u32_e32 vcc, 8, v54
	v_mov_b32_e32 v54, 24
	v_cndmask_b32_e32 v22, v55, v22, vcc
	v_cndmask_b32_e32 v53, v53, v56, vcc
	v_lshlrev_b32_sdwa v54, v54, v23 dst_sel:DWORD dst_unused:UNUSED_PAD src0_sel:DWORD src1_sel:WORD_1
	v_bfrev_b32_e32 v55, 60
	v_lshlrev_b32_e32 v53, 20, v53
	v_and_b32_e32 v54, 0x80000000, v54
	v_lshl_add_u32 v22, v22, 23, v55
	v_or3_b32 v22, v54, v22, v53
	v_lshrrev_b32_e32 v53, 16, v22
.LBB855_339:
	s_or_b64 exec, exec, s[10:11]
.LBB855_340:
	s_or_b64 exec, exec, s[8:9]
.LBB855_341:
	s_or_b64 exec, exec, s[2:3]
	s_mov_b32 s2, 0xffffff
	v_cmp_lt_u32_e32 vcc, s2, v23
	s_and_saveexec_b64 s[2:3], vcc
	s_cbranch_execz .LBB855_347
; %bb.342:
	v_lshrrev_b32_e32 v22, 24, v23
	s_movk_i32 s8, 0x80
	v_cmp_ne_u32_e32 vcc, s8, v22
	v_mov_b32_e32 v52, 0xffff8000
	s_and_saveexec_b64 s[8:9], vcc
	s_cbranch_execz .LBB855_346
; %bb.343:
	v_bfe_u32 v23, v23, 24, 7
	s_movk_i32 s10, 0x7f
	v_cmp_ne_u32_e32 vcc, s10, v23
	v_mov_b32_e32 v52, 0x7f80
	s_and_saveexec_b64 s[10:11], vcc
	s_cbranch_execz .LBB855_345
; %bb.344:
	v_and_b32_e32 v52, 7, v22
	v_ffbh_u32_e32 v54, v52
	v_min_u32_e32 v57, 32, v54
	v_subrev_u32_e32 v54, 28, v57
	v_lshlrev_b64 v[54:55], v54, v[22:23]
	v_lshrrev_b32_e32 v56, 3, v23
	v_sub_u32_e32 v55, 29, v57
	v_and_b32_e32 v54, 7, v54
	v_cmp_gt_u32_e32 vcc, 8, v23
	v_cndmask_b32_e32 v23, v56, v55, vcc
	v_cndmask_b32_e32 v52, v52, v54, vcc
	v_lshlrev_b32_e32 v22, 24, v22
	v_bfrev_b32_e32 v54, 60
	v_lshlrev_b32_e32 v52, 20, v52
	v_and_b32_e32 v22, 0x80000000, v22
	v_lshl_add_u32 v23, v23, 23, v54
	v_or3_b32 v22, v22, v23, v52
	v_lshrrev_b32_e32 v52, 16, v22
.LBB855_345:
	s_or_b64 exec, exec, s[10:11]
.LBB855_346:
	s_or_b64 exec, exec, s[8:9]
.LBB855_347:
	s_or_b64 exec, exec, s[2:3]
	s_mov_b32 s2, 0x5040100
	v_perm_b32 v23, v45, v50, s2
	v_perm_b32 v22, v43, v44, s2
	s_nop 1
	v_mfma_f32_16x16x16bf16_1k v[54:57], v[22:23], v[26:27], 0
	v_perm_b32 v27, v52, v53, s2
	v_perm_b32 v26, v42, v51, s2
	v_mov_b32_e32 v23, 0
	v_cmp_ne_u16_sdwa s[8:9], v24, v23 src0_sel:BYTE_0 src1_sel:DWORD
	v_mov_b32_e32 v42, 0
	v_mfma_f32_16x16x16bf16_1k v[26:29], v[26:27], v[28:29], v[54:57]
	s_and_saveexec_b64 s[2:3], s[8:9]
	s_cbranch_execz .LBB855_353
; %bb.348:
	s_movk_i32 s8, 0x80
	v_cmp_ne_u16_sdwa s[10:11], v24, s8 src0_sel:BYTE_0 src1_sel:DWORD
	v_mov_b32_e32 v42, 0xffff8000
	s_and_saveexec_b64 s[8:9], s[10:11]
	s_cbranch_execz .LBB855_352
; %bb.349:
	s_movk_i32 s10, 0x7f
	v_and_b32_e32 v22, 0x7f, v24
	v_cmp_ne_u32_e32 vcc, s10, v22
	v_mov_b32_e32 v42, 0x7f80
	s_and_saveexec_b64 s[10:11], vcc
	s_cbranch_execz .LBB855_351
; %bb.350:
	v_and_b32_e32 v44, 7, v24
	v_ffbh_u32_e32 v42, v44
	v_min_u32_e32 v50, 32, v42
	v_subrev_u32_e32 v42, 28, v50
	v_lshlrev_b64 v[42:43], v42, v[24:25]
	v_lshrrev_b32_e32 v45, 3, v22
	v_sub_u32_e32 v43, 29, v50
	v_and_b32_e32 v42, 7, v42
	v_cmp_gt_u32_e32 vcc, 8, v22
	v_cndmask_b32_e32 v22, v45, v43, vcc
	v_cndmask_b32_e32 v42, v44, v42, vcc
	v_lshlrev_b32_e32 v43, 24, v24
	v_bfrev_b32_e32 v44, 60
	v_lshlrev_b32_e32 v42, 20, v42
	v_and_b32_e32 v43, 0x80000000, v43
	v_lshl_add_u32 v22, v22, 23, v44
	v_or3_b32 v22, v43, v22, v42
	v_lshrrev_b32_e32 v42, 16, v22
.LBB855_351:
	s_or_b64 exec, exec, s[10:11]
.LBB855_352:
	s_or_b64 exec, exec, s[8:9]
.LBB855_353:
	s_or_b64 exec, exec, s[2:3]
	v_lshrrev_b16_e32 v22, 8, v24
	v_cmp_ne_u16_e32 vcc, 0, v22
	s_and_saveexec_b64 s[2:3], vcc
	s_cbranch_execz .LBB855_359
; %bb.354:
	s_movk_i32 s8, 0x80
	v_cmp_ne_u16_e32 vcc, s8, v22
	v_mov_b32_e32 v23, 0xffff8000
	s_and_saveexec_b64 s[8:9], vcc
	s_cbranch_execz .LBB855_358
; %bb.355:
	s_movk_i32 s10, 0x7f
	v_and_b32_e32 v43, 0x7f, v22
	v_cmp_ne_u32_e32 vcc, s10, v43
	v_mov_b32_e32 v23, 0x7f80
	s_and_saveexec_b64 s[10:11], vcc
	s_cbranch_execz .LBB855_357
; %bb.356:
	v_and_b32_e32 v44, 7, v22
	v_ffbh_u32_e32 v23, v44
	v_min_u32_e32 v50, 32, v23
	v_subrev_u32_e32 v23, 28, v50
	v_lshlrev_b64 v[22:23], v23, v[22:23]
	v_lshrrev_b32_e32 v45, 3, v43
	v_sub_u32_e32 v23, 29, v50
	v_and_b32_e32 v22, 7, v22
	v_cmp_gt_u32_e32 vcc, 8, v43
	v_cndmask_b32_e32 v23, v45, v23, vcc
	v_cndmask_b32_e32 v22, v44, v22, vcc
	v_lshlrev_b32_e32 v43, 16, v24
	v_bfrev_b32_e32 v44, 60
	v_lshlrev_b32_e32 v22, 20, v22
	v_and_b32_e32 v43, 0x80000000, v43
	v_lshl_add_u32 v23, v23, 23, v44
	v_or3_b32 v22, v43, v23, v22
	v_lshrrev_b32_e32 v23, 16, v22
.LBB855_357:
	s_or_b64 exec, exec, s[10:11]
.LBB855_358:
	s_or_b64 exec, exec, s[8:9]
.LBB855_359:
	s_or_b64 exec, exec, s[2:3]
	s_movk_i32 s2, 0xff
	v_and_b32_sdwa v45, v24, s2 dst_sel:DWORD dst_unused:UNUSED_PAD src0_sel:WORD_1 src1_sel:DWORD
	v_lshrrev_b32_e32 v22, 16, v24
	v_cmp_ne_u16_e32 vcc, 0, v45
	v_mov_b32_e32 v43, 0
	v_mov_b32_e32 v44, 0
	s_and_saveexec_b64 s[2:3], vcc
	s_cbranch_execz .LBB855_365
; %bb.360:
	s_movk_i32 s8, 0x80
	v_cmp_ne_u16_e32 vcc, s8, v45
	v_mov_b32_e32 v44, 0xffff8000
	s_and_saveexec_b64 s[8:9], vcc
	s_cbranch_execz .LBB855_364
; %bb.361:
	v_bfe_u32 v45, v24, 16, 7
	s_movk_i32 s10, 0x7f
	v_cmp_ne_u32_e32 vcc, s10, v45
	v_mov_b32_e32 v44, 0x7f80
	s_and_saveexec_b64 s[10:11], vcc
	s_cbranch_execz .LBB855_363
; %bb.362:
	v_and_b32_e32 v44, 7, v22
	v_ffbh_u32_e32 v50, v44
	v_min_u32_e32 v53, 32, v50
	v_subrev_u32_e32 v50, 28, v53
	v_lshlrev_b64 v[50:51], v50, v[22:23]
	v_lshrrev_b32_e32 v52, 3, v45
	v_sub_u32_e32 v22, 29, v53
	v_and_b32_e32 v50, 7, v50
	v_cmp_gt_u32_e32 vcc, 8, v45
	v_mov_b32_e32 v45, 24
	v_cndmask_b32_e32 v22, v52, v22, vcc
	v_cndmask_b32_e32 v44, v44, v50, vcc
	v_lshlrev_b32_sdwa v45, v45, v24 dst_sel:DWORD dst_unused:UNUSED_PAD src0_sel:DWORD src1_sel:WORD_1
	v_bfrev_b32_e32 v50, 60
	v_lshlrev_b32_e32 v44, 20, v44
	v_and_b32_e32 v45, 0x80000000, v45
	v_lshl_add_u32 v22, v22, 23, v50
	v_or3_b32 v22, v45, v22, v44
	v_lshrrev_b32_e32 v44, 16, v22
.LBB855_363:
	s_or_b64 exec, exec, s[10:11]
.LBB855_364:
	s_or_b64 exec, exec, s[8:9]
.LBB855_365:
	s_or_b64 exec, exec, s[2:3]
	s_mov_b32 s2, 0xffffff
	v_cmp_lt_u32_e32 vcc, s2, v24
	s_and_saveexec_b64 s[2:3], vcc
	s_cbranch_execz .LBB855_371
; %bb.366:
	v_lshrrev_b32_e32 v22, 24, v24
	s_movk_i32 s8, 0x80
	v_cmp_ne_u32_e32 vcc, s8, v22
	v_mov_b32_e32 v43, 0xffff8000
	s_and_saveexec_b64 s[8:9], vcc
	s_cbranch_execz .LBB855_370
; %bb.367:
	v_bfe_u32 v24, v24, 24, 7
	s_movk_i32 s10, 0x7f
	v_cmp_ne_u32_e32 vcc, s10, v24
	v_mov_b32_e32 v43, 0x7f80
	s_and_saveexec_b64 s[10:11], vcc
	s_cbranch_execz .LBB855_369
; %bb.368:
	v_and_b32_e32 v43, 7, v22
	v_ffbh_u32_e32 v50, v43
	v_min_u32_e32 v52, 32, v50
	v_subrev_u32_e32 v50, 28, v52
	v_lshlrev_b64 v[50:51], v50, v[22:23]
	v_lshrrev_b32_e32 v45, 3, v24
	v_sub_u32_e32 v51, 29, v52
	v_and_b32_e32 v50, 7, v50
	v_cmp_gt_u32_e32 vcc, 8, v24
	v_cndmask_b32_e32 v24, v45, v51, vcc
	v_cndmask_b32_e32 v43, v43, v50, vcc
	v_lshlrev_b32_e32 v22, 24, v22
	v_bfrev_b32_e32 v45, 60
	v_lshlrev_b32_e32 v43, 20, v43
	v_and_b32_e32 v22, 0x80000000, v22
	v_lshl_add_u32 v24, v24, 23, v45
	v_or3_b32 v22, v22, v24, v43
	v_lshrrev_b32_e32 v43, 16, v22
.LBB855_369:
	s_or_b64 exec, exec, s[10:11]
.LBB855_370:
	s_or_b64 exec, exec, s[8:9]
.LBB855_371:
	s_or_b64 exec, exec, s[2:3]
	v_mov_b32_e32 v24, 0
	v_cmp_ne_u16_sdwa s[8:9], v25, v24 src0_sel:BYTE_0 src1_sel:DWORD
	v_mov_b32_e32 v50, 0
	s_and_saveexec_b64 s[2:3], s[8:9]
	s_cbranch_execz .LBB855_377
; %bb.372:
	s_movk_i32 s8, 0x80
	v_cmp_ne_u16_sdwa s[10:11], v25, s8 src0_sel:BYTE_0 src1_sel:DWORD
	v_mov_b32_e32 v50, 0xffff8000
	s_and_saveexec_b64 s[8:9], s[10:11]
	s_cbranch_execz .LBB855_376
; %bb.373:
	s_movk_i32 s10, 0x7f
	v_and_b32_e32 v22, 0x7f, v25
	v_cmp_ne_u32_e32 vcc, s10, v22
	v_mov_b32_e32 v50, 0x7f80
	s_and_saveexec_b64 s[10:11], vcc
	s_cbranch_execz .LBB855_375
; %bb.374:
	v_and_b32_e32 v45, 7, v25
	v_ffbh_u32_e32 v51, v45
	v_min_u32_e32 v53, 32, v51
	v_mov_b32_e32 v50, v25
	v_subrev_u32_e32 v51, 28, v53
	v_lshlrev_b64 v[50:51], v51, v[50:51]
	v_lshrrev_b32_e32 v52, 3, v22
	v_sub_u32_e32 v51, 29, v53
	v_and_b32_e32 v50, 7, v50
	v_cmp_gt_u32_e32 vcc, 8, v22
	v_cndmask_b32_e32 v22, v52, v51, vcc
	v_cndmask_b32_e32 v45, v45, v50, vcc
	v_lshlrev_b32_e32 v50, 24, v25
	v_bfrev_b32_e32 v51, 60
	v_lshlrev_b32_e32 v45, 20, v45
	v_and_b32_e32 v50, 0x80000000, v50
	v_lshl_add_u32 v22, v22, 23, v51
	v_or3_b32 v22, v50, v22, v45
	v_lshrrev_b32_e32 v50, 16, v22
.LBB855_375:
	s_or_b64 exec, exec, s[10:11]
.LBB855_376:
	s_or_b64 exec, exec, s[8:9]
.LBB855_377:
	s_or_b64 exec, exec, s[2:3]
	v_lshrrev_b16_e32 v22, 8, v25
	v_cmp_ne_u16_e32 vcc, 0, v22
	s_and_saveexec_b64 s[2:3], vcc
	s_cbranch_execz .LBB855_383
; %bb.378:
	s_movk_i32 s8, 0x80
	v_cmp_ne_u16_e32 vcc, s8, v22
	v_mov_b32_e32 v24, 0xffff8000
	s_and_saveexec_b64 s[8:9], vcc
	s_cbranch_execz .LBB855_382
; %bb.379:
	s_movk_i32 s10, 0x7f
	v_and_b32_e32 v45, 0x7f, v22
	v_cmp_ne_u32_e32 vcc, s10, v45
	v_mov_b32_e32 v24, 0x7f80
	s_and_saveexec_b64 s[10:11], vcc
	s_cbranch_execz .LBB855_381
; %bb.380:
	v_and_b32_e32 v24, 7, v22
	v_ffbh_u32_e32 v52, v24
	v_min_u32_e32 v54, 32, v52
	v_subrev_u32_e32 v52, 28, v54
	v_lshlrev_b64 v[52:53], v52, v[22:23]
	v_lshrrev_b32_e32 v51, 3, v45
	v_sub_u32_e32 v22, 29, v54
	v_and_b32_e32 v52, 7, v52
	v_cmp_gt_u32_e32 vcc, 8, v45
	v_cndmask_b32_e32 v22, v51, v22, vcc
	v_cndmask_b32_e32 v24, v24, v52, vcc
	v_lshlrev_b32_e32 v45, 16, v25
	v_bfrev_b32_e32 v51, 60
	v_lshlrev_b32_e32 v24, 20, v24
	v_and_b32_e32 v45, 0x80000000, v45
	v_lshl_add_u32 v22, v22, 23, v51
	v_or3_b32 v22, v45, v22, v24
	v_lshrrev_b32_e32 v24, 16, v22
.LBB855_381:
	s_or_b64 exec, exec, s[10:11]
.LBB855_382:
	s_or_b64 exec, exec, s[8:9]
.LBB855_383:
	s_or_b64 exec, exec, s[2:3]
	s_movk_i32 s2, 0xff
	v_and_b32_sdwa v45, v25, s2 dst_sel:DWORD dst_unused:UNUSED_PAD src0_sel:WORD_1 src1_sel:DWORD
	v_lshrrev_b32_e32 v22, 16, v25
	v_cmp_ne_u16_e32 vcc, 0, v45
	v_mov_b32_e32 v51, 0
	v_mov_b32_e32 v52, 0
	s_and_saveexec_b64 s[2:3], vcc
	s_cbranch_execz .LBB855_389
; %bb.384:
	s_movk_i32 s8, 0x80
	v_cmp_ne_u16_e32 vcc, s8, v45
	v_mov_b32_e32 v52, 0xffff8000
	s_and_saveexec_b64 s[8:9], vcc
	s_cbranch_execz .LBB855_388
; %bb.385:
	v_bfe_u32 v45, v25, 16, 7
	s_movk_i32 s10, 0x7f
	v_cmp_ne_u32_e32 vcc, s10, v45
	v_mov_b32_e32 v52, 0x7f80
	s_and_saveexec_b64 s[10:11], vcc
	s_cbranch_execz .LBB855_387
; %bb.386:
	v_and_b32_e32 v54, 7, v22
	v_ffbh_u32_e32 v52, v54
	v_min_u32_e32 v56, 32, v52
	v_subrev_u32_e32 v52, 28, v56
	v_lshlrev_b64 v[52:53], v52, v[22:23]
	v_and_b32_e32 v52, 7, v52
	v_cmp_gt_u32_e32 vcc, 8, v45
	v_lshrrev_b32_e32 v55, 3, v45
	v_sub_u32_e32 v22, 29, v56
	v_cndmask_b32_e32 v45, v54, v52, vcc
	v_mov_b32_e32 v52, 24
	v_cndmask_b32_e32 v22, v55, v22, vcc
	v_lshlrev_b32_sdwa v52, v52, v25 dst_sel:DWORD dst_unused:UNUSED_PAD src0_sel:DWORD src1_sel:WORD_1
	v_bfrev_b32_e32 v53, 60
	v_lshlrev_b32_e32 v45, 20, v45
	v_and_b32_e32 v52, 0x80000000, v52
	v_lshl_add_u32 v22, v22, 23, v53
	v_or3_b32 v22, v52, v22, v45
	v_lshrrev_b32_e32 v52, 16, v22
.LBB855_387:
	s_or_b64 exec, exec, s[10:11]
.LBB855_388:
	s_or_b64 exec, exec, s[8:9]
.LBB855_389:
	s_or_b64 exec, exec, s[2:3]
	s_mov_b32 s2, 0xffffff
	v_and_b32_e32 v45, 63, v0
	v_cmp_lt_u32_e32 vcc, s2, v25
	s_and_saveexec_b64 s[2:3], vcc
	s_cbranch_execz .LBB855_395
; %bb.390:
	v_lshrrev_b32_e32 v22, 24, v25
	s_movk_i32 s8, 0x80
	v_cmp_ne_u32_e32 vcc, s8, v22
	v_mov_b32_e32 v51, 0xffff8000
	s_and_saveexec_b64 s[8:9], vcc
	s_cbranch_execz .LBB855_394
; %bb.391:
	v_bfe_u32 v25, v25, 24, 7
	s_movk_i32 s10, 0x7f
	v_cmp_ne_u32_e32 vcc, s10, v25
	v_mov_b32_e32 v51, 0x7f80
	s_and_saveexec_b64 s[10:11], vcc
	s_cbranch_execz .LBB855_393
; %bb.392:
	v_and_b32_e32 v51, 7, v22
	v_ffbh_u32_e32 v54, v51
	v_min_u32_e32 v56, 32, v54
	v_subrev_u32_e32 v54, 28, v56
	v_lshlrev_b64 v[54:55], v54, v[22:23]
	v_lshrrev_b32_e32 v53, 3, v25
	v_sub_u32_e32 v55, 29, v56
	v_and_b32_e32 v54, 7, v54
	v_cmp_gt_u32_e32 vcc, 8, v25
	v_cndmask_b32_e32 v25, v53, v55, vcc
	v_cndmask_b32_e32 v51, v51, v54, vcc
	v_lshlrev_b32_e32 v22, 24, v22
	v_bfrev_b32_e32 v53, 60
	v_lshlrev_b32_e32 v51, 20, v51
	v_and_b32_e32 v22, 0x80000000, v22
	v_lshl_add_u32 v25, v25, 23, v53
	v_or3_b32 v22, v22, v25, v51
	v_lshrrev_b32_e32 v51, 16, v22
.LBB855_393:
	s_or_b64 exec, exec, s[10:11]
.LBB855_394:
	s_or_b64 exec, exec, s[8:9]
.LBB855_395:
	s_or_b64 exec, exec, s[2:3]
	s_mov_b32 s3, 0x5040100
	v_perm_b32 v43, v43, v44, s3
	v_perm_b32 v42, v23, v42, s3
	s_load_dword s2, s[4:5], 0x1c
	s_mov_b32 s46, 0xff7fffff
	s_waitcnt lgkmcnt(0)
	v_mfma_f32_16x16x16bf16_1k v[26:29], v[42:43], v[18:19], v[26:29]
	v_perm_b32 v19, v51, v52, s3
	v_perm_b32 v18, v24, v50, s3
	v_and_b32_e32 v24, 0xc0, v0
	v_mov_b32_e32 v22, s2
	v_add_u32_e32 v24, s20, v24
	v_mul_f32_e32 v44, s12, v22
	v_lshl_or_b32 v42, v1, 2, v24
	v_mfma_f32_16x16x16bf16_1k v[18:21], v[18:19], v[20:21], v[26:29]
	v_pk_mul_f32 v[22:23], v[44:45], v[36:37] op_sel_hi:[0,1]
	v_pk_mul_f32 v[36:37], v[44:45], v[40:41] op_sel_hi:[0,1]
	;; [unrolled: 1-line block ×4, first 2 shown]
	v_mov_b32_e32 v43, 0xff7fffff
	v_cmp_gt_i32_e64 s[26:27], s33, v42
	v_pk_mul_f32 v[38:39], v[44:45], v[38:39] op_sel_hi:[0,1]
	s_nop 3
	v_pk_mul_f32 v[32:33], v[44:45], v[18:19] op_sel_hi:[0,1]
	v_or_b32_e32 v19, 1, v42
	v_cmp_gt_i32_e64 s[28:29], s33, v19
	v_cndmask_b32_e64 v18, v43, v30, s[26:27]
	v_cndmask_b32_e64 v19, v43, v31, s[28:29]
	v_pk_mul_f32 v[24:25], v[44:45], v[20:21] op_sel_hi:[0,1]
	v_max3_f32 v18, v18, s46, v19
	v_or_b32_e32 v19, 2, v42
	v_or_b32_e32 v20, 3, v42
	v_cmp_gt_i32_e64 s[30:31], s33, v19
	v_cmp_gt_i32_e64 s[34:35], s33, v20
	v_cndmask_b32_e64 v19, v43, v40, s[30:31]
	v_cndmask_b32_e64 v20, v43, v41, s[34:35]
	v_max3_f32 v18, v18, v19, v20
	v_or_b32_e32 v19, 16, v42
	v_or_b32_e32 v20, 17, v42
	v_cmp_gt_i32_e64 s[36:37], s33, v19
	v_cmp_gt_i32_e64 s[38:39], s33, v20
	v_cndmask_b32_e64 v19, v43, v38, s[36:37]
	v_cndmask_b32_e64 v20, v43, v39, s[38:39]
	;; [unrolled: 7-line block ×3, first 2 shown]
	v_max3_f32 v18, v18, v19, v20
	v_or_b32_e32 v19, 32, v42
	v_or_b32_e32 v20, 33, v42
	v_pk_mul_f32 v[34:35], v[44:45], v[34:35] op_sel_hi:[0,1]
	v_cmp_gt_i32_e64 s[16:17], s33, v19
	v_cmp_gt_i32_e64 s[18:19], s33, v20
	v_cndmask_b32_e64 v19, v43, v34, s[16:17]
	v_cndmask_b32_e64 v20, v43, v35, s[18:19]
	v_max3_f32 v18, v18, v19, v20
	v_or_b32_e32 v19, 34, v42
	v_or_b32_e32 v20, 35, v42
	v_cmp_gt_i32_e64 s[12:13], s33, v19
	v_cmp_gt_i32_e64 s[14:15], s33, v20
	v_cndmask_b32_e64 v19, v43, v22, s[12:13]
	v_cndmask_b32_e64 v20, v43, v23, s[14:15]
	v_max3_f32 v18, v18, v19, v20
	v_or_b32_e32 v19, 48, v42
	v_or_b32_e32 v20, 49, v42
	;; [unrolled: 7-line block ×3, first 2 shown]
	v_cmp_gt_i32_e32 vcc, s33, v19
	v_cmp_gt_i32_e64 s[2:3], s33, v20
	v_cndmask_b32_e32 v19, v43, v24, vcc
	v_cndmask_b32_e64 v20, v43, v25, s[2:3]
	v_max3_f32 v18, v18, v19, v20
	v_mbcnt_lo_u32_b32 v19, -1, 0
	v_mbcnt_hi_u32_b32 v19, -1, v19
	v_and_b32_e32 v20, 64, v19
	v_add_u32_e32 v20, 64, v20
	v_xor_b32_e32 v21, 32, v19
	v_cmp_lt_i32_e64 s[40:41], v21, v20
	v_cndmask_b32_e64 v21, v19, v21, s[40:41]
	v_lshlrev_b32_e32 v43, 2, v21
	ds_bpermute_b32 v21, v43, v18
	s_barrier
	s_waitcnt lgkmcnt(0)
	v_max_f32_e32 v21, v21, v21
	v_max_f32_e32 v18, v18, v21
	v_xor_b32_e32 v21, 16, v19
	v_cmp_lt_i32_e64 s[40:41], v21, v20
	v_cndmask_b32_e64 v19, v19, v21, s[40:41]
	v_lshlrev_b32_e32 v44, 2, v19
	ds_bpermute_b32 v19, v44, v18
	s_waitcnt lgkmcnt(0)
	v_max_f32_e32 v19, v19, v19
	v_max_f32_e32 v42, v18, v19
	v_sub_f32_e32 v21, v40, v42
	v_sub_f32_e32 v26, v41, v42
	v_mul_f32_e32 v21, 0x3fb8aa3b, v21
	v_mul_f32_e32 v26, 0x3fb8aa3b, v26
	v_sub_f32_e32 v18, v30, v42
	v_exp_f32_e32 v21, v21
	v_exp_f32_e32 v26, v26
	v_mul_f32_e32 v18, 0x3fb8aa3b, v18
	v_sub_f32_e32 v19, v31, v42
	v_exp_f32_e32 v18, v18
	v_mul_f32_e32 v19, 0x3fb8aa3b, v19
	v_exp_f32_e32 v19, v19
	v_cndmask_b32_e64 v28, 0, v21, s[30:31]
	v_cndmask_b32_e64 v29, 0, v26, s[34:35]
	v_sub_f32_e32 v21, v38, v42
	v_sub_f32_e32 v26, v39, v42
	v_mul_f32_e32 v21, 0x3fb8aa3b, v21
	v_mul_f32_e32 v26, 0x3fb8aa3b, v26
	v_cndmask_b32_e64 v18, 0, v18, s[26:27]
	v_exp_f32_e32 v21, v21
	v_exp_f32_e32 v26, v26
	v_add_f32_e32 v20, 0, v18
	v_cndmask_b32_e64 v19, 0, v19, s[28:29]
	v_add_f32_e32 v20, v20, v19
	v_add_f32_e32 v20, v20, v28
	;; [unrolled: 1-line block ×3, first 2 shown]
	v_cndmask_b32_e64 v20, 0, v21, s[36:37]
	v_cndmask_b32_e64 v21, 0, v26, s[38:39]
	v_sub_f32_e32 v26, v36, v42
	v_mul_f32_e32 v26, 0x3fb8aa3b, v26
	v_exp_f32_e32 v26, v26
	v_sub_f32_e32 v30, v37, v42
	v_add_f32_e32 v27, v27, v20
	v_mul_f32_e32 v30, 0x3fb8aa3b, v30
	v_exp_f32_e32 v31, v30
	v_add_f32_e32 v27, v27, v21
	v_cndmask_b32_e64 v30, 0, v26, s[20:21]
	v_add_f32_e32 v26, v27, v30
	v_sub_f32_e32 v27, v34, v42
	v_mul_f32_e32 v27, 0x3fb8aa3b, v27
	v_sub_f32_e32 v34, v35, v42
	v_exp_f32_e32 v27, v27
	v_mul_f32_e32 v34, 0x3fb8aa3b, v34
	v_sub_f32_e32 v22, v22, v42
	v_exp_f32_e32 v34, v34
	;; [unrolled: 3-line block ×3, first 2 shown]
	v_mul_f32_e32 v23, 0x3fb8aa3b, v23
	v_cndmask_b32_e64 v31, 0, v31, s[22:23]
	v_exp_f32_e32 v23, v23
	v_add_f32_e32 v35, v26, v31
	v_cndmask_b32_e64 v26, 0, v27, s[16:17]
	v_add_f32_e32 v35, v35, v26
	v_cndmask_b32_e64 v27, 0, v34, s[18:19]
	;; [unrolled: 2-line block ×4, first 2 shown]
	v_sub_f32_e32 v23, v32, v42
	v_mul_f32_e32 v23, 0x3fb8aa3b, v23
	v_sub_f32_e32 v32, v33, v42
	v_exp_f32_e32 v23, v23
	v_mul_f32_e32 v32, 0x3fb8aa3b, v32
	v_sub_f32_e32 v24, v24, v42
	v_exp_f32_e32 v32, v32
	;; [unrolled: 3-line block ×3, first 2 shown]
	v_mul_f32_e32 v25, 0x3fb8aa3b, v25
	v_exp_f32_e32 v25, v25
	v_add_f32_e32 v33, v22, v35
	v_cndmask_b32_e64 v22, 0, v23, s[8:9]
	v_add_f32_e32 v33, v33, v22
	v_cndmask_b32_e64 v23, 0, v32, s[10:11]
	v_add_f32_e32 v32, v33, v23
	v_cndmask_b32_e32 v24, 0, v24, vcc
	v_add_f32_e32 v32, v32, v24
	v_cndmask_b32_e64 v25, 0, v25, s[2:3]
	v_add_f32_e32 v32, v32, v25
	ds_bpermute_b32 v33, v43, v32
	v_cmp_gt_u32_e32 vcc, 16, v45
	s_waitcnt lgkmcnt(0)
	v_add_f32_e32 v32, v32, v33
	ds_bpermute_b32 v36, v44, v32
	v_lshlrev_b32_e32 v33, 2, v48
	s_and_saveexec_b64 s[2:3], vcc
	s_cbranch_execz .LBB855_397
; %bb.396:
	s_waitcnt lgkmcnt(0)
	v_add_f32_e32 v32, v32, v36
	v_lshl_or_b32 v36, v49, 6, v33
	ds_write2st64_b32 v36, v42, v32 offset1:1
.LBB855_397:
	s_or_b64 exec, exec, s[2:3]
	s_waitcnt lgkmcnt(0)
	s_barrier
	ds_read2_b32 v[36:37], v33 offset1:16
	ds_read2_b32 v[38:39], v33 offset0:32 offset1:48
	ds_read2_b32 v[40:41], v33 offset0:64 offset1:80
	s_mul_i32 s12, s45, 10
	s_waitcnt lgkmcnt(2)
	v_max3_f32 v32, v36, s46, v37
	s_waitcnt lgkmcnt(1)
	v_max3_f32 v32, v32, v38, v39
	v_sub_f32_e32 v36, v36, v32
	v_mul_f32_e32 v36, 0x3fb8aa3b, v36
	v_exp_f32_e32 v42, v36
	v_sub_f32_e32 v36, v37, v32
	v_mul_f32_e32 v36, 0x3fb8aa3b, v36
	v_exp_f32_e32 v43, v36
	;; [unrolled: 3-line block ×3, first 2 shown]
	ds_read2_b32 v[36:37], v33 offset0:96 offset1:112
	v_sub_f32_e32 v33, v39, v32
	v_mul_f32_e32 v33, 0x3fb8aa3b, v33
	v_exp_f32_e32 v39, v33
	s_waitcnt lgkmcnt(1)
	v_fma_f32 v33, v42, v40, 0
	v_fmac_f32_e32 v33, v43, v41
	s_waitcnt lgkmcnt(0)
	v_fmac_f32_e32 v33, v38, v36
	v_fmac_f32_e32 v33, v39, v37
	v_add_f32_e32 v36, 0x358637bd, v33
	v_div_scale_f32 v37, s[2:3], v36, v36, 1.0
	v_rcp_f32_e32 v40, v37
	s_movk_i32 s2, 0x7fff
	s_mov_b32 s3, 0x7060302
	v_fma_f32 v41, -v37, v40, 1.0
	v_fmac_f32_e32 v40, v41, v40
	v_div_scale_f32 v41, vcc, 1.0, v36, 1.0
	v_mul_f32_e32 v44, v41, v40
	v_fma_f32 v45, -v37, v44, v41
	v_fmac_f32_e32 v44, v45, v40
	v_fma_f32 v37, -v37, v44, v41
	v_div_fmas_f32 v37, v37, v40, v44
	v_cmp_eq_u32_e32 vcc, 1, v49
	v_div_fixup_f32 v36, v37, v36, 1.0
	v_cndmask_b32_e32 v37, v42, v43, vcc
	v_cmp_eq_u32_e32 vcc, 2, v49
	v_cndmask_b32_e32 v37, v37, v38, vcc
	v_cmp_eq_u32_e32 vcc, 3, v49
	v_cndmask_b32_e32 v37, v37, v39, vcc
	v_mul_f32_e32 v36, v37, v36
	v_pk_mul_f32 v[18:19], v[36:37], v[18:19] op_sel_hi:[0,1]
	v_pk_mul_f32 v[28:29], v[36:37], v[28:29] op_sel_hi:[0,1]
	v_bfe_u32 v37, v19, 16, 1
	v_bfe_u32 v38, v18, 16, 1
	v_add3_u32 v18, v18, v38, s2
	v_add3_u32 v19, v19, v37, s2
	v_perm_b32 v38, v19, v18, s3
	v_bfe_u32 v18, v29, 16, 1
	v_bfe_u32 v19, v28, 16, 1
	v_add3_u32 v19, v28, v19, s2
	v_add3_u32 v18, v29, v18, s2
	v_perm_b32 v39, v18, v19, s3
	v_lshlrev_b32_e32 v18, 3, v1
	v_lshlrev_b32_e32 v19, 5, v48
	;; [unrolled: 1-line block ×3, first 2 shown]
	v_pk_mul_f32 v[20:21], v[36:37], v[20:21] op_sel_hi:[0,1]
	v_or3_b32 v28, v28, v19, v18
	v_bfe_u32 v18, v21, 16, 1
	v_bfe_u32 v29, v20, 16, 1
	v_pk_mul_f32 v[30:31], v[36:37], v[30:31] op_sel_hi:[0,1]
	v_add3_u32 v20, v20, v29, s2
	v_add3_u32 v18, v21, v18, s2
	v_perm_b32 v20, v18, v20, s3
	v_bfe_u32 v18, v31, 16, 1
	v_bfe_u32 v21, v30, 16, 1
	v_add3_u32 v21, v30, v21, s2
	v_add3_u32 v18, v31, v18, s2
	v_pk_mul_f32 v[26:27], v[36:37], v[26:27] op_sel_hi:[0,1]
	v_perm_b32 v21, v18, v21, s3
	v_bfe_u32 v18, v27, 16, 1
	v_bfe_u32 v29, v26, 16, 1
	s_barrier
	ds_write2st64_b64 v28, v[38:39], v[20:21] offset1:1
	v_pk_mul_f32 v[20:21], v[36:37], v[34:35] op_sel_hi:[0,1]
	v_add3_u32 v26, v26, v29, s2
	v_add3_u32 v18, v27, v18, s2
	v_perm_b32 v26, v18, v26, s3
	v_bfe_u32 v18, v21, 16, 1
	v_bfe_u32 v27, v20, 16, 1
	v_add3_u32 v20, v20, v27, s2
	v_add3_u32 v18, v21, v18, s2
	v_pk_mul_f32 v[22:23], v[36:37], v[22:23] op_sel_hi:[0,1]
	v_perm_b32 v27, v18, v20, s3
	v_pk_mul_f32 v[20:21], v[36:37], v[24:25] op_sel_hi:[0,1]
	v_bfe_u32 v18, v23, 16, 1
	v_bfe_u32 v24, v22, 16, 1
	v_add3_u32 v22, v22, v24, s2
	v_add3_u32 v18, v23, v18, s2
	v_perm_b32 v22, v18, v22, s3
	v_bfe_u32 v18, v21, 16, 1
	v_bfe_u32 v23, v20, 16, 1
	v_add3_u32 v20, v20, v23, s2
	v_add3_u32 v18, v21, v18, s2
	v_perm_b32 v23, v18, v20, s3
	v_cmp_gt_u32_e32 vcc, 10, v0
	ds_write2st64_b64 v28, v[26:27], v[22:23] offset0:2 offset1:3
	s_and_saveexec_b64 s[2:3], vcc
	s_cbranch_execz .LBB855_399
; %bb.398:
	v_add_co_u32_e32 v22, vcc, s25, v48
	v_addc_co_u32_e64 v23, s[14:15], 0, 0, vcc
	v_mov_b32_e32 v18, s12
	v_mov_b32_e32 v21, 0
	v_mad_u64_u32 v[22:23], s[14:15], s6, v18, v[22:23]
	v_mov_b32_e32 v20, s24
	s_load_dwordx4 s[8:11], s[4:5], 0x58
	s_mul_i32 s7, s7, s12
	v_mad_u64_u32 v[20:21], s[14:15], v22, s44, v[20:21]
	v_add_u32_e32 v23, s7, v23
	v_mov_b32_e32 v18, v21
	v_mad_u64_u32 v[22:23], s[14:15], v23, s44, v[18:19]
	v_mov_b32_e32 v21, v22
	v_lshlrev_b64 v[20:21], 2, v[20:21]
	s_waitcnt lgkmcnt(0)
	v_mov_b32_e32 v18, s11
	v_add_co_u32_e32 v22, vcc, s10, v20
	v_addc_co_u32_e32 v23, vcc, v18, v21, vcc
	v_mov_b32_e32 v18, s9
	v_add_co_u32_e32 v20, vcc, s8, v20
	v_addc_co_u32_e32 v21, vcc, v18, v21, vcc
	global_store_dword v[22:23], v32, off
	global_store_dword v[20:21], v33, off
.LBB855_399:
	s_or_b64 exec, exec, s[2:3]
	v_mov_b32_e32 v20, 0
	s_waitcnt vmcnt(3)
	v_cmp_ne_u16_sdwa s[8:9], v14, v20 src0_sel:BYTE_0 src1_sel:DWORD
	v_mov_b32_e32 v21, 0
	s_waitcnt lgkmcnt(0)
	s_barrier
	s_and_saveexec_b64 s[2:3], s[8:9]
	s_cbranch_execz .LBB855_405
; %bb.400:
	s_movk_i32 s7, 0x80
	v_cmp_ne_u16_sdwa s[10:11], v14, s7 src0_sel:BYTE_0 src1_sel:DWORD
	v_mov_b32_e32 v21, 0xffff8000
	s_and_saveexec_b64 s[8:9], s[10:11]
	s_cbranch_execz .LBB855_404
; %bb.401:
	s_movk_i32 s7, 0x7f
	v_and_b32_e32 v18, 0x7f, v14
	v_cmp_ne_u32_e32 vcc, s7, v18
	v_mov_b32_e32 v21, 0x7f80
	s_and_saveexec_b64 s[10:11], vcc
	s_cbranch_execz .LBB855_403
; %bb.402:
	v_and_b32_e32 v21, 7, v14
	v_ffbh_u32_e32 v22, v21
	v_min_u32_e32 v25, 32, v22
	v_subrev_u32_e32 v22, 28, v25
	v_lshlrev_b64 v[22:23], v22, v[14:15]
	v_lshrrev_b32_e32 v24, 3, v18
	v_sub_u32_e32 v23, 29, v25
	v_and_b32_e32 v22, 7, v22
	v_cmp_gt_u32_e32 vcc, 8, v18
	v_cndmask_b32_e32 v18, v24, v23, vcc
	v_cndmask_b32_e32 v21, v21, v22, vcc
	v_lshlrev_b32_e32 v22, 24, v14
	v_bfrev_b32_e32 v23, 60
	v_lshlrev_b32_e32 v21, 20, v21
	v_and_b32_e32 v22, 0x80000000, v22
	v_lshl_add_u32 v18, v18, 23, v23
	v_or3_b32 v18, v22, v18, v21
	v_lshrrev_b32_e32 v21, 16, v18
.LBB855_403:
	s_or_b64 exec, exec, s[10:11]
.LBB855_404:
	s_or_b64 exec, exec, s[8:9]
.LBB855_405:
	s_or_b64 exec, exec, s[2:3]
	v_lshrrev_b16_e32 v18, 8, v14
	v_cmp_ne_u16_e32 vcc, 0, v18
	s_and_saveexec_b64 s[2:3], vcc
	s_cbranch_execz .LBB855_411
; %bb.406:
	s_movk_i32 s7, 0x80
	v_cmp_ne_u16_e32 vcc, s7, v18
	v_mov_b32_e32 v20, 0xffff8000
	s_and_saveexec_b64 s[8:9], vcc
	s_cbranch_execz .LBB855_410
; %bb.407:
	s_movk_i32 s7, 0x7f
	v_and_b32_e32 v22, 0x7f, v18
	v_cmp_ne_u32_e32 vcc, s7, v22
	v_mov_b32_e32 v20, 0x7f80
	s_and_saveexec_b64 s[10:11], vcc
	s_cbranch_execz .LBB855_409
; %bb.408:
	v_and_b32_e32 v20, 7, v18
	v_ffbh_u32_e32 v24, v20
	v_min_u32_e32 v26, 32, v24
	v_subrev_u32_e32 v24, 28, v26
	v_lshlrev_b64 v[24:25], v24, v[18:19]
	v_lshrrev_b32_e32 v23, 3, v22
	v_sub_u32_e32 v18, 29, v26
	v_and_b32_e32 v24, 7, v24
	v_cmp_gt_u32_e32 vcc, 8, v22
	v_cndmask_b32_e32 v18, v23, v18, vcc
	v_cndmask_b32_e32 v20, v20, v24, vcc
	v_lshlrev_b32_e32 v22, 16, v14
	v_bfrev_b32_e32 v23, 60
	v_lshlrev_b32_e32 v20, 20, v20
	v_and_b32_e32 v22, 0x80000000, v22
	v_lshl_add_u32 v18, v18, 23, v23
	v_or3_b32 v18, v22, v18, v20
	v_lshrrev_b32_e32 v20, 16, v18
.LBB855_409:
	s_or_b64 exec, exec, s[10:11]
.LBB855_410:
	s_or_b64 exec, exec, s[8:9]
.LBB855_411:
	s_or_b64 exec, exec, s[2:3]
	s_movk_i32 s2, 0xff
	v_and_b32_sdwa v24, v14, s2 dst_sel:DWORD dst_unused:UNUSED_PAD src0_sel:WORD_1 src1_sel:DWORD
	v_lshrrev_b32_e32 v18, 16, v14
	v_cmp_ne_u16_e32 vcc, 0, v24
	v_mov_b32_e32 v22, 0
	v_mov_b32_e32 v23, 0
	s_and_saveexec_b64 s[2:3], vcc
	s_cbranch_execz .LBB855_417
; %bb.412:
	s_movk_i32 s7, 0x80
	v_cmp_ne_u16_e32 vcc, s7, v24
	v_mov_b32_e32 v23, 0xffff8000
	s_and_saveexec_b64 s[8:9], vcc
	s_cbranch_execz .LBB855_416
; %bb.413:
	v_bfe_u32 v24, v14, 16, 7
	s_movk_i32 s7, 0x7f
	v_cmp_ne_u32_e32 vcc, s7, v24
	v_mov_b32_e32 v23, 0x7f80
	s_and_saveexec_b64 s[10:11], vcc
	s_cbranch_execz .LBB855_415
; %bb.414:
	v_and_b32_e32 v23, 7, v18
	v_ffbh_u32_e32 v26, v23
	v_min_u32_e32 v29, 32, v26
	v_subrev_u32_e32 v26, 28, v29
	v_lshlrev_b64 v[26:27], v26, v[18:19]
	v_lshrrev_b32_e32 v25, 3, v24
	v_sub_u32_e32 v18, 29, v29
	v_and_b32_e32 v26, 7, v26
	v_cmp_gt_u32_e32 vcc, 8, v24
	v_mov_b32_e32 v24, 24
	v_cndmask_b32_e32 v18, v25, v18, vcc
	v_cndmask_b32_e32 v23, v23, v26, vcc
	v_lshlrev_b32_sdwa v24, v24, v14 dst_sel:DWORD dst_unused:UNUSED_PAD src0_sel:DWORD src1_sel:WORD_1
	v_bfrev_b32_e32 v25, 60
	v_lshlrev_b32_e32 v23, 20, v23
	v_and_b32_e32 v24, 0x80000000, v24
	v_lshl_add_u32 v18, v18, 23, v25
	v_or3_b32 v18, v24, v18, v23
	v_lshrrev_b32_e32 v23, 16, v18
.LBB855_415:
	s_or_b64 exec, exec, s[10:11]
.LBB855_416:
	s_or_b64 exec, exec, s[8:9]
.LBB855_417:
	s_or_b64 exec, exec, s[2:3]
	s_mov_b32 s2, 0xffffff
	v_cmp_lt_u32_e32 vcc, s2, v14
	s_and_saveexec_b64 s[2:3], vcc
	s_cbranch_execz .LBB855_423
; %bb.418:
	v_lshrrev_b32_e32 v18, 24, v14
	s_movk_i32 s7, 0x80
	v_cmp_ne_u32_e32 vcc, s7, v18
	v_mov_b32_e32 v22, 0xffff8000
	s_and_saveexec_b64 s[8:9], vcc
	s_cbranch_execz .LBB855_422
; %bb.419:
	v_bfe_u32 v14, v14, 24, 7
	s_movk_i32 s7, 0x7f
	v_cmp_ne_u32_e32 vcc, s7, v14
	v_mov_b32_e32 v22, 0x7f80
	s_and_saveexec_b64 s[10:11], vcc
	s_cbranch_execz .LBB855_421
; %bb.420:
	v_and_b32_e32 v22, 7, v18
	v_ffbh_u32_e32 v24, v22
	v_min_u32_e32 v27, 32, v24
	v_subrev_u32_e32 v24, 28, v27
	v_lshlrev_b64 v[24:25], v24, v[18:19]
	v_lshrrev_b32_e32 v26, 3, v14
	v_sub_u32_e32 v25, 29, v27
	v_and_b32_e32 v24, 7, v24
	v_cmp_gt_u32_e32 vcc, 8, v14
	v_cndmask_b32_e32 v14, v26, v25, vcc
	v_cndmask_b32_e32 v22, v22, v24, vcc
	v_lshlrev_b32_e32 v18, 24, v18
	v_bfrev_b32_e32 v24, 60
	v_lshlrev_b32_e32 v22, 20, v22
	v_and_b32_e32 v18, 0x80000000, v18
	v_lshl_add_u32 v14, v14, 23, v24
	v_or3_b32 v14, v18, v14, v22
	v_lshrrev_b32_e32 v22, 16, v14
.LBB855_421:
	s_or_b64 exec, exec, s[10:11]
.LBB855_422:
	s_or_b64 exec, exec, s[8:9]
.LBB855_423:
	s_or_b64 exec, exec, s[2:3]
	v_mov_b32_e32 v18, 0
	v_cmp_ne_u16_sdwa s[8:9], v15, v18 src0_sel:BYTE_0 src1_sel:DWORD
	v_mov_b32_e32 v24, 0
	s_and_saveexec_b64 s[2:3], s[8:9]
	s_cbranch_execz .LBB855_429
; %bb.424:
	s_movk_i32 s7, 0x80
	v_cmp_ne_u16_sdwa s[10:11], v15, s7 src0_sel:BYTE_0 src1_sel:DWORD
	v_mov_b32_e32 v24, 0xffff8000
	s_and_saveexec_b64 s[8:9], s[10:11]
	s_cbranch_execz .LBB855_428
; %bb.425:
	s_movk_i32 s7, 0x7f
	v_and_b32_e32 v14, 0x7f, v15
	v_cmp_ne_u32_e32 vcc, s7, v14
	v_mov_b32_e32 v24, 0x7f80
	s_and_saveexec_b64 s[10:11], vcc
	s_cbranch_execz .LBB855_427
; %bb.426:
	v_and_b32_e32 v26, 7, v15
	v_ffbh_u32_e32 v25, v26
	v_min_u32_e32 v29, 32, v25
	v_mov_b32_e32 v24, v15
	v_subrev_u32_e32 v25, 28, v29
	v_lshlrev_b64 v[24:25], v25, v[24:25]
	v_lshrrev_b32_e32 v27, 3, v14
	v_sub_u32_e32 v25, 29, v29
	v_and_b32_e32 v24, 7, v24
	v_cmp_gt_u32_e32 vcc, 8, v14
	v_cndmask_b32_e32 v14, v27, v25, vcc
	v_cndmask_b32_e32 v24, v26, v24, vcc
	v_lshlrev_b32_e32 v25, 24, v15
	v_bfrev_b32_e32 v26, 60
	v_lshlrev_b32_e32 v24, 20, v24
	v_and_b32_e32 v25, 0x80000000, v25
	v_lshl_add_u32 v14, v14, 23, v26
	v_or3_b32 v14, v25, v14, v24
	v_lshrrev_b32_e32 v24, 16, v14
.LBB855_427:
	s_or_b64 exec, exec, s[10:11]
.LBB855_428:
	s_or_b64 exec, exec, s[8:9]
.LBB855_429:
	s_or_b64 exec, exec, s[2:3]
	v_lshrrev_b16_e32 v14, 8, v15
	v_cmp_ne_u16_e32 vcc, 0, v14
	s_and_saveexec_b64 s[2:3], vcc
	s_cbranch_execz .LBB855_435
; %bb.430:
	s_movk_i32 s7, 0x80
	v_cmp_ne_u16_e32 vcc, s7, v14
	v_mov_b32_e32 v18, 0xffff8000
	s_and_saveexec_b64 s[8:9], vcc
	s_cbranch_execz .LBB855_434
; %bb.431:
	s_movk_i32 s7, 0x7f
	v_and_b32_e32 v25, 0x7f, v14
	v_cmp_ne_u32_e32 vcc, s7, v25
	v_mov_b32_e32 v18, 0x7f80
	s_and_saveexec_b64 s[10:11], vcc
	s_cbranch_execz .LBB855_433
; %bb.432:
	v_and_b32_e32 v18, 7, v14
	v_ffbh_u32_e32 v26, v18
	v_min_u32_e32 v30, 32, v26
	v_subrev_u32_e32 v26, 28, v30
	v_lshlrev_b64 v[26:27], v26, v[14:15]
	v_lshrrev_b32_e32 v29, 3, v25
	v_sub_u32_e32 v14, 29, v30
	v_and_b32_e32 v26, 7, v26
	v_cmp_gt_u32_e32 vcc, 8, v25
	v_cndmask_b32_e32 v14, v29, v14, vcc
	v_cndmask_b32_e32 v18, v18, v26, vcc
	v_lshlrev_b32_e32 v25, 16, v15
	v_bfrev_b32_e32 v26, 60
	v_lshlrev_b32_e32 v18, 20, v18
	v_and_b32_e32 v25, 0x80000000, v25
	v_lshl_add_u32 v14, v14, 23, v26
	v_or3_b32 v14, v25, v14, v18
	v_lshrrev_b32_e32 v18, 16, v14
.LBB855_433:
	s_or_b64 exec, exec, s[10:11]
.LBB855_434:
	s_or_b64 exec, exec, s[8:9]
.LBB855_435:
	s_or_b64 exec, exec, s[2:3]
	s_movk_i32 s2, 0xff
	v_and_b32_sdwa v27, v15, s2 dst_sel:DWORD dst_unused:UNUSED_PAD src0_sel:WORD_1 src1_sel:DWORD
	v_lshrrev_b32_e32 v14, 16, v15
	v_cmp_ne_u16_e32 vcc, 0, v27
	v_mov_b32_e32 v25, 0
	v_mov_b32_e32 v26, 0
	s_and_saveexec_b64 s[2:3], vcc
	s_cbranch_execz .LBB855_441
; %bb.436:
	s_movk_i32 s7, 0x80
	v_cmp_ne_u16_e32 vcc, s7, v27
	v_mov_b32_e32 v26, 0xffff8000
	s_and_saveexec_b64 s[8:9], vcc
	s_cbranch_execz .LBB855_440
; %bb.437:
	v_bfe_u32 v27, v15, 16, 7
	s_movk_i32 s7, 0x7f
	v_cmp_ne_u32_e32 vcc, s7, v27
	v_mov_b32_e32 v26, 0x7f80
	s_and_saveexec_b64 s[10:11], vcc
	s_cbranch_execz .LBB855_439
; %bb.438:
	v_and_b32_e32 v26, 7, v14
	v_ffbh_u32_e32 v30, v26
	v_min_u32_e32 v32, 32, v30
	v_subrev_u32_e32 v30, 28, v32
	v_lshlrev_b64 v[30:31], v30, v[14:15]
	v_lshrrev_b32_e32 v29, 3, v27
	v_sub_u32_e32 v14, 29, v32
	v_and_b32_e32 v30, 7, v30
	v_cmp_gt_u32_e32 vcc, 8, v27
	v_mov_b32_e32 v27, 24
	v_cndmask_b32_e32 v14, v29, v14, vcc
	v_cndmask_b32_e32 v26, v26, v30, vcc
	v_lshlrev_b32_sdwa v27, v27, v15 dst_sel:DWORD dst_unused:UNUSED_PAD src0_sel:DWORD src1_sel:WORD_1
	v_bfrev_b32_e32 v29, 60
	v_lshlrev_b32_e32 v26, 20, v26
	v_and_b32_e32 v27, 0x80000000, v27
	v_lshl_add_u32 v14, v14, 23, v29
	v_or3_b32 v14, v27, v14, v26
	v_lshrrev_b32_e32 v26, 16, v14
.LBB855_439:
	s_or_b64 exec, exec, s[10:11]
.LBB855_440:
	s_or_b64 exec, exec, s[8:9]
.LBB855_441:
	s_or_b64 exec, exec, s[2:3]
	s_mov_b32 s2, 0xffffff
	v_cmp_lt_u32_e32 vcc, s2, v15
	s_and_saveexec_b64 s[2:3], vcc
	s_cbranch_execz .LBB855_447
; %bb.442:
	v_lshrrev_b32_e32 v14, 24, v15
	s_movk_i32 s7, 0x80
	v_cmp_ne_u32_e32 vcc, s7, v14
	v_mov_b32_e32 v25, 0xffff8000
	s_and_saveexec_b64 s[8:9], vcc
	s_cbranch_execz .LBB855_446
; %bb.443:
	v_bfe_u32 v15, v15, 24, 7
	s_movk_i32 s7, 0x7f
	v_cmp_ne_u32_e32 vcc, s7, v15
	v_mov_b32_e32 v25, 0x7f80
	s_and_saveexec_b64 s[10:11], vcc
	s_cbranch_execz .LBB855_445
; %bb.444:
	v_and_b32_e32 v25, 7, v14
	v_ffbh_u32_e32 v29, v25
	v_min_u32_e32 v29, 32, v29
	v_subrev_u32_e32 v30, 28, v29
	v_lshlrev_b64 v[30:31], v30, v[14:15]
	v_lshrrev_b32_e32 v27, 3, v15
	v_sub_u32_e32 v29, 29, v29
	v_and_b32_e32 v30, 7, v30
	v_cmp_gt_u32_e32 vcc, 8, v15
	v_cndmask_b32_e32 v15, v27, v29, vcc
	v_cndmask_b32_e32 v25, v25, v30, vcc
	v_lshlrev_b32_e32 v14, 24, v14
	v_bfrev_b32_e32 v27, 60
	v_lshlrev_b32_e32 v25, 20, v25
	v_and_b32_e32 v14, 0x80000000, v14
	v_lshl_add_u32 v15, v15, 23, v27
	v_or3_b32 v14, v14, v15, v25
	v_lshrrev_b32_e32 v25, 16, v14
.LBB855_445:
	s_or_b64 exec, exec, s[10:11]
.LBB855_446:
	s_or_b64 exec, exec, s[8:9]
.LBB855_447:
	s_or_b64 exec, exec, s[2:3]
	s_mov_b32 s2, 0x5040100
	v_perm_b32 v15, v22, v23, s2
	v_lshl_or_b32 v22, v1, 9, v19
	v_perm_b32 v14, v20, v21, s2
	ds_read_b128 v[30:33], v22
	v_perm_b32 v19, v25, v26, s2
	v_perm_b32 v18, v18, v24, s2
	s_waitcnt lgkmcnt(0)
	v_mfma_f32_16x16x16bf16_1k v[34:37], v[14:15], v[30:31], 0
	v_mov_b32_e32 v15, 0
	v_cmp_ne_u16_sdwa s[8:9], v16, v15 src0_sel:BYTE_0 src1_sel:DWORD
	v_mov_b32_e32 v23, 0
	v_mfma_f32_16x16x16bf16_1k v[18:21], v[18:19], v[32:33], v[34:37]
	s_and_saveexec_b64 s[2:3], s[8:9]
	s_cbranch_execz .LBB855_453
; %bb.448:
	s_movk_i32 s7, 0x80
	v_cmp_ne_u16_sdwa s[10:11], v16, s7 src0_sel:BYTE_0 src1_sel:DWORD
	v_mov_b32_e32 v23, 0xffff8000
	s_and_saveexec_b64 s[8:9], s[10:11]
	s_cbranch_execz .LBB855_452
; %bb.449:
	s_movk_i32 s7, 0x7f
	v_and_b32_e32 v14, 0x7f, v16
	v_cmp_ne_u32_e32 vcc, s7, v14
	v_mov_b32_e32 v23, 0x7f80
	s_and_saveexec_b64 s[10:11], vcc
	s_cbranch_execz .LBB855_451
; %bb.450:
	v_and_b32_e32 v23, 7, v16
	v_ffbh_u32_e32 v24, v23
	v_min_u32_e32 v27, 32, v24
	v_subrev_u32_e32 v24, 28, v27
	v_lshlrev_b64 v[24:25], v24, v[16:17]
	v_lshrrev_b32_e32 v26, 3, v14
	v_sub_u32_e32 v25, 29, v27
	v_and_b32_e32 v24, 7, v24
	v_cmp_gt_u32_e32 vcc, 8, v14
	v_cndmask_b32_e32 v14, v26, v25, vcc
	v_cndmask_b32_e32 v23, v23, v24, vcc
	v_lshlrev_b32_e32 v24, 24, v16
	v_bfrev_b32_e32 v25, 60
	v_lshlrev_b32_e32 v23, 20, v23
	v_and_b32_e32 v24, 0x80000000, v24
	v_lshl_add_u32 v14, v14, 23, v25
	v_or3_b32 v14, v24, v14, v23
	v_lshrrev_b32_e32 v23, 16, v14
.LBB855_451:
	s_or_b64 exec, exec, s[10:11]
.LBB855_452:
	s_or_b64 exec, exec, s[8:9]
.LBB855_453:
	s_or_b64 exec, exec, s[2:3]
	v_lshrrev_b16_e32 v14, 8, v16
	v_cmp_ne_u16_e32 vcc, 0, v14
	s_and_saveexec_b64 s[2:3], vcc
	s_cbranch_execz .LBB855_459
; %bb.454:
	s_movk_i32 s7, 0x80
	v_cmp_ne_u16_e32 vcc, s7, v14
	v_mov_b32_e32 v15, 0xffff8000
	s_and_saveexec_b64 s[8:9], vcc
	s_cbranch_execz .LBB855_458
; %bb.455:
	s_movk_i32 s7, 0x7f
	v_and_b32_e32 v24, 0x7f, v14
	v_cmp_ne_u32_e32 vcc, s7, v24
	v_mov_b32_e32 v15, 0x7f80
	s_and_saveexec_b64 s[10:11], vcc
	s_cbranch_execz .LBB855_457
; %bb.456:
	v_and_b32_e32 v25, 7, v14
	v_ffbh_u32_e32 v15, v25
	v_min_u32_e32 v27, 32, v15
	v_subrev_u32_e32 v15, 28, v27
	v_lshlrev_b64 v[14:15], v15, v[14:15]
	v_lshrrev_b32_e32 v26, 3, v24
	v_sub_u32_e32 v15, 29, v27
	v_and_b32_e32 v14, 7, v14
	v_cmp_gt_u32_e32 vcc, 8, v24
	v_cndmask_b32_e32 v15, v26, v15, vcc
	v_cndmask_b32_e32 v14, v25, v14, vcc
	v_lshlrev_b32_e32 v24, 16, v16
	v_bfrev_b32_e32 v25, 60
	v_lshlrev_b32_e32 v14, 20, v14
	v_and_b32_e32 v24, 0x80000000, v24
	v_lshl_add_u32 v15, v15, 23, v25
	v_or3_b32 v14, v24, v15, v14
	v_lshrrev_b32_e32 v15, 16, v14
.LBB855_457:
	s_or_b64 exec, exec, s[10:11]
.LBB855_458:
	s_or_b64 exec, exec, s[8:9]
.LBB855_459:
	s_or_b64 exec, exec, s[2:3]
	s_movk_i32 s2, 0xff
	v_and_b32_sdwa v26, v16, s2 dst_sel:DWORD dst_unused:UNUSED_PAD src0_sel:WORD_1 src1_sel:DWORD
	v_lshrrev_b32_e32 v14, 16, v16
	v_cmp_ne_u16_e32 vcc, 0, v26
	v_mov_b32_e32 v24, 0
	v_mov_b32_e32 v25, 0
	s_and_saveexec_b64 s[2:3], vcc
	s_cbranch_execz .LBB855_465
; %bb.460:
	s_movk_i32 s7, 0x80
	v_cmp_ne_u16_e32 vcc, s7, v26
	v_mov_b32_e32 v25, 0xffff8000
	s_and_saveexec_b64 s[8:9], vcc
	s_cbranch_execz .LBB855_464
; %bb.461:
	v_bfe_u32 v26, v16, 16, 7
	s_movk_i32 s7, 0x7f
	v_cmp_ne_u32_e32 vcc, s7, v26
	v_mov_b32_e32 v25, 0x7f80
	s_and_saveexec_b64 s[10:11], vcc
	s_cbranch_execz .LBB855_463
; %bb.462:
	v_and_b32_e32 v25, 7, v14
	v_ffbh_u32_e32 v29, v25
	v_min_u32_e32 v29, 32, v29
	v_subrev_u32_e32 v30, 28, v29
	v_lshlrev_b64 v[30:31], v30, v[14:15]
	v_lshrrev_b32_e32 v27, 3, v26
	v_sub_u32_e32 v14, 29, v29
	v_and_b32_e32 v29, 7, v30
	v_cmp_gt_u32_e32 vcc, 8, v26
	v_mov_b32_e32 v26, 24
	v_cndmask_b32_e32 v14, v27, v14, vcc
	v_cndmask_b32_e32 v25, v25, v29, vcc
	v_lshlrev_b32_sdwa v26, v26, v16 dst_sel:DWORD dst_unused:UNUSED_PAD src0_sel:DWORD src1_sel:WORD_1
	v_bfrev_b32_e32 v27, 60
	v_lshlrev_b32_e32 v25, 20, v25
	v_and_b32_e32 v26, 0x80000000, v26
	v_lshl_add_u32 v14, v14, 23, v27
	v_or3_b32 v14, v26, v14, v25
	v_lshrrev_b32_e32 v25, 16, v14
.LBB855_463:
	s_or_b64 exec, exec, s[10:11]
.LBB855_464:
	s_or_b64 exec, exec, s[8:9]
.LBB855_465:
	s_or_b64 exec, exec, s[2:3]
	s_mov_b32 s2, 0xffffff
	v_cmp_lt_u32_e32 vcc, s2, v16
	s_and_saveexec_b64 s[2:3], vcc
	s_cbranch_execz .LBB855_471
; %bb.466:
	v_lshrrev_b32_e32 v14, 24, v16
	s_movk_i32 s7, 0x80
	v_cmp_ne_u32_e32 vcc, s7, v14
	v_mov_b32_e32 v24, 0xffff8000
	s_and_saveexec_b64 s[8:9], vcc
	s_cbranch_execz .LBB855_470
; %bb.467:
	v_bfe_u32 v16, v16, 24, 7
	s_movk_i32 s7, 0x7f
	v_cmp_ne_u32_e32 vcc, s7, v16
	v_mov_b32_e32 v24, 0x7f80
	s_and_saveexec_b64 s[10:11], vcc
	s_cbranch_execz .LBB855_469
; %bb.468:
	v_and_b32_e32 v24, 7, v14
	v_ffbh_u32_e32 v26, v24
	v_min_u32_e32 v30, 32, v26
	v_subrev_u32_e32 v26, 28, v30
	v_lshlrev_b64 v[26:27], v26, v[14:15]
	v_lshrrev_b32_e32 v29, 3, v16
	v_sub_u32_e32 v27, 29, v30
	v_and_b32_e32 v26, 7, v26
	v_cmp_gt_u32_e32 vcc, 8, v16
	v_cndmask_b32_e32 v16, v29, v27, vcc
	v_cndmask_b32_e32 v24, v24, v26, vcc
	v_lshlrev_b32_e32 v14, 24, v14
	v_bfrev_b32_e32 v26, 60
	v_lshlrev_b32_e32 v24, 20, v24
	v_and_b32_e32 v14, 0x80000000, v14
	v_lshl_add_u32 v16, v16, 23, v26
	v_or3_b32 v14, v14, v16, v24
	v_lshrrev_b32_e32 v24, 16, v14
.LBB855_469:
	s_or_b64 exec, exec, s[10:11]
.LBB855_470:
	s_or_b64 exec, exec, s[8:9]
.LBB855_471:
	s_or_b64 exec, exec, s[2:3]
	v_mov_b32_e32 v16, 0
	v_cmp_ne_u16_sdwa s[8:9], v17, v16 src0_sel:BYTE_0 src1_sel:DWORD
	v_mov_b32_e32 v26, 0
	s_and_saveexec_b64 s[2:3], s[8:9]
	s_cbranch_execz .LBB855_477
; %bb.472:
	s_movk_i32 s7, 0x80
	v_cmp_ne_u16_sdwa s[10:11], v17, s7 src0_sel:BYTE_0 src1_sel:DWORD
	v_mov_b32_e32 v26, 0xffff8000
	s_and_saveexec_b64 s[8:9], s[10:11]
	s_cbranch_execz .LBB855_476
; %bb.473:
	s_movk_i32 s7, 0x7f
	v_and_b32_e32 v14, 0x7f, v17
	v_cmp_ne_u32_e32 vcc, s7, v14
	v_mov_b32_e32 v26, 0x7f80
	s_and_saveexec_b64 s[10:11], vcc
	s_cbranch_execz .LBB855_475
; %bb.474:
	v_and_b32_e32 v29, 7, v17
	v_ffbh_u32_e32 v27, v29
	v_min_u32_e32 v31, 32, v27
	v_mov_b32_e32 v26, v17
	v_subrev_u32_e32 v27, 28, v31
	v_lshlrev_b64 v[26:27], v27, v[26:27]
	v_lshrrev_b32_e32 v30, 3, v14
	v_sub_u32_e32 v27, 29, v31
	v_and_b32_e32 v26, 7, v26
	v_cmp_gt_u32_e32 vcc, 8, v14
	v_cndmask_b32_e32 v14, v30, v27, vcc
	v_cndmask_b32_e32 v26, v29, v26, vcc
	v_lshlrev_b32_e32 v27, 24, v17
	v_bfrev_b32_e32 v29, 60
	v_lshlrev_b32_e32 v26, 20, v26
	v_and_b32_e32 v27, 0x80000000, v27
	v_lshl_add_u32 v14, v14, 23, v29
	v_or3_b32 v14, v27, v14, v26
	v_lshrrev_b32_e32 v26, 16, v14
.LBB855_475:
	s_or_b64 exec, exec, s[10:11]
.LBB855_476:
	s_or_b64 exec, exec, s[8:9]
.LBB855_477:
	s_or_b64 exec, exec, s[2:3]
	v_lshrrev_b16_e32 v14, 8, v17
	v_cmp_ne_u16_e32 vcc, 0, v14
	s_and_saveexec_b64 s[2:3], vcc
	s_cbranch_execz .LBB855_483
; %bb.478:
	s_movk_i32 s7, 0x80
	v_cmp_ne_u16_e32 vcc, s7, v14
	v_mov_b32_e32 v16, 0xffff8000
	s_and_saveexec_b64 s[8:9], vcc
	s_cbranch_execz .LBB855_482
; %bb.479:
	s_movk_i32 s7, 0x7f
	v_and_b32_e32 v27, 0x7f, v14
	v_cmp_ne_u32_e32 vcc, s7, v27
	v_mov_b32_e32 v16, 0x7f80
	s_and_saveexec_b64 s[10:11], vcc
	s_cbranch_execz .LBB855_481
; %bb.480:
	v_and_b32_e32 v16, 7, v14
	v_ffbh_u32_e32 v30, v16
	v_min_u32_e32 v32, 32, v30
	v_subrev_u32_e32 v30, 28, v32
	v_lshlrev_b64 v[30:31], v30, v[14:15]
	v_lshrrev_b32_e32 v29, 3, v27
	v_sub_u32_e32 v14, 29, v32
	v_and_b32_e32 v30, 7, v30
	v_cmp_gt_u32_e32 vcc, 8, v27
	v_cndmask_b32_e32 v14, v29, v14, vcc
	v_cndmask_b32_e32 v16, v16, v30, vcc
	v_lshlrev_b32_e32 v27, 16, v17
	v_bfrev_b32_e32 v29, 60
	v_lshlrev_b32_e32 v16, 20, v16
	v_and_b32_e32 v27, 0x80000000, v27
	v_lshl_add_u32 v14, v14, 23, v29
	v_or3_b32 v14, v27, v14, v16
	v_lshrrev_b32_e32 v16, 16, v14
.LBB855_481:
	s_or_b64 exec, exec, s[10:11]
.LBB855_482:
	s_or_b64 exec, exec, s[8:9]
.LBB855_483:
	s_or_b64 exec, exec, s[2:3]
	s_movk_i32 s2, 0xff
	v_and_b32_sdwa v30, v17, s2 dst_sel:DWORD dst_unused:UNUSED_PAD src0_sel:WORD_1 src1_sel:DWORD
	v_lshrrev_b32_e32 v14, 16, v17
	v_cmp_ne_u16_e32 vcc, 0, v30
	v_mov_b32_e32 v27, 0
	v_mov_b32_e32 v29, 0
	s_and_saveexec_b64 s[2:3], vcc
	s_cbranch_execz .LBB855_489
; %bb.484:
	s_movk_i32 s7, 0x80
	v_cmp_ne_u16_e32 vcc, s7, v30
	v_mov_b32_e32 v29, 0xffff8000
	s_and_saveexec_b64 s[8:9], vcc
	s_cbranch_execz .LBB855_488
; %bb.485:
	v_bfe_u32 v30, v17, 16, 7
	s_movk_i32 s7, 0x7f
	v_cmp_ne_u32_e32 vcc, s7, v30
	v_mov_b32_e32 v29, 0x7f80
	s_and_saveexec_b64 s[10:11], vcc
	s_cbranch_execz .LBB855_487
; %bb.486:
	v_and_b32_e32 v29, 7, v14
	v_ffbh_u32_e32 v32, v29
	v_min_u32_e32 v34, 32, v32
	v_subrev_u32_e32 v32, 28, v34
	v_lshlrev_b64 v[32:33], v32, v[14:15]
	v_lshrrev_b32_e32 v31, 3, v30
	v_sub_u32_e32 v14, 29, v34
	v_and_b32_e32 v32, 7, v32
	v_cmp_gt_u32_e32 vcc, 8, v30
	v_mov_b32_e32 v30, 24
	v_cndmask_b32_e32 v14, v31, v14, vcc
	v_cndmask_b32_e32 v29, v29, v32, vcc
	v_lshlrev_b32_sdwa v30, v30, v17 dst_sel:DWORD dst_unused:UNUSED_PAD src0_sel:DWORD src1_sel:WORD_1
	v_bfrev_b32_e32 v31, 60
	v_lshlrev_b32_e32 v29, 20, v29
	v_and_b32_e32 v30, 0x80000000, v30
	v_lshl_add_u32 v14, v14, 23, v31
	v_or3_b32 v14, v30, v14, v29
	v_lshrrev_b32_e32 v29, 16, v14
.LBB855_487:
	s_or_b64 exec, exec, s[10:11]
.LBB855_488:
	s_or_b64 exec, exec, s[8:9]
.LBB855_489:
	s_or_b64 exec, exec, s[2:3]
	s_mov_b32 s2, 0xffffff
	v_cmp_lt_u32_e32 vcc, s2, v17
	s_and_saveexec_b64 s[2:3], vcc
	s_cbranch_execz .LBB855_495
; %bb.490:
	v_lshrrev_b32_e32 v14, 24, v17
	s_movk_i32 s7, 0x80
	v_cmp_ne_u32_e32 vcc, s7, v14
	v_mov_b32_e32 v27, 0xffff8000
	s_and_saveexec_b64 s[8:9], vcc
	s_cbranch_execz .LBB855_494
; %bb.491:
	v_bfe_u32 v17, v17, 24, 7
	s_movk_i32 s7, 0x7f
	v_cmp_ne_u32_e32 vcc, s7, v17
	v_mov_b32_e32 v27, 0x7f80
	s_and_saveexec_b64 s[10:11], vcc
	s_cbranch_execz .LBB855_493
; %bb.492:
	v_and_b32_e32 v27, 7, v14
	v_ffbh_u32_e32 v30, v27
	v_min_u32_e32 v33, 32, v30
	v_subrev_u32_e32 v30, 28, v33
	v_lshlrev_b64 v[30:31], v30, v[14:15]
	v_lshrrev_b32_e32 v32, 3, v17
	v_sub_u32_e32 v31, 29, v33
	v_and_b32_e32 v30, 7, v30
	v_cmp_gt_u32_e32 vcc, 8, v17
	v_cndmask_b32_e32 v17, v32, v31, vcc
	v_cndmask_b32_e32 v27, v27, v30, vcc
	v_lshlrev_b32_e32 v14, 24, v14
	v_bfrev_b32_e32 v30, 60
	v_lshlrev_b32_e32 v27, 20, v27
	v_and_b32_e32 v14, 0x80000000, v14
	v_lshl_add_u32 v17, v17, 23, v30
	v_or3_b32 v14, v14, v17, v27
	v_lshrrev_b32_e32 v27, 16, v14
.LBB855_493:
	s_or_b64 exec, exec, s[10:11]
.LBB855_494:
	s_or_b64 exec, exec, s[8:9]
.LBB855_495:
	s_or_b64 exec, exec, s[2:3]
	s_mov_b32 s2, 0x5040100
	v_perm_b32 v25, v24, v25, s2
	v_perm_b32 v24, v15, v23, s2
	ds_read_b128 v[30:33], v22 offset:16
	v_perm_b32 v15, v27, v29, s2
	v_perm_b32 v14, v16, v26, s2
	s_waitcnt lgkmcnt(0)
	v_mfma_f32_16x16x16bf16_1k v[34:37], v[24:25], v[30:31], v[18:21]
	s_nop 6
	v_mov_b32_e32 v19, 0
	s_waitcnt vmcnt(2)
	v_cmp_ne_u16_sdwa s[8:9], v10, v19 src0_sel:BYTE_0 src1_sel:DWORD
	v_mfma_f32_16x16x16bf16_1k v[14:17], v[14:15], v[32:33], v[34:37]
	v_mov_b32_e32 v20, 0
	s_and_saveexec_b64 s[2:3], s[8:9]
	s_cbranch_execz .LBB855_501
; %bb.496:
	s_movk_i32 s7, 0x80
	v_cmp_ne_u16_sdwa s[10:11], v10, s7 src0_sel:BYTE_0 src1_sel:DWORD
	v_mov_b32_e32 v20, 0xffff8000
	s_and_saveexec_b64 s[8:9], s[10:11]
	s_cbranch_execz .LBB855_500
; %bb.497:
	s_movk_i32 s7, 0x7f
	v_and_b32_e32 v18, 0x7f, v10
	v_cmp_ne_u32_e32 vcc, s7, v18
	v_mov_b32_e32 v20, 0x7f80
	s_and_saveexec_b64 s[10:11], vcc
	s_cbranch_execz .LBB855_499
; %bb.498:
	v_and_b32_e32 v23, 7, v10
	v_ffbh_u32_e32 v20, v23
	v_min_u32_e32 v25, 32, v20
	v_subrev_u32_e32 v20, 28, v25
	v_lshlrev_b64 v[20:21], v20, v[10:11]
	v_lshrrev_b32_e32 v24, 3, v18
	v_sub_u32_e32 v21, 29, v25
	v_and_b32_e32 v20, 7, v20
	v_cmp_gt_u32_e32 vcc, 8, v18
	v_cndmask_b32_e32 v18, v24, v21, vcc
	v_cndmask_b32_e32 v20, v23, v20, vcc
	v_lshlrev_b32_e32 v21, 24, v10
	v_bfrev_b32_e32 v23, 60
	v_lshlrev_b32_e32 v20, 20, v20
	v_and_b32_e32 v21, 0x80000000, v21
	v_lshl_add_u32 v18, v18, 23, v23
	v_or3_b32 v18, v21, v18, v20
	v_lshrrev_b32_e32 v20, 16, v18
.LBB855_499:
	s_or_b64 exec, exec, s[10:11]
.LBB855_500:
	s_or_b64 exec, exec, s[8:9]
.LBB855_501:
	s_or_b64 exec, exec, s[2:3]
	v_lshrrev_b16_e32 v18, 8, v10
	v_cmp_ne_u16_e32 vcc, 0, v18
	s_and_saveexec_b64 s[2:3], vcc
	s_cbranch_execz .LBB855_507
; %bb.502:
	s_movk_i32 s7, 0x80
	v_cmp_ne_u16_e32 vcc, s7, v18
	v_mov_b32_e32 v19, 0xffff8000
	s_and_saveexec_b64 s[8:9], vcc
	s_cbranch_execz .LBB855_506
; %bb.503:
	s_movk_i32 s7, 0x7f
	v_and_b32_e32 v21, 0x7f, v18
	v_cmp_ne_u32_e32 vcc, s7, v21
	v_mov_b32_e32 v19, 0x7f80
	s_and_saveexec_b64 s[10:11], vcc
	s_cbranch_execz .LBB855_505
; %bb.504:
	v_and_b32_e32 v23, 7, v18
	v_ffbh_u32_e32 v19, v23
	v_min_u32_e32 v25, 32, v19
	v_subrev_u32_e32 v19, 28, v25
	v_lshlrev_b64 v[18:19], v19, v[18:19]
	v_lshrrev_b32_e32 v24, 3, v21
	v_sub_u32_e32 v19, 29, v25
	v_and_b32_e32 v18, 7, v18
	v_cmp_gt_u32_e32 vcc, 8, v21
	v_cndmask_b32_e32 v19, v24, v19, vcc
	v_cndmask_b32_e32 v18, v23, v18, vcc
	v_lshlrev_b32_e32 v21, 16, v10
	v_bfrev_b32_e32 v23, 60
	v_lshlrev_b32_e32 v18, 20, v18
	v_and_b32_e32 v21, 0x80000000, v21
	v_lshl_add_u32 v19, v19, 23, v23
	v_or3_b32 v18, v21, v19, v18
	v_lshrrev_b32_e32 v19, 16, v18
.LBB855_505:
	s_or_b64 exec, exec, s[10:11]
.LBB855_506:
	s_or_b64 exec, exec, s[8:9]
.LBB855_507:
	s_or_b64 exec, exec, s[2:3]
	s_movk_i32 s2, 0xff
	v_and_b32_sdwa v24, v10, s2 dst_sel:DWORD dst_unused:UNUSED_PAD src0_sel:WORD_1 src1_sel:DWORD
	v_lshrrev_b32_e32 v18, 16, v10
	v_cmp_ne_u16_e32 vcc, 0, v24
	v_mov_b32_e32 v21, 0
	v_mov_b32_e32 v23, 0
	s_and_saveexec_b64 s[2:3], vcc
	s_cbranch_execz .LBB855_513
; %bb.508:
	s_movk_i32 s7, 0x80
	v_cmp_ne_u16_e32 vcc, s7, v24
	v_mov_b32_e32 v23, 0xffff8000
	s_and_saveexec_b64 s[8:9], vcc
	s_cbranch_execz .LBB855_512
; %bb.509:
	v_bfe_u32 v24, v10, 16, 7
	s_movk_i32 s7, 0x7f
	v_cmp_ne_u32_e32 vcc, s7, v24
	v_mov_b32_e32 v23, 0x7f80
	s_and_saveexec_b64 s[10:11], vcc
	s_cbranch_execz .LBB855_511
; %bb.510:
	v_and_b32_e32 v23, 7, v18
	v_ffbh_u32_e32 v26, v23
	v_min_u32_e32 v29, 32, v26
	v_subrev_u32_e32 v26, 28, v29
	v_lshlrev_b64 v[26:27], v26, v[18:19]
	v_lshrrev_b32_e32 v25, 3, v24
	v_sub_u32_e32 v18, 29, v29
	v_and_b32_e32 v26, 7, v26
	v_cmp_gt_u32_e32 vcc, 8, v24
	v_mov_b32_e32 v24, 24
	v_cndmask_b32_e32 v18, v25, v18, vcc
	v_cndmask_b32_e32 v23, v23, v26, vcc
	v_lshlrev_b32_sdwa v24, v24, v10 dst_sel:DWORD dst_unused:UNUSED_PAD src0_sel:DWORD src1_sel:WORD_1
	v_bfrev_b32_e32 v25, 60
	v_lshlrev_b32_e32 v23, 20, v23
	v_and_b32_e32 v24, 0x80000000, v24
	v_lshl_add_u32 v18, v18, 23, v25
	v_or3_b32 v18, v24, v18, v23
	v_lshrrev_b32_e32 v23, 16, v18
.LBB855_511:
	s_or_b64 exec, exec, s[10:11]
.LBB855_512:
	s_or_b64 exec, exec, s[8:9]
.LBB855_513:
	s_or_b64 exec, exec, s[2:3]
	s_mov_b32 s2, 0xffffff
	v_cmp_lt_u32_e32 vcc, s2, v10
	s_and_saveexec_b64 s[2:3], vcc
	s_cbranch_execz .LBB855_519
; %bb.514:
	v_lshrrev_b32_e32 v18, 24, v10
	s_movk_i32 s7, 0x80
	v_cmp_ne_u32_e32 vcc, s7, v18
	v_mov_b32_e32 v21, 0xffff8000
	s_and_saveexec_b64 s[8:9], vcc
	s_cbranch_execz .LBB855_518
; %bb.515:
	v_bfe_u32 v10, v10, 24, 7
	s_movk_i32 s7, 0x7f
	v_cmp_ne_u32_e32 vcc, s7, v10
	v_mov_b32_e32 v21, 0x7f80
	s_and_saveexec_b64 s[10:11], vcc
	s_cbranch_execz .LBB855_517
; %bb.516:
	v_and_b32_e32 v21, 7, v18
	v_ffbh_u32_e32 v24, v21
	v_min_u32_e32 v27, 32, v24
	v_subrev_u32_e32 v24, 28, v27
	v_lshlrev_b64 v[24:25], v24, v[18:19]
	v_lshrrev_b32_e32 v26, 3, v10
	v_sub_u32_e32 v25, 29, v27
	v_and_b32_e32 v24, 7, v24
	v_cmp_gt_u32_e32 vcc, 8, v10
	v_cndmask_b32_e32 v10, v26, v25, vcc
	v_cndmask_b32_e32 v21, v21, v24, vcc
	v_lshlrev_b32_e32 v18, 24, v18
	v_bfrev_b32_e32 v24, 60
	v_lshlrev_b32_e32 v21, 20, v21
	v_and_b32_e32 v18, 0x80000000, v18
	v_lshl_add_u32 v10, v10, 23, v24
	v_or3_b32 v10, v18, v10, v21
	v_lshrrev_b32_e32 v21, 16, v10
.LBB855_517:
	s_or_b64 exec, exec, s[10:11]
.LBB855_518:
	s_or_b64 exec, exec, s[8:9]
.LBB855_519:
	s_or_b64 exec, exec, s[2:3]
	v_mov_b32_e32 v18, 0
	v_cmp_ne_u16_sdwa s[8:9], v11, v18 src0_sel:BYTE_0 src1_sel:DWORD
	v_mov_b32_e32 v24, 0
	s_and_saveexec_b64 s[2:3], s[8:9]
	s_cbranch_execz .LBB855_525
; %bb.520:
	s_movk_i32 s7, 0x80
	v_cmp_ne_u16_sdwa s[10:11], v11, s7 src0_sel:BYTE_0 src1_sel:DWORD
	v_mov_b32_e32 v24, 0xffff8000
	s_and_saveexec_b64 s[8:9], s[10:11]
	s_cbranch_execz .LBB855_524
; %bb.521:
	s_movk_i32 s7, 0x7f
	v_and_b32_e32 v10, 0x7f, v11
	v_cmp_ne_u32_e32 vcc, s7, v10
	v_mov_b32_e32 v24, 0x7f80
	s_and_saveexec_b64 s[10:11], vcc
	s_cbranch_execz .LBB855_523
; %bb.522:
	v_and_b32_e32 v26, 7, v11
	v_ffbh_u32_e32 v25, v26
	v_min_u32_e32 v29, 32, v25
	v_mov_b32_e32 v24, v11
	v_subrev_u32_e32 v25, 28, v29
	v_lshlrev_b64 v[24:25], v25, v[24:25]
	v_lshrrev_b32_e32 v27, 3, v10
	v_sub_u32_e32 v25, 29, v29
	v_and_b32_e32 v24, 7, v24
	v_cmp_gt_u32_e32 vcc, 8, v10
	v_cndmask_b32_e32 v10, v27, v25, vcc
	v_cndmask_b32_e32 v24, v26, v24, vcc
	v_lshlrev_b32_e32 v25, 24, v11
	v_bfrev_b32_e32 v26, 60
	v_lshlrev_b32_e32 v24, 20, v24
	v_and_b32_e32 v25, 0x80000000, v25
	v_lshl_add_u32 v10, v10, 23, v26
	v_or3_b32 v10, v25, v10, v24
	v_lshrrev_b32_e32 v24, 16, v10
.LBB855_523:
	s_or_b64 exec, exec, s[10:11]
.LBB855_524:
	s_or_b64 exec, exec, s[8:9]
.LBB855_525:
	s_or_b64 exec, exec, s[2:3]
	v_lshrrev_b16_e32 v10, 8, v11
	v_cmp_ne_u16_e32 vcc, 0, v10
	s_and_saveexec_b64 s[2:3], vcc
	s_cbranch_execz .LBB855_531
; %bb.526:
	s_movk_i32 s7, 0x80
	v_cmp_ne_u16_e32 vcc, s7, v10
	v_mov_b32_e32 v18, 0xffff8000
	s_and_saveexec_b64 s[8:9], vcc
	s_cbranch_execz .LBB855_530
; %bb.527:
	s_movk_i32 s7, 0x7f
	v_and_b32_e32 v25, 0x7f, v10
	v_cmp_ne_u32_e32 vcc, s7, v25
	v_mov_b32_e32 v18, 0x7f80
	s_and_saveexec_b64 s[10:11], vcc
	s_cbranch_execz .LBB855_529
; %bb.528:
	v_and_b32_e32 v18, 7, v10
	v_ffbh_u32_e32 v26, v18
	v_min_u32_e32 v30, 32, v26
	v_subrev_u32_e32 v26, 28, v30
	v_lshlrev_b64 v[26:27], v26, v[10:11]
	v_lshrrev_b32_e32 v29, 3, v25
	v_sub_u32_e32 v10, 29, v30
	v_and_b32_e32 v26, 7, v26
	v_cmp_gt_u32_e32 vcc, 8, v25
	v_cndmask_b32_e32 v10, v29, v10, vcc
	v_cndmask_b32_e32 v18, v18, v26, vcc
	v_lshlrev_b32_e32 v25, 16, v11
	v_bfrev_b32_e32 v26, 60
	v_lshlrev_b32_e32 v18, 20, v18
	v_and_b32_e32 v25, 0x80000000, v25
	v_lshl_add_u32 v10, v10, 23, v26
	v_or3_b32 v10, v25, v10, v18
	v_lshrrev_b32_e32 v18, 16, v10
.LBB855_529:
	s_or_b64 exec, exec, s[10:11]
.LBB855_530:
	s_or_b64 exec, exec, s[8:9]
.LBB855_531:
	s_or_b64 exec, exec, s[2:3]
	s_movk_i32 s2, 0xff
	v_and_b32_sdwa v27, v11, s2 dst_sel:DWORD dst_unused:UNUSED_PAD src0_sel:WORD_1 src1_sel:DWORD
	v_lshrrev_b32_e32 v10, 16, v11
	v_cmp_ne_u16_e32 vcc, 0, v27
	v_mov_b32_e32 v25, 0
	v_mov_b32_e32 v26, 0
	s_and_saveexec_b64 s[2:3], vcc
	s_cbranch_execz .LBB855_537
; %bb.532:
	s_movk_i32 s7, 0x80
	v_cmp_ne_u16_e32 vcc, s7, v27
	v_mov_b32_e32 v26, 0xffff8000
	s_and_saveexec_b64 s[8:9], vcc
	s_cbranch_execz .LBB855_536
; %bb.533:
	v_bfe_u32 v27, v11, 16, 7
	s_movk_i32 s7, 0x7f
	v_cmp_ne_u32_e32 vcc, s7, v27
	v_mov_b32_e32 v26, 0x7f80
	s_and_saveexec_b64 s[10:11], vcc
	s_cbranch_execz .LBB855_535
; %bb.534:
	v_and_b32_e32 v26, 7, v10
	v_ffbh_u32_e32 v30, v26
	v_min_u32_e32 v32, 32, v30
	v_subrev_u32_e32 v30, 28, v32
	v_lshlrev_b64 v[30:31], v30, v[10:11]
	v_lshrrev_b32_e32 v29, 3, v27
	v_sub_u32_e32 v10, 29, v32
	v_and_b32_e32 v30, 7, v30
	v_cmp_gt_u32_e32 vcc, 8, v27
	v_mov_b32_e32 v27, 24
	v_cndmask_b32_e32 v10, v29, v10, vcc
	v_cndmask_b32_e32 v26, v26, v30, vcc
	v_lshlrev_b32_sdwa v27, v27, v11 dst_sel:DWORD dst_unused:UNUSED_PAD src0_sel:DWORD src1_sel:WORD_1
	v_bfrev_b32_e32 v29, 60
	v_lshlrev_b32_e32 v26, 20, v26
	v_and_b32_e32 v27, 0x80000000, v27
	v_lshl_add_u32 v10, v10, 23, v29
	v_or3_b32 v10, v27, v10, v26
	v_lshrrev_b32_e32 v26, 16, v10
.LBB855_535:
	s_or_b64 exec, exec, s[10:11]
.LBB855_536:
	s_or_b64 exec, exec, s[8:9]
.LBB855_537:
	s_or_b64 exec, exec, s[2:3]
	s_mov_b32 s2, 0xffffff
	v_cmp_lt_u32_e32 vcc, s2, v11
	s_and_saveexec_b64 s[2:3], vcc
	s_cbranch_execz .LBB855_543
; %bb.538:
	v_lshrrev_b32_e32 v10, 24, v11
	s_movk_i32 s7, 0x80
	v_cmp_ne_u32_e32 vcc, s7, v10
	v_mov_b32_e32 v25, 0xffff8000
	s_and_saveexec_b64 s[8:9], vcc
	s_cbranch_execz .LBB855_542
; %bb.539:
	v_bfe_u32 v11, v11, 24, 7
	s_movk_i32 s7, 0x7f
	v_cmp_ne_u32_e32 vcc, s7, v11
	v_mov_b32_e32 v25, 0x7f80
	s_and_saveexec_b64 s[10:11], vcc
	s_cbranch_execz .LBB855_541
; %bb.540:
	v_and_b32_e32 v25, 7, v10
	v_ffbh_u32_e32 v29, v25
	v_min_u32_e32 v29, 32, v29
	v_subrev_u32_e32 v30, 28, v29
	v_lshlrev_b64 v[30:31], v30, v[10:11]
	v_lshrrev_b32_e32 v27, 3, v11
	v_sub_u32_e32 v29, 29, v29
	v_and_b32_e32 v30, 7, v30
	v_cmp_gt_u32_e32 vcc, 8, v11
	v_cndmask_b32_e32 v11, v27, v29, vcc
	v_cndmask_b32_e32 v25, v25, v30, vcc
	v_lshlrev_b32_e32 v10, 24, v10
	v_bfrev_b32_e32 v27, 60
	v_lshlrev_b32_e32 v25, 20, v25
	v_and_b32_e32 v10, 0x80000000, v10
	v_lshl_add_u32 v11, v11, 23, v27
	v_or3_b32 v10, v10, v11, v25
	v_lshrrev_b32_e32 v25, 16, v10
.LBB855_541:
	s_or_b64 exec, exec, s[10:11]
.LBB855_542:
	s_or_b64 exec, exec, s[8:9]
.LBB855_543:
	s_or_b64 exec, exec, s[2:3]
	s_mov_b32 s2, 0x5040100
	v_perm_b32 v11, v21, v23, s2
	v_perm_b32 v10, v19, v20, s2
	ds_read_b128 v[30:33], v22 offset:2048
	v_perm_b32 v21, v25, v26, s2
	v_perm_b32 v20, v18, v24, s2
	s_waitcnt lgkmcnt(0)
	v_mfma_f32_16x16x16bf16_1k v[14:17], v[10:11], v[30:31], v[14:17]
	v_mov_b32_e32 v11, 0
	v_cmp_ne_u16_sdwa s[8:9], v12, v11 src0_sel:BYTE_0 src1_sel:DWORD
	v_mov_b32_e32 v18, 0
	v_mfma_f32_16x16x16bf16_1k v[14:17], v[20:21], v[32:33], v[14:17]
	s_and_saveexec_b64 s[2:3], s[8:9]
	s_cbranch_execz .LBB855_549
; %bb.544:
	s_movk_i32 s7, 0x80
	v_cmp_ne_u16_sdwa s[10:11], v12, s7 src0_sel:BYTE_0 src1_sel:DWORD
	v_mov_b32_e32 v18, 0xffff8000
	s_and_saveexec_b64 s[8:9], s[10:11]
	s_cbranch_execz .LBB855_548
; %bb.545:
	s_movk_i32 s7, 0x7f
	v_and_b32_e32 v10, 0x7f, v12
	v_cmp_ne_u32_e32 vcc, s7, v10
	v_mov_b32_e32 v18, 0x7f80
	s_and_saveexec_b64 s[10:11], vcc
	s_cbranch_execz .LBB855_547
; %bb.546:
	v_and_b32_e32 v20, 7, v12
	v_ffbh_u32_e32 v18, v20
	v_min_u32_e32 v23, 32, v18
	v_subrev_u32_e32 v18, 28, v23
	v_lshlrev_b64 v[18:19], v18, v[12:13]
	v_lshrrev_b32_e32 v21, 3, v10
	v_sub_u32_e32 v19, 29, v23
	v_and_b32_e32 v18, 7, v18
	v_cmp_gt_u32_e32 vcc, 8, v10
	v_cndmask_b32_e32 v10, v21, v19, vcc
	v_cndmask_b32_e32 v18, v20, v18, vcc
	v_lshlrev_b32_e32 v19, 24, v12
	v_bfrev_b32_e32 v20, 60
	v_lshlrev_b32_e32 v18, 20, v18
	v_and_b32_e32 v19, 0x80000000, v19
	v_lshl_add_u32 v10, v10, 23, v20
	v_or3_b32 v10, v19, v10, v18
	v_lshrrev_b32_e32 v18, 16, v10
.LBB855_547:
	s_or_b64 exec, exec, s[10:11]
.LBB855_548:
	s_or_b64 exec, exec, s[8:9]
.LBB855_549:
	s_or_b64 exec, exec, s[2:3]
	v_lshrrev_b16_e32 v10, 8, v12
	v_cmp_ne_u16_e32 vcc, 0, v10
	s_and_saveexec_b64 s[2:3], vcc
	s_cbranch_execz .LBB855_555
; %bb.550:
	s_movk_i32 s7, 0x80
	v_cmp_ne_u16_e32 vcc, s7, v10
	v_mov_b32_e32 v11, 0xffff8000
	s_and_saveexec_b64 s[8:9], vcc
	s_cbranch_execz .LBB855_554
; %bb.551:
	s_movk_i32 s7, 0x7f
	v_and_b32_e32 v19, 0x7f, v10
	v_cmp_ne_u32_e32 vcc, s7, v19
	v_mov_b32_e32 v11, 0x7f80
	s_and_saveexec_b64 s[10:11], vcc
	s_cbranch_execz .LBB855_553
; %bb.552:
	v_and_b32_e32 v20, 7, v10
	v_ffbh_u32_e32 v11, v20
	v_min_u32_e32 v23, 32, v11
	v_subrev_u32_e32 v11, 28, v23
	v_lshlrev_b64 v[10:11], v11, v[10:11]
	v_lshrrev_b32_e32 v21, 3, v19
	v_sub_u32_e32 v11, 29, v23
	v_and_b32_e32 v10, 7, v10
	v_cmp_gt_u32_e32 vcc, 8, v19
	v_cndmask_b32_e32 v11, v21, v11, vcc
	v_cndmask_b32_e32 v10, v20, v10, vcc
	v_lshlrev_b32_e32 v19, 16, v12
	v_bfrev_b32_e32 v20, 60
	v_lshlrev_b32_e32 v10, 20, v10
	v_and_b32_e32 v19, 0x80000000, v19
	v_lshl_add_u32 v11, v11, 23, v20
	v_or3_b32 v10, v19, v11, v10
	v_lshrrev_b32_e32 v11, 16, v10
.LBB855_553:
	s_or_b64 exec, exec, s[10:11]
.LBB855_554:
	s_or_b64 exec, exec, s[8:9]
.LBB855_555:
	s_or_b64 exec, exec, s[2:3]
	s_movk_i32 s2, 0xff
	v_and_b32_sdwa v21, v12, s2 dst_sel:DWORD dst_unused:UNUSED_PAD src0_sel:WORD_1 src1_sel:DWORD
	v_lshrrev_b32_e32 v10, 16, v12
	v_cmp_ne_u16_e32 vcc, 0, v21
	v_mov_b32_e32 v19, 0
	v_mov_b32_e32 v20, 0
	s_and_saveexec_b64 s[2:3], vcc
	s_cbranch_execz .LBB855_561
; %bb.556:
	s_movk_i32 s7, 0x80
	v_cmp_ne_u16_e32 vcc, s7, v21
	v_mov_b32_e32 v20, 0xffff8000
	s_and_saveexec_b64 s[8:9], vcc
	s_cbranch_execz .LBB855_560
; %bb.557:
	v_bfe_u32 v21, v12, 16, 7
	s_movk_i32 s7, 0x7f
	v_cmp_ne_u32_e32 vcc, s7, v21
	v_mov_b32_e32 v20, 0x7f80
	s_and_saveexec_b64 s[10:11], vcc
	s_cbranch_execz .LBB855_559
; %bb.558:
	v_and_b32_e32 v20, 7, v10
	v_ffbh_u32_e32 v24, v20
	v_min_u32_e32 v26, 32, v24
	v_subrev_u32_e32 v24, 28, v26
	v_lshlrev_b64 v[24:25], v24, v[10:11]
	v_lshrrev_b32_e32 v23, 3, v21
	v_sub_u32_e32 v10, 29, v26
	v_and_b32_e32 v24, 7, v24
	v_cmp_gt_u32_e32 vcc, 8, v21
	v_mov_b32_e32 v21, 24
	v_cndmask_b32_e32 v10, v23, v10, vcc
	v_cndmask_b32_e32 v20, v20, v24, vcc
	v_lshlrev_b32_sdwa v21, v21, v12 dst_sel:DWORD dst_unused:UNUSED_PAD src0_sel:DWORD src1_sel:WORD_1
	v_bfrev_b32_e32 v23, 60
	v_lshlrev_b32_e32 v20, 20, v20
	v_and_b32_e32 v21, 0x80000000, v21
	v_lshl_add_u32 v10, v10, 23, v23
	v_or3_b32 v10, v21, v10, v20
	v_lshrrev_b32_e32 v20, 16, v10
.LBB855_559:
	s_or_b64 exec, exec, s[10:11]
.LBB855_560:
	s_or_b64 exec, exec, s[8:9]
.LBB855_561:
	s_or_b64 exec, exec, s[2:3]
	s_mov_b32 s2, 0xffffff
	v_cmp_lt_u32_e32 vcc, s2, v12
	s_and_saveexec_b64 s[2:3], vcc
	s_cbranch_execz .LBB855_567
; %bb.562:
	v_lshrrev_b32_e32 v10, 24, v12
	s_movk_i32 s7, 0x80
	v_cmp_ne_u32_e32 vcc, s7, v10
	v_mov_b32_e32 v19, 0xffff8000
	s_and_saveexec_b64 s[8:9], vcc
	s_cbranch_execz .LBB855_566
; %bb.563:
	v_bfe_u32 v12, v12, 24, 7
	s_movk_i32 s7, 0x7f
	v_cmp_ne_u32_e32 vcc, s7, v12
	v_mov_b32_e32 v19, 0x7f80
	s_and_saveexec_b64 s[10:11], vcc
	s_cbranch_execz .LBB855_565
; %bb.564:
	v_and_b32_e32 v19, 7, v10
	v_ffbh_u32_e32 v23, v19
	v_min_u32_e32 v23, 32, v23
	v_subrev_u32_e32 v24, 28, v23
	v_lshlrev_b64 v[24:25], v24, v[10:11]
	v_lshrrev_b32_e32 v21, 3, v12
	v_sub_u32_e32 v23, 29, v23
	v_and_b32_e32 v24, 7, v24
	v_cmp_gt_u32_e32 vcc, 8, v12
	v_cndmask_b32_e32 v12, v21, v23, vcc
	v_cndmask_b32_e32 v19, v19, v24, vcc
	v_lshlrev_b32_e32 v10, 24, v10
	v_bfrev_b32_e32 v21, 60
	v_lshlrev_b32_e32 v19, 20, v19
	v_and_b32_e32 v10, 0x80000000, v10
	v_lshl_add_u32 v12, v12, 23, v21
	v_or3_b32 v10, v10, v12, v19
	v_lshrrev_b32_e32 v19, 16, v10
.LBB855_565:
	s_or_b64 exec, exec, s[10:11]
.LBB855_566:
	s_or_b64 exec, exec, s[8:9]
.LBB855_567:
	s_or_b64 exec, exec, s[2:3]
	v_mov_b32_e32 v12, 0
	v_cmp_ne_u16_sdwa s[8:9], v13, v12 src0_sel:BYTE_0 src1_sel:DWORD
	v_mov_b32_e32 v21, 0
	s_and_saveexec_b64 s[2:3], s[8:9]
	s_cbranch_execz .LBB855_573
; %bb.568:
	s_movk_i32 s7, 0x80
	v_cmp_ne_u16_sdwa s[10:11], v13, s7 src0_sel:BYTE_0 src1_sel:DWORD
	v_mov_b32_e32 v21, 0xffff8000
	s_and_saveexec_b64 s[8:9], s[10:11]
	s_cbranch_execz .LBB855_572
; %bb.569:
	s_movk_i32 s7, 0x7f
	v_and_b32_e32 v10, 0x7f, v13
	v_cmp_ne_u32_e32 vcc, s7, v10
	v_mov_b32_e32 v21, 0x7f80
	s_and_saveexec_b64 s[10:11], vcc
	s_cbranch_execz .LBB855_571
; %bb.570:
	v_and_b32_e32 v21, 7, v13
	v_ffbh_u32_e32 v25, v21
	v_min_u32_e32 v26, 32, v25
	v_mov_b32_e32 v24, v13
	v_subrev_u32_e32 v25, 28, v26
	v_lshlrev_b64 v[24:25], v25, v[24:25]
	v_lshrrev_b32_e32 v23, 3, v10
	v_sub_u32_e32 v25, 29, v26
	v_and_b32_e32 v24, 7, v24
	v_cmp_gt_u32_e32 vcc, 8, v10
	v_cndmask_b32_e32 v10, v23, v25, vcc
	v_cndmask_b32_e32 v21, v21, v24, vcc
	v_lshlrev_b32_e32 v23, 24, v13
	v_bfrev_b32_e32 v24, 60
	v_lshlrev_b32_e32 v21, 20, v21
	v_and_b32_e32 v23, 0x80000000, v23
	v_lshl_add_u32 v10, v10, 23, v24
	v_or3_b32 v10, v23, v10, v21
	v_lshrrev_b32_e32 v21, 16, v10
.LBB855_571:
	s_or_b64 exec, exec, s[10:11]
.LBB855_572:
	s_or_b64 exec, exec, s[8:9]
.LBB855_573:
	s_or_b64 exec, exec, s[2:3]
	v_lshrrev_b16_e32 v10, 8, v13
	v_cmp_ne_u16_e32 vcc, 0, v10
	s_and_saveexec_b64 s[2:3], vcc
	s_cbranch_execz .LBB855_579
; %bb.574:
	s_movk_i32 s7, 0x80
	v_cmp_ne_u16_e32 vcc, s7, v10
	v_mov_b32_e32 v12, 0xffff8000
	s_and_saveexec_b64 s[8:9], vcc
	s_cbranch_execz .LBB855_578
; %bb.575:
	s_movk_i32 s7, 0x7f
	v_and_b32_e32 v23, 0x7f, v10
	v_cmp_ne_u32_e32 vcc, s7, v23
	v_mov_b32_e32 v12, 0x7f80
	s_and_saveexec_b64 s[10:11], vcc
	s_cbranch_execz .LBB855_577
; %bb.576:
	v_and_b32_e32 v12, 7, v10
	v_ffbh_u32_e32 v24, v12
	v_min_u32_e32 v27, 32, v24
	v_subrev_u32_e32 v24, 28, v27
	v_lshlrev_b64 v[24:25], v24, v[10:11]
	v_lshrrev_b32_e32 v26, 3, v23
	v_sub_u32_e32 v10, 29, v27
	v_and_b32_e32 v24, 7, v24
	v_cmp_gt_u32_e32 vcc, 8, v23
	v_cndmask_b32_e32 v10, v26, v10, vcc
	v_cndmask_b32_e32 v12, v12, v24, vcc
	v_lshlrev_b32_e32 v23, 16, v13
	v_bfrev_b32_e32 v24, 60
	v_lshlrev_b32_e32 v12, 20, v12
	v_and_b32_e32 v23, 0x80000000, v23
	v_lshl_add_u32 v10, v10, 23, v24
	v_or3_b32 v10, v23, v10, v12
	v_lshrrev_b32_e32 v12, 16, v10
.LBB855_577:
	s_or_b64 exec, exec, s[10:11]
.LBB855_578:
	s_or_b64 exec, exec, s[8:9]
.LBB855_579:
	s_or_b64 exec, exec, s[2:3]
	s_movk_i32 s2, 0xff
	v_and_b32_sdwa v25, v13, s2 dst_sel:DWORD dst_unused:UNUSED_PAD src0_sel:WORD_1 src1_sel:DWORD
	v_lshrrev_b32_e32 v10, 16, v13
	v_cmp_ne_u16_e32 vcc, 0, v25
	v_mov_b32_e32 v23, 0
	v_mov_b32_e32 v24, 0
	s_and_saveexec_b64 s[2:3], vcc
	s_cbranch_execz .LBB855_585
; %bb.580:
	s_movk_i32 s7, 0x80
	v_cmp_ne_u16_e32 vcc, s7, v25
	v_mov_b32_e32 v24, 0xffff8000
	s_and_saveexec_b64 s[8:9], vcc
	s_cbranch_execz .LBB855_584
; %bb.581:
	v_bfe_u32 v25, v13, 16, 7
	s_movk_i32 s7, 0x7f
	v_cmp_ne_u32_e32 vcc, s7, v25
	v_mov_b32_e32 v24, 0x7f80
	s_and_saveexec_b64 s[10:11], vcc
	s_cbranch_execz .LBB855_583
; %bb.582:
	v_and_b32_e32 v24, 7, v10
	v_ffbh_u32_e32 v26, v24
	v_min_u32_e32 v30, 32, v26
	v_subrev_u32_e32 v26, 28, v30
	v_lshlrev_b64 v[26:27], v26, v[10:11]
	v_lshrrev_b32_e32 v29, 3, v25
	v_sub_u32_e32 v10, 29, v30
	v_and_b32_e32 v26, 7, v26
	v_cmp_gt_u32_e32 vcc, 8, v25
	v_mov_b32_e32 v25, 24
	v_cndmask_b32_e32 v10, v29, v10, vcc
	v_cndmask_b32_e32 v24, v24, v26, vcc
	v_lshlrev_b32_sdwa v25, v25, v13 dst_sel:DWORD dst_unused:UNUSED_PAD src0_sel:DWORD src1_sel:WORD_1
	v_bfrev_b32_e32 v26, 60
	v_lshlrev_b32_e32 v24, 20, v24
	v_and_b32_e32 v25, 0x80000000, v25
	v_lshl_add_u32 v10, v10, 23, v26
	v_or3_b32 v10, v25, v10, v24
	v_lshrrev_b32_e32 v24, 16, v10
.LBB855_583:
	s_or_b64 exec, exec, s[10:11]
.LBB855_584:
	s_or_b64 exec, exec, s[8:9]
.LBB855_585:
	s_or_b64 exec, exec, s[2:3]
	s_mov_b32 s2, 0xffffff
	v_cmp_lt_u32_e32 vcc, s2, v13
	s_and_saveexec_b64 s[2:3], vcc
	s_cbranch_execz .LBB855_591
; %bb.586:
	v_lshrrev_b32_e32 v10, 24, v13
	s_movk_i32 s7, 0x80
	v_cmp_ne_u32_e32 vcc, s7, v10
	v_mov_b32_e32 v23, 0xffff8000
	s_and_saveexec_b64 s[8:9], vcc
	s_cbranch_execz .LBB855_590
; %bb.587:
	v_bfe_u32 v13, v13, 24, 7
	s_movk_i32 s7, 0x7f
	v_cmp_ne_u32_e32 vcc, s7, v13
	v_mov_b32_e32 v23, 0x7f80
	s_and_saveexec_b64 s[10:11], vcc
	s_cbranch_execz .LBB855_589
; %bb.588:
	v_and_b32_e32 v23, 7, v10
	v_ffbh_u32_e32 v26, v23
	v_min_u32_e32 v29, 32, v26
	v_subrev_u32_e32 v26, 28, v29
	v_lshlrev_b64 v[26:27], v26, v[10:11]
	v_lshrrev_b32_e32 v25, 3, v13
	v_sub_u32_e32 v27, 29, v29
	v_and_b32_e32 v26, 7, v26
	v_cmp_gt_u32_e32 vcc, 8, v13
	v_cndmask_b32_e32 v13, v25, v27, vcc
	v_cndmask_b32_e32 v23, v23, v26, vcc
	v_lshlrev_b32_e32 v10, 24, v10
	v_bfrev_b32_e32 v25, 60
	v_lshlrev_b32_e32 v23, 20, v23
	v_and_b32_e32 v10, 0x80000000, v10
	v_lshl_add_u32 v13, v13, 23, v25
	v_or3_b32 v10, v10, v13, v23
	v_lshrrev_b32_e32 v23, 16, v10
.LBB855_589:
	s_or_b64 exec, exec, s[10:11]
.LBB855_590:
	s_or_b64 exec, exec, s[8:9]
.LBB855_591:
	s_or_b64 exec, exec, s[2:3]
	s_mov_b32 s2, 0x5040100
	v_perm_b32 v19, v19, v20, s2
	v_perm_b32 v18, v11, v18, s2
	ds_read_b128 v[30:33], v22 offset:2064
	v_perm_b32 v11, v23, v24, s2
	v_perm_b32 v10, v12, v21, s2
	s_waitcnt lgkmcnt(0)
	v_mfma_f32_16x16x16bf16_1k v[34:37], v[18:19], v[30:31], v[14:17]
	s_nop 6
	v_mov_b32_e32 v15, 0
	s_waitcnt vmcnt(1)
	v_cmp_ne_u16_sdwa s[8:9], v6, v15 src0_sel:BYTE_0 src1_sel:DWORD
	v_mfma_f32_16x16x16bf16_1k v[10:13], v[10:11], v[32:33], v[34:37]
	v_mov_b32_e32 v16, 0
	s_and_saveexec_b64 s[2:3], s[8:9]
	s_cbranch_execz .LBB855_597
; %bb.592:
	s_movk_i32 s7, 0x80
	v_cmp_ne_u16_sdwa s[10:11], v6, s7 src0_sel:BYTE_0 src1_sel:DWORD
	v_mov_b32_e32 v16, 0xffff8000
	s_and_saveexec_b64 s[8:9], s[10:11]
	s_cbranch_execz .LBB855_596
; %bb.593:
	s_movk_i32 s7, 0x7f
	v_and_b32_e32 v14, 0x7f, v6
	v_cmp_ne_u32_e32 vcc, s7, v14
	v_mov_b32_e32 v16, 0x7f80
	s_and_saveexec_b64 s[10:11], vcc
	s_cbranch_execz .LBB855_595
; %bb.594:
	v_and_b32_e32 v18, 7, v6
	v_ffbh_u32_e32 v16, v18
	v_min_u32_e32 v20, 32, v16
	v_subrev_u32_e32 v16, 28, v20
	v_lshlrev_b64 v[16:17], v16, v[6:7]
	v_lshrrev_b32_e32 v19, 3, v14
	v_sub_u32_e32 v17, 29, v20
	v_and_b32_e32 v16, 7, v16
	v_cmp_gt_u32_e32 vcc, 8, v14
	v_cndmask_b32_e32 v14, v19, v17, vcc
	v_cndmask_b32_e32 v16, v18, v16, vcc
	v_lshlrev_b32_e32 v17, 24, v6
	v_bfrev_b32_e32 v18, 60
	v_lshlrev_b32_e32 v16, 20, v16
	v_and_b32_e32 v17, 0x80000000, v17
	v_lshl_add_u32 v14, v14, 23, v18
	v_or3_b32 v14, v17, v14, v16
	v_lshrrev_b32_e32 v16, 16, v14
.LBB855_595:
	s_or_b64 exec, exec, s[10:11]
.LBB855_596:
	s_or_b64 exec, exec, s[8:9]
.LBB855_597:
	s_or_b64 exec, exec, s[2:3]
	v_lshrrev_b16_e32 v14, 8, v6
	v_cmp_ne_u16_e32 vcc, 0, v14
	s_and_saveexec_b64 s[2:3], vcc
	s_cbranch_execz .LBB855_603
; %bb.598:
	s_movk_i32 s7, 0x80
	v_cmp_ne_u16_e32 vcc, s7, v14
	v_mov_b32_e32 v15, 0xffff8000
	s_and_saveexec_b64 s[8:9], vcc
	s_cbranch_execz .LBB855_602
; %bb.599:
	s_movk_i32 s7, 0x7f
	v_and_b32_e32 v17, 0x7f, v14
	v_cmp_ne_u32_e32 vcc, s7, v17
	v_mov_b32_e32 v15, 0x7f80
	s_and_saveexec_b64 s[10:11], vcc
	s_cbranch_execz .LBB855_601
; %bb.600:
	v_and_b32_e32 v18, 7, v14
	v_ffbh_u32_e32 v15, v18
	v_min_u32_e32 v20, 32, v15
	v_subrev_u32_e32 v15, 28, v20
	v_lshlrev_b64 v[14:15], v15, v[14:15]
	v_lshrrev_b32_e32 v19, 3, v17
	v_sub_u32_e32 v15, 29, v20
	v_and_b32_e32 v14, 7, v14
	v_cmp_gt_u32_e32 vcc, 8, v17
	v_cndmask_b32_e32 v15, v19, v15, vcc
	v_cndmask_b32_e32 v14, v18, v14, vcc
	v_lshlrev_b32_e32 v17, 16, v6
	v_bfrev_b32_e32 v18, 60
	v_lshlrev_b32_e32 v14, 20, v14
	v_and_b32_e32 v17, 0x80000000, v17
	v_lshl_add_u32 v15, v15, 23, v18
	v_or3_b32 v14, v17, v15, v14
	v_lshrrev_b32_e32 v15, 16, v14
.LBB855_601:
	s_or_b64 exec, exec, s[10:11]
.LBB855_602:
	s_or_b64 exec, exec, s[8:9]
.LBB855_603:
	s_or_b64 exec, exec, s[2:3]
	s_movk_i32 s2, 0xff
	v_and_b32_sdwa v19, v6, s2 dst_sel:DWORD dst_unused:UNUSED_PAD src0_sel:WORD_1 src1_sel:DWORD
	v_lshrrev_b32_e32 v14, 16, v6
	v_cmp_ne_u16_e32 vcc, 0, v19
	v_mov_b32_e32 v17, 0
	v_mov_b32_e32 v18, 0
	s_and_saveexec_b64 s[2:3], vcc
	s_cbranch_execz .LBB855_609
; %bb.604:
	s_movk_i32 s7, 0x80
	v_cmp_ne_u16_e32 vcc, s7, v19
	v_mov_b32_e32 v18, 0xffff8000
	s_and_saveexec_b64 s[8:9], vcc
	s_cbranch_execz .LBB855_608
; %bb.605:
	v_bfe_u32 v19, v6, 16, 7
	s_movk_i32 s7, 0x7f
	v_cmp_ne_u32_e32 vcc, s7, v19
	v_mov_b32_e32 v18, 0x7f80
	s_and_saveexec_b64 s[10:11], vcc
	s_cbranch_execz .LBB855_607
; %bb.606:
	v_and_b32_e32 v18, 7, v14
	v_ffbh_u32_e32 v20, v18
	v_min_u32_e32 v24, 32, v20
	v_subrev_u32_e32 v20, 28, v24
	v_lshlrev_b64 v[20:21], v20, v[14:15]
	v_lshrrev_b32_e32 v23, 3, v19
	v_sub_u32_e32 v14, 29, v24
	v_and_b32_e32 v20, 7, v20
	v_cmp_gt_u32_e32 vcc, 8, v19
	v_mov_b32_e32 v19, 24
	v_cndmask_b32_e32 v14, v23, v14, vcc
	v_cndmask_b32_e32 v18, v18, v20, vcc
	v_lshlrev_b32_sdwa v19, v19, v6 dst_sel:DWORD dst_unused:UNUSED_PAD src0_sel:DWORD src1_sel:WORD_1
	v_bfrev_b32_e32 v20, 60
	v_lshlrev_b32_e32 v18, 20, v18
	v_and_b32_e32 v19, 0x80000000, v19
	v_lshl_add_u32 v14, v14, 23, v20
	v_or3_b32 v14, v19, v14, v18
	v_lshrrev_b32_e32 v18, 16, v14
.LBB855_607:
	s_or_b64 exec, exec, s[10:11]
.LBB855_608:
	s_or_b64 exec, exec, s[8:9]
.LBB855_609:
	s_or_b64 exec, exec, s[2:3]
	s_mov_b32 s2, 0xffffff
	v_cmp_lt_u32_e32 vcc, s2, v6
	s_and_saveexec_b64 s[2:3], vcc
	s_cbranch_execz .LBB855_615
; %bb.610:
	v_lshrrev_b32_e32 v14, 24, v6
	s_movk_i32 s7, 0x80
	v_cmp_ne_u32_e32 vcc, s7, v14
	v_mov_b32_e32 v17, 0xffff8000
	s_and_saveexec_b64 s[8:9], vcc
	s_cbranch_execz .LBB855_614
; %bb.611:
	v_bfe_u32 v6, v6, 24, 7
	s_movk_i32 s7, 0x7f
	v_cmp_ne_u32_e32 vcc, s7, v6
	v_mov_b32_e32 v17, 0x7f80
	s_and_saveexec_b64 s[10:11], vcc
	s_cbranch_execz .LBB855_613
; %bb.612:
	v_and_b32_e32 v17, 7, v14
	v_ffbh_u32_e32 v20, v17
	v_min_u32_e32 v23, 32, v20
	v_subrev_u32_e32 v20, 28, v23
	v_lshlrev_b64 v[20:21], v20, v[14:15]
	v_lshrrev_b32_e32 v19, 3, v6
	v_sub_u32_e32 v21, 29, v23
	v_and_b32_e32 v20, 7, v20
	v_cmp_gt_u32_e32 vcc, 8, v6
	v_cndmask_b32_e32 v6, v19, v21, vcc
	v_cndmask_b32_e32 v17, v17, v20, vcc
	v_lshlrev_b32_e32 v14, 24, v14
	v_bfrev_b32_e32 v19, 60
	v_lshlrev_b32_e32 v17, 20, v17
	v_and_b32_e32 v14, 0x80000000, v14
	v_lshl_add_u32 v6, v6, 23, v19
	v_or3_b32 v6, v14, v6, v17
	v_lshrrev_b32_e32 v17, 16, v6
.LBB855_613:
	s_or_b64 exec, exec, s[10:11]
.LBB855_614:
	s_or_b64 exec, exec, s[8:9]
.LBB855_615:
	s_or_b64 exec, exec, s[2:3]
	v_mov_b32_e32 v14, 0
	v_cmp_ne_u16_sdwa s[8:9], v7, v14 src0_sel:BYTE_0 src1_sel:DWORD
	v_mov_b32_e32 v19, 0
	s_and_saveexec_b64 s[2:3], s[8:9]
	s_cbranch_execz .LBB855_621
; %bb.616:
	s_movk_i32 s7, 0x80
	v_cmp_ne_u16_sdwa s[10:11], v7, s7 src0_sel:BYTE_0 src1_sel:DWORD
	v_mov_b32_e32 v19, 0xffff8000
	s_and_saveexec_b64 s[8:9], s[10:11]
	s_cbranch_execz .LBB855_620
; %bb.617:
	s_movk_i32 s7, 0x7f
	v_and_b32_e32 v6, 0x7f, v7
	v_cmp_ne_u32_e32 vcc, s7, v6
	v_mov_b32_e32 v19, 0x7f80
	s_and_saveexec_b64 s[10:11], vcc
	s_cbranch_execz .LBB855_619
; %bb.618:
	v_and_b32_e32 v19, 7, v7
	v_ffbh_u32_e32 v21, v19
	v_min_u32_e32 v24, 32, v21
	v_mov_b32_e32 v20, v7
	v_subrev_u32_e32 v21, 28, v24
	v_lshlrev_b64 v[20:21], v21, v[20:21]
	v_lshrrev_b32_e32 v23, 3, v6
	v_sub_u32_e32 v21, 29, v24
	v_and_b32_e32 v20, 7, v20
	v_cmp_gt_u32_e32 vcc, 8, v6
	v_cndmask_b32_e32 v6, v23, v21, vcc
	v_cndmask_b32_e32 v19, v19, v20, vcc
	v_lshlrev_b32_e32 v20, 24, v7
	v_bfrev_b32_e32 v21, 60
	v_lshlrev_b32_e32 v19, 20, v19
	v_and_b32_e32 v20, 0x80000000, v20
	v_lshl_add_u32 v6, v6, 23, v21
	v_or3_b32 v6, v20, v6, v19
	v_lshrrev_b32_e32 v19, 16, v6
.LBB855_619:
	s_or_b64 exec, exec, s[10:11]
.LBB855_620:
	s_or_b64 exec, exec, s[8:9]
.LBB855_621:
	s_or_b64 exec, exec, s[2:3]
	v_lshrrev_b16_e32 v6, 8, v7
	v_cmp_ne_u16_e32 vcc, 0, v6
	s_and_saveexec_b64 s[2:3], vcc
	s_cbranch_execz .LBB855_627
; %bb.622:
	s_movk_i32 s7, 0x80
	v_cmp_ne_u16_e32 vcc, s7, v6
	v_mov_b32_e32 v14, 0xffff8000
	s_and_saveexec_b64 s[8:9], vcc
	s_cbranch_execz .LBB855_626
; %bb.623:
	s_movk_i32 s7, 0x7f
	v_and_b32_e32 v20, 0x7f, v6
	v_cmp_ne_u32_e32 vcc, s7, v20
	v_mov_b32_e32 v14, 0x7f80
	s_and_saveexec_b64 s[10:11], vcc
	s_cbranch_execz .LBB855_625
; %bb.624:
	v_and_b32_e32 v14, 7, v6
	v_ffbh_u32_e32 v23, v14
	v_min_u32_e32 v23, 32, v23
	v_subrev_u32_e32 v24, 28, v23
	v_lshlrev_b64 v[24:25], v24, v[6:7]
	v_lshrrev_b32_e32 v21, 3, v20
	v_sub_u32_e32 v6, 29, v23
	v_and_b32_e32 v23, 7, v24
	v_cmp_gt_u32_e32 vcc, 8, v20
	v_cndmask_b32_e32 v6, v21, v6, vcc
	v_cndmask_b32_e32 v14, v14, v23, vcc
	v_lshlrev_b32_e32 v20, 16, v7
	v_bfrev_b32_e32 v21, 60
	v_lshlrev_b32_e32 v14, 20, v14
	v_and_b32_e32 v20, 0x80000000, v20
	v_lshl_add_u32 v6, v6, 23, v21
	v_or3_b32 v6, v20, v6, v14
	v_lshrrev_b32_e32 v14, 16, v6
.LBB855_625:
	s_or_b64 exec, exec, s[10:11]
.LBB855_626:
	s_or_b64 exec, exec, s[8:9]
.LBB855_627:
	s_or_b64 exec, exec, s[2:3]
	s_movk_i32 s2, 0xff
	v_and_b32_sdwa v23, v7, s2 dst_sel:DWORD dst_unused:UNUSED_PAD src0_sel:WORD_1 src1_sel:DWORD
	v_lshrrev_b32_e32 v6, 16, v7
	v_cmp_ne_u16_e32 vcc, 0, v23
	v_mov_b32_e32 v20, 0
	v_mov_b32_e32 v21, 0
	s_and_saveexec_b64 s[2:3], vcc
	s_cbranch_execz .LBB855_633
; %bb.628:
	s_movk_i32 s7, 0x80
	v_cmp_ne_u16_e32 vcc, s7, v23
	v_mov_b32_e32 v21, 0xffff8000
	s_and_saveexec_b64 s[8:9], vcc
	s_cbranch_execz .LBB855_632
; %bb.629:
	v_bfe_u32 v23, v7, 16, 7
	s_movk_i32 s7, 0x7f
	v_cmp_ne_u32_e32 vcc, s7, v23
	v_mov_b32_e32 v21, 0x7f80
	s_and_saveexec_b64 s[10:11], vcc
	s_cbranch_execz .LBB855_631
; %bb.630:
	v_and_b32_e32 v21, 7, v6
	v_ffbh_u32_e32 v24, v21
	v_min_u32_e32 v27, 32, v24
	v_subrev_u32_e32 v24, 28, v27
	v_lshlrev_b64 v[24:25], v24, v[6:7]
	v_lshrrev_b32_e32 v26, 3, v23
	v_sub_u32_e32 v6, 29, v27
	v_and_b32_e32 v24, 7, v24
	v_cmp_gt_u32_e32 vcc, 8, v23
	v_mov_b32_e32 v23, 24
	v_cndmask_b32_e32 v6, v26, v6, vcc
	v_cndmask_b32_e32 v21, v21, v24, vcc
	v_lshlrev_b32_sdwa v23, v23, v7 dst_sel:DWORD dst_unused:UNUSED_PAD src0_sel:DWORD src1_sel:WORD_1
	v_bfrev_b32_e32 v24, 60
	v_lshlrev_b32_e32 v21, 20, v21
	v_and_b32_e32 v23, 0x80000000, v23
	v_lshl_add_u32 v6, v6, 23, v24
	v_or3_b32 v6, v23, v6, v21
	v_lshrrev_b32_e32 v21, 16, v6
.LBB855_631:
	s_or_b64 exec, exec, s[10:11]
.LBB855_632:
	s_or_b64 exec, exec, s[8:9]
.LBB855_633:
	s_or_b64 exec, exec, s[2:3]
	s_mov_b32 s2, 0xffffff
	v_cmp_lt_u32_e32 vcc, s2, v7
	s_and_saveexec_b64 s[2:3], vcc
	s_cbranch_execz .LBB855_639
; %bb.634:
	v_lshrrev_b32_e32 v6, 24, v7
	s_movk_i32 s7, 0x80
	v_cmp_ne_u32_e32 vcc, s7, v6
	v_mov_b32_e32 v20, 0xffff8000
	s_and_saveexec_b64 s[8:9], vcc
	s_cbranch_execz .LBB855_638
; %bb.635:
	v_bfe_u32 v7, v7, 24, 7
	s_movk_i32 s7, 0x7f
	v_cmp_ne_u32_e32 vcc, s7, v7
	v_mov_b32_e32 v20, 0x7f80
	s_and_saveexec_b64 s[10:11], vcc
	s_cbranch_execz .LBB855_637
; %bb.636:
	v_and_b32_e32 v20, 7, v6
	v_ffbh_u32_e32 v24, v20
	v_min_u32_e32 v26, 32, v24
	v_subrev_u32_e32 v24, 28, v26
	v_lshlrev_b64 v[24:25], v24, v[6:7]
	v_lshrrev_b32_e32 v23, 3, v7
	v_sub_u32_e32 v25, 29, v26
	v_and_b32_e32 v24, 7, v24
	v_cmp_gt_u32_e32 vcc, 8, v7
	v_cndmask_b32_e32 v7, v23, v25, vcc
	v_cndmask_b32_e32 v20, v20, v24, vcc
	v_lshlrev_b32_e32 v6, 24, v6
	v_bfrev_b32_e32 v23, 60
	v_lshlrev_b32_e32 v20, 20, v20
	v_and_b32_e32 v6, 0x80000000, v6
	v_lshl_add_u32 v7, v7, 23, v23
	v_or3_b32 v6, v6, v7, v20
	v_lshrrev_b32_e32 v20, 16, v6
.LBB855_637:
	s_or_b64 exec, exec, s[10:11]
.LBB855_638:
	s_or_b64 exec, exec, s[8:9]
.LBB855_639:
	s_or_b64 exec, exec, s[2:3]
	s_mov_b32 s2, 0x5040100
	v_perm_b32 v7, v17, v18, s2
	v_perm_b32 v6, v15, v16, s2
	ds_read_b128 v[24:27], v22 offset:4096
	v_perm_b32 v17, v20, v21, s2
	v_perm_b32 v16, v14, v19, s2
	s_waitcnt lgkmcnt(0)
	v_mfma_f32_16x16x16bf16_1k v[10:13], v[6:7], v[24:25], v[10:13]
	v_mov_b32_e32 v7, 0
	v_cmp_ne_u16_sdwa s[8:9], v8, v7 src0_sel:BYTE_0 src1_sel:DWORD
	v_mov_b32_e32 v14, 0
	v_mfma_f32_16x16x16bf16_1k v[10:13], v[16:17], v[26:27], v[10:13]
	s_and_saveexec_b64 s[2:3], s[8:9]
	s_cbranch_execz .LBB855_645
; %bb.640:
	s_movk_i32 s7, 0x80
	v_cmp_ne_u16_sdwa s[10:11], v8, s7 src0_sel:BYTE_0 src1_sel:DWORD
	v_mov_b32_e32 v14, 0xffff8000
	s_and_saveexec_b64 s[8:9], s[10:11]
	s_cbranch_execz .LBB855_644
; %bb.641:
	s_movk_i32 s7, 0x7f
	v_and_b32_e32 v6, 0x7f, v8
	v_cmp_ne_u32_e32 vcc, s7, v6
	v_mov_b32_e32 v14, 0x7f80
	s_and_saveexec_b64 s[10:11], vcc
	s_cbranch_execz .LBB855_643
; %bb.642:
	v_and_b32_e32 v16, 7, v8
	v_ffbh_u32_e32 v14, v16
	v_min_u32_e32 v18, 32, v14
	v_subrev_u32_e32 v14, 28, v18
	v_lshlrev_b64 v[14:15], v14, v[8:9]
	v_lshrrev_b32_e32 v17, 3, v6
	v_sub_u32_e32 v15, 29, v18
	v_and_b32_e32 v14, 7, v14
	v_cmp_gt_u32_e32 vcc, 8, v6
	v_cndmask_b32_e32 v6, v17, v15, vcc
	v_cndmask_b32_e32 v14, v16, v14, vcc
	v_lshlrev_b32_e32 v15, 24, v8
	v_bfrev_b32_e32 v16, 60
	v_lshlrev_b32_e32 v14, 20, v14
	v_and_b32_e32 v15, 0x80000000, v15
	v_lshl_add_u32 v6, v6, 23, v16
	v_or3_b32 v6, v15, v6, v14
	v_lshrrev_b32_e32 v14, 16, v6
.LBB855_643:
	s_or_b64 exec, exec, s[10:11]
.LBB855_644:
	s_or_b64 exec, exec, s[8:9]
.LBB855_645:
	s_or_b64 exec, exec, s[2:3]
	v_lshrrev_b16_e32 v6, 8, v8
	v_cmp_ne_u16_e32 vcc, 0, v6
	s_and_saveexec_b64 s[2:3], vcc
	s_cbranch_execz .LBB855_651
; %bb.646:
	s_movk_i32 s7, 0x80
	v_cmp_ne_u16_e32 vcc, s7, v6
	v_mov_b32_e32 v7, 0xffff8000
	s_and_saveexec_b64 s[8:9], vcc
	s_cbranch_execz .LBB855_650
; %bb.647:
	s_movk_i32 s7, 0x7f
	v_and_b32_e32 v15, 0x7f, v6
	v_cmp_ne_u32_e32 vcc, s7, v15
	v_mov_b32_e32 v7, 0x7f80
	s_and_saveexec_b64 s[10:11], vcc
	s_cbranch_execz .LBB855_649
; %bb.648:
	v_and_b32_e32 v16, 7, v6
	v_ffbh_u32_e32 v7, v16
	v_min_u32_e32 v18, 32, v7
	v_subrev_u32_e32 v7, 28, v18
	v_lshlrev_b64 v[6:7], v7, v[6:7]
	v_lshrrev_b32_e32 v17, 3, v15
	v_sub_u32_e32 v7, 29, v18
	v_and_b32_e32 v6, 7, v6
	v_cmp_gt_u32_e32 vcc, 8, v15
	v_cndmask_b32_e32 v7, v17, v7, vcc
	v_cndmask_b32_e32 v6, v16, v6, vcc
	v_lshlrev_b32_e32 v15, 16, v8
	v_bfrev_b32_e32 v16, 60
	v_lshlrev_b32_e32 v6, 20, v6
	v_and_b32_e32 v15, 0x80000000, v15
	v_lshl_add_u32 v7, v7, 23, v16
	v_or3_b32 v6, v15, v7, v6
	v_lshrrev_b32_e32 v7, 16, v6
.LBB855_649:
	s_or_b64 exec, exec, s[10:11]
.LBB855_650:
	s_or_b64 exec, exec, s[8:9]
.LBB855_651:
	s_or_b64 exec, exec, s[2:3]
	s_movk_i32 s2, 0xff
	v_and_b32_sdwa v17, v8, s2 dst_sel:DWORD dst_unused:UNUSED_PAD src0_sel:WORD_1 src1_sel:DWORD
	v_lshrrev_b32_e32 v6, 16, v8
	v_cmp_ne_u16_e32 vcc, 0, v17
	v_mov_b32_e32 v15, 0
	v_mov_b32_e32 v16, 0
	s_and_saveexec_b64 s[2:3], vcc
	s_cbranch_execz .LBB855_657
; %bb.652:
	s_movk_i32 s7, 0x80
	v_cmp_ne_u16_e32 vcc, s7, v17
	v_mov_b32_e32 v16, 0xffff8000
	s_and_saveexec_b64 s[8:9], vcc
	s_cbranch_execz .LBB855_656
; %bb.653:
	v_bfe_u32 v17, v8, 16, 7
	s_movk_i32 s7, 0x7f
	v_cmp_ne_u32_e32 vcc, s7, v17
	v_mov_b32_e32 v16, 0x7f80
	s_and_saveexec_b64 s[10:11], vcc
	s_cbranch_execz .LBB855_655
; %bb.654:
	v_and_b32_e32 v16, 7, v6
	v_ffbh_u32_e32 v18, v16
	v_min_u32_e32 v21, 32, v18
	v_subrev_u32_e32 v18, 28, v21
	v_lshlrev_b64 v[18:19], v18, v[6:7]
	v_lshrrev_b32_e32 v20, 3, v17
	v_sub_u32_e32 v6, 29, v21
	v_and_b32_e32 v18, 7, v18
	v_cmp_gt_u32_e32 vcc, 8, v17
	v_mov_b32_e32 v17, 24
	v_cndmask_b32_e32 v6, v20, v6, vcc
	v_cndmask_b32_e32 v16, v16, v18, vcc
	v_lshlrev_b32_sdwa v17, v17, v8 dst_sel:DWORD dst_unused:UNUSED_PAD src0_sel:DWORD src1_sel:WORD_1
	v_bfrev_b32_e32 v18, 60
	v_lshlrev_b32_e32 v16, 20, v16
	v_and_b32_e32 v17, 0x80000000, v17
	v_lshl_add_u32 v6, v6, 23, v18
	v_or3_b32 v6, v17, v6, v16
	v_lshrrev_b32_e32 v16, 16, v6
.LBB855_655:
	s_or_b64 exec, exec, s[10:11]
.LBB855_656:
	s_or_b64 exec, exec, s[8:9]
.LBB855_657:
	s_or_b64 exec, exec, s[2:3]
	s_mov_b32 s2, 0xffffff
	v_cmp_lt_u32_e32 vcc, s2, v8
	s_and_saveexec_b64 s[2:3], vcc
	s_cbranch_execz .LBB855_663
; %bb.658:
	v_lshrrev_b32_e32 v6, 24, v8
	s_movk_i32 s7, 0x80
	v_cmp_ne_u32_e32 vcc, s7, v6
	v_mov_b32_e32 v15, 0xffff8000
	s_and_saveexec_b64 s[8:9], vcc
	s_cbranch_execz .LBB855_662
; %bb.659:
	v_bfe_u32 v8, v8, 24, 7
	s_movk_i32 s7, 0x7f
	v_cmp_ne_u32_e32 vcc, s7, v8
	v_mov_b32_e32 v15, 0x7f80
	s_and_saveexec_b64 s[10:11], vcc
	s_cbranch_execz .LBB855_661
; %bb.660:
	v_and_b32_e32 v15, 7, v6
	v_ffbh_u32_e32 v18, v15
	v_min_u32_e32 v20, 32, v18
	v_subrev_u32_e32 v18, 28, v20
	v_lshlrev_b64 v[18:19], v18, v[6:7]
	v_lshrrev_b32_e32 v17, 3, v8
	v_sub_u32_e32 v19, 29, v20
	v_and_b32_e32 v18, 7, v18
	v_cmp_gt_u32_e32 vcc, 8, v8
	v_cndmask_b32_e32 v8, v17, v19, vcc
	v_cndmask_b32_e32 v15, v15, v18, vcc
	v_lshlrev_b32_e32 v6, 24, v6
	v_bfrev_b32_e32 v17, 60
	v_lshlrev_b32_e32 v15, 20, v15
	v_and_b32_e32 v6, 0x80000000, v6
	v_lshl_add_u32 v8, v8, 23, v17
	v_or3_b32 v6, v6, v8, v15
	v_lshrrev_b32_e32 v15, 16, v6
.LBB855_661:
	s_or_b64 exec, exec, s[10:11]
.LBB855_662:
	s_or_b64 exec, exec, s[8:9]
.LBB855_663:
	s_or_b64 exec, exec, s[2:3]
	v_mov_b32_e32 v8, 0
	v_cmp_ne_u16_sdwa s[8:9], v9, v8 src0_sel:BYTE_0 src1_sel:DWORD
	v_mov_b32_e32 v17, 0
	s_and_saveexec_b64 s[2:3], s[8:9]
	s_cbranch_execz .LBB855_669
; %bb.664:
	s_movk_i32 s7, 0x80
	v_cmp_ne_u16_sdwa s[10:11], v9, s7 src0_sel:BYTE_0 src1_sel:DWORD
	v_mov_b32_e32 v17, 0xffff8000
	s_and_saveexec_b64 s[8:9], s[10:11]
	s_cbranch_execz .LBB855_668
; %bb.665:
	s_movk_i32 s7, 0x7f
	v_and_b32_e32 v6, 0x7f, v9
	v_cmp_ne_u32_e32 vcc, s7, v6
	v_mov_b32_e32 v17, 0x7f80
	s_and_saveexec_b64 s[10:11], vcc
	s_cbranch_execz .LBB855_667
; %bb.666:
	v_and_b32_e32 v17, 7, v9
	v_ffbh_u32_e32 v19, v17
	v_min_u32_e32 v21, 32, v19
	v_mov_b32_e32 v18, v9
	v_subrev_u32_e32 v19, 28, v21
	v_lshlrev_b64 v[18:19], v19, v[18:19]
	v_lshrrev_b32_e32 v20, 3, v6
	v_sub_u32_e32 v19, 29, v21
	v_and_b32_e32 v18, 7, v18
	v_cmp_gt_u32_e32 vcc, 8, v6
	v_cndmask_b32_e32 v6, v20, v19, vcc
	v_cndmask_b32_e32 v17, v17, v18, vcc
	v_lshlrev_b32_e32 v18, 24, v9
	v_bfrev_b32_e32 v19, 60
	v_lshlrev_b32_e32 v17, 20, v17
	v_and_b32_e32 v18, 0x80000000, v18
	v_lshl_add_u32 v6, v6, 23, v19
	v_or3_b32 v6, v18, v6, v17
	v_lshrrev_b32_e32 v17, 16, v6
.LBB855_667:
	s_or_b64 exec, exec, s[10:11]
.LBB855_668:
	s_or_b64 exec, exec, s[8:9]
.LBB855_669:
	s_or_b64 exec, exec, s[2:3]
	v_lshrrev_b16_e32 v6, 8, v9
	v_cmp_ne_u16_e32 vcc, 0, v6
	s_and_saveexec_b64 s[2:3], vcc
	s_cbranch_execz .LBB855_675
; %bb.670:
	s_movk_i32 s7, 0x80
	v_cmp_ne_u16_e32 vcc, s7, v6
	v_mov_b32_e32 v8, 0xffff8000
	s_and_saveexec_b64 s[8:9], vcc
	s_cbranch_execz .LBB855_674
; %bb.671:
	s_movk_i32 s7, 0x7f
	v_and_b32_e32 v18, 0x7f, v6
	v_cmp_ne_u32_e32 vcc, s7, v18
	v_mov_b32_e32 v8, 0x7f80
	s_and_saveexec_b64 s[10:11], vcc
	s_cbranch_execz .LBB855_673
; %bb.672:
	v_and_b32_e32 v8, 7, v6
	v_ffbh_u32_e32 v20, v8
	v_min_u32_e32 v23, 32, v20
	v_subrev_u32_e32 v20, 28, v23
	v_lshlrev_b64 v[20:21], v20, v[6:7]
	v_lshrrev_b32_e32 v19, 3, v18
	v_sub_u32_e32 v6, 29, v23
	v_and_b32_e32 v20, 7, v20
	v_cmp_gt_u32_e32 vcc, 8, v18
	v_cndmask_b32_e32 v6, v19, v6, vcc
	v_cndmask_b32_e32 v8, v8, v20, vcc
	v_lshlrev_b32_e32 v18, 16, v9
	v_bfrev_b32_e32 v19, 60
	v_lshlrev_b32_e32 v8, 20, v8
	v_and_b32_e32 v18, 0x80000000, v18
	v_lshl_add_u32 v6, v6, 23, v19
	v_or3_b32 v6, v18, v6, v8
	v_lshrrev_b32_e32 v8, 16, v6
.LBB855_673:
	s_or_b64 exec, exec, s[10:11]
.LBB855_674:
	s_or_b64 exec, exec, s[8:9]
.LBB855_675:
	s_or_b64 exec, exec, s[2:3]
	s_movk_i32 s2, 0xff
	v_and_b32_sdwa v20, v9, s2 dst_sel:DWORD dst_unused:UNUSED_PAD src0_sel:WORD_1 src1_sel:DWORD
	v_lshrrev_b32_e32 v6, 16, v9
	v_cmp_ne_u16_e32 vcc, 0, v20
	v_mov_b32_e32 v18, 0
	v_mov_b32_e32 v19, 0
	s_and_saveexec_b64 s[2:3], vcc
	s_cbranch_execz .LBB855_681
; %bb.676:
	s_movk_i32 s7, 0x80
	v_cmp_ne_u16_e32 vcc, s7, v20
	v_mov_b32_e32 v19, 0xffff8000
	s_and_saveexec_b64 s[8:9], vcc
	s_cbranch_execz .LBB855_680
; %bb.677:
	v_bfe_u32 v20, v9, 16, 7
	s_movk_i32 s7, 0x7f
	v_cmp_ne_u32_e32 vcc, s7, v20
	v_mov_b32_e32 v19, 0x7f80
	s_and_saveexec_b64 s[10:11], vcc
	s_cbranch_execz .LBB855_679
; %bb.678:
	v_and_b32_e32 v19, 7, v6
	v_ffbh_u32_e32 v23, v19
	v_min_u32_e32 v23, 32, v23
	v_subrev_u32_e32 v24, 28, v23
	v_lshlrev_b64 v[24:25], v24, v[6:7]
	v_lshrrev_b32_e32 v21, 3, v20
	v_sub_u32_e32 v6, 29, v23
	v_and_b32_e32 v23, 7, v24
	v_cmp_gt_u32_e32 vcc, 8, v20
	v_mov_b32_e32 v20, 24
	v_cndmask_b32_e32 v6, v21, v6, vcc
	v_cndmask_b32_e32 v19, v19, v23, vcc
	v_lshlrev_b32_sdwa v20, v20, v9 dst_sel:DWORD dst_unused:UNUSED_PAD src0_sel:DWORD src1_sel:WORD_1
	v_bfrev_b32_e32 v21, 60
	v_lshlrev_b32_e32 v19, 20, v19
	v_and_b32_e32 v20, 0x80000000, v20
	v_lshl_add_u32 v6, v6, 23, v21
	v_or3_b32 v6, v20, v6, v19
	v_lshrrev_b32_e32 v19, 16, v6
.LBB855_679:
	s_or_b64 exec, exec, s[10:11]
.LBB855_680:
	s_or_b64 exec, exec, s[8:9]
.LBB855_681:
	s_or_b64 exec, exec, s[2:3]
	s_mov_b32 s2, 0xffffff
	v_cmp_lt_u32_e32 vcc, s2, v9
	s_and_saveexec_b64 s[2:3], vcc
	s_cbranch_execz .LBB855_687
; %bb.682:
	v_lshrrev_b32_e32 v6, 24, v9
	s_movk_i32 s7, 0x80
	v_cmp_ne_u32_e32 vcc, s7, v6
	v_mov_b32_e32 v18, 0xffff8000
	s_and_saveexec_b64 s[8:9], vcc
	s_cbranch_execz .LBB855_686
; %bb.683:
	v_bfe_u32 v9, v9, 24, 7
	s_movk_i32 s7, 0x7f
	v_cmp_ne_u32_e32 vcc, s7, v9
	v_mov_b32_e32 v18, 0x7f80
	s_and_saveexec_b64 s[10:11], vcc
	s_cbranch_execz .LBB855_685
; %bb.684:
	v_and_b32_e32 v18, 7, v6
	v_ffbh_u32_e32 v20, v18
	v_min_u32_e32 v24, 32, v20
	v_subrev_u32_e32 v20, 28, v24
	v_lshlrev_b64 v[20:21], v20, v[6:7]
	v_lshrrev_b32_e32 v23, 3, v9
	v_sub_u32_e32 v21, 29, v24
	v_and_b32_e32 v20, 7, v20
	v_cmp_gt_u32_e32 vcc, 8, v9
	v_cndmask_b32_e32 v9, v23, v21, vcc
	v_cndmask_b32_e32 v18, v18, v20, vcc
	v_lshlrev_b32_e32 v6, 24, v6
	v_bfrev_b32_e32 v20, 60
	v_lshlrev_b32_e32 v18, 20, v18
	v_and_b32_e32 v6, 0x80000000, v6
	v_lshl_add_u32 v9, v9, 23, v20
	v_or3_b32 v6, v6, v9, v18
	v_lshrrev_b32_e32 v18, 16, v6
.LBB855_685:
	s_or_b64 exec, exec, s[10:11]
.LBB855_686:
	s_or_b64 exec, exec, s[8:9]
.LBB855_687:
	s_or_b64 exec, exec, s[2:3]
	s_mov_b32 s2, 0x5040100
	v_perm_b32 v15, v15, v16, s2
	v_perm_b32 v14, v7, v14, s2
	ds_read_b128 v[24:27], v22 offset:4112
	v_perm_b32 v7, v18, v19, s2
	v_perm_b32 v6, v8, v17, s2
	s_waitcnt lgkmcnt(0)
	v_mfma_f32_16x16x16bf16_1k v[30:33], v[14:15], v[24:25], v[10:13]
	s_nop 6
	v_mov_b32_e32 v11, 0
	s_waitcnt vmcnt(0)
	v_cmp_ne_u16_sdwa s[8:9], v2, v11 src0_sel:BYTE_0 src1_sel:DWORD
	v_mfma_f32_16x16x16bf16_1k v[6:9], v[6:7], v[26:27], v[30:33]
	v_mov_b32_e32 v12, 0
	s_and_saveexec_b64 s[2:3], s[8:9]
	s_cbranch_execz .LBB855_693
; %bb.688:
	s_movk_i32 s7, 0x80
	v_cmp_ne_u16_sdwa s[10:11], v2, s7 src0_sel:BYTE_0 src1_sel:DWORD
	v_mov_b32_e32 v12, 0xffff8000
	s_and_saveexec_b64 s[8:9], s[10:11]
	s_cbranch_execz .LBB855_692
; %bb.689:
	s_movk_i32 s7, 0x7f
	v_and_b32_e32 v10, 0x7f, v2
	v_cmp_ne_u32_e32 vcc, s7, v10
	v_mov_b32_e32 v12, 0x7f80
	s_and_saveexec_b64 s[10:11], vcc
	s_cbranch_execz .LBB855_691
; %bb.690:
	v_and_b32_e32 v14, 7, v2
	v_ffbh_u32_e32 v12, v14
	v_min_u32_e32 v16, 32, v12
	v_subrev_u32_e32 v12, 28, v16
	v_lshlrev_b64 v[12:13], v12, v[2:3]
	v_lshrrev_b32_e32 v15, 3, v10
	v_sub_u32_e32 v13, 29, v16
	v_and_b32_e32 v12, 7, v12
	v_cmp_gt_u32_e32 vcc, 8, v10
	v_cndmask_b32_e32 v10, v15, v13, vcc
	v_cndmask_b32_e32 v12, v14, v12, vcc
	v_lshlrev_b32_e32 v13, 24, v2
	v_bfrev_b32_e32 v14, 60
	v_lshlrev_b32_e32 v12, 20, v12
	v_and_b32_e32 v13, 0x80000000, v13
	v_lshl_add_u32 v10, v10, 23, v14
	v_or3_b32 v10, v13, v10, v12
	v_lshrrev_b32_e32 v12, 16, v10
.LBB855_691:
	s_or_b64 exec, exec, s[10:11]
.LBB855_692:
	s_or_b64 exec, exec, s[8:9]
.LBB855_693:
	s_or_b64 exec, exec, s[2:3]
	v_lshrrev_b16_e32 v10, 8, v2
	v_cmp_ne_u16_e32 vcc, 0, v10
	s_and_saveexec_b64 s[2:3], vcc
	s_cbranch_execz .LBB855_699
; %bb.694:
	s_movk_i32 s7, 0x80
	v_cmp_ne_u16_e32 vcc, s7, v10
	v_mov_b32_e32 v11, 0xffff8000
	s_and_saveexec_b64 s[8:9], vcc
	s_cbranch_execz .LBB855_698
; %bb.695:
	s_movk_i32 s7, 0x7f
	v_and_b32_e32 v13, 0x7f, v10
	v_cmp_ne_u32_e32 vcc, s7, v13
	v_mov_b32_e32 v11, 0x7f80
	s_and_saveexec_b64 s[10:11], vcc
	s_cbranch_execz .LBB855_697
; %bb.696:
	v_and_b32_e32 v14, 7, v10
	v_ffbh_u32_e32 v11, v14
	v_min_u32_e32 v16, 32, v11
	v_subrev_u32_e32 v11, 28, v16
	v_lshlrev_b64 v[10:11], v11, v[10:11]
	v_lshrrev_b32_e32 v15, 3, v13
	v_sub_u32_e32 v11, 29, v16
	v_and_b32_e32 v10, 7, v10
	v_cmp_gt_u32_e32 vcc, 8, v13
	v_cndmask_b32_e32 v11, v15, v11, vcc
	v_cndmask_b32_e32 v10, v14, v10, vcc
	v_lshlrev_b32_e32 v13, 16, v2
	v_bfrev_b32_e32 v14, 60
	v_lshlrev_b32_e32 v10, 20, v10
	v_and_b32_e32 v13, 0x80000000, v13
	v_lshl_add_u32 v11, v11, 23, v14
	v_or3_b32 v10, v13, v11, v10
	v_lshrrev_b32_e32 v11, 16, v10
.LBB855_697:
	s_or_b64 exec, exec, s[10:11]
.LBB855_698:
	s_or_b64 exec, exec, s[8:9]
.LBB855_699:
	s_or_b64 exec, exec, s[2:3]
	s_movk_i32 s2, 0xff
	v_and_b32_sdwa v15, v2, s2 dst_sel:DWORD dst_unused:UNUSED_PAD src0_sel:WORD_1 src1_sel:DWORD
	v_lshrrev_b32_e32 v10, 16, v2
	v_cmp_ne_u16_e32 vcc, 0, v15
	v_mov_b32_e32 v13, 0
	v_mov_b32_e32 v14, 0
	s_and_saveexec_b64 s[2:3], vcc
	s_cbranch_execz .LBB855_705
; %bb.700:
	s_movk_i32 s7, 0x80
	v_cmp_ne_u16_e32 vcc, s7, v15
	v_mov_b32_e32 v14, 0xffff8000
	s_and_saveexec_b64 s[8:9], vcc
	s_cbranch_execz .LBB855_704
; %bb.701:
	v_bfe_u32 v15, v2, 16, 7
	s_movk_i32 s7, 0x7f
	v_cmp_ne_u32_e32 vcc, s7, v15
	v_mov_b32_e32 v14, 0x7f80
	s_and_saveexec_b64 s[10:11], vcc
	s_cbranch_execz .LBB855_703
; %bb.702:
	v_and_b32_e32 v14, 7, v10
	v_ffbh_u32_e32 v16, v14
	v_min_u32_e32 v19, 32, v16
	v_subrev_u32_e32 v16, 28, v19
	v_lshlrev_b64 v[16:17], v16, v[10:11]
	v_lshrrev_b32_e32 v18, 3, v15
	v_sub_u32_e32 v10, 29, v19
	v_and_b32_e32 v16, 7, v16
	v_cmp_gt_u32_e32 vcc, 8, v15
	v_mov_b32_e32 v15, 24
	v_cndmask_b32_e32 v10, v18, v10, vcc
	v_cndmask_b32_e32 v14, v14, v16, vcc
	v_lshlrev_b32_sdwa v15, v15, v2 dst_sel:DWORD dst_unused:UNUSED_PAD src0_sel:DWORD src1_sel:WORD_1
	v_bfrev_b32_e32 v16, 60
	v_lshlrev_b32_e32 v14, 20, v14
	v_and_b32_e32 v15, 0x80000000, v15
	v_lshl_add_u32 v10, v10, 23, v16
	v_or3_b32 v10, v15, v10, v14
	v_lshrrev_b32_e32 v14, 16, v10
.LBB855_703:
	s_or_b64 exec, exec, s[10:11]
.LBB855_704:
	s_or_b64 exec, exec, s[8:9]
.LBB855_705:
	s_or_b64 exec, exec, s[2:3]
	s_mov_b32 s2, 0xffffff
	v_cmp_lt_u32_e32 vcc, s2, v2
	s_and_saveexec_b64 s[2:3], vcc
	s_cbranch_execz .LBB855_711
; %bb.706:
	v_lshrrev_b32_e32 v10, 24, v2
	s_movk_i32 s7, 0x80
	v_cmp_ne_u32_e32 vcc, s7, v10
	v_mov_b32_e32 v13, 0xffff8000
	s_and_saveexec_b64 s[8:9], vcc
	s_cbranch_execz .LBB855_710
; %bb.707:
	v_bfe_u32 v2, v2, 24, 7
	s_movk_i32 s7, 0x7f
	v_cmp_ne_u32_e32 vcc, s7, v2
	v_mov_b32_e32 v13, 0x7f80
	s_and_saveexec_b64 s[10:11], vcc
	s_cbranch_execz .LBB855_709
; %bb.708:
	v_and_b32_e32 v13, 7, v10
	v_ffbh_u32_e32 v16, v13
	v_min_u32_e32 v18, 32, v16
	v_subrev_u32_e32 v16, 28, v18
	v_lshlrev_b64 v[16:17], v16, v[10:11]
	v_lshrrev_b32_e32 v15, 3, v2
	v_sub_u32_e32 v17, 29, v18
	v_and_b32_e32 v16, 7, v16
	v_cmp_gt_u32_e32 vcc, 8, v2
	v_cndmask_b32_e32 v2, v15, v17, vcc
	v_cndmask_b32_e32 v13, v13, v16, vcc
	v_lshlrev_b32_e32 v10, 24, v10
	v_bfrev_b32_e32 v15, 60
	v_lshlrev_b32_e32 v13, 20, v13
	v_and_b32_e32 v10, 0x80000000, v10
	v_lshl_add_u32 v2, v2, 23, v15
	v_or3_b32 v2, v10, v2, v13
	v_lshrrev_b32_e32 v13, 16, v2
.LBB855_709:
	s_or_b64 exec, exec, s[10:11]
.LBB855_710:
	s_or_b64 exec, exec, s[8:9]
.LBB855_711:
	s_or_b64 exec, exec, s[2:3]
	v_mov_b32_e32 v10, 0
	v_cmp_ne_u16_sdwa s[8:9], v3, v10 src0_sel:BYTE_0 src1_sel:DWORD
	v_mov_b32_e32 v15, 0
	s_and_saveexec_b64 s[2:3], s[8:9]
	s_cbranch_execz .LBB855_717
; %bb.712:
	s_movk_i32 s7, 0x80
	v_cmp_ne_u16_sdwa s[10:11], v3, s7 src0_sel:BYTE_0 src1_sel:DWORD
	v_mov_b32_e32 v15, 0xffff8000
	s_and_saveexec_b64 s[8:9], s[10:11]
	s_cbranch_execz .LBB855_716
; %bb.713:
	s_movk_i32 s7, 0x7f
	v_and_b32_e32 v2, 0x7f, v3
	v_cmp_ne_u32_e32 vcc, s7, v2
	v_mov_b32_e32 v15, 0x7f80
	s_and_saveexec_b64 s[10:11], vcc
	s_cbranch_execz .LBB855_715
; %bb.714:
	v_and_b32_e32 v15, 7, v3
	v_ffbh_u32_e32 v17, v15
	v_min_u32_e32 v19, 32, v17
	v_mov_b32_e32 v16, v3
	v_subrev_u32_e32 v17, 28, v19
	v_lshlrev_b64 v[16:17], v17, v[16:17]
	v_lshrrev_b32_e32 v18, 3, v2
	v_sub_u32_e32 v17, 29, v19
	v_and_b32_e32 v16, 7, v16
	v_cmp_gt_u32_e32 vcc, 8, v2
	v_cndmask_b32_e32 v2, v18, v17, vcc
	v_cndmask_b32_e32 v15, v15, v16, vcc
	v_lshlrev_b32_e32 v16, 24, v3
	v_bfrev_b32_e32 v17, 60
	v_lshlrev_b32_e32 v15, 20, v15
	v_and_b32_e32 v16, 0x80000000, v16
	v_lshl_add_u32 v2, v2, 23, v17
	v_or3_b32 v2, v16, v2, v15
	v_lshrrev_b32_e32 v15, 16, v2
.LBB855_715:
	s_or_b64 exec, exec, s[10:11]
.LBB855_716:
	s_or_b64 exec, exec, s[8:9]
.LBB855_717:
	s_or_b64 exec, exec, s[2:3]
	v_lshrrev_b16_e32 v2, 8, v3
	v_cmp_ne_u16_e32 vcc, 0, v2
	s_and_saveexec_b64 s[2:3], vcc
	s_cbranch_execz .LBB855_723
; %bb.718:
	s_movk_i32 s7, 0x80
	v_cmp_ne_u16_e32 vcc, s7, v2
	v_mov_b32_e32 v10, 0xffff8000
	s_and_saveexec_b64 s[8:9], vcc
	s_cbranch_execz .LBB855_722
; %bb.719:
	s_movk_i32 s7, 0x7f
	v_and_b32_e32 v16, 0x7f, v2
	v_cmp_ne_u32_e32 vcc, s7, v16
	v_mov_b32_e32 v10, 0x7f80
	s_and_saveexec_b64 s[10:11], vcc
	s_cbranch_execz .LBB855_721
; %bb.720:
	v_and_b32_e32 v10, 7, v2
	v_ffbh_u32_e32 v18, v10
	v_min_u32_e32 v20, 32, v18
	v_subrev_u32_e32 v18, 28, v20
	v_lshlrev_b64 v[18:19], v18, v[2:3]
	v_lshrrev_b32_e32 v17, 3, v16
	v_sub_u32_e32 v2, 29, v20
	v_and_b32_e32 v18, 7, v18
	v_cmp_gt_u32_e32 vcc, 8, v16
	v_cndmask_b32_e32 v2, v17, v2, vcc
	v_cndmask_b32_e32 v10, v10, v18, vcc
	v_lshlrev_b32_e32 v16, 16, v3
	v_bfrev_b32_e32 v17, 60
	v_lshlrev_b32_e32 v10, 20, v10
	v_and_b32_e32 v16, 0x80000000, v16
	v_lshl_add_u32 v2, v2, 23, v17
	v_or3_b32 v2, v16, v2, v10
	v_lshrrev_b32_e32 v10, 16, v2
.LBB855_721:
	s_or_b64 exec, exec, s[10:11]
.LBB855_722:
	s_or_b64 exec, exec, s[8:9]
.LBB855_723:
	s_or_b64 exec, exec, s[2:3]
	s_movk_i32 s2, 0xff
	v_and_b32_sdwa v18, v3, s2 dst_sel:DWORD dst_unused:UNUSED_PAD src0_sel:WORD_1 src1_sel:DWORD
	v_lshrrev_b32_e32 v2, 16, v3
	v_cmp_ne_u16_e32 vcc, 0, v18
	v_mov_b32_e32 v16, 0
	v_mov_b32_e32 v17, 0
	s_and_saveexec_b64 s[2:3], vcc
	s_cbranch_execz .LBB855_729
; %bb.724:
	s_movk_i32 s7, 0x80
	v_cmp_ne_u16_e32 vcc, s7, v18
	v_mov_b32_e32 v17, 0xffff8000
	s_and_saveexec_b64 s[8:9], vcc
	s_cbranch_execz .LBB855_728
; %bb.725:
	v_bfe_u32 v18, v3, 16, 7
	s_movk_i32 s7, 0x7f
	v_cmp_ne_u32_e32 vcc, s7, v18
	v_mov_b32_e32 v17, 0x7f80
	s_and_saveexec_b64 s[10:11], vcc
	s_cbranch_execz .LBB855_727
; %bb.726:
	v_and_b32_e32 v17, 7, v2
	v_ffbh_u32_e32 v20, v17
	v_min_u32_e32 v23, 32, v20
	v_subrev_u32_e32 v20, 28, v23
	v_lshlrev_b64 v[20:21], v20, v[2:3]
	v_lshrrev_b32_e32 v19, 3, v18
	v_sub_u32_e32 v2, 29, v23
	v_and_b32_e32 v20, 7, v20
	v_cmp_gt_u32_e32 vcc, 8, v18
	v_mov_b32_e32 v18, 24
	v_cndmask_b32_e32 v2, v19, v2, vcc
	v_cndmask_b32_e32 v17, v17, v20, vcc
	v_lshlrev_b32_sdwa v18, v18, v3 dst_sel:DWORD dst_unused:UNUSED_PAD src0_sel:DWORD src1_sel:WORD_1
	v_bfrev_b32_e32 v19, 60
	v_lshlrev_b32_e32 v17, 20, v17
	v_and_b32_e32 v18, 0x80000000, v18
	v_lshl_add_u32 v2, v2, 23, v19
	v_or3_b32 v2, v18, v2, v17
	v_lshrrev_b32_e32 v17, 16, v2
.LBB855_727:
	s_or_b64 exec, exec, s[10:11]
.LBB855_728:
	s_or_b64 exec, exec, s[8:9]
.LBB855_729:
	s_or_b64 exec, exec, s[2:3]
	s_mov_b32 s2, 0xffffff
	v_cmp_lt_u32_e32 vcc, s2, v3
	s_and_saveexec_b64 s[2:3], vcc
	s_cbranch_execz .LBB855_735
; %bb.730:
	v_lshrrev_b32_e32 v2, 24, v3
	s_movk_i32 s7, 0x80
	v_cmp_ne_u32_e32 vcc, s7, v2
	v_mov_b32_e32 v16, 0xffff8000
	s_and_saveexec_b64 s[8:9], vcc
	s_cbranch_execz .LBB855_734
; %bb.731:
	v_bfe_u32 v3, v3, 24, 7
	s_movk_i32 s7, 0x7f
	v_cmp_ne_u32_e32 vcc, s7, v3
	v_mov_b32_e32 v16, 0x7f80
	s_and_saveexec_b64 s[10:11], vcc
	s_cbranch_execz .LBB855_733
; %bb.732:
	v_and_b32_e32 v16, 7, v2
	v_ffbh_u32_e32 v18, v16
	v_min_u32_e32 v21, 32, v18
	v_subrev_u32_e32 v18, 28, v21
	v_lshlrev_b64 v[18:19], v18, v[2:3]
	v_lshrrev_b32_e32 v20, 3, v3
	v_sub_u32_e32 v19, 29, v21
	v_and_b32_e32 v18, 7, v18
	v_cmp_gt_u32_e32 vcc, 8, v3
	v_cndmask_b32_e32 v3, v20, v19, vcc
	v_cndmask_b32_e32 v16, v16, v18, vcc
	v_lshlrev_b32_e32 v2, 24, v2
	v_bfrev_b32_e32 v18, 60
	v_lshlrev_b32_e32 v16, 20, v16
	v_and_b32_e32 v2, 0x80000000, v2
	v_lshl_add_u32 v3, v3, 23, v18
	v_or3_b32 v2, v2, v3, v16
	v_lshrrev_b32_e32 v16, 16, v2
.LBB855_733:
	s_or_b64 exec, exec, s[10:11]
.LBB855_734:
	s_or_b64 exec, exec, s[8:9]
.LBB855_735:
	s_or_b64 exec, exec, s[2:3]
	s_mov_b32 s2, 0x5040100
	v_perm_b32 v3, v13, v14, s2
	v_perm_b32 v2, v11, v12, s2
	ds_read_b128 v[18:21], v22 offset:6144
	v_perm_b32 v13, v16, v17, s2
	v_perm_b32 v12, v10, v15, s2
	s_waitcnt lgkmcnt(0)
	v_mfma_f32_16x16x16bf16_1k v[6:9], v[2:3], v[18:19], v[6:9]
	v_mov_b32_e32 v3, 0
	v_cmp_ne_u16_sdwa s[8:9], v4, v3 src0_sel:BYTE_0 src1_sel:DWORD
	v_mov_b32_e32 v10, 0
	v_mfma_f32_16x16x16bf16_1k v[6:9], v[12:13], v[20:21], v[6:9]
	s_and_saveexec_b64 s[2:3], s[8:9]
	s_cbranch_execz .LBB855_741
; %bb.736:
	s_movk_i32 s7, 0x80
	v_cmp_ne_u16_sdwa s[10:11], v4, s7 src0_sel:BYTE_0 src1_sel:DWORD
	v_mov_b32_e32 v10, 0xffff8000
	s_and_saveexec_b64 s[8:9], s[10:11]
	s_cbranch_execz .LBB855_740
; %bb.737:
	s_movk_i32 s7, 0x7f
	v_and_b32_e32 v2, 0x7f, v4
	v_cmp_ne_u32_e32 vcc, s7, v2
	v_mov_b32_e32 v10, 0x7f80
	s_and_saveexec_b64 s[10:11], vcc
	s_cbranch_execz .LBB855_739
; %bb.738:
	v_and_b32_e32 v12, 7, v4
	v_ffbh_u32_e32 v10, v12
	v_min_u32_e32 v14, 32, v10
	v_subrev_u32_e32 v10, 28, v14
	v_lshlrev_b64 v[10:11], v10, v[4:5]
	v_lshrrev_b32_e32 v13, 3, v2
	v_sub_u32_e32 v11, 29, v14
	v_and_b32_e32 v10, 7, v10
	v_cmp_gt_u32_e32 vcc, 8, v2
	v_cndmask_b32_e32 v2, v13, v11, vcc
	v_cndmask_b32_e32 v10, v12, v10, vcc
	v_lshlrev_b32_e32 v11, 24, v4
	v_bfrev_b32_e32 v12, 60
	v_lshlrev_b32_e32 v10, 20, v10
	v_and_b32_e32 v11, 0x80000000, v11
	v_lshl_add_u32 v2, v2, 23, v12
	v_or3_b32 v2, v11, v2, v10
	v_lshrrev_b32_e32 v10, 16, v2
.LBB855_739:
	s_or_b64 exec, exec, s[10:11]
.LBB855_740:
	s_or_b64 exec, exec, s[8:9]
.LBB855_741:
	s_or_b64 exec, exec, s[2:3]
	v_lshrrev_b16_e32 v2, 8, v4
	v_cmp_ne_u16_e32 vcc, 0, v2
	s_and_saveexec_b64 s[2:3], vcc
	s_cbranch_execz .LBB855_747
; %bb.742:
	s_movk_i32 s7, 0x80
	v_cmp_ne_u16_e32 vcc, s7, v2
	v_mov_b32_e32 v3, 0xffff8000
	s_and_saveexec_b64 s[8:9], vcc
	s_cbranch_execz .LBB855_746
; %bb.743:
	s_movk_i32 s7, 0x7f
	v_and_b32_e32 v11, 0x7f, v2
	v_cmp_ne_u32_e32 vcc, s7, v11
	v_mov_b32_e32 v3, 0x7f80
	s_and_saveexec_b64 s[10:11], vcc
	s_cbranch_execz .LBB855_745
; %bb.744:
	v_and_b32_e32 v12, 7, v2
	v_ffbh_u32_e32 v3, v12
	v_min_u32_e32 v14, 32, v3
	v_subrev_u32_e32 v3, 28, v14
	v_lshlrev_b64 v[2:3], v3, v[2:3]
	v_lshrrev_b32_e32 v13, 3, v11
	v_sub_u32_e32 v3, 29, v14
	v_and_b32_e32 v2, 7, v2
	v_cmp_gt_u32_e32 vcc, 8, v11
	v_cndmask_b32_e32 v3, v13, v3, vcc
	v_cndmask_b32_e32 v2, v12, v2, vcc
	v_lshlrev_b32_e32 v11, 16, v4
	v_bfrev_b32_e32 v12, 60
	v_lshlrev_b32_e32 v2, 20, v2
	v_and_b32_e32 v11, 0x80000000, v11
	v_lshl_add_u32 v3, v3, 23, v12
	v_or3_b32 v2, v11, v3, v2
	v_lshrrev_b32_e32 v3, 16, v2
.LBB855_745:
	s_or_b64 exec, exec, s[10:11]
.LBB855_746:
	s_or_b64 exec, exec, s[8:9]
.LBB855_747:
	s_or_b64 exec, exec, s[2:3]
	s_movk_i32 s2, 0xff
	v_and_b32_sdwa v13, v4, s2 dst_sel:DWORD dst_unused:UNUSED_PAD src0_sel:WORD_1 src1_sel:DWORD
	v_lshrrev_b32_e32 v2, 16, v4
	v_cmp_ne_u16_e32 vcc, 0, v13
	v_mov_b32_e32 v11, 0
	v_mov_b32_e32 v12, 0
	s_and_saveexec_b64 s[2:3], vcc
	s_cbranch_execz .LBB855_753
; %bb.748:
	s_movk_i32 s7, 0x80
	v_cmp_ne_u16_e32 vcc, s7, v13
	v_mov_b32_e32 v12, 0xffff8000
	s_and_saveexec_b64 s[8:9], vcc
	s_cbranch_execz .LBB855_752
; %bb.749:
	v_bfe_u32 v13, v4, 16, 7
	s_movk_i32 s7, 0x7f
	v_cmp_ne_u32_e32 vcc, s7, v13
	v_mov_b32_e32 v12, 0x7f80
	s_and_saveexec_b64 s[10:11], vcc
	s_cbranch_execz .LBB855_751
; %bb.750:
	v_and_b32_e32 v12, 7, v2
	v_ffbh_u32_e32 v14, v12
	v_min_u32_e32 v17, 32, v14
	v_subrev_u32_e32 v14, 28, v17
	v_lshlrev_b64 v[14:15], v14, v[2:3]
	v_lshrrev_b32_e32 v16, 3, v13
	v_sub_u32_e32 v2, 29, v17
	v_and_b32_e32 v14, 7, v14
	v_cmp_gt_u32_e32 vcc, 8, v13
	v_mov_b32_e32 v13, 24
	v_cndmask_b32_e32 v2, v16, v2, vcc
	v_cndmask_b32_e32 v12, v12, v14, vcc
	v_lshlrev_b32_sdwa v13, v13, v4 dst_sel:DWORD dst_unused:UNUSED_PAD src0_sel:DWORD src1_sel:WORD_1
	v_bfrev_b32_e32 v14, 60
	v_lshlrev_b32_e32 v12, 20, v12
	v_and_b32_e32 v13, 0x80000000, v13
	v_lshl_add_u32 v2, v2, 23, v14
	v_or3_b32 v2, v13, v2, v12
	v_lshrrev_b32_e32 v12, 16, v2
.LBB855_751:
	s_or_b64 exec, exec, s[10:11]
.LBB855_752:
	s_or_b64 exec, exec, s[8:9]
.LBB855_753:
	s_or_b64 exec, exec, s[2:3]
	s_mov_b32 s2, 0xffffff
	v_cmp_lt_u32_e32 vcc, s2, v4
	s_and_saveexec_b64 s[2:3], vcc
	s_cbranch_execz .LBB855_759
; %bb.754:
	v_lshrrev_b32_e32 v2, 24, v4
	s_movk_i32 s7, 0x80
	v_cmp_ne_u32_e32 vcc, s7, v2
	v_mov_b32_e32 v11, 0xffff8000
	s_and_saveexec_b64 s[8:9], vcc
	s_cbranch_execz .LBB855_758
; %bb.755:
	v_bfe_u32 v4, v4, 24, 7
	s_movk_i32 s7, 0x7f
	v_cmp_ne_u32_e32 vcc, s7, v4
	v_mov_b32_e32 v11, 0x7f80
	s_and_saveexec_b64 s[10:11], vcc
	s_cbranch_execz .LBB855_757
; %bb.756:
	v_and_b32_e32 v11, 7, v2
	v_ffbh_u32_e32 v14, v11
	v_min_u32_e32 v16, 32, v14
	v_subrev_u32_e32 v14, 28, v16
	v_lshlrev_b64 v[14:15], v14, v[2:3]
	v_lshrrev_b32_e32 v13, 3, v4
	v_sub_u32_e32 v15, 29, v16
	v_and_b32_e32 v14, 7, v14
	v_cmp_gt_u32_e32 vcc, 8, v4
	v_cndmask_b32_e32 v4, v13, v15, vcc
	v_cndmask_b32_e32 v11, v11, v14, vcc
	v_lshlrev_b32_e32 v2, 24, v2
	v_bfrev_b32_e32 v13, 60
	v_lshlrev_b32_e32 v11, 20, v11
	v_and_b32_e32 v2, 0x80000000, v2
	v_lshl_add_u32 v4, v4, 23, v13
	v_or3_b32 v2, v2, v4, v11
	v_lshrrev_b32_e32 v11, 16, v2
.LBB855_757:
	s_or_b64 exec, exec, s[10:11]
.LBB855_758:
	s_or_b64 exec, exec, s[8:9]
.LBB855_759:
	s_or_b64 exec, exec, s[2:3]
	v_mov_b32_e32 v4, 0
	v_cmp_ne_u16_sdwa s[8:9], v5, v4 src0_sel:BYTE_0 src1_sel:DWORD
	v_mov_b32_e32 v13, 0
	s_and_saveexec_b64 s[2:3], s[8:9]
	s_cbranch_execz .LBB855_765
; %bb.760:
	s_movk_i32 s7, 0x80
	v_cmp_ne_u16_sdwa s[10:11], v5, s7 src0_sel:BYTE_0 src1_sel:DWORD
	v_mov_b32_e32 v13, 0xffff8000
	s_and_saveexec_b64 s[8:9], s[10:11]
	s_cbranch_execz .LBB855_764
; %bb.761:
	s_movk_i32 s7, 0x7f
	v_and_b32_e32 v2, 0x7f, v5
	v_cmp_ne_u32_e32 vcc, s7, v2
	v_mov_b32_e32 v13, 0x7f80
	s_and_saveexec_b64 s[10:11], vcc
	s_cbranch_execz .LBB855_763
; %bb.762:
	v_and_b32_e32 v13, 7, v5
	v_ffbh_u32_e32 v15, v13
	v_min_u32_e32 v17, 32, v15
	v_mov_b32_e32 v14, v5
	v_subrev_u32_e32 v15, 28, v17
	v_lshlrev_b64 v[14:15], v15, v[14:15]
	v_lshrrev_b32_e32 v16, 3, v2
	v_sub_u32_e32 v15, 29, v17
	v_and_b32_e32 v14, 7, v14
	v_cmp_gt_u32_e32 vcc, 8, v2
	v_cndmask_b32_e32 v2, v16, v15, vcc
	v_cndmask_b32_e32 v13, v13, v14, vcc
	v_lshlrev_b32_e32 v14, 24, v5
	v_bfrev_b32_e32 v15, 60
	v_lshlrev_b32_e32 v13, 20, v13
	v_and_b32_e32 v14, 0x80000000, v14
	v_lshl_add_u32 v2, v2, 23, v15
	v_or3_b32 v2, v14, v2, v13
	v_lshrrev_b32_e32 v13, 16, v2
.LBB855_763:
	s_or_b64 exec, exec, s[10:11]
.LBB855_764:
	s_or_b64 exec, exec, s[8:9]
.LBB855_765:
	s_or_b64 exec, exec, s[2:3]
	v_lshrrev_b16_e32 v2, 8, v5
	v_cmp_ne_u16_e32 vcc, 0, v2
	s_and_saveexec_b64 s[2:3], vcc
	s_cbranch_execz .LBB855_771
; %bb.766:
	s_movk_i32 s7, 0x80
	v_cmp_ne_u16_e32 vcc, s7, v2
	v_mov_b32_e32 v4, 0xffff8000
	s_and_saveexec_b64 s[8:9], vcc
	s_cbranch_execz .LBB855_770
; %bb.767:
	s_movk_i32 s7, 0x7f
	v_and_b32_e32 v14, 0x7f, v2
	v_cmp_ne_u32_e32 vcc, s7, v14
	v_mov_b32_e32 v4, 0x7f80
	s_and_saveexec_b64 s[10:11], vcc
	s_cbranch_execz .LBB855_769
; %bb.768:
	v_and_b32_e32 v4, 7, v2
	v_ffbh_u32_e32 v16, v4
	v_min_u32_e32 v18, 32, v16
	v_subrev_u32_e32 v16, 28, v18
	v_lshlrev_b64 v[16:17], v16, v[2:3]
	v_lshrrev_b32_e32 v15, 3, v14
	v_sub_u32_e32 v2, 29, v18
	v_and_b32_e32 v16, 7, v16
	v_cmp_gt_u32_e32 vcc, 8, v14
	v_cndmask_b32_e32 v2, v15, v2, vcc
	v_cndmask_b32_e32 v4, v4, v16, vcc
	v_lshlrev_b32_e32 v14, 16, v5
	v_bfrev_b32_e32 v15, 60
	v_lshlrev_b32_e32 v4, 20, v4
	v_and_b32_e32 v14, 0x80000000, v14
	v_lshl_add_u32 v2, v2, 23, v15
	v_or3_b32 v2, v14, v2, v4
	v_lshrrev_b32_e32 v4, 16, v2
.LBB855_769:
	s_or_b64 exec, exec, s[10:11]
.LBB855_770:
	s_or_b64 exec, exec, s[8:9]
.LBB855_771:
	s_or_b64 exec, exec, s[2:3]
	s_movk_i32 s2, 0xff
	v_and_b32_sdwa v16, v5, s2 dst_sel:DWORD dst_unused:UNUSED_PAD src0_sel:WORD_1 src1_sel:DWORD
	v_lshrrev_b32_e32 v2, 16, v5
	v_cmp_ne_u16_e32 vcc, 0, v16
	v_mov_b32_e32 v14, 0
	v_mov_b32_e32 v15, 0
	s_and_saveexec_b64 s[2:3], vcc
	s_cbranch_execz .LBB855_777
; %bb.772:
	s_movk_i32 s7, 0x80
	v_cmp_ne_u16_e32 vcc, s7, v16
	v_mov_b32_e32 v15, 0xffff8000
	s_and_saveexec_b64 s[8:9], vcc
	s_cbranch_execz .LBB855_776
; %bb.773:
	v_bfe_u32 v16, v5, 16, 7
	s_movk_i32 s7, 0x7f
	v_cmp_ne_u32_e32 vcc, s7, v16
	v_mov_b32_e32 v15, 0x7f80
	s_and_saveexec_b64 s[10:11], vcc
	s_cbranch_execz .LBB855_775
; %bb.774:
	v_and_b32_e32 v15, 7, v2
	v_ffbh_u32_e32 v18, v15
	v_min_u32_e32 v20, 32, v18
	v_subrev_u32_e32 v18, 28, v20
	v_lshlrev_b64 v[18:19], v18, v[2:3]
	v_lshrrev_b32_e32 v17, 3, v16
	v_sub_u32_e32 v2, 29, v20
	v_and_b32_e32 v18, 7, v18
	v_cmp_gt_u32_e32 vcc, 8, v16
	v_mov_b32_e32 v16, 24
	v_cndmask_b32_e32 v2, v17, v2, vcc
	v_cndmask_b32_e32 v15, v15, v18, vcc
	v_lshlrev_b32_sdwa v16, v16, v5 dst_sel:DWORD dst_unused:UNUSED_PAD src0_sel:DWORD src1_sel:WORD_1
	v_bfrev_b32_e32 v17, 60
	v_lshlrev_b32_e32 v15, 20, v15
	v_and_b32_e32 v16, 0x80000000, v16
	v_lshl_add_u32 v2, v2, 23, v17
	v_or3_b32 v2, v16, v2, v15
	v_lshrrev_b32_e32 v15, 16, v2
.LBB855_775:
	s_or_b64 exec, exec, s[10:11]
.LBB855_776:
	s_or_b64 exec, exec, s[8:9]
.LBB855_777:
	s_or_b64 exec, exec, s[2:3]
	s_mov_b32 s2, 0xffffff
	v_cmp_lt_u32_e32 vcc, s2, v5
	s_and_saveexec_b64 s[2:3], vcc
	s_cbranch_execz .LBB855_783
; %bb.778:
	v_lshrrev_b32_e32 v2, 24, v5
	s_movk_i32 s7, 0x80
	v_cmp_ne_u32_e32 vcc, s7, v2
	v_mov_b32_e32 v14, 0xffff8000
	s_and_saveexec_b64 s[8:9], vcc
	s_cbranch_execz .LBB855_782
; %bb.779:
	v_bfe_u32 v5, v5, 24, 7
	s_movk_i32 s7, 0x7f
	v_cmp_ne_u32_e32 vcc, s7, v5
	v_mov_b32_e32 v14, 0x7f80
	s_and_saveexec_b64 s[10:11], vcc
	s_cbranch_execz .LBB855_781
; %bb.780:
	v_and_b32_e32 v14, 7, v2
	v_ffbh_u32_e32 v16, v14
	v_min_u32_e32 v19, 32, v16
	v_subrev_u32_e32 v16, 28, v19
	v_lshlrev_b64 v[16:17], v16, v[2:3]
	v_lshrrev_b32_e32 v18, 3, v5
	v_sub_u32_e32 v17, 29, v19
	v_and_b32_e32 v16, 7, v16
	v_cmp_gt_u32_e32 vcc, 8, v5
	v_cndmask_b32_e32 v5, v18, v17, vcc
	v_cndmask_b32_e32 v14, v14, v16, vcc
	v_lshlrev_b32_e32 v2, 24, v2
	v_bfrev_b32_e32 v16, 60
	v_lshlrev_b32_e32 v14, 20, v14
	v_and_b32_e32 v2, 0x80000000, v2
	v_lshl_add_u32 v5, v5, 23, v16
	v_or3_b32 v2, v2, v5, v14
	v_lshrrev_b32_e32 v14, 16, v2
.LBB855_781:
	s_or_b64 exec, exec, s[10:11]
.LBB855_782:
	s_or_b64 exec, exec, s[8:9]
.LBB855_783:
	s_or_b64 exec, exec, s[2:3]
	s_mov_b32 s3, 0x5040100
	v_perm_b32 v11, v11, v12, s3
	ds_read_b128 v[16:19], v22 offset:6160
	v_perm_b32 v10, v3, v10, s3
	v_perm_b32 v3, v14, v15, s3
	v_perm_b32 v2, v4, v13, s3
	s_waitcnt lgkmcnt(0)
	v_mfma_f32_16x16x16bf16_1k v[6:9], v[10:11], v[16:17], v[6:9]
	s_load_dword s2, s[42:43], 0x0
	s_mov_b32 s3, 0x7060302
	s_movk_i32 s7, 0x7fff
	v_cmp_gt_u32_e32 vcc, 64, v0
	s_and_b64 s[0:1], vcc, s[0:1]
	s_waitcnt lgkmcnt(0)
	s_barrier
	v_mfma_f32_16x16x16bf16_1k v[2:5], v[2:3], v[18:19], v[6:9]
	s_nop 7
	s_nop 2
	v_pk_mul_f32 v[4:5], v[4:5], s[2:3] op_sel_hi:[1,0]
	v_pk_mul_f32 v[2:3], v[2:3], s[2:3] op_sel_hi:[1,0]
	v_bfe_u32 v6, v3, 16, 1
	v_bfe_u32 v7, v2, 16, 1
	;; [unrolled: 1-line block ×4, first 2 shown]
	v_add3_u32 v2, v2, v7, s7
	v_add3_u32 v3, v3, v6, s7
	v_add3_u32 v4, v4, v9, s7
	v_add3_u32 v5, v5, v8, s7
	v_perm_b32 v2, v3, v2, s3
	v_perm_b32 v3, v5, v4, s3
	ds_write_b64 v28, v[2:3]
	s_waitcnt lgkmcnt(0)
	s_barrier
	s_and_saveexec_b64 s[2:3], s[0:1]
	s_cbranch_execz .LBB855_786
; %bb.784:
	s_load_dwordx2 s[2:3], s[4:5], 0x68
	s_lshl_b32 s0, s44, 6
	s_mul_i32 s1, s12, s6
	s_mul_hi_u32 s7, s1, s0
	s_mul_i32 s6, s1, s0
	s_lshl_b64 s[6:7], s[6:7], 1
	s_waitcnt lgkmcnt(0)
	s_add_u32 s1, s2, s6
	v_lshlrev_b32_e32 v0, 10, v0
	s_mov_b32 s5, 0
	s_addc_u32 s6, s3, s7
	s_lshl_b32 s4, s24, 6
	v_and_b32_e32 v0, 0x1800, v0
	v_lshlrev_b32_e32 v2, 5, v1
	v_and_b32_e32 v3, 16, v47
	s_lshl_b64 s[2:3], s[4:5], 1
	v_or3_b32 v0, v0, v2, v3
	s_add_u32 s1, s1, s2
	v_or_b32_e32 v2, 8, v1
	s_addc_u32 s2, s6, s3
	ds_read_b128 v[6:9], v0 offset:128
	ds_read_b128 v[10:13], v0
	v_add_u32_e32 v1, s25, v1
	v_mov_b32_e32 v4, s2
	v_add_co_u32_e32 v3, vcc, s1, v46
	v_mad_u64_u32 v[14:15], s[2:3], v1, s0, 0
	v_addc_co_u32_e32 v4, vcc, 0, v4, vcc
	v_lshlrev_b64 v[14:15], 1, v[14:15]
	v_add_co_u32_e32 v14, vcc, v3, v14
	v_addc_co_u32_e32 v15, vcc, v4, v15, vcc
	v_add_u32_e32 v1, 4, v1
	s_waitcnt lgkmcnt(0)
	global_store_dwordx4 v[14:15], v[10:13], off
	s_nop 0
	v_mad_u64_u32 v[10:11], s[2:3], v1, s0, 0
	v_lshlrev_b64 v[10:11], 1, v[10:11]
	v_add_co_u32_e32 v10, vcc, v3, v10
	v_addc_co_u32_e32 v11, vcc, v4, v11, vcc
	v_cmp_gt_u32_e32 vcc, 10, v2
	global_store_dwordx4 v[10:11], v[6:9], off
	s_and_b64 exec, exec, vcc
	s_cbranch_execz .LBB855_786
; %bb.785:
	ds_read_b128 v[6:9], v0 offset:256
	v_add_u32_e32 v0, s25, v2
	v_mad_u64_u32 v[0:1], s[0:1], v0, s0, 0
	v_lshlrev_b64 v[0:1], 1, v[0:1]
	v_add_co_u32_e32 v0, vcc, v3, v0
	v_addc_co_u32_e32 v1, vcc, v4, v1, vcc
	s_waitcnt lgkmcnt(0)
	global_store_dwordx4 v[0:1], v[6:9], off
.LBB855_786:
	s_endpgm
	.section	.rodata,"a",@progbits
	.p2align	6, 0x0
	.amdhsa_kernel _Z39paged_attention_ll4mi_QKV_mfma16_kernelI14__hip_bfloat16hLN4vllm18Fp8KVCacheDataTypeE1ES0_Li16ELi64ELi256ELb0ELi10EL8MFMAType0EEvPKT_PKT0_S9_ifPKiSB_SB_iPKfiiiPfSE_PS4_PT2_iSD_SD_
		.amdhsa_group_segment_fixed_size 8192
		.amdhsa_private_segment_fixed_size 0
		.amdhsa_kernarg_size 400
		.amdhsa_user_sgpr_count 6
		.amdhsa_user_sgpr_private_segment_buffer 1
		.amdhsa_user_sgpr_dispatch_ptr 0
		.amdhsa_user_sgpr_queue_ptr 0
		.amdhsa_user_sgpr_kernarg_segment_ptr 1
		.amdhsa_user_sgpr_dispatch_id 0
		.amdhsa_user_sgpr_flat_scratch_init 0
		.amdhsa_user_sgpr_kernarg_preload_length 0
		.amdhsa_user_sgpr_kernarg_preload_offset 0
		.amdhsa_user_sgpr_private_segment_size 0
		.amdhsa_uses_dynamic_stack 0
		.amdhsa_system_sgpr_private_segment_wavefront_offset 0
		.amdhsa_system_sgpr_workgroup_id_x 1
		.amdhsa_system_sgpr_workgroup_id_y 1
		.amdhsa_system_sgpr_workgroup_id_z 1
		.amdhsa_system_sgpr_workgroup_info 0
		.amdhsa_system_vgpr_workitem_id 0
		.amdhsa_next_free_vgpr 61
		.amdhsa_next_free_sgpr 47
		.amdhsa_accum_offset 64
		.amdhsa_reserve_vcc 1
		.amdhsa_reserve_flat_scratch 0
		.amdhsa_float_round_mode_32 0
		.amdhsa_float_round_mode_16_64 0
		.amdhsa_float_denorm_mode_32 3
		.amdhsa_float_denorm_mode_16_64 3
		.amdhsa_dx10_clamp 1
		.amdhsa_ieee_mode 1
		.amdhsa_fp16_overflow 0
		.amdhsa_tg_split 0
		.amdhsa_exception_fp_ieee_invalid_op 0
		.amdhsa_exception_fp_denorm_src 0
		.amdhsa_exception_fp_ieee_div_zero 0
		.amdhsa_exception_fp_ieee_overflow 0
		.amdhsa_exception_fp_ieee_underflow 0
		.amdhsa_exception_fp_ieee_inexact 0
		.amdhsa_exception_int_div_zero 0
	.end_amdhsa_kernel
	.section	.text._Z39paged_attention_ll4mi_QKV_mfma16_kernelI14__hip_bfloat16hLN4vllm18Fp8KVCacheDataTypeE1ES0_Li16ELi64ELi256ELb0ELi10EL8MFMAType0EEvPKT_PKT0_S9_ifPKiSB_SB_iPKfiiiPfSE_PS4_PT2_iSD_SD_,"axG",@progbits,_Z39paged_attention_ll4mi_QKV_mfma16_kernelI14__hip_bfloat16hLN4vllm18Fp8KVCacheDataTypeE1ES0_Li16ELi64ELi256ELb0ELi10EL8MFMAType0EEvPKT_PKT0_S9_ifPKiSB_SB_iPKfiiiPfSE_PS4_PT2_iSD_SD_,comdat
.Lfunc_end855:
	.size	_Z39paged_attention_ll4mi_QKV_mfma16_kernelI14__hip_bfloat16hLN4vllm18Fp8KVCacheDataTypeE1ES0_Li16ELi64ELi256ELb0ELi10EL8MFMAType0EEvPKT_PKT0_S9_ifPKiSB_SB_iPKfiiiPfSE_PS4_PT2_iSD_SD_, .Lfunc_end855-_Z39paged_attention_ll4mi_QKV_mfma16_kernelI14__hip_bfloat16hLN4vllm18Fp8KVCacheDataTypeE1ES0_Li16ELi64ELi256ELb0ELi10EL8MFMAType0EEvPKT_PKT0_S9_ifPKiSB_SB_iPKfiiiPfSE_PS4_PT2_iSD_SD_
                                        ; -- End function
	.section	.AMDGPU.csdata,"",@progbits
; Kernel info:
; codeLenInByte = 28328
; NumSgprs: 51
; NumVgprs: 61
; NumAgprs: 0
; TotalNumVgprs: 61
; ScratchSize: 0
; MemoryBound: 0
; FloatMode: 240
; IeeeMode: 1
; LDSByteSize: 8192 bytes/workgroup (compile time only)
; SGPRBlocks: 6
; VGPRBlocks: 7
; NumSGPRsForWavesPerEU: 51
; NumVGPRsForWavesPerEU: 61
; AccumOffset: 64
; Occupancy: 8
; WaveLimiterHint : 1
; COMPUTE_PGM_RSRC2:SCRATCH_EN: 0
; COMPUTE_PGM_RSRC2:USER_SGPR: 6
; COMPUTE_PGM_RSRC2:TRAP_HANDLER: 0
; COMPUTE_PGM_RSRC2:TGID_X_EN: 1
; COMPUTE_PGM_RSRC2:TGID_Y_EN: 1
; COMPUTE_PGM_RSRC2:TGID_Z_EN: 1
; COMPUTE_PGM_RSRC2:TIDIG_COMP_CNT: 0
; COMPUTE_PGM_RSRC3_GFX90A:ACCUM_OFFSET: 15
; COMPUTE_PGM_RSRC3_GFX90A:TG_SPLIT: 0
	.section	.text._Z39paged_attention_ll4mi_QKV_mfma16_kernelI14__hip_bfloat16hLN4vllm18Fp8KVCacheDataTypeE1ES0_Li16ELi64ELi256ELb0ELi11EL8MFMAType0EEvPKT_PKT0_S9_ifPKiSB_SB_iPKfiiiPfSE_PS4_PT2_iSD_SD_,"axG",@progbits,_Z39paged_attention_ll4mi_QKV_mfma16_kernelI14__hip_bfloat16hLN4vllm18Fp8KVCacheDataTypeE1ES0_Li16ELi64ELi256ELb0ELi11EL8MFMAType0EEvPKT_PKT0_S9_ifPKiSB_SB_iPKfiiiPfSE_PS4_PT2_iSD_SD_,comdat
	.protected	_Z39paged_attention_ll4mi_QKV_mfma16_kernelI14__hip_bfloat16hLN4vllm18Fp8KVCacheDataTypeE1ES0_Li16ELi64ELi256ELb0ELi11EL8MFMAType0EEvPKT_PKT0_S9_ifPKiSB_SB_iPKfiiiPfSE_PS4_PT2_iSD_SD_ ; -- Begin function _Z39paged_attention_ll4mi_QKV_mfma16_kernelI14__hip_bfloat16hLN4vllm18Fp8KVCacheDataTypeE1ES0_Li16ELi64ELi256ELb0ELi11EL8MFMAType0EEvPKT_PKT0_S9_ifPKiSB_SB_iPKfiiiPfSE_PS4_PT2_iSD_SD_
	.globl	_Z39paged_attention_ll4mi_QKV_mfma16_kernelI14__hip_bfloat16hLN4vllm18Fp8KVCacheDataTypeE1ES0_Li16ELi64ELi256ELb0ELi11EL8MFMAType0EEvPKT_PKT0_S9_ifPKiSB_SB_iPKfiiiPfSE_PS4_PT2_iSD_SD_
	.p2align	8
	.type	_Z39paged_attention_ll4mi_QKV_mfma16_kernelI14__hip_bfloat16hLN4vllm18Fp8KVCacheDataTypeE1ES0_Li16ELi64ELi256ELb0ELi11EL8MFMAType0EEvPKT_PKT0_S9_ifPKiSB_SB_iPKfiiiPfSE_PS4_PT2_iSD_SD_,@function
_Z39paged_attention_ll4mi_QKV_mfma16_kernelI14__hip_bfloat16hLN4vllm18Fp8KVCacheDataTypeE1ES0_Li16ELi64ELi256ELb0ELi11EL8MFMAType0EEvPKT_PKT0_S9_ifPKiSB_SB_iPKfiiiPfSE_PS4_PT2_iSD_SD_: ; @_Z39paged_attention_ll4mi_QKV_mfma16_kernelI14__hip_bfloat16hLN4vllm18Fp8KVCacheDataTypeE1ES0_Li16ELi64ELi256ELb0ELi11EL8MFMAType0EEvPKT_PKT0_S9_ifPKiSB_SB_iPKfiiiPfSE_PS4_PT2_iSD_SD_
; %bb.0:
	s_load_dwordx2 s[0:1], s[4:5], 0x30
	s_mov_b32 s24, s7
	s_mov_b64 s[10:11], 0
	s_waitcnt lgkmcnt(0)
	s_cmp_lg_u64 s[0:1], 0
	s_cselect_b64 s[2:3], -1, 0
	s_and_b64 vcc, exec, s[2:3]
	s_cbranch_vccz .LBB856_7
; %bb.1:
	s_add_i32 s12, s6, 1
	s_mov_b32 s13, 0
	s_lshl_b64 s[14:15], s[12:13], 2
	s_add_u32 s14, s0, s14
	s_mov_b32 s7, s13
	s_addc_u32 s15, s1, s15
	s_lshl_b64 s[12:13], s[6:7], 2
	s_add_u32 s12, s0, s12
	s_addc_u32 s13, s1, s13
	s_load_dword s9, s[14:15], 0x0
	s_load_dword s16, s[12:13], 0x0
	s_waitcnt lgkmcnt(0)
	s_sub_i32 s9, s9, s16
	s_cmp_eq_u32 s9, 1
	s_cselect_b64 s[12:13], -1, 0
	s_andn2_b64 vcc, exec, s[10:11]
	s_cbranch_vccnz .LBB856_3
.LBB856_2:
	s_mov_b32 s7, 0
	s_mov_b64 s[12:13], -1
.LBB856_3:
	s_andn2_b64 vcc, exec, s[12:13]
	s_cbranch_vccnz .LBB856_786
; %bb.4:
	s_load_dwordx2 s[12:13], s[4:5], 0x28
	s_lshl_b64 s[10:11], s[6:7], 2
	s_waitcnt lgkmcnt(0)
	s_add_u32 s12, s12, s10
	s_addc_u32 s13, s13, s11
	s_load_dword s33, s[12:13], 0x0
	s_lshl_b32 s20, s24, 8
	s_waitcnt lgkmcnt(0)
	s_cmp_ge_i32 s20, s33
	s_cbranch_scc1 .LBB856_786
; %bb.5:
	s_add_i32 s14, s33, 15
	s_load_dwordx2 s[12:13], s[4:5], 0x20
	s_load_dword s9, s[4:5], 0x38
	s_ashr_i32 s15, s14, 31
	v_and_b32_e32 v1, 0xcf, v0
	s_lshr_b32 s15, s15, 28
	v_add_u32_e32 v1, s20, v1
	s_add_i32 s14, s14, s15
	v_ashrrev_i32_e32 v2, 31, v1
	s_ashr_i32 s22, s14, 4
	v_lshrrev_b32_e32 v4, 28, v2
	s_add_i32 s22, s22, -1
	v_add_u32_e32 v2, v1, v4
	s_waitcnt lgkmcnt(0)
	s_mul_i32 s14, s6, s9
	s_mov_b32 s15, 0
	v_ashrrev_i32_e32 v2, 4, v2
	v_mov_b32_e32 v5, s22
	v_cmp_gt_i32_e32 vcc, s33, v1
	s_lshl_b64 s[14:15], s[14:15], 2
	v_cndmask_b32_e32 v2, v5, v2, vcc
	s_add_u32 s9, s12, s14
	v_ashrrev_i32_e32 v3, 31, v2
	s_addc_u32 s21, s13, s15
	v_lshlrev_b64 v[2:3], 2, v[2:3]
	v_mov_b32_e32 v7, s21
	v_add_co_u32_e32 v6, vcc, s9, v2
	v_or_b32_e32 v2, 16, v1
	v_addc_co_u32_e32 v7, vcc, v7, v3, vcc
	v_add_u32_e32 v3, v2, v4
	v_ashrrev_i32_e32 v3, 4, v3
	v_cmp_gt_i32_e32 vcc, s33, v2
	v_cndmask_b32_e32 v2, v5, v3, vcc
	v_ashrrev_i32_e32 v3, 31, v2
	v_lshlrev_b64 v[2:3], 2, v[2:3]
	v_mov_b32_e32 v9, s21
	v_add_co_u32_e32 v8, vcc, s9, v2
	v_or_b32_e32 v2, 32, v1
	v_addc_co_u32_e32 v9, vcc, v9, v3, vcc
	v_add_u32_e32 v3, v2, v4
	v_ashrrev_i32_e32 v3, 4, v3
	v_cmp_gt_i32_e32 vcc, s33, v2
	v_cndmask_b32_e32 v2, v5, v3, vcc
	v_ashrrev_i32_e32 v3, 31, v2
	;; [unrolled: 10-line block ×3, first 2 shown]
	v_lshlrev_b64 v[2:3], 2, v[2:3]
	v_mov_b32_e32 v1, s21
	v_add_co_u32_e32 v12, vcc, s9, v2
	v_addc_co_u32_e32 v13, vcc, v1, v3, vcc
	global_load_dword v4, v[6:7], off
	global_load_dword v5, v[8:9], off
	;; [unrolled: 1-line block ×4, first 2 shown]
	s_load_dwordx4 s[12:15], s[4:5], 0x8
	s_andn2_b64 vcc, exec, s[2:3]
	s_cbranch_vccnz .LBB856_8
; %bb.6:
	s_add_u32 s0, s0, s10
	s_addc_u32 s1, s1, s11
	s_load_dword s10, s[0:1], 0x0
	s_branch .LBB856_9
.LBB856_7:
	s_mov_b64 s[12:13], 0
	s_branch .LBB856_2
.LBB856_8:
	s_mov_b32 s10, s6
.LBB856_9:
	s_load_dwordx4 s[16:19], s[4:5], 0x48
	v_lshrrev_b32_e32 v49, 6, v0
	v_bfe_u32 v1, v0, 4, 2
	v_lshl_or_b32 v6, v49, 2, v1
	v_and_b32_e32 v48, 15, v0
	v_lshlrev_b32_e32 v7, 3, v48
	v_cmp_gt_u32_e32 vcc, 11, v6
	v_cmp_gt_u32_e64 s[0:1], 8, v48
	s_mul_i32 s25, s8, 11
	s_and_b64 s[26:27], s[0:1], vcc
	v_lshlrev_b32_e32 v46, 1, v7
	v_lshlrev_b32_e32 v47, 4, v0
	s_and_saveexec_b64 s[2:3], s[26:27]
	s_cbranch_execz .LBB856_11
; %bb.10:
	s_load_dwordx2 s[26:27], s[4:5], 0x0
	s_waitcnt lgkmcnt(0)
	s_ashr_i32 s11, s16, 31
	s_mul_hi_u32 s19, s10, s16
	s_mul_i32 s11, s10, s11
	s_add_i32 s11, s19, s11
	s_mul_i32 s10, s10, s16
	s_lshl_b64 s[10:11], s[10:11], 1
	v_add_lshl_u32 v8, v6, s25, 6
	s_add_u32 s10, s26, s10
	v_ashrrev_i32_e32 v9, 31, v8
	s_addc_u32 s11, s27, s11
	v_lshlrev_b64 v[8:9], 1, v[8:9]
	v_mov_b32_e32 v7, s11
	v_add_co_u32_e32 v8, vcc, s10, v8
	v_addc_co_u32_e32 v7, vcc, v7, v9, vcc
	v_add_co_u32_e32 v8, vcc, v8, v46
	v_addc_co_u32_e32 v9, vcc, 0, v7, vcc
	global_load_dwordx4 v[8:11], v[8:9], off
	v_lshlrev_b32_e32 v12, 8, v48
	v_lshlrev_b32_e32 v6, 5, v6
	v_and_b32_e32 v7, 16, v47
	v_and_b32_e32 v12, 0xe00, v12
	v_or3_b32 v6, v12, v6, v7
	s_waitcnt vmcnt(0)
	ds_write_b128 v6, v[8:11]
.LBB856_11:
	s_or_b64 exec, exec, s[2:3]
	v_and_b32_e32 v12, 48, v0
	v_or_b32_e32 v13, s20, v12
	v_ashrrev_i32_e32 v6, 4, v13
	v_mov_b32_e32 v14, s22
	v_cmp_gt_i32_e32 vcc, s33, v13
	v_cndmask_b32_e32 v6, v14, v6, vcc
	v_ashrrev_i32_e32 v7, 31, v6
	v_lshlrev_b64 v[6:7], 2, v[6:7]
	v_mov_b32_e32 v8, s21
	v_add_co_u32_e32 v6, vcc, s9, v6
	v_addc_co_u32_e32 v7, vcc, v8, v7, vcc
	v_or_b32_e32 v8, 64, v13
	v_ashrrev_i32_e32 v9, 4, v8
	v_cmp_gt_i32_e32 vcc, s33, v8
	v_cndmask_b32_e32 v8, v14, v9, vcc
	v_ashrrev_i32_e32 v9, 31, v8
	v_lshlrev_b64 v[8:9], 2, v[8:9]
	v_mov_b32_e32 v10, s21
	v_add_co_u32_e32 v8, vcc, s9, v8
	v_addc_co_u32_e32 v9, vcc, v10, v9, vcc
	v_or_b32_e32 v10, 0x80, v13
	v_ashrrev_i32_e32 v11, 4, v10
	v_cmp_gt_i32_e32 vcc, s33, v10
	v_cndmask_b32_e32 v10, v14, v11, vcc
	v_ashrrev_i32_e32 v11, 31, v10
	v_lshlrev_b64 v[10:11], 2, v[10:11]
	v_mov_b32_e32 v15, s21
	v_add_co_u32_e32 v10, vcc, s9, v10
	s_load_dwordx2 s[44:45], s[4:5], 0x94
	s_load_dwordx4 s[40:43], s[4:5], 0x80
	s_waitcnt lgkmcnt(0)
	s_barrier
	v_addc_co_u32_e32 v11, vcc, v15, v11, vcc
	global_load_dword v15, v[6:7], off
	global_load_dword v16, v[8:9], off
	global_load_dword v18, v[10:11], off
	v_or_b32_e32 v6, 0xc0, v13
	v_ashrrev_i32_e32 v7, 4, v6
	v_cmp_gt_i32_e32 vcc, s33, v6
	v_cndmask_b32_e32 v6, v14, v7, vcc
	v_ashrrev_i32_e32 v7, 31, v6
	v_lshlrev_b64 v[6:7], 2, v[6:7]
	v_mov_b32_e32 v8, s21
	v_add_co_u32_e32 v6, vcc, s9, v6
	v_addc_co_u32_e32 v7, vcc, v8, v7, vcc
	global_load_dword v20, v[6:7], off
	s_mul_i32 s8, s8, s18
	s_add_u32 s2, s12, s8
	s_addc_u32 s3, s13, 0
	v_and_b32_e32 v6, 0xf0, v47
	v_mov_b32_e32 v7, s3
	v_add_co_u32_e32 v6, vcc, s2, v6
	v_addc_co_u32_e32 v7, vcc, 0, v7, vcc
	v_lshlrev_b32_e32 v8, 4, v12
	v_add_co_u32_e32 v6, vcc, v6, v8
	v_addc_co_u32_e32 v7, vcc, 0, v7, vcc
	s_waitcnt vmcnt(7)
	v_mad_i64_i32 v[8:9], s[2:3], v4, s17, v[6:7]
	s_waitcnt vmcnt(6)
	v_mad_i64_i32 v[4:5], s[2:3], v5, s17, v[6:7]
	global_load_dwordx4 v[30:33], v[8:9], off
	global_load_dwordx4 v[38:41], v[4:5], off
	s_waitcnt vmcnt(7)
	v_mad_i64_i32 v[4:5], s[2:3], v2, s17, v[6:7]
	s_waitcnt vmcnt(6)
	v_mad_i64_i32 v[2:3], s[2:3], v3, s17, v[6:7]
	global_load_dwordx4 v[34:37], v[4:5], off
	global_load_dwordx4 v[22:25], v[2:3], off
	s_add_u32 s2, s14, s8
	v_lshlrev_b32_e32 v2, 4, v48
	s_addc_u32 s3, s15, 0
	v_lshl_or_b32 v2, v49, 8, v2
	v_mov_b32_e32 v3, s3
	v_add_co_u32_e32 v2, vcc, s2, v2
	v_addc_co_u32_e32 v3, vcc, 0, v3, vcc
	v_cmp_gt_u32_e32 vcc, 11, v48
	v_mov_b32_e32 v44, 0
	v_mov_b32_e32 v43, 0
	s_movk_i32 s8, 0x80
	s_waitcnt vmcnt(7)
	v_mad_i64_i32 v[4:5], s[2:3], v15, s17, v[2:3]
	s_waitcnt vmcnt(6)
	v_mad_i64_i32 v[6:7], s[2:3], v16, s17, v[2:3]
	;; [unrolled: 2-line block ×3, first 2 shown]
	global_load_dwordx4 v[14:17], v[4:5], off
	global_load_dwordx4 v[10:13], v[6:7], off
	s_waitcnt vmcnt(6)
	v_mad_i64_i32 v[20:21], s[2:3], v20, s17, v[2:3]
	global_load_dwordx4 v[6:9], v[18:19], off
	global_load_dwordx4 v[2:5], v[20:21], off
	v_add_u32_e32 v18, -11, v48
	v_cndmask_b32_e32 v18, v18, v48, vcc
	v_lshlrev_b32_e32 v18, 5, v18
	v_lshl_add_u32 v18, v1, 9, v18
	ds_read_b128 v[26:29], v18
	ds_read_b128 v[18:21], v18 offset:16
	s_load_dword s12, s[40:41], 0x0
	s_waitcnt vmcnt(7)
	v_cmp_ne_u16_sdwa s[10:11], v30, v44 src0_sel:BYTE_0 src1_sel:DWORD
	s_and_saveexec_b64 s[2:3], s[10:11]
	s_cbranch_execz .LBB856_17
; %bb.12:
	v_cmp_ne_u16_sdwa s[10:11], v30, s8 src0_sel:BYTE_0 src1_sel:DWORD
	v_mov_b32_e32 v43, 0xffff8000
	s_and_saveexec_b64 s[8:9], s[10:11]
	s_cbranch_execz .LBB856_16
; %bb.13:
	s_movk_i32 s10, 0x7f
	v_and_b32_e32 v42, 0x7f, v30
	v_cmp_ne_u32_e32 vcc, s10, v42
	v_mov_b32_e32 v43, 0x7f80
	s_and_saveexec_b64 s[10:11], vcc
	s_cbranch_execz .LBB856_15
; %bb.14:
	v_and_b32_e32 v43, 7, v30
	v_ffbh_u32_e32 v50, v43
	v_min_u32_e32 v52, 32, v50
	v_subrev_u32_e32 v50, 28, v52
	v_lshlrev_b64 v[50:51], v50, v[30:31]
	v_lshrrev_b32_e32 v45, 3, v42
	v_sub_u32_e32 v51, 29, v52
	v_and_b32_e32 v50, 7, v50
	v_cmp_gt_u32_e32 vcc, 8, v42
	v_cndmask_b32_e32 v42, v45, v51, vcc
	v_cndmask_b32_e32 v43, v43, v50, vcc
	v_lshlrev_b32_e32 v45, 24, v30
	v_bfrev_b32_e32 v50, 60
	v_lshlrev_b32_e32 v43, 20, v43
	v_and_b32_e32 v45, 0x80000000, v45
	v_lshl_add_u32 v42, v42, 23, v50
	v_or3_b32 v42, v45, v42, v43
	v_lshrrev_b32_e32 v43, 16, v42
.LBB856_15:
	s_or_b64 exec, exec, s[10:11]
.LBB856_16:
	s_or_b64 exec, exec, s[8:9]
.LBB856_17:
	s_or_b64 exec, exec, s[2:3]
	v_lshrrev_b16_e32 v42, 8, v30
	v_cmp_ne_u16_e32 vcc, 0, v42
	s_and_saveexec_b64 s[2:3], vcc
	s_cbranch_execz .LBB856_23
; %bb.18:
	s_movk_i32 s8, 0x80
	v_cmp_ne_u16_e32 vcc, s8, v42
	v_mov_b32_e32 v44, 0xffff8000
	s_and_saveexec_b64 s[8:9], vcc
	s_cbranch_execz .LBB856_22
; %bb.19:
	s_movk_i32 s10, 0x7f
	v_and_b32_e32 v45, 0x7f, v42
	v_cmp_ne_u32_e32 vcc, s10, v45
	v_mov_b32_e32 v44, 0x7f80
	s_and_saveexec_b64 s[10:11], vcc
	s_cbranch_execz .LBB856_21
; %bb.20:
	v_and_b32_e32 v44, 7, v42
	v_ffbh_u32_e32 v50, v44
	v_min_u32_e32 v53, 32, v50
	v_subrev_u32_e32 v50, 28, v53
	v_lshlrev_b64 v[50:51], v50, v[42:43]
	v_lshrrev_b32_e32 v52, 3, v45
	v_sub_u32_e32 v42, 29, v53
	v_and_b32_e32 v50, 7, v50
	v_cmp_gt_u32_e32 vcc, 8, v45
	v_cndmask_b32_e32 v42, v52, v42, vcc
	v_cndmask_b32_e32 v44, v44, v50, vcc
	v_lshlrev_b32_e32 v45, 16, v30
	v_bfrev_b32_e32 v50, 60
	v_lshlrev_b32_e32 v44, 20, v44
	v_and_b32_e32 v45, 0x80000000, v45
	v_lshl_add_u32 v42, v42, 23, v50
	v_or3_b32 v42, v45, v42, v44
	v_lshrrev_b32_e32 v44, 16, v42
.LBB856_21:
	s_or_b64 exec, exec, s[10:11]
.LBB856_22:
	s_or_b64 exec, exec, s[8:9]
.LBB856_23:
	s_or_b64 exec, exec, s[2:3]
	s_movk_i32 s2, 0xff
	v_and_b32_sdwa v51, v30, s2 dst_sel:DWORD dst_unused:UNUSED_PAD src0_sel:WORD_1 src1_sel:DWORD
	v_lshrrev_b32_e32 v42, 16, v30
	v_cmp_ne_u16_e32 vcc, 0, v51
	v_mov_b32_e32 v45, 0
	v_mov_b32_e32 v50, 0
	s_and_saveexec_b64 s[2:3], vcc
	s_cbranch_execz .LBB856_29
; %bb.24:
	s_movk_i32 s8, 0x80
	v_cmp_ne_u16_e32 vcc, s8, v51
	v_mov_b32_e32 v50, 0xffff8000
	s_and_saveexec_b64 s[8:9], vcc
	s_cbranch_execz .LBB856_28
; %bb.25:
	v_bfe_u32 v51, v30, 16, 7
	s_movk_i32 s10, 0x7f
	v_cmp_ne_u32_e32 vcc, s10, v51
	v_mov_b32_e32 v50, 0x7f80
	s_and_saveexec_b64 s[10:11], vcc
	s_cbranch_execz .LBB856_27
; %bb.26:
	v_and_b32_e32 v50, 7, v42
	v_ffbh_u32_e32 v52, v50
	v_min_u32_e32 v55, 32, v52
	v_subrev_u32_e32 v52, 28, v55
	v_lshlrev_b64 v[52:53], v52, v[42:43]
	v_lshrrev_b32_e32 v54, 3, v51
	v_sub_u32_e32 v42, 29, v55
	v_and_b32_e32 v52, 7, v52
	v_cmp_gt_u32_e32 vcc, 8, v51
	v_mov_b32_e32 v51, 24
	v_cndmask_b32_e32 v42, v54, v42, vcc
	v_cndmask_b32_e32 v50, v50, v52, vcc
	v_lshlrev_b32_sdwa v51, v51, v30 dst_sel:DWORD dst_unused:UNUSED_PAD src0_sel:DWORD src1_sel:WORD_1
	v_bfrev_b32_e32 v52, 60
	v_lshlrev_b32_e32 v50, 20, v50
	v_and_b32_e32 v51, 0x80000000, v51
	v_lshl_add_u32 v42, v42, 23, v52
	v_or3_b32 v42, v51, v42, v50
	v_lshrrev_b32_e32 v50, 16, v42
.LBB856_27:
	s_or_b64 exec, exec, s[10:11]
.LBB856_28:
	s_or_b64 exec, exec, s[8:9]
.LBB856_29:
	s_or_b64 exec, exec, s[2:3]
	s_mov_b32 s2, 0xffffff
	v_cmp_lt_u32_e32 vcc, s2, v30
	s_and_saveexec_b64 s[2:3], vcc
	s_cbranch_execz .LBB856_35
; %bb.30:
	v_lshrrev_b32_e32 v42, 24, v30
	s_movk_i32 s8, 0x80
	v_cmp_ne_u32_e32 vcc, s8, v42
	v_mov_b32_e32 v45, 0xffff8000
	s_and_saveexec_b64 s[8:9], vcc
	s_cbranch_execz .LBB856_34
; %bb.31:
	v_bfe_u32 v30, v30, 24, 7
	s_movk_i32 s10, 0x7f
	v_cmp_ne_u32_e32 vcc, s10, v30
	v_mov_b32_e32 v45, 0x7f80
	s_and_saveexec_b64 s[10:11], vcc
	s_cbranch_execz .LBB856_33
; %bb.32:
	v_and_b32_e32 v45, 7, v42
	v_ffbh_u32_e32 v52, v45
	v_min_u32_e32 v54, 32, v52
	v_subrev_u32_e32 v52, 28, v54
	v_lshlrev_b64 v[52:53], v52, v[42:43]
	v_lshrrev_b32_e32 v51, 3, v30
	v_sub_u32_e32 v53, 29, v54
	v_and_b32_e32 v52, 7, v52
	v_cmp_gt_u32_e32 vcc, 8, v30
	v_cndmask_b32_e32 v30, v51, v53, vcc
	v_cndmask_b32_e32 v45, v45, v52, vcc
	v_lshlrev_b32_e32 v42, 24, v42
	v_bfrev_b32_e32 v51, 60
	v_lshlrev_b32_e32 v45, 20, v45
	v_and_b32_e32 v42, 0x80000000, v42
	v_lshl_add_u32 v30, v30, 23, v51
	v_or3_b32 v30, v42, v30, v45
	v_lshrrev_b32_e32 v45, 16, v30
.LBB856_33:
	s_or_b64 exec, exec, s[10:11]
.LBB856_34:
	s_or_b64 exec, exec, s[8:9]
.LBB856_35:
	s_or_b64 exec, exec, s[2:3]
	v_mov_b32_e32 v42, 0
	v_cmp_ne_u16_sdwa s[8:9], v31, v42 src0_sel:BYTE_0 src1_sel:DWORD
	v_mov_b32_e32 v51, 0
	s_and_saveexec_b64 s[2:3], s[8:9]
	s_cbranch_execz .LBB856_41
; %bb.36:
	s_movk_i32 s8, 0x80
	v_cmp_ne_u16_sdwa s[10:11], v31, s8 src0_sel:BYTE_0 src1_sel:DWORD
	v_mov_b32_e32 v51, 0xffff8000
	s_and_saveexec_b64 s[8:9], s[10:11]
	s_cbranch_execz .LBB856_40
; %bb.37:
	s_movk_i32 s10, 0x7f
	v_and_b32_e32 v30, 0x7f, v31
	v_cmp_ne_u32_e32 vcc, s10, v30
	v_mov_b32_e32 v51, 0x7f80
	s_and_saveexec_b64 s[10:11], vcc
	s_cbranch_execz .LBB856_39
; %bb.38:
	v_and_b32_e32 v51, 7, v31
	v_ffbh_u32_e32 v53, v51
	v_min_u32_e32 v55, 32, v53
	v_mov_b32_e32 v52, v31
	v_subrev_u32_e32 v53, 28, v55
	v_lshlrev_b64 v[52:53], v53, v[52:53]
	v_lshrrev_b32_e32 v54, 3, v30
	v_sub_u32_e32 v53, 29, v55
	v_and_b32_e32 v52, 7, v52
	v_cmp_gt_u32_e32 vcc, 8, v30
	v_cndmask_b32_e32 v30, v54, v53, vcc
	v_cndmask_b32_e32 v51, v51, v52, vcc
	v_lshlrev_b32_e32 v52, 24, v31
	v_bfrev_b32_e32 v53, 60
	v_lshlrev_b32_e32 v51, 20, v51
	v_and_b32_e32 v52, 0x80000000, v52
	v_lshl_add_u32 v30, v30, 23, v53
	v_or3_b32 v30, v52, v30, v51
	v_lshrrev_b32_e32 v51, 16, v30
.LBB856_39:
	s_or_b64 exec, exec, s[10:11]
.LBB856_40:
	s_or_b64 exec, exec, s[8:9]
.LBB856_41:
	s_or_b64 exec, exec, s[2:3]
	v_lshrrev_b16_e32 v30, 8, v31
	v_cmp_ne_u16_e32 vcc, 0, v30
	s_and_saveexec_b64 s[2:3], vcc
	s_cbranch_execz .LBB856_47
; %bb.42:
	s_movk_i32 s8, 0x80
	v_cmp_ne_u16_e32 vcc, s8, v30
	v_mov_b32_e32 v42, 0xffff8000
	s_and_saveexec_b64 s[8:9], vcc
	s_cbranch_execz .LBB856_46
; %bb.43:
	s_movk_i32 s10, 0x7f
	v_and_b32_e32 v52, 0x7f, v30
	v_cmp_ne_u32_e32 vcc, s10, v52
	v_mov_b32_e32 v42, 0x7f80
	s_and_saveexec_b64 s[10:11], vcc
	s_cbranch_execz .LBB856_45
; %bb.44:
	v_and_b32_e32 v42, 7, v30
	v_ffbh_u32_e32 v54, v42
	v_min_u32_e32 v56, 32, v54
	v_subrev_u32_e32 v54, 28, v56
	v_lshlrev_b64 v[54:55], v54, v[30:31]
	v_lshrrev_b32_e32 v53, 3, v52
	v_sub_u32_e32 v30, 29, v56
	v_and_b32_e32 v54, 7, v54
	v_cmp_gt_u32_e32 vcc, 8, v52
	v_cndmask_b32_e32 v30, v53, v30, vcc
	v_cndmask_b32_e32 v42, v42, v54, vcc
	v_lshlrev_b32_e32 v52, 16, v31
	v_bfrev_b32_e32 v53, 60
	v_lshlrev_b32_e32 v42, 20, v42
	v_and_b32_e32 v52, 0x80000000, v52
	v_lshl_add_u32 v30, v30, 23, v53
	v_or3_b32 v30, v52, v30, v42
	v_lshrrev_b32_e32 v42, 16, v30
.LBB856_45:
	s_or_b64 exec, exec, s[10:11]
.LBB856_46:
	s_or_b64 exec, exec, s[8:9]
.LBB856_47:
	s_or_b64 exec, exec, s[2:3]
	s_movk_i32 s2, 0xff
	v_and_b32_sdwa v54, v31, s2 dst_sel:DWORD dst_unused:UNUSED_PAD src0_sel:WORD_1 src1_sel:DWORD
	v_lshrrev_b32_e32 v30, 16, v31
	v_cmp_ne_u16_e32 vcc, 0, v54
	v_mov_b32_e32 v52, 0
	v_mov_b32_e32 v53, 0
	s_and_saveexec_b64 s[2:3], vcc
	s_cbranch_execz .LBB856_53
; %bb.48:
	s_movk_i32 s8, 0x80
	v_cmp_ne_u16_e32 vcc, s8, v54
	v_mov_b32_e32 v53, 0xffff8000
	s_and_saveexec_b64 s[8:9], vcc
	s_cbranch_execz .LBB856_52
; %bb.49:
	v_bfe_u32 v54, v31, 16, 7
	s_movk_i32 s10, 0x7f
	v_cmp_ne_u32_e32 vcc, s10, v54
	v_mov_b32_e32 v53, 0x7f80
	s_and_saveexec_b64 s[10:11], vcc
	s_cbranch_execz .LBB856_51
; %bb.50:
	v_and_b32_e32 v53, 7, v30
	v_ffbh_u32_e32 v56, v53
	v_min_u32_e32 v58, 32, v56
	v_subrev_u32_e32 v56, 28, v58
	v_lshlrev_b64 v[56:57], v56, v[30:31]
	v_lshrrev_b32_e32 v55, 3, v54
	v_sub_u32_e32 v30, 29, v58
	v_and_b32_e32 v56, 7, v56
	v_cmp_gt_u32_e32 vcc, 8, v54
	v_mov_b32_e32 v54, 24
	v_cndmask_b32_e32 v30, v55, v30, vcc
	v_cndmask_b32_e32 v53, v53, v56, vcc
	v_lshlrev_b32_sdwa v54, v54, v31 dst_sel:DWORD dst_unused:UNUSED_PAD src0_sel:DWORD src1_sel:WORD_1
	v_bfrev_b32_e32 v55, 60
	v_lshlrev_b32_e32 v53, 20, v53
	v_and_b32_e32 v54, 0x80000000, v54
	v_lshl_add_u32 v30, v30, 23, v55
	v_or3_b32 v30, v54, v30, v53
	v_lshrrev_b32_e32 v53, 16, v30
.LBB856_51:
	s_or_b64 exec, exec, s[10:11]
.LBB856_52:
	s_or_b64 exec, exec, s[8:9]
.LBB856_53:
	s_or_b64 exec, exec, s[2:3]
	s_mov_b32 s2, 0xffffff
	v_cmp_lt_u32_e32 vcc, s2, v31
	s_and_saveexec_b64 s[2:3], vcc
	s_cbranch_execz .LBB856_59
; %bb.54:
	v_lshrrev_b32_e32 v30, 24, v31
	s_movk_i32 s8, 0x80
	v_cmp_ne_u32_e32 vcc, s8, v30
	v_mov_b32_e32 v52, 0xffff8000
	s_and_saveexec_b64 s[8:9], vcc
	s_cbranch_execz .LBB856_58
; %bb.55:
	v_bfe_u32 v31, v31, 24, 7
	s_movk_i32 s10, 0x7f
	v_cmp_ne_u32_e32 vcc, s10, v31
	v_mov_b32_e32 v52, 0x7f80
	s_and_saveexec_b64 s[10:11], vcc
	s_cbranch_execz .LBB856_57
; %bb.56:
	v_and_b32_e32 v52, 7, v30
	v_ffbh_u32_e32 v54, v52
	v_min_u32_e32 v57, 32, v54
	v_subrev_u32_e32 v54, 28, v57
	v_lshlrev_b64 v[54:55], v54, v[30:31]
	v_lshrrev_b32_e32 v56, 3, v31
	v_sub_u32_e32 v55, 29, v57
	v_and_b32_e32 v54, 7, v54
	v_cmp_gt_u32_e32 vcc, 8, v31
	v_cndmask_b32_e32 v31, v56, v55, vcc
	v_cndmask_b32_e32 v52, v52, v54, vcc
	v_lshlrev_b32_e32 v30, 24, v30
	v_bfrev_b32_e32 v54, 60
	v_lshlrev_b32_e32 v52, 20, v52
	v_and_b32_e32 v30, 0x80000000, v30
	v_lshl_add_u32 v31, v31, 23, v54
	v_or3_b32 v30, v30, v31, v52
	v_lshrrev_b32_e32 v52, 16, v30
.LBB856_57:
	s_or_b64 exec, exec, s[10:11]
.LBB856_58:
	s_or_b64 exec, exec, s[8:9]
.LBB856_59:
	s_or_b64 exec, exec, s[2:3]
	s_mov_b32 s2, 0x5040100
	v_perm_b32 v31, v45, v50, s2
	v_perm_b32 v30, v44, v43, s2
	;; [unrolled: 1-line block ×4, first 2 shown]
	v_mov_b32_e32 v50, 0
	s_waitcnt lgkmcnt(0)
	v_mfma_f32_16x16x16bf16_1k v[54:57], v[30:31], v[26:27], 0
	v_mov_b32_e32 v31, 0
	v_cmp_ne_u16_sdwa s[8:9], v32, v31 src0_sel:BYTE_0 src1_sel:DWORD
	v_mfma_f32_16x16x16bf16_1k v[42:45], v[42:43], v[28:29], v[54:57]
	s_and_saveexec_b64 s[2:3], s[8:9]
	s_cbranch_execz .LBB856_65
; %bb.60:
	s_movk_i32 s8, 0x80
	v_cmp_ne_u16_sdwa s[10:11], v32, s8 src0_sel:BYTE_0 src1_sel:DWORD
	v_mov_b32_e32 v50, 0xffff8000
	s_and_saveexec_b64 s[8:9], s[10:11]
	s_cbranch_execz .LBB856_64
; %bb.61:
	s_movk_i32 s10, 0x7f
	v_and_b32_e32 v30, 0x7f, v32
	v_cmp_ne_u32_e32 vcc, s10, v30
	v_mov_b32_e32 v50, 0x7f80
	s_and_saveexec_b64 s[10:11], vcc
	s_cbranch_execz .LBB856_63
; %bb.62:
	v_and_b32_e32 v52, 7, v32
	v_ffbh_u32_e32 v50, v52
	v_min_u32_e32 v54, 32, v50
	v_subrev_u32_e32 v50, 28, v54
	v_lshlrev_b64 v[50:51], v50, v[32:33]
	v_lshrrev_b32_e32 v53, 3, v30
	v_sub_u32_e32 v51, 29, v54
	v_and_b32_e32 v50, 7, v50
	v_cmp_gt_u32_e32 vcc, 8, v30
	v_cndmask_b32_e32 v30, v53, v51, vcc
	v_cndmask_b32_e32 v50, v52, v50, vcc
	v_lshlrev_b32_e32 v51, 24, v32
	v_bfrev_b32_e32 v52, 60
	v_lshlrev_b32_e32 v50, 20, v50
	v_and_b32_e32 v51, 0x80000000, v51
	v_lshl_add_u32 v30, v30, 23, v52
	v_or3_b32 v30, v51, v30, v50
	v_lshrrev_b32_e32 v50, 16, v30
.LBB856_63:
	s_or_b64 exec, exec, s[10:11]
.LBB856_64:
	s_or_b64 exec, exec, s[8:9]
.LBB856_65:
	s_or_b64 exec, exec, s[2:3]
	v_lshrrev_b16_e32 v30, 8, v32
	v_cmp_ne_u16_e32 vcc, 0, v30
	s_and_saveexec_b64 s[2:3], vcc
	s_cbranch_execz .LBB856_71
; %bb.66:
	s_movk_i32 s8, 0x80
	v_cmp_ne_u16_e32 vcc, s8, v30
	v_mov_b32_e32 v31, 0xffff8000
	s_and_saveexec_b64 s[8:9], vcc
	s_cbranch_execz .LBB856_70
; %bb.67:
	s_movk_i32 s10, 0x7f
	v_and_b32_e32 v51, 0x7f, v30
	v_cmp_ne_u32_e32 vcc, s10, v51
	v_mov_b32_e32 v31, 0x7f80
	s_and_saveexec_b64 s[10:11], vcc
	s_cbranch_execz .LBB856_69
; %bb.68:
	v_and_b32_e32 v52, 7, v30
	v_ffbh_u32_e32 v31, v52
	v_min_u32_e32 v54, 32, v31
	v_subrev_u32_e32 v31, 28, v54
	v_lshlrev_b64 v[30:31], v31, v[30:31]
	v_lshrrev_b32_e32 v53, 3, v51
	v_sub_u32_e32 v31, 29, v54
	v_and_b32_e32 v30, 7, v30
	v_cmp_gt_u32_e32 vcc, 8, v51
	v_cndmask_b32_e32 v31, v53, v31, vcc
	v_cndmask_b32_e32 v30, v52, v30, vcc
	v_lshlrev_b32_e32 v51, 16, v32
	v_bfrev_b32_e32 v52, 60
	v_lshlrev_b32_e32 v30, 20, v30
	v_and_b32_e32 v51, 0x80000000, v51
	v_lshl_add_u32 v31, v31, 23, v52
	v_or3_b32 v30, v51, v31, v30
	v_lshrrev_b32_e32 v31, 16, v30
.LBB856_69:
	s_or_b64 exec, exec, s[10:11]
.LBB856_70:
	s_or_b64 exec, exec, s[8:9]
.LBB856_71:
	s_or_b64 exec, exec, s[2:3]
	s_movk_i32 s2, 0xff
	v_and_b32_sdwa v53, v32, s2 dst_sel:DWORD dst_unused:UNUSED_PAD src0_sel:WORD_1 src1_sel:DWORD
	v_lshrrev_b32_e32 v30, 16, v32
	v_cmp_ne_u16_e32 vcc, 0, v53
	v_mov_b32_e32 v51, 0
	v_mov_b32_e32 v52, 0
	s_and_saveexec_b64 s[2:3], vcc
	s_cbranch_execz .LBB856_77
; %bb.72:
	s_movk_i32 s8, 0x80
	v_cmp_ne_u16_e32 vcc, s8, v53
	v_mov_b32_e32 v52, 0xffff8000
	s_and_saveexec_b64 s[8:9], vcc
	s_cbranch_execz .LBB856_76
; %bb.73:
	v_bfe_u32 v53, v32, 16, 7
	s_movk_i32 s10, 0x7f
	v_cmp_ne_u32_e32 vcc, s10, v53
	v_mov_b32_e32 v52, 0x7f80
	s_and_saveexec_b64 s[10:11], vcc
	s_cbranch_execz .LBB856_75
; %bb.74:
	v_and_b32_e32 v52, 7, v30
	v_ffbh_u32_e32 v54, v52
	v_min_u32_e32 v57, 32, v54
	v_subrev_u32_e32 v54, 28, v57
	v_lshlrev_b64 v[54:55], v54, v[30:31]
	v_lshrrev_b32_e32 v56, 3, v53
	v_sub_u32_e32 v30, 29, v57
	v_and_b32_e32 v54, 7, v54
	v_cmp_gt_u32_e32 vcc, 8, v53
	v_mov_b32_e32 v53, 24
	v_cndmask_b32_e32 v30, v56, v30, vcc
	v_cndmask_b32_e32 v52, v52, v54, vcc
	v_lshlrev_b32_sdwa v53, v53, v32 dst_sel:DWORD dst_unused:UNUSED_PAD src0_sel:DWORD src1_sel:WORD_1
	v_bfrev_b32_e32 v54, 60
	v_lshlrev_b32_e32 v52, 20, v52
	v_and_b32_e32 v53, 0x80000000, v53
	v_lshl_add_u32 v30, v30, 23, v54
	v_or3_b32 v30, v53, v30, v52
	v_lshrrev_b32_e32 v52, 16, v30
.LBB856_75:
	s_or_b64 exec, exec, s[10:11]
.LBB856_76:
	s_or_b64 exec, exec, s[8:9]
.LBB856_77:
	s_or_b64 exec, exec, s[2:3]
	s_mov_b32 s2, 0xffffff
	v_cmp_lt_u32_e32 vcc, s2, v32
	s_and_saveexec_b64 s[2:3], vcc
	s_cbranch_execz .LBB856_83
; %bb.78:
	v_lshrrev_b32_e32 v30, 24, v32
	s_movk_i32 s8, 0x80
	v_cmp_ne_u32_e32 vcc, s8, v30
	v_mov_b32_e32 v51, 0xffff8000
	s_and_saveexec_b64 s[8:9], vcc
	s_cbranch_execz .LBB856_82
; %bb.79:
	v_bfe_u32 v32, v32, 24, 7
	s_movk_i32 s10, 0x7f
	v_cmp_ne_u32_e32 vcc, s10, v32
	v_mov_b32_e32 v51, 0x7f80
	s_and_saveexec_b64 s[10:11], vcc
	s_cbranch_execz .LBB856_81
; %bb.80:
	v_and_b32_e32 v51, 7, v30
	v_ffbh_u32_e32 v54, v51
	v_min_u32_e32 v56, 32, v54
	v_subrev_u32_e32 v54, 28, v56
	v_lshlrev_b64 v[54:55], v54, v[30:31]
	v_lshrrev_b32_e32 v53, 3, v32
	v_sub_u32_e32 v55, 29, v56
	v_and_b32_e32 v54, 7, v54
	v_cmp_gt_u32_e32 vcc, 8, v32
	v_cndmask_b32_e32 v32, v53, v55, vcc
	v_cndmask_b32_e32 v51, v51, v54, vcc
	v_lshlrev_b32_e32 v30, 24, v30
	v_bfrev_b32_e32 v53, 60
	v_lshlrev_b32_e32 v51, 20, v51
	v_and_b32_e32 v30, 0x80000000, v30
	v_lshl_add_u32 v32, v32, 23, v53
	v_or3_b32 v30, v30, v32, v51
	v_lshrrev_b32_e32 v51, 16, v30
.LBB856_81:
	s_or_b64 exec, exec, s[10:11]
.LBB856_82:
	s_or_b64 exec, exec, s[8:9]
.LBB856_83:
	s_or_b64 exec, exec, s[2:3]
	v_mov_b32_e32 v32, 0
	v_cmp_ne_u16_sdwa s[8:9], v33, v32 src0_sel:BYTE_0 src1_sel:DWORD
	v_mov_b32_e32 v53, 0
	s_and_saveexec_b64 s[2:3], s[8:9]
	s_cbranch_execz .LBB856_89
; %bb.84:
	s_movk_i32 s8, 0x80
	v_cmp_ne_u16_sdwa s[10:11], v33, s8 src0_sel:BYTE_0 src1_sel:DWORD
	v_mov_b32_e32 v53, 0xffff8000
	s_and_saveexec_b64 s[8:9], s[10:11]
	s_cbranch_execz .LBB856_88
; %bb.85:
	s_movk_i32 s10, 0x7f
	v_and_b32_e32 v30, 0x7f, v33
	v_cmp_ne_u32_e32 vcc, s10, v30
	v_mov_b32_e32 v53, 0x7f80
	s_and_saveexec_b64 s[10:11], vcc
	s_cbranch_execz .LBB856_87
; %bb.86:
	v_and_b32_e32 v53, 7, v33
	v_ffbh_u32_e32 v55, v53
	v_min_u32_e32 v57, 32, v55
	v_mov_b32_e32 v54, v33
	v_subrev_u32_e32 v55, 28, v57
	v_lshlrev_b64 v[54:55], v55, v[54:55]
	v_lshrrev_b32_e32 v56, 3, v30
	v_sub_u32_e32 v55, 29, v57
	v_and_b32_e32 v54, 7, v54
	v_cmp_gt_u32_e32 vcc, 8, v30
	v_cndmask_b32_e32 v30, v56, v55, vcc
	v_cndmask_b32_e32 v53, v53, v54, vcc
	v_lshlrev_b32_e32 v54, 24, v33
	v_bfrev_b32_e32 v55, 60
	v_lshlrev_b32_e32 v53, 20, v53
	v_and_b32_e32 v54, 0x80000000, v54
	v_lshl_add_u32 v30, v30, 23, v55
	v_or3_b32 v30, v54, v30, v53
	v_lshrrev_b32_e32 v53, 16, v30
.LBB856_87:
	s_or_b64 exec, exec, s[10:11]
.LBB856_88:
	s_or_b64 exec, exec, s[8:9]
.LBB856_89:
	s_or_b64 exec, exec, s[2:3]
	v_lshrrev_b16_e32 v30, 8, v33
	v_cmp_ne_u16_e32 vcc, 0, v30
	s_and_saveexec_b64 s[2:3], vcc
	s_cbranch_execz .LBB856_95
; %bb.90:
	s_movk_i32 s8, 0x80
	v_cmp_ne_u16_e32 vcc, s8, v30
	v_mov_b32_e32 v32, 0xffff8000
	s_and_saveexec_b64 s[8:9], vcc
	s_cbranch_execz .LBB856_94
; %bb.91:
	s_movk_i32 s10, 0x7f
	v_and_b32_e32 v54, 0x7f, v30
	v_cmp_ne_u32_e32 vcc, s10, v54
	v_mov_b32_e32 v32, 0x7f80
	s_and_saveexec_b64 s[10:11], vcc
	s_cbranch_execz .LBB856_93
; %bb.92:
	v_and_b32_e32 v32, 7, v30
	v_ffbh_u32_e32 v56, v32
	v_min_u32_e32 v58, 32, v56
	v_subrev_u32_e32 v56, 28, v58
	v_lshlrev_b64 v[56:57], v56, v[30:31]
	v_lshrrev_b32_e32 v55, 3, v54
	v_sub_u32_e32 v30, 29, v58
	v_and_b32_e32 v56, 7, v56
	v_cmp_gt_u32_e32 vcc, 8, v54
	v_cndmask_b32_e32 v30, v55, v30, vcc
	v_cndmask_b32_e32 v32, v32, v56, vcc
	v_lshlrev_b32_e32 v54, 16, v33
	v_bfrev_b32_e32 v55, 60
	v_lshlrev_b32_e32 v32, 20, v32
	v_and_b32_e32 v54, 0x80000000, v54
	v_lshl_add_u32 v30, v30, 23, v55
	v_or3_b32 v30, v54, v30, v32
	v_lshrrev_b32_e32 v32, 16, v30
.LBB856_93:
	s_or_b64 exec, exec, s[10:11]
.LBB856_94:
	s_or_b64 exec, exec, s[8:9]
.LBB856_95:
	s_or_b64 exec, exec, s[2:3]
	s_movk_i32 s2, 0xff
	v_and_b32_sdwa v56, v33, s2 dst_sel:DWORD dst_unused:UNUSED_PAD src0_sel:WORD_1 src1_sel:DWORD
	v_lshrrev_b32_e32 v30, 16, v33
	v_cmp_ne_u16_e32 vcc, 0, v56
	v_mov_b32_e32 v54, 0
	v_mov_b32_e32 v55, 0
	s_and_saveexec_b64 s[2:3], vcc
	s_cbranch_execz .LBB856_101
; %bb.96:
	s_movk_i32 s8, 0x80
	v_cmp_ne_u16_e32 vcc, s8, v56
	v_mov_b32_e32 v55, 0xffff8000
	s_and_saveexec_b64 s[8:9], vcc
	s_cbranch_execz .LBB856_100
; %bb.97:
	v_bfe_u32 v56, v33, 16, 7
	s_movk_i32 s10, 0x7f
	v_cmp_ne_u32_e32 vcc, s10, v56
	v_mov_b32_e32 v55, 0x7f80
	s_and_saveexec_b64 s[10:11], vcc
	s_cbranch_execz .LBB856_99
; %bb.98:
	v_and_b32_e32 v55, 7, v30
	v_ffbh_u32_e32 v58, v55
	v_min_u32_e32 v60, 32, v58
	v_subrev_u32_e32 v58, 28, v60
	v_lshlrev_b64 v[58:59], v58, v[30:31]
	v_lshrrev_b32_e32 v57, 3, v56
	v_sub_u32_e32 v30, 29, v60
	v_and_b32_e32 v58, 7, v58
	v_cmp_gt_u32_e32 vcc, 8, v56
	v_mov_b32_e32 v56, 24
	v_cndmask_b32_e32 v30, v57, v30, vcc
	v_cndmask_b32_e32 v55, v55, v58, vcc
	v_lshlrev_b32_sdwa v56, v56, v33 dst_sel:DWORD dst_unused:UNUSED_PAD src0_sel:DWORD src1_sel:WORD_1
	v_bfrev_b32_e32 v57, 60
	v_lshlrev_b32_e32 v55, 20, v55
	v_and_b32_e32 v56, 0x80000000, v56
	v_lshl_add_u32 v30, v30, 23, v57
	v_or3_b32 v30, v56, v30, v55
	v_lshrrev_b32_e32 v55, 16, v30
.LBB856_99:
	s_or_b64 exec, exec, s[10:11]
.LBB856_100:
	s_or_b64 exec, exec, s[8:9]
.LBB856_101:
	s_or_b64 exec, exec, s[2:3]
	s_mov_b32 s2, 0xffffff
	v_cmp_lt_u32_e32 vcc, s2, v33
	s_and_saveexec_b64 s[2:3], vcc
	s_cbranch_execz .LBB856_107
; %bb.102:
	v_lshrrev_b32_e32 v30, 24, v33
	s_movk_i32 s8, 0x80
	v_cmp_ne_u32_e32 vcc, s8, v30
	v_mov_b32_e32 v54, 0xffff8000
	s_and_saveexec_b64 s[8:9], vcc
	s_cbranch_execz .LBB856_106
; %bb.103:
	v_bfe_u32 v33, v33, 24, 7
	s_movk_i32 s10, 0x7f
	v_cmp_ne_u32_e32 vcc, s10, v33
	v_mov_b32_e32 v54, 0x7f80
	s_and_saveexec_b64 s[10:11], vcc
	s_cbranch_execz .LBB856_105
; %bb.104:
	v_and_b32_e32 v54, 7, v30
	v_ffbh_u32_e32 v56, v54
	v_min_u32_e32 v59, 32, v56
	v_subrev_u32_e32 v56, 28, v59
	v_lshlrev_b64 v[56:57], v56, v[30:31]
	v_lshrrev_b32_e32 v58, 3, v33
	v_sub_u32_e32 v57, 29, v59
	v_and_b32_e32 v56, 7, v56
	v_cmp_gt_u32_e32 vcc, 8, v33
	v_cndmask_b32_e32 v33, v58, v57, vcc
	v_cndmask_b32_e32 v54, v54, v56, vcc
	v_lshlrev_b32_e32 v30, 24, v30
	v_bfrev_b32_e32 v56, 60
	v_lshlrev_b32_e32 v54, 20, v54
	v_and_b32_e32 v30, 0x80000000, v30
	v_lshl_add_u32 v33, v33, 23, v56
	v_or3_b32 v30, v30, v33, v54
	v_lshrrev_b32_e32 v54, 16, v30
.LBB856_105:
	s_or_b64 exec, exec, s[10:11]
.LBB856_106:
	s_or_b64 exec, exec, s[8:9]
.LBB856_107:
	s_or_b64 exec, exec, s[2:3]
	s_mov_b32 s2, 0x5040100
	v_perm_b32 v51, v51, v52, s2
	v_perm_b32 v50, v31, v50, s2
	;; [unrolled: 1-line block ×4, first 2 shown]
	v_mfma_f32_16x16x16bf16_1k v[56:59], v[50:51], v[18:19], v[42:45]
	s_nop 6
	v_mov_b32_e32 v43, 0
	s_waitcnt vmcnt(6)
	v_cmp_ne_u16_sdwa s[8:9], v38, v43 src0_sel:BYTE_0 src1_sel:DWORD
	v_mfma_f32_16x16x16bf16_1k v[30:33], v[30:31], v[20:21], v[56:59]
	v_mov_b32_e32 v44, 0
	s_and_saveexec_b64 s[2:3], s[8:9]
	s_cbranch_execz .LBB856_113
; %bb.108:
	s_movk_i32 s8, 0x80
	v_cmp_ne_u16_sdwa s[10:11], v38, s8 src0_sel:BYTE_0 src1_sel:DWORD
	v_mov_b32_e32 v44, 0xffff8000
	s_and_saveexec_b64 s[8:9], s[10:11]
	s_cbranch_execz .LBB856_112
; %bb.109:
	s_movk_i32 s10, 0x7f
	v_and_b32_e32 v42, 0x7f, v38
	v_cmp_ne_u32_e32 vcc, s10, v42
	v_mov_b32_e32 v44, 0x7f80
	s_and_saveexec_b64 s[10:11], vcc
	s_cbranch_execz .LBB856_111
; %bb.110:
	v_and_b32_e32 v50, 7, v38
	v_ffbh_u32_e32 v44, v50
	v_min_u32_e32 v52, 32, v44
	v_subrev_u32_e32 v44, 28, v52
	v_lshlrev_b64 v[44:45], v44, v[38:39]
	v_lshrrev_b32_e32 v51, 3, v42
	v_sub_u32_e32 v45, 29, v52
	v_and_b32_e32 v44, 7, v44
	v_cmp_gt_u32_e32 vcc, 8, v42
	v_cndmask_b32_e32 v42, v51, v45, vcc
	v_cndmask_b32_e32 v44, v50, v44, vcc
	v_lshlrev_b32_e32 v45, 24, v38
	v_bfrev_b32_e32 v50, 60
	v_lshlrev_b32_e32 v44, 20, v44
	v_and_b32_e32 v45, 0x80000000, v45
	v_lshl_add_u32 v42, v42, 23, v50
	v_or3_b32 v42, v45, v42, v44
	v_lshrrev_b32_e32 v44, 16, v42
.LBB856_111:
	s_or_b64 exec, exec, s[10:11]
.LBB856_112:
	s_or_b64 exec, exec, s[8:9]
.LBB856_113:
	s_or_b64 exec, exec, s[2:3]
	v_lshrrev_b16_e32 v42, 8, v38
	v_cmp_ne_u16_e32 vcc, 0, v42
	s_and_saveexec_b64 s[2:3], vcc
	s_cbranch_execz .LBB856_119
; %bb.114:
	s_movk_i32 s8, 0x80
	v_cmp_ne_u16_e32 vcc, s8, v42
	v_mov_b32_e32 v43, 0xffff8000
	s_and_saveexec_b64 s[8:9], vcc
	s_cbranch_execz .LBB856_118
; %bb.115:
	s_movk_i32 s10, 0x7f
	v_and_b32_e32 v45, 0x7f, v42
	v_cmp_ne_u32_e32 vcc, s10, v45
	v_mov_b32_e32 v43, 0x7f80
	s_and_saveexec_b64 s[10:11], vcc
	s_cbranch_execz .LBB856_117
; %bb.116:
	v_and_b32_e32 v50, 7, v42
	v_ffbh_u32_e32 v43, v50
	v_min_u32_e32 v52, 32, v43
	v_subrev_u32_e32 v43, 28, v52
	v_lshlrev_b64 v[42:43], v43, v[42:43]
	v_lshrrev_b32_e32 v51, 3, v45
	v_sub_u32_e32 v43, 29, v52
	v_and_b32_e32 v42, 7, v42
	v_cmp_gt_u32_e32 vcc, 8, v45
	v_cndmask_b32_e32 v43, v51, v43, vcc
	v_cndmask_b32_e32 v42, v50, v42, vcc
	v_lshlrev_b32_e32 v45, 16, v38
	v_bfrev_b32_e32 v50, 60
	v_lshlrev_b32_e32 v42, 20, v42
	v_and_b32_e32 v45, 0x80000000, v45
	v_lshl_add_u32 v43, v43, 23, v50
	v_or3_b32 v42, v45, v43, v42
	v_lshrrev_b32_e32 v43, 16, v42
.LBB856_117:
	s_or_b64 exec, exec, s[10:11]
.LBB856_118:
	s_or_b64 exec, exec, s[8:9]
.LBB856_119:
	s_or_b64 exec, exec, s[2:3]
	s_movk_i32 s2, 0xff
	v_and_b32_sdwa v51, v38, s2 dst_sel:DWORD dst_unused:UNUSED_PAD src0_sel:WORD_1 src1_sel:DWORD
	v_lshrrev_b32_e32 v42, 16, v38
	v_cmp_ne_u16_e32 vcc, 0, v51
	v_mov_b32_e32 v45, 0
	v_mov_b32_e32 v50, 0
	s_and_saveexec_b64 s[2:3], vcc
	s_cbranch_execz .LBB856_125
; %bb.120:
	s_movk_i32 s8, 0x80
	v_cmp_ne_u16_e32 vcc, s8, v51
	v_mov_b32_e32 v50, 0xffff8000
	s_and_saveexec_b64 s[8:9], vcc
	s_cbranch_execz .LBB856_124
; %bb.121:
	v_bfe_u32 v51, v38, 16, 7
	s_movk_i32 s10, 0x7f
	v_cmp_ne_u32_e32 vcc, s10, v51
	v_mov_b32_e32 v50, 0x7f80
	s_and_saveexec_b64 s[10:11], vcc
	s_cbranch_execz .LBB856_123
; %bb.122:
	v_and_b32_e32 v50, 7, v42
	v_ffbh_u32_e32 v52, v50
	v_min_u32_e32 v55, 32, v52
	v_subrev_u32_e32 v52, 28, v55
	v_lshlrev_b64 v[52:53], v52, v[42:43]
	v_lshrrev_b32_e32 v54, 3, v51
	v_sub_u32_e32 v42, 29, v55
	v_and_b32_e32 v52, 7, v52
	v_cmp_gt_u32_e32 vcc, 8, v51
	v_mov_b32_e32 v51, 24
	v_cndmask_b32_e32 v42, v54, v42, vcc
	v_cndmask_b32_e32 v50, v50, v52, vcc
	v_lshlrev_b32_sdwa v51, v51, v38 dst_sel:DWORD dst_unused:UNUSED_PAD src0_sel:DWORD src1_sel:WORD_1
	v_bfrev_b32_e32 v52, 60
	v_lshlrev_b32_e32 v50, 20, v50
	v_and_b32_e32 v51, 0x80000000, v51
	v_lshl_add_u32 v42, v42, 23, v52
	v_or3_b32 v42, v51, v42, v50
	v_lshrrev_b32_e32 v50, 16, v42
.LBB856_123:
	s_or_b64 exec, exec, s[10:11]
.LBB856_124:
	s_or_b64 exec, exec, s[8:9]
.LBB856_125:
	s_or_b64 exec, exec, s[2:3]
	s_mov_b32 s2, 0xffffff
	v_cmp_lt_u32_e32 vcc, s2, v38
	s_and_saveexec_b64 s[2:3], vcc
	s_cbranch_execz .LBB856_131
; %bb.126:
	v_lshrrev_b32_e32 v42, 24, v38
	s_movk_i32 s8, 0x80
	v_cmp_ne_u32_e32 vcc, s8, v42
	v_mov_b32_e32 v45, 0xffff8000
	s_and_saveexec_b64 s[8:9], vcc
	s_cbranch_execz .LBB856_130
; %bb.127:
	v_bfe_u32 v38, v38, 24, 7
	s_movk_i32 s10, 0x7f
	v_cmp_ne_u32_e32 vcc, s10, v38
	v_mov_b32_e32 v45, 0x7f80
	s_and_saveexec_b64 s[10:11], vcc
	s_cbranch_execz .LBB856_129
; %bb.128:
	v_and_b32_e32 v45, 7, v42
	v_ffbh_u32_e32 v52, v45
	v_min_u32_e32 v54, 32, v52
	v_subrev_u32_e32 v52, 28, v54
	v_lshlrev_b64 v[52:53], v52, v[42:43]
	v_lshrrev_b32_e32 v51, 3, v38
	v_sub_u32_e32 v53, 29, v54
	v_and_b32_e32 v52, 7, v52
	v_cmp_gt_u32_e32 vcc, 8, v38
	v_cndmask_b32_e32 v38, v51, v53, vcc
	v_cndmask_b32_e32 v45, v45, v52, vcc
	v_lshlrev_b32_e32 v42, 24, v42
	v_bfrev_b32_e32 v51, 60
	v_lshlrev_b32_e32 v45, 20, v45
	v_and_b32_e32 v42, 0x80000000, v42
	v_lshl_add_u32 v38, v38, 23, v51
	v_or3_b32 v38, v42, v38, v45
	v_lshrrev_b32_e32 v45, 16, v38
.LBB856_129:
	s_or_b64 exec, exec, s[10:11]
.LBB856_130:
	s_or_b64 exec, exec, s[8:9]
.LBB856_131:
	s_or_b64 exec, exec, s[2:3]
	v_mov_b32_e32 v42, 0
	v_cmp_ne_u16_sdwa s[8:9], v39, v42 src0_sel:BYTE_0 src1_sel:DWORD
	v_mov_b32_e32 v51, 0
	s_and_saveexec_b64 s[2:3], s[8:9]
	s_cbranch_execz .LBB856_137
; %bb.132:
	s_movk_i32 s8, 0x80
	v_cmp_ne_u16_sdwa s[10:11], v39, s8 src0_sel:BYTE_0 src1_sel:DWORD
	v_mov_b32_e32 v51, 0xffff8000
	s_and_saveexec_b64 s[8:9], s[10:11]
	s_cbranch_execz .LBB856_136
; %bb.133:
	s_movk_i32 s10, 0x7f
	v_and_b32_e32 v38, 0x7f, v39
	v_cmp_ne_u32_e32 vcc, s10, v38
	v_mov_b32_e32 v51, 0x7f80
	s_and_saveexec_b64 s[10:11], vcc
	s_cbranch_execz .LBB856_135
; %bb.134:
	v_and_b32_e32 v51, 7, v39
	v_ffbh_u32_e32 v53, v51
	v_min_u32_e32 v55, 32, v53
	v_mov_b32_e32 v52, v39
	v_subrev_u32_e32 v53, 28, v55
	v_lshlrev_b64 v[52:53], v53, v[52:53]
	v_lshrrev_b32_e32 v54, 3, v38
	v_sub_u32_e32 v53, 29, v55
	v_and_b32_e32 v52, 7, v52
	v_cmp_gt_u32_e32 vcc, 8, v38
	v_cndmask_b32_e32 v38, v54, v53, vcc
	v_cndmask_b32_e32 v51, v51, v52, vcc
	v_lshlrev_b32_e32 v52, 24, v39
	v_bfrev_b32_e32 v53, 60
	v_lshlrev_b32_e32 v51, 20, v51
	v_and_b32_e32 v52, 0x80000000, v52
	v_lshl_add_u32 v38, v38, 23, v53
	v_or3_b32 v38, v52, v38, v51
	v_lshrrev_b32_e32 v51, 16, v38
.LBB856_135:
	s_or_b64 exec, exec, s[10:11]
.LBB856_136:
	s_or_b64 exec, exec, s[8:9]
.LBB856_137:
	s_or_b64 exec, exec, s[2:3]
	v_lshrrev_b16_e32 v38, 8, v39
	v_cmp_ne_u16_e32 vcc, 0, v38
	s_and_saveexec_b64 s[2:3], vcc
	s_cbranch_execz .LBB856_143
; %bb.138:
	s_movk_i32 s8, 0x80
	v_cmp_ne_u16_e32 vcc, s8, v38
	v_mov_b32_e32 v42, 0xffff8000
	s_and_saveexec_b64 s[8:9], vcc
	s_cbranch_execz .LBB856_142
; %bb.139:
	s_movk_i32 s10, 0x7f
	v_and_b32_e32 v52, 0x7f, v38
	v_cmp_ne_u32_e32 vcc, s10, v52
	v_mov_b32_e32 v42, 0x7f80
	s_and_saveexec_b64 s[10:11], vcc
	s_cbranch_execz .LBB856_141
; %bb.140:
	v_and_b32_e32 v42, 7, v38
	v_ffbh_u32_e32 v54, v42
	v_min_u32_e32 v56, 32, v54
	v_subrev_u32_e32 v54, 28, v56
	v_lshlrev_b64 v[54:55], v54, v[38:39]
	v_lshrrev_b32_e32 v53, 3, v52
	v_sub_u32_e32 v38, 29, v56
	v_and_b32_e32 v54, 7, v54
	v_cmp_gt_u32_e32 vcc, 8, v52
	v_cndmask_b32_e32 v38, v53, v38, vcc
	v_cndmask_b32_e32 v42, v42, v54, vcc
	v_lshlrev_b32_e32 v52, 16, v39
	v_bfrev_b32_e32 v53, 60
	v_lshlrev_b32_e32 v42, 20, v42
	v_and_b32_e32 v52, 0x80000000, v52
	v_lshl_add_u32 v38, v38, 23, v53
	v_or3_b32 v38, v52, v38, v42
	v_lshrrev_b32_e32 v42, 16, v38
.LBB856_141:
	s_or_b64 exec, exec, s[10:11]
.LBB856_142:
	s_or_b64 exec, exec, s[8:9]
.LBB856_143:
	s_or_b64 exec, exec, s[2:3]
	s_movk_i32 s2, 0xff
	v_and_b32_sdwa v54, v39, s2 dst_sel:DWORD dst_unused:UNUSED_PAD src0_sel:WORD_1 src1_sel:DWORD
	v_lshrrev_b32_e32 v38, 16, v39
	v_cmp_ne_u16_e32 vcc, 0, v54
	v_mov_b32_e32 v52, 0
	v_mov_b32_e32 v53, 0
	s_and_saveexec_b64 s[2:3], vcc
	s_cbranch_execz .LBB856_149
; %bb.144:
	s_movk_i32 s8, 0x80
	v_cmp_ne_u16_e32 vcc, s8, v54
	v_mov_b32_e32 v53, 0xffff8000
	s_and_saveexec_b64 s[8:9], vcc
	s_cbranch_execz .LBB856_148
; %bb.145:
	v_bfe_u32 v54, v39, 16, 7
	s_movk_i32 s10, 0x7f
	v_cmp_ne_u32_e32 vcc, s10, v54
	v_mov_b32_e32 v53, 0x7f80
	s_and_saveexec_b64 s[10:11], vcc
	s_cbranch_execz .LBB856_147
; %bb.146:
	v_and_b32_e32 v53, 7, v38
	v_ffbh_u32_e32 v56, v53
	v_min_u32_e32 v58, 32, v56
	v_subrev_u32_e32 v56, 28, v58
	v_lshlrev_b64 v[56:57], v56, v[38:39]
	v_lshrrev_b32_e32 v55, 3, v54
	v_sub_u32_e32 v38, 29, v58
	v_and_b32_e32 v56, 7, v56
	v_cmp_gt_u32_e32 vcc, 8, v54
	v_mov_b32_e32 v54, 24
	v_cndmask_b32_e32 v38, v55, v38, vcc
	v_cndmask_b32_e32 v53, v53, v56, vcc
	v_lshlrev_b32_sdwa v54, v54, v39 dst_sel:DWORD dst_unused:UNUSED_PAD src0_sel:DWORD src1_sel:WORD_1
	v_bfrev_b32_e32 v55, 60
	v_lshlrev_b32_e32 v53, 20, v53
	v_and_b32_e32 v54, 0x80000000, v54
	v_lshl_add_u32 v38, v38, 23, v55
	v_or3_b32 v38, v54, v38, v53
	v_lshrrev_b32_e32 v53, 16, v38
.LBB856_147:
	s_or_b64 exec, exec, s[10:11]
.LBB856_148:
	s_or_b64 exec, exec, s[8:9]
.LBB856_149:
	s_or_b64 exec, exec, s[2:3]
	s_mov_b32 s2, 0xffffff
	v_cmp_lt_u32_e32 vcc, s2, v39
	s_and_saveexec_b64 s[2:3], vcc
	s_cbranch_execz .LBB856_155
; %bb.150:
	v_lshrrev_b32_e32 v38, 24, v39
	s_movk_i32 s8, 0x80
	v_cmp_ne_u32_e32 vcc, s8, v38
	v_mov_b32_e32 v52, 0xffff8000
	s_and_saveexec_b64 s[8:9], vcc
	s_cbranch_execz .LBB856_154
; %bb.151:
	v_bfe_u32 v39, v39, 24, 7
	s_movk_i32 s10, 0x7f
	v_cmp_ne_u32_e32 vcc, s10, v39
	v_mov_b32_e32 v52, 0x7f80
	s_and_saveexec_b64 s[10:11], vcc
	s_cbranch_execz .LBB856_153
; %bb.152:
	v_and_b32_e32 v52, 7, v38
	v_ffbh_u32_e32 v54, v52
	v_min_u32_e32 v57, 32, v54
	v_subrev_u32_e32 v54, 28, v57
	v_lshlrev_b64 v[54:55], v54, v[38:39]
	v_lshrrev_b32_e32 v56, 3, v39
	v_sub_u32_e32 v55, 29, v57
	v_and_b32_e32 v54, 7, v54
	v_cmp_gt_u32_e32 vcc, 8, v39
	v_cndmask_b32_e32 v39, v56, v55, vcc
	v_cndmask_b32_e32 v52, v52, v54, vcc
	v_lshlrev_b32_e32 v38, 24, v38
	v_bfrev_b32_e32 v54, 60
	v_lshlrev_b32_e32 v52, 20, v52
	v_and_b32_e32 v38, 0x80000000, v38
	v_lshl_add_u32 v39, v39, 23, v54
	v_or3_b32 v38, v38, v39, v52
	v_lshrrev_b32_e32 v52, 16, v38
.LBB856_153:
	s_or_b64 exec, exec, s[10:11]
.LBB856_154:
	s_or_b64 exec, exec, s[8:9]
.LBB856_155:
	s_or_b64 exec, exec, s[2:3]
	s_mov_b32 s2, 0x5040100
	v_perm_b32 v39, v45, v50, s2
	v_perm_b32 v38, v43, v44, s2
	;; [unrolled: 1-line block ×4, first 2 shown]
	v_mov_b32_e32 v50, 0
	v_mfma_f32_16x16x16bf16_1k v[54:57], v[38:39], v[26:27], 0
	v_mov_b32_e32 v39, 0
	v_cmp_ne_u16_sdwa s[8:9], v40, v39 src0_sel:BYTE_0 src1_sel:DWORD
	v_mfma_f32_16x16x16bf16_1k v[42:45], v[42:43], v[28:29], v[54:57]
	s_and_saveexec_b64 s[2:3], s[8:9]
	s_cbranch_execz .LBB856_161
; %bb.156:
	s_movk_i32 s8, 0x80
	v_cmp_ne_u16_sdwa s[10:11], v40, s8 src0_sel:BYTE_0 src1_sel:DWORD
	v_mov_b32_e32 v50, 0xffff8000
	s_and_saveexec_b64 s[8:9], s[10:11]
	s_cbranch_execz .LBB856_160
; %bb.157:
	s_movk_i32 s10, 0x7f
	v_and_b32_e32 v38, 0x7f, v40
	v_cmp_ne_u32_e32 vcc, s10, v38
	v_mov_b32_e32 v50, 0x7f80
	s_and_saveexec_b64 s[10:11], vcc
	s_cbranch_execz .LBB856_159
; %bb.158:
	v_and_b32_e32 v52, 7, v40
	v_ffbh_u32_e32 v50, v52
	v_min_u32_e32 v54, 32, v50
	v_subrev_u32_e32 v50, 28, v54
	v_lshlrev_b64 v[50:51], v50, v[40:41]
	v_lshrrev_b32_e32 v53, 3, v38
	v_sub_u32_e32 v51, 29, v54
	v_and_b32_e32 v50, 7, v50
	v_cmp_gt_u32_e32 vcc, 8, v38
	v_cndmask_b32_e32 v38, v53, v51, vcc
	v_cndmask_b32_e32 v50, v52, v50, vcc
	v_lshlrev_b32_e32 v51, 24, v40
	v_bfrev_b32_e32 v52, 60
	v_lshlrev_b32_e32 v50, 20, v50
	v_and_b32_e32 v51, 0x80000000, v51
	v_lshl_add_u32 v38, v38, 23, v52
	v_or3_b32 v38, v51, v38, v50
	v_lshrrev_b32_e32 v50, 16, v38
.LBB856_159:
	s_or_b64 exec, exec, s[10:11]
.LBB856_160:
	s_or_b64 exec, exec, s[8:9]
.LBB856_161:
	s_or_b64 exec, exec, s[2:3]
	v_lshrrev_b16_e32 v38, 8, v40
	v_cmp_ne_u16_e32 vcc, 0, v38
	s_and_saveexec_b64 s[2:3], vcc
	s_cbranch_execz .LBB856_167
; %bb.162:
	s_movk_i32 s8, 0x80
	v_cmp_ne_u16_e32 vcc, s8, v38
	v_mov_b32_e32 v39, 0xffff8000
	s_and_saveexec_b64 s[8:9], vcc
	s_cbranch_execz .LBB856_166
; %bb.163:
	s_movk_i32 s10, 0x7f
	v_and_b32_e32 v51, 0x7f, v38
	v_cmp_ne_u32_e32 vcc, s10, v51
	v_mov_b32_e32 v39, 0x7f80
	s_and_saveexec_b64 s[10:11], vcc
	s_cbranch_execz .LBB856_165
; %bb.164:
	v_and_b32_e32 v52, 7, v38
	v_ffbh_u32_e32 v39, v52
	v_min_u32_e32 v54, 32, v39
	v_subrev_u32_e32 v39, 28, v54
	v_lshlrev_b64 v[38:39], v39, v[38:39]
	v_lshrrev_b32_e32 v53, 3, v51
	v_sub_u32_e32 v39, 29, v54
	v_and_b32_e32 v38, 7, v38
	v_cmp_gt_u32_e32 vcc, 8, v51
	v_cndmask_b32_e32 v39, v53, v39, vcc
	v_cndmask_b32_e32 v38, v52, v38, vcc
	v_lshlrev_b32_e32 v51, 16, v40
	v_bfrev_b32_e32 v52, 60
	v_lshlrev_b32_e32 v38, 20, v38
	v_and_b32_e32 v51, 0x80000000, v51
	v_lshl_add_u32 v39, v39, 23, v52
	v_or3_b32 v38, v51, v39, v38
	v_lshrrev_b32_e32 v39, 16, v38
.LBB856_165:
	s_or_b64 exec, exec, s[10:11]
.LBB856_166:
	s_or_b64 exec, exec, s[8:9]
.LBB856_167:
	s_or_b64 exec, exec, s[2:3]
	s_movk_i32 s2, 0xff
	v_and_b32_sdwa v53, v40, s2 dst_sel:DWORD dst_unused:UNUSED_PAD src0_sel:WORD_1 src1_sel:DWORD
	v_lshrrev_b32_e32 v38, 16, v40
	v_cmp_ne_u16_e32 vcc, 0, v53
	v_mov_b32_e32 v51, 0
	v_mov_b32_e32 v52, 0
	s_and_saveexec_b64 s[2:3], vcc
	s_cbranch_execz .LBB856_173
; %bb.168:
	s_movk_i32 s8, 0x80
	v_cmp_ne_u16_e32 vcc, s8, v53
	v_mov_b32_e32 v52, 0xffff8000
	s_and_saveexec_b64 s[8:9], vcc
	s_cbranch_execz .LBB856_172
; %bb.169:
	v_bfe_u32 v53, v40, 16, 7
	s_movk_i32 s10, 0x7f
	v_cmp_ne_u32_e32 vcc, s10, v53
	v_mov_b32_e32 v52, 0x7f80
	s_and_saveexec_b64 s[10:11], vcc
	s_cbranch_execz .LBB856_171
; %bb.170:
	v_and_b32_e32 v52, 7, v38
	v_ffbh_u32_e32 v54, v52
	v_min_u32_e32 v57, 32, v54
	v_subrev_u32_e32 v54, 28, v57
	v_lshlrev_b64 v[54:55], v54, v[38:39]
	v_lshrrev_b32_e32 v56, 3, v53
	v_sub_u32_e32 v38, 29, v57
	v_and_b32_e32 v54, 7, v54
	v_cmp_gt_u32_e32 vcc, 8, v53
	v_mov_b32_e32 v53, 24
	v_cndmask_b32_e32 v38, v56, v38, vcc
	v_cndmask_b32_e32 v52, v52, v54, vcc
	v_lshlrev_b32_sdwa v53, v53, v40 dst_sel:DWORD dst_unused:UNUSED_PAD src0_sel:DWORD src1_sel:WORD_1
	v_bfrev_b32_e32 v54, 60
	v_lshlrev_b32_e32 v52, 20, v52
	v_and_b32_e32 v53, 0x80000000, v53
	v_lshl_add_u32 v38, v38, 23, v54
	v_or3_b32 v38, v53, v38, v52
	v_lshrrev_b32_e32 v52, 16, v38
.LBB856_171:
	s_or_b64 exec, exec, s[10:11]
.LBB856_172:
	s_or_b64 exec, exec, s[8:9]
.LBB856_173:
	s_or_b64 exec, exec, s[2:3]
	s_mov_b32 s2, 0xffffff
	v_cmp_lt_u32_e32 vcc, s2, v40
	s_and_saveexec_b64 s[2:3], vcc
	s_cbranch_execz .LBB856_179
; %bb.174:
	v_lshrrev_b32_e32 v38, 24, v40
	s_movk_i32 s8, 0x80
	v_cmp_ne_u32_e32 vcc, s8, v38
	v_mov_b32_e32 v51, 0xffff8000
	s_and_saveexec_b64 s[8:9], vcc
	s_cbranch_execz .LBB856_178
; %bb.175:
	v_bfe_u32 v40, v40, 24, 7
	s_movk_i32 s10, 0x7f
	v_cmp_ne_u32_e32 vcc, s10, v40
	v_mov_b32_e32 v51, 0x7f80
	s_and_saveexec_b64 s[10:11], vcc
	s_cbranch_execz .LBB856_177
; %bb.176:
	v_and_b32_e32 v51, 7, v38
	v_ffbh_u32_e32 v54, v51
	v_min_u32_e32 v56, 32, v54
	v_subrev_u32_e32 v54, 28, v56
	v_lshlrev_b64 v[54:55], v54, v[38:39]
	v_lshrrev_b32_e32 v53, 3, v40
	v_sub_u32_e32 v55, 29, v56
	v_and_b32_e32 v54, 7, v54
	v_cmp_gt_u32_e32 vcc, 8, v40
	v_cndmask_b32_e32 v40, v53, v55, vcc
	v_cndmask_b32_e32 v51, v51, v54, vcc
	v_lshlrev_b32_e32 v38, 24, v38
	v_bfrev_b32_e32 v53, 60
	v_lshlrev_b32_e32 v51, 20, v51
	v_and_b32_e32 v38, 0x80000000, v38
	v_lshl_add_u32 v40, v40, 23, v53
	v_or3_b32 v38, v38, v40, v51
	v_lshrrev_b32_e32 v51, 16, v38
.LBB856_177:
	s_or_b64 exec, exec, s[10:11]
.LBB856_178:
	s_or_b64 exec, exec, s[8:9]
.LBB856_179:
	s_or_b64 exec, exec, s[2:3]
	v_mov_b32_e32 v40, 0
	v_cmp_ne_u16_sdwa s[8:9], v41, v40 src0_sel:BYTE_0 src1_sel:DWORD
	v_mov_b32_e32 v53, 0
	s_and_saveexec_b64 s[2:3], s[8:9]
	s_cbranch_execz .LBB856_185
; %bb.180:
	s_movk_i32 s8, 0x80
	v_cmp_ne_u16_sdwa s[10:11], v41, s8 src0_sel:BYTE_0 src1_sel:DWORD
	v_mov_b32_e32 v53, 0xffff8000
	s_and_saveexec_b64 s[8:9], s[10:11]
	s_cbranch_execz .LBB856_184
; %bb.181:
	s_movk_i32 s10, 0x7f
	v_and_b32_e32 v38, 0x7f, v41
	v_cmp_ne_u32_e32 vcc, s10, v38
	v_mov_b32_e32 v53, 0x7f80
	s_and_saveexec_b64 s[10:11], vcc
	s_cbranch_execz .LBB856_183
; %bb.182:
	v_and_b32_e32 v53, 7, v41
	v_ffbh_u32_e32 v55, v53
	v_min_u32_e32 v57, 32, v55
	v_mov_b32_e32 v54, v41
	v_subrev_u32_e32 v55, 28, v57
	v_lshlrev_b64 v[54:55], v55, v[54:55]
	v_lshrrev_b32_e32 v56, 3, v38
	v_sub_u32_e32 v55, 29, v57
	v_and_b32_e32 v54, 7, v54
	v_cmp_gt_u32_e32 vcc, 8, v38
	v_cndmask_b32_e32 v38, v56, v55, vcc
	v_cndmask_b32_e32 v53, v53, v54, vcc
	v_lshlrev_b32_e32 v54, 24, v41
	v_bfrev_b32_e32 v55, 60
	v_lshlrev_b32_e32 v53, 20, v53
	v_and_b32_e32 v54, 0x80000000, v54
	v_lshl_add_u32 v38, v38, 23, v55
	v_or3_b32 v38, v54, v38, v53
	v_lshrrev_b32_e32 v53, 16, v38
.LBB856_183:
	s_or_b64 exec, exec, s[10:11]
.LBB856_184:
	s_or_b64 exec, exec, s[8:9]
.LBB856_185:
	s_or_b64 exec, exec, s[2:3]
	v_lshrrev_b16_e32 v38, 8, v41
	v_cmp_ne_u16_e32 vcc, 0, v38
	s_and_saveexec_b64 s[2:3], vcc
	s_cbranch_execz .LBB856_191
; %bb.186:
	s_movk_i32 s8, 0x80
	v_cmp_ne_u16_e32 vcc, s8, v38
	v_mov_b32_e32 v40, 0xffff8000
	s_and_saveexec_b64 s[8:9], vcc
	s_cbranch_execz .LBB856_190
; %bb.187:
	s_movk_i32 s10, 0x7f
	v_and_b32_e32 v54, 0x7f, v38
	v_cmp_ne_u32_e32 vcc, s10, v54
	v_mov_b32_e32 v40, 0x7f80
	s_and_saveexec_b64 s[10:11], vcc
	s_cbranch_execz .LBB856_189
; %bb.188:
	v_and_b32_e32 v40, 7, v38
	v_ffbh_u32_e32 v56, v40
	v_min_u32_e32 v58, 32, v56
	v_subrev_u32_e32 v56, 28, v58
	v_lshlrev_b64 v[56:57], v56, v[38:39]
	v_lshrrev_b32_e32 v55, 3, v54
	v_sub_u32_e32 v38, 29, v58
	v_and_b32_e32 v56, 7, v56
	v_cmp_gt_u32_e32 vcc, 8, v54
	v_cndmask_b32_e32 v38, v55, v38, vcc
	v_cndmask_b32_e32 v40, v40, v56, vcc
	v_lshlrev_b32_e32 v54, 16, v41
	v_bfrev_b32_e32 v55, 60
	v_lshlrev_b32_e32 v40, 20, v40
	v_and_b32_e32 v54, 0x80000000, v54
	v_lshl_add_u32 v38, v38, 23, v55
	v_or3_b32 v38, v54, v38, v40
	v_lshrrev_b32_e32 v40, 16, v38
.LBB856_189:
	s_or_b64 exec, exec, s[10:11]
.LBB856_190:
	s_or_b64 exec, exec, s[8:9]
.LBB856_191:
	s_or_b64 exec, exec, s[2:3]
	s_movk_i32 s2, 0xff
	v_and_b32_sdwa v56, v41, s2 dst_sel:DWORD dst_unused:UNUSED_PAD src0_sel:WORD_1 src1_sel:DWORD
	v_lshrrev_b32_e32 v38, 16, v41
	v_cmp_ne_u16_e32 vcc, 0, v56
	v_mov_b32_e32 v54, 0
	v_mov_b32_e32 v55, 0
	s_and_saveexec_b64 s[2:3], vcc
	s_cbranch_execz .LBB856_197
; %bb.192:
	s_movk_i32 s8, 0x80
	v_cmp_ne_u16_e32 vcc, s8, v56
	v_mov_b32_e32 v55, 0xffff8000
	s_and_saveexec_b64 s[8:9], vcc
	s_cbranch_execz .LBB856_196
; %bb.193:
	v_bfe_u32 v56, v41, 16, 7
	s_movk_i32 s10, 0x7f
	v_cmp_ne_u32_e32 vcc, s10, v56
	v_mov_b32_e32 v55, 0x7f80
	s_and_saveexec_b64 s[10:11], vcc
	s_cbranch_execz .LBB856_195
; %bb.194:
	v_and_b32_e32 v55, 7, v38
	v_ffbh_u32_e32 v58, v55
	v_min_u32_e32 v60, 32, v58
	v_subrev_u32_e32 v58, 28, v60
	v_lshlrev_b64 v[58:59], v58, v[38:39]
	v_lshrrev_b32_e32 v57, 3, v56
	v_sub_u32_e32 v38, 29, v60
	v_and_b32_e32 v58, 7, v58
	v_cmp_gt_u32_e32 vcc, 8, v56
	v_mov_b32_e32 v56, 24
	v_cndmask_b32_e32 v38, v57, v38, vcc
	v_cndmask_b32_e32 v55, v55, v58, vcc
	v_lshlrev_b32_sdwa v56, v56, v41 dst_sel:DWORD dst_unused:UNUSED_PAD src0_sel:DWORD src1_sel:WORD_1
	v_bfrev_b32_e32 v57, 60
	v_lshlrev_b32_e32 v55, 20, v55
	v_and_b32_e32 v56, 0x80000000, v56
	v_lshl_add_u32 v38, v38, 23, v57
	v_or3_b32 v38, v56, v38, v55
	v_lshrrev_b32_e32 v55, 16, v38
.LBB856_195:
	s_or_b64 exec, exec, s[10:11]
.LBB856_196:
	s_or_b64 exec, exec, s[8:9]
.LBB856_197:
	s_or_b64 exec, exec, s[2:3]
	s_mov_b32 s2, 0xffffff
	v_cmp_lt_u32_e32 vcc, s2, v41
	s_and_saveexec_b64 s[2:3], vcc
	s_cbranch_execz .LBB856_203
; %bb.198:
	v_lshrrev_b32_e32 v38, 24, v41
	s_movk_i32 s8, 0x80
	v_cmp_ne_u32_e32 vcc, s8, v38
	v_mov_b32_e32 v54, 0xffff8000
	s_and_saveexec_b64 s[8:9], vcc
	s_cbranch_execz .LBB856_202
; %bb.199:
	v_bfe_u32 v41, v41, 24, 7
	s_movk_i32 s10, 0x7f
	v_cmp_ne_u32_e32 vcc, s10, v41
	v_mov_b32_e32 v54, 0x7f80
	s_and_saveexec_b64 s[10:11], vcc
	s_cbranch_execz .LBB856_201
; %bb.200:
	v_and_b32_e32 v54, 7, v38
	v_ffbh_u32_e32 v56, v54
	v_min_u32_e32 v59, 32, v56
	v_subrev_u32_e32 v56, 28, v59
	v_lshlrev_b64 v[56:57], v56, v[38:39]
	v_lshrrev_b32_e32 v58, 3, v41
	v_sub_u32_e32 v57, 29, v59
	v_and_b32_e32 v56, 7, v56
	v_cmp_gt_u32_e32 vcc, 8, v41
	v_cndmask_b32_e32 v41, v58, v57, vcc
	v_cndmask_b32_e32 v54, v54, v56, vcc
	v_lshlrev_b32_e32 v38, 24, v38
	v_bfrev_b32_e32 v56, 60
	v_lshlrev_b32_e32 v54, 20, v54
	v_and_b32_e32 v38, 0x80000000, v38
	v_lshl_add_u32 v41, v41, 23, v56
	v_or3_b32 v38, v38, v41, v54
	v_lshrrev_b32_e32 v54, 16, v38
.LBB856_201:
	s_or_b64 exec, exec, s[10:11]
.LBB856_202:
	s_or_b64 exec, exec, s[8:9]
.LBB856_203:
	s_or_b64 exec, exec, s[2:3]
	s_mov_b32 s2, 0x5040100
	v_perm_b32 v51, v51, v52, s2
	v_perm_b32 v50, v39, v50, s2
	;; [unrolled: 1-line block ×4, first 2 shown]
	v_mfma_f32_16x16x16bf16_1k v[56:59], v[50:51], v[18:19], v[42:45]
	s_nop 6
	v_mov_b32_e32 v43, 0
	s_waitcnt vmcnt(5)
	v_cmp_ne_u16_sdwa s[8:9], v34, v43 src0_sel:BYTE_0 src1_sel:DWORD
	v_mfma_f32_16x16x16bf16_1k v[38:41], v[38:39], v[20:21], v[56:59]
	v_mov_b32_e32 v44, 0
	s_and_saveexec_b64 s[2:3], s[8:9]
	s_cbranch_execz .LBB856_209
; %bb.204:
	s_movk_i32 s8, 0x80
	v_cmp_ne_u16_sdwa s[10:11], v34, s8 src0_sel:BYTE_0 src1_sel:DWORD
	v_mov_b32_e32 v44, 0xffff8000
	s_and_saveexec_b64 s[8:9], s[10:11]
	s_cbranch_execz .LBB856_208
; %bb.205:
	s_movk_i32 s10, 0x7f
	v_and_b32_e32 v42, 0x7f, v34
	v_cmp_ne_u32_e32 vcc, s10, v42
	v_mov_b32_e32 v44, 0x7f80
	s_and_saveexec_b64 s[10:11], vcc
	s_cbranch_execz .LBB856_207
; %bb.206:
	v_and_b32_e32 v50, 7, v34
	v_ffbh_u32_e32 v44, v50
	v_min_u32_e32 v52, 32, v44
	v_subrev_u32_e32 v44, 28, v52
	v_lshlrev_b64 v[44:45], v44, v[34:35]
	v_lshrrev_b32_e32 v51, 3, v42
	v_sub_u32_e32 v45, 29, v52
	v_and_b32_e32 v44, 7, v44
	v_cmp_gt_u32_e32 vcc, 8, v42
	v_cndmask_b32_e32 v42, v51, v45, vcc
	v_cndmask_b32_e32 v44, v50, v44, vcc
	v_lshlrev_b32_e32 v45, 24, v34
	v_bfrev_b32_e32 v50, 60
	v_lshlrev_b32_e32 v44, 20, v44
	v_and_b32_e32 v45, 0x80000000, v45
	v_lshl_add_u32 v42, v42, 23, v50
	v_or3_b32 v42, v45, v42, v44
	v_lshrrev_b32_e32 v44, 16, v42
.LBB856_207:
	s_or_b64 exec, exec, s[10:11]
.LBB856_208:
	s_or_b64 exec, exec, s[8:9]
.LBB856_209:
	s_or_b64 exec, exec, s[2:3]
	v_lshrrev_b16_e32 v42, 8, v34
	v_cmp_ne_u16_e32 vcc, 0, v42
	s_and_saveexec_b64 s[2:3], vcc
	s_cbranch_execz .LBB856_215
; %bb.210:
	s_movk_i32 s8, 0x80
	v_cmp_ne_u16_e32 vcc, s8, v42
	v_mov_b32_e32 v43, 0xffff8000
	s_and_saveexec_b64 s[8:9], vcc
	s_cbranch_execz .LBB856_214
; %bb.211:
	s_movk_i32 s10, 0x7f
	v_and_b32_e32 v45, 0x7f, v42
	v_cmp_ne_u32_e32 vcc, s10, v45
	v_mov_b32_e32 v43, 0x7f80
	s_and_saveexec_b64 s[10:11], vcc
	s_cbranch_execz .LBB856_213
; %bb.212:
	v_and_b32_e32 v50, 7, v42
	v_ffbh_u32_e32 v43, v50
	v_min_u32_e32 v52, 32, v43
	v_subrev_u32_e32 v43, 28, v52
	v_lshlrev_b64 v[42:43], v43, v[42:43]
	v_lshrrev_b32_e32 v51, 3, v45
	v_sub_u32_e32 v43, 29, v52
	v_and_b32_e32 v42, 7, v42
	v_cmp_gt_u32_e32 vcc, 8, v45
	v_cndmask_b32_e32 v43, v51, v43, vcc
	v_cndmask_b32_e32 v42, v50, v42, vcc
	v_lshlrev_b32_e32 v45, 16, v34
	v_bfrev_b32_e32 v50, 60
	v_lshlrev_b32_e32 v42, 20, v42
	v_and_b32_e32 v45, 0x80000000, v45
	v_lshl_add_u32 v43, v43, 23, v50
	v_or3_b32 v42, v45, v43, v42
	v_lshrrev_b32_e32 v43, 16, v42
.LBB856_213:
	s_or_b64 exec, exec, s[10:11]
.LBB856_214:
	s_or_b64 exec, exec, s[8:9]
.LBB856_215:
	s_or_b64 exec, exec, s[2:3]
	s_movk_i32 s2, 0xff
	v_and_b32_sdwa v51, v34, s2 dst_sel:DWORD dst_unused:UNUSED_PAD src0_sel:WORD_1 src1_sel:DWORD
	v_lshrrev_b32_e32 v42, 16, v34
	v_cmp_ne_u16_e32 vcc, 0, v51
	v_mov_b32_e32 v45, 0
	v_mov_b32_e32 v50, 0
	s_and_saveexec_b64 s[2:3], vcc
	s_cbranch_execz .LBB856_221
; %bb.216:
	s_movk_i32 s8, 0x80
	v_cmp_ne_u16_e32 vcc, s8, v51
	v_mov_b32_e32 v50, 0xffff8000
	s_and_saveexec_b64 s[8:9], vcc
	s_cbranch_execz .LBB856_220
; %bb.217:
	v_bfe_u32 v51, v34, 16, 7
	s_movk_i32 s10, 0x7f
	v_cmp_ne_u32_e32 vcc, s10, v51
	v_mov_b32_e32 v50, 0x7f80
	s_and_saveexec_b64 s[10:11], vcc
	s_cbranch_execz .LBB856_219
; %bb.218:
	v_and_b32_e32 v50, 7, v42
	v_ffbh_u32_e32 v52, v50
	v_min_u32_e32 v55, 32, v52
	v_subrev_u32_e32 v52, 28, v55
	v_lshlrev_b64 v[52:53], v52, v[42:43]
	v_lshrrev_b32_e32 v54, 3, v51
	v_sub_u32_e32 v42, 29, v55
	v_and_b32_e32 v52, 7, v52
	v_cmp_gt_u32_e32 vcc, 8, v51
	v_mov_b32_e32 v51, 24
	v_cndmask_b32_e32 v42, v54, v42, vcc
	v_cndmask_b32_e32 v50, v50, v52, vcc
	v_lshlrev_b32_sdwa v51, v51, v34 dst_sel:DWORD dst_unused:UNUSED_PAD src0_sel:DWORD src1_sel:WORD_1
	v_bfrev_b32_e32 v52, 60
	v_lshlrev_b32_e32 v50, 20, v50
	v_and_b32_e32 v51, 0x80000000, v51
	v_lshl_add_u32 v42, v42, 23, v52
	v_or3_b32 v42, v51, v42, v50
	v_lshrrev_b32_e32 v50, 16, v42
.LBB856_219:
	s_or_b64 exec, exec, s[10:11]
.LBB856_220:
	s_or_b64 exec, exec, s[8:9]
.LBB856_221:
	s_or_b64 exec, exec, s[2:3]
	s_mov_b32 s2, 0xffffff
	v_cmp_lt_u32_e32 vcc, s2, v34
	s_and_saveexec_b64 s[2:3], vcc
	s_cbranch_execz .LBB856_227
; %bb.222:
	v_lshrrev_b32_e32 v42, 24, v34
	s_movk_i32 s8, 0x80
	v_cmp_ne_u32_e32 vcc, s8, v42
	v_mov_b32_e32 v45, 0xffff8000
	s_and_saveexec_b64 s[8:9], vcc
	s_cbranch_execz .LBB856_226
; %bb.223:
	v_bfe_u32 v34, v34, 24, 7
	s_movk_i32 s10, 0x7f
	v_cmp_ne_u32_e32 vcc, s10, v34
	v_mov_b32_e32 v45, 0x7f80
	s_and_saveexec_b64 s[10:11], vcc
	s_cbranch_execz .LBB856_225
; %bb.224:
	v_and_b32_e32 v45, 7, v42
	v_ffbh_u32_e32 v52, v45
	v_min_u32_e32 v54, 32, v52
	v_subrev_u32_e32 v52, 28, v54
	v_lshlrev_b64 v[52:53], v52, v[42:43]
	v_lshrrev_b32_e32 v51, 3, v34
	v_sub_u32_e32 v53, 29, v54
	v_and_b32_e32 v52, 7, v52
	v_cmp_gt_u32_e32 vcc, 8, v34
	v_cndmask_b32_e32 v34, v51, v53, vcc
	v_cndmask_b32_e32 v45, v45, v52, vcc
	v_lshlrev_b32_e32 v42, 24, v42
	v_bfrev_b32_e32 v51, 60
	v_lshlrev_b32_e32 v45, 20, v45
	v_and_b32_e32 v42, 0x80000000, v42
	v_lshl_add_u32 v34, v34, 23, v51
	v_or3_b32 v34, v42, v34, v45
	v_lshrrev_b32_e32 v45, 16, v34
.LBB856_225:
	s_or_b64 exec, exec, s[10:11]
.LBB856_226:
	s_or_b64 exec, exec, s[8:9]
.LBB856_227:
	s_or_b64 exec, exec, s[2:3]
	v_mov_b32_e32 v42, 0
	v_cmp_ne_u16_sdwa s[8:9], v35, v42 src0_sel:BYTE_0 src1_sel:DWORD
	v_mov_b32_e32 v51, 0
	s_and_saveexec_b64 s[2:3], s[8:9]
	s_cbranch_execz .LBB856_233
; %bb.228:
	s_movk_i32 s8, 0x80
	v_cmp_ne_u16_sdwa s[10:11], v35, s8 src0_sel:BYTE_0 src1_sel:DWORD
	v_mov_b32_e32 v51, 0xffff8000
	s_and_saveexec_b64 s[8:9], s[10:11]
	s_cbranch_execz .LBB856_232
; %bb.229:
	s_movk_i32 s10, 0x7f
	v_and_b32_e32 v34, 0x7f, v35
	v_cmp_ne_u32_e32 vcc, s10, v34
	v_mov_b32_e32 v51, 0x7f80
	s_and_saveexec_b64 s[10:11], vcc
	s_cbranch_execz .LBB856_231
; %bb.230:
	v_and_b32_e32 v51, 7, v35
	v_ffbh_u32_e32 v53, v51
	v_min_u32_e32 v55, 32, v53
	v_mov_b32_e32 v52, v35
	v_subrev_u32_e32 v53, 28, v55
	v_lshlrev_b64 v[52:53], v53, v[52:53]
	v_lshrrev_b32_e32 v54, 3, v34
	v_sub_u32_e32 v53, 29, v55
	v_and_b32_e32 v52, 7, v52
	v_cmp_gt_u32_e32 vcc, 8, v34
	v_cndmask_b32_e32 v34, v54, v53, vcc
	v_cndmask_b32_e32 v51, v51, v52, vcc
	v_lshlrev_b32_e32 v52, 24, v35
	v_bfrev_b32_e32 v53, 60
	v_lshlrev_b32_e32 v51, 20, v51
	v_and_b32_e32 v52, 0x80000000, v52
	v_lshl_add_u32 v34, v34, 23, v53
	v_or3_b32 v34, v52, v34, v51
	v_lshrrev_b32_e32 v51, 16, v34
.LBB856_231:
	s_or_b64 exec, exec, s[10:11]
.LBB856_232:
	s_or_b64 exec, exec, s[8:9]
.LBB856_233:
	s_or_b64 exec, exec, s[2:3]
	v_lshrrev_b16_e32 v34, 8, v35
	v_cmp_ne_u16_e32 vcc, 0, v34
	s_and_saveexec_b64 s[2:3], vcc
	s_cbranch_execz .LBB856_239
; %bb.234:
	s_movk_i32 s8, 0x80
	v_cmp_ne_u16_e32 vcc, s8, v34
	v_mov_b32_e32 v42, 0xffff8000
	s_and_saveexec_b64 s[8:9], vcc
	s_cbranch_execz .LBB856_238
; %bb.235:
	s_movk_i32 s10, 0x7f
	v_and_b32_e32 v52, 0x7f, v34
	v_cmp_ne_u32_e32 vcc, s10, v52
	v_mov_b32_e32 v42, 0x7f80
	s_and_saveexec_b64 s[10:11], vcc
	s_cbranch_execz .LBB856_237
; %bb.236:
	v_and_b32_e32 v42, 7, v34
	v_ffbh_u32_e32 v54, v42
	v_min_u32_e32 v56, 32, v54
	v_subrev_u32_e32 v54, 28, v56
	v_lshlrev_b64 v[54:55], v54, v[34:35]
	v_lshrrev_b32_e32 v53, 3, v52
	v_sub_u32_e32 v34, 29, v56
	v_and_b32_e32 v54, 7, v54
	v_cmp_gt_u32_e32 vcc, 8, v52
	v_cndmask_b32_e32 v34, v53, v34, vcc
	v_cndmask_b32_e32 v42, v42, v54, vcc
	v_lshlrev_b32_e32 v52, 16, v35
	v_bfrev_b32_e32 v53, 60
	v_lshlrev_b32_e32 v42, 20, v42
	v_and_b32_e32 v52, 0x80000000, v52
	v_lshl_add_u32 v34, v34, 23, v53
	v_or3_b32 v34, v52, v34, v42
	v_lshrrev_b32_e32 v42, 16, v34
.LBB856_237:
	s_or_b64 exec, exec, s[10:11]
.LBB856_238:
	s_or_b64 exec, exec, s[8:9]
.LBB856_239:
	s_or_b64 exec, exec, s[2:3]
	s_movk_i32 s2, 0xff
	v_and_b32_sdwa v54, v35, s2 dst_sel:DWORD dst_unused:UNUSED_PAD src0_sel:WORD_1 src1_sel:DWORD
	v_lshrrev_b32_e32 v34, 16, v35
	v_cmp_ne_u16_e32 vcc, 0, v54
	v_mov_b32_e32 v52, 0
	v_mov_b32_e32 v53, 0
	s_and_saveexec_b64 s[2:3], vcc
	s_cbranch_execz .LBB856_245
; %bb.240:
	s_movk_i32 s8, 0x80
	v_cmp_ne_u16_e32 vcc, s8, v54
	v_mov_b32_e32 v53, 0xffff8000
	s_and_saveexec_b64 s[8:9], vcc
	s_cbranch_execz .LBB856_244
; %bb.241:
	v_bfe_u32 v54, v35, 16, 7
	s_movk_i32 s10, 0x7f
	v_cmp_ne_u32_e32 vcc, s10, v54
	v_mov_b32_e32 v53, 0x7f80
	s_and_saveexec_b64 s[10:11], vcc
	s_cbranch_execz .LBB856_243
; %bb.242:
	v_and_b32_e32 v53, 7, v34
	v_ffbh_u32_e32 v56, v53
	v_min_u32_e32 v58, 32, v56
	v_subrev_u32_e32 v56, 28, v58
	v_lshlrev_b64 v[56:57], v56, v[34:35]
	v_lshrrev_b32_e32 v55, 3, v54
	v_sub_u32_e32 v34, 29, v58
	v_and_b32_e32 v56, 7, v56
	v_cmp_gt_u32_e32 vcc, 8, v54
	v_mov_b32_e32 v54, 24
	v_cndmask_b32_e32 v34, v55, v34, vcc
	v_cndmask_b32_e32 v53, v53, v56, vcc
	v_lshlrev_b32_sdwa v54, v54, v35 dst_sel:DWORD dst_unused:UNUSED_PAD src0_sel:DWORD src1_sel:WORD_1
	v_bfrev_b32_e32 v55, 60
	v_lshlrev_b32_e32 v53, 20, v53
	v_and_b32_e32 v54, 0x80000000, v54
	v_lshl_add_u32 v34, v34, 23, v55
	v_or3_b32 v34, v54, v34, v53
	v_lshrrev_b32_e32 v53, 16, v34
.LBB856_243:
	s_or_b64 exec, exec, s[10:11]
.LBB856_244:
	s_or_b64 exec, exec, s[8:9]
.LBB856_245:
	s_or_b64 exec, exec, s[2:3]
	s_mov_b32 s2, 0xffffff
	v_cmp_lt_u32_e32 vcc, s2, v35
	s_and_saveexec_b64 s[2:3], vcc
	s_cbranch_execz .LBB856_251
; %bb.246:
	v_lshrrev_b32_e32 v34, 24, v35
	s_movk_i32 s8, 0x80
	v_cmp_ne_u32_e32 vcc, s8, v34
	v_mov_b32_e32 v52, 0xffff8000
	s_and_saveexec_b64 s[8:9], vcc
	s_cbranch_execz .LBB856_250
; %bb.247:
	v_bfe_u32 v35, v35, 24, 7
	s_movk_i32 s10, 0x7f
	v_cmp_ne_u32_e32 vcc, s10, v35
	v_mov_b32_e32 v52, 0x7f80
	s_and_saveexec_b64 s[10:11], vcc
	s_cbranch_execz .LBB856_249
; %bb.248:
	v_and_b32_e32 v52, 7, v34
	v_ffbh_u32_e32 v54, v52
	v_min_u32_e32 v57, 32, v54
	v_subrev_u32_e32 v54, 28, v57
	v_lshlrev_b64 v[54:55], v54, v[34:35]
	v_lshrrev_b32_e32 v56, 3, v35
	v_sub_u32_e32 v55, 29, v57
	v_and_b32_e32 v54, 7, v54
	v_cmp_gt_u32_e32 vcc, 8, v35
	v_cndmask_b32_e32 v35, v56, v55, vcc
	v_cndmask_b32_e32 v52, v52, v54, vcc
	v_lshlrev_b32_e32 v34, 24, v34
	v_bfrev_b32_e32 v54, 60
	v_lshlrev_b32_e32 v52, 20, v52
	v_and_b32_e32 v34, 0x80000000, v34
	v_lshl_add_u32 v35, v35, 23, v54
	v_or3_b32 v34, v34, v35, v52
	v_lshrrev_b32_e32 v52, 16, v34
.LBB856_249:
	s_or_b64 exec, exec, s[10:11]
.LBB856_250:
	s_or_b64 exec, exec, s[8:9]
.LBB856_251:
	s_or_b64 exec, exec, s[2:3]
	s_mov_b32 s2, 0x5040100
	v_perm_b32 v35, v45, v50, s2
	v_perm_b32 v34, v43, v44, s2
	v_perm_b32 v43, v52, v53, s2
	v_perm_b32 v42, v42, v51, s2
	v_mov_b32_e32 v50, 0
	v_mfma_f32_16x16x16bf16_1k v[54:57], v[34:35], v[26:27], 0
	v_mov_b32_e32 v35, 0
	v_cmp_ne_u16_sdwa s[8:9], v36, v35 src0_sel:BYTE_0 src1_sel:DWORD
	v_mfma_f32_16x16x16bf16_1k v[42:45], v[42:43], v[28:29], v[54:57]
	s_and_saveexec_b64 s[2:3], s[8:9]
	s_cbranch_execz .LBB856_257
; %bb.252:
	s_movk_i32 s8, 0x80
	v_cmp_ne_u16_sdwa s[10:11], v36, s8 src0_sel:BYTE_0 src1_sel:DWORD
	v_mov_b32_e32 v50, 0xffff8000
	s_and_saveexec_b64 s[8:9], s[10:11]
	s_cbranch_execz .LBB856_256
; %bb.253:
	s_movk_i32 s10, 0x7f
	v_and_b32_e32 v34, 0x7f, v36
	v_cmp_ne_u32_e32 vcc, s10, v34
	v_mov_b32_e32 v50, 0x7f80
	s_and_saveexec_b64 s[10:11], vcc
	s_cbranch_execz .LBB856_255
; %bb.254:
	v_and_b32_e32 v52, 7, v36
	v_ffbh_u32_e32 v50, v52
	v_min_u32_e32 v54, 32, v50
	v_subrev_u32_e32 v50, 28, v54
	v_lshlrev_b64 v[50:51], v50, v[36:37]
	v_lshrrev_b32_e32 v53, 3, v34
	v_sub_u32_e32 v51, 29, v54
	v_and_b32_e32 v50, 7, v50
	v_cmp_gt_u32_e32 vcc, 8, v34
	v_cndmask_b32_e32 v34, v53, v51, vcc
	v_cndmask_b32_e32 v50, v52, v50, vcc
	v_lshlrev_b32_e32 v51, 24, v36
	v_bfrev_b32_e32 v52, 60
	v_lshlrev_b32_e32 v50, 20, v50
	v_and_b32_e32 v51, 0x80000000, v51
	v_lshl_add_u32 v34, v34, 23, v52
	v_or3_b32 v34, v51, v34, v50
	v_lshrrev_b32_e32 v50, 16, v34
.LBB856_255:
	s_or_b64 exec, exec, s[10:11]
.LBB856_256:
	s_or_b64 exec, exec, s[8:9]
.LBB856_257:
	s_or_b64 exec, exec, s[2:3]
	v_lshrrev_b16_e32 v34, 8, v36
	v_cmp_ne_u16_e32 vcc, 0, v34
	s_and_saveexec_b64 s[2:3], vcc
	s_cbranch_execz .LBB856_263
; %bb.258:
	s_movk_i32 s8, 0x80
	v_cmp_ne_u16_e32 vcc, s8, v34
	v_mov_b32_e32 v35, 0xffff8000
	s_and_saveexec_b64 s[8:9], vcc
	s_cbranch_execz .LBB856_262
; %bb.259:
	s_movk_i32 s10, 0x7f
	v_and_b32_e32 v51, 0x7f, v34
	v_cmp_ne_u32_e32 vcc, s10, v51
	v_mov_b32_e32 v35, 0x7f80
	s_and_saveexec_b64 s[10:11], vcc
	s_cbranch_execz .LBB856_261
; %bb.260:
	v_and_b32_e32 v52, 7, v34
	v_ffbh_u32_e32 v35, v52
	v_min_u32_e32 v54, 32, v35
	v_subrev_u32_e32 v35, 28, v54
	v_lshlrev_b64 v[34:35], v35, v[34:35]
	v_lshrrev_b32_e32 v53, 3, v51
	v_sub_u32_e32 v35, 29, v54
	v_and_b32_e32 v34, 7, v34
	v_cmp_gt_u32_e32 vcc, 8, v51
	v_cndmask_b32_e32 v35, v53, v35, vcc
	v_cndmask_b32_e32 v34, v52, v34, vcc
	v_lshlrev_b32_e32 v51, 16, v36
	v_bfrev_b32_e32 v52, 60
	v_lshlrev_b32_e32 v34, 20, v34
	v_and_b32_e32 v51, 0x80000000, v51
	v_lshl_add_u32 v35, v35, 23, v52
	v_or3_b32 v34, v51, v35, v34
	v_lshrrev_b32_e32 v35, 16, v34
.LBB856_261:
	s_or_b64 exec, exec, s[10:11]
.LBB856_262:
	s_or_b64 exec, exec, s[8:9]
.LBB856_263:
	s_or_b64 exec, exec, s[2:3]
	s_movk_i32 s2, 0xff
	v_and_b32_sdwa v53, v36, s2 dst_sel:DWORD dst_unused:UNUSED_PAD src0_sel:WORD_1 src1_sel:DWORD
	v_lshrrev_b32_e32 v34, 16, v36
	v_cmp_ne_u16_e32 vcc, 0, v53
	v_mov_b32_e32 v51, 0
	v_mov_b32_e32 v52, 0
	s_and_saveexec_b64 s[2:3], vcc
	s_cbranch_execz .LBB856_269
; %bb.264:
	s_movk_i32 s8, 0x80
	v_cmp_ne_u16_e32 vcc, s8, v53
	v_mov_b32_e32 v52, 0xffff8000
	s_and_saveexec_b64 s[8:9], vcc
	s_cbranch_execz .LBB856_268
; %bb.265:
	v_bfe_u32 v53, v36, 16, 7
	s_movk_i32 s10, 0x7f
	v_cmp_ne_u32_e32 vcc, s10, v53
	v_mov_b32_e32 v52, 0x7f80
	s_and_saveexec_b64 s[10:11], vcc
	s_cbranch_execz .LBB856_267
; %bb.266:
	v_and_b32_e32 v52, 7, v34
	v_ffbh_u32_e32 v54, v52
	v_min_u32_e32 v57, 32, v54
	v_subrev_u32_e32 v54, 28, v57
	v_lshlrev_b64 v[54:55], v54, v[34:35]
	v_lshrrev_b32_e32 v56, 3, v53
	v_sub_u32_e32 v34, 29, v57
	v_and_b32_e32 v54, 7, v54
	v_cmp_gt_u32_e32 vcc, 8, v53
	v_mov_b32_e32 v53, 24
	v_cndmask_b32_e32 v34, v56, v34, vcc
	v_cndmask_b32_e32 v52, v52, v54, vcc
	v_lshlrev_b32_sdwa v53, v53, v36 dst_sel:DWORD dst_unused:UNUSED_PAD src0_sel:DWORD src1_sel:WORD_1
	v_bfrev_b32_e32 v54, 60
	v_lshlrev_b32_e32 v52, 20, v52
	v_and_b32_e32 v53, 0x80000000, v53
	v_lshl_add_u32 v34, v34, 23, v54
	v_or3_b32 v34, v53, v34, v52
	v_lshrrev_b32_e32 v52, 16, v34
.LBB856_267:
	s_or_b64 exec, exec, s[10:11]
.LBB856_268:
	s_or_b64 exec, exec, s[8:9]
.LBB856_269:
	s_or_b64 exec, exec, s[2:3]
	s_mov_b32 s2, 0xffffff
	v_cmp_lt_u32_e32 vcc, s2, v36
	s_and_saveexec_b64 s[2:3], vcc
	s_cbranch_execz .LBB856_275
; %bb.270:
	v_lshrrev_b32_e32 v34, 24, v36
	s_movk_i32 s8, 0x80
	v_cmp_ne_u32_e32 vcc, s8, v34
	v_mov_b32_e32 v51, 0xffff8000
	s_and_saveexec_b64 s[8:9], vcc
	s_cbranch_execz .LBB856_274
; %bb.271:
	v_bfe_u32 v36, v36, 24, 7
	s_movk_i32 s10, 0x7f
	v_cmp_ne_u32_e32 vcc, s10, v36
	v_mov_b32_e32 v51, 0x7f80
	s_and_saveexec_b64 s[10:11], vcc
	s_cbranch_execz .LBB856_273
; %bb.272:
	v_and_b32_e32 v51, 7, v34
	v_ffbh_u32_e32 v54, v51
	v_min_u32_e32 v56, 32, v54
	v_subrev_u32_e32 v54, 28, v56
	v_lshlrev_b64 v[54:55], v54, v[34:35]
	v_lshrrev_b32_e32 v53, 3, v36
	v_sub_u32_e32 v55, 29, v56
	v_and_b32_e32 v54, 7, v54
	v_cmp_gt_u32_e32 vcc, 8, v36
	v_cndmask_b32_e32 v36, v53, v55, vcc
	v_cndmask_b32_e32 v51, v51, v54, vcc
	v_lshlrev_b32_e32 v34, 24, v34
	v_bfrev_b32_e32 v53, 60
	v_lshlrev_b32_e32 v51, 20, v51
	v_and_b32_e32 v34, 0x80000000, v34
	v_lshl_add_u32 v36, v36, 23, v53
	v_or3_b32 v34, v34, v36, v51
	v_lshrrev_b32_e32 v51, 16, v34
.LBB856_273:
	s_or_b64 exec, exec, s[10:11]
.LBB856_274:
	s_or_b64 exec, exec, s[8:9]
.LBB856_275:
	s_or_b64 exec, exec, s[2:3]
	v_mov_b32_e32 v36, 0
	v_cmp_ne_u16_sdwa s[8:9], v37, v36 src0_sel:BYTE_0 src1_sel:DWORD
	v_mov_b32_e32 v53, 0
	s_and_saveexec_b64 s[2:3], s[8:9]
	s_cbranch_execz .LBB856_281
; %bb.276:
	s_movk_i32 s8, 0x80
	v_cmp_ne_u16_sdwa s[10:11], v37, s8 src0_sel:BYTE_0 src1_sel:DWORD
	v_mov_b32_e32 v53, 0xffff8000
	s_and_saveexec_b64 s[8:9], s[10:11]
	s_cbranch_execz .LBB856_280
; %bb.277:
	s_movk_i32 s10, 0x7f
	v_and_b32_e32 v34, 0x7f, v37
	v_cmp_ne_u32_e32 vcc, s10, v34
	v_mov_b32_e32 v53, 0x7f80
	s_and_saveexec_b64 s[10:11], vcc
	s_cbranch_execz .LBB856_279
; %bb.278:
	v_and_b32_e32 v53, 7, v37
	v_ffbh_u32_e32 v55, v53
	v_min_u32_e32 v57, 32, v55
	v_mov_b32_e32 v54, v37
	v_subrev_u32_e32 v55, 28, v57
	v_lshlrev_b64 v[54:55], v55, v[54:55]
	v_lshrrev_b32_e32 v56, 3, v34
	v_sub_u32_e32 v55, 29, v57
	v_and_b32_e32 v54, 7, v54
	v_cmp_gt_u32_e32 vcc, 8, v34
	v_cndmask_b32_e32 v34, v56, v55, vcc
	v_cndmask_b32_e32 v53, v53, v54, vcc
	v_lshlrev_b32_e32 v54, 24, v37
	v_bfrev_b32_e32 v55, 60
	v_lshlrev_b32_e32 v53, 20, v53
	v_and_b32_e32 v54, 0x80000000, v54
	v_lshl_add_u32 v34, v34, 23, v55
	v_or3_b32 v34, v54, v34, v53
	v_lshrrev_b32_e32 v53, 16, v34
.LBB856_279:
	s_or_b64 exec, exec, s[10:11]
.LBB856_280:
	s_or_b64 exec, exec, s[8:9]
.LBB856_281:
	s_or_b64 exec, exec, s[2:3]
	v_lshrrev_b16_e32 v34, 8, v37
	v_cmp_ne_u16_e32 vcc, 0, v34
	s_and_saveexec_b64 s[2:3], vcc
	s_cbranch_execz .LBB856_287
; %bb.282:
	s_movk_i32 s8, 0x80
	v_cmp_ne_u16_e32 vcc, s8, v34
	v_mov_b32_e32 v36, 0xffff8000
	s_and_saveexec_b64 s[8:9], vcc
	s_cbranch_execz .LBB856_286
; %bb.283:
	s_movk_i32 s10, 0x7f
	v_and_b32_e32 v54, 0x7f, v34
	v_cmp_ne_u32_e32 vcc, s10, v54
	v_mov_b32_e32 v36, 0x7f80
	s_and_saveexec_b64 s[10:11], vcc
	s_cbranch_execz .LBB856_285
; %bb.284:
	v_and_b32_e32 v36, 7, v34
	v_ffbh_u32_e32 v56, v36
	v_min_u32_e32 v58, 32, v56
	v_subrev_u32_e32 v56, 28, v58
	v_lshlrev_b64 v[56:57], v56, v[34:35]
	v_lshrrev_b32_e32 v55, 3, v54
	v_sub_u32_e32 v34, 29, v58
	v_and_b32_e32 v56, 7, v56
	v_cmp_gt_u32_e32 vcc, 8, v54
	v_cndmask_b32_e32 v34, v55, v34, vcc
	v_cndmask_b32_e32 v36, v36, v56, vcc
	v_lshlrev_b32_e32 v54, 16, v37
	v_bfrev_b32_e32 v55, 60
	v_lshlrev_b32_e32 v36, 20, v36
	v_and_b32_e32 v54, 0x80000000, v54
	v_lshl_add_u32 v34, v34, 23, v55
	v_or3_b32 v34, v54, v34, v36
	v_lshrrev_b32_e32 v36, 16, v34
.LBB856_285:
	s_or_b64 exec, exec, s[10:11]
.LBB856_286:
	s_or_b64 exec, exec, s[8:9]
.LBB856_287:
	s_or_b64 exec, exec, s[2:3]
	s_movk_i32 s2, 0xff
	v_and_b32_sdwa v56, v37, s2 dst_sel:DWORD dst_unused:UNUSED_PAD src0_sel:WORD_1 src1_sel:DWORD
	v_lshrrev_b32_e32 v34, 16, v37
	v_cmp_ne_u16_e32 vcc, 0, v56
	v_mov_b32_e32 v54, 0
	v_mov_b32_e32 v55, 0
	s_and_saveexec_b64 s[2:3], vcc
	s_cbranch_execz .LBB856_293
; %bb.288:
	s_movk_i32 s8, 0x80
	v_cmp_ne_u16_e32 vcc, s8, v56
	v_mov_b32_e32 v55, 0xffff8000
	s_and_saveexec_b64 s[8:9], vcc
	s_cbranch_execz .LBB856_292
; %bb.289:
	v_bfe_u32 v56, v37, 16, 7
	s_movk_i32 s10, 0x7f
	v_cmp_ne_u32_e32 vcc, s10, v56
	v_mov_b32_e32 v55, 0x7f80
	s_and_saveexec_b64 s[10:11], vcc
	s_cbranch_execz .LBB856_291
; %bb.290:
	v_and_b32_e32 v55, 7, v34
	v_ffbh_u32_e32 v58, v55
	v_min_u32_e32 v60, 32, v58
	v_subrev_u32_e32 v58, 28, v60
	v_lshlrev_b64 v[58:59], v58, v[34:35]
	v_lshrrev_b32_e32 v57, 3, v56
	v_sub_u32_e32 v34, 29, v60
	v_and_b32_e32 v58, 7, v58
	v_cmp_gt_u32_e32 vcc, 8, v56
	v_mov_b32_e32 v56, 24
	v_cndmask_b32_e32 v34, v57, v34, vcc
	v_cndmask_b32_e32 v55, v55, v58, vcc
	v_lshlrev_b32_sdwa v56, v56, v37 dst_sel:DWORD dst_unused:UNUSED_PAD src0_sel:DWORD src1_sel:WORD_1
	v_bfrev_b32_e32 v57, 60
	v_lshlrev_b32_e32 v55, 20, v55
	v_and_b32_e32 v56, 0x80000000, v56
	v_lshl_add_u32 v34, v34, 23, v57
	v_or3_b32 v34, v56, v34, v55
	v_lshrrev_b32_e32 v55, 16, v34
.LBB856_291:
	s_or_b64 exec, exec, s[10:11]
.LBB856_292:
	s_or_b64 exec, exec, s[8:9]
.LBB856_293:
	s_or_b64 exec, exec, s[2:3]
	s_mov_b32 s2, 0xffffff
	v_cmp_lt_u32_e32 vcc, s2, v37
	s_and_saveexec_b64 s[2:3], vcc
	s_cbranch_execz .LBB856_299
; %bb.294:
	v_lshrrev_b32_e32 v34, 24, v37
	s_movk_i32 s8, 0x80
	v_cmp_ne_u32_e32 vcc, s8, v34
	v_mov_b32_e32 v54, 0xffff8000
	s_and_saveexec_b64 s[8:9], vcc
	s_cbranch_execz .LBB856_298
; %bb.295:
	v_bfe_u32 v37, v37, 24, 7
	s_movk_i32 s10, 0x7f
	v_cmp_ne_u32_e32 vcc, s10, v37
	v_mov_b32_e32 v54, 0x7f80
	s_and_saveexec_b64 s[10:11], vcc
	s_cbranch_execz .LBB856_297
; %bb.296:
	v_and_b32_e32 v54, 7, v34
	v_ffbh_u32_e32 v56, v54
	v_min_u32_e32 v59, 32, v56
	v_subrev_u32_e32 v56, 28, v59
	v_lshlrev_b64 v[56:57], v56, v[34:35]
	v_lshrrev_b32_e32 v58, 3, v37
	v_sub_u32_e32 v57, 29, v59
	v_and_b32_e32 v56, 7, v56
	v_cmp_gt_u32_e32 vcc, 8, v37
	v_cndmask_b32_e32 v37, v58, v57, vcc
	v_cndmask_b32_e32 v54, v54, v56, vcc
	v_lshlrev_b32_e32 v34, 24, v34
	v_bfrev_b32_e32 v56, 60
	v_lshlrev_b32_e32 v54, 20, v54
	v_and_b32_e32 v34, 0x80000000, v34
	v_lshl_add_u32 v37, v37, 23, v56
	v_or3_b32 v34, v34, v37, v54
	v_lshrrev_b32_e32 v54, 16, v34
.LBB856_297:
	s_or_b64 exec, exec, s[10:11]
.LBB856_298:
	s_or_b64 exec, exec, s[8:9]
.LBB856_299:
	s_or_b64 exec, exec, s[2:3]
	s_mov_b32 s2, 0x5040100
	v_perm_b32 v51, v51, v52, s2
	v_perm_b32 v50, v35, v50, s2
	;; [unrolled: 1-line block ×4, first 2 shown]
	v_mfma_f32_16x16x16bf16_1k v[56:59], v[50:51], v[18:19], v[42:45]
	s_nop 6
	v_mov_b32_e32 v43, 0
	s_waitcnt vmcnt(4)
	v_cmp_ne_u16_sdwa s[8:9], v22, v43 src0_sel:BYTE_0 src1_sel:DWORD
	v_mfma_f32_16x16x16bf16_1k v[34:37], v[34:35], v[20:21], v[56:59]
	v_mov_b32_e32 v44, 0
	s_and_saveexec_b64 s[2:3], s[8:9]
	s_cbranch_execz .LBB856_305
; %bb.300:
	s_movk_i32 s8, 0x80
	v_cmp_ne_u16_sdwa s[10:11], v22, s8 src0_sel:BYTE_0 src1_sel:DWORD
	v_mov_b32_e32 v44, 0xffff8000
	s_and_saveexec_b64 s[8:9], s[10:11]
	s_cbranch_execz .LBB856_304
; %bb.301:
	s_movk_i32 s10, 0x7f
	v_and_b32_e32 v42, 0x7f, v22
	v_cmp_ne_u32_e32 vcc, s10, v42
	v_mov_b32_e32 v44, 0x7f80
	s_and_saveexec_b64 s[10:11], vcc
	s_cbranch_execz .LBB856_303
; %bb.302:
	v_and_b32_e32 v50, 7, v22
	v_ffbh_u32_e32 v44, v50
	v_min_u32_e32 v52, 32, v44
	v_subrev_u32_e32 v44, 28, v52
	v_lshlrev_b64 v[44:45], v44, v[22:23]
	v_lshrrev_b32_e32 v51, 3, v42
	v_sub_u32_e32 v45, 29, v52
	v_and_b32_e32 v44, 7, v44
	v_cmp_gt_u32_e32 vcc, 8, v42
	v_cndmask_b32_e32 v42, v51, v45, vcc
	v_cndmask_b32_e32 v44, v50, v44, vcc
	v_lshlrev_b32_e32 v45, 24, v22
	v_bfrev_b32_e32 v50, 60
	v_lshlrev_b32_e32 v44, 20, v44
	v_and_b32_e32 v45, 0x80000000, v45
	v_lshl_add_u32 v42, v42, 23, v50
	v_or3_b32 v42, v45, v42, v44
	v_lshrrev_b32_e32 v44, 16, v42
.LBB856_303:
	s_or_b64 exec, exec, s[10:11]
.LBB856_304:
	s_or_b64 exec, exec, s[8:9]
.LBB856_305:
	s_or_b64 exec, exec, s[2:3]
	v_lshrrev_b16_e32 v42, 8, v22
	v_cmp_ne_u16_e32 vcc, 0, v42
	s_and_saveexec_b64 s[2:3], vcc
	s_cbranch_execz .LBB856_311
; %bb.306:
	s_movk_i32 s8, 0x80
	v_cmp_ne_u16_e32 vcc, s8, v42
	v_mov_b32_e32 v43, 0xffff8000
	s_and_saveexec_b64 s[8:9], vcc
	s_cbranch_execz .LBB856_310
; %bb.307:
	s_movk_i32 s10, 0x7f
	v_and_b32_e32 v45, 0x7f, v42
	v_cmp_ne_u32_e32 vcc, s10, v45
	v_mov_b32_e32 v43, 0x7f80
	s_and_saveexec_b64 s[10:11], vcc
	s_cbranch_execz .LBB856_309
; %bb.308:
	v_and_b32_e32 v50, 7, v42
	v_ffbh_u32_e32 v43, v50
	v_min_u32_e32 v52, 32, v43
	v_subrev_u32_e32 v43, 28, v52
	v_lshlrev_b64 v[42:43], v43, v[42:43]
	v_lshrrev_b32_e32 v51, 3, v45
	v_sub_u32_e32 v43, 29, v52
	v_and_b32_e32 v42, 7, v42
	v_cmp_gt_u32_e32 vcc, 8, v45
	v_cndmask_b32_e32 v43, v51, v43, vcc
	v_cndmask_b32_e32 v42, v50, v42, vcc
	v_lshlrev_b32_e32 v45, 16, v22
	v_bfrev_b32_e32 v50, 60
	v_lshlrev_b32_e32 v42, 20, v42
	v_and_b32_e32 v45, 0x80000000, v45
	v_lshl_add_u32 v43, v43, 23, v50
	v_or3_b32 v42, v45, v43, v42
	v_lshrrev_b32_e32 v43, 16, v42
.LBB856_309:
	s_or_b64 exec, exec, s[10:11]
.LBB856_310:
	s_or_b64 exec, exec, s[8:9]
.LBB856_311:
	s_or_b64 exec, exec, s[2:3]
	s_movk_i32 s2, 0xff
	v_and_b32_sdwa v51, v22, s2 dst_sel:DWORD dst_unused:UNUSED_PAD src0_sel:WORD_1 src1_sel:DWORD
	v_lshrrev_b32_e32 v42, 16, v22
	v_cmp_ne_u16_e32 vcc, 0, v51
	v_mov_b32_e32 v45, 0
	v_mov_b32_e32 v50, 0
	s_and_saveexec_b64 s[2:3], vcc
	s_cbranch_execz .LBB856_317
; %bb.312:
	s_movk_i32 s8, 0x80
	v_cmp_ne_u16_e32 vcc, s8, v51
	v_mov_b32_e32 v50, 0xffff8000
	s_and_saveexec_b64 s[8:9], vcc
	s_cbranch_execz .LBB856_316
; %bb.313:
	v_bfe_u32 v51, v22, 16, 7
	s_movk_i32 s10, 0x7f
	v_cmp_ne_u32_e32 vcc, s10, v51
	v_mov_b32_e32 v50, 0x7f80
	s_and_saveexec_b64 s[10:11], vcc
	s_cbranch_execz .LBB856_315
; %bb.314:
	v_and_b32_e32 v50, 7, v42
	v_ffbh_u32_e32 v52, v50
	v_min_u32_e32 v55, 32, v52
	v_subrev_u32_e32 v52, 28, v55
	v_lshlrev_b64 v[52:53], v52, v[42:43]
	v_lshrrev_b32_e32 v54, 3, v51
	v_sub_u32_e32 v42, 29, v55
	v_and_b32_e32 v52, 7, v52
	v_cmp_gt_u32_e32 vcc, 8, v51
	v_mov_b32_e32 v51, 24
	v_cndmask_b32_e32 v42, v54, v42, vcc
	v_cndmask_b32_e32 v50, v50, v52, vcc
	v_lshlrev_b32_sdwa v51, v51, v22 dst_sel:DWORD dst_unused:UNUSED_PAD src0_sel:DWORD src1_sel:WORD_1
	v_bfrev_b32_e32 v52, 60
	v_lshlrev_b32_e32 v50, 20, v50
	v_and_b32_e32 v51, 0x80000000, v51
	v_lshl_add_u32 v42, v42, 23, v52
	v_or3_b32 v42, v51, v42, v50
	v_lshrrev_b32_e32 v50, 16, v42
.LBB856_315:
	s_or_b64 exec, exec, s[10:11]
.LBB856_316:
	s_or_b64 exec, exec, s[8:9]
.LBB856_317:
	s_or_b64 exec, exec, s[2:3]
	s_mov_b32 s2, 0xffffff
	v_cmp_lt_u32_e32 vcc, s2, v22
	s_and_saveexec_b64 s[2:3], vcc
	s_cbranch_execz .LBB856_323
; %bb.318:
	v_lshrrev_b32_e32 v42, 24, v22
	s_movk_i32 s8, 0x80
	v_cmp_ne_u32_e32 vcc, s8, v42
	v_mov_b32_e32 v45, 0xffff8000
	s_and_saveexec_b64 s[8:9], vcc
	s_cbranch_execz .LBB856_322
; %bb.319:
	v_bfe_u32 v22, v22, 24, 7
	s_movk_i32 s10, 0x7f
	v_cmp_ne_u32_e32 vcc, s10, v22
	v_mov_b32_e32 v45, 0x7f80
	s_and_saveexec_b64 s[10:11], vcc
	s_cbranch_execz .LBB856_321
; %bb.320:
	v_and_b32_e32 v45, 7, v42
	v_ffbh_u32_e32 v52, v45
	v_min_u32_e32 v54, 32, v52
	v_subrev_u32_e32 v52, 28, v54
	v_lshlrev_b64 v[52:53], v52, v[42:43]
	v_lshrrev_b32_e32 v51, 3, v22
	v_sub_u32_e32 v53, 29, v54
	v_and_b32_e32 v52, 7, v52
	v_cmp_gt_u32_e32 vcc, 8, v22
	v_cndmask_b32_e32 v22, v51, v53, vcc
	v_cndmask_b32_e32 v45, v45, v52, vcc
	v_lshlrev_b32_e32 v42, 24, v42
	v_bfrev_b32_e32 v51, 60
	v_lshlrev_b32_e32 v45, 20, v45
	v_and_b32_e32 v42, 0x80000000, v42
	v_lshl_add_u32 v22, v22, 23, v51
	v_or3_b32 v22, v42, v22, v45
	v_lshrrev_b32_e32 v45, 16, v22
.LBB856_321:
	s_or_b64 exec, exec, s[10:11]
.LBB856_322:
	s_or_b64 exec, exec, s[8:9]
.LBB856_323:
	s_or_b64 exec, exec, s[2:3]
	v_mov_b32_e32 v42, 0
	v_cmp_ne_u16_sdwa s[8:9], v23, v42 src0_sel:BYTE_0 src1_sel:DWORD
	v_mov_b32_e32 v51, 0
	s_and_saveexec_b64 s[2:3], s[8:9]
	s_cbranch_execz .LBB856_329
; %bb.324:
	s_movk_i32 s8, 0x80
	v_cmp_ne_u16_sdwa s[10:11], v23, s8 src0_sel:BYTE_0 src1_sel:DWORD
	v_mov_b32_e32 v51, 0xffff8000
	s_and_saveexec_b64 s[8:9], s[10:11]
	s_cbranch_execz .LBB856_328
; %bb.325:
	s_movk_i32 s10, 0x7f
	v_and_b32_e32 v22, 0x7f, v23
	v_cmp_ne_u32_e32 vcc, s10, v22
	v_mov_b32_e32 v51, 0x7f80
	s_and_saveexec_b64 s[10:11], vcc
	s_cbranch_execz .LBB856_327
; %bb.326:
	v_and_b32_e32 v51, 7, v23
	v_ffbh_u32_e32 v53, v51
	v_min_u32_e32 v55, 32, v53
	v_mov_b32_e32 v52, v23
	v_subrev_u32_e32 v53, 28, v55
	v_lshlrev_b64 v[52:53], v53, v[52:53]
	v_lshrrev_b32_e32 v54, 3, v22
	v_sub_u32_e32 v53, 29, v55
	v_and_b32_e32 v52, 7, v52
	v_cmp_gt_u32_e32 vcc, 8, v22
	v_cndmask_b32_e32 v22, v54, v53, vcc
	v_cndmask_b32_e32 v51, v51, v52, vcc
	v_lshlrev_b32_e32 v52, 24, v23
	v_bfrev_b32_e32 v53, 60
	v_lshlrev_b32_e32 v51, 20, v51
	v_and_b32_e32 v52, 0x80000000, v52
	v_lshl_add_u32 v22, v22, 23, v53
	v_or3_b32 v22, v52, v22, v51
	v_lshrrev_b32_e32 v51, 16, v22
.LBB856_327:
	s_or_b64 exec, exec, s[10:11]
.LBB856_328:
	s_or_b64 exec, exec, s[8:9]
.LBB856_329:
	s_or_b64 exec, exec, s[2:3]
	v_lshrrev_b16_e32 v22, 8, v23
	v_cmp_ne_u16_e32 vcc, 0, v22
	s_and_saveexec_b64 s[2:3], vcc
	s_cbranch_execz .LBB856_335
; %bb.330:
	s_movk_i32 s8, 0x80
	v_cmp_ne_u16_e32 vcc, s8, v22
	v_mov_b32_e32 v42, 0xffff8000
	s_and_saveexec_b64 s[8:9], vcc
	s_cbranch_execz .LBB856_334
; %bb.331:
	s_movk_i32 s10, 0x7f
	v_and_b32_e32 v52, 0x7f, v22
	v_cmp_ne_u32_e32 vcc, s10, v52
	v_mov_b32_e32 v42, 0x7f80
	s_and_saveexec_b64 s[10:11], vcc
	s_cbranch_execz .LBB856_333
; %bb.332:
	v_and_b32_e32 v42, 7, v22
	v_ffbh_u32_e32 v54, v42
	v_min_u32_e32 v56, 32, v54
	v_subrev_u32_e32 v54, 28, v56
	v_lshlrev_b64 v[54:55], v54, v[22:23]
	v_lshrrev_b32_e32 v53, 3, v52
	v_sub_u32_e32 v22, 29, v56
	v_and_b32_e32 v54, 7, v54
	v_cmp_gt_u32_e32 vcc, 8, v52
	v_cndmask_b32_e32 v22, v53, v22, vcc
	v_cndmask_b32_e32 v42, v42, v54, vcc
	v_lshlrev_b32_e32 v52, 16, v23
	v_bfrev_b32_e32 v53, 60
	v_lshlrev_b32_e32 v42, 20, v42
	v_and_b32_e32 v52, 0x80000000, v52
	v_lshl_add_u32 v22, v22, 23, v53
	v_or3_b32 v22, v52, v22, v42
	v_lshrrev_b32_e32 v42, 16, v22
.LBB856_333:
	s_or_b64 exec, exec, s[10:11]
.LBB856_334:
	s_or_b64 exec, exec, s[8:9]
.LBB856_335:
	s_or_b64 exec, exec, s[2:3]
	s_movk_i32 s2, 0xff
	v_and_b32_sdwa v54, v23, s2 dst_sel:DWORD dst_unused:UNUSED_PAD src0_sel:WORD_1 src1_sel:DWORD
	v_lshrrev_b32_e32 v22, 16, v23
	v_cmp_ne_u16_e32 vcc, 0, v54
	v_mov_b32_e32 v52, 0
	v_mov_b32_e32 v53, 0
	s_and_saveexec_b64 s[2:3], vcc
	s_cbranch_execz .LBB856_341
; %bb.336:
	s_movk_i32 s8, 0x80
	v_cmp_ne_u16_e32 vcc, s8, v54
	v_mov_b32_e32 v53, 0xffff8000
	s_and_saveexec_b64 s[8:9], vcc
	s_cbranch_execz .LBB856_340
; %bb.337:
	v_bfe_u32 v54, v23, 16, 7
	s_movk_i32 s10, 0x7f
	v_cmp_ne_u32_e32 vcc, s10, v54
	v_mov_b32_e32 v53, 0x7f80
	s_and_saveexec_b64 s[10:11], vcc
	s_cbranch_execz .LBB856_339
; %bb.338:
	v_and_b32_e32 v53, 7, v22
	v_ffbh_u32_e32 v56, v53
	v_min_u32_e32 v58, 32, v56
	v_subrev_u32_e32 v56, 28, v58
	v_lshlrev_b64 v[56:57], v56, v[22:23]
	v_lshrrev_b32_e32 v55, 3, v54
	v_sub_u32_e32 v22, 29, v58
	v_and_b32_e32 v56, 7, v56
	v_cmp_gt_u32_e32 vcc, 8, v54
	v_mov_b32_e32 v54, 24
	v_cndmask_b32_e32 v22, v55, v22, vcc
	v_cndmask_b32_e32 v53, v53, v56, vcc
	v_lshlrev_b32_sdwa v54, v54, v23 dst_sel:DWORD dst_unused:UNUSED_PAD src0_sel:DWORD src1_sel:WORD_1
	v_bfrev_b32_e32 v55, 60
	v_lshlrev_b32_e32 v53, 20, v53
	v_and_b32_e32 v54, 0x80000000, v54
	v_lshl_add_u32 v22, v22, 23, v55
	v_or3_b32 v22, v54, v22, v53
	v_lshrrev_b32_e32 v53, 16, v22
.LBB856_339:
	s_or_b64 exec, exec, s[10:11]
.LBB856_340:
	s_or_b64 exec, exec, s[8:9]
.LBB856_341:
	s_or_b64 exec, exec, s[2:3]
	s_mov_b32 s2, 0xffffff
	v_cmp_lt_u32_e32 vcc, s2, v23
	s_and_saveexec_b64 s[2:3], vcc
	s_cbranch_execz .LBB856_347
; %bb.342:
	v_lshrrev_b32_e32 v22, 24, v23
	s_movk_i32 s8, 0x80
	v_cmp_ne_u32_e32 vcc, s8, v22
	v_mov_b32_e32 v52, 0xffff8000
	s_and_saveexec_b64 s[8:9], vcc
	s_cbranch_execz .LBB856_346
; %bb.343:
	v_bfe_u32 v23, v23, 24, 7
	s_movk_i32 s10, 0x7f
	v_cmp_ne_u32_e32 vcc, s10, v23
	v_mov_b32_e32 v52, 0x7f80
	s_and_saveexec_b64 s[10:11], vcc
	s_cbranch_execz .LBB856_345
; %bb.344:
	v_and_b32_e32 v52, 7, v22
	v_ffbh_u32_e32 v54, v52
	v_min_u32_e32 v57, 32, v54
	v_subrev_u32_e32 v54, 28, v57
	v_lshlrev_b64 v[54:55], v54, v[22:23]
	v_lshrrev_b32_e32 v56, 3, v23
	v_sub_u32_e32 v55, 29, v57
	v_and_b32_e32 v54, 7, v54
	v_cmp_gt_u32_e32 vcc, 8, v23
	v_cndmask_b32_e32 v23, v56, v55, vcc
	v_cndmask_b32_e32 v52, v52, v54, vcc
	v_lshlrev_b32_e32 v22, 24, v22
	v_bfrev_b32_e32 v54, 60
	v_lshlrev_b32_e32 v52, 20, v52
	v_and_b32_e32 v22, 0x80000000, v22
	v_lshl_add_u32 v23, v23, 23, v54
	v_or3_b32 v22, v22, v23, v52
	v_lshrrev_b32_e32 v52, 16, v22
.LBB856_345:
	s_or_b64 exec, exec, s[10:11]
.LBB856_346:
	s_or_b64 exec, exec, s[8:9]
.LBB856_347:
	s_or_b64 exec, exec, s[2:3]
	s_mov_b32 s2, 0x5040100
	v_perm_b32 v23, v45, v50, s2
	v_perm_b32 v22, v43, v44, s2
	s_nop 1
	v_mfma_f32_16x16x16bf16_1k v[54:57], v[22:23], v[26:27], 0
	v_perm_b32 v27, v52, v53, s2
	v_perm_b32 v26, v42, v51, s2
	v_mov_b32_e32 v23, 0
	v_cmp_ne_u16_sdwa s[8:9], v24, v23 src0_sel:BYTE_0 src1_sel:DWORD
	v_mov_b32_e32 v42, 0
	v_mfma_f32_16x16x16bf16_1k v[26:29], v[26:27], v[28:29], v[54:57]
	s_and_saveexec_b64 s[2:3], s[8:9]
	s_cbranch_execz .LBB856_353
; %bb.348:
	s_movk_i32 s8, 0x80
	v_cmp_ne_u16_sdwa s[10:11], v24, s8 src0_sel:BYTE_0 src1_sel:DWORD
	v_mov_b32_e32 v42, 0xffff8000
	s_and_saveexec_b64 s[8:9], s[10:11]
	s_cbranch_execz .LBB856_352
; %bb.349:
	s_movk_i32 s10, 0x7f
	v_and_b32_e32 v22, 0x7f, v24
	v_cmp_ne_u32_e32 vcc, s10, v22
	v_mov_b32_e32 v42, 0x7f80
	s_and_saveexec_b64 s[10:11], vcc
	s_cbranch_execz .LBB856_351
; %bb.350:
	v_and_b32_e32 v44, 7, v24
	v_ffbh_u32_e32 v42, v44
	v_min_u32_e32 v50, 32, v42
	v_subrev_u32_e32 v42, 28, v50
	v_lshlrev_b64 v[42:43], v42, v[24:25]
	v_lshrrev_b32_e32 v45, 3, v22
	v_sub_u32_e32 v43, 29, v50
	v_and_b32_e32 v42, 7, v42
	v_cmp_gt_u32_e32 vcc, 8, v22
	v_cndmask_b32_e32 v22, v45, v43, vcc
	v_cndmask_b32_e32 v42, v44, v42, vcc
	v_lshlrev_b32_e32 v43, 24, v24
	v_bfrev_b32_e32 v44, 60
	v_lshlrev_b32_e32 v42, 20, v42
	v_and_b32_e32 v43, 0x80000000, v43
	v_lshl_add_u32 v22, v22, 23, v44
	v_or3_b32 v22, v43, v22, v42
	v_lshrrev_b32_e32 v42, 16, v22
.LBB856_351:
	s_or_b64 exec, exec, s[10:11]
.LBB856_352:
	s_or_b64 exec, exec, s[8:9]
.LBB856_353:
	s_or_b64 exec, exec, s[2:3]
	v_lshrrev_b16_e32 v22, 8, v24
	v_cmp_ne_u16_e32 vcc, 0, v22
	s_and_saveexec_b64 s[2:3], vcc
	s_cbranch_execz .LBB856_359
; %bb.354:
	s_movk_i32 s8, 0x80
	v_cmp_ne_u16_e32 vcc, s8, v22
	v_mov_b32_e32 v23, 0xffff8000
	s_and_saveexec_b64 s[8:9], vcc
	s_cbranch_execz .LBB856_358
; %bb.355:
	s_movk_i32 s10, 0x7f
	v_and_b32_e32 v43, 0x7f, v22
	v_cmp_ne_u32_e32 vcc, s10, v43
	v_mov_b32_e32 v23, 0x7f80
	s_and_saveexec_b64 s[10:11], vcc
	s_cbranch_execz .LBB856_357
; %bb.356:
	v_and_b32_e32 v44, 7, v22
	v_ffbh_u32_e32 v23, v44
	v_min_u32_e32 v50, 32, v23
	v_subrev_u32_e32 v23, 28, v50
	v_lshlrev_b64 v[22:23], v23, v[22:23]
	v_lshrrev_b32_e32 v45, 3, v43
	v_sub_u32_e32 v23, 29, v50
	v_and_b32_e32 v22, 7, v22
	v_cmp_gt_u32_e32 vcc, 8, v43
	v_cndmask_b32_e32 v23, v45, v23, vcc
	v_cndmask_b32_e32 v22, v44, v22, vcc
	v_lshlrev_b32_e32 v43, 16, v24
	v_bfrev_b32_e32 v44, 60
	v_lshlrev_b32_e32 v22, 20, v22
	v_and_b32_e32 v43, 0x80000000, v43
	v_lshl_add_u32 v23, v23, 23, v44
	v_or3_b32 v22, v43, v23, v22
	v_lshrrev_b32_e32 v23, 16, v22
.LBB856_357:
	s_or_b64 exec, exec, s[10:11]
.LBB856_358:
	s_or_b64 exec, exec, s[8:9]
.LBB856_359:
	s_or_b64 exec, exec, s[2:3]
	s_movk_i32 s2, 0xff
	v_and_b32_sdwa v45, v24, s2 dst_sel:DWORD dst_unused:UNUSED_PAD src0_sel:WORD_1 src1_sel:DWORD
	v_lshrrev_b32_e32 v22, 16, v24
	v_cmp_ne_u16_e32 vcc, 0, v45
	v_mov_b32_e32 v43, 0
	v_mov_b32_e32 v44, 0
	s_and_saveexec_b64 s[2:3], vcc
	s_cbranch_execz .LBB856_365
; %bb.360:
	s_movk_i32 s8, 0x80
	v_cmp_ne_u16_e32 vcc, s8, v45
	v_mov_b32_e32 v44, 0xffff8000
	s_and_saveexec_b64 s[8:9], vcc
	s_cbranch_execz .LBB856_364
; %bb.361:
	v_bfe_u32 v45, v24, 16, 7
	s_movk_i32 s10, 0x7f
	v_cmp_ne_u32_e32 vcc, s10, v45
	v_mov_b32_e32 v44, 0x7f80
	s_and_saveexec_b64 s[10:11], vcc
	s_cbranch_execz .LBB856_363
; %bb.362:
	v_and_b32_e32 v44, 7, v22
	v_ffbh_u32_e32 v50, v44
	v_min_u32_e32 v53, 32, v50
	v_subrev_u32_e32 v50, 28, v53
	v_lshlrev_b64 v[50:51], v50, v[22:23]
	v_lshrrev_b32_e32 v52, 3, v45
	v_sub_u32_e32 v22, 29, v53
	v_and_b32_e32 v50, 7, v50
	v_cmp_gt_u32_e32 vcc, 8, v45
	v_mov_b32_e32 v45, 24
	v_cndmask_b32_e32 v22, v52, v22, vcc
	v_cndmask_b32_e32 v44, v44, v50, vcc
	v_lshlrev_b32_sdwa v45, v45, v24 dst_sel:DWORD dst_unused:UNUSED_PAD src0_sel:DWORD src1_sel:WORD_1
	v_bfrev_b32_e32 v50, 60
	v_lshlrev_b32_e32 v44, 20, v44
	v_and_b32_e32 v45, 0x80000000, v45
	v_lshl_add_u32 v22, v22, 23, v50
	v_or3_b32 v22, v45, v22, v44
	v_lshrrev_b32_e32 v44, 16, v22
.LBB856_363:
	s_or_b64 exec, exec, s[10:11]
.LBB856_364:
	s_or_b64 exec, exec, s[8:9]
.LBB856_365:
	s_or_b64 exec, exec, s[2:3]
	s_mov_b32 s2, 0xffffff
	v_cmp_lt_u32_e32 vcc, s2, v24
	s_and_saveexec_b64 s[2:3], vcc
	s_cbranch_execz .LBB856_371
; %bb.366:
	v_lshrrev_b32_e32 v22, 24, v24
	s_movk_i32 s8, 0x80
	v_cmp_ne_u32_e32 vcc, s8, v22
	v_mov_b32_e32 v43, 0xffff8000
	s_and_saveexec_b64 s[8:9], vcc
	s_cbranch_execz .LBB856_370
; %bb.367:
	v_bfe_u32 v24, v24, 24, 7
	s_movk_i32 s10, 0x7f
	v_cmp_ne_u32_e32 vcc, s10, v24
	v_mov_b32_e32 v43, 0x7f80
	s_and_saveexec_b64 s[10:11], vcc
	s_cbranch_execz .LBB856_369
; %bb.368:
	v_and_b32_e32 v43, 7, v22
	v_ffbh_u32_e32 v50, v43
	v_min_u32_e32 v52, 32, v50
	v_subrev_u32_e32 v50, 28, v52
	v_lshlrev_b64 v[50:51], v50, v[22:23]
	v_lshrrev_b32_e32 v45, 3, v24
	v_sub_u32_e32 v51, 29, v52
	v_and_b32_e32 v50, 7, v50
	v_cmp_gt_u32_e32 vcc, 8, v24
	v_cndmask_b32_e32 v24, v45, v51, vcc
	v_cndmask_b32_e32 v43, v43, v50, vcc
	v_lshlrev_b32_e32 v22, 24, v22
	v_bfrev_b32_e32 v45, 60
	v_lshlrev_b32_e32 v43, 20, v43
	v_and_b32_e32 v22, 0x80000000, v22
	v_lshl_add_u32 v24, v24, 23, v45
	v_or3_b32 v22, v22, v24, v43
	v_lshrrev_b32_e32 v43, 16, v22
.LBB856_369:
	s_or_b64 exec, exec, s[10:11]
.LBB856_370:
	s_or_b64 exec, exec, s[8:9]
.LBB856_371:
	s_or_b64 exec, exec, s[2:3]
	v_mov_b32_e32 v24, 0
	v_cmp_ne_u16_sdwa s[8:9], v25, v24 src0_sel:BYTE_0 src1_sel:DWORD
	v_mov_b32_e32 v50, 0
	s_and_saveexec_b64 s[2:3], s[8:9]
	s_cbranch_execz .LBB856_377
; %bb.372:
	s_movk_i32 s8, 0x80
	v_cmp_ne_u16_sdwa s[10:11], v25, s8 src0_sel:BYTE_0 src1_sel:DWORD
	v_mov_b32_e32 v50, 0xffff8000
	s_and_saveexec_b64 s[8:9], s[10:11]
	s_cbranch_execz .LBB856_376
; %bb.373:
	s_movk_i32 s10, 0x7f
	v_and_b32_e32 v22, 0x7f, v25
	v_cmp_ne_u32_e32 vcc, s10, v22
	v_mov_b32_e32 v50, 0x7f80
	s_and_saveexec_b64 s[10:11], vcc
	s_cbranch_execz .LBB856_375
; %bb.374:
	v_and_b32_e32 v45, 7, v25
	v_ffbh_u32_e32 v51, v45
	v_min_u32_e32 v53, 32, v51
	v_mov_b32_e32 v50, v25
	v_subrev_u32_e32 v51, 28, v53
	v_lshlrev_b64 v[50:51], v51, v[50:51]
	v_lshrrev_b32_e32 v52, 3, v22
	v_sub_u32_e32 v51, 29, v53
	v_and_b32_e32 v50, 7, v50
	v_cmp_gt_u32_e32 vcc, 8, v22
	v_cndmask_b32_e32 v22, v52, v51, vcc
	v_cndmask_b32_e32 v45, v45, v50, vcc
	v_lshlrev_b32_e32 v50, 24, v25
	v_bfrev_b32_e32 v51, 60
	v_lshlrev_b32_e32 v45, 20, v45
	v_and_b32_e32 v50, 0x80000000, v50
	v_lshl_add_u32 v22, v22, 23, v51
	v_or3_b32 v22, v50, v22, v45
	v_lshrrev_b32_e32 v50, 16, v22
.LBB856_375:
	s_or_b64 exec, exec, s[10:11]
.LBB856_376:
	s_or_b64 exec, exec, s[8:9]
.LBB856_377:
	s_or_b64 exec, exec, s[2:3]
	v_lshrrev_b16_e32 v22, 8, v25
	v_cmp_ne_u16_e32 vcc, 0, v22
	s_and_saveexec_b64 s[2:3], vcc
	s_cbranch_execz .LBB856_383
; %bb.378:
	s_movk_i32 s8, 0x80
	v_cmp_ne_u16_e32 vcc, s8, v22
	v_mov_b32_e32 v24, 0xffff8000
	s_and_saveexec_b64 s[8:9], vcc
	s_cbranch_execz .LBB856_382
; %bb.379:
	s_movk_i32 s10, 0x7f
	v_and_b32_e32 v45, 0x7f, v22
	v_cmp_ne_u32_e32 vcc, s10, v45
	v_mov_b32_e32 v24, 0x7f80
	s_and_saveexec_b64 s[10:11], vcc
	s_cbranch_execz .LBB856_381
; %bb.380:
	v_and_b32_e32 v24, 7, v22
	v_ffbh_u32_e32 v52, v24
	v_min_u32_e32 v54, 32, v52
	v_subrev_u32_e32 v52, 28, v54
	v_lshlrev_b64 v[52:53], v52, v[22:23]
	v_lshrrev_b32_e32 v51, 3, v45
	v_sub_u32_e32 v22, 29, v54
	v_and_b32_e32 v52, 7, v52
	v_cmp_gt_u32_e32 vcc, 8, v45
	v_cndmask_b32_e32 v22, v51, v22, vcc
	v_cndmask_b32_e32 v24, v24, v52, vcc
	v_lshlrev_b32_e32 v45, 16, v25
	v_bfrev_b32_e32 v51, 60
	v_lshlrev_b32_e32 v24, 20, v24
	v_and_b32_e32 v45, 0x80000000, v45
	v_lshl_add_u32 v22, v22, 23, v51
	v_or3_b32 v22, v45, v22, v24
	v_lshrrev_b32_e32 v24, 16, v22
.LBB856_381:
	s_or_b64 exec, exec, s[10:11]
.LBB856_382:
	s_or_b64 exec, exec, s[8:9]
.LBB856_383:
	s_or_b64 exec, exec, s[2:3]
	s_movk_i32 s2, 0xff
	v_and_b32_sdwa v45, v25, s2 dst_sel:DWORD dst_unused:UNUSED_PAD src0_sel:WORD_1 src1_sel:DWORD
	v_lshrrev_b32_e32 v22, 16, v25
	v_cmp_ne_u16_e32 vcc, 0, v45
	v_mov_b32_e32 v51, 0
	v_mov_b32_e32 v52, 0
	s_and_saveexec_b64 s[2:3], vcc
	s_cbranch_execz .LBB856_389
; %bb.384:
	s_movk_i32 s8, 0x80
	v_cmp_ne_u16_e32 vcc, s8, v45
	v_mov_b32_e32 v52, 0xffff8000
	s_and_saveexec_b64 s[8:9], vcc
	s_cbranch_execz .LBB856_388
; %bb.385:
	v_bfe_u32 v45, v25, 16, 7
	s_movk_i32 s10, 0x7f
	v_cmp_ne_u32_e32 vcc, s10, v45
	v_mov_b32_e32 v52, 0x7f80
	s_and_saveexec_b64 s[10:11], vcc
	s_cbranch_execz .LBB856_387
; %bb.386:
	v_and_b32_e32 v54, 7, v22
	v_ffbh_u32_e32 v52, v54
	v_min_u32_e32 v56, 32, v52
	v_subrev_u32_e32 v52, 28, v56
	v_lshlrev_b64 v[52:53], v52, v[22:23]
	v_and_b32_e32 v52, 7, v52
	v_cmp_gt_u32_e32 vcc, 8, v45
	v_lshrrev_b32_e32 v55, 3, v45
	v_sub_u32_e32 v22, 29, v56
	v_cndmask_b32_e32 v45, v54, v52, vcc
	v_mov_b32_e32 v52, 24
	v_cndmask_b32_e32 v22, v55, v22, vcc
	v_lshlrev_b32_sdwa v52, v52, v25 dst_sel:DWORD dst_unused:UNUSED_PAD src0_sel:DWORD src1_sel:WORD_1
	v_bfrev_b32_e32 v53, 60
	v_lshlrev_b32_e32 v45, 20, v45
	v_and_b32_e32 v52, 0x80000000, v52
	v_lshl_add_u32 v22, v22, 23, v53
	v_or3_b32 v22, v52, v22, v45
	v_lshrrev_b32_e32 v52, 16, v22
.LBB856_387:
	s_or_b64 exec, exec, s[10:11]
.LBB856_388:
	s_or_b64 exec, exec, s[8:9]
.LBB856_389:
	s_or_b64 exec, exec, s[2:3]
	s_mov_b32 s2, 0xffffff
	v_and_b32_e32 v45, 63, v0
	v_cmp_lt_u32_e32 vcc, s2, v25
	s_and_saveexec_b64 s[2:3], vcc
	s_cbranch_execz .LBB856_395
; %bb.390:
	v_lshrrev_b32_e32 v22, 24, v25
	s_movk_i32 s8, 0x80
	v_cmp_ne_u32_e32 vcc, s8, v22
	v_mov_b32_e32 v51, 0xffff8000
	s_and_saveexec_b64 s[8:9], vcc
	s_cbranch_execz .LBB856_394
; %bb.391:
	v_bfe_u32 v25, v25, 24, 7
	s_movk_i32 s10, 0x7f
	v_cmp_ne_u32_e32 vcc, s10, v25
	v_mov_b32_e32 v51, 0x7f80
	s_and_saveexec_b64 s[10:11], vcc
	s_cbranch_execz .LBB856_393
; %bb.392:
	v_and_b32_e32 v51, 7, v22
	v_ffbh_u32_e32 v54, v51
	v_min_u32_e32 v56, 32, v54
	v_subrev_u32_e32 v54, 28, v56
	v_lshlrev_b64 v[54:55], v54, v[22:23]
	v_lshrrev_b32_e32 v53, 3, v25
	v_sub_u32_e32 v55, 29, v56
	v_and_b32_e32 v54, 7, v54
	v_cmp_gt_u32_e32 vcc, 8, v25
	v_cndmask_b32_e32 v25, v53, v55, vcc
	v_cndmask_b32_e32 v51, v51, v54, vcc
	v_lshlrev_b32_e32 v22, 24, v22
	v_bfrev_b32_e32 v53, 60
	v_lshlrev_b32_e32 v51, 20, v51
	v_and_b32_e32 v22, 0x80000000, v22
	v_lshl_add_u32 v25, v25, 23, v53
	v_or3_b32 v22, v22, v25, v51
	v_lshrrev_b32_e32 v51, 16, v22
.LBB856_393:
	s_or_b64 exec, exec, s[10:11]
.LBB856_394:
	s_or_b64 exec, exec, s[8:9]
.LBB856_395:
	s_or_b64 exec, exec, s[2:3]
	s_mov_b32 s3, 0x5040100
	v_perm_b32 v43, v43, v44, s3
	v_perm_b32 v42, v23, v42, s3
	s_load_dword s2, s[4:5], 0x1c
	s_mov_b32 s46, 0xff7fffff
	s_waitcnt lgkmcnt(0)
	v_mfma_f32_16x16x16bf16_1k v[26:29], v[42:43], v[18:19], v[26:29]
	v_perm_b32 v19, v51, v52, s3
	v_perm_b32 v18, v24, v50, s3
	v_and_b32_e32 v24, 0xc0, v0
	v_mov_b32_e32 v22, s2
	v_add_u32_e32 v24, s20, v24
	v_mul_f32_e32 v44, s12, v22
	v_lshl_or_b32 v42, v1, 2, v24
	v_mfma_f32_16x16x16bf16_1k v[18:21], v[18:19], v[20:21], v[26:29]
	v_pk_mul_f32 v[22:23], v[44:45], v[36:37] op_sel_hi:[0,1]
	v_pk_mul_f32 v[36:37], v[44:45], v[40:41] op_sel_hi:[0,1]
	;; [unrolled: 1-line block ×4, first 2 shown]
	v_mov_b32_e32 v43, 0xff7fffff
	v_cmp_gt_i32_e64 s[26:27], s33, v42
	v_pk_mul_f32 v[38:39], v[44:45], v[38:39] op_sel_hi:[0,1]
	s_nop 3
	v_pk_mul_f32 v[32:33], v[44:45], v[18:19] op_sel_hi:[0,1]
	v_or_b32_e32 v19, 1, v42
	v_cmp_gt_i32_e64 s[28:29], s33, v19
	v_cndmask_b32_e64 v18, v43, v30, s[26:27]
	v_cndmask_b32_e64 v19, v43, v31, s[28:29]
	v_pk_mul_f32 v[24:25], v[44:45], v[20:21] op_sel_hi:[0,1]
	v_max3_f32 v18, v18, s46, v19
	v_or_b32_e32 v19, 2, v42
	v_or_b32_e32 v20, 3, v42
	v_cmp_gt_i32_e64 s[30:31], s33, v19
	v_cmp_gt_i32_e64 s[34:35], s33, v20
	v_cndmask_b32_e64 v19, v43, v40, s[30:31]
	v_cndmask_b32_e64 v20, v43, v41, s[34:35]
	v_max3_f32 v18, v18, v19, v20
	v_or_b32_e32 v19, 16, v42
	v_or_b32_e32 v20, 17, v42
	v_cmp_gt_i32_e64 s[36:37], s33, v19
	v_cmp_gt_i32_e64 s[38:39], s33, v20
	v_cndmask_b32_e64 v19, v43, v38, s[36:37]
	v_cndmask_b32_e64 v20, v43, v39, s[38:39]
	;; [unrolled: 7-line block ×3, first 2 shown]
	v_max3_f32 v18, v18, v19, v20
	v_or_b32_e32 v19, 32, v42
	v_or_b32_e32 v20, 33, v42
	v_pk_mul_f32 v[34:35], v[44:45], v[34:35] op_sel_hi:[0,1]
	v_cmp_gt_i32_e64 s[16:17], s33, v19
	v_cmp_gt_i32_e64 s[18:19], s33, v20
	v_cndmask_b32_e64 v19, v43, v34, s[16:17]
	v_cndmask_b32_e64 v20, v43, v35, s[18:19]
	v_max3_f32 v18, v18, v19, v20
	v_or_b32_e32 v19, 34, v42
	v_or_b32_e32 v20, 35, v42
	v_cmp_gt_i32_e64 s[12:13], s33, v19
	v_cmp_gt_i32_e64 s[14:15], s33, v20
	v_cndmask_b32_e64 v19, v43, v22, s[12:13]
	v_cndmask_b32_e64 v20, v43, v23, s[14:15]
	v_max3_f32 v18, v18, v19, v20
	v_or_b32_e32 v19, 48, v42
	v_or_b32_e32 v20, 49, v42
	;; [unrolled: 7-line block ×3, first 2 shown]
	v_cmp_gt_i32_e32 vcc, s33, v19
	v_cmp_gt_i32_e64 s[2:3], s33, v20
	v_cndmask_b32_e32 v19, v43, v24, vcc
	v_cndmask_b32_e64 v20, v43, v25, s[2:3]
	v_max3_f32 v18, v18, v19, v20
	v_mbcnt_lo_u32_b32 v19, -1, 0
	v_mbcnt_hi_u32_b32 v19, -1, v19
	v_and_b32_e32 v20, 64, v19
	v_add_u32_e32 v20, 64, v20
	v_xor_b32_e32 v21, 32, v19
	v_cmp_lt_i32_e64 s[40:41], v21, v20
	v_cndmask_b32_e64 v21, v19, v21, s[40:41]
	v_lshlrev_b32_e32 v43, 2, v21
	ds_bpermute_b32 v21, v43, v18
	s_barrier
	s_waitcnt lgkmcnt(0)
	v_max_f32_e32 v21, v21, v21
	v_max_f32_e32 v18, v18, v21
	v_xor_b32_e32 v21, 16, v19
	v_cmp_lt_i32_e64 s[40:41], v21, v20
	v_cndmask_b32_e64 v19, v19, v21, s[40:41]
	v_lshlrev_b32_e32 v44, 2, v19
	ds_bpermute_b32 v19, v44, v18
	s_waitcnt lgkmcnt(0)
	v_max_f32_e32 v19, v19, v19
	v_max_f32_e32 v42, v18, v19
	v_sub_f32_e32 v21, v40, v42
	v_sub_f32_e32 v26, v41, v42
	v_mul_f32_e32 v21, 0x3fb8aa3b, v21
	v_mul_f32_e32 v26, 0x3fb8aa3b, v26
	v_sub_f32_e32 v18, v30, v42
	v_exp_f32_e32 v21, v21
	v_exp_f32_e32 v26, v26
	v_mul_f32_e32 v18, 0x3fb8aa3b, v18
	v_sub_f32_e32 v19, v31, v42
	v_exp_f32_e32 v18, v18
	v_mul_f32_e32 v19, 0x3fb8aa3b, v19
	v_exp_f32_e32 v19, v19
	v_cndmask_b32_e64 v28, 0, v21, s[30:31]
	v_cndmask_b32_e64 v29, 0, v26, s[34:35]
	v_sub_f32_e32 v21, v38, v42
	v_sub_f32_e32 v26, v39, v42
	v_mul_f32_e32 v21, 0x3fb8aa3b, v21
	v_mul_f32_e32 v26, 0x3fb8aa3b, v26
	v_cndmask_b32_e64 v18, 0, v18, s[26:27]
	v_exp_f32_e32 v21, v21
	v_exp_f32_e32 v26, v26
	v_add_f32_e32 v20, 0, v18
	v_cndmask_b32_e64 v19, 0, v19, s[28:29]
	v_add_f32_e32 v20, v20, v19
	v_add_f32_e32 v20, v20, v28
	v_add_f32_e32 v27, v20, v29
	v_cndmask_b32_e64 v20, 0, v21, s[36:37]
	v_cndmask_b32_e64 v21, 0, v26, s[38:39]
	v_sub_f32_e32 v26, v36, v42
	v_mul_f32_e32 v26, 0x3fb8aa3b, v26
	v_exp_f32_e32 v26, v26
	v_sub_f32_e32 v30, v37, v42
	v_add_f32_e32 v27, v27, v20
	v_mul_f32_e32 v30, 0x3fb8aa3b, v30
	v_exp_f32_e32 v31, v30
	v_add_f32_e32 v27, v27, v21
	v_cndmask_b32_e64 v30, 0, v26, s[20:21]
	v_add_f32_e32 v26, v27, v30
	v_sub_f32_e32 v27, v34, v42
	v_mul_f32_e32 v27, 0x3fb8aa3b, v27
	v_sub_f32_e32 v34, v35, v42
	v_exp_f32_e32 v27, v27
	v_mul_f32_e32 v34, 0x3fb8aa3b, v34
	v_sub_f32_e32 v22, v22, v42
	v_exp_f32_e32 v34, v34
	;; [unrolled: 3-line block ×3, first 2 shown]
	v_mul_f32_e32 v23, 0x3fb8aa3b, v23
	v_cndmask_b32_e64 v31, 0, v31, s[22:23]
	v_exp_f32_e32 v23, v23
	v_add_f32_e32 v35, v26, v31
	v_cndmask_b32_e64 v26, 0, v27, s[16:17]
	v_add_f32_e32 v35, v35, v26
	v_cndmask_b32_e64 v27, 0, v34, s[18:19]
	;; [unrolled: 2-line block ×4, first 2 shown]
	v_sub_f32_e32 v23, v32, v42
	v_mul_f32_e32 v23, 0x3fb8aa3b, v23
	v_sub_f32_e32 v32, v33, v42
	v_exp_f32_e32 v23, v23
	v_mul_f32_e32 v32, 0x3fb8aa3b, v32
	v_sub_f32_e32 v24, v24, v42
	v_exp_f32_e32 v32, v32
	;; [unrolled: 3-line block ×3, first 2 shown]
	v_mul_f32_e32 v25, 0x3fb8aa3b, v25
	v_exp_f32_e32 v25, v25
	v_add_f32_e32 v33, v22, v35
	v_cndmask_b32_e64 v22, 0, v23, s[8:9]
	v_add_f32_e32 v33, v33, v22
	v_cndmask_b32_e64 v23, 0, v32, s[10:11]
	v_add_f32_e32 v32, v33, v23
	v_cndmask_b32_e32 v24, 0, v24, vcc
	v_add_f32_e32 v32, v32, v24
	v_cndmask_b32_e64 v25, 0, v25, s[2:3]
	v_add_f32_e32 v32, v32, v25
	ds_bpermute_b32 v33, v43, v32
	v_cmp_gt_u32_e32 vcc, 16, v45
	s_waitcnt lgkmcnt(0)
	v_add_f32_e32 v32, v32, v33
	ds_bpermute_b32 v36, v44, v32
	v_lshlrev_b32_e32 v33, 2, v48
	s_and_saveexec_b64 s[2:3], vcc
	s_cbranch_execz .LBB856_397
; %bb.396:
	s_waitcnt lgkmcnt(0)
	v_add_f32_e32 v32, v32, v36
	v_lshl_or_b32 v36, v49, 6, v33
	ds_write2st64_b32 v36, v42, v32 offset1:1
.LBB856_397:
	s_or_b64 exec, exec, s[2:3]
	s_waitcnt lgkmcnt(0)
	s_barrier
	ds_read2_b32 v[36:37], v33 offset1:16
	ds_read2_b32 v[38:39], v33 offset0:32 offset1:48
	ds_read2_b32 v[40:41], v33 offset0:64 offset1:80
	s_mul_i32 s12, s45, 11
	s_waitcnt lgkmcnt(2)
	v_max3_f32 v32, v36, s46, v37
	s_waitcnt lgkmcnt(1)
	v_max3_f32 v32, v32, v38, v39
	v_sub_f32_e32 v36, v36, v32
	v_mul_f32_e32 v36, 0x3fb8aa3b, v36
	v_exp_f32_e32 v42, v36
	v_sub_f32_e32 v36, v37, v32
	v_mul_f32_e32 v36, 0x3fb8aa3b, v36
	v_exp_f32_e32 v43, v36
	;; [unrolled: 3-line block ×3, first 2 shown]
	ds_read2_b32 v[36:37], v33 offset0:96 offset1:112
	v_sub_f32_e32 v33, v39, v32
	v_mul_f32_e32 v33, 0x3fb8aa3b, v33
	v_exp_f32_e32 v39, v33
	s_waitcnt lgkmcnt(1)
	v_fma_f32 v33, v42, v40, 0
	v_fmac_f32_e32 v33, v43, v41
	s_waitcnt lgkmcnt(0)
	v_fmac_f32_e32 v33, v38, v36
	v_fmac_f32_e32 v33, v39, v37
	v_add_f32_e32 v36, 0x358637bd, v33
	v_div_scale_f32 v37, s[2:3], v36, v36, 1.0
	v_rcp_f32_e32 v40, v37
	s_movk_i32 s2, 0x7fff
	s_mov_b32 s3, 0x7060302
	v_fma_f32 v41, -v37, v40, 1.0
	v_fmac_f32_e32 v40, v41, v40
	v_div_scale_f32 v41, vcc, 1.0, v36, 1.0
	v_mul_f32_e32 v44, v41, v40
	v_fma_f32 v45, -v37, v44, v41
	v_fmac_f32_e32 v44, v45, v40
	v_fma_f32 v37, -v37, v44, v41
	v_div_fmas_f32 v37, v37, v40, v44
	v_cmp_eq_u32_e32 vcc, 1, v49
	v_div_fixup_f32 v36, v37, v36, 1.0
	v_cndmask_b32_e32 v37, v42, v43, vcc
	v_cmp_eq_u32_e32 vcc, 2, v49
	v_cndmask_b32_e32 v37, v37, v38, vcc
	v_cmp_eq_u32_e32 vcc, 3, v49
	v_cndmask_b32_e32 v37, v37, v39, vcc
	v_mul_f32_e32 v36, v37, v36
	v_pk_mul_f32 v[18:19], v[36:37], v[18:19] op_sel_hi:[0,1]
	v_pk_mul_f32 v[28:29], v[36:37], v[28:29] op_sel_hi:[0,1]
	v_bfe_u32 v37, v19, 16, 1
	v_bfe_u32 v38, v18, 16, 1
	v_add3_u32 v18, v18, v38, s2
	v_add3_u32 v19, v19, v37, s2
	v_perm_b32 v38, v19, v18, s3
	v_bfe_u32 v18, v29, 16, 1
	v_bfe_u32 v19, v28, 16, 1
	v_add3_u32 v19, v28, v19, s2
	v_add3_u32 v18, v29, v18, s2
	v_perm_b32 v39, v18, v19, s3
	v_lshlrev_b32_e32 v18, 3, v1
	v_lshlrev_b32_e32 v19, 5, v48
	;; [unrolled: 1-line block ×3, first 2 shown]
	v_pk_mul_f32 v[20:21], v[36:37], v[20:21] op_sel_hi:[0,1]
	v_or3_b32 v28, v28, v19, v18
	v_bfe_u32 v18, v21, 16, 1
	v_bfe_u32 v29, v20, 16, 1
	v_pk_mul_f32 v[30:31], v[36:37], v[30:31] op_sel_hi:[0,1]
	v_add3_u32 v20, v20, v29, s2
	v_add3_u32 v18, v21, v18, s2
	v_perm_b32 v20, v18, v20, s3
	v_bfe_u32 v18, v31, 16, 1
	v_bfe_u32 v21, v30, 16, 1
	v_add3_u32 v21, v30, v21, s2
	v_add3_u32 v18, v31, v18, s2
	v_pk_mul_f32 v[26:27], v[36:37], v[26:27] op_sel_hi:[0,1]
	v_perm_b32 v21, v18, v21, s3
	v_bfe_u32 v18, v27, 16, 1
	v_bfe_u32 v29, v26, 16, 1
	s_barrier
	ds_write2st64_b64 v28, v[38:39], v[20:21] offset1:1
	v_pk_mul_f32 v[20:21], v[36:37], v[34:35] op_sel_hi:[0,1]
	v_add3_u32 v26, v26, v29, s2
	v_add3_u32 v18, v27, v18, s2
	v_perm_b32 v26, v18, v26, s3
	v_bfe_u32 v18, v21, 16, 1
	v_bfe_u32 v27, v20, 16, 1
	v_add3_u32 v20, v20, v27, s2
	v_add3_u32 v18, v21, v18, s2
	v_pk_mul_f32 v[22:23], v[36:37], v[22:23] op_sel_hi:[0,1]
	v_perm_b32 v27, v18, v20, s3
	v_pk_mul_f32 v[20:21], v[36:37], v[24:25] op_sel_hi:[0,1]
	v_bfe_u32 v18, v23, 16, 1
	v_bfe_u32 v24, v22, 16, 1
	v_add3_u32 v22, v22, v24, s2
	v_add3_u32 v18, v23, v18, s2
	v_perm_b32 v22, v18, v22, s3
	v_bfe_u32 v18, v21, 16, 1
	v_bfe_u32 v23, v20, 16, 1
	v_add3_u32 v20, v20, v23, s2
	v_add3_u32 v18, v21, v18, s2
	v_perm_b32 v23, v18, v20, s3
	v_cmp_gt_u32_e32 vcc, 11, v0
	ds_write2st64_b64 v28, v[26:27], v[22:23] offset0:2 offset1:3
	s_and_saveexec_b64 s[2:3], vcc
	s_cbranch_execz .LBB856_399
; %bb.398:
	v_add_co_u32_e32 v22, vcc, s25, v48
	v_addc_co_u32_e64 v23, s[14:15], 0, 0, vcc
	v_mov_b32_e32 v18, s12
	v_mov_b32_e32 v21, 0
	v_mad_u64_u32 v[22:23], s[14:15], s6, v18, v[22:23]
	v_mov_b32_e32 v20, s24
	s_load_dwordx4 s[8:11], s[4:5], 0x58
	s_mul_i32 s7, s7, s12
	v_mad_u64_u32 v[20:21], s[14:15], v22, s44, v[20:21]
	v_add_u32_e32 v23, s7, v23
	v_mov_b32_e32 v18, v21
	v_mad_u64_u32 v[22:23], s[14:15], v23, s44, v[18:19]
	v_mov_b32_e32 v21, v22
	v_lshlrev_b64 v[20:21], 2, v[20:21]
	s_waitcnt lgkmcnt(0)
	v_mov_b32_e32 v18, s11
	v_add_co_u32_e32 v22, vcc, s10, v20
	v_addc_co_u32_e32 v23, vcc, v18, v21, vcc
	v_mov_b32_e32 v18, s9
	v_add_co_u32_e32 v20, vcc, s8, v20
	v_addc_co_u32_e32 v21, vcc, v18, v21, vcc
	global_store_dword v[22:23], v32, off
	global_store_dword v[20:21], v33, off
.LBB856_399:
	s_or_b64 exec, exec, s[2:3]
	v_mov_b32_e32 v20, 0
	s_waitcnt vmcnt(3)
	v_cmp_ne_u16_sdwa s[8:9], v14, v20 src0_sel:BYTE_0 src1_sel:DWORD
	v_mov_b32_e32 v21, 0
	s_waitcnt lgkmcnt(0)
	s_barrier
	s_and_saveexec_b64 s[2:3], s[8:9]
	s_cbranch_execz .LBB856_405
; %bb.400:
	s_movk_i32 s7, 0x80
	v_cmp_ne_u16_sdwa s[10:11], v14, s7 src0_sel:BYTE_0 src1_sel:DWORD
	v_mov_b32_e32 v21, 0xffff8000
	s_and_saveexec_b64 s[8:9], s[10:11]
	s_cbranch_execz .LBB856_404
; %bb.401:
	s_movk_i32 s7, 0x7f
	v_and_b32_e32 v18, 0x7f, v14
	v_cmp_ne_u32_e32 vcc, s7, v18
	v_mov_b32_e32 v21, 0x7f80
	s_and_saveexec_b64 s[10:11], vcc
	s_cbranch_execz .LBB856_403
; %bb.402:
	v_and_b32_e32 v21, 7, v14
	v_ffbh_u32_e32 v22, v21
	v_min_u32_e32 v25, 32, v22
	v_subrev_u32_e32 v22, 28, v25
	v_lshlrev_b64 v[22:23], v22, v[14:15]
	v_lshrrev_b32_e32 v24, 3, v18
	v_sub_u32_e32 v23, 29, v25
	v_and_b32_e32 v22, 7, v22
	v_cmp_gt_u32_e32 vcc, 8, v18
	v_cndmask_b32_e32 v18, v24, v23, vcc
	v_cndmask_b32_e32 v21, v21, v22, vcc
	v_lshlrev_b32_e32 v22, 24, v14
	v_bfrev_b32_e32 v23, 60
	v_lshlrev_b32_e32 v21, 20, v21
	v_and_b32_e32 v22, 0x80000000, v22
	v_lshl_add_u32 v18, v18, 23, v23
	v_or3_b32 v18, v22, v18, v21
	v_lshrrev_b32_e32 v21, 16, v18
.LBB856_403:
	s_or_b64 exec, exec, s[10:11]
.LBB856_404:
	s_or_b64 exec, exec, s[8:9]
.LBB856_405:
	s_or_b64 exec, exec, s[2:3]
	v_lshrrev_b16_e32 v18, 8, v14
	v_cmp_ne_u16_e32 vcc, 0, v18
	s_and_saveexec_b64 s[2:3], vcc
	s_cbranch_execz .LBB856_411
; %bb.406:
	s_movk_i32 s7, 0x80
	v_cmp_ne_u16_e32 vcc, s7, v18
	v_mov_b32_e32 v20, 0xffff8000
	s_and_saveexec_b64 s[8:9], vcc
	s_cbranch_execz .LBB856_410
; %bb.407:
	s_movk_i32 s7, 0x7f
	v_and_b32_e32 v22, 0x7f, v18
	v_cmp_ne_u32_e32 vcc, s7, v22
	v_mov_b32_e32 v20, 0x7f80
	s_and_saveexec_b64 s[10:11], vcc
	s_cbranch_execz .LBB856_409
; %bb.408:
	v_and_b32_e32 v20, 7, v18
	v_ffbh_u32_e32 v24, v20
	v_min_u32_e32 v26, 32, v24
	v_subrev_u32_e32 v24, 28, v26
	v_lshlrev_b64 v[24:25], v24, v[18:19]
	v_lshrrev_b32_e32 v23, 3, v22
	v_sub_u32_e32 v18, 29, v26
	v_and_b32_e32 v24, 7, v24
	v_cmp_gt_u32_e32 vcc, 8, v22
	v_cndmask_b32_e32 v18, v23, v18, vcc
	v_cndmask_b32_e32 v20, v20, v24, vcc
	v_lshlrev_b32_e32 v22, 16, v14
	v_bfrev_b32_e32 v23, 60
	v_lshlrev_b32_e32 v20, 20, v20
	v_and_b32_e32 v22, 0x80000000, v22
	v_lshl_add_u32 v18, v18, 23, v23
	v_or3_b32 v18, v22, v18, v20
	v_lshrrev_b32_e32 v20, 16, v18
.LBB856_409:
	s_or_b64 exec, exec, s[10:11]
.LBB856_410:
	s_or_b64 exec, exec, s[8:9]
.LBB856_411:
	s_or_b64 exec, exec, s[2:3]
	s_movk_i32 s2, 0xff
	v_and_b32_sdwa v24, v14, s2 dst_sel:DWORD dst_unused:UNUSED_PAD src0_sel:WORD_1 src1_sel:DWORD
	v_lshrrev_b32_e32 v18, 16, v14
	v_cmp_ne_u16_e32 vcc, 0, v24
	v_mov_b32_e32 v22, 0
	v_mov_b32_e32 v23, 0
	s_and_saveexec_b64 s[2:3], vcc
	s_cbranch_execz .LBB856_417
; %bb.412:
	s_movk_i32 s7, 0x80
	v_cmp_ne_u16_e32 vcc, s7, v24
	v_mov_b32_e32 v23, 0xffff8000
	s_and_saveexec_b64 s[8:9], vcc
	s_cbranch_execz .LBB856_416
; %bb.413:
	v_bfe_u32 v24, v14, 16, 7
	s_movk_i32 s7, 0x7f
	v_cmp_ne_u32_e32 vcc, s7, v24
	v_mov_b32_e32 v23, 0x7f80
	s_and_saveexec_b64 s[10:11], vcc
	s_cbranch_execz .LBB856_415
; %bb.414:
	v_and_b32_e32 v23, 7, v18
	v_ffbh_u32_e32 v26, v23
	v_min_u32_e32 v29, 32, v26
	v_subrev_u32_e32 v26, 28, v29
	v_lshlrev_b64 v[26:27], v26, v[18:19]
	v_lshrrev_b32_e32 v25, 3, v24
	v_sub_u32_e32 v18, 29, v29
	v_and_b32_e32 v26, 7, v26
	v_cmp_gt_u32_e32 vcc, 8, v24
	v_mov_b32_e32 v24, 24
	v_cndmask_b32_e32 v18, v25, v18, vcc
	v_cndmask_b32_e32 v23, v23, v26, vcc
	v_lshlrev_b32_sdwa v24, v24, v14 dst_sel:DWORD dst_unused:UNUSED_PAD src0_sel:DWORD src1_sel:WORD_1
	v_bfrev_b32_e32 v25, 60
	v_lshlrev_b32_e32 v23, 20, v23
	v_and_b32_e32 v24, 0x80000000, v24
	v_lshl_add_u32 v18, v18, 23, v25
	v_or3_b32 v18, v24, v18, v23
	v_lshrrev_b32_e32 v23, 16, v18
.LBB856_415:
	s_or_b64 exec, exec, s[10:11]
.LBB856_416:
	s_or_b64 exec, exec, s[8:9]
.LBB856_417:
	s_or_b64 exec, exec, s[2:3]
	s_mov_b32 s2, 0xffffff
	v_cmp_lt_u32_e32 vcc, s2, v14
	s_and_saveexec_b64 s[2:3], vcc
	s_cbranch_execz .LBB856_423
; %bb.418:
	v_lshrrev_b32_e32 v18, 24, v14
	s_movk_i32 s7, 0x80
	v_cmp_ne_u32_e32 vcc, s7, v18
	v_mov_b32_e32 v22, 0xffff8000
	s_and_saveexec_b64 s[8:9], vcc
	s_cbranch_execz .LBB856_422
; %bb.419:
	v_bfe_u32 v14, v14, 24, 7
	s_movk_i32 s7, 0x7f
	v_cmp_ne_u32_e32 vcc, s7, v14
	v_mov_b32_e32 v22, 0x7f80
	s_and_saveexec_b64 s[10:11], vcc
	s_cbranch_execz .LBB856_421
; %bb.420:
	v_and_b32_e32 v22, 7, v18
	v_ffbh_u32_e32 v24, v22
	v_min_u32_e32 v27, 32, v24
	v_subrev_u32_e32 v24, 28, v27
	v_lshlrev_b64 v[24:25], v24, v[18:19]
	v_lshrrev_b32_e32 v26, 3, v14
	v_sub_u32_e32 v25, 29, v27
	v_and_b32_e32 v24, 7, v24
	v_cmp_gt_u32_e32 vcc, 8, v14
	v_cndmask_b32_e32 v14, v26, v25, vcc
	v_cndmask_b32_e32 v22, v22, v24, vcc
	v_lshlrev_b32_e32 v18, 24, v18
	v_bfrev_b32_e32 v24, 60
	v_lshlrev_b32_e32 v22, 20, v22
	v_and_b32_e32 v18, 0x80000000, v18
	v_lshl_add_u32 v14, v14, 23, v24
	v_or3_b32 v14, v18, v14, v22
	v_lshrrev_b32_e32 v22, 16, v14
.LBB856_421:
	s_or_b64 exec, exec, s[10:11]
.LBB856_422:
	s_or_b64 exec, exec, s[8:9]
.LBB856_423:
	s_or_b64 exec, exec, s[2:3]
	v_mov_b32_e32 v18, 0
	v_cmp_ne_u16_sdwa s[8:9], v15, v18 src0_sel:BYTE_0 src1_sel:DWORD
	v_mov_b32_e32 v24, 0
	s_and_saveexec_b64 s[2:3], s[8:9]
	s_cbranch_execz .LBB856_429
; %bb.424:
	s_movk_i32 s7, 0x80
	v_cmp_ne_u16_sdwa s[10:11], v15, s7 src0_sel:BYTE_0 src1_sel:DWORD
	v_mov_b32_e32 v24, 0xffff8000
	s_and_saveexec_b64 s[8:9], s[10:11]
	s_cbranch_execz .LBB856_428
; %bb.425:
	s_movk_i32 s7, 0x7f
	v_and_b32_e32 v14, 0x7f, v15
	v_cmp_ne_u32_e32 vcc, s7, v14
	v_mov_b32_e32 v24, 0x7f80
	s_and_saveexec_b64 s[10:11], vcc
	s_cbranch_execz .LBB856_427
; %bb.426:
	v_and_b32_e32 v26, 7, v15
	v_ffbh_u32_e32 v25, v26
	v_min_u32_e32 v29, 32, v25
	v_mov_b32_e32 v24, v15
	v_subrev_u32_e32 v25, 28, v29
	v_lshlrev_b64 v[24:25], v25, v[24:25]
	v_lshrrev_b32_e32 v27, 3, v14
	v_sub_u32_e32 v25, 29, v29
	v_and_b32_e32 v24, 7, v24
	v_cmp_gt_u32_e32 vcc, 8, v14
	v_cndmask_b32_e32 v14, v27, v25, vcc
	v_cndmask_b32_e32 v24, v26, v24, vcc
	v_lshlrev_b32_e32 v25, 24, v15
	v_bfrev_b32_e32 v26, 60
	v_lshlrev_b32_e32 v24, 20, v24
	v_and_b32_e32 v25, 0x80000000, v25
	v_lshl_add_u32 v14, v14, 23, v26
	v_or3_b32 v14, v25, v14, v24
	v_lshrrev_b32_e32 v24, 16, v14
.LBB856_427:
	s_or_b64 exec, exec, s[10:11]
.LBB856_428:
	s_or_b64 exec, exec, s[8:9]
.LBB856_429:
	s_or_b64 exec, exec, s[2:3]
	v_lshrrev_b16_e32 v14, 8, v15
	v_cmp_ne_u16_e32 vcc, 0, v14
	s_and_saveexec_b64 s[2:3], vcc
	s_cbranch_execz .LBB856_435
; %bb.430:
	s_movk_i32 s7, 0x80
	v_cmp_ne_u16_e32 vcc, s7, v14
	v_mov_b32_e32 v18, 0xffff8000
	s_and_saveexec_b64 s[8:9], vcc
	s_cbranch_execz .LBB856_434
; %bb.431:
	s_movk_i32 s7, 0x7f
	v_and_b32_e32 v25, 0x7f, v14
	v_cmp_ne_u32_e32 vcc, s7, v25
	v_mov_b32_e32 v18, 0x7f80
	s_and_saveexec_b64 s[10:11], vcc
	s_cbranch_execz .LBB856_433
; %bb.432:
	v_and_b32_e32 v18, 7, v14
	v_ffbh_u32_e32 v26, v18
	v_min_u32_e32 v30, 32, v26
	v_subrev_u32_e32 v26, 28, v30
	v_lshlrev_b64 v[26:27], v26, v[14:15]
	v_lshrrev_b32_e32 v29, 3, v25
	v_sub_u32_e32 v14, 29, v30
	v_and_b32_e32 v26, 7, v26
	v_cmp_gt_u32_e32 vcc, 8, v25
	v_cndmask_b32_e32 v14, v29, v14, vcc
	v_cndmask_b32_e32 v18, v18, v26, vcc
	v_lshlrev_b32_e32 v25, 16, v15
	v_bfrev_b32_e32 v26, 60
	v_lshlrev_b32_e32 v18, 20, v18
	v_and_b32_e32 v25, 0x80000000, v25
	v_lshl_add_u32 v14, v14, 23, v26
	v_or3_b32 v14, v25, v14, v18
	v_lshrrev_b32_e32 v18, 16, v14
.LBB856_433:
	s_or_b64 exec, exec, s[10:11]
.LBB856_434:
	s_or_b64 exec, exec, s[8:9]
.LBB856_435:
	s_or_b64 exec, exec, s[2:3]
	s_movk_i32 s2, 0xff
	v_and_b32_sdwa v27, v15, s2 dst_sel:DWORD dst_unused:UNUSED_PAD src0_sel:WORD_1 src1_sel:DWORD
	v_lshrrev_b32_e32 v14, 16, v15
	v_cmp_ne_u16_e32 vcc, 0, v27
	v_mov_b32_e32 v25, 0
	v_mov_b32_e32 v26, 0
	s_and_saveexec_b64 s[2:3], vcc
	s_cbranch_execz .LBB856_441
; %bb.436:
	s_movk_i32 s7, 0x80
	v_cmp_ne_u16_e32 vcc, s7, v27
	v_mov_b32_e32 v26, 0xffff8000
	s_and_saveexec_b64 s[8:9], vcc
	s_cbranch_execz .LBB856_440
; %bb.437:
	v_bfe_u32 v27, v15, 16, 7
	s_movk_i32 s7, 0x7f
	v_cmp_ne_u32_e32 vcc, s7, v27
	v_mov_b32_e32 v26, 0x7f80
	s_and_saveexec_b64 s[10:11], vcc
	s_cbranch_execz .LBB856_439
; %bb.438:
	v_and_b32_e32 v26, 7, v14
	v_ffbh_u32_e32 v30, v26
	v_min_u32_e32 v32, 32, v30
	v_subrev_u32_e32 v30, 28, v32
	v_lshlrev_b64 v[30:31], v30, v[14:15]
	v_lshrrev_b32_e32 v29, 3, v27
	v_sub_u32_e32 v14, 29, v32
	v_and_b32_e32 v30, 7, v30
	v_cmp_gt_u32_e32 vcc, 8, v27
	v_mov_b32_e32 v27, 24
	v_cndmask_b32_e32 v14, v29, v14, vcc
	v_cndmask_b32_e32 v26, v26, v30, vcc
	v_lshlrev_b32_sdwa v27, v27, v15 dst_sel:DWORD dst_unused:UNUSED_PAD src0_sel:DWORD src1_sel:WORD_1
	v_bfrev_b32_e32 v29, 60
	v_lshlrev_b32_e32 v26, 20, v26
	v_and_b32_e32 v27, 0x80000000, v27
	v_lshl_add_u32 v14, v14, 23, v29
	v_or3_b32 v14, v27, v14, v26
	v_lshrrev_b32_e32 v26, 16, v14
.LBB856_439:
	s_or_b64 exec, exec, s[10:11]
.LBB856_440:
	s_or_b64 exec, exec, s[8:9]
.LBB856_441:
	s_or_b64 exec, exec, s[2:3]
	s_mov_b32 s2, 0xffffff
	v_cmp_lt_u32_e32 vcc, s2, v15
	s_and_saveexec_b64 s[2:3], vcc
	s_cbranch_execz .LBB856_447
; %bb.442:
	v_lshrrev_b32_e32 v14, 24, v15
	s_movk_i32 s7, 0x80
	v_cmp_ne_u32_e32 vcc, s7, v14
	v_mov_b32_e32 v25, 0xffff8000
	s_and_saveexec_b64 s[8:9], vcc
	s_cbranch_execz .LBB856_446
; %bb.443:
	v_bfe_u32 v15, v15, 24, 7
	s_movk_i32 s7, 0x7f
	v_cmp_ne_u32_e32 vcc, s7, v15
	v_mov_b32_e32 v25, 0x7f80
	s_and_saveexec_b64 s[10:11], vcc
	s_cbranch_execz .LBB856_445
; %bb.444:
	v_and_b32_e32 v25, 7, v14
	v_ffbh_u32_e32 v29, v25
	v_min_u32_e32 v29, 32, v29
	v_subrev_u32_e32 v30, 28, v29
	v_lshlrev_b64 v[30:31], v30, v[14:15]
	v_lshrrev_b32_e32 v27, 3, v15
	v_sub_u32_e32 v29, 29, v29
	v_and_b32_e32 v30, 7, v30
	v_cmp_gt_u32_e32 vcc, 8, v15
	v_cndmask_b32_e32 v15, v27, v29, vcc
	v_cndmask_b32_e32 v25, v25, v30, vcc
	v_lshlrev_b32_e32 v14, 24, v14
	v_bfrev_b32_e32 v27, 60
	v_lshlrev_b32_e32 v25, 20, v25
	v_and_b32_e32 v14, 0x80000000, v14
	v_lshl_add_u32 v15, v15, 23, v27
	v_or3_b32 v14, v14, v15, v25
	v_lshrrev_b32_e32 v25, 16, v14
.LBB856_445:
	s_or_b64 exec, exec, s[10:11]
.LBB856_446:
	s_or_b64 exec, exec, s[8:9]
.LBB856_447:
	s_or_b64 exec, exec, s[2:3]
	s_mov_b32 s2, 0x5040100
	v_perm_b32 v15, v22, v23, s2
	v_lshl_or_b32 v22, v1, 9, v19
	v_perm_b32 v14, v20, v21, s2
	ds_read_b128 v[30:33], v22
	v_perm_b32 v19, v25, v26, s2
	v_perm_b32 v18, v18, v24, s2
	s_waitcnt lgkmcnt(0)
	v_mfma_f32_16x16x16bf16_1k v[34:37], v[14:15], v[30:31], 0
	v_mov_b32_e32 v15, 0
	v_cmp_ne_u16_sdwa s[8:9], v16, v15 src0_sel:BYTE_0 src1_sel:DWORD
	v_mov_b32_e32 v23, 0
	v_mfma_f32_16x16x16bf16_1k v[18:21], v[18:19], v[32:33], v[34:37]
	s_and_saveexec_b64 s[2:3], s[8:9]
	s_cbranch_execz .LBB856_453
; %bb.448:
	s_movk_i32 s7, 0x80
	v_cmp_ne_u16_sdwa s[10:11], v16, s7 src0_sel:BYTE_0 src1_sel:DWORD
	v_mov_b32_e32 v23, 0xffff8000
	s_and_saveexec_b64 s[8:9], s[10:11]
	s_cbranch_execz .LBB856_452
; %bb.449:
	s_movk_i32 s7, 0x7f
	v_and_b32_e32 v14, 0x7f, v16
	v_cmp_ne_u32_e32 vcc, s7, v14
	v_mov_b32_e32 v23, 0x7f80
	s_and_saveexec_b64 s[10:11], vcc
	s_cbranch_execz .LBB856_451
; %bb.450:
	v_and_b32_e32 v23, 7, v16
	v_ffbh_u32_e32 v24, v23
	v_min_u32_e32 v27, 32, v24
	v_subrev_u32_e32 v24, 28, v27
	v_lshlrev_b64 v[24:25], v24, v[16:17]
	v_lshrrev_b32_e32 v26, 3, v14
	v_sub_u32_e32 v25, 29, v27
	v_and_b32_e32 v24, 7, v24
	v_cmp_gt_u32_e32 vcc, 8, v14
	v_cndmask_b32_e32 v14, v26, v25, vcc
	v_cndmask_b32_e32 v23, v23, v24, vcc
	v_lshlrev_b32_e32 v24, 24, v16
	v_bfrev_b32_e32 v25, 60
	v_lshlrev_b32_e32 v23, 20, v23
	v_and_b32_e32 v24, 0x80000000, v24
	v_lshl_add_u32 v14, v14, 23, v25
	v_or3_b32 v14, v24, v14, v23
	v_lshrrev_b32_e32 v23, 16, v14
.LBB856_451:
	s_or_b64 exec, exec, s[10:11]
.LBB856_452:
	s_or_b64 exec, exec, s[8:9]
.LBB856_453:
	s_or_b64 exec, exec, s[2:3]
	v_lshrrev_b16_e32 v14, 8, v16
	v_cmp_ne_u16_e32 vcc, 0, v14
	s_and_saveexec_b64 s[2:3], vcc
	s_cbranch_execz .LBB856_459
; %bb.454:
	s_movk_i32 s7, 0x80
	v_cmp_ne_u16_e32 vcc, s7, v14
	v_mov_b32_e32 v15, 0xffff8000
	s_and_saveexec_b64 s[8:9], vcc
	s_cbranch_execz .LBB856_458
; %bb.455:
	s_movk_i32 s7, 0x7f
	v_and_b32_e32 v24, 0x7f, v14
	v_cmp_ne_u32_e32 vcc, s7, v24
	v_mov_b32_e32 v15, 0x7f80
	s_and_saveexec_b64 s[10:11], vcc
	s_cbranch_execz .LBB856_457
; %bb.456:
	v_and_b32_e32 v25, 7, v14
	v_ffbh_u32_e32 v15, v25
	v_min_u32_e32 v27, 32, v15
	v_subrev_u32_e32 v15, 28, v27
	v_lshlrev_b64 v[14:15], v15, v[14:15]
	v_lshrrev_b32_e32 v26, 3, v24
	v_sub_u32_e32 v15, 29, v27
	v_and_b32_e32 v14, 7, v14
	v_cmp_gt_u32_e32 vcc, 8, v24
	v_cndmask_b32_e32 v15, v26, v15, vcc
	v_cndmask_b32_e32 v14, v25, v14, vcc
	v_lshlrev_b32_e32 v24, 16, v16
	v_bfrev_b32_e32 v25, 60
	v_lshlrev_b32_e32 v14, 20, v14
	v_and_b32_e32 v24, 0x80000000, v24
	v_lshl_add_u32 v15, v15, 23, v25
	v_or3_b32 v14, v24, v15, v14
	v_lshrrev_b32_e32 v15, 16, v14
.LBB856_457:
	s_or_b64 exec, exec, s[10:11]
.LBB856_458:
	s_or_b64 exec, exec, s[8:9]
.LBB856_459:
	s_or_b64 exec, exec, s[2:3]
	s_movk_i32 s2, 0xff
	v_and_b32_sdwa v26, v16, s2 dst_sel:DWORD dst_unused:UNUSED_PAD src0_sel:WORD_1 src1_sel:DWORD
	v_lshrrev_b32_e32 v14, 16, v16
	v_cmp_ne_u16_e32 vcc, 0, v26
	v_mov_b32_e32 v24, 0
	v_mov_b32_e32 v25, 0
	s_and_saveexec_b64 s[2:3], vcc
	s_cbranch_execz .LBB856_465
; %bb.460:
	s_movk_i32 s7, 0x80
	v_cmp_ne_u16_e32 vcc, s7, v26
	v_mov_b32_e32 v25, 0xffff8000
	s_and_saveexec_b64 s[8:9], vcc
	s_cbranch_execz .LBB856_464
; %bb.461:
	v_bfe_u32 v26, v16, 16, 7
	s_movk_i32 s7, 0x7f
	v_cmp_ne_u32_e32 vcc, s7, v26
	v_mov_b32_e32 v25, 0x7f80
	s_and_saveexec_b64 s[10:11], vcc
	s_cbranch_execz .LBB856_463
; %bb.462:
	v_and_b32_e32 v25, 7, v14
	v_ffbh_u32_e32 v29, v25
	v_min_u32_e32 v29, 32, v29
	v_subrev_u32_e32 v30, 28, v29
	v_lshlrev_b64 v[30:31], v30, v[14:15]
	v_lshrrev_b32_e32 v27, 3, v26
	v_sub_u32_e32 v14, 29, v29
	v_and_b32_e32 v29, 7, v30
	v_cmp_gt_u32_e32 vcc, 8, v26
	v_mov_b32_e32 v26, 24
	v_cndmask_b32_e32 v14, v27, v14, vcc
	v_cndmask_b32_e32 v25, v25, v29, vcc
	v_lshlrev_b32_sdwa v26, v26, v16 dst_sel:DWORD dst_unused:UNUSED_PAD src0_sel:DWORD src1_sel:WORD_1
	v_bfrev_b32_e32 v27, 60
	v_lshlrev_b32_e32 v25, 20, v25
	v_and_b32_e32 v26, 0x80000000, v26
	v_lshl_add_u32 v14, v14, 23, v27
	v_or3_b32 v14, v26, v14, v25
	v_lshrrev_b32_e32 v25, 16, v14
.LBB856_463:
	s_or_b64 exec, exec, s[10:11]
.LBB856_464:
	s_or_b64 exec, exec, s[8:9]
.LBB856_465:
	s_or_b64 exec, exec, s[2:3]
	s_mov_b32 s2, 0xffffff
	v_cmp_lt_u32_e32 vcc, s2, v16
	s_and_saveexec_b64 s[2:3], vcc
	s_cbranch_execz .LBB856_471
; %bb.466:
	v_lshrrev_b32_e32 v14, 24, v16
	s_movk_i32 s7, 0x80
	v_cmp_ne_u32_e32 vcc, s7, v14
	v_mov_b32_e32 v24, 0xffff8000
	s_and_saveexec_b64 s[8:9], vcc
	s_cbranch_execz .LBB856_470
; %bb.467:
	v_bfe_u32 v16, v16, 24, 7
	s_movk_i32 s7, 0x7f
	v_cmp_ne_u32_e32 vcc, s7, v16
	v_mov_b32_e32 v24, 0x7f80
	s_and_saveexec_b64 s[10:11], vcc
	s_cbranch_execz .LBB856_469
; %bb.468:
	v_and_b32_e32 v24, 7, v14
	v_ffbh_u32_e32 v26, v24
	v_min_u32_e32 v30, 32, v26
	v_subrev_u32_e32 v26, 28, v30
	v_lshlrev_b64 v[26:27], v26, v[14:15]
	v_lshrrev_b32_e32 v29, 3, v16
	v_sub_u32_e32 v27, 29, v30
	v_and_b32_e32 v26, 7, v26
	v_cmp_gt_u32_e32 vcc, 8, v16
	v_cndmask_b32_e32 v16, v29, v27, vcc
	v_cndmask_b32_e32 v24, v24, v26, vcc
	v_lshlrev_b32_e32 v14, 24, v14
	v_bfrev_b32_e32 v26, 60
	v_lshlrev_b32_e32 v24, 20, v24
	v_and_b32_e32 v14, 0x80000000, v14
	v_lshl_add_u32 v16, v16, 23, v26
	v_or3_b32 v14, v14, v16, v24
	v_lshrrev_b32_e32 v24, 16, v14
.LBB856_469:
	s_or_b64 exec, exec, s[10:11]
.LBB856_470:
	s_or_b64 exec, exec, s[8:9]
.LBB856_471:
	s_or_b64 exec, exec, s[2:3]
	v_mov_b32_e32 v16, 0
	v_cmp_ne_u16_sdwa s[8:9], v17, v16 src0_sel:BYTE_0 src1_sel:DWORD
	v_mov_b32_e32 v26, 0
	s_and_saveexec_b64 s[2:3], s[8:9]
	s_cbranch_execz .LBB856_477
; %bb.472:
	s_movk_i32 s7, 0x80
	v_cmp_ne_u16_sdwa s[10:11], v17, s7 src0_sel:BYTE_0 src1_sel:DWORD
	v_mov_b32_e32 v26, 0xffff8000
	s_and_saveexec_b64 s[8:9], s[10:11]
	s_cbranch_execz .LBB856_476
; %bb.473:
	s_movk_i32 s7, 0x7f
	v_and_b32_e32 v14, 0x7f, v17
	v_cmp_ne_u32_e32 vcc, s7, v14
	v_mov_b32_e32 v26, 0x7f80
	s_and_saveexec_b64 s[10:11], vcc
	s_cbranch_execz .LBB856_475
; %bb.474:
	v_and_b32_e32 v29, 7, v17
	v_ffbh_u32_e32 v27, v29
	v_min_u32_e32 v31, 32, v27
	v_mov_b32_e32 v26, v17
	v_subrev_u32_e32 v27, 28, v31
	v_lshlrev_b64 v[26:27], v27, v[26:27]
	v_lshrrev_b32_e32 v30, 3, v14
	v_sub_u32_e32 v27, 29, v31
	v_and_b32_e32 v26, 7, v26
	v_cmp_gt_u32_e32 vcc, 8, v14
	v_cndmask_b32_e32 v14, v30, v27, vcc
	v_cndmask_b32_e32 v26, v29, v26, vcc
	v_lshlrev_b32_e32 v27, 24, v17
	v_bfrev_b32_e32 v29, 60
	v_lshlrev_b32_e32 v26, 20, v26
	v_and_b32_e32 v27, 0x80000000, v27
	v_lshl_add_u32 v14, v14, 23, v29
	v_or3_b32 v14, v27, v14, v26
	v_lshrrev_b32_e32 v26, 16, v14
.LBB856_475:
	s_or_b64 exec, exec, s[10:11]
.LBB856_476:
	s_or_b64 exec, exec, s[8:9]
.LBB856_477:
	s_or_b64 exec, exec, s[2:3]
	v_lshrrev_b16_e32 v14, 8, v17
	v_cmp_ne_u16_e32 vcc, 0, v14
	s_and_saveexec_b64 s[2:3], vcc
	s_cbranch_execz .LBB856_483
; %bb.478:
	s_movk_i32 s7, 0x80
	v_cmp_ne_u16_e32 vcc, s7, v14
	v_mov_b32_e32 v16, 0xffff8000
	s_and_saveexec_b64 s[8:9], vcc
	s_cbranch_execz .LBB856_482
; %bb.479:
	s_movk_i32 s7, 0x7f
	v_and_b32_e32 v27, 0x7f, v14
	v_cmp_ne_u32_e32 vcc, s7, v27
	v_mov_b32_e32 v16, 0x7f80
	s_and_saveexec_b64 s[10:11], vcc
	s_cbranch_execz .LBB856_481
; %bb.480:
	v_and_b32_e32 v16, 7, v14
	v_ffbh_u32_e32 v30, v16
	v_min_u32_e32 v32, 32, v30
	v_subrev_u32_e32 v30, 28, v32
	v_lshlrev_b64 v[30:31], v30, v[14:15]
	v_lshrrev_b32_e32 v29, 3, v27
	v_sub_u32_e32 v14, 29, v32
	v_and_b32_e32 v30, 7, v30
	v_cmp_gt_u32_e32 vcc, 8, v27
	v_cndmask_b32_e32 v14, v29, v14, vcc
	v_cndmask_b32_e32 v16, v16, v30, vcc
	v_lshlrev_b32_e32 v27, 16, v17
	v_bfrev_b32_e32 v29, 60
	v_lshlrev_b32_e32 v16, 20, v16
	v_and_b32_e32 v27, 0x80000000, v27
	v_lshl_add_u32 v14, v14, 23, v29
	v_or3_b32 v14, v27, v14, v16
	v_lshrrev_b32_e32 v16, 16, v14
.LBB856_481:
	s_or_b64 exec, exec, s[10:11]
.LBB856_482:
	s_or_b64 exec, exec, s[8:9]
.LBB856_483:
	s_or_b64 exec, exec, s[2:3]
	s_movk_i32 s2, 0xff
	v_and_b32_sdwa v30, v17, s2 dst_sel:DWORD dst_unused:UNUSED_PAD src0_sel:WORD_1 src1_sel:DWORD
	v_lshrrev_b32_e32 v14, 16, v17
	v_cmp_ne_u16_e32 vcc, 0, v30
	v_mov_b32_e32 v27, 0
	v_mov_b32_e32 v29, 0
	s_and_saveexec_b64 s[2:3], vcc
	s_cbranch_execz .LBB856_489
; %bb.484:
	s_movk_i32 s7, 0x80
	v_cmp_ne_u16_e32 vcc, s7, v30
	v_mov_b32_e32 v29, 0xffff8000
	s_and_saveexec_b64 s[8:9], vcc
	s_cbranch_execz .LBB856_488
; %bb.485:
	v_bfe_u32 v30, v17, 16, 7
	s_movk_i32 s7, 0x7f
	v_cmp_ne_u32_e32 vcc, s7, v30
	v_mov_b32_e32 v29, 0x7f80
	s_and_saveexec_b64 s[10:11], vcc
	s_cbranch_execz .LBB856_487
; %bb.486:
	v_and_b32_e32 v29, 7, v14
	v_ffbh_u32_e32 v32, v29
	v_min_u32_e32 v34, 32, v32
	v_subrev_u32_e32 v32, 28, v34
	v_lshlrev_b64 v[32:33], v32, v[14:15]
	v_lshrrev_b32_e32 v31, 3, v30
	v_sub_u32_e32 v14, 29, v34
	v_and_b32_e32 v32, 7, v32
	v_cmp_gt_u32_e32 vcc, 8, v30
	v_mov_b32_e32 v30, 24
	v_cndmask_b32_e32 v14, v31, v14, vcc
	v_cndmask_b32_e32 v29, v29, v32, vcc
	v_lshlrev_b32_sdwa v30, v30, v17 dst_sel:DWORD dst_unused:UNUSED_PAD src0_sel:DWORD src1_sel:WORD_1
	v_bfrev_b32_e32 v31, 60
	v_lshlrev_b32_e32 v29, 20, v29
	v_and_b32_e32 v30, 0x80000000, v30
	v_lshl_add_u32 v14, v14, 23, v31
	v_or3_b32 v14, v30, v14, v29
	v_lshrrev_b32_e32 v29, 16, v14
.LBB856_487:
	s_or_b64 exec, exec, s[10:11]
.LBB856_488:
	s_or_b64 exec, exec, s[8:9]
.LBB856_489:
	s_or_b64 exec, exec, s[2:3]
	s_mov_b32 s2, 0xffffff
	v_cmp_lt_u32_e32 vcc, s2, v17
	s_and_saveexec_b64 s[2:3], vcc
	s_cbranch_execz .LBB856_495
; %bb.490:
	v_lshrrev_b32_e32 v14, 24, v17
	s_movk_i32 s7, 0x80
	v_cmp_ne_u32_e32 vcc, s7, v14
	v_mov_b32_e32 v27, 0xffff8000
	s_and_saveexec_b64 s[8:9], vcc
	s_cbranch_execz .LBB856_494
; %bb.491:
	v_bfe_u32 v17, v17, 24, 7
	s_movk_i32 s7, 0x7f
	v_cmp_ne_u32_e32 vcc, s7, v17
	v_mov_b32_e32 v27, 0x7f80
	s_and_saveexec_b64 s[10:11], vcc
	s_cbranch_execz .LBB856_493
; %bb.492:
	v_and_b32_e32 v27, 7, v14
	v_ffbh_u32_e32 v30, v27
	v_min_u32_e32 v33, 32, v30
	v_subrev_u32_e32 v30, 28, v33
	v_lshlrev_b64 v[30:31], v30, v[14:15]
	v_lshrrev_b32_e32 v32, 3, v17
	v_sub_u32_e32 v31, 29, v33
	v_and_b32_e32 v30, 7, v30
	v_cmp_gt_u32_e32 vcc, 8, v17
	v_cndmask_b32_e32 v17, v32, v31, vcc
	v_cndmask_b32_e32 v27, v27, v30, vcc
	v_lshlrev_b32_e32 v14, 24, v14
	v_bfrev_b32_e32 v30, 60
	v_lshlrev_b32_e32 v27, 20, v27
	v_and_b32_e32 v14, 0x80000000, v14
	v_lshl_add_u32 v17, v17, 23, v30
	v_or3_b32 v14, v14, v17, v27
	v_lshrrev_b32_e32 v27, 16, v14
.LBB856_493:
	s_or_b64 exec, exec, s[10:11]
.LBB856_494:
	s_or_b64 exec, exec, s[8:9]
.LBB856_495:
	s_or_b64 exec, exec, s[2:3]
	s_mov_b32 s2, 0x5040100
	v_perm_b32 v25, v24, v25, s2
	v_perm_b32 v24, v15, v23, s2
	ds_read_b128 v[30:33], v22 offset:16
	v_perm_b32 v15, v27, v29, s2
	v_perm_b32 v14, v16, v26, s2
	s_waitcnt lgkmcnt(0)
	v_mfma_f32_16x16x16bf16_1k v[34:37], v[24:25], v[30:31], v[18:21]
	s_nop 6
	v_mov_b32_e32 v19, 0
	s_waitcnt vmcnt(2)
	v_cmp_ne_u16_sdwa s[8:9], v10, v19 src0_sel:BYTE_0 src1_sel:DWORD
	v_mfma_f32_16x16x16bf16_1k v[14:17], v[14:15], v[32:33], v[34:37]
	v_mov_b32_e32 v20, 0
	s_and_saveexec_b64 s[2:3], s[8:9]
	s_cbranch_execz .LBB856_501
; %bb.496:
	s_movk_i32 s7, 0x80
	v_cmp_ne_u16_sdwa s[10:11], v10, s7 src0_sel:BYTE_0 src1_sel:DWORD
	v_mov_b32_e32 v20, 0xffff8000
	s_and_saveexec_b64 s[8:9], s[10:11]
	s_cbranch_execz .LBB856_500
; %bb.497:
	s_movk_i32 s7, 0x7f
	v_and_b32_e32 v18, 0x7f, v10
	v_cmp_ne_u32_e32 vcc, s7, v18
	v_mov_b32_e32 v20, 0x7f80
	s_and_saveexec_b64 s[10:11], vcc
	s_cbranch_execz .LBB856_499
; %bb.498:
	v_and_b32_e32 v23, 7, v10
	v_ffbh_u32_e32 v20, v23
	v_min_u32_e32 v25, 32, v20
	v_subrev_u32_e32 v20, 28, v25
	v_lshlrev_b64 v[20:21], v20, v[10:11]
	v_lshrrev_b32_e32 v24, 3, v18
	v_sub_u32_e32 v21, 29, v25
	v_and_b32_e32 v20, 7, v20
	v_cmp_gt_u32_e32 vcc, 8, v18
	v_cndmask_b32_e32 v18, v24, v21, vcc
	v_cndmask_b32_e32 v20, v23, v20, vcc
	v_lshlrev_b32_e32 v21, 24, v10
	v_bfrev_b32_e32 v23, 60
	v_lshlrev_b32_e32 v20, 20, v20
	v_and_b32_e32 v21, 0x80000000, v21
	v_lshl_add_u32 v18, v18, 23, v23
	v_or3_b32 v18, v21, v18, v20
	v_lshrrev_b32_e32 v20, 16, v18
.LBB856_499:
	s_or_b64 exec, exec, s[10:11]
.LBB856_500:
	s_or_b64 exec, exec, s[8:9]
.LBB856_501:
	s_or_b64 exec, exec, s[2:3]
	v_lshrrev_b16_e32 v18, 8, v10
	v_cmp_ne_u16_e32 vcc, 0, v18
	s_and_saveexec_b64 s[2:3], vcc
	s_cbranch_execz .LBB856_507
; %bb.502:
	s_movk_i32 s7, 0x80
	v_cmp_ne_u16_e32 vcc, s7, v18
	v_mov_b32_e32 v19, 0xffff8000
	s_and_saveexec_b64 s[8:9], vcc
	s_cbranch_execz .LBB856_506
; %bb.503:
	s_movk_i32 s7, 0x7f
	v_and_b32_e32 v21, 0x7f, v18
	v_cmp_ne_u32_e32 vcc, s7, v21
	v_mov_b32_e32 v19, 0x7f80
	s_and_saveexec_b64 s[10:11], vcc
	s_cbranch_execz .LBB856_505
; %bb.504:
	v_and_b32_e32 v23, 7, v18
	v_ffbh_u32_e32 v19, v23
	v_min_u32_e32 v25, 32, v19
	v_subrev_u32_e32 v19, 28, v25
	v_lshlrev_b64 v[18:19], v19, v[18:19]
	v_lshrrev_b32_e32 v24, 3, v21
	v_sub_u32_e32 v19, 29, v25
	v_and_b32_e32 v18, 7, v18
	v_cmp_gt_u32_e32 vcc, 8, v21
	v_cndmask_b32_e32 v19, v24, v19, vcc
	v_cndmask_b32_e32 v18, v23, v18, vcc
	v_lshlrev_b32_e32 v21, 16, v10
	v_bfrev_b32_e32 v23, 60
	v_lshlrev_b32_e32 v18, 20, v18
	v_and_b32_e32 v21, 0x80000000, v21
	v_lshl_add_u32 v19, v19, 23, v23
	v_or3_b32 v18, v21, v19, v18
	v_lshrrev_b32_e32 v19, 16, v18
.LBB856_505:
	s_or_b64 exec, exec, s[10:11]
.LBB856_506:
	s_or_b64 exec, exec, s[8:9]
.LBB856_507:
	s_or_b64 exec, exec, s[2:3]
	s_movk_i32 s2, 0xff
	v_and_b32_sdwa v24, v10, s2 dst_sel:DWORD dst_unused:UNUSED_PAD src0_sel:WORD_1 src1_sel:DWORD
	v_lshrrev_b32_e32 v18, 16, v10
	v_cmp_ne_u16_e32 vcc, 0, v24
	v_mov_b32_e32 v21, 0
	v_mov_b32_e32 v23, 0
	s_and_saveexec_b64 s[2:3], vcc
	s_cbranch_execz .LBB856_513
; %bb.508:
	s_movk_i32 s7, 0x80
	v_cmp_ne_u16_e32 vcc, s7, v24
	v_mov_b32_e32 v23, 0xffff8000
	s_and_saveexec_b64 s[8:9], vcc
	s_cbranch_execz .LBB856_512
; %bb.509:
	v_bfe_u32 v24, v10, 16, 7
	s_movk_i32 s7, 0x7f
	v_cmp_ne_u32_e32 vcc, s7, v24
	v_mov_b32_e32 v23, 0x7f80
	s_and_saveexec_b64 s[10:11], vcc
	s_cbranch_execz .LBB856_511
; %bb.510:
	v_and_b32_e32 v23, 7, v18
	v_ffbh_u32_e32 v26, v23
	v_min_u32_e32 v29, 32, v26
	v_subrev_u32_e32 v26, 28, v29
	v_lshlrev_b64 v[26:27], v26, v[18:19]
	v_lshrrev_b32_e32 v25, 3, v24
	v_sub_u32_e32 v18, 29, v29
	v_and_b32_e32 v26, 7, v26
	v_cmp_gt_u32_e32 vcc, 8, v24
	v_mov_b32_e32 v24, 24
	v_cndmask_b32_e32 v18, v25, v18, vcc
	v_cndmask_b32_e32 v23, v23, v26, vcc
	v_lshlrev_b32_sdwa v24, v24, v10 dst_sel:DWORD dst_unused:UNUSED_PAD src0_sel:DWORD src1_sel:WORD_1
	v_bfrev_b32_e32 v25, 60
	v_lshlrev_b32_e32 v23, 20, v23
	v_and_b32_e32 v24, 0x80000000, v24
	v_lshl_add_u32 v18, v18, 23, v25
	v_or3_b32 v18, v24, v18, v23
	v_lshrrev_b32_e32 v23, 16, v18
.LBB856_511:
	s_or_b64 exec, exec, s[10:11]
.LBB856_512:
	s_or_b64 exec, exec, s[8:9]
.LBB856_513:
	s_or_b64 exec, exec, s[2:3]
	s_mov_b32 s2, 0xffffff
	v_cmp_lt_u32_e32 vcc, s2, v10
	s_and_saveexec_b64 s[2:3], vcc
	s_cbranch_execz .LBB856_519
; %bb.514:
	v_lshrrev_b32_e32 v18, 24, v10
	s_movk_i32 s7, 0x80
	v_cmp_ne_u32_e32 vcc, s7, v18
	v_mov_b32_e32 v21, 0xffff8000
	s_and_saveexec_b64 s[8:9], vcc
	s_cbranch_execz .LBB856_518
; %bb.515:
	v_bfe_u32 v10, v10, 24, 7
	s_movk_i32 s7, 0x7f
	v_cmp_ne_u32_e32 vcc, s7, v10
	v_mov_b32_e32 v21, 0x7f80
	s_and_saveexec_b64 s[10:11], vcc
	s_cbranch_execz .LBB856_517
; %bb.516:
	v_and_b32_e32 v21, 7, v18
	v_ffbh_u32_e32 v24, v21
	v_min_u32_e32 v27, 32, v24
	v_subrev_u32_e32 v24, 28, v27
	v_lshlrev_b64 v[24:25], v24, v[18:19]
	v_lshrrev_b32_e32 v26, 3, v10
	v_sub_u32_e32 v25, 29, v27
	v_and_b32_e32 v24, 7, v24
	v_cmp_gt_u32_e32 vcc, 8, v10
	v_cndmask_b32_e32 v10, v26, v25, vcc
	v_cndmask_b32_e32 v21, v21, v24, vcc
	v_lshlrev_b32_e32 v18, 24, v18
	v_bfrev_b32_e32 v24, 60
	v_lshlrev_b32_e32 v21, 20, v21
	v_and_b32_e32 v18, 0x80000000, v18
	v_lshl_add_u32 v10, v10, 23, v24
	v_or3_b32 v10, v18, v10, v21
	v_lshrrev_b32_e32 v21, 16, v10
.LBB856_517:
	s_or_b64 exec, exec, s[10:11]
.LBB856_518:
	s_or_b64 exec, exec, s[8:9]
.LBB856_519:
	s_or_b64 exec, exec, s[2:3]
	v_mov_b32_e32 v18, 0
	v_cmp_ne_u16_sdwa s[8:9], v11, v18 src0_sel:BYTE_0 src1_sel:DWORD
	v_mov_b32_e32 v24, 0
	s_and_saveexec_b64 s[2:3], s[8:9]
	s_cbranch_execz .LBB856_525
; %bb.520:
	s_movk_i32 s7, 0x80
	v_cmp_ne_u16_sdwa s[10:11], v11, s7 src0_sel:BYTE_0 src1_sel:DWORD
	v_mov_b32_e32 v24, 0xffff8000
	s_and_saveexec_b64 s[8:9], s[10:11]
	s_cbranch_execz .LBB856_524
; %bb.521:
	s_movk_i32 s7, 0x7f
	v_and_b32_e32 v10, 0x7f, v11
	v_cmp_ne_u32_e32 vcc, s7, v10
	v_mov_b32_e32 v24, 0x7f80
	s_and_saveexec_b64 s[10:11], vcc
	s_cbranch_execz .LBB856_523
; %bb.522:
	v_and_b32_e32 v26, 7, v11
	v_ffbh_u32_e32 v25, v26
	v_min_u32_e32 v29, 32, v25
	v_mov_b32_e32 v24, v11
	v_subrev_u32_e32 v25, 28, v29
	v_lshlrev_b64 v[24:25], v25, v[24:25]
	v_lshrrev_b32_e32 v27, 3, v10
	v_sub_u32_e32 v25, 29, v29
	v_and_b32_e32 v24, 7, v24
	v_cmp_gt_u32_e32 vcc, 8, v10
	v_cndmask_b32_e32 v10, v27, v25, vcc
	v_cndmask_b32_e32 v24, v26, v24, vcc
	v_lshlrev_b32_e32 v25, 24, v11
	v_bfrev_b32_e32 v26, 60
	v_lshlrev_b32_e32 v24, 20, v24
	v_and_b32_e32 v25, 0x80000000, v25
	v_lshl_add_u32 v10, v10, 23, v26
	v_or3_b32 v10, v25, v10, v24
	v_lshrrev_b32_e32 v24, 16, v10
.LBB856_523:
	s_or_b64 exec, exec, s[10:11]
.LBB856_524:
	s_or_b64 exec, exec, s[8:9]
.LBB856_525:
	s_or_b64 exec, exec, s[2:3]
	v_lshrrev_b16_e32 v10, 8, v11
	v_cmp_ne_u16_e32 vcc, 0, v10
	s_and_saveexec_b64 s[2:3], vcc
	s_cbranch_execz .LBB856_531
; %bb.526:
	s_movk_i32 s7, 0x80
	v_cmp_ne_u16_e32 vcc, s7, v10
	v_mov_b32_e32 v18, 0xffff8000
	s_and_saveexec_b64 s[8:9], vcc
	s_cbranch_execz .LBB856_530
; %bb.527:
	s_movk_i32 s7, 0x7f
	v_and_b32_e32 v25, 0x7f, v10
	v_cmp_ne_u32_e32 vcc, s7, v25
	v_mov_b32_e32 v18, 0x7f80
	s_and_saveexec_b64 s[10:11], vcc
	s_cbranch_execz .LBB856_529
; %bb.528:
	v_and_b32_e32 v18, 7, v10
	v_ffbh_u32_e32 v26, v18
	v_min_u32_e32 v30, 32, v26
	v_subrev_u32_e32 v26, 28, v30
	v_lshlrev_b64 v[26:27], v26, v[10:11]
	v_lshrrev_b32_e32 v29, 3, v25
	v_sub_u32_e32 v10, 29, v30
	v_and_b32_e32 v26, 7, v26
	v_cmp_gt_u32_e32 vcc, 8, v25
	v_cndmask_b32_e32 v10, v29, v10, vcc
	v_cndmask_b32_e32 v18, v18, v26, vcc
	v_lshlrev_b32_e32 v25, 16, v11
	v_bfrev_b32_e32 v26, 60
	v_lshlrev_b32_e32 v18, 20, v18
	v_and_b32_e32 v25, 0x80000000, v25
	v_lshl_add_u32 v10, v10, 23, v26
	v_or3_b32 v10, v25, v10, v18
	v_lshrrev_b32_e32 v18, 16, v10
.LBB856_529:
	s_or_b64 exec, exec, s[10:11]
.LBB856_530:
	s_or_b64 exec, exec, s[8:9]
.LBB856_531:
	s_or_b64 exec, exec, s[2:3]
	s_movk_i32 s2, 0xff
	v_and_b32_sdwa v27, v11, s2 dst_sel:DWORD dst_unused:UNUSED_PAD src0_sel:WORD_1 src1_sel:DWORD
	v_lshrrev_b32_e32 v10, 16, v11
	v_cmp_ne_u16_e32 vcc, 0, v27
	v_mov_b32_e32 v25, 0
	v_mov_b32_e32 v26, 0
	s_and_saveexec_b64 s[2:3], vcc
	s_cbranch_execz .LBB856_537
; %bb.532:
	s_movk_i32 s7, 0x80
	v_cmp_ne_u16_e32 vcc, s7, v27
	v_mov_b32_e32 v26, 0xffff8000
	s_and_saveexec_b64 s[8:9], vcc
	s_cbranch_execz .LBB856_536
; %bb.533:
	v_bfe_u32 v27, v11, 16, 7
	s_movk_i32 s7, 0x7f
	v_cmp_ne_u32_e32 vcc, s7, v27
	v_mov_b32_e32 v26, 0x7f80
	s_and_saveexec_b64 s[10:11], vcc
	s_cbranch_execz .LBB856_535
; %bb.534:
	v_and_b32_e32 v26, 7, v10
	v_ffbh_u32_e32 v30, v26
	v_min_u32_e32 v32, 32, v30
	v_subrev_u32_e32 v30, 28, v32
	v_lshlrev_b64 v[30:31], v30, v[10:11]
	v_lshrrev_b32_e32 v29, 3, v27
	v_sub_u32_e32 v10, 29, v32
	v_and_b32_e32 v30, 7, v30
	v_cmp_gt_u32_e32 vcc, 8, v27
	v_mov_b32_e32 v27, 24
	v_cndmask_b32_e32 v10, v29, v10, vcc
	v_cndmask_b32_e32 v26, v26, v30, vcc
	v_lshlrev_b32_sdwa v27, v27, v11 dst_sel:DWORD dst_unused:UNUSED_PAD src0_sel:DWORD src1_sel:WORD_1
	v_bfrev_b32_e32 v29, 60
	v_lshlrev_b32_e32 v26, 20, v26
	v_and_b32_e32 v27, 0x80000000, v27
	v_lshl_add_u32 v10, v10, 23, v29
	v_or3_b32 v10, v27, v10, v26
	v_lshrrev_b32_e32 v26, 16, v10
.LBB856_535:
	s_or_b64 exec, exec, s[10:11]
.LBB856_536:
	s_or_b64 exec, exec, s[8:9]
.LBB856_537:
	s_or_b64 exec, exec, s[2:3]
	s_mov_b32 s2, 0xffffff
	v_cmp_lt_u32_e32 vcc, s2, v11
	s_and_saveexec_b64 s[2:3], vcc
	s_cbranch_execz .LBB856_543
; %bb.538:
	v_lshrrev_b32_e32 v10, 24, v11
	s_movk_i32 s7, 0x80
	v_cmp_ne_u32_e32 vcc, s7, v10
	v_mov_b32_e32 v25, 0xffff8000
	s_and_saveexec_b64 s[8:9], vcc
	s_cbranch_execz .LBB856_542
; %bb.539:
	v_bfe_u32 v11, v11, 24, 7
	s_movk_i32 s7, 0x7f
	v_cmp_ne_u32_e32 vcc, s7, v11
	v_mov_b32_e32 v25, 0x7f80
	s_and_saveexec_b64 s[10:11], vcc
	s_cbranch_execz .LBB856_541
; %bb.540:
	v_and_b32_e32 v25, 7, v10
	v_ffbh_u32_e32 v29, v25
	v_min_u32_e32 v29, 32, v29
	v_subrev_u32_e32 v30, 28, v29
	v_lshlrev_b64 v[30:31], v30, v[10:11]
	v_lshrrev_b32_e32 v27, 3, v11
	v_sub_u32_e32 v29, 29, v29
	v_and_b32_e32 v30, 7, v30
	v_cmp_gt_u32_e32 vcc, 8, v11
	v_cndmask_b32_e32 v11, v27, v29, vcc
	v_cndmask_b32_e32 v25, v25, v30, vcc
	v_lshlrev_b32_e32 v10, 24, v10
	v_bfrev_b32_e32 v27, 60
	v_lshlrev_b32_e32 v25, 20, v25
	v_and_b32_e32 v10, 0x80000000, v10
	v_lshl_add_u32 v11, v11, 23, v27
	v_or3_b32 v10, v10, v11, v25
	v_lshrrev_b32_e32 v25, 16, v10
.LBB856_541:
	s_or_b64 exec, exec, s[10:11]
.LBB856_542:
	s_or_b64 exec, exec, s[8:9]
.LBB856_543:
	s_or_b64 exec, exec, s[2:3]
	s_mov_b32 s2, 0x5040100
	v_perm_b32 v11, v21, v23, s2
	v_perm_b32 v10, v19, v20, s2
	ds_read_b128 v[30:33], v22 offset:2048
	v_perm_b32 v21, v25, v26, s2
	v_perm_b32 v20, v18, v24, s2
	s_waitcnt lgkmcnt(0)
	v_mfma_f32_16x16x16bf16_1k v[14:17], v[10:11], v[30:31], v[14:17]
	v_mov_b32_e32 v11, 0
	v_cmp_ne_u16_sdwa s[8:9], v12, v11 src0_sel:BYTE_0 src1_sel:DWORD
	v_mov_b32_e32 v18, 0
	v_mfma_f32_16x16x16bf16_1k v[14:17], v[20:21], v[32:33], v[14:17]
	s_and_saveexec_b64 s[2:3], s[8:9]
	s_cbranch_execz .LBB856_549
; %bb.544:
	s_movk_i32 s7, 0x80
	v_cmp_ne_u16_sdwa s[10:11], v12, s7 src0_sel:BYTE_0 src1_sel:DWORD
	v_mov_b32_e32 v18, 0xffff8000
	s_and_saveexec_b64 s[8:9], s[10:11]
	s_cbranch_execz .LBB856_548
; %bb.545:
	s_movk_i32 s7, 0x7f
	v_and_b32_e32 v10, 0x7f, v12
	v_cmp_ne_u32_e32 vcc, s7, v10
	v_mov_b32_e32 v18, 0x7f80
	s_and_saveexec_b64 s[10:11], vcc
	s_cbranch_execz .LBB856_547
; %bb.546:
	v_and_b32_e32 v20, 7, v12
	v_ffbh_u32_e32 v18, v20
	v_min_u32_e32 v23, 32, v18
	v_subrev_u32_e32 v18, 28, v23
	v_lshlrev_b64 v[18:19], v18, v[12:13]
	v_lshrrev_b32_e32 v21, 3, v10
	v_sub_u32_e32 v19, 29, v23
	v_and_b32_e32 v18, 7, v18
	v_cmp_gt_u32_e32 vcc, 8, v10
	v_cndmask_b32_e32 v10, v21, v19, vcc
	v_cndmask_b32_e32 v18, v20, v18, vcc
	v_lshlrev_b32_e32 v19, 24, v12
	v_bfrev_b32_e32 v20, 60
	v_lshlrev_b32_e32 v18, 20, v18
	v_and_b32_e32 v19, 0x80000000, v19
	v_lshl_add_u32 v10, v10, 23, v20
	v_or3_b32 v10, v19, v10, v18
	v_lshrrev_b32_e32 v18, 16, v10
.LBB856_547:
	s_or_b64 exec, exec, s[10:11]
.LBB856_548:
	s_or_b64 exec, exec, s[8:9]
.LBB856_549:
	s_or_b64 exec, exec, s[2:3]
	v_lshrrev_b16_e32 v10, 8, v12
	v_cmp_ne_u16_e32 vcc, 0, v10
	s_and_saveexec_b64 s[2:3], vcc
	s_cbranch_execz .LBB856_555
; %bb.550:
	s_movk_i32 s7, 0x80
	v_cmp_ne_u16_e32 vcc, s7, v10
	v_mov_b32_e32 v11, 0xffff8000
	s_and_saveexec_b64 s[8:9], vcc
	s_cbranch_execz .LBB856_554
; %bb.551:
	s_movk_i32 s7, 0x7f
	v_and_b32_e32 v19, 0x7f, v10
	v_cmp_ne_u32_e32 vcc, s7, v19
	v_mov_b32_e32 v11, 0x7f80
	s_and_saveexec_b64 s[10:11], vcc
	s_cbranch_execz .LBB856_553
; %bb.552:
	v_and_b32_e32 v20, 7, v10
	v_ffbh_u32_e32 v11, v20
	v_min_u32_e32 v23, 32, v11
	v_subrev_u32_e32 v11, 28, v23
	v_lshlrev_b64 v[10:11], v11, v[10:11]
	v_lshrrev_b32_e32 v21, 3, v19
	v_sub_u32_e32 v11, 29, v23
	v_and_b32_e32 v10, 7, v10
	v_cmp_gt_u32_e32 vcc, 8, v19
	v_cndmask_b32_e32 v11, v21, v11, vcc
	v_cndmask_b32_e32 v10, v20, v10, vcc
	v_lshlrev_b32_e32 v19, 16, v12
	v_bfrev_b32_e32 v20, 60
	v_lshlrev_b32_e32 v10, 20, v10
	v_and_b32_e32 v19, 0x80000000, v19
	v_lshl_add_u32 v11, v11, 23, v20
	v_or3_b32 v10, v19, v11, v10
	v_lshrrev_b32_e32 v11, 16, v10
.LBB856_553:
	s_or_b64 exec, exec, s[10:11]
.LBB856_554:
	s_or_b64 exec, exec, s[8:9]
.LBB856_555:
	s_or_b64 exec, exec, s[2:3]
	s_movk_i32 s2, 0xff
	v_and_b32_sdwa v21, v12, s2 dst_sel:DWORD dst_unused:UNUSED_PAD src0_sel:WORD_1 src1_sel:DWORD
	v_lshrrev_b32_e32 v10, 16, v12
	v_cmp_ne_u16_e32 vcc, 0, v21
	v_mov_b32_e32 v19, 0
	v_mov_b32_e32 v20, 0
	s_and_saveexec_b64 s[2:3], vcc
	s_cbranch_execz .LBB856_561
; %bb.556:
	s_movk_i32 s7, 0x80
	v_cmp_ne_u16_e32 vcc, s7, v21
	v_mov_b32_e32 v20, 0xffff8000
	s_and_saveexec_b64 s[8:9], vcc
	s_cbranch_execz .LBB856_560
; %bb.557:
	v_bfe_u32 v21, v12, 16, 7
	s_movk_i32 s7, 0x7f
	v_cmp_ne_u32_e32 vcc, s7, v21
	v_mov_b32_e32 v20, 0x7f80
	s_and_saveexec_b64 s[10:11], vcc
	s_cbranch_execz .LBB856_559
; %bb.558:
	v_and_b32_e32 v20, 7, v10
	v_ffbh_u32_e32 v24, v20
	v_min_u32_e32 v26, 32, v24
	v_subrev_u32_e32 v24, 28, v26
	v_lshlrev_b64 v[24:25], v24, v[10:11]
	v_lshrrev_b32_e32 v23, 3, v21
	v_sub_u32_e32 v10, 29, v26
	v_and_b32_e32 v24, 7, v24
	v_cmp_gt_u32_e32 vcc, 8, v21
	v_mov_b32_e32 v21, 24
	v_cndmask_b32_e32 v10, v23, v10, vcc
	v_cndmask_b32_e32 v20, v20, v24, vcc
	v_lshlrev_b32_sdwa v21, v21, v12 dst_sel:DWORD dst_unused:UNUSED_PAD src0_sel:DWORD src1_sel:WORD_1
	v_bfrev_b32_e32 v23, 60
	v_lshlrev_b32_e32 v20, 20, v20
	v_and_b32_e32 v21, 0x80000000, v21
	v_lshl_add_u32 v10, v10, 23, v23
	v_or3_b32 v10, v21, v10, v20
	v_lshrrev_b32_e32 v20, 16, v10
.LBB856_559:
	s_or_b64 exec, exec, s[10:11]
.LBB856_560:
	s_or_b64 exec, exec, s[8:9]
.LBB856_561:
	s_or_b64 exec, exec, s[2:3]
	s_mov_b32 s2, 0xffffff
	v_cmp_lt_u32_e32 vcc, s2, v12
	s_and_saveexec_b64 s[2:3], vcc
	s_cbranch_execz .LBB856_567
; %bb.562:
	v_lshrrev_b32_e32 v10, 24, v12
	s_movk_i32 s7, 0x80
	v_cmp_ne_u32_e32 vcc, s7, v10
	v_mov_b32_e32 v19, 0xffff8000
	s_and_saveexec_b64 s[8:9], vcc
	s_cbranch_execz .LBB856_566
; %bb.563:
	v_bfe_u32 v12, v12, 24, 7
	s_movk_i32 s7, 0x7f
	v_cmp_ne_u32_e32 vcc, s7, v12
	v_mov_b32_e32 v19, 0x7f80
	s_and_saveexec_b64 s[10:11], vcc
	s_cbranch_execz .LBB856_565
; %bb.564:
	v_and_b32_e32 v19, 7, v10
	v_ffbh_u32_e32 v23, v19
	v_min_u32_e32 v23, 32, v23
	v_subrev_u32_e32 v24, 28, v23
	v_lshlrev_b64 v[24:25], v24, v[10:11]
	v_lshrrev_b32_e32 v21, 3, v12
	v_sub_u32_e32 v23, 29, v23
	v_and_b32_e32 v24, 7, v24
	v_cmp_gt_u32_e32 vcc, 8, v12
	v_cndmask_b32_e32 v12, v21, v23, vcc
	v_cndmask_b32_e32 v19, v19, v24, vcc
	v_lshlrev_b32_e32 v10, 24, v10
	v_bfrev_b32_e32 v21, 60
	v_lshlrev_b32_e32 v19, 20, v19
	v_and_b32_e32 v10, 0x80000000, v10
	v_lshl_add_u32 v12, v12, 23, v21
	v_or3_b32 v10, v10, v12, v19
	v_lshrrev_b32_e32 v19, 16, v10
.LBB856_565:
	s_or_b64 exec, exec, s[10:11]
.LBB856_566:
	s_or_b64 exec, exec, s[8:9]
.LBB856_567:
	s_or_b64 exec, exec, s[2:3]
	v_mov_b32_e32 v12, 0
	v_cmp_ne_u16_sdwa s[8:9], v13, v12 src0_sel:BYTE_0 src1_sel:DWORD
	v_mov_b32_e32 v21, 0
	s_and_saveexec_b64 s[2:3], s[8:9]
	s_cbranch_execz .LBB856_573
; %bb.568:
	s_movk_i32 s7, 0x80
	v_cmp_ne_u16_sdwa s[10:11], v13, s7 src0_sel:BYTE_0 src1_sel:DWORD
	v_mov_b32_e32 v21, 0xffff8000
	s_and_saveexec_b64 s[8:9], s[10:11]
	s_cbranch_execz .LBB856_572
; %bb.569:
	s_movk_i32 s7, 0x7f
	v_and_b32_e32 v10, 0x7f, v13
	v_cmp_ne_u32_e32 vcc, s7, v10
	v_mov_b32_e32 v21, 0x7f80
	s_and_saveexec_b64 s[10:11], vcc
	s_cbranch_execz .LBB856_571
; %bb.570:
	v_and_b32_e32 v21, 7, v13
	v_ffbh_u32_e32 v25, v21
	v_min_u32_e32 v26, 32, v25
	v_mov_b32_e32 v24, v13
	v_subrev_u32_e32 v25, 28, v26
	v_lshlrev_b64 v[24:25], v25, v[24:25]
	v_lshrrev_b32_e32 v23, 3, v10
	v_sub_u32_e32 v25, 29, v26
	v_and_b32_e32 v24, 7, v24
	v_cmp_gt_u32_e32 vcc, 8, v10
	v_cndmask_b32_e32 v10, v23, v25, vcc
	v_cndmask_b32_e32 v21, v21, v24, vcc
	v_lshlrev_b32_e32 v23, 24, v13
	v_bfrev_b32_e32 v24, 60
	v_lshlrev_b32_e32 v21, 20, v21
	v_and_b32_e32 v23, 0x80000000, v23
	v_lshl_add_u32 v10, v10, 23, v24
	v_or3_b32 v10, v23, v10, v21
	v_lshrrev_b32_e32 v21, 16, v10
.LBB856_571:
	s_or_b64 exec, exec, s[10:11]
.LBB856_572:
	s_or_b64 exec, exec, s[8:9]
.LBB856_573:
	s_or_b64 exec, exec, s[2:3]
	v_lshrrev_b16_e32 v10, 8, v13
	v_cmp_ne_u16_e32 vcc, 0, v10
	s_and_saveexec_b64 s[2:3], vcc
	s_cbranch_execz .LBB856_579
; %bb.574:
	s_movk_i32 s7, 0x80
	v_cmp_ne_u16_e32 vcc, s7, v10
	v_mov_b32_e32 v12, 0xffff8000
	s_and_saveexec_b64 s[8:9], vcc
	s_cbranch_execz .LBB856_578
; %bb.575:
	s_movk_i32 s7, 0x7f
	v_and_b32_e32 v23, 0x7f, v10
	v_cmp_ne_u32_e32 vcc, s7, v23
	v_mov_b32_e32 v12, 0x7f80
	s_and_saveexec_b64 s[10:11], vcc
	s_cbranch_execz .LBB856_577
; %bb.576:
	v_and_b32_e32 v12, 7, v10
	v_ffbh_u32_e32 v24, v12
	v_min_u32_e32 v27, 32, v24
	v_subrev_u32_e32 v24, 28, v27
	v_lshlrev_b64 v[24:25], v24, v[10:11]
	v_lshrrev_b32_e32 v26, 3, v23
	v_sub_u32_e32 v10, 29, v27
	v_and_b32_e32 v24, 7, v24
	v_cmp_gt_u32_e32 vcc, 8, v23
	v_cndmask_b32_e32 v10, v26, v10, vcc
	v_cndmask_b32_e32 v12, v12, v24, vcc
	v_lshlrev_b32_e32 v23, 16, v13
	v_bfrev_b32_e32 v24, 60
	v_lshlrev_b32_e32 v12, 20, v12
	v_and_b32_e32 v23, 0x80000000, v23
	v_lshl_add_u32 v10, v10, 23, v24
	v_or3_b32 v10, v23, v10, v12
	v_lshrrev_b32_e32 v12, 16, v10
.LBB856_577:
	s_or_b64 exec, exec, s[10:11]
.LBB856_578:
	s_or_b64 exec, exec, s[8:9]
.LBB856_579:
	s_or_b64 exec, exec, s[2:3]
	s_movk_i32 s2, 0xff
	v_and_b32_sdwa v25, v13, s2 dst_sel:DWORD dst_unused:UNUSED_PAD src0_sel:WORD_1 src1_sel:DWORD
	v_lshrrev_b32_e32 v10, 16, v13
	v_cmp_ne_u16_e32 vcc, 0, v25
	v_mov_b32_e32 v23, 0
	v_mov_b32_e32 v24, 0
	s_and_saveexec_b64 s[2:3], vcc
	s_cbranch_execz .LBB856_585
; %bb.580:
	s_movk_i32 s7, 0x80
	v_cmp_ne_u16_e32 vcc, s7, v25
	v_mov_b32_e32 v24, 0xffff8000
	s_and_saveexec_b64 s[8:9], vcc
	s_cbranch_execz .LBB856_584
; %bb.581:
	v_bfe_u32 v25, v13, 16, 7
	s_movk_i32 s7, 0x7f
	v_cmp_ne_u32_e32 vcc, s7, v25
	v_mov_b32_e32 v24, 0x7f80
	s_and_saveexec_b64 s[10:11], vcc
	s_cbranch_execz .LBB856_583
; %bb.582:
	v_and_b32_e32 v24, 7, v10
	v_ffbh_u32_e32 v26, v24
	v_min_u32_e32 v30, 32, v26
	v_subrev_u32_e32 v26, 28, v30
	v_lshlrev_b64 v[26:27], v26, v[10:11]
	v_lshrrev_b32_e32 v29, 3, v25
	v_sub_u32_e32 v10, 29, v30
	v_and_b32_e32 v26, 7, v26
	v_cmp_gt_u32_e32 vcc, 8, v25
	v_mov_b32_e32 v25, 24
	v_cndmask_b32_e32 v10, v29, v10, vcc
	v_cndmask_b32_e32 v24, v24, v26, vcc
	v_lshlrev_b32_sdwa v25, v25, v13 dst_sel:DWORD dst_unused:UNUSED_PAD src0_sel:DWORD src1_sel:WORD_1
	v_bfrev_b32_e32 v26, 60
	v_lshlrev_b32_e32 v24, 20, v24
	v_and_b32_e32 v25, 0x80000000, v25
	v_lshl_add_u32 v10, v10, 23, v26
	v_or3_b32 v10, v25, v10, v24
	v_lshrrev_b32_e32 v24, 16, v10
.LBB856_583:
	s_or_b64 exec, exec, s[10:11]
.LBB856_584:
	s_or_b64 exec, exec, s[8:9]
.LBB856_585:
	s_or_b64 exec, exec, s[2:3]
	s_mov_b32 s2, 0xffffff
	v_cmp_lt_u32_e32 vcc, s2, v13
	s_and_saveexec_b64 s[2:3], vcc
	s_cbranch_execz .LBB856_591
; %bb.586:
	v_lshrrev_b32_e32 v10, 24, v13
	s_movk_i32 s7, 0x80
	v_cmp_ne_u32_e32 vcc, s7, v10
	v_mov_b32_e32 v23, 0xffff8000
	s_and_saveexec_b64 s[8:9], vcc
	s_cbranch_execz .LBB856_590
; %bb.587:
	v_bfe_u32 v13, v13, 24, 7
	s_movk_i32 s7, 0x7f
	v_cmp_ne_u32_e32 vcc, s7, v13
	v_mov_b32_e32 v23, 0x7f80
	s_and_saveexec_b64 s[10:11], vcc
	s_cbranch_execz .LBB856_589
; %bb.588:
	v_and_b32_e32 v23, 7, v10
	v_ffbh_u32_e32 v26, v23
	v_min_u32_e32 v29, 32, v26
	v_subrev_u32_e32 v26, 28, v29
	v_lshlrev_b64 v[26:27], v26, v[10:11]
	v_lshrrev_b32_e32 v25, 3, v13
	v_sub_u32_e32 v27, 29, v29
	v_and_b32_e32 v26, 7, v26
	v_cmp_gt_u32_e32 vcc, 8, v13
	v_cndmask_b32_e32 v13, v25, v27, vcc
	v_cndmask_b32_e32 v23, v23, v26, vcc
	v_lshlrev_b32_e32 v10, 24, v10
	v_bfrev_b32_e32 v25, 60
	v_lshlrev_b32_e32 v23, 20, v23
	v_and_b32_e32 v10, 0x80000000, v10
	v_lshl_add_u32 v13, v13, 23, v25
	v_or3_b32 v10, v10, v13, v23
	v_lshrrev_b32_e32 v23, 16, v10
.LBB856_589:
	s_or_b64 exec, exec, s[10:11]
.LBB856_590:
	s_or_b64 exec, exec, s[8:9]
.LBB856_591:
	s_or_b64 exec, exec, s[2:3]
	s_mov_b32 s2, 0x5040100
	v_perm_b32 v19, v19, v20, s2
	v_perm_b32 v18, v11, v18, s2
	ds_read_b128 v[30:33], v22 offset:2064
	v_perm_b32 v11, v23, v24, s2
	v_perm_b32 v10, v12, v21, s2
	s_waitcnt lgkmcnt(0)
	v_mfma_f32_16x16x16bf16_1k v[34:37], v[18:19], v[30:31], v[14:17]
	s_nop 6
	v_mov_b32_e32 v15, 0
	s_waitcnt vmcnt(1)
	v_cmp_ne_u16_sdwa s[8:9], v6, v15 src0_sel:BYTE_0 src1_sel:DWORD
	v_mfma_f32_16x16x16bf16_1k v[10:13], v[10:11], v[32:33], v[34:37]
	v_mov_b32_e32 v16, 0
	s_and_saveexec_b64 s[2:3], s[8:9]
	s_cbranch_execz .LBB856_597
; %bb.592:
	s_movk_i32 s7, 0x80
	v_cmp_ne_u16_sdwa s[10:11], v6, s7 src0_sel:BYTE_0 src1_sel:DWORD
	v_mov_b32_e32 v16, 0xffff8000
	s_and_saveexec_b64 s[8:9], s[10:11]
	s_cbranch_execz .LBB856_596
; %bb.593:
	s_movk_i32 s7, 0x7f
	v_and_b32_e32 v14, 0x7f, v6
	v_cmp_ne_u32_e32 vcc, s7, v14
	v_mov_b32_e32 v16, 0x7f80
	s_and_saveexec_b64 s[10:11], vcc
	s_cbranch_execz .LBB856_595
; %bb.594:
	v_and_b32_e32 v18, 7, v6
	v_ffbh_u32_e32 v16, v18
	v_min_u32_e32 v20, 32, v16
	v_subrev_u32_e32 v16, 28, v20
	v_lshlrev_b64 v[16:17], v16, v[6:7]
	v_lshrrev_b32_e32 v19, 3, v14
	v_sub_u32_e32 v17, 29, v20
	v_and_b32_e32 v16, 7, v16
	v_cmp_gt_u32_e32 vcc, 8, v14
	v_cndmask_b32_e32 v14, v19, v17, vcc
	v_cndmask_b32_e32 v16, v18, v16, vcc
	v_lshlrev_b32_e32 v17, 24, v6
	v_bfrev_b32_e32 v18, 60
	v_lshlrev_b32_e32 v16, 20, v16
	v_and_b32_e32 v17, 0x80000000, v17
	v_lshl_add_u32 v14, v14, 23, v18
	v_or3_b32 v14, v17, v14, v16
	v_lshrrev_b32_e32 v16, 16, v14
.LBB856_595:
	s_or_b64 exec, exec, s[10:11]
.LBB856_596:
	s_or_b64 exec, exec, s[8:9]
.LBB856_597:
	s_or_b64 exec, exec, s[2:3]
	v_lshrrev_b16_e32 v14, 8, v6
	v_cmp_ne_u16_e32 vcc, 0, v14
	s_and_saveexec_b64 s[2:3], vcc
	s_cbranch_execz .LBB856_603
; %bb.598:
	s_movk_i32 s7, 0x80
	v_cmp_ne_u16_e32 vcc, s7, v14
	v_mov_b32_e32 v15, 0xffff8000
	s_and_saveexec_b64 s[8:9], vcc
	s_cbranch_execz .LBB856_602
; %bb.599:
	s_movk_i32 s7, 0x7f
	v_and_b32_e32 v17, 0x7f, v14
	v_cmp_ne_u32_e32 vcc, s7, v17
	v_mov_b32_e32 v15, 0x7f80
	s_and_saveexec_b64 s[10:11], vcc
	s_cbranch_execz .LBB856_601
; %bb.600:
	v_and_b32_e32 v18, 7, v14
	v_ffbh_u32_e32 v15, v18
	v_min_u32_e32 v20, 32, v15
	v_subrev_u32_e32 v15, 28, v20
	v_lshlrev_b64 v[14:15], v15, v[14:15]
	v_lshrrev_b32_e32 v19, 3, v17
	v_sub_u32_e32 v15, 29, v20
	v_and_b32_e32 v14, 7, v14
	v_cmp_gt_u32_e32 vcc, 8, v17
	v_cndmask_b32_e32 v15, v19, v15, vcc
	v_cndmask_b32_e32 v14, v18, v14, vcc
	v_lshlrev_b32_e32 v17, 16, v6
	v_bfrev_b32_e32 v18, 60
	v_lshlrev_b32_e32 v14, 20, v14
	v_and_b32_e32 v17, 0x80000000, v17
	v_lshl_add_u32 v15, v15, 23, v18
	v_or3_b32 v14, v17, v15, v14
	v_lshrrev_b32_e32 v15, 16, v14
.LBB856_601:
	s_or_b64 exec, exec, s[10:11]
.LBB856_602:
	s_or_b64 exec, exec, s[8:9]
.LBB856_603:
	s_or_b64 exec, exec, s[2:3]
	s_movk_i32 s2, 0xff
	v_and_b32_sdwa v19, v6, s2 dst_sel:DWORD dst_unused:UNUSED_PAD src0_sel:WORD_1 src1_sel:DWORD
	v_lshrrev_b32_e32 v14, 16, v6
	v_cmp_ne_u16_e32 vcc, 0, v19
	v_mov_b32_e32 v17, 0
	v_mov_b32_e32 v18, 0
	s_and_saveexec_b64 s[2:3], vcc
	s_cbranch_execz .LBB856_609
; %bb.604:
	s_movk_i32 s7, 0x80
	v_cmp_ne_u16_e32 vcc, s7, v19
	v_mov_b32_e32 v18, 0xffff8000
	s_and_saveexec_b64 s[8:9], vcc
	s_cbranch_execz .LBB856_608
; %bb.605:
	v_bfe_u32 v19, v6, 16, 7
	s_movk_i32 s7, 0x7f
	v_cmp_ne_u32_e32 vcc, s7, v19
	v_mov_b32_e32 v18, 0x7f80
	s_and_saveexec_b64 s[10:11], vcc
	s_cbranch_execz .LBB856_607
; %bb.606:
	v_and_b32_e32 v18, 7, v14
	v_ffbh_u32_e32 v20, v18
	v_min_u32_e32 v24, 32, v20
	v_subrev_u32_e32 v20, 28, v24
	v_lshlrev_b64 v[20:21], v20, v[14:15]
	v_lshrrev_b32_e32 v23, 3, v19
	v_sub_u32_e32 v14, 29, v24
	v_and_b32_e32 v20, 7, v20
	v_cmp_gt_u32_e32 vcc, 8, v19
	v_mov_b32_e32 v19, 24
	v_cndmask_b32_e32 v14, v23, v14, vcc
	v_cndmask_b32_e32 v18, v18, v20, vcc
	v_lshlrev_b32_sdwa v19, v19, v6 dst_sel:DWORD dst_unused:UNUSED_PAD src0_sel:DWORD src1_sel:WORD_1
	v_bfrev_b32_e32 v20, 60
	v_lshlrev_b32_e32 v18, 20, v18
	v_and_b32_e32 v19, 0x80000000, v19
	v_lshl_add_u32 v14, v14, 23, v20
	v_or3_b32 v14, v19, v14, v18
	v_lshrrev_b32_e32 v18, 16, v14
.LBB856_607:
	s_or_b64 exec, exec, s[10:11]
.LBB856_608:
	s_or_b64 exec, exec, s[8:9]
.LBB856_609:
	s_or_b64 exec, exec, s[2:3]
	s_mov_b32 s2, 0xffffff
	v_cmp_lt_u32_e32 vcc, s2, v6
	s_and_saveexec_b64 s[2:3], vcc
	s_cbranch_execz .LBB856_615
; %bb.610:
	v_lshrrev_b32_e32 v14, 24, v6
	s_movk_i32 s7, 0x80
	v_cmp_ne_u32_e32 vcc, s7, v14
	v_mov_b32_e32 v17, 0xffff8000
	s_and_saveexec_b64 s[8:9], vcc
	s_cbranch_execz .LBB856_614
; %bb.611:
	v_bfe_u32 v6, v6, 24, 7
	s_movk_i32 s7, 0x7f
	v_cmp_ne_u32_e32 vcc, s7, v6
	v_mov_b32_e32 v17, 0x7f80
	s_and_saveexec_b64 s[10:11], vcc
	s_cbranch_execz .LBB856_613
; %bb.612:
	v_and_b32_e32 v17, 7, v14
	v_ffbh_u32_e32 v20, v17
	v_min_u32_e32 v23, 32, v20
	v_subrev_u32_e32 v20, 28, v23
	v_lshlrev_b64 v[20:21], v20, v[14:15]
	v_lshrrev_b32_e32 v19, 3, v6
	v_sub_u32_e32 v21, 29, v23
	v_and_b32_e32 v20, 7, v20
	v_cmp_gt_u32_e32 vcc, 8, v6
	v_cndmask_b32_e32 v6, v19, v21, vcc
	v_cndmask_b32_e32 v17, v17, v20, vcc
	v_lshlrev_b32_e32 v14, 24, v14
	v_bfrev_b32_e32 v19, 60
	v_lshlrev_b32_e32 v17, 20, v17
	v_and_b32_e32 v14, 0x80000000, v14
	v_lshl_add_u32 v6, v6, 23, v19
	v_or3_b32 v6, v14, v6, v17
	v_lshrrev_b32_e32 v17, 16, v6
.LBB856_613:
	s_or_b64 exec, exec, s[10:11]
.LBB856_614:
	s_or_b64 exec, exec, s[8:9]
.LBB856_615:
	s_or_b64 exec, exec, s[2:3]
	v_mov_b32_e32 v14, 0
	v_cmp_ne_u16_sdwa s[8:9], v7, v14 src0_sel:BYTE_0 src1_sel:DWORD
	v_mov_b32_e32 v19, 0
	s_and_saveexec_b64 s[2:3], s[8:9]
	s_cbranch_execz .LBB856_621
; %bb.616:
	s_movk_i32 s7, 0x80
	v_cmp_ne_u16_sdwa s[10:11], v7, s7 src0_sel:BYTE_0 src1_sel:DWORD
	v_mov_b32_e32 v19, 0xffff8000
	s_and_saveexec_b64 s[8:9], s[10:11]
	s_cbranch_execz .LBB856_620
; %bb.617:
	s_movk_i32 s7, 0x7f
	v_and_b32_e32 v6, 0x7f, v7
	v_cmp_ne_u32_e32 vcc, s7, v6
	v_mov_b32_e32 v19, 0x7f80
	s_and_saveexec_b64 s[10:11], vcc
	s_cbranch_execz .LBB856_619
; %bb.618:
	v_and_b32_e32 v19, 7, v7
	v_ffbh_u32_e32 v21, v19
	v_min_u32_e32 v24, 32, v21
	v_mov_b32_e32 v20, v7
	v_subrev_u32_e32 v21, 28, v24
	v_lshlrev_b64 v[20:21], v21, v[20:21]
	v_lshrrev_b32_e32 v23, 3, v6
	v_sub_u32_e32 v21, 29, v24
	v_and_b32_e32 v20, 7, v20
	v_cmp_gt_u32_e32 vcc, 8, v6
	v_cndmask_b32_e32 v6, v23, v21, vcc
	v_cndmask_b32_e32 v19, v19, v20, vcc
	v_lshlrev_b32_e32 v20, 24, v7
	v_bfrev_b32_e32 v21, 60
	v_lshlrev_b32_e32 v19, 20, v19
	v_and_b32_e32 v20, 0x80000000, v20
	v_lshl_add_u32 v6, v6, 23, v21
	v_or3_b32 v6, v20, v6, v19
	v_lshrrev_b32_e32 v19, 16, v6
.LBB856_619:
	s_or_b64 exec, exec, s[10:11]
.LBB856_620:
	s_or_b64 exec, exec, s[8:9]
.LBB856_621:
	s_or_b64 exec, exec, s[2:3]
	v_lshrrev_b16_e32 v6, 8, v7
	v_cmp_ne_u16_e32 vcc, 0, v6
	s_and_saveexec_b64 s[2:3], vcc
	s_cbranch_execz .LBB856_627
; %bb.622:
	s_movk_i32 s7, 0x80
	v_cmp_ne_u16_e32 vcc, s7, v6
	v_mov_b32_e32 v14, 0xffff8000
	s_and_saveexec_b64 s[8:9], vcc
	s_cbranch_execz .LBB856_626
; %bb.623:
	s_movk_i32 s7, 0x7f
	v_and_b32_e32 v20, 0x7f, v6
	v_cmp_ne_u32_e32 vcc, s7, v20
	v_mov_b32_e32 v14, 0x7f80
	s_and_saveexec_b64 s[10:11], vcc
	s_cbranch_execz .LBB856_625
; %bb.624:
	v_and_b32_e32 v14, 7, v6
	v_ffbh_u32_e32 v23, v14
	v_min_u32_e32 v23, 32, v23
	v_subrev_u32_e32 v24, 28, v23
	v_lshlrev_b64 v[24:25], v24, v[6:7]
	v_lshrrev_b32_e32 v21, 3, v20
	v_sub_u32_e32 v6, 29, v23
	v_and_b32_e32 v23, 7, v24
	v_cmp_gt_u32_e32 vcc, 8, v20
	v_cndmask_b32_e32 v6, v21, v6, vcc
	v_cndmask_b32_e32 v14, v14, v23, vcc
	v_lshlrev_b32_e32 v20, 16, v7
	v_bfrev_b32_e32 v21, 60
	v_lshlrev_b32_e32 v14, 20, v14
	v_and_b32_e32 v20, 0x80000000, v20
	v_lshl_add_u32 v6, v6, 23, v21
	v_or3_b32 v6, v20, v6, v14
	v_lshrrev_b32_e32 v14, 16, v6
.LBB856_625:
	s_or_b64 exec, exec, s[10:11]
.LBB856_626:
	s_or_b64 exec, exec, s[8:9]
.LBB856_627:
	s_or_b64 exec, exec, s[2:3]
	s_movk_i32 s2, 0xff
	v_and_b32_sdwa v23, v7, s2 dst_sel:DWORD dst_unused:UNUSED_PAD src0_sel:WORD_1 src1_sel:DWORD
	v_lshrrev_b32_e32 v6, 16, v7
	v_cmp_ne_u16_e32 vcc, 0, v23
	v_mov_b32_e32 v20, 0
	v_mov_b32_e32 v21, 0
	s_and_saveexec_b64 s[2:3], vcc
	s_cbranch_execz .LBB856_633
; %bb.628:
	s_movk_i32 s7, 0x80
	v_cmp_ne_u16_e32 vcc, s7, v23
	v_mov_b32_e32 v21, 0xffff8000
	s_and_saveexec_b64 s[8:9], vcc
	s_cbranch_execz .LBB856_632
; %bb.629:
	v_bfe_u32 v23, v7, 16, 7
	s_movk_i32 s7, 0x7f
	v_cmp_ne_u32_e32 vcc, s7, v23
	v_mov_b32_e32 v21, 0x7f80
	s_and_saveexec_b64 s[10:11], vcc
	s_cbranch_execz .LBB856_631
; %bb.630:
	v_and_b32_e32 v21, 7, v6
	v_ffbh_u32_e32 v24, v21
	v_min_u32_e32 v27, 32, v24
	v_subrev_u32_e32 v24, 28, v27
	v_lshlrev_b64 v[24:25], v24, v[6:7]
	v_lshrrev_b32_e32 v26, 3, v23
	v_sub_u32_e32 v6, 29, v27
	v_and_b32_e32 v24, 7, v24
	v_cmp_gt_u32_e32 vcc, 8, v23
	v_mov_b32_e32 v23, 24
	v_cndmask_b32_e32 v6, v26, v6, vcc
	v_cndmask_b32_e32 v21, v21, v24, vcc
	v_lshlrev_b32_sdwa v23, v23, v7 dst_sel:DWORD dst_unused:UNUSED_PAD src0_sel:DWORD src1_sel:WORD_1
	v_bfrev_b32_e32 v24, 60
	v_lshlrev_b32_e32 v21, 20, v21
	v_and_b32_e32 v23, 0x80000000, v23
	v_lshl_add_u32 v6, v6, 23, v24
	v_or3_b32 v6, v23, v6, v21
	v_lshrrev_b32_e32 v21, 16, v6
.LBB856_631:
	s_or_b64 exec, exec, s[10:11]
.LBB856_632:
	s_or_b64 exec, exec, s[8:9]
.LBB856_633:
	s_or_b64 exec, exec, s[2:3]
	s_mov_b32 s2, 0xffffff
	v_cmp_lt_u32_e32 vcc, s2, v7
	s_and_saveexec_b64 s[2:3], vcc
	s_cbranch_execz .LBB856_639
; %bb.634:
	v_lshrrev_b32_e32 v6, 24, v7
	s_movk_i32 s7, 0x80
	v_cmp_ne_u32_e32 vcc, s7, v6
	v_mov_b32_e32 v20, 0xffff8000
	s_and_saveexec_b64 s[8:9], vcc
	s_cbranch_execz .LBB856_638
; %bb.635:
	v_bfe_u32 v7, v7, 24, 7
	s_movk_i32 s7, 0x7f
	v_cmp_ne_u32_e32 vcc, s7, v7
	v_mov_b32_e32 v20, 0x7f80
	s_and_saveexec_b64 s[10:11], vcc
	s_cbranch_execz .LBB856_637
; %bb.636:
	v_and_b32_e32 v20, 7, v6
	v_ffbh_u32_e32 v24, v20
	v_min_u32_e32 v26, 32, v24
	v_subrev_u32_e32 v24, 28, v26
	v_lshlrev_b64 v[24:25], v24, v[6:7]
	v_lshrrev_b32_e32 v23, 3, v7
	v_sub_u32_e32 v25, 29, v26
	v_and_b32_e32 v24, 7, v24
	v_cmp_gt_u32_e32 vcc, 8, v7
	v_cndmask_b32_e32 v7, v23, v25, vcc
	v_cndmask_b32_e32 v20, v20, v24, vcc
	v_lshlrev_b32_e32 v6, 24, v6
	v_bfrev_b32_e32 v23, 60
	v_lshlrev_b32_e32 v20, 20, v20
	v_and_b32_e32 v6, 0x80000000, v6
	v_lshl_add_u32 v7, v7, 23, v23
	v_or3_b32 v6, v6, v7, v20
	v_lshrrev_b32_e32 v20, 16, v6
.LBB856_637:
	s_or_b64 exec, exec, s[10:11]
.LBB856_638:
	s_or_b64 exec, exec, s[8:9]
.LBB856_639:
	s_or_b64 exec, exec, s[2:3]
	s_mov_b32 s2, 0x5040100
	v_perm_b32 v7, v17, v18, s2
	v_perm_b32 v6, v15, v16, s2
	ds_read_b128 v[24:27], v22 offset:4096
	v_perm_b32 v17, v20, v21, s2
	v_perm_b32 v16, v14, v19, s2
	s_waitcnt lgkmcnt(0)
	v_mfma_f32_16x16x16bf16_1k v[10:13], v[6:7], v[24:25], v[10:13]
	v_mov_b32_e32 v7, 0
	v_cmp_ne_u16_sdwa s[8:9], v8, v7 src0_sel:BYTE_0 src1_sel:DWORD
	v_mov_b32_e32 v14, 0
	v_mfma_f32_16x16x16bf16_1k v[10:13], v[16:17], v[26:27], v[10:13]
	s_and_saveexec_b64 s[2:3], s[8:9]
	s_cbranch_execz .LBB856_645
; %bb.640:
	s_movk_i32 s7, 0x80
	v_cmp_ne_u16_sdwa s[10:11], v8, s7 src0_sel:BYTE_0 src1_sel:DWORD
	v_mov_b32_e32 v14, 0xffff8000
	s_and_saveexec_b64 s[8:9], s[10:11]
	s_cbranch_execz .LBB856_644
; %bb.641:
	s_movk_i32 s7, 0x7f
	v_and_b32_e32 v6, 0x7f, v8
	v_cmp_ne_u32_e32 vcc, s7, v6
	v_mov_b32_e32 v14, 0x7f80
	s_and_saveexec_b64 s[10:11], vcc
	s_cbranch_execz .LBB856_643
; %bb.642:
	v_and_b32_e32 v16, 7, v8
	v_ffbh_u32_e32 v14, v16
	v_min_u32_e32 v18, 32, v14
	v_subrev_u32_e32 v14, 28, v18
	v_lshlrev_b64 v[14:15], v14, v[8:9]
	v_lshrrev_b32_e32 v17, 3, v6
	v_sub_u32_e32 v15, 29, v18
	v_and_b32_e32 v14, 7, v14
	v_cmp_gt_u32_e32 vcc, 8, v6
	v_cndmask_b32_e32 v6, v17, v15, vcc
	v_cndmask_b32_e32 v14, v16, v14, vcc
	v_lshlrev_b32_e32 v15, 24, v8
	v_bfrev_b32_e32 v16, 60
	v_lshlrev_b32_e32 v14, 20, v14
	v_and_b32_e32 v15, 0x80000000, v15
	v_lshl_add_u32 v6, v6, 23, v16
	v_or3_b32 v6, v15, v6, v14
	v_lshrrev_b32_e32 v14, 16, v6
.LBB856_643:
	s_or_b64 exec, exec, s[10:11]
.LBB856_644:
	s_or_b64 exec, exec, s[8:9]
.LBB856_645:
	s_or_b64 exec, exec, s[2:3]
	v_lshrrev_b16_e32 v6, 8, v8
	v_cmp_ne_u16_e32 vcc, 0, v6
	s_and_saveexec_b64 s[2:3], vcc
	s_cbranch_execz .LBB856_651
; %bb.646:
	s_movk_i32 s7, 0x80
	v_cmp_ne_u16_e32 vcc, s7, v6
	v_mov_b32_e32 v7, 0xffff8000
	s_and_saveexec_b64 s[8:9], vcc
	s_cbranch_execz .LBB856_650
; %bb.647:
	s_movk_i32 s7, 0x7f
	v_and_b32_e32 v15, 0x7f, v6
	v_cmp_ne_u32_e32 vcc, s7, v15
	v_mov_b32_e32 v7, 0x7f80
	s_and_saveexec_b64 s[10:11], vcc
	s_cbranch_execz .LBB856_649
; %bb.648:
	v_and_b32_e32 v16, 7, v6
	v_ffbh_u32_e32 v7, v16
	v_min_u32_e32 v18, 32, v7
	v_subrev_u32_e32 v7, 28, v18
	v_lshlrev_b64 v[6:7], v7, v[6:7]
	v_lshrrev_b32_e32 v17, 3, v15
	v_sub_u32_e32 v7, 29, v18
	v_and_b32_e32 v6, 7, v6
	v_cmp_gt_u32_e32 vcc, 8, v15
	v_cndmask_b32_e32 v7, v17, v7, vcc
	v_cndmask_b32_e32 v6, v16, v6, vcc
	v_lshlrev_b32_e32 v15, 16, v8
	v_bfrev_b32_e32 v16, 60
	v_lshlrev_b32_e32 v6, 20, v6
	v_and_b32_e32 v15, 0x80000000, v15
	v_lshl_add_u32 v7, v7, 23, v16
	v_or3_b32 v6, v15, v7, v6
	v_lshrrev_b32_e32 v7, 16, v6
.LBB856_649:
	s_or_b64 exec, exec, s[10:11]
.LBB856_650:
	s_or_b64 exec, exec, s[8:9]
.LBB856_651:
	s_or_b64 exec, exec, s[2:3]
	s_movk_i32 s2, 0xff
	v_and_b32_sdwa v17, v8, s2 dst_sel:DWORD dst_unused:UNUSED_PAD src0_sel:WORD_1 src1_sel:DWORD
	v_lshrrev_b32_e32 v6, 16, v8
	v_cmp_ne_u16_e32 vcc, 0, v17
	v_mov_b32_e32 v15, 0
	v_mov_b32_e32 v16, 0
	s_and_saveexec_b64 s[2:3], vcc
	s_cbranch_execz .LBB856_657
; %bb.652:
	s_movk_i32 s7, 0x80
	v_cmp_ne_u16_e32 vcc, s7, v17
	v_mov_b32_e32 v16, 0xffff8000
	s_and_saveexec_b64 s[8:9], vcc
	s_cbranch_execz .LBB856_656
; %bb.653:
	v_bfe_u32 v17, v8, 16, 7
	s_movk_i32 s7, 0x7f
	v_cmp_ne_u32_e32 vcc, s7, v17
	v_mov_b32_e32 v16, 0x7f80
	s_and_saveexec_b64 s[10:11], vcc
	s_cbranch_execz .LBB856_655
; %bb.654:
	v_and_b32_e32 v16, 7, v6
	v_ffbh_u32_e32 v18, v16
	v_min_u32_e32 v21, 32, v18
	v_subrev_u32_e32 v18, 28, v21
	v_lshlrev_b64 v[18:19], v18, v[6:7]
	v_lshrrev_b32_e32 v20, 3, v17
	v_sub_u32_e32 v6, 29, v21
	v_and_b32_e32 v18, 7, v18
	v_cmp_gt_u32_e32 vcc, 8, v17
	v_mov_b32_e32 v17, 24
	v_cndmask_b32_e32 v6, v20, v6, vcc
	v_cndmask_b32_e32 v16, v16, v18, vcc
	v_lshlrev_b32_sdwa v17, v17, v8 dst_sel:DWORD dst_unused:UNUSED_PAD src0_sel:DWORD src1_sel:WORD_1
	v_bfrev_b32_e32 v18, 60
	v_lshlrev_b32_e32 v16, 20, v16
	v_and_b32_e32 v17, 0x80000000, v17
	v_lshl_add_u32 v6, v6, 23, v18
	v_or3_b32 v6, v17, v6, v16
	v_lshrrev_b32_e32 v16, 16, v6
.LBB856_655:
	s_or_b64 exec, exec, s[10:11]
.LBB856_656:
	s_or_b64 exec, exec, s[8:9]
.LBB856_657:
	s_or_b64 exec, exec, s[2:3]
	s_mov_b32 s2, 0xffffff
	v_cmp_lt_u32_e32 vcc, s2, v8
	s_and_saveexec_b64 s[2:3], vcc
	s_cbranch_execz .LBB856_663
; %bb.658:
	v_lshrrev_b32_e32 v6, 24, v8
	s_movk_i32 s7, 0x80
	v_cmp_ne_u32_e32 vcc, s7, v6
	v_mov_b32_e32 v15, 0xffff8000
	s_and_saveexec_b64 s[8:9], vcc
	s_cbranch_execz .LBB856_662
; %bb.659:
	v_bfe_u32 v8, v8, 24, 7
	s_movk_i32 s7, 0x7f
	v_cmp_ne_u32_e32 vcc, s7, v8
	v_mov_b32_e32 v15, 0x7f80
	s_and_saveexec_b64 s[10:11], vcc
	s_cbranch_execz .LBB856_661
; %bb.660:
	v_and_b32_e32 v15, 7, v6
	v_ffbh_u32_e32 v18, v15
	v_min_u32_e32 v20, 32, v18
	v_subrev_u32_e32 v18, 28, v20
	v_lshlrev_b64 v[18:19], v18, v[6:7]
	v_lshrrev_b32_e32 v17, 3, v8
	v_sub_u32_e32 v19, 29, v20
	v_and_b32_e32 v18, 7, v18
	v_cmp_gt_u32_e32 vcc, 8, v8
	v_cndmask_b32_e32 v8, v17, v19, vcc
	v_cndmask_b32_e32 v15, v15, v18, vcc
	v_lshlrev_b32_e32 v6, 24, v6
	v_bfrev_b32_e32 v17, 60
	v_lshlrev_b32_e32 v15, 20, v15
	v_and_b32_e32 v6, 0x80000000, v6
	v_lshl_add_u32 v8, v8, 23, v17
	v_or3_b32 v6, v6, v8, v15
	v_lshrrev_b32_e32 v15, 16, v6
.LBB856_661:
	s_or_b64 exec, exec, s[10:11]
.LBB856_662:
	s_or_b64 exec, exec, s[8:9]
.LBB856_663:
	s_or_b64 exec, exec, s[2:3]
	v_mov_b32_e32 v8, 0
	v_cmp_ne_u16_sdwa s[8:9], v9, v8 src0_sel:BYTE_0 src1_sel:DWORD
	v_mov_b32_e32 v17, 0
	s_and_saveexec_b64 s[2:3], s[8:9]
	s_cbranch_execz .LBB856_669
; %bb.664:
	s_movk_i32 s7, 0x80
	v_cmp_ne_u16_sdwa s[10:11], v9, s7 src0_sel:BYTE_0 src1_sel:DWORD
	v_mov_b32_e32 v17, 0xffff8000
	s_and_saveexec_b64 s[8:9], s[10:11]
	s_cbranch_execz .LBB856_668
; %bb.665:
	s_movk_i32 s7, 0x7f
	v_and_b32_e32 v6, 0x7f, v9
	v_cmp_ne_u32_e32 vcc, s7, v6
	v_mov_b32_e32 v17, 0x7f80
	s_and_saveexec_b64 s[10:11], vcc
	s_cbranch_execz .LBB856_667
; %bb.666:
	v_and_b32_e32 v17, 7, v9
	v_ffbh_u32_e32 v19, v17
	v_min_u32_e32 v21, 32, v19
	v_mov_b32_e32 v18, v9
	v_subrev_u32_e32 v19, 28, v21
	v_lshlrev_b64 v[18:19], v19, v[18:19]
	v_lshrrev_b32_e32 v20, 3, v6
	v_sub_u32_e32 v19, 29, v21
	v_and_b32_e32 v18, 7, v18
	v_cmp_gt_u32_e32 vcc, 8, v6
	v_cndmask_b32_e32 v6, v20, v19, vcc
	v_cndmask_b32_e32 v17, v17, v18, vcc
	v_lshlrev_b32_e32 v18, 24, v9
	v_bfrev_b32_e32 v19, 60
	v_lshlrev_b32_e32 v17, 20, v17
	v_and_b32_e32 v18, 0x80000000, v18
	v_lshl_add_u32 v6, v6, 23, v19
	v_or3_b32 v6, v18, v6, v17
	v_lshrrev_b32_e32 v17, 16, v6
.LBB856_667:
	s_or_b64 exec, exec, s[10:11]
.LBB856_668:
	s_or_b64 exec, exec, s[8:9]
.LBB856_669:
	s_or_b64 exec, exec, s[2:3]
	v_lshrrev_b16_e32 v6, 8, v9
	v_cmp_ne_u16_e32 vcc, 0, v6
	s_and_saveexec_b64 s[2:3], vcc
	s_cbranch_execz .LBB856_675
; %bb.670:
	s_movk_i32 s7, 0x80
	v_cmp_ne_u16_e32 vcc, s7, v6
	v_mov_b32_e32 v8, 0xffff8000
	s_and_saveexec_b64 s[8:9], vcc
	s_cbranch_execz .LBB856_674
; %bb.671:
	s_movk_i32 s7, 0x7f
	v_and_b32_e32 v18, 0x7f, v6
	v_cmp_ne_u32_e32 vcc, s7, v18
	v_mov_b32_e32 v8, 0x7f80
	s_and_saveexec_b64 s[10:11], vcc
	s_cbranch_execz .LBB856_673
; %bb.672:
	v_and_b32_e32 v8, 7, v6
	v_ffbh_u32_e32 v20, v8
	v_min_u32_e32 v23, 32, v20
	v_subrev_u32_e32 v20, 28, v23
	v_lshlrev_b64 v[20:21], v20, v[6:7]
	v_lshrrev_b32_e32 v19, 3, v18
	v_sub_u32_e32 v6, 29, v23
	v_and_b32_e32 v20, 7, v20
	v_cmp_gt_u32_e32 vcc, 8, v18
	v_cndmask_b32_e32 v6, v19, v6, vcc
	v_cndmask_b32_e32 v8, v8, v20, vcc
	v_lshlrev_b32_e32 v18, 16, v9
	v_bfrev_b32_e32 v19, 60
	v_lshlrev_b32_e32 v8, 20, v8
	v_and_b32_e32 v18, 0x80000000, v18
	v_lshl_add_u32 v6, v6, 23, v19
	v_or3_b32 v6, v18, v6, v8
	v_lshrrev_b32_e32 v8, 16, v6
.LBB856_673:
	s_or_b64 exec, exec, s[10:11]
.LBB856_674:
	s_or_b64 exec, exec, s[8:9]
.LBB856_675:
	s_or_b64 exec, exec, s[2:3]
	s_movk_i32 s2, 0xff
	v_and_b32_sdwa v20, v9, s2 dst_sel:DWORD dst_unused:UNUSED_PAD src0_sel:WORD_1 src1_sel:DWORD
	v_lshrrev_b32_e32 v6, 16, v9
	v_cmp_ne_u16_e32 vcc, 0, v20
	v_mov_b32_e32 v18, 0
	v_mov_b32_e32 v19, 0
	s_and_saveexec_b64 s[2:3], vcc
	s_cbranch_execz .LBB856_681
; %bb.676:
	s_movk_i32 s7, 0x80
	v_cmp_ne_u16_e32 vcc, s7, v20
	v_mov_b32_e32 v19, 0xffff8000
	s_and_saveexec_b64 s[8:9], vcc
	s_cbranch_execz .LBB856_680
; %bb.677:
	v_bfe_u32 v20, v9, 16, 7
	s_movk_i32 s7, 0x7f
	v_cmp_ne_u32_e32 vcc, s7, v20
	v_mov_b32_e32 v19, 0x7f80
	s_and_saveexec_b64 s[10:11], vcc
	s_cbranch_execz .LBB856_679
; %bb.678:
	v_and_b32_e32 v19, 7, v6
	v_ffbh_u32_e32 v23, v19
	v_min_u32_e32 v23, 32, v23
	v_subrev_u32_e32 v24, 28, v23
	v_lshlrev_b64 v[24:25], v24, v[6:7]
	v_lshrrev_b32_e32 v21, 3, v20
	v_sub_u32_e32 v6, 29, v23
	v_and_b32_e32 v23, 7, v24
	v_cmp_gt_u32_e32 vcc, 8, v20
	v_mov_b32_e32 v20, 24
	v_cndmask_b32_e32 v6, v21, v6, vcc
	v_cndmask_b32_e32 v19, v19, v23, vcc
	v_lshlrev_b32_sdwa v20, v20, v9 dst_sel:DWORD dst_unused:UNUSED_PAD src0_sel:DWORD src1_sel:WORD_1
	v_bfrev_b32_e32 v21, 60
	v_lshlrev_b32_e32 v19, 20, v19
	v_and_b32_e32 v20, 0x80000000, v20
	v_lshl_add_u32 v6, v6, 23, v21
	v_or3_b32 v6, v20, v6, v19
	v_lshrrev_b32_e32 v19, 16, v6
.LBB856_679:
	s_or_b64 exec, exec, s[10:11]
.LBB856_680:
	s_or_b64 exec, exec, s[8:9]
.LBB856_681:
	s_or_b64 exec, exec, s[2:3]
	s_mov_b32 s2, 0xffffff
	v_cmp_lt_u32_e32 vcc, s2, v9
	s_and_saveexec_b64 s[2:3], vcc
	s_cbranch_execz .LBB856_687
; %bb.682:
	v_lshrrev_b32_e32 v6, 24, v9
	s_movk_i32 s7, 0x80
	v_cmp_ne_u32_e32 vcc, s7, v6
	v_mov_b32_e32 v18, 0xffff8000
	s_and_saveexec_b64 s[8:9], vcc
	s_cbranch_execz .LBB856_686
; %bb.683:
	v_bfe_u32 v9, v9, 24, 7
	s_movk_i32 s7, 0x7f
	v_cmp_ne_u32_e32 vcc, s7, v9
	v_mov_b32_e32 v18, 0x7f80
	s_and_saveexec_b64 s[10:11], vcc
	s_cbranch_execz .LBB856_685
; %bb.684:
	v_and_b32_e32 v18, 7, v6
	v_ffbh_u32_e32 v20, v18
	v_min_u32_e32 v24, 32, v20
	v_subrev_u32_e32 v20, 28, v24
	v_lshlrev_b64 v[20:21], v20, v[6:7]
	v_lshrrev_b32_e32 v23, 3, v9
	v_sub_u32_e32 v21, 29, v24
	v_and_b32_e32 v20, 7, v20
	v_cmp_gt_u32_e32 vcc, 8, v9
	v_cndmask_b32_e32 v9, v23, v21, vcc
	v_cndmask_b32_e32 v18, v18, v20, vcc
	v_lshlrev_b32_e32 v6, 24, v6
	v_bfrev_b32_e32 v20, 60
	v_lshlrev_b32_e32 v18, 20, v18
	v_and_b32_e32 v6, 0x80000000, v6
	v_lshl_add_u32 v9, v9, 23, v20
	v_or3_b32 v6, v6, v9, v18
	v_lshrrev_b32_e32 v18, 16, v6
.LBB856_685:
	s_or_b64 exec, exec, s[10:11]
.LBB856_686:
	s_or_b64 exec, exec, s[8:9]
.LBB856_687:
	s_or_b64 exec, exec, s[2:3]
	s_mov_b32 s2, 0x5040100
	v_perm_b32 v15, v15, v16, s2
	v_perm_b32 v14, v7, v14, s2
	ds_read_b128 v[24:27], v22 offset:4112
	v_perm_b32 v7, v18, v19, s2
	v_perm_b32 v6, v8, v17, s2
	s_waitcnt lgkmcnt(0)
	v_mfma_f32_16x16x16bf16_1k v[30:33], v[14:15], v[24:25], v[10:13]
	s_nop 6
	v_mov_b32_e32 v11, 0
	s_waitcnt vmcnt(0)
	v_cmp_ne_u16_sdwa s[8:9], v2, v11 src0_sel:BYTE_0 src1_sel:DWORD
	v_mfma_f32_16x16x16bf16_1k v[6:9], v[6:7], v[26:27], v[30:33]
	v_mov_b32_e32 v12, 0
	s_and_saveexec_b64 s[2:3], s[8:9]
	s_cbranch_execz .LBB856_693
; %bb.688:
	s_movk_i32 s7, 0x80
	v_cmp_ne_u16_sdwa s[10:11], v2, s7 src0_sel:BYTE_0 src1_sel:DWORD
	v_mov_b32_e32 v12, 0xffff8000
	s_and_saveexec_b64 s[8:9], s[10:11]
	s_cbranch_execz .LBB856_692
; %bb.689:
	s_movk_i32 s7, 0x7f
	v_and_b32_e32 v10, 0x7f, v2
	v_cmp_ne_u32_e32 vcc, s7, v10
	v_mov_b32_e32 v12, 0x7f80
	s_and_saveexec_b64 s[10:11], vcc
	s_cbranch_execz .LBB856_691
; %bb.690:
	v_and_b32_e32 v14, 7, v2
	v_ffbh_u32_e32 v12, v14
	v_min_u32_e32 v16, 32, v12
	v_subrev_u32_e32 v12, 28, v16
	v_lshlrev_b64 v[12:13], v12, v[2:3]
	v_lshrrev_b32_e32 v15, 3, v10
	v_sub_u32_e32 v13, 29, v16
	v_and_b32_e32 v12, 7, v12
	v_cmp_gt_u32_e32 vcc, 8, v10
	v_cndmask_b32_e32 v10, v15, v13, vcc
	v_cndmask_b32_e32 v12, v14, v12, vcc
	v_lshlrev_b32_e32 v13, 24, v2
	v_bfrev_b32_e32 v14, 60
	v_lshlrev_b32_e32 v12, 20, v12
	v_and_b32_e32 v13, 0x80000000, v13
	v_lshl_add_u32 v10, v10, 23, v14
	v_or3_b32 v10, v13, v10, v12
	v_lshrrev_b32_e32 v12, 16, v10
.LBB856_691:
	s_or_b64 exec, exec, s[10:11]
.LBB856_692:
	s_or_b64 exec, exec, s[8:9]
.LBB856_693:
	s_or_b64 exec, exec, s[2:3]
	v_lshrrev_b16_e32 v10, 8, v2
	v_cmp_ne_u16_e32 vcc, 0, v10
	s_and_saveexec_b64 s[2:3], vcc
	s_cbranch_execz .LBB856_699
; %bb.694:
	s_movk_i32 s7, 0x80
	v_cmp_ne_u16_e32 vcc, s7, v10
	v_mov_b32_e32 v11, 0xffff8000
	s_and_saveexec_b64 s[8:9], vcc
	s_cbranch_execz .LBB856_698
; %bb.695:
	s_movk_i32 s7, 0x7f
	v_and_b32_e32 v13, 0x7f, v10
	v_cmp_ne_u32_e32 vcc, s7, v13
	v_mov_b32_e32 v11, 0x7f80
	s_and_saveexec_b64 s[10:11], vcc
	s_cbranch_execz .LBB856_697
; %bb.696:
	v_and_b32_e32 v14, 7, v10
	v_ffbh_u32_e32 v11, v14
	v_min_u32_e32 v16, 32, v11
	v_subrev_u32_e32 v11, 28, v16
	v_lshlrev_b64 v[10:11], v11, v[10:11]
	v_lshrrev_b32_e32 v15, 3, v13
	v_sub_u32_e32 v11, 29, v16
	v_and_b32_e32 v10, 7, v10
	v_cmp_gt_u32_e32 vcc, 8, v13
	v_cndmask_b32_e32 v11, v15, v11, vcc
	v_cndmask_b32_e32 v10, v14, v10, vcc
	v_lshlrev_b32_e32 v13, 16, v2
	v_bfrev_b32_e32 v14, 60
	v_lshlrev_b32_e32 v10, 20, v10
	v_and_b32_e32 v13, 0x80000000, v13
	v_lshl_add_u32 v11, v11, 23, v14
	v_or3_b32 v10, v13, v11, v10
	v_lshrrev_b32_e32 v11, 16, v10
.LBB856_697:
	s_or_b64 exec, exec, s[10:11]
.LBB856_698:
	s_or_b64 exec, exec, s[8:9]
.LBB856_699:
	s_or_b64 exec, exec, s[2:3]
	s_movk_i32 s2, 0xff
	v_and_b32_sdwa v15, v2, s2 dst_sel:DWORD dst_unused:UNUSED_PAD src0_sel:WORD_1 src1_sel:DWORD
	v_lshrrev_b32_e32 v10, 16, v2
	v_cmp_ne_u16_e32 vcc, 0, v15
	v_mov_b32_e32 v13, 0
	v_mov_b32_e32 v14, 0
	s_and_saveexec_b64 s[2:3], vcc
	s_cbranch_execz .LBB856_705
; %bb.700:
	s_movk_i32 s7, 0x80
	v_cmp_ne_u16_e32 vcc, s7, v15
	v_mov_b32_e32 v14, 0xffff8000
	s_and_saveexec_b64 s[8:9], vcc
	s_cbranch_execz .LBB856_704
; %bb.701:
	v_bfe_u32 v15, v2, 16, 7
	s_movk_i32 s7, 0x7f
	v_cmp_ne_u32_e32 vcc, s7, v15
	v_mov_b32_e32 v14, 0x7f80
	s_and_saveexec_b64 s[10:11], vcc
	s_cbranch_execz .LBB856_703
; %bb.702:
	v_and_b32_e32 v14, 7, v10
	v_ffbh_u32_e32 v16, v14
	v_min_u32_e32 v19, 32, v16
	v_subrev_u32_e32 v16, 28, v19
	v_lshlrev_b64 v[16:17], v16, v[10:11]
	v_lshrrev_b32_e32 v18, 3, v15
	v_sub_u32_e32 v10, 29, v19
	v_and_b32_e32 v16, 7, v16
	v_cmp_gt_u32_e32 vcc, 8, v15
	v_mov_b32_e32 v15, 24
	v_cndmask_b32_e32 v10, v18, v10, vcc
	v_cndmask_b32_e32 v14, v14, v16, vcc
	v_lshlrev_b32_sdwa v15, v15, v2 dst_sel:DWORD dst_unused:UNUSED_PAD src0_sel:DWORD src1_sel:WORD_1
	v_bfrev_b32_e32 v16, 60
	v_lshlrev_b32_e32 v14, 20, v14
	v_and_b32_e32 v15, 0x80000000, v15
	v_lshl_add_u32 v10, v10, 23, v16
	v_or3_b32 v10, v15, v10, v14
	v_lshrrev_b32_e32 v14, 16, v10
.LBB856_703:
	s_or_b64 exec, exec, s[10:11]
.LBB856_704:
	s_or_b64 exec, exec, s[8:9]
.LBB856_705:
	s_or_b64 exec, exec, s[2:3]
	s_mov_b32 s2, 0xffffff
	v_cmp_lt_u32_e32 vcc, s2, v2
	s_and_saveexec_b64 s[2:3], vcc
	s_cbranch_execz .LBB856_711
; %bb.706:
	v_lshrrev_b32_e32 v10, 24, v2
	s_movk_i32 s7, 0x80
	v_cmp_ne_u32_e32 vcc, s7, v10
	v_mov_b32_e32 v13, 0xffff8000
	s_and_saveexec_b64 s[8:9], vcc
	s_cbranch_execz .LBB856_710
; %bb.707:
	v_bfe_u32 v2, v2, 24, 7
	s_movk_i32 s7, 0x7f
	v_cmp_ne_u32_e32 vcc, s7, v2
	v_mov_b32_e32 v13, 0x7f80
	s_and_saveexec_b64 s[10:11], vcc
	s_cbranch_execz .LBB856_709
; %bb.708:
	v_and_b32_e32 v13, 7, v10
	v_ffbh_u32_e32 v16, v13
	v_min_u32_e32 v18, 32, v16
	v_subrev_u32_e32 v16, 28, v18
	v_lshlrev_b64 v[16:17], v16, v[10:11]
	v_lshrrev_b32_e32 v15, 3, v2
	v_sub_u32_e32 v17, 29, v18
	v_and_b32_e32 v16, 7, v16
	v_cmp_gt_u32_e32 vcc, 8, v2
	v_cndmask_b32_e32 v2, v15, v17, vcc
	v_cndmask_b32_e32 v13, v13, v16, vcc
	v_lshlrev_b32_e32 v10, 24, v10
	v_bfrev_b32_e32 v15, 60
	v_lshlrev_b32_e32 v13, 20, v13
	v_and_b32_e32 v10, 0x80000000, v10
	v_lshl_add_u32 v2, v2, 23, v15
	v_or3_b32 v2, v10, v2, v13
	v_lshrrev_b32_e32 v13, 16, v2
.LBB856_709:
	s_or_b64 exec, exec, s[10:11]
.LBB856_710:
	s_or_b64 exec, exec, s[8:9]
.LBB856_711:
	s_or_b64 exec, exec, s[2:3]
	v_mov_b32_e32 v10, 0
	v_cmp_ne_u16_sdwa s[8:9], v3, v10 src0_sel:BYTE_0 src1_sel:DWORD
	v_mov_b32_e32 v15, 0
	s_and_saveexec_b64 s[2:3], s[8:9]
	s_cbranch_execz .LBB856_717
; %bb.712:
	s_movk_i32 s7, 0x80
	v_cmp_ne_u16_sdwa s[10:11], v3, s7 src0_sel:BYTE_0 src1_sel:DWORD
	v_mov_b32_e32 v15, 0xffff8000
	s_and_saveexec_b64 s[8:9], s[10:11]
	s_cbranch_execz .LBB856_716
; %bb.713:
	s_movk_i32 s7, 0x7f
	v_and_b32_e32 v2, 0x7f, v3
	v_cmp_ne_u32_e32 vcc, s7, v2
	v_mov_b32_e32 v15, 0x7f80
	s_and_saveexec_b64 s[10:11], vcc
	s_cbranch_execz .LBB856_715
; %bb.714:
	v_and_b32_e32 v15, 7, v3
	v_ffbh_u32_e32 v17, v15
	v_min_u32_e32 v19, 32, v17
	v_mov_b32_e32 v16, v3
	v_subrev_u32_e32 v17, 28, v19
	v_lshlrev_b64 v[16:17], v17, v[16:17]
	v_lshrrev_b32_e32 v18, 3, v2
	v_sub_u32_e32 v17, 29, v19
	v_and_b32_e32 v16, 7, v16
	v_cmp_gt_u32_e32 vcc, 8, v2
	v_cndmask_b32_e32 v2, v18, v17, vcc
	v_cndmask_b32_e32 v15, v15, v16, vcc
	v_lshlrev_b32_e32 v16, 24, v3
	v_bfrev_b32_e32 v17, 60
	v_lshlrev_b32_e32 v15, 20, v15
	v_and_b32_e32 v16, 0x80000000, v16
	v_lshl_add_u32 v2, v2, 23, v17
	v_or3_b32 v2, v16, v2, v15
	v_lshrrev_b32_e32 v15, 16, v2
.LBB856_715:
	s_or_b64 exec, exec, s[10:11]
.LBB856_716:
	s_or_b64 exec, exec, s[8:9]
.LBB856_717:
	s_or_b64 exec, exec, s[2:3]
	v_lshrrev_b16_e32 v2, 8, v3
	v_cmp_ne_u16_e32 vcc, 0, v2
	s_and_saveexec_b64 s[2:3], vcc
	s_cbranch_execz .LBB856_723
; %bb.718:
	s_movk_i32 s7, 0x80
	v_cmp_ne_u16_e32 vcc, s7, v2
	v_mov_b32_e32 v10, 0xffff8000
	s_and_saveexec_b64 s[8:9], vcc
	s_cbranch_execz .LBB856_722
; %bb.719:
	s_movk_i32 s7, 0x7f
	v_and_b32_e32 v16, 0x7f, v2
	v_cmp_ne_u32_e32 vcc, s7, v16
	v_mov_b32_e32 v10, 0x7f80
	s_and_saveexec_b64 s[10:11], vcc
	s_cbranch_execz .LBB856_721
; %bb.720:
	v_and_b32_e32 v10, 7, v2
	v_ffbh_u32_e32 v18, v10
	v_min_u32_e32 v20, 32, v18
	v_subrev_u32_e32 v18, 28, v20
	v_lshlrev_b64 v[18:19], v18, v[2:3]
	v_lshrrev_b32_e32 v17, 3, v16
	v_sub_u32_e32 v2, 29, v20
	v_and_b32_e32 v18, 7, v18
	v_cmp_gt_u32_e32 vcc, 8, v16
	v_cndmask_b32_e32 v2, v17, v2, vcc
	v_cndmask_b32_e32 v10, v10, v18, vcc
	v_lshlrev_b32_e32 v16, 16, v3
	v_bfrev_b32_e32 v17, 60
	v_lshlrev_b32_e32 v10, 20, v10
	v_and_b32_e32 v16, 0x80000000, v16
	v_lshl_add_u32 v2, v2, 23, v17
	v_or3_b32 v2, v16, v2, v10
	v_lshrrev_b32_e32 v10, 16, v2
.LBB856_721:
	s_or_b64 exec, exec, s[10:11]
.LBB856_722:
	s_or_b64 exec, exec, s[8:9]
.LBB856_723:
	s_or_b64 exec, exec, s[2:3]
	s_movk_i32 s2, 0xff
	v_and_b32_sdwa v18, v3, s2 dst_sel:DWORD dst_unused:UNUSED_PAD src0_sel:WORD_1 src1_sel:DWORD
	v_lshrrev_b32_e32 v2, 16, v3
	v_cmp_ne_u16_e32 vcc, 0, v18
	v_mov_b32_e32 v16, 0
	v_mov_b32_e32 v17, 0
	s_and_saveexec_b64 s[2:3], vcc
	s_cbranch_execz .LBB856_729
; %bb.724:
	s_movk_i32 s7, 0x80
	v_cmp_ne_u16_e32 vcc, s7, v18
	v_mov_b32_e32 v17, 0xffff8000
	s_and_saveexec_b64 s[8:9], vcc
	s_cbranch_execz .LBB856_728
; %bb.725:
	v_bfe_u32 v18, v3, 16, 7
	s_movk_i32 s7, 0x7f
	v_cmp_ne_u32_e32 vcc, s7, v18
	v_mov_b32_e32 v17, 0x7f80
	s_and_saveexec_b64 s[10:11], vcc
	s_cbranch_execz .LBB856_727
; %bb.726:
	v_and_b32_e32 v17, 7, v2
	v_ffbh_u32_e32 v20, v17
	v_min_u32_e32 v23, 32, v20
	v_subrev_u32_e32 v20, 28, v23
	v_lshlrev_b64 v[20:21], v20, v[2:3]
	v_lshrrev_b32_e32 v19, 3, v18
	v_sub_u32_e32 v2, 29, v23
	v_and_b32_e32 v20, 7, v20
	v_cmp_gt_u32_e32 vcc, 8, v18
	v_mov_b32_e32 v18, 24
	v_cndmask_b32_e32 v2, v19, v2, vcc
	v_cndmask_b32_e32 v17, v17, v20, vcc
	v_lshlrev_b32_sdwa v18, v18, v3 dst_sel:DWORD dst_unused:UNUSED_PAD src0_sel:DWORD src1_sel:WORD_1
	v_bfrev_b32_e32 v19, 60
	v_lshlrev_b32_e32 v17, 20, v17
	v_and_b32_e32 v18, 0x80000000, v18
	v_lshl_add_u32 v2, v2, 23, v19
	v_or3_b32 v2, v18, v2, v17
	v_lshrrev_b32_e32 v17, 16, v2
.LBB856_727:
	s_or_b64 exec, exec, s[10:11]
.LBB856_728:
	s_or_b64 exec, exec, s[8:9]
.LBB856_729:
	s_or_b64 exec, exec, s[2:3]
	s_mov_b32 s2, 0xffffff
	v_cmp_lt_u32_e32 vcc, s2, v3
	s_and_saveexec_b64 s[2:3], vcc
	s_cbranch_execz .LBB856_735
; %bb.730:
	v_lshrrev_b32_e32 v2, 24, v3
	s_movk_i32 s7, 0x80
	v_cmp_ne_u32_e32 vcc, s7, v2
	v_mov_b32_e32 v16, 0xffff8000
	s_and_saveexec_b64 s[8:9], vcc
	s_cbranch_execz .LBB856_734
; %bb.731:
	v_bfe_u32 v3, v3, 24, 7
	s_movk_i32 s7, 0x7f
	v_cmp_ne_u32_e32 vcc, s7, v3
	v_mov_b32_e32 v16, 0x7f80
	s_and_saveexec_b64 s[10:11], vcc
	s_cbranch_execz .LBB856_733
; %bb.732:
	v_and_b32_e32 v16, 7, v2
	v_ffbh_u32_e32 v18, v16
	v_min_u32_e32 v21, 32, v18
	v_subrev_u32_e32 v18, 28, v21
	v_lshlrev_b64 v[18:19], v18, v[2:3]
	v_lshrrev_b32_e32 v20, 3, v3
	v_sub_u32_e32 v19, 29, v21
	v_and_b32_e32 v18, 7, v18
	v_cmp_gt_u32_e32 vcc, 8, v3
	v_cndmask_b32_e32 v3, v20, v19, vcc
	v_cndmask_b32_e32 v16, v16, v18, vcc
	v_lshlrev_b32_e32 v2, 24, v2
	v_bfrev_b32_e32 v18, 60
	v_lshlrev_b32_e32 v16, 20, v16
	v_and_b32_e32 v2, 0x80000000, v2
	v_lshl_add_u32 v3, v3, 23, v18
	v_or3_b32 v2, v2, v3, v16
	v_lshrrev_b32_e32 v16, 16, v2
.LBB856_733:
	s_or_b64 exec, exec, s[10:11]
.LBB856_734:
	s_or_b64 exec, exec, s[8:9]
.LBB856_735:
	s_or_b64 exec, exec, s[2:3]
	s_mov_b32 s2, 0x5040100
	v_perm_b32 v3, v13, v14, s2
	v_perm_b32 v2, v11, v12, s2
	ds_read_b128 v[18:21], v22 offset:6144
	v_perm_b32 v13, v16, v17, s2
	v_perm_b32 v12, v10, v15, s2
	s_waitcnt lgkmcnt(0)
	v_mfma_f32_16x16x16bf16_1k v[6:9], v[2:3], v[18:19], v[6:9]
	v_mov_b32_e32 v3, 0
	v_cmp_ne_u16_sdwa s[8:9], v4, v3 src0_sel:BYTE_0 src1_sel:DWORD
	v_mov_b32_e32 v10, 0
	v_mfma_f32_16x16x16bf16_1k v[6:9], v[12:13], v[20:21], v[6:9]
	s_and_saveexec_b64 s[2:3], s[8:9]
	s_cbranch_execz .LBB856_741
; %bb.736:
	s_movk_i32 s7, 0x80
	v_cmp_ne_u16_sdwa s[10:11], v4, s7 src0_sel:BYTE_0 src1_sel:DWORD
	v_mov_b32_e32 v10, 0xffff8000
	s_and_saveexec_b64 s[8:9], s[10:11]
	s_cbranch_execz .LBB856_740
; %bb.737:
	s_movk_i32 s7, 0x7f
	v_and_b32_e32 v2, 0x7f, v4
	v_cmp_ne_u32_e32 vcc, s7, v2
	v_mov_b32_e32 v10, 0x7f80
	s_and_saveexec_b64 s[10:11], vcc
	s_cbranch_execz .LBB856_739
; %bb.738:
	v_and_b32_e32 v12, 7, v4
	v_ffbh_u32_e32 v10, v12
	v_min_u32_e32 v14, 32, v10
	v_subrev_u32_e32 v10, 28, v14
	v_lshlrev_b64 v[10:11], v10, v[4:5]
	v_lshrrev_b32_e32 v13, 3, v2
	v_sub_u32_e32 v11, 29, v14
	v_and_b32_e32 v10, 7, v10
	v_cmp_gt_u32_e32 vcc, 8, v2
	v_cndmask_b32_e32 v2, v13, v11, vcc
	v_cndmask_b32_e32 v10, v12, v10, vcc
	v_lshlrev_b32_e32 v11, 24, v4
	v_bfrev_b32_e32 v12, 60
	v_lshlrev_b32_e32 v10, 20, v10
	v_and_b32_e32 v11, 0x80000000, v11
	v_lshl_add_u32 v2, v2, 23, v12
	v_or3_b32 v2, v11, v2, v10
	v_lshrrev_b32_e32 v10, 16, v2
.LBB856_739:
	s_or_b64 exec, exec, s[10:11]
.LBB856_740:
	s_or_b64 exec, exec, s[8:9]
.LBB856_741:
	s_or_b64 exec, exec, s[2:3]
	v_lshrrev_b16_e32 v2, 8, v4
	v_cmp_ne_u16_e32 vcc, 0, v2
	s_and_saveexec_b64 s[2:3], vcc
	s_cbranch_execz .LBB856_747
; %bb.742:
	s_movk_i32 s7, 0x80
	v_cmp_ne_u16_e32 vcc, s7, v2
	v_mov_b32_e32 v3, 0xffff8000
	s_and_saveexec_b64 s[8:9], vcc
	s_cbranch_execz .LBB856_746
; %bb.743:
	s_movk_i32 s7, 0x7f
	v_and_b32_e32 v11, 0x7f, v2
	v_cmp_ne_u32_e32 vcc, s7, v11
	v_mov_b32_e32 v3, 0x7f80
	s_and_saveexec_b64 s[10:11], vcc
	s_cbranch_execz .LBB856_745
; %bb.744:
	v_and_b32_e32 v12, 7, v2
	v_ffbh_u32_e32 v3, v12
	v_min_u32_e32 v14, 32, v3
	v_subrev_u32_e32 v3, 28, v14
	v_lshlrev_b64 v[2:3], v3, v[2:3]
	v_lshrrev_b32_e32 v13, 3, v11
	v_sub_u32_e32 v3, 29, v14
	v_and_b32_e32 v2, 7, v2
	v_cmp_gt_u32_e32 vcc, 8, v11
	v_cndmask_b32_e32 v3, v13, v3, vcc
	v_cndmask_b32_e32 v2, v12, v2, vcc
	v_lshlrev_b32_e32 v11, 16, v4
	v_bfrev_b32_e32 v12, 60
	v_lshlrev_b32_e32 v2, 20, v2
	v_and_b32_e32 v11, 0x80000000, v11
	v_lshl_add_u32 v3, v3, 23, v12
	v_or3_b32 v2, v11, v3, v2
	v_lshrrev_b32_e32 v3, 16, v2
.LBB856_745:
	s_or_b64 exec, exec, s[10:11]
.LBB856_746:
	s_or_b64 exec, exec, s[8:9]
.LBB856_747:
	s_or_b64 exec, exec, s[2:3]
	s_movk_i32 s2, 0xff
	v_and_b32_sdwa v13, v4, s2 dst_sel:DWORD dst_unused:UNUSED_PAD src0_sel:WORD_1 src1_sel:DWORD
	v_lshrrev_b32_e32 v2, 16, v4
	v_cmp_ne_u16_e32 vcc, 0, v13
	v_mov_b32_e32 v11, 0
	v_mov_b32_e32 v12, 0
	s_and_saveexec_b64 s[2:3], vcc
	s_cbranch_execz .LBB856_753
; %bb.748:
	s_movk_i32 s7, 0x80
	v_cmp_ne_u16_e32 vcc, s7, v13
	v_mov_b32_e32 v12, 0xffff8000
	s_and_saveexec_b64 s[8:9], vcc
	s_cbranch_execz .LBB856_752
; %bb.749:
	v_bfe_u32 v13, v4, 16, 7
	s_movk_i32 s7, 0x7f
	v_cmp_ne_u32_e32 vcc, s7, v13
	v_mov_b32_e32 v12, 0x7f80
	s_and_saveexec_b64 s[10:11], vcc
	s_cbranch_execz .LBB856_751
; %bb.750:
	v_and_b32_e32 v12, 7, v2
	v_ffbh_u32_e32 v14, v12
	v_min_u32_e32 v17, 32, v14
	v_subrev_u32_e32 v14, 28, v17
	v_lshlrev_b64 v[14:15], v14, v[2:3]
	v_lshrrev_b32_e32 v16, 3, v13
	v_sub_u32_e32 v2, 29, v17
	v_and_b32_e32 v14, 7, v14
	v_cmp_gt_u32_e32 vcc, 8, v13
	v_mov_b32_e32 v13, 24
	v_cndmask_b32_e32 v2, v16, v2, vcc
	v_cndmask_b32_e32 v12, v12, v14, vcc
	v_lshlrev_b32_sdwa v13, v13, v4 dst_sel:DWORD dst_unused:UNUSED_PAD src0_sel:DWORD src1_sel:WORD_1
	v_bfrev_b32_e32 v14, 60
	v_lshlrev_b32_e32 v12, 20, v12
	v_and_b32_e32 v13, 0x80000000, v13
	v_lshl_add_u32 v2, v2, 23, v14
	v_or3_b32 v2, v13, v2, v12
	v_lshrrev_b32_e32 v12, 16, v2
.LBB856_751:
	s_or_b64 exec, exec, s[10:11]
.LBB856_752:
	s_or_b64 exec, exec, s[8:9]
.LBB856_753:
	s_or_b64 exec, exec, s[2:3]
	s_mov_b32 s2, 0xffffff
	v_cmp_lt_u32_e32 vcc, s2, v4
	s_and_saveexec_b64 s[2:3], vcc
	s_cbranch_execz .LBB856_759
; %bb.754:
	v_lshrrev_b32_e32 v2, 24, v4
	s_movk_i32 s7, 0x80
	v_cmp_ne_u32_e32 vcc, s7, v2
	v_mov_b32_e32 v11, 0xffff8000
	s_and_saveexec_b64 s[8:9], vcc
	s_cbranch_execz .LBB856_758
; %bb.755:
	v_bfe_u32 v4, v4, 24, 7
	s_movk_i32 s7, 0x7f
	v_cmp_ne_u32_e32 vcc, s7, v4
	v_mov_b32_e32 v11, 0x7f80
	s_and_saveexec_b64 s[10:11], vcc
	s_cbranch_execz .LBB856_757
; %bb.756:
	v_and_b32_e32 v11, 7, v2
	v_ffbh_u32_e32 v14, v11
	v_min_u32_e32 v16, 32, v14
	v_subrev_u32_e32 v14, 28, v16
	v_lshlrev_b64 v[14:15], v14, v[2:3]
	v_lshrrev_b32_e32 v13, 3, v4
	v_sub_u32_e32 v15, 29, v16
	v_and_b32_e32 v14, 7, v14
	v_cmp_gt_u32_e32 vcc, 8, v4
	v_cndmask_b32_e32 v4, v13, v15, vcc
	v_cndmask_b32_e32 v11, v11, v14, vcc
	v_lshlrev_b32_e32 v2, 24, v2
	v_bfrev_b32_e32 v13, 60
	v_lshlrev_b32_e32 v11, 20, v11
	v_and_b32_e32 v2, 0x80000000, v2
	v_lshl_add_u32 v4, v4, 23, v13
	v_or3_b32 v2, v2, v4, v11
	v_lshrrev_b32_e32 v11, 16, v2
.LBB856_757:
	s_or_b64 exec, exec, s[10:11]
.LBB856_758:
	s_or_b64 exec, exec, s[8:9]
.LBB856_759:
	s_or_b64 exec, exec, s[2:3]
	v_mov_b32_e32 v4, 0
	v_cmp_ne_u16_sdwa s[8:9], v5, v4 src0_sel:BYTE_0 src1_sel:DWORD
	v_mov_b32_e32 v13, 0
	s_and_saveexec_b64 s[2:3], s[8:9]
	s_cbranch_execz .LBB856_765
; %bb.760:
	s_movk_i32 s7, 0x80
	v_cmp_ne_u16_sdwa s[10:11], v5, s7 src0_sel:BYTE_0 src1_sel:DWORD
	v_mov_b32_e32 v13, 0xffff8000
	s_and_saveexec_b64 s[8:9], s[10:11]
	s_cbranch_execz .LBB856_764
; %bb.761:
	s_movk_i32 s7, 0x7f
	v_and_b32_e32 v2, 0x7f, v5
	v_cmp_ne_u32_e32 vcc, s7, v2
	v_mov_b32_e32 v13, 0x7f80
	s_and_saveexec_b64 s[10:11], vcc
	s_cbranch_execz .LBB856_763
; %bb.762:
	v_and_b32_e32 v13, 7, v5
	v_ffbh_u32_e32 v15, v13
	v_min_u32_e32 v17, 32, v15
	v_mov_b32_e32 v14, v5
	v_subrev_u32_e32 v15, 28, v17
	v_lshlrev_b64 v[14:15], v15, v[14:15]
	v_lshrrev_b32_e32 v16, 3, v2
	v_sub_u32_e32 v15, 29, v17
	v_and_b32_e32 v14, 7, v14
	v_cmp_gt_u32_e32 vcc, 8, v2
	v_cndmask_b32_e32 v2, v16, v15, vcc
	v_cndmask_b32_e32 v13, v13, v14, vcc
	v_lshlrev_b32_e32 v14, 24, v5
	v_bfrev_b32_e32 v15, 60
	v_lshlrev_b32_e32 v13, 20, v13
	v_and_b32_e32 v14, 0x80000000, v14
	v_lshl_add_u32 v2, v2, 23, v15
	v_or3_b32 v2, v14, v2, v13
	v_lshrrev_b32_e32 v13, 16, v2
.LBB856_763:
	s_or_b64 exec, exec, s[10:11]
.LBB856_764:
	s_or_b64 exec, exec, s[8:9]
.LBB856_765:
	s_or_b64 exec, exec, s[2:3]
	v_lshrrev_b16_e32 v2, 8, v5
	v_cmp_ne_u16_e32 vcc, 0, v2
	s_and_saveexec_b64 s[2:3], vcc
	s_cbranch_execz .LBB856_771
; %bb.766:
	s_movk_i32 s7, 0x80
	v_cmp_ne_u16_e32 vcc, s7, v2
	v_mov_b32_e32 v4, 0xffff8000
	s_and_saveexec_b64 s[8:9], vcc
	s_cbranch_execz .LBB856_770
; %bb.767:
	s_movk_i32 s7, 0x7f
	v_and_b32_e32 v14, 0x7f, v2
	v_cmp_ne_u32_e32 vcc, s7, v14
	v_mov_b32_e32 v4, 0x7f80
	s_and_saveexec_b64 s[10:11], vcc
	s_cbranch_execz .LBB856_769
; %bb.768:
	v_and_b32_e32 v4, 7, v2
	v_ffbh_u32_e32 v16, v4
	v_min_u32_e32 v18, 32, v16
	v_subrev_u32_e32 v16, 28, v18
	v_lshlrev_b64 v[16:17], v16, v[2:3]
	v_lshrrev_b32_e32 v15, 3, v14
	v_sub_u32_e32 v2, 29, v18
	v_and_b32_e32 v16, 7, v16
	v_cmp_gt_u32_e32 vcc, 8, v14
	v_cndmask_b32_e32 v2, v15, v2, vcc
	v_cndmask_b32_e32 v4, v4, v16, vcc
	v_lshlrev_b32_e32 v14, 16, v5
	v_bfrev_b32_e32 v15, 60
	v_lshlrev_b32_e32 v4, 20, v4
	v_and_b32_e32 v14, 0x80000000, v14
	v_lshl_add_u32 v2, v2, 23, v15
	v_or3_b32 v2, v14, v2, v4
	v_lshrrev_b32_e32 v4, 16, v2
.LBB856_769:
	s_or_b64 exec, exec, s[10:11]
.LBB856_770:
	s_or_b64 exec, exec, s[8:9]
.LBB856_771:
	s_or_b64 exec, exec, s[2:3]
	s_movk_i32 s2, 0xff
	v_and_b32_sdwa v16, v5, s2 dst_sel:DWORD dst_unused:UNUSED_PAD src0_sel:WORD_1 src1_sel:DWORD
	v_lshrrev_b32_e32 v2, 16, v5
	v_cmp_ne_u16_e32 vcc, 0, v16
	v_mov_b32_e32 v14, 0
	v_mov_b32_e32 v15, 0
	s_and_saveexec_b64 s[2:3], vcc
	s_cbranch_execz .LBB856_777
; %bb.772:
	s_movk_i32 s7, 0x80
	v_cmp_ne_u16_e32 vcc, s7, v16
	v_mov_b32_e32 v15, 0xffff8000
	s_and_saveexec_b64 s[8:9], vcc
	s_cbranch_execz .LBB856_776
; %bb.773:
	v_bfe_u32 v16, v5, 16, 7
	s_movk_i32 s7, 0x7f
	v_cmp_ne_u32_e32 vcc, s7, v16
	v_mov_b32_e32 v15, 0x7f80
	s_and_saveexec_b64 s[10:11], vcc
	s_cbranch_execz .LBB856_775
; %bb.774:
	v_and_b32_e32 v15, 7, v2
	v_ffbh_u32_e32 v18, v15
	v_min_u32_e32 v20, 32, v18
	v_subrev_u32_e32 v18, 28, v20
	v_lshlrev_b64 v[18:19], v18, v[2:3]
	v_lshrrev_b32_e32 v17, 3, v16
	v_sub_u32_e32 v2, 29, v20
	v_and_b32_e32 v18, 7, v18
	v_cmp_gt_u32_e32 vcc, 8, v16
	v_mov_b32_e32 v16, 24
	v_cndmask_b32_e32 v2, v17, v2, vcc
	v_cndmask_b32_e32 v15, v15, v18, vcc
	v_lshlrev_b32_sdwa v16, v16, v5 dst_sel:DWORD dst_unused:UNUSED_PAD src0_sel:DWORD src1_sel:WORD_1
	v_bfrev_b32_e32 v17, 60
	v_lshlrev_b32_e32 v15, 20, v15
	v_and_b32_e32 v16, 0x80000000, v16
	v_lshl_add_u32 v2, v2, 23, v17
	v_or3_b32 v2, v16, v2, v15
	v_lshrrev_b32_e32 v15, 16, v2
.LBB856_775:
	s_or_b64 exec, exec, s[10:11]
.LBB856_776:
	s_or_b64 exec, exec, s[8:9]
.LBB856_777:
	s_or_b64 exec, exec, s[2:3]
	s_mov_b32 s2, 0xffffff
	v_cmp_lt_u32_e32 vcc, s2, v5
	s_and_saveexec_b64 s[2:3], vcc
	s_cbranch_execz .LBB856_783
; %bb.778:
	v_lshrrev_b32_e32 v2, 24, v5
	s_movk_i32 s7, 0x80
	v_cmp_ne_u32_e32 vcc, s7, v2
	v_mov_b32_e32 v14, 0xffff8000
	s_and_saveexec_b64 s[8:9], vcc
	s_cbranch_execz .LBB856_782
; %bb.779:
	v_bfe_u32 v5, v5, 24, 7
	s_movk_i32 s7, 0x7f
	v_cmp_ne_u32_e32 vcc, s7, v5
	v_mov_b32_e32 v14, 0x7f80
	s_and_saveexec_b64 s[10:11], vcc
	s_cbranch_execz .LBB856_781
; %bb.780:
	v_and_b32_e32 v14, 7, v2
	v_ffbh_u32_e32 v16, v14
	v_min_u32_e32 v19, 32, v16
	v_subrev_u32_e32 v16, 28, v19
	v_lshlrev_b64 v[16:17], v16, v[2:3]
	v_lshrrev_b32_e32 v18, 3, v5
	v_sub_u32_e32 v17, 29, v19
	v_and_b32_e32 v16, 7, v16
	v_cmp_gt_u32_e32 vcc, 8, v5
	v_cndmask_b32_e32 v5, v18, v17, vcc
	v_cndmask_b32_e32 v14, v14, v16, vcc
	v_lshlrev_b32_e32 v2, 24, v2
	v_bfrev_b32_e32 v16, 60
	v_lshlrev_b32_e32 v14, 20, v14
	v_and_b32_e32 v2, 0x80000000, v2
	v_lshl_add_u32 v5, v5, 23, v16
	v_or3_b32 v2, v2, v5, v14
	v_lshrrev_b32_e32 v14, 16, v2
.LBB856_781:
	s_or_b64 exec, exec, s[10:11]
.LBB856_782:
	s_or_b64 exec, exec, s[8:9]
.LBB856_783:
	s_or_b64 exec, exec, s[2:3]
	s_mov_b32 s3, 0x5040100
	v_perm_b32 v11, v11, v12, s3
	ds_read_b128 v[16:19], v22 offset:6160
	v_perm_b32 v10, v3, v10, s3
	v_perm_b32 v3, v14, v15, s3
	v_perm_b32 v2, v4, v13, s3
	s_waitcnt lgkmcnt(0)
	v_mfma_f32_16x16x16bf16_1k v[6:9], v[10:11], v[16:17], v[6:9]
	s_load_dword s2, s[42:43], 0x0
	s_mov_b32 s3, 0x7060302
	s_movk_i32 s7, 0x7fff
	v_cmp_gt_u32_e32 vcc, 64, v0
	s_and_b64 s[0:1], vcc, s[0:1]
	s_waitcnt lgkmcnt(0)
	s_barrier
	v_mfma_f32_16x16x16bf16_1k v[2:5], v[2:3], v[18:19], v[6:9]
	s_nop 7
	s_nop 2
	v_pk_mul_f32 v[4:5], v[4:5], s[2:3] op_sel_hi:[1,0]
	v_pk_mul_f32 v[2:3], v[2:3], s[2:3] op_sel_hi:[1,0]
	v_bfe_u32 v6, v3, 16, 1
	v_bfe_u32 v7, v2, 16, 1
	;; [unrolled: 1-line block ×4, first 2 shown]
	v_add3_u32 v2, v2, v7, s7
	v_add3_u32 v3, v3, v6, s7
	;; [unrolled: 1-line block ×4, first 2 shown]
	v_perm_b32 v2, v3, v2, s3
	v_perm_b32 v3, v5, v4, s3
	ds_write_b64 v28, v[2:3]
	s_waitcnt lgkmcnt(0)
	s_barrier
	s_and_saveexec_b64 s[2:3], s[0:1]
	s_cbranch_execz .LBB856_786
; %bb.784:
	s_load_dwordx2 s[2:3], s[4:5], 0x68
	s_lshl_b32 s0, s44, 6
	s_mul_i32 s1, s12, s6
	s_mul_hi_u32 s7, s1, s0
	s_mul_i32 s6, s1, s0
	s_lshl_b64 s[6:7], s[6:7], 1
	s_waitcnt lgkmcnt(0)
	s_add_u32 s1, s2, s6
	v_lshlrev_b32_e32 v0, 10, v0
	s_mov_b32 s5, 0
	s_addc_u32 s6, s3, s7
	s_lshl_b32 s4, s24, 6
	v_and_b32_e32 v0, 0x1800, v0
	v_lshlrev_b32_e32 v2, 5, v1
	v_and_b32_e32 v3, 16, v47
	s_lshl_b64 s[2:3], s[4:5], 1
	v_or3_b32 v0, v0, v2, v3
	s_add_u32 s1, s1, s2
	s_addc_u32 s2, s6, s3
	ds_read_b128 v[4:7], v0 offset:128
	ds_read_b128 v[8:11], v0
	v_add_u32_e32 v14, s25, v1
	v_mov_b32_e32 v3, s2
	v_add_co_u32_e32 v2, vcc, s1, v46
	v_mad_u64_u32 v[12:13], s[2:3], v14, s0, 0
	v_addc_co_u32_e32 v3, vcc, 0, v3, vcc
	v_lshlrev_b64 v[12:13], 1, v[12:13]
	v_add_co_u32_e32 v12, vcc, v2, v12
	v_addc_co_u32_e32 v13, vcc, v3, v13, vcc
	s_waitcnt lgkmcnt(0)
	global_store_dwordx4 v[12:13], v[8:11], off
	s_nop 0
	v_add_u32_e32 v8, 4, v14
	v_mad_u64_u32 v[8:9], s[2:3], v8, s0, 0
	v_lshlrev_b64 v[8:9], 1, v[8:9]
	v_add_co_u32_e32 v8, vcc, v2, v8
	v_addc_co_u32_e32 v9, vcc, v3, v9, vcc
	v_cmp_ne_u32_e32 vcc, 3, v1
	global_store_dwordx4 v[8:9], v[4:7], off
	s_and_b64 exec, exec, vcc
	s_cbranch_execz .LBB856_786
; %bb.785:
	ds_read_b128 v[4:7], v0 offset:256
	v_add3_u32 v0, s25, v1, 8
	v_mad_u64_u32 v[0:1], s[0:1], v0, s0, 0
	v_lshlrev_b64 v[0:1], 1, v[0:1]
	v_add_co_u32_e32 v0, vcc, v2, v0
	v_addc_co_u32_e32 v1, vcc, v3, v1, vcc
	s_waitcnt lgkmcnt(0)
	global_store_dwordx4 v[0:1], v[4:7], off
.LBB856_786:
	s_endpgm
	.section	.rodata,"a",@progbits
	.p2align	6, 0x0
	.amdhsa_kernel _Z39paged_attention_ll4mi_QKV_mfma16_kernelI14__hip_bfloat16hLN4vllm18Fp8KVCacheDataTypeE1ES0_Li16ELi64ELi256ELb0ELi11EL8MFMAType0EEvPKT_PKT0_S9_ifPKiSB_SB_iPKfiiiPfSE_PS4_PT2_iSD_SD_
		.amdhsa_group_segment_fixed_size 8192
		.amdhsa_private_segment_fixed_size 0
		.amdhsa_kernarg_size 400
		.amdhsa_user_sgpr_count 6
		.amdhsa_user_sgpr_private_segment_buffer 1
		.amdhsa_user_sgpr_dispatch_ptr 0
		.amdhsa_user_sgpr_queue_ptr 0
		.amdhsa_user_sgpr_kernarg_segment_ptr 1
		.amdhsa_user_sgpr_dispatch_id 0
		.amdhsa_user_sgpr_flat_scratch_init 0
		.amdhsa_user_sgpr_kernarg_preload_length 0
		.amdhsa_user_sgpr_kernarg_preload_offset 0
		.amdhsa_user_sgpr_private_segment_size 0
		.amdhsa_uses_dynamic_stack 0
		.amdhsa_system_sgpr_private_segment_wavefront_offset 0
		.amdhsa_system_sgpr_workgroup_id_x 1
		.amdhsa_system_sgpr_workgroup_id_y 1
		.amdhsa_system_sgpr_workgroup_id_z 1
		.amdhsa_system_sgpr_workgroup_info 0
		.amdhsa_system_vgpr_workitem_id 0
		.amdhsa_next_free_vgpr 61
		.amdhsa_next_free_sgpr 47
		.amdhsa_accum_offset 64
		.amdhsa_reserve_vcc 1
		.amdhsa_reserve_flat_scratch 0
		.amdhsa_float_round_mode_32 0
		.amdhsa_float_round_mode_16_64 0
		.amdhsa_float_denorm_mode_32 3
		.amdhsa_float_denorm_mode_16_64 3
		.amdhsa_dx10_clamp 1
		.amdhsa_ieee_mode 1
		.amdhsa_fp16_overflow 0
		.amdhsa_tg_split 0
		.amdhsa_exception_fp_ieee_invalid_op 0
		.amdhsa_exception_fp_denorm_src 0
		.amdhsa_exception_fp_ieee_div_zero 0
		.amdhsa_exception_fp_ieee_overflow 0
		.amdhsa_exception_fp_ieee_underflow 0
		.amdhsa_exception_fp_ieee_inexact 0
		.amdhsa_exception_int_div_zero 0
	.end_amdhsa_kernel
	.section	.text._Z39paged_attention_ll4mi_QKV_mfma16_kernelI14__hip_bfloat16hLN4vllm18Fp8KVCacheDataTypeE1ES0_Li16ELi64ELi256ELb0ELi11EL8MFMAType0EEvPKT_PKT0_S9_ifPKiSB_SB_iPKfiiiPfSE_PS4_PT2_iSD_SD_,"axG",@progbits,_Z39paged_attention_ll4mi_QKV_mfma16_kernelI14__hip_bfloat16hLN4vllm18Fp8KVCacheDataTypeE1ES0_Li16ELi64ELi256ELb0ELi11EL8MFMAType0EEvPKT_PKT0_S9_ifPKiSB_SB_iPKfiiiPfSE_PS4_PT2_iSD_SD_,comdat
.Lfunc_end856:
	.size	_Z39paged_attention_ll4mi_QKV_mfma16_kernelI14__hip_bfloat16hLN4vllm18Fp8KVCacheDataTypeE1ES0_Li16ELi64ELi256ELb0ELi11EL8MFMAType0EEvPKT_PKT0_S9_ifPKiSB_SB_iPKfiiiPfSE_PS4_PT2_iSD_SD_, .Lfunc_end856-_Z39paged_attention_ll4mi_QKV_mfma16_kernelI14__hip_bfloat16hLN4vllm18Fp8KVCacheDataTypeE1ES0_Li16ELi64ELi256ELb0ELi11EL8MFMAType0EEvPKT_PKT0_S9_ifPKiSB_SB_iPKfiiiPfSE_PS4_PT2_iSD_SD_
                                        ; -- End function
	.section	.AMDGPU.csdata,"",@progbits
; Kernel info:
; codeLenInByte = 28328
; NumSgprs: 51
; NumVgprs: 61
; NumAgprs: 0
; TotalNumVgprs: 61
; ScratchSize: 0
; MemoryBound: 0
; FloatMode: 240
; IeeeMode: 1
; LDSByteSize: 8192 bytes/workgroup (compile time only)
; SGPRBlocks: 6
; VGPRBlocks: 7
; NumSGPRsForWavesPerEU: 51
; NumVGPRsForWavesPerEU: 61
; AccumOffset: 64
; Occupancy: 8
; WaveLimiterHint : 1
; COMPUTE_PGM_RSRC2:SCRATCH_EN: 0
; COMPUTE_PGM_RSRC2:USER_SGPR: 6
; COMPUTE_PGM_RSRC2:TRAP_HANDLER: 0
; COMPUTE_PGM_RSRC2:TGID_X_EN: 1
; COMPUTE_PGM_RSRC2:TGID_Y_EN: 1
; COMPUTE_PGM_RSRC2:TGID_Z_EN: 1
; COMPUTE_PGM_RSRC2:TIDIG_COMP_CNT: 0
; COMPUTE_PGM_RSRC3_GFX90A:ACCUM_OFFSET: 15
; COMPUTE_PGM_RSRC3_GFX90A:TG_SPLIT: 0
	.section	.text._Z39paged_attention_ll4mi_QKV_mfma16_kernelI14__hip_bfloat16hLN4vllm18Fp8KVCacheDataTypeE1ES0_Li16ELi64ELi256ELb0ELi12EL8MFMAType0EEvPKT_PKT0_S9_ifPKiSB_SB_iPKfiiiPfSE_PS4_PT2_iSD_SD_,"axG",@progbits,_Z39paged_attention_ll4mi_QKV_mfma16_kernelI14__hip_bfloat16hLN4vllm18Fp8KVCacheDataTypeE1ES0_Li16ELi64ELi256ELb0ELi12EL8MFMAType0EEvPKT_PKT0_S9_ifPKiSB_SB_iPKfiiiPfSE_PS4_PT2_iSD_SD_,comdat
	.protected	_Z39paged_attention_ll4mi_QKV_mfma16_kernelI14__hip_bfloat16hLN4vllm18Fp8KVCacheDataTypeE1ES0_Li16ELi64ELi256ELb0ELi12EL8MFMAType0EEvPKT_PKT0_S9_ifPKiSB_SB_iPKfiiiPfSE_PS4_PT2_iSD_SD_ ; -- Begin function _Z39paged_attention_ll4mi_QKV_mfma16_kernelI14__hip_bfloat16hLN4vllm18Fp8KVCacheDataTypeE1ES0_Li16ELi64ELi256ELb0ELi12EL8MFMAType0EEvPKT_PKT0_S9_ifPKiSB_SB_iPKfiiiPfSE_PS4_PT2_iSD_SD_
	.globl	_Z39paged_attention_ll4mi_QKV_mfma16_kernelI14__hip_bfloat16hLN4vllm18Fp8KVCacheDataTypeE1ES0_Li16ELi64ELi256ELb0ELi12EL8MFMAType0EEvPKT_PKT0_S9_ifPKiSB_SB_iPKfiiiPfSE_PS4_PT2_iSD_SD_
	.p2align	8
	.type	_Z39paged_attention_ll4mi_QKV_mfma16_kernelI14__hip_bfloat16hLN4vllm18Fp8KVCacheDataTypeE1ES0_Li16ELi64ELi256ELb0ELi12EL8MFMAType0EEvPKT_PKT0_S9_ifPKiSB_SB_iPKfiiiPfSE_PS4_PT2_iSD_SD_,@function
_Z39paged_attention_ll4mi_QKV_mfma16_kernelI14__hip_bfloat16hLN4vllm18Fp8KVCacheDataTypeE1ES0_Li16ELi64ELi256ELb0ELi12EL8MFMAType0EEvPKT_PKT0_S9_ifPKiSB_SB_iPKfiiiPfSE_PS4_PT2_iSD_SD_: ; @_Z39paged_attention_ll4mi_QKV_mfma16_kernelI14__hip_bfloat16hLN4vllm18Fp8KVCacheDataTypeE1ES0_Li16ELi64ELi256ELb0ELi12EL8MFMAType0EEvPKT_PKT0_S9_ifPKiSB_SB_iPKfiiiPfSE_PS4_PT2_iSD_SD_
; %bb.0:
	s_load_dwordx2 s[0:1], s[4:5], 0x30
	s_mov_b32 s24, s7
	s_mov_b64 s[10:11], 0
	s_waitcnt lgkmcnt(0)
	s_cmp_lg_u64 s[0:1], 0
	s_cselect_b64 s[2:3], -1, 0
	s_and_b64 vcc, exec, s[2:3]
	s_cbranch_vccz .LBB857_7
; %bb.1:
	s_add_i32 s12, s6, 1
	s_mov_b32 s13, 0
	s_lshl_b64 s[14:15], s[12:13], 2
	s_add_u32 s14, s0, s14
	s_mov_b32 s7, s13
	s_addc_u32 s15, s1, s15
	s_lshl_b64 s[12:13], s[6:7], 2
	s_add_u32 s12, s0, s12
	s_addc_u32 s13, s1, s13
	s_load_dword s9, s[14:15], 0x0
	s_load_dword s16, s[12:13], 0x0
	s_waitcnt lgkmcnt(0)
	s_sub_i32 s9, s9, s16
	s_cmp_eq_u32 s9, 1
	s_cselect_b64 s[12:13], -1, 0
	s_andn2_b64 vcc, exec, s[10:11]
	s_cbranch_vccnz .LBB857_3
.LBB857_2:
	s_mov_b32 s7, 0
	s_mov_b64 s[12:13], -1
.LBB857_3:
	s_andn2_b64 vcc, exec, s[12:13]
	s_cbranch_vccnz .LBB857_785
; %bb.4:
	s_load_dwordx2 s[12:13], s[4:5], 0x28
	s_lshl_b64 s[10:11], s[6:7], 2
	s_waitcnt lgkmcnt(0)
	s_add_u32 s12, s12, s10
	s_addc_u32 s13, s13, s11
	s_load_dword s33, s[12:13], 0x0
	s_lshl_b32 s20, s24, 8
	s_waitcnt lgkmcnt(0)
	s_cmp_ge_i32 s20, s33
	s_cbranch_scc1 .LBB857_785
; %bb.5:
	s_add_i32 s14, s33, 15
	s_load_dwordx2 s[12:13], s[4:5], 0x20
	s_load_dword s9, s[4:5], 0x38
	s_ashr_i32 s15, s14, 31
	v_and_b32_e32 v1, 0xcf, v0
	s_lshr_b32 s15, s15, 28
	v_add_u32_e32 v1, s20, v1
	s_add_i32 s14, s14, s15
	v_ashrrev_i32_e32 v2, 31, v1
	s_ashr_i32 s22, s14, 4
	v_lshrrev_b32_e32 v4, 28, v2
	s_add_i32 s22, s22, -1
	v_add_u32_e32 v2, v1, v4
	s_waitcnt lgkmcnt(0)
	s_mul_i32 s14, s6, s9
	s_mov_b32 s15, 0
	v_ashrrev_i32_e32 v2, 4, v2
	v_mov_b32_e32 v5, s22
	v_cmp_gt_i32_e32 vcc, s33, v1
	s_lshl_b64 s[14:15], s[14:15], 2
	v_cndmask_b32_e32 v2, v5, v2, vcc
	s_add_u32 s9, s12, s14
	v_ashrrev_i32_e32 v3, 31, v2
	s_addc_u32 s21, s13, s15
	v_lshlrev_b64 v[2:3], 2, v[2:3]
	v_mov_b32_e32 v7, s21
	v_add_co_u32_e32 v6, vcc, s9, v2
	v_or_b32_e32 v2, 16, v1
	v_addc_co_u32_e32 v7, vcc, v7, v3, vcc
	v_add_u32_e32 v3, v2, v4
	v_ashrrev_i32_e32 v3, 4, v3
	v_cmp_gt_i32_e32 vcc, s33, v2
	v_cndmask_b32_e32 v2, v5, v3, vcc
	v_ashrrev_i32_e32 v3, 31, v2
	v_lshlrev_b64 v[2:3], 2, v[2:3]
	v_mov_b32_e32 v9, s21
	v_add_co_u32_e32 v8, vcc, s9, v2
	v_or_b32_e32 v2, 32, v1
	v_addc_co_u32_e32 v9, vcc, v9, v3, vcc
	v_add_u32_e32 v3, v2, v4
	v_ashrrev_i32_e32 v3, 4, v3
	v_cmp_gt_i32_e32 vcc, s33, v2
	v_cndmask_b32_e32 v2, v5, v3, vcc
	v_ashrrev_i32_e32 v3, 31, v2
	;; [unrolled: 10-line block ×3, first 2 shown]
	v_lshlrev_b64 v[2:3], 2, v[2:3]
	v_mov_b32_e32 v1, s21
	v_add_co_u32_e32 v12, vcc, s9, v2
	v_addc_co_u32_e32 v13, vcc, v1, v3, vcc
	global_load_dword v4, v[6:7], off
	global_load_dword v5, v[8:9], off
	;; [unrolled: 1-line block ×4, first 2 shown]
	s_load_dwordx4 s[12:15], s[4:5], 0x8
	s_andn2_b64 vcc, exec, s[2:3]
	s_cbranch_vccnz .LBB857_8
; %bb.6:
	s_add_u32 s0, s0, s10
	s_addc_u32 s1, s1, s11
	s_load_dword s10, s[0:1], 0x0
	s_branch .LBB857_9
.LBB857_7:
	s_mov_b64 s[12:13], 0
	s_branch .LBB857_2
.LBB857_8:
	s_mov_b32 s10, s6
.LBB857_9:
	s_load_dwordx4 s[16:19], s[4:5], 0x48
	v_and_b32_e32 v48, 15, v0
	s_movk_i32 s0, 0xc0
	v_lshlrev_b32_e32 v6, 3, v48
	v_cmp_gt_u32_e32 vcc, s0, v0
	v_cmp_gt_u32_e64 s[0:1], 8, v48
	v_lshrrev_b32_e32 v49, 6, v0
	v_bfe_u32 v1, v0, 4, 2
	s_mul_i32 s25, s8, 12
	s_and_b64 s[26:27], vcc, s[0:1]
	v_lshlrev_b32_e32 v46, 1, v6
	v_lshlrev_b32_e32 v47, 4, v0
	s_and_saveexec_b64 s[2:3], s[26:27]
	s_cbranch_execz .LBB857_11
; %bb.10:
	s_load_dwordx2 s[26:27], s[4:5], 0x0
	s_waitcnt lgkmcnt(0)
	s_ashr_i32 s11, s16, 31
	s_mul_hi_u32 s19, s10, s16
	s_mul_i32 s11, s10, s11
	v_lshl_or_b32 v10, v49, 2, v1
	s_add_i32 s11, s19, s11
	s_mul_i32 s10, s10, s16
	s_lshl_b64 s[10:11], s[10:11], 1
	v_add_lshl_u32 v6, v10, s25, 6
	s_add_u32 s10, s26, s10
	v_ashrrev_i32_e32 v7, 31, v6
	s_addc_u32 s11, s27, s11
	v_lshlrev_b64 v[6:7], 1, v[6:7]
	v_mov_b32_e32 v8, s11
	v_add_co_u32_e32 v6, vcc, s10, v6
	v_addc_co_u32_e32 v7, vcc, v8, v7, vcc
	v_add_co_u32_e32 v6, vcc, v6, v46
	v_addc_co_u32_e32 v7, vcc, 0, v7, vcc
	global_load_dwordx4 v[6:9], v[6:7], off
	v_lshlrev_b32_e32 v12, 8, v48
	v_lshlrev_b32_e32 v10, 5, v10
	v_and_b32_e32 v11, 16, v47
	v_and_b32_e32 v12, 0xe00, v12
	v_or3_b32 v10, v12, v10, v11
	s_waitcnt vmcnt(0)
	ds_write_b128 v10, v[6:9]
.LBB857_11:
	s_or_b64 exec, exec, s[2:3]
	v_and_b32_e32 v12, 48, v0
	v_or_b32_e32 v13, s20, v12
	v_ashrrev_i32_e32 v6, 4, v13
	v_mov_b32_e32 v14, s22
	v_cmp_gt_i32_e32 vcc, s33, v13
	v_cndmask_b32_e32 v6, v14, v6, vcc
	v_ashrrev_i32_e32 v7, 31, v6
	v_lshlrev_b64 v[6:7], 2, v[6:7]
	v_mov_b32_e32 v8, s21
	v_add_co_u32_e32 v6, vcc, s9, v6
	v_addc_co_u32_e32 v7, vcc, v8, v7, vcc
	v_or_b32_e32 v8, 64, v13
	v_ashrrev_i32_e32 v9, 4, v8
	v_cmp_gt_i32_e32 vcc, s33, v8
	v_cndmask_b32_e32 v8, v14, v9, vcc
	v_ashrrev_i32_e32 v9, 31, v8
	v_lshlrev_b64 v[8:9], 2, v[8:9]
	v_mov_b32_e32 v10, s21
	v_add_co_u32_e32 v8, vcc, s9, v8
	v_addc_co_u32_e32 v9, vcc, v10, v9, vcc
	v_or_b32_e32 v10, 0x80, v13
	v_ashrrev_i32_e32 v11, 4, v10
	v_cmp_gt_i32_e32 vcc, s33, v10
	v_cndmask_b32_e32 v10, v14, v11, vcc
	v_ashrrev_i32_e32 v11, 31, v10
	v_lshlrev_b64 v[10:11], 2, v[10:11]
	v_mov_b32_e32 v15, s21
	v_add_co_u32_e32 v10, vcc, s9, v10
	s_load_dwordx2 s[44:45], s[4:5], 0x94
	s_load_dwordx4 s[40:43], s[4:5], 0x80
	s_waitcnt lgkmcnt(0)
	s_barrier
	v_addc_co_u32_e32 v11, vcc, v15, v11, vcc
	global_load_dword v15, v[6:7], off
	global_load_dword v16, v[8:9], off
	global_load_dword v18, v[10:11], off
	v_or_b32_e32 v6, 0xc0, v13
	v_ashrrev_i32_e32 v7, 4, v6
	v_cmp_gt_i32_e32 vcc, s33, v6
	v_cndmask_b32_e32 v6, v14, v7, vcc
	v_ashrrev_i32_e32 v7, 31, v6
	v_lshlrev_b64 v[6:7], 2, v[6:7]
	v_mov_b32_e32 v8, s21
	v_add_co_u32_e32 v6, vcc, s9, v6
	v_addc_co_u32_e32 v7, vcc, v8, v7, vcc
	global_load_dword v20, v[6:7], off
	s_mul_i32 s8, s8, s18
	s_add_u32 s2, s12, s8
	s_addc_u32 s3, s13, 0
	v_and_b32_e32 v6, 0xf0, v47
	v_mov_b32_e32 v7, s3
	v_add_co_u32_e32 v6, vcc, s2, v6
	v_addc_co_u32_e32 v7, vcc, 0, v7, vcc
	v_lshlrev_b32_e32 v8, 4, v12
	v_add_co_u32_e32 v6, vcc, v6, v8
	v_addc_co_u32_e32 v7, vcc, 0, v7, vcc
	s_waitcnt vmcnt(7)
	v_mad_i64_i32 v[8:9], s[2:3], v4, s17, v[6:7]
	s_waitcnt vmcnt(6)
	v_mad_i64_i32 v[4:5], s[2:3], v5, s17, v[6:7]
	global_load_dwordx4 v[30:33], v[8:9], off
	global_load_dwordx4 v[38:41], v[4:5], off
	s_waitcnt vmcnt(7)
	v_mad_i64_i32 v[4:5], s[2:3], v2, s17, v[6:7]
	s_waitcnt vmcnt(6)
	v_mad_i64_i32 v[2:3], s[2:3], v3, s17, v[6:7]
	global_load_dwordx4 v[34:37], v[4:5], off
	global_load_dwordx4 v[22:25], v[2:3], off
	s_add_u32 s2, s14, s8
	v_lshlrev_b32_e32 v2, 4, v48
	s_addc_u32 s3, s15, 0
	v_lshl_or_b32 v2, v49, 8, v2
	v_mov_b32_e32 v3, s3
	v_add_co_u32_e32 v2, vcc, s2, v2
	v_addc_co_u32_e32 v3, vcc, 0, v3, vcc
	v_cmp_gt_u32_e32 vcc, 12, v48
	v_mov_b32_e32 v44, 0
	v_mov_b32_e32 v43, 0
	s_movk_i32 s8, 0x80
	s_waitcnt vmcnt(7)
	v_mad_i64_i32 v[4:5], s[2:3], v15, s17, v[2:3]
	s_waitcnt vmcnt(6)
	v_mad_i64_i32 v[6:7], s[2:3], v16, s17, v[2:3]
	;; [unrolled: 2-line block ×3, first 2 shown]
	global_load_dwordx4 v[14:17], v[4:5], off
	global_load_dwordx4 v[10:13], v[6:7], off
	s_waitcnt vmcnt(6)
	v_mad_i64_i32 v[20:21], s[2:3], v20, s17, v[2:3]
	global_load_dwordx4 v[6:9], v[18:19], off
	global_load_dwordx4 v[2:5], v[20:21], off
	v_add_u32_e32 v18, -12, v48
	v_cndmask_b32_e32 v18, v18, v48, vcc
	v_lshlrev_b32_e32 v18, 5, v18
	v_lshl_add_u32 v18, v1, 9, v18
	ds_read_b128 v[26:29], v18
	ds_read_b128 v[18:21], v18 offset:16
	s_load_dword s12, s[40:41], 0x0
	s_waitcnt vmcnt(7)
	v_cmp_ne_u16_sdwa s[10:11], v30, v44 src0_sel:BYTE_0 src1_sel:DWORD
	s_and_saveexec_b64 s[2:3], s[10:11]
	s_cbranch_execz .LBB857_17
; %bb.12:
	v_cmp_ne_u16_sdwa s[10:11], v30, s8 src0_sel:BYTE_0 src1_sel:DWORD
	v_mov_b32_e32 v43, 0xffff8000
	s_and_saveexec_b64 s[8:9], s[10:11]
	s_cbranch_execz .LBB857_16
; %bb.13:
	s_movk_i32 s10, 0x7f
	v_and_b32_e32 v42, 0x7f, v30
	v_cmp_ne_u32_e32 vcc, s10, v42
	v_mov_b32_e32 v43, 0x7f80
	s_and_saveexec_b64 s[10:11], vcc
	s_cbranch_execz .LBB857_15
; %bb.14:
	v_and_b32_e32 v43, 7, v30
	v_ffbh_u32_e32 v50, v43
	v_min_u32_e32 v52, 32, v50
	v_subrev_u32_e32 v50, 28, v52
	v_lshlrev_b64 v[50:51], v50, v[30:31]
	v_lshrrev_b32_e32 v45, 3, v42
	v_sub_u32_e32 v51, 29, v52
	v_and_b32_e32 v50, 7, v50
	v_cmp_gt_u32_e32 vcc, 8, v42
	v_cndmask_b32_e32 v42, v45, v51, vcc
	v_cndmask_b32_e32 v43, v43, v50, vcc
	v_lshlrev_b32_e32 v45, 24, v30
	v_bfrev_b32_e32 v50, 60
	v_lshlrev_b32_e32 v43, 20, v43
	v_and_b32_e32 v45, 0x80000000, v45
	v_lshl_add_u32 v42, v42, 23, v50
	v_or3_b32 v42, v45, v42, v43
	v_lshrrev_b32_e32 v43, 16, v42
.LBB857_15:
	s_or_b64 exec, exec, s[10:11]
.LBB857_16:
	s_or_b64 exec, exec, s[8:9]
.LBB857_17:
	s_or_b64 exec, exec, s[2:3]
	v_lshrrev_b16_e32 v42, 8, v30
	v_cmp_ne_u16_e32 vcc, 0, v42
	s_and_saveexec_b64 s[2:3], vcc
	s_cbranch_execz .LBB857_23
; %bb.18:
	s_movk_i32 s8, 0x80
	v_cmp_ne_u16_e32 vcc, s8, v42
	v_mov_b32_e32 v44, 0xffff8000
	s_and_saveexec_b64 s[8:9], vcc
	s_cbranch_execz .LBB857_22
; %bb.19:
	s_movk_i32 s10, 0x7f
	v_and_b32_e32 v45, 0x7f, v42
	v_cmp_ne_u32_e32 vcc, s10, v45
	v_mov_b32_e32 v44, 0x7f80
	s_and_saveexec_b64 s[10:11], vcc
	s_cbranch_execz .LBB857_21
; %bb.20:
	v_and_b32_e32 v44, 7, v42
	v_ffbh_u32_e32 v50, v44
	v_min_u32_e32 v53, 32, v50
	v_subrev_u32_e32 v50, 28, v53
	v_lshlrev_b64 v[50:51], v50, v[42:43]
	v_lshrrev_b32_e32 v52, 3, v45
	v_sub_u32_e32 v42, 29, v53
	v_and_b32_e32 v50, 7, v50
	v_cmp_gt_u32_e32 vcc, 8, v45
	v_cndmask_b32_e32 v42, v52, v42, vcc
	v_cndmask_b32_e32 v44, v44, v50, vcc
	v_lshlrev_b32_e32 v45, 16, v30
	v_bfrev_b32_e32 v50, 60
	v_lshlrev_b32_e32 v44, 20, v44
	v_and_b32_e32 v45, 0x80000000, v45
	v_lshl_add_u32 v42, v42, 23, v50
	v_or3_b32 v42, v45, v42, v44
	v_lshrrev_b32_e32 v44, 16, v42
.LBB857_21:
	s_or_b64 exec, exec, s[10:11]
.LBB857_22:
	s_or_b64 exec, exec, s[8:9]
.LBB857_23:
	s_or_b64 exec, exec, s[2:3]
	s_movk_i32 s2, 0xff
	v_and_b32_sdwa v51, v30, s2 dst_sel:DWORD dst_unused:UNUSED_PAD src0_sel:WORD_1 src1_sel:DWORD
	v_lshrrev_b32_e32 v42, 16, v30
	v_cmp_ne_u16_e32 vcc, 0, v51
	v_mov_b32_e32 v45, 0
	v_mov_b32_e32 v50, 0
	s_and_saveexec_b64 s[2:3], vcc
	s_cbranch_execz .LBB857_29
; %bb.24:
	s_movk_i32 s8, 0x80
	v_cmp_ne_u16_e32 vcc, s8, v51
	v_mov_b32_e32 v50, 0xffff8000
	s_and_saveexec_b64 s[8:9], vcc
	s_cbranch_execz .LBB857_28
; %bb.25:
	v_bfe_u32 v51, v30, 16, 7
	s_movk_i32 s10, 0x7f
	v_cmp_ne_u32_e32 vcc, s10, v51
	v_mov_b32_e32 v50, 0x7f80
	s_and_saveexec_b64 s[10:11], vcc
	s_cbranch_execz .LBB857_27
; %bb.26:
	v_and_b32_e32 v50, 7, v42
	v_ffbh_u32_e32 v52, v50
	v_min_u32_e32 v55, 32, v52
	v_subrev_u32_e32 v52, 28, v55
	v_lshlrev_b64 v[52:53], v52, v[42:43]
	v_lshrrev_b32_e32 v54, 3, v51
	v_sub_u32_e32 v42, 29, v55
	v_and_b32_e32 v52, 7, v52
	v_cmp_gt_u32_e32 vcc, 8, v51
	v_mov_b32_e32 v51, 24
	v_cndmask_b32_e32 v42, v54, v42, vcc
	v_cndmask_b32_e32 v50, v50, v52, vcc
	v_lshlrev_b32_sdwa v51, v51, v30 dst_sel:DWORD dst_unused:UNUSED_PAD src0_sel:DWORD src1_sel:WORD_1
	v_bfrev_b32_e32 v52, 60
	v_lshlrev_b32_e32 v50, 20, v50
	v_and_b32_e32 v51, 0x80000000, v51
	v_lshl_add_u32 v42, v42, 23, v52
	v_or3_b32 v42, v51, v42, v50
	v_lshrrev_b32_e32 v50, 16, v42
.LBB857_27:
	s_or_b64 exec, exec, s[10:11]
.LBB857_28:
	s_or_b64 exec, exec, s[8:9]
.LBB857_29:
	s_or_b64 exec, exec, s[2:3]
	s_mov_b32 s2, 0xffffff
	v_cmp_lt_u32_e32 vcc, s2, v30
	s_and_saveexec_b64 s[2:3], vcc
	s_cbranch_execz .LBB857_35
; %bb.30:
	v_lshrrev_b32_e32 v42, 24, v30
	s_movk_i32 s8, 0x80
	v_cmp_ne_u32_e32 vcc, s8, v42
	v_mov_b32_e32 v45, 0xffff8000
	s_and_saveexec_b64 s[8:9], vcc
	s_cbranch_execz .LBB857_34
; %bb.31:
	v_bfe_u32 v30, v30, 24, 7
	s_movk_i32 s10, 0x7f
	v_cmp_ne_u32_e32 vcc, s10, v30
	v_mov_b32_e32 v45, 0x7f80
	s_and_saveexec_b64 s[10:11], vcc
	s_cbranch_execz .LBB857_33
; %bb.32:
	v_and_b32_e32 v45, 7, v42
	v_ffbh_u32_e32 v52, v45
	v_min_u32_e32 v54, 32, v52
	v_subrev_u32_e32 v52, 28, v54
	v_lshlrev_b64 v[52:53], v52, v[42:43]
	v_lshrrev_b32_e32 v51, 3, v30
	v_sub_u32_e32 v53, 29, v54
	v_and_b32_e32 v52, 7, v52
	v_cmp_gt_u32_e32 vcc, 8, v30
	v_cndmask_b32_e32 v30, v51, v53, vcc
	v_cndmask_b32_e32 v45, v45, v52, vcc
	v_lshlrev_b32_e32 v42, 24, v42
	v_bfrev_b32_e32 v51, 60
	v_lshlrev_b32_e32 v45, 20, v45
	v_and_b32_e32 v42, 0x80000000, v42
	v_lshl_add_u32 v30, v30, 23, v51
	v_or3_b32 v30, v42, v30, v45
	v_lshrrev_b32_e32 v45, 16, v30
.LBB857_33:
	s_or_b64 exec, exec, s[10:11]
.LBB857_34:
	s_or_b64 exec, exec, s[8:9]
.LBB857_35:
	s_or_b64 exec, exec, s[2:3]
	v_mov_b32_e32 v42, 0
	v_cmp_ne_u16_sdwa s[8:9], v31, v42 src0_sel:BYTE_0 src1_sel:DWORD
	v_mov_b32_e32 v51, 0
	s_and_saveexec_b64 s[2:3], s[8:9]
	s_cbranch_execz .LBB857_41
; %bb.36:
	s_movk_i32 s8, 0x80
	v_cmp_ne_u16_sdwa s[10:11], v31, s8 src0_sel:BYTE_0 src1_sel:DWORD
	v_mov_b32_e32 v51, 0xffff8000
	s_and_saveexec_b64 s[8:9], s[10:11]
	s_cbranch_execz .LBB857_40
; %bb.37:
	s_movk_i32 s10, 0x7f
	v_and_b32_e32 v30, 0x7f, v31
	v_cmp_ne_u32_e32 vcc, s10, v30
	v_mov_b32_e32 v51, 0x7f80
	s_and_saveexec_b64 s[10:11], vcc
	s_cbranch_execz .LBB857_39
; %bb.38:
	v_and_b32_e32 v51, 7, v31
	v_ffbh_u32_e32 v53, v51
	v_min_u32_e32 v55, 32, v53
	v_mov_b32_e32 v52, v31
	v_subrev_u32_e32 v53, 28, v55
	v_lshlrev_b64 v[52:53], v53, v[52:53]
	v_lshrrev_b32_e32 v54, 3, v30
	v_sub_u32_e32 v53, 29, v55
	v_and_b32_e32 v52, 7, v52
	v_cmp_gt_u32_e32 vcc, 8, v30
	v_cndmask_b32_e32 v30, v54, v53, vcc
	v_cndmask_b32_e32 v51, v51, v52, vcc
	v_lshlrev_b32_e32 v52, 24, v31
	v_bfrev_b32_e32 v53, 60
	v_lshlrev_b32_e32 v51, 20, v51
	v_and_b32_e32 v52, 0x80000000, v52
	v_lshl_add_u32 v30, v30, 23, v53
	v_or3_b32 v30, v52, v30, v51
	v_lshrrev_b32_e32 v51, 16, v30
.LBB857_39:
	s_or_b64 exec, exec, s[10:11]
.LBB857_40:
	s_or_b64 exec, exec, s[8:9]
.LBB857_41:
	s_or_b64 exec, exec, s[2:3]
	v_lshrrev_b16_e32 v30, 8, v31
	v_cmp_ne_u16_e32 vcc, 0, v30
	s_and_saveexec_b64 s[2:3], vcc
	s_cbranch_execz .LBB857_47
; %bb.42:
	s_movk_i32 s8, 0x80
	v_cmp_ne_u16_e32 vcc, s8, v30
	v_mov_b32_e32 v42, 0xffff8000
	s_and_saveexec_b64 s[8:9], vcc
	s_cbranch_execz .LBB857_46
; %bb.43:
	s_movk_i32 s10, 0x7f
	v_and_b32_e32 v52, 0x7f, v30
	v_cmp_ne_u32_e32 vcc, s10, v52
	v_mov_b32_e32 v42, 0x7f80
	s_and_saveexec_b64 s[10:11], vcc
	s_cbranch_execz .LBB857_45
; %bb.44:
	v_and_b32_e32 v42, 7, v30
	v_ffbh_u32_e32 v54, v42
	v_min_u32_e32 v56, 32, v54
	v_subrev_u32_e32 v54, 28, v56
	v_lshlrev_b64 v[54:55], v54, v[30:31]
	v_lshrrev_b32_e32 v53, 3, v52
	v_sub_u32_e32 v30, 29, v56
	v_and_b32_e32 v54, 7, v54
	v_cmp_gt_u32_e32 vcc, 8, v52
	v_cndmask_b32_e32 v30, v53, v30, vcc
	v_cndmask_b32_e32 v42, v42, v54, vcc
	v_lshlrev_b32_e32 v52, 16, v31
	v_bfrev_b32_e32 v53, 60
	v_lshlrev_b32_e32 v42, 20, v42
	v_and_b32_e32 v52, 0x80000000, v52
	v_lshl_add_u32 v30, v30, 23, v53
	v_or3_b32 v30, v52, v30, v42
	v_lshrrev_b32_e32 v42, 16, v30
.LBB857_45:
	s_or_b64 exec, exec, s[10:11]
.LBB857_46:
	s_or_b64 exec, exec, s[8:9]
.LBB857_47:
	s_or_b64 exec, exec, s[2:3]
	s_movk_i32 s2, 0xff
	v_and_b32_sdwa v54, v31, s2 dst_sel:DWORD dst_unused:UNUSED_PAD src0_sel:WORD_1 src1_sel:DWORD
	v_lshrrev_b32_e32 v30, 16, v31
	v_cmp_ne_u16_e32 vcc, 0, v54
	v_mov_b32_e32 v52, 0
	v_mov_b32_e32 v53, 0
	s_and_saveexec_b64 s[2:3], vcc
	s_cbranch_execz .LBB857_53
; %bb.48:
	s_movk_i32 s8, 0x80
	v_cmp_ne_u16_e32 vcc, s8, v54
	v_mov_b32_e32 v53, 0xffff8000
	s_and_saveexec_b64 s[8:9], vcc
	s_cbranch_execz .LBB857_52
; %bb.49:
	v_bfe_u32 v54, v31, 16, 7
	s_movk_i32 s10, 0x7f
	v_cmp_ne_u32_e32 vcc, s10, v54
	v_mov_b32_e32 v53, 0x7f80
	s_and_saveexec_b64 s[10:11], vcc
	s_cbranch_execz .LBB857_51
; %bb.50:
	v_and_b32_e32 v53, 7, v30
	v_ffbh_u32_e32 v56, v53
	v_min_u32_e32 v58, 32, v56
	v_subrev_u32_e32 v56, 28, v58
	v_lshlrev_b64 v[56:57], v56, v[30:31]
	v_lshrrev_b32_e32 v55, 3, v54
	v_sub_u32_e32 v30, 29, v58
	v_and_b32_e32 v56, 7, v56
	v_cmp_gt_u32_e32 vcc, 8, v54
	v_mov_b32_e32 v54, 24
	v_cndmask_b32_e32 v30, v55, v30, vcc
	v_cndmask_b32_e32 v53, v53, v56, vcc
	v_lshlrev_b32_sdwa v54, v54, v31 dst_sel:DWORD dst_unused:UNUSED_PAD src0_sel:DWORD src1_sel:WORD_1
	v_bfrev_b32_e32 v55, 60
	v_lshlrev_b32_e32 v53, 20, v53
	v_and_b32_e32 v54, 0x80000000, v54
	v_lshl_add_u32 v30, v30, 23, v55
	v_or3_b32 v30, v54, v30, v53
	v_lshrrev_b32_e32 v53, 16, v30
.LBB857_51:
	s_or_b64 exec, exec, s[10:11]
.LBB857_52:
	s_or_b64 exec, exec, s[8:9]
.LBB857_53:
	s_or_b64 exec, exec, s[2:3]
	s_mov_b32 s2, 0xffffff
	v_cmp_lt_u32_e32 vcc, s2, v31
	s_and_saveexec_b64 s[2:3], vcc
	s_cbranch_execz .LBB857_59
; %bb.54:
	v_lshrrev_b32_e32 v30, 24, v31
	s_movk_i32 s8, 0x80
	v_cmp_ne_u32_e32 vcc, s8, v30
	v_mov_b32_e32 v52, 0xffff8000
	s_and_saveexec_b64 s[8:9], vcc
	s_cbranch_execz .LBB857_58
; %bb.55:
	v_bfe_u32 v31, v31, 24, 7
	s_movk_i32 s10, 0x7f
	v_cmp_ne_u32_e32 vcc, s10, v31
	v_mov_b32_e32 v52, 0x7f80
	s_and_saveexec_b64 s[10:11], vcc
	s_cbranch_execz .LBB857_57
; %bb.56:
	v_and_b32_e32 v52, 7, v30
	v_ffbh_u32_e32 v54, v52
	v_min_u32_e32 v57, 32, v54
	v_subrev_u32_e32 v54, 28, v57
	v_lshlrev_b64 v[54:55], v54, v[30:31]
	v_lshrrev_b32_e32 v56, 3, v31
	v_sub_u32_e32 v55, 29, v57
	v_and_b32_e32 v54, 7, v54
	v_cmp_gt_u32_e32 vcc, 8, v31
	v_cndmask_b32_e32 v31, v56, v55, vcc
	v_cndmask_b32_e32 v52, v52, v54, vcc
	v_lshlrev_b32_e32 v30, 24, v30
	v_bfrev_b32_e32 v54, 60
	v_lshlrev_b32_e32 v52, 20, v52
	v_and_b32_e32 v30, 0x80000000, v30
	v_lshl_add_u32 v31, v31, 23, v54
	v_or3_b32 v30, v30, v31, v52
	v_lshrrev_b32_e32 v52, 16, v30
.LBB857_57:
	s_or_b64 exec, exec, s[10:11]
.LBB857_58:
	s_or_b64 exec, exec, s[8:9]
.LBB857_59:
	s_or_b64 exec, exec, s[2:3]
	s_mov_b32 s2, 0x5040100
	v_perm_b32 v31, v45, v50, s2
	v_perm_b32 v30, v44, v43, s2
	;; [unrolled: 1-line block ×4, first 2 shown]
	v_mov_b32_e32 v50, 0
	s_waitcnt lgkmcnt(0)
	v_mfma_f32_16x16x16bf16_1k v[54:57], v[30:31], v[26:27], 0
	v_mov_b32_e32 v31, 0
	v_cmp_ne_u16_sdwa s[8:9], v32, v31 src0_sel:BYTE_0 src1_sel:DWORD
	v_mfma_f32_16x16x16bf16_1k v[42:45], v[42:43], v[28:29], v[54:57]
	s_and_saveexec_b64 s[2:3], s[8:9]
	s_cbranch_execz .LBB857_65
; %bb.60:
	s_movk_i32 s8, 0x80
	v_cmp_ne_u16_sdwa s[10:11], v32, s8 src0_sel:BYTE_0 src1_sel:DWORD
	v_mov_b32_e32 v50, 0xffff8000
	s_and_saveexec_b64 s[8:9], s[10:11]
	s_cbranch_execz .LBB857_64
; %bb.61:
	s_movk_i32 s10, 0x7f
	v_and_b32_e32 v30, 0x7f, v32
	v_cmp_ne_u32_e32 vcc, s10, v30
	v_mov_b32_e32 v50, 0x7f80
	s_and_saveexec_b64 s[10:11], vcc
	s_cbranch_execz .LBB857_63
; %bb.62:
	v_and_b32_e32 v52, 7, v32
	v_ffbh_u32_e32 v50, v52
	v_min_u32_e32 v54, 32, v50
	v_subrev_u32_e32 v50, 28, v54
	v_lshlrev_b64 v[50:51], v50, v[32:33]
	v_lshrrev_b32_e32 v53, 3, v30
	v_sub_u32_e32 v51, 29, v54
	v_and_b32_e32 v50, 7, v50
	v_cmp_gt_u32_e32 vcc, 8, v30
	v_cndmask_b32_e32 v30, v53, v51, vcc
	v_cndmask_b32_e32 v50, v52, v50, vcc
	v_lshlrev_b32_e32 v51, 24, v32
	v_bfrev_b32_e32 v52, 60
	v_lshlrev_b32_e32 v50, 20, v50
	v_and_b32_e32 v51, 0x80000000, v51
	v_lshl_add_u32 v30, v30, 23, v52
	v_or3_b32 v30, v51, v30, v50
	v_lshrrev_b32_e32 v50, 16, v30
.LBB857_63:
	s_or_b64 exec, exec, s[10:11]
.LBB857_64:
	s_or_b64 exec, exec, s[8:9]
.LBB857_65:
	s_or_b64 exec, exec, s[2:3]
	v_lshrrev_b16_e32 v30, 8, v32
	v_cmp_ne_u16_e32 vcc, 0, v30
	s_and_saveexec_b64 s[2:3], vcc
	s_cbranch_execz .LBB857_71
; %bb.66:
	s_movk_i32 s8, 0x80
	v_cmp_ne_u16_e32 vcc, s8, v30
	v_mov_b32_e32 v31, 0xffff8000
	s_and_saveexec_b64 s[8:9], vcc
	s_cbranch_execz .LBB857_70
; %bb.67:
	s_movk_i32 s10, 0x7f
	v_and_b32_e32 v51, 0x7f, v30
	v_cmp_ne_u32_e32 vcc, s10, v51
	v_mov_b32_e32 v31, 0x7f80
	s_and_saveexec_b64 s[10:11], vcc
	s_cbranch_execz .LBB857_69
; %bb.68:
	v_and_b32_e32 v52, 7, v30
	v_ffbh_u32_e32 v31, v52
	v_min_u32_e32 v54, 32, v31
	v_subrev_u32_e32 v31, 28, v54
	v_lshlrev_b64 v[30:31], v31, v[30:31]
	v_lshrrev_b32_e32 v53, 3, v51
	v_sub_u32_e32 v31, 29, v54
	v_and_b32_e32 v30, 7, v30
	v_cmp_gt_u32_e32 vcc, 8, v51
	v_cndmask_b32_e32 v31, v53, v31, vcc
	v_cndmask_b32_e32 v30, v52, v30, vcc
	v_lshlrev_b32_e32 v51, 16, v32
	v_bfrev_b32_e32 v52, 60
	v_lshlrev_b32_e32 v30, 20, v30
	v_and_b32_e32 v51, 0x80000000, v51
	v_lshl_add_u32 v31, v31, 23, v52
	v_or3_b32 v30, v51, v31, v30
	v_lshrrev_b32_e32 v31, 16, v30
.LBB857_69:
	s_or_b64 exec, exec, s[10:11]
.LBB857_70:
	s_or_b64 exec, exec, s[8:9]
.LBB857_71:
	s_or_b64 exec, exec, s[2:3]
	s_movk_i32 s2, 0xff
	v_and_b32_sdwa v53, v32, s2 dst_sel:DWORD dst_unused:UNUSED_PAD src0_sel:WORD_1 src1_sel:DWORD
	v_lshrrev_b32_e32 v30, 16, v32
	v_cmp_ne_u16_e32 vcc, 0, v53
	v_mov_b32_e32 v51, 0
	v_mov_b32_e32 v52, 0
	s_and_saveexec_b64 s[2:3], vcc
	s_cbranch_execz .LBB857_77
; %bb.72:
	s_movk_i32 s8, 0x80
	v_cmp_ne_u16_e32 vcc, s8, v53
	v_mov_b32_e32 v52, 0xffff8000
	s_and_saveexec_b64 s[8:9], vcc
	s_cbranch_execz .LBB857_76
; %bb.73:
	v_bfe_u32 v53, v32, 16, 7
	s_movk_i32 s10, 0x7f
	v_cmp_ne_u32_e32 vcc, s10, v53
	v_mov_b32_e32 v52, 0x7f80
	s_and_saveexec_b64 s[10:11], vcc
	s_cbranch_execz .LBB857_75
; %bb.74:
	v_and_b32_e32 v52, 7, v30
	v_ffbh_u32_e32 v54, v52
	v_min_u32_e32 v57, 32, v54
	v_subrev_u32_e32 v54, 28, v57
	v_lshlrev_b64 v[54:55], v54, v[30:31]
	v_lshrrev_b32_e32 v56, 3, v53
	v_sub_u32_e32 v30, 29, v57
	v_and_b32_e32 v54, 7, v54
	v_cmp_gt_u32_e32 vcc, 8, v53
	v_mov_b32_e32 v53, 24
	v_cndmask_b32_e32 v30, v56, v30, vcc
	v_cndmask_b32_e32 v52, v52, v54, vcc
	v_lshlrev_b32_sdwa v53, v53, v32 dst_sel:DWORD dst_unused:UNUSED_PAD src0_sel:DWORD src1_sel:WORD_1
	v_bfrev_b32_e32 v54, 60
	v_lshlrev_b32_e32 v52, 20, v52
	v_and_b32_e32 v53, 0x80000000, v53
	v_lshl_add_u32 v30, v30, 23, v54
	v_or3_b32 v30, v53, v30, v52
	v_lshrrev_b32_e32 v52, 16, v30
.LBB857_75:
	s_or_b64 exec, exec, s[10:11]
.LBB857_76:
	s_or_b64 exec, exec, s[8:9]
.LBB857_77:
	s_or_b64 exec, exec, s[2:3]
	s_mov_b32 s2, 0xffffff
	v_cmp_lt_u32_e32 vcc, s2, v32
	s_and_saveexec_b64 s[2:3], vcc
	s_cbranch_execz .LBB857_83
; %bb.78:
	v_lshrrev_b32_e32 v30, 24, v32
	s_movk_i32 s8, 0x80
	v_cmp_ne_u32_e32 vcc, s8, v30
	v_mov_b32_e32 v51, 0xffff8000
	s_and_saveexec_b64 s[8:9], vcc
	s_cbranch_execz .LBB857_82
; %bb.79:
	v_bfe_u32 v32, v32, 24, 7
	s_movk_i32 s10, 0x7f
	v_cmp_ne_u32_e32 vcc, s10, v32
	v_mov_b32_e32 v51, 0x7f80
	s_and_saveexec_b64 s[10:11], vcc
	s_cbranch_execz .LBB857_81
; %bb.80:
	v_and_b32_e32 v51, 7, v30
	v_ffbh_u32_e32 v54, v51
	v_min_u32_e32 v56, 32, v54
	v_subrev_u32_e32 v54, 28, v56
	v_lshlrev_b64 v[54:55], v54, v[30:31]
	v_lshrrev_b32_e32 v53, 3, v32
	v_sub_u32_e32 v55, 29, v56
	v_and_b32_e32 v54, 7, v54
	v_cmp_gt_u32_e32 vcc, 8, v32
	v_cndmask_b32_e32 v32, v53, v55, vcc
	v_cndmask_b32_e32 v51, v51, v54, vcc
	v_lshlrev_b32_e32 v30, 24, v30
	v_bfrev_b32_e32 v53, 60
	v_lshlrev_b32_e32 v51, 20, v51
	v_and_b32_e32 v30, 0x80000000, v30
	v_lshl_add_u32 v32, v32, 23, v53
	v_or3_b32 v30, v30, v32, v51
	v_lshrrev_b32_e32 v51, 16, v30
.LBB857_81:
	s_or_b64 exec, exec, s[10:11]
.LBB857_82:
	s_or_b64 exec, exec, s[8:9]
.LBB857_83:
	s_or_b64 exec, exec, s[2:3]
	v_mov_b32_e32 v32, 0
	v_cmp_ne_u16_sdwa s[8:9], v33, v32 src0_sel:BYTE_0 src1_sel:DWORD
	v_mov_b32_e32 v53, 0
	s_and_saveexec_b64 s[2:3], s[8:9]
	s_cbranch_execz .LBB857_89
; %bb.84:
	s_movk_i32 s8, 0x80
	v_cmp_ne_u16_sdwa s[10:11], v33, s8 src0_sel:BYTE_0 src1_sel:DWORD
	v_mov_b32_e32 v53, 0xffff8000
	s_and_saveexec_b64 s[8:9], s[10:11]
	s_cbranch_execz .LBB857_88
; %bb.85:
	s_movk_i32 s10, 0x7f
	v_and_b32_e32 v30, 0x7f, v33
	v_cmp_ne_u32_e32 vcc, s10, v30
	v_mov_b32_e32 v53, 0x7f80
	s_and_saveexec_b64 s[10:11], vcc
	s_cbranch_execz .LBB857_87
; %bb.86:
	v_and_b32_e32 v53, 7, v33
	v_ffbh_u32_e32 v55, v53
	v_min_u32_e32 v57, 32, v55
	v_mov_b32_e32 v54, v33
	v_subrev_u32_e32 v55, 28, v57
	v_lshlrev_b64 v[54:55], v55, v[54:55]
	v_lshrrev_b32_e32 v56, 3, v30
	v_sub_u32_e32 v55, 29, v57
	v_and_b32_e32 v54, 7, v54
	v_cmp_gt_u32_e32 vcc, 8, v30
	v_cndmask_b32_e32 v30, v56, v55, vcc
	v_cndmask_b32_e32 v53, v53, v54, vcc
	v_lshlrev_b32_e32 v54, 24, v33
	v_bfrev_b32_e32 v55, 60
	v_lshlrev_b32_e32 v53, 20, v53
	v_and_b32_e32 v54, 0x80000000, v54
	v_lshl_add_u32 v30, v30, 23, v55
	v_or3_b32 v30, v54, v30, v53
	v_lshrrev_b32_e32 v53, 16, v30
.LBB857_87:
	s_or_b64 exec, exec, s[10:11]
.LBB857_88:
	s_or_b64 exec, exec, s[8:9]
.LBB857_89:
	s_or_b64 exec, exec, s[2:3]
	v_lshrrev_b16_e32 v30, 8, v33
	v_cmp_ne_u16_e32 vcc, 0, v30
	s_and_saveexec_b64 s[2:3], vcc
	s_cbranch_execz .LBB857_95
; %bb.90:
	s_movk_i32 s8, 0x80
	v_cmp_ne_u16_e32 vcc, s8, v30
	v_mov_b32_e32 v32, 0xffff8000
	s_and_saveexec_b64 s[8:9], vcc
	s_cbranch_execz .LBB857_94
; %bb.91:
	s_movk_i32 s10, 0x7f
	v_and_b32_e32 v54, 0x7f, v30
	v_cmp_ne_u32_e32 vcc, s10, v54
	v_mov_b32_e32 v32, 0x7f80
	s_and_saveexec_b64 s[10:11], vcc
	s_cbranch_execz .LBB857_93
; %bb.92:
	v_and_b32_e32 v32, 7, v30
	v_ffbh_u32_e32 v56, v32
	v_min_u32_e32 v58, 32, v56
	v_subrev_u32_e32 v56, 28, v58
	v_lshlrev_b64 v[56:57], v56, v[30:31]
	v_lshrrev_b32_e32 v55, 3, v54
	v_sub_u32_e32 v30, 29, v58
	v_and_b32_e32 v56, 7, v56
	v_cmp_gt_u32_e32 vcc, 8, v54
	v_cndmask_b32_e32 v30, v55, v30, vcc
	v_cndmask_b32_e32 v32, v32, v56, vcc
	v_lshlrev_b32_e32 v54, 16, v33
	v_bfrev_b32_e32 v55, 60
	v_lshlrev_b32_e32 v32, 20, v32
	v_and_b32_e32 v54, 0x80000000, v54
	v_lshl_add_u32 v30, v30, 23, v55
	v_or3_b32 v30, v54, v30, v32
	v_lshrrev_b32_e32 v32, 16, v30
.LBB857_93:
	s_or_b64 exec, exec, s[10:11]
.LBB857_94:
	s_or_b64 exec, exec, s[8:9]
.LBB857_95:
	s_or_b64 exec, exec, s[2:3]
	s_movk_i32 s2, 0xff
	v_and_b32_sdwa v56, v33, s2 dst_sel:DWORD dst_unused:UNUSED_PAD src0_sel:WORD_1 src1_sel:DWORD
	v_lshrrev_b32_e32 v30, 16, v33
	v_cmp_ne_u16_e32 vcc, 0, v56
	v_mov_b32_e32 v54, 0
	v_mov_b32_e32 v55, 0
	s_and_saveexec_b64 s[2:3], vcc
	s_cbranch_execz .LBB857_101
; %bb.96:
	s_movk_i32 s8, 0x80
	v_cmp_ne_u16_e32 vcc, s8, v56
	v_mov_b32_e32 v55, 0xffff8000
	s_and_saveexec_b64 s[8:9], vcc
	s_cbranch_execz .LBB857_100
; %bb.97:
	v_bfe_u32 v56, v33, 16, 7
	s_movk_i32 s10, 0x7f
	v_cmp_ne_u32_e32 vcc, s10, v56
	v_mov_b32_e32 v55, 0x7f80
	s_and_saveexec_b64 s[10:11], vcc
	s_cbranch_execz .LBB857_99
; %bb.98:
	v_and_b32_e32 v55, 7, v30
	v_ffbh_u32_e32 v58, v55
	v_min_u32_e32 v60, 32, v58
	v_subrev_u32_e32 v58, 28, v60
	v_lshlrev_b64 v[58:59], v58, v[30:31]
	v_lshrrev_b32_e32 v57, 3, v56
	v_sub_u32_e32 v30, 29, v60
	v_and_b32_e32 v58, 7, v58
	v_cmp_gt_u32_e32 vcc, 8, v56
	v_mov_b32_e32 v56, 24
	v_cndmask_b32_e32 v30, v57, v30, vcc
	v_cndmask_b32_e32 v55, v55, v58, vcc
	v_lshlrev_b32_sdwa v56, v56, v33 dst_sel:DWORD dst_unused:UNUSED_PAD src0_sel:DWORD src1_sel:WORD_1
	v_bfrev_b32_e32 v57, 60
	v_lshlrev_b32_e32 v55, 20, v55
	v_and_b32_e32 v56, 0x80000000, v56
	v_lshl_add_u32 v30, v30, 23, v57
	v_or3_b32 v30, v56, v30, v55
	v_lshrrev_b32_e32 v55, 16, v30
.LBB857_99:
	s_or_b64 exec, exec, s[10:11]
.LBB857_100:
	s_or_b64 exec, exec, s[8:9]
.LBB857_101:
	s_or_b64 exec, exec, s[2:3]
	s_mov_b32 s2, 0xffffff
	v_cmp_lt_u32_e32 vcc, s2, v33
	s_and_saveexec_b64 s[2:3], vcc
	s_cbranch_execz .LBB857_107
; %bb.102:
	v_lshrrev_b32_e32 v30, 24, v33
	s_movk_i32 s8, 0x80
	v_cmp_ne_u32_e32 vcc, s8, v30
	v_mov_b32_e32 v54, 0xffff8000
	s_and_saveexec_b64 s[8:9], vcc
	s_cbranch_execz .LBB857_106
; %bb.103:
	v_bfe_u32 v33, v33, 24, 7
	s_movk_i32 s10, 0x7f
	v_cmp_ne_u32_e32 vcc, s10, v33
	v_mov_b32_e32 v54, 0x7f80
	s_and_saveexec_b64 s[10:11], vcc
	s_cbranch_execz .LBB857_105
; %bb.104:
	v_and_b32_e32 v54, 7, v30
	v_ffbh_u32_e32 v56, v54
	v_min_u32_e32 v59, 32, v56
	v_subrev_u32_e32 v56, 28, v59
	v_lshlrev_b64 v[56:57], v56, v[30:31]
	v_lshrrev_b32_e32 v58, 3, v33
	v_sub_u32_e32 v57, 29, v59
	v_and_b32_e32 v56, 7, v56
	v_cmp_gt_u32_e32 vcc, 8, v33
	v_cndmask_b32_e32 v33, v58, v57, vcc
	v_cndmask_b32_e32 v54, v54, v56, vcc
	v_lshlrev_b32_e32 v30, 24, v30
	v_bfrev_b32_e32 v56, 60
	v_lshlrev_b32_e32 v54, 20, v54
	v_and_b32_e32 v30, 0x80000000, v30
	v_lshl_add_u32 v33, v33, 23, v56
	v_or3_b32 v30, v30, v33, v54
	v_lshrrev_b32_e32 v54, 16, v30
.LBB857_105:
	s_or_b64 exec, exec, s[10:11]
.LBB857_106:
	s_or_b64 exec, exec, s[8:9]
.LBB857_107:
	s_or_b64 exec, exec, s[2:3]
	s_mov_b32 s2, 0x5040100
	v_perm_b32 v51, v51, v52, s2
	v_perm_b32 v50, v31, v50, s2
	;; [unrolled: 1-line block ×4, first 2 shown]
	v_mfma_f32_16x16x16bf16_1k v[56:59], v[50:51], v[18:19], v[42:45]
	s_nop 6
	v_mov_b32_e32 v43, 0
	s_waitcnt vmcnt(6)
	v_cmp_ne_u16_sdwa s[8:9], v38, v43 src0_sel:BYTE_0 src1_sel:DWORD
	v_mfma_f32_16x16x16bf16_1k v[30:33], v[30:31], v[20:21], v[56:59]
	v_mov_b32_e32 v44, 0
	s_and_saveexec_b64 s[2:3], s[8:9]
	s_cbranch_execz .LBB857_113
; %bb.108:
	s_movk_i32 s8, 0x80
	v_cmp_ne_u16_sdwa s[10:11], v38, s8 src0_sel:BYTE_0 src1_sel:DWORD
	v_mov_b32_e32 v44, 0xffff8000
	s_and_saveexec_b64 s[8:9], s[10:11]
	s_cbranch_execz .LBB857_112
; %bb.109:
	s_movk_i32 s10, 0x7f
	v_and_b32_e32 v42, 0x7f, v38
	v_cmp_ne_u32_e32 vcc, s10, v42
	v_mov_b32_e32 v44, 0x7f80
	s_and_saveexec_b64 s[10:11], vcc
	s_cbranch_execz .LBB857_111
; %bb.110:
	v_and_b32_e32 v50, 7, v38
	v_ffbh_u32_e32 v44, v50
	v_min_u32_e32 v52, 32, v44
	v_subrev_u32_e32 v44, 28, v52
	v_lshlrev_b64 v[44:45], v44, v[38:39]
	v_lshrrev_b32_e32 v51, 3, v42
	v_sub_u32_e32 v45, 29, v52
	v_and_b32_e32 v44, 7, v44
	v_cmp_gt_u32_e32 vcc, 8, v42
	v_cndmask_b32_e32 v42, v51, v45, vcc
	v_cndmask_b32_e32 v44, v50, v44, vcc
	v_lshlrev_b32_e32 v45, 24, v38
	v_bfrev_b32_e32 v50, 60
	v_lshlrev_b32_e32 v44, 20, v44
	v_and_b32_e32 v45, 0x80000000, v45
	v_lshl_add_u32 v42, v42, 23, v50
	v_or3_b32 v42, v45, v42, v44
	v_lshrrev_b32_e32 v44, 16, v42
.LBB857_111:
	s_or_b64 exec, exec, s[10:11]
.LBB857_112:
	s_or_b64 exec, exec, s[8:9]
.LBB857_113:
	s_or_b64 exec, exec, s[2:3]
	v_lshrrev_b16_e32 v42, 8, v38
	v_cmp_ne_u16_e32 vcc, 0, v42
	s_and_saveexec_b64 s[2:3], vcc
	s_cbranch_execz .LBB857_119
; %bb.114:
	s_movk_i32 s8, 0x80
	v_cmp_ne_u16_e32 vcc, s8, v42
	v_mov_b32_e32 v43, 0xffff8000
	s_and_saveexec_b64 s[8:9], vcc
	s_cbranch_execz .LBB857_118
; %bb.115:
	s_movk_i32 s10, 0x7f
	v_and_b32_e32 v45, 0x7f, v42
	v_cmp_ne_u32_e32 vcc, s10, v45
	v_mov_b32_e32 v43, 0x7f80
	s_and_saveexec_b64 s[10:11], vcc
	s_cbranch_execz .LBB857_117
; %bb.116:
	v_and_b32_e32 v50, 7, v42
	v_ffbh_u32_e32 v43, v50
	v_min_u32_e32 v52, 32, v43
	v_subrev_u32_e32 v43, 28, v52
	v_lshlrev_b64 v[42:43], v43, v[42:43]
	v_lshrrev_b32_e32 v51, 3, v45
	v_sub_u32_e32 v43, 29, v52
	v_and_b32_e32 v42, 7, v42
	v_cmp_gt_u32_e32 vcc, 8, v45
	v_cndmask_b32_e32 v43, v51, v43, vcc
	v_cndmask_b32_e32 v42, v50, v42, vcc
	v_lshlrev_b32_e32 v45, 16, v38
	v_bfrev_b32_e32 v50, 60
	v_lshlrev_b32_e32 v42, 20, v42
	v_and_b32_e32 v45, 0x80000000, v45
	v_lshl_add_u32 v43, v43, 23, v50
	v_or3_b32 v42, v45, v43, v42
	v_lshrrev_b32_e32 v43, 16, v42
.LBB857_117:
	s_or_b64 exec, exec, s[10:11]
.LBB857_118:
	s_or_b64 exec, exec, s[8:9]
.LBB857_119:
	s_or_b64 exec, exec, s[2:3]
	s_movk_i32 s2, 0xff
	v_and_b32_sdwa v51, v38, s2 dst_sel:DWORD dst_unused:UNUSED_PAD src0_sel:WORD_1 src1_sel:DWORD
	v_lshrrev_b32_e32 v42, 16, v38
	v_cmp_ne_u16_e32 vcc, 0, v51
	v_mov_b32_e32 v45, 0
	v_mov_b32_e32 v50, 0
	s_and_saveexec_b64 s[2:3], vcc
	s_cbranch_execz .LBB857_125
; %bb.120:
	s_movk_i32 s8, 0x80
	v_cmp_ne_u16_e32 vcc, s8, v51
	v_mov_b32_e32 v50, 0xffff8000
	s_and_saveexec_b64 s[8:9], vcc
	s_cbranch_execz .LBB857_124
; %bb.121:
	v_bfe_u32 v51, v38, 16, 7
	s_movk_i32 s10, 0x7f
	v_cmp_ne_u32_e32 vcc, s10, v51
	v_mov_b32_e32 v50, 0x7f80
	s_and_saveexec_b64 s[10:11], vcc
	s_cbranch_execz .LBB857_123
; %bb.122:
	v_and_b32_e32 v50, 7, v42
	v_ffbh_u32_e32 v52, v50
	v_min_u32_e32 v55, 32, v52
	v_subrev_u32_e32 v52, 28, v55
	v_lshlrev_b64 v[52:53], v52, v[42:43]
	v_lshrrev_b32_e32 v54, 3, v51
	v_sub_u32_e32 v42, 29, v55
	v_and_b32_e32 v52, 7, v52
	v_cmp_gt_u32_e32 vcc, 8, v51
	v_mov_b32_e32 v51, 24
	v_cndmask_b32_e32 v42, v54, v42, vcc
	v_cndmask_b32_e32 v50, v50, v52, vcc
	v_lshlrev_b32_sdwa v51, v51, v38 dst_sel:DWORD dst_unused:UNUSED_PAD src0_sel:DWORD src1_sel:WORD_1
	v_bfrev_b32_e32 v52, 60
	v_lshlrev_b32_e32 v50, 20, v50
	v_and_b32_e32 v51, 0x80000000, v51
	v_lshl_add_u32 v42, v42, 23, v52
	v_or3_b32 v42, v51, v42, v50
	v_lshrrev_b32_e32 v50, 16, v42
.LBB857_123:
	s_or_b64 exec, exec, s[10:11]
.LBB857_124:
	s_or_b64 exec, exec, s[8:9]
.LBB857_125:
	s_or_b64 exec, exec, s[2:3]
	s_mov_b32 s2, 0xffffff
	v_cmp_lt_u32_e32 vcc, s2, v38
	s_and_saveexec_b64 s[2:3], vcc
	s_cbranch_execz .LBB857_131
; %bb.126:
	v_lshrrev_b32_e32 v42, 24, v38
	s_movk_i32 s8, 0x80
	v_cmp_ne_u32_e32 vcc, s8, v42
	v_mov_b32_e32 v45, 0xffff8000
	s_and_saveexec_b64 s[8:9], vcc
	s_cbranch_execz .LBB857_130
; %bb.127:
	v_bfe_u32 v38, v38, 24, 7
	s_movk_i32 s10, 0x7f
	v_cmp_ne_u32_e32 vcc, s10, v38
	v_mov_b32_e32 v45, 0x7f80
	s_and_saveexec_b64 s[10:11], vcc
	s_cbranch_execz .LBB857_129
; %bb.128:
	v_and_b32_e32 v45, 7, v42
	v_ffbh_u32_e32 v52, v45
	v_min_u32_e32 v54, 32, v52
	v_subrev_u32_e32 v52, 28, v54
	v_lshlrev_b64 v[52:53], v52, v[42:43]
	v_lshrrev_b32_e32 v51, 3, v38
	v_sub_u32_e32 v53, 29, v54
	v_and_b32_e32 v52, 7, v52
	v_cmp_gt_u32_e32 vcc, 8, v38
	v_cndmask_b32_e32 v38, v51, v53, vcc
	v_cndmask_b32_e32 v45, v45, v52, vcc
	v_lshlrev_b32_e32 v42, 24, v42
	v_bfrev_b32_e32 v51, 60
	v_lshlrev_b32_e32 v45, 20, v45
	v_and_b32_e32 v42, 0x80000000, v42
	v_lshl_add_u32 v38, v38, 23, v51
	v_or3_b32 v38, v42, v38, v45
	v_lshrrev_b32_e32 v45, 16, v38
.LBB857_129:
	s_or_b64 exec, exec, s[10:11]
.LBB857_130:
	s_or_b64 exec, exec, s[8:9]
.LBB857_131:
	s_or_b64 exec, exec, s[2:3]
	v_mov_b32_e32 v42, 0
	v_cmp_ne_u16_sdwa s[8:9], v39, v42 src0_sel:BYTE_0 src1_sel:DWORD
	v_mov_b32_e32 v51, 0
	s_and_saveexec_b64 s[2:3], s[8:9]
	s_cbranch_execz .LBB857_137
; %bb.132:
	s_movk_i32 s8, 0x80
	v_cmp_ne_u16_sdwa s[10:11], v39, s8 src0_sel:BYTE_0 src1_sel:DWORD
	v_mov_b32_e32 v51, 0xffff8000
	s_and_saveexec_b64 s[8:9], s[10:11]
	s_cbranch_execz .LBB857_136
; %bb.133:
	s_movk_i32 s10, 0x7f
	v_and_b32_e32 v38, 0x7f, v39
	v_cmp_ne_u32_e32 vcc, s10, v38
	v_mov_b32_e32 v51, 0x7f80
	s_and_saveexec_b64 s[10:11], vcc
	s_cbranch_execz .LBB857_135
; %bb.134:
	v_and_b32_e32 v51, 7, v39
	v_ffbh_u32_e32 v53, v51
	v_min_u32_e32 v55, 32, v53
	v_mov_b32_e32 v52, v39
	v_subrev_u32_e32 v53, 28, v55
	v_lshlrev_b64 v[52:53], v53, v[52:53]
	v_lshrrev_b32_e32 v54, 3, v38
	v_sub_u32_e32 v53, 29, v55
	v_and_b32_e32 v52, 7, v52
	v_cmp_gt_u32_e32 vcc, 8, v38
	v_cndmask_b32_e32 v38, v54, v53, vcc
	v_cndmask_b32_e32 v51, v51, v52, vcc
	v_lshlrev_b32_e32 v52, 24, v39
	v_bfrev_b32_e32 v53, 60
	v_lshlrev_b32_e32 v51, 20, v51
	v_and_b32_e32 v52, 0x80000000, v52
	v_lshl_add_u32 v38, v38, 23, v53
	v_or3_b32 v38, v52, v38, v51
	v_lshrrev_b32_e32 v51, 16, v38
.LBB857_135:
	s_or_b64 exec, exec, s[10:11]
.LBB857_136:
	s_or_b64 exec, exec, s[8:9]
.LBB857_137:
	s_or_b64 exec, exec, s[2:3]
	v_lshrrev_b16_e32 v38, 8, v39
	v_cmp_ne_u16_e32 vcc, 0, v38
	s_and_saveexec_b64 s[2:3], vcc
	s_cbranch_execz .LBB857_143
; %bb.138:
	s_movk_i32 s8, 0x80
	v_cmp_ne_u16_e32 vcc, s8, v38
	v_mov_b32_e32 v42, 0xffff8000
	s_and_saveexec_b64 s[8:9], vcc
	s_cbranch_execz .LBB857_142
; %bb.139:
	s_movk_i32 s10, 0x7f
	v_and_b32_e32 v52, 0x7f, v38
	v_cmp_ne_u32_e32 vcc, s10, v52
	v_mov_b32_e32 v42, 0x7f80
	s_and_saveexec_b64 s[10:11], vcc
	s_cbranch_execz .LBB857_141
; %bb.140:
	v_and_b32_e32 v42, 7, v38
	v_ffbh_u32_e32 v54, v42
	v_min_u32_e32 v56, 32, v54
	v_subrev_u32_e32 v54, 28, v56
	v_lshlrev_b64 v[54:55], v54, v[38:39]
	v_lshrrev_b32_e32 v53, 3, v52
	v_sub_u32_e32 v38, 29, v56
	v_and_b32_e32 v54, 7, v54
	v_cmp_gt_u32_e32 vcc, 8, v52
	v_cndmask_b32_e32 v38, v53, v38, vcc
	v_cndmask_b32_e32 v42, v42, v54, vcc
	v_lshlrev_b32_e32 v52, 16, v39
	v_bfrev_b32_e32 v53, 60
	v_lshlrev_b32_e32 v42, 20, v42
	v_and_b32_e32 v52, 0x80000000, v52
	v_lshl_add_u32 v38, v38, 23, v53
	v_or3_b32 v38, v52, v38, v42
	v_lshrrev_b32_e32 v42, 16, v38
.LBB857_141:
	s_or_b64 exec, exec, s[10:11]
.LBB857_142:
	s_or_b64 exec, exec, s[8:9]
.LBB857_143:
	s_or_b64 exec, exec, s[2:3]
	s_movk_i32 s2, 0xff
	v_and_b32_sdwa v54, v39, s2 dst_sel:DWORD dst_unused:UNUSED_PAD src0_sel:WORD_1 src1_sel:DWORD
	v_lshrrev_b32_e32 v38, 16, v39
	v_cmp_ne_u16_e32 vcc, 0, v54
	v_mov_b32_e32 v52, 0
	v_mov_b32_e32 v53, 0
	s_and_saveexec_b64 s[2:3], vcc
	s_cbranch_execz .LBB857_149
; %bb.144:
	s_movk_i32 s8, 0x80
	v_cmp_ne_u16_e32 vcc, s8, v54
	v_mov_b32_e32 v53, 0xffff8000
	s_and_saveexec_b64 s[8:9], vcc
	s_cbranch_execz .LBB857_148
; %bb.145:
	v_bfe_u32 v54, v39, 16, 7
	s_movk_i32 s10, 0x7f
	v_cmp_ne_u32_e32 vcc, s10, v54
	v_mov_b32_e32 v53, 0x7f80
	s_and_saveexec_b64 s[10:11], vcc
	s_cbranch_execz .LBB857_147
; %bb.146:
	v_and_b32_e32 v53, 7, v38
	v_ffbh_u32_e32 v56, v53
	v_min_u32_e32 v58, 32, v56
	v_subrev_u32_e32 v56, 28, v58
	v_lshlrev_b64 v[56:57], v56, v[38:39]
	v_lshrrev_b32_e32 v55, 3, v54
	v_sub_u32_e32 v38, 29, v58
	v_and_b32_e32 v56, 7, v56
	v_cmp_gt_u32_e32 vcc, 8, v54
	v_mov_b32_e32 v54, 24
	v_cndmask_b32_e32 v38, v55, v38, vcc
	v_cndmask_b32_e32 v53, v53, v56, vcc
	v_lshlrev_b32_sdwa v54, v54, v39 dst_sel:DWORD dst_unused:UNUSED_PAD src0_sel:DWORD src1_sel:WORD_1
	v_bfrev_b32_e32 v55, 60
	v_lshlrev_b32_e32 v53, 20, v53
	v_and_b32_e32 v54, 0x80000000, v54
	v_lshl_add_u32 v38, v38, 23, v55
	v_or3_b32 v38, v54, v38, v53
	v_lshrrev_b32_e32 v53, 16, v38
.LBB857_147:
	s_or_b64 exec, exec, s[10:11]
.LBB857_148:
	s_or_b64 exec, exec, s[8:9]
.LBB857_149:
	s_or_b64 exec, exec, s[2:3]
	s_mov_b32 s2, 0xffffff
	v_cmp_lt_u32_e32 vcc, s2, v39
	s_and_saveexec_b64 s[2:3], vcc
	s_cbranch_execz .LBB857_155
; %bb.150:
	v_lshrrev_b32_e32 v38, 24, v39
	s_movk_i32 s8, 0x80
	v_cmp_ne_u32_e32 vcc, s8, v38
	v_mov_b32_e32 v52, 0xffff8000
	s_and_saveexec_b64 s[8:9], vcc
	s_cbranch_execz .LBB857_154
; %bb.151:
	v_bfe_u32 v39, v39, 24, 7
	s_movk_i32 s10, 0x7f
	v_cmp_ne_u32_e32 vcc, s10, v39
	v_mov_b32_e32 v52, 0x7f80
	s_and_saveexec_b64 s[10:11], vcc
	s_cbranch_execz .LBB857_153
; %bb.152:
	v_and_b32_e32 v52, 7, v38
	v_ffbh_u32_e32 v54, v52
	v_min_u32_e32 v57, 32, v54
	v_subrev_u32_e32 v54, 28, v57
	v_lshlrev_b64 v[54:55], v54, v[38:39]
	v_lshrrev_b32_e32 v56, 3, v39
	v_sub_u32_e32 v55, 29, v57
	v_and_b32_e32 v54, 7, v54
	v_cmp_gt_u32_e32 vcc, 8, v39
	v_cndmask_b32_e32 v39, v56, v55, vcc
	v_cndmask_b32_e32 v52, v52, v54, vcc
	v_lshlrev_b32_e32 v38, 24, v38
	v_bfrev_b32_e32 v54, 60
	v_lshlrev_b32_e32 v52, 20, v52
	v_and_b32_e32 v38, 0x80000000, v38
	v_lshl_add_u32 v39, v39, 23, v54
	v_or3_b32 v38, v38, v39, v52
	v_lshrrev_b32_e32 v52, 16, v38
.LBB857_153:
	s_or_b64 exec, exec, s[10:11]
.LBB857_154:
	s_or_b64 exec, exec, s[8:9]
.LBB857_155:
	s_or_b64 exec, exec, s[2:3]
	s_mov_b32 s2, 0x5040100
	v_perm_b32 v39, v45, v50, s2
	v_perm_b32 v38, v43, v44, s2
	;; [unrolled: 1-line block ×4, first 2 shown]
	v_mov_b32_e32 v50, 0
	v_mfma_f32_16x16x16bf16_1k v[54:57], v[38:39], v[26:27], 0
	v_mov_b32_e32 v39, 0
	v_cmp_ne_u16_sdwa s[8:9], v40, v39 src0_sel:BYTE_0 src1_sel:DWORD
	v_mfma_f32_16x16x16bf16_1k v[42:45], v[42:43], v[28:29], v[54:57]
	s_and_saveexec_b64 s[2:3], s[8:9]
	s_cbranch_execz .LBB857_161
; %bb.156:
	s_movk_i32 s8, 0x80
	v_cmp_ne_u16_sdwa s[10:11], v40, s8 src0_sel:BYTE_0 src1_sel:DWORD
	v_mov_b32_e32 v50, 0xffff8000
	s_and_saveexec_b64 s[8:9], s[10:11]
	s_cbranch_execz .LBB857_160
; %bb.157:
	s_movk_i32 s10, 0x7f
	v_and_b32_e32 v38, 0x7f, v40
	v_cmp_ne_u32_e32 vcc, s10, v38
	v_mov_b32_e32 v50, 0x7f80
	s_and_saveexec_b64 s[10:11], vcc
	s_cbranch_execz .LBB857_159
; %bb.158:
	v_and_b32_e32 v52, 7, v40
	v_ffbh_u32_e32 v50, v52
	v_min_u32_e32 v54, 32, v50
	v_subrev_u32_e32 v50, 28, v54
	v_lshlrev_b64 v[50:51], v50, v[40:41]
	v_lshrrev_b32_e32 v53, 3, v38
	v_sub_u32_e32 v51, 29, v54
	v_and_b32_e32 v50, 7, v50
	v_cmp_gt_u32_e32 vcc, 8, v38
	v_cndmask_b32_e32 v38, v53, v51, vcc
	v_cndmask_b32_e32 v50, v52, v50, vcc
	v_lshlrev_b32_e32 v51, 24, v40
	v_bfrev_b32_e32 v52, 60
	v_lshlrev_b32_e32 v50, 20, v50
	v_and_b32_e32 v51, 0x80000000, v51
	v_lshl_add_u32 v38, v38, 23, v52
	v_or3_b32 v38, v51, v38, v50
	v_lshrrev_b32_e32 v50, 16, v38
.LBB857_159:
	s_or_b64 exec, exec, s[10:11]
.LBB857_160:
	s_or_b64 exec, exec, s[8:9]
.LBB857_161:
	s_or_b64 exec, exec, s[2:3]
	v_lshrrev_b16_e32 v38, 8, v40
	v_cmp_ne_u16_e32 vcc, 0, v38
	s_and_saveexec_b64 s[2:3], vcc
	s_cbranch_execz .LBB857_167
; %bb.162:
	s_movk_i32 s8, 0x80
	v_cmp_ne_u16_e32 vcc, s8, v38
	v_mov_b32_e32 v39, 0xffff8000
	s_and_saveexec_b64 s[8:9], vcc
	s_cbranch_execz .LBB857_166
; %bb.163:
	s_movk_i32 s10, 0x7f
	v_and_b32_e32 v51, 0x7f, v38
	v_cmp_ne_u32_e32 vcc, s10, v51
	v_mov_b32_e32 v39, 0x7f80
	s_and_saveexec_b64 s[10:11], vcc
	s_cbranch_execz .LBB857_165
; %bb.164:
	v_and_b32_e32 v52, 7, v38
	v_ffbh_u32_e32 v39, v52
	v_min_u32_e32 v54, 32, v39
	v_subrev_u32_e32 v39, 28, v54
	v_lshlrev_b64 v[38:39], v39, v[38:39]
	v_lshrrev_b32_e32 v53, 3, v51
	v_sub_u32_e32 v39, 29, v54
	v_and_b32_e32 v38, 7, v38
	v_cmp_gt_u32_e32 vcc, 8, v51
	v_cndmask_b32_e32 v39, v53, v39, vcc
	v_cndmask_b32_e32 v38, v52, v38, vcc
	v_lshlrev_b32_e32 v51, 16, v40
	v_bfrev_b32_e32 v52, 60
	v_lshlrev_b32_e32 v38, 20, v38
	v_and_b32_e32 v51, 0x80000000, v51
	v_lshl_add_u32 v39, v39, 23, v52
	v_or3_b32 v38, v51, v39, v38
	v_lshrrev_b32_e32 v39, 16, v38
.LBB857_165:
	s_or_b64 exec, exec, s[10:11]
.LBB857_166:
	s_or_b64 exec, exec, s[8:9]
.LBB857_167:
	s_or_b64 exec, exec, s[2:3]
	s_movk_i32 s2, 0xff
	v_and_b32_sdwa v53, v40, s2 dst_sel:DWORD dst_unused:UNUSED_PAD src0_sel:WORD_1 src1_sel:DWORD
	v_lshrrev_b32_e32 v38, 16, v40
	v_cmp_ne_u16_e32 vcc, 0, v53
	v_mov_b32_e32 v51, 0
	v_mov_b32_e32 v52, 0
	s_and_saveexec_b64 s[2:3], vcc
	s_cbranch_execz .LBB857_173
; %bb.168:
	s_movk_i32 s8, 0x80
	v_cmp_ne_u16_e32 vcc, s8, v53
	v_mov_b32_e32 v52, 0xffff8000
	s_and_saveexec_b64 s[8:9], vcc
	s_cbranch_execz .LBB857_172
; %bb.169:
	v_bfe_u32 v53, v40, 16, 7
	s_movk_i32 s10, 0x7f
	v_cmp_ne_u32_e32 vcc, s10, v53
	v_mov_b32_e32 v52, 0x7f80
	s_and_saveexec_b64 s[10:11], vcc
	s_cbranch_execz .LBB857_171
; %bb.170:
	v_and_b32_e32 v52, 7, v38
	v_ffbh_u32_e32 v54, v52
	v_min_u32_e32 v57, 32, v54
	v_subrev_u32_e32 v54, 28, v57
	v_lshlrev_b64 v[54:55], v54, v[38:39]
	v_lshrrev_b32_e32 v56, 3, v53
	v_sub_u32_e32 v38, 29, v57
	v_and_b32_e32 v54, 7, v54
	v_cmp_gt_u32_e32 vcc, 8, v53
	v_mov_b32_e32 v53, 24
	v_cndmask_b32_e32 v38, v56, v38, vcc
	v_cndmask_b32_e32 v52, v52, v54, vcc
	v_lshlrev_b32_sdwa v53, v53, v40 dst_sel:DWORD dst_unused:UNUSED_PAD src0_sel:DWORD src1_sel:WORD_1
	v_bfrev_b32_e32 v54, 60
	v_lshlrev_b32_e32 v52, 20, v52
	v_and_b32_e32 v53, 0x80000000, v53
	v_lshl_add_u32 v38, v38, 23, v54
	v_or3_b32 v38, v53, v38, v52
	v_lshrrev_b32_e32 v52, 16, v38
.LBB857_171:
	s_or_b64 exec, exec, s[10:11]
.LBB857_172:
	s_or_b64 exec, exec, s[8:9]
.LBB857_173:
	s_or_b64 exec, exec, s[2:3]
	s_mov_b32 s2, 0xffffff
	v_cmp_lt_u32_e32 vcc, s2, v40
	s_and_saveexec_b64 s[2:3], vcc
	s_cbranch_execz .LBB857_179
; %bb.174:
	v_lshrrev_b32_e32 v38, 24, v40
	s_movk_i32 s8, 0x80
	v_cmp_ne_u32_e32 vcc, s8, v38
	v_mov_b32_e32 v51, 0xffff8000
	s_and_saveexec_b64 s[8:9], vcc
	s_cbranch_execz .LBB857_178
; %bb.175:
	v_bfe_u32 v40, v40, 24, 7
	s_movk_i32 s10, 0x7f
	v_cmp_ne_u32_e32 vcc, s10, v40
	v_mov_b32_e32 v51, 0x7f80
	s_and_saveexec_b64 s[10:11], vcc
	s_cbranch_execz .LBB857_177
; %bb.176:
	v_and_b32_e32 v51, 7, v38
	v_ffbh_u32_e32 v54, v51
	v_min_u32_e32 v56, 32, v54
	v_subrev_u32_e32 v54, 28, v56
	v_lshlrev_b64 v[54:55], v54, v[38:39]
	v_lshrrev_b32_e32 v53, 3, v40
	v_sub_u32_e32 v55, 29, v56
	v_and_b32_e32 v54, 7, v54
	v_cmp_gt_u32_e32 vcc, 8, v40
	v_cndmask_b32_e32 v40, v53, v55, vcc
	v_cndmask_b32_e32 v51, v51, v54, vcc
	v_lshlrev_b32_e32 v38, 24, v38
	v_bfrev_b32_e32 v53, 60
	v_lshlrev_b32_e32 v51, 20, v51
	v_and_b32_e32 v38, 0x80000000, v38
	v_lshl_add_u32 v40, v40, 23, v53
	v_or3_b32 v38, v38, v40, v51
	v_lshrrev_b32_e32 v51, 16, v38
.LBB857_177:
	s_or_b64 exec, exec, s[10:11]
.LBB857_178:
	s_or_b64 exec, exec, s[8:9]
.LBB857_179:
	s_or_b64 exec, exec, s[2:3]
	v_mov_b32_e32 v40, 0
	v_cmp_ne_u16_sdwa s[8:9], v41, v40 src0_sel:BYTE_0 src1_sel:DWORD
	v_mov_b32_e32 v53, 0
	s_and_saveexec_b64 s[2:3], s[8:9]
	s_cbranch_execz .LBB857_185
; %bb.180:
	s_movk_i32 s8, 0x80
	v_cmp_ne_u16_sdwa s[10:11], v41, s8 src0_sel:BYTE_0 src1_sel:DWORD
	v_mov_b32_e32 v53, 0xffff8000
	s_and_saveexec_b64 s[8:9], s[10:11]
	s_cbranch_execz .LBB857_184
; %bb.181:
	s_movk_i32 s10, 0x7f
	v_and_b32_e32 v38, 0x7f, v41
	v_cmp_ne_u32_e32 vcc, s10, v38
	v_mov_b32_e32 v53, 0x7f80
	s_and_saveexec_b64 s[10:11], vcc
	s_cbranch_execz .LBB857_183
; %bb.182:
	v_and_b32_e32 v53, 7, v41
	v_ffbh_u32_e32 v55, v53
	v_min_u32_e32 v57, 32, v55
	v_mov_b32_e32 v54, v41
	v_subrev_u32_e32 v55, 28, v57
	v_lshlrev_b64 v[54:55], v55, v[54:55]
	v_lshrrev_b32_e32 v56, 3, v38
	v_sub_u32_e32 v55, 29, v57
	v_and_b32_e32 v54, 7, v54
	v_cmp_gt_u32_e32 vcc, 8, v38
	v_cndmask_b32_e32 v38, v56, v55, vcc
	v_cndmask_b32_e32 v53, v53, v54, vcc
	v_lshlrev_b32_e32 v54, 24, v41
	v_bfrev_b32_e32 v55, 60
	v_lshlrev_b32_e32 v53, 20, v53
	v_and_b32_e32 v54, 0x80000000, v54
	v_lshl_add_u32 v38, v38, 23, v55
	v_or3_b32 v38, v54, v38, v53
	v_lshrrev_b32_e32 v53, 16, v38
.LBB857_183:
	s_or_b64 exec, exec, s[10:11]
.LBB857_184:
	s_or_b64 exec, exec, s[8:9]
.LBB857_185:
	s_or_b64 exec, exec, s[2:3]
	v_lshrrev_b16_e32 v38, 8, v41
	v_cmp_ne_u16_e32 vcc, 0, v38
	s_and_saveexec_b64 s[2:3], vcc
	s_cbranch_execz .LBB857_191
; %bb.186:
	s_movk_i32 s8, 0x80
	v_cmp_ne_u16_e32 vcc, s8, v38
	v_mov_b32_e32 v40, 0xffff8000
	s_and_saveexec_b64 s[8:9], vcc
	s_cbranch_execz .LBB857_190
; %bb.187:
	s_movk_i32 s10, 0x7f
	v_and_b32_e32 v54, 0x7f, v38
	v_cmp_ne_u32_e32 vcc, s10, v54
	v_mov_b32_e32 v40, 0x7f80
	s_and_saveexec_b64 s[10:11], vcc
	s_cbranch_execz .LBB857_189
; %bb.188:
	v_and_b32_e32 v40, 7, v38
	v_ffbh_u32_e32 v56, v40
	v_min_u32_e32 v58, 32, v56
	v_subrev_u32_e32 v56, 28, v58
	v_lshlrev_b64 v[56:57], v56, v[38:39]
	v_lshrrev_b32_e32 v55, 3, v54
	v_sub_u32_e32 v38, 29, v58
	v_and_b32_e32 v56, 7, v56
	v_cmp_gt_u32_e32 vcc, 8, v54
	v_cndmask_b32_e32 v38, v55, v38, vcc
	v_cndmask_b32_e32 v40, v40, v56, vcc
	v_lshlrev_b32_e32 v54, 16, v41
	v_bfrev_b32_e32 v55, 60
	v_lshlrev_b32_e32 v40, 20, v40
	v_and_b32_e32 v54, 0x80000000, v54
	v_lshl_add_u32 v38, v38, 23, v55
	v_or3_b32 v38, v54, v38, v40
	v_lshrrev_b32_e32 v40, 16, v38
.LBB857_189:
	s_or_b64 exec, exec, s[10:11]
.LBB857_190:
	s_or_b64 exec, exec, s[8:9]
.LBB857_191:
	s_or_b64 exec, exec, s[2:3]
	s_movk_i32 s2, 0xff
	v_and_b32_sdwa v56, v41, s2 dst_sel:DWORD dst_unused:UNUSED_PAD src0_sel:WORD_1 src1_sel:DWORD
	v_lshrrev_b32_e32 v38, 16, v41
	v_cmp_ne_u16_e32 vcc, 0, v56
	v_mov_b32_e32 v54, 0
	v_mov_b32_e32 v55, 0
	s_and_saveexec_b64 s[2:3], vcc
	s_cbranch_execz .LBB857_197
; %bb.192:
	s_movk_i32 s8, 0x80
	v_cmp_ne_u16_e32 vcc, s8, v56
	v_mov_b32_e32 v55, 0xffff8000
	s_and_saveexec_b64 s[8:9], vcc
	s_cbranch_execz .LBB857_196
; %bb.193:
	v_bfe_u32 v56, v41, 16, 7
	s_movk_i32 s10, 0x7f
	v_cmp_ne_u32_e32 vcc, s10, v56
	v_mov_b32_e32 v55, 0x7f80
	s_and_saveexec_b64 s[10:11], vcc
	s_cbranch_execz .LBB857_195
; %bb.194:
	v_and_b32_e32 v55, 7, v38
	v_ffbh_u32_e32 v58, v55
	v_min_u32_e32 v60, 32, v58
	v_subrev_u32_e32 v58, 28, v60
	v_lshlrev_b64 v[58:59], v58, v[38:39]
	v_lshrrev_b32_e32 v57, 3, v56
	v_sub_u32_e32 v38, 29, v60
	v_and_b32_e32 v58, 7, v58
	v_cmp_gt_u32_e32 vcc, 8, v56
	v_mov_b32_e32 v56, 24
	v_cndmask_b32_e32 v38, v57, v38, vcc
	v_cndmask_b32_e32 v55, v55, v58, vcc
	v_lshlrev_b32_sdwa v56, v56, v41 dst_sel:DWORD dst_unused:UNUSED_PAD src0_sel:DWORD src1_sel:WORD_1
	v_bfrev_b32_e32 v57, 60
	v_lshlrev_b32_e32 v55, 20, v55
	v_and_b32_e32 v56, 0x80000000, v56
	v_lshl_add_u32 v38, v38, 23, v57
	v_or3_b32 v38, v56, v38, v55
	v_lshrrev_b32_e32 v55, 16, v38
.LBB857_195:
	s_or_b64 exec, exec, s[10:11]
.LBB857_196:
	s_or_b64 exec, exec, s[8:9]
.LBB857_197:
	s_or_b64 exec, exec, s[2:3]
	s_mov_b32 s2, 0xffffff
	v_cmp_lt_u32_e32 vcc, s2, v41
	s_and_saveexec_b64 s[2:3], vcc
	s_cbranch_execz .LBB857_203
; %bb.198:
	v_lshrrev_b32_e32 v38, 24, v41
	s_movk_i32 s8, 0x80
	v_cmp_ne_u32_e32 vcc, s8, v38
	v_mov_b32_e32 v54, 0xffff8000
	s_and_saveexec_b64 s[8:9], vcc
	s_cbranch_execz .LBB857_202
; %bb.199:
	v_bfe_u32 v41, v41, 24, 7
	s_movk_i32 s10, 0x7f
	v_cmp_ne_u32_e32 vcc, s10, v41
	v_mov_b32_e32 v54, 0x7f80
	s_and_saveexec_b64 s[10:11], vcc
	s_cbranch_execz .LBB857_201
; %bb.200:
	v_and_b32_e32 v54, 7, v38
	v_ffbh_u32_e32 v56, v54
	v_min_u32_e32 v59, 32, v56
	v_subrev_u32_e32 v56, 28, v59
	v_lshlrev_b64 v[56:57], v56, v[38:39]
	v_lshrrev_b32_e32 v58, 3, v41
	v_sub_u32_e32 v57, 29, v59
	v_and_b32_e32 v56, 7, v56
	v_cmp_gt_u32_e32 vcc, 8, v41
	v_cndmask_b32_e32 v41, v58, v57, vcc
	v_cndmask_b32_e32 v54, v54, v56, vcc
	v_lshlrev_b32_e32 v38, 24, v38
	v_bfrev_b32_e32 v56, 60
	v_lshlrev_b32_e32 v54, 20, v54
	v_and_b32_e32 v38, 0x80000000, v38
	v_lshl_add_u32 v41, v41, 23, v56
	v_or3_b32 v38, v38, v41, v54
	v_lshrrev_b32_e32 v54, 16, v38
.LBB857_201:
	s_or_b64 exec, exec, s[10:11]
.LBB857_202:
	s_or_b64 exec, exec, s[8:9]
.LBB857_203:
	s_or_b64 exec, exec, s[2:3]
	s_mov_b32 s2, 0x5040100
	v_perm_b32 v51, v51, v52, s2
	v_perm_b32 v50, v39, v50, s2
	;; [unrolled: 1-line block ×4, first 2 shown]
	v_mfma_f32_16x16x16bf16_1k v[56:59], v[50:51], v[18:19], v[42:45]
	s_nop 6
	v_mov_b32_e32 v43, 0
	s_waitcnt vmcnt(5)
	v_cmp_ne_u16_sdwa s[8:9], v34, v43 src0_sel:BYTE_0 src1_sel:DWORD
	v_mfma_f32_16x16x16bf16_1k v[38:41], v[38:39], v[20:21], v[56:59]
	v_mov_b32_e32 v44, 0
	s_and_saveexec_b64 s[2:3], s[8:9]
	s_cbranch_execz .LBB857_209
; %bb.204:
	s_movk_i32 s8, 0x80
	v_cmp_ne_u16_sdwa s[10:11], v34, s8 src0_sel:BYTE_0 src1_sel:DWORD
	v_mov_b32_e32 v44, 0xffff8000
	s_and_saveexec_b64 s[8:9], s[10:11]
	s_cbranch_execz .LBB857_208
; %bb.205:
	s_movk_i32 s10, 0x7f
	v_and_b32_e32 v42, 0x7f, v34
	v_cmp_ne_u32_e32 vcc, s10, v42
	v_mov_b32_e32 v44, 0x7f80
	s_and_saveexec_b64 s[10:11], vcc
	s_cbranch_execz .LBB857_207
; %bb.206:
	v_and_b32_e32 v50, 7, v34
	v_ffbh_u32_e32 v44, v50
	v_min_u32_e32 v52, 32, v44
	v_subrev_u32_e32 v44, 28, v52
	v_lshlrev_b64 v[44:45], v44, v[34:35]
	v_lshrrev_b32_e32 v51, 3, v42
	v_sub_u32_e32 v45, 29, v52
	v_and_b32_e32 v44, 7, v44
	v_cmp_gt_u32_e32 vcc, 8, v42
	v_cndmask_b32_e32 v42, v51, v45, vcc
	v_cndmask_b32_e32 v44, v50, v44, vcc
	v_lshlrev_b32_e32 v45, 24, v34
	v_bfrev_b32_e32 v50, 60
	v_lshlrev_b32_e32 v44, 20, v44
	v_and_b32_e32 v45, 0x80000000, v45
	v_lshl_add_u32 v42, v42, 23, v50
	v_or3_b32 v42, v45, v42, v44
	v_lshrrev_b32_e32 v44, 16, v42
.LBB857_207:
	s_or_b64 exec, exec, s[10:11]
.LBB857_208:
	s_or_b64 exec, exec, s[8:9]
.LBB857_209:
	s_or_b64 exec, exec, s[2:3]
	v_lshrrev_b16_e32 v42, 8, v34
	v_cmp_ne_u16_e32 vcc, 0, v42
	s_and_saveexec_b64 s[2:3], vcc
	s_cbranch_execz .LBB857_215
; %bb.210:
	s_movk_i32 s8, 0x80
	v_cmp_ne_u16_e32 vcc, s8, v42
	v_mov_b32_e32 v43, 0xffff8000
	s_and_saveexec_b64 s[8:9], vcc
	s_cbranch_execz .LBB857_214
; %bb.211:
	s_movk_i32 s10, 0x7f
	v_and_b32_e32 v45, 0x7f, v42
	v_cmp_ne_u32_e32 vcc, s10, v45
	v_mov_b32_e32 v43, 0x7f80
	s_and_saveexec_b64 s[10:11], vcc
	s_cbranch_execz .LBB857_213
; %bb.212:
	v_and_b32_e32 v50, 7, v42
	v_ffbh_u32_e32 v43, v50
	v_min_u32_e32 v52, 32, v43
	v_subrev_u32_e32 v43, 28, v52
	v_lshlrev_b64 v[42:43], v43, v[42:43]
	v_lshrrev_b32_e32 v51, 3, v45
	v_sub_u32_e32 v43, 29, v52
	v_and_b32_e32 v42, 7, v42
	v_cmp_gt_u32_e32 vcc, 8, v45
	v_cndmask_b32_e32 v43, v51, v43, vcc
	v_cndmask_b32_e32 v42, v50, v42, vcc
	v_lshlrev_b32_e32 v45, 16, v34
	v_bfrev_b32_e32 v50, 60
	v_lshlrev_b32_e32 v42, 20, v42
	v_and_b32_e32 v45, 0x80000000, v45
	v_lshl_add_u32 v43, v43, 23, v50
	v_or3_b32 v42, v45, v43, v42
	v_lshrrev_b32_e32 v43, 16, v42
.LBB857_213:
	s_or_b64 exec, exec, s[10:11]
.LBB857_214:
	s_or_b64 exec, exec, s[8:9]
.LBB857_215:
	s_or_b64 exec, exec, s[2:3]
	s_movk_i32 s2, 0xff
	v_and_b32_sdwa v51, v34, s2 dst_sel:DWORD dst_unused:UNUSED_PAD src0_sel:WORD_1 src1_sel:DWORD
	v_lshrrev_b32_e32 v42, 16, v34
	v_cmp_ne_u16_e32 vcc, 0, v51
	v_mov_b32_e32 v45, 0
	v_mov_b32_e32 v50, 0
	s_and_saveexec_b64 s[2:3], vcc
	s_cbranch_execz .LBB857_221
; %bb.216:
	s_movk_i32 s8, 0x80
	v_cmp_ne_u16_e32 vcc, s8, v51
	v_mov_b32_e32 v50, 0xffff8000
	s_and_saveexec_b64 s[8:9], vcc
	s_cbranch_execz .LBB857_220
; %bb.217:
	v_bfe_u32 v51, v34, 16, 7
	s_movk_i32 s10, 0x7f
	v_cmp_ne_u32_e32 vcc, s10, v51
	v_mov_b32_e32 v50, 0x7f80
	s_and_saveexec_b64 s[10:11], vcc
	s_cbranch_execz .LBB857_219
; %bb.218:
	v_and_b32_e32 v50, 7, v42
	v_ffbh_u32_e32 v52, v50
	v_min_u32_e32 v55, 32, v52
	v_subrev_u32_e32 v52, 28, v55
	v_lshlrev_b64 v[52:53], v52, v[42:43]
	v_lshrrev_b32_e32 v54, 3, v51
	v_sub_u32_e32 v42, 29, v55
	v_and_b32_e32 v52, 7, v52
	v_cmp_gt_u32_e32 vcc, 8, v51
	v_mov_b32_e32 v51, 24
	v_cndmask_b32_e32 v42, v54, v42, vcc
	v_cndmask_b32_e32 v50, v50, v52, vcc
	v_lshlrev_b32_sdwa v51, v51, v34 dst_sel:DWORD dst_unused:UNUSED_PAD src0_sel:DWORD src1_sel:WORD_1
	v_bfrev_b32_e32 v52, 60
	v_lshlrev_b32_e32 v50, 20, v50
	v_and_b32_e32 v51, 0x80000000, v51
	v_lshl_add_u32 v42, v42, 23, v52
	v_or3_b32 v42, v51, v42, v50
	v_lshrrev_b32_e32 v50, 16, v42
.LBB857_219:
	s_or_b64 exec, exec, s[10:11]
.LBB857_220:
	s_or_b64 exec, exec, s[8:9]
.LBB857_221:
	s_or_b64 exec, exec, s[2:3]
	s_mov_b32 s2, 0xffffff
	v_cmp_lt_u32_e32 vcc, s2, v34
	s_and_saveexec_b64 s[2:3], vcc
	s_cbranch_execz .LBB857_227
; %bb.222:
	v_lshrrev_b32_e32 v42, 24, v34
	s_movk_i32 s8, 0x80
	v_cmp_ne_u32_e32 vcc, s8, v42
	v_mov_b32_e32 v45, 0xffff8000
	s_and_saveexec_b64 s[8:9], vcc
	s_cbranch_execz .LBB857_226
; %bb.223:
	v_bfe_u32 v34, v34, 24, 7
	s_movk_i32 s10, 0x7f
	v_cmp_ne_u32_e32 vcc, s10, v34
	v_mov_b32_e32 v45, 0x7f80
	s_and_saveexec_b64 s[10:11], vcc
	s_cbranch_execz .LBB857_225
; %bb.224:
	v_and_b32_e32 v45, 7, v42
	v_ffbh_u32_e32 v52, v45
	v_min_u32_e32 v54, 32, v52
	v_subrev_u32_e32 v52, 28, v54
	v_lshlrev_b64 v[52:53], v52, v[42:43]
	v_lshrrev_b32_e32 v51, 3, v34
	v_sub_u32_e32 v53, 29, v54
	v_and_b32_e32 v52, 7, v52
	v_cmp_gt_u32_e32 vcc, 8, v34
	v_cndmask_b32_e32 v34, v51, v53, vcc
	v_cndmask_b32_e32 v45, v45, v52, vcc
	v_lshlrev_b32_e32 v42, 24, v42
	v_bfrev_b32_e32 v51, 60
	v_lshlrev_b32_e32 v45, 20, v45
	v_and_b32_e32 v42, 0x80000000, v42
	v_lshl_add_u32 v34, v34, 23, v51
	v_or3_b32 v34, v42, v34, v45
	v_lshrrev_b32_e32 v45, 16, v34
.LBB857_225:
	s_or_b64 exec, exec, s[10:11]
.LBB857_226:
	s_or_b64 exec, exec, s[8:9]
.LBB857_227:
	s_or_b64 exec, exec, s[2:3]
	v_mov_b32_e32 v42, 0
	v_cmp_ne_u16_sdwa s[8:9], v35, v42 src0_sel:BYTE_0 src1_sel:DWORD
	v_mov_b32_e32 v51, 0
	s_and_saveexec_b64 s[2:3], s[8:9]
	s_cbranch_execz .LBB857_233
; %bb.228:
	s_movk_i32 s8, 0x80
	v_cmp_ne_u16_sdwa s[10:11], v35, s8 src0_sel:BYTE_0 src1_sel:DWORD
	v_mov_b32_e32 v51, 0xffff8000
	s_and_saveexec_b64 s[8:9], s[10:11]
	s_cbranch_execz .LBB857_232
; %bb.229:
	s_movk_i32 s10, 0x7f
	v_and_b32_e32 v34, 0x7f, v35
	v_cmp_ne_u32_e32 vcc, s10, v34
	v_mov_b32_e32 v51, 0x7f80
	s_and_saveexec_b64 s[10:11], vcc
	s_cbranch_execz .LBB857_231
; %bb.230:
	v_and_b32_e32 v51, 7, v35
	v_ffbh_u32_e32 v53, v51
	v_min_u32_e32 v55, 32, v53
	v_mov_b32_e32 v52, v35
	v_subrev_u32_e32 v53, 28, v55
	v_lshlrev_b64 v[52:53], v53, v[52:53]
	v_lshrrev_b32_e32 v54, 3, v34
	v_sub_u32_e32 v53, 29, v55
	v_and_b32_e32 v52, 7, v52
	v_cmp_gt_u32_e32 vcc, 8, v34
	v_cndmask_b32_e32 v34, v54, v53, vcc
	v_cndmask_b32_e32 v51, v51, v52, vcc
	v_lshlrev_b32_e32 v52, 24, v35
	v_bfrev_b32_e32 v53, 60
	v_lshlrev_b32_e32 v51, 20, v51
	v_and_b32_e32 v52, 0x80000000, v52
	v_lshl_add_u32 v34, v34, 23, v53
	v_or3_b32 v34, v52, v34, v51
	v_lshrrev_b32_e32 v51, 16, v34
.LBB857_231:
	s_or_b64 exec, exec, s[10:11]
.LBB857_232:
	s_or_b64 exec, exec, s[8:9]
.LBB857_233:
	s_or_b64 exec, exec, s[2:3]
	v_lshrrev_b16_e32 v34, 8, v35
	v_cmp_ne_u16_e32 vcc, 0, v34
	s_and_saveexec_b64 s[2:3], vcc
	s_cbranch_execz .LBB857_239
; %bb.234:
	s_movk_i32 s8, 0x80
	v_cmp_ne_u16_e32 vcc, s8, v34
	v_mov_b32_e32 v42, 0xffff8000
	s_and_saveexec_b64 s[8:9], vcc
	s_cbranch_execz .LBB857_238
; %bb.235:
	s_movk_i32 s10, 0x7f
	v_and_b32_e32 v52, 0x7f, v34
	v_cmp_ne_u32_e32 vcc, s10, v52
	v_mov_b32_e32 v42, 0x7f80
	s_and_saveexec_b64 s[10:11], vcc
	s_cbranch_execz .LBB857_237
; %bb.236:
	v_and_b32_e32 v42, 7, v34
	v_ffbh_u32_e32 v54, v42
	v_min_u32_e32 v56, 32, v54
	v_subrev_u32_e32 v54, 28, v56
	v_lshlrev_b64 v[54:55], v54, v[34:35]
	v_lshrrev_b32_e32 v53, 3, v52
	v_sub_u32_e32 v34, 29, v56
	v_and_b32_e32 v54, 7, v54
	v_cmp_gt_u32_e32 vcc, 8, v52
	v_cndmask_b32_e32 v34, v53, v34, vcc
	v_cndmask_b32_e32 v42, v42, v54, vcc
	v_lshlrev_b32_e32 v52, 16, v35
	v_bfrev_b32_e32 v53, 60
	v_lshlrev_b32_e32 v42, 20, v42
	v_and_b32_e32 v52, 0x80000000, v52
	v_lshl_add_u32 v34, v34, 23, v53
	v_or3_b32 v34, v52, v34, v42
	v_lshrrev_b32_e32 v42, 16, v34
.LBB857_237:
	s_or_b64 exec, exec, s[10:11]
.LBB857_238:
	s_or_b64 exec, exec, s[8:9]
.LBB857_239:
	s_or_b64 exec, exec, s[2:3]
	s_movk_i32 s2, 0xff
	v_and_b32_sdwa v54, v35, s2 dst_sel:DWORD dst_unused:UNUSED_PAD src0_sel:WORD_1 src1_sel:DWORD
	v_lshrrev_b32_e32 v34, 16, v35
	v_cmp_ne_u16_e32 vcc, 0, v54
	v_mov_b32_e32 v52, 0
	v_mov_b32_e32 v53, 0
	s_and_saveexec_b64 s[2:3], vcc
	s_cbranch_execz .LBB857_245
; %bb.240:
	s_movk_i32 s8, 0x80
	v_cmp_ne_u16_e32 vcc, s8, v54
	v_mov_b32_e32 v53, 0xffff8000
	s_and_saveexec_b64 s[8:9], vcc
	s_cbranch_execz .LBB857_244
; %bb.241:
	v_bfe_u32 v54, v35, 16, 7
	s_movk_i32 s10, 0x7f
	v_cmp_ne_u32_e32 vcc, s10, v54
	v_mov_b32_e32 v53, 0x7f80
	s_and_saveexec_b64 s[10:11], vcc
	s_cbranch_execz .LBB857_243
; %bb.242:
	v_and_b32_e32 v53, 7, v34
	v_ffbh_u32_e32 v56, v53
	v_min_u32_e32 v58, 32, v56
	v_subrev_u32_e32 v56, 28, v58
	v_lshlrev_b64 v[56:57], v56, v[34:35]
	v_lshrrev_b32_e32 v55, 3, v54
	v_sub_u32_e32 v34, 29, v58
	v_and_b32_e32 v56, 7, v56
	v_cmp_gt_u32_e32 vcc, 8, v54
	v_mov_b32_e32 v54, 24
	v_cndmask_b32_e32 v34, v55, v34, vcc
	v_cndmask_b32_e32 v53, v53, v56, vcc
	v_lshlrev_b32_sdwa v54, v54, v35 dst_sel:DWORD dst_unused:UNUSED_PAD src0_sel:DWORD src1_sel:WORD_1
	v_bfrev_b32_e32 v55, 60
	v_lshlrev_b32_e32 v53, 20, v53
	v_and_b32_e32 v54, 0x80000000, v54
	v_lshl_add_u32 v34, v34, 23, v55
	v_or3_b32 v34, v54, v34, v53
	v_lshrrev_b32_e32 v53, 16, v34
.LBB857_243:
	s_or_b64 exec, exec, s[10:11]
.LBB857_244:
	s_or_b64 exec, exec, s[8:9]
.LBB857_245:
	s_or_b64 exec, exec, s[2:3]
	s_mov_b32 s2, 0xffffff
	v_cmp_lt_u32_e32 vcc, s2, v35
	s_and_saveexec_b64 s[2:3], vcc
	s_cbranch_execz .LBB857_251
; %bb.246:
	v_lshrrev_b32_e32 v34, 24, v35
	s_movk_i32 s8, 0x80
	v_cmp_ne_u32_e32 vcc, s8, v34
	v_mov_b32_e32 v52, 0xffff8000
	s_and_saveexec_b64 s[8:9], vcc
	s_cbranch_execz .LBB857_250
; %bb.247:
	v_bfe_u32 v35, v35, 24, 7
	s_movk_i32 s10, 0x7f
	v_cmp_ne_u32_e32 vcc, s10, v35
	v_mov_b32_e32 v52, 0x7f80
	s_and_saveexec_b64 s[10:11], vcc
	s_cbranch_execz .LBB857_249
; %bb.248:
	v_and_b32_e32 v52, 7, v34
	v_ffbh_u32_e32 v54, v52
	v_min_u32_e32 v57, 32, v54
	v_subrev_u32_e32 v54, 28, v57
	v_lshlrev_b64 v[54:55], v54, v[34:35]
	v_lshrrev_b32_e32 v56, 3, v35
	v_sub_u32_e32 v55, 29, v57
	v_and_b32_e32 v54, 7, v54
	v_cmp_gt_u32_e32 vcc, 8, v35
	v_cndmask_b32_e32 v35, v56, v55, vcc
	v_cndmask_b32_e32 v52, v52, v54, vcc
	v_lshlrev_b32_e32 v34, 24, v34
	v_bfrev_b32_e32 v54, 60
	v_lshlrev_b32_e32 v52, 20, v52
	v_and_b32_e32 v34, 0x80000000, v34
	v_lshl_add_u32 v35, v35, 23, v54
	v_or3_b32 v34, v34, v35, v52
	v_lshrrev_b32_e32 v52, 16, v34
.LBB857_249:
	s_or_b64 exec, exec, s[10:11]
.LBB857_250:
	s_or_b64 exec, exec, s[8:9]
.LBB857_251:
	s_or_b64 exec, exec, s[2:3]
	s_mov_b32 s2, 0x5040100
	v_perm_b32 v35, v45, v50, s2
	v_perm_b32 v34, v43, v44, s2
	;; [unrolled: 1-line block ×4, first 2 shown]
	v_mov_b32_e32 v50, 0
	v_mfma_f32_16x16x16bf16_1k v[54:57], v[34:35], v[26:27], 0
	v_mov_b32_e32 v35, 0
	v_cmp_ne_u16_sdwa s[8:9], v36, v35 src0_sel:BYTE_0 src1_sel:DWORD
	v_mfma_f32_16x16x16bf16_1k v[42:45], v[42:43], v[28:29], v[54:57]
	s_and_saveexec_b64 s[2:3], s[8:9]
	s_cbranch_execz .LBB857_257
; %bb.252:
	s_movk_i32 s8, 0x80
	v_cmp_ne_u16_sdwa s[10:11], v36, s8 src0_sel:BYTE_0 src1_sel:DWORD
	v_mov_b32_e32 v50, 0xffff8000
	s_and_saveexec_b64 s[8:9], s[10:11]
	s_cbranch_execz .LBB857_256
; %bb.253:
	s_movk_i32 s10, 0x7f
	v_and_b32_e32 v34, 0x7f, v36
	v_cmp_ne_u32_e32 vcc, s10, v34
	v_mov_b32_e32 v50, 0x7f80
	s_and_saveexec_b64 s[10:11], vcc
	s_cbranch_execz .LBB857_255
; %bb.254:
	v_and_b32_e32 v52, 7, v36
	v_ffbh_u32_e32 v50, v52
	v_min_u32_e32 v54, 32, v50
	v_subrev_u32_e32 v50, 28, v54
	v_lshlrev_b64 v[50:51], v50, v[36:37]
	v_lshrrev_b32_e32 v53, 3, v34
	v_sub_u32_e32 v51, 29, v54
	v_and_b32_e32 v50, 7, v50
	v_cmp_gt_u32_e32 vcc, 8, v34
	v_cndmask_b32_e32 v34, v53, v51, vcc
	v_cndmask_b32_e32 v50, v52, v50, vcc
	v_lshlrev_b32_e32 v51, 24, v36
	v_bfrev_b32_e32 v52, 60
	v_lshlrev_b32_e32 v50, 20, v50
	v_and_b32_e32 v51, 0x80000000, v51
	v_lshl_add_u32 v34, v34, 23, v52
	v_or3_b32 v34, v51, v34, v50
	v_lshrrev_b32_e32 v50, 16, v34
.LBB857_255:
	s_or_b64 exec, exec, s[10:11]
.LBB857_256:
	s_or_b64 exec, exec, s[8:9]
.LBB857_257:
	s_or_b64 exec, exec, s[2:3]
	v_lshrrev_b16_e32 v34, 8, v36
	v_cmp_ne_u16_e32 vcc, 0, v34
	s_and_saveexec_b64 s[2:3], vcc
	s_cbranch_execz .LBB857_263
; %bb.258:
	s_movk_i32 s8, 0x80
	v_cmp_ne_u16_e32 vcc, s8, v34
	v_mov_b32_e32 v35, 0xffff8000
	s_and_saveexec_b64 s[8:9], vcc
	s_cbranch_execz .LBB857_262
; %bb.259:
	s_movk_i32 s10, 0x7f
	v_and_b32_e32 v51, 0x7f, v34
	v_cmp_ne_u32_e32 vcc, s10, v51
	v_mov_b32_e32 v35, 0x7f80
	s_and_saveexec_b64 s[10:11], vcc
	s_cbranch_execz .LBB857_261
; %bb.260:
	v_and_b32_e32 v52, 7, v34
	v_ffbh_u32_e32 v35, v52
	v_min_u32_e32 v54, 32, v35
	v_subrev_u32_e32 v35, 28, v54
	v_lshlrev_b64 v[34:35], v35, v[34:35]
	v_lshrrev_b32_e32 v53, 3, v51
	v_sub_u32_e32 v35, 29, v54
	v_and_b32_e32 v34, 7, v34
	v_cmp_gt_u32_e32 vcc, 8, v51
	v_cndmask_b32_e32 v35, v53, v35, vcc
	v_cndmask_b32_e32 v34, v52, v34, vcc
	v_lshlrev_b32_e32 v51, 16, v36
	v_bfrev_b32_e32 v52, 60
	v_lshlrev_b32_e32 v34, 20, v34
	v_and_b32_e32 v51, 0x80000000, v51
	v_lshl_add_u32 v35, v35, 23, v52
	v_or3_b32 v34, v51, v35, v34
	v_lshrrev_b32_e32 v35, 16, v34
.LBB857_261:
	s_or_b64 exec, exec, s[10:11]
.LBB857_262:
	s_or_b64 exec, exec, s[8:9]
.LBB857_263:
	s_or_b64 exec, exec, s[2:3]
	s_movk_i32 s2, 0xff
	v_and_b32_sdwa v53, v36, s2 dst_sel:DWORD dst_unused:UNUSED_PAD src0_sel:WORD_1 src1_sel:DWORD
	v_lshrrev_b32_e32 v34, 16, v36
	v_cmp_ne_u16_e32 vcc, 0, v53
	v_mov_b32_e32 v51, 0
	v_mov_b32_e32 v52, 0
	s_and_saveexec_b64 s[2:3], vcc
	s_cbranch_execz .LBB857_269
; %bb.264:
	s_movk_i32 s8, 0x80
	v_cmp_ne_u16_e32 vcc, s8, v53
	v_mov_b32_e32 v52, 0xffff8000
	s_and_saveexec_b64 s[8:9], vcc
	s_cbranch_execz .LBB857_268
; %bb.265:
	v_bfe_u32 v53, v36, 16, 7
	s_movk_i32 s10, 0x7f
	v_cmp_ne_u32_e32 vcc, s10, v53
	v_mov_b32_e32 v52, 0x7f80
	s_and_saveexec_b64 s[10:11], vcc
	s_cbranch_execz .LBB857_267
; %bb.266:
	v_and_b32_e32 v52, 7, v34
	v_ffbh_u32_e32 v54, v52
	v_min_u32_e32 v57, 32, v54
	v_subrev_u32_e32 v54, 28, v57
	v_lshlrev_b64 v[54:55], v54, v[34:35]
	v_lshrrev_b32_e32 v56, 3, v53
	v_sub_u32_e32 v34, 29, v57
	v_and_b32_e32 v54, 7, v54
	v_cmp_gt_u32_e32 vcc, 8, v53
	v_mov_b32_e32 v53, 24
	v_cndmask_b32_e32 v34, v56, v34, vcc
	v_cndmask_b32_e32 v52, v52, v54, vcc
	v_lshlrev_b32_sdwa v53, v53, v36 dst_sel:DWORD dst_unused:UNUSED_PAD src0_sel:DWORD src1_sel:WORD_1
	v_bfrev_b32_e32 v54, 60
	v_lshlrev_b32_e32 v52, 20, v52
	v_and_b32_e32 v53, 0x80000000, v53
	v_lshl_add_u32 v34, v34, 23, v54
	v_or3_b32 v34, v53, v34, v52
	v_lshrrev_b32_e32 v52, 16, v34
.LBB857_267:
	s_or_b64 exec, exec, s[10:11]
.LBB857_268:
	s_or_b64 exec, exec, s[8:9]
.LBB857_269:
	s_or_b64 exec, exec, s[2:3]
	s_mov_b32 s2, 0xffffff
	v_cmp_lt_u32_e32 vcc, s2, v36
	s_and_saveexec_b64 s[2:3], vcc
	s_cbranch_execz .LBB857_275
; %bb.270:
	v_lshrrev_b32_e32 v34, 24, v36
	s_movk_i32 s8, 0x80
	v_cmp_ne_u32_e32 vcc, s8, v34
	v_mov_b32_e32 v51, 0xffff8000
	s_and_saveexec_b64 s[8:9], vcc
	s_cbranch_execz .LBB857_274
; %bb.271:
	v_bfe_u32 v36, v36, 24, 7
	s_movk_i32 s10, 0x7f
	v_cmp_ne_u32_e32 vcc, s10, v36
	v_mov_b32_e32 v51, 0x7f80
	s_and_saveexec_b64 s[10:11], vcc
	s_cbranch_execz .LBB857_273
; %bb.272:
	v_and_b32_e32 v51, 7, v34
	v_ffbh_u32_e32 v54, v51
	v_min_u32_e32 v56, 32, v54
	v_subrev_u32_e32 v54, 28, v56
	v_lshlrev_b64 v[54:55], v54, v[34:35]
	v_lshrrev_b32_e32 v53, 3, v36
	v_sub_u32_e32 v55, 29, v56
	v_and_b32_e32 v54, 7, v54
	v_cmp_gt_u32_e32 vcc, 8, v36
	v_cndmask_b32_e32 v36, v53, v55, vcc
	v_cndmask_b32_e32 v51, v51, v54, vcc
	v_lshlrev_b32_e32 v34, 24, v34
	v_bfrev_b32_e32 v53, 60
	v_lshlrev_b32_e32 v51, 20, v51
	v_and_b32_e32 v34, 0x80000000, v34
	v_lshl_add_u32 v36, v36, 23, v53
	v_or3_b32 v34, v34, v36, v51
	v_lshrrev_b32_e32 v51, 16, v34
.LBB857_273:
	s_or_b64 exec, exec, s[10:11]
.LBB857_274:
	s_or_b64 exec, exec, s[8:9]
.LBB857_275:
	s_or_b64 exec, exec, s[2:3]
	v_mov_b32_e32 v36, 0
	v_cmp_ne_u16_sdwa s[8:9], v37, v36 src0_sel:BYTE_0 src1_sel:DWORD
	v_mov_b32_e32 v53, 0
	s_and_saveexec_b64 s[2:3], s[8:9]
	s_cbranch_execz .LBB857_281
; %bb.276:
	s_movk_i32 s8, 0x80
	v_cmp_ne_u16_sdwa s[10:11], v37, s8 src0_sel:BYTE_0 src1_sel:DWORD
	v_mov_b32_e32 v53, 0xffff8000
	s_and_saveexec_b64 s[8:9], s[10:11]
	s_cbranch_execz .LBB857_280
; %bb.277:
	s_movk_i32 s10, 0x7f
	v_and_b32_e32 v34, 0x7f, v37
	v_cmp_ne_u32_e32 vcc, s10, v34
	v_mov_b32_e32 v53, 0x7f80
	s_and_saveexec_b64 s[10:11], vcc
	s_cbranch_execz .LBB857_279
; %bb.278:
	v_and_b32_e32 v53, 7, v37
	v_ffbh_u32_e32 v55, v53
	v_min_u32_e32 v57, 32, v55
	v_mov_b32_e32 v54, v37
	v_subrev_u32_e32 v55, 28, v57
	v_lshlrev_b64 v[54:55], v55, v[54:55]
	v_lshrrev_b32_e32 v56, 3, v34
	v_sub_u32_e32 v55, 29, v57
	v_and_b32_e32 v54, 7, v54
	v_cmp_gt_u32_e32 vcc, 8, v34
	v_cndmask_b32_e32 v34, v56, v55, vcc
	v_cndmask_b32_e32 v53, v53, v54, vcc
	v_lshlrev_b32_e32 v54, 24, v37
	v_bfrev_b32_e32 v55, 60
	v_lshlrev_b32_e32 v53, 20, v53
	v_and_b32_e32 v54, 0x80000000, v54
	v_lshl_add_u32 v34, v34, 23, v55
	v_or3_b32 v34, v54, v34, v53
	v_lshrrev_b32_e32 v53, 16, v34
.LBB857_279:
	s_or_b64 exec, exec, s[10:11]
.LBB857_280:
	s_or_b64 exec, exec, s[8:9]
.LBB857_281:
	s_or_b64 exec, exec, s[2:3]
	v_lshrrev_b16_e32 v34, 8, v37
	v_cmp_ne_u16_e32 vcc, 0, v34
	s_and_saveexec_b64 s[2:3], vcc
	s_cbranch_execz .LBB857_287
; %bb.282:
	s_movk_i32 s8, 0x80
	v_cmp_ne_u16_e32 vcc, s8, v34
	v_mov_b32_e32 v36, 0xffff8000
	s_and_saveexec_b64 s[8:9], vcc
	s_cbranch_execz .LBB857_286
; %bb.283:
	s_movk_i32 s10, 0x7f
	v_and_b32_e32 v54, 0x7f, v34
	v_cmp_ne_u32_e32 vcc, s10, v54
	v_mov_b32_e32 v36, 0x7f80
	s_and_saveexec_b64 s[10:11], vcc
	s_cbranch_execz .LBB857_285
; %bb.284:
	v_and_b32_e32 v36, 7, v34
	v_ffbh_u32_e32 v56, v36
	v_min_u32_e32 v58, 32, v56
	v_subrev_u32_e32 v56, 28, v58
	v_lshlrev_b64 v[56:57], v56, v[34:35]
	v_lshrrev_b32_e32 v55, 3, v54
	v_sub_u32_e32 v34, 29, v58
	v_and_b32_e32 v56, 7, v56
	v_cmp_gt_u32_e32 vcc, 8, v54
	v_cndmask_b32_e32 v34, v55, v34, vcc
	v_cndmask_b32_e32 v36, v36, v56, vcc
	v_lshlrev_b32_e32 v54, 16, v37
	v_bfrev_b32_e32 v55, 60
	v_lshlrev_b32_e32 v36, 20, v36
	v_and_b32_e32 v54, 0x80000000, v54
	v_lshl_add_u32 v34, v34, 23, v55
	v_or3_b32 v34, v54, v34, v36
	v_lshrrev_b32_e32 v36, 16, v34
.LBB857_285:
	s_or_b64 exec, exec, s[10:11]
.LBB857_286:
	s_or_b64 exec, exec, s[8:9]
.LBB857_287:
	s_or_b64 exec, exec, s[2:3]
	s_movk_i32 s2, 0xff
	v_and_b32_sdwa v56, v37, s2 dst_sel:DWORD dst_unused:UNUSED_PAD src0_sel:WORD_1 src1_sel:DWORD
	v_lshrrev_b32_e32 v34, 16, v37
	v_cmp_ne_u16_e32 vcc, 0, v56
	v_mov_b32_e32 v54, 0
	v_mov_b32_e32 v55, 0
	s_and_saveexec_b64 s[2:3], vcc
	s_cbranch_execz .LBB857_293
; %bb.288:
	s_movk_i32 s8, 0x80
	v_cmp_ne_u16_e32 vcc, s8, v56
	v_mov_b32_e32 v55, 0xffff8000
	s_and_saveexec_b64 s[8:9], vcc
	s_cbranch_execz .LBB857_292
; %bb.289:
	v_bfe_u32 v56, v37, 16, 7
	s_movk_i32 s10, 0x7f
	v_cmp_ne_u32_e32 vcc, s10, v56
	v_mov_b32_e32 v55, 0x7f80
	s_and_saveexec_b64 s[10:11], vcc
	s_cbranch_execz .LBB857_291
; %bb.290:
	v_and_b32_e32 v55, 7, v34
	v_ffbh_u32_e32 v58, v55
	v_min_u32_e32 v60, 32, v58
	v_subrev_u32_e32 v58, 28, v60
	v_lshlrev_b64 v[58:59], v58, v[34:35]
	v_lshrrev_b32_e32 v57, 3, v56
	v_sub_u32_e32 v34, 29, v60
	v_and_b32_e32 v58, 7, v58
	v_cmp_gt_u32_e32 vcc, 8, v56
	v_mov_b32_e32 v56, 24
	v_cndmask_b32_e32 v34, v57, v34, vcc
	v_cndmask_b32_e32 v55, v55, v58, vcc
	v_lshlrev_b32_sdwa v56, v56, v37 dst_sel:DWORD dst_unused:UNUSED_PAD src0_sel:DWORD src1_sel:WORD_1
	v_bfrev_b32_e32 v57, 60
	v_lshlrev_b32_e32 v55, 20, v55
	v_and_b32_e32 v56, 0x80000000, v56
	v_lshl_add_u32 v34, v34, 23, v57
	v_or3_b32 v34, v56, v34, v55
	v_lshrrev_b32_e32 v55, 16, v34
.LBB857_291:
	s_or_b64 exec, exec, s[10:11]
.LBB857_292:
	s_or_b64 exec, exec, s[8:9]
.LBB857_293:
	s_or_b64 exec, exec, s[2:3]
	s_mov_b32 s2, 0xffffff
	v_cmp_lt_u32_e32 vcc, s2, v37
	s_and_saveexec_b64 s[2:3], vcc
	s_cbranch_execz .LBB857_299
; %bb.294:
	v_lshrrev_b32_e32 v34, 24, v37
	s_movk_i32 s8, 0x80
	v_cmp_ne_u32_e32 vcc, s8, v34
	v_mov_b32_e32 v54, 0xffff8000
	s_and_saveexec_b64 s[8:9], vcc
	s_cbranch_execz .LBB857_298
; %bb.295:
	v_bfe_u32 v37, v37, 24, 7
	s_movk_i32 s10, 0x7f
	v_cmp_ne_u32_e32 vcc, s10, v37
	v_mov_b32_e32 v54, 0x7f80
	s_and_saveexec_b64 s[10:11], vcc
	s_cbranch_execz .LBB857_297
; %bb.296:
	v_and_b32_e32 v54, 7, v34
	v_ffbh_u32_e32 v56, v54
	v_min_u32_e32 v59, 32, v56
	v_subrev_u32_e32 v56, 28, v59
	v_lshlrev_b64 v[56:57], v56, v[34:35]
	v_lshrrev_b32_e32 v58, 3, v37
	v_sub_u32_e32 v57, 29, v59
	v_and_b32_e32 v56, 7, v56
	v_cmp_gt_u32_e32 vcc, 8, v37
	v_cndmask_b32_e32 v37, v58, v57, vcc
	v_cndmask_b32_e32 v54, v54, v56, vcc
	v_lshlrev_b32_e32 v34, 24, v34
	v_bfrev_b32_e32 v56, 60
	v_lshlrev_b32_e32 v54, 20, v54
	v_and_b32_e32 v34, 0x80000000, v34
	v_lshl_add_u32 v37, v37, 23, v56
	v_or3_b32 v34, v34, v37, v54
	v_lshrrev_b32_e32 v54, 16, v34
.LBB857_297:
	s_or_b64 exec, exec, s[10:11]
.LBB857_298:
	s_or_b64 exec, exec, s[8:9]
.LBB857_299:
	s_or_b64 exec, exec, s[2:3]
	s_mov_b32 s2, 0x5040100
	v_perm_b32 v51, v51, v52, s2
	v_perm_b32 v50, v35, v50, s2
	;; [unrolled: 1-line block ×4, first 2 shown]
	v_mfma_f32_16x16x16bf16_1k v[56:59], v[50:51], v[18:19], v[42:45]
	s_nop 6
	v_mov_b32_e32 v43, 0
	s_waitcnt vmcnt(4)
	v_cmp_ne_u16_sdwa s[8:9], v22, v43 src0_sel:BYTE_0 src1_sel:DWORD
	v_mfma_f32_16x16x16bf16_1k v[34:37], v[34:35], v[20:21], v[56:59]
	v_mov_b32_e32 v44, 0
	s_and_saveexec_b64 s[2:3], s[8:9]
	s_cbranch_execz .LBB857_305
; %bb.300:
	s_movk_i32 s8, 0x80
	v_cmp_ne_u16_sdwa s[10:11], v22, s8 src0_sel:BYTE_0 src1_sel:DWORD
	v_mov_b32_e32 v44, 0xffff8000
	s_and_saveexec_b64 s[8:9], s[10:11]
	s_cbranch_execz .LBB857_304
; %bb.301:
	s_movk_i32 s10, 0x7f
	v_and_b32_e32 v42, 0x7f, v22
	v_cmp_ne_u32_e32 vcc, s10, v42
	v_mov_b32_e32 v44, 0x7f80
	s_and_saveexec_b64 s[10:11], vcc
	s_cbranch_execz .LBB857_303
; %bb.302:
	v_and_b32_e32 v50, 7, v22
	v_ffbh_u32_e32 v44, v50
	v_min_u32_e32 v52, 32, v44
	v_subrev_u32_e32 v44, 28, v52
	v_lshlrev_b64 v[44:45], v44, v[22:23]
	v_lshrrev_b32_e32 v51, 3, v42
	v_sub_u32_e32 v45, 29, v52
	v_and_b32_e32 v44, 7, v44
	v_cmp_gt_u32_e32 vcc, 8, v42
	v_cndmask_b32_e32 v42, v51, v45, vcc
	v_cndmask_b32_e32 v44, v50, v44, vcc
	v_lshlrev_b32_e32 v45, 24, v22
	v_bfrev_b32_e32 v50, 60
	v_lshlrev_b32_e32 v44, 20, v44
	v_and_b32_e32 v45, 0x80000000, v45
	v_lshl_add_u32 v42, v42, 23, v50
	v_or3_b32 v42, v45, v42, v44
	v_lshrrev_b32_e32 v44, 16, v42
.LBB857_303:
	s_or_b64 exec, exec, s[10:11]
.LBB857_304:
	s_or_b64 exec, exec, s[8:9]
.LBB857_305:
	s_or_b64 exec, exec, s[2:3]
	v_lshrrev_b16_e32 v42, 8, v22
	v_cmp_ne_u16_e32 vcc, 0, v42
	s_and_saveexec_b64 s[2:3], vcc
	s_cbranch_execz .LBB857_311
; %bb.306:
	s_movk_i32 s8, 0x80
	v_cmp_ne_u16_e32 vcc, s8, v42
	v_mov_b32_e32 v43, 0xffff8000
	s_and_saveexec_b64 s[8:9], vcc
	s_cbranch_execz .LBB857_310
; %bb.307:
	s_movk_i32 s10, 0x7f
	v_and_b32_e32 v45, 0x7f, v42
	v_cmp_ne_u32_e32 vcc, s10, v45
	v_mov_b32_e32 v43, 0x7f80
	s_and_saveexec_b64 s[10:11], vcc
	s_cbranch_execz .LBB857_309
; %bb.308:
	v_and_b32_e32 v50, 7, v42
	v_ffbh_u32_e32 v43, v50
	v_min_u32_e32 v52, 32, v43
	v_subrev_u32_e32 v43, 28, v52
	v_lshlrev_b64 v[42:43], v43, v[42:43]
	v_lshrrev_b32_e32 v51, 3, v45
	v_sub_u32_e32 v43, 29, v52
	v_and_b32_e32 v42, 7, v42
	v_cmp_gt_u32_e32 vcc, 8, v45
	v_cndmask_b32_e32 v43, v51, v43, vcc
	v_cndmask_b32_e32 v42, v50, v42, vcc
	v_lshlrev_b32_e32 v45, 16, v22
	v_bfrev_b32_e32 v50, 60
	v_lshlrev_b32_e32 v42, 20, v42
	v_and_b32_e32 v45, 0x80000000, v45
	v_lshl_add_u32 v43, v43, 23, v50
	v_or3_b32 v42, v45, v43, v42
	v_lshrrev_b32_e32 v43, 16, v42
.LBB857_309:
	s_or_b64 exec, exec, s[10:11]
.LBB857_310:
	s_or_b64 exec, exec, s[8:9]
.LBB857_311:
	s_or_b64 exec, exec, s[2:3]
	s_movk_i32 s2, 0xff
	v_and_b32_sdwa v51, v22, s2 dst_sel:DWORD dst_unused:UNUSED_PAD src0_sel:WORD_1 src1_sel:DWORD
	v_lshrrev_b32_e32 v42, 16, v22
	v_cmp_ne_u16_e32 vcc, 0, v51
	v_mov_b32_e32 v45, 0
	v_mov_b32_e32 v50, 0
	s_and_saveexec_b64 s[2:3], vcc
	s_cbranch_execz .LBB857_317
; %bb.312:
	s_movk_i32 s8, 0x80
	v_cmp_ne_u16_e32 vcc, s8, v51
	v_mov_b32_e32 v50, 0xffff8000
	s_and_saveexec_b64 s[8:9], vcc
	s_cbranch_execz .LBB857_316
; %bb.313:
	v_bfe_u32 v51, v22, 16, 7
	s_movk_i32 s10, 0x7f
	v_cmp_ne_u32_e32 vcc, s10, v51
	v_mov_b32_e32 v50, 0x7f80
	s_and_saveexec_b64 s[10:11], vcc
	s_cbranch_execz .LBB857_315
; %bb.314:
	v_and_b32_e32 v50, 7, v42
	v_ffbh_u32_e32 v52, v50
	v_min_u32_e32 v55, 32, v52
	v_subrev_u32_e32 v52, 28, v55
	v_lshlrev_b64 v[52:53], v52, v[42:43]
	v_lshrrev_b32_e32 v54, 3, v51
	v_sub_u32_e32 v42, 29, v55
	v_and_b32_e32 v52, 7, v52
	v_cmp_gt_u32_e32 vcc, 8, v51
	v_mov_b32_e32 v51, 24
	v_cndmask_b32_e32 v42, v54, v42, vcc
	v_cndmask_b32_e32 v50, v50, v52, vcc
	v_lshlrev_b32_sdwa v51, v51, v22 dst_sel:DWORD dst_unused:UNUSED_PAD src0_sel:DWORD src1_sel:WORD_1
	v_bfrev_b32_e32 v52, 60
	v_lshlrev_b32_e32 v50, 20, v50
	v_and_b32_e32 v51, 0x80000000, v51
	v_lshl_add_u32 v42, v42, 23, v52
	v_or3_b32 v42, v51, v42, v50
	v_lshrrev_b32_e32 v50, 16, v42
.LBB857_315:
	s_or_b64 exec, exec, s[10:11]
.LBB857_316:
	s_or_b64 exec, exec, s[8:9]
.LBB857_317:
	s_or_b64 exec, exec, s[2:3]
	s_mov_b32 s2, 0xffffff
	v_cmp_lt_u32_e32 vcc, s2, v22
	s_and_saveexec_b64 s[2:3], vcc
	s_cbranch_execz .LBB857_323
; %bb.318:
	v_lshrrev_b32_e32 v42, 24, v22
	s_movk_i32 s8, 0x80
	v_cmp_ne_u32_e32 vcc, s8, v42
	v_mov_b32_e32 v45, 0xffff8000
	s_and_saveexec_b64 s[8:9], vcc
	s_cbranch_execz .LBB857_322
; %bb.319:
	v_bfe_u32 v22, v22, 24, 7
	s_movk_i32 s10, 0x7f
	v_cmp_ne_u32_e32 vcc, s10, v22
	v_mov_b32_e32 v45, 0x7f80
	s_and_saveexec_b64 s[10:11], vcc
	s_cbranch_execz .LBB857_321
; %bb.320:
	v_and_b32_e32 v45, 7, v42
	v_ffbh_u32_e32 v52, v45
	v_min_u32_e32 v54, 32, v52
	v_subrev_u32_e32 v52, 28, v54
	v_lshlrev_b64 v[52:53], v52, v[42:43]
	v_lshrrev_b32_e32 v51, 3, v22
	v_sub_u32_e32 v53, 29, v54
	v_and_b32_e32 v52, 7, v52
	v_cmp_gt_u32_e32 vcc, 8, v22
	v_cndmask_b32_e32 v22, v51, v53, vcc
	v_cndmask_b32_e32 v45, v45, v52, vcc
	v_lshlrev_b32_e32 v42, 24, v42
	v_bfrev_b32_e32 v51, 60
	v_lshlrev_b32_e32 v45, 20, v45
	v_and_b32_e32 v42, 0x80000000, v42
	v_lshl_add_u32 v22, v22, 23, v51
	v_or3_b32 v22, v42, v22, v45
	v_lshrrev_b32_e32 v45, 16, v22
.LBB857_321:
	s_or_b64 exec, exec, s[10:11]
.LBB857_322:
	s_or_b64 exec, exec, s[8:9]
.LBB857_323:
	s_or_b64 exec, exec, s[2:3]
	v_mov_b32_e32 v42, 0
	v_cmp_ne_u16_sdwa s[8:9], v23, v42 src0_sel:BYTE_0 src1_sel:DWORD
	v_mov_b32_e32 v51, 0
	s_and_saveexec_b64 s[2:3], s[8:9]
	s_cbranch_execz .LBB857_329
; %bb.324:
	s_movk_i32 s8, 0x80
	v_cmp_ne_u16_sdwa s[10:11], v23, s8 src0_sel:BYTE_0 src1_sel:DWORD
	v_mov_b32_e32 v51, 0xffff8000
	s_and_saveexec_b64 s[8:9], s[10:11]
	s_cbranch_execz .LBB857_328
; %bb.325:
	s_movk_i32 s10, 0x7f
	v_and_b32_e32 v22, 0x7f, v23
	v_cmp_ne_u32_e32 vcc, s10, v22
	v_mov_b32_e32 v51, 0x7f80
	s_and_saveexec_b64 s[10:11], vcc
	s_cbranch_execz .LBB857_327
; %bb.326:
	v_and_b32_e32 v51, 7, v23
	v_ffbh_u32_e32 v53, v51
	v_min_u32_e32 v55, 32, v53
	v_mov_b32_e32 v52, v23
	v_subrev_u32_e32 v53, 28, v55
	v_lshlrev_b64 v[52:53], v53, v[52:53]
	v_lshrrev_b32_e32 v54, 3, v22
	v_sub_u32_e32 v53, 29, v55
	v_and_b32_e32 v52, 7, v52
	v_cmp_gt_u32_e32 vcc, 8, v22
	v_cndmask_b32_e32 v22, v54, v53, vcc
	v_cndmask_b32_e32 v51, v51, v52, vcc
	v_lshlrev_b32_e32 v52, 24, v23
	v_bfrev_b32_e32 v53, 60
	v_lshlrev_b32_e32 v51, 20, v51
	v_and_b32_e32 v52, 0x80000000, v52
	v_lshl_add_u32 v22, v22, 23, v53
	v_or3_b32 v22, v52, v22, v51
	v_lshrrev_b32_e32 v51, 16, v22
.LBB857_327:
	s_or_b64 exec, exec, s[10:11]
.LBB857_328:
	s_or_b64 exec, exec, s[8:9]
.LBB857_329:
	s_or_b64 exec, exec, s[2:3]
	v_lshrrev_b16_e32 v22, 8, v23
	v_cmp_ne_u16_e32 vcc, 0, v22
	s_and_saveexec_b64 s[2:3], vcc
	s_cbranch_execz .LBB857_335
; %bb.330:
	s_movk_i32 s8, 0x80
	v_cmp_ne_u16_e32 vcc, s8, v22
	v_mov_b32_e32 v42, 0xffff8000
	s_and_saveexec_b64 s[8:9], vcc
	s_cbranch_execz .LBB857_334
; %bb.331:
	s_movk_i32 s10, 0x7f
	v_and_b32_e32 v52, 0x7f, v22
	v_cmp_ne_u32_e32 vcc, s10, v52
	v_mov_b32_e32 v42, 0x7f80
	s_and_saveexec_b64 s[10:11], vcc
	s_cbranch_execz .LBB857_333
; %bb.332:
	v_and_b32_e32 v42, 7, v22
	v_ffbh_u32_e32 v54, v42
	v_min_u32_e32 v56, 32, v54
	v_subrev_u32_e32 v54, 28, v56
	v_lshlrev_b64 v[54:55], v54, v[22:23]
	v_lshrrev_b32_e32 v53, 3, v52
	v_sub_u32_e32 v22, 29, v56
	v_and_b32_e32 v54, 7, v54
	v_cmp_gt_u32_e32 vcc, 8, v52
	v_cndmask_b32_e32 v22, v53, v22, vcc
	v_cndmask_b32_e32 v42, v42, v54, vcc
	v_lshlrev_b32_e32 v52, 16, v23
	v_bfrev_b32_e32 v53, 60
	v_lshlrev_b32_e32 v42, 20, v42
	v_and_b32_e32 v52, 0x80000000, v52
	v_lshl_add_u32 v22, v22, 23, v53
	v_or3_b32 v22, v52, v22, v42
	v_lshrrev_b32_e32 v42, 16, v22
.LBB857_333:
	s_or_b64 exec, exec, s[10:11]
.LBB857_334:
	s_or_b64 exec, exec, s[8:9]
.LBB857_335:
	s_or_b64 exec, exec, s[2:3]
	s_movk_i32 s2, 0xff
	v_and_b32_sdwa v54, v23, s2 dst_sel:DWORD dst_unused:UNUSED_PAD src0_sel:WORD_1 src1_sel:DWORD
	v_lshrrev_b32_e32 v22, 16, v23
	v_cmp_ne_u16_e32 vcc, 0, v54
	v_mov_b32_e32 v52, 0
	v_mov_b32_e32 v53, 0
	s_and_saveexec_b64 s[2:3], vcc
	s_cbranch_execz .LBB857_341
; %bb.336:
	s_movk_i32 s8, 0x80
	v_cmp_ne_u16_e32 vcc, s8, v54
	v_mov_b32_e32 v53, 0xffff8000
	s_and_saveexec_b64 s[8:9], vcc
	s_cbranch_execz .LBB857_340
; %bb.337:
	v_bfe_u32 v54, v23, 16, 7
	s_movk_i32 s10, 0x7f
	v_cmp_ne_u32_e32 vcc, s10, v54
	v_mov_b32_e32 v53, 0x7f80
	s_and_saveexec_b64 s[10:11], vcc
	s_cbranch_execz .LBB857_339
; %bb.338:
	v_and_b32_e32 v53, 7, v22
	v_ffbh_u32_e32 v56, v53
	v_min_u32_e32 v58, 32, v56
	v_subrev_u32_e32 v56, 28, v58
	v_lshlrev_b64 v[56:57], v56, v[22:23]
	v_lshrrev_b32_e32 v55, 3, v54
	v_sub_u32_e32 v22, 29, v58
	v_and_b32_e32 v56, 7, v56
	v_cmp_gt_u32_e32 vcc, 8, v54
	v_mov_b32_e32 v54, 24
	v_cndmask_b32_e32 v22, v55, v22, vcc
	v_cndmask_b32_e32 v53, v53, v56, vcc
	v_lshlrev_b32_sdwa v54, v54, v23 dst_sel:DWORD dst_unused:UNUSED_PAD src0_sel:DWORD src1_sel:WORD_1
	v_bfrev_b32_e32 v55, 60
	v_lshlrev_b32_e32 v53, 20, v53
	v_and_b32_e32 v54, 0x80000000, v54
	v_lshl_add_u32 v22, v22, 23, v55
	v_or3_b32 v22, v54, v22, v53
	v_lshrrev_b32_e32 v53, 16, v22
.LBB857_339:
	s_or_b64 exec, exec, s[10:11]
.LBB857_340:
	s_or_b64 exec, exec, s[8:9]
.LBB857_341:
	s_or_b64 exec, exec, s[2:3]
	s_mov_b32 s2, 0xffffff
	v_cmp_lt_u32_e32 vcc, s2, v23
	s_and_saveexec_b64 s[2:3], vcc
	s_cbranch_execz .LBB857_347
; %bb.342:
	v_lshrrev_b32_e32 v22, 24, v23
	s_movk_i32 s8, 0x80
	v_cmp_ne_u32_e32 vcc, s8, v22
	v_mov_b32_e32 v52, 0xffff8000
	s_and_saveexec_b64 s[8:9], vcc
	s_cbranch_execz .LBB857_346
; %bb.343:
	v_bfe_u32 v23, v23, 24, 7
	s_movk_i32 s10, 0x7f
	v_cmp_ne_u32_e32 vcc, s10, v23
	v_mov_b32_e32 v52, 0x7f80
	s_and_saveexec_b64 s[10:11], vcc
	s_cbranch_execz .LBB857_345
; %bb.344:
	v_and_b32_e32 v52, 7, v22
	v_ffbh_u32_e32 v54, v52
	v_min_u32_e32 v57, 32, v54
	v_subrev_u32_e32 v54, 28, v57
	v_lshlrev_b64 v[54:55], v54, v[22:23]
	v_lshrrev_b32_e32 v56, 3, v23
	v_sub_u32_e32 v55, 29, v57
	v_and_b32_e32 v54, 7, v54
	v_cmp_gt_u32_e32 vcc, 8, v23
	v_cndmask_b32_e32 v23, v56, v55, vcc
	v_cndmask_b32_e32 v52, v52, v54, vcc
	v_lshlrev_b32_e32 v22, 24, v22
	v_bfrev_b32_e32 v54, 60
	v_lshlrev_b32_e32 v52, 20, v52
	v_and_b32_e32 v22, 0x80000000, v22
	v_lshl_add_u32 v23, v23, 23, v54
	v_or3_b32 v22, v22, v23, v52
	v_lshrrev_b32_e32 v52, 16, v22
.LBB857_345:
	s_or_b64 exec, exec, s[10:11]
.LBB857_346:
	s_or_b64 exec, exec, s[8:9]
.LBB857_347:
	s_or_b64 exec, exec, s[2:3]
	s_mov_b32 s2, 0x5040100
	v_perm_b32 v23, v45, v50, s2
	v_perm_b32 v22, v43, v44, s2
	s_nop 1
	v_mfma_f32_16x16x16bf16_1k v[54:57], v[22:23], v[26:27], 0
	v_perm_b32 v27, v52, v53, s2
	v_perm_b32 v26, v42, v51, s2
	v_mov_b32_e32 v23, 0
	v_cmp_ne_u16_sdwa s[8:9], v24, v23 src0_sel:BYTE_0 src1_sel:DWORD
	v_mov_b32_e32 v42, 0
	v_mfma_f32_16x16x16bf16_1k v[26:29], v[26:27], v[28:29], v[54:57]
	s_and_saveexec_b64 s[2:3], s[8:9]
	s_cbranch_execz .LBB857_353
; %bb.348:
	s_movk_i32 s8, 0x80
	v_cmp_ne_u16_sdwa s[10:11], v24, s8 src0_sel:BYTE_0 src1_sel:DWORD
	v_mov_b32_e32 v42, 0xffff8000
	s_and_saveexec_b64 s[8:9], s[10:11]
	s_cbranch_execz .LBB857_352
; %bb.349:
	s_movk_i32 s10, 0x7f
	v_and_b32_e32 v22, 0x7f, v24
	v_cmp_ne_u32_e32 vcc, s10, v22
	v_mov_b32_e32 v42, 0x7f80
	s_and_saveexec_b64 s[10:11], vcc
	s_cbranch_execz .LBB857_351
; %bb.350:
	v_and_b32_e32 v44, 7, v24
	v_ffbh_u32_e32 v42, v44
	v_min_u32_e32 v50, 32, v42
	v_subrev_u32_e32 v42, 28, v50
	v_lshlrev_b64 v[42:43], v42, v[24:25]
	v_lshrrev_b32_e32 v45, 3, v22
	v_sub_u32_e32 v43, 29, v50
	v_and_b32_e32 v42, 7, v42
	v_cmp_gt_u32_e32 vcc, 8, v22
	v_cndmask_b32_e32 v22, v45, v43, vcc
	v_cndmask_b32_e32 v42, v44, v42, vcc
	v_lshlrev_b32_e32 v43, 24, v24
	v_bfrev_b32_e32 v44, 60
	v_lshlrev_b32_e32 v42, 20, v42
	v_and_b32_e32 v43, 0x80000000, v43
	v_lshl_add_u32 v22, v22, 23, v44
	v_or3_b32 v22, v43, v22, v42
	v_lshrrev_b32_e32 v42, 16, v22
.LBB857_351:
	s_or_b64 exec, exec, s[10:11]
.LBB857_352:
	s_or_b64 exec, exec, s[8:9]
.LBB857_353:
	s_or_b64 exec, exec, s[2:3]
	v_lshrrev_b16_e32 v22, 8, v24
	v_cmp_ne_u16_e32 vcc, 0, v22
	s_and_saveexec_b64 s[2:3], vcc
	s_cbranch_execz .LBB857_359
; %bb.354:
	s_movk_i32 s8, 0x80
	v_cmp_ne_u16_e32 vcc, s8, v22
	v_mov_b32_e32 v23, 0xffff8000
	s_and_saveexec_b64 s[8:9], vcc
	s_cbranch_execz .LBB857_358
; %bb.355:
	s_movk_i32 s10, 0x7f
	v_and_b32_e32 v43, 0x7f, v22
	v_cmp_ne_u32_e32 vcc, s10, v43
	v_mov_b32_e32 v23, 0x7f80
	s_and_saveexec_b64 s[10:11], vcc
	s_cbranch_execz .LBB857_357
; %bb.356:
	v_and_b32_e32 v44, 7, v22
	v_ffbh_u32_e32 v23, v44
	v_min_u32_e32 v50, 32, v23
	v_subrev_u32_e32 v23, 28, v50
	v_lshlrev_b64 v[22:23], v23, v[22:23]
	v_lshrrev_b32_e32 v45, 3, v43
	v_sub_u32_e32 v23, 29, v50
	v_and_b32_e32 v22, 7, v22
	v_cmp_gt_u32_e32 vcc, 8, v43
	v_cndmask_b32_e32 v23, v45, v23, vcc
	v_cndmask_b32_e32 v22, v44, v22, vcc
	v_lshlrev_b32_e32 v43, 16, v24
	v_bfrev_b32_e32 v44, 60
	v_lshlrev_b32_e32 v22, 20, v22
	v_and_b32_e32 v43, 0x80000000, v43
	v_lshl_add_u32 v23, v23, 23, v44
	v_or3_b32 v22, v43, v23, v22
	v_lshrrev_b32_e32 v23, 16, v22
.LBB857_357:
	s_or_b64 exec, exec, s[10:11]
.LBB857_358:
	s_or_b64 exec, exec, s[8:9]
.LBB857_359:
	s_or_b64 exec, exec, s[2:3]
	s_movk_i32 s2, 0xff
	v_and_b32_sdwa v45, v24, s2 dst_sel:DWORD dst_unused:UNUSED_PAD src0_sel:WORD_1 src1_sel:DWORD
	v_lshrrev_b32_e32 v22, 16, v24
	v_cmp_ne_u16_e32 vcc, 0, v45
	v_mov_b32_e32 v43, 0
	v_mov_b32_e32 v44, 0
	s_and_saveexec_b64 s[2:3], vcc
	s_cbranch_execz .LBB857_365
; %bb.360:
	s_movk_i32 s8, 0x80
	v_cmp_ne_u16_e32 vcc, s8, v45
	v_mov_b32_e32 v44, 0xffff8000
	s_and_saveexec_b64 s[8:9], vcc
	s_cbranch_execz .LBB857_364
; %bb.361:
	v_bfe_u32 v45, v24, 16, 7
	s_movk_i32 s10, 0x7f
	v_cmp_ne_u32_e32 vcc, s10, v45
	v_mov_b32_e32 v44, 0x7f80
	s_and_saveexec_b64 s[10:11], vcc
	s_cbranch_execz .LBB857_363
; %bb.362:
	v_and_b32_e32 v44, 7, v22
	v_ffbh_u32_e32 v50, v44
	v_min_u32_e32 v53, 32, v50
	v_subrev_u32_e32 v50, 28, v53
	v_lshlrev_b64 v[50:51], v50, v[22:23]
	v_lshrrev_b32_e32 v52, 3, v45
	v_sub_u32_e32 v22, 29, v53
	v_and_b32_e32 v50, 7, v50
	v_cmp_gt_u32_e32 vcc, 8, v45
	v_mov_b32_e32 v45, 24
	v_cndmask_b32_e32 v22, v52, v22, vcc
	v_cndmask_b32_e32 v44, v44, v50, vcc
	v_lshlrev_b32_sdwa v45, v45, v24 dst_sel:DWORD dst_unused:UNUSED_PAD src0_sel:DWORD src1_sel:WORD_1
	v_bfrev_b32_e32 v50, 60
	v_lshlrev_b32_e32 v44, 20, v44
	v_and_b32_e32 v45, 0x80000000, v45
	v_lshl_add_u32 v22, v22, 23, v50
	v_or3_b32 v22, v45, v22, v44
	v_lshrrev_b32_e32 v44, 16, v22
.LBB857_363:
	s_or_b64 exec, exec, s[10:11]
.LBB857_364:
	s_or_b64 exec, exec, s[8:9]
.LBB857_365:
	s_or_b64 exec, exec, s[2:3]
	s_mov_b32 s2, 0xffffff
	v_cmp_lt_u32_e32 vcc, s2, v24
	s_and_saveexec_b64 s[2:3], vcc
	s_cbranch_execz .LBB857_371
; %bb.366:
	v_lshrrev_b32_e32 v22, 24, v24
	s_movk_i32 s8, 0x80
	v_cmp_ne_u32_e32 vcc, s8, v22
	v_mov_b32_e32 v43, 0xffff8000
	s_and_saveexec_b64 s[8:9], vcc
	s_cbranch_execz .LBB857_370
; %bb.367:
	v_bfe_u32 v24, v24, 24, 7
	s_movk_i32 s10, 0x7f
	v_cmp_ne_u32_e32 vcc, s10, v24
	v_mov_b32_e32 v43, 0x7f80
	s_and_saveexec_b64 s[10:11], vcc
	s_cbranch_execz .LBB857_369
; %bb.368:
	v_and_b32_e32 v43, 7, v22
	v_ffbh_u32_e32 v50, v43
	v_min_u32_e32 v52, 32, v50
	v_subrev_u32_e32 v50, 28, v52
	v_lshlrev_b64 v[50:51], v50, v[22:23]
	v_lshrrev_b32_e32 v45, 3, v24
	v_sub_u32_e32 v51, 29, v52
	v_and_b32_e32 v50, 7, v50
	v_cmp_gt_u32_e32 vcc, 8, v24
	v_cndmask_b32_e32 v24, v45, v51, vcc
	v_cndmask_b32_e32 v43, v43, v50, vcc
	v_lshlrev_b32_e32 v22, 24, v22
	v_bfrev_b32_e32 v45, 60
	v_lshlrev_b32_e32 v43, 20, v43
	v_and_b32_e32 v22, 0x80000000, v22
	v_lshl_add_u32 v24, v24, 23, v45
	v_or3_b32 v22, v22, v24, v43
	v_lshrrev_b32_e32 v43, 16, v22
.LBB857_369:
	s_or_b64 exec, exec, s[10:11]
.LBB857_370:
	s_or_b64 exec, exec, s[8:9]
.LBB857_371:
	s_or_b64 exec, exec, s[2:3]
	v_mov_b32_e32 v24, 0
	v_cmp_ne_u16_sdwa s[8:9], v25, v24 src0_sel:BYTE_0 src1_sel:DWORD
	v_mov_b32_e32 v50, 0
	s_and_saveexec_b64 s[2:3], s[8:9]
	s_cbranch_execz .LBB857_377
; %bb.372:
	s_movk_i32 s8, 0x80
	v_cmp_ne_u16_sdwa s[10:11], v25, s8 src0_sel:BYTE_0 src1_sel:DWORD
	v_mov_b32_e32 v50, 0xffff8000
	s_and_saveexec_b64 s[8:9], s[10:11]
	s_cbranch_execz .LBB857_376
; %bb.373:
	s_movk_i32 s10, 0x7f
	v_and_b32_e32 v22, 0x7f, v25
	v_cmp_ne_u32_e32 vcc, s10, v22
	v_mov_b32_e32 v50, 0x7f80
	s_and_saveexec_b64 s[10:11], vcc
	s_cbranch_execz .LBB857_375
; %bb.374:
	v_and_b32_e32 v45, 7, v25
	v_ffbh_u32_e32 v51, v45
	v_min_u32_e32 v53, 32, v51
	v_mov_b32_e32 v50, v25
	v_subrev_u32_e32 v51, 28, v53
	v_lshlrev_b64 v[50:51], v51, v[50:51]
	v_lshrrev_b32_e32 v52, 3, v22
	v_sub_u32_e32 v51, 29, v53
	v_and_b32_e32 v50, 7, v50
	v_cmp_gt_u32_e32 vcc, 8, v22
	v_cndmask_b32_e32 v22, v52, v51, vcc
	v_cndmask_b32_e32 v45, v45, v50, vcc
	v_lshlrev_b32_e32 v50, 24, v25
	v_bfrev_b32_e32 v51, 60
	v_lshlrev_b32_e32 v45, 20, v45
	v_and_b32_e32 v50, 0x80000000, v50
	v_lshl_add_u32 v22, v22, 23, v51
	v_or3_b32 v22, v50, v22, v45
	v_lshrrev_b32_e32 v50, 16, v22
.LBB857_375:
	s_or_b64 exec, exec, s[10:11]
.LBB857_376:
	s_or_b64 exec, exec, s[8:9]
.LBB857_377:
	s_or_b64 exec, exec, s[2:3]
	v_lshrrev_b16_e32 v22, 8, v25
	v_cmp_ne_u16_e32 vcc, 0, v22
	s_and_saveexec_b64 s[2:3], vcc
	s_cbranch_execz .LBB857_383
; %bb.378:
	s_movk_i32 s8, 0x80
	v_cmp_ne_u16_e32 vcc, s8, v22
	v_mov_b32_e32 v24, 0xffff8000
	s_and_saveexec_b64 s[8:9], vcc
	s_cbranch_execz .LBB857_382
; %bb.379:
	s_movk_i32 s10, 0x7f
	v_and_b32_e32 v45, 0x7f, v22
	v_cmp_ne_u32_e32 vcc, s10, v45
	v_mov_b32_e32 v24, 0x7f80
	s_and_saveexec_b64 s[10:11], vcc
	s_cbranch_execz .LBB857_381
; %bb.380:
	v_and_b32_e32 v24, 7, v22
	v_ffbh_u32_e32 v52, v24
	v_min_u32_e32 v54, 32, v52
	v_subrev_u32_e32 v52, 28, v54
	v_lshlrev_b64 v[52:53], v52, v[22:23]
	v_lshrrev_b32_e32 v51, 3, v45
	v_sub_u32_e32 v22, 29, v54
	v_and_b32_e32 v52, 7, v52
	v_cmp_gt_u32_e32 vcc, 8, v45
	v_cndmask_b32_e32 v22, v51, v22, vcc
	v_cndmask_b32_e32 v24, v24, v52, vcc
	v_lshlrev_b32_e32 v45, 16, v25
	v_bfrev_b32_e32 v51, 60
	v_lshlrev_b32_e32 v24, 20, v24
	v_and_b32_e32 v45, 0x80000000, v45
	v_lshl_add_u32 v22, v22, 23, v51
	v_or3_b32 v22, v45, v22, v24
	v_lshrrev_b32_e32 v24, 16, v22
.LBB857_381:
	s_or_b64 exec, exec, s[10:11]
.LBB857_382:
	s_or_b64 exec, exec, s[8:9]
.LBB857_383:
	s_or_b64 exec, exec, s[2:3]
	s_movk_i32 s2, 0xff
	v_and_b32_sdwa v45, v25, s2 dst_sel:DWORD dst_unused:UNUSED_PAD src0_sel:WORD_1 src1_sel:DWORD
	v_lshrrev_b32_e32 v22, 16, v25
	v_cmp_ne_u16_e32 vcc, 0, v45
	v_mov_b32_e32 v51, 0
	v_mov_b32_e32 v52, 0
	s_and_saveexec_b64 s[2:3], vcc
	s_cbranch_execz .LBB857_389
; %bb.384:
	s_movk_i32 s8, 0x80
	v_cmp_ne_u16_e32 vcc, s8, v45
	v_mov_b32_e32 v52, 0xffff8000
	s_and_saveexec_b64 s[8:9], vcc
	s_cbranch_execz .LBB857_388
; %bb.385:
	v_bfe_u32 v45, v25, 16, 7
	s_movk_i32 s10, 0x7f
	v_cmp_ne_u32_e32 vcc, s10, v45
	v_mov_b32_e32 v52, 0x7f80
	s_and_saveexec_b64 s[10:11], vcc
	s_cbranch_execz .LBB857_387
; %bb.386:
	v_and_b32_e32 v54, 7, v22
	v_ffbh_u32_e32 v52, v54
	v_min_u32_e32 v56, 32, v52
	v_subrev_u32_e32 v52, 28, v56
	v_lshlrev_b64 v[52:53], v52, v[22:23]
	v_and_b32_e32 v52, 7, v52
	v_cmp_gt_u32_e32 vcc, 8, v45
	v_lshrrev_b32_e32 v55, 3, v45
	v_sub_u32_e32 v22, 29, v56
	v_cndmask_b32_e32 v45, v54, v52, vcc
	v_mov_b32_e32 v52, 24
	v_cndmask_b32_e32 v22, v55, v22, vcc
	v_lshlrev_b32_sdwa v52, v52, v25 dst_sel:DWORD dst_unused:UNUSED_PAD src0_sel:DWORD src1_sel:WORD_1
	v_bfrev_b32_e32 v53, 60
	v_lshlrev_b32_e32 v45, 20, v45
	v_and_b32_e32 v52, 0x80000000, v52
	v_lshl_add_u32 v22, v22, 23, v53
	v_or3_b32 v22, v52, v22, v45
	v_lshrrev_b32_e32 v52, 16, v22
.LBB857_387:
	s_or_b64 exec, exec, s[10:11]
.LBB857_388:
	s_or_b64 exec, exec, s[8:9]
.LBB857_389:
	s_or_b64 exec, exec, s[2:3]
	s_mov_b32 s2, 0xffffff
	v_and_b32_e32 v45, 63, v0
	v_cmp_lt_u32_e32 vcc, s2, v25
	s_and_saveexec_b64 s[2:3], vcc
	s_cbranch_execz .LBB857_395
; %bb.390:
	v_lshrrev_b32_e32 v22, 24, v25
	s_movk_i32 s8, 0x80
	v_cmp_ne_u32_e32 vcc, s8, v22
	v_mov_b32_e32 v51, 0xffff8000
	s_and_saveexec_b64 s[8:9], vcc
	s_cbranch_execz .LBB857_394
; %bb.391:
	v_bfe_u32 v25, v25, 24, 7
	s_movk_i32 s10, 0x7f
	v_cmp_ne_u32_e32 vcc, s10, v25
	v_mov_b32_e32 v51, 0x7f80
	s_and_saveexec_b64 s[10:11], vcc
	s_cbranch_execz .LBB857_393
; %bb.392:
	v_and_b32_e32 v51, 7, v22
	v_ffbh_u32_e32 v54, v51
	v_min_u32_e32 v56, 32, v54
	v_subrev_u32_e32 v54, 28, v56
	v_lshlrev_b64 v[54:55], v54, v[22:23]
	v_lshrrev_b32_e32 v53, 3, v25
	v_sub_u32_e32 v55, 29, v56
	v_and_b32_e32 v54, 7, v54
	v_cmp_gt_u32_e32 vcc, 8, v25
	v_cndmask_b32_e32 v25, v53, v55, vcc
	v_cndmask_b32_e32 v51, v51, v54, vcc
	v_lshlrev_b32_e32 v22, 24, v22
	v_bfrev_b32_e32 v53, 60
	v_lshlrev_b32_e32 v51, 20, v51
	v_and_b32_e32 v22, 0x80000000, v22
	v_lshl_add_u32 v25, v25, 23, v53
	v_or3_b32 v22, v22, v25, v51
	v_lshrrev_b32_e32 v51, 16, v22
.LBB857_393:
	s_or_b64 exec, exec, s[10:11]
.LBB857_394:
	s_or_b64 exec, exec, s[8:9]
.LBB857_395:
	s_or_b64 exec, exec, s[2:3]
	s_mov_b32 s3, 0x5040100
	v_perm_b32 v43, v43, v44, s3
	v_perm_b32 v42, v23, v42, s3
	s_load_dword s2, s[4:5], 0x1c
	s_mov_b32 s46, 0xff7fffff
	s_waitcnt lgkmcnt(0)
	v_mfma_f32_16x16x16bf16_1k v[26:29], v[42:43], v[18:19], v[26:29]
	v_perm_b32 v19, v51, v52, s3
	v_perm_b32 v18, v24, v50, s3
	v_and_b32_e32 v24, 0xc0, v0
	v_mov_b32_e32 v22, s2
	v_add_u32_e32 v24, s20, v24
	v_mul_f32_e32 v44, s12, v22
	v_lshl_or_b32 v42, v1, 2, v24
	v_mfma_f32_16x16x16bf16_1k v[18:21], v[18:19], v[20:21], v[26:29]
	v_pk_mul_f32 v[22:23], v[44:45], v[36:37] op_sel_hi:[0,1]
	v_pk_mul_f32 v[36:37], v[44:45], v[40:41] op_sel_hi:[0,1]
	;; [unrolled: 1-line block ×4, first 2 shown]
	v_mov_b32_e32 v43, 0xff7fffff
	v_cmp_gt_i32_e64 s[26:27], s33, v42
	v_pk_mul_f32 v[38:39], v[44:45], v[38:39] op_sel_hi:[0,1]
	s_nop 3
	v_pk_mul_f32 v[32:33], v[44:45], v[18:19] op_sel_hi:[0,1]
	v_or_b32_e32 v19, 1, v42
	v_cmp_gt_i32_e64 s[28:29], s33, v19
	v_cndmask_b32_e64 v18, v43, v30, s[26:27]
	v_cndmask_b32_e64 v19, v43, v31, s[28:29]
	v_pk_mul_f32 v[24:25], v[44:45], v[20:21] op_sel_hi:[0,1]
	v_max3_f32 v18, v18, s46, v19
	v_or_b32_e32 v19, 2, v42
	v_or_b32_e32 v20, 3, v42
	v_cmp_gt_i32_e64 s[30:31], s33, v19
	v_cmp_gt_i32_e64 s[34:35], s33, v20
	v_cndmask_b32_e64 v19, v43, v40, s[30:31]
	v_cndmask_b32_e64 v20, v43, v41, s[34:35]
	v_max3_f32 v18, v18, v19, v20
	v_or_b32_e32 v19, 16, v42
	v_or_b32_e32 v20, 17, v42
	v_cmp_gt_i32_e64 s[36:37], s33, v19
	v_cmp_gt_i32_e64 s[38:39], s33, v20
	v_cndmask_b32_e64 v19, v43, v38, s[36:37]
	v_cndmask_b32_e64 v20, v43, v39, s[38:39]
	;; [unrolled: 7-line block ×3, first 2 shown]
	v_max3_f32 v18, v18, v19, v20
	v_or_b32_e32 v19, 32, v42
	v_or_b32_e32 v20, 33, v42
	v_pk_mul_f32 v[34:35], v[44:45], v[34:35] op_sel_hi:[0,1]
	v_cmp_gt_i32_e64 s[16:17], s33, v19
	v_cmp_gt_i32_e64 s[18:19], s33, v20
	v_cndmask_b32_e64 v19, v43, v34, s[16:17]
	v_cndmask_b32_e64 v20, v43, v35, s[18:19]
	v_max3_f32 v18, v18, v19, v20
	v_or_b32_e32 v19, 34, v42
	v_or_b32_e32 v20, 35, v42
	v_cmp_gt_i32_e64 s[12:13], s33, v19
	v_cmp_gt_i32_e64 s[14:15], s33, v20
	v_cndmask_b32_e64 v19, v43, v22, s[12:13]
	v_cndmask_b32_e64 v20, v43, v23, s[14:15]
	v_max3_f32 v18, v18, v19, v20
	v_or_b32_e32 v19, 48, v42
	v_or_b32_e32 v20, 49, v42
	v_cmp_gt_i32_e64 s[8:9], s33, v19
	v_cmp_gt_i32_e64 s[10:11], s33, v20
	v_cndmask_b32_e64 v19, v43, v32, s[8:9]
	v_cndmask_b32_e64 v20, v43, v33, s[10:11]
	v_max3_f32 v18, v18, v19, v20
	v_or_b32_e32 v19, 50, v42
	v_or_b32_e32 v20, 51, v42
	v_cmp_gt_i32_e32 vcc, s33, v19
	v_cmp_gt_i32_e64 s[2:3], s33, v20
	v_cndmask_b32_e32 v19, v43, v24, vcc
	v_cndmask_b32_e64 v20, v43, v25, s[2:3]
	v_max3_f32 v18, v18, v19, v20
	v_mbcnt_lo_u32_b32 v19, -1, 0
	v_mbcnt_hi_u32_b32 v19, -1, v19
	v_and_b32_e32 v20, 64, v19
	v_add_u32_e32 v20, 64, v20
	v_xor_b32_e32 v21, 32, v19
	v_cmp_lt_i32_e64 s[40:41], v21, v20
	v_cndmask_b32_e64 v21, v19, v21, s[40:41]
	v_lshlrev_b32_e32 v43, 2, v21
	ds_bpermute_b32 v21, v43, v18
	s_barrier
	s_waitcnt lgkmcnt(0)
	v_max_f32_e32 v21, v21, v21
	v_max_f32_e32 v18, v18, v21
	v_xor_b32_e32 v21, 16, v19
	v_cmp_lt_i32_e64 s[40:41], v21, v20
	v_cndmask_b32_e64 v19, v19, v21, s[40:41]
	v_lshlrev_b32_e32 v44, 2, v19
	ds_bpermute_b32 v19, v44, v18
	s_waitcnt lgkmcnt(0)
	v_max_f32_e32 v19, v19, v19
	v_max_f32_e32 v42, v18, v19
	v_sub_f32_e32 v21, v40, v42
	v_sub_f32_e32 v26, v41, v42
	v_mul_f32_e32 v21, 0x3fb8aa3b, v21
	v_mul_f32_e32 v26, 0x3fb8aa3b, v26
	v_sub_f32_e32 v18, v30, v42
	v_exp_f32_e32 v21, v21
	v_exp_f32_e32 v26, v26
	v_mul_f32_e32 v18, 0x3fb8aa3b, v18
	v_sub_f32_e32 v19, v31, v42
	v_exp_f32_e32 v18, v18
	v_mul_f32_e32 v19, 0x3fb8aa3b, v19
	v_exp_f32_e32 v19, v19
	v_cndmask_b32_e64 v28, 0, v21, s[30:31]
	v_cndmask_b32_e64 v29, 0, v26, s[34:35]
	v_sub_f32_e32 v21, v38, v42
	v_sub_f32_e32 v26, v39, v42
	v_mul_f32_e32 v21, 0x3fb8aa3b, v21
	v_mul_f32_e32 v26, 0x3fb8aa3b, v26
	v_cndmask_b32_e64 v18, 0, v18, s[26:27]
	v_exp_f32_e32 v21, v21
	v_exp_f32_e32 v26, v26
	v_add_f32_e32 v20, 0, v18
	v_cndmask_b32_e64 v19, 0, v19, s[28:29]
	v_add_f32_e32 v20, v20, v19
	v_add_f32_e32 v20, v20, v28
	;; [unrolled: 1-line block ×3, first 2 shown]
	v_cndmask_b32_e64 v20, 0, v21, s[36:37]
	v_cndmask_b32_e64 v21, 0, v26, s[38:39]
	v_sub_f32_e32 v26, v36, v42
	v_mul_f32_e32 v26, 0x3fb8aa3b, v26
	v_exp_f32_e32 v26, v26
	v_sub_f32_e32 v30, v37, v42
	v_add_f32_e32 v27, v27, v20
	v_mul_f32_e32 v30, 0x3fb8aa3b, v30
	v_exp_f32_e32 v31, v30
	v_add_f32_e32 v27, v27, v21
	v_cndmask_b32_e64 v30, 0, v26, s[20:21]
	v_add_f32_e32 v26, v27, v30
	v_sub_f32_e32 v27, v34, v42
	v_mul_f32_e32 v27, 0x3fb8aa3b, v27
	v_sub_f32_e32 v34, v35, v42
	v_exp_f32_e32 v27, v27
	v_mul_f32_e32 v34, 0x3fb8aa3b, v34
	v_sub_f32_e32 v22, v22, v42
	v_exp_f32_e32 v34, v34
	v_mul_f32_e32 v22, 0x3fb8aa3b, v22
	v_sub_f32_e32 v23, v23, v42
	v_exp_f32_e32 v22, v22
	v_mul_f32_e32 v23, 0x3fb8aa3b, v23
	v_cndmask_b32_e64 v31, 0, v31, s[22:23]
	v_exp_f32_e32 v23, v23
	v_add_f32_e32 v35, v26, v31
	v_cndmask_b32_e64 v26, 0, v27, s[16:17]
	v_add_f32_e32 v35, v35, v26
	v_cndmask_b32_e64 v27, 0, v34, s[18:19]
	;; [unrolled: 2-line block ×4, first 2 shown]
	v_sub_f32_e32 v23, v32, v42
	v_mul_f32_e32 v23, 0x3fb8aa3b, v23
	v_sub_f32_e32 v32, v33, v42
	v_exp_f32_e32 v23, v23
	v_mul_f32_e32 v32, 0x3fb8aa3b, v32
	v_sub_f32_e32 v24, v24, v42
	v_exp_f32_e32 v32, v32
	;; [unrolled: 3-line block ×3, first 2 shown]
	v_mul_f32_e32 v25, 0x3fb8aa3b, v25
	v_exp_f32_e32 v25, v25
	v_add_f32_e32 v33, v22, v35
	v_cndmask_b32_e64 v22, 0, v23, s[8:9]
	v_add_f32_e32 v33, v33, v22
	v_cndmask_b32_e64 v23, 0, v32, s[10:11]
	v_add_f32_e32 v32, v33, v23
	v_cndmask_b32_e32 v24, 0, v24, vcc
	v_add_f32_e32 v32, v32, v24
	v_cndmask_b32_e64 v25, 0, v25, s[2:3]
	v_add_f32_e32 v32, v32, v25
	ds_bpermute_b32 v33, v43, v32
	v_cmp_gt_u32_e32 vcc, 16, v45
	s_waitcnt lgkmcnt(0)
	v_add_f32_e32 v32, v32, v33
	ds_bpermute_b32 v36, v44, v32
	v_lshlrev_b32_e32 v33, 2, v48
	s_and_saveexec_b64 s[2:3], vcc
	s_cbranch_execz .LBB857_397
; %bb.396:
	s_waitcnt lgkmcnt(0)
	v_add_f32_e32 v32, v32, v36
	v_lshl_or_b32 v36, v49, 6, v33
	ds_write2st64_b32 v36, v42, v32 offset1:1
.LBB857_397:
	s_or_b64 exec, exec, s[2:3]
	s_waitcnt lgkmcnt(0)
	s_barrier
	ds_read2_b32 v[36:37], v33 offset1:16
	ds_read2_b32 v[38:39], v33 offset0:32 offset1:48
	ds_read2_b32 v[40:41], v33 offset0:64 offset1:80
	s_mul_i32 s12, s45, 12
	s_waitcnt lgkmcnt(2)
	v_max3_f32 v32, v36, s46, v37
	s_waitcnt lgkmcnt(1)
	v_max3_f32 v32, v32, v38, v39
	v_sub_f32_e32 v36, v36, v32
	v_mul_f32_e32 v36, 0x3fb8aa3b, v36
	v_exp_f32_e32 v42, v36
	v_sub_f32_e32 v36, v37, v32
	v_mul_f32_e32 v36, 0x3fb8aa3b, v36
	v_exp_f32_e32 v43, v36
	;; [unrolled: 3-line block ×3, first 2 shown]
	ds_read2_b32 v[36:37], v33 offset0:96 offset1:112
	v_sub_f32_e32 v33, v39, v32
	v_mul_f32_e32 v33, 0x3fb8aa3b, v33
	v_exp_f32_e32 v39, v33
	s_waitcnt lgkmcnt(1)
	v_fma_f32 v33, v42, v40, 0
	v_fmac_f32_e32 v33, v43, v41
	s_waitcnt lgkmcnt(0)
	v_fmac_f32_e32 v33, v38, v36
	v_fmac_f32_e32 v33, v39, v37
	v_add_f32_e32 v36, 0x358637bd, v33
	v_div_scale_f32 v37, s[2:3], v36, v36, 1.0
	v_rcp_f32_e32 v40, v37
	s_movk_i32 s2, 0x7fff
	s_mov_b32 s3, 0x7060302
	v_fma_f32 v41, -v37, v40, 1.0
	v_fmac_f32_e32 v40, v41, v40
	v_div_scale_f32 v41, vcc, 1.0, v36, 1.0
	v_mul_f32_e32 v44, v41, v40
	v_fma_f32 v45, -v37, v44, v41
	v_fmac_f32_e32 v44, v45, v40
	v_fma_f32 v37, -v37, v44, v41
	v_div_fmas_f32 v37, v37, v40, v44
	v_cmp_eq_u32_e32 vcc, 1, v49
	v_div_fixup_f32 v36, v37, v36, 1.0
	v_cndmask_b32_e32 v37, v42, v43, vcc
	v_cmp_eq_u32_e32 vcc, 2, v49
	v_cndmask_b32_e32 v37, v37, v38, vcc
	v_cmp_eq_u32_e32 vcc, 3, v49
	v_cndmask_b32_e32 v37, v37, v39, vcc
	v_mul_f32_e32 v36, v37, v36
	v_pk_mul_f32 v[18:19], v[36:37], v[18:19] op_sel_hi:[0,1]
	v_pk_mul_f32 v[28:29], v[36:37], v[28:29] op_sel_hi:[0,1]
	v_bfe_u32 v37, v19, 16, 1
	v_bfe_u32 v38, v18, 16, 1
	v_add3_u32 v18, v18, v38, s2
	v_add3_u32 v19, v19, v37, s2
	v_perm_b32 v38, v19, v18, s3
	v_bfe_u32 v18, v29, 16, 1
	v_bfe_u32 v19, v28, 16, 1
	v_add3_u32 v19, v28, v19, s2
	v_add3_u32 v18, v29, v18, s2
	v_perm_b32 v39, v18, v19, s3
	v_lshlrev_b32_e32 v18, 3, v1
	v_lshlrev_b32_e32 v19, 5, v48
	;; [unrolled: 1-line block ×3, first 2 shown]
	v_pk_mul_f32 v[20:21], v[36:37], v[20:21] op_sel_hi:[0,1]
	v_or3_b32 v28, v28, v19, v18
	v_bfe_u32 v18, v21, 16, 1
	v_bfe_u32 v29, v20, 16, 1
	v_pk_mul_f32 v[30:31], v[36:37], v[30:31] op_sel_hi:[0,1]
	v_add3_u32 v20, v20, v29, s2
	v_add3_u32 v18, v21, v18, s2
	v_perm_b32 v20, v18, v20, s3
	v_bfe_u32 v18, v31, 16, 1
	v_bfe_u32 v21, v30, 16, 1
	v_add3_u32 v21, v30, v21, s2
	v_add3_u32 v18, v31, v18, s2
	v_pk_mul_f32 v[26:27], v[36:37], v[26:27] op_sel_hi:[0,1]
	v_perm_b32 v21, v18, v21, s3
	v_bfe_u32 v18, v27, 16, 1
	v_bfe_u32 v29, v26, 16, 1
	s_barrier
	ds_write2st64_b64 v28, v[38:39], v[20:21] offset1:1
	v_pk_mul_f32 v[20:21], v[36:37], v[34:35] op_sel_hi:[0,1]
	v_add3_u32 v26, v26, v29, s2
	v_add3_u32 v18, v27, v18, s2
	v_perm_b32 v26, v18, v26, s3
	v_bfe_u32 v18, v21, 16, 1
	v_bfe_u32 v27, v20, 16, 1
	v_add3_u32 v20, v20, v27, s2
	v_add3_u32 v18, v21, v18, s2
	v_pk_mul_f32 v[22:23], v[36:37], v[22:23] op_sel_hi:[0,1]
	v_perm_b32 v27, v18, v20, s3
	v_pk_mul_f32 v[20:21], v[36:37], v[24:25] op_sel_hi:[0,1]
	v_bfe_u32 v18, v23, 16, 1
	v_bfe_u32 v24, v22, 16, 1
	v_add3_u32 v22, v22, v24, s2
	v_add3_u32 v18, v23, v18, s2
	v_perm_b32 v22, v18, v22, s3
	v_bfe_u32 v18, v21, 16, 1
	v_bfe_u32 v23, v20, 16, 1
	v_add3_u32 v20, v20, v23, s2
	v_add3_u32 v18, v21, v18, s2
	v_perm_b32 v23, v18, v20, s3
	v_cmp_gt_u32_e32 vcc, 12, v0
	ds_write2st64_b64 v28, v[26:27], v[22:23] offset0:2 offset1:3
	s_and_saveexec_b64 s[2:3], vcc
	s_cbranch_execz .LBB857_399
; %bb.398:
	v_add_co_u32_e32 v22, vcc, s25, v48
	v_addc_co_u32_e64 v23, s[14:15], 0, 0, vcc
	v_mov_b32_e32 v18, s12
	v_mov_b32_e32 v21, 0
	v_mad_u64_u32 v[22:23], s[14:15], s6, v18, v[22:23]
	v_mov_b32_e32 v20, s24
	s_load_dwordx4 s[8:11], s[4:5], 0x58
	s_mul_i32 s7, s7, s12
	v_mad_u64_u32 v[20:21], s[14:15], v22, s44, v[20:21]
	v_add_u32_e32 v23, s7, v23
	v_mov_b32_e32 v18, v21
	v_mad_u64_u32 v[22:23], s[14:15], v23, s44, v[18:19]
	v_mov_b32_e32 v21, v22
	v_lshlrev_b64 v[20:21], 2, v[20:21]
	s_waitcnt lgkmcnt(0)
	v_mov_b32_e32 v18, s11
	v_add_co_u32_e32 v22, vcc, s10, v20
	v_addc_co_u32_e32 v23, vcc, v18, v21, vcc
	v_mov_b32_e32 v18, s9
	v_add_co_u32_e32 v20, vcc, s8, v20
	v_addc_co_u32_e32 v21, vcc, v18, v21, vcc
	global_store_dword v[22:23], v32, off
	global_store_dword v[20:21], v33, off
.LBB857_399:
	s_or_b64 exec, exec, s[2:3]
	v_mov_b32_e32 v20, 0
	s_waitcnt vmcnt(3)
	v_cmp_ne_u16_sdwa s[8:9], v14, v20 src0_sel:BYTE_0 src1_sel:DWORD
	v_mov_b32_e32 v21, 0
	s_waitcnt lgkmcnt(0)
	s_barrier
	s_and_saveexec_b64 s[2:3], s[8:9]
	s_cbranch_execz .LBB857_405
; %bb.400:
	s_movk_i32 s7, 0x80
	v_cmp_ne_u16_sdwa s[10:11], v14, s7 src0_sel:BYTE_0 src1_sel:DWORD
	v_mov_b32_e32 v21, 0xffff8000
	s_and_saveexec_b64 s[8:9], s[10:11]
	s_cbranch_execz .LBB857_404
; %bb.401:
	s_movk_i32 s7, 0x7f
	v_and_b32_e32 v18, 0x7f, v14
	v_cmp_ne_u32_e32 vcc, s7, v18
	v_mov_b32_e32 v21, 0x7f80
	s_and_saveexec_b64 s[10:11], vcc
	s_cbranch_execz .LBB857_403
; %bb.402:
	v_and_b32_e32 v21, 7, v14
	v_ffbh_u32_e32 v22, v21
	v_min_u32_e32 v25, 32, v22
	v_subrev_u32_e32 v22, 28, v25
	v_lshlrev_b64 v[22:23], v22, v[14:15]
	v_lshrrev_b32_e32 v24, 3, v18
	v_sub_u32_e32 v23, 29, v25
	v_and_b32_e32 v22, 7, v22
	v_cmp_gt_u32_e32 vcc, 8, v18
	v_cndmask_b32_e32 v18, v24, v23, vcc
	v_cndmask_b32_e32 v21, v21, v22, vcc
	v_lshlrev_b32_e32 v22, 24, v14
	v_bfrev_b32_e32 v23, 60
	v_lshlrev_b32_e32 v21, 20, v21
	v_and_b32_e32 v22, 0x80000000, v22
	v_lshl_add_u32 v18, v18, 23, v23
	v_or3_b32 v18, v22, v18, v21
	v_lshrrev_b32_e32 v21, 16, v18
.LBB857_403:
	s_or_b64 exec, exec, s[10:11]
.LBB857_404:
	s_or_b64 exec, exec, s[8:9]
.LBB857_405:
	s_or_b64 exec, exec, s[2:3]
	v_lshrrev_b16_e32 v18, 8, v14
	v_cmp_ne_u16_e32 vcc, 0, v18
	s_and_saveexec_b64 s[2:3], vcc
	s_cbranch_execz .LBB857_411
; %bb.406:
	s_movk_i32 s7, 0x80
	v_cmp_ne_u16_e32 vcc, s7, v18
	v_mov_b32_e32 v20, 0xffff8000
	s_and_saveexec_b64 s[8:9], vcc
	s_cbranch_execz .LBB857_410
; %bb.407:
	s_movk_i32 s7, 0x7f
	v_and_b32_e32 v22, 0x7f, v18
	v_cmp_ne_u32_e32 vcc, s7, v22
	v_mov_b32_e32 v20, 0x7f80
	s_and_saveexec_b64 s[10:11], vcc
	s_cbranch_execz .LBB857_409
; %bb.408:
	v_and_b32_e32 v20, 7, v18
	v_ffbh_u32_e32 v24, v20
	v_min_u32_e32 v26, 32, v24
	v_subrev_u32_e32 v24, 28, v26
	v_lshlrev_b64 v[24:25], v24, v[18:19]
	v_lshrrev_b32_e32 v23, 3, v22
	v_sub_u32_e32 v18, 29, v26
	v_and_b32_e32 v24, 7, v24
	v_cmp_gt_u32_e32 vcc, 8, v22
	v_cndmask_b32_e32 v18, v23, v18, vcc
	v_cndmask_b32_e32 v20, v20, v24, vcc
	v_lshlrev_b32_e32 v22, 16, v14
	v_bfrev_b32_e32 v23, 60
	v_lshlrev_b32_e32 v20, 20, v20
	v_and_b32_e32 v22, 0x80000000, v22
	v_lshl_add_u32 v18, v18, 23, v23
	v_or3_b32 v18, v22, v18, v20
	v_lshrrev_b32_e32 v20, 16, v18
.LBB857_409:
	s_or_b64 exec, exec, s[10:11]
.LBB857_410:
	s_or_b64 exec, exec, s[8:9]
.LBB857_411:
	s_or_b64 exec, exec, s[2:3]
	s_movk_i32 s2, 0xff
	v_and_b32_sdwa v24, v14, s2 dst_sel:DWORD dst_unused:UNUSED_PAD src0_sel:WORD_1 src1_sel:DWORD
	v_lshrrev_b32_e32 v18, 16, v14
	v_cmp_ne_u16_e32 vcc, 0, v24
	v_mov_b32_e32 v22, 0
	v_mov_b32_e32 v23, 0
	s_and_saveexec_b64 s[2:3], vcc
	s_cbranch_execz .LBB857_417
; %bb.412:
	s_movk_i32 s7, 0x80
	v_cmp_ne_u16_e32 vcc, s7, v24
	v_mov_b32_e32 v23, 0xffff8000
	s_and_saveexec_b64 s[8:9], vcc
	s_cbranch_execz .LBB857_416
; %bb.413:
	v_bfe_u32 v24, v14, 16, 7
	s_movk_i32 s7, 0x7f
	v_cmp_ne_u32_e32 vcc, s7, v24
	v_mov_b32_e32 v23, 0x7f80
	s_and_saveexec_b64 s[10:11], vcc
	s_cbranch_execz .LBB857_415
; %bb.414:
	v_and_b32_e32 v23, 7, v18
	v_ffbh_u32_e32 v26, v23
	v_min_u32_e32 v29, 32, v26
	v_subrev_u32_e32 v26, 28, v29
	v_lshlrev_b64 v[26:27], v26, v[18:19]
	v_lshrrev_b32_e32 v25, 3, v24
	v_sub_u32_e32 v18, 29, v29
	v_and_b32_e32 v26, 7, v26
	v_cmp_gt_u32_e32 vcc, 8, v24
	v_mov_b32_e32 v24, 24
	v_cndmask_b32_e32 v18, v25, v18, vcc
	v_cndmask_b32_e32 v23, v23, v26, vcc
	v_lshlrev_b32_sdwa v24, v24, v14 dst_sel:DWORD dst_unused:UNUSED_PAD src0_sel:DWORD src1_sel:WORD_1
	v_bfrev_b32_e32 v25, 60
	v_lshlrev_b32_e32 v23, 20, v23
	v_and_b32_e32 v24, 0x80000000, v24
	v_lshl_add_u32 v18, v18, 23, v25
	v_or3_b32 v18, v24, v18, v23
	v_lshrrev_b32_e32 v23, 16, v18
.LBB857_415:
	s_or_b64 exec, exec, s[10:11]
.LBB857_416:
	s_or_b64 exec, exec, s[8:9]
.LBB857_417:
	s_or_b64 exec, exec, s[2:3]
	s_mov_b32 s2, 0xffffff
	v_cmp_lt_u32_e32 vcc, s2, v14
	s_and_saveexec_b64 s[2:3], vcc
	s_cbranch_execz .LBB857_423
; %bb.418:
	v_lshrrev_b32_e32 v18, 24, v14
	s_movk_i32 s7, 0x80
	v_cmp_ne_u32_e32 vcc, s7, v18
	v_mov_b32_e32 v22, 0xffff8000
	s_and_saveexec_b64 s[8:9], vcc
	s_cbranch_execz .LBB857_422
; %bb.419:
	v_bfe_u32 v14, v14, 24, 7
	s_movk_i32 s7, 0x7f
	v_cmp_ne_u32_e32 vcc, s7, v14
	v_mov_b32_e32 v22, 0x7f80
	s_and_saveexec_b64 s[10:11], vcc
	s_cbranch_execz .LBB857_421
; %bb.420:
	v_and_b32_e32 v22, 7, v18
	v_ffbh_u32_e32 v24, v22
	v_min_u32_e32 v27, 32, v24
	v_subrev_u32_e32 v24, 28, v27
	v_lshlrev_b64 v[24:25], v24, v[18:19]
	v_lshrrev_b32_e32 v26, 3, v14
	v_sub_u32_e32 v25, 29, v27
	v_and_b32_e32 v24, 7, v24
	v_cmp_gt_u32_e32 vcc, 8, v14
	v_cndmask_b32_e32 v14, v26, v25, vcc
	v_cndmask_b32_e32 v22, v22, v24, vcc
	v_lshlrev_b32_e32 v18, 24, v18
	v_bfrev_b32_e32 v24, 60
	v_lshlrev_b32_e32 v22, 20, v22
	v_and_b32_e32 v18, 0x80000000, v18
	v_lshl_add_u32 v14, v14, 23, v24
	v_or3_b32 v14, v18, v14, v22
	v_lshrrev_b32_e32 v22, 16, v14
.LBB857_421:
	s_or_b64 exec, exec, s[10:11]
.LBB857_422:
	s_or_b64 exec, exec, s[8:9]
.LBB857_423:
	s_or_b64 exec, exec, s[2:3]
	v_mov_b32_e32 v18, 0
	v_cmp_ne_u16_sdwa s[8:9], v15, v18 src0_sel:BYTE_0 src1_sel:DWORD
	v_mov_b32_e32 v24, 0
	s_and_saveexec_b64 s[2:3], s[8:9]
	s_cbranch_execz .LBB857_429
; %bb.424:
	s_movk_i32 s7, 0x80
	v_cmp_ne_u16_sdwa s[10:11], v15, s7 src0_sel:BYTE_0 src1_sel:DWORD
	v_mov_b32_e32 v24, 0xffff8000
	s_and_saveexec_b64 s[8:9], s[10:11]
	s_cbranch_execz .LBB857_428
; %bb.425:
	s_movk_i32 s7, 0x7f
	v_and_b32_e32 v14, 0x7f, v15
	v_cmp_ne_u32_e32 vcc, s7, v14
	v_mov_b32_e32 v24, 0x7f80
	s_and_saveexec_b64 s[10:11], vcc
	s_cbranch_execz .LBB857_427
; %bb.426:
	v_and_b32_e32 v26, 7, v15
	v_ffbh_u32_e32 v25, v26
	v_min_u32_e32 v29, 32, v25
	v_mov_b32_e32 v24, v15
	v_subrev_u32_e32 v25, 28, v29
	v_lshlrev_b64 v[24:25], v25, v[24:25]
	v_lshrrev_b32_e32 v27, 3, v14
	v_sub_u32_e32 v25, 29, v29
	v_and_b32_e32 v24, 7, v24
	v_cmp_gt_u32_e32 vcc, 8, v14
	v_cndmask_b32_e32 v14, v27, v25, vcc
	v_cndmask_b32_e32 v24, v26, v24, vcc
	v_lshlrev_b32_e32 v25, 24, v15
	v_bfrev_b32_e32 v26, 60
	v_lshlrev_b32_e32 v24, 20, v24
	v_and_b32_e32 v25, 0x80000000, v25
	v_lshl_add_u32 v14, v14, 23, v26
	v_or3_b32 v14, v25, v14, v24
	v_lshrrev_b32_e32 v24, 16, v14
.LBB857_427:
	s_or_b64 exec, exec, s[10:11]
.LBB857_428:
	s_or_b64 exec, exec, s[8:9]
.LBB857_429:
	s_or_b64 exec, exec, s[2:3]
	v_lshrrev_b16_e32 v14, 8, v15
	v_cmp_ne_u16_e32 vcc, 0, v14
	s_and_saveexec_b64 s[2:3], vcc
	s_cbranch_execz .LBB857_435
; %bb.430:
	s_movk_i32 s7, 0x80
	v_cmp_ne_u16_e32 vcc, s7, v14
	v_mov_b32_e32 v18, 0xffff8000
	s_and_saveexec_b64 s[8:9], vcc
	s_cbranch_execz .LBB857_434
; %bb.431:
	s_movk_i32 s7, 0x7f
	v_and_b32_e32 v25, 0x7f, v14
	v_cmp_ne_u32_e32 vcc, s7, v25
	v_mov_b32_e32 v18, 0x7f80
	s_and_saveexec_b64 s[10:11], vcc
	s_cbranch_execz .LBB857_433
; %bb.432:
	v_and_b32_e32 v18, 7, v14
	v_ffbh_u32_e32 v26, v18
	v_min_u32_e32 v30, 32, v26
	v_subrev_u32_e32 v26, 28, v30
	v_lshlrev_b64 v[26:27], v26, v[14:15]
	v_lshrrev_b32_e32 v29, 3, v25
	v_sub_u32_e32 v14, 29, v30
	v_and_b32_e32 v26, 7, v26
	v_cmp_gt_u32_e32 vcc, 8, v25
	v_cndmask_b32_e32 v14, v29, v14, vcc
	v_cndmask_b32_e32 v18, v18, v26, vcc
	v_lshlrev_b32_e32 v25, 16, v15
	v_bfrev_b32_e32 v26, 60
	v_lshlrev_b32_e32 v18, 20, v18
	v_and_b32_e32 v25, 0x80000000, v25
	v_lshl_add_u32 v14, v14, 23, v26
	v_or3_b32 v14, v25, v14, v18
	v_lshrrev_b32_e32 v18, 16, v14
.LBB857_433:
	s_or_b64 exec, exec, s[10:11]
.LBB857_434:
	s_or_b64 exec, exec, s[8:9]
.LBB857_435:
	s_or_b64 exec, exec, s[2:3]
	s_movk_i32 s2, 0xff
	v_and_b32_sdwa v27, v15, s2 dst_sel:DWORD dst_unused:UNUSED_PAD src0_sel:WORD_1 src1_sel:DWORD
	v_lshrrev_b32_e32 v14, 16, v15
	v_cmp_ne_u16_e32 vcc, 0, v27
	v_mov_b32_e32 v25, 0
	v_mov_b32_e32 v26, 0
	s_and_saveexec_b64 s[2:3], vcc
	s_cbranch_execz .LBB857_441
; %bb.436:
	s_movk_i32 s7, 0x80
	v_cmp_ne_u16_e32 vcc, s7, v27
	v_mov_b32_e32 v26, 0xffff8000
	s_and_saveexec_b64 s[8:9], vcc
	s_cbranch_execz .LBB857_440
; %bb.437:
	v_bfe_u32 v27, v15, 16, 7
	s_movk_i32 s7, 0x7f
	v_cmp_ne_u32_e32 vcc, s7, v27
	v_mov_b32_e32 v26, 0x7f80
	s_and_saveexec_b64 s[10:11], vcc
	s_cbranch_execz .LBB857_439
; %bb.438:
	v_and_b32_e32 v26, 7, v14
	v_ffbh_u32_e32 v30, v26
	v_min_u32_e32 v32, 32, v30
	v_subrev_u32_e32 v30, 28, v32
	v_lshlrev_b64 v[30:31], v30, v[14:15]
	v_lshrrev_b32_e32 v29, 3, v27
	v_sub_u32_e32 v14, 29, v32
	v_and_b32_e32 v30, 7, v30
	v_cmp_gt_u32_e32 vcc, 8, v27
	v_mov_b32_e32 v27, 24
	v_cndmask_b32_e32 v14, v29, v14, vcc
	v_cndmask_b32_e32 v26, v26, v30, vcc
	v_lshlrev_b32_sdwa v27, v27, v15 dst_sel:DWORD dst_unused:UNUSED_PAD src0_sel:DWORD src1_sel:WORD_1
	v_bfrev_b32_e32 v29, 60
	v_lshlrev_b32_e32 v26, 20, v26
	v_and_b32_e32 v27, 0x80000000, v27
	v_lshl_add_u32 v14, v14, 23, v29
	v_or3_b32 v14, v27, v14, v26
	v_lshrrev_b32_e32 v26, 16, v14
.LBB857_439:
	s_or_b64 exec, exec, s[10:11]
.LBB857_440:
	s_or_b64 exec, exec, s[8:9]
.LBB857_441:
	s_or_b64 exec, exec, s[2:3]
	s_mov_b32 s2, 0xffffff
	v_cmp_lt_u32_e32 vcc, s2, v15
	s_and_saveexec_b64 s[2:3], vcc
	s_cbranch_execz .LBB857_447
; %bb.442:
	v_lshrrev_b32_e32 v14, 24, v15
	s_movk_i32 s7, 0x80
	v_cmp_ne_u32_e32 vcc, s7, v14
	v_mov_b32_e32 v25, 0xffff8000
	s_and_saveexec_b64 s[8:9], vcc
	s_cbranch_execz .LBB857_446
; %bb.443:
	v_bfe_u32 v15, v15, 24, 7
	s_movk_i32 s7, 0x7f
	v_cmp_ne_u32_e32 vcc, s7, v15
	v_mov_b32_e32 v25, 0x7f80
	s_and_saveexec_b64 s[10:11], vcc
	s_cbranch_execz .LBB857_445
; %bb.444:
	v_and_b32_e32 v25, 7, v14
	v_ffbh_u32_e32 v29, v25
	v_min_u32_e32 v29, 32, v29
	v_subrev_u32_e32 v30, 28, v29
	v_lshlrev_b64 v[30:31], v30, v[14:15]
	v_lshrrev_b32_e32 v27, 3, v15
	v_sub_u32_e32 v29, 29, v29
	v_and_b32_e32 v30, 7, v30
	v_cmp_gt_u32_e32 vcc, 8, v15
	v_cndmask_b32_e32 v15, v27, v29, vcc
	v_cndmask_b32_e32 v25, v25, v30, vcc
	v_lshlrev_b32_e32 v14, 24, v14
	v_bfrev_b32_e32 v27, 60
	v_lshlrev_b32_e32 v25, 20, v25
	v_and_b32_e32 v14, 0x80000000, v14
	v_lshl_add_u32 v15, v15, 23, v27
	v_or3_b32 v14, v14, v15, v25
	v_lshrrev_b32_e32 v25, 16, v14
.LBB857_445:
	s_or_b64 exec, exec, s[10:11]
.LBB857_446:
	s_or_b64 exec, exec, s[8:9]
.LBB857_447:
	s_or_b64 exec, exec, s[2:3]
	s_mov_b32 s2, 0x5040100
	v_perm_b32 v15, v22, v23, s2
	v_lshl_or_b32 v22, v1, 9, v19
	v_perm_b32 v14, v20, v21, s2
	ds_read_b128 v[30:33], v22
	v_perm_b32 v19, v25, v26, s2
	v_perm_b32 v18, v18, v24, s2
	s_waitcnt lgkmcnt(0)
	v_mfma_f32_16x16x16bf16_1k v[34:37], v[14:15], v[30:31], 0
	v_mov_b32_e32 v15, 0
	v_cmp_ne_u16_sdwa s[8:9], v16, v15 src0_sel:BYTE_0 src1_sel:DWORD
	v_mov_b32_e32 v23, 0
	v_mfma_f32_16x16x16bf16_1k v[18:21], v[18:19], v[32:33], v[34:37]
	s_and_saveexec_b64 s[2:3], s[8:9]
	s_cbranch_execz .LBB857_453
; %bb.448:
	s_movk_i32 s7, 0x80
	v_cmp_ne_u16_sdwa s[10:11], v16, s7 src0_sel:BYTE_0 src1_sel:DWORD
	v_mov_b32_e32 v23, 0xffff8000
	s_and_saveexec_b64 s[8:9], s[10:11]
	s_cbranch_execz .LBB857_452
; %bb.449:
	s_movk_i32 s7, 0x7f
	v_and_b32_e32 v14, 0x7f, v16
	v_cmp_ne_u32_e32 vcc, s7, v14
	v_mov_b32_e32 v23, 0x7f80
	s_and_saveexec_b64 s[10:11], vcc
	s_cbranch_execz .LBB857_451
; %bb.450:
	v_and_b32_e32 v23, 7, v16
	v_ffbh_u32_e32 v24, v23
	v_min_u32_e32 v27, 32, v24
	v_subrev_u32_e32 v24, 28, v27
	v_lshlrev_b64 v[24:25], v24, v[16:17]
	v_lshrrev_b32_e32 v26, 3, v14
	v_sub_u32_e32 v25, 29, v27
	v_and_b32_e32 v24, 7, v24
	v_cmp_gt_u32_e32 vcc, 8, v14
	v_cndmask_b32_e32 v14, v26, v25, vcc
	v_cndmask_b32_e32 v23, v23, v24, vcc
	v_lshlrev_b32_e32 v24, 24, v16
	v_bfrev_b32_e32 v25, 60
	v_lshlrev_b32_e32 v23, 20, v23
	v_and_b32_e32 v24, 0x80000000, v24
	v_lshl_add_u32 v14, v14, 23, v25
	v_or3_b32 v14, v24, v14, v23
	v_lshrrev_b32_e32 v23, 16, v14
.LBB857_451:
	s_or_b64 exec, exec, s[10:11]
.LBB857_452:
	s_or_b64 exec, exec, s[8:9]
.LBB857_453:
	s_or_b64 exec, exec, s[2:3]
	v_lshrrev_b16_e32 v14, 8, v16
	v_cmp_ne_u16_e32 vcc, 0, v14
	s_and_saveexec_b64 s[2:3], vcc
	s_cbranch_execz .LBB857_459
; %bb.454:
	s_movk_i32 s7, 0x80
	v_cmp_ne_u16_e32 vcc, s7, v14
	v_mov_b32_e32 v15, 0xffff8000
	s_and_saveexec_b64 s[8:9], vcc
	s_cbranch_execz .LBB857_458
; %bb.455:
	s_movk_i32 s7, 0x7f
	v_and_b32_e32 v24, 0x7f, v14
	v_cmp_ne_u32_e32 vcc, s7, v24
	v_mov_b32_e32 v15, 0x7f80
	s_and_saveexec_b64 s[10:11], vcc
	s_cbranch_execz .LBB857_457
; %bb.456:
	v_and_b32_e32 v25, 7, v14
	v_ffbh_u32_e32 v15, v25
	v_min_u32_e32 v27, 32, v15
	v_subrev_u32_e32 v15, 28, v27
	v_lshlrev_b64 v[14:15], v15, v[14:15]
	v_lshrrev_b32_e32 v26, 3, v24
	v_sub_u32_e32 v15, 29, v27
	v_and_b32_e32 v14, 7, v14
	v_cmp_gt_u32_e32 vcc, 8, v24
	v_cndmask_b32_e32 v15, v26, v15, vcc
	v_cndmask_b32_e32 v14, v25, v14, vcc
	v_lshlrev_b32_e32 v24, 16, v16
	v_bfrev_b32_e32 v25, 60
	v_lshlrev_b32_e32 v14, 20, v14
	v_and_b32_e32 v24, 0x80000000, v24
	v_lshl_add_u32 v15, v15, 23, v25
	v_or3_b32 v14, v24, v15, v14
	v_lshrrev_b32_e32 v15, 16, v14
.LBB857_457:
	s_or_b64 exec, exec, s[10:11]
.LBB857_458:
	s_or_b64 exec, exec, s[8:9]
.LBB857_459:
	s_or_b64 exec, exec, s[2:3]
	s_movk_i32 s2, 0xff
	v_and_b32_sdwa v26, v16, s2 dst_sel:DWORD dst_unused:UNUSED_PAD src0_sel:WORD_1 src1_sel:DWORD
	v_lshrrev_b32_e32 v14, 16, v16
	v_cmp_ne_u16_e32 vcc, 0, v26
	v_mov_b32_e32 v24, 0
	v_mov_b32_e32 v25, 0
	s_and_saveexec_b64 s[2:3], vcc
	s_cbranch_execz .LBB857_465
; %bb.460:
	s_movk_i32 s7, 0x80
	v_cmp_ne_u16_e32 vcc, s7, v26
	v_mov_b32_e32 v25, 0xffff8000
	s_and_saveexec_b64 s[8:9], vcc
	s_cbranch_execz .LBB857_464
; %bb.461:
	v_bfe_u32 v26, v16, 16, 7
	s_movk_i32 s7, 0x7f
	v_cmp_ne_u32_e32 vcc, s7, v26
	v_mov_b32_e32 v25, 0x7f80
	s_and_saveexec_b64 s[10:11], vcc
	s_cbranch_execz .LBB857_463
; %bb.462:
	v_and_b32_e32 v25, 7, v14
	v_ffbh_u32_e32 v29, v25
	v_min_u32_e32 v29, 32, v29
	v_subrev_u32_e32 v30, 28, v29
	v_lshlrev_b64 v[30:31], v30, v[14:15]
	v_lshrrev_b32_e32 v27, 3, v26
	v_sub_u32_e32 v14, 29, v29
	v_and_b32_e32 v29, 7, v30
	v_cmp_gt_u32_e32 vcc, 8, v26
	v_mov_b32_e32 v26, 24
	v_cndmask_b32_e32 v14, v27, v14, vcc
	v_cndmask_b32_e32 v25, v25, v29, vcc
	v_lshlrev_b32_sdwa v26, v26, v16 dst_sel:DWORD dst_unused:UNUSED_PAD src0_sel:DWORD src1_sel:WORD_1
	v_bfrev_b32_e32 v27, 60
	v_lshlrev_b32_e32 v25, 20, v25
	v_and_b32_e32 v26, 0x80000000, v26
	v_lshl_add_u32 v14, v14, 23, v27
	v_or3_b32 v14, v26, v14, v25
	v_lshrrev_b32_e32 v25, 16, v14
.LBB857_463:
	s_or_b64 exec, exec, s[10:11]
.LBB857_464:
	s_or_b64 exec, exec, s[8:9]
.LBB857_465:
	s_or_b64 exec, exec, s[2:3]
	s_mov_b32 s2, 0xffffff
	v_cmp_lt_u32_e32 vcc, s2, v16
	s_and_saveexec_b64 s[2:3], vcc
	s_cbranch_execz .LBB857_471
; %bb.466:
	v_lshrrev_b32_e32 v14, 24, v16
	s_movk_i32 s7, 0x80
	v_cmp_ne_u32_e32 vcc, s7, v14
	v_mov_b32_e32 v24, 0xffff8000
	s_and_saveexec_b64 s[8:9], vcc
	s_cbranch_execz .LBB857_470
; %bb.467:
	v_bfe_u32 v16, v16, 24, 7
	s_movk_i32 s7, 0x7f
	v_cmp_ne_u32_e32 vcc, s7, v16
	v_mov_b32_e32 v24, 0x7f80
	s_and_saveexec_b64 s[10:11], vcc
	s_cbranch_execz .LBB857_469
; %bb.468:
	v_and_b32_e32 v24, 7, v14
	v_ffbh_u32_e32 v26, v24
	v_min_u32_e32 v30, 32, v26
	v_subrev_u32_e32 v26, 28, v30
	v_lshlrev_b64 v[26:27], v26, v[14:15]
	v_lshrrev_b32_e32 v29, 3, v16
	v_sub_u32_e32 v27, 29, v30
	v_and_b32_e32 v26, 7, v26
	v_cmp_gt_u32_e32 vcc, 8, v16
	v_cndmask_b32_e32 v16, v29, v27, vcc
	v_cndmask_b32_e32 v24, v24, v26, vcc
	v_lshlrev_b32_e32 v14, 24, v14
	v_bfrev_b32_e32 v26, 60
	v_lshlrev_b32_e32 v24, 20, v24
	v_and_b32_e32 v14, 0x80000000, v14
	v_lshl_add_u32 v16, v16, 23, v26
	v_or3_b32 v14, v14, v16, v24
	v_lshrrev_b32_e32 v24, 16, v14
.LBB857_469:
	s_or_b64 exec, exec, s[10:11]
.LBB857_470:
	s_or_b64 exec, exec, s[8:9]
.LBB857_471:
	s_or_b64 exec, exec, s[2:3]
	v_mov_b32_e32 v16, 0
	v_cmp_ne_u16_sdwa s[8:9], v17, v16 src0_sel:BYTE_0 src1_sel:DWORD
	v_mov_b32_e32 v26, 0
	s_and_saveexec_b64 s[2:3], s[8:9]
	s_cbranch_execz .LBB857_477
; %bb.472:
	s_movk_i32 s7, 0x80
	v_cmp_ne_u16_sdwa s[10:11], v17, s7 src0_sel:BYTE_0 src1_sel:DWORD
	v_mov_b32_e32 v26, 0xffff8000
	s_and_saveexec_b64 s[8:9], s[10:11]
	s_cbranch_execz .LBB857_476
; %bb.473:
	s_movk_i32 s7, 0x7f
	v_and_b32_e32 v14, 0x7f, v17
	v_cmp_ne_u32_e32 vcc, s7, v14
	v_mov_b32_e32 v26, 0x7f80
	s_and_saveexec_b64 s[10:11], vcc
	s_cbranch_execz .LBB857_475
; %bb.474:
	v_and_b32_e32 v29, 7, v17
	v_ffbh_u32_e32 v27, v29
	v_min_u32_e32 v31, 32, v27
	v_mov_b32_e32 v26, v17
	v_subrev_u32_e32 v27, 28, v31
	v_lshlrev_b64 v[26:27], v27, v[26:27]
	v_lshrrev_b32_e32 v30, 3, v14
	v_sub_u32_e32 v27, 29, v31
	v_and_b32_e32 v26, 7, v26
	v_cmp_gt_u32_e32 vcc, 8, v14
	v_cndmask_b32_e32 v14, v30, v27, vcc
	v_cndmask_b32_e32 v26, v29, v26, vcc
	v_lshlrev_b32_e32 v27, 24, v17
	v_bfrev_b32_e32 v29, 60
	v_lshlrev_b32_e32 v26, 20, v26
	v_and_b32_e32 v27, 0x80000000, v27
	v_lshl_add_u32 v14, v14, 23, v29
	v_or3_b32 v14, v27, v14, v26
	v_lshrrev_b32_e32 v26, 16, v14
.LBB857_475:
	s_or_b64 exec, exec, s[10:11]
.LBB857_476:
	s_or_b64 exec, exec, s[8:9]
.LBB857_477:
	s_or_b64 exec, exec, s[2:3]
	v_lshrrev_b16_e32 v14, 8, v17
	v_cmp_ne_u16_e32 vcc, 0, v14
	s_and_saveexec_b64 s[2:3], vcc
	s_cbranch_execz .LBB857_483
; %bb.478:
	s_movk_i32 s7, 0x80
	v_cmp_ne_u16_e32 vcc, s7, v14
	v_mov_b32_e32 v16, 0xffff8000
	s_and_saveexec_b64 s[8:9], vcc
	s_cbranch_execz .LBB857_482
; %bb.479:
	s_movk_i32 s7, 0x7f
	v_and_b32_e32 v27, 0x7f, v14
	v_cmp_ne_u32_e32 vcc, s7, v27
	v_mov_b32_e32 v16, 0x7f80
	s_and_saveexec_b64 s[10:11], vcc
	s_cbranch_execz .LBB857_481
; %bb.480:
	v_and_b32_e32 v16, 7, v14
	v_ffbh_u32_e32 v30, v16
	v_min_u32_e32 v32, 32, v30
	v_subrev_u32_e32 v30, 28, v32
	v_lshlrev_b64 v[30:31], v30, v[14:15]
	v_lshrrev_b32_e32 v29, 3, v27
	v_sub_u32_e32 v14, 29, v32
	v_and_b32_e32 v30, 7, v30
	v_cmp_gt_u32_e32 vcc, 8, v27
	v_cndmask_b32_e32 v14, v29, v14, vcc
	v_cndmask_b32_e32 v16, v16, v30, vcc
	v_lshlrev_b32_e32 v27, 16, v17
	v_bfrev_b32_e32 v29, 60
	v_lshlrev_b32_e32 v16, 20, v16
	v_and_b32_e32 v27, 0x80000000, v27
	v_lshl_add_u32 v14, v14, 23, v29
	v_or3_b32 v14, v27, v14, v16
	v_lshrrev_b32_e32 v16, 16, v14
.LBB857_481:
	s_or_b64 exec, exec, s[10:11]
.LBB857_482:
	s_or_b64 exec, exec, s[8:9]
.LBB857_483:
	s_or_b64 exec, exec, s[2:3]
	s_movk_i32 s2, 0xff
	v_and_b32_sdwa v30, v17, s2 dst_sel:DWORD dst_unused:UNUSED_PAD src0_sel:WORD_1 src1_sel:DWORD
	v_lshrrev_b32_e32 v14, 16, v17
	v_cmp_ne_u16_e32 vcc, 0, v30
	v_mov_b32_e32 v27, 0
	v_mov_b32_e32 v29, 0
	s_and_saveexec_b64 s[2:3], vcc
	s_cbranch_execz .LBB857_489
; %bb.484:
	s_movk_i32 s7, 0x80
	v_cmp_ne_u16_e32 vcc, s7, v30
	v_mov_b32_e32 v29, 0xffff8000
	s_and_saveexec_b64 s[8:9], vcc
	s_cbranch_execz .LBB857_488
; %bb.485:
	v_bfe_u32 v30, v17, 16, 7
	s_movk_i32 s7, 0x7f
	v_cmp_ne_u32_e32 vcc, s7, v30
	v_mov_b32_e32 v29, 0x7f80
	s_and_saveexec_b64 s[10:11], vcc
	s_cbranch_execz .LBB857_487
; %bb.486:
	v_and_b32_e32 v29, 7, v14
	v_ffbh_u32_e32 v32, v29
	v_min_u32_e32 v34, 32, v32
	v_subrev_u32_e32 v32, 28, v34
	v_lshlrev_b64 v[32:33], v32, v[14:15]
	v_lshrrev_b32_e32 v31, 3, v30
	v_sub_u32_e32 v14, 29, v34
	v_and_b32_e32 v32, 7, v32
	v_cmp_gt_u32_e32 vcc, 8, v30
	v_mov_b32_e32 v30, 24
	v_cndmask_b32_e32 v14, v31, v14, vcc
	v_cndmask_b32_e32 v29, v29, v32, vcc
	v_lshlrev_b32_sdwa v30, v30, v17 dst_sel:DWORD dst_unused:UNUSED_PAD src0_sel:DWORD src1_sel:WORD_1
	v_bfrev_b32_e32 v31, 60
	v_lshlrev_b32_e32 v29, 20, v29
	v_and_b32_e32 v30, 0x80000000, v30
	v_lshl_add_u32 v14, v14, 23, v31
	v_or3_b32 v14, v30, v14, v29
	v_lshrrev_b32_e32 v29, 16, v14
.LBB857_487:
	s_or_b64 exec, exec, s[10:11]
.LBB857_488:
	s_or_b64 exec, exec, s[8:9]
.LBB857_489:
	s_or_b64 exec, exec, s[2:3]
	s_mov_b32 s2, 0xffffff
	v_cmp_lt_u32_e32 vcc, s2, v17
	s_and_saveexec_b64 s[2:3], vcc
	s_cbranch_execz .LBB857_495
; %bb.490:
	v_lshrrev_b32_e32 v14, 24, v17
	s_movk_i32 s7, 0x80
	v_cmp_ne_u32_e32 vcc, s7, v14
	v_mov_b32_e32 v27, 0xffff8000
	s_and_saveexec_b64 s[8:9], vcc
	s_cbranch_execz .LBB857_494
; %bb.491:
	v_bfe_u32 v17, v17, 24, 7
	s_movk_i32 s7, 0x7f
	v_cmp_ne_u32_e32 vcc, s7, v17
	v_mov_b32_e32 v27, 0x7f80
	s_and_saveexec_b64 s[10:11], vcc
	s_cbranch_execz .LBB857_493
; %bb.492:
	v_and_b32_e32 v27, 7, v14
	v_ffbh_u32_e32 v30, v27
	v_min_u32_e32 v33, 32, v30
	v_subrev_u32_e32 v30, 28, v33
	v_lshlrev_b64 v[30:31], v30, v[14:15]
	v_lshrrev_b32_e32 v32, 3, v17
	v_sub_u32_e32 v31, 29, v33
	v_and_b32_e32 v30, 7, v30
	v_cmp_gt_u32_e32 vcc, 8, v17
	v_cndmask_b32_e32 v17, v32, v31, vcc
	v_cndmask_b32_e32 v27, v27, v30, vcc
	v_lshlrev_b32_e32 v14, 24, v14
	v_bfrev_b32_e32 v30, 60
	v_lshlrev_b32_e32 v27, 20, v27
	v_and_b32_e32 v14, 0x80000000, v14
	v_lshl_add_u32 v17, v17, 23, v30
	v_or3_b32 v14, v14, v17, v27
	v_lshrrev_b32_e32 v27, 16, v14
.LBB857_493:
	s_or_b64 exec, exec, s[10:11]
.LBB857_494:
	s_or_b64 exec, exec, s[8:9]
.LBB857_495:
	s_or_b64 exec, exec, s[2:3]
	s_mov_b32 s2, 0x5040100
	v_perm_b32 v25, v24, v25, s2
	v_perm_b32 v24, v15, v23, s2
	ds_read_b128 v[30:33], v22 offset:16
	v_perm_b32 v15, v27, v29, s2
	v_perm_b32 v14, v16, v26, s2
	s_waitcnt lgkmcnt(0)
	v_mfma_f32_16x16x16bf16_1k v[34:37], v[24:25], v[30:31], v[18:21]
	s_nop 6
	v_mov_b32_e32 v19, 0
	s_waitcnt vmcnt(2)
	v_cmp_ne_u16_sdwa s[8:9], v10, v19 src0_sel:BYTE_0 src1_sel:DWORD
	v_mfma_f32_16x16x16bf16_1k v[14:17], v[14:15], v[32:33], v[34:37]
	v_mov_b32_e32 v20, 0
	s_and_saveexec_b64 s[2:3], s[8:9]
	s_cbranch_execz .LBB857_501
; %bb.496:
	s_movk_i32 s7, 0x80
	v_cmp_ne_u16_sdwa s[10:11], v10, s7 src0_sel:BYTE_0 src1_sel:DWORD
	v_mov_b32_e32 v20, 0xffff8000
	s_and_saveexec_b64 s[8:9], s[10:11]
	s_cbranch_execz .LBB857_500
; %bb.497:
	s_movk_i32 s7, 0x7f
	v_and_b32_e32 v18, 0x7f, v10
	v_cmp_ne_u32_e32 vcc, s7, v18
	v_mov_b32_e32 v20, 0x7f80
	s_and_saveexec_b64 s[10:11], vcc
	s_cbranch_execz .LBB857_499
; %bb.498:
	v_and_b32_e32 v23, 7, v10
	v_ffbh_u32_e32 v20, v23
	v_min_u32_e32 v25, 32, v20
	v_subrev_u32_e32 v20, 28, v25
	v_lshlrev_b64 v[20:21], v20, v[10:11]
	v_lshrrev_b32_e32 v24, 3, v18
	v_sub_u32_e32 v21, 29, v25
	v_and_b32_e32 v20, 7, v20
	v_cmp_gt_u32_e32 vcc, 8, v18
	v_cndmask_b32_e32 v18, v24, v21, vcc
	v_cndmask_b32_e32 v20, v23, v20, vcc
	v_lshlrev_b32_e32 v21, 24, v10
	v_bfrev_b32_e32 v23, 60
	v_lshlrev_b32_e32 v20, 20, v20
	v_and_b32_e32 v21, 0x80000000, v21
	v_lshl_add_u32 v18, v18, 23, v23
	v_or3_b32 v18, v21, v18, v20
	v_lshrrev_b32_e32 v20, 16, v18
.LBB857_499:
	s_or_b64 exec, exec, s[10:11]
.LBB857_500:
	s_or_b64 exec, exec, s[8:9]
.LBB857_501:
	s_or_b64 exec, exec, s[2:3]
	v_lshrrev_b16_e32 v18, 8, v10
	v_cmp_ne_u16_e32 vcc, 0, v18
	s_and_saveexec_b64 s[2:3], vcc
	s_cbranch_execz .LBB857_507
; %bb.502:
	s_movk_i32 s7, 0x80
	v_cmp_ne_u16_e32 vcc, s7, v18
	v_mov_b32_e32 v19, 0xffff8000
	s_and_saveexec_b64 s[8:9], vcc
	s_cbranch_execz .LBB857_506
; %bb.503:
	s_movk_i32 s7, 0x7f
	v_and_b32_e32 v21, 0x7f, v18
	v_cmp_ne_u32_e32 vcc, s7, v21
	v_mov_b32_e32 v19, 0x7f80
	s_and_saveexec_b64 s[10:11], vcc
	s_cbranch_execz .LBB857_505
; %bb.504:
	v_and_b32_e32 v23, 7, v18
	v_ffbh_u32_e32 v19, v23
	v_min_u32_e32 v25, 32, v19
	v_subrev_u32_e32 v19, 28, v25
	v_lshlrev_b64 v[18:19], v19, v[18:19]
	v_lshrrev_b32_e32 v24, 3, v21
	v_sub_u32_e32 v19, 29, v25
	v_and_b32_e32 v18, 7, v18
	v_cmp_gt_u32_e32 vcc, 8, v21
	v_cndmask_b32_e32 v19, v24, v19, vcc
	v_cndmask_b32_e32 v18, v23, v18, vcc
	v_lshlrev_b32_e32 v21, 16, v10
	v_bfrev_b32_e32 v23, 60
	v_lshlrev_b32_e32 v18, 20, v18
	v_and_b32_e32 v21, 0x80000000, v21
	v_lshl_add_u32 v19, v19, 23, v23
	v_or3_b32 v18, v21, v19, v18
	v_lshrrev_b32_e32 v19, 16, v18
.LBB857_505:
	s_or_b64 exec, exec, s[10:11]
.LBB857_506:
	s_or_b64 exec, exec, s[8:9]
.LBB857_507:
	s_or_b64 exec, exec, s[2:3]
	s_movk_i32 s2, 0xff
	v_and_b32_sdwa v24, v10, s2 dst_sel:DWORD dst_unused:UNUSED_PAD src0_sel:WORD_1 src1_sel:DWORD
	v_lshrrev_b32_e32 v18, 16, v10
	v_cmp_ne_u16_e32 vcc, 0, v24
	v_mov_b32_e32 v21, 0
	v_mov_b32_e32 v23, 0
	s_and_saveexec_b64 s[2:3], vcc
	s_cbranch_execz .LBB857_513
; %bb.508:
	s_movk_i32 s7, 0x80
	v_cmp_ne_u16_e32 vcc, s7, v24
	v_mov_b32_e32 v23, 0xffff8000
	s_and_saveexec_b64 s[8:9], vcc
	s_cbranch_execz .LBB857_512
; %bb.509:
	v_bfe_u32 v24, v10, 16, 7
	s_movk_i32 s7, 0x7f
	v_cmp_ne_u32_e32 vcc, s7, v24
	v_mov_b32_e32 v23, 0x7f80
	s_and_saveexec_b64 s[10:11], vcc
	s_cbranch_execz .LBB857_511
; %bb.510:
	v_and_b32_e32 v23, 7, v18
	v_ffbh_u32_e32 v26, v23
	v_min_u32_e32 v29, 32, v26
	v_subrev_u32_e32 v26, 28, v29
	v_lshlrev_b64 v[26:27], v26, v[18:19]
	v_lshrrev_b32_e32 v25, 3, v24
	v_sub_u32_e32 v18, 29, v29
	v_and_b32_e32 v26, 7, v26
	v_cmp_gt_u32_e32 vcc, 8, v24
	v_mov_b32_e32 v24, 24
	v_cndmask_b32_e32 v18, v25, v18, vcc
	v_cndmask_b32_e32 v23, v23, v26, vcc
	v_lshlrev_b32_sdwa v24, v24, v10 dst_sel:DWORD dst_unused:UNUSED_PAD src0_sel:DWORD src1_sel:WORD_1
	v_bfrev_b32_e32 v25, 60
	v_lshlrev_b32_e32 v23, 20, v23
	v_and_b32_e32 v24, 0x80000000, v24
	v_lshl_add_u32 v18, v18, 23, v25
	v_or3_b32 v18, v24, v18, v23
	v_lshrrev_b32_e32 v23, 16, v18
.LBB857_511:
	s_or_b64 exec, exec, s[10:11]
.LBB857_512:
	s_or_b64 exec, exec, s[8:9]
.LBB857_513:
	s_or_b64 exec, exec, s[2:3]
	s_mov_b32 s2, 0xffffff
	v_cmp_lt_u32_e32 vcc, s2, v10
	s_and_saveexec_b64 s[2:3], vcc
	s_cbranch_execz .LBB857_519
; %bb.514:
	v_lshrrev_b32_e32 v18, 24, v10
	s_movk_i32 s7, 0x80
	v_cmp_ne_u32_e32 vcc, s7, v18
	v_mov_b32_e32 v21, 0xffff8000
	s_and_saveexec_b64 s[8:9], vcc
	s_cbranch_execz .LBB857_518
; %bb.515:
	v_bfe_u32 v10, v10, 24, 7
	s_movk_i32 s7, 0x7f
	v_cmp_ne_u32_e32 vcc, s7, v10
	v_mov_b32_e32 v21, 0x7f80
	s_and_saveexec_b64 s[10:11], vcc
	s_cbranch_execz .LBB857_517
; %bb.516:
	v_and_b32_e32 v21, 7, v18
	v_ffbh_u32_e32 v24, v21
	v_min_u32_e32 v27, 32, v24
	v_subrev_u32_e32 v24, 28, v27
	v_lshlrev_b64 v[24:25], v24, v[18:19]
	v_lshrrev_b32_e32 v26, 3, v10
	v_sub_u32_e32 v25, 29, v27
	v_and_b32_e32 v24, 7, v24
	v_cmp_gt_u32_e32 vcc, 8, v10
	v_cndmask_b32_e32 v10, v26, v25, vcc
	v_cndmask_b32_e32 v21, v21, v24, vcc
	v_lshlrev_b32_e32 v18, 24, v18
	v_bfrev_b32_e32 v24, 60
	v_lshlrev_b32_e32 v21, 20, v21
	v_and_b32_e32 v18, 0x80000000, v18
	v_lshl_add_u32 v10, v10, 23, v24
	v_or3_b32 v10, v18, v10, v21
	v_lshrrev_b32_e32 v21, 16, v10
.LBB857_517:
	s_or_b64 exec, exec, s[10:11]
.LBB857_518:
	s_or_b64 exec, exec, s[8:9]
.LBB857_519:
	s_or_b64 exec, exec, s[2:3]
	v_mov_b32_e32 v18, 0
	v_cmp_ne_u16_sdwa s[8:9], v11, v18 src0_sel:BYTE_0 src1_sel:DWORD
	v_mov_b32_e32 v24, 0
	s_and_saveexec_b64 s[2:3], s[8:9]
	s_cbranch_execz .LBB857_525
; %bb.520:
	s_movk_i32 s7, 0x80
	v_cmp_ne_u16_sdwa s[10:11], v11, s7 src0_sel:BYTE_0 src1_sel:DWORD
	v_mov_b32_e32 v24, 0xffff8000
	s_and_saveexec_b64 s[8:9], s[10:11]
	s_cbranch_execz .LBB857_524
; %bb.521:
	s_movk_i32 s7, 0x7f
	v_and_b32_e32 v10, 0x7f, v11
	v_cmp_ne_u32_e32 vcc, s7, v10
	v_mov_b32_e32 v24, 0x7f80
	s_and_saveexec_b64 s[10:11], vcc
	s_cbranch_execz .LBB857_523
; %bb.522:
	v_and_b32_e32 v26, 7, v11
	v_ffbh_u32_e32 v25, v26
	v_min_u32_e32 v29, 32, v25
	v_mov_b32_e32 v24, v11
	v_subrev_u32_e32 v25, 28, v29
	v_lshlrev_b64 v[24:25], v25, v[24:25]
	v_lshrrev_b32_e32 v27, 3, v10
	v_sub_u32_e32 v25, 29, v29
	v_and_b32_e32 v24, 7, v24
	v_cmp_gt_u32_e32 vcc, 8, v10
	v_cndmask_b32_e32 v10, v27, v25, vcc
	v_cndmask_b32_e32 v24, v26, v24, vcc
	v_lshlrev_b32_e32 v25, 24, v11
	v_bfrev_b32_e32 v26, 60
	v_lshlrev_b32_e32 v24, 20, v24
	v_and_b32_e32 v25, 0x80000000, v25
	v_lshl_add_u32 v10, v10, 23, v26
	v_or3_b32 v10, v25, v10, v24
	v_lshrrev_b32_e32 v24, 16, v10
.LBB857_523:
	s_or_b64 exec, exec, s[10:11]
.LBB857_524:
	s_or_b64 exec, exec, s[8:9]
.LBB857_525:
	s_or_b64 exec, exec, s[2:3]
	v_lshrrev_b16_e32 v10, 8, v11
	v_cmp_ne_u16_e32 vcc, 0, v10
	s_and_saveexec_b64 s[2:3], vcc
	s_cbranch_execz .LBB857_531
; %bb.526:
	s_movk_i32 s7, 0x80
	v_cmp_ne_u16_e32 vcc, s7, v10
	v_mov_b32_e32 v18, 0xffff8000
	s_and_saveexec_b64 s[8:9], vcc
	s_cbranch_execz .LBB857_530
; %bb.527:
	s_movk_i32 s7, 0x7f
	v_and_b32_e32 v25, 0x7f, v10
	v_cmp_ne_u32_e32 vcc, s7, v25
	v_mov_b32_e32 v18, 0x7f80
	s_and_saveexec_b64 s[10:11], vcc
	s_cbranch_execz .LBB857_529
; %bb.528:
	v_and_b32_e32 v18, 7, v10
	v_ffbh_u32_e32 v26, v18
	v_min_u32_e32 v30, 32, v26
	v_subrev_u32_e32 v26, 28, v30
	v_lshlrev_b64 v[26:27], v26, v[10:11]
	v_lshrrev_b32_e32 v29, 3, v25
	v_sub_u32_e32 v10, 29, v30
	v_and_b32_e32 v26, 7, v26
	v_cmp_gt_u32_e32 vcc, 8, v25
	v_cndmask_b32_e32 v10, v29, v10, vcc
	v_cndmask_b32_e32 v18, v18, v26, vcc
	v_lshlrev_b32_e32 v25, 16, v11
	v_bfrev_b32_e32 v26, 60
	v_lshlrev_b32_e32 v18, 20, v18
	v_and_b32_e32 v25, 0x80000000, v25
	v_lshl_add_u32 v10, v10, 23, v26
	v_or3_b32 v10, v25, v10, v18
	v_lshrrev_b32_e32 v18, 16, v10
.LBB857_529:
	s_or_b64 exec, exec, s[10:11]
.LBB857_530:
	s_or_b64 exec, exec, s[8:9]
.LBB857_531:
	s_or_b64 exec, exec, s[2:3]
	s_movk_i32 s2, 0xff
	v_and_b32_sdwa v27, v11, s2 dst_sel:DWORD dst_unused:UNUSED_PAD src0_sel:WORD_1 src1_sel:DWORD
	v_lshrrev_b32_e32 v10, 16, v11
	v_cmp_ne_u16_e32 vcc, 0, v27
	v_mov_b32_e32 v25, 0
	v_mov_b32_e32 v26, 0
	s_and_saveexec_b64 s[2:3], vcc
	s_cbranch_execz .LBB857_537
; %bb.532:
	s_movk_i32 s7, 0x80
	v_cmp_ne_u16_e32 vcc, s7, v27
	v_mov_b32_e32 v26, 0xffff8000
	s_and_saveexec_b64 s[8:9], vcc
	s_cbranch_execz .LBB857_536
; %bb.533:
	v_bfe_u32 v27, v11, 16, 7
	s_movk_i32 s7, 0x7f
	v_cmp_ne_u32_e32 vcc, s7, v27
	v_mov_b32_e32 v26, 0x7f80
	s_and_saveexec_b64 s[10:11], vcc
	s_cbranch_execz .LBB857_535
; %bb.534:
	v_and_b32_e32 v26, 7, v10
	v_ffbh_u32_e32 v30, v26
	v_min_u32_e32 v32, 32, v30
	v_subrev_u32_e32 v30, 28, v32
	v_lshlrev_b64 v[30:31], v30, v[10:11]
	v_lshrrev_b32_e32 v29, 3, v27
	v_sub_u32_e32 v10, 29, v32
	v_and_b32_e32 v30, 7, v30
	v_cmp_gt_u32_e32 vcc, 8, v27
	v_mov_b32_e32 v27, 24
	v_cndmask_b32_e32 v10, v29, v10, vcc
	v_cndmask_b32_e32 v26, v26, v30, vcc
	v_lshlrev_b32_sdwa v27, v27, v11 dst_sel:DWORD dst_unused:UNUSED_PAD src0_sel:DWORD src1_sel:WORD_1
	v_bfrev_b32_e32 v29, 60
	v_lshlrev_b32_e32 v26, 20, v26
	v_and_b32_e32 v27, 0x80000000, v27
	v_lshl_add_u32 v10, v10, 23, v29
	v_or3_b32 v10, v27, v10, v26
	v_lshrrev_b32_e32 v26, 16, v10
.LBB857_535:
	s_or_b64 exec, exec, s[10:11]
.LBB857_536:
	s_or_b64 exec, exec, s[8:9]
.LBB857_537:
	s_or_b64 exec, exec, s[2:3]
	s_mov_b32 s2, 0xffffff
	v_cmp_lt_u32_e32 vcc, s2, v11
	s_and_saveexec_b64 s[2:3], vcc
	s_cbranch_execz .LBB857_543
; %bb.538:
	v_lshrrev_b32_e32 v10, 24, v11
	s_movk_i32 s7, 0x80
	v_cmp_ne_u32_e32 vcc, s7, v10
	v_mov_b32_e32 v25, 0xffff8000
	s_and_saveexec_b64 s[8:9], vcc
	s_cbranch_execz .LBB857_542
; %bb.539:
	v_bfe_u32 v11, v11, 24, 7
	s_movk_i32 s7, 0x7f
	v_cmp_ne_u32_e32 vcc, s7, v11
	v_mov_b32_e32 v25, 0x7f80
	s_and_saveexec_b64 s[10:11], vcc
	s_cbranch_execz .LBB857_541
; %bb.540:
	v_and_b32_e32 v25, 7, v10
	v_ffbh_u32_e32 v29, v25
	v_min_u32_e32 v29, 32, v29
	v_subrev_u32_e32 v30, 28, v29
	v_lshlrev_b64 v[30:31], v30, v[10:11]
	v_lshrrev_b32_e32 v27, 3, v11
	v_sub_u32_e32 v29, 29, v29
	v_and_b32_e32 v30, 7, v30
	v_cmp_gt_u32_e32 vcc, 8, v11
	v_cndmask_b32_e32 v11, v27, v29, vcc
	v_cndmask_b32_e32 v25, v25, v30, vcc
	v_lshlrev_b32_e32 v10, 24, v10
	v_bfrev_b32_e32 v27, 60
	v_lshlrev_b32_e32 v25, 20, v25
	v_and_b32_e32 v10, 0x80000000, v10
	v_lshl_add_u32 v11, v11, 23, v27
	v_or3_b32 v10, v10, v11, v25
	v_lshrrev_b32_e32 v25, 16, v10
.LBB857_541:
	s_or_b64 exec, exec, s[10:11]
.LBB857_542:
	s_or_b64 exec, exec, s[8:9]
.LBB857_543:
	s_or_b64 exec, exec, s[2:3]
	s_mov_b32 s2, 0x5040100
	v_perm_b32 v11, v21, v23, s2
	v_perm_b32 v10, v19, v20, s2
	ds_read_b128 v[30:33], v22 offset:2048
	v_perm_b32 v21, v25, v26, s2
	v_perm_b32 v20, v18, v24, s2
	s_waitcnt lgkmcnt(0)
	v_mfma_f32_16x16x16bf16_1k v[14:17], v[10:11], v[30:31], v[14:17]
	v_mov_b32_e32 v11, 0
	v_cmp_ne_u16_sdwa s[8:9], v12, v11 src0_sel:BYTE_0 src1_sel:DWORD
	v_mov_b32_e32 v18, 0
	v_mfma_f32_16x16x16bf16_1k v[14:17], v[20:21], v[32:33], v[14:17]
	s_and_saveexec_b64 s[2:3], s[8:9]
	s_cbranch_execz .LBB857_549
; %bb.544:
	s_movk_i32 s7, 0x80
	v_cmp_ne_u16_sdwa s[10:11], v12, s7 src0_sel:BYTE_0 src1_sel:DWORD
	v_mov_b32_e32 v18, 0xffff8000
	s_and_saveexec_b64 s[8:9], s[10:11]
	s_cbranch_execz .LBB857_548
; %bb.545:
	s_movk_i32 s7, 0x7f
	v_and_b32_e32 v10, 0x7f, v12
	v_cmp_ne_u32_e32 vcc, s7, v10
	v_mov_b32_e32 v18, 0x7f80
	s_and_saveexec_b64 s[10:11], vcc
	s_cbranch_execz .LBB857_547
; %bb.546:
	v_and_b32_e32 v20, 7, v12
	v_ffbh_u32_e32 v18, v20
	v_min_u32_e32 v23, 32, v18
	v_subrev_u32_e32 v18, 28, v23
	v_lshlrev_b64 v[18:19], v18, v[12:13]
	v_lshrrev_b32_e32 v21, 3, v10
	v_sub_u32_e32 v19, 29, v23
	v_and_b32_e32 v18, 7, v18
	v_cmp_gt_u32_e32 vcc, 8, v10
	v_cndmask_b32_e32 v10, v21, v19, vcc
	v_cndmask_b32_e32 v18, v20, v18, vcc
	v_lshlrev_b32_e32 v19, 24, v12
	v_bfrev_b32_e32 v20, 60
	v_lshlrev_b32_e32 v18, 20, v18
	v_and_b32_e32 v19, 0x80000000, v19
	v_lshl_add_u32 v10, v10, 23, v20
	v_or3_b32 v10, v19, v10, v18
	v_lshrrev_b32_e32 v18, 16, v10
.LBB857_547:
	s_or_b64 exec, exec, s[10:11]
.LBB857_548:
	s_or_b64 exec, exec, s[8:9]
.LBB857_549:
	s_or_b64 exec, exec, s[2:3]
	v_lshrrev_b16_e32 v10, 8, v12
	v_cmp_ne_u16_e32 vcc, 0, v10
	s_and_saveexec_b64 s[2:3], vcc
	s_cbranch_execz .LBB857_555
; %bb.550:
	s_movk_i32 s7, 0x80
	v_cmp_ne_u16_e32 vcc, s7, v10
	v_mov_b32_e32 v11, 0xffff8000
	s_and_saveexec_b64 s[8:9], vcc
	s_cbranch_execz .LBB857_554
; %bb.551:
	s_movk_i32 s7, 0x7f
	v_and_b32_e32 v19, 0x7f, v10
	v_cmp_ne_u32_e32 vcc, s7, v19
	v_mov_b32_e32 v11, 0x7f80
	s_and_saveexec_b64 s[10:11], vcc
	s_cbranch_execz .LBB857_553
; %bb.552:
	v_and_b32_e32 v20, 7, v10
	v_ffbh_u32_e32 v11, v20
	v_min_u32_e32 v23, 32, v11
	v_subrev_u32_e32 v11, 28, v23
	v_lshlrev_b64 v[10:11], v11, v[10:11]
	v_lshrrev_b32_e32 v21, 3, v19
	v_sub_u32_e32 v11, 29, v23
	v_and_b32_e32 v10, 7, v10
	v_cmp_gt_u32_e32 vcc, 8, v19
	v_cndmask_b32_e32 v11, v21, v11, vcc
	v_cndmask_b32_e32 v10, v20, v10, vcc
	v_lshlrev_b32_e32 v19, 16, v12
	v_bfrev_b32_e32 v20, 60
	v_lshlrev_b32_e32 v10, 20, v10
	v_and_b32_e32 v19, 0x80000000, v19
	v_lshl_add_u32 v11, v11, 23, v20
	v_or3_b32 v10, v19, v11, v10
	v_lshrrev_b32_e32 v11, 16, v10
.LBB857_553:
	s_or_b64 exec, exec, s[10:11]
.LBB857_554:
	s_or_b64 exec, exec, s[8:9]
.LBB857_555:
	s_or_b64 exec, exec, s[2:3]
	s_movk_i32 s2, 0xff
	v_and_b32_sdwa v21, v12, s2 dst_sel:DWORD dst_unused:UNUSED_PAD src0_sel:WORD_1 src1_sel:DWORD
	v_lshrrev_b32_e32 v10, 16, v12
	v_cmp_ne_u16_e32 vcc, 0, v21
	v_mov_b32_e32 v19, 0
	v_mov_b32_e32 v20, 0
	s_and_saveexec_b64 s[2:3], vcc
	s_cbranch_execz .LBB857_561
; %bb.556:
	s_movk_i32 s7, 0x80
	v_cmp_ne_u16_e32 vcc, s7, v21
	v_mov_b32_e32 v20, 0xffff8000
	s_and_saveexec_b64 s[8:9], vcc
	s_cbranch_execz .LBB857_560
; %bb.557:
	v_bfe_u32 v21, v12, 16, 7
	s_movk_i32 s7, 0x7f
	v_cmp_ne_u32_e32 vcc, s7, v21
	v_mov_b32_e32 v20, 0x7f80
	s_and_saveexec_b64 s[10:11], vcc
	s_cbranch_execz .LBB857_559
; %bb.558:
	v_and_b32_e32 v20, 7, v10
	v_ffbh_u32_e32 v24, v20
	v_min_u32_e32 v26, 32, v24
	v_subrev_u32_e32 v24, 28, v26
	v_lshlrev_b64 v[24:25], v24, v[10:11]
	v_lshrrev_b32_e32 v23, 3, v21
	v_sub_u32_e32 v10, 29, v26
	v_and_b32_e32 v24, 7, v24
	v_cmp_gt_u32_e32 vcc, 8, v21
	v_mov_b32_e32 v21, 24
	v_cndmask_b32_e32 v10, v23, v10, vcc
	v_cndmask_b32_e32 v20, v20, v24, vcc
	v_lshlrev_b32_sdwa v21, v21, v12 dst_sel:DWORD dst_unused:UNUSED_PAD src0_sel:DWORD src1_sel:WORD_1
	v_bfrev_b32_e32 v23, 60
	v_lshlrev_b32_e32 v20, 20, v20
	v_and_b32_e32 v21, 0x80000000, v21
	v_lshl_add_u32 v10, v10, 23, v23
	v_or3_b32 v10, v21, v10, v20
	v_lshrrev_b32_e32 v20, 16, v10
.LBB857_559:
	s_or_b64 exec, exec, s[10:11]
.LBB857_560:
	s_or_b64 exec, exec, s[8:9]
.LBB857_561:
	s_or_b64 exec, exec, s[2:3]
	s_mov_b32 s2, 0xffffff
	v_cmp_lt_u32_e32 vcc, s2, v12
	s_and_saveexec_b64 s[2:3], vcc
	s_cbranch_execz .LBB857_567
; %bb.562:
	v_lshrrev_b32_e32 v10, 24, v12
	s_movk_i32 s7, 0x80
	v_cmp_ne_u32_e32 vcc, s7, v10
	v_mov_b32_e32 v19, 0xffff8000
	s_and_saveexec_b64 s[8:9], vcc
	s_cbranch_execz .LBB857_566
; %bb.563:
	v_bfe_u32 v12, v12, 24, 7
	s_movk_i32 s7, 0x7f
	v_cmp_ne_u32_e32 vcc, s7, v12
	v_mov_b32_e32 v19, 0x7f80
	s_and_saveexec_b64 s[10:11], vcc
	s_cbranch_execz .LBB857_565
; %bb.564:
	v_and_b32_e32 v19, 7, v10
	v_ffbh_u32_e32 v23, v19
	v_min_u32_e32 v23, 32, v23
	v_subrev_u32_e32 v24, 28, v23
	v_lshlrev_b64 v[24:25], v24, v[10:11]
	v_lshrrev_b32_e32 v21, 3, v12
	v_sub_u32_e32 v23, 29, v23
	v_and_b32_e32 v24, 7, v24
	v_cmp_gt_u32_e32 vcc, 8, v12
	v_cndmask_b32_e32 v12, v21, v23, vcc
	v_cndmask_b32_e32 v19, v19, v24, vcc
	v_lshlrev_b32_e32 v10, 24, v10
	v_bfrev_b32_e32 v21, 60
	v_lshlrev_b32_e32 v19, 20, v19
	v_and_b32_e32 v10, 0x80000000, v10
	v_lshl_add_u32 v12, v12, 23, v21
	v_or3_b32 v10, v10, v12, v19
	v_lshrrev_b32_e32 v19, 16, v10
.LBB857_565:
	s_or_b64 exec, exec, s[10:11]
.LBB857_566:
	s_or_b64 exec, exec, s[8:9]
.LBB857_567:
	s_or_b64 exec, exec, s[2:3]
	v_mov_b32_e32 v12, 0
	v_cmp_ne_u16_sdwa s[8:9], v13, v12 src0_sel:BYTE_0 src1_sel:DWORD
	v_mov_b32_e32 v21, 0
	s_and_saveexec_b64 s[2:3], s[8:9]
	s_cbranch_execz .LBB857_573
; %bb.568:
	s_movk_i32 s7, 0x80
	v_cmp_ne_u16_sdwa s[10:11], v13, s7 src0_sel:BYTE_0 src1_sel:DWORD
	v_mov_b32_e32 v21, 0xffff8000
	s_and_saveexec_b64 s[8:9], s[10:11]
	s_cbranch_execz .LBB857_572
; %bb.569:
	s_movk_i32 s7, 0x7f
	v_and_b32_e32 v10, 0x7f, v13
	v_cmp_ne_u32_e32 vcc, s7, v10
	v_mov_b32_e32 v21, 0x7f80
	s_and_saveexec_b64 s[10:11], vcc
	s_cbranch_execz .LBB857_571
; %bb.570:
	v_and_b32_e32 v21, 7, v13
	v_ffbh_u32_e32 v25, v21
	v_min_u32_e32 v26, 32, v25
	v_mov_b32_e32 v24, v13
	v_subrev_u32_e32 v25, 28, v26
	v_lshlrev_b64 v[24:25], v25, v[24:25]
	v_lshrrev_b32_e32 v23, 3, v10
	v_sub_u32_e32 v25, 29, v26
	v_and_b32_e32 v24, 7, v24
	v_cmp_gt_u32_e32 vcc, 8, v10
	v_cndmask_b32_e32 v10, v23, v25, vcc
	v_cndmask_b32_e32 v21, v21, v24, vcc
	v_lshlrev_b32_e32 v23, 24, v13
	v_bfrev_b32_e32 v24, 60
	v_lshlrev_b32_e32 v21, 20, v21
	v_and_b32_e32 v23, 0x80000000, v23
	v_lshl_add_u32 v10, v10, 23, v24
	v_or3_b32 v10, v23, v10, v21
	v_lshrrev_b32_e32 v21, 16, v10
.LBB857_571:
	s_or_b64 exec, exec, s[10:11]
.LBB857_572:
	s_or_b64 exec, exec, s[8:9]
.LBB857_573:
	s_or_b64 exec, exec, s[2:3]
	v_lshrrev_b16_e32 v10, 8, v13
	v_cmp_ne_u16_e32 vcc, 0, v10
	s_and_saveexec_b64 s[2:3], vcc
	s_cbranch_execz .LBB857_579
; %bb.574:
	s_movk_i32 s7, 0x80
	v_cmp_ne_u16_e32 vcc, s7, v10
	v_mov_b32_e32 v12, 0xffff8000
	s_and_saveexec_b64 s[8:9], vcc
	s_cbranch_execz .LBB857_578
; %bb.575:
	s_movk_i32 s7, 0x7f
	v_and_b32_e32 v23, 0x7f, v10
	v_cmp_ne_u32_e32 vcc, s7, v23
	v_mov_b32_e32 v12, 0x7f80
	s_and_saveexec_b64 s[10:11], vcc
	s_cbranch_execz .LBB857_577
; %bb.576:
	v_and_b32_e32 v12, 7, v10
	v_ffbh_u32_e32 v24, v12
	v_min_u32_e32 v27, 32, v24
	v_subrev_u32_e32 v24, 28, v27
	v_lshlrev_b64 v[24:25], v24, v[10:11]
	v_lshrrev_b32_e32 v26, 3, v23
	v_sub_u32_e32 v10, 29, v27
	v_and_b32_e32 v24, 7, v24
	v_cmp_gt_u32_e32 vcc, 8, v23
	v_cndmask_b32_e32 v10, v26, v10, vcc
	v_cndmask_b32_e32 v12, v12, v24, vcc
	v_lshlrev_b32_e32 v23, 16, v13
	v_bfrev_b32_e32 v24, 60
	v_lshlrev_b32_e32 v12, 20, v12
	v_and_b32_e32 v23, 0x80000000, v23
	v_lshl_add_u32 v10, v10, 23, v24
	v_or3_b32 v10, v23, v10, v12
	v_lshrrev_b32_e32 v12, 16, v10
.LBB857_577:
	s_or_b64 exec, exec, s[10:11]
.LBB857_578:
	s_or_b64 exec, exec, s[8:9]
.LBB857_579:
	s_or_b64 exec, exec, s[2:3]
	s_movk_i32 s2, 0xff
	v_and_b32_sdwa v25, v13, s2 dst_sel:DWORD dst_unused:UNUSED_PAD src0_sel:WORD_1 src1_sel:DWORD
	v_lshrrev_b32_e32 v10, 16, v13
	v_cmp_ne_u16_e32 vcc, 0, v25
	v_mov_b32_e32 v23, 0
	v_mov_b32_e32 v24, 0
	s_and_saveexec_b64 s[2:3], vcc
	s_cbranch_execz .LBB857_585
; %bb.580:
	s_movk_i32 s7, 0x80
	v_cmp_ne_u16_e32 vcc, s7, v25
	v_mov_b32_e32 v24, 0xffff8000
	s_and_saveexec_b64 s[8:9], vcc
	s_cbranch_execz .LBB857_584
; %bb.581:
	v_bfe_u32 v25, v13, 16, 7
	s_movk_i32 s7, 0x7f
	v_cmp_ne_u32_e32 vcc, s7, v25
	v_mov_b32_e32 v24, 0x7f80
	s_and_saveexec_b64 s[10:11], vcc
	s_cbranch_execz .LBB857_583
; %bb.582:
	v_and_b32_e32 v24, 7, v10
	v_ffbh_u32_e32 v26, v24
	v_min_u32_e32 v30, 32, v26
	v_subrev_u32_e32 v26, 28, v30
	v_lshlrev_b64 v[26:27], v26, v[10:11]
	v_lshrrev_b32_e32 v29, 3, v25
	v_sub_u32_e32 v10, 29, v30
	v_and_b32_e32 v26, 7, v26
	v_cmp_gt_u32_e32 vcc, 8, v25
	v_mov_b32_e32 v25, 24
	v_cndmask_b32_e32 v10, v29, v10, vcc
	v_cndmask_b32_e32 v24, v24, v26, vcc
	v_lshlrev_b32_sdwa v25, v25, v13 dst_sel:DWORD dst_unused:UNUSED_PAD src0_sel:DWORD src1_sel:WORD_1
	v_bfrev_b32_e32 v26, 60
	v_lshlrev_b32_e32 v24, 20, v24
	v_and_b32_e32 v25, 0x80000000, v25
	v_lshl_add_u32 v10, v10, 23, v26
	v_or3_b32 v10, v25, v10, v24
	v_lshrrev_b32_e32 v24, 16, v10
.LBB857_583:
	s_or_b64 exec, exec, s[10:11]
.LBB857_584:
	s_or_b64 exec, exec, s[8:9]
.LBB857_585:
	s_or_b64 exec, exec, s[2:3]
	s_mov_b32 s2, 0xffffff
	v_cmp_lt_u32_e32 vcc, s2, v13
	s_and_saveexec_b64 s[2:3], vcc
	s_cbranch_execz .LBB857_591
; %bb.586:
	v_lshrrev_b32_e32 v10, 24, v13
	s_movk_i32 s7, 0x80
	v_cmp_ne_u32_e32 vcc, s7, v10
	v_mov_b32_e32 v23, 0xffff8000
	s_and_saveexec_b64 s[8:9], vcc
	s_cbranch_execz .LBB857_590
; %bb.587:
	v_bfe_u32 v13, v13, 24, 7
	s_movk_i32 s7, 0x7f
	v_cmp_ne_u32_e32 vcc, s7, v13
	v_mov_b32_e32 v23, 0x7f80
	s_and_saveexec_b64 s[10:11], vcc
	s_cbranch_execz .LBB857_589
; %bb.588:
	v_and_b32_e32 v23, 7, v10
	v_ffbh_u32_e32 v26, v23
	v_min_u32_e32 v29, 32, v26
	v_subrev_u32_e32 v26, 28, v29
	v_lshlrev_b64 v[26:27], v26, v[10:11]
	v_lshrrev_b32_e32 v25, 3, v13
	v_sub_u32_e32 v27, 29, v29
	v_and_b32_e32 v26, 7, v26
	v_cmp_gt_u32_e32 vcc, 8, v13
	v_cndmask_b32_e32 v13, v25, v27, vcc
	v_cndmask_b32_e32 v23, v23, v26, vcc
	v_lshlrev_b32_e32 v10, 24, v10
	v_bfrev_b32_e32 v25, 60
	v_lshlrev_b32_e32 v23, 20, v23
	v_and_b32_e32 v10, 0x80000000, v10
	v_lshl_add_u32 v13, v13, 23, v25
	v_or3_b32 v10, v10, v13, v23
	v_lshrrev_b32_e32 v23, 16, v10
.LBB857_589:
	s_or_b64 exec, exec, s[10:11]
.LBB857_590:
	s_or_b64 exec, exec, s[8:9]
.LBB857_591:
	s_or_b64 exec, exec, s[2:3]
	s_mov_b32 s2, 0x5040100
	v_perm_b32 v19, v19, v20, s2
	v_perm_b32 v18, v11, v18, s2
	ds_read_b128 v[30:33], v22 offset:2064
	v_perm_b32 v11, v23, v24, s2
	v_perm_b32 v10, v12, v21, s2
	s_waitcnt lgkmcnt(0)
	v_mfma_f32_16x16x16bf16_1k v[34:37], v[18:19], v[30:31], v[14:17]
	s_nop 6
	v_mov_b32_e32 v15, 0
	s_waitcnt vmcnt(1)
	v_cmp_ne_u16_sdwa s[8:9], v6, v15 src0_sel:BYTE_0 src1_sel:DWORD
	v_mfma_f32_16x16x16bf16_1k v[10:13], v[10:11], v[32:33], v[34:37]
	v_mov_b32_e32 v16, 0
	s_and_saveexec_b64 s[2:3], s[8:9]
	s_cbranch_execz .LBB857_597
; %bb.592:
	s_movk_i32 s7, 0x80
	v_cmp_ne_u16_sdwa s[10:11], v6, s7 src0_sel:BYTE_0 src1_sel:DWORD
	v_mov_b32_e32 v16, 0xffff8000
	s_and_saveexec_b64 s[8:9], s[10:11]
	s_cbranch_execz .LBB857_596
; %bb.593:
	s_movk_i32 s7, 0x7f
	v_and_b32_e32 v14, 0x7f, v6
	v_cmp_ne_u32_e32 vcc, s7, v14
	v_mov_b32_e32 v16, 0x7f80
	s_and_saveexec_b64 s[10:11], vcc
	s_cbranch_execz .LBB857_595
; %bb.594:
	v_and_b32_e32 v18, 7, v6
	v_ffbh_u32_e32 v16, v18
	v_min_u32_e32 v20, 32, v16
	v_subrev_u32_e32 v16, 28, v20
	v_lshlrev_b64 v[16:17], v16, v[6:7]
	v_lshrrev_b32_e32 v19, 3, v14
	v_sub_u32_e32 v17, 29, v20
	v_and_b32_e32 v16, 7, v16
	v_cmp_gt_u32_e32 vcc, 8, v14
	v_cndmask_b32_e32 v14, v19, v17, vcc
	v_cndmask_b32_e32 v16, v18, v16, vcc
	v_lshlrev_b32_e32 v17, 24, v6
	v_bfrev_b32_e32 v18, 60
	v_lshlrev_b32_e32 v16, 20, v16
	v_and_b32_e32 v17, 0x80000000, v17
	v_lshl_add_u32 v14, v14, 23, v18
	v_or3_b32 v14, v17, v14, v16
	v_lshrrev_b32_e32 v16, 16, v14
.LBB857_595:
	s_or_b64 exec, exec, s[10:11]
.LBB857_596:
	s_or_b64 exec, exec, s[8:9]
.LBB857_597:
	s_or_b64 exec, exec, s[2:3]
	v_lshrrev_b16_e32 v14, 8, v6
	v_cmp_ne_u16_e32 vcc, 0, v14
	s_and_saveexec_b64 s[2:3], vcc
	s_cbranch_execz .LBB857_603
; %bb.598:
	s_movk_i32 s7, 0x80
	v_cmp_ne_u16_e32 vcc, s7, v14
	v_mov_b32_e32 v15, 0xffff8000
	s_and_saveexec_b64 s[8:9], vcc
	s_cbranch_execz .LBB857_602
; %bb.599:
	s_movk_i32 s7, 0x7f
	v_and_b32_e32 v17, 0x7f, v14
	v_cmp_ne_u32_e32 vcc, s7, v17
	v_mov_b32_e32 v15, 0x7f80
	s_and_saveexec_b64 s[10:11], vcc
	s_cbranch_execz .LBB857_601
; %bb.600:
	v_and_b32_e32 v18, 7, v14
	v_ffbh_u32_e32 v15, v18
	v_min_u32_e32 v20, 32, v15
	v_subrev_u32_e32 v15, 28, v20
	v_lshlrev_b64 v[14:15], v15, v[14:15]
	v_lshrrev_b32_e32 v19, 3, v17
	v_sub_u32_e32 v15, 29, v20
	v_and_b32_e32 v14, 7, v14
	v_cmp_gt_u32_e32 vcc, 8, v17
	v_cndmask_b32_e32 v15, v19, v15, vcc
	v_cndmask_b32_e32 v14, v18, v14, vcc
	v_lshlrev_b32_e32 v17, 16, v6
	v_bfrev_b32_e32 v18, 60
	v_lshlrev_b32_e32 v14, 20, v14
	v_and_b32_e32 v17, 0x80000000, v17
	v_lshl_add_u32 v15, v15, 23, v18
	v_or3_b32 v14, v17, v15, v14
	v_lshrrev_b32_e32 v15, 16, v14
.LBB857_601:
	s_or_b64 exec, exec, s[10:11]
.LBB857_602:
	s_or_b64 exec, exec, s[8:9]
.LBB857_603:
	s_or_b64 exec, exec, s[2:3]
	s_movk_i32 s2, 0xff
	v_and_b32_sdwa v19, v6, s2 dst_sel:DWORD dst_unused:UNUSED_PAD src0_sel:WORD_1 src1_sel:DWORD
	v_lshrrev_b32_e32 v14, 16, v6
	v_cmp_ne_u16_e32 vcc, 0, v19
	v_mov_b32_e32 v17, 0
	v_mov_b32_e32 v18, 0
	s_and_saveexec_b64 s[2:3], vcc
	s_cbranch_execz .LBB857_609
; %bb.604:
	s_movk_i32 s7, 0x80
	v_cmp_ne_u16_e32 vcc, s7, v19
	v_mov_b32_e32 v18, 0xffff8000
	s_and_saveexec_b64 s[8:9], vcc
	s_cbranch_execz .LBB857_608
; %bb.605:
	v_bfe_u32 v19, v6, 16, 7
	s_movk_i32 s7, 0x7f
	v_cmp_ne_u32_e32 vcc, s7, v19
	v_mov_b32_e32 v18, 0x7f80
	s_and_saveexec_b64 s[10:11], vcc
	s_cbranch_execz .LBB857_607
; %bb.606:
	v_and_b32_e32 v18, 7, v14
	v_ffbh_u32_e32 v20, v18
	v_min_u32_e32 v24, 32, v20
	v_subrev_u32_e32 v20, 28, v24
	v_lshlrev_b64 v[20:21], v20, v[14:15]
	v_lshrrev_b32_e32 v23, 3, v19
	v_sub_u32_e32 v14, 29, v24
	v_and_b32_e32 v20, 7, v20
	v_cmp_gt_u32_e32 vcc, 8, v19
	v_mov_b32_e32 v19, 24
	v_cndmask_b32_e32 v14, v23, v14, vcc
	v_cndmask_b32_e32 v18, v18, v20, vcc
	v_lshlrev_b32_sdwa v19, v19, v6 dst_sel:DWORD dst_unused:UNUSED_PAD src0_sel:DWORD src1_sel:WORD_1
	v_bfrev_b32_e32 v20, 60
	v_lshlrev_b32_e32 v18, 20, v18
	v_and_b32_e32 v19, 0x80000000, v19
	v_lshl_add_u32 v14, v14, 23, v20
	v_or3_b32 v14, v19, v14, v18
	v_lshrrev_b32_e32 v18, 16, v14
.LBB857_607:
	s_or_b64 exec, exec, s[10:11]
.LBB857_608:
	s_or_b64 exec, exec, s[8:9]
.LBB857_609:
	s_or_b64 exec, exec, s[2:3]
	s_mov_b32 s2, 0xffffff
	v_cmp_lt_u32_e32 vcc, s2, v6
	s_and_saveexec_b64 s[2:3], vcc
	s_cbranch_execz .LBB857_615
; %bb.610:
	v_lshrrev_b32_e32 v14, 24, v6
	s_movk_i32 s7, 0x80
	v_cmp_ne_u32_e32 vcc, s7, v14
	v_mov_b32_e32 v17, 0xffff8000
	s_and_saveexec_b64 s[8:9], vcc
	s_cbranch_execz .LBB857_614
; %bb.611:
	v_bfe_u32 v6, v6, 24, 7
	s_movk_i32 s7, 0x7f
	v_cmp_ne_u32_e32 vcc, s7, v6
	v_mov_b32_e32 v17, 0x7f80
	s_and_saveexec_b64 s[10:11], vcc
	s_cbranch_execz .LBB857_613
; %bb.612:
	v_and_b32_e32 v17, 7, v14
	v_ffbh_u32_e32 v20, v17
	v_min_u32_e32 v23, 32, v20
	v_subrev_u32_e32 v20, 28, v23
	v_lshlrev_b64 v[20:21], v20, v[14:15]
	v_lshrrev_b32_e32 v19, 3, v6
	v_sub_u32_e32 v21, 29, v23
	v_and_b32_e32 v20, 7, v20
	v_cmp_gt_u32_e32 vcc, 8, v6
	v_cndmask_b32_e32 v6, v19, v21, vcc
	v_cndmask_b32_e32 v17, v17, v20, vcc
	v_lshlrev_b32_e32 v14, 24, v14
	v_bfrev_b32_e32 v19, 60
	v_lshlrev_b32_e32 v17, 20, v17
	v_and_b32_e32 v14, 0x80000000, v14
	v_lshl_add_u32 v6, v6, 23, v19
	v_or3_b32 v6, v14, v6, v17
	v_lshrrev_b32_e32 v17, 16, v6
.LBB857_613:
	s_or_b64 exec, exec, s[10:11]
.LBB857_614:
	s_or_b64 exec, exec, s[8:9]
.LBB857_615:
	s_or_b64 exec, exec, s[2:3]
	v_mov_b32_e32 v14, 0
	v_cmp_ne_u16_sdwa s[8:9], v7, v14 src0_sel:BYTE_0 src1_sel:DWORD
	v_mov_b32_e32 v19, 0
	s_and_saveexec_b64 s[2:3], s[8:9]
	s_cbranch_execz .LBB857_621
; %bb.616:
	s_movk_i32 s7, 0x80
	v_cmp_ne_u16_sdwa s[10:11], v7, s7 src0_sel:BYTE_0 src1_sel:DWORD
	v_mov_b32_e32 v19, 0xffff8000
	s_and_saveexec_b64 s[8:9], s[10:11]
	s_cbranch_execz .LBB857_620
; %bb.617:
	s_movk_i32 s7, 0x7f
	v_and_b32_e32 v6, 0x7f, v7
	v_cmp_ne_u32_e32 vcc, s7, v6
	v_mov_b32_e32 v19, 0x7f80
	s_and_saveexec_b64 s[10:11], vcc
	s_cbranch_execz .LBB857_619
; %bb.618:
	v_and_b32_e32 v19, 7, v7
	v_ffbh_u32_e32 v21, v19
	v_min_u32_e32 v24, 32, v21
	v_mov_b32_e32 v20, v7
	v_subrev_u32_e32 v21, 28, v24
	v_lshlrev_b64 v[20:21], v21, v[20:21]
	v_lshrrev_b32_e32 v23, 3, v6
	v_sub_u32_e32 v21, 29, v24
	v_and_b32_e32 v20, 7, v20
	v_cmp_gt_u32_e32 vcc, 8, v6
	v_cndmask_b32_e32 v6, v23, v21, vcc
	v_cndmask_b32_e32 v19, v19, v20, vcc
	v_lshlrev_b32_e32 v20, 24, v7
	v_bfrev_b32_e32 v21, 60
	v_lshlrev_b32_e32 v19, 20, v19
	v_and_b32_e32 v20, 0x80000000, v20
	v_lshl_add_u32 v6, v6, 23, v21
	v_or3_b32 v6, v20, v6, v19
	v_lshrrev_b32_e32 v19, 16, v6
.LBB857_619:
	s_or_b64 exec, exec, s[10:11]
.LBB857_620:
	s_or_b64 exec, exec, s[8:9]
.LBB857_621:
	s_or_b64 exec, exec, s[2:3]
	v_lshrrev_b16_e32 v6, 8, v7
	v_cmp_ne_u16_e32 vcc, 0, v6
	s_and_saveexec_b64 s[2:3], vcc
	s_cbranch_execz .LBB857_627
; %bb.622:
	s_movk_i32 s7, 0x80
	v_cmp_ne_u16_e32 vcc, s7, v6
	v_mov_b32_e32 v14, 0xffff8000
	s_and_saveexec_b64 s[8:9], vcc
	s_cbranch_execz .LBB857_626
; %bb.623:
	s_movk_i32 s7, 0x7f
	v_and_b32_e32 v20, 0x7f, v6
	v_cmp_ne_u32_e32 vcc, s7, v20
	v_mov_b32_e32 v14, 0x7f80
	s_and_saveexec_b64 s[10:11], vcc
	s_cbranch_execz .LBB857_625
; %bb.624:
	v_and_b32_e32 v14, 7, v6
	v_ffbh_u32_e32 v23, v14
	v_min_u32_e32 v23, 32, v23
	v_subrev_u32_e32 v24, 28, v23
	v_lshlrev_b64 v[24:25], v24, v[6:7]
	v_lshrrev_b32_e32 v21, 3, v20
	v_sub_u32_e32 v6, 29, v23
	v_and_b32_e32 v23, 7, v24
	v_cmp_gt_u32_e32 vcc, 8, v20
	v_cndmask_b32_e32 v6, v21, v6, vcc
	v_cndmask_b32_e32 v14, v14, v23, vcc
	v_lshlrev_b32_e32 v20, 16, v7
	v_bfrev_b32_e32 v21, 60
	v_lshlrev_b32_e32 v14, 20, v14
	v_and_b32_e32 v20, 0x80000000, v20
	v_lshl_add_u32 v6, v6, 23, v21
	v_or3_b32 v6, v20, v6, v14
	v_lshrrev_b32_e32 v14, 16, v6
.LBB857_625:
	s_or_b64 exec, exec, s[10:11]
.LBB857_626:
	s_or_b64 exec, exec, s[8:9]
.LBB857_627:
	s_or_b64 exec, exec, s[2:3]
	s_movk_i32 s2, 0xff
	v_and_b32_sdwa v23, v7, s2 dst_sel:DWORD dst_unused:UNUSED_PAD src0_sel:WORD_1 src1_sel:DWORD
	v_lshrrev_b32_e32 v6, 16, v7
	v_cmp_ne_u16_e32 vcc, 0, v23
	v_mov_b32_e32 v20, 0
	v_mov_b32_e32 v21, 0
	s_and_saveexec_b64 s[2:3], vcc
	s_cbranch_execz .LBB857_633
; %bb.628:
	s_movk_i32 s7, 0x80
	v_cmp_ne_u16_e32 vcc, s7, v23
	v_mov_b32_e32 v21, 0xffff8000
	s_and_saveexec_b64 s[8:9], vcc
	s_cbranch_execz .LBB857_632
; %bb.629:
	v_bfe_u32 v23, v7, 16, 7
	s_movk_i32 s7, 0x7f
	v_cmp_ne_u32_e32 vcc, s7, v23
	v_mov_b32_e32 v21, 0x7f80
	s_and_saveexec_b64 s[10:11], vcc
	s_cbranch_execz .LBB857_631
; %bb.630:
	v_and_b32_e32 v21, 7, v6
	v_ffbh_u32_e32 v24, v21
	v_min_u32_e32 v27, 32, v24
	v_subrev_u32_e32 v24, 28, v27
	v_lshlrev_b64 v[24:25], v24, v[6:7]
	v_lshrrev_b32_e32 v26, 3, v23
	v_sub_u32_e32 v6, 29, v27
	v_and_b32_e32 v24, 7, v24
	v_cmp_gt_u32_e32 vcc, 8, v23
	v_mov_b32_e32 v23, 24
	v_cndmask_b32_e32 v6, v26, v6, vcc
	v_cndmask_b32_e32 v21, v21, v24, vcc
	v_lshlrev_b32_sdwa v23, v23, v7 dst_sel:DWORD dst_unused:UNUSED_PAD src0_sel:DWORD src1_sel:WORD_1
	v_bfrev_b32_e32 v24, 60
	v_lshlrev_b32_e32 v21, 20, v21
	v_and_b32_e32 v23, 0x80000000, v23
	v_lshl_add_u32 v6, v6, 23, v24
	v_or3_b32 v6, v23, v6, v21
	v_lshrrev_b32_e32 v21, 16, v6
.LBB857_631:
	s_or_b64 exec, exec, s[10:11]
.LBB857_632:
	s_or_b64 exec, exec, s[8:9]
.LBB857_633:
	s_or_b64 exec, exec, s[2:3]
	s_mov_b32 s2, 0xffffff
	v_cmp_lt_u32_e32 vcc, s2, v7
	s_and_saveexec_b64 s[2:3], vcc
	s_cbranch_execz .LBB857_639
; %bb.634:
	v_lshrrev_b32_e32 v6, 24, v7
	s_movk_i32 s7, 0x80
	v_cmp_ne_u32_e32 vcc, s7, v6
	v_mov_b32_e32 v20, 0xffff8000
	s_and_saveexec_b64 s[8:9], vcc
	s_cbranch_execz .LBB857_638
; %bb.635:
	v_bfe_u32 v7, v7, 24, 7
	s_movk_i32 s7, 0x7f
	v_cmp_ne_u32_e32 vcc, s7, v7
	v_mov_b32_e32 v20, 0x7f80
	s_and_saveexec_b64 s[10:11], vcc
	s_cbranch_execz .LBB857_637
; %bb.636:
	v_and_b32_e32 v20, 7, v6
	v_ffbh_u32_e32 v24, v20
	v_min_u32_e32 v26, 32, v24
	v_subrev_u32_e32 v24, 28, v26
	v_lshlrev_b64 v[24:25], v24, v[6:7]
	v_lshrrev_b32_e32 v23, 3, v7
	v_sub_u32_e32 v25, 29, v26
	v_and_b32_e32 v24, 7, v24
	v_cmp_gt_u32_e32 vcc, 8, v7
	v_cndmask_b32_e32 v7, v23, v25, vcc
	v_cndmask_b32_e32 v20, v20, v24, vcc
	v_lshlrev_b32_e32 v6, 24, v6
	v_bfrev_b32_e32 v23, 60
	v_lshlrev_b32_e32 v20, 20, v20
	v_and_b32_e32 v6, 0x80000000, v6
	v_lshl_add_u32 v7, v7, 23, v23
	v_or3_b32 v6, v6, v7, v20
	v_lshrrev_b32_e32 v20, 16, v6
.LBB857_637:
	s_or_b64 exec, exec, s[10:11]
.LBB857_638:
	s_or_b64 exec, exec, s[8:9]
.LBB857_639:
	s_or_b64 exec, exec, s[2:3]
	s_mov_b32 s2, 0x5040100
	v_perm_b32 v7, v17, v18, s2
	v_perm_b32 v6, v15, v16, s2
	ds_read_b128 v[24:27], v22 offset:4096
	v_perm_b32 v17, v20, v21, s2
	v_perm_b32 v16, v14, v19, s2
	s_waitcnt lgkmcnt(0)
	v_mfma_f32_16x16x16bf16_1k v[10:13], v[6:7], v[24:25], v[10:13]
	v_mov_b32_e32 v7, 0
	v_cmp_ne_u16_sdwa s[8:9], v8, v7 src0_sel:BYTE_0 src1_sel:DWORD
	v_mov_b32_e32 v14, 0
	v_mfma_f32_16x16x16bf16_1k v[10:13], v[16:17], v[26:27], v[10:13]
	s_and_saveexec_b64 s[2:3], s[8:9]
	s_cbranch_execz .LBB857_645
; %bb.640:
	s_movk_i32 s7, 0x80
	v_cmp_ne_u16_sdwa s[10:11], v8, s7 src0_sel:BYTE_0 src1_sel:DWORD
	v_mov_b32_e32 v14, 0xffff8000
	s_and_saveexec_b64 s[8:9], s[10:11]
	s_cbranch_execz .LBB857_644
; %bb.641:
	s_movk_i32 s7, 0x7f
	v_and_b32_e32 v6, 0x7f, v8
	v_cmp_ne_u32_e32 vcc, s7, v6
	v_mov_b32_e32 v14, 0x7f80
	s_and_saveexec_b64 s[10:11], vcc
	s_cbranch_execz .LBB857_643
; %bb.642:
	v_and_b32_e32 v16, 7, v8
	v_ffbh_u32_e32 v14, v16
	v_min_u32_e32 v18, 32, v14
	v_subrev_u32_e32 v14, 28, v18
	v_lshlrev_b64 v[14:15], v14, v[8:9]
	v_lshrrev_b32_e32 v17, 3, v6
	v_sub_u32_e32 v15, 29, v18
	v_and_b32_e32 v14, 7, v14
	v_cmp_gt_u32_e32 vcc, 8, v6
	v_cndmask_b32_e32 v6, v17, v15, vcc
	v_cndmask_b32_e32 v14, v16, v14, vcc
	v_lshlrev_b32_e32 v15, 24, v8
	v_bfrev_b32_e32 v16, 60
	v_lshlrev_b32_e32 v14, 20, v14
	v_and_b32_e32 v15, 0x80000000, v15
	v_lshl_add_u32 v6, v6, 23, v16
	v_or3_b32 v6, v15, v6, v14
	v_lshrrev_b32_e32 v14, 16, v6
.LBB857_643:
	s_or_b64 exec, exec, s[10:11]
.LBB857_644:
	s_or_b64 exec, exec, s[8:9]
.LBB857_645:
	s_or_b64 exec, exec, s[2:3]
	v_lshrrev_b16_e32 v6, 8, v8
	v_cmp_ne_u16_e32 vcc, 0, v6
	s_and_saveexec_b64 s[2:3], vcc
	s_cbranch_execz .LBB857_651
; %bb.646:
	s_movk_i32 s7, 0x80
	v_cmp_ne_u16_e32 vcc, s7, v6
	v_mov_b32_e32 v7, 0xffff8000
	s_and_saveexec_b64 s[8:9], vcc
	s_cbranch_execz .LBB857_650
; %bb.647:
	s_movk_i32 s7, 0x7f
	v_and_b32_e32 v15, 0x7f, v6
	v_cmp_ne_u32_e32 vcc, s7, v15
	v_mov_b32_e32 v7, 0x7f80
	s_and_saveexec_b64 s[10:11], vcc
	s_cbranch_execz .LBB857_649
; %bb.648:
	v_and_b32_e32 v16, 7, v6
	v_ffbh_u32_e32 v7, v16
	v_min_u32_e32 v18, 32, v7
	v_subrev_u32_e32 v7, 28, v18
	v_lshlrev_b64 v[6:7], v7, v[6:7]
	v_lshrrev_b32_e32 v17, 3, v15
	v_sub_u32_e32 v7, 29, v18
	v_and_b32_e32 v6, 7, v6
	v_cmp_gt_u32_e32 vcc, 8, v15
	v_cndmask_b32_e32 v7, v17, v7, vcc
	v_cndmask_b32_e32 v6, v16, v6, vcc
	v_lshlrev_b32_e32 v15, 16, v8
	v_bfrev_b32_e32 v16, 60
	v_lshlrev_b32_e32 v6, 20, v6
	v_and_b32_e32 v15, 0x80000000, v15
	v_lshl_add_u32 v7, v7, 23, v16
	v_or3_b32 v6, v15, v7, v6
	v_lshrrev_b32_e32 v7, 16, v6
.LBB857_649:
	s_or_b64 exec, exec, s[10:11]
.LBB857_650:
	s_or_b64 exec, exec, s[8:9]
.LBB857_651:
	s_or_b64 exec, exec, s[2:3]
	s_movk_i32 s2, 0xff
	v_and_b32_sdwa v17, v8, s2 dst_sel:DWORD dst_unused:UNUSED_PAD src0_sel:WORD_1 src1_sel:DWORD
	v_lshrrev_b32_e32 v6, 16, v8
	v_cmp_ne_u16_e32 vcc, 0, v17
	v_mov_b32_e32 v15, 0
	v_mov_b32_e32 v16, 0
	s_and_saveexec_b64 s[2:3], vcc
	s_cbranch_execz .LBB857_657
; %bb.652:
	s_movk_i32 s7, 0x80
	v_cmp_ne_u16_e32 vcc, s7, v17
	v_mov_b32_e32 v16, 0xffff8000
	s_and_saveexec_b64 s[8:9], vcc
	s_cbranch_execz .LBB857_656
; %bb.653:
	v_bfe_u32 v17, v8, 16, 7
	s_movk_i32 s7, 0x7f
	v_cmp_ne_u32_e32 vcc, s7, v17
	v_mov_b32_e32 v16, 0x7f80
	s_and_saveexec_b64 s[10:11], vcc
	s_cbranch_execz .LBB857_655
; %bb.654:
	v_and_b32_e32 v16, 7, v6
	v_ffbh_u32_e32 v18, v16
	v_min_u32_e32 v21, 32, v18
	v_subrev_u32_e32 v18, 28, v21
	v_lshlrev_b64 v[18:19], v18, v[6:7]
	v_lshrrev_b32_e32 v20, 3, v17
	v_sub_u32_e32 v6, 29, v21
	v_and_b32_e32 v18, 7, v18
	v_cmp_gt_u32_e32 vcc, 8, v17
	v_mov_b32_e32 v17, 24
	v_cndmask_b32_e32 v6, v20, v6, vcc
	v_cndmask_b32_e32 v16, v16, v18, vcc
	v_lshlrev_b32_sdwa v17, v17, v8 dst_sel:DWORD dst_unused:UNUSED_PAD src0_sel:DWORD src1_sel:WORD_1
	v_bfrev_b32_e32 v18, 60
	v_lshlrev_b32_e32 v16, 20, v16
	v_and_b32_e32 v17, 0x80000000, v17
	v_lshl_add_u32 v6, v6, 23, v18
	v_or3_b32 v6, v17, v6, v16
	v_lshrrev_b32_e32 v16, 16, v6
.LBB857_655:
	s_or_b64 exec, exec, s[10:11]
.LBB857_656:
	s_or_b64 exec, exec, s[8:9]
.LBB857_657:
	s_or_b64 exec, exec, s[2:3]
	s_mov_b32 s2, 0xffffff
	v_cmp_lt_u32_e32 vcc, s2, v8
	s_and_saveexec_b64 s[2:3], vcc
	s_cbranch_execz .LBB857_663
; %bb.658:
	v_lshrrev_b32_e32 v6, 24, v8
	s_movk_i32 s7, 0x80
	v_cmp_ne_u32_e32 vcc, s7, v6
	v_mov_b32_e32 v15, 0xffff8000
	s_and_saveexec_b64 s[8:9], vcc
	s_cbranch_execz .LBB857_662
; %bb.659:
	v_bfe_u32 v8, v8, 24, 7
	s_movk_i32 s7, 0x7f
	v_cmp_ne_u32_e32 vcc, s7, v8
	v_mov_b32_e32 v15, 0x7f80
	s_and_saveexec_b64 s[10:11], vcc
	s_cbranch_execz .LBB857_661
; %bb.660:
	v_and_b32_e32 v15, 7, v6
	v_ffbh_u32_e32 v18, v15
	v_min_u32_e32 v20, 32, v18
	v_subrev_u32_e32 v18, 28, v20
	v_lshlrev_b64 v[18:19], v18, v[6:7]
	v_lshrrev_b32_e32 v17, 3, v8
	v_sub_u32_e32 v19, 29, v20
	v_and_b32_e32 v18, 7, v18
	v_cmp_gt_u32_e32 vcc, 8, v8
	v_cndmask_b32_e32 v8, v17, v19, vcc
	v_cndmask_b32_e32 v15, v15, v18, vcc
	v_lshlrev_b32_e32 v6, 24, v6
	v_bfrev_b32_e32 v17, 60
	v_lshlrev_b32_e32 v15, 20, v15
	v_and_b32_e32 v6, 0x80000000, v6
	v_lshl_add_u32 v8, v8, 23, v17
	v_or3_b32 v6, v6, v8, v15
	v_lshrrev_b32_e32 v15, 16, v6
.LBB857_661:
	s_or_b64 exec, exec, s[10:11]
.LBB857_662:
	s_or_b64 exec, exec, s[8:9]
.LBB857_663:
	s_or_b64 exec, exec, s[2:3]
	v_mov_b32_e32 v8, 0
	v_cmp_ne_u16_sdwa s[8:9], v9, v8 src0_sel:BYTE_0 src1_sel:DWORD
	v_mov_b32_e32 v17, 0
	s_and_saveexec_b64 s[2:3], s[8:9]
	s_cbranch_execz .LBB857_669
; %bb.664:
	s_movk_i32 s7, 0x80
	v_cmp_ne_u16_sdwa s[10:11], v9, s7 src0_sel:BYTE_0 src1_sel:DWORD
	v_mov_b32_e32 v17, 0xffff8000
	s_and_saveexec_b64 s[8:9], s[10:11]
	s_cbranch_execz .LBB857_668
; %bb.665:
	s_movk_i32 s7, 0x7f
	v_and_b32_e32 v6, 0x7f, v9
	v_cmp_ne_u32_e32 vcc, s7, v6
	v_mov_b32_e32 v17, 0x7f80
	s_and_saveexec_b64 s[10:11], vcc
	s_cbranch_execz .LBB857_667
; %bb.666:
	v_and_b32_e32 v17, 7, v9
	v_ffbh_u32_e32 v19, v17
	v_min_u32_e32 v21, 32, v19
	v_mov_b32_e32 v18, v9
	v_subrev_u32_e32 v19, 28, v21
	v_lshlrev_b64 v[18:19], v19, v[18:19]
	v_lshrrev_b32_e32 v20, 3, v6
	v_sub_u32_e32 v19, 29, v21
	v_and_b32_e32 v18, 7, v18
	v_cmp_gt_u32_e32 vcc, 8, v6
	v_cndmask_b32_e32 v6, v20, v19, vcc
	v_cndmask_b32_e32 v17, v17, v18, vcc
	v_lshlrev_b32_e32 v18, 24, v9
	v_bfrev_b32_e32 v19, 60
	v_lshlrev_b32_e32 v17, 20, v17
	v_and_b32_e32 v18, 0x80000000, v18
	v_lshl_add_u32 v6, v6, 23, v19
	v_or3_b32 v6, v18, v6, v17
	v_lshrrev_b32_e32 v17, 16, v6
.LBB857_667:
	s_or_b64 exec, exec, s[10:11]
.LBB857_668:
	s_or_b64 exec, exec, s[8:9]
.LBB857_669:
	s_or_b64 exec, exec, s[2:3]
	v_lshrrev_b16_e32 v6, 8, v9
	v_cmp_ne_u16_e32 vcc, 0, v6
	s_and_saveexec_b64 s[2:3], vcc
	s_cbranch_execz .LBB857_675
; %bb.670:
	s_movk_i32 s7, 0x80
	v_cmp_ne_u16_e32 vcc, s7, v6
	v_mov_b32_e32 v8, 0xffff8000
	s_and_saveexec_b64 s[8:9], vcc
	s_cbranch_execz .LBB857_674
; %bb.671:
	s_movk_i32 s7, 0x7f
	v_and_b32_e32 v18, 0x7f, v6
	v_cmp_ne_u32_e32 vcc, s7, v18
	v_mov_b32_e32 v8, 0x7f80
	s_and_saveexec_b64 s[10:11], vcc
	s_cbranch_execz .LBB857_673
; %bb.672:
	v_and_b32_e32 v8, 7, v6
	v_ffbh_u32_e32 v20, v8
	v_min_u32_e32 v23, 32, v20
	v_subrev_u32_e32 v20, 28, v23
	v_lshlrev_b64 v[20:21], v20, v[6:7]
	v_lshrrev_b32_e32 v19, 3, v18
	v_sub_u32_e32 v6, 29, v23
	v_and_b32_e32 v20, 7, v20
	v_cmp_gt_u32_e32 vcc, 8, v18
	v_cndmask_b32_e32 v6, v19, v6, vcc
	v_cndmask_b32_e32 v8, v8, v20, vcc
	v_lshlrev_b32_e32 v18, 16, v9
	v_bfrev_b32_e32 v19, 60
	v_lshlrev_b32_e32 v8, 20, v8
	v_and_b32_e32 v18, 0x80000000, v18
	v_lshl_add_u32 v6, v6, 23, v19
	v_or3_b32 v6, v18, v6, v8
	v_lshrrev_b32_e32 v8, 16, v6
.LBB857_673:
	s_or_b64 exec, exec, s[10:11]
.LBB857_674:
	s_or_b64 exec, exec, s[8:9]
.LBB857_675:
	s_or_b64 exec, exec, s[2:3]
	s_movk_i32 s2, 0xff
	v_and_b32_sdwa v20, v9, s2 dst_sel:DWORD dst_unused:UNUSED_PAD src0_sel:WORD_1 src1_sel:DWORD
	v_lshrrev_b32_e32 v6, 16, v9
	v_cmp_ne_u16_e32 vcc, 0, v20
	v_mov_b32_e32 v18, 0
	v_mov_b32_e32 v19, 0
	s_and_saveexec_b64 s[2:3], vcc
	s_cbranch_execz .LBB857_681
; %bb.676:
	s_movk_i32 s7, 0x80
	v_cmp_ne_u16_e32 vcc, s7, v20
	v_mov_b32_e32 v19, 0xffff8000
	s_and_saveexec_b64 s[8:9], vcc
	s_cbranch_execz .LBB857_680
; %bb.677:
	v_bfe_u32 v20, v9, 16, 7
	s_movk_i32 s7, 0x7f
	v_cmp_ne_u32_e32 vcc, s7, v20
	v_mov_b32_e32 v19, 0x7f80
	s_and_saveexec_b64 s[10:11], vcc
	s_cbranch_execz .LBB857_679
; %bb.678:
	v_and_b32_e32 v19, 7, v6
	v_ffbh_u32_e32 v23, v19
	v_min_u32_e32 v23, 32, v23
	v_subrev_u32_e32 v24, 28, v23
	v_lshlrev_b64 v[24:25], v24, v[6:7]
	v_lshrrev_b32_e32 v21, 3, v20
	v_sub_u32_e32 v6, 29, v23
	v_and_b32_e32 v23, 7, v24
	v_cmp_gt_u32_e32 vcc, 8, v20
	v_mov_b32_e32 v20, 24
	v_cndmask_b32_e32 v6, v21, v6, vcc
	v_cndmask_b32_e32 v19, v19, v23, vcc
	v_lshlrev_b32_sdwa v20, v20, v9 dst_sel:DWORD dst_unused:UNUSED_PAD src0_sel:DWORD src1_sel:WORD_1
	v_bfrev_b32_e32 v21, 60
	v_lshlrev_b32_e32 v19, 20, v19
	v_and_b32_e32 v20, 0x80000000, v20
	v_lshl_add_u32 v6, v6, 23, v21
	v_or3_b32 v6, v20, v6, v19
	v_lshrrev_b32_e32 v19, 16, v6
.LBB857_679:
	s_or_b64 exec, exec, s[10:11]
.LBB857_680:
	s_or_b64 exec, exec, s[8:9]
.LBB857_681:
	s_or_b64 exec, exec, s[2:3]
	s_mov_b32 s2, 0xffffff
	v_cmp_lt_u32_e32 vcc, s2, v9
	s_and_saveexec_b64 s[2:3], vcc
	s_cbranch_execz .LBB857_687
; %bb.682:
	v_lshrrev_b32_e32 v6, 24, v9
	s_movk_i32 s7, 0x80
	v_cmp_ne_u32_e32 vcc, s7, v6
	v_mov_b32_e32 v18, 0xffff8000
	s_and_saveexec_b64 s[8:9], vcc
	s_cbranch_execz .LBB857_686
; %bb.683:
	v_bfe_u32 v9, v9, 24, 7
	s_movk_i32 s7, 0x7f
	v_cmp_ne_u32_e32 vcc, s7, v9
	v_mov_b32_e32 v18, 0x7f80
	s_and_saveexec_b64 s[10:11], vcc
	s_cbranch_execz .LBB857_685
; %bb.684:
	v_and_b32_e32 v18, 7, v6
	v_ffbh_u32_e32 v20, v18
	v_min_u32_e32 v24, 32, v20
	v_subrev_u32_e32 v20, 28, v24
	v_lshlrev_b64 v[20:21], v20, v[6:7]
	v_lshrrev_b32_e32 v23, 3, v9
	v_sub_u32_e32 v21, 29, v24
	v_and_b32_e32 v20, 7, v20
	v_cmp_gt_u32_e32 vcc, 8, v9
	v_cndmask_b32_e32 v9, v23, v21, vcc
	v_cndmask_b32_e32 v18, v18, v20, vcc
	v_lshlrev_b32_e32 v6, 24, v6
	v_bfrev_b32_e32 v20, 60
	v_lshlrev_b32_e32 v18, 20, v18
	v_and_b32_e32 v6, 0x80000000, v6
	v_lshl_add_u32 v9, v9, 23, v20
	v_or3_b32 v6, v6, v9, v18
	v_lshrrev_b32_e32 v18, 16, v6
.LBB857_685:
	s_or_b64 exec, exec, s[10:11]
.LBB857_686:
	s_or_b64 exec, exec, s[8:9]
.LBB857_687:
	s_or_b64 exec, exec, s[2:3]
	s_mov_b32 s2, 0x5040100
	v_perm_b32 v15, v15, v16, s2
	v_perm_b32 v14, v7, v14, s2
	ds_read_b128 v[24:27], v22 offset:4112
	v_perm_b32 v7, v18, v19, s2
	v_perm_b32 v6, v8, v17, s2
	s_waitcnt lgkmcnt(0)
	v_mfma_f32_16x16x16bf16_1k v[30:33], v[14:15], v[24:25], v[10:13]
	s_nop 6
	v_mov_b32_e32 v11, 0
	s_waitcnt vmcnt(0)
	v_cmp_ne_u16_sdwa s[8:9], v2, v11 src0_sel:BYTE_0 src1_sel:DWORD
	v_mfma_f32_16x16x16bf16_1k v[6:9], v[6:7], v[26:27], v[30:33]
	v_mov_b32_e32 v12, 0
	s_and_saveexec_b64 s[2:3], s[8:9]
	s_cbranch_execz .LBB857_693
; %bb.688:
	s_movk_i32 s7, 0x80
	v_cmp_ne_u16_sdwa s[10:11], v2, s7 src0_sel:BYTE_0 src1_sel:DWORD
	v_mov_b32_e32 v12, 0xffff8000
	s_and_saveexec_b64 s[8:9], s[10:11]
	s_cbranch_execz .LBB857_692
; %bb.689:
	s_movk_i32 s7, 0x7f
	v_and_b32_e32 v10, 0x7f, v2
	v_cmp_ne_u32_e32 vcc, s7, v10
	v_mov_b32_e32 v12, 0x7f80
	s_and_saveexec_b64 s[10:11], vcc
	s_cbranch_execz .LBB857_691
; %bb.690:
	v_and_b32_e32 v14, 7, v2
	v_ffbh_u32_e32 v12, v14
	v_min_u32_e32 v16, 32, v12
	v_subrev_u32_e32 v12, 28, v16
	v_lshlrev_b64 v[12:13], v12, v[2:3]
	v_lshrrev_b32_e32 v15, 3, v10
	v_sub_u32_e32 v13, 29, v16
	v_and_b32_e32 v12, 7, v12
	v_cmp_gt_u32_e32 vcc, 8, v10
	v_cndmask_b32_e32 v10, v15, v13, vcc
	v_cndmask_b32_e32 v12, v14, v12, vcc
	v_lshlrev_b32_e32 v13, 24, v2
	v_bfrev_b32_e32 v14, 60
	v_lshlrev_b32_e32 v12, 20, v12
	v_and_b32_e32 v13, 0x80000000, v13
	v_lshl_add_u32 v10, v10, 23, v14
	v_or3_b32 v10, v13, v10, v12
	v_lshrrev_b32_e32 v12, 16, v10
.LBB857_691:
	s_or_b64 exec, exec, s[10:11]
.LBB857_692:
	s_or_b64 exec, exec, s[8:9]
.LBB857_693:
	s_or_b64 exec, exec, s[2:3]
	v_lshrrev_b16_e32 v10, 8, v2
	v_cmp_ne_u16_e32 vcc, 0, v10
	s_and_saveexec_b64 s[2:3], vcc
	s_cbranch_execz .LBB857_699
; %bb.694:
	s_movk_i32 s7, 0x80
	v_cmp_ne_u16_e32 vcc, s7, v10
	v_mov_b32_e32 v11, 0xffff8000
	s_and_saveexec_b64 s[8:9], vcc
	s_cbranch_execz .LBB857_698
; %bb.695:
	s_movk_i32 s7, 0x7f
	v_and_b32_e32 v13, 0x7f, v10
	v_cmp_ne_u32_e32 vcc, s7, v13
	v_mov_b32_e32 v11, 0x7f80
	s_and_saveexec_b64 s[10:11], vcc
	s_cbranch_execz .LBB857_697
; %bb.696:
	v_and_b32_e32 v14, 7, v10
	v_ffbh_u32_e32 v11, v14
	v_min_u32_e32 v16, 32, v11
	v_subrev_u32_e32 v11, 28, v16
	v_lshlrev_b64 v[10:11], v11, v[10:11]
	v_lshrrev_b32_e32 v15, 3, v13
	v_sub_u32_e32 v11, 29, v16
	v_and_b32_e32 v10, 7, v10
	v_cmp_gt_u32_e32 vcc, 8, v13
	v_cndmask_b32_e32 v11, v15, v11, vcc
	v_cndmask_b32_e32 v10, v14, v10, vcc
	v_lshlrev_b32_e32 v13, 16, v2
	v_bfrev_b32_e32 v14, 60
	v_lshlrev_b32_e32 v10, 20, v10
	v_and_b32_e32 v13, 0x80000000, v13
	v_lshl_add_u32 v11, v11, 23, v14
	v_or3_b32 v10, v13, v11, v10
	v_lshrrev_b32_e32 v11, 16, v10
.LBB857_697:
	s_or_b64 exec, exec, s[10:11]
.LBB857_698:
	s_or_b64 exec, exec, s[8:9]
.LBB857_699:
	s_or_b64 exec, exec, s[2:3]
	s_movk_i32 s2, 0xff
	v_and_b32_sdwa v15, v2, s2 dst_sel:DWORD dst_unused:UNUSED_PAD src0_sel:WORD_1 src1_sel:DWORD
	v_lshrrev_b32_e32 v10, 16, v2
	v_cmp_ne_u16_e32 vcc, 0, v15
	v_mov_b32_e32 v13, 0
	v_mov_b32_e32 v14, 0
	s_and_saveexec_b64 s[2:3], vcc
	s_cbranch_execz .LBB857_705
; %bb.700:
	s_movk_i32 s7, 0x80
	v_cmp_ne_u16_e32 vcc, s7, v15
	v_mov_b32_e32 v14, 0xffff8000
	s_and_saveexec_b64 s[8:9], vcc
	s_cbranch_execz .LBB857_704
; %bb.701:
	v_bfe_u32 v15, v2, 16, 7
	s_movk_i32 s7, 0x7f
	v_cmp_ne_u32_e32 vcc, s7, v15
	v_mov_b32_e32 v14, 0x7f80
	s_and_saveexec_b64 s[10:11], vcc
	s_cbranch_execz .LBB857_703
; %bb.702:
	v_and_b32_e32 v14, 7, v10
	v_ffbh_u32_e32 v16, v14
	v_min_u32_e32 v19, 32, v16
	v_subrev_u32_e32 v16, 28, v19
	v_lshlrev_b64 v[16:17], v16, v[10:11]
	v_lshrrev_b32_e32 v18, 3, v15
	v_sub_u32_e32 v10, 29, v19
	v_and_b32_e32 v16, 7, v16
	v_cmp_gt_u32_e32 vcc, 8, v15
	v_mov_b32_e32 v15, 24
	v_cndmask_b32_e32 v10, v18, v10, vcc
	v_cndmask_b32_e32 v14, v14, v16, vcc
	v_lshlrev_b32_sdwa v15, v15, v2 dst_sel:DWORD dst_unused:UNUSED_PAD src0_sel:DWORD src1_sel:WORD_1
	v_bfrev_b32_e32 v16, 60
	v_lshlrev_b32_e32 v14, 20, v14
	v_and_b32_e32 v15, 0x80000000, v15
	v_lshl_add_u32 v10, v10, 23, v16
	v_or3_b32 v10, v15, v10, v14
	v_lshrrev_b32_e32 v14, 16, v10
.LBB857_703:
	s_or_b64 exec, exec, s[10:11]
.LBB857_704:
	s_or_b64 exec, exec, s[8:9]
.LBB857_705:
	s_or_b64 exec, exec, s[2:3]
	s_mov_b32 s2, 0xffffff
	v_cmp_lt_u32_e32 vcc, s2, v2
	s_and_saveexec_b64 s[2:3], vcc
	s_cbranch_execz .LBB857_711
; %bb.706:
	v_lshrrev_b32_e32 v10, 24, v2
	s_movk_i32 s7, 0x80
	v_cmp_ne_u32_e32 vcc, s7, v10
	v_mov_b32_e32 v13, 0xffff8000
	s_and_saveexec_b64 s[8:9], vcc
	s_cbranch_execz .LBB857_710
; %bb.707:
	v_bfe_u32 v2, v2, 24, 7
	s_movk_i32 s7, 0x7f
	v_cmp_ne_u32_e32 vcc, s7, v2
	v_mov_b32_e32 v13, 0x7f80
	s_and_saveexec_b64 s[10:11], vcc
	s_cbranch_execz .LBB857_709
; %bb.708:
	v_and_b32_e32 v13, 7, v10
	v_ffbh_u32_e32 v16, v13
	v_min_u32_e32 v18, 32, v16
	v_subrev_u32_e32 v16, 28, v18
	v_lshlrev_b64 v[16:17], v16, v[10:11]
	v_lshrrev_b32_e32 v15, 3, v2
	v_sub_u32_e32 v17, 29, v18
	v_and_b32_e32 v16, 7, v16
	v_cmp_gt_u32_e32 vcc, 8, v2
	v_cndmask_b32_e32 v2, v15, v17, vcc
	v_cndmask_b32_e32 v13, v13, v16, vcc
	v_lshlrev_b32_e32 v10, 24, v10
	v_bfrev_b32_e32 v15, 60
	v_lshlrev_b32_e32 v13, 20, v13
	v_and_b32_e32 v10, 0x80000000, v10
	v_lshl_add_u32 v2, v2, 23, v15
	v_or3_b32 v2, v10, v2, v13
	v_lshrrev_b32_e32 v13, 16, v2
.LBB857_709:
	s_or_b64 exec, exec, s[10:11]
.LBB857_710:
	s_or_b64 exec, exec, s[8:9]
.LBB857_711:
	s_or_b64 exec, exec, s[2:3]
	v_mov_b32_e32 v10, 0
	v_cmp_ne_u16_sdwa s[8:9], v3, v10 src0_sel:BYTE_0 src1_sel:DWORD
	v_mov_b32_e32 v15, 0
	s_and_saveexec_b64 s[2:3], s[8:9]
	s_cbranch_execz .LBB857_717
; %bb.712:
	s_movk_i32 s7, 0x80
	v_cmp_ne_u16_sdwa s[10:11], v3, s7 src0_sel:BYTE_0 src1_sel:DWORD
	v_mov_b32_e32 v15, 0xffff8000
	s_and_saveexec_b64 s[8:9], s[10:11]
	s_cbranch_execz .LBB857_716
; %bb.713:
	s_movk_i32 s7, 0x7f
	v_and_b32_e32 v2, 0x7f, v3
	v_cmp_ne_u32_e32 vcc, s7, v2
	v_mov_b32_e32 v15, 0x7f80
	s_and_saveexec_b64 s[10:11], vcc
	s_cbranch_execz .LBB857_715
; %bb.714:
	v_and_b32_e32 v15, 7, v3
	v_ffbh_u32_e32 v17, v15
	v_min_u32_e32 v19, 32, v17
	v_mov_b32_e32 v16, v3
	v_subrev_u32_e32 v17, 28, v19
	v_lshlrev_b64 v[16:17], v17, v[16:17]
	v_lshrrev_b32_e32 v18, 3, v2
	v_sub_u32_e32 v17, 29, v19
	v_and_b32_e32 v16, 7, v16
	v_cmp_gt_u32_e32 vcc, 8, v2
	v_cndmask_b32_e32 v2, v18, v17, vcc
	v_cndmask_b32_e32 v15, v15, v16, vcc
	v_lshlrev_b32_e32 v16, 24, v3
	v_bfrev_b32_e32 v17, 60
	v_lshlrev_b32_e32 v15, 20, v15
	v_and_b32_e32 v16, 0x80000000, v16
	v_lshl_add_u32 v2, v2, 23, v17
	v_or3_b32 v2, v16, v2, v15
	v_lshrrev_b32_e32 v15, 16, v2
.LBB857_715:
	s_or_b64 exec, exec, s[10:11]
.LBB857_716:
	s_or_b64 exec, exec, s[8:9]
.LBB857_717:
	s_or_b64 exec, exec, s[2:3]
	v_lshrrev_b16_e32 v2, 8, v3
	v_cmp_ne_u16_e32 vcc, 0, v2
	s_and_saveexec_b64 s[2:3], vcc
	s_cbranch_execz .LBB857_723
; %bb.718:
	s_movk_i32 s7, 0x80
	v_cmp_ne_u16_e32 vcc, s7, v2
	v_mov_b32_e32 v10, 0xffff8000
	s_and_saveexec_b64 s[8:9], vcc
	s_cbranch_execz .LBB857_722
; %bb.719:
	s_movk_i32 s7, 0x7f
	v_and_b32_e32 v16, 0x7f, v2
	v_cmp_ne_u32_e32 vcc, s7, v16
	v_mov_b32_e32 v10, 0x7f80
	s_and_saveexec_b64 s[10:11], vcc
	s_cbranch_execz .LBB857_721
; %bb.720:
	v_and_b32_e32 v10, 7, v2
	v_ffbh_u32_e32 v18, v10
	v_min_u32_e32 v20, 32, v18
	v_subrev_u32_e32 v18, 28, v20
	v_lshlrev_b64 v[18:19], v18, v[2:3]
	v_lshrrev_b32_e32 v17, 3, v16
	v_sub_u32_e32 v2, 29, v20
	v_and_b32_e32 v18, 7, v18
	v_cmp_gt_u32_e32 vcc, 8, v16
	v_cndmask_b32_e32 v2, v17, v2, vcc
	v_cndmask_b32_e32 v10, v10, v18, vcc
	v_lshlrev_b32_e32 v16, 16, v3
	v_bfrev_b32_e32 v17, 60
	v_lshlrev_b32_e32 v10, 20, v10
	v_and_b32_e32 v16, 0x80000000, v16
	v_lshl_add_u32 v2, v2, 23, v17
	v_or3_b32 v2, v16, v2, v10
	v_lshrrev_b32_e32 v10, 16, v2
.LBB857_721:
	s_or_b64 exec, exec, s[10:11]
.LBB857_722:
	s_or_b64 exec, exec, s[8:9]
.LBB857_723:
	s_or_b64 exec, exec, s[2:3]
	s_movk_i32 s2, 0xff
	v_and_b32_sdwa v18, v3, s2 dst_sel:DWORD dst_unused:UNUSED_PAD src0_sel:WORD_1 src1_sel:DWORD
	v_lshrrev_b32_e32 v2, 16, v3
	v_cmp_ne_u16_e32 vcc, 0, v18
	v_mov_b32_e32 v16, 0
	v_mov_b32_e32 v17, 0
	s_and_saveexec_b64 s[2:3], vcc
	s_cbranch_execz .LBB857_729
; %bb.724:
	s_movk_i32 s7, 0x80
	v_cmp_ne_u16_e32 vcc, s7, v18
	v_mov_b32_e32 v17, 0xffff8000
	s_and_saveexec_b64 s[8:9], vcc
	s_cbranch_execz .LBB857_728
; %bb.725:
	v_bfe_u32 v18, v3, 16, 7
	s_movk_i32 s7, 0x7f
	v_cmp_ne_u32_e32 vcc, s7, v18
	v_mov_b32_e32 v17, 0x7f80
	s_and_saveexec_b64 s[10:11], vcc
	s_cbranch_execz .LBB857_727
; %bb.726:
	v_and_b32_e32 v17, 7, v2
	v_ffbh_u32_e32 v20, v17
	v_min_u32_e32 v23, 32, v20
	v_subrev_u32_e32 v20, 28, v23
	v_lshlrev_b64 v[20:21], v20, v[2:3]
	v_lshrrev_b32_e32 v19, 3, v18
	v_sub_u32_e32 v2, 29, v23
	v_and_b32_e32 v20, 7, v20
	v_cmp_gt_u32_e32 vcc, 8, v18
	v_mov_b32_e32 v18, 24
	v_cndmask_b32_e32 v2, v19, v2, vcc
	v_cndmask_b32_e32 v17, v17, v20, vcc
	v_lshlrev_b32_sdwa v18, v18, v3 dst_sel:DWORD dst_unused:UNUSED_PAD src0_sel:DWORD src1_sel:WORD_1
	v_bfrev_b32_e32 v19, 60
	v_lshlrev_b32_e32 v17, 20, v17
	v_and_b32_e32 v18, 0x80000000, v18
	v_lshl_add_u32 v2, v2, 23, v19
	v_or3_b32 v2, v18, v2, v17
	v_lshrrev_b32_e32 v17, 16, v2
.LBB857_727:
	s_or_b64 exec, exec, s[10:11]
.LBB857_728:
	s_or_b64 exec, exec, s[8:9]
.LBB857_729:
	s_or_b64 exec, exec, s[2:3]
	s_mov_b32 s2, 0xffffff
	v_cmp_lt_u32_e32 vcc, s2, v3
	s_and_saveexec_b64 s[2:3], vcc
	s_cbranch_execz .LBB857_735
; %bb.730:
	v_lshrrev_b32_e32 v2, 24, v3
	s_movk_i32 s7, 0x80
	v_cmp_ne_u32_e32 vcc, s7, v2
	v_mov_b32_e32 v16, 0xffff8000
	s_and_saveexec_b64 s[8:9], vcc
	s_cbranch_execz .LBB857_734
; %bb.731:
	v_bfe_u32 v3, v3, 24, 7
	s_movk_i32 s7, 0x7f
	v_cmp_ne_u32_e32 vcc, s7, v3
	v_mov_b32_e32 v16, 0x7f80
	s_and_saveexec_b64 s[10:11], vcc
	s_cbranch_execz .LBB857_733
; %bb.732:
	v_and_b32_e32 v16, 7, v2
	v_ffbh_u32_e32 v18, v16
	v_min_u32_e32 v21, 32, v18
	v_subrev_u32_e32 v18, 28, v21
	v_lshlrev_b64 v[18:19], v18, v[2:3]
	v_lshrrev_b32_e32 v20, 3, v3
	v_sub_u32_e32 v19, 29, v21
	v_and_b32_e32 v18, 7, v18
	v_cmp_gt_u32_e32 vcc, 8, v3
	v_cndmask_b32_e32 v3, v20, v19, vcc
	v_cndmask_b32_e32 v16, v16, v18, vcc
	v_lshlrev_b32_e32 v2, 24, v2
	v_bfrev_b32_e32 v18, 60
	v_lshlrev_b32_e32 v16, 20, v16
	v_and_b32_e32 v2, 0x80000000, v2
	v_lshl_add_u32 v3, v3, 23, v18
	v_or3_b32 v2, v2, v3, v16
	v_lshrrev_b32_e32 v16, 16, v2
.LBB857_733:
	s_or_b64 exec, exec, s[10:11]
.LBB857_734:
	s_or_b64 exec, exec, s[8:9]
.LBB857_735:
	s_or_b64 exec, exec, s[2:3]
	s_mov_b32 s2, 0x5040100
	v_perm_b32 v3, v13, v14, s2
	v_perm_b32 v2, v11, v12, s2
	ds_read_b128 v[18:21], v22 offset:6144
	v_perm_b32 v13, v16, v17, s2
	v_perm_b32 v12, v10, v15, s2
	s_waitcnt lgkmcnt(0)
	v_mfma_f32_16x16x16bf16_1k v[6:9], v[2:3], v[18:19], v[6:9]
	v_mov_b32_e32 v3, 0
	v_cmp_ne_u16_sdwa s[8:9], v4, v3 src0_sel:BYTE_0 src1_sel:DWORD
	v_mov_b32_e32 v10, 0
	v_mfma_f32_16x16x16bf16_1k v[6:9], v[12:13], v[20:21], v[6:9]
	s_and_saveexec_b64 s[2:3], s[8:9]
	s_cbranch_execz .LBB857_741
; %bb.736:
	s_movk_i32 s7, 0x80
	v_cmp_ne_u16_sdwa s[10:11], v4, s7 src0_sel:BYTE_0 src1_sel:DWORD
	v_mov_b32_e32 v10, 0xffff8000
	s_and_saveexec_b64 s[8:9], s[10:11]
	s_cbranch_execz .LBB857_740
; %bb.737:
	s_movk_i32 s7, 0x7f
	v_and_b32_e32 v2, 0x7f, v4
	v_cmp_ne_u32_e32 vcc, s7, v2
	v_mov_b32_e32 v10, 0x7f80
	s_and_saveexec_b64 s[10:11], vcc
	s_cbranch_execz .LBB857_739
; %bb.738:
	v_and_b32_e32 v12, 7, v4
	v_ffbh_u32_e32 v10, v12
	v_min_u32_e32 v14, 32, v10
	v_subrev_u32_e32 v10, 28, v14
	v_lshlrev_b64 v[10:11], v10, v[4:5]
	v_lshrrev_b32_e32 v13, 3, v2
	v_sub_u32_e32 v11, 29, v14
	v_and_b32_e32 v10, 7, v10
	v_cmp_gt_u32_e32 vcc, 8, v2
	v_cndmask_b32_e32 v2, v13, v11, vcc
	v_cndmask_b32_e32 v10, v12, v10, vcc
	v_lshlrev_b32_e32 v11, 24, v4
	v_bfrev_b32_e32 v12, 60
	v_lshlrev_b32_e32 v10, 20, v10
	v_and_b32_e32 v11, 0x80000000, v11
	v_lshl_add_u32 v2, v2, 23, v12
	v_or3_b32 v2, v11, v2, v10
	v_lshrrev_b32_e32 v10, 16, v2
.LBB857_739:
	s_or_b64 exec, exec, s[10:11]
.LBB857_740:
	s_or_b64 exec, exec, s[8:9]
.LBB857_741:
	s_or_b64 exec, exec, s[2:3]
	v_lshrrev_b16_e32 v2, 8, v4
	v_cmp_ne_u16_e32 vcc, 0, v2
	s_and_saveexec_b64 s[2:3], vcc
	s_cbranch_execz .LBB857_747
; %bb.742:
	s_movk_i32 s7, 0x80
	v_cmp_ne_u16_e32 vcc, s7, v2
	v_mov_b32_e32 v3, 0xffff8000
	s_and_saveexec_b64 s[8:9], vcc
	s_cbranch_execz .LBB857_746
; %bb.743:
	s_movk_i32 s7, 0x7f
	v_and_b32_e32 v11, 0x7f, v2
	v_cmp_ne_u32_e32 vcc, s7, v11
	v_mov_b32_e32 v3, 0x7f80
	s_and_saveexec_b64 s[10:11], vcc
	s_cbranch_execz .LBB857_745
; %bb.744:
	v_and_b32_e32 v12, 7, v2
	v_ffbh_u32_e32 v3, v12
	v_min_u32_e32 v14, 32, v3
	v_subrev_u32_e32 v3, 28, v14
	v_lshlrev_b64 v[2:3], v3, v[2:3]
	v_lshrrev_b32_e32 v13, 3, v11
	v_sub_u32_e32 v3, 29, v14
	v_and_b32_e32 v2, 7, v2
	v_cmp_gt_u32_e32 vcc, 8, v11
	v_cndmask_b32_e32 v3, v13, v3, vcc
	v_cndmask_b32_e32 v2, v12, v2, vcc
	v_lshlrev_b32_e32 v11, 16, v4
	v_bfrev_b32_e32 v12, 60
	v_lshlrev_b32_e32 v2, 20, v2
	v_and_b32_e32 v11, 0x80000000, v11
	v_lshl_add_u32 v3, v3, 23, v12
	v_or3_b32 v2, v11, v3, v2
	v_lshrrev_b32_e32 v3, 16, v2
.LBB857_745:
	s_or_b64 exec, exec, s[10:11]
.LBB857_746:
	s_or_b64 exec, exec, s[8:9]
.LBB857_747:
	s_or_b64 exec, exec, s[2:3]
	s_movk_i32 s2, 0xff
	v_and_b32_sdwa v13, v4, s2 dst_sel:DWORD dst_unused:UNUSED_PAD src0_sel:WORD_1 src1_sel:DWORD
	v_lshrrev_b32_e32 v2, 16, v4
	v_cmp_ne_u16_e32 vcc, 0, v13
	v_mov_b32_e32 v11, 0
	v_mov_b32_e32 v12, 0
	s_and_saveexec_b64 s[2:3], vcc
	s_cbranch_execz .LBB857_753
; %bb.748:
	s_movk_i32 s7, 0x80
	v_cmp_ne_u16_e32 vcc, s7, v13
	v_mov_b32_e32 v12, 0xffff8000
	s_and_saveexec_b64 s[8:9], vcc
	s_cbranch_execz .LBB857_752
; %bb.749:
	v_bfe_u32 v13, v4, 16, 7
	s_movk_i32 s7, 0x7f
	v_cmp_ne_u32_e32 vcc, s7, v13
	v_mov_b32_e32 v12, 0x7f80
	s_and_saveexec_b64 s[10:11], vcc
	s_cbranch_execz .LBB857_751
; %bb.750:
	v_and_b32_e32 v12, 7, v2
	v_ffbh_u32_e32 v14, v12
	v_min_u32_e32 v17, 32, v14
	v_subrev_u32_e32 v14, 28, v17
	v_lshlrev_b64 v[14:15], v14, v[2:3]
	v_lshrrev_b32_e32 v16, 3, v13
	v_sub_u32_e32 v2, 29, v17
	v_and_b32_e32 v14, 7, v14
	v_cmp_gt_u32_e32 vcc, 8, v13
	v_mov_b32_e32 v13, 24
	v_cndmask_b32_e32 v2, v16, v2, vcc
	v_cndmask_b32_e32 v12, v12, v14, vcc
	v_lshlrev_b32_sdwa v13, v13, v4 dst_sel:DWORD dst_unused:UNUSED_PAD src0_sel:DWORD src1_sel:WORD_1
	v_bfrev_b32_e32 v14, 60
	v_lshlrev_b32_e32 v12, 20, v12
	v_and_b32_e32 v13, 0x80000000, v13
	v_lshl_add_u32 v2, v2, 23, v14
	v_or3_b32 v2, v13, v2, v12
	v_lshrrev_b32_e32 v12, 16, v2
.LBB857_751:
	s_or_b64 exec, exec, s[10:11]
.LBB857_752:
	s_or_b64 exec, exec, s[8:9]
.LBB857_753:
	s_or_b64 exec, exec, s[2:3]
	s_mov_b32 s2, 0xffffff
	v_cmp_lt_u32_e32 vcc, s2, v4
	s_and_saveexec_b64 s[2:3], vcc
	s_cbranch_execz .LBB857_759
; %bb.754:
	v_lshrrev_b32_e32 v2, 24, v4
	s_movk_i32 s7, 0x80
	v_cmp_ne_u32_e32 vcc, s7, v2
	v_mov_b32_e32 v11, 0xffff8000
	s_and_saveexec_b64 s[8:9], vcc
	s_cbranch_execz .LBB857_758
; %bb.755:
	v_bfe_u32 v4, v4, 24, 7
	s_movk_i32 s7, 0x7f
	v_cmp_ne_u32_e32 vcc, s7, v4
	v_mov_b32_e32 v11, 0x7f80
	s_and_saveexec_b64 s[10:11], vcc
	s_cbranch_execz .LBB857_757
; %bb.756:
	v_and_b32_e32 v11, 7, v2
	v_ffbh_u32_e32 v14, v11
	v_min_u32_e32 v16, 32, v14
	v_subrev_u32_e32 v14, 28, v16
	v_lshlrev_b64 v[14:15], v14, v[2:3]
	v_lshrrev_b32_e32 v13, 3, v4
	v_sub_u32_e32 v15, 29, v16
	v_and_b32_e32 v14, 7, v14
	v_cmp_gt_u32_e32 vcc, 8, v4
	v_cndmask_b32_e32 v4, v13, v15, vcc
	v_cndmask_b32_e32 v11, v11, v14, vcc
	v_lshlrev_b32_e32 v2, 24, v2
	v_bfrev_b32_e32 v13, 60
	v_lshlrev_b32_e32 v11, 20, v11
	v_and_b32_e32 v2, 0x80000000, v2
	v_lshl_add_u32 v4, v4, 23, v13
	v_or3_b32 v2, v2, v4, v11
	v_lshrrev_b32_e32 v11, 16, v2
.LBB857_757:
	s_or_b64 exec, exec, s[10:11]
.LBB857_758:
	s_or_b64 exec, exec, s[8:9]
.LBB857_759:
	s_or_b64 exec, exec, s[2:3]
	v_mov_b32_e32 v4, 0
	v_cmp_ne_u16_sdwa s[8:9], v5, v4 src0_sel:BYTE_0 src1_sel:DWORD
	v_mov_b32_e32 v13, 0
	s_and_saveexec_b64 s[2:3], s[8:9]
	s_cbranch_execz .LBB857_765
; %bb.760:
	s_movk_i32 s7, 0x80
	v_cmp_ne_u16_sdwa s[10:11], v5, s7 src0_sel:BYTE_0 src1_sel:DWORD
	v_mov_b32_e32 v13, 0xffff8000
	s_and_saveexec_b64 s[8:9], s[10:11]
	s_cbranch_execz .LBB857_764
; %bb.761:
	s_movk_i32 s7, 0x7f
	v_and_b32_e32 v2, 0x7f, v5
	v_cmp_ne_u32_e32 vcc, s7, v2
	v_mov_b32_e32 v13, 0x7f80
	s_and_saveexec_b64 s[10:11], vcc
	s_cbranch_execz .LBB857_763
; %bb.762:
	v_and_b32_e32 v13, 7, v5
	v_ffbh_u32_e32 v15, v13
	v_min_u32_e32 v17, 32, v15
	v_mov_b32_e32 v14, v5
	v_subrev_u32_e32 v15, 28, v17
	v_lshlrev_b64 v[14:15], v15, v[14:15]
	v_lshrrev_b32_e32 v16, 3, v2
	v_sub_u32_e32 v15, 29, v17
	v_and_b32_e32 v14, 7, v14
	v_cmp_gt_u32_e32 vcc, 8, v2
	v_cndmask_b32_e32 v2, v16, v15, vcc
	v_cndmask_b32_e32 v13, v13, v14, vcc
	v_lshlrev_b32_e32 v14, 24, v5
	v_bfrev_b32_e32 v15, 60
	v_lshlrev_b32_e32 v13, 20, v13
	v_and_b32_e32 v14, 0x80000000, v14
	v_lshl_add_u32 v2, v2, 23, v15
	v_or3_b32 v2, v14, v2, v13
	v_lshrrev_b32_e32 v13, 16, v2
.LBB857_763:
	s_or_b64 exec, exec, s[10:11]
.LBB857_764:
	s_or_b64 exec, exec, s[8:9]
.LBB857_765:
	s_or_b64 exec, exec, s[2:3]
	v_lshrrev_b16_e32 v2, 8, v5
	v_cmp_ne_u16_e32 vcc, 0, v2
	s_and_saveexec_b64 s[2:3], vcc
	s_cbranch_execz .LBB857_771
; %bb.766:
	s_movk_i32 s7, 0x80
	v_cmp_ne_u16_e32 vcc, s7, v2
	v_mov_b32_e32 v4, 0xffff8000
	s_and_saveexec_b64 s[8:9], vcc
	s_cbranch_execz .LBB857_770
; %bb.767:
	s_movk_i32 s7, 0x7f
	v_and_b32_e32 v14, 0x7f, v2
	v_cmp_ne_u32_e32 vcc, s7, v14
	v_mov_b32_e32 v4, 0x7f80
	s_and_saveexec_b64 s[10:11], vcc
	s_cbranch_execz .LBB857_769
; %bb.768:
	v_and_b32_e32 v4, 7, v2
	v_ffbh_u32_e32 v16, v4
	v_min_u32_e32 v18, 32, v16
	v_subrev_u32_e32 v16, 28, v18
	v_lshlrev_b64 v[16:17], v16, v[2:3]
	v_lshrrev_b32_e32 v15, 3, v14
	v_sub_u32_e32 v2, 29, v18
	v_and_b32_e32 v16, 7, v16
	v_cmp_gt_u32_e32 vcc, 8, v14
	v_cndmask_b32_e32 v2, v15, v2, vcc
	v_cndmask_b32_e32 v4, v4, v16, vcc
	v_lshlrev_b32_e32 v14, 16, v5
	v_bfrev_b32_e32 v15, 60
	v_lshlrev_b32_e32 v4, 20, v4
	v_and_b32_e32 v14, 0x80000000, v14
	v_lshl_add_u32 v2, v2, 23, v15
	v_or3_b32 v2, v14, v2, v4
	v_lshrrev_b32_e32 v4, 16, v2
.LBB857_769:
	s_or_b64 exec, exec, s[10:11]
.LBB857_770:
	s_or_b64 exec, exec, s[8:9]
.LBB857_771:
	s_or_b64 exec, exec, s[2:3]
	s_movk_i32 s2, 0xff
	v_and_b32_sdwa v16, v5, s2 dst_sel:DWORD dst_unused:UNUSED_PAD src0_sel:WORD_1 src1_sel:DWORD
	v_lshrrev_b32_e32 v2, 16, v5
	v_cmp_ne_u16_e32 vcc, 0, v16
	v_mov_b32_e32 v14, 0
	v_mov_b32_e32 v15, 0
	s_and_saveexec_b64 s[2:3], vcc
	s_cbranch_execz .LBB857_777
; %bb.772:
	s_movk_i32 s7, 0x80
	v_cmp_ne_u16_e32 vcc, s7, v16
	v_mov_b32_e32 v15, 0xffff8000
	s_and_saveexec_b64 s[8:9], vcc
	s_cbranch_execz .LBB857_776
; %bb.773:
	v_bfe_u32 v16, v5, 16, 7
	s_movk_i32 s7, 0x7f
	v_cmp_ne_u32_e32 vcc, s7, v16
	v_mov_b32_e32 v15, 0x7f80
	s_and_saveexec_b64 s[10:11], vcc
	s_cbranch_execz .LBB857_775
; %bb.774:
	v_and_b32_e32 v15, 7, v2
	v_ffbh_u32_e32 v18, v15
	v_min_u32_e32 v20, 32, v18
	v_subrev_u32_e32 v18, 28, v20
	v_lshlrev_b64 v[18:19], v18, v[2:3]
	v_lshrrev_b32_e32 v17, 3, v16
	v_sub_u32_e32 v2, 29, v20
	v_and_b32_e32 v18, 7, v18
	v_cmp_gt_u32_e32 vcc, 8, v16
	v_mov_b32_e32 v16, 24
	v_cndmask_b32_e32 v2, v17, v2, vcc
	v_cndmask_b32_e32 v15, v15, v18, vcc
	v_lshlrev_b32_sdwa v16, v16, v5 dst_sel:DWORD dst_unused:UNUSED_PAD src0_sel:DWORD src1_sel:WORD_1
	v_bfrev_b32_e32 v17, 60
	v_lshlrev_b32_e32 v15, 20, v15
	v_and_b32_e32 v16, 0x80000000, v16
	v_lshl_add_u32 v2, v2, 23, v17
	v_or3_b32 v2, v16, v2, v15
	v_lshrrev_b32_e32 v15, 16, v2
.LBB857_775:
	s_or_b64 exec, exec, s[10:11]
.LBB857_776:
	s_or_b64 exec, exec, s[8:9]
.LBB857_777:
	s_or_b64 exec, exec, s[2:3]
	s_mov_b32 s2, 0xffffff
	v_cmp_lt_u32_e32 vcc, s2, v5
	s_and_saveexec_b64 s[2:3], vcc
	s_cbranch_execz .LBB857_783
; %bb.778:
	v_lshrrev_b32_e32 v2, 24, v5
	s_movk_i32 s7, 0x80
	v_cmp_ne_u32_e32 vcc, s7, v2
	v_mov_b32_e32 v14, 0xffff8000
	s_and_saveexec_b64 s[8:9], vcc
	s_cbranch_execz .LBB857_782
; %bb.779:
	v_bfe_u32 v5, v5, 24, 7
	s_movk_i32 s7, 0x7f
	v_cmp_ne_u32_e32 vcc, s7, v5
	v_mov_b32_e32 v14, 0x7f80
	s_and_saveexec_b64 s[10:11], vcc
	s_cbranch_execz .LBB857_781
; %bb.780:
	v_and_b32_e32 v14, 7, v2
	v_ffbh_u32_e32 v16, v14
	v_min_u32_e32 v19, 32, v16
	v_subrev_u32_e32 v16, 28, v19
	v_lshlrev_b64 v[16:17], v16, v[2:3]
	v_lshrrev_b32_e32 v18, 3, v5
	v_sub_u32_e32 v17, 29, v19
	v_and_b32_e32 v16, 7, v16
	v_cmp_gt_u32_e32 vcc, 8, v5
	v_cndmask_b32_e32 v5, v18, v17, vcc
	v_cndmask_b32_e32 v14, v14, v16, vcc
	v_lshlrev_b32_e32 v2, 24, v2
	v_bfrev_b32_e32 v16, 60
	v_lshlrev_b32_e32 v14, 20, v14
	v_and_b32_e32 v2, 0x80000000, v2
	v_lshl_add_u32 v5, v5, 23, v16
	v_or3_b32 v2, v2, v5, v14
	v_lshrrev_b32_e32 v14, 16, v2
.LBB857_781:
	s_or_b64 exec, exec, s[10:11]
.LBB857_782:
	s_or_b64 exec, exec, s[8:9]
.LBB857_783:
	s_or_b64 exec, exec, s[2:3]
	s_mov_b32 s3, 0x5040100
	v_perm_b32 v11, v11, v12, s3
	ds_read_b128 v[16:19], v22 offset:6160
	v_perm_b32 v10, v3, v10, s3
	v_perm_b32 v3, v14, v15, s3
	;; [unrolled: 1-line block ×3, first 2 shown]
	s_waitcnt lgkmcnt(0)
	v_mfma_f32_16x16x16bf16_1k v[6:9], v[10:11], v[16:17], v[6:9]
	s_load_dword s2, s[42:43], 0x0
	s_mov_b32 s3, 0x7060302
	s_movk_i32 s7, 0x7fff
	v_cmp_gt_u32_e32 vcc, 64, v0
	s_and_b64 s[0:1], vcc, s[0:1]
	s_waitcnt lgkmcnt(0)
	s_barrier
	v_mfma_f32_16x16x16bf16_1k v[2:5], v[2:3], v[18:19], v[6:9]
	s_nop 7
	s_nop 2
	v_pk_mul_f32 v[4:5], v[4:5], s[2:3] op_sel_hi:[1,0]
	v_pk_mul_f32 v[2:3], v[2:3], s[2:3] op_sel_hi:[1,0]
	v_bfe_u32 v6, v3, 16, 1
	v_bfe_u32 v7, v2, 16, 1
	;; [unrolled: 1-line block ×4, first 2 shown]
	v_add3_u32 v2, v2, v7, s7
	v_add3_u32 v3, v3, v6, s7
	;; [unrolled: 1-line block ×4, first 2 shown]
	v_perm_b32 v2, v3, v2, s3
	v_perm_b32 v3, v5, v4, s3
	ds_write_b64 v28, v[2:3]
	s_waitcnt lgkmcnt(0)
	s_barrier
	s_and_saveexec_b64 s[2:3], s[0:1]
	s_cbranch_execz .LBB857_785
; %bb.784:
	s_load_dwordx2 s[0:1], s[4:5], 0x68
	s_lshl_b32 s4, s44, 6
	s_mul_i32 s2, s12, s6
	s_mul_hi_u32 s3, s2, s4
	s_mul_i32 s2, s2, s4
	s_lshl_b64 s[2:3], s[2:3], 1
	s_waitcnt lgkmcnt(0)
	s_add_u32 s2, s0, s2
	s_addc_u32 s3, s1, s3
	s_lshl_b32 s0, s24, 6
	s_mov_b32 s1, 0
	v_lshlrev_b32_e32 v0, 10, v0
	s_lshl_b64 s[0:1], s[0:1], 1
	v_and_b32_e32 v0, 0x1800, v0
	v_lshlrev_b32_e32 v2, 5, v1
	v_and_b32_e32 v3, 16, v47
	s_add_u32 s0, s2, s0
	v_or3_b32 v0, v0, v2, v3
	s_addc_u32 s1, s3, s1
	ds_read_b128 v[2:5], v0
	ds_read_b128 v[6:9], v0 offset:128
	ds_read_b128 v[10:13], v0 offset:256
	v_or_b32_e32 v14, s25, v1
	v_mov_b32_e32 v0, s1
	v_add_co_u32_e32 v15, vcc, s0, v46
	v_addc_co_u32_e32 v16, vcc, 0, v0, vcc
	v_mad_u64_u32 v[0:1], s[0:1], v14, s4, 0
	v_lshlrev_b64 v[0:1], 1, v[0:1]
	v_add_co_u32_e32 v0, vcc, v15, v0
	v_addc_co_u32_e32 v1, vcc, v16, v1, vcc
	s_waitcnt lgkmcnt(2)
	global_store_dwordx4 v[0:1], v[2:5], off
	v_add_u32_e32 v0, 4, v14
	v_mad_u64_u32 v[0:1], s[0:1], v0, s4, 0
	v_lshlrev_b64 v[0:1], 1, v[0:1]
	v_add_co_u32_e32 v0, vcc, v15, v0
	v_addc_co_u32_e32 v1, vcc, v16, v1, vcc
	s_waitcnt lgkmcnt(1)
	global_store_dwordx4 v[0:1], v[6:9], off
	v_add_u32_e32 v0, 8, v14
	v_mad_u64_u32 v[0:1], s[0:1], v0, s4, 0
	v_lshlrev_b64 v[0:1], 1, v[0:1]
	v_add_co_u32_e32 v0, vcc, v15, v0
	v_addc_co_u32_e32 v1, vcc, v16, v1, vcc
	s_waitcnt lgkmcnt(0)
	global_store_dwordx4 v[0:1], v[10:13], off
.LBB857_785:
	s_endpgm
	.section	.rodata,"a",@progbits
	.p2align	6, 0x0
	.amdhsa_kernel _Z39paged_attention_ll4mi_QKV_mfma16_kernelI14__hip_bfloat16hLN4vllm18Fp8KVCacheDataTypeE1ES0_Li16ELi64ELi256ELb0ELi12EL8MFMAType0EEvPKT_PKT0_S9_ifPKiSB_SB_iPKfiiiPfSE_PS4_PT2_iSD_SD_
		.amdhsa_group_segment_fixed_size 8192
		.amdhsa_private_segment_fixed_size 0
		.amdhsa_kernarg_size 400
		.amdhsa_user_sgpr_count 6
		.amdhsa_user_sgpr_private_segment_buffer 1
		.amdhsa_user_sgpr_dispatch_ptr 0
		.amdhsa_user_sgpr_queue_ptr 0
		.amdhsa_user_sgpr_kernarg_segment_ptr 1
		.amdhsa_user_sgpr_dispatch_id 0
		.amdhsa_user_sgpr_flat_scratch_init 0
		.amdhsa_user_sgpr_kernarg_preload_length 0
		.amdhsa_user_sgpr_kernarg_preload_offset 0
		.amdhsa_user_sgpr_private_segment_size 0
		.amdhsa_uses_dynamic_stack 0
		.amdhsa_system_sgpr_private_segment_wavefront_offset 0
		.amdhsa_system_sgpr_workgroup_id_x 1
		.amdhsa_system_sgpr_workgroup_id_y 1
		.amdhsa_system_sgpr_workgroup_id_z 1
		.amdhsa_system_sgpr_workgroup_info 0
		.amdhsa_system_vgpr_workitem_id 0
		.amdhsa_next_free_vgpr 61
		.amdhsa_next_free_sgpr 47
		.amdhsa_accum_offset 64
		.amdhsa_reserve_vcc 1
		.amdhsa_reserve_flat_scratch 0
		.amdhsa_float_round_mode_32 0
		.amdhsa_float_round_mode_16_64 0
		.amdhsa_float_denorm_mode_32 3
		.amdhsa_float_denorm_mode_16_64 3
		.amdhsa_dx10_clamp 1
		.amdhsa_ieee_mode 1
		.amdhsa_fp16_overflow 0
		.amdhsa_tg_split 0
		.amdhsa_exception_fp_ieee_invalid_op 0
		.amdhsa_exception_fp_denorm_src 0
		.amdhsa_exception_fp_ieee_div_zero 0
		.amdhsa_exception_fp_ieee_overflow 0
		.amdhsa_exception_fp_ieee_underflow 0
		.amdhsa_exception_fp_ieee_inexact 0
		.amdhsa_exception_int_div_zero 0
	.end_amdhsa_kernel
	.section	.text._Z39paged_attention_ll4mi_QKV_mfma16_kernelI14__hip_bfloat16hLN4vllm18Fp8KVCacheDataTypeE1ES0_Li16ELi64ELi256ELb0ELi12EL8MFMAType0EEvPKT_PKT0_S9_ifPKiSB_SB_iPKfiiiPfSE_PS4_PT2_iSD_SD_,"axG",@progbits,_Z39paged_attention_ll4mi_QKV_mfma16_kernelI14__hip_bfloat16hLN4vllm18Fp8KVCacheDataTypeE1ES0_Li16ELi64ELi256ELb0ELi12EL8MFMAType0EEvPKT_PKT0_S9_ifPKiSB_SB_iPKfiiiPfSE_PS4_PT2_iSD_SD_,comdat
.Lfunc_end857:
	.size	_Z39paged_attention_ll4mi_QKV_mfma16_kernelI14__hip_bfloat16hLN4vllm18Fp8KVCacheDataTypeE1ES0_Li16ELi64ELi256ELb0ELi12EL8MFMAType0EEvPKT_PKT0_S9_ifPKiSB_SB_iPKfiiiPfSE_PS4_PT2_iSD_SD_, .Lfunc_end857-_Z39paged_attention_ll4mi_QKV_mfma16_kernelI14__hip_bfloat16hLN4vllm18Fp8KVCacheDataTypeE1ES0_Li16ELi64ELi256ELb0ELi12EL8MFMAType0EEvPKT_PKT0_S9_ifPKiSB_SB_iPKfiiiPfSE_PS4_PT2_iSD_SD_
                                        ; -- End function
	.section	.AMDGPU.csdata,"",@progbits
; Kernel info:
; codeLenInByte = 28316
; NumSgprs: 51
; NumVgprs: 61
; NumAgprs: 0
; TotalNumVgprs: 61
; ScratchSize: 0
; MemoryBound: 0
; FloatMode: 240
; IeeeMode: 1
; LDSByteSize: 8192 bytes/workgroup (compile time only)
; SGPRBlocks: 6
; VGPRBlocks: 7
; NumSGPRsForWavesPerEU: 51
; NumVGPRsForWavesPerEU: 61
; AccumOffset: 64
; Occupancy: 8
; WaveLimiterHint : 1
; COMPUTE_PGM_RSRC2:SCRATCH_EN: 0
; COMPUTE_PGM_RSRC2:USER_SGPR: 6
; COMPUTE_PGM_RSRC2:TRAP_HANDLER: 0
; COMPUTE_PGM_RSRC2:TGID_X_EN: 1
; COMPUTE_PGM_RSRC2:TGID_Y_EN: 1
; COMPUTE_PGM_RSRC2:TGID_Z_EN: 1
; COMPUTE_PGM_RSRC2:TIDIG_COMP_CNT: 0
; COMPUTE_PGM_RSRC3_GFX90A:ACCUM_OFFSET: 15
; COMPUTE_PGM_RSRC3_GFX90A:TG_SPLIT: 0
	.section	.text._Z39paged_attention_ll4mi_QKV_mfma16_kernelI14__hip_bfloat16hLN4vllm18Fp8KVCacheDataTypeE1ES0_Li16ELi64ELi256ELb0ELi13EL8MFMAType0EEvPKT_PKT0_S9_ifPKiSB_SB_iPKfiiiPfSE_PS4_PT2_iSD_SD_,"axG",@progbits,_Z39paged_attention_ll4mi_QKV_mfma16_kernelI14__hip_bfloat16hLN4vllm18Fp8KVCacheDataTypeE1ES0_Li16ELi64ELi256ELb0ELi13EL8MFMAType0EEvPKT_PKT0_S9_ifPKiSB_SB_iPKfiiiPfSE_PS4_PT2_iSD_SD_,comdat
	.protected	_Z39paged_attention_ll4mi_QKV_mfma16_kernelI14__hip_bfloat16hLN4vllm18Fp8KVCacheDataTypeE1ES0_Li16ELi64ELi256ELb0ELi13EL8MFMAType0EEvPKT_PKT0_S9_ifPKiSB_SB_iPKfiiiPfSE_PS4_PT2_iSD_SD_ ; -- Begin function _Z39paged_attention_ll4mi_QKV_mfma16_kernelI14__hip_bfloat16hLN4vllm18Fp8KVCacheDataTypeE1ES0_Li16ELi64ELi256ELb0ELi13EL8MFMAType0EEvPKT_PKT0_S9_ifPKiSB_SB_iPKfiiiPfSE_PS4_PT2_iSD_SD_
	.globl	_Z39paged_attention_ll4mi_QKV_mfma16_kernelI14__hip_bfloat16hLN4vllm18Fp8KVCacheDataTypeE1ES0_Li16ELi64ELi256ELb0ELi13EL8MFMAType0EEvPKT_PKT0_S9_ifPKiSB_SB_iPKfiiiPfSE_PS4_PT2_iSD_SD_
	.p2align	8
	.type	_Z39paged_attention_ll4mi_QKV_mfma16_kernelI14__hip_bfloat16hLN4vllm18Fp8KVCacheDataTypeE1ES0_Li16ELi64ELi256ELb0ELi13EL8MFMAType0EEvPKT_PKT0_S9_ifPKiSB_SB_iPKfiiiPfSE_PS4_PT2_iSD_SD_,@function
_Z39paged_attention_ll4mi_QKV_mfma16_kernelI14__hip_bfloat16hLN4vllm18Fp8KVCacheDataTypeE1ES0_Li16ELi64ELi256ELb0ELi13EL8MFMAType0EEvPKT_PKT0_S9_ifPKiSB_SB_iPKfiiiPfSE_PS4_PT2_iSD_SD_: ; @_Z39paged_attention_ll4mi_QKV_mfma16_kernelI14__hip_bfloat16hLN4vllm18Fp8KVCacheDataTypeE1ES0_Li16ELi64ELi256ELb0ELi13EL8MFMAType0EEvPKT_PKT0_S9_ifPKiSB_SB_iPKfiiiPfSE_PS4_PT2_iSD_SD_
; %bb.0:
	s_load_dwordx2 s[0:1], s[4:5], 0x30
	s_mov_b32 s24, s7
	s_mov_b64 s[10:11], 0
	s_waitcnt lgkmcnt(0)
	s_cmp_lg_u64 s[0:1], 0
	s_cselect_b64 s[2:3], -1, 0
	s_and_b64 vcc, exec, s[2:3]
	s_cbranch_vccz .LBB858_7
; %bb.1:
	s_add_i32 s12, s6, 1
	s_mov_b32 s13, 0
	s_lshl_b64 s[14:15], s[12:13], 2
	s_add_u32 s14, s0, s14
	s_mov_b32 s7, s13
	s_addc_u32 s15, s1, s15
	s_lshl_b64 s[12:13], s[6:7], 2
	s_add_u32 s12, s0, s12
	s_addc_u32 s13, s1, s13
	s_load_dword s9, s[14:15], 0x0
	s_load_dword s16, s[12:13], 0x0
	s_waitcnt lgkmcnt(0)
	s_sub_i32 s9, s9, s16
	s_cmp_eq_u32 s9, 1
	s_cselect_b64 s[12:13], -1, 0
	s_andn2_b64 vcc, exec, s[10:11]
	s_cbranch_vccnz .LBB858_3
.LBB858_2:
	s_mov_b32 s7, 0
	s_mov_b64 s[12:13], -1
.LBB858_3:
	s_andn2_b64 vcc, exec, s[12:13]
	s_cbranch_vccnz .LBB858_786
; %bb.4:
	s_load_dwordx2 s[12:13], s[4:5], 0x28
	s_lshl_b64 s[10:11], s[6:7], 2
	s_waitcnt lgkmcnt(0)
	s_add_u32 s12, s12, s10
	s_addc_u32 s13, s13, s11
	s_load_dword s33, s[12:13], 0x0
	s_lshl_b32 s20, s24, 8
	s_waitcnt lgkmcnt(0)
	s_cmp_ge_i32 s20, s33
	s_cbranch_scc1 .LBB858_786
; %bb.5:
	s_add_i32 s14, s33, 15
	s_load_dwordx2 s[12:13], s[4:5], 0x20
	s_load_dword s9, s[4:5], 0x38
	s_ashr_i32 s15, s14, 31
	v_and_b32_e32 v1, 0xcf, v0
	s_lshr_b32 s15, s15, 28
	v_add_u32_e32 v1, s20, v1
	s_add_i32 s14, s14, s15
	v_ashrrev_i32_e32 v2, 31, v1
	s_ashr_i32 s22, s14, 4
	v_lshrrev_b32_e32 v4, 28, v2
	s_add_i32 s22, s22, -1
	v_add_u32_e32 v2, v1, v4
	s_waitcnt lgkmcnt(0)
	s_mul_i32 s14, s6, s9
	s_mov_b32 s15, 0
	v_ashrrev_i32_e32 v2, 4, v2
	v_mov_b32_e32 v5, s22
	v_cmp_gt_i32_e32 vcc, s33, v1
	s_lshl_b64 s[14:15], s[14:15], 2
	v_cndmask_b32_e32 v2, v5, v2, vcc
	s_add_u32 s9, s12, s14
	v_ashrrev_i32_e32 v3, 31, v2
	s_addc_u32 s21, s13, s15
	v_lshlrev_b64 v[2:3], 2, v[2:3]
	v_mov_b32_e32 v7, s21
	v_add_co_u32_e32 v6, vcc, s9, v2
	v_or_b32_e32 v2, 16, v1
	v_addc_co_u32_e32 v7, vcc, v7, v3, vcc
	v_add_u32_e32 v3, v2, v4
	v_ashrrev_i32_e32 v3, 4, v3
	v_cmp_gt_i32_e32 vcc, s33, v2
	v_cndmask_b32_e32 v2, v5, v3, vcc
	v_ashrrev_i32_e32 v3, 31, v2
	v_lshlrev_b64 v[2:3], 2, v[2:3]
	v_mov_b32_e32 v9, s21
	v_add_co_u32_e32 v8, vcc, s9, v2
	v_or_b32_e32 v2, 32, v1
	v_addc_co_u32_e32 v9, vcc, v9, v3, vcc
	v_add_u32_e32 v3, v2, v4
	v_ashrrev_i32_e32 v3, 4, v3
	v_cmp_gt_i32_e32 vcc, s33, v2
	v_cndmask_b32_e32 v2, v5, v3, vcc
	v_ashrrev_i32_e32 v3, 31, v2
	;; [unrolled: 10-line block ×3, first 2 shown]
	v_lshlrev_b64 v[2:3], 2, v[2:3]
	v_mov_b32_e32 v1, s21
	v_add_co_u32_e32 v12, vcc, s9, v2
	v_addc_co_u32_e32 v13, vcc, v1, v3, vcc
	global_load_dword v4, v[6:7], off
	global_load_dword v5, v[8:9], off
	;; [unrolled: 1-line block ×4, first 2 shown]
	s_load_dwordx4 s[12:15], s[4:5], 0x8
	s_andn2_b64 vcc, exec, s[2:3]
	s_cbranch_vccnz .LBB858_8
; %bb.6:
	s_add_u32 s0, s0, s10
	s_addc_u32 s1, s1, s11
	s_load_dword s10, s[0:1], 0x0
	s_branch .LBB858_9
.LBB858_7:
	s_mov_b64 s[12:13], 0
	s_branch .LBB858_2
.LBB858_8:
	s_mov_b32 s10, s6
.LBB858_9:
	s_load_dwordx4 s[16:19], s[4:5], 0x48
	v_lshrrev_b32_e32 v49, 6, v0
	v_bfe_u32 v1, v0, 4, 2
	v_lshl_or_b32 v6, v49, 2, v1
	v_and_b32_e32 v48, 15, v0
	v_lshlrev_b32_e32 v7, 3, v48
	v_cmp_gt_u32_e32 vcc, 13, v6
	v_cmp_gt_u32_e64 s[0:1], 8, v48
	s_mul_i32 s25, s8, 13
	s_and_b64 s[26:27], s[0:1], vcc
	v_lshlrev_b32_e32 v46, 1, v7
	v_lshlrev_b32_e32 v47, 4, v0
	s_and_saveexec_b64 s[2:3], s[26:27]
	s_cbranch_execz .LBB858_11
; %bb.10:
	s_load_dwordx2 s[26:27], s[4:5], 0x0
	s_waitcnt lgkmcnt(0)
	s_ashr_i32 s11, s16, 31
	s_mul_hi_u32 s19, s10, s16
	s_mul_i32 s11, s10, s11
	s_add_i32 s11, s19, s11
	s_mul_i32 s10, s10, s16
	s_lshl_b64 s[10:11], s[10:11], 1
	v_add_lshl_u32 v8, v6, s25, 6
	s_add_u32 s10, s26, s10
	v_ashrrev_i32_e32 v9, 31, v8
	s_addc_u32 s11, s27, s11
	v_lshlrev_b64 v[8:9], 1, v[8:9]
	v_mov_b32_e32 v7, s11
	v_add_co_u32_e32 v8, vcc, s10, v8
	v_addc_co_u32_e32 v7, vcc, v7, v9, vcc
	v_add_co_u32_e32 v8, vcc, v8, v46
	v_addc_co_u32_e32 v9, vcc, 0, v7, vcc
	global_load_dwordx4 v[8:11], v[8:9], off
	v_lshlrev_b32_e32 v12, 8, v48
	v_lshlrev_b32_e32 v6, 5, v6
	v_and_b32_e32 v7, 16, v47
	v_and_b32_e32 v12, 0xe00, v12
	v_or3_b32 v6, v12, v6, v7
	s_waitcnt vmcnt(0)
	ds_write_b128 v6, v[8:11]
.LBB858_11:
	s_or_b64 exec, exec, s[2:3]
	v_and_b32_e32 v12, 48, v0
	v_or_b32_e32 v13, s20, v12
	v_ashrrev_i32_e32 v6, 4, v13
	v_mov_b32_e32 v14, s22
	v_cmp_gt_i32_e32 vcc, s33, v13
	v_cndmask_b32_e32 v6, v14, v6, vcc
	v_ashrrev_i32_e32 v7, 31, v6
	v_lshlrev_b64 v[6:7], 2, v[6:7]
	v_mov_b32_e32 v8, s21
	v_add_co_u32_e32 v6, vcc, s9, v6
	v_addc_co_u32_e32 v7, vcc, v8, v7, vcc
	v_or_b32_e32 v8, 64, v13
	v_ashrrev_i32_e32 v9, 4, v8
	v_cmp_gt_i32_e32 vcc, s33, v8
	v_cndmask_b32_e32 v8, v14, v9, vcc
	v_ashrrev_i32_e32 v9, 31, v8
	v_lshlrev_b64 v[8:9], 2, v[8:9]
	v_mov_b32_e32 v10, s21
	v_add_co_u32_e32 v8, vcc, s9, v8
	v_addc_co_u32_e32 v9, vcc, v10, v9, vcc
	v_or_b32_e32 v10, 0x80, v13
	v_ashrrev_i32_e32 v11, 4, v10
	v_cmp_gt_i32_e32 vcc, s33, v10
	v_cndmask_b32_e32 v10, v14, v11, vcc
	v_ashrrev_i32_e32 v11, 31, v10
	v_lshlrev_b64 v[10:11], 2, v[10:11]
	v_mov_b32_e32 v15, s21
	v_add_co_u32_e32 v10, vcc, s9, v10
	s_load_dwordx2 s[44:45], s[4:5], 0x94
	s_load_dwordx4 s[40:43], s[4:5], 0x80
	s_waitcnt lgkmcnt(0)
	s_barrier
	v_addc_co_u32_e32 v11, vcc, v15, v11, vcc
	global_load_dword v15, v[6:7], off
	global_load_dword v16, v[8:9], off
	;; [unrolled: 1-line block ×3, first 2 shown]
	v_or_b32_e32 v6, 0xc0, v13
	v_ashrrev_i32_e32 v7, 4, v6
	v_cmp_gt_i32_e32 vcc, s33, v6
	v_cndmask_b32_e32 v6, v14, v7, vcc
	v_ashrrev_i32_e32 v7, 31, v6
	v_lshlrev_b64 v[6:7], 2, v[6:7]
	v_mov_b32_e32 v8, s21
	v_add_co_u32_e32 v6, vcc, s9, v6
	v_addc_co_u32_e32 v7, vcc, v8, v7, vcc
	global_load_dword v20, v[6:7], off
	s_mul_i32 s8, s8, s18
	s_add_u32 s2, s12, s8
	s_addc_u32 s3, s13, 0
	v_and_b32_e32 v6, 0xf0, v47
	v_mov_b32_e32 v7, s3
	v_add_co_u32_e32 v6, vcc, s2, v6
	v_addc_co_u32_e32 v7, vcc, 0, v7, vcc
	v_lshlrev_b32_e32 v8, 4, v12
	v_add_co_u32_e32 v6, vcc, v6, v8
	v_addc_co_u32_e32 v7, vcc, 0, v7, vcc
	s_waitcnt vmcnt(7)
	v_mad_i64_i32 v[8:9], s[2:3], v4, s17, v[6:7]
	s_waitcnt vmcnt(6)
	v_mad_i64_i32 v[4:5], s[2:3], v5, s17, v[6:7]
	global_load_dwordx4 v[30:33], v[8:9], off
	global_load_dwordx4 v[38:41], v[4:5], off
	s_waitcnt vmcnt(7)
	v_mad_i64_i32 v[4:5], s[2:3], v2, s17, v[6:7]
	s_waitcnt vmcnt(6)
	v_mad_i64_i32 v[2:3], s[2:3], v3, s17, v[6:7]
	global_load_dwordx4 v[34:37], v[4:5], off
	global_load_dwordx4 v[22:25], v[2:3], off
	s_add_u32 s2, s14, s8
	v_lshlrev_b32_e32 v2, 4, v48
	s_addc_u32 s3, s15, 0
	v_lshl_or_b32 v2, v49, 8, v2
	v_mov_b32_e32 v3, s3
	v_add_co_u32_e32 v2, vcc, s2, v2
	v_addc_co_u32_e32 v3, vcc, 0, v3, vcc
	v_cmp_gt_u32_e32 vcc, 13, v48
	v_mov_b32_e32 v44, 0
	v_mov_b32_e32 v43, 0
	s_movk_i32 s8, 0x80
	s_waitcnt vmcnt(7)
	v_mad_i64_i32 v[4:5], s[2:3], v15, s17, v[2:3]
	s_waitcnt vmcnt(6)
	v_mad_i64_i32 v[6:7], s[2:3], v16, s17, v[2:3]
	;; [unrolled: 2-line block ×3, first 2 shown]
	global_load_dwordx4 v[14:17], v[4:5], off
	global_load_dwordx4 v[10:13], v[6:7], off
	s_waitcnt vmcnt(6)
	v_mad_i64_i32 v[20:21], s[2:3], v20, s17, v[2:3]
	global_load_dwordx4 v[6:9], v[18:19], off
	global_load_dwordx4 v[2:5], v[20:21], off
	v_add_u32_e32 v18, -13, v48
	v_cndmask_b32_e32 v18, v18, v48, vcc
	v_lshlrev_b32_e32 v18, 5, v18
	v_lshl_add_u32 v18, v1, 9, v18
	ds_read_b128 v[26:29], v18
	ds_read_b128 v[18:21], v18 offset:16
	s_load_dword s12, s[40:41], 0x0
	s_waitcnt vmcnt(7)
	v_cmp_ne_u16_sdwa s[10:11], v30, v44 src0_sel:BYTE_0 src1_sel:DWORD
	s_and_saveexec_b64 s[2:3], s[10:11]
	s_cbranch_execz .LBB858_17
; %bb.12:
	v_cmp_ne_u16_sdwa s[10:11], v30, s8 src0_sel:BYTE_0 src1_sel:DWORD
	v_mov_b32_e32 v43, 0xffff8000
	s_and_saveexec_b64 s[8:9], s[10:11]
	s_cbranch_execz .LBB858_16
; %bb.13:
	s_movk_i32 s10, 0x7f
	v_and_b32_e32 v42, 0x7f, v30
	v_cmp_ne_u32_e32 vcc, s10, v42
	v_mov_b32_e32 v43, 0x7f80
	s_and_saveexec_b64 s[10:11], vcc
	s_cbranch_execz .LBB858_15
; %bb.14:
	v_and_b32_e32 v43, 7, v30
	v_ffbh_u32_e32 v50, v43
	v_min_u32_e32 v52, 32, v50
	v_subrev_u32_e32 v50, 28, v52
	v_lshlrev_b64 v[50:51], v50, v[30:31]
	v_lshrrev_b32_e32 v45, 3, v42
	v_sub_u32_e32 v51, 29, v52
	v_and_b32_e32 v50, 7, v50
	v_cmp_gt_u32_e32 vcc, 8, v42
	v_cndmask_b32_e32 v42, v45, v51, vcc
	v_cndmask_b32_e32 v43, v43, v50, vcc
	v_lshlrev_b32_e32 v45, 24, v30
	v_bfrev_b32_e32 v50, 60
	v_lshlrev_b32_e32 v43, 20, v43
	v_and_b32_e32 v45, 0x80000000, v45
	v_lshl_add_u32 v42, v42, 23, v50
	v_or3_b32 v42, v45, v42, v43
	v_lshrrev_b32_e32 v43, 16, v42
.LBB858_15:
	s_or_b64 exec, exec, s[10:11]
.LBB858_16:
	s_or_b64 exec, exec, s[8:9]
.LBB858_17:
	s_or_b64 exec, exec, s[2:3]
	v_lshrrev_b16_e32 v42, 8, v30
	v_cmp_ne_u16_e32 vcc, 0, v42
	s_and_saveexec_b64 s[2:3], vcc
	s_cbranch_execz .LBB858_23
; %bb.18:
	s_movk_i32 s8, 0x80
	v_cmp_ne_u16_e32 vcc, s8, v42
	v_mov_b32_e32 v44, 0xffff8000
	s_and_saveexec_b64 s[8:9], vcc
	s_cbranch_execz .LBB858_22
; %bb.19:
	s_movk_i32 s10, 0x7f
	v_and_b32_e32 v45, 0x7f, v42
	v_cmp_ne_u32_e32 vcc, s10, v45
	v_mov_b32_e32 v44, 0x7f80
	s_and_saveexec_b64 s[10:11], vcc
	s_cbranch_execz .LBB858_21
; %bb.20:
	v_and_b32_e32 v44, 7, v42
	v_ffbh_u32_e32 v50, v44
	v_min_u32_e32 v53, 32, v50
	v_subrev_u32_e32 v50, 28, v53
	v_lshlrev_b64 v[50:51], v50, v[42:43]
	v_lshrrev_b32_e32 v52, 3, v45
	v_sub_u32_e32 v42, 29, v53
	v_and_b32_e32 v50, 7, v50
	v_cmp_gt_u32_e32 vcc, 8, v45
	v_cndmask_b32_e32 v42, v52, v42, vcc
	v_cndmask_b32_e32 v44, v44, v50, vcc
	v_lshlrev_b32_e32 v45, 16, v30
	v_bfrev_b32_e32 v50, 60
	v_lshlrev_b32_e32 v44, 20, v44
	v_and_b32_e32 v45, 0x80000000, v45
	v_lshl_add_u32 v42, v42, 23, v50
	v_or3_b32 v42, v45, v42, v44
	v_lshrrev_b32_e32 v44, 16, v42
.LBB858_21:
	s_or_b64 exec, exec, s[10:11]
.LBB858_22:
	s_or_b64 exec, exec, s[8:9]
.LBB858_23:
	s_or_b64 exec, exec, s[2:3]
	s_movk_i32 s2, 0xff
	v_and_b32_sdwa v51, v30, s2 dst_sel:DWORD dst_unused:UNUSED_PAD src0_sel:WORD_1 src1_sel:DWORD
	v_lshrrev_b32_e32 v42, 16, v30
	v_cmp_ne_u16_e32 vcc, 0, v51
	v_mov_b32_e32 v45, 0
	v_mov_b32_e32 v50, 0
	s_and_saveexec_b64 s[2:3], vcc
	s_cbranch_execz .LBB858_29
; %bb.24:
	s_movk_i32 s8, 0x80
	v_cmp_ne_u16_e32 vcc, s8, v51
	v_mov_b32_e32 v50, 0xffff8000
	s_and_saveexec_b64 s[8:9], vcc
	s_cbranch_execz .LBB858_28
; %bb.25:
	v_bfe_u32 v51, v30, 16, 7
	s_movk_i32 s10, 0x7f
	v_cmp_ne_u32_e32 vcc, s10, v51
	v_mov_b32_e32 v50, 0x7f80
	s_and_saveexec_b64 s[10:11], vcc
	s_cbranch_execz .LBB858_27
; %bb.26:
	v_and_b32_e32 v50, 7, v42
	v_ffbh_u32_e32 v52, v50
	v_min_u32_e32 v55, 32, v52
	v_subrev_u32_e32 v52, 28, v55
	v_lshlrev_b64 v[52:53], v52, v[42:43]
	v_lshrrev_b32_e32 v54, 3, v51
	v_sub_u32_e32 v42, 29, v55
	v_and_b32_e32 v52, 7, v52
	v_cmp_gt_u32_e32 vcc, 8, v51
	v_mov_b32_e32 v51, 24
	v_cndmask_b32_e32 v42, v54, v42, vcc
	v_cndmask_b32_e32 v50, v50, v52, vcc
	v_lshlrev_b32_sdwa v51, v51, v30 dst_sel:DWORD dst_unused:UNUSED_PAD src0_sel:DWORD src1_sel:WORD_1
	v_bfrev_b32_e32 v52, 60
	v_lshlrev_b32_e32 v50, 20, v50
	v_and_b32_e32 v51, 0x80000000, v51
	v_lshl_add_u32 v42, v42, 23, v52
	v_or3_b32 v42, v51, v42, v50
	v_lshrrev_b32_e32 v50, 16, v42
.LBB858_27:
	s_or_b64 exec, exec, s[10:11]
.LBB858_28:
	s_or_b64 exec, exec, s[8:9]
.LBB858_29:
	s_or_b64 exec, exec, s[2:3]
	s_mov_b32 s2, 0xffffff
	v_cmp_lt_u32_e32 vcc, s2, v30
	s_and_saveexec_b64 s[2:3], vcc
	s_cbranch_execz .LBB858_35
; %bb.30:
	v_lshrrev_b32_e32 v42, 24, v30
	s_movk_i32 s8, 0x80
	v_cmp_ne_u32_e32 vcc, s8, v42
	v_mov_b32_e32 v45, 0xffff8000
	s_and_saveexec_b64 s[8:9], vcc
	s_cbranch_execz .LBB858_34
; %bb.31:
	v_bfe_u32 v30, v30, 24, 7
	s_movk_i32 s10, 0x7f
	v_cmp_ne_u32_e32 vcc, s10, v30
	v_mov_b32_e32 v45, 0x7f80
	s_and_saveexec_b64 s[10:11], vcc
	s_cbranch_execz .LBB858_33
; %bb.32:
	v_and_b32_e32 v45, 7, v42
	v_ffbh_u32_e32 v52, v45
	v_min_u32_e32 v54, 32, v52
	v_subrev_u32_e32 v52, 28, v54
	v_lshlrev_b64 v[52:53], v52, v[42:43]
	v_lshrrev_b32_e32 v51, 3, v30
	v_sub_u32_e32 v53, 29, v54
	v_and_b32_e32 v52, 7, v52
	v_cmp_gt_u32_e32 vcc, 8, v30
	v_cndmask_b32_e32 v30, v51, v53, vcc
	v_cndmask_b32_e32 v45, v45, v52, vcc
	v_lshlrev_b32_e32 v42, 24, v42
	v_bfrev_b32_e32 v51, 60
	v_lshlrev_b32_e32 v45, 20, v45
	v_and_b32_e32 v42, 0x80000000, v42
	v_lshl_add_u32 v30, v30, 23, v51
	v_or3_b32 v30, v42, v30, v45
	v_lshrrev_b32_e32 v45, 16, v30
.LBB858_33:
	s_or_b64 exec, exec, s[10:11]
.LBB858_34:
	s_or_b64 exec, exec, s[8:9]
.LBB858_35:
	s_or_b64 exec, exec, s[2:3]
	v_mov_b32_e32 v42, 0
	v_cmp_ne_u16_sdwa s[8:9], v31, v42 src0_sel:BYTE_0 src1_sel:DWORD
	v_mov_b32_e32 v51, 0
	s_and_saveexec_b64 s[2:3], s[8:9]
	s_cbranch_execz .LBB858_41
; %bb.36:
	s_movk_i32 s8, 0x80
	v_cmp_ne_u16_sdwa s[10:11], v31, s8 src0_sel:BYTE_0 src1_sel:DWORD
	v_mov_b32_e32 v51, 0xffff8000
	s_and_saveexec_b64 s[8:9], s[10:11]
	s_cbranch_execz .LBB858_40
; %bb.37:
	s_movk_i32 s10, 0x7f
	v_and_b32_e32 v30, 0x7f, v31
	v_cmp_ne_u32_e32 vcc, s10, v30
	v_mov_b32_e32 v51, 0x7f80
	s_and_saveexec_b64 s[10:11], vcc
	s_cbranch_execz .LBB858_39
; %bb.38:
	v_and_b32_e32 v51, 7, v31
	v_ffbh_u32_e32 v53, v51
	v_min_u32_e32 v55, 32, v53
	v_mov_b32_e32 v52, v31
	v_subrev_u32_e32 v53, 28, v55
	v_lshlrev_b64 v[52:53], v53, v[52:53]
	v_lshrrev_b32_e32 v54, 3, v30
	v_sub_u32_e32 v53, 29, v55
	v_and_b32_e32 v52, 7, v52
	v_cmp_gt_u32_e32 vcc, 8, v30
	v_cndmask_b32_e32 v30, v54, v53, vcc
	v_cndmask_b32_e32 v51, v51, v52, vcc
	v_lshlrev_b32_e32 v52, 24, v31
	v_bfrev_b32_e32 v53, 60
	v_lshlrev_b32_e32 v51, 20, v51
	v_and_b32_e32 v52, 0x80000000, v52
	v_lshl_add_u32 v30, v30, 23, v53
	v_or3_b32 v30, v52, v30, v51
	v_lshrrev_b32_e32 v51, 16, v30
.LBB858_39:
	s_or_b64 exec, exec, s[10:11]
.LBB858_40:
	s_or_b64 exec, exec, s[8:9]
.LBB858_41:
	s_or_b64 exec, exec, s[2:3]
	v_lshrrev_b16_e32 v30, 8, v31
	v_cmp_ne_u16_e32 vcc, 0, v30
	s_and_saveexec_b64 s[2:3], vcc
	s_cbranch_execz .LBB858_47
; %bb.42:
	s_movk_i32 s8, 0x80
	v_cmp_ne_u16_e32 vcc, s8, v30
	v_mov_b32_e32 v42, 0xffff8000
	s_and_saveexec_b64 s[8:9], vcc
	s_cbranch_execz .LBB858_46
; %bb.43:
	s_movk_i32 s10, 0x7f
	v_and_b32_e32 v52, 0x7f, v30
	v_cmp_ne_u32_e32 vcc, s10, v52
	v_mov_b32_e32 v42, 0x7f80
	s_and_saveexec_b64 s[10:11], vcc
	s_cbranch_execz .LBB858_45
; %bb.44:
	v_and_b32_e32 v42, 7, v30
	v_ffbh_u32_e32 v54, v42
	v_min_u32_e32 v56, 32, v54
	v_subrev_u32_e32 v54, 28, v56
	v_lshlrev_b64 v[54:55], v54, v[30:31]
	v_lshrrev_b32_e32 v53, 3, v52
	v_sub_u32_e32 v30, 29, v56
	v_and_b32_e32 v54, 7, v54
	v_cmp_gt_u32_e32 vcc, 8, v52
	v_cndmask_b32_e32 v30, v53, v30, vcc
	v_cndmask_b32_e32 v42, v42, v54, vcc
	v_lshlrev_b32_e32 v52, 16, v31
	v_bfrev_b32_e32 v53, 60
	v_lshlrev_b32_e32 v42, 20, v42
	v_and_b32_e32 v52, 0x80000000, v52
	v_lshl_add_u32 v30, v30, 23, v53
	v_or3_b32 v30, v52, v30, v42
	v_lshrrev_b32_e32 v42, 16, v30
.LBB858_45:
	s_or_b64 exec, exec, s[10:11]
.LBB858_46:
	s_or_b64 exec, exec, s[8:9]
.LBB858_47:
	s_or_b64 exec, exec, s[2:3]
	s_movk_i32 s2, 0xff
	v_and_b32_sdwa v54, v31, s2 dst_sel:DWORD dst_unused:UNUSED_PAD src0_sel:WORD_1 src1_sel:DWORD
	v_lshrrev_b32_e32 v30, 16, v31
	v_cmp_ne_u16_e32 vcc, 0, v54
	v_mov_b32_e32 v52, 0
	v_mov_b32_e32 v53, 0
	s_and_saveexec_b64 s[2:3], vcc
	s_cbranch_execz .LBB858_53
; %bb.48:
	s_movk_i32 s8, 0x80
	v_cmp_ne_u16_e32 vcc, s8, v54
	v_mov_b32_e32 v53, 0xffff8000
	s_and_saveexec_b64 s[8:9], vcc
	s_cbranch_execz .LBB858_52
; %bb.49:
	v_bfe_u32 v54, v31, 16, 7
	s_movk_i32 s10, 0x7f
	v_cmp_ne_u32_e32 vcc, s10, v54
	v_mov_b32_e32 v53, 0x7f80
	s_and_saveexec_b64 s[10:11], vcc
	s_cbranch_execz .LBB858_51
; %bb.50:
	v_and_b32_e32 v53, 7, v30
	v_ffbh_u32_e32 v56, v53
	v_min_u32_e32 v58, 32, v56
	v_subrev_u32_e32 v56, 28, v58
	v_lshlrev_b64 v[56:57], v56, v[30:31]
	v_lshrrev_b32_e32 v55, 3, v54
	v_sub_u32_e32 v30, 29, v58
	v_and_b32_e32 v56, 7, v56
	v_cmp_gt_u32_e32 vcc, 8, v54
	v_mov_b32_e32 v54, 24
	v_cndmask_b32_e32 v30, v55, v30, vcc
	v_cndmask_b32_e32 v53, v53, v56, vcc
	v_lshlrev_b32_sdwa v54, v54, v31 dst_sel:DWORD dst_unused:UNUSED_PAD src0_sel:DWORD src1_sel:WORD_1
	v_bfrev_b32_e32 v55, 60
	v_lshlrev_b32_e32 v53, 20, v53
	v_and_b32_e32 v54, 0x80000000, v54
	v_lshl_add_u32 v30, v30, 23, v55
	v_or3_b32 v30, v54, v30, v53
	v_lshrrev_b32_e32 v53, 16, v30
.LBB858_51:
	s_or_b64 exec, exec, s[10:11]
.LBB858_52:
	s_or_b64 exec, exec, s[8:9]
.LBB858_53:
	s_or_b64 exec, exec, s[2:3]
	s_mov_b32 s2, 0xffffff
	v_cmp_lt_u32_e32 vcc, s2, v31
	s_and_saveexec_b64 s[2:3], vcc
	s_cbranch_execz .LBB858_59
; %bb.54:
	v_lshrrev_b32_e32 v30, 24, v31
	s_movk_i32 s8, 0x80
	v_cmp_ne_u32_e32 vcc, s8, v30
	v_mov_b32_e32 v52, 0xffff8000
	s_and_saveexec_b64 s[8:9], vcc
	s_cbranch_execz .LBB858_58
; %bb.55:
	v_bfe_u32 v31, v31, 24, 7
	s_movk_i32 s10, 0x7f
	v_cmp_ne_u32_e32 vcc, s10, v31
	v_mov_b32_e32 v52, 0x7f80
	s_and_saveexec_b64 s[10:11], vcc
	s_cbranch_execz .LBB858_57
; %bb.56:
	v_and_b32_e32 v52, 7, v30
	v_ffbh_u32_e32 v54, v52
	v_min_u32_e32 v57, 32, v54
	v_subrev_u32_e32 v54, 28, v57
	v_lshlrev_b64 v[54:55], v54, v[30:31]
	v_lshrrev_b32_e32 v56, 3, v31
	v_sub_u32_e32 v55, 29, v57
	v_and_b32_e32 v54, 7, v54
	v_cmp_gt_u32_e32 vcc, 8, v31
	v_cndmask_b32_e32 v31, v56, v55, vcc
	v_cndmask_b32_e32 v52, v52, v54, vcc
	v_lshlrev_b32_e32 v30, 24, v30
	v_bfrev_b32_e32 v54, 60
	v_lshlrev_b32_e32 v52, 20, v52
	v_and_b32_e32 v30, 0x80000000, v30
	v_lshl_add_u32 v31, v31, 23, v54
	v_or3_b32 v30, v30, v31, v52
	v_lshrrev_b32_e32 v52, 16, v30
.LBB858_57:
	s_or_b64 exec, exec, s[10:11]
.LBB858_58:
	s_or_b64 exec, exec, s[8:9]
.LBB858_59:
	s_or_b64 exec, exec, s[2:3]
	s_mov_b32 s2, 0x5040100
	v_perm_b32 v31, v45, v50, s2
	v_perm_b32 v30, v44, v43, s2
	;; [unrolled: 1-line block ×4, first 2 shown]
	v_mov_b32_e32 v50, 0
	s_waitcnt lgkmcnt(0)
	v_mfma_f32_16x16x16bf16_1k v[54:57], v[30:31], v[26:27], 0
	v_mov_b32_e32 v31, 0
	v_cmp_ne_u16_sdwa s[8:9], v32, v31 src0_sel:BYTE_0 src1_sel:DWORD
	v_mfma_f32_16x16x16bf16_1k v[42:45], v[42:43], v[28:29], v[54:57]
	s_and_saveexec_b64 s[2:3], s[8:9]
	s_cbranch_execz .LBB858_65
; %bb.60:
	s_movk_i32 s8, 0x80
	v_cmp_ne_u16_sdwa s[10:11], v32, s8 src0_sel:BYTE_0 src1_sel:DWORD
	v_mov_b32_e32 v50, 0xffff8000
	s_and_saveexec_b64 s[8:9], s[10:11]
	s_cbranch_execz .LBB858_64
; %bb.61:
	s_movk_i32 s10, 0x7f
	v_and_b32_e32 v30, 0x7f, v32
	v_cmp_ne_u32_e32 vcc, s10, v30
	v_mov_b32_e32 v50, 0x7f80
	s_and_saveexec_b64 s[10:11], vcc
	s_cbranch_execz .LBB858_63
; %bb.62:
	v_and_b32_e32 v52, 7, v32
	v_ffbh_u32_e32 v50, v52
	v_min_u32_e32 v54, 32, v50
	v_subrev_u32_e32 v50, 28, v54
	v_lshlrev_b64 v[50:51], v50, v[32:33]
	v_lshrrev_b32_e32 v53, 3, v30
	v_sub_u32_e32 v51, 29, v54
	v_and_b32_e32 v50, 7, v50
	v_cmp_gt_u32_e32 vcc, 8, v30
	v_cndmask_b32_e32 v30, v53, v51, vcc
	v_cndmask_b32_e32 v50, v52, v50, vcc
	v_lshlrev_b32_e32 v51, 24, v32
	v_bfrev_b32_e32 v52, 60
	v_lshlrev_b32_e32 v50, 20, v50
	v_and_b32_e32 v51, 0x80000000, v51
	v_lshl_add_u32 v30, v30, 23, v52
	v_or3_b32 v30, v51, v30, v50
	v_lshrrev_b32_e32 v50, 16, v30
.LBB858_63:
	s_or_b64 exec, exec, s[10:11]
.LBB858_64:
	s_or_b64 exec, exec, s[8:9]
.LBB858_65:
	s_or_b64 exec, exec, s[2:3]
	v_lshrrev_b16_e32 v30, 8, v32
	v_cmp_ne_u16_e32 vcc, 0, v30
	s_and_saveexec_b64 s[2:3], vcc
	s_cbranch_execz .LBB858_71
; %bb.66:
	s_movk_i32 s8, 0x80
	v_cmp_ne_u16_e32 vcc, s8, v30
	v_mov_b32_e32 v31, 0xffff8000
	s_and_saveexec_b64 s[8:9], vcc
	s_cbranch_execz .LBB858_70
; %bb.67:
	s_movk_i32 s10, 0x7f
	v_and_b32_e32 v51, 0x7f, v30
	v_cmp_ne_u32_e32 vcc, s10, v51
	v_mov_b32_e32 v31, 0x7f80
	s_and_saveexec_b64 s[10:11], vcc
	s_cbranch_execz .LBB858_69
; %bb.68:
	v_and_b32_e32 v52, 7, v30
	v_ffbh_u32_e32 v31, v52
	v_min_u32_e32 v54, 32, v31
	v_subrev_u32_e32 v31, 28, v54
	v_lshlrev_b64 v[30:31], v31, v[30:31]
	v_lshrrev_b32_e32 v53, 3, v51
	v_sub_u32_e32 v31, 29, v54
	v_and_b32_e32 v30, 7, v30
	v_cmp_gt_u32_e32 vcc, 8, v51
	v_cndmask_b32_e32 v31, v53, v31, vcc
	v_cndmask_b32_e32 v30, v52, v30, vcc
	v_lshlrev_b32_e32 v51, 16, v32
	v_bfrev_b32_e32 v52, 60
	v_lshlrev_b32_e32 v30, 20, v30
	v_and_b32_e32 v51, 0x80000000, v51
	v_lshl_add_u32 v31, v31, 23, v52
	v_or3_b32 v30, v51, v31, v30
	v_lshrrev_b32_e32 v31, 16, v30
.LBB858_69:
	s_or_b64 exec, exec, s[10:11]
.LBB858_70:
	s_or_b64 exec, exec, s[8:9]
.LBB858_71:
	s_or_b64 exec, exec, s[2:3]
	s_movk_i32 s2, 0xff
	v_and_b32_sdwa v53, v32, s2 dst_sel:DWORD dst_unused:UNUSED_PAD src0_sel:WORD_1 src1_sel:DWORD
	v_lshrrev_b32_e32 v30, 16, v32
	v_cmp_ne_u16_e32 vcc, 0, v53
	v_mov_b32_e32 v51, 0
	v_mov_b32_e32 v52, 0
	s_and_saveexec_b64 s[2:3], vcc
	s_cbranch_execz .LBB858_77
; %bb.72:
	s_movk_i32 s8, 0x80
	v_cmp_ne_u16_e32 vcc, s8, v53
	v_mov_b32_e32 v52, 0xffff8000
	s_and_saveexec_b64 s[8:9], vcc
	s_cbranch_execz .LBB858_76
; %bb.73:
	v_bfe_u32 v53, v32, 16, 7
	s_movk_i32 s10, 0x7f
	v_cmp_ne_u32_e32 vcc, s10, v53
	v_mov_b32_e32 v52, 0x7f80
	s_and_saveexec_b64 s[10:11], vcc
	s_cbranch_execz .LBB858_75
; %bb.74:
	v_and_b32_e32 v52, 7, v30
	v_ffbh_u32_e32 v54, v52
	v_min_u32_e32 v57, 32, v54
	v_subrev_u32_e32 v54, 28, v57
	v_lshlrev_b64 v[54:55], v54, v[30:31]
	v_lshrrev_b32_e32 v56, 3, v53
	v_sub_u32_e32 v30, 29, v57
	v_and_b32_e32 v54, 7, v54
	v_cmp_gt_u32_e32 vcc, 8, v53
	v_mov_b32_e32 v53, 24
	v_cndmask_b32_e32 v30, v56, v30, vcc
	v_cndmask_b32_e32 v52, v52, v54, vcc
	v_lshlrev_b32_sdwa v53, v53, v32 dst_sel:DWORD dst_unused:UNUSED_PAD src0_sel:DWORD src1_sel:WORD_1
	v_bfrev_b32_e32 v54, 60
	v_lshlrev_b32_e32 v52, 20, v52
	v_and_b32_e32 v53, 0x80000000, v53
	v_lshl_add_u32 v30, v30, 23, v54
	v_or3_b32 v30, v53, v30, v52
	v_lshrrev_b32_e32 v52, 16, v30
.LBB858_75:
	s_or_b64 exec, exec, s[10:11]
.LBB858_76:
	s_or_b64 exec, exec, s[8:9]
.LBB858_77:
	s_or_b64 exec, exec, s[2:3]
	s_mov_b32 s2, 0xffffff
	v_cmp_lt_u32_e32 vcc, s2, v32
	s_and_saveexec_b64 s[2:3], vcc
	s_cbranch_execz .LBB858_83
; %bb.78:
	v_lshrrev_b32_e32 v30, 24, v32
	s_movk_i32 s8, 0x80
	v_cmp_ne_u32_e32 vcc, s8, v30
	v_mov_b32_e32 v51, 0xffff8000
	s_and_saveexec_b64 s[8:9], vcc
	s_cbranch_execz .LBB858_82
; %bb.79:
	v_bfe_u32 v32, v32, 24, 7
	s_movk_i32 s10, 0x7f
	v_cmp_ne_u32_e32 vcc, s10, v32
	v_mov_b32_e32 v51, 0x7f80
	s_and_saveexec_b64 s[10:11], vcc
	s_cbranch_execz .LBB858_81
; %bb.80:
	v_and_b32_e32 v51, 7, v30
	v_ffbh_u32_e32 v54, v51
	v_min_u32_e32 v56, 32, v54
	v_subrev_u32_e32 v54, 28, v56
	v_lshlrev_b64 v[54:55], v54, v[30:31]
	v_lshrrev_b32_e32 v53, 3, v32
	v_sub_u32_e32 v55, 29, v56
	v_and_b32_e32 v54, 7, v54
	v_cmp_gt_u32_e32 vcc, 8, v32
	v_cndmask_b32_e32 v32, v53, v55, vcc
	v_cndmask_b32_e32 v51, v51, v54, vcc
	v_lshlrev_b32_e32 v30, 24, v30
	v_bfrev_b32_e32 v53, 60
	v_lshlrev_b32_e32 v51, 20, v51
	v_and_b32_e32 v30, 0x80000000, v30
	v_lshl_add_u32 v32, v32, 23, v53
	v_or3_b32 v30, v30, v32, v51
	v_lshrrev_b32_e32 v51, 16, v30
.LBB858_81:
	s_or_b64 exec, exec, s[10:11]
.LBB858_82:
	s_or_b64 exec, exec, s[8:9]
.LBB858_83:
	s_or_b64 exec, exec, s[2:3]
	v_mov_b32_e32 v32, 0
	v_cmp_ne_u16_sdwa s[8:9], v33, v32 src0_sel:BYTE_0 src1_sel:DWORD
	v_mov_b32_e32 v53, 0
	s_and_saveexec_b64 s[2:3], s[8:9]
	s_cbranch_execz .LBB858_89
; %bb.84:
	s_movk_i32 s8, 0x80
	v_cmp_ne_u16_sdwa s[10:11], v33, s8 src0_sel:BYTE_0 src1_sel:DWORD
	v_mov_b32_e32 v53, 0xffff8000
	s_and_saveexec_b64 s[8:9], s[10:11]
	s_cbranch_execz .LBB858_88
; %bb.85:
	s_movk_i32 s10, 0x7f
	v_and_b32_e32 v30, 0x7f, v33
	v_cmp_ne_u32_e32 vcc, s10, v30
	v_mov_b32_e32 v53, 0x7f80
	s_and_saveexec_b64 s[10:11], vcc
	s_cbranch_execz .LBB858_87
; %bb.86:
	v_and_b32_e32 v53, 7, v33
	v_ffbh_u32_e32 v55, v53
	v_min_u32_e32 v57, 32, v55
	v_mov_b32_e32 v54, v33
	v_subrev_u32_e32 v55, 28, v57
	v_lshlrev_b64 v[54:55], v55, v[54:55]
	v_lshrrev_b32_e32 v56, 3, v30
	v_sub_u32_e32 v55, 29, v57
	v_and_b32_e32 v54, 7, v54
	v_cmp_gt_u32_e32 vcc, 8, v30
	v_cndmask_b32_e32 v30, v56, v55, vcc
	v_cndmask_b32_e32 v53, v53, v54, vcc
	v_lshlrev_b32_e32 v54, 24, v33
	v_bfrev_b32_e32 v55, 60
	v_lshlrev_b32_e32 v53, 20, v53
	v_and_b32_e32 v54, 0x80000000, v54
	v_lshl_add_u32 v30, v30, 23, v55
	v_or3_b32 v30, v54, v30, v53
	v_lshrrev_b32_e32 v53, 16, v30
.LBB858_87:
	s_or_b64 exec, exec, s[10:11]
.LBB858_88:
	s_or_b64 exec, exec, s[8:9]
.LBB858_89:
	s_or_b64 exec, exec, s[2:3]
	v_lshrrev_b16_e32 v30, 8, v33
	v_cmp_ne_u16_e32 vcc, 0, v30
	s_and_saveexec_b64 s[2:3], vcc
	s_cbranch_execz .LBB858_95
; %bb.90:
	s_movk_i32 s8, 0x80
	v_cmp_ne_u16_e32 vcc, s8, v30
	v_mov_b32_e32 v32, 0xffff8000
	s_and_saveexec_b64 s[8:9], vcc
	s_cbranch_execz .LBB858_94
; %bb.91:
	s_movk_i32 s10, 0x7f
	v_and_b32_e32 v54, 0x7f, v30
	v_cmp_ne_u32_e32 vcc, s10, v54
	v_mov_b32_e32 v32, 0x7f80
	s_and_saveexec_b64 s[10:11], vcc
	s_cbranch_execz .LBB858_93
; %bb.92:
	v_and_b32_e32 v32, 7, v30
	v_ffbh_u32_e32 v56, v32
	v_min_u32_e32 v58, 32, v56
	v_subrev_u32_e32 v56, 28, v58
	v_lshlrev_b64 v[56:57], v56, v[30:31]
	v_lshrrev_b32_e32 v55, 3, v54
	v_sub_u32_e32 v30, 29, v58
	v_and_b32_e32 v56, 7, v56
	v_cmp_gt_u32_e32 vcc, 8, v54
	v_cndmask_b32_e32 v30, v55, v30, vcc
	v_cndmask_b32_e32 v32, v32, v56, vcc
	v_lshlrev_b32_e32 v54, 16, v33
	v_bfrev_b32_e32 v55, 60
	v_lshlrev_b32_e32 v32, 20, v32
	v_and_b32_e32 v54, 0x80000000, v54
	v_lshl_add_u32 v30, v30, 23, v55
	v_or3_b32 v30, v54, v30, v32
	v_lshrrev_b32_e32 v32, 16, v30
.LBB858_93:
	s_or_b64 exec, exec, s[10:11]
.LBB858_94:
	s_or_b64 exec, exec, s[8:9]
.LBB858_95:
	s_or_b64 exec, exec, s[2:3]
	s_movk_i32 s2, 0xff
	v_and_b32_sdwa v56, v33, s2 dst_sel:DWORD dst_unused:UNUSED_PAD src0_sel:WORD_1 src1_sel:DWORD
	v_lshrrev_b32_e32 v30, 16, v33
	v_cmp_ne_u16_e32 vcc, 0, v56
	v_mov_b32_e32 v54, 0
	v_mov_b32_e32 v55, 0
	s_and_saveexec_b64 s[2:3], vcc
	s_cbranch_execz .LBB858_101
; %bb.96:
	s_movk_i32 s8, 0x80
	v_cmp_ne_u16_e32 vcc, s8, v56
	v_mov_b32_e32 v55, 0xffff8000
	s_and_saveexec_b64 s[8:9], vcc
	s_cbranch_execz .LBB858_100
; %bb.97:
	v_bfe_u32 v56, v33, 16, 7
	s_movk_i32 s10, 0x7f
	v_cmp_ne_u32_e32 vcc, s10, v56
	v_mov_b32_e32 v55, 0x7f80
	s_and_saveexec_b64 s[10:11], vcc
	s_cbranch_execz .LBB858_99
; %bb.98:
	v_and_b32_e32 v55, 7, v30
	v_ffbh_u32_e32 v58, v55
	v_min_u32_e32 v60, 32, v58
	v_subrev_u32_e32 v58, 28, v60
	v_lshlrev_b64 v[58:59], v58, v[30:31]
	v_lshrrev_b32_e32 v57, 3, v56
	v_sub_u32_e32 v30, 29, v60
	v_and_b32_e32 v58, 7, v58
	v_cmp_gt_u32_e32 vcc, 8, v56
	v_mov_b32_e32 v56, 24
	v_cndmask_b32_e32 v30, v57, v30, vcc
	v_cndmask_b32_e32 v55, v55, v58, vcc
	v_lshlrev_b32_sdwa v56, v56, v33 dst_sel:DWORD dst_unused:UNUSED_PAD src0_sel:DWORD src1_sel:WORD_1
	v_bfrev_b32_e32 v57, 60
	v_lshlrev_b32_e32 v55, 20, v55
	v_and_b32_e32 v56, 0x80000000, v56
	v_lshl_add_u32 v30, v30, 23, v57
	v_or3_b32 v30, v56, v30, v55
	v_lshrrev_b32_e32 v55, 16, v30
.LBB858_99:
	s_or_b64 exec, exec, s[10:11]
.LBB858_100:
	s_or_b64 exec, exec, s[8:9]
.LBB858_101:
	s_or_b64 exec, exec, s[2:3]
	s_mov_b32 s2, 0xffffff
	v_cmp_lt_u32_e32 vcc, s2, v33
	s_and_saveexec_b64 s[2:3], vcc
	s_cbranch_execz .LBB858_107
; %bb.102:
	v_lshrrev_b32_e32 v30, 24, v33
	s_movk_i32 s8, 0x80
	v_cmp_ne_u32_e32 vcc, s8, v30
	v_mov_b32_e32 v54, 0xffff8000
	s_and_saveexec_b64 s[8:9], vcc
	s_cbranch_execz .LBB858_106
; %bb.103:
	v_bfe_u32 v33, v33, 24, 7
	s_movk_i32 s10, 0x7f
	v_cmp_ne_u32_e32 vcc, s10, v33
	v_mov_b32_e32 v54, 0x7f80
	s_and_saveexec_b64 s[10:11], vcc
	s_cbranch_execz .LBB858_105
; %bb.104:
	v_and_b32_e32 v54, 7, v30
	v_ffbh_u32_e32 v56, v54
	v_min_u32_e32 v59, 32, v56
	v_subrev_u32_e32 v56, 28, v59
	v_lshlrev_b64 v[56:57], v56, v[30:31]
	v_lshrrev_b32_e32 v58, 3, v33
	v_sub_u32_e32 v57, 29, v59
	v_and_b32_e32 v56, 7, v56
	v_cmp_gt_u32_e32 vcc, 8, v33
	v_cndmask_b32_e32 v33, v58, v57, vcc
	v_cndmask_b32_e32 v54, v54, v56, vcc
	v_lshlrev_b32_e32 v30, 24, v30
	v_bfrev_b32_e32 v56, 60
	v_lshlrev_b32_e32 v54, 20, v54
	v_and_b32_e32 v30, 0x80000000, v30
	v_lshl_add_u32 v33, v33, 23, v56
	v_or3_b32 v30, v30, v33, v54
	v_lshrrev_b32_e32 v54, 16, v30
.LBB858_105:
	s_or_b64 exec, exec, s[10:11]
.LBB858_106:
	s_or_b64 exec, exec, s[8:9]
.LBB858_107:
	s_or_b64 exec, exec, s[2:3]
	s_mov_b32 s2, 0x5040100
	v_perm_b32 v51, v51, v52, s2
	v_perm_b32 v50, v31, v50, s2
	;; [unrolled: 1-line block ×4, first 2 shown]
	v_mfma_f32_16x16x16bf16_1k v[56:59], v[50:51], v[18:19], v[42:45]
	s_nop 6
	v_mov_b32_e32 v43, 0
	s_waitcnt vmcnt(6)
	v_cmp_ne_u16_sdwa s[8:9], v38, v43 src0_sel:BYTE_0 src1_sel:DWORD
	v_mfma_f32_16x16x16bf16_1k v[30:33], v[30:31], v[20:21], v[56:59]
	v_mov_b32_e32 v44, 0
	s_and_saveexec_b64 s[2:3], s[8:9]
	s_cbranch_execz .LBB858_113
; %bb.108:
	s_movk_i32 s8, 0x80
	v_cmp_ne_u16_sdwa s[10:11], v38, s8 src0_sel:BYTE_0 src1_sel:DWORD
	v_mov_b32_e32 v44, 0xffff8000
	s_and_saveexec_b64 s[8:9], s[10:11]
	s_cbranch_execz .LBB858_112
; %bb.109:
	s_movk_i32 s10, 0x7f
	v_and_b32_e32 v42, 0x7f, v38
	v_cmp_ne_u32_e32 vcc, s10, v42
	v_mov_b32_e32 v44, 0x7f80
	s_and_saveexec_b64 s[10:11], vcc
	s_cbranch_execz .LBB858_111
; %bb.110:
	v_and_b32_e32 v50, 7, v38
	v_ffbh_u32_e32 v44, v50
	v_min_u32_e32 v52, 32, v44
	v_subrev_u32_e32 v44, 28, v52
	v_lshlrev_b64 v[44:45], v44, v[38:39]
	v_lshrrev_b32_e32 v51, 3, v42
	v_sub_u32_e32 v45, 29, v52
	v_and_b32_e32 v44, 7, v44
	v_cmp_gt_u32_e32 vcc, 8, v42
	v_cndmask_b32_e32 v42, v51, v45, vcc
	v_cndmask_b32_e32 v44, v50, v44, vcc
	v_lshlrev_b32_e32 v45, 24, v38
	v_bfrev_b32_e32 v50, 60
	v_lshlrev_b32_e32 v44, 20, v44
	v_and_b32_e32 v45, 0x80000000, v45
	v_lshl_add_u32 v42, v42, 23, v50
	v_or3_b32 v42, v45, v42, v44
	v_lshrrev_b32_e32 v44, 16, v42
.LBB858_111:
	s_or_b64 exec, exec, s[10:11]
.LBB858_112:
	s_or_b64 exec, exec, s[8:9]
.LBB858_113:
	s_or_b64 exec, exec, s[2:3]
	v_lshrrev_b16_e32 v42, 8, v38
	v_cmp_ne_u16_e32 vcc, 0, v42
	s_and_saveexec_b64 s[2:3], vcc
	s_cbranch_execz .LBB858_119
; %bb.114:
	s_movk_i32 s8, 0x80
	v_cmp_ne_u16_e32 vcc, s8, v42
	v_mov_b32_e32 v43, 0xffff8000
	s_and_saveexec_b64 s[8:9], vcc
	s_cbranch_execz .LBB858_118
; %bb.115:
	s_movk_i32 s10, 0x7f
	v_and_b32_e32 v45, 0x7f, v42
	v_cmp_ne_u32_e32 vcc, s10, v45
	v_mov_b32_e32 v43, 0x7f80
	s_and_saveexec_b64 s[10:11], vcc
	s_cbranch_execz .LBB858_117
; %bb.116:
	v_and_b32_e32 v50, 7, v42
	v_ffbh_u32_e32 v43, v50
	v_min_u32_e32 v52, 32, v43
	v_subrev_u32_e32 v43, 28, v52
	v_lshlrev_b64 v[42:43], v43, v[42:43]
	v_lshrrev_b32_e32 v51, 3, v45
	v_sub_u32_e32 v43, 29, v52
	v_and_b32_e32 v42, 7, v42
	v_cmp_gt_u32_e32 vcc, 8, v45
	v_cndmask_b32_e32 v43, v51, v43, vcc
	v_cndmask_b32_e32 v42, v50, v42, vcc
	v_lshlrev_b32_e32 v45, 16, v38
	v_bfrev_b32_e32 v50, 60
	v_lshlrev_b32_e32 v42, 20, v42
	v_and_b32_e32 v45, 0x80000000, v45
	v_lshl_add_u32 v43, v43, 23, v50
	v_or3_b32 v42, v45, v43, v42
	v_lshrrev_b32_e32 v43, 16, v42
.LBB858_117:
	s_or_b64 exec, exec, s[10:11]
.LBB858_118:
	s_or_b64 exec, exec, s[8:9]
.LBB858_119:
	s_or_b64 exec, exec, s[2:3]
	s_movk_i32 s2, 0xff
	v_and_b32_sdwa v51, v38, s2 dst_sel:DWORD dst_unused:UNUSED_PAD src0_sel:WORD_1 src1_sel:DWORD
	v_lshrrev_b32_e32 v42, 16, v38
	v_cmp_ne_u16_e32 vcc, 0, v51
	v_mov_b32_e32 v45, 0
	v_mov_b32_e32 v50, 0
	s_and_saveexec_b64 s[2:3], vcc
	s_cbranch_execz .LBB858_125
; %bb.120:
	s_movk_i32 s8, 0x80
	v_cmp_ne_u16_e32 vcc, s8, v51
	v_mov_b32_e32 v50, 0xffff8000
	s_and_saveexec_b64 s[8:9], vcc
	s_cbranch_execz .LBB858_124
; %bb.121:
	v_bfe_u32 v51, v38, 16, 7
	s_movk_i32 s10, 0x7f
	v_cmp_ne_u32_e32 vcc, s10, v51
	v_mov_b32_e32 v50, 0x7f80
	s_and_saveexec_b64 s[10:11], vcc
	s_cbranch_execz .LBB858_123
; %bb.122:
	v_and_b32_e32 v50, 7, v42
	v_ffbh_u32_e32 v52, v50
	v_min_u32_e32 v55, 32, v52
	v_subrev_u32_e32 v52, 28, v55
	v_lshlrev_b64 v[52:53], v52, v[42:43]
	v_lshrrev_b32_e32 v54, 3, v51
	v_sub_u32_e32 v42, 29, v55
	v_and_b32_e32 v52, 7, v52
	v_cmp_gt_u32_e32 vcc, 8, v51
	v_mov_b32_e32 v51, 24
	v_cndmask_b32_e32 v42, v54, v42, vcc
	v_cndmask_b32_e32 v50, v50, v52, vcc
	v_lshlrev_b32_sdwa v51, v51, v38 dst_sel:DWORD dst_unused:UNUSED_PAD src0_sel:DWORD src1_sel:WORD_1
	v_bfrev_b32_e32 v52, 60
	v_lshlrev_b32_e32 v50, 20, v50
	v_and_b32_e32 v51, 0x80000000, v51
	v_lshl_add_u32 v42, v42, 23, v52
	v_or3_b32 v42, v51, v42, v50
	v_lshrrev_b32_e32 v50, 16, v42
.LBB858_123:
	s_or_b64 exec, exec, s[10:11]
.LBB858_124:
	s_or_b64 exec, exec, s[8:9]
.LBB858_125:
	s_or_b64 exec, exec, s[2:3]
	s_mov_b32 s2, 0xffffff
	v_cmp_lt_u32_e32 vcc, s2, v38
	s_and_saveexec_b64 s[2:3], vcc
	s_cbranch_execz .LBB858_131
; %bb.126:
	v_lshrrev_b32_e32 v42, 24, v38
	s_movk_i32 s8, 0x80
	v_cmp_ne_u32_e32 vcc, s8, v42
	v_mov_b32_e32 v45, 0xffff8000
	s_and_saveexec_b64 s[8:9], vcc
	s_cbranch_execz .LBB858_130
; %bb.127:
	v_bfe_u32 v38, v38, 24, 7
	s_movk_i32 s10, 0x7f
	v_cmp_ne_u32_e32 vcc, s10, v38
	v_mov_b32_e32 v45, 0x7f80
	s_and_saveexec_b64 s[10:11], vcc
	s_cbranch_execz .LBB858_129
; %bb.128:
	v_and_b32_e32 v45, 7, v42
	v_ffbh_u32_e32 v52, v45
	v_min_u32_e32 v54, 32, v52
	v_subrev_u32_e32 v52, 28, v54
	v_lshlrev_b64 v[52:53], v52, v[42:43]
	v_lshrrev_b32_e32 v51, 3, v38
	v_sub_u32_e32 v53, 29, v54
	v_and_b32_e32 v52, 7, v52
	v_cmp_gt_u32_e32 vcc, 8, v38
	v_cndmask_b32_e32 v38, v51, v53, vcc
	v_cndmask_b32_e32 v45, v45, v52, vcc
	v_lshlrev_b32_e32 v42, 24, v42
	v_bfrev_b32_e32 v51, 60
	v_lshlrev_b32_e32 v45, 20, v45
	v_and_b32_e32 v42, 0x80000000, v42
	v_lshl_add_u32 v38, v38, 23, v51
	v_or3_b32 v38, v42, v38, v45
	v_lshrrev_b32_e32 v45, 16, v38
.LBB858_129:
	s_or_b64 exec, exec, s[10:11]
.LBB858_130:
	s_or_b64 exec, exec, s[8:9]
.LBB858_131:
	s_or_b64 exec, exec, s[2:3]
	v_mov_b32_e32 v42, 0
	v_cmp_ne_u16_sdwa s[8:9], v39, v42 src0_sel:BYTE_0 src1_sel:DWORD
	v_mov_b32_e32 v51, 0
	s_and_saveexec_b64 s[2:3], s[8:9]
	s_cbranch_execz .LBB858_137
; %bb.132:
	s_movk_i32 s8, 0x80
	v_cmp_ne_u16_sdwa s[10:11], v39, s8 src0_sel:BYTE_0 src1_sel:DWORD
	v_mov_b32_e32 v51, 0xffff8000
	s_and_saveexec_b64 s[8:9], s[10:11]
	s_cbranch_execz .LBB858_136
; %bb.133:
	s_movk_i32 s10, 0x7f
	v_and_b32_e32 v38, 0x7f, v39
	v_cmp_ne_u32_e32 vcc, s10, v38
	v_mov_b32_e32 v51, 0x7f80
	s_and_saveexec_b64 s[10:11], vcc
	s_cbranch_execz .LBB858_135
; %bb.134:
	v_and_b32_e32 v51, 7, v39
	v_ffbh_u32_e32 v53, v51
	v_min_u32_e32 v55, 32, v53
	v_mov_b32_e32 v52, v39
	v_subrev_u32_e32 v53, 28, v55
	v_lshlrev_b64 v[52:53], v53, v[52:53]
	v_lshrrev_b32_e32 v54, 3, v38
	v_sub_u32_e32 v53, 29, v55
	v_and_b32_e32 v52, 7, v52
	v_cmp_gt_u32_e32 vcc, 8, v38
	v_cndmask_b32_e32 v38, v54, v53, vcc
	v_cndmask_b32_e32 v51, v51, v52, vcc
	v_lshlrev_b32_e32 v52, 24, v39
	v_bfrev_b32_e32 v53, 60
	v_lshlrev_b32_e32 v51, 20, v51
	v_and_b32_e32 v52, 0x80000000, v52
	v_lshl_add_u32 v38, v38, 23, v53
	v_or3_b32 v38, v52, v38, v51
	v_lshrrev_b32_e32 v51, 16, v38
.LBB858_135:
	s_or_b64 exec, exec, s[10:11]
.LBB858_136:
	s_or_b64 exec, exec, s[8:9]
.LBB858_137:
	s_or_b64 exec, exec, s[2:3]
	v_lshrrev_b16_e32 v38, 8, v39
	v_cmp_ne_u16_e32 vcc, 0, v38
	s_and_saveexec_b64 s[2:3], vcc
	s_cbranch_execz .LBB858_143
; %bb.138:
	s_movk_i32 s8, 0x80
	v_cmp_ne_u16_e32 vcc, s8, v38
	v_mov_b32_e32 v42, 0xffff8000
	s_and_saveexec_b64 s[8:9], vcc
	s_cbranch_execz .LBB858_142
; %bb.139:
	s_movk_i32 s10, 0x7f
	v_and_b32_e32 v52, 0x7f, v38
	v_cmp_ne_u32_e32 vcc, s10, v52
	v_mov_b32_e32 v42, 0x7f80
	s_and_saveexec_b64 s[10:11], vcc
	s_cbranch_execz .LBB858_141
; %bb.140:
	v_and_b32_e32 v42, 7, v38
	v_ffbh_u32_e32 v54, v42
	v_min_u32_e32 v56, 32, v54
	v_subrev_u32_e32 v54, 28, v56
	v_lshlrev_b64 v[54:55], v54, v[38:39]
	v_lshrrev_b32_e32 v53, 3, v52
	v_sub_u32_e32 v38, 29, v56
	v_and_b32_e32 v54, 7, v54
	v_cmp_gt_u32_e32 vcc, 8, v52
	v_cndmask_b32_e32 v38, v53, v38, vcc
	v_cndmask_b32_e32 v42, v42, v54, vcc
	v_lshlrev_b32_e32 v52, 16, v39
	v_bfrev_b32_e32 v53, 60
	v_lshlrev_b32_e32 v42, 20, v42
	v_and_b32_e32 v52, 0x80000000, v52
	v_lshl_add_u32 v38, v38, 23, v53
	v_or3_b32 v38, v52, v38, v42
	v_lshrrev_b32_e32 v42, 16, v38
.LBB858_141:
	s_or_b64 exec, exec, s[10:11]
.LBB858_142:
	s_or_b64 exec, exec, s[8:9]
.LBB858_143:
	s_or_b64 exec, exec, s[2:3]
	s_movk_i32 s2, 0xff
	v_and_b32_sdwa v54, v39, s2 dst_sel:DWORD dst_unused:UNUSED_PAD src0_sel:WORD_1 src1_sel:DWORD
	v_lshrrev_b32_e32 v38, 16, v39
	v_cmp_ne_u16_e32 vcc, 0, v54
	v_mov_b32_e32 v52, 0
	v_mov_b32_e32 v53, 0
	s_and_saveexec_b64 s[2:3], vcc
	s_cbranch_execz .LBB858_149
; %bb.144:
	s_movk_i32 s8, 0x80
	v_cmp_ne_u16_e32 vcc, s8, v54
	v_mov_b32_e32 v53, 0xffff8000
	s_and_saveexec_b64 s[8:9], vcc
	s_cbranch_execz .LBB858_148
; %bb.145:
	v_bfe_u32 v54, v39, 16, 7
	s_movk_i32 s10, 0x7f
	v_cmp_ne_u32_e32 vcc, s10, v54
	v_mov_b32_e32 v53, 0x7f80
	s_and_saveexec_b64 s[10:11], vcc
	s_cbranch_execz .LBB858_147
; %bb.146:
	v_and_b32_e32 v53, 7, v38
	v_ffbh_u32_e32 v56, v53
	v_min_u32_e32 v58, 32, v56
	v_subrev_u32_e32 v56, 28, v58
	v_lshlrev_b64 v[56:57], v56, v[38:39]
	v_lshrrev_b32_e32 v55, 3, v54
	v_sub_u32_e32 v38, 29, v58
	v_and_b32_e32 v56, 7, v56
	v_cmp_gt_u32_e32 vcc, 8, v54
	v_mov_b32_e32 v54, 24
	v_cndmask_b32_e32 v38, v55, v38, vcc
	v_cndmask_b32_e32 v53, v53, v56, vcc
	v_lshlrev_b32_sdwa v54, v54, v39 dst_sel:DWORD dst_unused:UNUSED_PAD src0_sel:DWORD src1_sel:WORD_1
	v_bfrev_b32_e32 v55, 60
	v_lshlrev_b32_e32 v53, 20, v53
	v_and_b32_e32 v54, 0x80000000, v54
	v_lshl_add_u32 v38, v38, 23, v55
	v_or3_b32 v38, v54, v38, v53
	v_lshrrev_b32_e32 v53, 16, v38
.LBB858_147:
	s_or_b64 exec, exec, s[10:11]
.LBB858_148:
	s_or_b64 exec, exec, s[8:9]
.LBB858_149:
	s_or_b64 exec, exec, s[2:3]
	s_mov_b32 s2, 0xffffff
	v_cmp_lt_u32_e32 vcc, s2, v39
	s_and_saveexec_b64 s[2:3], vcc
	s_cbranch_execz .LBB858_155
; %bb.150:
	v_lshrrev_b32_e32 v38, 24, v39
	s_movk_i32 s8, 0x80
	v_cmp_ne_u32_e32 vcc, s8, v38
	v_mov_b32_e32 v52, 0xffff8000
	s_and_saveexec_b64 s[8:9], vcc
	s_cbranch_execz .LBB858_154
; %bb.151:
	v_bfe_u32 v39, v39, 24, 7
	s_movk_i32 s10, 0x7f
	v_cmp_ne_u32_e32 vcc, s10, v39
	v_mov_b32_e32 v52, 0x7f80
	s_and_saveexec_b64 s[10:11], vcc
	s_cbranch_execz .LBB858_153
; %bb.152:
	v_and_b32_e32 v52, 7, v38
	v_ffbh_u32_e32 v54, v52
	v_min_u32_e32 v57, 32, v54
	v_subrev_u32_e32 v54, 28, v57
	v_lshlrev_b64 v[54:55], v54, v[38:39]
	v_lshrrev_b32_e32 v56, 3, v39
	v_sub_u32_e32 v55, 29, v57
	v_and_b32_e32 v54, 7, v54
	v_cmp_gt_u32_e32 vcc, 8, v39
	v_cndmask_b32_e32 v39, v56, v55, vcc
	v_cndmask_b32_e32 v52, v52, v54, vcc
	v_lshlrev_b32_e32 v38, 24, v38
	v_bfrev_b32_e32 v54, 60
	v_lshlrev_b32_e32 v52, 20, v52
	v_and_b32_e32 v38, 0x80000000, v38
	v_lshl_add_u32 v39, v39, 23, v54
	v_or3_b32 v38, v38, v39, v52
	v_lshrrev_b32_e32 v52, 16, v38
.LBB858_153:
	s_or_b64 exec, exec, s[10:11]
.LBB858_154:
	s_or_b64 exec, exec, s[8:9]
.LBB858_155:
	s_or_b64 exec, exec, s[2:3]
	s_mov_b32 s2, 0x5040100
	v_perm_b32 v39, v45, v50, s2
	v_perm_b32 v38, v43, v44, s2
	;; [unrolled: 1-line block ×4, first 2 shown]
	v_mov_b32_e32 v50, 0
	v_mfma_f32_16x16x16bf16_1k v[54:57], v[38:39], v[26:27], 0
	v_mov_b32_e32 v39, 0
	v_cmp_ne_u16_sdwa s[8:9], v40, v39 src0_sel:BYTE_0 src1_sel:DWORD
	v_mfma_f32_16x16x16bf16_1k v[42:45], v[42:43], v[28:29], v[54:57]
	s_and_saveexec_b64 s[2:3], s[8:9]
	s_cbranch_execz .LBB858_161
; %bb.156:
	s_movk_i32 s8, 0x80
	v_cmp_ne_u16_sdwa s[10:11], v40, s8 src0_sel:BYTE_0 src1_sel:DWORD
	v_mov_b32_e32 v50, 0xffff8000
	s_and_saveexec_b64 s[8:9], s[10:11]
	s_cbranch_execz .LBB858_160
; %bb.157:
	s_movk_i32 s10, 0x7f
	v_and_b32_e32 v38, 0x7f, v40
	v_cmp_ne_u32_e32 vcc, s10, v38
	v_mov_b32_e32 v50, 0x7f80
	s_and_saveexec_b64 s[10:11], vcc
	s_cbranch_execz .LBB858_159
; %bb.158:
	v_and_b32_e32 v52, 7, v40
	v_ffbh_u32_e32 v50, v52
	v_min_u32_e32 v54, 32, v50
	v_subrev_u32_e32 v50, 28, v54
	v_lshlrev_b64 v[50:51], v50, v[40:41]
	v_lshrrev_b32_e32 v53, 3, v38
	v_sub_u32_e32 v51, 29, v54
	v_and_b32_e32 v50, 7, v50
	v_cmp_gt_u32_e32 vcc, 8, v38
	v_cndmask_b32_e32 v38, v53, v51, vcc
	v_cndmask_b32_e32 v50, v52, v50, vcc
	v_lshlrev_b32_e32 v51, 24, v40
	v_bfrev_b32_e32 v52, 60
	v_lshlrev_b32_e32 v50, 20, v50
	v_and_b32_e32 v51, 0x80000000, v51
	v_lshl_add_u32 v38, v38, 23, v52
	v_or3_b32 v38, v51, v38, v50
	v_lshrrev_b32_e32 v50, 16, v38
.LBB858_159:
	s_or_b64 exec, exec, s[10:11]
.LBB858_160:
	s_or_b64 exec, exec, s[8:9]
.LBB858_161:
	s_or_b64 exec, exec, s[2:3]
	v_lshrrev_b16_e32 v38, 8, v40
	v_cmp_ne_u16_e32 vcc, 0, v38
	s_and_saveexec_b64 s[2:3], vcc
	s_cbranch_execz .LBB858_167
; %bb.162:
	s_movk_i32 s8, 0x80
	v_cmp_ne_u16_e32 vcc, s8, v38
	v_mov_b32_e32 v39, 0xffff8000
	s_and_saveexec_b64 s[8:9], vcc
	s_cbranch_execz .LBB858_166
; %bb.163:
	s_movk_i32 s10, 0x7f
	v_and_b32_e32 v51, 0x7f, v38
	v_cmp_ne_u32_e32 vcc, s10, v51
	v_mov_b32_e32 v39, 0x7f80
	s_and_saveexec_b64 s[10:11], vcc
	s_cbranch_execz .LBB858_165
; %bb.164:
	v_and_b32_e32 v52, 7, v38
	v_ffbh_u32_e32 v39, v52
	v_min_u32_e32 v54, 32, v39
	v_subrev_u32_e32 v39, 28, v54
	v_lshlrev_b64 v[38:39], v39, v[38:39]
	v_lshrrev_b32_e32 v53, 3, v51
	v_sub_u32_e32 v39, 29, v54
	v_and_b32_e32 v38, 7, v38
	v_cmp_gt_u32_e32 vcc, 8, v51
	v_cndmask_b32_e32 v39, v53, v39, vcc
	v_cndmask_b32_e32 v38, v52, v38, vcc
	v_lshlrev_b32_e32 v51, 16, v40
	v_bfrev_b32_e32 v52, 60
	v_lshlrev_b32_e32 v38, 20, v38
	v_and_b32_e32 v51, 0x80000000, v51
	v_lshl_add_u32 v39, v39, 23, v52
	v_or3_b32 v38, v51, v39, v38
	v_lshrrev_b32_e32 v39, 16, v38
.LBB858_165:
	s_or_b64 exec, exec, s[10:11]
.LBB858_166:
	s_or_b64 exec, exec, s[8:9]
.LBB858_167:
	s_or_b64 exec, exec, s[2:3]
	s_movk_i32 s2, 0xff
	v_and_b32_sdwa v53, v40, s2 dst_sel:DWORD dst_unused:UNUSED_PAD src0_sel:WORD_1 src1_sel:DWORD
	v_lshrrev_b32_e32 v38, 16, v40
	v_cmp_ne_u16_e32 vcc, 0, v53
	v_mov_b32_e32 v51, 0
	v_mov_b32_e32 v52, 0
	s_and_saveexec_b64 s[2:3], vcc
	s_cbranch_execz .LBB858_173
; %bb.168:
	s_movk_i32 s8, 0x80
	v_cmp_ne_u16_e32 vcc, s8, v53
	v_mov_b32_e32 v52, 0xffff8000
	s_and_saveexec_b64 s[8:9], vcc
	s_cbranch_execz .LBB858_172
; %bb.169:
	v_bfe_u32 v53, v40, 16, 7
	s_movk_i32 s10, 0x7f
	v_cmp_ne_u32_e32 vcc, s10, v53
	v_mov_b32_e32 v52, 0x7f80
	s_and_saveexec_b64 s[10:11], vcc
	s_cbranch_execz .LBB858_171
; %bb.170:
	v_and_b32_e32 v52, 7, v38
	v_ffbh_u32_e32 v54, v52
	v_min_u32_e32 v57, 32, v54
	v_subrev_u32_e32 v54, 28, v57
	v_lshlrev_b64 v[54:55], v54, v[38:39]
	v_lshrrev_b32_e32 v56, 3, v53
	v_sub_u32_e32 v38, 29, v57
	v_and_b32_e32 v54, 7, v54
	v_cmp_gt_u32_e32 vcc, 8, v53
	v_mov_b32_e32 v53, 24
	v_cndmask_b32_e32 v38, v56, v38, vcc
	v_cndmask_b32_e32 v52, v52, v54, vcc
	v_lshlrev_b32_sdwa v53, v53, v40 dst_sel:DWORD dst_unused:UNUSED_PAD src0_sel:DWORD src1_sel:WORD_1
	v_bfrev_b32_e32 v54, 60
	v_lshlrev_b32_e32 v52, 20, v52
	v_and_b32_e32 v53, 0x80000000, v53
	v_lshl_add_u32 v38, v38, 23, v54
	v_or3_b32 v38, v53, v38, v52
	v_lshrrev_b32_e32 v52, 16, v38
.LBB858_171:
	s_or_b64 exec, exec, s[10:11]
.LBB858_172:
	s_or_b64 exec, exec, s[8:9]
.LBB858_173:
	s_or_b64 exec, exec, s[2:3]
	s_mov_b32 s2, 0xffffff
	v_cmp_lt_u32_e32 vcc, s2, v40
	s_and_saveexec_b64 s[2:3], vcc
	s_cbranch_execz .LBB858_179
; %bb.174:
	v_lshrrev_b32_e32 v38, 24, v40
	s_movk_i32 s8, 0x80
	v_cmp_ne_u32_e32 vcc, s8, v38
	v_mov_b32_e32 v51, 0xffff8000
	s_and_saveexec_b64 s[8:9], vcc
	s_cbranch_execz .LBB858_178
; %bb.175:
	v_bfe_u32 v40, v40, 24, 7
	s_movk_i32 s10, 0x7f
	v_cmp_ne_u32_e32 vcc, s10, v40
	v_mov_b32_e32 v51, 0x7f80
	s_and_saveexec_b64 s[10:11], vcc
	s_cbranch_execz .LBB858_177
; %bb.176:
	v_and_b32_e32 v51, 7, v38
	v_ffbh_u32_e32 v54, v51
	v_min_u32_e32 v56, 32, v54
	v_subrev_u32_e32 v54, 28, v56
	v_lshlrev_b64 v[54:55], v54, v[38:39]
	v_lshrrev_b32_e32 v53, 3, v40
	v_sub_u32_e32 v55, 29, v56
	v_and_b32_e32 v54, 7, v54
	v_cmp_gt_u32_e32 vcc, 8, v40
	v_cndmask_b32_e32 v40, v53, v55, vcc
	v_cndmask_b32_e32 v51, v51, v54, vcc
	v_lshlrev_b32_e32 v38, 24, v38
	v_bfrev_b32_e32 v53, 60
	v_lshlrev_b32_e32 v51, 20, v51
	v_and_b32_e32 v38, 0x80000000, v38
	v_lshl_add_u32 v40, v40, 23, v53
	v_or3_b32 v38, v38, v40, v51
	v_lshrrev_b32_e32 v51, 16, v38
.LBB858_177:
	s_or_b64 exec, exec, s[10:11]
.LBB858_178:
	s_or_b64 exec, exec, s[8:9]
.LBB858_179:
	s_or_b64 exec, exec, s[2:3]
	v_mov_b32_e32 v40, 0
	v_cmp_ne_u16_sdwa s[8:9], v41, v40 src0_sel:BYTE_0 src1_sel:DWORD
	v_mov_b32_e32 v53, 0
	s_and_saveexec_b64 s[2:3], s[8:9]
	s_cbranch_execz .LBB858_185
; %bb.180:
	s_movk_i32 s8, 0x80
	v_cmp_ne_u16_sdwa s[10:11], v41, s8 src0_sel:BYTE_0 src1_sel:DWORD
	v_mov_b32_e32 v53, 0xffff8000
	s_and_saveexec_b64 s[8:9], s[10:11]
	s_cbranch_execz .LBB858_184
; %bb.181:
	s_movk_i32 s10, 0x7f
	v_and_b32_e32 v38, 0x7f, v41
	v_cmp_ne_u32_e32 vcc, s10, v38
	v_mov_b32_e32 v53, 0x7f80
	s_and_saveexec_b64 s[10:11], vcc
	s_cbranch_execz .LBB858_183
; %bb.182:
	v_and_b32_e32 v53, 7, v41
	v_ffbh_u32_e32 v55, v53
	v_min_u32_e32 v57, 32, v55
	v_mov_b32_e32 v54, v41
	v_subrev_u32_e32 v55, 28, v57
	v_lshlrev_b64 v[54:55], v55, v[54:55]
	v_lshrrev_b32_e32 v56, 3, v38
	v_sub_u32_e32 v55, 29, v57
	v_and_b32_e32 v54, 7, v54
	v_cmp_gt_u32_e32 vcc, 8, v38
	v_cndmask_b32_e32 v38, v56, v55, vcc
	v_cndmask_b32_e32 v53, v53, v54, vcc
	v_lshlrev_b32_e32 v54, 24, v41
	v_bfrev_b32_e32 v55, 60
	v_lshlrev_b32_e32 v53, 20, v53
	v_and_b32_e32 v54, 0x80000000, v54
	v_lshl_add_u32 v38, v38, 23, v55
	v_or3_b32 v38, v54, v38, v53
	v_lshrrev_b32_e32 v53, 16, v38
.LBB858_183:
	s_or_b64 exec, exec, s[10:11]
.LBB858_184:
	s_or_b64 exec, exec, s[8:9]
.LBB858_185:
	s_or_b64 exec, exec, s[2:3]
	v_lshrrev_b16_e32 v38, 8, v41
	v_cmp_ne_u16_e32 vcc, 0, v38
	s_and_saveexec_b64 s[2:3], vcc
	s_cbranch_execz .LBB858_191
; %bb.186:
	s_movk_i32 s8, 0x80
	v_cmp_ne_u16_e32 vcc, s8, v38
	v_mov_b32_e32 v40, 0xffff8000
	s_and_saveexec_b64 s[8:9], vcc
	s_cbranch_execz .LBB858_190
; %bb.187:
	s_movk_i32 s10, 0x7f
	v_and_b32_e32 v54, 0x7f, v38
	v_cmp_ne_u32_e32 vcc, s10, v54
	v_mov_b32_e32 v40, 0x7f80
	s_and_saveexec_b64 s[10:11], vcc
	s_cbranch_execz .LBB858_189
; %bb.188:
	v_and_b32_e32 v40, 7, v38
	v_ffbh_u32_e32 v56, v40
	v_min_u32_e32 v58, 32, v56
	v_subrev_u32_e32 v56, 28, v58
	v_lshlrev_b64 v[56:57], v56, v[38:39]
	v_lshrrev_b32_e32 v55, 3, v54
	v_sub_u32_e32 v38, 29, v58
	v_and_b32_e32 v56, 7, v56
	v_cmp_gt_u32_e32 vcc, 8, v54
	v_cndmask_b32_e32 v38, v55, v38, vcc
	v_cndmask_b32_e32 v40, v40, v56, vcc
	v_lshlrev_b32_e32 v54, 16, v41
	v_bfrev_b32_e32 v55, 60
	v_lshlrev_b32_e32 v40, 20, v40
	v_and_b32_e32 v54, 0x80000000, v54
	v_lshl_add_u32 v38, v38, 23, v55
	v_or3_b32 v38, v54, v38, v40
	v_lshrrev_b32_e32 v40, 16, v38
.LBB858_189:
	s_or_b64 exec, exec, s[10:11]
.LBB858_190:
	s_or_b64 exec, exec, s[8:9]
.LBB858_191:
	s_or_b64 exec, exec, s[2:3]
	s_movk_i32 s2, 0xff
	v_and_b32_sdwa v56, v41, s2 dst_sel:DWORD dst_unused:UNUSED_PAD src0_sel:WORD_1 src1_sel:DWORD
	v_lshrrev_b32_e32 v38, 16, v41
	v_cmp_ne_u16_e32 vcc, 0, v56
	v_mov_b32_e32 v54, 0
	v_mov_b32_e32 v55, 0
	s_and_saveexec_b64 s[2:3], vcc
	s_cbranch_execz .LBB858_197
; %bb.192:
	s_movk_i32 s8, 0x80
	v_cmp_ne_u16_e32 vcc, s8, v56
	v_mov_b32_e32 v55, 0xffff8000
	s_and_saveexec_b64 s[8:9], vcc
	s_cbranch_execz .LBB858_196
; %bb.193:
	v_bfe_u32 v56, v41, 16, 7
	s_movk_i32 s10, 0x7f
	v_cmp_ne_u32_e32 vcc, s10, v56
	v_mov_b32_e32 v55, 0x7f80
	s_and_saveexec_b64 s[10:11], vcc
	s_cbranch_execz .LBB858_195
; %bb.194:
	v_and_b32_e32 v55, 7, v38
	v_ffbh_u32_e32 v58, v55
	v_min_u32_e32 v60, 32, v58
	v_subrev_u32_e32 v58, 28, v60
	v_lshlrev_b64 v[58:59], v58, v[38:39]
	v_lshrrev_b32_e32 v57, 3, v56
	v_sub_u32_e32 v38, 29, v60
	v_and_b32_e32 v58, 7, v58
	v_cmp_gt_u32_e32 vcc, 8, v56
	v_mov_b32_e32 v56, 24
	v_cndmask_b32_e32 v38, v57, v38, vcc
	v_cndmask_b32_e32 v55, v55, v58, vcc
	v_lshlrev_b32_sdwa v56, v56, v41 dst_sel:DWORD dst_unused:UNUSED_PAD src0_sel:DWORD src1_sel:WORD_1
	v_bfrev_b32_e32 v57, 60
	v_lshlrev_b32_e32 v55, 20, v55
	v_and_b32_e32 v56, 0x80000000, v56
	v_lshl_add_u32 v38, v38, 23, v57
	v_or3_b32 v38, v56, v38, v55
	v_lshrrev_b32_e32 v55, 16, v38
.LBB858_195:
	s_or_b64 exec, exec, s[10:11]
.LBB858_196:
	s_or_b64 exec, exec, s[8:9]
.LBB858_197:
	s_or_b64 exec, exec, s[2:3]
	s_mov_b32 s2, 0xffffff
	v_cmp_lt_u32_e32 vcc, s2, v41
	s_and_saveexec_b64 s[2:3], vcc
	s_cbranch_execz .LBB858_203
; %bb.198:
	v_lshrrev_b32_e32 v38, 24, v41
	s_movk_i32 s8, 0x80
	v_cmp_ne_u32_e32 vcc, s8, v38
	v_mov_b32_e32 v54, 0xffff8000
	s_and_saveexec_b64 s[8:9], vcc
	s_cbranch_execz .LBB858_202
; %bb.199:
	v_bfe_u32 v41, v41, 24, 7
	s_movk_i32 s10, 0x7f
	v_cmp_ne_u32_e32 vcc, s10, v41
	v_mov_b32_e32 v54, 0x7f80
	s_and_saveexec_b64 s[10:11], vcc
	s_cbranch_execz .LBB858_201
; %bb.200:
	v_and_b32_e32 v54, 7, v38
	v_ffbh_u32_e32 v56, v54
	v_min_u32_e32 v59, 32, v56
	v_subrev_u32_e32 v56, 28, v59
	v_lshlrev_b64 v[56:57], v56, v[38:39]
	v_lshrrev_b32_e32 v58, 3, v41
	v_sub_u32_e32 v57, 29, v59
	v_and_b32_e32 v56, 7, v56
	v_cmp_gt_u32_e32 vcc, 8, v41
	v_cndmask_b32_e32 v41, v58, v57, vcc
	v_cndmask_b32_e32 v54, v54, v56, vcc
	v_lshlrev_b32_e32 v38, 24, v38
	v_bfrev_b32_e32 v56, 60
	v_lshlrev_b32_e32 v54, 20, v54
	v_and_b32_e32 v38, 0x80000000, v38
	v_lshl_add_u32 v41, v41, 23, v56
	v_or3_b32 v38, v38, v41, v54
	v_lshrrev_b32_e32 v54, 16, v38
.LBB858_201:
	s_or_b64 exec, exec, s[10:11]
.LBB858_202:
	s_or_b64 exec, exec, s[8:9]
.LBB858_203:
	s_or_b64 exec, exec, s[2:3]
	s_mov_b32 s2, 0x5040100
	v_perm_b32 v51, v51, v52, s2
	v_perm_b32 v50, v39, v50, s2
	;; [unrolled: 1-line block ×4, first 2 shown]
	v_mfma_f32_16x16x16bf16_1k v[56:59], v[50:51], v[18:19], v[42:45]
	s_nop 6
	v_mov_b32_e32 v43, 0
	s_waitcnt vmcnt(5)
	v_cmp_ne_u16_sdwa s[8:9], v34, v43 src0_sel:BYTE_0 src1_sel:DWORD
	v_mfma_f32_16x16x16bf16_1k v[38:41], v[38:39], v[20:21], v[56:59]
	v_mov_b32_e32 v44, 0
	s_and_saveexec_b64 s[2:3], s[8:9]
	s_cbranch_execz .LBB858_209
; %bb.204:
	s_movk_i32 s8, 0x80
	v_cmp_ne_u16_sdwa s[10:11], v34, s8 src0_sel:BYTE_0 src1_sel:DWORD
	v_mov_b32_e32 v44, 0xffff8000
	s_and_saveexec_b64 s[8:9], s[10:11]
	s_cbranch_execz .LBB858_208
; %bb.205:
	s_movk_i32 s10, 0x7f
	v_and_b32_e32 v42, 0x7f, v34
	v_cmp_ne_u32_e32 vcc, s10, v42
	v_mov_b32_e32 v44, 0x7f80
	s_and_saveexec_b64 s[10:11], vcc
	s_cbranch_execz .LBB858_207
; %bb.206:
	v_and_b32_e32 v50, 7, v34
	v_ffbh_u32_e32 v44, v50
	v_min_u32_e32 v52, 32, v44
	v_subrev_u32_e32 v44, 28, v52
	v_lshlrev_b64 v[44:45], v44, v[34:35]
	v_lshrrev_b32_e32 v51, 3, v42
	v_sub_u32_e32 v45, 29, v52
	v_and_b32_e32 v44, 7, v44
	v_cmp_gt_u32_e32 vcc, 8, v42
	v_cndmask_b32_e32 v42, v51, v45, vcc
	v_cndmask_b32_e32 v44, v50, v44, vcc
	v_lshlrev_b32_e32 v45, 24, v34
	v_bfrev_b32_e32 v50, 60
	v_lshlrev_b32_e32 v44, 20, v44
	v_and_b32_e32 v45, 0x80000000, v45
	v_lshl_add_u32 v42, v42, 23, v50
	v_or3_b32 v42, v45, v42, v44
	v_lshrrev_b32_e32 v44, 16, v42
.LBB858_207:
	s_or_b64 exec, exec, s[10:11]
.LBB858_208:
	s_or_b64 exec, exec, s[8:9]
.LBB858_209:
	s_or_b64 exec, exec, s[2:3]
	v_lshrrev_b16_e32 v42, 8, v34
	v_cmp_ne_u16_e32 vcc, 0, v42
	s_and_saveexec_b64 s[2:3], vcc
	s_cbranch_execz .LBB858_215
; %bb.210:
	s_movk_i32 s8, 0x80
	v_cmp_ne_u16_e32 vcc, s8, v42
	v_mov_b32_e32 v43, 0xffff8000
	s_and_saveexec_b64 s[8:9], vcc
	s_cbranch_execz .LBB858_214
; %bb.211:
	s_movk_i32 s10, 0x7f
	v_and_b32_e32 v45, 0x7f, v42
	v_cmp_ne_u32_e32 vcc, s10, v45
	v_mov_b32_e32 v43, 0x7f80
	s_and_saveexec_b64 s[10:11], vcc
	s_cbranch_execz .LBB858_213
; %bb.212:
	v_and_b32_e32 v50, 7, v42
	v_ffbh_u32_e32 v43, v50
	v_min_u32_e32 v52, 32, v43
	v_subrev_u32_e32 v43, 28, v52
	v_lshlrev_b64 v[42:43], v43, v[42:43]
	v_lshrrev_b32_e32 v51, 3, v45
	v_sub_u32_e32 v43, 29, v52
	v_and_b32_e32 v42, 7, v42
	v_cmp_gt_u32_e32 vcc, 8, v45
	v_cndmask_b32_e32 v43, v51, v43, vcc
	v_cndmask_b32_e32 v42, v50, v42, vcc
	v_lshlrev_b32_e32 v45, 16, v34
	v_bfrev_b32_e32 v50, 60
	v_lshlrev_b32_e32 v42, 20, v42
	v_and_b32_e32 v45, 0x80000000, v45
	v_lshl_add_u32 v43, v43, 23, v50
	v_or3_b32 v42, v45, v43, v42
	v_lshrrev_b32_e32 v43, 16, v42
.LBB858_213:
	s_or_b64 exec, exec, s[10:11]
.LBB858_214:
	s_or_b64 exec, exec, s[8:9]
.LBB858_215:
	s_or_b64 exec, exec, s[2:3]
	s_movk_i32 s2, 0xff
	v_and_b32_sdwa v51, v34, s2 dst_sel:DWORD dst_unused:UNUSED_PAD src0_sel:WORD_1 src1_sel:DWORD
	v_lshrrev_b32_e32 v42, 16, v34
	v_cmp_ne_u16_e32 vcc, 0, v51
	v_mov_b32_e32 v45, 0
	v_mov_b32_e32 v50, 0
	s_and_saveexec_b64 s[2:3], vcc
	s_cbranch_execz .LBB858_221
; %bb.216:
	s_movk_i32 s8, 0x80
	v_cmp_ne_u16_e32 vcc, s8, v51
	v_mov_b32_e32 v50, 0xffff8000
	s_and_saveexec_b64 s[8:9], vcc
	s_cbranch_execz .LBB858_220
; %bb.217:
	v_bfe_u32 v51, v34, 16, 7
	s_movk_i32 s10, 0x7f
	v_cmp_ne_u32_e32 vcc, s10, v51
	v_mov_b32_e32 v50, 0x7f80
	s_and_saveexec_b64 s[10:11], vcc
	s_cbranch_execz .LBB858_219
; %bb.218:
	v_and_b32_e32 v50, 7, v42
	v_ffbh_u32_e32 v52, v50
	v_min_u32_e32 v55, 32, v52
	v_subrev_u32_e32 v52, 28, v55
	v_lshlrev_b64 v[52:53], v52, v[42:43]
	v_lshrrev_b32_e32 v54, 3, v51
	v_sub_u32_e32 v42, 29, v55
	v_and_b32_e32 v52, 7, v52
	v_cmp_gt_u32_e32 vcc, 8, v51
	v_mov_b32_e32 v51, 24
	v_cndmask_b32_e32 v42, v54, v42, vcc
	v_cndmask_b32_e32 v50, v50, v52, vcc
	v_lshlrev_b32_sdwa v51, v51, v34 dst_sel:DWORD dst_unused:UNUSED_PAD src0_sel:DWORD src1_sel:WORD_1
	v_bfrev_b32_e32 v52, 60
	v_lshlrev_b32_e32 v50, 20, v50
	v_and_b32_e32 v51, 0x80000000, v51
	v_lshl_add_u32 v42, v42, 23, v52
	v_or3_b32 v42, v51, v42, v50
	v_lshrrev_b32_e32 v50, 16, v42
.LBB858_219:
	s_or_b64 exec, exec, s[10:11]
.LBB858_220:
	s_or_b64 exec, exec, s[8:9]
.LBB858_221:
	s_or_b64 exec, exec, s[2:3]
	s_mov_b32 s2, 0xffffff
	v_cmp_lt_u32_e32 vcc, s2, v34
	s_and_saveexec_b64 s[2:3], vcc
	s_cbranch_execz .LBB858_227
; %bb.222:
	v_lshrrev_b32_e32 v42, 24, v34
	s_movk_i32 s8, 0x80
	v_cmp_ne_u32_e32 vcc, s8, v42
	v_mov_b32_e32 v45, 0xffff8000
	s_and_saveexec_b64 s[8:9], vcc
	s_cbranch_execz .LBB858_226
; %bb.223:
	v_bfe_u32 v34, v34, 24, 7
	s_movk_i32 s10, 0x7f
	v_cmp_ne_u32_e32 vcc, s10, v34
	v_mov_b32_e32 v45, 0x7f80
	s_and_saveexec_b64 s[10:11], vcc
	s_cbranch_execz .LBB858_225
; %bb.224:
	v_and_b32_e32 v45, 7, v42
	v_ffbh_u32_e32 v52, v45
	v_min_u32_e32 v54, 32, v52
	v_subrev_u32_e32 v52, 28, v54
	v_lshlrev_b64 v[52:53], v52, v[42:43]
	v_lshrrev_b32_e32 v51, 3, v34
	v_sub_u32_e32 v53, 29, v54
	v_and_b32_e32 v52, 7, v52
	v_cmp_gt_u32_e32 vcc, 8, v34
	v_cndmask_b32_e32 v34, v51, v53, vcc
	v_cndmask_b32_e32 v45, v45, v52, vcc
	v_lshlrev_b32_e32 v42, 24, v42
	v_bfrev_b32_e32 v51, 60
	v_lshlrev_b32_e32 v45, 20, v45
	v_and_b32_e32 v42, 0x80000000, v42
	v_lshl_add_u32 v34, v34, 23, v51
	v_or3_b32 v34, v42, v34, v45
	v_lshrrev_b32_e32 v45, 16, v34
.LBB858_225:
	s_or_b64 exec, exec, s[10:11]
.LBB858_226:
	s_or_b64 exec, exec, s[8:9]
.LBB858_227:
	s_or_b64 exec, exec, s[2:3]
	v_mov_b32_e32 v42, 0
	v_cmp_ne_u16_sdwa s[8:9], v35, v42 src0_sel:BYTE_0 src1_sel:DWORD
	v_mov_b32_e32 v51, 0
	s_and_saveexec_b64 s[2:3], s[8:9]
	s_cbranch_execz .LBB858_233
; %bb.228:
	s_movk_i32 s8, 0x80
	v_cmp_ne_u16_sdwa s[10:11], v35, s8 src0_sel:BYTE_0 src1_sel:DWORD
	v_mov_b32_e32 v51, 0xffff8000
	s_and_saveexec_b64 s[8:9], s[10:11]
	s_cbranch_execz .LBB858_232
; %bb.229:
	s_movk_i32 s10, 0x7f
	v_and_b32_e32 v34, 0x7f, v35
	v_cmp_ne_u32_e32 vcc, s10, v34
	v_mov_b32_e32 v51, 0x7f80
	s_and_saveexec_b64 s[10:11], vcc
	s_cbranch_execz .LBB858_231
; %bb.230:
	v_and_b32_e32 v51, 7, v35
	v_ffbh_u32_e32 v53, v51
	v_min_u32_e32 v55, 32, v53
	v_mov_b32_e32 v52, v35
	v_subrev_u32_e32 v53, 28, v55
	v_lshlrev_b64 v[52:53], v53, v[52:53]
	v_lshrrev_b32_e32 v54, 3, v34
	v_sub_u32_e32 v53, 29, v55
	v_and_b32_e32 v52, 7, v52
	v_cmp_gt_u32_e32 vcc, 8, v34
	v_cndmask_b32_e32 v34, v54, v53, vcc
	v_cndmask_b32_e32 v51, v51, v52, vcc
	v_lshlrev_b32_e32 v52, 24, v35
	v_bfrev_b32_e32 v53, 60
	v_lshlrev_b32_e32 v51, 20, v51
	v_and_b32_e32 v52, 0x80000000, v52
	v_lshl_add_u32 v34, v34, 23, v53
	v_or3_b32 v34, v52, v34, v51
	v_lshrrev_b32_e32 v51, 16, v34
.LBB858_231:
	s_or_b64 exec, exec, s[10:11]
.LBB858_232:
	s_or_b64 exec, exec, s[8:9]
.LBB858_233:
	s_or_b64 exec, exec, s[2:3]
	v_lshrrev_b16_e32 v34, 8, v35
	v_cmp_ne_u16_e32 vcc, 0, v34
	s_and_saveexec_b64 s[2:3], vcc
	s_cbranch_execz .LBB858_239
; %bb.234:
	s_movk_i32 s8, 0x80
	v_cmp_ne_u16_e32 vcc, s8, v34
	v_mov_b32_e32 v42, 0xffff8000
	s_and_saveexec_b64 s[8:9], vcc
	s_cbranch_execz .LBB858_238
; %bb.235:
	s_movk_i32 s10, 0x7f
	v_and_b32_e32 v52, 0x7f, v34
	v_cmp_ne_u32_e32 vcc, s10, v52
	v_mov_b32_e32 v42, 0x7f80
	s_and_saveexec_b64 s[10:11], vcc
	s_cbranch_execz .LBB858_237
; %bb.236:
	v_and_b32_e32 v42, 7, v34
	v_ffbh_u32_e32 v54, v42
	v_min_u32_e32 v56, 32, v54
	v_subrev_u32_e32 v54, 28, v56
	v_lshlrev_b64 v[54:55], v54, v[34:35]
	v_lshrrev_b32_e32 v53, 3, v52
	v_sub_u32_e32 v34, 29, v56
	v_and_b32_e32 v54, 7, v54
	v_cmp_gt_u32_e32 vcc, 8, v52
	v_cndmask_b32_e32 v34, v53, v34, vcc
	v_cndmask_b32_e32 v42, v42, v54, vcc
	v_lshlrev_b32_e32 v52, 16, v35
	v_bfrev_b32_e32 v53, 60
	v_lshlrev_b32_e32 v42, 20, v42
	v_and_b32_e32 v52, 0x80000000, v52
	v_lshl_add_u32 v34, v34, 23, v53
	v_or3_b32 v34, v52, v34, v42
	v_lshrrev_b32_e32 v42, 16, v34
.LBB858_237:
	s_or_b64 exec, exec, s[10:11]
.LBB858_238:
	s_or_b64 exec, exec, s[8:9]
.LBB858_239:
	s_or_b64 exec, exec, s[2:3]
	s_movk_i32 s2, 0xff
	v_and_b32_sdwa v54, v35, s2 dst_sel:DWORD dst_unused:UNUSED_PAD src0_sel:WORD_1 src1_sel:DWORD
	v_lshrrev_b32_e32 v34, 16, v35
	v_cmp_ne_u16_e32 vcc, 0, v54
	v_mov_b32_e32 v52, 0
	v_mov_b32_e32 v53, 0
	s_and_saveexec_b64 s[2:3], vcc
	s_cbranch_execz .LBB858_245
; %bb.240:
	s_movk_i32 s8, 0x80
	v_cmp_ne_u16_e32 vcc, s8, v54
	v_mov_b32_e32 v53, 0xffff8000
	s_and_saveexec_b64 s[8:9], vcc
	s_cbranch_execz .LBB858_244
; %bb.241:
	v_bfe_u32 v54, v35, 16, 7
	s_movk_i32 s10, 0x7f
	v_cmp_ne_u32_e32 vcc, s10, v54
	v_mov_b32_e32 v53, 0x7f80
	s_and_saveexec_b64 s[10:11], vcc
	s_cbranch_execz .LBB858_243
; %bb.242:
	v_and_b32_e32 v53, 7, v34
	v_ffbh_u32_e32 v56, v53
	v_min_u32_e32 v58, 32, v56
	v_subrev_u32_e32 v56, 28, v58
	v_lshlrev_b64 v[56:57], v56, v[34:35]
	v_lshrrev_b32_e32 v55, 3, v54
	v_sub_u32_e32 v34, 29, v58
	v_and_b32_e32 v56, 7, v56
	v_cmp_gt_u32_e32 vcc, 8, v54
	v_mov_b32_e32 v54, 24
	v_cndmask_b32_e32 v34, v55, v34, vcc
	v_cndmask_b32_e32 v53, v53, v56, vcc
	v_lshlrev_b32_sdwa v54, v54, v35 dst_sel:DWORD dst_unused:UNUSED_PAD src0_sel:DWORD src1_sel:WORD_1
	v_bfrev_b32_e32 v55, 60
	v_lshlrev_b32_e32 v53, 20, v53
	v_and_b32_e32 v54, 0x80000000, v54
	v_lshl_add_u32 v34, v34, 23, v55
	v_or3_b32 v34, v54, v34, v53
	v_lshrrev_b32_e32 v53, 16, v34
.LBB858_243:
	s_or_b64 exec, exec, s[10:11]
.LBB858_244:
	s_or_b64 exec, exec, s[8:9]
.LBB858_245:
	s_or_b64 exec, exec, s[2:3]
	s_mov_b32 s2, 0xffffff
	v_cmp_lt_u32_e32 vcc, s2, v35
	s_and_saveexec_b64 s[2:3], vcc
	s_cbranch_execz .LBB858_251
; %bb.246:
	v_lshrrev_b32_e32 v34, 24, v35
	s_movk_i32 s8, 0x80
	v_cmp_ne_u32_e32 vcc, s8, v34
	v_mov_b32_e32 v52, 0xffff8000
	s_and_saveexec_b64 s[8:9], vcc
	s_cbranch_execz .LBB858_250
; %bb.247:
	v_bfe_u32 v35, v35, 24, 7
	s_movk_i32 s10, 0x7f
	v_cmp_ne_u32_e32 vcc, s10, v35
	v_mov_b32_e32 v52, 0x7f80
	s_and_saveexec_b64 s[10:11], vcc
	s_cbranch_execz .LBB858_249
; %bb.248:
	v_and_b32_e32 v52, 7, v34
	v_ffbh_u32_e32 v54, v52
	v_min_u32_e32 v57, 32, v54
	v_subrev_u32_e32 v54, 28, v57
	v_lshlrev_b64 v[54:55], v54, v[34:35]
	v_lshrrev_b32_e32 v56, 3, v35
	v_sub_u32_e32 v55, 29, v57
	v_and_b32_e32 v54, 7, v54
	v_cmp_gt_u32_e32 vcc, 8, v35
	v_cndmask_b32_e32 v35, v56, v55, vcc
	v_cndmask_b32_e32 v52, v52, v54, vcc
	v_lshlrev_b32_e32 v34, 24, v34
	v_bfrev_b32_e32 v54, 60
	v_lshlrev_b32_e32 v52, 20, v52
	v_and_b32_e32 v34, 0x80000000, v34
	v_lshl_add_u32 v35, v35, 23, v54
	v_or3_b32 v34, v34, v35, v52
	v_lshrrev_b32_e32 v52, 16, v34
.LBB858_249:
	s_or_b64 exec, exec, s[10:11]
.LBB858_250:
	s_or_b64 exec, exec, s[8:9]
.LBB858_251:
	s_or_b64 exec, exec, s[2:3]
	s_mov_b32 s2, 0x5040100
	v_perm_b32 v35, v45, v50, s2
	v_perm_b32 v34, v43, v44, s2
	;; [unrolled: 1-line block ×4, first 2 shown]
	v_mov_b32_e32 v50, 0
	v_mfma_f32_16x16x16bf16_1k v[54:57], v[34:35], v[26:27], 0
	v_mov_b32_e32 v35, 0
	v_cmp_ne_u16_sdwa s[8:9], v36, v35 src0_sel:BYTE_0 src1_sel:DWORD
	v_mfma_f32_16x16x16bf16_1k v[42:45], v[42:43], v[28:29], v[54:57]
	s_and_saveexec_b64 s[2:3], s[8:9]
	s_cbranch_execz .LBB858_257
; %bb.252:
	s_movk_i32 s8, 0x80
	v_cmp_ne_u16_sdwa s[10:11], v36, s8 src0_sel:BYTE_0 src1_sel:DWORD
	v_mov_b32_e32 v50, 0xffff8000
	s_and_saveexec_b64 s[8:9], s[10:11]
	s_cbranch_execz .LBB858_256
; %bb.253:
	s_movk_i32 s10, 0x7f
	v_and_b32_e32 v34, 0x7f, v36
	v_cmp_ne_u32_e32 vcc, s10, v34
	v_mov_b32_e32 v50, 0x7f80
	s_and_saveexec_b64 s[10:11], vcc
	s_cbranch_execz .LBB858_255
; %bb.254:
	v_and_b32_e32 v52, 7, v36
	v_ffbh_u32_e32 v50, v52
	v_min_u32_e32 v54, 32, v50
	v_subrev_u32_e32 v50, 28, v54
	v_lshlrev_b64 v[50:51], v50, v[36:37]
	v_lshrrev_b32_e32 v53, 3, v34
	v_sub_u32_e32 v51, 29, v54
	v_and_b32_e32 v50, 7, v50
	v_cmp_gt_u32_e32 vcc, 8, v34
	v_cndmask_b32_e32 v34, v53, v51, vcc
	v_cndmask_b32_e32 v50, v52, v50, vcc
	v_lshlrev_b32_e32 v51, 24, v36
	v_bfrev_b32_e32 v52, 60
	v_lshlrev_b32_e32 v50, 20, v50
	v_and_b32_e32 v51, 0x80000000, v51
	v_lshl_add_u32 v34, v34, 23, v52
	v_or3_b32 v34, v51, v34, v50
	v_lshrrev_b32_e32 v50, 16, v34
.LBB858_255:
	s_or_b64 exec, exec, s[10:11]
.LBB858_256:
	s_or_b64 exec, exec, s[8:9]
.LBB858_257:
	s_or_b64 exec, exec, s[2:3]
	v_lshrrev_b16_e32 v34, 8, v36
	v_cmp_ne_u16_e32 vcc, 0, v34
	s_and_saveexec_b64 s[2:3], vcc
	s_cbranch_execz .LBB858_263
; %bb.258:
	s_movk_i32 s8, 0x80
	v_cmp_ne_u16_e32 vcc, s8, v34
	v_mov_b32_e32 v35, 0xffff8000
	s_and_saveexec_b64 s[8:9], vcc
	s_cbranch_execz .LBB858_262
; %bb.259:
	s_movk_i32 s10, 0x7f
	v_and_b32_e32 v51, 0x7f, v34
	v_cmp_ne_u32_e32 vcc, s10, v51
	v_mov_b32_e32 v35, 0x7f80
	s_and_saveexec_b64 s[10:11], vcc
	s_cbranch_execz .LBB858_261
; %bb.260:
	v_and_b32_e32 v52, 7, v34
	v_ffbh_u32_e32 v35, v52
	v_min_u32_e32 v54, 32, v35
	v_subrev_u32_e32 v35, 28, v54
	v_lshlrev_b64 v[34:35], v35, v[34:35]
	v_lshrrev_b32_e32 v53, 3, v51
	v_sub_u32_e32 v35, 29, v54
	v_and_b32_e32 v34, 7, v34
	v_cmp_gt_u32_e32 vcc, 8, v51
	v_cndmask_b32_e32 v35, v53, v35, vcc
	v_cndmask_b32_e32 v34, v52, v34, vcc
	v_lshlrev_b32_e32 v51, 16, v36
	v_bfrev_b32_e32 v52, 60
	v_lshlrev_b32_e32 v34, 20, v34
	v_and_b32_e32 v51, 0x80000000, v51
	v_lshl_add_u32 v35, v35, 23, v52
	v_or3_b32 v34, v51, v35, v34
	v_lshrrev_b32_e32 v35, 16, v34
.LBB858_261:
	s_or_b64 exec, exec, s[10:11]
.LBB858_262:
	s_or_b64 exec, exec, s[8:9]
.LBB858_263:
	s_or_b64 exec, exec, s[2:3]
	s_movk_i32 s2, 0xff
	v_and_b32_sdwa v53, v36, s2 dst_sel:DWORD dst_unused:UNUSED_PAD src0_sel:WORD_1 src1_sel:DWORD
	v_lshrrev_b32_e32 v34, 16, v36
	v_cmp_ne_u16_e32 vcc, 0, v53
	v_mov_b32_e32 v51, 0
	v_mov_b32_e32 v52, 0
	s_and_saveexec_b64 s[2:3], vcc
	s_cbranch_execz .LBB858_269
; %bb.264:
	s_movk_i32 s8, 0x80
	v_cmp_ne_u16_e32 vcc, s8, v53
	v_mov_b32_e32 v52, 0xffff8000
	s_and_saveexec_b64 s[8:9], vcc
	s_cbranch_execz .LBB858_268
; %bb.265:
	v_bfe_u32 v53, v36, 16, 7
	s_movk_i32 s10, 0x7f
	v_cmp_ne_u32_e32 vcc, s10, v53
	v_mov_b32_e32 v52, 0x7f80
	s_and_saveexec_b64 s[10:11], vcc
	s_cbranch_execz .LBB858_267
; %bb.266:
	v_and_b32_e32 v52, 7, v34
	v_ffbh_u32_e32 v54, v52
	v_min_u32_e32 v57, 32, v54
	v_subrev_u32_e32 v54, 28, v57
	v_lshlrev_b64 v[54:55], v54, v[34:35]
	v_lshrrev_b32_e32 v56, 3, v53
	v_sub_u32_e32 v34, 29, v57
	v_and_b32_e32 v54, 7, v54
	v_cmp_gt_u32_e32 vcc, 8, v53
	v_mov_b32_e32 v53, 24
	v_cndmask_b32_e32 v34, v56, v34, vcc
	v_cndmask_b32_e32 v52, v52, v54, vcc
	v_lshlrev_b32_sdwa v53, v53, v36 dst_sel:DWORD dst_unused:UNUSED_PAD src0_sel:DWORD src1_sel:WORD_1
	v_bfrev_b32_e32 v54, 60
	v_lshlrev_b32_e32 v52, 20, v52
	v_and_b32_e32 v53, 0x80000000, v53
	v_lshl_add_u32 v34, v34, 23, v54
	v_or3_b32 v34, v53, v34, v52
	v_lshrrev_b32_e32 v52, 16, v34
.LBB858_267:
	s_or_b64 exec, exec, s[10:11]
.LBB858_268:
	s_or_b64 exec, exec, s[8:9]
.LBB858_269:
	s_or_b64 exec, exec, s[2:3]
	s_mov_b32 s2, 0xffffff
	v_cmp_lt_u32_e32 vcc, s2, v36
	s_and_saveexec_b64 s[2:3], vcc
	s_cbranch_execz .LBB858_275
; %bb.270:
	v_lshrrev_b32_e32 v34, 24, v36
	s_movk_i32 s8, 0x80
	v_cmp_ne_u32_e32 vcc, s8, v34
	v_mov_b32_e32 v51, 0xffff8000
	s_and_saveexec_b64 s[8:9], vcc
	s_cbranch_execz .LBB858_274
; %bb.271:
	v_bfe_u32 v36, v36, 24, 7
	s_movk_i32 s10, 0x7f
	v_cmp_ne_u32_e32 vcc, s10, v36
	v_mov_b32_e32 v51, 0x7f80
	s_and_saveexec_b64 s[10:11], vcc
	s_cbranch_execz .LBB858_273
; %bb.272:
	v_and_b32_e32 v51, 7, v34
	v_ffbh_u32_e32 v54, v51
	v_min_u32_e32 v56, 32, v54
	v_subrev_u32_e32 v54, 28, v56
	v_lshlrev_b64 v[54:55], v54, v[34:35]
	v_lshrrev_b32_e32 v53, 3, v36
	v_sub_u32_e32 v55, 29, v56
	v_and_b32_e32 v54, 7, v54
	v_cmp_gt_u32_e32 vcc, 8, v36
	v_cndmask_b32_e32 v36, v53, v55, vcc
	v_cndmask_b32_e32 v51, v51, v54, vcc
	v_lshlrev_b32_e32 v34, 24, v34
	v_bfrev_b32_e32 v53, 60
	v_lshlrev_b32_e32 v51, 20, v51
	v_and_b32_e32 v34, 0x80000000, v34
	v_lshl_add_u32 v36, v36, 23, v53
	v_or3_b32 v34, v34, v36, v51
	v_lshrrev_b32_e32 v51, 16, v34
.LBB858_273:
	s_or_b64 exec, exec, s[10:11]
.LBB858_274:
	s_or_b64 exec, exec, s[8:9]
.LBB858_275:
	s_or_b64 exec, exec, s[2:3]
	v_mov_b32_e32 v36, 0
	v_cmp_ne_u16_sdwa s[8:9], v37, v36 src0_sel:BYTE_0 src1_sel:DWORD
	v_mov_b32_e32 v53, 0
	s_and_saveexec_b64 s[2:3], s[8:9]
	s_cbranch_execz .LBB858_281
; %bb.276:
	s_movk_i32 s8, 0x80
	v_cmp_ne_u16_sdwa s[10:11], v37, s8 src0_sel:BYTE_0 src1_sel:DWORD
	v_mov_b32_e32 v53, 0xffff8000
	s_and_saveexec_b64 s[8:9], s[10:11]
	s_cbranch_execz .LBB858_280
; %bb.277:
	s_movk_i32 s10, 0x7f
	v_and_b32_e32 v34, 0x7f, v37
	v_cmp_ne_u32_e32 vcc, s10, v34
	v_mov_b32_e32 v53, 0x7f80
	s_and_saveexec_b64 s[10:11], vcc
	s_cbranch_execz .LBB858_279
; %bb.278:
	v_and_b32_e32 v53, 7, v37
	v_ffbh_u32_e32 v55, v53
	v_min_u32_e32 v57, 32, v55
	v_mov_b32_e32 v54, v37
	v_subrev_u32_e32 v55, 28, v57
	v_lshlrev_b64 v[54:55], v55, v[54:55]
	v_lshrrev_b32_e32 v56, 3, v34
	v_sub_u32_e32 v55, 29, v57
	v_and_b32_e32 v54, 7, v54
	v_cmp_gt_u32_e32 vcc, 8, v34
	v_cndmask_b32_e32 v34, v56, v55, vcc
	v_cndmask_b32_e32 v53, v53, v54, vcc
	v_lshlrev_b32_e32 v54, 24, v37
	v_bfrev_b32_e32 v55, 60
	v_lshlrev_b32_e32 v53, 20, v53
	v_and_b32_e32 v54, 0x80000000, v54
	v_lshl_add_u32 v34, v34, 23, v55
	v_or3_b32 v34, v54, v34, v53
	v_lshrrev_b32_e32 v53, 16, v34
.LBB858_279:
	s_or_b64 exec, exec, s[10:11]
.LBB858_280:
	s_or_b64 exec, exec, s[8:9]
.LBB858_281:
	s_or_b64 exec, exec, s[2:3]
	v_lshrrev_b16_e32 v34, 8, v37
	v_cmp_ne_u16_e32 vcc, 0, v34
	s_and_saveexec_b64 s[2:3], vcc
	s_cbranch_execz .LBB858_287
; %bb.282:
	s_movk_i32 s8, 0x80
	v_cmp_ne_u16_e32 vcc, s8, v34
	v_mov_b32_e32 v36, 0xffff8000
	s_and_saveexec_b64 s[8:9], vcc
	s_cbranch_execz .LBB858_286
; %bb.283:
	s_movk_i32 s10, 0x7f
	v_and_b32_e32 v54, 0x7f, v34
	v_cmp_ne_u32_e32 vcc, s10, v54
	v_mov_b32_e32 v36, 0x7f80
	s_and_saveexec_b64 s[10:11], vcc
	s_cbranch_execz .LBB858_285
; %bb.284:
	v_and_b32_e32 v36, 7, v34
	v_ffbh_u32_e32 v56, v36
	v_min_u32_e32 v58, 32, v56
	v_subrev_u32_e32 v56, 28, v58
	v_lshlrev_b64 v[56:57], v56, v[34:35]
	v_lshrrev_b32_e32 v55, 3, v54
	v_sub_u32_e32 v34, 29, v58
	v_and_b32_e32 v56, 7, v56
	v_cmp_gt_u32_e32 vcc, 8, v54
	v_cndmask_b32_e32 v34, v55, v34, vcc
	v_cndmask_b32_e32 v36, v36, v56, vcc
	v_lshlrev_b32_e32 v54, 16, v37
	v_bfrev_b32_e32 v55, 60
	v_lshlrev_b32_e32 v36, 20, v36
	v_and_b32_e32 v54, 0x80000000, v54
	v_lshl_add_u32 v34, v34, 23, v55
	v_or3_b32 v34, v54, v34, v36
	v_lshrrev_b32_e32 v36, 16, v34
.LBB858_285:
	s_or_b64 exec, exec, s[10:11]
.LBB858_286:
	s_or_b64 exec, exec, s[8:9]
.LBB858_287:
	s_or_b64 exec, exec, s[2:3]
	s_movk_i32 s2, 0xff
	v_and_b32_sdwa v56, v37, s2 dst_sel:DWORD dst_unused:UNUSED_PAD src0_sel:WORD_1 src1_sel:DWORD
	v_lshrrev_b32_e32 v34, 16, v37
	v_cmp_ne_u16_e32 vcc, 0, v56
	v_mov_b32_e32 v54, 0
	v_mov_b32_e32 v55, 0
	s_and_saveexec_b64 s[2:3], vcc
	s_cbranch_execz .LBB858_293
; %bb.288:
	s_movk_i32 s8, 0x80
	v_cmp_ne_u16_e32 vcc, s8, v56
	v_mov_b32_e32 v55, 0xffff8000
	s_and_saveexec_b64 s[8:9], vcc
	s_cbranch_execz .LBB858_292
; %bb.289:
	v_bfe_u32 v56, v37, 16, 7
	s_movk_i32 s10, 0x7f
	v_cmp_ne_u32_e32 vcc, s10, v56
	v_mov_b32_e32 v55, 0x7f80
	s_and_saveexec_b64 s[10:11], vcc
	s_cbranch_execz .LBB858_291
; %bb.290:
	v_and_b32_e32 v55, 7, v34
	v_ffbh_u32_e32 v58, v55
	v_min_u32_e32 v60, 32, v58
	v_subrev_u32_e32 v58, 28, v60
	v_lshlrev_b64 v[58:59], v58, v[34:35]
	v_lshrrev_b32_e32 v57, 3, v56
	v_sub_u32_e32 v34, 29, v60
	v_and_b32_e32 v58, 7, v58
	v_cmp_gt_u32_e32 vcc, 8, v56
	v_mov_b32_e32 v56, 24
	v_cndmask_b32_e32 v34, v57, v34, vcc
	v_cndmask_b32_e32 v55, v55, v58, vcc
	v_lshlrev_b32_sdwa v56, v56, v37 dst_sel:DWORD dst_unused:UNUSED_PAD src0_sel:DWORD src1_sel:WORD_1
	v_bfrev_b32_e32 v57, 60
	v_lshlrev_b32_e32 v55, 20, v55
	v_and_b32_e32 v56, 0x80000000, v56
	v_lshl_add_u32 v34, v34, 23, v57
	v_or3_b32 v34, v56, v34, v55
	v_lshrrev_b32_e32 v55, 16, v34
.LBB858_291:
	s_or_b64 exec, exec, s[10:11]
.LBB858_292:
	s_or_b64 exec, exec, s[8:9]
.LBB858_293:
	s_or_b64 exec, exec, s[2:3]
	s_mov_b32 s2, 0xffffff
	v_cmp_lt_u32_e32 vcc, s2, v37
	s_and_saveexec_b64 s[2:3], vcc
	s_cbranch_execz .LBB858_299
; %bb.294:
	v_lshrrev_b32_e32 v34, 24, v37
	s_movk_i32 s8, 0x80
	v_cmp_ne_u32_e32 vcc, s8, v34
	v_mov_b32_e32 v54, 0xffff8000
	s_and_saveexec_b64 s[8:9], vcc
	s_cbranch_execz .LBB858_298
; %bb.295:
	v_bfe_u32 v37, v37, 24, 7
	s_movk_i32 s10, 0x7f
	v_cmp_ne_u32_e32 vcc, s10, v37
	v_mov_b32_e32 v54, 0x7f80
	s_and_saveexec_b64 s[10:11], vcc
	s_cbranch_execz .LBB858_297
; %bb.296:
	v_and_b32_e32 v54, 7, v34
	v_ffbh_u32_e32 v56, v54
	v_min_u32_e32 v59, 32, v56
	v_subrev_u32_e32 v56, 28, v59
	v_lshlrev_b64 v[56:57], v56, v[34:35]
	v_lshrrev_b32_e32 v58, 3, v37
	v_sub_u32_e32 v57, 29, v59
	v_and_b32_e32 v56, 7, v56
	v_cmp_gt_u32_e32 vcc, 8, v37
	v_cndmask_b32_e32 v37, v58, v57, vcc
	v_cndmask_b32_e32 v54, v54, v56, vcc
	v_lshlrev_b32_e32 v34, 24, v34
	v_bfrev_b32_e32 v56, 60
	v_lshlrev_b32_e32 v54, 20, v54
	v_and_b32_e32 v34, 0x80000000, v34
	v_lshl_add_u32 v37, v37, 23, v56
	v_or3_b32 v34, v34, v37, v54
	v_lshrrev_b32_e32 v54, 16, v34
.LBB858_297:
	s_or_b64 exec, exec, s[10:11]
.LBB858_298:
	s_or_b64 exec, exec, s[8:9]
.LBB858_299:
	s_or_b64 exec, exec, s[2:3]
	s_mov_b32 s2, 0x5040100
	v_perm_b32 v51, v51, v52, s2
	v_perm_b32 v50, v35, v50, s2
	;; [unrolled: 1-line block ×4, first 2 shown]
	v_mfma_f32_16x16x16bf16_1k v[56:59], v[50:51], v[18:19], v[42:45]
	s_nop 6
	v_mov_b32_e32 v43, 0
	s_waitcnt vmcnt(4)
	v_cmp_ne_u16_sdwa s[8:9], v22, v43 src0_sel:BYTE_0 src1_sel:DWORD
	v_mfma_f32_16x16x16bf16_1k v[34:37], v[34:35], v[20:21], v[56:59]
	v_mov_b32_e32 v44, 0
	s_and_saveexec_b64 s[2:3], s[8:9]
	s_cbranch_execz .LBB858_305
; %bb.300:
	s_movk_i32 s8, 0x80
	v_cmp_ne_u16_sdwa s[10:11], v22, s8 src0_sel:BYTE_0 src1_sel:DWORD
	v_mov_b32_e32 v44, 0xffff8000
	s_and_saveexec_b64 s[8:9], s[10:11]
	s_cbranch_execz .LBB858_304
; %bb.301:
	s_movk_i32 s10, 0x7f
	v_and_b32_e32 v42, 0x7f, v22
	v_cmp_ne_u32_e32 vcc, s10, v42
	v_mov_b32_e32 v44, 0x7f80
	s_and_saveexec_b64 s[10:11], vcc
	s_cbranch_execz .LBB858_303
; %bb.302:
	v_and_b32_e32 v50, 7, v22
	v_ffbh_u32_e32 v44, v50
	v_min_u32_e32 v52, 32, v44
	v_subrev_u32_e32 v44, 28, v52
	v_lshlrev_b64 v[44:45], v44, v[22:23]
	v_lshrrev_b32_e32 v51, 3, v42
	v_sub_u32_e32 v45, 29, v52
	v_and_b32_e32 v44, 7, v44
	v_cmp_gt_u32_e32 vcc, 8, v42
	v_cndmask_b32_e32 v42, v51, v45, vcc
	v_cndmask_b32_e32 v44, v50, v44, vcc
	v_lshlrev_b32_e32 v45, 24, v22
	v_bfrev_b32_e32 v50, 60
	v_lshlrev_b32_e32 v44, 20, v44
	v_and_b32_e32 v45, 0x80000000, v45
	v_lshl_add_u32 v42, v42, 23, v50
	v_or3_b32 v42, v45, v42, v44
	v_lshrrev_b32_e32 v44, 16, v42
.LBB858_303:
	s_or_b64 exec, exec, s[10:11]
.LBB858_304:
	s_or_b64 exec, exec, s[8:9]
.LBB858_305:
	s_or_b64 exec, exec, s[2:3]
	v_lshrrev_b16_e32 v42, 8, v22
	v_cmp_ne_u16_e32 vcc, 0, v42
	s_and_saveexec_b64 s[2:3], vcc
	s_cbranch_execz .LBB858_311
; %bb.306:
	s_movk_i32 s8, 0x80
	v_cmp_ne_u16_e32 vcc, s8, v42
	v_mov_b32_e32 v43, 0xffff8000
	s_and_saveexec_b64 s[8:9], vcc
	s_cbranch_execz .LBB858_310
; %bb.307:
	s_movk_i32 s10, 0x7f
	v_and_b32_e32 v45, 0x7f, v42
	v_cmp_ne_u32_e32 vcc, s10, v45
	v_mov_b32_e32 v43, 0x7f80
	s_and_saveexec_b64 s[10:11], vcc
	s_cbranch_execz .LBB858_309
; %bb.308:
	v_and_b32_e32 v50, 7, v42
	v_ffbh_u32_e32 v43, v50
	v_min_u32_e32 v52, 32, v43
	v_subrev_u32_e32 v43, 28, v52
	v_lshlrev_b64 v[42:43], v43, v[42:43]
	v_lshrrev_b32_e32 v51, 3, v45
	v_sub_u32_e32 v43, 29, v52
	v_and_b32_e32 v42, 7, v42
	v_cmp_gt_u32_e32 vcc, 8, v45
	v_cndmask_b32_e32 v43, v51, v43, vcc
	v_cndmask_b32_e32 v42, v50, v42, vcc
	v_lshlrev_b32_e32 v45, 16, v22
	v_bfrev_b32_e32 v50, 60
	v_lshlrev_b32_e32 v42, 20, v42
	v_and_b32_e32 v45, 0x80000000, v45
	v_lshl_add_u32 v43, v43, 23, v50
	v_or3_b32 v42, v45, v43, v42
	v_lshrrev_b32_e32 v43, 16, v42
.LBB858_309:
	s_or_b64 exec, exec, s[10:11]
.LBB858_310:
	s_or_b64 exec, exec, s[8:9]
.LBB858_311:
	s_or_b64 exec, exec, s[2:3]
	s_movk_i32 s2, 0xff
	v_and_b32_sdwa v51, v22, s2 dst_sel:DWORD dst_unused:UNUSED_PAD src0_sel:WORD_1 src1_sel:DWORD
	v_lshrrev_b32_e32 v42, 16, v22
	v_cmp_ne_u16_e32 vcc, 0, v51
	v_mov_b32_e32 v45, 0
	v_mov_b32_e32 v50, 0
	s_and_saveexec_b64 s[2:3], vcc
	s_cbranch_execz .LBB858_317
; %bb.312:
	s_movk_i32 s8, 0x80
	v_cmp_ne_u16_e32 vcc, s8, v51
	v_mov_b32_e32 v50, 0xffff8000
	s_and_saveexec_b64 s[8:9], vcc
	s_cbranch_execz .LBB858_316
; %bb.313:
	v_bfe_u32 v51, v22, 16, 7
	s_movk_i32 s10, 0x7f
	v_cmp_ne_u32_e32 vcc, s10, v51
	v_mov_b32_e32 v50, 0x7f80
	s_and_saveexec_b64 s[10:11], vcc
	s_cbranch_execz .LBB858_315
; %bb.314:
	v_and_b32_e32 v50, 7, v42
	v_ffbh_u32_e32 v52, v50
	v_min_u32_e32 v55, 32, v52
	v_subrev_u32_e32 v52, 28, v55
	v_lshlrev_b64 v[52:53], v52, v[42:43]
	v_lshrrev_b32_e32 v54, 3, v51
	v_sub_u32_e32 v42, 29, v55
	v_and_b32_e32 v52, 7, v52
	v_cmp_gt_u32_e32 vcc, 8, v51
	v_mov_b32_e32 v51, 24
	v_cndmask_b32_e32 v42, v54, v42, vcc
	v_cndmask_b32_e32 v50, v50, v52, vcc
	v_lshlrev_b32_sdwa v51, v51, v22 dst_sel:DWORD dst_unused:UNUSED_PAD src0_sel:DWORD src1_sel:WORD_1
	v_bfrev_b32_e32 v52, 60
	v_lshlrev_b32_e32 v50, 20, v50
	v_and_b32_e32 v51, 0x80000000, v51
	v_lshl_add_u32 v42, v42, 23, v52
	v_or3_b32 v42, v51, v42, v50
	v_lshrrev_b32_e32 v50, 16, v42
.LBB858_315:
	s_or_b64 exec, exec, s[10:11]
.LBB858_316:
	s_or_b64 exec, exec, s[8:9]
.LBB858_317:
	s_or_b64 exec, exec, s[2:3]
	s_mov_b32 s2, 0xffffff
	v_cmp_lt_u32_e32 vcc, s2, v22
	s_and_saveexec_b64 s[2:3], vcc
	s_cbranch_execz .LBB858_323
; %bb.318:
	v_lshrrev_b32_e32 v42, 24, v22
	s_movk_i32 s8, 0x80
	v_cmp_ne_u32_e32 vcc, s8, v42
	v_mov_b32_e32 v45, 0xffff8000
	s_and_saveexec_b64 s[8:9], vcc
	s_cbranch_execz .LBB858_322
; %bb.319:
	v_bfe_u32 v22, v22, 24, 7
	s_movk_i32 s10, 0x7f
	v_cmp_ne_u32_e32 vcc, s10, v22
	v_mov_b32_e32 v45, 0x7f80
	s_and_saveexec_b64 s[10:11], vcc
	s_cbranch_execz .LBB858_321
; %bb.320:
	v_and_b32_e32 v45, 7, v42
	v_ffbh_u32_e32 v52, v45
	v_min_u32_e32 v54, 32, v52
	v_subrev_u32_e32 v52, 28, v54
	v_lshlrev_b64 v[52:53], v52, v[42:43]
	v_lshrrev_b32_e32 v51, 3, v22
	v_sub_u32_e32 v53, 29, v54
	v_and_b32_e32 v52, 7, v52
	v_cmp_gt_u32_e32 vcc, 8, v22
	v_cndmask_b32_e32 v22, v51, v53, vcc
	v_cndmask_b32_e32 v45, v45, v52, vcc
	v_lshlrev_b32_e32 v42, 24, v42
	v_bfrev_b32_e32 v51, 60
	v_lshlrev_b32_e32 v45, 20, v45
	v_and_b32_e32 v42, 0x80000000, v42
	v_lshl_add_u32 v22, v22, 23, v51
	v_or3_b32 v22, v42, v22, v45
	v_lshrrev_b32_e32 v45, 16, v22
.LBB858_321:
	s_or_b64 exec, exec, s[10:11]
.LBB858_322:
	s_or_b64 exec, exec, s[8:9]
.LBB858_323:
	s_or_b64 exec, exec, s[2:3]
	v_mov_b32_e32 v42, 0
	v_cmp_ne_u16_sdwa s[8:9], v23, v42 src0_sel:BYTE_0 src1_sel:DWORD
	v_mov_b32_e32 v51, 0
	s_and_saveexec_b64 s[2:3], s[8:9]
	s_cbranch_execz .LBB858_329
; %bb.324:
	s_movk_i32 s8, 0x80
	v_cmp_ne_u16_sdwa s[10:11], v23, s8 src0_sel:BYTE_0 src1_sel:DWORD
	v_mov_b32_e32 v51, 0xffff8000
	s_and_saveexec_b64 s[8:9], s[10:11]
	s_cbranch_execz .LBB858_328
; %bb.325:
	s_movk_i32 s10, 0x7f
	v_and_b32_e32 v22, 0x7f, v23
	v_cmp_ne_u32_e32 vcc, s10, v22
	v_mov_b32_e32 v51, 0x7f80
	s_and_saveexec_b64 s[10:11], vcc
	s_cbranch_execz .LBB858_327
; %bb.326:
	v_and_b32_e32 v51, 7, v23
	v_ffbh_u32_e32 v53, v51
	v_min_u32_e32 v55, 32, v53
	v_mov_b32_e32 v52, v23
	v_subrev_u32_e32 v53, 28, v55
	v_lshlrev_b64 v[52:53], v53, v[52:53]
	v_lshrrev_b32_e32 v54, 3, v22
	v_sub_u32_e32 v53, 29, v55
	v_and_b32_e32 v52, 7, v52
	v_cmp_gt_u32_e32 vcc, 8, v22
	v_cndmask_b32_e32 v22, v54, v53, vcc
	v_cndmask_b32_e32 v51, v51, v52, vcc
	v_lshlrev_b32_e32 v52, 24, v23
	v_bfrev_b32_e32 v53, 60
	v_lshlrev_b32_e32 v51, 20, v51
	v_and_b32_e32 v52, 0x80000000, v52
	v_lshl_add_u32 v22, v22, 23, v53
	v_or3_b32 v22, v52, v22, v51
	v_lshrrev_b32_e32 v51, 16, v22
.LBB858_327:
	s_or_b64 exec, exec, s[10:11]
.LBB858_328:
	s_or_b64 exec, exec, s[8:9]
.LBB858_329:
	s_or_b64 exec, exec, s[2:3]
	v_lshrrev_b16_e32 v22, 8, v23
	v_cmp_ne_u16_e32 vcc, 0, v22
	s_and_saveexec_b64 s[2:3], vcc
	s_cbranch_execz .LBB858_335
; %bb.330:
	s_movk_i32 s8, 0x80
	v_cmp_ne_u16_e32 vcc, s8, v22
	v_mov_b32_e32 v42, 0xffff8000
	s_and_saveexec_b64 s[8:9], vcc
	s_cbranch_execz .LBB858_334
; %bb.331:
	s_movk_i32 s10, 0x7f
	v_and_b32_e32 v52, 0x7f, v22
	v_cmp_ne_u32_e32 vcc, s10, v52
	v_mov_b32_e32 v42, 0x7f80
	s_and_saveexec_b64 s[10:11], vcc
	s_cbranch_execz .LBB858_333
; %bb.332:
	v_and_b32_e32 v42, 7, v22
	v_ffbh_u32_e32 v54, v42
	v_min_u32_e32 v56, 32, v54
	v_subrev_u32_e32 v54, 28, v56
	v_lshlrev_b64 v[54:55], v54, v[22:23]
	v_lshrrev_b32_e32 v53, 3, v52
	v_sub_u32_e32 v22, 29, v56
	v_and_b32_e32 v54, 7, v54
	v_cmp_gt_u32_e32 vcc, 8, v52
	v_cndmask_b32_e32 v22, v53, v22, vcc
	v_cndmask_b32_e32 v42, v42, v54, vcc
	v_lshlrev_b32_e32 v52, 16, v23
	v_bfrev_b32_e32 v53, 60
	v_lshlrev_b32_e32 v42, 20, v42
	v_and_b32_e32 v52, 0x80000000, v52
	v_lshl_add_u32 v22, v22, 23, v53
	v_or3_b32 v22, v52, v22, v42
	v_lshrrev_b32_e32 v42, 16, v22
.LBB858_333:
	s_or_b64 exec, exec, s[10:11]
.LBB858_334:
	s_or_b64 exec, exec, s[8:9]
.LBB858_335:
	s_or_b64 exec, exec, s[2:3]
	s_movk_i32 s2, 0xff
	v_and_b32_sdwa v54, v23, s2 dst_sel:DWORD dst_unused:UNUSED_PAD src0_sel:WORD_1 src1_sel:DWORD
	v_lshrrev_b32_e32 v22, 16, v23
	v_cmp_ne_u16_e32 vcc, 0, v54
	v_mov_b32_e32 v52, 0
	v_mov_b32_e32 v53, 0
	s_and_saveexec_b64 s[2:3], vcc
	s_cbranch_execz .LBB858_341
; %bb.336:
	s_movk_i32 s8, 0x80
	v_cmp_ne_u16_e32 vcc, s8, v54
	v_mov_b32_e32 v53, 0xffff8000
	s_and_saveexec_b64 s[8:9], vcc
	s_cbranch_execz .LBB858_340
; %bb.337:
	v_bfe_u32 v54, v23, 16, 7
	s_movk_i32 s10, 0x7f
	v_cmp_ne_u32_e32 vcc, s10, v54
	v_mov_b32_e32 v53, 0x7f80
	s_and_saveexec_b64 s[10:11], vcc
	s_cbranch_execz .LBB858_339
; %bb.338:
	v_and_b32_e32 v53, 7, v22
	v_ffbh_u32_e32 v56, v53
	v_min_u32_e32 v58, 32, v56
	v_subrev_u32_e32 v56, 28, v58
	v_lshlrev_b64 v[56:57], v56, v[22:23]
	v_lshrrev_b32_e32 v55, 3, v54
	v_sub_u32_e32 v22, 29, v58
	v_and_b32_e32 v56, 7, v56
	v_cmp_gt_u32_e32 vcc, 8, v54
	v_mov_b32_e32 v54, 24
	v_cndmask_b32_e32 v22, v55, v22, vcc
	v_cndmask_b32_e32 v53, v53, v56, vcc
	v_lshlrev_b32_sdwa v54, v54, v23 dst_sel:DWORD dst_unused:UNUSED_PAD src0_sel:DWORD src1_sel:WORD_1
	v_bfrev_b32_e32 v55, 60
	v_lshlrev_b32_e32 v53, 20, v53
	v_and_b32_e32 v54, 0x80000000, v54
	v_lshl_add_u32 v22, v22, 23, v55
	v_or3_b32 v22, v54, v22, v53
	v_lshrrev_b32_e32 v53, 16, v22
.LBB858_339:
	s_or_b64 exec, exec, s[10:11]
.LBB858_340:
	s_or_b64 exec, exec, s[8:9]
.LBB858_341:
	s_or_b64 exec, exec, s[2:3]
	s_mov_b32 s2, 0xffffff
	v_cmp_lt_u32_e32 vcc, s2, v23
	s_and_saveexec_b64 s[2:3], vcc
	s_cbranch_execz .LBB858_347
; %bb.342:
	v_lshrrev_b32_e32 v22, 24, v23
	s_movk_i32 s8, 0x80
	v_cmp_ne_u32_e32 vcc, s8, v22
	v_mov_b32_e32 v52, 0xffff8000
	s_and_saveexec_b64 s[8:9], vcc
	s_cbranch_execz .LBB858_346
; %bb.343:
	v_bfe_u32 v23, v23, 24, 7
	s_movk_i32 s10, 0x7f
	v_cmp_ne_u32_e32 vcc, s10, v23
	v_mov_b32_e32 v52, 0x7f80
	s_and_saveexec_b64 s[10:11], vcc
	s_cbranch_execz .LBB858_345
; %bb.344:
	v_and_b32_e32 v52, 7, v22
	v_ffbh_u32_e32 v54, v52
	v_min_u32_e32 v57, 32, v54
	v_subrev_u32_e32 v54, 28, v57
	v_lshlrev_b64 v[54:55], v54, v[22:23]
	v_lshrrev_b32_e32 v56, 3, v23
	v_sub_u32_e32 v55, 29, v57
	v_and_b32_e32 v54, 7, v54
	v_cmp_gt_u32_e32 vcc, 8, v23
	v_cndmask_b32_e32 v23, v56, v55, vcc
	v_cndmask_b32_e32 v52, v52, v54, vcc
	v_lshlrev_b32_e32 v22, 24, v22
	v_bfrev_b32_e32 v54, 60
	v_lshlrev_b32_e32 v52, 20, v52
	v_and_b32_e32 v22, 0x80000000, v22
	v_lshl_add_u32 v23, v23, 23, v54
	v_or3_b32 v22, v22, v23, v52
	v_lshrrev_b32_e32 v52, 16, v22
.LBB858_345:
	s_or_b64 exec, exec, s[10:11]
.LBB858_346:
	s_or_b64 exec, exec, s[8:9]
.LBB858_347:
	s_or_b64 exec, exec, s[2:3]
	s_mov_b32 s2, 0x5040100
	v_perm_b32 v23, v45, v50, s2
	v_perm_b32 v22, v43, v44, s2
	s_nop 1
	v_mfma_f32_16x16x16bf16_1k v[54:57], v[22:23], v[26:27], 0
	v_perm_b32 v27, v52, v53, s2
	v_perm_b32 v26, v42, v51, s2
	v_mov_b32_e32 v23, 0
	v_cmp_ne_u16_sdwa s[8:9], v24, v23 src0_sel:BYTE_0 src1_sel:DWORD
	v_mov_b32_e32 v42, 0
	v_mfma_f32_16x16x16bf16_1k v[26:29], v[26:27], v[28:29], v[54:57]
	s_and_saveexec_b64 s[2:3], s[8:9]
	s_cbranch_execz .LBB858_353
; %bb.348:
	s_movk_i32 s8, 0x80
	v_cmp_ne_u16_sdwa s[10:11], v24, s8 src0_sel:BYTE_0 src1_sel:DWORD
	v_mov_b32_e32 v42, 0xffff8000
	s_and_saveexec_b64 s[8:9], s[10:11]
	s_cbranch_execz .LBB858_352
; %bb.349:
	s_movk_i32 s10, 0x7f
	v_and_b32_e32 v22, 0x7f, v24
	v_cmp_ne_u32_e32 vcc, s10, v22
	v_mov_b32_e32 v42, 0x7f80
	s_and_saveexec_b64 s[10:11], vcc
	s_cbranch_execz .LBB858_351
; %bb.350:
	v_and_b32_e32 v44, 7, v24
	v_ffbh_u32_e32 v42, v44
	v_min_u32_e32 v50, 32, v42
	v_subrev_u32_e32 v42, 28, v50
	v_lshlrev_b64 v[42:43], v42, v[24:25]
	v_lshrrev_b32_e32 v45, 3, v22
	v_sub_u32_e32 v43, 29, v50
	v_and_b32_e32 v42, 7, v42
	v_cmp_gt_u32_e32 vcc, 8, v22
	v_cndmask_b32_e32 v22, v45, v43, vcc
	v_cndmask_b32_e32 v42, v44, v42, vcc
	v_lshlrev_b32_e32 v43, 24, v24
	v_bfrev_b32_e32 v44, 60
	v_lshlrev_b32_e32 v42, 20, v42
	v_and_b32_e32 v43, 0x80000000, v43
	v_lshl_add_u32 v22, v22, 23, v44
	v_or3_b32 v22, v43, v22, v42
	v_lshrrev_b32_e32 v42, 16, v22
.LBB858_351:
	s_or_b64 exec, exec, s[10:11]
.LBB858_352:
	s_or_b64 exec, exec, s[8:9]
.LBB858_353:
	s_or_b64 exec, exec, s[2:3]
	v_lshrrev_b16_e32 v22, 8, v24
	v_cmp_ne_u16_e32 vcc, 0, v22
	s_and_saveexec_b64 s[2:3], vcc
	s_cbranch_execz .LBB858_359
; %bb.354:
	s_movk_i32 s8, 0x80
	v_cmp_ne_u16_e32 vcc, s8, v22
	v_mov_b32_e32 v23, 0xffff8000
	s_and_saveexec_b64 s[8:9], vcc
	s_cbranch_execz .LBB858_358
; %bb.355:
	s_movk_i32 s10, 0x7f
	v_and_b32_e32 v43, 0x7f, v22
	v_cmp_ne_u32_e32 vcc, s10, v43
	v_mov_b32_e32 v23, 0x7f80
	s_and_saveexec_b64 s[10:11], vcc
	s_cbranch_execz .LBB858_357
; %bb.356:
	v_and_b32_e32 v44, 7, v22
	v_ffbh_u32_e32 v23, v44
	v_min_u32_e32 v50, 32, v23
	v_subrev_u32_e32 v23, 28, v50
	v_lshlrev_b64 v[22:23], v23, v[22:23]
	v_lshrrev_b32_e32 v45, 3, v43
	v_sub_u32_e32 v23, 29, v50
	v_and_b32_e32 v22, 7, v22
	v_cmp_gt_u32_e32 vcc, 8, v43
	v_cndmask_b32_e32 v23, v45, v23, vcc
	v_cndmask_b32_e32 v22, v44, v22, vcc
	v_lshlrev_b32_e32 v43, 16, v24
	v_bfrev_b32_e32 v44, 60
	v_lshlrev_b32_e32 v22, 20, v22
	v_and_b32_e32 v43, 0x80000000, v43
	v_lshl_add_u32 v23, v23, 23, v44
	v_or3_b32 v22, v43, v23, v22
	v_lshrrev_b32_e32 v23, 16, v22
.LBB858_357:
	s_or_b64 exec, exec, s[10:11]
.LBB858_358:
	s_or_b64 exec, exec, s[8:9]
.LBB858_359:
	s_or_b64 exec, exec, s[2:3]
	s_movk_i32 s2, 0xff
	v_and_b32_sdwa v45, v24, s2 dst_sel:DWORD dst_unused:UNUSED_PAD src0_sel:WORD_1 src1_sel:DWORD
	v_lshrrev_b32_e32 v22, 16, v24
	v_cmp_ne_u16_e32 vcc, 0, v45
	v_mov_b32_e32 v43, 0
	v_mov_b32_e32 v44, 0
	s_and_saveexec_b64 s[2:3], vcc
	s_cbranch_execz .LBB858_365
; %bb.360:
	s_movk_i32 s8, 0x80
	v_cmp_ne_u16_e32 vcc, s8, v45
	v_mov_b32_e32 v44, 0xffff8000
	s_and_saveexec_b64 s[8:9], vcc
	s_cbranch_execz .LBB858_364
; %bb.361:
	v_bfe_u32 v45, v24, 16, 7
	s_movk_i32 s10, 0x7f
	v_cmp_ne_u32_e32 vcc, s10, v45
	v_mov_b32_e32 v44, 0x7f80
	s_and_saveexec_b64 s[10:11], vcc
	s_cbranch_execz .LBB858_363
; %bb.362:
	v_and_b32_e32 v44, 7, v22
	v_ffbh_u32_e32 v50, v44
	v_min_u32_e32 v53, 32, v50
	v_subrev_u32_e32 v50, 28, v53
	v_lshlrev_b64 v[50:51], v50, v[22:23]
	v_lshrrev_b32_e32 v52, 3, v45
	v_sub_u32_e32 v22, 29, v53
	v_and_b32_e32 v50, 7, v50
	v_cmp_gt_u32_e32 vcc, 8, v45
	v_mov_b32_e32 v45, 24
	v_cndmask_b32_e32 v22, v52, v22, vcc
	v_cndmask_b32_e32 v44, v44, v50, vcc
	v_lshlrev_b32_sdwa v45, v45, v24 dst_sel:DWORD dst_unused:UNUSED_PAD src0_sel:DWORD src1_sel:WORD_1
	v_bfrev_b32_e32 v50, 60
	v_lshlrev_b32_e32 v44, 20, v44
	v_and_b32_e32 v45, 0x80000000, v45
	v_lshl_add_u32 v22, v22, 23, v50
	v_or3_b32 v22, v45, v22, v44
	v_lshrrev_b32_e32 v44, 16, v22
.LBB858_363:
	s_or_b64 exec, exec, s[10:11]
.LBB858_364:
	s_or_b64 exec, exec, s[8:9]
.LBB858_365:
	s_or_b64 exec, exec, s[2:3]
	s_mov_b32 s2, 0xffffff
	v_cmp_lt_u32_e32 vcc, s2, v24
	s_and_saveexec_b64 s[2:3], vcc
	s_cbranch_execz .LBB858_371
; %bb.366:
	v_lshrrev_b32_e32 v22, 24, v24
	s_movk_i32 s8, 0x80
	v_cmp_ne_u32_e32 vcc, s8, v22
	v_mov_b32_e32 v43, 0xffff8000
	s_and_saveexec_b64 s[8:9], vcc
	s_cbranch_execz .LBB858_370
; %bb.367:
	v_bfe_u32 v24, v24, 24, 7
	s_movk_i32 s10, 0x7f
	v_cmp_ne_u32_e32 vcc, s10, v24
	v_mov_b32_e32 v43, 0x7f80
	s_and_saveexec_b64 s[10:11], vcc
	s_cbranch_execz .LBB858_369
; %bb.368:
	v_and_b32_e32 v43, 7, v22
	v_ffbh_u32_e32 v50, v43
	v_min_u32_e32 v52, 32, v50
	v_subrev_u32_e32 v50, 28, v52
	v_lshlrev_b64 v[50:51], v50, v[22:23]
	v_lshrrev_b32_e32 v45, 3, v24
	v_sub_u32_e32 v51, 29, v52
	v_and_b32_e32 v50, 7, v50
	v_cmp_gt_u32_e32 vcc, 8, v24
	v_cndmask_b32_e32 v24, v45, v51, vcc
	v_cndmask_b32_e32 v43, v43, v50, vcc
	v_lshlrev_b32_e32 v22, 24, v22
	v_bfrev_b32_e32 v45, 60
	v_lshlrev_b32_e32 v43, 20, v43
	v_and_b32_e32 v22, 0x80000000, v22
	v_lshl_add_u32 v24, v24, 23, v45
	v_or3_b32 v22, v22, v24, v43
	v_lshrrev_b32_e32 v43, 16, v22
.LBB858_369:
	s_or_b64 exec, exec, s[10:11]
.LBB858_370:
	s_or_b64 exec, exec, s[8:9]
.LBB858_371:
	s_or_b64 exec, exec, s[2:3]
	v_mov_b32_e32 v24, 0
	v_cmp_ne_u16_sdwa s[8:9], v25, v24 src0_sel:BYTE_0 src1_sel:DWORD
	v_mov_b32_e32 v50, 0
	s_and_saveexec_b64 s[2:3], s[8:9]
	s_cbranch_execz .LBB858_377
; %bb.372:
	s_movk_i32 s8, 0x80
	v_cmp_ne_u16_sdwa s[10:11], v25, s8 src0_sel:BYTE_0 src1_sel:DWORD
	v_mov_b32_e32 v50, 0xffff8000
	s_and_saveexec_b64 s[8:9], s[10:11]
	s_cbranch_execz .LBB858_376
; %bb.373:
	s_movk_i32 s10, 0x7f
	v_and_b32_e32 v22, 0x7f, v25
	v_cmp_ne_u32_e32 vcc, s10, v22
	v_mov_b32_e32 v50, 0x7f80
	s_and_saveexec_b64 s[10:11], vcc
	s_cbranch_execz .LBB858_375
; %bb.374:
	v_and_b32_e32 v45, 7, v25
	v_ffbh_u32_e32 v51, v45
	v_min_u32_e32 v53, 32, v51
	v_mov_b32_e32 v50, v25
	v_subrev_u32_e32 v51, 28, v53
	v_lshlrev_b64 v[50:51], v51, v[50:51]
	v_lshrrev_b32_e32 v52, 3, v22
	v_sub_u32_e32 v51, 29, v53
	v_and_b32_e32 v50, 7, v50
	v_cmp_gt_u32_e32 vcc, 8, v22
	v_cndmask_b32_e32 v22, v52, v51, vcc
	v_cndmask_b32_e32 v45, v45, v50, vcc
	v_lshlrev_b32_e32 v50, 24, v25
	v_bfrev_b32_e32 v51, 60
	v_lshlrev_b32_e32 v45, 20, v45
	v_and_b32_e32 v50, 0x80000000, v50
	v_lshl_add_u32 v22, v22, 23, v51
	v_or3_b32 v22, v50, v22, v45
	v_lshrrev_b32_e32 v50, 16, v22
.LBB858_375:
	s_or_b64 exec, exec, s[10:11]
.LBB858_376:
	s_or_b64 exec, exec, s[8:9]
.LBB858_377:
	s_or_b64 exec, exec, s[2:3]
	v_lshrrev_b16_e32 v22, 8, v25
	v_cmp_ne_u16_e32 vcc, 0, v22
	s_and_saveexec_b64 s[2:3], vcc
	s_cbranch_execz .LBB858_383
; %bb.378:
	s_movk_i32 s8, 0x80
	v_cmp_ne_u16_e32 vcc, s8, v22
	v_mov_b32_e32 v24, 0xffff8000
	s_and_saveexec_b64 s[8:9], vcc
	s_cbranch_execz .LBB858_382
; %bb.379:
	s_movk_i32 s10, 0x7f
	v_and_b32_e32 v45, 0x7f, v22
	v_cmp_ne_u32_e32 vcc, s10, v45
	v_mov_b32_e32 v24, 0x7f80
	s_and_saveexec_b64 s[10:11], vcc
	s_cbranch_execz .LBB858_381
; %bb.380:
	v_and_b32_e32 v24, 7, v22
	v_ffbh_u32_e32 v52, v24
	v_min_u32_e32 v54, 32, v52
	v_subrev_u32_e32 v52, 28, v54
	v_lshlrev_b64 v[52:53], v52, v[22:23]
	v_lshrrev_b32_e32 v51, 3, v45
	v_sub_u32_e32 v22, 29, v54
	v_and_b32_e32 v52, 7, v52
	v_cmp_gt_u32_e32 vcc, 8, v45
	v_cndmask_b32_e32 v22, v51, v22, vcc
	v_cndmask_b32_e32 v24, v24, v52, vcc
	v_lshlrev_b32_e32 v45, 16, v25
	v_bfrev_b32_e32 v51, 60
	v_lshlrev_b32_e32 v24, 20, v24
	v_and_b32_e32 v45, 0x80000000, v45
	v_lshl_add_u32 v22, v22, 23, v51
	v_or3_b32 v22, v45, v22, v24
	v_lshrrev_b32_e32 v24, 16, v22
.LBB858_381:
	s_or_b64 exec, exec, s[10:11]
.LBB858_382:
	s_or_b64 exec, exec, s[8:9]
.LBB858_383:
	s_or_b64 exec, exec, s[2:3]
	s_movk_i32 s2, 0xff
	v_and_b32_sdwa v45, v25, s2 dst_sel:DWORD dst_unused:UNUSED_PAD src0_sel:WORD_1 src1_sel:DWORD
	v_lshrrev_b32_e32 v22, 16, v25
	v_cmp_ne_u16_e32 vcc, 0, v45
	v_mov_b32_e32 v51, 0
	v_mov_b32_e32 v52, 0
	s_and_saveexec_b64 s[2:3], vcc
	s_cbranch_execz .LBB858_389
; %bb.384:
	s_movk_i32 s8, 0x80
	v_cmp_ne_u16_e32 vcc, s8, v45
	v_mov_b32_e32 v52, 0xffff8000
	s_and_saveexec_b64 s[8:9], vcc
	s_cbranch_execz .LBB858_388
; %bb.385:
	v_bfe_u32 v45, v25, 16, 7
	s_movk_i32 s10, 0x7f
	v_cmp_ne_u32_e32 vcc, s10, v45
	v_mov_b32_e32 v52, 0x7f80
	s_and_saveexec_b64 s[10:11], vcc
	s_cbranch_execz .LBB858_387
; %bb.386:
	v_and_b32_e32 v54, 7, v22
	v_ffbh_u32_e32 v52, v54
	v_min_u32_e32 v56, 32, v52
	v_subrev_u32_e32 v52, 28, v56
	v_lshlrev_b64 v[52:53], v52, v[22:23]
	v_and_b32_e32 v52, 7, v52
	v_cmp_gt_u32_e32 vcc, 8, v45
	v_lshrrev_b32_e32 v55, 3, v45
	v_sub_u32_e32 v22, 29, v56
	v_cndmask_b32_e32 v45, v54, v52, vcc
	v_mov_b32_e32 v52, 24
	v_cndmask_b32_e32 v22, v55, v22, vcc
	v_lshlrev_b32_sdwa v52, v52, v25 dst_sel:DWORD dst_unused:UNUSED_PAD src0_sel:DWORD src1_sel:WORD_1
	v_bfrev_b32_e32 v53, 60
	v_lshlrev_b32_e32 v45, 20, v45
	v_and_b32_e32 v52, 0x80000000, v52
	v_lshl_add_u32 v22, v22, 23, v53
	v_or3_b32 v22, v52, v22, v45
	v_lshrrev_b32_e32 v52, 16, v22
.LBB858_387:
	s_or_b64 exec, exec, s[10:11]
.LBB858_388:
	s_or_b64 exec, exec, s[8:9]
.LBB858_389:
	s_or_b64 exec, exec, s[2:3]
	s_mov_b32 s2, 0xffffff
	v_and_b32_e32 v45, 63, v0
	v_cmp_lt_u32_e32 vcc, s2, v25
	s_and_saveexec_b64 s[2:3], vcc
	s_cbranch_execz .LBB858_395
; %bb.390:
	v_lshrrev_b32_e32 v22, 24, v25
	s_movk_i32 s8, 0x80
	v_cmp_ne_u32_e32 vcc, s8, v22
	v_mov_b32_e32 v51, 0xffff8000
	s_and_saveexec_b64 s[8:9], vcc
	s_cbranch_execz .LBB858_394
; %bb.391:
	v_bfe_u32 v25, v25, 24, 7
	s_movk_i32 s10, 0x7f
	v_cmp_ne_u32_e32 vcc, s10, v25
	v_mov_b32_e32 v51, 0x7f80
	s_and_saveexec_b64 s[10:11], vcc
	s_cbranch_execz .LBB858_393
; %bb.392:
	v_and_b32_e32 v51, 7, v22
	v_ffbh_u32_e32 v54, v51
	v_min_u32_e32 v56, 32, v54
	v_subrev_u32_e32 v54, 28, v56
	v_lshlrev_b64 v[54:55], v54, v[22:23]
	v_lshrrev_b32_e32 v53, 3, v25
	v_sub_u32_e32 v55, 29, v56
	v_and_b32_e32 v54, 7, v54
	v_cmp_gt_u32_e32 vcc, 8, v25
	v_cndmask_b32_e32 v25, v53, v55, vcc
	v_cndmask_b32_e32 v51, v51, v54, vcc
	v_lshlrev_b32_e32 v22, 24, v22
	v_bfrev_b32_e32 v53, 60
	v_lshlrev_b32_e32 v51, 20, v51
	v_and_b32_e32 v22, 0x80000000, v22
	v_lshl_add_u32 v25, v25, 23, v53
	v_or3_b32 v22, v22, v25, v51
	v_lshrrev_b32_e32 v51, 16, v22
.LBB858_393:
	s_or_b64 exec, exec, s[10:11]
.LBB858_394:
	s_or_b64 exec, exec, s[8:9]
.LBB858_395:
	s_or_b64 exec, exec, s[2:3]
	s_mov_b32 s3, 0x5040100
	v_perm_b32 v43, v43, v44, s3
	v_perm_b32 v42, v23, v42, s3
	s_load_dword s2, s[4:5], 0x1c
	s_mov_b32 s46, 0xff7fffff
	s_waitcnt lgkmcnt(0)
	v_mfma_f32_16x16x16bf16_1k v[26:29], v[42:43], v[18:19], v[26:29]
	v_perm_b32 v19, v51, v52, s3
	v_perm_b32 v18, v24, v50, s3
	v_and_b32_e32 v24, 0xc0, v0
	v_mov_b32_e32 v22, s2
	v_add_u32_e32 v24, s20, v24
	v_mul_f32_e32 v44, s12, v22
	v_lshl_or_b32 v42, v1, 2, v24
	v_mfma_f32_16x16x16bf16_1k v[18:21], v[18:19], v[20:21], v[26:29]
	v_pk_mul_f32 v[22:23], v[44:45], v[36:37] op_sel_hi:[0,1]
	v_pk_mul_f32 v[36:37], v[44:45], v[40:41] op_sel_hi:[0,1]
	;; [unrolled: 1-line block ×4, first 2 shown]
	v_mov_b32_e32 v43, 0xff7fffff
	v_cmp_gt_i32_e64 s[26:27], s33, v42
	v_pk_mul_f32 v[38:39], v[44:45], v[38:39] op_sel_hi:[0,1]
	s_nop 3
	v_pk_mul_f32 v[32:33], v[44:45], v[18:19] op_sel_hi:[0,1]
	v_or_b32_e32 v19, 1, v42
	v_cmp_gt_i32_e64 s[28:29], s33, v19
	v_cndmask_b32_e64 v18, v43, v30, s[26:27]
	v_cndmask_b32_e64 v19, v43, v31, s[28:29]
	v_pk_mul_f32 v[24:25], v[44:45], v[20:21] op_sel_hi:[0,1]
	v_max3_f32 v18, v18, s46, v19
	v_or_b32_e32 v19, 2, v42
	v_or_b32_e32 v20, 3, v42
	v_cmp_gt_i32_e64 s[30:31], s33, v19
	v_cmp_gt_i32_e64 s[34:35], s33, v20
	v_cndmask_b32_e64 v19, v43, v40, s[30:31]
	v_cndmask_b32_e64 v20, v43, v41, s[34:35]
	v_max3_f32 v18, v18, v19, v20
	v_or_b32_e32 v19, 16, v42
	v_or_b32_e32 v20, 17, v42
	v_cmp_gt_i32_e64 s[36:37], s33, v19
	v_cmp_gt_i32_e64 s[38:39], s33, v20
	v_cndmask_b32_e64 v19, v43, v38, s[36:37]
	v_cndmask_b32_e64 v20, v43, v39, s[38:39]
	;; [unrolled: 7-line block ×3, first 2 shown]
	v_max3_f32 v18, v18, v19, v20
	v_or_b32_e32 v19, 32, v42
	v_or_b32_e32 v20, 33, v42
	v_pk_mul_f32 v[34:35], v[44:45], v[34:35] op_sel_hi:[0,1]
	v_cmp_gt_i32_e64 s[16:17], s33, v19
	v_cmp_gt_i32_e64 s[18:19], s33, v20
	v_cndmask_b32_e64 v19, v43, v34, s[16:17]
	v_cndmask_b32_e64 v20, v43, v35, s[18:19]
	v_max3_f32 v18, v18, v19, v20
	v_or_b32_e32 v19, 34, v42
	v_or_b32_e32 v20, 35, v42
	v_cmp_gt_i32_e64 s[12:13], s33, v19
	v_cmp_gt_i32_e64 s[14:15], s33, v20
	v_cndmask_b32_e64 v19, v43, v22, s[12:13]
	v_cndmask_b32_e64 v20, v43, v23, s[14:15]
	v_max3_f32 v18, v18, v19, v20
	v_or_b32_e32 v19, 48, v42
	v_or_b32_e32 v20, 49, v42
	;; [unrolled: 7-line block ×3, first 2 shown]
	v_cmp_gt_i32_e32 vcc, s33, v19
	v_cmp_gt_i32_e64 s[2:3], s33, v20
	v_cndmask_b32_e32 v19, v43, v24, vcc
	v_cndmask_b32_e64 v20, v43, v25, s[2:3]
	v_max3_f32 v18, v18, v19, v20
	v_mbcnt_lo_u32_b32 v19, -1, 0
	v_mbcnt_hi_u32_b32 v19, -1, v19
	v_and_b32_e32 v20, 64, v19
	v_add_u32_e32 v20, 64, v20
	v_xor_b32_e32 v21, 32, v19
	v_cmp_lt_i32_e64 s[40:41], v21, v20
	v_cndmask_b32_e64 v21, v19, v21, s[40:41]
	v_lshlrev_b32_e32 v43, 2, v21
	ds_bpermute_b32 v21, v43, v18
	s_barrier
	s_waitcnt lgkmcnt(0)
	v_max_f32_e32 v21, v21, v21
	v_max_f32_e32 v18, v18, v21
	v_xor_b32_e32 v21, 16, v19
	v_cmp_lt_i32_e64 s[40:41], v21, v20
	v_cndmask_b32_e64 v19, v19, v21, s[40:41]
	v_lshlrev_b32_e32 v44, 2, v19
	ds_bpermute_b32 v19, v44, v18
	s_waitcnt lgkmcnt(0)
	v_max_f32_e32 v19, v19, v19
	v_max_f32_e32 v42, v18, v19
	v_sub_f32_e32 v21, v40, v42
	v_sub_f32_e32 v26, v41, v42
	v_mul_f32_e32 v21, 0x3fb8aa3b, v21
	v_mul_f32_e32 v26, 0x3fb8aa3b, v26
	v_sub_f32_e32 v18, v30, v42
	v_exp_f32_e32 v21, v21
	v_exp_f32_e32 v26, v26
	v_mul_f32_e32 v18, 0x3fb8aa3b, v18
	v_sub_f32_e32 v19, v31, v42
	v_exp_f32_e32 v18, v18
	v_mul_f32_e32 v19, 0x3fb8aa3b, v19
	v_exp_f32_e32 v19, v19
	v_cndmask_b32_e64 v28, 0, v21, s[30:31]
	v_cndmask_b32_e64 v29, 0, v26, s[34:35]
	v_sub_f32_e32 v21, v38, v42
	v_sub_f32_e32 v26, v39, v42
	v_mul_f32_e32 v21, 0x3fb8aa3b, v21
	v_mul_f32_e32 v26, 0x3fb8aa3b, v26
	v_cndmask_b32_e64 v18, 0, v18, s[26:27]
	v_exp_f32_e32 v21, v21
	v_exp_f32_e32 v26, v26
	v_add_f32_e32 v20, 0, v18
	v_cndmask_b32_e64 v19, 0, v19, s[28:29]
	v_add_f32_e32 v20, v20, v19
	v_add_f32_e32 v20, v20, v28
	;; [unrolled: 1-line block ×3, first 2 shown]
	v_cndmask_b32_e64 v20, 0, v21, s[36:37]
	v_cndmask_b32_e64 v21, 0, v26, s[38:39]
	v_sub_f32_e32 v26, v36, v42
	v_mul_f32_e32 v26, 0x3fb8aa3b, v26
	v_exp_f32_e32 v26, v26
	v_sub_f32_e32 v30, v37, v42
	v_add_f32_e32 v27, v27, v20
	v_mul_f32_e32 v30, 0x3fb8aa3b, v30
	v_exp_f32_e32 v31, v30
	v_add_f32_e32 v27, v27, v21
	v_cndmask_b32_e64 v30, 0, v26, s[20:21]
	v_add_f32_e32 v26, v27, v30
	v_sub_f32_e32 v27, v34, v42
	v_mul_f32_e32 v27, 0x3fb8aa3b, v27
	v_sub_f32_e32 v34, v35, v42
	v_exp_f32_e32 v27, v27
	v_mul_f32_e32 v34, 0x3fb8aa3b, v34
	v_sub_f32_e32 v22, v22, v42
	v_exp_f32_e32 v34, v34
	;; [unrolled: 3-line block ×3, first 2 shown]
	v_mul_f32_e32 v23, 0x3fb8aa3b, v23
	v_cndmask_b32_e64 v31, 0, v31, s[22:23]
	v_exp_f32_e32 v23, v23
	v_add_f32_e32 v35, v26, v31
	v_cndmask_b32_e64 v26, 0, v27, s[16:17]
	v_add_f32_e32 v35, v35, v26
	v_cndmask_b32_e64 v27, 0, v34, s[18:19]
	;; [unrolled: 2-line block ×4, first 2 shown]
	v_sub_f32_e32 v23, v32, v42
	v_mul_f32_e32 v23, 0x3fb8aa3b, v23
	v_sub_f32_e32 v32, v33, v42
	v_exp_f32_e32 v23, v23
	v_mul_f32_e32 v32, 0x3fb8aa3b, v32
	v_sub_f32_e32 v24, v24, v42
	v_exp_f32_e32 v32, v32
	;; [unrolled: 3-line block ×3, first 2 shown]
	v_mul_f32_e32 v25, 0x3fb8aa3b, v25
	v_exp_f32_e32 v25, v25
	v_add_f32_e32 v33, v22, v35
	v_cndmask_b32_e64 v22, 0, v23, s[8:9]
	v_add_f32_e32 v33, v33, v22
	v_cndmask_b32_e64 v23, 0, v32, s[10:11]
	v_add_f32_e32 v32, v33, v23
	v_cndmask_b32_e32 v24, 0, v24, vcc
	v_add_f32_e32 v32, v32, v24
	v_cndmask_b32_e64 v25, 0, v25, s[2:3]
	v_add_f32_e32 v32, v32, v25
	ds_bpermute_b32 v33, v43, v32
	v_cmp_gt_u32_e64 s[2:3], 16, v45
	s_waitcnt lgkmcnt(0)
	v_add_f32_e32 v32, v32, v33
	ds_bpermute_b32 v36, v44, v32
	v_lshlrev_b32_e32 v33, 2, v48
	s_and_saveexec_b64 s[8:9], s[2:3]
	s_cbranch_execz .LBB858_397
; %bb.396:
	s_waitcnt lgkmcnt(0)
	v_add_f32_e32 v32, v32, v36
	v_lshl_or_b32 v36, v49, 6, v33
	ds_write2st64_b32 v36, v42, v32 offset1:1
.LBB858_397:
	s_or_b64 exec, exec, s[8:9]
	s_waitcnt lgkmcnt(0)
	s_barrier
	ds_read2_b32 v[36:37], v33 offset1:16
	ds_read2_b32 v[38:39], v33 offset0:32 offset1:48
	ds_read2_b32 v[40:41], v33 offset0:64 offset1:80
	s_mul_i32 s14, s45, 13
	s_waitcnt lgkmcnt(2)
	v_max3_f32 v32, v36, s46, v37
	s_waitcnt lgkmcnt(1)
	v_max3_f32 v32, v32, v38, v39
	v_sub_f32_e32 v36, v36, v32
	v_mul_f32_e32 v36, 0x3fb8aa3b, v36
	v_exp_f32_e32 v42, v36
	v_sub_f32_e32 v36, v37, v32
	v_mul_f32_e32 v36, 0x3fb8aa3b, v36
	v_exp_f32_e32 v43, v36
	;; [unrolled: 3-line block ×3, first 2 shown]
	ds_read2_b32 v[36:37], v33 offset0:96 offset1:112
	v_sub_f32_e32 v33, v39, v32
	v_mul_f32_e32 v33, 0x3fb8aa3b, v33
	v_exp_f32_e32 v39, v33
	s_waitcnt lgkmcnt(1)
	v_fma_f32 v33, v42, v40, 0
	v_fmac_f32_e32 v33, v43, v41
	s_waitcnt lgkmcnt(0)
	v_fmac_f32_e32 v33, v38, v36
	v_fmac_f32_e32 v33, v39, v37
	v_add_f32_e32 v36, 0x358637bd, v33
	v_div_scale_f32 v37, s[8:9], v36, v36, 1.0
	v_rcp_f32_e32 v40, v37
	s_movk_i32 s8, 0x7fff
	s_mov_b32 s9, 0x7060302
	v_fma_f32 v41, -v37, v40, 1.0
	v_fmac_f32_e32 v40, v41, v40
	v_div_scale_f32 v41, vcc, 1.0, v36, 1.0
	v_mul_f32_e32 v44, v41, v40
	v_fma_f32 v45, -v37, v44, v41
	v_fmac_f32_e32 v44, v45, v40
	v_fma_f32 v37, -v37, v44, v41
	v_div_fmas_f32 v37, v37, v40, v44
	v_cmp_eq_u32_e32 vcc, 1, v49
	v_div_fixup_f32 v36, v37, v36, 1.0
	v_cndmask_b32_e32 v37, v42, v43, vcc
	v_cmp_eq_u32_e32 vcc, 2, v49
	v_cndmask_b32_e32 v37, v37, v38, vcc
	v_cmp_eq_u32_e32 vcc, 3, v49
	v_cndmask_b32_e32 v37, v37, v39, vcc
	v_mul_f32_e32 v36, v37, v36
	v_pk_mul_f32 v[18:19], v[36:37], v[18:19] op_sel_hi:[0,1]
	v_pk_mul_f32 v[28:29], v[36:37], v[28:29] op_sel_hi:[0,1]
	v_bfe_u32 v37, v19, 16, 1
	v_bfe_u32 v38, v18, 16, 1
	v_add3_u32 v18, v18, v38, s8
	v_add3_u32 v19, v19, v37, s8
	v_perm_b32 v38, v19, v18, s9
	v_bfe_u32 v18, v29, 16, 1
	v_bfe_u32 v19, v28, 16, 1
	v_add3_u32 v19, v28, v19, s8
	v_add3_u32 v18, v29, v18, s8
	v_perm_b32 v39, v18, v19, s9
	v_lshlrev_b32_e32 v18, 3, v1
	v_lshlrev_b32_e32 v19, 5, v48
	;; [unrolled: 1-line block ×3, first 2 shown]
	v_pk_mul_f32 v[20:21], v[36:37], v[20:21] op_sel_hi:[0,1]
	v_or3_b32 v28, v28, v19, v18
	v_bfe_u32 v18, v21, 16, 1
	v_bfe_u32 v29, v20, 16, 1
	v_pk_mul_f32 v[30:31], v[36:37], v[30:31] op_sel_hi:[0,1]
	v_add3_u32 v20, v20, v29, s8
	v_add3_u32 v18, v21, v18, s8
	v_perm_b32 v20, v18, v20, s9
	v_bfe_u32 v18, v31, 16, 1
	v_bfe_u32 v21, v30, 16, 1
	v_add3_u32 v21, v30, v21, s8
	v_add3_u32 v18, v31, v18, s8
	v_pk_mul_f32 v[26:27], v[36:37], v[26:27] op_sel_hi:[0,1]
	v_perm_b32 v21, v18, v21, s9
	v_bfe_u32 v18, v27, 16, 1
	v_bfe_u32 v29, v26, 16, 1
	s_barrier
	ds_write2st64_b64 v28, v[38:39], v[20:21] offset1:1
	v_pk_mul_f32 v[20:21], v[36:37], v[34:35] op_sel_hi:[0,1]
	v_add3_u32 v26, v26, v29, s8
	v_add3_u32 v18, v27, v18, s8
	v_perm_b32 v26, v18, v26, s9
	v_bfe_u32 v18, v21, 16, 1
	v_bfe_u32 v27, v20, 16, 1
	v_add3_u32 v20, v20, v27, s8
	v_add3_u32 v18, v21, v18, s8
	v_pk_mul_f32 v[22:23], v[36:37], v[22:23] op_sel_hi:[0,1]
	v_perm_b32 v27, v18, v20, s9
	v_pk_mul_f32 v[20:21], v[36:37], v[24:25] op_sel_hi:[0,1]
	v_bfe_u32 v18, v23, 16, 1
	v_bfe_u32 v24, v22, 16, 1
	v_add3_u32 v22, v22, v24, s8
	v_add3_u32 v18, v23, v18, s8
	v_perm_b32 v22, v18, v22, s9
	v_bfe_u32 v18, v21, 16, 1
	v_bfe_u32 v23, v20, 16, 1
	v_add3_u32 v20, v20, v23, s8
	v_add3_u32 v18, v21, v18, s8
	v_perm_b32 v23, v18, v20, s9
	v_cmp_gt_u32_e32 vcc, 13, v0
	ds_write2st64_b64 v28, v[26:27], v[22:23] offset0:2 offset1:3
	s_and_saveexec_b64 s[8:9], vcc
	s_cbranch_execz .LBB858_399
; %bb.398:
	v_add_co_u32_e32 v22, vcc, s25, v48
	v_addc_co_u32_e64 v23, s[10:11], 0, 0, vcc
	v_mov_b32_e32 v18, s14
	v_mov_b32_e32 v21, 0
	v_mad_u64_u32 v[22:23], s[10:11], s6, v18, v[22:23]
	v_mov_b32_e32 v20, s24
	s_load_dwordx4 s[16:19], s[4:5], 0x58
	s_mul_i32 s7, s7, s14
	v_mad_u64_u32 v[20:21], s[10:11], v22, s44, v[20:21]
	v_add_u32_e32 v23, s7, v23
	v_mov_b32_e32 v18, v21
	v_mad_u64_u32 v[22:23], s[10:11], v23, s44, v[18:19]
	v_mov_b32_e32 v21, v22
	v_lshlrev_b64 v[20:21], 2, v[20:21]
	s_waitcnt lgkmcnt(0)
	v_mov_b32_e32 v18, s19
	v_add_co_u32_e32 v22, vcc, s18, v20
	v_addc_co_u32_e32 v23, vcc, v18, v21, vcc
	v_mov_b32_e32 v18, s17
	v_add_co_u32_e32 v20, vcc, s16, v20
	v_addc_co_u32_e32 v21, vcc, v18, v21, vcc
	global_store_dword v[22:23], v32, off
	global_store_dword v[20:21], v33, off
.LBB858_399:
	s_or_b64 exec, exec, s[8:9]
	v_mov_b32_e32 v20, 0
	s_waitcnt vmcnt(3)
	v_cmp_ne_u16_sdwa s[10:11], v14, v20 src0_sel:BYTE_0 src1_sel:DWORD
	v_mov_b32_e32 v21, 0
	s_waitcnt lgkmcnt(0)
	s_barrier
	s_and_saveexec_b64 s[8:9], s[10:11]
	s_cbranch_execz .LBB858_405
; %bb.400:
	s_movk_i32 s7, 0x80
	v_cmp_ne_u16_sdwa s[12:13], v14, s7 src0_sel:BYTE_0 src1_sel:DWORD
	v_mov_b32_e32 v21, 0xffff8000
	s_and_saveexec_b64 s[10:11], s[12:13]
	s_cbranch_execz .LBB858_404
; %bb.401:
	s_movk_i32 s7, 0x7f
	v_and_b32_e32 v18, 0x7f, v14
	v_cmp_ne_u32_e32 vcc, s7, v18
	v_mov_b32_e32 v21, 0x7f80
	s_and_saveexec_b64 s[12:13], vcc
	s_cbranch_execz .LBB858_403
; %bb.402:
	v_and_b32_e32 v21, 7, v14
	v_ffbh_u32_e32 v22, v21
	v_min_u32_e32 v25, 32, v22
	v_subrev_u32_e32 v22, 28, v25
	v_lshlrev_b64 v[22:23], v22, v[14:15]
	v_lshrrev_b32_e32 v24, 3, v18
	v_sub_u32_e32 v23, 29, v25
	v_and_b32_e32 v22, 7, v22
	v_cmp_gt_u32_e32 vcc, 8, v18
	v_cndmask_b32_e32 v18, v24, v23, vcc
	v_cndmask_b32_e32 v21, v21, v22, vcc
	v_lshlrev_b32_e32 v22, 24, v14
	v_bfrev_b32_e32 v23, 60
	v_lshlrev_b32_e32 v21, 20, v21
	v_and_b32_e32 v22, 0x80000000, v22
	v_lshl_add_u32 v18, v18, 23, v23
	v_or3_b32 v18, v22, v18, v21
	v_lshrrev_b32_e32 v21, 16, v18
.LBB858_403:
	s_or_b64 exec, exec, s[12:13]
.LBB858_404:
	s_or_b64 exec, exec, s[10:11]
.LBB858_405:
	s_or_b64 exec, exec, s[8:9]
	v_lshrrev_b16_e32 v18, 8, v14
	v_cmp_ne_u16_e32 vcc, 0, v18
	s_and_saveexec_b64 s[8:9], vcc
	s_cbranch_execz .LBB858_411
; %bb.406:
	s_movk_i32 s7, 0x80
	v_cmp_ne_u16_e32 vcc, s7, v18
	v_mov_b32_e32 v20, 0xffff8000
	s_and_saveexec_b64 s[10:11], vcc
	s_cbranch_execz .LBB858_410
; %bb.407:
	s_movk_i32 s7, 0x7f
	v_and_b32_e32 v22, 0x7f, v18
	v_cmp_ne_u32_e32 vcc, s7, v22
	v_mov_b32_e32 v20, 0x7f80
	s_and_saveexec_b64 s[12:13], vcc
	s_cbranch_execz .LBB858_409
; %bb.408:
	v_and_b32_e32 v20, 7, v18
	v_ffbh_u32_e32 v24, v20
	v_min_u32_e32 v26, 32, v24
	v_subrev_u32_e32 v24, 28, v26
	v_lshlrev_b64 v[24:25], v24, v[18:19]
	v_lshrrev_b32_e32 v23, 3, v22
	v_sub_u32_e32 v18, 29, v26
	v_and_b32_e32 v24, 7, v24
	v_cmp_gt_u32_e32 vcc, 8, v22
	v_cndmask_b32_e32 v18, v23, v18, vcc
	v_cndmask_b32_e32 v20, v20, v24, vcc
	v_lshlrev_b32_e32 v22, 16, v14
	v_bfrev_b32_e32 v23, 60
	v_lshlrev_b32_e32 v20, 20, v20
	v_and_b32_e32 v22, 0x80000000, v22
	v_lshl_add_u32 v18, v18, 23, v23
	v_or3_b32 v18, v22, v18, v20
	v_lshrrev_b32_e32 v20, 16, v18
.LBB858_409:
	s_or_b64 exec, exec, s[12:13]
.LBB858_410:
	s_or_b64 exec, exec, s[10:11]
.LBB858_411:
	s_or_b64 exec, exec, s[8:9]
	s_movk_i32 s7, 0xff
	v_and_b32_sdwa v24, v14, s7 dst_sel:DWORD dst_unused:UNUSED_PAD src0_sel:WORD_1 src1_sel:DWORD
	v_lshrrev_b32_e32 v18, 16, v14
	v_cmp_ne_u16_e32 vcc, 0, v24
	v_mov_b32_e32 v22, 0
	v_mov_b32_e32 v23, 0
	s_and_saveexec_b64 s[8:9], vcc
	s_cbranch_execz .LBB858_417
; %bb.412:
	s_movk_i32 s7, 0x80
	v_cmp_ne_u16_e32 vcc, s7, v24
	v_mov_b32_e32 v23, 0xffff8000
	s_and_saveexec_b64 s[10:11], vcc
	s_cbranch_execz .LBB858_416
; %bb.413:
	v_bfe_u32 v24, v14, 16, 7
	s_movk_i32 s7, 0x7f
	v_cmp_ne_u32_e32 vcc, s7, v24
	v_mov_b32_e32 v23, 0x7f80
	s_and_saveexec_b64 s[12:13], vcc
	s_cbranch_execz .LBB858_415
; %bb.414:
	v_and_b32_e32 v23, 7, v18
	v_ffbh_u32_e32 v26, v23
	v_min_u32_e32 v29, 32, v26
	v_subrev_u32_e32 v26, 28, v29
	v_lshlrev_b64 v[26:27], v26, v[18:19]
	v_lshrrev_b32_e32 v25, 3, v24
	v_sub_u32_e32 v18, 29, v29
	v_and_b32_e32 v26, 7, v26
	v_cmp_gt_u32_e32 vcc, 8, v24
	v_mov_b32_e32 v24, 24
	v_cndmask_b32_e32 v18, v25, v18, vcc
	v_cndmask_b32_e32 v23, v23, v26, vcc
	v_lshlrev_b32_sdwa v24, v24, v14 dst_sel:DWORD dst_unused:UNUSED_PAD src0_sel:DWORD src1_sel:WORD_1
	v_bfrev_b32_e32 v25, 60
	v_lshlrev_b32_e32 v23, 20, v23
	v_and_b32_e32 v24, 0x80000000, v24
	v_lshl_add_u32 v18, v18, 23, v25
	v_or3_b32 v18, v24, v18, v23
	v_lshrrev_b32_e32 v23, 16, v18
.LBB858_415:
	s_or_b64 exec, exec, s[12:13]
.LBB858_416:
	s_or_b64 exec, exec, s[10:11]
.LBB858_417:
	s_or_b64 exec, exec, s[8:9]
	s_mov_b32 s7, 0xffffff
	v_cmp_lt_u32_e32 vcc, s7, v14
	s_and_saveexec_b64 s[8:9], vcc
	s_cbranch_execz .LBB858_423
; %bb.418:
	v_lshrrev_b32_e32 v18, 24, v14
	s_movk_i32 s7, 0x80
	v_cmp_ne_u32_e32 vcc, s7, v18
	v_mov_b32_e32 v22, 0xffff8000
	s_and_saveexec_b64 s[10:11], vcc
	s_cbranch_execz .LBB858_422
; %bb.419:
	v_bfe_u32 v14, v14, 24, 7
	s_movk_i32 s7, 0x7f
	v_cmp_ne_u32_e32 vcc, s7, v14
	v_mov_b32_e32 v22, 0x7f80
	s_and_saveexec_b64 s[12:13], vcc
	s_cbranch_execz .LBB858_421
; %bb.420:
	v_and_b32_e32 v22, 7, v18
	v_ffbh_u32_e32 v24, v22
	v_min_u32_e32 v27, 32, v24
	v_subrev_u32_e32 v24, 28, v27
	v_lshlrev_b64 v[24:25], v24, v[18:19]
	v_lshrrev_b32_e32 v26, 3, v14
	v_sub_u32_e32 v25, 29, v27
	v_and_b32_e32 v24, 7, v24
	v_cmp_gt_u32_e32 vcc, 8, v14
	v_cndmask_b32_e32 v14, v26, v25, vcc
	v_cndmask_b32_e32 v22, v22, v24, vcc
	v_lshlrev_b32_e32 v18, 24, v18
	v_bfrev_b32_e32 v24, 60
	v_lshlrev_b32_e32 v22, 20, v22
	v_and_b32_e32 v18, 0x80000000, v18
	v_lshl_add_u32 v14, v14, 23, v24
	v_or3_b32 v14, v18, v14, v22
	v_lshrrev_b32_e32 v22, 16, v14
.LBB858_421:
	s_or_b64 exec, exec, s[12:13]
.LBB858_422:
	s_or_b64 exec, exec, s[10:11]
.LBB858_423:
	s_or_b64 exec, exec, s[8:9]
	v_mov_b32_e32 v18, 0
	v_cmp_ne_u16_sdwa s[10:11], v15, v18 src0_sel:BYTE_0 src1_sel:DWORD
	v_mov_b32_e32 v24, 0
	s_and_saveexec_b64 s[8:9], s[10:11]
	s_cbranch_execz .LBB858_429
; %bb.424:
	s_movk_i32 s7, 0x80
	v_cmp_ne_u16_sdwa s[12:13], v15, s7 src0_sel:BYTE_0 src1_sel:DWORD
	v_mov_b32_e32 v24, 0xffff8000
	s_and_saveexec_b64 s[10:11], s[12:13]
	s_cbranch_execz .LBB858_428
; %bb.425:
	s_movk_i32 s7, 0x7f
	v_and_b32_e32 v14, 0x7f, v15
	v_cmp_ne_u32_e32 vcc, s7, v14
	v_mov_b32_e32 v24, 0x7f80
	s_and_saveexec_b64 s[12:13], vcc
	s_cbranch_execz .LBB858_427
; %bb.426:
	v_and_b32_e32 v26, 7, v15
	v_ffbh_u32_e32 v25, v26
	v_min_u32_e32 v29, 32, v25
	v_mov_b32_e32 v24, v15
	v_subrev_u32_e32 v25, 28, v29
	v_lshlrev_b64 v[24:25], v25, v[24:25]
	v_lshrrev_b32_e32 v27, 3, v14
	v_sub_u32_e32 v25, 29, v29
	v_and_b32_e32 v24, 7, v24
	v_cmp_gt_u32_e32 vcc, 8, v14
	v_cndmask_b32_e32 v14, v27, v25, vcc
	v_cndmask_b32_e32 v24, v26, v24, vcc
	v_lshlrev_b32_e32 v25, 24, v15
	v_bfrev_b32_e32 v26, 60
	v_lshlrev_b32_e32 v24, 20, v24
	v_and_b32_e32 v25, 0x80000000, v25
	v_lshl_add_u32 v14, v14, 23, v26
	v_or3_b32 v14, v25, v14, v24
	v_lshrrev_b32_e32 v24, 16, v14
.LBB858_427:
	s_or_b64 exec, exec, s[12:13]
.LBB858_428:
	s_or_b64 exec, exec, s[10:11]
.LBB858_429:
	s_or_b64 exec, exec, s[8:9]
	v_lshrrev_b16_e32 v14, 8, v15
	v_cmp_ne_u16_e32 vcc, 0, v14
	s_and_saveexec_b64 s[8:9], vcc
	s_cbranch_execz .LBB858_435
; %bb.430:
	s_movk_i32 s7, 0x80
	v_cmp_ne_u16_e32 vcc, s7, v14
	v_mov_b32_e32 v18, 0xffff8000
	s_and_saveexec_b64 s[10:11], vcc
	s_cbranch_execz .LBB858_434
; %bb.431:
	s_movk_i32 s7, 0x7f
	v_and_b32_e32 v25, 0x7f, v14
	v_cmp_ne_u32_e32 vcc, s7, v25
	v_mov_b32_e32 v18, 0x7f80
	s_and_saveexec_b64 s[12:13], vcc
	s_cbranch_execz .LBB858_433
; %bb.432:
	v_and_b32_e32 v18, 7, v14
	v_ffbh_u32_e32 v26, v18
	v_min_u32_e32 v30, 32, v26
	v_subrev_u32_e32 v26, 28, v30
	v_lshlrev_b64 v[26:27], v26, v[14:15]
	v_lshrrev_b32_e32 v29, 3, v25
	v_sub_u32_e32 v14, 29, v30
	v_and_b32_e32 v26, 7, v26
	v_cmp_gt_u32_e32 vcc, 8, v25
	v_cndmask_b32_e32 v14, v29, v14, vcc
	v_cndmask_b32_e32 v18, v18, v26, vcc
	v_lshlrev_b32_e32 v25, 16, v15
	v_bfrev_b32_e32 v26, 60
	v_lshlrev_b32_e32 v18, 20, v18
	v_and_b32_e32 v25, 0x80000000, v25
	v_lshl_add_u32 v14, v14, 23, v26
	v_or3_b32 v14, v25, v14, v18
	v_lshrrev_b32_e32 v18, 16, v14
.LBB858_433:
	s_or_b64 exec, exec, s[12:13]
.LBB858_434:
	s_or_b64 exec, exec, s[10:11]
.LBB858_435:
	s_or_b64 exec, exec, s[8:9]
	s_movk_i32 s7, 0xff
	v_and_b32_sdwa v27, v15, s7 dst_sel:DWORD dst_unused:UNUSED_PAD src0_sel:WORD_1 src1_sel:DWORD
	v_lshrrev_b32_e32 v14, 16, v15
	v_cmp_ne_u16_e32 vcc, 0, v27
	v_mov_b32_e32 v25, 0
	v_mov_b32_e32 v26, 0
	s_and_saveexec_b64 s[8:9], vcc
	s_cbranch_execz .LBB858_441
; %bb.436:
	s_movk_i32 s7, 0x80
	v_cmp_ne_u16_e32 vcc, s7, v27
	v_mov_b32_e32 v26, 0xffff8000
	s_and_saveexec_b64 s[10:11], vcc
	s_cbranch_execz .LBB858_440
; %bb.437:
	v_bfe_u32 v27, v15, 16, 7
	s_movk_i32 s7, 0x7f
	v_cmp_ne_u32_e32 vcc, s7, v27
	v_mov_b32_e32 v26, 0x7f80
	s_and_saveexec_b64 s[12:13], vcc
	s_cbranch_execz .LBB858_439
; %bb.438:
	v_and_b32_e32 v26, 7, v14
	v_ffbh_u32_e32 v30, v26
	v_min_u32_e32 v32, 32, v30
	v_subrev_u32_e32 v30, 28, v32
	v_lshlrev_b64 v[30:31], v30, v[14:15]
	v_lshrrev_b32_e32 v29, 3, v27
	v_sub_u32_e32 v14, 29, v32
	v_and_b32_e32 v30, 7, v30
	v_cmp_gt_u32_e32 vcc, 8, v27
	v_mov_b32_e32 v27, 24
	v_cndmask_b32_e32 v14, v29, v14, vcc
	v_cndmask_b32_e32 v26, v26, v30, vcc
	v_lshlrev_b32_sdwa v27, v27, v15 dst_sel:DWORD dst_unused:UNUSED_PAD src0_sel:DWORD src1_sel:WORD_1
	v_bfrev_b32_e32 v29, 60
	v_lshlrev_b32_e32 v26, 20, v26
	v_and_b32_e32 v27, 0x80000000, v27
	v_lshl_add_u32 v14, v14, 23, v29
	v_or3_b32 v14, v27, v14, v26
	v_lshrrev_b32_e32 v26, 16, v14
.LBB858_439:
	s_or_b64 exec, exec, s[12:13]
.LBB858_440:
	s_or_b64 exec, exec, s[10:11]
.LBB858_441:
	s_or_b64 exec, exec, s[8:9]
	s_mov_b32 s7, 0xffffff
	v_cmp_lt_u32_e32 vcc, s7, v15
	s_and_saveexec_b64 s[8:9], vcc
	s_cbranch_execz .LBB858_447
; %bb.442:
	v_lshrrev_b32_e32 v14, 24, v15
	s_movk_i32 s7, 0x80
	v_cmp_ne_u32_e32 vcc, s7, v14
	v_mov_b32_e32 v25, 0xffff8000
	s_and_saveexec_b64 s[10:11], vcc
	s_cbranch_execz .LBB858_446
; %bb.443:
	v_bfe_u32 v15, v15, 24, 7
	s_movk_i32 s7, 0x7f
	v_cmp_ne_u32_e32 vcc, s7, v15
	v_mov_b32_e32 v25, 0x7f80
	s_and_saveexec_b64 s[12:13], vcc
	s_cbranch_execz .LBB858_445
; %bb.444:
	v_and_b32_e32 v25, 7, v14
	v_ffbh_u32_e32 v29, v25
	v_min_u32_e32 v29, 32, v29
	v_subrev_u32_e32 v30, 28, v29
	v_lshlrev_b64 v[30:31], v30, v[14:15]
	v_lshrrev_b32_e32 v27, 3, v15
	v_sub_u32_e32 v29, 29, v29
	v_and_b32_e32 v30, 7, v30
	v_cmp_gt_u32_e32 vcc, 8, v15
	v_cndmask_b32_e32 v15, v27, v29, vcc
	v_cndmask_b32_e32 v25, v25, v30, vcc
	v_lshlrev_b32_e32 v14, 24, v14
	v_bfrev_b32_e32 v27, 60
	v_lshlrev_b32_e32 v25, 20, v25
	v_and_b32_e32 v14, 0x80000000, v14
	v_lshl_add_u32 v15, v15, 23, v27
	v_or3_b32 v14, v14, v15, v25
	v_lshrrev_b32_e32 v25, 16, v14
.LBB858_445:
	s_or_b64 exec, exec, s[12:13]
.LBB858_446:
	s_or_b64 exec, exec, s[10:11]
.LBB858_447:
	s_or_b64 exec, exec, s[8:9]
	s_mov_b32 s7, 0x5040100
	v_perm_b32 v15, v22, v23, s7
	v_lshl_or_b32 v22, v1, 9, v19
	v_perm_b32 v14, v20, v21, s7
	ds_read_b128 v[30:33], v22
	v_perm_b32 v19, v25, v26, s7
	v_perm_b32 v18, v18, v24, s7
	s_waitcnt lgkmcnt(0)
	v_mfma_f32_16x16x16bf16_1k v[34:37], v[14:15], v[30:31], 0
	v_mov_b32_e32 v15, 0
	v_cmp_ne_u16_sdwa s[10:11], v16, v15 src0_sel:BYTE_0 src1_sel:DWORD
	v_mov_b32_e32 v23, 0
	v_mfma_f32_16x16x16bf16_1k v[18:21], v[18:19], v[32:33], v[34:37]
	s_and_saveexec_b64 s[8:9], s[10:11]
	s_cbranch_execz .LBB858_453
; %bb.448:
	s_movk_i32 s7, 0x80
	v_cmp_ne_u16_sdwa s[12:13], v16, s7 src0_sel:BYTE_0 src1_sel:DWORD
	v_mov_b32_e32 v23, 0xffff8000
	s_and_saveexec_b64 s[10:11], s[12:13]
	s_cbranch_execz .LBB858_452
; %bb.449:
	s_movk_i32 s7, 0x7f
	v_and_b32_e32 v14, 0x7f, v16
	v_cmp_ne_u32_e32 vcc, s7, v14
	v_mov_b32_e32 v23, 0x7f80
	s_and_saveexec_b64 s[12:13], vcc
	s_cbranch_execz .LBB858_451
; %bb.450:
	v_and_b32_e32 v23, 7, v16
	v_ffbh_u32_e32 v24, v23
	v_min_u32_e32 v27, 32, v24
	v_subrev_u32_e32 v24, 28, v27
	v_lshlrev_b64 v[24:25], v24, v[16:17]
	v_lshrrev_b32_e32 v26, 3, v14
	v_sub_u32_e32 v25, 29, v27
	v_and_b32_e32 v24, 7, v24
	v_cmp_gt_u32_e32 vcc, 8, v14
	v_cndmask_b32_e32 v14, v26, v25, vcc
	v_cndmask_b32_e32 v23, v23, v24, vcc
	v_lshlrev_b32_e32 v24, 24, v16
	v_bfrev_b32_e32 v25, 60
	v_lshlrev_b32_e32 v23, 20, v23
	v_and_b32_e32 v24, 0x80000000, v24
	v_lshl_add_u32 v14, v14, 23, v25
	v_or3_b32 v14, v24, v14, v23
	v_lshrrev_b32_e32 v23, 16, v14
.LBB858_451:
	s_or_b64 exec, exec, s[12:13]
.LBB858_452:
	s_or_b64 exec, exec, s[10:11]
.LBB858_453:
	s_or_b64 exec, exec, s[8:9]
	v_lshrrev_b16_e32 v14, 8, v16
	v_cmp_ne_u16_e32 vcc, 0, v14
	s_and_saveexec_b64 s[8:9], vcc
	s_cbranch_execz .LBB858_459
; %bb.454:
	s_movk_i32 s7, 0x80
	v_cmp_ne_u16_e32 vcc, s7, v14
	v_mov_b32_e32 v15, 0xffff8000
	s_and_saveexec_b64 s[10:11], vcc
	s_cbranch_execz .LBB858_458
; %bb.455:
	s_movk_i32 s7, 0x7f
	v_and_b32_e32 v24, 0x7f, v14
	v_cmp_ne_u32_e32 vcc, s7, v24
	v_mov_b32_e32 v15, 0x7f80
	s_and_saveexec_b64 s[12:13], vcc
	s_cbranch_execz .LBB858_457
; %bb.456:
	v_and_b32_e32 v25, 7, v14
	v_ffbh_u32_e32 v15, v25
	v_min_u32_e32 v27, 32, v15
	v_subrev_u32_e32 v15, 28, v27
	v_lshlrev_b64 v[14:15], v15, v[14:15]
	v_lshrrev_b32_e32 v26, 3, v24
	v_sub_u32_e32 v15, 29, v27
	v_and_b32_e32 v14, 7, v14
	v_cmp_gt_u32_e32 vcc, 8, v24
	v_cndmask_b32_e32 v15, v26, v15, vcc
	v_cndmask_b32_e32 v14, v25, v14, vcc
	v_lshlrev_b32_e32 v24, 16, v16
	v_bfrev_b32_e32 v25, 60
	v_lshlrev_b32_e32 v14, 20, v14
	v_and_b32_e32 v24, 0x80000000, v24
	v_lshl_add_u32 v15, v15, 23, v25
	v_or3_b32 v14, v24, v15, v14
	v_lshrrev_b32_e32 v15, 16, v14
.LBB858_457:
	s_or_b64 exec, exec, s[12:13]
.LBB858_458:
	s_or_b64 exec, exec, s[10:11]
.LBB858_459:
	s_or_b64 exec, exec, s[8:9]
	s_movk_i32 s7, 0xff
	v_and_b32_sdwa v26, v16, s7 dst_sel:DWORD dst_unused:UNUSED_PAD src0_sel:WORD_1 src1_sel:DWORD
	v_lshrrev_b32_e32 v14, 16, v16
	v_cmp_ne_u16_e32 vcc, 0, v26
	v_mov_b32_e32 v24, 0
	v_mov_b32_e32 v25, 0
	s_and_saveexec_b64 s[8:9], vcc
	s_cbranch_execz .LBB858_465
; %bb.460:
	s_movk_i32 s7, 0x80
	v_cmp_ne_u16_e32 vcc, s7, v26
	v_mov_b32_e32 v25, 0xffff8000
	s_and_saveexec_b64 s[10:11], vcc
	s_cbranch_execz .LBB858_464
; %bb.461:
	v_bfe_u32 v26, v16, 16, 7
	s_movk_i32 s7, 0x7f
	v_cmp_ne_u32_e32 vcc, s7, v26
	v_mov_b32_e32 v25, 0x7f80
	s_and_saveexec_b64 s[12:13], vcc
	s_cbranch_execz .LBB858_463
; %bb.462:
	v_and_b32_e32 v25, 7, v14
	v_ffbh_u32_e32 v29, v25
	v_min_u32_e32 v29, 32, v29
	v_subrev_u32_e32 v30, 28, v29
	v_lshlrev_b64 v[30:31], v30, v[14:15]
	v_lshrrev_b32_e32 v27, 3, v26
	v_sub_u32_e32 v14, 29, v29
	v_and_b32_e32 v29, 7, v30
	v_cmp_gt_u32_e32 vcc, 8, v26
	v_mov_b32_e32 v26, 24
	v_cndmask_b32_e32 v14, v27, v14, vcc
	v_cndmask_b32_e32 v25, v25, v29, vcc
	v_lshlrev_b32_sdwa v26, v26, v16 dst_sel:DWORD dst_unused:UNUSED_PAD src0_sel:DWORD src1_sel:WORD_1
	v_bfrev_b32_e32 v27, 60
	v_lshlrev_b32_e32 v25, 20, v25
	v_and_b32_e32 v26, 0x80000000, v26
	v_lshl_add_u32 v14, v14, 23, v27
	v_or3_b32 v14, v26, v14, v25
	v_lshrrev_b32_e32 v25, 16, v14
.LBB858_463:
	s_or_b64 exec, exec, s[12:13]
.LBB858_464:
	s_or_b64 exec, exec, s[10:11]
.LBB858_465:
	s_or_b64 exec, exec, s[8:9]
	s_mov_b32 s7, 0xffffff
	v_cmp_lt_u32_e32 vcc, s7, v16
	s_and_saveexec_b64 s[8:9], vcc
	s_cbranch_execz .LBB858_471
; %bb.466:
	v_lshrrev_b32_e32 v14, 24, v16
	s_movk_i32 s7, 0x80
	v_cmp_ne_u32_e32 vcc, s7, v14
	v_mov_b32_e32 v24, 0xffff8000
	s_and_saveexec_b64 s[10:11], vcc
	s_cbranch_execz .LBB858_470
; %bb.467:
	v_bfe_u32 v16, v16, 24, 7
	s_movk_i32 s7, 0x7f
	v_cmp_ne_u32_e32 vcc, s7, v16
	v_mov_b32_e32 v24, 0x7f80
	s_and_saveexec_b64 s[12:13], vcc
	s_cbranch_execz .LBB858_469
; %bb.468:
	v_and_b32_e32 v24, 7, v14
	v_ffbh_u32_e32 v26, v24
	v_min_u32_e32 v30, 32, v26
	v_subrev_u32_e32 v26, 28, v30
	v_lshlrev_b64 v[26:27], v26, v[14:15]
	v_lshrrev_b32_e32 v29, 3, v16
	v_sub_u32_e32 v27, 29, v30
	v_and_b32_e32 v26, 7, v26
	v_cmp_gt_u32_e32 vcc, 8, v16
	v_cndmask_b32_e32 v16, v29, v27, vcc
	v_cndmask_b32_e32 v24, v24, v26, vcc
	v_lshlrev_b32_e32 v14, 24, v14
	v_bfrev_b32_e32 v26, 60
	v_lshlrev_b32_e32 v24, 20, v24
	v_and_b32_e32 v14, 0x80000000, v14
	v_lshl_add_u32 v16, v16, 23, v26
	v_or3_b32 v14, v14, v16, v24
	v_lshrrev_b32_e32 v24, 16, v14
.LBB858_469:
	s_or_b64 exec, exec, s[12:13]
.LBB858_470:
	s_or_b64 exec, exec, s[10:11]
.LBB858_471:
	s_or_b64 exec, exec, s[8:9]
	v_mov_b32_e32 v16, 0
	v_cmp_ne_u16_sdwa s[10:11], v17, v16 src0_sel:BYTE_0 src1_sel:DWORD
	v_mov_b32_e32 v26, 0
	s_and_saveexec_b64 s[8:9], s[10:11]
	s_cbranch_execz .LBB858_477
; %bb.472:
	s_movk_i32 s7, 0x80
	v_cmp_ne_u16_sdwa s[12:13], v17, s7 src0_sel:BYTE_0 src1_sel:DWORD
	v_mov_b32_e32 v26, 0xffff8000
	s_and_saveexec_b64 s[10:11], s[12:13]
	s_cbranch_execz .LBB858_476
; %bb.473:
	s_movk_i32 s7, 0x7f
	v_and_b32_e32 v14, 0x7f, v17
	v_cmp_ne_u32_e32 vcc, s7, v14
	v_mov_b32_e32 v26, 0x7f80
	s_and_saveexec_b64 s[12:13], vcc
	s_cbranch_execz .LBB858_475
; %bb.474:
	v_and_b32_e32 v29, 7, v17
	v_ffbh_u32_e32 v27, v29
	v_min_u32_e32 v31, 32, v27
	v_mov_b32_e32 v26, v17
	v_subrev_u32_e32 v27, 28, v31
	v_lshlrev_b64 v[26:27], v27, v[26:27]
	v_lshrrev_b32_e32 v30, 3, v14
	v_sub_u32_e32 v27, 29, v31
	v_and_b32_e32 v26, 7, v26
	v_cmp_gt_u32_e32 vcc, 8, v14
	v_cndmask_b32_e32 v14, v30, v27, vcc
	v_cndmask_b32_e32 v26, v29, v26, vcc
	v_lshlrev_b32_e32 v27, 24, v17
	v_bfrev_b32_e32 v29, 60
	v_lshlrev_b32_e32 v26, 20, v26
	v_and_b32_e32 v27, 0x80000000, v27
	v_lshl_add_u32 v14, v14, 23, v29
	v_or3_b32 v14, v27, v14, v26
	v_lshrrev_b32_e32 v26, 16, v14
.LBB858_475:
	s_or_b64 exec, exec, s[12:13]
.LBB858_476:
	s_or_b64 exec, exec, s[10:11]
.LBB858_477:
	s_or_b64 exec, exec, s[8:9]
	v_lshrrev_b16_e32 v14, 8, v17
	v_cmp_ne_u16_e32 vcc, 0, v14
	s_and_saveexec_b64 s[8:9], vcc
	s_cbranch_execz .LBB858_483
; %bb.478:
	s_movk_i32 s7, 0x80
	v_cmp_ne_u16_e32 vcc, s7, v14
	v_mov_b32_e32 v16, 0xffff8000
	s_and_saveexec_b64 s[10:11], vcc
	s_cbranch_execz .LBB858_482
; %bb.479:
	s_movk_i32 s7, 0x7f
	v_and_b32_e32 v27, 0x7f, v14
	v_cmp_ne_u32_e32 vcc, s7, v27
	v_mov_b32_e32 v16, 0x7f80
	s_and_saveexec_b64 s[12:13], vcc
	s_cbranch_execz .LBB858_481
; %bb.480:
	v_and_b32_e32 v16, 7, v14
	v_ffbh_u32_e32 v30, v16
	v_min_u32_e32 v32, 32, v30
	v_subrev_u32_e32 v30, 28, v32
	v_lshlrev_b64 v[30:31], v30, v[14:15]
	v_lshrrev_b32_e32 v29, 3, v27
	v_sub_u32_e32 v14, 29, v32
	v_and_b32_e32 v30, 7, v30
	v_cmp_gt_u32_e32 vcc, 8, v27
	v_cndmask_b32_e32 v14, v29, v14, vcc
	v_cndmask_b32_e32 v16, v16, v30, vcc
	v_lshlrev_b32_e32 v27, 16, v17
	v_bfrev_b32_e32 v29, 60
	v_lshlrev_b32_e32 v16, 20, v16
	v_and_b32_e32 v27, 0x80000000, v27
	v_lshl_add_u32 v14, v14, 23, v29
	v_or3_b32 v14, v27, v14, v16
	v_lshrrev_b32_e32 v16, 16, v14
.LBB858_481:
	s_or_b64 exec, exec, s[12:13]
.LBB858_482:
	s_or_b64 exec, exec, s[10:11]
.LBB858_483:
	s_or_b64 exec, exec, s[8:9]
	s_movk_i32 s7, 0xff
	v_and_b32_sdwa v30, v17, s7 dst_sel:DWORD dst_unused:UNUSED_PAD src0_sel:WORD_1 src1_sel:DWORD
	v_lshrrev_b32_e32 v14, 16, v17
	v_cmp_ne_u16_e32 vcc, 0, v30
	v_mov_b32_e32 v27, 0
	v_mov_b32_e32 v29, 0
	s_and_saveexec_b64 s[8:9], vcc
	s_cbranch_execz .LBB858_489
; %bb.484:
	s_movk_i32 s7, 0x80
	v_cmp_ne_u16_e32 vcc, s7, v30
	v_mov_b32_e32 v29, 0xffff8000
	s_and_saveexec_b64 s[10:11], vcc
	s_cbranch_execz .LBB858_488
; %bb.485:
	v_bfe_u32 v30, v17, 16, 7
	s_movk_i32 s7, 0x7f
	v_cmp_ne_u32_e32 vcc, s7, v30
	v_mov_b32_e32 v29, 0x7f80
	s_and_saveexec_b64 s[12:13], vcc
	s_cbranch_execz .LBB858_487
; %bb.486:
	v_and_b32_e32 v29, 7, v14
	v_ffbh_u32_e32 v32, v29
	v_min_u32_e32 v34, 32, v32
	v_subrev_u32_e32 v32, 28, v34
	v_lshlrev_b64 v[32:33], v32, v[14:15]
	v_lshrrev_b32_e32 v31, 3, v30
	v_sub_u32_e32 v14, 29, v34
	v_and_b32_e32 v32, 7, v32
	v_cmp_gt_u32_e32 vcc, 8, v30
	v_mov_b32_e32 v30, 24
	v_cndmask_b32_e32 v14, v31, v14, vcc
	v_cndmask_b32_e32 v29, v29, v32, vcc
	v_lshlrev_b32_sdwa v30, v30, v17 dst_sel:DWORD dst_unused:UNUSED_PAD src0_sel:DWORD src1_sel:WORD_1
	v_bfrev_b32_e32 v31, 60
	v_lshlrev_b32_e32 v29, 20, v29
	v_and_b32_e32 v30, 0x80000000, v30
	v_lshl_add_u32 v14, v14, 23, v31
	v_or3_b32 v14, v30, v14, v29
	v_lshrrev_b32_e32 v29, 16, v14
.LBB858_487:
	s_or_b64 exec, exec, s[12:13]
.LBB858_488:
	s_or_b64 exec, exec, s[10:11]
.LBB858_489:
	s_or_b64 exec, exec, s[8:9]
	s_mov_b32 s7, 0xffffff
	v_cmp_lt_u32_e32 vcc, s7, v17
	s_and_saveexec_b64 s[8:9], vcc
	s_cbranch_execz .LBB858_495
; %bb.490:
	v_lshrrev_b32_e32 v14, 24, v17
	s_movk_i32 s7, 0x80
	v_cmp_ne_u32_e32 vcc, s7, v14
	v_mov_b32_e32 v27, 0xffff8000
	s_and_saveexec_b64 s[10:11], vcc
	s_cbranch_execz .LBB858_494
; %bb.491:
	v_bfe_u32 v17, v17, 24, 7
	s_movk_i32 s7, 0x7f
	v_cmp_ne_u32_e32 vcc, s7, v17
	v_mov_b32_e32 v27, 0x7f80
	s_and_saveexec_b64 s[12:13], vcc
	s_cbranch_execz .LBB858_493
; %bb.492:
	v_and_b32_e32 v27, 7, v14
	v_ffbh_u32_e32 v30, v27
	v_min_u32_e32 v33, 32, v30
	v_subrev_u32_e32 v30, 28, v33
	v_lshlrev_b64 v[30:31], v30, v[14:15]
	v_lshrrev_b32_e32 v32, 3, v17
	v_sub_u32_e32 v31, 29, v33
	v_and_b32_e32 v30, 7, v30
	v_cmp_gt_u32_e32 vcc, 8, v17
	v_cndmask_b32_e32 v17, v32, v31, vcc
	v_cndmask_b32_e32 v27, v27, v30, vcc
	v_lshlrev_b32_e32 v14, 24, v14
	v_bfrev_b32_e32 v30, 60
	v_lshlrev_b32_e32 v27, 20, v27
	v_and_b32_e32 v14, 0x80000000, v14
	v_lshl_add_u32 v17, v17, 23, v30
	v_or3_b32 v14, v14, v17, v27
	v_lshrrev_b32_e32 v27, 16, v14
.LBB858_493:
	s_or_b64 exec, exec, s[12:13]
.LBB858_494:
	s_or_b64 exec, exec, s[10:11]
.LBB858_495:
	s_or_b64 exec, exec, s[8:9]
	s_mov_b32 s7, 0x5040100
	v_perm_b32 v25, v24, v25, s7
	v_perm_b32 v24, v15, v23, s7
	ds_read_b128 v[30:33], v22 offset:16
	v_perm_b32 v15, v27, v29, s7
	v_perm_b32 v14, v16, v26, s7
	s_waitcnt lgkmcnt(0)
	v_mfma_f32_16x16x16bf16_1k v[34:37], v[24:25], v[30:31], v[18:21]
	s_nop 6
	v_mov_b32_e32 v19, 0
	s_waitcnt vmcnt(2)
	v_cmp_ne_u16_sdwa s[10:11], v10, v19 src0_sel:BYTE_0 src1_sel:DWORD
	v_mfma_f32_16x16x16bf16_1k v[14:17], v[14:15], v[32:33], v[34:37]
	v_mov_b32_e32 v20, 0
	s_and_saveexec_b64 s[8:9], s[10:11]
	s_cbranch_execz .LBB858_501
; %bb.496:
	s_movk_i32 s7, 0x80
	v_cmp_ne_u16_sdwa s[12:13], v10, s7 src0_sel:BYTE_0 src1_sel:DWORD
	v_mov_b32_e32 v20, 0xffff8000
	s_and_saveexec_b64 s[10:11], s[12:13]
	s_cbranch_execz .LBB858_500
; %bb.497:
	s_movk_i32 s7, 0x7f
	v_and_b32_e32 v18, 0x7f, v10
	v_cmp_ne_u32_e32 vcc, s7, v18
	v_mov_b32_e32 v20, 0x7f80
	s_and_saveexec_b64 s[12:13], vcc
	s_cbranch_execz .LBB858_499
; %bb.498:
	v_and_b32_e32 v23, 7, v10
	v_ffbh_u32_e32 v20, v23
	v_min_u32_e32 v25, 32, v20
	v_subrev_u32_e32 v20, 28, v25
	v_lshlrev_b64 v[20:21], v20, v[10:11]
	v_lshrrev_b32_e32 v24, 3, v18
	v_sub_u32_e32 v21, 29, v25
	v_and_b32_e32 v20, 7, v20
	v_cmp_gt_u32_e32 vcc, 8, v18
	v_cndmask_b32_e32 v18, v24, v21, vcc
	v_cndmask_b32_e32 v20, v23, v20, vcc
	v_lshlrev_b32_e32 v21, 24, v10
	v_bfrev_b32_e32 v23, 60
	v_lshlrev_b32_e32 v20, 20, v20
	v_and_b32_e32 v21, 0x80000000, v21
	v_lshl_add_u32 v18, v18, 23, v23
	v_or3_b32 v18, v21, v18, v20
	v_lshrrev_b32_e32 v20, 16, v18
.LBB858_499:
	s_or_b64 exec, exec, s[12:13]
.LBB858_500:
	s_or_b64 exec, exec, s[10:11]
.LBB858_501:
	s_or_b64 exec, exec, s[8:9]
	v_lshrrev_b16_e32 v18, 8, v10
	v_cmp_ne_u16_e32 vcc, 0, v18
	s_and_saveexec_b64 s[8:9], vcc
	s_cbranch_execz .LBB858_507
; %bb.502:
	s_movk_i32 s7, 0x80
	v_cmp_ne_u16_e32 vcc, s7, v18
	v_mov_b32_e32 v19, 0xffff8000
	s_and_saveexec_b64 s[10:11], vcc
	s_cbranch_execz .LBB858_506
; %bb.503:
	s_movk_i32 s7, 0x7f
	v_and_b32_e32 v21, 0x7f, v18
	v_cmp_ne_u32_e32 vcc, s7, v21
	v_mov_b32_e32 v19, 0x7f80
	s_and_saveexec_b64 s[12:13], vcc
	s_cbranch_execz .LBB858_505
; %bb.504:
	v_and_b32_e32 v23, 7, v18
	v_ffbh_u32_e32 v19, v23
	v_min_u32_e32 v25, 32, v19
	v_subrev_u32_e32 v19, 28, v25
	v_lshlrev_b64 v[18:19], v19, v[18:19]
	v_lshrrev_b32_e32 v24, 3, v21
	v_sub_u32_e32 v19, 29, v25
	v_and_b32_e32 v18, 7, v18
	v_cmp_gt_u32_e32 vcc, 8, v21
	v_cndmask_b32_e32 v19, v24, v19, vcc
	v_cndmask_b32_e32 v18, v23, v18, vcc
	v_lshlrev_b32_e32 v21, 16, v10
	v_bfrev_b32_e32 v23, 60
	v_lshlrev_b32_e32 v18, 20, v18
	v_and_b32_e32 v21, 0x80000000, v21
	v_lshl_add_u32 v19, v19, 23, v23
	v_or3_b32 v18, v21, v19, v18
	v_lshrrev_b32_e32 v19, 16, v18
.LBB858_505:
	s_or_b64 exec, exec, s[12:13]
.LBB858_506:
	s_or_b64 exec, exec, s[10:11]
.LBB858_507:
	s_or_b64 exec, exec, s[8:9]
	s_movk_i32 s7, 0xff
	v_and_b32_sdwa v24, v10, s7 dst_sel:DWORD dst_unused:UNUSED_PAD src0_sel:WORD_1 src1_sel:DWORD
	v_lshrrev_b32_e32 v18, 16, v10
	v_cmp_ne_u16_e32 vcc, 0, v24
	v_mov_b32_e32 v21, 0
	v_mov_b32_e32 v23, 0
	s_and_saveexec_b64 s[8:9], vcc
	s_cbranch_execz .LBB858_513
; %bb.508:
	s_movk_i32 s7, 0x80
	v_cmp_ne_u16_e32 vcc, s7, v24
	v_mov_b32_e32 v23, 0xffff8000
	s_and_saveexec_b64 s[10:11], vcc
	s_cbranch_execz .LBB858_512
; %bb.509:
	v_bfe_u32 v24, v10, 16, 7
	s_movk_i32 s7, 0x7f
	v_cmp_ne_u32_e32 vcc, s7, v24
	v_mov_b32_e32 v23, 0x7f80
	s_and_saveexec_b64 s[12:13], vcc
	s_cbranch_execz .LBB858_511
; %bb.510:
	v_and_b32_e32 v23, 7, v18
	v_ffbh_u32_e32 v26, v23
	v_min_u32_e32 v29, 32, v26
	v_subrev_u32_e32 v26, 28, v29
	v_lshlrev_b64 v[26:27], v26, v[18:19]
	v_lshrrev_b32_e32 v25, 3, v24
	v_sub_u32_e32 v18, 29, v29
	v_and_b32_e32 v26, 7, v26
	v_cmp_gt_u32_e32 vcc, 8, v24
	v_mov_b32_e32 v24, 24
	v_cndmask_b32_e32 v18, v25, v18, vcc
	v_cndmask_b32_e32 v23, v23, v26, vcc
	v_lshlrev_b32_sdwa v24, v24, v10 dst_sel:DWORD dst_unused:UNUSED_PAD src0_sel:DWORD src1_sel:WORD_1
	v_bfrev_b32_e32 v25, 60
	v_lshlrev_b32_e32 v23, 20, v23
	v_and_b32_e32 v24, 0x80000000, v24
	v_lshl_add_u32 v18, v18, 23, v25
	v_or3_b32 v18, v24, v18, v23
	v_lshrrev_b32_e32 v23, 16, v18
.LBB858_511:
	s_or_b64 exec, exec, s[12:13]
.LBB858_512:
	s_or_b64 exec, exec, s[10:11]
.LBB858_513:
	s_or_b64 exec, exec, s[8:9]
	s_mov_b32 s7, 0xffffff
	v_cmp_lt_u32_e32 vcc, s7, v10
	s_and_saveexec_b64 s[8:9], vcc
	s_cbranch_execz .LBB858_519
; %bb.514:
	v_lshrrev_b32_e32 v18, 24, v10
	s_movk_i32 s7, 0x80
	v_cmp_ne_u32_e32 vcc, s7, v18
	v_mov_b32_e32 v21, 0xffff8000
	s_and_saveexec_b64 s[10:11], vcc
	s_cbranch_execz .LBB858_518
; %bb.515:
	v_bfe_u32 v10, v10, 24, 7
	s_movk_i32 s7, 0x7f
	v_cmp_ne_u32_e32 vcc, s7, v10
	v_mov_b32_e32 v21, 0x7f80
	s_and_saveexec_b64 s[12:13], vcc
	s_cbranch_execz .LBB858_517
; %bb.516:
	v_and_b32_e32 v21, 7, v18
	v_ffbh_u32_e32 v24, v21
	v_min_u32_e32 v27, 32, v24
	v_subrev_u32_e32 v24, 28, v27
	v_lshlrev_b64 v[24:25], v24, v[18:19]
	v_lshrrev_b32_e32 v26, 3, v10
	v_sub_u32_e32 v25, 29, v27
	v_and_b32_e32 v24, 7, v24
	v_cmp_gt_u32_e32 vcc, 8, v10
	v_cndmask_b32_e32 v10, v26, v25, vcc
	v_cndmask_b32_e32 v21, v21, v24, vcc
	v_lshlrev_b32_e32 v18, 24, v18
	v_bfrev_b32_e32 v24, 60
	v_lshlrev_b32_e32 v21, 20, v21
	v_and_b32_e32 v18, 0x80000000, v18
	v_lshl_add_u32 v10, v10, 23, v24
	v_or3_b32 v10, v18, v10, v21
	v_lshrrev_b32_e32 v21, 16, v10
.LBB858_517:
	s_or_b64 exec, exec, s[12:13]
.LBB858_518:
	s_or_b64 exec, exec, s[10:11]
.LBB858_519:
	s_or_b64 exec, exec, s[8:9]
	v_mov_b32_e32 v18, 0
	v_cmp_ne_u16_sdwa s[10:11], v11, v18 src0_sel:BYTE_0 src1_sel:DWORD
	v_mov_b32_e32 v24, 0
	s_and_saveexec_b64 s[8:9], s[10:11]
	s_cbranch_execz .LBB858_525
; %bb.520:
	s_movk_i32 s7, 0x80
	v_cmp_ne_u16_sdwa s[12:13], v11, s7 src0_sel:BYTE_0 src1_sel:DWORD
	v_mov_b32_e32 v24, 0xffff8000
	s_and_saveexec_b64 s[10:11], s[12:13]
	s_cbranch_execz .LBB858_524
; %bb.521:
	s_movk_i32 s7, 0x7f
	v_and_b32_e32 v10, 0x7f, v11
	v_cmp_ne_u32_e32 vcc, s7, v10
	v_mov_b32_e32 v24, 0x7f80
	s_and_saveexec_b64 s[12:13], vcc
	s_cbranch_execz .LBB858_523
; %bb.522:
	v_and_b32_e32 v26, 7, v11
	v_ffbh_u32_e32 v25, v26
	v_min_u32_e32 v29, 32, v25
	v_mov_b32_e32 v24, v11
	v_subrev_u32_e32 v25, 28, v29
	v_lshlrev_b64 v[24:25], v25, v[24:25]
	v_lshrrev_b32_e32 v27, 3, v10
	v_sub_u32_e32 v25, 29, v29
	v_and_b32_e32 v24, 7, v24
	v_cmp_gt_u32_e32 vcc, 8, v10
	v_cndmask_b32_e32 v10, v27, v25, vcc
	v_cndmask_b32_e32 v24, v26, v24, vcc
	v_lshlrev_b32_e32 v25, 24, v11
	v_bfrev_b32_e32 v26, 60
	v_lshlrev_b32_e32 v24, 20, v24
	v_and_b32_e32 v25, 0x80000000, v25
	v_lshl_add_u32 v10, v10, 23, v26
	v_or3_b32 v10, v25, v10, v24
	v_lshrrev_b32_e32 v24, 16, v10
.LBB858_523:
	s_or_b64 exec, exec, s[12:13]
.LBB858_524:
	s_or_b64 exec, exec, s[10:11]
.LBB858_525:
	s_or_b64 exec, exec, s[8:9]
	v_lshrrev_b16_e32 v10, 8, v11
	v_cmp_ne_u16_e32 vcc, 0, v10
	s_and_saveexec_b64 s[8:9], vcc
	s_cbranch_execz .LBB858_531
; %bb.526:
	s_movk_i32 s7, 0x80
	v_cmp_ne_u16_e32 vcc, s7, v10
	v_mov_b32_e32 v18, 0xffff8000
	s_and_saveexec_b64 s[10:11], vcc
	s_cbranch_execz .LBB858_530
; %bb.527:
	s_movk_i32 s7, 0x7f
	v_and_b32_e32 v25, 0x7f, v10
	v_cmp_ne_u32_e32 vcc, s7, v25
	v_mov_b32_e32 v18, 0x7f80
	s_and_saveexec_b64 s[12:13], vcc
	s_cbranch_execz .LBB858_529
; %bb.528:
	v_and_b32_e32 v18, 7, v10
	v_ffbh_u32_e32 v26, v18
	v_min_u32_e32 v30, 32, v26
	v_subrev_u32_e32 v26, 28, v30
	v_lshlrev_b64 v[26:27], v26, v[10:11]
	v_lshrrev_b32_e32 v29, 3, v25
	v_sub_u32_e32 v10, 29, v30
	v_and_b32_e32 v26, 7, v26
	v_cmp_gt_u32_e32 vcc, 8, v25
	v_cndmask_b32_e32 v10, v29, v10, vcc
	v_cndmask_b32_e32 v18, v18, v26, vcc
	v_lshlrev_b32_e32 v25, 16, v11
	v_bfrev_b32_e32 v26, 60
	v_lshlrev_b32_e32 v18, 20, v18
	v_and_b32_e32 v25, 0x80000000, v25
	v_lshl_add_u32 v10, v10, 23, v26
	v_or3_b32 v10, v25, v10, v18
	v_lshrrev_b32_e32 v18, 16, v10
.LBB858_529:
	s_or_b64 exec, exec, s[12:13]
.LBB858_530:
	s_or_b64 exec, exec, s[10:11]
.LBB858_531:
	s_or_b64 exec, exec, s[8:9]
	s_movk_i32 s7, 0xff
	v_and_b32_sdwa v27, v11, s7 dst_sel:DWORD dst_unused:UNUSED_PAD src0_sel:WORD_1 src1_sel:DWORD
	v_lshrrev_b32_e32 v10, 16, v11
	v_cmp_ne_u16_e32 vcc, 0, v27
	v_mov_b32_e32 v25, 0
	v_mov_b32_e32 v26, 0
	s_and_saveexec_b64 s[8:9], vcc
	s_cbranch_execz .LBB858_537
; %bb.532:
	s_movk_i32 s7, 0x80
	v_cmp_ne_u16_e32 vcc, s7, v27
	v_mov_b32_e32 v26, 0xffff8000
	s_and_saveexec_b64 s[10:11], vcc
	s_cbranch_execz .LBB858_536
; %bb.533:
	v_bfe_u32 v27, v11, 16, 7
	s_movk_i32 s7, 0x7f
	v_cmp_ne_u32_e32 vcc, s7, v27
	v_mov_b32_e32 v26, 0x7f80
	s_and_saveexec_b64 s[12:13], vcc
	s_cbranch_execz .LBB858_535
; %bb.534:
	v_and_b32_e32 v26, 7, v10
	v_ffbh_u32_e32 v30, v26
	v_min_u32_e32 v32, 32, v30
	v_subrev_u32_e32 v30, 28, v32
	v_lshlrev_b64 v[30:31], v30, v[10:11]
	v_lshrrev_b32_e32 v29, 3, v27
	v_sub_u32_e32 v10, 29, v32
	v_and_b32_e32 v30, 7, v30
	v_cmp_gt_u32_e32 vcc, 8, v27
	v_mov_b32_e32 v27, 24
	v_cndmask_b32_e32 v10, v29, v10, vcc
	v_cndmask_b32_e32 v26, v26, v30, vcc
	v_lshlrev_b32_sdwa v27, v27, v11 dst_sel:DWORD dst_unused:UNUSED_PAD src0_sel:DWORD src1_sel:WORD_1
	v_bfrev_b32_e32 v29, 60
	v_lshlrev_b32_e32 v26, 20, v26
	v_and_b32_e32 v27, 0x80000000, v27
	v_lshl_add_u32 v10, v10, 23, v29
	v_or3_b32 v10, v27, v10, v26
	v_lshrrev_b32_e32 v26, 16, v10
.LBB858_535:
	s_or_b64 exec, exec, s[12:13]
.LBB858_536:
	s_or_b64 exec, exec, s[10:11]
.LBB858_537:
	s_or_b64 exec, exec, s[8:9]
	s_mov_b32 s7, 0xffffff
	v_cmp_lt_u32_e32 vcc, s7, v11
	s_and_saveexec_b64 s[8:9], vcc
	s_cbranch_execz .LBB858_543
; %bb.538:
	v_lshrrev_b32_e32 v10, 24, v11
	s_movk_i32 s7, 0x80
	v_cmp_ne_u32_e32 vcc, s7, v10
	v_mov_b32_e32 v25, 0xffff8000
	s_and_saveexec_b64 s[10:11], vcc
	s_cbranch_execz .LBB858_542
; %bb.539:
	v_bfe_u32 v11, v11, 24, 7
	s_movk_i32 s7, 0x7f
	v_cmp_ne_u32_e32 vcc, s7, v11
	v_mov_b32_e32 v25, 0x7f80
	s_and_saveexec_b64 s[12:13], vcc
	s_cbranch_execz .LBB858_541
; %bb.540:
	v_and_b32_e32 v25, 7, v10
	v_ffbh_u32_e32 v29, v25
	v_min_u32_e32 v29, 32, v29
	v_subrev_u32_e32 v30, 28, v29
	v_lshlrev_b64 v[30:31], v30, v[10:11]
	v_lshrrev_b32_e32 v27, 3, v11
	v_sub_u32_e32 v29, 29, v29
	v_and_b32_e32 v30, 7, v30
	v_cmp_gt_u32_e32 vcc, 8, v11
	v_cndmask_b32_e32 v11, v27, v29, vcc
	v_cndmask_b32_e32 v25, v25, v30, vcc
	v_lshlrev_b32_e32 v10, 24, v10
	v_bfrev_b32_e32 v27, 60
	v_lshlrev_b32_e32 v25, 20, v25
	v_and_b32_e32 v10, 0x80000000, v10
	v_lshl_add_u32 v11, v11, 23, v27
	v_or3_b32 v10, v10, v11, v25
	v_lshrrev_b32_e32 v25, 16, v10
.LBB858_541:
	s_or_b64 exec, exec, s[12:13]
.LBB858_542:
	s_or_b64 exec, exec, s[10:11]
.LBB858_543:
	s_or_b64 exec, exec, s[8:9]
	s_mov_b32 s7, 0x5040100
	v_perm_b32 v11, v21, v23, s7
	v_perm_b32 v10, v19, v20, s7
	ds_read_b128 v[30:33], v22 offset:2048
	v_perm_b32 v21, v25, v26, s7
	v_perm_b32 v20, v18, v24, s7
	s_waitcnt lgkmcnt(0)
	v_mfma_f32_16x16x16bf16_1k v[14:17], v[10:11], v[30:31], v[14:17]
	v_mov_b32_e32 v11, 0
	v_cmp_ne_u16_sdwa s[10:11], v12, v11 src0_sel:BYTE_0 src1_sel:DWORD
	v_mov_b32_e32 v18, 0
	v_mfma_f32_16x16x16bf16_1k v[14:17], v[20:21], v[32:33], v[14:17]
	s_and_saveexec_b64 s[8:9], s[10:11]
	s_cbranch_execz .LBB858_549
; %bb.544:
	s_movk_i32 s7, 0x80
	v_cmp_ne_u16_sdwa s[12:13], v12, s7 src0_sel:BYTE_0 src1_sel:DWORD
	v_mov_b32_e32 v18, 0xffff8000
	s_and_saveexec_b64 s[10:11], s[12:13]
	s_cbranch_execz .LBB858_548
; %bb.545:
	s_movk_i32 s7, 0x7f
	v_and_b32_e32 v10, 0x7f, v12
	v_cmp_ne_u32_e32 vcc, s7, v10
	v_mov_b32_e32 v18, 0x7f80
	s_and_saveexec_b64 s[12:13], vcc
	s_cbranch_execz .LBB858_547
; %bb.546:
	v_and_b32_e32 v20, 7, v12
	v_ffbh_u32_e32 v18, v20
	v_min_u32_e32 v23, 32, v18
	v_subrev_u32_e32 v18, 28, v23
	v_lshlrev_b64 v[18:19], v18, v[12:13]
	v_lshrrev_b32_e32 v21, 3, v10
	v_sub_u32_e32 v19, 29, v23
	v_and_b32_e32 v18, 7, v18
	v_cmp_gt_u32_e32 vcc, 8, v10
	v_cndmask_b32_e32 v10, v21, v19, vcc
	v_cndmask_b32_e32 v18, v20, v18, vcc
	v_lshlrev_b32_e32 v19, 24, v12
	v_bfrev_b32_e32 v20, 60
	v_lshlrev_b32_e32 v18, 20, v18
	v_and_b32_e32 v19, 0x80000000, v19
	v_lshl_add_u32 v10, v10, 23, v20
	v_or3_b32 v10, v19, v10, v18
	v_lshrrev_b32_e32 v18, 16, v10
.LBB858_547:
	s_or_b64 exec, exec, s[12:13]
.LBB858_548:
	s_or_b64 exec, exec, s[10:11]
.LBB858_549:
	s_or_b64 exec, exec, s[8:9]
	v_lshrrev_b16_e32 v10, 8, v12
	v_cmp_ne_u16_e32 vcc, 0, v10
	s_and_saveexec_b64 s[8:9], vcc
	s_cbranch_execz .LBB858_555
; %bb.550:
	s_movk_i32 s7, 0x80
	v_cmp_ne_u16_e32 vcc, s7, v10
	v_mov_b32_e32 v11, 0xffff8000
	s_and_saveexec_b64 s[10:11], vcc
	s_cbranch_execz .LBB858_554
; %bb.551:
	s_movk_i32 s7, 0x7f
	v_and_b32_e32 v19, 0x7f, v10
	v_cmp_ne_u32_e32 vcc, s7, v19
	v_mov_b32_e32 v11, 0x7f80
	s_and_saveexec_b64 s[12:13], vcc
	s_cbranch_execz .LBB858_553
; %bb.552:
	v_and_b32_e32 v20, 7, v10
	v_ffbh_u32_e32 v11, v20
	v_min_u32_e32 v23, 32, v11
	v_subrev_u32_e32 v11, 28, v23
	v_lshlrev_b64 v[10:11], v11, v[10:11]
	v_lshrrev_b32_e32 v21, 3, v19
	v_sub_u32_e32 v11, 29, v23
	v_and_b32_e32 v10, 7, v10
	v_cmp_gt_u32_e32 vcc, 8, v19
	v_cndmask_b32_e32 v11, v21, v11, vcc
	v_cndmask_b32_e32 v10, v20, v10, vcc
	v_lshlrev_b32_e32 v19, 16, v12
	v_bfrev_b32_e32 v20, 60
	v_lshlrev_b32_e32 v10, 20, v10
	v_and_b32_e32 v19, 0x80000000, v19
	v_lshl_add_u32 v11, v11, 23, v20
	v_or3_b32 v10, v19, v11, v10
	v_lshrrev_b32_e32 v11, 16, v10
.LBB858_553:
	s_or_b64 exec, exec, s[12:13]
.LBB858_554:
	s_or_b64 exec, exec, s[10:11]
.LBB858_555:
	s_or_b64 exec, exec, s[8:9]
	s_movk_i32 s7, 0xff
	v_and_b32_sdwa v21, v12, s7 dst_sel:DWORD dst_unused:UNUSED_PAD src0_sel:WORD_1 src1_sel:DWORD
	v_lshrrev_b32_e32 v10, 16, v12
	v_cmp_ne_u16_e32 vcc, 0, v21
	v_mov_b32_e32 v19, 0
	v_mov_b32_e32 v20, 0
	s_and_saveexec_b64 s[8:9], vcc
	s_cbranch_execz .LBB858_561
; %bb.556:
	s_movk_i32 s7, 0x80
	v_cmp_ne_u16_e32 vcc, s7, v21
	v_mov_b32_e32 v20, 0xffff8000
	s_and_saveexec_b64 s[10:11], vcc
	s_cbranch_execz .LBB858_560
; %bb.557:
	v_bfe_u32 v21, v12, 16, 7
	s_movk_i32 s7, 0x7f
	v_cmp_ne_u32_e32 vcc, s7, v21
	v_mov_b32_e32 v20, 0x7f80
	s_and_saveexec_b64 s[12:13], vcc
	s_cbranch_execz .LBB858_559
; %bb.558:
	v_and_b32_e32 v20, 7, v10
	v_ffbh_u32_e32 v24, v20
	v_min_u32_e32 v26, 32, v24
	v_subrev_u32_e32 v24, 28, v26
	v_lshlrev_b64 v[24:25], v24, v[10:11]
	v_lshrrev_b32_e32 v23, 3, v21
	v_sub_u32_e32 v10, 29, v26
	v_and_b32_e32 v24, 7, v24
	v_cmp_gt_u32_e32 vcc, 8, v21
	v_mov_b32_e32 v21, 24
	v_cndmask_b32_e32 v10, v23, v10, vcc
	v_cndmask_b32_e32 v20, v20, v24, vcc
	v_lshlrev_b32_sdwa v21, v21, v12 dst_sel:DWORD dst_unused:UNUSED_PAD src0_sel:DWORD src1_sel:WORD_1
	v_bfrev_b32_e32 v23, 60
	v_lshlrev_b32_e32 v20, 20, v20
	v_and_b32_e32 v21, 0x80000000, v21
	v_lshl_add_u32 v10, v10, 23, v23
	v_or3_b32 v10, v21, v10, v20
	v_lshrrev_b32_e32 v20, 16, v10
.LBB858_559:
	s_or_b64 exec, exec, s[12:13]
.LBB858_560:
	s_or_b64 exec, exec, s[10:11]
.LBB858_561:
	s_or_b64 exec, exec, s[8:9]
	s_mov_b32 s7, 0xffffff
	v_cmp_lt_u32_e32 vcc, s7, v12
	s_and_saveexec_b64 s[8:9], vcc
	s_cbranch_execz .LBB858_567
; %bb.562:
	v_lshrrev_b32_e32 v10, 24, v12
	s_movk_i32 s7, 0x80
	v_cmp_ne_u32_e32 vcc, s7, v10
	v_mov_b32_e32 v19, 0xffff8000
	s_and_saveexec_b64 s[10:11], vcc
	s_cbranch_execz .LBB858_566
; %bb.563:
	v_bfe_u32 v12, v12, 24, 7
	s_movk_i32 s7, 0x7f
	v_cmp_ne_u32_e32 vcc, s7, v12
	v_mov_b32_e32 v19, 0x7f80
	s_and_saveexec_b64 s[12:13], vcc
	s_cbranch_execz .LBB858_565
; %bb.564:
	v_and_b32_e32 v19, 7, v10
	v_ffbh_u32_e32 v23, v19
	v_min_u32_e32 v23, 32, v23
	v_subrev_u32_e32 v24, 28, v23
	v_lshlrev_b64 v[24:25], v24, v[10:11]
	v_lshrrev_b32_e32 v21, 3, v12
	v_sub_u32_e32 v23, 29, v23
	v_and_b32_e32 v24, 7, v24
	v_cmp_gt_u32_e32 vcc, 8, v12
	v_cndmask_b32_e32 v12, v21, v23, vcc
	v_cndmask_b32_e32 v19, v19, v24, vcc
	v_lshlrev_b32_e32 v10, 24, v10
	v_bfrev_b32_e32 v21, 60
	v_lshlrev_b32_e32 v19, 20, v19
	v_and_b32_e32 v10, 0x80000000, v10
	v_lshl_add_u32 v12, v12, 23, v21
	v_or3_b32 v10, v10, v12, v19
	v_lshrrev_b32_e32 v19, 16, v10
.LBB858_565:
	s_or_b64 exec, exec, s[12:13]
.LBB858_566:
	s_or_b64 exec, exec, s[10:11]
.LBB858_567:
	s_or_b64 exec, exec, s[8:9]
	v_mov_b32_e32 v12, 0
	v_cmp_ne_u16_sdwa s[10:11], v13, v12 src0_sel:BYTE_0 src1_sel:DWORD
	v_mov_b32_e32 v21, 0
	s_and_saveexec_b64 s[8:9], s[10:11]
	s_cbranch_execz .LBB858_573
; %bb.568:
	s_movk_i32 s7, 0x80
	v_cmp_ne_u16_sdwa s[12:13], v13, s7 src0_sel:BYTE_0 src1_sel:DWORD
	v_mov_b32_e32 v21, 0xffff8000
	s_and_saveexec_b64 s[10:11], s[12:13]
	s_cbranch_execz .LBB858_572
; %bb.569:
	s_movk_i32 s7, 0x7f
	v_and_b32_e32 v10, 0x7f, v13
	v_cmp_ne_u32_e32 vcc, s7, v10
	v_mov_b32_e32 v21, 0x7f80
	s_and_saveexec_b64 s[12:13], vcc
	s_cbranch_execz .LBB858_571
; %bb.570:
	v_and_b32_e32 v21, 7, v13
	v_ffbh_u32_e32 v25, v21
	v_min_u32_e32 v26, 32, v25
	v_mov_b32_e32 v24, v13
	v_subrev_u32_e32 v25, 28, v26
	v_lshlrev_b64 v[24:25], v25, v[24:25]
	v_lshrrev_b32_e32 v23, 3, v10
	v_sub_u32_e32 v25, 29, v26
	v_and_b32_e32 v24, 7, v24
	v_cmp_gt_u32_e32 vcc, 8, v10
	v_cndmask_b32_e32 v10, v23, v25, vcc
	v_cndmask_b32_e32 v21, v21, v24, vcc
	v_lshlrev_b32_e32 v23, 24, v13
	v_bfrev_b32_e32 v24, 60
	v_lshlrev_b32_e32 v21, 20, v21
	v_and_b32_e32 v23, 0x80000000, v23
	v_lshl_add_u32 v10, v10, 23, v24
	v_or3_b32 v10, v23, v10, v21
	v_lshrrev_b32_e32 v21, 16, v10
.LBB858_571:
	s_or_b64 exec, exec, s[12:13]
.LBB858_572:
	s_or_b64 exec, exec, s[10:11]
.LBB858_573:
	s_or_b64 exec, exec, s[8:9]
	v_lshrrev_b16_e32 v10, 8, v13
	v_cmp_ne_u16_e32 vcc, 0, v10
	s_and_saveexec_b64 s[8:9], vcc
	s_cbranch_execz .LBB858_579
; %bb.574:
	s_movk_i32 s7, 0x80
	v_cmp_ne_u16_e32 vcc, s7, v10
	v_mov_b32_e32 v12, 0xffff8000
	s_and_saveexec_b64 s[10:11], vcc
	s_cbranch_execz .LBB858_578
; %bb.575:
	s_movk_i32 s7, 0x7f
	v_and_b32_e32 v23, 0x7f, v10
	v_cmp_ne_u32_e32 vcc, s7, v23
	v_mov_b32_e32 v12, 0x7f80
	s_and_saveexec_b64 s[12:13], vcc
	s_cbranch_execz .LBB858_577
; %bb.576:
	v_and_b32_e32 v12, 7, v10
	v_ffbh_u32_e32 v24, v12
	v_min_u32_e32 v27, 32, v24
	v_subrev_u32_e32 v24, 28, v27
	v_lshlrev_b64 v[24:25], v24, v[10:11]
	v_lshrrev_b32_e32 v26, 3, v23
	v_sub_u32_e32 v10, 29, v27
	v_and_b32_e32 v24, 7, v24
	v_cmp_gt_u32_e32 vcc, 8, v23
	v_cndmask_b32_e32 v10, v26, v10, vcc
	v_cndmask_b32_e32 v12, v12, v24, vcc
	v_lshlrev_b32_e32 v23, 16, v13
	v_bfrev_b32_e32 v24, 60
	v_lshlrev_b32_e32 v12, 20, v12
	v_and_b32_e32 v23, 0x80000000, v23
	v_lshl_add_u32 v10, v10, 23, v24
	v_or3_b32 v10, v23, v10, v12
	v_lshrrev_b32_e32 v12, 16, v10
.LBB858_577:
	s_or_b64 exec, exec, s[12:13]
.LBB858_578:
	s_or_b64 exec, exec, s[10:11]
.LBB858_579:
	s_or_b64 exec, exec, s[8:9]
	s_movk_i32 s7, 0xff
	v_and_b32_sdwa v25, v13, s7 dst_sel:DWORD dst_unused:UNUSED_PAD src0_sel:WORD_1 src1_sel:DWORD
	v_lshrrev_b32_e32 v10, 16, v13
	v_cmp_ne_u16_e32 vcc, 0, v25
	v_mov_b32_e32 v23, 0
	v_mov_b32_e32 v24, 0
	s_and_saveexec_b64 s[8:9], vcc
	s_cbranch_execz .LBB858_585
; %bb.580:
	s_movk_i32 s7, 0x80
	v_cmp_ne_u16_e32 vcc, s7, v25
	v_mov_b32_e32 v24, 0xffff8000
	s_and_saveexec_b64 s[10:11], vcc
	s_cbranch_execz .LBB858_584
; %bb.581:
	v_bfe_u32 v25, v13, 16, 7
	s_movk_i32 s7, 0x7f
	v_cmp_ne_u32_e32 vcc, s7, v25
	v_mov_b32_e32 v24, 0x7f80
	s_and_saveexec_b64 s[12:13], vcc
	s_cbranch_execz .LBB858_583
; %bb.582:
	v_and_b32_e32 v24, 7, v10
	v_ffbh_u32_e32 v26, v24
	v_min_u32_e32 v30, 32, v26
	v_subrev_u32_e32 v26, 28, v30
	v_lshlrev_b64 v[26:27], v26, v[10:11]
	v_lshrrev_b32_e32 v29, 3, v25
	v_sub_u32_e32 v10, 29, v30
	v_and_b32_e32 v26, 7, v26
	v_cmp_gt_u32_e32 vcc, 8, v25
	v_mov_b32_e32 v25, 24
	v_cndmask_b32_e32 v10, v29, v10, vcc
	v_cndmask_b32_e32 v24, v24, v26, vcc
	v_lshlrev_b32_sdwa v25, v25, v13 dst_sel:DWORD dst_unused:UNUSED_PAD src0_sel:DWORD src1_sel:WORD_1
	v_bfrev_b32_e32 v26, 60
	v_lshlrev_b32_e32 v24, 20, v24
	v_and_b32_e32 v25, 0x80000000, v25
	v_lshl_add_u32 v10, v10, 23, v26
	v_or3_b32 v10, v25, v10, v24
	v_lshrrev_b32_e32 v24, 16, v10
.LBB858_583:
	s_or_b64 exec, exec, s[12:13]
.LBB858_584:
	s_or_b64 exec, exec, s[10:11]
.LBB858_585:
	s_or_b64 exec, exec, s[8:9]
	s_mov_b32 s7, 0xffffff
	v_cmp_lt_u32_e32 vcc, s7, v13
	s_and_saveexec_b64 s[8:9], vcc
	s_cbranch_execz .LBB858_591
; %bb.586:
	v_lshrrev_b32_e32 v10, 24, v13
	s_movk_i32 s7, 0x80
	v_cmp_ne_u32_e32 vcc, s7, v10
	v_mov_b32_e32 v23, 0xffff8000
	s_and_saveexec_b64 s[10:11], vcc
	s_cbranch_execz .LBB858_590
; %bb.587:
	v_bfe_u32 v13, v13, 24, 7
	s_movk_i32 s7, 0x7f
	v_cmp_ne_u32_e32 vcc, s7, v13
	v_mov_b32_e32 v23, 0x7f80
	s_and_saveexec_b64 s[12:13], vcc
	s_cbranch_execz .LBB858_589
; %bb.588:
	v_and_b32_e32 v23, 7, v10
	v_ffbh_u32_e32 v26, v23
	v_min_u32_e32 v29, 32, v26
	v_subrev_u32_e32 v26, 28, v29
	v_lshlrev_b64 v[26:27], v26, v[10:11]
	v_lshrrev_b32_e32 v25, 3, v13
	v_sub_u32_e32 v27, 29, v29
	v_and_b32_e32 v26, 7, v26
	v_cmp_gt_u32_e32 vcc, 8, v13
	v_cndmask_b32_e32 v13, v25, v27, vcc
	v_cndmask_b32_e32 v23, v23, v26, vcc
	v_lshlrev_b32_e32 v10, 24, v10
	v_bfrev_b32_e32 v25, 60
	v_lshlrev_b32_e32 v23, 20, v23
	v_and_b32_e32 v10, 0x80000000, v10
	v_lshl_add_u32 v13, v13, 23, v25
	v_or3_b32 v10, v10, v13, v23
	v_lshrrev_b32_e32 v23, 16, v10
.LBB858_589:
	s_or_b64 exec, exec, s[12:13]
.LBB858_590:
	s_or_b64 exec, exec, s[10:11]
.LBB858_591:
	s_or_b64 exec, exec, s[8:9]
	s_mov_b32 s7, 0x5040100
	v_perm_b32 v19, v19, v20, s7
	v_perm_b32 v18, v11, v18, s7
	ds_read_b128 v[30:33], v22 offset:2064
	v_perm_b32 v11, v23, v24, s7
	v_perm_b32 v10, v12, v21, s7
	s_waitcnt lgkmcnt(0)
	v_mfma_f32_16x16x16bf16_1k v[34:37], v[18:19], v[30:31], v[14:17]
	s_nop 6
	v_mov_b32_e32 v15, 0
	s_waitcnt vmcnt(1)
	v_cmp_ne_u16_sdwa s[10:11], v6, v15 src0_sel:BYTE_0 src1_sel:DWORD
	v_mfma_f32_16x16x16bf16_1k v[10:13], v[10:11], v[32:33], v[34:37]
	v_mov_b32_e32 v16, 0
	s_and_saveexec_b64 s[8:9], s[10:11]
	s_cbranch_execz .LBB858_597
; %bb.592:
	s_movk_i32 s7, 0x80
	v_cmp_ne_u16_sdwa s[12:13], v6, s7 src0_sel:BYTE_0 src1_sel:DWORD
	v_mov_b32_e32 v16, 0xffff8000
	s_and_saveexec_b64 s[10:11], s[12:13]
	s_cbranch_execz .LBB858_596
; %bb.593:
	s_movk_i32 s7, 0x7f
	v_and_b32_e32 v14, 0x7f, v6
	v_cmp_ne_u32_e32 vcc, s7, v14
	v_mov_b32_e32 v16, 0x7f80
	s_and_saveexec_b64 s[12:13], vcc
	s_cbranch_execz .LBB858_595
; %bb.594:
	v_and_b32_e32 v18, 7, v6
	v_ffbh_u32_e32 v16, v18
	v_min_u32_e32 v20, 32, v16
	v_subrev_u32_e32 v16, 28, v20
	v_lshlrev_b64 v[16:17], v16, v[6:7]
	v_lshrrev_b32_e32 v19, 3, v14
	v_sub_u32_e32 v17, 29, v20
	v_and_b32_e32 v16, 7, v16
	v_cmp_gt_u32_e32 vcc, 8, v14
	v_cndmask_b32_e32 v14, v19, v17, vcc
	v_cndmask_b32_e32 v16, v18, v16, vcc
	v_lshlrev_b32_e32 v17, 24, v6
	v_bfrev_b32_e32 v18, 60
	v_lshlrev_b32_e32 v16, 20, v16
	v_and_b32_e32 v17, 0x80000000, v17
	v_lshl_add_u32 v14, v14, 23, v18
	v_or3_b32 v14, v17, v14, v16
	v_lshrrev_b32_e32 v16, 16, v14
.LBB858_595:
	s_or_b64 exec, exec, s[12:13]
.LBB858_596:
	s_or_b64 exec, exec, s[10:11]
.LBB858_597:
	s_or_b64 exec, exec, s[8:9]
	v_lshrrev_b16_e32 v14, 8, v6
	v_cmp_ne_u16_e32 vcc, 0, v14
	s_and_saveexec_b64 s[8:9], vcc
	s_cbranch_execz .LBB858_603
; %bb.598:
	s_movk_i32 s7, 0x80
	v_cmp_ne_u16_e32 vcc, s7, v14
	v_mov_b32_e32 v15, 0xffff8000
	s_and_saveexec_b64 s[10:11], vcc
	s_cbranch_execz .LBB858_602
; %bb.599:
	s_movk_i32 s7, 0x7f
	v_and_b32_e32 v17, 0x7f, v14
	v_cmp_ne_u32_e32 vcc, s7, v17
	v_mov_b32_e32 v15, 0x7f80
	s_and_saveexec_b64 s[12:13], vcc
	s_cbranch_execz .LBB858_601
; %bb.600:
	v_and_b32_e32 v18, 7, v14
	v_ffbh_u32_e32 v15, v18
	v_min_u32_e32 v20, 32, v15
	v_subrev_u32_e32 v15, 28, v20
	v_lshlrev_b64 v[14:15], v15, v[14:15]
	v_lshrrev_b32_e32 v19, 3, v17
	v_sub_u32_e32 v15, 29, v20
	v_and_b32_e32 v14, 7, v14
	v_cmp_gt_u32_e32 vcc, 8, v17
	v_cndmask_b32_e32 v15, v19, v15, vcc
	v_cndmask_b32_e32 v14, v18, v14, vcc
	v_lshlrev_b32_e32 v17, 16, v6
	v_bfrev_b32_e32 v18, 60
	v_lshlrev_b32_e32 v14, 20, v14
	v_and_b32_e32 v17, 0x80000000, v17
	v_lshl_add_u32 v15, v15, 23, v18
	v_or3_b32 v14, v17, v15, v14
	v_lshrrev_b32_e32 v15, 16, v14
.LBB858_601:
	s_or_b64 exec, exec, s[12:13]
.LBB858_602:
	s_or_b64 exec, exec, s[10:11]
.LBB858_603:
	s_or_b64 exec, exec, s[8:9]
	s_movk_i32 s7, 0xff
	v_and_b32_sdwa v19, v6, s7 dst_sel:DWORD dst_unused:UNUSED_PAD src0_sel:WORD_1 src1_sel:DWORD
	v_lshrrev_b32_e32 v14, 16, v6
	v_cmp_ne_u16_e32 vcc, 0, v19
	v_mov_b32_e32 v17, 0
	v_mov_b32_e32 v18, 0
	s_and_saveexec_b64 s[8:9], vcc
	s_cbranch_execz .LBB858_609
; %bb.604:
	s_movk_i32 s7, 0x80
	v_cmp_ne_u16_e32 vcc, s7, v19
	v_mov_b32_e32 v18, 0xffff8000
	s_and_saveexec_b64 s[10:11], vcc
	s_cbranch_execz .LBB858_608
; %bb.605:
	v_bfe_u32 v19, v6, 16, 7
	s_movk_i32 s7, 0x7f
	v_cmp_ne_u32_e32 vcc, s7, v19
	v_mov_b32_e32 v18, 0x7f80
	s_and_saveexec_b64 s[12:13], vcc
	s_cbranch_execz .LBB858_607
; %bb.606:
	v_and_b32_e32 v18, 7, v14
	v_ffbh_u32_e32 v20, v18
	v_min_u32_e32 v24, 32, v20
	v_subrev_u32_e32 v20, 28, v24
	v_lshlrev_b64 v[20:21], v20, v[14:15]
	v_lshrrev_b32_e32 v23, 3, v19
	v_sub_u32_e32 v14, 29, v24
	v_and_b32_e32 v20, 7, v20
	v_cmp_gt_u32_e32 vcc, 8, v19
	v_mov_b32_e32 v19, 24
	v_cndmask_b32_e32 v14, v23, v14, vcc
	v_cndmask_b32_e32 v18, v18, v20, vcc
	v_lshlrev_b32_sdwa v19, v19, v6 dst_sel:DWORD dst_unused:UNUSED_PAD src0_sel:DWORD src1_sel:WORD_1
	v_bfrev_b32_e32 v20, 60
	v_lshlrev_b32_e32 v18, 20, v18
	v_and_b32_e32 v19, 0x80000000, v19
	v_lshl_add_u32 v14, v14, 23, v20
	v_or3_b32 v14, v19, v14, v18
	v_lshrrev_b32_e32 v18, 16, v14
.LBB858_607:
	s_or_b64 exec, exec, s[12:13]
.LBB858_608:
	s_or_b64 exec, exec, s[10:11]
.LBB858_609:
	s_or_b64 exec, exec, s[8:9]
	s_mov_b32 s7, 0xffffff
	v_cmp_lt_u32_e32 vcc, s7, v6
	s_and_saveexec_b64 s[8:9], vcc
	s_cbranch_execz .LBB858_615
; %bb.610:
	v_lshrrev_b32_e32 v14, 24, v6
	s_movk_i32 s7, 0x80
	v_cmp_ne_u32_e32 vcc, s7, v14
	v_mov_b32_e32 v17, 0xffff8000
	s_and_saveexec_b64 s[10:11], vcc
	s_cbranch_execz .LBB858_614
; %bb.611:
	v_bfe_u32 v6, v6, 24, 7
	s_movk_i32 s7, 0x7f
	v_cmp_ne_u32_e32 vcc, s7, v6
	v_mov_b32_e32 v17, 0x7f80
	s_and_saveexec_b64 s[12:13], vcc
	s_cbranch_execz .LBB858_613
; %bb.612:
	v_and_b32_e32 v17, 7, v14
	v_ffbh_u32_e32 v20, v17
	v_min_u32_e32 v23, 32, v20
	v_subrev_u32_e32 v20, 28, v23
	v_lshlrev_b64 v[20:21], v20, v[14:15]
	v_lshrrev_b32_e32 v19, 3, v6
	v_sub_u32_e32 v21, 29, v23
	v_and_b32_e32 v20, 7, v20
	v_cmp_gt_u32_e32 vcc, 8, v6
	v_cndmask_b32_e32 v6, v19, v21, vcc
	v_cndmask_b32_e32 v17, v17, v20, vcc
	v_lshlrev_b32_e32 v14, 24, v14
	v_bfrev_b32_e32 v19, 60
	v_lshlrev_b32_e32 v17, 20, v17
	v_and_b32_e32 v14, 0x80000000, v14
	v_lshl_add_u32 v6, v6, 23, v19
	v_or3_b32 v6, v14, v6, v17
	v_lshrrev_b32_e32 v17, 16, v6
.LBB858_613:
	s_or_b64 exec, exec, s[12:13]
.LBB858_614:
	s_or_b64 exec, exec, s[10:11]
.LBB858_615:
	s_or_b64 exec, exec, s[8:9]
	v_mov_b32_e32 v14, 0
	v_cmp_ne_u16_sdwa s[10:11], v7, v14 src0_sel:BYTE_0 src1_sel:DWORD
	v_mov_b32_e32 v19, 0
	s_and_saveexec_b64 s[8:9], s[10:11]
	s_cbranch_execz .LBB858_621
; %bb.616:
	s_movk_i32 s7, 0x80
	v_cmp_ne_u16_sdwa s[12:13], v7, s7 src0_sel:BYTE_0 src1_sel:DWORD
	v_mov_b32_e32 v19, 0xffff8000
	s_and_saveexec_b64 s[10:11], s[12:13]
	s_cbranch_execz .LBB858_620
; %bb.617:
	s_movk_i32 s7, 0x7f
	v_and_b32_e32 v6, 0x7f, v7
	v_cmp_ne_u32_e32 vcc, s7, v6
	v_mov_b32_e32 v19, 0x7f80
	s_and_saveexec_b64 s[12:13], vcc
	s_cbranch_execz .LBB858_619
; %bb.618:
	v_and_b32_e32 v19, 7, v7
	v_ffbh_u32_e32 v21, v19
	v_min_u32_e32 v24, 32, v21
	v_mov_b32_e32 v20, v7
	v_subrev_u32_e32 v21, 28, v24
	v_lshlrev_b64 v[20:21], v21, v[20:21]
	v_lshrrev_b32_e32 v23, 3, v6
	v_sub_u32_e32 v21, 29, v24
	v_and_b32_e32 v20, 7, v20
	v_cmp_gt_u32_e32 vcc, 8, v6
	v_cndmask_b32_e32 v6, v23, v21, vcc
	v_cndmask_b32_e32 v19, v19, v20, vcc
	v_lshlrev_b32_e32 v20, 24, v7
	v_bfrev_b32_e32 v21, 60
	v_lshlrev_b32_e32 v19, 20, v19
	v_and_b32_e32 v20, 0x80000000, v20
	v_lshl_add_u32 v6, v6, 23, v21
	v_or3_b32 v6, v20, v6, v19
	v_lshrrev_b32_e32 v19, 16, v6
.LBB858_619:
	s_or_b64 exec, exec, s[12:13]
.LBB858_620:
	s_or_b64 exec, exec, s[10:11]
.LBB858_621:
	s_or_b64 exec, exec, s[8:9]
	v_lshrrev_b16_e32 v6, 8, v7
	v_cmp_ne_u16_e32 vcc, 0, v6
	s_and_saveexec_b64 s[8:9], vcc
	s_cbranch_execz .LBB858_627
; %bb.622:
	s_movk_i32 s7, 0x80
	v_cmp_ne_u16_e32 vcc, s7, v6
	v_mov_b32_e32 v14, 0xffff8000
	s_and_saveexec_b64 s[10:11], vcc
	s_cbranch_execz .LBB858_626
; %bb.623:
	s_movk_i32 s7, 0x7f
	v_and_b32_e32 v20, 0x7f, v6
	v_cmp_ne_u32_e32 vcc, s7, v20
	v_mov_b32_e32 v14, 0x7f80
	s_and_saveexec_b64 s[12:13], vcc
	s_cbranch_execz .LBB858_625
; %bb.624:
	v_and_b32_e32 v14, 7, v6
	v_ffbh_u32_e32 v23, v14
	v_min_u32_e32 v23, 32, v23
	v_subrev_u32_e32 v24, 28, v23
	v_lshlrev_b64 v[24:25], v24, v[6:7]
	v_lshrrev_b32_e32 v21, 3, v20
	v_sub_u32_e32 v6, 29, v23
	v_and_b32_e32 v23, 7, v24
	v_cmp_gt_u32_e32 vcc, 8, v20
	v_cndmask_b32_e32 v6, v21, v6, vcc
	v_cndmask_b32_e32 v14, v14, v23, vcc
	v_lshlrev_b32_e32 v20, 16, v7
	v_bfrev_b32_e32 v21, 60
	v_lshlrev_b32_e32 v14, 20, v14
	v_and_b32_e32 v20, 0x80000000, v20
	v_lshl_add_u32 v6, v6, 23, v21
	v_or3_b32 v6, v20, v6, v14
	v_lshrrev_b32_e32 v14, 16, v6
.LBB858_625:
	s_or_b64 exec, exec, s[12:13]
.LBB858_626:
	s_or_b64 exec, exec, s[10:11]
.LBB858_627:
	s_or_b64 exec, exec, s[8:9]
	s_movk_i32 s7, 0xff
	v_and_b32_sdwa v23, v7, s7 dst_sel:DWORD dst_unused:UNUSED_PAD src0_sel:WORD_1 src1_sel:DWORD
	v_lshrrev_b32_e32 v6, 16, v7
	v_cmp_ne_u16_e32 vcc, 0, v23
	v_mov_b32_e32 v20, 0
	v_mov_b32_e32 v21, 0
	s_and_saveexec_b64 s[8:9], vcc
	s_cbranch_execz .LBB858_633
; %bb.628:
	s_movk_i32 s7, 0x80
	v_cmp_ne_u16_e32 vcc, s7, v23
	v_mov_b32_e32 v21, 0xffff8000
	s_and_saveexec_b64 s[10:11], vcc
	s_cbranch_execz .LBB858_632
; %bb.629:
	v_bfe_u32 v23, v7, 16, 7
	s_movk_i32 s7, 0x7f
	v_cmp_ne_u32_e32 vcc, s7, v23
	v_mov_b32_e32 v21, 0x7f80
	s_and_saveexec_b64 s[12:13], vcc
	s_cbranch_execz .LBB858_631
; %bb.630:
	v_and_b32_e32 v21, 7, v6
	v_ffbh_u32_e32 v24, v21
	v_min_u32_e32 v27, 32, v24
	v_subrev_u32_e32 v24, 28, v27
	v_lshlrev_b64 v[24:25], v24, v[6:7]
	v_lshrrev_b32_e32 v26, 3, v23
	v_sub_u32_e32 v6, 29, v27
	v_and_b32_e32 v24, 7, v24
	v_cmp_gt_u32_e32 vcc, 8, v23
	v_mov_b32_e32 v23, 24
	v_cndmask_b32_e32 v6, v26, v6, vcc
	v_cndmask_b32_e32 v21, v21, v24, vcc
	v_lshlrev_b32_sdwa v23, v23, v7 dst_sel:DWORD dst_unused:UNUSED_PAD src0_sel:DWORD src1_sel:WORD_1
	v_bfrev_b32_e32 v24, 60
	v_lshlrev_b32_e32 v21, 20, v21
	v_and_b32_e32 v23, 0x80000000, v23
	v_lshl_add_u32 v6, v6, 23, v24
	v_or3_b32 v6, v23, v6, v21
	v_lshrrev_b32_e32 v21, 16, v6
.LBB858_631:
	s_or_b64 exec, exec, s[12:13]
.LBB858_632:
	s_or_b64 exec, exec, s[10:11]
.LBB858_633:
	s_or_b64 exec, exec, s[8:9]
	s_mov_b32 s7, 0xffffff
	v_cmp_lt_u32_e32 vcc, s7, v7
	s_and_saveexec_b64 s[8:9], vcc
	s_cbranch_execz .LBB858_639
; %bb.634:
	v_lshrrev_b32_e32 v6, 24, v7
	s_movk_i32 s7, 0x80
	v_cmp_ne_u32_e32 vcc, s7, v6
	v_mov_b32_e32 v20, 0xffff8000
	s_and_saveexec_b64 s[10:11], vcc
	s_cbranch_execz .LBB858_638
; %bb.635:
	v_bfe_u32 v7, v7, 24, 7
	s_movk_i32 s7, 0x7f
	v_cmp_ne_u32_e32 vcc, s7, v7
	v_mov_b32_e32 v20, 0x7f80
	s_and_saveexec_b64 s[12:13], vcc
	s_cbranch_execz .LBB858_637
; %bb.636:
	v_and_b32_e32 v20, 7, v6
	v_ffbh_u32_e32 v24, v20
	v_min_u32_e32 v26, 32, v24
	v_subrev_u32_e32 v24, 28, v26
	v_lshlrev_b64 v[24:25], v24, v[6:7]
	v_lshrrev_b32_e32 v23, 3, v7
	v_sub_u32_e32 v25, 29, v26
	v_and_b32_e32 v24, 7, v24
	v_cmp_gt_u32_e32 vcc, 8, v7
	v_cndmask_b32_e32 v7, v23, v25, vcc
	v_cndmask_b32_e32 v20, v20, v24, vcc
	v_lshlrev_b32_e32 v6, 24, v6
	v_bfrev_b32_e32 v23, 60
	v_lshlrev_b32_e32 v20, 20, v20
	v_and_b32_e32 v6, 0x80000000, v6
	v_lshl_add_u32 v7, v7, 23, v23
	v_or3_b32 v6, v6, v7, v20
	v_lshrrev_b32_e32 v20, 16, v6
.LBB858_637:
	s_or_b64 exec, exec, s[12:13]
.LBB858_638:
	s_or_b64 exec, exec, s[10:11]
.LBB858_639:
	s_or_b64 exec, exec, s[8:9]
	s_mov_b32 s7, 0x5040100
	v_perm_b32 v7, v17, v18, s7
	v_perm_b32 v6, v15, v16, s7
	ds_read_b128 v[24:27], v22 offset:4096
	v_perm_b32 v17, v20, v21, s7
	v_perm_b32 v16, v14, v19, s7
	s_waitcnt lgkmcnt(0)
	v_mfma_f32_16x16x16bf16_1k v[10:13], v[6:7], v[24:25], v[10:13]
	v_mov_b32_e32 v7, 0
	v_cmp_ne_u16_sdwa s[10:11], v8, v7 src0_sel:BYTE_0 src1_sel:DWORD
	v_mov_b32_e32 v14, 0
	v_mfma_f32_16x16x16bf16_1k v[10:13], v[16:17], v[26:27], v[10:13]
	s_and_saveexec_b64 s[8:9], s[10:11]
	s_cbranch_execz .LBB858_645
; %bb.640:
	s_movk_i32 s7, 0x80
	v_cmp_ne_u16_sdwa s[12:13], v8, s7 src0_sel:BYTE_0 src1_sel:DWORD
	v_mov_b32_e32 v14, 0xffff8000
	s_and_saveexec_b64 s[10:11], s[12:13]
	s_cbranch_execz .LBB858_644
; %bb.641:
	s_movk_i32 s7, 0x7f
	v_and_b32_e32 v6, 0x7f, v8
	v_cmp_ne_u32_e32 vcc, s7, v6
	v_mov_b32_e32 v14, 0x7f80
	s_and_saveexec_b64 s[12:13], vcc
	s_cbranch_execz .LBB858_643
; %bb.642:
	v_and_b32_e32 v16, 7, v8
	v_ffbh_u32_e32 v14, v16
	v_min_u32_e32 v18, 32, v14
	v_subrev_u32_e32 v14, 28, v18
	v_lshlrev_b64 v[14:15], v14, v[8:9]
	v_lshrrev_b32_e32 v17, 3, v6
	v_sub_u32_e32 v15, 29, v18
	v_and_b32_e32 v14, 7, v14
	v_cmp_gt_u32_e32 vcc, 8, v6
	v_cndmask_b32_e32 v6, v17, v15, vcc
	v_cndmask_b32_e32 v14, v16, v14, vcc
	v_lshlrev_b32_e32 v15, 24, v8
	v_bfrev_b32_e32 v16, 60
	v_lshlrev_b32_e32 v14, 20, v14
	v_and_b32_e32 v15, 0x80000000, v15
	v_lshl_add_u32 v6, v6, 23, v16
	v_or3_b32 v6, v15, v6, v14
	v_lshrrev_b32_e32 v14, 16, v6
.LBB858_643:
	s_or_b64 exec, exec, s[12:13]
.LBB858_644:
	s_or_b64 exec, exec, s[10:11]
.LBB858_645:
	s_or_b64 exec, exec, s[8:9]
	v_lshrrev_b16_e32 v6, 8, v8
	v_cmp_ne_u16_e32 vcc, 0, v6
	s_and_saveexec_b64 s[8:9], vcc
	s_cbranch_execz .LBB858_651
; %bb.646:
	s_movk_i32 s7, 0x80
	v_cmp_ne_u16_e32 vcc, s7, v6
	v_mov_b32_e32 v7, 0xffff8000
	s_and_saveexec_b64 s[10:11], vcc
	s_cbranch_execz .LBB858_650
; %bb.647:
	s_movk_i32 s7, 0x7f
	v_and_b32_e32 v15, 0x7f, v6
	v_cmp_ne_u32_e32 vcc, s7, v15
	v_mov_b32_e32 v7, 0x7f80
	s_and_saveexec_b64 s[12:13], vcc
	s_cbranch_execz .LBB858_649
; %bb.648:
	v_and_b32_e32 v16, 7, v6
	v_ffbh_u32_e32 v7, v16
	v_min_u32_e32 v18, 32, v7
	v_subrev_u32_e32 v7, 28, v18
	v_lshlrev_b64 v[6:7], v7, v[6:7]
	v_lshrrev_b32_e32 v17, 3, v15
	v_sub_u32_e32 v7, 29, v18
	v_and_b32_e32 v6, 7, v6
	v_cmp_gt_u32_e32 vcc, 8, v15
	v_cndmask_b32_e32 v7, v17, v7, vcc
	v_cndmask_b32_e32 v6, v16, v6, vcc
	v_lshlrev_b32_e32 v15, 16, v8
	v_bfrev_b32_e32 v16, 60
	v_lshlrev_b32_e32 v6, 20, v6
	v_and_b32_e32 v15, 0x80000000, v15
	v_lshl_add_u32 v7, v7, 23, v16
	v_or3_b32 v6, v15, v7, v6
	v_lshrrev_b32_e32 v7, 16, v6
.LBB858_649:
	s_or_b64 exec, exec, s[12:13]
.LBB858_650:
	s_or_b64 exec, exec, s[10:11]
.LBB858_651:
	s_or_b64 exec, exec, s[8:9]
	s_movk_i32 s7, 0xff
	v_and_b32_sdwa v17, v8, s7 dst_sel:DWORD dst_unused:UNUSED_PAD src0_sel:WORD_1 src1_sel:DWORD
	v_lshrrev_b32_e32 v6, 16, v8
	v_cmp_ne_u16_e32 vcc, 0, v17
	v_mov_b32_e32 v15, 0
	v_mov_b32_e32 v16, 0
	s_and_saveexec_b64 s[8:9], vcc
	s_cbranch_execz .LBB858_657
; %bb.652:
	s_movk_i32 s7, 0x80
	v_cmp_ne_u16_e32 vcc, s7, v17
	v_mov_b32_e32 v16, 0xffff8000
	s_and_saveexec_b64 s[10:11], vcc
	s_cbranch_execz .LBB858_656
; %bb.653:
	v_bfe_u32 v17, v8, 16, 7
	s_movk_i32 s7, 0x7f
	v_cmp_ne_u32_e32 vcc, s7, v17
	v_mov_b32_e32 v16, 0x7f80
	s_and_saveexec_b64 s[12:13], vcc
	s_cbranch_execz .LBB858_655
; %bb.654:
	v_and_b32_e32 v16, 7, v6
	v_ffbh_u32_e32 v18, v16
	v_min_u32_e32 v21, 32, v18
	v_subrev_u32_e32 v18, 28, v21
	v_lshlrev_b64 v[18:19], v18, v[6:7]
	v_lshrrev_b32_e32 v20, 3, v17
	v_sub_u32_e32 v6, 29, v21
	v_and_b32_e32 v18, 7, v18
	v_cmp_gt_u32_e32 vcc, 8, v17
	v_mov_b32_e32 v17, 24
	v_cndmask_b32_e32 v6, v20, v6, vcc
	v_cndmask_b32_e32 v16, v16, v18, vcc
	v_lshlrev_b32_sdwa v17, v17, v8 dst_sel:DWORD dst_unused:UNUSED_PAD src0_sel:DWORD src1_sel:WORD_1
	v_bfrev_b32_e32 v18, 60
	v_lshlrev_b32_e32 v16, 20, v16
	v_and_b32_e32 v17, 0x80000000, v17
	v_lshl_add_u32 v6, v6, 23, v18
	v_or3_b32 v6, v17, v6, v16
	v_lshrrev_b32_e32 v16, 16, v6
.LBB858_655:
	s_or_b64 exec, exec, s[12:13]
.LBB858_656:
	s_or_b64 exec, exec, s[10:11]
.LBB858_657:
	s_or_b64 exec, exec, s[8:9]
	s_mov_b32 s7, 0xffffff
	v_cmp_lt_u32_e32 vcc, s7, v8
	s_and_saveexec_b64 s[8:9], vcc
	s_cbranch_execz .LBB858_663
; %bb.658:
	v_lshrrev_b32_e32 v6, 24, v8
	s_movk_i32 s7, 0x80
	v_cmp_ne_u32_e32 vcc, s7, v6
	v_mov_b32_e32 v15, 0xffff8000
	s_and_saveexec_b64 s[10:11], vcc
	s_cbranch_execz .LBB858_662
; %bb.659:
	v_bfe_u32 v8, v8, 24, 7
	s_movk_i32 s7, 0x7f
	v_cmp_ne_u32_e32 vcc, s7, v8
	v_mov_b32_e32 v15, 0x7f80
	s_and_saveexec_b64 s[12:13], vcc
	s_cbranch_execz .LBB858_661
; %bb.660:
	v_and_b32_e32 v15, 7, v6
	v_ffbh_u32_e32 v18, v15
	v_min_u32_e32 v20, 32, v18
	v_subrev_u32_e32 v18, 28, v20
	v_lshlrev_b64 v[18:19], v18, v[6:7]
	v_lshrrev_b32_e32 v17, 3, v8
	v_sub_u32_e32 v19, 29, v20
	v_and_b32_e32 v18, 7, v18
	v_cmp_gt_u32_e32 vcc, 8, v8
	v_cndmask_b32_e32 v8, v17, v19, vcc
	v_cndmask_b32_e32 v15, v15, v18, vcc
	v_lshlrev_b32_e32 v6, 24, v6
	v_bfrev_b32_e32 v17, 60
	v_lshlrev_b32_e32 v15, 20, v15
	v_and_b32_e32 v6, 0x80000000, v6
	v_lshl_add_u32 v8, v8, 23, v17
	v_or3_b32 v6, v6, v8, v15
	v_lshrrev_b32_e32 v15, 16, v6
.LBB858_661:
	s_or_b64 exec, exec, s[12:13]
.LBB858_662:
	s_or_b64 exec, exec, s[10:11]
.LBB858_663:
	s_or_b64 exec, exec, s[8:9]
	v_mov_b32_e32 v8, 0
	v_cmp_ne_u16_sdwa s[10:11], v9, v8 src0_sel:BYTE_0 src1_sel:DWORD
	v_mov_b32_e32 v17, 0
	s_and_saveexec_b64 s[8:9], s[10:11]
	s_cbranch_execz .LBB858_669
; %bb.664:
	s_movk_i32 s7, 0x80
	v_cmp_ne_u16_sdwa s[12:13], v9, s7 src0_sel:BYTE_0 src1_sel:DWORD
	v_mov_b32_e32 v17, 0xffff8000
	s_and_saveexec_b64 s[10:11], s[12:13]
	s_cbranch_execz .LBB858_668
; %bb.665:
	s_movk_i32 s7, 0x7f
	v_and_b32_e32 v6, 0x7f, v9
	v_cmp_ne_u32_e32 vcc, s7, v6
	v_mov_b32_e32 v17, 0x7f80
	s_and_saveexec_b64 s[12:13], vcc
	s_cbranch_execz .LBB858_667
; %bb.666:
	v_and_b32_e32 v17, 7, v9
	v_ffbh_u32_e32 v19, v17
	v_min_u32_e32 v21, 32, v19
	v_mov_b32_e32 v18, v9
	v_subrev_u32_e32 v19, 28, v21
	v_lshlrev_b64 v[18:19], v19, v[18:19]
	v_lshrrev_b32_e32 v20, 3, v6
	v_sub_u32_e32 v19, 29, v21
	v_and_b32_e32 v18, 7, v18
	v_cmp_gt_u32_e32 vcc, 8, v6
	v_cndmask_b32_e32 v6, v20, v19, vcc
	v_cndmask_b32_e32 v17, v17, v18, vcc
	v_lshlrev_b32_e32 v18, 24, v9
	v_bfrev_b32_e32 v19, 60
	v_lshlrev_b32_e32 v17, 20, v17
	v_and_b32_e32 v18, 0x80000000, v18
	v_lshl_add_u32 v6, v6, 23, v19
	v_or3_b32 v6, v18, v6, v17
	v_lshrrev_b32_e32 v17, 16, v6
.LBB858_667:
	s_or_b64 exec, exec, s[12:13]
.LBB858_668:
	s_or_b64 exec, exec, s[10:11]
.LBB858_669:
	s_or_b64 exec, exec, s[8:9]
	v_lshrrev_b16_e32 v6, 8, v9
	v_cmp_ne_u16_e32 vcc, 0, v6
	s_and_saveexec_b64 s[8:9], vcc
	s_cbranch_execz .LBB858_675
; %bb.670:
	s_movk_i32 s7, 0x80
	v_cmp_ne_u16_e32 vcc, s7, v6
	v_mov_b32_e32 v8, 0xffff8000
	s_and_saveexec_b64 s[10:11], vcc
	s_cbranch_execz .LBB858_674
; %bb.671:
	s_movk_i32 s7, 0x7f
	v_and_b32_e32 v18, 0x7f, v6
	v_cmp_ne_u32_e32 vcc, s7, v18
	v_mov_b32_e32 v8, 0x7f80
	s_and_saveexec_b64 s[12:13], vcc
	s_cbranch_execz .LBB858_673
; %bb.672:
	v_and_b32_e32 v8, 7, v6
	v_ffbh_u32_e32 v20, v8
	v_min_u32_e32 v23, 32, v20
	v_subrev_u32_e32 v20, 28, v23
	v_lshlrev_b64 v[20:21], v20, v[6:7]
	v_lshrrev_b32_e32 v19, 3, v18
	v_sub_u32_e32 v6, 29, v23
	v_and_b32_e32 v20, 7, v20
	v_cmp_gt_u32_e32 vcc, 8, v18
	v_cndmask_b32_e32 v6, v19, v6, vcc
	v_cndmask_b32_e32 v8, v8, v20, vcc
	v_lshlrev_b32_e32 v18, 16, v9
	v_bfrev_b32_e32 v19, 60
	v_lshlrev_b32_e32 v8, 20, v8
	v_and_b32_e32 v18, 0x80000000, v18
	v_lshl_add_u32 v6, v6, 23, v19
	v_or3_b32 v6, v18, v6, v8
	v_lshrrev_b32_e32 v8, 16, v6
.LBB858_673:
	s_or_b64 exec, exec, s[12:13]
.LBB858_674:
	s_or_b64 exec, exec, s[10:11]
.LBB858_675:
	s_or_b64 exec, exec, s[8:9]
	s_movk_i32 s7, 0xff
	v_and_b32_sdwa v20, v9, s7 dst_sel:DWORD dst_unused:UNUSED_PAD src0_sel:WORD_1 src1_sel:DWORD
	v_lshrrev_b32_e32 v6, 16, v9
	v_cmp_ne_u16_e32 vcc, 0, v20
	v_mov_b32_e32 v18, 0
	v_mov_b32_e32 v19, 0
	s_and_saveexec_b64 s[8:9], vcc
	s_cbranch_execz .LBB858_681
; %bb.676:
	s_movk_i32 s7, 0x80
	v_cmp_ne_u16_e32 vcc, s7, v20
	v_mov_b32_e32 v19, 0xffff8000
	s_and_saveexec_b64 s[10:11], vcc
	s_cbranch_execz .LBB858_680
; %bb.677:
	v_bfe_u32 v20, v9, 16, 7
	s_movk_i32 s7, 0x7f
	v_cmp_ne_u32_e32 vcc, s7, v20
	v_mov_b32_e32 v19, 0x7f80
	s_and_saveexec_b64 s[12:13], vcc
	s_cbranch_execz .LBB858_679
; %bb.678:
	v_and_b32_e32 v19, 7, v6
	v_ffbh_u32_e32 v23, v19
	v_min_u32_e32 v23, 32, v23
	v_subrev_u32_e32 v24, 28, v23
	v_lshlrev_b64 v[24:25], v24, v[6:7]
	v_lshrrev_b32_e32 v21, 3, v20
	v_sub_u32_e32 v6, 29, v23
	v_and_b32_e32 v23, 7, v24
	v_cmp_gt_u32_e32 vcc, 8, v20
	v_mov_b32_e32 v20, 24
	v_cndmask_b32_e32 v6, v21, v6, vcc
	v_cndmask_b32_e32 v19, v19, v23, vcc
	v_lshlrev_b32_sdwa v20, v20, v9 dst_sel:DWORD dst_unused:UNUSED_PAD src0_sel:DWORD src1_sel:WORD_1
	v_bfrev_b32_e32 v21, 60
	v_lshlrev_b32_e32 v19, 20, v19
	v_and_b32_e32 v20, 0x80000000, v20
	v_lshl_add_u32 v6, v6, 23, v21
	v_or3_b32 v6, v20, v6, v19
	v_lshrrev_b32_e32 v19, 16, v6
.LBB858_679:
	s_or_b64 exec, exec, s[12:13]
.LBB858_680:
	s_or_b64 exec, exec, s[10:11]
.LBB858_681:
	s_or_b64 exec, exec, s[8:9]
	s_mov_b32 s7, 0xffffff
	v_cmp_lt_u32_e32 vcc, s7, v9
	s_and_saveexec_b64 s[8:9], vcc
	s_cbranch_execz .LBB858_687
; %bb.682:
	v_lshrrev_b32_e32 v6, 24, v9
	s_movk_i32 s7, 0x80
	v_cmp_ne_u32_e32 vcc, s7, v6
	v_mov_b32_e32 v18, 0xffff8000
	s_and_saveexec_b64 s[10:11], vcc
	s_cbranch_execz .LBB858_686
; %bb.683:
	v_bfe_u32 v9, v9, 24, 7
	s_movk_i32 s7, 0x7f
	v_cmp_ne_u32_e32 vcc, s7, v9
	v_mov_b32_e32 v18, 0x7f80
	s_and_saveexec_b64 s[12:13], vcc
	s_cbranch_execz .LBB858_685
; %bb.684:
	v_and_b32_e32 v18, 7, v6
	v_ffbh_u32_e32 v20, v18
	v_min_u32_e32 v24, 32, v20
	v_subrev_u32_e32 v20, 28, v24
	v_lshlrev_b64 v[20:21], v20, v[6:7]
	v_lshrrev_b32_e32 v23, 3, v9
	v_sub_u32_e32 v21, 29, v24
	v_and_b32_e32 v20, 7, v20
	v_cmp_gt_u32_e32 vcc, 8, v9
	v_cndmask_b32_e32 v9, v23, v21, vcc
	v_cndmask_b32_e32 v18, v18, v20, vcc
	v_lshlrev_b32_e32 v6, 24, v6
	v_bfrev_b32_e32 v20, 60
	v_lshlrev_b32_e32 v18, 20, v18
	v_and_b32_e32 v6, 0x80000000, v6
	v_lshl_add_u32 v9, v9, 23, v20
	v_or3_b32 v6, v6, v9, v18
	v_lshrrev_b32_e32 v18, 16, v6
.LBB858_685:
	s_or_b64 exec, exec, s[12:13]
.LBB858_686:
	s_or_b64 exec, exec, s[10:11]
.LBB858_687:
	s_or_b64 exec, exec, s[8:9]
	s_mov_b32 s7, 0x5040100
	v_perm_b32 v15, v15, v16, s7
	v_perm_b32 v14, v7, v14, s7
	ds_read_b128 v[24:27], v22 offset:4112
	v_perm_b32 v7, v18, v19, s7
	v_perm_b32 v6, v8, v17, s7
	s_waitcnt lgkmcnt(0)
	v_mfma_f32_16x16x16bf16_1k v[30:33], v[14:15], v[24:25], v[10:13]
	s_nop 6
	v_mov_b32_e32 v11, 0
	s_waitcnt vmcnt(0)
	v_cmp_ne_u16_sdwa s[10:11], v2, v11 src0_sel:BYTE_0 src1_sel:DWORD
	v_mfma_f32_16x16x16bf16_1k v[6:9], v[6:7], v[26:27], v[30:33]
	v_mov_b32_e32 v12, 0
	s_and_saveexec_b64 s[8:9], s[10:11]
	s_cbranch_execz .LBB858_693
; %bb.688:
	s_movk_i32 s7, 0x80
	v_cmp_ne_u16_sdwa s[12:13], v2, s7 src0_sel:BYTE_0 src1_sel:DWORD
	v_mov_b32_e32 v12, 0xffff8000
	s_and_saveexec_b64 s[10:11], s[12:13]
	s_cbranch_execz .LBB858_692
; %bb.689:
	s_movk_i32 s7, 0x7f
	v_and_b32_e32 v10, 0x7f, v2
	v_cmp_ne_u32_e32 vcc, s7, v10
	v_mov_b32_e32 v12, 0x7f80
	s_and_saveexec_b64 s[12:13], vcc
	s_cbranch_execz .LBB858_691
; %bb.690:
	v_and_b32_e32 v14, 7, v2
	v_ffbh_u32_e32 v12, v14
	v_min_u32_e32 v16, 32, v12
	v_subrev_u32_e32 v12, 28, v16
	v_lshlrev_b64 v[12:13], v12, v[2:3]
	v_lshrrev_b32_e32 v15, 3, v10
	v_sub_u32_e32 v13, 29, v16
	v_and_b32_e32 v12, 7, v12
	v_cmp_gt_u32_e32 vcc, 8, v10
	v_cndmask_b32_e32 v10, v15, v13, vcc
	v_cndmask_b32_e32 v12, v14, v12, vcc
	v_lshlrev_b32_e32 v13, 24, v2
	v_bfrev_b32_e32 v14, 60
	v_lshlrev_b32_e32 v12, 20, v12
	v_and_b32_e32 v13, 0x80000000, v13
	v_lshl_add_u32 v10, v10, 23, v14
	v_or3_b32 v10, v13, v10, v12
	v_lshrrev_b32_e32 v12, 16, v10
.LBB858_691:
	s_or_b64 exec, exec, s[12:13]
.LBB858_692:
	s_or_b64 exec, exec, s[10:11]
.LBB858_693:
	s_or_b64 exec, exec, s[8:9]
	v_lshrrev_b16_e32 v10, 8, v2
	v_cmp_ne_u16_e32 vcc, 0, v10
	s_and_saveexec_b64 s[8:9], vcc
	s_cbranch_execz .LBB858_699
; %bb.694:
	s_movk_i32 s7, 0x80
	v_cmp_ne_u16_e32 vcc, s7, v10
	v_mov_b32_e32 v11, 0xffff8000
	s_and_saveexec_b64 s[10:11], vcc
	s_cbranch_execz .LBB858_698
; %bb.695:
	s_movk_i32 s7, 0x7f
	v_and_b32_e32 v13, 0x7f, v10
	v_cmp_ne_u32_e32 vcc, s7, v13
	v_mov_b32_e32 v11, 0x7f80
	s_and_saveexec_b64 s[12:13], vcc
	s_cbranch_execz .LBB858_697
; %bb.696:
	v_and_b32_e32 v14, 7, v10
	v_ffbh_u32_e32 v11, v14
	v_min_u32_e32 v16, 32, v11
	v_subrev_u32_e32 v11, 28, v16
	v_lshlrev_b64 v[10:11], v11, v[10:11]
	v_lshrrev_b32_e32 v15, 3, v13
	v_sub_u32_e32 v11, 29, v16
	v_and_b32_e32 v10, 7, v10
	v_cmp_gt_u32_e32 vcc, 8, v13
	v_cndmask_b32_e32 v11, v15, v11, vcc
	v_cndmask_b32_e32 v10, v14, v10, vcc
	v_lshlrev_b32_e32 v13, 16, v2
	v_bfrev_b32_e32 v14, 60
	v_lshlrev_b32_e32 v10, 20, v10
	v_and_b32_e32 v13, 0x80000000, v13
	v_lshl_add_u32 v11, v11, 23, v14
	v_or3_b32 v10, v13, v11, v10
	v_lshrrev_b32_e32 v11, 16, v10
.LBB858_697:
	s_or_b64 exec, exec, s[12:13]
.LBB858_698:
	s_or_b64 exec, exec, s[10:11]
.LBB858_699:
	s_or_b64 exec, exec, s[8:9]
	s_movk_i32 s7, 0xff
	v_and_b32_sdwa v15, v2, s7 dst_sel:DWORD dst_unused:UNUSED_PAD src0_sel:WORD_1 src1_sel:DWORD
	v_lshrrev_b32_e32 v10, 16, v2
	v_cmp_ne_u16_e32 vcc, 0, v15
	v_mov_b32_e32 v13, 0
	v_mov_b32_e32 v14, 0
	s_and_saveexec_b64 s[8:9], vcc
	s_cbranch_execz .LBB858_705
; %bb.700:
	s_movk_i32 s7, 0x80
	v_cmp_ne_u16_e32 vcc, s7, v15
	v_mov_b32_e32 v14, 0xffff8000
	s_and_saveexec_b64 s[10:11], vcc
	s_cbranch_execz .LBB858_704
; %bb.701:
	v_bfe_u32 v15, v2, 16, 7
	s_movk_i32 s7, 0x7f
	v_cmp_ne_u32_e32 vcc, s7, v15
	v_mov_b32_e32 v14, 0x7f80
	s_and_saveexec_b64 s[12:13], vcc
	s_cbranch_execz .LBB858_703
; %bb.702:
	v_and_b32_e32 v14, 7, v10
	v_ffbh_u32_e32 v16, v14
	v_min_u32_e32 v19, 32, v16
	v_subrev_u32_e32 v16, 28, v19
	v_lshlrev_b64 v[16:17], v16, v[10:11]
	v_lshrrev_b32_e32 v18, 3, v15
	v_sub_u32_e32 v10, 29, v19
	v_and_b32_e32 v16, 7, v16
	v_cmp_gt_u32_e32 vcc, 8, v15
	v_mov_b32_e32 v15, 24
	v_cndmask_b32_e32 v10, v18, v10, vcc
	v_cndmask_b32_e32 v14, v14, v16, vcc
	v_lshlrev_b32_sdwa v15, v15, v2 dst_sel:DWORD dst_unused:UNUSED_PAD src0_sel:DWORD src1_sel:WORD_1
	v_bfrev_b32_e32 v16, 60
	v_lshlrev_b32_e32 v14, 20, v14
	v_and_b32_e32 v15, 0x80000000, v15
	v_lshl_add_u32 v10, v10, 23, v16
	v_or3_b32 v10, v15, v10, v14
	v_lshrrev_b32_e32 v14, 16, v10
.LBB858_703:
	s_or_b64 exec, exec, s[12:13]
.LBB858_704:
	s_or_b64 exec, exec, s[10:11]
.LBB858_705:
	s_or_b64 exec, exec, s[8:9]
	s_mov_b32 s7, 0xffffff
	v_cmp_lt_u32_e32 vcc, s7, v2
	s_and_saveexec_b64 s[8:9], vcc
	s_cbranch_execz .LBB858_711
; %bb.706:
	v_lshrrev_b32_e32 v10, 24, v2
	s_movk_i32 s7, 0x80
	v_cmp_ne_u32_e32 vcc, s7, v10
	v_mov_b32_e32 v13, 0xffff8000
	s_and_saveexec_b64 s[10:11], vcc
	s_cbranch_execz .LBB858_710
; %bb.707:
	v_bfe_u32 v2, v2, 24, 7
	s_movk_i32 s7, 0x7f
	v_cmp_ne_u32_e32 vcc, s7, v2
	v_mov_b32_e32 v13, 0x7f80
	s_and_saveexec_b64 s[12:13], vcc
	s_cbranch_execz .LBB858_709
; %bb.708:
	v_and_b32_e32 v13, 7, v10
	v_ffbh_u32_e32 v16, v13
	v_min_u32_e32 v18, 32, v16
	v_subrev_u32_e32 v16, 28, v18
	v_lshlrev_b64 v[16:17], v16, v[10:11]
	v_lshrrev_b32_e32 v15, 3, v2
	v_sub_u32_e32 v17, 29, v18
	v_and_b32_e32 v16, 7, v16
	v_cmp_gt_u32_e32 vcc, 8, v2
	v_cndmask_b32_e32 v2, v15, v17, vcc
	v_cndmask_b32_e32 v13, v13, v16, vcc
	v_lshlrev_b32_e32 v10, 24, v10
	v_bfrev_b32_e32 v15, 60
	v_lshlrev_b32_e32 v13, 20, v13
	v_and_b32_e32 v10, 0x80000000, v10
	v_lshl_add_u32 v2, v2, 23, v15
	v_or3_b32 v2, v10, v2, v13
	v_lshrrev_b32_e32 v13, 16, v2
.LBB858_709:
	s_or_b64 exec, exec, s[12:13]
.LBB858_710:
	s_or_b64 exec, exec, s[10:11]
.LBB858_711:
	s_or_b64 exec, exec, s[8:9]
	v_mov_b32_e32 v10, 0
	v_cmp_ne_u16_sdwa s[10:11], v3, v10 src0_sel:BYTE_0 src1_sel:DWORD
	v_mov_b32_e32 v15, 0
	s_and_saveexec_b64 s[8:9], s[10:11]
	s_cbranch_execz .LBB858_717
; %bb.712:
	s_movk_i32 s7, 0x80
	v_cmp_ne_u16_sdwa s[12:13], v3, s7 src0_sel:BYTE_0 src1_sel:DWORD
	v_mov_b32_e32 v15, 0xffff8000
	s_and_saveexec_b64 s[10:11], s[12:13]
	s_cbranch_execz .LBB858_716
; %bb.713:
	s_movk_i32 s7, 0x7f
	v_and_b32_e32 v2, 0x7f, v3
	v_cmp_ne_u32_e32 vcc, s7, v2
	v_mov_b32_e32 v15, 0x7f80
	s_and_saveexec_b64 s[12:13], vcc
	s_cbranch_execz .LBB858_715
; %bb.714:
	v_and_b32_e32 v15, 7, v3
	v_ffbh_u32_e32 v17, v15
	v_min_u32_e32 v19, 32, v17
	v_mov_b32_e32 v16, v3
	v_subrev_u32_e32 v17, 28, v19
	v_lshlrev_b64 v[16:17], v17, v[16:17]
	v_lshrrev_b32_e32 v18, 3, v2
	v_sub_u32_e32 v17, 29, v19
	v_and_b32_e32 v16, 7, v16
	v_cmp_gt_u32_e32 vcc, 8, v2
	v_cndmask_b32_e32 v2, v18, v17, vcc
	v_cndmask_b32_e32 v15, v15, v16, vcc
	v_lshlrev_b32_e32 v16, 24, v3
	v_bfrev_b32_e32 v17, 60
	v_lshlrev_b32_e32 v15, 20, v15
	v_and_b32_e32 v16, 0x80000000, v16
	v_lshl_add_u32 v2, v2, 23, v17
	v_or3_b32 v2, v16, v2, v15
	v_lshrrev_b32_e32 v15, 16, v2
.LBB858_715:
	s_or_b64 exec, exec, s[12:13]
.LBB858_716:
	s_or_b64 exec, exec, s[10:11]
.LBB858_717:
	s_or_b64 exec, exec, s[8:9]
	v_lshrrev_b16_e32 v2, 8, v3
	v_cmp_ne_u16_e32 vcc, 0, v2
	s_and_saveexec_b64 s[8:9], vcc
	s_cbranch_execz .LBB858_723
; %bb.718:
	s_movk_i32 s7, 0x80
	v_cmp_ne_u16_e32 vcc, s7, v2
	v_mov_b32_e32 v10, 0xffff8000
	s_and_saveexec_b64 s[10:11], vcc
	s_cbranch_execz .LBB858_722
; %bb.719:
	s_movk_i32 s7, 0x7f
	v_and_b32_e32 v16, 0x7f, v2
	v_cmp_ne_u32_e32 vcc, s7, v16
	v_mov_b32_e32 v10, 0x7f80
	s_and_saveexec_b64 s[12:13], vcc
	s_cbranch_execz .LBB858_721
; %bb.720:
	v_and_b32_e32 v10, 7, v2
	v_ffbh_u32_e32 v18, v10
	v_min_u32_e32 v20, 32, v18
	v_subrev_u32_e32 v18, 28, v20
	v_lshlrev_b64 v[18:19], v18, v[2:3]
	v_lshrrev_b32_e32 v17, 3, v16
	v_sub_u32_e32 v2, 29, v20
	v_and_b32_e32 v18, 7, v18
	v_cmp_gt_u32_e32 vcc, 8, v16
	v_cndmask_b32_e32 v2, v17, v2, vcc
	v_cndmask_b32_e32 v10, v10, v18, vcc
	v_lshlrev_b32_e32 v16, 16, v3
	v_bfrev_b32_e32 v17, 60
	v_lshlrev_b32_e32 v10, 20, v10
	v_and_b32_e32 v16, 0x80000000, v16
	v_lshl_add_u32 v2, v2, 23, v17
	v_or3_b32 v2, v16, v2, v10
	v_lshrrev_b32_e32 v10, 16, v2
.LBB858_721:
	s_or_b64 exec, exec, s[12:13]
.LBB858_722:
	s_or_b64 exec, exec, s[10:11]
.LBB858_723:
	s_or_b64 exec, exec, s[8:9]
	s_movk_i32 s7, 0xff
	v_and_b32_sdwa v18, v3, s7 dst_sel:DWORD dst_unused:UNUSED_PAD src0_sel:WORD_1 src1_sel:DWORD
	v_lshrrev_b32_e32 v2, 16, v3
	v_cmp_ne_u16_e32 vcc, 0, v18
	v_mov_b32_e32 v16, 0
	v_mov_b32_e32 v17, 0
	s_and_saveexec_b64 s[8:9], vcc
	s_cbranch_execz .LBB858_729
; %bb.724:
	s_movk_i32 s7, 0x80
	v_cmp_ne_u16_e32 vcc, s7, v18
	v_mov_b32_e32 v17, 0xffff8000
	s_and_saveexec_b64 s[10:11], vcc
	s_cbranch_execz .LBB858_728
; %bb.725:
	v_bfe_u32 v18, v3, 16, 7
	s_movk_i32 s7, 0x7f
	v_cmp_ne_u32_e32 vcc, s7, v18
	v_mov_b32_e32 v17, 0x7f80
	s_and_saveexec_b64 s[12:13], vcc
	s_cbranch_execz .LBB858_727
; %bb.726:
	v_and_b32_e32 v17, 7, v2
	v_ffbh_u32_e32 v20, v17
	v_min_u32_e32 v23, 32, v20
	v_subrev_u32_e32 v20, 28, v23
	v_lshlrev_b64 v[20:21], v20, v[2:3]
	v_lshrrev_b32_e32 v19, 3, v18
	v_sub_u32_e32 v2, 29, v23
	v_and_b32_e32 v20, 7, v20
	v_cmp_gt_u32_e32 vcc, 8, v18
	v_mov_b32_e32 v18, 24
	v_cndmask_b32_e32 v2, v19, v2, vcc
	v_cndmask_b32_e32 v17, v17, v20, vcc
	v_lshlrev_b32_sdwa v18, v18, v3 dst_sel:DWORD dst_unused:UNUSED_PAD src0_sel:DWORD src1_sel:WORD_1
	v_bfrev_b32_e32 v19, 60
	v_lshlrev_b32_e32 v17, 20, v17
	v_and_b32_e32 v18, 0x80000000, v18
	v_lshl_add_u32 v2, v2, 23, v19
	v_or3_b32 v2, v18, v2, v17
	v_lshrrev_b32_e32 v17, 16, v2
.LBB858_727:
	s_or_b64 exec, exec, s[12:13]
.LBB858_728:
	s_or_b64 exec, exec, s[10:11]
.LBB858_729:
	s_or_b64 exec, exec, s[8:9]
	s_mov_b32 s7, 0xffffff
	v_cmp_lt_u32_e32 vcc, s7, v3
	s_and_saveexec_b64 s[8:9], vcc
	s_cbranch_execz .LBB858_735
; %bb.730:
	v_lshrrev_b32_e32 v2, 24, v3
	s_movk_i32 s7, 0x80
	v_cmp_ne_u32_e32 vcc, s7, v2
	v_mov_b32_e32 v16, 0xffff8000
	s_and_saveexec_b64 s[10:11], vcc
	s_cbranch_execz .LBB858_734
; %bb.731:
	v_bfe_u32 v3, v3, 24, 7
	s_movk_i32 s7, 0x7f
	v_cmp_ne_u32_e32 vcc, s7, v3
	v_mov_b32_e32 v16, 0x7f80
	s_and_saveexec_b64 s[12:13], vcc
	s_cbranch_execz .LBB858_733
; %bb.732:
	v_and_b32_e32 v16, 7, v2
	v_ffbh_u32_e32 v18, v16
	v_min_u32_e32 v21, 32, v18
	v_subrev_u32_e32 v18, 28, v21
	v_lshlrev_b64 v[18:19], v18, v[2:3]
	v_lshrrev_b32_e32 v20, 3, v3
	v_sub_u32_e32 v19, 29, v21
	v_and_b32_e32 v18, 7, v18
	v_cmp_gt_u32_e32 vcc, 8, v3
	v_cndmask_b32_e32 v3, v20, v19, vcc
	v_cndmask_b32_e32 v16, v16, v18, vcc
	v_lshlrev_b32_e32 v2, 24, v2
	v_bfrev_b32_e32 v18, 60
	v_lshlrev_b32_e32 v16, 20, v16
	v_and_b32_e32 v2, 0x80000000, v2
	v_lshl_add_u32 v3, v3, 23, v18
	v_or3_b32 v2, v2, v3, v16
	v_lshrrev_b32_e32 v16, 16, v2
.LBB858_733:
	s_or_b64 exec, exec, s[12:13]
.LBB858_734:
	s_or_b64 exec, exec, s[10:11]
.LBB858_735:
	s_or_b64 exec, exec, s[8:9]
	s_mov_b32 s7, 0x5040100
	v_perm_b32 v3, v13, v14, s7
	v_perm_b32 v2, v11, v12, s7
	ds_read_b128 v[18:21], v22 offset:6144
	v_perm_b32 v13, v16, v17, s7
	v_perm_b32 v12, v10, v15, s7
	s_waitcnt lgkmcnt(0)
	v_mfma_f32_16x16x16bf16_1k v[6:9], v[2:3], v[18:19], v[6:9]
	v_mov_b32_e32 v3, 0
	v_cmp_ne_u16_sdwa s[10:11], v4, v3 src0_sel:BYTE_0 src1_sel:DWORD
	v_mov_b32_e32 v10, 0
	v_mfma_f32_16x16x16bf16_1k v[6:9], v[12:13], v[20:21], v[6:9]
	s_and_saveexec_b64 s[8:9], s[10:11]
	s_cbranch_execz .LBB858_741
; %bb.736:
	s_movk_i32 s7, 0x80
	v_cmp_ne_u16_sdwa s[12:13], v4, s7 src0_sel:BYTE_0 src1_sel:DWORD
	v_mov_b32_e32 v10, 0xffff8000
	s_and_saveexec_b64 s[10:11], s[12:13]
	s_cbranch_execz .LBB858_740
; %bb.737:
	s_movk_i32 s7, 0x7f
	v_and_b32_e32 v2, 0x7f, v4
	v_cmp_ne_u32_e32 vcc, s7, v2
	v_mov_b32_e32 v10, 0x7f80
	s_and_saveexec_b64 s[12:13], vcc
	s_cbranch_execz .LBB858_739
; %bb.738:
	v_and_b32_e32 v12, 7, v4
	v_ffbh_u32_e32 v10, v12
	v_min_u32_e32 v14, 32, v10
	v_subrev_u32_e32 v10, 28, v14
	v_lshlrev_b64 v[10:11], v10, v[4:5]
	v_lshrrev_b32_e32 v13, 3, v2
	v_sub_u32_e32 v11, 29, v14
	v_and_b32_e32 v10, 7, v10
	v_cmp_gt_u32_e32 vcc, 8, v2
	v_cndmask_b32_e32 v2, v13, v11, vcc
	v_cndmask_b32_e32 v10, v12, v10, vcc
	v_lshlrev_b32_e32 v11, 24, v4
	v_bfrev_b32_e32 v12, 60
	v_lshlrev_b32_e32 v10, 20, v10
	v_and_b32_e32 v11, 0x80000000, v11
	v_lshl_add_u32 v2, v2, 23, v12
	v_or3_b32 v2, v11, v2, v10
	v_lshrrev_b32_e32 v10, 16, v2
.LBB858_739:
	s_or_b64 exec, exec, s[12:13]
.LBB858_740:
	s_or_b64 exec, exec, s[10:11]
.LBB858_741:
	s_or_b64 exec, exec, s[8:9]
	v_lshrrev_b16_e32 v2, 8, v4
	v_cmp_ne_u16_e32 vcc, 0, v2
	s_and_saveexec_b64 s[8:9], vcc
	s_cbranch_execz .LBB858_747
; %bb.742:
	s_movk_i32 s7, 0x80
	v_cmp_ne_u16_e32 vcc, s7, v2
	v_mov_b32_e32 v3, 0xffff8000
	s_and_saveexec_b64 s[10:11], vcc
	s_cbranch_execz .LBB858_746
; %bb.743:
	s_movk_i32 s7, 0x7f
	v_and_b32_e32 v11, 0x7f, v2
	v_cmp_ne_u32_e32 vcc, s7, v11
	v_mov_b32_e32 v3, 0x7f80
	s_and_saveexec_b64 s[12:13], vcc
	s_cbranch_execz .LBB858_745
; %bb.744:
	v_and_b32_e32 v12, 7, v2
	v_ffbh_u32_e32 v3, v12
	v_min_u32_e32 v14, 32, v3
	v_subrev_u32_e32 v3, 28, v14
	v_lshlrev_b64 v[2:3], v3, v[2:3]
	v_lshrrev_b32_e32 v13, 3, v11
	v_sub_u32_e32 v3, 29, v14
	v_and_b32_e32 v2, 7, v2
	v_cmp_gt_u32_e32 vcc, 8, v11
	v_cndmask_b32_e32 v3, v13, v3, vcc
	v_cndmask_b32_e32 v2, v12, v2, vcc
	v_lshlrev_b32_e32 v11, 16, v4
	v_bfrev_b32_e32 v12, 60
	v_lshlrev_b32_e32 v2, 20, v2
	v_and_b32_e32 v11, 0x80000000, v11
	v_lshl_add_u32 v3, v3, 23, v12
	v_or3_b32 v2, v11, v3, v2
	v_lshrrev_b32_e32 v3, 16, v2
.LBB858_745:
	s_or_b64 exec, exec, s[12:13]
.LBB858_746:
	s_or_b64 exec, exec, s[10:11]
.LBB858_747:
	s_or_b64 exec, exec, s[8:9]
	s_movk_i32 s7, 0xff
	v_and_b32_sdwa v13, v4, s7 dst_sel:DWORD dst_unused:UNUSED_PAD src0_sel:WORD_1 src1_sel:DWORD
	v_lshrrev_b32_e32 v2, 16, v4
	v_cmp_ne_u16_e32 vcc, 0, v13
	v_mov_b32_e32 v11, 0
	v_mov_b32_e32 v12, 0
	s_and_saveexec_b64 s[8:9], vcc
	s_cbranch_execz .LBB858_753
; %bb.748:
	s_movk_i32 s7, 0x80
	v_cmp_ne_u16_e32 vcc, s7, v13
	v_mov_b32_e32 v12, 0xffff8000
	s_and_saveexec_b64 s[10:11], vcc
	s_cbranch_execz .LBB858_752
; %bb.749:
	v_bfe_u32 v13, v4, 16, 7
	s_movk_i32 s7, 0x7f
	v_cmp_ne_u32_e32 vcc, s7, v13
	v_mov_b32_e32 v12, 0x7f80
	s_and_saveexec_b64 s[12:13], vcc
	s_cbranch_execz .LBB858_751
; %bb.750:
	v_and_b32_e32 v12, 7, v2
	v_ffbh_u32_e32 v14, v12
	v_min_u32_e32 v17, 32, v14
	v_subrev_u32_e32 v14, 28, v17
	v_lshlrev_b64 v[14:15], v14, v[2:3]
	v_lshrrev_b32_e32 v16, 3, v13
	v_sub_u32_e32 v2, 29, v17
	v_and_b32_e32 v14, 7, v14
	v_cmp_gt_u32_e32 vcc, 8, v13
	v_mov_b32_e32 v13, 24
	v_cndmask_b32_e32 v2, v16, v2, vcc
	v_cndmask_b32_e32 v12, v12, v14, vcc
	v_lshlrev_b32_sdwa v13, v13, v4 dst_sel:DWORD dst_unused:UNUSED_PAD src0_sel:DWORD src1_sel:WORD_1
	v_bfrev_b32_e32 v14, 60
	v_lshlrev_b32_e32 v12, 20, v12
	v_and_b32_e32 v13, 0x80000000, v13
	v_lshl_add_u32 v2, v2, 23, v14
	v_or3_b32 v2, v13, v2, v12
	v_lshrrev_b32_e32 v12, 16, v2
.LBB858_751:
	s_or_b64 exec, exec, s[12:13]
.LBB858_752:
	s_or_b64 exec, exec, s[10:11]
.LBB858_753:
	s_or_b64 exec, exec, s[8:9]
	s_mov_b32 s7, 0xffffff
	v_cmp_lt_u32_e32 vcc, s7, v4
	s_and_saveexec_b64 s[8:9], vcc
	s_cbranch_execz .LBB858_759
; %bb.754:
	v_lshrrev_b32_e32 v2, 24, v4
	s_movk_i32 s7, 0x80
	v_cmp_ne_u32_e32 vcc, s7, v2
	v_mov_b32_e32 v11, 0xffff8000
	s_and_saveexec_b64 s[10:11], vcc
	s_cbranch_execz .LBB858_758
; %bb.755:
	v_bfe_u32 v4, v4, 24, 7
	s_movk_i32 s7, 0x7f
	v_cmp_ne_u32_e32 vcc, s7, v4
	v_mov_b32_e32 v11, 0x7f80
	s_and_saveexec_b64 s[12:13], vcc
	s_cbranch_execz .LBB858_757
; %bb.756:
	v_and_b32_e32 v11, 7, v2
	v_ffbh_u32_e32 v14, v11
	v_min_u32_e32 v16, 32, v14
	v_subrev_u32_e32 v14, 28, v16
	v_lshlrev_b64 v[14:15], v14, v[2:3]
	v_lshrrev_b32_e32 v13, 3, v4
	v_sub_u32_e32 v15, 29, v16
	v_and_b32_e32 v14, 7, v14
	v_cmp_gt_u32_e32 vcc, 8, v4
	v_cndmask_b32_e32 v4, v13, v15, vcc
	v_cndmask_b32_e32 v11, v11, v14, vcc
	v_lshlrev_b32_e32 v2, 24, v2
	v_bfrev_b32_e32 v13, 60
	v_lshlrev_b32_e32 v11, 20, v11
	v_and_b32_e32 v2, 0x80000000, v2
	v_lshl_add_u32 v4, v4, 23, v13
	v_or3_b32 v2, v2, v4, v11
	v_lshrrev_b32_e32 v11, 16, v2
.LBB858_757:
	s_or_b64 exec, exec, s[12:13]
.LBB858_758:
	s_or_b64 exec, exec, s[10:11]
.LBB858_759:
	s_or_b64 exec, exec, s[8:9]
	v_mov_b32_e32 v4, 0
	v_cmp_ne_u16_sdwa s[10:11], v5, v4 src0_sel:BYTE_0 src1_sel:DWORD
	v_mov_b32_e32 v13, 0
	s_and_saveexec_b64 s[8:9], s[10:11]
	s_cbranch_execz .LBB858_765
; %bb.760:
	s_movk_i32 s7, 0x80
	v_cmp_ne_u16_sdwa s[12:13], v5, s7 src0_sel:BYTE_0 src1_sel:DWORD
	v_mov_b32_e32 v13, 0xffff8000
	s_and_saveexec_b64 s[10:11], s[12:13]
	s_cbranch_execz .LBB858_764
; %bb.761:
	s_movk_i32 s7, 0x7f
	v_and_b32_e32 v2, 0x7f, v5
	v_cmp_ne_u32_e32 vcc, s7, v2
	v_mov_b32_e32 v13, 0x7f80
	s_and_saveexec_b64 s[12:13], vcc
	s_cbranch_execz .LBB858_763
; %bb.762:
	v_and_b32_e32 v13, 7, v5
	v_ffbh_u32_e32 v15, v13
	v_min_u32_e32 v17, 32, v15
	v_mov_b32_e32 v14, v5
	v_subrev_u32_e32 v15, 28, v17
	v_lshlrev_b64 v[14:15], v15, v[14:15]
	v_lshrrev_b32_e32 v16, 3, v2
	v_sub_u32_e32 v15, 29, v17
	v_and_b32_e32 v14, 7, v14
	v_cmp_gt_u32_e32 vcc, 8, v2
	v_cndmask_b32_e32 v2, v16, v15, vcc
	v_cndmask_b32_e32 v13, v13, v14, vcc
	v_lshlrev_b32_e32 v14, 24, v5
	v_bfrev_b32_e32 v15, 60
	v_lshlrev_b32_e32 v13, 20, v13
	v_and_b32_e32 v14, 0x80000000, v14
	v_lshl_add_u32 v2, v2, 23, v15
	v_or3_b32 v2, v14, v2, v13
	v_lshrrev_b32_e32 v13, 16, v2
.LBB858_763:
	s_or_b64 exec, exec, s[12:13]
.LBB858_764:
	s_or_b64 exec, exec, s[10:11]
.LBB858_765:
	s_or_b64 exec, exec, s[8:9]
	v_lshrrev_b16_e32 v2, 8, v5
	v_cmp_ne_u16_e32 vcc, 0, v2
	s_and_saveexec_b64 s[8:9], vcc
	s_cbranch_execz .LBB858_771
; %bb.766:
	s_movk_i32 s7, 0x80
	v_cmp_ne_u16_e32 vcc, s7, v2
	v_mov_b32_e32 v4, 0xffff8000
	s_and_saveexec_b64 s[10:11], vcc
	s_cbranch_execz .LBB858_770
; %bb.767:
	s_movk_i32 s7, 0x7f
	v_and_b32_e32 v14, 0x7f, v2
	v_cmp_ne_u32_e32 vcc, s7, v14
	v_mov_b32_e32 v4, 0x7f80
	s_and_saveexec_b64 s[12:13], vcc
	s_cbranch_execz .LBB858_769
; %bb.768:
	v_and_b32_e32 v4, 7, v2
	v_ffbh_u32_e32 v16, v4
	v_min_u32_e32 v18, 32, v16
	v_subrev_u32_e32 v16, 28, v18
	v_lshlrev_b64 v[16:17], v16, v[2:3]
	v_lshrrev_b32_e32 v15, 3, v14
	v_sub_u32_e32 v2, 29, v18
	v_and_b32_e32 v16, 7, v16
	v_cmp_gt_u32_e32 vcc, 8, v14
	v_cndmask_b32_e32 v2, v15, v2, vcc
	v_cndmask_b32_e32 v4, v4, v16, vcc
	v_lshlrev_b32_e32 v14, 16, v5
	v_bfrev_b32_e32 v15, 60
	v_lshlrev_b32_e32 v4, 20, v4
	v_and_b32_e32 v14, 0x80000000, v14
	v_lshl_add_u32 v2, v2, 23, v15
	v_or3_b32 v2, v14, v2, v4
	v_lshrrev_b32_e32 v4, 16, v2
.LBB858_769:
	s_or_b64 exec, exec, s[12:13]
.LBB858_770:
	s_or_b64 exec, exec, s[10:11]
.LBB858_771:
	s_or_b64 exec, exec, s[8:9]
	s_movk_i32 s7, 0xff
	v_and_b32_sdwa v16, v5, s7 dst_sel:DWORD dst_unused:UNUSED_PAD src0_sel:WORD_1 src1_sel:DWORD
	v_lshrrev_b32_e32 v2, 16, v5
	v_cmp_ne_u16_e32 vcc, 0, v16
	v_mov_b32_e32 v14, 0
	v_mov_b32_e32 v15, 0
	s_and_saveexec_b64 s[8:9], vcc
	s_cbranch_execz .LBB858_777
; %bb.772:
	s_movk_i32 s7, 0x80
	v_cmp_ne_u16_e32 vcc, s7, v16
	v_mov_b32_e32 v15, 0xffff8000
	s_and_saveexec_b64 s[10:11], vcc
	s_cbranch_execz .LBB858_776
; %bb.773:
	v_bfe_u32 v16, v5, 16, 7
	s_movk_i32 s7, 0x7f
	v_cmp_ne_u32_e32 vcc, s7, v16
	v_mov_b32_e32 v15, 0x7f80
	s_and_saveexec_b64 s[12:13], vcc
	s_cbranch_execz .LBB858_775
; %bb.774:
	v_and_b32_e32 v15, 7, v2
	v_ffbh_u32_e32 v18, v15
	v_min_u32_e32 v20, 32, v18
	v_subrev_u32_e32 v18, 28, v20
	v_lshlrev_b64 v[18:19], v18, v[2:3]
	v_lshrrev_b32_e32 v17, 3, v16
	v_sub_u32_e32 v2, 29, v20
	v_and_b32_e32 v18, 7, v18
	v_cmp_gt_u32_e32 vcc, 8, v16
	v_mov_b32_e32 v16, 24
	v_cndmask_b32_e32 v2, v17, v2, vcc
	v_cndmask_b32_e32 v15, v15, v18, vcc
	v_lshlrev_b32_sdwa v16, v16, v5 dst_sel:DWORD dst_unused:UNUSED_PAD src0_sel:DWORD src1_sel:WORD_1
	v_bfrev_b32_e32 v17, 60
	v_lshlrev_b32_e32 v15, 20, v15
	v_and_b32_e32 v16, 0x80000000, v16
	v_lshl_add_u32 v2, v2, 23, v17
	v_or3_b32 v2, v16, v2, v15
	v_lshrrev_b32_e32 v15, 16, v2
.LBB858_775:
	s_or_b64 exec, exec, s[12:13]
.LBB858_776:
	s_or_b64 exec, exec, s[10:11]
.LBB858_777:
	s_or_b64 exec, exec, s[8:9]
	s_mov_b32 s7, 0xffffff
	v_cmp_lt_u32_e32 vcc, s7, v5
	s_and_saveexec_b64 s[8:9], vcc
	s_cbranch_execz .LBB858_783
; %bb.778:
	v_lshrrev_b32_e32 v2, 24, v5
	s_movk_i32 s7, 0x80
	v_cmp_ne_u32_e32 vcc, s7, v2
	v_mov_b32_e32 v14, 0xffff8000
	s_and_saveexec_b64 s[10:11], vcc
	s_cbranch_execz .LBB858_782
; %bb.779:
	v_bfe_u32 v5, v5, 24, 7
	s_movk_i32 s7, 0x7f
	v_cmp_ne_u32_e32 vcc, s7, v5
	v_mov_b32_e32 v14, 0x7f80
	s_and_saveexec_b64 s[12:13], vcc
	s_cbranch_execz .LBB858_781
; %bb.780:
	v_and_b32_e32 v14, 7, v2
	v_ffbh_u32_e32 v16, v14
	v_min_u32_e32 v19, 32, v16
	v_subrev_u32_e32 v16, 28, v19
	v_lshlrev_b64 v[16:17], v16, v[2:3]
	v_lshrrev_b32_e32 v18, 3, v5
	v_sub_u32_e32 v17, 29, v19
	v_and_b32_e32 v16, 7, v16
	v_cmp_gt_u32_e32 vcc, 8, v5
	v_cndmask_b32_e32 v5, v18, v17, vcc
	v_cndmask_b32_e32 v14, v14, v16, vcc
	v_lshlrev_b32_e32 v2, 24, v2
	v_bfrev_b32_e32 v16, 60
	v_lshlrev_b32_e32 v14, 20, v14
	v_and_b32_e32 v2, 0x80000000, v2
	v_lshl_add_u32 v5, v5, 23, v16
	v_or3_b32 v2, v2, v5, v14
	v_lshrrev_b32_e32 v14, 16, v2
.LBB858_781:
	s_or_b64 exec, exec, s[12:13]
.LBB858_782:
	s_or_b64 exec, exec, s[10:11]
.LBB858_783:
	s_or_b64 exec, exec, s[8:9]
	s_mov_b32 s7, 0x5040100
	v_perm_b32 v11, v11, v12, s7
	ds_read_b128 v[16:19], v22 offset:6160
	v_perm_b32 v10, v3, v10, s7
	v_perm_b32 v3, v14, v15, s7
	;; [unrolled: 1-line block ×3, first 2 shown]
	s_waitcnt lgkmcnt(0)
	v_mfma_f32_16x16x16bf16_1k v[6:9], v[10:11], v[16:17], v[6:9]
	s_load_dword s8, s[42:43], 0x0
	s_movk_i32 s9, 0x7fff
	s_mov_b32 s7, 0x7060302
	v_cmp_gt_u32_e32 vcc, 64, v0
	s_and_b64 s[0:1], vcc, s[0:1]
	s_waitcnt lgkmcnt(0)
	s_barrier
	v_mfma_f32_16x16x16bf16_1k v[2:5], v[2:3], v[18:19], v[6:9]
	s_nop 7
	s_nop 2
	v_pk_mul_f32 v[4:5], v[4:5], s[8:9] op_sel_hi:[1,0]
	v_pk_mul_f32 v[2:3], v[2:3], s[8:9] op_sel_hi:[1,0]
	v_bfe_u32 v6, v3, 16, 1
	v_bfe_u32 v7, v2, 16, 1
	;; [unrolled: 1-line block ×4, first 2 shown]
	v_add3_u32 v2, v2, v7, s9
	v_add3_u32 v3, v3, v6, s9
	;; [unrolled: 1-line block ×4, first 2 shown]
	v_perm_b32 v2, v3, v2, s7
	v_perm_b32 v3, v5, v4, s7
	ds_write_b64 v28, v[2:3]
	s_waitcnt lgkmcnt(0)
	s_barrier
	s_and_saveexec_b64 s[8:9], s[0:1]
	s_cbranch_execz .LBB858_786
; %bb.784:
	s_load_dwordx2 s[4:5], s[4:5], 0x68
	s_lshl_b32 s0, s44, 6
	s_mul_i32 s1, s14, s6
	s_mul_hi_u32 s9, s1, s0
	s_mul_i32 s8, s1, s0
	s_lshl_b64 s[8:9], s[8:9], 1
	s_waitcnt lgkmcnt(0)
	s_add_u32 s1, s4, s8
	v_lshlrev_b32_e32 v0, 10, v0
	s_mov_b32 s7, 0
	s_addc_u32 s8, s5, s9
	s_lshl_b32 s6, s24, 6
	v_and_b32_e32 v0, 0x1800, v0
	v_lshlrev_b32_e32 v2, 5, v1
	v_and_b32_e32 v3, 16, v47
	s_lshl_b64 s[4:5], s[6:7], 1
	v_or3_b32 v0, v0, v2, v3
	s_add_u32 s1, s1, s4
	ds_read_b128 v[4:7], v0 offset:256
	s_addc_u32 s4, s8, s5
	ds_read_b128 v[8:11], v0 offset:128
	ds_read_b128 v[12:15], v0
	v_add_u32_e32 v18, s25, v1
	v_mov_b32_e32 v3, s4
	v_add_co_u32_e32 v2, vcc, s1, v46
	v_mad_u64_u32 v[16:17], s[4:5], v18, s0, 0
	v_addc_co_u32_e32 v3, vcc, 0, v3, vcc
	v_lshlrev_b64 v[16:17], 1, v[16:17]
	v_add_co_u32_e32 v16, vcc, v2, v16
	v_addc_co_u32_e32 v17, vcc, v3, v17, vcc
	s_waitcnt lgkmcnt(0)
	global_store_dwordx4 v[16:17], v[12:15], off
	s_nop 0
	v_add_u32_e32 v12, 4, v18
	v_mad_u64_u32 v[12:13], s[4:5], v12, s0, 0
	v_lshlrev_b64 v[12:13], 1, v[12:13]
	v_add_co_u32_e32 v12, vcc, v2, v12
	v_addc_co_u32_e32 v13, vcc, v3, v13, vcc
	global_store_dwordx4 v[12:13], v[8:11], off
	s_nop 0
	v_add_u32_e32 v8, 8, v18
	v_mad_u64_u32 v[8:9], s[4:5], v8, s0, 0
	v_lshlrev_b64 v[8:9], 1, v[8:9]
	v_add_co_u32_e32 v8, vcc, v2, v8
	v_addc_co_u32_e32 v9, vcc, v3, v9, vcc
	global_store_dwordx4 v[8:9], v[4:7], off
	s_and_b64 exec, exec, s[2:3]
	s_cbranch_execz .LBB858_786
; %bb.785:
	ds_read_b128 v[4:7], v0 offset:384
	v_add3_u32 v0, s25, v1, 12
	v_mad_u64_u32 v[0:1], s[0:1], v0, s0, 0
	v_lshlrev_b64 v[0:1], 1, v[0:1]
	v_add_co_u32_e32 v0, vcc, v2, v0
	v_addc_co_u32_e32 v1, vcc, v3, v1, vcc
	s_waitcnt lgkmcnt(0)
	global_store_dwordx4 v[0:1], v[4:7], off
.LBB858_786:
	s_endpgm
	.section	.rodata,"a",@progbits
	.p2align	6, 0x0
	.amdhsa_kernel _Z39paged_attention_ll4mi_QKV_mfma16_kernelI14__hip_bfloat16hLN4vllm18Fp8KVCacheDataTypeE1ES0_Li16ELi64ELi256ELb0ELi13EL8MFMAType0EEvPKT_PKT0_S9_ifPKiSB_SB_iPKfiiiPfSE_PS4_PT2_iSD_SD_
		.amdhsa_group_segment_fixed_size 8192
		.amdhsa_private_segment_fixed_size 0
		.amdhsa_kernarg_size 400
		.amdhsa_user_sgpr_count 6
		.amdhsa_user_sgpr_private_segment_buffer 1
		.amdhsa_user_sgpr_dispatch_ptr 0
		.amdhsa_user_sgpr_queue_ptr 0
		.amdhsa_user_sgpr_kernarg_segment_ptr 1
		.amdhsa_user_sgpr_dispatch_id 0
		.amdhsa_user_sgpr_flat_scratch_init 0
		.amdhsa_user_sgpr_kernarg_preload_length 0
		.amdhsa_user_sgpr_kernarg_preload_offset 0
		.amdhsa_user_sgpr_private_segment_size 0
		.amdhsa_uses_dynamic_stack 0
		.amdhsa_system_sgpr_private_segment_wavefront_offset 0
		.amdhsa_system_sgpr_workgroup_id_x 1
		.amdhsa_system_sgpr_workgroup_id_y 1
		.amdhsa_system_sgpr_workgroup_id_z 1
		.amdhsa_system_sgpr_workgroup_info 0
		.amdhsa_system_vgpr_workitem_id 0
		.amdhsa_next_free_vgpr 61
		.amdhsa_next_free_sgpr 47
		.amdhsa_accum_offset 64
		.amdhsa_reserve_vcc 1
		.amdhsa_reserve_flat_scratch 0
		.amdhsa_float_round_mode_32 0
		.amdhsa_float_round_mode_16_64 0
		.amdhsa_float_denorm_mode_32 3
		.amdhsa_float_denorm_mode_16_64 3
		.amdhsa_dx10_clamp 1
		.amdhsa_ieee_mode 1
		.amdhsa_fp16_overflow 0
		.amdhsa_tg_split 0
		.amdhsa_exception_fp_ieee_invalid_op 0
		.amdhsa_exception_fp_denorm_src 0
		.amdhsa_exception_fp_ieee_div_zero 0
		.amdhsa_exception_fp_ieee_overflow 0
		.amdhsa_exception_fp_ieee_underflow 0
		.amdhsa_exception_fp_ieee_inexact 0
		.amdhsa_exception_int_div_zero 0
	.end_amdhsa_kernel
	.section	.text._Z39paged_attention_ll4mi_QKV_mfma16_kernelI14__hip_bfloat16hLN4vllm18Fp8KVCacheDataTypeE1ES0_Li16ELi64ELi256ELb0ELi13EL8MFMAType0EEvPKT_PKT0_S9_ifPKiSB_SB_iPKfiiiPfSE_PS4_PT2_iSD_SD_,"axG",@progbits,_Z39paged_attention_ll4mi_QKV_mfma16_kernelI14__hip_bfloat16hLN4vllm18Fp8KVCacheDataTypeE1ES0_Li16ELi64ELi256ELb0ELi13EL8MFMAType0EEvPKT_PKT0_S9_ifPKiSB_SB_iPKfiiiPfSE_PS4_PT2_iSD_SD_,comdat
.Lfunc_end858:
	.size	_Z39paged_attention_ll4mi_QKV_mfma16_kernelI14__hip_bfloat16hLN4vllm18Fp8KVCacheDataTypeE1ES0_Li16ELi64ELi256ELb0ELi13EL8MFMAType0EEvPKT_PKT0_S9_ifPKiSB_SB_iPKfiiiPfSE_PS4_PT2_iSD_SD_, .Lfunc_end858-_Z39paged_attention_ll4mi_QKV_mfma16_kernelI14__hip_bfloat16hLN4vllm18Fp8KVCacheDataTypeE1ES0_Li16ELi64ELi256ELb0ELi13EL8MFMAType0EEvPKT_PKT0_S9_ifPKiSB_SB_iPKfiiiPfSE_PS4_PT2_iSD_SD_
                                        ; -- End function
	.section	.AMDGPU.csdata,"",@progbits
; Kernel info:
; codeLenInByte = 28376
; NumSgprs: 51
; NumVgprs: 61
; NumAgprs: 0
; TotalNumVgprs: 61
; ScratchSize: 0
; MemoryBound: 0
; FloatMode: 240
; IeeeMode: 1
; LDSByteSize: 8192 bytes/workgroup (compile time only)
; SGPRBlocks: 6
; VGPRBlocks: 7
; NumSGPRsForWavesPerEU: 51
; NumVGPRsForWavesPerEU: 61
; AccumOffset: 64
; Occupancy: 8
; WaveLimiterHint : 1
; COMPUTE_PGM_RSRC2:SCRATCH_EN: 0
; COMPUTE_PGM_RSRC2:USER_SGPR: 6
; COMPUTE_PGM_RSRC2:TRAP_HANDLER: 0
; COMPUTE_PGM_RSRC2:TGID_X_EN: 1
; COMPUTE_PGM_RSRC2:TGID_Y_EN: 1
; COMPUTE_PGM_RSRC2:TGID_Z_EN: 1
; COMPUTE_PGM_RSRC2:TIDIG_COMP_CNT: 0
; COMPUTE_PGM_RSRC3_GFX90A:ACCUM_OFFSET: 15
; COMPUTE_PGM_RSRC3_GFX90A:TG_SPLIT: 0
	.section	.text._Z39paged_attention_ll4mi_QKV_mfma16_kernelI14__hip_bfloat16hLN4vllm18Fp8KVCacheDataTypeE1ES0_Li16ELi64ELi256ELb0ELi14EL8MFMAType0EEvPKT_PKT0_S9_ifPKiSB_SB_iPKfiiiPfSE_PS4_PT2_iSD_SD_,"axG",@progbits,_Z39paged_attention_ll4mi_QKV_mfma16_kernelI14__hip_bfloat16hLN4vllm18Fp8KVCacheDataTypeE1ES0_Li16ELi64ELi256ELb0ELi14EL8MFMAType0EEvPKT_PKT0_S9_ifPKiSB_SB_iPKfiiiPfSE_PS4_PT2_iSD_SD_,comdat
	.protected	_Z39paged_attention_ll4mi_QKV_mfma16_kernelI14__hip_bfloat16hLN4vllm18Fp8KVCacheDataTypeE1ES0_Li16ELi64ELi256ELb0ELi14EL8MFMAType0EEvPKT_PKT0_S9_ifPKiSB_SB_iPKfiiiPfSE_PS4_PT2_iSD_SD_ ; -- Begin function _Z39paged_attention_ll4mi_QKV_mfma16_kernelI14__hip_bfloat16hLN4vllm18Fp8KVCacheDataTypeE1ES0_Li16ELi64ELi256ELb0ELi14EL8MFMAType0EEvPKT_PKT0_S9_ifPKiSB_SB_iPKfiiiPfSE_PS4_PT2_iSD_SD_
	.globl	_Z39paged_attention_ll4mi_QKV_mfma16_kernelI14__hip_bfloat16hLN4vllm18Fp8KVCacheDataTypeE1ES0_Li16ELi64ELi256ELb0ELi14EL8MFMAType0EEvPKT_PKT0_S9_ifPKiSB_SB_iPKfiiiPfSE_PS4_PT2_iSD_SD_
	.p2align	8
	.type	_Z39paged_attention_ll4mi_QKV_mfma16_kernelI14__hip_bfloat16hLN4vllm18Fp8KVCacheDataTypeE1ES0_Li16ELi64ELi256ELb0ELi14EL8MFMAType0EEvPKT_PKT0_S9_ifPKiSB_SB_iPKfiiiPfSE_PS4_PT2_iSD_SD_,@function
_Z39paged_attention_ll4mi_QKV_mfma16_kernelI14__hip_bfloat16hLN4vllm18Fp8KVCacheDataTypeE1ES0_Li16ELi64ELi256ELb0ELi14EL8MFMAType0EEvPKT_PKT0_S9_ifPKiSB_SB_iPKfiiiPfSE_PS4_PT2_iSD_SD_: ; @_Z39paged_attention_ll4mi_QKV_mfma16_kernelI14__hip_bfloat16hLN4vllm18Fp8KVCacheDataTypeE1ES0_Li16ELi64ELi256ELb0ELi14EL8MFMAType0EEvPKT_PKT0_S9_ifPKiSB_SB_iPKfiiiPfSE_PS4_PT2_iSD_SD_
; %bb.0:
	s_load_dwordx2 s[0:1], s[4:5], 0x30
	s_mov_b32 s24, s7
	s_mov_b64 s[10:11], 0
	s_waitcnt lgkmcnt(0)
	s_cmp_lg_u64 s[0:1], 0
	s_cselect_b64 s[2:3], -1, 0
	s_and_b64 vcc, exec, s[2:3]
	s_cbranch_vccz .LBB859_7
; %bb.1:
	s_add_i32 s12, s6, 1
	s_mov_b32 s13, 0
	s_lshl_b64 s[14:15], s[12:13], 2
	s_add_u32 s14, s0, s14
	s_mov_b32 s7, s13
	s_addc_u32 s15, s1, s15
	s_lshl_b64 s[12:13], s[6:7], 2
	s_add_u32 s12, s0, s12
	s_addc_u32 s13, s1, s13
	s_load_dword s9, s[14:15], 0x0
	s_load_dword s16, s[12:13], 0x0
	s_waitcnt lgkmcnt(0)
	s_sub_i32 s9, s9, s16
	s_cmp_eq_u32 s9, 1
	s_cselect_b64 s[12:13], -1, 0
	s_andn2_b64 vcc, exec, s[10:11]
	s_cbranch_vccnz .LBB859_3
.LBB859_2:
	s_mov_b32 s7, 0
	s_mov_b64 s[12:13], -1
.LBB859_3:
	s_andn2_b64 vcc, exec, s[12:13]
	s_cbranch_vccnz .LBB859_786
; %bb.4:
	s_load_dwordx2 s[12:13], s[4:5], 0x28
	s_lshl_b64 s[10:11], s[6:7], 2
	s_waitcnt lgkmcnt(0)
	s_add_u32 s12, s12, s10
	s_addc_u32 s13, s13, s11
	s_load_dword s33, s[12:13], 0x0
	s_lshl_b32 s20, s24, 8
	s_waitcnt lgkmcnt(0)
	s_cmp_ge_i32 s20, s33
	s_cbranch_scc1 .LBB859_786
; %bb.5:
	s_add_i32 s14, s33, 15
	s_load_dwordx2 s[12:13], s[4:5], 0x20
	s_load_dword s9, s[4:5], 0x38
	s_ashr_i32 s15, s14, 31
	v_and_b32_e32 v1, 0xcf, v0
	s_lshr_b32 s15, s15, 28
	v_add_u32_e32 v1, s20, v1
	s_add_i32 s14, s14, s15
	v_ashrrev_i32_e32 v2, 31, v1
	s_ashr_i32 s22, s14, 4
	v_lshrrev_b32_e32 v4, 28, v2
	s_add_i32 s22, s22, -1
	v_add_u32_e32 v2, v1, v4
	s_waitcnt lgkmcnt(0)
	s_mul_i32 s14, s6, s9
	s_mov_b32 s15, 0
	v_ashrrev_i32_e32 v2, 4, v2
	v_mov_b32_e32 v5, s22
	v_cmp_gt_i32_e32 vcc, s33, v1
	s_lshl_b64 s[14:15], s[14:15], 2
	v_cndmask_b32_e32 v2, v5, v2, vcc
	s_add_u32 s9, s12, s14
	v_ashrrev_i32_e32 v3, 31, v2
	s_addc_u32 s21, s13, s15
	v_lshlrev_b64 v[2:3], 2, v[2:3]
	v_mov_b32_e32 v7, s21
	v_add_co_u32_e32 v6, vcc, s9, v2
	v_or_b32_e32 v2, 16, v1
	v_addc_co_u32_e32 v7, vcc, v7, v3, vcc
	v_add_u32_e32 v3, v2, v4
	v_ashrrev_i32_e32 v3, 4, v3
	v_cmp_gt_i32_e32 vcc, s33, v2
	v_cndmask_b32_e32 v2, v5, v3, vcc
	v_ashrrev_i32_e32 v3, 31, v2
	v_lshlrev_b64 v[2:3], 2, v[2:3]
	v_mov_b32_e32 v9, s21
	v_add_co_u32_e32 v8, vcc, s9, v2
	v_or_b32_e32 v2, 32, v1
	v_addc_co_u32_e32 v9, vcc, v9, v3, vcc
	v_add_u32_e32 v3, v2, v4
	v_ashrrev_i32_e32 v3, 4, v3
	v_cmp_gt_i32_e32 vcc, s33, v2
	v_cndmask_b32_e32 v2, v5, v3, vcc
	v_ashrrev_i32_e32 v3, 31, v2
	;; [unrolled: 10-line block ×3, first 2 shown]
	v_lshlrev_b64 v[2:3], 2, v[2:3]
	v_mov_b32_e32 v1, s21
	v_add_co_u32_e32 v12, vcc, s9, v2
	v_addc_co_u32_e32 v13, vcc, v1, v3, vcc
	global_load_dword v4, v[6:7], off
	global_load_dword v5, v[8:9], off
	;; [unrolled: 1-line block ×4, first 2 shown]
	s_load_dwordx4 s[12:15], s[4:5], 0x8
	s_andn2_b64 vcc, exec, s[2:3]
	s_cbranch_vccnz .LBB859_8
; %bb.6:
	s_add_u32 s0, s0, s10
	s_addc_u32 s1, s1, s11
	s_load_dword s10, s[0:1], 0x0
	s_branch .LBB859_9
.LBB859_7:
	s_mov_b64 s[12:13], 0
	s_branch .LBB859_2
.LBB859_8:
	s_mov_b32 s10, s6
.LBB859_9:
	s_load_dwordx4 s[16:19], s[4:5], 0x48
	v_lshrrev_b32_e32 v49, 6, v0
	v_bfe_u32 v1, v0, 4, 2
	v_lshl_or_b32 v6, v49, 2, v1
	v_and_b32_e32 v48, 15, v0
	v_lshlrev_b32_e32 v7, 3, v48
	v_cmp_gt_u32_e32 vcc, 14, v6
	v_cmp_gt_u32_e64 s[0:1], 8, v48
	s_mul_i32 s25, s8, 14
	s_and_b64 s[26:27], s[0:1], vcc
	v_lshlrev_b32_e32 v46, 1, v7
	v_lshlrev_b32_e32 v47, 4, v0
	s_and_saveexec_b64 s[2:3], s[26:27]
	s_cbranch_execz .LBB859_11
; %bb.10:
	s_load_dwordx2 s[26:27], s[4:5], 0x0
	s_waitcnt lgkmcnt(0)
	s_ashr_i32 s11, s16, 31
	s_mul_hi_u32 s19, s10, s16
	s_mul_i32 s11, s10, s11
	s_add_i32 s11, s19, s11
	s_mul_i32 s10, s10, s16
	s_lshl_b64 s[10:11], s[10:11], 1
	v_add_lshl_u32 v8, v6, s25, 6
	s_add_u32 s10, s26, s10
	v_ashrrev_i32_e32 v9, 31, v8
	s_addc_u32 s11, s27, s11
	v_lshlrev_b64 v[8:9], 1, v[8:9]
	v_mov_b32_e32 v7, s11
	v_add_co_u32_e32 v8, vcc, s10, v8
	v_addc_co_u32_e32 v7, vcc, v7, v9, vcc
	v_add_co_u32_e32 v8, vcc, v8, v46
	v_addc_co_u32_e32 v9, vcc, 0, v7, vcc
	global_load_dwordx4 v[8:11], v[8:9], off
	v_lshlrev_b32_e32 v12, 8, v48
	v_lshlrev_b32_e32 v6, 5, v6
	v_and_b32_e32 v7, 16, v47
	v_and_b32_e32 v12, 0xe00, v12
	v_or3_b32 v6, v12, v6, v7
	s_waitcnt vmcnt(0)
	ds_write_b128 v6, v[8:11]
.LBB859_11:
	s_or_b64 exec, exec, s[2:3]
	v_and_b32_e32 v12, 48, v0
	v_or_b32_e32 v13, s20, v12
	v_ashrrev_i32_e32 v6, 4, v13
	v_mov_b32_e32 v14, s22
	v_cmp_gt_i32_e32 vcc, s33, v13
	v_cndmask_b32_e32 v6, v14, v6, vcc
	v_ashrrev_i32_e32 v7, 31, v6
	v_lshlrev_b64 v[6:7], 2, v[6:7]
	v_mov_b32_e32 v8, s21
	v_add_co_u32_e32 v6, vcc, s9, v6
	v_addc_co_u32_e32 v7, vcc, v8, v7, vcc
	v_or_b32_e32 v8, 64, v13
	v_ashrrev_i32_e32 v9, 4, v8
	v_cmp_gt_i32_e32 vcc, s33, v8
	v_cndmask_b32_e32 v8, v14, v9, vcc
	v_ashrrev_i32_e32 v9, 31, v8
	v_lshlrev_b64 v[8:9], 2, v[8:9]
	v_mov_b32_e32 v10, s21
	v_add_co_u32_e32 v8, vcc, s9, v8
	v_addc_co_u32_e32 v9, vcc, v10, v9, vcc
	v_or_b32_e32 v10, 0x80, v13
	v_ashrrev_i32_e32 v11, 4, v10
	v_cmp_gt_i32_e32 vcc, s33, v10
	v_cndmask_b32_e32 v10, v14, v11, vcc
	v_ashrrev_i32_e32 v11, 31, v10
	v_lshlrev_b64 v[10:11], 2, v[10:11]
	v_mov_b32_e32 v15, s21
	v_add_co_u32_e32 v10, vcc, s9, v10
	s_load_dwordx2 s[44:45], s[4:5], 0x94
	s_load_dwordx4 s[40:43], s[4:5], 0x80
	s_waitcnt lgkmcnt(0)
	s_barrier
	v_addc_co_u32_e32 v11, vcc, v15, v11, vcc
	global_load_dword v15, v[6:7], off
	global_load_dword v16, v[8:9], off
	;; [unrolled: 1-line block ×3, first 2 shown]
	v_or_b32_e32 v6, 0xc0, v13
	v_ashrrev_i32_e32 v7, 4, v6
	v_cmp_gt_i32_e32 vcc, s33, v6
	v_cndmask_b32_e32 v6, v14, v7, vcc
	v_ashrrev_i32_e32 v7, 31, v6
	v_lshlrev_b64 v[6:7], 2, v[6:7]
	v_mov_b32_e32 v8, s21
	v_add_co_u32_e32 v6, vcc, s9, v6
	v_addc_co_u32_e32 v7, vcc, v8, v7, vcc
	global_load_dword v20, v[6:7], off
	s_mul_i32 s8, s8, s18
	s_add_u32 s2, s12, s8
	s_addc_u32 s3, s13, 0
	v_and_b32_e32 v6, 0xf0, v47
	v_mov_b32_e32 v7, s3
	v_add_co_u32_e32 v6, vcc, s2, v6
	v_addc_co_u32_e32 v7, vcc, 0, v7, vcc
	v_lshlrev_b32_e32 v8, 4, v12
	v_add_co_u32_e32 v6, vcc, v6, v8
	v_addc_co_u32_e32 v7, vcc, 0, v7, vcc
	s_waitcnt vmcnt(7)
	v_mad_i64_i32 v[8:9], s[2:3], v4, s17, v[6:7]
	s_waitcnt vmcnt(6)
	v_mad_i64_i32 v[4:5], s[2:3], v5, s17, v[6:7]
	global_load_dwordx4 v[30:33], v[8:9], off
	global_load_dwordx4 v[38:41], v[4:5], off
	s_waitcnt vmcnt(7)
	v_mad_i64_i32 v[4:5], s[2:3], v2, s17, v[6:7]
	s_waitcnt vmcnt(6)
	v_mad_i64_i32 v[2:3], s[2:3], v3, s17, v[6:7]
	global_load_dwordx4 v[34:37], v[4:5], off
	global_load_dwordx4 v[22:25], v[2:3], off
	s_add_u32 s2, s14, s8
	v_lshlrev_b32_e32 v2, 4, v48
	s_addc_u32 s3, s15, 0
	v_lshl_or_b32 v2, v49, 8, v2
	v_mov_b32_e32 v3, s3
	v_add_co_u32_e32 v2, vcc, s2, v2
	v_addc_co_u32_e32 v3, vcc, 0, v3, vcc
	v_cmp_gt_u32_e32 vcc, 14, v48
	v_mov_b32_e32 v44, 0
	v_mov_b32_e32 v43, 0
	s_movk_i32 s8, 0x80
	s_waitcnt vmcnt(7)
	v_mad_i64_i32 v[4:5], s[2:3], v15, s17, v[2:3]
	s_waitcnt vmcnt(6)
	v_mad_i64_i32 v[6:7], s[2:3], v16, s17, v[2:3]
	;; [unrolled: 2-line block ×3, first 2 shown]
	global_load_dwordx4 v[14:17], v[4:5], off
	global_load_dwordx4 v[10:13], v[6:7], off
	s_waitcnt vmcnt(6)
	v_mad_i64_i32 v[20:21], s[2:3], v20, s17, v[2:3]
	global_load_dwordx4 v[6:9], v[18:19], off
	global_load_dwordx4 v[2:5], v[20:21], off
	v_add_u32_e32 v18, -14, v48
	v_cndmask_b32_e32 v18, v18, v48, vcc
	v_lshlrev_b32_e32 v18, 5, v18
	v_lshl_add_u32 v18, v1, 9, v18
	ds_read_b128 v[26:29], v18
	ds_read_b128 v[18:21], v18 offset:16
	s_load_dword s12, s[40:41], 0x0
	s_waitcnt vmcnt(7)
	v_cmp_ne_u16_sdwa s[10:11], v30, v44 src0_sel:BYTE_0 src1_sel:DWORD
	s_and_saveexec_b64 s[2:3], s[10:11]
	s_cbranch_execz .LBB859_17
; %bb.12:
	v_cmp_ne_u16_sdwa s[10:11], v30, s8 src0_sel:BYTE_0 src1_sel:DWORD
	v_mov_b32_e32 v43, 0xffff8000
	s_and_saveexec_b64 s[8:9], s[10:11]
	s_cbranch_execz .LBB859_16
; %bb.13:
	s_movk_i32 s10, 0x7f
	v_and_b32_e32 v42, 0x7f, v30
	v_cmp_ne_u32_e32 vcc, s10, v42
	v_mov_b32_e32 v43, 0x7f80
	s_and_saveexec_b64 s[10:11], vcc
	s_cbranch_execz .LBB859_15
; %bb.14:
	v_and_b32_e32 v43, 7, v30
	v_ffbh_u32_e32 v50, v43
	v_min_u32_e32 v52, 32, v50
	v_subrev_u32_e32 v50, 28, v52
	v_lshlrev_b64 v[50:51], v50, v[30:31]
	v_lshrrev_b32_e32 v45, 3, v42
	v_sub_u32_e32 v51, 29, v52
	v_and_b32_e32 v50, 7, v50
	v_cmp_gt_u32_e32 vcc, 8, v42
	v_cndmask_b32_e32 v42, v45, v51, vcc
	v_cndmask_b32_e32 v43, v43, v50, vcc
	v_lshlrev_b32_e32 v45, 24, v30
	v_bfrev_b32_e32 v50, 60
	v_lshlrev_b32_e32 v43, 20, v43
	v_and_b32_e32 v45, 0x80000000, v45
	v_lshl_add_u32 v42, v42, 23, v50
	v_or3_b32 v42, v45, v42, v43
	v_lshrrev_b32_e32 v43, 16, v42
.LBB859_15:
	s_or_b64 exec, exec, s[10:11]
.LBB859_16:
	s_or_b64 exec, exec, s[8:9]
.LBB859_17:
	s_or_b64 exec, exec, s[2:3]
	v_lshrrev_b16_e32 v42, 8, v30
	v_cmp_ne_u16_e32 vcc, 0, v42
	s_and_saveexec_b64 s[2:3], vcc
	s_cbranch_execz .LBB859_23
; %bb.18:
	s_movk_i32 s8, 0x80
	v_cmp_ne_u16_e32 vcc, s8, v42
	v_mov_b32_e32 v44, 0xffff8000
	s_and_saveexec_b64 s[8:9], vcc
	s_cbranch_execz .LBB859_22
; %bb.19:
	s_movk_i32 s10, 0x7f
	v_and_b32_e32 v45, 0x7f, v42
	v_cmp_ne_u32_e32 vcc, s10, v45
	v_mov_b32_e32 v44, 0x7f80
	s_and_saveexec_b64 s[10:11], vcc
	s_cbranch_execz .LBB859_21
; %bb.20:
	v_and_b32_e32 v44, 7, v42
	v_ffbh_u32_e32 v50, v44
	v_min_u32_e32 v53, 32, v50
	v_subrev_u32_e32 v50, 28, v53
	v_lshlrev_b64 v[50:51], v50, v[42:43]
	v_lshrrev_b32_e32 v52, 3, v45
	v_sub_u32_e32 v42, 29, v53
	v_and_b32_e32 v50, 7, v50
	v_cmp_gt_u32_e32 vcc, 8, v45
	v_cndmask_b32_e32 v42, v52, v42, vcc
	v_cndmask_b32_e32 v44, v44, v50, vcc
	v_lshlrev_b32_e32 v45, 16, v30
	v_bfrev_b32_e32 v50, 60
	v_lshlrev_b32_e32 v44, 20, v44
	v_and_b32_e32 v45, 0x80000000, v45
	v_lshl_add_u32 v42, v42, 23, v50
	v_or3_b32 v42, v45, v42, v44
	v_lshrrev_b32_e32 v44, 16, v42
.LBB859_21:
	s_or_b64 exec, exec, s[10:11]
.LBB859_22:
	s_or_b64 exec, exec, s[8:9]
.LBB859_23:
	s_or_b64 exec, exec, s[2:3]
	s_movk_i32 s2, 0xff
	v_and_b32_sdwa v51, v30, s2 dst_sel:DWORD dst_unused:UNUSED_PAD src0_sel:WORD_1 src1_sel:DWORD
	v_lshrrev_b32_e32 v42, 16, v30
	v_cmp_ne_u16_e32 vcc, 0, v51
	v_mov_b32_e32 v45, 0
	v_mov_b32_e32 v50, 0
	s_and_saveexec_b64 s[2:3], vcc
	s_cbranch_execz .LBB859_29
; %bb.24:
	s_movk_i32 s8, 0x80
	v_cmp_ne_u16_e32 vcc, s8, v51
	v_mov_b32_e32 v50, 0xffff8000
	s_and_saveexec_b64 s[8:9], vcc
	s_cbranch_execz .LBB859_28
; %bb.25:
	v_bfe_u32 v51, v30, 16, 7
	s_movk_i32 s10, 0x7f
	v_cmp_ne_u32_e32 vcc, s10, v51
	v_mov_b32_e32 v50, 0x7f80
	s_and_saveexec_b64 s[10:11], vcc
	s_cbranch_execz .LBB859_27
; %bb.26:
	v_and_b32_e32 v50, 7, v42
	v_ffbh_u32_e32 v52, v50
	v_min_u32_e32 v55, 32, v52
	v_subrev_u32_e32 v52, 28, v55
	v_lshlrev_b64 v[52:53], v52, v[42:43]
	v_lshrrev_b32_e32 v54, 3, v51
	v_sub_u32_e32 v42, 29, v55
	v_and_b32_e32 v52, 7, v52
	v_cmp_gt_u32_e32 vcc, 8, v51
	v_mov_b32_e32 v51, 24
	v_cndmask_b32_e32 v42, v54, v42, vcc
	v_cndmask_b32_e32 v50, v50, v52, vcc
	v_lshlrev_b32_sdwa v51, v51, v30 dst_sel:DWORD dst_unused:UNUSED_PAD src0_sel:DWORD src1_sel:WORD_1
	v_bfrev_b32_e32 v52, 60
	v_lshlrev_b32_e32 v50, 20, v50
	v_and_b32_e32 v51, 0x80000000, v51
	v_lshl_add_u32 v42, v42, 23, v52
	v_or3_b32 v42, v51, v42, v50
	v_lshrrev_b32_e32 v50, 16, v42
.LBB859_27:
	s_or_b64 exec, exec, s[10:11]
.LBB859_28:
	s_or_b64 exec, exec, s[8:9]
.LBB859_29:
	s_or_b64 exec, exec, s[2:3]
	s_mov_b32 s2, 0xffffff
	v_cmp_lt_u32_e32 vcc, s2, v30
	s_and_saveexec_b64 s[2:3], vcc
	s_cbranch_execz .LBB859_35
; %bb.30:
	v_lshrrev_b32_e32 v42, 24, v30
	s_movk_i32 s8, 0x80
	v_cmp_ne_u32_e32 vcc, s8, v42
	v_mov_b32_e32 v45, 0xffff8000
	s_and_saveexec_b64 s[8:9], vcc
	s_cbranch_execz .LBB859_34
; %bb.31:
	v_bfe_u32 v30, v30, 24, 7
	s_movk_i32 s10, 0x7f
	v_cmp_ne_u32_e32 vcc, s10, v30
	v_mov_b32_e32 v45, 0x7f80
	s_and_saveexec_b64 s[10:11], vcc
	s_cbranch_execz .LBB859_33
; %bb.32:
	v_and_b32_e32 v45, 7, v42
	v_ffbh_u32_e32 v52, v45
	v_min_u32_e32 v54, 32, v52
	v_subrev_u32_e32 v52, 28, v54
	v_lshlrev_b64 v[52:53], v52, v[42:43]
	v_lshrrev_b32_e32 v51, 3, v30
	v_sub_u32_e32 v53, 29, v54
	v_and_b32_e32 v52, 7, v52
	v_cmp_gt_u32_e32 vcc, 8, v30
	v_cndmask_b32_e32 v30, v51, v53, vcc
	v_cndmask_b32_e32 v45, v45, v52, vcc
	v_lshlrev_b32_e32 v42, 24, v42
	v_bfrev_b32_e32 v51, 60
	v_lshlrev_b32_e32 v45, 20, v45
	v_and_b32_e32 v42, 0x80000000, v42
	v_lshl_add_u32 v30, v30, 23, v51
	v_or3_b32 v30, v42, v30, v45
	v_lshrrev_b32_e32 v45, 16, v30
.LBB859_33:
	s_or_b64 exec, exec, s[10:11]
.LBB859_34:
	s_or_b64 exec, exec, s[8:9]
.LBB859_35:
	s_or_b64 exec, exec, s[2:3]
	v_mov_b32_e32 v42, 0
	v_cmp_ne_u16_sdwa s[8:9], v31, v42 src0_sel:BYTE_0 src1_sel:DWORD
	v_mov_b32_e32 v51, 0
	s_and_saveexec_b64 s[2:3], s[8:9]
	s_cbranch_execz .LBB859_41
; %bb.36:
	s_movk_i32 s8, 0x80
	v_cmp_ne_u16_sdwa s[10:11], v31, s8 src0_sel:BYTE_0 src1_sel:DWORD
	v_mov_b32_e32 v51, 0xffff8000
	s_and_saveexec_b64 s[8:9], s[10:11]
	s_cbranch_execz .LBB859_40
; %bb.37:
	s_movk_i32 s10, 0x7f
	v_and_b32_e32 v30, 0x7f, v31
	v_cmp_ne_u32_e32 vcc, s10, v30
	v_mov_b32_e32 v51, 0x7f80
	s_and_saveexec_b64 s[10:11], vcc
	s_cbranch_execz .LBB859_39
; %bb.38:
	v_and_b32_e32 v51, 7, v31
	v_ffbh_u32_e32 v53, v51
	v_min_u32_e32 v55, 32, v53
	v_mov_b32_e32 v52, v31
	v_subrev_u32_e32 v53, 28, v55
	v_lshlrev_b64 v[52:53], v53, v[52:53]
	v_lshrrev_b32_e32 v54, 3, v30
	v_sub_u32_e32 v53, 29, v55
	v_and_b32_e32 v52, 7, v52
	v_cmp_gt_u32_e32 vcc, 8, v30
	v_cndmask_b32_e32 v30, v54, v53, vcc
	v_cndmask_b32_e32 v51, v51, v52, vcc
	v_lshlrev_b32_e32 v52, 24, v31
	v_bfrev_b32_e32 v53, 60
	v_lshlrev_b32_e32 v51, 20, v51
	v_and_b32_e32 v52, 0x80000000, v52
	v_lshl_add_u32 v30, v30, 23, v53
	v_or3_b32 v30, v52, v30, v51
	v_lshrrev_b32_e32 v51, 16, v30
.LBB859_39:
	s_or_b64 exec, exec, s[10:11]
.LBB859_40:
	s_or_b64 exec, exec, s[8:9]
.LBB859_41:
	s_or_b64 exec, exec, s[2:3]
	v_lshrrev_b16_e32 v30, 8, v31
	v_cmp_ne_u16_e32 vcc, 0, v30
	s_and_saveexec_b64 s[2:3], vcc
	s_cbranch_execz .LBB859_47
; %bb.42:
	s_movk_i32 s8, 0x80
	v_cmp_ne_u16_e32 vcc, s8, v30
	v_mov_b32_e32 v42, 0xffff8000
	s_and_saveexec_b64 s[8:9], vcc
	s_cbranch_execz .LBB859_46
; %bb.43:
	s_movk_i32 s10, 0x7f
	v_and_b32_e32 v52, 0x7f, v30
	v_cmp_ne_u32_e32 vcc, s10, v52
	v_mov_b32_e32 v42, 0x7f80
	s_and_saveexec_b64 s[10:11], vcc
	s_cbranch_execz .LBB859_45
; %bb.44:
	v_and_b32_e32 v42, 7, v30
	v_ffbh_u32_e32 v54, v42
	v_min_u32_e32 v56, 32, v54
	v_subrev_u32_e32 v54, 28, v56
	v_lshlrev_b64 v[54:55], v54, v[30:31]
	v_lshrrev_b32_e32 v53, 3, v52
	v_sub_u32_e32 v30, 29, v56
	v_and_b32_e32 v54, 7, v54
	v_cmp_gt_u32_e32 vcc, 8, v52
	v_cndmask_b32_e32 v30, v53, v30, vcc
	v_cndmask_b32_e32 v42, v42, v54, vcc
	v_lshlrev_b32_e32 v52, 16, v31
	v_bfrev_b32_e32 v53, 60
	v_lshlrev_b32_e32 v42, 20, v42
	v_and_b32_e32 v52, 0x80000000, v52
	v_lshl_add_u32 v30, v30, 23, v53
	v_or3_b32 v30, v52, v30, v42
	v_lshrrev_b32_e32 v42, 16, v30
.LBB859_45:
	s_or_b64 exec, exec, s[10:11]
.LBB859_46:
	s_or_b64 exec, exec, s[8:9]
.LBB859_47:
	s_or_b64 exec, exec, s[2:3]
	s_movk_i32 s2, 0xff
	v_and_b32_sdwa v54, v31, s2 dst_sel:DWORD dst_unused:UNUSED_PAD src0_sel:WORD_1 src1_sel:DWORD
	v_lshrrev_b32_e32 v30, 16, v31
	v_cmp_ne_u16_e32 vcc, 0, v54
	v_mov_b32_e32 v52, 0
	v_mov_b32_e32 v53, 0
	s_and_saveexec_b64 s[2:3], vcc
	s_cbranch_execz .LBB859_53
; %bb.48:
	s_movk_i32 s8, 0x80
	v_cmp_ne_u16_e32 vcc, s8, v54
	v_mov_b32_e32 v53, 0xffff8000
	s_and_saveexec_b64 s[8:9], vcc
	s_cbranch_execz .LBB859_52
; %bb.49:
	v_bfe_u32 v54, v31, 16, 7
	s_movk_i32 s10, 0x7f
	v_cmp_ne_u32_e32 vcc, s10, v54
	v_mov_b32_e32 v53, 0x7f80
	s_and_saveexec_b64 s[10:11], vcc
	s_cbranch_execz .LBB859_51
; %bb.50:
	v_and_b32_e32 v53, 7, v30
	v_ffbh_u32_e32 v56, v53
	v_min_u32_e32 v58, 32, v56
	v_subrev_u32_e32 v56, 28, v58
	v_lshlrev_b64 v[56:57], v56, v[30:31]
	v_lshrrev_b32_e32 v55, 3, v54
	v_sub_u32_e32 v30, 29, v58
	v_and_b32_e32 v56, 7, v56
	v_cmp_gt_u32_e32 vcc, 8, v54
	v_mov_b32_e32 v54, 24
	v_cndmask_b32_e32 v30, v55, v30, vcc
	v_cndmask_b32_e32 v53, v53, v56, vcc
	v_lshlrev_b32_sdwa v54, v54, v31 dst_sel:DWORD dst_unused:UNUSED_PAD src0_sel:DWORD src1_sel:WORD_1
	v_bfrev_b32_e32 v55, 60
	v_lshlrev_b32_e32 v53, 20, v53
	v_and_b32_e32 v54, 0x80000000, v54
	v_lshl_add_u32 v30, v30, 23, v55
	v_or3_b32 v30, v54, v30, v53
	v_lshrrev_b32_e32 v53, 16, v30
.LBB859_51:
	s_or_b64 exec, exec, s[10:11]
.LBB859_52:
	s_or_b64 exec, exec, s[8:9]
.LBB859_53:
	s_or_b64 exec, exec, s[2:3]
	s_mov_b32 s2, 0xffffff
	v_cmp_lt_u32_e32 vcc, s2, v31
	s_and_saveexec_b64 s[2:3], vcc
	s_cbranch_execz .LBB859_59
; %bb.54:
	v_lshrrev_b32_e32 v30, 24, v31
	s_movk_i32 s8, 0x80
	v_cmp_ne_u32_e32 vcc, s8, v30
	v_mov_b32_e32 v52, 0xffff8000
	s_and_saveexec_b64 s[8:9], vcc
	s_cbranch_execz .LBB859_58
; %bb.55:
	v_bfe_u32 v31, v31, 24, 7
	s_movk_i32 s10, 0x7f
	v_cmp_ne_u32_e32 vcc, s10, v31
	v_mov_b32_e32 v52, 0x7f80
	s_and_saveexec_b64 s[10:11], vcc
	s_cbranch_execz .LBB859_57
; %bb.56:
	v_and_b32_e32 v52, 7, v30
	v_ffbh_u32_e32 v54, v52
	v_min_u32_e32 v57, 32, v54
	v_subrev_u32_e32 v54, 28, v57
	v_lshlrev_b64 v[54:55], v54, v[30:31]
	v_lshrrev_b32_e32 v56, 3, v31
	v_sub_u32_e32 v55, 29, v57
	v_and_b32_e32 v54, 7, v54
	v_cmp_gt_u32_e32 vcc, 8, v31
	v_cndmask_b32_e32 v31, v56, v55, vcc
	v_cndmask_b32_e32 v52, v52, v54, vcc
	v_lshlrev_b32_e32 v30, 24, v30
	v_bfrev_b32_e32 v54, 60
	v_lshlrev_b32_e32 v52, 20, v52
	v_and_b32_e32 v30, 0x80000000, v30
	v_lshl_add_u32 v31, v31, 23, v54
	v_or3_b32 v30, v30, v31, v52
	v_lshrrev_b32_e32 v52, 16, v30
.LBB859_57:
	s_or_b64 exec, exec, s[10:11]
.LBB859_58:
	s_or_b64 exec, exec, s[8:9]
.LBB859_59:
	s_or_b64 exec, exec, s[2:3]
	s_mov_b32 s2, 0x5040100
	v_perm_b32 v31, v45, v50, s2
	v_perm_b32 v30, v44, v43, s2
	;; [unrolled: 1-line block ×4, first 2 shown]
	v_mov_b32_e32 v50, 0
	s_waitcnt lgkmcnt(0)
	v_mfma_f32_16x16x16bf16_1k v[54:57], v[30:31], v[26:27], 0
	v_mov_b32_e32 v31, 0
	v_cmp_ne_u16_sdwa s[8:9], v32, v31 src0_sel:BYTE_0 src1_sel:DWORD
	v_mfma_f32_16x16x16bf16_1k v[42:45], v[42:43], v[28:29], v[54:57]
	s_and_saveexec_b64 s[2:3], s[8:9]
	s_cbranch_execz .LBB859_65
; %bb.60:
	s_movk_i32 s8, 0x80
	v_cmp_ne_u16_sdwa s[10:11], v32, s8 src0_sel:BYTE_0 src1_sel:DWORD
	v_mov_b32_e32 v50, 0xffff8000
	s_and_saveexec_b64 s[8:9], s[10:11]
	s_cbranch_execz .LBB859_64
; %bb.61:
	s_movk_i32 s10, 0x7f
	v_and_b32_e32 v30, 0x7f, v32
	v_cmp_ne_u32_e32 vcc, s10, v30
	v_mov_b32_e32 v50, 0x7f80
	s_and_saveexec_b64 s[10:11], vcc
	s_cbranch_execz .LBB859_63
; %bb.62:
	v_and_b32_e32 v52, 7, v32
	v_ffbh_u32_e32 v50, v52
	v_min_u32_e32 v54, 32, v50
	v_subrev_u32_e32 v50, 28, v54
	v_lshlrev_b64 v[50:51], v50, v[32:33]
	v_lshrrev_b32_e32 v53, 3, v30
	v_sub_u32_e32 v51, 29, v54
	v_and_b32_e32 v50, 7, v50
	v_cmp_gt_u32_e32 vcc, 8, v30
	v_cndmask_b32_e32 v30, v53, v51, vcc
	v_cndmask_b32_e32 v50, v52, v50, vcc
	v_lshlrev_b32_e32 v51, 24, v32
	v_bfrev_b32_e32 v52, 60
	v_lshlrev_b32_e32 v50, 20, v50
	v_and_b32_e32 v51, 0x80000000, v51
	v_lshl_add_u32 v30, v30, 23, v52
	v_or3_b32 v30, v51, v30, v50
	v_lshrrev_b32_e32 v50, 16, v30
.LBB859_63:
	s_or_b64 exec, exec, s[10:11]
.LBB859_64:
	s_or_b64 exec, exec, s[8:9]
.LBB859_65:
	s_or_b64 exec, exec, s[2:3]
	v_lshrrev_b16_e32 v30, 8, v32
	v_cmp_ne_u16_e32 vcc, 0, v30
	s_and_saveexec_b64 s[2:3], vcc
	s_cbranch_execz .LBB859_71
; %bb.66:
	s_movk_i32 s8, 0x80
	v_cmp_ne_u16_e32 vcc, s8, v30
	v_mov_b32_e32 v31, 0xffff8000
	s_and_saveexec_b64 s[8:9], vcc
	s_cbranch_execz .LBB859_70
; %bb.67:
	s_movk_i32 s10, 0x7f
	v_and_b32_e32 v51, 0x7f, v30
	v_cmp_ne_u32_e32 vcc, s10, v51
	v_mov_b32_e32 v31, 0x7f80
	s_and_saveexec_b64 s[10:11], vcc
	s_cbranch_execz .LBB859_69
; %bb.68:
	v_and_b32_e32 v52, 7, v30
	v_ffbh_u32_e32 v31, v52
	v_min_u32_e32 v54, 32, v31
	v_subrev_u32_e32 v31, 28, v54
	v_lshlrev_b64 v[30:31], v31, v[30:31]
	v_lshrrev_b32_e32 v53, 3, v51
	v_sub_u32_e32 v31, 29, v54
	v_and_b32_e32 v30, 7, v30
	v_cmp_gt_u32_e32 vcc, 8, v51
	v_cndmask_b32_e32 v31, v53, v31, vcc
	v_cndmask_b32_e32 v30, v52, v30, vcc
	v_lshlrev_b32_e32 v51, 16, v32
	v_bfrev_b32_e32 v52, 60
	v_lshlrev_b32_e32 v30, 20, v30
	v_and_b32_e32 v51, 0x80000000, v51
	v_lshl_add_u32 v31, v31, 23, v52
	v_or3_b32 v30, v51, v31, v30
	v_lshrrev_b32_e32 v31, 16, v30
.LBB859_69:
	s_or_b64 exec, exec, s[10:11]
.LBB859_70:
	s_or_b64 exec, exec, s[8:9]
.LBB859_71:
	s_or_b64 exec, exec, s[2:3]
	s_movk_i32 s2, 0xff
	v_and_b32_sdwa v53, v32, s2 dst_sel:DWORD dst_unused:UNUSED_PAD src0_sel:WORD_1 src1_sel:DWORD
	v_lshrrev_b32_e32 v30, 16, v32
	v_cmp_ne_u16_e32 vcc, 0, v53
	v_mov_b32_e32 v51, 0
	v_mov_b32_e32 v52, 0
	s_and_saveexec_b64 s[2:3], vcc
	s_cbranch_execz .LBB859_77
; %bb.72:
	s_movk_i32 s8, 0x80
	v_cmp_ne_u16_e32 vcc, s8, v53
	v_mov_b32_e32 v52, 0xffff8000
	s_and_saveexec_b64 s[8:9], vcc
	s_cbranch_execz .LBB859_76
; %bb.73:
	v_bfe_u32 v53, v32, 16, 7
	s_movk_i32 s10, 0x7f
	v_cmp_ne_u32_e32 vcc, s10, v53
	v_mov_b32_e32 v52, 0x7f80
	s_and_saveexec_b64 s[10:11], vcc
	s_cbranch_execz .LBB859_75
; %bb.74:
	v_and_b32_e32 v52, 7, v30
	v_ffbh_u32_e32 v54, v52
	v_min_u32_e32 v57, 32, v54
	v_subrev_u32_e32 v54, 28, v57
	v_lshlrev_b64 v[54:55], v54, v[30:31]
	v_lshrrev_b32_e32 v56, 3, v53
	v_sub_u32_e32 v30, 29, v57
	v_and_b32_e32 v54, 7, v54
	v_cmp_gt_u32_e32 vcc, 8, v53
	v_mov_b32_e32 v53, 24
	v_cndmask_b32_e32 v30, v56, v30, vcc
	v_cndmask_b32_e32 v52, v52, v54, vcc
	v_lshlrev_b32_sdwa v53, v53, v32 dst_sel:DWORD dst_unused:UNUSED_PAD src0_sel:DWORD src1_sel:WORD_1
	v_bfrev_b32_e32 v54, 60
	v_lshlrev_b32_e32 v52, 20, v52
	v_and_b32_e32 v53, 0x80000000, v53
	v_lshl_add_u32 v30, v30, 23, v54
	v_or3_b32 v30, v53, v30, v52
	v_lshrrev_b32_e32 v52, 16, v30
.LBB859_75:
	s_or_b64 exec, exec, s[10:11]
.LBB859_76:
	s_or_b64 exec, exec, s[8:9]
.LBB859_77:
	s_or_b64 exec, exec, s[2:3]
	s_mov_b32 s2, 0xffffff
	v_cmp_lt_u32_e32 vcc, s2, v32
	s_and_saveexec_b64 s[2:3], vcc
	s_cbranch_execz .LBB859_83
; %bb.78:
	v_lshrrev_b32_e32 v30, 24, v32
	s_movk_i32 s8, 0x80
	v_cmp_ne_u32_e32 vcc, s8, v30
	v_mov_b32_e32 v51, 0xffff8000
	s_and_saveexec_b64 s[8:9], vcc
	s_cbranch_execz .LBB859_82
; %bb.79:
	v_bfe_u32 v32, v32, 24, 7
	s_movk_i32 s10, 0x7f
	v_cmp_ne_u32_e32 vcc, s10, v32
	v_mov_b32_e32 v51, 0x7f80
	s_and_saveexec_b64 s[10:11], vcc
	s_cbranch_execz .LBB859_81
; %bb.80:
	v_and_b32_e32 v51, 7, v30
	v_ffbh_u32_e32 v54, v51
	v_min_u32_e32 v56, 32, v54
	v_subrev_u32_e32 v54, 28, v56
	v_lshlrev_b64 v[54:55], v54, v[30:31]
	v_lshrrev_b32_e32 v53, 3, v32
	v_sub_u32_e32 v55, 29, v56
	v_and_b32_e32 v54, 7, v54
	v_cmp_gt_u32_e32 vcc, 8, v32
	v_cndmask_b32_e32 v32, v53, v55, vcc
	v_cndmask_b32_e32 v51, v51, v54, vcc
	v_lshlrev_b32_e32 v30, 24, v30
	v_bfrev_b32_e32 v53, 60
	v_lshlrev_b32_e32 v51, 20, v51
	v_and_b32_e32 v30, 0x80000000, v30
	v_lshl_add_u32 v32, v32, 23, v53
	v_or3_b32 v30, v30, v32, v51
	v_lshrrev_b32_e32 v51, 16, v30
.LBB859_81:
	s_or_b64 exec, exec, s[10:11]
.LBB859_82:
	s_or_b64 exec, exec, s[8:9]
.LBB859_83:
	s_or_b64 exec, exec, s[2:3]
	v_mov_b32_e32 v32, 0
	v_cmp_ne_u16_sdwa s[8:9], v33, v32 src0_sel:BYTE_0 src1_sel:DWORD
	v_mov_b32_e32 v53, 0
	s_and_saveexec_b64 s[2:3], s[8:9]
	s_cbranch_execz .LBB859_89
; %bb.84:
	s_movk_i32 s8, 0x80
	v_cmp_ne_u16_sdwa s[10:11], v33, s8 src0_sel:BYTE_0 src1_sel:DWORD
	v_mov_b32_e32 v53, 0xffff8000
	s_and_saveexec_b64 s[8:9], s[10:11]
	s_cbranch_execz .LBB859_88
; %bb.85:
	s_movk_i32 s10, 0x7f
	v_and_b32_e32 v30, 0x7f, v33
	v_cmp_ne_u32_e32 vcc, s10, v30
	v_mov_b32_e32 v53, 0x7f80
	s_and_saveexec_b64 s[10:11], vcc
	s_cbranch_execz .LBB859_87
; %bb.86:
	v_and_b32_e32 v53, 7, v33
	v_ffbh_u32_e32 v55, v53
	v_min_u32_e32 v57, 32, v55
	v_mov_b32_e32 v54, v33
	v_subrev_u32_e32 v55, 28, v57
	v_lshlrev_b64 v[54:55], v55, v[54:55]
	v_lshrrev_b32_e32 v56, 3, v30
	v_sub_u32_e32 v55, 29, v57
	v_and_b32_e32 v54, 7, v54
	v_cmp_gt_u32_e32 vcc, 8, v30
	v_cndmask_b32_e32 v30, v56, v55, vcc
	v_cndmask_b32_e32 v53, v53, v54, vcc
	v_lshlrev_b32_e32 v54, 24, v33
	v_bfrev_b32_e32 v55, 60
	v_lshlrev_b32_e32 v53, 20, v53
	v_and_b32_e32 v54, 0x80000000, v54
	v_lshl_add_u32 v30, v30, 23, v55
	v_or3_b32 v30, v54, v30, v53
	v_lshrrev_b32_e32 v53, 16, v30
.LBB859_87:
	s_or_b64 exec, exec, s[10:11]
.LBB859_88:
	s_or_b64 exec, exec, s[8:9]
.LBB859_89:
	s_or_b64 exec, exec, s[2:3]
	v_lshrrev_b16_e32 v30, 8, v33
	v_cmp_ne_u16_e32 vcc, 0, v30
	s_and_saveexec_b64 s[2:3], vcc
	s_cbranch_execz .LBB859_95
; %bb.90:
	s_movk_i32 s8, 0x80
	v_cmp_ne_u16_e32 vcc, s8, v30
	v_mov_b32_e32 v32, 0xffff8000
	s_and_saveexec_b64 s[8:9], vcc
	s_cbranch_execz .LBB859_94
; %bb.91:
	s_movk_i32 s10, 0x7f
	v_and_b32_e32 v54, 0x7f, v30
	v_cmp_ne_u32_e32 vcc, s10, v54
	v_mov_b32_e32 v32, 0x7f80
	s_and_saveexec_b64 s[10:11], vcc
	s_cbranch_execz .LBB859_93
; %bb.92:
	v_and_b32_e32 v32, 7, v30
	v_ffbh_u32_e32 v56, v32
	v_min_u32_e32 v58, 32, v56
	v_subrev_u32_e32 v56, 28, v58
	v_lshlrev_b64 v[56:57], v56, v[30:31]
	v_lshrrev_b32_e32 v55, 3, v54
	v_sub_u32_e32 v30, 29, v58
	v_and_b32_e32 v56, 7, v56
	v_cmp_gt_u32_e32 vcc, 8, v54
	v_cndmask_b32_e32 v30, v55, v30, vcc
	v_cndmask_b32_e32 v32, v32, v56, vcc
	v_lshlrev_b32_e32 v54, 16, v33
	v_bfrev_b32_e32 v55, 60
	v_lshlrev_b32_e32 v32, 20, v32
	v_and_b32_e32 v54, 0x80000000, v54
	v_lshl_add_u32 v30, v30, 23, v55
	v_or3_b32 v30, v54, v30, v32
	v_lshrrev_b32_e32 v32, 16, v30
.LBB859_93:
	s_or_b64 exec, exec, s[10:11]
.LBB859_94:
	s_or_b64 exec, exec, s[8:9]
.LBB859_95:
	s_or_b64 exec, exec, s[2:3]
	s_movk_i32 s2, 0xff
	v_and_b32_sdwa v56, v33, s2 dst_sel:DWORD dst_unused:UNUSED_PAD src0_sel:WORD_1 src1_sel:DWORD
	v_lshrrev_b32_e32 v30, 16, v33
	v_cmp_ne_u16_e32 vcc, 0, v56
	v_mov_b32_e32 v54, 0
	v_mov_b32_e32 v55, 0
	s_and_saveexec_b64 s[2:3], vcc
	s_cbranch_execz .LBB859_101
; %bb.96:
	s_movk_i32 s8, 0x80
	v_cmp_ne_u16_e32 vcc, s8, v56
	v_mov_b32_e32 v55, 0xffff8000
	s_and_saveexec_b64 s[8:9], vcc
	s_cbranch_execz .LBB859_100
; %bb.97:
	v_bfe_u32 v56, v33, 16, 7
	s_movk_i32 s10, 0x7f
	v_cmp_ne_u32_e32 vcc, s10, v56
	v_mov_b32_e32 v55, 0x7f80
	s_and_saveexec_b64 s[10:11], vcc
	s_cbranch_execz .LBB859_99
; %bb.98:
	v_and_b32_e32 v55, 7, v30
	v_ffbh_u32_e32 v58, v55
	v_min_u32_e32 v60, 32, v58
	v_subrev_u32_e32 v58, 28, v60
	v_lshlrev_b64 v[58:59], v58, v[30:31]
	v_lshrrev_b32_e32 v57, 3, v56
	v_sub_u32_e32 v30, 29, v60
	v_and_b32_e32 v58, 7, v58
	v_cmp_gt_u32_e32 vcc, 8, v56
	v_mov_b32_e32 v56, 24
	v_cndmask_b32_e32 v30, v57, v30, vcc
	v_cndmask_b32_e32 v55, v55, v58, vcc
	v_lshlrev_b32_sdwa v56, v56, v33 dst_sel:DWORD dst_unused:UNUSED_PAD src0_sel:DWORD src1_sel:WORD_1
	v_bfrev_b32_e32 v57, 60
	v_lshlrev_b32_e32 v55, 20, v55
	v_and_b32_e32 v56, 0x80000000, v56
	v_lshl_add_u32 v30, v30, 23, v57
	v_or3_b32 v30, v56, v30, v55
	v_lshrrev_b32_e32 v55, 16, v30
.LBB859_99:
	s_or_b64 exec, exec, s[10:11]
.LBB859_100:
	s_or_b64 exec, exec, s[8:9]
.LBB859_101:
	s_or_b64 exec, exec, s[2:3]
	s_mov_b32 s2, 0xffffff
	v_cmp_lt_u32_e32 vcc, s2, v33
	s_and_saveexec_b64 s[2:3], vcc
	s_cbranch_execz .LBB859_107
; %bb.102:
	v_lshrrev_b32_e32 v30, 24, v33
	s_movk_i32 s8, 0x80
	v_cmp_ne_u32_e32 vcc, s8, v30
	v_mov_b32_e32 v54, 0xffff8000
	s_and_saveexec_b64 s[8:9], vcc
	s_cbranch_execz .LBB859_106
; %bb.103:
	v_bfe_u32 v33, v33, 24, 7
	s_movk_i32 s10, 0x7f
	v_cmp_ne_u32_e32 vcc, s10, v33
	v_mov_b32_e32 v54, 0x7f80
	s_and_saveexec_b64 s[10:11], vcc
	s_cbranch_execz .LBB859_105
; %bb.104:
	v_and_b32_e32 v54, 7, v30
	v_ffbh_u32_e32 v56, v54
	v_min_u32_e32 v59, 32, v56
	v_subrev_u32_e32 v56, 28, v59
	v_lshlrev_b64 v[56:57], v56, v[30:31]
	v_lshrrev_b32_e32 v58, 3, v33
	v_sub_u32_e32 v57, 29, v59
	v_and_b32_e32 v56, 7, v56
	v_cmp_gt_u32_e32 vcc, 8, v33
	v_cndmask_b32_e32 v33, v58, v57, vcc
	v_cndmask_b32_e32 v54, v54, v56, vcc
	v_lshlrev_b32_e32 v30, 24, v30
	v_bfrev_b32_e32 v56, 60
	v_lshlrev_b32_e32 v54, 20, v54
	v_and_b32_e32 v30, 0x80000000, v30
	v_lshl_add_u32 v33, v33, 23, v56
	v_or3_b32 v30, v30, v33, v54
	v_lshrrev_b32_e32 v54, 16, v30
.LBB859_105:
	s_or_b64 exec, exec, s[10:11]
.LBB859_106:
	s_or_b64 exec, exec, s[8:9]
.LBB859_107:
	s_or_b64 exec, exec, s[2:3]
	s_mov_b32 s2, 0x5040100
	v_perm_b32 v51, v51, v52, s2
	v_perm_b32 v50, v31, v50, s2
	;; [unrolled: 1-line block ×4, first 2 shown]
	v_mfma_f32_16x16x16bf16_1k v[56:59], v[50:51], v[18:19], v[42:45]
	s_nop 6
	v_mov_b32_e32 v43, 0
	s_waitcnt vmcnt(6)
	v_cmp_ne_u16_sdwa s[8:9], v38, v43 src0_sel:BYTE_0 src1_sel:DWORD
	v_mfma_f32_16x16x16bf16_1k v[30:33], v[30:31], v[20:21], v[56:59]
	v_mov_b32_e32 v44, 0
	s_and_saveexec_b64 s[2:3], s[8:9]
	s_cbranch_execz .LBB859_113
; %bb.108:
	s_movk_i32 s8, 0x80
	v_cmp_ne_u16_sdwa s[10:11], v38, s8 src0_sel:BYTE_0 src1_sel:DWORD
	v_mov_b32_e32 v44, 0xffff8000
	s_and_saveexec_b64 s[8:9], s[10:11]
	s_cbranch_execz .LBB859_112
; %bb.109:
	s_movk_i32 s10, 0x7f
	v_and_b32_e32 v42, 0x7f, v38
	v_cmp_ne_u32_e32 vcc, s10, v42
	v_mov_b32_e32 v44, 0x7f80
	s_and_saveexec_b64 s[10:11], vcc
	s_cbranch_execz .LBB859_111
; %bb.110:
	v_and_b32_e32 v50, 7, v38
	v_ffbh_u32_e32 v44, v50
	v_min_u32_e32 v52, 32, v44
	v_subrev_u32_e32 v44, 28, v52
	v_lshlrev_b64 v[44:45], v44, v[38:39]
	v_lshrrev_b32_e32 v51, 3, v42
	v_sub_u32_e32 v45, 29, v52
	v_and_b32_e32 v44, 7, v44
	v_cmp_gt_u32_e32 vcc, 8, v42
	v_cndmask_b32_e32 v42, v51, v45, vcc
	v_cndmask_b32_e32 v44, v50, v44, vcc
	v_lshlrev_b32_e32 v45, 24, v38
	v_bfrev_b32_e32 v50, 60
	v_lshlrev_b32_e32 v44, 20, v44
	v_and_b32_e32 v45, 0x80000000, v45
	v_lshl_add_u32 v42, v42, 23, v50
	v_or3_b32 v42, v45, v42, v44
	v_lshrrev_b32_e32 v44, 16, v42
.LBB859_111:
	s_or_b64 exec, exec, s[10:11]
.LBB859_112:
	s_or_b64 exec, exec, s[8:9]
.LBB859_113:
	s_or_b64 exec, exec, s[2:3]
	v_lshrrev_b16_e32 v42, 8, v38
	v_cmp_ne_u16_e32 vcc, 0, v42
	s_and_saveexec_b64 s[2:3], vcc
	s_cbranch_execz .LBB859_119
; %bb.114:
	s_movk_i32 s8, 0x80
	v_cmp_ne_u16_e32 vcc, s8, v42
	v_mov_b32_e32 v43, 0xffff8000
	s_and_saveexec_b64 s[8:9], vcc
	s_cbranch_execz .LBB859_118
; %bb.115:
	s_movk_i32 s10, 0x7f
	v_and_b32_e32 v45, 0x7f, v42
	v_cmp_ne_u32_e32 vcc, s10, v45
	v_mov_b32_e32 v43, 0x7f80
	s_and_saveexec_b64 s[10:11], vcc
	s_cbranch_execz .LBB859_117
; %bb.116:
	v_and_b32_e32 v50, 7, v42
	v_ffbh_u32_e32 v43, v50
	v_min_u32_e32 v52, 32, v43
	v_subrev_u32_e32 v43, 28, v52
	v_lshlrev_b64 v[42:43], v43, v[42:43]
	v_lshrrev_b32_e32 v51, 3, v45
	v_sub_u32_e32 v43, 29, v52
	v_and_b32_e32 v42, 7, v42
	v_cmp_gt_u32_e32 vcc, 8, v45
	v_cndmask_b32_e32 v43, v51, v43, vcc
	v_cndmask_b32_e32 v42, v50, v42, vcc
	v_lshlrev_b32_e32 v45, 16, v38
	v_bfrev_b32_e32 v50, 60
	v_lshlrev_b32_e32 v42, 20, v42
	v_and_b32_e32 v45, 0x80000000, v45
	v_lshl_add_u32 v43, v43, 23, v50
	v_or3_b32 v42, v45, v43, v42
	v_lshrrev_b32_e32 v43, 16, v42
.LBB859_117:
	s_or_b64 exec, exec, s[10:11]
.LBB859_118:
	s_or_b64 exec, exec, s[8:9]
.LBB859_119:
	s_or_b64 exec, exec, s[2:3]
	s_movk_i32 s2, 0xff
	v_and_b32_sdwa v51, v38, s2 dst_sel:DWORD dst_unused:UNUSED_PAD src0_sel:WORD_1 src1_sel:DWORD
	v_lshrrev_b32_e32 v42, 16, v38
	v_cmp_ne_u16_e32 vcc, 0, v51
	v_mov_b32_e32 v45, 0
	v_mov_b32_e32 v50, 0
	s_and_saveexec_b64 s[2:3], vcc
	s_cbranch_execz .LBB859_125
; %bb.120:
	s_movk_i32 s8, 0x80
	v_cmp_ne_u16_e32 vcc, s8, v51
	v_mov_b32_e32 v50, 0xffff8000
	s_and_saveexec_b64 s[8:9], vcc
	s_cbranch_execz .LBB859_124
; %bb.121:
	v_bfe_u32 v51, v38, 16, 7
	s_movk_i32 s10, 0x7f
	v_cmp_ne_u32_e32 vcc, s10, v51
	v_mov_b32_e32 v50, 0x7f80
	s_and_saveexec_b64 s[10:11], vcc
	s_cbranch_execz .LBB859_123
; %bb.122:
	v_and_b32_e32 v50, 7, v42
	v_ffbh_u32_e32 v52, v50
	v_min_u32_e32 v55, 32, v52
	v_subrev_u32_e32 v52, 28, v55
	v_lshlrev_b64 v[52:53], v52, v[42:43]
	v_lshrrev_b32_e32 v54, 3, v51
	v_sub_u32_e32 v42, 29, v55
	v_and_b32_e32 v52, 7, v52
	v_cmp_gt_u32_e32 vcc, 8, v51
	v_mov_b32_e32 v51, 24
	v_cndmask_b32_e32 v42, v54, v42, vcc
	v_cndmask_b32_e32 v50, v50, v52, vcc
	v_lshlrev_b32_sdwa v51, v51, v38 dst_sel:DWORD dst_unused:UNUSED_PAD src0_sel:DWORD src1_sel:WORD_1
	v_bfrev_b32_e32 v52, 60
	v_lshlrev_b32_e32 v50, 20, v50
	v_and_b32_e32 v51, 0x80000000, v51
	v_lshl_add_u32 v42, v42, 23, v52
	v_or3_b32 v42, v51, v42, v50
	v_lshrrev_b32_e32 v50, 16, v42
.LBB859_123:
	s_or_b64 exec, exec, s[10:11]
.LBB859_124:
	s_or_b64 exec, exec, s[8:9]
.LBB859_125:
	s_or_b64 exec, exec, s[2:3]
	s_mov_b32 s2, 0xffffff
	v_cmp_lt_u32_e32 vcc, s2, v38
	s_and_saveexec_b64 s[2:3], vcc
	s_cbranch_execz .LBB859_131
; %bb.126:
	v_lshrrev_b32_e32 v42, 24, v38
	s_movk_i32 s8, 0x80
	v_cmp_ne_u32_e32 vcc, s8, v42
	v_mov_b32_e32 v45, 0xffff8000
	s_and_saveexec_b64 s[8:9], vcc
	s_cbranch_execz .LBB859_130
; %bb.127:
	v_bfe_u32 v38, v38, 24, 7
	s_movk_i32 s10, 0x7f
	v_cmp_ne_u32_e32 vcc, s10, v38
	v_mov_b32_e32 v45, 0x7f80
	s_and_saveexec_b64 s[10:11], vcc
	s_cbranch_execz .LBB859_129
; %bb.128:
	v_and_b32_e32 v45, 7, v42
	v_ffbh_u32_e32 v52, v45
	v_min_u32_e32 v54, 32, v52
	v_subrev_u32_e32 v52, 28, v54
	v_lshlrev_b64 v[52:53], v52, v[42:43]
	v_lshrrev_b32_e32 v51, 3, v38
	v_sub_u32_e32 v53, 29, v54
	v_and_b32_e32 v52, 7, v52
	v_cmp_gt_u32_e32 vcc, 8, v38
	v_cndmask_b32_e32 v38, v51, v53, vcc
	v_cndmask_b32_e32 v45, v45, v52, vcc
	v_lshlrev_b32_e32 v42, 24, v42
	v_bfrev_b32_e32 v51, 60
	v_lshlrev_b32_e32 v45, 20, v45
	v_and_b32_e32 v42, 0x80000000, v42
	v_lshl_add_u32 v38, v38, 23, v51
	v_or3_b32 v38, v42, v38, v45
	v_lshrrev_b32_e32 v45, 16, v38
.LBB859_129:
	s_or_b64 exec, exec, s[10:11]
.LBB859_130:
	s_or_b64 exec, exec, s[8:9]
.LBB859_131:
	s_or_b64 exec, exec, s[2:3]
	v_mov_b32_e32 v42, 0
	v_cmp_ne_u16_sdwa s[8:9], v39, v42 src0_sel:BYTE_0 src1_sel:DWORD
	v_mov_b32_e32 v51, 0
	s_and_saveexec_b64 s[2:3], s[8:9]
	s_cbranch_execz .LBB859_137
; %bb.132:
	s_movk_i32 s8, 0x80
	v_cmp_ne_u16_sdwa s[10:11], v39, s8 src0_sel:BYTE_0 src1_sel:DWORD
	v_mov_b32_e32 v51, 0xffff8000
	s_and_saveexec_b64 s[8:9], s[10:11]
	s_cbranch_execz .LBB859_136
; %bb.133:
	s_movk_i32 s10, 0x7f
	v_and_b32_e32 v38, 0x7f, v39
	v_cmp_ne_u32_e32 vcc, s10, v38
	v_mov_b32_e32 v51, 0x7f80
	s_and_saveexec_b64 s[10:11], vcc
	s_cbranch_execz .LBB859_135
; %bb.134:
	v_and_b32_e32 v51, 7, v39
	v_ffbh_u32_e32 v53, v51
	v_min_u32_e32 v55, 32, v53
	v_mov_b32_e32 v52, v39
	v_subrev_u32_e32 v53, 28, v55
	v_lshlrev_b64 v[52:53], v53, v[52:53]
	v_lshrrev_b32_e32 v54, 3, v38
	v_sub_u32_e32 v53, 29, v55
	v_and_b32_e32 v52, 7, v52
	v_cmp_gt_u32_e32 vcc, 8, v38
	v_cndmask_b32_e32 v38, v54, v53, vcc
	v_cndmask_b32_e32 v51, v51, v52, vcc
	v_lshlrev_b32_e32 v52, 24, v39
	v_bfrev_b32_e32 v53, 60
	v_lshlrev_b32_e32 v51, 20, v51
	v_and_b32_e32 v52, 0x80000000, v52
	v_lshl_add_u32 v38, v38, 23, v53
	v_or3_b32 v38, v52, v38, v51
	v_lshrrev_b32_e32 v51, 16, v38
.LBB859_135:
	s_or_b64 exec, exec, s[10:11]
.LBB859_136:
	s_or_b64 exec, exec, s[8:9]
.LBB859_137:
	s_or_b64 exec, exec, s[2:3]
	v_lshrrev_b16_e32 v38, 8, v39
	v_cmp_ne_u16_e32 vcc, 0, v38
	s_and_saveexec_b64 s[2:3], vcc
	s_cbranch_execz .LBB859_143
; %bb.138:
	s_movk_i32 s8, 0x80
	v_cmp_ne_u16_e32 vcc, s8, v38
	v_mov_b32_e32 v42, 0xffff8000
	s_and_saveexec_b64 s[8:9], vcc
	s_cbranch_execz .LBB859_142
; %bb.139:
	s_movk_i32 s10, 0x7f
	v_and_b32_e32 v52, 0x7f, v38
	v_cmp_ne_u32_e32 vcc, s10, v52
	v_mov_b32_e32 v42, 0x7f80
	s_and_saveexec_b64 s[10:11], vcc
	s_cbranch_execz .LBB859_141
; %bb.140:
	v_and_b32_e32 v42, 7, v38
	v_ffbh_u32_e32 v54, v42
	v_min_u32_e32 v56, 32, v54
	v_subrev_u32_e32 v54, 28, v56
	v_lshlrev_b64 v[54:55], v54, v[38:39]
	v_lshrrev_b32_e32 v53, 3, v52
	v_sub_u32_e32 v38, 29, v56
	v_and_b32_e32 v54, 7, v54
	v_cmp_gt_u32_e32 vcc, 8, v52
	v_cndmask_b32_e32 v38, v53, v38, vcc
	v_cndmask_b32_e32 v42, v42, v54, vcc
	v_lshlrev_b32_e32 v52, 16, v39
	v_bfrev_b32_e32 v53, 60
	v_lshlrev_b32_e32 v42, 20, v42
	v_and_b32_e32 v52, 0x80000000, v52
	v_lshl_add_u32 v38, v38, 23, v53
	v_or3_b32 v38, v52, v38, v42
	v_lshrrev_b32_e32 v42, 16, v38
.LBB859_141:
	s_or_b64 exec, exec, s[10:11]
.LBB859_142:
	s_or_b64 exec, exec, s[8:9]
.LBB859_143:
	s_or_b64 exec, exec, s[2:3]
	s_movk_i32 s2, 0xff
	v_and_b32_sdwa v54, v39, s2 dst_sel:DWORD dst_unused:UNUSED_PAD src0_sel:WORD_1 src1_sel:DWORD
	v_lshrrev_b32_e32 v38, 16, v39
	v_cmp_ne_u16_e32 vcc, 0, v54
	v_mov_b32_e32 v52, 0
	v_mov_b32_e32 v53, 0
	s_and_saveexec_b64 s[2:3], vcc
	s_cbranch_execz .LBB859_149
; %bb.144:
	s_movk_i32 s8, 0x80
	v_cmp_ne_u16_e32 vcc, s8, v54
	v_mov_b32_e32 v53, 0xffff8000
	s_and_saveexec_b64 s[8:9], vcc
	s_cbranch_execz .LBB859_148
; %bb.145:
	v_bfe_u32 v54, v39, 16, 7
	s_movk_i32 s10, 0x7f
	v_cmp_ne_u32_e32 vcc, s10, v54
	v_mov_b32_e32 v53, 0x7f80
	s_and_saveexec_b64 s[10:11], vcc
	s_cbranch_execz .LBB859_147
; %bb.146:
	v_and_b32_e32 v53, 7, v38
	v_ffbh_u32_e32 v56, v53
	v_min_u32_e32 v58, 32, v56
	v_subrev_u32_e32 v56, 28, v58
	v_lshlrev_b64 v[56:57], v56, v[38:39]
	v_lshrrev_b32_e32 v55, 3, v54
	v_sub_u32_e32 v38, 29, v58
	v_and_b32_e32 v56, 7, v56
	v_cmp_gt_u32_e32 vcc, 8, v54
	v_mov_b32_e32 v54, 24
	v_cndmask_b32_e32 v38, v55, v38, vcc
	v_cndmask_b32_e32 v53, v53, v56, vcc
	v_lshlrev_b32_sdwa v54, v54, v39 dst_sel:DWORD dst_unused:UNUSED_PAD src0_sel:DWORD src1_sel:WORD_1
	v_bfrev_b32_e32 v55, 60
	v_lshlrev_b32_e32 v53, 20, v53
	v_and_b32_e32 v54, 0x80000000, v54
	v_lshl_add_u32 v38, v38, 23, v55
	v_or3_b32 v38, v54, v38, v53
	v_lshrrev_b32_e32 v53, 16, v38
.LBB859_147:
	s_or_b64 exec, exec, s[10:11]
.LBB859_148:
	s_or_b64 exec, exec, s[8:9]
.LBB859_149:
	s_or_b64 exec, exec, s[2:3]
	s_mov_b32 s2, 0xffffff
	v_cmp_lt_u32_e32 vcc, s2, v39
	s_and_saveexec_b64 s[2:3], vcc
	s_cbranch_execz .LBB859_155
; %bb.150:
	v_lshrrev_b32_e32 v38, 24, v39
	s_movk_i32 s8, 0x80
	v_cmp_ne_u32_e32 vcc, s8, v38
	v_mov_b32_e32 v52, 0xffff8000
	s_and_saveexec_b64 s[8:9], vcc
	s_cbranch_execz .LBB859_154
; %bb.151:
	v_bfe_u32 v39, v39, 24, 7
	s_movk_i32 s10, 0x7f
	v_cmp_ne_u32_e32 vcc, s10, v39
	v_mov_b32_e32 v52, 0x7f80
	s_and_saveexec_b64 s[10:11], vcc
	s_cbranch_execz .LBB859_153
; %bb.152:
	v_and_b32_e32 v52, 7, v38
	v_ffbh_u32_e32 v54, v52
	v_min_u32_e32 v57, 32, v54
	v_subrev_u32_e32 v54, 28, v57
	v_lshlrev_b64 v[54:55], v54, v[38:39]
	v_lshrrev_b32_e32 v56, 3, v39
	v_sub_u32_e32 v55, 29, v57
	v_and_b32_e32 v54, 7, v54
	v_cmp_gt_u32_e32 vcc, 8, v39
	v_cndmask_b32_e32 v39, v56, v55, vcc
	v_cndmask_b32_e32 v52, v52, v54, vcc
	v_lshlrev_b32_e32 v38, 24, v38
	v_bfrev_b32_e32 v54, 60
	v_lshlrev_b32_e32 v52, 20, v52
	v_and_b32_e32 v38, 0x80000000, v38
	v_lshl_add_u32 v39, v39, 23, v54
	v_or3_b32 v38, v38, v39, v52
	v_lshrrev_b32_e32 v52, 16, v38
.LBB859_153:
	s_or_b64 exec, exec, s[10:11]
.LBB859_154:
	s_or_b64 exec, exec, s[8:9]
.LBB859_155:
	s_or_b64 exec, exec, s[2:3]
	s_mov_b32 s2, 0x5040100
	v_perm_b32 v39, v45, v50, s2
	v_perm_b32 v38, v43, v44, s2
	;; [unrolled: 1-line block ×4, first 2 shown]
	v_mov_b32_e32 v50, 0
	v_mfma_f32_16x16x16bf16_1k v[54:57], v[38:39], v[26:27], 0
	v_mov_b32_e32 v39, 0
	v_cmp_ne_u16_sdwa s[8:9], v40, v39 src0_sel:BYTE_0 src1_sel:DWORD
	v_mfma_f32_16x16x16bf16_1k v[42:45], v[42:43], v[28:29], v[54:57]
	s_and_saveexec_b64 s[2:3], s[8:9]
	s_cbranch_execz .LBB859_161
; %bb.156:
	s_movk_i32 s8, 0x80
	v_cmp_ne_u16_sdwa s[10:11], v40, s8 src0_sel:BYTE_0 src1_sel:DWORD
	v_mov_b32_e32 v50, 0xffff8000
	s_and_saveexec_b64 s[8:9], s[10:11]
	s_cbranch_execz .LBB859_160
; %bb.157:
	s_movk_i32 s10, 0x7f
	v_and_b32_e32 v38, 0x7f, v40
	v_cmp_ne_u32_e32 vcc, s10, v38
	v_mov_b32_e32 v50, 0x7f80
	s_and_saveexec_b64 s[10:11], vcc
	s_cbranch_execz .LBB859_159
; %bb.158:
	v_and_b32_e32 v52, 7, v40
	v_ffbh_u32_e32 v50, v52
	v_min_u32_e32 v54, 32, v50
	v_subrev_u32_e32 v50, 28, v54
	v_lshlrev_b64 v[50:51], v50, v[40:41]
	v_lshrrev_b32_e32 v53, 3, v38
	v_sub_u32_e32 v51, 29, v54
	v_and_b32_e32 v50, 7, v50
	v_cmp_gt_u32_e32 vcc, 8, v38
	v_cndmask_b32_e32 v38, v53, v51, vcc
	v_cndmask_b32_e32 v50, v52, v50, vcc
	v_lshlrev_b32_e32 v51, 24, v40
	v_bfrev_b32_e32 v52, 60
	v_lshlrev_b32_e32 v50, 20, v50
	v_and_b32_e32 v51, 0x80000000, v51
	v_lshl_add_u32 v38, v38, 23, v52
	v_or3_b32 v38, v51, v38, v50
	v_lshrrev_b32_e32 v50, 16, v38
.LBB859_159:
	s_or_b64 exec, exec, s[10:11]
.LBB859_160:
	s_or_b64 exec, exec, s[8:9]
.LBB859_161:
	s_or_b64 exec, exec, s[2:3]
	v_lshrrev_b16_e32 v38, 8, v40
	v_cmp_ne_u16_e32 vcc, 0, v38
	s_and_saveexec_b64 s[2:3], vcc
	s_cbranch_execz .LBB859_167
; %bb.162:
	s_movk_i32 s8, 0x80
	v_cmp_ne_u16_e32 vcc, s8, v38
	v_mov_b32_e32 v39, 0xffff8000
	s_and_saveexec_b64 s[8:9], vcc
	s_cbranch_execz .LBB859_166
; %bb.163:
	s_movk_i32 s10, 0x7f
	v_and_b32_e32 v51, 0x7f, v38
	v_cmp_ne_u32_e32 vcc, s10, v51
	v_mov_b32_e32 v39, 0x7f80
	s_and_saveexec_b64 s[10:11], vcc
	s_cbranch_execz .LBB859_165
; %bb.164:
	v_and_b32_e32 v52, 7, v38
	v_ffbh_u32_e32 v39, v52
	v_min_u32_e32 v54, 32, v39
	v_subrev_u32_e32 v39, 28, v54
	v_lshlrev_b64 v[38:39], v39, v[38:39]
	v_lshrrev_b32_e32 v53, 3, v51
	v_sub_u32_e32 v39, 29, v54
	v_and_b32_e32 v38, 7, v38
	v_cmp_gt_u32_e32 vcc, 8, v51
	v_cndmask_b32_e32 v39, v53, v39, vcc
	v_cndmask_b32_e32 v38, v52, v38, vcc
	v_lshlrev_b32_e32 v51, 16, v40
	v_bfrev_b32_e32 v52, 60
	v_lshlrev_b32_e32 v38, 20, v38
	v_and_b32_e32 v51, 0x80000000, v51
	v_lshl_add_u32 v39, v39, 23, v52
	v_or3_b32 v38, v51, v39, v38
	v_lshrrev_b32_e32 v39, 16, v38
.LBB859_165:
	s_or_b64 exec, exec, s[10:11]
.LBB859_166:
	s_or_b64 exec, exec, s[8:9]
.LBB859_167:
	s_or_b64 exec, exec, s[2:3]
	s_movk_i32 s2, 0xff
	v_and_b32_sdwa v53, v40, s2 dst_sel:DWORD dst_unused:UNUSED_PAD src0_sel:WORD_1 src1_sel:DWORD
	v_lshrrev_b32_e32 v38, 16, v40
	v_cmp_ne_u16_e32 vcc, 0, v53
	v_mov_b32_e32 v51, 0
	v_mov_b32_e32 v52, 0
	s_and_saveexec_b64 s[2:3], vcc
	s_cbranch_execz .LBB859_173
; %bb.168:
	s_movk_i32 s8, 0x80
	v_cmp_ne_u16_e32 vcc, s8, v53
	v_mov_b32_e32 v52, 0xffff8000
	s_and_saveexec_b64 s[8:9], vcc
	s_cbranch_execz .LBB859_172
; %bb.169:
	v_bfe_u32 v53, v40, 16, 7
	s_movk_i32 s10, 0x7f
	v_cmp_ne_u32_e32 vcc, s10, v53
	v_mov_b32_e32 v52, 0x7f80
	s_and_saveexec_b64 s[10:11], vcc
	s_cbranch_execz .LBB859_171
; %bb.170:
	v_and_b32_e32 v52, 7, v38
	v_ffbh_u32_e32 v54, v52
	v_min_u32_e32 v57, 32, v54
	v_subrev_u32_e32 v54, 28, v57
	v_lshlrev_b64 v[54:55], v54, v[38:39]
	v_lshrrev_b32_e32 v56, 3, v53
	v_sub_u32_e32 v38, 29, v57
	v_and_b32_e32 v54, 7, v54
	v_cmp_gt_u32_e32 vcc, 8, v53
	v_mov_b32_e32 v53, 24
	v_cndmask_b32_e32 v38, v56, v38, vcc
	v_cndmask_b32_e32 v52, v52, v54, vcc
	v_lshlrev_b32_sdwa v53, v53, v40 dst_sel:DWORD dst_unused:UNUSED_PAD src0_sel:DWORD src1_sel:WORD_1
	v_bfrev_b32_e32 v54, 60
	v_lshlrev_b32_e32 v52, 20, v52
	v_and_b32_e32 v53, 0x80000000, v53
	v_lshl_add_u32 v38, v38, 23, v54
	v_or3_b32 v38, v53, v38, v52
	v_lshrrev_b32_e32 v52, 16, v38
.LBB859_171:
	s_or_b64 exec, exec, s[10:11]
.LBB859_172:
	s_or_b64 exec, exec, s[8:9]
.LBB859_173:
	s_or_b64 exec, exec, s[2:3]
	s_mov_b32 s2, 0xffffff
	v_cmp_lt_u32_e32 vcc, s2, v40
	s_and_saveexec_b64 s[2:3], vcc
	s_cbranch_execz .LBB859_179
; %bb.174:
	v_lshrrev_b32_e32 v38, 24, v40
	s_movk_i32 s8, 0x80
	v_cmp_ne_u32_e32 vcc, s8, v38
	v_mov_b32_e32 v51, 0xffff8000
	s_and_saveexec_b64 s[8:9], vcc
	s_cbranch_execz .LBB859_178
; %bb.175:
	v_bfe_u32 v40, v40, 24, 7
	s_movk_i32 s10, 0x7f
	v_cmp_ne_u32_e32 vcc, s10, v40
	v_mov_b32_e32 v51, 0x7f80
	s_and_saveexec_b64 s[10:11], vcc
	s_cbranch_execz .LBB859_177
; %bb.176:
	v_and_b32_e32 v51, 7, v38
	v_ffbh_u32_e32 v54, v51
	v_min_u32_e32 v56, 32, v54
	v_subrev_u32_e32 v54, 28, v56
	v_lshlrev_b64 v[54:55], v54, v[38:39]
	v_lshrrev_b32_e32 v53, 3, v40
	v_sub_u32_e32 v55, 29, v56
	v_and_b32_e32 v54, 7, v54
	v_cmp_gt_u32_e32 vcc, 8, v40
	v_cndmask_b32_e32 v40, v53, v55, vcc
	v_cndmask_b32_e32 v51, v51, v54, vcc
	v_lshlrev_b32_e32 v38, 24, v38
	v_bfrev_b32_e32 v53, 60
	v_lshlrev_b32_e32 v51, 20, v51
	v_and_b32_e32 v38, 0x80000000, v38
	v_lshl_add_u32 v40, v40, 23, v53
	v_or3_b32 v38, v38, v40, v51
	v_lshrrev_b32_e32 v51, 16, v38
.LBB859_177:
	s_or_b64 exec, exec, s[10:11]
.LBB859_178:
	s_or_b64 exec, exec, s[8:9]
.LBB859_179:
	s_or_b64 exec, exec, s[2:3]
	v_mov_b32_e32 v40, 0
	v_cmp_ne_u16_sdwa s[8:9], v41, v40 src0_sel:BYTE_0 src1_sel:DWORD
	v_mov_b32_e32 v53, 0
	s_and_saveexec_b64 s[2:3], s[8:9]
	s_cbranch_execz .LBB859_185
; %bb.180:
	s_movk_i32 s8, 0x80
	v_cmp_ne_u16_sdwa s[10:11], v41, s8 src0_sel:BYTE_0 src1_sel:DWORD
	v_mov_b32_e32 v53, 0xffff8000
	s_and_saveexec_b64 s[8:9], s[10:11]
	s_cbranch_execz .LBB859_184
; %bb.181:
	s_movk_i32 s10, 0x7f
	v_and_b32_e32 v38, 0x7f, v41
	v_cmp_ne_u32_e32 vcc, s10, v38
	v_mov_b32_e32 v53, 0x7f80
	s_and_saveexec_b64 s[10:11], vcc
	s_cbranch_execz .LBB859_183
; %bb.182:
	v_and_b32_e32 v53, 7, v41
	v_ffbh_u32_e32 v55, v53
	v_min_u32_e32 v57, 32, v55
	v_mov_b32_e32 v54, v41
	v_subrev_u32_e32 v55, 28, v57
	v_lshlrev_b64 v[54:55], v55, v[54:55]
	v_lshrrev_b32_e32 v56, 3, v38
	v_sub_u32_e32 v55, 29, v57
	v_and_b32_e32 v54, 7, v54
	v_cmp_gt_u32_e32 vcc, 8, v38
	v_cndmask_b32_e32 v38, v56, v55, vcc
	v_cndmask_b32_e32 v53, v53, v54, vcc
	v_lshlrev_b32_e32 v54, 24, v41
	v_bfrev_b32_e32 v55, 60
	v_lshlrev_b32_e32 v53, 20, v53
	v_and_b32_e32 v54, 0x80000000, v54
	v_lshl_add_u32 v38, v38, 23, v55
	v_or3_b32 v38, v54, v38, v53
	v_lshrrev_b32_e32 v53, 16, v38
.LBB859_183:
	s_or_b64 exec, exec, s[10:11]
.LBB859_184:
	s_or_b64 exec, exec, s[8:9]
.LBB859_185:
	s_or_b64 exec, exec, s[2:3]
	v_lshrrev_b16_e32 v38, 8, v41
	v_cmp_ne_u16_e32 vcc, 0, v38
	s_and_saveexec_b64 s[2:3], vcc
	s_cbranch_execz .LBB859_191
; %bb.186:
	s_movk_i32 s8, 0x80
	v_cmp_ne_u16_e32 vcc, s8, v38
	v_mov_b32_e32 v40, 0xffff8000
	s_and_saveexec_b64 s[8:9], vcc
	s_cbranch_execz .LBB859_190
; %bb.187:
	s_movk_i32 s10, 0x7f
	v_and_b32_e32 v54, 0x7f, v38
	v_cmp_ne_u32_e32 vcc, s10, v54
	v_mov_b32_e32 v40, 0x7f80
	s_and_saveexec_b64 s[10:11], vcc
	s_cbranch_execz .LBB859_189
; %bb.188:
	v_and_b32_e32 v40, 7, v38
	v_ffbh_u32_e32 v56, v40
	v_min_u32_e32 v58, 32, v56
	v_subrev_u32_e32 v56, 28, v58
	v_lshlrev_b64 v[56:57], v56, v[38:39]
	v_lshrrev_b32_e32 v55, 3, v54
	v_sub_u32_e32 v38, 29, v58
	v_and_b32_e32 v56, 7, v56
	v_cmp_gt_u32_e32 vcc, 8, v54
	v_cndmask_b32_e32 v38, v55, v38, vcc
	v_cndmask_b32_e32 v40, v40, v56, vcc
	v_lshlrev_b32_e32 v54, 16, v41
	v_bfrev_b32_e32 v55, 60
	v_lshlrev_b32_e32 v40, 20, v40
	v_and_b32_e32 v54, 0x80000000, v54
	v_lshl_add_u32 v38, v38, 23, v55
	v_or3_b32 v38, v54, v38, v40
	v_lshrrev_b32_e32 v40, 16, v38
.LBB859_189:
	s_or_b64 exec, exec, s[10:11]
.LBB859_190:
	s_or_b64 exec, exec, s[8:9]
.LBB859_191:
	s_or_b64 exec, exec, s[2:3]
	s_movk_i32 s2, 0xff
	v_and_b32_sdwa v56, v41, s2 dst_sel:DWORD dst_unused:UNUSED_PAD src0_sel:WORD_1 src1_sel:DWORD
	v_lshrrev_b32_e32 v38, 16, v41
	v_cmp_ne_u16_e32 vcc, 0, v56
	v_mov_b32_e32 v54, 0
	v_mov_b32_e32 v55, 0
	s_and_saveexec_b64 s[2:3], vcc
	s_cbranch_execz .LBB859_197
; %bb.192:
	s_movk_i32 s8, 0x80
	v_cmp_ne_u16_e32 vcc, s8, v56
	v_mov_b32_e32 v55, 0xffff8000
	s_and_saveexec_b64 s[8:9], vcc
	s_cbranch_execz .LBB859_196
; %bb.193:
	v_bfe_u32 v56, v41, 16, 7
	s_movk_i32 s10, 0x7f
	v_cmp_ne_u32_e32 vcc, s10, v56
	v_mov_b32_e32 v55, 0x7f80
	s_and_saveexec_b64 s[10:11], vcc
	s_cbranch_execz .LBB859_195
; %bb.194:
	v_and_b32_e32 v55, 7, v38
	v_ffbh_u32_e32 v58, v55
	v_min_u32_e32 v60, 32, v58
	v_subrev_u32_e32 v58, 28, v60
	v_lshlrev_b64 v[58:59], v58, v[38:39]
	v_lshrrev_b32_e32 v57, 3, v56
	v_sub_u32_e32 v38, 29, v60
	v_and_b32_e32 v58, 7, v58
	v_cmp_gt_u32_e32 vcc, 8, v56
	v_mov_b32_e32 v56, 24
	v_cndmask_b32_e32 v38, v57, v38, vcc
	v_cndmask_b32_e32 v55, v55, v58, vcc
	v_lshlrev_b32_sdwa v56, v56, v41 dst_sel:DWORD dst_unused:UNUSED_PAD src0_sel:DWORD src1_sel:WORD_1
	v_bfrev_b32_e32 v57, 60
	v_lshlrev_b32_e32 v55, 20, v55
	v_and_b32_e32 v56, 0x80000000, v56
	v_lshl_add_u32 v38, v38, 23, v57
	v_or3_b32 v38, v56, v38, v55
	v_lshrrev_b32_e32 v55, 16, v38
.LBB859_195:
	s_or_b64 exec, exec, s[10:11]
.LBB859_196:
	s_or_b64 exec, exec, s[8:9]
.LBB859_197:
	s_or_b64 exec, exec, s[2:3]
	s_mov_b32 s2, 0xffffff
	v_cmp_lt_u32_e32 vcc, s2, v41
	s_and_saveexec_b64 s[2:3], vcc
	s_cbranch_execz .LBB859_203
; %bb.198:
	v_lshrrev_b32_e32 v38, 24, v41
	s_movk_i32 s8, 0x80
	v_cmp_ne_u32_e32 vcc, s8, v38
	v_mov_b32_e32 v54, 0xffff8000
	s_and_saveexec_b64 s[8:9], vcc
	s_cbranch_execz .LBB859_202
; %bb.199:
	v_bfe_u32 v41, v41, 24, 7
	s_movk_i32 s10, 0x7f
	v_cmp_ne_u32_e32 vcc, s10, v41
	v_mov_b32_e32 v54, 0x7f80
	s_and_saveexec_b64 s[10:11], vcc
	s_cbranch_execz .LBB859_201
; %bb.200:
	v_and_b32_e32 v54, 7, v38
	v_ffbh_u32_e32 v56, v54
	v_min_u32_e32 v59, 32, v56
	v_subrev_u32_e32 v56, 28, v59
	v_lshlrev_b64 v[56:57], v56, v[38:39]
	v_lshrrev_b32_e32 v58, 3, v41
	v_sub_u32_e32 v57, 29, v59
	v_and_b32_e32 v56, 7, v56
	v_cmp_gt_u32_e32 vcc, 8, v41
	v_cndmask_b32_e32 v41, v58, v57, vcc
	v_cndmask_b32_e32 v54, v54, v56, vcc
	v_lshlrev_b32_e32 v38, 24, v38
	v_bfrev_b32_e32 v56, 60
	v_lshlrev_b32_e32 v54, 20, v54
	v_and_b32_e32 v38, 0x80000000, v38
	v_lshl_add_u32 v41, v41, 23, v56
	v_or3_b32 v38, v38, v41, v54
	v_lshrrev_b32_e32 v54, 16, v38
.LBB859_201:
	s_or_b64 exec, exec, s[10:11]
.LBB859_202:
	s_or_b64 exec, exec, s[8:9]
.LBB859_203:
	s_or_b64 exec, exec, s[2:3]
	s_mov_b32 s2, 0x5040100
	v_perm_b32 v51, v51, v52, s2
	v_perm_b32 v50, v39, v50, s2
	;; [unrolled: 1-line block ×4, first 2 shown]
	v_mfma_f32_16x16x16bf16_1k v[56:59], v[50:51], v[18:19], v[42:45]
	s_nop 6
	v_mov_b32_e32 v43, 0
	s_waitcnt vmcnt(5)
	v_cmp_ne_u16_sdwa s[8:9], v34, v43 src0_sel:BYTE_0 src1_sel:DWORD
	v_mfma_f32_16x16x16bf16_1k v[38:41], v[38:39], v[20:21], v[56:59]
	v_mov_b32_e32 v44, 0
	s_and_saveexec_b64 s[2:3], s[8:9]
	s_cbranch_execz .LBB859_209
; %bb.204:
	s_movk_i32 s8, 0x80
	v_cmp_ne_u16_sdwa s[10:11], v34, s8 src0_sel:BYTE_0 src1_sel:DWORD
	v_mov_b32_e32 v44, 0xffff8000
	s_and_saveexec_b64 s[8:9], s[10:11]
	s_cbranch_execz .LBB859_208
; %bb.205:
	s_movk_i32 s10, 0x7f
	v_and_b32_e32 v42, 0x7f, v34
	v_cmp_ne_u32_e32 vcc, s10, v42
	v_mov_b32_e32 v44, 0x7f80
	s_and_saveexec_b64 s[10:11], vcc
	s_cbranch_execz .LBB859_207
; %bb.206:
	v_and_b32_e32 v50, 7, v34
	v_ffbh_u32_e32 v44, v50
	v_min_u32_e32 v52, 32, v44
	v_subrev_u32_e32 v44, 28, v52
	v_lshlrev_b64 v[44:45], v44, v[34:35]
	v_lshrrev_b32_e32 v51, 3, v42
	v_sub_u32_e32 v45, 29, v52
	v_and_b32_e32 v44, 7, v44
	v_cmp_gt_u32_e32 vcc, 8, v42
	v_cndmask_b32_e32 v42, v51, v45, vcc
	v_cndmask_b32_e32 v44, v50, v44, vcc
	v_lshlrev_b32_e32 v45, 24, v34
	v_bfrev_b32_e32 v50, 60
	v_lshlrev_b32_e32 v44, 20, v44
	v_and_b32_e32 v45, 0x80000000, v45
	v_lshl_add_u32 v42, v42, 23, v50
	v_or3_b32 v42, v45, v42, v44
	v_lshrrev_b32_e32 v44, 16, v42
.LBB859_207:
	s_or_b64 exec, exec, s[10:11]
.LBB859_208:
	s_or_b64 exec, exec, s[8:9]
.LBB859_209:
	s_or_b64 exec, exec, s[2:3]
	v_lshrrev_b16_e32 v42, 8, v34
	v_cmp_ne_u16_e32 vcc, 0, v42
	s_and_saveexec_b64 s[2:3], vcc
	s_cbranch_execz .LBB859_215
; %bb.210:
	s_movk_i32 s8, 0x80
	v_cmp_ne_u16_e32 vcc, s8, v42
	v_mov_b32_e32 v43, 0xffff8000
	s_and_saveexec_b64 s[8:9], vcc
	s_cbranch_execz .LBB859_214
; %bb.211:
	s_movk_i32 s10, 0x7f
	v_and_b32_e32 v45, 0x7f, v42
	v_cmp_ne_u32_e32 vcc, s10, v45
	v_mov_b32_e32 v43, 0x7f80
	s_and_saveexec_b64 s[10:11], vcc
	s_cbranch_execz .LBB859_213
; %bb.212:
	v_and_b32_e32 v50, 7, v42
	v_ffbh_u32_e32 v43, v50
	v_min_u32_e32 v52, 32, v43
	v_subrev_u32_e32 v43, 28, v52
	v_lshlrev_b64 v[42:43], v43, v[42:43]
	v_lshrrev_b32_e32 v51, 3, v45
	v_sub_u32_e32 v43, 29, v52
	v_and_b32_e32 v42, 7, v42
	v_cmp_gt_u32_e32 vcc, 8, v45
	v_cndmask_b32_e32 v43, v51, v43, vcc
	v_cndmask_b32_e32 v42, v50, v42, vcc
	v_lshlrev_b32_e32 v45, 16, v34
	v_bfrev_b32_e32 v50, 60
	v_lshlrev_b32_e32 v42, 20, v42
	v_and_b32_e32 v45, 0x80000000, v45
	v_lshl_add_u32 v43, v43, 23, v50
	v_or3_b32 v42, v45, v43, v42
	v_lshrrev_b32_e32 v43, 16, v42
.LBB859_213:
	s_or_b64 exec, exec, s[10:11]
.LBB859_214:
	s_or_b64 exec, exec, s[8:9]
.LBB859_215:
	s_or_b64 exec, exec, s[2:3]
	s_movk_i32 s2, 0xff
	v_and_b32_sdwa v51, v34, s2 dst_sel:DWORD dst_unused:UNUSED_PAD src0_sel:WORD_1 src1_sel:DWORD
	v_lshrrev_b32_e32 v42, 16, v34
	v_cmp_ne_u16_e32 vcc, 0, v51
	v_mov_b32_e32 v45, 0
	v_mov_b32_e32 v50, 0
	s_and_saveexec_b64 s[2:3], vcc
	s_cbranch_execz .LBB859_221
; %bb.216:
	s_movk_i32 s8, 0x80
	v_cmp_ne_u16_e32 vcc, s8, v51
	v_mov_b32_e32 v50, 0xffff8000
	s_and_saveexec_b64 s[8:9], vcc
	s_cbranch_execz .LBB859_220
; %bb.217:
	v_bfe_u32 v51, v34, 16, 7
	s_movk_i32 s10, 0x7f
	v_cmp_ne_u32_e32 vcc, s10, v51
	v_mov_b32_e32 v50, 0x7f80
	s_and_saveexec_b64 s[10:11], vcc
	s_cbranch_execz .LBB859_219
; %bb.218:
	v_and_b32_e32 v50, 7, v42
	v_ffbh_u32_e32 v52, v50
	v_min_u32_e32 v55, 32, v52
	v_subrev_u32_e32 v52, 28, v55
	v_lshlrev_b64 v[52:53], v52, v[42:43]
	v_lshrrev_b32_e32 v54, 3, v51
	v_sub_u32_e32 v42, 29, v55
	v_and_b32_e32 v52, 7, v52
	v_cmp_gt_u32_e32 vcc, 8, v51
	v_mov_b32_e32 v51, 24
	v_cndmask_b32_e32 v42, v54, v42, vcc
	v_cndmask_b32_e32 v50, v50, v52, vcc
	v_lshlrev_b32_sdwa v51, v51, v34 dst_sel:DWORD dst_unused:UNUSED_PAD src0_sel:DWORD src1_sel:WORD_1
	v_bfrev_b32_e32 v52, 60
	v_lshlrev_b32_e32 v50, 20, v50
	v_and_b32_e32 v51, 0x80000000, v51
	v_lshl_add_u32 v42, v42, 23, v52
	v_or3_b32 v42, v51, v42, v50
	v_lshrrev_b32_e32 v50, 16, v42
.LBB859_219:
	s_or_b64 exec, exec, s[10:11]
.LBB859_220:
	s_or_b64 exec, exec, s[8:9]
.LBB859_221:
	s_or_b64 exec, exec, s[2:3]
	s_mov_b32 s2, 0xffffff
	v_cmp_lt_u32_e32 vcc, s2, v34
	s_and_saveexec_b64 s[2:3], vcc
	s_cbranch_execz .LBB859_227
; %bb.222:
	v_lshrrev_b32_e32 v42, 24, v34
	s_movk_i32 s8, 0x80
	v_cmp_ne_u32_e32 vcc, s8, v42
	v_mov_b32_e32 v45, 0xffff8000
	s_and_saveexec_b64 s[8:9], vcc
	s_cbranch_execz .LBB859_226
; %bb.223:
	v_bfe_u32 v34, v34, 24, 7
	s_movk_i32 s10, 0x7f
	v_cmp_ne_u32_e32 vcc, s10, v34
	v_mov_b32_e32 v45, 0x7f80
	s_and_saveexec_b64 s[10:11], vcc
	s_cbranch_execz .LBB859_225
; %bb.224:
	v_and_b32_e32 v45, 7, v42
	v_ffbh_u32_e32 v52, v45
	v_min_u32_e32 v54, 32, v52
	v_subrev_u32_e32 v52, 28, v54
	v_lshlrev_b64 v[52:53], v52, v[42:43]
	v_lshrrev_b32_e32 v51, 3, v34
	v_sub_u32_e32 v53, 29, v54
	v_and_b32_e32 v52, 7, v52
	v_cmp_gt_u32_e32 vcc, 8, v34
	v_cndmask_b32_e32 v34, v51, v53, vcc
	v_cndmask_b32_e32 v45, v45, v52, vcc
	v_lshlrev_b32_e32 v42, 24, v42
	v_bfrev_b32_e32 v51, 60
	v_lshlrev_b32_e32 v45, 20, v45
	v_and_b32_e32 v42, 0x80000000, v42
	v_lshl_add_u32 v34, v34, 23, v51
	v_or3_b32 v34, v42, v34, v45
	v_lshrrev_b32_e32 v45, 16, v34
.LBB859_225:
	s_or_b64 exec, exec, s[10:11]
.LBB859_226:
	s_or_b64 exec, exec, s[8:9]
.LBB859_227:
	s_or_b64 exec, exec, s[2:3]
	v_mov_b32_e32 v42, 0
	v_cmp_ne_u16_sdwa s[8:9], v35, v42 src0_sel:BYTE_0 src1_sel:DWORD
	v_mov_b32_e32 v51, 0
	s_and_saveexec_b64 s[2:3], s[8:9]
	s_cbranch_execz .LBB859_233
; %bb.228:
	s_movk_i32 s8, 0x80
	v_cmp_ne_u16_sdwa s[10:11], v35, s8 src0_sel:BYTE_0 src1_sel:DWORD
	v_mov_b32_e32 v51, 0xffff8000
	s_and_saveexec_b64 s[8:9], s[10:11]
	s_cbranch_execz .LBB859_232
; %bb.229:
	s_movk_i32 s10, 0x7f
	v_and_b32_e32 v34, 0x7f, v35
	v_cmp_ne_u32_e32 vcc, s10, v34
	v_mov_b32_e32 v51, 0x7f80
	s_and_saveexec_b64 s[10:11], vcc
	s_cbranch_execz .LBB859_231
; %bb.230:
	v_and_b32_e32 v51, 7, v35
	v_ffbh_u32_e32 v53, v51
	v_min_u32_e32 v55, 32, v53
	v_mov_b32_e32 v52, v35
	v_subrev_u32_e32 v53, 28, v55
	v_lshlrev_b64 v[52:53], v53, v[52:53]
	v_lshrrev_b32_e32 v54, 3, v34
	v_sub_u32_e32 v53, 29, v55
	v_and_b32_e32 v52, 7, v52
	v_cmp_gt_u32_e32 vcc, 8, v34
	v_cndmask_b32_e32 v34, v54, v53, vcc
	v_cndmask_b32_e32 v51, v51, v52, vcc
	v_lshlrev_b32_e32 v52, 24, v35
	v_bfrev_b32_e32 v53, 60
	v_lshlrev_b32_e32 v51, 20, v51
	v_and_b32_e32 v52, 0x80000000, v52
	v_lshl_add_u32 v34, v34, 23, v53
	v_or3_b32 v34, v52, v34, v51
	v_lshrrev_b32_e32 v51, 16, v34
.LBB859_231:
	s_or_b64 exec, exec, s[10:11]
.LBB859_232:
	s_or_b64 exec, exec, s[8:9]
.LBB859_233:
	s_or_b64 exec, exec, s[2:3]
	v_lshrrev_b16_e32 v34, 8, v35
	v_cmp_ne_u16_e32 vcc, 0, v34
	s_and_saveexec_b64 s[2:3], vcc
	s_cbranch_execz .LBB859_239
; %bb.234:
	s_movk_i32 s8, 0x80
	v_cmp_ne_u16_e32 vcc, s8, v34
	v_mov_b32_e32 v42, 0xffff8000
	s_and_saveexec_b64 s[8:9], vcc
	s_cbranch_execz .LBB859_238
; %bb.235:
	s_movk_i32 s10, 0x7f
	v_and_b32_e32 v52, 0x7f, v34
	v_cmp_ne_u32_e32 vcc, s10, v52
	v_mov_b32_e32 v42, 0x7f80
	s_and_saveexec_b64 s[10:11], vcc
	s_cbranch_execz .LBB859_237
; %bb.236:
	v_and_b32_e32 v42, 7, v34
	v_ffbh_u32_e32 v54, v42
	v_min_u32_e32 v56, 32, v54
	v_subrev_u32_e32 v54, 28, v56
	v_lshlrev_b64 v[54:55], v54, v[34:35]
	v_lshrrev_b32_e32 v53, 3, v52
	v_sub_u32_e32 v34, 29, v56
	v_and_b32_e32 v54, 7, v54
	v_cmp_gt_u32_e32 vcc, 8, v52
	v_cndmask_b32_e32 v34, v53, v34, vcc
	v_cndmask_b32_e32 v42, v42, v54, vcc
	v_lshlrev_b32_e32 v52, 16, v35
	v_bfrev_b32_e32 v53, 60
	v_lshlrev_b32_e32 v42, 20, v42
	v_and_b32_e32 v52, 0x80000000, v52
	v_lshl_add_u32 v34, v34, 23, v53
	v_or3_b32 v34, v52, v34, v42
	v_lshrrev_b32_e32 v42, 16, v34
.LBB859_237:
	s_or_b64 exec, exec, s[10:11]
.LBB859_238:
	s_or_b64 exec, exec, s[8:9]
.LBB859_239:
	s_or_b64 exec, exec, s[2:3]
	s_movk_i32 s2, 0xff
	v_and_b32_sdwa v54, v35, s2 dst_sel:DWORD dst_unused:UNUSED_PAD src0_sel:WORD_1 src1_sel:DWORD
	v_lshrrev_b32_e32 v34, 16, v35
	v_cmp_ne_u16_e32 vcc, 0, v54
	v_mov_b32_e32 v52, 0
	v_mov_b32_e32 v53, 0
	s_and_saveexec_b64 s[2:3], vcc
	s_cbranch_execz .LBB859_245
; %bb.240:
	s_movk_i32 s8, 0x80
	v_cmp_ne_u16_e32 vcc, s8, v54
	v_mov_b32_e32 v53, 0xffff8000
	s_and_saveexec_b64 s[8:9], vcc
	s_cbranch_execz .LBB859_244
; %bb.241:
	v_bfe_u32 v54, v35, 16, 7
	s_movk_i32 s10, 0x7f
	v_cmp_ne_u32_e32 vcc, s10, v54
	v_mov_b32_e32 v53, 0x7f80
	s_and_saveexec_b64 s[10:11], vcc
	s_cbranch_execz .LBB859_243
; %bb.242:
	v_and_b32_e32 v53, 7, v34
	v_ffbh_u32_e32 v56, v53
	v_min_u32_e32 v58, 32, v56
	v_subrev_u32_e32 v56, 28, v58
	v_lshlrev_b64 v[56:57], v56, v[34:35]
	v_lshrrev_b32_e32 v55, 3, v54
	v_sub_u32_e32 v34, 29, v58
	v_and_b32_e32 v56, 7, v56
	v_cmp_gt_u32_e32 vcc, 8, v54
	v_mov_b32_e32 v54, 24
	v_cndmask_b32_e32 v34, v55, v34, vcc
	v_cndmask_b32_e32 v53, v53, v56, vcc
	v_lshlrev_b32_sdwa v54, v54, v35 dst_sel:DWORD dst_unused:UNUSED_PAD src0_sel:DWORD src1_sel:WORD_1
	v_bfrev_b32_e32 v55, 60
	v_lshlrev_b32_e32 v53, 20, v53
	v_and_b32_e32 v54, 0x80000000, v54
	v_lshl_add_u32 v34, v34, 23, v55
	v_or3_b32 v34, v54, v34, v53
	v_lshrrev_b32_e32 v53, 16, v34
.LBB859_243:
	s_or_b64 exec, exec, s[10:11]
.LBB859_244:
	s_or_b64 exec, exec, s[8:9]
.LBB859_245:
	s_or_b64 exec, exec, s[2:3]
	s_mov_b32 s2, 0xffffff
	v_cmp_lt_u32_e32 vcc, s2, v35
	s_and_saveexec_b64 s[2:3], vcc
	s_cbranch_execz .LBB859_251
; %bb.246:
	v_lshrrev_b32_e32 v34, 24, v35
	s_movk_i32 s8, 0x80
	v_cmp_ne_u32_e32 vcc, s8, v34
	v_mov_b32_e32 v52, 0xffff8000
	s_and_saveexec_b64 s[8:9], vcc
	s_cbranch_execz .LBB859_250
; %bb.247:
	v_bfe_u32 v35, v35, 24, 7
	s_movk_i32 s10, 0x7f
	v_cmp_ne_u32_e32 vcc, s10, v35
	v_mov_b32_e32 v52, 0x7f80
	s_and_saveexec_b64 s[10:11], vcc
	s_cbranch_execz .LBB859_249
; %bb.248:
	v_and_b32_e32 v52, 7, v34
	v_ffbh_u32_e32 v54, v52
	v_min_u32_e32 v57, 32, v54
	v_subrev_u32_e32 v54, 28, v57
	v_lshlrev_b64 v[54:55], v54, v[34:35]
	v_lshrrev_b32_e32 v56, 3, v35
	v_sub_u32_e32 v55, 29, v57
	v_and_b32_e32 v54, 7, v54
	v_cmp_gt_u32_e32 vcc, 8, v35
	v_cndmask_b32_e32 v35, v56, v55, vcc
	v_cndmask_b32_e32 v52, v52, v54, vcc
	v_lshlrev_b32_e32 v34, 24, v34
	v_bfrev_b32_e32 v54, 60
	v_lshlrev_b32_e32 v52, 20, v52
	v_and_b32_e32 v34, 0x80000000, v34
	v_lshl_add_u32 v35, v35, 23, v54
	v_or3_b32 v34, v34, v35, v52
	v_lshrrev_b32_e32 v52, 16, v34
.LBB859_249:
	s_or_b64 exec, exec, s[10:11]
.LBB859_250:
	s_or_b64 exec, exec, s[8:9]
.LBB859_251:
	s_or_b64 exec, exec, s[2:3]
	s_mov_b32 s2, 0x5040100
	v_perm_b32 v35, v45, v50, s2
	v_perm_b32 v34, v43, v44, s2
	;; [unrolled: 1-line block ×4, first 2 shown]
	v_mov_b32_e32 v50, 0
	v_mfma_f32_16x16x16bf16_1k v[54:57], v[34:35], v[26:27], 0
	v_mov_b32_e32 v35, 0
	v_cmp_ne_u16_sdwa s[8:9], v36, v35 src0_sel:BYTE_0 src1_sel:DWORD
	v_mfma_f32_16x16x16bf16_1k v[42:45], v[42:43], v[28:29], v[54:57]
	s_and_saveexec_b64 s[2:3], s[8:9]
	s_cbranch_execz .LBB859_257
; %bb.252:
	s_movk_i32 s8, 0x80
	v_cmp_ne_u16_sdwa s[10:11], v36, s8 src0_sel:BYTE_0 src1_sel:DWORD
	v_mov_b32_e32 v50, 0xffff8000
	s_and_saveexec_b64 s[8:9], s[10:11]
	s_cbranch_execz .LBB859_256
; %bb.253:
	s_movk_i32 s10, 0x7f
	v_and_b32_e32 v34, 0x7f, v36
	v_cmp_ne_u32_e32 vcc, s10, v34
	v_mov_b32_e32 v50, 0x7f80
	s_and_saveexec_b64 s[10:11], vcc
	s_cbranch_execz .LBB859_255
; %bb.254:
	v_and_b32_e32 v52, 7, v36
	v_ffbh_u32_e32 v50, v52
	v_min_u32_e32 v54, 32, v50
	v_subrev_u32_e32 v50, 28, v54
	v_lshlrev_b64 v[50:51], v50, v[36:37]
	v_lshrrev_b32_e32 v53, 3, v34
	v_sub_u32_e32 v51, 29, v54
	v_and_b32_e32 v50, 7, v50
	v_cmp_gt_u32_e32 vcc, 8, v34
	v_cndmask_b32_e32 v34, v53, v51, vcc
	v_cndmask_b32_e32 v50, v52, v50, vcc
	v_lshlrev_b32_e32 v51, 24, v36
	v_bfrev_b32_e32 v52, 60
	v_lshlrev_b32_e32 v50, 20, v50
	v_and_b32_e32 v51, 0x80000000, v51
	v_lshl_add_u32 v34, v34, 23, v52
	v_or3_b32 v34, v51, v34, v50
	v_lshrrev_b32_e32 v50, 16, v34
.LBB859_255:
	s_or_b64 exec, exec, s[10:11]
.LBB859_256:
	s_or_b64 exec, exec, s[8:9]
.LBB859_257:
	s_or_b64 exec, exec, s[2:3]
	v_lshrrev_b16_e32 v34, 8, v36
	v_cmp_ne_u16_e32 vcc, 0, v34
	s_and_saveexec_b64 s[2:3], vcc
	s_cbranch_execz .LBB859_263
; %bb.258:
	s_movk_i32 s8, 0x80
	v_cmp_ne_u16_e32 vcc, s8, v34
	v_mov_b32_e32 v35, 0xffff8000
	s_and_saveexec_b64 s[8:9], vcc
	s_cbranch_execz .LBB859_262
; %bb.259:
	s_movk_i32 s10, 0x7f
	v_and_b32_e32 v51, 0x7f, v34
	v_cmp_ne_u32_e32 vcc, s10, v51
	v_mov_b32_e32 v35, 0x7f80
	s_and_saveexec_b64 s[10:11], vcc
	s_cbranch_execz .LBB859_261
; %bb.260:
	v_and_b32_e32 v52, 7, v34
	v_ffbh_u32_e32 v35, v52
	v_min_u32_e32 v54, 32, v35
	v_subrev_u32_e32 v35, 28, v54
	v_lshlrev_b64 v[34:35], v35, v[34:35]
	v_lshrrev_b32_e32 v53, 3, v51
	v_sub_u32_e32 v35, 29, v54
	v_and_b32_e32 v34, 7, v34
	v_cmp_gt_u32_e32 vcc, 8, v51
	v_cndmask_b32_e32 v35, v53, v35, vcc
	v_cndmask_b32_e32 v34, v52, v34, vcc
	v_lshlrev_b32_e32 v51, 16, v36
	v_bfrev_b32_e32 v52, 60
	v_lshlrev_b32_e32 v34, 20, v34
	v_and_b32_e32 v51, 0x80000000, v51
	v_lshl_add_u32 v35, v35, 23, v52
	v_or3_b32 v34, v51, v35, v34
	v_lshrrev_b32_e32 v35, 16, v34
.LBB859_261:
	s_or_b64 exec, exec, s[10:11]
.LBB859_262:
	s_or_b64 exec, exec, s[8:9]
.LBB859_263:
	s_or_b64 exec, exec, s[2:3]
	s_movk_i32 s2, 0xff
	v_and_b32_sdwa v53, v36, s2 dst_sel:DWORD dst_unused:UNUSED_PAD src0_sel:WORD_1 src1_sel:DWORD
	v_lshrrev_b32_e32 v34, 16, v36
	v_cmp_ne_u16_e32 vcc, 0, v53
	v_mov_b32_e32 v51, 0
	v_mov_b32_e32 v52, 0
	s_and_saveexec_b64 s[2:3], vcc
	s_cbranch_execz .LBB859_269
; %bb.264:
	s_movk_i32 s8, 0x80
	v_cmp_ne_u16_e32 vcc, s8, v53
	v_mov_b32_e32 v52, 0xffff8000
	s_and_saveexec_b64 s[8:9], vcc
	s_cbranch_execz .LBB859_268
; %bb.265:
	v_bfe_u32 v53, v36, 16, 7
	s_movk_i32 s10, 0x7f
	v_cmp_ne_u32_e32 vcc, s10, v53
	v_mov_b32_e32 v52, 0x7f80
	s_and_saveexec_b64 s[10:11], vcc
	s_cbranch_execz .LBB859_267
; %bb.266:
	v_and_b32_e32 v52, 7, v34
	v_ffbh_u32_e32 v54, v52
	v_min_u32_e32 v57, 32, v54
	v_subrev_u32_e32 v54, 28, v57
	v_lshlrev_b64 v[54:55], v54, v[34:35]
	v_lshrrev_b32_e32 v56, 3, v53
	v_sub_u32_e32 v34, 29, v57
	v_and_b32_e32 v54, 7, v54
	v_cmp_gt_u32_e32 vcc, 8, v53
	v_mov_b32_e32 v53, 24
	v_cndmask_b32_e32 v34, v56, v34, vcc
	v_cndmask_b32_e32 v52, v52, v54, vcc
	v_lshlrev_b32_sdwa v53, v53, v36 dst_sel:DWORD dst_unused:UNUSED_PAD src0_sel:DWORD src1_sel:WORD_1
	v_bfrev_b32_e32 v54, 60
	v_lshlrev_b32_e32 v52, 20, v52
	v_and_b32_e32 v53, 0x80000000, v53
	v_lshl_add_u32 v34, v34, 23, v54
	v_or3_b32 v34, v53, v34, v52
	v_lshrrev_b32_e32 v52, 16, v34
.LBB859_267:
	s_or_b64 exec, exec, s[10:11]
.LBB859_268:
	s_or_b64 exec, exec, s[8:9]
.LBB859_269:
	s_or_b64 exec, exec, s[2:3]
	s_mov_b32 s2, 0xffffff
	v_cmp_lt_u32_e32 vcc, s2, v36
	s_and_saveexec_b64 s[2:3], vcc
	s_cbranch_execz .LBB859_275
; %bb.270:
	v_lshrrev_b32_e32 v34, 24, v36
	s_movk_i32 s8, 0x80
	v_cmp_ne_u32_e32 vcc, s8, v34
	v_mov_b32_e32 v51, 0xffff8000
	s_and_saveexec_b64 s[8:9], vcc
	s_cbranch_execz .LBB859_274
; %bb.271:
	v_bfe_u32 v36, v36, 24, 7
	s_movk_i32 s10, 0x7f
	v_cmp_ne_u32_e32 vcc, s10, v36
	v_mov_b32_e32 v51, 0x7f80
	s_and_saveexec_b64 s[10:11], vcc
	s_cbranch_execz .LBB859_273
; %bb.272:
	v_and_b32_e32 v51, 7, v34
	v_ffbh_u32_e32 v54, v51
	v_min_u32_e32 v56, 32, v54
	v_subrev_u32_e32 v54, 28, v56
	v_lshlrev_b64 v[54:55], v54, v[34:35]
	v_lshrrev_b32_e32 v53, 3, v36
	v_sub_u32_e32 v55, 29, v56
	v_and_b32_e32 v54, 7, v54
	v_cmp_gt_u32_e32 vcc, 8, v36
	v_cndmask_b32_e32 v36, v53, v55, vcc
	v_cndmask_b32_e32 v51, v51, v54, vcc
	v_lshlrev_b32_e32 v34, 24, v34
	v_bfrev_b32_e32 v53, 60
	v_lshlrev_b32_e32 v51, 20, v51
	v_and_b32_e32 v34, 0x80000000, v34
	v_lshl_add_u32 v36, v36, 23, v53
	v_or3_b32 v34, v34, v36, v51
	v_lshrrev_b32_e32 v51, 16, v34
.LBB859_273:
	s_or_b64 exec, exec, s[10:11]
.LBB859_274:
	s_or_b64 exec, exec, s[8:9]
.LBB859_275:
	s_or_b64 exec, exec, s[2:3]
	v_mov_b32_e32 v36, 0
	v_cmp_ne_u16_sdwa s[8:9], v37, v36 src0_sel:BYTE_0 src1_sel:DWORD
	v_mov_b32_e32 v53, 0
	s_and_saveexec_b64 s[2:3], s[8:9]
	s_cbranch_execz .LBB859_281
; %bb.276:
	s_movk_i32 s8, 0x80
	v_cmp_ne_u16_sdwa s[10:11], v37, s8 src0_sel:BYTE_0 src1_sel:DWORD
	v_mov_b32_e32 v53, 0xffff8000
	s_and_saveexec_b64 s[8:9], s[10:11]
	s_cbranch_execz .LBB859_280
; %bb.277:
	s_movk_i32 s10, 0x7f
	v_and_b32_e32 v34, 0x7f, v37
	v_cmp_ne_u32_e32 vcc, s10, v34
	v_mov_b32_e32 v53, 0x7f80
	s_and_saveexec_b64 s[10:11], vcc
	s_cbranch_execz .LBB859_279
; %bb.278:
	v_and_b32_e32 v53, 7, v37
	v_ffbh_u32_e32 v55, v53
	v_min_u32_e32 v57, 32, v55
	v_mov_b32_e32 v54, v37
	v_subrev_u32_e32 v55, 28, v57
	v_lshlrev_b64 v[54:55], v55, v[54:55]
	v_lshrrev_b32_e32 v56, 3, v34
	v_sub_u32_e32 v55, 29, v57
	v_and_b32_e32 v54, 7, v54
	v_cmp_gt_u32_e32 vcc, 8, v34
	v_cndmask_b32_e32 v34, v56, v55, vcc
	v_cndmask_b32_e32 v53, v53, v54, vcc
	v_lshlrev_b32_e32 v54, 24, v37
	v_bfrev_b32_e32 v55, 60
	v_lshlrev_b32_e32 v53, 20, v53
	v_and_b32_e32 v54, 0x80000000, v54
	v_lshl_add_u32 v34, v34, 23, v55
	v_or3_b32 v34, v54, v34, v53
	v_lshrrev_b32_e32 v53, 16, v34
.LBB859_279:
	s_or_b64 exec, exec, s[10:11]
.LBB859_280:
	s_or_b64 exec, exec, s[8:9]
.LBB859_281:
	s_or_b64 exec, exec, s[2:3]
	v_lshrrev_b16_e32 v34, 8, v37
	v_cmp_ne_u16_e32 vcc, 0, v34
	s_and_saveexec_b64 s[2:3], vcc
	s_cbranch_execz .LBB859_287
; %bb.282:
	s_movk_i32 s8, 0x80
	v_cmp_ne_u16_e32 vcc, s8, v34
	v_mov_b32_e32 v36, 0xffff8000
	s_and_saveexec_b64 s[8:9], vcc
	s_cbranch_execz .LBB859_286
; %bb.283:
	s_movk_i32 s10, 0x7f
	v_and_b32_e32 v54, 0x7f, v34
	v_cmp_ne_u32_e32 vcc, s10, v54
	v_mov_b32_e32 v36, 0x7f80
	s_and_saveexec_b64 s[10:11], vcc
	s_cbranch_execz .LBB859_285
; %bb.284:
	v_and_b32_e32 v36, 7, v34
	v_ffbh_u32_e32 v56, v36
	v_min_u32_e32 v58, 32, v56
	v_subrev_u32_e32 v56, 28, v58
	v_lshlrev_b64 v[56:57], v56, v[34:35]
	v_lshrrev_b32_e32 v55, 3, v54
	v_sub_u32_e32 v34, 29, v58
	v_and_b32_e32 v56, 7, v56
	v_cmp_gt_u32_e32 vcc, 8, v54
	v_cndmask_b32_e32 v34, v55, v34, vcc
	v_cndmask_b32_e32 v36, v36, v56, vcc
	v_lshlrev_b32_e32 v54, 16, v37
	v_bfrev_b32_e32 v55, 60
	v_lshlrev_b32_e32 v36, 20, v36
	v_and_b32_e32 v54, 0x80000000, v54
	v_lshl_add_u32 v34, v34, 23, v55
	v_or3_b32 v34, v54, v34, v36
	v_lshrrev_b32_e32 v36, 16, v34
.LBB859_285:
	s_or_b64 exec, exec, s[10:11]
.LBB859_286:
	s_or_b64 exec, exec, s[8:9]
.LBB859_287:
	s_or_b64 exec, exec, s[2:3]
	s_movk_i32 s2, 0xff
	v_and_b32_sdwa v56, v37, s2 dst_sel:DWORD dst_unused:UNUSED_PAD src0_sel:WORD_1 src1_sel:DWORD
	v_lshrrev_b32_e32 v34, 16, v37
	v_cmp_ne_u16_e32 vcc, 0, v56
	v_mov_b32_e32 v54, 0
	v_mov_b32_e32 v55, 0
	s_and_saveexec_b64 s[2:3], vcc
	s_cbranch_execz .LBB859_293
; %bb.288:
	s_movk_i32 s8, 0x80
	v_cmp_ne_u16_e32 vcc, s8, v56
	v_mov_b32_e32 v55, 0xffff8000
	s_and_saveexec_b64 s[8:9], vcc
	s_cbranch_execz .LBB859_292
; %bb.289:
	v_bfe_u32 v56, v37, 16, 7
	s_movk_i32 s10, 0x7f
	v_cmp_ne_u32_e32 vcc, s10, v56
	v_mov_b32_e32 v55, 0x7f80
	s_and_saveexec_b64 s[10:11], vcc
	s_cbranch_execz .LBB859_291
; %bb.290:
	v_and_b32_e32 v55, 7, v34
	v_ffbh_u32_e32 v58, v55
	v_min_u32_e32 v60, 32, v58
	v_subrev_u32_e32 v58, 28, v60
	v_lshlrev_b64 v[58:59], v58, v[34:35]
	v_lshrrev_b32_e32 v57, 3, v56
	v_sub_u32_e32 v34, 29, v60
	v_and_b32_e32 v58, 7, v58
	v_cmp_gt_u32_e32 vcc, 8, v56
	v_mov_b32_e32 v56, 24
	v_cndmask_b32_e32 v34, v57, v34, vcc
	v_cndmask_b32_e32 v55, v55, v58, vcc
	v_lshlrev_b32_sdwa v56, v56, v37 dst_sel:DWORD dst_unused:UNUSED_PAD src0_sel:DWORD src1_sel:WORD_1
	v_bfrev_b32_e32 v57, 60
	v_lshlrev_b32_e32 v55, 20, v55
	v_and_b32_e32 v56, 0x80000000, v56
	v_lshl_add_u32 v34, v34, 23, v57
	v_or3_b32 v34, v56, v34, v55
	v_lshrrev_b32_e32 v55, 16, v34
.LBB859_291:
	s_or_b64 exec, exec, s[10:11]
.LBB859_292:
	s_or_b64 exec, exec, s[8:9]
.LBB859_293:
	s_or_b64 exec, exec, s[2:3]
	s_mov_b32 s2, 0xffffff
	v_cmp_lt_u32_e32 vcc, s2, v37
	s_and_saveexec_b64 s[2:3], vcc
	s_cbranch_execz .LBB859_299
; %bb.294:
	v_lshrrev_b32_e32 v34, 24, v37
	s_movk_i32 s8, 0x80
	v_cmp_ne_u32_e32 vcc, s8, v34
	v_mov_b32_e32 v54, 0xffff8000
	s_and_saveexec_b64 s[8:9], vcc
	s_cbranch_execz .LBB859_298
; %bb.295:
	v_bfe_u32 v37, v37, 24, 7
	s_movk_i32 s10, 0x7f
	v_cmp_ne_u32_e32 vcc, s10, v37
	v_mov_b32_e32 v54, 0x7f80
	s_and_saveexec_b64 s[10:11], vcc
	s_cbranch_execz .LBB859_297
; %bb.296:
	v_and_b32_e32 v54, 7, v34
	v_ffbh_u32_e32 v56, v54
	v_min_u32_e32 v59, 32, v56
	v_subrev_u32_e32 v56, 28, v59
	v_lshlrev_b64 v[56:57], v56, v[34:35]
	v_lshrrev_b32_e32 v58, 3, v37
	v_sub_u32_e32 v57, 29, v59
	v_and_b32_e32 v56, 7, v56
	v_cmp_gt_u32_e32 vcc, 8, v37
	v_cndmask_b32_e32 v37, v58, v57, vcc
	v_cndmask_b32_e32 v54, v54, v56, vcc
	v_lshlrev_b32_e32 v34, 24, v34
	v_bfrev_b32_e32 v56, 60
	v_lshlrev_b32_e32 v54, 20, v54
	v_and_b32_e32 v34, 0x80000000, v34
	v_lshl_add_u32 v37, v37, 23, v56
	v_or3_b32 v34, v34, v37, v54
	v_lshrrev_b32_e32 v54, 16, v34
.LBB859_297:
	s_or_b64 exec, exec, s[10:11]
.LBB859_298:
	s_or_b64 exec, exec, s[8:9]
.LBB859_299:
	s_or_b64 exec, exec, s[2:3]
	s_mov_b32 s2, 0x5040100
	v_perm_b32 v51, v51, v52, s2
	v_perm_b32 v50, v35, v50, s2
	;; [unrolled: 1-line block ×4, first 2 shown]
	v_mfma_f32_16x16x16bf16_1k v[56:59], v[50:51], v[18:19], v[42:45]
	s_nop 6
	v_mov_b32_e32 v43, 0
	s_waitcnt vmcnt(4)
	v_cmp_ne_u16_sdwa s[8:9], v22, v43 src0_sel:BYTE_0 src1_sel:DWORD
	v_mfma_f32_16x16x16bf16_1k v[34:37], v[34:35], v[20:21], v[56:59]
	v_mov_b32_e32 v44, 0
	s_and_saveexec_b64 s[2:3], s[8:9]
	s_cbranch_execz .LBB859_305
; %bb.300:
	s_movk_i32 s8, 0x80
	v_cmp_ne_u16_sdwa s[10:11], v22, s8 src0_sel:BYTE_0 src1_sel:DWORD
	v_mov_b32_e32 v44, 0xffff8000
	s_and_saveexec_b64 s[8:9], s[10:11]
	s_cbranch_execz .LBB859_304
; %bb.301:
	s_movk_i32 s10, 0x7f
	v_and_b32_e32 v42, 0x7f, v22
	v_cmp_ne_u32_e32 vcc, s10, v42
	v_mov_b32_e32 v44, 0x7f80
	s_and_saveexec_b64 s[10:11], vcc
	s_cbranch_execz .LBB859_303
; %bb.302:
	v_and_b32_e32 v50, 7, v22
	v_ffbh_u32_e32 v44, v50
	v_min_u32_e32 v52, 32, v44
	v_subrev_u32_e32 v44, 28, v52
	v_lshlrev_b64 v[44:45], v44, v[22:23]
	v_lshrrev_b32_e32 v51, 3, v42
	v_sub_u32_e32 v45, 29, v52
	v_and_b32_e32 v44, 7, v44
	v_cmp_gt_u32_e32 vcc, 8, v42
	v_cndmask_b32_e32 v42, v51, v45, vcc
	v_cndmask_b32_e32 v44, v50, v44, vcc
	v_lshlrev_b32_e32 v45, 24, v22
	v_bfrev_b32_e32 v50, 60
	v_lshlrev_b32_e32 v44, 20, v44
	v_and_b32_e32 v45, 0x80000000, v45
	v_lshl_add_u32 v42, v42, 23, v50
	v_or3_b32 v42, v45, v42, v44
	v_lshrrev_b32_e32 v44, 16, v42
.LBB859_303:
	s_or_b64 exec, exec, s[10:11]
.LBB859_304:
	s_or_b64 exec, exec, s[8:9]
.LBB859_305:
	s_or_b64 exec, exec, s[2:3]
	v_lshrrev_b16_e32 v42, 8, v22
	v_cmp_ne_u16_e32 vcc, 0, v42
	s_and_saveexec_b64 s[2:3], vcc
	s_cbranch_execz .LBB859_311
; %bb.306:
	s_movk_i32 s8, 0x80
	v_cmp_ne_u16_e32 vcc, s8, v42
	v_mov_b32_e32 v43, 0xffff8000
	s_and_saveexec_b64 s[8:9], vcc
	s_cbranch_execz .LBB859_310
; %bb.307:
	s_movk_i32 s10, 0x7f
	v_and_b32_e32 v45, 0x7f, v42
	v_cmp_ne_u32_e32 vcc, s10, v45
	v_mov_b32_e32 v43, 0x7f80
	s_and_saveexec_b64 s[10:11], vcc
	s_cbranch_execz .LBB859_309
; %bb.308:
	v_and_b32_e32 v50, 7, v42
	v_ffbh_u32_e32 v43, v50
	v_min_u32_e32 v52, 32, v43
	v_subrev_u32_e32 v43, 28, v52
	v_lshlrev_b64 v[42:43], v43, v[42:43]
	v_lshrrev_b32_e32 v51, 3, v45
	v_sub_u32_e32 v43, 29, v52
	v_and_b32_e32 v42, 7, v42
	v_cmp_gt_u32_e32 vcc, 8, v45
	v_cndmask_b32_e32 v43, v51, v43, vcc
	v_cndmask_b32_e32 v42, v50, v42, vcc
	v_lshlrev_b32_e32 v45, 16, v22
	v_bfrev_b32_e32 v50, 60
	v_lshlrev_b32_e32 v42, 20, v42
	v_and_b32_e32 v45, 0x80000000, v45
	v_lshl_add_u32 v43, v43, 23, v50
	v_or3_b32 v42, v45, v43, v42
	v_lshrrev_b32_e32 v43, 16, v42
.LBB859_309:
	s_or_b64 exec, exec, s[10:11]
.LBB859_310:
	s_or_b64 exec, exec, s[8:9]
.LBB859_311:
	s_or_b64 exec, exec, s[2:3]
	s_movk_i32 s2, 0xff
	v_and_b32_sdwa v51, v22, s2 dst_sel:DWORD dst_unused:UNUSED_PAD src0_sel:WORD_1 src1_sel:DWORD
	v_lshrrev_b32_e32 v42, 16, v22
	v_cmp_ne_u16_e32 vcc, 0, v51
	v_mov_b32_e32 v45, 0
	v_mov_b32_e32 v50, 0
	s_and_saveexec_b64 s[2:3], vcc
	s_cbranch_execz .LBB859_317
; %bb.312:
	s_movk_i32 s8, 0x80
	v_cmp_ne_u16_e32 vcc, s8, v51
	v_mov_b32_e32 v50, 0xffff8000
	s_and_saveexec_b64 s[8:9], vcc
	s_cbranch_execz .LBB859_316
; %bb.313:
	v_bfe_u32 v51, v22, 16, 7
	s_movk_i32 s10, 0x7f
	v_cmp_ne_u32_e32 vcc, s10, v51
	v_mov_b32_e32 v50, 0x7f80
	s_and_saveexec_b64 s[10:11], vcc
	s_cbranch_execz .LBB859_315
; %bb.314:
	v_and_b32_e32 v50, 7, v42
	v_ffbh_u32_e32 v52, v50
	v_min_u32_e32 v55, 32, v52
	v_subrev_u32_e32 v52, 28, v55
	v_lshlrev_b64 v[52:53], v52, v[42:43]
	v_lshrrev_b32_e32 v54, 3, v51
	v_sub_u32_e32 v42, 29, v55
	v_and_b32_e32 v52, 7, v52
	v_cmp_gt_u32_e32 vcc, 8, v51
	v_mov_b32_e32 v51, 24
	v_cndmask_b32_e32 v42, v54, v42, vcc
	v_cndmask_b32_e32 v50, v50, v52, vcc
	v_lshlrev_b32_sdwa v51, v51, v22 dst_sel:DWORD dst_unused:UNUSED_PAD src0_sel:DWORD src1_sel:WORD_1
	v_bfrev_b32_e32 v52, 60
	v_lshlrev_b32_e32 v50, 20, v50
	v_and_b32_e32 v51, 0x80000000, v51
	v_lshl_add_u32 v42, v42, 23, v52
	v_or3_b32 v42, v51, v42, v50
	v_lshrrev_b32_e32 v50, 16, v42
.LBB859_315:
	s_or_b64 exec, exec, s[10:11]
.LBB859_316:
	s_or_b64 exec, exec, s[8:9]
.LBB859_317:
	s_or_b64 exec, exec, s[2:3]
	s_mov_b32 s2, 0xffffff
	v_cmp_lt_u32_e32 vcc, s2, v22
	s_and_saveexec_b64 s[2:3], vcc
	s_cbranch_execz .LBB859_323
; %bb.318:
	v_lshrrev_b32_e32 v42, 24, v22
	s_movk_i32 s8, 0x80
	v_cmp_ne_u32_e32 vcc, s8, v42
	v_mov_b32_e32 v45, 0xffff8000
	s_and_saveexec_b64 s[8:9], vcc
	s_cbranch_execz .LBB859_322
; %bb.319:
	v_bfe_u32 v22, v22, 24, 7
	s_movk_i32 s10, 0x7f
	v_cmp_ne_u32_e32 vcc, s10, v22
	v_mov_b32_e32 v45, 0x7f80
	s_and_saveexec_b64 s[10:11], vcc
	s_cbranch_execz .LBB859_321
; %bb.320:
	v_and_b32_e32 v45, 7, v42
	v_ffbh_u32_e32 v52, v45
	v_min_u32_e32 v54, 32, v52
	v_subrev_u32_e32 v52, 28, v54
	v_lshlrev_b64 v[52:53], v52, v[42:43]
	v_lshrrev_b32_e32 v51, 3, v22
	v_sub_u32_e32 v53, 29, v54
	v_and_b32_e32 v52, 7, v52
	v_cmp_gt_u32_e32 vcc, 8, v22
	v_cndmask_b32_e32 v22, v51, v53, vcc
	v_cndmask_b32_e32 v45, v45, v52, vcc
	v_lshlrev_b32_e32 v42, 24, v42
	v_bfrev_b32_e32 v51, 60
	v_lshlrev_b32_e32 v45, 20, v45
	v_and_b32_e32 v42, 0x80000000, v42
	v_lshl_add_u32 v22, v22, 23, v51
	v_or3_b32 v22, v42, v22, v45
	v_lshrrev_b32_e32 v45, 16, v22
.LBB859_321:
	s_or_b64 exec, exec, s[10:11]
.LBB859_322:
	s_or_b64 exec, exec, s[8:9]
.LBB859_323:
	s_or_b64 exec, exec, s[2:3]
	v_mov_b32_e32 v42, 0
	v_cmp_ne_u16_sdwa s[8:9], v23, v42 src0_sel:BYTE_0 src1_sel:DWORD
	v_mov_b32_e32 v51, 0
	s_and_saveexec_b64 s[2:3], s[8:9]
	s_cbranch_execz .LBB859_329
; %bb.324:
	s_movk_i32 s8, 0x80
	v_cmp_ne_u16_sdwa s[10:11], v23, s8 src0_sel:BYTE_0 src1_sel:DWORD
	v_mov_b32_e32 v51, 0xffff8000
	s_and_saveexec_b64 s[8:9], s[10:11]
	s_cbranch_execz .LBB859_328
; %bb.325:
	s_movk_i32 s10, 0x7f
	v_and_b32_e32 v22, 0x7f, v23
	v_cmp_ne_u32_e32 vcc, s10, v22
	v_mov_b32_e32 v51, 0x7f80
	s_and_saveexec_b64 s[10:11], vcc
	s_cbranch_execz .LBB859_327
; %bb.326:
	v_and_b32_e32 v51, 7, v23
	v_ffbh_u32_e32 v53, v51
	v_min_u32_e32 v55, 32, v53
	v_mov_b32_e32 v52, v23
	v_subrev_u32_e32 v53, 28, v55
	v_lshlrev_b64 v[52:53], v53, v[52:53]
	v_lshrrev_b32_e32 v54, 3, v22
	v_sub_u32_e32 v53, 29, v55
	v_and_b32_e32 v52, 7, v52
	v_cmp_gt_u32_e32 vcc, 8, v22
	v_cndmask_b32_e32 v22, v54, v53, vcc
	v_cndmask_b32_e32 v51, v51, v52, vcc
	v_lshlrev_b32_e32 v52, 24, v23
	v_bfrev_b32_e32 v53, 60
	v_lshlrev_b32_e32 v51, 20, v51
	v_and_b32_e32 v52, 0x80000000, v52
	v_lshl_add_u32 v22, v22, 23, v53
	v_or3_b32 v22, v52, v22, v51
	v_lshrrev_b32_e32 v51, 16, v22
.LBB859_327:
	s_or_b64 exec, exec, s[10:11]
.LBB859_328:
	s_or_b64 exec, exec, s[8:9]
.LBB859_329:
	s_or_b64 exec, exec, s[2:3]
	v_lshrrev_b16_e32 v22, 8, v23
	v_cmp_ne_u16_e32 vcc, 0, v22
	s_and_saveexec_b64 s[2:3], vcc
	s_cbranch_execz .LBB859_335
; %bb.330:
	s_movk_i32 s8, 0x80
	v_cmp_ne_u16_e32 vcc, s8, v22
	v_mov_b32_e32 v42, 0xffff8000
	s_and_saveexec_b64 s[8:9], vcc
	s_cbranch_execz .LBB859_334
; %bb.331:
	s_movk_i32 s10, 0x7f
	v_and_b32_e32 v52, 0x7f, v22
	v_cmp_ne_u32_e32 vcc, s10, v52
	v_mov_b32_e32 v42, 0x7f80
	s_and_saveexec_b64 s[10:11], vcc
	s_cbranch_execz .LBB859_333
; %bb.332:
	v_and_b32_e32 v42, 7, v22
	v_ffbh_u32_e32 v54, v42
	v_min_u32_e32 v56, 32, v54
	v_subrev_u32_e32 v54, 28, v56
	v_lshlrev_b64 v[54:55], v54, v[22:23]
	v_lshrrev_b32_e32 v53, 3, v52
	v_sub_u32_e32 v22, 29, v56
	v_and_b32_e32 v54, 7, v54
	v_cmp_gt_u32_e32 vcc, 8, v52
	v_cndmask_b32_e32 v22, v53, v22, vcc
	v_cndmask_b32_e32 v42, v42, v54, vcc
	v_lshlrev_b32_e32 v52, 16, v23
	v_bfrev_b32_e32 v53, 60
	v_lshlrev_b32_e32 v42, 20, v42
	v_and_b32_e32 v52, 0x80000000, v52
	v_lshl_add_u32 v22, v22, 23, v53
	v_or3_b32 v22, v52, v22, v42
	v_lshrrev_b32_e32 v42, 16, v22
.LBB859_333:
	s_or_b64 exec, exec, s[10:11]
.LBB859_334:
	s_or_b64 exec, exec, s[8:9]
.LBB859_335:
	s_or_b64 exec, exec, s[2:3]
	s_movk_i32 s2, 0xff
	v_and_b32_sdwa v54, v23, s2 dst_sel:DWORD dst_unused:UNUSED_PAD src0_sel:WORD_1 src1_sel:DWORD
	v_lshrrev_b32_e32 v22, 16, v23
	v_cmp_ne_u16_e32 vcc, 0, v54
	v_mov_b32_e32 v52, 0
	v_mov_b32_e32 v53, 0
	s_and_saveexec_b64 s[2:3], vcc
	s_cbranch_execz .LBB859_341
; %bb.336:
	s_movk_i32 s8, 0x80
	v_cmp_ne_u16_e32 vcc, s8, v54
	v_mov_b32_e32 v53, 0xffff8000
	s_and_saveexec_b64 s[8:9], vcc
	s_cbranch_execz .LBB859_340
; %bb.337:
	v_bfe_u32 v54, v23, 16, 7
	s_movk_i32 s10, 0x7f
	v_cmp_ne_u32_e32 vcc, s10, v54
	v_mov_b32_e32 v53, 0x7f80
	s_and_saveexec_b64 s[10:11], vcc
	s_cbranch_execz .LBB859_339
; %bb.338:
	v_and_b32_e32 v53, 7, v22
	v_ffbh_u32_e32 v56, v53
	v_min_u32_e32 v58, 32, v56
	v_subrev_u32_e32 v56, 28, v58
	v_lshlrev_b64 v[56:57], v56, v[22:23]
	v_lshrrev_b32_e32 v55, 3, v54
	v_sub_u32_e32 v22, 29, v58
	v_and_b32_e32 v56, 7, v56
	v_cmp_gt_u32_e32 vcc, 8, v54
	v_mov_b32_e32 v54, 24
	v_cndmask_b32_e32 v22, v55, v22, vcc
	v_cndmask_b32_e32 v53, v53, v56, vcc
	v_lshlrev_b32_sdwa v54, v54, v23 dst_sel:DWORD dst_unused:UNUSED_PAD src0_sel:DWORD src1_sel:WORD_1
	v_bfrev_b32_e32 v55, 60
	v_lshlrev_b32_e32 v53, 20, v53
	v_and_b32_e32 v54, 0x80000000, v54
	v_lshl_add_u32 v22, v22, 23, v55
	v_or3_b32 v22, v54, v22, v53
	v_lshrrev_b32_e32 v53, 16, v22
.LBB859_339:
	s_or_b64 exec, exec, s[10:11]
.LBB859_340:
	s_or_b64 exec, exec, s[8:9]
.LBB859_341:
	s_or_b64 exec, exec, s[2:3]
	s_mov_b32 s2, 0xffffff
	v_cmp_lt_u32_e32 vcc, s2, v23
	s_and_saveexec_b64 s[2:3], vcc
	s_cbranch_execz .LBB859_347
; %bb.342:
	v_lshrrev_b32_e32 v22, 24, v23
	s_movk_i32 s8, 0x80
	v_cmp_ne_u32_e32 vcc, s8, v22
	v_mov_b32_e32 v52, 0xffff8000
	s_and_saveexec_b64 s[8:9], vcc
	s_cbranch_execz .LBB859_346
; %bb.343:
	v_bfe_u32 v23, v23, 24, 7
	s_movk_i32 s10, 0x7f
	v_cmp_ne_u32_e32 vcc, s10, v23
	v_mov_b32_e32 v52, 0x7f80
	s_and_saveexec_b64 s[10:11], vcc
	s_cbranch_execz .LBB859_345
; %bb.344:
	v_and_b32_e32 v52, 7, v22
	v_ffbh_u32_e32 v54, v52
	v_min_u32_e32 v57, 32, v54
	v_subrev_u32_e32 v54, 28, v57
	v_lshlrev_b64 v[54:55], v54, v[22:23]
	v_lshrrev_b32_e32 v56, 3, v23
	v_sub_u32_e32 v55, 29, v57
	v_and_b32_e32 v54, 7, v54
	v_cmp_gt_u32_e32 vcc, 8, v23
	v_cndmask_b32_e32 v23, v56, v55, vcc
	v_cndmask_b32_e32 v52, v52, v54, vcc
	v_lshlrev_b32_e32 v22, 24, v22
	v_bfrev_b32_e32 v54, 60
	v_lshlrev_b32_e32 v52, 20, v52
	v_and_b32_e32 v22, 0x80000000, v22
	v_lshl_add_u32 v23, v23, 23, v54
	v_or3_b32 v22, v22, v23, v52
	v_lshrrev_b32_e32 v52, 16, v22
.LBB859_345:
	s_or_b64 exec, exec, s[10:11]
.LBB859_346:
	s_or_b64 exec, exec, s[8:9]
.LBB859_347:
	s_or_b64 exec, exec, s[2:3]
	s_mov_b32 s2, 0x5040100
	v_perm_b32 v23, v45, v50, s2
	v_perm_b32 v22, v43, v44, s2
	s_nop 1
	v_mfma_f32_16x16x16bf16_1k v[54:57], v[22:23], v[26:27], 0
	v_perm_b32 v27, v52, v53, s2
	v_perm_b32 v26, v42, v51, s2
	v_mov_b32_e32 v23, 0
	v_cmp_ne_u16_sdwa s[8:9], v24, v23 src0_sel:BYTE_0 src1_sel:DWORD
	v_mov_b32_e32 v42, 0
	v_mfma_f32_16x16x16bf16_1k v[26:29], v[26:27], v[28:29], v[54:57]
	s_and_saveexec_b64 s[2:3], s[8:9]
	s_cbranch_execz .LBB859_353
; %bb.348:
	s_movk_i32 s8, 0x80
	v_cmp_ne_u16_sdwa s[10:11], v24, s8 src0_sel:BYTE_0 src1_sel:DWORD
	v_mov_b32_e32 v42, 0xffff8000
	s_and_saveexec_b64 s[8:9], s[10:11]
	s_cbranch_execz .LBB859_352
; %bb.349:
	s_movk_i32 s10, 0x7f
	v_and_b32_e32 v22, 0x7f, v24
	v_cmp_ne_u32_e32 vcc, s10, v22
	v_mov_b32_e32 v42, 0x7f80
	s_and_saveexec_b64 s[10:11], vcc
	s_cbranch_execz .LBB859_351
; %bb.350:
	v_and_b32_e32 v44, 7, v24
	v_ffbh_u32_e32 v42, v44
	v_min_u32_e32 v50, 32, v42
	v_subrev_u32_e32 v42, 28, v50
	v_lshlrev_b64 v[42:43], v42, v[24:25]
	v_lshrrev_b32_e32 v45, 3, v22
	v_sub_u32_e32 v43, 29, v50
	v_and_b32_e32 v42, 7, v42
	v_cmp_gt_u32_e32 vcc, 8, v22
	v_cndmask_b32_e32 v22, v45, v43, vcc
	v_cndmask_b32_e32 v42, v44, v42, vcc
	v_lshlrev_b32_e32 v43, 24, v24
	v_bfrev_b32_e32 v44, 60
	v_lshlrev_b32_e32 v42, 20, v42
	v_and_b32_e32 v43, 0x80000000, v43
	v_lshl_add_u32 v22, v22, 23, v44
	v_or3_b32 v22, v43, v22, v42
	v_lshrrev_b32_e32 v42, 16, v22
.LBB859_351:
	s_or_b64 exec, exec, s[10:11]
.LBB859_352:
	s_or_b64 exec, exec, s[8:9]
.LBB859_353:
	s_or_b64 exec, exec, s[2:3]
	v_lshrrev_b16_e32 v22, 8, v24
	v_cmp_ne_u16_e32 vcc, 0, v22
	s_and_saveexec_b64 s[2:3], vcc
	s_cbranch_execz .LBB859_359
; %bb.354:
	s_movk_i32 s8, 0x80
	v_cmp_ne_u16_e32 vcc, s8, v22
	v_mov_b32_e32 v23, 0xffff8000
	s_and_saveexec_b64 s[8:9], vcc
	s_cbranch_execz .LBB859_358
; %bb.355:
	s_movk_i32 s10, 0x7f
	v_and_b32_e32 v43, 0x7f, v22
	v_cmp_ne_u32_e32 vcc, s10, v43
	v_mov_b32_e32 v23, 0x7f80
	s_and_saveexec_b64 s[10:11], vcc
	s_cbranch_execz .LBB859_357
; %bb.356:
	v_and_b32_e32 v44, 7, v22
	v_ffbh_u32_e32 v23, v44
	v_min_u32_e32 v50, 32, v23
	v_subrev_u32_e32 v23, 28, v50
	v_lshlrev_b64 v[22:23], v23, v[22:23]
	v_lshrrev_b32_e32 v45, 3, v43
	v_sub_u32_e32 v23, 29, v50
	v_and_b32_e32 v22, 7, v22
	v_cmp_gt_u32_e32 vcc, 8, v43
	v_cndmask_b32_e32 v23, v45, v23, vcc
	v_cndmask_b32_e32 v22, v44, v22, vcc
	v_lshlrev_b32_e32 v43, 16, v24
	v_bfrev_b32_e32 v44, 60
	v_lshlrev_b32_e32 v22, 20, v22
	v_and_b32_e32 v43, 0x80000000, v43
	v_lshl_add_u32 v23, v23, 23, v44
	v_or3_b32 v22, v43, v23, v22
	v_lshrrev_b32_e32 v23, 16, v22
.LBB859_357:
	s_or_b64 exec, exec, s[10:11]
.LBB859_358:
	s_or_b64 exec, exec, s[8:9]
.LBB859_359:
	s_or_b64 exec, exec, s[2:3]
	s_movk_i32 s2, 0xff
	v_and_b32_sdwa v45, v24, s2 dst_sel:DWORD dst_unused:UNUSED_PAD src0_sel:WORD_1 src1_sel:DWORD
	v_lshrrev_b32_e32 v22, 16, v24
	v_cmp_ne_u16_e32 vcc, 0, v45
	v_mov_b32_e32 v43, 0
	v_mov_b32_e32 v44, 0
	s_and_saveexec_b64 s[2:3], vcc
	s_cbranch_execz .LBB859_365
; %bb.360:
	s_movk_i32 s8, 0x80
	v_cmp_ne_u16_e32 vcc, s8, v45
	v_mov_b32_e32 v44, 0xffff8000
	s_and_saveexec_b64 s[8:9], vcc
	s_cbranch_execz .LBB859_364
; %bb.361:
	v_bfe_u32 v45, v24, 16, 7
	s_movk_i32 s10, 0x7f
	v_cmp_ne_u32_e32 vcc, s10, v45
	v_mov_b32_e32 v44, 0x7f80
	s_and_saveexec_b64 s[10:11], vcc
	s_cbranch_execz .LBB859_363
; %bb.362:
	v_and_b32_e32 v44, 7, v22
	v_ffbh_u32_e32 v50, v44
	v_min_u32_e32 v53, 32, v50
	v_subrev_u32_e32 v50, 28, v53
	v_lshlrev_b64 v[50:51], v50, v[22:23]
	v_lshrrev_b32_e32 v52, 3, v45
	v_sub_u32_e32 v22, 29, v53
	v_and_b32_e32 v50, 7, v50
	v_cmp_gt_u32_e32 vcc, 8, v45
	v_mov_b32_e32 v45, 24
	v_cndmask_b32_e32 v22, v52, v22, vcc
	v_cndmask_b32_e32 v44, v44, v50, vcc
	v_lshlrev_b32_sdwa v45, v45, v24 dst_sel:DWORD dst_unused:UNUSED_PAD src0_sel:DWORD src1_sel:WORD_1
	v_bfrev_b32_e32 v50, 60
	v_lshlrev_b32_e32 v44, 20, v44
	v_and_b32_e32 v45, 0x80000000, v45
	v_lshl_add_u32 v22, v22, 23, v50
	v_or3_b32 v22, v45, v22, v44
	v_lshrrev_b32_e32 v44, 16, v22
.LBB859_363:
	s_or_b64 exec, exec, s[10:11]
.LBB859_364:
	s_or_b64 exec, exec, s[8:9]
.LBB859_365:
	s_or_b64 exec, exec, s[2:3]
	s_mov_b32 s2, 0xffffff
	v_cmp_lt_u32_e32 vcc, s2, v24
	s_and_saveexec_b64 s[2:3], vcc
	s_cbranch_execz .LBB859_371
; %bb.366:
	v_lshrrev_b32_e32 v22, 24, v24
	s_movk_i32 s8, 0x80
	v_cmp_ne_u32_e32 vcc, s8, v22
	v_mov_b32_e32 v43, 0xffff8000
	s_and_saveexec_b64 s[8:9], vcc
	s_cbranch_execz .LBB859_370
; %bb.367:
	v_bfe_u32 v24, v24, 24, 7
	s_movk_i32 s10, 0x7f
	v_cmp_ne_u32_e32 vcc, s10, v24
	v_mov_b32_e32 v43, 0x7f80
	s_and_saveexec_b64 s[10:11], vcc
	s_cbranch_execz .LBB859_369
; %bb.368:
	v_and_b32_e32 v43, 7, v22
	v_ffbh_u32_e32 v50, v43
	v_min_u32_e32 v52, 32, v50
	v_subrev_u32_e32 v50, 28, v52
	v_lshlrev_b64 v[50:51], v50, v[22:23]
	v_lshrrev_b32_e32 v45, 3, v24
	v_sub_u32_e32 v51, 29, v52
	v_and_b32_e32 v50, 7, v50
	v_cmp_gt_u32_e32 vcc, 8, v24
	v_cndmask_b32_e32 v24, v45, v51, vcc
	v_cndmask_b32_e32 v43, v43, v50, vcc
	v_lshlrev_b32_e32 v22, 24, v22
	v_bfrev_b32_e32 v45, 60
	v_lshlrev_b32_e32 v43, 20, v43
	v_and_b32_e32 v22, 0x80000000, v22
	v_lshl_add_u32 v24, v24, 23, v45
	v_or3_b32 v22, v22, v24, v43
	v_lshrrev_b32_e32 v43, 16, v22
.LBB859_369:
	s_or_b64 exec, exec, s[10:11]
.LBB859_370:
	s_or_b64 exec, exec, s[8:9]
.LBB859_371:
	s_or_b64 exec, exec, s[2:3]
	v_mov_b32_e32 v24, 0
	v_cmp_ne_u16_sdwa s[8:9], v25, v24 src0_sel:BYTE_0 src1_sel:DWORD
	v_mov_b32_e32 v50, 0
	s_and_saveexec_b64 s[2:3], s[8:9]
	s_cbranch_execz .LBB859_377
; %bb.372:
	s_movk_i32 s8, 0x80
	v_cmp_ne_u16_sdwa s[10:11], v25, s8 src0_sel:BYTE_0 src1_sel:DWORD
	v_mov_b32_e32 v50, 0xffff8000
	s_and_saveexec_b64 s[8:9], s[10:11]
	s_cbranch_execz .LBB859_376
; %bb.373:
	s_movk_i32 s10, 0x7f
	v_and_b32_e32 v22, 0x7f, v25
	v_cmp_ne_u32_e32 vcc, s10, v22
	v_mov_b32_e32 v50, 0x7f80
	s_and_saveexec_b64 s[10:11], vcc
	s_cbranch_execz .LBB859_375
; %bb.374:
	v_and_b32_e32 v45, 7, v25
	v_ffbh_u32_e32 v51, v45
	v_min_u32_e32 v53, 32, v51
	v_mov_b32_e32 v50, v25
	v_subrev_u32_e32 v51, 28, v53
	v_lshlrev_b64 v[50:51], v51, v[50:51]
	v_lshrrev_b32_e32 v52, 3, v22
	v_sub_u32_e32 v51, 29, v53
	v_and_b32_e32 v50, 7, v50
	v_cmp_gt_u32_e32 vcc, 8, v22
	v_cndmask_b32_e32 v22, v52, v51, vcc
	v_cndmask_b32_e32 v45, v45, v50, vcc
	v_lshlrev_b32_e32 v50, 24, v25
	v_bfrev_b32_e32 v51, 60
	v_lshlrev_b32_e32 v45, 20, v45
	v_and_b32_e32 v50, 0x80000000, v50
	v_lshl_add_u32 v22, v22, 23, v51
	v_or3_b32 v22, v50, v22, v45
	v_lshrrev_b32_e32 v50, 16, v22
.LBB859_375:
	s_or_b64 exec, exec, s[10:11]
.LBB859_376:
	s_or_b64 exec, exec, s[8:9]
.LBB859_377:
	s_or_b64 exec, exec, s[2:3]
	v_lshrrev_b16_e32 v22, 8, v25
	v_cmp_ne_u16_e32 vcc, 0, v22
	s_and_saveexec_b64 s[2:3], vcc
	s_cbranch_execz .LBB859_383
; %bb.378:
	s_movk_i32 s8, 0x80
	v_cmp_ne_u16_e32 vcc, s8, v22
	v_mov_b32_e32 v24, 0xffff8000
	s_and_saveexec_b64 s[8:9], vcc
	s_cbranch_execz .LBB859_382
; %bb.379:
	s_movk_i32 s10, 0x7f
	v_and_b32_e32 v45, 0x7f, v22
	v_cmp_ne_u32_e32 vcc, s10, v45
	v_mov_b32_e32 v24, 0x7f80
	s_and_saveexec_b64 s[10:11], vcc
	s_cbranch_execz .LBB859_381
; %bb.380:
	v_and_b32_e32 v24, 7, v22
	v_ffbh_u32_e32 v52, v24
	v_min_u32_e32 v54, 32, v52
	v_subrev_u32_e32 v52, 28, v54
	v_lshlrev_b64 v[52:53], v52, v[22:23]
	v_lshrrev_b32_e32 v51, 3, v45
	v_sub_u32_e32 v22, 29, v54
	v_and_b32_e32 v52, 7, v52
	v_cmp_gt_u32_e32 vcc, 8, v45
	v_cndmask_b32_e32 v22, v51, v22, vcc
	v_cndmask_b32_e32 v24, v24, v52, vcc
	v_lshlrev_b32_e32 v45, 16, v25
	v_bfrev_b32_e32 v51, 60
	v_lshlrev_b32_e32 v24, 20, v24
	v_and_b32_e32 v45, 0x80000000, v45
	v_lshl_add_u32 v22, v22, 23, v51
	v_or3_b32 v22, v45, v22, v24
	v_lshrrev_b32_e32 v24, 16, v22
.LBB859_381:
	s_or_b64 exec, exec, s[10:11]
.LBB859_382:
	s_or_b64 exec, exec, s[8:9]
.LBB859_383:
	s_or_b64 exec, exec, s[2:3]
	s_movk_i32 s2, 0xff
	v_and_b32_sdwa v45, v25, s2 dst_sel:DWORD dst_unused:UNUSED_PAD src0_sel:WORD_1 src1_sel:DWORD
	v_lshrrev_b32_e32 v22, 16, v25
	v_cmp_ne_u16_e32 vcc, 0, v45
	v_mov_b32_e32 v51, 0
	v_mov_b32_e32 v52, 0
	s_and_saveexec_b64 s[2:3], vcc
	s_cbranch_execz .LBB859_389
; %bb.384:
	s_movk_i32 s8, 0x80
	v_cmp_ne_u16_e32 vcc, s8, v45
	v_mov_b32_e32 v52, 0xffff8000
	s_and_saveexec_b64 s[8:9], vcc
	s_cbranch_execz .LBB859_388
; %bb.385:
	v_bfe_u32 v45, v25, 16, 7
	s_movk_i32 s10, 0x7f
	v_cmp_ne_u32_e32 vcc, s10, v45
	v_mov_b32_e32 v52, 0x7f80
	s_and_saveexec_b64 s[10:11], vcc
	s_cbranch_execz .LBB859_387
; %bb.386:
	v_and_b32_e32 v54, 7, v22
	v_ffbh_u32_e32 v52, v54
	v_min_u32_e32 v56, 32, v52
	v_subrev_u32_e32 v52, 28, v56
	v_lshlrev_b64 v[52:53], v52, v[22:23]
	v_and_b32_e32 v52, 7, v52
	v_cmp_gt_u32_e32 vcc, 8, v45
	v_lshrrev_b32_e32 v55, 3, v45
	v_sub_u32_e32 v22, 29, v56
	v_cndmask_b32_e32 v45, v54, v52, vcc
	v_mov_b32_e32 v52, 24
	v_cndmask_b32_e32 v22, v55, v22, vcc
	v_lshlrev_b32_sdwa v52, v52, v25 dst_sel:DWORD dst_unused:UNUSED_PAD src0_sel:DWORD src1_sel:WORD_1
	v_bfrev_b32_e32 v53, 60
	v_lshlrev_b32_e32 v45, 20, v45
	v_and_b32_e32 v52, 0x80000000, v52
	v_lshl_add_u32 v22, v22, 23, v53
	v_or3_b32 v22, v52, v22, v45
	v_lshrrev_b32_e32 v52, 16, v22
.LBB859_387:
	s_or_b64 exec, exec, s[10:11]
.LBB859_388:
	s_or_b64 exec, exec, s[8:9]
.LBB859_389:
	s_or_b64 exec, exec, s[2:3]
	s_mov_b32 s2, 0xffffff
	v_and_b32_e32 v45, 63, v0
	v_cmp_lt_u32_e32 vcc, s2, v25
	s_and_saveexec_b64 s[2:3], vcc
	s_cbranch_execz .LBB859_395
; %bb.390:
	v_lshrrev_b32_e32 v22, 24, v25
	s_movk_i32 s8, 0x80
	v_cmp_ne_u32_e32 vcc, s8, v22
	v_mov_b32_e32 v51, 0xffff8000
	s_and_saveexec_b64 s[8:9], vcc
	s_cbranch_execz .LBB859_394
; %bb.391:
	v_bfe_u32 v25, v25, 24, 7
	s_movk_i32 s10, 0x7f
	v_cmp_ne_u32_e32 vcc, s10, v25
	v_mov_b32_e32 v51, 0x7f80
	s_and_saveexec_b64 s[10:11], vcc
	s_cbranch_execz .LBB859_393
; %bb.392:
	v_and_b32_e32 v51, 7, v22
	v_ffbh_u32_e32 v54, v51
	v_min_u32_e32 v56, 32, v54
	v_subrev_u32_e32 v54, 28, v56
	v_lshlrev_b64 v[54:55], v54, v[22:23]
	v_lshrrev_b32_e32 v53, 3, v25
	v_sub_u32_e32 v55, 29, v56
	v_and_b32_e32 v54, 7, v54
	v_cmp_gt_u32_e32 vcc, 8, v25
	v_cndmask_b32_e32 v25, v53, v55, vcc
	v_cndmask_b32_e32 v51, v51, v54, vcc
	v_lshlrev_b32_e32 v22, 24, v22
	v_bfrev_b32_e32 v53, 60
	v_lshlrev_b32_e32 v51, 20, v51
	v_and_b32_e32 v22, 0x80000000, v22
	v_lshl_add_u32 v25, v25, 23, v53
	v_or3_b32 v22, v22, v25, v51
	v_lshrrev_b32_e32 v51, 16, v22
.LBB859_393:
	s_or_b64 exec, exec, s[10:11]
.LBB859_394:
	s_or_b64 exec, exec, s[8:9]
.LBB859_395:
	s_or_b64 exec, exec, s[2:3]
	s_mov_b32 s3, 0x5040100
	v_perm_b32 v43, v43, v44, s3
	v_perm_b32 v42, v23, v42, s3
	s_load_dword s2, s[4:5], 0x1c
	s_mov_b32 s46, 0xff7fffff
	s_waitcnt lgkmcnt(0)
	v_mfma_f32_16x16x16bf16_1k v[26:29], v[42:43], v[18:19], v[26:29]
	v_perm_b32 v19, v51, v52, s3
	v_perm_b32 v18, v24, v50, s3
	v_and_b32_e32 v24, 0xc0, v0
	v_mov_b32_e32 v22, s2
	v_add_u32_e32 v24, s20, v24
	v_mul_f32_e32 v44, s12, v22
	v_lshl_or_b32 v42, v1, 2, v24
	v_mfma_f32_16x16x16bf16_1k v[18:21], v[18:19], v[20:21], v[26:29]
	v_pk_mul_f32 v[22:23], v[44:45], v[36:37] op_sel_hi:[0,1]
	v_pk_mul_f32 v[36:37], v[44:45], v[40:41] op_sel_hi:[0,1]
	;; [unrolled: 1-line block ×4, first 2 shown]
	v_mov_b32_e32 v43, 0xff7fffff
	v_cmp_gt_i32_e64 s[26:27], s33, v42
	v_pk_mul_f32 v[38:39], v[44:45], v[38:39] op_sel_hi:[0,1]
	s_nop 3
	v_pk_mul_f32 v[32:33], v[44:45], v[18:19] op_sel_hi:[0,1]
	v_or_b32_e32 v19, 1, v42
	v_cmp_gt_i32_e64 s[28:29], s33, v19
	v_cndmask_b32_e64 v18, v43, v30, s[26:27]
	v_cndmask_b32_e64 v19, v43, v31, s[28:29]
	v_pk_mul_f32 v[24:25], v[44:45], v[20:21] op_sel_hi:[0,1]
	v_max3_f32 v18, v18, s46, v19
	v_or_b32_e32 v19, 2, v42
	v_or_b32_e32 v20, 3, v42
	v_cmp_gt_i32_e64 s[30:31], s33, v19
	v_cmp_gt_i32_e64 s[34:35], s33, v20
	v_cndmask_b32_e64 v19, v43, v40, s[30:31]
	v_cndmask_b32_e64 v20, v43, v41, s[34:35]
	v_max3_f32 v18, v18, v19, v20
	v_or_b32_e32 v19, 16, v42
	v_or_b32_e32 v20, 17, v42
	v_cmp_gt_i32_e64 s[36:37], s33, v19
	v_cmp_gt_i32_e64 s[38:39], s33, v20
	v_cndmask_b32_e64 v19, v43, v38, s[36:37]
	v_cndmask_b32_e64 v20, v43, v39, s[38:39]
	;; [unrolled: 7-line block ×3, first 2 shown]
	v_max3_f32 v18, v18, v19, v20
	v_or_b32_e32 v19, 32, v42
	v_or_b32_e32 v20, 33, v42
	v_pk_mul_f32 v[34:35], v[44:45], v[34:35] op_sel_hi:[0,1]
	v_cmp_gt_i32_e64 s[16:17], s33, v19
	v_cmp_gt_i32_e64 s[18:19], s33, v20
	v_cndmask_b32_e64 v19, v43, v34, s[16:17]
	v_cndmask_b32_e64 v20, v43, v35, s[18:19]
	v_max3_f32 v18, v18, v19, v20
	v_or_b32_e32 v19, 34, v42
	v_or_b32_e32 v20, 35, v42
	v_cmp_gt_i32_e64 s[12:13], s33, v19
	v_cmp_gt_i32_e64 s[14:15], s33, v20
	v_cndmask_b32_e64 v19, v43, v22, s[12:13]
	v_cndmask_b32_e64 v20, v43, v23, s[14:15]
	v_max3_f32 v18, v18, v19, v20
	v_or_b32_e32 v19, 48, v42
	v_or_b32_e32 v20, 49, v42
	;; [unrolled: 7-line block ×3, first 2 shown]
	v_cmp_gt_i32_e32 vcc, s33, v19
	v_cmp_gt_i32_e64 s[2:3], s33, v20
	v_cndmask_b32_e32 v19, v43, v24, vcc
	v_cndmask_b32_e64 v20, v43, v25, s[2:3]
	v_max3_f32 v18, v18, v19, v20
	v_mbcnt_lo_u32_b32 v19, -1, 0
	v_mbcnt_hi_u32_b32 v19, -1, v19
	v_and_b32_e32 v20, 64, v19
	v_add_u32_e32 v20, 64, v20
	v_xor_b32_e32 v21, 32, v19
	v_cmp_lt_i32_e64 s[40:41], v21, v20
	v_cndmask_b32_e64 v21, v19, v21, s[40:41]
	v_lshlrev_b32_e32 v43, 2, v21
	ds_bpermute_b32 v21, v43, v18
	s_barrier
	s_waitcnt lgkmcnt(0)
	v_max_f32_e32 v21, v21, v21
	v_max_f32_e32 v18, v18, v21
	v_xor_b32_e32 v21, 16, v19
	v_cmp_lt_i32_e64 s[40:41], v21, v20
	v_cndmask_b32_e64 v19, v19, v21, s[40:41]
	v_lshlrev_b32_e32 v44, 2, v19
	ds_bpermute_b32 v19, v44, v18
	s_waitcnt lgkmcnt(0)
	v_max_f32_e32 v19, v19, v19
	v_max_f32_e32 v42, v18, v19
	v_sub_f32_e32 v21, v40, v42
	v_sub_f32_e32 v26, v41, v42
	v_mul_f32_e32 v21, 0x3fb8aa3b, v21
	v_mul_f32_e32 v26, 0x3fb8aa3b, v26
	v_sub_f32_e32 v18, v30, v42
	v_exp_f32_e32 v21, v21
	v_exp_f32_e32 v26, v26
	v_mul_f32_e32 v18, 0x3fb8aa3b, v18
	v_sub_f32_e32 v19, v31, v42
	v_exp_f32_e32 v18, v18
	v_mul_f32_e32 v19, 0x3fb8aa3b, v19
	v_exp_f32_e32 v19, v19
	v_cndmask_b32_e64 v28, 0, v21, s[30:31]
	v_cndmask_b32_e64 v29, 0, v26, s[34:35]
	v_sub_f32_e32 v21, v38, v42
	v_sub_f32_e32 v26, v39, v42
	v_mul_f32_e32 v21, 0x3fb8aa3b, v21
	v_mul_f32_e32 v26, 0x3fb8aa3b, v26
	v_cndmask_b32_e64 v18, 0, v18, s[26:27]
	v_exp_f32_e32 v21, v21
	v_exp_f32_e32 v26, v26
	v_add_f32_e32 v20, 0, v18
	v_cndmask_b32_e64 v19, 0, v19, s[28:29]
	v_add_f32_e32 v20, v20, v19
	v_add_f32_e32 v20, v20, v28
	;; [unrolled: 1-line block ×3, first 2 shown]
	v_cndmask_b32_e64 v20, 0, v21, s[36:37]
	v_cndmask_b32_e64 v21, 0, v26, s[38:39]
	v_sub_f32_e32 v26, v36, v42
	v_mul_f32_e32 v26, 0x3fb8aa3b, v26
	v_exp_f32_e32 v26, v26
	v_sub_f32_e32 v30, v37, v42
	v_add_f32_e32 v27, v27, v20
	v_mul_f32_e32 v30, 0x3fb8aa3b, v30
	v_exp_f32_e32 v31, v30
	v_add_f32_e32 v27, v27, v21
	v_cndmask_b32_e64 v30, 0, v26, s[20:21]
	v_add_f32_e32 v26, v27, v30
	v_sub_f32_e32 v27, v34, v42
	v_mul_f32_e32 v27, 0x3fb8aa3b, v27
	v_sub_f32_e32 v34, v35, v42
	v_exp_f32_e32 v27, v27
	v_mul_f32_e32 v34, 0x3fb8aa3b, v34
	v_sub_f32_e32 v22, v22, v42
	v_exp_f32_e32 v34, v34
	;; [unrolled: 3-line block ×3, first 2 shown]
	v_mul_f32_e32 v23, 0x3fb8aa3b, v23
	v_cndmask_b32_e64 v31, 0, v31, s[22:23]
	v_exp_f32_e32 v23, v23
	v_add_f32_e32 v35, v26, v31
	v_cndmask_b32_e64 v26, 0, v27, s[16:17]
	v_add_f32_e32 v35, v35, v26
	v_cndmask_b32_e64 v27, 0, v34, s[18:19]
	;; [unrolled: 2-line block ×4, first 2 shown]
	v_sub_f32_e32 v23, v32, v42
	v_mul_f32_e32 v23, 0x3fb8aa3b, v23
	v_sub_f32_e32 v32, v33, v42
	v_exp_f32_e32 v23, v23
	v_mul_f32_e32 v32, 0x3fb8aa3b, v32
	v_sub_f32_e32 v24, v24, v42
	v_exp_f32_e32 v32, v32
	;; [unrolled: 3-line block ×3, first 2 shown]
	v_mul_f32_e32 v25, 0x3fb8aa3b, v25
	v_exp_f32_e32 v25, v25
	v_add_f32_e32 v33, v22, v35
	v_cndmask_b32_e64 v22, 0, v23, s[8:9]
	v_add_f32_e32 v33, v33, v22
	v_cndmask_b32_e64 v23, 0, v32, s[10:11]
	v_add_f32_e32 v32, v33, v23
	v_cndmask_b32_e32 v24, 0, v24, vcc
	v_add_f32_e32 v32, v32, v24
	v_cndmask_b32_e64 v25, 0, v25, s[2:3]
	v_add_f32_e32 v32, v32, v25
	ds_bpermute_b32 v33, v43, v32
	v_cmp_gt_u32_e32 vcc, 16, v45
	s_waitcnt lgkmcnt(0)
	v_add_f32_e32 v32, v32, v33
	ds_bpermute_b32 v36, v44, v32
	v_lshlrev_b32_e32 v33, 2, v48
	s_and_saveexec_b64 s[2:3], vcc
	s_cbranch_execz .LBB859_397
; %bb.396:
	s_waitcnt lgkmcnt(0)
	v_add_f32_e32 v32, v32, v36
	v_lshl_or_b32 v36, v49, 6, v33
	ds_write2st64_b32 v36, v42, v32 offset1:1
.LBB859_397:
	s_or_b64 exec, exec, s[2:3]
	s_waitcnt lgkmcnt(0)
	s_barrier
	ds_read2_b32 v[36:37], v33 offset1:16
	ds_read2_b32 v[38:39], v33 offset0:32 offset1:48
	ds_read2_b32 v[40:41], v33 offset0:64 offset1:80
	s_mul_i32 s12, s45, 14
	s_waitcnt lgkmcnt(2)
	v_max3_f32 v32, v36, s46, v37
	s_waitcnt lgkmcnt(1)
	v_max3_f32 v32, v32, v38, v39
	v_sub_f32_e32 v36, v36, v32
	v_mul_f32_e32 v36, 0x3fb8aa3b, v36
	v_exp_f32_e32 v42, v36
	v_sub_f32_e32 v36, v37, v32
	v_mul_f32_e32 v36, 0x3fb8aa3b, v36
	v_exp_f32_e32 v43, v36
	v_sub_f32_e32 v36, v38, v32
	v_mul_f32_e32 v36, 0x3fb8aa3b, v36
	v_exp_f32_e32 v38, v36
	ds_read2_b32 v[36:37], v33 offset0:96 offset1:112
	v_sub_f32_e32 v33, v39, v32
	v_mul_f32_e32 v33, 0x3fb8aa3b, v33
	v_exp_f32_e32 v39, v33
	s_waitcnt lgkmcnt(1)
	v_fma_f32 v33, v42, v40, 0
	v_fmac_f32_e32 v33, v43, v41
	s_waitcnt lgkmcnt(0)
	v_fmac_f32_e32 v33, v38, v36
	v_fmac_f32_e32 v33, v39, v37
	v_add_f32_e32 v36, 0x358637bd, v33
	v_div_scale_f32 v37, s[2:3], v36, v36, 1.0
	v_rcp_f32_e32 v40, v37
	s_movk_i32 s2, 0x7fff
	s_mov_b32 s3, 0x7060302
	v_fma_f32 v41, -v37, v40, 1.0
	v_fmac_f32_e32 v40, v41, v40
	v_div_scale_f32 v41, vcc, 1.0, v36, 1.0
	v_mul_f32_e32 v44, v41, v40
	v_fma_f32 v45, -v37, v44, v41
	v_fmac_f32_e32 v44, v45, v40
	v_fma_f32 v37, -v37, v44, v41
	v_div_fmas_f32 v37, v37, v40, v44
	v_cmp_eq_u32_e32 vcc, 1, v49
	v_div_fixup_f32 v36, v37, v36, 1.0
	v_cndmask_b32_e32 v37, v42, v43, vcc
	v_cmp_eq_u32_e32 vcc, 2, v49
	v_cndmask_b32_e32 v37, v37, v38, vcc
	v_cmp_eq_u32_e32 vcc, 3, v49
	v_cndmask_b32_e32 v37, v37, v39, vcc
	v_mul_f32_e32 v36, v37, v36
	v_pk_mul_f32 v[18:19], v[36:37], v[18:19] op_sel_hi:[0,1]
	v_pk_mul_f32 v[28:29], v[36:37], v[28:29] op_sel_hi:[0,1]
	v_bfe_u32 v37, v19, 16, 1
	v_bfe_u32 v38, v18, 16, 1
	v_add3_u32 v18, v18, v38, s2
	v_add3_u32 v19, v19, v37, s2
	v_perm_b32 v38, v19, v18, s3
	v_bfe_u32 v18, v29, 16, 1
	v_bfe_u32 v19, v28, 16, 1
	v_add3_u32 v19, v28, v19, s2
	v_add3_u32 v18, v29, v18, s2
	v_perm_b32 v39, v18, v19, s3
	v_lshlrev_b32_e32 v18, 3, v1
	v_lshlrev_b32_e32 v19, 5, v48
	;; [unrolled: 1-line block ×3, first 2 shown]
	v_pk_mul_f32 v[20:21], v[36:37], v[20:21] op_sel_hi:[0,1]
	v_or3_b32 v28, v28, v19, v18
	v_bfe_u32 v18, v21, 16, 1
	v_bfe_u32 v29, v20, 16, 1
	v_pk_mul_f32 v[30:31], v[36:37], v[30:31] op_sel_hi:[0,1]
	v_add3_u32 v20, v20, v29, s2
	v_add3_u32 v18, v21, v18, s2
	v_perm_b32 v20, v18, v20, s3
	v_bfe_u32 v18, v31, 16, 1
	v_bfe_u32 v21, v30, 16, 1
	v_add3_u32 v21, v30, v21, s2
	v_add3_u32 v18, v31, v18, s2
	v_pk_mul_f32 v[26:27], v[36:37], v[26:27] op_sel_hi:[0,1]
	v_perm_b32 v21, v18, v21, s3
	v_bfe_u32 v18, v27, 16, 1
	v_bfe_u32 v29, v26, 16, 1
	s_barrier
	ds_write2st64_b64 v28, v[38:39], v[20:21] offset1:1
	v_pk_mul_f32 v[20:21], v[36:37], v[34:35] op_sel_hi:[0,1]
	v_add3_u32 v26, v26, v29, s2
	v_add3_u32 v18, v27, v18, s2
	v_perm_b32 v26, v18, v26, s3
	v_bfe_u32 v18, v21, 16, 1
	v_bfe_u32 v27, v20, 16, 1
	v_add3_u32 v20, v20, v27, s2
	v_add3_u32 v18, v21, v18, s2
	v_pk_mul_f32 v[22:23], v[36:37], v[22:23] op_sel_hi:[0,1]
	v_perm_b32 v27, v18, v20, s3
	v_pk_mul_f32 v[20:21], v[36:37], v[24:25] op_sel_hi:[0,1]
	v_bfe_u32 v18, v23, 16, 1
	v_bfe_u32 v24, v22, 16, 1
	v_add3_u32 v22, v22, v24, s2
	v_add3_u32 v18, v23, v18, s2
	v_perm_b32 v22, v18, v22, s3
	v_bfe_u32 v18, v21, 16, 1
	v_bfe_u32 v23, v20, 16, 1
	v_add3_u32 v20, v20, v23, s2
	v_add3_u32 v18, v21, v18, s2
	v_perm_b32 v23, v18, v20, s3
	v_cmp_gt_u32_e32 vcc, 14, v0
	ds_write2st64_b64 v28, v[26:27], v[22:23] offset0:2 offset1:3
	s_and_saveexec_b64 s[2:3], vcc
	s_cbranch_execz .LBB859_399
; %bb.398:
	v_add_co_u32_e32 v22, vcc, s25, v48
	v_addc_co_u32_e64 v23, s[14:15], 0, 0, vcc
	v_mov_b32_e32 v18, s12
	v_mov_b32_e32 v21, 0
	v_mad_u64_u32 v[22:23], s[14:15], s6, v18, v[22:23]
	v_mov_b32_e32 v20, s24
	s_load_dwordx4 s[8:11], s[4:5], 0x58
	s_mul_i32 s7, s7, s12
	v_mad_u64_u32 v[20:21], s[14:15], v22, s44, v[20:21]
	v_add_u32_e32 v23, s7, v23
	v_mov_b32_e32 v18, v21
	v_mad_u64_u32 v[22:23], s[14:15], v23, s44, v[18:19]
	v_mov_b32_e32 v21, v22
	v_lshlrev_b64 v[20:21], 2, v[20:21]
	s_waitcnt lgkmcnt(0)
	v_mov_b32_e32 v18, s11
	v_add_co_u32_e32 v22, vcc, s10, v20
	v_addc_co_u32_e32 v23, vcc, v18, v21, vcc
	v_mov_b32_e32 v18, s9
	v_add_co_u32_e32 v20, vcc, s8, v20
	v_addc_co_u32_e32 v21, vcc, v18, v21, vcc
	global_store_dword v[22:23], v32, off
	global_store_dword v[20:21], v33, off
.LBB859_399:
	s_or_b64 exec, exec, s[2:3]
	v_mov_b32_e32 v20, 0
	s_waitcnt vmcnt(3)
	v_cmp_ne_u16_sdwa s[8:9], v14, v20 src0_sel:BYTE_0 src1_sel:DWORD
	v_mov_b32_e32 v21, 0
	s_waitcnt lgkmcnt(0)
	s_barrier
	s_and_saveexec_b64 s[2:3], s[8:9]
	s_cbranch_execz .LBB859_405
; %bb.400:
	s_movk_i32 s7, 0x80
	v_cmp_ne_u16_sdwa s[10:11], v14, s7 src0_sel:BYTE_0 src1_sel:DWORD
	v_mov_b32_e32 v21, 0xffff8000
	s_and_saveexec_b64 s[8:9], s[10:11]
	s_cbranch_execz .LBB859_404
; %bb.401:
	s_movk_i32 s7, 0x7f
	v_and_b32_e32 v18, 0x7f, v14
	v_cmp_ne_u32_e32 vcc, s7, v18
	v_mov_b32_e32 v21, 0x7f80
	s_and_saveexec_b64 s[10:11], vcc
	s_cbranch_execz .LBB859_403
; %bb.402:
	v_and_b32_e32 v21, 7, v14
	v_ffbh_u32_e32 v22, v21
	v_min_u32_e32 v25, 32, v22
	v_subrev_u32_e32 v22, 28, v25
	v_lshlrev_b64 v[22:23], v22, v[14:15]
	v_lshrrev_b32_e32 v24, 3, v18
	v_sub_u32_e32 v23, 29, v25
	v_and_b32_e32 v22, 7, v22
	v_cmp_gt_u32_e32 vcc, 8, v18
	v_cndmask_b32_e32 v18, v24, v23, vcc
	v_cndmask_b32_e32 v21, v21, v22, vcc
	v_lshlrev_b32_e32 v22, 24, v14
	v_bfrev_b32_e32 v23, 60
	v_lshlrev_b32_e32 v21, 20, v21
	v_and_b32_e32 v22, 0x80000000, v22
	v_lshl_add_u32 v18, v18, 23, v23
	v_or3_b32 v18, v22, v18, v21
	v_lshrrev_b32_e32 v21, 16, v18
.LBB859_403:
	s_or_b64 exec, exec, s[10:11]
.LBB859_404:
	s_or_b64 exec, exec, s[8:9]
.LBB859_405:
	s_or_b64 exec, exec, s[2:3]
	v_lshrrev_b16_e32 v18, 8, v14
	v_cmp_ne_u16_e32 vcc, 0, v18
	s_and_saveexec_b64 s[2:3], vcc
	s_cbranch_execz .LBB859_411
; %bb.406:
	s_movk_i32 s7, 0x80
	v_cmp_ne_u16_e32 vcc, s7, v18
	v_mov_b32_e32 v20, 0xffff8000
	s_and_saveexec_b64 s[8:9], vcc
	s_cbranch_execz .LBB859_410
; %bb.407:
	s_movk_i32 s7, 0x7f
	v_and_b32_e32 v22, 0x7f, v18
	v_cmp_ne_u32_e32 vcc, s7, v22
	v_mov_b32_e32 v20, 0x7f80
	s_and_saveexec_b64 s[10:11], vcc
	s_cbranch_execz .LBB859_409
; %bb.408:
	v_and_b32_e32 v20, 7, v18
	v_ffbh_u32_e32 v24, v20
	v_min_u32_e32 v26, 32, v24
	v_subrev_u32_e32 v24, 28, v26
	v_lshlrev_b64 v[24:25], v24, v[18:19]
	v_lshrrev_b32_e32 v23, 3, v22
	v_sub_u32_e32 v18, 29, v26
	v_and_b32_e32 v24, 7, v24
	v_cmp_gt_u32_e32 vcc, 8, v22
	v_cndmask_b32_e32 v18, v23, v18, vcc
	v_cndmask_b32_e32 v20, v20, v24, vcc
	v_lshlrev_b32_e32 v22, 16, v14
	v_bfrev_b32_e32 v23, 60
	v_lshlrev_b32_e32 v20, 20, v20
	v_and_b32_e32 v22, 0x80000000, v22
	v_lshl_add_u32 v18, v18, 23, v23
	v_or3_b32 v18, v22, v18, v20
	v_lshrrev_b32_e32 v20, 16, v18
.LBB859_409:
	s_or_b64 exec, exec, s[10:11]
.LBB859_410:
	s_or_b64 exec, exec, s[8:9]
.LBB859_411:
	s_or_b64 exec, exec, s[2:3]
	s_movk_i32 s2, 0xff
	v_and_b32_sdwa v24, v14, s2 dst_sel:DWORD dst_unused:UNUSED_PAD src0_sel:WORD_1 src1_sel:DWORD
	v_lshrrev_b32_e32 v18, 16, v14
	v_cmp_ne_u16_e32 vcc, 0, v24
	v_mov_b32_e32 v22, 0
	v_mov_b32_e32 v23, 0
	s_and_saveexec_b64 s[2:3], vcc
	s_cbranch_execz .LBB859_417
; %bb.412:
	s_movk_i32 s7, 0x80
	v_cmp_ne_u16_e32 vcc, s7, v24
	v_mov_b32_e32 v23, 0xffff8000
	s_and_saveexec_b64 s[8:9], vcc
	s_cbranch_execz .LBB859_416
; %bb.413:
	v_bfe_u32 v24, v14, 16, 7
	s_movk_i32 s7, 0x7f
	v_cmp_ne_u32_e32 vcc, s7, v24
	v_mov_b32_e32 v23, 0x7f80
	s_and_saveexec_b64 s[10:11], vcc
	s_cbranch_execz .LBB859_415
; %bb.414:
	v_and_b32_e32 v23, 7, v18
	v_ffbh_u32_e32 v26, v23
	v_min_u32_e32 v29, 32, v26
	v_subrev_u32_e32 v26, 28, v29
	v_lshlrev_b64 v[26:27], v26, v[18:19]
	v_lshrrev_b32_e32 v25, 3, v24
	v_sub_u32_e32 v18, 29, v29
	v_and_b32_e32 v26, 7, v26
	v_cmp_gt_u32_e32 vcc, 8, v24
	v_mov_b32_e32 v24, 24
	v_cndmask_b32_e32 v18, v25, v18, vcc
	v_cndmask_b32_e32 v23, v23, v26, vcc
	v_lshlrev_b32_sdwa v24, v24, v14 dst_sel:DWORD dst_unused:UNUSED_PAD src0_sel:DWORD src1_sel:WORD_1
	v_bfrev_b32_e32 v25, 60
	v_lshlrev_b32_e32 v23, 20, v23
	v_and_b32_e32 v24, 0x80000000, v24
	v_lshl_add_u32 v18, v18, 23, v25
	v_or3_b32 v18, v24, v18, v23
	v_lshrrev_b32_e32 v23, 16, v18
.LBB859_415:
	s_or_b64 exec, exec, s[10:11]
.LBB859_416:
	s_or_b64 exec, exec, s[8:9]
.LBB859_417:
	s_or_b64 exec, exec, s[2:3]
	s_mov_b32 s2, 0xffffff
	v_cmp_lt_u32_e32 vcc, s2, v14
	s_and_saveexec_b64 s[2:3], vcc
	s_cbranch_execz .LBB859_423
; %bb.418:
	v_lshrrev_b32_e32 v18, 24, v14
	s_movk_i32 s7, 0x80
	v_cmp_ne_u32_e32 vcc, s7, v18
	v_mov_b32_e32 v22, 0xffff8000
	s_and_saveexec_b64 s[8:9], vcc
	s_cbranch_execz .LBB859_422
; %bb.419:
	v_bfe_u32 v14, v14, 24, 7
	s_movk_i32 s7, 0x7f
	v_cmp_ne_u32_e32 vcc, s7, v14
	v_mov_b32_e32 v22, 0x7f80
	s_and_saveexec_b64 s[10:11], vcc
	s_cbranch_execz .LBB859_421
; %bb.420:
	v_and_b32_e32 v22, 7, v18
	v_ffbh_u32_e32 v24, v22
	v_min_u32_e32 v27, 32, v24
	v_subrev_u32_e32 v24, 28, v27
	v_lshlrev_b64 v[24:25], v24, v[18:19]
	v_lshrrev_b32_e32 v26, 3, v14
	v_sub_u32_e32 v25, 29, v27
	v_and_b32_e32 v24, 7, v24
	v_cmp_gt_u32_e32 vcc, 8, v14
	v_cndmask_b32_e32 v14, v26, v25, vcc
	v_cndmask_b32_e32 v22, v22, v24, vcc
	v_lshlrev_b32_e32 v18, 24, v18
	v_bfrev_b32_e32 v24, 60
	v_lshlrev_b32_e32 v22, 20, v22
	v_and_b32_e32 v18, 0x80000000, v18
	v_lshl_add_u32 v14, v14, 23, v24
	v_or3_b32 v14, v18, v14, v22
	v_lshrrev_b32_e32 v22, 16, v14
.LBB859_421:
	s_or_b64 exec, exec, s[10:11]
.LBB859_422:
	s_or_b64 exec, exec, s[8:9]
.LBB859_423:
	s_or_b64 exec, exec, s[2:3]
	v_mov_b32_e32 v18, 0
	v_cmp_ne_u16_sdwa s[8:9], v15, v18 src0_sel:BYTE_0 src1_sel:DWORD
	v_mov_b32_e32 v24, 0
	s_and_saveexec_b64 s[2:3], s[8:9]
	s_cbranch_execz .LBB859_429
; %bb.424:
	s_movk_i32 s7, 0x80
	v_cmp_ne_u16_sdwa s[10:11], v15, s7 src0_sel:BYTE_0 src1_sel:DWORD
	v_mov_b32_e32 v24, 0xffff8000
	s_and_saveexec_b64 s[8:9], s[10:11]
	s_cbranch_execz .LBB859_428
; %bb.425:
	s_movk_i32 s7, 0x7f
	v_and_b32_e32 v14, 0x7f, v15
	v_cmp_ne_u32_e32 vcc, s7, v14
	v_mov_b32_e32 v24, 0x7f80
	s_and_saveexec_b64 s[10:11], vcc
	s_cbranch_execz .LBB859_427
; %bb.426:
	v_and_b32_e32 v26, 7, v15
	v_ffbh_u32_e32 v25, v26
	v_min_u32_e32 v29, 32, v25
	v_mov_b32_e32 v24, v15
	v_subrev_u32_e32 v25, 28, v29
	v_lshlrev_b64 v[24:25], v25, v[24:25]
	v_lshrrev_b32_e32 v27, 3, v14
	v_sub_u32_e32 v25, 29, v29
	v_and_b32_e32 v24, 7, v24
	v_cmp_gt_u32_e32 vcc, 8, v14
	v_cndmask_b32_e32 v14, v27, v25, vcc
	v_cndmask_b32_e32 v24, v26, v24, vcc
	v_lshlrev_b32_e32 v25, 24, v15
	v_bfrev_b32_e32 v26, 60
	v_lshlrev_b32_e32 v24, 20, v24
	v_and_b32_e32 v25, 0x80000000, v25
	v_lshl_add_u32 v14, v14, 23, v26
	v_or3_b32 v14, v25, v14, v24
	v_lshrrev_b32_e32 v24, 16, v14
.LBB859_427:
	s_or_b64 exec, exec, s[10:11]
.LBB859_428:
	s_or_b64 exec, exec, s[8:9]
.LBB859_429:
	s_or_b64 exec, exec, s[2:3]
	v_lshrrev_b16_e32 v14, 8, v15
	v_cmp_ne_u16_e32 vcc, 0, v14
	s_and_saveexec_b64 s[2:3], vcc
	s_cbranch_execz .LBB859_435
; %bb.430:
	s_movk_i32 s7, 0x80
	v_cmp_ne_u16_e32 vcc, s7, v14
	v_mov_b32_e32 v18, 0xffff8000
	s_and_saveexec_b64 s[8:9], vcc
	s_cbranch_execz .LBB859_434
; %bb.431:
	s_movk_i32 s7, 0x7f
	v_and_b32_e32 v25, 0x7f, v14
	v_cmp_ne_u32_e32 vcc, s7, v25
	v_mov_b32_e32 v18, 0x7f80
	s_and_saveexec_b64 s[10:11], vcc
	s_cbranch_execz .LBB859_433
; %bb.432:
	v_and_b32_e32 v18, 7, v14
	v_ffbh_u32_e32 v26, v18
	v_min_u32_e32 v30, 32, v26
	v_subrev_u32_e32 v26, 28, v30
	v_lshlrev_b64 v[26:27], v26, v[14:15]
	v_lshrrev_b32_e32 v29, 3, v25
	v_sub_u32_e32 v14, 29, v30
	v_and_b32_e32 v26, 7, v26
	v_cmp_gt_u32_e32 vcc, 8, v25
	v_cndmask_b32_e32 v14, v29, v14, vcc
	v_cndmask_b32_e32 v18, v18, v26, vcc
	v_lshlrev_b32_e32 v25, 16, v15
	v_bfrev_b32_e32 v26, 60
	v_lshlrev_b32_e32 v18, 20, v18
	v_and_b32_e32 v25, 0x80000000, v25
	v_lshl_add_u32 v14, v14, 23, v26
	v_or3_b32 v14, v25, v14, v18
	v_lshrrev_b32_e32 v18, 16, v14
.LBB859_433:
	s_or_b64 exec, exec, s[10:11]
.LBB859_434:
	s_or_b64 exec, exec, s[8:9]
.LBB859_435:
	s_or_b64 exec, exec, s[2:3]
	s_movk_i32 s2, 0xff
	v_and_b32_sdwa v27, v15, s2 dst_sel:DWORD dst_unused:UNUSED_PAD src0_sel:WORD_1 src1_sel:DWORD
	v_lshrrev_b32_e32 v14, 16, v15
	v_cmp_ne_u16_e32 vcc, 0, v27
	v_mov_b32_e32 v25, 0
	v_mov_b32_e32 v26, 0
	s_and_saveexec_b64 s[2:3], vcc
	s_cbranch_execz .LBB859_441
; %bb.436:
	s_movk_i32 s7, 0x80
	v_cmp_ne_u16_e32 vcc, s7, v27
	v_mov_b32_e32 v26, 0xffff8000
	s_and_saveexec_b64 s[8:9], vcc
	s_cbranch_execz .LBB859_440
; %bb.437:
	v_bfe_u32 v27, v15, 16, 7
	s_movk_i32 s7, 0x7f
	v_cmp_ne_u32_e32 vcc, s7, v27
	v_mov_b32_e32 v26, 0x7f80
	s_and_saveexec_b64 s[10:11], vcc
	s_cbranch_execz .LBB859_439
; %bb.438:
	v_and_b32_e32 v26, 7, v14
	v_ffbh_u32_e32 v30, v26
	v_min_u32_e32 v32, 32, v30
	v_subrev_u32_e32 v30, 28, v32
	v_lshlrev_b64 v[30:31], v30, v[14:15]
	v_lshrrev_b32_e32 v29, 3, v27
	v_sub_u32_e32 v14, 29, v32
	v_and_b32_e32 v30, 7, v30
	v_cmp_gt_u32_e32 vcc, 8, v27
	v_mov_b32_e32 v27, 24
	v_cndmask_b32_e32 v14, v29, v14, vcc
	v_cndmask_b32_e32 v26, v26, v30, vcc
	v_lshlrev_b32_sdwa v27, v27, v15 dst_sel:DWORD dst_unused:UNUSED_PAD src0_sel:DWORD src1_sel:WORD_1
	v_bfrev_b32_e32 v29, 60
	v_lshlrev_b32_e32 v26, 20, v26
	v_and_b32_e32 v27, 0x80000000, v27
	v_lshl_add_u32 v14, v14, 23, v29
	v_or3_b32 v14, v27, v14, v26
	v_lshrrev_b32_e32 v26, 16, v14
.LBB859_439:
	s_or_b64 exec, exec, s[10:11]
.LBB859_440:
	s_or_b64 exec, exec, s[8:9]
.LBB859_441:
	s_or_b64 exec, exec, s[2:3]
	s_mov_b32 s2, 0xffffff
	v_cmp_lt_u32_e32 vcc, s2, v15
	s_and_saveexec_b64 s[2:3], vcc
	s_cbranch_execz .LBB859_447
; %bb.442:
	v_lshrrev_b32_e32 v14, 24, v15
	s_movk_i32 s7, 0x80
	v_cmp_ne_u32_e32 vcc, s7, v14
	v_mov_b32_e32 v25, 0xffff8000
	s_and_saveexec_b64 s[8:9], vcc
	s_cbranch_execz .LBB859_446
; %bb.443:
	v_bfe_u32 v15, v15, 24, 7
	s_movk_i32 s7, 0x7f
	v_cmp_ne_u32_e32 vcc, s7, v15
	v_mov_b32_e32 v25, 0x7f80
	s_and_saveexec_b64 s[10:11], vcc
	s_cbranch_execz .LBB859_445
; %bb.444:
	v_and_b32_e32 v25, 7, v14
	v_ffbh_u32_e32 v29, v25
	v_min_u32_e32 v29, 32, v29
	v_subrev_u32_e32 v30, 28, v29
	v_lshlrev_b64 v[30:31], v30, v[14:15]
	v_lshrrev_b32_e32 v27, 3, v15
	v_sub_u32_e32 v29, 29, v29
	v_and_b32_e32 v30, 7, v30
	v_cmp_gt_u32_e32 vcc, 8, v15
	v_cndmask_b32_e32 v15, v27, v29, vcc
	v_cndmask_b32_e32 v25, v25, v30, vcc
	v_lshlrev_b32_e32 v14, 24, v14
	v_bfrev_b32_e32 v27, 60
	v_lshlrev_b32_e32 v25, 20, v25
	v_and_b32_e32 v14, 0x80000000, v14
	v_lshl_add_u32 v15, v15, 23, v27
	v_or3_b32 v14, v14, v15, v25
	v_lshrrev_b32_e32 v25, 16, v14
.LBB859_445:
	s_or_b64 exec, exec, s[10:11]
.LBB859_446:
	s_or_b64 exec, exec, s[8:9]
.LBB859_447:
	s_or_b64 exec, exec, s[2:3]
	s_mov_b32 s2, 0x5040100
	v_perm_b32 v15, v22, v23, s2
	v_lshl_or_b32 v22, v1, 9, v19
	v_perm_b32 v14, v20, v21, s2
	ds_read_b128 v[30:33], v22
	v_perm_b32 v19, v25, v26, s2
	v_perm_b32 v18, v18, v24, s2
	s_waitcnt lgkmcnt(0)
	v_mfma_f32_16x16x16bf16_1k v[34:37], v[14:15], v[30:31], 0
	v_mov_b32_e32 v15, 0
	v_cmp_ne_u16_sdwa s[8:9], v16, v15 src0_sel:BYTE_0 src1_sel:DWORD
	v_mov_b32_e32 v23, 0
	v_mfma_f32_16x16x16bf16_1k v[18:21], v[18:19], v[32:33], v[34:37]
	s_and_saveexec_b64 s[2:3], s[8:9]
	s_cbranch_execz .LBB859_453
; %bb.448:
	s_movk_i32 s7, 0x80
	v_cmp_ne_u16_sdwa s[10:11], v16, s7 src0_sel:BYTE_0 src1_sel:DWORD
	v_mov_b32_e32 v23, 0xffff8000
	s_and_saveexec_b64 s[8:9], s[10:11]
	s_cbranch_execz .LBB859_452
; %bb.449:
	s_movk_i32 s7, 0x7f
	v_and_b32_e32 v14, 0x7f, v16
	v_cmp_ne_u32_e32 vcc, s7, v14
	v_mov_b32_e32 v23, 0x7f80
	s_and_saveexec_b64 s[10:11], vcc
	s_cbranch_execz .LBB859_451
; %bb.450:
	v_and_b32_e32 v23, 7, v16
	v_ffbh_u32_e32 v24, v23
	v_min_u32_e32 v27, 32, v24
	v_subrev_u32_e32 v24, 28, v27
	v_lshlrev_b64 v[24:25], v24, v[16:17]
	v_lshrrev_b32_e32 v26, 3, v14
	v_sub_u32_e32 v25, 29, v27
	v_and_b32_e32 v24, 7, v24
	v_cmp_gt_u32_e32 vcc, 8, v14
	v_cndmask_b32_e32 v14, v26, v25, vcc
	v_cndmask_b32_e32 v23, v23, v24, vcc
	v_lshlrev_b32_e32 v24, 24, v16
	v_bfrev_b32_e32 v25, 60
	v_lshlrev_b32_e32 v23, 20, v23
	v_and_b32_e32 v24, 0x80000000, v24
	v_lshl_add_u32 v14, v14, 23, v25
	v_or3_b32 v14, v24, v14, v23
	v_lshrrev_b32_e32 v23, 16, v14
.LBB859_451:
	s_or_b64 exec, exec, s[10:11]
.LBB859_452:
	s_or_b64 exec, exec, s[8:9]
.LBB859_453:
	s_or_b64 exec, exec, s[2:3]
	v_lshrrev_b16_e32 v14, 8, v16
	v_cmp_ne_u16_e32 vcc, 0, v14
	s_and_saveexec_b64 s[2:3], vcc
	s_cbranch_execz .LBB859_459
; %bb.454:
	s_movk_i32 s7, 0x80
	v_cmp_ne_u16_e32 vcc, s7, v14
	v_mov_b32_e32 v15, 0xffff8000
	s_and_saveexec_b64 s[8:9], vcc
	s_cbranch_execz .LBB859_458
; %bb.455:
	s_movk_i32 s7, 0x7f
	v_and_b32_e32 v24, 0x7f, v14
	v_cmp_ne_u32_e32 vcc, s7, v24
	v_mov_b32_e32 v15, 0x7f80
	s_and_saveexec_b64 s[10:11], vcc
	s_cbranch_execz .LBB859_457
; %bb.456:
	v_and_b32_e32 v25, 7, v14
	v_ffbh_u32_e32 v15, v25
	v_min_u32_e32 v27, 32, v15
	v_subrev_u32_e32 v15, 28, v27
	v_lshlrev_b64 v[14:15], v15, v[14:15]
	v_lshrrev_b32_e32 v26, 3, v24
	v_sub_u32_e32 v15, 29, v27
	v_and_b32_e32 v14, 7, v14
	v_cmp_gt_u32_e32 vcc, 8, v24
	v_cndmask_b32_e32 v15, v26, v15, vcc
	v_cndmask_b32_e32 v14, v25, v14, vcc
	v_lshlrev_b32_e32 v24, 16, v16
	v_bfrev_b32_e32 v25, 60
	v_lshlrev_b32_e32 v14, 20, v14
	v_and_b32_e32 v24, 0x80000000, v24
	v_lshl_add_u32 v15, v15, 23, v25
	v_or3_b32 v14, v24, v15, v14
	v_lshrrev_b32_e32 v15, 16, v14
.LBB859_457:
	s_or_b64 exec, exec, s[10:11]
.LBB859_458:
	s_or_b64 exec, exec, s[8:9]
.LBB859_459:
	s_or_b64 exec, exec, s[2:3]
	s_movk_i32 s2, 0xff
	v_and_b32_sdwa v26, v16, s2 dst_sel:DWORD dst_unused:UNUSED_PAD src0_sel:WORD_1 src1_sel:DWORD
	v_lshrrev_b32_e32 v14, 16, v16
	v_cmp_ne_u16_e32 vcc, 0, v26
	v_mov_b32_e32 v24, 0
	v_mov_b32_e32 v25, 0
	s_and_saveexec_b64 s[2:3], vcc
	s_cbranch_execz .LBB859_465
; %bb.460:
	s_movk_i32 s7, 0x80
	v_cmp_ne_u16_e32 vcc, s7, v26
	v_mov_b32_e32 v25, 0xffff8000
	s_and_saveexec_b64 s[8:9], vcc
	s_cbranch_execz .LBB859_464
; %bb.461:
	v_bfe_u32 v26, v16, 16, 7
	s_movk_i32 s7, 0x7f
	v_cmp_ne_u32_e32 vcc, s7, v26
	v_mov_b32_e32 v25, 0x7f80
	s_and_saveexec_b64 s[10:11], vcc
	s_cbranch_execz .LBB859_463
; %bb.462:
	v_and_b32_e32 v25, 7, v14
	v_ffbh_u32_e32 v29, v25
	v_min_u32_e32 v29, 32, v29
	v_subrev_u32_e32 v30, 28, v29
	v_lshlrev_b64 v[30:31], v30, v[14:15]
	v_lshrrev_b32_e32 v27, 3, v26
	v_sub_u32_e32 v14, 29, v29
	v_and_b32_e32 v29, 7, v30
	v_cmp_gt_u32_e32 vcc, 8, v26
	v_mov_b32_e32 v26, 24
	v_cndmask_b32_e32 v14, v27, v14, vcc
	v_cndmask_b32_e32 v25, v25, v29, vcc
	v_lshlrev_b32_sdwa v26, v26, v16 dst_sel:DWORD dst_unused:UNUSED_PAD src0_sel:DWORD src1_sel:WORD_1
	v_bfrev_b32_e32 v27, 60
	v_lshlrev_b32_e32 v25, 20, v25
	v_and_b32_e32 v26, 0x80000000, v26
	v_lshl_add_u32 v14, v14, 23, v27
	v_or3_b32 v14, v26, v14, v25
	v_lshrrev_b32_e32 v25, 16, v14
.LBB859_463:
	s_or_b64 exec, exec, s[10:11]
.LBB859_464:
	s_or_b64 exec, exec, s[8:9]
.LBB859_465:
	s_or_b64 exec, exec, s[2:3]
	s_mov_b32 s2, 0xffffff
	v_cmp_lt_u32_e32 vcc, s2, v16
	s_and_saveexec_b64 s[2:3], vcc
	s_cbranch_execz .LBB859_471
; %bb.466:
	v_lshrrev_b32_e32 v14, 24, v16
	s_movk_i32 s7, 0x80
	v_cmp_ne_u32_e32 vcc, s7, v14
	v_mov_b32_e32 v24, 0xffff8000
	s_and_saveexec_b64 s[8:9], vcc
	s_cbranch_execz .LBB859_470
; %bb.467:
	v_bfe_u32 v16, v16, 24, 7
	s_movk_i32 s7, 0x7f
	v_cmp_ne_u32_e32 vcc, s7, v16
	v_mov_b32_e32 v24, 0x7f80
	s_and_saveexec_b64 s[10:11], vcc
	s_cbranch_execz .LBB859_469
; %bb.468:
	v_and_b32_e32 v24, 7, v14
	v_ffbh_u32_e32 v26, v24
	v_min_u32_e32 v30, 32, v26
	v_subrev_u32_e32 v26, 28, v30
	v_lshlrev_b64 v[26:27], v26, v[14:15]
	v_lshrrev_b32_e32 v29, 3, v16
	v_sub_u32_e32 v27, 29, v30
	v_and_b32_e32 v26, 7, v26
	v_cmp_gt_u32_e32 vcc, 8, v16
	v_cndmask_b32_e32 v16, v29, v27, vcc
	v_cndmask_b32_e32 v24, v24, v26, vcc
	v_lshlrev_b32_e32 v14, 24, v14
	v_bfrev_b32_e32 v26, 60
	v_lshlrev_b32_e32 v24, 20, v24
	v_and_b32_e32 v14, 0x80000000, v14
	v_lshl_add_u32 v16, v16, 23, v26
	v_or3_b32 v14, v14, v16, v24
	v_lshrrev_b32_e32 v24, 16, v14
.LBB859_469:
	s_or_b64 exec, exec, s[10:11]
.LBB859_470:
	s_or_b64 exec, exec, s[8:9]
.LBB859_471:
	s_or_b64 exec, exec, s[2:3]
	v_mov_b32_e32 v16, 0
	v_cmp_ne_u16_sdwa s[8:9], v17, v16 src0_sel:BYTE_0 src1_sel:DWORD
	v_mov_b32_e32 v26, 0
	s_and_saveexec_b64 s[2:3], s[8:9]
	s_cbranch_execz .LBB859_477
; %bb.472:
	s_movk_i32 s7, 0x80
	v_cmp_ne_u16_sdwa s[10:11], v17, s7 src0_sel:BYTE_0 src1_sel:DWORD
	v_mov_b32_e32 v26, 0xffff8000
	s_and_saveexec_b64 s[8:9], s[10:11]
	s_cbranch_execz .LBB859_476
; %bb.473:
	s_movk_i32 s7, 0x7f
	v_and_b32_e32 v14, 0x7f, v17
	v_cmp_ne_u32_e32 vcc, s7, v14
	v_mov_b32_e32 v26, 0x7f80
	s_and_saveexec_b64 s[10:11], vcc
	s_cbranch_execz .LBB859_475
; %bb.474:
	v_and_b32_e32 v29, 7, v17
	v_ffbh_u32_e32 v27, v29
	v_min_u32_e32 v31, 32, v27
	v_mov_b32_e32 v26, v17
	v_subrev_u32_e32 v27, 28, v31
	v_lshlrev_b64 v[26:27], v27, v[26:27]
	v_lshrrev_b32_e32 v30, 3, v14
	v_sub_u32_e32 v27, 29, v31
	v_and_b32_e32 v26, 7, v26
	v_cmp_gt_u32_e32 vcc, 8, v14
	v_cndmask_b32_e32 v14, v30, v27, vcc
	v_cndmask_b32_e32 v26, v29, v26, vcc
	v_lshlrev_b32_e32 v27, 24, v17
	v_bfrev_b32_e32 v29, 60
	v_lshlrev_b32_e32 v26, 20, v26
	v_and_b32_e32 v27, 0x80000000, v27
	v_lshl_add_u32 v14, v14, 23, v29
	v_or3_b32 v14, v27, v14, v26
	v_lshrrev_b32_e32 v26, 16, v14
.LBB859_475:
	s_or_b64 exec, exec, s[10:11]
.LBB859_476:
	s_or_b64 exec, exec, s[8:9]
.LBB859_477:
	s_or_b64 exec, exec, s[2:3]
	v_lshrrev_b16_e32 v14, 8, v17
	v_cmp_ne_u16_e32 vcc, 0, v14
	s_and_saveexec_b64 s[2:3], vcc
	s_cbranch_execz .LBB859_483
; %bb.478:
	s_movk_i32 s7, 0x80
	v_cmp_ne_u16_e32 vcc, s7, v14
	v_mov_b32_e32 v16, 0xffff8000
	s_and_saveexec_b64 s[8:9], vcc
	s_cbranch_execz .LBB859_482
; %bb.479:
	s_movk_i32 s7, 0x7f
	v_and_b32_e32 v27, 0x7f, v14
	v_cmp_ne_u32_e32 vcc, s7, v27
	v_mov_b32_e32 v16, 0x7f80
	s_and_saveexec_b64 s[10:11], vcc
	s_cbranch_execz .LBB859_481
; %bb.480:
	v_and_b32_e32 v16, 7, v14
	v_ffbh_u32_e32 v30, v16
	v_min_u32_e32 v32, 32, v30
	v_subrev_u32_e32 v30, 28, v32
	v_lshlrev_b64 v[30:31], v30, v[14:15]
	v_lshrrev_b32_e32 v29, 3, v27
	v_sub_u32_e32 v14, 29, v32
	v_and_b32_e32 v30, 7, v30
	v_cmp_gt_u32_e32 vcc, 8, v27
	v_cndmask_b32_e32 v14, v29, v14, vcc
	v_cndmask_b32_e32 v16, v16, v30, vcc
	v_lshlrev_b32_e32 v27, 16, v17
	v_bfrev_b32_e32 v29, 60
	v_lshlrev_b32_e32 v16, 20, v16
	v_and_b32_e32 v27, 0x80000000, v27
	v_lshl_add_u32 v14, v14, 23, v29
	v_or3_b32 v14, v27, v14, v16
	v_lshrrev_b32_e32 v16, 16, v14
.LBB859_481:
	s_or_b64 exec, exec, s[10:11]
.LBB859_482:
	s_or_b64 exec, exec, s[8:9]
.LBB859_483:
	s_or_b64 exec, exec, s[2:3]
	s_movk_i32 s2, 0xff
	v_and_b32_sdwa v30, v17, s2 dst_sel:DWORD dst_unused:UNUSED_PAD src0_sel:WORD_1 src1_sel:DWORD
	v_lshrrev_b32_e32 v14, 16, v17
	v_cmp_ne_u16_e32 vcc, 0, v30
	v_mov_b32_e32 v27, 0
	v_mov_b32_e32 v29, 0
	s_and_saveexec_b64 s[2:3], vcc
	s_cbranch_execz .LBB859_489
; %bb.484:
	s_movk_i32 s7, 0x80
	v_cmp_ne_u16_e32 vcc, s7, v30
	v_mov_b32_e32 v29, 0xffff8000
	s_and_saveexec_b64 s[8:9], vcc
	s_cbranch_execz .LBB859_488
; %bb.485:
	v_bfe_u32 v30, v17, 16, 7
	s_movk_i32 s7, 0x7f
	v_cmp_ne_u32_e32 vcc, s7, v30
	v_mov_b32_e32 v29, 0x7f80
	s_and_saveexec_b64 s[10:11], vcc
	s_cbranch_execz .LBB859_487
; %bb.486:
	v_and_b32_e32 v29, 7, v14
	v_ffbh_u32_e32 v32, v29
	v_min_u32_e32 v34, 32, v32
	v_subrev_u32_e32 v32, 28, v34
	v_lshlrev_b64 v[32:33], v32, v[14:15]
	v_lshrrev_b32_e32 v31, 3, v30
	v_sub_u32_e32 v14, 29, v34
	v_and_b32_e32 v32, 7, v32
	v_cmp_gt_u32_e32 vcc, 8, v30
	v_mov_b32_e32 v30, 24
	v_cndmask_b32_e32 v14, v31, v14, vcc
	v_cndmask_b32_e32 v29, v29, v32, vcc
	v_lshlrev_b32_sdwa v30, v30, v17 dst_sel:DWORD dst_unused:UNUSED_PAD src0_sel:DWORD src1_sel:WORD_1
	v_bfrev_b32_e32 v31, 60
	v_lshlrev_b32_e32 v29, 20, v29
	v_and_b32_e32 v30, 0x80000000, v30
	v_lshl_add_u32 v14, v14, 23, v31
	v_or3_b32 v14, v30, v14, v29
	v_lshrrev_b32_e32 v29, 16, v14
.LBB859_487:
	s_or_b64 exec, exec, s[10:11]
.LBB859_488:
	s_or_b64 exec, exec, s[8:9]
.LBB859_489:
	s_or_b64 exec, exec, s[2:3]
	s_mov_b32 s2, 0xffffff
	v_cmp_lt_u32_e32 vcc, s2, v17
	s_and_saveexec_b64 s[2:3], vcc
	s_cbranch_execz .LBB859_495
; %bb.490:
	v_lshrrev_b32_e32 v14, 24, v17
	s_movk_i32 s7, 0x80
	v_cmp_ne_u32_e32 vcc, s7, v14
	v_mov_b32_e32 v27, 0xffff8000
	s_and_saveexec_b64 s[8:9], vcc
	s_cbranch_execz .LBB859_494
; %bb.491:
	v_bfe_u32 v17, v17, 24, 7
	s_movk_i32 s7, 0x7f
	v_cmp_ne_u32_e32 vcc, s7, v17
	v_mov_b32_e32 v27, 0x7f80
	s_and_saveexec_b64 s[10:11], vcc
	s_cbranch_execz .LBB859_493
; %bb.492:
	v_and_b32_e32 v27, 7, v14
	v_ffbh_u32_e32 v30, v27
	v_min_u32_e32 v33, 32, v30
	v_subrev_u32_e32 v30, 28, v33
	v_lshlrev_b64 v[30:31], v30, v[14:15]
	v_lshrrev_b32_e32 v32, 3, v17
	v_sub_u32_e32 v31, 29, v33
	v_and_b32_e32 v30, 7, v30
	v_cmp_gt_u32_e32 vcc, 8, v17
	v_cndmask_b32_e32 v17, v32, v31, vcc
	v_cndmask_b32_e32 v27, v27, v30, vcc
	v_lshlrev_b32_e32 v14, 24, v14
	v_bfrev_b32_e32 v30, 60
	v_lshlrev_b32_e32 v27, 20, v27
	v_and_b32_e32 v14, 0x80000000, v14
	v_lshl_add_u32 v17, v17, 23, v30
	v_or3_b32 v14, v14, v17, v27
	v_lshrrev_b32_e32 v27, 16, v14
.LBB859_493:
	s_or_b64 exec, exec, s[10:11]
.LBB859_494:
	s_or_b64 exec, exec, s[8:9]
.LBB859_495:
	s_or_b64 exec, exec, s[2:3]
	s_mov_b32 s2, 0x5040100
	v_perm_b32 v25, v24, v25, s2
	v_perm_b32 v24, v15, v23, s2
	ds_read_b128 v[30:33], v22 offset:16
	v_perm_b32 v15, v27, v29, s2
	v_perm_b32 v14, v16, v26, s2
	s_waitcnt lgkmcnt(0)
	v_mfma_f32_16x16x16bf16_1k v[34:37], v[24:25], v[30:31], v[18:21]
	s_nop 6
	v_mov_b32_e32 v19, 0
	s_waitcnt vmcnt(2)
	v_cmp_ne_u16_sdwa s[8:9], v10, v19 src0_sel:BYTE_0 src1_sel:DWORD
	v_mfma_f32_16x16x16bf16_1k v[14:17], v[14:15], v[32:33], v[34:37]
	v_mov_b32_e32 v20, 0
	s_and_saveexec_b64 s[2:3], s[8:9]
	s_cbranch_execz .LBB859_501
; %bb.496:
	s_movk_i32 s7, 0x80
	v_cmp_ne_u16_sdwa s[10:11], v10, s7 src0_sel:BYTE_0 src1_sel:DWORD
	v_mov_b32_e32 v20, 0xffff8000
	s_and_saveexec_b64 s[8:9], s[10:11]
	s_cbranch_execz .LBB859_500
; %bb.497:
	s_movk_i32 s7, 0x7f
	v_and_b32_e32 v18, 0x7f, v10
	v_cmp_ne_u32_e32 vcc, s7, v18
	v_mov_b32_e32 v20, 0x7f80
	s_and_saveexec_b64 s[10:11], vcc
	s_cbranch_execz .LBB859_499
; %bb.498:
	v_and_b32_e32 v23, 7, v10
	v_ffbh_u32_e32 v20, v23
	v_min_u32_e32 v25, 32, v20
	v_subrev_u32_e32 v20, 28, v25
	v_lshlrev_b64 v[20:21], v20, v[10:11]
	v_lshrrev_b32_e32 v24, 3, v18
	v_sub_u32_e32 v21, 29, v25
	v_and_b32_e32 v20, 7, v20
	v_cmp_gt_u32_e32 vcc, 8, v18
	v_cndmask_b32_e32 v18, v24, v21, vcc
	v_cndmask_b32_e32 v20, v23, v20, vcc
	v_lshlrev_b32_e32 v21, 24, v10
	v_bfrev_b32_e32 v23, 60
	v_lshlrev_b32_e32 v20, 20, v20
	v_and_b32_e32 v21, 0x80000000, v21
	v_lshl_add_u32 v18, v18, 23, v23
	v_or3_b32 v18, v21, v18, v20
	v_lshrrev_b32_e32 v20, 16, v18
.LBB859_499:
	s_or_b64 exec, exec, s[10:11]
.LBB859_500:
	s_or_b64 exec, exec, s[8:9]
.LBB859_501:
	s_or_b64 exec, exec, s[2:3]
	v_lshrrev_b16_e32 v18, 8, v10
	v_cmp_ne_u16_e32 vcc, 0, v18
	s_and_saveexec_b64 s[2:3], vcc
	s_cbranch_execz .LBB859_507
; %bb.502:
	s_movk_i32 s7, 0x80
	v_cmp_ne_u16_e32 vcc, s7, v18
	v_mov_b32_e32 v19, 0xffff8000
	s_and_saveexec_b64 s[8:9], vcc
	s_cbranch_execz .LBB859_506
; %bb.503:
	s_movk_i32 s7, 0x7f
	v_and_b32_e32 v21, 0x7f, v18
	v_cmp_ne_u32_e32 vcc, s7, v21
	v_mov_b32_e32 v19, 0x7f80
	s_and_saveexec_b64 s[10:11], vcc
	s_cbranch_execz .LBB859_505
; %bb.504:
	v_and_b32_e32 v23, 7, v18
	v_ffbh_u32_e32 v19, v23
	v_min_u32_e32 v25, 32, v19
	v_subrev_u32_e32 v19, 28, v25
	v_lshlrev_b64 v[18:19], v19, v[18:19]
	v_lshrrev_b32_e32 v24, 3, v21
	v_sub_u32_e32 v19, 29, v25
	v_and_b32_e32 v18, 7, v18
	v_cmp_gt_u32_e32 vcc, 8, v21
	v_cndmask_b32_e32 v19, v24, v19, vcc
	v_cndmask_b32_e32 v18, v23, v18, vcc
	v_lshlrev_b32_e32 v21, 16, v10
	v_bfrev_b32_e32 v23, 60
	v_lshlrev_b32_e32 v18, 20, v18
	v_and_b32_e32 v21, 0x80000000, v21
	v_lshl_add_u32 v19, v19, 23, v23
	v_or3_b32 v18, v21, v19, v18
	v_lshrrev_b32_e32 v19, 16, v18
.LBB859_505:
	s_or_b64 exec, exec, s[10:11]
.LBB859_506:
	s_or_b64 exec, exec, s[8:9]
.LBB859_507:
	s_or_b64 exec, exec, s[2:3]
	s_movk_i32 s2, 0xff
	v_and_b32_sdwa v24, v10, s2 dst_sel:DWORD dst_unused:UNUSED_PAD src0_sel:WORD_1 src1_sel:DWORD
	v_lshrrev_b32_e32 v18, 16, v10
	v_cmp_ne_u16_e32 vcc, 0, v24
	v_mov_b32_e32 v21, 0
	v_mov_b32_e32 v23, 0
	s_and_saveexec_b64 s[2:3], vcc
	s_cbranch_execz .LBB859_513
; %bb.508:
	s_movk_i32 s7, 0x80
	v_cmp_ne_u16_e32 vcc, s7, v24
	v_mov_b32_e32 v23, 0xffff8000
	s_and_saveexec_b64 s[8:9], vcc
	s_cbranch_execz .LBB859_512
; %bb.509:
	v_bfe_u32 v24, v10, 16, 7
	s_movk_i32 s7, 0x7f
	v_cmp_ne_u32_e32 vcc, s7, v24
	v_mov_b32_e32 v23, 0x7f80
	s_and_saveexec_b64 s[10:11], vcc
	s_cbranch_execz .LBB859_511
; %bb.510:
	v_and_b32_e32 v23, 7, v18
	v_ffbh_u32_e32 v26, v23
	v_min_u32_e32 v29, 32, v26
	v_subrev_u32_e32 v26, 28, v29
	v_lshlrev_b64 v[26:27], v26, v[18:19]
	v_lshrrev_b32_e32 v25, 3, v24
	v_sub_u32_e32 v18, 29, v29
	v_and_b32_e32 v26, 7, v26
	v_cmp_gt_u32_e32 vcc, 8, v24
	v_mov_b32_e32 v24, 24
	v_cndmask_b32_e32 v18, v25, v18, vcc
	v_cndmask_b32_e32 v23, v23, v26, vcc
	v_lshlrev_b32_sdwa v24, v24, v10 dst_sel:DWORD dst_unused:UNUSED_PAD src0_sel:DWORD src1_sel:WORD_1
	v_bfrev_b32_e32 v25, 60
	v_lshlrev_b32_e32 v23, 20, v23
	v_and_b32_e32 v24, 0x80000000, v24
	v_lshl_add_u32 v18, v18, 23, v25
	v_or3_b32 v18, v24, v18, v23
	v_lshrrev_b32_e32 v23, 16, v18
.LBB859_511:
	s_or_b64 exec, exec, s[10:11]
.LBB859_512:
	s_or_b64 exec, exec, s[8:9]
.LBB859_513:
	s_or_b64 exec, exec, s[2:3]
	s_mov_b32 s2, 0xffffff
	v_cmp_lt_u32_e32 vcc, s2, v10
	s_and_saveexec_b64 s[2:3], vcc
	s_cbranch_execz .LBB859_519
; %bb.514:
	v_lshrrev_b32_e32 v18, 24, v10
	s_movk_i32 s7, 0x80
	v_cmp_ne_u32_e32 vcc, s7, v18
	v_mov_b32_e32 v21, 0xffff8000
	s_and_saveexec_b64 s[8:9], vcc
	s_cbranch_execz .LBB859_518
; %bb.515:
	v_bfe_u32 v10, v10, 24, 7
	s_movk_i32 s7, 0x7f
	v_cmp_ne_u32_e32 vcc, s7, v10
	v_mov_b32_e32 v21, 0x7f80
	s_and_saveexec_b64 s[10:11], vcc
	s_cbranch_execz .LBB859_517
; %bb.516:
	v_and_b32_e32 v21, 7, v18
	v_ffbh_u32_e32 v24, v21
	v_min_u32_e32 v27, 32, v24
	v_subrev_u32_e32 v24, 28, v27
	v_lshlrev_b64 v[24:25], v24, v[18:19]
	v_lshrrev_b32_e32 v26, 3, v10
	v_sub_u32_e32 v25, 29, v27
	v_and_b32_e32 v24, 7, v24
	v_cmp_gt_u32_e32 vcc, 8, v10
	v_cndmask_b32_e32 v10, v26, v25, vcc
	v_cndmask_b32_e32 v21, v21, v24, vcc
	v_lshlrev_b32_e32 v18, 24, v18
	v_bfrev_b32_e32 v24, 60
	v_lshlrev_b32_e32 v21, 20, v21
	v_and_b32_e32 v18, 0x80000000, v18
	v_lshl_add_u32 v10, v10, 23, v24
	v_or3_b32 v10, v18, v10, v21
	v_lshrrev_b32_e32 v21, 16, v10
.LBB859_517:
	s_or_b64 exec, exec, s[10:11]
.LBB859_518:
	s_or_b64 exec, exec, s[8:9]
.LBB859_519:
	s_or_b64 exec, exec, s[2:3]
	v_mov_b32_e32 v18, 0
	v_cmp_ne_u16_sdwa s[8:9], v11, v18 src0_sel:BYTE_0 src1_sel:DWORD
	v_mov_b32_e32 v24, 0
	s_and_saveexec_b64 s[2:3], s[8:9]
	s_cbranch_execz .LBB859_525
; %bb.520:
	s_movk_i32 s7, 0x80
	v_cmp_ne_u16_sdwa s[10:11], v11, s7 src0_sel:BYTE_0 src1_sel:DWORD
	v_mov_b32_e32 v24, 0xffff8000
	s_and_saveexec_b64 s[8:9], s[10:11]
	s_cbranch_execz .LBB859_524
; %bb.521:
	s_movk_i32 s7, 0x7f
	v_and_b32_e32 v10, 0x7f, v11
	v_cmp_ne_u32_e32 vcc, s7, v10
	v_mov_b32_e32 v24, 0x7f80
	s_and_saveexec_b64 s[10:11], vcc
	s_cbranch_execz .LBB859_523
; %bb.522:
	v_and_b32_e32 v26, 7, v11
	v_ffbh_u32_e32 v25, v26
	v_min_u32_e32 v29, 32, v25
	v_mov_b32_e32 v24, v11
	v_subrev_u32_e32 v25, 28, v29
	v_lshlrev_b64 v[24:25], v25, v[24:25]
	v_lshrrev_b32_e32 v27, 3, v10
	v_sub_u32_e32 v25, 29, v29
	v_and_b32_e32 v24, 7, v24
	v_cmp_gt_u32_e32 vcc, 8, v10
	v_cndmask_b32_e32 v10, v27, v25, vcc
	v_cndmask_b32_e32 v24, v26, v24, vcc
	v_lshlrev_b32_e32 v25, 24, v11
	v_bfrev_b32_e32 v26, 60
	v_lshlrev_b32_e32 v24, 20, v24
	v_and_b32_e32 v25, 0x80000000, v25
	v_lshl_add_u32 v10, v10, 23, v26
	v_or3_b32 v10, v25, v10, v24
	v_lshrrev_b32_e32 v24, 16, v10
.LBB859_523:
	s_or_b64 exec, exec, s[10:11]
.LBB859_524:
	s_or_b64 exec, exec, s[8:9]
.LBB859_525:
	s_or_b64 exec, exec, s[2:3]
	v_lshrrev_b16_e32 v10, 8, v11
	v_cmp_ne_u16_e32 vcc, 0, v10
	s_and_saveexec_b64 s[2:3], vcc
	s_cbranch_execz .LBB859_531
; %bb.526:
	s_movk_i32 s7, 0x80
	v_cmp_ne_u16_e32 vcc, s7, v10
	v_mov_b32_e32 v18, 0xffff8000
	s_and_saveexec_b64 s[8:9], vcc
	s_cbranch_execz .LBB859_530
; %bb.527:
	s_movk_i32 s7, 0x7f
	v_and_b32_e32 v25, 0x7f, v10
	v_cmp_ne_u32_e32 vcc, s7, v25
	v_mov_b32_e32 v18, 0x7f80
	s_and_saveexec_b64 s[10:11], vcc
	s_cbranch_execz .LBB859_529
; %bb.528:
	v_and_b32_e32 v18, 7, v10
	v_ffbh_u32_e32 v26, v18
	v_min_u32_e32 v30, 32, v26
	v_subrev_u32_e32 v26, 28, v30
	v_lshlrev_b64 v[26:27], v26, v[10:11]
	v_lshrrev_b32_e32 v29, 3, v25
	v_sub_u32_e32 v10, 29, v30
	v_and_b32_e32 v26, 7, v26
	v_cmp_gt_u32_e32 vcc, 8, v25
	v_cndmask_b32_e32 v10, v29, v10, vcc
	v_cndmask_b32_e32 v18, v18, v26, vcc
	v_lshlrev_b32_e32 v25, 16, v11
	v_bfrev_b32_e32 v26, 60
	v_lshlrev_b32_e32 v18, 20, v18
	v_and_b32_e32 v25, 0x80000000, v25
	v_lshl_add_u32 v10, v10, 23, v26
	v_or3_b32 v10, v25, v10, v18
	v_lshrrev_b32_e32 v18, 16, v10
.LBB859_529:
	s_or_b64 exec, exec, s[10:11]
.LBB859_530:
	s_or_b64 exec, exec, s[8:9]
.LBB859_531:
	s_or_b64 exec, exec, s[2:3]
	s_movk_i32 s2, 0xff
	v_and_b32_sdwa v27, v11, s2 dst_sel:DWORD dst_unused:UNUSED_PAD src0_sel:WORD_1 src1_sel:DWORD
	v_lshrrev_b32_e32 v10, 16, v11
	v_cmp_ne_u16_e32 vcc, 0, v27
	v_mov_b32_e32 v25, 0
	v_mov_b32_e32 v26, 0
	s_and_saveexec_b64 s[2:3], vcc
	s_cbranch_execz .LBB859_537
; %bb.532:
	s_movk_i32 s7, 0x80
	v_cmp_ne_u16_e32 vcc, s7, v27
	v_mov_b32_e32 v26, 0xffff8000
	s_and_saveexec_b64 s[8:9], vcc
	s_cbranch_execz .LBB859_536
; %bb.533:
	v_bfe_u32 v27, v11, 16, 7
	s_movk_i32 s7, 0x7f
	v_cmp_ne_u32_e32 vcc, s7, v27
	v_mov_b32_e32 v26, 0x7f80
	s_and_saveexec_b64 s[10:11], vcc
	s_cbranch_execz .LBB859_535
; %bb.534:
	v_and_b32_e32 v26, 7, v10
	v_ffbh_u32_e32 v30, v26
	v_min_u32_e32 v32, 32, v30
	v_subrev_u32_e32 v30, 28, v32
	v_lshlrev_b64 v[30:31], v30, v[10:11]
	v_lshrrev_b32_e32 v29, 3, v27
	v_sub_u32_e32 v10, 29, v32
	v_and_b32_e32 v30, 7, v30
	v_cmp_gt_u32_e32 vcc, 8, v27
	v_mov_b32_e32 v27, 24
	v_cndmask_b32_e32 v10, v29, v10, vcc
	v_cndmask_b32_e32 v26, v26, v30, vcc
	v_lshlrev_b32_sdwa v27, v27, v11 dst_sel:DWORD dst_unused:UNUSED_PAD src0_sel:DWORD src1_sel:WORD_1
	v_bfrev_b32_e32 v29, 60
	v_lshlrev_b32_e32 v26, 20, v26
	v_and_b32_e32 v27, 0x80000000, v27
	v_lshl_add_u32 v10, v10, 23, v29
	v_or3_b32 v10, v27, v10, v26
	v_lshrrev_b32_e32 v26, 16, v10
.LBB859_535:
	s_or_b64 exec, exec, s[10:11]
.LBB859_536:
	s_or_b64 exec, exec, s[8:9]
.LBB859_537:
	s_or_b64 exec, exec, s[2:3]
	s_mov_b32 s2, 0xffffff
	v_cmp_lt_u32_e32 vcc, s2, v11
	s_and_saveexec_b64 s[2:3], vcc
	s_cbranch_execz .LBB859_543
; %bb.538:
	v_lshrrev_b32_e32 v10, 24, v11
	s_movk_i32 s7, 0x80
	v_cmp_ne_u32_e32 vcc, s7, v10
	v_mov_b32_e32 v25, 0xffff8000
	s_and_saveexec_b64 s[8:9], vcc
	s_cbranch_execz .LBB859_542
; %bb.539:
	v_bfe_u32 v11, v11, 24, 7
	s_movk_i32 s7, 0x7f
	v_cmp_ne_u32_e32 vcc, s7, v11
	v_mov_b32_e32 v25, 0x7f80
	s_and_saveexec_b64 s[10:11], vcc
	s_cbranch_execz .LBB859_541
; %bb.540:
	v_and_b32_e32 v25, 7, v10
	v_ffbh_u32_e32 v29, v25
	v_min_u32_e32 v29, 32, v29
	v_subrev_u32_e32 v30, 28, v29
	v_lshlrev_b64 v[30:31], v30, v[10:11]
	v_lshrrev_b32_e32 v27, 3, v11
	v_sub_u32_e32 v29, 29, v29
	v_and_b32_e32 v30, 7, v30
	v_cmp_gt_u32_e32 vcc, 8, v11
	v_cndmask_b32_e32 v11, v27, v29, vcc
	v_cndmask_b32_e32 v25, v25, v30, vcc
	v_lshlrev_b32_e32 v10, 24, v10
	v_bfrev_b32_e32 v27, 60
	v_lshlrev_b32_e32 v25, 20, v25
	v_and_b32_e32 v10, 0x80000000, v10
	v_lshl_add_u32 v11, v11, 23, v27
	v_or3_b32 v10, v10, v11, v25
	v_lshrrev_b32_e32 v25, 16, v10
.LBB859_541:
	s_or_b64 exec, exec, s[10:11]
.LBB859_542:
	s_or_b64 exec, exec, s[8:9]
.LBB859_543:
	s_or_b64 exec, exec, s[2:3]
	s_mov_b32 s2, 0x5040100
	v_perm_b32 v11, v21, v23, s2
	v_perm_b32 v10, v19, v20, s2
	ds_read_b128 v[30:33], v22 offset:2048
	v_perm_b32 v21, v25, v26, s2
	v_perm_b32 v20, v18, v24, s2
	s_waitcnt lgkmcnt(0)
	v_mfma_f32_16x16x16bf16_1k v[14:17], v[10:11], v[30:31], v[14:17]
	v_mov_b32_e32 v11, 0
	v_cmp_ne_u16_sdwa s[8:9], v12, v11 src0_sel:BYTE_0 src1_sel:DWORD
	v_mov_b32_e32 v18, 0
	v_mfma_f32_16x16x16bf16_1k v[14:17], v[20:21], v[32:33], v[14:17]
	s_and_saveexec_b64 s[2:3], s[8:9]
	s_cbranch_execz .LBB859_549
; %bb.544:
	s_movk_i32 s7, 0x80
	v_cmp_ne_u16_sdwa s[10:11], v12, s7 src0_sel:BYTE_0 src1_sel:DWORD
	v_mov_b32_e32 v18, 0xffff8000
	s_and_saveexec_b64 s[8:9], s[10:11]
	s_cbranch_execz .LBB859_548
; %bb.545:
	s_movk_i32 s7, 0x7f
	v_and_b32_e32 v10, 0x7f, v12
	v_cmp_ne_u32_e32 vcc, s7, v10
	v_mov_b32_e32 v18, 0x7f80
	s_and_saveexec_b64 s[10:11], vcc
	s_cbranch_execz .LBB859_547
; %bb.546:
	v_and_b32_e32 v20, 7, v12
	v_ffbh_u32_e32 v18, v20
	v_min_u32_e32 v23, 32, v18
	v_subrev_u32_e32 v18, 28, v23
	v_lshlrev_b64 v[18:19], v18, v[12:13]
	v_lshrrev_b32_e32 v21, 3, v10
	v_sub_u32_e32 v19, 29, v23
	v_and_b32_e32 v18, 7, v18
	v_cmp_gt_u32_e32 vcc, 8, v10
	v_cndmask_b32_e32 v10, v21, v19, vcc
	v_cndmask_b32_e32 v18, v20, v18, vcc
	v_lshlrev_b32_e32 v19, 24, v12
	v_bfrev_b32_e32 v20, 60
	v_lshlrev_b32_e32 v18, 20, v18
	v_and_b32_e32 v19, 0x80000000, v19
	v_lshl_add_u32 v10, v10, 23, v20
	v_or3_b32 v10, v19, v10, v18
	v_lshrrev_b32_e32 v18, 16, v10
.LBB859_547:
	s_or_b64 exec, exec, s[10:11]
.LBB859_548:
	s_or_b64 exec, exec, s[8:9]
.LBB859_549:
	s_or_b64 exec, exec, s[2:3]
	v_lshrrev_b16_e32 v10, 8, v12
	v_cmp_ne_u16_e32 vcc, 0, v10
	s_and_saveexec_b64 s[2:3], vcc
	s_cbranch_execz .LBB859_555
; %bb.550:
	s_movk_i32 s7, 0x80
	v_cmp_ne_u16_e32 vcc, s7, v10
	v_mov_b32_e32 v11, 0xffff8000
	s_and_saveexec_b64 s[8:9], vcc
	s_cbranch_execz .LBB859_554
; %bb.551:
	s_movk_i32 s7, 0x7f
	v_and_b32_e32 v19, 0x7f, v10
	v_cmp_ne_u32_e32 vcc, s7, v19
	v_mov_b32_e32 v11, 0x7f80
	s_and_saveexec_b64 s[10:11], vcc
	s_cbranch_execz .LBB859_553
; %bb.552:
	v_and_b32_e32 v20, 7, v10
	v_ffbh_u32_e32 v11, v20
	v_min_u32_e32 v23, 32, v11
	v_subrev_u32_e32 v11, 28, v23
	v_lshlrev_b64 v[10:11], v11, v[10:11]
	v_lshrrev_b32_e32 v21, 3, v19
	v_sub_u32_e32 v11, 29, v23
	v_and_b32_e32 v10, 7, v10
	v_cmp_gt_u32_e32 vcc, 8, v19
	v_cndmask_b32_e32 v11, v21, v11, vcc
	v_cndmask_b32_e32 v10, v20, v10, vcc
	v_lshlrev_b32_e32 v19, 16, v12
	v_bfrev_b32_e32 v20, 60
	v_lshlrev_b32_e32 v10, 20, v10
	v_and_b32_e32 v19, 0x80000000, v19
	v_lshl_add_u32 v11, v11, 23, v20
	v_or3_b32 v10, v19, v11, v10
	v_lshrrev_b32_e32 v11, 16, v10
.LBB859_553:
	s_or_b64 exec, exec, s[10:11]
.LBB859_554:
	s_or_b64 exec, exec, s[8:9]
.LBB859_555:
	s_or_b64 exec, exec, s[2:3]
	s_movk_i32 s2, 0xff
	v_and_b32_sdwa v21, v12, s2 dst_sel:DWORD dst_unused:UNUSED_PAD src0_sel:WORD_1 src1_sel:DWORD
	v_lshrrev_b32_e32 v10, 16, v12
	v_cmp_ne_u16_e32 vcc, 0, v21
	v_mov_b32_e32 v19, 0
	v_mov_b32_e32 v20, 0
	s_and_saveexec_b64 s[2:3], vcc
	s_cbranch_execz .LBB859_561
; %bb.556:
	s_movk_i32 s7, 0x80
	v_cmp_ne_u16_e32 vcc, s7, v21
	v_mov_b32_e32 v20, 0xffff8000
	s_and_saveexec_b64 s[8:9], vcc
	s_cbranch_execz .LBB859_560
; %bb.557:
	v_bfe_u32 v21, v12, 16, 7
	s_movk_i32 s7, 0x7f
	v_cmp_ne_u32_e32 vcc, s7, v21
	v_mov_b32_e32 v20, 0x7f80
	s_and_saveexec_b64 s[10:11], vcc
	s_cbranch_execz .LBB859_559
; %bb.558:
	v_and_b32_e32 v20, 7, v10
	v_ffbh_u32_e32 v24, v20
	v_min_u32_e32 v26, 32, v24
	v_subrev_u32_e32 v24, 28, v26
	v_lshlrev_b64 v[24:25], v24, v[10:11]
	v_lshrrev_b32_e32 v23, 3, v21
	v_sub_u32_e32 v10, 29, v26
	v_and_b32_e32 v24, 7, v24
	v_cmp_gt_u32_e32 vcc, 8, v21
	v_mov_b32_e32 v21, 24
	v_cndmask_b32_e32 v10, v23, v10, vcc
	v_cndmask_b32_e32 v20, v20, v24, vcc
	v_lshlrev_b32_sdwa v21, v21, v12 dst_sel:DWORD dst_unused:UNUSED_PAD src0_sel:DWORD src1_sel:WORD_1
	v_bfrev_b32_e32 v23, 60
	v_lshlrev_b32_e32 v20, 20, v20
	v_and_b32_e32 v21, 0x80000000, v21
	v_lshl_add_u32 v10, v10, 23, v23
	v_or3_b32 v10, v21, v10, v20
	v_lshrrev_b32_e32 v20, 16, v10
.LBB859_559:
	s_or_b64 exec, exec, s[10:11]
.LBB859_560:
	s_or_b64 exec, exec, s[8:9]
.LBB859_561:
	s_or_b64 exec, exec, s[2:3]
	s_mov_b32 s2, 0xffffff
	v_cmp_lt_u32_e32 vcc, s2, v12
	s_and_saveexec_b64 s[2:3], vcc
	s_cbranch_execz .LBB859_567
; %bb.562:
	v_lshrrev_b32_e32 v10, 24, v12
	s_movk_i32 s7, 0x80
	v_cmp_ne_u32_e32 vcc, s7, v10
	v_mov_b32_e32 v19, 0xffff8000
	s_and_saveexec_b64 s[8:9], vcc
	s_cbranch_execz .LBB859_566
; %bb.563:
	v_bfe_u32 v12, v12, 24, 7
	s_movk_i32 s7, 0x7f
	v_cmp_ne_u32_e32 vcc, s7, v12
	v_mov_b32_e32 v19, 0x7f80
	s_and_saveexec_b64 s[10:11], vcc
	s_cbranch_execz .LBB859_565
; %bb.564:
	v_and_b32_e32 v19, 7, v10
	v_ffbh_u32_e32 v23, v19
	v_min_u32_e32 v23, 32, v23
	v_subrev_u32_e32 v24, 28, v23
	v_lshlrev_b64 v[24:25], v24, v[10:11]
	v_lshrrev_b32_e32 v21, 3, v12
	v_sub_u32_e32 v23, 29, v23
	v_and_b32_e32 v24, 7, v24
	v_cmp_gt_u32_e32 vcc, 8, v12
	v_cndmask_b32_e32 v12, v21, v23, vcc
	v_cndmask_b32_e32 v19, v19, v24, vcc
	v_lshlrev_b32_e32 v10, 24, v10
	v_bfrev_b32_e32 v21, 60
	v_lshlrev_b32_e32 v19, 20, v19
	v_and_b32_e32 v10, 0x80000000, v10
	v_lshl_add_u32 v12, v12, 23, v21
	v_or3_b32 v10, v10, v12, v19
	v_lshrrev_b32_e32 v19, 16, v10
.LBB859_565:
	s_or_b64 exec, exec, s[10:11]
.LBB859_566:
	s_or_b64 exec, exec, s[8:9]
.LBB859_567:
	s_or_b64 exec, exec, s[2:3]
	v_mov_b32_e32 v12, 0
	v_cmp_ne_u16_sdwa s[8:9], v13, v12 src0_sel:BYTE_0 src1_sel:DWORD
	v_mov_b32_e32 v21, 0
	s_and_saveexec_b64 s[2:3], s[8:9]
	s_cbranch_execz .LBB859_573
; %bb.568:
	s_movk_i32 s7, 0x80
	v_cmp_ne_u16_sdwa s[10:11], v13, s7 src0_sel:BYTE_0 src1_sel:DWORD
	v_mov_b32_e32 v21, 0xffff8000
	s_and_saveexec_b64 s[8:9], s[10:11]
	s_cbranch_execz .LBB859_572
; %bb.569:
	s_movk_i32 s7, 0x7f
	v_and_b32_e32 v10, 0x7f, v13
	v_cmp_ne_u32_e32 vcc, s7, v10
	v_mov_b32_e32 v21, 0x7f80
	s_and_saveexec_b64 s[10:11], vcc
	s_cbranch_execz .LBB859_571
; %bb.570:
	v_and_b32_e32 v21, 7, v13
	v_ffbh_u32_e32 v25, v21
	v_min_u32_e32 v26, 32, v25
	v_mov_b32_e32 v24, v13
	v_subrev_u32_e32 v25, 28, v26
	v_lshlrev_b64 v[24:25], v25, v[24:25]
	v_lshrrev_b32_e32 v23, 3, v10
	v_sub_u32_e32 v25, 29, v26
	v_and_b32_e32 v24, 7, v24
	v_cmp_gt_u32_e32 vcc, 8, v10
	v_cndmask_b32_e32 v10, v23, v25, vcc
	v_cndmask_b32_e32 v21, v21, v24, vcc
	v_lshlrev_b32_e32 v23, 24, v13
	v_bfrev_b32_e32 v24, 60
	v_lshlrev_b32_e32 v21, 20, v21
	v_and_b32_e32 v23, 0x80000000, v23
	v_lshl_add_u32 v10, v10, 23, v24
	v_or3_b32 v10, v23, v10, v21
	v_lshrrev_b32_e32 v21, 16, v10
.LBB859_571:
	s_or_b64 exec, exec, s[10:11]
.LBB859_572:
	s_or_b64 exec, exec, s[8:9]
.LBB859_573:
	s_or_b64 exec, exec, s[2:3]
	v_lshrrev_b16_e32 v10, 8, v13
	v_cmp_ne_u16_e32 vcc, 0, v10
	s_and_saveexec_b64 s[2:3], vcc
	s_cbranch_execz .LBB859_579
; %bb.574:
	s_movk_i32 s7, 0x80
	v_cmp_ne_u16_e32 vcc, s7, v10
	v_mov_b32_e32 v12, 0xffff8000
	s_and_saveexec_b64 s[8:9], vcc
	s_cbranch_execz .LBB859_578
; %bb.575:
	s_movk_i32 s7, 0x7f
	v_and_b32_e32 v23, 0x7f, v10
	v_cmp_ne_u32_e32 vcc, s7, v23
	v_mov_b32_e32 v12, 0x7f80
	s_and_saveexec_b64 s[10:11], vcc
	s_cbranch_execz .LBB859_577
; %bb.576:
	v_and_b32_e32 v12, 7, v10
	v_ffbh_u32_e32 v24, v12
	v_min_u32_e32 v27, 32, v24
	v_subrev_u32_e32 v24, 28, v27
	v_lshlrev_b64 v[24:25], v24, v[10:11]
	v_lshrrev_b32_e32 v26, 3, v23
	v_sub_u32_e32 v10, 29, v27
	v_and_b32_e32 v24, 7, v24
	v_cmp_gt_u32_e32 vcc, 8, v23
	v_cndmask_b32_e32 v10, v26, v10, vcc
	v_cndmask_b32_e32 v12, v12, v24, vcc
	v_lshlrev_b32_e32 v23, 16, v13
	v_bfrev_b32_e32 v24, 60
	v_lshlrev_b32_e32 v12, 20, v12
	v_and_b32_e32 v23, 0x80000000, v23
	v_lshl_add_u32 v10, v10, 23, v24
	v_or3_b32 v10, v23, v10, v12
	v_lshrrev_b32_e32 v12, 16, v10
.LBB859_577:
	s_or_b64 exec, exec, s[10:11]
.LBB859_578:
	s_or_b64 exec, exec, s[8:9]
.LBB859_579:
	s_or_b64 exec, exec, s[2:3]
	s_movk_i32 s2, 0xff
	v_and_b32_sdwa v25, v13, s2 dst_sel:DWORD dst_unused:UNUSED_PAD src0_sel:WORD_1 src1_sel:DWORD
	v_lshrrev_b32_e32 v10, 16, v13
	v_cmp_ne_u16_e32 vcc, 0, v25
	v_mov_b32_e32 v23, 0
	v_mov_b32_e32 v24, 0
	s_and_saveexec_b64 s[2:3], vcc
	s_cbranch_execz .LBB859_585
; %bb.580:
	s_movk_i32 s7, 0x80
	v_cmp_ne_u16_e32 vcc, s7, v25
	v_mov_b32_e32 v24, 0xffff8000
	s_and_saveexec_b64 s[8:9], vcc
	s_cbranch_execz .LBB859_584
; %bb.581:
	v_bfe_u32 v25, v13, 16, 7
	s_movk_i32 s7, 0x7f
	v_cmp_ne_u32_e32 vcc, s7, v25
	v_mov_b32_e32 v24, 0x7f80
	s_and_saveexec_b64 s[10:11], vcc
	s_cbranch_execz .LBB859_583
; %bb.582:
	v_and_b32_e32 v24, 7, v10
	v_ffbh_u32_e32 v26, v24
	v_min_u32_e32 v30, 32, v26
	v_subrev_u32_e32 v26, 28, v30
	v_lshlrev_b64 v[26:27], v26, v[10:11]
	v_lshrrev_b32_e32 v29, 3, v25
	v_sub_u32_e32 v10, 29, v30
	v_and_b32_e32 v26, 7, v26
	v_cmp_gt_u32_e32 vcc, 8, v25
	v_mov_b32_e32 v25, 24
	v_cndmask_b32_e32 v10, v29, v10, vcc
	v_cndmask_b32_e32 v24, v24, v26, vcc
	v_lshlrev_b32_sdwa v25, v25, v13 dst_sel:DWORD dst_unused:UNUSED_PAD src0_sel:DWORD src1_sel:WORD_1
	v_bfrev_b32_e32 v26, 60
	v_lshlrev_b32_e32 v24, 20, v24
	v_and_b32_e32 v25, 0x80000000, v25
	v_lshl_add_u32 v10, v10, 23, v26
	v_or3_b32 v10, v25, v10, v24
	v_lshrrev_b32_e32 v24, 16, v10
.LBB859_583:
	s_or_b64 exec, exec, s[10:11]
.LBB859_584:
	s_or_b64 exec, exec, s[8:9]
.LBB859_585:
	s_or_b64 exec, exec, s[2:3]
	s_mov_b32 s2, 0xffffff
	v_cmp_lt_u32_e32 vcc, s2, v13
	s_and_saveexec_b64 s[2:3], vcc
	s_cbranch_execz .LBB859_591
; %bb.586:
	v_lshrrev_b32_e32 v10, 24, v13
	s_movk_i32 s7, 0x80
	v_cmp_ne_u32_e32 vcc, s7, v10
	v_mov_b32_e32 v23, 0xffff8000
	s_and_saveexec_b64 s[8:9], vcc
	s_cbranch_execz .LBB859_590
; %bb.587:
	v_bfe_u32 v13, v13, 24, 7
	s_movk_i32 s7, 0x7f
	v_cmp_ne_u32_e32 vcc, s7, v13
	v_mov_b32_e32 v23, 0x7f80
	s_and_saveexec_b64 s[10:11], vcc
	s_cbranch_execz .LBB859_589
; %bb.588:
	v_and_b32_e32 v23, 7, v10
	v_ffbh_u32_e32 v26, v23
	v_min_u32_e32 v29, 32, v26
	v_subrev_u32_e32 v26, 28, v29
	v_lshlrev_b64 v[26:27], v26, v[10:11]
	v_lshrrev_b32_e32 v25, 3, v13
	v_sub_u32_e32 v27, 29, v29
	v_and_b32_e32 v26, 7, v26
	v_cmp_gt_u32_e32 vcc, 8, v13
	v_cndmask_b32_e32 v13, v25, v27, vcc
	v_cndmask_b32_e32 v23, v23, v26, vcc
	v_lshlrev_b32_e32 v10, 24, v10
	v_bfrev_b32_e32 v25, 60
	v_lshlrev_b32_e32 v23, 20, v23
	v_and_b32_e32 v10, 0x80000000, v10
	v_lshl_add_u32 v13, v13, 23, v25
	v_or3_b32 v10, v10, v13, v23
	v_lshrrev_b32_e32 v23, 16, v10
.LBB859_589:
	s_or_b64 exec, exec, s[10:11]
.LBB859_590:
	s_or_b64 exec, exec, s[8:9]
.LBB859_591:
	s_or_b64 exec, exec, s[2:3]
	s_mov_b32 s2, 0x5040100
	v_perm_b32 v19, v19, v20, s2
	v_perm_b32 v18, v11, v18, s2
	ds_read_b128 v[30:33], v22 offset:2064
	v_perm_b32 v11, v23, v24, s2
	v_perm_b32 v10, v12, v21, s2
	s_waitcnt lgkmcnt(0)
	v_mfma_f32_16x16x16bf16_1k v[34:37], v[18:19], v[30:31], v[14:17]
	s_nop 6
	v_mov_b32_e32 v15, 0
	s_waitcnt vmcnt(1)
	v_cmp_ne_u16_sdwa s[8:9], v6, v15 src0_sel:BYTE_0 src1_sel:DWORD
	v_mfma_f32_16x16x16bf16_1k v[10:13], v[10:11], v[32:33], v[34:37]
	v_mov_b32_e32 v16, 0
	s_and_saveexec_b64 s[2:3], s[8:9]
	s_cbranch_execz .LBB859_597
; %bb.592:
	s_movk_i32 s7, 0x80
	v_cmp_ne_u16_sdwa s[10:11], v6, s7 src0_sel:BYTE_0 src1_sel:DWORD
	v_mov_b32_e32 v16, 0xffff8000
	s_and_saveexec_b64 s[8:9], s[10:11]
	s_cbranch_execz .LBB859_596
; %bb.593:
	s_movk_i32 s7, 0x7f
	v_and_b32_e32 v14, 0x7f, v6
	v_cmp_ne_u32_e32 vcc, s7, v14
	v_mov_b32_e32 v16, 0x7f80
	s_and_saveexec_b64 s[10:11], vcc
	s_cbranch_execz .LBB859_595
; %bb.594:
	v_and_b32_e32 v18, 7, v6
	v_ffbh_u32_e32 v16, v18
	v_min_u32_e32 v20, 32, v16
	v_subrev_u32_e32 v16, 28, v20
	v_lshlrev_b64 v[16:17], v16, v[6:7]
	v_lshrrev_b32_e32 v19, 3, v14
	v_sub_u32_e32 v17, 29, v20
	v_and_b32_e32 v16, 7, v16
	v_cmp_gt_u32_e32 vcc, 8, v14
	v_cndmask_b32_e32 v14, v19, v17, vcc
	v_cndmask_b32_e32 v16, v18, v16, vcc
	v_lshlrev_b32_e32 v17, 24, v6
	v_bfrev_b32_e32 v18, 60
	v_lshlrev_b32_e32 v16, 20, v16
	v_and_b32_e32 v17, 0x80000000, v17
	v_lshl_add_u32 v14, v14, 23, v18
	v_or3_b32 v14, v17, v14, v16
	v_lshrrev_b32_e32 v16, 16, v14
.LBB859_595:
	s_or_b64 exec, exec, s[10:11]
.LBB859_596:
	s_or_b64 exec, exec, s[8:9]
.LBB859_597:
	s_or_b64 exec, exec, s[2:3]
	v_lshrrev_b16_e32 v14, 8, v6
	v_cmp_ne_u16_e32 vcc, 0, v14
	s_and_saveexec_b64 s[2:3], vcc
	s_cbranch_execz .LBB859_603
; %bb.598:
	s_movk_i32 s7, 0x80
	v_cmp_ne_u16_e32 vcc, s7, v14
	v_mov_b32_e32 v15, 0xffff8000
	s_and_saveexec_b64 s[8:9], vcc
	s_cbranch_execz .LBB859_602
; %bb.599:
	s_movk_i32 s7, 0x7f
	v_and_b32_e32 v17, 0x7f, v14
	v_cmp_ne_u32_e32 vcc, s7, v17
	v_mov_b32_e32 v15, 0x7f80
	s_and_saveexec_b64 s[10:11], vcc
	s_cbranch_execz .LBB859_601
; %bb.600:
	v_and_b32_e32 v18, 7, v14
	v_ffbh_u32_e32 v15, v18
	v_min_u32_e32 v20, 32, v15
	v_subrev_u32_e32 v15, 28, v20
	v_lshlrev_b64 v[14:15], v15, v[14:15]
	v_lshrrev_b32_e32 v19, 3, v17
	v_sub_u32_e32 v15, 29, v20
	v_and_b32_e32 v14, 7, v14
	v_cmp_gt_u32_e32 vcc, 8, v17
	v_cndmask_b32_e32 v15, v19, v15, vcc
	v_cndmask_b32_e32 v14, v18, v14, vcc
	v_lshlrev_b32_e32 v17, 16, v6
	v_bfrev_b32_e32 v18, 60
	v_lshlrev_b32_e32 v14, 20, v14
	v_and_b32_e32 v17, 0x80000000, v17
	v_lshl_add_u32 v15, v15, 23, v18
	v_or3_b32 v14, v17, v15, v14
	v_lshrrev_b32_e32 v15, 16, v14
.LBB859_601:
	s_or_b64 exec, exec, s[10:11]
.LBB859_602:
	s_or_b64 exec, exec, s[8:9]
.LBB859_603:
	s_or_b64 exec, exec, s[2:3]
	s_movk_i32 s2, 0xff
	v_and_b32_sdwa v19, v6, s2 dst_sel:DWORD dst_unused:UNUSED_PAD src0_sel:WORD_1 src1_sel:DWORD
	v_lshrrev_b32_e32 v14, 16, v6
	v_cmp_ne_u16_e32 vcc, 0, v19
	v_mov_b32_e32 v17, 0
	v_mov_b32_e32 v18, 0
	s_and_saveexec_b64 s[2:3], vcc
	s_cbranch_execz .LBB859_609
; %bb.604:
	s_movk_i32 s7, 0x80
	v_cmp_ne_u16_e32 vcc, s7, v19
	v_mov_b32_e32 v18, 0xffff8000
	s_and_saveexec_b64 s[8:9], vcc
	s_cbranch_execz .LBB859_608
; %bb.605:
	v_bfe_u32 v19, v6, 16, 7
	s_movk_i32 s7, 0x7f
	v_cmp_ne_u32_e32 vcc, s7, v19
	v_mov_b32_e32 v18, 0x7f80
	s_and_saveexec_b64 s[10:11], vcc
	s_cbranch_execz .LBB859_607
; %bb.606:
	v_and_b32_e32 v18, 7, v14
	v_ffbh_u32_e32 v20, v18
	v_min_u32_e32 v24, 32, v20
	v_subrev_u32_e32 v20, 28, v24
	v_lshlrev_b64 v[20:21], v20, v[14:15]
	v_lshrrev_b32_e32 v23, 3, v19
	v_sub_u32_e32 v14, 29, v24
	v_and_b32_e32 v20, 7, v20
	v_cmp_gt_u32_e32 vcc, 8, v19
	v_mov_b32_e32 v19, 24
	v_cndmask_b32_e32 v14, v23, v14, vcc
	v_cndmask_b32_e32 v18, v18, v20, vcc
	v_lshlrev_b32_sdwa v19, v19, v6 dst_sel:DWORD dst_unused:UNUSED_PAD src0_sel:DWORD src1_sel:WORD_1
	v_bfrev_b32_e32 v20, 60
	v_lshlrev_b32_e32 v18, 20, v18
	v_and_b32_e32 v19, 0x80000000, v19
	v_lshl_add_u32 v14, v14, 23, v20
	v_or3_b32 v14, v19, v14, v18
	v_lshrrev_b32_e32 v18, 16, v14
.LBB859_607:
	s_or_b64 exec, exec, s[10:11]
.LBB859_608:
	s_or_b64 exec, exec, s[8:9]
.LBB859_609:
	s_or_b64 exec, exec, s[2:3]
	s_mov_b32 s2, 0xffffff
	v_cmp_lt_u32_e32 vcc, s2, v6
	s_and_saveexec_b64 s[2:3], vcc
	s_cbranch_execz .LBB859_615
; %bb.610:
	v_lshrrev_b32_e32 v14, 24, v6
	s_movk_i32 s7, 0x80
	v_cmp_ne_u32_e32 vcc, s7, v14
	v_mov_b32_e32 v17, 0xffff8000
	s_and_saveexec_b64 s[8:9], vcc
	s_cbranch_execz .LBB859_614
; %bb.611:
	v_bfe_u32 v6, v6, 24, 7
	s_movk_i32 s7, 0x7f
	v_cmp_ne_u32_e32 vcc, s7, v6
	v_mov_b32_e32 v17, 0x7f80
	s_and_saveexec_b64 s[10:11], vcc
	s_cbranch_execz .LBB859_613
; %bb.612:
	v_and_b32_e32 v17, 7, v14
	v_ffbh_u32_e32 v20, v17
	v_min_u32_e32 v23, 32, v20
	v_subrev_u32_e32 v20, 28, v23
	v_lshlrev_b64 v[20:21], v20, v[14:15]
	v_lshrrev_b32_e32 v19, 3, v6
	v_sub_u32_e32 v21, 29, v23
	v_and_b32_e32 v20, 7, v20
	v_cmp_gt_u32_e32 vcc, 8, v6
	v_cndmask_b32_e32 v6, v19, v21, vcc
	v_cndmask_b32_e32 v17, v17, v20, vcc
	v_lshlrev_b32_e32 v14, 24, v14
	v_bfrev_b32_e32 v19, 60
	v_lshlrev_b32_e32 v17, 20, v17
	v_and_b32_e32 v14, 0x80000000, v14
	v_lshl_add_u32 v6, v6, 23, v19
	v_or3_b32 v6, v14, v6, v17
	v_lshrrev_b32_e32 v17, 16, v6
.LBB859_613:
	s_or_b64 exec, exec, s[10:11]
.LBB859_614:
	s_or_b64 exec, exec, s[8:9]
.LBB859_615:
	s_or_b64 exec, exec, s[2:3]
	v_mov_b32_e32 v14, 0
	v_cmp_ne_u16_sdwa s[8:9], v7, v14 src0_sel:BYTE_0 src1_sel:DWORD
	v_mov_b32_e32 v19, 0
	s_and_saveexec_b64 s[2:3], s[8:9]
	s_cbranch_execz .LBB859_621
; %bb.616:
	s_movk_i32 s7, 0x80
	v_cmp_ne_u16_sdwa s[10:11], v7, s7 src0_sel:BYTE_0 src1_sel:DWORD
	v_mov_b32_e32 v19, 0xffff8000
	s_and_saveexec_b64 s[8:9], s[10:11]
	s_cbranch_execz .LBB859_620
; %bb.617:
	s_movk_i32 s7, 0x7f
	v_and_b32_e32 v6, 0x7f, v7
	v_cmp_ne_u32_e32 vcc, s7, v6
	v_mov_b32_e32 v19, 0x7f80
	s_and_saveexec_b64 s[10:11], vcc
	s_cbranch_execz .LBB859_619
; %bb.618:
	v_and_b32_e32 v19, 7, v7
	v_ffbh_u32_e32 v21, v19
	v_min_u32_e32 v24, 32, v21
	v_mov_b32_e32 v20, v7
	v_subrev_u32_e32 v21, 28, v24
	v_lshlrev_b64 v[20:21], v21, v[20:21]
	v_lshrrev_b32_e32 v23, 3, v6
	v_sub_u32_e32 v21, 29, v24
	v_and_b32_e32 v20, 7, v20
	v_cmp_gt_u32_e32 vcc, 8, v6
	v_cndmask_b32_e32 v6, v23, v21, vcc
	v_cndmask_b32_e32 v19, v19, v20, vcc
	v_lshlrev_b32_e32 v20, 24, v7
	v_bfrev_b32_e32 v21, 60
	v_lshlrev_b32_e32 v19, 20, v19
	v_and_b32_e32 v20, 0x80000000, v20
	v_lshl_add_u32 v6, v6, 23, v21
	v_or3_b32 v6, v20, v6, v19
	v_lshrrev_b32_e32 v19, 16, v6
.LBB859_619:
	s_or_b64 exec, exec, s[10:11]
.LBB859_620:
	s_or_b64 exec, exec, s[8:9]
.LBB859_621:
	s_or_b64 exec, exec, s[2:3]
	v_lshrrev_b16_e32 v6, 8, v7
	v_cmp_ne_u16_e32 vcc, 0, v6
	s_and_saveexec_b64 s[2:3], vcc
	s_cbranch_execz .LBB859_627
; %bb.622:
	s_movk_i32 s7, 0x80
	v_cmp_ne_u16_e32 vcc, s7, v6
	v_mov_b32_e32 v14, 0xffff8000
	s_and_saveexec_b64 s[8:9], vcc
	s_cbranch_execz .LBB859_626
; %bb.623:
	s_movk_i32 s7, 0x7f
	v_and_b32_e32 v20, 0x7f, v6
	v_cmp_ne_u32_e32 vcc, s7, v20
	v_mov_b32_e32 v14, 0x7f80
	s_and_saveexec_b64 s[10:11], vcc
	s_cbranch_execz .LBB859_625
; %bb.624:
	v_and_b32_e32 v14, 7, v6
	v_ffbh_u32_e32 v23, v14
	v_min_u32_e32 v23, 32, v23
	v_subrev_u32_e32 v24, 28, v23
	v_lshlrev_b64 v[24:25], v24, v[6:7]
	v_lshrrev_b32_e32 v21, 3, v20
	v_sub_u32_e32 v6, 29, v23
	v_and_b32_e32 v23, 7, v24
	v_cmp_gt_u32_e32 vcc, 8, v20
	v_cndmask_b32_e32 v6, v21, v6, vcc
	v_cndmask_b32_e32 v14, v14, v23, vcc
	v_lshlrev_b32_e32 v20, 16, v7
	v_bfrev_b32_e32 v21, 60
	v_lshlrev_b32_e32 v14, 20, v14
	v_and_b32_e32 v20, 0x80000000, v20
	v_lshl_add_u32 v6, v6, 23, v21
	v_or3_b32 v6, v20, v6, v14
	v_lshrrev_b32_e32 v14, 16, v6
.LBB859_625:
	s_or_b64 exec, exec, s[10:11]
.LBB859_626:
	s_or_b64 exec, exec, s[8:9]
.LBB859_627:
	s_or_b64 exec, exec, s[2:3]
	s_movk_i32 s2, 0xff
	v_and_b32_sdwa v23, v7, s2 dst_sel:DWORD dst_unused:UNUSED_PAD src0_sel:WORD_1 src1_sel:DWORD
	v_lshrrev_b32_e32 v6, 16, v7
	v_cmp_ne_u16_e32 vcc, 0, v23
	v_mov_b32_e32 v20, 0
	v_mov_b32_e32 v21, 0
	s_and_saveexec_b64 s[2:3], vcc
	s_cbranch_execz .LBB859_633
; %bb.628:
	s_movk_i32 s7, 0x80
	v_cmp_ne_u16_e32 vcc, s7, v23
	v_mov_b32_e32 v21, 0xffff8000
	s_and_saveexec_b64 s[8:9], vcc
	s_cbranch_execz .LBB859_632
; %bb.629:
	v_bfe_u32 v23, v7, 16, 7
	s_movk_i32 s7, 0x7f
	v_cmp_ne_u32_e32 vcc, s7, v23
	v_mov_b32_e32 v21, 0x7f80
	s_and_saveexec_b64 s[10:11], vcc
	s_cbranch_execz .LBB859_631
; %bb.630:
	v_and_b32_e32 v21, 7, v6
	v_ffbh_u32_e32 v24, v21
	v_min_u32_e32 v27, 32, v24
	v_subrev_u32_e32 v24, 28, v27
	v_lshlrev_b64 v[24:25], v24, v[6:7]
	v_lshrrev_b32_e32 v26, 3, v23
	v_sub_u32_e32 v6, 29, v27
	v_and_b32_e32 v24, 7, v24
	v_cmp_gt_u32_e32 vcc, 8, v23
	v_mov_b32_e32 v23, 24
	v_cndmask_b32_e32 v6, v26, v6, vcc
	v_cndmask_b32_e32 v21, v21, v24, vcc
	v_lshlrev_b32_sdwa v23, v23, v7 dst_sel:DWORD dst_unused:UNUSED_PAD src0_sel:DWORD src1_sel:WORD_1
	v_bfrev_b32_e32 v24, 60
	v_lshlrev_b32_e32 v21, 20, v21
	v_and_b32_e32 v23, 0x80000000, v23
	v_lshl_add_u32 v6, v6, 23, v24
	v_or3_b32 v6, v23, v6, v21
	v_lshrrev_b32_e32 v21, 16, v6
.LBB859_631:
	s_or_b64 exec, exec, s[10:11]
.LBB859_632:
	s_or_b64 exec, exec, s[8:9]
.LBB859_633:
	s_or_b64 exec, exec, s[2:3]
	s_mov_b32 s2, 0xffffff
	v_cmp_lt_u32_e32 vcc, s2, v7
	s_and_saveexec_b64 s[2:3], vcc
	s_cbranch_execz .LBB859_639
; %bb.634:
	v_lshrrev_b32_e32 v6, 24, v7
	s_movk_i32 s7, 0x80
	v_cmp_ne_u32_e32 vcc, s7, v6
	v_mov_b32_e32 v20, 0xffff8000
	s_and_saveexec_b64 s[8:9], vcc
	s_cbranch_execz .LBB859_638
; %bb.635:
	v_bfe_u32 v7, v7, 24, 7
	s_movk_i32 s7, 0x7f
	v_cmp_ne_u32_e32 vcc, s7, v7
	v_mov_b32_e32 v20, 0x7f80
	s_and_saveexec_b64 s[10:11], vcc
	s_cbranch_execz .LBB859_637
; %bb.636:
	v_and_b32_e32 v20, 7, v6
	v_ffbh_u32_e32 v24, v20
	v_min_u32_e32 v26, 32, v24
	v_subrev_u32_e32 v24, 28, v26
	v_lshlrev_b64 v[24:25], v24, v[6:7]
	v_lshrrev_b32_e32 v23, 3, v7
	v_sub_u32_e32 v25, 29, v26
	v_and_b32_e32 v24, 7, v24
	v_cmp_gt_u32_e32 vcc, 8, v7
	v_cndmask_b32_e32 v7, v23, v25, vcc
	v_cndmask_b32_e32 v20, v20, v24, vcc
	v_lshlrev_b32_e32 v6, 24, v6
	v_bfrev_b32_e32 v23, 60
	v_lshlrev_b32_e32 v20, 20, v20
	v_and_b32_e32 v6, 0x80000000, v6
	v_lshl_add_u32 v7, v7, 23, v23
	v_or3_b32 v6, v6, v7, v20
	v_lshrrev_b32_e32 v20, 16, v6
.LBB859_637:
	s_or_b64 exec, exec, s[10:11]
.LBB859_638:
	s_or_b64 exec, exec, s[8:9]
.LBB859_639:
	s_or_b64 exec, exec, s[2:3]
	s_mov_b32 s2, 0x5040100
	v_perm_b32 v7, v17, v18, s2
	v_perm_b32 v6, v15, v16, s2
	ds_read_b128 v[24:27], v22 offset:4096
	v_perm_b32 v17, v20, v21, s2
	v_perm_b32 v16, v14, v19, s2
	s_waitcnt lgkmcnt(0)
	v_mfma_f32_16x16x16bf16_1k v[10:13], v[6:7], v[24:25], v[10:13]
	v_mov_b32_e32 v7, 0
	v_cmp_ne_u16_sdwa s[8:9], v8, v7 src0_sel:BYTE_0 src1_sel:DWORD
	v_mov_b32_e32 v14, 0
	v_mfma_f32_16x16x16bf16_1k v[10:13], v[16:17], v[26:27], v[10:13]
	s_and_saveexec_b64 s[2:3], s[8:9]
	s_cbranch_execz .LBB859_645
; %bb.640:
	s_movk_i32 s7, 0x80
	v_cmp_ne_u16_sdwa s[10:11], v8, s7 src0_sel:BYTE_0 src1_sel:DWORD
	v_mov_b32_e32 v14, 0xffff8000
	s_and_saveexec_b64 s[8:9], s[10:11]
	s_cbranch_execz .LBB859_644
; %bb.641:
	s_movk_i32 s7, 0x7f
	v_and_b32_e32 v6, 0x7f, v8
	v_cmp_ne_u32_e32 vcc, s7, v6
	v_mov_b32_e32 v14, 0x7f80
	s_and_saveexec_b64 s[10:11], vcc
	s_cbranch_execz .LBB859_643
; %bb.642:
	v_and_b32_e32 v16, 7, v8
	v_ffbh_u32_e32 v14, v16
	v_min_u32_e32 v18, 32, v14
	v_subrev_u32_e32 v14, 28, v18
	v_lshlrev_b64 v[14:15], v14, v[8:9]
	v_lshrrev_b32_e32 v17, 3, v6
	v_sub_u32_e32 v15, 29, v18
	v_and_b32_e32 v14, 7, v14
	v_cmp_gt_u32_e32 vcc, 8, v6
	v_cndmask_b32_e32 v6, v17, v15, vcc
	v_cndmask_b32_e32 v14, v16, v14, vcc
	v_lshlrev_b32_e32 v15, 24, v8
	v_bfrev_b32_e32 v16, 60
	v_lshlrev_b32_e32 v14, 20, v14
	v_and_b32_e32 v15, 0x80000000, v15
	v_lshl_add_u32 v6, v6, 23, v16
	v_or3_b32 v6, v15, v6, v14
	v_lshrrev_b32_e32 v14, 16, v6
.LBB859_643:
	s_or_b64 exec, exec, s[10:11]
.LBB859_644:
	s_or_b64 exec, exec, s[8:9]
.LBB859_645:
	s_or_b64 exec, exec, s[2:3]
	v_lshrrev_b16_e32 v6, 8, v8
	v_cmp_ne_u16_e32 vcc, 0, v6
	s_and_saveexec_b64 s[2:3], vcc
	s_cbranch_execz .LBB859_651
; %bb.646:
	s_movk_i32 s7, 0x80
	v_cmp_ne_u16_e32 vcc, s7, v6
	v_mov_b32_e32 v7, 0xffff8000
	s_and_saveexec_b64 s[8:9], vcc
	s_cbranch_execz .LBB859_650
; %bb.647:
	s_movk_i32 s7, 0x7f
	v_and_b32_e32 v15, 0x7f, v6
	v_cmp_ne_u32_e32 vcc, s7, v15
	v_mov_b32_e32 v7, 0x7f80
	s_and_saveexec_b64 s[10:11], vcc
	s_cbranch_execz .LBB859_649
; %bb.648:
	v_and_b32_e32 v16, 7, v6
	v_ffbh_u32_e32 v7, v16
	v_min_u32_e32 v18, 32, v7
	v_subrev_u32_e32 v7, 28, v18
	v_lshlrev_b64 v[6:7], v7, v[6:7]
	v_lshrrev_b32_e32 v17, 3, v15
	v_sub_u32_e32 v7, 29, v18
	v_and_b32_e32 v6, 7, v6
	v_cmp_gt_u32_e32 vcc, 8, v15
	v_cndmask_b32_e32 v7, v17, v7, vcc
	v_cndmask_b32_e32 v6, v16, v6, vcc
	v_lshlrev_b32_e32 v15, 16, v8
	v_bfrev_b32_e32 v16, 60
	v_lshlrev_b32_e32 v6, 20, v6
	v_and_b32_e32 v15, 0x80000000, v15
	v_lshl_add_u32 v7, v7, 23, v16
	v_or3_b32 v6, v15, v7, v6
	v_lshrrev_b32_e32 v7, 16, v6
.LBB859_649:
	s_or_b64 exec, exec, s[10:11]
.LBB859_650:
	s_or_b64 exec, exec, s[8:9]
.LBB859_651:
	s_or_b64 exec, exec, s[2:3]
	s_movk_i32 s2, 0xff
	v_and_b32_sdwa v17, v8, s2 dst_sel:DWORD dst_unused:UNUSED_PAD src0_sel:WORD_1 src1_sel:DWORD
	v_lshrrev_b32_e32 v6, 16, v8
	v_cmp_ne_u16_e32 vcc, 0, v17
	v_mov_b32_e32 v15, 0
	v_mov_b32_e32 v16, 0
	s_and_saveexec_b64 s[2:3], vcc
	s_cbranch_execz .LBB859_657
; %bb.652:
	s_movk_i32 s7, 0x80
	v_cmp_ne_u16_e32 vcc, s7, v17
	v_mov_b32_e32 v16, 0xffff8000
	s_and_saveexec_b64 s[8:9], vcc
	s_cbranch_execz .LBB859_656
; %bb.653:
	v_bfe_u32 v17, v8, 16, 7
	s_movk_i32 s7, 0x7f
	v_cmp_ne_u32_e32 vcc, s7, v17
	v_mov_b32_e32 v16, 0x7f80
	s_and_saveexec_b64 s[10:11], vcc
	s_cbranch_execz .LBB859_655
; %bb.654:
	v_and_b32_e32 v16, 7, v6
	v_ffbh_u32_e32 v18, v16
	v_min_u32_e32 v21, 32, v18
	v_subrev_u32_e32 v18, 28, v21
	v_lshlrev_b64 v[18:19], v18, v[6:7]
	v_lshrrev_b32_e32 v20, 3, v17
	v_sub_u32_e32 v6, 29, v21
	v_and_b32_e32 v18, 7, v18
	v_cmp_gt_u32_e32 vcc, 8, v17
	v_mov_b32_e32 v17, 24
	v_cndmask_b32_e32 v6, v20, v6, vcc
	v_cndmask_b32_e32 v16, v16, v18, vcc
	v_lshlrev_b32_sdwa v17, v17, v8 dst_sel:DWORD dst_unused:UNUSED_PAD src0_sel:DWORD src1_sel:WORD_1
	v_bfrev_b32_e32 v18, 60
	v_lshlrev_b32_e32 v16, 20, v16
	v_and_b32_e32 v17, 0x80000000, v17
	v_lshl_add_u32 v6, v6, 23, v18
	v_or3_b32 v6, v17, v6, v16
	v_lshrrev_b32_e32 v16, 16, v6
.LBB859_655:
	s_or_b64 exec, exec, s[10:11]
.LBB859_656:
	s_or_b64 exec, exec, s[8:9]
.LBB859_657:
	s_or_b64 exec, exec, s[2:3]
	s_mov_b32 s2, 0xffffff
	v_cmp_lt_u32_e32 vcc, s2, v8
	s_and_saveexec_b64 s[2:3], vcc
	s_cbranch_execz .LBB859_663
; %bb.658:
	v_lshrrev_b32_e32 v6, 24, v8
	s_movk_i32 s7, 0x80
	v_cmp_ne_u32_e32 vcc, s7, v6
	v_mov_b32_e32 v15, 0xffff8000
	s_and_saveexec_b64 s[8:9], vcc
	s_cbranch_execz .LBB859_662
; %bb.659:
	v_bfe_u32 v8, v8, 24, 7
	s_movk_i32 s7, 0x7f
	v_cmp_ne_u32_e32 vcc, s7, v8
	v_mov_b32_e32 v15, 0x7f80
	s_and_saveexec_b64 s[10:11], vcc
	s_cbranch_execz .LBB859_661
; %bb.660:
	v_and_b32_e32 v15, 7, v6
	v_ffbh_u32_e32 v18, v15
	v_min_u32_e32 v20, 32, v18
	v_subrev_u32_e32 v18, 28, v20
	v_lshlrev_b64 v[18:19], v18, v[6:7]
	v_lshrrev_b32_e32 v17, 3, v8
	v_sub_u32_e32 v19, 29, v20
	v_and_b32_e32 v18, 7, v18
	v_cmp_gt_u32_e32 vcc, 8, v8
	v_cndmask_b32_e32 v8, v17, v19, vcc
	v_cndmask_b32_e32 v15, v15, v18, vcc
	v_lshlrev_b32_e32 v6, 24, v6
	v_bfrev_b32_e32 v17, 60
	v_lshlrev_b32_e32 v15, 20, v15
	v_and_b32_e32 v6, 0x80000000, v6
	v_lshl_add_u32 v8, v8, 23, v17
	v_or3_b32 v6, v6, v8, v15
	v_lshrrev_b32_e32 v15, 16, v6
.LBB859_661:
	s_or_b64 exec, exec, s[10:11]
.LBB859_662:
	s_or_b64 exec, exec, s[8:9]
.LBB859_663:
	s_or_b64 exec, exec, s[2:3]
	v_mov_b32_e32 v8, 0
	v_cmp_ne_u16_sdwa s[8:9], v9, v8 src0_sel:BYTE_0 src1_sel:DWORD
	v_mov_b32_e32 v17, 0
	s_and_saveexec_b64 s[2:3], s[8:9]
	s_cbranch_execz .LBB859_669
; %bb.664:
	s_movk_i32 s7, 0x80
	v_cmp_ne_u16_sdwa s[10:11], v9, s7 src0_sel:BYTE_0 src1_sel:DWORD
	v_mov_b32_e32 v17, 0xffff8000
	s_and_saveexec_b64 s[8:9], s[10:11]
	s_cbranch_execz .LBB859_668
; %bb.665:
	s_movk_i32 s7, 0x7f
	v_and_b32_e32 v6, 0x7f, v9
	v_cmp_ne_u32_e32 vcc, s7, v6
	v_mov_b32_e32 v17, 0x7f80
	s_and_saveexec_b64 s[10:11], vcc
	s_cbranch_execz .LBB859_667
; %bb.666:
	v_and_b32_e32 v17, 7, v9
	v_ffbh_u32_e32 v19, v17
	v_min_u32_e32 v21, 32, v19
	v_mov_b32_e32 v18, v9
	v_subrev_u32_e32 v19, 28, v21
	v_lshlrev_b64 v[18:19], v19, v[18:19]
	v_lshrrev_b32_e32 v20, 3, v6
	v_sub_u32_e32 v19, 29, v21
	v_and_b32_e32 v18, 7, v18
	v_cmp_gt_u32_e32 vcc, 8, v6
	v_cndmask_b32_e32 v6, v20, v19, vcc
	v_cndmask_b32_e32 v17, v17, v18, vcc
	v_lshlrev_b32_e32 v18, 24, v9
	v_bfrev_b32_e32 v19, 60
	v_lshlrev_b32_e32 v17, 20, v17
	v_and_b32_e32 v18, 0x80000000, v18
	v_lshl_add_u32 v6, v6, 23, v19
	v_or3_b32 v6, v18, v6, v17
	v_lshrrev_b32_e32 v17, 16, v6
.LBB859_667:
	s_or_b64 exec, exec, s[10:11]
.LBB859_668:
	s_or_b64 exec, exec, s[8:9]
.LBB859_669:
	s_or_b64 exec, exec, s[2:3]
	v_lshrrev_b16_e32 v6, 8, v9
	v_cmp_ne_u16_e32 vcc, 0, v6
	s_and_saveexec_b64 s[2:3], vcc
	s_cbranch_execz .LBB859_675
; %bb.670:
	s_movk_i32 s7, 0x80
	v_cmp_ne_u16_e32 vcc, s7, v6
	v_mov_b32_e32 v8, 0xffff8000
	s_and_saveexec_b64 s[8:9], vcc
	s_cbranch_execz .LBB859_674
; %bb.671:
	s_movk_i32 s7, 0x7f
	v_and_b32_e32 v18, 0x7f, v6
	v_cmp_ne_u32_e32 vcc, s7, v18
	v_mov_b32_e32 v8, 0x7f80
	s_and_saveexec_b64 s[10:11], vcc
	s_cbranch_execz .LBB859_673
; %bb.672:
	v_and_b32_e32 v8, 7, v6
	v_ffbh_u32_e32 v20, v8
	v_min_u32_e32 v23, 32, v20
	v_subrev_u32_e32 v20, 28, v23
	v_lshlrev_b64 v[20:21], v20, v[6:7]
	v_lshrrev_b32_e32 v19, 3, v18
	v_sub_u32_e32 v6, 29, v23
	v_and_b32_e32 v20, 7, v20
	v_cmp_gt_u32_e32 vcc, 8, v18
	v_cndmask_b32_e32 v6, v19, v6, vcc
	v_cndmask_b32_e32 v8, v8, v20, vcc
	v_lshlrev_b32_e32 v18, 16, v9
	v_bfrev_b32_e32 v19, 60
	v_lshlrev_b32_e32 v8, 20, v8
	v_and_b32_e32 v18, 0x80000000, v18
	v_lshl_add_u32 v6, v6, 23, v19
	v_or3_b32 v6, v18, v6, v8
	v_lshrrev_b32_e32 v8, 16, v6
.LBB859_673:
	s_or_b64 exec, exec, s[10:11]
.LBB859_674:
	s_or_b64 exec, exec, s[8:9]
.LBB859_675:
	s_or_b64 exec, exec, s[2:3]
	s_movk_i32 s2, 0xff
	v_and_b32_sdwa v20, v9, s2 dst_sel:DWORD dst_unused:UNUSED_PAD src0_sel:WORD_1 src1_sel:DWORD
	v_lshrrev_b32_e32 v6, 16, v9
	v_cmp_ne_u16_e32 vcc, 0, v20
	v_mov_b32_e32 v18, 0
	v_mov_b32_e32 v19, 0
	s_and_saveexec_b64 s[2:3], vcc
	s_cbranch_execz .LBB859_681
; %bb.676:
	s_movk_i32 s7, 0x80
	v_cmp_ne_u16_e32 vcc, s7, v20
	v_mov_b32_e32 v19, 0xffff8000
	s_and_saveexec_b64 s[8:9], vcc
	s_cbranch_execz .LBB859_680
; %bb.677:
	v_bfe_u32 v20, v9, 16, 7
	s_movk_i32 s7, 0x7f
	v_cmp_ne_u32_e32 vcc, s7, v20
	v_mov_b32_e32 v19, 0x7f80
	s_and_saveexec_b64 s[10:11], vcc
	s_cbranch_execz .LBB859_679
; %bb.678:
	v_and_b32_e32 v19, 7, v6
	v_ffbh_u32_e32 v23, v19
	v_min_u32_e32 v23, 32, v23
	v_subrev_u32_e32 v24, 28, v23
	v_lshlrev_b64 v[24:25], v24, v[6:7]
	v_lshrrev_b32_e32 v21, 3, v20
	v_sub_u32_e32 v6, 29, v23
	v_and_b32_e32 v23, 7, v24
	v_cmp_gt_u32_e32 vcc, 8, v20
	v_mov_b32_e32 v20, 24
	v_cndmask_b32_e32 v6, v21, v6, vcc
	v_cndmask_b32_e32 v19, v19, v23, vcc
	v_lshlrev_b32_sdwa v20, v20, v9 dst_sel:DWORD dst_unused:UNUSED_PAD src0_sel:DWORD src1_sel:WORD_1
	v_bfrev_b32_e32 v21, 60
	v_lshlrev_b32_e32 v19, 20, v19
	v_and_b32_e32 v20, 0x80000000, v20
	v_lshl_add_u32 v6, v6, 23, v21
	v_or3_b32 v6, v20, v6, v19
	v_lshrrev_b32_e32 v19, 16, v6
.LBB859_679:
	s_or_b64 exec, exec, s[10:11]
.LBB859_680:
	s_or_b64 exec, exec, s[8:9]
.LBB859_681:
	s_or_b64 exec, exec, s[2:3]
	s_mov_b32 s2, 0xffffff
	v_cmp_lt_u32_e32 vcc, s2, v9
	s_and_saveexec_b64 s[2:3], vcc
	s_cbranch_execz .LBB859_687
; %bb.682:
	v_lshrrev_b32_e32 v6, 24, v9
	s_movk_i32 s7, 0x80
	v_cmp_ne_u32_e32 vcc, s7, v6
	v_mov_b32_e32 v18, 0xffff8000
	s_and_saveexec_b64 s[8:9], vcc
	s_cbranch_execz .LBB859_686
; %bb.683:
	v_bfe_u32 v9, v9, 24, 7
	s_movk_i32 s7, 0x7f
	v_cmp_ne_u32_e32 vcc, s7, v9
	v_mov_b32_e32 v18, 0x7f80
	s_and_saveexec_b64 s[10:11], vcc
	s_cbranch_execz .LBB859_685
; %bb.684:
	v_and_b32_e32 v18, 7, v6
	v_ffbh_u32_e32 v20, v18
	v_min_u32_e32 v24, 32, v20
	v_subrev_u32_e32 v20, 28, v24
	v_lshlrev_b64 v[20:21], v20, v[6:7]
	v_lshrrev_b32_e32 v23, 3, v9
	v_sub_u32_e32 v21, 29, v24
	v_and_b32_e32 v20, 7, v20
	v_cmp_gt_u32_e32 vcc, 8, v9
	v_cndmask_b32_e32 v9, v23, v21, vcc
	v_cndmask_b32_e32 v18, v18, v20, vcc
	v_lshlrev_b32_e32 v6, 24, v6
	v_bfrev_b32_e32 v20, 60
	v_lshlrev_b32_e32 v18, 20, v18
	v_and_b32_e32 v6, 0x80000000, v6
	v_lshl_add_u32 v9, v9, 23, v20
	v_or3_b32 v6, v6, v9, v18
	v_lshrrev_b32_e32 v18, 16, v6
.LBB859_685:
	s_or_b64 exec, exec, s[10:11]
.LBB859_686:
	s_or_b64 exec, exec, s[8:9]
.LBB859_687:
	s_or_b64 exec, exec, s[2:3]
	s_mov_b32 s2, 0x5040100
	v_perm_b32 v15, v15, v16, s2
	v_perm_b32 v14, v7, v14, s2
	ds_read_b128 v[24:27], v22 offset:4112
	v_perm_b32 v7, v18, v19, s2
	v_perm_b32 v6, v8, v17, s2
	s_waitcnt lgkmcnt(0)
	v_mfma_f32_16x16x16bf16_1k v[30:33], v[14:15], v[24:25], v[10:13]
	s_nop 6
	v_mov_b32_e32 v11, 0
	s_waitcnt vmcnt(0)
	v_cmp_ne_u16_sdwa s[8:9], v2, v11 src0_sel:BYTE_0 src1_sel:DWORD
	v_mfma_f32_16x16x16bf16_1k v[6:9], v[6:7], v[26:27], v[30:33]
	v_mov_b32_e32 v12, 0
	s_and_saveexec_b64 s[2:3], s[8:9]
	s_cbranch_execz .LBB859_693
; %bb.688:
	s_movk_i32 s7, 0x80
	v_cmp_ne_u16_sdwa s[10:11], v2, s7 src0_sel:BYTE_0 src1_sel:DWORD
	v_mov_b32_e32 v12, 0xffff8000
	s_and_saveexec_b64 s[8:9], s[10:11]
	s_cbranch_execz .LBB859_692
; %bb.689:
	s_movk_i32 s7, 0x7f
	v_and_b32_e32 v10, 0x7f, v2
	v_cmp_ne_u32_e32 vcc, s7, v10
	v_mov_b32_e32 v12, 0x7f80
	s_and_saveexec_b64 s[10:11], vcc
	s_cbranch_execz .LBB859_691
; %bb.690:
	v_and_b32_e32 v14, 7, v2
	v_ffbh_u32_e32 v12, v14
	v_min_u32_e32 v16, 32, v12
	v_subrev_u32_e32 v12, 28, v16
	v_lshlrev_b64 v[12:13], v12, v[2:3]
	v_lshrrev_b32_e32 v15, 3, v10
	v_sub_u32_e32 v13, 29, v16
	v_and_b32_e32 v12, 7, v12
	v_cmp_gt_u32_e32 vcc, 8, v10
	v_cndmask_b32_e32 v10, v15, v13, vcc
	v_cndmask_b32_e32 v12, v14, v12, vcc
	v_lshlrev_b32_e32 v13, 24, v2
	v_bfrev_b32_e32 v14, 60
	v_lshlrev_b32_e32 v12, 20, v12
	v_and_b32_e32 v13, 0x80000000, v13
	v_lshl_add_u32 v10, v10, 23, v14
	v_or3_b32 v10, v13, v10, v12
	v_lshrrev_b32_e32 v12, 16, v10
.LBB859_691:
	s_or_b64 exec, exec, s[10:11]
.LBB859_692:
	s_or_b64 exec, exec, s[8:9]
.LBB859_693:
	s_or_b64 exec, exec, s[2:3]
	v_lshrrev_b16_e32 v10, 8, v2
	v_cmp_ne_u16_e32 vcc, 0, v10
	s_and_saveexec_b64 s[2:3], vcc
	s_cbranch_execz .LBB859_699
; %bb.694:
	s_movk_i32 s7, 0x80
	v_cmp_ne_u16_e32 vcc, s7, v10
	v_mov_b32_e32 v11, 0xffff8000
	s_and_saveexec_b64 s[8:9], vcc
	s_cbranch_execz .LBB859_698
; %bb.695:
	s_movk_i32 s7, 0x7f
	v_and_b32_e32 v13, 0x7f, v10
	v_cmp_ne_u32_e32 vcc, s7, v13
	v_mov_b32_e32 v11, 0x7f80
	s_and_saveexec_b64 s[10:11], vcc
	s_cbranch_execz .LBB859_697
; %bb.696:
	v_and_b32_e32 v14, 7, v10
	v_ffbh_u32_e32 v11, v14
	v_min_u32_e32 v16, 32, v11
	v_subrev_u32_e32 v11, 28, v16
	v_lshlrev_b64 v[10:11], v11, v[10:11]
	v_lshrrev_b32_e32 v15, 3, v13
	v_sub_u32_e32 v11, 29, v16
	v_and_b32_e32 v10, 7, v10
	v_cmp_gt_u32_e32 vcc, 8, v13
	v_cndmask_b32_e32 v11, v15, v11, vcc
	v_cndmask_b32_e32 v10, v14, v10, vcc
	v_lshlrev_b32_e32 v13, 16, v2
	v_bfrev_b32_e32 v14, 60
	v_lshlrev_b32_e32 v10, 20, v10
	v_and_b32_e32 v13, 0x80000000, v13
	v_lshl_add_u32 v11, v11, 23, v14
	v_or3_b32 v10, v13, v11, v10
	v_lshrrev_b32_e32 v11, 16, v10
.LBB859_697:
	s_or_b64 exec, exec, s[10:11]
.LBB859_698:
	s_or_b64 exec, exec, s[8:9]
.LBB859_699:
	s_or_b64 exec, exec, s[2:3]
	s_movk_i32 s2, 0xff
	v_and_b32_sdwa v15, v2, s2 dst_sel:DWORD dst_unused:UNUSED_PAD src0_sel:WORD_1 src1_sel:DWORD
	v_lshrrev_b32_e32 v10, 16, v2
	v_cmp_ne_u16_e32 vcc, 0, v15
	v_mov_b32_e32 v13, 0
	v_mov_b32_e32 v14, 0
	s_and_saveexec_b64 s[2:3], vcc
	s_cbranch_execz .LBB859_705
; %bb.700:
	s_movk_i32 s7, 0x80
	v_cmp_ne_u16_e32 vcc, s7, v15
	v_mov_b32_e32 v14, 0xffff8000
	s_and_saveexec_b64 s[8:9], vcc
	s_cbranch_execz .LBB859_704
; %bb.701:
	v_bfe_u32 v15, v2, 16, 7
	s_movk_i32 s7, 0x7f
	v_cmp_ne_u32_e32 vcc, s7, v15
	v_mov_b32_e32 v14, 0x7f80
	s_and_saveexec_b64 s[10:11], vcc
	s_cbranch_execz .LBB859_703
; %bb.702:
	v_and_b32_e32 v14, 7, v10
	v_ffbh_u32_e32 v16, v14
	v_min_u32_e32 v19, 32, v16
	v_subrev_u32_e32 v16, 28, v19
	v_lshlrev_b64 v[16:17], v16, v[10:11]
	v_lshrrev_b32_e32 v18, 3, v15
	v_sub_u32_e32 v10, 29, v19
	v_and_b32_e32 v16, 7, v16
	v_cmp_gt_u32_e32 vcc, 8, v15
	v_mov_b32_e32 v15, 24
	v_cndmask_b32_e32 v10, v18, v10, vcc
	v_cndmask_b32_e32 v14, v14, v16, vcc
	v_lshlrev_b32_sdwa v15, v15, v2 dst_sel:DWORD dst_unused:UNUSED_PAD src0_sel:DWORD src1_sel:WORD_1
	v_bfrev_b32_e32 v16, 60
	v_lshlrev_b32_e32 v14, 20, v14
	v_and_b32_e32 v15, 0x80000000, v15
	v_lshl_add_u32 v10, v10, 23, v16
	v_or3_b32 v10, v15, v10, v14
	v_lshrrev_b32_e32 v14, 16, v10
.LBB859_703:
	s_or_b64 exec, exec, s[10:11]
.LBB859_704:
	s_or_b64 exec, exec, s[8:9]
.LBB859_705:
	s_or_b64 exec, exec, s[2:3]
	s_mov_b32 s2, 0xffffff
	v_cmp_lt_u32_e32 vcc, s2, v2
	s_and_saveexec_b64 s[2:3], vcc
	s_cbranch_execz .LBB859_711
; %bb.706:
	v_lshrrev_b32_e32 v10, 24, v2
	s_movk_i32 s7, 0x80
	v_cmp_ne_u32_e32 vcc, s7, v10
	v_mov_b32_e32 v13, 0xffff8000
	s_and_saveexec_b64 s[8:9], vcc
	s_cbranch_execz .LBB859_710
; %bb.707:
	v_bfe_u32 v2, v2, 24, 7
	s_movk_i32 s7, 0x7f
	v_cmp_ne_u32_e32 vcc, s7, v2
	v_mov_b32_e32 v13, 0x7f80
	s_and_saveexec_b64 s[10:11], vcc
	s_cbranch_execz .LBB859_709
; %bb.708:
	v_and_b32_e32 v13, 7, v10
	v_ffbh_u32_e32 v16, v13
	v_min_u32_e32 v18, 32, v16
	v_subrev_u32_e32 v16, 28, v18
	v_lshlrev_b64 v[16:17], v16, v[10:11]
	v_lshrrev_b32_e32 v15, 3, v2
	v_sub_u32_e32 v17, 29, v18
	v_and_b32_e32 v16, 7, v16
	v_cmp_gt_u32_e32 vcc, 8, v2
	v_cndmask_b32_e32 v2, v15, v17, vcc
	v_cndmask_b32_e32 v13, v13, v16, vcc
	v_lshlrev_b32_e32 v10, 24, v10
	v_bfrev_b32_e32 v15, 60
	v_lshlrev_b32_e32 v13, 20, v13
	v_and_b32_e32 v10, 0x80000000, v10
	v_lshl_add_u32 v2, v2, 23, v15
	v_or3_b32 v2, v10, v2, v13
	v_lshrrev_b32_e32 v13, 16, v2
.LBB859_709:
	s_or_b64 exec, exec, s[10:11]
.LBB859_710:
	s_or_b64 exec, exec, s[8:9]
.LBB859_711:
	s_or_b64 exec, exec, s[2:3]
	v_mov_b32_e32 v10, 0
	v_cmp_ne_u16_sdwa s[8:9], v3, v10 src0_sel:BYTE_0 src1_sel:DWORD
	v_mov_b32_e32 v15, 0
	s_and_saveexec_b64 s[2:3], s[8:9]
	s_cbranch_execz .LBB859_717
; %bb.712:
	s_movk_i32 s7, 0x80
	v_cmp_ne_u16_sdwa s[10:11], v3, s7 src0_sel:BYTE_0 src1_sel:DWORD
	v_mov_b32_e32 v15, 0xffff8000
	s_and_saveexec_b64 s[8:9], s[10:11]
	s_cbranch_execz .LBB859_716
; %bb.713:
	s_movk_i32 s7, 0x7f
	v_and_b32_e32 v2, 0x7f, v3
	v_cmp_ne_u32_e32 vcc, s7, v2
	v_mov_b32_e32 v15, 0x7f80
	s_and_saveexec_b64 s[10:11], vcc
	s_cbranch_execz .LBB859_715
; %bb.714:
	v_and_b32_e32 v15, 7, v3
	v_ffbh_u32_e32 v17, v15
	v_min_u32_e32 v19, 32, v17
	v_mov_b32_e32 v16, v3
	v_subrev_u32_e32 v17, 28, v19
	v_lshlrev_b64 v[16:17], v17, v[16:17]
	v_lshrrev_b32_e32 v18, 3, v2
	v_sub_u32_e32 v17, 29, v19
	v_and_b32_e32 v16, 7, v16
	v_cmp_gt_u32_e32 vcc, 8, v2
	v_cndmask_b32_e32 v2, v18, v17, vcc
	v_cndmask_b32_e32 v15, v15, v16, vcc
	v_lshlrev_b32_e32 v16, 24, v3
	v_bfrev_b32_e32 v17, 60
	v_lshlrev_b32_e32 v15, 20, v15
	v_and_b32_e32 v16, 0x80000000, v16
	v_lshl_add_u32 v2, v2, 23, v17
	v_or3_b32 v2, v16, v2, v15
	v_lshrrev_b32_e32 v15, 16, v2
.LBB859_715:
	s_or_b64 exec, exec, s[10:11]
.LBB859_716:
	s_or_b64 exec, exec, s[8:9]
.LBB859_717:
	s_or_b64 exec, exec, s[2:3]
	v_lshrrev_b16_e32 v2, 8, v3
	v_cmp_ne_u16_e32 vcc, 0, v2
	s_and_saveexec_b64 s[2:3], vcc
	s_cbranch_execz .LBB859_723
; %bb.718:
	s_movk_i32 s7, 0x80
	v_cmp_ne_u16_e32 vcc, s7, v2
	v_mov_b32_e32 v10, 0xffff8000
	s_and_saveexec_b64 s[8:9], vcc
	s_cbranch_execz .LBB859_722
; %bb.719:
	s_movk_i32 s7, 0x7f
	v_and_b32_e32 v16, 0x7f, v2
	v_cmp_ne_u32_e32 vcc, s7, v16
	v_mov_b32_e32 v10, 0x7f80
	s_and_saveexec_b64 s[10:11], vcc
	s_cbranch_execz .LBB859_721
; %bb.720:
	v_and_b32_e32 v10, 7, v2
	v_ffbh_u32_e32 v18, v10
	v_min_u32_e32 v20, 32, v18
	v_subrev_u32_e32 v18, 28, v20
	v_lshlrev_b64 v[18:19], v18, v[2:3]
	v_lshrrev_b32_e32 v17, 3, v16
	v_sub_u32_e32 v2, 29, v20
	v_and_b32_e32 v18, 7, v18
	v_cmp_gt_u32_e32 vcc, 8, v16
	v_cndmask_b32_e32 v2, v17, v2, vcc
	v_cndmask_b32_e32 v10, v10, v18, vcc
	v_lshlrev_b32_e32 v16, 16, v3
	v_bfrev_b32_e32 v17, 60
	v_lshlrev_b32_e32 v10, 20, v10
	v_and_b32_e32 v16, 0x80000000, v16
	v_lshl_add_u32 v2, v2, 23, v17
	v_or3_b32 v2, v16, v2, v10
	v_lshrrev_b32_e32 v10, 16, v2
.LBB859_721:
	s_or_b64 exec, exec, s[10:11]
.LBB859_722:
	s_or_b64 exec, exec, s[8:9]
.LBB859_723:
	s_or_b64 exec, exec, s[2:3]
	s_movk_i32 s2, 0xff
	v_and_b32_sdwa v18, v3, s2 dst_sel:DWORD dst_unused:UNUSED_PAD src0_sel:WORD_1 src1_sel:DWORD
	v_lshrrev_b32_e32 v2, 16, v3
	v_cmp_ne_u16_e32 vcc, 0, v18
	v_mov_b32_e32 v16, 0
	v_mov_b32_e32 v17, 0
	s_and_saveexec_b64 s[2:3], vcc
	s_cbranch_execz .LBB859_729
; %bb.724:
	s_movk_i32 s7, 0x80
	v_cmp_ne_u16_e32 vcc, s7, v18
	v_mov_b32_e32 v17, 0xffff8000
	s_and_saveexec_b64 s[8:9], vcc
	s_cbranch_execz .LBB859_728
; %bb.725:
	v_bfe_u32 v18, v3, 16, 7
	s_movk_i32 s7, 0x7f
	v_cmp_ne_u32_e32 vcc, s7, v18
	v_mov_b32_e32 v17, 0x7f80
	s_and_saveexec_b64 s[10:11], vcc
	s_cbranch_execz .LBB859_727
; %bb.726:
	v_and_b32_e32 v17, 7, v2
	v_ffbh_u32_e32 v20, v17
	v_min_u32_e32 v23, 32, v20
	v_subrev_u32_e32 v20, 28, v23
	v_lshlrev_b64 v[20:21], v20, v[2:3]
	v_lshrrev_b32_e32 v19, 3, v18
	v_sub_u32_e32 v2, 29, v23
	v_and_b32_e32 v20, 7, v20
	v_cmp_gt_u32_e32 vcc, 8, v18
	v_mov_b32_e32 v18, 24
	v_cndmask_b32_e32 v2, v19, v2, vcc
	v_cndmask_b32_e32 v17, v17, v20, vcc
	v_lshlrev_b32_sdwa v18, v18, v3 dst_sel:DWORD dst_unused:UNUSED_PAD src0_sel:DWORD src1_sel:WORD_1
	v_bfrev_b32_e32 v19, 60
	v_lshlrev_b32_e32 v17, 20, v17
	v_and_b32_e32 v18, 0x80000000, v18
	v_lshl_add_u32 v2, v2, 23, v19
	v_or3_b32 v2, v18, v2, v17
	v_lshrrev_b32_e32 v17, 16, v2
.LBB859_727:
	s_or_b64 exec, exec, s[10:11]
.LBB859_728:
	s_or_b64 exec, exec, s[8:9]
.LBB859_729:
	s_or_b64 exec, exec, s[2:3]
	s_mov_b32 s2, 0xffffff
	v_cmp_lt_u32_e32 vcc, s2, v3
	s_and_saveexec_b64 s[2:3], vcc
	s_cbranch_execz .LBB859_735
; %bb.730:
	v_lshrrev_b32_e32 v2, 24, v3
	s_movk_i32 s7, 0x80
	v_cmp_ne_u32_e32 vcc, s7, v2
	v_mov_b32_e32 v16, 0xffff8000
	s_and_saveexec_b64 s[8:9], vcc
	s_cbranch_execz .LBB859_734
; %bb.731:
	v_bfe_u32 v3, v3, 24, 7
	s_movk_i32 s7, 0x7f
	v_cmp_ne_u32_e32 vcc, s7, v3
	v_mov_b32_e32 v16, 0x7f80
	s_and_saveexec_b64 s[10:11], vcc
	s_cbranch_execz .LBB859_733
; %bb.732:
	v_and_b32_e32 v16, 7, v2
	v_ffbh_u32_e32 v18, v16
	v_min_u32_e32 v21, 32, v18
	v_subrev_u32_e32 v18, 28, v21
	v_lshlrev_b64 v[18:19], v18, v[2:3]
	v_lshrrev_b32_e32 v20, 3, v3
	v_sub_u32_e32 v19, 29, v21
	v_and_b32_e32 v18, 7, v18
	v_cmp_gt_u32_e32 vcc, 8, v3
	v_cndmask_b32_e32 v3, v20, v19, vcc
	v_cndmask_b32_e32 v16, v16, v18, vcc
	v_lshlrev_b32_e32 v2, 24, v2
	v_bfrev_b32_e32 v18, 60
	v_lshlrev_b32_e32 v16, 20, v16
	v_and_b32_e32 v2, 0x80000000, v2
	v_lshl_add_u32 v3, v3, 23, v18
	v_or3_b32 v2, v2, v3, v16
	v_lshrrev_b32_e32 v16, 16, v2
.LBB859_733:
	s_or_b64 exec, exec, s[10:11]
.LBB859_734:
	s_or_b64 exec, exec, s[8:9]
.LBB859_735:
	s_or_b64 exec, exec, s[2:3]
	s_mov_b32 s2, 0x5040100
	v_perm_b32 v3, v13, v14, s2
	v_perm_b32 v2, v11, v12, s2
	ds_read_b128 v[18:21], v22 offset:6144
	v_perm_b32 v13, v16, v17, s2
	v_perm_b32 v12, v10, v15, s2
	s_waitcnt lgkmcnt(0)
	v_mfma_f32_16x16x16bf16_1k v[6:9], v[2:3], v[18:19], v[6:9]
	v_mov_b32_e32 v3, 0
	v_cmp_ne_u16_sdwa s[8:9], v4, v3 src0_sel:BYTE_0 src1_sel:DWORD
	v_mov_b32_e32 v10, 0
	v_mfma_f32_16x16x16bf16_1k v[6:9], v[12:13], v[20:21], v[6:9]
	s_and_saveexec_b64 s[2:3], s[8:9]
	s_cbranch_execz .LBB859_741
; %bb.736:
	s_movk_i32 s7, 0x80
	v_cmp_ne_u16_sdwa s[10:11], v4, s7 src0_sel:BYTE_0 src1_sel:DWORD
	v_mov_b32_e32 v10, 0xffff8000
	s_and_saveexec_b64 s[8:9], s[10:11]
	s_cbranch_execz .LBB859_740
; %bb.737:
	s_movk_i32 s7, 0x7f
	v_and_b32_e32 v2, 0x7f, v4
	v_cmp_ne_u32_e32 vcc, s7, v2
	v_mov_b32_e32 v10, 0x7f80
	s_and_saveexec_b64 s[10:11], vcc
	s_cbranch_execz .LBB859_739
; %bb.738:
	v_and_b32_e32 v12, 7, v4
	v_ffbh_u32_e32 v10, v12
	v_min_u32_e32 v14, 32, v10
	v_subrev_u32_e32 v10, 28, v14
	v_lshlrev_b64 v[10:11], v10, v[4:5]
	v_lshrrev_b32_e32 v13, 3, v2
	v_sub_u32_e32 v11, 29, v14
	v_and_b32_e32 v10, 7, v10
	v_cmp_gt_u32_e32 vcc, 8, v2
	v_cndmask_b32_e32 v2, v13, v11, vcc
	v_cndmask_b32_e32 v10, v12, v10, vcc
	v_lshlrev_b32_e32 v11, 24, v4
	v_bfrev_b32_e32 v12, 60
	v_lshlrev_b32_e32 v10, 20, v10
	v_and_b32_e32 v11, 0x80000000, v11
	v_lshl_add_u32 v2, v2, 23, v12
	v_or3_b32 v2, v11, v2, v10
	v_lshrrev_b32_e32 v10, 16, v2
.LBB859_739:
	s_or_b64 exec, exec, s[10:11]
.LBB859_740:
	s_or_b64 exec, exec, s[8:9]
.LBB859_741:
	s_or_b64 exec, exec, s[2:3]
	v_lshrrev_b16_e32 v2, 8, v4
	v_cmp_ne_u16_e32 vcc, 0, v2
	s_and_saveexec_b64 s[2:3], vcc
	s_cbranch_execz .LBB859_747
; %bb.742:
	s_movk_i32 s7, 0x80
	v_cmp_ne_u16_e32 vcc, s7, v2
	v_mov_b32_e32 v3, 0xffff8000
	s_and_saveexec_b64 s[8:9], vcc
	s_cbranch_execz .LBB859_746
; %bb.743:
	s_movk_i32 s7, 0x7f
	v_and_b32_e32 v11, 0x7f, v2
	v_cmp_ne_u32_e32 vcc, s7, v11
	v_mov_b32_e32 v3, 0x7f80
	s_and_saveexec_b64 s[10:11], vcc
	s_cbranch_execz .LBB859_745
; %bb.744:
	v_and_b32_e32 v12, 7, v2
	v_ffbh_u32_e32 v3, v12
	v_min_u32_e32 v14, 32, v3
	v_subrev_u32_e32 v3, 28, v14
	v_lshlrev_b64 v[2:3], v3, v[2:3]
	v_lshrrev_b32_e32 v13, 3, v11
	v_sub_u32_e32 v3, 29, v14
	v_and_b32_e32 v2, 7, v2
	v_cmp_gt_u32_e32 vcc, 8, v11
	v_cndmask_b32_e32 v3, v13, v3, vcc
	v_cndmask_b32_e32 v2, v12, v2, vcc
	v_lshlrev_b32_e32 v11, 16, v4
	v_bfrev_b32_e32 v12, 60
	v_lshlrev_b32_e32 v2, 20, v2
	v_and_b32_e32 v11, 0x80000000, v11
	v_lshl_add_u32 v3, v3, 23, v12
	v_or3_b32 v2, v11, v3, v2
	v_lshrrev_b32_e32 v3, 16, v2
.LBB859_745:
	s_or_b64 exec, exec, s[10:11]
.LBB859_746:
	s_or_b64 exec, exec, s[8:9]
.LBB859_747:
	s_or_b64 exec, exec, s[2:3]
	s_movk_i32 s2, 0xff
	v_and_b32_sdwa v13, v4, s2 dst_sel:DWORD dst_unused:UNUSED_PAD src0_sel:WORD_1 src1_sel:DWORD
	v_lshrrev_b32_e32 v2, 16, v4
	v_cmp_ne_u16_e32 vcc, 0, v13
	v_mov_b32_e32 v11, 0
	v_mov_b32_e32 v12, 0
	s_and_saveexec_b64 s[2:3], vcc
	s_cbranch_execz .LBB859_753
; %bb.748:
	s_movk_i32 s7, 0x80
	v_cmp_ne_u16_e32 vcc, s7, v13
	v_mov_b32_e32 v12, 0xffff8000
	s_and_saveexec_b64 s[8:9], vcc
	s_cbranch_execz .LBB859_752
; %bb.749:
	v_bfe_u32 v13, v4, 16, 7
	s_movk_i32 s7, 0x7f
	v_cmp_ne_u32_e32 vcc, s7, v13
	v_mov_b32_e32 v12, 0x7f80
	s_and_saveexec_b64 s[10:11], vcc
	s_cbranch_execz .LBB859_751
; %bb.750:
	v_and_b32_e32 v12, 7, v2
	v_ffbh_u32_e32 v14, v12
	v_min_u32_e32 v17, 32, v14
	v_subrev_u32_e32 v14, 28, v17
	v_lshlrev_b64 v[14:15], v14, v[2:3]
	v_lshrrev_b32_e32 v16, 3, v13
	v_sub_u32_e32 v2, 29, v17
	v_and_b32_e32 v14, 7, v14
	v_cmp_gt_u32_e32 vcc, 8, v13
	v_mov_b32_e32 v13, 24
	v_cndmask_b32_e32 v2, v16, v2, vcc
	v_cndmask_b32_e32 v12, v12, v14, vcc
	v_lshlrev_b32_sdwa v13, v13, v4 dst_sel:DWORD dst_unused:UNUSED_PAD src0_sel:DWORD src1_sel:WORD_1
	v_bfrev_b32_e32 v14, 60
	v_lshlrev_b32_e32 v12, 20, v12
	v_and_b32_e32 v13, 0x80000000, v13
	v_lshl_add_u32 v2, v2, 23, v14
	v_or3_b32 v2, v13, v2, v12
	v_lshrrev_b32_e32 v12, 16, v2
.LBB859_751:
	s_or_b64 exec, exec, s[10:11]
.LBB859_752:
	s_or_b64 exec, exec, s[8:9]
.LBB859_753:
	s_or_b64 exec, exec, s[2:3]
	s_mov_b32 s2, 0xffffff
	v_cmp_lt_u32_e32 vcc, s2, v4
	s_and_saveexec_b64 s[2:3], vcc
	s_cbranch_execz .LBB859_759
; %bb.754:
	v_lshrrev_b32_e32 v2, 24, v4
	s_movk_i32 s7, 0x80
	v_cmp_ne_u32_e32 vcc, s7, v2
	v_mov_b32_e32 v11, 0xffff8000
	s_and_saveexec_b64 s[8:9], vcc
	s_cbranch_execz .LBB859_758
; %bb.755:
	v_bfe_u32 v4, v4, 24, 7
	s_movk_i32 s7, 0x7f
	v_cmp_ne_u32_e32 vcc, s7, v4
	v_mov_b32_e32 v11, 0x7f80
	s_and_saveexec_b64 s[10:11], vcc
	s_cbranch_execz .LBB859_757
; %bb.756:
	v_and_b32_e32 v11, 7, v2
	v_ffbh_u32_e32 v14, v11
	v_min_u32_e32 v16, 32, v14
	v_subrev_u32_e32 v14, 28, v16
	v_lshlrev_b64 v[14:15], v14, v[2:3]
	v_lshrrev_b32_e32 v13, 3, v4
	v_sub_u32_e32 v15, 29, v16
	v_and_b32_e32 v14, 7, v14
	v_cmp_gt_u32_e32 vcc, 8, v4
	v_cndmask_b32_e32 v4, v13, v15, vcc
	v_cndmask_b32_e32 v11, v11, v14, vcc
	v_lshlrev_b32_e32 v2, 24, v2
	v_bfrev_b32_e32 v13, 60
	v_lshlrev_b32_e32 v11, 20, v11
	v_and_b32_e32 v2, 0x80000000, v2
	v_lshl_add_u32 v4, v4, 23, v13
	v_or3_b32 v2, v2, v4, v11
	v_lshrrev_b32_e32 v11, 16, v2
.LBB859_757:
	s_or_b64 exec, exec, s[10:11]
.LBB859_758:
	s_or_b64 exec, exec, s[8:9]
.LBB859_759:
	s_or_b64 exec, exec, s[2:3]
	v_mov_b32_e32 v4, 0
	v_cmp_ne_u16_sdwa s[8:9], v5, v4 src0_sel:BYTE_0 src1_sel:DWORD
	v_mov_b32_e32 v13, 0
	s_and_saveexec_b64 s[2:3], s[8:9]
	s_cbranch_execz .LBB859_765
; %bb.760:
	s_movk_i32 s7, 0x80
	v_cmp_ne_u16_sdwa s[10:11], v5, s7 src0_sel:BYTE_0 src1_sel:DWORD
	v_mov_b32_e32 v13, 0xffff8000
	s_and_saveexec_b64 s[8:9], s[10:11]
	s_cbranch_execz .LBB859_764
; %bb.761:
	s_movk_i32 s7, 0x7f
	v_and_b32_e32 v2, 0x7f, v5
	v_cmp_ne_u32_e32 vcc, s7, v2
	v_mov_b32_e32 v13, 0x7f80
	s_and_saveexec_b64 s[10:11], vcc
	s_cbranch_execz .LBB859_763
; %bb.762:
	v_and_b32_e32 v13, 7, v5
	v_ffbh_u32_e32 v15, v13
	v_min_u32_e32 v17, 32, v15
	v_mov_b32_e32 v14, v5
	v_subrev_u32_e32 v15, 28, v17
	v_lshlrev_b64 v[14:15], v15, v[14:15]
	v_lshrrev_b32_e32 v16, 3, v2
	v_sub_u32_e32 v15, 29, v17
	v_and_b32_e32 v14, 7, v14
	v_cmp_gt_u32_e32 vcc, 8, v2
	v_cndmask_b32_e32 v2, v16, v15, vcc
	v_cndmask_b32_e32 v13, v13, v14, vcc
	v_lshlrev_b32_e32 v14, 24, v5
	v_bfrev_b32_e32 v15, 60
	v_lshlrev_b32_e32 v13, 20, v13
	v_and_b32_e32 v14, 0x80000000, v14
	v_lshl_add_u32 v2, v2, 23, v15
	v_or3_b32 v2, v14, v2, v13
	v_lshrrev_b32_e32 v13, 16, v2
.LBB859_763:
	s_or_b64 exec, exec, s[10:11]
.LBB859_764:
	s_or_b64 exec, exec, s[8:9]
.LBB859_765:
	s_or_b64 exec, exec, s[2:3]
	v_lshrrev_b16_e32 v2, 8, v5
	v_cmp_ne_u16_e32 vcc, 0, v2
	s_and_saveexec_b64 s[2:3], vcc
	s_cbranch_execz .LBB859_771
; %bb.766:
	s_movk_i32 s7, 0x80
	v_cmp_ne_u16_e32 vcc, s7, v2
	v_mov_b32_e32 v4, 0xffff8000
	s_and_saveexec_b64 s[8:9], vcc
	s_cbranch_execz .LBB859_770
; %bb.767:
	s_movk_i32 s7, 0x7f
	v_and_b32_e32 v14, 0x7f, v2
	v_cmp_ne_u32_e32 vcc, s7, v14
	v_mov_b32_e32 v4, 0x7f80
	s_and_saveexec_b64 s[10:11], vcc
	s_cbranch_execz .LBB859_769
; %bb.768:
	v_and_b32_e32 v4, 7, v2
	v_ffbh_u32_e32 v16, v4
	v_min_u32_e32 v18, 32, v16
	v_subrev_u32_e32 v16, 28, v18
	v_lshlrev_b64 v[16:17], v16, v[2:3]
	v_lshrrev_b32_e32 v15, 3, v14
	v_sub_u32_e32 v2, 29, v18
	v_and_b32_e32 v16, 7, v16
	v_cmp_gt_u32_e32 vcc, 8, v14
	v_cndmask_b32_e32 v2, v15, v2, vcc
	v_cndmask_b32_e32 v4, v4, v16, vcc
	v_lshlrev_b32_e32 v14, 16, v5
	v_bfrev_b32_e32 v15, 60
	v_lshlrev_b32_e32 v4, 20, v4
	v_and_b32_e32 v14, 0x80000000, v14
	v_lshl_add_u32 v2, v2, 23, v15
	v_or3_b32 v2, v14, v2, v4
	v_lshrrev_b32_e32 v4, 16, v2
.LBB859_769:
	s_or_b64 exec, exec, s[10:11]
.LBB859_770:
	s_or_b64 exec, exec, s[8:9]
.LBB859_771:
	s_or_b64 exec, exec, s[2:3]
	s_movk_i32 s2, 0xff
	v_and_b32_sdwa v16, v5, s2 dst_sel:DWORD dst_unused:UNUSED_PAD src0_sel:WORD_1 src1_sel:DWORD
	v_lshrrev_b32_e32 v2, 16, v5
	v_cmp_ne_u16_e32 vcc, 0, v16
	v_mov_b32_e32 v14, 0
	v_mov_b32_e32 v15, 0
	s_and_saveexec_b64 s[2:3], vcc
	s_cbranch_execz .LBB859_777
; %bb.772:
	s_movk_i32 s7, 0x80
	v_cmp_ne_u16_e32 vcc, s7, v16
	v_mov_b32_e32 v15, 0xffff8000
	s_and_saveexec_b64 s[8:9], vcc
	s_cbranch_execz .LBB859_776
; %bb.773:
	v_bfe_u32 v16, v5, 16, 7
	s_movk_i32 s7, 0x7f
	v_cmp_ne_u32_e32 vcc, s7, v16
	v_mov_b32_e32 v15, 0x7f80
	s_and_saveexec_b64 s[10:11], vcc
	s_cbranch_execz .LBB859_775
; %bb.774:
	v_and_b32_e32 v15, 7, v2
	v_ffbh_u32_e32 v18, v15
	v_min_u32_e32 v20, 32, v18
	v_subrev_u32_e32 v18, 28, v20
	v_lshlrev_b64 v[18:19], v18, v[2:3]
	v_lshrrev_b32_e32 v17, 3, v16
	v_sub_u32_e32 v2, 29, v20
	v_and_b32_e32 v18, 7, v18
	v_cmp_gt_u32_e32 vcc, 8, v16
	v_mov_b32_e32 v16, 24
	v_cndmask_b32_e32 v2, v17, v2, vcc
	v_cndmask_b32_e32 v15, v15, v18, vcc
	v_lshlrev_b32_sdwa v16, v16, v5 dst_sel:DWORD dst_unused:UNUSED_PAD src0_sel:DWORD src1_sel:WORD_1
	v_bfrev_b32_e32 v17, 60
	v_lshlrev_b32_e32 v15, 20, v15
	v_and_b32_e32 v16, 0x80000000, v16
	v_lshl_add_u32 v2, v2, 23, v17
	v_or3_b32 v2, v16, v2, v15
	v_lshrrev_b32_e32 v15, 16, v2
.LBB859_775:
	s_or_b64 exec, exec, s[10:11]
.LBB859_776:
	s_or_b64 exec, exec, s[8:9]
.LBB859_777:
	s_or_b64 exec, exec, s[2:3]
	s_mov_b32 s2, 0xffffff
	v_cmp_lt_u32_e32 vcc, s2, v5
	s_and_saveexec_b64 s[2:3], vcc
	s_cbranch_execz .LBB859_783
; %bb.778:
	v_lshrrev_b32_e32 v2, 24, v5
	s_movk_i32 s7, 0x80
	v_cmp_ne_u32_e32 vcc, s7, v2
	v_mov_b32_e32 v14, 0xffff8000
	s_and_saveexec_b64 s[8:9], vcc
	s_cbranch_execz .LBB859_782
; %bb.779:
	v_bfe_u32 v5, v5, 24, 7
	s_movk_i32 s7, 0x7f
	v_cmp_ne_u32_e32 vcc, s7, v5
	v_mov_b32_e32 v14, 0x7f80
	s_and_saveexec_b64 s[10:11], vcc
	s_cbranch_execz .LBB859_781
; %bb.780:
	v_and_b32_e32 v14, 7, v2
	v_ffbh_u32_e32 v16, v14
	v_min_u32_e32 v19, 32, v16
	v_subrev_u32_e32 v16, 28, v19
	v_lshlrev_b64 v[16:17], v16, v[2:3]
	v_lshrrev_b32_e32 v18, 3, v5
	v_sub_u32_e32 v17, 29, v19
	v_and_b32_e32 v16, 7, v16
	v_cmp_gt_u32_e32 vcc, 8, v5
	v_cndmask_b32_e32 v5, v18, v17, vcc
	v_cndmask_b32_e32 v14, v14, v16, vcc
	v_lshlrev_b32_e32 v2, 24, v2
	v_bfrev_b32_e32 v16, 60
	v_lshlrev_b32_e32 v14, 20, v14
	v_and_b32_e32 v2, 0x80000000, v2
	v_lshl_add_u32 v5, v5, 23, v16
	v_or3_b32 v2, v2, v5, v14
	v_lshrrev_b32_e32 v14, 16, v2
.LBB859_781:
	s_or_b64 exec, exec, s[10:11]
.LBB859_782:
	s_or_b64 exec, exec, s[8:9]
.LBB859_783:
	s_or_b64 exec, exec, s[2:3]
	s_mov_b32 s3, 0x5040100
	v_perm_b32 v11, v11, v12, s3
	ds_read_b128 v[16:19], v22 offset:6160
	v_perm_b32 v10, v3, v10, s3
	v_perm_b32 v3, v14, v15, s3
	;; [unrolled: 1-line block ×3, first 2 shown]
	s_waitcnt lgkmcnt(0)
	v_mfma_f32_16x16x16bf16_1k v[6:9], v[10:11], v[16:17], v[6:9]
	s_load_dword s2, s[42:43], 0x0
	s_mov_b32 s3, 0x7060302
	s_movk_i32 s7, 0x7fff
	v_cmp_gt_u32_e32 vcc, 64, v0
	s_and_b64 s[0:1], vcc, s[0:1]
	s_waitcnt lgkmcnt(0)
	s_barrier
	v_mfma_f32_16x16x16bf16_1k v[2:5], v[2:3], v[18:19], v[6:9]
	s_nop 7
	s_nop 2
	v_pk_mul_f32 v[4:5], v[4:5], s[2:3] op_sel_hi:[1,0]
	v_pk_mul_f32 v[2:3], v[2:3], s[2:3] op_sel_hi:[1,0]
	v_bfe_u32 v6, v3, 16, 1
	v_bfe_u32 v7, v2, 16, 1
	;; [unrolled: 1-line block ×4, first 2 shown]
	v_add3_u32 v2, v2, v7, s7
	v_add3_u32 v3, v3, v6, s7
	;; [unrolled: 1-line block ×4, first 2 shown]
	v_perm_b32 v2, v3, v2, s3
	v_perm_b32 v3, v5, v4, s3
	ds_write_b64 v28, v[2:3]
	s_waitcnt lgkmcnt(0)
	s_barrier
	s_and_saveexec_b64 s[2:3], s[0:1]
	s_cbranch_execz .LBB859_786
; %bb.784:
	s_load_dwordx2 s[2:3], s[4:5], 0x68
	s_lshl_b32 s0, s44, 6
	s_mul_i32 s1, s12, s6
	s_mul_hi_u32 s7, s1, s0
	s_mul_i32 s6, s1, s0
	s_lshl_b64 s[6:7], s[6:7], 1
	s_waitcnt lgkmcnt(0)
	s_add_u32 s1, s2, s6
	v_lshlrev_b32_e32 v0, 10, v0
	s_mov_b32 s5, 0
	s_addc_u32 s6, s3, s7
	s_lshl_b32 s4, s24, 6
	v_and_b32_e32 v0, 0x1800, v0
	v_lshlrev_b32_e32 v2, 5, v1
	v_and_b32_e32 v3, 16, v47
	s_lshl_b64 s[2:3], s[4:5], 1
	v_or3_b32 v0, v0, v2, v3
	s_add_u32 s1, s1, s2
	ds_read_b128 v[6:9], v0 offset:256
	v_or_b32_e32 v2, 12, v1
	s_addc_u32 s2, s6, s3
	ds_read_b128 v[10:13], v0 offset:128
	ds_read_b128 v[14:17], v0
	v_add_u32_e32 v1, s25, v1
	v_mov_b32_e32 v4, s2
	v_add_co_u32_e32 v3, vcc, s1, v46
	v_mad_u64_u32 v[18:19], s[2:3], v1, s0, 0
	v_addc_co_u32_e32 v4, vcc, 0, v4, vcc
	v_lshlrev_b64 v[18:19], 1, v[18:19]
	v_add_co_u32_e32 v18, vcc, v3, v18
	v_addc_co_u32_e32 v19, vcc, v4, v19, vcc
	v_add_u32_e32 v5, 4, v1
	s_waitcnt lgkmcnt(0)
	global_store_dwordx4 v[18:19], v[14:17], off
	v_add_u32_e32 v1, 8, v1
	v_mad_u64_u32 v[14:15], s[2:3], v5, s0, 0
	v_lshlrev_b64 v[14:15], 1, v[14:15]
	v_add_co_u32_e32 v14, vcc, v3, v14
	v_addc_co_u32_e32 v15, vcc, v4, v15, vcc
	global_store_dwordx4 v[14:15], v[10:13], off
	s_nop 0
	v_mad_u64_u32 v[10:11], s[2:3], v1, s0, 0
	v_lshlrev_b64 v[10:11], 1, v[10:11]
	v_add_co_u32_e32 v10, vcc, v3, v10
	v_addc_co_u32_e32 v11, vcc, v4, v11, vcc
	v_cmp_gt_u32_e32 vcc, 14, v2
	global_store_dwordx4 v[10:11], v[6:9], off
	s_and_b64 exec, exec, vcc
	s_cbranch_execz .LBB859_786
; %bb.785:
	ds_read_b128 v[6:9], v0 offset:384
	v_add_u32_e32 v0, s25, v2
	v_mad_u64_u32 v[0:1], s[0:1], v0, s0, 0
	v_lshlrev_b64 v[0:1], 1, v[0:1]
	v_add_co_u32_e32 v0, vcc, v3, v0
	v_addc_co_u32_e32 v1, vcc, v4, v1, vcc
	s_waitcnt lgkmcnt(0)
	global_store_dwordx4 v[0:1], v[6:9], off
.LBB859_786:
	s_endpgm
	.section	.rodata,"a",@progbits
	.p2align	6, 0x0
	.amdhsa_kernel _Z39paged_attention_ll4mi_QKV_mfma16_kernelI14__hip_bfloat16hLN4vllm18Fp8KVCacheDataTypeE1ES0_Li16ELi64ELi256ELb0ELi14EL8MFMAType0EEvPKT_PKT0_S9_ifPKiSB_SB_iPKfiiiPfSE_PS4_PT2_iSD_SD_
		.amdhsa_group_segment_fixed_size 8192
		.amdhsa_private_segment_fixed_size 0
		.amdhsa_kernarg_size 400
		.amdhsa_user_sgpr_count 6
		.amdhsa_user_sgpr_private_segment_buffer 1
		.amdhsa_user_sgpr_dispatch_ptr 0
		.amdhsa_user_sgpr_queue_ptr 0
		.amdhsa_user_sgpr_kernarg_segment_ptr 1
		.amdhsa_user_sgpr_dispatch_id 0
		.amdhsa_user_sgpr_flat_scratch_init 0
		.amdhsa_user_sgpr_kernarg_preload_length 0
		.amdhsa_user_sgpr_kernarg_preload_offset 0
		.amdhsa_user_sgpr_private_segment_size 0
		.amdhsa_uses_dynamic_stack 0
		.amdhsa_system_sgpr_private_segment_wavefront_offset 0
		.amdhsa_system_sgpr_workgroup_id_x 1
		.amdhsa_system_sgpr_workgroup_id_y 1
		.amdhsa_system_sgpr_workgroup_id_z 1
		.amdhsa_system_sgpr_workgroup_info 0
		.amdhsa_system_vgpr_workitem_id 0
		.amdhsa_next_free_vgpr 61
		.amdhsa_next_free_sgpr 47
		.amdhsa_accum_offset 64
		.amdhsa_reserve_vcc 1
		.amdhsa_reserve_flat_scratch 0
		.amdhsa_float_round_mode_32 0
		.amdhsa_float_round_mode_16_64 0
		.amdhsa_float_denorm_mode_32 3
		.amdhsa_float_denorm_mode_16_64 3
		.amdhsa_dx10_clamp 1
		.amdhsa_ieee_mode 1
		.amdhsa_fp16_overflow 0
		.amdhsa_tg_split 0
		.amdhsa_exception_fp_ieee_invalid_op 0
		.amdhsa_exception_fp_denorm_src 0
		.amdhsa_exception_fp_ieee_div_zero 0
		.amdhsa_exception_fp_ieee_overflow 0
		.amdhsa_exception_fp_ieee_underflow 0
		.amdhsa_exception_fp_ieee_inexact 0
		.amdhsa_exception_int_div_zero 0
	.end_amdhsa_kernel
	.section	.text._Z39paged_attention_ll4mi_QKV_mfma16_kernelI14__hip_bfloat16hLN4vllm18Fp8KVCacheDataTypeE1ES0_Li16ELi64ELi256ELb0ELi14EL8MFMAType0EEvPKT_PKT0_S9_ifPKiSB_SB_iPKfiiiPfSE_PS4_PT2_iSD_SD_,"axG",@progbits,_Z39paged_attention_ll4mi_QKV_mfma16_kernelI14__hip_bfloat16hLN4vllm18Fp8KVCacheDataTypeE1ES0_Li16ELi64ELi256ELb0ELi14EL8MFMAType0EEvPKT_PKT0_S9_ifPKiSB_SB_iPKfiiiPfSE_PS4_PT2_iSD_SD_,comdat
.Lfunc_end859:
	.size	_Z39paged_attention_ll4mi_QKV_mfma16_kernelI14__hip_bfloat16hLN4vllm18Fp8KVCacheDataTypeE1ES0_Li16ELi64ELi256ELb0ELi14EL8MFMAType0EEvPKT_PKT0_S9_ifPKiSB_SB_iPKfiiiPfSE_PS4_PT2_iSD_SD_, .Lfunc_end859-_Z39paged_attention_ll4mi_QKV_mfma16_kernelI14__hip_bfloat16hLN4vllm18Fp8KVCacheDataTypeE1ES0_Li16ELi64ELi256ELb0ELi14EL8MFMAType0EEvPKT_PKT0_S9_ifPKiSB_SB_iPKfiiiPfSE_PS4_PT2_iSD_SD_
                                        ; -- End function
	.section	.AMDGPU.csdata,"",@progbits
; Kernel info:
; codeLenInByte = 28372
; NumSgprs: 51
; NumVgprs: 61
; NumAgprs: 0
; TotalNumVgprs: 61
; ScratchSize: 0
; MemoryBound: 0
; FloatMode: 240
; IeeeMode: 1
; LDSByteSize: 8192 bytes/workgroup (compile time only)
; SGPRBlocks: 6
; VGPRBlocks: 7
; NumSGPRsForWavesPerEU: 51
; NumVGPRsForWavesPerEU: 61
; AccumOffset: 64
; Occupancy: 8
; WaveLimiterHint : 1
; COMPUTE_PGM_RSRC2:SCRATCH_EN: 0
; COMPUTE_PGM_RSRC2:USER_SGPR: 6
; COMPUTE_PGM_RSRC2:TRAP_HANDLER: 0
; COMPUTE_PGM_RSRC2:TGID_X_EN: 1
; COMPUTE_PGM_RSRC2:TGID_Y_EN: 1
; COMPUTE_PGM_RSRC2:TGID_Z_EN: 1
; COMPUTE_PGM_RSRC2:TIDIG_COMP_CNT: 0
; COMPUTE_PGM_RSRC3_GFX90A:ACCUM_OFFSET: 15
; COMPUTE_PGM_RSRC3_GFX90A:TG_SPLIT: 0
	.section	.text._Z39paged_attention_ll4mi_QKV_mfma16_kernelI14__hip_bfloat16hLN4vllm18Fp8KVCacheDataTypeE1ES0_Li16ELi64ELi256ELb0ELi15EL8MFMAType0EEvPKT_PKT0_S9_ifPKiSB_SB_iPKfiiiPfSE_PS4_PT2_iSD_SD_,"axG",@progbits,_Z39paged_attention_ll4mi_QKV_mfma16_kernelI14__hip_bfloat16hLN4vllm18Fp8KVCacheDataTypeE1ES0_Li16ELi64ELi256ELb0ELi15EL8MFMAType0EEvPKT_PKT0_S9_ifPKiSB_SB_iPKfiiiPfSE_PS4_PT2_iSD_SD_,comdat
	.protected	_Z39paged_attention_ll4mi_QKV_mfma16_kernelI14__hip_bfloat16hLN4vllm18Fp8KVCacheDataTypeE1ES0_Li16ELi64ELi256ELb0ELi15EL8MFMAType0EEvPKT_PKT0_S9_ifPKiSB_SB_iPKfiiiPfSE_PS4_PT2_iSD_SD_ ; -- Begin function _Z39paged_attention_ll4mi_QKV_mfma16_kernelI14__hip_bfloat16hLN4vllm18Fp8KVCacheDataTypeE1ES0_Li16ELi64ELi256ELb0ELi15EL8MFMAType0EEvPKT_PKT0_S9_ifPKiSB_SB_iPKfiiiPfSE_PS4_PT2_iSD_SD_
	.globl	_Z39paged_attention_ll4mi_QKV_mfma16_kernelI14__hip_bfloat16hLN4vllm18Fp8KVCacheDataTypeE1ES0_Li16ELi64ELi256ELb0ELi15EL8MFMAType0EEvPKT_PKT0_S9_ifPKiSB_SB_iPKfiiiPfSE_PS4_PT2_iSD_SD_
	.p2align	8
	.type	_Z39paged_attention_ll4mi_QKV_mfma16_kernelI14__hip_bfloat16hLN4vllm18Fp8KVCacheDataTypeE1ES0_Li16ELi64ELi256ELb0ELi15EL8MFMAType0EEvPKT_PKT0_S9_ifPKiSB_SB_iPKfiiiPfSE_PS4_PT2_iSD_SD_,@function
_Z39paged_attention_ll4mi_QKV_mfma16_kernelI14__hip_bfloat16hLN4vllm18Fp8KVCacheDataTypeE1ES0_Li16ELi64ELi256ELb0ELi15EL8MFMAType0EEvPKT_PKT0_S9_ifPKiSB_SB_iPKfiiiPfSE_PS4_PT2_iSD_SD_: ; @_Z39paged_attention_ll4mi_QKV_mfma16_kernelI14__hip_bfloat16hLN4vllm18Fp8KVCacheDataTypeE1ES0_Li16ELi64ELi256ELb0ELi15EL8MFMAType0EEvPKT_PKT0_S9_ifPKiSB_SB_iPKfiiiPfSE_PS4_PT2_iSD_SD_
; %bb.0:
	s_load_dwordx2 s[0:1], s[4:5], 0x30
	s_mov_b32 s24, s7
	s_mov_b64 s[10:11], 0
	s_waitcnt lgkmcnt(0)
	s_cmp_lg_u64 s[0:1], 0
	s_cselect_b64 s[2:3], -1, 0
	s_and_b64 vcc, exec, s[2:3]
	s_cbranch_vccz .LBB860_7
; %bb.1:
	s_add_i32 s12, s6, 1
	s_mov_b32 s13, 0
	s_lshl_b64 s[14:15], s[12:13], 2
	s_add_u32 s14, s0, s14
	s_mov_b32 s7, s13
	s_addc_u32 s15, s1, s15
	s_lshl_b64 s[12:13], s[6:7], 2
	s_add_u32 s12, s0, s12
	s_addc_u32 s13, s1, s13
	s_load_dword s9, s[14:15], 0x0
	s_load_dword s16, s[12:13], 0x0
	s_waitcnt lgkmcnt(0)
	s_sub_i32 s9, s9, s16
	s_cmp_eq_u32 s9, 1
	s_cselect_b64 s[12:13], -1, 0
	s_andn2_b64 vcc, exec, s[10:11]
	s_cbranch_vccnz .LBB860_3
.LBB860_2:
	s_mov_b32 s7, 0
	s_mov_b64 s[12:13], -1
.LBB860_3:
	s_andn2_b64 vcc, exec, s[12:13]
	s_cbranch_vccnz .LBB860_786
; %bb.4:
	s_load_dwordx2 s[12:13], s[4:5], 0x28
	s_lshl_b64 s[10:11], s[6:7], 2
	s_waitcnt lgkmcnt(0)
	s_add_u32 s12, s12, s10
	s_addc_u32 s13, s13, s11
	s_load_dword s33, s[12:13], 0x0
	s_lshl_b32 s20, s24, 8
	s_waitcnt lgkmcnt(0)
	s_cmp_ge_i32 s20, s33
	s_cbranch_scc1 .LBB860_786
; %bb.5:
	s_add_i32 s14, s33, 15
	s_load_dwordx2 s[12:13], s[4:5], 0x20
	s_load_dword s9, s[4:5], 0x38
	s_ashr_i32 s15, s14, 31
	v_and_b32_e32 v1, 0xcf, v0
	s_lshr_b32 s15, s15, 28
	v_add_u32_e32 v1, s20, v1
	s_add_i32 s14, s14, s15
	v_ashrrev_i32_e32 v2, 31, v1
	s_ashr_i32 s22, s14, 4
	v_lshrrev_b32_e32 v4, 28, v2
	s_add_i32 s22, s22, -1
	v_add_u32_e32 v2, v1, v4
	s_waitcnt lgkmcnt(0)
	s_mul_i32 s14, s6, s9
	s_mov_b32 s15, 0
	v_ashrrev_i32_e32 v2, 4, v2
	v_mov_b32_e32 v5, s22
	v_cmp_gt_i32_e32 vcc, s33, v1
	s_lshl_b64 s[14:15], s[14:15], 2
	v_cndmask_b32_e32 v2, v5, v2, vcc
	s_add_u32 s9, s12, s14
	v_ashrrev_i32_e32 v3, 31, v2
	s_addc_u32 s21, s13, s15
	v_lshlrev_b64 v[2:3], 2, v[2:3]
	v_mov_b32_e32 v7, s21
	v_add_co_u32_e32 v6, vcc, s9, v2
	v_or_b32_e32 v2, 16, v1
	v_addc_co_u32_e32 v7, vcc, v7, v3, vcc
	v_add_u32_e32 v3, v2, v4
	v_ashrrev_i32_e32 v3, 4, v3
	v_cmp_gt_i32_e32 vcc, s33, v2
	v_cndmask_b32_e32 v2, v5, v3, vcc
	v_ashrrev_i32_e32 v3, 31, v2
	v_lshlrev_b64 v[2:3], 2, v[2:3]
	v_mov_b32_e32 v9, s21
	v_add_co_u32_e32 v8, vcc, s9, v2
	v_or_b32_e32 v2, 32, v1
	v_addc_co_u32_e32 v9, vcc, v9, v3, vcc
	v_add_u32_e32 v3, v2, v4
	v_ashrrev_i32_e32 v3, 4, v3
	v_cmp_gt_i32_e32 vcc, s33, v2
	v_cndmask_b32_e32 v2, v5, v3, vcc
	v_ashrrev_i32_e32 v3, 31, v2
	;; [unrolled: 10-line block ×3, first 2 shown]
	v_lshlrev_b64 v[2:3], 2, v[2:3]
	v_mov_b32_e32 v1, s21
	v_add_co_u32_e32 v12, vcc, s9, v2
	v_addc_co_u32_e32 v13, vcc, v1, v3, vcc
	global_load_dword v4, v[6:7], off
	global_load_dword v5, v[8:9], off
	global_load_dword v2, v[10:11], off
	global_load_dword v3, v[12:13], off
	s_load_dwordx4 s[12:15], s[4:5], 0x8
	s_andn2_b64 vcc, exec, s[2:3]
	s_cbranch_vccnz .LBB860_8
; %bb.6:
	s_add_u32 s0, s0, s10
	s_addc_u32 s1, s1, s11
	s_load_dword s10, s[0:1], 0x0
	s_branch .LBB860_9
.LBB860_7:
	s_mov_b64 s[12:13], 0
	s_branch .LBB860_2
.LBB860_8:
	s_mov_b32 s10, s6
.LBB860_9:
	s_load_dwordx4 s[16:19], s[4:5], 0x48
	v_lshrrev_b32_e32 v49, 6, v0
	v_bfe_u32 v1, v0, 4, 2
	v_lshl_or_b32 v6, v49, 2, v1
	v_and_b32_e32 v48, 15, v0
	v_lshlrev_b32_e32 v7, 3, v48
	v_cmp_gt_u32_e32 vcc, 15, v6
	v_cmp_gt_u32_e64 s[0:1], 8, v48
	s_mul_i32 s25, s8, 15
	s_and_b64 s[26:27], s[0:1], vcc
	v_lshlrev_b32_e32 v46, 1, v7
	v_lshlrev_b32_e32 v47, 4, v0
	s_and_saveexec_b64 s[2:3], s[26:27]
	s_cbranch_execz .LBB860_11
; %bb.10:
	s_load_dwordx2 s[26:27], s[4:5], 0x0
	s_waitcnt lgkmcnt(0)
	s_ashr_i32 s11, s16, 31
	s_mul_hi_u32 s19, s10, s16
	s_mul_i32 s11, s10, s11
	s_add_i32 s11, s19, s11
	s_mul_i32 s10, s10, s16
	s_lshl_b64 s[10:11], s[10:11], 1
	v_add_lshl_u32 v8, v6, s25, 6
	s_add_u32 s10, s26, s10
	v_ashrrev_i32_e32 v9, 31, v8
	s_addc_u32 s11, s27, s11
	v_lshlrev_b64 v[8:9], 1, v[8:9]
	v_mov_b32_e32 v7, s11
	v_add_co_u32_e32 v8, vcc, s10, v8
	v_addc_co_u32_e32 v7, vcc, v7, v9, vcc
	v_add_co_u32_e32 v8, vcc, v8, v46
	v_addc_co_u32_e32 v9, vcc, 0, v7, vcc
	global_load_dwordx4 v[8:11], v[8:9], off
	v_lshlrev_b32_e32 v12, 8, v48
	v_lshlrev_b32_e32 v6, 5, v6
	v_and_b32_e32 v7, 16, v47
	v_and_b32_e32 v12, 0xe00, v12
	v_or3_b32 v6, v12, v6, v7
	s_waitcnt vmcnt(0)
	ds_write_b128 v6, v[8:11]
.LBB860_11:
	s_or_b64 exec, exec, s[2:3]
	v_and_b32_e32 v12, 48, v0
	v_or_b32_e32 v13, s20, v12
	v_ashrrev_i32_e32 v6, 4, v13
	v_mov_b32_e32 v14, s22
	v_cmp_gt_i32_e32 vcc, s33, v13
	v_cndmask_b32_e32 v6, v14, v6, vcc
	v_ashrrev_i32_e32 v7, 31, v6
	v_lshlrev_b64 v[6:7], 2, v[6:7]
	v_mov_b32_e32 v8, s21
	v_add_co_u32_e32 v6, vcc, s9, v6
	v_addc_co_u32_e32 v7, vcc, v8, v7, vcc
	v_or_b32_e32 v8, 64, v13
	v_ashrrev_i32_e32 v9, 4, v8
	v_cmp_gt_i32_e32 vcc, s33, v8
	v_cndmask_b32_e32 v8, v14, v9, vcc
	v_ashrrev_i32_e32 v9, 31, v8
	v_lshlrev_b64 v[8:9], 2, v[8:9]
	v_mov_b32_e32 v10, s21
	v_add_co_u32_e32 v8, vcc, s9, v8
	v_addc_co_u32_e32 v9, vcc, v10, v9, vcc
	v_or_b32_e32 v10, 0x80, v13
	v_ashrrev_i32_e32 v11, 4, v10
	v_cmp_gt_i32_e32 vcc, s33, v10
	v_cndmask_b32_e32 v10, v14, v11, vcc
	v_ashrrev_i32_e32 v11, 31, v10
	v_lshlrev_b64 v[10:11], 2, v[10:11]
	v_mov_b32_e32 v15, s21
	v_add_co_u32_e32 v10, vcc, s9, v10
	s_load_dwordx2 s[44:45], s[4:5], 0x94
	s_load_dwordx4 s[40:43], s[4:5], 0x80
	s_waitcnt lgkmcnt(0)
	s_barrier
	v_addc_co_u32_e32 v11, vcc, v15, v11, vcc
	global_load_dword v15, v[6:7], off
	global_load_dword v16, v[8:9], off
	;; [unrolled: 1-line block ×3, first 2 shown]
	v_or_b32_e32 v6, 0xc0, v13
	v_ashrrev_i32_e32 v7, 4, v6
	v_cmp_gt_i32_e32 vcc, s33, v6
	v_cndmask_b32_e32 v6, v14, v7, vcc
	v_ashrrev_i32_e32 v7, 31, v6
	v_lshlrev_b64 v[6:7], 2, v[6:7]
	v_mov_b32_e32 v8, s21
	v_add_co_u32_e32 v6, vcc, s9, v6
	v_addc_co_u32_e32 v7, vcc, v8, v7, vcc
	global_load_dword v20, v[6:7], off
	s_mul_i32 s8, s8, s18
	s_add_u32 s2, s12, s8
	s_addc_u32 s3, s13, 0
	v_and_b32_e32 v6, 0xf0, v47
	v_mov_b32_e32 v7, s3
	v_add_co_u32_e32 v6, vcc, s2, v6
	v_addc_co_u32_e32 v7, vcc, 0, v7, vcc
	v_lshlrev_b32_e32 v8, 4, v12
	v_add_co_u32_e32 v6, vcc, v6, v8
	v_addc_co_u32_e32 v7, vcc, 0, v7, vcc
	s_waitcnt vmcnt(7)
	v_mad_i64_i32 v[8:9], s[2:3], v4, s17, v[6:7]
	s_waitcnt vmcnt(6)
	v_mad_i64_i32 v[4:5], s[2:3], v5, s17, v[6:7]
	global_load_dwordx4 v[30:33], v[8:9], off
	global_load_dwordx4 v[38:41], v[4:5], off
	s_waitcnt vmcnt(7)
	v_mad_i64_i32 v[4:5], s[2:3], v2, s17, v[6:7]
	s_waitcnt vmcnt(6)
	v_mad_i64_i32 v[2:3], s[2:3], v3, s17, v[6:7]
	global_load_dwordx4 v[34:37], v[4:5], off
	global_load_dwordx4 v[22:25], v[2:3], off
	s_add_u32 s2, s14, s8
	v_lshlrev_b32_e32 v2, 4, v48
	s_addc_u32 s3, s15, 0
	v_lshl_or_b32 v2, v49, 8, v2
	v_mov_b32_e32 v3, s3
	v_add_co_u32_e32 v2, vcc, s2, v2
	v_addc_co_u32_e32 v3, vcc, 0, v3, vcc
	v_cmp_ne_u32_e32 vcc, 15, v48
	v_mov_b32_e32 v44, 0
	v_mov_b32_e32 v43, 0
	s_movk_i32 s8, 0x80
	s_waitcnt vmcnt(7)
	v_mad_i64_i32 v[4:5], s[2:3], v15, s17, v[2:3]
	s_waitcnt vmcnt(6)
	v_mad_i64_i32 v[6:7], s[2:3], v16, s17, v[2:3]
	s_waitcnt vmcnt(5)
	v_mad_i64_i32 v[18:19], s[2:3], v18, s17, v[2:3]
	global_load_dwordx4 v[14:17], v[4:5], off
	global_load_dwordx4 v[10:13], v[6:7], off
	s_waitcnt vmcnt(6)
	v_mad_i64_i32 v[20:21], s[2:3], v20, s17, v[2:3]
	global_load_dwordx4 v[6:9], v[18:19], off
	global_load_dwordx4 v[2:5], v[20:21], off
	v_cndmask_b32_e32 v18, 0, v48, vcc
	v_lshlrev_b32_e32 v18, 5, v18
	v_lshl_or_b32 v18, v1, 9, v18
	ds_read_b128 v[26:29], v18
	ds_read_b128 v[18:21], v18 offset:16
	s_load_dword s12, s[40:41], 0x0
	s_waitcnt vmcnt(7)
	v_cmp_ne_u16_sdwa s[10:11], v30, v44 src0_sel:BYTE_0 src1_sel:DWORD
	s_and_saveexec_b64 s[2:3], s[10:11]
	s_cbranch_execz .LBB860_17
; %bb.12:
	v_cmp_ne_u16_sdwa s[10:11], v30, s8 src0_sel:BYTE_0 src1_sel:DWORD
	v_mov_b32_e32 v43, 0xffff8000
	s_and_saveexec_b64 s[8:9], s[10:11]
	s_cbranch_execz .LBB860_16
; %bb.13:
	s_movk_i32 s10, 0x7f
	v_and_b32_e32 v42, 0x7f, v30
	v_cmp_ne_u32_e32 vcc, s10, v42
	v_mov_b32_e32 v43, 0x7f80
	s_and_saveexec_b64 s[10:11], vcc
	s_cbranch_execz .LBB860_15
; %bb.14:
	v_and_b32_e32 v43, 7, v30
	v_ffbh_u32_e32 v50, v43
	v_min_u32_e32 v52, 32, v50
	v_subrev_u32_e32 v50, 28, v52
	v_lshlrev_b64 v[50:51], v50, v[30:31]
	v_lshrrev_b32_e32 v45, 3, v42
	v_sub_u32_e32 v51, 29, v52
	v_and_b32_e32 v50, 7, v50
	v_cmp_gt_u32_e32 vcc, 8, v42
	v_cndmask_b32_e32 v42, v45, v51, vcc
	v_cndmask_b32_e32 v43, v43, v50, vcc
	v_lshlrev_b32_e32 v45, 24, v30
	v_bfrev_b32_e32 v50, 60
	v_lshlrev_b32_e32 v43, 20, v43
	v_and_b32_e32 v45, 0x80000000, v45
	v_lshl_add_u32 v42, v42, 23, v50
	v_or3_b32 v42, v45, v42, v43
	v_lshrrev_b32_e32 v43, 16, v42
.LBB860_15:
	s_or_b64 exec, exec, s[10:11]
.LBB860_16:
	s_or_b64 exec, exec, s[8:9]
.LBB860_17:
	s_or_b64 exec, exec, s[2:3]
	v_lshrrev_b16_e32 v42, 8, v30
	v_cmp_ne_u16_e32 vcc, 0, v42
	s_and_saveexec_b64 s[2:3], vcc
	s_cbranch_execz .LBB860_23
; %bb.18:
	s_movk_i32 s8, 0x80
	v_cmp_ne_u16_e32 vcc, s8, v42
	v_mov_b32_e32 v44, 0xffff8000
	s_and_saveexec_b64 s[8:9], vcc
	s_cbranch_execz .LBB860_22
; %bb.19:
	s_movk_i32 s10, 0x7f
	v_and_b32_e32 v45, 0x7f, v42
	v_cmp_ne_u32_e32 vcc, s10, v45
	v_mov_b32_e32 v44, 0x7f80
	s_and_saveexec_b64 s[10:11], vcc
	s_cbranch_execz .LBB860_21
; %bb.20:
	v_and_b32_e32 v44, 7, v42
	v_ffbh_u32_e32 v50, v44
	v_min_u32_e32 v53, 32, v50
	v_subrev_u32_e32 v50, 28, v53
	v_lshlrev_b64 v[50:51], v50, v[42:43]
	v_lshrrev_b32_e32 v52, 3, v45
	v_sub_u32_e32 v42, 29, v53
	v_and_b32_e32 v50, 7, v50
	v_cmp_gt_u32_e32 vcc, 8, v45
	v_cndmask_b32_e32 v42, v52, v42, vcc
	v_cndmask_b32_e32 v44, v44, v50, vcc
	v_lshlrev_b32_e32 v45, 16, v30
	v_bfrev_b32_e32 v50, 60
	v_lshlrev_b32_e32 v44, 20, v44
	v_and_b32_e32 v45, 0x80000000, v45
	v_lshl_add_u32 v42, v42, 23, v50
	v_or3_b32 v42, v45, v42, v44
	v_lshrrev_b32_e32 v44, 16, v42
.LBB860_21:
	s_or_b64 exec, exec, s[10:11]
.LBB860_22:
	s_or_b64 exec, exec, s[8:9]
.LBB860_23:
	s_or_b64 exec, exec, s[2:3]
	s_movk_i32 s2, 0xff
	v_and_b32_sdwa v51, v30, s2 dst_sel:DWORD dst_unused:UNUSED_PAD src0_sel:WORD_1 src1_sel:DWORD
	v_lshrrev_b32_e32 v42, 16, v30
	v_cmp_ne_u16_e32 vcc, 0, v51
	v_mov_b32_e32 v45, 0
	v_mov_b32_e32 v50, 0
	s_and_saveexec_b64 s[2:3], vcc
	s_cbranch_execz .LBB860_29
; %bb.24:
	s_movk_i32 s8, 0x80
	v_cmp_ne_u16_e32 vcc, s8, v51
	v_mov_b32_e32 v50, 0xffff8000
	s_and_saveexec_b64 s[8:9], vcc
	s_cbranch_execz .LBB860_28
; %bb.25:
	v_bfe_u32 v51, v30, 16, 7
	s_movk_i32 s10, 0x7f
	v_cmp_ne_u32_e32 vcc, s10, v51
	v_mov_b32_e32 v50, 0x7f80
	s_and_saveexec_b64 s[10:11], vcc
	s_cbranch_execz .LBB860_27
; %bb.26:
	v_and_b32_e32 v50, 7, v42
	v_ffbh_u32_e32 v52, v50
	v_min_u32_e32 v55, 32, v52
	v_subrev_u32_e32 v52, 28, v55
	v_lshlrev_b64 v[52:53], v52, v[42:43]
	v_lshrrev_b32_e32 v54, 3, v51
	v_sub_u32_e32 v42, 29, v55
	v_and_b32_e32 v52, 7, v52
	v_cmp_gt_u32_e32 vcc, 8, v51
	v_mov_b32_e32 v51, 24
	v_cndmask_b32_e32 v42, v54, v42, vcc
	v_cndmask_b32_e32 v50, v50, v52, vcc
	v_lshlrev_b32_sdwa v51, v51, v30 dst_sel:DWORD dst_unused:UNUSED_PAD src0_sel:DWORD src1_sel:WORD_1
	v_bfrev_b32_e32 v52, 60
	v_lshlrev_b32_e32 v50, 20, v50
	v_and_b32_e32 v51, 0x80000000, v51
	v_lshl_add_u32 v42, v42, 23, v52
	v_or3_b32 v42, v51, v42, v50
	v_lshrrev_b32_e32 v50, 16, v42
.LBB860_27:
	s_or_b64 exec, exec, s[10:11]
.LBB860_28:
	s_or_b64 exec, exec, s[8:9]
.LBB860_29:
	s_or_b64 exec, exec, s[2:3]
	s_mov_b32 s2, 0xffffff
	v_cmp_lt_u32_e32 vcc, s2, v30
	s_and_saveexec_b64 s[2:3], vcc
	s_cbranch_execz .LBB860_35
; %bb.30:
	v_lshrrev_b32_e32 v42, 24, v30
	s_movk_i32 s8, 0x80
	v_cmp_ne_u32_e32 vcc, s8, v42
	v_mov_b32_e32 v45, 0xffff8000
	s_and_saveexec_b64 s[8:9], vcc
	s_cbranch_execz .LBB860_34
; %bb.31:
	v_bfe_u32 v30, v30, 24, 7
	s_movk_i32 s10, 0x7f
	v_cmp_ne_u32_e32 vcc, s10, v30
	v_mov_b32_e32 v45, 0x7f80
	s_and_saveexec_b64 s[10:11], vcc
	s_cbranch_execz .LBB860_33
; %bb.32:
	v_and_b32_e32 v45, 7, v42
	v_ffbh_u32_e32 v52, v45
	v_min_u32_e32 v54, 32, v52
	v_subrev_u32_e32 v52, 28, v54
	v_lshlrev_b64 v[52:53], v52, v[42:43]
	v_lshrrev_b32_e32 v51, 3, v30
	v_sub_u32_e32 v53, 29, v54
	v_and_b32_e32 v52, 7, v52
	v_cmp_gt_u32_e32 vcc, 8, v30
	v_cndmask_b32_e32 v30, v51, v53, vcc
	v_cndmask_b32_e32 v45, v45, v52, vcc
	v_lshlrev_b32_e32 v42, 24, v42
	v_bfrev_b32_e32 v51, 60
	v_lshlrev_b32_e32 v45, 20, v45
	v_and_b32_e32 v42, 0x80000000, v42
	v_lshl_add_u32 v30, v30, 23, v51
	v_or3_b32 v30, v42, v30, v45
	v_lshrrev_b32_e32 v45, 16, v30
.LBB860_33:
	s_or_b64 exec, exec, s[10:11]
.LBB860_34:
	s_or_b64 exec, exec, s[8:9]
.LBB860_35:
	s_or_b64 exec, exec, s[2:3]
	v_mov_b32_e32 v42, 0
	v_cmp_ne_u16_sdwa s[8:9], v31, v42 src0_sel:BYTE_0 src1_sel:DWORD
	v_mov_b32_e32 v51, 0
	s_and_saveexec_b64 s[2:3], s[8:9]
	s_cbranch_execz .LBB860_41
; %bb.36:
	s_movk_i32 s8, 0x80
	v_cmp_ne_u16_sdwa s[10:11], v31, s8 src0_sel:BYTE_0 src1_sel:DWORD
	v_mov_b32_e32 v51, 0xffff8000
	s_and_saveexec_b64 s[8:9], s[10:11]
	s_cbranch_execz .LBB860_40
; %bb.37:
	s_movk_i32 s10, 0x7f
	v_and_b32_e32 v30, 0x7f, v31
	v_cmp_ne_u32_e32 vcc, s10, v30
	v_mov_b32_e32 v51, 0x7f80
	s_and_saveexec_b64 s[10:11], vcc
	s_cbranch_execz .LBB860_39
; %bb.38:
	v_and_b32_e32 v51, 7, v31
	v_ffbh_u32_e32 v53, v51
	v_min_u32_e32 v55, 32, v53
	v_mov_b32_e32 v52, v31
	v_subrev_u32_e32 v53, 28, v55
	v_lshlrev_b64 v[52:53], v53, v[52:53]
	v_lshrrev_b32_e32 v54, 3, v30
	v_sub_u32_e32 v53, 29, v55
	v_and_b32_e32 v52, 7, v52
	v_cmp_gt_u32_e32 vcc, 8, v30
	v_cndmask_b32_e32 v30, v54, v53, vcc
	v_cndmask_b32_e32 v51, v51, v52, vcc
	v_lshlrev_b32_e32 v52, 24, v31
	v_bfrev_b32_e32 v53, 60
	v_lshlrev_b32_e32 v51, 20, v51
	v_and_b32_e32 v52, 0x80000000, v52
	v_lshl_add_u32 v30, v30, 23, v53
	v_or3_b32 v30, v52, v30, v51
	v_lshrrev_b32_e32 v51, 16, v30
.LBB860_39:
	s_or_b64 exec, exec, s[10:11]
.LBB860_40:
	s_or_b64 exec, exec, s[8:9]
.LBB860_41:
	s_or_b64 exec, exec, s[2:3]
	v_lshrrev_b16_e32 v30, 8, v31
	v_cmp_ne_u16_e32 vcc, 0, v30
	s_and_saveexec_b64 s[2:3], vcc
	s_cbranch_execz .LBB860_47
; %bb.42:
	s_movk_i32 s8, 0x80
	v_cmp_ne_u16_e32 vcc, s8, v30
	v_mov_b32_e32 v42, 0xffff8000
	s_and_saveexec_b64 s[8:9], vcc
	s_cbranch_execz .LBB860_46
; %bb.43:
	s_movk_i32 s10, 0x7f
	v_and_b32_e32 v52, 0x7f, v30
	v_cmp_ne_u32_e32 vcc, s10, v52
	v_mov_b32_e32 v42, 0x7f80
	s_and_saveexec_b64 s[10:11], vcc
	s_cbranch_execz .LBB860_45
; %bb.44:
	v_and_b32_e32 v42, 7, v30
	v_ffbh_u32_e32 v54, v42
	v_min_u32_e32 v56, 32, v54
	v_subrev_u32_e32 v54, 28, v56
	v_lshlrev_b64 v[54:55], v54, v[30:31]
	v_lshrrev_b32_e32 v53, 3, v52
	v_sub_u32_e32 v30, 29, v56
	v_and_b32_e32 v54, 7, v54
	v_cmp_gt_u32_e32 vcc, 8, v52
	v_cndmask_b32_e32 v30, v53, v30, vcc
	v_cndmask_b32_e32 v42, v42, v54, vcc
	v_lshlrev_b32_e32 v52, 16, v31
	v_bfrev_b32_e32 v53, 60
	v_lshlrev_b32_e32 v42, 20, v42
	v_and_b32_e32 v52, 0x80000000, v52
	v_lshl_add_u32 v30, v30, 23, v53
	v_or3_b32 v30, v52, v30, v42
	v_lshrrev_b32_e32 v42, 16, v30
.LBB860_45:
	s_or_b64 exec, exec, s[10:11]
.LBB860_46:
	s_or_b64 exec, exec, s[8:9]
.LBB860_47:
	s_or_b64 exec, exec, s[2:3]
	s_movk_i32 s2, 0xff
	v_and_b32_sdwa v54, v31, s2 dst_sel:DWORD dst_unused:UNUSED_PAD src0_sel:WORD_1 src1_sel:DWORD
	v_lshrrev_b32_e32 v30, 16, v31
	v_cmp_ne_u16_e32 vcc, 0, v54
	v_mov_b32_e32 v52, 0
	v_mov_b32_e32 v53, 0
	s_and_saveexec_b64 s[2:3], vcc
	s_cbranch_execz .LBB860_53
; %bb.48:
	s_movk_i32 s8, 0x80
	v_cmp_ne_u16_e32 vcc, s8, v54
	v_mov_b32_e32 v53, 0xffff8000
	s_and_saveexec_b64 s[8:9], vcc
	s_cbranch_execz .LBB860_52
; %bb.49:
	v_bfe_u32 v54, v31, 16, 7
	s_movk_i32 s10, 0x7f
	v_cmp_ne_u32_e32 vcc, s10, v54
	v_mov_b32_e32 v53, 0x7f80
	s_and_saveexec_b64 s[10:11], vcc
	s_cbranch_execz .LBB860_51
; %bb.50:
	v_and_b32_e32 v53, 7, v30
	v_ffbh_u32_e32 v56, v53
	v_min_u32_e32 v58, 32, v56
	v_subrev_u32_e32 v56, 28, v58
	v_lshlrev_b64 v[56:57], v56, v[30:31]
	v_lshrrev_b32_e32 v55, 3, v54
	v_sub_u32_e32 v30, 29, v58
	v_and_b32_e32 v56, 7, v56
	v_cmp_gt_u32_e32 vcc, 8, v54
	v_mov_b32_e32 v54, 24
	v_cndmask_b32_e32 v30, v55, v30, vcc
	v_cndmask_b32_e32 v53, v53, v56, vcc
	v_lshlrev_b32_sdwa v54, v54, v31 dst_sel:DWORD dst_unused:UNUSED_PAD src0_sel:DWORD src1_sel:WORD_1
	v_bfrev_b32_e32 v55, 60
	v_lshlrev_b32_e32 v53, 20, v53
	v_and_b32_e32 v54, 0x80000000, v54
	v_lshl_add_u32 v30, v30, 23, v55
	v_or3_b32 v30, v54, v30, v53
	v_lshrrev_b32_e32 v53, 16, v30
.LBB860_51:
	s_or_b64 exec, exec, s[10:11]
.LBB860_52:
	s_or_b64 exec, exec, s[8:9]
.LBB860_53:
	s_or_b64 exec, exec, s[2:3]
	s_mov_b32 s2, 0xffffff
	v_cmp_lt_u32_e32 vcc, s2, v31
	s_and_saveexec_b64 s[2:3], vcc
	s_cbranch_execz .LBB860_59
; %bb.54:
	v_lshrrev_b32_e32 v30, 24, v31
	s_movk_i32 s8, 0x80
	v_cmp_ne_u32_e32 vcc, s8, v30
	v_mov_b32_e32 v52, 0xffff8000
	s_and_saveexec_b64 s[8:9], vcc
	s_cbranch_execz .LBB860_58
; %bb.55:
	v_bfe_u32 v31, v31, 24, 7
	s_movk_i32 s10, 0x7f
	v_cmp_ne_u32_e32 vcc, s10, v31
	v_mov_b32_e32 v52, 0x7f80
	s_and_saveexec_b64 s[10:11], vcc
	s_cbranch_execz .LBB860_57
; %bb.56:
	v_and_b32_e32 v52, 7, v30
	v_ffbh_u32_e32 v54, v52
	v_min_u32_e32 v57, 32, v54
	v_subrev_u32_e32 v54, 28, v57
	v_lshlrev_b64 v[54:55], v54, v[30:31]
	v_lshrrev_b32_e32 v56, 3, v31
	v_sub_u32_e32 v55, 29, v57
	v_and_b32_e32 v54, 7, v54
	v_cmp_gt_u32_e32 vcc, 8, v31
	v_cndmask_b32_e32 v31, v56, v55, vcc
	v_cndmask_b32_e32 v52, v52, v54, vcc
	v_lshlrev_b32_e32 v30, 24, v30
	v_bfrev_b32_e32 v54, 60
	v_lshlrev_b32_e32 v52, 20, v52
	v_and_b32_e32 v30, 0x80000000, v30
	v_lshl_add_u32 v31, v31, 23, v54
	v_or3_b32 v30, v30, v31, v52
	v_lshrrev_b32_e32 v52, 16, v30
.LBB860_57:
	s_or_b64 exec, exec, s[10:11]
.LBB860_58:
	s_or_b64 exec, exec, s[8:9]
.LBB860_59:
	s_or_b64 exec, exec, s[2:3]
	s_mov_b32 s2, 0x5040100
	v_perm_b32 v31, v45, v50, s2
	v_perm_b32 v30, v44, v43, s2
	;; [unrolled: 1-line block ×4, first 2 shown]
	v_mov_b32_e32 v50, 0
	s_waitcnt lgkmcnt(0)
	v_mfma_f32_16x16x16bf16_1k v[54:57], v[30:31], v[26:27], 0
	v_mov_b32_e32 v31, 0
	v_cmp_ne_u16_sdwa s[8:9], v32, v31 src0_sel:BYTE_0 src1_sel:DWORD
	v_mfma_f32_16x16x16bf16_1k v[42:45], v[42:43], v[28:29], v[54:57]
	s_and_saveexec_b64 s[2:3], s[8:9]
	s_cbranch_execz .LBB860_65
; %bb.60:
	s_movk_i32 s8, 0x80
	v_cmp_ne_u16_sdwa s[10:11], v32, s8 src0_sel:BYTE_0 src1_sel:DWORD
	v_mov_b32_e32 v50, 0xffff8000
	s_and_saveexec_b64 s[8:9], s[10:11]
	s_cbranch_execz .LBB860_64
; %bb.61:
	s_movk_i32 s10, 0x7f
	v_and_b32_e32 v30, 0x7f, v32
	v_cmp_ne_u32_e32 vcc, s10, v30
	v_mov_b32_e32 v50, 0x7f80
	s_and_saveexec_b64 s[10:11], vcc
	s_cbranch_execz .LBB860_63
; %bb.62:
	v_and_b32_e32 v52, 7, v32
	v_ffbh_u32_e32 v50, v52
	v_min_u32_e32 v54, 32, v50
	v_subrev_u32_e32 v50, 28, v54
	v_lshlrev_b64 v[50:51], v50, v[32:33]
	v_lshrrev_b32_e32 v53, 3, v30
	v_sub_u32_e32 v51, 29, v54
	v_and_b32_e32 v50, 7, v50
	v_cmp_gt_u32_e32 vcc, 8, v30
	v_cndmask_b32_e32 v30, v53, v51, vcc
	v_cndmask_b32_e32 v50, v52, v50, vcc
	v_lshlrev_b32_e32 v51, 24, v32
	v_bfrev_b32_e32 v52, 60
	v_lshlrev_b32_e32 v50, 20, v50
	v_and_b32_e32 v51, 0x80000000, v51
	v_lshl_add_u32 v30, v30, 23, v52
	v_or3_b32 v30, v51, v30, v50
	v_lshrrev_b32_e32 v50, 16, v30
.LBB860_63:
	s_or_b64 exec, exec, s[10:11]
.LBB860_64:
	s_or_b64 exec, exec, s[8:9]
.LBB860_65:
	s_or_b64 exec, exec, s[2:3]
	v_lshrrev_b16_e32 v30, 8, v32
	v_cmp_ne_u16_e32 vcc, 0, v30
	s_and_saveexec_b64 s[2:3], vcc
	s_cbranch_execz .LBB860_71
; %bb.66:
	s_movk_i32 s8, 0x80
	v_cmp_ne_u16_e32 vcc, s8, v30
	v_mov_b32_e32 v31, 0xffff8000
	s_and_saveexec_b64 s[8:9], vcc
	s_cbranch_execz .LBB860_70
; %bb.67:
	s_movk_i32 s10, 0x7f
	v_and_b32_e32 v51, 0x7f, v30
	v_cmp_ne_u32_e32 vcc, s10, v51
	v_mov_b32_e32 v31, 0x7f80
	s_and_saveexec_b64 s[10:11], vcc
	s_cbranch_execz .LBB860_69
; %bb.68:
	v_and_b32_e32 v52, 7, v30
	v_ffbh_u32_e32 v31, v52
	v_min_u32_e32 v54, 32, v31
	v_subrev_u32_e32 v31, 28, v54
	v_lshlrev_b64 v[30:31], v31, v[30:31]
	v_lshrrev_b32_e32 v53, 3, v51
	v_sub_u32_e32 v31, 29, v54
	v_and_b32_e32 v30, 7, v30
	v_cmp_gt_u32_e32 vcc, 8, v51
	v_cndmask_b32_e32 v31, v53, v31, vcc
	v_cndmask_b32_e32 v30, v52, v30, vcc
	v_lshlrev_b32_e32 v51, 16, v32
	v_bfrev_b32_e32 v52, 60
	v_lshlrev_b32_e32 v30, 20, v30
	v_and_b32_e32 v51, 0x80000000, v51
	v_lshl_add_u32 v31, v31, 23, v52
	v_or3_b32 v30, v51, v31, v30
	v_lshrrev_b32_e32 v31, 16, v30
.LBB860_69:
	s_or_b64 exec, exec, s[10:11]
.LBB860_70:
	s_or_b64 exec, exec, s[8:9]
.LBB860_71:
	s_or_b64 exec, exec, s[2:3]
	s_movk_i32 s2, 0xff
	v_and_b32_sdwa v53, v32, s2 dst_sel:DWORD dst_unused:UNUSED_PAD src0_sel:WORD_1 src1_sel:DWORD
	v_lshrrev_b32_e32 v30, 16, v32
	v_cmp_ne_u16_e32 vcc, 0, v53
	v_mov_b32_e32 v51, 0
	v_mov_b32_e32 v52, 0
	s_and_saveexec_b64 s[2:3], vcc
	s_cbranch_execz .LBB860_77
; %bb.72:
	s_movk_i32 s8, 0x80
	v_cmp_ne_u16_e32 vcc, s8, v53
	v_mov_b32_e32 v52, 0xffff8000
	s_and_saveexec_b64 s[8:9], vcc
	s_cbranch_execz .LBB860_76
; %bb.73:
	v_bfe_u32 v53, v32, 16, 7
	s_movk_i32 s10, 0x7f
	v_cmp_ne_u32_e32 vcc, s10, v53
	v_mov_b32_e32 v52, 0x7f80
	s_and_saveexec_b64 s[10:11], vcc
	s_cbranch_execz .LBB860_75
; %bb.74:
	v_and_b32_e32 v52, 7, v30
	v_ffbh_u32_e32 v54, v52
	v_min_u32_e32 v57, 32, v54
	v_subrev_u32_e32 v54, 28, v57
	v_lshlrev_b64 v[54:55], v54, v[30:31]
	v_lshrrev_b32_e32 v56, 3, v53
	v_sub_u32_e32 v30, 29, v57
	v_and_b32_e32 v54, 7, v54
	v_cmp_gt_u32_e32 vcc, 8, v53
	v_mov_b32_e32 v53, 24
	v_cndmask_b32_e32 v30, v56, v30, vcc
	v_cndmask_b32_e32 v52, v52, v54, vcc
	v_lshlrev_b32_sdwa v53, v53, v32 dst_sel:DWORD dst_unused:UNUSED_PAD src0_sel:DWORD src1_sel:WORD_1
	v_bfrev_b32_e32 v54, 60
	v_lshlrev_b32_e32 v52, 20, v52
	v_and_b32_e32 v53, 0x80000000, v53
	v_lshl_add_u32 v30, v30, 23, v54
	v_or3_b32 v30, v53, v30, v52
	v_lshrrev_b32_e32 v52, 16, v30
.LBB860_75:
	s_or_b64 exec, exec, s[10:11]
.LBB860_76:
	s_or_b64 exec, exec, s[8:9]
.LBB860_77:
	s_or_b64 exec, exec, s[2:3]
	s_mov_b32 s2, 0xffffff
	v_cmp_lt_u32_e32 vcc, s2, v32
	s_and_saveexec_b64 s[2:3], vcc
	s_cbranch_execz .LBB860_83
; %bb.78:
	v_lshrrev_b32_e32 v30, 24, v32
	s_movk_i32 s8, 0x80
	v_cmp_ne_u32_e32 vcc, s8, v30
	v_mov_b32_e32 v51, 0xffff8000
	s_and_saveexec_b64 s[8:9], vcc
	s_cbranch_execz .LBB860_82
; %bb.79:
	v_bfe_u32 v32, v32, 24, 7
	s_movk_i32 s10, 0x7f
	v_cmp_ne_u32_e32 vcc, s10, v32
	v_mov_b32_e32 v51, 0x7f80
	s_and_saveexec_b64 s[10:11], vcc
	s_cbranch_execz .LBB860_81
; %bb.80:
	v_and_b32_e32 v51, 7, v30
	v_ffbh_u32_e32 v54, v51
	v_min_u32_e32 v56, 32, v54
	v_subrev_u32_e32 v54, 28, v56
	v_lshlrev_b64 v[54:55], v54, v[30:31]
	v_lshrrev_b32_e32 v53, 3, v32
	v_sub_u32_e32 v55, 29, v56
	v_and_b32_e32 v54, 7, v54
	v_cmp_gt_u32_e32 vcc, 8, v32
	v_cndmask_b32_e32 v32, v53, v55, vcc
	v_cndmask_b32_e32 v51, v51, v54, vcc
	v_lshlrev_b32_e32 v30, 24, v30
	v_bfrev_b32_e32 v53, 60
	v_lshlrev_b32_e32 v51, 20, v51
	v_and_b32_e32 v30, 0x80000000, v30
	v_lshl_add_u32 v32, v32, 23, v53
	v_or3_b32 v30, v30, v32, v51
	v_lshrrev_b32_e32 v51, 16, v30
.LBB860_81:
	s_or_b64 exec, exec, s[10:11]
.LBB860_82:
	s_or_b64 exec, exec, s[8:9]
.LBB860_83:
	s_or_b64 exec, exec, s[2:3]
	v_mov_b32_e32 v32, 0
	v_cmp_ne_u16_sdwa s[8:9], v33, v32 src0_sel:BYTE_0 src1_sel:DWORD
	v_mov_b32_e32 v53, 0
	s_and_saveexec_b64 s[2:3], s[8:9]
	s_cbranch_execz .LBB860_89
; %bb.84:
	s_movk_i32 s8, 0x80
	v_cmp_ne_u16_sdwa s[10:11], v33, s8 src0_sel:BYTE_0 src1_sel:DWORD
	v_mov_b32_e32 v53, 0xffff8000
	s_and_saveexec_b64 s[8:9], s[10:11]
	s_cbranch_execz .LBB860_88
; %bb.85:
	s_movk_i32 s10, 0x7f
	v_and_b32_e32 v30, 0x7f, v33
	v_cmp_ne_u32_e32 vcc, s10, v30
	v_mov_b32_e32 v53, 0x7f80
	s_and_saveexec_b64 s[10:11], vcc
	s_cbranch_execz .LBB860_87
; %bb.86:
	v_and_b32_e32 v53, 7, v33
	v_ffbh_u32_e32 v55, v53
	v_min_u32_e32 v57, 32, v55
	v_mov_b32_e32 v54, v33
	v_subrev_u32_e32 v55, 28, v57
	v_lshlrev_b64 v[54:55], v55, v[54:55]
	v_lshrrev_b32_e32 v56, 3, v30
	v_sub_u32_e32 v55, 29, v57
	v_and_b32_e32 v54, 7, v54
	v_cmp_gt_u32_e32 vcc, 8, v30
	v_cndmask_b32_e32 v30, v56, v55, vcc
	v_cndmask_b32_e32 v53, v53, v54, vcc
	v_lshlrev_b32_e32 v54, 24, v33
	v_bfrev_b32_e32 v55, 60
	v_lshlrev_b32_e32 v53, 20, v53
	v_and_b32_e32 v54, 0x80000000, v54
	v_lshl_add_u32 v30, v30, 23, v55
	v_or3_b32 v30, v54, v30, v53
	v_lshrrev_b32_e32 v53, 16, v30
.LBB860_87:
	s_or_b64 exec, exec, s[10:11]
.LBB860_88:
	s_or_b64 exec, exec, s[8:9]
.LBB860_89:
	s_or_b64 exec, exec, s[2:3]
	v_lshrrev_b16_e32 v30, 8, v33
	v_cmp_ne_u16_e32 vcc, 0, v30
	s_and_saveexec_b64 s[2:3], vcc
	s_cbranch_execz .LBB860_95
; %bb.90:
	s_movk_i32 s8, 0x80
	v_cmp_ne_u16_e32 vcc, s8, v30
	v_mov_b32_e32 v32, 0xffff8000
	s_and_saveexec_b64 s[8:9], vcc
	s_cbranch_execz .LBB860_94
; %bb.91:
	s_movk_i32 s10, 0x7f
	v_and_b32_e32 v54, 0x7f, v30
	v_cmp_ne_u32_e32 vcc, s10, v54
	v_mov_b32_e32 v32, 0x7f80
	s_and_saveexec_b64 s[10:11], vcc
	s_cbranch_execz .LBB860_93
; %bb.92:
	v_and_b32_e32 v32, 7, v30
	v_ffbh_u32_e32 v56, v32
	v_min_u32_e32 v58, 32, v56
	v_subrev_u32_e32 v56, 28, v58
	v_lshlrev_b64 v[56:57], v56, v[30:31]
	v_lshrrev_b32_e32 v55, 3, v54
	v_sub_u32_e32 v30, 29, v58
	v_and_b32_e32 v56, 7, v56
	v_cmp_gt_u32_e32 vcc, 8, v54
	v_cndmask_b32_e32 v30, v55, v30, vcc
	v_cndmask_b32_e32 v32, v32, v56, vcc
	v_lshlrev_b32_e32 v54, 16, v33
	v_bfrev_b32_e32 v55, 60
	v_lshlrev_b32_e32 v32, 20, v32
	v_and_b32_e32 v54, 0x80000000, v54
	v_lshl_add_u32 v30, v30, 23, v55
	v_or3_b32 v30, v54, v30, v32
	v_lshrrev_b32_e32 v32, 16, v30
.LBB860_93:
	s_or_b64 exec, exec, s[10:11]
.LBB860_94:
	s_or_b64 exec, exec, s[8:9]
.LBB860_95:
	s_or_b64 exec, exec, s[2:3]
	s_movk_i32 s2, 0xff
	v_and_b32_sdwa v56, v33, s2 dst_sel:DWORD dst_unused:UNUSED_PAD src0_sel:WORD_1 src1_sel:DWORD
	v_lshrrev_b32_e32 v30, 16, v33
	v_cmp_ne_u16_e32 vcc, 0, v56
	v_mov_b32_e32 v54, 0
	v_mov_b32_e32 v55, 0
	s_and_saveexec_b64 s[2:3], vcc
	s_cbranch_execz .LBB860_101
; %bb.96:
	s_movk_i32 s8, 0x80
	v_cmp_ne_u16_e32 vcc, s8, v56
	v_mov_b32_e32 v55, 0xffff8000
	s_and_saveexec_b64 s[8:9], vcc
	s_cbranch_execz .LBB860_100
; %bb.97:
	v_bfe_u32 v56, v33, 16, 7
	s_movk_i32 s10, 0x7f
	v_cmp_ne_u32_e32 vcc, s10, v56
	v_mov_b32_e32 v55, 0x7f80
	s_and_saveexec_b64 s[10:11], vcc
	s_cbranch_execz .LBB860_99
; %bb.98:
	v_and_b32_e32 v55, 7, v30
	v_ffbh_u32_e32 v58, v55
	v_min_u32_e32 v60, 32, v58
	v_subrev_u32_e32 v58, 28, v60
	v_lshlrev_b64 v[58:59], v58, v[30:31]
	v_lshrrev_b32_e32 v57, 3, v56
	v_sub_u32_e32 v30, 29, v60
	v_and_b32_e32 v58, 7, v58
	v_cmp_gt_u32_e32 vcc, 8, v56
	v_mov_b32_e32 v56, 24
	v_cndmask_b32_e32 v30, v57, v30, vcc
	v_cndmask_b32_e32 v55, v55, v58, vcc
	v_lshlrev_b32_sdwa v56, v56, v33 dst_sel:DWORD dst_unused:UNUSED_PAD src0_sel:DWORD src1_sel:WORD_1
	v_bfrev_b32_e32 v57, 60
	v_lshlrev_b32_e32 v55, 20, v55
	v_and_b32_e32 v56, 0x80000000, v56
	v_lshl_add_u32 v30, v30, 23, v57
	v_or3_b32 v30, v56, v30, v55
	v_lshrrev_b32_e32 v55, 16, v30
.LBB860_99:
	s_or_b64 exec, exec, s[10:11]
.LBB860_100:
	s_or_b64 exec, exec, s[8:9]
.LBB860_101:
	s_or_b64 exec, exec, s[2:3]
	s_mov_b32 s2, 0xffffff
	v_cmp_lt_u32_e32 vcc, s2, v33
	s_and_saveexec_b64 s[2:3], vcc
	s_cbranch_execz .LBB860_107
; %bb.102:
	v_lshrrev_b32_e32 v30, 24, v33
	s_movk_i32 s8, 0x80
	v_cmp_ne_u32_e32 vcc, s8, v30
	v_mov_b32_e32 v54, 0xffff8000
	s_and_saveexec_b64 s[8:9], vcc
	s_cbranch_execz .LBB860_106
; %bb.103:
	v_bfe_u32 v33, v33, 24, 7
	s_movk_i32 s10, 0x7f
	v_cmp_ne_u32_e32 vcc, s10, v33
	v_mov_b32_e32 v54, 0x7f80
	s_and_saveexec_b64 s[10:11], vcc
	s_cbranch_execz .LBB860_105
; %bb.104:
	v_and_b32_e32 v54, 7, v30
	v_ffbh_u32_e32 v56, v54
	v_min_u32_e32 v59, 32, v56
	v_subrev_u32_e32 v56, 28, v59
	v_lshlrev_b64 v[56:57], v56, v[30:31]
	v_lshrrev_b32_e32 v58, 3, v33
	v_sub_u32_e32 v57, 29, v59
	v_and_b32_e32 v56, 7, v56
	v_cmp_gt_u32_e32 vcc, 8, v33
	v_cndmask_b32_e32 v33, v58, v57, vcc
	v_cndmask_b32_e32 v54, v54, v56, vcc
	v_lshlrev_b32_e32 v30, 24, v30
	v_bfrev_b32_e32 v56, 60
	v_lshlrev_b32_e32 v54, 20, v54
	v_and_b32_e32 v30, 0x80000000, v30
	v_lshl_add_u32 v33, v33, 23, v56
	v_or3_b32 v30, v30, v33, v54
	v_lshrrev_b32_e32 v54, 16, v30
.LBB860_105:
	s_or_b64 exec, exec, s[10:11]
.LBB860_106:
	s_or_b64 exec, exec, s[8:9]
.LBB860_107:
	s_or_b64 exec, exec, s[2:3]
	s_mov_b32 s2, 0x5040100
	v_perm_b32 v51, v51, v52, s2
	v_perm_b32 v50, v31, v50, s2
	;; [unrolled: 1-line block ×4, first 2 shown]
	v_mfma_f32_16x16x16bf16_1k v[56:59], v[50:51], v[18:19], v[42:45]
	s_nop 6
	v_mov_b32_e32 v43, 0
	s_waitcnt vmcnt(6)
	v_cmp_ne_u16_sdwa s[8:9], v38, v43 src0_sel:BYTE_0 src1_sel:DWORD
	v_mfma_f32_16x16x16bf16_1k v[30:33], v[30:31], v[20:21], v[56:59]
	v_mov_b32_e32 v44, 0
	s_and_saveexec_b64 s[2:3], s[8:9]
	s_cbranch_execz .LBB860_113
; %bb.108:
	s_movk_i32 s8, 0x80
	v_cmp_ne_u16_sdwa s[10:11], v38, s8 src0_sel:BYTE_0 src1_sel:DWORD
	v_mov_b32_e32 v44, 0xffff8000
	s_and_saveexec_b64 s[8:9], s[10:11]
	s_cbranch_execz .LBB860_112
; %bb.109:
	s_movk_i32 s10, 0x7f
	v_and_b32_e32 v42, 0x7f, v38
	v_cmp_ne_u32_e32 vcc, s10, v42
	v_mov_b32_e32 v44, 0x7f80
	s_and_saveexec_b64 s[10:11], vcc
	s_cbranch_execz .LBB860_111
; %bb.110:
	v_and_b32_e32 v50, 7, v38
	v_ffbh_u32_e32 v44, v50
	v_min_u32_e32 v52, 32, v44
	v_subrev_u32_e32 v44, 28, v52
	v_lshlrev_b64 v[44:45], v44, v[38:39]
	v_lshrrev_b32_e32 v51, 3, v42
	v_sub_u32_e32 v45, 29, v52
	v_and_b32_e32 v44, 7, v44
	v_cmp_gt_u32_e32 vcc, 8, v42
	v_cndmask_b32_e32 v42, v51, v45, vcc
	v_cndmask_b32_e32 v44, v50, v44, vcc
	v_lshlrev_b32_e32 v45, 24, v38
	v_bfrev_b32_e32 v50, 60
	v_lshlrev_b32_e32 v44, 20, v44
	v_and_b32_e32 v45, 0x80000000, v45
	v_lshl_add_u32 v42, v42, 23, v50
	v_or3_b32 v42, v45, v42, v44
	v_lshrrev_b32_e32 v44, 16, v42
.LBB860_111:
	s_or_b64 exec, exec, s[10:11]
.LBB860_112:
	s_or_b64 exec, exec, s[8:9]
.LBB860_113:
	s_or_b64 exec, exec, s[2:3]
	v_lshrrev_b16_e32 v42, 8, v38
	v_cmp_ne_u16_e32 vcc, 0, v42
	s_and_saveexec_b64 s[2:3], vcc
	s_cbranch_execz .LBB860_119
; %bb.114:
	s_movk_i32 s8, 0x80
	v_cmp_ne_u16_e32 vcc, s8, v42
	v_mov_b32_e32 v43, 0xffff8000
	s_and_saveexec_b64 s[8:9], vcc
	s_cbranch_execz .LBB860_118
; %bb.115:
	s_movk_i32 s10, 0x7f
	v_and_b32_e32 v45, 0x7f, v42
	v_cmp_ne_u32_e32 vcc, s10, v45
	v_mov_b32_e32 v43, 0x7f80
	s_and_saveexec_b64 s[10:11], vcc
	s_cbranch_execz .LBB860_117
; %bb.116:
	v_and_b32_e32 v50, 7, v42
	v_ffbh_u32_e32 v43, v50
	v_min_u32_e32 v52, 32, v43
	v_subrev_u32_e32 v43, 28, v52
	v_lshlrev_b64 v[42:43], v43, v[42:43]
	v_lshrrev_b32_e32 v51, 3, v45
	v_sub_u32_e32 v43, 29, v52
	v_and_b32_e32 v42, 7, v42
	v_cmp_gt_u32_e32 vcc, 8, v45
	v_cndmask_b32_e32 v43, v51, v43, vcc
	v_cndmask_b32_e32 v42, v50, v42, vcc
	v_lshlrev_b32_e32 v45, 16, v38
	v_bfrev_b32_e32 v50, 60
	v_lshlrev_b32_e32 v42, 20, v42
	v_and_b32_e32 v45, 0x80000000, v45
	v_lshl_add_u32 v43, v43, 23, v50
	v_or3_b32 v42, v45, v43, v42
	v_lshrrev_b32_e32 v43, 16, v42
.LBB860_117:
	s_or_b64 exec, exec, s[10:11]
.LBB860_118:
	s_or_b64 exec, exec, s[8:9]
.LBB860_119:
	s_or_b64 exec, exec, s[2:3]
	s_movk_i32 s2, 0xff
	v_and_b32_sdwa v51, v38, s2 dst_sel:DWORD dst_unused:UNUSED_PAD src0_sel:WORD_1 src1_sel:DWORD
	v_lshrrev_b32_e32 v42, 16, v38
	v_cmp_ne_u16_e32 vcc, 0, v51
	v_mov_b32_e32 v45, 0
	v_mov_b32_e32 v50, 0
	s_and_saveexec_b64 s[2:3], vcc
	s_cbranch_execz .LBB860_125
; %bb.120:
	s_movk_i32 s8, 0x80
	v_cmp_ne_u16_e32 vcc, s8, v51
	v_mov_b32_e32 v50, 0xffff8000
	s_and_saveexec_b64 s[8:9], vcc
	s_cbranch_execz .LBB860_124
; %bb.121:
	v_bfe_u32 v51, v38, 16, 7
	s_movk_i32 s10, 0x7f
	v_cmp_ne_u32_e32 vcc, s10, v51
	v_mov_b32_e32 v50, 0x7f80
	s_and_saveexec_b64 s[10:11], vcc
	s_cbranch_execz .LBB860_123
; %bb.122:
	v_and_b32_e32 v50, 7, v42
	v_ffbh_u32_e32 v52, v50
	v_min_u32_e32 v55, 32, v52
	v_subrev_u32_e32 v52, 28, v55
	v_lshlrev_b64 v[52:53], v52, v[42:43]
	v_lshrrev_b32_e32 v54, 3, v51
	v_sub_u32_e32 v42, 29, v55
	v_and_b32_e32 v52, 7, v52
	v_cmp_gt_u32_e32 vcc, 8, v51
	v_mov_b32_e32 v51, 24
	v_cndmask_b32_e32 v42, v54, v42, vcc
	v_cndmask_b32_e32 v50, v50, v52, vcc
	v_lshlrev_b32_sdwa v51, v51, v38 dst_sel:DWORD dst_unused:UNUSED_PAD src0_sel:DWORD src1_sel:WORD_1
	v_bfrev_b32_e32 v52, 60
	v_lshlrev_b32_e32 v50, 20, v50
	v_and_b32_e32 v51, 0x80000000, v51
	v_lshl_add_u32 v42, v42, 23, v52
	v_or3_b32 v42, v51, v42, v50
	v_lshrrev_b32_e32 v50, 16, v42
.LBB860_123:
	s_or_b64 exec, exec, s[10:11]
.LBB860_124:
	s_or_b64 exec, exec, s[8:9]
.LBB860_125:
	s_or_b64 exec, exec, s[2:3]
	s_mov_b32 s2, 0xffffff
	v_cmp_lt_u32_e32 vcc, s2, v38
	s_and_saveexec_b64 s[2:3], vcc
	s_cbranch_execz .LBB860_131
; %bb.126:
	v_lshrrev_b32_e32 v42, 24, v38
	s_movk_i32 s8, 0x80
	v_cmp_ne_u32_e32 vcc, s8, v42
	v_mov_b32_e32 v45, 0xffff8000
	s_and_saveexec_b64 s[8:9], vcc
	s_cbranch_execz .LBB860_130
; %bb.127:
	v_bfe_u32 v38, v38, 24, 7
	s_movk_i32 s10, 0x7f
	v_cmp_ne_u32_e32 vcc, s10, v38
	v_mov_b32_e32 v45, 0x7f80
	s_and_saveexec_b64 s[10:11], vcc
	s_cbranch_execz .LBB860_129
; %bb.128:
	v_and_b32_e32 v45, 7, v42
	v_ffbh_u32_e32 v52, v45
	v_min_u32_e32 v54, 32, v52
	v_subrev_u32_e32 v52, 28, v54
	v_lshlrev_b64 v[52:53], v52, v[42:43]
	v_lshrrev_b32_e32 v51, 3, v38
	v_sub_u32_e32 v53, 29, v54
	v_and_b32_e32 v52, 7, v52
	v_cmp_gt_u32_e32 vcc, 8, v38
	v_cndmask_b32_e32 v38, v51, v53, vcc
	v_cndmask_b32_e32 v45, v45, v52, vcc
	v_lshlrev_b32_e32 v42, 24, v42
	v_bfrev_b32_e32 v51, 60
	v_lshlrev_b32_e32 v45, 20, v45
	v_and_b32_e32 v42, 0x80000000, v42
	v_lshl_add_u32 v38, v38, 23, v51
	v_or3_b32 v38, v42, v38, v45
	v_lshrrev_b32_e32 v45, 16, v38
.LBB860_129:
	s_or_b64 exec, exec, s[10:11]
.LBB860_130:
	s_or_b64 exec, exec, s[8:9]
.LBB860_131:
	s_or_b64 exec, exec, s[2:3]
	v_mov_b32_e32 v42, 0
	v_cmp_ne_u16_sdwa s[8:9], v39, v42 src0_sel:BYTE_0 src1_sel:DWORD
	v_mov_b32_e32 v51, 0
	s_and_saveexec_b64 s[2:3], s[8:9]
	s_cbranch_execz .LBB860_137
; %bb.132:
	s_movk_i32 s8, 0x80
	v_cmp_ne_u16_sdwa s[10:11], v39, s8 src0_sel:BYTE_0 src1_sel:DWORD
	v_mov_b32_e32 v51, 0xffff8000
	s_and_saveexec_b64 s[8:9], s[10:11]
	s_cbranch_execz .LBB860_136
; %bb.133:
	s_movk_i32 s10, 0x7f
	v_and_b32_e32 v38, 0x7f, v39
	v_cmp_ne_u32_e32 vcc, s10, v38
	v_mov_b32_e32 v51, 0x7f80
	s_and_saveexec_b64 s[10:11], vcc
	s_cbranch_execz .LBB860_135
; %bb.134:
	v_and_b32_e32 v51, 7, v39
	v_ffbh_u32_e32 v53, v51
	v_min_u32_e32 v55, 32, v53
	v_mov_b32_e32 v52, v39
	v_subrev_u32_e32 v53, 28, v55
	v_lshlrev_b64 v[52:53], v53, v[52:53]
	v_lshrrev_b32_e32 v54, 3, v38
	v_sub_u32_e32 v53, 29, v55
	v_and_b32_e32 v52, 7, v52
	v_cmp_gt_u32_e32 vcc, 8, v38
	v_cndmask_b32_e32 v38, v54, v53, vcc
	v_cndmask_b32_e32 v51, v51, v52, vcc
	v_lshlrev_b32_e32 v52, 24, v39
	v_bfrev_b32_e32 v53, 60
	v_lshlrev_b32_e32 v51, 20, v51
	v_and_b32_e32 v52, 0x80000000, v52
	v_lshl_add_u32 v38, v38, 23, v53
	v_or3_b32 v38, v52, v38, v51
	v_lshrrev_b32_e32 v51, 16, v38
.LBB860_135:
	s_or_b64 exec, exec, s[10:11]
.LBB860_136:
	s_or_b64 exec, exec, s[8:9]
.LBB860_137:
	s_or_b64 exec, exec, s[2:3]
	v_lshrrev_b16_e32 v38, 8, v39
	v_cmp_ne_u16_e32 vcc, 0, v38
	s_and_saveexec_b64 s[2:3], vcc
	s_cbranch_execz .LBB860_143
; %bb.138:
	s_movk_i32 s8, 0x80
	v_cmp_ne_u16_e32 vcc, s8, v38
	v_mov_b32_e32 v42, 0xffff8000
	s_and_saveexec_b64 s[8:9], vcc
	s_cbranch_execz .LBB860_142
; %bb.139:
	s_movk_i32 s10, 0x7f
	v_and_b32_e32 v52, 0x7f, v38
	v_cmp_ne_u32_e32 vcc, s10, v52
	v_mov_b32_e32 v42, 0x7f80
	s_and_saveexec_b64 s[10:11], vcc
	s_cbranch_execz .LBB860_141
; %bb.140:
	v_and_b32_e32 v42, 7, v38
	v_ffbh_u32_e32 v54, v42
	v_min_u32_e32 v56, 32, v54
	v_subrev_u32_e32 v54, 28, v56
	v_lshlrev_b64 v[54:55], v54, v[38:39]
	v_lshrrev_b32_e32 v53, 3, v52
	v_sub_u32_e32 v38, 29, v56
	v_and_b32_e32 v54, 7, v54
	v_cmp_gt_u32_e32 vcc, 8, v52
	v_cndmask_b32_e32 v38, v53, v38, vcc
	v_cndmask_b32_e32 v42, v42, v54, vcc
	v_lshlrev_b32_e32 v52, 16, v39
	v_bfrev_b32_e32 v53, 60
	v_lshlrev_b32_e32 v42, 20, v42
	v_and_b32_e32 v52, 0x80000000, v52
	v_lshl_add_u32 v38, v38, 23, v53
	v_or3_b32 v38, v52, v38, v42
	v_lshrrev_b32_e32 v42, 16, v38
.LBB860_141:
	s_or_b64 exec, exec, s[10:11]
.LBB860_142:
	s_or_b64 exec, exec, s[8:9]
.LBB860_143:
	s_or_b64 exec, exec, s[2:3]
	s_movk_i32 s2, 0xff
	v_and_b32_sdwa v54, v39, s2 dst_sel:DWORD dst_unused:UNUSED_PAD src0_sel:WORD_1 src1_sel:DWORD
	v_lshrrev_b32_e32 v38, 16, v39
	v_cmp_ne_u16_e32 vcc, 0, v54
	v_mov_b32_e32 v52, 0
	v_mov_b32_e32 v53, 0
	s_and_saveexec_b64 s[2:3], vcc
	s_cbranch_execz .LBB860_149
; %bb.144:
	s_movk_i32 s8, 0x80
	v_cmp_ne_u16_e32 vcc, s8, v54
	v_mov_b32_e32 v53, 0xffff8000
	s_and_saveexec_b64 s[8:9], vcc
	s_cbranch_execz .LBB860_148
; %bb.145:
	v_bfe_u32 v54, v39, 16, 7
	s_movk_i32 s10, 0x7f
	v_cmp_ne_u32_e32 vcc, s10, v54
	v_mov_b32_e32 v53, 0x7f80
	s_and_saveexec_b64 s[10:11], vcc
	s_cbranch_execz .LBB860_147
; %bb.146:
	v_and_b32_e32 v53, 7, v38
	v_ffbh_u32_e32 v56, v53
	v_min_u32_e32 v58, 32, v56
	v_subrev_u32_e32 v56, 28, v58
	v_lshlrev_b64 v[56:57], v56, v[38:39]
	v_lshrrev_b32_e32 v55, 3, v54
	v_sub_u32_e32 v38, 29, v58
	v_and_b32_e32 v56, 7, v56
	v_cmp_gt_u32_e32 vcc, 8, v54
	v_mov_b32_e32 v54, 24
	v_cndmask_b32_e32 v38, v55, v38, vcc
	v_cndmask_b32_e32 v53, v53, v56, vcc
	v_lshlrev_b32_sdwa v54, v54, v39 dst_sel:DWORD dst_unused:UNUSED_PAD src0_sel:DWORD src1_sel:WORD_1
	v_bfrev_b32_e32 v55, 60
	v_lshlrev_b32_e32 v53, 20, v53
	v_and_b32_e32 v54, 0x80000000, v54
	v_lshl_add_u32 v38, v38, 23, v55
	v_or3_b32 v38, v54, v38, v53
	v_lshrrev_b32_e32 v53, 16, v38
.LBB860_147:
	s_or_b64 exec, exec, s[10:11]
.LBB860_148:
	s_or_b64 exec, exec, s[8:9]
.LBB860_149:
	s_or_b64 exec, exec, s[2:3]
	s_mov_b32 s2, 0xffffff
	v_cmp_lt_u32_e32 vcc, s2, v39
	s_and_saveexec_b64 s[2:3], vcc
	s_cbranch_execz .LBB860_155
; %bb.150:
	v_lshrrev_b32_e32 v38, 24, v39
	s_movk_i32 s8, 0x80
	v_cmp_ne_u32_e32 vcc, s8, v38
	v_mov_b32_e32 v52, 0xffff8000
	s_and_saveexec_b64 s[8:9], vcc
	s_cbranch_execz .LBB860_154
; %bb.151:
	v_bfe_u32 v39, v39, 24, 7
	s_movk_i32 s10, 0x7f
	v_cmp_ne_u32_e32 vcc, s10, v39
	v_mov_b32_e32 v52, 0x7f80
	s_and_saveexec_b64 s[10:11], vcc
	s_cbranch_execz .LBB860_153
; %bb.152:
	v_and_b32_e32 v52, 7, v38
	v_ffbh_u32_e32 v54, v52
	v_min_u32_e32 v57, 32, v54
	v_subrev_u32_e32 v54, 28, v57
	v_lshlrev_b64 v[54:55], v54, v[38:39]
	v_lshrrev_b32_e32 v56, 3, v39
	v_sub_u32_e32 v55, 29, v57
	v_and_b32_e32 v54, 7, v54
	v_cmp_gt_u32_e32 vcc, 8, v39
	v_cndmask_b32_e32 v39, v56, v55, vcc
	v_cndmask_b32_e32 v52, v52, v54, vcc
	v_lshlrev_b32_e32 v38, 24, v38
	v_bfrev_b32_e32 v54, 60
	v_lshlrev_b32_e32 v52, 20, v52
	v_and_b32_e32 v38, 0x80000000, v38
	v_lshl_add_u32 v39, v39, 23, v54
	v_or3_b32 v38, v38, v39, v52
	v_lshrrev_b32_e32 v52, 16, v38
.LBB860_153:
	s_or_b64 exec, exec, s[10:11]
.LBB860_154:
	s_or_b64 exec, exec, s[8:9]
.LBB860_155:
	s_or_b64 exec, exec, s[2:3]
	s_mov_b32 s2, 0x5040100
	v_perm_b32 v39, v45, v50, s2
	v_perm_b32 v38, v43, v44, s2
	;; [unrolled: 1-line block ×4, first 2 shown]
	v_mov_b32_e32 v50, 0
	v_mfma_f32_16x16x16bf16_1k v[54:57], v[38:39], v[26:27], 0
	v_mov_b32_e32 v39, 0
	v_cmp_ne_u16_sdwa s[8:9], v40, v39 src0_sel:BYTE_0 src1_sel:DWORD
	v_mfma_f32_16x16x16bf16_1k v[42:45], v[42:43], v[28:29], v[54:57]
	s_and_saveexec_b64 s[2:3], s[8:9]
	s_cbranch_execz .LBB860_161
; %bb.156:
	s_movk_i32 s8, 0x80
	v_cmp_ne_u16_sdwa s[10:11], v40, s8 src0_sel:BYTE_0 src1_sel:DWORD
	v_mov_b32_e32 v50, 0xffff8000
	s_and_saveexec_b64 s[8:9], s[10:11]
	s_cbranch_execz .LBB860_160
; %bb.157:
	s_movk_i32 s10, 0x7f
	v_and_b32_e32 v38, 0x7f, v40
	v_cmp_ne_u32_e32 vcc, s10, v38
	v_mov_b32_e32 v50, 0x7f80
	s_and_saveexec_b64 s[10:11], vcc
	s_cbranch_execz .LBB860_159
; %bb.158:
	v_and_b32_e32 v52, 7, v40
	v_ffbh_u32_e32 v50, v52
	v_min_u32_e32 v54, 32, v50
	v_subrev_u32_e32 v50, 28, v54
	v_lshlrev_b64 v[50:51], v50, v[40:41]
	v_lshrrev_b32_e32 v53, 3, v38
	v_sub_u32_e32 v51, 29, v54
	v_and_b32_e32 v50, 7, v50
	v_cmp_gt_u32_e32 vcc, 8, v38
	v_cndmask_b32_e32 v38, v53, v51, vcc
	v_cndmask_b32_e32 v50, v52, v50, vcc
	v_lshlrev_b32_e32 v51, 24, v40
	v_bfrev_b32_e32 v52, 60
	v_lshlrev_b32_e32 v50, 20, v50
	v_and_b32_e32 v51, 0x80000000, v51
	v_lshl_add_u32 v38, v38, 23, v52
	v_or3_b32 v38, v51, v38, v50
	v_lshrrev_b32_e32 v50, 16, v38
.LBB860_159:
	s_or_b64 exec, exec, s[10:11]
.LBB860_160:
	s_or_b64 exec, exec, s[8:9]
.LBB860_161:
	s_or_b64 exec, exec, s[2:3]
	v_lshrrev_b16_e32 v38, 8, v40
	v_cmp_ne_u16_e32 vcc, 0, v38
	s_and_saveexec_b64 s[2:3], vcc
	s_cbranch_execz .LBB860_167
; %bb.162:
	s_movk_i32 s8, 0x80
	v_cmp_ne_u16_e32 vcc, s8, v38
	v_mov_b32_e32 v39, 0xffff8000
	s_and_saveexec_b64 s[8:9], vcc
	s_cbranch_execz .LBB860_166
; %bb.163:
	s_movk_i32 s10, 0x7f
	v_and_b32_e32 v51, 0x7f, v38
	v_cmp_ne_u32_e32 vcc, s10, v51
	v_mov_b32_e32 v39, 0x7f80
	s_and_saveexec_b64 s[10:11], vcc
	s_cbranch_execz .LBB860_165
; %bb.164:
	v_and_b32_e32 v52, 7, v38
	v_ffbh_u32_e32 v39, v52
	v_min_u32_e32 v54, 32, v39
	v_subrev_u32_e32 v39, 28, v54
	v_lshlrev_b64 v[38:39], v39, v[38:39]
	v_lshrrev_b32_e32 v53, 3, v51
	v_sub_u32_e32 v39, 29, v54
	v_and_b32_e32 v38, 7, v38
	v_cmp_gt_u32_e32 vcc, 8, v51
	v_cndmask_b32_e32 v39, v53, v39, vcc
	v_cndmask_b32_e32 v38, v52, v38, vcc
	v_lshlrev_b32_e32 v51, 16, v40
	v_bfrev_b32_e32 v52, 60
	v_lshlrev_b32_e32 v38, 20, v38
	v_and_b32_e32 v51, 0x80000000, v51
	v_lshl_add_u32 v39, v39, 23, v52
	v_or3_b32 v38, v51, v39, v38
	v_lshrrev_b32_e32 v39, 16, v38
.LBB860_165:
	s_or_b64 exec, exec, s[10:11]
.LBB860_166:
	s_or_b64 exec, exec, s[8:9]
.LBB860_167:
	s_or_b64 exec, exec, s[2:3]
	s_movk_i32 s2, 0xff
	v_and_b32_sdwa v53, v40, s2 dst_sel:DWORD dst_unused:UNUSED_PAD src0_sel:WORD_1 src1_sel:DWORD
	v_lshrrev_b32_e32 v38, 16, v40
	v_cmp_ne_u16_e32 vcc, 0, v53
	v_mov_b32_e32 v51, 0
	v_mov_b32_e32 v52, 0
	s_and_saveexec_b64 s[2:3], vcc
	s_cbranch_execz .LBB860_173
; %bb.168:
	s_movk_i32 s8, 0x80
	v_cmp_ne_u16_e32 vcc, s8, v53
	v_mov_b32_e32 v52, 0xffff8000
	s_and_saveexec_b64 s[8:9], vcc
	s_cbranch_execz .LBB860_172
; %bb.169:
	v_bfe_u32 v53, v40, 16, 7
	s_movk_i32 s10, 0x7f
	v_cmp_ne_u32_e32 vcc, s10, v53
	v_mov_b32_e32 v52, 0x7f80
	s_and_saveexec_b64 s[10:11], vcc
	s_cbranch_execz .LBB860_171
; %bb.170:
	v_and_b32_e32 v52, 7, v38
	v_ffbh_u32_e32 v54, v52
	v_min_u32_e32 v57, 32, v54
	v_subrev_u32_e32 v54, 28, v57
	v_lshlrev_b64 v[54:55], v54, v[38:39]
	v_lshrrev_b32_e32 v56, 3, v53
	v_sub_u32_e32 v38, 29, v57
	v_and_b32_e32 v54, 7, v54
	v_cmp_gt_u32_e32 vcc, 8, v53
	v_mov_b32_e32 v53, 24
	v_cndmask_b32_e32 v38, v56, v38, vcc
	v_cndmask_b32_e32 v52, v52, v54, vcc
	v_lshlrev_b32_sdwa v53, v53, v40 dst_sel:DWORD dst_unused:UNUSED_PAD src0_sel:DWORD src1_sel:WORD_1
	v_bfrev_b32_e32 v54, 60
	v_lshlrev_b32_e32 v52, 20, v52
	v_and_b32_e32 v53, 0x80000000, v53
	v_lshl_add_u32 v38, v38, 23, v54
	v_or3_b32 v38, v53, v38, v52
	v_lshrrev_b32_e32 v52, 16, v38
.LBB860_171:
	s_or_b64 exec, exec, s[10:11]
.LBB860_172:
	s_or_b64 exec, exec, s[8:9]
.LBB860_173:
	s_or_b64 exec, exec, s[2:3]
	s_mov_b32 s2, 0xffffff
	v_cmp_lt_u32_e32 vcc, s2, v40
	s_and_saveexec_b64 s[2:3], vcc
	s_cbranch_execz .LBB860_179
; %bb.174:
	v_lshrrev_b32_e32 v38, 24, v40
	s_movk_i32 s8, 0x80
	v_cmp_ne_u32_e32 vcc, s8, v38
	v_mov_b32_e32 v51, 0xffff8000
	s_and_saveexec_b64 s[8:9], vcc
	s_cbranch_execz .LBB860_178
; %bb.175:
	v_bfe_u32 v40, v40, 24, 7
	s_movk_i32 s10, 0x7f
	v_cmp_ne_u32_e32 vcc, s10, v40
	v_mov_b32_e32 v51, 0x7f80
	s_and_saveexec_b64 s[10:11], vcc
	s_cbranch_execz .LBB860_177
; %bb.176:
	v_and_b32_e32 v51, 7, v38
	v_ffbh_u32_e32 v54, v51
	v_min_u32_e32 v56, 32, v54
	v_subrev_u32_e32 v54, 28, v56
	v_lshlrev_b64 v[54:55], v54, v[38:39]
	v_lshrrev_b32_e32 v53, 3, v40
	v_sub_u32_e32 v55, 29, v56
	v_and_b32_e32 v54, 7, v54
	v_cmp_gt_u32_e32 vcc, 8, v40
	v_cndmask_b32_e32 v40, v53, v55, vcc
	v_cndmask_b32_e32 v51, v51, v54, vcc
	v_lshlrev_b32_e32 v38, 24, v38
	v_bfrev_b32_e32 v53, 60
	v_lshlrev_b32_e32 v51, 20, v51
	v_and_b32_e32 v38, 0x80000000, v38
	v_lshl_add_u32 v40, v40, 23, v53
	v_or3_b32 v38, v38, v40, v51
	v_lshrrev_b32_e32 v51, 16, v38
.LBB860_177:
	s_or_b64 exec, exec, s[10:11]
.LBB860_178:
	s_or_b64 exec, exec, s[8:9]
.LBB860_179:
	s_or_b64 exec, exec, s[2:3]
	v_mov_b32_e32 v40, 0
	v_cmp_ne_u16_sdwa s[8:9], v41, v40 src0_sel:BYTE_0 src1_sel:DWORD
	v_mov_b32_e32 v53, 0
	s_and_saveexec_b64 s[2:3], s[8:9]
	s_cbranch_execz .LBB860_185
; %bb.180:
	s_movk_i32 s8, 0x80
	v_cmp_ne_u16_sdwa s[10:11], v41, s8 src0_sel:BYTE_0 src1_sel:DWORD
	v_mov_b32_e32 v53, 0xffff8000
	s_and_saveexec_b64 s[8:9], s[10:11]
	s_cbranch_execz .LBB860_184
; %bb.181:
	s_movk_i32 s10, 0x7f
	v_and_b32_e32 v38, 0x7f, v41
	v_cmp_ne_u32_e32 vcc, s10, v38
	v_mov_b32_e32 v53, 0x7f80
	s_and_saveexec_b64 s[10:11], vcc
	s_cbranch_execz .LBB860_183
; %bb.182:
	v_and_b32_e32 v53, 7, v41
	v_ffbh_u32_e32 v55, v53
	v_min_u32_e32 v57, 32, v55
	v_mov_b32_e32 v54, v41
	v_subrev_u32_e32 v55, 28, v57
	v_lshlrev_b64 v[54:55], v55, v[54:55]
	v_lshrrev_b32_e32 v56, 3, v38
	v_sub_u32_e32 v55, 29, v57
	v_and_b32_e32 v54, 7, v54
	v_cmp_gt_u32_e32 vcc, 8, v38
	v_cndmask_b32_e32 v38, v56, v55, vcc
	v_cndmask_b32_e32 v53, v53, v54, vcc
	v_lshlrev_b32_e32 v54, 24, v41
	v_bfrev_b32_e32 v55, 60
	v_lshlrev_b32_e32 v53, 20, v53
	v_and_b32_e32 v54, 0x80000000, v54
	v_lshl_add_u32 v38, v38, 23, v55
	v_or3_b32 v38, v54, v38, v53
	v_lshrrev_b32_e32 v53, 16, v38
.LBB860_183:
	s_or_b64 exec, exec, s[10:11]
.LBB860_184:
	s_or_b64 exec, exec, s[8:9]
.LBB860_185:
	s_or_b64 exec, exec, s[2:3]
	v_lshrrev_b16_e32 v38, 8, v41
	v_cmp_ne_u16_e32 vcc, 0, v38
	s_and_saveexec_b64 s[2:3], vcc
	s_cbranch_execz .LBB860_191
; %bb.186:
	s_movk_i32 s8, 0x80
	v_cmp_ne_u16_e32 vcc, s8, v38
	v_mov_b32_e32 v40, 0xffff8000
	s_and_saveexec_b64 s[8:9], vcc
	s_cbranch_execz .LBB860_190
; %bb.187:
	s_movk_i32 s10, 0x7f
	v_and_b32_e32 v54, 0x7f, v38
	v_cmp_ne_u32_e32 vcc, s10, v54
	v_mov_b32_e32 v40, 0x7f80
	s_and_saveexec_b64 s[10:11], vcc
	s_cbranch_execz .LBB860_189
; %bb.188:
	v_and_b32_e32 v40, 7, v38
	v_ffbh_u32_e32 v56, v40
	v_min_u32_e32 v58, 32, v56
	v_subrev_u32_e32 v56, 28, v58
	v_lshlrev_b64 v[56:57], v56, v[38:39]
	v_lshrrev_b32_e32 v55, 3, v54
	v_sub_u32_e32 v38, 29, v58
	v_and_b32_e32 v56, 7, v56
	v_cmp_gt_u32_e32 vcc, 8, v54
	v_cndmask_b32_e32 v38, v55, v38, vcc
	v_cndmask_b32_e32 v40, v40, v56, vcc
	v_lshlrev_b32_e32 v54, 16, v41
	v_bfrev_b32_e32 v55, 60
	v_lshlrev_b32_e32 v40, 20, v40
	v_and_b32_e32 v54, 0x80000000, v54
	v_lshl_add_u32 v38, v38, 23, v55
	v_or3_b32 v38, v54, v38, v40
	v_lshrrev_b32_e32 v40, 16, v38
.LBB860_189:
	s_or_b64 exec, exec, s[10:11]
.LBB860_190:
	s_or_b64 exec, exec, s[8:9]
.LBB860_191:
	s_or_b64 exec, exec, s[2:3]
	s_movk_i32 s2, 0xff
	v_and_b32_sdwa v56, v41, s2 dst_sel:DWORD dst_unused:UNUSED_PAD src0_sel:WORD_1 src1_sel:DWORD
	v_lshrrev_b32_e32 v38, 16, v41
	v_cmp_ne_u16_e32 vcc, 0, v56
	v_mov_b32_e32 v54, 0
	v_mov_b32_e32 v55, 0
	s_and_saveexec_b64 s[2:3], vcc
	s_cbranch_execz .LBB860_197
; %bb.192:
	s_movk_i32 s8, 0x80
	v_cmp_ne_u16_e32 vcc, s8, v56
	v_mov_b32_e32 v55, 0xffff8000
	s_and_saveexec_b64 s[8:9], vcc
	s_cbranch_execz .LBB860_196
; %bb.193:
	v_bfe_u32 v56, v41, 16, 7
	s_movk_i32 s10, 0x7f
	v_cmp_ne_u32_e32 vcc, s10, v56
	v_mov_b32_e32 v55, 0x7f80
	s_and_saveexec_b64 s[10:11], vcc
	s_cbranch_execz .LBB860_195
; %bb.194:
	v_and_b32_e32 v55, 7, v38
	v_ffbh_u32_e32 v58, v55
	v_min_u32_e32 v60, 32, v58
	v_subrev_u32_e32 v58, 28, v60
	v_lshlrev_b64 v[58:59], v58, v[38:39]
	v_lshrrev_b32_e32 v57, 3, v56
	v_sub_u32_e32 v38, 29, v60
	v_and_b32_e32 v58, 7, v58
	v_cmp_gt_u32_e32 vcc, 8, v56
	v_mov_b32_e32 v56, 24
	v_cndmask_b32_e32 v38, v57, v38, vcc
	v_cndmask_b32_e32 v55, v55, v58, vcc
	v_lshlrev_b32_sdwa v56, v56, v41 dst_sel:DWORD dst_unused:UNUSED_PAD src0_sel:DWORD src1_sel:WORD_1
	v_bfrev_b32_e32 v57, 60
	v_lshlrev_b32_e32 v55, 20, v55
	v_and_b32_e32 v56, 0x80000000, v56
	v_lshl_add_u32 v38, v38, 23, v57
	v_or3_b32 v38, v56, v38, v55
	v_lshrrev_b32_e32 v55, 16, v38
.LBB860_195:
	s_or_b64 exec, exec, s[10:11]
.LBB860_196:
	s_or_b64 exec, exec, s[8:9]
.LBB860_197:
	s_or_b64 exec, exec, s[2:3]
	s_mov_b32 s2, 0xffffff
	v_cmp_lt_u32_e32 vcc, s2, v41
	s_and_saveexec_b64 s[2:3], vcc
	s_cbranch_execz .LBB860_203
; %bb.198:
	v_lshrrev_b32_e32 v38, 24, v41
	s_movk_i32 s8, 0x80
	v_cmp_ne_u32_e32 vcc, s8, v38
	v_mov_b32_e32 v54, 0xffff8000
	s_and_saveexec_b64 s[8:9], vcc
	s_cbranch_execz .LBB860_202
; %bb.199:
	v_bfe_u32 v41, v41, 24, 7
	s_movk_i32 s10, 0x7f
	v_cmp_ne_u32_e32 vcc, s10, v41
	v_mov_b32_e32 v54, 0x7f80
	s_and_saveexec_b64 s[10:11], vcc
	s_cbranch_execz .LBB860_201
; %bb.200:
	v_and_b32_e32 v54, 7, v38
	v_ffbh_u32_e32 v56, v54
	v_min_u32_e32 v59, 32, v56
	v_subrev_u32_e32 v56, 28, v59
	v_lshlrev_b64 v[56:57], v56, v[38:39]
	v_lshrrev_b32_e32 v58, 3, v41
	v_sub_u32_e32 v57, 29, v59
	v_and_b32_e32 v56, 7, v56
	v_cmp_gt_u32_e32 vcc, 8, v41
	v_cndmask_b32_e32 v41, v58, v57, vcc
	v_cndmask_b32_e32 v54, v54, v56, vcc
	v_lshlrev_b32_e32 v38, 24, v38
	v_bfrev_b32_e32 v56, 60
	v_lshlrev_b32_e32 v54, 20, v54
	v_and_b32_e32 v38, 0x80000000, v38
	v_lshl_add_u32 v41, v41, 23, v56
	v_or3_b32 v38, v38, v41, v54
	v_lshrrev_b32_e32 v54, 16, v38
.LBB860_201:
	s_or_b64 exec, exec, s[10:11]
.LBB860_202:
	s_or_b64 exec, exec, s[8:9]
.LBB860_203:
	s_or_b64 exec, exec, s[2:3]
	s_mov_b32 s2, 0x5040100
	v_perm_b32 v51, v51, v52, s2
	v_perm_b32 v50, v39, v50, s2
	v_perm_b32 v39, v54, v55, s2
	v_perm_b32 v38, v40, v53, s2
	v_mfma_f32_16x16x16bf16_1k v[56:59], v[50:51], v[18:19], v[42:45]
	s_nop 6
	v_mov_b32_e32 v43, 0
	s_waitcnt vmcnt(5)
	v_cmp_ne_u16_sdwa s[8:9], v34, v43 src0_sel:BYTE_0 src1_sel:DWORD
	v_mfma_f32_16x16x16bf16_1k v[38:41], v[38:39], v[20:21], v[56:59]
	v_mov_b32_e32 v44, 0
	s_and_saveexec_b64 s[2:3], s[8:9]
	s_cbranch_execz .LBB860_209
; %bb.204:
	s_movk_i32 s8, 0x80
	v_cmp_ne_u16_sdwa s[10:11], v34, s8 src0_sel:BYTE_0 src1_sel:DWORD
	v_mov_b32_e32 v44, 0xffff8000
	s_and_saveexec_b64 s[8:9], s[10:11]
	s_cbranch_execz .LBB860_208
; %bb.205:
	s_movk_i32 s10, 0x7f
	v_and_b32_e32 v42, 0x7f, v34
	v_cmp_ne_u32_e32 vcc, s10, v42
	v_mov_b32_e32 v44, 0x7f80
	s_and_saveexec_b64 s[10:11], vcc
	s_cbranch_execz .LBB860_207
; %bb.206:
	v_and_b32_e32 v50, 7, v34
	v_ffbh_u32_e32 v44, v50
	v_min_u32_e32 v52, 32, v44
	v_subrev_u32_e32 v44, 28, v52
	v_lshlrev_b64 v[44:45], v44, v[34:35]
	v_lshrrev_b32_e32 v51, 3, v42
	v_sub_u32_e32 v45, 29, v52
	v_and_b32_e32 v44, 7, v44
	v_cmp_gt_u32_e32 vcc, 8, v42
	v_cndmask_b32_e32 v42, v51, v45, vcc
	v_cndmask_b32_e32 v44, v50, v44, vcc
	v_lshlrev_b32_e32 v45, 24, v34
	v_bfrev_b32_e32 v50, 60
	v_lshlrev_b32_e32 v44, 20, v44
	v_and_b32_e32 v45, 0x80000000, v45
	v_lshl_add_u32 v42, v42, 23, v50
	v_or3_b32 v42, v45, v42, v44
	v_lshrrev_b32_e32 v44, 16, v42
.LBB860_207:
	s_or_b64 exec, exec, s[10:11]
.LBB860_208:
	s_or_b64 exec, exec, s[8:9]
.LBB860_209:
	s_or_b64 exec, exec, s[2:3]
	v_lshrrev_b16_e32 v42, 8, v34
	v_cmp_ne_u16_e32 vcc, 0, v42
	s_and_saveexec_b64 s[2:3], vcc
	s_cbranch_execz .LBB860_215
; %bb.210:
	s_movk_i32 s8, 0x80
	v_cmp_ne_u16_e32 vcc, s8, v42
	v_mov_b32_e32 v43, 0xffff8000
	s_and_saveexec_b64 s[8:9], vcc
	s_cbranch_execz .LBB860_214
; %bb.211:
	s_movk_i32 s10, 0x7f
	v_and_b32_e32 v45, 0x7f, v42
	v_cmp_ne_u32_e32 vcc, s10, v45
	v_mov_b32_e32 v43, 0x7f80
	s_and_saveexec_b64 s[10:11], vcc
	s_cbranch_execz .LBB860_213
; %bb.212:
	v_and_b32_e32 v50, 7, v42
	v_ffbh_u32_e32 v43, v50
	v_min_u32_e32 v52, 32, v43
	v_subrev_u32_e32 v43, 28, v52
	v_lshlrev_b64 v[42:43], v43, v[42:43]
	v_lshrrev_b32_e32 v51, 3, v45
	v_sub_u32_e32 v43, 29, v52
	v_and_b32_e32 v42, 7, v42
	v_cmp_gt_u32_e32 vcc, 8, v45
	v_cndmask_b32_e32 v43, v51, v43, vcc
	v_cndmask_b32_e32 v42, v50, v42, vcc
	v_lshlrev_b32_e32 v45, 16, v34
	v_bfrev_b32_e32 v50, 60
	v_lshlrev_b32_e32 v42, 20, v42
	v_and_b32_e32 v45, 0x80000000, v45
	v_lshl_add_u32 v43, v43, 23, v50
	v_or3_b32 v42, v45, v43, v42
	v_lshrrev_b32_e32 v43, 16, v42
.LBB860_213:
	s_or_b64 exec, exec, s[10:11]
.LBB860_214:
	s_or_b64 exec, exec, s[8:9]
.LBB860_215:
	s_or_b64 exec, exec, s[2:3]
	s_movk_i32 s2, 0xff
	v_and_b32_sdwa v51, v34, s2 dst_sel:DWORD dst_unused:UNUSED_PAD src0_sel:WORD_1 src1_sel:DWORD
	v_lshrrev_b32_e32 v42, 16, v34
	v_cmp_ne_u16_e32 vcc, 0, v51
	v_mov_b32_e32 v45, 0
	v_mov_b32_e32 v50, 0
	s_and_saveexec_b64 s[2:3], vcc
	s_cbranch_execz .LBB860_221
; %bb.216:
	s_movk_i32 s8, 0x80
	v_cmp_ne_u16_e32 vcc, s8, v51
	v_mov_b32_e32 v50, 0xffff8000
	s_and_saveexec_b64 s[8:9], vcc
	s_cbranch_execz .LBB860_220
; %bb.217:
	v_bfe_u32 v51, v34, 16, 7
	s_movk_i32 s10, 0x7f
	v_cmp_ne_u32_e32 vcc, s10, v51
	v_mov_b32_e32 v50, 0x7f80
	s_and_saveexec_b64 s[10:11], vcc
	s_cbranch_execz .LBB860_219
; %bb.218:
	v_and_b32_e32 v50, 7, v42
	v_ffbh_u32_e32 v52, v50
	v_min_u32_e32 v55, 32, v52
	v_subrev_u32_e32 v52, 28, v55
	v_lshlrev_b64 v[52:53], v52, v[42:43]
	v_lshrrev_b32_e32 v54, 3, v51
	v_sub_u32_e32 v42, 29, v55
	v_and_b32_e32 v52, 7, v52
	v_cmp_gt_u32_e32 vcc, 8, v51
	v_mov_b32_e32 v51, 24
	v_cndmask_b32_e32 v42, v54, v42, vcc
	v_cndmask_b32_e32 v50, v50, v52, vcc
	v_lshlrev_b32_sdwa v51, v51, v34 dst_sel:DWORD dst_unused:UNUSED_PAD src0_sel:DWORD src1_sel:WORD_1
	v_bfrev_b32_e32 v52, 60
	v_lshlrev_b32_e32 v50, 20, v50
	v_and_b32_e32 v51, 0x80000000, v51
	v_lshl_add_u32 v42, v42, 23, v52
	v_or3_b32 v42, v51, v42, v50
	v_lshrrev_b32_e32 v50, 16, v42
.LBB860_219:
	s_or_b64 exec, exec, s[10:11]
.LBB860_220:
	s_or_b64 exec, exec, s[8:9]
.LBB860_221:
	s_or_b64 exec, exec, s[2:3]
	s_mov_b32 s2, 0xffffff
	v_cmp_lt_u32_e32 vcc, s2, v34
	s_and_saveexec_b64 s[2:3], vcc
	s_cbranch_execz .LBB860_227
; %bb.222:
	v_lshrrev_b32_e32 v42, 24, v34
	s_movk_i32 s8, 0x80
	v_cmp_ne_u32_e32 vcc, s8, v42
	v_mov_b32_e32 v45, 0xffff8000
	s_and_saveexec_b64 s[8:9], vcc
	s_cbranch_execz .LBB860_226
; %bb.223:
	v_bfe_u32 v34, v34, 24, 7
	s_movk_i32 s10, 0x7f
	v_cmp_ne_u32_e32 vcc, s10, v34
	v_mov_b32_e32 v45, 0x7f80
	s_and_saveexec_b64 s[10:11], vcc
	s_cbranch_execz .LBB860_225
; %bb.224:
	v_and_b32_e32 v45, 7, v42
	v_ffbh_u32_e32 v52, v45
	v_min_u32_e32 v54, 32, v52
	v_subrev_u32_e32 v52, 28, v54
	v_lshlrev_b64 v[52:53], v52, v[42:43]
	v_lshrrev_b32_e32 v51, 3, v34
	v_sub_u32_e32 v53, 29, v54
	v_and_b32_e32 v52, 7, v52
	v_cmp_gt_u32_e32 vcc, 8, v34
	v_cndmask_b32_e32 v34, v51, v53, vcc
	v_cndmask_b32_e32 v45, v45, v52, vcc
	v_lshlrev_b32_e32 v42, 24, v42
	v_bfrev_b32_e32 v51, 60
	v_lshlrev_b32_e32 v45, 20, v45
	v_and_b32_e32 v42, 0x80000000, v42
	v_lshl_add_u32 v34, v34, 23, v51
	v_or3_b32 v34, v42, v34, v45
	v_lshrrev_b32_e32 v45, 16, v34
.LBB860_225:
	s_or_b64 exec, exec, s[10:11]
.LBB860_226:
	s_or_b64 exec, exec, s[8:9]
.LBB860_227:
	s_or_b64 exec, exec, s[2:3]
	v_mov_b32_e32 v42, 0
	v_cmp_ne_u16_sdwa s[8:9], v35, v42 src0_sel:BYTE_0 src1_sel:DWORD
	v_mov_b32_e32 v51, 0
	s_and_saveexec_b64 s[2:3], s[8:9]
	s_cbranch_execz .LBB860_233
; %bb.228:
	s_movk_i32 s8, 0x80
	v_cmp_ne_u16_sdwa s[10:11], v35, s8 src0_sel:BYTE_0 src1_sel:DWORD
	v_mov_b32_e32 v51, 0xffff8000
	s_and_saveexec_b64 s[8:9], s[10:11]
	s_cbranch_execz .LBB860_232
; %bb.229:
	s_movk_i32 s10, 0x7f
	v_and_b32_e32 v34, 0x7f, v35
	v_cmp_ne_u32_e32 vcc, s10, v34
	v_mov_b32_e32 v51, 0x7f80
	s_and_saveexec_b64 s[10:11], vcc
	s_cbranch_execz .LBB860_231
; %bb.230:
	v_and_b32_e32 v51, 7, v35
	v_ffbh_u32_e32 v53, v51
	v_min_u32_e32 v55, 32, v53
	v_mov_b32_e32 v52, v35
	v_subrev_u32_e32 v53, 28, v55
	v_lshlrev_b64 v[52:53], v53, v[52:53]
	v_lshrrev_b32_e32 v54, 3, v34
	v_sub_u32_e32 v53, 29, v55
	v_and_b32_e32 v52, 7, v52
	v_cmp_gt_u32_e32 vcc, 8, v34
	v_cndmask_b32_e32 v34, v54, v53, vcc
	v_cndmask_b32_e32 v51, v51, v52, vcc
	v_lshlrev_b32_e32 v52, 24, v35
	v_bfrev_b32_e32 v53, 60
	v_lshlrev_b32_e32 v51, 20, v51
	v_and_b32_e32 v52, 0x80000000, v52
	v_lshl_add_u32 v34, v34, 23, v53
	v_or3_b32 v34, v52, v34, v51
	v_lshrrev_b32_e32 v51, 16, v34
.LBB860_231:
	s_or_b64 exec, exec, s[10:11]
.LBB860_232:
	s_or_b64 exec, exec, s[8:9]
.LBB860_233:
	s_or_b64 exec, exec, s[2:3]
	v_lshrrev_b16_e32 v34, 8, v35
	v_cmp_ne_u16_e32 vcc, 0, v34
	s_and_saveexec_b64 s[2:3], vcc
	s_cbranch_execz .LBB860_239
; %bb.234:
	s_movk_i32 s8, 0x80
	v_cmp_ne_u16_e32 vcc, s8, v34
	v_mov_b32_e32 v42, 0xffff8000
	s_and_saveexec_b64 s[8:9], vcc
	s_cbranch_execz .LBB860_238
; %bb.235:
	s_movk_i32 s10, 0x7f
	v_and_b32_e32 v52, 0x7f, v34
	v_cmp_ne_u32_e32 vcc, s10, v52
	v_mov_b32_e32 v42, 0x7f80
	s_and_saveexec_b64 s[10:11], vcc
	s_cbranch_execz .LBB860_237
; %bb.236:
	v_and_b32_e32 v42, 7, v34
	v_ffbh_u32_e32 v54, v42
	v_min_u32_e32 v56, 32, v54
	v_subrev_u32_e32 v54, 28, v56
	v_lshlrev_b64 v[54:55], v54, v[34:35]
	v_lshrrev_b32_e32 v53, 3, v52
	v_sub_u32_e32 v34, 29, v56
	v_and_b32_e32 v54, 7, v54
	v_cmp_gt_u32_e32 vcc, 8, v52
	v_cndmask_b32_e32 v34, v53, v34, vcc
	v_cndmask_b32_e32 v42, v42, v54, vcc
	v_lshlrev_b32_e32 v52, 16, v35
	v_bfrev_b32_e32 v53, 60
	v_lshlrev_b32_e32 v42, 20, v42
	v_and_b32_e32 v52, 0x80000000, v52
	v_lshl_add_u32 v34, v34, 23, v53
	v_or3_b32 v34, v52, v34, v42
	v_lshrrev_b32_e32 v42, 16, v34
.LBB860_237:
	s_or_b64 exec, exec, s[10:11]
.LBB860_238:
	s_or_b64 exec, exec, s[8:9]
.LBB860_239:
	s_or_b64 exec, exec, s[2:3]
	s_movk_i32 s2, 0xff
	v_and_b32_sdwa v54, v35, s2 dst_sel:DWORD dst_unused:UNUSED_PAD src0_sel:WORD_1 src1_sel:DWORD
	v_lshrrev_b32_e32 v34, 16, v35
	v_cmp_ne_u16_e32 vcc, 0, v54
	v_mov_b32_e32 v52, 0
	v_mov_b32_e32 v53, 0
	s_and_saveexec_b64 s[2:3], vcc
	s_cbranch_execz .LBB860_245
; %bb.240:
	s_movk_i32 s8, 0x80
	v_cmp_ne_u16_e32 vcc, s8, v54
	v_mov_b32_e32 v53, 0xffff8000
	s_and_saveexec_b64 s[8:9], vcc
	s_cbranch_execz .LBB860_244
; %bb.241:
	v_bfe_u32 v54, v35, 16, 7
	s_movk_i32 s10, 0x7f
	v_cmp_ne_u32_e32 vcc, s10, v54
	v_mov_b32_e32 v53, 0x7f80
	s_and_saveexec_b64 s[10:11], vcc
	s_cbranch_execz .LBB860_243
; %bb.242:
	v_and_b32_e32 v53, 7, v34
	v_ffbh_u32_e32 v56, v53
	v_min_u32_e32 v58, 32, v56
	v_subrev_u32_e32 v56, 28, v58
	v_lshlrev_b64 v[56:57], v56, v[34:35]
	v_lshrrev_b32_e32 v55, 3, v54
	v_sub_u32_e32 v34, 29, v58
	v_and_b32_e32 v56, 7, v56
	v_cmp_gt_u32_e32 vcc, 8, v54
	v_mov_b32_e32 v54, 24
	v_cndmask_b32_e32 v34, v55, v34, vcc
	v_cndmask_b32_e32 v53, v53, v56, vcc
	v_lshlrev_b32_sdwa v54, v54, v35 dst_sel:DWORD dst_unused:UNUSED_PAD src0_sel:DWORD src1_sel:WORD_1
	v_bfrev_b32_e32 v55, 60
	v_lshlrev_b32_e32 v53, 20, v53
	v_and_b32_e32 v54, 0x80000000, v54
	v_lshl_add_u32 v34, v34, 23, v55
	v_or3_b32 v34, v54, v34, v53
	v_lshrrev_b32_e32 v53, 16, v34
.LBB860_243:
	s_or_b64 exec, exec, s[10:11]
.LBB860_244:
	s_or_b64 exec, exec, s[8:9]
.LBB860_245:
	s_or_b64 exec, exec, s[2:3]
	s_mov_b32 s2, 0xffffff
	v_cmp_lt_u32_e32 vcc, s2, v35
	s_and_saveexec_b64 s[2:3], vcc
	s_cbranch_execz .LBB860_251
; %bb.246:
	v_lshrrev_b32_e32 v34, 24, v35
	s_movk_i32 s8, 0x80
	v_cmp_ne_u32_e32 vcc, s8, v34
	v_mov_b32_e32 v52, 0xffff8000
	s_and_saveexec_b64 s[8:9], vcc
	s_cbranch_execz .LBB860_250
; %bb.247:
	v_bfe_u32 v35, v35, 24, 7
	s_movk_i32 s10, 0x7f
	v_cmp_ne_u32_e32 vcc, s10, v35
	v_mov_b32_e32 v52, 0x7f80
	s_and_saveexec_b64 s[10:11], vcc
	s_cbranch_execz .LBB860_249
; %bb.248:
	v_and_b32_e32 v52, 7, v34
	v_ffbh_u32_e32 v54, v52
	v_min_u32_e32 v57, 32, v54
	v_subrev_u32_e32 v54, 28, v57
	v_lshlrev_b64 v[54:55], v54, v[34:35]
	v_lshrrev_b32_e32 v56, 3, v35
	v_sub_u32_e32 v55, 29, v57
	v_and_b32_e32 v54, 7, v54
	v_cmp_gt_u32_e32 vcc, 8, v35
	v_cndmask_b32_e32 v35, v56, v55, vcc
	v_cndmask_b32_e32 v52, v52, v54, vcc
	v_lshlrev_b32_e32 v34, 24, v34
	v_bfrev_b32_e32 v54, 60
	v_lshlrev_b32_e32 v52, 20, v52
	v_and_b32_e32 v34, 0x80000000, v34
	v_lshl_add_u32 v35, v35, 23, v54
	v_or3_b32 v34, v34, v35, v52
	v_lshrrev_b32_e32 v52, 16, v34
.LBB860_249:
	s_or_b64 exec, exec, s[10:11]
.LBB860_250:
	s_or_b64 exec, exec, s[8:9]
.LBB860_251:
	s_or_b64 exec, exec, s[2:3]
	s_mov_b32 s2, 0x5040100
	v_perm_b32 v35, v45, v50, s2
	v_perm_b32 v34, v43, v44, s2
	;; [unrolled: 1-line block ×4, first 2 shown]
	v_mov_b32_e32 v50, 0
	v_mfma_f32_16x16x16bf16_1k v[54:57], v[34:35], v[26:27], 0
	v_mov_b32_e32 v35, 0
	v_cmp_ne_u16_sdwa s[8:9], v36, v35 src0_sel:BYTE_0 src1_sel:DWORD
	v_mfma_f32_16x16x16bf16_1k v[42:45], v[42:43], v[28:29], v[54:57]
	s_and_saveexec_b64 s[2:3], s[8:9]
	s_cbranch_execz .LBB860_257
; %bb.252:
	s_movk_i32 s8, 0x80
	v_cmp_ne_u16_sdwa s[10:11], v36, s8 src0_sel:BYTE_0 src1_sel:DWORD
	v_mov_b32_e32 v50, 0xffff8000
	s_and_saveexec_b64 s[8:9], s[10:11]
	s_cbranch_execz .LBB860_256
; %bb.253:
	s_movk_i32 s10, 0x7f
	v_and_b32_e32 v34, 0x7f, v36
	v_cmp_ne_u32_e32 vcc, s10, v34
	v_mov_b32_e32 v50, 0x7f80
	s_and_saveexec_b64 s[10:11], vcc
	s_cbranch_execz .LBB860_255
; %bb.254:
	v_and_b32_e32 v52, 7, v36
	v_ffbh_u32_e32 v50, v52
	v_min_u32_e32 v54, 32, v50
	v_subrev_u32_e32 v50, 28, v54
	v_lshlrev_b64 v[50:51], v50, v[36:37]
	v_lshrrev_b32_e32 v53, 3, v34
	v_sub_u32_e32 v51, 29, v54
	v_and_b32_e32 v50, 7, v50
	v_cmp_gt_u32_e32 vcc, 8, v34
	v_cndmask_b32_e32 v34, v53, v51, vcc
	v_cndmask_b32_e32 v50, v52, v50, vcc
	v_lshlrev_b32_e32 v51, 24, v36
	v_bfrev_b32_e32 v52, 60
	v_lshlrev_b32_e32 v50, 20, v50
	v_and_b32_e32 v51, 0x80000000, v51
	v_lshl_add_u32 v34, v34, 23, v52
	v_or3_b32 v34, v51, v34, v50
	v_lshrrev_b32_e32 v50, 16, v34
.LBB860_255:
	s_or_b64 exec, exec, s[10:11]
.LBB860_256:
	s_or_b64 exec, exec, s[8:9]
.LBB860_257:
	s_or_b64 exec, exec, s[2:3]
	v_lshrrev_b16_e32 v34, 8, v36
	v_cmp_ne_u16_e32 vcc, 0, v34
	s_and_saveexec_b64 s[2:3], vcc
	s_cbranch_execz .LBB860_263
; %bb.258:
	s_movk_i32 s8, 0x80
	v_cmp_ne_u16_e32 vcc, s8, v34
	v_mov_b32_e32 v35, 0xffff8000
	s_and_saveexec_b64 s[8:9], vcc
	s_cbranch_execz .LBB860_262
; %bb.259:
	s_movk_i32 s10, 0x7f
	v_and_b32_e32 v51, 0x7f, v34
	v_cmp_ne_u32_e32 vcc, s10, v51
	v_mov_b32_e32 v35, 0x7f80
	s_and_saveexec_b64 s[10:11], vcc
	s_cbranch_execz .LBB860_261
; %bb.260:
	v_and_b32_e32 v52, 7, v34
	v_ffbh_u32_e32 v35, v52
	v_min_u32_e32 v54, 32, v35
	v_subrev_u32_e32 v35, 28, v54
	v_lshlrev_b64 v[34:35], v35, v[34:35]
	v_lshrrev_b32_e32 v53, 3, v51
	v_sub_u32_e32 v35, 29, v54
	v_and_b32_e32 v34, 7, v34
	v_cmp_gt_u32_e32 vcc, 8, v51
	v_cndmask_b32_e32 v35, v53, v35, vcc
	v_cndmask_b32_e32 v34, v52, v34, vcc
	v_lshlrev_b32_e32 v51, 16, v36
	v_bfrev_b32_e32 v52, 60
	v_lshlrev_b32_e32 v34, 20, v34
	v_and_b32_e32 v51, 0x80000000, v51
	v_lshl_add_u32 v35, v35, 23, v52
	v_or3_b32 v34, v51, v35, v34
	v_lshrrev_b32_e32 v35, 16, v34
.LBB860_261:
	s_or_b64 exec, exec, s[10:11]
.LBB860_262:
	s_or_b64 exec, exec, s[8:9]
.LBB860_263:
	s_or_b64 exec, exec, s[2:3]
	s_movk_i32 s2, 0xff
	v_and_b32_sdwa v53, v36, s2 dst_sel:DWORD dst_unused:UNUSED_PAD src0_sel:WORD_1 src1_sel:DWORD
	v_lshrrev_b32_e32 v34, 16, v36
	v_cmp_ne_u16_e32 vcc, 0, v53
	v_mov_b32_e32 v51, 0
	v_mov_b32_e32 v52, 0
	s_and_saveexec_b64 s[2:3], vcc
	s_cbranch_execz .LBB860_269
; %bb.264:
	s_movk_i32 s8, 0x80
	v_cmp_ne_u16_e32 vcc, s8, v53
	v_mov_b32_e32 v52, 0xffff8000
	s_and_saveexec_b64 s[8:9], vcc
	s_cbranch_execz .LBB860_268
; %bb.265:
	v_bfe_u32 v53, v36, 16, 7
	s_movk_i32 s10, 0x7f
	v_cmp_ne_u32_e32 vcc, s10, v53
	v_mov_b32_e32 v52, 0x7f80
	s_and_saveexec_b64 s[10:11], vcc
	s_cbranch_execz .LBB860_267
; %bb.266:
	v_and_b32_e32 v52, 7, v34
	v_ffbh_u32_e32 v54, v52
	v_min_u32_e32 v57, 32, v54
	v_subrev_u32_e32 v54, 28, v57
	v_lshlrev_b64 v[54:55], v54, v[34:35]
	v_lshrrev_b32_e32 v56, 3, v53
	v_sub_u32_e32 v34, 29, v57
	v_and_b32_e32 v54, 7, v54
	v_cmp_gt_u32_e32 vcc, 8, v53
	v_mov_b32_e32 v53, 24
	v_cndmask_b32_e32 v34, v56, v34, vcc
	v_cndmask_b32_e32 v52, v52, v54, vcc
	v_lshlrev_b32_sdwa v53, v53, v36 dst_sel:DWORD dst_unused:UNUSED_PAD src0_sel:DWORD src1_sel:WORD_1
	v_bfrev_b32_e32 v54, 60
	v_lshlrev_b32_e32 v52, 20, v52
	v_and_b32_e32 v53, 0x80000000, v53
	v_lshl_add_u32 v34, v34, 23, v54
	v_or3_b32 v34, v53, v34, v52
	v_lshrrev_b32_e32 v52, 16, v34
.LBB860_267:
	s_or_b64 exec, exec, s[10:11]
.LBB860_268:
	s_or_b64 exec, exec, s[8:9]
.LBB860_269:
	s_or_b64 exec, exec, s[2:3]
	s_mov_b32 s2, 0xffffff
	v_cmp_lt_u32_e32 vcc, s2, v36
	s_and_saveexec_b64 s[2:3], vcc
	s_cbranch_execz .LBB860_275
; %bb.270:
	v_lshrrev_b32_e32 v34, 24, v36
	s_movk_i32 s8, 0x80
	v_cmp_ne_u32_e32 vcc, s8, v34
	v_mov_b32_e32 v51, 0xffff8000
	s_and_saveexec_b64 s[8:9], vcc
	s_cbranch_execz .LBB860_274
; %bb.271:
	v_bfe_u32 v36, v36, 24, 7
	s_movk_i32 s10, 0x7f
	v_cmp_ne_u32_e32 vcc, s10, v36
	v_mov_b32_e32 v51, 0x7f80
	s_and_saveexec_b64 s[10:11], vcc
	s_cbranch_execz .LBB860_273
; %bb.272:
	v_and_b32_e32 v51, 7, v34
	v_ffbh_u32_e32 v54, v51
	v_min_u32_e32 v56, 32, v54
	v_subrev_u32_e32 v54, 28, v56
	v_lshlrev_b64 v[54:55], v54, v[34:35]
	v_lshrrev_b32_e32 v53, 3, v36
	v_sub_u32_e32 v55, 29, v56
	v_and_b32_e32 v54, 7, v54
	v_cmp_gt_u32_e32 vcc, 8, v36
	v_cndmask_b32_e32 v36, v53, v55, vcc
	v_cndmask_b32_e32 v51, v51, v54, vcc
	v_lshlrev_b32_e32 v34, 24, v34
	v_bfrev_b32_e32 v53, 60
	v_lshlrev_b32_e32 v51, 20, v51
	v_and_b32_e32 v34, 0x80000000, v34
	v_lshl_add_u32 v36, v36, 23, v53
	v_or3_b32 v34, v34, v36, v51
	v_lshrrev_b32_e32 v51, 16, v34
.LBB860_273:
	s_or_b64 exec, exec, s[10:11]
.LBB860_274:
	s_or_b64 exec, exec, s[8:9]
.LBB860_275:
	s_or_b64 exec, exec, s[2:3]
	v_mov_b32_e32 v36, 0
	v_cmp_ne_u16_sdwa s[8:9], v37, v36 src0_sel:BYTE_0 src1_sel:DWORD
	v_mov_b32_e32 v53, 0
	s_and_saveexec_b64 s[2:3], s[8:9]
	s_cbranch_execz .LBB860_281
; %bb.276:
	s_movk_i32 s8, 0x80
	v_cmp_ne_u16_sdwa s[10:11], v37, s8 src0_sel:BYTE_0 src1_sel:DWORD
	v_mov_b32_e32 v53, 0xffff8000
	s_and_saveexec_b64 s[8:9], s[10:11]
	s_cbranch_execz .LBB860_280
; %bb.277:
	s_movk_i32 s10, 0x7f
	v_and_b32_e32 v34, 0x7f, v37
	v_cmp_ne_u32_e32 vcc, s10, v34
	v_mov_b32_e32 v53, 0x7f80
	s_and_saveexec_b64 s[10:11], vcc
	s_cbranch_execz .LBB860_279
; %bb.278:
	v_and_b32_e32 v53, 7, v37
	v_ffbh_u32_e32 v55, v53
	v_min_u32_e32 v57, 32, v55
	v_mov_b32_e32 v54, v37
	v_subrev_u32_e32 v55, 28, v57
	v_lshlrev_b64 v[54:55], v55, v[54:55]
	v_lshrrev_b32_e32 v56, 3, v34
	v_sub_u32_e32 v55, 29, v57
	v_and_b32_e32 v54, 7, v54
	v_cmp_gt_u32_e32 vcc, 8, v34
	v_cndmask_b32_e32 v34, v56, v55, vcc
	v_cndmask_b32_e32 v53, v53, v54, vcc
	v_lshlrev_b32_e32 v54, 24, v37
	v_bfrev_b32_e32 v55, 60
	v_lshlrev_b32_e32 v53, 20, v53
	v_and_b32_e32 v54, 0x80000000, v54
	v_lshl_add_u32 v34, v34, 23, v55
	v_or3_b32 v34, v54, v34, v53
	v_lshrrev_b32_e32 v53, 16, v34
.LBB860_279:
	s_or_b64 exec, exec, s[10:11]
.LBB860_280:
	s_or_b64 exec, exec, s[8:9]
.LBB860_281:
	s_or_b64 exec, exec, s[2:3]
	v_lshrrev_b16_e32 v34, 8, v37
	v_cmp_ne_u16_e32 vcc, 0, v34
	s_and_saveexec_b64 s[2:3], vcc
	s_cbranch_execz .LBB860_287
; %bb.282:
	s_movk_i32 s8, 0x80
	v_cmp_ne_u16_e32 vcc, s8, v34
	v_mov_b32_e32 v36, 0xffff8000
	s_and_saveexec_b64 s[8:9], vcc
	s_cbranch_execz .LBB860_286
; %bb.283:
	s_movk_i32 s10, 0x7f
	v_and_b32_e32 v54, 0x7f, v34
	v_cmp_ne_u32_e32 vcc, s10, v54
	v_mov_b32_e32 v36, 0x7f80
	s_and_saveexec_b64 s[10:11], vcc
	s_cbranch_execz .LBB860_285
; %bb.284:
	v_and_b32_e32 v36, 7, v34
	v_ffbh_u32_e32 v56, v36
	v_min_u32_e32 v58, 32, v56
	v_subrev_u32_e32 v56, 28, v58
	v_lshlrev_b64 v[56:57], v56, v[34:35]
	v_lshrrev_b32_e32 v55, 3, v54
	v_sub_u32_e32 v34, 29, v58
	v_and_b32_e32 v56, 7, v56
	v_cmp_gt_u32_e32 vcc, 8, v54
	v_cndmask_b32_e32 v34, v55, v34, vcc
	v_cndmask_b32_e32 v36, v36, v56, vcc
	v_lshlrev_b32_e32 v54, 16, v37
	v_bfrev_b32_e32 v55, 60
	v_lshlrev_b32_e32 v36, 20, v36
	v_and_b32_e32 v54, 0x80000000, v54
	v_lshl_add_u32 v34, v34, 23, v55
	v_or3_b32 v34, v54, v34, v36
	v_lshrrev_b32_e32 v36, 16, v34
.LBB860_285:
	s_or_b64 exec, exec, s[10:11]
.LBB860_286:
	s_or_b64 exec, exec, s[8:9]
.LBB860_287:
	s_or_b64 exec, exec, s[2:3]
	s_movk_i32 s2, 0xff
	v_and_b32_sdwa v56, v37, s2 dst_sel:DWORD dst_unused:UNUSED_PAD src0_sel:WORD_1 src1_sel:DWORD
	v_lshrrev_b32_e32 v34, 16, v37
	v_cmp_ne_u16_e32 vcc, 0, v56
	v_mov_b32_e32 v54, 0
	v_mov_b32_e32 v55, 0
	s_and_saveexec_b64 s[2:3], vcc
	s_cbranch_execz .LBB860_293
; %bb.288:
	s_movk_i32 s8, 0x80
	v_cmp_ne_u16_e32 vcc, s8, v56
	v_mov_b32_e32 v55, 0xffff8000
	s_and_saveexec_b64 s[8:9], vcc
	s_cbranch_execz .LBB860_292
; %bb.289:
	v_bfe_u32 v56, v37, 16, 7
	s_movk_i32 s10, 0x7f
	v_cmp_ne_u32_e32 vcc, s10, v56
	v_mov_b32_e32 v55, 0x7f80
	s_and_saveexec_b64 s[10:11], vcc
	s_cbranch_execz .LBB860_291
; %bb.290:
	v_and_b32_e32 v55, 7, v34
	v_ffbh_u32_e32 v58, v55
	v_min_u32_e32 v60, 32, v58
	v_subrev_u32_e32 v58, 28, v60
	v_lshlrev_b64 v[58:59], v58, v[34:35]
	v_lshrrev_b32_e32 v57, 3, v56
	v_sub_u32_e32 v34, 29, v60
	v_and_b32_e32 v58, 7, v58
	v_cmp_gt_u32_e32 vcc, 8, v56
	v_mov_b32_e32 v56, 24
	v_cndmask_b32_e32 v34, v57, v34, vcc
	v_cndmask_b32_e32 v55, v55, v58, vcc
	v_lshlrev_b32_sdwa v56, v56, v37 dst_sel:DWORD dst_unused:UNUSED_PAD src0_sel:DWORD src1_sel:WORD_1
	v_bfrev_b32_e32 v57, 60
	v_lshlrev_b32_e32 v55, 20, v55
	v_and_b32_e32 v56, 0x80000000, v56
	v_lshl_add_u32 v34, v34, 23, v57
	v_or3_b32 v34, v56, v34, v55
	v_lshrrev_b32_e32 v55, 16, v34
.LBB860_291:
	s_or_b64 exec, exec, s[10:11]
.LBB860_292:
	s_or_b64 exec, exec, s[8:9]
.LBB860_293:
	s_or_b64 exec, exec, s[2:3]
	s_mov_b32 s2, 0xffffff
	v_cmp_lt_u32_e32 vcc, s2, v37
	s_and_saveexec_b64 s[2:3], vcc
	s_cbranch_execz .LBB860_299
; %bb.294:
	v_lshrrev_b32_e32 v34, 24, v37
	s_movk_i32 s8, 0x80
	v_cmp_ne_u32_e32 vcc, s8, v34
	v_mov_b32_e32 v54, 0xffff8000
	s_and_saveexec_b64 s[8:9], vcc
	s_cbranch_execz .LBB860_298
; %bb.295:
	v_bfe_u32 v37, v37, 24, 7
	s_movk_i32 s10, 0x7f
	v_cmp_ne_u32_e32 vcc, s10, v37
	v_mov_b32_e32 v54, 0x7f80
	s_and_saveexec_b64 s[10:11], vcc
	s_cbranch_execz .LBB860_297
; %bb.296:
	v_and_b32_e32 v54, 7, v34
	v_ffbh_u32_e32 v56, v54
	v_min_u32_e32 v59, 32, v56
	v_subrev_u32_e32 v56, 28, v59
	v_lshlrev_b64 v[56:57], v56, v[34:35]
	v_lshrrev_b32_e32 v58, 3, v37
	v_sub_u32_e32 v57, 29, v59
	v_and_b32_e32 v56, 7, v56
	v_cmp_gt_u32_e32 vcc, 8, v37
	v_cndmask_b32_e32 v37, v58, v57, vcc
	v_cndmask_b32_e32 v54, v54, v56, vcc
	v_lshlrev_b32_e32 v34, 24, v34
	v_bfrev_b32_e32 v56, 60
	v_lshlrev_b32_e32 v54, 20, v54
	v_and_b32_e32 v34, 0x80000000, v34
	v_lshl_add_u32 v37, v37, 23, v56
	v_or3_b32 v34, v34, v37, v54
	v_lshrrev_b32_e32 v54, 16, v34
.LBB860_297:
	s_or_b64 exec, exec, s[10:11]
.LBB860_298:
	s_or_b64 exec, exec, s[8:9]
.LBB860_299:
	s_or_b64 exec, exec, s[2:3]
	s_mov_b32 s2, 0x5040100
	v_perm_b32 v51, v51, v52, s2
	v_perm_b32 v50, v35, v50, s2
	;; [unrolled: 1-line block ×4, first 2 shown]
	v_mfma_f32_16x16x16bf16_1k v[56:59], v[50:51], v[18:19], v[42:45]
	s_nop 6
	v_mov_b32_e32 v43, 0
	s_waitcnt vmcnt(4)
	v_cmp_ne_u16_sdwa s[8:9], v22, v43 src0_sel:BYTE_0 src1_sel:DWORD
	v_mfma_f32_16x16x16bf16_1k v[34:37], v[34:35], v[20:21], v[56:59]
	v_mov_b32_e32 v44, 0
	s_and_saveexec_b64 s[2:3], s[8:9]
	s_cbranch_execz .LBB860_305
; %bb.300:
	s_movk_i32 s8, 0x80
	v_cmp_ne_u16_sdwa s[10:11], v22, s8 src0_sel:BYTE_0 src1_sel:DWORD
	v_mov_b32_e32 v44, 0xffff8000
	s_and_saveexec_b64 s[8:9], s[10:11]
	s_cbranch_execz .LBB860_304
; %bb.301:
	s_movk_i32 s10, 0x7f
	v_and_b32_e32 v42, 0x7f, v22
	v_cmp_ne_u32_e32 vcc, s10, v42
	v_mov_b32_e32 v44, 0x7f80
	s_and_saveexec_b64 s[10:11], vcc
	s_cbranch_execz .LBB860_303
; %bb.302:
	v_and_b32_e32 v50, 7, v22
	v_ffbh_u32_e32 v44, v50
	v_min_u32_e32 v52, 32, v44
	v_subrev_u32_e32 v44, 28, v52
	v_lshlrev_b64 v[44:45], v44, v[22:23]
	v_lshrrev_b32_e32 v51, 3, v42
	v_sub_u32_e32 v45, 29, v52
	v_and_b32_e32 v44, 7, v44
	v_cmp_gt_u32_e32 vcc, 8, v42
	v_cndmask_b32_e32 v42, v51, v45, vcc
	v_cndmask_b32_e32 v44, v50, v44, vcc
	v_lshlrev_b32_e32 v45, 24, v22
	v_bfrev_b32_e32 v50, 60
	v_lshlrev_b32_e32 v44, 20, v44
	v_and_b32_e32 v45, 0x80000000, v45
	v_lshl_add_u32 v42, v42, 23, v50
	v_or3_b32 v42, v45, v42, v44
	v_lshrrev_b32_e32 v44, 16, v42
.LBB860_303:
	s_or_b64 exec, exec, s[10:11]
.LBB860_304:
	s_or_b64 exec, exec, s[8:9]
.LBB860_305:
	s_or_b64 exec, exec, s[2:3]
	v_lshrrev_b16_e32 v42, 8, v22
	v_cmp_ne_u16_e32 vcc, 0, v42
	s_and_saveexec_b64 s[2:3], vcc
	s_cbranch_execz .LBB860_311
; %bb.306:
	s_movk_i32 s8, 0x80
	v_cmp_ne_u16_e32 vcc, s8, v42
	v_mov_b32_e32 v43, 0xffff8000
	s_and_saveexec_b64 s[8:9], vcc
	s_cbranch_execz .LBB860_310
; %bb.307:
	s_movk_i32 s10, 0x7f
	v_and_b32_e32 v45, 0x7f, v42
	v_cmp_ne_u32_e32 vcc, s10, v45
	v_mov_b32_e32 v43, 0x7f80
	s_and_saveexec_b64 s[10:11], vcc
	s_cbranch_execz .LBB860_309
; %bb.308:
	v_and_b32_e32 v50, 7, v42
	v_ffbh_u32_e32 v43, v50
	v_min_u32_e32 v52, 32, v43
	v_subrev_u32_e32 v43, 28, v52
	v_lshlrev_b64 v[42:43], v43, v[42:43]
	v_lshrrev_b32_e32 v51, 3, v45
	v_sub_u32_e32 v43, 29, v52
	v_and_b32_e32 v42, 7, v42
	v_cmp_gt_u32_e32 vcc, 8, v45
	v_cndmask_b32_e32 v43, v51, v43, vcc
	v_cndmask_b32_e32 v42, v50, v42, vcc
	v_lshlrev_b32_e32 v45, 16, v22
	v_bfrev_b32_e32 v50, 60
	v_lshlrev_b32_e32 v42, 20, v42
	v_and_b32_e32 v45, 0x80000000, v45
	v_lshl_add_u32 v43, v43, 23, v50
	v_or3_b32 v42, v45, v43, v42
	v_lshrrev_b32_e32 v43, 16, v42
.LBB860_309:
	s_or_b64 exec, exec, s[10:11]
.LBB860_310:
	s_or_b64 exec, exec, s[8:9]
.LBB860_311:
	s_or_b64 exec, exec, s[2:3]
	s_movk_i32 s2, 0xff
	v_and_b32_sdwa v51, v22, s2 dst_sel:DWORD dst_unused:UNUSED_PAD src0_sel:WORD_1 src1_sel:DWORD
	v_lshrrev_b32_e32 v42, 16, v22
	v_cmp_ne_u16_e32 vcc, 0, v51
	v_mov_b32_e32 v45, 0
	v_mov_b32_e32 v50, 0
	s_and_saveexec_b64 s[2:3], vcc
	s_cbranch_execz .LBB860_317
; %bb.312:
	s_movk_i32 s8, 0x80
	v_cmp_ne_u16_e32 vcc, s8, v51
	v_mov_b32_e32 v50, 0xffff8000
	s_and_saveexec_b64 s[8:9], vcc
	s_cbranch_execz .LBB860_316
; %bb.313:
	v_bfe_u32 v51, v22, 16, 7
	s_movk_i32 s10, 0x7f
	v_cmp_ne_u32_e32 vcc, s10, v51
	v_mov_b32_e32 v50, 0x7f80
	s_and_saveexec_b64 s[10:11], vcc
	s_cbranch_execz .LBB860_315
; %bb.314:
	v_and_b32_e32 v50, 7, v42
	v_ffbh_u32_e32 v52, v50
	v_min_u32_e32 v55, 32, v52
	v_subrev_u32_e32 v52, 28, v55
	v_lshlrev_b64 v[52:53], v52, v[42:43]
	v_lshrrev_b32_e32 v54, 3, v51
	v_sub_u32_e32 v42, 29, v55
	v_and_b32_e32 v52, 7, v52
	v_cmp_gt_u32_e32 vcc, 8, v51
	v_mov_b32_e32 v51, 24
	v_cndmask_b32_e32 v42, v54, v42, vcc
	v_cndmask_b32_e32 v50, v50, v52, vcc
	v_lshlrev_b32_sdwa v51, v51, v22 dst_sel:DWORD dst_unused:UNUSED_PAD src0_sel:DWORD src1_sel:WORD_1
	v_bfrev_b32_e32 v52, 60
	v_lshlrev_b32_e32 v50, 20, v50
	v_and_b32_e32 v51, 0x80000000, v51
	v_lshl_add_u32 v42, v42, 23, v52
	v_or3_b32 v42, v51, v42, v50
	v_lshrrev_b32_e32 v50, 16, v42
.LBB860_315:
	s_or_b64 exec, exec, s[10:11]
.LBB860_316:
	s_or_b64 exec, exec, s[8:9]
.LBB860_317:
	s_or_b64 exec, exec, s[2:3]
	s_mov_b32 s2, 0xffffff
	v_cmp_lt_u32_e32 vcc, s2, v22
	s_and_saveexec_b64 s[2:3], vcc
	s_cbranch_execz .LBB860_323
; %bb.318:
	v_lshrrev_b32_e32 v42, 24, v22
	s_movk_i32 s8, 0x80
	v_cmp_ne_u32_e32 vcc, s8, v42
	v_mov_b32_e32 v45, 0xffff8000
	s_and_saveexec_b64 s[8:9], vcc
	s_cbranch_execz .LBB860_322
; %bb.319:
	v_bfe_u32 v22, v22, 24, 7
	s_movk_i32 s10, 0x7f
	v_cmp_ne_u32_e32 vcc, s10, v22
	v_mov_b32_e32 v45, 0x7f80
	s_and_saveexec_b64 s[10:11], vcc
	s_cbranch_execz .LBB860_321
; %bb.320:
	v_and_b32_e32 v45, 7, v42
	v_ffbh_u32_e32 v52, v45
	v_min_u32_e32 v54, 32, v52
	v_subrev_u32_e32 v52, 28, v54
	v_lshlrev_b64 v[52:53], v52, v[42:43]
	v_lshrrev_b32_e32 v51, 3, v22
	v_sub_u32_e32 v53, 29, v54
	v_and_b32_e32 v52, 7, v52
	v_cmp_gt_u32_e32 vcc, 8, v22
	v_cndmask_b32_e32 v22, v51, v53, vcc
	v_cndmask_b32_e32 v45, v45, v52, vcc
	v_lshlrev_b32_e32 v42, 24, v42
	v_bfrev_b32_e32 v51, 60
	v_lshlrev_b32_e32 v45, 20, v45
	v_and_b32_e32 v42, 0x80000000, v42
	v_lshl_add_u32 v22, v22, 23, v51
	v_or3_b32 v22, v42, v22, v45
	v_lshrrev_b32_e32 v45, 16, v22
.LBB860_321:
	s_or_b64 exec, exec, s[10:11]
.LBB860_322:
	s_or_b64 exec, exec, s[8:9]
.LBB860_323:
	s_or_b64 exec, exec, s[2:3]
	v_mov_b32_e32 v42, 0
	v_cmp_ne_u16_sdwa s[8:9], v23, v42 src0_sel:BYTE_0 src1_sel:DWORD
	v_mov_b32_e32 v51, 0
	s_and_saveexec_b64 s[2:3], s[8:9]
	s_cbranch_execz .LBB860_329
; %bb.324:
	s_movk_i32 s8, 0x80
	v_cmp_ne_u16_sdwa s[10:11], v23, s8 src0_sel:BYTE_0 src1_sel:DWORD
	v_mov_b32_e32 v51, 0xffff8000
	s_and_saveexec_b64 s[8:9], s[10:11]
	s_cbranch_execz .LBB860_328
; %bb.325:
	s_movk_i32 s10, 0x7f
	v_and_b32_e32 v22, 0x7f, v23
	v_cmp_ne_u32_e32 vcc, s10, v22
	v_mov_b32_e32 v51, 0x7f80
	s_and_saveexec_b64 s[10:11], vcc
	s_cbranch_execz .LBB860_327
; %bb.326:
	v_and_b32_e32 v51, 7, v23
	v_ffbh_u32_e32 v53, v51
	v_min_u32_e32 v55, 32, v53
	v_mov_b32_e32 v52, v23
	v_subrev_u32_e32 v53, 28, v55
	v_lshlrev_b64 v[52:53], v53, v[52:53]
	v_lshrrev_b32_e32 v54, 3, v22
	v_sub_u32_e32 v53, 29, v55
	v_and_b32_e32 v52, 7, v52
	v_cmp_gt_u32_e32 vcc, 8, v22
	v_cndmask_b32_e32 v22, v54, v53, vcc
	v_cndmask_b32_e32 v51, v51, v52, vcc
	v_lshlrev_b32_e32 v52, 24, v23
	v_bfrev_b32_e32 v53, 60
	v_lshlrev_b32_e32 v51, 20, v51
	v_and_b32_e32 v52, 0x80000000, v52
	v_lshl_add_u32 v22, v22, 23, v53
	v_or3_b32 v22, v52, v22, v51
	v_lshrrev_b32_e32 v51, 16, v22
.LBB860_327:
	s_or_b64 exec, exec, s[10:11]
.LBB860_328:
	s_or_b64 exec, exec, s[8:9]
.LBB860_329:
	s_or_b64 exec, exec, s[2:3]
	v_lshrrev_b16_e32 v22, 8, v23
	v_cmp_ne_u16_e32 vcc, 0, v22
	s_and_saveexec_b64 s[2:3], vcc
	s_cbranch_execz .LBB860_335
; %bb.330:
	s_movk_i32 s8, 0x80
	v_cmp_ne_u16_e32 vcc, s8, v22
	v_mov_b32_e32 v42, 0xffff8000
	s_and_saveexec_b64 s[8:9], vcc
	s_cbranch_execz .LBB860_334
; %bb.331:
	s_movk_i32 s10, 0x7f
	v_and_b32_e32 v52, 0x7f, v22
	v_cmp_ne_u32_e32 vcc, s10, v52
	v_mov_b32_e32 v42, 0x7f80
	s_and_saveexec_b64 s[10:11], vcc
	s_cbranch_execz .LBB860_333
; %bb.332:
	v_and_b32_e32 v42, 7, v22
	v_ffbh_u32_e32 v54, v42
	v_min_u32_e32 v56, 32, v54
	v_subrev_u32_e32 v54, 28, v56
	v_lshlrev_b64 v[54:55], v54, v[22:23]
	v_lshrrev_b32_e32 v53, 3, v52
	v_sub_u32_e32 v22, 29, v56
	v_and_b32_e32 v54, 7, v54
	v_cmp_gt_u32_e32 vcc, 8, v52
	v_cndmask_b32_e32 v22, v53, v22, vcc
	v_cndmask_b32_e32 v42, v42, v54, vcc
	v_lshlrev_b32_e32 v52, 16, v23
	v_bfrev_b32_e32 v53, 60
	v_lshlrev_b32_e32 v42, 20, v42
	v_and_b32_e32 v52, 0x80000000, v52
	v_lshl_add_u32 v22, v22, 23, v53
	v_or3_b32 v22, v52, v22, v42
	v_lshrrev_b32_e32 v42, 16, v22
.LBB860_333:
	s_or_b64 exec, exec, s[10:11]
.LBB860_334:
	s_or_b64 exec, exec, s[8:9]
.LBB860_335:
	s_or_b64 exec, exec, s[2:3]
	s_movk_i32 s2, 0xff
	v_and_b32_sdwa v54, v23, s2 dst_sel:DWORD dst_unused:UNUSED_PAD src0_sel:WORD_1 src1_sel:DWORD
	v_lshrrev_b32_e32 v22, 16, v23
	v_cmp_ne_u16_e32 vcc, 0, v54
	v_mov_b32_e32 v52, 0
	v_mov_b32_e32 v53, 0
	s_and_saveexec_b64 s[2:3], vcc
	s_cbranch_execz .LBB860_341
; %bb.336:
	s_movk_i32 s8, 0x80
	v_cmp_ne_u16_e32 vcc, s8, v54
	v_mov_b32_e32 v53, 0xffff8000
	s_and_saveexec_b64 s[8:9], vcc
	s_cbranch_execz .LBB860_340
; %bb.337:
	v_bfe_u32 v54, v23, 16, 7
	s_movk_i32 s10, 0x7f
	v_cmp_ne_u32_e32 vcc, s10, v54
	v_mov_b32_e32 v53, 0x7f80
	s_and_saveexec_b64 s[10:11], vcc
	s_cbranch_execz .LBB860_339
; %bb.338:
	v_and_b32_e32 v53, 7, v22
	v_ffbh_u32_e32 v56, v53
	v_min_u32_e32 v58, 32, v56
	v_subrev_u32_e32 v56, 28, v58
	v_lshlrev_b64 v[56:57], v56, v[22:23]
	v_lshrrev_b32_e32 v55, 3, v54
	v_sub_u32_e32 v22, 29, v58
	v_and_b32_e32 v56, 7, v56
	v_cmp_gt_u32_e32 vcc, 8, v54
	v_mov_b32_e32 v54, 24
	v_cndmask_b32_e32 v22, v55, v22, vcc
	v_cndmask_b32_e32 v53, v53, v56, vcc
	v_lshlrev_b32_sdwa v54, v54, v23 dst_sel:DWORD dst_unused:UNUSED_PAD src0_sel:DWORD src1_sel:WORD_1
	v_bfrev_b32_e32 v55, 60
	v_lshlrev_b32_e32 v53, 20, v53
	v_and_b32_e32 v54, 0x80000000, v54
	v_lshl_add_u32 v22, v22, 23, v55
	v_or3_b32 v22, v54, v22, v53
	v_lshrrev_b32_e32 v53, 16, v22
.LBB860_339:
	s_or_b64 exec, exec, s[10:11]
.LBB860_340:
	s_or_b64 exec, exec, s[8:9]
.LBB860_341:
	s_or_b64 exec, exec, s[2:3]
	s_mov_b32 s2, 0xffffff
	v_cmp_lt_u32_e32 vcc, s2, v23
	s_and_saveexec_b64 s[2:3], vcc
	s_cbranch_execz .LBB860_347
; %bb.342:
	v_lshrrev_b32_e32 v22, 24, v23
	s_movk_i32 s8, 0x80
	v_cmp_ne_u32_e32 vcc, s8, v22
	v_mov_b32_e32 v52, 0xffff8000
	s_and_saveexec_b64 s[8:9], vcc
	s_cbranch_execz .LBB860_346
; %bb.343:
	v_bfe_u32 v23, v23, 24, 7
	s_movk_i32 s10, 0x7f
	v_cmp_ne_u32_e32 vcc, s10, v23
	v_mov_b32_e32 v52, 0x7f80
	s_and_saveexec_b64 s[10:11], vcc
	s_cbranch_execz .LBB860_345
; %bb.344:
	v_and_b32_e32 v52, 7, v22
	v_ffbh_u32_e32 v54, v52
	v_min_u32_e32 v57, 32, v54
	v_subrev_u32_e32 v54, 28, v57
	v_lshlrev_b64 v[54:55], v54, v[22:23]
	v_lshrrev_b32_e32 v56, 3, v23
	v_sub_u32_e32 v55, 29, v57
	v_and_b32_e32 v54, 7, v54
	v_cmp_gt_u32_e32 vcc, 8, v23
	v_cndmask_b32_e32 v23, v56, v55, vcc
	v_cndmask_b32_e32 v52, v52, v54, vcc
	v_lshlrev_b32_e32 v22, 24, v22
	v_bfrev_b32_e32 v54, 60
	v_lshlrev_b32_e32 v52, 20, v52
	v_and_b32_e32 v22, 0x80000000, v22
	v_lshl_add_u32 v23, v23, 23, v54
	v_or3_b32 v22, v22, v23, v52
	v_lshrrev_b32_e32 v52, 16, v22
.LBB860_345:
	s_or_b64 exec, exec, s[10:11]
.LBB860_346:
	s_or_b64 exec, exec, s[8:9]
.LBB860_347:
	s_or_b64 exec, exec, s[2:3]
	s_mov_b32 s2, 0x5040100
	v_perm_b32 v23, v45, v50, s2
	v_perm_b32 v22, v43, v44, s2
	s_nop 1
	v_mfma_f32_16x16x16bf16_1k v[54:57], v[22:23], v[26:27], 0
	v_perm_b32 v27, v52, v53, s2
	v_perm_b32 v26, v42, v51, s2
	v_mov_b32_e32 v23, 0
	v_cmp_ne_u16_sdwa s[8:9], v24, v23 src0_sel:BYTE_0 src1_sel:DWORD
	v_mov_b32_e32 v42, 0
	v_mfma_f32_16x16x16bf16_1k v[26:29], v[26:27], v[28:29], v[54:57]
	s_and_saveexec_b64 s[2:3], s[8:9]
	s_cbranch_execz .LBB860_353
; %bb.348:
	s_movk_i32 s8, 0x80
	v_cmp_ne_u16_sdwa s[10:11], v24, s8 src0_sel:BYTE_0 src1_sel:DWORD
	v_mov_b32_e32 v42, 0xffff8000
	s_and_saveexec_b64 s[8:9], s[10:11]
	s_cbranch_execz .LBB860_352
; %bb.349:
	s_movk_i32 s10, 0x7f
	v_and_b32_e32 v22, 0x7f, v24
	v_cmp_ne_u32_e32 vcc, s10, v22
	v_mov_b32_e32 v42, 0x7f80
	s_and_saveexec_b64 s[10:11], vcc
	s_cbranch_execz .LBB860_351
; %bb.350:
	v_and_b32_e32 v44, 7, v24
	v_ffbh_u32_e32 v42, v44
	v_min_u32_e32 v50, 32, v42
	v_subrev_u32_e32 v42, 28, v50
	v_lshlrev_b64 v[42:43], v42, v[24:25]
	v_lshrrev_b32_e32 v45, 3, v22
	v_sub_u32_e32 v43, 29, v50
	v_and_b32_e32 v42, 7, v42
	v_cmp_gt_u32_e32 vcc, 8, v22
	v_cndmask_b32_e32 v22, v45, v43, vcc
	v_cndmask_b32_e32 v42, v44, v42, vcc
	v_lshlrev_b32_e32 v43, 24, v24
	v_bfrev_b32_e32 v44, 60
	v_lshlrev_b32_e32 v42, 20, v42
	v_and_b32_e32 v43, 0x80000000, v43
	v_lshl_add_u32 v22, v22, 23, v44
	v_or3_b32 v22, v43, v22, v42
	v_lshrrev_b32_e32 v42, 16, v22
.LBB860_351:
	s_or_b64 exec, exec, s[10:11]
.LBB860_352:
	s_or_b64 exec, exec, s[8:9]
.LBB860_353:
	s_or_b64 exec, exec, s[2:3]
	v_lshrrev_b16_e32 v22, 8, v24
	v_cmp_ne_u16_e32 vcc, 0, v22
	s_and_saveexec_b64 s[2:3], vcc
	s_cbranch_execz .LBB860_359
; %bb.354:
	s_movk_i32 s8, 0x80
	v_cmp_ne_u16_e32 vcc, s8, v22
	v_mov_b32_e32 v23, 0xffff8000
	s_and_saveexec_b64 s[8:9], vcc
	s_cbranch_execz .LBB860_358
; %bb.355:
	s_movk_i32 s10, 0x7f
	v_and_b32_e32 v43, 0x7f, v22
	v_cmp_ne_u32_e32 vcc, s10, v43
	v_mov_b32_e32 v23, 0x7f80
	s_and_saveexec_b64 s[10:11], vcc
	s_cbranch_execz .LBB860_357
; %bb.356:
	v_and_b32_e32 v44, 7, v22
	v_ffbh_u32_e32 v23, v44
	v_min_u32_e32 v50, 32, v23
	v_subrev_u32_e32 v23, 28, v50
	v_lshlrev_b64 v[22:23], v23, v[22:23]
	v_lshrrev_b32_e32 v45, 3, v43
	v_sub_u32_e32 v23, 29, v50
	v_and_b32_e32 v22, 7, v22
	v_cmp_gt_u32_e32 vcc, 8, v43
	v_cndmask_b32_e32 v23, v45, v23, vcc
	v_cndmask_b32_e32 v22, v44, v22, vcc
	v_lshlrev_b32_e32 v43, 16, v24
	v_bfrev_b32_e32 v44, 60
	v_lshlrev_b32_e32 v22, 20, v22
	v_and_b32_e32 v43, 0x80000000, v43
	v_lshl_add_u32 v23, v23, 23, v44
	v_or3_b32 v22, v43, v23, v22
	v_lshrrev_b32_e32 v23, 16, v22
.LBB860_357:
	s_or_b64 exec, exec, s[10:11]
.LBB860_358:
	s_or_b64 exec, exec, s[8:9]
.LBB860_359:
	s_or_b64 exec, exec, s[2:3]
	s_movk_i32 s2, 0xff
	v_and_b32_sdwa v45, v24, s2 dst_sel:DWORD dst_unused:UNUSED_PAD src0_sel:WORD_1 src1_sel:DWORD
	v_lshrrev_b32_e32 v22, 16, v24
	v_cmp_ne_u16_e32 vcc, 0, v45
	v_mov_b32_e32 v43, 0
	v_mov_b32_e32 v44, 0
	s_and_saveexec_b64 s[2:3], vcc
	s_cbranch_execz .LBB860_365
; %bb.360:
	s_movk_i32 s8, 0x80
	v_cmp_ne_u16_e32 vcc, s8, v45
	v_mov_b32_e32 v44, 0xffff8000
	s_and_saveexec_b64 s[8:9], vcc
	s_cbranch_execz .LBB860_364
; %bb.361:
	v_bfe_u32 v45, v24, 16, 7
	s_movk_i32 s10, 0x7f
	v_cmp_ne_u32_e32 vcc, s10, v45
	v_mov_b32_e32 v44, 0x7f80
	s_and_saveexec_b64 s[10:11], vcc
	s_cbranch_execz .LBB860_363
; %bb.362:
	v_and_b32_e32 v44, 7, v22
	v_ffbh_u32_e32 v50, v44
	v_min_u32_e32 v53, 32, v50
	v_subrev_u32_e32 v50, 28, v53
	v_lshlrev_b64 v[50:51], v50, v[22:23]
	v_lshrrev_b32_e32 v52, 3, v45
	v_sub_u32_e32 v22, 29, v53
	v_and_b32_e32 v50, 7, v50
	v_cmp_gt_u32_e32 vcc, 8, v45
	v_mov_b32_e32 v45, 24
	v_cndmask_b32_e32 v22, v52, v22, vcc
	v_cndmask_b32_e32 v44, v44, v50, vcc
	v_lshlrev_b32_sdwa v45, v45, v24 dst_sel:DWORD dst_unused:UNUSED_PAD src0_sel:DWORD src1_sel:WORD_1
	v_bfrev_b32_e32 v50, 60
	v_lshlrev_b32_e32 v44, 20, v44
	v_and_b32_e32 v45, 0x80000000, v45
	v_lshl_add_u32 v22, v22, 23, v50
	v_or3_b32 v22, v45, v22, v44
	v_lshrrev_b32_e32 v44, 16, v22
.LBB860_363:
	s_or_b64 exec, exec, s[10:11]
.LBB860_364:
	s_or_b64 exec, exec, s[8:9]
.LBB860_365:
	s_or_b64 exec, exec, s[2:3]
	s_mov_b32 s2, 0xffffff
	v_cmp_lt_u32_e32 vcc, s2, v24
	s_and_saveexec_b64 s[2:3], vcc
	s_cbranch_execz .LBB860_371
; %bb.366:
	v_lshrrev_b32_e32 v22, 24, v24
	s_movk_i32 s8, 0x80
	v_cmp_ne_u32_e32 vcc, s8, v22
	v_mov_b32_e32 v43, 0xffff8000
	s_and_saveexec_b64 s[8:9], vcc
	s_cbranch_execz .LBB860_370
; %bb.367:
	v_bfe_u32 v24, v24, 24, 7
	s_movk_i32 s10, 0x7f
	v_cmp_ne_u32_e32 vcc, s10, v24
	v_mov_b32_e32 v43, 0x7f80
	s_and_saveexec_b64 s[10:11], vcc
	s_cbranch_execz .LBB860_369
; %bb.368:
	v_and_b32_e32 v43, 7, v22
	v_ffbh_u32_e32 v50, v43
	v_min_u32_e32 v52, 32, v50
	v_subrev_u32_e32 v50, 28, v52
	v_lshlrev_b64 v[50:51], v50, v[22:23]
	v_lshrrev_b32_e32 v45, 3, v24
	v_sub_u32_e32 v51, 29, v52
	v_and_b32_e32 v50, 7, v50
	v_cmp_gt_u32_e32 vcc, 8, v24
	v_cndmask_b32_e32 v24, v45, v51, vcc
	v_cndmask_b32_e32 v43, v43, v50, vcc
	v_lshlrev_b32_e32 v22, 24, v22
	v_bfrev_b32_e32 v45, 60
	v_lshlrev_b32_e32 v43, 20, v43
	v_and_b32_e32 v22, 0x80000000, v22
	v_lshl_add_u32 v24, v24, 23, v45
	v_or3_b32 v22, v22, v24, v43
	v_lshrrev_b32_e32 v43, 16, v22
.LBB860_369:
	s_or_b64 exec, exec, s[10:11]
.LBB860_370:
	s_or_b64 exec, exec, s[8:9]
.LBB860_371:
	s_or_b64 exec, exec, s[2:3]
	v_mov_b32_e32 v24, 0
	v_cmp_ne_u16_sdwa s[8:9], v25, v24 src0_sel:BYTE_0 src1_sel:DWORD
	v_mov_b32_e32 v50, 0
	s_and_saveexec_b64 s[2:3], s[8:9]
	s_cbranch_execz .LBB860_377
; %bb.372:
	s_movk_i32 s8, 0x80
	v_cmp_ne_u16_sdwa s[10:11], v25, s8 src0_sel:BYTE_0 src1_sel:DWORD
	v_mov_b32_e32 v50, 0xffff8000
	s_and_saveexec_b64 s[8:9], s[10:11]
	s_cbranch_execz .LBB860_376
; %bb.373:
	s_movk_i32 s10, 0x7f
	v_and_b32_e32 v22, 0x7f, v25
	v_cmp_ne_u32_e32 vcc, s10, v22
	v_mov_b32_e32 v50, 0x7f80
	s_and_saveexec_b64 s[10:11], vcc
	s_cbranch_execz .LBB860_375
; %bb.374:
	v_and_b32_e32 v45, 7, v25
	v_ffbh_u32_e32 v51, v45
	v_min_u32_e32 v53, 32, v51
	v_mov_b32_e32 v50, v25
	v_subrev_u32_e32 v51, 28, v53
	v_lshlrev_b64 v[50:51], v51, v[50:51]
	v_lshrrev_b32_e32 v52, 3, v22
	v_sub_u32_e32 v51, 29, v53
	v_and_b32_e32 v50, 7, v50
	v_cmp_gt_u32_e32 vcc, 8, v22
	v_cndmask_b32_e32 v22, v52, v51, vcc
	v_cndmask_b32_e32 v45, v45, v50, vcc
	v_lshlrev_b32_e32 v50, 24, v25
	v_bfrev_b32_e32 v51, 60
	v_lshlrev_b32_e32 v45, 20, v45
	v_and_b32_e32 v50, 0x80000000, v50
	v_lshl_add_u32 v22, v22, 23, v51
	v_or3_b32 v22, v50, v22, v45
	v_lshrrev_b32_e32 v50, 16, v22
.LBB860_375:
	s_or_b64 exec, exec, s[10:11]
.LBB860_376:
	s_or_b64 exec, exec, s[8:9]
.LBB860_377:
	s_or_b64 exec, exec, s[2:3]
	v_lshrrev_b16_e32 v22, 8, v25
	v_cmp_ne_u16_e32 vcc, 0, v22
	s_and_saveexec_b64 s[2:3], vcc
	s_cbranch_execz .LBB860_383
; %bb.378:
	s_movk_i32 s8, 0x80
	v_cmp_ne_u16_e32 vcc, s8, v22
	v_mov_b32_e32 v24, 0xffff8000
	s_and_saveexec_b64 s[8:9], vcc
	s_cbranch_execz .LBB860_382
; %bb.379:
	s_movk_i32 s10, 0x7f
	v_and_b32_e32 v45, 0x7f, v22
	v_cmp_ne_u32_e32 vcc, s10, v45
	v_mov_b32_e32 v24, 0x7f80
	s_and_saveexec_b64 s[10:11], vcc
	s_cbranch_execz .LBB860_381
; %bb.380:
	v_and_b32_e32 v24, 7, v22
	v_ffbh_u32_e32 v52, v24
	v_min_u32_e32 v54, 32, v52
	v_subrev_u32_e32 v52, 28, v54
	v_lshlrev_b64 v[52:53], v52, v[22:23]
	v_lshrrev_b32_e32 v51, 3, v45
	v_sub_u32_e32 v22, 29, v54
	v_and_b32_e32 v52, 7, v52
	v_cmp_gt_u32_e32 vcc, 8, v45
	v_cndmask_b32_e32 v22, v51, v22, vcc
	v_cndmask_b32_e32 v24, v24, v52, vcc
	v_lshlrev_b32_e32 v45, 16, v25
	v_bfrev_b32_e32 v51, 60
	v_lshlrev_b32_e32 v24, 20, v24
	v_and_b32_e32 v45, 0x80000000, v45
	v_lshl_add_u32 v22, v22, 23, v51
	v_or3_b32 v22, v45, v22, v24
	v_lshrrev_b32_e32 v24, 16, v22
.LBB860_381:
	s_or_b64 exec, exec, s[10:11]
.LBB860_382:
	s_or_b64 exec, exec, s[8:9]
.LBB860_383:
	s_or_b64 exec, exec, s[2:3]
	s_movk_i32 s2, 0xff
	v_and_b32_sdwa v45, v25, s2 dst_sel:DWORD dst_unused:UNUSED_PAD src0_sel:WORD_1 src1_sel:DWORD
	v_lshrrev_b32_e32 v22, 16, v25
	v_cmp_ne_u16_e32 vcc, 0, v45
	v_mov_b32_e32 v51, 0
	v_mov_b32_e32 v52, 0
	s_and_saveexec_b64 s[2:3], vcc
	s_cbranch_execz .LBB860_389
; %bb.384:
	s_movk_i32 s8, 0x80
	v_cmp_ne_u16_e32 vcc, s8, v45
	v_mov_b32_e32 v52, 0xffff8000
	s_and_saveexec_b64 s[8:9], vcc
	s_cbranch_execz .LBB860_388
; %bb.385:
	v_bfe_u32 v45, v25, 16, 7
	s_movk_i32 s10, 0x7f
	v_cmp_ne_u32_e32 vcc, s10, v45
	v_mov_b32_e32 v52, 0x7f80
	s_and_saveexec_b64 s[10:11], vcc
	s_cbranch_execz .LBB860_387
; %bb.386:
	v_and_b32_e32 v54, 7, v22
	v_ffbh_u32_e32 v52, v54
	v_min_u32_e32 v56, 32, v52
	v_subrev_u32_e32 v52, 28, v56
	v_lshlrev_b64 v[52:53], v52, v[22:23]
	v_and_b32_e32 v52, 7, v52
	v_cmp_gt_u32_e32 vcc, 8, v45
	v_lshrrev_b32_e32 v55, 3, v45
	v_sub_u32_e32 v22, 29, v56
	v_cndmask_b32_e32 v45, v54, v52, vcc
	v_mov_b32_e32 v52, 24
	v_cndmask_b32_e32 v22, v55, v22, vcc
	v_lshlrev_b32_sdwa v52, v52, v25 dst_sel:DWORD dst_unused:UNUSED_PAD src0_sel:DWORD src1_sel:WORD_1
	v_bfrev_b32_e32 v53, 60
	v_lshlrev_b32_e32 v45, 20, v45
	v_and_b32_e32 v52, 0x80000000, v52
	v_lshl_add_u32 v22, v22, 23, v53
	v_or3_b32 v22, v52, v22, v45
	v_lshrrev_b32_e32 v52, 16, v22
.LBB860_387:
	s_or_b64 exec, exec, s[10:11]
.LBB860_388:
	s_or_b64 exec, exec, s[8:9]
.LBB860_389:
	s_or_b64 exec, exec, s[2:3]
	s_mov_b32 s2, 0xffffff
	v_and_b32_e32 v45, 63, v0
	v_cmp_lt_u32_e32 vcc, s2, v25
	s_and_saveexec_b64 s[2:3], vcc
	s_cbranch_execz .LBB860_395
; %bb.390:
	v_lshrrev_b32_e32 v22, 24, v25
	s_movk_i32 s8, 0x80
	v_cmp_ne_u32_e32 vcc, s8, v22
	v_mov_b32_e32 v51, 0xffff8000
	s_and_saveexec_b64 s[8:9], vcc
	s_cbranch_execz .LBB860_394
; %bb.391:
	v_bfe_u32 v25, v25, 24, 7
	s_movk_i32 s10, 0x7f
	v_cmp_ne_u32_e32 vcc, s10, v25
	v_mov_b32_e32 v51, 0x7f80
	s_and_saveexec_b64 s[10:11], vcc
	s_cbranch_execz .LBB860_393
; %bb.392:
	v_and_b32_e32 v51, 7, v22
	v_ffbh_u32_e32 v54, v51
	v_min_u32_e32 v56, 32, v54
	v_subrev_u32_e32 v54, 28, v56
	v_lshlrev_b64 v[54:55], v54, v[22:23]
	v_lshrrev_b32_e32 v53, 3, v25
	v_sub_u32_e32 v55, 29, v56
	v_and_b32_e32 v54, 7, v54
	v_cmp_gt_u32_e32 vcc, 8, v25
	v_cndmask_b32_e32 v25, v53, v55, vcc
	v_cndmask_b32_e32 v51, v51, v54, vcc
	v_lshlrev_b32_e32 v22, 24, v22
	v_bfrev_b32_e32 v53, 60
	v_lshlrev_b32_e32 v51, 20, v51
	v_and_b32_e32 v22, 0x80000000, v22
	v_lshl_add_u32 v25, v25, 23, v53
	v_or3_b32 v22, v22, v25, v51
	v_lshrrev_b32_e32 v51, 16, v22
.LBB860_393:
	s_or_b64 exec, exec, s[10:11]
.LBB860_394:
	s_or_b64 exec, exec, s[8:9]
.LBB860_395:
	s_or_b64 exec, exec, s[2:3]
	s_mov_b32 s3, 0x5040100
	v_perm_b32 v43, v43, v44, s3
	v_perm_b32 v42, v23, v42, s3
	s_load_dword s2, s[4:5], 0x1c
	s_mov_b32 s46, 0xff7fffff
	s_waitcnt lgkmcnt(0)
	v_mfma_f32_16x16x16bf16_1k v[26:29], v[42:43], v[18:19], v[26:29]
	v_perm_b32 v19, v51, v52, s3
	v_perm_b32 v18, v24, v50, s3
	v_and_b32_e32 v24, 0xc0, v0
	v_mov_b32_e32 v22, s2
	v_add_u32_e32 v24, s20, v24
	v_mul_f32_e32 v44, s12, v22
	v_lshl_or_b32 v42, v1, 2, v24
	v_mfma_f32_16x16x16bf16_1k v[18:21], v[18:19], v[20:21], v[26:29]
	v_pk_mul_f32 v[22:23], v[44:45], v[36:37] op_sel_hi:[0,1]
	v_pk_mul_f32 v[36:37], v[44:45], v[40:41] op_sel_hi:[0,1]
	;; [unrolled: 1-line block ×4, first 2 shown]
	v_mov_b32_e32 v43, 0xff7fffff
	v_cmp_gt_i32_e64 s[26:27], s33, v42
	v_pk_mul_f32 v[38:39], v[44:45], v[38:39] op_sel_hi:[0,1]
	s_nop 3
	v_pk_mul_f32 v[32:33], v[44:45], v[18:19] op_sel_hi:[0,1]
	v_or_b32_e32 v19, 1, v42
	v_cmp_gt_i32_e64 s[28:29], s33, v19
	v_cndmask_b32_e64 v18, v43, v30, s[26:27]
	v_cndmask_b32_e64 v19, v43, v31, s[28:29]
	v_pk_mul_f32 v[24:25], v[44:45], v[20:21] op_sel_hi:[0,1]
	v_max3_f32 v18, v18, s46, v19
	v_or_b32_e32 v19, 2, v42
	v_or_b32_e32 v20, 3, v42
	v_cmp_gt_i32_e64 s[30:31], s33, v19
	v_cmp_gt_i32_e64 s[34:35], s33, v20
	v_cndmask_b32_e64 v19, v43, v40, s[30:31]
	v_cndmask_b32_e64 v20, v43, v41, s[34:35]
	v_max3_f32 v18, v18, v19, v20
	v_or_b32_e32 v19, 16, v42
	v_or_b32_e32 v20, 17, v42
	v_cmp_gt_i32_e64 s[36:37], s33, v19
	v_cmp_gt_i32_e64 s[38:39], s33, v20
	v_cndmask_b32_e64 v19, v43, v38, s[36:37]
	v_cndmask_b32_e64 v20, v43, v39, s[38:39]
	;; [unrolled: 7-line block ×3, first 2 shown]
	v_max3_f32 v18, v18, v19, v20
	v_or_b32_e32 v19, 32, v42
	v_or_b32_e32 v20, 33, v42
	v_pk_mul_f32 v[34:35], v[44:45], v[34:35] op_sel_hi:[0,1]
	v_cmp_gt_i32_e64 s[16:17], s33, v19
	v_cmp_gt_i32_e64 s[18:19], s33, v20
	v_cndmask_b32_e64 v19, v43, v34, s[16:17]
	v_cndmask_b32_e64 v20, v43, v35, s[18:19]
	v_max3_f32 v18, v18, v19, v20
	v_or_b32_e32 v19, 34, v42
	v_or_b32_e32 v20, 35, v42
	v_cmp_gt_i32_e64 s[12:13], s33, v19
	v_cmp_gt_i32_e64 s[14:15], s33, v20
	v_cndmask_b32_e64 v19, v43, v22, s[12:13]
	v_cndmask_b32_e64 v20, v43, v23, s[14:15]
	v_max3_f32 v18, v18, v19, v20
	v_or_b32_e32 v19, 48, v42
	v_or_b32_e32 v20, 49, v42
	;; [unrolled: 7-line block ×3, first 2 shown]
	v_cmp_gt_i32_e32 vcc, s33, v19
	v_cmp_gt_i32_e64 s[2:3], s33, v20
	v_cndmask_b32_e32 v19, v43, v24, vcc
	v_cndmask_b32_e64 v20, v43, v25, s[2:3]
	v_max3_f32 v18, v18, v19, v20
	v_mbcnt_lo_u32_b32 v19, -1, 0
	v_mbcnt_hi_u32_b32 v19, -1, v19
	v_and_b32_e32 v20, 64, v19
	v_add_u32_e32 v20, 64, v20
	v_xor_b32_e32 v21, 32, v19
	v_cmp_lt_i32_e64 s[40:41], v21, v20
	v_cndmask_b32_e64 v21, v19, v21, s[40:41]
	v_lshlrev_b32_e32 v43, 2, v21
	ds_bpermute_b32 v21, v43, v18
	s_barrier
	s_waitcnt lgkmcnt(0)
	v_max_f32_e32 v21, v21, v21
	v_max_f32_e32 v18, v18, v21
	v_xor_b32_e32 v21, 16, v19
	v_cmp_lt_i32_e64 s[40:41], v21, v20
	v_cndmask_b32_e64 v19, v19, v21, s[40:41]
	v_lshlrev_b32_e32 v44, 2, v19
	ds_bpermute_b32 v19, v44, v18
	s_waitcnt lgkmcnt(0)
	v_max_f32_e32 v19, v19, v19
	v_max_f32_e32 v42, v18, v19
	v_sub_f32_e32 v21, v40, v42
	v_sub_f32_e32 v26, v41, v42
	v_mul_f32_e32 v21, 0x3fb8aa3b, v21
	v_mul_f32_e32 v26, 0x3fb8aa3b, v26
	v_sub_f32_e32 v18, v30, v42
	v_exp_f32_e32 v21, v21
	v_exp_f32_e32 v26, v26
	v_mul_f32_e32 v18, 0x3fb8aa3b, v18
	v_sub_f32_e32 v19, v31, v42
	v_exp_f32_e32 v18, v18
	v_mul_f32_e32 v19, 0x3fb8aa3b, v19
	v_exp_f32_e32 v19, v19
	v_cndmask_b32_e64 v28, 0, v21, s[30:31]
	v_cndmask_b32_e64 v29, 0, v26, s[34:35]
	v_sub_f32_e32 v21, v38, v42
	v_sub_f32_e32 v26, v39, v42
	v_mul_f32_e32 v21, 0x3fb8aa3b, v21
	v_mul_f32_e32 v26, 0x3fb8aa3b, v26
	v_cndmask_b32_e64 v18, 0, v18, s[26:27]
	v_exp_f32_e32 v21, v21
	v_exp_f32_e32 v26, v26
	v_add_f32_e32 v20, 0, v18
	v_cndmask_b32_e64 v19, 0, v19, s[28:29]
	v_add_f32_e32 v20, v20, v19
	v_add_f32_e32 v20, v20, v28
	;; [unrolled: 1-line block ×3, first 2 shown]
	v_cndmask_b32_e64 v20, 0, v21, s[36:37]
	v_cndmask_b32_e64 v21, 0, v26, s[38:39]
	v_sub_f32_e32 v26, v36, v42
	v_mul_f32_e32 v26, 0x3fb8aa3b, v26
	v_exp_f32_e32 v26, v26
	v_sub_f32_e32 v30, v37, v42
	v_add_f32_e32 v27, v27, v20
	v_mul_f32_e32 v30, 0x3fb8aa3b, v30
	v_exp_f32_e32 v31, v30
	v_add_f32_e32 v27, v27, v21
	v_cndmask_b32_e64 v30, 0, v26, s[20:21]
	v_add_f32_e32 v26, v27, v30
	v_sub_f32_e32 v27, v34, v42
	v_mul_f32_e32 v27, 0x3fb8aa3b, v27
	v_sub_f32_e32 v34, v35, v42
	v_exp_f32_e32 v27, v27
	v_mul_f32_e32 v34, 0x3fb8aa3b, v34
	v_sub_f32_e32 v22, v22, v42
	v_exp_f32_e32 v34, v34
	;; [unrolled: 3-line block ×3, first 2 shown]
	v_mul_f32_e32 v23, 0x3fb8aa3b, v23
	v_cndmask_b32_e64 v31, 0, v31, s[22:23]
	v_exp_f32_e32 v23, v23
	v_add_f32_e32 v35, v26, v31
	v_cndmask_b32_e64 v26, 0, v27, s[16:17]
	v_add_f32_e32 v35, v35, v26
	v_cndmask_b32_e64 v27, 0, v34, s[18:19]
	;; [unrolled: 2-line block ×4, first 2 shown]
	v_sub_f32_e32 v23, v32, v42
	v_mul_f32_e32 v23, 0x3fb8aa3b, v23
	v_sub_f32_e32 v32, v33, v42
	v_exp_f32_e32 v23, v23
	v_mul_f32_e32 v32, 0x3fb8aa3b, v32
	v_sub_f32_e32 v24, v24, v42
	v_exp_f32_e32 v32, v32
	;; [unrolled: 3-line block ×3, first 2 shown]
	v_mul_f32_e32 v25, 0x3fb8aa3b, v25
	v_exp_f32_e32 v25, v25
	v_add_f32_e32 v33, v22, v35
	v_cndmask_b32_e64 v22, 0, v23, s[8:9]
	v_add_f32_e32 v33, v33, v22
	v_cndmask_b32_e64 v23, 0, v32, s[10:11]
	v_add_f32_e32 v32, v33, v23
	v_cndmask_b32_e32 v24, 0, v24, vcc
	v_add_f32_e32 v32, v32, v24
	v_cndmask_b32_e64 v25, 0, v25, s[2:3]
	v_add_f32_e32 v32, v32, v25
	ds_bpermute_b32 v33, v43, v32
	v_cmp_gt_u32_e32 vcc, 16, v45
	s_waitcnt lgkmcnt(0)
	v_add_f32_e32 v32, v32, v33
	ds_bpermute_b32 v36, v44, v32
	v_lshlrev_b32_e32 v33, 2, v48
	s_and_saveexec_b64 s[2:3], vcc
	s_cbranch_execz .LBB860_397
; %bb.396:
	s_waitcnt lgkmcnt(0)
	v_add_f32_e32 v32, v32, v36
	v_lshl_or_b32 v36, v49, 6, v33
	ds_write2st64_b32 v36, v42, v32 offset1:1
.LBB860_397:
	s_or_b64 exec, exec, s[2:3]
	s_waitcnt lgkmcnt(0)
	s_barrier
	ds_read2_b32 v[36:37], v33 offset1:16
	ds_read2_b32 v[38:39], v33 offset0:32 offset1:48
	ds_read2_b32 v[40:41], v33 offset0:64 offset1:80
	s_mul_i32 s12, s45, 15
	s_waitcnt lgkmcnt(2)
	v_max3_f32 v32, v36, s46, v37
	s_waitcnt lgkmcnt(1)
	v_max3_f32 v32, v32, v38, v39
	v_sub_f32_e32 v36, v36, v32
	v_mul_f32_e32 v36, 0x3fb8aa3b, v36
	v_exp_f32_e32 v42, v36
	v_sub_f32_e32 v36, v37, v32
	v_mul_f32_e32 v36, 0x3fb8aa3b, v36
	v_exp_f32_e32 v43, v36
	;; [unrolled: 3-line block ×3, first 2 shown]
	ds_read2_b32 v[36:37], v33 offset0:96 offset1:112
	v_sub_f32_e32 v33, v39, v32
	v_mul_f32_e32 v33, 0x3fb8aa3b, v33
	v_exp_f32_e32 v39, v33
	s_waitcnt lgkmcnt(1)
	v_fma_f32 v33, v42, v40, 0
	v_fmac_f32_e32 v33, v43, v41
	s_waitcnt lgkmcnt(0)
	v_fmac_f32_e32 v33, v38, v36
	v_fmac_f32_e32 v33, v39, v37
	v_add_f32_e32 v36, 0x358637bd, v33
	v_div_scale_f32 v37, s[2:3], v36, v36, 1.0
	v_rcp_f32_e32 v40, v37
	s_movk_i32 s2, 0x7fff
	s_mov_b32 s3, 0x7060302
	v_fma_f32 v41, -v37, v40, 1.0
	v_fmac_f32_e32 v40, v41, v40
	v_div_scale_f32 v41, vcc, 1.0, v36, 1.0
	v_mul_f32_e32 v44, v41, v40
	v_fma_f32 v45, -v37, v44, v41
	v_fmac_f32_e32 v44, v45, v40
	v_fma_f32 v37, -v37, v44, v41
	v_div_fmas_f32 v37, v37, v40, v44
	v_cmp_eq_u32_e32 vcc, 1, v49
	v_div_fixup_f32 v36, v37, v36, 1.0
	v_cndmask_b32_e32 v37, v42, v43, vcc
	v_cmp_eq_u32_e32 vcc, 2, v49
	v_cndmask_b32_e32 v37, v37, v38, vcc
	v_cmp_eq_u32_e32 vcc, 3, v49
	v_cndmask_b32_e32 v37, v37, v39, vcc
	v_mul_f32_e32 v36, v37, v36
	v_pk_mul_f32 v[18:19], v[36:37], v[18:19] op_sel_hi:[0,1]
	v_pk_mul_f32 v[28:29], v[36:37], v[28:29] op_sel_hi:[0,1]
	v_bfe_u32 v37, v19, 16, 1
	v_bfe_u32 v38, v18, 16, 1
	v_add3_u32 v18, v18, v38, s2
	v_add3_u32 v19, v19, v37, s2
	v_perm_b32 v38, v19, v18, s3
	v_bfe_u32 v18, v29, 16, 1
	v_bfe_u32 v19, v28, 16, 1
	v_add3_u32 v19, v28, v19, s2
	v_add3_u32 v18, v29, v18, s2
	v_perm_b32 v39, v18, v19, s3
	v_lshlrev_b32_e32 v18, 3, v1
	v_lshlrev_b32_e32 v19, 5, v48
	;; [unrolled: 1-line block ×3, first 2 shown]
	v_pk_mul_f32 v[20:21], v[36:37], v[20:21] op_sel_hi:[0,1]
	v_or3_b32 v28, v28, v19, v18
	v_bfe_u32 v18, v21, 16, 1
	v_bfe_u32 v29, v20, 16, 1
	v_pk_mul_f32 v[30:31], v[36:37], v[30:31] op_sel_hi:[0,1]
	v_add3_u32 v20, v20, v29, s2
	v_add3_u32 v18, v21, v18, s2
	v_perm_b32 v20, v18, v20, s3
	v_bfe_u32 v18, v31, 16, 1
	v_bfe_u32 v21, v30, 16, 1
	v_add3_u32 v21, v30, v21, s2
	v_add3_u32 v18, v31, v18, s2
	v_pk_mul_f32 v[26:27], v[36:37], v[26:27] op_sel_hi:[0,1]
	v_perm_b32 v21, v18, v21, s3
	v_bfe_u32 v18, v27, 16, 1
	v_bfe_u32 v29, v26, 16, 1
	s_barrier
	ds_write2st64_b64 v28, v[38:39], v[20:21] offset1:1
	v_pk_mul_f32 v[20:21], v[36:37], v[34:35] op_sel_hi:[0,1]
	v_add3_u32 v26, v26, v29, s2
	v_add3_u32 v18, v27, v18, s2
	v_perm_b32 v26, v18, v26, s3
	v_bfe_u32 v18, v21, 16, 1
	v_bfe_u32 v27, v20, 16, 1
	v_add3_u32 v20, v20, v27, s2
	v_add3_u32 v18, v21, v18, s2
	v_pk_mul_f32 v[22:23], v[36:37], v[22:23] op_sel_hi:[0,1]
	v_perm_b32 v27, v18, v20, s3
	v_pk_mul_f32 v[20:21], v[36:37], v[24:25] op_sel_hi:[0,1]
	v_bfe_u32 v18, v23, 16, 1
	v_bfe_u32 v24, v22, 16, 1
	v_add3_u32 v22, v22, v24, s2
	v_add3_u32 v18, v23, v18, s2
	v_perm_b32 v22, v18, v22, s3
	v_bfe_u32 v18, v21, 16, 1
	v_bfe_u32 v23, v20, 16, 1
	v_add3_u32 v20, v20, v23, s2
	v_add3_u32 v18, v21, v18, s2
	v_perm_b32 v23, v18, v20, s3
	v_cmp_gt_u32_e32 vcc, 15, v0
	ds_write2st64_b64 v28, v[26:27], v[22:23] offset0:2 offset1:3
	s_and_saveexec_b64 s[2:3], vcc
	s_cbranch_execz .LBB860_399
; %bb.398:
	v_add_co_u32_e32 v22, vcc, s25, v48
	v_addc_co_u32_e64 v23, s[14:15], 0, 0, vcc
	v_mov_b32_e32 v18, s12
	v_mov_b32_e32 v21, 0
	v_mad_u64_u32 v[22:23], s[14:15], s6, v18, v[22:23]
	v_mov_b32_e32 v20, s24
	s_load_dwordx4 s[8:11], s[4:5], 0x58
	s_mul_i32 s7, s7, s12
	v_mad_u64_u32 v[20:21], s[14:15], v22, s44, v[20:21]
	v_add_u32_e32 v23, s7, v23
	v_mov_b32_e32 v18, v21
	v_mad_u64_u32 v[22:23], s[14:15], v23, s44, v[18:19]
	v_mov_b32_e32 v21, v22
	v_lshlrev_b64 v[20:21], 2, v[20:21]
	s_waitcnt lgkmcnt(0)
	v_mov_b32_e32 v18, s11
	v_add_co_u32_e32 v22, vcc, s10, v20
	v_addc_co_u32_e32 v23, vcc, v18, v21, vcc
	v_mov_b32_e32 v18, s9
	v_add_co_u32_e32 v20, vcc, s8, v20
	v_addc_co_u32_e32 v21, vcc, v18, v21, vcc
	global_store_dword v[22:23], v32, off
	global_store_dword v[20:21], v33, off
.LBB860_399:
	s_or_b64 exec, exec, s[2:3]
	v_mov_b32_e32 v20, 0
	s_waitcnt vmcnt(3)
	v_cmp_ne_u16_sdwa s[8:9], v14, v20 src0_sel:BYTE_0 src1_sel:DWORD
	v_mov_b32_e32 v21, 0
	s_waitcnt lgkmcnt(0)
	s_barrier
	s_and_saveexec_b64 s[2:3], s[8:9]
	s_cbranch_execz .LBB860_405
; %bb.400:
	s_movk_i32 s7, 0x80
	v_cmp_ne_u16_sdwa s[10:11], v14, s7 src0_sel:BYTE_0 src1_sel:DWORD
	v_mov_b32_e32 v21, 0xffff8000
	s_and_saveexec_b64 s[8:9], s[10:11]
	s_cbranch_execz .LBB860_404
; %bb.401:
	s_movk_i32 s7, 0x7f
	v_and_b32_e32 v18, 0x7f, v14
	v_cmp_ne_u32_e32 vcc, s7, v18
	v_mov_b32_e32 v21, 0x7f80
	s_and_saveexec_b64 s[10:11], vcc
	s_cbranch_execz .LBB860_403
; %bb.402:
	v_and_b32_e32 v21, 7, v14
	v_ffbh_u32_e32 v22, v21
	v_min_u32_e32 v25, 32, v22
	v_subrev_u32_e32 v22, 28, v25
	v_lshlrev_b64 v[22:23], v22, v[14:15]
	v_lshrrev_b32_e32 v24, 3, v18
	v_sub_u32_e32 v23, 29, v25
	v_and_b32_e32 v22, 7, v22
	v_cmp_gt_u32_e32 vcc, 8, v18
	v_cndmask_b32_e32 v18, v24, v23, vcc
	v_cndmask_b32_e32 v21, v21, v22, vcc
	v_lshlrev_b32_e32 v22, 24, v14
	v_bfrev_b32_e32 v23, 60
	v_lshlrev_b32_e32 v21, 20, v21
	v_and_b32_e32 v22, 0x80000000, v22
	v_lshl_add_u32 v18, v18, 23, v23
	v_or3_b32 v18, v22, v18, v21
	v_lshrrev_b32_e32 v21, 16, v18
.LBB860_403:
	s_or_b64 exec, exec, s[10:11]
.LBB860_404:
	s_or_b64 exec, exec, s[8:9]
.LBB860_405:
	s_or_b64 exec, exec, s[2:3]
	v_lshrrev_b16_e32 v18, 8, v14
	v_cmp_ne_u16_e32 vcc, 0, v18
	s_and_saveexec_b64 s[2:3], vcc
	s_cbranch_execz .LBB860_411
; %bb.406:
	s_movk_i32 s7, 0x80
	v_cmp_ne_u16_e32 vcc, s7, v18
	v_mov_b32_e32 v20, 0xffff8000
	s_and_saveexec_b64 s[8:9], vcc
	s_cbranch_execz .LBB860_410
; %bb.407:
	s_movk_i32 s7, 0x7f
	v_and_b32_e32 v22, 0x7f, v18
	v_cmp_ne_u32_e32 vcc, s7, v22
	v_mov_b32_e32 v20, 0x7f80
	s_and_saveexec_b64 s[10:11], vcc
	s_cbranch_execz .LBB860_409
; %bb.408:
	v_and_b32_e32 v20, 7, v18
	v_ffbh_u32_e32 v24, v20
	v_min_u32_e32 v26, 32, v24
	v_subrev_u32_e32 v24, 28, v26
	v_lshlrev_b64 v[24:25], v24, v[18:19]
	v_lshrrev_b32_e32 v23, 3, v22
	v_sub_u32_e32 v18, 29, v26
	v_and_b32_e32 v24, 7, v24
	v_cmp_gt_u32_e32 vcc, 8, v22
	v_cndmask_b32_e32 v18, v23, v18, vcc
	v_cndmask_b32_e32 v20, v20, v24, vcc
	v_lshlrev_b32_e32 v22, 16, v14
	v_bfrev_b32_e32 v23, 60
	v_lshlrev_b32_e32 v20, 20, v20
	v_and_b32_e32 v22, 0x80000000, v22
	v_lshl_add_u32 v18, v18, 23, v23
	v_or3_b32 v18, v22, v18, v20
	v_lshrrev_b32_e32 v20, 16, v18
.LBB860_409:
	s_or_b64 exec, exec, s[10:11]
.LBB860_410:
	s_or_b64 exec, exec, s[8:9]
.LBB860_411:
	s_or_b64 exec, exec, s[2:3]
	s_movk_i32 s2, 0xff
	v_and_b32_sdwa v24, v14, s2 dst_sel:DWORD dst_unused:UNUSED_PAD src0_sel:WORD_1 src1_sel:DWORD
	v_lshrrev_b32_e32 v18, 16, v14
	v_cmp_ne_u16_e32 vcc, 0, v24
	v_mov_b32_e32 v22, 0
	v_mov_b32_e32 v23, 0
	s_and_saveexec_b64 s[2:3], vcc
	s_cbranch_execz .LBB860_417
; %bb.412:
	s_movk_i32 s7, 0x80
	v_cmp_ne_u16_e32 vcc, s7, v24
	v_mov_b32_e32 v23, 0xffff8000
	s_and_saveexec_b64 s[8:9], vcc
	s_cbranch_execz .LBB860_416
; %bb.413:
	v_bfe_u32 v24, v14, 16, 7
	s_movk_i32 s7, 0x7f
	v_cmp_ne_u32_e32 vcc, s7, v24
	v_mov_b32_e32 v23, 0x7f80
	s_and_saveexec_b64 s[10:11], vcc
	s_cbranch_execz .LBB860_415
; %bb.414:
	v_and_b32_e32 v23, 7, v18
	v_ffbh_u32_e32 v26, v23
	v_min_u32_e32 v29, 32, v26
	v_subrev_u32_e32 v26, 28, v29
	v_lshlrev_b64 v[26:27], v26, v[18:19]
	v_lshrrev_b32_e32 v25, 3, v24
	v_sub_u32_e32 v18, 29, v29
	v_and_b32_e32 v26, 7, v26
	v_cmp_gt_u32_e32 vcc, 8, v24
	v_mov_b32_e32 v24, 24
	v_cndmask_b32_e32 v18, v25, v18, vcc
	v_cndmask_b32_e32 v23, v23, v26, vcc
	v_lshlrev_b32_sdwa v24, v24, v14 dst_sel:DWORD dst_unused:UNUSED_PAD src0_sel:DWORD src1_sel:WORD_1
	v_bfrev_b32_e32 v25, 60
	v_lshlrev_b32_e32 v23, 20, v23
	v_and_b32_e32 v24, 0x80000000, v24
	v_lshl_add_u32 v18, v18, 23, v25
	v_or3_b32 v18, v24, v18, v23
	v_lshrrev_b32_e32 v23, 16, v18
.LBB860_415:
	s_or_b64 exec, exec, s[10:11]
.LBB860_416:
	s_or_b64 exec, exec, s[8:9]
.LBB860_417:
	s_or_b64 exec, exec, s[2:3]
	s_mov_b32 s2, 0xffffff
	v_cmp_lt_u32_e32 vcc, s2, v14
	s_and_saveexec_b64 s[2:3], vcc
	s_cbranch_execz .LBB860_423
; %bb.418:
	v_lshrrev_b32_e32 v18, 24, v14
	s_movk_i32 s7, 0x80
	v_cmp_ne_u32_e32 vcc, s7, v18
	v_mov_b32_e32 v22, 0xffff8000
	s_and_saveexec_b64 s[8:9], vcc
	s_cbranch_execz .LBB860_422
; %bb.419:
	v_bfe_u32 v14, v14, 24, 7
	s_movk_i32 s7, 0x7f
	v_cmp_ne_u32_e32 vcc, s7, v14
	v_mov_b32_e32 v22, 0x7f80
	s_and_saveexec_b64 s[10:11], vcc
	s_cbranch_execz .LBB860_421
; %bb.420:
	v_and_b32_e32 v22, 7, v18
	v_ffbh_u32_e32 v24, v22
	v_min_u32_e32 v27, 32, v24
	v_subrev_u32_e32 v24, 28, v27
	v_lshlrev_b64 v[24:25], v24, v[18:19]
	v_lshrrev_b32_e32 v26, 3, v14
	v_sub_u32_e32 v25, 29, v27
	v_and_b32_e32 v24, 7, v24
	v_cmp_gt_u32_e32 vcc, 8, v14
	v_cndmask_b32_e32 v14, v26, v25, vcc
	v_cndmask_b32_e32 v22, v22, v24, vcc
	v_lshlrev_b32_e32 v18, 24, v18
	v_bfrev_b32_e32 v24, 60
	v_lshlrev_b32_e32 v22, 20, v22
	v_and_b32_e32 v18, 0x80000000, v18
	v_lshl_add_u32 v14, v14, 23, v24
	v_or3_b32 v14, v18, v14, v22
	v_lshrrev_b32_e32 v22, 16, v14
.LBB860_421:
	s_or_b64 exec, exec, s[10:11]
.LBB860_422:
	s_or_b64 exec, exec, s[8:9]
.LBB860_423:
	s_or_b64 exec, exec, s[2:3]
	v_mov_b32_e32 v18, 0
	v_cmp_ne_u16_sdwa s[8:9], v15, v18 src0_sel:BYTE_0 src1_sel:DWORD
	v_mov_b32_e32 v24, 0
	s_and_saveexec_b64 s[2:3], s[8:9]
	s_cbranch_execz .LBB860_429
; %bb.424:
	s_movk_i32 s7, 0x80
	v_cmp_ne_u16_sdwa s[10:11], v15, s7 src0_sel:BYTE_0 src1_sel:DWORD
	v_mov_b32_e32 v24, 0xffff8000
	s_and_saveexec_b64 s[8:9], s[10:11]
	s_cbranch_execz .LBB860_428
; %bb.425:
	s_movk_i32 s7, 0x7f
	v_and_b32_e32 v14, 0x7f, v15
	v_cmp_ne_u32_e32 vcc, s7, v14
	v_mov_b32_e32 v24, 0x7f80
	s_and_saveexec_b64 s[10:11], vcc
	s_cbranch_execz .LBB860_427
; %bb.426:
	v_and_b32_e32 v26, 7, v15
	v_ffbh_u32_e32 v25, v26
	v_min_u32_e32 v29, 32, v25
	v_mov_b32_e32 v24, v15
	v_subrev_u32_e32 v25, 28, v29
	v_lshlrev_b64 v[24:25], v25, v[24:25]
	v_lshrrev_b32_e32 v27, 3, v14
	v_sub_u32_e32 v25, 29, v29
	v_and_b32_e32 v24, 7, v24
	v_cmp_gt_u32_e32 vcc, 8, v14
	v_cndmask_b32_e32 v14, v27, v25, vcc
	v_cndmask_b32_e32 v24, v26, v24, vcc
	v_lshlrev_b32_e32 v25, 24, v15
	v_bfrev_b32_e32 v26, 60
	v_lshlrev_b32_e32 v24, 20, v24
	v_and_b32_e32 v25, 0x80000000, v25
	v_lshl_add_u32 v14, v14, 23, v26
	v_or3_b32 v14, v25, v14, v24
	v_lshrrev_b32_e32 v24, 16, v14
.LBB860_427:
	s_or_b64 exec, exec, s[10:11]
.LBB860_428:
	s_or_b64 exec, exec, s[8:9]
.LBB860_429:
	s_or_b64 exec, exec, s[2:3]
	v_lshrrev_b16_e32 v14, 8, v15
	v_cmp_ne_u16_e32 vcc, 0, v14
	s_and_saveexec_b64 s[2:3], vcc
	s_cbranch_execz .LBB860_435
; %bb.430:
	s_movk_i32 s7, 0x80
	v_cmp_ne_u16_e32 vcc, s7, v14
	v_mov_b32_e32 v18, 0xffff8000
	s_and_saveexec_b64 s[8:9], vcc
	s_cbranch_execz .LBB860_434
; %bb.431:
	s_movk_i32 s7, 0x7f
	v_and_b32_e32 v25, 0x7f, v14
	v_cmp_ne_u32_e32 vcc, s7, v25
	v_mov_b32_e32 v18, 0x7f80
	s_and_saveexec_b64 s[10:11], vcc
	s_cbranch_execz .LBB860_433
; %bb.432:
	v_and_b32_e32 v18, 7, v14
	v_ffbh_u32_e32 v26, v18
	v_min_u32_e32 v30, 32, v26
	v_subrev_u32_e32 v26, 28, v30
	v_lshlrev_b64 v[26:27], v26, v[14:15]
	v_lshrrev_b32_e32 v29, 3, v25
	v_sub_u32_e32 v14, 29, v30
	v_and_b32_e32 v26, 7, v26
	v_cmp_gt_u32_e32 vcc, 8, v25
	v_cndmask_b32_e32 v14, v29, v14, vcc
	v_cndmask_b32_e32 v18, v18, v26, vcc
	v_lshlrev_b32_e32 v25, 16, v15
	v_bfrev_b32_e32 v26, 60
	v_lshlrev_b32_e32 v18, 20, v18
	v_and_b32_e32 v25, 0x80000000, v25
	v_lshl_add_u32 v14, v14, 23, v26
	v_or3_b32 v14, v25, v14, v18
	v_lshrrev_b32_e32 v18, 16, v14
.LBB860_433:
	s_or_b64 exec, exec, s[10:11]
.LBB860_434:
	s_or_b64 exec, exec, s[8:9]
.LBB860_435:
	s_or_b64 exec, exec, s[2:3]
	s_movk_i32 s2, 0xff
	v_and_b32_sdwa v27, v15, s2 dst_sel:DWORD dst_unused:UNUSED_PAD src0_sel:WORD_1 src1_sel:DWORD
	v_lshrrev_b32_e32 v14, 16, v15
	v_cmp_ne_u16_e32 vcc, 0, v27
	v_mov_b32_e32 v25, 0
	v_mov_b32_e32 v26, 0
	s_and_saveexec_b64 s[2:3], vcc
	s_cbranch_execz .LBB860_441
; %bb.436:
	s_movk_i32 s7, 0x80
	v_cmp_ne_u16_e32 vcc, s7, v27
	v_mov_b32_e32 v26, 0xffff8000
	s_and_saveexec_b64 s[8:9], vcc
	s_cbranch_execz .LBB860_440
; %bb.437:
	v_bfe_u32 v27, v15, 16, 7
	s_movk_i32 s7, 0x7f
	v_cmp_ne_u32_e32 vcc, s7, v27
	v_mov_b32_e32 v26, 0x7f80
	s_and_saveexec_b64 s[10:11], vcc
	s_cbranch_execz .LBB860_439
; %bb.438:
	v_and_b32_e32 v26, 7, v14
	v_ffbh_u32_e32 v30, v26
	v_min_u32_e32 v32, 32, v30
	v_subrev_u32_e32 v30, 28, v32
	v_lshlrev_b64 v[30:31], v30, v[14:15]
	v_lshrrev_b32_e32 v29, 3, v27
	v_sub_u32_e32 v14, 29, v32
	v_and_b32_e32 v30, 7, v30
	v_cmp_gt_u32_e32 vcc, 8, v27
	v_mov_b32_e32 v27, 24
	v_cndmask_b32_e32 v14, v29, v14, vcc
	v_cndmask_b32_e32 v26, v26, v30, vcc
	v_lshlrev_b32_sdwa v27, v27, v15 dst_sel:DWORD dst_unused:UNUSED_PAD src0_sel:DWORD src1_sel:WORD_1
	v_bfrev_b32_e32 v29, 60
	v_lshlrev_b32_e32 v26, 20, v26
	v_and_b32_e32 v27, 0x80000000, v27
	v_lshl_add_u32 v14, v14, 23, v29
	v_or3_b32 v14, v27, v14, v26
	v_lshrrev_b32_e32 v26, 16, v14
.LBB860_439:
	s_or_b64 exec, exec, s[10:11]
.LBB860_440:
	s_or_b64 exec, exec, s[8:9]
.LBB860_441:
	s_or_b64 exec, exec, s[2:3]
	s_mov_b32 s2, 0xffffff
	v_cmp_lt_u32_e32 vcc, s2, v15
	s_and_saveexec_b64 s[2:3], vcc
	s_cbranch_execz .LBB860_447
; %bb.442:
	v_lshrrev_b32_e32 v14, 24, v15
	s_movk_i32 s7, 0x80
	v_cmp_ne_u32_e32 vcc, s7, v14
	v_mov_b32_e32 v25, 0xffff8000
	s_and_saveexec_b64 s[8:9], vcc
	s_cbranch_execz .LBB860_446
; %bb.443:
	v_bfe_u32 v15, v15, 24, 7
	s_movk_i32 s7, 0x7f
	v_cmp_ne_u32_e32 vcc, s7, v15
	v_mov_b32_e32 v25, 0x7f80
	s_and_saveexec_b64 s[10:11], vcc
	s_cbranch_execz .LBB860_445
; %bb.444:
	v_and_b32_e32 v25, 7, v14
	v_ffbh_u32_e32 v29, v25
	v_min_u32_e32 v29, 32, v29
	v_subrev_u32_e32 v30, 28, v29
	v_lshlrev_b64 v[30:31], v30, v[14:15]
	v_lshrrev_b32_e32 v27, 3, v15
	v_sub_u32_e32 v29, 29, v29
	v_and_b32_e32 v30, 7, v30
	v_cmp_gt_u32_e32 vcc, 8, v15
	v_cndmask_b32_e32 v15, v27, v29, vcc
	v_cndmask_b32_e32 v25, v25, v30, vcc
	v_lshlrev_b32_e32 v14, 24, v14
	v_bfrev_b32_e32 v27, 60
	v_lshlrev_b32_e32 v25, 20, v25
	v_and_b32_e32 v14, 0x80000000, v14
	v_lshl_add_u32 v15, v15, 23, v27
	v_or3_b32 v14, v14, v15, v25
	v_lshrrev_b32_e32 v25, 16, v14
.LBB860_445:
	s_or_b64 exec, exec, s[10:11]
.LBB860_446:
	s_or_b64 exec, exec, s[8:9]
.LBB860_447:
	s_or_b64 exec, exec, s[2:3]
	s_mov_b32 s2, 0x5040100
	v_perm_b32 v15, v22, v23, s2
	v_lshl_or_b32 v22, v1, 9, v19
	v_perm_b32 v14, v20, v21, s2
	ds_read_b128 v[30:33], v22
	v_perm_b32 v19, v25, v26, s2
	v_perm_b32 v18, v18, v24, s2
	s_waitcnt lgkmcnt(0)
	v_mfma_f32_16x16x16bf16_1k v[34:37], v[14:15], v[30:31], 0
	v_mov_b32_e32 v15, 0
	v_cmp_ne_u16_sdwa s[8:9], v16, v15 src0_sel:BYTE_0 src1_sel:DWORD
	v_mov_b32_e32 v23, 0
	v_mfma_f32_16x16x16bf16_1k v[18:21], v[18:19], v[32:33], v[34:37]
	s_and_saveexec_b64 s[2:3], s[8:9]
	s_cbranch_execz .LBB860_453
; %bb.448:
	s_movk_i32 s7, 0x80
	v_cmp_ne_u16_sdwa s[10:11], v16, s7 src0_sel:BYTE_0 src1_sel:DWORD
	v_mov_b32_e32 v23, 0xffff8000
	s_and_saveexec_b64 s[8:9], s[10:11]
	s_cbranch_execz .LBB860_452
; %bb.449:
	s_movk_i32 s7, 0x7f
	v_and_b32_e32 v14, 0x7f, v16
	v_cmp_ne_u32_e32 vcc, s7, v14
	v_mov_b32_e32 v23, 0x7f80
	s_and_saveexec_b64 s[10:11], vcc
	s_cbranch_execz .LBB860_451
; %bb.450:
	v_and_b32_e32 v23, 7, v16
	v_ffbh_u32_e32 v24, v23
	v_min_u32_e32 v27, 32, v24
	v_subrev_u32_e32 v24, 28, v27
	v_lshlrev_b64 v[24:25], v24, v[16:17]
	v_lshrrev_b32_e32 v26, 3, v14
	v_sub_u32_e32 v25, 29, v27
	v_and_b32_e32 v24, 7, v24
	v_cmp_gt_u32_e32 vcc, 8, v14
	v_cndmask_b32_e32 v14, v26, v25, vcc
	v_cndmask_b32_e32 v23, v23, v24, vcc
	v_lshlrev_b32_e32 v24, 24, v16
	v_bfrev_b32_e32 v25, 60
	v_lshlrev_b32_e32 v23, 20, v23
	v_and_b32_e32 v24, 0x80000000, v24
	v_lshl_add_u32 v14, v14, 23, v25
	v_or3_b32 v14, v24, v14, v23
	v_lshrrev_b32_e32 v23, 16, v14
.LBB860_451:
	s_or_b64 exec, exec, s[10:11]
.LBB860_452:
	s_or_b64 exec, exec, s[8:9]
.LBB860_453:
	s_or_b64 exec, exec, s[2:3]
	v_lshrrev_b16_e32 v14, 8, v16
	v_cmp_ne_u16_e32 vcc, 0, v14
	s_and_saveexec_b64 s[2:3], vcc
	s_cbranch_execz .LBB860_459
; %bb.454:
	s_movk_i32 s7, 0x80
	v_cmp_ne_u16_e32 vcc, s7, v14
	v_mov_b32_e32 v15, 0xffff8000
	s_and_saveexec_b64 s[8:9], vcc
	s_cbranch_execz .LBB860_458
; %bb.455:
	s_movk_i32 s7, 0x7f
	v_and_b32_e32 v24, 0x7f, v14
	v_cmp_ne_u32_e32 vcc, s7, v24
	v_mov_b32_e32 v15, 0x7f80
	s_and_saveexec_b64 s[10:11], vcc
	s_cbranch_execz .LBB860_457
; %bb.456:
	v_and_b32_e32 v25, 7, v14
	v_ffbh_u32_e32 v15, v25
	v_min_u32_e32 v27, 32, v15
	v_subrev_u32_e32 v15, 28, v27
	v_lshlrev_b64 v[14:15], v15, v[14:15]
	v_lshrrev_b32_e32 v26, 3, v24
	v_sub_u32_e32 v15, 29, v27
	v_and_b32_e32 v14, 7, v14
	v_cmp_gt_u32_e32 vcc, 8, v24
	v_cndmask_b32_e32 v15, v26, v15, vcc
	v_cndmask_b32_e32 v14, v25, v14, vcc
	v_lshlrev_b32_e32 v24, 16, v16
	v_bfrev_b32_e32 v25, 60
	v_lshlrev_b32_e32 v14, 20, v14
	v_and_b32_e32 v24, 0x80000000, v24
	v_lshl_add_u32 v15, v15, 23, v25
	v_or3_b32 v14, v24, v15, v14
	v_lshrrev_b32_e32 v15, 16, v14
.LBB860_457:
	s_or_b64 exec, exec, s[10:11]
.LBB860_458:
	s_or_b64 exec, exec, s[8:9]
.LBB860_459:
	s_or_b64 exec, exec, s[2:3]
	s_movk_i32 s2, 0xff
	v_and_b32_sdwa v26, v16, s2 dst_sel:DWORD dst_unused:UNUSED_PAD src0_sel:WORD_1 src1_sel:DWORD
	v_lshrrev_b32_e32 v14, 16, v16
	v_cmp_ne_u16_e32 vcc, 0, v26
	v_mov_b32_e32 v24, 0
	v_mov_b32_e32 v25, 0
	s_and_saveexec_b64 s[2:3], vcc
	s_cbranch_execz .LBB860_465
; %bb.460:
	s_movk_i32 s7, 0x80
	v_cmp_ne_u16_e32 vcc, s7, v26
	v_mov_b32_e32 v25, 0xffff8000
	s_and_saveexec_b64 s[8:9], vcc
	s_cbranch_execz .LBB860_464
; %bb.461:
	v_bfe_u32 v26, v16, 16, 7
	s_movk_i32 s7, 0x7f
	v_cmp_ne_u32_e32 vcc, s7, v26
	v_mov_b32_e32 v25, 0x7f80
	s_and_saveexec_b64 s[10:11], vcc
	s_cbranch_execz .LBB860_463
; %bb.462:
	v_and_b32_e32 v25, 7, v14
	v_ffbh_u32_e32 v29, v25
	v_min_u32_e32 v29, 32, v29
	v_subrev_u32_e32 v30, 28, v29
	v_lshlrev_b64 v[30:31], v30, v[14:15]
	v_lshrrev_b32_e32 v27, 3, v26
	v_sub_u32_e32 v14, 29, v29
	v_and_b32_e32 v29, 7, v30
	v_cmp_gt_u32_e32 vcc, 8, v26
	v_mov_b32_e32 v26, 24
	v_cndmask_b32_e32 v14, v27, v14, vcc
	v_cndmask_b32_e32 v25, v25, v29, vcc
	v_lshlrev_b32_sdwa v26, v26, v16 dst_sel:DWORD dst_unused:UNUSED_PAD src0_sel:DWORD src1_sel:WORD_1
	v_bfrev_b32_e32 v27, 60
	v_lshlrev_b32_e32 v25, 20, v25
	v_and_b32_e32 v26, 0x80000000, v26
	v_lshl_add_u32 v14, v14, 23, v27
	v_or3_b32 v14, v26, v14, v25
	v_lshrrev_b32_e32 v25, 16, v14
.LBB860_463:
	s_or_b64 exec, exec, s[10:11]
.LBB860_464:
	s_or_b64 exec, exec, s[8:9]
.LBB860_465:
	s_or_b64 exec, exec, s[2:3]
	s_mov_b32 s2, 0xffffff
	v_cmp_lt_u32_e32 vcc, s2, v16
	s_and_saveexec_b64 s[2:3], vcc
	s_cbranch_execz .LBB860_471
; %bb.466:
	v_lshrrev_b32_e32 v14, 24, v16
	s_movk_i32 s7, 0x80
	v_cmp_ne_u32_e32 vcc, s7, v14
	v_mov_b32_e32 v24, 0xffff8000
	s_and_saveexec_b64 s[8:9], vcc
	s_cbranch_execz .LBB860_470
; %bb.467:
	v_bfe_u32 v16, v16, 24, 7
	s_movk_i32 s7, 0x7f
	v_cmp_ne_u32_e32 vcc, s7, v16
	v_mov_b32_e32 v24, 0x7f80
	s_and_saveexec_b64 s[10:11], vcc
	s_cbranch_execz .LBB860_469
; %bb.468:
	v_and_b32_e32 v24, 7, v14
	v_ffbh_u32_e32 v26, v24
	v_min_u32_e32 v30, 32, v26
	v_subrev_u32_e32 v26, 28, v30
	v_lshlrev_b64 v[26:27], v26, v[14:15]
	v_lshrrev_b32_e32 v29, 3, v16
	v_sub_u32_e32 v27, 29, v30
	v_and_b32_e32 v26, 7, v26
	v_cmp_gt_u32_e32 vcc, 8, v16
	v_cndmask_b32_e32 v16, v29, v27, vcc
	v_cndmask_b32_e32 v24, v24, v26, vcc
	v_lshlrev_b32_e32 v14, 24, v14
	v_bfrev_b32_e32 v26, 60
	v_lshlrev_b32_e32 v24, 20, v24
	v_and_b32_e32 v14, 0x80000000, v14
	v_lshl_add_u32 v16, v16, 23, v26
	v_or3_b32 v14, v14, v16, v24
	v_lshrrev_b32_e32 v24, 16, v14
.LBB860_469:
	s_or_b64 exec, exec, s[10:11]
.LBB860_470:
	s_or_b64 exec, exec, s[8:9]
.LBB860_471:
	s_or_b64 exec, exec, s[2:3]
	v_mov_b32_e32 v16, 0
	v_cmp_ne_u16_sdwa s[8:9], v17, v16 src0_sel:BYTE_0 src1_sel:DWORD
	v_mov_b32_e32 v26, 0
	s_and_saveexec_b64 s[2:3], s[8:9]
	s_cbranch_execz .LBB860_477
; %bb.472:
	s_movk_i32 s7, 0x80
	v_cmp_ne_u16_sdwa s[10:11], v17, s7 src0_sel:BYTE_0 src1_sel:DWORD
	v_mov_b32_e32 v26, 0xffff8000
	s_and_saveexec_b64 s[8:9], s[10:11]
	s_cbranch_execz .LBB860_476
; %bb.473:
	s_movk_i32 s7, 0x7f
	v_and_b32_e32 v14, 0x7f, v17
	v_cmp_ne_u32_e32 vcc, s7, v14
	v_mov_b32_e32 v26, 0x7f80
	s_and_saveexec_b64 s[10:11], vcc
	s_cbranch_execz .LBB860_475
; %bb.474:
	v_and_b32_e32 v29, 7, v17
	v_ffbh_u32_e32 v27, v29
	v_min_u32_e32 v31, 32, v27
	v_mov_b32_e32 v26, v17
	v_subrev_u32_e32 v27, 28, v31
	v_lshlrev_b64 v[26:27], v27, v[26:27]
	v_lshrrev_b32_e32 v30, 3, v14
	v_sub_u32_e32 v27, 29, v31
	v_and_b32_e32 v26, 7, v26
	v_cmp_gt_u32_e32 vcc, 8, v14
	v_cndmask_b32_e32 v14, v30, v27, vcc
	v_cndmask_b32_e32 v26, v29, v26, vcc
	v_lshlrev_b32_e32 v27, 24, v17
	v_bfrev_b32_e32 v29, 60
	v_lshlrev_b32_e32 v26, 20, v26
	v_and_b32_e32 v27, 0x80000000, v27
	v_lshl_add_u32 v14, v14, 23, v29
	v_or3_b32 v14, v27, v14, v26
	v_lshrrev_b32_e32 v26, 16, v14
.LBB860_475:
	s_or_b64 exec, exec, s[10:11]
.LBB860_476:
	s_or_b64 exec, exec, s[8:9]
.LBB860_477:
	s_or_b64 exec, exec, s[2:3]
	v_lshrrev_b16_e32 v14, 8, v17
	v_cmp_ne_u16_e32 vcc, 0, v14
	s_and_saveexec_b64 s[2:3], vcc
	s_cbranch_execz .LBB860_483
; %bb.478:
	s_movk_i32 s7, 0x80
	v_cmp_ne_u16_e32 vcc, s7, v14
	v_mov_b32_e32 v16, 0xffff8000
	s_and_saveexec_b64 s[8:9], vcc
	s_cbranch_execz .LBB860_482
; %bb.479:
	s_movk_i32 s7, 0x7f
	v_and_b32_e32 v27, 0x7f, v14
	v_cmp_ne_u32_e32 vcc, s7, v27
	v_mov_b32_e32 v16, 0x7f80
	s_and_saveexec_b64 s[10:11], vcc
	s_cbranch_execz .LBB860_481
; %bb.480:
	v_and_b32_e32 v16, 7, v14
	v_ffbh_u32_e32 v30, v16
	v_min_u32_e32 v32, 32, v30
	v_subrev_u32_e32 v30, 28, v32
	v_lshlrev_b64 v[30:31], v30, v[14:15]
	v_lshrrev_b32_e32 v29, 3, v27
	v_sub_u32_e32 v14, 29, v32
	v_and_b32_e32 v30, 7, v30
	v_cmp_gt_u32_e32 vcc, 8, v27
	v_cndmask_b32_e32 v14, v29, v14, vcc
	v_cndmask_b32_e32 v16, v16, v30, vcc
	v_lshlrev_b32_e32 v27, 16, v17
	v_bfrev_b32_e32 v29, 60
	v_lshlrev_b32_e32 v16, 20, v16
	v_and_b32_e32 v27, 0x80000000, v27
	v_lshl_add_u32 v14, v14, 23, v29
	v_or3_b32 v14, v27, v14, v16
	v_lshrrev_b32_e32 v16, 16, v14
.LBB860_481:
	s_or_b64 exec, exec, s[10:11]
.LBB860_482:
	s_or_b64 exec, exec, s[8:9]
.LBB860_483:
	s_or_b64 exec, exec, s[2:3]
	s_movk_i32 s2, 0xff
	v_and_b32_sdwa v30, v17, s2 dst_sel:DWORD dst_unused:UNUSED_PAD src0_sel:WORD_1 src1_sel:DWORD
	v_lshrrev_b32_e32 v14, 16, v17
	v_cmp_ne_u16_e32 vcc, 0, v30
	v_mov_b32_e32 v27, 0
	v_mov_b32_e32 v29, 0
	s_and_saveexec_b64 s[2:3], vcc
	s_cbranch_execz .LBB860_489
; %bb.484:
	s_movk_i32 s7, 0x80
	v_cmp_ne_u16_e32 vcc, s7, v30
	v_mov_b32_e32 v29, 0xffff8000
	s_and_saveexec_b64 s[8:9], vcc
	s_cbranch_execz .LBB860_488
; %bb.485:
	v_bfe_u32 v30, v17, 16, 7
	s_movk_i32 s7, 0x7f
	v_cmp_ne_u32_e32 vcc, s7, v30
	v_mov_b32_e32 v29, 0x7f80
	s_and_saveexec_b64 s[10:11], vcc
	s_cbranch_execz .LBB860_487
; %bb.486:
	v_and_b32_e32 v29, 7, v14
	v_ffbh_u32_e32 v32, v29
	v_min_u32_e32 v34, 32, v32
	v_subrev_u32_e32 v32, 28, v34
	v_lshlrev_b64 v[32:33], v32, v[14:15]
	v_lshrrev_b32_e32 v31, 3, v30
	v_sub_u32_e32 v14, 29, v34
	v_and_b32_e32 v32, 7, v32
	v_cmp_gt_u32_e32 vcc, 8, v30
	v_mov_b32_e32 v30, 24
	v_cndmask_b32_e32 v14, v31, v14, vcc
	v_cndmask_b32_e32 v29, v29, v32, vcc
	v_lshlrev_b32_sdwa v30, v30, v17 dst_sel:DWORD dst_unused:UNUSED_PAD src0_sel:DWORD src1_sel:WORD_1
	v_bfrev_b32_e32 v31, 60
	v_lshlrev_b32_e32 v29, 20, v29
	v_and_b32_e32 v30, 0x80000000, v30
	v_lshl_add_u32 v14, v14, 23, v31
	v_or3_b32 v14, v30, v14, v29
	v_lshrrev_b32_e32 v29, 16, v14
.LBB860_487:
	s_or_b64 exec, exec, s[10:11]
.LBB860_488:
	s_or_b64 exec, exec, s[8:9]
.LBB860_489:
	s_or_b64 exec, exec, s[2:3]
	s_mov_b32 s2, 0xffffff
	v_cmp_lt_u32_e32 vcc, s2, v17
	s_and_saveexec_b64 s[2:3], vcc
	s_cbranch_execz .LBB860_495
; %bb.490:
	v_lshrrev_b32_e32 v14, 24, v17
	s_movk_i32 s7, 0x80
	v_cmp_ne_u32_e32 vcc, s7, v14
	v_mov_b32_e32 v27, 0xffff8000
	s_and_saveexec_b64 s[8:9], vcc
	s_cbranch_execz .LBB860_494
; %bb.491:
	v_bfe_u32 v17, v17, 24, 7
	s_movk_i32 s7, 0x7f
	v_cmp_ne_u32_e32 vcc, s7, v17
	v_mov_b32_e32 v27, 0x7f80
	s_and_saveexec_b64 s[10:11], vcc
	s_cbranch_execz .LBB860_493
; %bb.492:
	v_and_b32_e32 v27, 7, v14
	v_ffbh_u32_e32 v30, v27
	v_min_u32_e32 v33, 32, v30
	v_subrev_u32_e32 v30, 28, v33
	v_lshlrev_b64 v[30:31], v30, v[14:15]
	v_lshrrev_b32_e32 v32, 3, v17
	v_sub_u32_e32 v31, 29, v33
	v_and_b32_e32 v30, 7, v30
	v_cmp_gt_u32_e32 vcc, 8, v17
	v_cndmask_b32_e32 v17, v32, v31, vcc
	v_cndmask_b32_e32 v27, v27, v30, vcc
	v_lshlrev_b32_e32 v14, 24, v14
	v_bfrev_b32_e32 v30, 60
	v_lshlrev_b32_e32 v27, 20, v27
	v_and_b32_e32 v14, 0x80000000, v14
	v_lshl_add_u32 v17, v17, 23, v30
	v_or3_b32 v14, v14, v17, v27
	v_lshrrev_b32_e32 v27, 16, v14
.LBB860_493:
	s_or_b64 exec, exec, s[10:11]
.LBB860_494:
	s_or_b64 exec, exec, s[8:9]
.LBB860_495:
	s_or_b64 exec, exec, s[2:3]
	s_mov_b32 s2, 0x5040100
	v_perm_b32 v25, v24, v25, s2
	v_perm_b32 v24, v15, v23, s2
	ds_read_b128 v[30:33], v22 offset:16
	v_perm_b32 v15, v27, v29, s2
	v_perm_b32 v14, v16, v26, s2
	s_waitcnt lgkmcnt(0)
	v_mfma_f32_16x16x16bf16_1k v[34:37], v[24:25], v[30:31], v[18:21]
	s_nop 6
	v_mov_b32_e32 v19, 0
	s_waitcnt vmcnt(2)
	v_cmp_ne_u16_sdwa s[8:9], v10, v19 src0_sel:BYTE_0 src1_sel:DWORD
	v_mfma_f32_16x16x16bf16_1k v[14:17], v[14:15], v[32:33], v[34:37]
	v_mov_b32_e32 v20, 0
	s_and_saveexec_b64 s[2:3], s[8:9]
	s_cbranch_execz .LBB860_501
; %bb.496:
	s_movk_i32 s7, 0x80
	v_cmp_ne_u16_sdwa s[10:11], v10, s7 src0_sel:BYTE_0 src1_sel:DWORD
	v_mov_b32_e32 v20, 0xffff8000
	s_and_saveexec_b64 s[8:9], s[10:11]
	s_cbranch_execz .LBB860_500
; %bb.497:
	s_movk_i32 s7, 0x7f
	v_and_b32_e32 v18, 0x7f, v10
	v_cmp_ne_u32_e32 vcc, s7, v18
	v_mov_b32_e32 v20, 0x7f80
	s_and_saveexec_b64 s[10:11], vcc
	s_cbranch_execz .LBB860_499
; %bb.498:
	v_and_b32_e32 v23, 7, v10
	v_ffbh_u32_e32 v20, v23
	v_min_u32_e32 v25, 32, v20
	v_subrev_u32_e32 v20, 28, v25
	v_lshlrev_b64 v[20:21], v20, v[10:11]
	v_lshrrev_b32_e32 v24, 3, v18
	v_sub_u32_e32 v21, 29, v25
	v_and_b32_e32 v20, 7, v20
	v_cmp_gt_u32_e32 vcc, 8, v18
	v_cndmask_b32_e32 v18, v24, v21, vcc
	v_cndmask_b32_e32 v20, v23, v20, vcc
	v_lshlrev_b32_e32 v21, 24, v10
	v_bfrev_b32_e32 v23, 60
	v_lshlrev_b32_e32 v20, 20, v20
	v_and_b32_e32 v21, 0x80000000, v21
	v_lshl_add_u32 v18, v18, 23, v23
	v_or3_b32 v18, v21, v18, v20
	v_lshrrev_b32_e32 v20, 16, v18
.LBB860_499:
	s_or_b64 exec, exec, s[10:11]
.LBB860_500:
	s_or_b64 exec, exec, s[8:9]
.LBB860_501:
	s_or_b64 exec, exec, s[2:3]
	v_lshrrev_b16_e32 v18, 8, v10
	v_cmp_ne_u16_e32 vcc, 0, v18
	s_and_saveexec_b64 s[2:3], vcc
	s_cbranch_execz .LBB860_507
; %bb.502:
	s_movk_i32 s7, 0x80
	v_cmp_ne_u16_e32 vcc, s7, v18
	v_mov_b32_e32 v19, 0xffff8000
	s_and_saveexec_b64 s[8:9], vcc
	s_cbranch_execz .LBB860_506
; %bb.503:
	s_movk_i32 s7, 0x7f
	v_and_b32_e32 v21, 0x7f, v18
	v_cmp_ne_u32_e32 vcc, s7, v21
	v_mov_b32_e32 v19, 0x7f80
	s_and_saveexec_b64 s[10:11], vcc
	s_cbranch_execz .LBB860_505
; %bb.504:
	v_and_b32_e32 v23, 7, v18
	v_ffbh_u32_e32 v19, v23
	v_min_u32_e32 v25, 32, v19
	v_subrev_u32_e32 v19, 28, v25
	v_lshlrev_b64 v[18:19], v19, v[18:19]
	v_lshrrev_b32_e32 v24, 3, v21
	v_sub_u32_e32 v19, 29, v25
	v_and_b32_e32 v18, 7, v18
	v_cmp_gt_u32_e32 vcc, 8, v21
	v_cndmask_b32_e32 v19, v24, v19, vcc
	v_cndmask_b32_e32 v18, v23, v18, vcc
	v_lshlrev_b32_e32 v21, 16, v10
	v_bfrev_b32_e32 v23, 60
	v_lshlrev_b32_e32 v18, 20, v18
	v_and_b32_e32 v21, 0x80000000, v21
	v_lshl_add_u32 v19, v19, 23, v23
	v_or3_b32 v18, v21, v19, v18
	v_lshrrev_b32_e32 v19, 16, v18
.LBB860_505:
	s_or_b64 exec, exec, s[10:11]
.LBB860_506:
	s_or_b64 exec, exec, s[8:9]
.LBB860_507:
	s_or_b64 exec, exec, s[2:3]
	s_movk_i32 s2, 0xff
	v_and_b32_sdwa v24, v10, s2 dst_sel:DWORD dst_unused:UNUSED_PAD src0_sel:WORD_1 src1_sel:DWORD
	v_lshrrev_b32_e32 v18, 16, v10
	v_cmp_ne_u16_e32 vcc, 0, v24
	v_mov_b32_e32 v21, 0
	v_mov_b32_e32 v23, 0
	s_and_saveexec_b64 s[2:3], vcc
	s_cbranch_execz .LBB860_513
; %bb.508:
	s_movk_i32 s7, 0x80
	v_cmp_ne_u16_e32 vcc, s7, v24
	v_mov_b32_e32 v23, 0xffff8000
	s_and_saveexec_b64 s[8:9], vcc
	s_cbranch_execz .LBB860_512
; %bb.509:
	v_bfe_u32 v24, v10, 16, 7
	s_movk_i32 s7, 0x7f
	v_cmp_ne_u32_e32 vcc, s7, v24
	v_mov_b32_e32 v23, 0x7f80
	s_and_saveexec_b64 s[10:11], vcc
	s_cbranch_execz .LBB860_511
; %bb.510:
	v_and_b32_e32 v23, 7, v18
	v_ffbh_u32_e32 v26, v23
	v_min_u32_e32 v29, 32, v26
	v_subrev_u32_e32 v26, 28, v29
	v_lshlrev_b64 v[26:27], v26, v[18:19]
	v_lshrrev_b32_e32 v25, 3, v24
	v_sub_u32_e32 v18, 29, v29
	v_and_b32_e32 v26, 7, v26
	v_cmp_gt_u32_e32 vcc, 8, v24
	v_mov_b32_e32 v24, 24
	v_cndmask_b32_e32 v18, v25, v18, vcc
	v_cndmask_b32_e32 v23, v23, v26, vcc
	v_lshlrev_b32_sdwa v24, v24, v10 dst_sel:DWORD dst_unused:UNUSED_PAD src0_sel:DWORD src1_sel:WORD_1
	v_bfrev_b32_e32 v25, 60
	v_lshlrev_b32_e32 v23, 20, v23
	v_and_b32_e32 v24, 0x80000000, v24
	v_lshl_add_u32 v18, v18, 23, v25
	v_or3_b32 v18, v24, v18, v23
	v_lshrrev_b32_e32 v23, 16, v18
.LBB860_511:
	s_or_b64 exec, exec, s[10:11]
.LBB860_512:
	s_or_b64 exec, exec, s[8:9]
.LBB860_513:
	s_or_b64 exec, exec, s[2:3]
	s_mov_b32 s2, 0xffffff
	v_cmp_lt_u32_e32 vcc, s2, v10
	s_and_saveexec_b64 s[2:3], vcc
	s_cbranch_execz .LBB860_519
; %bb.514:
	v_lshrrev_b32_e32 v18, 24, v10
	s_movk_i32 s7, 0x80
	v_cmp_ne_u32_e32 vcc, s7, v18
	v_mov_b32_e32 v21, 0xffff8000
	s_and_saveexec_b64 s[8:9], vcc
	s_cbranch_execz .LBB860_518
; %bb.515:
	v_bfe_u32 v10, v10, 24, 7
	s_movk_i32 s7, 0x7f
	v_cmp_ne_u32_e32 vcc, s7, v10
	v_mov_b32_e32 v21, 0x7f80
	s_and_saveexec_b64 s[10:11], vcc
	s_cbranch_execz .LBB860_517
; %bb.516:
	v_and_b32_e32 v21, 7, v18
	v_ffbh_u32_e32 v24, v21
	v_min_u32_e32 v27, 32, v24
	v_subrev_u32_e32 v24, 28, v27
	v_lshlrev_b64 v[24:25], v24, v[18:19]
	v_lshrrev_b32_e32 v26, 3, v10
	v_sub_u32_e32 v25, 29, v27
	v_and_b32_e32 v24, 7, v24
	v_cmp_gt_u32_e32 vcc, 8, v10
	v_cndmask_b32_e32 v10, v26, v25, vcc
	v_cndmask_b32_e32 v21, v21, v24, vcc
	v_lshlrev_b32_e32 v18, 24, v18
	v_bfrev_b32_e32 v24, 60
	v_lshlrev_b32_e32 v21, 20, v21
	v_and_b32_e32 v18, 0x80000000, v18
	v_lshl_add_u32 v10, v10, 23, v24
	v_or3_b32 v10, v18, v10, v21
	v_lshrrev_b32_e32 v21, 16, v10
.LBB860_517:
	s_or_b64 exec, exec, s[10:11]
.LBB860_518:
	s_or_b64 exec, exec, s[8:9]
.LBB860_519:
	s_or_b64 exec, exec, s[2:3]
	v_mov_b32_e32 v18, 0
	v_cmp_ne_u16_sdwa s[8:9], v11, v18 src0_sel:BYTE_0 src1_sel:DWORD
	v_mov_b32_e32 v24, 0
	s_and_saveexec_b64 s[2:3], s[8:9]
	s_cbranch_execz .LBB860_525
; %bb.520:
	s_movk_i32 s7, 0x80
	v_cmp_ne_u16_sdwa s[10:11], v11, s7 src0_sel:BYTE_0 src1_sel:DWORD
	v_mov_b32_e32 v24, 0xffff8000
	s_and_saveexec_b64 s[8:9], s[10:11]
	s_cbranch_execz .LBB860_524
; %bb.521:
	s_movk_i32 s7, 0x7f
	v_and_b32_e32 v10, 0x7f, v11
	v_cmp_ne_u32_e32 vcc, s7, v10
	v_mov_b32_e32 v24, 0x7f80
	s_and_saveexec_b64 s[10:11], vcc
	s_cbranch_execz .LBB860_523
; %bb.522:
	v_and_b32_e32 v26, 7, v11
	v_ffbh_u32_e32 v25, v26
	v_min_u32_e32 v29, 32, v25
	v_mov_b32_e32 v24, v11
	v_subrev_u32_e32 v25, 28, v29
	v_lshlrev_b64 v[24:25], v25, v[24:25]
	v_lshrrev_b32_e32 v27, 3, v10
	v_sub_u32_e32 v25, 29, v29
	v_and_b32_e32 v24, 7, v24
	v_cmp_gt_u32_e32 vcc, 8, v10
	v_cndmask_b32_e32 v10, v27, v25, vcc
	v_cndmask_b32_e32 v24, v26, v24, vcc
	v_lshlrev_b32_e32 v25, 24, v11
	v_bfrev_b32_e32 v26, 60
	v_lshlrev_b32_e32 v24, 20, v24
	v_and_b32_e32 v25, 0x80000000, v25
	v_lshl_add_u32 v10, v10, 23, v26
	v_or3_b32 v10, v25, v10, v24
	v_lshrrev_b32_e32 v24, 16, v10
.LBB860_523:
	s_or_b64 exec, exec, s[10:11]
.LBB860_524:
	s_or_b64 exec, exec, s[8:9]
.LBB860_525:
	s_or_b64 exec, exec, s[2:3]
	v_lshrrev_b16_e32 v10, 8, v11
	v_cmp_ne_u16_e32 vcc, 0, v10
	s_and_saveexec_b64 s[2:3], vcc
	s_cbranch_execz .LBB860_531
; %bb.526:
	s_movk_i32 s7, 0x80
	v_cmp_ne_u16_e32 vcc, s7, v10
	v_mov_b32_e32 v18, 0xffff8000
	s_and_saveexec_b64 s[8:9], vcc
	s_cbranch_execz .LBB860_530
; %bb.527:
	s_movk_i32 s7, 0x7f
	v_and_b32_e32 v25, 0x7f, v10
	v_cmp_ne_u32_e32 vcc, s7, v25
	v_mov_b32_e32 v18, 0x7f80
	s_and_saveexec_b64 s[10:11], vcc
	s_cbranch_execz .LBB860_529
; %bb.528:
	v_and_b32_e32 v18, 7, v10
	v_ffbh_u32_e32 v26, v18
	v_min_u32_e32 v30, 32, v26
	v_subrev_u32_e32 v26, 28, v30
	v_lshlrev_b64 v[26:27], v26, v[10:11]
	v_lshrrev_b32_e32 v29, 3, v25
	v_sub_u32_e32 v10, 29, v30
	v_and_b32_e32 v26, 7, v26
	v_cmp_gt_u32_e32 vcc, 8, v25
	v_cndmask_b32_e32 v10, v29, v10, vcc
	v_cndmask_b32_e32 v18, v18, v26, vcc
	v_lshlrev_b32_e32 v25, 16, v11
	v_bfrev_b32_e32 v26, 60
	v_lshlrev_b32_e32 v18, 20, v18
	v_and_b32_e32 v25, 0x80000000, v25
	v_lshl_add_u32 v10, v10, 23, v26
	v_or3_b32 v10, v25, v10, v18
	v_lshrrev_b32_e32 v18, 16, v10
.LBB860_529:
	s_or_b64 exec, exec, s[10:11]
.LBB860_530:
	s_or_b64 exec, exec, s[8:9]
.LBB860_531:
	s_or_b64 exec, exec, s[2:3]
	s_movk_i32 s2, 0xff
	v_and_b32_sdwa v27, v11, s2 dst_sel:DWORD dst_unused:UNUSED_PAD src0_sel:WORD_1 src1_sel:DWORD
	v_lshrrev_b32_e32 v10, 16, v11
	v_cmp_ne_u16_e32 vcc, 0, v27
	v_mov_b32_e32 v25, 0
	v_mov_b32_e32 v26, 0
	s_and_saveexec_b64 s[2:3], vcc
	s_cbranch_execz .LBB860_537
; %bb.532:
	s_movk_i32 s7, 0x80
	v_cmp_ne_u16_e32 vcc, s7, v27
	v_mov_b32_e32 v26, 0xffff8000
	s_and_saveexec_b64 s[8:9], vcc
	s_cbranch_execz .LBB860_536
; %bb.533:
	v_bfe_u32 v27, v11, 16, 7
	s_movk_i32 s7, 0x7f
	v_cmp_ne_u32_e32 vcc, s7, v27
	v_mov_b32_e32 v26, 0x7f80
	s_and_saveexec_b64 s[10:11], vcc
	s_cbranch_execz .LBB860_535
; %bb.534:
	v_and_b32_e32 v26, 7, v10
	v_ffbh_u32_e32 v30, v26
	v_min_u32_e32 v32, 32, v30
	v_subrev_u32_e32 v30, 28, v32
	v_lshlrev_b64 v[30:31], v30, v[10:11]
	v_lshrrev_b32_e32 v29, 3, v27
	v_sub_u32_e32 v10, 29, v32
	v_and_b32_e32 v30, 7, v30
	v_cmp_gt_u32_e32 vcc, 8, v27
	v_mov_b32_e32 v27, 24
	v_cndmask_b32_e32 v10, v29, v10, vcc
	v_cndmask_b32_e32 v26, v26, v30, vcc
	v_lshlrev_b32_sdwa v27, v27, v11 dst_sel:DWORD dst_unused:UNUSED_PAD src0_sel:DWORD src1_sel:WORD_1
	v_bfrev_b32_e32 v29, 60
	v_lshlrev_b32_e32 v26, 20, v26
	v_and_b32_e32 v27, 0x80000000, v27
	v_lshl_add_u32 v10, v10, 23, v29
	v_or3_b32 v10, v27, v10, v26
	v_lshrrev_b32_e32 v26, 16, v10
.LBB860_535:
	s_or_b64 exec, exec, s[10:11]
.LBB860_536:
	s_or_b64 exec, exec, s[8:9]
.LBB860_537:
	s_or_b64 exec, exec, s[2:3]
	s_mov_b32 s2, 0xffffff
	v_cmp_lt_u32_e32 vcc, s2, v11
	s_and_saveexec_b64 s[2:3], vcc
	s_cbranch_execz .LBB860_543
; %bb.538:
	v_lshrrev_b32_e32 v10, 24, v11
	s_movk_i32 s7, 0x80
	v_cmp_ne_u32_e32 vcc, s7, v10
	v_mov_b32_e32 v25, 0xffff8000
	s_and_saveexec_b64 s[8:9], vcc
	s_cbranch_execz .LBB860_542
; %bb.539:
	v_bfe_u32 v11, v11, 24, 7
	s_movk_i32 s7, 0x7f
	v_cmp_ne_u32_e32 vcc, s7, v11
	v_mov_b32_e32 v25, 0x7f80
	s_and_saveexec_b64 s[10:11], vcc
	s_cbranch_execz .LBB860_541
; %bb.540:
	v_and_b32_e32 v25, 7, v10
	v_ffbh_u32_e32 v29, v25
	v_min_u32_e32 v29, 32, v29
	v_subrev_u32_e32 v30, 28, v29
	v_lshlrev_b64 v[30:31], v30, v[10:11]
	v_lshrrev_b32_e32 v27, 3, v11
	v_sub_u32_e32 v29, 29, v29
	v_and_b32_e32 v30, 7, v30
	v_cmp_gt_u32_e32 vcc, 8, v11
	v_cndmask_b32_e32 v11, v27, v29, vcc
	v_cndmask_b32_e32 v25, v25, v30, vcc
	v_lshlrev_b32_e32 v10, 24, v10
	v_bfrev_b32_e32 v27, 60
	v_lshlrev_b32_e32 v25, 20, v25
	v_and_b32_e32 v10, 0x80000000, v10
	v_lshl_add_u32 v11, v11, 23, v27
	v_or3_b32 v10, v10, v11, v25
	v_lshrrev_b32_e32 v25, 16, v10
.LBB860_541:
	s_or_b64 exec, exec, s[10:11]
.LBB860_542:
	s_or_b64 exec, exec, s[8:9]
.LBB860_543:
	s_or_b64 exec, exec, s[2:3]
	s_mov_b32 s2, 0x5040100
	v_perm_b32 v11, v21, v23, s2
	v_perm_b32 v10, v19, v20, s2
	ds_read_b128 v[30:33], v22 offset:2048
	v_perm_b32 v21, v25, v26, s2
	v_perm_b32 v20, v18, v24, s2
	s_waitcnt lgkmcnt(0)
	v_mfma_f32_16x16x16bf16_1k v[14:17], v[10:11], v[30:31], v[14:17]
	v_mov_b32_e32 v11, 0
	v_cmp_ne_u16_sdwa s[8:9], v12, v11 src0_sel:BYTE_0 src1_sel:DWORD
	v_mov_b32_e32 v18, 0
	v_mfma_f32_16x16x16bf16_1k v[14:17], v[20:21], v[32:33], v[14:17]
	s_and_saveexec_b64 s[2:3], s[8:9]
	s_cbranch_execz .LBB860_549
; %bb.544:
	s_movk_i32 s7, 0x80
	v_cmp_ne_u16_sdwa s[10:11], v12, s7 src0_sel:BYTE_0 src1_sel:DWORD
	v_mov_b32_e32 v18, 0xffff8000
	s_and_saveexec_b64 s[8:9], s[10:11]
	s_cbranch_execz .LBB860_548
; %bb.545:
	s_movk_i32 s7, 0x7f
	v_and_b32_e32 v10, 0x7f, v12
	v_cmp_ne_u32_e32 vcc, s7, v10
	v_mov_b32_e32 v18, 0x7f80
	s_and_saveexec_b64 s[10:11], vcc
	s_cbranch_execz .LBB860_547
; %bb.546:
	v_and_b32_e32 v20, 7, v12
	v_ffbh_u32_e32 v18, v20
	v_min_u32_e32 v23, 32, v18
	v_subrev_u32_e32 v18, 28, v23
	v_lshlrev_b64 v[18:19], v18, v[12:13]
	v_lshrrev_b32_e32 v21, 3, v10
	v_sub_u32_e32 v19, 29, v23
	v_and_b32_e32 v18, 7, v18
	v_cmp_gt_u32_e32 vcc, 8, v10
	v_cndmask_b32_e32 v10, v21, v19, vcc
	v_cndmask_b32_e32 v18, v20, v18, vcc
	v_lshlrev_b32_e32 v19, 24, v12
	v_bfrev_b32_e32 v20, 60
	v_lshlrev_b32_e32 v18, 20, v18
	v_and_b32_e32 v19, 0x80000000, v19
	v_lshl_add_u32 v10, v10, 23, v20
	v_or3_b32 v10, v19, v10, v18
	v_lshrrev_b32_e32 v18, 16, v10
.LBB860_547:
	s_or_b64 exec, exec, s[10:11]
.LBB860_548:
	s_or_b64 exec, exec, s[8:9]
.LBB860_549:
	s_or_b64 exec, exec, s[2:3]
	v_lshrrev_b16_e32 v10, 8, v12
	v_cmp_ne_u16_e32 vcc, 0, v10
	s_and_saveexec_b64 s[2:3], vcc
	s_cbranch_execz .LBB860_555
; %bb.550:
	s_movk_i32 s7, 0x80
	v_cmp_ne_u16_e32 vcc, s7, v10
	v_mov_b32_e32 v11, 0xffff8000
	s_and_saveexec_b64 s[8:9], vcc
	s_cbranch_execz .LBB860_554
; %bb.551:
	s_movk_i32 s7, 0x7f
	v_and_b32_e32 v19, 0x7f, v10
	v_cmp_ne_u32_e32 vcc, s7, v19
	v_mov_b32_e32 v11, 0x7f80
	s_and_saveexec_b64 s[10:11], vcc
	s_cbranch_execz .LBB860_553
; %bb.552:
	v_and_b32_e32 v20, 7, v10
	v_ffbh_u32_e32 v11, v20
	v_min_u32_e32 v23, 32, v11
	v_subrev_u32_e32 v11, 28, v23
	v_lshlrev_b64 v[10:11], v11, v[10:11]
	v_lshrrev_b32_e32 v21, 3, v19
	v_sub_u32_e32 v11, 29, v23
	v_and_b32_e32 v10, 7, v10
	v_cmp_gt_u32_e32 vcc, 8, v19
	v_cndmask_b32_e32 v11, v21, v11, vcc
	v_cndmask_b32_e32 v10, v20, v10, vcc
	v_lshlrev_b32_e32 v19, 16, v12
	v_bfrev_b32_e32 v20, 60
	v_lshlrev_b32_e32 v10, 20, v10
	v_and_b32_e32 v19, 0x80000000, v19
	v_lshl_add_u32 v11, v11, 23, v20
	v_or3_b32 v10, v19, v11, v10
	v_lshrrev_b32_e32 v11, 16, v10
.LBB860_553:
	s_or_b64 exec, exec, s[10:11]
.LBB860_554:
	s_or_b64 exec, exec, s[8:9]
.LBB860_555:
	s_or_b64 exec, exec, s[2:3]
	s_movk_i32 s2, 0xff
	v_and_b32_sdwa v21, v12, s2 dst_sel:DWORD dst_unused:UNUSED_PAD src0_sel:WORD_1 src1_sel:DWORD
	v_lshrrev_b32_e32 v10, 16, v12
	v_cmp_ne_u16_e32 vcc, 0, v21
	v_mov_b32_e32 v19, 0
	v_mov_b32_e32 v20, 0
	s_and_saveexec_b64 s[2:3], vcc
	s_cbranch_execz .LBB860_561
; %bb.556:
	s_movk_i32 s7, 0x80
	v_cmp_ne_u16_e32 vcc, s7, v21
	v_mov_b32_e32 v20, 0xffff8000
	s_and_saveexec_b64 s[8:9], vcc
	s_cbranch_execz .LBB860_560
; %bb.557:
	v_bfe_u32 v21, v12, 16, 7
	s_movk_i32 s7, 0x7f
	v_cmp_ne_u32_e32 vcc, s7, v21
	v_mov_b32_e32 v20, 0x7f80
	s_and_saveexec_b64 s[10:11], vcc
	s_cbranch_execz .LBB860_559
; %bb.558:
	v_and_b32_e32 v20, 7, v10
	v_ffbh_u32_e32 v24, v20
	v_min_u32_e32 v26, 32, v24
	v_subrev_u32_e32 v24, 28, v26
	v_lshlrev_b64 v[24:25], v24, v[10:11]
	v_lshrrev_b32_e32 v23, 3, v21
	v_sub_u32_e32 v10, 29, v26
	v_and_b32_e32 v24, 7, v24
	v_cmp_gt_u32_e32 vcc, 8, v21
	v_mov_b32_e32 v21, 24
	v_cndmask_b32_e32 v10, v23, v10, vcc
	v_cndmask_b32_e32 v20, v20, v24, vcc
	v_lshlrev_b32_sdwa v21, v21, v12 dst_sel:DWORD dst_unused:UNUSED_PAD src0_sel:DWORD src1_sel:WORD_1
	v_bfrev_b32_e32 v23, 60
	v_lshlrev_b32_e32 v20, 20, v20
	v_and_b32_e32 v21, 0x80000000, v21
	v_lshl_add_u32 v10, v10, 23, v23
	v_or3_b32 v10, v21, v10, v20
	v_lshrrev_b32_e32 v20, 16, v10
.LBB860_559:
	s_or_b64 exec, exec, s[10:11]
.LBB860_560:
	s_or_b64 exec, exec, s[8:9]
.LBB860_561:
	s_or_b64 exec, exec, s[2:3]
	s_mov_b32 s2, 0xffffff
	v_cmp_lt_u32_e32 vcc, s2, v12
	s_and_saveexec_b64 s[2:3], vcc
	s_cbranch_execz .LBB860_567
; %bb.562:
	v_lshrrev_b32_e32 v10, 24, v12
	s_movk_i32 s7, 0x80
	v_cmp_ne_u32_e32 vcc, s7, v10
	v_mov_b32_e32 v19, 0xffff8000
	s_and_saveexec_b64 s[8:9], vcc
	s_cbranch_execz .LBB860_566
; %bb.563:
	v_bfe_u32 v12, v12, 24, 7
	s_movk_i32 s7, 0x7f
	v_cmp_ne_u32_e32 vcc, s7, v12
	v_mov_b32_e32 v19, 0x7f80
	s_and_saveexec_b64 s[10:11], vcc
	s_cbranch_execz .LBB860_565
; %bb.564:
	v_and_b32_e32 v19, 7, v10
	v_ffbh_u32_e32 v23, v19
	v_min_u32_e32 v23, 32, v23
	v_subrev_u32_e32 v24, 28, v23
	v_lshlrev_b64 v[24:25], v24, v[10:11]
	v_lshrrev_b32_e32 v21, 3, v12
	v_sub_u32_e32 v23, 29, v23
	v_and_b32_e32 v24, 7, v24
	v_cmp_gt_u32_e32 vcc, 8, v12
	v_cndmask_b32_e32 v12, v21, v23, vcc
	v_cndmask_b32_e32 v19, v19, v24, vcc
	v_lshlrev_b32_e32 v10, 24, v10
	v_bfrev_b32_e32 v21, 60
	v_lshlrev_b32_e32 v19, 20, v19
	v_and_b32_e32 v10, 0x80000000, v10
	v_lshl_add_u32 v12, v12, 23, v21
	v_or3_b32 v10, v10, v12, v19
	v_lshrrev_b32_e32 v19, 16, v10
.LBB860_565:
	s_or_b64 exec, exec, s[10:11]
.LBB860_566:
	s_or_b64 exec, exec, s[8:9]
.LBB860_567:
	s_or_b64 exec, exec, s[2:3]
	v_mov_b32_e32 v12, 0
	v_cmp_ne_u16_sdwa s[8:9], v13, v12 src0_sel:BYTE_0 src1_sel:DWORD
	v_mov_b32_e32 v21, 0
	s_and_saveexec_b64 s[2:3], s[8:9]
	s_cbranch_execz .LBB860_573
; %bb.568:
	s_movk_i32 s7, 0x80
	v_cmp_ne_u16_sdwa s[10:11], v13, s7 src0_sel:BYTE_0 src1_sel:DWORD
	v_mov_b32_e32 v21, 0xffff8000
	s_and_saveexec_b64 s[8:9], s[10:11]
	s_cbranch_execz .LBB860_572
; %bb.569:
	s_movk_i32 s7, 0x7f
	v_and_b32_e32 v10, 0x7f, v13
	v_cmp_ne_u32_e32 vcc, s7, v10
	v_mov_b32_e32 v21, 0x7f80
	s_and_saveexec_b64 s[10:11], vcc
	s_cbranch_execz .LBB860_571
; %bb.570:
	v_and_b32_e32 v21, 7, v13
	v_ffbh_u32_e32 v25, v21
	v_min_u32_e32 v26, 32, v25
	v_mov_b32_e32 v24, v13
	v_subrev_u32_e32 v25, 28, v26
	v_lshlrev_b64 v[24:25], v25, v[24:25]
	v_lshrrev_b32_e32 v23, 3, v10
	v_sub_u32_e32 v25, 29, v26
	v_and_b32_e32 v24, 7, v24
	v_cmp_gt_u32_e32 vcc, 8, v10
	v_cndmask_b32_e32 v10, v23, v25, vcc
	v_cndmask_b32_e32 v21, v21, v24, vcc
	v_lshlrev_b32_e32 v23, 24, v13
	v_bfrev_b32_e32 v24, 60
	v_lshlrev_b32_e32 v21, 20, v21
	v_and_b32_e32 v23, 0x80000000, v23
	v_lshl_add_u32 v10, v10, 23, v24
	v_or3_b32 v10, v23, v10, v21
	v_lshrrev_b32_e32 v21, 16, v10
.LBB860_571:
	s_or_b64 exec, exec, s[10:11]
.LBB860_572:
	s_or_b64 exec, exec, s[8:9]
.LBB860_573:
	s_or_b64 exec, exec, s[2:3]
	v_lshrrev_b16_e32 v10, 8, v13
	v_cmp_ne_u16_e32 vcc, 0, v10
	s_and_saveexec_b64 s[2:3], vcc
	s_cbranch_execz .LBB860_579
; %bb.574:
	s_movk_i32 s7, 0x80
	v_cmp_ne_u16_e32 vcc, s7, v10
	v_mov_b32_e32 v12, 0xffff8000
	s_and_saveexec_b64 s[8:9], vcc
	s_cbranch_execz .LBB860_578
; %bb.575:
	s_movk_i32 s7, 0x7f
	v_and_b32_e32 v23, 0x7f, v10
	v_cmp_ne_u32_e32 vcc, s7, v23
	v_mov_b32_e32 v12, 0x7f80
	s_and_saveexec_b64 s[10:11], vcc
	s_cbranch_execz .LBB860_577
; %bb.576:
	v_and_b32_e32 v12, 7, v10
	v_ffbh_u32_e32 v24, v12
	v_min_u32_e32 v27, 32, v24
	v_subrev_u32_e32 v24, 28, v27
	v_lshlrev_b64 v[24:25], v24, v[10:11]
	v_lshrrev_b32_e32 v26, 3, v23
	v_sub_u32_e32 v10, 29, v27
	v_and_b32_e32 v24, 7, v24
	v_cmp_gt_u32_e32 vcc, 8, v23
	v_cndmask_b32_e32 v10, v26, v10, vcc
	v_cndmask_b32_e32 v12, v12, v24, vcc
	v_lshlrev_b32_e32 v23, 16, v13
	v_bfrev_b32_e32 v24, 60
	v_lshlrev_b32_e32 v12, 20, v12
	v_and_b32_e32 v23, 0x80000000, v23
	v_lshl_add_u32 v10, v10, 23, v24
	v_or3_b32 v10, v23, v10, v12
	v_lshrrev_b32_e32 v12, 16, v10
.LBB860_577:
	s_or_b64 exec, exec, s[10:11]
.LBB860_578:
	s_or_b64 exec, exec, s[8:9]
.LBB860_579:
	s_or_b64 exec, exec, s[2:3]
	s_movk_i32 s2, 0xff
	v_and_b32_sdwa v25, v13, s2 dst_sel:DWORD dst_unused:UNUSED_PAD src0_sel:WORD_1 src1_sel:DWORD
	v_lshrrev_b32_e32 v10, 16, v13
	v_cmp_ne_u16_e32 vcc, 0, v25
	v_mov_b32_e32 v23, 0
	v_mov_b32_e32 v24, 0
	s_and_saveexec_b64 s[2:3], vcc
	s_cbranch_execz .LBB860_585
; %bb.580:
	s_movk_i32 s7, 0x80
	v_cmp_ne_u16_e32 vcc, s7, v25
	v_mov_b32_e32 v24, 0xffff8000
	s_and_saveexec_b64 s[8:9], vcc
	s_cbranch_execz .LBB860_584
; %bb.581:
	v_bfe_u32 v25, v13, 16, 7
	s_movk_i32 s7, 0x7f
	v_cmp_ne_u32_e32 vcc, s7, v25
	v_mov_b32_e32 v24, 0x7f80
	s_and_saveexec_b64 s[10:11], vcc
	s_cbranch_execz .LBB860_583
; %bb.582:
	v_and_b32_e32 v24, 7, v10
	v_ffbh_u32_e32 v26, v24
	v_min_u32_e32 v30, 32, v26
	v_subrev_u32_e32 v26, 28, v30
	v_lshlrev_b64 v[26:27], v26, v[10:11]
	v_lshrrev_b32_e32 v29, 3, v25
	v_sub_u32_e32 v10, 29, v30
	v_and_b32_e32 v26, 7, v26
	v_cmp_gt_u32_e32 vcc, 8, v25
	v_mov_b32_e32 v25, 24
	v_cndmask_b32_e32 v10, v29, v10, vcc
	v_cndmask_b32_e32 v24, v24, v26, vcc
	v_lshlrev_b32_sdwa v25, v25, v13 dst_sel:DWORD dst_unused:UNUSED_PAD src0_sel:DWORD src1_sel:WORD_1
	v_bfrev_b32_e32 v26, 60
	v_lshlrev_b32_e32 v24, 20, v24
	v_and_b32_e32 v25, 0x80000000, v25
	v_lshl_add_u32 v10, v10, 23, v26
	v_or3_b32 v10, v25, v10, v24
	v_lshrrev_b32_e32 v24, 16, v10
.LBB860_583:
	s_or_b64 exec, exec, s[10:11]
.LBB860_584:
	s_or_b64 exec, exec, s[8:9]
.LBB860_585:
	s_or_b64 exec, exec, s[2:3]
	s_mov_b32 s2, 0xffffff
	v_cmp_lt_u32_e32 vcc, s2, v13
	s_and_saveexec_b64 s[2:3], vcc
	s_cbranch_execz .LBB860_591
; %bb.586:
	v_lshrrev_b32_e32 v10, 24, v13
	s_movk_i32 s7, 0x80
	v_cmp_ne_u32_e32 vcc, s7, v10
	v_mov_b32_e32 v23, 0xffff8000
	s_and_saveexec_b64 s[8:9], vcc
	s_cbranch_execz .LBB860_590
; %bb.587:
	v_bfe_u32 v13, v13, 24, 7
	s_movk_i32 s7, 0x7f
	v_cmp_ne_u32_e32 vcc, s7, v13
	v_mov_b32_e32 v23, 0x7f80
	s_and_saveexec_b64 s[10:11], vcc
	s_cbranch_execz .LBB860_589
; %bb.588:
	v_and_b32_e32 v23, 7, v10
	v_ffbh_u32_e32 v26, v23
	v_min_u32_e32 v29, 32, v26
	v_subrev_u32_e32 v26, 28, v29
	v_lshlrev_b64 v[26:27], v26, v[10:11]
	v_lshrrev_b32_e32 v25, 3, v13
	v_sub_u32_e32 v27, 29, v29
	v_and_b32_e32 v26, 7, v26
	v_cmp_gt_u32_e32 vcc, 8, v13
	v_cndmask_b32_e32 v13, v25, v27, vcc
	v_cndmask_b32_e32 v23, v23, v26, vcc
	v_lshlrev_b32_e32 v10, 24, v10
	v_bfrev_b32_e32 v25, 60
	v_lshlrev_b32_e32 v23, 20, v23
	v_and_b32_e32 v10, 0x80000000, v10
	v_lshl_add_u32 v13, v13, 23, v25
	v_or3_b32 v10, v10, v13, v23
	v_lshrrev_b32_e32 v23, 16, v10
.LBB860_589:
	s_or_b64 exec, exec, s[10:11]
.LBB860_590:
	s_or_b64 exec, exec, s[8:9]
.LBB860_591:
	s_or_b64 exec, exec, s[2:3]
	s_mov_b32 s2, 0x5040100
	v_perm_b32 v19, v19, v20, s2
	v_perm_b32 v18, v11, v18, s2
	ds_read_b128 v[30:33], v22 offset:2064
	v_perm_b32 v11, v23, v24, s2
	v_perm_b32 v10, v12, v21, s2
	s_waitcnt lgkmcnt(0)
	v_mfma_f32_16x16x16bf16_1k v[34:37], v[18:19], v[30:31], v[14:17]
	s_nop 6
	v_mov_b32_e32 v15, 0
	s_waitcnt vmcnt(1)
	v_cmp_ne_u16_sdwa s[8:9], v6, v15 src0_sel:BYTE_0 src1_sel:DWORD
	v_mfma_f32_16x16x16bf16_1k v[10:13], v[10:11], v[32:33], v[34:37]
	v_mov_b32_e32 v16, 0
	s_and_saveexec_b64 s[2:3], s[8:9]
	s_cbranch_execz .LBB860_597
; %bb.592:
	s_movk_i32 s7, 0x80
	v_cmp_ne_u16_sdwa s[10:11], v6, s7 src0_sel:BYTE_0 src1_sel:DWORD
	v_mov_b32_e32 v16, 0xffff8000
	s_and_saveexec_b64 s[8:9], s[10:11]
	s_cbranch_execz .LBB860_596
; %bb.593:
	s_movk_i32 s7, 0x7f
	v_and_b32_e32 v14, 0x7f, v6
	v_cmp_ne_u32_e32 vcc, s7, v14
	v_mov_b32_e32 v16, 0x7f80
	s_and_saveexec_b64 s[10:11], vcc
	s_cbranch_execz .LBB860_595
; %bb.594:
	v_and_b32_e32 v18, 7, v6
	v_ffbh_u32_e32 v16, v18
	v_min_u32_e32 v20, 32, v16
	v_subrev_u32_e32 v16, 28, v20
	v_lshlrev_b64 v[16:17], v16, v[6:7]
	v_lshrrev_b32_e32 v19, 3, v14
	v_sub_u32_e32 v17, 29, v20
	v_and_b32_e32 v16, 7, v16
	v_cmp_gt_u32_e32 vcc, 8, v14
	v_cndmask_b32_e32 v14, v19, v17, vcc
	v_cndmask_b32_e32 v16, v18, v16, vcc
	v_lshlrev_b32_e32 v17, 24, v6
	v_bfrev_b32_e32 v18, 60
	v_lshlrev_b32_e32 v16, 20, v16
	v_and_b32_e32 v17, 0x80000000, v17
	v_lshl_add_u32 v14, v14, 23, v18
	v_or3_b32 v14, v17, v14, v16
	v_lshrrev_b32_e32 v16, 16, v14
.LBB860_595:
	s_or_b64 exec, exec, s[10:11]
.LBB860_596:
	s_or_b64 exec, exec, s[8:9]
.LBB860_597:
	s_or_b64 exec, exec, s[2:3]
	v_lshrrev_b16_e32 v14, 8, v6
	v_cmp_ne_u16_e32 vcc, 0, v14
	s_and_saveexec_b64 s[2:3], vcc
	s_cbranch_execz .LBB860_603
; %bb.598:
	s_movk_i32 s7, 0x80
	v_cmp_ne_u16_e32 vcc, s7, v14
	v_mov_b32_e32 v15, 0xffff8000
	s_and_saveexec_b64 s[8:9], vcc
	s_cbranch_execz .LBB860_602
; %bb.599:
	s_movk_i32 s7, 0x7f
	v_and_b32_e32 v17, 0x7f, v14
	v_cmp_ne_u32_e32 vcc, s7, v17
	v_mov_b32_e32 v15, 0x7f80
	s_and_saveexec_b64 s[10:11], vcc
	s_cbranch_execz .LBB860_601
; %bb.600:
	v_and_b32_e32 v18, 7, v14
	v_ffbh_u32_e32 v15, v18
	v_min_u32_e32 v20, 32, v15
	v_subrev_u32_e32 v15, 28, v20
	v_lshlrev_b64 v[14:15], v15, v[14:15]
	v_lshrrev_b32_e32 v19, 3, v17
	v_sub_u32_e32 v15, 29, v20
	v_and_b32_e32 v14, 7, v14
	v_cmp_gt_u32_e32 vcc, 8, v17
	v_cndmask_b32_e32 v15, v19, v15, vcc
	v_cndmask_b32_e32 v14, v18, v14, vcc
	v_lshlrev_b32_e32 v17, 16, v6
	v_bfrev_b32_e32 v18, 60
	v_lshlrev_b32_e32 v14, 20, v14
	v_and_b32_e32 v17, 0x80000000, v17
	v_lshl_add_u32 v15, v15, 23, v18
	v_or3_b32 v14, v17, v15, v14
	v_lshrrev_b32_e32 v15, 16, v14
.LBB860_601:
	s_or_b64 exec, exec, s[10:11]
.LBB860_602:
	s_or_b64 exec, exec, s[8:9]
.LBB860_603:
	s_or_b64 exec, exec, s[2:3]
	s_movk_i32 s2, 0xff
	v_and_b32_sdwa v19, v6, s2 dst_sel:DWORD dst_unused:UNUSED_PAD src0_sel:WORD_1 src1_sel:DWORD
	v_lshrrev_b32_e32 v14, 16, v6
	v_cmp_ne_u16_e32 vcc, 0, v19
	v_mov_b32_e32 v17, 0
	v_mov_b32_e32 v18, 0
	s_and_saveexec_b64 s[2:3], vcc
	s_cbranch_execz .LBB860_609
; %bb.604:
	s_movk_i32 s7, 0x80
	v_cmp_ne_u16_e32 vcc, s7, v19
	v_mov_b32_e32 v18, 0xffff8000
	s_and_saveexec_b64 s[8:9], vcc
	s_cbranch_execz .LBB860_608
; %bb.605:
	v_bfe_u32 v19, v6, 16, 7
	s_movk_i32 s7, 0x7f
	v_cmp_ne_u32_e32 vcc, s7, v19
	v_mov_b32_e32 v18, 0x7f80
	s_and_saveexec_b64 s[10:11], vcc
	s_cbranch_execz .LBB860_607
; %bb.606:
	v_and_b32_e32 v18, 7, v14
	v_ffbh_u32_e32 v20, v18
	v_min_u32_e32 v24, 32, v20
	v_subrev_u32_e32 v20, 28, v24
	v_lshlrev_b64 v[20:21], v20, v[14:15]
	v_lshrrev_b32_e32 v23, 3, v19
	v_sub_u32_e32 v14, 29, v24
	v_and_b32_e32 v20, 7, v20
	v_cmp_gt_u32_e32 vcc, 8, v19
	v_mov_b32_e32 v19, 24
	v_cndmask_b32_e32 v14, v23, v14, vcc
	v_cndmask_b32_e32 v18, v18, v20, vcc
	v_lshlrev_b32_sdwa v19, v19, v6 dst_sel:DWORD dst_unused:UNUSED_PAD src0_sel:DWORD src1_sel:WORD_1
	v_bfrev_b32_e32 v20, 60
	v_lshlrev_b32_e32 v18, 20, v18
	v_and_b32_e32 v19, 0x80000000, v19
	v_lshl_add_u32 v14, v14, 23, v20
	v_or3_b32 v14, v19, v14, v18
	v_lshrrev_b32_e32 v18, 16, v14
.LBB860_607:
	s_or_b64 exec, exec, s[10:11]
.LBB860_608:
	s_or_b64 exec, exec, s[8:9]
.LBB860_609:
	s_or_b64 exec, exec, s[2:3]
	s_mov_b32 s2, 0xffffff
	v_cmp_lt_u32_e32 vcc, s2, v6
	s_and_saveexec_b64 s[2:3], vcc
	s_cbranch_execz .LBB860_615
; %bb.610:
	v_lshrrev_b32_e32 v14, 24, v6
	s_movk_i32 s7, 0x80
	v_cmp_ne_u32_e32 vcc, s7, v14
	v_mov_b32_e32 v17, 0xffff8000
	s_and_saveexec_b64 s[8:9], vcc
	s_cbranch_execz .LBB860_614
; %bb.611:
	v_bfe_u32 v6, v6, 24, 7
	s_movk_i32 s7, 0x7f
	v_cmp_ne_u32_e32 vcc, s7, v6
	v_mov_b32_e32 v17, 0x7f80
	s_and_saveexec_b64 s[10:11], vcc
	s_cbranch_execz .LBB860_613
; %bb.612:
	v_and_b32_e32 v17, 7, v14
	v_ffbh_u32_e32 v20, v17
	v_min_u32_e32 v23, 32, v20
	v_subrev_u32_e32 v20, 28, v23
	v_lshlrev_b64 v[20:21], v20, v[14:15]
	v_lshrrev_b32_e32 v19, 3, v6
	v_sub_u32_e32 v21, 29, v23
	v_and_b32_e32 v20, 7, v20
	v_cmp_gt_u32_e32 vcc, 8, v6
	v_cndmask_b32_e32 v6, v19, v21, vcc
	v_cndmask_b32_e32 v17, v17, v20, vcc
	v_lshlrev_b32_e32 v14, 24, v14
	v_bfrev_b32_e32 v19, 60
	v_lshlrev_b32_e32 v17, 20, v17
	v_and_b32_e32 v14, 0x80000000, v14
	v_lshl_add_u32 v6, v6, 23, v19
	v_or3_b32 v6, v14, v6, v17
	v_lshrrev_b32_e32 v17, 16, v6
.LBB860_613:
	s_or_b64 exec, exec, s[10:11]
.LBB860_614:
	s_or_b64 exec, exec, s[8:9]
.LBB860_615:
	s_or_b64 exec, exec, s[2:3]
	v_mov_b32_e32 v14, 0
	v_cmp_ne_u16_sdwa s[8:9], v7, v14 src0_sel:BYTE_0 src1_sel:DWORD
	v_mov_b32_e32 v19, 0
	s_and_saveexec_b64 s[2:3], s[8:9]
	s_cbranch_execz .LBB860_621
; %bb.616:
	s_movk_i32 s7, 0x80
	v_cmp_ne_u16_sdwa s[10:11], v7, s7 src0_sel:BYTE_0 src1_sel:DWORD
	v_mov_b32_e32 v19, 0xffff8000
	s_and_saveexec_b64 s[8:9], s[10:11]
	s_cbranch_execz .LBB860_620
; %bb.617:
	s_movk_i32 s7, 0x7f
	v_and_b32_e32 v6, 0x7f, v7
	v_cmp_ne_u32_e32 vcc, s7, v6
	v_mov_b32_e32 v19, 0x7f80
	s_and_saveexec_b64 s[10:11], vcc
	s_cbranch_execz .LBB860_619
; %bb.618:
	v_and_b32_e32 v19, 7, v7
	v_ffbh_u32_e32 v21, v19
	v_min_u32_e32 v24, 32, v21
	v_mov_b32_e32 v20, v7
	v_subrev_u32_e32 v21, 28, v24
	v_lshlrev_b64 v[20:21], v21, v[20:21]
	v_lshrrev_b32_e32 v23, 3, v6
	v_sub_u32_e32 v21, 29, v24
	v_and_b32_e32 v20, 7, v20
	v_cmp_gt_u32_e32 vcc, 8, v6
	v_cndmask_b32_e32 v6, v23, v21, vcc
	v_cndmask_b32_e32 v19, v19, v20, vcc
	v_lshlrev_b32_e32 v20, 24, v7
	v_bfrev_b32_e32 v21, 60
	v_lshlrev_b32_e32 v19, 20, v19
	v_and_b32_e32 v20, 0x80000000, v20
	v_lshl_add_u32 v6, v6, 23, v21
	v_or3_b32 v6, v20, v6, v19
	v_lshrrev_b32_e32 v19, 16, v6
.LBB860_619:
	s_or_b64 exec, exec, s[10:11]
.LBB860_620:
	s_or_b64 exec, exec, s[8:9]
.LBB860_621:
	s_or_b64 exec, exec, s[2:3]
	v_lshrrev_b16_e32 v6, 8, v7
	v_cmp_ne_u16_e32 vcc, 0, v6
	s_and_saveexec_b64 s[2:3], vcc
	s_cbranch_execz .LBB860_627
; %bb.622:
	s_movk_i32 s7, 0x80
	v_cmp_ne_u16_e32 vcc, s7, v6
	v_mov_b32_e32 v14, 0xffff8000
	s_and_saveexec_b64 s[8:9], vcc
	s_cbranch_execz .LBB860_626
; %bb.623:
	s_movk_i32 s7, 0x7f
	v_and_b32_e32 v20, 0x7f, v6
	v_cmp_ne_u32_e32 vcc, s7, v20
	v_mov_b32_e32 v14, 0x7f80
	s_and_saveexec_b64 s[10:11], vcc
	s_cbranch_execz .LBB860_625
; %bb.624:
	v_and_b32_e32 v14, 7, v6
	v_ffbh_u32_e32 v23, v14
	v_min_u32_e32 v23, 32, v23
	v_subrev_u32_e32 v24, 28, v23
	v_lshlrev_b64 v[24:25], v24, v[6:7]
	v_lshrrev_b32_e32 v21, 3, v20
	v_sub_u32_e32 v6, 29, v23
	v_and_b32_e32 v23, 7, v24
	v_cmp_gt_u32_e32 vcc, 8, v20
	v_cndmask_b32_e32 v6, v21, v6, vcc
	v_cndmask_b32_e32 v14, v14, v23, vcc
	v_lshlrev_b32_e32 v20, 16, v7
	v_bfrev_b32_e32 v21, 60
	v_lshlrev_b32_e32 v14, 20, v14
	v_and_b32_e32 v20, 0x80000000, v20
	v_lshl_add_u32 v6, v6, 23, v21
	v_or3_b32 v6, v20, v6, v14
	v_lshrrev_b32_e32 v14, 16, v6
.LBB860_625:
	s_or_b64 exec, exec, s[10:11]
.LBB860_626:
	s_or_b64 exec, exec, s[8:9]
.LBB860_627:
	s_or_b64 exec, exec, s[2:3]
	s_movk_i32 s2, 0xff
	v_and_b32_sdwa v23, v7, s2 dst_sel:DWORD dst_unused:UNUSED_PAD src0_sel:WORD_1 src1_sel:DWORD
	v_lshrrev_b32_e32 v6, 16, v7
	v_cmp_ne_u16_e32 vcc, 0, v23
	v_mov_b32_e32 v20, 0
	v_mov_b32_e32 v21, 0
	s_and_saveexec_b64 s[2:3], vcc
	s_cbranch_execz .LBB860_633
; %bb.628:
	s_movk_i32 s7, 0x80
	v_cmp_ne_u16_e32 vcc, s7, v23
	v_mov_b32_e32 v21, 0xffff8000
	s_and_saveexec_b64 s[8:9], vcc
	s_cbranch_execz .LBB860_632
; %bb.629:
	v_bfe_u32 v23, v7, 16, 7
	s_movk_i32 s7, 0x7f
	v_cmp_ne_u32_e32 vcc, s7, v23
	v_mov_b32_e32 v21, 0x7f80
	s_and_saveexec_b64 s[10:11], vcc
	s_cbranch_execz .LBB860_631
; %bb.630:
	v_and_b32_e32 v21, 7, v6
	v_ffbh_u32_e32 v24, v21
	v_min_u32_e32 v27, 32, v24
	v_subrev_u32_e32 v24, 28, v27
	v_lshlrev_b64 v[24:25], v24, v[6:7]
	v_lshrrev_b32_e32 v26, 3, v23
	v_sub_u32_e32 v6, 29, v27
	v_and_b32_e32 v24, 7, v24
	v_cmp_gt_u32_e32 vcc, 8, v23
	v_mov_b32_e32 v23, 24
	v_cndmask_b32_e32 v6, v26, v6, vcc
	v_cndmask_b32_e32 v21, v21, v24, vcc
	v_lshlrev_b32_sdwa v23, v23, v7 dst_sel:DWORD dst_unused:UNUSED_PAD src0_sel:DWORD src1_sel:WORD_1
	v_bfrev_b32_e32 v24, 60
	v_lshlrev_b32_e32 v21, 20, v21
	v_and_b32_e32 v23, 0x80000000, v23
	v_lshl_add_u32 v6, v6, 23, v24
	v_or3_b32 v6, v23, v6, v21
	v_lshrrev_b32_e32 v21, 16, v6
.LBB860_631:
	s_or_b64 exec, exec, s[10:11]
.LBB860_632:
	s_or_b64 exec, exec, s[8:9]
.LBB860_633:
	s_or_b64 exec, exec, s[2:3]
	s_mov_b32 s2, 0xffffff
	v_cmp_lt_u32_e32 vcc, s2, v7
	s_and_saveexec_b64 s[2:3], vcc
	s_cbranch_execz .LBB860_639
; %bb.634:
	v_lshrrev_b32_e32 v6, 24, v7
	s_movk_i32 s7, 0x80
	v_cmp_ne_u32_e32 vcc, s7, v6
	v_mov_b32_e32 v20, 0xffff8000
	s_and_saveexec_b64 s[8:9], vcc
	s_cbranch_execz .LBB860_638
; %bb.635:
	v_bfe_u32 v7, v7, 24, 7
	s_movk_i32 s7, 0x7f
	v_cmp_ne_u32_e32 vcc, s7, v7
	v_mov_b32_e32 v20, 0x7f80
	s_and_saveexec_b64 s[10:11], vcc
	s_cbranch_execz .LBB860_637
; %bb.636:
	v_and_b32_e32 v20, 7, v6
	v_ffbh_u32_e32 v24, v20
	v_min_u32_e32 v26, 32, v24
	v_subrev_u32_e32 v24, 28, v26
	v_lshlrev_b64 v[24:25], v24, v[6:7]
	v_lshrrev_b32_e32 v23, 3, v7
	v_sub_u32_e32 v25, 29, v26
	v_and_b32_e32 v24, 7, v24
	v_cmp_gt_u32_e32 vcc, 8, v7
	v_cndmask_b32_e32 v7, v23, v25, vcc
	v_cndmask_b32_e32 v20, v20, v24, vcc
	v_lshlrev_b32_e32 v6, 24, v6
	v_bfrev_b32_e32 v23, 60
	v_lshlrev_b32_e32 v20, 20, v20
	v_and_b32_e32 v6, 0x80000000, v6
	v_lshl_add_u32 v7, v7, 23, v23
	v_or3_b32 v6, v6, v7, v20
	v_lshrrev_b32_e32 v20, 16, v6
.LBB860_637:
	s_or_b64 exec, exec, s[10:11]
.LBB860_638:
	s_or_b64 exec, exec, s[8:9]
.LBB860_639:
	s_or_b64 exec, exec, s[2:3]
	s_mov_b32 s2, 0x5040100
	v_perm_b32 v7, v17, v18, s2
	v_perm_b32 v6, v15, v16, s2
	ds_read_b128 v[24:27], v22 offset:4096
	v_perm_b32 v17, v20, v21, s2
	v_perm_b32 v16, v14, v19, s2
	s_waitcnt lgkmcnt(0)
	v_mfma_f32_16x16x16bf16_1k v[10:13], v[6:7], v[24:25], v[10:13]
	v_mov_b32_e32 v7, 0
	v_cmp_ne_u16_sdwa s[8:9], v8, v7 src0_sel:BYTE_0 src1_sel:DWORD
	v_mov_b32_e32 v14, 0
	v_mfma_f32_16x16x16bf16_1k v[10:13], v[16:17], v[26:27], v[10:13]
	s_and_saveexec_b64 s[2:3], s[8:9]
	s_cbranch_execz .LBB860_645
; %bb.640:
	s_movk_i32 s7, 0x80
	v_cmp_ne_u16_sdwa s[10:11], v8, s7 src0_sel:BYTE_0 src1_sel:DWORD
	v_mov_b32_e32 v14, 0xffff8000
	s_and_saveexec_b64 s[8:9], s[10:11]
	s_cbranch_execz .LBB860_644
; %bb.641:
	s_movk_i32 s7, 0x7f
	v_and_b32_e32 v6, 0x7f, v8
	v_cmp_ne_u32_e32 vcc, s7, v6
	v_mov_b32_e32 v14, 0x7f80
	s_and_saveexec_b64 s[10:11], vcc
	s_cbranch_execz .LBB860_643
; %bb.642:
	v_and_b32_e32 v16, 7, v8
	v_ffbh_u32_e32 v14, v16
	v_min_u32_e32 v18, 32, v14
	v_subrev_u32_e32 v14, 28, v18
	v_lshlrev_b64 v[14:15], v14, v[8:9]
	v_lshrrev_b32_e32 v17, 3, v6
	v_sub_u32_e32 v15, 29, v18
	v_and_b32_e32 v14, 7, v14
	v_cmp_gt_u32_e32 vcc, 8, v6
	v_cndmask_b32_e32 v6, v17, v15, vcc
	v_cndmask_b32_e32 v14, v16, v14, vcc
	v_lshlrev_b32_e32 v15, 24, v8
	v_bfrev_b32_e32 v16, 60
	v_lshlrev_b32_e32 v14, 20, v14
	v_and_b32_e32 v15, 0x80000000, v15
	v_lshl_add_u32 v6, v6, 23, v16
	v_or3_b32 v6, v15, v6, v14
	v_lshrrev_b32_e32 v14, 16, v6
.LBB860_643:
	s_or_b64 exec, exec, s[10:11]
.LBB860_644:
	s_or_b64 exec, exec, s[8:9]
.LBB860_645:
	s_or_b64 exec, exec, s[2:3]
	v_lshrrev_b16_e32 v6, 8, v8
	v_cmp_ne_u16_e32 vcc, 0, v6
	s_and_saveexec_b64 s[2:3], vcc
	s_cbranch_execz .LBB860_651
; %bb.646:
	s_movk_i32 s7, 0x80
	v_cmp_ne_u16_e32 vcc, s7, v6
	v_mov_b32_e32 v7, 0xffff8000
	s_and_saveexec_b64 s[8:9], vcc
	s_cbranch_execz .LBB860_650
; %bb.647:
	s_movk_i32 s7, 0x7f
	v_and_b32_e32 v15, 0x7f, v6
	v_cmp_ne_u32_e32 vcc, s7, v15
	v_mov_b32_e32 v7, 0x7f80
	s_and_saveexec_b64 s[10:11], vcc
	s_cbranch_execz .LBB860_649
; %bb.648:
	v_and_b32_e32 v16, 7, v6
	v_ffbh_u32_e32 v7, v16
	v_min_u32_e32 v18, 32, v7
	v_subrev_u32_e32 v7, 28, v18
	v_lshlrev_b64 v[6:7], v7, v[6:7]
	v_lshrrev_b32_e32 v17, 3, v15
	v_sub_u32_e32 v7, 29, v18
	v_and_b32_e32 v6, 7, v6
	v_cmp_gt_u32_e32 vcc, 8, v15
	v_cndmask_b32_e32 v7, v17, v7, vcc
	v_cndmask_b32_e32 v6, v16, v6, vcc
	v_lshlrev_b32_e32 v15, 16, v8
	v_bfrev_b32_e32 v16, 60
	v_lshlrev_b32_e32 v6, 20, v6
	v_and_b32_e32 v15, 0x80000000, v15
	v_lshl_add_u32 v7, v7, 23, v16
	v_or3_b32 v6, v15, v7, v6
	v_lshrrev_b32_e32 v7, 16, v6
.LBB860_649:
	s_or_b64 exec, exec, s[10:11]
.LBB860_650:
	s_or_b64 exec, exec, s[8:9]
.LBB860_651:
	s_or_b64 exec, exec, s[2:3]
	s_movk_i32 s2, 0xff
	v_and_b32_sdwa v17, v8, s2 dst_sel:DWORD dst_unused:UNUSED_PAD src0_sel:WORD_1 src1_sel:DWORD
	v_lshrrev_b32_e32 v6, 16, v8
	v_cmp_ne_u16_e32 vcc, 0, v17
	v_mov_b32_e32 v15, 0
	v_mov_b32_e32 v16, 0
	s_and_saveexec_b64 s[2:3], vcc
	s_cbranch_execz .LBB860_657
; %bb.652:
	s_movk_i32 s7, 0x80
	v_cmp_ne_u16_e32 vcc, s7, v17
	v_mov_b32_e32 v16, 0xffff8000
	s_and_saveexec_b64 s[8:9], vcc
	s_cbranch_execz .LBB860_656
; %bb.653:
	v_bfe_u32 v17, v8, 16, 7
	s_movk_i32 s7, 0x7f
	v_cmp_ne_u32_e32 vcc, s7, v17
	v_mov_b32_e32 v16, 0x7f80
	s_and_saveexec_b64 s[10:11], vcc
	s_cbranch_execz .LBB860_655
; %bb.654:
	v_and_b32_e32 v16, 7, v6
	v_ffbh_u32_e32 v18, v16
	v_min_u32_e32 v21, 32, v18
	v_subrev_u32_e32 v18, 28, v21
	v_lshlrev_b64 v[18:19], v18, v[6:7]
	v_lshrrev_b32_e32 v20, 3, v17
	v_sub_u32_e32 v6, 29, v21
	v_and_b32_e32 v18, 7, v18
	v_cmp_gt_u32_e32 vcc, 8, v17
	v_mov_b32_e32 v17, 24
	v_cndmask_b32_e32 v6, v20, v6, vcc
	v_cndmask_b32_e32 v16, v16, v18, vcc
	v_lshlrev_b32_sdwa v17, v17, v8 dst_sel:DWORD dst_unused:UNUSED_PAD src0_sel:DWORD src1_sel:WORD_1
	v_bfrev_b32_e32 v18, 60
	v_lshlrev_b32_e32 v16, 20, v16
	v_and_b32_e32 v17, 0x80000000, v17
	v_lshl_add_u32 v6, v6, 23, v18
	v_or3_b32 v6, v17, v6, v16
	v_lshrrev_b32_e32 v16, 16, v6
.LBB860_655:
	s_or_b64 exec, exec, s[10:11]
.LBB860_656:
	s_or_b64 exec, exec, s[8:9]
.LBB860_657:
	s_or_b64 exec, exec, s[2:3]
	s_mov_b32 s2, 0xffffff
	v_cmp_lt_u32_e32 vcc, s2, v8
	s_and_saveexec_b64 s[2:3], vcc
	s_cbranch_execz .LBB860_663
; %bb.658:
	v_lshrrev_b32_e32 v6, 24, v8
	s_movk_i32 s7, 0x80
	v_cmp_ne_u32_e32 vcc, s7, v6
	v_mov_b32_e32 v15, 0xffff8000
	s_and_saveexec_b64 s[8:9], vcc
	s_cbranch_execz .LBB860_662
; %bb.659:
	v_bfe_u32 v8, v8, 24, 7
	s_movk_i32 s7, 0x7f
	v_cmp_ne_u32_e32 vcc, s7, v8
	v_mov_b32_e32 v15, 0x7f80
	s_and_saveexec_b64 s[10:11], vcc
	s_cbranch_execz .LBB860_661
; %bb.660:
	v_and_b32_e32 v15, 7, v6
	v_ffbh_u32_e32 v18, v15
	v_min_u32_e32 v20, 32, v18
	v_subrev_u32_e32 v18, 28, v20
	v_lshlrev_b64 v[18:19], v18, v[6:7]
	v_lshrrev_b32_e32 v17, 3, v8
	v_sub_u32_e32 v19, 29, v20
	v_and_b32_e32 v18, 7, v18
	v_cmp_gt_u32_e32 vcc, 8, v8
	v_cndmask_b32_e32 v8, v17, v19, vcc
	v_cndmask_b32_e32 v15, v15, v18, vcc
	v_lshlrev_b32_e32 v6, 24, v6
	v_bfrev_b32_e32 v17, 60
	v_lshlrev_b32_e32 v15, 20, v15
	v_and_b32_e32 v6, 0x80000000, v6
	v_lshl_add_u32 v8, v8, 23, v17
	v_or3_b32 v6, v6, v8, v15
	v_lshrrev_b32_e32 v15, 16, v6
.LBB860_661:
	s_or_b64 exec, exec, s[10:11]
.LBB860_662:
	s_or_b64 exec, exec, s[8:9]
.LBB860_663:
	s_or_b64 exec, exec, s[2:3]
	v_mov_b32_e32 v8, 0
	v_cmp_ne_u16_sdwa s[8:9], v9, v8 src0_sel:BYTE_0 src1_sel:DWORD
	v_mov_b32_e32 v17, 0
	s_and_saveexec_b64 s[2:3], s[8:9]
	s_cbranch_execz .LBB860_669
; %bb.664:
	s_movk_i32 s7, 0x80
	v_cmp_ne_u16_sdwa s[10:11], v9, s7 src0_sel:BYTE_0 src1_sel:DWORD
	v_mov_b32_e32 v17, 0xffff8000
	s_and_saveexec_b64 s[8:9], s[10:11]
	s_cbranch_execz .LBB860_668
; %bb.665:
	s_movk_i32 s7, 0x7f
	v_and_b32_e32 v6, 0x7f, v9
	v_cmp_ne_u32_e32 vcc, s7, v6
	v_mov_b32_e32 v17, 0x7f80
	s_and_saveexec_b64 s[10:11], vcc
	s_cbranch_execz .LBB860_667
; %bb.666:
	v_and_b32_e32 v17, 7, v9
	v_ffbh_u32_e32 v19, v17
	v_min_u32_e32 v21, 32, v19
	v_mov_b32_e32 v18, v9
	v_subrev_u32_e32 v19, 28, v21
	v_lshlrev_b64 v[18:19], v19, v[18:19]
	v_lshrrev_b32_e32 v20, 3, v6
	v_sub_u32_e32 v19, 29, v21
	v_and_b32_e32 v18, 7, v18
	v_cmp_gt_u32_e32 vcc, 8, v6
	v_cndmask_b32_e32 v6, v20, v19, vcc
	v_cndmask_b32_e32 v17, v17, v18, vcc
	v_lshlrev_b32_e32 v18, 24, v9
	v_bfrev_b32_e32 v19, 60
	v_lshlrev_b32_e32 v17, 20, v17
	v_and_b32_e32 v18, 0x80000000, v18
	v_lshl_add_u32 v6, v6, 23, v19
	v_or3_b32 v6, v18, v6, v17
	v_lshrrev_b32_e32 v17, 16, v6
.LBB860_667:
	s_or_b64 exec, exec, s[10:11]
.LBB860_668:
	s_or_b64 exec, exec, s[8:9]
.LBB860_669:
	s_or_b64 exec, exec, s[2:3]
	v_lshrrev_b16_e32 v6, 8, v9
	v_cmp_ne_u16_e32 vcc, 0, v6
	s_and_saveexec_b64 s[2:3], vcc
	s_cbranch_execz .LBB860_675
; %bb.670:
	s_movk_i32 s7, 0x80
	v_cmp_ne_u16_e32 vcc, s7, v6
	v_mov_b32_e32 v8, 0xffff8000
	s_and_saveexec_b64 s[8:9], vcc
	s_cbranch_execz .LBB860_674
; %bb.671:
	s_movk_i32 s7, 0x7f
	v_and_b32_e32 v18, 0x7f, v6
	v_cmp_ne_u32_e32 vcc, s7, v18
	v_mov_b32_e32 v8, 0x7f80
	s_and_saveexec_b64 s[10:11], vcc
	s_cbranch_execz .LBB860_673
; %bb.672:
	v_and_b32_e32 v8, 7, v6
	v_ffbh_u32_e32 v20, v8
	v_min_u32_e32 v23, 32, v20
	v_subrev_u32_e32 v20, 28, v23
	v_lshlrev_b64 v[20:21], v20, v[6:7]
	v_lshrrev_b32_e32 v19, 3, v18
	v_sub_u32_e32 v6, 29, v23
	v_and_b32_e32 v20, 7, v20
	v_cmp_gt_u32_e32 vcc, 8, v18
	v_cndmask_b32_e32 v6, v19, v6, vcc
	v_cndmask_b32_e32 v8, v8, v20, vcc
	v_lshlrev_b32_e32 v18, 16, v9
	v_bfrev_b32_e32 v19, 60
	v_lshlrev_b32_e32 v8, 20, v8
	v_and_b32_e32 v18, 0x80000000, v18
	v_lshl_add_u32 v6, v6, 23, v19
	v_or3_b32 v6, v18, v6, v8
	v_lshrrev_b32_e32 v8, 16, v6
.LBB860_673:
	s_or_b64 exec, exec, s[10:11]
.LBB860_674:
	s_or_b64 exec, exec, s[8:9]
.LBB860_675:
	s_or_b64 exec, exec, s[2:3]
	s_movk_i32 s2, 0xff
	v_and_b32_sdwa v20, v9, s2 dst_sel:DWORD dst_unused:UNUSED_PAD src0_sel:WORD_1 src1_sel:DWORD
	v_lshrrev_b32_e32 v6, 16, v9
	v_cmp_ne_u16_e32 vcc, 0, v20
	v_mov_b32_e32 v18, 0
	v_mov_b32_e32 v19, 0
	s_and_saveexec_b64 s[2:3], vcc
	s_cbranch_execz .LBB860_681
; %bb.676:
	s_movk_i32 s7, 0x80
	v_cmp_ne_u16_e32 vcc, s7, v20
	v_mov_b32_e32 v19, 0xffff8000
	s_and_saveexec_b64 s[8:9], vcc
	s_cbranch_execz .LBB860_680
; %bb.677:
	v_bfe_u32 v20, v9, 16, 7
	s_movk_i32 s7, 0x7f
	v_cmp_ne_u32_e32 vcc, s7, v20
	v_mov_b32_e32 v19, 0x7f80
	s_and_saveexec_b64 s[10:11], vcc
	s_cbranch_execz .LBB860_679
; %bb.678:
	v_and_b32_e32 v19, 7, v6
	v_ffbh_u32_e32 v23, v19
	v_min_u32_e32 v23, 32, v23
	v_subrev_u32_e32 v24, 28, v23
	v_lshlrev_b64 v[24:25], v24, v[6:7]
	v_lshrrev_b32_e32 v21, 3, v20
	v_sub_u32_e32 v6, 29, v23
	v_and_b32_e32 v23, 7, v24
	v_cmp_gt_u32_e32 vcc, 8, v20
	v_mov_b32_e32 v20, 24
	v_cndmask_b32_e32 v6, v21, v6, vcc
	v_cndmask_b32_e32 v19, v19, v23, vcc
	v_lshlrev_b32_sdwa v20, v20, v9 dst_sel:DWORD dst_unused:UNUSED_PAD src0_sel:DWORD src1_sel:WORD_1
	v_bfrev_b32_e32 v21, 60
	v_lshlrev_b32_e32 v19, 20, v19
	v_and_b32_e32 v20, 0x80000000, v20
	v_lshl_add_u32 v6, v6, 23, v21
	v_or3_b32 v6, v20, v6, v19
	v_lshrrev_b32_e32 v19, 16, v6
.LBB860_679:
	s_or_b64 exec, exec, s[10:11]
.LBB860_680:
	s_or_b64 exec, exec, s[8:9]
.LBB860_681:
	s_or_b64 exec, exec, s[2:3]
	s_mov_b32 s2, 0xffffff
	v_cmp_lt_u32_e32 vcc, s2, v9
	s_and_saveexec_b64 s[2:3], vcc
	s_cbranch_execz .LBB860_687
; %bb.682:
	v_lshrrev_b32_e32 v6, 24, v9
	s_movk_i32 s7, 0x80
	v_cmp_ne_u32_e32 vcc, s7, v6
	v_mov_b32_e32 v18, 0xffff8000
	s_and_saveexec_b64 s[8:9], vcc
	s_cbranch_execz .LBB860_686
; %bb.683:
	v_bfe_u32 v9, v9, 24, 7
	s_movk_i32 s7, 0x7f
	v_cmp_ne_u32_e32 vcc, s7, v9
	v_mov_b32_e32 v18, 0x7f80
	s_and_saveexec_b64 s[10:11], vcc
	s_cbranch_execz .LBB860_685
; %bb.684:
	v_and_b32_e32 v18, 7, v6
	v_ffbh_u32_e32 v20, v18
	v_min_u32_e32 v24, 32, v20
	v_subrev_u32_e32 v20, 28, v24
	v_lshlrev_b64 v[20:21], v20, v[6:7]
	v_lshrrev_b32_e32 v23, 3, v9
	v_sub_u32_e32 v21, 29, v24
	v_and_b32_e32 v20, 7, v20
	v_cmp_gt_u32_e32 vcc, 8, v9
	v_cndmask_b32_e32 v9, v23, v21, vcc
	v_cndmask_b32_e32 v18, v18, v20, vcc
	v_lshlrev_b32_e32 v6, 24, v6
	v_bfrev_b32_e32 v20, 60
	v_lshlrev_b32_e32 v18, 20, v18
	v_and_b32_e32 v6, 0x80000000, v6
	v_lshl_add_u32 v9, v9, 23, v20
	v_or3_b32 v6, v6, v9, v18
	v_lshrrev_b32_e32 v18, 16, v6
.LBB860_685:
	s_or_b64 exec, exec, s[10:11]
.LBB860_686:
	s_or_b64 exec, exec, s[8:9]
.LBB860_687:
	s_or_b64 exec, exec, s[2:3]
	s_mov_b32 s2, 0x5040100
	v_perm_b32 v15, v15, v16, s2
	v_perm_b32 v14, v7, v14, s2
	ds_read_b128 v[24:27], v22 offset:4112
	v_perm_b32 v7, v18, v19, s2
	v_perm_b32 v6, v8, v17, s2
	s_waitcnt lgkmcnt(0)
	v_mfma_f32_16x16x16bf16_1k v[30:33], v[14:15], v[24:25], v[10:13]
	s_nop 6
	v_mov_b32_e32 v11, 0
	s_waitcnt vmcnt(0)
	v_cmp_ne_u16_sdwa s[8:9], v2, v11 src0_sel:BYTE_0 src1_sel:DWORD
	v_mfma_f32_16x16x16bf16_1k v[6:9], v[6:7], v[26:27], v[30:33]
	v_mov_b32_e32 v12, 0
	s_and_saveexec_b64 s[2:3], s[8:9]
	s_cbranch_execz .LBB860_693
; %bb.688:
	s_movk_i32 s7, 0x80
	v_cmp_ne_u16_sdwa s[10:11], v2, s7 src0_sel:BYTE_0 src1_sel:DWORD
	v_mov_b32_e32 v12, 0xffff8000
	s_and_saveexec_b64 s[8:9], s[10:11]
	s_cbranch_execz .LBB860_692
; %bb.689:
	s_movk_i32 s7, 0x7f
	v_and_b32_e32 v10, 0x7f, v2
	v_cmp_ne_u32_e32 vcc, s7, v10
	v_mov_b32_e32 v12, 0x7f80
	s_and_saveexec_b64 s[10:11], vcc
	s_cbranch_execz .LBB860_691
; %bb.690:
	v_and_b32_e32 v14, 7, v2
	v_ffbh_u32_e32 v12, v14
	v_min_u32_e32 v16, 32, v12
	v_subrev_u32_e32 v12, 28, v16
	v_lshlrev_b64 v[12:13], v12, v[2:3]
	v_lshrrev_b32_e32 v15, 3, v10
	v_sub_u32_e32 v13, 29, v16
	v_and_b32_e32 v12, 7, v12
	v_cmp_gt_u32_e32 vcc, 8, v10
	v_cndmask_b32_e32 v10, v15, v13, vcc
	v_cndmask_b32_e32 v12, v14, v12, vcc
	v_lshlrev_b32_e32 v13, 24, v2
	v_bfrev_b32_e32 v14, 60
	v_lshlrev_b32_e32 v12, 20, v12
	v_and_b32_e32 v13, 0x80000000, v13
	v_lshl_add_u32 v10, v10, 23, v14
	v_or3_b32 v10, v13, v10, v12
	v_lshrrev_b32_e32 v12, 16, v10
.LBB860_691:
	s_or_b64 exec, exec, s[10:11]
.LBB860_692:
	s_or_b64 exec, exec, s[8:9]
.LBB860_693:
	s_or_b64 exec, exec, s[2:3]
	v_lshrrev_b16_e32 v10, 8, v2
	v_cmp_ne_u16_e32 vcc, 0, v10
	s_and_saveexec_b64 s[2:3], vcc
	s_cbranch_execz .LBB860_699
; %bb.694:
	s_movk_i32 s7, 0x80
	v_cmp_ne_u16_e32 vcc, s7, v10
	v_mov_b32_e32 v11, 0xffff8000
	s_and_saveexec_b64 s[8:9], vcc
	s_cbranch_execz .LBB860_698
; %bb.695:
	s_movk_i32 s7, 0x7f
	v_and_b32_e32 v13, 0x7f, v10
	v_cmp_ne_u32_e32 vcc, s7, v13
	v_mov_b32_e32 v11, 0x7f80
	s_and_saveexec_b64 s[10:11], vcc
	s_cbranch_execz .LBB860_697
; %bb.696:
	v_and_b32_e32 v14, 7, v10
	v_ffbh_u32_e32 v11, v14
	v_min_u32_e32 v16, 32, v11
	v_subrev_u32_e32 v11, 28, v16
	v_lshlrev_b64 v[10:11], v11, v[10:11]
	v_lshrrev_b32_e32 v15, 3, v13
	v_sub_u32_e32 v11, 29, v16
	v_and_b32_e32 v10, 7, v10
	v_cmp_gt_u32_e32 vcc, 8, v13
	v_cndmask_b32_e32 v11, v15, v11, vcc
	v_cndmask_b32_e32 v10, v14, v10, vcc
	v_lshlrev_b32_e32 v13, 16, v2
	v_bfrev_b32_e32 v14, 60
	v_lshlrev_b32_e32 v10, 20, v10
	v_and_b32_e32 v13, 0x80000000, v13
	v_lshl_add_u32 v11, v11, 23, v14
	v_or3_b32 v10, v13, v11, v10
	v_lshrrev_b32_e32 v11, 16, v10
.LBB860_697:
	s_or_b64 exec, exec, s[10:11]
.LBB860_698:
	s_or_b64 exec, exec, s[8:9]
.LBB860_699:
	s_or_b64 exec, exec, s[2:3]
	s_movk_i32 s2, 0xff
	v_and_b32_sdwa v15, v2, s2 dst_sel:DWORD dst_unused:UNUSED_PAD src0_sel:WORD_1 src1_sel:DWORD
	v_lshrrev_b32_e32 v10, 16, v2
	v_cmp_ne_u16_e32 vcc, 0, v15
	v_mov_b32_e32 v13, 0
	v_mov_b32_e32 v14, 0
	s_and_saveexec_b64 s[2:3], vcc
	s_cbranch_execz .LBB860_705
; %bb.700:
	s_movk_i32 s7, 0x80
	v_cmp_ne_u16_e32 vcc, s7, v15
	v_mov_b32_e32 v14, 0xffff8000
	s_and_saveexec_b64 s[8:9], vcc
	s_cbranch_execz .LBB860_704
; %bb.701:
	v_bfe_u32 v15, v2, 16, 7
	s_movk_i32 s7, 0x7f
	v_cmp_ne_u32_e32 vcc, s7, v15
	v_mov_b32_e32 v14, 0x7f80
	s_and_saveexec_b64 s[10:11], vcc
	s_cbranch_execz .LBB860_703
; %bb.702:
	v_and_b32_e32 v14, 7, v10
	v_ffbh_u32_e32 v16, v14
	v_min_u32_e32 v19, 32, v16
	v_subrev_u32_e32 v16, 28, v19
	v_lshlrev_b64 v[16:17], v16, v[10:11]
	v_lshrrev_b32_e32 v18, 3, v15
	v_sub_u32_e32 v10, 29, v19
	v_and_b32_e32 v16, 7, v16
	v_cmp_gt_u32_e32 vcc, 8, v15
	v_mov_b32_e32 v15, 24
	v_cndmask_b32_e32 v10, v18, v10, vcc
	v_cndmask_b32_e32 v14, v14, v16, vcc
	v_lshlrev_b32_sdwa v15, v15, v2 dst_sel:DWORD dst_unused:UNUSED_PAD src0_sel:DWORD src1_sel:WORD_1
	v_bfrev_b32_e32 v16, 60
	v_lshlrev_b32_e32 v14, 20, v14
	v_and_b32_e32 v15, 0x80000000, v15
	v_lshl_add_u32 v10, v10, 23, v16
	v_or3_b32 v10, v15, v10, v14
	v_lshrrev_b32_e32 v14, 16, v10
.LBB860_703:
	s_or_b64 exec, exec, s[10:11]
.LBB860_704:
	s_or_b64 exec, exec, s[8:9]
.LBB860_705:
	s_or_b64 exec, exec, s[2:3]
	s_mov_b32 s2, 0xffffff
	v_cmp_lt_u32_e32 vcc, s2, v2
	s_and_saveexec_b64 s[2:3], vcc
	s_cbranch_execz .LBB860_711
; %bb.706:
	v_lshrrev_b32_e32 v10, 24, v2
	s_movk_i32 s7, 0x80
	v_cmp_ne_u32_e32 vcc, s7, v10
	v_mov_b32_e32 v13, 0xffff8000
	s_and_saveexec_b64 s[8:9], vcc
	s_cbranch_execz .LBB860_710
; %bb.707:
	v_bfe_u32 v2, v2, 24, 7
	s_movk_i32 s7, 0x7f
	v_cmp_ne_u32_e32 vcc, s7, v2
	v_mov_b32_e32 v13, 0x7f80
	s_and_saveexec_b64 s[10:11], vcc
	s_cbranch_execz .LBB860_709
; %bb.708:
	v_and_b32_e32 v13, 7, v10
	v_ffbh_u32_e32 v16, v13
	v_min_u32_e32 v18, 32, v16
	v_subrev_u32_e32 v16, 28, v18
	v_lshlrev_b64 v[16:17], v16, v[10:11]
	v_lshrrev_b32_e32 v15, 3, v2
	v_sub_u32_e32 v17, 29, v18
	v_and_b32_e32 v16, 7, v16
	v_cmp_gt_u32_e32 vcc, 8, v2
	v_cndmask_b32_e32 v2, v15, v17, vcc
	v_cndmask_b32_e32 v13, v13, v16, vcc
	v_lshlrev_b32_e32 v10, 24, v10
	v_bfrev_b32_e32 v15, 60
	v_lshlrev_b32_e32 v13, 20, v13
	v_and_b32_e32 v10, 0x80000000, v10
	v_lshl_add_u32 v2, v2, 23, v15
	v_or3_b32 v2, v10, v2, v13
	v_lshrrev_b32_e32 v13, 16, v2
.LBB860_709:
	s_or_b64 exec, exec, s[10:11]
.LBB860_710:
	s_or_b64 exec, exec, s[8:9]
.LBB860_711:
	s_or_b64 exec, exec, s[2:3]
	v_mov_b32_e32 v10, 0
	v_cmp_ne_u16_sdwa s[8:9], v3, v10 src0_sel:BYTE_0 src1_sel:DWORD
	v_mov_b32_e32 v15, 0
	s_and_saveexec_b64 s[2:3], s[8:9]
	s_cbranch_execz .LBB860_717
; %bb.712:
	s_movk_i32 s7, 0x80
	v_cmp_ne_u16_sdwa s[10:11], v3, s7 src0_sel:BYTE_0 src1_sel:DWORD
	v_mov_b32_e32 v15, 0xffff8000
	s_and_saveexec_b64 s[8:9], s[10:11]
	s_cbranch_execz .LBB860_716
; %bb.713:
	s_movk_i32 s7, 0x7f
	v_and_b32_e32 v2, 0x7f, v3
	v_cmp_ne_u32_e32 vcc, s7, v2
	v_mov_b32_e32 v15, 0x7f80
	s_and_saveexec_b64 s[10:11], vcc
	s_cbranch_execz .LBB860_715
; %bb.714:
	v_and_b32_e32 v15, 7, v3
	v_ffbh_u32_e32 v17, v15
	v_min_u32_e32 v19, 32, v17
	v_mov_b32_e32 v16, v3
	v_subrev_u32_e32 v17, 28, v19
	v_lshlrev_b64 v[16:17], v17, v[16:17]
	v_lshrrev_b32_e32 v18, 3, v2
	v_sub_u32_e32 v17, 29, v19
	v_and_b32_e32 v16, 7, v16
	v_cmp_gt_u32_e32 vcc, 8, v2
	v_cndmask_b32_e32 v2, v18, v17, vcc
	v_cndmask_b32_e32 v15, v15, v16, vcc
	v_lshlrev_b32_e32 v16, 24, v3
	v_bfrev_b32_e32 v17, 60
	v_lshlrev_b32_e32 v15, 20, v15
	v_and_b32_e32 v16, 0x80000000, v16
	v_lshl_add_u32 v2, v2, 23, v17
	v_or3_b32 v2, v16, v2, v15
	v_lshrrev_b32_e32 v15, 16, v2
.LBB860_715:
	s_or_b64 exec, exec, s[10:11]
.LBB860_716:
	s_or_b64 exec, exec, s[8:9]
.LBB860_717:
	s_or_b64 exec, exec, s[2:3]
	v_lshrrev_b16_e32 v2, 8, v3
	v_cmp_ne_u16_e32 vcc, 0, v2
	s_and_saveexec_b64 s[2:3], vcc
	s_cbranch_execz .LBB860_723
; %bb.718:
	s_movk_i32 s7, 0x80
	v_cmp_ne_u16_e32 vcc, s7, v2
	v_mov_b32_e32 v10, 0xffff8000
	s_and_saveexec_b64 s[8:9], vcc
	s_cbranch_execz .LBB860_722
; %bb.719:
	s_movk_i32 s7, 0x7f
	v_and_b32_e32 v16, 0x7f, v2
	v_cmp_ne_u32_e32 vcc, s7, v16
	v_mov_b32_e32 v10, 0x7f80
	s_and_saveexec_b64 s[10:11], vcc
	s_cbranch_execz .LBB860_721
; %bb.720:
	v_and_b32_e32 v10, 7, v2
	v_ffbh_u32_e32 v18, v10
	v_min_u32_e32 v20, 32, v18
	v_subrev_u32_e32 v18, 28, v20
	v_lshlrev_b64 v[18:19], v18, v[2:3]
	v_lshrrev_b32_e32 v17, 3, v16
	v_sub_u32_e32 v2, 29, v20
	v_and_b32_e32 v18, 7, v18
	v_cmp_gt_u32_e32 vcc, 8, v16
	v_cndmask_b32_e32 v2, v17, v2, vcc
	v_cndmask_b32_e32 v10, v10, v18, vcc
	v_lshlrev_b32_e32 v16, 16, v3
	v_bfrev_b32_e32 v17, 60
	v_lshlrev_b32_e32 v10, 20, v10
	v_and_b32_e32 v16, 0x80000000, v16
	v_lshl_add_u32 v2, v2, 23, v17
	v_or3_b32 v2, v16, v2, v10
	v_lshrrev_b32_e32 v10, 16, v2
.LBB860_721:
	s_or_b64 exec, exec, s[10:11]
.LBB860_722:
	s_or_b64 exec, exec, s[8:9]
.LBB860_723:
	s_or_b64 exec, exec, s[2:3]
	s_movk_i32 s2, 0xff
	v_and_b32_sdwa v18, v3, s2 dst_sel:DWORD dst_unused:UNUSED_PAD src0_sel:WORD_1 src1_sel:DWORD
	v_lshrrev_b32_e32 v2, 16, v3
	v_cmp_ne_u16_e32 vcc, 0, v18
	v_mov_b32_e32 v16, 0
	v_mov_b32_e32 v17, 0
	s_and_saveexec_b64 s[2:3], vcc
	s_cbranch_execz .LBB860_729
; %bb.724:
	s_movk_i32 s7, 0x80
	v_cmp_ne_u16_e32 vcc, s7, v18
	v_mov_b32_e32 v17, 0xffff8000
	s_and_saveexec_b64 s[8:9], vcc
	s_cbranch_execz .LBB860_728
; %bb.725:
	v_bfe_u32 v18, v3, 16, 7
	s_movk_i32 s7, 0x7f
	v_cmp_ne_u32_e32 vcc, s7, v18
	v_mov_b32_e32 v17, 0x7f80
	s_and_saveexec_b64 s[10:11], vcc
	s_cbranch_execz .LBB860_727
; %bb.726:
	v_and_b32_e32 v17, 7, v2
	v_ffbh_u32_e32 v20, v17
	v_min_u32_e32 v23, 32, v20
	v_subrev_u32_e32 v20, 28, v23
	v_lshlrev_b64 v[20:21], v20, v[2:3]
	v_lshrrev_b32_e32 v19, 3, v18
	v_sub_u32_e32 v2, 29, v23
	v_and_b32_e32 v20, 7, v20
	v_cmp_gt_u32_e32 vcc, 8, v18
	v_mov_b32_e32 v18, 24
	v_cndmask_b32_e32 v2, v19, v2, vcc
	v_cndmask_b32_e32 v17, v17, v20, vcc
	v_lshlrev_b32_sdwa v18, v18, v3 dst_sel:DWORD dst_unused:UNUSED_PAD src0_sel:DWORD src1_sel:WORD_1
	v_bfrev_b32_e32 v19, 60
	v_lshlrev_b32_e32 v17, 20, v17
	v_and_b32_e32 v18, 0x80000000, v18
	v_lshl_add_u32 v2, v2, 23, v19
	v_or3_b32 v2, v18, v2, v17
	v_lshrrev_b32_e32 v17, 16, v2
.LBB860_727:
	s_or_b64 exec, exec, s[10:11]
.LBB860_728:
	s_or_b64 exec, exec, s[8:9]
.LBB860_729:
	s_or_b64 exec, exec, s[2:3]
	s_mov_b32 s2, 0xffffff
	v_cmp_lt_u32_e32 vcc, s2, v3
	s_and_saveexec_b64 s[2:3], vcc
	s_cbranch_execz .LBB860_735
; %bb.730:
	v_lshrrev_b32_e32 v2, 24, v3
	s_movk_i32 s7, 0x80
	v_cmp_ne_u32_e32 vcc, s7, v2
	v_mov_b32_e32 v16, 0xffff8000
	s_and_saveexec_b64 s[8:9], vcc
	s_cbranch_execz .LBB860_734
; %bb.731:
	v_bfe_u32 v3, v3, 24, 7
	s_movk_i32 s7, 0x7f
	v_cmp_ne_u32_e32 vcc, s7, v3
	v_mov_b32_e32 v16, 0x7f80
	s_and_saveexec_b64 s[10:11], vcc
	s_cbranch_execz .LBB860_733
; %bb.732:
	v_and_b32_e32 v16, 7, v2
	v_ffbh_u32_e32 v18, v16
	v_min_u32_e32 v21, 32, v18
	v_subrev_u32_e32 v18, 28, v21
	v_lshlrev_b64 v[18:19], v18, v[2:3]
	v_lshrrev_b32_e32 v20, 3, v3
	v_sub_u32_e32 v19, 29, v21
	v_and_b32_e32 v18, 7, v18
	v_cmp_gt_u32_e32 vcc, 8, v3
	v_cndmask_b32_e32 v3, v20, v19, vcc
	v_cndmask_b32_e32 v16, v16, v18, vcc
	v_lshlrev_b32_e32 v2, 24, v2
	v_bfrev_b32_e32 v18, 60
	v_lshlrev_b32_e32 v16, 20, v16
	v_and_b32_e32 v2, 0x80000000, v2
	v_lshl_add_u32 v3, v3, 23, v18
	v_or3_b32 v2, v2, v3, v16
	v_lshrrev_b32_e32 v16, 16, v2
.LBB860_733:
	s_or_b64 exec, exec, s[10:11]
.LBB860_734:
	s_or_b64 exec, exec, s[8:9]
.LBB860_735:
	s_or_b64 exec, exec, s[2:3]
	s_mov_b32 s2, 0x5040100
	v_perm_b32 v3, v13, v14, s2
	v_perm_b32 v2, v11, v12, s2
	ds_read_b128 v[18:21], v22 offset:6144
	v_perm_b32 v13, v16, v17, s2
	v_perm_b32 v12, v10, v15, s2
	s_waitcnt lgkmcnt(0)
	v_mfma_f32_16x16x16bf16_1k v[6:9], v[2:3], v[18:19], v[6:9]
	v_mov_b32_e32 v3, 0
	v_cmp_ne_u16_sdwa s[8:9], v4, v3 src0_sel:BYTE_0 src1_sel:DWORD
	v_mov_b32_e32 v10, 0
	v_mfma_f32_16x16x16bf16_1k v[6:9], v[12:13], v[20:21], v[6:9]
	s_and_saveexec_b64 s[2:3], s[8:9]
	s_cbranch_execz .LBB860_741
; %bb.736:
	s_movk_i32 s7, 0x80
	v_cmp_ne_u16_sdwa s[10:11], v4, s7 src0_sel:BYTE_0 src1_sel:DWORD
	v_mov_b32_e32 v10, 0xffff8000
	s_and_saveexec_b64 s[8:9], s[10:11]
	s_cbranch_execz .LBB860_740
; %bb.737:
	s_movk_i32 s7, 0x7f
	v_and_b32_e32 v2, 0x7f, v4
	v_cmp_ne_u32_e32 vcc, s7, v2
	v_mov_b32_e32 v10, 0x7f80
	s_and_saveexec_b64 s[10:11], vcc
	s_cbranch_execz .LBB860_739
; %bb.738:
	v_and_b32_e32 v12, 7, v4
	v_ffbh_u32_e32 v10, v12
	v_min_u32_e32 v14, 32, v10
	v_subrev_u32_e32 v10, 28, v14
	v_lshlrev_b64 v[10:11], v10, v[4:5]
	v_lshrrev_b32_e32 v13, 3, v2
	v_sub_u32_e32 v11, 29, v14
	v_and_b32_e32 v10, 7, v10
	v_cmp_gt_u32_e32 vcc, 8, v2
	v_cndmask_b32_e32 v2, v13, v11, vcc
	v_cndmask_b32_e32 v10, v12, v10, vcc
	v_lshlrev_b32_e32 v11, 24, v4
	v_bfrev_b32_e32 v12, 60
	v_lshlrev_b32_e32 v10, 20, v10
	v_and_b32_e32 v11, 0x80000000, v11
	v_lshl_add_u32 v2, v2, 23, v12
	v_or3_b32 v2, v11, v2, v10
	v_lshrrev_b32_e32 v10, 16, v2
.LBB860_739:
	s_or_b64 exec, exec, s[10:11]
.LBB860_740:
	s_or_b64 exec, exec, s[8:9]
.LBB860_741:
	s_or_b64 exec, exec, s[2:3]
	v_lshrrev_b16_e32 v2, 8, v4
	v_cmp_ne_u16_e32 vcc, 0, v2
	s_and_saveexec_b64 s[2:3], vcc
	s_cbranch_execz .LBB860_747
; %bb.742:
	s_movk_i32 s7, 0x80
	v_cmp_ne_u16_e32 vcc, s7, v2
	v_mov_b32_e32 v3, 0xffff8000
	s_and_saveexec_b64 s[8:9], vcc
	s_cbranch_execz .LBB860_746
; %bb.743:
	s_movk_i32 s7, 0x7f
	v_and_b32_e32 v11, 0x7f, v2
	v_cmp_ne_u32_e32 vcc, s7, v11
	v_mov_b32_e32 v3, 0x7f80
	s_and_saveexec_b64 s[10:11], vcc
	s_cbranch_execz .LBB860_745
; %bb.744:
	v_and_b32_e32 v12, 7, v2
	v_ffbh_u32_e32 v3, v12
	v_min_u32_e32 v14, 32, v3
	v_subrev_u32_e32 v3, 28, v14
	v_lshlrev_b64 v[2:3], v3, v[2:3]
	v_lshrrev_b32_e32 v13, 3, v11
	v_sub_u32_e32 v3, 29, v14
	v_and_b32_e32 v2, 7, v2
	v_cmp_gt_u32_e32 vcc, 8, v11
	v_cndmask_b32_e32 v3, v13, v3, vcc
	v_cndmask_b32_e32 v2, v12, v2, vcc
	v_lshlrev_b32_e32 v11, 16, v4
	v_bfrev_b32_e32 v12, 60
	v_lshlrev_b32_e32 v2, 20, v2
	v_and_b32_e32 v11, 0x80000000, v11
	v_lshl_add_u32 v3, v3, 23, v12
	v_or3_b32 v2, v11, v3, v2
	v_lshrrev_b32_e32 v3, 16, v2
.LBB860_745:
	s_or_b64 exec, exec, s[10:11]
.LBB860_746:
	s_or_b64 exec, exec, s[8:9]
.LBB860_747:
	s_or_b64 exec, exec, s[2:3]
	s_movk_i32 s2, 0xff
	v_and_b32_sdwa v13, v4, s2 dst_sel:DWORD dst_unused:UNUSED_PAD src0_sel:WORD_1 src1_sel:DWORD
	v_lshrrev_b32_e32 v2, 16, v4
	v_cmp_ne_u16_e32 vcc, 0, v13
	v_mov_b32_e32 v11, 0
	v_mov_b32_e32 v12, 0
	s_and_saveexec_b64 s[2:3], vcc
	s_cbranch_execz .LBB860_753
; %bb.748:
	s_movk_i32 s7, 0x80
	v_cmp_ne_u16_e32 vcc, s7, v13
	v_mov_b32_e32 v12, 0xffff8000
	s_and_saveexec_b64 s[8:9], vcc
	s_cbranch_execz .LBB860_752
; %bb.749:
	v_bfe_u32 v13, v4, 16, 7
	s_movk_i32 s7, 0x7f
	v_cmp_ne_u32_e32 vcc, s7, v13
	v_mov_b32_e32 v12, 0x7f80
	s_and_saveexec_b64 s[10:11], vcc
	s_cbranch_execz .LBB860_751
; %bb.750:
	v_and_b32_e32 v12, 7, v2
	v_ffbh_u32_e32 v14, v12
	v_min_u32_e32 v17, 32, v14
	v_subrev_u32_e32 v14, 28, v17
	v_lshlrev_b64 v[14:15], v14, v[2:3]
	v_lshrrev_b32_e32 v16, 3, v13
	v_sub_u32_e32 v2, 29, v17
	v_and_b32_e32 v14, 7, v14
	v_cmp_gt_u32_e32 vcc, 8, v13
	v_mov_b32_e32 v13, 24
	v_cndmask_b32_e32 v2, v16, v2, vcc
	v_cndmask_b32_e32 v12, v12, v14, vcc
	v_lshlrev_b32_sdwa v13, v13, v4 dst_sel:DWORD dst_unused:UNUSED_PAD src0_sel:DWORD src1_sel:WORD_1
	v_bfrev_b32_e32 v14, 60
	v_lshlrev_b32_e32 v12, 20, v12
	v_and_b32_e32 v13, 0x80000000, v13
	v_lshl_add_u32 v2, v2, 23, v14
	v_or3_b32 v2, v13, v2, v12
	v_lshrrev_b32_e32 v12, 16, v2
.LBB860_751:
	s_or_b64 exec, exec, s[10:11]
.LBB860_752:
	s_or_b64 exec, exec, s[8:9]
.LBB860_753:
	s_or_b64 exec, exec, s[2:3]
	s_mov_b32 s2, 0xffffff
	v_cmp_lt_u32_e32 vcc, s2, v4
	s_and_saveexec_b64 s[2:3], vcc
	s_cbranch_execz .LBB860_759
; %bb.754:
	v_lshrrev_b32_e32 v2, 24, v4
	s_movk_i32 s7, 0x80
	v_cmp_ne_u32_e32 vcc, s7, v2
	v_mov_b32_e32 v11, 0xffff8000
	s_and_saveexec_b64 s[8:9], vcc
	s_cbranch_execz .LBB860_758
; %bb.755:
	v_bfe_u32 v4, v4, 24, 7
	s_movk_i32 s7, 0x7f
	v_cmp_ne_u32_e32 vcc, s7, v4
	v_mov_b32_e32 v11, 0x7f80
	s_and_saveexec_b64 s[10:11], vcc
	s_cbranch_execz .LBB860_757
; %bb.756:
	v_and_b32_e32 v11, 7, v2
	v_ffbh_u32_e32 v14, v11
	v_min_u32_e32 v16, 32, v14
	v_subrev_u32_e32 v14, 28, v16
	v_lshlrev_b64 v[14:15], v14, v[2:3]
	v_lshrrev_b32_e32 v13, 3, v4
	v_sub_u32_e32 v15, 29, v16
	v_and_b32_e32 v14, 7, v14
	v_cmp_gt_u32_e32 vcc, 8, v4
	v_cndmask_b32_e32 v4, v13, v15, vcc
	v_cndmask_b32_e32 v11, v11, v14, vcc
	v_lshlrev_b32_e32 v2, 24, v2
	v_bfrev_b32_e32 v13, 60
	v_lshlrev_b32_e32 v11, 20, v11
	v_and_b32_e32 v2, 0x80000000, v2
	v_lshl_add_u32 v4, v4, 23, v13
	v_or3_b32 v2, v2, v4, v11
	v_lshrrev_b32_e32 v11, 16, v2
.LBB860_757:
	s_or_b64 exec, exec, s[10:11]
.LBB860_758:
	s_or_b64 exec, exec, s[8:9]
.LBB860_759:
	s_or_b64 exec, exec, s[2:3]
	v_mov_b32_e32 v4, 0
	v_cmp_ne_u16_sdwa s[8:9], v5, v4 src0_sel:BYTE_0 src1_sel:DWORD
	v_mov_b32_e32 v13, 0
	s_and_saveexec_b64 s[2:3], s[8:9]
	s_cbranch_execz .LBB860_765
; %bb.760:
	s_movk_i32 s7, 0x80
	v_cmp_ne_u16_sdwa s[10:11], v5, s7 src0_sel:BYTE_0 src1_sel:DWORD
	v_mov_b32_e32 v13, 0xffff8000
	s_and_saveexec_b64 s[8:9], s[10:11]
	s_cbranch_execz .LBB860_764
; %bb.761:
	s_movk_i32 s7, 0x7f
	v_and_b32_e32 v2, 0x7f, v5
	v_cmp_ne_u32_e32 vcc, s7, v2
	v_mov_b32_e32 v13, 0x7f80
	s_and_saveexec_b64 s[10:11], vcc
	s_cbranch_execz .LBB860_763
; %bb.762:
	v_and_b32_e32 v13, 7, v5
	v_ffbh_u32_e32 v15, v13
	v_min_u32_e32 v17, 32, v15
	v_mov_b32_e32 v14, v5
	v_subrev_u32_e32 v15, 28, v17
	v_lshlrev_b64 v[14:15], v15, v[14:15]
	v_lshrrev_b32_e32 v16, 3, v2
	v_sub_u32_e32 v15, 29, v17
	v_and_b32_e32 v14, 7, v14
	v_cmp_gt_u32_e32 vcc, 8, v2
	v_cndmask_b32_e32 v2, v16, v15, vcc
	v_cndmask_b32_e32 v13, v13, v14, vcc
	v_lshlrev_b32_e32 v14, 24, v5
	v_bfrev_b32_e32 v15, 60
	v_lshlrev_b32_e32 v13, 20, v13
	v_and_b32_e32 v14, 0x80000000, v14
	v_lshl_add_u32 v2, v2, 23, v15
	v_or3_b32 v2, v14, v2, v13
	v_lshrrev_b32_e32 v13, 16, v2
.LBB860_763:
	s_or_b64 exec, exec, s[10:11]
.LBB860_764:
	s_or_b64 exec, exec, s[8:9]
.LBB860_765:
	s_or_b64 exec, exec, s[2:3]
	v_lshrrev_b16_e32 v2, 8, v5
	v_cmp_ne_u16_e32 vcc, 0, v2
	s_and_saveexec_b64 s[2:3], vcc
	s_cbranch_execz .LBB860_771
; %bb.766:
	s_movk_i32 s7, 0x80
	v_cmp_ne_u16_e32 vcc, s7, v2
	v_mov_b32_e32 v4, 0xffff8000
	s_and_saveexec_b64 s[8:9], vcc
	s_cbranch_execz .LBB860_770
; %bb.767:
	s_movk_i32 s7, 0x7f
	v_and_b32_e32 v14, 0x7f, v2
	v_cmp_ne_u32_e32 vcc, s7, v14
	v_mov_b32_e32 v4, 0x7f80
	s_and_saveexec_b64 s[10:11], vcc
	s_cbranch_execz .LBB860_769
; %bb.768:
	v_and_b32_e32 v4, 7, v2
	v_ffbh_u32_e32 v16, v4
	v_min_u32_e32 v18, 32, v16
	v_subrev_u32_e32 v16, 28, v18
	v_lshlrev_b64 v[16:17], v16, v[2:3]
	v_lshrrev_b32_e32 v15, 3, v14
	v_sub_u32_e32 v2, 29, v18
	v_and_b32_e32 v16, 7, v16
	v_cmp_gt_u32_e32 vcc, 8, v14
	v_cndmask_b32_e32 v2, v15, v2, vcc
	v_cndmask_b32_e32 v4, v4, v16, vcc
	v_lshlrev_b32_e32 v14, 16, v5
	v_bfrev_b32_e32 v15, 60
	v_lshlrev_b32_e32 v4, 20, v4
	v_and_b32_e32 v14, 0x80000000, v14
	v_lshl_add_u32 v2, v2, 23, v15
	v_or3_b32 v2, v14, v2, v4
	v_lshrrev_b32_e32 v4, 16, v2
.LBB860_769:
	s_or_b64 exec, exec, s[10:11]
.LBB860_770:
	s_or_b64 exec, exec, s[8:9]
.LBB860_771:
	s_or_b64 exec, exec, s[2:3]
	s_movk_i32 s2, 0xff
	v_and_b32_sdwa v16, v5, s2 dst_sel:DWORD dst_unused:UNUSED_PAD src0_sel:WORD_1 src1_sel:DWORD
	v_lshrrev_b32_e32 v2, 16, v5
	v_cmp_ne_u16_e32 vcc, 0, v16
	v_mov_b32_e32 v14, 0
	v_mov_b32_e32 v15, 0
	s_and_saveexec_b64 s[2:3], vcc
	s_cbranch_execz .LBB860_777
; %bb.772:
	s_movk_i32 s7, 0x80
	v_cmp_ne_u16_e32 vcc, s7, v16
	v_mov_b32_e32 v15, 0xffff8000
	s_and_saveexec_b64 s[8:9], vcc
	s_cbranch_execz .LBB860_776
; %bb.773:
	v_bfe_u32 v16, v5, 16, 7
	s_movk_i32 s7, 0x7f
	v_cmp_ne_u32_e32 vcc, s7, v16
	v_mov_b32_e32 v15, 0x7f80
	s_and_saveexec_b64 s[10:11], vcc
	s_cbranch_execz .LBB860_775
; %bb.774:
	v_and_b32_e32 v15, 7, v2
	v_ffbh_u32_e32 v18, v15
	v_min_u32_e32 v20, 32, v18
	v_subrev_u32_e32 v18, 28, v20
	v_lshlrev_b64 v[18:19], v18, v[2:3]
	v_lshrrev_b32_e32 v17, 3, v16
	v_sub_u32_e32 v2, 29, v20
	v_and_b32_e32 v18, 7, v18
	v_cmp_gt_u32_e32 vcc, 8, v16
	v_mov_b32_e32 v16, 24
	v_cndmask_b32_e32 v2, v17, v2, vcc
	v_cndmask_b32_e32 v15, v15, v18, vcc
	v_lshlrev_b32_sdwa v16, v16, v5 dst_sel:DWORD dst_unused:UNUSED_PAD src0_sel:DWORD src1_sel:WORD_1
	v_bfrev_b32_e32 v17, 60
	v_lshlrev_b32_e32 v15, 20, v15
	v_and_b32_e32 v16, 0x80000000, v16
	v_lshl_add_u32 v2, v2, 23, v17
	v_or3_b32 v2, v16, v2, v15
	v_lshrrev_b32_e32 v15, 16, v2
.LBB860_775:
	s_or_b64 exec, exec, s[10:11]
.LBB860_776:
	s_or_b64 exec, exec, s[8:9]
.LBB860_777:
	s_or_b64 exec, exec, s[2:3]
	s_mov_b32 s2, 0xffffff
	v_cmp_lt_u32_e32 vcc, s2, v5
	s_and_saveexec_b64 s[2:3], vcc
	s_cbranch_execz .LBB860_783
; %bb.778:
	v_lshrrev_b32_e32 v2, 24, v5
	s_movk_i32 s7, 0x80
	v_cmp_ne_u32_e32 vcc, s7, v2
	v_mov_b32_e32 v14, 0xffff8000
	s_and_saveexec_b64 s[8:9], vcc
	s_cbranch_execz .LBB860_782
; %bb.779:
	v_bfe_u32 v5, v5, 24, 7
	s_movk_i32 s7, 0x7f
	v_cmp_ne_u32_e32 vcc, s7, v5
	v_mov_b32_e32 v14, 0x7f80
	s_and_saveexec_b64 s[10:11], vcc
	s_cbranch_execz .LBB860_781
; %bb.780:
	v_and_b32_e32 v14, 7, v2
	v_ffbh_u32_e32 v16, v14
	v_min_u32_e32 v19, 32, v16
	v_subrev_u32_e32 v16, 28, v19
	v_lshlrev_b64 v[16:17], v16, v[2:3]
	v_lshrrev_b32_e32 v18, 3, v5
	v_sub_u32_e32 v17, 29, v19
	v_and_b32_e32 v16, 7, v16
	v_cmp_gt_u32_e32 vcc, 8, v5
	v_cndmask_b32_e32 v5, v18, v17, vcc
	v_cndmask_b32_e32 v14, v14, v16, vcc
	v_lshlrev_b32_e32 v2, 24, v2
	v_bfrev_b32_e32 v16, 60
	v_lshlrev_b32_e32 v14, 20, v14
	v_and_b32_e32 v2, 0x80000000, v2
	v_lshl_add_u32 v5, v5, 23, v16
	v_or3_b32 v2, v2, v5, v14
	v_lshrrev_b32_e32 v14, 16, v2
.LBB860_781:
	s_or_b64 exec, exec, s[10:11]
.LBB860_782:
	s_or_b64 exec, exec, s[8:9]
.LBB860_783:
	s_or_b64 exec, exec, s[2:3]
	s_mov_b32 s3, 0x5040100
	v_perm_b32 v11, v11, v12, s3
	ds_read_b128 v[16:19], v22 offset:6160
	v_perm_b32 v10, v3, v10, s3
	v_perm_b32 v3, v14, v15, s3
	;; [unrolled: 1-line block ×3, first 2 shown]
	s_waitcnt lgkmcnt(0)
	v_mfma_f32_16x16x16bf16_1k v[6:9], v[10:11], v[16:17], v[6:9]
	s_load_dword s2, s[42:43], 0x0
	s_mov_b32 s3, 0x7060302
	s_movk_i32 s7, 0x7fff
	v_cmp_gt_u32_e32 vcc, 64, v0
	s_and_b64 s[0:1], vcc, s[0:1]
	s_waitcnt lgkmcnt(0)
	s_barrier
	v_mfma_f32_16x16x16bf16_1k v[2:5], v[2:3], v[18:19], v[6:9]
	s_nop 7
	s_nop 2
	v_pk_mul_f32 v[4:5], v[4:5], s[2:3] op_sel_hi:[1,0]
	v_pk_mul_f32 v[2:3], v[2:3], s[2:3] op_sel_hi:[1,0]
	v_bfe_u32 v6, v3, 16, 1
	v_bfe_u32 v7, v2, 16, 1
	;; [unrolled: 1-line block ×4, first 2 shown]
	v_add3_u32 v2, v2, v7, s7
	v_add3_u32 v3, v3, v6, s7
	;; [unrolled: 1-line block ×4, first 2 shown]
	v_perm_b32 v2, v3, v2, s3
	v_perm_b32 v3, v5, v4, s3
	ds_write_b64 v28, v[2:3]
	s_waitcnt lgkmcnt(0)
	s_barrier
	s_and_saveexec_b64 s[2:3], s[0:1]
	s_cbranch_execz .LBB860_786
; %bb.784:
	s_load_dwordx2 s[2:3], s[4:5], 0x68
	s_lshl_b32 s0, s44, 6
	s_mul_i32 s1, s12, s6
	s_mul_hi_u32 s7, s1, s0
	s_mul_i32 s6, s1, s0
	s_lshl_b64 s[6:7], s[6:7], 1
	s_waitcnt lgkmcnt(0)
	s_add_u32 s1, s2, s6
	v_lshlrev_b32_e32 v0, 10, v0
	s_mov_b32 s5, 0
	s_addc_u32 s6, s3, s7
	s_lshl_b32 s4, s24, 6
	v_and_b32_e32 v0, 0x1800, v0
	v_lshlrev_b32_e32 v2, 5, v1
	v_and_b32_e32 v3, 16, v47
	s_lshl_b64 s[2:3], s[4:5], 1
	v_or3_b32 v0, v0, v2, v3
	s_add_u32 s1, s1, s2
	ds_read_b128 v[4:7], v0 offset:256
	s_addc_u32 s2, s6, s3
	ds_read_b128 v[8:11], v0 offset:128
	ds_read_b128 v[12:15], v0
	v_add_u32_e32 v18, s25, v1
	v_mov_b32_e32 v3, s2
	v_add_co_u32_e32 v2, vcc, s1, v46
	v_mad_u64_u32 v[16:17], s[2:3], v18, s0, 0
	v_addc_co_u32_e32 v3, vcc, 0, v3, vcc
	v_lshlrev_b64 v[16:17], 1, v[16:17]
	v_add_co_u32_e32 v16, vcc, v2, v16
	v_addc_co_u32_e32 v17, vcc, v3, v17, vcc
	s_waitcnt lgkmcnt(0)
	global_store_dwordx4 v[16:17], v[12:15], off
	s_nop 0
	v_add_u32_e32 v12, 4, v18
	v_mad_u64_u32 v[12:13], s[2:3], v12, s0, 0
	v_lshlrev_b64 v[12:13], 1, v[12:13]
	v_add_co_u32_e32 v12, vcc, v2, v12
	v_addc_co_u32_e32 v13, vcc, v3, v13, vcc
	global_store_dwordx4 v[12:13], v[8:11], off
	s_nop 0
	v_add_u32_e32 v8, 8, v18
	v_mad_u64_u32 v[8:9], s[2:3], v8, s0, 0
	v_lshlrev_b64 v[8:9], 1, v[8:9]
	v_add_co_u32_e32 v8, vcc, v2, v8
	v_addc_co_u32_e32 v9, vcc, v3, v9, vcc
	v_cmp_ne_u32_e32 vcc, 3, v1
	global_store_dwordx4 v[8:9], v[4:7], off
	s_and_b64 exec, exec, vcc
	s_cbranch_execz .LBB860_786
; %bb.785:
	ds_read_b128 v[4:7], v0 offset:384
	v_add3_u32 v0, s25, v1, 12
	v_mad_u64_u32 v[0:1], s[0:1], v0, s0, 0
	v_lshlrev_b64 v[0:1], 1, v[0:1]
	v_add_co_u32_e32 v0, vcc, v2, v0
	v_addc_co_u32_e32 v1, vcc, v3, v1, vcc
	s_waitcnt lgkmcnt(0)
	global_store_dwordx4 v[0:1], v[4:7], off
.LBB860_786:
	s_endpgm
	.section	.rodata,"a",@progbits
	.p2align	6, 0x0
	.amdhsa_kernel _Z39paged_attention_ll4mi_QKV_mfma16_kernelI14__hip_bfloat16hLN4vllm18Fp8KVCacheDataTypeE1ES0_Li16ELi64ELi256ELb0ELi15EL8MFMAType0EEvPKT_PKT0_S9_ifPKiSB_SB_iPKfiiiPfSE_PS4_PT2_iSD_SD_
		.amdhsa_group_segment_fixed_size 8192
		.amdhsa_private_segment_fixed_size 0
		.amdhsa_kernarg_size 400
		.amdhsa_user_sgpr_count 6
		.amdhsa_user_sgpr_private_segment_buffer 1
		.amdhsa_user_sgpr_dispatch_ptr 0
		.amdhsa_user_sgpr_queue_ptr 0
		.amdhsa_user_sgpr_kernarg_segment_ptr 1
		.amdhsa_user_sgpr_dispatch_id 0
		.amdhsa_user_sgpr_flat_scratch_init 0
		.amdhsa_user_sgpr_kernarg_preload_length 0
		.amdhsa_user_sgpr_kernarg_preload_offset 0
		.amdhsa_user_sgpr_private_segment_size 0
		.amdhsa_uses_dynamic_stack 0
		.amdhsa_system_sgpr_private_segment_wavefront_offset 0
		.amdhsa_system_sgpr_workgroup_id_x 1
		.amdhsa_system_sgpr_workgroup_id_y 1
		.amdhsa_system_sgpr_workgroup_id_z 1
		.amdhsa_system_sgpr_workgroup_info 0
		.amdhsa_system_vgpr_workitem_id 0
		.amdhsa_next_free_vgpr 61
		.amdhsa_next_free_sgpr 47
		.amdhsa_accum_offset 64
		.amdhsa_reserve_vcc 1
		.amdhsa_reserve_flat_scratch 0
		.amdhsa_float_round_mode_32 0
		.amdhsa_float_round_mode_16_64 0
		.amdhsa_float_denorm_mode_32 3
		.amdhsa_float_denorm_mode_16_64 3
		.amdhsa_dx10_clamp 1
		.amdhsa_ieee_mode 1
		.amdhsa_fp16_overflow 0
		.amdhsa_tg_split 0
		.amdhsa_exception_fp_ieee_invalid_op 0
		.amdhsa_exception_fp_denorm_src 0
		.amdhsa_exception_fp_ieee_div_zero 0
		.amdhsa_exception_fp_ieee_overflow 0
		.amdhsa_exception_fp_ieee_underflow 0
		.amdhsa_exception_fp_ieee_inexact 0
		.amdhsa_exception_int_div_zero 0
	.end_amdhsa_kernel
	.section	.text._Z39paged_attention_ll4mi_QKV_mfma16_kernelI14__hip_bfloat16hLN4vllm18Fp8KVCacheDataTypeE1ES0_Li16ELi64ELi256ELb0ELi15EL8MFMAType0EEvPKT_PKT0_S9_ifPKiSB_SB_iPKfiiiPfSE_PS4_PT2_iSD_SD_,"axG",@progbits,_Z39paged_attention_ll4mi_QKV_mfma16_kernelI14__hip_bfloat16hLN4vllm18Fp8KVCacheDataTypeE1ES0_Li16ELi64ELi256ELb0ELi15EL8MFMAType0EEvPKT_PKT0_S9_ifPKiSB_SB_iPKfiiiPfSE_PS4_PT2_iSD_SD_,comdat
.Lfunc_end860:
	.size	_Z39paged_attention_ll4mi_QKV_mfma16_kernelI14__hip_bfloat16hLN4vllm18Fp8KVCacheDataTypeE1ES0_Li16ELi64ELi256ELb0ELi15EL8MFMAType0EEvPKT_PKT0_S9_ifPKiSB_SB_iPKfiiiPfSE_PS4_PT2_iSD_SD_, .Lfunc_end860-_Z39paged_attention_ll4mi_QKV_mfma16_kernelI14__hip_bfloat16hLN4vllm18Fp8KVCacheDataTypeE1ES0_Li16ELi64ELi256ELb0ELi15EL8MFMAType0EEvPKT_PKT0_S9_ifPKiSB_SB_iPKfiiiPfSE_PS4_PT2_iSD_SD_
                                        ; -- End function
	.section	.AMDGPU.csdata,"",@progbits
; Kernel info:
; codeLenInByte = 28372
; NumSgprs: 51
; NumVgprs: 61
; NumAgprs: 0
; TotalNumVgprs: 61
; ScratchSize: 0
; MemoryBound: 0
; FloatMode: 240
; IeeeMode: 1
; LDSByteSize: 8192 bytes/workgroup (compile time only)
; SGPRBlocks: 6
; VGPRBlocks: 7
; NumSGPRsForWavesPerEU: 51
; NumVGPRsForWavesPerEU: 61
; AccumOffset: 64
; Occupancy: 8
; WaveLimiterHint : 1
; COMPUTE_PGM_RSRC2:SCRATCH_EN: 0
; COMPUTE_PGM_RSRC2:USER_SGPR: 6
; COMPUTE_PGM_RSRC2:TRAP_HANDLER: 0
; COMPUTE_PGM_RSRC2:TGID_X_EN: 1
; COMPUTE_PGM_RSRC2:TGID_Y_EN: 1
; COMPUTE_PGM_RSRC2:TGID_Z_EN: 1
; COMPUTE_PGM_RSRC2:TIDIG_COMP_CNT: 0
; COMPUTE_PGM_RSRC3_GFX90A:ACCUM_OFFSET: 15
; COMPUTE_PGM_RSRC3_GFX90A:TG_SPLIT: 0
	.section	.text._Z39paged_attention_ll4mi_QKV_mfma16_kernelI14__hip_bfloat16hLN4vllm18Fp8KVCacheDataTypeE1ES0_Li16ELi64ELi256ELb0ELi16EL8MFMAType0EEvPKT_PKT0_S9_ifPKiSB_SB_iPKfiiiPfSE_PS4_PT2_iSD_SD_,"axG",@progbits,_Z39paged_attention_ll4mi_QKV_mfma16_kernelI14__hip_bfloat16hLN4vllm18Fp8KVCacheDataTypeE1ES0_Li16ELi64ELi256ELb0ELi16EL8MFMAType0EEvPKT_PKT0_S9_ifPKiSB_SB_iPKfiiiPfSE_PS4_PT2_iSD_SD_,comdat
	.protected	_Z39paged_attention_ll4mi_QKV_mfma16_kernelI14__hip_bfloat16hLN4vllm18Fp8KVCacheDataTypeE1ES0_Li16ELi64ELi256ELb0ELi16EL8MFMAType0EEvPKT_PKT0_S9_ifPKiSB_SB_iPKfiiiPfSE_PS4_PT2_iSD_SD_ ; -- Begin function _Z39paged_attention_ll4mi_QKV_mfma16_kernelI14__hip_bfloat16hLN4vllm18Fp8KVCacheDataTypeE1ES0_Li16ELi64ELi256ELb0ELi16EL8MFMAType0EEvPKT_PKT0_S9_ifPKiSB_SB_iPKfiiiPfSE_PS4_PT2_iSD_SD_
	.globl	_Z39paged_attention_ll4mi_QKV_mfma16_kernelI14__hip_bfloat16hLN4vllm18Fp8KVCacheDataTypeE1ES0_Li16ELi64ELi256ELb0ELi16EL8MFMAType0EEvPKT_PKT0_S9_ifPKiSB_SB_iPKfiiiPfSE_PS4_PT2_iSD_SD_
	.p2align	8
	.type	_Z39paged_attention_ll4mi_QKV_mfma16_kernelI14__hip_bfloat16hLN4vllm18Fp8KVCacheDataTypeE1ES0_Li16ELi64ELi256ELb0ELi16EL8MFMAType0EEvPKT_PKT0_S9_ifPKiSB_SB_iPKfiiiPfSE_PS4_PT2_iSD_SD_,@function
_Z39paged_attention_ll4mi_QKV_mfma16_kernelI14__hip_bfloat16hLN4vllm18Fp8KVCacheDataTypeE1ES0_Li16ELi64ELi256ELb0ELi16EL8MFMAType0EEvPKT_PKT0_S9_ifPKiSB_SB_iPKfiiiPfSE_PS4_PT2_iSD_SD_: ; @_Z39paged_attention_ll4mi_QKV_mfma16_kernelI14__hip_bfloat16hLN4vllm18Fp8KVCacheDataTypeE1ES0_Li16ELi64ELi256ELb0ELi16EL8MFMAType0EEvPKT_PKT0_S9_ifPKiSB_SB_iPKfiiiPfSE_PS4_PT2_iSD_SD_
; %bb.0:
	s_load_dwordx2 s[0:1], s[4:5], 0x30
	s_mov_b32 s24, s7
	s_mov_b64 s[10:11], 0
	s_waitcnt lgkmcnt(0)
	s_cmp_lg_u64 s[0:1], 0
	s_cselect_b64 s[2:3], -1, 0
	s_and_b64 vcc, exec, s[2:3]
	s_cbranch_vccz .LBB861_7
; %bb.1:
	s_add_i32 s12, s6, 1
	s_mov_b32 s13, 0
	s_lshl_b64 s[14:15], s[12:13], 2
	s_add_u32 s14, s0, s14
	s_mov_b32 s7, s13
	s_addc_u32 s15, s1, s15
	s_lshl_b64 s[12:13], s[6:7], 2
	s_add_u32 s12, s0, s12
	s_addc_u32 s13, s1, s13
	s_load_dword s9, s[14:15], 0x0
	s_load_dword s16, s[12:13], 0x0
	s_waitcnt lgkmcnt(0)
	s_sub_i32 s9, s9, s16
	s_cmp_eq_u32 s9, 1
	s_cselect_b64 s[12:13], -1, 0
	s_andn2_b64 vcc, exec, s[10:11]
	s_cbranch_vccnz .LBB861_3
.LBB861_2:
	s_mov_b32 s7, 0
	s_mov_b64 s[12:13], -1
.LBB861_3:
	s_andn2_b64 vcc, exec, s[12:13]
	s_cbranch_vccnz .LBB861_785
; %bb.4:
	s_load_dwordx2 s[12:13], s[4:5], 0x28
	s_lshl_b64 s[10:11], s[6:7], 2
	s_waitcnt lgkmcnt(0)
	s_add_u32 s12, s12, s10
	s_addc_u32 s13, s13, s11
	s_load_dword s33, s[12:13], 0x0
	s_lshl_b32 s20, s24, 8
	s_waitcnt lgkmcnt(0)
	s_cmp_ge_i32 s20, s33
	s_cbranch_scc1 .LBB861_785
; %bb.5:
	s_add_i32 s14, s33, 15
	s_load_dwordx2 s[12:13], s[4:5], 0x20
	s_load_dword s9, s[4:5], 0x38
	s_ashr_i32 s15, s14, 31
	v_and_b32_e32 v1, 0xcf, v0
	s_lshr_b32 s15, s15, 28
	v_add_u32_e32 v1, s20, v1
	s_add_i32 s14, s14, s15
	v_ashrrev_i32_e32 v2, 31, v1
	s_ashr_i32 s22, s14, 4
	v_lshrrev_b32_e32 v4, 28, v2
	s_add_i32 s22, s22, -1
	v_add_u32_e32 v2, v1, v4
	s_waitcnt lgkmcnt(0)
	s_mul_i32 s14, s6, s9
	s_mov_b32 s15, 0
	v_ashrrev_i32_e32 v2, 4, v2
	v_mov_b32_e32 v5, s22
	v_cmp_gt_i32_e32 vcc, s33, v1
	s_lshl_b64 s[14:15], s[14:15], 2
	v_cndmask_b32_e32 v2, v5, v2, vcc
	s_add_u32 s9, s12, s14
	v_ashrrev_i32_e32 v3, 31, v2
	s_addc_u32 s21, s13, s15
	v_lshlrev_b64 v[2:3], 2, v[2:3]
	v_mov_b32_e32 v7, s21
	v_add_co_u32_e32 v6, vcc, s9, v2
	v_or_b32_e32 v2, 16, v1
	v_addc_co_u32_e32 v7, vcc, v7, v3, vcc
	v_add_u32_e32 v3, v2, v4
	v_ashrrev_i32_e32 v3, 4, v3
	v_cmp_gt_i32_e32 vcc, s33, v2
	v_cndmask_b32_e32 v2, v5, v3, vcc
	v_ashrrev_i32_e32 v3, 31, v2
	v_lshlrev_b64 v[2:3], 2, v[2:3]
	v_mov_b32_e32 v9, s21
	v_add_co_u32_e32 v8, vcc, s9, v2
	v_or_b32_e32 v2, 32, v1
	v_addc_co_u32_e32 v9, vcc, v9, v3, vcc
	v_add_u32_e32 v3, v2, v4
	v_ashrrev_i32_e32 v3, 4, v3
	v_cmp_gt_i32_e32 vcc, s33, v2
	v_cndmask_b32_e32 v2, v5, v3, vcc
	v_ashrrev_i32_e32 v3, 31, v2
	;; [unrolled: 10-line block ×3, first 2 shown]
	v_lshlrev_b64 v[2:3], 2, v[2:3]
	v_mov_b32_e32 v1, s21
	v_add_co_u32_e32 v12, vcc, s9, v2
	v_addc_co_u32_e32 v13, vcc, v1, v3, vcc
	global_load_dword v4, v[6:7], off
	global_load_dword v5, v[8:9], off
	;; [unrolled: 1-line block ×4, first 2 shown]
	s_load_dwordx4 s[12:15], s[4:5], 0x8
	s_andn2_b64 vcc, exec, s[2:3]
	s_cbranch_vccnz .LBB861_8
; %bb.6:
	s_add_u32 s0, s0, s10
	s_addc_u32 s1, s1, s11
	s_load_dword s10, s[0:1], 0x0
	s_branch .LBB861_9
.LBB861_7:
	s_mov_b64 s[12:13], 0
	s_branch .LBB861_2
.LBB861_8:
	s_mov_b32 s10, s6
.LBB861_9:
	s_load_dwordx4 s[16:19], s[4:5], 0x48
	v_and_b32_e32 v50, 15, v0
	s_movk_i32 s0, 0x100
	v_lshlrev_b32_e32 v6, 3, v50
	v_cmp_gt_u32_e32 vcc, s0, v0
	v_cmp_gt_u32_e64 s[0:1], 8, v50
	v_lshrrev_b32_e32 v49, 6, v0
	v_bfe_u32 v1, v0, 4, 2
	s_lshl_b32 s25, s8, 4
	s_and_b64 s[26:27], vcc, s[0:1]
	v_lshlrev_b32_e32 v46, 1, v6
	v_lshlrev_b32_e32 v47, 4, v0
	s_and_saveexec_b64 s[2:3], s[26:27]
	s_cbranch_execz .LBB861_11
; %bb.10:
	s_load_dwordx2 s[26:27], s[4:5], 0x0
	s_waitcnt lgkmcnt(0)
	s_ashr_i32 s11, s16, 31
	s_mul_hi_u32 s19, s10, s16
	s_mul_i32 s11, s10, s11
	v_lshl_or_b32 v10, v49, 2, v1
	s_add_i32 s11, s19, s11
	s_mul_i32 s10, s10, s16
	s_lshl_b64 s[10:11], s[10:11], 1
	v_add_lshl_u32 v6, v10, s25, 6
	s_add_u32 s10, s26, s10
	v_ashrrev_i32_e32 v7, 31, v6
	s_addc_u32 s11, s27, s11
	v_lshlrev_b64 v[6:7], 1, v[6:7]
	v_mov_b32_e32 v8, s11
	v_add_co_u32_e32 v6, vcc, s10, v6
	v_addc_co_u32_e32 v7, vcc, v8, v7, vcc
	v_add_co_u32_e32 v6, vcc, v6, v46
	v_addc_co_u32_e32 v7, vcc, 0, v7, vcc
	global_load_dwordx4 v[6:9], v[6:7], off
	v_lshlrev_b32_e32 v12, 8, v50
	v_lshlrev_b32_e32 v10, 5, v10
	v_and_b32_e32 v11, 16, v47
	v_and_b32_e32 v12, 0xe00, v12
	v_or3_b32 v10, v12, v10, v11
	s_waitcnt vmcnt(0)
	ds_write_b128 v10, v[6:9]
.LBB861_11:
	s_or_b64 exec, exec, s[2:3]
	v_and_b32_e32 v12, 48, v0
	v_or_b32_e32 v13, s20, v12
	v_ashrrev_i32_e32 v6, 4, v13
	v_mov_b32_e32 v14, s22
	v_cmp_gt_i32_e32 vcc, s33, v13
	v_cndmask_b32_e32 v6, v14, v6, vcc
	v_ashrrev_i32_e32 v7, 31, v6
	v_lshlrev_b64 v[6:7], 2, v[6:7]
	v_mov_b32_e32 v8, s21
	v_add_co_u32_e32 v6, vcc, s9, v6
	v_addc_co_u32_e32 v7, vcc, v8, v7, vcc
	v_or_b32_e32 v8, 64, v13
	v_ashrrev_i32_e32 v9, 4, v8
	v_cmp_gt_i32_e32 vcc, s33, v8
	v_cndmask_b32_e32 v8, v14, v9, vcc
	v_ashrrev_i32_e32 v9, 31, v8
	v_lshlrev_b64 v[8:9], 2, v[8:9]
	v_mov_b32_e32 v10, s21
	v_add_co_u32_e32 v8, vcc, s9, v8
	v_addc_co_u32_e32 v9, vcc, v10, v9, vcc
	v_or_b32_e32 v10, 0x80, v13
	v_ashrrev_i32_e32 v11, 4, v10
	v_cmp_gt_i32_e32 vcc, s33, v10
	v_cndmask_b32_e32 v10, v14, v11, vcc
	v_ashrrev_i32_e32 v11, 31, v10
	v_lshlrev_b64 v[10:11], 2, v[10:11]
	v_mov_b32_e32 v15, s21
	v_add_co_u32_e32 v10, vcc, s9, v10
	s_load_dwordx2 s[44:45], s[4:5], 0x94
	s_load_dwordx4 s[40:43], s[4:5], 0x80
	s_waitcnt lgkmcnt(0)
	s_barrier
	v_addc_co_u32_e32 v11, vcc, v15, v11, vcc
	global_load_dword v15, v[6:7], off
	global_load_dword v16, v[8:9], off
	;; [unrolled: 1-line block ×3, first 2 shown]
	v_or_b32_e32 v6, 0xc0, v13
	v_ashrrev_i32_e32 v7, 4, v6
	v_cmp_gt_i32_e32 vcc, s33, v6
	v_cndmask_b32_e32 v6, v14, v7, vcc
	v_ashrrev_i32_e32 v7, 31, v6
	v_lshlrev_b64 v[6:7], 2, v[6:7]
	v_mov_b32_e32 v8, s21
	v_add_co_u32_e32 v6, vcc, s9, v6
	v_addc_co_u32_e32 v7, vcc, v8, v7, vcc
	global_load_dword v20, v[6:7], off
	s_mul_i32 s8, s8, s18
	s_add_u32 s2, s12, s8
	s_addc_u32 s3, s13, 0
	v_and_b32_e32 v6, 0xf0, v47
	v_mov_b32_e32 v7, s3
	v_add_co_u32_e32 v6, vcc, s2, v6
	v_addc_co_u32_e32 v7, vcc, 0, v7, vcc
	v_lshlrev_b32_e32 v8, 4, v12
	v_add_co_u32_e32 v6, vcc, v6, v8
	v_addc_co_u32_e32 v7, vcc, 0, v7, vcc
	s_waitcnt vmcnt(7)
	v_mad_i64_i32 v[8:9], s[2:3], v4, s17, v[6:7]
	s_waitcnt vmcnt(6)
	v_mad_i64_i32 v[4:5], s[2:3], v5, s17, v[6:7]
	global_load_dwordx4 v[30:33], v[8:9], off
	global_load_dwordx4 v[38:41], v[4:5], off
	s_waitcnt vmcnt(7)
	v_mad_i64_i32 v[4:5], s[2:3], v2, s17, v[6:7]
	s_waitcnt vmcnt(6)
	v_mad_i64_i32 v[2:3], s[2:3], v3, s17, v[6:7]
	global_load_dwordx4 v[34:37], v[4:5], off
	global_load_dwordx4 v[22:25], v[2:3], off
	s_add_u32 s2, s14, s8
	v_lshlrev_b32_e32 v2, 4, v50
	s_addc_u32 s3, s15, 0
	v_lshl_or_b32 v2, v49, 8, v2
	v_mov_b32_e32 v3, s3
	v_add_co_u32_e32 v2, vcc, s2, v2
	v_addc_co_u32_e32 v3, vcc, 0, v3, vcc
	v_lshlrev_b32_e32 v51, 5, v50
	v_lshl_or_b32 v48, v1, 9, v51
	v_mov_b32_e32 v44, 0
	v_mov_b32_e32 v43, 0
	s_movk_i32 s8, 0x80
	s_waitcnt vmcnt(7)
	v_mad_i64_i32 v[4:5], s[2:3], v15, s17, v[2:3]
	s_waitcnt vmcnt(6)
	v_mad_i64_i32 v[6:7], s[2:3], v16, s17, v[2:3]
	;; [unrolled: 2-line block ×3, first 2 shown]
	global_load_dwordx4 v[14:17], v[4:5], off
	global_load_dwordx4 v[10:13], v[6:7], off
	s_waitcnt vmcnt(6)
	v_mad_i64_i32 v[20:21], s[2:3], v20, s17, v[2:3]
	global_load_dwordx4 v[6:9], v[18:19], off
	global_load_dwordx4 v[2:5], v[20:21], off
	ds_read_b128 v[26:29], v48
	ds_read_b128 v[18:21], v48 offset:16
	s_load_dword s12, s[40:41], 0x0
	s_waitcnt vmcnt(7)
	v_cmp_ne_u16_sdwa s[10:11], v30, v44 src0_sel:BYTE_0 src1_sel:DWORD
	s_and_saveexec_b64 s[2:3], s[10:11]
	s_cbranch_execz .LBB861_17
; %bb.12:
	v_cmp_ne_u16_sdwa s[10:11], v30, s8 src0_sel:BYTE_0 src1_sel:DWORD
	v_mov_b32_e32 v43, 0xffff8000
	s_and_saveexec_b64 s[8:9], s[10:11]
	s_cbranch_execz .LBB861_16
; %bb.13:
	s_movk_i32 s10, 0x7f
	v_and_b32_e32 v42, 0x7f, v30
	v_cmp_ne_u32_e32 vcc, s10, v42
	v_mov_b32_e32 v43, 0x7f80
	s_and_saveexec_b64 s[10:11], vcc
	s_cbranch_execz .LBB861_15
; %bb.14:
	v_and_b32_e32 v43, 7, v30
	v_ffbh_u32_e32 v52, v43
	v_min_u32_e32 v54, 32, v52
	v_subrev_u32_e32 v52, 28, v54
	v_lshlrev_b64 v[52:53], v52, v[30:31]
	v_lshrrev_b32_e32 v45, 3, v42
	v_sub_u32_e32 v53, 29, v54
	v_and_b32_e32 v52, 7, v52
	v_cmp_gt_u32_e32 vcc, 8, v42
	v_cndmask_b32_e32 v42, v45, v53, vcc
	v_cndmask_b32_e32 v43, v43, v52, vcc
	v_lshlrev_b32_e32 v45, 24, v30
	v_bfrev_b32_e32 v52, 60
	v_lshlrev_b32_e32 v43, 20, v43
	v_and_b32_e32 v45, 0x80000000, v45
	v_lshl_add_u32 v42, v42, 23, v52
	v_or3_b32 v42, v45, v42, v43
	v_lshrrev_b32_e32 v43, 16, v42
.LBB861_15:
	s_or_b64 exec, exec, s[10:11]
.LBB861_16:
	s_or_b64 exec, exec, s[8:9]
.LBB861_17:
	s_or_b64 exec, exec, s[2:3]
	v_lshrrev_b16_e32 v42, 8, v30
	v_cmp_ne_u16_e32 vcc, 0, v42
	s_and_saveexec_b64 s[2:3], vcc
	s_cbranch_execz .LBB861_23
; %bb.18:
	s_movk_i32 s8, 0x80
	v_cmp_ne_u16_e32 vcc, s8, v42
	v_mov_b32_e32 v44, 0xffff8000
	s_and_saveexec_b64 s[8:9], vcc
	s_cbranch_execz .LBB861_22
; %bb.19:
	s_movk_i32 s10, 0x7f
	v_and_b32_e32 v45, 0x7f, v42
	v_cmp_ne_u32_e32 vcc, s10, v45
	v_mov_b32_e32 v44, 0x7f80
	s_and_saveexec_b64 s[10:11], vcc
	s_cbranch_execz .LBB861_21
; %bb.20:
	v_and_b32_e32 v44, 7, v42
	v_ffbh_u32_e32 v52, v44
	v_min_u32_e32 v55, 32, v52
	v_subrev_u32_e32 v52, 28, v55
	v_lshlrev_b64 v[52:53], v52, v[42:43]
	v_lshrrev_b32_e32 v54, 3, v45
	v_sub_u32_e32 v42, 29, v55
	v_and_b32_e32 v52, 7, v52
	v_cmp_gt_u32_e32 vcc, 8, v45
	v_cndmask_b32_e32 v42, v54, v42, vcc
	v_cndmask_b32_e32 v44, v44, v52, vcc
	v_lshlrev_b32_e32 v45, 16, v30
	v_bfrev_b32_e32 v52, 60
	v_lshlrev_b32_e32 v44, 20, v44
	v_and_b32_e32 v45, 0x80000000, v45
	v_lshl_add_u32 v42, v42, 23, v52
	v_or3_b32 v42, v45, v42, v44
	v_lshrrev_b32_e32 v44, 16, v42
.LBB861_21:
	s_or_b64 exec, exec, s[10:11]
.LBB861_22:
	s_or_b64 exec, exec, s[8:9]
.LBB861_23:
	s_or_b64 exec, exec, s[2:3]
	s_movk_i32 s2, 0xff
	v_and_b32_sdwa v53, v30, s2 dst_sel:DWORD dst_unused:UNUSED_PAD src0_sel:WORD_1 src1_sel:DWORD
	v_lshrrev_b32_e32 v42, 16, v30
	v_cmp_ne_u16_e32 vcc, 0, v53
	v_mov_b32_e32 v45, 0
	v_mov_b32_e32 v52, 0
	s_and_saveexec_b64 s[2:3], vcc
	s_cbranch_execz .LBB861_29
; %bb.24:
	s_movk_i32 s8, 0x80
	v_cmp_ne_u16_e32 vcc, s8, v53
	v_mov_b32_e32 v52, 0xffff8000
	s_and_saveexec_b64 s[8:9], vcc
	s_cbranch_execz .LBB861_28
; %bb.25:
	v_bfe_u32 v53, v30, 16, 7
	s_movk_i32 s10, 0x7f
	v_cmp_ne_u32_e32 vcc, s10, v53
	v_mov_b32_e32 v52, 0x7f80
	s_and_saveexec_b64 s[10:11], vcc
	s_cbranch_execz .LBB861_27
; %bb.26:
	v_and_b32_e32 v52, 7, v42
	v_ffbh_u32_e32 v54, v52
	v_min_u32_e32 v57, 32, v54
	v_subrev_u32_e32 v54, 28, v57
	v_lshlrev_b64 v[54:55], v54, v[42:43]
	v_lshrrev_b32_e32 v56, 3, v53
	v_sub_u32_e32 v42, 29, v57
	v_and_b32_e32 v54, 7, v54
	v_cmp_gt_u32_e32 vcc, 8, v53
	v_mov_b32_e32 v53, 24
	v_cndmask_b32_e32 v42, v56, v42, vcc
	v_cndmask_b32_e32 v52, v52, v54, vcc
	v_lshlrev_b32_sdwa v53, v53, v30 dst_sel:DWORD dst_unused:UNUSED_PAD src0_sel:DWORD src1_sel:WORD_1
	v_bfrev_b32_e32 v54, 60
	v_lshlrev_b32_e32 v52, 20, v52
	v_and_b32_e32 v53, 0x80000000, v53
	v_lshl_add_u32 v42, v42, 23, v54
	v_or3_b32 v42, v53, v42, v52
	v_lshrrev_b32_e32 v52, 16, v42
.LBB861_27:
	s_or_b64 exec, exec, s[10:11]
.LBB861_28:
	s_or_b64 exec, exec, s[8:9]
.LBB861_29:
	s_or_b64 exec, exec, s[2:3]
	s_mov_b32 s2, 0xffffff
	v_cmp_lt_u32_e32 vcc, s2, v30
	s_and_saveexec_b64 s[2:3], vcc
	s_cbranch_execz .LBB861_35
; %bb.30:
	v_lshrrev_b32_e32 v42, 24, v30
	s_movk_i32 s8, 0x80
	v_cmp_ne_u32_e32 vcc, s8, v42
	v_mov_b32_e32 v45, 0xffff8000
	s_and_saveexec_b64 s[8:9], vcc
	s_cbranch_execz .LBB861_34
; %bb.31:
	v_bfe_u32 v30, v30, 24, 7
	s_movk_i32 s10, 0x7f
	v_cmp_ne_u32_e32 vcc, s10, v30
	v_mov_b32_e32 v45, 0x7f80
	s_and_saveexec_b64 s[10:11], vcc
	s_cbranch_execz .LBB861_33
; %bb.32:
	v_and_b32_e32 v45, 7, v42
	v_ffbh_u32_e32 v54, v45
	v_min_u32_e32 v56, 32, v54
	v_subrev_u32_e32 v54, 28, v56
	v_lshlrev_b64 v[54:55], v54, v[42:43]
	v_lshrrev_b32_e32 v53, 3, v30
	v_sub_u32_e32 v55, 29, v56
	v_and_b32_e32 v54, 7, v54
	v_cmp_gt_u32_e32 vcc, 8, v30
	v_cndmask_b32_e32 v30, v53, v55, vcc
	v_cndmask_b32_e32 v45, v45, v54, vcc
	v_lshlrev_b32_e32 v42, 24, v42
	v_bfrev_b32_e32 v53, 60
	v_lshlrev_b32_e32 v45, 20, v45
	v_and_b32_e32 v42, 0x80000000, v42
	v_lshl_add_u32 v30, v30, 23, v53
	v_or3_b32 v30, v42, v30, v45
	v_lshrrev_b32_e32 v45, 16, v30
.LBB861_33:
	s_or_b64 exec, exec, s[10:11]
.LBB861_34:
	s_or_b64 exec, exec, s[8:9]
.LBB861_35:
	s_or_b64 exec, exec, s[2:3]
	v_mov_b32_e32 v42, 0
	v_cmp_ne_u16_sdwa s[8:9], v31, v42 src0_sel:BYTE_0 src1_sel:DWORD
	v_mov_b32_e32 v53, 0
	s_and_saveexec_b64 s[2:3], s[8:9]
	s_cbranch_execz .LBB861_41
; %bb.36:
	s_movk_i32 s8, 0x80
	v_cmp_ne_u16_sdwa s[10:11], v31, s8 src0_sel:BYTE_0 src1_sel:DWORD
	v_mov_b32_e32 v53, 0xffff8000
	s_and_saveexec_b64 s[8:9], s[10:11]
	s_cbranch_execz .LBB861_40
; %bb.37:
	s_movk_i32 s10, 0x7f
	v_and_b32_e32 v30, 0x7f, v31
	v_cmp_ne_u32_e32 vcc, s10, v30
	v_mov_b32_e32 v53, 0x7f80
	s_and_saveexec_b64 s[10:11], vcc
	s_cbranch_execz .LBB861_39
; %bb.38:
	v_and_b32_e32 v53, 7, v31
	v_ffbh_u32_e32 v55, v53
	v_min_u32_e32 v57, 32, v55
	v_mov_b32_e32 v54, v31
	v_subrev_u32_e32 v55, 28, v57
	v_lshlrev_b64 v[54:55], v55, v[54:55]
	v_lshrrev_b32_e32 v56, 3, v30
	v_sub_u32_e32 v55, 29, v57
	v_and_b32_e32 v54, 7, v54
	v_cmp_gt_u32_e32 vcc, 8, v30
	v_cndmask_b32_e32 v30, v56, v55, vcc
	v_cndmask_b32_e32 v53, v53, v54, vcc
	v_lshlrev_b32_e32 v54, 24, v31
	v_bfrev_b32_e32 v55, 60
	v_lshlrev_b32_e32 v53, 20, v53
	v_and_b32_e32 v54, 0x80000000, v54
	v_lshl_add_u32 v30, v30, 23, v55
	v_or3_b32 v30, v54, v30, v53
	v_lshrrev_b32_e32 v53, 16, v30
.LBB861_39:
	s_or_b64 exec, exec, s[10:11]
.LBB861_40:
	s_or_b64 exec, exec, s[8:9]
.LBB861_41:
	s_or_b64 exec, exec, s[2:3]
	v_lshrrev_b16_e32 v30, 8, v31
	v_cmp_ne_u16_e32 vcc, 0, v30
	s_and_saveexec_b64 s[2:3], vcc
	s_cbranch_execz .LBB861_47
; %bb.42:
	s_movk_i32 s8, 0x80
	v_cmp_ne_u16_e32 vcc, s8, v30
	v_mov_b32_e32 v42, 0xffff8000
	s_and_saveexec_b64 s[8:9], vcc
	s_cbranch_execz .LBB861_46
; %bb.43:
	s_movk_i32 s10, 0x7f
	v_and_b32_e32 v54, 0x7f, v30
	v_cmp_ne_u32_e32 vcc, s10, v54
	v_mov_b32_e32 v42, 0x7f80
	s_and_saveexec_b64 s[10:11], vcc
	s_cbranch_execz .LBB861_45
; %bb.44:
	v_and_b32_e32 v42, 7, v30
	v_ffbh_u32_e32 v56, v42
	v_min_u32_e32 v58, 32, v56
	v_subrev_u32_e32 v56, 28, v58
	v_lshlrev_b64 v[56:57], v56, v[30:31]
	v_lshrrev_b32_e32 v55, 3, v54
	v_sub_u32_e32 v30, 29, v58
	v_and_b32_e32 v56, 7, v56
	v_cmp_gt_u32_e32 vcc, 8, v54
	v_cndmask_b32_e32 v30, v55, v30, vcc
	v_cndmask_b32_e32 v42, v42, v56, vcc
	v_lshlrev_b32_e32 v54, 16, v31
	v_bfrev_b32_e32 v55, 60
	v_lshlrev_b32_e32 v42, 20, v42
	v_and_b32_e32 v54, 0x80000000, v54
	v_lshl_add_u32 v30, v30, 23, v55
	v_or3_b32 v30, v54, v30, v42
	v_lshrrev_b32_e32 v42, 16, v30
.LBB861_45:
	s_or_b64 exec, exec, s[10:11]
.LBB861_46:
	s_or_b64 exec, exec, s[8:9]
.LBB861_47:
	s_or_b64 exec, exec, s[2:3]
	s_movk_i32 s2, 0xff
	v_and_b32_sdwa v56, v31, s2 dst_sel:DWORD dst_unused:UNUSED_PAD src0_sel:WORD_1 src1_sel:DWORD
	v_lshrrev_b32_e32 v30, 16, v31
	v_cmp_ne_u16_e32 vcc, 0, v56
	v_mov_b32_e32 v54, 0
	v_mov_b32_e32 v55, 0
	s_and_saveexec_b64 s[2:3], vcc
	s_cbranch_execz .LBB861_53
; %bb.48:
	s_movk_i32 s8, 0x80
	v_cmp_ne_u16_e32 vcc, s8, v56
	v_mov_b32_e32 v55, 0xffff8000
	s_and_saveexec_b64 s[8:9], vcc
	s_cbranch_execz .LBB861_52
; %bb.49:
	v_bfe_u32 v56, v31, 16, 7
	s_movk_i32 s10, 0x7f
	v_cmp_ne_u32_e32 vcc, s10, v56
	v_mov_b32_e32 v55, 0x7f80
	s_and_saveexec_b64 s[10:11], vcc
	s_cbranch_execz .LBB861_51
; %bb.50:
	v_and_b32_e32 v55, 7, v30
	v_ffbh_u32_e32 v58, v55
	v_min_u32_e32 v60, 32, v58
	v_subrev_u32_e32 v58, 28, v60
	v_lshlrev_b64 v[58:59], v58, v[30:31]
	v_lshrrev_b32_e32 v57, 3, v56
	v_sub_u32_e32 v30, 29, v60
	v_and_b32_e32 v58, 7, v58
	v_cmp_gt_u32_e32 vcc, 8, v56
	v_mov_b32_e32 v56, 24
	v_cndmask_b32_e32 v30, v57, v30, vcc
	v_cndmask_b32_e32 v55, v55, v58, vcc
	v_lshlrev_b32_sdwa v56, v56, v31 dst_sel:DWORD dst_unused:UNUSED_PAD src0_sel:DWORD src1_sel:WORD_1
	v_bfrev_b32_e32 v57, 60
	v_lshlrev_b32_e32 v55, 20, v55
	v_and_b32_e32 v56, 0x80000000, v56
	v_lshl_add_u32 v30, v30, 23, v57
	v_or3_b32 v30, v56, v30, v55
	v_lshrrev_b32_e32 v55, 16, v30
.LBB861_51:
	s_or_b64 exec, exec, s[10:11]
.LBB861_52:
	s_or_b64 exec, exec, s[8:9]
.LBB861_53:
	s_or_b64 exec, exec, s[2:3]
	s_mov_b32 s2, 0xffffff
	v_cmp_lt_u32_e32 vcc, s2, v31
	s_and_saveexec_b64 s[2:3], vcc
	s_cbranch_execz .LBB861_59
; %bb.54:
	v_lshrrev_b32_e32 v30, 24, v31
	s_movk_i32 s8, 0x80
	v_cmp_ne_u32_e32 vcc, s8, v30
	v_mov_b32_e32 v54, 0xffff8000
	s_and_saveexec_b64 s[8:9], vcc
	s_cbranch_execz .LBB861_58
; %bb.55:
	v_bfe_u32 v31, v31, 24, 7
	s_movk_i32 s10, 0x7f
	v_cmp_ne_u32_e32 vcc, s10, v31
	v_mov_b32_e32 v54, 0x7f80
	s_and_saveexec_b64 s[10:11], vcc
	s_cbranch_execz .LBB861_57
; %bb.56:
	v_and_b32_e32 v54, 7, v30
	v_ffbh_u32_e32 v56, v54
	v_min_u32_e32 v59, 32, v56
	v_subrev_u32_e32 v56, 28, v59
	v_lshlrev_b64 v[56:57], v56, v[30:31]
	v_lshrrev_b32_e32 v58, 3, v31
	v_sub_u32_e32 v57, 29, v59
	v_and_b32_e32 v56, 7, v56
	v_cmp_gt_u32_e32 vcc, 8, v31
	v_cndmask_b32_e32 v31, v58, v57, vcc
	v_cndmask_b32_e32 v54, v54, v56, vcc
	v_lshlrev_b32_e32 v30, 24, v30
	v_bfrev_b32_e32 v56, 60
	v_lshlrev_b32_e32 v54, 20, v54
	v_and_b32_e32 v30, 0x80000000, v30
	v_lshl_add_u32 v31, v31, 23, v56
	v_or3_b32 v30, v30, v31, v54
	v_lshrrev_b32_e32 v54, 16, v30
.LBB861_57:
	s_or_b64 exec, exec, s[10:11]
.LBB861_58:
	s_or_b64 exec, exec, s[8:9]
.LBB861_59:
	s_or_b64 exec, exec, s[2:3]
	s_mov_b32 s2, 0x5040100
	v_perm_b32 v31, v45, v52, s2
	v_perm_b32 v30, v44, v43, s2
	;; [unrolled: 1-line block ×4, first 2 shown]
	v_mov_b32_e32 v52, 0
	s_waitcnt lgkmcnt(0)
	v_mfma_f32_16x16x16bf16_1k v[56:59], v[30:31], v[26:27], 0
	v_mov_b32_e32 v31, 0
	v_cmp_ne_u16_sdwa s[8:9], v32, v31 src0_sel:BYTE_0 src1_sel:DWORD
	v_mfma_f32_16x16x16bf16_1k v[42:45], v[42:43], v[28:29], v[56:59]
	s_and_saveexec_b64 s[2:3], s[8:9]
	s_cbranch_execz .LBB861_65
; %bb.60:
	s_movk_i32 s8, 0x80
	v_cmp_ne_u16_sdwa s[10:11], v32, s8 src0_sel:BYTE_0 src1_sel:DWORD
	v_mov_b32_e32 v52, 0xffff8000
	s_and_saveexec_b64 s[8:9], s[10:11]
	s_cbranch_execz .LBB861_64
; %bb.61:
	s_movk_i32 s10, 0x7f
	v_and_b32_e32 v30, 0x7f, v32
	v_cmp_ne_u32_e32 vcc, s10, v30
	v_mov_b32_e32 v52, 0x7f80
	s_and_saveexec_b64 s[10:11], vcc
	s_cbranch_execz .LBB861_63
; %bb.62:
	v_and_b32_e32 v54, 7, v32
	v_ffbh_u32_e32 v52, v54
	v_min_u32_e32 v56, 32, v52
	v_subrev_u32_e32 v52, 28, v56
	v_lshlrev_b64 v[52:53], v52, v[32:33]
	v_lshrrev_b32_e32 v55, 3, v30
	v_sub_u32_e32 v53, 29, v56
	v_and_b32_e32 v52, 7, v52
	v_cmp_gt_u32_e32 vcc, 8, v30
	v_cndmask_b32_e32 v30, v55, v53, vcc
	v_cndmask_b32_e32 v52, v54, v52, vcc
	v_lshlrev_b32_e32 v53, 24, v32
	v_bfrev_b32_e32 v54, 60
	v_lshlrev_b32_e32 v52, 20, v52
	v_and_b32_e32 v53, 0x80000000, v53
	v_lshl_add_u32 v30, v30, 23, v54
	v_or3_b32 v30, v53, v30, v52
	v_lshrrev_b32_e32 v52, 16, v30
.LBB861_63:
	s_or_b64 exec, exec, s[10:11]
.LBB861_64:
	s_or_b64 exec, exec, s[8:9]
.LBB861_65:
	s_or_b64 exec, exec, s[2:3]
	v_lshrrev_b16_e32 v30, 8, v32
	v_cmp_ne_u16_e32 vcc, 0, v30
	s_and_saveexec_b64 s[2:3], vcc
	s_cbranch_execz .LBB861_71
; %bb.66:
	s_movk_i32 s8, 0x80
	v_cmp_ne_u16_e32 vcc, s8, v30
	v_mov_b32_e32 v31, 0xffff8000
	s_and_saveexec_b64 s[8:9], vcc
	s_cbranch_execz .LBB861_70
; %bb.67:
	s_movk_i32 s10, 0x7f
	v_and_b32_e32 v53, 0x7f, v30
	v_cmp_ne_u32_e32 vcc, s10, v53
	v_mov_b32_e32 v31, 0x7f80
	s_and_saveexec_b64 s[10:11], vcc
	s_cbranch_execz .LBB861_69
; %bb.68:
	v_and_b32_e32 v54, 7, v30
	v_ffbh_u32_e32 v31, v54
	v_min_u32_e32 v56, 32, v31
	v_subrev_u32_e32 v31, 28, v56
	v_lshlrev_b64 v[30:31], v31, v[30:31]
	v_lshrrev_b32_e32 v55, 3, v53
	v_sub_u32_e32 v31, 29, v56
	v_and_b32_e32 v30, 7, v30
	v_cmp_gt_u32_e32 vcc, 8, v53
	v_cndmask_b32_e32 v31, v55, v31, vcc
	v_cndmask_b32_e32 v30, v54, v30, vcc
	v_lshlrev_b32_e32 v53, 16, v32
	v_bfrev_b32_e32 v54, 60
	v_lshlrev_b32_e32 v30, 20, v30
	v_and_b32_e32 v53, 0x80000000, v53
	v_lshl_add_u32 v31, v31, 23, v54
	v_or3_b32 v30, v53, v31, v30
	v_lshrrev_b32_e32 v31, 16, v30
.LBB861_69:
	s_or_b64 exec, exec, s[10:11]
.LBB861_70:
	s_or_b64 exec, exec, s[8:9]
.LBB861_71:
	s_or_b64 exec, exec, s[2:3]
	s_movk_i32 s2, 0xff
	v_and_b32_sdwa v55, v32, s2 dst_sel:DWORD dst_unused:UNUSED_PAD src0_sel:WORD_1 src1_sel:DWORD
	v_lshrrev_b32_e32 v30, 16, v32
	v_cmp_ne_u16_e32 vcc, 0, v55
	v_mov_b32_e32 v53, 0
	v_mov_b32_e32 v54, 0
	s_and_saveexec_b64 s[2:3], vcc
	s_cbranch_execz .LBB861_77
; %bb.72:
	s_movk_i32 s8, 0x80
	v_cmp_ne_u16_e32 vcc, s8, v55
	v_mov_b32_e32 v54, 0xffff8000
	s_and_saveexec_b64 s[8:9], vcc
	s_cbranch_execz .LBB861_76
; %bb.73:
	v_bfe_u32 v55, v32, 16, 7
	s_movk_i32 s10, 0x7f
	v_cmp_ne_u32_e32 vcc, s10, v55
	v_mov_b32_e32 v54, 0x7f80
	s_and_saveexec_b64 s[10:11], vcc
	s_cbranch_execz .LBB861_75
; %bb.74:
	v_and_b32_e32 v54, 7, v30
	v_ffbh_u32_e32 v56, v54
	v_min_u32_e32 v59, 32, v56
	v_subrev_u32_e32 v56, 28, v59
	v_lshlrev_b64 v[56:57], v56, v[30:31]
	v_lshrrev_b32_e32 v58, 3, v55
	v_sub_u32_e32 v30, 29, v59
	v_and_b32_e32 v56, 7, v56
	v_cmp_gt_u32_e32 vcc, 8, v55
	v_mov_b32_e32 v55, 24
	v_cndmask_b32_e32 v30, v58, v30, vcc
	v_cndmask_b32_e32 v54, v54, v56, vcc
	v_lshlrev_b32_sdwa v55, v55, v32 dst_sel:DWORD dst_unused:UNUSED_PAD src0_sel:DWORD src1_sel:WORD_1
	v_bfrev_b32_e32 v56, 60
	v_lshlrev_b32_e32 v54, 20, v54
	v_and_b32_e32 v55, 0x80000000, v55
	v_lshl_add_u32 v30, v30, 23, v56
	v_or3_b32 v30, v55, v30, v54
	v_lshrrev_b32_e32 v54, 16, v30
.LBB861_75:
	s_or_b64 exec, exec, s[10:11]
.LBB861_76:
	s_or_b64 exec, exec, s[8:9]
.LBB861_77:
	s_or_b64 exec, exec, s[2:3]
	s_mov_b32 s2, 0xffffff
	v_cmp_lt_u32_e32 vcc, s2, v32
	s_and_saveexec_b64 s[2:3], vcc
	s_cbranch_execz .LBB861_83
; %bb.78:
	v_lshrrev_b32_e32 v30, 24, v32
	s_movk_i32 s8, 0x80
	v_cmp_ne_u32_e32 vcc, s8, v30
	v_mov_b32_e32 v53, 0xffff8000
	s_and_saveexec_b64 s[8:9], vcc
	s_cbranch_execz .LBB861_82
; %bb.79:
	v_bfe_u32 v32, v32, 24, 7
	s_movk_i32 s10, 0x7f
	v_cmp_ne_u32_e32 vcc, s10, v32
	v_mov_b32_e32 v53, 0x7f80
	s_and_saveexec_b64 s[10:11], vcc
	s_cbranch_execz .LBB861_81
; %bb.80:
	v_and_b32_e32 v53, 7, v30
	v_ffbh_u32_e32 v56, v53
	v_min_u32_e32 v58, 32, v56
	v_subrev_u32_e32 v56, 28, v58
	v_lshlrev_b64 v[56:57], v56, v[30:31]
	v_lshrrev_b32_e32 v55, 3, v32
	v_sub_u32_e32 v57, 29, v58
	v_and_b32_e32 v56, 7, v56
	v_cmp_gt_u32_e32 vcc, 8, v32
	v_cndmask_b32_e32 v32, v55, v57, vcc
	v_cndmask_b32_e32 v53, v53, v56, vcc
	v_lshlrev_b32_e32 v30, 24, v30
	v_bfrev_b32_e32 v55, 60
	v_lshlrev_b32_e32 v53, 20, v53
	v_and_b32_e32 v30, 0x80000000, v30
	v_lshl_add_u32 v32, v32, 23, v55
	v_or3_b32 v30, v30, v32, v53
	v_lshrrev_b32_e32 v53, 16, v30
.LBB861_81:
	s_or_b64 exec, exec, s[10:11]
.LBB861_82:
	s_or_b64 exec, exec, s[8:9]
.LBB861_83:
	s_or_b64 exec, exec, s[2:3]
	v_mov_b32_e32 v32, 0
	v_cmp_ne_u16_sdwa s[8:9], v33, v32 src0_sel:BYTE_0 src1_sel:DWORD
	v_mov_b32_e32 v55, 0
	s_and_saveexec_b64 s[2:3], s[8:9]
	s_cbranch_execz .LBB861_89
; %bb.84:
	s_movk_i32 s8, 0x80
	v_cmp_ne_u16_sdwa s[10:11], v33, s8 src0_sel:BYTE_0 src1_sel:DWORD
	v_mov_b32_e32 v55, 0xffff8000
	s_and_saveexec_b64 s[8:9], s[10:11]
	s_cbranch_execz .LBB861_88
; %bb.85:
	s_movk_i32 s10, 0x7f
	v_and_b32_e32 v30, 0x7f, v33
	v_cmp_ne_u32_e32 vcc, s10, v30
	v_mov_b32_e32 v55, 0x7f80
	s_and_saveexec_b64 s[10:11], vcc
	s_cbranch_execz .LBB861_87
; %bb.86:
	v_and_b32_e32 v55, 7, v33
	v_ffbh_u32_e32 v57, v55
	v_min_u32_e32 v59, 32, v57
	v_mov_b32_e32 v56, v33
	v_subrev_u32_e32 v57, 28, v59
	v_lshlrev_b64 v[56:57], v57, v[56:57]
	v_lshrrev_b32_e32 v58, 3, v30
	v_sub_u32_e32 v57, 29, v59
	v_and_b32_e32 v56, 7, v56
	v_cmp_gt_u32_e32 vcc, 8, v30
	v_cndmask_b32_e32 v30, v58, v57, vcc
	v_cndmask_b32_e32 v55, v55, v56, vcc
	v_lshlrev_b32_e32 v56, 24, v33
	v_bfrev_b32_e32 v57, 60
	v_lshlrev_b32_e32 v55, 20, v55
	v_and_b32_e32 v56, 0x80000000, v56
	v_lshl_add_u32 v30, v30, 23, v57
	v_or3_b32 v30, v56, v30, v55
	v_lshrrev_b32_e32 v55, 16, v30
.LBB861_87:
	s_or_b64 exec, exec, s[10:11]
.LBB861_88:
	s_or_b64 exec, exec, s[8:9]
.LBB861_89:
	s_or_b64 exec, exec, s[2:3]
	v_lshrrev_b16_e32 v30, 8, v33
	v_cmp_ne_u16_e32 vcc, 0, v30
	s_and_saveexec_b64 s[2:3], vcc
	s_cbranch_execz .LBB861_95
; %bb.90:
	s_movk_i32 s8, 0x80
	v_cmp_ne_u16_e32 vcc, s8, v30
	v_mov_b32_e32 v32, 0xffff8000
	s_and_saveexec_b64 s[8:9], vcc
	s_cbranch_execz .LBB861_94
; %bb.91:
	s_movk_i32 s10, 0x7f
	v_and_b32_e32 v56, 0x7f, v30
	v_cmp_ne_u32_e32 vcc, s10, v56
	v_mov_b32_e32 v32, 0x7f80
	s_and_saveexec_b64 s[10:11], vcc
	s_cbranch_execz .LBB861_93
; %bb.92:
	v_and_b32_e32 v32, 7, v30
	v_ffbh_u32_e32 v58, v32
	v_min_u32_e32 v60, 32, v58
	v_subrev_u32_e32 v58, 28, v60
	v_lshlrev_b64 v[58:59], v58, v[30:31]
	v_lshrrev_b32_e32 v57, 3, v56
	v_sub_u32_e32 v30, 29, v60
	v_and_b32_e32 v58, 7, v58
	v_cmp_gt_u32_e32 vcc, 8, v56
	v_cndmask_b32_e32 v30, v57, v30, vcc
	v_cndmask_b32_e32 v32, v32, v58, vcc
	v_lshlrev_b32_e32 v56, 16, v33
	v_bfrev_b32_e32 v57, 60
	v_lshlrev_b32_e32 v32, 20, v32
	v_and_b32_e32 v56, 0x80000000, v56
	v_lshl_add_u32 v30, v30, 23, v57
	v_or3_b32 v30, v56, v30, v32
	v_lshrrev_b32_e32 v32, 16, v30
.LBB861_93:
	s_or_b64 exec, exec, s[10:11]
.LBB861_94:
	s_or_b64 exec, exec, s[8:9]
.LBB861_95:
	s_or_b64 exec, exec, s[2:3]
	s_movk_i32 s2, 0xff
	v_and_b32_sdwa v58, v33, s2 dst_sel:DWORD dst_unused:UNUSED_PAD src0_sel:WORD_1 src1_sel:DWORD
	v_lshrrev_b32_e32 v30, 16, v33
	v_cmp_ne_u16_e32 vcc, 0, v58
	v_mov_b32_e32 v56, 0
	v_mov_b32_e32 v57, 0
	s_and_saveexec_b64 s[2:3], vcc
	s_cbranch_execz .LBB861_101
; %bb.96:
	s_movk_i32 s8, 0x80
	v_cmp_ne_u16_e32 vcc, s8, v58
	v_mov_b32_e32 v57, 0xffff8000
	s_and_saveexec_b64 s[8:9], vcc
	s_cbranch_execz .LBB861_100
; %bb.97:
	v_bfe_u32 v58, v33, 16, 7
	s_movk_i32 s10, 0x7f
	v_cmp_ne_u32_e32 vcc, s10, v58
	v_mov_b32_e32 v57, 0x7f80
	s_and_saveexec_b64 s[10:11], vcc
	s_cbranch_execz .LBB861_99
; %bb.98:
	v_and_b32_e32 v57, 7, v30
	v_ffbh_u32_e32 v60, v57
	v_min_u32_e32 v62, 32, v60
	v_subrev_u32_e32 v60, 28, v62
	v_lshlrev_b64 v[60:61], v60, v[30:31]
	v_lshrrev_b32_e32 v59, 3, v58
	v_sub_u32_e32 v30, 29, v62
	v_and_b32_e32 v60, 7, v60
	v_cmp_gt_u32_e32 vcc, 8, v58
	v_mov_b32_e32 v58, 24
	v_cndmask_b32_e32 v30, v59, v30, vcc
	v_cndmask_b32_e32 v57, v57, v60, vcc
	v_lshlrev_b32_sdwa v58, v58, v33 dst_sel:DWORD dst_unused:UNUSED_PAD src0_sel:DWORD src1_sel:WORD_1
	v_bfrev_b32_e32 v59, 60
	v_lshlrev_b32_e32 v57, 20, v57
	v_and_b32_e32 v58, 0x80000000, v58
	v_lshl_add_u32 v30, v30, 23, v59
	v_or3_b32 v30, v58, v30, v57
	v_lshrrev_b32_e32 v57, 16, v30
.LBB861_99:
	s_or_b64 exec, exec, s[10:11]
.LBB861_100:
	s_or_b64 exec, exec, s[8:9]
.LBB861_101:
	s_or_b64 exec, exec, s[2:3]
	s_mov_b32 s2, 0xffffff
	v_cmp_lt_u32_e32 vcc, s2, v33
	s_and_saveexec_b64 s[2:3], vcc
	s_cbranch_execz .LBB861_107
; %bb.102:
	v_lshrrev_b32_e32 v30, 24, v33
	s_movk_i32 s8, 0x80
	v_cmp_ne_u32_e32 vcc, s8, v30
	v_mov_b32_e32 v56, 0xffff8000
	s_and_saveexec_b64 s[8:9], vcc
	s_cbranch_execz .LBB861_106
; %bb.103:
	v_bfe_u32 v33, v33, 24, 7
	s_movk_i32 s10, 0x7f
	v_cmp_ne_u32_e32 vcc, s10, v33
	v_mov_b32_e32 v56, 0x7f80
	s_and_saveexec_b64 s[10:11], vcc
	s_cbranch_execz .LBB861_105
; %bb.104:
	v_and_b32_e32 v56, 7, v30
	v_ffbh_u32_e32 v58, v56
	v_min_u32_e32 v61, 32, v58
	v_subrev_u32_e32 v58, 28, v61
	v_lshlrev_b64 v[58:59], v58, v[30:31]
	v_lshrrev_b32_e32 v60, 3, v33
	v_sub_u32_e32 v59, 29, v61
	v_and_b32_e32 v58, 7, v58
	v_cmp_gt_u32_e32 vcc, 8, v33
	v_cndmask_b32_e32 v33, v60, v59, vcc
	v_cndmask_b32_e32 v56, v56, v58, vcc
	v_lshlrev_b32_e32 v30, 24, v30
	v_bfrev_b32_e32 v58, 60
	v_lshlrev_b32_e32 v56, 20, v56
	v_and_b32_e32 v30, 0x80000000, v30
	v_lshl_add_u32 v33, v33, 23, v58
	v_or3_b32 v30, v30, v33, v56
	v_lshrrev_b32_e32 v56, 16, v30
.LBB861_105:
	s_or_b64 exec, exec, s[10:11]
.LBB861_106:
	s_or_b64 exec, exec, s[8:9]
.LBB861_107:
	s_or_b64 exec, exec, s[2:3]
	s_mov_b32 s2, 0x5040100
	v_perm_b32 v53, v53, v54, s2
	v_perm_b32 v52, v31, v52, s2
	;; [unrolled: 1-line block ×4, first 2 shown]
	v_mfma_f32_16x16x16bf16_1k v[58:61], v[52:53], v[18:19], v[42:45]
	s_nop 6
	v_mov_b32_e32 v43, 0
	s_waitcnt vmcnt(6)
	v_cmp_ne_u16_sdwa s[8:9], v38, v43 src0_sel:BYTE_0 src1_sel:DWORD
	v_mfma_f32_16x16x16bf16_1k v[30:33], v[30:31], v[20:21], v[58:61]
	v_mov_b32_e32 v44, 0
	s_and_saveexec_b64 s[2:3], s[8:9]
	s_cbranch_execz .LBB861_113
; %bb.108:
	s_movk_i32 s8, 0x80
	v_cmp_ne_u16_sdwa s[10:11], v38, s8 src0_sel:BYTE_0 src1_sel:DWORD
	v_mov_b32_e32 v44, 0xffff8000
	s_and_saveexec_b64 s[8:9], s[10:11]
	s_cbranch_execz .LBB861_112
; %bb.109:
	s_movk_i32 s10, 0x7f
	v_and_b32_e32 v42, 0x7f, v38
	v_cmp_ne_u32_e32 vcc, s10, v42
	v_mov_b32_e32 v44, 0x7f80
	s_and_saveexec_b64 s[10:11], vcc
	s_cbranch_execz .LBB861_111
; %bb.110:
	v_and_b32_e32 v52, 7, v38
	v_ffbh_u32_e32 v44, v52
	v_min_u32_e32 v54, 32, v44
	v_subrev_u32_e32 v44, 28, v54
	v_lshlrev_b64 v[44:45], v44, v[38:39]
	v_lshrrev_b32_e32 v53, 3, v42
	v_sub_u32_e32 v45, 29, v54
	v_and_b32_e32 v44, 7, v44
	v_cmp_gt_u32_e32 vcc, 8, v42
	v_cndmask_b32_e32 v42, v53, v45, vcc
	v_cndmask_b32_e32 v44, v52, v44, vcc
	v_lshlrev_b32_e32 v45, 24, v38
	v_bfrev_b32_e32 v52, 60
	v_lshlrev_b32_e32 v44, 20, v44
	v_and_b32_e32 v45, 0x80000000, v45
	v_lshl_add_u32 v42, v42, 23, v52
	v_or3_b32 v42, v45, v42, v44
	v_lshrrev_b32_e32 v44, 16, v42
.LBB861_111:
	s_or_b64 exec, exec, s[10:11]
.LBB861_112:
	s_or_b64 exec, exec, s[8:9]
.LBB861_113:
	s_or_b64 exec, exec, s[2:3]
	v_lshrrev_b16_e32 v42, 8, v38
	v_cmp_ne_u16_e32 vcc, 0, v42
	s_and_saveexec_b64 s[2:3], vcc
	s_cbranch_execz .LBB861_119
; %bb.114:
	s_movk_i32 s8, 0x80
	v_cmp_ne_u16_e32 vcc, s8, v42
	v_mov_b32_e32 v43, 0xffff8000
	s_and_saveexec_b64 s[8:9], vcc
	s_cbranch_execz .LBB861_118
; %bb.115:
	s_movk_i32 s10, 0x7f
	v_and_b32_e32 v45, 0x7f, v42
	v_cmp_ne_u32_e32 vcc, s10, v45
	v_mov_b32_e32 v43, 0x7f80
	s_and_saveexec_b64 s[10:11], vcc
	s_cbranch_execz .LBB861_117
; %bb.116:
	v_and_b32_e32 v52, 7, v42
	v_ffbh_u32_e32 v43, v52
	v_min_u32_e32 v54, 32, v43
	v_subrev_u32_e32 v43, 28, v54
	v_lshlrev_b64 v[42:43], v43, v[42:43]
	v_lshrrev_b32_e32 v53, 3, v45
	v_sub_u32_e32 v43, 29, v54
	v_and_b32_e32 v42, 7, v42
	v_cmp_gt_u32_e32 vcc, 8, v45
	v_cndmask_b32_e32 v43, v53, v43, vcc
	v_cndmask_b32_e32 v42, v52, v42, vcc
	v_lshlrev_b32_e32 v45, 16, v38
	v_bfrev_b32_e32 v52, 60
	v_lshlrev_b32_e32 v42, 20, v42
	v_and_b32_e32 v45, 0x80000000, v45
	v_lshl_add_u32 v43, v43, 23, v52
	v_or3_b32 v42, v45, v43, v42
	v_lshrrev_b32_e32 v43, 16, v42
.LBB861_117:
	s_or_b64 exec, exec, s[10:11]
.LBB861_118:
	s_or_b64 exec, exec, s[8:9]
.LBB861_119:
	s_or_b64 exec, exec, s[2:3]
	s_movk_i32 s2, 0xff
	v_and_b32_sdwa v53, v38, s2 dst_sel:DWORD dst_unused:UNUSED_PAD src0_sel:WORD_1 src1_sel:DWORD
	v_lshrrev_b32_e32 v42, 16, v38
	v_cmp_ne_u16_e32 vcc, 0, v53
	v_mov_b32_e32 v45, 0
	v_mov_b32_e32 v52, 0
	s_and_saveexec_b64 s[2:3], vcc
	s_cbranch_execz .LBB861_125
; %bb.120:
	s_movk_i32 s8, 0x80
	v_cmp_ne_u16_e32 vcc, s8, v53
	v_mov_b32_e32 v52, 0xffff8000
	s_and_saveexec_b64 s[8:9], vcc
	s_cbranch_execz .LBB861_124
; %bb.121:
	v_bfe_u32 v53, v38, 16, 7
	s_movk_i32 s10, 0x7f
	v_cmp_ne_u32_e32 vcc, s10, v53
	v_mov_b32_e32 v52, 0x7f80
	s_and_saveexec_b64 s[10:11], vcc
	s_cbranch_execz .LBB861_123
; %bb.122:
	v_and_b32_e32 v52, 7, v42
	v_ffbh_u32_e32 v54, v52
	v_min_u32_e32 v57, 32, v54
	v_subrev_u32_e32 v54, 28, v57
	v_lshlrev_b64 v[54:55], v54, v[42:43]
	v_lshrrev_b32_e32 v56, 3, v53
	v_sub_u32_e32 v42, 29, v57
	v_and_b32_e32 v54, 7, v54
	v_cmp_gt_u32_e32 vcc, 8, v53
	v_mov_b32_e32 v53, 24
	v_cndmask_b32_e32 v42, v56, v42, vcc
	v_cndmask_b32_e32 v52, v52, v54, vcc
	v_lshlrev_b32_sdwa v53, v53, v38 dst_sel:DWORD dst_unused:UNUSED_PAD src0_sel:DWORD src1_sel:WORD_1
	v_bfrev_b32_e32 v54, 60
	v_lshlrev_b32_e32 v52, 20, v52
	v_and_b32_e32 v53, 0x80000000, v53
	v_lshl_add_u32 v42, v42, 23, v54
	v_or3_b32 v42, v53, v42, v52
	v_lshrrev_b32_e32 v52, 16, v42
.LBB861_123:
	s_or_b64 exec, exec, s[10:11]
.LBB861_124:
	s_or_b64 exec, exec, s[8:9]
.LBB861_125:
	s_or_b64 exec, exec, s[2:3]
	s_mov_b32 s2, 0xffffff
	v_cmp_lt_u32_e32 vcc, s2, v38
	s_and_saveexec_b64 s[2:3], vcc
	s_cbranch_execz .LBB861_131
; %bb.126:
	v_lshrrev_b32_e32 v42, 24, v38
	s_movk_i32 s8, 0x80
	v_cmp_ne_u32_e32 vcc, s8, v42
	v_mov_b32_e32 v45, 0xffff8000
	s_and_saveexec_b64 s[8:9], vcc
	s_cbranch_execz .LBB861_130
; %bb.127:
	v_bfe_u32 v38, v38, 24, 7
	s_movk_i32 s10, 0x7f
	v_cmp_ne_u32_e32 vcc, s10, v38
	v_mov_b32_e32 v45, 0x7f80
	s_and_saveexec_b64 s[10:11], vcc
	s_cbranch_execz .LBB861_129
; %bb.128:
	v_and_b32_e32 v45, 7, v42
	v_ffbh_u32_e32 v54, v45
	v_min_u32_e32 v56, 32, v54
	v_subrev_u32_e32 v54, 28, v56
	v_lshlrev_b64 v[54:55], v54, v[42:43]
	v_lshrrev_b32_e32 v53, 3, v38
	v_sub_u32_e32 v55, 29, v56
	v_and_b32_e32 v54, 7, v54
	v_cmp_gt_u32_e32 vcc, 8, v38
	v_cndmask_b32_e32 v38, v53, v55, vcc
	v_cndmask_b32_e32 v45, v45, v54, vcc
	v_lshlrev_b32_e32 v42, 24, v42
	v_bfrev_b32_e32 v53, 60
	v_lshlrev_b32_e32 v45, 20, v45
	v_and_b32_e32 v42, 0x80000000, v42
	v_lshl_add_u32 v38, v38, 23, v53
	v_or3_b32 v38, v42, v38, v45
	v_lshrrev_b32_e32 v45, 16, v38
.LBB861_129:
	s_or_b64 exec, exec, s[10:11]
.LBB861_130:
	s_or_b64 exec, exec, s[8:9]
.LBB861_131:
	s_or_b64 exec, exec, s[2:3]
	v_mov_b32_e32 v42, 0
	v_cmp_ne_u16_sdwa s[8:9], v39, v42 src0_sel:BYTE_0 src1_sel:DWORD
	v_mov_b32_e32 v53, 0
	s_and_saveexec_b64 s[2:3], s[8:9]
	s_cbranch_execz .LBB861_137
; %bb.132:
	s_movk_i32 s8, 0x80
	v_cmp_ne_u16_sdwa s[10:11], v39, s8 src0_sel:BYTE_0 src1_sel:DWORD
	v_mov_b32_e32 v53, 0xffff8000
	s_and_saveexec_b64 s[8:9], s[10:11]
	s_cbranch_execz .LBB861_136
; %bb.133:
	s_movk_i32 s10, 0x7f
	v_and_b32_e32 v38, 0x7f, v39
	v_cmp_ne_u32_e32 vcc, s10, v38
	v_mov_b32_e32 v53, 0x7f80
	s_and_saveexec_b64 s[10:11], vcc
	s_cbranch_execz .LBB861_135
; %bb.134:
	v_and_b32_e32 v53, 7, v39
	v_ffbh_u32_e32 v55, v53
	v_min_u32_e32 v57, 32, v55
	v_mov_b32_e32 v54, v39
	v_subrev_u32_e32 v55, 28, v57
	v_lshlrev_b64 v[54:55], v55, v[54:55]
	v_lshrrev_b32_e32 v56, 3, v38
	v_sub_u32_e32 v55, 29, v57
	v_and_b32_e32 v54, 7, v54
	v_cmp_gt_u32_e32 vcc, 8, v38
	v_cndmask_b32_e32 v38, v56, v55, vcc
	v_cndmask_b32_e32 v53, v53, v54, vcc
	v_lshlrev_b32_e32 v54, 24, v39
	v_bfrev_b32_e32 v55, 60
	v_lshlrev_b32_e32 v53, 20, v53
	v_and_b32_e32 v54, 0x80000000, v54
	v_lshl_add_u32 v38, v38, 23, v55
	v_or3_b32 v38, v54, v38, v53
	v_lshrrev_b32_e32 v53, 16, v38
.LBB861_135:
	s_or_b64 exec, exec, s[10:11]
.LBB861_136:
	s_or_b64 exec, exec, s[8:9]
.LBB861_137:
	s_or_b64 exec, exec, s[2:3]
	v_lshrrev_b16_e32 v38, 8, v39
	v_cmp_ne_u16_e32 vcc, 0, v38
	s_and_saveexec_b64 s[2:3], vcc
	s_cbranch_execz .LBB861_143
; %bb.138:
	s_movk_i32 s8, 0x80
	v_cmp_ne_u16_e32 vcc, s8, v38
	v_mov_b32_e32 v42, 0xffff8000
	s_and_saveexec_b64 s[8:9], vcc
	s_cbranch_execz .LBB861_142
; %bb.139:
	s_movk_i32 s10, 0x7f
	v_and_b32_e32 v54, 0x7f, v38
	v_cmp_ne_u32_e32 vcc, s10, v54
	v_mov_b32_e32 v42, 0x7f80
	s_and_saveexec_b64 s[10:11], vcc
	s_cbranch_execz .LBB861_141
; %bb.140:
	v_and_b32_e32 v42, 7, v38
	v_ffbh_u32_e32 v56, v42
	v_min_u32_e32 v58, 32, v56
	v_subrev_u32_e32 v56, 28, v58
	v_lshlrev_b64 v[56:57], v56, v[38:39]
	v_lshrrev_b32_e32 v55, 3, v54
	v_sub_u32_e32 v38, 29, v58
	v_and_b32_e32 v56, 7, v56
	v_cmp_gt_u32_e32 vcc, 8, v54
	v_cndmask_b32_e32 v38, v55, v38, vcc
	v_cndmask_b32_e32 v42, v42, v56, vcc
	v_lshlrev_b32_e32 v54, 16, v39
	v_bfrev_b32_e32 v55, 60
	v_lshlrev_b32_e32 v42, 20, v42
	v_and_b32_e32 v54, 0x80000000, v54
	v_lshl_add_u32 v38, v38, 23, v55
	v_or3_b32 v38, v54, v38, v42
	v_lshrrev_b32_e32 v42, 16, v38
.LBB861_141:
	s_or_b64 exec, exec, s[10:11]
.LBB861_142:
	s_or_b64 exec, exec, s[8:9]
.LBB861_143:
	s_or_b64 exec, exec, s[2:3]
	s_movk_i32 s2, 0xff
	v_and_b32_sdwa v56, v39, s2 dst_sel:DWORD dst_unused:UNUSED_PAD src0_sel:WORD_1 src1_sel:DWORD
	v_lshrrev_b32_e32 v38, 16, v39
	v_cmp_ne_u16_e32 vcc, 0, v56
	v_mov_b32_e32 v54, 0
	v_mov_b32_e32 v55, 0
	s_and_saveexec_b64 s[2:3], vcc
	s_cbranch_execz .LBB861_149
; %bb.144:
	s_movk_i32 s8, 0x80
	v_cmp_ne_u16_e32 vcc, s8, v56
	v_mov_b32_e32 v55, 0xffff8000
	s_and_saveexec_b64 s[8:9], vcc
	s_cbranch_execz .LBB861_148
; %bb.145:
	v_bfe_u32 v56, v39, 16, 7
	s_movk_i32 s10, 0x7f
	v_cmp_ne_u32_e32 vcc, s10, v56
	v_mov_b32_e32 v55, 0x7f80
	s_and_saveexec_b64 s[10:11], vcc
	s_cbranch_execz .LBB861_147
; %bb.146:
	v_and_b32_e32 v55, 7, v38
	v_ffbh_u32_e32 v58, v55
	v_min_u32_e32 v60, 32, v58
	v_subrev_u32_e32 v58, 28, v60
	v_lshlrev_b64 v[58:59], v58, v[38:39]
	v_lshrrev_b32_e32 v57, 3, v56
	v_sub_u32_e32 v38, 29, v60
	v_and_b32_e32 v58, 7, v58
	v_cmp_gt_u32_e32 vcc, 8, v56
	v_mov_b32_e32 v56, 24
	v_cndmask_b32_e32 v38, v57, v38, vcc
	v_cndmask_b32_e32 v55, v55, v58, vcc
	v_lshlrev_b32_sdwa v56, v56, v39 dst_sel:DWORD dst_unused:UNUSED_PAD src0_sel:DWORD src1_sel:WORD_1
	v_bfrev_b32_e32 v57, 60
	v_lshlrev_b32_e32 v55, 20, v55
	v_and_b32_e32 v56, 0x80000000, v56
	v_lshl_add_u32 v38, v38, 23, v57
	v_or3_b32 v38, v56, v38, v55
	v_lshrrev_b32_e32 v55, 16, v38
.LBB861_147:
	s_or_b64 exec, exec, s[10:11]
.LBB861_148:
	s_or_b64 exec, exec, s[8:9]
.LBB861_149:
	s_or_b64 exec, exec, s[2:3]
	s_mov_b32 s2, 0xffffff
	v_cmp_lt_u32_e32 vcc, s2, v39
	s_and_saveexec_b64 s[2:3], vcc
	s_cbranch_execz .LBB861_155
; %bb.150:
	v_lshrrev_b32_e32 v38, 24, v39
	s_movk_i32 s8, 0x80
	v_cmp_ne_u32_e32 vcc, s8, v38
	v_mov_b32_e32 v54, 0xffff8000
	s_and_saveexec_b64 s[8:9], vcc
	s_cbranch_execz .LBB861_154
; %bb.151:
	v_bfe_u32 v39, v39, 24, 7
	s_movk_i32 s10, 0x7f
	v_cmp_ne_u32_e32 vcc, s10, v39
	v_mov_b32_e32 v54, 0x7f80
	s_and_saveexec_b64 s[10:11], vcc
	s_cbranch_execz .LBB861_153
; %bb.152:
	v_and_b32_e32 v54, 7, v38
	v_ffbh_u32_e32 v56, v54
	v_min_u32_e32 v59, 32, v56
	v_subrev_u32_e32 v56, 28, v59
	v_lshlrev_b64 v[56:57], v56, v[38:39]
	v_lshrrev_b32_e32 v58, 3, v39
	v_sub_u32_e32 v57, 29, v59
	v_and_b32_e32 v56, 7, v56
	v_cmp_gt_u32_e32 vcc, 8, v39
	v_cndmask_b32_e32 v39, v58, v57, vcc
	v_cndmask_b32_e32 v54, v54, v56, vcc
	v_lshlrev_b32_e32 v38, 24, v38
	v_bfrev_b32_e32 v56, 60
	v_lshlrev_b32_e32 v54, 20, v54
	v_and_b32_e32 v38, 0x80000000, v38
	v_lshl_add_u32 v39, v39, 23, v56
	v_or3_b32 v38, v38, v39, v54
	v_lshrrev_b32_e32 v54, 16, v38
.LBB861_153:
	s_or_b64 exec, exec, s[10:11]
.LBB861_154:
	s_or_b64 exec, exec, s[8:9]
.LBB861_155:
	s_or_b64 exec, exec, s[2:3]
	s_mov_b32 s2, 0x5040100
	v_perm_b32 v39, v45, v52, s2
	v_perm_b32 v38, v43, v44, s2
	;; [unrolled: 1-line block ×4, first 2 shown]
	v_mov_b32_e32 v52, 0
	v_mfma_f32_16x16x16bf16_1k v[56:59], v[38:39], v[26:27], 0
	v_mov_b32_e32 v39, 0
	v_cmp_ne_u16_sdwa s[8:9], v40, v39 src0_sel:BYTE_0 src1_sel:DWORD
	v_mfma_f32_16x16x16bf16_1k v[42:45], v[42:43], v[28:29], v[56:59]
	s_and_saveexec_b64 s[2:3], s[8:9]
	s_cbranch_execz .LBB861_161
; %bb.156:
	s_movk_i32 s8, 0x80
	v_cmp_ne_u16_sdwa s[10:11], v40, s8 src0_sel:BYTE_0 src1_sel:DWORD
	v_mov_b32_e32 v52, 0xffff8000
	s_and_saveexec_b64 s[8:9], s[10:11]
	s_cbranch_execz .LBB861_160
; %bb.157:
	s_movk_i32 s10, 0x7f
	v_and_b32_e32 v38, 0x7f, v40
	v_cmp_ne_u32_e32 vcc, s10, v38
	v_mov_b32_e32 v52, 0x7f80
	s_and_saveexec_b64 s[10:11], vcc
	s_cbranch_execz .LBB861_159
; %bb.158:
	v_and_b32_e32 v54, 7, v40
	v_ffbh_u32_e32 v52, v54
	v_min_u32_e32 v56, 32, v52
	v_subrev_u32_e32 v52, 28, v56
	v_lshlrev_b64 v[52:53], v52, v[40:41]
	v_lshrrev_b32_e32 v55, 3, v38
	v_sub_u32_e32 v53, 29, v56
	v_and_b32_e32 v52, 7, v52
	v_cmp_gt_u32_e32 vcc, 8, v38
	v_cndmask_b32_e32 v38, v55, v53, vcc
	v_cndmask_b32_e32 v52, v54, v52, vcc
	v_lshlrev_b32_e32 v53, 24, v40
	v_bfrev_b32_e32 v54, 60
	v_lshlrev_b32_e32 v52, 20, v52
	v_and_b32_e32 v53, 0x80000000, v53
	v_lshl_add_u32 v38, v38, 23, v54
	v_or3_b32 v38, v53, v38, v52
	v_lshrrev_b32_e32 v52, 16, v38
.LBB861_159:
	s_or_b64 exec, exec, s[10:11]
.LBB861_160:
	s_or_b64 exec, exec, s[8:9]
.LBB861_161:
	s_or_b64 exec, exec, s[2:3]
	v_lshrrev_b16_e32 v38, 8, v40
	v_cmp_ne_u16_e32 vcc, 0, v38
	s_and_saveexec_b64 s[2:3], vcc
	s_cbranch_execz .LBB861_167
; %bb.162:
	s_movk_i32 s8, 0x80
	v_cmp_ne_u16_e32 vcc, s8, v38
	v_mov_b32_e32 v39, 0xffff8000
	s_and_saveexec_b64 s[8:9], vcc
	s_cbranch_execz .LBB861_166
; %bb.163:
	s_movk_i32 s10, 0x7f
	v_and_b32_e32 v53, 0x7f, v38
	v_cmp_ne_u32_e32 vcc, s10, v53
	v_mov_b32_e32 v39, 0x7f80
	s_and_saveexec_b64 s[10:11], vcc
	s_cbranch_execz .LBB861_165
; %bb.164:
	v_and_b32_e32 v54, 7, v38
	v_ffbh_u32_e32 v39, v54
	v_min_u32_e32 v56, 32, v39
	v_subrev_u32_e32 v39, 28, v56
	v_lshlrev_b64 v[38:39], v39, v[38:39]
	v_lshrrev_b32_e32 v55, 3, v53
	v_sub_u32_e32 v39, 29, v56
	v_and_b32_e32 v38, 7, v38
	v_cmp_gt_u32_e32 vcc, 8, v53
	v_cndmask_b32_e32 v39, v55, v39, vcc
	v_cndmask_b32_e32 v38, v54, v38, vcc
	v_lshlrev_b32_e32 v53, 16, v40
	v_bfrev_b32_e32 v54, 60
	v_lshlrev_b32_e32 v38, 20, v38
	v_and_b32_e32 v53, 0x80000000, v53
	v_lshl_add_u32 v39, v39, 23, v54
	v_or3_b32 v38, v53, v39, v38
	v_lshrrev_b32_e32 v39, 16, v38
.LBB861_165:
	s_or_b64 exec, exec, s[10:11]
.LBB861_166:
	s_or_b64 exec, exec, s[8:9]
.LBB861_167:
	s_or_b64 exec, exec, s[2:3]
	s_movk_i32 s2, 0xff
	v_and_b32_sdwa v55, v40, s2 dst_sel:DWORD dst_unused:UNUSED_PAD src0_sel:WORD_1 src1_sel:DWORD
	v_lshrrev_b32_e32 v38, 16, v40
	v_cmp_ne_u16_e32 vcc, 0, v55
	v_mov_b32_e32 v53, 0
	v_mov_b32_e32 v54, 0
	s_and_saveexec_b64 s[2:3], vcc
	s_cbranch_execz .LBB861_173
; %bb.168:
	s_movk_i32 s8, 0x80
	v_cmp_ne_u16_e32 vcc, s8, v55
	v_mov_b32_e32 v54, 0xffff8000
	s_and_saveexec_b64 s[8:9], vcc
	s_cbranch_execz .LBB861_172
; %bb.169:
	v_bfe_u32 v55, v40, 16, 7
	s_movk_i32 s10, 0x7f
	v_cmp_ne_u32_e32 vcc, s10, v55
	v_mov_b32_e32 v54, 0x7f80
	s_and_saveexec_b64 s[10:11], vcc
	s_cbranch_execz .LBB861_171
; %bb.170:
	v_and_b32_e32 v54, 7, v38
	v_ffbh_u32_e32 v56, v54
	v_min_u32_e32 v59, 32, v56
	v_subrev_u32_e32 v56, 28, v59
	v_lshlrev_b64 v[56:57], v56, v[38:39]
	v_lshrrev_b32_e32 v58, 3, v55
	v_sub_u32_e32 v38, 29, v59
	v_and_b32_e32 v56, 7, v56
	v_cmp_gt_u32_e32 vcc, 8, v55
	v_mov_b32_e32 v55, 24
	v_cndmask_b32_e32 v38, v58, v38, vcc
	v_cndmask_b32_e32 v54, v54, v56, vcc
	v_lshlrev_b32_sdwa v55, v55, v40 dst_sel:DWORD dst_unused:UNUSED_PAD src0_sel:DWORD src1_sel:WORD_1
	v_bfrev_b32_e32 v56, 60
	v_lshlrev_b32_e32 v54, 20, v54
	v_and_b32_e32 v55, 0x80000000, v55
	v_lshl_add_u32 v38, v38, 23, v56
	v_or3_b32 v38, v55, v38, v54
	v_lshrrev_b32_e32 v54, 16, v38
.LBB861_171:
	s_or_b64 exec, exec, s[10:11]
.LBB861_172:
	s_or_b64 exec, exec, s[8:9]
.LBB861_173:
	s_or_b64 exec, exec, s[2:3]
	s_mov_b32 s2, 0xffffff
	v_cmp_lt_u32_e32 vcc, s2, v40
	s_and_saveexec_b64 s[2:3], vcc
	s_cbranch_execz .LBB861_179
; %bb.174:
	v_lshrrev_b32_e32 v38, 24, v40
	s_movk_i32 s8, 0x80
	v_cmp_ne_u32_e32 vcc, s8, v38
	v_mov_b32_e32 v53, 0xffff8000
	s_and_saveexec_b64 s[8:9], vcc
	s_cbranch_execz .LBB861_178
; %bb.175:
	v_bfe_u32 v40, v40, 24, 7
	s_movk_i32 s10, 0x7f
	v_cmp_ne_u32_e32 vcc, s10, v40
	v_mov_b32_e32 v53, 0x7f80
	s_and_saveexec_b64 s[10:11], vcc
	s_cbranch_execz .LBB861_177
; %bb.176:
	v_and_b32_e32 v53, 7, v38
	v_ffbh_u32_e32 v56, v53
	v_min_u32_e32 v58, 32, v56
	v_subrev_u32_e32 v56, 28, v58
	v_lshlrev_b64 v[56:57], v56, v[38:39]
	v_lshrrev_b32_e32 v55, 3, v40
	v_sub_u32_e32 v57, 29, v58
	v_and_b32_e32 v56, 7, v56
	v_cmp_gt_u32_e32 vcc, 8, v40
	v_cndmask_b32_e32 v40, v55, v57, vcc
	v_cndmask_b32_e32 v53, v53, v56, vcc
	v_lshlrev_b32_e32 v38, 24, v38
	v_bfrev_b32_e32 v55, 60
	v_lshlrev_b32_e32 v53, 20, v53
	v_and_b32_e32 v38, 0x80000000, v38
	v_lshl_add_u32 v40, v40, 23, v55
	v_or3_b32 v38, v38, v40, v53
	v_lshrrev_b32_e32 v53, 16, v38
.LBB861_177:
	s_or_b64 exec, exec, s[10:11]
.LBB861_178:
	s_or_b64 exec, exec, s[8:9]
.LBB861_179:
	s_or_b64 exec, exec, s[2:3]
	v_mov_b32_e32 v40, 0
	v_cmp_ne_u16_sdwa s[8:9], v41, v40 src0_sel:BYTE_0 src1_sel:DWORD
	v_mov_b32_e32 v55, 0
	s_and_saveexec_b64 s[2:3], s[8:9]
	s_cbranch_execz .LBB861_185
; %bb.180:
	s_movk_i32 s8, 0x80
	v_cmp_ne_u16_sdwa s[10:11], v41, s8 src0_sel:BYTE_0 src1_sel:DWORD
	v_mov_b32_e32 v55, 0xffff8000
	s_and_saveexec_b64 s[8:9], s[10:11]
	s_cbranch_execz .LBB861_184
; %bb.181:
	s_movk_i32 s10, 0x7f
	v_and_b32_e32 v38, 0x7f, v41
	v_cmp_ne_u32_e32 vcc, s10, v38
	v_mov_b32_e32 v55, 0x7f80
	s_and_saveexec_b64 s[10:11], vcc
	s_cbranch_execz .LBB861_183
; %bb.182:
	v_and_b32_e32 v55, 7, v41
	v_ffbh_u32_e32 v57, v55
	v_min_u32_e32 v59, 32, v57
	v_mov_b32_e32 v56, v41
	v_subrev_u32_e32 v57, 28, v59
	v_lshlrev_b64 v[56:57], v57, v[56:57]
	v_lshrrev_b32_e32 v58, 3, v38
	v_sub_u32_e32 v57, 29, v59
	v_and_b32_e32 v56, 7, v56
	v_cmp_gt_u32_e32 vcc, 8, v38
	v_cndmask_b32_e32 v38, v58, v57, vcc
	v_cndmask_b32_e32 v55, v55, v56, vcc
	v_lshlrev_b32_e32 v56, 24, v41
	v_bfrev_b32_e32 v57, 60
	v_lshlrev_b32_e32 v55, 20, v55
	v_and_b32_e32 v56, 0x80000000, v56
	v_lshl_add_u32 v38, v38, 23, v57
	v_or3_b32 v38, v56, v38, v55
	v_lshrrev_b32_e32 v55, 16, v38
.LBB861_183:
	s_or_b64 exec, exec, s[10:11]
.LBB861_184:
	s_or_b64 exec, exec, s[8:9]
.LBB861_185:
	s_or_b64 exec, exec, s[2:3]
	v_lshrrev_b16_e32 v38, 8, v41
	v_cmp_ne_u16_e32 vcc, 0, v38
	s_and_saveexec_b64 s[2:3], vcc
	s_cbranch_execz .LBB861_191
; %bb.186:
	s_movk_i32 s8, 0x80
	v_cmp_ne_u16_e32 vcc, s8, v38
	v_mov_b32_e32 v40, 0xffff8000
	s_and_saveexec_b64 s[8:9], vcc
	s_cbranch_execz .LBB861_190
; %bb.187:
	s_movk_i32 s10, 0x7f
	v_and_b32_e32 v56, 0x7f, v38
	v_cmp_ne_u32_e32 vcc, s10, v56
	v_mov_b32_e32 v40, 0x7f80
	s_and_saveexec_b64 s[10:11], vcc
	s_cbranch_execz .LBB861_189
; %bb.188:
	v_and_b32_e32 v40, 7, v38
	v_ffbh_u32_e32 v58, v40
	v_min_u32_e32 v60, 32, v58
	v_subrev_u32_e32 v58, 28, v60
	v_lshlrev_b64 v[58:59], v58, v[38:39]
	v_lshrrev_b32_e32 v57, 3, v56
	v_sub_u32_e32 v38, 29, v60
	v_and_b32_e32 v58, 7, v58
	v_cmp_gt_u32_e32 vcc, 8, v56
	v_cndmask_b32_e32 v38, v57, v38, vcc
	v_cndmask_b32_e32 v40, v40, v58, vcc
	v_lshlrev_b32_e32 v56, 16, v41
	v_bfrev_b32_e32 v57, 60
	v_lshlrev_b32_e32 v40, 20, v40
	v_and_b32_e32 v56, 0x80000000, v56
	v_lshl_add_u32 v38, v38, 23, v57
	v_or3_b32 v38, v56, v38, v40
	v_lshrrev_b32_e32 v40, 16, v38
.LBB861_189:
	s_or_b64 exec, exec, s[10:11]
.LBB861_190:
	s_or_b64 exec, exec, s[8:9]
.LBB861_191:
	s_or_b64 exec, exec, s[2:3]
	s_movk_i32 s2, 0xff
	v_and_b32_sdwa v58, v41, s2 dst_sel:DWORD dst_unused:UNUSED_PAD src0_sel:WORD_1 src1_sel:DWORD
	v_lshrrev_b32_e32 v38, 16, v41
	v_cmp_ne_u16_e32 vcc, 0, v58
	v_mov_b32_e32 v56, 0
	v_mov_b32_e32 v57, 0
	s_and_saveexec_b64 s[2:3], vcc
	s_cbranch_execz .LBB861_197
; %bb.192:
	s_movk_i32 s8, 0x80
	v_cmp_ne_u16_e32 vcc, s8, v58
	v_mov_b32_e32 v57, 0xffff8000
	s_and_saveexec_b64 s[8:9], vcc
	s_cbranch_execz .LBB861_196
; %bb.193:
	v_bfe_u32 v58, v41, 16, 7
	s_movk_i32 s10, 0x7f
	v_cmp_ne_u32_e32 vcc, s10, v58
	v_mov_b32_e32 v57, 0x7f80
	s_and_saveexec_b64 s[10:11], vcc
	s_cbranch_execz .LBB861_195
; %bb.194:
	v_and_b32_e32 v57, 7, v38
	v_ffbh_u32_e32 v60, v57
	v_min_u32_e32 v62, 32, v60
	v_subrev_u32_e32 v60, 28, v62
	v_lshlrev_b64 v[60:61], v60, v[38:39]
	v_lshrrev_b32_e32 v59, 3, v58
	v_sub_u32_e32 v38, 29, v62
	v_and_b32_e32 v60, 7, v60
	v_cmp_gt_u32_e32 vcc, 8, v58
	v_mov_b32_e32 v58, 24
	v_cndmask_b32_e32 v38, v59, v38, vcc
	v_cndmask_b32_e32 v57, v57, v60, vcc
	v_lshlrev_b32_sdwa v58, v58, v41 dst_sel:DWORD dst_unused:UNUSED_PAD src0_sel:DWORD src1_sel:WORD_1
	v_bfrev_b32_e32 v59, 60
	v_lshlrev_b32_e32 v57, 20, v57
	v_and_b32_e32 v58, 0x80000000, v58
	v_lshl_add_u32 v38, v38, 23, v59
	v_or3_b32 v38, v58, v38, v57
	v_lshrrev_b32_e32 v57, 16, v38
.LBB861_195:
	s_or_b64 exec, exec, s[10:11]
.LBB861_196:
	s_or_b64 exec, exec, s[8:9]
.LBB861_197:
	s_or_b64 exec, exec, s[2:3]
	s_mov_b32 s2, 0xffffff
	v_cmp_lt_u32_e32 vcc, s2, v41
	s_and_saveexec_b64 s[2:3], vcc
	s_cbranch_execz .LBB861_203
; %bb.198:
	v_lshrrev_b32_e32 v38, 24, v41
	s_movk_i32 s8, 0x80
	v_cmp_ne_u32_e32 vcc, s8, v38
	v_mov_b32_e32 v56, 0xffff8000
	s_and_saveexec_b64 s[8:9], vcc
	s_cbranch_execz .LBB861_202
; %bb.199:
	v_bfe_u32 v41, v41, 24, 7
	s_movk_i32 s10, 0x7f
	v_cmp_ne_u32_e32 vcc, s10, v41
	v_mov_b32_e32 v56, 0x7f80
	s_and_saveexec_b64 s[10:11], vcc
	s_cbranch_execz .LBB861_201
; %bb.200:
	v_and_b32_e32 v56, 7, v38
	v_ffbh_u32_e32 v58, v56
	v_min_u32_e32 v61, 32, v58
	v_subrev_u32_e32 v58, 28, v61
	v_lshlrev_b64 v[58:59], v58, v[38:39]
	v_lshrrev_b32_e32 v60, 3, v41
	v_sub_u32_e32 v59, 29, v61
	v_and_b32_e32 v58, 7, v58
	v_cmp_gt_u32_e32 vcc, 8, v41
	v_cndmask_b32_e32 v41, v60, v59, vcc
	v_cndmask_b32_e32 v56, v56, v58, vcc
	v_lshlrev_b32_e32 v38, 24, v38
	v_bfrev_b32_e32 v58, 60
	v_lshlrev_b32_e32 v56, 20, v56
	v_and_b32_e32 v38, 0x80000000, v38
	v_lshl_add_u32 v41, v41, 23, v58
	v_or3_b32 v38, v38, v41, v56
	v_lshrrev_b32_e32 v56, 16, v38
.LBB861_201:
	s_or_b64 exec, exec, s[10:11]
.LBB861_202:
	s_or_b64 exec, exec, s[8:9]
.LBB861_203:
	s_or_b64 exec, exec, s[2:3]
	s_mov_b32 s2, 0x5040100
	v_perm_b32 v53, v53, v54, s2
	v_perm_b32 v52, v39, v52, s2
	;; [unrolled: 1-line block ×4, first 2 shown]
	v_mfma_f32_16x16x16bf16_1k v[58:61], v[52:53], v[18:19], v[42:45]
	s_nop 6
	v_mov_b32_e32 v43, 0
	s_waitcnt vmcnt(5)
	v_cmp_ne_u16_sdwa s[8:9], v34, v43 src0_sel:BYTE_0 src1_sel:DWORD
	v_mfma_f32_16x16x16bf16_1k v[38:41], v[38:39], v[20:21], v[58:61]
	v_mov_b32_e32 v44, 0
	s_and_saveexec_b64 s[2:3], s[8:9]
	s_cbranch_execz .LBB861_209
; %bb.204:
	s_movk_i32 s8, 0x80
	v_cmp_ne_u16_sdwa s[10:11], v34, s8 src0_sel:BYTE_0 src1_sel:DWORD
	v_mov_b32_e32 v44, 0xffff8000
	s_and_saveexec_b64 s[8:9], s[10:11]
	s_cbranch_execz .LBB861_208
; %bb.205:
	s_movk_i32 s10, 0x7f
	v_and_b32_e32 v42, 0x7f, v34
	v_cmp_ne_u32_e32 vcc, s10, v42
	v_mov_b32_e32 v44, 0x7f80
	s_and_saveexec_b64 s[10:11], vcc
	s_cbranch_execz .LBB861_207
; %bb.206:
	v_and_b32_e32 v52, 7, v34
	v_ffbh_u32_e32 v44, v52
	v_min_u32_e32 v54, 32, v44
	v_subrev_u32_e32 v44, 28, v54
	v_lshlrev_b64 v[44:45], v44, v[34:35]
	v_lshrrev_b32_e32 v53, 3, v42
	v_sub_u32_e32 v45, 29, v54
	v_and_b32_e32 v44, 7, v44
	v_cmp_gt_u32_e32 vcc, 8, v42
	v_cndmask_b32_e32 v42, v53, v45, vcc
	v_cndmask_b32_e32 v44, v52, v44, vcc
	v_lshlrev_b32_e32 v45, 24, v34
	v_bfrev_b32_e32 v52, 60
	v_lshlrev_b32_e32 v44, 20, v44
	v_and_b32_e32 v45, 0x80000000, v45
	v_lshl_add_u32 v42, v42, 23, v52
	v_or3_b32 v42, v45, v42, v44
	v_lshrrev_b32_e32 v44, 16, v42
.LBB861_207:
	s_or_b64 exec, exec, s[10:11]
.LBB861_208:
	s_or_b64 exec, exec, s[8:9]
.LBB861_209:
	s_or_b64 exec, exec, s[2:3]
	v_lshrrev_b16_e32 v42, 8, v34
	v_cmp_ne_u16_e32 vcc, 0, v42
	s_and_saveexec_b64 s[2:3], vcc
	s_cbranch_execz .LBB861_215
; %bb.210:
	s_movk_i32 s8, 0x80
	v_cmp_ne_u16_e32 vcc, s8, v42
	v_mov_b32_e32 v43, 0xffff8000
	s_and_saveexec_b64 s[8:9], vcc
	s_cbranch_execz .LBB861_214
; %bb.211:
	s_movk_i32 s10, 0x7f
	v_and_b32_e32 v45, 0x7f, v42
	v_cmp_ne_u32_e32 vcc, s10, v45
	v_mov_b32_e32 v43, 0x7f80
	s_and_saveexec_b64 s[10:11], vcc
	s_cbranch_execz .LBB861_213
; %bb.212:
	v_and_b32_e32 v52, 7, v42
	v_ffbh_u32_e32 v43, v52
	v_min_u32_e32 v54, 32, v43
	v_subrev_u32_e32 v43, 28, v54
	v_lshlrev_b64 v[42:43], v43, v[42:43]
	v_lshrrev_b32_e32 v53, 3, v45
	v_sub_u32_e32 v43, 29, v54
	v_and_b32_e32 v42, 7, v42
	v_cmp_gt_u32_e32 vcc, 8, v45
	v_cndmask_b32_e32 v43, v53, v43, vcc
	v_cndmask_b32_e32 v42, v52, v42, vcc
	v_lshlrev_b32_e32 v45, 16, v34
	v_bfrev_b32_e32 v52, 60
	v_lshlrev_b32_e32 v42, 20, v42
	v_and_b32_e32 v45, 0x80000000, v45
	v_lshl_add_u32 v43, v43, 23, v52
	v_or3_b32 v42, v45, v43, v42
	v_lshrrev_b32_e32 v43, 16, v42
.LBB861_213:
	s_or_b64 exec, exec, s[10:11]
.LBB861_214:
	s_or_b64 exec, exec, s[8:9]
.LBB861_215:
	s_or_b64 exec, exec, s[2:3]
	s_movk_i32 s2, 0xff
	v_and_b32_sdwa v53, v34, s2 dst_sel:DWORD dst_unused:UNUSED_PAD src0_sel:WORD_1 src1_sel:DWORD
	v_lshrrev_b32_e32 v42, 16, v34
	v_cmp_ne_u16_e32 vcc, 0, v53
	v_mov_b32_e32 v45, 0
	v_mov_b32_e32 v52, 0
	s_and_saveexec_b64 s[2:3], vcc
	s_cbranch_execz .LBB861_221
; %bb.216:
	s_movk_i32 s8, 0x80
	v_cmp_ne_u16_e32 vcc, s8, v53
	v_mov_b32_e32 v52, 0xffff8000
	s_and_saveexec_b64 s[8:9], vcc
	s_cbranch_execz .LBB861_220
; %bb.217:
	v_bfe_u32 v53, v34, 16, 7
	s_movk_i32 s10, 0x7f
	v_cmp_ne_u32_e32 vcc, s10, v53
	v_mov_b32_e32 v52, 0x7f80
	s_and_saveexec_b64 s[10:11], vcc
	s_cbranch_execz .LBB861_219
; %bb.218:
	v_and_b32_e32 v52, 7, v42
	v_ffbh_u32_e32 v54, v52
	v_min_u32_e32 v57, 32, v54
	v_subrev_u32_e32 v54, 28, v57
	v_lshlrev_b64 v[54:55], v54, v[42:43]
	v_lshrrev_b32_e32 v56, 3, v53
	v_sub_u32_e32 v42, 29, v57
	v_and_b32_e32 v54, 7, v54
	v_cmp_gt_u32_e32 vcc, 8, v53
	v_mov_b32_e32 v53, 24
	v_cndmask_b32_e32 v42, v56, v42, vcc
	v_cndmask_b32_e32 v52, v52, v54, vcc
	v_lshlrev_b32_sdwa v53, v53, v34 dst_sel:DWORD dst_unused:UNUSED_PAD src0_sel:DWORD src1_sel:WORD_1
	v_bfrev_b32_e32 v54, 60
	v_lshlrev_b32_e32 v52, 20, v52
	v_and_b32_e32 v53, 0x80000000, v53
	v_lshl_add_u32 v42, v42, 23, v54
	v_or3_b32 v42, v53, v42, v52
	v_lshrrev_b32_e32 v52, 16, v42
.LBB861_219:
	s_or_b64 exec, exec, s[10:11]
.LBB861_220:
	s_or_b64 exec, exec, s[8:9]
.LBB861_221:
	s_or_b64 exec, exec, s[2:3]
	s_mov_b32 s2, 0xffffff
	v_cmp_lt_u32_e32 vcc, s2, v34
	s_and_saveexec_b64 s[2:3], vcc
	s_cbranch_execz .LBB861_227
; %bb.222:
	v_lshrrev_b32_e32 v42, 24, v34
	s_movk_i32 s8, 0x80
	v_cmp_ne_u32_e32 vcc, s8, v42
	v_mov_b32_e32 v45, 0xffff8000
	s_and_saveexec_b64 s[8:9], vcc
	s_cbranch_execz .LBB861_226
; %bb.223:
	v_bfe_u32 v34, v34, 24, 7
	s_movk_i32 s10, 0x7f
	v_cmp_ne_u32_e32 vcc, s10, v34
	v_mov_b32_e32 v45, 0x7f80
	s_and_saveexec_b64 s[10:11], vcc
	s_cbranch_execz .LBB861_225
; %bb.224:
	v_and_b32_e32 v45, 7, v42
	v_ffbh_u32_e32 v54, v45
	v_min_u32_e32 v56, 32, v54
	v_subrev_u32_e32 v54, 28, v56
	v_lshlrev_b64 v[54:55], v54, v[42:43]
	v_lshrrev_b32_e32 v53, 3, v34
	v_sub_u32_e32 v55, 29, v56
	v_and_b32_e32 v54, 7, v54
	v_cmp_gt_u32_e32 vcc, 8, v34
	v_cndmask_b32_e32 v34, v53, v55, vcc
	v_cndmask_b32_e32 v45, v45, v54, vcc
	v_lshlrev_b32_e32 v42, 24, v42
	v_bfrev_b32_e32 v53, 60
	v_lshlrev_b32_e32 v45, 20, v45
	v_and_b32_e32 v42, 0x80000000, v42
	v_lshl_add_u32 v34, v34, 23, v53
	v_or3_b32 v34, v42, v34, v45
	v_lshrrev_b32_e32 v45, 16, v34
.LBB861_225:
	s_or_b64 exec, exec, s[10:11]
.LBB861_226:
	s_or_b64 exec, exec, s[8:9]
.LBB861_227:
	s_or_b64 exec, exec, s[2:3]
	v_mov_b32_e32 v42, 0
	v_cmp_ne_u16_sdwa s[8:9], v35, v42 src0_sel:BYTE_0 src1_sel:DWORD
	v_mov_b32_e32 v53, 0
	s_and_saveexec_b64 s[2:3], s[8:9]
	s_cbranch_execz .LBB861_233
; %bb.228:
	s_movk_i32 s8, 0x80
	v_cmp_ne_u16_sdwa s[10:11], v35, s8 src0_sel:BYTE_0 src1_sel:DWORD
	v_mov_b32_e32 v53, 0xffff8000
	s_and_saveexec_b64 s[8:9], s[10:11]
	s_cbranch_execz .LBB861_232
; %bb.229:
	s_movk_i32 s10, 0x7f
	v_and_b32_e32 v34, 0x7f, v35
	v_cmp_ne_u32_e32 vcc, s10, v34
	v_mov_b32_e32 v53, 0x7f80
	s_and_saveexec_b64 s[10:11], vcc
	s_cbranch_execz .LBB861_231
; %bb.230:
	v_and_b32_e32 v53, 7, v35
	v_ffbh_u32_e32 v55, v53
	v_min_u32_e32 v57, 32, v55
	v_mov_b32_e32 v54, v35
	v_subrev_u32_e32 v55, 28, v57
	v_lshlrev_b64 v[54:55], v55, v[54:55]
	v_lshrrev_b32_e32 v56, 3, v34
	v_sub_u32_e32 v55, 29, v57
	v_and_b32_e32 v54, 7, v54
	v_cmp_gt_u32_e32 vcc, 8, v34
	v_cndmask_b32_e32 v34, v56, v55, vcc
	v_cndmask_b32_e32 v53, v53, v54, vcc
	v_lshlrev_b32_e32 v54, 24, v35
	v_bfrev_b32_e32 v55, 60
	v_lshlrev_b32_e32 v53, 20, v53
	v_and_b32_e32 v54, 0x80000000, v54
	v_lshl_add_u32 v34, v34, 23, v55
	v_or3_b32 v34, v54, v34, v53
	v_lshrrev_b32_e32 v53, 16, v34
.LBB861_231:
	s_or_b64 exec, exec, s[10:11]
.LBB861_232:
	s_or_b64 exec, exec, s[8:9]
.LBB861_233:
	s_or_b64 exec, exec, s[2:3]
	v_lshrrev_b16_e32 v34, 8, v35
	v_cmp_ne_u16_e32 vcc, 0, v34
	s_and_saveexec_b64 s[2:3], vcc
	s_cbranch_execz .LBB861_239
; %bb.234:
	s_movk_i32 s8, 0x80
	v_cmp_ne_u16_e32 vcc, s8, v34
	v_mov_b32_e32 v42, 0xffff8000
	s_and_saveexec_b64 s[8:9], vcc
	s_cbranch_execz .LBB861_238
; %bb.235:
	s_movk_i32 s10, 0x7f
	v_and_b32_e32 v54, 0x7f, v34
	v_cmp_ne_u32_e32 vcc, s10, v54
	v_mov_b32_e32 v42, 0x7f80
	s_and_saveexec_b64 s[10:11], vcc
	s_cbranch_execz .LBB861_237
; %bb.236:
	v_and_b32_e32 v42, 7, v34
	v_ffbh_u32_e32 v56, v42
	v_min_u32_e32 v58, 32, v56
	v_subrev_u32_e32 v56, 28, v58
	v_lshlrev_b64 v[56:57], v56, v[34:35]
	v_lshrrev_b32_e32 v55, 3, v54
	v_sub_u32_e32 v34, 29, v58
	v_and_b32_e32 v56, 7, v56
	v_cmp_gt_u32_e32 vcc, 8, v54
	v_cndmask_b32_e32 v34, v55, v34, vcc
	v_cndmask_b32_e32 v42, v42, v56, vcc
	v_lshlrev_b32_e32 v54, 16, v35
	v_bfrev_b32_e32 v55, 60
	v_lshlrev_b32_e32 v42, 20, v42
	v_and_b32_e32 v54, 0x80000000, v54
	v_lshl_add_u32 v34, v34, 23, v55
	v_or3_b32 v34, v54, v34, v42
	v_lshrrev_b32_e32 v42, 16, v34
.LBB861_237:
	s_or_b64 exec, exec, s[10:11]
.LBB861_238:
	s_or_b64 exec, exec, s[8:9]
.LBB861_239:
	s_or_b64 exec, exec, s[2:3]
	s_movk_i32 s2, 0xff
	v_and_b32_sdwa v56, v35, s2 dst_sel:DWORD dst_unused:UNUSED_PAD src0_sel:WORD_1 src1_sel:DWORD
	v_lshrrev_b32_e32 v34, 16, v35
	v_cmp_ne_u16_e32 vcc, 0, v56
	v_mov_b32_e32 v54, 0
	v_mov_b32_e32 v55, 0
	s_and_saveexec_b64 s[2:3], vcc
	s_cbranch_execz .LBB861_245
; %bb.240:
	s_movk_i32 s8, 0x80
	v_cmp_ne_u16_e32 vcc, s8, v56
	v_mov_b32_e32 v55, 0xffff8000
	s_and_saveexec_b64 s[8:9], vcc
	s_cbranch_execz .LBB861_244
; %bb.241:
	v_bfe_u32 v56, v35, 16, 7
	s_movk_i32 s10, 0x7f
	v_cmp_ne_u32_e32 vcc, s10, v56
	v_mov_b32_e32 v55, 0x7f80
	s_and_saveexec_b64 s[10:11], vcc
	s_cbranch_execz .LBB861_243
; %bb.242:
	v_and_b32_e32 v55, 7, v34
	v_ffbh_u32_e32 v58, v55
	v_min_u32_e32 v60, 32, v58
	v_subrev_u32_e32 v58, 28, v60
	v_lshlrev_b64 v[58:59], v58, v[34:35]
	v_lshrrev_b32_e32 v57, 3, v56
	v_sub_u32_e32 v34, 29, v60
	v_and_b32_e32 v58, 7, v58
	v_cmp_gt_u32_e32 vcc, 8, v56
	v_mov_b32_e32 v56, 24
	v_cndmask_b32_e32 v34, v57, v34, vcc
	v_cndmask_b32_e32 v55, v55, v58, vcc
	v_lshlrev_b32_sdwa v56, v56, v35 dst_sel:DWORD dst_unused:UNUSED_PAD src0_sel:DWORD src1_sel:WORD_1
	v_bfrev_b32_e32 v57, 60
	v_lshlrev_b32_e32 v55, 20, v55
	v_and_b32_e32 v56, 0x80000000, v56
	v_lshl_add_u32 v34, v34, 23, v57
	v_or3_b32 v34, v56, v34, v55
	v_lshrrev_b32_e32 v55, 16, v34
.LBB861_243:
	s_or_b64 exec, exec, s[10:11]
.LBB861_244:
	s_or_b64 exec, exec, s[8:9]
.LBB861_245:
	s_or_b64 exec, exec, s[2:3]
	s_mov_b32 s2, 0xffffff
	v_cmp_lt_u32_e32 vcc, s2, v35
	s_and_saveexec_b64 s[2:3], vcc
	s_cbranch_execz .LBB861_251
; %bb.246:
	v_lshrrev_b32_e32 v34, 24, v35
	s_movk_i32 s8, 0x80
	v_cmp_ne_u32_e32 vcc, s8, v34
	v_mov_b32_e32 v54, 0xffff8000
	s_and_saveexec_b64 s[8:9], vcc
	s_cbranch_execz .LBB861_250
; %bb.247:
	v_bfe_u32 v35, v35, 24, 7
	s_movk_i32 s10, 0x7f
	v_cmp_ne_u32_e32 vcc, s10, v35
	v_mov_b32_e32 v54, 0x7f80
	s_and_saveexec_b64 s[10:11], vcc
	s_cbranch_execz .LBB861_249
; %bb.248:
	v_and_b32_e32 v54, 7, v34
	v_ffbh_u32_e32 v56, v54
	v_min_u32_e32 v59, 32, v56
	v_subrev_u32_e32 v56, 28, v59
	v_lshlrev_b64 v[56:57], v56, v[34:35]
	v_lshrrev_b32_e32 v58, 3, v35
	v_sub_u32_e32 v57, 29, v59
	v_and_b32_e32 v56, 7, v56
	v_cmp_gt_u32_e32 vcc, 8, v35
	v_cndmask_b32_e32 v35, v58, v57, vcc
	v_cndmask_b32_e32 v54, v54, v56, vcc
	v_lshlrev_b32_e32 v34, 24, v34
	v_bfrev_b32_e32 v56, 60
	v_lshlrev_b32_e32 v54, 20, v54
	v_and_b32_e32 v34, 0x80000000, v34
	v_lshl_add_u32 v35, v35, 23, v56
	v_or3_b32 v34, v34, v35, v54
	v_lshrrev_b32_e32 v54, 16, v34
.LBB861_249:
	s_or_b64 exec, exec, s[10:11]
.LBB861_250:
	s_or_b64 exec, exec, s[8:9]
.LBB861_251:
	s_or_b64 exec, exec, s[2:3]
	s_mov_b32 s2, 0x5040100
	v_perm_b32 v35, v45, v52, s2
	v_perm_b32 v34, v43, v44, s2
	;; [unrolled: 1-line block ×4, first 2 shown]
	v_mov_b32_e32 v52, 0
	v_mfma_f32_16x16x16bf16_1k v[56:59], v[34:35], v[26:27], 0
	v_mov_b32_e32 v35, 0
	v_cmp_ne_u16_sdwa s[8:9], v36, v35 src0_sel:BYTE_0 src1_sel:DWORD
	v_mfma_f32_16x16x16bf16_1k v[42:45], v[42:43], v[28:29], v[56:59]
	s_and_saveexec_b64 s[2:3], s[8:9]
	s_cbranch_execz .LBB861_257
; %bb.252:
	s_movk_i32 s8, 0x80
	v_cmp_ne_u16_sdwa s[10:11], v36, s8 src0_sel:BYTE_0 src1_sel:DWORD
	v_mov_b32_e32 v52, 0xffff8000
	s_and_saveexec_b64 s[8:9], s[10:11]
	s_cbranch_execz .LBB861_256
; %bb.253:
	s_movk_i32 s10, 0x7f
	v_and_b32_e32 v34, 0x7f, v36
	v_cmp_ne_u32_e32 vcc, s10, v34
	v_mov_b32_e32 v52, 0x7f80
	s_and_saveexec_b64 s[10:11], vcc
	s_cbranch_execz .LBB861_255
; %bb.254:
	v_and_b32_e32 v54, 7, v36
	v_ffbh_u32_e32 v52, v54
	v_min_u32_e32 v56, 32, v52
	v_subrev_u32_e32 v52, 28, v56
	v_lshlrev_b64 v[52:53], v52, v[36:37]
	v_lshrrev_b32_e32 v55, 3, v34
	v_sub_u32_e32 v53, 29, v56
	v_and_b32_e32 v52, 7, v52
	v_cmp_gt_u32_e32 vcc, 8, v34
	v_cndmask_b32_e32 v34, v55, v53, vcc
	v_cndmask_b32_e32 v52, v54, v52, vcc
	v_lshlrev_b32_e32 v53, 24, v36
	v_bfrev_b32_e32 v54, 60
	v_lshlrev_b32_e32 v52, 20, v52
	v_and_b32_e32 v53, 0x80000000, v53
	v_lshl_add_u32 v34, v34, 23, v54
	v_or3_b32 v34, v53, v34, v52
	v_lshrrev_b32_e32 v52, 16, v34
.LBB861_255:
	s_or_b64 exec, exec, s[10:11]
.LBB861_256:
	s_or_b64 exec, exec, s[8:9]
.LBB861_257:
	s_or_b64 exec, exec, s[2:3]
	v_lshrrev_b16_e32 v34, 8, v36
	v_cmp_ne_u16_e32 vcc, 0, v34
	s_and_saveexec_b64 s[2:3], vcc
	s_cbranch_execz .LBB861_263
; %bb.258:
	s_movk_i32 s8, 0x80
	v_cmp_ne_u16_e32 vcc, s8, v34
	v_mov_b32_e32 v35, 0xffff8000
	s_and_saveexec_b64 s[8:9], vcc
	s_cbranch_execz .LBB861_262
; %bb.259:
	s_movk_i32 s10, 0x7f
	v_and_b32_e32 v53, 0x7f, v34
	v_cmp_ne_u32_e32 vcc, s10, v53
	v_mov_b32_e32 v35, 0x7f80
	s_and_saveexec_b64 s[10:11], vcc
	s_cbranch_execz .LBB861_261
; %bb.260:
	v_and_b32_e32 v54, 7, v34
	v_ffbh_u32_e32 v35, v54
	v_min_u32_e32 v56, 32, v35
	v_subrev_u32_e32 v35, 28, v56
	v_lshlrev_b64 v[34:35], v35, v[34:35]
	v_lshrrev_b32_e32 v55, 3, v53
	v_sub_u32_e32 v35, 29, v56
	v_and_b32_e32 v34, 7, v34
	v_cmp_gt_u32_e32 vcc, 8, v53
	v_cndmask_b32_e32 v35, v55, v35, vcc
	v_cndmask_b32_e32 v34, v54, v34, vcc
	v_lshlrev_b32_e32 v53, 16, v36
	v_bfrev_b32_e32 v54, 60
	v_lshlrev_b32_e32 v34, 20, v34
	v_and_b32_e32 v53, 0x80000000, v53
	v_lshl_add_u32 v35, v35, 23, v54
	v_or3_b32 v34, v53, v35, v34
	v_lshrrev_b32_e32 v35, 16, v34
.LBB861_261:
	s_or_b64 exec, exec, s[10:11]
.LBB861_262:
	s_or_b64 exec, exec, s[8:9]
.LBB861_263:
	s_or_b64 exec, exec, s[2:3]
	s_movk_i32 s2, 0xff
	v_and_b32_sdwa v55, v36, s2 dst_sel:DWORD dst_unused:UNUSED_PAD src0_sel:WORD_1 src1_sel:DWORD
	v_lshrrev_b32_e32 v34, 16, v36
	v_cmp_ne_u16_e32 vcc, 0, v55
	v_mov_b32_e32 v53, 0
	v_mov_b32_e32 v54, 0
	s_and_saveexec_b64 s[2:3], vcc
	s_cbranch_execz .LBB861_269
; %bb.264:
	s_movk_i32 s8, 0x80
	v_cmp_ne_u16_e32 vcc, s8, v55
	v_mov_b32_e32 v54, 0xffff8000
	s_and_saveexec_b64 s[8:9], vcc
	s_cbranch_execz .LBB861_268
; %bb.265:
	v_bfe_u32 v55, v36, 16, 7
	s_movk_i32 s10, 0x7f
	v_cmp_ne_u32_e32 vcc, s10, v55
	v_mov_b32_e32 v54, 0x7f80
	s_and_saveexec_b64 s[10:11], vcc
	s_cbranch_execz .LBB861_267
; %bb.266:
	v_and_b32_e32 v54, 7, v34
	v_ffbh_u32_e32 v56, v54
	v_min_u32_e32 v59, 32, v56
	v_subrev_u32_e32 v56, 28, v59
	v_lshlrev_b64 v[56:57], v56, v[34:35]
	v_lshrrev_b32_e32 v58, 3, v55
	v_sub_u32_e32 v34, 29, v59
	v_and_b32_e32 v56, 7, v56
	v_cmp_gt_u32_e32 vcc, 8, v55
	v_mov_b32_e32 v55, 24
	v_cndmask_b32_e32 v34, v58, v34, vcc
	v_cndmask_b32_e32 v54, v54, v56, vcc
	v_lshlrev_b32_sdwa v55, v55, v36 dst_sel:DWORD dst_unused:UNUSED_PAD src0_sel:DWORD src1_sel:WORD_1
	v_bfrev_b32_e32 v56, 60
	v_lshlrev_b32_e32 v54, 20, v54
	v_and_b32_e32 v55, 0x80000000, v55
	v_lshl_add_u32 v34, v34, 23, v56
	v_or3_b32 v34, v55, v34, v54
	v_lshrrev_b32_e32 v54, 16, v34
.LBB861_267:
	s_or_b64 exec, exec, s[10:11]
.LBB861_268:
	s_or_b64 exec, exec, s[8:9]
.LBB861_269:
	s_or_b64 exec, exec, s[2:3]
	s_mov_b32 s2, 0xffffff
	v_cmp_lt_u32_e32 vcc, s2, v36
	s_and_saveexec_b64 s[2:3], vcc
	s_cbranch_execz .LBB861_275
; %bb.270:
	v_lshrrev_b32_e32 v34, 24, v36
	s_movk_i32 s8, 0x80
	v_cmp_ne_u32_e32 vcc, s8, v34
	v_mov_b32_e32 v53, 0xffff8000
	s_and_saveexec_b64 s[8:9], vcc
	s_cbranch_execz .LBB861_274
; %bb.271:
	v_bfe_u32 v36, v36, 24, 7
	s_movk_i32 s10, 0x7f
	v_cmp_ne_u32_e32 vcc, s10, v36
	v_mov_b32_e32 v53, 0x7f80
	s_and_saveexec_b64 s[10:11], vcc
	s_cbranch_execz .LBB861_273
; %bb.272:
	v_and_b32_e32 v53, 7, v34
	v_ffbh_u32_e32 v56, v53
	v_min_u32_e32 v58, 32, v56
	v_subrev_u32_e32 v56, 28, v58
	v_lshlrev_b64 v[56:57], v56, v[34:35]
	v_lshrrev_b32_e32 v55, 3, v36
	v_sub_u32_e32 v57, 29, v58
	v_and_b32_e32 v56, 7, v56
	v_cmp_gt_u32_e32 vcc, 8, v36
	v_cndmask_b32_e32 v36, v55, v57, vcc
	v_cndmask_b32_e32 v53, v53, v56, vcc
	v_lshlrev_b32_e32 v34, 24, v34
	v_bfrev_b32_e32 v55, 60
	v_lshlrev_b32_e32 v53, 20, v53
	v_and_b32_e32 v34, 0x80000000, v34
	v_lshl_add_u32 v36, v36, 23, v55
	v_or3_b32 v34, v34, v36, v53
	v_lshrrev_b32_e32 v53, 16, v34
.LBB861_273:
	s_or_b64 exec, exec, s[10:11]
.LBB861_274:
	s_or_b64 exec, exec, s[8:9]
.LBB861_275:
	s_or_b64 exec, exec, s[2:3]
	v_mov_b32_e32 v36, 0
	v_cmp_ne_u16_sdwa s[8:9], v37, v36 src0_sel:BYTE_0 src1_sel:DWORD
	v_mov_b32_e32 v55, 0
	s_and_saveexec_b64 s[2:3], s[8:9]
	s_cbranch_execz .LBB861_281
; %bb.276:
	s_movk_i32 s8, 0x80
	v_cmp_ne_u16_sdwa s[10:11], v37, s8 src0_sel:BYTE_0 src1_sel:DWORD
	v_mov_b32_e32 v55, 0xffff8000
	s_and_saveexec_b64 s[8:9], s[10:11]
	s_cbranch_execz .LBB861_280
; %bb.277:
	s_movk_i32 s10, 0x7f
	v_and_b32_e32 v34, 0x7f, v37
	v_cmp_ne_u32_e32 vcc, s10, v34
	v_mov_b32_e32 v55, 0x7f80
	s_and_saveexec_b64 s[10:11], vcc
	s_cbranch_execz .LBB861_279
; %bb.278:
	v_and_b32_e32 v55, 7, v37
	v_ffbh_u32_e32 v57, v55
	v_min_u32_e32 v59, 32, v57
	v_mov_b32_e32 v56, v37
	v_subrev_u32_e32 v57, 28, v59
	v_lshlrev_b64 v[56:57], v57, v[56:57]
	v_lshrrev_b32_e32 v58, 3, v34
	v_sub_u32_e32 v57, 29, v59
	v_and_b32_e32 v56, 7, v56
	v_cmp_gt_u32_e32 vcc, 8, v34
	v_cndmask_b32_e32 v34, v58, v57, vcc
	v_cndmask_b32_e32 v55, v55, v56, vcc
	v_lshlrev_b32_e32 v56, 24, v37
	v_bfrev_b32_e32 v57, 60
	v_lshlrev_b32_e32 v55, 20, v55
	v_and_b32_e32 v56, 0x80000000, v56
	v_lshl_add_u32 v34, v34, 23, v57
	v_or3_b32 v34, v56, v34, v55
	v_lshrrev_b32_e32 v55, 16, v34
.LBB861_279:
	s_or_b64 exec, exec, s[10:11]
.LBB861_280:
	s_or_b64 exec, exec, s[8:9]
.LBB861_281:
	s_or_b64 exec, exec, s[2:3]
	v_lshrrev_b16_e32 v34, 8, v37
	v_cmp_ne_u16_e32 vcc, 0, v34
	s_and_saveexec_b64 s[2:3], vcc
	s_cbranch_execz .LBB861_287
; %bb.282:
	s_movk_i32 s8, 0x80
	v_cmp_ne_u16_e32 vcc, s8, v34
	v_mov_b32_e32 v36, 0xffff8000
	s_and_saveexec_b64 s[8:9], vcc
	s_cbranch_execz .LBB861_286
; %bb.283:
	s_movk_i32 s10, 0x7f
	v_and_b32_e32 v56, 0x7f, v34
	v_cmp_ne_u32_e32 vcc, s10, v56
	v_mov_b32_e32 v36, 0x7f80
	s_and_saveexec_b64 s[10:11], vcc
	s_cbranch_execz .LBB861_285
; %bb.284:
	v_and_b32_e32 v36, 7, v34
	v_ffbh_u32_e32 v58, v36
	v_min_u32_e32 v60, 32, v58
	v_subrev_u32_e32 v58, 28, v60
	v_lshlrev_b64 v[58:59], v58, v[34:35]
	v_lshrrev_b32_e32 v57, 3, v56
	v_sub_u32_e32 v34, 29, v60
	v_and_b32_e32 v58, 7, v58
	v_cmp_gt_u32_e32 vcc, 8, v56
	v_cndmask_b32_e32 v34, v57, v34, vcc
	v_cndmask_b32_e32 v36, v36, v58, vcc
	v_lshlrev_b32_e32 v56, 16, v37
	v_bfrev_b32_e32 v57, 60
	v_lshlrev_b32_e32 v36, 20, v36
	v_and_b32_e32 v56, 0x80000000, v56
	v_lshl_add_u32 v34, v34, 23, v57
	v_or3_b32 v34, v56, v34, v36
	v_lshrrev_b32_e32 v36, 16, v34
.LBB861_285:
	s_or_b64 exec, exec, s[10:11]
.LBB861_286:
	s_or_b64 exec, exec, s[8:9]
.LBB861_287:
	s_or_b64 exec, exec, s[2:3]
	s_movk_i32 s2, 0xff
	v_and_b32_sdwa v58, v37, s2 dst_sel:DWORD dst_unused:UNUSED_PAD src0_sel:WORD_1 src1_sel:DWORD
	v_lshrrev_b32_e32 v34, 16, v37
	v_cmp_ne_u16_e32 vcc, 0, v58
	v_mov_b32_e32 v56, 0
	v_mov_b32_e32 v57, 0
	s_and_saveexec_b64 s[2:3], vcc
	s_cbranch_execz .LBB861_293
; %bb.288:
	s_movk_i32 s8, 0x80
	v_cmp_ne_u16_e32 vcc, s8, v58
	v_mov_b32_e32 v57, 0xffff8000
	s_and_saveexec_b64 s[8:9], vcc
	s_cbranch_execz .LBB861_292
; %bb.289:
	v_bfe_u32 v58, v37, 16, 7
	s_movk_i32 s10, 0x7f
	v_cmp_ne_u32_e32 vcc, s10, v58
	v_mov_b32_e32 v57, 0x7f80
	s_and_saveexec_b64 s[10:11], vcc
	s_cbranch_execz .LBB861_291
; %bb.290:
	v_and_b32_e32 v57, 7, v34
	v_ffbh_u32_e32 v60, v57
	v_min_u32_e32 v62, 32, v60
	v_subrev_u32_e32 v60, 28, v62
	v_lshlrev_b64 v[60:61], v60, v[34:35]
	v_lshrrev_b32_e32 v59, 3, v58
	v_sub_u32_e32 v34, 29, v62
	v_and_b32_e32 v60, 7, v60
	v_cmp_gt_u32_e32 vcc, 8, v58
	v_mov_b32_e32 v58, 24
	v_cndmask_b32_e32 v34, v59, v34, vcc
	v_cndmask_b32_e32 v57, v57, v60, vcc
	v_lshlrev_b32_sdwa v58, v58, v37 dst_sel:DWORD dst_unused:UNUSED_PAD src0_sel:DWORD src1_sel:WORD_1
	v_bfrev_b32_e32 v59, 60
	v_lshlrev_b32_e32 v57, 20, v57
	v_and_b32_e32 v58, 0x80000000, v58
	v_lshl_add_u32 v34, v34, 23, v59
	v_or3_b32 v34, v58, v34, v57
	v_lshrrev_b32_e32 v57, 16, v34
.LBB861_291:
	s_or_b64 exec, exec, s[10:11]
.LBB861_292:
	s_or_b64 exec, exec, s[8:9]
.LBB861_293:
	s_or_b64 exec, exec, s[2:3]
	s_mov_b32 s2, 0xffffff
	v_cmp_lt_u32_e32 vcc, s2, v37
	s_and_saveexec_b64 s[2:3], vcc
	s_cbranch_execz .LBB861_299
; %bb.294:
	v_lshrrev_b32_e32 v34, 24, v37
	s_movk_i32 s8, 0x80
	v_cmp_ne_u32_e32 vcc, s8, v34
	v_mov_b32_e32 v56, 0xffff8000
	s_and_saveexec_b64 s[8:9], vcc
	s_cbranch_execz .LBB861_298
; %bb.295:
	v_bfe_u32 v37, v37, 24, 7
	s_movk_i32 s10, 0x7f
	v_cmp_ne_u32_e32 vcc, s10, v37
	v_mov_b32_e32 v56, 0x7f80
	s_and_saveexec_b64 s[10:11], vcc
	s_cbranch_execz .LBB861_297
; %bb.296:
	v_and_b32_e32 v56, 7, v34
	v_ffbh_u32_e32 v58, v56
	v_min_u32_e32 v61, 32, v58
	v_subrev_u32_e32 v58, 28, v61
	v_lshlrev_b64 v[58:59], v58, v[34:35]
	v_lshrrev_b32_e32 v60, 3, v37
	v_sub_u32_e32 v59, 29, v61
	v_and_b32_e32 v58, 7, v58
	v_cmp_gt_u32_e32 vcc, 8, v37
	v_cndmask_b32_e32 v37, v60, v59, vcc
	v_cndmask_b32_e32 v56, v56, v58, vcc
	v_lshlrev_b32_e32 v34, 24, v34
	v_bfrev_b32_e32 v58, 60
	v_lshlrev_b32_e32 v56, 20, v56
	v_and_b32_e32 v34, 0x80000000, v34
	v_lshl_add_u32 v37, v37, 23, v58
	v_or3_b32 v34, v34, v37, v56
	v_lshrrev_b32_e32 v56, 16, v34
.LBB861_297:
	s_or_b64 exec, exec, s[10:11]
.LBB861_298:
	s_or_b64 exec, exec, s[8:9]
.LBB861_299:
	s_or_b64 exec, exec, s[2:3]
	s_mov_b32 s2, 0x5040100
	v_perm_b32 v53, v53, v54, s2
	v_perm_b32 v52, v35, v52, s2
	;; [unrolled: 1-line block ×4, first 2 shown]
	v_mfma_f32_16x16x16bf16_1k v[58:61], v[52:53], v[18:19], v[42:45]
	s_nop 6
	v_mov_b32_e32 v43, 0
	s_waitcnt vmcnt(4)
	v_cmp_ne_u16_sdwa s[8:9], v22, v43 src0_sel:BYTE_0 src1_sel:DWORD
	v_mfma_f32_16x16x16bf16_1k v[34:37], v[34:35], v[20:21], v[58:61]
	v_mov_b32_e32 v44, 0
	s_and_saveexec_b64 s[2:3], s[8:9]
	s_cbranch_execz .LBB861_305
; %bb.300:
	s_movk_i32 s8, 0x80
	v_cmp_ne_u16_sdwa s[10:11], v22, s8 src0_sel:BYTE_0 src1_sel:DWORD
	v_mov_b32_e32 v44, 0xffff8000
	s_and_saveexec_b64 s[8:9], s[10:11]
	s_cbranch_execz .LBB861_304
; %bb.301:
	s_movk_i32 s10, 0x7f
	v_and_b32_e32 v42, 0x7f, v22
	v_cmp_ne_u32_e32 vcc, s10, v42
	v_mov_b32_e32 v44, 0x7f80
	s_and_saveexec_b64 s[10:11], vcc
	s_cbranch_execz .LBB861_303
; %bb.302:
	v_and_b32_e32 v52, 7, v22
	v_ffbh_u32_e32 v44, v52
	v_min_u32_e32 v54, 32, v44
	v_subrev_u32_e32 v44, 28, v54
	v_lshlrev_b64 v[44:45], v44, v[22:23]
	v_lshrrev_b32_e32 v53, 3, v42
	v_sub_u32_e32 v45, 29, v54
	v_and_b32_e32 v44, 7, v44
	v_cmp_gt_u32_e32 vcc, 8, v42
	v_cndmask_b32_e32 v42, v53, v45, vcc
	v_cndmask_b32_e32 v44, v52, v44, vcc
	v_lshlrev_b32_e32 v45, 24, v22
	v_bfrev_b32_e32 v52, 60
	v_lshlrev_b32_e32 v44, 20, v44
	v_and_b32_e32 v45, 0x80000000, v45
	v_lshl_add_u32 v42, v42, 23, v52
	v_or3_b32 v42, v45, v42, v44
	v_lshrrev_b32_e32 v44, 16, v42
.LBB861_303:
	s_or_b64 exec, exec, s[10:11]
.LBB861_304:
	s_or_b64 exec, exec, s[8:9]
.LBB861_305:
	s_or_b64 exec, exec, s[2:3]
	v_lshrrev_b16_e32 v42, 8, v22
	v_cmp_ne_u16_e32 vcc, 0, v42
	s_and_saveexec_b64 s[2:3], vcc
	s_cbranch_execz .LBB861_311
; %bb.306:
	s_movk_i32 s8, 0x80
	v_cmp_ne_u16_e32 vcc, s8, v42
	v_mov_b32_e32 v43, 0xffff8000
	s_and_saveexec_b64 s[8:9], vcc
	s_cbranch_execz .LBB861_310
; %bb.307:
	s_movk_i32 s10, 0x7f
	v_and_b32_e32 v45, 0x7f, v42
	v_cmp_ne_u32_e32 vcc, s10, v45
	v_mov_b32_e32 v43, 0x7f80
	s_and_saveexec_b64 s[10:11], vcc
	s_cbranch_execz .LBB861_309
; %bb.308:
	v_and_b32_e32 v52, 7, v42
	v_ffbh_u32_e32 v43, v52
	v_min_u32_e32 v54, 32, v43
	v_subrev_u32_e32 v43, 28, v54
	v_lshlrev_b64 v[42:43], v43, v[42:43]
	v_lshrrev_b32_e32 v53, 3, v45
	v_sub_u32_e32 v43, 29, v54
	v_and_b32_e32 v42, 7, v42
	v_cmp_gt_u32_e32 vcc, 8, v45
	v_cndmask_b32_e32 v43, v53, v43, vcc
	v_cndmask_b32_e32 v42, v52, v42, vcc
	v_lshlrev_b32_e32 v45, 16, v22
	v_bfrev_b32_e32 v52, 60
	v_lshlrev_b32_e32 v42, 20, v42
	v_and_b32_e32 v45, 0x80000000, v45
	v_lshl_add_u32 v43, v43, 23, v52
	v_or3_b32 v42, v45, v43, v42
	v_lshrrev_b32_e32 v43, 16, v42
.LBB861_309:
	s_or_b64 exec, exec, s[10:11]
.LBB861_310:
	s_or_b64 exec, exec, s[8:9]
.LBB861_311:
	s_or_b64 exec, exec, s[2:3]
	s_movk_i32 s2, 0xff
	v_and_b32_sdwa v53, v22, s2 dst_sel:DWORD dst_unused:UNUSED_PAD src0_sel:WORD_1 src1_sel:DWORD
	v_lshrrev_b32_e32 v42, 16, v22
	v_cmp_ne_u16_e32 vcc, 0, v53
	v_mov_b32_e32 v45, 0
	v_mov_b32_e32 v52, 0
	s_and_saveexec_b64 s[2:3], vcc
	s_cbranch_execz .LBB861_317
; %bb.312:
	s_movk_i32 s8, 0x80
	v_cmp_ne_u16_e32 vcc, s8, v53
	v_mov_b32_e32 v52, 0xffff8000
	s_and_saveexec_b64 s[8:9], vcc
	s_cbranch_execz .LBB861_316
; %bb.313:
	v_bfe_u32 v53, v22, 16, 7
	s_movk_i32 s10, 0x7f
	v_cmp_ne_u32_e32 vcc, s10, v53
	v_mov_b32_e32 v52, 0x7f80
	s_and_saveexec_b64 s[10:11], vcc
	s_cbranch_execz .LBB861_315
; %bb.314:
	v_and_b32_e32 v52, 7, v42
	v_ffbh_u32_e32 v54, v52
	v_min_u32_e32 v57, 32, v54
	v_subrev_u32_e32 v54, 28, v57
	v_lshlrev_b64 v[54:55], v54, v[42:43]
	v_lshrrev_b32_e32 v56, 3, v53
	v_sub_u32_e32 v42, 29, v57
	v_and_b32_e32 v54, 7, v54
	v_cmp_gt_u32_e32 vcc, 8, v53
	v_mov_b32_e32 v53, 24
	v_cndmask_b32_e32 v42, v56, v42, vcc
	v_cndmask_b32_e32 v52, v52, v54, vcc
	v_lshlrev_b32_sdwa v53, v53, v22 dst_sel:DWORD dst_unused:UNUSED_PAD src0_sel:DWORD src1_sel:WORD_1
	v_bfrev_b32_e32 v54, 60
	v_lshlrev_b32_e32 v52, 20, v52
	v_and_b32_e32 v53, 0x80000000, v53
	v_lshl_add_u32 v42, v42, 23, v54
	v_or3_b32 v42, v53, v42, v52
	v_lshrrev_b32_e32 v52, 16, v42
.LBB861_315:
	s_or_b64 exec, exec, s[10:11]
.LBB861_316:
	s_or_b64 exec, exec, s[8:9]
.LBB861_317:
	s_or_b64 exec, exec, s[2:3]
	s_mov_b32 s2, 0xffffff
	v_cmp_lt_u32_e32 vcc, s2, v22
	s_and_saveexec_b64 s[2:3], vcc
	s_cbranch_execz .LBB861_323
; %bb.318:
	v_lshrrev_b32_e32 v42, 24, v22
	s_movk_i32 s8, 0x80
	v_cmp_ne_u32_e32 vcc, s8, v42
	v_mov_b32_e32 v45, 0xffff8000
	s_and_saveexec_b64 s[8:9], vcc
	s_cbranch_execz .LBB861_322
; %bb.319:
	v_bfe_u32 v22, v22, 24, 7
	s_movk_i32 s10, 0x7f
	v_cmp_ne_u32_e32 vcc, s10, v22
	v_mov_b32_e32 v45, 0x7f80
	s_and_saveexec_b64 s[10:11], vcc
	s_cbranch_execz .LBB861_321
; %bb.320:
	v_and_b32_e32 v45, 7, v42
	v_ffbh_u32_e32 v54, v45
	v_min_u32_e32 v56, 32, v54
	v_subrev_u32_e32 v54, 28, v56
	v_lshlrev_b64 v[54:55], v54, v[42:43]
	v_lshrrev_b32_e32 v53, 3, v22
	v_sub_u32_e32 v55, 29, v56
	v_and_b32_e32 v54, 7, v54
	v_cmp_gt_u32_e32 vcc, 8, v22
	v_cndmask_b32_e32 v22, v53, v55, vcc
	v_cndmask_b32_e32 v45, v45, v54, vcc
	v_lshlrev_b32_e32 v42, 24, v42
	v_bfrev_b32_e32 v53, 60
	v_lshlrev_b32_e32 v45, 20, v45
	v_and_b32_e32 v42, 0x80000000, v42
	v_lshl_add_u32 v22, v22, 23, v53
	v_or3_b32 v22, v42, v22, v45
	v_lshrrev_b32_e32 v45, 16, v22
.LBB861_321:
	s_or_b64 exec, exec, s[10:11]
.LBB861_322:
	s_or_b64 exec, exec, s[8:9]
.LBB861_323:
	s_or_b64 exec, exec, s[2:3]
	v_mov_b32_e32 v42, 0
	v_cmp_ne_u16_sdwa s[8:9], v23, v42 src0_sel:BYTE_0 src1_sel:DWORD
	v_mov_b32_e32 v53, 0
	s_and_saveexec_b64 s[2:3], s[8:9]
	s_cbranch_execz .LBB861_329
; %bb.324:
	s_movk_i32 s8, 0x80
	v_cmp_ne_u16_sdwa s[10:11], v23, s8 src0_sel:BYTE_0 src1_sel:DWORD
	v_mov_b32_e32 v53, 0xffff8000
	s_and_saveexec_b64 s[8:9], s[10:11]
	s_cbranch_execz .LBB861_328
; %bb.325:
	s_movk_i32 s10, 0x7f
	v_and_b32_e32 v22, 0x7f, v23
	v_cmp_ne_u32_e32 vcc, s10, v22
	v_mov_b32_e32 v53, 0x7f80
	s_and_saveexec_b64 s[10:11], vcc
	s_cbranch_execz .LBB861_327
; %bb.326:
	v_and_b32_e32 v53, 7, v23
	v_ffbh_u32_e32 v55, v53
	v_min_u32_e32 v57, 32, v55
	v_mov_b32_e32 v54, v23
	v_subrev_u32_e32 v55, 28, v57
	v_lshlrev_b64 v[54:55], v55, v[54:55]
	v_lshrrev_b32_e32 v56, 3, v22
	v_sub_u32_e32 v55, 29, v57
	v_and_b32_e32 v54, 7, v54
	v_cmp_gt_u32_e32 vcc, 8, v22
	v_cndmask_b32_e32 v22, v56, v55, vcc
	v_cndmask_b32_e32 v53, v53, v54, vcc
	v_lshlrev_b32_e32 v54, 24, v23
	v_bfrev_b32_e32 v55, 60
	v_lshlrev_b32_e32 v53, 20, v53
	v_and_b32_e32 v54, 0x80000000, v54
	v_lshl_add_u32 v22, v22, 23, v55
	v_or3_b32 v22, v54, v22, v53
	v_lshrrev_b32_e32 v53, 16, v22
.LBB861_327:
	s_or_b64 exec, exec, s[10:11]
.LBB861_328:
	s_or_b64 exec, exec, s[8:9]
.LBB861_329:
	s_or_b64 exec, exec, s[2:3]
	v_lshrrev_b16_e32 v22, 8, v23
	v_cmp_ne_u16_e32 vcc, 0, v22
	s_and_saveexec_b64 s[2:3], vcc
	s_cbranch_execz .LBB861_335
; %bb.330:
	s_movk_i32 s8, 0x80
	v_cmp_ne_u16_e32 vcc, s8, v22
	v_mov_b32_e32 v42, 0xffff8000
	s_and_saveexec_b64 s[8:9], vcc
	s_cbranch_execz .LBB861_334
; %bb.331:
	s_movk_i32 s10, 0x7f
	v_and_b32_e32 v54, 0x7f, v22
	v_cmp_ne_u32_e32 vcc, s10, v54
	v_mov_b32_e32 v42, 0x7f80
	s_and_saveexec_b64 s[10:11], vcc
	s_cbranch_execz .LBB861_333
; %bb.332:
	v_and_b32_e32 v42, 7, v22
	v_ffbh_u32_e32 v56, v42
	v_min_u32_e32 v58, 32, v56
	v_subrev_u32_e32 v56, 28, v58
	v_lshlrev_b64 v[56:57], v56, v[22:23]
	v_lshrrev_b32_e32 v55, 3, v54
	v_sub_u32_e32 v22, 29, v58
	v_and_b32_e32 v56, 7, v56
	v_cmp_gt_u32_e32 vcc, 8, v54
	v_cndmask_b32_e32 v22, v55, v22, vcc
	v_cndmask_b32_e32 v42, v42, v56, vcc
	v_lshlrev_b32_e32 v54, 16, v23
	v_bfrev_b32_e32 v55, 60
	v_lshlrev_b32_e32 v42, 20, v42
	v_and_b32_e32 v54, 0x80000000, v54
	v_lshl_add_u32 v22, v22, 23, v55
	v_or3_b32 v22, v54, v22, v42
	v_lshrrev_b32_e32 v42, 16, v22
.LBB861_333:
	s_or_b64 exec, exec, s[10:11]
.LBB861_334:
	s_or_b64 exec, exec, s[8:9]
.LBB861_335:
	s_or_b64 exec, exec, s[2:3]
	s_movk_i32 s2, 0xff
	v_and_b32_sdwa v56, v23, s2 dst_sel:DWORD dst_unused:UNUSED_PAD src0_sel:WORD_1 src1_sel:DWORD
	v_lshrrev_b32_e32 v22, 16, v23
	v_cmp_ne_u16_e32 vcc, 0, v56
	v_mov_b32_e32 v54, 0
	v_mov_b32_e32 v55, 0
	s_and_saveexec_b64 s[2:3], vcc
	s_cbranch_execz .LBB861_341
; %bb.336:
	s_movk_i32 s8, 0x80
	v_cmp_ne_u16_e32 vcc, s8, v56
	v_mov_b32_e32 v55, 0xffff8000
	s_and_saveexec_b64 s[8:9], vcc
	s_cbranch_execz .LBB861_340
; %bb.337:
	v_bfe_u32 v56, v23, 16, 7
	s_movk_i32 s10, 0x7f
	v_cmp_ne_u32_e32 vcc, s10, v56
	v_mov_b32_e32 v55, 0x7f80
	s_and_saveexec_b64 s[10:11], vcc
	s_cbranch_execz .LBB861_339
; %bb.338:
	v_and_b32_e32 v55, 7, v22
	v_ffbh_u32_e32 v58, v55
	v_min_u32_e32 v60, 32, v58
	v_subrev_u32_e32 v58, 28, v60
	v_lshlrev_b64 v[58:59], v58, v[22:23]
	v_lshrrev_b32_e32 v57, 3, v56
	v_sub_u32_e32 v22, 29, v60
	v_and_b32_e32 v58, 7, v58
	v_cmp_gt_u32_e32 vcc, 8, v56
	v_mov_b32_e32 v56, 24
	v_cndmask_b32_e32 v22, v57, v22, vcc
	v_cndmask_b32_e32 v55, v55, v58, vcc
	v_lshlrev_b32_sdwa v56, v56, v23 dst_sel:DWORD dst_unused:UNUSED_PAD src0_sel:DWORD src1_sel:WORD_1
	v_bfrev_b32_e32 v57, 60
	v_lshlrev_b32_e32 v55, 20, v55
	v_and_b32_e32 v56, 0x80000000, v56
	v_lshl_add_u32 v22, v22, 23, v57
	v_or3_b32 v22, v56, v22, v55
	v_lshrrev_b32_e32 v55, 16, v22
.LBB861_339:
	s_or_b64 exec, exec, s[10:11]
.LBB861_340:
	s_or_b64 exec, exec, s[8:9]
.LBB861_341:
	s_or_b64 exec, exec, s[2:3]
	s_mov_b32 s2, 0xffffff
	v_cmp_lt_u32_e32 vcc, s2, v23
	s_and_saveexec_b64 s[2:3], vcc
	s_cbranch_execz .LBB861_347
; %bb.342:
	v_lshrrev_b32_e32 v22, 24, v23
	s_movk_i32 s8, 0x80
	v_cmp_ne_u32_e32 vcc, s8, v22
	v_mov_b32_e32 v54, 0xffff8000
	s_and_saveexec_b64 s[8:9], vcc
	s_cbranch_execz .LBB861_346
; %bb.343:
	v_bfe_u32 v23, v23, 24, 7
	s_movk_i32 s10, 0x7f
	v_cmp_ne_u32_e32 vcc, s10, v23
	v_mov_b32_e32 v54, 0x7f80
	s_and_saveexec_b64 s[10:11], vcc
	s_cbranch_execz .LBB861_345
; %bb.344:
	v_and_b32_e32 v54, 7, v22
	v_ffbh_u32_e32 v56, v54
	v_min_u32_e32 v59, 32, v56
	v_subrev_u32_e32 v56, 28, v59
	v_lshlrev_b64 v[56:57], v56, v[22:23]
	v_lshrrev_b32_e32 v58, 3, v23
	v_sub_u32_e32 v57, 29, v59
	v_and_b32_e32 v56, 7, v56
	v_cmp_gt_u32_e32 vcc, 8, v23
	v_cndmask_b32_e32 v23, v58, v57, vcc
	v_cndmask_b32_e32 v54, v54, v56, vcc
	v_lshlrev_b32_e32 v22, 24, v22
	v_bfrev_b32_e32 v56, 60
	v_lshlrev_b32_e32 v54, 20, v54
	v_and_b32_e32 v22, 0x80000000, v22
	v_lshl_add_u32 v23, v23, 23, v56
	v_or3_b32 v22, v22, v23, v54
	v_lshrrev_b32_e32 v54, 16, v22
.LBB861_345:
	s_or_b64 exec, exec, s[10:11]
.LBB861_346:
	s_or_b64 exec, exec, s[8:9]
.LBB861_347:
	s_or_b64 exec, exec, s[2:3]
	s_mov_b32 s2, 0x5040100
	v_perm_b32 v23, v45, v52, s2
	v_perm_b32 v22, v43, v44, s2
	s_nop 1
	v_mfma_f32_16x16x16bf16_1k v[56:59], v[22:23], v[26:27], 0
	v_perm_b32 v27, v54, v55, s2
	v_perm_b32 v26, v42, v53, s2
	v_mov_b32_e32 v23, 0
	v_cmp_ne_u16_sdwa s[8:9], v24, v23 src0_sel:BYTE_0 src1_sel:DWORD
	v_mov_b32_e32 v42, 0
	v_mfma_f32_16x16x16bf16_1k v[26:29], v[26:27], v[28:29], v[56:59]
	s_and_saveexec_b64 s[2:3], s[8:9]
	s_cbranch_execz .LBB861_353
; %bb.348:
	s_movk_i32 s8, 0x80
	v_cmp_ne_u16_sdwa s[10:11], v24, s8 src0_sel:BYTE_0 src1_sel:DWORD
	v_mov_b32_e32 v42, 0xffff8000
	s_and_saveexec_b64 s[8:9], s[10:11]
	s_cbranch_execz .LBB861_352
; %bb.349:
	s_movk_i32 s10, 0x7f
	v_and_b32_e32 v22, 0x7f, v24
	v_cmp_ne_u32_e32 vcc, s10, v22
	v_mov_b32_e32 v42, 0x7f80
	s_and_saveexec_b64 s[10:11], vcc
	s_cbranch_execz .LBB861_351
; %bb.350:
	v_and_b32_e32 v44, 7, v24
	v_ffbh_u32_e32 v42, v44
	v_min_u32_e32 v52, 32, v42
	v_subrev_u32_e32 v42, 28, v52
	v_lshlrev_b64 v[42:43], v42, v[24:25]
	v_lshrrev_b32_e32 v45, 3, v22
	v_sub_u32_e32 v43, 29, v52
	v_and_b32_e32 v42, 7, v42
	v_cmp_gt_u32_e32 vcc, 8, v22
	v_cndmask_b32_e32 v22, v45, v43, vcc
	v_cndmask_b32_e32 v42, v44, v42, vcc
	v_lshlrev_b32_e32 v43, 24, v24
	v_bfrev_b32_e32 v44, 60
	v_lshlrev_b32_e32 v42, 20, v42
	v_and_b32_e32 v43, 0x80000000, v43
	v_lshl_add_u32 v22, v22, 23, v44
	v_or3_b32 v22, v43, v22, v42
	v_lshrrev_b32_e32 v42, 16, v22
.LBB861_351:
	s_or_b64 exec, exec, s[10:11]
.LBB861_352:
	s_or_b64 exec, exec, s[8:9]
.LBB861_353:
	s_or_b64 exec, exec, s[2:3]
	v_lshrrev_b16_e32 v22, 8, v24
	v_cmp_ne_u16_e32 vcc, 0, v22
	s_and_saveexec_b64 s[2:3], vcc
	s_cbranch_execz .LBB861_359
; %bb.354:
	s_movk_i32 s8, 0x80
	v_cmp_ne_u16_e32 vcc, s8, v22
	v_mov_b32_e32 v23, 0xffff8000
	s_and_saveexec_b64 s[8:9], vcc
	s_cbranch_execz .LBB861_358
; %bb.355:
	s_movk_i32 s10, 0x7f
	v_and_b32_e32 v43, 0x7f, v22
	v_cmp_ne_u32_e32 vcc, s10, v43
	v_mov_b32_e32 v23, 0x7f80
	s_and_saveexec_b64 s[10:11], vcc
	s_cbranch_execz .LBB861_357
; %bb.356:
	v_and_b32_e32 v44, 7, v22
	v_ffbh_u32_e32 v23, v44
	v_min_u32_e32 v52, 32, v23
	v_subrev_u32_e32 v23, 28, v52
	v_lshlrev_b64 v[22:23], v23, v[22:23]
	v_lshrrev_b32_e32 v45, 3, v43
	v_sub_u32_e32 v23, 29, v52
	v_and_b32_e32 v22, 7, v22
	v_cmp_gt_u32_e32 vcc, 8, v43
	v_cndmask_b32_e32 v23, v45, v23, vcc
	v_cndmask_b32_e32 v22, v44, v22, vcc
	v_lshlrev_b32_e32 v43, 16, v24
	v_bfrev_b32_e32 v44, 60
	v_lshlrev_b32_e32 v22, 20, v22
	v_and_b32_e32 v43, 0x80000000, v43
	v_lshl_add_u32 v23, v23, 23, v44
	v_or3_b32 v22, v43, v23, v22
	v_lshrrev_b32_e32 v23, 16, v22
.LBB861_357:
	s_or_b64 exec, exec, s[10:11]
.LBB861_358:
	s_or_b64 exec, exec, s[8:9]
.LBB861_359:
	s_or_b64 exec, exec, s[2:3]
	s_movk_i32 s2, 0xff
	v_and_b32_sdwa v45, v24, s2 dst_sel:DWORD dst_unused:UNUSED_PAD src0_sel:WORD_1 src1_sel:DWORD
	v_lshrrev_b32_e32 v22, 16, v24
	v_cmp_ne_u16_e32 vcc, 0, v45
	v_mov_b32_e32 v43, 0
	v_mov_b32_e32 v44, 0
	s_and_saveexec_b64 s[2:3], vcc
	s_cbranch_execz .LBB861_365
; %bb.360:
	s_movk_i32 s8, 0x80
	v_cmp_ne_u16_e32 vcc, s8, v45
	v_mov_b32_e32 v44, 0xffff8000
	s_and_saveexec_b64 s[8:9], vcc
	s_cbranch_execz .LBB861_364
; %bb.361:
	v_bfe_u32 v45, v24, 16, 7
	s_movk_i32 s10, 0x7f
	v_cmp_ne_u32_e32 vcc, s10, v45
	v_mov_b32_e32 v44, 0x7f80
	s_and_saveexec_b64 s[10:11], vcc
	s_cbranch_execz .LBB861_363
; %bb.362:
	v_and_b32_e32 v44, 7, v22
	v_ffbh_u32_e32 v52, v44
	v_min_u32_e32 v55, 32, v52
	v_subrev_u32_e32 v52, 28, v55
	v_lshlrev_b64 v[52:53], v52, v[22:23]
	v_lshrrev_b32_e32 v54, 3, v45
	v_sub_u32_e32 v22, 29, v55
	v_and_b32_e32 v52, 7, v52
	v_cmp_gt_u32_e32 vcc, 8, v45
	v_mov_b32_e32 v45, 24
	v_cndmask_b32_e32 v22, v54, v22, vcc
	v_cndmask_b32_e32 v44, v44, v52, vcc
	v_lshlrev_b32_sdwa v45, v45, v24 dst_sel:DWORD dst_unused:UNUSED_PAD src0_sel:DWORD src1_sel:WORD_1
	v_bfrev_b32_e32 v52, 60
	v_lshlrev_b32_e32 v44, 20, v44
	v_and_b32_e32 v45, 0x80000000, v45
	v_lshl_add_u32 v22, v22, 23, v52
	v_or3_b32 v22, v45, v22, v44
	v_lshrrev_b32_e32 v44, 16, v22
.LBB861_363:
	s_or_b64 exec, exec, s[10:11]
.LBB861_364:
	s_or_b64 exec, exec, s[8:9]
.LBB861_365:
	s_or_b64 exec, exec, s[2:3]
	s_mov_b32 s2, 0xffffff
	v_cmp_lt_u32_e32 vcc, s2, v24
	s_and_saveexec_b64 s[2:3], vcc
	s_cbranch_execz .LBB861_371
; %bb.366:
	v_lshrrev_b32_e32 v22, 24, v24
	s_movk_i32 s8, 0x80
	v_cmp_ne_u32_e32 vcc, s8, v22
	v_mov_b32_e32 v43, 0xffff8000
	s_and_saveexec_b64 s[8:9], vcc
	s_cbranch_execz .LBB861_370
; %bb.367:
	v_bfe_u32 v24, v24, 24, 7
	s_movk_i32 s10, 0x7f
	v_cmp_ne_u32_e32 vcc, s10, v24
	v_mov_b32_e32 v43, 0x7f80
	s_and_saveexec_b64 s[10:11], vcc
	s_cbranch_execz .LBB861_369
; %bb.368:
	v_and_b32_e32 v43, 7, v22
	v_ffbh_u32_e32 v52, v43
	v_min_u32_e32 v54, 32, v52
	v_subrev_u32_e32 v52, 28, v54
	v_lshlrev_b64 v[52:53], v52, v[22:23]
	v_lshrrev_b32_e32 v45, 3, v24
	v_sub_u32_e32 v53, 29, v54
	v_and_b32_e32 v52, 7, v52
	v_cmp_gt_u32_e32 vcc, 8, v24
	v_cndmask_b32_e32 v24, v45, v53, vcc
	v_cndmask_b32_e32 v43, v43, v52, vcc
	v_lshlrev_b32_e32 v22, 24, v22
	v_bfrev_b32_e32 v45, 60
	v_lshlrev_b32_e32 v43, 20, v43
	v_and_b32_e32 v22, 0x80000000, v22
	v_lshl_add_u32 v24, v24, 23, v45
	v_or3_b32 v22, v22, v24, v43
	v_lshrrev_b32_e32 v43, 16, v22
.LBB861_369:
	s_or_b64 exec, exec, s[10:11]
.LBB861_370:
	s_or_b64 exec, exec, s[8:9]
.LBB861_371:
	s_or_b64 exec, exec, s[2:3]
	v_mov_b32_e32 v24, 0
	v_cmp_ne_u16_sdwa s[8:9], v25, v24 src0_sel:BYTE_0 src1_sel:DWORD
	v_mov_b32_e32 v52, 0
	s_and_saveexec_b64 s[2:3], s[8:9]
	s_cbranch_execz .LBB861_377
; %bb.372:
	s_movk_i32 s8, 0x80
	v_cmp_ne_u16_sdwa s[10:11], v25, s8 src0_sel:BYTE_0 src1_sel:DWORD
	v_mov_b32_e32 v52, 0xffff8000
	s_and_saveexec_b64 s[8:9], s[10:11]
	s_cbranch_execz .LBB861_376
; %bb.373:
	s_movk_i32 s10, 0x7f
	v_and_b32_e32 v22, 0x7f, v25
	v_cmp_ne_u32_e32 vcc, s10, v22
	v_mov_b32_e32 v52, 0x7f80
	s_and_saveexec_b64 s[10:11], vcc
	s_cbranch_execz .LBB861_375
; %bb.374:
	v_and_b32_e32 v45, 7, v25
	v_ffbh_u32_e32 v53, v45
	v_min_u32_e32 v55, 32, v53
	v_mov_b32_e32 v52, v25
	v_subrev_u32_e32 v53, 28, v55
	v_lshlrev_b64 v[52:53], v53, v[52:53]
	v_lshrrev_b32_e32 v54, 3, v22
	v_sub_u32_e32 v53, 29, v55
	v_and_b32_e32 v52, 7, v52
	v_cmp_gt_u32_e32 vcc, 8, v22
	v_cndmask_b32_e32 v22, v54, v53, vcc
	v_cndmask_b32_e32 v45, v45, v52, vcc
	v_lshlrev_b32_e32 v52, 24, v25
	v_bfrev_b32_e32 v53, 60
	v_lshlrev_b32_e32 v45, 20, v45
	v_and_b32_e32 v52, 0x80000000, v52
	v_lshl_add_u32 v22, v22, 23, v53
	v_or3_b32 v22, v52, v22, v45
	v_lshrrev_b32_e32 v52, 16, v22
.LBB861_375:
	s_or_b64 exec, exec, s[10:11]
.LBB861_376:
	s_or_b64 exec, exec, s[8:9]
.LBB861_377:
	s_or_b64 exec, exec, s[2:3]
	v_lshrrev_b16_e32 v22, 8, v25
	v_cmp_ne_u16_e32 vcc, 0, v22
	s_and_saveexec_b64 s[2:3], vcc
	s_cbranch_execz .LBB861_383
; %bb.378:
	s_movk_i32 s8, 0x80
	v_cmp_ne_u16_e32 vcc, s8, v22
	v_mov_b32_e32 v24, 0xffff8000
	s_and_saveexec_b64 s[8:9], vcc
	s_cbranch_execz .LBB861_382
; %bb.379:
	s_movk_i32 s10, 0x7f
	v_and_b32_e32 v45, 0x7f, v22
	v_cmp_ne_u32_e32 vcc, s10, v45
	v_mov_b32_e32 v24, 0x7f80
	s_and_saveexec_b64 s[10:11], vcc
	s_cbranch_execz .LBB861_381
; %bb.380:
	v_and_b32_e32 v24, 7, v22
	v_ffbh_u32_e32 v54, v24
	v_min_u32_e32 v56, 32, v54
	v_subrev_u32_e32 v54, 28, v56
	v_lshlrev_b64 v[54:55], v54, v[22:23]
	v_lshrrev_b32_e32 v53, 3, v45
	v_sub_u32_e32 v22, 29, v56
	v_and_b32_e32 v54, 7, v54
	v_cmp_gt_u32_e32 vcc, 8, v45
	v_cndmask_b32_e32 v22, v53, v22, vcc
	v_cndmask_b32_e32 v24, v24, v54, vcc
	v_lshlrev_b32_e32 v45, 16, v25
	v_bfrev_b32_e32 v53, 60
	v_lshlrev_b32_e32 v24, 20, v24
	v_and_b32_e32 v45, 0x80000000, v45
	v_lshl_add_u32 v22, v22, 23, v53
	v_or3_b32 v22, v45, v22, v24
	v_lshrrev_b32_e32 v24, 16, v22
.LBB861_381:
	s_or_b64 exec, exec, s[10:11]
.LBB861_382:
	s_or_b64 exec, exec, s[8:9]
.LBB861_383:
	s_or_b64 exec, exec, s[2:3]
	s_movk_i32 s2, 0xff
	v_and_b32_sdwa v45, v25, s2 dst_sel:DWORD dst_unused:UNUSED_PAD src0_sel:WORD_1 src1_sel:DWORD
	v_lshrrev_b32_e32 v22, 16, v25
	v_cmp_ne_u16_e32 vcc, 0, v45
	v_mov_b32_e32 v53, 0
	v_mov_b32_e32 v54, 0
	s_and_saveexec_b64 s[2:3], vcc
	s_cbranch_execz .LBB861_389
; %bb.384:
	s_movk_i32 s8, 0x80
	v_cmp_ne_u16_e32 vcc, s8, v45
	v_mov_b32_e32 v54, 0xffff8000
	s_and_saveexec_b64 s[8:9], vcc
	s_cbranch_execz .LBB861_388
; %bb.385:
	v_bfe_u32 v45, v25, 16, 7
	s_movk_i32 s10, 0x7f
	v_cmp_ne_u32_e32 vcc, s10, v45
	v_mov_b32_e32 v54, 0x7f80
	s_and_saveexec_b64 s[10:11], vcc
	s_cbranch_execz .LBB861_387
; %bb.386:
	v_and_b32_e32 v56, 7, v22
	v_ffbh_u32_e32 v54, v56
	v_min_u32_e32 v58, 32, v54
	v_subrev_u32_e32 v54, 28, v58
	v_lshlrev_b64 v[54:55], v54, v[22:23]
	v_and_b32_e32 v54, 7, v54
	v_cmp_gt_u32_e32 vcc, 8, v45
	v_lshrrev_b32_e32 v57, 3, v45
	v_sub_u32_e32 v22, 29, v58
	v_cndmask_b32_e32 v45, v56, v54, vcc
	v_mov_b32_e32 v54, 24
	v_cndmask_b32_e32 v22, v57, v22, vcc
	v_lshlrev_b32_sdwa v54, v54, v25 dst_sel:DWORD dst_unused:UNUSED_PAD src0_sel:DWORD src1_sel:WORD_1
	v_bfrev_b32_e32 v55, 60
	v_lshlrev_b32_e32 v45, 20, v45
	v_and_b32_e32 v54, 0x80000000, v54
	v_lshl_add_u32 v22, v22, 23, v55
	v_or3_b32 v22, v54, v22, v45
	v_lshrrev_b32_e32 v54, 16, v22
.LBB861_387:
	s_or_b64 exec, exec, s[10:11]
.LBB861_388:
	s_or_b64 exec, exec, s[8:9]
.LBB861_389:
	s_or_b64 exec, exec, s[2:3]
	s_mov_b32 s2, 0xffffff
	v_and_b32_e32 v45, 63, v0
	v_cmp_lt_u32_e32 vcc, s2, v25
	s_and_saveexec_b64 s[2:3], vcc
	s_cbranch_execz .LBB861_395
; %bb.390:
	v_lshrrev_b32_e32 v22, 24, v25
	s_movk_i32 s8, 0x80
	v_cmp_ne_u32_e32 vcc, s8, v22
	v_mov_b32_e32 v53, 0xffff8000
	s_and_saveexec_b64 s[8:9], vcc
	s_cbranch_execz .LBB861_394
; %bb.391:
	v_bfe_u32 v25, v25, 24, 7
	s_movk_i32 s10, 0x7f
	v_cmp_ne_u32_e32 vcc, s10, v25
	v_mov_b32_e32 v53, 0x7f80
	s_and_saveexec_b64 s[10:11], vcc
	s_cbranch_execz .LBB861_393
; %bb.392:
	v_and_b32_e32 v53, 7, v22
	v_ffbh_u32_e32 v56, v53
	v_min_u32_e32 v58, 32, v56
	v_subrev_u32_e32 v56, 28, v58
	v_lshlrev_b64 v[56:57], v56, v[22:23]
	v_lshrrev_b32_e32 v55, 3, v25
	v_sub_u32_e32 v57, 29, v58
	v_and_b32_e32 v56, 7, v56
	v_cmp_gt_u32_e32 vcc, 8, v25
	v_cndmask_b32_e32 v25, v55, v57, vcc
	v_cndmask_b32_e32 v53, v53, v56, vcc
	v_lshlrev_b32_e32 v22, 24, v22
	v_bfrev_b32_e32 v55, 60
	v_lshlrev_b32_e32 v53, 20, v53
	v_and_b32_e32 v22, 0x80000000, v22
	v_lshl_add_u32 v25, v25, 23, v55
	v_or3_b32 v22, v22, v25, v53
	v_lshrrev_b32_e32 v53, 16, v22
.LBB861_393:
	s_or_b64 exec, exec, s[10:11]
.LBB861_394:
	s_or_b64 exec, exec, s[8:9]
.LBB861_395:
	s_or_b64 exec, exec, s[2:3]
	s_mov_b32 s3, 0x5040100
	v_perm_b32 v43, v43, v44, s3
	v_perm_b32 v42, v23, v42, s3
	s_load_dword s2, s[4:5], 0x1c
	s_mov_b32 s46, 0xff7fffff
	s_waitcnt lgkmcnt(0)
	v_mfma_f32_16x16x16bf16_1k v[26:29], v[42:43], v[18:19], v[26:29]
	v_perm_b32 v19, v53, v54, s3
	v_perm_b32 v18, v24, v52, s3
	v_and_b32_e32 v24, 0xc0, v0
	v_mov_b32_e32 v22, s2
	v_add_u32_e32 v24, s20, v24
	v_mul_f32_e32 v44, s12, v22
	v_lshl_or_b32 v42, v1, 2, v24
	v_mfma_f32_16x16x16bf16_1k v[18:21], v[18:19], v[20:21], v[26:29]
	v_pk_mul_f32 v[22:23], v[44:45], v[36:37] op_sel_hi:[0,1]
	v_pk_mul_f32 v[36:37], v[44:45], v[40:41] op_sel_hi:[0,1]
	;; [unrolled: 1-line block ×4, first 2 shown]
	v_mov_b32_e32 v43, 0xff7fffff
	v_cmp_gt_i32_e64 s[26:27], s33, v42
	v_pk_mul_f32 v[38:39], v[44:45], v[38:39] op_sel_hi:[0,1]
	s_nop 3
	v_pk_mul_f32 v[32:33], v[44:45], v[18:19] op_sel_hi:[0,1]
	v_or_b32_e32 v19, 1, v42
	v_cmp_gt_i32_e64 s[28:29], s33, v19
	v_cndmask_b32_e64 v18, v43, v30, s[26:27]
	v_cndmask_b32_e64 v19, v43, v31, s[28:29]
	v_pk_mul_f32 v[24:25], v[44:45], v[20:21] op_sel_hi:[0,1]
	v_max3_f32 v18, v18, s46, v19
	v_or_b32_e32 v19, 2, v42
	v_or_b32_e32 v20, 3, v42
	v_cmp_gt_i32_e64 s[30:31], s33, v19
	v_cmp_gt_i32_e64 s[34:35], s33, v20
	v_cndmask_b32_e64 v19, v43, v40, s[30:31]
	v_cndmask_b32_e64 v20, v43, v41, s[34:35]
	v_max3_f32 v18, v18, v19, v20
	v_or_b32_e32 v19, 16, v42
	v_or_b32_e32 v20, 17, v42
	v_cmp_gt_i32_e64 s[36:37], s33, v19
	v_cmp_gt_i32_e64 s[38:39], s33, v20
	v_cndmask_b32_e64 v19, v43, v38, s[36:37]
	v_cndmask_b32_e64 v20, v43, v39, s[38:39]
	v_max3_f32 v18, v18, v19, v20
	v_or_b32_e32 v19, 18, v42
	v_or_b32_e32 v20, 19, v42
	v_cmp_gt_i32_e64 s[20:21], s33, v19
	v_cmp_gt_i32_e64 s[22:23], s33, v20
	v_cndmask_b32_e64 v19, v43, v36, s[20:21]
	v_cndmask_b32_e64 v20, v43, v37, s[22:23]
	v_max3_f32 v18, v18, v19, v20
	v_or_b32_e32 v19, 32, v42
	v_or_b32_e32 v20, 33, v42
	v_pk_mul_f32 v[34:35], v[44:45], v[34:35] op_sel_hi:[0,1]
	v_cmp_gt_i32_e64 s[16:17], s33, v19
	v_cmp_gt_i32_e64 s[18:19], s33, v20
	v_cndmask_b32_e64 v19, v43, v34, s[16:17]
	v_cndmask_b32_e64 v20, v43, v35, s[18:19]
	v_max3_f32 v18, v18, v19, v20
	v_or_b32_e32 v19, 34, v42
	v_or_b32_e32 v20, 35, v42
	v_cmp_gt_i32_e64 s[12:13], s33, v19
	v_cmp_gt_i32_e64 s[14:15], s33, v20
	v_cndmask_b32_e64 v19, v43, v22, s[12:13]
	v_cndmask_b32_e64 v20, v43, v23, s[14:15]
	v_max3_f32 v18, v18, v19, v20
	v_or_b32_e32 v19, 48, v42
	v_or_b32_e32 v20, 49, v42
	;; [unrolled: 7-line block ×3, first 2 shown]
	v_cmp_gt_i32_e32 vcc, s33, v19
	v_cmp_gt_i32_e64 s[2:3], s33, v20
	v_cndmask_b32_e32 v19, v43, v24, vcc
	v_cndmask_b32_e64 v20, v43, v25, s[2:3]
	v_max3_f32 v18, v18, v19, v20
	v_mbcnt_lo_u32_b32 v19, -1, 0
	v_mbcnt_hi_u32_b32 v19, -1, v19
	v_and_b32_e32 v20, 64, v19
	v_add_u32_e32 v20, 64, v20
	v_xor_b32_e32 v21, 32, v19
	v_cmp_lt_i32_e64 s[40:41], v21, v20
	v_cndmask_b32_e64 v21, v19, v21, s[40:41]
	v_lshlrev_b32_e32 v43, 2, v21
	ds_bpermute_b32 v21, v43, v18
	s_barrier
	s_waitcnt lgkmcnt(0)
	v_max_f32_e32 v21, v21, v21
	v_max_f32_e32 v18, v18, v21
	v_xor_b32_e32 v21, 16, v19
	v_cmp_lt_i32_e64 s[40:41], v21, v20
	v_cndmask_b32_e64 v19, v19, v21, s[40:41]
	v_lshlrev_b32_e32 v44, 2, v19
	ds_bpermute_b32 v19, v44, v18
	s_waitcnt lgkmcnt(0)
	v_max_f32_e32 v19, v19, v19
	v_max_f32_e32 v42, v18, v19
	v_sub_f32_e32 v21, v40, v42
	v_sub_f32_e32 v26, v41, v42
	v_mul_f32_e32 v21, 0x3fb8aa3b, v21
	v_mul_f32_e32 v26, 0x3fb8aa3b, v26
	v_sub_f32_e32 v18, v30, v42
	v_exp_f32_e32 v21, v21
	v_exp_f32_e32 v26, v26
	v_mul_f32_e32 v18, 0x3fb8aa3b, v18
	v_sub_f32_e32 v19, v31, v42
	v_exp_f32_e32 v18, v18
	v_mul_f32_e32 v19, 0x3fb8aa3b, v19
	v_exp_f32_e32 v19, v19
	v_cndmask_b32_e64 v28, 0, v21, s[30:31]
	v_cndmask_b32_e64 v29, 0, v26, s[34:35]
	v_sub_f32_e32 v21, v38, v42
	v_sub_f32_e32 v26, v39, v42
	v_mul_f32_e32 v21, 0x3fb8aa3b, v21
	v_mul_f32_e32 v26, 0x3fb8aa3b, v26
	v_cndmask_b32_e64 v18, 0, v18, s[26:27]
	v_exp_f32_e32 v21, v21
	v_exp_f32_e32 v26, v26
	v_add_f32_e32 v20, 0, v18
	v_cndmask_b32_e64 v19, 0, v19, s[28:29]
	v_add_f32_e32 v20, v20, v19
	v_add_f32_e32 v20, v20, v28
	;; [unrolled: 1-line block ×3, first 2 shown]
	v_cndmask_b32_e64 v20, 0, v21, s[36:37]
	v_cndmask_b32_e64 v21, 0, v26, s[38:39]
	v_sub_f32_e32 v26, v36, v42
	v_mul_f32_e32 v26, 0x3fb8aa3b, v26
	v_exp_f32_e32 v26, v26
	v_sub_f32_e32 v30, v37, v42
	v_add_f32_e32 v27, v27, v20
	v_mul_f32_e32 v30, 0x3fb8aa3b, v30
	v_exp_f32_e32 v31, v30
	v_add_f32_e32 v27, v27, v21
	v_cndmask_b32_e64 v30, 0, v26, s[20:21]
	v_add_f32_e32 v26, v27, v30
	v_sub_f32_e32 v27, v34, v42
	v_mul_f32_e32 v27, 0x3fb8aa3b, v27
	v_sub_f32_e32 v34, v35, v42
	v_exp_f32_e32 v27, v27
	v_mul_f32_e32 v34, 0x3fb8aa3b, v34
	v_sub_f32_e32 v22, v22, v42
	v_exp_f32_e32 v34, v34
	;; [unrolled: 3-line block ×3, first 2 shown]
	v_mul_f32_e32 v23, 0x3fb8aa3b, v23
	v_cndmask_b32_e64 v31, 0, v31, s[22:23]
	v_exp_f32_e32 v23, v23
	v_add_f32_e32 v35, v26, v31
	v_cndmask_b32_e64 v26, 0, v27, s[16:17]
	v_add_f32_e32 v35, v35, v26
	v_cndmask_b32_e64 v27, 0, v34, s[18:19]
	;; [unrolled: 2-line block ×4, first 2 shown]
	v_sub_f32_e32 v23, v32, v42
	v_mul_f32_e32 v23, 0x3fb8aa3b, v23
	v_sub_f32_e32 v32, v33, v42
	v_exp_f32_e32 v23, v23
	v_mul_f32_e32 v32, 0x3fb8aa3b, v32
	v_sub_f32_e32 v24, v24, v42
	v_exp_f32_e32 v32, v32
	;; [unrolled: 3-line block ×3, first 2 shown]
	v_mul_f32_e32 v25, 0x3fb8aa3b, v25
	v_exp_f32_e32 v25, v25
	v_add_f32_e32 v33, v22, v35
	v_cndmask_b32_e64 v22, 0, v23, s[8:9]
	v_add_f32_e32 v33, v33, v22
	v_cndmask_b32_e64 v23, 0, v32, s[10:11]
	v_add_f32_e32 v32, v33, v23
	v_cndmask_b32_e32 v24, 0, v24, vcc
	v_add_f32_e32 v32, v32, v24
	v_cndmask_b32_e64 v25, 0, v25, s[2:3]
	v_add_f32_e32 v32, v32, v25
	ds_bpermute_b32 v33, v43, v32
	v_cmp_gt_u32_e32 vcc, 16, v45
	s_waitcnt lgkmcnt(0)
	v_add_f32_e32 v32, v32, v33
	ds_bpermute_b32 v36, v44, v32
	v_lshlrev_b32_e32 v33, 2, v50
	s_and_saveexec_b64 s[2:3], vcc
	s_cbranch_execz .LBB861_397
; %bb.396:
	s_waitcnt lgkmcnt(0)
	v_add_f32_e32 v32, v32, v36
	v_lshl_or_b32 v36, v49, 6, v33
	ds_write2st64_b32 v36, v42, v32 offset1:1
.LBB861_397:
	s_or_b64 exec, exec, s[2:3]
	s_waitcnt lgkmcnt(0)
	s_barrier
	ds_read2_b32 v[36:37], v33 offset1:16
	ds_read2_b32 v[38:39], v33 offset0:32 offset1:48
	ds_read2_b32 v[40:41], v33 offset0:64 offset1:80
	s_lshl_b32 s12, s45, 4
	s_waitcnt lgkmcnt(2)
	v_max3_f32 v32, v36, s46, v37
	s_waitcnt lgkmcnt(1)
	v_max3_f32 v32, v32, v38, v39
	v_sub_f32_e32 v36, v36, v32
	v_mul_f32_e32 v36, 0x3fb8aa3b, v36
	v_exp_f32_e32 v42, v36
	v_sub_f32_e32 v36, v37, v32
	v_mul_f32_e32 v36, 0x3fb8aa3b, v36
	v_exp_f32_e32 v43, v36
	;; [unrolled: 3-line block ×3, first 2 shown]
	ds_read2_b32 v[36:37], v33 offset0:96 offset1:112
	v_sub_f32_e32 v33, v39, v32
	v_mul_f32_e32 v33, 0x3fb8aa3b, v33
	v_exp_f32_e32 v39, v33
	s_waitcnt lgkmcnt(1)
	v_fma_f32 v33, v42, v40, 0
	v_fmac_f32_e32 v33, v43, v41
	s_waitcnt lgkmcnt(0)
	v_fmac_f32_e32 v33, v38, v36
	v_fmac_f32_e32 v33, v39, v37
	v_add_f32_e32 v36, 0x358637bd, v33
	v_div_scale_f32 v37, s[2:3], v36, v36, 1.0
	v_rcp_f32_e32 v40, v37
	s_movk_i32 s2, 0x7fff
	s_mov_b32 s3, 0x7060302
	v_fma_f32 v41, -v37, v40, 1.0
	v_fmac_f32_e32 v40, v41, v40
	v_div_scale_f32 v41, vcc, 1.0, v36, 1.0
	v_mul_f32_e32 v44, v41, v40
	v_fma_f32 v45, -v37, v44, v41
	v_fmac_f32_e32 v44, v45, v40
	v_fma_f32 v37, -v37, v44, v41
	v_div_fmas_f32 v37, v37, v40, v44
	v_cmp_eq_u32_e32 vcc, 1, v49
	v_div_fixup_f32 v36, v37, v36, 1.0
	v_cndmask_b32_e32 v37, v42, v43, vcc
	v_cmp_eq_u32_e32 vcc, 2, v49
	v_cndmask_b32_e32 v37, v37, v38, vcc
	v_cmp_eq_u32_e32 vcc, 3, v49
	v_cndmask_b32_e32 v37, v37, v39, vcc
	v_mul_f32_e32 v36, v37, v36
	v_pk_mul_f32 v[18:19], v[36:37], v[18:19] op_sel_hi:[0,1]
	v_pk_mul_f32 v[28:29], v[36:37], v[28:29] op_sel_hi:[0,1]
	v_bfe_u32 v37, v19, 16, 1
	v_bfe_u32 v38, v18, 16, 1
	v_add3_u32 v18, v18, v38, s2
	v_add3_u32 v19, v19, v37, s2
	v_perm_b32 v18, v19, v18, s3
	v_bfe_u32 v19, v29, 16, 1
	v_bfe_u32 v37, v28, 16, 1
	v_add3_u32 v28, v28, v37, s2
	v_add3_u32 v19, v29, v19, s2
	v_perm_b32 v19, v19, v28, s3
	v_lshlrev_b32_e32 v28, 3, v1
	v_lshlrev_b32_e32 v29, 11, v49
	v_pk_mul_f32 v[20:21], v[36:37], v[20:21] op_sel_hi:[0,1]
	v_or3_b32 v28, v29, v51, v28
	v_pk_mul_f32 v[30:31], v[36:37], v[30:31] op_sel_hi:[0,1]
	v_bfe_u32 v29, v21, 16, 1
	v_bfe_u32 v37, v20, 16, 1
	v_add3_u32 v20, v20, v37, s2
	v_add3_u32 v21, v21, v29, s2
	v_perm_b32 v20, v21, v20, s3
	v_bfe_u32 v21, v31, 16, 1
	v_bfe_u32 v29, v30, 16, 1
	v_add3_u32 v29, v30, v29, s2
	v_add3_u32 v21, v31, v21, s2
	v_perm_b32 v21, v21, v29, s3
	s_barrier
	ds_write2st64_b64 v28, v[18:19], v[20:21] offset1:1
	v_pk_mul_f32 v[20:21], v[36:37], v[26:27] op_sel_hi:[0,1]
	v_bfe_u32 v26, v21, 16, 1
	v_bfe_u32 v27, v20, 16, 1
	v_pk_mul_f32 v[18:19], v[36:37], v[34:35] op_sel_hi:[0,1]
	v_add3_u32 v20, v20, v27, s2
	v_add3_u32 v21, v21, v26, s2
	v_perm_b32 v20, v21, v20, s3
	v_bfe_u32 v21, v19, 16, 1
	v_bfe_u32 v26, v18, 16, 1
	v_add3_u32 v18, v18, v26, s2
	v_add3_u32 v19, v19, v21, s2
	v_pk_mul_f32 v[22:23], v[36:37], v[22:23] op_sel_hi:[0,1]
	v_perm_b32 v21, v19, v18, s3
	v_pk_mul_f32 v[18:19], v[36:37], v[24:25] op_sel_hi:[0,1]
	v_bfe_u32 v24, v23, 16, 1
	v_bfe_u32 v25, v22, 16, 1
	v_add3_u32 v22, v22, v25, s2
	v_add3_u32 v23, v23, v24, s2
	v_perm_b32 v22, v23, v22, s3
	v_bfe_u32 v23, v19, 16, 1
	v_bfe_u32 v24, v18, 16, 1
	v_add3_u32 v18, v18, v24, s2
	v_add3_u32 v19, v19, v23, s2
	v_perm_b32 v23, v19, v18, s3
	v_cmp_gt_u32_e32 vcc, 16, v0
	ds_write2st64_b64 v28, v[20:21], v[22:23] offset0:2 offset1:3
	s_and_saveexec_b64 s[2:3], vcc
	s_cbranch_execz .LBB861_399
; %bb.398:
	v_or_b32_e32 v18, s25, v0
	v_mov_b32_e32 v19, 0
	v_mov_b32_e32 v20, s12
	v_mad_u64_u32 v[20:21], s[14:15], s6, v20, v[18:19]
	v_mov_b32_e32 v18, s24
	s_load_dwordx4 s[8:11], s[4:5], 0x58
	s_mul_i32 s7, s7, s12
	v_mad_u64_u32 v[18:19], s[14:15], v20, s44, v[18:19]
	v_add_u32_e32 v21, s7, v21
	v_mov_b32_e32 v20, v19
	v_mad_u64_u32 v[20:21], s[14:15], v21, s44, v[20:21]
	v_mov_b32_e32 v19, v20
	v_lshlrev_b64 v[18:19], 2, v[18:19]
	s_waitcnt lgkmcnt(0)
	v_mov_b32_e32 v21, s11
	v_add_co_u32_e32 v20, vcc, s10, v18
	v_addc_co_u32_e32 v21, vcc, v21, v19, vcc
	global_store_dword v[20:21], v32, off
	v_mov_b32_e32 v20, s9
	v_add_co_u32_e32 v18, vcc, s8, v18
	v_addc_co_u32_e32 v19, vcc, v20, v19, vcc
	global_store_dword v[18:19], v33, off
.LBB861_399:
	s_or_b64 exec, exec, s[2:3]
	v_mov_b32_e32 v19, 0
	s_waitcnt vmcnt(3)
	v_cmp_ne_u16_sdwa s[8:9], v14, v19 src0_sel:BYTE_0 src1_sel:DWORD
	v_mov_b32_e32 v20, 0
	s_waitcnt lgkmcnt(0)
	s_barrier
	s_and_saveexec_b64 s[2:3], s[8:9]
	s_cbranch_execz .LBB861_405
; %bb.400:
	s_movk_i32 s7, 0x80
	v_cmp_ne_u16_sdwa s[10:11], v14, s7 src0_sel:BYTE_0 src1_sel:DWORD
	v_mov_b32_e32 v20, 0xffff8000
	s_and_saveexec_b64 s[8:9], s[10:11]
	s_cbranch_execz .LBB861_404
; %bb.401:
	s_movk_i32 s7, 0x7f
	v_and_b32_e32 v18, 0x7f, v14
	v_cmp_ne_u32_e32 vcc, s7, v18
	v_mov_b32_e32 v20, 0x7f80
	s_and_saveexec_b64 s[10:11], vcc
	s_cbranch_execz .LBB861_403
; %bb.402:
	v_and_b32_e32 v22, 7, v14
	v_ffbh_u32_e32 v20, v22
	v_min_u32_e32 v24, 32, v20
	v_subrev_u32_e32 v20, 28, v24
	v_lshlrev_b64 v[20:21], v20, v[14:15]
	v_lshrrev_b32_e32 v23, 3, v18
	v_sub_u32_e32 v21, 29, v24
	v_and_b32_e32 v20, 7, v20
	v_cmp_gt_u32_e32 vcc, 8, v18
	v_cndmask_b32_e32 v18, v23, v21, vcc
	v_cndmask_b32_e32 v20, v22, v20, vcc
	v_lshlrev_b32_e32 v21, 24, v14
	v_bfrev_b32_e32 v22, 60
	v_lshlrev_b32_e32 v20, 20, v20
	v_and_b32_e32 v21, 0x80000000, v21
	v_lshl_add_u32 v18, v18, 23, v22
	v_or3_b32 v18, v21, v18, v20
	v_lshrrev_b32_e32 v20, 16, v18
.LBB861_403:
	s_or_b64 exec, exec, s[10:11]
.LBB861_404:
	s_or_b64 exec, exec, s[8:9]
.LBB861_405:
	s_or_b64 exec, exec, s[2:3]
	v_lshrrev_b16_e32 v18, 8, v14
	v_cmp_ne_u16_e32 vcc, 0, v18
	s_and_saveexec_b64 s[2:3], vcc
	s_cbranch_execz .LBB861_411
; %bb.406:
	s_movk_i32 s7, 0x80
	v_cmp_ne_u16_e32 vcc, s7, v18
	v_mov_b32_e32 v19, 0xffff8000
	s_and_saveexec_b64 s[8:9], vcc
	s_cbranch_execz .LBB861_410
; %bb.407:
	s_movk_i32 s7, 0x7f
	v_and_b32_e32 v21, 0x7f, v18
	v_cmp_ne_u32_e32 vcc, s7, v21
	v_mov_b32_e32 v19, 0x7f80
	s_and_saveexec_b64 s[10:11], vcc
	s_cbranch_execz .LBB861_409
; %bb.408:
	v_and_b32_e32 v22, 7, v18
	v_ffbh_u32_e32 v19, v22
	v_min_u32_e32 v24, 32, v19
	v_subrev_u32_e32 v19, 28, v24
	v_lshlrev_b64 v[18:19], v19, v[18:19]
	v_lshrrev_b32_e32 v23, 3, v21
	v_sub_u32_e32 v19, 29, v24
	v_and_b32_e32 v18, 7, v18
	v_cmp_gt_u32_e32 vcc, 8, v21
	v_cndmask_b32_e32 v19, v23, v19, vcc
	v_cndmask_b32_e32 v18, v22, v18, vcc
	v_lshlrev_b32_e32 v21, 16, v14
	v_bfrev_b32_e32 v22, 60
	v_lshlrev_b32_e32 v18, 20, v18
	v_and_b32_e32 v21, 0x80000000, v21
	v_lshl_add_u32 v19, v19, 23, v22
	v_or3_b32 v18, v21, v19, v18
	v_lshrrev_b32_e32 v19, 16, v18
.LBB861_409:
	s_or_b64 exec, exec, s[10:11]
.LBB861_410:
	s_or_b64 exec, exec, s[8:9]
.LBB861_411:
	s_or_b64 exec, exec, s[2:3]
	s_movk_i32 s2, 0xff
	v_and_b32_sdwa v23, v14, s2 dst_sel:DWORD dst_unused:UNUSED_PAD src0_sel:WORD_1 src1_sel:DWORD
	v_lshrrev_b32_e32 v18, 16, v14
	v_cmp_ne_u16_e32 vcc, 0, v23
	v_mov_b32_e32 v21, 0
	v_mov_b32_e32 v22, 0
	s_and_saveexec_b64 s[2:3], vcc
	s_cbranch_execz .LBB861_417
; %bb.412:
	s_movk_i32 s7, 0x80
	v_cmp_ne_u16_e32 vcc, s7, v23
	v_mov_b32_e32 v22, 0xffff8000
	s_and_saveexec_b64 s[8:9], vcc
	s_cbranch_execz .LBB861_416
; %bb.413:
	v_bfe_u32 v23, v14, 16, 7
	s_movk_i32 s7, 0x7f
	v_cmp_ne_u32_e32 vcc, s7, v23
	v_mov_b32_e32 v22, 0x7f80
	s_and_saveexec_b64 s[10:11], vcc
	s_cbranch_execz .LBB861_415
; %bb.414:
	v_and_b32_e32 v22, 7, v18
	v_ffbh_u32_e32 v24, v22
	v_min_u32_e32 v27, 32, v24
	v_subrev_u32_e32 v24, 28, v27
	v_lshlrev_b64 v[24:25], v24, v[18:19]
	v_lshrrev_b32_e32 v26, 3, v23
	v_sub_u32_e32 v18, 29, v27
	v_and_b32_e32 v24, 7, v24
	v_cmp_gt_u32_e32 vcc, 8, v23
	v_mov_b32_e32 v23, 24
	v_cndmask_b32_e32 v18, v26, v18, vcc
	v_cndmask_b32_e32 v22, v22, v24, vcc
	v_lshlrev_b32_sdwa v23, v23, v14 dst_sel:DWORD dst_unused:UNUSED_PAD src0_sel:DWORD src1_sel:WORD_1
	v_bfrev_b32_e32 v24, 60
	v_lshlrev_b32_e32 v22, 20, v22
	v_and_b32_e32 v23, 0x80000000, v23
	v_lshl_add_u32 v18, v18, 23, v24
	v_or3_b32 v18, v23, v18, v22
	v_lshrrev_b32_e32 v22, 16, v18
.LBB861_415:
	s_or_b64 exec, exec, s[10:11]
.LBB861_416:
	s_or_b64 exec, exec, s[8:9]
.LBB861_417:
	s_or_b64 exec, exec, s[2:3]
	s_mov_b32 s2, 0xffffff
	v_cmp_lt_u32_e32 vcc, s2, v14
	s_and_saveexec_b64 s[2:3], vcc
	s_cbranch_execz .LBB861_423
; %bb.418:
	v_lshrrev_b32_e32 v18, 24, v14
	s_movk_i32 s7, 0x80
	v_cmp_ne_u32_e32 vcc, s7, v18
	v_mov_b32_e32 v21, 0xffff8000
	s_and_saveexec_b64 s[8:9], vcc
	s_cbranch_execz .LBB861_422
; %bb.419:
	v_bfe_u32 v14, v14, 24, 7
	s_movk_i32 s7, 0x7f
	v_cmp_ne_u32_e32 vcc, s7, v14
	v_mov_b32_e32 v21, 0x7f80
	s_and_saveexec_b64 s[10:11], vcc
	s_cbranch_execz .LBB861_421
; %bb.420:
	v_and_b32_e32 v21, 7, v18
	v_ffbh_u32_e32 v24, v21
	v_min_u32_e32 v26, 32, v24
	v_subrev_u32_e32 v24, 28, v26
	v_lshlrev_b64 v[24:25], v24, v[18:19]
	v_lshrrev_b32_e32 v23, 3, v14
	v_sub_u32_e32 v25, 29, v26
	v_and_b32_e32 v24, 7, v24
	v_cmp_gt_u32_e32 vcc, 8, v14
	v_cndmask_b32_e32 v14, v23, v25, vcc
	v_cndmask_b32_e32 v21, v21, v24, vcc
	v_lshlrev_b32_e32 v18, 24, v18
	v_bfrev_b32_e32 v23, 60
	v_lshlrev_b32_e32 v21, 20, v21
	v_and_b32_e32 v18, 0x80000000, v18
	v_lshl_add_u32 v14, v14, 23, v23
	v_or3_b32 v14, v18, v14, v21
	v_lshrrev_b32_e32 v21, 16, v14
.LBB861_421:
	s_or_b64 exec, exec, s[10:11]
.LBB861_422:
	s_or_b64 exec, exec, s[8:9]
.LBB861_423:
	s_or_b64 exec, exec, s[2:3]
	v_mov_b32_e32 v18, 0
	v_cmp_ne_u16_sdwa s[8:9], v15, v18 src0_sel:BYTE_0 src1_sel:DWORD
	v_mov_b32_e32 v23, 0
	s_and_saveexec_b64 s[2:3], s[8:9]
	s_cbranch_execz .LBB861_429
; %bb.424:
	s_movk_i32 s7, 0x80
	v_cmp_ne_u16_sdwa s[10:11], v15, s7 src0_sel:BYTE_0 src1_sel:DWORD
	v_mov_b32_e32 v23, 0xffff8000
	s_and_saveexec_b64 s[8:9], s[10:11]
	s_cbranch_execz .LBB861_428
; %bb.425:
	s_movk_i32 s7, 0x7f
	v_and_b32_e32 v14, 0x7f, v15
	v_cmp_ne_u32_e32 vcc, s7, v14
	v_mov_b32_e32 v23, 0x7f80
	s_and_saveexec_b64 s[10:11], vcc
	s_cbranch_execz .LBB861_427
; %bb.426:
	v_and_b32_e32 v23, 7, v15
	v_ffbh_u32_e32 v25, v23
	v_min_u32_e32 v27, 32, v25
	v_mov_b32_e32 v24, v15
	v_subrev_u32_e32 v25, 28, v27
	v_lshlrev_b64 v[24:25], v25, v[24:25]
	v_lshrrev_b32_e32 v26, 3, v14
	v_sub_u32_e32 v25, 29, v27
	v_and_b32_e32 v24, 7, v24
	v_cmp_gt_u32_e32 vcc, 8, v14
	v_cndmask_b32_e32 v14, v26, v25, vcc
	v_cndmask_b32_e32 v23, v23, v24, vcc
	v_lshlrev_b32_e32 v24, 24, v15
	v_bfrev_b32_e32 v25, 60
	v_lshlrev_b32_e32 v23, 20, v23
	v_and_b32_e32 v24, 0x80000000, v24
	v_lshl_add_u32 v14, v14, 23, v25
	v_or3_b32 v14, v24, v14, v23
	v_lshrrev_b32_e32 v23, 16, v14
.LBB861_427:
	s_or_b64 exec, exec, s[10:11]
.LBB861_428:
	s_or_b64 exec, exec, s[8:9]
.LBB861_429:
	s_or_b64 exec, exec, s[2:3]
	v_lshrrev_b16_e32 v14, 8, v15
	v_cmp_ne_u16_e32 vcc, 0, v14
	s_and_saveexec_b64 s[2:3], vcc
	s_cbranch_execz .LBB861_435
; %bb.430:
	s_movk_i32 s7, 0x80
	v_cmp_ne_u16_e32 vcc, s7, v14
	v_mov_b32_e32 v18, 0xffff8000
	s_and_saveexec_b64 s[8:9], vcc
	s_cbranch_execz .LBB861_434
; %bb.431:
	s_movk_i32 s7, 0x7f
	v_and_b32_e32 v24, 0x7f, v14
	v_cmp_ne_u32_e32 vcc, s7, v24
	v_mov_b32_e32 v18, 0x7f80
	s_and_saveexec_b64 s[10:11], vcc
	s_cbranch_execz .LBB861_433
; %bb.432:
	v_and_b32_e32 v18, 7, v14
	v_ffbh_u32_e32 v26, v18
	v_min_u32_e32 v29, 32, v26
	v_subrev_u32_e32 v26, 28, v29
	v_lshlrev_b64 v[26:27], v26, v[14:15]
	v_lshrrev_b32_e32 v25, 3, v24
	v_sub_u32_e32 v14, 29, v29
	v_and_b32_e32 v26, 7, v26
	v_cmp_gt_u32_e32 vcc, 8, v24
	v_cndmask_b32_e32 v14, v25, v14, vcc
	v_cndmask_b32_e32 v18, v18, v26, vcc
	v_lshlrev_b32_e32 v24, 16, v15
	v_bfrev_b32_e32 v25, 60
	v_lshlrev_b32_e32 v18, 20, v18
	v_and_b32_e32 v24, 0x80000000, v24
	v_lshl_add_u32 v14, v14, 23, v25
	v_or3_b32 v14, v24, v14, v18
	v_lshrrev_b32_e32 v18, 16, v14
.LBB861_433:
	s_or_b64 exec, exec, s[10:11]
.LBB861_434:
	s_or_b64 exec, exec, s[8:9]
.LBB861_435:
	s_or_b64 exec, exec, s[2:3]
	s_movk_i32 s2, 0xff
	v_and_b32_sdwa v26, v15, s2 dst_sel:DWORD dst_unused:UNUSED_PAD src0_sel:WORD_1 src1_sel:DWORD
	v_lshrrev_b32_e32 v14, 16, v15
	v_cmp_ne_u16_e32 vcc, 0, v26
	v_mov_b32_e32 v24, 0
	v_mov_b32_e32 v25, 0
	s_and_saveexec_b64 s[2:3], vcc
	s_cbranch_execz .LBB861_441
; %bb.436:
	s_movk_i32 s7, 0x80
	v_cmp_ne_u16_e32 vcc, s7, v26
	v_mov_b32_e32 v25, 0xffff8000
	s_and_saveexec_b64 s[8:9], vcc
	s_cbranch_execz .LBB861_440
; %bb.437:
	v_bfe_u32 v26, v15, 16, 7
	s_movk_i32 s7, 0x7f
	v_cmp_ne_u32_e32 vcc, s7, v26
	v_mov_b32_e32 v25, 0x7f80
	s_and_saveexec_b64 s[10:11], vcc
	s_cbranch_execz .LBB861_439
; %bb.438:
	v_and_b32_e32 v25, 7, v14
	v_ffbh_u32_e32 v29, v25
	v_min_u32_e32 v29, 32, v29
	v_subrev_u32_e32 v30, 28, v29
	v_lshlrev_b64 v[30:31], v30, v[14:15]
	v_lshrrev_b32_e32 v27, 3, v26
	v_sub_u32_e32 v14, 29, v29
	v_and_b32_e32 v29, 7, v30
	v_cmp_gt_u32_e32 vcc, 8, v26
	v_mov_b32_e32 v26, 24
	v_cndmask_b32_e32 v14, v27, v14, vcc
	v_cndmask_b32_e32 v25, v25, v29, vcc
	v_lshlrev_b32_sdwa v26, v26, v15 dst_sel:DWORD dst_unused:UNUSED_PAD src0_sel:DWORD src1_sel:WORD_1
	v_bfrev_b32_e32 v27, 60
	v_lshlrev_b32_e32 v25, 20, v25
	v_and_b32_e32 v26, 0x80000000, v26
	v_lshl_add_u32 v14, v14, 23, v27
	v_or3_b32 v14, v26, v14, v25
	v_lshrrev_b32_e32 v25, 16, v14
.LBB861_439:
	s_or_b64 exec, exec, s[10:11]
.LBB861_440:
	s_or_b64 exec, exec, s[8:9]
.LBB861_441:
	s_or_b64 exec, exec, s[2:3]
	s_mov_b32 s2, 0xffffff
	v_cmp_lt_u32_e32 vcc, s2, v15
	s_and_saveexec_b64 s[2:3], vcc
	s_cbranch_execz .LBB861_447
; %bb.442:
	v_lshrrev_b32_e32 v14, 24, v15
	s_movk_i32 s7, 0x80
	v_cmp_ne_u32_e32 vcc, s7, v14
	v_mov_b32_e32 v24, 0xffff8000
	s_and_saveexec_b64 s[8:9], vcc
	s_cbranch_execz .LBB861_446
; %bb.443:
	v_bfe_u32 v15, v15, 24, 7
	s_movk_i32 s7, 0x7f
	v_cmp_ne_u32_e32 vcc, s7, v15
	v_mov_b32_e32 v24, 0x7f80
	s_and_saveexec_b64 s[10:11], vcc
	s_cbranch_execz .LBB861_445
; %bb.444:
	v_and_b32_e32 v24, 7, v14
	v_ffbh_u32_e32 v26, v24
	v_min_u32_e32 v30, 32, v26
	v_subrev_u32_e32 v26, 28, v30
	v_lshlrev_b64 v[26:27], v26, v[14:15]
	v_lshrrev_b32_e32 v29, 3, v15
	v_sub_u32_e32 v27, 29, v30
	v_and_b32_e32 v26, 7, v26
	v_cmp_gt_u32_e32 vcc, 8, v15
	v_cndmask_b32_e32 v15, v29, v27, vcc
	v_cndmask_b32_e32 v24, v24, v26, vcc
	v_lshlrev_b32_e32 v14, 24, v14
	v_bfrev_b32_e32 v26, 60
	v_lshlrev_b32_e32 v24, 20, v24
	v_and_b32_e32 v14, 0x80000000, v14
	v_lshl_add_u32 v15, v15, 23, v26
	v_or3_b32 v14, v14, v15, v24
	v_lshrrev_b32_e32 v24, 16, v14
.LBB861_445:
	s_or_b64 exec, exec, s[10:11]
.LBB861_446:
	s_or_b64 exec, exec, s[8:9]
.LBB861_447:
	s_or_b64 exec, exec, s[2:3]
	s_mov_b32 s2, 0x5040100
	v_perm_b32 v15, v21, v22, s2
	v_perm_b32 v14, v19, v20, s2
	ds_read_b128 v[30:33], v48
	v_perm_b32 v19, v24, v25, s2
	v_perm_b32 v18, v18, v23, s2
	s_waitcnt lgkmcnt(0)
	v_mfma_f32_16x16x16bf16_1k v[34:37], v[14:15], v[30:31], 0
	v_mov_b32_e32 v15, 0
	v_cmp_ne_u16_sdwa s[8:9], v16, v15 src0_sel:BYTE_0 src1_sel:DWORD
	v_mov_b32_e32 v22, 0
	v_mfma_f32_16x16x16bf16_1k v[18:21], v[18:19], v[32:33], v[34:37]
	s_and_saveexec_b64 s[2:3], s[8:9]
	s_cbranch_execz .LBB861_453
; %bb.448:
	s_movk_i32 s7, 0x80
	v_cmp_ne_u16_sdwa s[10:11], v16, s7 src0_sel:BYTE_0 src1_sel:DWORD
	v_mov_b32_e32 v22, 0xffff8000
	s_and_saveexec_b64 s[8:9], s[10:11]
	s_cbranch_execz .LBB861_452
; %bb.449:
	s_movk_i32 s7, 0x7f
	v_and_b32_e32 v14, 0x7f, v16
	v_cmp_ne_u32_e32 vcc, s7, v14
	v_mov_b32_e32 v22, 0x7f80
	s_and_saveexec_b64 s[10:11], vcc
	s_cbranch_execz .LBB861_451
; %bb.450:
	v_and_b32_e32 v24, 7, v16
	v_ffbh_u32_e32 v22, v24
	v_min_u32_e32 v26, 32, v22
	v_subrev_u32_e32 v22, 28, v26
	v_lshlrev_b64 v[22:23], v22, v[16:17]
	v_lshrrev_b32_e32 v25, 3, v14
	v_sub_u32_e32 v23, 29, v26
	v_and_b32_e32 v22, 7, v22
	v_cmp_gt_u32_e32 vcc, 8, v14
	v_cndmask_b32_e32 v14, v25, v23, vcc
	v_cndmask_b32_e32 v22, v24, v22, vcc
	v_lshlrev_b32_e32 v23, 24, v16
	v_bfrev_b32_e32 v24, 60
	v_lshlrev_b32_e32 v22, 20, v22
	v_and_b32_e32 v23, 0x80000000, v23
	v_lshl_add_u32 v14, v14, 23, v24
	v_or3_b32 v14, v23, v14, v22
	v_lshrrev_b32_e32 v22, 16, v14
.LBB861_451:
	s_or_b64 exec, exec, s[10:11]
.LBB861_452:
	s_or_b64 exec, exec, s[8:9]
.LBB861_453:
	s_or_b64 exec, exec, s[2:3]
	v_lshrrev_b16_e32 v14, 8, v16
	v_cmp_ne_u16_e32 vcc, 0, v14
	s_and_saveexec_b64 s[2:3], vcc
	s_cbranch_execz .LBB861_459
; %bb.454:
	s_movk_i32 s7, 0x80
	v_cmp_ne_u16_e32 vcc, s7, v14
	v_mov_b32_e32 v15, 0xffff8000
	s_and_saveexec_b64 s[8:9], vcc
	s_cbranch_execz .LBB861_458
; %bb.455:
	s_movk_i32 s7, 0x7f
	v_and_b32_e32 v23, 0x7f, v14
	v_cmp_ne_u32_e32 vcc, s7, v23
	v_mov_b32_e32 v15, 0x7f80
	s_and_saveexec_b64 s[10:11], vcc
	s_cbranch_execz .LBB861_457
; %bb.456:
	v_and_b32_e32 v24, 7, v14
	v_ffbh_u32_e32 v15, v24
	v_min_u32_e32 v26, 32, v15
	v_subrev_u32_e32 v15, 28, v26
	v_lshlrev_b64 v[14:15], v15, v[14:15]
	v_lshrrev_b32_e32 v25, 3, v23
	v_sub_u32_e32 v15, 29, v26
	v_and_b32_e32 v14, 7, v14
	v_cmp_gt_u32_e32 vcc, 8, v23
	v_cndmask_b32_e32 v15, v25, v15, vcc
	v_cndmask_b32_e32 v14, v24, v14, vcc
	v_lshlrev_b32_e32 v23, 16, v16
	v_bfrev_b32_e32 v24, 60
	v_lshlrev_b32_e32 v14, 20, v14
	v_and_b32_e32 v23, 0x80000000, v23
	v_lshl_add_u32 v15, v15, 23, v24
	v_or3_b32 v14, v23, v15, v14
	v_lshrrev_b32_e32 v15, 16, v14
.LBB861_457:
	s_or_b64 exec, exec, s[10:11]
.LBB861_458:
	s_or_b64 exec, exec, s[8:9]
.LBB861_459:
	s_or_b64 exec, exec, s[2:3]
	s_movk_i32 s2, 0xff
	v_and_b32_sdwa v25, v16, s2 dst_sel:DWORD dst_unused:UNUSED_PAD src0_sel:WORD_1 src1_sel:DWORD
	v_lshrrev_b32_e32 v14, 16, v16
	v_cmp_ne_u16_e32 vcc, 0, v25
	v_mov_b32_e32 v23, 0
	v_mov_b32_e32 v24, 0
	s_and_saveexec_b64 s[2:3], vcc
	s_cbranch_execz .LBB861_465
; %bb.460:
	s_movk_i32 s7, 0x80
	v_cmp_ne_u16_e32 vcc, s7, v25
	v_mov_b32_e32 v24, 0xffff8000
	s_and_saveexec_b64 s[8:9], vcc
	s_cbranch_execz .LBB861_464
; %bb.461:
	v_bfe_u32 v25, v16, 16, 7
	s_movk_i32 s7, 0x7f
	v_cmp_ne_u32_e32 vcc, s7, v25
	v_mov_b32_e32 v24, 0x7f80
	s_and_saveexec_b64 s[10:11], vcc
	s_cbranch_execz .LBB861_463
; %bb.462:
	v_and_b32_e32 v24, 7, v14
	v_ffbh_u32_e32 v26, v24
	v_min_u32_e32 v30, 32, v26
	v_subrev_u32_e32 v26, 28, v30
	v_lshlrev_b64 v[26:27], v26, v[14:15]
	v_lshrrev_b32_e32 v29, 3, v25
	v_sub_u32_e32 v14, 29, v30
	v_and_b32_e32 v26, 7, v26
	v_cmp_gt_u32_e32 vcc, 8, v25
	v_mov_b32_e32 v25, 24
	v_cndmask_b32_e32 v14, v29, v14, vcc
	v_cndmask_b32_e32 v24, v24, v26, vcc
	v_lshlrev_b32_sdwa v25, v25, v16 dst_sel:DWORD dst_unused:UNUSED_PAD src0_sel:DWORD src1_sel:WORD_1
	v_bfrev_b32_e32 v26, 60
	v_lshlrev_b32_e32 v24, 20, v24
	v_and_b32_e32 v25, 0x80000000, v25
	v_lshl_add_u32 v14, v14, 23, v26
	v_or3_b32 v14, v25, v14, v24
	v_lshrrev_b32_e32 v24, 16, v14
.LBB861_463:
	s_or_b64 exec, exec, s[10:11]
.LBB861_464:
	s_or_b64 exec, exec, s[8:9]
.LBB861_465:
	s_or_b64 exec, exec, s[2:3]
	s_mov_b32 s2, 0xffffff
	v_cmp_lt_u32_e32 vcc, s2, v16
	s_and_saveexec_b64 s[2:3], vcc
	s_cbranch_execz .LBB861_471
; %bb.466:
	v_lshrrev_b32_e32 v14, 24, v16
	s_movk_i32 s7, 0x80
	v_cmp_ne_u32_e32 vcc, s7, v14
	v_mov_b32_e32 v23, 0xffff8000
	s_and_saveexec_b64 s[8:9], vcc
	s_cbranch_execz .LBB861_470
; %bb.467:
	v_bfe_u32 v16, v16, 24, 7
	s_movk_i32 s7, 0x7f
	v_cmp_ne_u32_e32 vcc, s7, v16
	v_mov_b32_e32 v23, 0x7f80
	s_and_saveexec_b64 s[10:11], vcc
	s_cbranch_execz .LBB861_469
; %bb.468:
	v_and_b32_e32 v23, 7, v14
	v_ffbh_u32_e32 v26, v23
	v_min_u32_e32 v29, 32, v26
	v_subrev_u32_e32 v26, 28, v29
	v_lshlrev_b64 v[26:27], v26, v[14:15]
	v_lshrrev_b32_e32 v25, 3, v16
	v_sub_u32_e32 v27, 29, v29
	v_and_b32_e32 v26, 7, v26
	v_cmp_gt_u32_e32 vcc, 8, v16
	v_cndmask_b32_e32 v16, v25, v27, vcc
	v_cndmask_b32_e32 v23, v23, v26, vcc
	v_lshlrev_b32_e32 v14, 24, v14
	v_bfrev_b32_e32 v25, 60
	v_lshlrev_b32_e32 v23, 20, v23
	v_and_b32_e32 v14, 0x80000000, v14
	v_lshl_add_u32 v16, v16, 23, v25
	v_or3_b32 v14, v14, v16, v23
	v_lshrrev_b32_e32 v23, 16, v14
.LBB861_469:
	s_or_b64 exec, exec, s[10:11]
.LBB861_470:
	s_or_b64 exec, exec, s[8:9]
.LBB861_471:
	s_or_b64 exec, exec, s[2:3]
	v_mov_b32_e32 v16, 0
	v_cmp_ne_u16_sdwa s[8:9], v17, v16 src0_sel:BYTE_0 src1_sel:DWORD
	v_mov_b32_e32 v25, 0
	s_and_saveexec_b64 s[2:3], s[8:9]
	s_cbranch_execz .LBB861_477
; %bb.472:
	s_movk_i32 s7, 0x80
	v_cmp_ne_u16_sdwa s[10:11], v17, s7 src0_sel:BYTE_0 src1_sel:DWORD
	v_mov_b32_e32 v25, 0xffff8000
	s_and_saveexec_b64 s[8:9], s[10:11]
	s_cbranch_execz .LBB861_476
; %bb.473:
	s_movk_i32 s7, 0x7f
	v_and_b32_e32 v14, 0x7f, v17
	v_cmp_ne_u32_e32 vcc, s7, v14
	v_mov_b32_e32 v25, 0x7f80
	s_and_saveexec_b64 s[10:11], vcc
	s_cbranch_execz .LBB861_475
; %bb.474:
	v_and_b32_e32 v25, 7, v17
	v_ffbh_u32_e32 v27, v25
	v_min_u32_e32 v30, 32, v27
	v_mov_b32_e32 v26, v17
	v_subrev_u32_e32 v27, 28, v30
	v_lshlrev_b64 v[26:27], v27, v[26:27]
	v_lshrrev_b32_e32 v29, 3, v14
	v_sub_u32_e32 v27, 29, v30
	v_and_b32_e32 v26, 7, v26
	v_cmp_gt_u32_e32 vcc, 8, v14
	v_cndmask_b32_e32 v14, v29, v27, vcc
	v_cndmask_b32_e32 v25, v25, v26, vcc
	v_lshlrev_b32_e32 v26, 24, v17
	v_bfrev_b32_e32 v27, 60
	v_lshlrev_b32_e32 v25, 20, v25
	v_and_b32_e32 v26, 0x80000000, v26
	v_lshl_add_u32 v14, v14, 23, v27
	v_or3_b32 v14, v26, v14, v25
	v_lshrrev_b32_e32 v25, 16, v14
.LBB861_475:
	s_or_b64 exec, exec, s[10:11]
.LBB861_476:
	s_or_b64 exec, exec, s[8:9]
.LBB861_477:
	s_or_b64 exec, exec, s[2:3]
	v_lshrrev_b16_e32 v14, 8, v17
	v_cmp_ne_u16_e32 vcc, 0, v14
	s_and_saveexec_b64 s[2:3], vcc
	s_cbranch_execz .LBB861_483
; %bb.478:
	s_movk_i32 s7, 0x80
	v_cmp_ne_u16_e32 vcc, s7, v14
	v_mov_b32_e32 v16, 0xffff8000
	s_and_saveexec_b64 s[8:9], vcc
	s_cbranch_execz .LBB861_482
; %bb.479:
	s_movk_i32 s7, 0x7f
	v_and_b32_e32 v26, 0x7f, v14
	v_cmp_ne_u32_e32 vcc, s7, v26
	v_mov_b32_e32 v16, 0x7f80
	s_and_saveexec_b64 s[10:11], vcc
	s_cbranch_execz .LBB861_481
; %bb.480:
	v_and_b32_e32 v16, 7, v14
	v_ffbh_u32_e32 v29, v16
	v_min_u32_e32 v29, 32, v29
	v_subrev_u32_e32 v30, 28, v29
	v_lshlrev_b64 v[30:31], v30, v[14:15]
	v_lshrrev_b32_e32 v27, 3, v26
	v_sub_u32_e32 v14, 29, v29
	v_and_b32_e32 v29, 7, v30
	v_cmp_gt_u32_e32 vcc, 8, v26
	v_cndmask_b32_e32 v14, v27, v14, vcc
	v_cndmask_b32_e32 v16, v16, v29, vcc
	v_lshlrev_b32_e32 v26, 16, v17
	v_bfrev_b32_e32 v27, 60
	v_lshlrev_b32_e32 v16, 20, v16
	v_and_b32_e32 v26, 0x80000000, v26
	v_lshl_add_u32 v14, v14, 23, v27
	v_or3_b32 v14, v26, v14, v16
	v_lshrrev_b32_e32 v16, 16, v14
.LBB861_481:
	s_or_b64 exec, exec, s[10:11]
.LBB861_482:
	s_or_b64 exec, exec, s[8:9]
.LBB861_483:
	s_or_b64 exec, exec, s[2:3]
	s_movk_i32 s2, 0xff
	v_and_b32_sdwa v29, v17, s2 dst_sel:DWORD dst_unused:UNUSED_PAD src0_sel:WORD_1 src1_sel:DWORD
	v_lshrrev_b32_e32 v14, 16, v17
	v_cmp_ne_u16_e32 vcc, 0, v29
	v_mov_b32_e32 v26, 0
	v_mov_b32_e32 v27, 0
	s_and_saveexec_b64 s[2:3], vcc
	s_cbranch_execz .LBB861_489
; %bb.484:
	s_movk_i32 s7, 0x80
	v_cmp_ne_u16_e32 vcc, s7, v29
	v_mov_b32_e32 v27, 0xffff8000
	s_and_saveexec_b64 s[8:9], vcc
	s_cbranch_execz .LBB861_488
; %bb.485:
	v_bfe_u32 v29, v17, 16, 7
	s_movk_i32 s7, 0x7f
	v_cmp_ne_u32_e32 vcc, s7, v29
	v_mov_b32_e32 v27, 0x7f80
	s_and_saveexec_b64 s[10:11], vcc
	s_cbranch_execz .LBB861_487
; %bb.486:
	v_and_b32_e32 v27, 7, v14
	v_ffbh_u32_e32 v30, v27
	v_min_u32_e32 v33, 32, v30
	v_subrev_u32_e32 v30, 28, v33
	v_lshlrev_b64 v[30:31], v30, v[14:15]
	v_lshrrev_b32_e32 v32, 3, v29
	v_sub_u32_e32 v14, 29, v33
	v_and_b32_e32 v30, 7, v30
	v_cmp_gt_u32_e32 vcc, 8, v29
	v_mov_b32_e32 v29, 24
	v_cndmask_b32_e32 v14, v32, v14, vcc
	v_cndmask_b32_e32 v27, v27, v30, vcc
	v_lshlrev_b32_sdwa v29, v29, v17 dst_sel:DWORD dst_unused:UNUSED_PAD src0_sel:DWORD src1_sel:WORD_1
	v_bfrev_b32_e32 v30, 60
	v_lshlrev_b32_e32 v27, 20, v27
	v_and_b32_e32 v29, 0x80000000, v29
	v_lshl_add_u32 v14, v14, 23, v30
	v_or3_b32 v14, v29, v14, v27
	v_lshrrev_b32_e32 v27, 16, v14
.LBB861_487:
	s_or_b64 exec, exec, s[10:11]
.LBB861_488:
	s_or_b64 exec, exec, s[8:9]
.LBB861_489:
	s_or_b64 exec, exec, s[2:3]
	s_mov_b32 s2, 0xffffff
	v_cmp_lt_u32_e32 vcc, s2, v17
	s_and_saveexec_b64 s[2:3], vcc
	s_cbranch_execz .LBB861_495
; %bb.490:
	v_lshrrev_b32_e32 v14, 24, v17
	s_movk_i32 s7, 0x80
	v_cmp_ne_u32_e32 vcc, s7, v14
	v_mov_b32_e32 v26, 0xffff8000
	s_and_saveexec_b64 s[8:9], vcc
	s_cbranch_execz .LBB861_494
; %bb.491:
	v_bfe_u32 v17, v17, 24, 7
	s_movk_i32 s7, 0x7f
	v_cmp_ne_u32_e32 vcc, s7, v17
	v_mov_b32_e32 v26, 0x7f80
	s_and_saveexec_b64 s[10:11], vcc
	s_cbranch_execz .LBB861_493
; %bb.492:
	v_and_b32_e32 v26, 7, v14
	v_ffbh_u32_e32 v30, v26
	v_min_u32_e32 v32, 32, v30
	v_subrev_u32_e32 v30, 28, v32
	v_lshlrev_b64 v[30:31], v30, v[14:15]
	v_lshrrev_b32_e32 v29, 3, v17
	v_sub_u32_e32 v31, 29, v32
	v_and_b32_e32 v30, 7, v30
	v_cmp_gt_u32_e32 vcc, 8, v17
	v_cndmask_b32_e32 v17, v29, v31, vcc
	v_cndmask_b32_e32 v26, v26, v30, vcc
	v_lshlrev_b32_e32 v14, 24, v14
	v_bfrev_b32_e32 v29, 60
	v_lshlrev_b32_e32 v26, 20, v26
	v_and_b32_e32 v14, 0x80000000, v14
	v_lshl_add_u32 v17, v17, 23, v29
	v_or3_b32 v14, v14, v17, v26
	v_lshrrev_b32_e32 v26, 16, v14
.LBB861_493:
	s_or_b64 exec, exec, s[10:11]
.LBB861_494:
	s_or_b64 exec, exec, s[8:9]
.LBB861_495:
	s_or_b64 exec, exec, s[2:3]
	s_mov_b32 s2, 0x5040100
	v_perm_b32 v23, v23, v24, s2
	v_perm_b32 v22, v15, v22, s2
	ds_read_b128 v[30:33], v48 offset:16
	v_perm_b32 v15, v26, v27, s2
	v_perm_b32 v14, v16, v25, s2
	s_waitcnt lgkmcnt(0)
	v_mfma_f32_16x16x16bf16_1k v[34:37], v[22:23], v[30:31], v[18:21]
	s_nop 6
	v_mov_b32_e32 v19, 0
	s_waitcnt vmcnt(2)
	v_cmp_ne_u16_sdwa s[8:9], v10, v19 src0_sel:BYTE_0 src1_sel:DWORD
	v_mfma_f32_16x16x16bf16_1k v[14:17], v[14:15], v[32:33], v[34:37]
	v_mov_b32_e32 v20, 0
	s_and_saveexec_b64 s[2:3], s[8:9]
	s_cbranch_execz .LBB861_501
; %bb.496:
	s_movk_i32 s7, 0x80
	v_cmp_ne_u16_sdwa s[10:11], v10, s7 src0_sel:BYTE_0 src1_sel:DWORD
	v_mov_b32_e32 v20, 0xffff8000
	s_and_saveexec_b64 s[8:9], s[10:11]
	s_cbranch_execz .LBB861_500
; %bb.497:
	s_movk_i32 s7, 0x7f
	v_and_b32_e32 v18, 0x7f, v10
	v_cmp_ne_u32_e32 vcc, s7, v18
	v_mov_b32_e32 v20, 0x7f80
	s_and_saveexec_b64 s[10:11], vcc
	s_cbranch_execz .LBB861_499
; %bb.498:
	v_and_b32_e32 v22, 7, v10
	v_ffbh_u32_e32 v20, v22
	v_min_u32_e32 v24, 32, v20
	v_subrev_u32_e32 v20, 28, v24
	v_lshlrev_b64 v[20:21], v20, v[10:11]
	v_lshrrev_b32_e32 v23, 3, v18
	v_sub_u32_e32 v21, 29, v24
	v_and_b32_e32 v20, 7, v20
	v_cmp_gt_u32_e32 vcc, 8, v18
	v_cndmask_b32_e32 v18, v23, v21, vcc
	v_cndmask_b32_e32 v20, v22, v20, vcc
	v_lshlrev_b32_e32 v21, 24, v10
	v_bfrev_b32_e32 v22, 60
	v_lshlrev_b32_e32 v20, 20, v20
	v_and_b32_e32 v21, 0x80000000, v21
	v_lshl_add_u32 v18, v18, 23, v22
	v_or3_b32 v18, v21, v18, v20
	v_lshrrev_b32_e32 v20, 16, v18
.LBB861_499:
	s_or_b64 exec, exec, s[10:11]
.LBB861_500:
	s_or_b64 exec, exec, s[8:9]
.LBB861_501:
	s_or_b64 exec, exec, s[2:3]
	v_lshrrev_b16_e32 v18, 8, v10
	v_cmp_ne_u16_e32 vcc, 0, v18
	s_and_saveexec_b64 s[2:3], vcc
	s_cbranch_execz .LBB861_507
; %bb.502:
	s_movk_i32 s7, 0x80
	v_cmp_ne_u16_e32 vcc, s7, v18
	v_mov_b32_e32 v19, 0xffff8000
	s_and_saveexec_b64 s[8:9], vcc
	s_cbranch_execz .LBB861_506
; %bb.503:
	s_movk_i32 s7, 0x7f
	v_and_b32_e32 v21, 0x7f, v18
	v_cmp_ne_u32_e32 vcc, s7, v21
	v_mov_b32_e32 v19, 0x7f80
	s_and_saveexec_b64 s[10:11], vcc
	s_cbranch_execz .LBB861_505
; %bb.504:
	v_and_b32_e32 v22, 7, v18
	v_ffbh_u32_e32 v19, v22
	v_min_u32_e32 v24, 32, v19
	v_subrev_u32_e32 v19, 28, v24
	v_lshlrev_b64 v[18:19], v19, v[18:19]
	v_lshrrev_b32_e32 v23, 3, v21
	v_sub_u32_e32 v19, 29, v24
	v_and_b32_e32 v18, 7, v18
	v_cmp_gt_u32_e32 vcc, 8, v21
	v_cndmask_b32_e32 v19, v23, v19, vcc
	v_cndmask_b32_e32 v18, v22, v18, vcc
	v_lshlrev_b32_e32 v21, 16, v10
	v_bfrev_b32_e32 v22, 60
	v_lshlrev_b32_e32 v18, 20, v18
	v_and_b32_e32 v21, 0x80000000, v21
	v_lshl_add_u32 v19, v19, 23, v22
	v_or3_b32 v18, v21, v19, v18
	v_lshrrev_b32_e32 v19, 16, v18
.LBB861_505:
	s_or_b64 exec, exec, s[10:11]
.LBB861_506:
	s_or_b64 exec, exec, s[8:9]
.LBB861_507:
	s_or_b64 exec, exec, s[2:3]
	s_movk_i32 s2, 0xff
	v_and_b32_sdwa v23, v10, s2 dst_sel:DWORD dst_unused:UNUSED_PAD src0_sel:WORD_1 src1_sel:DWORD
	v_lshrrev_b32_e32 v18, 16, v10
	v_cmp_ne_u16_e32 vcc, 0, v23
	v_mov_b32_e32 v21, 0
	v_mov_b32_e32 v22, 0
	s_and_saveexec_b64 s[2:3], vcc
	s_cbranch_execz .LBB861_513
; %bb.508:
	s_movk_i32 s7, 0x80
	v_cmp_ne_u16_e32 vcc, s7, v23
	v_mov_b32_e32 v22, 0xffff8000
	s_and_saveexec_b64 s[8:9], vcc
	s_cbranch_execz .LBB861_512
; %bb.509:
	v_bfe_u32 v23, v10, 16, 7
	s_movk_i32 s7, 0x7f
	v_cmp_ne_u32_e32 vcc, s7, v23
	v_mov_b32_e32 v22, 0x7f80
	s_and_saveexec_b64 s[10:11], vcc
	s_cbranch_execz .LBB861_511
; %bb.510:
	v_and_b32_e32 v22, 7, v18
	v_ffbh_u32_e32 v24, v22
	v_min_u32_e32 v27, 32, v24
	v_subrev_u32_e32 v24, 28, v27
	v_lshlrev_b64 v[24:25], v24, v[18:19]
	v_lshrrev_b32_e32 v26, 3, v23
	v_sub_u32_e32 v18, 29, v27
	v_and_b32_e32 v24, 7, v24
	v_cmp_gt_u32_e32 vcc, 8, v23
	v_mov_b32_e32 v23, 24
	v_cndmask_b32_e32 v18, v26, v18, vcc
	v_cndmask_b32_e32 v22, v22, v24, vcc
	v_lshlrev_b32_sdwa v23, v23, v10 dst_sel:DWORD dst_unused:UNUSED_PAD src0_sel:DWORD src1_sel:WORD_1
	v_bfrev_b32_e32 v24, 60
	v_lshlrev_b32_e32 v22, 20, v22
	v_and_b32_e32 v23, 0x80000000, v23
	v_lshl_add_u32 v18, v18, 23, v24
	v_or3_b32 v18, v23, v18, v22
	v_lshrrev_b32_e32 v22, 16, v18
.LBB861_511:
	s_or_b64 exec, exec, s[10:11]
.LBB861_512:
	s_or_b64 exec, exec, s[8:9]
.LBB861_513:
	s_or_b64 exec, exec, s[2:3]
	s_mov_b32 s2, 0xffffff
	v_cmp_lt_u32_e32 vcc, s2, v10
	s_and_saveexec_b64 s[2:3], vcc
	s_cbranch_execz .LBB861_519
; %bb.514:
	v_lshrrev_b32_e32 v18, 24, v10
	s_movk_i32 s7, 0x80
	v_cmp_ne_u32_e32 vcc, s7, v18
	v_mov_b32_e32 v21, 0xffff8000
	s_and_saveexec_b64 s[8:9], vcc
	s_cbranch_execz .LBB861_518
; %bb.515:
	v_bfe_u32 v10, v10, 24, 7
	s_movk_i32 s7, 0x7f
	v_cmp_ne_u32_e32 vcc, s7, v10
	v_mov_b32_e32 v21, 0x7f80
	s_and_saveexec_b64 s[10:11], vcc
	s_cbranch_execz .LBB861_517
; %bb.516:
	v_and_b32_e32 v21, 7, v18
	v_ffbh_u32_e32 v24, v21
	v_min_u32_e32 v26, 32, v24
	v_subrev_u32_e32 v24, 28, v26
	v_lshlrev_b64 v[24:25], v24, v[18:19]
	v_lshrrev_b32_e32 v23, 3, v10
	v_sub_u32_e32 v25, 29, v26
	v_and_b32_e32 v24, 7, v24
	v_cmp_gt_u32_e32 vcc, 8, v10
	v_cndmask_b32_e32 v10, v23, v25, vcc
	v_cndmask_b32_e32 v21, v21, v24, vcc
	v_lshlrev_b32_e32 v18, 24, v18
	v_bfrev_b32_e32 v23, 60
	v_lshlrev_b32_e32 v21, 20, v21
	v_and_b32_e32 v18, 0x80000000, v18
	v_lshl_add_u32 v10, v10, 23, v23
	v_or3_b32 v10, v18, v10, v21
	v_lshrrev_b32_e32 v21, 16, v10
.LBB861_517:
	s_or_b64 exec, exec, s[10:11]
.LBB861_518:
	s_or_b64 exec, exec, s[8:9]
.LBB861_519:
	s_or_b64 exec, exec, s[2:3]
	v_mov_b32_e32 v18, 0
	v_cmp_ne_u16_sdwa s[8:9], v11, v18 src0_sel:BYTE_0 src1_sel:DWORD
	v_mov_b32_e32 v23, 0
	s_and_saveexec_b64 s[2:3], s[8:9]
	s_cbranch_execz .LBB861_525
; %bb.520:
	s_movk_i32 s7, 0x80
	v_cmp_ne_u16_sdwa s[10:11], v11, s7 src0_sel:BYTE_0 src1_sel:DWORD
	v_mov_b32_e32 v23, 0xffff8000
	s_and_saveexec_b64 s[8:9], s[10:11]
	s_cbranch_execz .LBB861_524
; %bb.521:
	s_movk_i32 s7, 0x7f
	v_and_b32_e32 v10, 0x7f, v11
	v_cmp_ne_u32_e32 vcc, s7, v10
	v_mov_b32_e32 v23, 0x7f80
	s_and_saveexec_b64 s[10:11], vcc
	s_cbranch_execz .LBB861_523
; %bb.522:
	v_and_b32_e32 v23, 7, v11
	v_ffbh_u32_e32 v25, v23
	v_min_u32_e32 v27, 32, v25
	v_mov_b32_e32 v24, v11
	v_subrev_u32_e32 v25, 28, v27
	v_lshlrev_b64 v[24:25], v25, v[24:25]
	v_lshrrev_b32_e32 v26, 3, v10
	v_sub_u32_e32 v25, 29, v27
	v_and_b32_e32 v24, 7, v24
	v_cmp_gt_u32_e32 vcc, 8, v10
	v_cndmask_b32_e32 v10, v26, v25, vcc
	v_cndmask_b32_e32 v23, v23, v24, vcc
	v_lshlrev_b32_e32 v24, 24, v11
	v_bfrev_b32_e32 v25, 60
	v_lshlrev_b32_e32 v23, 20, v23
	v_and_b32_e32 v24, 0x80000000, v24
	v_lshl_add_u32 v10, v10, 23, v25
	v_or3_b32 v10, v24, v10, v23
	v_lshrrev_b32_e32 v23, 16, v10
.LBB861_523:
	s_or_b64 exec, exec, s[10:11]
.LBB861_524:
	s_or_b64 exec, exec, s[8:9]
.LBB861_525:
	s_or_b64 exec, exec, s[2:3]
	v_lshrrev_b16_e32 v10, 8, v11
	v_cmp_ne_u16_e32 vcc, 0, v10
	s_and_saveexec_b64 s[2:3], vcc
	s_cbranch_execz .LBB861_531
; %bb.526:
	s_movk_i32 s7, 0x80
	v_cmp_ne_u16_e32 vcc, s7, v10
	v_mov_b32_e32 v18, 0xffff8000
	s_and_saveexec_b64 s[8:9], vcc
	s_cbranch_execz .LBB861_530
; %bb.527:
	s_movk_i32 s7, 0x7f
	v_and_b32_e32 v24, 0x7f, v10
	v_cmp_ne_u32_e32 vcc, s7, v24
	v_mov_b32_e32 v18, 0x7f80
	s_and_saveexec_b64 s[10:11], vcc
	s_cbranch_execz .LBB861_529
; %bb.528:
	v_and_b32_e32 v18, 7, v10
	v_ffbh_u32_e32 v26, v18
	v_min_u32_e32 v29, 32, v26
	v_subrev_u32_e32 v26, 28, v29
	v_lshlrev_b64 v[26:27], v26, v[10:11]
	v_lshrrev_b32_e32 v25, 3, v24
	v_sub_u32_e32 v10, 29, v29
	v_and_b32_e32 v26, 7, v26
	v_cmp_gt_u32_e32 vcc, 8, v24
	v_cndmask_b32_e32 v10, v25, v10, vcc
	v_cndmask_b32_e32 v18, v18, v26, vcc
	v_lshlrev_b32_e32 v24, 16, v11
	v_bfrev_b32_e32 v25, 60
	v_lshlrev_b32_e32 v18, 20, v18
	v_and_b32_e32 v24, 0x80000000, v24
	v_lshl_add_u32 v10, v10, 23, v25
	v_or3_b32 v10, v24, v10, v18
	v_lshrrev_b32_e32 v18, 16, v10
.LBB861_529:
	s_or_b64 exec, exec, s[10:11]
.LBB861_530:
	s_or_b64 exec, exec, s[8:9]
.LBB861_531:
	s_or_b64 exec, exec, s[2:3]
	s_movk_i32 s2, 0xff
	v_and_b32_sdwa v26, v11, s2 dst_sel:DWORD dst_unused:UNUSED_PAD src0_sel:WORD_1 src1_sel:DWORD
	v_lshrrev_b32_e32 v10, 16, v11
	v_cmp_ne_u16_e32 vcc, 0, v26
	v_mov_b32_e32 v24, 0
	v_mov_b32_e32 v25, 0
	s_and_saveexec_b64 s[2:3], vcc
	s_cbranch_execz .LBB861_537
; %bb.532:
	s_movk_i32 s7, 0x80
	v_cmp_ne_u16_e32 vcc, s7, v26
	v_mov_b32_e32 v25, 0xffff8000
	s_and_saveexec_b64 s[8:9], vcc
	s_cbranch_execz .LBB861_536
; %bb.533:
	v_bfe_u32 v26, v11, 16, 7
	s_movk_i32 s7, 0x7f
	v_cmp_ne_u32_e32 vcc, s7, v26
	v_mov_b32_e32 v25, 0x7f80
	s_and_saveexec_b64 s[10:11], vcc
	s_cbranch_execz .LBB861_535
; %bb.534:
	v_and_b32_e32 v25, 7, v10
	v_ffbh_u32_e32 v29, v25
	v_min_u32_e32 v29, 32, v29
	v_subrev_u32_e32 v30, 28, v29
	v_lshlrev_b64 v[30:31], v30, v[10:11]
	v_lshrrev_b32_e32 v27, 3, v26
	v_sub_u32_e32 v10, 29, v29
	v_and_b32_e32 v29, 7, v30
	v_cmp_gt_u32_e32 vcc, 8, v26
	v_mov_b32_e32 v26, 24
	v_cndmask_b32_e32 v10, v27, v10, vcc
	v_cndmask_b32_e32 v25, v25, v29, vcc
	v_lshlrev_b32_sdwa v26, v26, v11 dst_sel:DWORD dst_unused:UNUSED_PAD src0_sel:DWORD src1_sel:WORD_1
	v_bfrev_b32_e32 v27, 60
	v_lshlrev_b32_e32 v25, 20, v25
	v_and_b32_e32 v26, 0x80000000, v26
	v_lshl_add_u32 v10, v10, 23, v27
	v_or3_b32 v10, v26, v10, v25
	v_lshrrev_b32_e32 v25, 16, v10
.LBB861_535:
	s_or_b64 exec, exec, s[10:11]
.LBB861_536:
	s_or_b64 exec, exec, s[8:9]
.LBB861_537:
	s_or_b64 exec, exec, s[2:3]
	s_mov_b32 s2, 0xffffff
	v_cmp_lt_u32_e32 vcc, s2, v11
	s_and_saveexec_b64 s[2:3], vcc
	s_cbranch_execz .LBB861_543
; %bb.538:
	v_lshrrev_b32_e32 v10, 24, v11
	s_movk_i32 s7, 0x80
	v_cmp_ne_u32_e32 vcc, s7, v10
	v_mov_b32_e32 v24, 0xffff8000
	s_and_saveexec_b64 s[8:9], vcc
	s_cbranch_execz .LBB861_542
; %bb.539:
	v_bfe_u32 v11, v11, 24, 7
	s_movk_i32 s7, 0x7f
	v_cmp_ne_u32_e32 vcc, s7, v11
	v_mov_b32_e32 v24, 0x7f80
	s_and_saveexec_b64 s[10:11], vcc
	s_cbranch_execz .LBB861_541
; %bb.540:
	v_and_b32_e32 v24, 7, v10
	v_ffbh_u32_e32 v26, v24
	v_min_u32_e32 v30, 32, v26
	v_subrev_u32_e32 v26, 28, v30
	v_lshlrev_b64 v[26:27], v26, v[10:11]
	v_lshrrev_b32_e32 v29, 3, v11
	v_sub_u32_e32 v27, 29, v30
	v_and_b32_e32 v26, 7, v26
	v_cmp_gt_u32_e32 vcc, 8, v11
	v_cndmask_b32_e32 v11, v29, v27, vcc
	v_cndmask_b32_e32 v24, v24, v26, vcc
	v_lshlrev_b32_e32 v10, 24, v10
	v_bfrev_b32_e32 v26, 60
	v_lshlrev_b32_e32 v24, 20, v24
	v_and_b32_e32 v10, 0x80000000, v10
	v_lshl_add_u32 v11, v11, 23, v26
	v_or3_b32 v10, v10, v11, v24
	v_lshrrev_b32_e32 v24, 16, v10
.LBB861_541:
	s_or_b64 exec, exec, s[10:11]
.LBB861_542:
	s_or_b64 exec, exec, s[8:9]
.LBB861_543:
	s_or_b64 exec, exec, s[2:3]
	s_mov_b32 s2, 0x5040100
	v_perm_b32 v11, v21, v22, s2
	v_perm_b32 v10, v19, v20, s2
	ds_read_b128 v[30:33], v48 offset:2048
	v_perm_b32 v21, v24, v25, s2
	v_perm_b32 v20, v18, v23, s2
	s_waitcnt lgkmcnt(0)
	v_mfma_f32_16x16x16bf16_1k v[14:17], v[10:11], v[30:31], v[14:17]
	v_mov_b32_e32 v11, 0
	v_cmp_ne_u16_sdwa s[8:9], v12, v11 src0_sel:BYTE_0 src1_sel:DWORD
	v_mov_b32_e32 v18, 0
	v_mfma_f32_16x16x16bf16_1k v[14:17], v[20:21], v[32:33], v[14:17]
	s_and_saveexec_b64 s[2:3], s[8:9]
	s_cbranch_execz .LBB861_549
; %bb.544:
	s_movk_i32 s7, 0x80
	v_cmp_ne_u16_sdwa s[10:11], v12, s7 src0_sel:BYTE_0 src1_sel:DWORD
	v_mov_b32_e32 v18, 0xffff8000
	s_and_saveexec_b64 s[8:9], s[10:11]
	s_cbranch_execz .LBB861_548
; %bb.545:
	s_movk_i32 s7, 0x7f
	v_and_b32_e32 v10, 0x7f, v12
	v_cmp_ne_u32_e32 vcc, s7, v10
	v_mov_b32_e32 v18, 0x7f80
	s_and_saveexec_b64 s[10:11], vcc
	s_cbranch_execz .LBB861_547
; %bb.546:
	v_and_b32_e32 v20, 7, v12
	v_ffbh_u32_e32 v18, v20
	v_min_u32_e32 v22, 32, v18
	v_subrev_u32_e32 v18, 28, v22
	v_lshlrev_b64 v[18:19], v18, v[12:13]
	v_lshrrev_b32_e32 v21, 3, v10
	v_sub_u32_e32 v19, 29, v22
	v_and_b32_e32 v18, 7, v18
	v_cmp_gt_u32_e32 vcc, 8, v10
	v_cndmask_b32_e32 v10, v21, v19, vcc
	v_cndmask_b32_e32 v18, v20, v18, vcc
	v_lshlrev_b32_e32 v19, 24, v12
	v_bfrev_b32_e32 v20, 60
	v_lshlrev_b32_e32 v18, 20, v18
	v_and_b32_e32 v19, 0x80000000, v19
	v_lshl_add_u32 v10, v10, 23, v20
	v_or3_b32 v10, v19, v10, v18
	v_lshrrev_b32_e32 v18, 16, v10
.LBB861_547:
	s_or_b64 exec, exec, s[10:11]
.LBB861_548:
	s_or_b64 exec, exec, s[8:9]
.LBB861_549:
	s_or_b64 exec, exec, s[2:3]
	v_lshrrev_b16_e32 v10, 8, v12
	v_cmp_ne_u16_e32 vcc, 0, v10
	s_and_saveexec_b64 s[2:3], vcc
	s_cbranch_execz .LBB861_555
; %bb.550:
	s_movk_i32 s7, 0x80
	v_cmp_ne_u16_e32 vcc, s7, v10
	v_mov_b32_e32 v11, 0xffff8000
	s_and_saveexec_b64 s[8:9], vcc
	s_cbranch_execz .LBB861_554
; %bb.551:
	s_movk_i32 s7, 0x7f
	v_and_b32_e32 v19, 0x7f, v10
	v_cmp_ne_u32_e32 vcc, s7, v19
	v_mov_b32_e32 v11, 0x7f80
	s_and_saveexec_b64 s[10:11], vcc
	s_cbranch_execz .LBB861_553
; %bb.552:
	v_and_b32_e32 v20, 7, v10
	v_ffbh_u32_e32 v11, v20
	v_min_u32_e32 v22, 32, v11
	v_subrev_u32_e32 v11, 28, v22
	v_lshlrev_b64 v[10:11], v11, v[10:11]
	v_lshrrev_b32_e32 v21, 3, v19
	v_sub_u32_e32 v11, 29, v22
	v_and_b32_e32 v10, 7, v10
	v_cmp_gt_u32_e32 vcc, 8, v19
	v_cndmask_b32_e32 v11, v21, v11, vcc
	v_cndmask_b32_e32 v10, v20, v10, vcc
	v_lshlrev_b32_e32 v19, 16, v12
	v_bfrev_b32_e32 v20, 60
	v_lshlrev_b32_e32 v10, 20, v10
	v_and_b32_e32 v19, 0x80000000, v19
	v_lshl_add_u32 v11, v11, 23, v20
	v_or3_b32 v10, v19, v11, v10
	v_lshrrev_b32_e32 v11, 16, v10
.LBB861_553:
	s_or_b64 exec, exec, s[10:11]
.LBB861_554:
	s_or_b64 exec, exec, s[8:9]
.LBB861_555:
	s_or_b64 exec, exec, s[2:3]
	s_movk_i32 s2, 0xff
	v_and_b32_sdwa v21, v12, s2 dst_sel:DWORD dst_unused:UNUSED_PAD src0_sel:WORD_1 src1_sel:DWORD
	v_lshrrev_b32_e32 v10, 16, v12
	v_cmp_ne_u16_e32 vcc, 0, v21
	v_mov_b32_e32 v19, 0
	v_mov_b32_e32 v20, 0
	s_and_saveexec_b64 s[2:3], vcc
	s_cbranch_execz .LBB861_561
; %bb.556:
	s_movk_i32 s7, 0x80
	v_cmp_ne_u16_e32 vcc, s7, v21
	v_mov_b32_e32 v20, 0xffff8000
	s_and_saveexec_b64 s[8:9], vcc
	s_cbranch_execz .LBB861_560
; %bb.557:
	v_bfe_u32 v21, v12, 16, 7
	s_movk_i32 s7, 0x7f
	v_cmp_ne_u32_e32 vcc, s7, v21
	v_mov_b32_e32 v20, 0x7f80
	s_and_saveexec_b64 s[10:11], vcc
	s_cbranch_execz .LBB861_559
; %bb.558:
	v_and_b32_e32 v20, 7, v10
	v_ffbh_u32_e32 v22, v20
	v_min_u32_e32 v25, 32, v22
	v_subrev_u32_e32 v22, 28, v25
	v_lshlrev_b64 v[22:23], v22, v[10:11]
	v_lshrrev_b32_e32 v24, 3, v21
	v_sub_u32_e32 v10, 29, v25
	v_and_b32_e32 v22, 7, v22
	v_cmp_gt_u32_e32 vcc, 8, v21
	v_mov_b32_e32 v21, 24
	v_cndmask_b32_e32 v10, v24, v10, vcc
	v_cndmask_b32_e32 v20, v20, v22, vcc
	v_lshlrev_b32_sdwa v21, v21, v12 dst_sel:DWORD dst_unused:UNUSED_PAD src0_sel:DWORD src1_sel:WORD_1
	v_bfrev_b32_e32 v22, 60
	v_lshlrev_b32_e32 v20, 20, v20
	v_and_b32_e32 v21, 0x80000000, v21
	v_lshl_add_u32 v10, v10, 23, v22
	v_or3_b32 v10, v21, v10, v20
	v_lshrrev_b32_e32 v20, 16, v10
.LBB861_559:
	s_or_b64 exec, exec, s[10:11]
.LBB861_560:
	s_or_b64 exec, exec, s[8:9]
.LBB861_561:
	s_or_b64 exec, exec, s[2:3]
	s_mov_b32 s2, 0xffffff
	v_cmp_lt_u32_e32 vcc, s2, v12
	s_and_saveexec_b64 s[2:3], vcc
	s_cbranch_execz .LBB861_567
; %bb.562:
	v_lshrrev_b32_e32 v10, 24, v12
	s_movk_i32 s7, 0x80
	v_cmp_ne_u32_e32 vcc, s7, v10
	v_mov_b32_e32 v19, 0xffff8000
	s_and_saveexec_b64 s[8:9], vcc
	s_cbranch_execz .LBB861_566
; %bb.563:
	v_bfe_u32 v12, v12, 24, 7
	s_movk_i32 s7, 0x7f
	v_cmp_ne_u32_e32 vcc, s7, v12
	v_mov_b32_e32 v19, 0x7f80
	s_and_saveexec_b64 s[10:11], vcc
	s_cbranch_execz .LBB861_565
; %bb.564:
	v_and_b32_e32 v19, 7, v10
	v_ffbh_u32_e32 v22, v19
	v_min_u32_e32 v24, 32, v22
	v_subrev_u32_e32 v22, 28, v24
	v_lshlrev_b64 v[22:23], v22, v[10:11]
	v_lshrrev_b32_e32 v21, 3, v12
	v_sub_u32_e32 v23, 29, v24
	v_and_b32_e32 v22, 7, v22
	v_cmp_gt_u32_e32 vcc, 8, v12
	v_cndmask_b32_e32 v12, v21, v23, vcc
	v_cndmask_b32_e32 v19, v19, v22, vcc
	v_lshlrev_b32_e32 v10, 24, v10
	v_bfrev_b32_e32 v21, 60
	v_lshlrev_b32_e32 v19, 20, v19
	v_and_b32_e32 v10, 0x80000000, v10
	v_lshl_add_u32 v12, v12, 23, v21
	v_or3_b32 v10, v10, v12, v19
	v_lshrrev_b32_e32 v19, 16, v10
.LBB861_565:
	s_or_b64 exec, exec, s[10:11]
.LBB861_566:
	s_or_b64 exec, exec, s[8:9]
.LBB861_567:
	s_or_b64 exec, exec, s[2:3]
	v_mov_b32_e32 v12, 0
	v_cmp_ne_u16_sdwa s[8:9], v13, v12 src0_sel:BYTE_0 src1_sel:DWORD
	v_mov_b32_e32 v21, 0
	s_and_saveexec_b64 s[2:3], s[8:9]
	s_cbranch_execz .LBB861_573
; %bb.568:
	s_movk_i32 s7, 0x80
	v_cmp_ne_u16_sdwa s[10:11], v13, s7 src0_sel:BYTE_0 src1_sel:DWORD
	v_mov_b32_e32 v21, 0xffff8000
	s_and_saveexec_b64 s[8:9], s[10:11]
	s_cbranch_execz .LBB861_572
; %bb.569:
	s_movk_i32 s7, 0x7f
	v_and_b32_e32 v10, 0x7f, v13
	v_cmp_ne_u32_e32 vcc, s7, v10
	v_mov_b32_e32 v21, 0x7f80
	s_and_saveexec_b64 s[10:11], vcc
	s_cbranch_execz .LBB861_571
; %bb.570:
	v_and_b32_e32 v21, 7, v13
	v_ffbh_u32_e32 v23, v21
	v_min_u32_e32 v25, 32, v23
	v_mov_b32_e32 v22, v13
	v_subrev_u32_e32 v23, 28, v25
	v_lshlrev_b64 v[22:23], v23, v[22:23]
	v_lshrrev_b32_e32 v24, 3, v10
	v_sub_u32_e32 v23, 29, v25
	v_and_b32_e32 v22, 7, v22
	v_cmp_gt_u32_e32 vcc, 8, v10
	v_cndmask_b32_e32 v10, v24, v23, vcc
	v_cndmask_b32_e32 v21, v21, v22, vcc
	v_lshlrev_b32_e32 v22, 24, v13
	v_bfrev_b32_e32 v23, 60
	v_lshlrev_b32_e32 v21, 20, v21
	v_and_b32_e32 v22, 0x80000000, v22
	v_lshl_add_u32 v10, v10, 23, v23
	v_or3_b32 v10, v22, v10, v21
	v_lshrrev_b32_e32 v21, 16, v10
.LBB861_571:
	s_or_b64 exec, exec, s[10:11]
.LBB861_572:
	s_or_b64 exec, exec, s[8:9]
.LBB861_573:
	s_or_b64 exec, exec, s[2:3]
	v_lshrrev_b16_e32 v10, 8, v13
	v_cmp_ne_u16_e32 vcc, 0, v10
	s_and_saveexec_b64 s[2:3], vcc
	s_cbranch_execz .LBB861_579
; %bb.574:
	s_movk_i32 s7, 0x80
	v_cmp_ne_u16_e32 vcc, s7, v10
	v_mov_b32_e32 v12, 0xffff8000
	s_and_saveexec_b64 s[8:9], vcc
	s_cbranch_execz .LBB861_578
; %bb.575:
	s_movk_i32 s7, 0x7f
	v_and_b32_e32 v22, 0x7f, v10
	v_cmp_ne_u32_e32 vcc, s7, v22
	v_mov_b32_e32 v12, 0x7f80
	s_and_saveexec_b64 s[10:11], vcc
	s_cbranch_execz .LBB861_577
; %bb.576:
	v_and_b32_e32 v12, 7, v10
	v_ffbh_u32_e32 v24, v12
	v_min_u32_e32 v26, 32, v24
	v_subrev_u32_e32 v24, 28, v26
	v_lshlrev_b64 v[24:25], v24, v[10:11]
	v_lshrrev_b32_e32 v23, 3, v22
	v_sub_u32_e32 v10, 29, v26
	v_and_b32_e32 v24, 7, v24
	v_cmp_gt_u32_e32 vcc, 8, v22
	v_cndmask_b32_e32 v10, v23, v10, vcc
	v_cndmask_b32_e32 v12, v12, v24, vcc
	v_lshlrev_b32_e32 v22, 16, v13
	v_bfrev_b32_e32 v23, 60
	v_lshlrev_b32_e32 v12, 20, v12
	v_and_b32_e32 v22, 0x80000000, v22
	v_lshl_add_u32 v10, v10, 23, v23
	v_or3_b32 v10, v22, v10, v12
	v_lshrrev_b32_e32 v12, 16, v10
.LBB861_577:
	s_or_b64 exec, exec, s[10:11]
.LBB861_578:
	s_or_b64 exec, exec, s[8:9]
.LBB861_579:
	s_or_b64 exec, exec, s[2:3]
	s_movk_i32 s2, 0xff
	v_and_b32_sdwa v24, v13, s2 dst_sel:DWORD dst_unused:UNUSED_PAD src0_sel:WORD_1 src1_sel:DWORD
	v_lshrrev_b32_e32 v10, 16, v13
	v_cmp_ne_u16_e32 vcc, 0, v24
	v_mov_b32_e32 v22, 0
	v_mov_b32_e32 v23, 0
	s_and_saveexec_b64 s[2:3], vcc
	s_cbranch_execz .LBB861_585
; %bb.580:
	s_movk_i32 s7, 0x80
	v_cmp_ne_u16_e32 vcc, s7, v24
	v_mov_b32_e32 v23, 0xffff8000
	s_and_saveexec_b64 s[8:9], vcc
	s_cbranch_execz .LBB861_584
; %bb.581:
	v_bfe_u32 v24, v13, 16, 7
	s_movk_i32 s7, 0x7f
	v_cmp_ne_u32_e32 vcc, s7, v24
	v_mov_b32_e32 v23, 0x7f80
	s_and_saveexec_b64 s[10:11], vcc
	s_cbranch_execz .LBB861_583
; %bb.582:
	v_and_b32_e32 v23, 7, v10
	v_ffbh_u32_e32 v26, v23
	v_min_u32_e32 v29, 32, v26
	v_subrev_u32_e32 v26, 28, v29
	v_lshlrev_b64 v[26:27], v26, v[10:11]
	v_lshrrev_b32_e32 v25, 3, v24
	v_sub_u32_e32 v10, 29, v29
	v_and_b32_e32 v26, 7, v26
	v_cmp_gt_u32_e32 vcc, 8, v24
	v_mov_b32_e32 v24, 24
	v_cndmask_b32_e32 v10, v25, v10, vcc
	v_cndmask_b32_e32 v23, v23, v26, vcc
	v_lshlrev_b32_sdwa v24, v24, v13 dst_sel:DWORD dst_unused:UNUSED_PAD src0_sel:DWORD src1_sel:WORD_1
	v_bfrev_b32_e32 v25, 60
	v_lshlrev_b32_e32 v23, 20, v23
	v_and_b32_e32 v24, 0x80000000, v24
	v_lshl_add_u32 v10, v10, 23, v25
	v_or3_b32 v10, v24, v10, v23
	v_lshrrev_b32_e32 v23, 16, v10
.LBB861_583:
	s_or_b64 exec, exec, s[10:11]
.LBB861_584:
	s_or_b64 exec, exec, s[8:9]
.LBB861_585:
	s_or_b64 exec, exec, s[2:3]
	s_mov_b32 s2, 0xffffff
	v_cmp_lt_u32_e32 vcc, s2, v13
	s_and_saveexec_b64 s[2:3], vcc
	s_cbranch_execz .LBB861_591
; %bb.586:
	v_lshrrev_b32_e32 v10, 24, v13
	s_movk_i32 s7, 0x80
	v_cmp_ne_u32_e32 vcc, s7, v10
	v_mov_b32_e32 v22, 0xffff8000
	s_and_saveexec_b64 s[8:9], vcc
	s_cbranch_execz .LBB861_590
; %bb.587:
	v_bfe_u32 v13, v13, 24, 7
	s_movk_i32 s7, 0x7f
	v_cmp_ne_u32_e32 vcc, s7, v13
	v_mov_b32_e32 v22, 0x7f80
	s_and_saveexec_b64 s[10:11], vcc
	s_cbranch_execz .LBB861_589
; %bb.588:
	v_and_b32_e32 v22, 7, v10
	v_ffbh_u32_e32 v24, v22
	v_min_u32_e32 v27, 32, v24
	v_subrev_u32_e32 v24, 28, v27
	v_lshlrev_b64 v[24:25], v24, v[10:11]
	v_lshrrev_b32_e32 v26, 3, v13
	v_sub_u32_e32 v25, 29, v27
	v_and_b32_e32 v24, 7, v24
	v_cmp_gt_u32_e32 vcc, 8, v13
	v_cndmask_b32_e32 v13, v26, v25, vcc
	v_cndmask_b32_e32 v22, v22, v24, vcc
	v_lshlrev_b32_e32 v10, 24, v10
	v_bfrev_b32_e32 v24, 60
	v_lshlrev_b32_e32 v22, 20, v22
	v_and_b32_e32 v10, 0x80000000, v10
	v_lshl_add_u32 v13, v13, 23, v24
	v_or3_b32 v10, v10, v13, v22
	v_lshrrev_b32_e32 v22, 16, v10
.LBB861_589:
	s_or_b64 exec, exec, s[10:11]
.LBB861_590:
	s_or_b64 exec, exec, s[8:9]
.LBB861_591:
	s_or_b64 exec, exec, s[2:3]
	s_mov_b32 s2, 0x5040100
	v_perm_b32 v19, v19, v20, s2
	v_perm_b32 v18, v11, v18, s2
	ds_read_b128 v[24:27], v48 offset:2064
	v_perm_b32 v11, v22, v23, s2
	v_perm_b32 v10, v12, v21, s2
	s_waitcnt lgkmcnt(0)
	v_mfma_f32_16x16x16bf16_1k v[30:33], v[18:19], v[24:25], v[14:17]
	s_nop 6
	v_mov_b32_e32 v15, 0
	s_waitcnt vmcnt(1)
	v_cmp_ne_u16_sdwa s[8:9], v6, v15 src0_sel:BYTE_0 src1_sel:DWORD
	v_mfma_f32_16x16x16bf16_1k v[10:13], v[10:11], v[26:27], v[30:33]
	v_mov_b32_e32 v16, 0
	s_and_saveexec_b64 s[2:3], s[8:9]
	s_cbranch_execz .LBB861_597
; %bb.592:
	s_movk_i32 s7, 0x80
	v_cmp_ne_u16_sdwa s[10:11], v6, s7 src0_sel:BYTE_0 src1_sel:DWORD
	v_mov_b32_e32 v16, 0xffff8000
	s_and_saveexec_b64 s[8:9], s[10:11]
	s_cbranch_execz .LBB861_596
; %bb.593:
	s_movk_i32 s7, 0x7f
	v_and_b32_e32 v14, 0x7f, v6
	v_cmp_ne_u32_e32 vcc, s7, v14
	v_mov_b32_e32 v16, 0x7f80
	s_and_saveexec_b64 s[10:11], vcc
	s_cbranch_execz .LBB861_595
; %bb.594:
	v_and_b32_e32 v18, 7, v6
	v_ffbh_u32_e32 v16, v18
	v_min_u32_e32 v20, 32, v16
	v_subrev_u32_e32 v16, 28, v20
	v_lshlrev_b64 v[16:17], v16, v[6:7]
	v_lshrrev_b32_e32 v19, 3, v14
	v_sub_u32_e32 v17, 29, v20
	v_and_b32_e32 v16, 7, v16
	v_cmp_gt_u32_e32 vcc, 8, v14
	v_cndmask_b32_e32 v14, v19, v17, vcc
	v_cndmask_b32_e32 v16, v18, v16, vcc
	v_lshlrev_b32_e32 v17, 24, v6
	v_bfrev_b32_e32 v18, 60
	v_lshlrev_b32_e32 v16, 20, v16
	v_and_b32_e32 v17, 0x80000000, v17
	v_lshl_add_u32 v14, v14, 23, v18
	v_or3_b32 v14, v17, v14, v16
	v_lshrrev_b32_e32 v16, 16, v14
.LBB861_595:
	s_or_b64 exec, exec, s[10:11]
.LBB861_596:
	s_or_b64 exec, exec, s[8:9]
.LBB861_597:
	s_or_b64 exec, exec, s[2:3]
	v_lshrrev_b16_e32 v14, 8, v6
	v_cmp_ne_u16_e32 vcc, 0, v14
	s_and_saveexec_b64 s[2:3], vcc
	s_cbranch_execz .LBB861_603
; %bb.598:
	s_movk_i32 s7, 0x80
	v_cmp_ne_u16_e32 vcc, s7, v14
	v_mov_b32_e32 v15, 0xffff8000
	s_and_saveexec_b64 s[8:9], vcc
	s_cbranch_execz .LBB861_602
; %bb.599:
	s_movk_i32 s7, 0x7f
	v_and_b32_e32 v17, 0x7f, v14
	v_cmp_ne_u32_e32 vcc, s7, v17
	v_mov_b32_e32 v15, 0x7f80
	s_and_saveexec_b64 s[10:11], vcc
	s_cbranch_execz .LBB861_601
; %bb.600:
	v_and_b32_e32 v18, 7, v14
	v_ffbh_u32_e32 v15, v18
	v_min_u32_e32 v20, 32, v15
	v_subrev_u32_e32 v15, 28, v20
	v_lshlrev_b64 v[14:15], v15, v[14:15]
	v_lshrrev_b32_e32 v19, 3, v17
	v_sub_u32_e32 v15, 29, v20
	v_and_b32_e32 v14, 7, v14
	v_cmp_gt_u32_e32 vcc, 8, v17
	v_cndmask_b32_e32 v15, v19, v15, vcc
	v_cndmask_b32_e32 v14, v18, v14, vcc
	v_lshlrev_b32_e32 v17, 16, v6
	v_bfrev_b32_e32 v18, 60
	v_lshlrev_b32_e32 v14, 20, v14
	v_and_b32_e32 v17, 0x80000000, v17
	v_lshl_add_u32 v15, v15, 23, v18
	v_or3_b32 v14, v17, v15, v14
	v_lshrrev_b32_e32 v15, 16, v14
.LBB861_601:
	s_or_b64 exec, exec, s[10:11]
.LBB861_602:
	s_or_b64 exec, exec, s[8:9]
.LBB861_603:
	s_or_b64 exec, exec, s[2:3]
	s_movk_i32 s2, 0xff
	v_and_b32_sdwa v19, v6, s2 dst_sel:DWORD dst_unused:UNUSED_PAD src0_sel:WORD_1 src1_sel:DWORD
	v_lshrrev_b32_e32 v14, 16, v6
	v_cmp_ne_u16_e32 vcc, 0, v19
	v_mov_b32_e32 v17, 0
	v_mov_b32_e32 v18, 0
	s_and_saveexec_b64 s[2:3], vcc
	s_cbranch_execz .LBB861_609
; %bb.604:
	s_movk_i32 s7, 0x80
	v_cmp_ne_u16_e32 vcc, s7, v19
	v_mov_b32_e32 v18, 0xffff8000
	s_and_saveexec_b64 s[8:9], vcc
	s_cbranch_execz .LBB861_608
; %bb.605:
	v_bfe_u32 v19, v6, 16, 7
	s_movk_i32 s7, 0x7f
	v_cmp_ne_u32_e32 vcc, s7, v19
	v_mov_b32_e32 v18, 0x7f80
	s_and_saveexec_b64 s[10:11], vcc
	s_cbranch_execz .LBB861_607
; %bb.606:
	v_and_b32_e32 v18, 7, v14
	v_ffbh_u32_e32 v20, v18
	v_min_u32_e32 v23, 32, v20
	v_subrev_u32_e32 v20, 28, v23
	v_lshlrev_b64 v[20:21], v20, v[14:15]
	v_lshrrev_b32_e32 v22, 3, v19
	v_sub_u32_e32 v14, 29, v23
	v_and_b32_e32 v20, 7, v20
	v_cmp_gt_u32_e32 vcc, 8, v19
	v_mov_b32_e32 v19, 24
	v_cndmask_b32_e32 v14, v22, v14, vcc
	v_cndmask_b32_e32 v18, v18, v20, vcc
	v_lshlrev_b32_sdwa v19, v19, v6 dst_sel:DWORD dst_unused:UNUSED_PAD src0_sel:DWORD src1_sel:WORD_1
	v_bfrev_b32_e32 v20, 60
	v_lshlrev_b32_e32 v18, 20, v18
	v_and_b32_e32 v19, 0x80000000, v19
	v_lshl_add_u32 v14, v14, 23, v20
	v_or3_b32 v14, v19, v14, v18
	v_lshrrev_b32_e32 v18, 16, v14
.LBB861_607:
	s_or_b64 exec, exec, s[10:11]
.LBB861_608:
	s_or_b64 exec, exec, s[8:9]
.LBB861_609:
	s_or_b64 exec, exec, s[2:3]
	s_mov_b32 s2, 0xffffff
	v_cmp_lt_u32_e32 vcc, s2, v6
	s_and_saveexec_b64 s[2:3], vcc
	s_cbranch_execz .LBB861_615
; %bb.610:
	v_lshrrev_b32_e32 v14, 24, v6
	s_movk_i32 s7, 0x80
	v_cmp_ne_u32_e32 vcc, s7, v14
	v_mov_b32_e32 v17, 0xffff8000
	s_and_saveexec_b64 s[8:9], vcc
	s_cbranch_execz .LBB861_614
; %bb.611:
	v_bfe_u32 v6, v6, 24, 7
	s_movk_i32 s7, 0x7f
	v_cmp_ne_u32_e32 vcc, s7, v6
	v_mov_b32_e32 v17, 0x7f80
	s_and_saveexec_b64 s[10:11], vcc
	s_cbranch_execz .LBB861_613
; %bb.612:
	v_and_b32_e32 v17, 7, v14
	v_ffbh_u32_e32 v20, v17
	v_min_u32_e32 v22, 32, v20
	v_subrev_u32_e32 v20, 28, v22
	v_lshlrev_b64 v[20:21], v20, v[14:15]
	v_lshrrev_b32_e32 v19, 3, v6
	v_sub_u32_e32 v21, 29, v22
	v_and_b32_e32 v20, 7, v20
	v_cmp_gt_u32_e32 vcc, 8, v6
	v_cndmask_b32_e32 v6, v19, v21, vcc
	v_cndmask_b32_e32 v17, v17, v20, vcc
	v_lshlrev_b32_e32 v14, 24, v14
	v_bfrev_b32_e32 v19, 60
	v_lshlrev_b32_e32 v17, 20, v17
	v_and_b32_e32 v14, 0x80000000, v14
	v_lshl_add_u32 v6, v6, 23, v19
	v_or3_b32 v6, v14, v6, v17
	v_lshrrev_b32_e32 v17, 16, v6
.LBB861_613:
	s_or_b64 exec, exec, s[10:11]
.LBB861_614:
	s_or_b64 exec, exec, s[8:9]
.LBB861_615:
	s_or_b64 exec, exec, s[2:3]
	v_mov_b32_e32 v14, 0
	v_cmp_ne_u16_sdwa s[8:9], v7, v14 src0_sel:BYTE_0 src1_sel:DWORD
	v_mov_b32_e32 v19, 0
	s_and_saveexec_b64 s[2:3], s[8:9]
	s_cbranch_execz .LBB861_621
; %bb.616:
	s_movk_i32 s7, 0x80
	v_cmp_ne_u16_sdwa s[10:11], v7, s7 src0_sel:BYTE_0 src1_sel:DWORD
	v_mov_b32_e32 v19, 0xffff8000
	s_and_saveexec_b64 s[8:9], s[10:11]
	s_cbranch_execz .LBB861_620
; %bb.617:
	s_movk_i32 s7, 0x7f
	v_and_b32_e32 v6, 0x7f, v7
	v_cmp_ne_u32_e32 vcc, s7, v6
	v_mov_b32_e32 v19, 0x7f80
	s_and_saveexec_b64 s[10:11], vcc
	s_cbranch_execz .LBB861_619
; %bb.618:
	v_and_b32_e32 v19, 7, v7
	v_ffbh_u32_e32 v21, v19
	v_min_u32_e32 v23, 32, v21
	v_mov_b32_e32 v20, v7
	v_subrev_u32_e32 v21, 28, v23
	v_lshlrev_b64 v[20:21], v21, v[20:21]
	v_lshrrev_b32_e32 v22, 3, v6
	v_sub_u32_e32 v21, 29, v23
	v_and_b32_e32 v20, 7, v20
	v_cmp_gt_u32_e32 vcc, 8, v6
	v_cndmask_b32_e32 v6, v22, v21, vcc
	v_cndmask_b32_e32 v19, v19, v20, vcc
	v_lshlrev_b32_e32 v20, 24, v7
	v_bfrev_b32_e32 v21, 60
	v_lshlrev_b32_e32 v19, 20, v19
	v_and_b32_e32 v20, 0x80000000, v20
	v_lshl_add_u32 v6, v6, 23, v21
	v_or3_b32 v6, v20, v6, v19
	v_lshrrev_b32_e32 v19, 16, v6
.LBB861_619:
	s_or_b64 exec, exec, s[10:11]
.LBB861_620:
	s_or_b64 exec, exec, s[8:9]
.LBB861_621:
	s_or_b64 exec, exec, s[2:3]
	v_lshrrev_b16_e32 v6, 8, v7
	v_cmp_ne_u16_e32 vcc, 0, v6
	s_and_saveexec_b64 s[2:3], vcc
	s_cbranch_execz .LBB861_627
; %bb.622:
	s_movk_i32 s7, 0x80
	v_cmp_ne_u16_e32 vcc, s7, v6
	v_mov_b32_e32 v14, 0xffff8000
	s_and_saveexec_b64 s[8:9], vcc
	s_cbranch_execz .LBB861_626
; %bb.623:
	s_movk_i32 s7, 0x7f
	v_and_b32_e32 v20, 0x7f, v6
	v_cmp_ne_u32_e32 vcc, s7, v20
	v_mov_b32_e32 v14, 0x7f80
	s_and_saveexec_b64 s[10:11], vcc
	s_cbranch_execz .LBB861_625
; %bb.624:
	v_and_b32_e32 v14, 7, v6
	v_ffbh_u32_e32 v22, v14
	v_min_u32_e32 v24, 32, v22
	v_subrev_u32_e32 v22, 28, v24
	v_lshlrev_b64 v[22:23], v22, v[6:7]
	v_lshrrev_b32_e32 v21, 3, v20
	v_sub_u32_e32 v6, 29, v24
	v_and_b32_e32 v22, 7, v22
	v_cmp_gt_u32_e32 vcc, 8, v20
	v_cndmask_b32_e32 v6, v21, v6, vcc
	v_cndmask_b32_e32 v14, v14, v22, vcc
	v_lshlrev_b32_e32 v20, 16, v7
	v_bfrev_b32_e32 v21, 60
	v_lshlrev_b32_e32 v14, 20, v14
	v_and_b32_e32 v20, 0x80000000, v20
	v_lshl_add_u32 v6, v6, 23, v21
	v_or3_b32 v6, v20, v6, v14
	v_lshrrev_b32_e32 v14, 16, v6
.LBB861_625:
	s_or_b64 exec, exec, s[10:11]
.LBB861_626:
	s_or_b64 exec, exec, s[8:9]
.LBB861_627:
	s_or_b64 exec, exec, s[2:3]
	s_movk_i32 s2, 0xff
	v_and_b32_sdwa v22, v7, s2 dst_sel:DWORD dst_unused:UNUSED_PAD src0_sel:WORD_1 src1_sel:DWORD
	v_lshrrev_b32_e32 v6, 16, v7
	v_cmp_ne_u16_e32 vcc, 0, v22
	v_mov_b32_e32 v20, 0
	v_mov_b32_e32 v21, 0
	s_and_saveexec_b64 s[2:3], vcc
	s_cbranch_execz .LBB861_633
; %bb.628:
	s_movk_i32 s7, 0x80
	v_cmp_ne_u16_e32 vcc, s7, v22
	v_mov_b32_e32 v21, 0xffff8000
	s_and_saveexec_b64 s[8:9], vcc
	s_cbranch_execz .LBB861_632
; %bb.629:
	v_bfe_u32 v22, v7, 16, 7
	s_movk_i32 s7, 0x7f
	v_cmp_ne_u32_e32 vcc, s7, v22
	v_mov_b32_e32 v21, 0x7f80
	s_and_saveexec_b64 s[10:11], vcc
	s_cbranch_execz .LBB861_631
; %bb.630:
	v_and_b32_e32 v21, 7, v6
	v_ffbh_u32_e32 v24, v21
	v_min_u32_e32 v26, 32, v24
	v_subrev_u32_e32 v24, 28, v26
	v_lshlrev_b64 v[24:25], v24, v[6:7]
	v_lshrrev_b32_e32 v23, 3, v22
	v_sub_u32_e32 v6, 29, v26
	v_and_b32_e32 v24, 7, v24
	v_cmp_gt_u32_e32 vcc, 8, v22
	v_mov_b32_e32 v22, 24
	v_cndmask_b32_e32 v6, v23, v6, vcc
	v_cndmask_b32_e32 v21, v21, v24, vcc
	v_lshlrev_b32_sdwa v22, v22, v7 dst_sel:DWORD dst_unused:UNUSED_PAD src0_sel:DWORD src1_sel:WORD_1
	v_bfrev_b32_e32 v23, 60
	v_lshlrev_b32_e32 v21, 20, v21
	v_and_b32_e32 v22, 0x80000000, v22
	v_lshl_add_u32 v6, v6, 23, v23
	v_or3_b32 v6, v22, v6, v21
	v_lshrrev_b32_e32 v21, 16, v6
.LBB861_631:
	s_or_b64 exec, exec, s[10:11]
.LBB861_632:
	s_or_b64 exec, exec, s[8:9]
.LBB861_633:
	s_or_b64 exec, exec, s[2:3]
	s_mov_b32 s2, 0xffffff
	v_cmp_lt_u32_e32 vcc, s2, v7
	s_and_saveexec_b64 s[2:3], vcc
	s_cbranch_execz .LBB861_639
; %bb.634:
	v_lshrrev_b32_e32 v6, 24, v7
	s_movk_i32 s7, 0x80
	v_cmp_ne_u32_e32 vcc, s7, v6
	v_mov_b32_e32 v20, 0xffff8000
	s_and_saveexec_b64 s[8:9], vcc
	s_cbranch_execz .LBB861_638
; %bb.635:
	v_bfe_u32 v7, v7, 24, 7
	s_movk_i32 s7, 0x7f
	v_cmp_ne_u32_e32 vcc, s7, v7
	v_mov_b32_e32 v20, 0x7f80
	s_and_saveexec_b64 s[10:11], vcc
	s_cbranch_execz .LBB861_637
; %bb.636:
	v_and_b32_e32 v20, 7, v6
	v_ffbh_u32_e32 v22, v20
	v_min_u32_e32 v25, 32, v22
	v_subrev_u32_e32 v22, 28, v25
	v_lshlrev_b64 v[22:23], v22, v[6:7]
	v_lshrrev_b32_e32 v24, 3, v7
	v_sub_u32_e32 v23, 29, v25
	v_and_b32_e32 v22, 7, v22
	v_cmp_gt_u32_e32 vcc, 8, v7
	v_cndmask_b32_e32 v7, v24, v23, vcc
	v_cndmask_b32_e32 v20, v20, v22, vcc
	v_lshlrev_b32_e32 v6, 24, v6
	v_bfrev_b32_e32 v22, 60
	v_lshlrev_b32_e32 v20, 20, v20
	v_and_b32_e32 v6, 0x80000000, v6
	v_lshl_add_u32 v7, v7, 23, v22
	v_or3_b32 v6, v6, v7, v20
	v_lshrrev_b32_e32 v20, 16, v6
.LBB861_637:
	s_or_b64 exec, exec, s[10:11]
.LBB861_638:
	s_or_b64 exec, exec, s[8:9]
.LBB861_639:
	s_or_b64 exec, exec, s[2:3]
	s_mov_b32 s2, 0x5040100
	v_perm_b32 v7, v17, v18, s2
	v_perm_b32 v6, v15, v16, s2
	ds_read_b128 v[22:25], v48 offset:4096
	v_perm_b32 v17, v20, v21, s2
	v_perm_b32 v16, v14, v19, s2
	s_waitcnt lgkmcnt(0)
	v_mfma_f32_16x16x16bf16_1k v[10:13], v[6:7], v[22:23], v[10:13]
	v_mov_b32_e32 v7, 0
	v_cmp_ne_u16_sdwa s[8:9], v8, v7 src0_sel:BYTE_0 src1_sel:DWORD
	v_mov_b32_e32 v14, 0
	v_mfma_f32_16x16x16bf16_1k v[10:13], v[16:17], v[24:25], v[10:13]
	s_and_saveexec_b64 s[2:3], s[8:9]
	s_cbranch_execz .LBB861_645
; %bb.640:
	s_movk_i32 s7, 0x80
	v_cmp_ne_u16_sdwa s[10:11], v8, s7 src0_sel:BYTE_0 src1_sel:DWORD
	v_mov_b32_e32 v14, 0xffff8000
	s_and_saveexec_b64 s[8:9], s[10:11]
	s_cbranch_execz .LBB861_644
; %bb.641:
	s_movk_i32 s7, 0x7f
	v_and_b32_e32 v6, 0x7f, v8
	v_cmp_ne_u32_e32 vcc, s7, v6
	v_mov_b32_e32 v14, 0x7f80
	s_and_saveexec_b64 s[10:11], vcc
	s_cbranch_execz .LBB861_643
; %bb.642:
	v_and_b32_e32 v16, 7, v8
	v_ffbh_u32_e32 v14, v16
	v_min_u32_e32 v18, 32, v14
	v_subrev_u32_e32 v14, 28, v18
	v_lshlrev_b64 v[14:15], v14, v[8:9]
	v_lshrrev_b32_e32 v17, 3, v6
	v_sub_u32_e32 v15, 29, v18
	v_and_b32_e32 v14, 7, v14
	v_cmp_gt_u32_e32 vcc, 8, v6
	v_cndmask_b32_e32 v6, v17, v15, vcc
	v_cndmask_b32_e32 v14, v16, v14, vcc
	v_lshlrev_b32_e32 v15, 24, v8
	v_bfrev_b32_e32 v16, 60
	v_lshlrev_b32_e32 v14, 20, v14
	v_and_b32_e32 v15, 0x80000000, v15
	v_lshl_add_u32 v6, v6, 23, v16
	v_or3_b32 v6, v15, v6, v14
	v_lshrrev_b32_e32 v14, 16, v6
.LBB861_643:
	s_or_b64 exec, exec, s[10:11]
.LBB861_644:
	s_or_b64 exec, exec, s[8:9]
.LBB861_645:
	s_or_b64 exec, exec, s[2:3]
	v_lshrrev_b16_e32 v6, 8, v8
	v_cmp_ne_u16_e32 vcc, 0, v6
	s_and_saveexec_b64 s[2:3], vcc
	s_cbranch_execz .LBB861_651
; %bb.646:
	s_movk_i32 s7, 0x80
	v_cmp_ne_u16_e32 vcc, s7, v6
	v_mov_b32_e32 v7, 0xffff8000
	s_and_saveexec_b64 s[8:9], vcc
	s_cbranch_execz .LBB861_650
; %bb.647:
	s_movk_i32 s7, 0x7f
	v_and_b32_e32 v15, 0x7f, v6
	v_cmp_ne_u32_e32 vcc, s7, v15
	v_mov_b32_e32 v7, 0x7f80
	s_and_saveexec_b64 s[10:11], vcc
	s_cbranch_execz .LBB861_649
; %bb.648:
	v_and_b32_e32 v16, 7, v6
	v_ffbh_u32_e32 v7, v16
	v_min_u32_e32 v18, 32, v7
	v_subrev_u32_e32 v7, 28, v18
	v_lshlrev_b64 v[6:7], v7, v[6:7]
	v_lshrrev_b32_e32 v17, 3, v15
	v_sub_u32_e32 v7, 29, v18
	v_and_b32_e32 v6, 7, v6
	v_cmp_gt_u32_e32 vcc, 8, v15
	v_cndmask_b32_e32 v7, v17, v7, vcc
	v_cndmask_b32_e32 v6, v16, v6, vcc
	v_lshlrev_b32_e32 v15, 16, v8
	v_bfrev_b32_e32 v16, 60
	v_lshlrev_b32_e32 v6, 20, v6
	v_and_b32_e32 v15, 0x80000000, v15
	v_lshl_add_u32 v7, v7, 23, v16
	v_or3_b32 v6, v15, v7, v6
	v_lshrrev_b32_e32 v7, 16, v6
.LBB861_649:
	s_or_b64 exec, exec, s[10:11]
.LBB861_650:
	s_or_b64 exec, exec, s[8:9]
.LBB861_651:
	s_or_b64 exec, exec, s[2:3]
	s_movk_i32 s2, 0xff
	v_and_b32_sdwa v17, v8, s2 dst_sel:DWORD dst_unused:UNUSED_PAD src0_sel:WORD_1 src1_sel:DWORD
	v_lshrrev_b32_e32 v6, 16, v8
	v_cmp_ne_u16_e32 vcc, 0, v17
	v_mov_b32_e32 v15, 0
	v_mov_b32_e32 v16, 0
	s_and_saveexec_b64 s[2:3], vcc
	s_cbranch_execz .LBB861_657
; %bb.652:
	s_movk_i32 s7, 0x80
	v_cmp_ne_u16_e32 vcc, s7, v17
	v_mov_b32_e32 v16, 0xffff8000
	s_and_saveexec_b64 s[8:9], vcc
	s_cbranch_execz .LBB861_656
; %bb.653:
	v_bfe_u32 v17, v8, 16, 7
	s_movk_i32 s7, 0x7f
	v_cmp_ne_u32_e32 vcc, s7, v17
	v_mov_b32_e32 v16, 0x7f80
	s_and_saveexec_b64 s[10:11], vcc
	s_cbranch_execz .LBB861_655
; %bb.654:
	v_and_b32_e32 v16, 7, v6
	v_ffbh_u32_e32 v18, v16
	v_min_u32_e32 v21, 32, v18
	v_subrev_u32_e32 v18, 28, v21
	v_lshlrev_b64 v[18:19], v18, v[6:7]
	v_lshrrev_b32_e32 v20, 3, v17
	v_sub_u32_e32 v6, 29, v21
	v_and_b32_e32 v18, 7, v18
	v_cmp_gt_u32_e32 vcc, 8, v17
	v_mov_b32_e32 v17, 24
	v_cndmask_b32_e32 v6, v20, v6, vcc
	v_cndmask_b32_e32 v16, v16, v18, vcc
	v_lshlrev_b32_sdwa v17, v17, v8 dst_sel:DWORD dst_unused:UNUSED_PAD src0_sel:DWORD src1_sel:WORD_1
	v_bfrev_b32_e32 v18, 60
	v_lshlrev_b32_e32 v16, 20, v16
	v_and_b32_e32 v17, 0x80000000, v17
	v_lshl_add_u32 v6, v6, 23, v18
	v_or3_b32 v6, v17, v6, v16
	v_lshrrev_b32_e32 v16, 16, v6
.LBB861_655:
	s_or_b64 exec, exec, s[10:11]
.LBB861_656:
	s_or_b64 exec, exec, s[8:9]
.LBB861_657:
	s_or_b64 exec, exec, s[2:3]
	s_mov_b32 s2, 0xffffff
	v_cmp_lt_u32_e32 vcc, s2, v8
	s_and_saveexec_b64 s[2:3], vcc
	s_cbranch_execz .LBB861_663
; %bb.658:
	v_lshrrev_b32_e32 v6, 24, v8
	s_movk_i32 s7, 0x80
	v_cmp_ne_u32_e32 vcc, s7, v6
	v_mov_b32_e32 v15, 0xffff8000
	s_and_saveexec_b64 s[8:9], vcc
	s_cbranch_execz .LBB861_662
; %bb.659:
	v_bfe_u32 v8, v8, 24, 7
	s_movk_i32 s7, 0x7f
	v_cmp_ne_u32_e32 vcc, s7, v8
	v_mov_b32_e32 v15, 0x7f80
	s_and_saveexec_b64 s[10:11], vcc
	s_cbranch_execz .LBB861_661
; %bb.660:
	v_and_b32_e32 v15, 7, v6
	v_ffbh_u32_e32 v18, v15
	v_min_u32_e32 v20, 32, v18
	v_subrev_u32_e32 v18, 28, v20
	v_lshlrev_b64 v[18:19], v18, v[6:7]
	v_lshrrev_b32_e32 v17, 3, v8
	v_sub_u32_e32 v19, 29, v20
	v_and_b32_e32 v18, 7, v18
	v_cmp_gt_u32_e32 vcc, 8, v8
	v_cndmask_b32_e32 v8, v17, v19, vcc
	v_cndmask_b32_e32 v15, v15, v18, vcc
	v_lshlrev_b32_e32 v6, 24, v6
	v_bfrev_b32_e32 v17, 60
	v_lshlrev_b32_e32 v15, 20, v15
	v_and_b32_e32 v6, 0x80000000, v6
	v_lshl_add_u32 v8, v8, 23, v17
	v_or3_b32 v6, v6, v8, v15
	v_lshrrev_b32_e32 v15, 16, v6
.LBB861_661:
	s_or_b64 exec, exec, s[10:11]
.LBB861_662:
	s_or_b64 exec, exec, s[8:9]
.LBB861_663:
	s_or_b64 exec, exec, s[2:3]
	v_mov_b32_e32 v8, 0
	v_cmp_ne_u16_sdwa s[8:9], v9, v8 src0_sel:BYTE_0 src1_sel:DWORD
	v_mov_b32_e32 v17, 0
	s_and_saveexec_b64 s[2:3], s[8:9]
	s_cbranch_execz .LBB861_669
; %bb.664:
	s_movk_i32 s7, 0x80
	v_cmp_ne_u16_sdwa s[10:11], v9, s7 src0_sel:BYTE_0 src1_sel:DWORD
	v_mov_b32_e32 v17, 0xffff8000
	s_and_saveexec_b64 s[8:9], s[10:11]
	s_cbranch_execz .LBB861_668
; %bb.665:
	s_movk_i32 s7, 0x7f
	v_and_b32_e32 v6, 0x7f, v9
	v_cmp_ne_u32_e32 vcc, s7, v6
	v_mov_b32_e32 v17, 0x7f80
	s_and_saveexec_b64 s[10:11], vcc
	s_cbranch_execz .LBB861_667
; %bb.666:
	v_and_b32_e32 v17, 7, v9
	v_ffbh_u32_e32 v19, v17
	v_min_u32_e32 v21, 32, v19
	v_mov_b32_e32 v18, v9
	v_subrev_u32_e32 v19, 28, v21
	v_lshlrev_b64 v[18:19], v19, v[18:19]
	v_lshrrev_b32_e32 v20, 3, v6
	v_sub_u32_e32 v19, 29, v21
	v_and_b32_e32 v18, 7, v18
	v_cmp_gt_u32_e32 vcc, 8, v6
	v_cndmask_b32_e32 v6, v20, v19, vcc
	v_cndmask_b32_e32 v17, v17, v18, vcc
	v_lshlrev_b32_e32 v18, 24, v9
	v_bfrev_b32_e32 v19, 60
	v_lshlrev_b32_e32 v17, 20, v17
	v_and_b32_e32 v18, 0x80000000, v18
	v_lshl_add_u32 v6, v6, 23, v19
	v_or3_b32 v6, v18, v6, v17
	v_lshrrev_b32_e32 v17, 16, v6
.LBB861_667:
	s_or_b64 exec, exec, s[10:11]
.LBB861_668:
	s_or_b64 exec, exec, s[8:9]
.LBB861_669:
	s_or_b64 exec, exec, s[2:3]
	v_lshrrev_b16_e32 v6, 8, v9
	v_cmp_ne_u16_e32 vcc, 0, v6
	s_and_saveexec_b64 s[2:3], vcc
	s_cbranch_execz .LBB861_675
; %bb.670:
	s_movk_i32 s7, 0x80
	v_cmp_ne_u16_e32 vcc, s7, v6
	v_mov_b32_e32 v8, 0xffff8000
	s_and_saveexec_b64 s[8:9], vcc
	s_cbranch_execz .LBB861_674
; %bb.671:
	s_movk_i32 s7, 0x7f
	v_and_b32_e32 v18, 0x7f, v6
	v_cmp_ne_u32_e32 vcc, s7, v18
	v_mov_b32_e32 v8, 0x7f80
	s_and_saveexec_b64 s[10:11], vcc
	s_cbranch_execz .LBB861_673
; %bb.672:
	v_and_b32_e32 v8, 7, v6
	v_ffbh_u32_e32 v20, v8
	v_min_u32_e32 v22, 32, v20
	v_subrev_u32_e32 v20, 28, v22
	v_lshlrev_b64 v[20:21], v20, v[6:7]
	v_lshrrev_b32_e32 v19, 3, v18
	v_sub_u32_e32 v6, 29, v22
	v_and_b32_e32 v20, 7, v20
	v_cmp_gt_u32_e32 vcc, 8, v18
	v_cndmask_b32_e32 v6, v19, v6, vcc
	v_cndmask_b32_e32 v8, v8, v20, vcc
	v_lshlrev_b32_e32 v18, 16, v9
	v_bfrev_b32_e32 v19, 60
	v_lshlrev_b32_e32 v8, 20, v8
	v_and_b32_e32 v18, 0x80000000, v18
	v_lshl_add_u32 v6, v6, 23, v19
	v_or3_b32 v6, v18, v6, v8
	v_lshrrev_b32_e32 v8, 16, v6
.LBB861_673:
	s_or_b64 exec, exec, s[10:11]
.LBB861_674:
	s_or_b64 exec, exec, s[8:9]
.LBB861_675:
	s_or_b64 exec, exec, s[2:3]
	s_movk_i32 s2, 0xff
	v_and_b32_sdwa v20, v9, s2 dst_sel:DWORD dst_unused:UNUSED_PAD src0_sel:WORD_1 src1_sel:DWORD
	v_lshrrev_b32_e32 v6, 16, v9
	v_cmp_ne_u16_e32 vcc, 0, v20
	v_mov_b32_e32 v18, 0
	v_mov_b32_e32 v19, 0
	s_and_saveexec_b64 s[2:3], vcc
	s_cbranch_execz .LBB861_681
; %bb.676:
	s_movk_i32 s7, 0x80
	v_cmp_ne_u16_e32 vcc, s7, v20
	v_mov_b32_e32 v19, 0xffff8000
	s_and_saveexec_b64 s[8:9], vcc
	s_cbranch_execz .LBB861_680
; %bb.677:
	v_bfe_u32 v20, v9, 16, 7
	s_movk_i32 s7, 0x7f
	v_cmp_ne_u32_e32 vcc, s7, v20
	v_mov_b32_e32 v19, 0x7f80
	s_and_saveexec_b64 s[10:11], vcc
	s_cbranch_execz .LBB861_679
; %bb.678:
	v_and_b32_e32 v19, 7, v6
	v_ffbh_u32_e32 v22, v19
	v_min_u32_e32 v24, 32, v22
	v_subrev_u32_e32 v22, 28, v24
	v_lshlrev_b64 v[22:23], v22, v[6:7]
	v_lshrrev_b32_e32 v21, 3, v20
	v_sub_u32_e32 v6, 29, v24
	v_and_b32_e32 v22, 7, v22
	v_cmp_gt_u32_e32 vcc, 8, v20
	v_mov_b32_e32 v20, 24
	v_cndmask_b32_e32 v6, v21, v6, vcc
	v_cndmask_b32_e32 v19, v19, v22, vcc
	v_lshlrev_b32_sdwa v20, v20, v9 dst_sel:DWORD dst_unused:UNUSED_PAD src0_sel:DWORD src1_sel:WORD_1
	v_bfrev_b32_e32 v21, 60
	v_lshlrev_b32_e32 v19, 20, v19
	v_and_b32_e32 v20, 0x80000000, v20
	v_lshl_add_u32 v6, v6, 23, v21
	v_or3_b32 v6, v20, v6, v19
	v_lshrrev_b32_e32 v19, 16, v6
.LBB861_679:
	s_or_b64 exec, exec, s[10:11]
.LBB861_680:
	s_or_b64 exec, exec, s[8:9]
.LBB861_681:
	s_or_b64 exec, exec, s[2:3]
	s_mov_b32 s2, 0xffffff
	v_cmp_lt_u32_e32 vcc, s2, v9
	s_and_saveexec_b64 s[2:3], vcc
	s_cbranch_execz .LBB861_687
; %bb.682:
	v_lshrrev_b32_e32 v6, 24, v9
	s_movk_i32 s7, 0x80
	v_cmp_ne_u32_e32 vcc, s7, v6
	v_mov_b32_e32 v18, 0xffff8000
	s_and_saveexec_b64 s[8:9], vcc
	s_cbranch_execz .LBB861_686
; %bb.683:
	v_bfe_u32 v9, v9, 24, 7
	s_movk_i32 s7, 0x7f
	v_cmp_ne_u32_e32 vcc, s7, v9
	v_mov_b32_e32 v18, 0x7f80
	s_and_saveexec_b64 s[10:11], vcc
	s_cbranch_execz .LBB861_685
; %bb.684:
	v_and_b32_e32 v18, 7, v6
	v_ffbh_u32_e32 v20, v18
	v_min_u32_e32 v23, 32, v20
	v_subrev_u32_e32 v20, 28, v23
	v_lshlrev_b64 v[20:21], v20, v[6:7]
	v_lshrrev_b32_e32 v22, 3, v9
	v_sub_u32_e32 v21, 29, v23
	v_and_b32_e32 v20, 7, v20
	v_cmp_gt_u32_e32 vcc, 8, v9
	v_cndmask_b32_e32 v9, v22, v21, vcc
	v_cndmask_b32_e32 v18, v18, v20, vcc
	v_lshlrev_b32_e32 v6, 24, v6
	v_bfrev_b32_e32 v20, 60
	v_lshlrev_b32_e32 v18, 20, v18
	v_and_b32_e32 v6, 0x80000000, v6
	v_lshl_add_u32 v9, v9, 23, v20
	v_or3_b32 v6, v6, v9, v18
	v_lshrrev_b32_e32 v18, 16, v6
.LBB861_685:
	s_or_b64 exec, exec, s[10:11]
.LBB861_686:
	s_or_b64 exec, exec, s[8:9]
.LBB861_687:
	s_or_b64 exec, exec, s[2:3]
	s_mov_b32 s2, 0x5040100
	v_perm_b32 v15, v15, v16, s2
	v_perm_b32 v14, v7, v14, s2
	ds_read_b128 v[20:23], v48 offset:4112
	v_perm_b32 v7, v18, v19, s2
	v_perm_b32 v6, v8, v17, s2
	s_waitcnt lgkmcnt(0)
	v_mfma_f32_16x16x16bf16_1k v[24:27], v[14:15], v[20:21], v[10:13]
	s_nop 6
	v_mov_b32_e32 v11, 0
	s_waitcnt vmcnt(0)
	v_cmp_ne_u16_sdwa s[8:9], v2, v11 src0_sel:BYTE_0 src1_sel:DWORD
	v_mfma_f32_16x16x16bf16_1k v[6:9], v[6:7], v[22:23], v[24:27]
	v_mov_b32_e32 v12, 0
	s_and_saveexec_b64 s[2:3], s[8:9]
	s_cbranch_execz .LBB861_693
; %bb.688:
	s_movk_i32 s7, 0x80
	v_cmp_ne_u16_sdwa s[10:11], v2, s7 src0_sel:BYTE_0 src1_sel:DWORD
	v_mov_b32_e32 v12, 0xffff8000
	s_and_saveexec_b64 s[8:9], s[10:11]
	s_cbranch_execz .LBB861_692
; %bb.689:
	s_movk_i32 s7, 0x7f
	v_and_b32_e32 v10, 0x7f, v2
	v_cmp_ne_u32_e32 vcc, s7, v10
	v_mov_b32_e32 v12, 0x7f80
	s_and_saveexec_b64 s[10:11], vcc
	s_cbranch_execz .LBB861_691
; %bb.690:
	v_and_b32_e32 v14, 7, v2
	v_ffbh_u32_e32 v12, v14
	v_min_u32_e32 v16, 32, v12
	v_subrev_u32_e32 v12, 28, v16
	v_lshlrev_b64 v[12:13], v12, v[2:3]
	v_lshrrev_b32_e32 v15, 3, v10
	v_sub_u32_e32 v13, 29, v16
	v_and_b32_e32 v12, 7, v12
	v_cmp_gt_u32_e32 vcc, 8, v10
	v_cndmask_b32_e32 v10, v15, v13, vcc
	v_cndmask_b32_e32 v12, v14, v12, vcc
	v_lshlrev_b32_e32 v13, 24, v2
	v_bfrev_b32_e32 v14, 60
	v_lshlrev_b32_e32 v12, 20, v12
	v_and_b32_e32 v13, 0x80000000, v13
	v_lshl_add_u32 v10, v10, 23, v14
	v_or3_b32 v10, v13, v10, v12
	v_lshrrev_b32_e32 v12, 16, v10
.LBB861_691:
	s_or_b64 exec, exec, s[10:11]
.LBB861_692:
	s_or_b64 exec, exec, s[8:9]
.LBB861_693:
	s_or_b64 exec, exec, s[2:3]
	v_lshrrev_b16_e32 v10, 8, v2
	v_cmp_ne_u16_e32 vcc, 0, v10
	s_and_saveexec_b64 s[2:3], vcc
	s_cbranch_execz .LBB861_699
; %bb.694:
	s_movk_i32 s7, 0x80
	v_cmp_ne_u16_e32 vcc, s7, v10
	v_mov_b32_e32 v11, 0xffff8000
	s_and_saveexec_b64 s[8:9], vcc
	s_cbranch_execz .LBB861_698
; %bb.695:
	s_movk_i32 s7, 0x7f
	v_and_b32_e32 v13, 0x7f, v10
	v_cmp_ne_u32_e32 vcc, s7, v13
	v_mov_b32_e32 v11, 0x7f80
	s_and_saveexec_b64 s[10:11], vcc
	s_cbranch_execz .LBB861_697
; %bb.696:
	v_and_b32_e32 v14, 7, v10
	v_ffbh_u32_e32 v11, v14
	v_min_u32_e32 v16, 32, v11
	v_subrev_u32_e32 v11, 28, v16
	v_lshlrev_b64 v[10:11], v11, v[10:11]
	v_lshrrev_b32_e32 v15, 3, v13
	v_sub_u32_e32 v11, 29, v16
	v_and_b32_e32 v10, 7, v10
	v_cmp_gt_u32_e32 vcc, 8, v13
	v_cndmask_b32_e32 v11, v15, v11, vcc
	v_cndmask_b32_e32 v10, v14, v10, vcc
	v_lshlrev_b32_e32 v13, 16, v2
	v_bfrev_b32_e32 v14, 60
	v_lshlrev_b32_e32 v10, 20, v10
	v_and_b32_e32 v13, 0x80000000, v13
	v_lshl_add_u32 v11, v11, 23, v14
	v_or3_b32 v10, v13, v11, v10
	v_lshrrev_b32_e32 v11, 16, v10
.LBB861_697:
	s_or_b64 exec, exec, s[10:11]
.LBB861_698:
	s_or_b64 exec, exec, s[8:9]
.LBB861_699:
	s_or_b64 exec, exec, s[2:3]
	s_movk_i32 s2, 0xff
	v_and_b32_sdwa v15, v2, s2 dst_sel:DWORD dst_unused:UNUSED_PAD src0_sel:WORD_1 src1_sel:DWORD
	v_lshrrev_b32_e32 v10, 16, v2
	v_cmp_ne_u16_e32 vcc, 0, v15
	v_mov_b32_e32 v13, 0
	v_mov_b32_e32 v14, 0
	s_and_saveexec_b64 s[2:3], vcc
	s_cbranch_execz .LBB861_705
; %bb.700:
	s_movk_i32 s7, 0x80
	v_cmp_ne_u16_e32 vcc, s7, v15
	v_mov_b32_e32 v14, 0xffff8000
	s_and_saveexec_b64 s[8:9], vcc
	s_cbranch_execz .LBB861_704
; %bb.701:
	v_bfe_u32 v15, v2, 16, 7
	s_movk_i32 s7, 0x7f
	v_cmp_ne_u32_e32 vcc, s7, v15
	v_mov_b32_e32 v14, 0x7f80
	s_and_saveexec_b64 s[10:11], vcc
	s_cbranch_execz .LBB861_703
; %bb.702:
	v_and_b32_e32 v14, 7, v10
	v_ffbh_u32_e32 v16, v14
	v_min_u32_e32 v19, 32, v16
	v_subrev_u32_e32 v16, 28, v19
	v_lshlrev_b64 v[16:17], v16, v[10:11]
	v_lshrrev_b32_e32 v18, 3, v15
	v_sub_u32_e32 v10, 29, v19
	v_and_b32_e32 v16, 7, v16
	v_cmp_gt_u32_e32 vcc, 8, v15
	v_mov_b32_e32 v15, 24
	v_cndmask_b32_e32 v10, v18, v10, vcc
	v_cndmask_b32_e32 v14, v14, v16, vcc
	v_lshlrev_b32_sdwa v15, v15, v2 dst_sel:DWORD dst_unused:UNUSED_PAD src0_sel:DWORD src1_sel:WORD_1
	v_bfrev_b32_e32 v16, 60
	v_lshlrev_b32_e32 v14, 20, v14
	v_and_b32_e32 v15, 0x80000000, v15
	v_lshl_add_u32 v10, v10, 23, v16
	v_or3_b32 v10, v15, v10, v14
	v_lshrrev_b32_e32 v14, 16, v10
.LBB861_703:
	s_or_b64 exec, exec, s[10:11]
.LBB861_704:
	s_or_b64 exec, exec, s[8:9]
.LBB861_705:
	s_or_b64 exec, exec, s[2:3]
	s_mov_b32 s2, 0xffffff
	v_cmp_lt_u32_e32 vcc, s2, v2
	s_and_saveexec_b64 s[2:3], vcc
	s_cbranch_execz .LBB861_711
; %bb.706:
	v_lshrrev_b32_e32 v10, 24, v2
	s_movk_i32 s7, 0x80
	v_cmp_ne_u32_e32 vcc, s7, v10
	v_mov_b32_e32 v13, 0xffff8000
	s_and_saveexec_b64 s[8:9], vcc
	s_cbranch_execz .LBB861_710
; %bb.707:
	v_bfe_u32 v2, v2, 24, 7
	s_movk_i32 s7, 0x7f
	v_cmp_ne_u32_e32 vcc, s7, v2
	v_mov_b32_e32 v13, 0x7f80
	s_and_saveexec_b64 s[10:11], vcc
	s_cbranch_execz .LBB861_709
; %bb.708:
	v_and_b32_e32 v13, 7, v10
	v_ffbh_u32_e32 v16, v13
	v_min_u32_e32 v18, 32, v16
	v_subrev_u32_e32 v16, 28, v18
	v_lshlrev_b64 v[16:17], v16, v[10:11]
	v_lshrrev_b32_e32 v15, 3, v2
	v_sub_u32_e32 v17, 29, v18
	v_and_b32_e32 v16, 7, v16
	v_cmp_gt_u32_e32 vcc, 8, v2
	v_cndmask_b32_e32 v2, v15, v17, vcc
	v_cndmask_b32_e32 v13, v13, v16, vcc
	v_lshlrev_b32_e32 v10, 24, v10
	v_bfrev_b32_e32 v15, 60
	v_lshlrev_b32_e32 v13, 20, v13
	v_and_b32_e32 v10, 0x80000000, v10
	v_lshl_add_u32 v2, v2, 23, v15
	v_or3_b32 v2, v10, v2, v13
	v_lshrrev_b32_e32 v13, 16, v2
.LBB861_709:
	s_or_b64 exec, exec, s[10:11]
.LBB861_710:
	s_or_b64 exec, exec, s[8:9]
.LBB861_711:
	s_or_b64 exec, exec, s[2:3]
	v_mov_b32_e32 v10, 0
	v_cmp_ne_u16_sdwa s[8:9], v3, v10 src0_sel:BYTE_0 src1_sel:DWORD
	v_mov_b32_e32 v15, 0
	s_and_saveexec_b64 s[2:3], s[8:9]
	s_cbranch_execz .LBB861_717
; %bb.712:
	s_movk_i32 s7, 0x80
	v_cmp_ne_u16_sdwa s[10:11], v3, s7 src0_sel:BYTE_0 src1_sel:DWORD
	v_mov_b32_e32 v15, 0xffff8000
	s_and_saveexec_b64 s[8:9], s[10:11]
	s_cbranch_execz .LBB861_716
; %bb.713:
	s_movk_i32 s7, 0x7f
	v_and_b32_e32 v2, 0x7f, v3
	v_cmp_ne_u32_e32 vcc, s7, v2
	v_mov_b32_e32 v15, 0x7f80
	s_and_saveexec_b64 s[10:11], vcc
	s_cbranch_execz .LBB861_715
; %bb.714:
	v_and_b32_e32 v15, 7, v3
	v_ffbh_u32_e32 v17, v15
	v_min_u32_e32 v19, 32, v17
	v_mov_b32_e32 v16, v3
	v_subrev_u32_e32 v17, 28, v19
	v_lshlrev_b64 v[16:17], v17, v[16:17]
	v_lshrrev_b32_e32 v18, 3, v2
	v_sub_u32_e32 v17, 29, v19
	v_and_b32_e32 v16, 7, v16
	v_cmp_gt_u32_e32 vcc, 8, v2
	v_cndmask_b32_e32 v2, v18, v17, vcc
	v_cndmask_b32_e32 v15, v15, v16, vcc
	v_lshlrev_b32_e32 v16, 24, v3
	v_bfrev_b32_e32 v17, 60
	v_lshlrev_b32_e32 v15, 20, v15
	v_and_b32_e32 v16, 0x80000000, v16
	v_lshl_add_u32 v2, v2, 23, v17
	v_or3_b32 v2, v16, v2, v15
	v_lshrrev_b32_e32 v15, 16, v2
.LBB861_715:
	s_or_b64 exec, exec, s[10:11]
.LBB861_716:
	s_or_b64 exec, exec, s[8:9]
.LBB861_717:
	s_or_b64 exec, exec, s[2:3]
	v_lshrrev_b16_e32 v2, 8, v3
	v_cmp_ne_u16_e32 vcc, 0, v2
	s_and_saveexec_b64 s[2:3], vcc
	s_cbranch_execz .LBB861_723
; %bb.718:
	s_movk_i32 s7, 0x80
	v_cmp_ne_u16_e32 vcc, s7, v2
	v_mov_b32_e32 v10, 0xffff8000
	s_and_saveexec_b64 s[8:9], vcc
	s_cbranch_execz .LBB861_722
; %bb.719:
	s_movk_i32 s7, 0x7f
	v_and_b32_e32 v16, 0x7f, v2
	v_cmp_ne_u32_e32 vcc, s7, v16
	v_mov_b32_e32 v10, 0x7f80
	s_and_saveexec_b64 s[10:11], vcc
	s_cbranch_execz .LBB861_721
; %bb.720:
	v_and_b32_e32 v10, 7, v2
	v_ffbh_u32_e32 v18, v10
	v_min_u32_e32 v20, 32, v18
	v_subrev_u32_e32 v18, 28, v20
	v_lshlrev_b64 v[18:19], v18, v[2:3]
	v_lshrrev_b32_e32 v17, 3, v16
	v_sub_u32_e32 v2, 29, v20
	v_and_b32_e32 v18, 7, v18
	v_cmp_gt_u32_e32 vcc, 8, v16
	v_cndmask_b32_e32 v2, v17, v2, vcc
	v_cndmask_b32_e32 v10, v10, v18, vcc
	v_lshlrev_b32_e32 v16, 16, v3
	v_bfrev_b32_e32 v17, 60
	v_lshlrev_b32_e32 v10, 20, v10
	v_and_b32_e32 v16, 0x80000000, v16
	v_lshl_add_u32 v2, v2, 23, v17
	v_or3_b32 v2, v16, v2, v10
	v_lshrrev_b32_e32 v10, 16, v2
.LBB861_721:
	s_or_b64 exec, exec, s[10:11]
.LBB861_722:
	s_or_b64 exec, exec, s[8:9]
.LBB861_723:
	s_or_b64 exec, exec, s[2:3]
	s_movk_i32 s2, 0xff
	v_and_b32_sdwa v18, v3, s2 dst_sel:DWORD dst_unused:UNUSED_PAD src0_sel:WORD_1 src1_sel:DWORD
	v_lshrrev_b32_e32 v2, 16, v3
	v_cmp_ne_u16_e32 vcc, 0, v18
	v_mov_b32_e32 v16, 0
	v_mov_b32_e32 v17, 0
	s_and_saveexec_b64 s[2:3], vcc
	s_cbranch_execz .LBB861_729
; %bb.724:
	s_movk_i32 s7, 0x80
	v_cmp_ne_u16_e32 vcc, s7, v18
	v_mov_b32_e32 v17, 0xffff8000
	s_and_saveexec_b64 s[8:9], vcc
	s_cbranch_execz .LBB861_728
; %bb.725:
	v_bfe_u32 v18, v3, 16, 7
	s_movk_i32 s7, 0x7f
	v_cmp_ne_u32_e32 vcc, s7, v18
	v_mov_b32_e32 v17, 0x7f80
	s_and_saveexec_b64 s[10:11], vcc
	s_cbranch_execz .LBB861_727
; %bb.726:
	v_and_b32_e32 v17, 7, v2
	v_ffbh_u32_e32 v20, v17
	v_min_u32_e32 v22, 32, v20
	v_subrev_u32_e32 v20, 28, v22
	v_lshlrev_b64 v[20:21], v20, v[2:3]
	v_lshrrev_b32_e32 v19, 3, v18
	v_sub_u32_e32 v2, 29, v22
	v_and_b32_e32 v20, 7, v20
	v_cmp_gt_u32_e32 vcc, 8, v18
	v_mov_b32_e32 v18, 24
	v_cndmask_b32_e32 v2, v19, v2, vcc
	v_cndmask_b32_e32 v17, v17, v20, vcc
	v_lshlrev_b32_sdwa v18, v18, v3 dst_sel:DWORD dst_unused:UNUSED_PAD src0_sel:DWORD src1_sel:WORD_1
	v_bfrev_b32_e32 v19, 60
	v_lshlrev_b32_e32 v17, 20, v17
	v_and_b32_e32 v18, 0x80000000, v18
	v_lshl_add_u32 v2, v2, 23, v19
	v_or3_b32 v2, v18, v2, v17
	v_lshrrev_b32_e32 v17, 16, v2
.LBB861_727:
	s_or_b64 exec, exec, s[10:11]
.LBB861_728:
	s_or_b64 exec, exec, s[8:9]
.LBB861_729:
	s_or_b64 exec, exec, s[2:3]
	s_mov_b32 s2, 0xffffff
	v_cmp_lt_u32_e32 vcc, s2, v3
	s_and_saveexec_b64 s[2:3], vcc
	s_cbranch_execz .LBB861_735
; %bb.730:
	v_lshrrev_b32_e32 v2, 24, v3
	s_movk_i32 s7, 0x80
	v_cmp_ne_u32_e32 vcc, s7, v2
	v_mov_b32_e32 v16, 0xffff8000
	s_and_saveexec_b64 s[8:9], vcc
	s_cbranch_execz .LBB861_734
; %bb.731:
	v_bfe_u32 v3, v3, 24, 7
	s_movk_i32 s7, 0x7f
	v_cmp_ne_u32_e32 vcc, s7, v3
	v_mov_b32_e32 v16, 0x7f80
	s_and_saveexec_b64 s[10:11], vcc
	s_cbranch_execz .LBB861_733
; %bb.732:
	v_and_b32_e32 v16, 7, v2
	v_ffbh_u32_e32 v18, v16
	v_min_u32_e32 v21, 32, v18
	v_subrev_u32_e32 v18, 28, v21
	v_lshlrev_b64 v[18:19], v18, v[2:3]
	v_lshrrev_b32_e32 v20, 3, v3
	v_sub_u32_e32 v19, 29, v21
	v_and_b32_e32 v18, 7, v18
	v_cmp_gt_u32_e32 vcc, 8, v3
	v_cndmask_b32_e32 v3, v20, v19, vcc
	v_cndmask_b32_e32 v16, v16, v18, vcc
	v_lshlrev_b32_e32 v2, 24, v2
	v_bfrev_b32_e32 v18, 60
	v_lshlrev_b32_e32 v16, 20, v16
	v_and_b32_e32 v2, 0x80000000, v2
	v_lshl_add_u32 v3, v3, 23, v18
	v_or3_b32 v2, v2, v3, v16
	v_lshrrev_b32_e32 v16, 16, v2
.LBB861_733:
	s_or_b64 exec, exec, s[10:11]
.LBB861_734:
	s_or_b64 exec, exec, s[8:9]
.LBB861_735:
	s_or_b64 exec, exec, s[2:3]
	s_mov_b32 s2, 0x5040100
	v_perm_b32 v3, v13, v14, s2
	v_perm_b32 v2, v11, v12, s2
	ds_read_b128 v[18:21], v48 offset:6144
	v_perm_b32 v13, v16, v17, s2
	v_perm_b32 v12, v10, v15, s2
	s_waitcnt lgkmcnt(0)
	v_mfma_f32_16x16x16bf16_1k v[6:9], v[2:3], v[18:19], v[6:9]
	v_mov_b32_e32 v3, 0
	v_cmp_ne_u16_sdwa s[8:9], v4, v3 src0_sel:BYTE_0 src1_sel:DWORD
	v_mov_b32_e32 v10, 0
	v_mfma_f32_16x16x16bf16_1k v[6:9], v[12:13], v[20:21], v[6:9]
	s_and_saveexec_b64 s[2:3], s[8:9]
	s_cbranch_execz .LBB861_741
; %bb.736:
	s_movk_i32 s7, 0x80
	v_cmp_ne_u16_sdwa s[10:11], v4, s7 src0_sel:BYTE_0 src1_sel:DWORD
	v_mov_b32_e32 v10, 0xffff8000
	s_and_saveexec_b64 s[8:9], s[10:11]
	s_cbranch_execz .LBB861_740
; %bb.737:
	s_movk_i32 s7, 0x7f
	v_and_b32_e32 v2, 0x7f, v4
	v_cmp_ne_u32_e32 vcc, s7, v2
	v_mov_b32_e32 v10, 0x7f80
	s_and_saveexec_b64 s[10:11], vcc
	s_cbranch_execz .LBB861_739
; %bb.738:
	v_and_b32_e32 v12, 7, v4
	v_ffbh_u32_e32 v10, v12
	v_min_u32_e32 v14, 32, v10
	v_subrev_u32_e32 v10, 28, v14
	v_lshlrev_b64 v[10:11], v10, v[4:5]
	v_lshrrev_b32_e32 v13, 3, v2
	v_sub_u32_e32 v11, 29, v14
	v_and_b32_e32 v10, 7, v10
	v_cmp_gt_u32_e32 vcc, 8, v2
	v_cndmask_b32_e32 v2, v13, v11, vcc
	v_cndmask_b32_e32 v10, v12, v10, vcc
	v_lshlrev_b32_e32 v11, 24, v4
	v_bfrev_b32_e32 v12, 60
	v_lshlrev_b32_e32 v10, 20, v10
	v_and_b32_e32 v11, 0x80000000, v11
	v_lshl_add_u32 v2, v2, 23, v12
	v_or3_b32 v2, v11, v2, v10
	v_lshrrev_b32_e32 v10, 16, v2
.LBB861_739:
	s_or_b64 exec, exec, s[10:11]
.LBB861_740:
	s_or_b64 exec, exec, s[8:9]
.LBB861_741:
	s_or_b64 exec, exec, s[2:3]
	v_lshrrev_b16_e32 v2, 8, v4
	v_cmp_ne_u16_e32 vcc, 0, v2
	s_and_saveexec_b64 s[2:3], vcc
	s_cbranch_execz .LBB861_747
; %bb.742:
	s_movk_i32 s7, 0x80
	v_cmp_ne_u16_e32 vcc, s7, v2
	v_mov_b32_e32 v3, 0xffff8000
	s_and_saveexec_b64 s[8:9], vcc
	s_cbranch_execz .LBB861_746
; %bb.743:
	s_movk_i32 s7, 0x7f
	v_and_b32_e32 v11, 0x7f, v2
	v_cmp_ne_u32_e32 vcc, s7, v11
	v_mov_b32_e32 v3, 0x7f80
	s_and_saveexec_b64 s[10:11], vcc
	s_cbranch_execz .LBB861_745
; %bb.744:
	v_and_b32_e32 v12, 7, v2
	v_ffbh_u32_e32 v3, v12
	v_min_u32_e32 v14, 32, v3
	v_subrev_u32_e32 v3, 28, v14
	v_lshlrev_b64 v[2:3], v3, v[2:3]
	v_lshrrev_b32_e32 v13, 3, v11
	v_sub_u32_e32 v3, 29, v14
	v_and_b32_e32 v2, 7, v2
	v_cmp_gt_u32_e32 vcc, 8, v11
	v_cndmask_b32_e32 v3, v13, v3, vcc
	v_cndmask_b32_e32 v2, v12, v2, vcc
	v_lshlrev_b32_e32 v11, 16, v4
	v_bfrev_b32_e32 v12, 60
	v_lshlrev_b32_e32 v2, 20, v2
	v_and_b32_e32 v11, 0x80000000, v11
	v_lshl_add_u32 v3, v3, 23, v12
	v_or3_b32 v2, v11, v3, v2
	v_lshrrev_b32_e32 v3, 16, v2
.LBB861_745:
	s_or_b64 exec, exec, s[10:11]
.LBB861_746:
	s_or_b64 exec, exec, s[8:9]
.LBB861_747:
	s_or_b64 exec, exec, s[2:3]
	s_movk_i32 s2, 0xff
	v_and_b32_sdwa v13, v4, s2 dst_sel:DWORD dst_unused:UNUSED_PAD src0_sel:WORD_1 src1_sel:DWORD
	v_lshrrev_b32_e32 v2, 16, v4
	v_cmp_ne_u16_e32 vcc, 0, v13
	v_mov_b32_e32 v11, 0
	v_mov_b32_e32 v12, 0
	s_and_saveexec_b64 s[2:3], vcc
	s_cbranch_execz .LBB861_753
; %bb.748:
	s_movk_i32 s7, 0x80
	v_cmp_ne_u16_e32 vcc, s7, v13
	v_mov_b32_e32 v12, 0xffff8000
	s_and_saveexec_b64 s[8:9], vcc
	s_cbranch_execz .LBB861_752
; %bb.749:
	v_bfe_u32 v13, v4, 16, 7
	s_movk_i32 s7, 0x7f
	v_cmp_ne_u32_e32 vcc, s7, v13
	v_mov_b32_e32 v12, 0x7f80
	s_and_saveexec_b64 s[10:11], vcc
	s_cbranch_execz .LBB861_751
; %bb.750:
	v_and_b32_e32 v12, 7, v2
	v_ffbh_u32_e32 v14, v12
	v_min_u32_e32 v17, 32, v14
	v_subrev_u32_e32 v14, 28, v17
	v_lshlrev_b64 v[14:15], v14, v[2:3]
	v_lshrrev_b32_e32 v16, 3, v13
	v_sub_u32_e32 v2, 29, v17
	v_and_b32_e32 v14, 7, v14
	v_cmp_gt_u32_e32 vcc, 8, v13
	v_mov_b32_e32 v13, 24
	v_cndmask_b32_e32 v2, v16, v2, vcc
	v_cndmask_b32_e32 v12, v12, v14, vcc
	v_lshlrev_b32_sdwa v13, v13, v4 dst_sel:DWORD dst_unused:UNUSED_PAD src0_sel:DWORD src1_sel:WORD_1
	v_bfrev_b32_e32 v14, 60
	v_lshlrev_b32_e32 v12, 20, v12
	v_and_b32_e32 v13, 0x80000000, v13
	v_lshl_add_u32 v2, v2, 23, v14
	v_or3_b32 v2, v13, v2, v12
	v_lshrrev_b32_e32 v12, 16, v2
.LBB861_751:
	s_or_b64 exec, exec, s[10:11]
.LBB861_752:
	s_or_b64 exec, exec, s[8:9]
.LBB861_753:
	s_or_b64 exec, exec, s[2:3]
	s_mov_b32 s2, 0xffffff
	v_cmp_lt_u32_e32 vcc, s2, v4
	s_and_saveexec_b64 s[2:3], vcc
	s_cbranch_execz .LBB861_759
; %bb.754:
	v_lshrrev_b32_e32 v2, 24, v4
	s_movk_i32 s7, 0x80
	v_cmp_ne_u32_e32 vcc, s7, v2
	v_mov_b32_e32 v11, 0xffff8000
	s_and_saveexec_b64 s[8:9], vcc
	s_cbranch_execz .LBB861_758
; %bb.755:
	v_bfe_u32 v4, v4, 24, 7
	s_movk_i32 s7, 0x7f
	v_cmp_ne_u32_e32 vcc, s7, v4
	v_mov_b32_e32 v11, 0x7f80
	s_and_saveexec_b64 s[10:11], vcc
	s_cbranch_execz .LBB861_757
; %bb.756:
	v_and_b32_e32 v11, 7, v2
	v_ffbh_u32_e32 v14, v11
	v_min_u32_e32 v16, 32, v14
	v_subrev_u32_e32 v14, 28, v16
	v_lshlrev_b64 v[14:15], v14, v[2:3]
	v_lshrrev_b32_e32 v13, 3, v4
	v_sub_u32_e32 v15, 29, v16
	v_and_b32_e32 v14, 7, v14
	v_cmp_gt_u32_e32 vcc, 8, v4
	v_cndmask_b32_e32 v4, v13, v15, vcc
	v_cndmask_b32_e32 v11, v11, v14, vcc
	v_lshlrev_b32_e32 v2, 24, v2
	v_bfrev_b32_e32 v13, 60
	v_lshlrev_b32_e32 v11, 20, v11
	v_and_b32_e32 v2, 0x80000000, v2
	v_lshl_add_u32 v4, v4, 23, v13
	v_or3_b32 v2, v2, v4, v11
	v_lshrrev_b32_e32 v11, 16, v2
.LBB861_757:
	s_or_b64 exec, exec, s[10:11]
.LBB861_758:
	s_or_b64 exec, exec, s[8:9]
.LBB861_759:
	s_or_b64 exec, exec, s[2:3]
	v_mov_b32_e32 v4, 0
	v_cmp_ne_u16_sdwa s[8:9], v5, v4 src0_sel:BYTE_0 src1_sel:DWORD
	v_mov_b32_e32 v13, 0
	s_and_saveexec_b64 s[2:3], s[8:9]
	s_cbranch_execz .LBB861_765
; %bb.760:
	s_movk_i32 s7, 0x80
	v_cmp_ne_u16_sdwa s[10:11], v5, s7 src0_sel:BYTE_0 src1_sel:DWORD
	v_mov_b32_e32 v13, 0xffff8000
	s_and_saveexec_b64 s[8:9], s[10:11]
	s_cbranch_execz .LBB861_764
; %bb.761:
	s_movk_i32 s7, 0x7f
	v_and_b32_e32 v2, 0x7f, v5
	v_cmp_ne_u32_e32 vcc, s7, v2
	v_mov_b32_e32 v13, 0x7f80
	s_and_saveexec_b64 s[10:11], vcc
	s_cbranch_execz .LBB861_763
; %bb.762:
	v_and_b32_e32 v13, 7, v5
	v_ffbh_u32_e32 v15, v13
	v_min_u32_e32 v17, 32, v15
	v_mov_b32_e32 v14, v5
	v_subrev_u32_e32 v15, 28, v17
	v_lshlrev_b64 v[14:15], v15, v[14:15]
	v_lshrrev_b32_e32 v16, 3, v2
	v_sub_u32_e32 v15, 29, v17
	v_and_b32_e32 v14, 7, v14
	v_cmp_gt_u32_e32 vcc, 8, v2
	v_cndmask_b32_e32 v2, v16, v15, vcc
	v_cndmask_b32_e32 v13, v13, v14, vcc
	v_lshlrev_b32_e32 v14, 24, v5
	v_bfrev_b32_e32 v15, 60
	v_lshlrev_b32_e32 v13, 20, v13
	v_and_b32_e32 v14, 0x80000000, v14
	v_lshl_add_u32 v2, v2, 23, v15
	v_or3_b32 v2, v14, v2, v13
	v_lshrrev_b32_e32 v13, 16, v2
.LBB861_763:
	s_or_b64 exec, exec, s[10:11]
.LBB861_764:
	s_or_b64 exec, exec, s[8:9]
.LBB861_765:
	s_or_b64 exec, exec, s[2:3]
	v_lshrrev_b16_e32 v2, 8, v5
	v_cmp_ne_u16_e32 vcc, 0, v2
	s_and_saveexec_b64 s[2:3], vcc
	s_cbranch_execz .LBB861_771
; %bb.766:
	s_movk_i32 s7, 0x80
	v_cmp_ne_u16_e32 vcc, s7, v2
	v_mov_b32_e32 v4, 0xffff8000
	s_and_saveexec_b64 s[8:9], vcc
	s_cbranch_execz .LBB861_770
; %bb.767:
	s_movk_i32 s7, 0x7f
	v_and_b32_e32 v14, 0x7f, v2
	v_cmp_ne_u32_e32 vcc, s7, v14
	v_mov_b32_e32 v4, 0x7f80
	s_and_saveexec_b64 s[10:11], vcc
	s_cbranch_execz .LBB861_769
; %bb.768:
	v_and_b32_e32 v4, 7, v2
	v_ffbh_u32_e32 v16, v4
	v_min_u32_e32 v18, 32, v16
	v_subrev_u32_e32 v16, 28, v18
	v_lshlrev_b64 v[16:17], v16, v[2:3]
	v_lshrrev_b32_e32 v15, 3, v14
	v_sub_u32_e32 v2, 29, v18
	v_and_b32_e32 v16, 7, v16
	v_cmp_gt_u32_e32 vcc, 8, v14
	v_cndmask_b32_e32 v2, v15, v2, vcc
	v_cndmask_b32_e32 v4, v4, v16, vcc
	v_lshlrev_b32_e32 v14, 16, v5
	v_bfrev_b32_e32 v15, 60
	v_lshlrev_b32_e32 v4, 20, v4
	v_and_b32_e32 v14, 0x80000000, v14
	v_lshl_add_u32 v2, v2, 23, v15
	v_or3_b32 v2, v14, v2, v4
	v_lshrrev_b32_e32 v4, 16, v2
.LBB861_769:
	s_or_b64 exec, exec, s[10:11]
.LBB861_770:
	s_or_b64 exec, exec, s[8:9]
.LBB861_771:
	s_or_b64 exec, exec, s[2:3]
	s_movk_i32 s2, 0xff
	v_and_b32_sdwa v16, v5, s2 dst_sel:DWORD dst_unused:UNUSED_PAD src0_sel:WORD_1 src1_sel:DWORD
	v_lshrrev_b32_e32 v2, 16, v5
	v_cmp_ne_u16_e32 vcc, 0, v16
	v_mov_b32_e32 v14, 0
	v_mov_b32_e32 v15, 0
	s_and_saveexec_b64 s[2:3], vcc
	s_cbranch_execz .LBB861_777
; %bb.772:
	s_movk_i32 s7, 0x80
	v_cmp_ne_u16_e32 vcc, s7, v16
	v_mov_b32_e32 v15, 0xffff8000
	s_and_saveexec_b64 s[8:9], vcc
	s_cbranch_execz .LBB861_776
; %bb.773:
	v_bfe_u32 v16, v5, 16, 7
	s_movk_i32 s7, 0x7f
	v_cmp_ne_u32_e32 vcc, s7, v16
	v_mov_b32_e32 v15, 0x7f80
	s_and_saveexec_b64 s[10:11], vcc
	s_cbranch_execz .LBB861_775
; %bb.774:
	v_and_b32_e32 v15, 7, v2
	v_ffbh_u32_e32 v18, v15
	v_min_u32_e32 v20, 32, v18
	v_subrev_u32_e32 v18, 28, v20
	v_lshlrev_b64 v[18:19], v18, v[2:3]
	v_lshrrev_b32_e32 v17, 3, v16
	v_sub_u32_e32 v2, 29, v20
	v_and_b32_e32 v18, 7, v18
	v_cmp_gt_u32_e32 vcc, 8, v16
	v_mov_b32_e32 v16, 24
	v_cndmask_b32_e32 v2, v17, v2, vcc
	v_cndmask_b32_e32 v15, v15, v18, vcc
	v_lshlrev_b32_sdwa v16, v16, v5 dst_sel:DWORD dst_unused:UNUSED_PAD src0_sel:DWORD src1_sel:WORD_1
	v_bfrev_b32_e32 v17, 60
	v_lshlrev_b32_e32 v15, 20, v15
	v_and_b32_e32 v16, 0x80000000, v16
	v_lshl_add_u32 v2, v2, 23, v17
	v_or3_b32 v2, v16, v2, v15
	v_lshrrev_b32_e32 v15, 16, v2
.LBB861_775:
	s_or_b64 exec, exec, s[10:11]
.LBB861_776:
	s_or_b64 exec, exec, s[8:9]
.LBB861_777:
	s_or_b64 exec, exec, s[2:3]
	s_mov_b32 s2, 0xffffff
	v_cmp_lt_u32_e32 vcc, s2, v5
	s_and_saveexec_b64 s[2:3], vcc
	s_cbranch_execz .LBB861_783
; %bb.778:
	v_lshrrev_b32_e32 v2, 24, v5
	s_movk_i32 s7, 0x80
	v_cmp_ne_u32_e32 vcc, s7, v2
	v_mov_b32_e32 v14, 0xffff8000
	s_and_saveexec_b64 s[8:9], vcc
	s_cbranch_execz .LBB861_782
; %bb.779:
	v_bfe_u32 v5, v5, 24, 7
	s_movk_i32 s7, 0x7f
	v_cmp_ne_u32_e32 vcc, s7, v5
	v_mov_b32_e32 v14, 0x7f80
	s_and_saveexec_b64 s[10:11], vcc
	s_cbranch_execz .LBB861_781
; %bb.780:
	v_and_b32_e32 v14, 7, v2
	v_ffbh_u32_e32 v16, v14
	v_min_u32_e32 v19, 32, v16
	v_subrev_u32_e32 v16, 28, v19
	v_lshlrev_b64 v[16:17], v16, v[2:3]
	v_lshrrev_b32_e32 v18, 3, v5
	v_sub_u32_e32 v17, 29, v19
	v_and_b32_e32 v16, 7, v16
	v_cmp_gt_u32_e32 vcc, 8, v5
	v_cndmask_b32_e32 v5, v18, v17, vcc
	v_cndmask_b32_e32 v14, v14, v16, vcc
	v_lshlrev_b32_e32 v2, 24, v2
	v_bfrev_b32_e32 v16, 60
	v_lshlrev_b32_e32 v14, 20, v14
	v_and_b32_e32 v2, 0x80000000, v2
	v_lshl_add_u32 v5, v5, 23, v16
	v_or3_b32 v2, v2, v5, v14
	v_lshrrev_b32_e32 v14, 16, v2
.LBB861_781:
	s_or_b64 exec, exec, s[10:11]
.LBB861_782:
	s_or_b64 exec, exec, s[8:9]
.LBB861_783:
	s_or_b64 exec, exec, s[2:3]
	s_mov_b32 s3, 0x5040100
	v_perm_b32 v11, v11, v12, s3
	ds_read_b128 v[16:19], v48 offset:6160
	v_perm_b32 v10, v3, v10, s3
	v_perm_b32 v3, v14, v15, s3
	;; [unrolled: 1-line block ×3, first 2 shown]
	s_waitcnt lgkmcnt(0)
	v_mfma_f32_16x16x16bf16_1k v[6:9], v[10:11], v[16:17], v[6:9]
	s_load_dword s2, s[42:43], 0x0
	s_mov_b32 s3, 0x7060302
	s_movk_i32 s7, 0x7fff
	v_cmp_gt_u32_e32 vcc, 64, v0
	s_and_b64 s[0:1], vcc, s[0:1]
	s_waitcnt lgkmcnt(0)
	s_barrier
	v_mfma_f32_16x16x16bf16_1k v[2:5], v[2:3], v[18:19], v[6:9]
	s_nop 7
	s_nop 2
	v_pk_mul_f32 v[4:5], v[4:5], s[2:3] op_sel_hi:[1,0]
	v_pk_mul_f32 v[2:3], v[2:3], s[2:3] op_sel_hi:[1,0]
	v_bfe_u32 v6, v3, 16, 1
	v_bfe_u32 v7, v2, 16, 1
	;; [unrolled: 1-line block ×4, first 2 shown]
	v_add3_u32 v2, v2, v7, s7
	v_add3_u32 v3, v3, v6, s7
	v_add3_u32 v4, v4, v9, s7
	v_add3_u32 v5, v5, v8, s7
	v_perm_b32 v2, v3, v2, s3
	v_perm_b32 v3, v5, v4, s3
	ds_write_b64 v28, v[2:3]
	s_waitcnt lgkmcnt(0)
	s_barrier
	s_and_saveexec_b64 s[2:3], s[0:1]
	s_cbranch_execz .LBB861_785
; %bb.784:
	s_load_dwordx2 s[0:1], s[4:5], 0x68
	s_lshl_b32 s4, s44, 6
	s_mul_i32 s2, s12, s6
	s_mul_hi_u32 s3, s2, s4
	s_mul_i32 s2, s2, s4
	s_lshl_b64 s[2:3], s[2:3], 1
	s_waitcnt lgkmcnt(0)
	s_add_u32 s2, s0, s2
	s_addc_u32 s3, s1, s3
	s_lshl_b32 s0, s24, 6
	s_mov_b32 s1, 0
	v_lshlrev_b32_e32 v0, 10, v0
	s_lshl_b64 s[0:1], s[0:1], 1
	v_and_b32_e32 v0, 0x1800, v0
	v_lshlrev_b32_e32 v2, 5, v1
	v_and_b32_e32 v3, 16, v47
	s_add_u32 s0, s2, s0
	v_or3_b32 v0, v0, v2, v3
	s_addc_u32 s1, s3, s1
	ds_read_b128 v[2:5], v0
	ds_read_b128 v[6:9], v0 offset:128
	ds_read_b128 v[10:13], v0 offset:256
	;; [unrolled: 1-line block ×3, first 2 shown]
	v_mov_b32_e32 v0, s1
	v_add_co_u32_e32 v18, vcc, s0, v46
	v_or_b32_e32 v20, s25, v1
	v_addc_co_u32_e32 v19, vcc, 0, v0, vcc
	v_mad_u64_u32 v[0:1], s[0:1], v20, s4, 0
	v_lshlrev_b64 v[0:1], 1, v[0:1]
	v_add_co_u32_e32 v0, vcc, v18, v0
	v_addc_co_u32_e32 v1, vcc, v19, v1, vcc
	s_waitcnt lgkmcnt(3)
	global_store_dwordx4 v[0:1], v[2:5], off
	v_or_b32_e32 v0, 4, v20
	v_mad_u64_u32 v[0:1], s[0:1], v0, s4, 0
	v_lshlrev_b64 v[0:1], 1, v[0:1]
	v_add_co_u32_e32 v0, vcc, v18, v0
	v_addc_co_u32_e32 v1, vcc, v19, v1, vcc
	s_waitcnt lgkmcnt(2)
	global_store_dwordx4 v[0:1], v[6:9], off
	v_or_b32_e32 v0, 8, v20
	;; [unrolled: 7-line block ×3, first 2 shown]
	v_mad_u64_u32 v[0:1], s[0:1], v0, s4, 0
	v_lshlrev_b64 v[0:1], 1, v[0:1]
	v_add_co_u32_e32 v0, vcc, v18, v0
	v_addc_co_u32_e32 v1, vcc, v19, v1, vcc
	s_waitcnt lgkmcnt(0)
	global_store_dwordx4 v[0:1], v[14:17], off
.LBB861_785:
	s_endpgm
	.section	.rodata,"a",@progbits
	.p2align	6, 0x0
	.amdhsa_kernel _Z39paged_attention_ll4mi_QKV_mfma16_kernelI14__hip_bfloat16hLN4vllm18Fp8KVCacheDataTypeE1ES0_Li16ELi64ELi256ELb0ELi16EL8MFMAType0EEvPKT_PKT0_S9_ifPKiSB_SB_iPKfiiiPfSE_PS4_PT2_iSD_SD_
		.amdhsa_group_segment_fixed_size 8192
		.amdhsa_private_segment_fixed_size 0
		.amdhsa_kernarg_size 400
		.amdhsa_user_sgpr_count 6
		.amdhsa_user_sgpr_private_segment_buffer 1
		.amdhsa_user_sgpr_dispatch_ptr 0
		.amdhsa_user_sgpr_queue_ptr 0
		.amdhsa_user_sgpr_kernarg_segment_ptr 1
		.amdhsa_user_sgpr_dispatch_id 0
		.amdhsa_user_sgpr_flat_scratch_init 0
		.amdhsa_user_sgpr_kernarg_preload_length 0
		.amdhsa_user_sgpr_kernarg_preload_offset 0
		.amdhsa_user_sgpr_private_segment_size 0
		.amdhsa_uses_dynamic_stack 0
		.amdhsa_system_sgpr_private_segment_wavefront_offset 0
		.amdhsa_system_sgpr_workgroup_id_x 1
		.amdhsa_system_sgpr_workgroup_id_y 1
		.amdhsa_system_sgpr_workgroup_id_z 1
		.amdhsa_system_sgpr_workgroup_info 0
		.amdhsa_system_vgpr_workitem_id 0
		.amdhsa_next_free_vgpr 63
		.amdhsa_next_free_sgpr 47
		.amdhsa_accum_offset 64
		.amdhsa_reserve_vcc 1
		.amdhsa_reserve_flat_scratch 0
		.amdhsa_float_round_mode_32 0
		.amdhsa_float_round_mode_16_64 0
		.amdhsa_float_denorm_mode_32 3
		.amdhsa_float_denorm_mode_16_64 3
		.amdhsa_dx10_clamp 1
		.amdhsa_ieee_mode 1
		.amdhsa_fp16_overflow 0
		.amdhsa_tg_split 0
		.amdhsa_exception_fp_ieee_invalid_op 0
		.amdhsa_exception_fp_denorm_src 0
		.amdhsa_exception_fp_ieee_div_zero 0
		.amdhsa_exception_fp_ieee_overflow 0
		.amdhsa_exception_fp_ieee_underflow 0
		.amdhsa_exception_fp_ieee_inexact 0
		.amdhsa_exception_int_div_zero 0
	.end_amdhsa_kernel
	.section	.text._Z39paged_attention_ll4mi_QKV_mfma16_kernelI14__hip_bfloat16hLN4vllm18Fp8KVCacheDataTypeE1ES0_Li16ELi64ELi256ELb0ELi16EL8MFMAType0EEvPKT_PKT0_S9_ifPKiSB_SB_iPKfiiiPfSE_PS4_PT2_iSD_SD_,"axG",@progbits,_Z39paged_attention_ll4mi_QKV_mfma16_kernelI14__hip_bfloat16hLN4vllm18Fp8KVCacheDataTypeE1ES0_Li16ELi64ELi256ELb0ELi16EL8MFMAType0EEvPKT_PKT0_S9_ifPKiSB_SB_iPKfiiiPfSE_PS4_PT2_iSD_SD_,comdat
.Lfunc_end861:
	.size	_Z39paged_attention_ll4mi_QKV_mfma16_kernelI14__hip_bfloat16hLN4vllm18Fp8KVCacheDataTypeE1ES0_Li16ELi64ELi256ELb0ELi16EL8MFMAType0EEvPKT_PKT0_S9_ifPKiSB_SB_iPKfiiiPfSE_PS4_PT2_iSD_SD_, .Lfunc_end861-_Z39paged_attention_ll4mi_QKV_mfma16_kernelI14__hip_bfloat16hLN4vllm18Fp8KVCacheDataTypeE1ES0_Li16ELi64ELi256ELb0ELi16EL8MFMAType0EEvPKT_PKT0_S9_ifPKiSB_SB_iPKfiiiPfSE_PS4_PT2_iSD_SD_
                                        ; -- End function
	.section	.AMDGPU.csdata,"",@progbits
; Kernel info:
; codeLenInByte = 28332
; NumSgprs: 51
; NumVgprs: 63
; NumAgprs: 0
; TotalNumVgprs: 63
; ScratchSize: 0
; MemoryBound: 0
; FloatMode: 240
; IeeeMode: 1
; LDSByteSize: 8192 bytes/workgroup (compile time only)
; SGPRBlocks: 6
; VGPRBlocks: 7
; NumSGPRsForWavesPerEU: 51
; NumVGPRsForWavesPerEU: 63
; AccumOffset: 64
; Occupancy: 8
; WaveLimiterHint : 1
; COMPUTE_PGM_RSRC2:SCRATCH_EN: 0
; COMPUTE_PGM_RSRC2:USER_SGPR: 6
; COMPUTE_PGM_RSRC2:TRAP_HANDLER: 0
; COMPUTE_PGM_RSRC2:TGID_X_EN: 1
; COMPUTE_PGM_RSRC2:TGID_Y_EN: 1
; COMPUTE_PGM_RSRC2:TGID_Z_EN: 1
; COMPUTE_PGM_RSRC2:TIDIG_COMP_CNT: 0
; COMPUTE_PGM_RSRC3_GFX90A:ACCUM_OFFSET: 15
; COMPUTE_PGM_RSRC3_GFX90A:TG_SPLIT: 0
	.section	.text._Z39paged_attention_ll4mi_QKV_mfma16_kernelI14__hip_bfloat16hLN4vllm18Fp8KVCacheDataTypeE1ES0_Li16ELi64ELi256ELb0ELi1EL8MFMAType0EEvPKT_PKT0_S9_ifPKiSB_SB_iPKfiiiPfSE_PS4_PT2_iSD_SD_,"axG",@progbits,_Z39paged_attention_ll4mi_QKV_mfma16_kernelI14__hip_bfloat16hLN4vllm18Fp8KVCacheDataTypeE1ES0_Li16ELi64ELi256ELb0ELi1EL8MFMAType0EEvPKT_PKT0_S9_ifPKiSB_SB_iPKfiiiPfSE_PS4_PT2_iSD_SD_,comdat
	.protected	_Z39paged_attention_ll4mi_QKV_mfma16_kernelI14__hip_bfloat16hLN4vllm18Fp8KVCacheDataTypeE1ES0_Li16ELi64ELi256ELb0ELi1EL8MFMAType0EEvPKT_PKT0_S9_ifPKiSB_SB_iPKfiiiPfSE_PS4_PT2_iSD_SD_ ; -- Begin function _Z39paged_attention_ll4mi_QKV_mfma16_kernelI14__hip_bfloat16hLN4vllm18Fp8KVCacheDataTypeE1ES0_Li16ELi64ELi256ELb0ELi1EL8MFMAType0EEvPKT_PKT0_S9_ifPKiSB_SB_iPKfiiiPfSE_PS4_PT2_iSD_SD_
	.globl	_Z39paged_attention_ll4mi_QKV_mfma16_kernelI14__hip_bfloat16hLN4vllm18Fp8KVCacheDataTypeE1ES0_Li16ELi64ELi256ELb0ELi1EL8MFMAType0EEvPKT_PKT0_S9_ifPKiSB_SB_iPKfiiiPfSE_PS4_PT2_iSD_SD_
	.p2align	8
	.type	_Z39paged_attention_ll4mi_QKV_mfma16_kernelI14__hip_bfloat16hLN4vllm18Fp8KVCacheDataTypeE1ES0_Li16ELi64ELi256ELb0ELi1EL8MFMAType0EEvPKT_PKT0_S9_ifPKiSB_SB_iPKfiiiPfSE_PS4_PT2_iSD_SD_,@function
_Z39paged_attention_ll4mi_QKV_mfma16_kernelI14__hip_bfloat16hLN4vllm18Fp8KVCacheDataTypeE1ES0_Li16ELi64ELi256ELb0ELi1EL8MFMAType0EEvPKT_PKT0_S9_ifPKiSB_SB_iPKfiiiPfSE_PS4_PT2_iSD_SD_: ; @_Z39paged_attention_ll4mi_QKV_mfma16_kernelI14__hip_bfloat16hLN4vllm18Fp8KVCacheDataTypeE1ES0_Li16ELi64ELi256ELb0ELi1EL8MFMAType0EEvPKT_PKT0_S9_ifPKiSB_SB_iPKfiiiPfSE_PS4_PT2_iSD_SD_
; %bb.0:
	s_load_dwordx2 s[0:1], s[4:5], 0x30
	s_mov_b32 s9, s7
	s_mov_b64 s[10:11], 0
	s_waitcnt lgkmcnt(0)
	s_cmp_lg_u64 s[0:1], 0
	s_cselect_b64 s[2:3], -1, 0
	s_and_b64 vcc, exec, s[2:3]
	s_cbranch_vccz .LBB862_7
; %bb.1:
	s_add_i32 s12, s6, 1
	s_mov_b32 s13, 0
	s_lshl_b64 s[14:15], s[12:13], 2
	s_add_u32 s14, s0, s14
	s_mov_b32 s7, s13
	s_addc_u32 s15, s1, s15
	s_lshl_b64 s[12:13], s[6:7], 2
	s_add_u32 s12, s0, s12
	s_addc_u32 s13, s1, s13
	s_load_dword s16, s[14:15], 0x0
	s_load_dword s17, s[12:13], 0x0
	s_waitcnt lgkmcnt(0)
	s_sub_i32 s12, s16, s17
	s_cmp_eq_u32 s12, 1
	s_cselect_b64 s[12:13], -1, 0
	s_andn2_b64 vcc, exec, s[10:11]
	s_cbranch_vccnz .LBB862_3
.LBB862_2:
	s_mov_b32 s7, 0
	s_mov_b64 s[12:13], -1
.LBB862_3:
	s_andn2_b64 vcc, exec, s[12:13]
	s_cbranch_vccnz .LBB862_785
; %bb.4:
	s_load_dwordx2 s[12:13], s[4:5], 0x28
	s_lshl_b64 s[10:11], s[6:7], 2
	s_waitcnt lgkmcnt(0)
	s_add_u32 s12, s12, s10
	s_addc_u32 s13, s13, s11
	s_load_dword s33, s[12:13], 0x0
	s_lshl_b32 s20, s9, 8
	s_waitcnt lgkmcnt(0)
	s_cmp_ge_i32 s20, s33
	s_cbranch_scc1 .LBB862_785
; %bb.5:
	s_add_i32 s15, s33, 15
	s_load_dwordx2 s[12:13], s[4:5], 0x20
	s_load_dword s14, s[4:5], 0x38
	s_ashr_i32 s16, s15, 31
	v_and_b32_e32 v1, 0xcf, v0
	s_lshr_b32 s16, s16, 28
	v_add_u32_e32 v1, s20, v1
	s_add_i32 s15, s15, s16
	v_ashrrev_i32_e32 v2, 31, v1
	s_ashr_i32 s23, s15, 4
	v_lshrrev_b32_e32 v4, 28, v2
	s_add_i32 s23, s23, -1
	v_add_u32_e32 v2, v1, v4
	s_waitcnt lgkmcnt(0)
	s_mul_i32 s14, s6, s14
	s_mov_b32 s15, 0
	v_ashrrev_i32_e32 v2, 4, v2
	v_mov_b32_e32 v5, s23
	v_cmp_gt_i32_e32 vcc, s33, v1
	s_lshl_b64 s[14:15], s[14:15], 2
	v_cndmask_b32_e32 v2, v5, v2, vcc
	s_add_u32 s21, s12, s14
	v_ashrrev_i32_e32 v3, 31, v2
	s_addc_u32 s22, s13, s15
	v_lshlrev_b64 v[2:3], 2, v[2:3]
	v_mov_b32_e32 v7, s22
	v_add_co_u32_e32 v6, vcc, s21, v2
	v_or_b32_e32 v2, 16, v1
	v_addc_co_u32_e32 v7, vcc, v7, v3, vcc
	v_add_u32_e32 v3, v2, v4
	v_ashrrev_i32_e32 v3, 4, v3
	v_cmp_gt_i32_e32 vcc, s33, v2
	v_cndmask_b32_e32 v2, v5, v3, vcc
	v_ashrrev_i32_e32 v3, 31, v2
	v_lshlrev_b64 v[2:3], 2, v[2:3]
	v_mov_b32_e32 v9, s22
	v_add_co_u32_e32 v8, vcc, s21, v2
	v_or_b32_e32 v2, 32, v1
	v_addc_co_u32_e32 v9, vcc, v9, v3, vcc
	v_add_u32_e32 v3, v2, v4
	v_ashrrev_i32_e32 v3, 4, v3
	v_cmp_gt_i32_e32 vcc, s33, v2
	v_cndmask_b32_e32 v2, v5, v3, vcc
	v_ashrrev_i32_e32 v3, 31, v2
	v_lshlrev_b64 v[2:3], 2, v[2:3]
	v_mov_b32_e32 v11, s22
	v_add_co_u32_e32 v10, vcc, s21, v2
	v_or_b32_e32 v1, 48, v1
	v_addc_co_u32_e32 v11, vcc, v11, v3, vcc
	v_add_u32_e32 v2, v1, v4
	v_ashrrev_i32_e32 v2, 4, v2
	v_cmp_gt_i32_e32 vcc, s33, v1
	v_cndmask_b32_e32 v2, v5, v2, vcc
	v_ashrrev_i32_e32 v3, 31, v2
	v_lshlrev_b64 v[2:3], 2, v[2:3]
	v_mov_b32_e32 v1, s22
	v_add_co_u32_e32 v12, vcc, s21, v2
	v_addc_co_u32_e32 v13, vcc, v1, v3, vcc
	global_load_dword v4, v[6:7], off
	global_load_dword v5, v[8:9], off
	;; [unrolled: 1-line block ×4, first 2 shown]
	s_load_dwordx4 s[12:15], s[4:5], 0x8
	s_andn2_b64 vcc, exec, s[2:3]
	s_cbranch_vccnz .LBB862_8
; %bb.6:
	s_add_u32 s0, s0, s10
	s_addc_u32 s1, s1, s11
	s_load_dword s10, s[0:1], 0x0
	s_branch .LBB862_9
.LBB862_7:
	s_mov_b64 s[12:13], 0
	s_branch .LBB862_2
.LBB862_8:
	s_mov_b32 s10, s6
.LBB862_9:
	s_load_dwordx4 s[16:19], s[4:5], 0x48
	v_lshrrev_b32_e32 v48, 6, v0
	v_bfe_u32 v46, v0, 4, 2
	v_lshl_or_b32 v1, v48, 2, v46
	v_and_b32_e32 v49, 15, v0
	v_lshlrev_b32_e32 v6, 3, v49
	v_cmp_eq_u32_e32 vcc, 0, v1
	v_cmp_gt_u32_e64 s[0:1], 8, v49
	s_and_b64 s[24:25], s[0:1], vcc
	v_lshlrev_b32_e32 v1, 1, v6
	v_lshlrev_b32_e32 v47, 4, v0
	s_and_saveexec_b64 s[2:3], s[24:25]
	s_cbranch_execz .LBB862_11
; %bb.10:
	s_load_dwordx2 s[24:25], s[4:5], 0x0
	s_waitcnt lgkmcnt(0)
	s_ashr_i32 s11, s16, 31
	s_mul_hi_u32 s19, s10, s16
	s_mul_i32 s11, s10, s11
	s_add_i32 s11, s19, s11
	s_mul_i32 s10, s10, s16
	s_lshl_b64 s[10:11], s[10:11], 1
	s_add_u32 s16, s24, s10
	s_addc_u32 s19, s25, s11
	s_lshl_b32 s10, s8, 6
	s_ashr_i32 s11, s10, 31
	s_lshl_b64 s[10:11], s[10:11], 1
	s_add_u32 s10, s16, s10
	s_addc_u32 s11, s19, s11
	global_load_dwordx4 v[6:9], v1, s[10:11]
	v_lshlrev_b32_e32 v10, 8, v49
	v_and_b32_e32 v11, 16, v47
	s_movk_i32 s10, 0xe00
	v_and_or_b32 v10, v10, s10, v11
	s_waitcnt vmcnt(0)
	ds_write_b128 v10, v[6:9]
.LBB862_11:
	s_or_b64 exec, exec, s[2:3]
	v_and_b32_e32 v12, 48, v0
	v_or_b32_e32 v13, s20, v12
	v_ashrrev_i32_e32 v6, 4, v13
	v_mov_b32_e32 v14, s23
	v_cmp_gt_i32_e32 vcc, s33, v13
	v_cndmask_b32_e32 v6, v14, v6, vcc
	v_ashrrev_i32_e32 v7, 31, v6
	v_lshlrev_b64 v[6:7], 2, v[6:7]
	v_mov_b32_e32 v8, s22
	v_add_co_u32_e32 v6, vcc, s21, v6
	v_addc_co_u32_e32 v7, vcc, v8, v7, vcc
	v_or_b32_e32 v8, 64, v13
	v_ashrrev_i32_e32 v9, 4, v8
	v_cmp_gt_i32_e32 vcc, s33, v8
	v_cndmask_b32_e32 v8, v14, v9, vcc
	v_ashrrev_i32_e32 v9, 31, v8
	v_lshlrev_b64 v[8:9], 2, v[8:9]
	v_mov_b32_e32 v10, s22
	v_add_co_u32_e32 v8, vcc, s21, v8
	v_addc_co_u32_e32 v9, vcc, v10, v9, vcc
	v_or_b32_e32 v10, 0x80, v13
	v_ashrrev_i32_e32 v11, 4, v10
	v_cmp_gt_i32_e32 vcc, s33, v10
	v_cndmask_b32_e32 v10, v14, v11, vcc
	v_ashrrev_i32_e32 v11, 31, v10
	v_lshlrev_b64 v[10:11], 2, v[10:11]
	v_mov_b32_e32 v15, s22
	v_add_co_u32_e32 v10, vcc, s21, v10
	s_load_dwordx2 s[44:45], s[4:5], 0x94
	s_load_dwordx4 s[40:43], s[4:5], 0x80
	s_waitcnt lgkmcnt(0)
	s_barrier
	v_addc_co_u32_e32 v11, vcc, v15, v11, vcc
	global_load_dword v15, v[6:7], off
	global_load_dword v16, v[8:9], off
	;; [unrolled: 1-line block ×3, first 2 shown]
	v_or_b32_e32 v6, 0xc0, v13
	v_ashrrev_i32_e32 v7, 4, v6
	v_cmp_gt_i32_e32 vcc, s33, v6
	v_cndmask_b32_e32 v6, v14, v7, vcc
	v_ashrrev_i32_e32 v7, 31, v6
	v_lshlrev_b64 v[6:7], 2, v[6:7]
	v_mov_b32_e32 v8, s22
	v_add_co_u32_e32 v6, vcc, s21, v6
	v_addc_co_u32_e32 v7, vcc, v8, v7, vcc
	global_load_dword v20, v[6:7], off
	s_mul_i32 s10, s8, s18
	s_add_u32 s2, s12, s10
	s_addc_u32 s3, s13, 0
	v_and_b32_e32 v6, 0xf0, v47
	v_mov_b32_e32 v7, s3
	v_add_co_u32_e32 v6, vcc, s2, v6
	v_addc_co_u32_e32 v7, vcc, 0, v7, vcc
	v_lshlrev_b32_e32 v8, 4, v12
	v_add_co_u32_e32 v6, vcc, v6, v8
	v_addc_co_u32_e32 v7, vcc, 0, v7, vcc
	s_waitcnt vmcnt(7)
	v_mad_i64_i32 v[8:9], s[2:3], v4, s17, v[6:7]
	s_waitcnt vmcnt(6)
	v_mad_i64_i32 v[4:5], s[2:3], v5, s17, v[6:7]
	global_load_dwordx4 v[30:33], v[8:9], off
	global_load_dwordx4 v[38:41], v[4:5], off
	s_waitcnt vmcnt(7)
	v_mad_i64_i32 v[4:5], s[2:3], v2, s17, v[6:7]
	s_waitcnt vmcnt(6)
	v_mad_i64_i32 v[2:3], s[2:3], v3, s17, v[6:7]
	global_load_dwordx4 v[34:37], v[4:5], off
	global_load_dwordx4 v[22:25], v[2:3], off
	s_add_u32 s2, s14, s10
	v_lshlrev_b32_e32 v2, 4, v49
	s_addc_u32 s3, s15, 0
	v_lshl_or_b32 v2, v48, 8, v2
	v_mov_b32_e32 v3, s3
	v_add_co_u32_e32 v2, vcc, s2, v2
	v_addc_co_u32_e32 v3, vcc, 0, v3, vcc
	v_mov_b32_e32 v44, 0
	v_mov_b32_e32 v43, 0
	s_movk_i32 s10, 0x80
	s_waitcnt vmcnt(7)
	v_mad_i64_i32 v[4:5], s[2:3], v15, s17, v[2:3]
	s_waitcnt vmcnt(6)
	v_mad_i64_i32 v[6:7], s[2:3], v16, s17, v[2:3]
	;; [unrolled: 2-line block ×3, first 2 shown]
	global_load_dwordx4 v[14:17], v[4:5], off
	global_load_dwordx4 v[10:13], v[6:7], off
	s_waitcnt vmcnt(6)
	v_mad_i64_i32 v[20:21], s[2:3], v20, s17, v[2:3]
	global_load_dwordx4 v[6:9], v[18:19], off
	global_load_dwordx4 v[2:5], v[20:21], off
	v_lshlrev_b32_e32 v18, 9, v46
	ds_read_b128 v[26:29], v18
	ds_read_b128 v[18:21], v18 offset:16
	s_load_dword s14, s[40:41], 0x0
	s_waitcnt vmcnt(7)
	v_cmp_ne_u16_sdwa s[12:13], v30, v44 src0_sel:BYTE_0 src1_sel:DWORD
	s_and_saveexec_b64 s[2:3], s[12:13]
	s_cbranch_execz .LBB862_17
; %bb.12:
	v_cmp_ne_u16_sdwa s[12:13], v30, s10 src0_sel:BYTE_0 src1_sel:DWORD
	v_mov_b32_e32 v43, 0xffff8000
	s_and_saveexec_b64 s[10:11], s[12:13]
	s_cbranch_execz .LBB862_16
; %bb.13:
	s_movk_i32 s12, 0x7f
	v_and_b32_e32 v42, 0x7f, v30
	v_cmp_ne_u32_e32 vcc, s12, v42
	v_mov_b32_e32 v43, 0x7f80
	s_and_saveexec_b64 s[12:13], vcc
	s_cbranch_execz .LBB862_15
; %bb.14:
	v_and_b32_e32 v43, 7, v30
	v_ffbh_u32_e32 v50, v43
	v_min_u32_e32 v52, 32, v50
	v_subrev_u32_e32 v50, 28, v52
	v_lshlrev_b64 v[50:51], v50, v[30:31]
	v_lshrrev_b32_e32 v45, 3, v42
	v_sub_u32_e32 v51, 29, v52
	v_and_b32_e32 v50, 7, v50
	v_cmp_gt_u32_e32 vcc, 8, v42
	v_cndmask_b32_e32 v42, v45, v51, vcc
	v_cndmask_b32_e32 v43, v43, v50, vcc
	v_lshlrev_b32_e32 v45, 24, v30
	v_bfrev_b32_e32 v50, 60
	v_lshlrev_b32_e32 v43, 20, v43
	v_and_b32_e32 v45, 0x80000000, v45
	v_lshl_add_u32 v42, v42, 23, v50
	v_or3_b32 v42, v45, v42, v43
	v_lshrrev_b32_e32 v43, 16, v42
.LBB862_15:
	s_or_b64 exec, exec, s[12:13]
.LBB862_16:
	s_or_b64 exec, exec, s[10:11]
.LBB862_17:
	s_or_b64 exec, exec, s[2:3]
	v_lshrrev_b16_e32 v42, 8, v30
	v_cmp_ne_u16_e32 vcc, 0, v42
	s_and_saveexec_b64 s[2:3], vcc
	s_cbranch_execz .LBB862_23
; %bb.18:
	s_movk_i32 s10, 0x80
	v_cmp_ne_u16_e32 vcc, s10, v42
	v_mov_b32_e32 v44, 0xffff8000
	s_and_saveexec_b64 s[10:11], vcc
	s_cbranch_execz .LBB862_22
; %bb.19:
	s_movk_i32 s12, 0x7f
	v_and_b32_e32 v45, 0x7f, v42
	v_cmp_ne_u32_e32 vcc, s12, v45
	v_mov_b32_e32 v44, 0x7f80
	s_and_saveexec_b64 s[12:13], vcc
	s_cbranch_execz .LBB862_21
; %bb.20:
	v_and_b32_e32 v44, 7, v42
	v_ffbh_u32_e32 v50, v44
	v_min_u32_e32 v53, 32, v50
	v_subrev_u32_e32 v50, 28, v53
	v_lshlrev_b64 v[50:51], v50, v[42:43]
	v_lshrrev_b32_e32 v52, 3, v45
	v_sub_u32_e32 v42, 29, v53
	v_and_b32_e32 v50, 7, v50
	v_cmp_gt_u32_e32 vcc, 8, v45
	v_cndmask_b32_e32 v42, v52, v42, vcc
	v_cndmask_b32_e32 v44, v44, v50, vcc
	v_lshlrev_b32_e32 v45, 16, v30
	v_bfrev_b32_e32 v50, 60
	v_lshlrev_b32_e32 v44, 20, v44
	v_and_b32_e32 v45, 0x80000000, v45
	v_lshl_add_u32 v42, v42, 23, v50
	v_or3_b32 v42, v45, v42, v44
	v_lshrrev_b32_e32 v44, 16, v42
.LBB862_21:
	s_or_b64 exec, exec, s[12:13]
.LBB862_22:
	s_or_b64 exec, exec, s[10:11]
.LBB862_23:
	s_or_b64 exec, exec, s[2:3]
	s_movk_i32 s2, 0xff
	v_and_b32_sdwa v51, v30, s2 dst_sel:DWORD dst_unused:UNUSED_PAD src0_sel:WORD_1 src1_sel:DWORD
	v_lshrrev_b32_e32 v42, 16, v30
	v_cmp_ne_u16_e32 vcc, 0, v51
	v_mov_b32_e32 v45, 0
	v_mov_b32_e32 v50, 0
	s_and_saveexec_b64 s[2:3], vcc
	s_cbranch_execz .LBB862_29
; %bb.24:
	s_movk_i32 s10, 0x80
	v_cmp_ne_u16_e32 vcc, s10, v51
	v_mov_b32_e32 v50, 0xffff8000
	s_and_saveexec_b64 s[10:11], vcc
	s_cbranch_execz .LBB862_28
; %bb.25:
	v_bfe_u32 v51, v30, 16, 7
	s_movk_i32 s12, 0x7f
	v_cmp_ne_u32_e32 vcc, s12, v51
	v_mov_b32_e32 v50, 0x7f80
	s_and_saveexec_b64 s[12:13], vcc
	s_cbranch_execz .LBB862_27
; %bb.26:
	v_and_b32_e32 v50, 7, v42
	v_ffbh_u32_e32 v52, v50
	v_min_u32_e32 v55, 32, v52
	v_subrev_u32_e32 v52, 28, v55
	v_lshlrev_b64 v[52:53], v52, v[42:43]
	v_lshrrev_b32_e32 v54, 3, v51
	v_sub_u32_e32 v42, 29, v55
	v_and_b32_e32 v52, 7, v52
	v_cmp_gt_u32_e32 vcc, 8, v51
	v_mov_b32_e32 v51, 24
	v_cndmask_b32_e32 v42, v54, v42, vcc
	v_cndmask_b32_e32 v50, v50, v52, vcc
	v_lshlrev_b32_sdwa v51, v51, v30 dst_sel:DWORD dst_unused:UNUSED_PAD src0_sel:DWORD src1_sel:WORD_1
	v_bfrev_b32_e32 v52, 60
	v_lshlrev_b32_e32 v50, 20, v50
	v_and_b32_e32 v51, 0x80000000, v51
	v_lshl_add_u32 v42, v42, 23, v52
	v_or3_b32 v42, v51, v42, v50
	v_lshrrev_b32_e32 v50, 16, v42
.LBB862_27:
	s_or_b64 exec, exec, s[12:13]
.LBB862_28:
	s_or_b64 exec, exec, s[10:11]
.LBB862_29:
	s_or_b64 exec, exec, s[2:3]
	s_mov_b32 s2, 0xffffff
	v_cmp_lt_u32_e32 vcc, s2, v30
	s_and_saveexec_b64 s[2:3], vcc
	s_cbranch_execz .LBB862_35
; %bb.30:
	v_lshrrev_b32_e32 v42, 24, v30
	s_movk_i32 s10, 0x80
	v_cmp_ne_u32_e32 vcc, s10, v42
	v_mov_b32_e32 v45, 0xffff8000
	s_and_saveexec_b64 s[10:11], vcc
	s_cbranch_execz .LBB862_34
; %bb.31:
	v_bfe_u32 v30, v30, 24, 7
	s_movk_i32 s12, 0x7f
	v_cmp_ne_u32_e32 vcc, s12, v30
	v_mov_b32_e32 v45, 0x7f80
	s_and_saveexec_b64 s[12:13], vcc
	s_cbranch_execz .LBB862_33
; %bb.32:
	v_and_b32_e32 v45, 7, v42
	v_ffbh_u32_e32 v52, v45
	v_min_u32_e32 v54, 32, v52
	v_subrev_u32_e32 v52, 28, v54
	v_lshlrev_b64 v[52:53], v52, v[42:43]
	v_lshrrev_b32_e32 v51, 3, v30
	v_sub_u32_e32 v53, 29, v54
	v_and_b32_e32 v52, 7, v52
	v_cmp_gt_u32_e32 vcc, 8, v30
	v_cndmask_b32_e32 v30, v51, v53, vcc
	v_cndmask_b32_e32 v45, v45, v52, vcc
	v_lshlrev_b32_e32 v42, 24, v42
	v_bfrev_b32_e32 v51, 60
	v_lshlrev_b32_e32 v45, 20, v45
	v_and_b32_e32 v42, 0x80000000, v42
	v_lshl_add_u32 v30, v30, 23, v51
	v_or3_b32 v30, v42, v30, v45
	v_lshrrev_b32_e32 v45, 16, v30
.LBB862_33:
	s_or_b64 exec, exec, s[12:13]
.LBB862_34:
	s_or_b64 exec, exec, s[10:11]
.LBB862_35:
	s_or_b64 exec, exec, s[2:3]
	v_mov_b32_e32 v42, 0
	v_cmp_ne_u16_sdwa s[10:11], v31, v42 src0_sel:BYTE_0 src1_sel:DWORD
	v_mov_b32_e32 v51, 0
	s_and_saveexec_b64 s[2:3], s[10:11]
	s_cbranch_execz .LBB862_41
; %bb.36:
	s_movk_i32 s10, 0x80
	v_cmp_ne_u16_sdwa s[12:13], v31, s10 src0_sel:BYTE_0 src1_sel:DWORD
	v_mov_b32_e32 v51, 0xffff8000
	s_and_saveexec_b64 s[10:11], s[12:13]
	s_cbranch_execz .LBB862_40
; %bb.37:
	s_movk_i32 s12, 0x7f
	v_and_b32_e32 v30, 0x7f, v31
	v_cmp_ne_u32_e32 vcc, s12, v30
	v_mov_b32_e32 v51, 0x7f80
	s_and_saveexec_b64 s[12:13], vcc
	s_cbranch_execz .LBB862_39
; %bb.38:
	v_and_b32_e32 v51, 7, v31
	v_ffbh_u32_e32 v53, v51
	v_min_u32_e32 v55, 32, v53
	v_mov_b32_e32 v52, v31
	v_subrev_u32_e32 v53, 28, v55
	v_lshlrev_b64 v[52:53], v53, v[52:53]
	v_lshrrev_b32_e32 v54, 3, v30
	v_sub_u32_e32 v53, 29, v55
	v_and_b32_e32 v52, 7, v52
	v_cmp_gt_u32_e32 vcc, 8, v30
	v_cndmask_b32_e32 v30, v54, v53, vcc
	v_cndmask_b32_e32 v51, v51, v52, vcc
	v_lshlrev_b32_e32 v52, 24, v31
	v_bfrev_b32_e32 v53, 60
	v_lshlrev_b32_e32 v51, 20, v51
	v_and_b32_e32 v52, 0x80000000, v52
	v_lshl_add_u32 v30, v30, 23, v53
	v_or3_b32 v30, v52, v30, v51
	v_lshrrev_b32_e32 v51, 16, v30
.LBB862_39:
	s_or_b64 exec, exec, s[12:13]
.LBB862_40:
	s_or_b64 exec, exec, s[10:11]
.LBB862_41:
	s_or_b64 exec, exec, s[2:3]
	v_lshrrev_b16_e32 v30, 8, v31
	v_cmp_ne_u16_e32 vcc, 0, v30
	s_and_saveexec_b64 s[2:3], vcc
	s_cbranch_execz .LBB862_47
; %bb.42:
	s_movk_i32 s10, 0x80
	v_cmp_ne_u16_e32 vcc, s10, v30
	v_mov_b32_e32 v42, 0xffff8000
	s_and_saveexec_b64 s[10:11], vcc
	s_cbranch_execz .LBB862_46
; %bb.43:
	s_movk_i32 s12, 0x7f
	v_and_b32_e32 v52, 0x7f, v30
	v_cmp_ne_u32_e32 vcc, s12, v52
	v_mov_b32_e32 v42, 0x7f80
	s_and_saveexec_b64 s[12:13], vcc
	s_cbranch_execz .LBB862_45
; %bb.44:
	v_and_b32_e32 v42, 7, v30
	v_ffbh_u32_e32 v54, v42
	v_min_u32_e32 v56, 32, v54
	v_subrev_u32_e32 v54, 28, v56
	v_lshlrev_b64 v[54:55], v54, v[30:31]
	v_lshrrev_b32_e32 v53, 3, v52
	v_sub_u32_e32 v30, 29, v56
	v_and_b32_e32 v54, 7, v54
	v_cmp_gt_u32_e32 vcc, 8, v52
	v_cndmask_b32_e32 v30, v53, v30, vcc
	v_cndmask_b32_e32 v42, v42, v54, vcc
	v_lshlrev_b32_e32 v52, 16, v31
	v_bfrev_b32_e32 v53, 60
	v_lshlrev_b32_e32 v42, 20, v42
	v_and_b32_e32 v52, 0x80000000, v52
	v_lshl_add_u32 v30, v30, 23, v53
	v_or3_b32 v30, v52, v30, v42
	v_lshrrev_b32_e32 v42, 16, v30
.LBB862_45:
	s_or_b64 exec, exec, s[12:13]
.LBB862_46:
	s_or_b64 exec, exec, s[10:11]
.LBB862_47:
	s_or_b64 exec, exec, s[2:3]
	s_movk_i32 s2, 0xff
	v_and_b32_sdwa v54, v31, s2 dst_sel:DWORD dst_unused:UNUSED_PAD src0_sel:WORD_1 src1_sel:DWORD
	v_lshrrev_b32_e32 v30, 16, v31
	v_cmp_ne_u16_e32 vcc, 0, v54
	v_mov_b32_e32 v52, 0
	v_mov_b32_e32 v53, 0
	s_and_saveexec_b64 s[2:3], vcc
	s_cbranch_execz .LBB862_53
; %bb.48:
	s_movk_i32 s10, 0x80
	v_cmp_ne_u16_e32 vcc, s10, v54
	v_mov_b32_e32 v53, 0xffff8000
	s_and_saveexec_b64 s[10:11], vcc
	s_cbranch_execz .LBB862_52
; %bb.49:
	v_bfe_u32 v54, v31, 16, 7
	s_movk_i32 s12, 0x7f
	v_cmp_ne_u32_e32 vcc, s12, v54
	v_mov_b32_e32 v53, 0x7f80
	s_and_saveexec_b64 s[12:13], vcc
	s_cbranch_execz .LBB862_51
; %bb.50:
	v_and_b32_e32 v53, 7, v30
	v_ffbh_u32_e32 v56, v53
	v_min_u32_e32 v58, 32, v56
	v_subrev_u32_e32 v56, 28, v58
	v_lshlrev_b64 v[56:57], v56, v[30:31]
	v_lshrrev_b32_e32 v55, 3, v54
	v_sub_u32_e32 v30, 29, v58
	v_and_b32_e32 v56, 7, v56
	v_cmp_gt_u32_e32 vcc, 8, v54
	v_mov_b32_e32 v54, 24
	v_cndmask_b32_e32 v30, v55, v30, vcc
	v_cndmask_b32_e32 v53, v53, v56, vcc
	v_lshlrev_b32_sdwa v54, v54, v31 dst_sel:DWORD dst_unused:UNUSED_PAD src0_sel:DWORD src1_sel:WORD_1
	v_bfrev_b32_e32 v55, 60
	v_lshlrev_b32_e32 v53, 20, v53
	v_and_b32_e32 v54, 0x80000000, v54
	v_lshl_add_u32 v30, v30, 23, v55
	v_or3_b32 v30, v54, v30, v53
	v_lshrrev_b32_e32 v53, 16, v30
.LBB862_51:
	s_or_b64 exec, exec, s[12:13]
.LBB862_52:
	s_or_b64 exec, exec, s[10:11]
.LBB862_53:
	s_or_b64 exec, exec, s[2:3]
	s_mov_b32 s2, 0xffffff
	v_cmp_lt_u32_e32 vcc, s2, v31
	s_and_saveexec_b64 s[2:3], vcc
	s_cbranch_execz .LBB862_59
; %bb.54:
	v_lshrrev_b32_e32 v30, 24, v31
	s_movk_i32 s10, 0x80
	v_cmp_ne_u32_e32 vcc, s10, v30
	v_mov_b32_e32 v52, 0xffff8000
	s_and_saveexec_b64 s[10:11], vcc
	s_cbranch_execz .LBB862_58
; %bb.55:
	v_bfe_u32 v31, v31, 24, 7
	s_movk_i32 s12, 0x7f
	v_cmp_ne_u32_e32 vcc, s12, v31
	v_mov_b32_e32 v52, 0x7f80
	s_and_saveexec_b64 s[12:13], vcc
	s_cbranch_execz .LBB862_57
; %bb.56:
	v_and_b32_e32 v52, 7, v30
	v_ffbh_u32_e32 v54, v52
	v_min_u32_e32 v57, 32, v54
	v_subrev_u32_e32 v54, 28, v57
	v_lshlrev_b64 v[54:55], v54, v[30:31]
	v_lshrrev_b32_e32 v56, 3, v31
	v_sub_u32_e32 v55, 29, v57
	v_and_b32_e32 v54, 7, v54
	v_cmp_gt_u32_e32 vcc, 8, v31
	v_cndmask_b32_e32 v31, v56, v55, vcc
	v_cndmask_b32_e32 v52, v52, v54, vcc
	v_lshlrev_b32_e32 v30, 24, v30
	v_bfrev_b32_e32 v54, 60
	v_lshlrev_b32_e32 v52, 20, v52
	v_and_b32_e32 v30, 0x80000000, v30
	v_lshl_add_u32 v31, v31, 23, v54
	v_or3_b32 v30, v30, v31, v52
	v_lshrrev_b32_e32 v52, 16, v30
.LBB862_57:
	s_or_b64 exec, exec, s[12:13]
.LBB862_58:
	s_or_b64 exec, exec, s[10:11]
.LBB862_59:
	s_or_b64 exec, exec, s[2:3]
	s_mov_b32 s2, 0x5040100
	v_perm_b32 v31, v45, v50, s2
	v_perm_b32 v30, v44, v43, s2
	;; [unrolled: 1-line block ×4, first 2 shown]
	v_mov_b32_e32 v50, 0
	s_waitcnt lgkmcnt(0)
	v_mfma_f32_16x16x16bf16_1k v[54:57], v[30:31], v[26:27], 0
	v_mov_b32_e32 v31, 0
	v_cmp_ne_u16_sdwa s[10:11], v32, v31 src0_sel:BYTE_0 src1_sel:DWORD
	v_mfma_f32_16x16x16bf16_1k v[42:45], v[42:43], v[28:29], v[54:57]
	s_and_saveexec_b64 s[2:3], s[10:11]
	s_cbranch_execz .LBB862_65
; %bb.60:
	s_movk_i32 s10, 0x80
	v_cmp_ne_u16_sdwa s[12:13], v32, s10 src0_sel:BYTE_0 src1_sel:DWORD
	v_mov_b32_e32 v50, 0xffff8000
	s_and_saveexec_b64 s[10:11], s[12:13]
	s_cbranch_execz .LBB862_64
; %bb.61:
	s_movk_i32 s12, 0x7f
	v_and_b32_e32 v30, 0x7f, v32
	v_cmp_ne_u32_e32 vcc, s12, v30
	v_mov_b32_e32 v50, 0x7f80
	s_and_saveexec_b64 s[12:13], vcc
	s_cbranch_execz .LBB862_63
; %bb.62:
	v_and_b32_e32 v52, 7, v32
	v_ffbh_u32_e32 v50, v52
	v_min_u32_e32 v54, 32, v50
	v_subrev_u32_e32 v50, 28, v54
	v_lshlrev_b64 v[50:51], v50, v[32:33]
	v_lshrrev_b32_e32 v53, 3, v30
	v_sub_u32_e32 v51, 29, v54
	v_and_b32_e32 v50, 7, v50
	v_cmp_gt_u32_e32 vcc, 8, v30
	v_cndmask_b32_e32 v30, v53, v51, vcc
	v_cndmask_b32_e32 v50, v52, v50, vcc
	v_lshlrev_b32_e32 v51, 24, v32
	v_bfrev_b32_e32 v52, 60
	v_lshlrev_b32_e32 v50, 20, v50
	v_and_b32_e32 v51, 0x80000000, v51
	v_lshl_add_u32 v30, v30, 23, v52
	v_or3_b32 v30, v51, v30, v50
	v_lshrrev_b32_e32 v50, 16, v30
.LBB862_63:
	s_or_b64 exec, exec, s[12:13]
.LBB862_64:
	s_or_b64 exec, exec, s[10:11]
.LBB862_65:
	s_or_b64 exec, exec, s[2:3]
	v_lshrrev_b16_e32 v30, 8, v32
	v_cmp_ne_u16_e32 vcc, 0, v30
	s_and_saveexec_b64 s[2:3], vcc
	s_cbranch_execz .LBB862_71
; %bb.66:
	s_movk_i32 s10, 0x80
	v_cmp_ne_u16_e32 vcc, s10, v30
	v_mov_b32_e32 v31, 0xffff8000
	s_and_saveexec_b64 s[10:11], vcc
	s_cbranch_execz .LBB862_70
; %bb.67:
	s_movk_i32 s12, 0x7f
	v_and_b32_e32 v51, 0x7f, v30
	v_cmp_ne_u32_e32 vcc, s12, v51
	v_mov_b32_e32 v31, 0x7f80
	s_and_saveexec_b64 s[12:13], vcc
	s_cbranch_execz .LBB862_69
; %bb.68:
	v_and_b32_e32 v52, 7, v30
	v_ffbh_u32_e32 v31, v52
	v_min_u32_e32 v54, 32, v31
	v_subrev_u32_e32 v31, 28, v54
	v_lshlrev_b64 v[30:31], v31, v[30:31]
	v_lshrrev_b32_e32 v53, 3, v51
	v_sub_u32_e32 v31, 29, v54
	v_and_b32_e32 v30, 7, v30
	v_cmp_gt_u32_e32 vcc, 8, v51
	v_cndmask_b32_e32 v31, v53, v31, vcc
	v_cndmask_b32_e32 v30, v52, v30, vcc
	v_lshlrev_b32_e32 v51, 16, v32
	v_bfrev_b32_e32 v52, 60
	v_lshlrev_b32_e32 v30, 20, v30
	v_and_b32_e32 v51, 0x80000000, v51
	v_lshl_add_u32 v31, v31, 23, v52
	v_or3_b32 v30, v51, v31, v30
	v_lshrrev_b32_e32 v31, 16, v30
.LBB862_69:
	s_or_b64 exec, exec, s[12:13]
.LBB862_70:
	s_or_b64 exec, exec, s[10:11]
.LBB862_71:
	s_or_b64 exec, exec, s[2:3]
	s_movk_i32 s2, 0xff
	v_and_b32_sdwa v53, v32, s2 dst_sel:DWORD dst_unused:UNUSED_PAD src0_sel:WORD_1 src1_sel:DWORD
	v_lshrrev_b32_e32 v30, 16, v32
	v_cmp_ne_u16_e32 vcc, 0, v53
	v_mov_b32_e32 v51, 0
	v_mov_b32_e32 v52, 0
	s_and_saveexec_b64 s[2:3], vcc
	s_cbranch_execz .LBB862_77
; %bb.72:
	s_movk_i32 s10, 0x80
	v_cmp_ne_u16_e32 vcc, s10, v53
	v_mov_b32_e32 v52, 0xffff8000
	s_and_saveexec_b64 s[10:11], vcc
	s_cbranch_execz .LBB862_76
; %bb.73:
	v_bfe_u32 v53, v32, 16, 7
	s_movk_i32 s12, 0x7f
	v_cmp_ne_u32_e32 vcc, s12, v53
	v_mov_b32_e32 v52, 0x7f80
	s_and_saveexec_b64 s[12:13], vcc
	s_cbranch_execz .LBB862_75
; %bb.74:
	v_and_b32_e32 v52, 7, v30
	v_ffbh_u32_e32 v54, v52
	v_min_u32_e32 v57, 32, v54
	v_subrev_u32_e32 v54, 28, v57
	v_lshlrev_b64 v[54:55], v54, v[30:31]
	v_lshrrev_b32_e32 v56, 3, v53
	v_sub_u32_e32 v30, 29, v57
	v_and_b32_e32 v54, 7, v54
	v_cmp_gt_u32_e32 vcc, 8, v53
	v_mov_b32_e32 v53, 24
	v_cndmask_b32_e32 v30, v56, v30, vcc
	v_cndmask_b32_e32 v52, v52, v54, vcc
	v_lshlrev_b32_sdwa v53, v53, v32 dst_sel:DWORD dst_unused:UNUSED_PAD src0_sel:DWORD src1_sel:WORD_1
	v_bfrev_b32_e32 v54, 60
	v_lshlrev_b32_e32 v52, 20, v52
	v_and_b32_e32 v53, 0x80000000, v53
	v_lshl_add_u32 v30, v30, 23, v54
	v_or3_b32 v30, v53, v30, v52
	v_lshrrev_b32_e32 v52, 16, v30
.LBB862_75:
	s_or_b64 exec, exec, s[12:13]
.LBB862_76:
	s_or_b64 exec, exec, s[10:11]
.LBB862_77:
	s_or_b64 exec, exec, s[2:3]
	s_mov_b32 s2, 0xffffff
	v_cmp_lt_u32_e32 vcc, s2, v32
	s_and_saveexec_b64 s[2:3], vcc
	s_cbranch_execz .LBB862_83
; %bb.78:
	v_lshrrev_b32_e32 v30, 24, v32
	s_movk_i32 s10, 0x80
	v_cmp_ne_u32_e32 vcc, s10, v30
	v_mov_b32_e32 v51, 0xffff8000
	s_and_saveexec_b64 s[10:11], vcc
	s_cbranch_execz .LBB862_82
; %bb.79:
	v_bfe_u32 v32, v32, 24, 7
	s_movk_i32 s12, 0x7f
	v_cmp_ne_u32_e32 vcc, s12, v32
	v_mov_b32_e32 v51, 0x7f80
	s_and_saveexec_b64 s[12:13], vcc
	s_cbranch_execz .LBB862_81
; %bb.80:
	v_and_b32_e32 v51, 7, v30
	v_ffbh_u32_e32 v54, v51
	v_min_u32_e32 v56, 32, v54
	v_subrev_u32_e32 v54, 28, v56
	v_lshlrev_b64 v[54:55], v54, v[30:31]
	v_lshrrev_b32_e32 v53, 3, v32
	v_sub_u32_e32 v55, 29, v56
	v_and_b32_e32 v54, 7, v54
	v_cmp_gt_u32_e32 vcc, 8, v32
	v_cndmask_b32_e32 v32, v53, v55, vcc
	v_cndmask_b32_e32 v51, v51, v54, vcc
	v_lshlrev_b32_e32 v30, 24, v30
	v_bfrev_b32_e32 v53, 60
	v_lshlrev_b32_e32 v51, 20, v51
	v_and_b32_e32 v30, 0x80000000, v30
	v_lshl_add_u32 v32, v32, 23, v53
	v_or3_b32 v30, v30, v32, v51
	v_lshrrev_b32_e32 v51, 16, v30
.LBB862_81:
	s_or_b64 exec, exec, s[12:13]
.LBB862_82:
	s_or_b64 exec, exec, s[10:11]
.LBB862_83:
	s_or_b64 exec, exec, s[2:3]
	v_mov_b32_e32 v32, 0
	v_cmp_ne_u16_sdwa s[10:11], v33, v32 src0_sel:BYTE_0 src1_sel:DWORD
	v_mov_b32_e32 v53, 0
	s_and_saveexec_b64 s[2:3], s[10:11]
	s_cbranch_execz .LBB862_89
; %bb.84:
	s_movk_i32 s10, 0x80
	v_cmp_ne_u16_sdwa s[12:13], v33, s10 src0_sel:BYTE_0 src1_sel:DWORD
	v_mov_b32_e32 v53, 0xffff8000
	s_and_saveexec_b64 s[10:11], s[12:13]
	s_cbranch_execz .LBB862_88
; %bb.85:
	s_movk_i32 s12, 0x7f
	v_and_b32_e32 v30, 0x7f, v33
	v_cmp_ne_u32_e32 vcc, s12, v30
	v_mov_b32_e32 v53, 0x7f80
	s_and_saveexec_b64 s[12:13], vcc
	s_cbranch_execz .LBB862_87
; %bb.86:
	v_and_b32_e32 v53, 7, v33
	v_ffbh_u32_e32 v55, v53
	v_min_u32_e32 v57, 32, v55
	v_mov_b32_e32 v54, v33
	v_subrev_u32_e32 v55, 28, v57
	v_lshlrev_b64 v[54:55], v55, v[54:55]
	v_lshrrev_b32_e32 v56, 3, v30
	v_sub_u32_e32 v55, 29, v57
	v_and_b32_e32 v54, 7, v54
	v_cmp_gt_u32_e32 vcc, 8, v30
	v_cndmask_b32_e32 v30, v56, v55, vcc
	v_cndmask_b32_e32 v53, v53, v54, vcc
	v_lshlrev_b32_e32 v54, 24, v33
	v_bfrev_b32_e32 v55, 60
	v_lshlrev_b32_e32 v53, 20, v53
	v_and_b32_e32 v54, 0x80000000, v54
	v_lshl_add_u32 v30, v30, 23, v55
	v_or3_b32 v30, v54, v30, v53
	v_lshrrev_b32_e32 v53, 16, v30
.LBB862_87:
	s_or_b64 exec, exec, s[12:13]
.LBB862_88:
	s_or_b64 exec, exec, s[10:11]
.LBB862_89:
	s_or_b64 exec, exec, s[2:3]
	v_lshrrev_b16_e32 v30, 8, v33
	v_cmp_ne_u16_e32 vcc, 0, v30
	s_and_saveexec_b64 s[2:3], vcc
	s_cbranch_execz .LBB862_95
; %bb.90:
	s_movk_i32 s10, 0x80
	v_cmp_ne_u16_e32 vcc, s10, v30
	v_mov_b32_e32 v32, 0xffff8000
	s_and_saveexec_b64 s[10:11], vcc
	s_cbranch_execz .LBB862_94
; %bb.91:
	s_movk_i32 s12, 0x7f
	v_and_b32_e32 v54, 0x7f, v30
	v_cmp_ne_u32_e32 vcc, s12, v54
	v_mov_b32_e32 v32, 0x7f80
	s_and_saveexec_b64 s[12:13], vcc
	s_cbranch_execz .LBB862_93
; %bb.92:
	v_and_b32_e32 v32, 7, v30
	v_ffbh_u32_e32 v56, v32
	v_min_u32_e32 v58, 32, v56
	v_subrev_u32_e32 v56, 28, v58
	v_lshlrev_b64 v[56:57], v56, v[30:31]
	v_lshrrev_b32_e32 v55, 3, v54
	v_sub_u32_e32 v30, 29, v58
	v_and_b32_e32 v56, 7, v56
	v_cmp_gt_u32_e32 vcc, 8, v54
	v_cndmask_b32_e32 v30, v55, v30, vcc
	v_cndmask_b32_e32 v32, v32, v56, vcc
	v_lshlrev_b32_e32 v54, 16, v33
	v_bfrev_b32_e32 v55, 60
	v_lshlrev_b32_e32 v32, 20, v32
	v_and_b32_e32 v54, 0x80000000, v54
	v_lshl_add_u32 v30, v30, 23, v55
	v_or3_b32 v30, v54, v30, v32
	v_lshrrev_b32_e32 v32, 16, v30
.LBB862_93:
	s_or_b64 exec, exec, s[12:13]
.LBB862_94:
	s_or_b64 exec, exec, s[10:11]
.LBB862_95:
	s_or_b64 exec, exec, s[2:3]
	s_movk_i32 s2, 0xff
	v_and_b32_sdwa v56, v33, s2 dst_sel:DWORD dst_unused:UNUSED_PAD src0_sel:WORD_1 src1_sel:DWORD
	v_lshrrev_b32_e32 v30, 16, v33
	v_cmp_ne_u16_e32 vcc, 0, v56
	v_mov_b32_e32 v54, 0
	v_mov_b32_e32 v55, 0
	s_and_saveexec_b64 s[2:3], vcc
	s_cbranch_execz .LBB862_101
; %bb.96:
	s_movk_i32 s10, 0x80
	v_cmp_ne_u16_e32 vcc, s10, v56
	v_mov_b32_e32 v55, 0xffff8000
	s_and_saveexec_b64 s[10:11], vcc
	s_cbranch_execz .LBB862_100
; %bb.97:
	v_bfe_u32 v56, v33, 16, 7
	s_movk_i32 s12, 0x7f
	v_cmp_ne_u32_e32 vcc, s12, v56
	v_mov_b32_e32 v55, 0x7f80
	s_and_saveexec_b64 s[12:13], vcc
	s_cbranch_execz .LBB862_99
; %bb.98:
	v_and_b32_e32 v55, 7, v30
	v_ffbh_u32_e32 v58, v55
	v_min_u32_e32 v60, 32, v58
	v_subrev_u32_e32 v58, 28, v60
	v_lshlrev_b64 v[58:59], v58, v[30:31]
	v_lshrrev_b32_e32 v57, 3, v56
	v_sub_u32_e32 v30, 29, v60
	v_and_b32_e32 v58, 7, v58
	v_cmp_gt_u32_e32 vcc, 8, v56
	v_mov_b32_e32 v56, 24
	v_cndmask_b32_e32 v30, v57, v30, vcc
	v_cndmask_b32_e32 v55, v55, v58, vcc
	v_lshlrev_b32_sdwa v56, v56, v33 dst_sel:DWORD dst_unused:UNUSED_PAD src0_sel:DWORD src1_sel:WORD_1
	v_bfrev_b32_e32 v57, 60
	v_lshlrev_b32_e32 v55, 20, v55
	v_and_b32_e32 v56, 0x80000000, v56
	v_lshl_add_u32 v30, v30, 23, v57
	v_or3_b32 v30, v56, v30, v55
	v_lshrrev_b32_e32 v55, 16, v30
.LBB862_99:
	s_or_b64 exec, exec, s[12:13]
.LBB862_100:
	s_or_b64 exec, exec, s[10:11]
.LBB862_101:
	s_or_b64 exec, exec, s[2:3]
	s_mov_b32 s2, 0xffffff
	v_cmp_lt_u32_e32 vcc, s2, v33
	s_and_saveexec_b64 s[2:3], vcc
	s_cbranch_execz .LBB862_107
; %bb.102:
	v_lshrrev_b32_e32 v30, 24, v33
	s_movk_i32 s10, 0x80
	v_cmp_ne_u32_e32 vcc, s10, v30
	v_mov_b32_e32 v54, 0xffff8000
	s_and_saveexec_b64 s[10:11], vcc
	s_cbranch_execz .LBB862_106
; %bb.103:
	v_bfe_u32 v33, v33, 24, 7
	s_movk_i32 s12, 0x7f
	v_cmp_ne_u32_e32 vcc, s12, v33
	v_mov_b32_e32 v54, 0x7f80
	s_and_saveexec_b64 s[12:13], vcc
	s_cbranch_execz .LBB862_105
; %bb.104:
	v_and_b32_e32 v54, 7, v30
	v_ffbh_u32_e32 v56, v54
	v_min_u32_e32 v59, 32, v56
	v_subrev_u32_e32 v56, 28, v59
	v_lshlrev_b64 v[56:57], v56, v[30:31]
	v_lshrrev_b32_e32 v58, 3, v33
	v_sub_u32_e32 v57, 29, v59
	v_and_b32_e32 v56, 7, v56
	v_cmp_gt_u32_e32 vcc, 8, v33
	v_cndmask_b32_e32 v33, v58, v57, vcc
	v_cndmask_b32_e32 v54, v54, v56, vcc
	v_lshlrev_b32_e32 v30, 24, v30
	v_bfrev_b32_e32 v56, 60
	v_lshlrev_b32_e32 v54, 20, v54
	v_and_b32_e32 v30, 0x80000000, v30
	v_lshl_add_u32 v33, v33, 23, v56
	v_or3_b32 v30, v30, v33, v54
	v_lshrrev_b32_e32 v54, 16, v30
.LBB862_105:
	s_or_b64 exec, exec, s[12:13]
.LBB862_106:
	s_or_b64 exec, exec, s[10:11]
.LBB862_107:
	s_or_b64 exec, exec, s[2:3]
	s_mov_b32 s2, 0x5040100
	v_perm_b32 v51, v51, v52, s2
	v_perm_b32 v50, v31, v50, s2
	;; [unrolled: 1-line block ×4, first 2 shown]
	v_mfma_f32_16x16x16bf16_1k v[56:59], v[50:51], v[18:19], v[42:45]
	s_nop 6
	v_mov_b32_e32 v43, 0
	s_waitcnt vmcnt(6)
	v_cmp_ne_u16_sdwa s[10:11], v38, v43 src0_sel:BYTE_0 src1_sel:DWORD
	v_mfma_f32_16x16x16bf16_1k v[30:33], v[30:31], v[20:21], v[56:59]
	v_mov_b32_e32 v44, 0
	s_and_saveexec_b64 s[2:3], s[10:11]
	s_cbranch_execz .LBB862_113
; %bb.108:
	s_movk_i32 s10, 0x80
	v_cmp_ne_u16_sdwa s[12:13], v38, s10 src0_sel:BYTE_0 src1_sel:DWORD
	v_mov_b32_e32 v44, 0xffff8000
	s_and_saveexec_b64 s[10:11], s[12:13]
	s_cbranch_execz .LBB862_112
; %bb.109:
	s_movk_i32 s12, 0x7f
	v_and_b32_e32 v42, 0x7f, v38
	v_cmp_ne_u32_e32 vcc, s12, v42
	v_mov_b32_e32 v44, 0x7f80
	s_and_saveexec_b64 s[12:13], vcc
	s_cbranch_execz .LBB862_111
; %bb.110:
	v_and_b32_e32 v50, 7, v38
	v_ffbh_u32_e32 v44, v50
	v_min_u32_e32 v52, 32, v44
	v_subrev_u32_e32 v44, 28, v52
	v_lshlrev_b64 v[44:45], v44, v[38:39]
	v_lshrrev_b32_e32 v51, 3, v42
	v_sub_u32_e32 v45, 29, v52
	v_and_b32_e32 v44, 7, v44
	v_cmp_gt_u32_e32 vcc, 8, v42
	v_cndmask_b32_e32 v42, v51, v45, vcc
	v_cndmask_b32_e32 v44, v50, v44, vcc
	v_lshlrev_b32_e32 v45, 24, v38
	v_bfrev_b32_e32 v50, 60
	v_lshlrev_b32_e32 v44, 20, v44
	v_and_b32_e32 v45, 0x80000000, v45
	v_lshl_add_u32 v42, v42, 23, v50
	v_or3_b32 v42, v45, v42, v44
	v_lshrrev_b32_e32 v44, 16, v42
.LBB862_111:
	s_or_b64 exec, exec, s[12:13]
.LBB862_112:
	s_or_b64 exec, exec, s[10:11]
.LBB862_113:
	s_or_b64 exec, exec, s[2:3]
	v_lshrrev_b16_e32 v42, 8, v38
	v_cmp_ne_u16_e32 vcc, 0, v42
	s_and_saveexec_b64 s[2:3], vcc
	s_cbranch_execz .LBB862_119
; %bb.114:
	s_movk_i32 s10, 0x80
	v_cmp_ne_u16_e32 vcc, s10, v42
	v_mov_b32_e32 v43, 0xffff8000
	s_and_saveexec_b64 s[10:11], vcc
	s_cbranch_execz .LBB862_118
; %bb.115:
	s_movk_i32 s12, 0x7f
	v_and_b32_e32 v45, 0x7f, v42
	v_cmp_ne_u32_e32 vcc, s12, v45
	v_mov_b32_e32 v43, 0x7f80
	s_and_saveexec_b64 s[12:13], vcc
	s_cbranch_execz .LBB862_117
; %bb.116:
	v_and_b32_e32 v50, 7, v42
	v_ffbh_u32_e32 v43, v50
	v_min_u32_e32 v52, 32, v43
	v_subrev_u32_e32 v43, 28, v52
	v_lshlrev_b64 v[42:43], v43, v[42:43]
	v_lshrrev_b32_e32 v51, 3, v45
	v_sub_u32_e32 v43, 29, v52
	v_and_b32_e32 v42, 7, v42
	v_cmp_gt_u32_e32 vcc, 8, v45
	v_cndmask_b32_e32 v43, v51, v43, vcc
	v_cndmask_b32_e32 v42, v50, v42, vcc
	v_lshlrev_b32_e32 v45, 16, v38
	v_bfrev_b32_e32 v50, 60
	v_lshlrev_b32_e32 v42, 20, v42
	v_and_b32_e32 v45, 0x80000000, v45
	v_lshl_add_u32 v43, v43, 23, v50
	v_or3_b32 v42, v45, v43, v42
	v_lshrrev_b32_e32 v43, 16, v42
.LBB862_117:
	s_or_b64 exec, exec, s[12:13]
.LBB862_118:
	s_or_b64 exec, exec, s[10:11]
.LBB862_119:
	s_or_b64 exec, exec, s[2:3]
	s_movk_i32 s2, 0xff
	v_and_b32_sdwa v51, v38, s2 dst_sel:DWORD dst_unused:UNUSED_PAD src0_sel:WORD_1 src1_sel:DWORD
	v_lshrrev_b32_e32 v42, 16, v38
	v_cmp_ne_u16_e32 vcc, 0, v51
	v_mov_b32_e32 v45, 0
	v_mov_b32_e32 v50, 0
	s_and_saveexec_b64 s[2:3], vcc
	s_cbranch_execz .LBB862_125
; %bb.120:
	s_movk_i32 s10, 0x80
	v_cmp_ne_u16_e32 vcc, s10, v51
	v_mov_b32_e32 v50, 0xffff8000
	s_and_saveexec_b64 s[10:11], vcc
	s_cbranch_execz .LBB862_124
; %bb.121:
	v_bfe_u32 v51, v38, 16, 7
	s_movk_i32 s12, 0x7f
	v_cmp_ne_u32_e32 vcc, s12, v51
	v_mov_b32_e32 v50, 0x7f80
	s_and_saveexec_b64 s[12:13], vcc
	s_cbranch_execz .LBB862_123
; %bb.122:
	v_and_b32_e32 v50, 7, v42
	v_ffbh_u32_e32 v52, v50
	v_min_u32_e32 v55, 32, v52
	v_subrev_u32_e32 v52, 28, v55
	v_lshlrev_b64 v[52:53], v52, v[42:43]
	v_lshrrev_b32_e32 v54, 3, v51
	v_sub_u32_e32 v42, 29, v55
	v_and_b32_e32 v52, 7, v52
	v_cmp_gt_u32_e32 vcc, 8, v51
	v_mov_b32_e32 v51, 24
	v_cndmask_b32_e32 v42, v54, v42, vcc
	v_cndmask_b32_e32 v50, v50, v52, vcc
	v_lshlrev_b32_sdwa v51, v51, v38 dst_sel:DWORD dst_unused:UNUSED_PAD src0_sel:DWORD src1_sel:WORD_1
	v_bfrev_b32_e32 v52, 60
	v_lshlrev_b32_e32 v50, 20, v50
	v_and_b32_e32 v51, 0x80000000, v51
	v_lshl_add_u32 v42, v42, 23, v52
	v_or3_b32 v42, v51, v42, v50
	v_lshrrev_b32_e32 v50, 16, v42
.LBB862_123:
	s_or_b64 exec, exec, s[12:13]
.LBB862_124:
	s_or_b64 exec, exec, s[10:11]
.LBB862_125:
	s_or_b64 exec, exec, s[2:3]
	s_mov_b32 s2, 0xffffff
	v_cmp_lt_u32_e32 vcc, s2, v38
	s_and_saveexec_b64 s[2:3], vcc
	s_cbranch_execz .LBB862_131
; %bb.126:
	v_lshrrev_b32_e32 v42, 24, v38
	s_movk_i32 s10, 0x80
	v_cmp_ne_u32_e32 vcc, s10, v42
	v_mov_b32_e32 v45, 0xffff8000
	s_and_saveexec_b64 s[10:11], vcc
	s_cbranch_execz .LBB862_130
; %bb.127:
	v_bfe_u32 v38, v38, 24, 7
	s_movk_i32 s12, 0x7f
	v_cmp_ne_u32_e32 vcc, s12, v38
	v_mov_b32_e32 v45, 0x7f80
	s_and_saveexec_b64 s[12:13], vcc
	s_cbranch_execz .LBB862_129
; %bb.128:
	v_and_b32_e32 v45, 7, v42
	v_ffbh_u32_e32 v52, v45
	v_min_u32_e32 v54, 32, v52
	v_subrev_u32_e32 v52, 28, v54
	v_lshlrev_b64 v[52:53], v52, v[42:43]
	v_lshrrev_b32_e32 v51, 3, v38
	v_sub_u32_e32 v53, 29, v54
	v_and_b32_e32 v52, 7, v52
	v_cmp_gt_u32_e32 vcc, 8, v38
	v_cndmask_b32_e32 v38, v51, v53, vcc
	v_cndmask_b32_e32 v45, v45, v52, vcc
	v_lshlrev_b32_e32 v42, 24, v42
	v_bfrev_b32_e32 v51, 60
	v_lshlrev_b32_e32 v45, 20, v45
	v_and_b32_e32 v42, 0x80000000, v42
	v_lshl_add_u32 v38, v38, 23, v51
	v_or3_b32 v38, v42, v38, v45
	v_lshrrev_b32_e32 v45, 16, v38
.LBB862_129:
	s_or_b64 exec, exec, s[12:13]
.LBB862_130:
	s_or_b64 exec, exec, s[10:11]
.LBB862_131:
	s_or_b64 exec, exec, s[2:3]
	v_mov_b32_e32 v42, 0
	v_cmp_ne_u16_sdwa s[10:11], v39, v42 src0_sel:BYTE_0 src1_sel:DWORD
	v_mov_b32_e32 v51, 0
	s_and_saveexec_b64 s[2:3], s[10:11]
	s_cbranch_execz .LBB862_137
; %bb.132:
	s_movk_i32 s10, 0x80
	v_cmp_ne_u16_sdwa s[12:13], v39, s10 src0_sel:BYTE_0 src1_sel:DWORD
	v_mov_b32_e32 v51, 0xffff8000
	s_and_saveexec_b64 s[10:11], s[12:13]
	s_cbranch_execz .LBB862_136
; %bb.133:
	s_movk_i32 s12, 0x7f
	v_and_b32_e32 v38, 0x7f, v39
	v_cmp_ne_u32_e32 vcc, s12, v38
	v_mov_b32_e32 v51, 0x7f80
	s_and_saveexec_b64 s[12:13], vcc
	s_cbranch_execz .LBB862_135
; %bb.134:
	v_and_b32_e32 v51, 7, v39
	v_ffbh_u32_e32 v53, v51
	v_min_u32_e32 v55, 32, v53
	v_mov_b32_e32 v52, v39
	v_subrev_u32_e32 v53, 28, v55
	v_lshlrev_b64 v[52:53], v53, v[52:53]
	v_lshrrev_b32_e32 v54, 3, v38
	v_sub_u32_e32 v53, 29, v55
	v_and_b32_e32 v52, 7, v52
	v_cmp_gt_u32_e32 vcc, 8, v38
	v_cndmask_b32_e32 v38, v54, v53, vcc
	v_cndmask_b32_e32 v51, v51, v52, vcc
	v_lshlrev_b32_e32 v52, 24, v39
	v_bfrev_b32_e32 v53, 60
	v_lshlrev_b32_e32 v51, 20, v51
	v_and_b32_e32 v52, 0x80000000, v52
	v_lshl_add_u32 v38, v38, 23, v53
	v_or3_b32 v38, v52, v38, v51
	v_lshrrev_b32_e32 v51, 16, v38
.LBB862_135:
	s_or_b64 exec, exec, s[12:13]
.LBB862_136:
	s_or_b64 exec, exec, s[10:11]
.LBB862_137:
	s_or_b64 exec, exec, s[2:3]
	v_lshrrev_b16_e32 v38, 8, v39
	v_cmp_ne_u16_e32 vcc, 0, v38
	s_and_saveexec_b64 s[2:3], vcc
	s_cbranch_execz .LBB862_143
; %bb.138:
	s_movk_i32 s10, 0x80
	v_cmp_ne_u16_e32 vcc, s10, v38
	v_mov_b32_e32 v42, 0xffff8000
	s_and_saveexec_b64 s[10:11], vcc
	s_cbranch_execz .LBB862_142
; %bb.139:
	s_movk_i32 s12, 0x7f
	v_and_b32_e32 v52, 0x7f, v38
	v_cmp_ne_u32_e32 vcc, s12, v52
	v_mov_b32_e32 v42, 0x7f80
	s_and_saveexec_b64 s[12:13], vcc
	s_cbranch_execz .LBB862_141
; %bb.140:
	v_and_b32_e32 v42, 7, v38
	v_ffbh_u32_e32 v54, v42
	v_min_u32_e32 v56, 32, v54
	v_subrev_u32_e32 v54, 28, v56
	v_lshlrev_b64 v[54:55], v54, v[38:39]
	v_lshrrev_b32_e32 v53, 3, v52
	v_sub_u32_e32 v38, 29, v56
	v_and_b32_e32 v54, 7, v54
	v_cmp_gt_u32_e32 vcc, 8, v52
	v_cndmask_b32_e32 v38, v53, v38, vcc
	v_cndmask_b32_e32 v42, v42, v54, vcc
	v_lshlrev_b32_e32 v52, 16, v39
	v_bfrev_b32_e32 v53, 60
	v_lshlrev_b32_e32 v42, 20, v42
	v_and_b32_e32 v52, 0x80000000, v52
	v_lshl_add_u32 v38, v38, 23, v53
	v_or3_b32 v38, v52, v38, v42
	v_lshrrev_b32_e32 v42, 16, v38
.LBB862_141:
	s_or_b64 exec, exec, s[12:13]
.LBB862_142:
	s_or_b64 exec, exec, s[10:11]
.LBB862_143:
	s_or_b64 exec, exec, s[2:3]
	s_movk_i32 s2, 0xff
	v_and_b32_sdwa v54, v39, s2 dst_sel:DWORD dst_unused:UNUSED_PAD src0_sel:WORD_1 src1_sel:DWORD
	v_lshrrev_b32_e32 v38, 16, v39
	v_cmp_ne_u16_e32 vcc, 0, v54
	v_mov_b32_e32 v52, 0
	v_mov_b32_e32 v53, 0
	s_and_saveexec_b64 s[2:3], vcc
	s_cbranch_execz .LBB862_149
; %bb.144:
	s_movk_i32 s10, 0x80
	v_cmp_ne_u16_e32 vcc, s10, v54
	v_mov_b32_e32 v53, 0xffff8000
	s_and_saveexec_b64 s[10:11], vcc
	s_cbranch_execz .LBB862_148
; %bb.145:
	v_bfe_u32 v54, v39, 16, 7
	s_movk_i32 s12, 0x7f
	v_cmp_ne_u32_e32 vcc, s12, v54
	v_mov_b32_e32 v53, 0x7f80
	s_and_saveexec_b64 s[12:13], vcc
	s_cbranch_execz .LBB862_147
; %bb.146:
	v_and_b32_e32 v53, 7, v38
	v_ffbh_u32_e32 v56, v53
	v_min_u32_e32 v58, 32, v56
	v_subrev_u32_e32 v56, 28, v58
	v_lshlrev_b64 v[56:57], v56, v[38:39]
	v_lshrrev_b32_e32 v55, 3, v54
	v_sub_u32_e32 v38, 29, v58
	v_and_b32_e32 v56, 7, v56
	v_cmp_gt_u32_e32 vcc, 8, v54
	v_mov_b32_e32 v54, 24
	v_cndmask_b32_e32 v38, v55, v38, vcc
	v_cndmask_b32_e32 v53, v53, v56, vcc
	v_lshlrev_b32_sdwa v54, v54, v39 dst_sel:DWORD dst_unused:UNUSED_PAD src0_sel:DWORD src1_sel:WORD_1
	v_bfrev_b32_e32 v55, 60
	v_lshlrev_b32_e32 v53, 20, v53
	v_and_b32_e32 v54, 0x80000000, v54
	v_lshl_add_u32 v38, v38, 23, v55
	v_or3_b32 v38, v54, v38, v53
	v_lshrrev_b32_e32 v53, 16, v38
.LBB862_147:
	s_or_b64 exec, exec, s[12:13]
.LBB862_148:
	s_or_b64 exec, exec, s[10:11]
.LBB862_149:
	s_or_b64 exec, exec, s[2:3]
	s_mov_b32 s2, 0xffffff
	v_cmp_lt_u32_e32 vcc, s2, v39
	s_and_saveexec_b64 s[2:3], vcc
	s_cbranch_execz .LBB862_155
; %bb.150:
	v_lshrrev_b32_e32 v38, 24, v39
	s_movk_i32 s10, 0x80
	v_cmp_ne_u32_e32 vcc, s10, v38
	v_mov_b32_e32 v52, 0xffff8000
	s_and_saveexec_b64 s[10:11], vcc
	s_cbranch_execz .LBB862_154
; %bb.151:
	v_bfe_u32 v39, v39, 24, 7
	s_movk_i32 s12, 0x7f
	v_cmp_ne_u32_e32 vcc, s12, v39
	v_mov_b32_e32 v52, 0x7f80
	s_and_saveexec_b64 s[12:13], vcc
	s_cbranch_execz .LBB862_153
; %bb.152:
	v_and_b32_e32 v52, 7, v38
	v_ffbh_u32_e32 v54, v52
	v_min_u32_e32 v57, 32, v54
	v_subrev_u32_e32 v54, 28, v57
	v_lshlrev_b64 v[54:55], v54, v[38:39]
	v_lshrrev_b32_e32 v56, 3, v39
	v_sub_u32_e32 v55, 29, v57
	v_and_b32_e32 v54, 7, v54
	v_cmp_gt_u32_e32 vcc, 8, v39
	v_cndmask_b32_e32 v39, v56, v55, vcc
	v_cndmask_b32_e32 v52, v52, v54, vcc
	v_lshlrev_b32_e32 v38, 24, v38
	v_bfrev_b32_e32 v54, 60
	v_lshlrev_b32_e32 v52, 20, v52
	v_and_b32_e32 v38, 0x80000000, v38
	v_lshl_add_u32 v39, v39, 23, v54
	v_or3_b32 v38, v38, v39, v52
	v_lshrrev_b32_e32 v52, 16, v38
.LBB862_153:
	s_or_b64 exec, exec, s[12:13]
.LBB862_154:
	s_or_b64 exec, exec, s[10:11]
.LBB862_155:
	s_or_b64 exec, exec, s[2:3]
	s_mov_b32 s2, 0x5040100
	v_perm_b32 v39, v45, v50, s2
	v_perm_b32 v38, v43, v44, s2
	;; [unrolled: 1-line block ×4, first 2 shown]
	v_mov_b32_e32 v50, 0
	v_mfma_f32_16x16x16bf16_1k v[54:57], v[38:39], v[26:27], 0
	v_mov_b32_e32 v39, 0
	v_cmp_ne_u16_sdwa s[10:11], v40, v39 src0_sel:BYTE_0 src1_sel:DWORD
	v_mfma_f32_16x16x16bf16_1k v[42:45], v[42:43], v[28:29], v[54:57]
	s_and_saveexec_b64 s[2:3], s[10:11]
	s_cbranch_execz .LBB862_161
; %bb.156:
	s_movk_i32 s10, 0x80
	v_cmp_ne_u16_sdwa s[12:13], v40, s10 src0_sel:BYTE_0 src1_sel:DWORD
	v_mov_b32_e32 v50, 0xffff8000
	s_and_saveexec_b64 s[10:11], s[12:13]
	s_cbranch_execz .LBB862_160
; %bb.157:
	s_movk_i32 s12, 0x7f
	v_and_b32_e32 v38, 0x7f, v40
	v_cmp_ne_u32_e32 vcc, s12, v38
	v_mov_b32_e32 v50, 0x7f80
	s_and_saveexec_b64 s[12:13], vcc
	s_cbranch_execz .LBB862_159
; %bb.158:
	v_and_b32_e32 v52, 7, v40
	v_ffbh_u32_e32 v50, v52
	v_min_u32_e32 v54, 32, v50
	v_subrev_u32_e32 v50, 28, v54
	v_lshlrev_b64 v[50:51], v50, v[40:41]
	v_lshrrev_b32_e32 v53, 3, v38
	v_sub_u32_e32 v51, 29, v54
	v_and_b32_e32 v50, 7, v50
	v_cmp_gt_u32_e32 vcc, 8, v38
	v_cndmask_b32_e32 v38, v53, v51, vcc
	v_cndmask_b32_e32 v50, v52, v50, vcc
	v_lshlrev_b32_e32 v51, 24, v40
	v_bfrev_b32_e32 v52, 60
	v_lshlrev_b32_e32 v50, 20, v50
	v_and_b32_e32 v51, 0x80000000, v51
	v_lshl_add_u32 v38, v38, 23, v52
	v_or3_b32 v38, v51, v38, v50
	v_lshrrev_b32_e32 v50, 16, v38
.LBB862_159:
	s_or_b64 exec, exec, s[12:13]
.LBB862_160:
	s_or_b64 exec, exec, s[10:11]
.LBB862_161:
	s_or_b64 exec, exec, s[2:3]
	v_lshrrev_b16_e32 v38, 8, v40
	v_cmp_ne_u16_e32 vcc, 0, v38
	s_and_saveexec_b64 s[2:3], vcc
	s_cbranch_execz .LBB862_167
; %bb.162:
	s_movk_i32 s10, 0x80
	v_cmp_ne_u16_e32 vcc, s10, v38
	v_mov_b32_e32 v39, 0xffff8000
	s_and_saveexec_b64 s[10:11], vcc
	s_cbranch_execz .LBB862_166
; %bb.163:
	s_movk_i32 s12, 0x7f
	v_and_b32_e32 v51, 0x7f, v38
	v_cmp_ne_u32_e32 vcc, s12, v51
	v_mov_b32_e32 v39, 0x7f80
	s_and_saveexec_b64 s[12:13], vcc
	s_cbranch_execz .LBB862_165
; %bb.164:
	v_and_b32_e32 v52, 7, v38
	v_ffbh_u32_e32 v39, v52
	v_min_u32_e32 v54, 32, v39
	v_subrev_u32_e32 v39, 28, v54
	v_lshlrev_b64 v[38:39], v39, v[38:39]
	v_lshrrev_b32_e32 v53, 3, v51
	v_sub_u32_e32 v39, 29, v54
	v_and_b32_e32 v38, 7, v38
	v_cmp_gt_u32_e32 vcc, 8, v51
	v_cndmask_b32_e32 v39, v53, v39, vcc
	v_cndmask_b32_e32 v38, v52, v38, vcc
	v_lshlrev_b32_e32 v51, 16, v40
	v_bfrev_b32_e32 v52, 60
	v_lshlrev_b32_e32 v38, 20, v38
	v_and_b32_e32 v51, 0x80000000, v51
	v_lshl_add_u32 v39, v39, 23, v52
	v_or3_b32 v38, v51, v39, v38
	v_lshrrev_b32_e32 v39, 16, v38
.LBB862_165:
	s_or_b64 exec, exec, s[12:13]
.LBB862_166:
	s_or_b64 exec, exec, s[10:11]
.LBB862_167:
	s_or_b64 exec, exec, s[2:3]
	s_movk_i32 s2, 0xff
	v_and_b32_sdwa v53, v40, s2 dst_sel:DWORD dst_unused:UNUSED_PAD src0_sel:WORD_1 src1_sel:DWORD
	v_lshrrev_b32_e32 v38, 16, v40
	v_cmp_ne_u16_e32 vcc, 0, v53
	v_mov_b32_e32 v51, 0
	v_mov_b32_e32 v52, 0
	s_and_saveexec_b64 s[2:3], vcc
	s_cbranch_execz .LBB862_173
; %bb.168:
	s_movk_i32 s10, 0x80
	v_cmp_ne_u16_e32 vcc, s10, v53
	v_mov_b32_e32 v52, 0xffff8000
	s_and_saveexec_b64 s[10:11], vcc
	s_cbranch_execz .LBB862_172
; %bb.169:
	v_bfe_u32 v53, v40, 16, 7
	s_movk_i32 s12, 0x7f
	v_cmp_ne_u32_e32 vcc, s12, v53
	v_mov_b32_e32 v52, 0x7f80
	s_and_saveexec_b64 s[12:13], vcc
	s_cbranch_execz .LBB862_171
; %bb.170:
	v_and_b32_e32 v52, 7, v38
	v_ffbh_u32_e32 v54, v52
	v_min_u32_e32 v57, 32, v54
	v_subrev_u32_e32 v54, 28, v57
	v_lshlrev_b64 v[54:55], v54, v[38:39]
	v_lshrrev_b32_e32 v56, 3, v53
	v_sub_u32_e32 v38, 29, v57
	v_and_b32_e32 v54, 7, v54
	v_cmp_gt_u32_e32 vcc, 8, v53
	v_mov_b32_e32 v53, 24
	v_cndmask_b32_e32 v38, v56, v38, vcc
	v_cndmask_b32_e32 v52, v52, v54, vcc
	v_lshlrev_b32_sdwa v53, v53, v40 dst_sel:DWORD dst_unused:UNUSED_PAD src0_sel:DWORD src1_sel:WORD_1
	v_bfrev_b32_e32 v54, 60
	v_lshlrev_b32_e32 v52, 20, v52
	v_and_b32_e32 v53, 0x80000000, v53
	v_lshl_add_u32 v38, v38, 23, v54
	v_or3_b32 v38, v53, v38, v52
	v_lshrrev_b32_e32 v52, 16, v38
.LBB862_171:
	s_or_b64 exec, exec, s[12:13]
.LBB862_172:
	s_or_b64 exec, exec, s[10:11]
.LBB862_173:
	s_or_b64 exec, exec, s[2:3]
	s_mov_b32 s2, 0xffffff
	v_cmp_lt_u32_e32 vcc, s2, v40
	s_and_saveexec_b64 s[2:3], vcc
	s_cbranch_execz .LBB862_179
; %bb.174:
	v_lshrrev_b32_e32 v38, 24, v40
	s_movk_i32 s10, 0x80
	v_cmp_ne_u32_e32 vcc, s10, v38
	v_mov_b32_e32 v51, 0xffff8000
	s_and_saveexec_b64 s[10:11], vcc
	s_cbranch_execz .LBB862_178
; %bb.175:
	v_bfe_u32 v40, v40, 24, 7
	s_movk_i32 s12, 0x7f
	v_cmp_ne_u32_e32 vcc, s12, v40
	v_mov_b32_e32 v51, 0x7f80
	s_and_saveexec_b64 s[12:13], vcc
	s_cbranch_execz .LBB862_177
; %bb.176:
	v_and_b32_e32 v51, 7, v38
	v_ffbh_u32_e32 v54, v51
	v_min_u32_e32 v56, 32, v54
	v_subrev_u32_e32 v54, 28, v56
	v_lshlrev_b64 v[54:55], v54, v[38:39]
	v_lshrrev_b32_e32 v53, 3, v40
	v_sub_u32_e32 v55, 29, v56
	v_and_b32_e32 v54, 7, v54
	v_cmp_gt_u32_e32 vcc, 8, v40
	v_cndmask_b32_e32 v40, v53, v55, vcc
	v_cndmask_b32_e32 v51, v51, v54, vcc
	v_lshlrev_b32_e32 v38, 24, v38
	v_bfrev_b32_e32 v53, 60
	v_lshlrev_b32_e32 v51, 20, v51
	v_and_b32_e32 v38, 0x80000000, v38
	v_lshl_add_u32 v40, v40, 23, v53
	v_or3_b32 v38, v38, v40, v51
	v_lshrrev_b32_e32 v51, 16, v38
.LBB862_177:
	s_or_b64 exec, exec, s[12:13]
.LBB862_178:
	s_or_b64 exec, exec, s[10:11]
.LBB862_179:
	s_or_b64 exec, exec, s[2:3]
	v_mov_b32_e32 v40, 0
	v_cmp_ne_u16_sdwa s[10:11], v41, v40 src0_sel:BYTE_0 src1_sel:DWORD
	v_mov_b32_e32 v53, 0
	s_and_saveexec_b64 s[2:3], s[10:11]
	s_cbranch_execz .LBB862_185
; %bb.180:
	s_movk_i32 s10, 0x80
	v_cmp_ne_u16_sdwa s[12:13], v41, s10 src0_sel:BYTE_0 src1_sel:DWORD
	v_mov_b32_e32 v53, 0xffff8000
	s_and_saveexec_b64 s[10:11], s[12:13]
	s_cbranch_execz .LBB862_184
; %bb.181:
	s_movk_i32 s12, 0x7f
	v_and_b32_e32 v38, 0x7f, v41
	v_cmp_ne_u32_e32 vcc, s12, v38
	v_mov_b32_e32 v53, 0x7f80
	s_and_saveexec_b64 s[12:13], vcc
	s_cbranch_execz .LBB862_183
; %bb.182:
	v_and_b32_e32 v53, 7, v41
	v_ffbh_u32_e32 v55, v53
	v_min_u32_e32 v57, 32, v55
	v_mov_b32_e32 v54, v41
	v_subrev_u32_e32 v55, 28, v57
	v_lshlrev_b64 v[54:55], v55, v[54:55]
	v_lshrrev_b32_e32 v56, 3, v38
	v_sub_u32_e32 v55, 29, v57
	v_and_b32_e32 v54, 7, v54
	v_cmp_gt_u32_e32 vcc, 8, v38
	v_cndmask_b32_e32 v38, v56, v55, vcc
	v_cndmask_b32_e32 v53, v53, v54, vcc
	v_lshlrev_b32_e32 v54, 24, v41
	v_bfrev_b32_e32 v55, 60
	v_lshlrev_b32_e32 v53, 20, v53
	v_and_b32_e32 v54, 0x80000000, v54
	v_lshl_add_u32 v38, v38, 23, v55
	v_or3_b32 v38, v54, v38, v53
	v_lshrrev_b32_e32 v53, 16, v38
.LBB862_183:
	s_or_b64 exec, exec, s[12:13]
.LBB862_184:
	s_or_b64 exec, exec, s[10:11]
.LBB862_185:
	s_or_b64 exec, exec, s[2:3]
	v_lshrrev_b16_e32 v38, 8, v41
	v_cmp_ne_u16_e32 vcc, 0, v38
	s_and_saveexec_b64 s[2:3], vcc
	s_cbranch_execz .LBB862_191
; %bb.186:
	s_movk_i32 s10, 0x80
	v_cmp_ne_u16_e32 vcc, s10, v38
	v_mov_b32_e32 v40, 0xffff8000
	s_and_saveexec_b64 s[10:11], vcc
	s_cbranch_execz .LBB862_190
; %bb.187:
	s_movk_i32 s12, 0x7f
	v_and_b32_e32 v54, 0x7f, v38
	v_cmp_ne_u32_e32 vcc, s12, v54
	v_mov_b32_e32 v40, 0x7f80
	s_and_saveexec_b64 s[12:13], vcc
	s_cbranch_execz .LBB862_189
; %bb.188:
	v_and_b32_e32 v40, 7, v38
	v_ffbh_u32_e32 v56, v40
	v_min_u32_e32 v58, 32, v56
	v_subrev_u32_e32 v56, 28, v58
	v_lshlrev_b64 v[56:57], v56, v[38:39]
	v_lshrrev_b32_e32 v55, 3, v54
	v_sub_u32_e32 v38, 29, v58
	v_and_b32_e32 v56, 7, v56
	v_cmp_gt_u32_e32 vcc, 8, v54
	v_cndmask_b32_e32 v38, v55, v38, vcc
	v_cndmask_b32_e32 v40, v40, v56, vcc
	v_lshlrev_b32_e32 v54, 16, v41
	v_bfrev_b32_e32 v55, 60
	v_lshlrev_b32_e32 v40, 20, v40
	v_and_b32_e32 v54, 0x80000000, v54
	v_lshl_add_u32 v38, v38, 23, v55
	v_or3_b32 v38, v54, v38, v40
	v_lshrrev_b32_e32 v40, 16, v38
.LBB862_189:
	s_or_b64 exec, exec, s[12:13]
.LBB862_190:
	s_or_b64 exec, exec, s[10:11]
.LBB862_191:
	s_or_b64 exec, exec, s[2:3]
	s_movk_i32 s2, 0xff
	v_and_b32_sdwa v56, v41, s2 dst_sel:DWORD dst_unused:UNUSED_PAD src0_sel:WORD_1 src1_sel:DWORD
	v_lshrrev_b32_e32 v38, 16, v41
	v_cmp_ne_u16_e32 vcc, 0, v56
	v_mov_b32_e32 v54, 0
	v_mov_b32_e32 v55, 0
	s_and_saveexec_b64 s[2:3], vcc
	s_cbranch_execz .LBB862_197
; %bb.192:
	s_movk_i32 s10, 0x80
	v_cmp_ne_u16_e32 vcc, s10, v56
	v_mov_b32_e32 v55, 0xffff8000
	s_and_saveexec_b64 s[10:11], vcc
	s_cbranch_execz .LBB862_196
; %bb.193:
	v_bfe_u32 v56, v41, 16, 7
	s_movk_i32 s12, 0x7f
	v_cmp_ne_u32_e32 vcc, s12, v56
	v_mov_b32_e32 v55, 0x7f80
	s_and_saveexec_b64 s[12:13], vcc
	s_cbranch_execz .LBB862_195
; %bb.194:
	v_and_b32_e32 v55, 7, v38
	v_ffbh_u32_e32 v58, v55
	v_min_u32_e32 v60, 32, v58
	v_subrev_u32_e32 v58, 28, v60
	v_lshlrev_b64 v[58:59], v58, v[38:39]
	v_lshrrev_b32_e32 v57, 3, v56
	v_sub_u32_e32 v38, 29, v60
	v_and_b32_e32 v58, 7, v58
	v_cmp_gt_u32_e32 vcc, 8, v56
	v_mov_b32_e32 v56, 24
	v_cndmask_b32_e32 v38, v57, v38, vcc
	v_cndmask_b32_e32 v55, v55, v58, vcc
	v_lshlrev_b32_sdwa v56, v56, v41 dst_sel:DWORD dst_unused:UNUSED_PAD src0_sel:DWORD src1_sel:WORD_1
	v_bfrev_b32_e32 v57, 60
	v_lshlrev_b32_e32 v55, 20, v55
	v_and_b32_e32 v56, 0x80000000, v56
	v_lshl_add_u32 v38, v38, 23, v57
	v_or3_b32 v38, v56, v38, v55
	v_lshrrev_b32_e32 v55, 16, v38
.LBB862_195:
	s_or_b64 exec, exec, s[12:13]
.LBB862_196:
	s_or_b64 exec, exec, s[10:11]
.LBB862_197:
	s_or_b64 exec, exec, s[2:3]
	s_mov_b32 s2, 0xffffff
	v_cmp_lt_u32_e32 vcc, s2, v41
	s_and_saveexec_b64 s[2:3], vcc
	s_cbranch_execz .LBB862_203
; %bb.198:
	v_lshrrev_b32_e32 v38, 24, v41
	s_movk_i32 s10, 0x80
	v_cmp_ne_u32_e32 vcc, s10, v38
	v_mov_b32_e32 v54, 0xffff8000
	s_and_saveexec_b64 s[10:11], vcc
	s_cbranch_execz .LBB862_202
; %bb.199:
	v_bfe_u32 v41, v41, 24, 7
	s_movk_i32 s12, 0x7f
	v_cmp_ne_u32_e32 vcc, s12, v41
	v_mov_b32_e32 v54, 0x7f80
	s_and_saveexec_b64 s[12:13], vcc
	s_cbranch_execz .LBB862_201
; %bb.200:
	v_and_b32_e32 v54, 7, v38
	v_ffbh_u32_e32 v56, v54
	v_min_u32_e32 v59, 32, v56
	v_subrev_u32_e32 v56, 28, v59
	v_lshlrev_b64 v[56:57], v56, v[38:39]
	v_lshrrev_b32_e32 v58, 3, v41
	v_sub_u32_e32 v57, 29, v59
	v_and_b32_e32 v56, 7, v56
	v_cmp_gt_u32_e32 vcc, 8, v41
	v_cndmask_b32_e32 v41, v58, v57, vcc
	v_cndmask_b32_e32 v54, v54, v56, vcc
	v_lshlrev_b32_e32 v38, 24, v38
	v_bfrev_b32_e32 v56, 60
	v_lshlrev_b32_e32 v54, 20, v54
	v_and_b32_e32 v38, 0x80000000, v38
	v_lshl_add_u32 v41, v41, 23, v56
	v_or3_b32 v38, v38, v41, v54
	v_lshrrev_b32_e32 v54, 16, v38
.LBB862_201:
	s_or_b64 exec, exec, s[12:13]
.LBB862_202:
	s_or_b64 exec, exec, s[10:11]
.LBB862_203:
	s_or_b64 exec, exec, s[2:3]
	s_mov_b32 s2, 0x5040100
	v_perm_b32 v51, v51, v52, s2
	v_perm_b32 v50, v39, v50, s2
	;; [unrolled: 1-line block ×4, first 2 shown]
	v_mfma_f32_16x16x16bf16_1k v[56:59], v[50:51], v[18:19], v[42:45]
	s_nop 6
	v_mov_b32_e32 v43, 0
	s_waitcnt vmcnt(5)
	v_cmp_ne_u16_sdwa s[10:11], v34, v43 src0_sel:BYTE_0 src1_sel:DWORD
	v_mfma_f32_16x16x16bf16_1k v[38:41], v[38:39], v[20:21], v[56:59]
	v_mov_b32_e32 v44, 0
	s_and_saveexec_b64 s[2:3], s[10:11]
	s_cbranch_execz .LBB862_209
; %bb.204:
	s_movk_i32 s10, 0x80
	v_cmp_ne_u16_sdwa s[12:13], v34, s10 src0_sel:BYTE_0 src1_sel:DWORD
	v_mov_b32_e32 v44, 0xffff8000
	s_and_saveexec_b64 s[10:11], s[12:13]
	s_cbranch_execz .LBB862_208
; %bb.205:
	s_movk_i32 s12, 0x7f
	v_and_b32_e32 v42, 0x7f, v34
	v_cmp_ne_u32_e32 vcc, s12, v42
	v_mov_b32_e32 v44, 0x7f80
	s_and_saveexec_b64 s[12:13], vcc
	s_cbranch_execz .LBB862_207
; %bb.206:
	v_and_b32_e32 v50, 7, v34
	v_ffbh_u32_e32 v44, v50
	v_min_u32_e32 v52, 32, v44
	v_subrev_u32_e32 v44, 28, v52
	v_lshlrev_b64 v[44:45], v44, v[34:35]
	v_lshrrev_b32_e32 v51, 3, v42
	v_sub_u32_e32 v45, 29, v52
	v_and_b32_e32 v44, 7, v44
	v_cmp_gt_u32_e32 vcc, 8, v42
	v_cndmask_b32_e32 v42, v51, v45, vcc
	v_cndmask_b32_e32 v44, v50, v44, vcc
	v_lshlrev_b32_e32 v45, 24, v34
	v_bfrev_b32_e32 v50, 60
	v_lshlrev_b32_e32 v44, 20, v44
	v_and_b32_e32 v45, 0x80000000, v45
	v_lshl_add_u32 v42, v42, 23, v50
	v_or3_b32 v42, v45, v42, v44
	v_lshrrev_b32_e32 v44, 16, v42
.LBB862_207:
	s_or_b64 exec, exec, s[12:13]
.LBB862_208:
	s_or_b64 exec, exec, s[10:11]
.LBB862_209:
	s_or_b64 exec, exec, s[2:3]
	v_lshrrev_b16_e32 v42, 8, v34
	v_cmp_ne_u16_e32 vcc, 0, v42
	s_and_saveexec_b64 s[2:3], vcc
	s_cbranch_execz .LBB862_215
; %bb.210:
	s_movk_i32 s10, 0x80
	v_cmp_ne_u16_e32 vcc, s10, v42
	v_mov_b32_e32 v43, 0xffff8000
	s_and_saveexec_b64 s[10:11], vcc
	s_cbranch_execz .LBB862_214
; %bb.211:
	s_movk_i32 s12, 0x7f
	v_and_b32_e32 v45, 0x7f, v42
	v_cmp_ne_u32_e32 vcc, s12, v45
	v_mov_b32_e32 v43, 0x7f80
	s_and_saveexec_b64 s[12:13], vcc
	s_cbranch_execz .LBB862_213
; %bb.212:
	v_and_b32_e32 v50, 7, v42
	v_ffbh_u32_e32 v43, v50
	v_min_u32_e32 v52, 32, v43
	v_subrev_u32_e32 v43, 28, v52
	v_lshlrev_b64 v[42:43], v43, v[42:43]
	v_lshrrev_b32_e32 v51, 3, v45
	v_sub_u32_e32 v43, 29, v52
	v_and_b32_e32 v42, 7, v42
	v_cmp_gt_u32_e32 vcc, 8, v45
	v_cndmask_b32_e32 v43, v51, v43, vcc
	v_cndmask_b32_e32 v42, v50, v42, vcc
	v_lshlrev_b32_e32 v45, 16, v34
	v_bfrev_b32_e32 v50, 60
	v_lshlrev_b32_e32 v42, 20, v42
	v_and_b32_e32 v45, 0x80000000, v45
	v_lshl_add_u32 v43, v43, 23, v50
	v_or3_b32 v42, v45, v43, v42
	v_lshrrev_b32_e32 v43, 16, v42
.LBB862_213:
	s_or_b64 exec, exec, s[12:13]
.LBB862_214:
	s_or_b64 exec, exec, s[10:11]
.LBB862_215:
	s_or_b64 exec, exec, s[2:3]
	s_movk_i32 s2, 0xff
	v_and_b32_sdwa v51, v34, s2 dst_sel:DWORD dst_unused:UNUSED_PAD src0_sel:WORD_1 src1_sel:DWORD
	v_lshrrev_b32_e32 v42, 16, v34
	v_cmp_ne_u16_e32 vcc, 0, v51
	v_mov_b32_e32 v45, 0
	v_mov_b32_e32 v50, 0
	s_and_saveexec_b64 s[2:3], vcc
	s_cbranch_execz .LBB862_221
; %bb.216:
	s_movk_i32 s10, 0x80
	v_cmp_ne_u16_e32 vcc, s10, v51
	v_mov_b32_e32 v50, 0xffff8000
	s_and_saveexec_b64 s[10:11], vcc
	s_cbranch_execz .LBB862_220
; %bb.217:
	v_bfe_u32 v51, v34, 16, 7
	s_movk_i32 s12, 0x7f
	v_cmp_ne_u32_e32 vcc, s12, v51
	v_mov_b32_e32 v50, 0x7f80
	s_and_saveexec_b64 s[12:13], vcc
	s_cbranch_execz .LBB862_219
; %bb.218:
	v_and_b32_e32 v50, 7, v42
	v_ffbh_u32_e32 v52, v50
	v_min_u32_e32 v55, 32, v52
	v_subrev_u32_e32 v52, 28, v55
	v_lshlrev_b64 v[52:53], v52, v[42:43]
	v_lshrrev_b32_e32 v54, 3, v51
	v_sub_u32_e32 v42, 29, v55
	v_and_b32_e32 v52, 7, v52
	v_cmp_gt_u32_e32 vcc, 8, v51
	v_mov_b32_e32 v51, 24
	v_cndmask_b32_e32 v42, v54, v42, vcc
	v_cndmask_b32_e32 v50, v50, v52, vcc
	v_lshlrev_b32_sdwa v51, v51, v34 dst_sel:DWORD dst_unused:UNUSED_PAD src0_sel:DWORD src1_sel:WORD_1
	v_bfrev_b32_e32 v52, 60
	v_lshlrev_b32_e32 v50, 20, v50
	v_and_b32_e32 v51, 0x80000000, v51
	v_lshl_add_u32 v42, v42, 23, v52
	v_or3_b32 v42, v51, v42, v50
	v_lshrrev_b32_e32 v50, 16, v42
.LBB862_219:
	s_or_b64 exec, exec, s[12:13]
.LBB862_220:
	s_or_b64 exec, exec, s[10:11]
.LBB862_221:
	s_or_b64 exec, exec, s[2:3]
	s_mov_b32 s2, 0xffffff
	v_cmp_lt_u32_e32 vcc, s2, v34
	s_and_saveexec_b64 s[2:3], vcc
	s_cbranch_execz .LBB862_227
; %bb.222:
	v_lshrrev_b32_e32 v42, 24, v34
	s_movk_i32 s10, 0x80
	v_cmp_ne_u32_e32 vcc, s10, v42
	v_mov_b32_e32 v45, 0xffff8000
	s_and_saveexec_b64 s[10:11], vcc
	s_cbranch_execz .LBB862_226
; %bb.223:
	v_bfe_u32 v34, v34, 24, 7
	s_movk_i32 s12, 0x7f
	v_cmp_ne_u32_e32 vcc, s12, v34
	v_mov_b32_e32 v45, 0x7f80
	s_and_saveexec_b64 s[12:13], vcc
	s_cbranch_execz .LBB862_225
; %bb.224:
	v_and_b32_e32 v45, 7, v42
	v_ffbh_u32_e32 v52, v45
	v_min_u32_e32 v54, 32, v52
	v_subrev_u32_e32 v52, 28, v54
	v_lshlrev_b64 v[52:53], v52, v[42:43]
	v_lshrrev_b32_e32 v51, 3, v34
	v_sub_u32_e32 v53, 29, v54
	v_and_b32_e32 v52, 7, v52
	v_cmp_gt_u32_e32 vcc, 8, v34
	v_cndmask_b32_e32 v34, v51, v53, vcc
	v_cndmask_b32_e32 v45, v45, v52, vcc
	v_lshlrev_b32_e32 v42, 24, v42
	v_bfrev_b32_e32 v51, 60
	v_lshlrev_b32_e32 v45, 20, v45
	v_and_b32_e32 v42, 0x80000000, v42
	v_lshl_add_u32 v34, v34, 23, v51
	v_or3_b32 v34, v42, v34, v45
	v_lshrrev_b32_e32 v45, 16, v34
.LBB862_225:
	s_or_b64 exec, exec, s[12:13]
.LBB862_226:
	s_or_b64 exec, exec, s[10:11]
.LBB862_227:
	s_or_b64 exec, exec, s[2:3]
	v_mov_b32_e32 v42, 0
	v_cmp_ne_u16_sdwa s[10:11], v35, v42 src0_sel:BYTE_0 src1_sel:DWORD
	v_mov_b32_e32 v51, 0
	s_and_saveexec_b64 s[2:3], s[10:11]
	s_cbranch_execz .LBB862_233
; %bb.228:
	s_movk_i32 s10, 0x80
	v_cmp_ne_u16_sdwa s[12:13], v35, s10 src0_sel:BYTE_0 src1_sel:DWORD
	v_mov_b32_e32 v51, 0xffff8000
	s_and_saveexec_b64 s[10:11], s[12:13]
	s_cbranch_execz .LBB862_232
; %bb.229:
	s_movk_i32 s12, 0x7f
	v_and_b32_e32 v34, 0x7f, v35
	v_cmp_ne_u32_e32 vcc, s12, v34
	v_mov_b32_e32 v51, 0x7f80
	s_and_saveexec_b64 s[12:13], vcc
	s_cbranch_execz .LBB862_231
; %bb.230:
	v_and_b32_e32 v51, 7, v35
	v_ffbh_u32_e32 v53, v51
	v_min_u32_e32 v55, 32, v53
	v_mov_b32_e32 v52, v35
	v_subrev_u32_e32 v53, 28, v55
	v_lshlrev_b64 v[52:53], v53, v[52:53]
	v_lshrrev_b32_e32 v54, 3, v34
	v_sub_u32_e32 v53, 29, v55
	v_and_b32_e32 v52, 7, v52
	v_cmp_gt_u32_e32 vcc, 8, v34
	v_cndmask_b32_e32 v34, v54, v53, vcc
	v_cndmask_b32_e32 v51, v51, v52, vcc
	v_lshlrev_b32_e32 v52, 24, v35
	v_bfrev_b32_e32 v53, 60
	v_lshlrev_b32_e32 v51, 20, v51
	v_and_b32_e32 v52, 0x80000000, v52
	v_lshl_add_u32 v34, v34, 23, v53
	v_or3_b32 v34, v52, v34, v51
	v_lshrrev_b32_e32 v51, 16, v34
.LBB862_231:
	s_or_b64 exec, exec, s[12:13]
.LBB862_232:
	s_or_b64 exec, exec, s[10:11]
.LBB862_233:
	s_or_b64 exec, exec, s[2:3]
	v_lshrrev_b16_e32 v34, 8, v35
	v_cmp_ne_u16_e32 vcc, 0, v34
	s_and_saveexec_b64 s[2:3], vcc
	s_cbranch_execz .LBB862_239
; %bb.234:
	s_movk_i32 s10, 0x80
	v_cmp_ne_u16_e32 vcc, s10, v34
	v_mov_b32_e32 v42, 0xffff8000
	s_and_saveexec_b64 s[10:11], vcc
	s_cbranch_execz .LBB862_238
; %bb.235:
	s_movk_i32 s12, 0x7f
	v_and_b32_e32 v52, 0x7f, v34
	v_cmp_ne_u32_e32 vcc, s12, v52
	v_mov_b32_e32 v42, 0x7f80
	s_and_saveexec_b64 s[12:13], vcc
	s_cbranch_execz .LBB862_237
; %bb.236:
	v_and_b32_e32 v42, 7, v34
	v_ffbh_u32_e32 v54, v42
	v_min_u32_e32 v56, 32, v54
	v_subrev_u32_e32 v54, 28, v56
	v_lshlrev_b64 v[54:55], v54, v[34:35]
	v_lshrrev_b32_e32 v53, 3, v52
	v_sub_u32_e32 v34, 29, v56
	v_and_b32_e32 v54, 7, v54
	v_cmp_gt_u32_e32 vcc, 8, v52
	v_cndmask_b32_e32 v34, v53, v34, vcc
	v_cndmask_b32_e32 v42, v42, v54, vcc
	v_lshlrev_b32_e32 v52, 16, v35
	v_bfrev_b32_e32 v53, 60
	v_lshlrev_b32_e32 v42, 20, v42
	v_and_b32_e32 v52, 0x80000000, v52
	v_lshl_add_u32 v34, v34, 23, v53
	v_or3_b32 v34, v52, v34, v42
	v_lshrrev_b32_e32 v42, 16, v34
.LBB862_237:
	s_or_b64 exec, exec, s[12:13]
.LBB862_238:
	s_or_b64 exec, exec, s[10:11]
.LBB862_239:
	s_or_b64 exec, exec, s[2:3]
	s_movk_i32 s2, 0xff
	v_and_b32_sdwa v54, v35, s2 dst_sel:DWORD dst_unused:UNUSED_PAD src0_sel:WORD_1 src1_sel:DWORD
	v_lshrrev_b32_e32 v34, 16, v35
	v_cmp_ne_u16_e32 vcc, 0, v54
	v_mov_b32_e32 v52, 0
	v_mov_b32_e32 v53, 0
	s_and_saveexec_b64 s[2:3], vcc
	s_cbranch_execz .LBB862_245
; %bb.240:
	s_movk_i32 s10, 0x80
	v_cmp_ne_u16_e32 vcc, s10, v54
	v_mov_b32_e32 v53, 0xffff8000
	s_and_saveexec_b64 s[10:11], vcc
	s_cbranch_execz .LBB862_244
; %bb.241:
	v_bfe_u32 v54, v35, 16, 7
	s_movk_i32 s12, 0x7f
	v_cmp_ne_u32_e32 vcc, s12, v54
	v_mov_b32_e32 v53, 0x7f80
	s_and_saveexec_b64 s[12:13], vcc
	s_cbranch_execz .LBB862_243
; %bb.242:
	v_and_b32_e32 v53, 7, v34
	v_ffbh_u32_e32 v56, v53
	v_min_u32_e32 v58, 32, v56
	v_subrev_u32_e32 v56, 28, v58
	v_lshlrev_b64 v[56:57], v56, v[34:35]
	v_lshrrev_b32_e32 v55, 3, v54
	v_sub_u32_e32 v34, 29, v58
	v_and_b32_e32 v56, 7, v56
	v_cmp_gt_u32_e32 vcc, 8, v54
	v_mov_b32_e32 v54, 24
	v_cndmask_b32_e32 v34, v55, v34, vcc
	v_cndmask_b32_e32 v53, v53, v56, vcc
	v_lshlrev_b32_sdwa v54, v54, v35 dst_sel:DWORD dst_unused:UNUSED_PAD src0_sel:DWORD src1_sel:WORD_1
	v_bfrev_b32_e32 v55, 60
	v_lshlrev_b32_e32 v53, 20, v53
	v_and_b32_e32 v54, 0x80000000, v54
	v_lshl_add_u32 v34, v34, 23, v55
	v_or3_b32 v34, v54, v34, v53
	v_lshrrev_b32_e32 v53, 16, v34
.LBB862_243:
	s_or_b64 exec, exec, s[12:13]
.LBB862_244:
	s_or_b64 exec, exec, s[10:11]
.LBB862_245:
	s_or_b64 exec, exec, s[2:3]
	s_mov_b32 s2, 0xffffff
	v_cmp_lt_u32_e32 vcc, s2, v35
	s_and_saveexec_b64 s[2:3], vcc
	s_cbranch_execz .LBB862_251
; %bb.246:
	v_lshrrev_b32_e32 v34, 24, v35
	s_movk_i32 s10, 0x80
	v_cmp_ne_u32_e32 vcc, s10, v34
	v_mov_b32_e32 v52, 0xffff8000
	s_and_saveexec_b64 s[10:11], vcc
	s_cbranch_execz .LBB862_250
; %bb.247:
	v_bfe_u32 v35, v35, 24, 7
	s_movk_i32 s12, 0x7f
	v_cmp_ne_u32_e32 vcc, s12, v35
	v_mov_b32_e32 v52, 0x7f80
	s_and_saveexec_b64 s[12:13], vcc
	s_cbranch_execz .LBB862_249
; %bb.248:
	v_and_b32_e32 v52, 7, v34
	v_ffbh_u32_e32 v54, v52
	v_min_u32_e32 v57, 32, v54
	v_subrev_u32_e32 v54, 28, v57
	v_lshlrev_b64 v[54:55], v54, v[34:35]
	v_lshrrev_b32_e32 v56, 3, v35
	v_sub_u32_e32 v55, 29, v57
	v_and_b32_e32 v54, 7, v54
	v_cmp_gt_u32_e32 vcc, 8, v35
	v_cndmask_b32_e32 v35, v56, v55, vcc
	v_cndmask_b32_e32 v52, v52, v54, vcc
	v_lshlrev_b32_e32 v34, 24, v34
	v_bfrev_b32_e32 v54, 60
	v_lshlrev_b32_e32 v52, 20, v52
	v_and_b32_e32 v34, 0x80000000, v34
	v_lshl_add_u32 v35, v35, 23, v54
	v_or3_b32 v34, v34, v35, v52
	v_lshrrev_b32_e32 v52, 16, v34
.LBB862_249:
	s_or_b64 exec, exec, s[12:13]
.LBB862_250:
	s_or_b64 exec, exec, s[10:11]
.LBB862_251:
	s_or_b64 exec, exec, s[2:3]
	s_mov_b32 s2, 0x5040100
	v_perm_b32 v35, v45, v50, s2
	v_perm_b32 v34, v43, v44, s2
	;; [unrolled: 1-line block ×4, first 2 shown]
	v_mov_b32_e32 v50, 0
	v_mfma_f32_16x16x16bf16_1k v[54:57], v[34:35], v[26:27], 0
	v_mov_b32_e32 v35, 0
	v_cmp_ne_u16_sdwa s[10:11], v36, v35 src0_sel:BYTE_0 src1_sel:DWORD
	v_mfma_f32_16x16x16bf16_1k v[42:45], v[42:43], v[28:29], v[54:57]
	s_and_saveexec_b64 s[2:3], s[10:11]
	s_cbranch_execz .LBB862_257
; %bb.252:
	s_movk_i32 s10, 0x80
	v_cmp_ne_u16_sdwa s[12:13], v36, s10 src0_sel:BYTE_0 src1_sel:DWORD
	v_mov_b32_e32 v50, 0xffff8000
	s_and_saveexec_b64 s[10:11], s[12:13]
	s_cbranch_execz .LBB862_256
; %bb.253:
	s_movk_i32 s12, 0x7f
	v_and_b32_e32 v34, 0x7f, v36
	v_cmp_ne_u32_e32 vcc, s12, v34
	v_mov_b32_e32 v50, 0x7f80
	s_and_saveexec_b64 s[12:13], vcc
	s_cbranch_execz .LBB862_255
; %bb.254:
	v_and_b32_e32 v52, 7, v36
	v_ffbh_u32_e32 v50, v52
	v_min_u32_e32 v54, 32, v50
	v_subrev_u32_e32 v50, 28, v54
	v_lshlrev_b64 v[50:51], v50, v[36:37]
	v_lshrrev_b32_e32 v53, 3, v34
	v_sub_u32_e32 v51, 29, v54
	v_and_b32_e32 v50, 7, v50
	v_cmp_gt_u32_e32 vcc, 8, v34
	v_cndmask_b32_e32 v34, v53, v51, vcc
	v_cndmask_b32_e32 v50, v52, v50, vcc
	v_lshlrev_b32_e32 v51, 24, v36
	v_bfrev_b32_e32 v52, 60
	v_lshlrev_b32_e32 v50, 20, v50
	v_and_b32_e32 v51, 0x80000000, v51
	v_lshl_add_u32 v34, v34, 23, v52
	v_or3_b32 v34, v51, v34, v50
	v_lshrrev_b32_e32 v50, 16, v34
.LBB862_255:
	s_or_b64 exec, exec, s[12:13]
.LBB862_256:
	s_or_b64 exec, exec, s[10:11]
.LBB862_257:
	s_or_b64 exec, exec, s[2:3]
	v_lshrrev_b16_e32 v34, 8, v36
	v_cmp_ne_u16_e32 vcc, 0, v34
	s_and_saveexec_b64 s[2:3], vcc
	s_cbranch_execz .LBB862_263
; %bb.258:
	s_movk_i32 s10, 0x80
	v_cmp_ne_u16_e32 vcc, s10, v34
	v_mov_b32_e32 v35, 0xffff8000
	s_and_saveexec_b64 s[10:11], vcc
	s_cbranch_execz .LBB862_262
; %bb.259:
	s_movk_i32 s12, 0x7f
	v_and_b32_e32 v51, 0x7f, v34
	v_cmp_ne_u32_e32 vcc, s12, v51
	v_mov_b32_e32 v35, 0x7f80
	s_and_saveexec_b64 s[12:13], vcc
	s_cbranch_execz .LBB862_261
; %bb.260:
	v_and_b32_e32 v52, 7, v34
	v_ffbh_u32_e32 v35, v52
	v_min_u32_e32 v54, 32, v35
	v_subrev_u32_e32 v35, 28, v54
	v_lshlrev_b64 v[34:35], v35, v[34:35]
	v_lshrrev_b32_e32 v53, 3, v51
	v_sub_u32_e32 v35, 29, v54
	v_and_b32_e32 v34, 7, v34
	v_cmp_gt_u32_e32 vcc, 8, v51
	v_cndmask_b32_e32 v35, v53, v35, vcc
	v_cndmask_b32_e32 v34, v52, v34, vcc
	v_lshlrev_b32_e32 v51, 16, v36
	v_bfrev_b32_e32 v52, 60
	v_lshlrev_b32_e32 v34, 20, v34
	v_and_b32_e32 v51, 0x80000000, v51
	v_lshl_add_u32 v35, v35, 23, v52
	v_or3_b32 v34, v51, v35, v34
	v_lshrrev_b32_e32 v35, 16, v34
.LBB862_261:
	s_or_b64 exec, exec, s[12:13]
.LBB862_262:
	s_or_b64 exec, exec, s[10:11]
.LBB862_263:
	s_or_b64 exec, exec, s[2:3]
	s_movk_i32 s2, 0xff
	v_and_b32_sdwa v53, v36, s2 dst_sel:DWORD dst_unused:UNUSED_PAD src0_sel:WORD_1 src1_sel:DWORD
	v_lshrrev_b32_e32 v34, 16, v36
	v_cmp_ne_u16_e32 vcc, 0, v53
	v_mov_b32_e32 v51, 0
	v_mov_b32_e32 v52, 0
	s_and_saveexec_b64 s[2:3], vcc
	s_cbranch_execz .LBB862_269
; %bb.264:
	s_movk_i32 s10, 0x80
	v_cmp_ne_u16_e32 vcc, s10, v53
	v_mov_b32_e32 v52, 0xffff8000
	s_and_saveexec_b64 s[10:11], vcc
	s_cbranch_execz .LBB862_268
; %bb.265:
	v_bfe_u32 v53, v36, 16, 7
	s_movk_i32 s12, 0x7f
	v_cmp_ne_u32_e32 vcc, s12, v53
	v_mov_b32_e32 v52, 0x7f80
	s_and_saveexec_b64 s[12:13], vcc
	s_cbranch_execz .LBB862_267
; %bb.266:
	v_and_b32_e32 v52, 7, v34
	v_ffbh_u32_e32 v54, v52
	v_min_u32_e32 v57, 32, v54
	v_subrev_u32_e32 v54, 28, v57
	v_lshlrev_b64 v[54:55], v54, v[34:35]
	v_lshrrev_b32_e32 v56, 3, v53
	v_sub_u32_e32 v34, 29, v57
	v_and_b32_e32 v54, 7, v54
	v_cmp_gt_u32_e32 vcc, 8, v53
	v_mov_b32_e32 v53, 24
	v_cndmask_b32_e32 v34, v56, v34, vcc
	v_cndmask_b32_e32 v52, v52, v54, vcc
	v_lshlrev_b32_sdwa v53, v53, v36 dst_sel:DWORD dst_unused:UNUSED_PAD src0_sel:DWORD src1_sel:WORD_1
	v_bfrev_b32_e32 v54, 60
	v_lshlrev_b32_e32 v52, 20, v52
	v_and_b32_e32 v53, 0x80000000, v53
	v_lshl_add_u32 v34, v34, 23, v54
	v_or3_b32 v34, v53, v34, v52
	v_lshrrev_b32_e32 v52, 16, v34
.LBB862_267:
	s_or_b64 exec, exec, s[12:13]
.LBB862_268:
	s_or_b64 exec, exec, s[10:11]
.LBB862_269:
	s_or_b64 exec, exec, s[2:3]
	s_mov_b32 s2, 0xffffff
	v_cmp_lt_u32_e32 vcc, s2, v36
	s_and_saveexec_b64 s[2:3], vcc
	s_cbranch_execz .LBB862_275
; %bb.270:
	v_lshrrev_b32_e32 v34, 24, v36
	s_movk_i32 s10, 0x80
	v_cmp_ne_u32_e32 vcc, s10, v34
	v_mov_b32_e32 v51, 0xffff8000
	s_and_saveexec_b64 s[10:11], vcc
	s_cbranch_execz .LBB862_274
; %bb.271:
	v_bfe_u32 v36, v36, 24, 7
	s_movk_i32 s12, 0x7f
	v_cmp_ne_u32_e32 vcc, s12, v36
	v_mov_b32_e32 v51, 0x7f80
	s_and_saveexec_b64 s[12:13], vcc
	s_cbranch_execz .LBB862_273
; %bb.272:
	v_and_b32_e32 v51, 7, v34
	v_ffbh_u32_e32 v54, v51
	v_min_u32_e32 v56, 32, v54
	v_subrev_u32_e32 v54, 28, v56
	v_lshlrev_b64 v[54:55], v54, v[34:35]
	v_lshrrev_b32_e32 v53, 3, v36
	v_sub_u32_e32 v55, 29, v56
	v_and_b32_e32 v54, 7, v54
	v_cmp_gt_u32_e32 vcc, 8, v36
	v_cndmask_b32_e32 v36, v53, v55, vcc
	v_cndmask_b32_e32 v51, v51, v54, vcc
	v_lshlrev_b32_e32 v34, 24, v34
	v_bfrev_b32_e32 v53, 60
	v_lshlrev_b32_e32 v51, 20, v51
	v_and_b32_e32 v34, 0x80000000, v34
	v_lshl_add_u32 v36, v36, 23, v53
	v_or3_b32 v34, v34, v36, v51
	v_lshrrev_b32_e32 v51, 16, v34
.LBB862_273:
	s_or_b64 exec, exec, s[12:13]
.LBB862_274:
	s_or_b64 exec, exec, s[10:11]
.LBB862_275:
	s_or_b64 exec, exec, s[2:3]
	v_mov_b32_e32 v36, 0
	v_cmp_ne_u16_sdwa s[10:11], v37, v36 src0_sel:BYTE_0 src1_sel:DWORD
	v_mov_b32_e32 v53, 0
	s_and_saveexec_b64 s[2:3], s[10:11]
	s_cbranch_execz .LBB862_281
; %bb.276:
	s_movk_i32 s10, 0x80
	v_cmp_ne_u16_sdwa s[12:13], v37, s10 src0_sel:BYTE_0 src1_sel:DWORD
	v_mov_b32_e32 v53, 0xffff8000
	s_and_saveexec_b64 s[10:11], s[12:13]
	s_cbranch_execz .LBB862_280
; %bb.277:
	s_movk_i32 s12, 0x7f
	v_and_b32_e32 v34, 0x7f, v37
	v_cmp_ne_u32_e32 vcc, s12, v34
	v_mov_b32_e32 v53, 0x7f80
	s_and_saveexec_b64 s[12:13], vcc
	s_cbranch_execz .LBB862_279
; %bb.278:
	v_and_b32_e32 v53, 7, v37
	v_ffbh_u32_e32 v55, v53
	v_min_u32_e32 v57, 32, v55
	v_mov_b32_e32 v54, v37
	v_subrev_u32_e32 v55, 28, v57
	v_lshlrev_b64 v[54:55], v55, v[54:55]
	v_lshrrev_b32_e32 v56, 3, v34
	v_sub_u32_e32 v55, 29, v57
	v_and_b32_e32 v54, 7, v54
	v_cmp_gt_u32_e32 vcc, 8, v34
	v_cndmask_b32_e32 v34, v56, v55, vcc
	v_cndmask_b32_e32 v53, v53, v54, vcc
	v_lshlrev_b32_e32 v54, 24, v37
	v_bfrev_b32_e32 v55, 60
	v_lshlrev_b32_e32 v53, 20, v53
	v_and_b32_e32 v54, 0x80000000, v54
	v_lshl_add_u32 v34, v34, 23, v55
	v_or3_b32 v34, v54, v34, v53
	v_lshrrev_b32_e32 v53, 16, v34
.LBB862_279:
	s_or_b64 exec, exec, s[12:13]
.LBB862_280:
	s_or_b64 exec, exec, s[10:11]
.LBB862_281:
	s_or_b64 exec, exec, s[2:3]
	v_lshrrev_b16_e32 v34, 8, v37
	v_cmp_ne_u16_e32 vcc, 0, v34
	s_and_saveexec_b64 s[2:3], vcc
	s_cbranch_execz .LBB862_287
; %bb.282:
	s_movk_i32 s10, 0x80
	v_cmp_ne_u16_e32 vcc, s10, v34
	v_mov_b32_e32 v36, 0xffff8000
	s_and_saveexec_b64 s[10:11], vcc
	s_cbranch_execz .LBB862_286
; %bb.283:
	s_movk_i32 s12, 0x7f
	v_and_b32_e32 v54, 0x7f, v34
	v_cmp_ne_u32_e32 vcc, s12, v54
	v_mov_b32_e32 v36, 0x7f80
	s_and_saveexec_b64 s[12:13], vcc
	s_cbranch_execz .LBB862_285
; %bb.284:
	v_and_b32_e32 v36, 7, v34
	v_ffbh_u32_e32 v56, v36
	v_min_u32_e32 v58, 32, v56
	v_subrev_u32_e32 v56, 28, v58
	v_lshlrev_b64 v[56:57], v56, v[34:35]
	v_lshrrev_b32_e32 v55, 3, v54
	v_sub_u32_e32 v34, 29, v58
	v_and_b32_e32 v56, 7, v56
	v_cmp_gt_u32_e32 vcc, 8, v54
	v_cndmask_b32_e32 v34, v55, v34, vcc
	v_cndmask_b32_e32 v36, v36, v56, vcc
	v_lshlrev_b32_e32 v54, 16, v37
	v_bfrev_b32_e32 v55, 60
	v_lshlrev_b32_e32 v36, 20, v36
	v_and_b32_e32 v54, 0x80000000, v54
	v_lshl_add_u32 v34, v34, 23, v55
	v_or3_b32 v34, v54, v34, v36
	v_lshrrev_b32_e32 v36, 16, v34
.LBB862_285:
	s_or_b64 exec, exec, s[12:13]
.LBB862_286:
	s_or_b64 exec, exec, s[10:11]
.LBB862_287:
	s_or_b64 exec, exec, s[2:3]
	s_movk_i32 s2, 0xff
	v_and_b32_sdwa v56, v37, s2 dst_sel:DWORD dst_unused:UNUSED_PAD src0_sel:WORD_1 src1_sel:DWORD
	v_lshrrev_b32_e32 v34, 16, v37
	v_cmp_ne_u16_e32 vcc, 0, v56
	v_mov_b32_e32 v54, 0
	v_mov_b32_e32 v55, 0
	s_and_saveexec_b64 s[2:3], vcc
	s_cbranch_execz .LBB862_293
; %bb.288:
	s_movk_i32 s10, 0x80
	v_cmp_ne_u16_e32 vcc, s10, v56
	v_mov_b32_e32 v55, 0xffff8000
	s_and_saveexec_b64 s[10:11], vcc
	s_cbranch_execz .LBB862_292
; %bb.289:
	v_bfe_u32 v56, v37, 16, 7
	s_movk_i32 s12, 0x7f
	v_cmp_ne_u32_e32 vcc, s12, v56
	v_mov_b32_e32 v55, 0x7f80
	s_and_saveexec_b64 s[12:13], vcc
	s_cbranch_execz .LBB862_291
; %bb.290:
	v_and_b32_e32 v55, 7, v34
	v_ffbh_u32_e32 v58, v55
	v_min_u32_e32 v60, 32, v58
	v_subrev_u32_e32 v58, 28, v60
	v_lshlrev_b64 v[58:59], v58, v[34:35]
	v_lshrrev_b32_e32 v57, 3, v56
	v_sub_u32_e32 v34, 29, v60
	v_and_b32_e32 v58, 7, v58
	v_cmp_gt_u32_e32 vcc, 8, v56
	v_mov_b32_e32 v56, 24
	v_cndmask_b32_e32 v34, v57, v34, vcc
	v_cndmask_b32_e32 v55, v55, v58, vcc
	v_lshlrev_b32_sdwa v56, v56, v37 dst_sel:DWORD dst_unused:UNUSED_PAD src0_sel:DWORD src1_sel:WORD_1
	v_bfrev_b32_e32 v57, 60
	v_lshlrev_b32_e32 v55, 20, v55
	v_and_b32_e32 v56, 0x80000000, v56
	v_lshl_add_u32 v34, v34, 23, v57
	v_or3_b32 v34, v56, v34, v55
	v_lshrrev_b32_e32 v55, 16, v34
.LBB862_291:
	s_or_b64 exec, exec, s[12:13]
.LBB862_292:
	s_or_b64 exec, exec, s[10:11]
.LBB862_293:
	s_or_b64 exec, exec, s[2:3]
	s_mov_b32 s2, 0xffffff
	v_cmp_lt_u32_e32 vcc, s2, v37
	s_and_saveexec_b64 s[2:3], vcc
	s_cbranch_execz .LBB862_299
; %bb.294:
	v_lshrrev_b32_e32 v34, 24, v37
	s_movk_i32 s10, 0x80
	v_cmp_ne_u32_e32 vcc, s10, v34
	v_mov_b32_e32 v54, 0xffff8000
	s_and_saveexec_b64 s[10:11], vcc
	s_cbranch_execz .LBB862_298
; %bb.295:
	v_bfe_u32 v37, v37, 24, 7
	s_movk_i32 s12, 0x7f
	v_cmp_ne_u32_e32 vcc, s12, v37
	v_mov_b32_e32 v54, 0x7f80
	s_and_saveexec_b64 s[12:13], vcc
	s_cbranch_execz .LBB862_297
; %bb.296:
	v_and_b32_e32 v54, 7, v34
	v_ffbh_u32_e32 v56, v54
	v_min_u32_e32 v59, 32, v56
	v_subrev_u32_e32 v56, 28, v59
	v_lshlrev_b64 v[56:57], v56, v[34:35]
	v_lshrrev_b32_e32 v58, 3, v37
	v_sub_u32_e32 v57, 29, v59
	v_and_b32_e32 v56, 7, v56
	v_cmp_gt_u32_e32 vcc, 8, v37
	v_cndmask_b32_e32 v37, v58, v57, vcc
	v_cndmask_b32_e32 v54, v54, v56, vcc
	v_lshlrev_b32_e32 v34, 24, v34
	v_bfrev_b32_e32 v56, 60
	v_lshlrev_b32_e32 v54, 20, v54
	v_and_b32_e32 v34, 0x80000000, v34
	v_lshl_add_u32 v37, v37, 23, v56
	v_or3_b32 v34, v34, v37, v54
	v_lshrrev_b32_e32 v54, 16, v34
.LBB862_297:
	s_or_b64 exec, exec, s[12:13]
.LBB862_298:
	s_or_b64 exec, exec, s[10:11]
.LBB862_299:
	s_or_b64 exec, exec, s[2:3]
	s_mov_b32 s2, 0x5040100
	v_perm_b32 v51, v51, v52, s2
	v_perm_b32 v50, v35, v50, s2
	;; [unrolled: 1-line block ×4, first 2 shown]
	v_mfma_f32_16x16x16bf16_1k v[56:59], v[50:51], v[18:19], v[42:45]
	s_nop 6
	v_mov_b32_e32 v43, 0
	s_waitcnt vmcnt(4)
	v_cmp_ne_u16_sdwa s[10:11], v22, v43 src0_sel:BYTE_0 src1_sel:DWORD
	v_mfma_f32_16x16x16bf16_1k v[34:37], v[34:35], v[20:21], v[56:59]
	v_mov_b32_e32 v44, 0
	s_and_saveexec_b64 s[2:3], s[10:11]
	s_cbranch_execz .LBB862_305
; %bb.300:
	s_movk_i32 s10, 0x80
	v_cmp_ne_u16_sdwa s[12:13], v22, s10 src0_sel:BYTE_0 src1_sel:DWORD
	v_mov_b32_e32 v44, 0xffff8000
	s_and_saveexec_b64 s[10:11], s[12:13]
	s_cbranch_execz .LBB862_304
; %bb.301:
	s_movk_i32 s12, 0x7f
	v_and_b32_e32 v42, 0x7f, v22
	v_cmp_ne_u32_e32 vcc, s12, v42
	v_mov_b32_e32 v44, 0x7f80
	s_and_saveexec_b64 s[12:13], vcc
	s_cbranch_execz .LBB862_303
; %bb.302:
	v_and_b32_e32 v50, 7, v22
	v_ffbh_u32_e32 v44, v50
	v_min_u32_e32 v52, 32, v44
	v_subrev_u32_e32 v44, 28, v52
	v_lshlrev_b64 v[44:45], v44, v[22:23]
	v_lshrrev_b32_e32 v51, 3, v42
	v_sub_u32_e32 v45, 29, v52
	v_and_b32_e32 v44, 7, v44
	v_cmp_gt_u32_e32 vcc, 8, v42
	v_cndmask_b32_e32 v42, v51, v45, vcc
	v_cndmask_b32_e32 v44, v50, v44, vcc
	v_lshlrev_b32_e32 v45, 24, v22
	v_bfrev_b32_e32 v50, 60
	v_lshlrev_b32_e32 v44, 20, v44
	v_and_b32_e32 v45, 0x80000000, v45
	v_lshl_add_u32 v42, v42, 23, v50
	v_or3_b32 v42, v45, v42, v44
	v_lshrrev_b32_e32 v44, 16, v42
.LBB862_303:
	s_or_b64 exec, exec, s[12:13]
.LBB862_304:
	s_or_b64 exec, exec, s[10:11]
.LBB862_305:
	s_or_b64 exec, exec, s[2:3]
	v_lshrrev_b16_e32 v42, 8, v22
	v_cmp_ne_u16_e32 vcc, 0, v42
	s_and_saveexec_b64 s[2:3], vcc
	s_cbranch_execz .LBB862_311
; %bb.306:
	s_movk_i32 s10, 0x80
	v_cmp_ne_u16_e32 vcc, s10, v42
	v_mov_b32_e32 v43, 0xffff8000
	s_and_saveexec_b64 s[10:11], vcc
	s_cbranch_execz .LBB862_310
; %bb.307:
	s_movk_i32 s12, 0x7f
	v_and_b32_e32 v45, 0x7f, v42
	v_cmp_ne_u32_e32 vcc, s12, v45
	v_mov_b32_e32 v43, 0x7f80
	s_and_saveexec_b64 s[12:13], vcc
	s_cbranch_execz .LBB862_309
; %bb.308:
	v_and_b32_e32 v50, 7, v42
	v_ffbh_u32_e32 v43, v50
	v_min_u32_e32 v52, 32, v43
	v_subrev_u32_e32 v43, 28, v52
	v_lshlrev_b64 v[42:43], v43, v[42:43]
	v_lshrrev_b32_e32 v51, 3, v45
	v_sub_u32_e32 v43, 29, v52
	v_and_b32_e32 v42, 7, v42
	v_cmp_gt_u32_e32 vcc, 8, v45
	v_cndmask_b32_e32 v43, v51, v43, vcc
	v_cndmask_b32_e32 v42, v50, v42, vcc
	v_lshlrev_b32_e32 v45, 16, v22
	v_bfrev_b32_e32 v50, 60
	v_lshlrev_b32_e32 v42, 20, v42
	v_and_b32_e32 v45, 0x80000000, v45
	v_lshl_add_u32 v43, v43, 23, v50
	v_or3_b32 v42, v45, v43, v42
	v_lshrrev_b32_e32 v43, 16, v42
.LBB862_309:
	s_or_b64 exec, exec, s[12:13]
.LBB862_310:
	s_or_b64 exec, exec, s[10:11]
.LBB862_311:
	s_or_b64 exec, exec, s[2:3]
	s_movk_i32 s2, 0xff
	v_and_b32_sdwa v51, v22, s2 dst_sel:DWORD dst_unused:UNUSED_PAD src0_sel:WORD_1 src1_sel:DWORD
	v_lshrrev_b32_e32 v42, 16, v22
	v_cmp_ne_u16_e32 vcc, 0, v51
	v_mov_b32_e32 v45, 0
	v_mov_b32_e32 v50, 0
	s_and_saveexec_b64 s[2:3], vcc
	s_cbranch_execz .LBB862_317
; %bb.312:
	s_movk_i32 s10, 0x80
	v_cmp_ne_u16_e32 vcc, s10, v51
	v_mov_b32_e32 v50, 0xffff8000
	s_and_saveexec_b64 s[10:11], vcc
	s_cbranch_execz .LBB862_316
; %bb.313:
	v_bfe_u32 v51, v22, 16, 7
	s_movk_i32 s12, 0x7f
	v_cmp_ne_u32_e32 vcc, s12, v51
	v_mov_b32_e32 v50, 0x7f80
	s_and_saveexec_b64 s[12:13], vcc
	s_cbranch_execz .LBB862_315
; %bb.314:
	v_and_b32_e32 v50, 7, v42
	v_ffbh_u32_e32 v52, v50
	v_min_u32_e32 v55, 32, v52
	v_subrev_u32_e32 v52, 28, v55
	v_lshlrev_b64 v[52:53], v52, v[42:43]
	v_lshrrev_b32_e32 v54, 3, v51
	v_sub_u32_e32 v42, 29, v55
	v_and_b32_e32 v52, 7, v52
	v_cmp_gt_u32_e32 vcc, 8, v51
	v_mov_b32_e32 v51, 24
	v_cndmask_b32_e32 v42, v54, v42, vcc
	v_cndmask_b32_e32 v50, v50, v52, vcc
	v_lshlrev_b32_sdwa v51, v51, v22 dst_sel:DWORD dst_unused:UNUSED_PAD src0_sel:DWORD src1_sel:WORD_1
	v_bfrev_b32_e32 v52, 60
	v_lshlrev_b32_e32 v50, 20, v50
	v_and_b32_e32 v51, 0x80000000, v51
	v_lshl_add_u32 v42, v42, 23, v52
	v_or3_b32 v42, v51, v42, v50
	v_lshrrev_b32_e32 v50, 16, v42
.LBB862_315:
	s_or_b64 exec, exec, s[12:13]
.LBB862_316:
	s_or_b64 exec, exec, s[10:11]
.LBB862_317:
	s_or_b64 exec, exec, s[2:3]
	s_mov_b32 s2, 0xffffff
	v_cmp_lt_u32_e32 vcc, s2, v22
	s_and_saveexec_b64 s[2:3], vcc
	s_cbranch_execz .LBB862_323
; %bb.318:
	v_lshrrev_b32_e32 v42, 24, v22
	s_movk_i32 s10, 0x80
	v_cmp_ne_u32_e32 vcc, s10, v42
	v_mov_b32_e32 v45, 0xffff8000
	s_and_saveexec_b64 s[10:11], vcc
	s_cbranch_execz .LBB862_322
; %bb.319:
	v_bfe_u32 v22, v22, 24, 7
	s_movk_i32 s12, 0x7f
	v_cmp_ne_u32_e32 vcc, s12, v22
	v_mov_b32_e32 v45, 0x7f80
	s_and_saveexec_b64 s[12:13], vcc
	s_cbranch_execz .LBB862_321
; %bb.320:
	v_and_b32_e32 v45, 7, v42
	v_ffbh_u32_e32 v52, v45
	v_min_u32_e32 v54, 32, v52
	v_subrev_u32_e32 v52, 28, v54
	v_lshlrev_b64 v[52:53], v52, v[42:43]
	v_lshrrev_b32_e32 v51, 3, v22
	v_sub_u32_e32 v53, 29, v54
	v_and_b32_e32 v52, 7, v52
	v_cmp_gt_u32_e32 vcc, 8, v22
	v_cndmask_b32_e32 v22, v51, v53, vcc
	v_cndmask_b32_e32 v45, v45, v52, vcc
	v_lshlrev_b32_e32 v42, 24, v42
	v_bfrev_b32_e32 v51, 60
	v_lshlrev_b32_e32 v45, 20, v45
	v_and_b32_e32 v42, 0x80000000, v42
	v_lshl_add_u32 v22, v22, 23, v51
	v_or3_b32 v22, v42, v22, v45
	v_lshrrev_b32_e32 v45, 16, v22
.LBB862_321:
	s_or_b64 exec, exec, s[12:13]
.LBB862_322:
	s_or_b64 exec, exec, s[10:11]
.LBB862_323:
	s_or_b64 exec, exec, s[2:3]
	v_mov_b32_e32 v42, 0
	v_cmp_ne_u16_sdwa s[10:11], v23, v42 src0_sel:BYTE_0 src1_sel:DWORD
	v_mov_b32_e32 v51, 0
	s_and_saveexec_b64 s[2:3], s[10:11]
	s_cbranch_execz .LBB862_329
; %bb.324:
	s_movk_i32 s10, 0x80
	v_cmp_ne_u16_sdwa s[12:13], v23, s10 src0_sel:BYTE_0 src1_sel:DWORD
	v_mov_b32_e32 v51, 0xffff8000
	s_and_saveexec_b64 s[10:11], s[12:13]
	s_cbranch_execz .LBB862_328
; %bb.325:
	s_movk_i32 s12, 0x7f
	v_and_b32_e32 v22, 0x7f, v23
	v_cmp_ne_u32_e32 vcc, s12, v22
	v_mov_b32_e32 v51, 0x7f80
	s_and_saveexec_b64 s[12:13], vcc
	s_cbranch_execz .LBB862_327
; %bb.326:
	v_and_b32_e32 v51, 7, v23
	v_ffbh_u32_e32 v53, v51
	v_min_u32_e32 v55, 32, v53
	v_mov_b32_e32 v52, v23
	v_subrev_u32_e32 v53, 28, v55
	v_lshlrev_b64 v[52:53], v53, v[52:53]
	v_lshrrev_b32_e32 v54, 3, v22
	v_sub_u32_e32 v53, 29, v55
	v_and_b32_e32 v52, 7, v52
	v_cmp_gt_u32_e32 vcc, 8, v22
	v_cndmask_b32_e32 v22, v54, v53, vcc
	v_cndmask_b32_e32 v51, v51, v52, vcc
	v_lshlrev_b32_e32 v52, 24, v23
	v_bfrev_b32_e32 v53, 60
	v_lshlrev_b32_e32 v51, 20, v51
	v_and_b32_e32 v52, 0x80000000, v52
	v_lshl_add_u32 v22, v22, 23, v53
	v_or3_b32 v22, v52, v22, v51
	v_lshrrev_b32_e32 v51, 16, v22
.LBB862_327:
	s_or_b64 exec, exec, s[12:13]
.LBB862_328:
	s_or_b64 exec, exec, s[10:11]
.LBB862_329:
	s_or_b64 exec, exec, s[2:3]
	v_lshrrev_b16_e32 v22, 8, v23
	v_cmp_ne_u16_e32 vcc, 0, v22
	s_and_saveexec_b64 s[2:3], vcc
	s_cbranch_execz .LBB862_335
; %bb.330:
	s_movk_i32 s10, 0x80
	v_cmp_ne_u16_e32 vcc, s10, v22
	v_mov_b32_e32 v42, 0xffff8000
	s_and_saveexec_b64 s[10:11], vcc
	s_cbranch_execz .LBB862_334
; %bb.331:
	s_movk_i32 s12, 0x7f
	v_and_b32_e32 v52, 0x7f, v22
	v_cmp_ne_u32_e32 vcc, s12, v52
	v_mov_b32_e32 v42, 0x7f80
	s_and_saveexec_b64 s[12:13], vcc
	s_cbranch_execz .LBB862_333
; %bb.332:
	v_and_b32_e32 v42, 7, v22
	v_ffbh_u32_e32 v54, v42
	v_min_u32_e32 v56, 32, v54
	v_subrev_u32_e32 v54, 28, v56
	v_lshlrev_b64 v[54:55], v54, v[22:23]
	v_lshrrev_b32_e32 v53, 3, v52
	v_sub_u32_e32 v22, 29, v56
	v_and_b32_e32 v54, 7, v54
	v_cmp_gt_u32_e32 vcc, 8, v52
	v_cndmask_b32_e32 v22, v53, v22, vcc
	v_cndmask_b32_e32 v42, v42, v54, vcc
	v_lshlrev_b32_e32 v52, 16, v23
	v_bfrev_b32_e32 v53, 60
	v_lshlrev_b32_e32 v42, 20, v42
	v_and_b32_e32 v52, 0x80000000, v52
	v_lshl_add_u32 v22, v22, 23, v53
	v_or3_b32 v22, v52, v22, v42
	v_lshrrev_b32_e32 v42, 16, v22
.LBB862_333:
	s_or_b64 exec, exec, s[12:13]
.LBB862_334:
	s_or_b64 exec, exec, s[10:11]
.LBB862_335:
	s_or_b64 exec, exec, s[2:3]
	s_movk_i32 s2, 0xff
	v_and_b32_sdwa v54, v23, s2 dst_sel:DWORD dst_unused:UNUSED_PAD src0_sel:WORD_1 src1_sel:DWORD
	v_lshrrev_b32_e32 v22, 16, v23
	v_cmp_ne_u16_e32 vcc, 0, v54
	v_mov_b32_e32 v52, 0
	v_mov_b32_e32 v53, 0
	s_and_saveexec_b64 s[2:3], vcc
	s_cbranch_execz .LBB862_341
; %bb.336:
	s_movk_i32 s10, 0x80
	v_cmp_ne_u16_e32 vcc, s10, v54
	v_mov_b32_e32 v53, 0xffff8000
	s_and_saveexec_b64 s[10:11], vcc
	s_cbranch_execz .LBB862_340
; %bb.337:
	v_bfe_u32 v54, v23, 16, 7
	s_movk_i32 s12, 0x7f
	v_cmp_ne_u32_e32 vcc, s12, v54
	v_mov_b32_e32 v53, 0x7f80
	s_and_saveexec_b64 s[12:13], vcc
	s_cbranch_execz .LBB862_339
; %bb.338:
	v_and_b32_e32 v53, 7, v22
	v_ffbh_u32_e32 v56, v53
	v_min_u32_e32 v58, 32, v56
	v_subrev_u32_e32 v56, 28, v58
	v_lshlrev_b64 v[56:57], v56, v[22:23]
	v_lshrrev_b32_e32 v55, 3, v54
	v_sub_u32_e32 v22, 29, v58
	v_and_b32_e32 v56, 7, v56
	v_cmp_gt_u32_e32 vcc, 8, v54
	v_mov_b32_e32 v54, 24
	v_cndmask_b32_e32 v22, v55, v22, vcc
	v_cndmask_b32_e32 v53, v53, v56, vcc
	v_lshlrev_b32_sdwa v54, v54, v23 dst_sel:DWORD dst_unused:UNUSED_PAD src0_sel:DWORD src1_sel:WORD_1
	v_bfrev_b32_e32 v55, 60
	v_lshlrev_b32_e32 v53, 20, v53
	v_and_b32_e32 v54, 0x80000000, v54
	v_lshl_add_u32 v22, v22, 23, v55
	v_or3_b32 v22, v54, v22, v53
	v_lshrrev_b32_e32 v53, 16, v22
.LBB862_339:
	s_or_b64 exec, exec, s[12:13]
.LBB862_340:
	s_or_b64 exec, exec, s[10:11]
.LBB862_341:
	s_or_b64 exec, exec, s[2:3]
	s_mov_b32 s2, 0xffffff
	v_cmp_lt_u32_e32 vcc, s2, v23
	s_and_saveexec_b64 s[2:3], vcc
	s_cbranch_execz .LBB862_347
; %bb.342:
	v_lshrrev_b32_e32 v22, 24, v23
	s_movk_i32 s10, 0x80
	v_cmp_ne_u32_e32 vcc, s10, v22
	v_mov_b32_e32 v52, 0xffff8000
	s_and_saveexec_b64 s[10:11], vcc
	s_cbranch_execz .LBB862_346
; %bb.343:
	v_bfe_u32 v23, v23, 24, 7
	s_movk_i32 s12, 0x7f
	v_cmp_ne_u32_e32 vcc, s12, v23
	v_mov_b32_e32 v52, 0x7f80
	s_and_saveexec_b64 s[12:13], vcc
	s_cbranch_execz .LBB862_345
; %bb.344:
	v_and_b32_e32 v52, 7, v22
	v_ffbh_u32_e32 v54, v52
	v_min_u32_e32 v57, 32, v54
	v_subrev_u32_e32 v54, 28, v57
	v_lshlrev_b64 v[54:55], v54, v[22:23]
	v_lshrrev_b32_e32 v56, 3, v23
	v_sub_u32_e32 v55, 29, v57
	v_and_b32_e32 v54, 7, v54
	v_cmp_gt_u32_e32 vcc, 8, v23
	v_cndmask_b32_e32 v23, v56, v55, vcc
	v_cndmask_b32_e32 v52, v52, v54, vcc
	v_lshlrev_b32_e32 v22, 24, v22
	v_bfrev_b32_e32 v54, 60
	v_lshlrev_b32_e32 v52, 20, v52
	v_and_b32_e32 v22, 0x80000000, v22
	v_lshl_add_u32 v23, v23, 23, v54
	v_or3_b32 v22, v22, v23, v52
	v_lshrrev_b32_e32 v52, 16, v22
.LBB862_345:
	s_or_b64 exec, exec, s[12:13]
.LBB862_346:
	s_or_b64 exec, exec, s[10:11]
.LBB862_347:
	s_or_b64 exec, exec, s[2:3]
	s_mov_b32 s2, 0x5040100
	v_perm_b32 v23, v45, v50, s2
	v_perm_b32 v22, v43, v44, s2
	s_nop 1
	v_mfma_f32_16x16x16bf16_1k v[54:57], v[22:23], v[26:27], 0
	v_perm_b32 v27, v52, v53, s2
	v_perm_b32 v26, v42, v51, s2
	v_mov_b32_e32 v23, 0
	v_cmp_ne_u16_sdwa s[10:11], v24, v23 src0_sel:BYTE_0 src1_sel:DWORD
	v_mov_b32_e32 v42, 0
	v_mfma_f32_16x16x16bf16_1k v[26:29], v[26:27], v[28:29], v[54:57]
	s_and_saveexec_b64 s[2:3], s[10:11]
	s_cbranch_execz .LBB862_353
; %bb.348:
	s_movk_i32 s10, 0x80
	v_cmp_ne_u16_sdwa s[12:13], v24, s10 src0_sel:BYTE_0 src1_sel:DWORD
	v_mov_b32_e32 v42, 0xffff8000
	s_and_saveexec_b64 s[10:11], s[12:13]
	s_cbranch_execz .LBB862_352
; %bb.349:
	s_movk_i32 s12, 0x7f
	v_and_b32_e32 v22, 0x7f, v24
	v_cmp_ne_u32_e32 vcc, s12, v22
	v_mov_b32_e32 v42, 0x7f80
	s_and_saveexec_b64 s[12:13], vcc
	s_cbranch_execz .LBB862_351
; %bb.350:
	v_and_b32_e32 v44, 7, v24
	v_ffbh_u32_e32 v42, v44
	v_min_u32_e32 v50, 32, v42
	v_subrev_u32_e32 v42, 28, v50
	v_lshlrev_b64 v[42:43], v42, v[24:25]
	v_lshrrev_b32_e32 v45, 3, v22
	v_sub_u32_e32 v43, 29, v50
	v_and_b32_e32 v42, 7, v42
	v_cmp_gt_u32_e32 vcc, 8, v22
	v_cndmask_b32_e32 v22, v45, v43, vcc
	v_cndmask_b32_e32 v42, v44, v42, vcc
	v_lshlrev_b32_e32 v43, 24, v24
	v_bfrev_b32_e32 v44, 60
	v_lshlrev_b32_e32 v42, 20, v42
	v_and_b32_e32 v43, 0x80000000, v43
	v_lshl_add_u32 v22, v22, 23, v44
	v_or3_b32 v22, v43, v22, v42
	v_lshrrev_b32_e32 v42, 16, v22
.LBB862_351:
	s_or_b64 exec, exec, s[12:13]
.LBB862_352:
	s_or_b64 exec, exec, s[10:11]
.LBB862_353:
	s_or_b64 exec, exec, s[2:3]
	v_lshrrev_b16_e32 v22, 8, v24
	v_cmp_ne_u16_e32 vcc, 0, v22
	s_and_saveexec_b64 s[2:3], vcc
	s_cbranch_execz .LBB862_359
; %bb.354:
	s_movk_i32 s10, 0x80
	v_cmp_ne_u16_e32 vcc, s10, v22
	v_mov_b32_e32 v23, 0xffff8000
	s_and_saveexec_b64 s[10:11], vcc
	s_cbranch_execz .LBB862_358
; %bb.355:
	s_movk_i32 s12, 0x7f
	v_and_b32_e32 v43, 0x7f, v22
	v_cmp_ne_u32_e32 vcc, s12, v43
	v_mov_b32_e32 v23, 0x7f80
	s_and_saveexec_b64 s[12:13], vcc
	s_cbranch_execz .LBB862_357
; %bb.356:
	v_and_b32_e32 v44, 7, v22
	v_ffbh_u32_e32 v23, v44
	v_min_u32_e32 v50, 32, v23
	v_subrev_u32_e32 v23, 28, v50
	v_lshlrev_b64 v[22:23], v23, v[22:23]
	v_lshrrev_b32_e32 v45, 3, v43
	v_sub_u32_e32 v23, 29, v50
	v_and_b32_e32 v22, 7, v22
	v_cmp_gt_u32_e32 vcc, 8, v43
	v_cndmask_b32_e32 v23, v45, v23, vcc
	v_cndmask_b32_e32 v22, v44, v22, vcc
	v_lshlrev_b32_e32 v43, 16, v24
	v_bfrev_b32_e32 v44, 60
	v_lshlrev_b32_e32 v22, 20, v22
	v_and_b32_e32 v43, 0x80000000, v43
	v_lshl_add_u32 v23, v23, 23, v44
	v_or3_b32 v22, v43, v23, v22
	v_lshrrev_b32_e32 v23, 16, v22
.LBB862_357:
	s_or_b64 exec, exec, s[12:13]
.LBB862_358:
	s_or_b64 exec, exec, s[10:11]
.LBB862_359:
	s_or_b64 exec, exec, s[2:3]
	s_movk_i32 s2, 0xff
	v_and_b32_sdwa v45, v24, s2 dst_sel:DWORD dst_unused:UNUSED_PAD src0_sel:WORD_1 src1_sel:DWORD
	v_lshrrev_b32_e32 v22, 16, v24
	v_cmp_ne_u16_e32 vcc, 0, v45
	v_mov_b32_e32 v43, 0
	v_mov_b32_e32 v44, 0
	s_and_saveexec_b64 s[2:3], vcc
	s_cbranch_execz .LBB862_365
; %bb.360:
	s_movk_i32 s10, 0x80
	v_cmp_ne_u16_e32 vcc, s10, v45
	v_mov_b32_e32 v44, 0xffff8000
	s_and_saveexec_b64 s[10:11], vcc
	s_cbranch_execz .LBB862_364
; %bb.361:
	v_bfe_u32 v45, v24, 16, 7
	s_movk_i32 s12, 0x7f
	v_cmp_ne_u32_e32 vcc, s12, v45
	v_mov_b32_e32 v44, 0x7f80
	s_and_saveexec_b64 s[12:13], vcc
	s_cbranch_execz .LBB862_363
; %bb.362:
	v_and_b32_e32 v44, 7, v22
	v_ffbh_u32_e32 v50, v44
	v_min_u32_e32 v53, 32, v50
	v_subrev_u32_e32 v50, 28, v53
	v_lshlrev_b64 v[50:51], v50, v[22:23]
	v_lshrrev_b32_e32 v52, 3, v45
	v_sub_u32_e32 v22, 29, v53
	v_and_b32_e32 v50, 7, v50
	v_cmp_gt_u32_e32 vcc, 8, v45
	v_mov_b32_e32 v45, 24
	v_cndmask_b32_e32 v22, v52, v22, vcc
	v_cndmask_b32_e32 v44, v44, v50, vcc
	v_lshlrev_b32_sdwa v45, v45, v24 dst_sel:DWORD dst_unused:UNUSED_PAD src0_sel:DWORD src1_sel:WORD_1
	v_bfrev_b32_e32 v50, 60
	v_lshlrev_b32_e32 v44, 20, v44
	v_and_b32_e32 v45, 0x80000000, v45
	v_lshl_add_u32 v22, v22, 23, v50
	v_or3_b32 v22, v45, v22, v44
	v_lshrrev_b32_e32 v44, 16, v22
.LBB862_363:
	s_or_b64 exec, exec, s[12:13]
.LBB862_364:
	s_or_b64 exec, exec, s[10:11]
.LBB862_365:
	s_or_b64 exec, exec, s[2:3]
	s_mov_b32 s2, 0xffffff
	v_cmp_lt_u32_e32 vcc, s2, v24
	s_and_saveexec_b64 s[2:3], vcc
	s_cbranch_execz .LBB862_371
; %bb.366:
	v_lshrrev_b32_e32 v22, 24, v24
	s_movk_i32 s10, 0x80
	v_cmp_ne_u32_e32 vcc, s10, v22
	v_mov_b32_e32 v43, 0xffff8000
	s_and_saveexec_b64 s[10:11], vcc
	s_cbranch_execz .LBB862_370
; %bb.367:
	v_bfe_u32 v24, v24, 24, 7
	s_movk_i32 s12, 0x7f
	v_cmp_ne_u32_e32 vcc, s12, v24
	v_mov_b32_e32 v43, 0x7f80
	s_and_saveexec_b64 s[12:13], vcc
	s_cbranch_execz .LBB862_369
; %bb.368:
	v_and_b32_e32 v43, 7, v22
	v_ffbh_u32_e32 v50, v43
	v_min_u32_e32 v52, 32, v50
	v_subrev_u32_e32 v50, 28, v52
	v_lshlrev_b64 v[50:51], v50, v[22:23]
	v_lshrrev_b32_e32 v45, 3, v24
	v_sub_u32_e32 v51, 29, v52
	v_and_b32_e32 v50, 7, v50
	v_cmp_gt_u32_e32 vcc, 8, v24
	v_cndmask_b32_e32 v24, v45, v51, vcc
	v_cndmask_b32_e32 v43, v43, v50, vcc
	v_lshlrev_b32_e32 v22, 24, v22
	v_bfrev_b32_e32 v45, 60
	v_lshlrev_b32_e32 v43, 20, v43
	v_and_b32_e32 v22, 0x80000000, v22
	v_lshl_add_u32 v24, v24, 23, v45
	v_or3_b32 v22, v22, v24, v43
	v_lshrrev_b32_e32 v43, 16, v22
.LBB862_369:
	s_or_b64 exec, exec, s[12:13]
.LBB862_370:
	s_or_b64 exec, exec, s[10:11]
.LBB862_371:
	s_or_b64 exec, exec, s[2:3]
	v_mov_b32_e32 v24, 0
	v_cmp_ne_u16_sdwa s[10:11], v25, v24 src0_sel:BYTE_0 src1_sel:DWORD
	v_mov_b32_e32 v50, 0
	s_and_saveexec_b64 s[2:3], s[10:11]
	s_cbranch_execz .LBB862_377
; %bb.372:
	s_movk_i32 s10, 0x80
	v_cmp_ne_u16_sdwa s[12:13], v25, s10 src0_sel:BYTE_0 src1_sel:DWORD
	v_mov_b32_e32 v50, 0xffff8000
	s_and_saveexec_b64 s[10:11], s[12:13]
	s_cbranch_execz .LBB862_376
; %bb.373:
	s_movk_i32 s12, 0x7f
	v_and_b32_e32 v22, 0x7f, v25
	v_cmp_ne_u32_e32 vcc, s12, v22
	v_mov_b32_e32 v50, 0x7f80
	s_and_saveexec_b64 s[12:13], vcc
	s_cbranch_execz .LBB862_375
; %bb.374:
	v_and_b32_e32 v45, 7, v25
	v_ffbh_u32_e32 v51, v45
	v_min_u32_e32 v53, 32, v51
	v_mov_b32_e32 v50, v25
	v_subrev_u32_e32 v51, 28, v53
	v_lshlrev_b64 v[50:51], v51, v[50:51]
	v_lshrrev_b32_e32 v52, 3, v22
	v_sub_u32_e32 v51, 29, v53
	v_and_b32_e32 v50, 7, v50
	v_cmp_gt_u32_e32 vcc, 8, v22
	v_cndmask_b32_e32 v22, v52, v51, vcc
	v_cndmask_b32_e32 v45, v45, v50, vcc
	v_lshlrev_b32_e32 v50, 24, v25
	v_bfrev_b32_e32 v51, 60
	v_lshlrev_b32_e32 v45, 20, v45
	v_and_b32_e32 v50, 0x80000000, v50
	v_lshl_add_u32 v22, v22, 23, v51
	v_or3_b32 v22, v50, v22, v45
	v_lshrrev_b32_e32 v50, 16, v22
.LBB862_375:
	s_or_b64 exec, exec, s[12:13]
.LBB862_376:
	s_or_b64 exec, exec, s[10:11]
.LBB862_377:
	s_or_b64 exec, exec, s[2:3]
	v_lshrrev_b16_e32 v22, 8, v25
	v_cmp_ne_u16_e32 vcc, 0, v22
	s_and_saveexec_b64 s[2:3], vcc
	s_cbranch_execz .LBB862_383
; %bb.378:
	s_movk_i32 s10, 0x80
	v_cmp_ne_u16_e32 vcc, s10, v22
	v_mov_b32_e32 v24, 0xffff8000
	s_and_saveexec_b64 s[10:11], vcc
	s_cbranch_execz .LBB862_382
; %bb.379:
	s_movk_i32 s12, 0x7f
	v_and_b32_e32 v45, 0x7f, v22
	v_cmp_ne_u32_e32 vcc, s12, v45
	v_mov_b32_e32 v24, 0x7f80
	s_and_saveexec_b64 s[12:13], vcc
	s_cbranch_execz .LBB862_381
; %bb.380:
	v_and_b32_e32 v24, 7, v22
	v_ffbh_u32_e32 v52, v24
	v_min_u32_e32 v54, 32, v52
	v_subrev_u32_e32 v52, 28, v54
	v_lshlrev_b64 v[52:53], v52, v[22:23]
	v_lshrrev_b32_e32 v51, 3, v45
	v_sub_u32_e32 v22, 29, v54
	v_and_b32_e32 v52, 7, v52
	v_cmp_gt_u32_e32 vcc, 8, v45
	v_cndmask_b32_e32 v22, v51, v22, vcc
	v_cndmask_b32_e32 v24, v24, v52, vcc
	v_lshlrev_b32_e32 v45, 16, v25
	v_bfrev_b32_e32 v51, 60
	v_lshlrev_b32_e32 v24, 20, v24
	v_and_b32_e32 v45, 0x80000000, v45
	v_lshl_add_u32 v22, v22, 23, v51
	v_or3_b32 v22, v45, v22, v24
	v_lshrrev_b32_e32 v24, 16, v22
.LBB862_381:
	s_or_b64 exec, exec, s[12:13]
.LBB862_382:
	s_or_b64 exec, exec, s[10:11]
.LBB862_383:
	s_or_b64 exec, exec, s[2:3]
	s_movk_i32 s2, 0xff
	v_and_b32_sdwa v45, v25, s2 dst_sel:DWORD dst_unused:UNUSED_PAD src0_sel:WORD_1 src1_sel:DWORD
	v_lshrrev_b32_e32 v22, 16, v25
	v_cmp_ne_u16_e32 vcc, 0, v45
	v_mov_b32_e32 v51, 0
	v_mov_b32_e32 v52, 0
	s_and_saveexec_b64 s[2:3], vcc
	s_cbranch_execz .LBB862_389
; %bb.384:
	s_movk_i32 s10, 0x80
	v_cmp_ne_u16_e32 vcc, s10, v45
	v_mov_b32_e32 v52, 0xffff8000
	s_and_saveexec_b64 s[10:11], vcc
	s_cbranch_execz .LBB862_388
; %bb.385:
	v_bfe_u32 v45, v25, 16, 7
	s_movk_i32 s12, 0x7f
	v_cmp_ne_u32_e32 vcc, s12, v45
	v_mov_b32_e32 v52, 0x7f80
	s_and_saveexec_b64 s[12:13], vcc
	s_cbranch_execz .LBB862_387
; %bb.386:
	v_and_b32_e32 v54, 7, v22
	v_ffbh_u32_e32 v52, v54
	v_min_u32_e32 v56, 32, v52
	v_subrev_u32_e32 v52, 28, v56
	v_lshlrev_b64 v[52:53], v52, v[22:23]
	v_and_b32_e32 v52, 7, v52
	v_cmp_gt_u32_e32 vcc, 8, v45
	v_lshrrev_b32_e32 v55, 3, v45
	v_sub_u32_e32 v22, 29, v56
	v_cndmask_b32_e32 v45, v54, v52, vcc
	v_mov_b32_e32 v52, 24
	v_cndmask_b32_e32 v22, v55, v22, vcc
	v_lshlrev_b32_sdwa v52, v52, v25 dst_sel:DWORD dst_unused:UNUSED_PAD src0_sel:DWORD src1_sel:WORD_1
	v_bfrev_b32_e32 v53, 60
	v_lshlrev_b32_e32 v45, 20, v45
	v_and_b32_e32 v52, 0x80000000, v52
	v_lshl_add_u32 v22, v22, 23, v53
	v_or3_b32 v22, v52, v22, v45
	v_lshrrev_b32_e32 v52, 16, v22
.LBB862_387:
	s_or_b64 exec, exec, s[12:13]
.LBB862_388:
	s_or_b64 exec, exec, s[10:11]
.LBB862_389:
	s_or_b64 exec, exec, s[2:3]
	s_mov_b32 s2, 0xffffff
	v_and_b32_e32 v45, 63, v0
	v_cmp_lt_u32_e32 vcc, s2, v25
	s_and_saveexec_b64 s[2:3], vcc
	s_cbranch_execz .LBB862_395
; %bb.390:
	v_lshrrev_b32_e32 v22, 24, v25
	s_movk_i32 s10, 0x80
	v_cmp_ne_u32_e32 vcc, s10, v22
	v_mov_b32_e32 v51, 0xffff8000
	s_and_saveexec_b64 s[10:11], vcc
	s_cbranch_execz .LBB862_394
; %bb.391:
	v_bfe_u32 v25, v25, 24, 7
	s_movk_i32 s12, 0x7f
	v_cmp_ne_u32_e32 vcc, s12, v25
	v_mov_b32_e32 v51, 0x7f80
	s_and_saveexec_b64 s[12:13], vcc
	s_cbranch_execz .LBB862_393
; %bb.392:
	v_and_b32_e32 v51, 7, v22
	v_ffbh_u32_e32 v54, v51
	v_min_u32_e32 v56, 32, v54
	v_subrev_u32_e32 v54, 28, v56
	v_lshlrev_b64 v[54:55], v54, v[22:23]
	v_lshrrev_b32_e32 v53, 3, v25
	v_sub_u32_e32 v55, 29, v56
	v_and_b32_e32 v54, 7, v54
	v_cmp_gt_u32_e32 vcc, 8, v25
	v_cndmask_b32_e32 v25, v53, v55, vcc
	v_cndmask_b32_e32 v51, v51, v54, vcc
	v_lshlrev_b32_e32 v22, 24, v22
	v_bfrev_b32_e32 v53, 60
	v_lshlrev_b32_e32 v51, 20, v51
	v_and_b32_e32 v22, 0x80000000, v22
	v_lshl_add_u32 v25, v25, 23, v53
	v_or3_b32 v22, v22, v25, v51
	v_lshrrev_b32_e32 v51, 16, v22
.LBB862_393:
	s_or_b64 exec, exec, s[12:13]
.LBB862_394:
	s_or_b64 exec, exec, s[10:11]
.LBB862_395:
	s_or_b64 exec, exec, s[2:3]
	s_mov_b32 s3, 0x5040100
	v_perm_b32 v43, v43, v44, s3
	v_perm_b32 v42, v23, v42, s3
	s_load_dword s2, s[4:5], 0x1c
	s_mov_b32 s46, 0xff7fffff
	s_waitcnt lgkmcnt(0)
	v_mfma_f32_16x16x16bf16_1k v[26:29], v[42:43], v[18:19], v[26:29]
	v_perm_b32 v19, v51, v52, s3
	v_perm_b32 v18, v24, v50, s3
	v_and_b32_e32 v24, 0xc0, v0
	v_mov_b32_e32 v22, s2
	v_add_u32_e32 v24, s20, v24
	v_mul_f32_e32 v44, s14, v22
	v_lshl_or_b32 v42, v46, 2, v24
	v_mfma_f32_16x16x16bf16_1k v[18:21], v[18:19], v[20:21], v[26:29]
	v_pk_mul_f32 v[22:23], v[44:45], v[36:37] op_sel_hi:[0,1]
	v_pk_mul_f32 v[36:37], v[44:45], v[40:41] op_sel_hi:[0,1]
	;; [unrolled: 1-line block ×4, first 2 shown]
	v_mov_b32_e32 v43, 0xff7fffff
	v_cmp_gt_i32_e64 s[26:27], s33, v42
	v_pk_mul_f32 v[38:39], v[44:45], v[38:39] op_sel_hi:[0,1]
	s_nop 3
	v_pk_mul_f32 v[32:33], v[44:45], v[18:19] op_sel_hi:[0,1]
	v_or_b32_e32 v19, 1, v42
	v_cmp_gt_i32_e64 s[28:29], s33, v19
	v_cndmask_b32_e64 v18, v43, v30, s[26:27]
	v_cndmask_b32_e64 v19, v43, v31, s[28:29]
	v_pk_mul_f32 v[24:25], v[44:45], v[20:21] op_sel_hi:[0,1]
	v_max3_f32 v18, v18, s46, v19
	v_or_b32_e32 v19, 2, v42
	v_or_b32_e32 v20, 3, v42
	v_cmp_gt_i32_e64 s[30:31], s33, v19
	v_cmp_gt_i32_e64 s[34:35], s33, v20
	v_cndmask_b32_e64 v19, v43, v40, s[30:31]
	v_cndmask_b32_e64 v20, v43, v41, s[34:35]
	v_max3_f32 v18, v18, v19, v20
	v_or_b32_e32 v19, 16, v42
	v_or_b32_e32 v20, 17, v42
	v_cmp_gt_i32_e64 s[36:37], s33, v19
	v_cmp_gt_i32_e64 s[38:39], s33, v20
	v_cndmask_b32_e64 v19, v43, v38, s[36:37]
	v_cndmask_b32_e64 v20, v43, v39, s[38:39]
	;; [unrolled: 7-line block ×3, first 2 shown]
	v_max3_f32 v18, v18, v19, v20
	v_or_b32_e32 v19, 32, v42
	v_or_b32_e32 v20, 33, v42
	v_pk_mul_f32 v[34:35], v[44:45], v[34:35] op_sel_hi:[0,1]
	v_cmp_gt_i32_e64 s[16:17], s33, v19
	v_cmp_gt_i32_e64 s[18:19], s33, v20
	v_cndmask_b32_e64 v19, v43, v34, s[16:17]
	v_cndmask_b32_e64 v20, v43, v35, s[18:19]
	v_max3_f32 v18, v18, v19, v20
	v_or_b32_e32 v19, 34, v42
	v_or_b32_e32 v20, 35, v42
	v_cmp_gt_i32_e64 s[12:13], s33, v19
	v_cmp_gt_i32_e64 s[14:15], s33, v20
	v_cndmask_b32_e64 v19, v43, v22, s[12:13]
	v_cndmask_b32_e64 v20, v43, v23, s[14:15]
	v_max3_f32 v18, v18, v19, v20
	v_or_b32_e32 v19, 48, v42
	v_or_b32_e32 v20, 49, v42
	;; [unrolled: 7-line block ×3, first 2 shown]
	v_cmp_gt_i32_e32 vcc, s33, v19
	v_cmp_gt_i32_e64 s[2:3], s33, v20
	v_cndmask_b32_e32 v19, v43, v24, vcc
	v_cndmask_b32_e64 v20, v43, v25, s[2:3]
	v_max3_f32 v18, v18, v19, v20
	v_mbcnt_lo_u32_b32 v19, -1, 0
	v_mbcnt_hi_u32_b32 v19, -1, v19
	v_and_b32_e32 v20, 64, v19
	v_add_u32_e32 v20, 64, v20
	v_xor_b32_e32 v21, 32, v19
	v_cmp_lt_i32_e64 s[40:41], v21, v20
	v_cndmask_b32_e64 v21, v19, v21, s[40:41]
	v_lshlrev_b32_e32 v43, 2, v21
	ds_bpermute_b32 v21, v43, v18
	s_barrier
	s_waitcnt lgkmcnt(0)
	v_max_f32_e32 v21, v21, v21
	v_max_f32_e32 v18, v18, v21
	v_xor_b32_e32 v21, 16, v19
	v_cmp_lt_i32_e64 s[40:41], v21, v20
	v_cndmask_b32_e64 v19, v19, v21, s[40:41]
	v_lshlrev_b32_e32 v44, 2, v19
	ds_bpermute_b32 v19, v44, v18
	s_waitcnt lgkmcnt(0)
	v_max_f32_e32 v19, v19, v19
	v_max_f32_e32 v42, v18, v19
	v_sub_f32_e32 v21, v40, v42
	v_sub_f32_e32 v26, v41, v42
	v_mul_f32_e32 v21, 0x3fb8aa3b, v21
	v_mul_f32_e32 v26, 0x3fb8aa3b, v26
	v_sub_f32_e32 v18, v30, v42
	v_exp_f32_e32 v21, v21
	v_exp_f32_e32 v26, v26
	v_mul_f32_e32 v18, 0x3fb8aa3b, v18
	v_sub_f32_e32 v19, v31, v42
	v_exp_f32_e32 v18, v18
	v_mul_f32_e32 v19, 0x3fb8aa3b, v19
	v_exp_f32_e32 v19, v19
	v_cndmask_b32_e64 v28, 0, v21, s[30:31]
	v_cndmask_b32_e64 v29, 0, v26, s[34:35]
	v_sub_f32_e32 v21, v38, v42
	v_sub_f32_e32 v26, v39, v42
	v_mul_f32_e32 v21, 0x3fb8aa3b, v21
	v_mul_f32_e32 v26, 0x3fb8aa3b, v26
	v_cndmask_b32_e64 v18, 0, v18, s[26:27]
	v_exp_f32_e32 v21, v21
	v_exp_f32_e32 v26, v26
	v_add_f32_e32 v20, 0, v18
	v_cndmask_b32_e64 v19, 0, v19, s[28:29]
	v_add_f32_e32 v20, v20, v19
	v_add_f32_e32 v20, v20, v28
	;; [unrolled: 1-line block ×3, first 2 shown]
	v_cndmask_b32_e64 v20, 0, v21, s[36:37]
	v_cndmask_b32_e64 v21, 0, v26, s[38:39]
	v_sub_f32_e32 v26, v36, v42
	v_mul_f32_e32 v26, 0x3fb8aa3b, v26
	v_exp_f32_e32 v26, v26
	v_sub_f32_e32 v30, v37, v42
	v_add_f32_e32 v27, v27, v20
	v_mul_f32_e32 v30, 0x3fb8aa3b, v30
	v_exp_f32_e32 v31, v30
	v_add_f32_e32 v27, v27, v21
	v_cndmask_b32_e64 v30, 0, v26, s[20:21]
	v_add_f32_e32 v26, v27, v30
	v_sub_f32_e32 v27, v34, v42
	v_mul_f32_e32 v27, 0x3fb8aa3b, v27
	v_sub_f32_e32 v34, v35, v42
	v_exp_f32_e32 v27, v27
	v_mul_f32_e32 v34, 0x3fb8aa3b, v34
	v_sub_f32_e32 v22, v22, v42
	v_exp_f32_e32 v34, v34
	;; [unrolled: 3-line block ×3, first 2 shown]
	v_mul_f32_e32 v23, 0x3fb8aa3b, v23
	v_cndmask_b32_e64 v31, 0, v31, s[22:23]
	v_exp_f32_e32 v23, v23
	v_add_f32_e32 v35, v26, v31
	v_cndmask_b32_e64 v26, 0, v27, s[16:17]
	v_add_f32_e32 v35, v35, v26
	v_cndmask_b32_e64 v27, 0, v34, s[18:19]
	;; [unrolled: 2-line block ×4, first 2 shown]
	v_sub_f32_e32 v23, v32, v42
	v_mul_f32_e32 v23, 0x3fb8aa3b, v23
	v_sub_f32_e32 v32, v33, v42
	v_exp_f32_e32 v23, v23
	v_mul_f32_e32 v32, 0x3fb8aa3b, v32
	v_sub_f32_e32 v24, v24, v42
	v_exp_f32_e32 v32, v32
	;; [unrolled: 3-line block ×3, first 2 shown]
	v_mul_f32_e32 v25, 0x3fb8aa3b, v25
	v_exp_f32_e32 v25, v25
	v_add_f32_e32 v33, v22, v35
	v_cndmask_b32_e64 v22, 0, v23, s[24:25]
	v_add_f32_e32 v33, v33, v22
	v_cndmask_b32_e64 v23, 0, v32, s[10:11]
	v_add_f32_e32 v32, v33, v23
	v_cndmask_b32_e32 v24, 0, v24, vcc
	v_add_f32_e32 v32, v32, v24
	v_cndmask_b32_e64 v25, 0, v25, s[2:3]
	v_add_f32_e32 v32, v32, v25
	ds_bpermute_b32 v33, v43, v32
	v_cmp_gt_u32_e64 s[2:3], 16, v45
	s_waitcnt lgkmcnt(0)
	v_add_f32_e32 v33, v32, v33
	ds_bpermute_b32 v36, v44, v33
	v_lshlrev_b32_e32 v32, 2, v49
	s_and_saveexec_b64 s[10:11], s[2:3]
	s_cbranch_execz .LBB862_397
; %bb.396:
	s_waitcnt lgkmcnt(0)
	v_add_f32_e32 v33, v33, v36
	v_lshl_or_b32 v36, v48, 6, v32
	ds_write2st64_b32 v36, v42, v33 offset1:1
.LBB862_397:
	s_or_b64 exec, exec, s[10:11]
	s_waitcnt lgkmcnt(0)
	s_barrier
	ds_read2_b32 v[36:37], v32 offset1:16
	ds_read2_b32 v[38:39], v32 offset0:32 offset1:48
	ds_read2_b32 v[40:41], v32 offset0:64 offset1:80
	;; [unrolled: 1-line block ×3, first 2 shown]
	s_waitcnt lgkmcnt(0)
	v_max3_f32 v33, v36, s46, v37
	v_max3_f32 v33, v33, v38, v39
	v_sub_f32_e32 v36, v36, v33
	v_mul_f32_e32 v36, 0x3fb8aa3b, v36
	v_exp_f32_e32 v44, v36
	v_sub_f32_e32 v36, v37, v33
	v_mul_f32_e32 v36, 0x3fb8aa3b, v36
	v_exp_f32_e32 v37, v36
	v_sub_f32_e32 v36, v38, v33
	v_mul_f32_e32 v36, 0x3fb8aa3b, v36
	v_sub_f32_e32 v32, v39, v33
	v_exp_f32_e32 v38, v36
	v_mul_f32_e32 v32, 0x3fb8aa3b, v32
	v_exp_f32_e32 v39, v32
	v_fma_f32 v36, v44, v40, 0
	v_fmac_f32_e32 v36, v37, v41
	v_fmac_f32_e32 v36, v38, v42
	;; [unrolled: 1-line block ×3, first 2 shown]
	v_add_f32_e32 v40, 0x358637bd, v36
	v_div_scale_f32 v41, s[10:11], v40, v40, 1.0
	v_rcp_f32_e32 v42, v41
	s_movk_i32 s10, 0x7fff
	s_mov_b32 s11, 0x7060302
	s_barrier
	v_fma_f32 v43, -v41, v42, 1.0
	v_fmac_f32_e32 v42, v43, v42
	v_div_scale_f32 v43, vcc, 1.0, v40, 1.0
	v_mul_f32_e32 v45, v43, v42
	v_fma_f32 v50, -v41, v45, v43
	v_fmac_f32_e32 v45, v50, v42
	v_fma_f32 v41, -v41, v45, v43
	v_div_fmas_f32 v41, v41, v42, v45
	v_cmp_eq_u32_e32 vcc, 1, v48
	v_cndmask_b32_e32 v37, v44, v37, vcc
	v_cmp_eq_u32_e32 vcc, 2, v48
	v_cndmask_b32_e32 v37, v37, v38, vcc
	v_cmp_eq_u32_e32 vcc, 3, v48
	v_div_fixup_f32 v40, v41, v40, 1.0
	v_cndmask_b32_e32 v37, v37, v39, vcc
	v_mul_f32_e32 v38, v37, v40
	v_pk_mul_f32 v[18:19], v[38:39], v[18:19] op_sel_hi:[0,1]
	v_pk_mul_f32 v[28:29], v[38:39], v[28:29] op_sel_hi:[0,1]
	v_bfe_u32 v37, v19, 16, 1
	v_bfe_u32 v39, v18, 16, 1
	v_add3_u32 v18, v18, v39, s10
	v_add3_u32 v19, v19, v37, s10
	v_perm_b32 v40, v19, v18, s11
	v_bfe_u32 v18, v29, 16, 1
	v_bfe_u32 v19, v28, 16, 1
	v_add3_u32 v19, v28, v19, s10
	v_add3_u32 v18, v29, v18, s10
	v_perm_b32 v41, v18, v19, s11
	v_lshlrev_b32_e32 v18, 3, v46
	v_lshlrev_b32_e32 v19, 5, v49
	;; [unrolled: 1-line block ×3, first 2 shown]
	v_pk_mul_f32 v[20:21], v[38:39], v[20:21] op_sel_hi:[0,1]
	v_or3_b32 v28, v28, v19, v18
	v_bfe_u32 v18, v21, 16, 1
	v_bfe_u32 v29, v20, 16, 1
	v_pk_mul_f32 v[30:31], v[38:39], v[30:31] op_sel_hi:[0,1]
	v_add3_u32 v20, v20, v29, s10
	v_add3_u32 v18, v21, v18, s10
	v_perm_b32 v20, v18, v20, s11
	v_bfe_u32 v18, v31, 16, 1
	v_bfe_u32 v21, v30, 16, 1
	v_add3_u32 v21, v30, v21, s10
	v_add3_u32 v18, v31, v18, s10
	v_pk_mul_f32 v[26:27], v[38:39], v[26:27] op_sel_hi:[0,1]
	v_perm_b32 v21, v18, v21, s11
	v_bfe_u32 v18, v27, 16, 1
	v_bfe_u32 v29, v26, 16, 1
	ds_write2st64_b64 v28, v[40:41], v[20:21] offset1:1
	v_pk_mul_f32 v[20:21], v[38:39], v[34:35] op_sel_hi:[0,1]
	v_add3_u32 v26, v26, v29, s10
	v_add3_u32 v18, v27, v18, s10
	v_perm_b32 v26, v18, v26, s11
	v_bfe_u32 v18, v21, 16, 1
	v_bfe_u32 v27, v20, 16, 1
	v_add3_u32 v20, v20, v27, s10
	v_add3_u32 v18, v21, v18, s10
	v_pk_mul_f32 v[22:23], v[38:39], v[22:23] op_sel_hi:[0,1]
	v_perm_b32 v27, v18, v20, s11
	v_pk_mul_f32 v[20:21], v[38:39], v[24:25] op_sel_hi:[0,1]
	v_bfe_u32 v18, v23, 16, 1
	v_bfe_u32 v24, v22, 16, 1
	v_add3_u32 v22, v22, v24, s10
	v_add3_u32 v18, v23, v18, s10
	v_perm_b32 v22, v18, v22, s11
	v_bfe_u32 v18, v21, 16, 1
	v_bfe_u32 v23, v20, 16, 1
	v_add3_u32 v20, v20, v23, s10
	v_add3_u32 v18, v21, v18, s10
	v_mov_b32_e32 v32, 0
	v_perm_b32 v23, v18, v20, s11
	v_cmp_eq_u32_e32 vcc, 0, v0
	ds_write2st64_b64 v28, v[26:27], v[22:23] offset0:2 offset1:3
	s_and_saveexec_b64 s[10:11], vcc
	s_cbranch_execz .LBB862_399
; %bb.398:
	s_mul_i32 s7, s7, s45
	s_mul_hi_u32 s16, s6, s45
	s_add_i32 s16, s16, s7
	s_mul_i32 s7, s6, s45
	s_add_u32 s7, s7, s8
	s_addc_u32 s16, s16, 0
	s_load_dwordx4 s[12:15], s[4:5], 0x58
	s_mul_i32 s16, s16, s44
	s_mul_hi_u32 s17, s7, s44
	s_add_i32 s17, s17, s16
	s_mul_i32 s7, s7, s44
	s_add_u32 s16, s7, s9
	s_addc_u32 s17, s17, 0
	s_lshl_b64 s[16:17], s[16:17], 2
	s_waitcnt lgkmcnt(0)
	s_add_u32 s14, s14, s16
	s_addc_u32 s15, s15, s17
	s_add_u32 s12, s12, s16
	s_addc_u32 s13, s13, s17
	global_store_dword v32, v33, s[14:15]
	global_store_dword v32, v36, s[12:13]
.LBB862_399:
	s_or_b64 exec, exec, s[10:11]
	s_waitcnt vmcnt(3)
	v_cmp_ne_u16_sdwa s[12:13], v14, v32 src0_sel:BYTE_0 src1_sel:DWORD
	s_waitcnt lgkmcnt(0)
	s_barrier
	s_and_saveexec_b64 s[10:11], s[12:13]
	s_cbranch_execz .LBB862_405
; %bb.400:
	s_movk_i32 s7, 0x80
	v_cmp_ne_u16_sdwa s[14:15], v14, s7 src0_sel:BYTE_0 src1_sel:DWORD
	v_mov_b32_e32 v32, 0xffff8000
	s_and_saveexec_b64 s[12:13], s[14:15]
	s_cbranch_execz .LBB862_404
; %bb.401:
	s_movk_i32 s7, 0x7f
	v_and_b32_e32 v18, 0x7f, v14
	v_cmp_ne_u32_e32 vcc, s7, v18
	v_mov_b32_e32 v32, 0x7f80
	s_and_saveexec_b64 s[14:15], vcc
	s_cbranch_execz .LBB862_403
; %bb.402:
	v_and_b32_e32 v22, 7, v14
	v_ffbh_u32_e32 v20, v22
	v_min_u32_e32 v24, 32, v20
	v_subrev_u32_e32 v20, 28, v24
	v_lshlrev_b64 v[20:21], v20, v[14:15]
	v_lshrrev_b32_e32 v23, 3, v18
	v_sub_u32_e32 v21, 29, v24
	v_and_b32_e32 v20, 7, v20
	v_cmp_gt_u32_e32 vcc, 8, v18
	v_cndmask_b32_e32 v18, v23, v21, vcc
	v_cndmask_b32_e32 v20, v22, v20, vcc
	v_lshlrev_b32_e32 v21, 24, v14
	v_bfrev_b32_e32 v22, 60
	v_lshlrev_b32_e32 v20, 20, v20
	v_and_b32_e32 v21, 0x80000000, v21
	v_lshl_add_u32 v18, v18, 23, v22
	v_or3_b32 v18, v21, v18, v20
	v_lshrrev_b32_e32 v32, 16, v18
.LBB862_403:
	s_or_b64 exec, exec, s[14:15]
.LBB862_404:
	s_or_b64 exec, exec, s[12:13]
.LBB862_405:
	s_or_b64 exec, exec, s[10:11]
	v_lshrrev_b16_e32 v18, 8, v14
	v_cmp_ne_u16_e32 vcc, 0, v18
	v_mov_b32_e32 v21, 0
	v_mov_b32_e32 v20, 0
	s_and_saveexec_b64 s[10:11], vcc
	s_cbranch_execz .LBB862_411
; %bb.406:
	s_movk_i32 s7, 0x80
	v_cmp_ne_u16_e32 vcc, s7, v18
	v_mov_b32_e32 v20, 0xffff8000
	s_and_saveexec_b64 s[12:13], vcc
	s_cbranch_execz .LBB862_410
; %bb.407:
	s_movk_i32 s7, 0x7f
	v_and_b32_e32 v22, 0x7f, v18
	v_cmp_ne_u32_e32 vcc, s7, v22
	v_mov_b32_e32 v20, 0x7f80
	s_and_saveexec_b64 s[14:15], vcc
	s_cbranch_execz .LBB862_409
; %bb.408:
	v_and_b32_e32 v20, 7, v18
	v_ffbh_u32_e32 v24, v20
	v_min_u32_e32 v26, 32, v24
	v_subrev_u32_e32 v24, 28, v26
	v_lshlrev_b64 v[24:25], v24, v[18:19]
	v_lshrrev_b32_e32 v23, 3, v22
	v_sub_u32_e32 v18, 29, v26
	v_and_b32_e32 v24, 7, v24
	v_cmp_gt_u32_e32 vcc, 8, v22
	v_cndmask_b32_e32 v18, v23, v18, vcc
	v_cndmask_b32_e32 v20, v20, v24, vcc
	v_lshlrev_b32_e32 v22, 16, v14
	v_bfrev_b32_e32 v23, 60
	v_lshlrev_b32_e32 v20, 20, v20
	v_and_b32_e32 v22, 0x80000000, v22
	v_lshl_add_u32 v18, v18, 23, v23
	v_or3_b32 v18, v22, v18, v20
	v_lshrrev_b32_e32 v20, 16, v18
.LBB862_409:
	s_or_b64 exec, exec, s[14:15]
.LBB862_410:
	s_or_b64 exec, exec, s[12:13]
.LBB862_411:
	s_or_b64 exec, exec, s[10:11]
	s_movk_i32 s7, 0xff
	v_and_b32_sdwa v22, v14, s7 dst_sel:DWORD dst_unused:UNUSED_PAD src0_sel:WORD_1 src1_sel:DWORD
	v_lshrrev_b32_e32 v18, 16, v14
	v_cmp_ne_u16_e32 vcc, 0, v22
	s_and_saveexec_b64 s[10:11], vcc
	s_cbranch_execz .LBB862_417
; %bb.412:
	s_movk_i32 s7, 0x80
	v_cmp_ne_u16_e32 vcc, s7, v22
	v_mov_b32_e32 v21, 0xffff8000
	s_and_saveexec_b64 s[12:13], vcc
	s_cbranch_execz .LBB862_416
; %bb.413:
	v_bfe_u32 v22, v14, 16, 7
	s_movk_i32 s7, 0x7f
	v_cmp_ne_u32_e32 vcc, s7, v22
	v_mov_b32_e32 v21, 0x7f80
	s_and_saveexec_b64 s[14:15], vcc
	s_cbranch_execz .LBB862_415
; %bb.414:
	v_and_b32_e32 v21, 7, v18
	v_ffbh_u32_e32 v24, v21
	v_min_u32_e32 v26, 32, v24
	v_subrev_u32_e32 v24, 28, v26
	v_lshlrev_b64 v[24:25], v24, v[18:19]
	v_lshrrev_b32_e32 v23, 3, v22
	v_sub_u32_e32 v18, 29, v26
	v_and_b32_e32 v24, 7, v24
	v_cmp_gt_u32_e32 vcc, 8, v22
	v_mov_b32_e32 v22, 24
	v_cndmask_b32_e32 v18, v23, v18, vcc
	v_cndmask_b32_e32 v21, v21, v24, vcc
	v_lshlrev_b32_sdwa v22, v22, v14 dst_sel:DWORD dst_unused:UNUSED_PAD src0_sel:DWORD src1_sel:WORD_1
	v_bfrev_b32_e32 v23, 60
	v_lshlrev_b32_e32 v21, 20, v21
	v_and_b32_e32 v22, 0x80000000, v22
	v_lshl_add_u32 v18, v18, 23, v23
	v_or3_b32 v18, v22, v18, v21
	v_lshrrev_b32_e32 v21, 16, v18
.LBB862_415:
	s_or_b64 exec, exec, s[14:15]
.LBB862_416:
	s_or_b64 exec, exec, s[12:13]
.LBB862_417:
	s_or_b64 exec, exec, s[10:11]
	s_mov_b32 s7, 0xffffff
	v_cmp_lt_u32_e32 vcc, s7, v14
	v_mov_b32_e32 v24, 0
	v_mov_b32_e32 v22, 0
	s_and_saveexec_b64 s[10:11], vcc
	s_cbranch_execz .LBB862_423
; %bb.418:
	v_lshrrev_b32_e32 v18, 24, v14
	s_movk_i32 s7, 0x80
	v_cmp_ne_u32_e32 vcc, s7, v18
	v_mov_b32_e32 v22, 0xffff8000
	s_and_saveexec_b64 s[12:13], vcc
	s_cbranch_execz .LBB862_422
; %bb.419:
	v_bfe_u32 v14, v14, 24, 7
	s_movk_i32 s7, 0x7f
	v_cmp_ne_u32_e32 vcc, s7, v14
	v_mov_b32_e32 v22, 0x7f80
	s_and_saveexec_b64 s[14:15], vcc
	s_cbranch_execz .LBB862_421
; %bb.420:
	v_and_b32_e32 v25, 7, v18
	v_ffbh_u32_e32 v22, v25
	v_min_u32_e32 v27, 32, v22
	v_subrev_u32_e32 v22, 28, v27
	v_lshlrev_b64 v[22:23], v22, v[18:19]
	v_lshrrev_b32_e32 v26, 3, v14
	v_sub_u32_e32 v23, 29, v27
	v_and_b32_e32 v22, 7, v22
	v_cmp_gt_u32_e32 vcc, 8, v14
	v_cndmask_b32_e32 v14, v26, v23, vcc
	v_cndmask_b32_e32 v22, v25, v22, vcc
	v_lshlrev_b32_e32 v18, 24, v18
	v_bfrev_b32_e32 v23, 60
	v_lshlrev_b32_e32 v22, 20, v22
	v_and_b32_e32 v18, 0x80000000, v18
	v_lshl_add_u32 v14, v14, 23, v23
	v_or3_b32 v14, v18, v14, v22
	v_lshrrev_b32_e32 v22, 16, v14
.LBB862_421:
	s_or_b64 exec, exec, s[14:15]
.LBB862_422:
	s_or_b64 exec, exec, s[12:13]
.LBB862_423:
	s_or_b64 exec, exec, s[10:11]
	v_cmp_ne_u16_sdwa s[12:13], v15, v24 src0_sel:BYTE_0 src1_sel:DWORD
	s_and_saveexec_b64 s[10:11], s[12:13]
	s_cbranch_execz .LBB862_429
; %bb.424:
	s_movk_i32 s7, 0x80
	v_cmp_ne_u16_sdwa s[14:15], v15, s7 src0_sel:BYTE_0 src1_sel:DWORD
	v_mov_b32_e32 v24, 0xffff8000
	s_and_saveexec_b64 s[12:13], s[14:15]
	s_cbranch_execz .LBB862_428
; %bb.425:
	s_movk_i32 s7, 0x7f
	v_and_b32_e32 v14, 0x7f, v15
	v_cmp_ne_u32_e32 vcc, s7, v14
	v_mov_b32_e32 v24, 0x7f80
	s_and_saveexec_b64 s[14:15], vcc
	s_cbranch_execz .LBB862_427
; %bb.426:
	v_and_b32_e32 v23, 7, v15
	v_ffbh_u32_e32 v24, v23
	v_min_u32_e32 v27, 32, v24
	v_mov_b32_e32 v18, v15
	v_subrev_u32_e32 v24, 28, v27
	v_lshlrev_b64 v[24:25], v24, v[18:19]
	v_lshrrev_b32_e32 v26, 3, v14
	v_sub_u32_e32 v18, 29, v27
	v_and_b32_e32 v24, 7, v24
	v_cmp_gt_u32_e32 vcc, 8, v14
	v_cndmask_b32_e32 v14, v26, v18, vcc
	v_cndmask_b32_e32 v18, v23, v24, vcc
	v_lshlrev_b32_e32 v23, 24, v15
	v_bfrev_b32_e32 v24, 60
	v_lshlrev_b32_e32 v18, 20, v18
	v_and_b32_e32 v23, 0x80000000, v23
	v_lshl_add_u32 v14, v14, 23, v24
	v_or3_b32 v14, v23, v14, v18
	v_lshrrev_b32_e32 v24, 16, v14
.LBB862_427:
	s_or_b64 exec, exec, s[14:15]
.LBB862_428:
	s_or_b64 exec, exec, s[12:13]
.LBB862_429:
	s_or_b64 exec, exec, s[10:11]
	v_lshrrev_b16_e32 v14, 8, v15
	v_cmp_ne_u16_e32 vcc, 0, v14
	v_mov_b32_e32 v25, 0
	v_mov_b32_e32 v18, 0
	s_and_saveexec_b64 s[10:11], vcc
	s_cbranch_execz .LBB862_435
; %bb.430:
	s_movk_i32 s7, 0x80
	v_cmp_ne_u16_e32 vcc, s7, v14
	v_mov_b32_e32 v18, 0xffff8000
	s_and_saveexec_b64 s[12:13], vcc
	s_cbranch_execz .LBB862_434
; %bb.431:
	s_movk_i32 s7, 0x7f
	v_and_b32_e32 v23, 0x7f, v14
	v_cmp_ne_u32_e32 vcc, s7, v23
	v_mov_b32_e32 v18, 0x7f80
	s_and_saveexec_b64 s[14:15], vcc
	s_cbranch_execz .LBB862_433
; %bb.432:
	v_and_b32_e32 v18, 7, v14
	v_ffbh_u32_e32 v26, v18
	v_min_u32_e32 v30, 32, v26
	v_subrev_u32_e32 v26, 28, v30
	v_lshlrev_b64 v[26:27], v26, v[14:15]
	v_lshrrev_b32_e32 v29, 3, v23
	v_sub_u32_e32 v14, 29, v30
	v_and_b32_e32 v26, 7, v26
	v_cmp_gt_u32_e32 vcc, 8, v23
	v_cndmask_b32_e32 v14, v29, v14, vcc
	v_cndmask_b32_e32 v18, v18, v26, vcc
	v_lshlrev_b32_e32 v23, 16, v15
	v_bfrev_b32_e32 v26, 60
	v_lshlrev_b32_e32 v18, 20, v18
	v_and_b32_e32 v23, 0x80000000, v23
	v_lshl_add_u32 v14, v14, 23, v26
	v_or3_b32 v14, v23, v14, v18
	v_lshrrev_b32_e32 v18, 16, v14
.LBB862_433:
	s_or_b64 exec, exec, s[14:15]
.LBB862_434:
	s_or_b64 exec, exec, s[12:13]
.LBB862_435:
	s_or_b64 exec, exec, s[10:11]
	s_movk_i32 s7, 0xff
	v_and_b32_sdwa v23, v15, s7 dst_sel:DWORD dst_unused:UNUSED_PAD src0_sel:WORD_1 src1_sel:DWORD
	v_lshrrev_b32_e32 v14, 16, v15
	v_cmp_ne_u16_e32 vcc, 0, v23
	s_and_saveexec_b64 s[10:11], vcc
	s_cbranch_execz .LBB862_441
; %bb.436:
	s_movk_i32 s7, 0x80
	v_cmp_ne_u16_e32 vcc, s7, v23
	v_mov_b32_e32 v25, 0xffff8000
	s_and_saveexec_b64 s[12:13], vcc
	s_cbranch_execz .LBB862_440
; %bb.437:
	v_bfe_u32 v23, v15, 16, 7
	s_movk_i32 s7, 0x7f
	v_cmp_ne_u32_e32 vcc, s7, v23
	v_mov_b32_e32 v25, 0x7f80
	s_and_saveexec_b64 s[14:15], vcc
	s_cbranch_execz .LBB862_439
; %bb.438:
	v_and_b32_e32 v25, 7, v14
	v_ffbh_u32_e32 v26, v25
	v_min_u32_e32 v30, 32, v26
	v_subrev_u32_e32 v26, 28, v30
	v_lshlrev_b64 v[26:27], v26, v[14:15]
	v_and_b32_e32 v26, 7, v26
	v_cmp_gt_u32_e32 vcc, 8, v23
	v_lshrrev_b32_e32 v29, 3, v23
	v_sub_u32_e32 v14, 29, v30
	v_cndmask_b32_e32 v23, v25, v26, vcc
	v_mov_b32_e32 v25, 24
	v_cndmask_b32_e32 v14, v29, v14, vcc
	v_lshlrev_b32_sdwa v25, v25, v15 dst_sel:DWORD dst_unused:UNUSED_PAD src0_sel:DWORD src1_sel:WORD_1
	v_bfrev_b32_e32 v26, 60
	v_lshlrev_b32_e32 v23, 20, v23
	v_and_b32_e32 v25, 0x80000000, v25
	v_lshl_add_u32 v14, v14, 23, v26
	v_or3_b32 v14, v25, v14, v23
	v_lshrrev_b32_e32 v25, 16, v14
.LBB862_439:
	s_or_b64 exec, exec, s[14:15]
.LBB862_440:
	s_or_b64 exec, exec, s[12:13]
.LBB862_441:
	s_or_b64 exec, exec, s[10:11]
	s_mov_b32 s7, 0xffffff
	v_cmp_lt_u32_e32 vcc, s7, v15
	v_mov_b32_e32 v23, 0
	v_mov_b32_e32 v26, 0
	s_and_saveexec_b64 s[10:11], vcc
	s_cbranch_execz .LBB862_447
; %bb.442:
	v_lshrrev_b32_e32 v14, 24, v15
	s_movk_i32 s7, 0x80
	v_cmp_ne_u32_e32 vcc, s7, v14
	v_mov_b32_e32 v26, 0xffff8000
	s_and_saveexec_b64 s[12:13], vcc
	s_cbranch_execz .LBB862_446
; %bb.443:
	v_bfe_u32 v15, v15, 24, 7
	s_movk_i32 s7, 0x7f
	v_cmp_ne_u32_e32 vcc, s7, v15
	v_mov_b32_e32 v26, 0x7f80
	s_and_saveexec_b64 s[14:15], vcc
	s_cbranch_execz .LBB862_445
; %bb.444:
	v_and_b32_e32 v29, 7, v14
	v_ffbh_u32_e32 v26, v29
	v_min_u32_e32 v31, 32, v26
	v_subrev_u32_e32 v26, 28, v31
	v_lshlrev_b64 v[26:27], v26, v[14:15]
	v_lshrrev_b32_e32 v30, 3, v15
	v_sub_u32_e32 v27, 29, v31
	v_and_b32_e32 v26, 7, v26
	v_cmp_gt_u32_e32 vcc, 8, v15
	v_cndmask_b32_e32 v15, v30, v27, vcc
	v_cndmask_b32_e32 v26, v29, v26, vcc
	v_lshlrev_b32_e32 v14, 24, v14
	v_bfrev_b32_e32 v27, 60
	v_lshlrev_b32_e32 v26, 20, v26
	v_and_b32_e32 v14, 0x80000000, v14
	v_lshl_add_u32 v15, v15, 23, v27
	v_or3_b32 v14, v14, v15, v26
	v_lshrrev_b32_e32 v26, 16, v14
.LBB862_445:
	s_or_b64 exec, exec, s[14:15]
.LBB862_446:
	s_or_b64 exec, exec, s[12:13]
.LBB862_447:
	s_or_b64 exec, exec, s[10:11]
	s_mov_b32 s7, 0x5040100
	v_perm_b32 v15, v22, v21, s7
	v_lshl_or_b32 v22, v46, 9, v19
	v_perm_b32 v14, v20, v32, s7
	ds_read_b128 v[30:33], v22
	v_cmp_ne_u16_sdwa s[12:13], v16, v23 src0_sel:BYTE_0 src1_sel:DWORD
	s_waitcnt lgkmcnt(0)
	v_mfma_f32_16x16x16bf16_1k v[34:37], v[14:15], v[30:31], 0
	v_perm_b32 v15, v26, v25, s7
	v_perm_b32 v14, v18, v24, s7
	s_nop 1
	v_mfma_f32_16x16x16bf16_1k v[18:21], v[14:15], v[32:33], v[34:37]
	s_and_saveexec_b64 s[10:11], s[12:13]
	s_cbranch_execz .LBB862_453
; %bb.448:
	s_movk_i32 s7, 0x80
	v_cmp_ne_u16_sdwa s[14:15], v16, s7 src0_sel:BYTE_0 src1_sel:DWORD
	v_mov_b32_e32 v23, 0xffff8000
	s_and_saveexec_b64 s[12:13], s[14:15]
	s_cbranch_execz .LBB862_452
; %bb.449:
	s_movk_i32 s7, 0x7f
	v_and_b32_e32 v14, 0x7f, v16
	v_cmp_ne_u32_e32 vcc, s7, v14
	v_mov_b32_e32 v23, 0x7f80
	s_and_saveexec_b64 s[14:15], vcc
	s_cbranch_execz .LBB862_451
; %bb.450:
	v_and_b32_e32 v15, 7, v16
	v_ffbh_u32_e32 v24, v15
	v_min_u32_e32 v26, 32, v24
	v_subrev_u32_e32 v24, 28, v26
	v_lshlrev_b64 v[24:25], v24, v[16:17]
	v_lshrrev_b32_e32 v23, 3, v14
	v_sub_u32_e32 v25, 29, v26
	v_and_b32_e32 v24, 7, v24
	v_cmp_gt_u32_e32 vcc, 8, v14
	v_cndmask_b32_e32 v14, v23, v25, vcc
	v_cndmask_b32_e32 v15, v15, v24, vcc
	v_lshlrev_b32_e32 v23, 24, v16
	v_bfrev_b32_e32 v24, 60
	v_lshlrev_b32_e32 v15, 20, v15
	v_and_b32_e32 v23, 0x80000000, v23
	v_lshl_add_u32 v14, v14, 23, v24
	v_or3_b32 v14, v23, v14, v15
	v_lshrrev_b32_e32 v23, 16, v14
.LBB862_451:
	s_or_b64 exec, exec, s[14:15]
.LBB862_452:
	s_or_b64 exec, exec, s[12:13]
.LBB862_453:
	s_or_b64 exec, exec, s[10:11]
	v_lshrrev_b16_e32 v14, 8, v16
	v_cmp_ne_u16_e32 vcc, 0, v14
	v_mov_b32_e32 v25, 0
	v_mov_b32_e32 v15, 0
	s_and_saveexec_b64 s[10:11], vcc
	s_cbranch_execz .LBB862_459
; %bb.454:
	s_movk_i32 s7, 0x80
	v_cmp_ne_u16_e32 vcc, s7, v14
	v_mov_b32_e32 v15, 0xffff8000
	s_and_saveexec_b64 s[12:13], vcc
	s_cbranch_execz .LBB862_458
; %bb.455:
	s_movk_i32 s7, 0x7f
	v_and_b32_e32 v24, 0x7f, v14
	v_cmp_ne_u32_e32 vcc, s7, v24
	v_mov_b32_e32 v15, 0x7f80
	s_and_saveexec_b64 s[14:15], vcc
	s_cbranch_execz .LBB862_457
; %bb.456:
	v_and_b32_e32 v26, 7, v14
	v_ffbh_u32_e32 v15, v26
	v_min_u32_e32 v29, 32, v15
	v_subrev_u32_e32 v15, 28, v29
	v_lshlrev_b64 v[14:15], v15, v[14:15]
	v_lshrrev_b32_e32 v27, 3, v24
	v_sub_u32_e32 v15, 29, v29
	v_and_b32_e32 v14, 7, v14
	v_cmp_gt_u32_e32 vcc, 8, v24
	v_cndmask_b32_e32 v15, v27, v15, vcc
	v_cndmask_b32_e32 v14, v26, v14, vcc
	v_lshlrev_b32_e32 v24, 16, v16
	v_bfrev_b32_e32 v26, 60
	v_lshlrev_b32_e32 v14, 20, v14
	v_and_b32_e32 v24, 0x80000000, v24
	v_lshl_add_u32 v15, v15, 23, v26
	v_or3_b32 v14, v24, v15, v14
	v_lshrrev_b32_e32 v15, 16, v14
.LBB862_457:
	s_or_b64 exec, exec, s[14:15]
.LBB862_458:
	s_or_b64 exec, exec, s[12:13]
.LBB862_459:
	s_or_b64 exec, exec, s[10:11]
	s_movk_i32 s7, 0xff
	v_and_b32_sdwa v24, v16, s7 dst_sel:DWORD dst_unused:UNUSED_PAD src0_sel:WORD_1 src1_sel:DWORD
	v_lshrrev_b32_e32 v14, 16, v16
	v_cmp_ne_u16_e32 vcc, 0, v24
	s_and_saveexec_b64 s[10:11], vcc
	s_cbranch_execz .LBB862_465
; %bb.460:
	s_movk_i32 s7, 0x80
	v_cmp_ne_u16_e32 vcc, s7, v24
	v_mov_b32_e32 v25, 0xffff8000
	s_and_saveexec_b64 s[12:13], vcc
	s_cbranch_execz .LBB862_464
; %bb.461:
	v_bfe_u32 v24, v16, 16, 7
	s_movk_i32 s7, 0x7f
	v_cmp_ne_u32_e32 vcc, s7, v24
	v_mov_b32_e32 v25, 0x7f80
	s_and_saveexec_b64 s[14:15], vcc
	s_cbranch_execz .LBB862_463
; %bb.462:
	v_and_b32_e32 v25, 7, v14
	v_ffbh_u32_e32 v26, v25
	v_min_u32_e32 v30, 32, v26
	v_subrev_u32_e32 v26, 28, v30
	v_lshlrev_b64 v[26:27], v26, v[14:15]
	v_and_b32_e32 v26, 7, v26
	v_cmp_gt_u32_e32 vcc, 8, v24
	v_lshrrev_b32_e32 v29, 3, v24
	v_sub_u32_e32 v14, 29, v30
	v_cndmask_b32_e32 v24, v25, v26, vcc
	v_mov_b32_e32 v25, 24
	v_cndmask_b32_e32 v14, v29, v14, vcc
	v_lshlrev_b32_sdwa v25, v25, v16 dst_sel:DWORD dst_unused:UNUSED_PAD src0_sel:DWORD src1_sel:WORD_1
	v_bfrev_b32_e32 v26, 60
	v_lshlrev_b32_e32 v24, 20, v24
	v_and_b32_e32 v25, 0x80000000, v25
	v_lshl_add_u32 v14, v14, 23, v26
	v_or3_b32 v14, v25, v14, v24
	v_lshrrev_b32_e32 v25, 16, v14
.LBB862_463:
	s_or_b64 exec, exec, s[14:15]
.LBB862_464:
	s_or_b64 exec, exec, s[12:13]
.LBB862_465:
	s_or_b64 exec, exec, s[10:11]
	s_mov_b32 s7, 0xffffff
	v_cmp_lt_u32_e32 vcc, s7, v16
	v_mov_b32_e32 v26, 0
	v_mov_b32_e32 v27, 0
	s_and_saveexec_b64 s[10:11], vcc
	s_cbranch_execz .LBB862_471
; %bb.466:
	v_lshrrev_b32_e32 v14, 24, v16
	s_movk_i32 s7, 0x80
	v_cmp_ne_u32_e32 vcc, s7, v14
	v_mov_b32_e32 v27, 0xffff8000
	s_and_saveexec_b64 s[12:13], vcc
	s_cbranch_execz .LBB862_470
; %bb.467:
	v_bfe_u32 v16, v16, 24, 7
	s_movk_i32 s7, 0x7f
	v_cmp_ne_u32_e32 vcc, s7, v16
	v_mov_b32_e32 v27, 0x7f80
	s_and_saveexec_b64 s[14:15], vcc
	s_cbranch_execz .LBB862_469
; %bb.468:
	v_and_b32_e32 v24, 7, v14
	v_ffbh_u32_e32 v29, v24
	v_min_u32_e32 v29, 32, v29
	v_subrev_u32_e32 v30, 28, v29
	v_lshlrev_b64 v[30:31], v30, v[14:15]
	v_lshrrev_b32_e32 v27, 3, v16
	v_sub_u32_e32 v29, 29, v29
	v_and_b32_e32 v30, 7, v30
	v_cmp_gt_u32_e32 vcc, 8, v16
	v_cndmask_b32_e32 v16, v27, v29, vcc
	v_cndmask_b32_e32 v24, v24, v30, vcc
	v_lshlrev_b32_e32 v14, 24, v14
	v_bfrev_b32_e32 v27, 60
	v_lshlrev_b32_e32 v24, 20, v24
	v_and_b32_e32 v14, 0x80000000, v14
	v_lshl_add_u32 v16, v16, 23, v27
	v_or3_b32 v14, v14, v16, v24
	v_lshrrev_b32_e32 v27, 16, v14
.LBB862_469:
	s_or_b64 exec, exec, s[14:15]
.LBB862_470:
	s_or_b64 exec, exec, s[12:13]
.LBB862_471:
	s_or_b64 exec, exec, s[10:11]
	v_cmp_ne_u16_sdwa s[12:13], v17, v26 src0_sel:BYTE_0 src1_sel:DWORD
	s_and_saveexec_b64 s[10:11], s[12:13]
	s_cbranch_execz .LBB862_477
; %bb.472:
	s_movk_i32 s7, 0x80
	v_cmp_ne_u16_sdwa s[14:15], v17, s7 src0_sel:BYTE_0 src1_sel:DWORD
	v_mov_b32_e32 v26, 0xffff8000
	s_and_saveexec_b64 s[12:13], s[14:15]
	s_cbranch_execz .LBB862_476
; %bb.473:
	s_movk_i32 s7, 0x7f
	v_and_b32_e32 v14, 0x7f, v17
	v_cmp_ne_u32_e32 vcc, s7, v14
	v_mov_b32_e32 v26, 0x7f80
	s_and_saveexec_b64 s[14:15], vcc
	s_cbranch_execz .LBB862_475
; %bb.474:
	v_and_b32_e32 v24, 7, v17
	v_ffbh_u32_e32 v29, v24
	v_min_u32_e32 v29, 32, v29
	v_mov_b32_e32 v16, v17
	v_subrev_u32_e32 v30, 28, v29
	v_lshlrev_b64 v[30:31], v30, v[16:17]
	v_lshrrev_b32_e32 v26, 3, v14
	v_sub_u32_e32 v16, 29, v29
	v_and_b32_e32 v29, 7, v30
	v_cmp_gt_u32_e32 vcc, 8, v14
	v_cndmask_b32_e32 v14, v26, v16, vcc
	v_cndmask_b32_e32 v16, v24, v29, vcc
	v_lshlrev_b32_e32 v24, 24, v17
	v_bfrev_b32_e32 v26, 60
	v_lshlrev_b32_e32 v16, 20, v16
	v_and_b32_e32 v24, 0x80000000, v24
	v_lshl_add_u32 v14, v14, 23, v26
	v_or3_b32 v14, v24, v14, v16
	v_lshrrev_b32_e32 v26, 16, v14
.LBB862_475:
	s_or_b64 exec, exec, s[14:15]
.LBB862_476:
	s_or_b64 exec, exec, s[12:13]
.LBB862_477:
	s_or_b64 exec, exec, s[10:11]
	v_lshrrev_b16_e32 v14, 8, v17
	v_cmp_ne_u16_e32 vcc, 0, v14
	v_mov_b32_e32 v29, 0
	v_mov_b32_e32 v16, 0
	s_and_saveexec_b64 s[10:11], vcc
	s_cbranch_execz .LBB862_483
; %bb.478:
	s_movk_i32 s7, 0x80
	v_cmp_ne_u16_e32 vcc, s7, v14
	v_mov_b32_e32 v16, 0xffff8000
	s_and_saveexec_b64 s[12:13], vcc
	s_cbranch_execz .LBB862_482
; %bb.479:
	s_movk_i32 s7, 0x7f
	v_and_b32_e32 v24, 0x7f, v14
	v_cmp_ne_u32_e32 vcc, s7, v24
	v_mov_b32_e32 v16, 0x7f80
	s_and_saveexec_b64 s[14:15], vcc
	s_cbranch_execz .LBB862_481
; %bb.480:
	v_and_b32_e32 v16, 7, v14
	v_ffbh_u32_e32 v30, v16
	v_min_u32_e32 v33, 32, v30
	v_subrev_u32_e32 v30, 28, v33
	v_lshlrev_b64 v[30:31], v30, v[14:15]
	v_lshrrev_b32_e32 v32, 3, v24
	v_sub_u32_e32 v14, 29, v33
	v_and_b32_e32 v30, 7, v30
	v_cmp_gt_u32_e32 vcc, 8, v24
	v_cndmask_b32_e32 v14, v32, v14, vcc
	v_cndmask_b32_e32 v16, v16, v30, vcc
	v_lshlrev_b32_e32 v24, 16, v17
	v_bfrev_b32_e32 v30, 60
	v_lshlrev_b32_e32 v16, 20, v16
	v_and_b32_e32 v24, 0x80000000, v24
	v_lshl_add_u32 v14, v14, 23, v30
	v_or3_b32 v14, v24, v14, v16
	v_lshrrev_b32_e32 v16, 16, v14
.LBB862_481:
	s_or_b64 exec, exec, s[14:15]
.LBB862_482:
	s_or_b64 exec, exec, s[12:13]
.LBB862_483:
	s_or_b64 exec, exec, s[10:11]
	s_movk_i32 s7, 0xff
	v_and_b32_sdwa v24, v17, s7 dst_sel:DWORD dst_unused:UNUSED_PAD src0_sel:WORD_1 src1_sel:DWORD
	v_lshrrev_b32_e32 v14, 16, v17
	v_cmp_ne_u16_e32 vcc, 0, v24
	s_and_saveexec_b64 s[10:11], vcc
	s_cbranch_execz .LBB862_489
; %bb.484:
	s_movk_i32 s7, 0x80
	v_cmp_ne_u16_e32 vcc, s7, v24
	v_mov_b32_e32 v29, 0xffff8000
	s_and_saveexec_b64 s[12:13], vcc
	s_cbranch_execz .LBB862_488
; %bb.485:
	v_bfe_u32 v24, v17, 16, 7
	s_movk_i32 s7, 0x7f
	v_cmp_ne_u32_e32 vcc, s7, v24
	v_mov_b32_e32 v29, 0x7f80
	s_and_saveexec_b64 s[14:15], vcc
	s_cbranch_execz .LBB862_487
; %bb.486:
	v_and_b32_e32 v29, 7, v14
	v_ffbh_u32_e32 v30, v29
	v_min_u32_e32 v33, 32, v30
	v_subrev_u32_e32 v30, 28, v33
	v_lshlrev_b64 v[30:31], v30, v[14:15]
	v_and_b32_e32 v30, 7, v30
	v_cmp_gt_u32_e32 vcc, 8, v24
	v_lshrrev_b32_e32 v32, 3, v24
	v_sub_u32_e32 v14, 29, v33
	v_cndmask_b32_e32 v24, v29, v30, vcc
	v_mov_b32_e32 v29, 24
	v_cndmask_b32_e32 v14, v32, v14, vcc
	v_lshlrev_b32_sdwa v29, v29, v17 dst_sel:DWORD dst_unused:UNUSED_PAD src0_sel:DWORD src1_sel:WORD_1
	v_bfrev_b32_e32 v30, 60
	v_lshlrev_b32_e32 v24, 20, v24
	v_and_b32_e32 v29, 0x80000000, v29
	v_lshl_add_u32 v14, v14, 23, v30
	v_or3_b32 v14, v29, v14, v24
	v_lshrrev_b32_e32 v29, 16, v14
.LBB862_487:
	s_or_b64 exec, exec, s[14:15]
.LBB862_488:
	s_or_b64 exec, exec, s[12:13]
.LBB862_489:
	s_or_b64 exec, exec, s[10:11]
	s_mov_b32 s7, 0xffffff
	v_cmp_lt_u32_e32 vcc, s7, v17
	v_mov_b32_e32 v24, 0
	v_mov_b32_e32 v30, 0
	s_and_saveexec_b64 s[10:11], vcc
	s_cbranch_execz .LBB862_495
; %bb.490:
	v_lshrrev_b32_e32 v14, 24, v17
	s_movk_i32 s7, 0x80
	v_cmp_ne_u32_e32 vcc, s7, v14
	v_mov_b32_e32 v30, 0xffff8000
	s_and_saveexec_b64 s[12:13], vcc
	s_cbranch_execz .LBB862_494
; %bb.491:
	v_bfe_u32 v17, v17, 24, 7
	s_movk_i32 s7, 0x7f
	v_cmp_ne_u32_e32 vcc, s7, v17
	v_mov_b32_e32 v30, 0x7f80
	s_and_saveexec_b64 s[14:15], vcc
	s_cbranch_execz .LBB862_493
; %bb.492:
	v_and_b32_e32 v32, 7, v14
	v_ffbh_u32_e32 v30, v32
	v_min_u32_e32 v34, 32, v30
	v_subrev_u32_e32 v30, 28, v34
	v_lshlrev_b64 v[30:31], v30, v[14:15]
	v_lshrrev_b32_e32 v33, 3, v17
	v_sub_u32_e32 v31, 29, v34
	v_and_b32_e32 v30, 7, v30
	v_cmp_gt_u32_e32 vcc, 8, v17
	v_cndmask_b32_e32 v17, v33, v31, vcc
	v_cndmask_b32_e32 v30, v32, v30, vcc
	v_lshlrev_b32_e32 v14, 24, v14
	v_bfrev_b32_e32 v31, 60
	v_lshlrev_b32_e32 v30, 20, v30
	v_and_b32_e32 v14, 0x80000000, v14
	v_lshl_add_u32 v17, v17, 23, v31
	v_or3_b32 v14, v14, v17, v30
	v_lshrrev_b32_e32 v30, 16, v14
.LBB862_493:
	s_or_b64 exec, exec, s[14:15]
.LBB862_494:
	s_or_b64 exec, exec, s[12:13]
.LBB862_495:
	s_or_b64 exec, exec, s[10:11]
	s_mov_b32 s7, 0x5040100
	v_perm_b32 v37, v27, v25, s7
	v_perm_b32 v36, v15, v23, s7
	ds_read_b128 v[32:35], v22 offset:16
	v_perm_b32 v15, v30, v29, s7
	v_perm_b32 v14, v16, v26, s7
	s_waitcnt lgkmcnt(0)
	v_mfma_f32_16x16x16bf16_1k v[18:21], v[36:37], v[32:33], v[18:21]
	s_waitcnt vmcnt(2)
	v_cmp_ne_u16_sdwa s[12:13], v10, v24 src0_sel:BYTE_0 src1_sel:DWORD
	v_mfma_f32_16x16x16bf16_1k v[14:17], v[14:15], v[34:35], v[18:21]
	s_and_saveexec_b64 s[10:11], s[12:13]
	s_cbranch_execz .LBB862_501
; %bb.496:
	s_movk_i32 s7, 0x80
	v_cmp_ne_u16_sdwa s[14:15], v10, s7 src0_sel:BYTE_0 src1_sel:DWORD
	v_mov_b32_e32 v24, 0xffff8000
	s_and_saveexec_b64 s[12:13], s[14:15]
	s_cbranch_execz .LBB862_500
; %bb.497:
	s_movk_i32 s7, 0x7f
	v_and_b32_e32 v18, 0x7f, v10
	v_cmp_ne_u32_e32 vcc, s7, v18
	v_mov_b32_e32 v24, 0x7f80
	s_and_saveexec_b64 s[14:15], vcc
	s_cbranch_execz .LBB862_499
; %bb.498:
	v_and_b32_e32 v19, 7, v10
	v_ffbh_u32_e32 v20, v19
	v_min_u32_e32 v24, 32, v20
	v_subrev_u32_e32 v20, 28, v24
	v_lshlrev_b64 v[20:21], v20, v[10:11]
	v_lshrrev_b32_e32 v23, 3, v18
	v_sub_u32_e32 v21, 29, v24
	v_and_b32_e32 v20, 7, v20
	v_cmp_gt_u32_e32 vcc, 8, v18
	v_cndmask_b32_e32 v18, v23, v21, vcc
	v_cndmask_b32_e32 v19, v19, v20, vcc
	v_lshlrev_b32_e32 v20, 24, v10
	v_bfrev_b32_e32 v21, 60
	v_lshlrev_b32_e32 v19, 20, v19
	v_and_b32_e32 v20, 0x80000000, v20
	v_lshl_add_u32 v18, v18, 23, v21
	v_or3_b32 v18, v20, v18, v19
	v_lshrrev_b32_e32 v24, 16, v18
.LBB862_499:
	s_or_b64 exec, exec, s[14:15]
.LBB862_500:
	s_or_b64 exec, exec, s[12:13]
.LBB862_501:
	s_or_b64 exec, exec, s[10:11]
	s_nop 4
	v_lshrrev_b16_e32 v18, 8, v10
	v_cmp_ne_u16_e32 vcc, 0, v18
	v_mov_b32_e32 v20, 0
	v_mov_b32_e32 v19, 0
	s_and_saveexec_b64 s[10:11], vcc
	s_cbranch_execz .LBB862_507
; %bb.502:
	s_movk_i32 s7, 0x80
	v_cmp_ne_u16_e32 vcc, s7, v18
	v_mov_b32_e32 v19, 0xffff8000
	s_and_saveexec_b64 s[12:13], vcc
	s_cbranch_execz .LBB862_506
; %bb.503:
	s_movk_i32 s7, 0x7f
	v_and_b32_e32 v21, 0x7f, v18
	v_cmp_ne_u32_e32 vcc, s7, v21
	v_mov_b32_e32 v19, 0x7f80
	s_and_saveexec_b64 s[14:15], vcc
	s_cbranch_execz .LBB862_505
; %bb.504:
	v_and_b32_e32 v23, 7, v18
	v_ffbh_u32_e32 v19, v23
	v_min_u32_e32 v26, 32, v19
	v_subrev_u32_e32 v19, 28, v26
	v_lshlrev_b64 v[18:19], v19, v[18:19]
	v_lshrrev_b32_e32 v25, 3, v21
	v_sub_u32_e32 v19, 29, v26
	v_and_b32_e32 v18, 7, v18
	v_cmp_gt_u32_e32 vcc, 8, v21
	v_cndmask_b32_e32 v19, v25, v19, vcc
	v_cndmask_b32_e32 v18, v23, v18, vcc
	v_lshlrev_b32_e32 v21, 16, v10
	v_bfrev_b32_e32 v23, 60
	v_lshlrev_b32_e32 v18, 20, v18
	v_and_b32_e32 v21, 0x80000000, v21
	v_lshl_add_u32 v19, v19, 23, v23
	v_or3_b32 v18, v21, v19, v18
	v_lshrrev_b32_e32 v19, 16, v18
.LBB862_505:
	s_or_b64 exec, exec, s[14:15]
.LBB862_506:
	s_or_b64 exec, exec, s[12:13]
.LBB862_507:
	s_or_b64 exec, exec, s[10:11]
	s_movk_i32 s7, 0xff
	v_and_b32_sdwa v21, v10, s7 dst_sel:DWORD dst_unused:UNUSED_PAD src0_sel:WORD_1 src1_sel:DWORD
	v_lshrrev_b32_e32 v18, 16, v10
	v_cmp_ne_u16_e32 vcc, 0, v21
	s_and_saveexec_b64 s[10:11], vcc
	s_cbranch_execz .LBB862_513
; %bb.508:
	s_movk_i32 s7, 0x80
	v_cmp_ne_u16_e32 vcc, s7, v21
	v_mov_b32_e32 v20, 0xffff8000
	s_and_saveexec_b64 s[12:13], vcc
	s_cbranch_execz .LBB862_512
; %bb.509:
	v_bfe_u32 v21, v10, 16, 7
	s_movk_i32 s7, 0x7f
	v_cmp_ne_u32_e32 vcc, s7, v21
	v_mov_b32_e32 v20, 0x7f80
	s_and_saveexec_b64 s[14:15], vcc
	s_cbranch_execz .LBB862_511
; %bb.510:
	v_and_b32_e32 v20, 7, v18
	v_ffbh_u32_e32 v25, v20
	v_min_u32_e32 v25, 32, v25
	v_subrev_u32_e32 v26, 28, v25
	v_lshlrev_b64 v[26:27], v26, v[18:19]
	v_lshrrev_b32_e32 v23, 3, v21
	v_sub_u32_e32 v18, 29, v25
	v_and_b32_e32 v25, 7, v26
	v_cmp_gt_u32_e32 vcc, 8, v21
	v_mov_b32_e32 v21, 24
	v_cndmask_b32_e32 v18, v23, v18, vcc
	v_cndmask_b32_e32 v20, v20, v25, vcc
	v_lshlrev_b32_sdwa v21, v21, v10 dst_sel:DWORD dst_unused:UNUSED_PAD src0_sel:DWORD src1_sel:WORD_1
	v_bfrev_b32_e32 v23, 60
	v_lshlrev_b32_e32 v20, 20, v20
	v_and_b32_e32 v21, 0x80000000, v21
	v_lshl_add_u32 v18, v18, 23, v23
	v_or3_b32 v18, v21, v18, v20
	v_lshrrev_b32_e32 v20, 16, v18
.LBB862_511:
	s_or_b64 exec, exec, s[14:15]
.LBB862_512:
	s_or_b64 exec, exec, s[12:13]
.LBB862_513:
	s_or_b64 exec, exec, s[10:11]
	s_mov_b32 s7, 0xffffff
	v_cmp_lt_u32_e32 vcc, s7, v10
	v_mov_b32_e32 v21, 0
	v_mov_b32_e32 v23, 0
	s_and_saveexec_b64 s[10:11], vcc
	s_cbranch_execz .LBB862_519
; %bb.514:
	v_lshrrev_b32_e32 v18, 24, v10
	s_movk_i32 s7, 0x80
	v_cmp_ne_u32_e32 vcc, s7, v18
	v_mov_b32_e32 v23, 0xffff8000
	s_and_saveexec_b64 s[12:13], vcc
	s_cbranch_execz .LBB862_518
; %bb.515:
	v_bfe_u32 v10, v10, 24, 7
	s_movk_i32 s7, 0x7f
	v_cmp_ne_u32_e32 vcc, s7, v10
	v_mov_b32_e32 v23, 0x7f80
	s_and_saveexec_b64 s[14:15], vcc
	s_cbranch_execz .LBB862_517
; %bb.516:
	v_and_b32_e32 v23, 7, v18
	v_ffbh_u32_e32 v26, v23
	v_min_u32_e32 v29, 32, v26
	v_subrev_u32_e32 v26, 28, v29
	v_lshlrev_b64 v[26:27], v26, v[18:19]
	v_lshrrev_b32_e32 v25, 3, v10
	v_sub_u32_e32 v27, 29, v29
	v_and_b32_e32 v26, 7, v26
	v_cmp_gt_u32_e32 vcc, 8, v10
	v_cndmask_b32_e32 v10, v25, v27, vcc
	v_cndmask_b32_e32 v23, v23, v26, vcc
	v_lshlrev_b32_e32 v18, 24, v18
	v_bfrev_b32_e32 v25, 60
	v_lshlrev_b32_e32 v23, 20, v23
	v_and_b32_e32 v18, 0x80000000, v18
	v_lshl_add_u32 v10, v10, 23, v25
	v_or3_b32 v10, v18, v10, v23
	v_lshrrev_b32_e32 v23, 16, v10
.LBB862_517:
	s_or_b64 exec, exec, s[14:15]
.LBB862_518:
	s_or_b64 exec, exec, s[12:13]
.LBB862_519:
	s_or_b64 exec, exec, s[10:11]
	v_cmp_ne_u16_sdwa s[12:13], v11, v21 src0_sel:BYTE_0 src1_sel:DWORD
	s_and_saveexec_b64 s[10:11], s[12:13]
	s_cbranch_execz .LBB862_525
; %bb.520:
	s_movk_i32 s7, 0x80
	v_cmp_ne_u16_sdwa s[14:15], v11, s7 src0_sel:BYTE_0 src1_sel:DWORD
	v_mov_b32_e32 v21, 0xffff8000
	s_and_saveexec_b64 s[12:13], s[14:15]
	s_cbranch_execz .LBB862_524
; %bb.521:
	s_movk_i32 s7, 0x7f
	v_and_b32_e32 v10, 0x7f, v11
	v_cmp_ne_u32_e32 vcc, s7, v10
	v_mov_b32_e32 v21, 0x7f80
	s_and_saveexec_b64 s[14:15], vcc
	s_cbranch_execz .LBB862_523
; %bb.522:
	v_and_b32_e32 v21, 7, v11
	v_ffbh_u32_e32 v26, v21
	v_min_u32_e32 v29, 32, v26
	v_mov_b32_e32 v18, v11
	v_subrev_u32_e32 v26, 28, v29
	v_lshlrev_b64 v[26:27], v26, v[18:19]
	v_lshrrev_b32_e32 v25, 3, v10
	v_sub_u32_e32 v18, 29, v29
	v_and_b32_e32 v26, 7, v26
	v_cmp_gt_u32_e32 vcc, 8, v10
	v_cndmask_b32_e32 v10, v25, v18, vcc
	v_cndmask_b32_e32 v18, v21, v26, vcc
	v_lshlrev_b32_e32 v21, 24, v11
	v_bfrev_b32_e32 v25, 60
	v_lshlrev_b32_e32 v18, 20, v18
	v_and_b32_e32 v21, 0x80000000, v21
	v_lshl_add_u32 v10, v10, 23, v25
	v_or3_b32 v10, v21, v10, v18
	v_lshrrev_b32_e32 v21, 16, v10
.LBB862_523:
	s_or_b64 exec, exec, s[14:15]
.LBB862_524:
	s_or_b64 exec, exec, s[12:13]
.LBB862_525:
	s_or_b64 exec, exec, s[10:11]
	v_lshrrev_b16_e32 v10, 8, v11
	v_cmp_ne_u16_e32 vcc, 0, v10
	v_mov_b32_e32 v26, 0
	v_mov_b32_e32 v25, 0
	s_and_saveexec_b64 s[10:11], vcc
	s_cbranch_execz .LBB862_531
; %bb.526:
	s_movk_i32 s7, 0x80
	v_cmp_ne_u16_e32 vcc, s7, v10
	v_mov_b32_e32 v25, 0xffff8000
	s_and_saveexec_b64 s[12:13], vcc
	s_cbranch_execz .LBB862_530
; %bb.527:
	s_movk_i32 s7, 0x7f
	v_and_b32_e32 v18, 0x7f, v10
	v_cmp_ne_u32_e32 vcc, s7, v18
	v_mov_b32_e32 v25, 0x7f80
	s_and_saveexec_b64 s[14:15], vcc
	s_cbranch_execz .LBB862_529
; %bb.528:
	v_and_b32_e32 v25, 7, v10
	v_ffbh_u32_e32 v29, v25
	v_min_u32_e32 v29, 32, v29
	v_subrev_u32_e32 v30, 28, v29
	v_lshlrev_b64 v[30:31], v30, v[10:11]
	v_lshrrev_b32_e32 v27, 3, v18
	v_sub_u32_e32 v10, 29, v29
	v_and_b32_e32 v29, 7, v30
	v_cmp_gt_u32_e32 vcc, 8, v18
	v_cndmask_b32_e32 v10, v27, v10, vcc
	v_cndmask_b32_e32 v18, v25, v29, vcc
	v_lshlrev_b32_e32 v25, 16, v11
	v_bfrev_b32_e32 v27, 60
	v_lshlrev_b32_e32 v18, 20, v18
	v_and_b32_e32 v25, 0x80000000, v25
	v_lshl_add_u32 v10, v10, 23, v27
	v_or3_b32 v10, v25, v10, v18
	v_lshrrev_b32_e32 v25, 16, v10
.LBB862_529:
	s_or_b64 exec, exec, s[14:15]
.LBB862_530:
	s_or_b64 exec, exec, s[12:13]
.LBB862_531:
	s_or_b64 exec, exec, s[10:11]
	s_movk_i32 s7, 0xff
	v_and_b32_sdwa v18, v11, s7 dst_sel:DWORD dst_unused:UNUSED_PAD src0_sel:WORD_1 src1_sel:DWORD
	v_lshrrev_b32_e32 v10, 16, v11
	v_cmp_ne_u16_e32 vcc, 0, v18
	s_and_saveexec_b64 s[10:11], vcc
	s_cbranch_execz .LBB862_537
; %bb.532:
	s_movk_i32 s7, 0x80
	v_cmp_ne_u16_e32 vcc, s7, v18
	v_mov_b32_e32 v26, 0xffff8000
	s_and_saveexec_b64 s[12:13], vcc
	s_cbranch_execz .LBB862_536
; %bb.533:
	v_bfe_u32 v18, v11, 16, 7
	s_movk_i32 s7, 0x7f
	v_cmp_ne_u32_e32 vcc, s7, v18
	v_mov_b32_e32 v26, 0x7f80
	s_and_saveexec_b64 s[14:15], vcc
	s_cbranch_execz .LBB862_535
; %bb.534:
	v_and_b32_e32 v29, 7, v10
	v_ffbh_u32_e32 v26, v29
	v_min_u32_e32 v31, 32, v26
	v_subrev_u32_e32 v26, 28, v31
	v_lshlrev_b64 v[26:27], v26, v[10:11]
	v_and_b32_e32 v26, 7, v26
	v_cmp_gt_u32_e32 vcc, 8, v18
	v_lshrrev_b32_e32 v30, 3, v18
	v_sub_u32_e32 v10, 29, v31
	v_cndmask_b32_e32 v18, v29, v26, vcc
	v_mov_b32_e32 v26, 24
	v_cndmask_b32_e32 v10, v30, v10, vcc
	v_lshlrev_b32_sdwa v26, v26, v11 dst_sel:DWORD dst_unused:UNUSED_PAD src0_sel:DWORD src1_sel:WORD_1
	v_bfrev_b32_e32 v27, 60
	v_lshlrev_b32_e32 v18, 20, v18
	v_and_b32_e32 v26, 0x80000000, v26
	v_lshl_add_u32 v10, v10, 23, v27
	v_or3_b32 v10, v26, v10, v18
	v_lshrrev_b32_e32 v26, 16, v10
.LBB862_535:
	s_or_b64 exec, exec, s[14:15]
.LBB862_536:
	s_or_b64 exec, exec, s[12:13]
.LBB862_537:
	s_or_b64 exec, exec, s[10:11]
	s_mov_b32 s7, 0xffffff
	v_cmp_lt_u32_e32 vcc, s7, v11
	v_mov_b32_e32 v18, 0
	v_mov_b32_e32 v27, 0
	s_and_saveexec_b64 s[10:11], vcc
	s_cbranch_execz .LBB862_543
; %bb.538:
	v_lshrrev_b32_e32 v10, 24, v11
	s_movk_i32 s7, 0x80
	v_cmp_ne_u32_e32 vcc, s7, v10
	v_mov_b32_e32 v27, 0xffff8000
	s_and_saveexec_b64 s[12:13], vcc
	s_cbranch_execz .LBB862_542
; %bb.539:
	v_bfe_u32 v11, v11, 24, 7
	s_movk_i32 s7, 0x7f
	v_cmp_ne_u32_e32 vcc, s7, v11
	v_mov_b32_e32 v27, 0x7f80
	s_and_saveexec_b64 s[14:15], vcc
	s_cbranch_execz .LBB862_541
; %bb.540:
	v_and_b32_e32 v27, 7, v10
	v_ffbh_u32_e32 v30, v27
	v_min_u32_e32 v32, 32, v30
	v_subrev_u32_e32 v30, 28, v32
	v_lshlrev_b64 v[30:31], v30, v[10:11]
	v_lshrrev_b32_e32 v29, 3, v11
	v_sub_u32_e32 v31, 29, v32
	v_and_b32_e32 v30, 7, v30
	v_cmp_gt_u32_e32 vcc, 8, v11
	v_cndmask_b32_e32 v11, v29, v31, vcc
	v_cndmask_b32_e32 v27, v27, v30, vcc
	v_lshlrev_b32_e32 v10, 24, v10
	v_bfrev_b32_e32 v29, 60
	v_lshlrev_b32_e32 v27, 20, v27
	v_and_b32_e32 v10, 0x80000000, v10
	v_lshl_add_u32 v11, v11, 23, v29
	v_or3_b32 v10, v10, v11, v27
	v_lshrrev_b32_e32 v27, 16, v10
.LBB862_541:
	s_or_b64 exec, exec, s[14:15]
.LBB862_542:
	s_or_b64 exec, exec, s[12:13]
.LBB862_543:
	s_or_b64 exec, exec, s[10:11]
	s_mov_b32 s7, 0x5040100
	v_perm_b32 v11, v23, v20, s7
	v_perm_b32 v10, v19, v24, s7
	ds_read_b128 v[30:33], v22 offset:2048
	v_cmp_ne_u16_sdwa s[12:13], v12, v18 src0_sel:BYTE_0 src1_sel:DWORD
	s_waitcnt lgkmcnt(0)
	v_mfma_f32_16x16x16bf16_1k v[14:17], v[10:11], v[30:31], v[14:17]
	v_perm_b32 v11, v27, v26, s7
	v_perm_b32 v10, v25, v21, s7
	s_nop 1
	v_mfma_f32_16x16x16bf16_1k v[14:17], v[10:11], v[32:33], v[14:17]
	s_and_saveexec_b64 s[10:11], s[12:13]
	s_cbranch_execz .LBB862_549
; %bb.544:
	s_movk_i32 s7, 0x80
	v_cmp_ne_u16_sdwa s[14:15], v12, s7 src0_sel:BYTE_0 src1_sel:DWORD
	v_mov_b32_e32 v18, 0xffff8000
	s_and_saveexec_b64 s[12:13], s[14:15]
	s_cbranch_execz .LBB862_548
; %bb.545:
	s_movk_i32 s7, 0x7f
	v_and_b32_e32 v10, 0x7f, v12
	v_cmp_ne_u32_e32 vcc, s7, v10
	v_mov_b32_e32 v18, 0x7f80
	s_and_saveexec_b64 s[14:15], vcc
	s_cbranch_execz .LBB862_547
; %bb.546:
	v_and_b32_e32 v11, 7, v12
	v_ffbh_u32_e32 v18, v11
	v_min_u32_e32 v21, 32, v18
	v_subrev_u32_e32 v18, 28, v21
	v_lshlrev_b64 v[18:19], v18, v[12:13]
	v_lshrrev_b32_e32 v20, 3, v10
	v_sub_u32_e32 v19, 29, v21
	v_and_b32_e32 v18, 7, v18
	v_cmp_gt_u32_e32 vcc, 8, v10
	v_cndmask_b32_e32 v10, v20, v19, vcc
	v_cndmask_b32_e32 v11, v11, v18, vcc
	v_lshlrev_b32_e32 v18, 24, v12
	v_bfrev_b32_e32 v19, 60
	v_lshlrev_b32_e32 v11, 20, v11
	v_and_b32_e32 v18, 0x80000000, v18
	v_lshl_add_u32 v10, v10, 23, v19
	v_or3_b32 v10, v18, v10, v11
	v_lshrrev_b32_e32 v18, 16, v10
.LBB862_547:
	s_or_b64 exec, exec, s[14:15]
.LBB862_548:
	s_or_b64 exec, exec, s[12:13]
.LBB862_549:
	s_or_b64 exec, exec, s[10:11]
	v_lshrrev_b16_e32 v10, 8, v12
	v_cmp_ne_u16_e32 vcc, 0, v10
	v_mov_b32_e32 v20, 0
	v_mov_b32_e32 v11, 0
	s_and_saveexec_b64 s[10:11], vcc
	s_cbranch_execz .LBB862_555
; %bb.550:
	s_movk_i32 s7, 0x80
	v_cmp_ne_u16_e32 vcc, s7, v10
	v_mov_b32_e32 v11, 0xffff8000
	s_and_saveexec_b64 s[12:13], vcc
	s_cbranch_execz .LBB862_554
; %bb.551:
	s_movk_i32 s7, 0x7f
	v_and_b32_e32 v19, 0x7f, v10
	v_cmp_ne_u32_e32 vcc, s7, v19
	v_mov_b32_e32 v11, 0x7f80
	s_and_saveexec_b64 s[14:15], vcc
	s_cbranch_execz .LBB862_553
; %bb.552:
	v_and_b32_e32 v21, 7, v10
	v_ffbh_u32_e32 v11, v21
	v_min_u32_e32 v24, 32, v11
	v_subrev_u32_e32 v11, 28, v24
	v_lshlrev_b64 v[10:11], v11, v[10:11]
	v_lshrrev_b32_e32 v23, 3, v19
	v_sub_u32_e32 v11, 29, v24
	v_and_b32_e32 v10, 7, v10
	v_cmp_gt_u32_e32 vcc, 8, v19
	v_cndmask_b32_e32 v11, v23, v11, vcc
	v_cndmask_b32_e32 v10, v21, v10, vcc
	v_lshlrev_b32_e32 v19, 16, v12
	v_bfrev_b32_e32 v21, 60
	v_lshlrev_b32_e32 v10, 20, v10
	v_and_b32_e32 v19, 0x80000000, v19
	v_lshl_add_u32 v11, v11, 23, v21
	v_or3_b32 v10, v19, v11, v10
	v_lshrrev_b32_e32 v11, 16, v10
.LBB862_553:
	s_or_b64 exec, exec, s[14:15]
.LBB862_554:
	s_or_b64 exec, exec, s[12:13]
.LBB862_555:
	s_or_b64 exec, exec, s[10:11]
	s_movk_i32 s7, 0xff
	v_and_b32_sdwa v19, v12, s7 dst_sel:DWORD dst_unused:UNUSED_PAD src0_sel:WORD_1 src1_sel:DWORD
	v_lshrrev_b32_e32 v10, 16, v12
	v_cmp_ne_u16_e32 vcc, 0, v19
	s_and_saveexec_b64 s[10:11], vcc
	s_cbranch_execz .LBB862_561
; %bb.556:
	s_movk_i32 s7, 0x80
	v_cmp_ne_u16_e32 vcc, s7, v19
	v_mov_b32_e32 v20, 0xffff8000
	s_and_saveexec_b64 s[12:13], vcc
	s_cbranch_execz .LBB862_560
; %bb.557:
	v_bfe_u32 v19, v12, 16, 7
	s_movk_i32 s7, 0x7f
	v_cmp_ne_u32_e32 vcc, s7, v19
	v_mov_b32_e32 v20, 0x7f80
	s_and_saveexec_b64 s[14:15], vcc
	s_cbranch_execz .LBB862_559
; %bb.558:
	v_and_b32_e32 v23, 7, v10
	v_ffbh_u32_e32 v20, v23
	v_min_u32_e32 v25, 32, v20
	v_subrev_u32_e32 v20, 28, v25
	v_lshlrev_b64 v[20:21], v20, v[10:11]
	v_and_b32_e32 v20, 7, v20
	v_cmp_gt_u32_e32 vcc, 8, v19
	v_lshrrev_b32_e32 v24, 3, v19
	v_sub_u32_e32 v10, 29, v25
	v_cndmask_b32_e32 v19, v23, v20, vcc
	v_mov_b32_e32 v20, 24
	v_cndmask_b32_e32 v10, v24, v10, vcc
	v_lshlrev_b32_sdwa v20, v20, v12 dst_sel:DWORD dst_unused:UNUSED_PAD src0_sel:DWORD src1_sel:WORD_1
	v_bfrev_b32_e32 v21, 60
	v_lshlrev_b32_e32 v19, 20, v19
	v_and_b32_e32 v20, 0x80000000, v20
	v_lshl_add_u32 v10, v10, 23, v21
	v_or3_b32 v10, v20, v10, v19
	v_lshrrev_b32_e32 v20, 16, v10
.LBB862_559:
	s_or_b64 exec, exec, s[14:15]
.LBB862_560:
	s_or_b64 exec, exec, s[12:13]
.LBB862_561:
	s_or_b64 exec, exec, s[10:11]
	s_mov_b32 s7, 0xffffff
	v_cmp_lt_u32_e32 vcc, s7, v12
	v_mov_b32_e32 v21, 0
	v_mov_b32_e32 v23, 0
	s_and_saveexec_b64 s[10:11], vcc
	s_cbranch_execz .LBB862_567
; %bb.562:
	v_lshrrev_b32_e32 v10, 24, v12
	s_movk_i32 s7, 0x80
	v_cmp_ne_u32_e32 vcc, s7, v10
	v_mov_b32_e32 v23, 0xffff8000
	s_and_saveexec_b64 s[12:13], vcc
	s_cbranch_execz .LBB862_566
; %bb.563:
	v_bfe_u32 v12, v12, 24, 7
	s_movk_i32 s7, 0x7f
	v_cmp_ne_u32_e32 vcc, s7, v12
	v_mov_b32_e32 v23, 0x7f80
	s_and_saveexec_b64 s[14:15], vcc
	s_cbranch_execz .LBB862_565
; %bb.564:
	v_and_b32_e32 v19, 7, v10
	v_ffbh_u32_e32 v24, v19
	v_min_u32_e32 v26, 32, v24
	v_subrev_u32_e32 v24, 28, v26
	v_lshlrev_b64 v[24:25], v24, v[10:11]
	v_lshrrev_b32_e32 v23, 3, v12
	v_sub_u32_e32 v25, 29, v26
	v_and_b32_e32 v24, 7, v24
	v_cmp_gt_u32_e32 vcc, 8, v12
	v_cndmask_b32_e32 v12, v23, v25, vcc
	v_cndmask_b32_e32 v19, v19, v24, vcc
	v_lshlrev_b32_e32 v10, 24, v10
	v_bfrev_b32_e32 v23, 60
	v_lshlrev_b32_e32 v19, 20, v19
	v_and_b32_e32 v10, 0x80000000, v10
	v_lshl_add_u32 v12, v12, 23, v23
	v_or3_b32 v10, v10, v12, v19
	v_lshrrev_b32_e32 v23, 16, v10
.LBB862_565:
	s_or_b64 exec, exec, s[14:15]
.LBB862_566:
	s_or_b64 exec, exec, s[12:13]
.LBB862_567:
	s_or_b64 exec, exec, s[10:11]
	v_cmp_ne_u16_sdwa s[12:13], v13, v21 src0_sel:BYTE_0 src1_sel:DWORD
	s_and_saveexec_b64 s[10:11], s[12:13]
	s_cbranch_execz .LBB862_573
; %bb.568:
	s_movk_i32 s7, 0x80
	v_cmp_ne_u16_sdwa s[14:15], v13, s7 src0_sel:BYTE_0 src1_sel:DWORD
	v_mov_b32_e32 v21, 0xffff8000
	s_and_saveexec_b64 s[12:13], s[14:15]
	s_cbranch_execz .LBB862_572
; %bb.569:
	s_movk_i32 s7, 0x7f
	v_and_b32_e32 v10, 0x7f, v13
	v_cmp_ne_u32_e32 vcc, s7, v10
	v_mov_b32_e32 v21, 0x7f80
	s_and_saveexec_b64 s[14:15], vcc
	s_cbranch_execz .LBB862_571
; %bb.570:
	v_and_b32_e32 v19, 7, v13
	v_ffbh_u32_e32 v24, v19
	v_min_u32_e32 v26, 32, v24
	v_mov_b32_e32 v12, v13
	v_subrev_u32_e32 v24, 28, v26
	v_lshlrev_b64 v[24:25], v24, v[12:13]
	v_lshrrev_b32_e32 v21, 3, v10
	v_sub_u32_e32 v12, 29, v26
	v_and_b32_e32 v24, 7, v24
	v_cmp_gt_u32_e32 vcc, 8, v10
	v_cndmask_b32_e32 v10, v21, v12, vcc
	v_cndmask_b32_e32 v12, v19, v24, vcc
	v_lshlrev_b32_e32 v19, 24, v13
	v_bfrev_b32_e32 v21, 60
	v_lshlrev_b32_e32 v12, 20, v12
	v_and_b32_e32 v19, 0x80000000, v19
	v_lshl_add_u32 v10, v10, 23, v21
	v_or3_b32 v10, v19, v10, v12
	v_lshrrev_b32_e32 v21, 16, v10
.LBB862_571:
	s_or_b64 exec, exec, s[14:15]
.LBB862_572:
	s_or_b64 exec, exec, s[12:13]
.LBB862_573:
	s_or_b64 exec, exec, s[10:11]
	v_lshrrev_b16_e32 v10, 8, v13
	v_cmp_ne_u16_e32 vcc, 0, v10
	v_mov_b32_e32 v24, 0
	v_mov_b32_e32 v12, 0
	s_and_saveexec_b64 s[10:11], vcc
	s_cbranch_execz .LBB862_579
; %bb.574:
	s_movk_i32 s7, 0x80
	v_cmp_ne_u16_e32 vcc, s7, v10
	v_mov_b32_e32 v12, 0xffff8000
	s_and_saveexec_b64 s[12:13], vcc
	s_cbranch_execz .LBB862_578
; %bb.575:
	s_movk_i32 s7, 0x7f
	v_and_b32_e32 v19, 0x7f, v10
	v_cmp_ne_u32_e32 vcc, s7, v19
	v_mov_b32_e32 v12, 0x7f80
	s_and_saveexec_b64 s[14:15], vcc
	s_cbranch_execz .LBB862_577
; %bb.576:
	v_and_b32_e32 v12, 7, v10
	v_ffbh_u32_e32 v26, v12
	v_min_u32_e32 v29, 32, v26
	v_subrev_u32_e32 v26, 28, v29
	v_lshlrev_b64 v[26:27], v26, v[10:11]
	v_lshrrev_b32_e32 v25, 3, v19
	v_sub_u32_e32 v10, 29, v29
	v_and_b32_e32 v26, 7, v26
	v_cmp_gt_u32_e32 vcc, 8, v19
	v_cndmask_b32_e32 v10, v25, v10, vcc
	v_cndmask_b32_e32 v12, v12, v26, vcc
	v_lshlrev_b32_e32 v19, 16, v13
	v_bfrev_b32_e32 v25, 60
	v_lshlrev_b32_e32 v12, 20, v12
	v_and_b32_e32 v19, 0x80000000, v19
	v_lshl_add_u32 v10, v10, 23, v25
	v_or3_b32 v10, v19, v10, v12
	v_lshrrev_b32_e32 v12, 16, v10
.LBB862_577:
	s_or_b64 exec, exec, s[14:15]
.LBB862_578:
	s_or_b64 exec, exec, s[12:13]
.LBB862_579:
	s_or_b64 exec, exec, s[10:11]
	s_movk_i32 s7, 0xff
	v_and_b32_sdwa v19, v13, s7 dst_sel:DWORD dst_unused:UNUSED_PAD src0_sel:WORD_1 src1_sel:DWORD
	v_lshrrev_b32_e32 v10, 16, v13
	v_cmp_ne_u16_e32 vcc, 0, v19
	s_and_saveexec_b64 s[10:11], vcc
	s_cbranch_execz .LBB862_585
; %bb.580:
	s_movk_i32 s7, 0x80
	v_cmp_ne_u16_e32 vcc, s7, v19
	v_mov_b32_e32 v24, 0xffff8000
	s_and_saveexec_b64 s[12:13], vcc
	s_cbranch_execz .LBB862_584
; %bb.581:
	v_bfe_u32 v19, v13, 16, 7
	s_movk_i32 s7, 0x7f
	v_cmp_ne_u32_e32 vcc, s7, v19
	v_mov_b32_e32 v24, 0x7f80
	s_and_saveexec_b64 s[14:15], vcc
	s_cbranch_execz .LBB862_583
; %bb.582:
	v_and_b32_e32 v26, 7, v10
	v_ffbh_u32_e32 v24, v26
	v_min_u32_e32 v29, 32, v24
	v_subrev_u32_e32 v24, 28, v29
	v_lshlrev_b64 v[24:25], v24, v[10:11]
	v_and_b32_e32 v24, 7, v24
	v_cmp_gt_u32_e32 vcc, 8, v19
	v_lshrrev_b32_e32 v27, 3, v19
	v_sub_u32_e32 v10, 29, v29
	v_cndmask_b32_e32 v19, v26, v24, vcc
	v_mov_b32_e32 v24, 24
	v_cndmask_b32_e32 v10, v27, v10, vcc
	v_lshlrev_b32_sdwa v24, v24, v13 dst_sel:DWORD dst_unused:UNUSED_PAD src0_sel:DWORD src1_sel:WORD_1
	v_bfrev_b32_e32 v25, 60
	v_lshlrev_b32_e32 v19, 20, v19
	v_and_b32_e32 v24, 0x80000000, v24
	v_lshl_add_u32 v10, v10, 23, v25
	v_or3_b32 v10, v24, v10, v19
	v_lshrrev_b32_e32 v24, 16, v10
.LBB862_583:
	s_or_b64 exec, exec, s[14:15]
.LBB862_584:
	s_or_b64 exec, exec, s[12:13]
.LBB862_585:
	s_or_b64 exec, exec, s[10:11]
	s_mov_b32 s7, 0xffffff
	v_cmp_lt_u32_e32 vcc, s7, v13
	v_mov_b32_e32 v19, 0
	v_mov_b32_e32 v25, 0
	s_and_saveexec_b64 s[10:11], vcc
	s_cbranch_execz .LBB862_591
; %bb.586:
	v_lshrrev_b32_e32 v10, 24, v13
	s_movk_i32 s7, 0x80
	v_cmp_ne_u32_e32 vcc, s7, v10
	v_mov_b32_e32 v25, 0xffff8000
	s_and_saveexec_b64 s[12:13], vcc
	s_cbranch_execz .LBB862_590
; %bb.587:
	v_bfe_u32 v13, v13, 24, 7
	s_movk_i32 s7, 0x7f
	v_cmp_ne_u32_e32 vcc, s7, v13
	v_mov_b32_e32 v25, 0x7f80
	s_and_saveexec_b64 s[14:15], vcc
	s_cbranch_execz .LBB862_589
; %bb.588:
	v_and_b32_e32 v25, 7, v10
	v_ffbh_u32_e32 v26, v25
	v_min_u32_e32 v30, 32, v26
	v_subrev_u32_e32 v26, 28, v30
	v_lshlrev_b64 v[26:27], v26, v[10:11]
	v_lshrrev_b32_e32 v29, 3, v13
	v_sub_u32_e32 v27, 29, v30
	v_and_b32_e32 v26, 7, v26
	v_cmp_gt_u32_e32 vcc, 8, v13
	v_cndmask_b32_e32 v13, v29, v27, vcc
	v_cndmask_b32_e32 v25, v25, v26, vcc
	v_lshlrev_b32_e32 v10, 24, v10
	v_bfrev_b32_e32 v26, 60
	v_lshlrev_b32_e32 v25, 20, v25
	v_and_b32_e32 v10, 0x80000000, v10
	v_lshl_add_u32 v13, v13, 23, v26
	v_or3_b32 v10, v10, v13, v25
	v_lshrrev_b32_e32 v25, 16, v10
.LBB862_589:
	s_or_b64 exec, exec, s[14:15]
.LBB862_590:
	s_or_b64 exec, exec, s[12:13]
.LBB862_591:
	s_or_b64 exec, exec, s[10:11]
	s_mov_b32 s7, 0x5040100
	v_perm_b32 v27, v23, v20, s7
	v_perm_b32 v26, v11, v18, s7
	ds_read_b128 v[30:33], v22 offset:2064
	v_perm_b32 v11, v25, v24, s7
	v_perm_b32 v10, v12, v21, s7
	s_waitcnt lgkmcnt(0)
	v_mfma_f32_16x16x16bf16_1k v[14:17], v[26:27], v[30:31], v[14:17]
	s_waitcnt vmcnt(1)
	v_cmp_ne_u16_sdwa s[12:13], v6, v19 src0_sel:BYTE_0 src1_sel:DWORD
	v_mfma_f32_16x16x16bf16_1k v[10:13], v[10:11], v[32:33], v[14:17]
	s_and_saveexec_b64 s[10:11], s[12:13]
	s_cbranch_execz .LBB862_597
; %bb.592:
	s_movk_i32 s7, 0x80
	v_cmp_ne_u16_sdwa s[14:15], v6, s7 src0_sel:BYTE_0 src1_sel:DWORD
	v_mov_b32_e32 v19, 0xffff8000
	s_and_saveexec_b64 s[12:13], s[14:15]
	s_cbranch_execz .LBB862_596
; %bb.593:
	s_movk_i32 s7, 0x7f
	v_and_b32_e32 v14, 0x7f, v6
	v_cmp_ne_u32_e32 vcc, s7, v14
	v_mov_b32_e32 v19, 0x7f80
	s_and_saveexec_b64 s[14:15], vcc
	s_cbranch_execz .LBB862_595
; %bb.594:
	v_and_b32_e32 v15, 7, v6
	v_ffbh_u32_e32 v16, v15
	v_min_u32_e32 v19, 32, v16
	v_subrev_u32_e32 v16, 28, v19
	v_lshlrev_b64 v[16:17], v16, v[6:7]
	v_lshrrev_b32_e32 v18, 3, v14
	v_sub_u32_e32 v17, 29, v19
	v_and_b32_e32 v16, 7, v16
	v_cmp_gt_u32_e32 vcc, 8, v14
	v_cndmask_b32_e32 v14, v18, v17, vcc
	v_cndmask_b32_e32 v15, v15, v16, vcc
	v_lshlrev_b32_e32 v16, 24, v6
	v_bfrev_b32_e32 v17, 60
	v_lshlrev_b32_e32 v15, 20, v15
	v_and_b32_e32 v16, 0x80000000, v16
	v_lshl_add_u32 v14, v14, 23, v17
	v_or3_b32 v14, v16, v14, v15
	v_lshrrev_b32_e32 v19, 16, v14
.LBB862_595:
	s_or_b64 exec, exec, s[14:15]
.LBB862_596:
	s_or_b64 exec, exec, s[12:13]
.LBB862_597:
	s_or_b64 exec, exec, s[10:11]
	s_nop 4
	v_lshrrev_b16_e32 v14, 8, v6
	v_cmp_ne_u16_e32 vcc, 0, v14
	v_mov_b32_e32 v16, 0
	v_mov_b32_e32 v15, 0
	s_and_saveexec_b64 s[10:11], vcc
	s_cbranch_execz .LBB862_603
; %bb.598:
	s_movk_i32 s7, 0x80
	v_cmp_ne_u16_e32 vcc, s7, v14
	v_mov_b32_e32 v15, 0xffff8000
	s_and_saveexec_b64 s[12:13], vcc
	s_cbranch_execz .LBB862_602
; %bb.599:
	s_movk_i32 s7, 0x7f
	v_and_b32_e32 v17, 0x7f, v14
	v_cmp_ne_u32_e32 vcc, s7, v17
	v_mov_b32_e32 v15, 0x7f80
	s_and_saveexec_b64 s[14:15], vcc
	s_cbranch_execz .LBB862_601
; %bb.600:
	v_and_b32_e32 v18, 7, v14
	v_ffbh_u32_e32 v15, v18
	v_min_u32_e32 v21, 32, v15
	v_subrev_u32_e32 v15, 28, v21
	v_lshlrev_b64 v[14:15], v15, v[14:15]
	v_lshrrev_b32_e32 v20, 3, v17
	v_sub_u32_e32 v15, 29, v21
	v_and_b32_e32 v14, 7, v14
	v_cmp_gt_u32_e32 vcc, 8, v17
	v_cndmask_b32_e32 v15, v20, v15, vcc
	v_cndmask_b32_e32 v14, v18, v14, vcc
	v_lshlrev_b32_e32 v17, 16, v6
	v_bfrev_b32_e32 v18, 60
	v_lshlrev_b32_e32 v14, 20, v14
	v_and_b32_e32 v17, 0x80000000, v17
	v_lshl_add_u32 v15, v15, 23, v18
	v_or3_b32 v14, v17, v15, v14
	v_lshrrev_b32_e32 v15, 16, v14
.LBB862_601:
	s_or_b64 exec, exec, s[14:15]
.LBB862_602:
	s_or_b64 exec, exec, s[12:13]
.LBB862_603:
	s_or_b64 exec, exec, s[10:11]
	s_movk_i32 s7, 0xff
	v_and_b32_sdwa v17, v6, s7 dst_sel:DWORD dst_unused:UNUSED_PAD src0_sel:WORD_1 src1_sel:DWORD
	v_lshrrev_b32_e32 v14, 16, v6
	v_cmp_ne_u16_e32 vcc, 0, v17
	s_and_saveexec_b64 s[10:11], vcc
	s_cbranch_execz .LBB862_609
; %bb.604:
	s_movk_i32 s7, 0x80
	v_cmp_ne_u16_e32 vcc, s7, v17
	v_mov_b32_e32 v16, 0xffff8000
	s_and_saveexec_b64 s[12:13], vcc
	s_cbranch_execz .LBB862_608
; %bb.605:
	v_bfe_u32 v17, v6, 16, 7
	s_movk_i32 s7, 0x7f
	v_cmp_ne_u32_e32 vcc, s7, v17
	v_mov_b32_e32 v16, 0x7f80
	s_and_saveexec_b64 s[14:15], vcc
	s_cbranch_execz .LBB862_607
; %bb.606:
	v_and_b32_e32 v16, 7, v14
	v_ffbh_u32_e32 v20, v16
	v_min_u32_e32 v23, 32, v20
	v_subrev_u32_e32 v20, 28, v23
	v_lshlrev_b64 v[20:21], v20, v[14:15]
	v_lshrrev_b32_e32 v18, 3, v17
	v_sub_u32_e32 v14, 29, v23
	v_and_b32_e32 v20, 7, v20
	v_cmp_gt_u32_e32 vcc, 8, v17
	v_mov_b32_e32 v17, 24
	v_cndmask_b32_e32 v14, v18, v14, vcc
	v_cndmask_b32_e32 v16, v16, v20, vcc
	v_lshlrev_b32_sdwa v17, v17, v6 dst_sel:DWORD dst_unused:UNUSED_PAD src0_sel:DWORD src1_sel:WORD_1
	v_bfrev_b32_e32 v18, 60
	v_lshlrev_b32_e32 v16, 20, v16
	v_and_b32_e32 v17, 0x80000000, v17
	v_lshl_add_u32 v14, v14, 23, v18
	v_or3_b32 v14, v17, v14, v16
	v_lshrrev_b32_e32 v16, 16, v14
.LBB862_607:
	s_or_b64 exec, exec, s[14:15]
.LBB862_608:
	s_or_b64 exec, exec, s[12:13]
.LBB862_609:
	s_or_b64 exec, exec, s[10:11]
	s_mov_b32 s7, 0xffffff
	v_cmp_lt_u32_e32 vcc, s7, v6
	v_mov_b32_e32 v17, 0
	v_mov_b32_e32 v18, 0
	s_and_saveexec_b64 s[10:11], vcc
	s_cbranch_execz .LBB862_615
; %bb.610:
	v_lshrrev_b32_e32 v14, 24, v6
	s_movk_i32 s7, 0x80
	v_cmp_ne_u32_e32 vcc, s7, v14
	v_mov_b32_e32 v18, 0xffff8000
	s_and_saveexec_b64 s[12:13], vcc
	s_cbranch_execz .LBB862_614
; %bb.611:
	v_bfe_u32 v6, v6, 24, 7
	s_movk_i32 s7, 0x7f
	v_cmp_ne_u32_e32 vcc, s7, v6
	v_mov_b32_e32 v18, 0x7f80
	s_and_saveexec_b64 s[14:15], vcc
	s_cbranch_execz .LBB862_613
; %bb.612:
	v_and_b32_e32 v18, 7, v14
	v_ffbh_u32_e32 v20, v18
	v_min_u32_e32 v24, 32, v20
	v_subrev_u32_e32 v20, 28, v24
	v_lshlrev_b64 v[20:21], v20, v[14:15]
	v_lshrrev_b32_e32 v23, 3, v6
	v_sub_u32_e32 v21, 29, v24
	v_and_b32_e32 v20, 7, v20
	v_cmp_gt_u32_e32 vcc, 8, v6
	v_cndmask_b32_e32 v6, v23, v21, vcc
	v_cndmask_b32_e32 v18, v18, v20, vcc
	v_lshlrev_b32_e32 v14, 24, v14
	v_bfrev_b32_e32 v20, 60
	v_lshlrev_b32_e32 v18, 20, v18
	v_and_b32_e32 v14, 0x80000000, v14
	v_lshl_add_u32 v6, v6, 23, v20
	v_or3_b32 v6, v14, v6, v18
	v_lshrrev_b32_e32 v18, 16, v6
.LBB862_613:
	s_or_b64 exec, exec, s[14:15]
.LBB862_614:
	s_or_b64 exec, exec, s[12:13]
.LBB862_615:
	s_or_b64 exec, exec, s[10:11]
	v_cmp_ne_u16_sdwa s[12:13], v7, v17 src0_sel:BYTE_0 src1_sel:DWORD
	s_and_saveexec_b64 s[10:11], s[12:13]
	s_cbranch_execz .LBB862_621
; %bb.616:
	s_movk_i32 s7, 0x80
	v_cmp_ne_u16_sdwa s[14:15], v7, s7 src0_sel:BYTE_0 src1_sel:DWORD
	v_mov_b32_e32 v17, 0xffff8000
	s_and_saveexec_b64 s[12:13], s[14:15]
	s_cbranch_execz .LBB862_620
; %bb.617:
	s_movk_i32 s7, 0x7f
	v_and_b32_e32 v6, 0x7f, v7
	v_cmp_ne_u32_e32 vcc, s7, v6
	v_mov_b32_e32 v17, 0x7f80
	s_and_saveexec_b64 s[14:15], vcc
	s_cbranch_execz .LBB862_619
; %bb.618:
	v_and_b32_e32 v17, 7, v7
	v_ffbh_u32_e32 v20, v17
	v_min_u32_e32 v24, 32, v20
	v_mov_b32_e32 v14, v7
	v_subrev_u32_e32 v20, 28, v24
	v_lshlrev_b64 v[20:21], v20, v[14:15]
	v_lshrrev_b32_e32 v23, 3, v6
	v_sub_u32_e32 v14, 29, v24
	v_and_b32_e32 v20, 7, v20
	v_cmp_gt_u32_e32 vcc, 8, v6
	v_cndmask_b32_e32 v6, v23, v14, vcc
	v_cndmask_b32_e32 v14, v17, v20, vcc
	v_lshlrev_b32_e32 v17, 24, v7
	v_bfrev_b32_e32 v20, 60
	v_lshlrev_b32_e32 v14, 20, v14
	v_and_b32_e32 v17, 0x80000000, v17
	v_lshl_add_u32 v6, v6, 23, v20
	v_or3_b32 v6, v17, v6, v14
	v_lshrrev_b32_e32 v17, 16, v6
.LBB862_619:
	s_or_b64 exec, exec, s[14:15]
.LBB862_620:
	s_or_b64 exec, exec, s[12:13]
.LBB862_621:
	s_or_b64 exec, exec, s[10:11]
	v_lshrrev_b16_e32 v6, 8, v7
	v_cmp_ne_u16_e32 vcc, 0, v6
	v_mov_b32_e32 v21, 0
	v_mov_b32_e32 v20, 0
	s_and_saveexec_b64 s[10:11], vcc
	s_cbranch_execz .LBB862_627
; %bb.622:
	s_movk_i32 s7, 0x80
	v_cmp_ne_u16_e32 vcc, s7, v6
	v_mov_b32_e32 v20, 0xffff8000
	s_and_saveexec_b64 s[12:13], vcc
	s_cbranch_execz .LBB862_626
; %bb.623:
	s_movk_i32 s7, 0x7f
	v_and_b32_e32 v14, 0x7f, v6
	v_cmp_ne_u32_e32 vcc, s7, v14
	v_mov_b32_e32 v20, 0x7f80
	s_and_saveexec_b64 s[14:15], vcc
	s_cbranch_execz .LBB862_625
; %bb.624:
	v_and_b32_e32 v20, 7, v6
	v_ffbh_u32_e32 v24, v20
	v_min_u32_e32 v26, 32, v24
	v_subrev_u32_e32 v24, 28, v26
	v_lshlrev_b64 v[24:25], v24, v[6:7]
	v_lshrrev_b32_e32 v23, 3, v14
	v_sub_u32_e32 v6, 29, v26
	v_and_b32_e32 v24, 7, v24
	v_cmp_gt_u32_e32 vcc, 8, v14
	v_cndmask_b32_e32 v6, v23, v6, vcc
	v_cndmask_b32_e32 v14, v20, v24, vcc
	v_lshlrev_b32_e32 v20, 16, v7
	v_bfrev_b32_e32 v23, 60
	v_lshlrev_b32_e32 v14, 20, v14
	v_and_b32_e32 v20, 0x80000000, v20
	v_lshl_add_u32 v6, v6, 23, v23
	v_or3_b32 v6, v20, v6, v14
	v_lshrrev_b32_e32 v20, 16, v6
.LBB862_625:
	s_or_b64 exec, exec, s[14:15]
.LBB862_626:
	s_or_b64 exec, exec, s[12:13]
.LBB862_627:
	s_or_b64 exec, exec, s[10:11]
	s_movk_i32 s7, 0xff
	v_and_b32_sdwa v14, v7, s7 dst_sel:DWORD dst_unused:UNUSED_PAD src0_sel:WORD_1 src1_sel:DWORD
	v_lshrrev_b32_e32 v6, 16, v7
	v_cmp_ne_u16_e32 vcc, 0, v14
	s_and_saveexec_b64 s[10:11], vcc
	s_cbranch_execz .LBB862_633
; %bb.628:
	s_movk_i32 s7, 0x80
	v_cmp_ne_u16_e32 vcc, s7, v14
	v_mov_b32_e32 v21, 0xffff8000
	s_and_saveexec_b64 s[12:13], vcc
	s_cbranch_execz .LBB862_632
; %bb.629:
	v_bfe_u32 v14, v7, 16, 7
	s_movk_i32 s7, 0x7f
	v_cmp_ne_u32_e32 vcc, s7, v14
	v_mov_b32_e32 v21, 0x7f80
	s_and_saveexec_b64 s[14:15], vcc
	s_cbranch_execz .LBB862_631
; %bb.630:
	v_and_b32_e32 v21, 7, v6
	v_ffbh_u32_e32 v24, v21
	v_min_u32_e32 v26, 32, v24
	v_subrev_u32_e32 v24, 28, v26
	v_lshlrev_b64 v[24:25], v24, v[6:7]
	v_and_b32_e32 v24, 7, v24
	v_cmp_gt_u32_e32 vcc, 8, v14
	v_lshrrev_b32_e32 v23, 3, v14
	v_sub_u32_e32 v6, 29, v26
	v_cndmask_b32_e32 v14, v21, v24, vcc
	v_mov_b32_e32 v21, 24
	v_cndmask_b32_e32 v6, v23, v6, vcc
	v_lshlrev_b32_sdwa v21, v21, v7 dst_sel:DWORD dst_unused:UNUSED_PAD src0_sel:DWORD src1_sel:WORD_1
	v_bfrev_b32_e32 v23, 60
	v_lshlrev_b32_e32 v14, 20, v14
	v_and_b32_e32 v21, 0x80000000, v21
	v_lshl_add_u32 v6, v6, 23, v23
	v_or3_b32 v6, v21, v6, v14
	v_lshrrev_b32_e32 v21, 16, v6
.LBB862_631:
	s_or_b64 exec, exec, s[14:15]
.LBB862_632:
	s_or_b64 exec, exec, s[12:13]
.LBB862_633:
	s_or_b64 exec, exec, s[10:11]
	s_mov_b32 s7, 0xffffff
	v_cmp_lt_u32_e32 vcc, s7, v7
	v_mov_b32_e32 v14, 0
	v_mov_b32_e32 v23, 0
	s_and_saveexec_b64 s[10:11], vcc
	s_cbranch_execz .LBB862_639
; %bb.634:
	v_lshrrev_b32_e32 v6, 24, v7
	s_movk_i32 s7, 0x80
	v_cmp_ne_u32_e32 vcc, s7, v6
	v_mov_b32_e32 v23, 0xffff8000
	s_and_saveexec_b64 s[12:13], vcc
	s_cbranch_execz .LBB862_638
; %bb.635:
	v_bfe_u32 v7, v7, 24, 7
	s_movk_i32 s7, 0x7f
	v_cmp_ne_u32_e32 vcc, s7, v7
	v_mov_b32_e32 v23, 0x7f80
	s_and_saveexec_b64 s[14:15], vcc
	s_cbranch_execz .LBB862_637
; %bb.636:
	v_and_b32_e32 v23, 7, v6
	v_ffbh_u32_e32 v24, v23
	v_min_u32_e32 v27, 32, v24
	v_subrev_u32_e32 v24, 28, v27
	v_lshlrev_b64 v[24:25], v24, v[6:7]
	v_lshrrev_b32_e32 v26, 3, v7
	v_sub_u32_e32 v25, 29, v27
	v_and_b32_e32 v24, 7, v24
	v_cmp_gt_u32_e32 vcc, 8, v7
	v_cndmask_b32_e32 v7, v26, v25, vcc
	v_cndmask_b32_e32 v23, v23, v24, vcc
	v_lshlrev_b32_e32 v6, 24, v6
	v_bfrev_b32_e32 v24, 60
	v_lshlrev_b32_e32 v23, 20, v23
	v_and_b32_e32 v6, 0x80000000, v6
	v_lshl_add_u32 v7, v7, 23, v24
	v_or3_b32 v6, v6, v7, v23
	v_lshrrev_b32_e32 v23, 16, v6
.LBB862_637:
	s_or_b64 exec, exec, s[14:15]
.LBB862_638:
	s_or_b64 exec, exec, s[12:13]
.LBB862_639:
	s_or_b64 exec, exec, s[10:11]
	s_mov_b32 s7, 0x5040100
	v_perm_b32 v7, v18, v16, s7
	v_perm_b32 v6, v15, v19, s7
	ds_read_b128 v[24:27], v22 offset:4096
	v_cmp_ne_u16_sdwa s[12:13], v8, v14 src0_sel:BYTE_0 src1_sel:DWORD
	s_waitcnt lgkmcnt(0)
	v_mfma_f32_16x16x16bf16_1k v[10:13], v[6:7], v[24:25], v[10:13]
	v_perm_b32 v7, v23, v21, s7
	v_perm_b32 v6, v20, v17, s7
	s_nop 1
	v_mfma_f32_16x16x16bf16_1k v[10:13], v[6:7], v[26:27], v[10:13]
	s_and_saveexec_b64 s[10:11], s[12:13]
	s_cbranch_execz .LBB862_645
; %bb.640:
	s_movk_i32 s7, 0x80
	v_cmp_ne_u16_sdwa s[14:15], v8, s7 src0_sel:BYTE_0 src1_sel:DWORD
	v_mov_b32_e32 v14, 0xffff8000
	s_and_saveexec_b64 s[12:13], s[14:15]
	s_cbranch_execz .LBB862_644
; %bb.641:
	s_movk_i32 s7, 0x7f
	v_and_b32_e32 v6, 0x7f, v8
	v_cmp_ne_u32_e32 vcc, s7, v6
	v_mov_b32_e32 v14, 0x7f80
	s_and_saveexec_b64 s[14:15], vcc
	s_cbranch_execz .LBB862_643
; %bb.642:
	v_and_b32_e32 v7, 7, v8
	v_ffbh_u32_e32 v14, v7
	v_min_u32_e32 v17, 32, v14
	v_subrev_u32_e32 v14, 28, v17
	v_lshlrev_b64 v[14:15], v14, v[8:9]
	v_lshrrev_b32_e32 v16, 3, v6
	v_sub_u32_e32 v15, 29, v17
	v_and_b32_e32 v14, 7, v14
	v_cmp_gt_u32_e32 vcc, 8, v6
	v_cndmask_b32_e32 v6, v16, v15, vcc
	v_cndmask_b32_e32 v7, v7, v14, vcc
	v_lshlrev_b32_e32 v14, 24, v8
	v_bfrev_b32_e32 v15, 60
	v_lshlrev_b32_e32 v7, 20, v7
	v_and_b32_e32 v14, 0x80000000, v14
	v_lshl_add_u32 v6, v6, 23, v15
	v_or3_b32 v6, v14, v6, v7
	v_lshrrev_b32_e32 v14, 16, v6
.LBB862_643:
	s_or_b64 exec, exec, s[14:15]
.LBB862_644:
	s_or_b64 exec, exec, s[12:13]
.LBB862_645:
	s_or_b64 exec, exec, s[10:11]
	v_lshrrev_b16_e32 v6, 8, v8
	v_cmp_ne_u16_e32 vcc, 0, v6
	v_mov_b32_e32 v16, 0
	v_mov_b32_e32 v7, 0
	s_and_saveexec_b64 s[10:11], vcc
	s_cbranch_execz .LBB862_651
; %bb.646:
	s_movk_i32 s7, 0x80
	v_cmp_ne_u16_e32 vcc, s7, v6
	v_mov_b32_e32 v7, 0xffff8000
	s_and_saveexec_b64 s[12:13], vcc
	s_cbranch_execz .LBB862_650
; %bb.647:
	s_movk_i32 s7, 0x7f
	v_and_b32_e32 v15, 0x7f, v6
	v_cmp_ne_u32_e32 vcc, s7, v15
	v_mov_b32_e32 v7, 0x7f80
	s_and_saveexec_b64 s[14:15], vcc
	s_cbranch_execz .LBB862_649
; %bb.648:
	v_and_b32_e32 v17, 7, v6
	v_ffbh_u32_e32 v7, v17
	v_min_u32_e32 v19, 32, v7
	v_subrev_u32_e32 v7, 28, v19
	v_lshlrev_b64 v[6:7], v7, v[6:7]
	v_lshrrev_b32_e32 v18, 3, v15
	v_sub_u32_e32 v7, 29, v19
	v_and_b32_e32 v6, 7, v6
	v_cmp_gt_u32_e32 vcc, 8, v15
	v_cndmask_b32_e32 v7, v18, v7, vcc
	v_cndmask_b32_e32 v6, v17, v6, vcc
	v_lshlrev_b32_e32 v15, 16, v8
	v_bfrev_b32_e32 v17, 60
	v_lshlrev_b32_e32 v6, 20, v6
	v_and_b32_e32 v15, 0x80000000, v15
	v_lshl_add_u32 v7, v7, 23, v17
	v_or3_b32 v6, v15, v7, v6
	v_lshrrev_b32_e32 v7, 16, v6
.LBB862_649:
	s_or_b64 exec, exec, s[14:15]
.LBB862_650:
	s_or_b64 exec, exec, s[12:13]
.LBB862_651:
	s_or_b64 exec, exec, s[10:11]
	s_movk_i32 s7, 0xff
	v_and_b32_sdwa v15, v8, s7 dst_sel:DWORD dst_unused:UNUSED_PAD src0_sel:WORD_1 src1_sel:DWORD
	v_lshrrev_b32_e32 v6, 16, v8
	v_cmp_ne_u16_e32 vcc, 0, v15
	s_and_saveexec_b64 s[10:11], vcc
	s_cbranch_execz .LBB862_657
; %bb.652:
	s_movk_i32 s7, 0x80
	v_cmp_ne_u16_e32 vcc, s7, v15
	v_mov_b32_e32 v16, 0xffff8000
	s_and_saveexec_b64 s[12:13], vcc
	s_cbranch_execz .LBB862_656
; %bb.653:
	v_bfe_u32 v15, v8, 16, 7
	s_movk_i32 s7, 0x7f
	v_cmp_ne_u32_e32 vcc, s7, v15
	v_mov_b32_e32 v16, 0x7f80
	s_and_saveexec_b64 s[14:15], vcc
	s_cbranch_execz .LBB862_655
; %bb.654:
	v_and_b32_e32 v18, 7, v6
	v_ffbh_u32_e32 v16, v18
	v_min_u32_e32 v20, 32, v16
	v_subrev_u32_e32 v16, 28, v20
	v_lshlrev_b64 v[16:17], v16, v[6:7]
	v_and_b32_e32 v16, 7, v16
	v_cmp_gt_u32_e32 vcc, 8, v15
	v_lshrrev_b32_e32 v19, 3, v15
	v_sub_u32_e32 v6, 29, v20
	v_cndmask_b32_e32 v15, v18, v16, vcc
	v_mov_b32_e32 v16, 24
	v_cndmask_b32_e32 v6, v19, v6, vcc
	v_lshlrev_b32_sdwa v16, v16, v8 dst_sel:DWORD dst_unused:UNUSED_PAD src0_sel:DWORD src1_sel:WORD_1
	v_bfrev_b32_e32 v17, 60
	v_lshlrev_b32_e32 v15, 20, v15
	v_and_b32_e32 v16, 0x80000000, v16
	v_lshl_add_u32 v6, v6, 23, v17
	v_or3_b32 v6, v16, v6, v15
	v_lshrrev_b32_e32 v16, 16, v6
.LBB862_655:
	s_or_b64 exec, exec, s[14:15]
.LBB862_656:
	s_or_b64 exec, exec, s[12:13]
.LBB862_657:
	s_or_b64 exec, exec, s[10:11]
	s_mov_b32 s7, 0xffffff
	v_cmp_lt_u32_e32 vcc, s7, v8
	v_mov_b32_e32 v17, 0
	v_mov_b32_e32 v18, 0
	s_and_saveexec_b64 s[10:11], vcc
	s_cbranch_execz .LBB862_663
; %bb.658:
	v_lshrrev_b32_e32 v6, 24, v8
	s_movk_i32 s7, 0x80
	v_cmp_ne_u32_e32 vcc, s7, v6
	v_mov_b32_e32 v18, 0xffff8000
	s_and_saveexec_b64 s[12:13], vcc
	s_cbranch_execz .LBB862_662
; %bb.659:
	v_bfe_u32 v8, v8, 24, 7
	s_movk_i32 s7, 0x7f
	v_cmp_ne_u32_e32 vcc, s7, v8
	v_mov_b32_e32 v18, 0x7f80
	s_and_saveexec_b64 s[14:15], vcc
	s_cbranch_execz .LBB862_661
; %bb.660:
	v_and_b32_e32 v15, 7, v6
	v_ffbh_u32_e32 v18, v15
	v_min_u32_e32 v21, 32, v18
	v_subrev_u32_e32 v18, 28, v21
	v_lshlrev_b64 v[18:19], v18, v[6:7]
	v_lshrrev_b32_e32 v20, 3, v8
	v_sub_u32_e32 v19, 29, v21
	v_and_b32_e32 v18, 7, v18
	v_cmp_gt_u32_e32 vcc, 8, v8
	v_cndmask_b32_e32 v8, v20, v19, vcc
	v_cndmask_b32_e32 v15, v15, v18, vcc
	v_lshlrev_b32_e32 v6, 24, v6
	v_bfrev_b32_e32 v18, 60
	v_lshlrev_b32_e32 v15, 20, v15
	v_and_b32_e32 v6, 0x80000000, v6
	v_lshl_add_u32 v8, v8, 23, v18
	v_or3_b32 v6, v6, v8, v15
	v_lshrrev_b32_e32 v18, 16, v6
.LBB862_661:
	s_or_b64 exec, exec, s[14:15]
.LBB862_662:
	s_or_b64 exec, exec, s[12:13]
.LBB862_663:
	s_or_b64 exec, exec, s[10:11]
	v_cmp_ne_u16_sdwa s[12:13], v9, v17 src0_sel:BYTE_0 src1_sel:DWORD
	s_and_saveexec_b64 s[10:11], s[12:13]
	s_cbranch_execz .LBB862_669
; %bb.664:
	s_movk_i32 s7, 0x80
	v_cmp_ne_u16_sdwa s[14:15], v9, s7 src0_sel:BYTE_0 src1_sel:DWORD
	v_mov_b32_e32 v17, 0xffff8000
	s_and_saveexec_b64 s[12:13], s[14:15]
	s_cbranch_execz .LBB862_668
; %bb.665:
	s_movk_i32 s7, 0x7f
	v_and_b32_e32 v6, 0x7f, v9
	v_cmp_ne_u32_e32 vcc, s7, v6
	v_mov_b32_e32 v17, 0x7f80
	s_and_saveexec_b64 s[14:15], vcc
	s_cbranch_execz .LBB862_667
; %bb.666:
	v_and_b32_e32 v15, 7, v9
	v_ffbh_u32_e32 v19, v15
	v_min_u32_e32 v19, 32, v19
	v_mov_b32_e32 v8, v9
	v_subrev_u32_e32 v20, 28, v19
	v_lshlrev_b64 v[20:21], v20, v[8:9]
	v_lshrrev_b32_e32 v17, 3, v6
	v_sub_u32_e32 v8, 29, v19
	v_and_b32_e32 v19, 7, v20
	v_cmp_gt_u32_e32 vcc, 8, v6
	v_cndmask_b32_e32 v6, v17, v8, vcc
	v_cndmask_b32_e32 v8, v15, v19, vcc
	v_lshlrev_b32_e32 v15, 24, v9
	v_bfrev_b32_e32 v17, 60
	v_lshlrev_b32_e32 v8, 20, v8
	v_and_b32_e32 v15, 0x80000000, v15
	v_lshl_add_u32 v6, v6, 23, v17
	v_or3_b32 v6, v15, v6, v8
	v_lshrrev_b32_e32 v17, 16, v6
.LBB862_667:
	s_or_b64 exec, exec, s[14:15]
.LBB862_668:
	s_or_b64 exec, exec, s[12:13]
.LBB862_669:
	s_or_b64 exec, exec, s[10:11]
	v_lshrrev_b16_e32 v6, 8, v9
	v_cmp_ne_u16_e32 vcc, 0, v6
	v_mov_b32_e32 v19, 0
	v_mov_b32_e32 v8, 0
	s_and_saveexec_b64 s[10:11], vcc
	s_cbranch_execz .LBB862_675
; %bb.670:
	s_movk_i32 s7, 0x80
	v_cmp_ne_u16_e32 vcc, s7, v6
	v_mov_b32_e32 v8, 0xffff8000
	s_and_saveexec_b64 s[12:13], vcc
	s_cbranch_execz .LBB862_674
; %bb.671:
	s_movk_i32 s7, 0x7f
	v_and_b32_e32 v15, 0x7f, v6
	v_cmp_ne_u32_e32 vcc, s7, v15
	v_mov_b32_e32 v8, 0x7f80
	s_and_saveexec_b64 s[14:15], vcc
	s_cbranch_execz .LBB862_673
; %bb.672:
	v_and_b32_e32 v8, 7, v6
	v_ffbh_u32_e32 v20, v8
	v_min_u32_e32 v24, 32, v20
	v_subrev_u32_e32 v20, 28, v24
	v_lshlrev_b64 v[20:21], v20, v[6:7]
	v_lshrrev_b32_e32 v23, 3, v15
	v_sub_u32_e32 v6, 29, v24
	v_and_b32_e32 v20, 7, v20
	v_cmp_gt_u32_e32 vcc, 8, v15
	v_cndmask_b32_e32 v6, v23, v6, vcc
	v_cndmask_b32_e32 v8, v8, v20, vcc
	v_lshlrev_b32_e32 v15, 16, v9
	v_bfrev_b32_e32 v20, 60
	v_lshlrev_b32_e32 v8, 20, v8
	v_and_b32_e32 v15, 0x80000000, v15
	v_lshl_add_u32 v6, v6, 23, v20
	v_or3_b32 v6, v15, v6, v8
	v_lshrrev_b32_e32 v8, 16, v6
.LBB862_673:
	s_or_b64 exec, exec, s[14:15]
.LBB862_674:
	s_or_b64 exec, exec, s[12:13]
.LBB862_675:
	s_or_b64 exec, exec, s[10:11]
	s_movk_i32 s7, 0xff
	v_and_b32_sdwa v15, v9, s7 dst_sel:DWORD dst_unused:UNUSED_PAD src0_sel:WORD_1 src1_sel:DWORD
	v_lshrrev_b32_e32 v6, 16, v9
	v_cmp_ne_u16_e32 vcc, 0, v15
	s_and_saveexec_b64 s[10:11], vcc
	s_cbranch_execz .LBB862_681
; %bb.676:
	s_movk_i32 s7, 0x80
	v_cmp_ne_u16_e32 vcc, s7, v15
	v_mov_b32_e32 v19, 0xffff8000
	s_and_saveexec_b64 s[12:13], vcc
	s_cbranch_execz .LBB862_680
; %bb.677:
	v_bfe_u32 v15, v9, 16, 7
	s_movk_i32 s7, 0x7f
	v_cmp_ne_u32_e32 vcc, s7, v15
	v_mov_b32_e32 v19, 0x7f80
	s_and_saveexec_b64 s[14:15], vcc
	s_cbranch_execz .LBB862_679
; %bb.678:
	v_and_b32_e32 v19, 7, v6
	v_ffbh_u32_e32 v20, v19
	v_min_u32_e32 v24, 32, v20
	v_subrev_u32_e32 v20, 28, v24
	v_lshlrev_b64 v[20:21], v20, v[6:7]
	v_and_b32_e32 v20, 7, v20
	v_cmp_gt_u32_e32 vcc, 8, v15
	v_lshrrev_b32_e32 v23, 3, v15
	v_sub_u32_e32 v6, 29, v24
	v_cndmask_b32_e32 v15, v19, v20, vcc
	v_mov_b32_e32 v19, 24
	v_cndmask_b32_e32 v6, v23, v6, vcc
	v_lshlrev_b32_sdwa v19, v19, v9 dst_sel:DWORD dst_unused:UNUSED_PAD src0_sel:DWORD src1_sel:WORD_1
	v_bfrev_b32_e32 v20, 60
	v_lshlrev_b32_e32 v15, 20, v15
	v_and_b32_e32 v19, 0x80000000, v19
	v_lshl_add_u32 v6, v6, 23, v20
	v_or3_b32 v6, v19, v6, v15
	v_lshrrev_b32_e32 v19, 16, v6
.LBB862_679:
	s_or_b64 exec, exec, s[14:15]
.LBB862_680:
	s_or_b64 exec, exec, s[12:13]
.LBB862_681:
	s_or_b64 exec, exec, s[10:11]
	s_mov_b32 s7, 0xffffff
	v_cmp_lt_u32_e32 vcc, s7, v9
	v_mov_b32_e32 v15, 0
	v_mov_b32_e32 v20, 0
	s_and_saveexec_b64 s[10:11], vcc
	s_cbranch_execz .LBB862_687
; %bb.682:
	v_lshrrev_b32_e32 v6, 24, v9
	s_movk_i32 s7, 0x80
	v_cmp_ne_u32_e32 vcc, s7, v6
	v_mov_b32_e32 v20, 0xffff8000
	s_and_saveexec_b64 s[12:13], vcc
	s_cbranch_execz .LBB862_686
; %bb.683:
	v_bfe_u32 v9, v9, 24, 7
	s_movk_i32 s7, 0x7f
	v_cmp_ne_u32_e32 vcc, s7, v9
	v_mov_b32_e32 v20, 0x7f80
	s_and_saveexec_b64 s[14:15], vcc
	s_cbranch_execz .LBB862_685
; %bb.684:
	v_and_b32_e32 v23, 7, v6
	v_ffbh_u32_e32 v20, v23
	v_min_u32_e32 v25, 32, v20
	v_subrev_u32_e32 v20, 28, v25
	v_lshlrev_b64 v[20:21], v20, v[6:7]
	v_lshrrev_b32_e32 v24, 3, v9
	v_sub_u32_e32 v21, 29, v25
	v_and_b32_e32 v20, 7, v20
	v_cmp_gt_u32_e32 vcc, 8, v9
	v_cndmask_b32_e32 v9, v24, v21, vcc
	v_cndmask_b32_e32 v20, v23, v20, vcc
	v_lshlrev_b32_e32 v6, 24, v6
	v_bfrev_b32_e32 v21, 60
	v_lshlrev_b32_e32 v20, 20, v20
	v_and_b32_e32 v6, 0x80000000, v6
	v_lshl_add_u32 v9, v9, 23, v21
	v_or3_b32 v6, v6, v9, v20
	v_lshrrev_b32_e32 v20, 16, v6
.LBB862_685:
	s_or_b64 exec, exec, s[14:15]
.LBB862_686:
	s_or_b64 exec, exec, s[12:13]
.LBB862_687:
	s_or_b64 exec, exec, s[10:11]
	s_mov_b32 s7, 0x5040100
	v_perm_b32 v31, v18, v16, s7
	v_perm_b32 v30, v7, v14, s7
	ds_read_b128 v[24:27], v22 offset:4112
	v_perm_b32 v7, v20, v19, s7
	v_perm_b32 v6, v8, v17, s7
	s_waitcnt lgkmcnt(0)
	v_mfma_f32_16x16x16bf16_1k v[10:13], v[30:31], v[24:25], v[10:13]
	s_waitcnt vmcnt(0)
	v_cmp_ne_u16_sdwa s[12:13], v2, v15 src0_sel:BYTE_0 src1_sel:DWORD
	v_mfma_f32_16x16x16bf16_1k v[6:9], v[6:7], v[26:27], v[10:13]
	s_and_saveexec_b64 s[10:11], s[12:13]
	s_cbranch_execz .LBB862_693
; %bb.688:
	s_movk_i32 s7, 0x80
	v_cmp_ne_u16_sdwa s[14:15], v2, s7 src0_sel:BYTE_0 src1_sel:DWORD
	v_mov_b32_e32 v15, 0xffff8000
	s_and_saveexec_b64 s[12:13], s[14:15]
	s_cbranch_execz .LBB862_692
; %bb.689:
	s_movk_i32 s7, 0x7f
	v_and_b32_e32 v10, 0x7f, v2
	v_cmp_ne_u32_e32 vcc, s7, v10
	v_mov_b32_e32 v15, 0x7f80
	s_and_saveexec_b64 s[14:15], vcc
	s_cbranch_execz .LBB862_691
; %bb.690:
	v_and_b32_e32 v11, 7, v2
	v_ffbh_u32_e32 v12, v11
	v_min_u32_e32 v15, 32, v12
	v_subrev_u32_e32 v12, 28, v15
	v_lshlrev_b64 v[12:13], v12, v[2:3]
	v_lshrrev_b32_e32 v14, 3, v10
	v_sub_u32_e32 v13, 29, v15
	v_and_b32_e32 v12, 7, v12
	v_cmp_gt_u32_e32 vcc, 8, v10
	v_cndmask_b32_e32 v10, v14, v13, vcc
	v_cndmask_b32_e32 v11, v11, v12, vcc
	v_lshlrev_b32_e32 v12, 24, v2
	v_bfrev_b32_e32 v13, 60
	v_lshlrev_b32_e32 v11, 20, v11
	v_and_b32_e32 v12, 0x80000000, v12
	v_lshl_add_u32 v10, v10, 23, v13
	v_or3_b32 v10, v12, v10, v11
	v_lshrrev_b32_e32 v15, 16, v10
.LBB862_691:
	s_or_b64 exec, exec, s[14:15]
.LBB862_692:
	s_or_b64 exec, exec, s[12:13]
.LBB862_693:
	s_or_b64 exec, exec, s[10:11]
	s_nop 4
	v_lshrrev_b16_e32 v10, 8, v2
	v_cmp_ne_u16_e32 vcc, 0, v10
	v_mov_b32_e32 v12, 0
	v_mov_b32_e32 v11, 0
	s_and_saveexec_b64 s[10:11], vcc
	s_cbranch_execz .LBB862_699
; %bb.694:
	s_movk_i32 s7, 0x80
	v_cmp_ne_u16_e32 vcc, s7, v10
	v_mov_b32_e32 v11, 0xffff8000
	s_and_saveexec_b64 s[12:13], vcc
	s_cbranch_execz .LBB862_698
; %bb.695:
	s_movk_i32 s7, 0x7f
	v_and_b32_e32 v13, 0x7f, v10
	v_cmp_ne_u32_e32 vcc, s7, v13
	v_mov_b32_e32 v11, 0x7f80
	s_and_saveexec_b64 s[14:15], vcc
	s_cbranch_execz .LBB862_697
; %bb.696:
	v_and_b32_e32 v14, 7, v10
	v_ffbh_u32_e32 v11, v14
	v_min_u32_e32 v17, 32, v11
	v_subrev_u32_e32 v11, 28, v17
	v_lshlrev_b64 v[10:11], v11, v[10:11]
	v_lshrrev_b32_e32 v16, 3, v13
	v_sub_u32_e32 v11, 29, v17
	v_and_b32_e32 v10, 7, v10
	v_cmp_gt_u32_e32 vcc, 8, v13
	v_cndmask_b32_e32 v11, v16, v11, vcc
	v_cndmask_b32_e32 v10, v14, v10, vcc
	v_lshlrev_b32_e32 v13, 16, v2
	v_bfrev_b32_e32 v14, 60
	v_lshlrev_b32_e32 v10, 20, v10
	v_and_b32_e32 v13, 0x80000000, v13
	v_lshl_add_u32 v11, v11, 23, v14
	v_or3_b32 v10, v13, v11, v10
	v_lshrrev_b32_e32 v11, 16, v10
.LBB862_697:
	s_or_b64 exec, exec, s[14:15]
.LBB862_698:
	s_or_b64 exec, exec, s[12:13]
.LBB862_699:
	s_or_b64 exec, exec, s[10:11]
	s_movk_i32 s7, 0xff
	v_and_b32_sdwa v13, v2, s7 dst_sel:DWORD dst_unused:UNUSED_PAD src0_sel:WORD_1 src1_sel:DWORD
	v_lshrrev_b32_e32 v10, 16, v2
	v_cmp_ne_u16_e32 vcc, 0, v13
	s_and_saveexec_b64 s[10:11], vcc
	s_cbranch_execz .LBB862_705
; %bb.700:
	s_movk_i32 s7, 0x80
	v_cmp_ne_u16_e32 vcc, s7, v13
	v_mov_b32_e32 v12, 0xffff8000
	s_and_saveexec_b64 s[12:13], vcc
	s_cbranch_execz .LBB862_704
; %bb.701:
	v_bfe_u32 v13, v2, 16, 7
	s_movk_i32 s7, 0x7f
	v_cmp_ne_u32_e32 vcc, s7, v13
	v_mov_b32_e32 v12, 0x7f80
	s_and_saveexec_b64 s[14:15], vcc
	s_cbranch_execz .LBB862_703
; %bb.702:
	v_and_b32_e32 v12, 7, v10
	v_ffbh_u32_e32 v16, v12
	v_min_u32_e32 v18, 32, v16
	v_subrev_u32_e32 v16, 28, v18
	v_lshlrev_b64 v[16:17], v16, v[10:11]
	v_lshrrev_b32_e32 v14, 3, v13
	v_sub_u32_e32 v10, 29, v18
	v_and_b32_e32 v16, 7, v16
	v_cmp_gt_u32_e32 vcc, 8, v13
	v_mov_b32_e32 v13, 24
	v_cndmask_b32_e32 v10, v14, v10, vcc
	v_cndmask_b32_e32 v12, v12, v16, vcc
	v_lshlrev_b32_sdwa v13, v13, v2 dst_sel:DWORD dst_unused:UNUSED_PAD src0_sel:DWORD src1_sel:WORD_1
	v_bfrev_b32_e32 v14, 60
	v_lshlrev_b32_e32 v12, 20, v12
	v_and_b32_e32 v13, 0x80000000, v13
	v_lshl_add_u32 v10, v10, 23, v14
	v_or3_b32 v10, v13, v10, v12
	v_lshrrev_b32_e32 v12, 16, v10
.LBB862_703:
	s_or_b64 exec, exec, s[14:15]
.LBB862_704:
	s_or_b64 exec, exec, s[12:13]
.LBB862_705:
	s_or_b64 exec, exec, s[10:11]
	s_mov_b32 s7, 0xffffff
	v_cmp_lt_u32_e32 vcc, s7, v2
	v_mov_b32_e32 v13, 0
	v_mov_b32_e32 v14, 0
	s_and_saveexec_b64 s[10:11], vcc
	s_cbranch_execz .LBB862_711
; %bb.706:
	v_lshrrev_b32_e32 v10, 24, v2
	s_movk_i32 s7, 0x80
	v_cmp_ne_u32_e32 vcc, s7, v10
	v_mov_b32_e32 v14, 0xffff8000
	s_and_saveexec_b64 s[12:13], vcc
	s_cbranch_execz .LBB862_710
; %bb.707:
	v_bfe_u32 v2, v2, 24, 7
	s_movk_i32 s7, 0x7f
	v_cmp_ne_u32_e32 vcc, s7, v2
	v_mov_b32_e32 v14, 0x7f80
	s_and_saveexec_b64 s[14:15], vcc
	s_cbranch_execz .LBB862_709
; %bb.708:
	v_and_b32_e32 v14, 7, v10
	v_ffbh_u32_e32 v16, v14
	v_min_u32_e32 v19, 32, v16
	v_subrev_u32_e32 v16, 28, v19
	v_lshlrev_b64 v[16:17], v16, v[10:11]
	v_lshrrev_b32_e32 v18, 3, v2
	v_sub_u32_e32 v17, 29, v19
	v_and_b32_e32 v16, 7, v16
	v_cmp_gt_u32_e32 vcc, 8, v2
	v_cndmask_b32_e32 v2, v18, v17, vcc
	v_cndmask_b32_e32 v14, v14, v16, vcc
	v_lshlrev_b32_e32 v10, 24, v10
	v_bfrev_b32_e32 v16, 60
	v_lshlrev_b32_e32 v14, 20, v14
	v_and_b32_e32 v10, 0x80000000, v10
	v_lshl_add_u32 v2, v2, 23, v16
	v_or3_b32 v2, v10, v2, v14
	v_lshrrev_b32_e32 v14, 16, v2
.LBB862_709:
	s_or_b64 exec, exec, s[14:15]
.LBB862_710:
	s_or_b64 exec, exec, s[12:13]
.LBB862_711:
	s_or_b64 exec, exec, s[10:11]
	v_cmp_ne_u16_sdwa s[12:13], v3, v13 src0_sel:BYTE_0 src1_sel:DWORD
	s_and_saveexec_b64 s[10:11], s[12:13]
	s_cbranch_execz .LBB862_717
; %bb.712:
	s_movk_i32 s7, 0x80
	v_cmp_ne_u16_sdwa s[14:15], v3, s7 src0_sel:BYTE_0 src1_sel:DWORD
	v_mov_b32_e32 v13, 0xffff8000
	s_and_saveexec_b64 s[12:13], s[14:15]
	s_cbranch_execz .LBB862_716
; %bb.713:
	s_movk_i32 s7, 0x7f
	v_and_b32_e32 v2, 0x7f, v3
	v_cmp_ne_u32_e32 vcc, s7, v2
	v_mov_b32_e32 v13, 0x7f80
	s_and_saveexec_b64 s[14:15], vcc
	s_cbranch_execz .LBB862_715
; %bb.714:
	v_and_b32_e32 v13, 7, v3
	v_ffbh_u32_e32 v16, v13
	v_min_u32_e32 v19, 32, v16
	v_mov_b32_e32 v10, v3
	v_subrev_u32_e32 v16, 28, v19
	v_lshlrev_b64 v[16:17], v16, v[10:11]
	v_lshrrev_b32_e32 v18, 3, v2
	v_sub_u32_e32 v10, 29, v19
	v_and_b32_e32 v16, 7, v16
	v_cmp_gt_u32_e32 vcc, 8, v2
	v_cndmask_b32_e32 v2, v18, v10, vcc
	v_cndmask_b32_e32 v10, v13, v16, vcc
	v_lshlrev_b32_e32 v13, 24, v3
	v_bfrev_b32_e32 v16, 60
	v_lshlrev_b32_e32 v10, 20, v10
	v_and_b32_e32 v13, 0x80000000, v13
	v_lshl_add_u32 v2, v2, 23, v16
	v_or3_b32 v2, v13, v2, v10
	v_lshrrev_b32_e32 v13, 16, v2
.LBB862_715:
	s_or_b64 exec, exec, s[14:15]
.LBB862_716:
	s_or_b64 exec, exec, s[12:13]
.LBB862_717:
	s_or_b64 exec, exec, s[10:11]
	v_lshrrev_b16_e32 v2, 8, v3
	v_cmp_ne_u16_e32 vcc, 0, v2
	v_mov_b32_e32 v17, 0
	v_mov_b32_e32 v16, 0
	s_and_saveexec_b64 s[10:11], vcc
	s_cbranch_execz .LBB862_723
; %bb.718:
	s_movk_i32 s7, 0x80
	v_cmp_ne_u16_e32 vcc, s7, v2
	v_mov_b32_e32 v16, 0xffff8000
	s_and_saveexec_b64 s[12:13], vcc
	s_cbranch_execz .LBB862_722
; %bb.719:
	s_movk_i32 s7, 0x7f
	v_and_b32_e32 v10, 0x7f, v2
	v_cmp_ne_u32_e32 vcc, s7, v10
	v_mov_b32_e32 v16, 0x7f80
	s_and_saveexec_b64 s[14:15], vcc
	s_cbranch_execz .LBB862_721
; %bb.720:
	v_and_b32_e32 v16, 7, v2
	v_ffbh_u32_e32 v18, v16
	v_min_u32_e32 v21, 32, v18
	v_subrev_u32_e32 v18, 28, v21
	v_lshlrev_b64 v[18:19], v18, v[2:3]
	v_lshrrev_b32_e32 v20, 3, v10
	v_sub_u32_e32 v2, 29, v21
	v_and_b32_e32 v18, 7, v18
	v_cmp_gt_u32_e32 vcc, 8, v10
	v_cndmask_b32_e32 v2, v20, v2, vcc
	v_cndmask_b32_e32 v10, v16, v18, vcc
	v_lshlrev_b32_e32 v16, 16, v3
	v_bfrev_b32_e32 v18, 60
	v_lshlrev_b32_e32 v10, 20, v10
	v_and_b32_e32 v16, 0x80000000, v16
	v_lshl_add_u32 v2, v2, 23, v18
	v_or3_b32 v2, v16, v2, v10
	v_lshrrev_b32_e32 v16, 16, v2
.LBB862_721:
	s_or_b64 exec, exec, s[14:15]
.LBB862_722:
	s_or_b64 exec, exec, s[12:13]
.LBB862_723:
	s_or_b64 exec, exec, s[10:11]
	s_movk_i32 s7, 0xff
	v_and_b32_sdwa v10, v3, s7 dst_sel:DWORD dst_unused:UNUSED_PAD src0_sel:WORD_1 src1_sel:DWORD
	v_lshrrev_b32_e32 v2, 16, v3
	v_cmp_ne_u16_e32 vcc, 0, v10
	s_and_saveexec_b64 s[10:11], vcc
	s_cbranch_execz .LBB862_729
; %bb.724:
	s_movk_i32 s7, 0x80
	v_cmp_ne_u16_e32 vcc, s7, v10
	v_mov_b32_e32 v17, 0xffff8000
	s_and_saveexec_b64 s[12:13], vcc
	s_cbranch_execz .LBB862_728
; %bb.725:
	v_bfe_u32 v10, v3, 16, 7
	s_movk_i32 s7, 0x7f
	v_cmp_ne_u32_e32 vcc, s7, v10
	v_mov_b32_e32 v17, 0x7f80
	s_and_saveexec_b64 s[14:15], vcc
	s_cbranch_execz .LBB862_727
; %bb.726:
	v_and_b32_e32 v17, 7, v2
	v_ffbh_u32_e32 v18, v17
	v_min_u32_e32 v21, 32, v18
	v_subrev_u32_e32 v18, 28, v21
	v_lshlrev_b64 v[18:19], v18, v[2:3]
	v_and_b32_e32 v18, 7, v18
	v_cmp_gt_u32_e32 vcc, 8, v10
	v_lshrrev_b32_e32 v20, 3, v10
	v_sub_u32_e32 v2, 29, v21
	v_cndmask_b32_e32 v10, v17, v18, vcc
	v_mov_b32_e32 v17, 24
	v_cndmask_b32_e32 v2, v20, v2, vcc
	v_lshlrev_b32_sdwa v17, v17, v3 dst_sel:DWORD dst_unused:UNUSED_PAD src0_sel:DWORD src1_sel:WORD_1
	v_bfrev_b32_e32 v18, 60
	v_lshlrev_b32_e32 v10, 20, v10
	v_and_b32_e32 v17, 0x80000000, v17
	v_lshl_add_u32 v2, v2, 23, v18
	v_or3_b32 v2, v17, v2, v10
	v_lshrrev_b32_e32 v17, 16, v2
.LBB862_727:
	s_or_b64 exec, exec, s[14:15]
.LBB862_728:
	s_or_b64 exec, exec, s[12:13]
.LBB862_729:
	s_or_b64 exec, exec, s[10:11]
	s_mov_b32 s7, 0xffffff
	v_cmp_lt_u32_e32 vcc, s7, v3
	v_mov_b32_e32 v10, 0
	v_mov_b32_e32 v18, 0
	s_and_saveexec_b64 s[10:11], vcc
	s_cbranch_execz .LBB862_735
; %bb.730:
	v_lshrrev_b32_e32 v2, 24, v3
	s_movk_i32 s7, 0x80
	v_cmp_ne_u32_e32 vcc, s7, v2
	v_mov_b32_e32 v18, 0xffff8000
	s_and_saveexec_b64 s[12:13], vcc
	s_cbranch_execz .LBB862_734
; %bb.731:
	v_bfe_u32 v3, v3, 24, 7
	s_movk_i32 s7, 0x7f
	v_cmp_ne_u32_e32 vcc, s7, v3
	v_mov_b32_e32 v18, 0x7f80
	s_and_saveexec_b64 s[14:15], vcc
	s_cbranch_execz .LBB862_733
; %bb.732:
	v_and_b32_e32 v20, 7, v2
	v_ffbh_u32_e32 v18, v20
	v_min_u32_e32 v23, 32, v18
	v_subrev_u32_e32 v18, 28, v23
	v_lshlrev_b64 v[18:19], v18, v[2:3]
	v_lshrrev_b32_e32 v21, 3, v3
	v_sub_u32_e32 v19, 29, v23
	v_and_b32_e32 v18, 7, v18
	v_cmp_gt_u32_e32 vcc, 8, v3
	v_cndmask_b32_e32 v3, v21, v19, vcc
	v_cndmask_b32_e32 v18, v20, v18, vcc
	v_lshlrev_b32_e32 v2, 24, v2
	v_bfrev_b32_e32 v19, 60
	v_lshlrev_b32_e32 v18, 20, v18
	v_and_b32_e32 v2, 0x80000000, v2
	v_lshl_add_u32 v3, v3, 23, v19
	v_or3_b32 v2, v2, v3, v18
	v_lshrrev_b32_e32 v18, 16, v2
.LBB862_733:
	s_or_b64 exec, exec, s[14:15]
.LBB862_734:
	s_or_b64 exec, exec, s[12:13]
.LBB862_735:
	s_or_b64 exec, exec, s[10:11]
	s_mov_b32 s7, 0x5040100
	v_perm_b32 v3, v14, v12, s7
	v_perm_b32 v2, v11, v15, s7
	ds_read_b128 v[24:27], v22 offset:6144
	v_cmp_ne_u16_sdwa s[12:13], v4, v10 src0_sel:BYTE_0 src1_sel:DWORD
	s_waitcnt lgkmcnt(0)
	v_mfma_f32_16x16x16bf16_1k v[6:9], v[2:3], v[24:25], v[6:9]
	v_perm_b32 v3, v18, v17, s7
	v_perm_b32 v2, v16, v13, s7
	s_nop 1
	v_mfma_f32_16x16x16bf16_1k v[6:9], v[2:3], v[26:27], v[6:9]
	s_and_saveexec_b64 s[10:11], s[12:13]
	s_cbranch_execz .LBB862_741
; %bb.736:
	s_movk_i32 s7, 0x80
	v_cmp_ne_u16_sdwa s[14:15], v4, s7 src0_sel:BYTE_0 src1_sel:DWORD
	v_mov_b32_e32 v10, 0xffff8000
	s_and_saveexec_b64 s[12:13], s[14:15]
	s_cbranch_execz .LBB862_740
; %bb.737:
	s_movk_i32 s7, 0x7f
	v_and_b32_e32 v2, 0x7f, v4
	v_cmp_ne_u32_e32 vcc, s7, v2
	v_mov_b32_e32 v10, 0x7f80
	s_and_saveexec_b64 s[14:15], vcc
	s_cbranch_execz .LBB862_739
; %bb.738:
	v_and_b32_e32 v3, 7, v4
	v_ffbh_u32_e32 v10, v3
	v_min_u32_e32 v13, 32, v10
	v_subrev_u32_e32 v10, 28, v13
	v_lshlrev_b64 v[10:11], v10, v[4:5]
	v_lshrrev_b32_e32 v12, 3, v2
	v_sub_u32_e32 v11, 29, v13
	v_and_b32_e32 v10, 7, v10
	v_cmp_gt_u32_e32 vcc, 8, v2
	v_cndmask_b32_e32 v2, v12, v11, vcc
	v_cndmask_b32_e32 v3, v3, v10, vcc
	v_lshlrev_b32_e32 v10, 24, v4
	v_bfrev_b32_e32 v11, 60
	v_lshlrev_b32_e32 v3, 20, v3
	v_and_b32_e32 v10, 0x80000000, v10
	v_lshl_add_u32 v2, v2, 23, v11
	v_or3_b32 v2, v10, v2, v3
	v_lshrrev_b32_e32 v10, 16, v2
.LBB862_739:
	s_or_b64 exec, exec, s[14:15]
.LBB862_740:
	s_or_b64 exec, exec, s[12:13]
.LBB862_741:
	s_or_b64 exec, exec, s[10:11]
	v_lshrrev_b16_e32 v2, 8, v4
	v_cmp_ne_u16_e32 vcc, 0, v2
	v_mov_b32_e32 v11, 0
	v_mov_b32_e32 v3, 0
	s_and_saveexec_b64 s[10:11], vcc
	s_cbranch_execz .LBB862_747
; %bb.742:
	s_movk_i32 s7, 0x80
	v_cmp_ne_u16_e32 vcc, s7, v2
	v_mov_b32_e32 v3, 0xffff8000
	s_and_saveexec_b64 s[12:13], vcc
	s_cbranch_execz .LBB862_746
; %bb.743:
	s_movk_i32 s7, 0x7f
	v_and_b32_e32 v12, 0x7f, v2
	v_cmp_ne_u32_e32 vcc, s7, v12
	v_mov_b32_e32 v3, 0x7f80
	s_and_saveexec_b64 s[14:15], vcc
	s_cbranch_execz .LBB862_745
; %bb.744:
	v_and_b32_e32 v13, 7, v2
	v_ffbh_u32_e32 v3, v13
	v_min_u32_e32 v15, 32, v3
	v_subrev_u32_e32 v3, 28, v15
	v_lshlrev_b64 v[2:3], v3, v[2:3]
	v_lshrrev_b32_e32 v14, 3, v12
	v_sub_u32_e32 v3, 29, v15
	v_and_b32_e32 v2, 7, v2
	v_cmp_gt_u32_e32 vcc, 8, v12
	v_cndmask_b32_e32 v3, v14, v3, vcc
	v_cndmask_b32_e32 v2, v13, v2, vcc
	v_lshlrev_b32_e32 v12, 16, v4
	v_bfrev_b32_e32 v13, 60
	v_lshlrev_b32_e32 v2, 20, v2
	v_and_b32_e32 v12, 0x80000000, v12
	v_lshl_add_u32 v3, v3, 23, v13
	v_or3_b32 v2, v12, v3, v2
	v_lshrrev_b32_e32 v3, 16, v2
.LBB862_745:
	s_or_b64 exec, exec, s[14:15]
.LBB862_746:
	s_or_b64 exec, exec, s[12:13]
.LBB862_747:
	s_or_b64 exec, exec, s[10:11]
	s_movk_i32 s7, 0xff
	v_and_b32_sdwa v12, v4, s7 dst_sel:DWORD dst_unused:UNUSED_PAD src0_sel:WORD_1 src1_sel:DWORD
	v_lshrrev_b32_e32 v2, 16, v4
	v_cmp_ne_u16_e32 vcc, 0, v12
	s_and_saveexec_b64 s[10:11], vcc
	s_cbranch_execz .LBB862_753
; %bb.748:
	s_movk_i32 s7, 0x80
	v_cmp_ne_u16_e32 vcc, s7, v12
	v_mov_b32_e32 v11, 0xffff8000
	s_and_saveexec_b64 s[12:13], vcc
	s_cbranch_execz .LBB862_752
; %bb.749:
	v_bfe_u32 v12, v4, 16, 7
	s_movk_i32 s7, 0x7f
	v_cmp_ne_u32_e32 vcc, s7, v12
	v_mov_b32_e32 v11, 0x7f80
	s_and_saveexec_b64 s[14:15], vcc
	s_cbranch_execz .LBB862_751
; %bb.750:
	v_and_b32_e32 v11, 7, v2
	v_ffbh_u32_e32 v14, v11
	v_min_u32_e32 v16, 32, v14
	v_subrev_u32_e32 v14, 28, v16
	v_lshlrev_b64 v[14:15], v14, v[2:3]
	v_lshrrev_b32_e32 v13, 3, v12
	v_sub_u32_e32 v2, 29, v16
	v_and_b32_e32 v14, 7, v14
	v_cmp_gt_u32_e32 vcc, 8, v12
	v_mov_b32_e32 v12, 24
	v_cndmask_b32_e32 v2, v13, v2, vcc
	v_cndmask_b32_e32 v11, v11, v14, vcc
	v_lshlrev_b32_sdwa v12, v12, v4 dst_sel:DWORD dst_unused:UNUSED_PAD src0_sel:DWORD src1_sel:WORD_1
	v_bfrev_b32_e32 v13, 60
	v_lshlrev_b32_e32 v11, 20, v11
	v_and_b32_e32 v12, 0x80000000, v12
	v_lshl_add_u32 v2, v2, 23, v13
	v_or3_b32 v2, v12, v2, v11
	v_lshrrev_b32_e32 v11, 16, v2
.LBB862_751:
	s_or_b64 exec, exec, s[14:15]
.LBB862_752:
	s_or_b64 exec, exec, s[12:13]
.LBB862_753:
	s_or_b64 exec, exec, s[10:11]
	s_mov_b32 s7, 0xffffff
	v_cmp_lt_u32_e32 vcc, s7, v4
	v_mov_b32_e32 v12, 0
	v_mov_b32_e32 v13, 0
	s_and_saveexec_b64 s[10:11], vcc
	s_cbranch_execz .LBB862_759
; %bb.754:
	v_lshrrev_b32_e32 v2, 24, v4
	s_movk_i32 s7, 0x80
	v_cmp_ne_u32_e32 vcc, s7, v2
	v_mov_b32_e32 v13, 0xffff8000
	s_and_saveexec_b64 s[12:13], vcc
	s_cbranch_execz .LBB862_758
; %bb.755:
	v_bfe_u32 v4, v4, 24, 7
	s_movk_i32 s7, 0x7f
	v_cmp_ne_u32_e32 vcc, s7, v4
	v_mov_b32_e32 v13, 0x7f80
	s_and_saveexec_b64 s[14:15], vcc
	s_cbranch_execz .LBB862_757
; %bb.756:
	v_and_b32_e32 v13, 7, v2
	v_ffbh_u32_e32 v14, v13
	v_min_u32_e32 v17, 32, v14
	v_subrev_u32_e32 v14, 28, v17
	v_lshlrev_b64 v[14:15], v14, v[2:3]
	v_lshrrev_b32_e32 v16, 3, v4
	v_sub_u32_e32 v15, 29, v17
	v_and_b32_e32 v14, 7, v14
	v_cmp_gt_u32_e32 vcc, 8, v4
	v_cndmask_b32_e32 v4, v16, v15, vcc
	v_cndmask_b32_e32 v13, v13, v14, vcc
	v_lshlrev_b32_e32 v2, 24, v2
	v_bfrev_b32_e32 v14, 60
	v_lshlrev_b32_e32 v13, 20, v13
	v_and_b32_e32 v2, 0x80000000, v2
	v_lshl_add_u32 v4, v4, 23, v14
	v_or3_b32 v2, v2, v4, v13
	v_lshrrev_b32_e32 v13, 16, v2
.LBB862_757:
	s_or_b64 exec, exec, s[14:15]
.LBB862_758:
	s_or_b64 exec, exec, s[12:13]
.LBB862_759:
	s_or_b64 exec, exec, s[10:11]
	v_cmp_ne_u16_sdwa s[12:13], v5, v12 src0_sel:BYTE_0 src1_sel:DWORD
	s_and_saveexec_b64 s[10:11], s[12:13]
	s_cbranch_execz .LBB862_765
; %bb.760:
	s_movk_i32 s7, 0x80
	v_cmp_ne_u16_sdwa s[14:15], v5, s7 src0_sel:BYTE_0 src1_sel:DWORD
	v_mov_b32_e32 v12, 0xffff8000
	s_and_saveexec_b64 s[12:13], s[14:15]
	s_cbranch_execz .LBB862_764
; %bb.761:
	s_movk_i32 s7, 0x7f
	v_and_b32_e32 v2, 0x7f, v5
	v_cmp_ne_u32_e32 vcc, s7, v2
	v_mov_b32_e32 v12, 0x7f80
	s_and_saveexec_b64 s[14:15], vcc
	s_cbranch_execz .LBB862_763
; %bb.762:
	v_and_b32_e32 v12, 7, v5
	v_ffbh_u32_e32 v14, v12
	v_min_u32_e32 v17, 32, v14
	v_mov_b32_e32 v4, v5
	v_subrev_u32_e32 v14, 28, v17
	v_lshlrev_b64 v[14:15], v14, v[4:5]
	v_lshrrev_b32_e32 v16, 3, v2
	v_sub_u32_e32 v4, 29, v17
	v_and_b32_e32 v14, 7, v14
	v_cmp_gt_u32_e32 vcc, 8, v2
	v_cndmask_b32_e32 v2, v16, v4, vcc
	v_cndmask_b32_e32 v4, v12, v14, vcc
	v_lshlrev_b32_e32 v12, 24, v5
	v_bfrev_b32_e32 v14, 60
	v_lshlrev_b32_e32 v4, 20, v4
	v_and_b32_e32 v12, 0x80000000, v12
	v_lshl_add_u32 v2, v2, 23, v14
	v_or3_b32 v2, v12, v2, v4
	v_lshrrev_b32_e32 v12, 16, v2
.LBB862_763:
	s_or_b64 exec, exec, s[14:15]
.LBB862_764:
	s_or_b64 exec, exec, s[12:13]
.LBB862_765:
	s_or_b64 exec, exec, s[10:11]
	v_lshrrev_b16_e32 v2, 8, v5
	v_cmp_ne_u16_e32 vcc, 0, v2
	v_mov_b32_e32 v14, 0
	v_mov_b32_e32 v4, 0
	s_and_saveexec_b64 s[10:11], vcc
	s_cbranch_execz .LBB862_771
; %bb.766:
	s_movk_i32 s7, 0x80
	v_cmp_ne_u16_e32 vcc, s7, v2
	v_mov_b32_e32 v4, 0xffff8000
	s_and_saveexec_b64 s[12:13], vcc
	s_cbranch_execz .LBB862_770
; %bb.767:
	s_movk_i32 s7, 0x7f
	v_and_b32_e32 v15, 0x7f, v2
	v_cmp_ne_u32_e32 vcc, s7, v15
	v_mov_b32_e32 v4, 0x7f80
	s_and_saveexec_b64 s[14:15], vcc
	s_cbranch_execz .LBB862_769
; %bb.768:
	v_and_b32_e32 v4, 7, v2
	v_ffbh_u32_e32 v16, v4
	v_min_u32_e32 v19, 32, v16
	v_subrev_u32_e32 v16, 28, v19
	v_lshlrev_b64 v[16:17], v16, v[2:3]
	v_lshrrev_b32_e32 v18, 3, v15
	v_sub_u32_e32 v2, 29, v19
	v_and_b32_e32 v16, 7, v16
	v_cmp_gt_u32_e32 vcc, 8, v15
	v_cndmask_b32_e32 v2, v18, v2, vcc
	v_cndmask_b32_e32 v4, v4, v16, vcc
	v_lshlrev_b32_e32 v15, 16, v5
	v_bfrev_b32_e32 v16, 60
	v_lshlrev_b32_e32 v4, 20, v4
	v_and_b32_e32 v15, 0x80000000, v15
	v_lshl_add_u32 v2, v2, 23, v16
	v_or3_b32 v2, v15, v2, v4
	v_lshrrev_b32_e32 v4, 16, v2
.LBB862_769:
	s_or_b64 exec, exec, s[14:15]
.LBB862_770:
	s_or_b64 exec, exec, s[12:13]
.LBB862_771:
	s_or_b64 exec, exec, s[10:11]
	s_movk_i32 s7, 0xff
	v_and_b32_sdwa v15, v5, s7 dst_sel:DWORD dst_unused:UNUSED_PAD src0_sel:WORD_1 src1_sel:DWORD
	v_lshrrev_b32_e32 v2, 16, v5
	v_cmp_ne_u16_e32 vcc, 0, v15
	s_and_saveexec_b64 s[10:11], vcc
	s_cbranch_execz .LBB862_777
; %bb.772:
	s_movk_i32 s7, 0x80
	v_cmp_ne_u16_e32 vcc, s7, v15
	v_mov_b32_e32 v14, 0xffff8000
	s_and_saveexec_b64 s[12:13], vcc
	s_cbranch_execz .LBB862_776
; %bb.773:
	v_bfe_u32 v15, v5, 16, 7
	s_movk_i32 s7, 0x7f
	v_cmp_ne_u32_e32 vcc, s7, v15
	v_mov_b32_e32 v14, 0x7f80
	s_and_saveexec_b64 s[14:15], vcc
	s_cbranch_execz .LBB862_775
; %bb.774:
	v_and_b32_e32 v14, 7, v2
	v_ffbh_u32_e32 v16, v14
	v_min_u32_e32 v19, 32, v16
	v_subrev_u32_e32 v16, 28, v19
	v_lshlrev_b64 v[16:17], v16, v[2:3]
	v_lshrrev_b32_e32 v18, 3, v15
	v_sub_u32_e32 v2, 29, v19
	v_and_b32_e32 v16, 7, v16
	v_cmp_gt_u32_e32 vcc, 8, v15
	v_mov_b32_e32 v15, 24
	v_cndmask_b32_e32 v2, v18, v2, vcc
	v_cndmask_b32_e32 v14, v14, v16, vcc
	v_lshlrev_b32_sdwa v15, v15, v5 dst_sel:DWORD dst_unused:UNUSED_PAD src0_sel:DWORD src1_sel:WORD_1
	v_bfrev_b32_e32 v16, 60
	v_lshlrev_b32_e32 v14, 20, v14
	v_and_b32_e32 v15, 0x80000000, v15
	v_lshl_add_u32 v2, v2, 23, v16
	v_or3_b32 v2, v15, v2, v14
	v_lshrrev_b32_e32 v14, 16, v2
.LBB862_775:
	s_or_b64 exec, exec, s[14:15]
.LBB862_776:
	s_or_b64 exec, exec, s[12:13]
.LBB862_777:
	s_or_b64 exec, exec, s[10:11]
	s_mov_b32 s7, 0xffffff
	v_cmp_lt_u32_e32 vcc, s7, v5
	v_mov_b32_e32 v15, 0
	s_and_saveexec_b64 s[10:11], vcc
	s_cbranch_execz .LBB862_783
; %bb.778:
	v_lshrrev_b32_e32 v2, 24, v5
	s_movk_i32 s7, 0x80
	v_cmp_ne_u32_e32 vcc, s7, v2
	v_mov_b32_e32 v15, 0xffff8000
	s_and_saveexec_b64 s[12:13], vcc
	s_cbranch_execz .LBB862_782
; %bb.779:
	v_bfe_u32 v5, v5, 24, 7
	s_movk_i32 s7, 0x7f
	v_cmp_ne_u32_e32 vcc, s7, v5
	v_mov_b32_e32 v15, 0x7f80
	s_and_saveexec_b64 s[14:15], vcc
	s_cbranch_execz .LBB862_781
; %bb.780:
	v_and_b32_e32 v15, 7, v2
	v_ffbh_u32_e32 v16, v15
	v_min_u32_e32 v19, 32, v16
	v_subrev_u32_e32 v16, 28, v19
	v_lshlrev_b64 v[16:17], v16, v[2:3]
	v_lshrrev_b32_e32 v18, 3, v5
	v_sub_u32_e32 v17, 29, v19
	v_and_b32_e32 v16, 7, v16
	v_cmp_gt_u32_e32 vcc, 8, v5
	v_cndmask_b32_e32 v5, v18, v17, vcc
	v_cndmask_b32_e32 v15, v15, v16, vcc
	v_lshlrev_b32_e32 v2, 24, v2
	v_bfrev_b32_e32 v16, 60
	v_lshlrev_b32_e32 v15, 20, v15
	v_and_b32_e32 v2, 0x80000000, v2
	v_lshl_add_u32 v5, v5, 23, v16
	v_or3_b32 v2, v2, v5, v15
	v_lshrrev_b32_e32 v15, 16, v2
.LBB862_781:
	s_or_b64 exec, exec, s[14:15]
.LBB862_782:
	s_or_b64 exec, exec, s[12:13]
.LBB862_783:
	s_or_b64 exec, exec, s[10:11]
	s_mov_b32 s7, 0x5040100
	v_perm_b32 v11, v13, v11, s7
	ds_read_b128 v[16:19], v22 offset:6160
	v_perm_b32 v10, v3, v10, s7
	v_perm_b32 v3, v15, v14, s7
	;; [unrolled: 1-line block ×3, first 2 shown]
	s_waitcnt lgkmcnt(0)
	v_mfma_f32_16x16x16bf16_1k v[6:9], v[10:11], v[16:17], v[6:9]
	s_load_dword s10, s[42:43], 0x0
	s_movk_i32 s11, 0x7fff
	v_cmp_gt_u32_e32 vcc, 64, v0
	s_mov_b32 s7, 0x7060302
	s_and_b64 s[0:1], s[0:1], vcc
	s_and_b64 s[0:1], s[0:1], s[2:3]
	s_waitcnt lgkmcnt(0)
	v_mfma_f32_16x16x16bf16_1k v[2:5], v[2:3], v[18:19], v[6:9]
	s_barrier
	s_nop 7
	s_nop 1
	v_pk_mul_f32 v[4:5], v[4:5], s[10:11] op_sel_hi:[1,0]
	v_pk_mul_f32 v[2:3], v[2:3], s[10:11] op_sel_hi:[1,0]
	v_bfe_u32 v6, v3, 16, 1
	v_bfe_u32 v7, v2, 16, 1
	;; [unrolled: 1-line block ×4, first 2 shown]
	v_add3_u32 v2, v2, v7, s11
	v_add3_u32 v3, v3, v6, s11
	;; [unrolled: 1-line block ×4, first 2 shown]
	v_perm_b32 v2, v3, v2, s7
	v_perm_b32 v3, v5, v4, s7
	ds_write_b64 v28, v[2:3]
	s_waitcnt lgkmcnt(0)
	s_barrier
	s_and_saveexec_b64 s[2:3], s[0:1]
	s_cbranch_execz .LBB862_785
; %bb.784:
	s_load_dwordx2 s[0:1], s[4:5], 0x68
	s_mul_i32 s2, s45, s6
	s_lshl_b32 s4, s44, 6
	s_mul_hi_u32 s3, s2, s4
	s_mul_i32 s2, s2, s4
	s_lshl_b64 s[2:3], s[2:3], 1
	v_lshlrev_b32_e32 v0, 10, v0
	s_waitcnt lgkmcnt(0)
	s_add_u32 s2, s0, s2
	v_and_b32_e32 v0, 0x1800, v0
	v_lshlrev_b32_e32 v2, 5, v46
	v_and_b32_e32 v3, 16, v47
	s_addc_u32 s3, s1, s3
	s_lshl_b32 s0, s9, 6
	s_mov_b32 s1, 0
	v_or3_b32 v0, v0, v2, v3
	s_lshl_b64 s[0:1], s[0:1], 1
	ds_read_b128 v[2:5], v0
	s_add_u32 s2, s2, s0
	s_addc_u32 s3, s3, s1
	s_mul_hi_u32 s1, s4, s8
	s_mul_i32 s0, s4, s8
	s_lshl_b64 s[0:1], s[0:1], 1
	s_add_u32 s0, s2, s0
	s_addc_u32 s1, s3, s1
	s_waitcnt lgkmcnt(0)
	global_store_dwordx4 v1, v[2:5], s[0:1]
.LBB862_785:
	s_endpgm
	.section	.rodata,"a",@progbits
	.p2align	6, 0x0
	.amdhsa_kernel _Z39paged_attention_ll4mi_QKV_mfma16_kernelI14__hip_bfloat16hLN4vllm18Fp8KVCacheDataTypeE1ES0_Li16ELi64ELi256ELb0ELi1EL8MFMAType0EEvPKT_PKT0_S9_ifPKiSB_SB_iPKfiiiPfSE_PS4_PT2_iSD_SD_
		.amdhsa_group_segment_fixed_size 8192
		.amdhsa_private_segment_fixed_size 0
		.amdhsa_kernarg_size 400
		.amdhsa_user_sgpr_count 6
		.amdhsa_user_sgpr_private_segment_buffer 1
		.amdhsa_user_sgpr_dispatch_ptr 0
		.amdhsa_user_sgpr_queue_ptr 0
		.amdhsa_user_sgpr_kernarg_segment_ptr 1
		.amdhsa_user_sgpr_dispatch_id 0
		.amdhsa_user_sgpr_flat_scratch_init 0
		.amdhsa_user_sgpr_kernarg_preload_length 0
		.amdhsa_user_sgpr_kernarg_preload_offset 0
		.amdhsa_user_sgpr_private_segment_size 0
		.amdhsa_uses_dynamic_stack 0
		.amdhsa_system_sgpr_private_segment_wavefront_offset 0
		.amdhsa_system_sgpr_workgroup_id_x 1
		.amdhsa_system_sgpr_workgroup_id_y 1
		.amdhsa_system_sgpr_workgroup_id_z 1
		.amdhsa_system_sgpr_workgroup_info 0
		.amdhsa_system_vgpr_workitem_id 0
		.amdhsa_next_free_vgpr 61
		.amdhsa_next_free_sgpr 47
		.amdhsa_accum_offset 64
		.amdhsa_reserve_vcc 1
		.amdhsa_reserve_flat_scratch 0
		.amdhsa_float_round_mode_32 0
		.amdhsa_float_round_mode_16_64 0
		.amdhsa_float_denorm_mode_32 3
		.amdhsa_float_denorm_mode_16_64 3
		.amdhsa_dx10_clamp 1
		.amdhsa_ieee_mode 1
		.amdhsa_fp16_overflow 0
		.amdhsa_tg_split 0
		.amdhsa_exception_fp_ieee_invalid_op 0
		.amdhsa_exception_fp_denorm_src 0
		.amdhsa_exception_fp_ieee_div_zero 0
		.amdhsa_exception_fp_ieee_overflow 0
		.amdhsa_exception_fp_ieee_underflow 0
		.amdhsa_exception_fp_ieee_inexact 0
		.amdhsa_exception_int_div_zero 0
	.end_amdhsa_kernel
	.section	.text._Z39paged_attention_ll4mi_QKV_mfma16_kernelI14__hip_bfloat16hLN4vllm18Fp8KVCacheDataTypeE1ES0_Li16ELi64ELi256ELb0ELi1EL8MFMAType0EEvPKT_PKT0_S9_ifPKiSB_SB_iPKfiiiPfSE_PS4_PT2_iSD_SD_,"axG",@progbits,_Z39paged_attention_ll4mi_QKV_mfma16_kernelI14__hip_bfloat16hLN4vllm18Fp8KVCacheDataTypeE1ES0_Li16ELi64ELi256ELb0ELi1EL8MFMAType0EEvPKT_PKT0_S9_ifPKiSB_SB_iPKfiiiPfSE_PS4_PT2_iSD_SD_,comdat
.Lfunc_end862:
	.size	_Z39paged_attention_ll4mi_QKV_mfma16_kernelI14__hip_bfloat16hLN4vllm18Fp8KVCacheDataTypeE1ES0_Li16ELi64ELi256ELb0ELi1EL8MFMAType0EEvPKT_PKT0_S9_ifPKiSB_SB_iPKfiiiPfSE_PS4_PT2_iSD_SD_, .Lfunc_end862-_Z39paged_attention_ll4mi_QKV_mfma16_kernelI14__hip_bfloat16hLN4vllm18Fp8KVCacheDataTypeE1ES0_Li16ELi64ELi256ELb0ELi1EL8MFMAType0EEvPKT_PKT0_S9_ifPKiSB_SB_iPKfiiiPfSE_PS4_PT2_iSD_SD_
                                        ; -- End function
	.section	.AMDGPU.csdata,"",@progbits
; Kernel info:
; codeLenInByte = 28124
; NumSgprs: 51
; NumVgprs: 61
; NumAgprs: 0
; TotalNumVgprs: 61
; ScratchSize: 0
; MemoryBound: 0
; FloatMode: 240
; IeeeMode: 1
; LDSByteSize: 8192 bytes/workgroup (compile time only)
; SGPRBlocks: 6
; VGPRBlocks: 7
; NumSGPRsForWavesPerEU: 51
; NumVGPRsForWavesPerEU: 61
; AccumOffset: 64
; Occupancy: 8
; WaveLimiterHint : 1
; COMPUTE_PGM_RSRC2:SCRATCH_EN: 0
; COMPUTE_PGM_RSRC2:USER_SGPR: 6
; COMPUTE_PGM_RSRC2:TRAP_HANDLER: 0
; COMPUTE_PGM_RSRC2:TGID_X_EN: 1
; COMPUTE_PGM_RSRC2:TGID_Y_EN: 1
; COMPUTE_PGM_RSRC2:TGID_Z_EN: 1
; COMPUTE_PGM_RSRC2:TIDIG_COMP_CNT: 0
; COMPUTE_PGM_RSRC3_GFX90A:ACCUM_OFFSET: 15
; COMPUTE_PGM_RSRC3_GFX90A:TG_SPLIT: 0
	.section	.text._Z39paged_attention_ll4mi_QKV_mfma16_kernelI14__hip_bfloat16hLN4vllm18Fp8KVCacheDataTypeE1ES0_Li16ELi64ELi256ELb0ELi2EL8MFMAType0EEvPKT_PKT0_S9_ifPKiSB_SB_iPKfiiiPfSE_PS4_PT2_iSD_SD_,"axG",@progbits,_Z39paged_attention_ll4mi_QKV_mfma16_kernelI14__hip_bfloat16hLN4vllm18Fp8KVCacheDataTypeE1ES0_Li16ELi64ELi256ELb0ELi2EL8MFMAType0EEvPKT_PKT0_S9_ifPKiSB_SB_iPKfiiiPfSE_PS4_PT2_iSD_SD_,comdat
	.protected	_Z39paged_attention_ll4mi_QKV_mfma16_kernelI14__hip_bfloat16hLN4vllm18Fp8KVCacheDataTypeE1ES0_Li16ELi64ELi256ELb0ELi2EL8MFMAType0EEvPKT_PKT0_S9_ifPKiSB_SB_iPKfiiiPfSE_PS4_PT2_iSD_SD_ ; -- Begin function _Z39paged_attention_ll4mi_QKV_mfma16_kernelI14__hip_bfloat16hLN4vllm18Fp8KVCacheDataTypeE1ES0_Li16ELi64ELi256ELb0ELi2EL8MFMAType0EEvPKT_PKT0_S9_ifPKiSB_SB_iPKfiiiPfSE_PS4_PT2_iSD_SD_
	.globl	_Z39paged_attention_ll4mi_QKV_mfma16_kernelI14__hip_bfloat16hLN4vllm18Fp8KVCacheDataTypeE1ES0_Li16ELi64ELi256ELb0ELi2EL8MFMAType0EEvPKT_PKT0_S9_ifPKiSB_SB_iPKfiiiPfSE_PS4_PT2_iSD_SD_
	.p2align	8
	.type	_Z39paged_attention_ll4mi_QKV_mfma16_kernelI14__hip_bfloat16hLN4vllm18Fp8KVCacheDataTypeE1ES0_Li16ELi64ELi256ELb0ELi2EL8MFMAType0EEvPKT_PKT0_S9_ifPKiSB_SB_iPKfiiiPfSE_PS4_PT2_iSD_SD_,@function
_Z39paged_attention_ll4mi_QKV_mfma16_kernelI14__hip_bfloat16hLN4vllm18Fp8KVCacheDataTypeE1ES0_Li16ELi64ELi256ELb0ELi2EL8MFMAType0EEvPKT_PKT0_S9_ifPKiSB_SB_iPKfiiiPfSE_PS4_PT2_iSD_SD_: ; @_Z39paged_attention_ll4mi_QKV_mfma16_kernelI14__hip_bfloat16hLN4vllm18Fp8KVCacheDataTypeE1ES0_Li16ELi64ELi256ELb0ELi2EL8MFMAType0EEvPKT_PKT0_S9_ifPKiSB_SB_iPKfiiiPfSE_PS4_PT2_iSD_SD_
; %bb.0:
	s_load_dwordx2 s[0:1], s[4:5], 0x30
	s_mov_b32 s24, s7
	s_mov_b64 s[10:11], 0
	s_waitcnt lgkmcnt(0)
	s_cmp_lg_u64 s[0:1], 0
	s_cselect_b64 s[2:3], -1, 0
	s_and_b64 vcc, exec, s[2:3]
	s_cbranch_vccz .LBB863_7
; %bb.1:
	s_add_i32 s12, s6, 1
	s_mov_b32 s13, 0
	s_lshl_b64 s[14:15], s[12:13], 2
	s_add_u32 s14, s0, s14
	s_mov_b32 s7, s13
	s_addc_u32 s15, s1, s15
	s_lshl_b64 s[12:13], s[6:7], 2
	s_add_u32 s12, s0, s12
	s_addc_u32 s13, s1, s13
	s_load_dword s9, s[14:15], 0x0
	s_load_dword s16, s[12:13], 0x0
	s_waitcnt lgkmcnt(0)
	s_sub_i32 s9, s9, s16
	s_cmp_eq_u32 s9, 1
	s_cselect_b64 s[12:13], -1, 0
	s_andn2_b64 vcc, exec, s[10:11]
	s_cbranch_vccnz .LBB863_3
.LBB863_2:
	s_mov_b32 s7, 0
	s_mov_b64 s[12:13], -1
.LBB863_3:
	s_andn2_b64 vcc, exec, s[12:13]
	s_cbranch_vccnz .LBB863_785
; %bb.4:
	s_load_dwordx2 s[12:13], s[4:5], 0x28
	s_lshl_b64 s[10:11], s[6:7], 2
	s_waitcnt lgkmcnt(0)
	s_add_u32 s12, s12, s10
	s_addc_u32 s13, s13, s11
	s_load_dword s33, s[12:13], 0x0
	s_lshl_b32 s20, s24, 8
	s_waitcnt lgkmcnt(0)
	s_cmp_ge_i32 s20, s33
	s_cbranch_scc1 .LBB863_785
; %bb.5:
	s_add_i32 s14, s33, 15
	s_load_dwordx2 s[12:13], s[4:5], 0x20
	s_load_dword s9, s[4:5], 0x38
	s_ashr_i32 s15, s14, 31
	v_and_b32_e32 v1, 0xcf, v0
	s_lshr_b32 s15, s15, 28
	v_add_u32_e32 v1, s20, v1
	s_add_i32 s14, s14, s15
	v_ashrrev_i32_e32 v2, 31, v1
	s_ashr_i32 s22, s14, 4
	v_lshrrev_b32_e32 v4, 28, v2
	s_add_i32 s22, s22, -1
	v_add_u32_e32 v2, v1, v4
	s_waitcnt lgkmcnt(0)
	s_mul_i32 s14, s6, s9
	s_mov_b32 s15, 0
	v_ashrrev_i32_e32 v2, 4, v2
	v_mov_b32_e32 v5, s22
	v_cmp_gt_i32_e32 vcc, s33, v1
	s_lshl_b64 s[14:15], s[14:15], 2
	v_cndmask_b32_e32 v2, v5, v2, vcc
	s_add_u32 s9, s12, s14
	v_ashrrev_i32_e32 v3, 31, v2
	s_addc_u32 s21, s13, s15
	v_lshlrev_b64 v[2:3], 2, v[2:3]
	v_mov_b32_e32 v7, s21
	v_add_co_u32_e32 v6, vcc, s9, v2
	v_or_b32_e32 v2, 16, v1
	v_addc_co_u32_e32 v7, vcc, v7, v3, vcc
	v_add_u32_e32 v3, v2, v4
	v_ashrrev_i32_e32 v3, 4, v3
	v_cmp_gt_i32_e32 vcc, s33, v2
	v_cndmask_b32_e32 v2, v5, v3, vcc
	v_ashrrev_i32_e32 v3, 31, v2
	v_lshlrev_b64 v[2:3], 2, v[2:3]
	v_mov_b32_e32 v9, s21
	v_add_co_u32_e32 v8, vcc, s9, v2
	v_or_b32_e32 v2, 32, v1
	v_addc_co_u32_e32 v9, vcc, v9, v3, vcc
	v_add_u32_e32 v3, v2, v4
	v_ashrrev_i32_e32 v3, 4, v3
	v_cmp_gt_i32_e32 vcc, s33, v2
	v_cndmask_b32_e32 v2, v5, v3, vcc
	v_ashrrev_i32_e32 v3, 31, v2
	;; [unrolled: 10-line block ×3, first 2 shown]
	v_lshlrev_b64 v[2:3], 2, v[2:3]
	v_mov_b32_e32 v1, s21
	v_add_co_u32_e32 v12, vcc, s9, v2
	v_addc_co_u32_e32 v13, vcc, v1, v3, vcc
	global_load_dword v4, v[6:7], off
	global_load_dword v5, v[8:9], off
	;; [unrolled: 1-line block ×4, first 2 shown]
	s_load_dwordx4 s[12:15], s[4:5], 0x8
	s_andn2_b64 vcc, exec, s[2:3]
	s_cbranch_vccnz .LBB863_8
; %bb.6:
	s_add_u32 s0, s0, s10
	s_addc_u32 s1, s1, s11
	s_load_dword s10, s[0:1], 0x0
	s_branch .LBB863_9
.LBB863_7:
	s_mov_b64 s[12:13], 0
	s_branch .LBB863_2
.LBB863_8:
	s_mov_b32 s10, s6
.LBB863_9:
	s_load_dwordx4 s[16:19], s[4:5], 0x48
	v_lshrrev_b32_e32 v48, 6, v0
	v_bfe_u32 v1, v0, 4, 2
	v_lshl_or_b32 v6, v48, 2, v1
	v_and_b32_e32 v49, 15, v0
	v_lshlrev_b32_e32 v7, 3, v49
	v_cmp_gt_u32_e32 vcc, 2, v6
	v_cmp_gt_u32_e64 s[0:1], 8, v49
	s_lshl_b32 s25, s8, 1
	s_and_b64 s[26:27], s[0:1], vcc
	v_lshlrev_b32_e32 v46, 1, v7
	v_lshlrev_b32_e32 v47, 4, v0
	s_and_saveexec_b64 s[2:3], s[26:27]
	s_cbranch_execz .LBB863_11
; %bb.10:
	s_load_dwordx2 s[26:27], s[4:5], 0x0
	s_waitcnt lgkmcnt(0)
	s_ashr_i32 s11, s16, 31
	s_mul_hi_u32 s19, s10, s16
	s_mul_i32 s11, s10, s11
	s_add_i32 s11, s19, s11
	s_mul_i32 s10, s10, s16
	s_lshl_b64 s[10:11], s[10:11], 1
	v_add_lshl_u32 v8, v1, s25, 6
	s_add_u32 s10, s26, s10
	v_ashrrev_i32_e32 v9, 31, v8
	s_addc_u32 s11, s27, s11
	v_lshlrev_b64 v[8:9], 1, v[8:9]
	v_mov_b32_e32 v7, s11
	v_add_co_u32_e32 v8, vcc, s10, v8
	v_addc_co_u32_e32 v7, vcc, v7, v9, vcc
	v_add_co_u32_e32 v8, vcc, v8, v46
	v_addc_co_u32_e32 v9, vcc, 0, v7, vcc
	global_load_dwordx4 v[8:11], v[8:9], off
	v_lshlrev_b32_e32 v12, 8, v49
	v_lshlrev_b32_e32 v6, 5, v6
	v_and_b32_e32 v7, 16, v47
	v_and_b32_e32 v12, 0xe00, v12
	v_or3_b32 v6, v12, v6, v7
	s_waitcnt vmcnt(0)
	ds_write_b128 v6, v[8:11]
.LBB863_11:
	s_or_b64 exec, exec, s[2:3]
	v_and_b32_e32 v12, 48, v0
	v_or_b32_e32 v13, s20, v12
	v_ashrrev_i32_e32 v6, 4, v13
	v_mov_b32_e32 v14, s22
	v_cmp_gt_i32_e32 vcc, s33, v13
	v_cndmask_b32_e32 v6, v14, v6, vcc
	v_ashrrev_i32_e32 v7, 31, v6
	v_lshlrev_b64 v[6:7], 2, v[6:7]
	v_mov_b32_e32 v8, s21
	v_add_co_u32_e32 v6, vcc, s9, v6
	v_addc_co_u32_e32 v7, vcc, v8, v7, vcc
	v_or_b32_e32 v8, 64, v13
	v_ashrrev_i32_e32 v9, 4, v8
	v_cmp_gt_i32_e32 vcc, s33, v8
	v_cndmask_b32_e32 v8, v14, v9, vcc
	v_ashrrev_i32_e32 v9, 31, v8
	v_lshlrev_b64 v[8:9], 2, v[8:9]
	v_mov_b32_e32 v10, s21
	v_add_co_u32_e32 v8, vcc, s9, v8
	v_addc_co_u32_e32 v9, vcc, v10, v9, vcc
	v_or_b32_e32 v10, 0x80, v13
	v_ashrrev_i32_e32 v11, 4, v10
	v_cmp_gt_i32_e32 vcc, s33, v10
	v_cndmask_b32_e32 v10, v14, v11, vcc
	v_ashrrev_i32_e32 v11, 31, v10
	v_lshlrev_b64 v[10:11], 2, v[10:11]
	v_mov_b32_e32 v15, s21
	v_add_co_u32_e32 v10, vcc, s9, v10
	s_load_dwordx2 s[44:45], s[4:5], 0x94
	s_load_dwordx4 s[40:43], s[4:5], 0x80
	s_waitcnt lgkmcnt(0)
	s_barrier
	v_addc_co_u32_e32 v11, vcc, v15, v11, vcc
	global_load_dword v15, v[6:7], off
	global_load_dword v16, v[8:9], off
	;; [unrolled: 1-line block ×3, first 2 shown]
	v_or_b32_e32 v6, 0xc0, v13
	v_ashrrev_i32_e32 v7, 4, v6
	v_cmp_gt_i32_e32 vcc, s33, v6
	v_cndmask_b32_e32 v6, v14, v7, vcc
	v_ashrrev_i32_e32 v7, 31, v6
	v_lshlrev_b64 v[6:7], 2, v[6:7]
	v_mov_b32_e32 v8, s21
	v_add_co_u32_e32 v6, vcc, s9, v6
	v_addc_co_u32_e32 v7, vcc, v8, v7, vcc
	global_load_dword v20, v[6:7], off
	s_mul_i32 s8, s8, s18
	s_add_u32 s2, s12, s8
	s_addc_u32 s3, s13, 0
	v_and_b32_e32 v6, 0xf0, v47
	v_mov_b32_e32 v7, s3
	v_add_co_u32_e32 v6, vcc, s2, v6
	v_addc_co_u32_e32 v7, vcc, 0, v7, vcc
	v_lshlrev_b32_e32 v8, 4, v12
	v_add_co_u32_e32 v6, vcc, v6, v8
	v_addc_co_u32_e32 v7, vcc, 0, v7, vcc
	s_waitcnt vmcnt(7)
	v_mad_i64_i32 v[8:9], s[2:3], v4, s17, v[6:7]
	s_waitcnt vmcnt(6)
	v_mad_i64_i32 v[4:5], s[2:3], v5, s17, v[6:7]
	global_load_dwordx4 v[30:33], v[8:9], off
	global_load_dwordx4 v[38:41], v[4:5], off
	s_waitcnt vmcnt(7)
	v_mad_i64_i32 v[4:5], s[2:3], v2, s17, v[6:7]
	s_waitcnt vmcnt(6)
	v_mad_i64_i32 v[2:3], s[2:3], v3, s17, v[6:7]
	global_load_dwordx4 v[34:37], v[4:5], off
	global_load_dwordx4 v[22:25], v[2:3], off
	s_add_u32 s2, s14, s8
	v_lshlrev_b32_e32 v2, 4, v49
	s_addc_u32 s3, s15, 0
	v_lshl_or_b32 v2, v48, 8, v2
	v_mov_b32_e32 v3, s3
	v_add_co_u32_e32 v2, vcc, s2, v2
	v_addc_co_u32_e32 v3, vcc, 0, v3, vcc
	v_mov_b32_e32 v44, 0
	v_mov_b32_e32 v43, 0
	s_movk_i32 s8, 0x80
	s_waitcnt vmcnt(7)
	v_mad_i64_i32 v[4:5], s[2:3], v15, s17, v[2:3]
	s_waitcnt vmcnt(6)
	v_mad_i64_i32 v[6:7], s[2:3], v16, s17, v[2:3]
	;; [unrolled: 2-line block ×3, first 2 shown]
	global_load_dwordx4 v[14:17], v[4:5], off
	global_load_dwordx4 v[10:13], v[6:7], off
	s_waitcnt vmcnt(6)
	v_mad_i64_i32 v[20:21], s[2:3], v20, s17, v[2:3]
	global_load_dwordx4 v[6:9], v[18:19], off
	global_load_dwordx4 v[2:5], v[20:21], off
	v_and_b32_e32 v18, 1, v0
	v_lshlrev_b32_e32 v18, 5, v18
	v_lshl_or_b32 v18, v1, 9, v18
	ds_read_b128 v[26:29], v18
	ds_read_b128 v[18:21], v18 offset:16
	s_load_dword s12, s[40:41], 0x0
	s_waitcnt vmcnt(7)
	v_cmp_ne_u16_sdwa s[10:11], v30, v44 src0_sel:BYTE_0 src1_sel:DWORD
	s_and_saveexec_b64 s[2:3], s[10:11]
	s_cbranch_execz .LBB863_17
; %bb.12:
	v_cmp_ne_u16_sdwa s[10:11], v30, s8 src0_sel:BYTE_0 src1_sel:DWORD
	v_mov_b32_e32 v43, 0xffff8000
	s_and_saveexec_b64 s[8:9], s[10:11]
	s_cbranch_execz .LBB863_16
; %bb.13:
	s_movk_i32 s10, 0x7f
	v_and_b32_e32 v42, 0x7f, v30
	v_cmp_ne_u32_e32 vcc, s10, v42
	v_mov_b32_e32 v43, 0x7f80
	s_and_saveexec_b64 s[10:11], vcc
	s_cbranch_execz .LBB863_15
; %bb.14:
	v_and_b32_e32 v43, 7, v30
	v_ffbh_u32_e32 v50, v43
	v_min_u32_e32 v52, 32, v50
	v_subrev_u32_e32 v50, 28, v52
	v_lshlrev_b64 v[50:51], v50, v[30:31]
	v_lshrrev_b32_e32 v45, 3, v42
	v_sub_u32_e32 v51, 29, v52
	v_and_b32_e32 v50, 7, v50
	v_cmp_gt_u32_e32 vcc, 8, v42
	v_cndmask_b32_e32 v42, v45, v51, vcc
	v_cndmask_b32_e32 v43, v43, v50, vcc
	v_lshlrev_b32_e32 v45, 24, v30
	v_bfrev_b32_e32 v50, 60
	v_lshlrev_b32_e32 v43, 20, v43
	v_and_b32_e32 v45, 0x80000000, v45
	v_lshl_add_u32 v42, v42, 23, v50
	v_or3_b32 v42, v45, v42, v43
	v_lshrrev_b32_e32 v43, 16, v42
.LBB863_15:
	s_or_b64 exec, exec, s[10:11]
.LBB863_16:
	s_or_b64 exec, exec, s[8:9]
.LBB863_17:
	s_or_b64 exec, exec, s[2:3]
	v_lshrrev_b16_e32 v42, 8, v30
	v_cmp_ne_u16_e32 vcc, 0, v42
	s_and_saveexec_b64 s[2:3], vcc
	s_cbranch_execz .LBB863_23
; %bb.18:
	s_movk_i32 s8, 0x80
	v_cmp_ne_u16_e32 vcc, s8, v42
	v_mov_b32_e32 v44, 0xffff8000
	s_and_saveexec_b64 s[8:9], vcc
	s_cbranch_execz .LBB863_22
; %bb.19:
	s_movk_i32 s10, 0x7f
	v_and_b32_e32 v45, 0x7f, v42
	v_cmp_ne_u32_e32 vcc, s10, v45
	v_mov_b32_e32 v44, 0x7f80
	s_and_saveexec_b64 s[10:11], vcc
	s_cbranch_execz .LBB863_21
; %bb.20:
	v_and_b32_e32 v44, 7, v42
	v_ffbh_u32_e32 v50, v44
	v_min_u32_e32 v53, 32, v50
	v_subrev_u32_e32 v50, 28, v53
	v_lshlrev_b64 v[50:51], v50, v[42:43]
	v_lshrrev_b32_e32 v52, 3, v45
	v_sub_u32_e32 v42, 29, v53
	v_and_b32_e32 v50, 7, v50
	v_cmp_gt_u32_e32 vcc, 8, v45
	v_cndmask_b32_e32 v42, v52, v42, vcc
	v_cndmask_b32_e32 v44, v44, v50, vcc
	v_lshlrev_b32_e32 v45, 16, v30
	v_bfrev_b32_e32 v50, 60
	v_lshlrev_b32_e32 v44, 20, v44
	v_and_b32_e32 v45, 0x80000000, v45
	v_lshl_add_u32 v42, v42, 23, v50
	v_or3_b32 v42, v45, v42, v44
	v_lshrrev_b32_e32 v44, 16, v42
.LBB863_21:
	s_or_b64 exec, exec, s[10:11]
.LBB863_22:
	s_or_b64 exec, exec, s[8:9]
.LBB863_23:
	s_or_b64 exec, exec, s[2:3]
	s_movk_i32 s2, 0xff
	v_and_b32_sdwa v51, v30, s2 dst_sel:DWORD dst_unused:UNUSED_PAD src0_sel:WORD_1 src1_sel:DWORD
	v_lshrrev_b32_e32 v42, 16, v30
	v_cmp_ne_u16_e32 vcc, 0, v51
	v_mov_b32_e32 v45, 0
	v_mov_b32_e32 v50, 0
	s_and_saveexec_b64 s[2:3], vcc
	s_cbranch_execz .LBB863_29
; %bb.24:
	s_movk_i32 s8, 0x80
	v_cmp_ne_u16_e32 vcc, s8, v51
	v_mov_b32_e32 v50, 0xffff8000
	s_and_saveexec_b64 s[8:9], vcc
	s_cbranch_execz .LBB863_28
; %bb.25:
	v_bfe_u32 v51, v30, 16, 7
	s_movk_i32 s10, 0x7f
	v_cmp_ne_u32_e32 vcc, s10, v51
	v_mov_b32_e32 v50, 0x7f80
	s_and_saveexec_b64 s[10:11], vcc
	s_cbranch_execz .LBB863_27
; %bb.26:
	v_and_b32_e32 v50, 7, v42
	v_ffbh_u32_e32 v52, v50
	v_min_u32_e32 v55, 32, v52
	v_subrev_u32_e32 v52, 28, v55
	v_lshlrev_b64 v[52:53], v52, v[42:43]
	v_lshrrev_b32_e32 v54, 3, v51
	v_sub_u32_e32 v42, 29, v55
	v_and_b32_e32 v52, 7, v52
	v_cmp_gt_u32_e32 vcc, 8, v51
	v_mov_b32_e32 v51, 24
	v_cndmask_b32_e32 v42, v54, v42, vcc
	v_cndmask_b32_e32 v50, v50, v52, vcc
	v_lshlrev_b32_sdwa v51, v51, v30 dst_sel:DWORD dst_unused:UNUSED_PAD src0_sel:DWORD src1_sel:WORD_1
	v_bfrev_b32_e32 v52, 60
	v_lshlrev_b32_e32 v50, 20, v50
	v_and_b32_e32 v51, 0x80000000, v51
	v_lshl_add_u32 v42, v42, 23, v52
	v_or3_b32 v42, v51, v42, v50
	v_lshrrev_b32_e32 v50, 16, v42
.LBB863_27:
	s_or_b64 exec, exec, s[10:11]
.LBB863_28:
	s_or_b64 exec, exec, s[8:9]
.LBB863_29:
	s_or_b64 exec, exec, s[2:3]
	s_mov_b32 s2, 0xffffff
	v_cmp_lt_u32_e32 vcc, s2, v30
	s_and_saveexec_b64 s[2:3], vcc
	s_cbranch_execz .LBB863_35
; %bb.30:
	v_lshrrev_b32_e32 v42, 24, v30
	s_movk_i32 s8, 0x80
	v_cmp_ne_u32_e32 vcc, s8, v42
	v_mov_b32_e32 v45, 0xffff8000
	s_and_saveexec_b64 s[8:9], vcc
	s_cbranch_execz .LBB863_34
; %bb.31:
	v_bfe_u32 v30, v30, 24, 7
	s_movk_i32 s10, 0x7f
	v_cmp_ne_u32_e32 vcc, s10, v30
	v_mov_b32_e32 v45, 0x7f80
	s_and_saveexec_b64 s[10:11], vcc
	s_cbranch_execz .LBB863_33
; %bb.32:
	v_and_b32_e32 v45, 7, v42
	v_ffbh_u32_e32 v52, v45
	v_min_u32_e32 v54, 32, v52
	v_subrev_u32_e32 v52, 28, v54
	v_lshlrev_b64 v[52:53], v52, v[42:43]
	v_lshrrev_b32_e32 v51, 3, v30
	v_sub_u32_e32 v53, 29, v54
	v_and_b32_e32 v52, 7, v52
	v_cmp_gt_u32_e32 vcc, 8, v30
	v_cndmask_b32_e32 v30, v51, v53, vcc
	v_cndmask_b32_e32 v45, v45, v52, vcc
	v_lshlrev_b32_e32 v42, 24, v42
	v_bfrev_b32_e32 v51, 60
	v_lshlrev_b32_e32 v45, 20, v45
	v_and_b32_e32 v42, 0x80000000, v42
	v_lshl_add_u32 v30, v30, 23, v51
	v_or3_b32 v30, v42, v30, v45
	v_lshrrev_b32_e32 v45, 16, v30
.LBB863_33:
	s_or_b64 exec, exec, s[10:11]
.LBB863_34:
	s_or_b64 exec, exec, s[8:9]
.LBB863_35:
	s_or_b64 exec, exec, s[2:3]
	v_mov_b32_e32 v42, 0
	v_cmp_ne_u16_sdwa s[8:9], v31, v42 src0_sel:BYTE_0 src1_sel:DWORD
	v_mov_b32_e32 v51, 0
	s_and_saveexec_b64 s[2:3], s[8:9]
	s_cbranch_execz .LBB863_41
; %bb.36:
	s_movk_i32 s8, 0x80
	v_cmp_ne_u16_sdwa s[10:11], v31, s8 src0_sel:BYTE_0 src1_sel:DWORD
	v_mov_b32_e32 v51, 0xffff8000
	s_and_saveexec_b64 s[8:9], s[10:11]
	s_cbranch_execz .LBB863_40
; %bb.37:
	s_movk_i32 s10, 0x7f
	v_and_b32_e32 v30, 0x7f, v31
	v_cmp_ne_u32_e32 vcc, s10, v30
	v_mov_b32_e32 v51, 0x7f80
	s_and_saveexec_b64 s[10:11], vcc
	s_cbranch_execz .LBB863_39
; %bb.38:
	v_and_b32_e32 v51, 7, v31
	v_ffbh_u32_e32 v53, v51
	v_min_u32_e32 v55, 32, v53
	v_mov_b32_e32 v52, v31
	v_subrev_u32_e32 v53, 28, v55
	v_lshlrev_b64 v[52:53], v53, v[52:53]
	v_lshrrev_b32_e32 v54, 3, v30
	v_sub_u32_e32 v53, 29, v55
	v_and_b32_e32 v52, 7, v52
	v_cmp_gt_u32_e32 vcc, 8, v30
	v_cndmask_b32_e32 v30, v54, v53, vcc
	v_cndmask_b32_e32 v51, v51, v52, vcc
	v_lshlrev_b32_e32 v52, 24, v31
	v_bfrev_b32_e32 v53, 60
	v_lshlrev_b32_e32 v51, 20, v51
	v_and_b32_e32 v52, 0x80000000, v52
	v_lshl_add_u32 v30, v30, 23, v53
	v_or3_b32 v30, v52, v30, v51
	v_lshrrev_b32_e32 v51, 16, v30
.LBB863_39:
	s_or_b64 exec, exec, s[10:11]
.LBB863_40:
	s_or_b64 exec, exec, s[8:9]
.LBB863_41:
	s_or_b64 exec, exec, s[2:3]
	v_lshrrev_b16_e32 v30, 8, v31
	v_cmp_ne_u16_e32 vcc, 0, v30
	s_and_saveexec_b64 s[2:3], vcc
	s_cbranch_execz .LBB863_47
; %bb.42:
	s_movk_i32 s8, 0x80
	v_cmp_ne_u16_e32 vcc, s8, v30
	v_mov_b32_e32 v42, 0xffff8000
	s_and_saveexec_b64 s[8:9], vcc
	s_cbranch_execz .LBB863_46
; %bb.43:
	s_movk_i32 s10, 0x7f
	v_and_b32_e32 v52, 0x7f, v30
	v_cmp_ne_u32_e32 vcc, s10, v52
	v_mov_b32_e32 v42, 0x7f80
	s_and_saveexec_b64 s[10:11], vcc
	s_cbranch_execz .LBB863_45
; %bb.44:
	v_and_b32_e32 v42, 7, v30
	v_ffbh_u32_e32 v54, v42
	v_min_u32_e32 v56, 32, v54
	v_subrev_u32_e32 v54, 28, v56
	v_lshlrev_b64 v[54:55], v54, v[30:31]
	v_lshrrev_b32_e32 v53, 3, v52
	v_sub_u32_e32 v30, 29, v56
	v_and_b32_e32 v54, 7, v54
	v_cmp_gt_u32_e32 vcc, 8, v52
	v_cndmask_b32_e32 v30, v53, v30, vcc
	v_cndmask_b32_e32 v42, v42, v54, vcc
	v_lshlrev_b32_e32 v52, 16, v31
	v_bfrev_b32_e32 v53, 60
	v_lshlrev_b32_e32 v42, 20, v42
	v_and_b32_e32 v52, 0x80000000, v52
	v_lshl_add_u32 v30, v30, 23, v53
	v_or3_b32 v30, v52, v30, v42
	v_lshrrev_b32_e32 v42, 16, v30
.LBB863_45:
	s_or_b64 exec, exec, s[10:11]
.LBB863_46:
	s_or_b64 exec, exec, s[8:9]
.LBB863_47:
	s_or_b64 exec, exec, s[2:3]
	s_movk_i32 s2, 0xff
	v_and_b32_sdwa v54, v31, s2 dst_sel:DWORD dst_unused:UNUSED_PAD src0_sel:WORD_1 src1_sel:DWORD
	v_lshrrev_b32_e32 v30, 16, v31
	v_cmp_ne_u16_e32 vcc, 0, v54
	v_mov_b32_e32 v52, 0
	v_mov_b32_e32 v53, 0
	s_and_saveexec_b64 s[2:3], vcc
	s_cbranch_execz .LBB863_53
; %bb.48:
	s_movk_i32 s8, 0x80
	v_cmp_ne_u16_e32 vcc, s8, v54
	v_mov_b32_e32 v53, 0xffff8000
	s_and_saveexec_b64 s[8:9], vcc
	s_cbranch_execz .LBB863_52
; %bb.49:
	v_bfe_u32 v54, v31, 16, 7
	s_movk_i32 s10, 0x7f
	v_cmp_ne_u32_e32 vcc, s10, v54
	v_mov_b32_e32 v53, 0x7f80
	s_and_saveexec_b64 s[10:11], vcc
	s_cbranch_execz .LBB863_51
; %bb.50:
	v_and_b32_e32 v53, 7, v30
	v_ffbh_u32_e32 v56, v53
	v_min_u32_e32 v58, 32, v56
	v_subrev_u32_e32 v56, 28, v58
	v_lshlrev_b64 v[56:57], v56, v[30:31]
	v_lshrrev_b32_e32 v55, 3, v54
	v_sub_u32_e32 v30, 29, v58
	v_and_b32_e32 v56, 7, v56
	v_cmp_gt_u32_e32 vcc, 8, v54
	v_mov_b32_e32 v54, 24
	v_cndmask_b32_e32 v30, v55, v30, vcc
	v_cndmask_b32_e32 v53, v53, v56, vcc
	v_lshlrev_b32_sdwa v54, v54, v31 dst_sel:DWORD dst_unused:UNUSED_PAD src0_sel:DWORD src1_sel:WORD_1
	v_bfrev_b32_e32 v55, 60
	v_lshlrev_b32_e32 v53, 20, v53
	v_and_b32_e32 v54, 0x80000000, v54
	v_lshl_add_u32 v30, v30, 23, v55
	v_or3_b32 v30, v54, v30, v53
	v_lshrrev_b32_e32 v53, 16, v30
.LBB863_51:
	s_or_b64 exec, exec, s[10:11]
.LBB863_52:
	s_or_b64 exec, exec, s[8:9]
.LBB863_53:
	s_or_b64 exec, exec, s[2:3]
	s_mov_b32 s2, 0xffffff
	v_cmp_lt_u32_e32 vcc, s2, v31
	s_and_saveexec_b64 s[2:3], vcc
	s_cbranch_execz .LBB863_59
; %bb.54:
	v_lshrrev_b32_e32 v30, 24, v31
	s_movk_i32 s8, 0x80
	v_cmp_ne_u32_e32 vcc, s8, v30
	v_mov_b32_e32 v52, 0xffff8000
	s_and_saveexec_b64 s[8:9], vcc
	s_cbranch_execz .LBB863_58
; %bb.55:
	v_bfe_u32 v31, v31, 24, 7
	s_movk_i32 s10, 0x7f
	v_cmp_ne_u32_e32 vcc, s10, v31
	v_mov_b32_e32 v52, 0x7f80
	s_and_saveexec_b64 s[10:11], vcc
	s_cbranch_execz .LBB863_57
; %bb.56:
	v_and_b32_e32 v52, 7, v30
	v_ffbh_u32_e32 v54, v52
	v_min_u32_e32 v57, 32, v54
	v_subrev_u32_e32 v54, 28, v57
	v_lshlrev_b64 v[54:55], v54, v[30:31]
	v_lshrrev_b32_e32 v56, 3, v31
	v_sub_u32_e32 v55, 29, v57
	v_and_b32_e32 v54, 7, v54
	v_cmp_gt_u32_e32 vcc, 8, v31
	v_cndmask_b32_e32 v31, v56, v55, vcc
	v_cndmask_b32_e32 v52, v52, v54, vcc
	v_lshlrev_b32_e32 v30, 24, v30
	v_bfrev_b32_e32 v54, 60
	v_lshlrev_b32_e32 v52, 20, v52
	v_and_b32_e32 v30, 0x80000000, v30
	v_lshl_add_u32 v31, v31, 23, v54
	v_or3_b32 v30, v30, v31, v52
	v_lshrrev_b32_e32 v52, 16, v30
.LBB863_57:
	s_or_b64 exec, exec, s[10:11]
.LBB863_58:
	s_or_b64 exec, exec, s[8:9]
.LBB863_59:
	s_or_b64 exec, exec, s[2:3]
	s_mov_b32 s2, 0x5040100
	v_perm_b32 v31, v45, v50, s2
	v_perm_b32 v30, v44, v43, s2
	;; [unrolled: 1-line block ×4, first 2 shown]
	v_mov_b32_e32 v50, 0
	s_waitcnt lgkmcnt(0)
	v_mfma_f32_16x16x16bf16_1k v[54:57], v[30:31], v[26:27], 0
	v_mov_b32_e32 v31, 0
	v_cmp_ne_u16_sdwa s[8:9], v32, v31 src0_sel:BYTE_0 src1_sel:DWORD
	v_mfma_f32_16x16x16bf16_1k v[42:45], v[42:43], v[28:29], v[54:57]
	s_and_saveexec_b64 s[2:3], s[8:9]
	s_cbranch_execz .LBB863_65
; %bb.60:
	s_movk_i32 s8, 0x80
	v_cmp_ne_u16_sdwa s[10:11], v32, s8 src0_sel:BYTE_0 src1_sel:DWORD
	v_mov_b32_e32 v50, 0xffff8000
	s_and_saveexec_b64 s[8:9], s[10:11]
	s_cbranch_execz .LBB863_64
; %bb.61:
	s_movk_i32 s10, 0x7f
	v_and_b32_e32 v30, 0x7f, v32
	v_cmp_ne_u32_e32 vcc, s10, v30
	v_mov_b32_e32 v50, 0x7f80
	s_and_saveexec_b64 s[10:11], vcc
	s_cbranch_execz .LBB863_63
; %bb.62:
	v_and_b32_e32 v52, 7, v32
	v_ffbh_u32_e32 v50, v52
	v_min_u32_e32 v54, 32, v50
	v_subrev_u32_e32 v50, 28, v54
	v_lshlrev_b64 v[50:51], v50, v[32:33]
	v_lshrrev_b32_e32 v53, 3, v30
	v_sub_u32_e32 v51, 29, v54
	v_and_b32_e32 v50, 7, v50
	v_cmp_gt_u32_e32 vcc, 8, v30
	v_cndmask_b32_e32 v30, v53, v51, vcc
	v_cndmask_b32_e32 v50, v52, v50, vcc
	v_lshlrev_b32_e32 v51, 24, v32
	v_bfrev_b32_e32 v52, 60
	v_lshlrev_b32_e32 v50, 20, v50
	v_and_b32_e32 v51, 0x80000000, v51
	v_lshl_add_u32 v30, v30, 23, v52
	v_or3_b32 v30, v51, v30, v50
	v_lshrrev_b32_e32 v50, 16, v30
.LBB863_63:
	s_or_b64 exec, exec, s[10:11]
.LBB863_64:
	s_or_b64 exec, exec, s[8:9]
.LBB863_65:
	s_or_b64 exec, exec, s[2:3]
	v_lshrrev_b16_e32 v30, 8, v32
	v_cmp_ne_u16_e32 vcc, 0, v30
	s_and_saveexec_b64 s[2:3], vcc
	s_cbranch_execz .LBB863_71
; %bb.66:
	s_movk_i32 s8, 0x80
	v_cmp_ne_u16_e32 vcc, s8, v30
	v_mov_b32_e32 v31, 0xffff8000
	s_and_saveexec_b64 s[8:9], vcc
	s_cbranch_execz .LBB863_70
; %bb.67:
	s_movk_i32 s10, 0x7f
	v_and_b32_e32 v51, 0x7f, v30
	v_cmp_ne_u32_e32 vcc, s10, v51
	v_mov_b32_e32 v31, 0x7f80
	s_and_saveexec_b64 s[10:11], vcc
	s_cbranch_execz .LBB863_69
; %bb.68:
	v_and_b32_e32 v52, 7, v30
	v_ffbh_u32_e32 v31, v52
	v_min_u32_e32 v54, 32, v31
	v_subrev_u32_e32 v31, 28, v54
	v_lshlrev_b64 v[30:31], v31, v[30:31]
	v_lshrrev_b32_e32 v53, 3, v51
	v_sub_u32_e32 v31, 29, v54
	v_and_b32_e32 v30, 7, v30
	v_cmp_gt_u32_e32 vcc, 8, v51
	v_cndmask_b32_e32 v31, v53, v31, vcc
	v_cndmask_b32_e32 v30, v52, v30, vcc
	v_lshlrev_b32_e32 v51, 16, v32
	v_bfrev_b32_e32 v52, 60
	v_lshlrev_b32_e32 v30, 20, v30
	v_and_b32_e32 v51, 0x80000000, v51
	v_lshl_add_u32 v31, v31, 23, v52
	v_or3_b32 v30, v51, v31, v30
	v_lshrrev_b32_e32 v31, 16, v30
.LBB863_69:
	s_or_b64 exec, exec, s[10:11]
.LBB863_70:
	s_or_b64 exec, exec, s[8:9]
.LBB863_71:
	s_or_b64 exec, exec, s[2:3]
	s_movk_i32 s2, 0xff
	v_and_b32_sdwa v53, v32, s2 dst_sel:DWORD dst_unused:UNUSED_PAD src0_sel:WORD_1 src1_sel:DWORD
	v_lshrrev_b32_e32 v30, 16, v32
	v_cmp_ne_u16_e32 vcc, 0, v53
	v_mov_b32_e32 v51, 0
	v_mov_b32_e32 v52, 0
	s_and_saveexec_b64 s[2:3], vcc
	s_cbranch_execz .LBB863_77
; %bb.72:
	s_movk_i32 s8, 0x80
	v_cmp_ne_u16_e32 vcc, s8, v53
	v_mov_b32_e32 v52, 0xffff8000
	s_and_saveexec_b64 s[8:9], vcc
	s_cbranch_execz .LBB863_76
; %bb.73:
	v_bfe_u32 v53, v32, 16, 7
	s_movk_i32 s10, 0x7f
	v_cmp_ne_u32_e32 vcc, s10, v53
	v_mov_b32_e32 v52, 0x7f80
	s_and_saveexec_b64 s[10:11], vcc
	s_cbranch_execz .LBB863_75
; %bb.74:
	v_and_b32_e32 v52, 7, v30
	v_ffbh_u32_e32 v54, v52
	v_min_u32_e32 v57, 32, v54
	v_subrev_u32_e32 v54, 28, v57
	v_lshlrev_b64 v[54:55], v54, v[30:31]
	v_lshrrev_b32_e32 v56, 3, v53
	v_sub_u32_e32 v30, 29, v57
	v_and_b32_e32 v54, 7, v54
	v_cmp_gt_u32_e32 vcc, 8, v53
	v_mov_b32_e32 v53, 24
	v_cndmask_b32_e32 v30, v56, v30, vcc
	v_cndmask_b32_e32 v52, v52, v54, vcc
	v_lshlrev_b32_sdwa v53, v53, v32 dst_sel:DWORD dst_unused:UNUSED_PAD src0_sel:DWORD src1_sel:WORD_1
	v_bfrev_b32_e32 v54, 60
	v_lshlrev_b32_e32 v52, 20, v52
	v_and_b32_e32 v53, 0x80000000, v53
	v_lshl_add_u32 v30, v30, 23, v54
	v_or3_b32 v30, v53, v30, v52
	v_lshrrev_b32_e32 v52, 16, v30
.LBB863_75:
	s_or_b64 exec, exec, s[10:11]
.LBB863_76:
	s_or_b64 exec, exec, s[8:9]
.LBB863_77:
	s_or_b64 exec, exec, s[2:3]
	s_mov_b32 s2, 0xffffff
	v_cmp_lt_u32_e32 vcc, s2, v32
	s_and_saveexec_b64 s[2:3], vcc
	s_cbranch_execz .LBB863_83
; %bb.78:
	v_lshrrev_b32_e32 v30, 24, v32
	s_movk_i32 s8, 0x80
	v_cmp_ne_u32_e32 vcc, s8, v30
	v_mov_b32_e32 v51, 0xffff8000
	s_and_saveexec_b64 s[8:9], vcc
	s_cbranch_execz .LBB863_82
; %bb.79:
	v_bfe_u32 v32, v32, 24, 7
	s_movk_i32 s10, 0x7f
	v_cmp_ne_u32_e32 vcc, s10, v32
	v_mov_b32_e32 v51, 0x7f80
	s_and_saveexec_b64 s[10:11], vcc
	s_cbranch_execz .LBB863_81
; %bb.80:
	v_and_b32_e32 v51, 7, v30
	v_ffbh_u32_e32 v54, v51
	v_min_u32_e32 v56, 32, v54
	v_subrev_u32_e32 v54, 28, v56
	v_lshlrev_b64 v[54:55], v54, v[30:31]
	v_lshrrev_b32_e32 v53, 3, v32
	v_sub_u32_e32 v55, 29, v56
	v_and_b32_e32 v54, 7, v54
	v_cmp_gt_u32_e32 vcc, 8, v32
	v_cndmask_b32_e32 v32, v53, v55, vcc
	v_cndmask_b32_e32 v51, v51, v54, vcc
	v_lshlrev_b32_e32 v30, 24, v30
	v_bfrev_b32_e32 v53, 60
	v_lshlrev_b32_e32 v51, 20, v51
	v_and_b32_e32 v30, 0x80000000, v30
	v_lshl_add_u32 v32, v32, 23, v53
	v_or3_b32 v30, v30, v32, v51
	v_lshrrev_b32_e32 v51, 16, v30
.LBB863_81:
	s_or_b64 exec, exec, s[10:11]
.LBB863_82:
	s_or_b64 exec, exec, s[8:9]
.LBB863_83:
	s_or_b64 exec, exec, s[2:3]
	v_mov_b32_e32 v32, 0
	v_cmp_ne_u16_sdwa s[8:9], v33, v32 src0_sel:BYTE_0 src1_sel:DWORD
	v_mov_b32_e32 v53, 0
	s_and_saveexec_b64 s[2:3], s[8:9]
	s_cbranch_execz .LBB863_89
; %bb.84:
	s_movk_i32 s8, 0x80
	v_cmp_ne_u16_sdwa s[10:11], v33, s8 src0_sel:BYTE_0 src1_sel:DWORD
	v_mov_b32_e32 v53, 0xffff8000
	s_and_saveexec_b64 s[8:9], s[10:11]
	s_cbranch_execz .LBB863_88
; %bb.85:
	s_movk_i32 s10, 0x7f
	v_and_b32_e32 v30, 0x7f, v33
	v_cmp_ne_u32_e32 vcc, s10, v30
	v_mov_b32_e32 v53, 0x7f80
	s_and_saveexec_b64 s[10:11], vcc
	s_cbranch_execz .LBB863_87
; %bb.86:
	v_and_b32_e32 v53, 7, v33
	v_ffbh_u32_e32 v55, v53
	v_min_u32_e32 v57, 32, v55
	v_mov_b32_e32 v54, v33
	v_subrev_u32_e32 v55, 28, v57
	v_lshlrev_b64 v[54:55], v55, v[54:55]
	v_lshrrev_b32_e32 v56, 3, v30
	v_sub_u32_e32 v55, 29, v57
	v_and_b32_e32 v54, 7, v54
	v_cmp_gt_u32_e32 vcc, 8, v30
	v_cndmask_b32_e32 v30, v56, v55, vcc
	v_cndmask_b32_e32 v53, v53, v54, vcc
	v_lshlrev_b32_e32 v54, 24, v33
	v_bfrev_b32_e32 v55, 60
	v_lshlrev_b32_e32 v53, 20, v53
	v_and_b32_e32 v54, 0x80000000, v54
	v_lshl_add_u32 v30, v30, 23, v55
	v_or3_b32 v30, v54, v30, v53
	v_lshrrev_b32_e32 v53, 16, v30
.LBB863_87:
	s_or_b64 exec, exec, s[10:11]
.LBB863_88:
	s_or_b64 exec, exec, s[8:9]
.LBB863_89:
	s_or_b64 exec, exec, s[2:3]
	v_lshrrev_b16_e32 v30, 8, v33
	v_cmp_ne_u16_e32 vcc, 0, v30
	s_and_saveexec_b64 s[2:3], vcc
	s_cbranch_execz .LBB863_95
; %bb.90:
	s_movk_i32 s8, 0x80
	v_cmp_ne_u16_e32 vcc, s8, v30
	v_mov_b32_e32 v32, 0xffff8000
	s_and_saveexec_b64 s[8:9], vcc
	s_cbranch_execz .LBB863_94
; %bb.91:
	s_movk_i32 s10, 0x7f
	v_and_b32_e32 v54, 0x7f, v30
	v_cmp_ne_u32_e32 vcc, s10, v54
	v_mov_b32_e32 v32, 0x7f80
	s_and_saveexec_b64 s[10:11], vcc
	s_cbranch_execz .LBB863_93
; %bb.92:
	v_and_b32_e32 v32, 7, v30
	v_ffbh_u32_e32 v56, v32
	v_min_u32_e32 v58, 32, v56
	v_subrev_u32_e32 v56, 28, v58
	v_lshlrev_b64 v[56:57], v56, v[30:31]
	v_lshrrev_b32_e32 v55, 3, v54
	v_sub_u32_e32 v30, 29, v58
	v_and_b32_e32 v56, 7, v56
	v_cmp_gt_u32_e32 vcc, 8, v54
	v_cndmask_b32_e32 v30, v55, v30, vcc
	v_cndmask_b32_e32 v32, v32, v56, vcc
	v_lshlrev_b32_e32 v54, 16, v33
	v_bfrev_b32_e32 v55, 60
	v_lshlrev_b32_e32 v32, 20, v32
	v_and_b32_e32 v54, 0x80000000, v54
	v_lshl_add_u32 v30, v30, 23, v55
	v_or3_b32 v30, v54, v30, v32
	v_lshrrev_b32_e32 v32, 16, v30
.LBB863_93:
	s_or_b64 exec, exec, s[10:11]
.LBB863_94:
	s_or_b64 exec, exec, s[8:9]
.LBB863_95:
	s_or_b64 exec, exec, s[2:3]
	s_movk_i32 s2, 0xff
	v_and_b32_sdwa v56, v33, s2 dst_sel:DWORD dst_unused:UNUSED_PAD src0_sel:WORD_1 src1_sel:DWORD
	v_lshrrev_b32_e32 v30, 16, v33
	v_cmp_ne_u16_e32 vcc, 0, v56
	v_mov_b32_e32 v54, 0
	v_mov_b32_e32 v55, 0
	s_and_saveexec_b64 s[2:3], vcc
	s_cbranch_execz .LBB863_101
; %bb.96:
	s_movk_i32 s8, 0x80
	v_cmp_ne_u16_e32 vcc, s8, v56
	v_mov_b32_e32 v55, 0xffff8000
	s_and_saveexec_b64 s[8:9], vcc
	s_cbranch_execz .LBB863_100
; %bb.97:
	v_bfe_u32 v56, v33, 16, 7
	s_movk_i32 s10, 0x7f
	v_cmp_ne_u32_e32 vcc, s10, v56
	v_mov_b32_e32 v55, 0x7f80
	s_and_saveexec_b64 s[10:11], vcc
	s_cbranch_execz .LBB863_99
; %bb.98:
	v_and_b32_e32 v55, 7, v30
	v_ffbh_u32_e32 v58, v55
	v_min_u32_e32 v60, 32, v58
	v_subrev_u32_e32 v58, 28, v60
	v_lshlrev_b64 v[58:59], v58, v[30:31]
	v_lshrrev_b32_e32 v57, 3, v56
	v_sub_u32_e32 v30, 29, v60
	v_and_b32_e32 v58, 7, v58
	v_cmp_gt_u32_e32 vcc, 8, v56
	v_mov_b32_e32 v56, 24
	v_cndmask_b32_e32 v30, v57, v30, vcc
	v_cndmask_b32_e32 v55, v55, v58, vcc
	v_lshlrev_b32_sdwa v56, v56, v33 dst_sel:DWORD dst_unused:UNUSED_PAD src0_sel:DWORD src1_sel:WORD_1
	v_bfrev_b32_e32 v57, 60
	v_lshlrev_b32_e32 v55, 20, v55
	v_and_b32_e32 v56, 0x80000000, v56
	v_lshl_add_u32 v30, v30, 23, v57
	v_or3_b32 v30, v56, v30, v55
	v_lshrrev_b32_e32 v55, 16, v30
.LBB863_99:
	s_or_b64 exec, exec, s[10:11]
.LBB863_100:
	s_or_b64 exec, exec, s[8:9]
.LBB863_101:
	s_or_b64 exec, exec, s[2:3]
	s_mov_b32 s2, 0xffffff
	v_cmp_lt_u32_e32 vcc, s2, v33
	s_and_saveexec_b64 s[2:3], vcc
	s_cbranch_execz .LBB863_107
; %bb.102:
	v_lshrrev_b32_e32 v30, 24, v33
	s_movk_i32 s8, 0x80
	v_cmp_ne_u32_e32 vcc, s8, v30
	v_mov_b32_e32 v54, 0xffff8000
	s_and_saveexec_b64 s[8:9], vcc
	s_cbranch_execz .LBB863_106
; %bb.103:
	v_bfe_u32 v33, v33, 24, 7
	s_movk_i32 s10, 0x7f
	v_cmp_ne_u32_e32 vcc, s10, v33
	v_mov_b32_e32 v54, 0x7f80
	s_and_saveexec_b64 s[10:11], vcc
	s_cbranch_execz .LBB863_105
; %bb.104:
	v_and_b32_e32 v54, 7, v30
	v_ffbh_u32_e32 v56, v54
	v_min_u32_e32 v59, 32, v56
	v_subrev_u32_e32 v56, 28, v59
	v_lshlrev_b64 v[56:57], v56, v[30:31]
	v_lshrrev_b32_e32 v58, 3, v33
	v_sub_u32_e32 v57, 29, v59
	v_and_b32_e32 v56, 7, v56
	v_cmp_gt_u32_e32 vcc, 8, v33
	v_cndmask_b32_e32 v33, v58, v57, vcc
	v_cndmask_b32_e32 v54, v54, v56, vcc
	v_lshlrev_b32_e32 v30, 24, v30
	v_bfrev_b32_e32 v56, 60
	v_lshlrev_b32_e32 v54, 20, v54
	v_and_b32_e32 v30, 0x80000000, v30
	v_lshl_add_u32 v33, v33, 23, v56
	v_or3_b32 v30, v30, v33, v54
	v_lshrrev_b32_e32 v54, 16, v30
.LBB863_105:
	s_or_b64 exec, exec, s[10:11]
.LBB863_106:
	s_or_b64 exec, exec, s[8:9]
.LBB863_107:
	s_or_b64 exec, exec, s[2:3]
	s_mov_b32 s2, 0x5040100
	v_perm_b32 v51, v51, v52, s2
	v_perm_b32 v50, v31, v50, s2
	;; [unrolled: 1-line block ×4, first 2 shown]
	v_mfma_f32_16x16x16bf16_1k v[56:59], v[50:51], v[18:19], v[42:45]
	s_nop 6
	v_mov_b32_e32 v43, 0
	s_waitcnt vmcnt(6)
	v_cmp_ne_u16_sdwa s[8:9], v38, v43 src0_sel:BYTE_0 src1_sel:DWORD
	v_mfma_f32_16x16x16bf16_1k v[30:33], v[30:31], v[20:21], v[56:59]
	v_mov_b32_e32 v44, 0
	s_and_saveexec_b64 s[2:3], s[8:9]
	s_cbranch_execz .LBB863_113
; %bb.108:
	s_movk_i32 s8, 0x80
	v_cmp_ne_u16_sdwa s[10:11], v38, s8 src0_sel:BYTE_0 src1_sel:DWORD
	v_mov_b32_e32 v44, 0xffff8000
	s_and_saveexec_b64 s[8:9], s[10:11]
	s_cbranch_execz .LBB863_112
; %bb.109:
	s_movk_i32 s10, 0x7f
	v_and_b32_e32 v42, 0x7f, v38
	v_cmp_ne_u32_e32 vcc, s10, v42
	v_mov_b32_e32 v44, 0x7f80
	s_and_saveexec_b64 s[10:11], vcc
	s_cbranch_execz .LBB863_111
; %bb.110:
	v_and_b32_e32 v50, 7, v38
	v_ffbh_u32_e32 v44, v50
	v_min_u32_e32 v52, 32, v44
	v_subrev_u32_e32 v44, 28, v52
	v_lshlrev_b64 v[44:45], v44, v[38:39]
	v_lshrrev_b32_e32 v51, 3, v42
	v_sub_u32_e32 v45, 29, v52
	v_and_b32_e32 v44, 7, v44
	v_cmp_gt_u32_e32 vcc, 8, v42
	v_cndmask_b32_e32 v42, v51, v45, vcc
	v_cndmask_b32_e32 v44, v50, v44, vcc
	v_lshlrev_b32_e32 v45, 24, v38
	v_bfrev_b32_e32 v50, 60
	v_lshlrev_b32_e32 v44, 20, v44
	v_and_b32_e32 v45, 0x80000000, v45
	v_lshl_add_u32 v42, v42, 23, v50
	v_or3_b32 v42, v45, v42, v44
	v_lshrrev_b32_e32 v44, 16, v42
.LBB863_111:
	s_or_b64 exec, exec, s[10:11]
.LBB863_112:
	s_or_b64 exec, exec, s[8:9]
.LBB863_113:
	s_or_b64 exec, exec, s[2:3]
	v_lshrrev_b16_e32 v42, 8, v38
	v_cmp_ne_u16_e32 vcc, 0, v42
	s_and_saveexec_b64 s[2:3], vcc
	s_cbranch_execz .LBB863_119
; %bb.114:
	s_movk_i32 s8, 0x80
	v_cmp_ne_u16_e32 vcc, s8, v42
	v_mov_b32_e32 v43, 0xffff8000
	s_and_saveexec_b64 s[8:9], vcc
	s_cbranch_execz .LBB863_118
; %bb.115:
	s_movk_i32 s10, 0x7f
	v_and_b32_e32 v45, 0x7f, v42
	v_cmp_ne_u32_e32 vcc, s10, v45
	v_mov_b32_e32 v43, 0x7f80
	s_and_saveexec_b64 s[10:11], vcc
	s_cbranch_execz .LBB863_117
; %bb.116:
	v_and_b32_e32 v50, 7, v42
	v_ffbh_u32_e32 v43, v50
	v_min_u32_e32 v52, 32, v43
	v_subrev_u32_e32 v43, 28, v52
	v_lshlrev_b64 v[42:43], v43, v[42:43]
	v_lshrrev_b32_e32 v51, 3, v45
	v_sub_u32_e32 v43, 29, v52
	v_and_b32_e32 v42, 7, v42
	v_cmp_gt_u32_e32 vcc, 8, v45
	v_cndmask_b32_e32 v43, v51, v43, vcc
	v_cndmask_b32_e32 v42, v50, v42, vcc
	v_lshlrev_b32_e32 v45, 16, v38
	v_bfrev_b32_e32 v50, 60
	v_lshlrev_b32_e32 v42, 20, v42
	v_and_b32_e32 v45, 0x80000000, v45
	v_lshl_add_u32 v43, v43, 23, v50
	v_or3_b32 v42, v45, v43, v42
	v_lshrrev_b32_e32 v43, 16, v42
.LBB863_117:
	s_or_b64 exec, exec, s[10:11]
.LBB863_118:
	s_or_b64 exec, exec, s[8:9]
.LBB863_119:
	s_or_b64 exec, exec, s[2:3]
	s_movk_i32 s2, 0xff
	v_and_b32_sdwa v51, v38, s2 dst_sel:DWORD dst_unused:UNUSED_PAD src0_sel:WORD_1 src1_sel:DWORD
	v_lshrrev_b32_e32 v42, 16, v38
	v_cmp_ne_u16_e32 vcc, 0, v51
	v_mov_b32_e32 v45, 0
	v_mov_b32_e32 v50, 0
	s_and_saveexec_b64 s[2:3], vcc
	s_cbranch_execz .LBB863_125
; %bb.120:
	s_movk_i32 s8, 0x80
	v_cmp_ne_u16_e32 vcc, s8, v51
	v_mov_b32_e32 v50, 0xffff8000
	s_and_saveexec_b64 s[8:9], vcc
	s_cbranch_execz .LBB863_124
; %bb.121:
	v_bfe_u32 v51, v38, 16, 7
	s_movk_i32 s10, 0x7f
	v_cmp_ne_u32_e32 vcc, s10, v51
	v_mov_b32_e32 v50, 0x7f80
	s_and_saveexec_b64 s[10:11], vcc
	s_cbranch_execz .LBB863_123
; %bb.122:
	v_and_b32_e32 v50, 7, v42
	v_ffbh_u32_e32 v52, v50
	v_min_u32_e32 v55, 32, v52
	v_subrev_u32_e32 v52, 28, v55
	v_lshlrev_b64 v[52:53], v52, v[42:43]
	v_lshrrev_b32_e32 v54, 3, v51
	v_sub_u32_e32 v42, 29, v55
	v_and_b32_e32 v52, 7, v52
	v_cmp_gt_u32_e32 vcc, 8, v51
	v_mov_b32_e32 v51, 24
	v_cndmask_b32_e32 v42, v54, v42, vcc
	v_cndmask_b32_e32 v50, v50, v52, vcc
	v_lshlrev_b32_sdwa v51, v51, v38 dst_sel:DWORD dst_unused:UNUSED_PAD src0_sel:DWORD src1_sel:WORD_1
	v_bfrev_b32_e32 v52, 60
	v_lshlrev_b32_e32 v50, 20, v50
	v_and_b32_e32 v51, 0x80000000, v51
	v_lshl_add_u32 v42, v42, 23, v52
	v_or3_b32 v42, v51, v42, v50
	v_lshrrev_b32_e32 v50, 16, v42
.LBB863_123:
	s_or_b64 exec, exec, s[10:11]
.LBB863_124:
	s_or_b64 exec, exec, s[8:9]
.LBB863_125:
	s_or_b64 exec, exec, s[2:3]
	s_mov_b32 s2, 0xffffff
	v_cmp_lt_u32_e32 vcc, s2, v38
	s_and_saveexec_b64 s[2:3], vcc
	s_cbranch_execz .LBB863_131
; %bb.126:
	v_lshrrev_b32_e32 v42, 24, v38
	s_movk_i32 s8, 0x80
	v_cmp_ne_u32_e32 vcc, s8, v42
	v_mov_b32_e32 v45, 0xffff8000
	s_and_saveexec_b64 s[8:9], vcc
	s_cbranch_execz .LBB863_130
; %bb.127:
	v_bfe_u32 v38, v38, 24, 7
	s_movk_i32 s10, 0x7f
	v_cmp_ne_u32_e32 vcc, s10, v38
	v_mov_b32_e32 v45, 0x7f80
	s_and_saveexec_b64 s[10:11], vcc
	s_cbranch_execz .LBB863_129
; %bb.128:
	v_and_b32_e32 v45, 7, v42
	v_ffbh_u32_e32 v52, v45
	v_min_u32_e32 v54, 32, v52
	v_subrev_u32_e32 v52, 28, v54
	v_lshlrev_b64 v[52:53], v52, v[42:43]
	v_lshrrev_b32_e32 v51, 3, v38
	v_sub_u32_e32 v53, 29, v54
	v_and_b32_e32 v52, 7, v52
	v_cmp_gt_u32_e32 vcc, 8, v38
	v_cndmask_b32_e32 v38, v51, v53, vcc
	v_cndmask_b32_e32 v45, v45, v52, vcc
	v_lshlrev_b32_e32 v42, 24, v42
	v_bfrev_b32_e32 v51, 60
	v_lshlrev_b32_e32 v45, 20, v45
	v_and_b32_e32 v42, 0x80000000, v42
	v_lshl_add_u32 v38, v38, 23, v51
	v_or3_b32 v38, v42, v38, v45
	v_lshrrev_b32_e32 v45, 16, v38
.LBB863_129:
	s_or_b64 exec, exec, s[10:11]
.LBB863_130:
	s_or_b64 exec, exec, s[8:9]
.LBB863_131:
	s_or_b64 exec, exec, s[2:3]
	v_mov_b32_e32 v42, 0
	v_cmp_ne_u16_sdwa s[8:9], v39, v42 src0_sel:BYTE_0 src1_sel:DWORD
	v_mov_b32_e32 v51, 0
	s_and_saveexec_b64 s[2:3], s[8:9]
	s_cbranch_execz .LBB863_137
; %bb.132:
	s_movk_i32 s8, 0x80
	v_cmp_ne_u16_sdwa s[10:11], v39, s8 src0_sel:BYTE_0 src1_sel:DWORD
	v_mov_b32_e32 v51, 0xffff8000
	s_and_saveexec_b64 s[8:9], s[10:11]
	s_cbranch_execz .LBB863_136
; %bb.133:
	s_movk_i32 s10, 0x7f
	v_and_b32_e32 v38, 0x7f, v39
	v_cmp_ne_u32_e32 vcc, s10, v38
	v_mov_b32_e32 v51, 0x7f80
	s_and_saveexec_b64 s[10:11], vcc
	s_cbranch_execz .LBB863_135
; %bb.134:
	v_and_b32_e32 v51, 7, v39
	v_ffbh_u32_e32 v53, v51
	v_min_u32_e32 v55, 32, v53
	v_mov_b32_e32 v52, v39
	v_subrev_u32_e32 v53, 28, v55
	v_lshlrev_b64 v[52:53], v53, v[52:53]
	v_lshrrev_b32_e32 v54, 3, v38
	v_sub_u32_e32 v53, 29, v55
	v_and_b32_e32 v52, 7, v52
	v_cmp_gt_u32_e32 vcc, 8, v38
	v_cndmask_b32_e32 v38, v54, v53, vcc
	v_cndmask_b32_e32 v51, v51, v52, vcc
	v_lshlrev_b32_e32 v52, 24, v39
	v_bfrev_b32_e32 v53, 60
	v_lshlrev_b32_e32 v51, 20, v51
	v_and_b32_e32 v52, 0x80000000, v52
	v_lshl_add_u32 v38, v38, 23, v53
	v_or3_b32 v38, v52, v38, v51
	v_lshrrev_b32_e32 v51, 16, v38
.LBB863_135:
	s_or_b64 exec, exec, s[10:11]
.LBB863_136:
	s_or_b64 exec, exec, s[8:9]
.LBB863_137:
	s_or_b64 exec, exec, s[2:3]
	v_lshrrev_b16_e32 v38, 8, v39
	v_cmp_ne_u16_e32 vcc, 0, v38
	s_and_saveexec_b64 s[2:3], vcc
	s_cbranch_execz .LBB863_143
; %bb.138:
	s_movk_i32 s8, 0x80
	v_cmp_ne_u16_e32 vcc, s8, v38
	v_mov_b32_e32 v42, 0xffff8000
	s_and_saveexec_b64 s[8:9], vcc
	s_cbranch_execz .LBB863_142
; %bb.139:
	s_movk_i32 s10, 0x7f
	v_and_b32_e32 v52, 0x7f, v38
	v_cmp_ne_u32_e32 vcc, s10, v52
	v_mov_b32_e32 v42, 0x7f80
	s_and_saveexec_b64 s[10:11], vcc
	s_cbranch_execz .LBB863_141
; %bb.140:
	v_and_b32_e32 v42, 7, v38
	v_ffbh_u32_e32 v54, v42
	v_min_u32_e32 v56, 32, v54
	v_subrev_u32_e32 v54, 28, v56
	v_lshlrev_b64 v[54:55], v54, v[38:39]
	v_lshrrev_b32_e32 v53, 3, v52
	v_sub_u32_e32 v38, 29, v56
	v_and_b32_e32 v54, 7, v54
	v_cmp_gt_u32_e32 vcc, 8, v52
	v_cndmask_b32_e32 v38, v53, v38, vcc
	v_cndmask_b32_e32 v42, v42, v54, vcc
	v_lshlrev_b32_e32 v52, 16, v39
	v_bfrev_b32_e32 v53, 60
	v_lshlrev_b32_e32 v42, 20, v42
	v_and_b32_e32 v52, 0x80000000, v52
	v_lshl_add_u32 v38, v38, 23, v53
	v_or3_b32 v38, v52, v38, v42
	v_lshrrev_b32_e32 v42, 16, v38
.LBB863_141:
	s_or_b64 exec, exec, s[10:11]
.LBB863_142:
	s_or_b64 exec, exec, s[8:9]
.LBB863_143:
	s_or_b64 exec, exec, s[2:3]
	s_movk_i32 s2, 0xff
	v_and_b32_sdwa v54, v39, s2 dst_sel:DWORD dst_unused:UNUSED_PAD src0_sel:WORD_1 src1_sel:DWORD
	v_lshrrev_b32_e32 v38, 16, v39
	v_cmp_ne_u16_e32 vcc, 0, v54
	v_mov_b32_e32 v52, 0
	v_mov_b32_e32 v53, 0
	s_and_saveexec_b64 s[2:3], vcc
	s_cbranch_execz .LBB863_149
; %bb.144:
	s_movk_i32 s8, 0x80
	v_cmp_ne_u16_e32 vcc, s8, v54
	v_mov_b32_e32 v53, 0xffff8000
	s_and_saveexec_b64 s[8:9], vcc
	s_cbranch_execz .LBB863_148
; %bb.145:
	v_bfe_u32 v54, v39, 16, 7
	s_movk_i32 s10, 0x7f
	v_cmp_ne_u32_e32 vcc, s10, v54
	v_mov_b32_e32 v53, 0x7f80
	s_and_saveexec_b64 s[10:11], vcc
	s_cbranch_execz .LBB863_147
; %bb.146:
	v_and_b32_e32 v53, 7, v38
	v_ffbh_u32_e32 v56, v53
	v_min_u32_e32 v58, 32, v56
	v_subrev_u32_e32 v56, 28, v58
	v_lshlrev_b64 v[56:57], v56, v[38:39]
	v_lshrrev_b32_e32 v55, 3, v54
	v_sub_u32_e32 v38, 29, v58
	v_and_b32_e32 v56, 7, v56
	v_cmp_gt_u32_e32 vcc, 8, v54
	v_mov_b32_e32 v54, 24
	v_cndmask_b32_e32 v38, v55, v38, vcc
	v_cndmask_b32_e32 v53, v53, v56, vcc
	v_lshlrev_b32_sdwa v54, v54, v39 dst_sel:DWORD dst_unused:UNUSED_PAD src0_sel:DWORD src1_sel:WORD_1
	v_bfrev_b32_e32 v55, 60
	v_lshlrev_b32_e32 v53, 20, v53
	v_and_b32_e32 v54, 0x80000000, v54
	v_lshl_add_u32 v38, v38, 23, v55
	v_or3_b32 v38, v54, v38, v53
	v_lshrrev_b32_e32 v53, 16, v38
.LBB863_147:
	s_or_b64 exec, exec, s[10:11]
.LBB863_148:
	s_or_b64 exec, exec, s[8:9]
.LBB863_149:
	s_or_b64 exec, exec, s[2:3]
	s_mov_b32 s2, 0xffffff
	v_cmp_lt_u32_e32 vcc, s2, v39
	s_and_saveexec_b64 s[2:3], vcc
	s_cbranch_execz .LBB863_155
; %bb.150:
	v_lshrrev_b32_e32 v38, 24, v39
	s_movk_i32 s8, 0x80
	v_cmp_ne_u32_e32 vcc, s8, v38
	v_mov_b32_e32 v52, 0xffff8000
	s_and_saveexec_b64 s[8:9], vcc
	s_cbranch_execz .LBB863_154
; %bb.151:
	v_bfe_u32 v39, v39, 24, 7
	s_movk_i32 s10, 0x7f
	v_cmp_ne_u32_e32 vcc, s10, v39
	v_mov_b32_e32 v52, 0x7f80
	s_and_saveexec_b64 s[10:11], vcc
	s_cbranch_execz .LBB863_153
; %bb.152:
	v_and_b32_e32 v52, 7, v38
	v_ffbh_u32_e32 v54, v52
	v_min_u32_e32 v57, 32, v54
	v_subrev_u32_e32 v54, 28, v57
	v_lshlrev_b64 v[54:55], v54, v[38:39]
	v_lshrrev_b32_e32 v56, 3, v39
	v_sub_u32_e32 v55, 29, v57
	v_and_b32_e32 v54, 7, v54
	v_cmp_gt_u32_e32 vcc, 8, v39
	v_cndmask_b32_e32 v39, v56, v55, vcc
	v_cndmask_b32_e32 v52, v52, v54, vcc
	v_lshlrev_b32_e32 v38, 24, v38
	v_bfrev_b32_e32 v54, 60
	v_lshlrev_b32_e32 v52, 20, v52
	v_and_b32_e32 v38, 0x80000000, v38
	v_lshl_add_u32 v39, v39, 23, v54
	v_or3_b32 v38, v38, v39, v52
	v_lshrrev_b32_e32 v52, 16, v38
.LBB863_153:
	s_or_b64 exec, exec, s[10:11]
.LBB863_154:
	s_or_b64 exec, exec, s[8:9]
.LBB863_155:
	s_or_b64 exec, exec, s[2:3]
	s_mov_b32 s2, 0x5040100
	v_perm_b32 v39, v45, v50, s2
	v_perm_b32 v38, v43, v44, s2
	;; [unrolled: 1-line block ×4, first 2 shown]
	v_mov_b32_e32 v50, 0
	v_mfma_f32_16x16x16bf16_1k v[54:57], v[38:39], v[26:27], 0
	v_mov_b32_e32 v39, 0
	v_cmp_ne_u16_sdwa s[8:9], v40, v39 src0_sel:BYTE_0 src1_sel:DWORD
	v_mfma_f32_16x16x16bf16_1k v[42:45], v[42:43], v[28:29], v[54:57]
	s_and_saveexec_b64 s[2:3], s[8:9]
	s_cbranch_execz .LBB863_161
; %bb.156:
	s_movk_i32 s8, 0x80
	v_cmp_ne_u16_sdwa s[10:11], v40, s8 src0_sel:BYTE_0 src1_sel:DWORD
	v_mov_b32_e32 v50, 0xffff8000
	s_and_saveexec_b64 s[8:9], s[10:11]
	s_cbranch_execz .LBB863_160
; %bb.157:
	s_movk_i32 s10, 0x7f
	v_and_b32_e32 v38, 0x7f, v40
	v_cmp_ne_u32_e32 vcc, s10, v38
	v_mov_b32_e32 v50, 0x7f80
	s_and_saveexec_b64 s[10:11], vcc
	s_cbranch_execz .LBB863_159
; %bb.158:
	v_and_b32_e32 v52, 7, v40
	v_ffbh_u32_e32 v50, v52
	v_min_u32_e32 v54, 32, v50
	v_subrev_u32_e32 v50, 28, v54
	v_lshlrev_b64 v[50:51], v50, v[40:41]
	v_lshrrev_b32_e32 v53, 3, v38
	v_sub_u32_e32 v51, 29, v54
	v_and_b32_e32 v50, 7, v50
	v_cmp_gt_u32_e32 vcc, 8, v38
	v_cndmask_b32_e32 v38, v53, v51, vcc
	v_cndmask_b32_e32 v50, v52, v50, vcc
	v_lshlrev_b32_e32 v51, 24, v40
	v_bfrev_b32_e32 v52, 60
	v_lshlrev_b32_e32 v50, 20, v50
	v_and_b32_e32 v51, 0x80000000, v51
	v_lshl_add_u32 v38, v38, 23, v52
	v_or3_b32 v38, v51, v38, v50
	v_lshrrev_b32_e32 v50, 16, v38
.LBB863_159:
	s_or_b64 exec, exec, s[10:11]
.LBB863_160:
	s_or_b64 exec, exec, s[8:9]
.LBB863_161:
	s_or_b64 exec, exec, s[2:3]
	v_lshrrev_b16_e32 v38, 8, v40
	v_cmp_ne_u16_e32 vcc, 0, v38
	s_and_saveexec_b64 s[2:3], vcc
	s_cbranch_execz .LBB863_167
; %bb.162:
	s_movk_i32 s8, 0x80
	v_cmp_ne_u16_e32 vcc, s8, v38
	v_mov_b32_e32 v39, 0xffff8000
	s_and_saveexec_b64 s[8:9], vcc
	s_cbranch_execz .LBB863_166
; %bb.163:
	s_movk_i32 s10, 0x7f
	v_and_b32_e32 v51, 0x7f, v38
	v_cmp_ne_u32_e32 vcc, s10, v51
	v_mov_b32_e32 v39, 0x7f80
	s_and_saveexec_b64 s[10:11], vcc
	s_cbranch_execz .LBB863_165
; %bb.164:
	v_and_b32_e32 v52, 7, v38
	v_ffbh_u32_e32 v39, v52
	v_min_u32_e32 v54, 32, v39
	v_subrev_u32_e32 v39, 28, v54
	v_lshlrev_b64 v[38:39], v39, v[38:39]
	v_lshrrev_b32_e32 v53, 3, v51
	v_sub_u32_e32 v39, 29, v54
	v_and_b32_e32 v38, 7, v38
	v_cmp_gt_u32_e32 vcc, 8, v51
	v_cndmask_b32_e32 v39, v53, v39, vcc
	v_cndmask_b32_e32 v38, v52, v38, vcc
	v_lshlrev_b32_e32 v51, 16, v40
	v_bfrev_b32_e32 v52, 60
	v_lshlrev_b32_e32 v38, 20, v38
	v_and_b32_e32 v51, 0x80000000, v51
	v_lshl_add_u32 v39, v39, 23, v52
	v_or3_b32 v38, v51, v39, v38
	v_lshrrev_b32_e32 v39, 16, v38
.LBB863_165:
	s_or_b64 exec, exec, s[10:11]
.LBB863_166:
	s_or_b64 exec, exec, s[8:9]
.LBB863_167:
	s_or_b64 exec, exec, s[2:3]
	s_movk_i32 s2, 0xff
	v_and_b32_sdwa v53, v40, s2 dst_sel:DWORD dst_unused:UNUSED_PAD src0_sel:WORD_1 src1_sel:DWORD
	v_lshrrev_b32_e32 v38, 16, v40
	v_cmp_ne_u16_e32 vcc, 0, v53
	v_mov_b32_e32 v51, 0
	v_mov_b32_e32 v52, 0
	s_and_saveexec_b64 s[2:3], vcc
	s_cbranch_execz .LBB863_173
; %bb.168:
	s_movk_i32 s8, 0x80
	v_cmp_ne_u16_e32 vcc, s8, v53
	v_mov_b32_e32 v52, 0xffff8000
	s_and_saveexec_b64 s[8:9], vcc
	s_cbranch_execz .LBB863_172
; %bb.169:
	v_bfe_u32 v53, v40, 16, 7
	s_movk_i32 s10, 0x7f
	v_cmp_ne_u32_e32 vcc, s10, v53
	v_mov_b32_e32 v52, 0x7f80
	s_and_saveexec_b64 s[10:11], vcc
	s_cbranch_execz .LBB863_171
; %bb.170:
	v_and_b32_e32 v52, 7, v38
	v_ffbh_u32_e32 v54, v52
	v_min_u32_e32 v57, 32, v54
	v_subrev_u32_e32 v54, 28, v57
	v_lshlrev_b64 v[54:55], v54, v[38:39]
	v_lshrrev_b32_e32 v56, 3, v53
	v_sub_u32_e32 v38, 29, v57
	v_and_b32_e32 v54, 7, v54
	v_cmp_gt_u32_e32 vcc, 8, v53
	v_mov_b32_e32 v53, 24
	v_cndmask_b32_e32 v38, v56, v38, vcc
	v_cndmask_b32_e32 v52, v52, v54, vcc
	v_lshlrev_b32_sdwa v53, v53, v40 dst_sel:DWORD dst_unused:UNUSED_PAD src0_sel:DWORD src1_sel:WORD_1
	v_bfrev_b32_e32 v54, 60
	v_lshlrev_b32_e32 v52, 20, v52
	v_and_b32_e32 v53, 0x80000000, v53
	v_lshl_add_u32 v38, v38, 23, v54
	v_or3_b32 v38, v53, v38, v52
	v_lshrrev_b32_e32 v52, 16, v38
.LBB863_171:
	s_or_b64 exec, exec, s[10:11]
.LBB863_172:
	s_or_b64 exec, exec, s[8:9]
.LBB863_173:
	s_or_b64 exec, exec, s[2:3]
	s_mov_b32 s2, 0xffffff
	v_cmp_lt_u32_e32 vcc, s2, v40
	s_and_saveexec_b64 s[2:3], vcc
	s_cbranch_execz .LBB863_179
; %bb.174:
	v_lshrrev_b32_e32 v38, 24, v40
	s_movk_i32 s8, 0x80
	v_cmp_ne_u32_e32 vcc, s8, v38
	v_mov_b32_e32 v51, 0xffff8000
	s_and_saveexec_b64 s[8:9], vcc
	s_cbranch_execz .LBB863_178
; %bb.175:
	v_bfe_u32 v40, v40, 24, 7
	s_movk_i32 s10, 0x7f
	v_cmp_ne_u32_e32 vcc, s10, v40
	v_mov_b32_e32 v51, 0x7f80
	s_and_saveexec_b64 s[10:11], vcc
	s_cbranch_execz .LBB863_177
; %bb.176:
	v_and_b32_e32 v51, 7, v38
	v_ffbh_u32_e32 v54, v51
	v_min_u32_e32 v56, 32, v54
	v_subrev_u32_e32 v54, 28, v56
	v_lshlrev_b64 v[54:55], v54, v[38:39]
	v_lshrrev_b32_e32 v53, 3, v40
	v_sub_u32_e32 v55, 29, v56
	v_and_b32_e32 v54, 7, v54
	v_cmp_gt_u32_e32 vcc, 8, v40
	v_cndmask_b32_e32 v40, v53, v55, vcc
	v_cndmask_b32_e32 v51, v51, v54, vcc
	v_lshlrev_b32_e32 v38, 24, v38
	v_bfrev_b32_e32 v53, 60
	v_lshlrev_b32_e32 v51, 20, v51
	v_and_b32_e32 v38, 0x80000000, v38
	v_lshl_add_u32 v40, v40, 23, v53
	v_or3_b32 v38, v38, v40, v51
	v_lshrrev_b32_e32 v51, 16, v38
.LBB863_177:
	s_or_b64 exec, exec, s[10:11]
.LBB863_178:
	s_or_b64 exec, exec, s[8:9]
.LBB863_179:
	s_or_b64 exec, exec, s[2:3]
	v_mov_b32_e32 v40, 0
	v_cmp_ne_u16_sdwa s[8:9], v41, v40 src0_sel:BYTE_0 src1_sel:DWORD
	v_mov_b32_e32 v53, 0
	s_and_saveexec_b64 s[2:3], s[8:9]
	s_cbranch_execz .LBB863_185
; %bb.180:
	s_movk_i32 s8, 0x80
	v_cmp_ne_u16_sdwa s[10:11], v41, s8 src0_sel:BYTE_0 src1_sel:DWORD
	v_mov_b32_e32 v53, 0xffff8000
	s_and_saveexec_b64 s[8:9], s[10:11]
	s_cbranch_execz .LBB863_184
; %bb.181:
	s_movk_i32 s10, 0x7f
	v_and_b32_e32 v38, 0x7f, v41
	v_cmp_ne_u32_e32 vcc, s10, v38
	v_mov_b32_e32 v53, 0x7f80
	s_and_saveexec_b64 s[10:11], vcc
	s_cbranch_execz .LBB863_183
; %bb.182:
	v_and_b32_e32 v53, 7, v41
	v_ffbh_u32_e32 v55, v53
	v_min_u32_e32 v57, 32, v55
	v_mov_b32_e32 v54, v41
	v_subrev_u32_e32 v55, 28, v57
	v_lshlrev_b64 v[54:55], v55, v[54:55]
	v_lshrrev_b32_e32 v56, 3, v38
	v_sub_u32_e32 v55, 29, v57
	v_and_b32_e32 v54, 7, v54
	v_cmp_gt_u32_e32 vcc, 8, v38
	v_cndmask_b32_e32 v38, v56, v55, vcc
	v_cndmask_b32_e32 v53, v53, v54, vcc
	v_lshlrev_b32_e32 v54, 24, v41
	v_bfrev_b32_e32 v55, 60
	v_lshlrev_b32_e32 v53, 20, v53
	v_and_b32_e32 v54, 0x80000000, v54
	v_lshl_add_u32 v38, v38, 23, v55
	v_or3_b32 v38, v54, v38, v53
	v_lshrrev_b32_e32 v53, 16, v38
.LBB863_183:
	s_or_b64 exec, exec, s[10:11]
.LBB863_184:
	s_or_b64 exec, exec, s[8:9]
.LBB863_185:
	s_or_b64 exec, exec, s[2:3]
	v_lshrrev_b16_e32 v38, 8, v41
	v_cmp_ne_u16_e32 vcc, 0, v38
	s_and_saveexec_b64 s[2:3], vcc
	s_cbranch_execz .LBB863_191
; %bb.186:
	s_movk_i32 s8, 0x80
	v_cmp_ne_u16_e32 vcc, s8, v38
	v_mov_b32_e32 v40, 0xffff8000
	s_and_saveexec_b64 s[8:9], vcc
	s_cbranch_execz .LBB863_190
; %bb.187:
	s_movk_i32 s10, 0x7f
	v_and_b32_e32 v54, 0x7f, v38
	v_cmp_ne_u32_e32 vcc, s10, v54
	v_mov_b32_e32 v40, 0x7f80
	s_and_saveexec_b64 s[10:11], vcc
	s_cbranch_execz .LBB863_189
; %bb.188:
	v_and_b32_e32 v40, 7, v38
	v_ffbh_u32_e32 v56, v40
	v_min_u32_e32 v58, 32, v56
	v_subrev_u32_e32 v56, 28, v58
	v_lshlrev_b64 v[56:57], v56, v[38:39]
	v_lshrrev_b32_e32 v55, 3, v54
	v_sub_u32_e32 v38, 29, v58
	v_and_b32_e32 v56, 7, v56
	v_cmp_gt_u32_e32 vcc, 8, v54
	v_cndmask_b32_e32 v38, v55, v38, vcc
	v_cndmask_b32_e32 v40, v40, v56, vcc
	v_lshlrev_b32_e32 v54, 16, v41
	v_bfrev_b32_e32 v55, 60
	v_lshlrev_b32_e32 v40, 20, v40
	v_and_b32_e32 v54, 0x80000000, v54
	v_lshl_add_u32 v38, v38, 23, v55
	v_or3_b32 v38, v54, v38, v40
	v_lshrrev_b32_e32 v40, 16, v38
.LBB863_189:
	s_or_b64 exec, exec, s[10:11]
.LBB863_190:
	s_or_b64 exec, exec, s[8:9]
.LBB863_191:
	s_or_b64 exec, exec, s[2:3]
	s_movk_i32 s2, 0xff
	v_and_b32_sdwa v56, v41, s2 dst_sel:DWORD dst_unused:UNUSED_PAD src0_sel:WORD_1 src1_sel:DWORD
	v_lshrrev_b32_e32 v38, 16, v41
	v_cmp_ne_u16_e32 vcc, 0, v56
	v_mov_b32_e32 v54, 0
	v_mov_b32_e32 v55, 0
	s_and_saveexec_b64 s[2:3], vcc
	s_cbranch_execz .LBB863_197
; %bb.192:
	s_movk_i32 s8, 0x80
	v_cmp_ne_u16_e32 vcc, s8, v56
	v_mov_b32_e32 v55, 0xffff8000
	s_and_saveexec_b64 s[8:9], vcc
	s_cbranch_execz .LBB863_196
; %bb.193:
	v_bfe_u32 v56, v41, 16, 7
	s_movk_i32 s10, 0x7f
	v_cmp_ne_u32_e32 vcc, s10, v56
	v_mov_b32_e32 v55, 0x7f80
	s_and_saveexec_b64 s[10:11], vcc
	s_cbranch_execz .LBB863_195
; %bb.194:
	v_and_b32_e32 v55, 7, v38
	v_ffbh_u32_e32 v58, v55
	v_min_u32_e32 v60, 32, v58
	v_subrev_u32_e32 v58, 28, v60
	v_lshlrev_b64 v[58:59], v58, v[38:39]
	v_lshrrev_b32_e32 v57, 3, v56
	v_sub_u32_e32 v38, 29, v60
	v_and_b32_e32 v58, 7, v58
	v_cmp_gt_u32_e32 vcc, 8, v56
	v_mov_b32_e32 v56, 24
	v_cndmask_b32_e32 v38, v57, v38, vcc
	v_cndmask_b32_e32 v55, v55, v58, vcc
	v_lshlrev_b32_sdwa v56, v56, v41 dst_sel:DWORD dst_unused:UNUSED_PAD src0_sel:DWORD src1_sel:WORD_1
	v_bfrev_b32_e32 v57, 60
	v_lshlrev_b32_e32 v55, 20, v55
	v_and_b32_e32 v56, 0x80000000, v56
	v_lshl_add_u32 v38, v38, 23, v57
	v_or3_b32 v38, v56, v38, v55
	v_lshrrev_b32_e32 v55, 16, v38
.LBB863_195:
	s_or_b64 exec, exec, s[10:11]
.LBB863_196:
	s_or_b64 exec, exec, s[8:9]
.LBB863_197:
	s_or_b64 exec, exec, s[2:3]
	s_mov_b32 s2, 0xffffff
	v_cmp_lt_u32_e32 vcc, s2, v41
	s_and_saveexec_b64 s[2:3], vcc
	s_cbranch_execz .LBB863_203
; %bb.198:
	v_lshrrev_b32_e32 v38, 24, v41
	s_movk_i32 s8, 0x80
	v_cmp_ne_u32_e32 vcc, s8, v38
	v_mov_b32_e32 v54, 0xffff8000
	s_and_saveexec_b64 s[8:9], vcc
	s_cbranch_execz .LBB863_202
; %bb.199:
	v_bfe_u32 v41, v41, 24, 7
	s_movk_i32 s10, 0x7f
	v_cmp_ne_u32_e32 vcc, s10, v41
	v_mov_b32_e32 v54, 0x7f80
	s_and_saveexec_b64 s[10:11], vcc
	s_cbranch_execz .LBB863_201
; %bb.200:
	v_and_b32_e32 v54, 7, v38
	v_ffbh_u32_e32 v56, v54
	v_min_u32_e32 v59, 32, v56
	v_subrev_u32_e32 v56, 28, v59
	v_lshlrev_b64 v[56:57], v56, v[38:39]
	v_lshrrev_b32_e32 v58, 3, v41
	v_sub_u32_e32 v57, 29, v59
	v_and_b32_e32 v56, 7, v56
	v_cmp_gt_u32_e32 vcc, 8, v41
	v_cndmask_b32_e32 v41, v58, v57, vcc
	v_cndmask_b32_e32 v54, v54, v56, vcc
	v_lshlrev_b32_e32 v38, 24, v38
	v_bfrev_b32_e32 v56, 60
	v_lshlrev_b32_e32 v54, 20, v54
	v_and_b32_e32 v38, 0x80000000, v38
	v_lshl_add_u32 v41, v41, 23, v56
	v_or3_b32 v38, v38, v41, v54
	v_lshrrev_b32_e32 v54, 16, v38
.LBB863_201:
	s_or_b64 exec, exec, s[10:11]
.LBB863_202:
	s_or_b64 exec, exec, s[8:9]
.LBB863_203:
	s_or_b64 exec, exec, s[2:3]
	s_mov_b32 s2, 0x5040100
	v_perm_b32 v51, v51, v52, s2
	v_perm_b32 v50, v39, v50, s2
	;; [unrolled: 1-line block ×4, first 2 shown]
	v_mfma_f32_16x16x16bf16_1k v[56:59], v[50:51], v[18:19], v[42:45]
	s_nop 6
	v_mov_b32_e32 v43, 0
	s_waitcnt vmcnt(5)
	v_cmp_ne_u16_sdwa s[8:9], v34, v43 src0_sel:BYTE_0 src1_sel:DWORD
	v_mfma_f32_16x16x16bf16_1k v[38:41], v[38:39], v[20:21], v[56:59]
	v_mov_b32_e32 v44, 0
	s_and_saveexec_b64 s[2:3], s[8:9]
	s_cbranch_execz .LBB863_209
; %bb.204:
	s_movk_i32 s8, 0x80
	v_cmp_ne_u16_sdwa s[10:11], v34, s8 src0_sel:BYTE_0 src1_sel:DWORD
	v_mov_b32_e32 v44, 0xffff8000
	s_and_saveexec_b64 s[8:9], s[10:11]
	s_cbranch_execz .LBB863_208
; %bb.205:
	s_movk_i32 s10, 0x7f
	v_and_b32_e32 v42, 0x7f, v34
	v_cmp_ne_u32_e32 vcc, s10, v42
	v_mov_b32_e32 v44, 0x7f80
	s_and_saveexec_b64 s[10:11], vcc
	s_cbranch_execz .LBB863_207
; %bb.206:
	v_and_b32_e32 v50, 7, v34
	v_ffbh_u32_e32 v44, v50
	v_min_u32_e32 v52, 32, v44
	v_subrev_u32_e32 v44, 28, v52
	v_lshlrev_b64 v[44:45], v44, v[34:35]
	v_lshrrev_b32_e32 v51, 3, v42
	v_sub_u32_e32 v45, 29, v52
	v_and_b32_e32 v44, 7, v44
	v_cmp_gt_u32_e32 vcc, 8, v42
	v_cndmask_b32_e32 v42, v51, v45, vcc
	v_cndmask_b32_e32 v44, v50, v44, vcc
	v_lshlrev_b32_e32 v45, 24, v34
	v_bfrev_b32_e32 v50, 60
	v_lshlrev_b32_e32 v44, 20, v44
	v_and_b32_e32 v45, 0x80000000, v45
	v_lshl_add_u32 v42, v42, 23, v50
	v_or3_b32 v42, v45, v42, v44
	v_lshrrev_b32_e32 v44, 16, v42
.LBB863_207:
	s_or_b64 exec, exec, s[10:11]
.LBB863_208:
	s_or_b64 exec, exec, s[8:9]
.LBB863_209:
	s_or_b64 exec, exec, s[2:3]
	v_lshrrev_b16_e32 v42, 8, v34
	v_cmp_ne_u16_e32 vcc, 0, v42
	s_and_saveexec_b64 s[2:3], vcc
	s_cbranch_execz .LBB863_215
; %bb.210:
	s_movk_i32 s8, 0x80
	v_cmp_ne_u16_e32 vcc, s8, v42
	v_mov_b32_e32 v43, 0xffff8000
	s_and_saveexec_b64 s[8:9], vcc
	s_cbranch_execz .LBB863_214
; %bb.211:
	s_movk_i32 s10, 0x7f
	v_and_b32_e32 v45, 0x7f, v42
	v_cmp_ne_u32_e32 vcc, s10, v45
	v_mov_b32_e32 v43, 0x7f80
	s_and_saveexec_b64 s[10:11], vcc
	s_cbranch_execz .LBB863_213
; %bb.212:
	v_and_b32_e32 v50, 7, v42
	v_ffbh_u32_e32 v43, v50
	v_min_u32_e32 v52, 32, v43
	v_subrev_u32_e32 v43, 28, v52
	v_lshlrev_b64 v[42:43], v43, v[42:43]
	v_lshrrev_b32_e32 v51, 3, v45
	v_sub_u32_e32 v43, 29, v52
	v_and_b32_e32 v42, 7, v42
	v_cmp_gt_u32_e32 vcc, 8, v45
	v_cndmask_b32_e32 v43, v51, v43, vcc
	v_cndmask_b32_e32 v42, v50, v42, vcc
	v_lshlrev_b32_e32 v45, 16, v34
	v_bfrev_b32_e32 v50, 60
	v_lshlrev_b32_e32 v42, 20, v42
	v_and_b32_e32 v45, 0x80000000, v45
	v_lshl_add_u32 v43, v43, 23, v50
	v_or3_b32 v42, v45, v43, v42
	v_lshrrev_b32_e32 v43, 16, v42
.LBB863_213:
	s_or_b64 exec, exec, s[10:11]
.LBB863_214:
	s_or_b64 exec, exec, s[8:9]
.LBB863_215:
	s_or_b64 exec, exec, s[2:3]
	s_movk_i32 s2, 0xff
	v_and_b32_sdwa v51, v34, s2 dst_sel:DWORD dst_unused:UNUSED_PAD src0_sel:WORD_1 src1_sel:DWORD
	v_lshrrev_b32_e32 v42, 16, v34
	v_cmp_ne_u16_e32 vcc, 0, v51
	v_mov_b32_e32 v45, 0
	v_mov_b32_e32 v50, 0
	s_and_saveexec_b64 s[2:3], vcc
	s_cbranch_execz .LBB863_221
; %bb.216:
	s_movk_i32 s8, 0x80
	v_cmp_ne_u16_e32 vcc, s8, v51
	v_mov_b32_e32 v50, 0xffff8000
	s_and_saveexec_b64 s[8:9], vcc
	s_cbranch_execz .LBB863_220
; %bb.217:
	v_bfe_u32 v51, v34, 16, 7
	s_movk_i32 s10, 0x7f
	v_cmp_ne_u32_e32 vcc, s10, v51
	v_mov_b32_e32 v50, 0x7f80
	s_and_saveexec_b64 s[10:11], vcc
	s_cbranch_execz .LBB863_219
; %bb.218:
	v_and_b32_e32 v50, 7, v42
	v_ffbh_u32_e32 v52, v50
	v_min_u32_e32 v55, 32, v52
	v_subrev_u32_e32 v52, 28, v55
	v_lshlrev_b64 v[52:53], v52, v[42:43]
	v_lshrrev_b32_e32 v54, 3, v51
	v_sub_u32_e32 v42, 29, v55
	v_and_b32_e32 v52, 7, v52
	v_cmp_gt_u32_e32 vcc, 8, v51
	v_mov_b32_e32 v51, 24
	v_cndmask_b32_e32 v42, v54, v42, vcc
	v_cndmask_b32_e32 v50, v50, v52, vcc
	v_lshlrev_b32_sdwa v51, v51, v34 dst_sel:DWORD dst_unused:UNUSED_PAD src0_sel:DWORD src1_sel:WORD_1
	v_bfrev_b32_e32 v52, 60
	v_lshlrev_b32_e32 v50, 20, v50
	v_and_b32_e32 v51, 0x80000000, v51
	v_lshl_add_u32 v42, v42, 23, v52
	v_or3_b32 v42, v51, v42, v50
	v_lshrrev_b32_e32 v50, 16, v42
.LBB863_219:
	s_or_b64 exec, exec, s[10:11]
.LBB863_220:
	s_or_b64 exec, exec, s[8:9]
.LBB863_221:
	s_or_b64 exec, exec, s[2:3]
	s_mov_b32 s2, 0xffffff
	v_cmp_lt_u32_e32 vcc, s2, v34
	s_and_saveexec_b64 s[2:3], vcc
	s_cbranch_execz .LBB863_227
; %bb.222:
	v_lshrrev_b32_e32 v42, 24, v34
	s_movk_i32 s8, 0x80
	v_cmp_ne_u32_e32 vcc, s8, v42
	v_mov_b32_e32 v45, 0xffff8000
	s_and_saveexec_b64 s[8:9], vcc
	s_cbranch_execz .LBB863_226
; %bb.223:
	v_bfe_u32 v34, v34, 24, 7
	s_movk_i32 s10, 0x7f
	v_cmp_ne_u32_e32 vcc, s10, v34
	v_mov_b32_e32 v45, 0x7f80
	s_and_saveexec_b64 s[10:11], vcc
	s_cbranch_execz .LBB863_225
; %bb.224:
	v_and_b32_e32 v45, 7, v42
	v_ffbh_u32_e32 v52, v45
	v_min_u32_e32 v54, 32, v52
	v_subrev_u32_e32 v52, 28, v54
	v_lshlrev_b64 v[52:53], v52, v[42:43]
	v_lshrrev_b32_e32 v51, 3, v34
	v_sub_u32_e32 v53, 29, v54
	v_and_b32_e32 v52, 7, v52
	v_cmp_gt_u32_e32 vcc, 8, v34
	v_cndmask_b32_e32 v34, v51, v53, vcc
	v_cndmask_b32_e32 v45, v45, v52, vcc
	v_lshlrev_b32_e32 v42, 24, v42
	v_bfrev_b32_e32 v51, 60
	v_lshlrev_b32_e32 v45, 20, v45
	v_and_b32_e32 v42, 0x80000000, v42
	v_lshl_add_u32 v34, v34, 23, v51
	v_or3_b32 v34, v42, v34, v45
	v_lshrrev_b32_e32 v45, 16, v34
.LBB863_225:
	s_or_b64 exec, exec, s[10:11]
.LBB863_226:
	s_or_b64 exec, exec, s[8:9]
.LBB863_227:
	s_or_b64 exec, exec, s[2:3]
	v_mov_b32_e32 v42, 0
	v_cmp_ne_u16_sdwa s[8:9], v35, v42 src0_sel:BYTE_0 src1_sel:DWORD
	v_mov_b32_e32 v51, 0
	s_and_saveexec_b64 s[2:3], s[8:9]
	s_cbranch_execz .LBB863_233
; %bb.228:
	s_movk_i32 s8, 0x80
	v_cmp_ne_u16_sdwa s[10:11], v35, s8 src0_sel:BYTE_0 src1_sel:DWORD
	v_mov_b32_e32 v51, 0xffff8000
	s_and_saveexec_b64 s[8:9], s[10:11]
	s_cbranch_execz .LBB863_232
; %bb.229:
	s_movk_i32 s10, 0x7f
	v_and_b32_e32 v34, 0x7f, v35
	v_cmp_ne_u32_e32 vcc, s10, v34
	v_mov_b32_e32 v51, 0x7f80
	s_and_saveexec_b64 s[10:11], vcc
	s_cbranch_execz .LBB863_231
; %bb.230:
	v_and_b32_e32 v51, 7, v35
	v_ffbh_u32_e32 v53, v51
	v_min_u32_e32 v55, 32, v53
	v_mov_b32_e32 v52, v35
	v_subrev_u32_e32 v53, 28, v55
	v_lshlrev_b64 v[52:53], v53, v[52:53]
	v_lshrrev_b32_e32 v54, 3, v34
	v_sub_u32_e32 v53, 29, v55
	v_and_b32_e32 v52, 7, v52
	v_cmp_gt_u32_e32 vcc, 8, v34
	v_cndmask_b32_e32 v34, v54, v53, vcc
	v_cndmask_b32_e32 v51, v51, v52, vcc
	v_lshlrev_b32_e32 v52, 24, v35
	v_bfrev_b32_e32 v53, 60
	v_lshlrev_b32_e32 v51, 20, v51
	v_and_b32_e32 v52, 0x80000000, v52
	v_lshl_add_u32 v34, v34, 23, v53
	v_or3_b32 v34, v52, v34, v51
	v_lshrrev_b32_e32 v51, 16, v34
.LBB863_231:
	s_or_b64 exec, exec, s[10:11]
.LBB863_232:
	s_or_b64 exec, exec, s[8:9]
.LBB863_233:
	s_or_b64 exec, exec, s[2:3]
	v_lshrrev_b16_e32 v34, 8, v35
	v_cmp_ne_u16_e32 vcc, 0, v34
	s_and_saveexec_b64 s[2:3], vcc
	s_cbranch_execz .LBB863_239
; %bb.234:
	s_movk_i32 s8, 0x80
	v_cmp_ne_u16_e32 vcc, s8, v34
	v_mov_b32_e32 v42, 0xffff8000
	s_and_saveexec_b64 s[8:9], vcc
	s_cbranch_execz .LBB863_238
; %bb.235:
	s_movk_i32 s10, 0x7f
	v_and_b32_e32 v52, 0x7f, v34
	v_cmp_ne_u32_e32 vcc, s10, v52
	v_mov_b32_e32 v42, 0x7f80
	s_and_saveexec_b64 s[10:11], vcc
	s_cbranch_execz .LBB863_237
; %bb.236:
	v_and_b32_e32 v42, 7, v34
	v_ffbh_u32_e32 v54, v42
	v_min_u32_e32 v56, 32, v54
	v_subrev_u32_e32 v54, 28, v56
	v_lshlrev_b64 v[54:55], v54, v[34:35]
	v_lshrrev_b32_e32 v53, 3, v52
	v_sub_u32_e32 v34, 29, v56
	v_and_b32_e32 v54, 7, v54
	v_cmp_gt_u32_e32 vcc, 8, v52
	v_cndmask_b32_e32 v34, v53, v34, vcc
	v_cndmask_b32_e32 v42, v42, v54, vcc
	v_lshlrev_b32_e32 v52, 16, v35
	v_bfrev_b32_e32 v53, 60
	v_lshlrev_b32_e32 v42, 20, v42
	v_and_b32_e32 v52, 0x80000000, v52
	v_lshl_add_u32 v34, v34, 23, v53
	v_or3_b32 v34, v52, v34, v42
	v_lshrrev_b32_e32 v42, 16, v34
.LBB863_237:
	s_or_b64 exec, exec, s[10:11]
.LBB863_238:
	s_or_b64 exec, exec, s[8:9]
.LBB863_239:
	s_or_b64 exec, exec, s[2:3]
	s_movk_i32 s2, 0xff
	v_and_b32_sdwa v54, v35, s2 dst_sel:DWORD dst_unused:UNUSED_PAD src0_sel:WORD_1 src1_sel:DWORD
	v_lshrrev_b32_e32 v34, 16, v35
	v_cmp_ne_u16_e32 vcc, 0, v54
	v_mov_b32_e32 v52, 0
	v_mov_b32_e32 v53, 0
	s_and_saveexec_b64 s[2:3], vcc
	s_cbranch_execz .LBB863_245
; %bb.240:
	s_movk_i32 s8, 0x80
	v_cmp_ne_u16_e32 vcc, s8, v54
	v_mov_b32_e32 v53, 0xffff8000
	s_and_saveexec_b64 s[8:9], vcc
	s_cbranch_execz .LBB863_244
; %bb.241:
	v_bfe_u32 v54, v35, 16, 7
	s_movk_i32 s10, 0x7f
	v_cmp_ne_u32_e32 vcc, s10, v54
	v_mov_b32_e32 v53, 0x7f80
	s_and_saveexec_b64 s[10:11], vcc
	s_cbranch_execz .LBB863_243
; %bb.242:
	v_and_b32_e32 v53, 7, v34
	v_ffbh_u32_e32 v56, v53
	v_min_u32_e32 v58, 32, v56
	v_subrev_u32_e32 v56, 28, v58
	v_lshlrev_b64 v[56:57], v56, v[34:35]
	v_lshrrev_b32_e32 v55, 3, v54
	v_sub_u32_e32 v34, 29, v58
	v_and_b32_e32 v56, 7, v56
	v_cmp_gt_u32_e32 vcc, 8, v54
	v_mov_b32_e32 v54, 24
	v_cndmask_b32_e32 v34, v55, v34, vcc
	v_cndmask_b32_e32 v53, v53, v56, vcc
	v_lshlrev_b32_sdwa v54, v54, v35 dst_sel:DWORD dst_unused:UNUSED_PAD src0_sel:DWORD src1_sel:WORD_1
	v_bfrev_b32_e32 v55, 60
	v_lshlrev_b32_e32 v53, 20, v53
	v_and_b32_e32 v54, 0x80000000, v54
	v_lshl_add_u32 v34, v34, 23, v55
	v_or3_b32 v34, v54, v34, v53
	v_lshrrev_b32_e32 v53, 16, v34
.LBB863_243:
	s_or_b64 exec, exec, s[10:11]
.LBB863_244:
	s_or_b64 exec, exec, s[8:9]
.LBB863_245:
	s_or_b64 exec, exec, s[2:3]
	s_mov_b32 s2, 0xffffff
	v_cmp_lt_u32_e32 vcc, s2, v35
	s_and_saveexec_b64 s[2:3], vcc
	s_cbranch_execz .LBB863_251
; %bb.246:
	v_lshrrev_b32_e32 v34, 24, v35
	s_movk_i32 s8, 0x80
	v_cmp_ne_u32_e32 vcc, s8, v34
	v_mov_b32_e32 v52, 0xffff8000
	s_and_saveexec_b64 s[8:9], vcc
	s_cbranch_execz .LBB863_250
; %bb.247:
	v_bfe_u32 v35, v35, 24, 7
	s_movk_i32 s10, 0x7f
	v_cmp_ne_u32_e32 vcc, s10, v35
	v_mov_b32_e32 v52, 0x7f80
	s_and_saveexec_b64 s[10:11], vcc
	s_cbranch_execz .LBB863_249
; %bb.248:
	v_and_b32_e32 v52, 7, v34
	v_ffbh_u32_e32 v54, v52
	v_min_u32_e32 v57, 32, v54
	v_subrev_u32_e32 v54, 28, v57
	v_lshlrev_b64 v[54:55], v54, v[34:35]
	v_lshrrev_b32_e32 v56, 3, v35
	v_sub_u32_e32 v55, 29, v57
	v_and_b32_e32 v54, 7, v54
	v_cmp_gt_u32_e32 vcc, 8, v35
	v_cndmask_b32_e32 v35, v56, v55, vcc
	v_cndmask_b32_e32 v52, v52, v54, vcc
	v_lshlrev_b32_e32 v34, 24, v34
	v_bfrev_b32_e32 v54, 60
	v_lshlrev_b32_e32 v52, 20, v52
	v_and_b32_e32 v34, 0x80000000, v34
	v_lshl_add_u32 v35, v35, 23, v54
	v_or3_b32 v34, v34, v35, v52
	v_lshrrev_b32_e32 v52, 16, v34
.LBB863_249:
	s_or_b64 exec, exec, s[10:11]
.LBB863_250:
	s_or_b64 exec, exec, s[8:9]
.LBB863_251:
	s_or_b64 exec, exec, s[2:3]
	s_mov_b32 s2, 0x5040100
	v_perm_b32 v35, v45, v50, s2
	v_perm_b32 v34, v43, v44, s2
	;; [unrolled: 1-line block ×4, first 2 shown]
	v_mov_b32_e32 v50, 0
	v_mfma_f32_16x16x16bf16_1k v[54:57], v[34:35], v[26:27], 0
	v_mov_b32_e32 v35, 0
	v_cmp_ne_u16_sdwa s[8:9], v36, v35 src0_sel:BYTE_0 src1_sel:DWORD
	v_mfma_f32_16x16x16bf16_1k v[42:45], v[42:43], v[28:29], v[54:57]
	s_and_saveexec_b64 s[2:3], s[8:9]
	s_cbranch_execz .LBB863_257
; %bb.252:
	s_movk_i32 s8, 0x80
	v_cmp_ne_u16_sdwa s[10:11], v36, s8 src0_sel:BYTE_0 src1_sel:DWORD
	v_mov_b32_e32 v50, 0xffff8000
	s_and_saveexec_b64 s[8:9], s[10:11]
	s_cbranch_execz .LBB863_256
; %bb.253:
	s_movk_i32 s10, 0x7f
	v_and_b32_e32 v34, 0x7f, v36
	v_cmp_ne_u32_e32 vcc, s10, v34
	v_mov_b32_e32 v50, 0x7f80
	s_and_saveexec_b64 s[10:11], vcc
	s_cbranch_execz .LBB863_255
; %bb.254:
	v_and_b32_e32 v52, 7, v36
	v_ffbh_u32_e32 v50, v52
	v_min_u32_e32 v54, 32, v50
	v_subrev_u32_e32 v50, 28, v54
	v_lshlrev_b64 v[50:51], v50, v[36:37]
	v_lshrrev_b32_e32 v53, 3, v34
	v_sub_u32_e32 v51, 29, v54
	v_and_b32_e32 v50, 7, v50
	v_cmp_gt_u32_e32 vcc, 8, v34
	v_cndmask_b32_e32 v34, v53, v51, vcc
	v_cndmask_b32_e32 v50, v52, v50, vcc
	v_lshlrev_b32_e32 v51, 24, v36
	v_bfrev_b32_e32 v52, 60
	v_lshlrev_b32_e32 v50, 20, v50
	v_and_b32_e32 v51, 0x80000000, v51
	v_lshl_add_u32 v34, v34, 23, v52
	v_or3_b32 v34, v51, v34, v50
	v_lshrrev_b32_e32 v50, 16, v34
.LBB863_255:
	s_or_b64 exec, exec, s[10:11]
.LBB863_256:
	s_or_b64 exec, exec, s[8:9]
.LBB863_257:
	s_or_b64 exec, exec, s[2:3]
	v_lshrrev_b16_e32 v34, 8, v36
	v_cmp_ne_u16_e32 vcc, 0, v34
	s_and_saveexec_b64 s[2:3], vcc
	s_cbranch_execz .LBB863_263
; %bb.258:
	s_movk_i32 s8, 0x80
	v_cmp_ne_u16_e32 vcc, s8, v34
	v_mov_b32_e32 v35, 0xffff8000
	s_and_saveexec_b64 s[8:9], vcc
	s_cbranch_execz .LBB863_262
; %bb.259:
	s_movk_i32 s10, 0x7f
	v_and_b32_e32 v51, 0x7f, v34
	v_cmp_ne_u32_e32 vcc, s10, v51
	v_mov_b32_e32 v35, 0x7f80
	s_and_saveexec_b64 s[10:11], vcc
	s_cbranch_execz .LBB863_261
; %bb.260:
	v_and_b32_e32 v52, 7, v34
	v_ffbh_u32_e32 v35, v52
	v_min_u32_e32 v54, 32, v35
	v_subrev_u32_e32 v35, 28, v54
	v_lshlrev_b64 v[34:35], v35, v[34:35]
	v_lshrrev_b32_e32 v53, 3, v51
	v_sub_u32_e32 v35, 29, v54
	v_and_b32_e32 v34, 7, v34
	v_cmp_gt_u32_e32 vcc, 8, v51
	v_cndmask_b32_e32 v35, v53, v35, vcc
	v_cndmask_b32_e32 v34, v52, v34, vcc
	v_lshlrev_b32_e32 v51, 16, v36
	v_bfrev_b32_e32 v52, 60
	v_lshlrev_b32_e32 v34, 20, v34
	v_and_b32_e32 v51, 0x80000000, v51
	v_lshl_add_u32 v35, v35, 23, v52
	v_or3_b32 v34, v51, v35, v34
	v_lshrrev_b32_e32 v35, 16, v34
.LBB863_261:
	s_or_b64 exec, exec, s[10:11]
.LBB863_262:
	s_or_b64 exec, exec, s[8:9]
.LBB863_263:
	s_or_b64 exec, exec, s[2:3]
	s_movk_i32 s2, 0xff
	v_and_b32_sdwa v53, v36, s2 dst_sel:DWORD dst_unused:UNUSED_PAD src0_sel:WORD_1 src1_sel:DWORD
	v_lshrrev_b32_e32 v34, 16, v36
	v_cmp_ne_u16_e32 vcc, 0, v53
	v_mov_b32_e32 v51, 0
	v_mov_b32_e32 v52, 0
	s_and_saveexec_b64 s[2:3], vcc
	s_cbranch_execz .LBB863_269
; %bb.264:
	s_movk_i32 s8, 0x80
	v_cmp_ne_u16_e32 vcc, s8, v53
	v_mov_b32_e32 v52, 0xffff8000
	s_and_saveexec_b64 s[8:9], vcc
	s_cbranch_execz .LBB863_268
; %bb.265:
	v_bfe_u32 v53, v36, 16, 7
	s_movk_i32 s10, 0x7f
	v_cmp_ne_u32_e32 vcc, s10, v53
	v_mov_b32_e32 v52, 0x7f80
	s_and_saveexec_b64 s[10:11], vcc
	s_cbranch_execz .LBB863_267
; %bb.266:
	v_and_b32_e32 v52, 7, v34
	v_ffbh_u32_e32 v54, v52
	v_min_u32_e32 v57, 32, v54
	v_subrev_u32_e32 v54, 28, v57
	v_lshlrev_b64 v[54:55], v54, v[34:35]
	v_lshrrev_b32_e32 v56, 3, v53
	v_sub_u32_e32 v34, 29, v57
	v_and_b32_e32 v54, 7, v54
	v_cmp_gt_u32_e32 vcc, 8, v53
	v_mov_b32_e32 v53, 24
	v_cndmask_b32_e32 v34, v56, v34, vcc
	v_cndmask_b32_e32 v52, v52, v54, vcc
	v_lshlrev_b32_sdwa v53, v53, v36 dst_sel:DWORD dst_unused:UNUSED_PAD src0_sel:DWORD src1_sel:WORD_1
	v_bfrev_b32_e32 v54, 60
	v_lshlrev_b32_e32 v52, 20, v52
	v_and_b32_e32 v53, 0x80000000, v53
	v_lshl_add_u32 v34, v34, 23, v54
	v_or3_b32 v34, v53, v34, v52
	v_lshrrev_b32_e32 v52, 16, v34
.LBB863_267:
	s_or_b64 exec, exec, s[10:11]
.LBB863_268:
	s_or_b64 exec, exec, s[8:9]
.LBB863_269:
	s_or_b64 exec, exec, s[2:3]
	s_mov_b32 s2, 0xffffff
	v_cmp_lt_u32_e32 vcc, s2, v36
	s_and_saveexec_b64 s[2:3], vcc
	s_cbranch_execz .LBB863_275
; %bb.270:
	v_lshrrev_b32_e32 v34, 24, v36
	s_movk_i32 s8, 0x80
	v_cmp_ne_u32_e32 vcc, s8, v34
	v_mov_b32_e32 v51, 0xffff8000
	s_and_saveexec_b64 s[8:9], vcc
	s_cbranch_execz .LBB863_274
; %bb.271:
	v_bfe_u32 v36, v36, 24, 7
	s_movk_i32 s10, 0x7f
	v_cmp_ne_u32_e32 vcc, s10, v36
	v_mov_b32_e32 v51, 0x7f80
	s_and_saveexec_b64 s[10:11], vcc
	s_cbranch_execz .LBB863_273
; %bb.272:
	v_and_b32_e32 v51, 7, v34
	v_ffbh_u32_e32 v54, v51
	v_min_u32_e32 v56, 32, v54
	v_subrev_u32_e32 v54, 28, v56
	v_lshlrev_b64 v[54:55], v54, v[34:35]
	v_lshrrev_b32_e32 v53, 3, v36
	v_sub_u32_e32 v55, 29, v56
	v_and_b32_e32 v54, 7, v54
	v_cmp_gt_u32_e32 vcc, 8, v36
	v_cndmask_b32_e32 v36, v53, v55, vcc
	v_cndmask_b32_e32 v51, v51, v54, vcc
	v_lshlrev_b32_e32 v34, 24, v34
	v_bfrev_b32_e32 v53, 60
	v_lshlrev_b32_e32 v51, 20, v51
	v_and_b32_e32 v34, 0x80000000, v34
	v_lshl_add_u32 v36, v36, 23, v53
	v_or3_b32 v34, v34, v36, v51
	v_lshrrev_b32_e32 v51, 16, v34
.LBB863_273:
	s_or_b64 exec, exec, s[10:11]
.LBB863_274:
	s_or_b64 exec, exec, s[8:9]
.LBB863_275:
	s_or_b64 exec, exec, s[2:3]
	v_mov_b32_e32 v36, 0
	v_cmp_ne_u16_sdwa s[8:9], v37, v36 src0_sel:BYTE_0 src1_sel:DWORD
	v_mov_b32_e32 v53, 0
	s_and_saveexec_b64 s[2:3], s[8:9]
	s_cbranch_execz .LBB863_281
; %bb.276:
	s_movk_i32 s8, 0x80
	v_cmp_ne_u16_sdwa s[10:11], v37, s8 src0_sel:BYTE_0 src1_sel:DWORD
	v_mov_b32_e32 v53, 0xffff8000
	s_and_saveexec_b64 s[8:9], s[10:11]
	s_cbranch_execz .LBB863_280
; %bb.277:
	s_movk_i32 s10, 0x7f
	v_and_b32_e32 v34, 0x7f, v37
	v_cmp_ne_u32_e32 vcc, s10, v34
	v_mov_b32_e32 v53, 0x7f80
	s_and_saveexec_b64 s[10:11], vcc
	s_cbranch_execz .LBB863_279
; %bb.278:
	v_and_b32_e32 v53, 7, v37
	v_ffbh_u32_e32 v55, v53
	v_min_u32_e32 v57, 32, v55
	v_mov_b32_e32 v54, v37
	v_subrev_u32_e32 v55, 28, v57
	v_lshlrev_b64 v[54:55], v55, v[54:55]
	v_lshrrev_b32_e32 v56, 3, v34
	v_sub_u32_e32 v55, 29, v57
	v_and_b32_e32 v54, 7, v54
	v_cmp_gt_u32_e32 vcc, 8, v34
	v_cndmask_b32_e32 v34, v56, v55, vcc
	v_cndmask_b32_e32 v53, v53, v54, vcc
	v_lshlrev_b32_e32 v54, 24, v37
	v_bfrev_b32_e32 v55, 60
	v_lshlrev_b32_e32 v53, 20, v53
	v_and_b32_e32 v54, 0x80000000, v54
	v_lshl_add_u32 v34, v34, 23, v55
	v_or3_b32 v34, v54, v34, v53
	v_lshrrev_b32_e32 v53, 16, v34
.LBB863_279:
	s_or_b64 exec, exec, s[10:11]
.LBB863_280:
	s_or_b64 exec, exec, s[8:9]
.LBB863_281:
	s_or_b64 exec, exec, s[2:3]
	v_lshrrev_b16_e32 v34, 8, v37
	v_cmp_ne_u16_e32 vcc, 0, v34
	s_and_saveexec_b64 s[2:3], vcc
	s_cbranch_execz .LBB863_287
; %bb.282:
	s_movk_i32 s8, 0x80
	v_cmp_ne_u16_e32 vcc, s8, v34
	v_mov_b32_e32 v36, 0xffff8000
	s_and_saveexec_b64 s[8:9], vcc
	s_cbranch_execz .LBB863_286
; %bb.283:
	s_movk_i32 s10, 0x7f
	v_and_b32_e32 v54, 0x7f, v34
	v_cmp_ne_u32_e32 vcc, s10, v54
	v_mov_b32_e32 v36, 0x7f80
	s_and_saveexec_b64 s[10:11], vcc
	s_cbranch_execz .LBB863_285
; %bb.284:
	v_and_b32_e32 v36, 7, v34
	v_ffbh_u32_e32 v56, v36
	v_min_u32_e32 v58, 32, v56
	v_subrev_u32_e32 v56, 28, v58
	v_lshlrev_b64 v[56:57], v56, v[34:35]
	v_lshrrev_b32_e32 v55, 3, v54
	v_sub_u32_e32 v34, 29, v58
	v_and_b32_e32 v56, 7, v56
	v_cmp_gt_u32_e32 vcc, 8, v54
	v_cndmask_b32_e32 v34, v55, v34, vcc
	v_cndmask_b32_e32 v36, v36, v56, vcc
	v_lshlrev_b32_e32 v54, 16, v37
	v_bfrev_b32_e32 v55, 60
	v_lshlrev_b32_e32 v36, 20, v36
	v_and_b32_e32 v54, 0x80000000, v54
	v_lshl_add_u32 v34, v34, 23, v55
	v_or3_b32 v34, v54, v34, v36
	v_lshrrev_b32_e32 v36, 16, v34
.LBB863_285:
	s_or_b64 exec, exec, s[10:11]
.LBB863_286:
	s_or_b64 exec, exec, s[8:9]
.LBB863_287:
	s_or_b64 exec, exec, s[2:3]
	s_movk_i32 s2, 0xff
	v_and_b32_sdwa v56, v37, s2 dst_sel:DWORD dst_unused:UNUSED_PAD src0_sel:WORD_1 src1_sel:DWORD
	v_lshrrev_b32_e32 v34, 16, v37
	v_cmp_ne_u16_e32 vcc, 0, v56
	v_mov_b32_e32 v54, 0
	v_mov_b32_e32 v55, 0
	s_and_saveexec_b64 s[2:3], vcc
	s_cbranch_execz .LBB863_293
; %bb.288:
	s_movk_i32 s8, 0x80
	v_cmp_ne_u16_e32 vcc, s8, v56
	v_mov_b32_e32 v55, 0xffff8000
	s_and_saveexec_b64 s[8:9], vcc
	s_cbranch_execz .LBB863_292
; %bb.289:
	v_bfe_u32 v56, v37, 16, 7
	s_movk_i32 s10, 0x7f
	v_cmp_ne_u32_e32 vcc, s10, v56
	v_mov_b32_e32 v55, 0x7f80
	s_and_saveexec_b64 s[10:11], vcc
	s_cbranch_execz .LBB863_291
; %bb.290:
	v_and_b32_e32 v55, 7, v34
	v_ffbh_u32_e32 v58, v55
	v_min_u32_e32 v60, 32, v58
	v_subrev_u32_e32 v58, 28, v60
	v_lshlrev_b64 v[58:59], v58, v[34:35]
	v_lshrrev_b32_e32 v57, 3, v56
	v_sub_u32_e32 v34, 29, v60
	v_and_b32_e32 v58, 7, v58
	v_cmp_gt_u32_e32 vcc, 8, v56
	v_mov_b32_e32 v56, 24
	v_cndmask_b32_e32 v34, v57, v34, vcc
	v_cndmask_b32_e32 v55, v55, v58, vcc
	v_lshlrev_b32_sdwa v56, v56, v37 dst_sel:DWORD dst_unused:UNUSED_PAD src0_sel:DWORD src1_sel:WORD_1
	v_bfrev_b32_e32 v57, 60
	v_lshlrev_b32_e32 v55, 20, v55
	v_and_b32_e32 v56, 0x80000000, v56
	v_lshl_add_u32 v34, v34, 23, v57
	v_or3_b32 v34, v56, v34, v55
	v_lshrrev_b32_e32 v55, 16, v34
.LBB863_291:
	s_or_b64 exec, exec, s[10:11]
.LBB863_292:
	s_or_b64 exec, exec, s[8:9]
.LBB863_293:
	s_or_b64 exec, exec, s[2:3]
	s_mov_b32 s2, 0xffffff
	v_cmp_lt_u32_e32 vcc, s2, v37
	s_and_saveexec_b64 s[2:3], vcc
	s_cbranch_execz .LBB863_299
; %bb.294:
	v_lshrrev_b32_e32 v34, 24, v37
	s_movk_i32 s8, 0x80
	v_cmp_ne_u32_e32 vcc, s8, v34
	v_mov_b32_e32 v54, 0xffff8000
	s_and_saveexec_b64 s[8:9], vcc
	s_cbranch_execz .LBB863_298
; %bb.295:
	v_bfe_u32 v37, v37, 24, 7
	s_movk_i32 s10, 0x7f
	v_cmp_ne_u32_e32 vcc, s10, v37
	v_mov_b32_e32 v54, 0x7f80
	s_and_saveexec_b64 s[10:11], vcc
	s_cbranch_execz .LBB863_297
; %bb.296:
	v_and_b32_e32 v54, 7, v34
	v_ffbh_u32_e32 v56, v54
	v_min_u32_e32 v59, 32, v56
	v_subrev_u32_e32 v56, 28, v59
	v_lshlrev_b64 v[56:57], v56, v[34:35]
	v_lshrrev_b32_e32 v58, 3, v37
	v_sub_u32_e32 v57, 29, v59
	v_and_b32_e32 v56, 7, v56
	v_cmp_gt_u32_e32 vcc, 8, v37
	v_cndmask_b32_e32 v37, v58, v57, vcc
	v_cndmask_b32_e32 v54, v54, v56, vcc
	v_lshlrev_b32_e32 v34, 24, v34
	v_bfrev_b32_e32 v56, 60
	v_lshlrev_b32_e32 v54, 20, v54
	v_and_b32_e32 v34, 0x80000000, v34
	v_lshl_add_u32 v37, v37, 23, v56
	v_or3_b32 v34, v34, v37, v54
	v_lshrrev_b32_e32 v54, 16, v34
.LBB863_297:
	s_or_b64 exec, exec, s[10:11]
.LBB863_298:
	s_or_b64 exec, exec, s[8:9]
.LBB863_299:
	s_or_b64 exec, exec, s[2:3]
	s_mov_b32 s2, 0x5040100
	v_perm_b32 v51, v51, v52, s2
	v_perm_b32 v50, v35, v50, s2
	;; [unrolled: 1-line block ×4, first 2 shown]
	v_mfma_f32_16x16x16bf16_1k v[56:59], v[50:51], v[18:19], v[42:45]
	s_nop 6
	v_mov_b32_e32 v43, 0
	s_waitcnt vmcnt(4)
	v_cmp_ne_u16_sdwa s[8:9], v22, v43 src0_sel:BYTE_0 src1_sel:DWORD
	v_mfma_f32_16x16x16bf16_1k v[34:37], v[34:35], v[20:21], v[56:59]
	v_mov_b32_e32 v44, 0
	s_and_saveexec_b64 s[2:3], s[8:9]
	s_cbranch_execz .LBB863_305
; %bb.300:
	s_movk_i32 s8, 0x80
	v_cmp_ne_u16_sdwa s[10:11], v22, s8 src0_sel:BYTE_0 src1_sel:DWORD
	v_mov_b32_e32 v44, 0xffff8000
	s_and_saveexec_b64 s[8:9], s[10:11]
	s_cbranch_execz .LBB863_304
; %bb.301:
	s_movk_i32 s10, 0x7f
	v_and_b32_e32 v42, 0x7f, v22
	v_cmp_ne_u32_e32 vcc, s10, v42
	v_mov_b32_e32 v44, 0x7f80
	s_and_saveexec_b64 s[10:11], vcc
	s_cbranch_execz .LBB863_303
; %bb.302:
	v_and_b32_e32 v50, 7, v22
	v_ffbh_u32_e32 v44, v50
	v_min_u32_e32 v52, 32, v44
	v_subrev_u32_e32 v44, 28, v52
	v_lshlrev_b64 v[44:45], v44, v[22:23]
	v_lshrrev_b32_e32 v51, 3, v42
	v_sub_u32_e32 v45, 29, v52
	v_and_b32_e32 v44, 7, v44
	v_cmp_gt_u32_e32 vcc, 8, v42
	v_cndmask_b32_e32 v42, v51, v45, vcc
	v_cndmask_b32_e32 v44, v50, v44, vcc
	v_lshlrev_b32_e32 v45, 24, v22
	v_bfrev_b32_e32 v50, 60
	v_lshlrev_b32_e32 v44, 20, v44
	v_and_b32_e32 v45, 0x80000000, v45
	v_lshl_add_u32 v42, v42, 23, v50
	v_or3_b32 v42, v45, v42, v44
	v_lshrrev_b32_e32 v44, 16, v42
.LBB863_303:
	s_or_b64 exec, exec, s[10:11]
.LBB863_304:
	s_or_b64 exec, exec, s[8:9]
.LBB863_305:
	s_or_b64 exec, exec, s[2:3]
	v_lshrrev_b16_e32 v42, 8, v22
	v_cmp_ne_u16_e32 vcc, 0, v42
	s_and_saveexec_b64 s[2:3], vcc
	s_cbranch_execz .LBB863_311
; %bb.306:
	s_movk_i32 s8, 0x80
	v_cmp_ne_u16_e32 vcc, s8, v42
	v_mov_b32_e32 v43, 0xffff8000
	s_and_saveexec_b64 s[8:9], vcc
	s_cbranch_execz .LBB863_310
; %bb.307:
	s_movk_i32 s10, 0x7f
	v_and_b32_e32 v45, 0x7f, v42
	v_cmp_ne_u32_e32 vcc, s10, v45
	v_mov_b32_e32 v43, 0x7f80
	s_and_saveexec_b64 s[10:11], vcc
	s_cbranch_execz .LBB863_309
; %bb.308:
	v_and_b32_e32 v50, 7, v42
	v_ffbh_u32_e32 v43, v50
	v_min_u32_e32 v52, 32, v43
	v_subrev_u32_e32 v43, 28, v52
	v_lshlrev_b64 v[42:43], v43, v[42:43]
	v_lshrrev_b32_e32 v51, 3, v45
	v_sub_u32_e32 v43, 29, v52
	v_and_b32_e32 v42, 7, v42
	v_cmp_gt_u32_e32 vcc, 8, v45
	v_cndmask_b32_e32 v43, v51, v43, vcc
	v_cndmask_b32_e32 v42, v50, v42, vcc
	v_lshlrev_b32_e32 v45, 16, v22
	v_bfrev_b32_e32 v50, 60
	v_lshlrev_b32_e32 v42, 20, v42
	v_and_b32_e32 v45, 0x80000000, v45
	v_lshl_add_u32 v43, v43, 23, v50
	v_or3_b32 v42, v45, v43, v42
	v_lshrrev_b32_e32 v43, 16, v42
.LBB863_309:
	s_or_b64 exec, exec, s[10:11]
.LBB863_310:
	s_or_b64 exec, exec, s[8:9]
.LBB863_311:
	s_or_b64 exec, exec, s[2:3]
	s_movk_i32 s2, 0xff
	v_and_b32_sdwa v51, v22, s2 dst_sel:DWORD dst_unused:UNUSED_PAD src0_sel:WORD_1 src1_sel:DWORD
	v_lshrrev_b32_e32 v42, 16, v22
	v_cmp_ne_u16_e32 vcc, 0, v51
	v_mov_b32_e32 v45, 0
	v_mov_b32_e32 v50, 0
	s_and_saveexec_b64 s[2:3], vcc
	s_cbranch_execz .LBB863_317
; %bb.312:
	s_movk_i32 s8, 0x80
	v_cmp_ne_u16_e32 vcc, s8, v51
	v_mov_b32_e32 v50, 0xffff8000
	s_and_saveexec_b64 s[8:9], vcc
	s_cbranch_execz .LBB863_316
; %bb.313:
	v_bfe_u32 v51, v22, 16, 7
	s_movk_i32 s10, 0x7f
	v_cmp_ne_u32_e32 vcc, s10, v51
	v_mov_b32_e32 v50, 0x7f80
	s_and_saveexec_b64 s[10:11], vcc
	s_cbranch_execz .LBB863_315
; %bb.314:
	v_and_b32_e32 v50, 7, v42
	v_ffbh_u32_e32 v52, v50
	v_min_u32_e32 v55, 32, v52
	v_subrev_u32_e32 v52, 28, v55
	v_lshlrev_b64 v[52:53], v52, v[42:43]
	v_lshrrev_b32_e32 v54, 3, v51
	v_sub_u32_e32 v42, 29, v55
	v_and_b32_e32 v52, 7, v52
	v_cmp_gt_u32_e32 vcc, 8, v51
	v_mov_b32_e32 v51, 24
	v_cndmask_b32_e32 v42, v54, v42, vcc
	v_cndmask_b32_e32 v50, v50, v52, vcc
	v_lshlrev_b32_sdwa v51, v51, v22 dst_sel:DWORD dst_unused:UNUSED_PAD src0_sel:DWORD src1_sel:WORD_1
	v_bfrev_b32_e32 v52, 60
	v_lshlrev_b32_e32 v50, 20, v50
	v_and_b32_e32 v51, 0x80000000, v51
	v_lshl_add_u32 v42, v42, 23, v52
	v_or3_b32 v42, v51, v42, v50
	v_lshrrev_b32_e32 v50, 16, v42
.LBB863_315:
	s_or_b64 exec, exec, s[10:11]
.LBB863_316:
	s_or_b64 exec, exec, s[8:9]
.LBB863_317:
	s_or_b64 exec, exec, s[2:3]
	s_mov_b32 s2, 0xffffff
	v_cmp_lt_u32_e32 vcc, s2, v22
	s_and_saveexec_b64 s[2:3], vcc
	s_cbranch_execz .LBB863_323
; %bb.318:
	v_lshrrev_b32_e32 v42, 24, v22
	s_movk_i32 s8, 0x80
	v_cmp_ne_u32_e32 vcc, s8, v42
	v_mov_b32_e32 v45, 0xffff8000
	s_and_saveexec_b64 s[8:9], vcc
	s_cbranch_execz .LBB863_322
; %bb.319:
	v_bfe_u32 v22, v22, 24, 7
	s_movk_i32 s10, 0x7f
	v_cmp_ne_u32_e32 vcc, s10, v22
	v_mov_b32_e32 v45, 0x7f80
	s_and_saveexec_b64 s[10:11], vcc
	s_cbranch_execz .LBB863_321
; %bb.320:
	v_and_b32_e32 v45, 7, v42
	v_ffbh_u32_e32 v52, v45
	v_min_u32_e32 v54, 32, v52
	v_subrev_u32_e32 v52, 28, v54
	v_lshlrev_b64 v[52:53], v52, v[42:43]
	v_lshrrev_b32_e32 v51, 3, v22
	v_sub_u32_e32 v53, 29, v54
	v_and_b32_e32 v52, 7, v52
	v_cmp_gt_u32_e32 vcc, 8, v22
	v_cndmask_b32_e32 v22, v51, v53, vcc
	v_cndmask_b32_e32 v45, v45, v52, vcc
	v_lshlrev_b32_e32 v42, 24, v42
	v_bfrev_b32_e32 v51, 60
	v_lshlrev_b32_e32 v45, 20, v45
	v_and_b32_e32 v42, 0x80000000, v42
	v_lshl_add_u32 v22, v22, 23, v51
	v_or3_b32 v22, v42, v22, v45
	v_lshrrev_b32_e32 v45, 16, v22
.LBB863_321:
	s_or_b64 exec, exec, s[10:11]
.LBB863_322:
	s_or_b64 exec, exec, s[8:9]
.LBB863_323:
	s_or_b64 exec, exec, s[2:3]
	v_mov_b32_e32 v42, 0
	v_cmp_ne_u16_sdwa s[8:9], v23, v42 src0_sel:BYTE_0 src1_sel:DWORD
	v_mov_b32_e32 v51, 0
	s_and_saveexec_b64 s[2:3], s[8:9]
	s_cbranch_execz .LBB863_329
; %bb.324:
	s_movk_i32 s8, 0x80
	v_cmp_ne_u16_sdwa s[10:11], v23, s8 src0_sel:BYTE_0 src1_sel:DWORD
	v_mov_b32_e32 v51, 0xffff8000
	s_and_saveexec_b64 s[8:9], s[10:11]
	s_cbranch_execz .LBB863_328
; %bb.325:
	s_movk_i32 s10, 0x7f
	v_and_b32_e32 v22, 0x7f, v23
	v_cmp_ne_u32_e32 vcc, s10, v22
	v_mov_b32_e32 v51, 0x7f80
	s_and_saveexec_b64 s[10:11], vcc
	s_cbranch_execz .LBB863_327
; %bb.326:
	v_and_b32_e32 v51, 7, v23
	v_ffbh_u32_e32 v53, v51
	v_min_u32_e32 v55, 32, v53
	v_mov_b32_e32 v52, v23
	v_subrev_u32_e32 v53, 28, v55
	v_lshlrev_b64 v[52:53], v53, v[52:53]
	v_lshrrev_b32_e32 v54, 3, v22
	v_sub_u32_e32 v53, 29, v55
	v_and_b32_e32 v52, 7, v52
	v_cmp_gt_u32_e32 vcc, 8, v22
	v_cndmask_b32_e32 v22, v54, v53, vcc
	v_cndmask_b32_e32 v51, v51, v52, vcc
	v_lshlrev_b32_e32 v52, 24, v23
	v_bfrev_b32_e32 v53, 60
	v_lshlrev_b32_e32 v51, 20, v51
	v_and_b32_e32 v52, 0x80000000, v52
	v_lshl_add_u32 v22, v22, 23, v53
	v_or3_b32 v22, v52, v22, v51
	v_lshrrev_b32_e32 v51, 16, v22
.LBB863_327:
	s_or_b64 exec, exec, s[10:11]
.LBB863_328:
	s_or_b64 exec, exec, s[8:9]
.LBB863_329:
	s_or_b64 exec, exec, s[2:3]
	v_lshrrev_b16_e32 v22, 8, v23
	v_cmp_ne_u16_e32 vcc, 0, v22
	s_and_saveexec_b64 s[2:3], vcc
	s_cbranch_execz .LBB863_335
; %bb.330:
	s_movk_i32 s8, 0x80
	v_cmp_ne_u16_e32 vcc, s8, v22
	v_mov_b32_e32 v42, 0xffff8000
	s_and_saveexec_b64 s[8:9], vcc
	s_cbranch_execz .LBB863_334
; %bb.331:
	s_movk_i32 s10, 0x7f
	v_and_b32_e32 v52, 0x7f, v22
	v_cmp_ne_u32_e32 vcc, s10, v52
	v_mov_b32_e32 v42, 0x7f80
	s_and_saveexec_b64 s[10:11], vcc
	s_cbranch_execz .LBB863_333
; %bb.332:
	v_and_b32_e32 v42, 7, v22
	v_ffbh_u32_e32 v54, v42
	v_min_u32_e32 v56, 32, v54
	v_subrev_u32_e32 v54, 28, v56
	v_lshlrev_b64 v[54:55], v54, v[22:23]
	v_lshrrev_b32_e32 v53, 3, v52
	v_sub_u32_e32 v22, 29, v56
	v_and_b32_e32 v54, 7, v54
	v_cmp_gt_u32_e32 vcc, 8, v52
	v_cndmask_b32_e32 v22, v53, v22, vcc
	v_cndmask_b32_e32 v42, v42, v54, vcc
	v_lshlrev_b32_e32 v52, 16, v23
	v_bfrev_b32_e32 v53, 60
	v_lshlrev_b32_e32 v42, 20, v42
	v_and_b32_e32 v52, 0x80000000, v52
	v_lshl_add_u32 v22, v22, 23, v53
	v_or3_b32 v22, v52, v22, v42
	v_lshrrev_b32_e32 v42, 16, v22
.LBB863_333:
	s_or_b64 exec, exec, s[10:11]
.LBB863_334:
	s_or_b64 exec, exec, s[8:9]
.LBB863_335:
	s_or_b64 exec, exec, s[2:3]
	s_movk_i32 s2, 0xff
	v_and_b32_sdwa v54, v23, s2 dst_sel:DWORD dst_unused:UNUSED_PAD src0_sel:WORD_1 src1_sel:DWORD
	v_lshrrev_b32_e32 v22, 16, v23
	v_cmp_ne_u16_e32 vcc, 0, v54
	v_mov_b32_e32 v52, 0
	v_mov_b32_e32 v53, 0
	s_and_saveexec_b64 s[2:3], vcc
	s_cbranch_execz .LBB863_341
; %bb.336:
	s_movk_i32 s8, 0x80
	v_cmp_ne_u16_e32 vcc, s8, v54
	v_mov_b32_e32 v53, 0xffff8000
	s_and_saveexec_b64 s[8:9], vcc
	s_cbranch_execz .LBB863_340
; %bb.337:
	v_bfe_u32 v54, v23, 16, 7
	s_movk_i32 s10, 0x7f
	v_cmp_ne_u32_e32 vcc, s10, v54
	v_mov_b32_e32 v53, 0x7f80
	s_and_saveexec_b64 s[10:11], vcc
	s_cbranch_execz .LBB863_339
; %bb.338:
	v_and_b32_e32 v53, 7, v22
	v_ffbh_u32_e32 v56, v53
	v_min_u32_e32 v58, 32, v56
	v_subrev_u32_e32 v56, 28, v58
	v_lshlrev_b64 v[56:57], v56, v[22:23]
	v_lshrrev_b32_e32 v55, 3, v54
	v_sub_u32_e32 v22, 29, v58
	v_and_b32_e32 v56, 7, v56
	v_cmp_gt_u32_e32 vcc, 8, v54
	v_mov_b32_e32 v54, 24
	v_cndmask_b32_e32 v22, v55, v22, vcc
	v_cndmask_b32_e32 v53, v53, v56, vcc
	v_lshlrev_b32_sdwa v54, v54, v23 dst_sel:DWORD dst_unused:UNUSED_PAD src0_sel:DWORD src1_sel:WORD_1
	v_bfrev_b32_e32 v55, 60
	v_lshlrev_b32_e32 v53, 20, v53
	v_and_b32_e32 v54, 0x80000000, v54
	v_lshl_add_u32 v22, v22, 23, v55
	v_or3_b32 v22, v54, v22, v53
	v_lshrrev_b32_e32 v53, 16, v22
.LBB863_339:
	s_or_b64 exec, exec, s[10:11]
.LBB863_340:
	s_or_b64 exec, exec, s[8:9]
.LBB863_341:
	s_or_b64 exec, exec, s[2:3]
	s_mov_b32 s2, 0xffffff
	v_cmp_lt_u32_e32 vcc, s2, v23
	s_and_saveexec_b64 s[2:3], vcc
	s_cbranch_execz .LBB863_347
; %bb.342:
	v_lshrrev_b32_e32 v22, 24, v23
	s_movk_i32 s8, 0x80
	v_cmp_ne_u32_e32 vcc, s8, v22
	v_mov_b32_e32 v52, 0xffff8000
	s_and_saveexec_b64 s[8:9], vcc
	s_cbranch_execz .LBB863_346
; %bb.343:
	v_bfe_u32 v23, v23, 24, 7
	s_movk_i32 s10, 0x7f
	v_cmp_ne_u32_e32 vcc, s10, v23
	v_mov_b32_e32 v52, 0x7f80
	s_and_saveexec_b64 s[10:11], vcc
	s_cbranch_execz .LBB863_345
; %bb.344:
	v_and_b32_e32 v52, 7, v22
	v_ffbh_u32_e32 v54, v52
	v_min_u32_e32 v57, 32, v54
	v_subrev_u32_e32 v54, 28, v57
	v_lshlrev_b64 v[54:55], v54, v[22:23]
	v_lshrrev_b32_e32 v56, 3, v23
	v_sub_u32_e32 v55, 29, v57
	v_and_b32_e32 v54, 7, v54
	v_cmp_gt_u32_e32 vcc, 8, v23
	v_cndmask_b32_e32 v23, v56, v55, vcc
	v_cndmask_b32_e32 v52, v52, v54, vcc
	v_lshlrev_b32_e32 v22, 24, v22
	v_bfrev_b32_e32 v54, 60
	v_lshlrev_b32_e32 v52, 20, v52
	v_and_b32_e32 v22, 0x80000000, v22
	v_lshl_add_u32 v23, v23, 23, v54
	v_or3_b32 v22, v22, v23, v52
	v_lshrrev_b32_e32 v52, 16, v22
.LBB863_345:
	s_or_b64 exec, exec, s[10:11]
.LBB863_346:
	s_or_b64 exec, exec, s[8:9]
.LBB863_347:
	s_or_b64 exec, exec, s[2:3]
	s_mov_b32 s2, 0x5040100
	v_perm_b32 v23, v45, v50, s2
	v_perm_b32 v22, v43, v44, s2
	v_mov_b32_e32 v43, 0
	s_nop 0
	v_mfma_f32_16x16x16bf16_1k v[54:57], v[22:23], v[26:27], 0
	v_perm_b32 v27, v52, v53, s2
	v_perm_b32 v26, v42, v51, s2
	v_mov_b32_e32 v23, 0
	v_cmp_ne_u16_sdwa s[8:9], v24, v23 src0_sel:BYTE_0 src1_sel:DWORD
	v_mfma_f32_16x16x16bf16_1k v[26:29], v[26:27], v[28:29], v[54:57]
	s_and_saveexec_b64 s[2:3], s[8:9]
	s_cbranch_execz .LBB863_353
; %bb.348:
	s_movk_i32 s8, 0x80
	v_cmp_ne_u16_sdwa s[10:11], v24, s8 src0_sel:BYTE_0 src1_sel:DWORD
	v_mov_b32_e32 v43, 0xffff8000
	s_and_saveexec_b64 s[8:9], s[10:11]
	s_cbranch_execz .LBB863_352
; %bb.349:
	s_movk_i32 s10, 0x7f
	v_and_b32_e32 v22, 0x7f, v24
	v_cmp_ne_u32_e32 vcc, s10, v22
	v_mov_b32_e32 v43, 0x7f80
	s_and_saveexec_b64 s[10:11], vcc
	s_cbranch_execz .LBB863_351
; %bb.350:
	v_and_b32_e32 v44, 7, v24
	v_ffbh_u32_e32 v42, v44
	v_min_u32_e32 v50, 32, v42
	v_subrev_u32_e32 v42, 28, v50
	v_lshlrev_b64 v[42:43], v42, v[24:25]
	v_lshrrev_b32_e32 v45, 3, v22
	v_sub_u32_e32 v43, 29, v50
	v_and_b32_e32 v42, 7, v42
	v_cmp_gt_u32_e32 vcc, 8, v22
	v_cndmask_b32_e32 v22, v45, v43, vcc
	v_cndmask_b32_e32 v42, v44, v42, vcc
	v_lshlrev_b32_e32 v43, 24, v24
	v_bfrev_b32_e32 v44, 60
	v_lshlrev_b32_e32 v42, 20, v42
	v_and_b32_e32 v43, 0x80000000, v43
	v_lshl_add_u32 v22, v22, 23, v44
	v_or3_b32 v22, v43, v22, v42
	v_lshrrev_b32_e32 v43, 16, v22
.LBB863_351:
	s_or_b64 exec, exec, s[10:11]
.LBB863_352:
	s_or_b64 exec, exec, s[8:9]
.LBB863_353:
	s_or_b64 exec, exec, s[2:3]
	v_lshrrev_b16_e32 v22, 8, v24
	v_cmp_ne_u16_e32 vcc, 0, v22
	s_and_saveexec_b64 s[2:3], vcc
	s_cbranch_execz .LBB863_359
; %bb.354:
	s_movk_i32 s8, 0x80
	v_cmp_ne_u16_e32 vcc, s8, v22
	v_mov_b32_e32 v23, 0xffff8000
	s_and_saveexec_b64 s[8:9], vcc
	s_cbranch_execz .LBB863_358
; %bb.355:
	s_movk_i32 s10, 0x7f
	v_and_b32_e32 v42, 0x7f, v22
	v_cmp_ne_u32_e32 vcc, s10, v42
	v_mov_b32_e32 v23, 0x7f80
	s_and_saveexec_b64 s[10:11], vcc
	s_cbranch_execz .LBB863_357
; %bb.356:
	v_and_b32_e32 v44, 7, v22
	v_ffbh_u32_e32 v23, v44
	v_min_u32_e32 v50, 32, v23
	v_subrev_u32_e32 v23, 28, v50
	v_lshlrev_b64 v[22:23], v23, v[22:23]
	v_lshrrev_b32_e32 v45, 3, v42
	v_sub_u32_e32 v23, 29, v50
	v_and_b32_e32 v22, 7, v22
	v_cmp_gt_u32_e32 vcc, 8, v42
	v_cndmask_b32_e32 v23, v45, v23, vcc
	v_cndmask_b32_e32 v22, v44, v22, vcc
	v_lshlrev_b32_e32 v42, 16, v24
	v_bfrev_b32_e32 v44, 60
	v_lshlrev_b32_e32 v22, 20, v22
	v_and_b32_e32 v42, 0x80000000, v42
	v_lshl_add_u32 v23, v23, 23, v44
	v_or3_b32 v22, v42, v23, v22
	v_lshrrev_b32_e32 v23, 16, v22
.LBB863_357:
	s_or_b64 exec, exec, s[10:11]
.LBB863_358:
	s_or_b64 exec, exec, s[8:9]
.LBB863_359:
	s_or_b64 exec, exec, s[2:3]
	s_movk_i32 s2, 0xff
	v_and_b32_sdwa v42, v24, s2 dst_sel:DWORD dst_unused:UNUSED_PAD src0_sel:WORD_1 src1_sel:DWORD
	v_lshrrev_b32_e32 v22, 16, v24
	v_cmp_ne_u16_e32 vcc, 0, v42
	v_mov_b32_e32 v44, 0
	v_mov_b32_e32 v45, 0
	s_and_saveexec_b64 s[2:3], vcc
	s_cbranch_execz .LBB863_365
; %bb.360:
	s_movk_i32 s8, 0x80
	v_cmp_ne_u16_e32 vcc, s8, v42
	v_mov_b32_e32 v45, 0xffff8000
	s_and_saveexec_b64 s[8:9], vcc
	s_cbranch_execz .LBB863_364
; %bb.361:
	v_bfe_u32 v42, v24, 16, 7
	s_movk_i32 s10, 0x7f
	v_cmp_ne_u32_e32 vcc, s10, v42
	v_mov_b32_e32 v45, 0x7f80
	s_and_saveexec_b64 s[10:11], vcc
	s_cbranch_execz .LBB863_363
; %bb.362:
	v_and_b32_e32 v45, 7, v22
	v_ffbh_u32_e32 v50, v45
	v_min_u32_e32 v53, 32, v50
	v_subrev_u32_e32 v50, 28, v53
	v_lshlrev_b64 v[50:51], v50, v[22:23]
	v_and_b32_e32 v50, 7, v50
	v_cmp_gt_u32_e32 vcc, 8, v42
	v_lshrrev_b32_e32 v52, 3, v42
	v_sub_u32_e32 v22, 29, v53
	v_cndmask_b32_e32 v42, v45, v50, vcc
	v_mov_b32_e32 v45, 24
	v_cndmask_b32_e32 v22, v52, v22, vcc
	v_lshlrev_b32_sdwa v45, v45, v24 dst_sel:DWORD dst_unused:UNUSED_PAD src0_sel:DWORD src1_sel:WORD_1
	v_bfrev_b32_e32 v50, 60
	v_lshlrev_b32_e32 v42, 20, v42
	v_and_b32_e32 v45, 0x80000000, v45
	v_lshl_add_u32 v22, v22, 23, v50
	v_or3_b32 v22, v45, v22, v42
	v_lshrrev_b32_e32 v45, 16, v22
.LBB863_363:
	s_or_b64 exec, exec, s[10:11]
.LBB863_364:
	s_or_b64 exec, exec, s[8:9]
.LBB863_365:
	s_or_b64 exec, exec, s[2:3]
	s_mov_b32 s2, 0xffffff
	v_cmp_lt_u32_e32 vcc, s2, v24
	s_and_saveexec_b64 s[2:3], vcc
	s_cbranch_execz .LBB863_371
; %bb.366:
	v_lshrrev_b32_e32 v22, 24, v24
	s_movk_i32 s8, 0x80
	v_cmp_ne_u32_e32 vcc, s8, v22
	v_mov_b32_e32 v44, 0xffff8000
	s_and_saveexec_b64 s[8:9], vcc
	s_cbranch_execz .LBB863_370
; %bb.367:
	v_bfe_u32 v24, v24, 24, 7
	s_movk_i32 s10, 0x7f
	v_cmp_ne_u32_e32 vcc, s10, v24
	v_mov_b32_e32 v44, 0x7f80
	s_and_saveexec_b64 s[10:11], vcc
	s_cbranch_execz .LBB863_369
; %bb.368:
	v_and_b32_e32 v42, 7, v22
	v_ffbh_u32_e32 v50, v42
	v_min_u32_e32 v52, 32, v50
	v_subrev_u32_e32 v50, 28, v52
	v_lshlrev_b64 v[50:51], v50, v[22:23]
	v_lshrrev_b32_e32 v44, 3, v24
	v_sub_u32_e32 v51, 29, v52
	v_and_b32_e32 v50, 7, v50
	v_cmp_gt_u32_e32 vcc, 8, v24
	v_cndmask_b32_e32 v24, v44, v51, vcc
	v_cndmask_b32_e32 v42, v42, v50, vcc
	v_lshlrev_b32_e32 v22, 24, v22
	v_bfrev_b32_e32 v44, 60
	v_lshlrev_b32_e32 v42, 20, v42
	v_and_b32_e32 v22, 0x80000000, v22
	v_lshl_add_u32 v24, v24, 23, v44
	v_or3_b32 v22, v22, v24, v42
	v_lshrrev_b32_e32 v44, 16, v22
.LBB863_369:
	s_or_b64 exec, exec, s[10:11]
.LBB863_370:
	s_or_b64 exec, exec, s[8:9]
.LBB863_371:
	s_or_b64 exec, exec, s[2:3]
	v_mov_b32_e32 v24, 0
	v_cmp_ne_u16_sdwa s[8:9], v25, v24 src0_sel:BYTE_0 src1_sel:DWORD
	v_mov_b32_e32 v50, 0
	s_and_saveexec_b64 s[2:3], s[8:9]
	s_cbranch_execz .LBB863_377
; %bb.372:
	s_movk_i32 s8, 0x80
	v_cmp_ne_u16_sdwa s[10:11], v25, s8 src0_sel:BYTE_0 src1_sel:DWORD
	v_mov_b32_e32 v50, 0xffff8000
	s_and_saveexec_b64 s[8:9], s[10:11]
	s_cbranch_execz .LBB863_376
; %bb.373:
	s_movk_i32 s10, 0x7f
	v_and_b32_e32 v22, 0x7f, v25
	v_cmp_ne_u32_e32 vcc, s10, v22
	v_mov_b32_e32 v50, 0x7f80
	s_and_saveexec_b64 s[10:11], vcc
	s_cbranch_execz .LBB863_375
; %bb.374:
	v_and_b32_e32 v52, 7, v25
	v_ffbh_u32_e32 v50, v52
	v_min_u32_e32 v54, 32, v50
	v_mov_b32_e32 v42, v25
	v_subrev_u32_e32 v50, 28, v54
	v_lshlrev_b64 v[50:51], v50, v[42:43]
	v_lshrrev_b32_e32 v53, 3, v22
	v_sub_u32_e32 v42, 29, v54
	v_and_b32_e32 v50, 7, v50
	v_cmp_gt_u32_e32 vcc, 8, v22
	v_cndmask_b32_e32 v22, v53, v42, vcc
	v_cndmask_b32_e32 v42, v52, v50, vcc
	v_lshlrev_b32_e32 v50, 24, v25
	v_bfrev_b32_e32 v51, 60
	v_lshlrev_b32_e32 v42, 20, v42
	v_and_b32_e32 v50, 0x80000000, v50
	v_lshl_add_u32 v22, v22, 23, v51
	v_or3_b32 v22, v50, v22, v42
	v_lshrrev_b32_e32 v50, 16, v22
.LBB863_375:
	s_or_b64 exec, exec, s[10:11]
.LBB863_376:
	s_or_b64 exec, exec, s[8:9]
.LBB863_377:
	s_or_b64 exec, exec, s[2:3]
	v_lshrrev_b16_e32 v22, 8, v25
	v_cmp_ne_u16_e32 vcc, 0, v22
	s_and_saveexec_b64 s[2:3], vcc
	s_cbranch_execz .LBB863_383
; %bb.378:
	s_movk_i32 s8, 0x80
	v_cmp_ne_u16_e32 vcc, s8, v22
	v_mov_b32_e32 v24, 0xffff8000
	s_and_saveexec_b64 s[8:9], vcc
	s_cbranch_execz .LBB863_382
; %bb.379:
	s_movk_i32 s10, 0x7f
	v_and_b32_e32 v42, 0x7f, v22
	v_cmp_ne_u32_e32 vcc, s10, v42
	v_mov_b32_e32 v24, 0x7f80
	s_and_saveexec_b64 s[10:11], vcc
	s_cbranch_execz .LBB863_381
; %bb.380:
	v_and_b32_e32 v24, 7, v22
	v_ffbh_u32_e32 v52, v24
	v_min_u32_e32 v54, 32, v52
	v_subrev_u32_e32 v52, 28, v54
	v_lshlrev_b64 v[52:53], v52, v[22:23]
	v_lshrrev_b32_e32 v51, 3, v42
	v_sub_u32_e32 v22, 29, v54
	v_and_b32_e32 v52, 7, v52
	v_cmp_gt_u32_e32 vcc, 8, v42
	v_cndmask_b32_e32 v22, v51, v22, vcc
	v_cndmask_b32_e32 v24, v24, v52, vcc
	v_lshlrev_b32_e32 v42, 16, v25
	v_bfrev_b32_e32 v51, 60
	v_lshlrev_b32_e32 v24, 20, v24
	v_and_b32_e32 v42, 0x80000000, v42
	v_lshl_add_u32 v22, v22, 23, v51
	v_or3_b32 v22, v42, v22, v24
	v_lshrrev_b32_e32 v24, 16, v22
.LBB863_381:
	s_or_b64 exec, exec, s[10:11]
.LBB863_382:
	s_or_b64 exec, exec, s[8:9]
.LBB863_383:
	s_or_b64 exec, exec, s[2:3]
	s_movk_i32 s2, 0xff
	v_and_b32_sdwa v42, v25, s2 dst_sel:DWORD dst_unused:UNUSED_PAD src0_sel:WORD_1 src1_sel:DWORD
	v_lshrrev_b32_e32 v22, 16, v25
	v_cmp_ne_u16_e32 vcc, 0, v42
	v_mov_b32_e32 v51, 0
	v_mov_b32_e32 v52, 0
	s_and_saveexec_b64 s[2:3], vcc
	s_cbranch_execz .LBB863_389
; %bb.384:
	s_movk_i32 s8, 0x80
	v_cmp_ne_u16_e32 vcc, s8, v42
	v_mov_b32_e32 v52, 0xffff8000
	s_and_saveexec_b64 s[8:9], vcc
	s_cbranch_execz .LBB863_388
; %bb.385:
	v_bfe_u32 v42, v25, 16, 7
	s_movk_i32 s10, 0x7f
	v_cmp_ne_u32_e32 vcc, s10, v42
	v_mov_b32_e32 v52, 0x7f80
	s_and_saveexec_b64 s[10:11], vcc
	s_cbranch_execz .LBB863_387
; %bb.386:
	v_and_b32_e32 v54, 7, v22
	v_ffbh_u32_e32 v52, v54
	v_min_u32_e32 v56, 32, v52
	v_subrev_u32_e32 v52, 28, v56
	v_lshlrev_b64 v[52:53], v52, v[22:23]
	v_and_b32_e32 v52, 7, v52
	v_cmp_gt_u32_e32 vcc, 8, v42
	v_lshrrev_b32_e32 v55, 3, v42
	v_sub_u32_e32 v22, 29, v56
	v_cndmask_b32_e32 v42, v54, v52, vcc
	v_mov_b32_e32 v52, 24
	v_cndmask_b32_e32 v22, v55, v22, vcc
	v_lshlrev_b32_sdwa v52, v52, v25 dst_sel:DWORD dst_unused:UNUSED_PAD src0_sel:DWORD src1_sel:WORD_1
	v_bfrev_b32_e32 v53, 60
	v_lshlrev_b32_e32 v42, 20, v42
	v_and_b32_e32 v52, 0x80000000, v52
	v_lshl_add_u32 v22, v22, 23, v53
	v_or3_b32 v22, v52, v22, v42
	v_lshrrev_b32_e32 v52, 16, v22
.LBB863_387:
	s_or_b64 exec, exec, s[10:11]
.LBB863_388:
	s_or_b64 exec, exec, s[8:9]
.LBB863_389:
	s_or_b64 exec, exec, s[2:3]
	s_mov_b32 s2, 0xffffff
	v_and_b32_e32 v42, 63, v0
	v_cmp_lt_u32_e32 vcc, s2, v25
	s_and_saveexec_b64 s[2:3], vcc
	s_cbranch_execz .LBB863_395
; %bb.390:
	v_lshrrev_b32_e32 v22, 24, v25
	s_movk_i32 s8, 0x80
	v_cmp_ne_u32_e32 vcc, s8, v22
	v_mov_b32_e32 v51, 0xffff8000
	s_and_saveexec_b64 s[8:9], vcc
	s_cbranch_execz .LBB863_394
; %bb.391:
	v_bfe_u32 v25, v25, 24, 7
	s_movk_i32 s10, 0x7f
	v_cmp_ne_u32_e32 vcc, s10, v25
	v_mov_b32_e32 v51, 0x7f80
	s_and_saveexec_b64 s[10:11], vcc
	s_cbranch_execz .LBB863_393
; %bb.392:
	v_and_b32_e32 v51, 7, v22
	v_ffbh_u32_e32 v54, v51
	v_min_u32_e32 v56, 32, v54
	v_subrev_u32_e32 v54, 28, v56
	v_lshlrev_b64 v[54:55], v54, v[22:23]
	v_lshrrev_b32_e32 v53, 3, v25
	v_sub_u32_e32 v55, 29, v56
	v_and_b32_e32 v54, 7, v54
	v_cmp_gt_u32_e32 vcc, 8, v25
	v_cndmask_b32_e32 v25, v53, v55, vcc
	v_cndmask_b32_e32 v51, v51, v54, vcc
	v_lshlrev_b32_e32 v22, 24, v22
	v_bfrev_b32_e32 v53, 60
	v_lshlrev_b32_e32 v51, 20, v51
	v_and_b32_e32 v22, 0x80000000, v22
	v_lshl_add_u32 v25, v25, 23, v53
	v_or3_b32 v22, v22, v25, v51
	v_lshrrev_b32_e32 v51, 16, v22
.LBB863_393:
	s_or_b64 exec, exec, s[10:11]
.LBB863_394:
	s_or_b64 exec, exec, s[8:9]
.LBB863_395:
	s_or_b64 exec, exec, s[2:3]
	s_mov_b32 s3, 0x5040100
	v_perm_b32 v45, v44, v45, s3
	v_perm_b32 v44, v23, v43, s3
	s_load_dword s2, s[4:5], 0x1c
	s_mov_b32 s46, 0xff7fffff
	s_waitcnt lgkmcnt(0)
	v_mfma_f32_16x16x16bf16_1k v[26:29], v[44:45], v[18:19], v[26:29]
	v_perm_b32 v19, v51, v52, s3
	v_perm_b32 v18, v24, v50, s3
	v_and_b32_e32 v24, 0xc0, v0
	v_mov_b32_e32 v22, s2
	v_add_u32_e32 v24, s20, v24
	v_mul_f32_e32 v54, s12, v22
	v_lshl_or_b32 v43, v1, 2, v24
	v_mfma_f32_16x16x16bf16_1k v[18:21], v[18:19], v[20:21], v[26:29]
	v_pk_mul_f32 v[22:23], v[54:55], v[36:37] op_sel_hi:[0,1]
	v_pk_mul_f32 v[36:37], v[54:55], v[40:41] op_sel_hi:[0,1]
	;; [unrolled: 1-line block ×4, first 2 shown]
	v_mov_b32_e32 v44, 0xff7fffff
	v_cmp_gt_i32_e64 s[26:27], s33, v43
	v_pk_mul_f32 v[38:39], v[54:55], v[38:39] op_sel_hi:[0,1]
	s_nop 3
	v_pk_mul_f32 v[32:33], v[54:55], v[18:19] op_sel_hi:[0,1]
	v_or_b32_e32 v19, 1, v43
	v_cmp_gt_i32_e64 s[28:29], s33, v19
	v_cndmask_b32_e64 v18, v44, v30, s[26:27]
	v_cndmask_b32_e64 v19, v44, v31, s[28:29]
	v_pk_mul_f32 v[24:25], v[54:55], v[20:21] op_sel_hi:[0,1]
	v_max3_f32 v18, v18, s46, v19
	v_or_b32_e32 v19, 2, v43
	v_or_b32_e32 v20, 3, v43
	v_cmp_gt_i32_e64 s[30:31], s33, v19
	v_cmp_gt_i32_e64 s[34:35], s33, v20
	v_cndmask_b32_e64 v19, v44, v40, s[30:31]
	v_cndmask_b32_e64 v20, v44, v41, s[34:35]
	v_max3_f32 v18, v18, v19, v20
	v_or_b32_e32 v19, 16, v43
	v_or_b32_e32 v20, 17, v43
	v_cmp_gt_i32_e64 s[36:37], s33, v19
	v_cmp_gt_i32_e64 s[38:39], s33, v20
	v_cndmask_b32_e64 v19, v44, v38, s[36:37]
	v_cndmask_b32_e64 v20, v44, v39, s[38:39]
	;; [unrolled: 7-line block ×3, first 2 shown]
	v_max3_f32 v18, v18, v19, v20
	v_or_b32_e32 v19, 32, v43
	v_or_b32_e32 v20, 33, v43
	v_pk_mul_f32 v[34:35], v[54:55], v[34:35] op_sel_hi:[0,1]
	v_cmp_gt_i32_e64 s[16:17], s33, v19
	v_cmp_gt_i32_e64 s[18:19], s33, v20
	v_cndmask_b32_e64 v19, v44, v34, s[16:17]
	v_cndmask_b32_e64 v20, v44, v35, s[18:19]
	v_max3_f32 v18, v18, v19, v20
	v_or_b32_e32 v19, 34, v43
	v_or_b32_e32 v20, 35, v43
	v_cmp_gt_i32_e64 s[12:13], s33, v19
	v_cmp_gt_i32_e64 s[14:15], s33, v20
	v_cndmask_b32_e64 v19, v44, v22, s[12:13]
	v_cndmask_b32_e64 v20, v44, v23, s[14:15]
	v_max3_f32 v18, v18, v19, v20
	v_or_b32_e32 v19, 48, v43
	v_or_b32_e32 v20, 49, v43
	v_cmp_gt_i32_e64 s[8:9], s33, v19
	v_cmp_gt_i32_e64 s[10:11], s33, v20
	v_cndmask_b32_e64 v19, v44, v32, s[8:9]
	v_cndmask_b32_e64 v20, v44, v33, s[10:11]
	v_max3_f32 v18, v18, v19, v20
	v_or_b32_e32 v19, 50, v43
	v_or_b32_e32 v20, 51, v43
	v_cmp_gt_i32_e32 vcc, s33, v19
	v_cmp_gt_i32_e64 s[2:3], s33, v20
	v_cndmask_b32_e32 v19, v44, v24, vcc
	v_cndmask_b32_e64 v20, v44, v25, s[2:3]
	v_max3_f32 v18, v18, v19, v20
	v_mbcnt_lo_u32_b32 v19, -1, 0
	v_mbcnt_hi_u32_b32 v19, -1, v19
	v_and_b32_e32 v20, 64, v19
	v_add_u32_e32 v20, 64, v20
	v_xor_b32_e32 v21, 32, v19
	v_cmp_lt_i32_e64 s[40:41], v21, v20
	v_cndmask_b32_e64 v21, v19, v21, s[40:41]
	v_lshlrev_b32_e32 v44, 2, v21
	ds_bpermute_b32 v21, v44, v18
	s_barrier
	s_waitcnt lgkmcnt(0)
	v_max_f32_e32 v21, v21, v21
	v_max_f32_e32 v18, v18, v21
	v_xor_b32_e32 v21, 16, v19
	v_cmp_lt_i32_e64 s[40:41], v21, v20
	v_cndmask_b32_e64 v19, v19, v21, s[40:41]
	v_lshlrev_b32_e32 v45, 2, v19
	ds_bpermute_b32 v19, v45, v18
	s_waitcnt lgkmcnt(0)
	v_max_f32_e32 v19, v19, v19
	v_max_f32_e32 v43, v18, v19
	v_sub_f32_e32 v21, v40, v43
	v_sub_f32_e32 v26, v41, v43
	v_mul_f32_e32 v21, 0x3fb8aa3b, v21
	v_mul_f32_e32 v26, 0x3fb8aa3b, v26
	v_sub_f32_e32 v18, v30, v43
	v_exp_f32_e32 v21, v21
	v_exp_f32_e32 v26, v26
	v_mul_f32_e32 v18, 0x3fb8aa3b, v18
	v_sub_f32_e32 v19, v31, v43
	v_exp_f32_e32 v18, v18
	v_mul_f32_e32 v19, 0x3fb8aa3b, v19
	v_exp_f32_e32 v19, v19
	v_cndmask_b32_e64 v28, 0, v21, s[30:31]
	v_cndmask_b32_e64 v29, 0, v26, s[34:35]
	v_sub_f32_e32 v21, v38, v43
	v_sub_f32_e32 v26, v39, v43
	v_mul_f32_e32 v21, 0x3fb8aa3b, v21
	v_mul_f32_e32 v26, 0x3fb8aa3b, v26
	v_cndmask_b32_e64 v18, 0, v18, s[26:27]
	v_exp_f32_e32 v21, v21
	v_exp_f32_e32 v26, v26
	v_add_f32_e32 v20, 0, v18
	v_cndmask_b32_e64 v19, 0, v19, s[28:29]
	v_add_f32_e32 v20, v20, v19
	v_add_f32_e32 v20, v20, v28
	;; [unrolled: 1-line block ×3, first 2 shown]
	v_cndmask_b32_e64 v20, 0, v21, s[36:37]
	v_cndmask_b32_e64 v21, 0, v26, s[38:39]
	v_sub_f32_e32 v26, v36, v43
	v_mul_f32_e32 v26, 0x3fb8aa3b, v26
	v_exp_f32_e32 v26, v26
	v_sub_f32_e32 v30, v37, v43
	v_add_f32_e32 v27, v27, v20
	v_mul_f32_e32 v30, 0x3fb8aa3b, v30
	v_exp_f32_e32 v31, v30
	v_add_f32_e32 v27, v27, v21
	v_cndmask_b32_e64 v30, 0, v26, s[20:21]
	v_add_f32_e32 v26, v27, v30
	v_sub_f32_e32 v27, v34, v43
	v_mul_f32_e32 v27, 0x3fb8aa3b, v27
	v_sub_f32_e32 v34, v35, v43
	v_exp_f32_e32 v27, v27
	v_mul_f32_e32 v34, 0x3fb8aa3b, v34
	v_sub_f32_e32 v22, v22, v43
	v_exp_f32_e32 v34, v34
	;; [unrolled: 3-line block ×3, first 2 shown]
	v_mul_f32_e32 v23, 0x3fb8aa3b, v23
	v_cndmask_b32_e64 v31, 0, v31, s[22:23]
	v_exp_f32_e32 v23, v23
	v_add_f32_e32 v35, v26, v31
	v_cndmask_b32_e64 v26, 0, v27, s[16:17]
	v_add_f32_e32 v35, v35, v26
	v_cndmask_b32_e64 v27, 0, v34, s[18:19]
	;; [unrolled: 2-line block ×4, first 2 shown]
	v_sub_f32_e32 v23, v32, v43
	v_mul_f32_e32 v23, 0x3fb8aa3b, v23
	v_sub_f32_e32 v32, v33, v43
	v_exp_f32_e32 v23, v23
	v_mul_f32_e32 v32, 0x3fb8aa3b, v32
	v_sub_f32_e32 v24, v24, v43
	v_exp_f32_e32 v32, v32
	;; [unrolled: 3-line block ×3, first 2 shown]
	v_mul_f32_e32 v25, 0x3fb8aa3b, v25
	v_exp_f32_e32 v25, v25
	v_add_f32_e32 v33, v22, v35
	v_cndmask_b32_e64 v22, 0, v23, s[8:9]
	v_add_f32_e32 v33, v33, v22
	v_cndmask_b32_e64 v23, 0, v32, s[10:11]
	v_add_f32_e32 v32, v33, v23
	v_cndmask_b32_e32 v24, 0, v24, vcc
	v_add_f32_e32 v32, v32, v24
	v_cndmask_b32_e64 v25, 0, v25, s[2:3]
	v_add_f32_e32 v32, v32, v25
	ds_bpermute_b32 v33, v44, v32
	v_cmp_gt_u32_e32 vcc, 16, v42
	s_waitcnt lgkmcnt(0)
	v_add_f32_e32 v32, v32, v33
	ds_bpermute_b32 v36, v45, v32
	v_lshlrev_b32_e32 v33, 2, v49
	s_and_saveexec_b64 s[2:3], vcc
	s_cbranch_execz .LBB863_397
; %bb.396:
	s_waitcnt lgkmcnt(0)
	v_add_f32_e32 v32, v32, v36
	v_lshl_or_b32 v36, v48, 6, v33
	ds_write2st64_b32 v36, v43, v32 offset1:1
.LBB863_397:
	s_or_b64 exec, exec, s[2:3]
	s_waitcnt lgkmcnt(0)
	s_barrier
	ds_read2_b32 v[36:37], v33 offset1:16
	ds_read2_b32 v[38:39], v33 offset0:32 offset1:48
	ds_read2_b32 v[40:41], v33 offset0:64 offset1:80
	s_lshl_b32 s12, s45, 1
	s_waitcnt lgkmcnt(2)
	v_max3_f32 v32, v36, s46, v37
	s_waitcnt lgkmcnt(1)
	v_max3_f32 v32, v32, v38, v39
	v_sub_f32_e32 v36, v36, v32
	v_mul_f32_e32 v36, 0x3fb8aa3b, v36
	v_exp_f32_e32 v43, v36
	v_sub_f32_e32 v36, v37, v32
	v_mul_f32_e32 v36, 0x3fb8aa3b, v36
	v_exp_f32_e32 v44, v36
	;; [unrolled: 3-line block ×3, first 2 shown]
	ds_read2_b32 v[36:37], v33 offset0:96 offset1:112
	v_sub_f32_e32 v33, v39, v32
	v_mul_f32_e32 v33, 0x3fb8aa3b, v33
	v_exp_f32_e32 v39, v33
	s_waitcnt lgkmcnt(1)
	v_fma_f32 v33, v43, v40, 0
	v_fmac_f32_e32 v33, v44, v41
	s_waitcnt lgkmcnt(0)
	v_fmac_f32_e32 v33, v38, v36
	v_fmac_f32_e32 v33, v39, v37
	v_add_f32_e32 v36, 0x358637bd, v33
	v_div_scale_f32 v37, s[2:3], v36, v36, 1.0
	v_rcp_f32_e32 v40, v37
	s_movk_i32 s2, 0x7fff
	s_mov_b32 s3, 0x7060302
	v_fma_f32 v41, -v37, v40, 1.0
	v_fmac_f32_e32 v40, v41, v40
	v_div_scale_f32 v41, vcc, 1.0, v36, 1.0
	v_mul_f32_e32 v45, v41, v40
	v_fma_f32 v50, -v37, v45, v41
	v_fmac_f32_e32 v45, v50, v40
	v_fma_f32 v37, -v37, v45, v41
	v_div_fmas_f32 v37, v37, v40, v45
	v_cmp_eq_u32_e32 vcc, 1, v48
	v_div_fixup_f32 v36, v37, v36, 1.0
	v_cndmask_b32_e32 v37, v43, v44, vcc
	v_cmp_eq_u32_e32 vcc, 2, v48
	v_cndmask_b32_e32 v37, v37, v38, vcc
	v_cmp_eq_u32_e32 vcc, 3, v48
	v_cndmask_b32_e32 v37, v37, v39, vcc
	v_mul_f32_e32 v36, v37, v36
	v_pk_mul_f32 v[18:19], v[36:37], v[18:19] op_sel_hi:[0,1]
	v_pk_mul_f32 v[28:29], v[36:37], v[28:29] op_sel_hi:[0,1]
	v_bfe_u32 v37, v19, 16, 1
	v_bfe_u32 v38, v18, 16, 1
	v_add3_u32 v18, v18, v38, s2
	v_add3_u32 v19, v19, v37, s2
	v_perm_b32 v38, v19, v18, s3
	v_bfe_u32 v18, v29, 16, 1
	v_bfe_u32 v19, v28, 16, 1
	v_add3_u32 v19, v28, v19, s2
	v_add3_u32 v18, v29, v18, s2
	v_perm_b32 v39, v18, v19, s3
	v_lshlrev_b32_e32 v18, 3, v1
	v_lshlrev_b32_e32 v19, 5, v49
	;; [unrolled: 1-line block ×3, first 2 shown]
	v_pk_mul_f32 v[20:21], v[36:37], v[20:21] op_sel_hi:[0,1]
	v_or3_b32 v28, v28, v19, v18
	v_bfe_u32 v18, v21, 16, 1
	v_bfe_u32 v29, v20, 16, 1
	v_pk_mul_f32 v[30:31], v[36:37], v[30:31] op_sel_hi:[0,1]
	v_add3_u32 v20, v20, v29, s2
	v_add3_u32 v18, v21, v18, s2
	v_perm_b32 v20, v18, v20, s3
	v_bfe_u32 v18, v31, 16, 1
	v_bfe_u32 v21, v30, 16, 1
	v_add3_u32 v21, v30, v21, s2
	v_add3_u32 v18, v31, v18, s2
	v_pk_mul_f32 v[26:27], v[36:37], v[26:27] op_sel_hi:[0,1]
	v_perm_b32 v21, v18, v21, s3
	v_bfe_u32 v18, v27, 16, 1
	v_bfe_u32 v29, v26, 16, 1
	s_barrier
	ds_write2st64_b64 v28, v[38:39], v[20:21] offset1:1
	v_pk_mul_f32 v[20:21], v[36:37], v[34:35] op_sel_hi:[0,1]
	v_add3_u32 v26, v26, v29, s2
	v_add3_u32 v18, v27, v18, s2
	v_perm_b32 v26, v18, v26, s3
	v_bfe_u32 v18, v21, 16, 1
	v_bfe_u32 v27, v20, 16, 1
	v_add3_u32 v20, v20, v27, s2
	v_add3_u32 v18, v21, v18, s2
	v_pk_mul_f32 v[22:23], v[36:37], v[22:23] op_sel_hi:[0,1]
	v_perm_b32 v27, v18, v20, s3
	v_pk_mul_f32 v[20:21], v[36:37], v[24:25] op_sel_hi:[0,1]
	v_bfe_u32 v18, v23, 16, 1
	v_bfe_u32 v24, v22, 16, 1
	v_add3_u32 v22, v22, v24, s2
	v_add3_u32 v18, v23, v18, s2
	v_perm_b32 v22, v18, v22, s3
	v_bfe_u32 v18, v21, 16, 1
	v_bfe_u32 v23, v20, 16, 1
	v_add3_u32 v20, v20, v23, s2
	v_add3_u32 v18, v21, v18, s2
	v_perm_b32 v23, v18, v20, s3
	v_cmp_gt_u32_e32 vcc, 2, v0
	ds_write2st64_b64 v28, v[26:27], v[22:23] offset0:2 offset1:3
	s_and_saveexec_b64 s[2:3], vcc
	s_cbranch_execz .LBB863_399
; %bb.398:
	v_or_b32_e32 v20, s25, v0
	v_mov_b32_e32 v21, 0
	v_mov_b32_e32 v18, s12
	v_mad_u64_u32 v[22:23], s[14:15], s6, v18, v[20:21]
	v_mov_b32_e32 v20, s24
	s_load_dwordx4 s[8:11], s[4:5], 0x58
	s_mul_i32 s7, s7, s12
	v_mad_u64_u32 v[20:21], s[14:15], v22, s44, v[20:21]
	v_add_u32_e32 v23, s7, v23
	v_mov_b32_e32 v18, v21
	v_mad_u64_u32 v[22:23], s[14:15], v23, s44, v[18:19]
	v_mov_b32_e32 v21, v22
	v_lshlrev_b64 v[20:21], 2, v[20:21]
	s_waitcnt lgkmcnt(0)
	v_mov_b32_e32 v18, s11
	v_add_co_u32_e32 v22, vcc, s10, v20
	v_addc_co_u32_e32 v23, vcc, v18, v21, vcc
	v_mov_b32_e32 v18, s9
	v_add_co_u32_e32 v20, vcc, s8, v20
	v_addc_co_u32_e32 v21, vcc, v18, v21, vcc
	global_store_dword v[22:23], v32, off
	global_store_dword v[20:21], v33, off
.LBB863_399:
	s_or_b64 exec, exec, s[2:3]
	v_mov_b32_e32 v20, 0
	s_waitcnt vmcnt(3)
	v_cmp_ne_u16_sdwa s[8:9], v14, v20 src0_sel:BYTE_0 src1_sel:DWORD
	v_mov_b32_e32 v21, 0
	s_waitcnt lgkmcnt(0)
	s_barrier
	s_and_saveexec_b64 s[2:3], s[8:9]
	s_cbranch_execz .LBB863_405
; %bb.400:
	s_movk_i32 s7, 0x80
	v_cmp_ne_u16_sdwa s[10:11], v14, s7 src0_sel:BYTE_0 src1_sel:DWORD
	v_mov_b32_e32 v21, 0xffff8000
	s_and_saveexec_b64 s[8:9], s[10:11]
	s_cbranch_execz .LBB863_404
; %bb.401:
	s_movk_i32 s7, 0x7f
	v_and_b32_e32 v18, 0x7f, v14
	v_cmp_ne_u32_e32 vcc, s7, v18
	v_mov_b32_e32 v21, 0x7f80
	s_and_saveexec_b64 s[10:11], vcc
	s_cbranch_execz .LBB863_403
; %bb.402:
	v_and_b32_e32 v21, 7, v14
	v_ffbh_u32_e32 v22, v21
	v_min_u32_e32 v25, 32, v22
	v_subrev_u32_e32 v22, 28, v25
	v_lshlrev_b64 v[22:23], v22, v[14:15]
	v_lshrrev_b32_e32 v24, 3, v18
	v_sub_u32_e32 v23, 29, v25
	v_and_b32_e32 v22, 7, v22
	v_cmp_gt_u32_e32 vcc, 8, v18
	v_cndmask_b32_e32 v18, v24, v23, vcc
	v_cndmask_b32_e32 v21, v21, v22, vcc
	v_lshlrev_b32_e32 v22, 24, v14
	v_bfrev_b32_e32 v23, 60
	v_lshlrev_b32_e32 v21, 20, v21
	v_and_b32_e32 v22, 0x80000000, v22
	v_lshl_add_u32 v18, v18, 23, v23
	v_or3_b32 v18, v22, v18, v21
	v_lshrrev_b32_e32 v21, 16, v18
.LBB863_403:
	s_or_b64 exec, exec, s[10:11]
.LBB863_404:
	s_or_b64 exec, exec, s[8:9]
.LBB863_405:
	s_or_b64 exec, exec, s[2:3]
	v_lshrrev_b16_e32 v18, 8, v14
	v_cmp_ne_u16_e32 vcc, 0, v18
	s_and_saveexec_b64 s[2:3], vcc
	s_cbranch_execz .LBB863_411
; %bb.406:
	s_movk_i32 s7, 0x80
	v_cmp_ne_u16_e32 vcc, s7, v18
	v_mov_b32_e32 v20, 0xffff8000
	s_and_saveexec_b64 s[8:9], vcc
	s_cbranch_execz .LBB863_410
; %bb.407:
	s_movk_i32 s7, 0x7f
	v_and_b32_e32 v22, 0x7f, v18
	v_cmp_ne_u32_e32 vcc, s7, v22
	v_mov_b32_e32 v20, 0x7f80
	s_and_saveexec_b64 s[10:11], vcc
	s_cbranch_execz .LBB863_409
; %bb.408:
	v_and_b32_e32 v20, 7, v18
	v_ffbh_u32_e32 v24, v20
	v_min_u32_e32 v26, 32, v24
	v_subrev_u32_e32 v24, 28, v26
	v_lshlrev_b64 v[24:25], v24, v[18:19]
	v_lshrrev_b32_e32 v23, 3, v22
	v_sub_u32_e32 v18, 29, v26
	v_and_b32_e32 v24, 7, v24
	v_cmp_gt_u32_e32 vcc, 8, v22
	v_cndmask_b32_e32 v18, v23, v18, vcc
	v_cndmask_b32_e32 v20, v20, v24, vcc
	v_lshlrev_b32_e32 v22, 16, v14
	v_bfrev_b32_e32 v23, 60
	v_lshlrev_b32_e32 v20, 20, v20
	v_and_b32_e32 v22, 0x80000000, v22
	v_lshl_add_u32 v18, v18, 23, v23
	v_or3_b32 v18, v22, v18, v20
	v_lshrrev_b32_e32 v20, 16, v18
.LBB863_409:
	s_or_b64 exec, exec, s[10:11]
.LBB863_410:
	s_or_b64 exec, exec, s[8:9]
.LBB863_411:
	s_or_b64 exec, exec, s[2:3]
	s_movk_i32 s2, 0xff
	v_and_b32_sdwa v24, v14, s2 dst_sel:DWORD dst_unused:UNUSED_PAD src0_sel:WORD_1 src1_sel:DWORD
	v_lshrrev_b32_e32 v18, 16, v14
	v_cmp_ne_u16_e32 vcc, 0, v24
	v_mov_b32_e32 v22, 0
	v_mov_b32_e32 v23, 0
	s_and_saveexec_b64 s[2:3], vcc
	s_cbranch_execz .LBB863_417
; %bb.412:
	s_movk_i32 s7, 0x80
	v_cmp_ne_u16_e32 vcc, s7, v24
	v_mov_b32_e32 v23, 0xffff8000
	s_and_saveexec_b64 s[8:9], vcc
	s_cbranch_execz .LBB863_416
; %bb.413:
	v_bfe_u32 v24, v14, 16, 7
	s_movk_i32 s7, 0x7f
	v_cmp_ne_u32_e32 vcc, s7, v24
	v_mov_b32_e32 v23, 0x7f80
	s_and_saveexec_b64 s[10:11], vcc
	s_cbranch_execz .LBB863_415
; %bb.414:
	v_and_b32_e32 v23, 7, v18
	v_ffbh_u32_e32 v26, v23
	v_min_u32_e32 v29, 32, v26
	v_subrev_u32_e32 v26, 28, v29
	v_lshlrev_b64 v[26:27], v26, v[18:19]
	v_lshrrev_b32_e32 v25, 3, v24
	v_sub_u32_e32 v18, 29, v29
	v_and_b32_e32 v26, 7, v26
	v_cmp_gt_u32_e32 vcc, 8, v24
	v_mov_b32_e32 v24, 24
	v_cndmask_b32_e32 v18, v25, v18, vcc
	v_cndmask_b32_e32 v23, v23, v26, vcc
	v_lshlrev_b32_sdwa v24, v24, v14 dst_sel:DWORD dst_unused:UNUSED_PAD src0_sel:DWORD src1_sel:WORD_1
	v_bfrev_b32_e32 v25, 60
	v_lshlrev_b32_e32 v23, 20, v23
	v_and_b32_e32 v24, 0x80000000, v24
	v_lshl_add_u32 v18, v18, 23, v25
	v_or3_b32 v18, v24, v18, v23
	v_lshrrev_b32_e32 v23, 16, v18
.LBB863_415:
	s_or_b64 exec, exec, s[10:11]
.LBB863_416:
	s_or_b64 exec, exec, s[8:9]
.LBB863_417:
	s_or_b64 exec, exec, s[2:3]
	s_mov_b32 s2, 0xffffff
	v_cmp_lt_u32_e32 vcc, s2, v14
	s_and_saveexec_b64 s[2:3], vcc
	s_cbranch_execz .LBB863_423
; %bb.418:
	v_lshrrev_b32_e32 v18, 24, v14
	s_movk_i32 s7, 0x80
	v_cmp_ne_u32_e32 vcc, s7, v18
	v_mov_b32_e32 v22, 0xffff8000
	s_and_saveexec_b64 s[8:9], vcc
	s_cbranch_execz .LBB863_422
; %bb.419:
	v_bfe_u32 v14, v14, 24, 7
	s_movk_i32 s7, 0x7f
	v_cmp_ne_u32_e32 vcc, s7, v14
	v_mov_b32_e32 v22, 0x7f80
	s_and_saveexec_b64 s[10:11], vcc
	s_cbranch_execz .LBB863_421
; %bb.420:
	v_and_b32_e32 v22, 7, v18
	v_ffbh_u32_e32 v24, v22
	v_min_u32_e32 v27, 32, v24
	v_subrev_u32_e32 v24, 28, v27
	v_lshlrev_b64 v[24:25], v24, v[18:19]
	v_lshrrev_b32_e32 v26, 3, v14
	v_sub_u32_e32 v25, 29, v27
	v_and_b32_e32 v24, 7, v24
	v_cmp_gt_u32_e32 vcc, 8, v14
	v_cndmask_b32_e32 v14, v26, v25, vcc
	v_cndmask_b32_e32 v22, v22, v24, vcc
	v_lshlrev_b32_e32 v18, 24, v18
	v_bfrev_b32_e32 v24, 60
	v_lshlrev_b32_e32 v22, 20, v22
	v_and_b32_e32 v18, 0x80000000, v18
	v_lshl_add_u32 v14, v14, 23, v24
	v_or3_b32 v14, v18, v14, v22
	v_lshrrev_b32_e32 v22, 16, v14
.LBB863_421:
	s_or_b64 exec, exec, s[10:11]
.LBB863_422:
	s_or_b64 exec, exec, s[8:9]
.LBB863_423:
	s_or_b64 exec, exec, s[2:3]
	v_mov_b32_e32 v18, 0
	v_cmp_ne_u16_sdwa s[8:9], v15, v18 src0_sel:BYTE_0 src1_sel:DWORD
	v_mov_b32_e32 v24, 0
	s_and_saveexec_b64 s[2:3], s[8:9]
	s_cbranch_execz .LBB863_429
; %bb.424:
	s_movk_i32 s7, 0x80
	v_cmp_ne_u16_sdwa s[10:11], v15, s7 src0_sel:BYTE_0 src1_sel:DWORD
	v_mov_b32_e32 v24, 0xffff8000
	s_and_saveexec_b64 s[8:9], s[10:11]
	s_cbranch_execz .LBB863_428
; %bb.425:
	s_movk_i32 s7, 0x7f
	v_and_b32_e32 v14, 0x7f, v15
	v_cmp_ne_u32_e32 vcc, s7, v14
	v_mov_b32_e32 v24, 0x7f80
	s_and_saveexec_b64 s[10:11], vcc
	s_cbranch_execz .LBB863_427
; %bb.426:
	v_and_b32_e32 v26, 7, v15
	v_ffbh_u32_e32 v25, v26
	v_min_u32_e32 v29, 32, v25
	v_mov_b32_e32 v24, v15
	v_subrev_u32_e32 v25, 28, v29
	v_lshlrev_b64 v[24:25], v25, v[24:25]
	v_lshrrev_b32_e32 v27, 3, v14
	v_sub_u32_e32 v25, 29, v29
	v_and_b32_e32 v24, 7, v24
	v_cmp_gt_u32_e32 vcc, 8, v14
	v_cndmask_b32_e32 v14, v27, v25, vcc
	v_cndmask_b32_e32 v24, v26, v24, vcc
	v_lshlrev_b32_e32 v25, 24, v15
	v_bfrev_b32_e32 v26, 60
	v_lshlrev_b32_e32 v24, 20, v24
	v_and_b32_e32 v25, 0x80000000, v25
	v_lshl_add_u32 v14, v14, 23, v26
	v_or3_b32 v14, v25, v14, v24
	v_lshrrev_b32_e32 v24, 16, v14
.LBB863_427:
	s_or_b64 exec, exec, s[10:11]
.LBB863_428:
	s_or_b64 exec, exec, s[8:9]
.LBB863_429:
	s_or_b64 exec, exec, s[2:3]
	v_lshrrev_b16_e32 v14, 8, v15
	v_cmp_ne_u16_e32 vcc, 0, v14
	s_and_saveexec_b64 s[2:3], vcc
	s_cbranch_execz .LBB863_435
; %bb.430:
	s_movk_i32 s7, 0x80
	v_cmp_ne_u16_e32 vcc, s7, v14
	v_mov_b32_e32 v18, 0xffff8000
	s_and_saveexec_b64 s[8:9], vcc
	s_cbranch_execz .LBB863_434
; %bb.431:
	s_movk_i32 s7, 0x7f
	v_and_b32_e32 v25, 0x7f, v14
	v_cmp_ne_u32_e32 vcc, s7, v25
	v_mov_b32_e32 v18, 0x7f80
	s_and_saveexec_b64 s[10:11], vcc
	s_cbranch_execz .LBB863_433
; %bb.432:
	v_and_b32_e32 v18, 7, v14
	v_ffbh_u32_e32 v26, v18
	v_min_u32_e32 v30, 32, v26
	v_subrev_u32_e32 v26, 28, v30
	v_lshlrev_b64 v[26:27], v26, v[14:15]
	v_lshrrev_b32_e32 v29, 3, v25
	v_sub_u32_e32 v14, 29, v30
	v_and_b32_e32 v26, 7, v26
	v_cmp_gt_u32_e32 vcc, 8, v25
	v_cndmask_b32_e32 v14, v29, v14, vcc
	v_cndmask_b32_e32 v18, v18, v26, vcc
	v_lshlrev_b32_e32 v25, 16, v15
	v_bfrev_b32_e32 v26, 60
	v_lshlrev_b32_e32 v18, 20, v18
	v_and_b32_e32 v25, 0x80000000, v25
	v_lshl_add_u32 v14, v14, 23, v26
	v_or3_b32 v14, v25, v14, v18
	v_lshrrev_b32_e32 v18, 16, v14
.LBB863_433:
	s_or_b64 exec, exec, s[10:11]
.LBB863_434:
	s_or_b64 exec, exec, s[8:9]
.LBB863_435:
	s_or_b64 exec, exec, s[2:3]
	s_movk_i32 s2, 0xff
	v_and_b32_sdwa v27, v15, s2 dst_sel:DWORD dst_unused:UNUSED_PAD src0_sel:WORD_1 src1_sel:DWORD
	v_lshrrev_b32_e32 v14, 16, v15
	v_cmp_ne_u16_e32 vcc, 0, v27
	v_mov_b32_e32 v25, 0
	v_mov_b32_e32 v26, 0
	s_and_saveexec_b64 s[2:3], vcc
	s_cbranch_execz .LBB863_441
; %bb.436:
	s_movk_i32 s7, 0x80
	v_cmp_ne_u16_e32 vcc, s7, v27
	v_mov_b32_e32 v26, 0xffff8000
	s_and_saveexec_b64 s[8:9], vcc
	s_cbranch_execz .LBB863_440
; %bb.437:
	v_bfe_u32 v27, v15, 16, 7
	s_movk_i32 s7, 0x7f
	v_cmp_ne_u32_e32 vcc, s7, v27
	v_mov_b32_e32 v26, 0x7f80
	s_and_saveexec_b64 s[10:11], vcc
	s_cbranch_execz .LBB863_439
; %bb.438:
	v_and_b32_e32 v26, 7, v14
	v_ffbh_u32_e32 v30, v26
	v_min_u32_e32 v32, 32, v30
	v_subrev_u32_e32 v30, 28, v32
	v_lshlrev_b64 v[30:31], v30, v[14:15]
	v_lshrrev_b32_e32 v29, 3, v27
	v_sub_u32_e32 v14, 29, v32
	v_and_b32_e32 v30, 7, v30
	v_cmp_gt_u32_e32 vcc, 8, v27
	v_mov_b32_e32 v27, 24
	v_cndmask_b32_e32 v14, v29, v14, vcc
	v_cndmask_b32_e32 v26, v26, v30, vcc
	v_lshlrev_b32_sdwa v27, v27, v15 dst_sel:DWORD dst_unused:UNUSED_PAD src0_sel:DWORD src1_sel:WORD_1
	v_bfrev_b32_e32 v29, 60
	v_lshlrev_b32_e32 v26, 20, v26
	v_and_b32_e32 v27, 0x80000000, v27
	v_lshl_add_u32 v14, v14, 23, v29
	v_or3_b32 v14, v27, v14, v26
	v_lshrrev_b32_e32 v26, 16, v14
.LBB863_439:
	s_or_b64 exec, exec, s[10:11]
.LBB863_440:
	s_or_b64 exec, exec, s[8:9]
.LBB863_441:
	s_or_b64 exec, exec, s[2:3]
	s_mov_b32 s2, 0xffffff
	v_cmp_lt_u32_e32 vcc, s2, v15
	s_and_saveexec_b64 s[2:3], vcc
	s_cbranch_execz .LBB863_447
; %bb.442:
	v_lshrrev_b32_e32 v14, 24, v15
	s_movk_i32 s7, 0x80
	v_cmp_ne_u32_e32 vcc, s7, v14
	v_mov_b32_e32 v25, 0xffff8000
	s_and_saveexec_b64 s[8:9], vcc
	s_cbranch_execz .LBB863_446
; %bb.443:
	v_bfe_u32 v15, v15, 24, 7
	s_movk_i32 s7, 0x7f
	v_cmp_ne_u32_e32 vcc, s7, v15
	v_mov_b32_e32 v25, 0x7f80
	s_and_saveexec_b64 s[10:11], vcc
	s_cbranch_execz .LBB863_445
; %bb.444:
	v_and_b32_e32 v25, 7, v14
	v_ffbh_u32_e32 v29, v25
	v_min_u32_e32 v29, 32, v29
	v_subrev_u32_e32 v30, 28, v29
	v_lshlrev_b64 v[30:31], v30, v[14:15]
	v_lshrrev_b32_e32 v27, 3, v15
	v_sub_u32_e32 v29, 29, v29
	v_and_b32_e32 v30, 7, v30
	v_cmp_gt_u32_e32 vcc, 8, v15
	v_cndmask_b32_e32 v15, v27, v29, vcc
	v_cndmask_b32_e32 v25, v25, v30, vcc
	v_lshlrev_b32_e32 v14, 24, v14
	v_bfrev_b32_e32 v27, 60
	v_lshlrev_b32_e32 v25, 20, v25
	v_and_b32_e32 v14, 0x80000000, v14
	v_lshl_add_u32 v15, v15, 23, v27
	v_or3_b32 v14, v14, v15, v25
	v_lshrrev_b32_e32 v25, 16, v14
.LBB863_445:
	s_or_b64 exec, exec, s[10:11]
.LBB863_446:
	s_or_b64 exec, exec, s[8:9]
.LBB863_447:
	s_or_b64 exec, exec, s[2:3]
	s_mov_b32 s2, 0x5040100
	v_perm_b32 v15, v22, v23, s2
	v_lshl_or_b32 v22, v1, 9, v19
	v_perm_b32 v14, v20, v21, s2
	ds_read_b128 v[30:33], v22
	v_perm_b32 v19, v25, v26, s2
	v_perm_b32 v18, v18, v24, s2
	s_waitcnt lgkmcnt(0)
	v_mfma_f32_16x16x16bf16_1k v[34:37], v[14:15], v[30:31], 0
	v_mov_b32_e32 v15, 0
	v_cmp_ne_u16_sdwa s[8:9], v16, v15 src0_sel:BYTE_0 src1_sel:DWORD
	v_mov_b32_e32 v23, 0
	v_mfma_f32_16x16x16bf16_1k v[18:21], v[18:19], v[32:33], v[34:37]
	s_and_saveexec_b64 s[2:3], s[8:9]
	s_cbranch_execz .LBB863_453
; %bb.448:
	s_movk_i32 s7, 0x80
	v_cmp_ne_u16_sdwa s[10:11], v16, s7 src0_sel:BYTE_0 src1_sel:DWORD
	v_mov_b32_e32 v23, 0xffff8000
	s_and_saveexec_b64 s[8:9], s[10:11]
	s_cbranch_execz .LBB863_452
; %bb.449:
	s_movk_i32 s7, 0x7f
	v_and_b32_e32 v14, 0x7f, v16
	v_cmp_ne_u32_e32 vcc, s7, v14
	v_mov_b32_e32 v23, 0x7f80
	s_and_saveexec_b64 s[10:11], vcc
	s_cbranch_execz .LBB863_451
; %bb.450:
	v_and_b32_e32 v23, 7, v16
	v_ffbh_u32_e32 v24, v23
	v_min_u32_e32 v27, 32, v24
	v_subrev_u32_e32 v24, 28, v27
	v_lshlrev_b64 v[24:25], v24, v[16:17]
	v_lshrrev_b32_e32 v26, 3, v14
	v_sub_u32_e32 v25, 29, v27
	v_and_b32_e32 v24, 7, v24
	v_cmp_gt_u32_e32 vcc, 8, v14
	v_cndmask_b32_e32 v14, v26, v25, vcc
	v_cndmask_b32_e32 v23, v23, v24, vcc
	v_lshlrev_b32_e32 v24, 24, v16
	v_bfrev_b32_e32 v25, 60
	v_lshlrev_b32_e32 v23, 20, v23
	v_and_b32_e32 v24, 0x80000000, v24
	v_lshl_add_u32 v14, v14, 23, v25
	v_or3_b32 v14, v24, v14, v23
	v_lshrrev_b32_e32 v23, 16, v14
.LBB863_451:
	s_or_b64 exec, exec, s[10:11]
.LBB863_452:
	s_or_b64 exec, exec, s[8:9]
.LBB863_453:
	s_or_b64 exec, exec, s[2:3]
	v_lshrrev_b16_e32 v14, 8, v16
	v_cmp_ne_u16_e32 vcc, 0, v14
	s_and_saveexec_b64 s[2:3], vcc
	s_cbranch_execz .LBB863_459
; %bb.454:
	s_movk_i32 s7, 0x80
	v_cmp_ne_u16_e32 vcc, s7, v14
	v_mov_b32_e32 v15, 0xffff8000
	s_and_saveexec_b64 s[8:9], vcc
	s_cbranch_execz .LBB863_458
; %bb.455:
	s_movk_i32 s7, 0x7f
	v_and_b32_e32 v24, 0x7f, v14
	v_cmp_ne_u32_e32 vcc, s7, v24
	v_mov_b32_e32 v15, 0x7f80
	s_and_saveexec_b64 s[10:11], vcc
	s_cbranch_execz .LBB863_457
; %bb.456:
	v_and_b32_e32 v25, 7, v14
	v_ffbh_u32_e32 v15, v25
	v_min_u32_e32 v27, 32, v15
	v_subrev_u32_e32 v15, 28, v27
	v_lshlrev_b64 v[14:15], v15, v[14:15]
	v_lshrrev_b32_e32 v26, 3, v24
	v_sub_u32_e32 v15, 29, v27
	v_and_b32_e32 v14, 7, v14
	v_cmp_gt_u32_e32 vcc, 8, v24
	v_cndmask_b32_e32 v15, v26, v15, vcc
	v_cndmask_b32_e32 v14, v25, v14, vcc
	v_lshlrev_b32_e32 v24, 16, v16
	v_bfrev_b32_e32 v25, 60
	v_lshlrev_b32_e32 v14, 20, v14
	v_and_b32_e32 v24, 0x80000000, v24
	v_lshl_add_u32 v15, v15, 23, v25
	v_or3_b32 v14, v24, v15, v14
	v_lshrrev_b32_e32 v15, 16, v14
.LBB863_457:
	s_or_b64 exec, exec, s[10:11]
.LBB863_458:
	s_or_b64 exec, exec, s[8:9]
.LBB863_459:
	s_or_b64 exec, exec, s[2:3]
	s_movk_i32 s2, 0xff
	v_and_b32_sdwa v26, v16, s2 dst_sel:DWORD dst_unused:UNUSED_PAD src0_sel:WORD_1 src1_sel:DWORD
	v_lshrrev_b32_e32 v14, 16, v16
	v_cmp_ne_u16_e32 vcc, 0, v26
	v_mov_b32_e32 v24, 0
	v_mov_b32_e32 v25, 0
	s_and_saveexec_b64 s[2:3], vcc
	s_cbranch_execz .LBB863_465
; %bb.460:
	s_movk_i32 s7, 0x80
	v_cmp_ne_u16_e32 vcc, s7, v26
	v_mov_b32_e32 v25, 0xffff8000
	s_and_saveexec_b64 s[8:9], vcc
	s_cbranch_execz .LBB863_464
; %bb.461:
	v_bfe_u32 v26, v16, 16, 7
	s_movk_i32 s7, 0x7f
	v_cmp_ne_u32_e32 vcc, s7, v26
	v_mov_b32_e32 v25, 0x7f80
	s_and_saveexec_b64 s[10:11], vcc
	s_cbranch_execz .LBB863_463
; %bb.462:
	v_and_b32_e32 v25, 7, v14
	v_ffbh_u32_e32 v29, v25
	v_min_u32_e32 v29, 32, v29
	v_subrev_u32_e32 v30, 28, v29
	v_lshlrev_b64 v[30:31], v30, v[14:15]
	v_lshrrev_b32_e32 v27, 3, v26
	v_sub_u32_e32 v14, 29, v29
	v_and_b32_e32 v29, 7, v30
	v_cmp_gt_u32_e32 vcc, 8, v26
	v_mov_b32_e32 v26, 24
	v_cndmask_b32_e32 v14, v27, v14, vcc
	v_cndmask_b32_e32 v25, v25, v29, vcc
	v_lshlrev_b32_sdwa v26, v26, v16 dst_sel:DWORD dst_unused:UNUSED_PAD src0_sel:DWORD src1_sel:WORD_1
	v_bfrev_b32_e32 v27, 60
	v_lshlrev_b32_e32 v25, 20, v25
	v_and_b32_e32 v26, 0x80000000, v26
	v_lshl_add_u32 v14, v14, 23, v27
	v_or3_b32 v14, v26, v14, v25
	v_lshrrev_b32_e32 v25, 16, v14
.LBB863_463:
	s_or_b64 exec, exec, s[10:11]
.LBB863_464:
	s_or_b64 exec, exec, s[8:9]
.LBB863_465:
	s_or_b64 exec, exec, s[2:3]
	s_mov_b32 s2, 0xffffff
	v_cmp_lt_u32_e32 vcc, s2, v16
	s_and_saveexec_b64 s[2:3], vcc
	s_cbranch_execz .LBB863_471
; %bb.466:
	v_lshrrev_b32_e32 v14, 24, v16
	s_movk_i32 s7, 0x80
	v_cmp_ne_u32_e32 vcc, s7, v14
	v_mov_b32_e32 v24, 0xffff8000
	s_and_saveexec_b64 s[8:9], vcc
	s_cbranch_execz .LBB863_470
; %bb.467:
	v_bfe_u32 v16, v16, 24, 7
	s_movk_i32 s7, 0x7f
	v_cmp_ne_u32_e32 vcc, s7, v16
	v_mov_b32_e32 v24, 0x7f80
	s_and_saveexec_b64 s[10:11], vcc
	s_cbranch_execz .LBB863_469
; %bb.468:
	v_and_b32_e32 v24, 7, v14
	v_ffbh_u32_e32 v26, v24
	v_min_u32_e32 v30, 32, v26
	v_subrev_u32_e32 v26, 28, v30
	v_lshlrev_b64 v[26:27], v26, v[14:15]
	v_lshrrev_b32_e32 v29, 3, v16
	v_sub_u32_e32 v27, 29, v30
	v_and_b32_e32 v26, 7, v26
	v_cmp_gt_u32_e32 vcc, 8, v16
	v_cndmask_b32_e32 v16, v29, v27, vcc
	v_cndmask_b32_e32 v24, v24, v26, vcc
	v_lshlrev_b32_e32 v14, 24, v14
	v_bfrev_b32_e32 v26, 60
	v_lshlrev_b32_e32 v24, 20, v24
	v_and_b32_e32 v14, 0x80000000, v14
	v_lshl_add_u32 v16, v16, 23, v26
	v_or3_b32 v14, v14, v16, v24
	v_lshrrev_b32_e32 v24, 16, v14
.LBB863_469:
	s_or_b64 exec, exec, s[10:11]
.LBB863_470:
	s_or_b64 exec, exec, s[8:9]
.LBB863_471:
	s_or_b64 exec, exec, s[2:3]
	v_mov_b32_e32 v16, 0
	v_cmp_ne_u16_sdwa s[8:9], v17, v16 src0_sel:BYTE_0 src1_sel:DWORD
	v_mov_b32_e32 v26, 0
	s_and_saveexec_b64 s[2:3], s[8:9]
	s_cbranch_execz .LBB863_477
; %bb.472:
	s_movk_i32 s7, 0x80
	v_cmp_ne_u16_sdwa s[10:11], v17, s7 src0_sel:BYTE_0 src1_sel:DWORD
	v_mov_b32_e32 v26, 0xffff8000
	s_and_saveexec_b64 s[8:9], s[10:11]
	s_cbranch_execz .LBB863_476
; %bb.473:
	s_movk_i32 s7, 0x7f
	v_and_b32_e32 v14, 0x7f, v17
	v_cmp_ne_u32_e32 vcc, s7, v14
	v_mov_b32_e32 v26, 0x7f80
	s_and_saveexec_b64 s[10:11], vcc
	s_cbranch_execz .LBB863_475
; %bb.474:
	v_and_b32_e32 v29, 7, v17
	v_ffbh_u32_e32 v27, v29
	v_min_u32_e32 v31, 32, v27
	v_mov_b32_e32 v26, v17
	v_subrev_u32_e32 v27, 28, v31
	v_lshlrev_b64 v[26:27], v27, v[26:27]
	v_lshrrev_b32_e32 v30, 3, v14
	v_sub_u32_e32 v27, 29, v31
	v_and_b32_e32 v26, 7, v26
	v_cmp_gt_u32_e32 vcc, 8, v14
	v_cndmask_b32_e32 v14, v30, v27, vcc
	v_cndmask_b32_e32 v26, v29, v26, vcc
	v_lshlrev_b32_e32 v27, 24, v17
	v_bfrev_b32_e32 v29, 60
	v_lshlrev_b32_e32 v26, 20, v26
	v_and_b32_e32 v27, 0x80000000, v27
	v_lshl_add_u32 v14, v14, 23, v29
	v_or3_b32 v14, v27, v14, v26
	v_lshrrev_b32_e32 v26, 16, v14
.LBB863_475:
	s_or_b64 exec, exec, s[10:11]
.LBB863_476:
	s_or_b64 exec, exec, s[8:9]
.LBB863_477:
	s_or_b64 exec, exec, s[2:3]
	v_lshrrev_b16_e32 v14, 8, v17
	v_cmp_ne_u16_e32 vcc, 0, v14
	s_and_saveexec_b64 s[2:3], vcc
	s_cbranch_execz .LBB863_483
; %bb.478:
	s_movk_i32 s7, 0x80
	v_cmp_ne_u16_e32 vcc, s7, v14
	v_mov_b32_e32 v16, 0xffff8000
	s_and_saveexec_b64 s[8:9], vcc
	s_cbranch_execz .LBB863_482
; %bb.479:
	s_movk_i32 s7, 0x7f
	v_and_b32_e32 v27, 0x7f, v14
	v_cmp_ne_u32_e32 vcc, s7, v27
	v_mov_b32_e32 v16, 0x7f80
	s_and_saveexec_b64 s[10:11], vcc
	s_cbranch_execz .LBB863_481
; %bb.480:
	v_and_b32_e32 v16, 7, v14
	v_ffbh_u32_e32 v30, v16
	v_min_u32_e32 v32, 32, v30
	v_subrev_u32_e32 v30, 28, v32
	v_lshlrev_b64 v[30:31], v30, v[14:15]
	v_lshrrev_b32_e32 v29, 3, v27
	v_sub_u32_e32 v14, 29, v32
	v_and_b32_e32 v30, 7, v30
	v_cmp_gt_u32_e32 vcc, 8, v27
	v_cndmask_b32_e32 v14, v29, v14, vcc
	v_cndmask_b32_e32 v16, v16, v30, vcc
	v_lshlrev_b32_e32 v27, 16, v17
	v_bfrev_b32_e32 v29, 60
	v_lshlrev_b32_e32 v16, 20, v16
	v_and_b32_e32 v27, 0x80000000, v27
	v_lshl_add_u32 v14, v14, 23, v29
	v_or3_b32 v14, v27, v14, v16
	v_lshrrev_b32_e32 v16, 16, v14
.LBB863_481:
	s_or_b64 exec, exec, s[10:11]
.LBB863_482:
	s_or_b64 exec, exec, s[8:9]
.LBB863_483:
	s_or_b64 exec, exec, s[2:3]
	s_movk_i32 s2, 0xff
	v_and_b32_sdwa v30, v17, s2 dst_sel:DWORD dst_unused:UNUSED_PAD src0_sel:WORD_1 src1_sel:DWORD
	v_lshrrev_b32_e32 v14, 16, v17
	v_cmp_ne_u16_e32 vcc, 0, v30
	v_mov_b32_e32 v27, 0
	v_mov_b32_e32 v29, 0
	s_and_saveexec_b64 s[2:3], vcc
	s_cbranch_execz .LBB863_489
; %bb.484:
	s_movk_i32 s7, 0x80
	v_cmp_ne_u16_e32 vcc, s7, v30
	v_mov_b32_e32 v29, 0xffff8000
	s_and_saveexec_b64 s[8:9], vcc
	s_cbranch_execz .LBB863_488
; %bb.485:
	v_bfe_u32 v30, v17, 16, 7
	s_movk_i32 s7, 0x7f
	v_cmp_ne_u32_e32 vcc, s7, v30
	v_mov_b32_e32 v29, 0x7f80
	s_and_saveexec_b64 s[10:11], vcc
	s_cbranch_execz .LBB863_487
; %bb.486:
	v_and_b32_e32 v29, 7, v14
	v_ffbh_u32_e32 v32, v29
	v_min_u32_e32 v34, 32, v32
	v_subrev_u32_e32 v32, 28, v34
	v_lshlrev_b64 v[32:33], v32, v[14:15]
	v_lshrrev_b32_e32 v31, 3, v30
	v_sub_u32_e32 v14, 29, v34
	v_and_b32_e32 v32, 7, v32
	v_cmp_gt_u32_e32 vcc, 8, v30
	v_mov_b32_e32 v30, 24
	v_cndmask_b32_e32 v14, v31, v14, vcc
	v_cndmask_b32_e32 v29, v29, v32, vcc
	v_lshlrev_b32_sdwa v30, v30, v17 dst_sel:DWORD dst_unused:UNUSED_PAD src0_sel:DWORD src1_sel:WORD_1
	v_bfrev_b32_e32 v31, 60
	v_lshlrev_b32_e32 v29, 20, v29
	v_and_b32_e32 v30, 0x80000000, v30
	v_lshl_add_u32 v14, v14, 23, v31
	v_or3_b32 v14, v30, v14, v29
	v_lshrrev_b32_e32 v29, 16, v14
.LBB863_487:
	s_or_b64 exec, exec, s[10:11]
.LBB863_488:
	s_or_b64 exec, exec, s[8:9]
.LBB863_489:
	s_or_b64 exec, exec, s[2:3]
	s_mov_b32 s2, 0xffffff
	v_cmp_lt_u32_e32 vcc, s2, v17
	s_and_saveexec_b64 s[2:3], vcc
	s_cbranch_execz .LBB863_495
; %bb.490:
	v_lshrrev_b32_e32 v14, 24, v17
	s_movk_i32 s7, 0x80
	v_cmp_ne_u32_e32 vcc, s7, v14
	v_mov_b32_e32 v27, 0xffff8000
	s_and_saveexec_b64 s[8:9], vcc
	s_cbranch_execz .LBB863_494
; %bb.491:
	v_bfe_u32 v17, v17, 24, 7
	s_movk_i32 s7, 0x7f
	v_cmp_ne_u32_e32 vcc, s7, v17
	v_mov_b32_e32 v27, 0x7f80
	s_and_saveexec_b64 s[10:11], vcc
	s_cbranch_execz .LBB863_493
; %bb.492:
	v_and_b32_e32 v27, 7, v14
	v_ffbh_u32_e32 v30, v27
	v_min_u32_e32 v33, 32, v30
	v_subrev_u32_e32 v30, 28, v33
	v_lshlrev_b64 v[30:31], v30, v[14:15]
	v_lshrrev_b32_e32 v32, 3, v17
	v_sub_u32_e32 v31, 29, v33
	v_and_b32_e32 v30, 7, v30
	v_cmp_gt_u32_e32 vcc, 8, v17
	v_cndmask_b32_e32 v17, v32, v31, vcc
	v_cndmask_b32_e32 v27, v27, v30, vcc
	v_lshlrev_b32_e32 v14, 24, v14
	v_bfrev_b32_e32 v30, 60
	v_lshlrev_b32_e32 v27, 20, v27
	v_and_b32_e32 v14, 0x80000000, v14
	v_lshl_add_u32 v17, v17, 23, v30
	v_or3_b32 v14, v14, v17, v27
	v_lshrrev_b32_e32 v27, 16, v14
.LBB863_493:
	s_or_b64 exec, exec, s[10:11]
.LBB863_494:
	s_or_b64 exec, exec, s[8:9]
.LBB863_495:
	s_or_b64 exec, exec, s[2:3]
	s_mov_b32 s2, 0x5040100
	v_perm_b32 v25, v24, v25, s2
	v_perm_b32 v24, v15, v23, s2
	ds_read_b128 v[30:33], v22 offset:16
	v_perm_b32 v15, v27, v29, s2
	v_perm_b32 v14, v16, v26, s2
	s_waitcnt lgkmcnt(0)
	v_mfma_f32_16x16x16bf16_1k v[34:37], v[24:25], v[30:31], v[18:21]
	s_nop 6
	v_mov_b32_e32 v19, 0
	s_waitcnt vmcnt(2)
	v_cmp_ne_u16_sdwa s[8:9], v10, v19 src0_sel:BYTE_0 src1_sel:DWORD
	v_mfma_f32_16x16x16bf16_1k v[14:17], v[14:15], v[32:33], v[34:37]
	v_mov_b32_e32 v20, 0
	s_and_saveexec_b64 s[2:3], s[8:9]
	s_cbranch_execz .LBB863_501
; %bb.496:
	s_movk_i32 s7, 0x80
	v_cmp_ne_u16_sdwa s[10:11], v10, s7 src0_sel:BYTE_0 src1_sel:DWORD
	v_mov_b32_e32 v20, 0xffff8000
	s_and_saveexec_b64 s[8:9], s[10:11]
	s_cbranch_execz .LBB863_500
; %bb.497:
	s_movk_i32 s7, 0x7f
	v_and_b32_e32 v18, 0x7f, v10
	v_cmp_ne_u32_e32 vcc, s7, v18
	v_mov_b32_e32 v20, 0x7f80
	s_and_saveexec_b64 s[10:11], vcc
	s_cbranch_execz .LBB863_499
; %bb.498:
	v_and_b32_e32 v23, 7, v10
	v_ffbh_u32_e32 v20, v23
	v_min_u32_e32 v25, 32, v20
	v_subrev_u32_e32 v20, 28, v25
	v_lshlrev_b64 v[20:21], v20, v[10:11]
	v_lshrrev_b32_e32 v24, 3, v18
	v_sub_u32_e32 v21, 29, v25
	v_and_b32_e32 v20, 7, v20
	v_cmp_gt_u32_e32 vcc, 8, v18
	v_cndmask_b32_e32 v18, v24, v21, vcc
	v_cndmask_b32_e32 v20, v23, v20, vcc
	v_lshlrev_b32_e32 v21, 24, v10
	v_bfrev_b32_e32 v23, 60
	v_lshlrev_b32_e32 v20, 20, v20
	v_and_b32_e32 v21, 0x80000000, v21
	v_lshl_add_u32 v18, v18, 23, v23
	v_or3_b32 v18, v21, v18, v20
	v_lshrrev_b32_e32 v20, 16, v18
.LBB863_499:
	s_or_b64 exec, exec, s[10:11]
.LBB863_500:
	s_or_b64 exec, exec, s[8:9]
.LBB863_501:
	s_or_b64 exec, exec, s[2:3]
	v_lshrrev_b16_e32 v18, 8, v10
	v_cmp_ne_u16_e32 vcc, 0, v18
	s_and_saveexec_b64 s[2:3], vcc
	s_cbranch_execz .LBB863_507
; %bb.502:
	s_movk_i32 s7, 0x80
	v_cmp_ne_u16_e32 vcc, s7, v18
	v_mov_b32_e32 v19, 0xffff8000
	s_and_saveexec_b64 s[8:9], vcc
	s_cbranch_execz .LBB863_506
; %bb.503:
	s_movk_i32 s7, 0x7f
	v_and_b32_e32 v21, 0x7f, v18
	v_cmp_ne_u32_e32 vcc, s7, v21
	v_mov_b32_e32 v19, 0x7f80
	s_and_saveexec_b64 s[10:11], vcc
	s_cbranch_execz .LBB863_505
; %bb.504:
	v_and_b32_e32 v23, 7, v18
	v_ffbh_u32_e32 v19, v23
	v_min_u32_e32 v25, 32, v19
	v_subrev_u32_e32 v19, 28, v25
	v_lshlrev_b64 v[18:19], v19, v[18:19]
	v_lshrrev_b32_e32 v24, 3, v21
	v_sub_u32_e32 v19, 29, v25
	v_and_b32_e32 v18, 7, v18
	v_cmp_gt_u32_e32 vcc, 8, v21
	v_cndmask_b32_e32 v19, v24, v19, vcc
	v_cndmask_b32_e32 v18, v23, v18, vcc
	v_lshlrev_b32_e32 v21, 16, v10
	v_bfrev_b32_e32 v23, 60
	v_lshlrev_b32_e32 v18, 20, v18
	v_and_b32_e32 v21, 0x80000000, v21
	v_lshl_add_u32 v19, v19, 23, v23
	v_or3_b32 v18, v21, v19, v18
	v_lshrrev_b32_e32 v19, 16, v18
.LBB863_505:
	s_or_b64 exec, exec, s[10:11]
.LBB863_506:
	s_or_b64 exec, exec, s[8:9]
.LBB863_507:
	s_or_b64 exec, exec, s[2:3]
	s_movk_i32 s2, 0xff
	v_and_b32_sdwa v24, v10, s2 dst_sel:DWORD dst_unused:UNUSED_PAD src0_sel:WORD_1 src1_sel:DWORD
	v_lshrrev_b32_e32 v18, 16, v10
	v_cmp_ne_u16_e32 vcc, 0, v24
	v_mov_b32_e32 v21, 0
	v_mov_b32_e32 v23, 0
	s_and_saveexec_b64 s[2:3], vcc
	s_cbranch_execz .LBB863_513
; %bb.508:
	s_movk_i32 s7, 0x80
	v_cmp_ne_u16_e32 vcc, s7, v24
	v_mov_b32_e32 v23, 0xffff8000
	s_and_saveexec_b64 s[8:9], vcc
	s_cbranch_execz .LBB863_512
; %bb.509:
	v_bfe_u32 v24, v10, 16, 7
	s_movk_i32 s7, 0x7f
	v_cmp_ne_u32_e32 vcc, s7, v24
	v_mov_b32_e32 v23, 0x7f80
	s_and_saveexec_b64 s[10:11], vcc
	s_cbranch_execz .LBB863_511
; %bb.510:
	v_and_b32_e32 v23, 7, v18
	v_ffbh_u32_e32 v26, v23
	v_min_u32_e32 v29, 32, v26
	v_subrev_u32_e32 v26, 28, v29
	v_lshlrev_b64 v[26:27], v26, v[18:19]
	v_lshrrev_b32_e32 v25, 3, v24
	v_sub_u32_e32 v18, 29, v29
	v_and_b32_e32 v26, 7, v26
	v_cmp_gt_u32_e32 vcc, 8, v24
	v_mov_b32_e32 v24, 24
	v_cndmask_b32_e32 v18, v25, v18, vcc
	v_cndmask_b32_e32 v23, v23, v26, vcc
	v_lshlrev_b32_sdwa v24, v24, v10 dst_sel:DWORD dst_unused:UNUSED_PAD src0_sel:DWORD src1_sel:WORD_1
	v_bfrev_b32_e32 v25, 60
	v_lshlrev_b32_e32 v23, 20, v23
	v_and_b32_e32 v24, 0x80000000, v24
	v_lshl_add_u32 v18, v18, 23, v25
	v_or3_b32 v18, v24, v18, v23
	v_lshrrev_b32_e32 v23, 16, v18
.LBB863_511:
	s_or_b64 exec, exec, s[10:11]
.LBB863_512:
	s_or_b64 exec, exec, s[8:9]
.LBB863_513:
	s_or_b64 exec, exec, s[2:3]
	s_mov_b32 s2, 0xffffff
	v_cmp_lt_u32_e32 vcc, s2, v10
	s_and_saveexec_b64 s[2:3], vcc
	s_cbranch_execz .LBB863_519
; %bb.514:
	v_lshrrev_b32_e32 v18, 24, v10
	s_movk_i32 s7, 0x80
	v_cmp_ne_u32_e32 vcc, s7, v18
	v_mov_b32_e32 v21, 0xffff8000
	s_and_saveexec_b64 s[8:9], vcc
	s_cbranch_execz .LBB863_518
; %bb.515:
	v_bfe_u32 v10, v10, 24, 7
	s_movk_i32 s7, 0x7f
	v_cmp_ne_u32_e32 vcc, s7, v10
	v_mov_b32_e32 v21, 0x7f80
	s_and_saveexec_b64 s[10:11], vcc
	s_cbranch_execz .LBB863_517
; %bb.516:
	v_and_b32_e32 v21, 7, v18
	v_ffbh_u32_e32 v24, v21
	v_min_u32_e32 v27, 32, v24
	v_subrev_u32_e32 v24, 28, v27
	v_lshlrev_b64 v[24:25], v24, v[18:19]
	v_lshrrev_b32_e32 v26, 3, v10
	v_sub_u32_e32 v25, 29, v27
	v_and_b32_e32 v24, 7, v24
	v_cmp_gt_u32_e32 vcc, 8, v10
	v_cndmask_b32_e32 v10, v26, v25, vcc
	v_cndmask_b32_e32 v21, v21, v24, vcc
	v_lshlrev_b32_e32 v18, 24, v18
	v_bfrev_b32_e32 v24, 60
	v_lshlrev_b32_e32 v21, 20, v21
	v_and_b32_e32 v18, 0x80000000, v18
	v_lshl_add_u32 v10, v10, 23, v24
	v_or3_b32 v10, v18, v10, v21
	v_lshrrev_b32_e32 v21, 16, v10
.LBB863_517:
	s_or_b64 exec, exec, s[10:11]
.LBB863_518:
	s_or_b64 exec, exec, s[8:9]
.LBB863_519:
	s_or_b64 exec, exec, s[2:3]
	v_mov_b32_e32 v18, 0
	v_cmp_ne_u16_sdwa s[8:9], v11, v18 src0_sel:BYTE_0 src1_sel:DWORD
	v_mov_b32_e32 v24, 0
	s_and_saveexec_b64 s[2:3], s[8:9]
	s_cbranch_execz .LBB863_525
; %bb.520:
	s_movk_i32 s7, 0x80
	v_cmp_ne_u16_sdwa s[10:11], v11, s7 src0_sel:BYTE_0 src1_sel:DWORD
	v_mov_b32_e32 v24, 0xffff8000
	s_and_saveexec_b64 s[8:9], s[10:11]
	s_cbranch_execz .LBB863_524
; %bb.521:
	s_movk_i32 s7, 0x7f
	v_and_b32_e32 v10, 0x7f, v11
	v_cmp_ne_u32_e32 vcc, s7, v10
	v_mov_b32_e32 v24, 0x7f80
	s_and_saveexec_b64 s[10:11], vcc
	s_cbranch_execz .LBB863_523
; %bb.522:
	v_and_b32_e32 v26, 7, v11
	v_ffbh_u32_e32 v25, v26
	v_min_u32_e32 v29, 32, v25
	v_mov_b32_e32 v24, v11
	v_subrev_u32_e32 v25, 28, v29
	v_lshlrev_b64 v[24:25], v25, v[24:25]
	v_lshrrev_b32_e32 v27, 3, v10
	v_sub_u32_e32 v25, 29, v29
	v_and_b32_e32 v24, 7, v24
	v_cmp_gt_u32_e32 vcc, 8, v10
	v_cndmask_b32_e32 v10, v27, v25, vcc
	v_cndmask_b32_e32 v24, v26, v24, vcc
	v_lshlrev_b32_e32 v25, 24, v11
	v_bfrev_b32_e32 v26, 60
	v_lshlrev_b32_e32 v24, 20, v24
	v_and_b32_e32 v25, 0x80000000, v25
	v_lshl_add_u32 v10, v10, 23, v26
	v_or3_b32 v10, v25, v10, v24
	v_lshrrev_b32_e32 v24, 16, v10
.LBB863_523:
	s_or_b64 exec, exec, s[10:11]
.LBB863_524:
	s_or_b64 exec, exec, s[8:9]
.LBB863_525:
	s_or_b64 exec, exec, s[2:3]
	v_lshrrev_b16_e32 v10, 8, v11
	v_cmp_ne_u16_e32 vcc, 0, v10
	s_and_saveexec_b64 s[2:3], vcc
	s_cbranch_execz .LBB863_531
; %bb.526:
	s_movk_i32 s7, 0x80
	v_cmp_ne_u16_e32 vcc, s7, v10
	v_mov_b32_e32 v18, 0xffff8000
	s_and_saveexec_b64 s[8:9], vcc
	s_cbranch_execz .LBB863_530
; %bb.527:
	s_movk_i32 s7, 0x7f
	v_and_b32_e32 v25, 0x7f, v10
	v_cmp_ne_u32_e32 vcc, s7, v25
	v_mov_b32_e32 v18, 0x7f80
	s_and_saveexec_b64 s[10:11], vcc
	s_cbranch_execz .LBB863_529
; %bb.528:
	v_and_b32_e32 v18, 7, v10
	v_ffbh_u32_e32 v26, v18
	v_min_u32_e32 v30, 32, v26
	v_subrev_u32_e32 v26, 28, v30
	v_lshlrev_b64 v[26:27], v26, v[10:11]
	v_lshrrev_b32_e32 v29, 3, v25
	v_sub_u32_e32 v10, 29, v30
	v_and_b32_e32 v26, 7, v26
	v_cmp_gt_u32_e32 vcc, 8, v25
	v_cndmask_b32_e32 v10, v29, v10, vcc
	v_cndmask_b32_e32 v18, v18, v26, vcc
	v_lshlrev_b32_e32 v25, 16, v11
	v_bfrev_b32_e32 v26, 60
	v_lshlrev_b32_e32 v18, 20, v18
	v_and_b32_e32 v25, 0x80000000, v25
	v_lshl_add_u32 v10, v10, 23, v26
	v_or3_b32 v10, v25, v10, v18
	v_lshrrev_b32_e32 v18, 16, v10
.LBB863_529:
	s_or_b64 exec, exec, s[10:11]
.LBB863_530:
	s_or_b64 exec, exec, s[8:9]
.LBB863_531:
	s_or_b64 exec, exec, s[2:3]
	s_movk_i32 s2, 0xff
	v_and_b32_sdwa v27, v11, s2 dst_sel:DWORD dst_unused:UNUSED_PAD src0_sel:WORD_1 src1_sel:DWORD
	v_lshrrev_b32_e32 v10, 16, v11
	v_cmp_ne_u16_e32 vcc, 0, v27
	v_mov_b32_e32 v25, 0
	v_mov_b32_e32 v26, 0
	s_and_saveexec_b64 s[2:3], vcc
	s_cbranch_execz .LBB863_537
; %bb.532:
	s_movk_i32 s7, 0x80
	v_cmp_ne_u16_e32 vcc, s7, v27
	v_mov_b32_e32 v26, 0xffff8000
	s_and_saveexec_b64 s[8:9], vcc
	s_cbranch_execz .LBB863_536
; %bb.533:
	v_bfe_u32 v27, v11, 16, 7
	s_movk_i32 s7, 0x7f
	v_cmp_ne_u32_e32 vcc, s7, v27
	v_mov_b32_e32 v26, 0x7f80
	s_and_saveexec_b64 s[10:11], vcc
	s_cbranch_execz .LBB863_535
; %bb.534:
	v_and_b32_e32 v26, 7, v10
	v_ffbh_u32_e32 v30, v26
	v_min_u32_e32 v32, 32, v30
	v_subrev_u32_e32 v30, 28, v32
	v_lshlrev_b64 v[30:31], v30, v[10:11]
	v_lshrrev_b32_e32 v29, 3, v27
	v_sub_u32_e32 v10, 29, v32
	v_and_b32_e32 v30, 7, v30
	v_cmp_gt_u32_e32 vcc, 8, v27
	v_mov_b32_e32 v27, 24
	v_cndmask_b32_e32 v10, v29, v10, vcc
	v_cndmask_b32_e32 v26, v26, v30, vcc
	v_lshlrev_b32_sdwa v27, v27, v11 dst_sel:DWORD dst_unused:UNUSED_PAD src0_sel:DWORD src1_sel:WORD_1
	v_bfrev_b32_e32 v29, 60
	v_lshlrev_b32_e32 v26, 20, v26
	v_and_b32_e32 v27, 0x80000000, v27
	v_lshl_add_u32 v10, v10, 23, v29
	v_or3_b32 v10, v27, v10, v26
	v_lshrrev_b32_e32 v26, 16, v10
.LBB863_535:
	s_or_b64 exec, exec, s[10:11]
.LBB863_536:
	s_or_b64 exec, exec, s[8:9]
.LBB863_537:
	s_or_b64 exec, exec, s[2:3]
	s_mov_b32 s2, 0xffffff
	v_cmp_lt_u32_e32 vcc, s2, v11
	s_and_saveexec_b64 s[2:3], vcc
	s_cbranch_execz .LBB863_543
; %bb.538:
	v_lshrrev_b32_e32 v10, 24, v11
	s_movk_i32 s7, 0x80
	v_cmp_ne_u32_e32 vcc, s7, v10
	v_mov_b32_e32 v25, 0xffff8000
	s_and_saveexec_b64 s[8:9], vcc
	s_cbranch_execz .LBB863_542
; %bb.539:
	v_bfe_u32 v11, v11, 24, 7
	s_movk_i32 s7, 0x7f
	v_cmp_ne_u32_e32 vcc, s7, v11
	v_mov_b32_e32 v25, 0x7f80
	s_and_saveexec_b64 s[10:11], vcc
	s_cbranch_execz .LBB863_541
; %bb.540:
	v_and_b32_e32 v25, 7, v10
	v_ffbh_u32_e32 v29, v25
	v_min_u32_e32 v29, 32, v29
	v_subrev_u32_e32 v30, 28, v29
	v_lshlrev_b64 v[30:31], v30, v[10:11]
	v_lshrrev_b32_e32 v27, 3, v11
	v_sub_u32_e32 v29, 29, v29
	v_and_b32_e32 v30, 7, v30
	v_cmp_gt_u32_e32 vcc, 8, v11
	v_cndmask_b32_e32 v11, v27, v29, vcc
	v_cndmask_b32_e32 v25, v25, v30, vcc
	v_lshlrev_b32_e32 v10, 24, v10
	v_bfrev_b32_e32 v27, 60
	v_lshlrev_b32_e32 v25, 20, v25
	v_and_b32_e32 v10, 0x80000000, v10
	v_lshl_add_u32 v11, v11, 23, v27
	v_or3_b32 v10, v10, v11, v25
	v_lshrrev_b32_e32 v25, 16, v10
.LBB863_541:
	s_or_b64 exec, exec, s[10:11]
.LBB863_542:
	s_or_b64 exec, exec, s[8:9]
.LBB863_543:
	s_or_b64 exec, exec, s[2:3]
	s_mov_b32 s2, 0x5040100
	v_perm_b32 v11, v21, v23, s2
	v_perm_b32 v10, v19, v20, s2
	ds_read_b128 v[30:33], v22 offset:2048
	v_perm_b32 v21, v25, v26, s2
	v_perm_b32 v20, v18, v24, s2
	s_waitcnt lgkmcnt(0)
	v_mfma_f32_16x16x16bf16_1k v[14:17], v[10:11], v[30:31], v[14:17]
	v_mov_b32_e32 v11, 0
	v_cmp_ne_u16_sdwa s[8:9], v12, v11 src0_sel:BYTE_0 src1_sel:DWORD
	v_mov_b32_e32 v18, 0
	v_mfma_f32_16x16x16bf16_1k v[14:17], v[20:21], v[32:33], v[14:17]
	s_and_saveexec_b64 s[2:3], s[8:9]
	s_cbranch_execz .LBB863_549
; %bb.544:
	s_movk_i32 s7, 0x80
	v_cmp_ne_u16_sdwa s[10:11], v12, s7 src0_sel:BYTE_0 src1_sel:DWORD
	v_mov_b32_e32 v18, 0xffff8000
	s_and_saveexec_b64 s[8:9], s[10:11]
	s_cbranch_execz .LBB863_548
; %bb.545:
	s_movk_i32 s7, 0x7f
	v_and_b32_e32 v10, 0x7f, v12
	v_cmp_ne_u32_e32 vcc, s7, v10
	v_mov_b32_e32 v18, 0x7f80
	s_and_saveexec_b64 s[10:11], vcc
	s_cbranch_execz .LBB863_547
; %bb.546:
	v_and_b32_e32 v20, 7, v12
	v_ffbh_u32_e32 v18, v20
	v_min_u32_e32 v23, 32, v18
	v_subrev_u32_e32 v18, 28, v23
	v_lshlrev_b64 v[18:19], v18, v[12:13]
	v_lshrrev_b32_e32 v21, 3, v10
	v_sub_u32_e32 v19, 29, v23
	v_and_b32_e32 v18, 7, v18
	v_cmp_gt_u32_e32 vcc, 8, v10
	v_cndmask_b32_e32 v10, v21, v19, vcc
	v_cndmask_b32_e32 v18, v20, v18, vcc
	v_lshlrev_b32_e32 v19, 24, v12
	v_bfrev_b32_e32 v20, 60
	v_lshlrev_b32_e32 v18, 20, v18
	v_and_b32_e32 v19, 0x80000000, v19
	v_lshl_add_u32 v10, v10, 23, v20
	v_or3_b32 v10, v19, v10, v18
	v_lshrrev_b32_e32 v18, 16, v10
.LBB863_547:
	s_or_b64 exec, exec, s[10:11]
.LBB863_548:
	s_or_b64 exec, exec, s[8:9]
.LBB863_549:
	s_or_b64 exec, exec, s[2:3]
	v_lshrrev_b16_e32 v10, 8, v12
	v_cmp_ne_u16_e32 vcc, 0, v10
	s_and_saveexec_b64 s[2:3], vcc
	s_cbranch_execz .LBB863_555
; %bb.550:
	s_movk_i32 s7, 0x80
	v_cmp_ne_u16_e32 vcc, s7, v10
	v_mov_b32_e32 v11, 0xffff8000
	s_and_saveexec_b64 s[8:9], vcc
	s_cbranch_execz .LBB863_554
; %bb.551:
	s_movk_i32 s7, 0x7f
	v_and_b32_e32 v19, 0x7f, v10
	v_cmp_ne_u32_e32 vcc, s7, v19
	v_mov_b32_e32 v11, 0x7f80
	s_and_saveexec_b64 s[10:11], vcc
	s_cbranch_execz .LBB863_553
; %bb.552:
	v_and_b32_e32 v20, 7, v10
	v_ffbh_u32_e32 v11, v20
	v_min_u32_e32 v23, 32, v11
	v_subrev_u32_e32 v11, 28, v23
	v_lshlrev_b64 v[10:11], v11, v[10:11]
	v_lshrrev_b32_e32 v21, 3, v19
	v_sub_u32_e32 v11, 29, v23
	v_and_b32_e32 v10, 7, v10
	v_cmp_gt_u32_e32 vcc, 8, v19
	v_cndmask_b32_e32 v11, v21, v11, vcc
	v_cndmask_b32_e32 v10, v20, v10, vcc
	v_lshlrev_b32_e32 v19, 16, v12
	v_bfrev_b32_e32 v20, 60
	v_lshlrev_b32_e32 v10, 20, v10
	v_and_b32_e32 v19, 0x80000000, v19
	v_lshl_add_u32 v11, v11, 23, v20
	v_or3_b32 v10, v19, v11, v10
	v_lshrrev_b32_e32 v11, 16, v10
.LBB863_553:
	s_or_b64 exec, exec, s[10:11]
.LBB863_554:
	s_or_b64 exec, exec, s[8:9]
.LBB863_555:
	s_or_b64 exec, exec, s[2:3]
	s_movk_i32 s2, 0xff
	v_and_b32_sdwa v21, v12, s2 dst_sel:DWORD dst_unused:UNUSED_PAD src0_sel:WORD_1 src1_sel:DWORD
	v_lshrrev_b32_e32 v10, 16, v12
	v_cmp_ne_u16_e32 vcc, 0, v21
	v_mov_b32_e32 v19, 0
	v_mov_b32_e32 v20, 0
	s_and_saveexec_b64 s[2:3], vcc
	s_cbranch_execz .LBB863_561
; %bb.556:
	s_movk_i32 s7, 0x80
	v_cmp_ne_u16_e32 vcc, s7, v21
	v_mov_b32_e32 v20, 0xffff8000
	s_and_saveexec_b64 s[8:9], vcc
	s_cbranch_execz .LBB863_560
; %bb.557:
	v_bfe_u32 v21, v12, 16, 7
	s_movk_i32 s7, 0x7f
	v_cmp_ne_u32_e32 vcc, s7, v21
	v_mov_b32_e32 v20, 0x7f80
	s_and_saveexec_b64 s[10:11], vcc
	s_cbranch_execz .LBB863_559
; %bb.558:
	v_and_b32_e32 v20, 7, v10
	v_ffbh_u32_e32 v24, v20
	v_min_u32_e32 v26, 32, v24
	v_subrev_u32_e32 v24, 28, v26
	v_lshlrev_b64 v[24:25], v24, v[10:11]
	v_lshrrev_b32_e32 v23, 3, v21
	v_sub_u32_e32 v10, 29, v26
	v_and_b32_e32 v24, 7, v24
	v_cmp_gt_u32_e32 vcc, 8, v21
	v_mov_b32_e32 v21, 24
	v_cndmask_b32_e32 v10, v23, v10, vcc
	v_cndmask_b32_e32 v20, v20, v24, vcc
	v_lshlrev_b32_sdwa v21, v21, v12 dst_sel:DWORD dst_unused:UNUSED_PAD src0_sel:DWORD src1_sel:WORD_1
	v_bfrev_b32_e32 v23, 60
	v_lshlrev_b32_e32 v20, 20, v20
	v_and_b32_e32 v21, 0x80000000, v21
	v_lshl_add_u32 v10, v10, 23, v23
	v_or3_b32 v10, v21, v10, v20
	v_lshrrev_b32_e32 v20, 16, v10
.LBB863_559:
	s_or_b64 exec, exec, s[10:11]
.LBB863_560:
	s_or_b64 exec, exec, s[8:9]
.LBB863_561:
	s_or_b64 exec, exec, s[2:3]
	s_mov_b32 s2, 0xffffff
	v_cmp_lt_u32_e32 vcc, s2, v12
	s_and_saveexec_b64 s[2:3], vcc
	s_cbranch_execz .LBB863_567
; %bb.562:
	v_lshrrev_b32_e32 v10, 24, v12
	s_movk_i32 s7, 0x80
	v_cmp_ne_u32_e32 vcc, s7, v10
	v_mov_b32_e32 v19, 0xffff8000
	s_and_saveexec_b64 s[8:9], vcc
	s_cbranch_execz .LBB863_566
; %bb.563:
	v_bfe_u32 v12, v12, 24, 7
	s_movk_i32 s7, 0x7f
	v_cmp_ne_u32_e32 vcc, s7, v12
	v_mov_b32_e32 v19, 0x7f80
	s_and_saveexec_b64 s[10:11], vcc
	s_cbranch_execz .LBB863_565
; %bb.564:
	v_and_b32_e32 v19, 7, v10
	v_ffbh_u32_e32 v23, v19
	v_min_u32_e32 v23, 32, v23
	v_subrev_u32_e32 v24, 28, v23
	v_lshlrev_b64 v[24:25], v24, v[10:11]
	v_lshrrev_b32_e32 v21, 3, v12
	v_sub_u32_e32 v23, 29, v23
	v_and_b32_e32 v24, 7, v24
	v_cmp_gt_u32_e32 vcc, 8, v12
	v_cndmask_b32_e32 v12, v21, v23, vcc
	v_cndmask_b32_e32 v19, v19, v24, vcc
	v_lshlrev_b32_e32 v10, 24, v10
	v_bfrev_b32_e32 v21, 60
	v_lshlrev_b32_e32 v19, 20, v19
	v_and_b32_e32 v10, 0x80000000, v10
	v_lshl_add_u32 v12, v12, 23, v21
	v_or3_b32 v10, v10, v12, v19
	v_lshrrev_b32_e32 v19, 16, v10
.LBB863_565:
	s_or_b64 exec, exec, s[10:11]
.LBB863_566:
	s_or_b64 exec, exec, s[8:9]
.LBB863_567:
	s_or_b64 exec, exec, s[2:3]
	v_mov_b32_e32 v12, 0
	v_cmp_ne_u16_sdwa s[8:9], v13, v12 src0_sel:BYTE_0 src1_sel:DWORD
	v_mov_b32_e32 v21, 0
	s_and_saveexec_b64 s[2:3], s[8:9]
	s_cbranch_execz .LBB863_573
; %bb.568:
	s_movk_i32 s7, 0x80
	v_cmp_ne_u16_sdwa s[10:11], v13, s7 src0_sel:BYTE_0 src1_sel:DWORD
	v_mov_b32_e32 v21, 0xffff8000
	s_and_saveexec_b64 s[8:9], s[10:11]
	s_cbranch_execz .LBB863_572
; %bb.569:
	s_movk_i32 s7, 0x7f
	v_and_b32_e32 v10, 0x7f, v13
	v_cmp_ne_u32_e32 vcc, s7, v10
	v_mov_b32_e32 v21, 0x7f80
	s_and_saveexec_b64 s[10:11], vcc
	s_cbranch_execz .LBB863_571
; %bb.570:
	v_and_b32_e32 v21, 7, v13
	v_ffbh_u32_e32 v25, v21
	v_min_u32_e32 v26, 32, v25
	v_mov_b32_e32 v24, v13
	v_subrev_u32_e32 v25, 28, v26
	v_lshlrev_b64 v[24:25], v25, v[24:25]
	v_lshrrev_b32_e32 v23, 3, v10
	v_sub_u32_e32 v25, 29, v26
	v_and_b32_e32 v24, 7, v24
	v_cmp_gt_u32_e32 vcc, 8, v10
	v_cndmask_b32_e32 v10, v23, v25, vcc
	v_cndmask_b32_e32 v21, v21, v24, vcc
	v_lshlrev_b32_e32 v23, 24, v13
	v_bfrev_b32_e32 v24, 60
	v_lshlrev_b32_e32 v21, 20, v21
	v_and_b32_e32 v23, 0x80000000, v23
	v_lshl_add_u32 v10, v10, 23, v24
	v_or3_b32 v10, v23, v10, v21
	v_lshrrev_b32_e32 v21, 16, v10
.LBB863_571:
	s_or_b64 exec, exec, s[10:11]
.LBB863_572:
	s_or_b64 exec, exec, s[8:9]
.LBB863_573:
	s_or_b64 exec, exec, s[2:3]
	v_lshrrev_b16_e32 v10, 8, v13
	v_cmp_ne_u16_e32 vcc, 0, v10
	s_and_saveexec_b64 s[2:3], vcc
	s_cbranch_execz .LBB863_579
; %bb.574:
	s_movk_i32 s7, 0x80
	v_cmp_ne_u16_e32 vcc, s7, v10
	v_mov_b32_e32 v12, 0xffff8000
	s_and_saveexec_b64 s[8:9], vcc
	s_cbranch_execz .LBB863_578
; %bb.575:
	s_movk_i32 s7, 0x7f
	v_and_b32_e32 v23, 0x7f, v10
	v_cmp_ne_u32_e32 vcc, s7, v23
	v_mov_b32_e32 v12, 0x7f80
	s_and_saveexec_b64 s[10:11], vcc
	s_cbranch_execz .LBB863_577
; %bb.576:
	v_and_b32_e32 v12, 7, v10
	v_ffbh_u32_e32 v24, v12
	v_min_u32_e32 v27, 32, v24
	v_subrev_u32_e32 v24, 28, v27
	v_lshlrev_b64 v[24:25], v24, v[10:11]
	v_lshrrev_b32_e32 v26, 3, v23
	v_sub_u32_e32 v10, 29, v27
	v_and_b32_e32 v24, 7, v24
	v_cmp_gt_u32_e32 vcc, 8, v23
	v_cndmask_b32_e32 v10, v26, v10, vcc
	v_cndmask_b32_e32 v12, v12, v24, vcc
	v_lshlrev_b32_e32 v23, 16, v13
	v_bfrev_b32_e32 v24, 60
	v_lshlrev_b32_e32 v12, 20, v12
	v_and_b32_e32 v23, 0x80000000, v23
	v_lshl_add_u32 v10, v10, 23, v24
	v_or3_b32 v10, v23, v10, v12
	v_lshrrev_b32_e32 v12, 16, v10
.LBB863_577:
	s_or_b64 exec, exec, s[10:11]
.LBB863_578:
	s_or_b64 exec, exec, s[8:9]
.LBB863_579:
	s_or_b64 exec, exec, s[2:3]
	s_movk_i32 s2, 0xff
	v_and_b32_sdwa v25, v13, s2 dst_sel:DWORD dst_unused:UNUSED_PAD src0_sel:WORD_1 src1_sel:DWORD
	v_lshrrev_b32_e32 v10, 16, v13
	v_cmp_ne_u16_e32 vcc, 0, v25
	v_mov_b32_e32 v23, 0
	v_mov_b32_e32 v24, 0
	s_and_saveexec_b64 s[2:3], vcc
	s_cbranch_execz .LBB863_585
; %bb.580:
	s_movk_i32 s7, 0x80
	v_cmp_ne_u16_e32 vcc, s7, v25
	v_mov_b32_e32 v24, 0xffff8000
	s_and_saveexec_b64 s[8:9], vcc
	s_cbranch_execz .LBB863_584
; %bb.581:
	v_bfe_u32 v25, v13, 16, 7
	s_movk_i32 s7, 0x7f
	v_cmp_ne_u32_e32 vcc, s7, v25
	v_mov_b32_e32 v24, 0x7f80
	s_and_saveexec_b64 s[10:11], vcc
	s_cbranch_execz .LBB863_583
; %bb.582:
	v_and_b32_e32 v24, 7, v10
	v_ffbh_u32_e32 v26, v24
	v_min_u32_e32 v30, 32, v26
	v_subrev_u32_e32 v26, 28, v30
	v_lshlrev_b64 v[26:27], v26, v[10:11]
	v_lshrrev_b32_e32 v29, 3, v25
	v_sub_u32_e32 v10, 29, v30
	v_and_b32_e32 v26, 7, v26
	v_cmp_gt_u32_e32 vcc, 8, v25
	v_mov_b32_e32 v25, 24
	v_cndmask_b32_e32 v10, v29, v10, vcc
	v_cndmask_b32_e32 v24, v24, v26, vcc
	v_lshlrev_b32_sdwa v25, v25, v13 dst_sel:DWORD dst_unused:UNUSED_PAD src0_sel:DWORD src1_sel:WORD_1
	v_bfrev_b32_e32 v26, 60
	v_lshlrev_b32_e32 v24, 20, v24
	v_and_b32_e32 v25, 0x80000000, v25
	v_lshl_add_u32 v10, v10, 23, v26
	v_or3_b32 v10, v25, v10, v24
	v_lshrrev_b32_e32 v24, 16, v10
.LBB863_583:
	s_or_b64 exec, exec, s[10:11]
.LBB863_584:
	s_or_b64 exec, exec, s[8:9]
.LBB863_585:
	s_or_b64 exec, exec, s[2:3]
	s_mov_b32 s2, 0xffffff
	v_cmp_lt_u32_e32 vcc, s2, v13
	s_and_saveexec_b64 s[2:3], vcc
	s_cbranch_execz .LBB863_591
; %bb.586:
	v_lshrrev_b32_e32 v10, 24, v13
	s_movk_i32 s7, 0x80
	v_cmp_ne_u32_e32 vcc, s7, v10
	v_mov_b32_e32 v23, 0xffff8000
	s_and_saveexec_b64 s[8:9], vcc
	s_cbranch_execz .LBB863_590
; %bb.587:
	v_bfe_u32 v13, v13, 24, 7
	s_movk_i32 s7, 0x7f
	v_cmp_ne_u32_e32 vcc, s7, v13
	v_mov_b32_e32 v23, 0x7f80
	s_and_saveexec_b64 s[10:11], vcc
	s_cbranch_execz .LBB863_589
; %bb.588:
	v_and_b32_e32 v23, 7, v10
	v_ffbh_u32_e32 v26, v23
	v_min_u32_e32 v29, 32, v26
	v_subrev_u32_e32 v26, 28, v29
	v_lshlrev_b64 v[26:27], v26, v[10:11]
	v_lshrrev_b32_e32 v25, 3, v13
	v_sub_u32_e32 v27, 29, v29
	v_and_b32_e32 v26, 7, v26
	v_cmp_gt_u32_e32 vcc, 8, v13
	v_cndmask_b32_e32 v13, v25, v27, vcc
	v_cndmask_b32_e32 v23, v23, v26, vcc
	v_lshlrev_b32_e32 v10, 24, v10
	v_bfrev_b32_e32 v25, 60
	v_lshlrev_b32_e32 v23, 20, v23
	v_and_b32_e32 v10, 0x80000000, v10
	v_lshl_add_u32 v13, v13, 23, v25
	v_or3_b32 v10, v10, v13, v23
	v_lshrrev_b32_e32 v23, 16, v10
.LBB863_589:
	s_or_b64 exec, exec, s[10:11]
.LBB863_590:
	s_or_b64 exec, exec, s[8:9]
.LBB863_591:
	s_or_b64 exec, exec, s[2:3]
	s_mov_b32 s2, 0x5040100
	v_perm_b32 v19, v19, v20, s2
	v_perm_b32 v18, v11, v18, s2
	ds_read_b128 v[30:33], v22 offset:2064
	v_perm_b32 v11, v23, v24, s2
	v_perm_b32 v10, v12, v21, s2
	s_waitcnt lgkmcnt(0)
	v_mfma_f32_16x16x16bf16_1k v[34:37], v[18:19], v[30:31], v[14:17]
	s_nop 6
	v_mov_b32_e32 v15, 0
	s_waitcnt vmcnt(1)
	v_cmp_ne_u16_sdwa s[8:9], v6, v15 src0_sel:BYTE_0 src1_sel:DWORD
	v_mfma_f32_16x16x16bf16_1k v[10:13], v[10:11], v[32:33], v[34:37]
	v_mov_b32_e32 v16, 0
	s_and_saveexec_b64 s[2:3], s[8:9]
	s_cbranch_execz .LBB863_597
; %bb.592:
	s_movk_i32 s7, 0x80
	v_cmp_ne_u16_sdwa s[10:11], v6, s7 src0_sel:BYTE_0 src1_sel:DWORD
	v_mov_b32_e32 v16, 0xffff8000
	s_and_saveexec_b64 s[8:9], s[10:11]
	s_cbranch_execz .LBB863_596
; %bb.593:
	s_movk_i32 s7, 0x7f
	v_and_b32_e32 v14, 0x7f, v6
	v_cmp_ne_u32_e32 vcc, s7, v14
	v_mov_b32_e32 v16, 0x7f80
	s_and_saveexec_b64 s[10:11], vcc
	s_cbranch_execz .LBB863_595
; %bb.594:
	v_and_b32_e32 v18, 7, v6
	v_ffbh_u32_e32 v16, v18
	v_min_u32_e32 v20, 32, v16
	v_subrev_u32_e32 v16, 28, v20
	v_lshlrev_b64 v[16:17], v16, v[6:7]
	v_lshrrev_b32_e32 v19, 3, v14
	v_sub_u32_e32 v17, 29, v20
	v_and_b32_e32 v16, 7, v16
	v_cmp_gt_u32_e32 vcc, 8, v14
	v_cndmask_b32_e32 v14, v19, v17, vcc
	v_cndmask_b32_e32 v16, v18, v16, vcc
	v_lshlrev_b32_e32 v17, 24, v6
	v_bfrev_b32_e32 v18, 60
	v_lshlrev_b32_e32 v16, 20, v16
	v_and_b32_e32 v17, 0x80000000, v17
	v_lshl_add_u32 v14, v14, 23, v18
	v_or3_b32 v14, v17, v14, v16
	v_lshrrev_b32_e32 v16, 16, v14
.LBB863_595:
	s_or_b64 exec, exec, s[10:11]
.LBB863_596:
	s_or_b64 exec, exec, s[8:9]
.LBB863_597:
	s_or_b64 exec, exec, s[2:3]
	v_lshrrev_b16_e32 v14, 8, v6
	v_cmp_ne_u16_e32 vcc, 0, v14
	s_and_saveexec_b64 s[2:3], vcc
	s_cbranch_execz .LBB863_603
; %bb.598:
	s_movk_i32 s7, 0x80
	v_cmp_ne_u16_e32 vcc, s7, v14
	v_mov_b32_e32 v15, 0xffff8000
	s_and_saveexec_b64 s[8:9], vcc
	s_cbranch_execz .LBB863_602
; %bb.599:
	s_movk_i32 s7, 0x7f
	v_and_b32_e32 v17, 0x7f, v14
	v_cmp_ne_u32_e32 vcc, s7, v17
	v_mov_b32_e32 v15, 0x7f80
	s_and_saveexec_b64 s[10:11], vcc
	s_cbranch_execz .LBB863_601
; %bb.600:
	v_and_b32_e32 v18, 7, v14
	v_ffbh_u32_e32 v15, v18
	v_min_u32_e32 v20, 32, v15
	v_subrev_u32_e32 v15, 28, v20
	v_lshlrev_b64 v[14:15], v15, v[14:15]
	v_lshrrev_b32_e32 v19, 3, v17
	v_sub_u32_e32 v15, 29, v20
	v_and_b32_e32 v14, 7, v14
	v_cmp_gt_u32_e32 vcc, 8, v17
	v_cndmask_b32_e32 v15, v19, v15, vcc
	v_cndmask_b32_e32 v14, v18, v14, vcc
	v_lshlrev_b32_e32 v17, 16, v6
	v_bfrev_b32_e32 v18, 60
	v_lshlrev_b32_e32 v14, 20, v14
	v_and_b32_e32 v17, 0x80000000, v17
	v_lshl_add_u32 v15, v15, 23, v18
	v_or3_b32 v14, v17, v15, v14
	v_lshrrev_b32_e32 v15, 16, v14
.LBB863_601:
	s_or_b64 exec, exec, s[10:11]
.LBB863_602:
	s_or_b64 exec, exec, s[8:9]
.LBB863_603:
	s_or_b64 exec, exec, s[2:3]
	s_movk_i32 s2, 0xff
	v_and_b32_sdwa v19, v6, s2 dst_sel:DWORD dst_unused:UNUSED_PAD src0_sel:WORD_1 src1_sel:DWORD
	v_lshrrev_b32_e32 v14, 16, v6
	v_cmp_ne_u16_e32 vcc, 0, v19
	v_mov_b32_e32 v17, 0
	v_mov_b32_e32 v18, 0
	s_and_saveexec_b64 s[2:3], vcc
	s_cbranch_execz .LBB863_609
; %bb.604:
	s_movk_i32 s7, 0x80
	v_cmp_ne_u16_e32 vcc, s7, v19
	v_mov_b32_e32 v18, 0xffff8000
	s_and_saveexec_b64 s[8:9], vcc
	s_cbranch_execz .LBB863_608
; %bb.605:
	v_bfe_u32 v19, v6, 16, 7
	s_movk_i32 s7, 0x7f
	v_cmp_ne_u32_e32 vcc, s7, v19
	v_mov_b32_e32 v18, 0x7f80
	s_and_saveexec_b64 s[10:11], vcc
	s_cbranch_execz .LBB863_607
; %bb.606:
	v_and_b32_e32 v18, 7, v14
	v_ffbh_u32_e32 v20, v18
	v_min_u32_e32 v24, 32, v20
	v_subrev_u32_e32 v20, 28, v24
	v_lshlrev_b64 v[20:21], v20, v[14:15]
	v_lshrrev_b32_e32 v23, 3, v19
	v_sub_u32_e32 v14, 29, v24
	v_and_b32_e32 v20, 7, v20
	v_cmp_gt_u32_e32 vcc, 8, v19
	v_mov_b32_e32 v19, 24
	v_cndmask_b32_e32 v14, v23, v14, vcc
	v_cndmask_b32_e32 v18, v18, v20, vcc
	v_lshlrev_b32_sdwa v19, v19, v6 dst_sel:DWORD dst_unused:UNUSED_PAD src0_sel:DWORD src1_sel:WORD_1
	v_bfrev_b32_e32 v20, 60
	v_lshlrev_b32_e32 v18, 20, v18
	v_and_b32_e32 v19, 0x80000000, v19
	v_lshl_add_u32 v14, v14, 23, v20
	v_or3_b32 v14, v19, v14, v18
	v_lshrrev_b32_e32 v18, 16, v14
.LBB863_607:
	s_or_b64 exec, exec, s[10:11]
.LBB863_608:
	s_or_b64 exec, exec, s[8:9]
.LBB863_609:
	s_or_b64 exec, exec, s[2:3]
	s_mov_b32 s2, 0xffffff
	v_cmp_lt_u32_e32 vcc, s2, v6
	s_and_saveexec_b64 s[2:3], vcc
	s_cbranch_execz .LBB863_615
; %bb.610:
	v_lshrrev_b32_e32 v14, 24, v6
	s_movk_i32 s7, 0x80
	v_cmp_ne_u32_e32 vcc, s7, v14
	v_mov_b32_e32 v17, 0xffff8000
	s_and_saveexec_b64 s[8:9], vcc
	s_cbranch_execz .LBB863_614
; %bb.611:
	v_bfe_u32 v6, v6, 24, 7
	s_movk_i32 s7, 0x7f
	v_cmp_ne_u32_e32 vcc, s7, v6
	v_mov_b32_e32 v17, 0x7f80
	s_and_saveexec_b64 s[10:11], vcc
	s_cbranch_execz .LBB863_613
; %bb.612:
	v_and_b32_e32 v17, 7, v14
	v_ffbh_u32_e32 v20, v17
	v_min_u32_e32 v23, 32, v20
	v_subrev_u32_e32 v20, 28, v23
	v_lshlrev_b64 v[20:21], v20, v[14:15]
	v_lshrrev_b32_e32 v19, 3, v6
	v_sub_u32_e32 v21, 29, v23
	v_and_b32_e32 v20, 7, v20
	v_cmp_gt_u32_e32 vcc, 8, v6
	v_cndmask_b32_e32 v6, v19, v21, vcc
	v_cndmask_b32_e32 v17, v17, v20, vcc
	v_lshlrev_b32_e32 v14, 24, v14
	v_bfrev_b32_e32 v19, 60
	v_lshlrev_b32_e32 v17, 20, v17
	v_and_b32_e32 v14, 0x80000000, v14
	v_lshl_add_u32 v6, v6, 23, v19
	v_or3_b32 v6, v14, v6, v17
	v_lshrrev_b32_e32 v17, 16, v6
.LBB863_613:
	s_or_b64 exec, exec, s[10:11]
.LBB863_614:
	s_or_b64 exec, exec, s[8:9]
.LBB863_615:
	s_or_b64 exec, exec, s[2:3]
	v_mov_b32_e32 v14, 0
	v_cmp_ne_u16_sdwa s[8:9], v7, v14 src0_sel:BYTE_0 src1_sel:DWORD
	v_mov_b32_e32 v19, 0
	s_and_saveexec_b64 s[2:3], s[8:9]
	s_cbranch_execz .LBB863_621
; %bb.616:
	s_movk_i32 s7, 0x80
	v_cmp_ne_u16_sdwa s[10:11], v7, s7 src0_sel:BYTE_0 src1_sel:DWORD
	v_mov_b32_e32 v19, 0xffff8000
	s_and_saveexec_b64 s[8:9], s[10:11]
	s_cbranch_execz .LBB863_620
; %bb.617:
	s_movk_i32 s7, 0x7f
	v_and_b32_e32 v6, 0x7f, v7
	v_cmp_ne_u32_e32 vcc, s7, v6
	v_mov_b32_e32 v19, 0x7f80
	s_and_saveexec_b64 s[10:11], vcc
	s_cbranch_execz .LBB863_619
; %bb.618:
	v_and_b32_e32 v19, 7, v7
	v_ffbh_u32_e32 v21, v19
	v_min_u32_e32 v24, 32, v21
	v_mov_b32_e32 v20, v7
	v_subrev_u32_e32 v21, 28, v24
	v_lshlrev_b64 v[20:21], v21, v[20:21]
	v_lshrrev_b32_e32 v23, 3, v6
	v_sub_u32_e32 v21, 29, v24
	v_and_b32_e32 v20, 7, v20
	v_cmp_gt_u32_e32 vcc, 8, v6
	v_cndmask_b32_e32 v6, v23, v21, vcc
	v_cndmask_b32_e32 v19, v19, v20, vcc
	v_lshlrev_b32_e32 v20, 24, v7
	v_bfrev_b32_e32 v21, 60
	v_lshlrev_b32_e32 v19, 20, v19
	v_and_b32_e32 v20, 0x80000000, v20
	v_lshl_add_u32 v6, v6, 23, v21
	v_or3_b32 v6, v20, v6, v19
	v_lshrrev_b32_e32 v19, 16, v6
.LBB863_619:
	s_or_b64 exec, exec, s[10:11]
.LBB863_620:
	s_or_b64 exec, exec, s[8:9]
.LBB863_621:
	s_or_b64 exec, exec, s[2:3]
	v_lshrrev_b16_e32 v6, 8, v7
	v_cmp_ne_u16_e32 vcc, 0, v6
	s_and_saveexec_b64 s[2:3], vcc
	s_cbranch_execz .LBB863_627
; %bb.622:
	s_movk_i32 s7, 0x80
	v_cmp_ne_u16_e32 vcc, s7, v6
	v_mov_b32_e32 v14, 0xffff8000
	s_and_saveexec_b64 s[8:9], vcc
	s_cbranch_execz .LBB863_626
; %bb.623:
	s_movk_i32 s7, 0x7f
	v_and_b32_e32 v20, 0x7f, v6
	v_cmp_ne_u32_e32 vcc, s7, v20
	v_mov_b32_e32 v14, 0x7f80
	s_and_saveexec_b64 s[10:11], vcc
	s_cbranch_execz .LBB863_625
; %bb.624:
	v_and_b32_e32 v14, 7, v6
	v_ffbh_u32_e32 v23, v14
	v_min_u32_e32 v23, 32, v23
	v_subrev_u32_e32 v24, 28, v23
	v_lshlrev_b64 v[24:25], v24, v[6:7]
	v_lshrrev_b32_e32 v21, 3, v20
	v_sub_u32_e32 v6, 29, v23
	v_and_b32_e32 v23, 7, v24
	v_cmp_gt_u32_e32 vcc, 8, v20
	v_cndmask_b32_e32 v6, v21, v6, vcc
	v_cndmask_b32_e32 v14, v14, v23, vcc
	v_lshlrev_b32_e32 v20, 16, v7
	v_bfrev_b32_e32 v21, 60
	v_lshlrev_b32_e32 v14, 20, v14
	v_and_b32_e32 v20, 0x80000000, v20
	v_lshl_add_u32 v6, v6, 23, v21
	v_or3_b32 v6, v20, v6, v14
	v_lshrrev_b32_e32 v14, 16, v6
.LBB863_625:
	s_or_b64 exec, exec, s[10:11]
.LBB863_626:
	s_or_b64 exec, exec, s[8:9]
.LBB863_627:
	s_or_b64 exec, exec, s[2:3]
	s_movk_i32 s2, 0xff
	v_and_b32_sdwa v23, v7, s2 dst_sel:DWORD dst_unused:UNUSED_PAD src0_sel:WORD_1 src1_sel:DWORD
	v_lshrrev_b32_e32 v6, 16, v7
	v_cmp_ne_u16_e32 vcc, 0, v23
	v_mov_b32_e32 v20, 0
	v_mov_b32_e32 v21, 0
	s_and_saveexec_b64 s[2:3], vcc
	s_cbranch_execz .LBB863_633
; %bb.628:
	s_movk_i32 s7, 0x80
	v_cmp_ne_u16_e32 vcc, s7, v23
	v_mov_b32_e32 v21, 0xffff8000
	s_and_saveexec_b64 s[8:9], vcc
	s_cbranch_execz .LBB863_632
; %bb.629:
	v_bfe_u32 v23, v7, 16, 7
	s_movk_i32 s7, 0x7f
	v_cmp_ne_u32_e32 vcc, s7, v23
	v_mov_b32_e32 v21, 0x7f80
	s_and_saveexec_b64 s[10:11], vcc
	s_cbranch_execz .LBB863_631
; %bb.630:
	v_and_b32_e32 v21, 7, v6
	v_ffbh_u32_e32 v24, v21
	v_min_u32_e32 v27, 32, v24
	v_subrev_u32_e32 v24, 28, v27
	v_lshlrev_b64 v[24:25], v24, v[6:7]
	v_lshrrev_b32_e32 v26, 3, v23
	v_sub_u32_e32 v6, 29, v27
	v_and_b32_e32 v24, 7, v24
	v_cmp_gt_u32_e32 vcc, 8, v23
	v_mov_b32_e32 v23, 24
	v_cndmask_b32_e32 v6, v26, v6, vcc
	v_cndmask_b32_e32 v21, v21, v24, vcc
	v_lshlrev_b32_sdwa v23, v23, v7 dst_sel:DWORD dst_unused:UNUSED_PAD src0_sel:DWORD src1_sel:WORD_1
	v_bfrev_b32_e32 v24, 60
	v_lshlrev_b32_e32 v21, 20, v21
	v_and_b32_e32 v23, 0x80000000, v23
	v_lshl_add_u32 v6, v6, 23, v24
	v_or3_b32 v6, v23, v6, v21
	v_lshrrev_b32_e32 v21, 16, v6
.LBB863_631:
	s_or_b64 exec, exec, s[10:11]
.LBB863_632:
	s_or_b64 exec, exec, s[8:9]
.LBB863_633:
	s_or_b64 exec, exec, s[2:3]
	s_mov_b32 s2, 0xffffff
	v_cmp_lt_u32_e32 vcc, s2, v7
	s_and_saveexec_b64 s[2:3], vcc
	s_cbranch_execz .LBB863_639
; %bb.634:
	v_lshrrev_b32_e32 v6, 24, v7
	s_movk_i32 s7, 0x80
	v_cmp_ne_u32_e32 vcc, s7, v6
	v_mov_b32_e32 v20, 0xffff8000
	s_and_saveexec_b64 s[8:9], vcc
	s_cbranch_execz .LBB863_638
; %bb.635:
	v_bfe_u32 v7, v7, 24, 7
	s_movk_i32 s7, 0x7f
	v_cmp_ne_u32_e32 vcc, s7, v7
	v_mov_b32_e32 v20, 0x7f80
	s_and_saveexec_b64 s[10:11], vcc
	s_cbranch_execz .LBB863_637
; %bb.636:
	v_and_b32_e32 v20, 7, v6
	v_ffbh_u32_e32 v24, v20
	v_min_u32_e32 v26, 32, v24
	v_subrev_u32_e32 v24, 28, v26
	v_lshlrev_b64 v[24:25], v24, v[6:7]
	v_lshrrev_b32_e32 v23, 3, v7
	v_sub_u32_e32 v25, 29, v26
	v_and_b32_e32 v24, 7, v24
	v_cmp_gt_u32_e32 vcc, 8, v7
	v_cndmask_b32_e32 v7, v23, v25, vcc
	v_cndmask_b32_e32 v20, v20, v24, vcc
	v_lshlrev_b32_e32 v6, 24, v6
	v_bfrev_b32_e32 v23, 60
	v_lshlrev_b32_e32 v20, 20, v20
	v_and_b32_e32 v6, 0x80000000, v6
	v_lshl_add_u32 v7, v7, 23, v23
	v_or3_b32 v6, v6, v7, v20
	v_lshrrev_b32_e32 v20, 16, v6
.LBB863_637:
	s_or_b64 exec, exec, s[10:11]
.LBB863_638:
	s_or_b64 exec, exec, s[8:9]
.LBB863_639:
	s_or_b64 exec, exec, s[2:3]
	s_mov_b32 s2, 0x5040100
	v_perm_b32 v7, v17, v18, s2
	v_perm_b32 v6, v15, v16, s2
	ds_read_b128 v[24:27], v22 offset:4096
	v_perm_b32 v17, v20, v21, s2
	v_perm_b32 v16, v14, v19, s2
	s_waitcnt lgkmcnt(0)
	v_mfma_f32_16x16x16bf16_1k v[10:13], v[6:7], v[24:25], v[10:13]
	v_mov_b32_e32 v7, 0
	v_cmp_ne_u16_sdwa s[8:9], v8, v7 src0_sel:BYTE_0 src1_sel:DWORD
	v_mov_b32_e32 v14, 0
	v_mfma_f32_16x16x16bf16_1k v[10:13], v[16:17], v[26:27], v[10:13]
	s_and_saveexec_b64 s[2:3], s[8:9]
	s_cbranch_execz .LBB863_645
; %bb.640:
	s_movk_i32 s7, 0x80
	v_cmp_ne_u16_sdwa s[10:11], v8, s7 src0_sel:BYTE_0 src1_sel:DWORD
	v_mov_b32_e32 v14, 0xffff8000
	s_and_saveexec_b64 s[8:9], s[10:11]
	s_cbranch_execz .LBB863_644
; %bb.641:
	s_movk_i32 s7, 0x7f
	v_and_b32_e32 v6, 0x7f, v8
	v_cmp_ne_u32_e32 vcc, s7, v6
	v_mov_b32_e32 v14, 0x7f80
	s_and_saveexec_b64 s[10:11], vcc
	s_cbranch_execz .LBB863_643
; %bb.642:
	v_and_b32_e32 v16, 7, v8
	v_ffbh_u32_e32 v14, v16
	v_min_u32_e32 v18, 32, v14
	v_subrev_u32_e32 v14, 28, v18
	v_lshlrev_b64 v[14:15], v14, v[8:9]
	v_lshrrev_b32_e32 v17, 3, v6
	v_sub_u32_e32 v15, 29, v18
	v_and_b32_e32 v14, 7, v14
	v_cmp_gt_u32_e32 vcc, 8, v6
	v_cndmask_b32_e32 v6, v17, v15, vcc
	v_cndmask_b32_e32 v14, v16, v14, vcc
	v_lshlrev_b32_e32 v15, 24, v8
	v_bfrev_b32_e32 v16, 60
	v_lshlrev_b32_e32 v14, 20, v14
	v_and_b32_e32 v15, 0x80000000, v15
	v_lshl_add_u32 v6, v6, 23, v16
	v_or3_b32 v6, v15, v6, v14
	v_lshrrev_b32_e32 v14, 16, v6
.LBB863_643:
	s_or_b64 exec, exec, s[10:11]
.LBB863_644:
	s_or_b64 exec, exec, s[8:9]
.LBB863_645:
	s_or_b64 exec, exec, s[2:3]
	v_lshrrev_b16_e32 v6, 8, v8
	v_cmp_ne_u16_e32 vcc, 0, v6
	s_and_saveexec_b64 s[2:3], vcc
	s_cbranch_execz .LBB863_651
; %bb.646:
	s_movk_i32 s7, 0x80
	v_cmp_ne_u16_e32 vcc, s7, v6
	v_mov_b32_e32 v7, 0xffff8000
	s_and_saveexec_b64 s[8:9], vcc
	s_cbranch_execz .LBB863_650
; %bb.647:
	s_movk_i32 s7, 0x7f
	v_and_b32_e32 v15, 0x7f, v6
	v_cmp_ne_u32_e32 vcc, s7, v15
	v_mov_b32_e32 v7, 0x7f80
	s_and_saveexec_b64 s[10:11], vcc
	s_cbranch_execz .LBB863_649
; %bb.648:
	v_and_b32_e32 v16, 7, v6
	v_ffbh_u32_e32 v7, v16
	v_min_u32_e32 v18, 32, v7
	v_subrev_u32_e32 v7, 28, v18
	v_lshlrev_b64 v[6:7], v7, v[6:7]
	v_lshrrev_b32_e32 v17, 3, v15
	v_sub_u32_e32 v7, 29, v18
	v_and_b32_e32 v6, 7, v6
	v_cmp_gt_u32_e32 vcc, 8, v15
	v_cndmask_b32_e32 v7, v17, v7, vcc
	v_cndmask_b32_e32 v6, v16, v6, vcc
	v_lshlrev_b32_e32 v15, 16, v8
	v_bfrev_b32_e32 v16, 60
	v_lshlrev_b32_e32 v6, 20, v6
	v_and_b32_e32 v15, 0x80000000, v15
	v_lshl_add_u32 v7, v7, 23, v16
	v_or3_b32 v6, v15, v7, v6
	v_lshrrev_b32_e32 v7, 16, v6
.LBB863_649:
	s_or_b64 exec, exec, s[10:11]
.LBB863_650:
	s_or_b64 exec, exec, s[8:9]
.LBB863_651:
	s_or_b64 exec, exec, s[2:3]
	s_movk_i32 s2, 0xff
	v_and_b32_sdwa v17, v8, s2 dst_sel:DWORD dst_unused:UNUSED_PAD src0_sel:WORD_1 src1_sel:DWORD
	v_lshrrev_b32_e32 v6, 16, v8
	v_cmp_ne_u16_e32 vcc, 0, v17
	v_mov_b32_e32 v15, 0
	v_mov_b32_e32 v16, 0
	s_and_saveexec_b64 s[2:3], vcc
	s_cbranch_execz .LBB863_657
; %bb.652:
	s_movk_i32 s7, 0x80
	v_cmp_ne_u16_e32 vcc, s7, v17
	v_mov_b32_e32 v16, 0xffff8000
	s_and_saveexec_b64 s[8:9], vcc
	s_cbranch_execz .LBB863_656
; %bb.653:
	v_bfe_u32 v17, v8, 16, 7
	s_movk_i32 s7, 0x7f
	v_cmp_ne_u32_e32 vcc, s7, v17
	v_mov_b32_e32 v16, 0x7f80
	s_and_saveexec_b64 s[10:11], vcc
	s_cbranch_execz .LBB863_655
; %bb.654:
	v_and_b32_e32 v16, 7, v6
	v_ffbh_u32_e32 v18, v16
	v_min_u32_e32 v21, 32, v18
	v_subrev_u32_e32 v18, 28, v21
	v_lshlrev_b64 v[18:19], v18, v[6:7]
	v_lshrrev_b32_e32 v20, 3, v17
	v_sub_u32_e32 v6, 29, v21
	v_and_b32_e32 v18, 7, v18
	v_cmp_gt_u32_e32 vcc, 8, v17
	v_mov_b32_e32 v17, 24
	v_cndmask_b32_e32 v6, v20, v6, vcc
	v_cndmask_b32_e32 v16, v16, v18, vcc
	v_lshlrev_b32_sdwa v17, v17, v8 dst_sel:DWORD dst_unused:UNUSED_PAD src0_sel:DWORD src1_sel:WORD_1
	v_bfrev_b32_e32 v18, 60
	v_lshlrev_b32_e32 v16, 20, v16
	v_and_b32_e32 v17, 0x80000000, v17
	v_lshl_add_u32 v6, v6, 23, v18
	v_or3_b32 v6, v17, v6, v16
	v_lshrrev_b32_e32 v16, 16, v6
.LBB863_655:
	s_or_b64 exec, exec, s[10:11]
.LBB863_656:
	s_or_b64 exec, exec, s[8:9]
.LBB863_657:
	s_or_b64 exec, exec, s[2:3]
	s_mov_b32 s2, 0xffffff
	v_cmp_lt_u32_e32 vcc, s2, v8
	s_and_saveexec_b64 s[2:3], vcc
	s_cbranch_execz .LBB863_663
; %bb.658:
	v_lshrrev_b32_e32 v6, 24, v8
	s_movk_i32 s7, 0x80
	v_cmp_ne_u32_e32 vcc, s7, v6
	v_mov_b32_e32 v15, 0xffff8000
	s_and_saveexec_b64 s[8:9], vcc
	s_cbranch_execz .LBB863_662
; %bb.659:
	v_bfe_u32 v8, v8, 24, 7
	s_movk_i32 s7, 0x7f
	v_cmp_ne_u32_e32 vcc, s7, v8
	v_mov_b32_e32 v15, 0x7f80
	s_and_saveexec_b64 s[10:11], vcc
	s_cbranch_execz .LBB863_661
; %bb.660:
	v_and_b32_e32 v15, 7, v6
	v_ffbh_u32_e32 v18, v15
	v_min_u32_e32 v20, 32, v18
	v_subrev_u32_e32 v18, 28, v20
	v_lshlrev_b64 v[18:19], v18, v[6:7]
	v_lshrrev_b32_e32 v17, 3, v8
	v_sub_u32_e32 v19, 29, v20
	v_and_b32_e32 v18, 7, v18
	v_cmp_gt_u32_e32 vcc, 8, v8
	v_cndmask_b32_e32 v8, v17, v19, vcc
	v_cndmask_b32_e32 v15, v15, v18, vcc
	v_lshlrev_b32_e32 v6, 24, v6
	v_bfrev_b32_e32 v17, 60
	v_lshlrev_b32_e32 v15, 20, v15
	v_and_b32_e32 v6, 0x80000000, v6
	v_lshl_add_u32 v8, v8, 23, v17
	v_or3_b32 v6, v6, v8, v15
	v_lshrrev_b32_e32 v15, 16, v6
.LBB863_661:
	s_or_b64 exec, exec, s[10:11]
.LBB863_662:
	s_or_b64 exec, exec, s[8:9]
.LBB863_663:
	s_or_b64 exec, exec, s[2:3]
	v_mov_b32_e32 v8, 0
	v_cmp_ne_u16_sdwa s[8:9], v9, v8 src0_sel:BYTE_0 src1_sel:DWORD
	v_mov_b32_e32 v17, 0
	s_and_saveexec_b64 s[2:3], s[8:9]
	s_cbranch_execz .LBB863_669
; %bb.664:
	s_movk_i32 s7, 0x80
	v_cmp_ne_u16_sdwa s[10:11], v9, s7 src0_sel:BYTE_0 src1_sel:DWORD
	v_mov_b32_e32 v17, 0xffff8000
	s_and_saveexec_b64 s[8:9], s[10:11]
	s_cbranch_execz .LBB863_668
; %bb.665:
	s_movk_i32 s7, 0x7f
	v_and_b32_e32 v6, 0x7f, v9
	v_cmp_ne_u32_e32 vcc, s7, v6
	v_mov_b32_e32 v17, 0x7f80
	s_and_saveexec_b64 s[10:11], vcc
	s_cbranch_execz .LBB863_667
; %bb.666:
	v_and_b32_e32 v17, 7, v9
	v_ffbh_u32_e32 v19, v17
	v_min_u32_e32 v21, 32, v19
	v_mov_b32_e32 v18, v9
	v_subrev_u32_e32 v19, 28, v21
	v_lshlrev_b64 v[18:19], v19, v[18:19]
	v_lshrrev_b32_e32 v20, 3, v6
	v_sub_u32_e32 v19, 29, v21
	v_and_b32_e32 v18, 7, v18
	v_cmp_gt_u32_e32 vcc, 8, v6
	v_cndmask_b32_e32 v6, v20, v19, vcc
	v_cndmask_b32_e32 v17, v17, v18, vcc
	v_lshlrev_b32_e32 v18, 24, v9
	v_bfrev_b32_e32 v19, 60
	v_lshlrev_b32_e32 v17, 20, v17
	v_and_b32_e32 v18, 0x80000000, v18
	v_lshl_add_u32 v6, v6, 23, v19
	v_or3_b32 v6, v18, v6, v17
	v_lshrrev_b32_e32 v17, 16, v6
.LBB863_667:
	s_or_b64 exec, exec, s[10:11]
.LBB863_668:
	s_or_b64 exec, exec, s[8:9]
.LBB863_669:
	s_or_b64 exec, exec, s[2:3]
	v_lshrrev_b16_e32 v6, 8, v9
	v_cmp_ne_u16_e32 vcc, 0, v6
	s_and_saveexec_b64 s[2:3], vcc
	s_cbranch_execz .LBB863_675
; %bb.670:
	s_movk_i32 s7, 0x80
	v_cmp_ne_u16_e32 vcc, s7, v6
	v_mov_b32_e32 v8, 0xffff8000
	s_and_saveexec_b64 s[8:9], vcc
	s_cbranch_execz .LBB863_674
; %bb.671:
	s_movk_i32 s7, 0x7f
	v_and_b32_e32 v18, 0x7f, v6
	v_cmp_ne_u32_e32 vcc, s7, v18
	v_mov_b32_e32 v8, 0x7f80
	s_and_saveexec_b64 s[10:11], vcc
	s_cbranch_execz .LBB863_673
; %bb.672:
	v_and_b32_e32 v8, 7, v6
	v_ffbh_u32_e32 v20, v8
	v_min_u32_e32 v23, 32, v20
	v_subrev_u32_e32 v20, 28, v23
	v_lshlrev_b64 v[20:21], v20, v[6:7]
	v_lshrrev_b32_e32 v19, 3, v18
	v_sub_u32_e32 v6, 29, v23
	v_and_b32_e32 v20, 7, v20
	v_cmp_gt_u32_e32 vcc, 8, v18
	v_cndmask_b32_e32 v6, v19, v6, vcc
	v_cndmask_b32_e32 v8, v8, v20, vcc
	v_lshlrev_b32_e32 v18, 16, v9
	v_bfrev_b32_e32 v19, 60
	v_lshlrev_b32_e32 v8, 20, v8
	v_and_b32_e32 v18, 0x80000000, v18
	v_lshl_add_u32 v6, v6, 23, v19
	v_or3_b32 v6, v18, v6, v8
	v_lshrrev_b32_e32 v8, 16, v6
.LBB863_673:
	s_or_b64 exec, exec, s[10:11]
.LBB863_674:
	s_or_b64 exec, exec, s[8:9]
.LBB863_675:
	s_or_b64 exec, exec, s[2:3]
	s_movk_i32 s2, 0xff
	v_and_b32_sdwa v20, v9, s2 dst_sel:DWORD dst_unused:UNUSED_PAD src0_sel:WORD_1 src1_sel:DWORD
	v_lshrrev_b32_e32 v6, 16, v9
	v_cmp_ne_u16_e32 vcc, 0, v20
	v_mov_b32_e32 v18, 0
	v_mov_b32_e32 v19, 0
	s_and_saveexec_b64 s[2:3], vcc
	s_cbranch_execz .LBB863_681
; %bb.676:
	s_movk_i32 s7, 0x80
	v_cmp_ne_u16_e32 vcc, s7, v20
	v_mov_b32_e32 v19, 0xffff8000
	s_and_saveexec_b64 s[8:9], vcc
	s_cbranch_execz .LBB863_680
; %bb.677:
	v_bfe_u32 v20, v9, 16, 7
	s_movk_i32 s7, 0x7f
	v_cmp_ne_u32_e32 vcc, s7, v20
	v_mov_b32_e32 v19, 0x7f80
	s_and_saveexec_b64 s[10:11], vcc
	s_cbranch_execz .LBB863_679
; %bb.678:
	v_and_b32_e32 v19, 7, v6
	v_ffbh_u32_e32 v23, v19
	v_min_u32_e32 v23, 32, v23
	v_subrev_u32_e32 v24, 28, v23
	v_lshlrev_b64 v[24:25], v24, v[6:7]
	v_lshrrev_b32_e32 v21, 3, v20
	v_sub_u32_e32 v6, 29, v23
	v_and_b32_e32 v23, 7, v24
	v_cmp_gt_u32_e32 vcc, 8, v20
	v_mov_b32_e32 v20, 24
	v_cndmask_b32_e32 v6, v21, v6, vcc
	v_cndmask_b32_e32 v19, v19, v23, vcc
	v_lshlrev_b32_sdwa v20, v20, v9 dst_sel:DWORD dst_unused:UNUSED_PAD src0_sel:DWORD src1_sel:WORD_1
	v_bfrev_b32_e32 v21, 60
	v_lshlrev_b32_e32 v19, 20, v19
	v_and_b32_e32 v20, 0x80000000, v20
	v_lshl_add_u32 v6, v6, 23, v21
	v_or3_b32 v6, v20, v6, v19
	v_lshrrev_b32_e32 v19, 16, v6
.LBB863_679:
	s_or_b64 exec, exec, s[10:11]
.LBB863_680:
	s_or_b64 exec, exec, s[8:9]
.LBB863_681:
	s_or_b64 exec, exec, s[2:3]
	s_mov_b32 s2, 0xffffff
	v_cmp_lt_u32_e32 vcc, s2, v9
	s_and_saveexec_b64 s[2:3], vcc
	s_cbranch_execz .LBB863_687
; %bb.682:
	v_lshrrev_b32_e32 v6, 24, v9
	s_movk_i32 s7, 0x80
	v_cmp_ne_u32_e32 vcc, s7, v6
	v_mov_b32_e32 v18, 0xffff8000
	s_and_saveexec_b64 s[8:9], vcc
	s_cbranch_execz .LBB863_686
; %bb.683:
	v_bfe_u32 v9, v9, 24, 7
	s_movk_i32 s7, 0x7f
	v_cmp_ne_u32_e32 vcc, s7, v9
	v_mov_b32_e32 v18, 0x7f80
	s_and_saveexec_b64 s[10:11], vcc
	s_cbranch_execz .LBB863_685
; %bb.684:
	v_and_b32_e32 v18, 7, v6
	v_ffbh_u32_e32 v20, v18
	v_min_u32_e32 v24, 32, v20
	v_subrev_u32_e32 v20, 28, v24
	v_lshlrev_b64 v[20:21], v20, v[6:7]
	v_lshrrev_b32_e32 v23, 3, v9
	v_sub_u32_e32 v21, 29, v24
	v_and_b32_e32 v20, 7, v20
	v_cmp_gt_u32_e32 vcc, 8, v9
	v_cndmask_b32_e32 v9, v23, v21, vcc
	v_cndmask_b32_e32 v18, v18, v20, vcc
	v_lshlrev_b32_e32 v6, 24, v6
	v_bfrev_b32_e32 v20, 60
	v_lshlrev_b32_e32 v18, 20, v18
	v_and_b32_e32 v6, 0x80000000, v6
	v_lshl_add_u32 v9, v9, 23, v20
	v_or3_b32 v6, v6, v9, v18
	v_lshrrev_b32_e32 v18, 16, v6
.LBB863_685:
	s_or_b64 exec, exec, s[10:11]
.LBB863_686:
	s_or_b64 exec, exec, s[8:9]
.LBB863_687:
	s_or_b64 exec, exec, s[2:3]
	s_mov_b32 s2, 0x5040100
	v_perm_b32 v15, v15, v16, s2
	v_perm_b32 v14, v7, v14, s2
	ds_read_b128 v[24:27], v22 offset:4112
	v_perm_b32 v7, v18, v19, s2
	v_perm_b32 v6, v8, v17, s2
	s_waitcnt lgkmcnt(0)
	v_mfma_f32_16x16x16bf16_1k v[30:33], v[14:15], v[24:25], v[10:13]
	s_nop 6
	v_mov_b32_e32 v11, 0
	s_waitcnt vmcnt(0)
	v_cmp_ne_u16_sdwa s[8:9], v2, v11 src0_sel:BYTE_0 src1_sel:DWORD
	v_mfma_f32_16x16x16bf16_1k v[6:9], v[6:7], v[26:27], v[30:33]
	v_mov_b32_e32 v12, 0
	s_and_saveexec_b64 s[2:3], s[8:9]
	s_cbranch_execz .LBB863_693
; %bb.688:
	s_movk_i32 s7, 0x80
	v_cmp_ne_u16_sdwa s[10:11], v2, s7 src0_sel:BYTE_0 src1_sel:DWORD
	v_mov_b32_e32 v12, 0xffff8000
	s_and_saveexec_b64 s[8:9], s[10:11]
	s_cbranch_execz .LBB863_692
; %bb.689:
	s_movk_i32 s7, 0x7f
	v_and_b32_e32 v10, 0x7f, v2
	v_cmp_ne_u32_e32 vcc, s7, v10
	v_mov_b32_e32 v12, 0x7f80
	s_and_saveexec_b64 s[10:11], vcc
	s_cbranch_execz .LBB863_691
; %bb.690:
	v_and_b32_e32 v14, 7, v2
	v_ffbh_u32_e32 v12, v14
	v_min_u32_e32 v16, 32, v12
	v_subrev_u32_e32 v12, 28, v16
	v_lshlrev_b64 v[12:13], v12, v[2:3]
	v_lshrrev_b32_e32 v15, 3, v10
	v_sub_u32_e32 v13, 29, v16
	v_and_b32_e32 v12, 7, v12
	v_cmp_gt_u32_e32 vcc, 8, v10
	v_cndmask_b32_e32 v10, v15, v13, vcc
	v_cndmask_b32_e32 v12, v14, v12, vcc
	v_lshlrev_b32_e32 v13, 24, v2
	v_bfrev_b32_e32 v14, 60
	v_lshlrev_b32_e32 v12, 20, v12
	v_and_b32_e32 v13, 0x80000000, v13
	v_lshl_add_u32 v10, v10, 23, v14
	v_or3_b32 v10, v13, v10, v12
	v_lshrrev_b32_e32 v12, 16, v10
.LBB863_691:
	s_or_b64 exec, exec, s[10:11]
.LBB863_692:
	s_or_b64 exec, exec, s[8:9]
.LBB863_693:
	s_or_b64 exec, exec, s[2:3]
	v_lshrrev_b16_e32 v10, 8, v2
	v_cmp_ne_u16_e32 vcc, 0, v10
	s_and_saveexec_b64 s[2:3], vcc
	s_cbranch_execz .LBB863_699
; %bb.694:
	s_movk_i32 s7, 0x80
	v_cmp_ne_u16_e32 vcc, s7, v10
	v_mov_b32_e32 v11, 0xffff8000
	s_and_saveexec_b64 s[8:9], vcc
	s_cbranch_execz .LBB863_698
; %bb.695:
	s_movk_i32 s7, 0x7f
	v_and_b32_e32 v13, 0x7f, v10
	v_cmp_ne_u32_e32 vcc, s7, v13
	v_mov_b32_e32 v11, 0x7f80
	s_and_saveexec_b64 s[10:11], vcc
	s_cbranch_execz .LBB863_697
; %bb.696:
	v_and_b32_e32 v14, 7, v10
	v_ffbh_u32_e32 v11, v14
	v_min_u32_e32 v16, 32, v11
	v_subrev_u32_e32 v11, 28, v16
	v_lshlrev_b64 v[10:11], v11, v[10:11]
	v_lshrrev_b32_e32 v15, 3, v13
	v_sub_u32_e32 v11, 29, v16
	v_and_b32_e32 v10, 7, v10
	v_cmp_gt_u32_e32 vcc, 8, v13
	v_cndmask_b32_e32 v11, v15, v11, vcc
	v_cndmask_b32_e32 v10, v14, v10, vcc
	v_lshlrev_b32_e32 v13, 16, v2
	v_bfrev_b32_e32 v14, 60
	v_lshlrev_b32_e32 v10, 20, v10
	v_and_b32_e32 v13, 0x80000000, v13
	v_lshl_add_u32 v11, v11, 23, v14
	v_or3_b32 v10, v13, v11, v10
	v_lshrrev_b32_e32 v11, 16, v10
.LBB863_697:
	s_or_b64 exec, exec, s[10:11]
.LBB863_698:
	s_or_b64 exec, exec, s[8:9]
.LBB863_699:
	s_or_b64 exec, exec, s[2:3]
	s_movk_i32 s2, 0xff
	v_and_b32_sdwa v15, v2, s2 dst_sel:DWORD dst_unused:UNUSED_PAD src0_sel:WORD_1 src1_sel:DWORD
	v_lshrrev_b32_e32 v10, 16, v2
	v_cmp_ne_u16_e32 vcc, 0, v15
	v_mov_b32_e32 v13, 0
	v_mov_b32_e32 v14, 0
	s_and_saveexec_b64 s[2:3], vcc
	s_cbranch_execz .LBB863_705
; %bb.700:
	s_movk_i32 s7, 0x80
	v_cmp_ne_u16_e32 vcc, s7, v15
	v_mov_b32_e32 v14, 0xffff8000
	s_and_saveexec_b64 s[8:9], vcc
	s_cbranch_execz .LBB863_704
; %bb.701:
	v_bfe_u32 v15, v2, 16, 7
	s_movk_i32 s7, 0x7f
	v_cmp_ne_u32_e32 vcc, s7, v15
	v_mov_b32_e32 v14, 0x7f80
	s_and_saveexec_b64 s[10:11], vcc
	s_cbranch_execz .LBB863_703
; %bb.702:
	v_and_b32_e32 v14, 7, v10
	v_ffbh_u32_e32 v16, v14
	v_min_u32_e32 v19, 32, v16
	v_subrev_u32_e32 v16, 28, v19
	v_lshlrev_b64 v[16:17], v16, v[10:11]
	v_lshrrev_b32_e32 v18, 3, v15
	v_sub_u32_e32 v10, 29, v19
	v_and_b32_e32 v16, 7, v16
	v_cmp_gt_u32_e32 vcc, 8, v15
	v_mov_b32_e32 v15, 24
	v_cndmask_b32_e32 v10, v18, v10, vcc
	v_cndmask_b32_e32 v14, v14, v16, vcc
	v_lshlrev_b32_sdwa v15, v15, v2 dst_sel:DWORD dst_unused:UNUSED_PAD src0_sel:DWORD src1_sel:WORD_1
	v_bfrev_b32_e32 v16, 60
	v_lshlrev_b32_e32 v14, 20, v14
	v_and_b32_e32 v15, 0x80000000, v15
	v_lshl_add_u32 v10, v10, 23, v16
	v_or3_b32 v10, v15, v10, v14
	v_lshrrev_b32_e32 v14, 16, v10
.LBB863_703:
	s_or_b64 exec, exec, s[10:11]
.LBB863_704:
	s_or_b64 exec, exec, s[8:9]
.LBB863_705:
	s_or_b64 exec, exec, s[2:3]
	s_mov_b32 s2, 0xffffff
	v_cmp_lt_u32_e32 vcc, s2, v2
	s_and_saveexec_b64 s[2:3], vcc
	s_cbranch_execz .LBB863_711
; %bb.706:
	v_lshrrev_b32_e32 v10, 24, v2
	s_movk_i32 s7, 0x80
	v_cmp_ne_u32_e32 vcc, s7, v10
	v_mov_b32_e32 v13, 0xffff8000
	s_and_saveexec_b64 s[8:9], vcc
	s_cbranch_execz .LBB863_710
; %bb.707:
	v_bfe_u32 v2, v2, 24, 7
	s_movk_i32 s7, 0x7f
	v_cmp_ne_u32_e32 vcc, s7, v2
	v_mov_b32_e32 v13, 0x7f80
	s_and_saveexec_b64 s[10:11], vcc
	s_cbranch_execz .LBB863_709
; %bb.708:
	v_and_b32_e32 v13, 7, v10
	v_ffbh_u32_e32 v16, v13
	v_min_u32_e32 v18, 32, v16
	v_subrev_u32_e32 v16, 28, v18
	v_lshlrev_b64 v[16:17], v16, v[10:11]
	v_lshrrev_b32_e32 v15, 3, v2
	v_sub_u32_e32 v17, 29, v18
	v_and_b32_e32 v16, 7, v16
	v_cmp_gt_u32_e32 vcc, 8, v2
	v_cndmask_b32_e32 v2, v15, v17, vcc
	v_cndmask_b32_e32 v13, v13, v16, vcc
	v_lshlrev_b32_e32 v10, 24, v10
	v_bfrev_b32_e32 v15, 60
	v_lshlrev_b32_e32 v13, 20, v13
	v_and_b32_e32 v10, 0x80000000, v10
	v_lshl_add_u32 v2, v2, 23, v15
	v_or3_b32 v2, v10, v2, v13
	v_lshrrev_b32_e32 v13, 16, v2
.LBB863_709:
	s_or_b64 exec, exec, s[10:11]
.LBB863_710:
	s_or_b64 exec, exec, s[8:9]
.LBB863_711:
	s_or_b64 exec, exec, s[2:3]
	v_mov_b32_e32 v10, 0
	v_cmp_ne_u16_sdwa s[8:9], v3, v10 src0_sel:BYTE_0 src1_sel:DWORD
	v_mov_b32_e32 v15, 0
	s_and_saveexec_b64 s[2:3], s[8:9]
	s_cbranch_execz .LBB863_717
; %bb.712:
	s_movk_i32 s7, 0x80
	v_cmp_ne_u16_sdwa s[10:11], v3, s7 src0_sel:BYTE_0 src1_sel:DWORD
	v_mov_b32_e32 v15, 0xffff8000
	s_and_saveexec_b64 s[8:9], s[10:11]
	s_cbranch_execz .LBB863_716
; %bb.713:
	s_movk_i32 s7, 0x7f
	v_and_b32_e32 v2, 0x7f, v3
	v_cmp_ne_u32_e32 vcc, s7, v2
	v_mov_b32_e32 v15, 0x7f80
	s_and_saveexec_b64 s[10:11], vcc
	s_cbranch_execz .LBB863_715
; %bb.714:
	v_and_b32_e32 v15, 7, v3
	v_ffbh_u32_e32 v17, v15
	v_min_u32_e32 v19, 32, v17
	v_mov_b32_e32 v16, v3
	v_subrev_u32_e32 v17, 28, v19
	v_lshlrev_b64 v[16:17], v17, v[16:17]
	v_lshrrev_b32_e32 v18, 3, v2
	v_sub_u32_e32 v17, 29, v19
	v_and_b32_e32 v16, 7, v16
	v_cmp_gt_u32_e32 vcc, 8, v2
	v_cndmask_b32_e32 v2, v18, v17, vcc
	v_cndmask_b32_e32 v15, v15, v16, vcc
	v_lshlrev_b32_e32 v16, 24, v3
	v_bfrev_b32_e32 v17, 60
	v_lshlrev_b32_e32 v15, 20, v15
	v_and_b32_e32 v16, 0x80000000, v16
	v_lshl_add_u32 v2, v2, 23, v17
	v_or3_b32 v2, v16, v2, v15
	v_lshrrev_b32_e32 v15, 16, v2
.LBB863_715:
	s_or_b64 exec, exec, s[10:11]
.LBB863_716:
	s_or_b64 exec, exec, s[8:9]
.LBB863_717:
	s_or_b64 exec, exec, s[2:3]
	v_lshrrev_b16_e32 v2, 8, v3
	v_cmp_ne_u16_e32 vcc, 0, v2
	s_and_saveexec_b64 s[2:3], vcc
	s_cbranch_execz .LBB863_723
; %bb.718:
	s_movk_i32 s7, 0x80
	v_cmp_ne_u16_e32 vcc, s7, v2
	v_mov_b32_e32 v10, 0xffff8000
	s_and_saveexec_b64 s[8:9], vcc
	s_cbranch_execz .LBB863_722
; %bb.719:
	s_movk_i32 s7, 0x7f
	v_and_b32_e32 v16, 0x7f, v2
	v_cmp_ne_u32_e32 vcc, s7, v16
	v_mov_b32_e32 v10, 0x7f80
	s_and_saveexec_b64 s[10:11], vcc
	s_cbranch_execz .LBB863_721
; %bb.720:
	v_and_b32_e32 v10, 7, v2
	v_ffbh_u32_e32 v18, v10
	v_min_u32_e32 v20, 32, v18
	v_subrev_u32_e32 v18, 28, v20
	v_lshlrev_b64 v[18:19], v18, v[2:3]
	v_lshrrev_b32_e32 v17, 3, v16
	v_sub_u32_e32 v2, 29, v20
	v_and_b32_e32 v18, 7, v18
	v_cmp_gt_u32_e32 vcc, 8, v16
	v_cndmask_b32_e32 v2, v17, v2, vcc
	v_cndmask_b32_e32 v10, v10, v18, vcc
	v_lshlrev_b32_e32 v16, 16, v3
	v_bfrev_b32_e32 v17, 60
	v_lshlrev_b32_e32 v10, 20, v10
	v_and_b32_e32 v16, 0x80000000, v16
	v_lshl_add_u32 v2, v2, 23, v17
	v_or3_b32 v2, v16, v2, v10
	v_lshrrev_b32_e32 v10, 16, v2
.LBB863_721:
	s_or_b64 exec, exec, s[10:11]
.LBB863_722:
	s_or_b64 exec, exec, s[8:9]
.LBB863_723:
	s_or_b64 exec, exec, s[2:3]
	s_movk_i32 s2, 0xff
	v_and_b32_sdwa v18, v3, s2 dst_sel:DWORD dst_unused:UNUSED_PAD src0_sel:WORD_1 src1_sel:DWORD
	v_lshrrev_b32_e32 v2, 16, v3
	v_cmp_ne_u16_e32 vcc, 0, v18
	v_mov_b32_e32 v16, 0
	v_mov_b32_e32 v17, 0
	s_and_saveexec_b64 s[2:3], vcc
	s_cbranch_execz .LBB863_729
; %bb.724:
	s_movk_i32 s7, 0x80
	v_cmp_ne_u16_e32 vcc, s7, v18
	v_mov_b32_e32 v17, 0xffff8000
	s_and_saveexec_b64 s[8:9], vcc
	s_cbranch_execz .LBB863_728
; %bb.725:
	v_bfe_u32 v18, v3, 16, 7
	s_movk_i32 s7, 0x7f
	v_cmp_ne_u32_e32 vcc, s7, v18
	v_mov_b32_e32 v17, 0x7f80
	s_and_saveexec_b64 s[10:11], vcc
	s_cbranch_execz .LBB863_727
; %bb.726:
	v_and_b32_e32 v17, 7, v2
	v_ffbh_u32_e32 v20, v17
	v_min_u32_e32 v23, 32, v20
	v_subrev_u32_e32 v20, 28, v23
	v_lshlrev_b64 v[20:21], v20, v[2:3]
	v_lshrrev_b32_e32 v19, 3, v18
	v_sub_u32_e32 v2, 29, v23
	v_and_b32_e32 v20, 7, v20
	v_cmp_gt_u32_e32 vcc, 8, v18
	v_mov_b32_e32 v18, 24
	v_cndmask_b32_e32 v2, v19, v2, vcc
	v_cndmask_b32_e32 v17, v17, v20, vcc
	v_lshlrev_b32_sdwa v18, v18, v3 dst_sel:DWORD dst_unused:UNUSED_PAD src0_sel:DWORD src1_sel:WORD_1
	v_bfrev_b32_e32 v19, 60
	v_lshlrev_b32_e32 v17, 20, v17
	v_and_b32_e32 v18, 0x80000000, v18
	v_lshl_add_u32 v2, v2, 23, v19
	v_or3_b32 v2, v18, v2, v17
	v_lshrrev_b32_e32 v17, 16, v2
.LBB863_727:
	s_or_b64 exec, exec, s[10:11]
.LBB863_728:
	s_or_b64 exec, exec, s[8:9]
.LBB863_729:
	s_or_b64 exec, exec, s[2:3]
	s_mov_b32 s2, 0xffffff
	v_cmp_lt_u32_e32 vcc, s2, v3
	s_and_saveexec_b64 s[2:3], vcc
	s_cbranch_execz .LBB863_735
; %bb.730:
	v_lshrrev_b32_e32 v2, 24, v3
	s_movk_i32 s7, 0x80
	v_cmp_ne_u32_e32 vcc, s7, v2
	v_mov_b32_e32 v16, 0xffff8000
	s_and_saveexec_b64 s[8:9], vcc
	s_cbranch_execz .LBB863_734
; %bb.731:
	v_bfe_u32 v3, v3, 24, 7
	s_movk_i32 s7, 0x7f
	v_cmp_ne_u32_e32 vcc, s7, v3
	v_mov_b32_e32 v16, 0x7f80
	s_and_saveexec_b64 s[10:11], vcc
	s_cbranch_execz .LBB863_733
; %bb.732:
	v_and_b32_e32 v16, 7, v2
	v_ffbh_u32_e32 v18, v16
	v_min_u32_e32 v21, 32, v18
	v_subrev_u32_e32 v18, 28, v21
	v_lshlrev_b64 v[18:19], v18, v[2:3]
	v_lshrrev_b32_e32 v20, 3, v3
	v_sub_u32_e32 v19, 29, v21
	v_and_b32_e32 v18, 7, v18
	v_cmp_gt_u32_e32 vcc, 8, v3
	v_cndmask_b32_e32 v3, v20, v19, vcc
	v_cndmask_b32_e32 v16, v16, v18, vcc
	v_lshlrev_b32_e32 v2, 24, v2
	v_bfrev_b32_e32 v18, 60
	v_lshlrev_b32_e32 v16, 20, v16
	v_and_b32_e32 v2, 0x80000000, v2
	v_lshl_add_u32 v3, v3, 23, v18
	v_or3_b32 v2, v2, v3, v16
	v_lshrrev_b32_e32 v16, 16, v2
.LBB863_733:
	s_or_b64 exec, exec, s[10:11]
.LBB863_734:
	s_or_b64 exec, exec, s[8:9]
.LBB863_735:
	s_or_b64 exec, exec, s[2:3]
	s_mov_b32 s2, 0x5040100
	v_perm_b32 v3, v13, v14, s2
	v_perm_b32 v2, v11, v12, s2
	ds_read_b128 v[18:21], v22 offset:6144
	v_perm_b32 v13, v16, v17, s2
	v_perm_b32 v12, v10, v15, s2
	s_waitcnt lgkmcnt(0)
	v_mfma_f32_16x16x16bf16_1k v[6:9], v[2:3], v[18:19], v[6:9]
	v_mov_b32_e32 v3, 0
	v_cmp_ne_u16_sdwa s[8:9], v4, v3 src0_sel:BYTE_0 src1_sel:DWORD
	v_mov_b32_e32 v10, 0
	v_mfma_f32_16x16x16bf16_1k v[6:9], v[12:13], v[20:21], v[6:9]
	s_and_saveexec_b64 s[2:3], s[8:9]
	s_cbranch_execz .LBB863_741
; %bb.736:
	s_movk_i32 s7, 0x80
	v_cmp_ne_u16_sdwa s[10:11], v4, s7 src0_sel:BYTE_0 src1_sel:DWORD
	v_mov_b32_e32 v10, 0xffff8000
	s_and_saveexec_b64 s[8:9], s[10:11]
	s_cbranch_execz .LBB863_740
; %bb.737:
	s_movk_i32 s7, 0x7f
	v_and_b32_e32 v2, 0x7f, v4
	v_cmp_ne_u32_e32 vcc, s7, v2
	v_mov_b32_e32 v10, 0x7f80
	s_and_saveexec_b64 s[10:11], vcc
	s_cbranch_execz .LBB863_739
; %bb.738:
	v_and_b32_e32 v12, 7, v4
	v_ffbh_u32_e32 v10, v12
	v_min_u32_e32 v14, 32, v10
	v_subrev_u32_e32 v10, 28, v14
	v_lshlrev_b64 v[10:11], v10, v[4:5]
	v_lshrrev_b32_e32 v13, 3, v2
	v_sub_u32_e32 v11, 29, v14
	v_and_b32_e32 v10, 7, v10
	v_cmp_gt_u32_e32 vcc, 8, v2
	v_cndmask_b32_e32 v2, v13, v11, vcc
	v_cndmask_b32_e32 v10, v12, v10, vcc
	v_lshlrev_b32_e32 v11, 24, v4
	v_bfrev_b32_e32 v12, 60
	v_lshlrev_b32_e32 v10, 20, v10
	v_and_b32_e32 v11, 0x80000000, v11
	v_lshl_add_u32 v2, v2, 23, v12
	v_or3_b32 v2, v11, v2, v10
	v_lshrrev_b32_e32 v10, 16, v2
.LBB863_739:
	s_or_b64 exec, exec, s[10:11]
.LBB863_740:
	s_or_b64 exec, exec, s[8:9]
.LBB863_741:
	s_or_b64 exec, exec, s[2:3]
	v_lshrrev_b16_e32 v2, 8, v4
	v_cmp_ne_u16_e32 vcc, 0, v2
	s_and_saveexec_b64 s[2:3], vcc
	s_cbranch_execz .LBB863_747
; %bb.742:
	s_movk_i32 s7, 0x80
	v_cmp_ne_u16_e32 vcc, s7, v2
	v_mov_b32_e32 v3, 0xffff8000
	s_and_saveexec_b64 s[8:9], vcc
	s_cbranch_execz .LBB863_746
; %bb.743:
	s_movk_i32 s7, 0x7f
	v_and_b32_e32 v11, 0x7f, v2
	v_cmp_ne_u32_e32 vcc, s7, v11
	v_mov_b32_e32 v3, 0x7f80
	s_and_saveexec_b64 s[10:11], vcc
	s_cbranch_execz .LBB863_745
; %bb.744:
	v_and_b32_e32 v12, 7, v2
	v_ffbh_u32_e32 v3, v12
	v_min_u32_e32 v14, 32, v3
	v_subrev_u32_e32 v3, 28, v14
	v_lshlrev_b64 v[2:3], v3, v[2:3]
	v_lshrrev_b32_e32 v13, 3, v11
	v_sub_u32_e32 v3, 29, v14
	v_and_b32_e32 v2, 7, v2
	v_cmp_gt_u32_e32 vcc, 8, v11
	v_cndmask_b32_e32 v3, v13, v3, vcc
	v_cndmask_b32_e32 v2, v12, v2, vcc
	v_lshlrev_b32_e32 v11, 16, v4
	v_bfrev_b32_e32 v12, 60
	v_lshlrev_b32_e32 v2, 20, v2
	v_and_b32_e32 v11, 0x80000000, v11
	v_lshl_add_u32 v3, v3, 23, v12
	v_or3_b32 v2, v11, v3, v2
	v_lshrrev_b32_e32 v3, 16, v2
.LBB863_745:
	s_or_b64 exec, exec, s[10:11]
.LBB863_746:
	s_or_b64 exec, exec, s[8:9]
.LBB863_747:
	s_or_b64 exec, exec, s[2:3]
	s_movk_i32 s2, 0xff
	v_and_b32_sdwa v13, v4, s2 dst_sel:DWORD dst_unused:UNUSED_PAD src0_sel:WORD_1 src1_sel:DWORD
	v_lshrrev_b32_e32 v2, 16, v4
	v_cmp_ne_u16_e32 vcc, 0, v13
	v_mov_b32_e32 v11, 0
	v_mov_b32_e32 v12, 0
	s_and_saveexec_b64 s[2:3], vcc
	s_cbranch_execz .LBB863_753
; %bb.748:
	s_movk_i32 s7, 0x80
	v_cmp_ne_u16_e32 vcc, s7, v13
	v_mov_b32_e32 v12, 0xffff8000
	s_and_saveexec_b64 s[8:9], vcc
	s_cbranch_execz .LBB863_752
; %bb.749:
	v_bfe_u32 v13, v4, 16, 7
	s_movk_i32 s7, 0x7f
	v_cmp_ne_u32_e32 vcc, s7, v13
	v_mov_b32_e32 v12, 0x7f80
	s_and_saveexec_b64 s[10:11], vcc
	s_cbranch_execz .LBB863_751
; %bb.750:
	v_and_b32_e32 v12, 7, v2
	v_ffbh_u32_e32 v14, v12
	v_min_u32_e32 v17, 32, v14
	v_subrev_u32_e32 v14, 28, v17
	v_lshlrev_b64 v[14:15], v14, v[2:3]
	v_lshrrev_b32_e32 v16, 3, v13
	v_sub_u32_e32 v2, 29, v17
	v_and_b32_e32 v14, 7, v14
	v_cmp_gt_u32_e32 vcc, 8, v13
	v_mov_b32_e32 v13, 24
	v_cndmask_b32_e32 v2, v16, v2, vcc
	v_cndmask_b32_e32 v12, v12, v14, vcc
	v_lshlrev_b32_sdwa v13, v13, v4 dst_sel:DWORD dst_unused:UNUSED_PAD src0_sel:DWORD src1_sel:WORD_1
	v_bfrev_b32_e32 v14, 60
	v_lshlrev_b32_e32 v12, 20, v12
	v_and_b32_e32 v13, 0x80000000, v13
	v_lshl_add_u32 v2, v2, 23, v14
	v_or3_b32 v2, v13, v2, v12
	v_lshrrev_b32_e32 v12, 16, v2
.LBB863_751:
	s_or_b64 exec, exec, s[10:11]
.LBB863_752:
	s_or_b64 exec, exec, s[8:9]
.LBB863_753:
	s_or_b64 exec, exec, s[2:3]
	s_mov_b32 s2, 0xffffff
	v_cmp_lt_u32_e32 vcc, s2, v4
	s_and_saveexec_b64 s[2:3], vcc
	s_cbranch_execz .LBB863_759
; %bb.754:
	v_lshrrev_b32_e32 v2, 24, v4
	s_movk_i32 s7, 0x80
	v_cmp_ne_u32_e32 vcc, s7, v2
	v_mov_b32_e32 v11, 0xffff8000
	s_and_saveexec_b64 s[8:9], vcc
	s_cbranch_execz .LBB863_758
; %bb.755:
	v_bfe_u32 v4, v4, 24, 7
	s_movk_i32 s7, 0x7f
	v_cmp_ne_u32_e32 vcc, s7, v4
	v_mov_b32_e32 v11, 0x7f80
	s_and_saveexec_b64 s[10:11], vcc
	s_cbranch_execz .LBB863_757
; %bb.756:
	v_and_b32_e32 v11, 7, v2
	v_ffbh_u32_e32 v14, v11
	v_min_u32_e32 v16, 32, v14
	v_subrev_u32_e32 v14, 28, v16
	v_lshlrev_b64 v[14:15], v14, v[2:3]
	v_lshrrev_b32_e32 v13, 3, v4
	v_sub_u32_e32 v15, 29, v16
	v_and_b32_e32 v14, 7, v14
	v_cmp_gt_u32_e32 vcc, 8, v4
	v_cndmask_b32_e32 v4, v13, v15, vcc
	v_cndmask_b32_e32 v11, v11, v14, vcc
	v_lshlrev_b32_e32 v2, 24, v2
	v_bfrev_b32_e32 v13, 60
	v_lshlrev_b32_e32 v11, 20, v11
	v_and_b32_e32 v2, 0x80000000, v2
	v_lshl_add_u32 v4, v4, 23, v13
	v_or3_b32 v2, v2, v4, v11
	v_lshrrev_b32_e32 v11, 16, v2
.LBB863_757:
	s_or_b64 exec, exec, s[10:11]
.LBB863_758:
	s_or_b64 exec, exec, s[8:9]
.LBB863_759:
	s_or_b64 exec, exec, s[2:3]
	v_mov_b32_e32 v4, 0
	v_cmp_ne_u16_sdwa s[8:9], v5, v4 src0_sel:BYTE_0 src1_sel:DWORD
	v_mov_b32_e32 v13, 0
	s_and_saveexec_b64 s[2:3], s[8:9]
	s_cbranch_execz .LBB863_765
; %bb.760:
	s_movk_i32 s7, 0x80
	v_cmp_ne_u16_sdwa s[10:11], v5, s7 src0_sel:BYTE_0 src1_sel:DWORD
	v_mov_b32_e32 v13, 0xffff8000
	s_and_saveexec_b64 s[8:9], s[10:11]
	s_cbranch_execz .LBB863_764
; %bb.761:
	s_movk_i32 s7, 0x7f
	v_and_b32_e32 v2, 0x7f, v5
	v_cmp_ne_u32_e32 vcc, s7, v2
	v_mov_b32_e32 v13, 0x7f80
	s_and_saveexec_b64 s[10:11], vcc
	s_cbranch_execz .LBB863_763
; %bb.762:
	v_and_b32_e32 v13, 7, v5
	v_ffbh_u32_e32 v15, v13
	v_min_u32_e32 v17, 32, v15
	v_mov_b32_e32 v14, v5
	v_subrev_u32_e32 v15, 28, v17
	v_lshlrev_b64 v[14:15], v15, v[14:15]
	v_lshrrev_b32_e32 v16, 3, v2
	v_sub_u32_e32 v15, 29, v17
	v_and_b32_e32 v14, 7, v14
	v_cmp_gt_u32_e32 vcc, 8, v2
	v_cndmask_b32_e32 v2, v16, v15, vcc
	v_cndmask_b32_e32 v13, v13, v14, vcc
	v_lshlrev_b32_e32 v14, 24, v5
	v_bfrev_b32_e32 v15, 60
	v_lshlrev_b32_e32 v13, 20, v13
	v_and_b32_e32 v14, 0x80000000, v14
	v_lshl_add_u32 v2, v2, 23, v15
	v_or3_b32 v2, v14, v2, v13
	v_lshrrev_b32_e32 v13, 16, v2
.LBB863_763:
	s_or_b64 exec, exec, s[10:11]
.LBB863_764:
	s_or_b64 exec, exec, s[8:9]
.LBB863_765:
	s_or_b64 exec, exec, s[2:3]
	v_lshrrev_b16_e32 v2, 8, v5
	v_cmp_ne_u16_e32 vcc, 0, v2
	s_and_saveexec_b64 s[2:3], vcc
	s_cbranch_execz .LBB863_771
; %bb.766:
	s_movk_i32 s7, 0x80
	v_cmp_ne_u16_e32 vcc, s7, v2
	v_mov_b32_e32 v4, 0xffff8000
	s_and_saveexec_b64 s[8:9], vcc
	s_cbranch_execz .LBB863_770
; %bb.767:
	s_movk_i32 s7, 0x7f
	v_and_b32_e32 v14, 0x7f, v2
	v_cmp_ne_u32_e32 vcc, s7, v14
	v_mov_b32_e32 v4, 0x7f80
	s_and_saveexec_b64 s[10:11], vcc
	s_cbranch_execz .LBB863_769
; %bb.768:
	v_and_b32_e32 v4, 7, v2
	v_ffbh_u32_e32 v16, v4
	v_min_u32_e32 v18, 32, v16
	v_subrev_u32_e32 v16, 28, v18
	v_lshlrev_b64 v[16:17], v16, v[2:3]
	v_lshrrev_b32_e32 v15, 3, v14
	v_sub_u32_e32 v2, 29, v18
	v_and_b32_e32 v16, 7, v16
	v_cmp_gt_u32_e32 vcc, 8, v14
	v_cndmask_b32_e32 v2, v15, v2, vcc
	v_cndmask_b32_e32 v4, v4, v16, vcc
	v_lshlrev_b32_e32 v14, 16, v5
	v_bfrev_b32_e32 v15, 60
	v_lshlrev_b32_e32 v4, 20, v4
	v_and_b32_e32 v14, 0x80000000, v14
	v_lshl_add_u32 v2, v2, 23, v15
	v_or3_b32 v2, v14, v2, v4
	v_lshrrev_b32_e32 v4, 16, v2
.LBB863_769:
	s_or_b64 exec, exec, s[10:11]
.LBB863_770:
	s_or_b64 exec, exec, s[8:9]
.LBB863_771:
	s_or_b64 exec, exec, s[2:3]
	s_movk_i32 s2, 0xff
	v_and_b32_sdwa v16, v5, s2 dst_sel:DWORD dst_unused:UNUSED_PAD src0_sel:WORD_1 src1_sel:DWORD
	v_lshrrev_b32_e32 v2, 16, v5
	v_cmp_ne_u16_e32 vcc, 0, v16
	v_mov_b32_e32 v14, 0
	v_mov_b32_e32 v15, 0
	s_and_saveexec_b64 s[2:3], vcc
	s_cbranch_execz .LBB863_777
; %bb.772:
	s_movk_i32 s7, 0x80
	v_cmp_ne_u16_e32 vcc, s7, v16
	v_mov_b32_e32 v15, 0xffff8000
	s_and_saveexec_b64 s[8:9], vcc
	s_cbranch_execz .LBB863_776
; %bb.773:
	v_bfe_u32 v16, v5, 16, 7
	s_movk_i32 s7, 0x7f
	v_cmp_ne_u32_e32 vcc, s7, v16
	v_mov_b32_e32 v15, 0x7f80
	s_and_saveexec_b64 s[10:11], vcc
	s_cbranch_execz .LBB863_775
; %bb.774:
	v_and_b32_e32 v15, 7, v2
	v_ffbh_u32_e32 v18, v15
	v_min_u32_e32 v20, 32, v18
	v_subrev_u32_e32 v18, 28, v20
	v_lshlrev_b64 v[18:19], v18, v[2:3]
	v_lshrrev_b32_e32 v17, 3, v16
	v_sub_u32_e32 v2, 29, v20
	v_and_b32_e32 v18, 7, v18
	v_cmp_gt_u32_e32 vcc, 8, v16
	v_mov_b32_e32 v16, 24
	v_cndmask_b32_e32 v2, v17, v2, vcc
	v_cndmask_b32_e32 v15, v15, v18, vcc
	v_lshlrev_b32_sdwa v16, v16, v5 dst_sel:DWORD dst_unused:UNUSED_PAD src0_sel:DWORD src1_sel:WORD_1
	v_bfrev_b32_e32 v17, 60
	v_lshlrev_b32_e32 v15, 20, v15
	v_and_b32_e32 v16, 0x80000000, v16
	v_lshl_add_u32 v2, v2, 23, v17
	v_or3_b32 v2, v16, v2, v15
	v_lshrrev_b32_e32 v15, 16, v2
.LBB863_775:
	s_or_b64 exec, exec, s[10:11]
.LBB863_776:
	s_or_b64 exec, exec, s[8:9]
.LBB863_777:
	s_or_b64 exec, exec, s[2:3]
	s_mov_b32 s2, 0xffffff
	v_cmp_lt_u32_e32 vcc, s2, v5
	s_and_saveexec_b64 s[2:3], vcc
	s_cbranch_execz .LBB863_783
; %bb.778:
	v_lshrrev_b32_e32 v2, 24, v5
	s_movk_i32 s7, 0x80
	v_cmp_ne_u32_e32 vcc, s7, v2
	v_mov_b32_e32 v14, 0xffff8000
	s_and_saveexec_b64 s[8:9], vcc
	s_cbranch_execz .LBB863_782
; %bb.779:
	v_bfe_u32 v5, v5, 24, 7
	s_movk_i32 s7, 0x7f
	v_cmp_ne_u32_e32 vcc, s7, v5
	v_mov_b32_e32 v14, 0x7f80
	s_and_saveexec_b64 s[10:11], vcc
	s_cbranch_execz .LBB863_781
; %bb.780:
	v_and_b32_e32 v14, 7, v2
	v_ffbh_u32_e32 v16, v14
	v_min_u32_e32 v19, 32, v16
	v_subrev_u32_e32 v16, 28, v19
	v_lshlrev_b64 v[16:17], v16, v[2:3]
	v_lshrrev_b32_e32 v18, 3, v5
	v_sub_u32_e32 v17, 29, v19
	v_and_b32_e32 v16, 7, v16
	v_cmp_gt_u32_e32 vcc, 8, v5
	v_cndmask_b32_e32 v5, v18, v17, vcc
	v_cndmask_b32_e32 v14, v14, v16, vcc
	v_lshlrev_b32_e32 v2, 24, v2
	v_bfrev_b32_e32 v16, 60
	v_lshlrev_b32_e32 v14, 20, v14
	v_and_b32_e32 v2, 0x80000000, v2
	v_lshl_add_u32 v5, v5, 23, v16
	v_or3_b32 v2, v2, v5, v14
	v_lshrrev_b32_e32 v14, 16, v2
.LBB863_781:
	s_or_b64 exec, exec, s[10:11]
.LBB863_782:
	s_or_b64 exec, exec, s[8:9]
.LBB863_783:
	s_or_b64 exec, exec, s[2:3]
	s_mov_b32 s3, 0x5040100
	v_perm_b32 v11, v11, v12, s3
	ds_read_b128 v[16:19], v22 offset:6160
	v_perm_b32 v10, v3, v10, s3
	v_perm_b32 v3, v14, v15, s3
	;; [unrolled: 1-line block ×3, first 2 shown]
	s_waitcnt lgkmcnt(0)
	v_mfma_f32_16x16x16bf16_1k v[6:9], v[10:11], v[16:17], v[6:9]
	s_load_dword s2, s[42:43], 0x0
	s_mov_b32 s3, 0x7060302
	s_movk_i32 s7, 0x7fff
	v_cmp_gt_u32_e32 vcc, 64, v0
	s_waitcnt lgkmcnt(0)
	s_barrier
	v_mfma_f32_16x16x16bf16_1k v[2:5], v[2:3], v[18:19], v[6:9]
	s_nop 7
	s_nop 2
	v_pk_mul_f32 v[4:5], v[4:5], s[2:3] op_sel_hi:[1,0]
	v_pk_mul_f32 v[2:3], v[2:3], s[2:3] op_sel_hi:[1,0]
	v_bfe_u32 v6, v3, 16, 1
	v_bfe_u32 v7, v2, 16, 1
	;; [unrolled: 1-line block ×4, first 2 shown]
	v_add3_u32 v2, v2, v7, s7
	v_add3_u32 v3, v3, v6, s7
	;; [unrolled: 1-line block ×4, first 2 shown]
	v_perm_b32 v2, v3, v2, s3
	v_perm_b32 v3, v5, v4, s3
	v_cmp_gt_u32_e64 s[2:3], 32, v42
	s_and_b64 s[2:3], s[2:3], vcc
	s_and_b64 s[0:1], s[2:3], s[0:1]
	ds_write_b64 v28, v[2:3]
	s_waitcnt lgkmcnt(0)
	s_barrier
	s_and_saveexec_b64 s[2:3], s[0:1]
	s_cbranch_execz .LBB863_785
; %bb.784:
	s_load_dwordx2 s[0:1], s[4:5], 0x68
	s_mul_i32 s2, s12, s6
	s_lshl_b32 s4, s44, 6
	s_mul_hi_u32 s3, s2, s4
	s_mul_i32 s2, s2, s4
	s_lshl_b64 s[2:3], s[2:3], 1
	v_lshlrev_b32_e32 v0, 10, v0
	s_waitcnt lgkmcnt(0)
	s_add_u32 s2, s0, s2
	v_and_b32_e32 v0, 0x1800, v0
	v_lshlrev_b32_e32 v2, 5, v1
	v_and_b32_e32 v3, 16, v47
	s_addc_u32 s3, s1, s3
	s_lshl_b32 s0, s24, 6
	s_mov_b32 s1, 0
	v_or3_b32 v0, v0, v2, v3
	s_lshl_b64 s[0:1], s[0:1], 1
	ds_read_b128 v[2:5], v0
	s_add_u32 s2, s2, s0
	v_or_b32_e32 v0, s25, v1
	s_addc_u32 s3, s3, s1
	v_mad_u64_u32 v[0:1], s[0:1], s4, v0, 0
	v_lshlrev_b64 v[0:1], 1, v[0:1]
	v_mov_b32_e32 v6, s3
	v_add_co_u32_e32 v0, vcc, s2, v0
	v_addc_co_u32_e32 v1, vcc, v6, v1, vcc
	v_add_co_u32_e32 v0, vcc, v0, v46
	v_addc_co_u32_e32 v1, vcc, 0, v1, vcc
	s_waitcnt lgkmcnt(0)
	global_store_dwordx4 v[0:1], v[2:5], off
.LBB863_785:
	s_endpgm
	.section	.rodata,"a",@progbits
	.p2align	6, 0x0
	.amdhsa_kernel _Z39paged_attention_ll4mi_QKV_mfma16_kernelI14__hip_bfloat16hLN4vllm18Fp8KVCacheDataTypeE1ES0_Li16ELi64ELi256ELb0ELi2EL8MFMAType0EEvPKT_PKT0_S9_ifPKiSB_SB_iPKfiiiPfSE_PS4_PT2_iSD_SD_
		.amdhsa_group_segment_fixed_size 8192
		.amdhsa_private_segment_fixed_size 0
		.amdhsa_kernarg_size 400
		.amdhsa_user_sgpr_count 6
		.amdhsa_user_sgpr_private_segment_buffer 1
		.amdhsa_user_sgpr_dispatch_ptr 0
		.amdhsa_user_sgpr_queue_ptr 0
		.amdhsa_user_sgpr_kernarg_segment_ptr 1
		.amdhsa_user_sgpr_dispatch_id 0
		.amdhsa_user_sgpr_flat_scratch_init 0
		.amdhsa_user_sgpr_kernarg_preload_length 0
		.amdhsa_user_sgpr_kernarg_preload_offset 0
		.amdhsa_user_sgpr_private_segment_size 0
		.amdhsa_uses_dynamic_stack 0
		.amdhsa_system_sgpr_private_segment_wavefront_offset 0
		.amdhsa_system_sgpr_workgroup_id_x 1
		.amdhsa_system_sgpr_workgroup_id_y 1
		.amdhsa_system_sgpr_workgroup_id_z 1
		.amdhsa_system_sgpr_workgroup_info 0
		.amdhsa_system_vgpr_workitem_id 0
		.amdhsa_next_free_vgpr 61
		.amdhsa_next_free_sgpr 47
		.amdhsa_accum_offset 64
		.amdhsa_reserve_vcc 1
		.amdhsa_reserve_flat_scratch 0
		.amdhsa_float_round_mode_32 0
		.amdhsa_float_round_mode_16_64 0
		.amdhsa_float_denorm_mode_32 3
		.amdhsa_float_denorm_mode_16_64 3
		.amdhsa_dx10_clamp 1
		.amdhsa_ieee_mode 1
		.amdhsa_fp16_overflow 0
		.amdhsa_tg_split 0
		.amdhsa_exception_fp_ieee_invalid_op 0
		.amdhsa_exception_fp_denorm_src 0
		.amdhsa_exception_fp_ieee_div_zero 0
		.amdhsa_exception_fp_ieee_overflow 0
		.amdhsa_exception_fp_ieee_underflow 0
		.amdhsa_exception_fp_ieee_inexact 0
		.amdhsa_exception_int_div_zero 0
	.end_amdhsa_kernel
	.section	.text._Z39paged_attention_ll4mi_QKV_mfma16_kernelI14__hip_bfloat16hLN4vllm18Fp8KVCacheDataTypeE1ES0_Li16ELi64ELi256ELb0ELi2EL8MFMAType0EEvPKT_PKT0_S9_ifPKiSB_SB_iPKfiiiPfSE_PS4_PT2_iSD_SD_,"axG",@progbits,_Z39paged_attention_ll4mi_QKV_mfma16_kernelI14__hip_bfloat16hLN4vllm18Fp8KVCacheDataTypeE1ES0_Li16ELi64ELi256ELb0ELi2EL8MFMAType0EEvPKT_PKT0_S9_ifPKiSB_SB_iPKfiiiPfSE_PS4_PT2_iSD_SD_,comdat
.Lfunc_end863:
	.size	_Z39paged_attention_ll4mi_QKV_mfma16_kernelI14__hip_bfloat16hLN4vllm18Fp8KVCacheDataTypeE1ES0_Li16ELi64ELi256ELb0ELi2EL8MFMAType0EEvPKT_PKT0_S9_ifPKiSB_SB_iPKfiiiPfSE_PS4_PT2_iSD_SD_, .Lfunc_end863-_Z39paged_attention_ll4mi_QKV_mfma16_kernelI14__hip_bfloat16hLN4vllm18Fp8KVCacheDataTypeE1ES0_Li16ELi64ELi256ELb0ELi2EL8MFMAType0EEvPKT_PKT0_S9_ifPKiSB_SB_iPKfiiiPfSE_PS4_PT2_iSD_SD_
                                        ; -- End function
	.section	.AMDGPU.csdata,"",@progbits
; Kernel info:
; codeLenInByte = 28212
; NumSgprs: 51
; NumVgprs: 61
; NumAgprs: 0
; TotalNumVgprs: 61
; ScratchSize: 0
; MemoryBound: 0
; FloatMode: 240
; IeeeMode: 1
; LDSByteSize: 8192 bytes/workgroup (compile time only)
; SGPRBlocks: 6
; VGPRBlocks: 7
; NumSGPRsForWavesPerEU: 51
; NumVGPRsForWavesPerEU: 61
; AccumOffset: 64
; Occupancy: 8
; WaveLimiterHint : 1
; COMPUTE_PGM_RSRC2:SCRATCH_EN: 0
; COMPUTE_PGM_RSRC2:USER_SGPR: 6
; COMPUTE_PGM_RSRC2:TRAP_HANDLER: 0
; COMPUTE_PGM_RSRC2:TGID_X_EN: 1
; COMPUTE_PGM_RSRC2:TGID_Y_EN: 1
; COMPUTE_PGM_RSRC2:TGID_Z_EN: 1
; COMPUTE_PGM_RSRC2:TIDIG_COMP_CNT: 0
; COMPUTE_PGM_RSRC3_GFX90A:ACCUM_OFFSET: 15
; COMPUTE_PGM_RSRC3_GFX90A:TG_SPLIT: 0
	.section	.text._Z39paged_attention_ll4mi_QKV_mfma16_kernelI14__hip_bfloat16hLN4vllm18Fp8KVCacheDataTypeE1ES0_Li16ELi64ELi256ELb0ELi3EL8MFMAType0EEvPKT_PKT0_S9_ifPKiSB_SB_iPKfiiiPfSE_PS4_PT2_iSD_SD_,"axG",@progbits,_Z39paged_attention_ll4mi_QKV_mfma16_kernelI14__hip_bfloat16hLN4vllm18Fp8KVCacheDataTypeE1ES0_Li16ELi64ELi256ELb0ELi3EL8MFMAType0EEvPKT_PKT0_S9_ifPKiSB_SB_iPKfiiiPfSE_PS4_PT2_iSD_SD_,comdat
	.protected	_Z39paged_attention_ll4mi_QKV_mfma16_kernelI14__hip_bfloat16hLN4vllm18Fp8KVCacheDataTypeE1ES0_Li16ELi64ELi256ELb0ELi3EL8MFMAType0EEvPKT_PKT0_S9_ifPKiSB_SB_iPKfiiiPfSE_PS4_PT2_iSD_SD_ ; -- Begin function _Z39paged_attention_ll4mi_QKV_mfma16_kernelI14__hip_bfloat16hLN4vllm18Fp8KVCacheDataTypeE1ES0_Li16ELi64ELi256ELb0ELi3EL8MFMAType0EEvPKT_PKT0_S9_ifPKiSB_SB_iPKfiiiPfSE_PS4_PT2_iSD_SD_
	.globl	_Z39paged_attention_ll4mi_QKV_mfma16_kernelI14__hip_bfloat16hLN4vllm18Fp8KVCacheDataTypeE1ES0_Li16ELi64ELi256ELb0ELi3EL8MFMAType0EEvPKT_PKT0_S9_ifPKiSB_SB_iPKfiiiPfSE_PS4_PT2_iSD_SD_
	.p2align	8
	.type	_Z39paged_attention_ll4mi_QKV_mfma16_kernelI14__hip_bfloat16hLN4vllm18Fp8KVCacheDataTypeE1ES0_Li16ELi64ELi256ELb0ELi3EL8MFMAType0EEvPKT_PKT0_S9_ifPKiSB_SB_iPKfiiiPfSE_PS4_PT2_iSD_SD_,@function
_Z39paged_attention_ll4mi_QKV_mfma16_kernelI14__hip_bfloat16hLN4vllm18Fp8KVCacheDataTypeE1ES0_Li16ELi64ELi256ELb0ELi3EL8MFMAType0EEvPKT_PKT0_S9_ifPKiSB_SB_iPKfiiiPfSE_PS4_PT2_iSD_SD_: ; @_Z39paged_attention_ll4mi_QKV_mfma16_kernelI14__hip_bfloat16hLN4vllm18Fp8KVCacheDataTypeE1ES0_Li16ELi64ELi256ELb0ELi3EL8MFMAType0EEvPKT_PKT0_S9_ifPKiSB_SB_iPKfiiiPfSE_PS4_PT2_iSD_SD_
; %bb.0:
	s_load_dwordx2 s[0:1], s[4:5], 0x30
	s_mov_b32 s24, s7
	s_mov_b64 s[10:11], 0
	s_waitcnt lgkmcnt(0)
	s_cmp_lg_u64 s[0:1], 0
	s_cselect_b64 s[2:3], -1, 0
	s_and_b64 vcc, exec, s[2:3]
	s_cbranch_vccz .LBB864_7
; %bb.1:
	s_add_i32 s12, s6, 1
	s_mov_b32 s13, 0
	s_lshl_b64 s[14:15], s[12:13], 2
	s_add_u32 s14, s0, s14
	s_mov_b32 s7, s13
	s_addc_u32 s15, s1, s15
	s_lshl_b64 s[12:13], s[6:7], 2
	s_add_u32 s12, s0, s12
	s_addc_u32 s13, s1, s13
	s_load_dword s9, s[14:15], 0x0
	s_load_dword s16, s[12:13], 0x0
	s_waitcnt lgkmcnt(0)
	s_sub_i32 s9, s9, s16
	s_cmp_eq_u32 s9, 1
	s_cselect_b64 s[12:13], -1, 0
	s_andn2_b64 vcc, exec, s[10:11]
	s_cbranch_vccnz .LBB864_3
.LBB864_2:
	s_mov_b32 s7, 0
	s_mov_b64 s[12:13], -1
.LBB864_3:
	s_andn2_b64 vcc, exec, s[12:13]
	s_cbranch_vccnz .LBB864_785
; %bb.4:
	s_load_dwordx2 s[12:13], s[4:5], 0x28
	s_lshl_b64 s[10:11], s[6:7], 2
	s_waitcnt lgkmcnt(0)
	s_add_u32 s12, s12, s10
	s_addc_u32 s13, s13, s11
	s_load_dword s33, s[12:13], 0x0
	s_lshl_b32 s20, s24, 8
	s_waitcnt lgkmcnt(0)
	s_cmp_ge_i32 s20, s33
	s_cbranch_scc1 .LBB864_785
; %bb.5:
	s_add_i32 s14, s33, 15
	s_load_dwordx2 s[12:13], s[4:5], 0x20
	s_load_dword s9, s[4:5], 0x38
	s_ashr_i32 s15, s14, 31
	v_and_b32_e32 v1, 0xcf, v0
	s_lshr_b32 s15, s15, 28
	v_add_u32_e32 v1, s20, v1
	s_add_i32 s14, s14, s15
	v_ashrrev_i32_e32 v2, 31, v1
	s_ashr_i32 s22, s14, 4
	v_lshrrev_b32_e32 v4, 28, v2
	s_add_i32 s22, s22, -1
	v_add_u32_e32 v2, v1, v4
	s_waitcnt lgkmcnt(0)
	s_mul_i32 s14, s6, s9
	s_mov_b32 s15, 0
	v_ashrrev_i32_e32 v2, 4, v2
	v_mov_b32_e32 v5, s22
	v_cmp_gt_i32_e32 vcc, s33, v1
	s_lshl_b64 s[14:15], s[14:15], 2
	v_cndmask_b32_e32 v2, v5, v2, vcc
	s_add_u32 s9, s12, s14
	v_ashrrev_i32_e32 v3, 31, v2
	s_addc_u32 s21, s13, s15
	v_lshlrev_b64 v[2:3], 2, v[2:3]
	v_mov_b32_e32 v7, s21
	v_add_co_u32_e32 v6, vcc, s9, v2
	v_or_b32_e32 v2, 16, v1
	v_addc_co_u32_e32 v7, vcc, v7, v3, vcc
	v_add_u32_e32 v3, v2, v4
	v_ashrrev_i32_e32 v3, 4, v3
	v_cmp_gt_i32_e32 vcc, s33, v2
	v_cndmask_b32_e32 v2, v5, v3, vcc
	v_ashrrev_i32_e32 v3, 31, v2
	v_lshlrev_b64 v[2:3], 2, v[2:3]
	v_mov_b32_e32 v9, s21
	v_add_co_u32_e32 v8, vcc, s9, v2
	v_or_b32_e32 v2, 32, v1
	v_addc_co_u32_e32 v9, vcc, v9, v3, vcc
	v_add_u32_e32 v3, v2, v4
	v_ashrrev_i32_e32 v3, 4, v3
	v_cmp_gt_i32_e32 vcc, s33, v2
	v_cndmask_b32_e32 v2, v5, v3, vcc
	v_ashrrev_i32_e32 v3, 31, v2
	;; [unrolled: 10-line block ×3, first 2 shown]
	v_lshlrev_b64 v[2:3], 2, v[2:3]
	v_mov_b32_e32 v1, s21
	v_add_co_u32_e32 v12, vcc, s9, v2
	v_addc_co_u32_e32 v13, vcc, v1, v3, vcc
	global_load_dword v4, v[6:7], off
	global_load_dword v5, v[8:9], off
	;; [unrolled: 1-line block ×4, first 2 shown]
	s_load_dwordx4 s[12:15], s[4:5], 0x8
	s_andn2_b64 vcc, exec, s[2:3]
	s_cbranch_vccnz .LBB864_8
; %bb.6:
	s_add_u32 s0, s0, s10
	s_addc_u32 s1, s1, s11
	s_load_dword s10, s[0:1], 0x0
	s_branch .LBB864_9
.LBB864_7:
	s_mov_b64 s[12:13], 0
	s_branch .LBB864_2
.LBB864_8:
	s_mov_b32 s10, s6
.LBB864_9:
	s_load_dwordx4 s[16:19], s[4:5], 0x48
	v_lshrrev_b32_e32 v50, 6, v0
	v_bfe_u32 v47, v0, 4, 2
	v_lshl_or_b32 v6, v50, 2, v47
	v_and_b32_e32 v49, 15, v0
	s_mul_i32 s25, s8, 3
	v_lshlrev_b32_e32 v1, 3, v49
	v_cmp_gt_u32_e32 vcc, 3, v6
	v_cmp_gt_u32_e64 s[0:1], 8, v49
	v_add_u32_e32 v46, s25, v47
	s_and_b64 s[26:27], s[0:1], vcc
	v_lshlrev_b32_e32 v1, 1, v1
	v_lshlrev_b32_e32 v48, 4, v0
	s_and_saveexec_b64 s[2:3], s[26:27]
	s_cbranch_execz .LBB864_11
; %bb.10:
	s_load_dwordx2 s[26:27], s[4:5], 0x0
	s_waitcnt lgkmcnt(0)
	s_ashr_i32 s11, s16, 31
	s_mul_hi_u32 s19, s10, s16
	s_mul_i32 s11, s10, s11
	s_add_i32 s11, s19, s11
	s_mul_i32 s10, s10, s16
	s_lshl_b64 s[10:11], s[10:11], 1
	v_lshlrev_b32_e32 v8, 6, v46
	s_add_u32 s10, s26, s10
	v_ashrrev_i32_e32 v9, 31, v8
	s_addc_u32 s11, s27, s11
	v_lshlrev_b64 v[8:9], 1, v[8:9]
	v_mov_b32_e32 v7, s11
	v_add_co_u32_e32 v8, vcc, s10, v8
	v_addc_co_u32_e32 v7, vcc, v7, v9, vcc
	v_add_co_u32_e32 v8, vcc, v8, v1
	v_addc_co_u32_e32 v9, vcc, 0, v7, vcc
	global_load_dwordx4 v[8:11], v[8:9], off
	v_lshlrev_b32_e32 v12, 8, v49
	v_lshlrev_b32_e32 v6, 5, v6
	v_and_b32_e32 v7, 16, v48
	v_and_b32_e32 v12, 0xe00, v12
	v_or3_b32 v6, v12, v6, v7
	s_waitcnt vmcnt(0)
	ds_write_b128 v6, v[8:11]
.LBB864_11:
	s_or_b64 exec, exec, s[2:3]
	v_and_b32_e32 v12, 48, v0
	v_or_b32_e32 v13, s20, v12
	v_ashrrev_i32_e32 v6, 4, v13
	v_mov_b32_e32 v14, s22
	v_cmp_gt_i32_e32 vcc, s33, v13
	v_cndmask_b32_e32 v6, v14, v6, vcc
	v_ashrrev_i32_e32 v7, 31, v6
	v_lshlrev_b64 v[6:7], 2, v[6:7]
	v_mov_b32_e32 v8, s21
	v_add_co_u32_e32 v6, vcc, s9, v6
	v_addc_co_u32_e32 v7, vcc, v8, v7, vcc
	v_or_b32_e32 v8, 64, v13
	v_ashrrev_i32_e32 v9, 4, v8
	v_cmp_gt_i32_e32 vcc, s33, v8
	v_cndmask_b32_e32 v8, v14, v9, vcc
	v_ashrrev_i32_e32 v9, 31, v8
	v_lshlrev_b64 v[8:9], 2, v[8:9]
	v_mov_b32_e32 v10, s21
	v_add_co_u32_e32 v8, vcc, s9, v8
	v_addc_co_u32_e32 v9, vcc, v10, v9, vcc
	v_or_b32_e32 v10, 0x80, v13
	v_ashrrev_i32_e32 v11, 4, v10
	v_cmp_gt_i32_e32 vcc, s33, v10
	v_cndmask_b32_e32 v10, v14, v11, vcc
	v_ashrrev_i32_e32 v11, 31, v10
	v_lshlrev_b64 v[10:11], 2, v[10:11]
	v_mov_b32_e32 v15, s21
	v_add_co_u32_e32 v10, vcc, s9, v10
	s_load_dwordx2 s[44:45], s[4:5], 0x94
	s_load_dwordx4 s[40:43], s[4:5], 0x80
	s_waitcnt lgkmcnt(0)
	s_barrier
	v_addc_co_u32_e32 v11, vcc, v15, v11, vcc
	global_load_dword v15, v[6:7], off
	global_load_dword v16, v[8:9], off
	;; [unrolled: 1-line block ×3, first 2 shown]
	v_or_b32_e32 v6, 0xc0, v13
	v_ashrrev_i32_e32 v7, 4, v6
	v_cmp_gt_i32_e32 vcc, s33, v6
	v_cndmask_b32_e32 v6, v14, v7, vcc
	v_ashrrev_i32_e32 v7, 31, v6
	v_lshlrev_b64 v[6:7], 2, v[6:7]
	v_mov_b32_e32 v8, s21
	v_add_co_u32_e32 v6, vcc, s9, v6
	v_addc_co_u32_e32 v7, vcc, v8, v7, vcc
	global_load_dword v20, v[6:7], off
	s_mul_i32 s8, s8, s18
	s_add_u32 s2, s12, s8
	s_addc_u32 s3, s13, 0
	v_and_b32_e32 v6, 0xf0, v48
	v_mov_b32_e32 v7, s3
	v_add_co_u32_e32 v6, vcc, s2, v6
	v_addc_co_u32_e32 v7, vcc, 0, v7, vcc
	v_lshlrev_b32_e32 v8, 4, v12
	v_add_co_u32_e32 v6, vcc, v6, v8
	v_addc_co_u32_e32 v7, vcc, 0, v7, vcc
	s_waitcnt vmcnt(7)
	v_mad_i64_i32 v[8:9], s[2:3], v4, s17, v[6:7]
	s_waitcnt vmcnt(6)
	v_mad_i64_i32 v[4:5], s[2:3], v5, s17, v[6:7]
	global_load_dwordx4 v[30:33], v[8:9], off
	global_load_dwordx4 v[38:41], v[4:5], off
	s_waitcnt vmcnt(7)
	v_mad_i64_i32 v[4:5], s[2:3], v2, s17, v[6:7]
	s_waitcnt vmcnt(6)
	v_mad_i64_i32 v[2:3], s[2:3], v3, s17, v[6:7]
	global_load_dwordx4 v[34:37], v[4:5], off
	global_load_dwordx4 v[22:25], v[2:3], off
	s_add_u32 s2, s14, s8
	v_lshlrev_b32_e32 v2, 4, v49
	s_addc_u32 s3, s15, 0
	v_lshl_or_b32 v2, v50, 8, v2
	v_mov_b32_e32 v3, s3
	v_add_co_u32_e32 v2, vcc, s2, v2
	v_addc_co_u32_e32 v3, vcc, 0, v3, vcc
	v_mov_b32_e32 v44, 0
	v_mov_b32_e32 v43, 0
	s_movk_i32 s8, 0x80
	s_waitcnt vmcnt(7)
	v_mad_i64_i32 v[4:5], s[2:3], v15, s17, v[2:3]
	s_waitcnt vmcnt(6)
	v_mad_i64_i32 v[6:7], s[2:3], v16, s17, v[2:3]
	;; [unrolled: 2-line block ×3, first 2 shown]
	global_load_dwordx4 v[14:17], v[4:5], off
	global_load_dwordx4 v[10:13], v[6:7], off
	s_waitcnt vmcnt(6)
	v_mad_i64_i32 v[20:21], s[2:3], v20, s17, v[2:3]
	global_load_dwordx4 v[6:9], v[18:19], off
	global_load_dwordx4 v[2:5], v[20:21], off
	v_mul_lo_u16_e32 v18, 0x56, v49
	v_mov_b32_e32 v19, 3
	v_mul_lo_u16_sdwa v18, v18, v19 dst_sel:DWORD dst_unused:UNUSED_PAD src0_sel:BYTE_1 src1_sel:DWORD
	v_sub_u16_e32 v18, v49, v18
	v_mov_b32_e32 v19, 5
	v_lshlrev_b32_sdwa v18, v19, v18 dst_sel:DWORD dst_unused:UNUSED_PAD src0_sel:DWORD src1_sel:BYTE_0
	v_lshl_add_u32 v18, v47, 9, v18
	ds_read_b128 v[26:29], v18
	ds_read_b128 v[18:21], v18 offset:16
	s_load_dword s12, s[40:41], 0x0
	s_waitcnt vmcnt(7)
	v_cmp_ne_u16_sdwa s[10:11], v30, v44 src0_sel:BYTE_0 src1_sel:DWORD
	s_and_saveexec_b64 s[2:3], s[10:11]
	s_cbranch_execz .LBB864_17
; %bb.12:
	v_cmp_ne_u16_sdwa s[10:11], v30, s8 src0_sel:BYTE_0 src1_sel:DWORD
	v_mov_b32_e32 v43, 0xffff8000
	s_and_saveexec_b64 s[8:9], s[10:11]
	s_cbranch_execz .LBB864_16
; %bb.13:
	s_movk_i32 s10, 0x7f
	v_and_b32_e32 v42, 0x7f, v30
	v_cmp_ne_u32_e32 vcc, s10, v42
	v_mov_b32_e32 v43, 0x7f80
	s_and_saveexec_b64 s[10:11], vcc
	s_cbranch_execz .LBB864_15
; %bb.14:
	v_and_b32_e32 v43, 7, v30
	v_ffbh_u32_e32 v51, v43
	v_min_u32_e32 v51, 32, v51
	v_subrev_u32_e32 v52, 28, v51
	v_lshlrev_b64 v[52:53], v52, v[30:31]
	v_lshrrev_b32_e32 v45, 3, v42
	v_sub_u32_e32 v51, 29, v51
	v_and_b32_e32 v52, 7, v52
	v_cmp_gt_u32_e32 vcc, 8, v42
	v_cndmask_b32_e32 v42, v45, v51, vcc
	v_cndmask_b32_e32 v43, v43, v52, vcc
	v_lshlrev_b32_e32 v45, 24, v30
	v_bfrev_b32_e32 v51, 60
	v_lshlrev_b32_e32 v43, 20, v43
	v_and_b32_e32 v45, 0x80000000, v45
	v_lshl_add_u32 v42, v42, 23, v51
	v_or3_b32 v42, v45, v42, v43
	v_lshrrev_b32_e32 v43, 16, v42
.LBB864_15:
	s_or_b64 exec, exec, s[10:11]
.LBB864_16:
	s_or_b64 exec, exec, s[8:9]
.LBB864_17:
	s_or_b64 exec, exec, s[2:3]
	v_lshrrev_b16_e32 v42, 8, v30
	v_cmp_ne_u16_e32 vcc, 0, v42
	s_and_saveexec_b64 s[2:3], vcc
	s_cbranch_execz .LBB864_23
; %bb.18:
	s_movk_i32 s8, 0x80
	v_cmp_ne_u16_e32 vcc, s8, v42
	v_mov_b32_e32 v44, 0xffff8000
	s_and_saveexec_b64 s[8:9], vcc
	s_cbranch_execz .LBB864_22
; %bb.19:
	s_movk_i32 s10, 0x7f
	v_and_b32_e32 v45, 0x7f, v42
	v_cmp_ne_u32_e32 vcc, s10, v45
	v_mov_b32_e32 v44, 0x7f80
	s_and_saveexec_b64 s[10:11], vcc
	s_cbranch_execz .LBB864_21
; %bb.20:
	v_and_b32_e32 v44, 7, v42
	v_ffbh_u32_e32 v52, v44
	v_min_u32_e32 v54, 32, v52
	v_subrev_u32_e32 v52, 28, v54
	v_lshlrev_b64 v[52:53], v52, v[42:43]
	v_lshrrev_b32_e32 v51, 3, v45
	v_sub_u32_e32 v42, 29, v54
	v_and_b32_e32 v52, 7, v52
	v_cmp_gt_u32_e32 vcc, 8, v45
	v_cndmask_b32_e32 v42, v51, v42, vcc
	v_cndmask_b32_e32 v44, v44, v52, vcc
	v_lshlrev_b32_e32 v45, 16, v30
	v_bfrev_b32_e32 v51, 60
	v_lshlrev_b32_e32 v44, 20, v44
	v_and_b32_e32 v45, 0x80000000, v45
	v_lshl_add_u32 v42, v42, 23, v51
	v_or3_b32 v42, v45, v42, v44
	v_lshrrev_b32_e32 v44, 16, v42
.LBB864_21:
	s_or_b64 exec, exec, s[10:11]
.LBB864_22:
	s_or_b64 exec, exec, s[8:9]
.LBB864_23:
	s_or_b64 exec, exec, s[2:3]
	s_movk_i32 s2, 0xff
	v_and_b32_sdwa v52, v30, s2 dst_sel:DWORD dst_unused:UNUSED_PAD src0_sel:WORD_1 src1_sel:DWORD
	v_lshrrev_b32_e32 v42, 16, v30
	v_cmp_ne_u16_e32 vcc, 0, v52
	v_mov_b32_e32 v45, 0
	v_mov_b32_e32 v51, 0
	s_and_saveexec_b64 s[2:3], vcc
	s_cbranch_execz .LBB864_29
; %bb.24:
	s_movk_i32 s8, 0x80
	v_cmp_ne_u16_e32 vcc, s8, v52
	v_mov_b32_e32 v51, 0xffff8000
	s_and_saveexec_b64 s[8:9], vcc
	s_cbranch_execz .LBB864_28
; %bb.25:
	v_bfe_u32 v52, v30, 16, 7
	s_movk_i32 s10, 0x7f
	v_cmp_ne_u32_e32 vcc, s10, v52
	v_mov_b32_e32 v51, 0x7f80
	s_and_saveexec_b64 s[10:11], vcc
	s_cbranch_execz .LBB864_27
; %bb.26:
	v_and_b32_e32 v51, 7, v42
	v_ffbh_u32_e32 v54, v51
	v_min_u32_e32 v56, 32, v54
	v_subrev_u32_e32 v54, 28, v56
	v_lshlrev_b64 v[54:55], v54, v[42:43]
	v_lshrrev_b32_e32 v53, 3, v52
	v_sub_u32_e32 v42, 29, v56
	v_and_b32_e32 v54, 7, v54
	v_cmp_gt_u32_e32 vcc, 8, v52
	v_mov_b32_e32 v52, 24
	v_cndmask_b32_e32 v42, v53, v42, vcc
	v_cndmask_b32_e32 v51, v51, v54, vcc
	v_lshlrev_b32_sdwa v52, v52, v30 dst_sel:DWORD dst_unused:UNUSED_PAD src0_sel:DWORD src1_sel:WORD_1
	v_bfrev_b32_e32 v53, 60
	v_lshlrev_b32_e32 v51, 20, v51
	v_and_b32_e32 v52, 0x80000000, v52
	v_lshl_add_u32 v42, v42, 23, v53
	v_or3_b32 v42, v52, v42, v51
	v_lshrrev_b32_e32 v51, 16, v42
.LBB864_27:
	s_or_b64 exec, exec, s[10:11]
.LBB864_28:
	s_or_b64 exec, exec, s[8:9]
.LBB864_29:
	s_or_b64 exec, exec, s[2:3]
	s_mov_b32 s2, 0xffffff
	v_cmp_lt_u32_e32 vcc, s2, v30
	s_and_saveexec_b64 s[2:3], vcc
	s_cbranch_execz .LBB864_35
; %bb.30:
	v_lshrrev_b32_e32 v42, 24, v30
	s_movk_i32 s8, 0x80
	v_cmp_ne_u32_e32 vcc, s8, v42
	v_mov_b32_e32 v45, 0xffff8000
	s_and_saveexec_b64 s[8:9], vcc
	s_cbranch_execz .LBB864_34
; %bb.31:
	v_bfe_u32 v30, v30, 24, 7
	s_movk_i32 s10, 0x7f
	v_cmp_ne_u32_e32 vcc, s10, v30
	v_mov_b32_e32 v45, 0x7f80
	s_and_saveexec_b64 s[10:11], vcc
	s_cbranch_execz .LBB864_33
; %bb.32:
	v_and_b32_e32 v45, 7, v42
	v_ffbh_u32_e32 v52, v45
	v_min_u32_e32 v55, 32, v52
	v_subrev_u32_e32 v52, 28, v55
	v_lshlrev_b64 v[52:53], v52, v[42:43]
	v_lshrrev_b32_e32 v54, 3, v30
	v_sub_u32_e32 v53, 29, v55
	v_and_b32_e32 v52, 7, v52
	v_cmp_gt_u32_e32 vcc, 8, v30
	v_cndmask_b32_e32 v30, v54, v53, vcc
	v_cndmask_b32_e32 v45, v45, v52, vcc
	v_lshlrev_b32_e32 v42, 24, v42
	v_bfrev_b32_e32 v52, 60
	v_lshlrev_b32_e32 v45, 20, v45
	v_and_b32_e32 v42, 0x80000000, v42
	v_lshl_add_u32 v30, v30, 23, v52
	v_or3_b32 v30, v42, v30, v45
	v_lshrrev_b32_e32 v45, 16, v30
.LBB864_33:
	s_or_b64 exec, exec, s[10:11]
.LBB864_34:
	s_or_b64 exec, exec, s[8:9]
.LBB864_35:
	s_or_b64 exec, exec, s[2:3]
	v_mov_b32_e32 v42, 0
	v_cmp_ne_u16_sdwa s[8:9], v31, v42 src0_sel:BYTE_0 src1_sel:DWORD
	v_mov_b32_e32 v52, 0
	s_and_saveexec_b64 s[2:3], s[8:9]
	s_cbranch_execz .LBB864_41
; %bb.36:
	s_movk_i32 s8, 0x80
	v_cmp_ne_u16_sdwa s[10:11], v31, s8 src0_sel:BYTE_0 src1_sel:DWORD
	v_mov_b32_e32 v52, 0xffff8000
	s_and_saveexec_b64 s[8:9], s[10:11]
	s_cbranch_execz .LBB864_40
; %bb.37:
	s_movk_i32 s10, 0x7f
	v_and_b32_e32 v30, 0x7f, v31
	v_cmp_ne_u32_e32 vcc, s10, v30
	v_mov_b32_e32 v52, 0x7f80
	s_and_saveexec_b64 s[10:11], vcc
	s_cbranch_execz .LBB864_39
; %bb.38:
	v_and_b32_e32 v54, 7, v31
	v_ffbh_u32_e32 v53, v54
	v_min_u32_e32 v56, 32, v53
	v_mov_b32_e32 v52, v31
	v_subrev_u32_e32 v53, 28, v56
	v_lshlrev_b64 v[52:53], v53, v[52:53]
	v_lshrrev_b32_e32 v55, 3, v30
	v_sub_u32_e32 v53, 29, v56
	v_and_b32_e32 v52, 7, v52
	v_cmp_gt_u32_e32 vcc, 8, v30
	v_cndmask_b32_e32 v30, v55, v53, vcc
	v_cndmask_b32_e32 v52, v54, v52, vcc
	v_lshlrev_b32_e32 v53, 24, v31
	v_bfrev_b32_e32 v54, 60
	v_lshlrev_b32_e32 v52, 20, v52
	v_and_b32_e32 v53, 0x80000000, v53
	v_lshl_add_u32 v30, v30, 23, v54
	v_or3_b32 v30, v53, v30, v52
	v_lshrrev_b32_e32 v52, 16, v30
.LBB864_39:
	s_or_b64 exec, exec, s[10:11]
.LBB864_40:
	s_or_b64 exec, exec, s[8:9]
.LBB864_41:
	s_or_b64 exec, exec, s[2:3]
	v_lshrrev_b16_e32 v30, 8, v31
	v_cmp_ne_u16_e32 vcc, 0, v30
	s_and_saveexec_b64 s[2:3], vcc
	s_cbranch_execz .LBB864_47
; %bb.42:
	s_movk_i32 s8, 0x80
	v_cmp_ne_u16_e32 vcc, s8, v30
	v_mov_b32_e32 v42, 0xffff8000
	s_and_saveexec_b64 s[8:9], vcc
	s_cbranch_execz .LBB864_46
; %bb.43:
	s_movk_i32 s10, 0x7f
	v_and_b32_e32 v53, 0x7f, v30
	v_cmp_ne_u32_e32 vcc, s10, v53
	v_mov_b32_e32 v42, 0x7f80
	s_and_saveexec_b64 s[10:11], vcc
	s_cbranch_execz .LBB864_45
; %bb.44:
	v_and_b32_e32 v42, 7, v30
	v_ffbh_u32_e32 v54, v42
	v_min_u32_e32 v57, 32, v54
	v_subrev_u32_e32 v54, 28, v57
	v_lshlrev_b64 v[54:55], v54, v[30:31]
	v_lshrrev_b32_e32 v56, 3, v53
	v_sub_u32_e32 v30, 29, v57
	v_and_b32_e32 v54, 7, v54
	v_cmp_gt_u32_e32 vcc, 8, v53
	v_cndmask_b32_e32 v30, v56, v30, vcc
	v_cndmask_b32_e32 v42, v42, v54, vcc
	v_lshlrev_b32_e32 v53, 16, v31
	v_bfrev_b32_e32 v54, 60
	v_lshlrev_b32_e32 v42, 20, v42
	v_and_b32_e32 v53, 0x80000000, v53
	v_lshl_add_u32 v30, v30, 23, v54
	v_or3_b32 v30, v53, v30, v42
	v_lshrrev_b32_e32 v42, 16, v30
.LBB864_45:
	s_or_b64 exec, exec, s[10:11]
.LBB864_46:
	s_or_b64 exec, exec, s[8:9]
.LBB864_47:
	s_or_b64 exec, exec, s[2:3]
	s_movk_i32 s2, 0xff
	v_and_b32_sdwa v55, v31, s2 dst_sel:DWORD dst_unused:UNUSED_PAD src0_sel:WORD_1 src1_sel:DWORD
	v_lshrrev_b32_e32 v30, 16, v31
	v_cmp_ne_u16_e32 vcc, 0, v55
	v_mov_b32_e32 v53, 0
	v_mov_b32_e32 v54, 0
	s_and_saveexec_b64 s[2:3], vcc
	s_cbranch_execz .LBB864_53
; %bb.48:
	s_movk_i32 s8, 0x80
	v_cmp_ne_u16_e32 vcc, s8, v55
	v_mov_b32_e32 v54, 0xffff8000
	s_and_saveexec_b64 s[8:9], vcc
	s_cbranch_execz .LBB864_52
; %bb.49:
	v_bfe_u32 v55, v31, 16, 7
	s_movk_i32 s10, 0x7f
	v_cmp_ne_u32_e32 vcc, s10, v55
	v_mov_b32_e32 v54, 0x7f80
	s_and_saveexec_b64 s[10:11], vcc
	s_cbranch_execz .LBB864_51
; %bb.50:
	v_and_b32_e32 v54, 7, v30
	v_ffbh_u32_e32 v56, v54
	v_min_u32_e32 v59, 32, v56
	v_subrev_u32_e32 v56, 28, v59
	v_lshlrev_b64 v[56:57], v56, v[30:31]
	v_lshrrev_b32_e32 v58, 3, v55
	v_sub_u32_e32 v30, 29, v59
	v_and_b32_e32 v56, 7, v56
	v_cmp_gt_u32_e32 vcc, 8, v55
	v_mov_b32_e32 v55, 24
	v_cndmask_b32_e32 v30, v58, v30, vcc
	v_cndmask_b32_e32 v54, v54, v56, vcc
	v_lshlrev_b32_sdwa v55, v55, v31 dst_sel:DWORD dst_unused:UNUSED_PAD src0_sel:DWORD src1_sel:WORD_1
	v_bfrev_b32_e32 v56, 60
	v_lshlrev_b32_e32 v54, 20, v54
	v_and_b32_e32 v55, 0x80000000, v55
	v_lshl_add_u32 v30, v30, 23, v56
	v_or3_b32 v30, v55, v30, v54
	v_lshrrev_b32_e32 v54, 16, v30
.LBB864_51:
	s_or_b64 exec, exec, s[10:11]
.LBB864_52:
	s_or_b64 exec, exec, s[8:9]
.LBB864_53:
	s_or_b64 exec, exec, s[2:3]
	s_mov_b32 s2, 0xffffff
	v_cmp_lt_u32_e32 vcc, s2, v31
	s_and_saveexec_b64 s[2:3], vcc
	s_cbranch_execz .LBB864_59
; %bb.54:
	v_lshrrev_b32_e32 v30, 24, v31
	s_movk_i32 s8, 0x80
	v_cmp_ne_u32_e32 vcc, s8, v30
	v_mov_b32_e32 v53, 0xffff8000
	s_and_saveexec_b64 s[8:9], vcc
	s_cbranch_execz .LBB864_58
; %bb.55:
	v_bfe_u32 v31, v31, 24, 7
	s_movk_i32 s10, 0x7f
	v_cmp_ne_u32_e32 vcc, s10, v31
	v_mov_b32_e32 v53, 0x7f80
	s_and_saveexec_b64 s[10:11], vcc
	s_cbranch_execz .LBB864_57
; %bb.56:
	v_and_b32_e32 v53, 7, v30
	v_ffbh_u32_e32 v56, v53
	v_min_u32_e32 v58, 32, v56
	v_subrev_u32_e32 v56, 28, v58
	v_lshlrev_b64 v[56:57], v56, v[30:31]
	v_lshrrev_b32_e32 v55, 3, v31
	v_sub_u32_e32 v57, 29, v58
	v_and_b32_e32 v56, 7, v56
	v_cmp_gt_u32_e32 vcc, 8, v31
	v_cndmask_b32_e32 v31, v55, v57, vcc
	v_cndmask_b32_e32 v53, v53, v56, vcc
	v_lshlrev_b32_e32 v30, 24, v30
	v_bfrev_b32_e32 v55, 60
	v_lshlrev_b32_e32 v53, 20, v53
	v_and_b32_e32 v30, 0x80000000, v30
	v_lshl_add_u32 v31, v31, 23, v55
	v_or3_b32 v30, v30, v31, v53
	v_lshrrev_b32_e32 v53, 16, v30
.LBB864_57:
	s_or_b64 exec, exec, s[10:11]
.LBB864_58:
	s_or_b64 exec, exec, s[8:9]
.LBB864_59:
	s_or_b64 exec, exec, s[2:3]
	s_mov_b32 s2, 0x5040100
	v_perm_b32 v31, v45, v51, s2
	v_perm_b32 v30, v44, v43, s2
	;; [unrolled: 1-line block ×4, first 2 shown]
	v_mov_b32_e32 v51, 0
	s_waitcnt lgkmcnt(0)
	v_mfma_f32_16x16x16bf16_1k v[56:59], v[30:31], v[26:27], 0
	v_mov_b32_e32 v31, 0
	v_cmp_ne_u16_sdwa s[8:9], v32, v31 src0_sel:BYTE_0 src1_sel:DWORD
	v_mfma_f32_16x16x16bf16_1k v[42:45], v[42:43], v[28:29], v[56:59]
	s_and_saveexec_b64 s[2:3], s[8:9]
	s_cbranch_execz .LBB864_65
; %bb.60:
	s_movk_i32 s8, 0x80
	v_cmp_ne_u16_sdwa s[10:11], v32, s8 src0_sel:BYTE_0 src1_sel:DWORD
	v_mov_b32_e32 v51, 0xffff8000
	s_and_saveexec_b64 s[8:9], s[10:11]
	s_cbranch_execz .LBB864_64
; %bb.61:
	s_movk_i32 s10, 0x7f
	v_and_b32_e32 v30, 0x7f, v32
	v_cmp_ne_u32_e32 vcc, s10, v30
	v_mov_b32_e32 v51, 0x7f80
	s_and_saveexec_b64 s[10:11], vcc
	s_cbranch_execz .LBB864_63
; %bb.62:
	v_and_b32_e32 v51, 7, v32
	v_ffbh_u32_e32 v52, v51
	v_min_u32_e32 v55, 32, v52
	v_subrev_u32_e32 v52, 28, v55
	v_lshlrev_b64 v[52:53], v52, v[32:33]
	v_lshrrev_b32_e32 v54, 3, v30
	v_sub_u32_e32 v53, 29, v55
	v_and_b32_e32 v52, 7, v52
	v_cmp_gt_u32_e32 vcc, 8, v30
	v_cndmask_b32_e32 v30, v54, v53, vcc
	v_cndmask_b32_e32 v51, v51, v52, vcc
	v_lshlrev_b32_e32 v52, 24, v32
	v_bfrev_b32_e32 v53, 60
	v_lshlrev_b32_e32 v51, 20, v51
	v_and_b32_e32 v52, 0x80000000, v52
	v_lshl_add_u32 v30, v30, 23, v53
	v_or3_b32 v30, v52, v30, v51
	v_lshrrev_b32_e32 v51, 16, v30
.LBB864_63:
	s_or_b64 exec, exec, s[10:11]
.LBB864_64:
	s_or_b64 exec, exec, s[8:9]
.LBB864_65:
	s_or_b64 exec, exec, s[2:3]
	v_lshrrev_b16_e32 v30, 8, v32
	v_cmp_ne_u16_e32 vcc, 0, v30
	s_and_saveexec_b64 s[2:3], vcc
	s_cbranch_execz .LBB864_71
; %bb.66:
	s_movk_i32 s8, 0x80
	v_cmp_ne_u16_e32 vcc, s8, v30
	v_mov_b32_e32 v31, 0xffff8000
	s_and_saveexec_b64 s[8:9], vcc
	s_cbranch_execz .LBB864_70
; %bb.67:
	s_movk_i32 s10, 0x7f
	v_and_b32_e32 v52, 0x7f, v30
	v_cmp_ne_u32_e32 vcc, s10, v52
	v_mov_b32_e32 v31, 0x7f80
	s_and_saveexec_b64 s[10:11], vcc
	s_cbranch_execz .LBB864_69
; %bb.68:
	v_and_b32_e32 v53, 7, v30
	v_ffbh_u32_e32 v31, v53
	v_min_u32_e32 v55, 32, v31
	v_subrev_u32_e32 v31, 28, v55
	v_lshlrev_b64 v[30:31], v31, v[30:31]
	v_lshrrev_b32_e32 v54, 3, v52
	v_sub_u32_e32 v31, 29, v55
	v_and_b32_e32 v30, 7, v30
	v_cmp_gt_u32_e32 vcc, 8, v52
	v_cndmask_b32_e32 v31, v54, v31, vcc
	v_cndmask_b32_e32 v30, v53, v30, vcc
	v_lshlrev_b32_e32 v52, 16, v32
	v_bfrev_b32_e32 v53, 60
	v_lshlrev_b32_e32 v30, 20, v30
	v_and_b32_e32 v52, 0x80000000, v52
	v_lshl_add_u32 v31, v31, 23, v53
	v_or3_b32 v30, v52, v31, v30
	v_lshrrev_b32_e32 v31, 16, v30
.LBB864_69:
	s_or_b64 exec, exec, s[10:11]
.LBB864_70:
	s_or_b64 exec, exec, s[8:9]
.LBB864_71:
	s_or_b64 exec, exec, s[2:3]
	s_movk_i32 s2, 0xff
	v_and_b32_sdwa v54, v32, s2 dst_sel:DWORD dst_unused:UNUSED_PAD src0_sel:WORD_1 src1_sel:DWORD
	v_lshrrev_b32_e32 v30, 16, v32
	v_cmp_ne_u16_e32 vcc, 0, v54
	v_mov_b32_e32 v52, 0
	v_mov_b32_e32 v53, 0
	s_and_saveexec_b64 s[2:3], vcc
	s_cbranch_execz .LBB864_77
; %bb.72:
	s_movk_i32 s8, 0x80
	v_cmp_ne_u16_e32 vcc, s8, v54
	v_mov_b32_e32 v53, 0xffff8000
	s_and_saveexec_b64 s[8:9], vcc
	s_cbranch_execz .LBB864_76
; %bb.73:
	v_bfe_u32 v54, v32, 16, 7
	s_movk_i32 s10, 0x7f
	v_cmp_ne_u32_e32 vcc, s10, v54
	v_mov_b32_e32 v53, 0x7f80
	s_and_saveexec_b64 s[10:11], vcc
	s_cbranch_execz .LBB864_75
; %bb.74:
	v_and_b32_e32 v53, 7, v30
	v_ffbh_u32_e32 v56, v53
	v_min_u32_e32 v58, 32, v56
	v_subrev_u32_e32 v56, 28, v58
	v_lshlrev_b64 v[56:57], v56, v[30:31]
	v_lshrrev_b32_e32 v55, 3, v54
	v_sub_u32_e32 v30, 29, v58
	v_and_b32_e32 v56, 7, v56
	v_cmp_gt_u32_e32 vcc, 8, v54
	v_mov_b32_e32 v54, 24
	v_cndmask_b32_e32 v30, v55, v30, vcc
	v_cndmask_b32_e32 v53, v53, v56, vcc
	v_lshlrev_b32_sdwa v54, v54, v32 dst_sel:DWORD dst_unused:UNUSED_PAD src0_sel:DWORD src1_sel:WORD_1
	v_bfrev_b32_e32 v55, 60
	v_lshlrev_b32_e32 v53, 20, v53
	v_and_b32_e32 v54, 0x80000000, v54
	v_lshl_add_u32 v30, v30, 23, v55
	v_or3_b32 v30, v54, v30, v53
	v_lshrrev_b32_e32 v53, 16, v30
.LBB864_75:
	s_or_b64 exec, exec, s[10:11]
.LBB864_76:
	s_or_b64 exec, exec, s[8:9]
.LBB864_77:
	s_or_b64 exec, exec, s[2:3]
	s_mov_b32 s2, 0xffffff
	v_cmp_lt_u32_e32 vcc, s2, v32
	s_and_saveexec_b64 s[2:3], vcc
	s_cbranch_execz .LBB864_83
; %bb.78:
	v_lshrrev_b32_e32 v30, 24, v32
	s_movk_i32 s8, 0x80
	v_cmp_ne_u32_e32 vcc, s8, v30
	v_mov_b32_e32 v52, 0xffff8000
	s_and_saveexec_b64 s[8:9], vcc
	s_cbranch_execz .LBB864_82
; %bb.79:
	v_bfe_u32 v32, v32, 24, 7
	s_movk_i32 s10, 0x7f
	v_cmp_ne_u32_e32 vcc, s10, v32
	v_mov_b32_e32 v52, 0x7f80
	s_and_saveexec_b64 s[10:11], vcc
	s_cbranch_execz .LBB864_81
; %bb.80:
	v_and_b32_e32 v52, 7, v30
	v_ffbh_u32_e32 v54, v52
	v_min_u32_e32 v57, 32, v54
	v_subrev_u32_e32 v54, 28, v57
	v_lshlrev_b64 v[54:55], v54, v[30:31]
	v_lshrrev_b32_e32 v56, 3, v32
	v_sub_u32_e32 v55, 29, v57
	v_and_b32_e32 v54, 7, v54
	v_cmp_gt_u32_e32 vcc, 8, v32
	v_cndmask_b32_e32 v32, v56, v55, vcc
	v_cndmask_b32_e32 v52, v52, v54, vcc
	v_lshlrev_b32_e32 v30, 24, v30
	v_bfrev_b32_e32 v54, 60
	v_lshlrev_b32_e32 v52, 20, v52
	v_and_b32_e32 v30, 0x80000000, v30
	v_lshl_add_u32 v32, v32, 23, v54
	v_or3_b32 v30, v30, v32, v52
	v_lshrrev_b32_e32 v52, 16, v30
.LBB864_81:
	s_or_b64 exec, exec, s[10:11]
.LBB864_82:
	s_or_b64 exec, exec, s[8:9]
.LBB864_83:
	s_or_b64 exec, exec, s[2:3]
	v_mov_b32_e32 v32, 0
	v_cmp_ne_u16_sdwa s[8:9], v33, v32 src0_sel:BYTE_0 src1_sel:DWORD
	v_mov_b32_e32 v54, 0
	s_and_saveexec_b64 s[2:3], s[8:9]
	s_cbranch_execz .LBB864_89
; %bb.84:
	s_movk_i32 s8, 0x80
	v_cmp_ne_u16_sdwa s[10:11], v33, s8 src0_sel:BYTE_0 src1_sel:DWORD
	v_mov_b32_e32 v54, 0xffff8000
	s_and_saveexec_b64 s[8:9], s[10:11]
	s_cbranch_execz .LBB864_88
; %bb.85:
	s_movk_i32 s10, 0x7f
	v_and_b32_e32 v30, 0x7f, v33
	v_cmp_ne_u32_e32 vcc, s10, v30
	v_mov_b32_e32 v54, 0x7f80
	s_and_saveexec_b64 s[10:11], vcc
	s_cbranch_execz .LBB864_87
; %bb.86:
	v_and_b32_e32 v56, 7, v33
	v_ffbh_u32_e32 v55, v56
	v_min_u32_e32 v58, 32, v55
	v_mov_b32_e32 v54, v33
	v_subrev_u32_e32 v55, 28, v58
	v_lshlrev_b64 v[54:55], v55, v[54:55]
	v_lshrrev_b32_e32 v57, 3, v30
	v_sub_u32_e32 v55, 29, v58
	v_and_b32_e32 v54, 7, v54
	v_cmp_gt_u32_e32 vcc, 8, v30
	v_cndmask_b32_e32 v30, v57, v55, vcc
	v_cndmask_b32_e32 v54, v56, v54, vcc
	v_lshlrev_b32_e32 v55, 24, v33
	v_bfrev_b32_e32 v56, 60
	v_lshlrev_b32_e32 v54, 20, v54
	v_and_b32_e32 v55, 0x80000000, v55
	v_lshl_add_u32 v30, v30, 23, v56
	v_or3_b32 v30, v55, v30, v54
	v_lshrrev_b32_e32 v54, 16, v30
.LBB864_87:
	s_or_b64 exec, exec, s[10:11]
.LBB864_88:
	s_or_b64 exec, exec, s[8:9]
.LBB864_89:
	s_or_b64 exec, exec, s[2:3]
	v_lshrrev_b16_e32 v30, 8, v33
	v_cmp_ne_u16_e32 vcc, 0, v30
	s_and_saveexec_b64 s[2:3], vcc
	s_cbranch_execz .LBB864_95
; %bb.90:
	s_movk_i32 s8, 0x80
	v_cmp_ne_u16_e32 vcc, s8, v30
	v_mov_b32_e32 v32, 0xffff8000
	s_and_saveexec_b64 s[8:9], vcc
	s_cbranch_execz .LBB864_94
; %bb.91:
	s_movk_i32 s10, 0x7f
	v_and_b32_e32 v55, 0x7f, v30
	v_cmp_ne_u32_e32 vcc, s10, v55
	v_mov_b32_e32 v32, 0x7f80
	s_and_saveexec_b64 s[10:11], vcc
	s_cbranch_execz .LBB864_93
; %bb.92:
	v_and_b32_e32 v32, 7, v30
	v_ffbh_u32_e32 v56, v32
	v_min_u32_e32 v59, 32, v56
	v_subrev_u32_e32 v56, 28, v59
	v_lshlrev_b64 v[56:57], v56, v[30:31]
	v_lshrrev_b32_e32 v58, 3, v55
	v_sub_u32_e32 v30, 29, v59
	v_and_b32_e32 v56, 7, v56
	v_cmp_gt_u32_e32 vcc, 8, v55
	v_cndmask_b32_e32 v30, v58, v30, vcc
	v_cndmask_b32_e32 v32, v32, v56, vcc
	v_lshlrev_b32_e32 v55, 16, v33
	v_bfrev_b32_e32 v56, 60
	v_lshlrev_b32_e32 v32, 20, v32
	v_and_b32_e32 v55, 0x80000000, v55
	v_lshl_add_u32 v30, v30, 23, v56
	v_or3_b32 v30, v55, v30, v32
	v_lshrrev_b32_e32 v32, 16, v30
.LBB864_93:
	s_or_b64 exec, exec, s[10:11]
.LBB864_94:
	s_or_b64 exec, exec, s[8:9]
.LBB864_95:
	s_or_b64 exec, exec, s[2:3]
	s_movk_i32 s2, 0xff
	v_and_b32_sdwa v57, v33, s2 dst_sel:DWORD dst_unused:UNUSED_PAD src0_sel:WORD_1 src1_sel:DWORD
	v_lshrrev_b32_e32 v30, 16, v33
	v_cmp_ne_u16_e32 vcc, 0, v57
	v_mov_b32_e32 v55, 0
	v_mov_b32_e32 v56, 0
	s_and_saveexec_b64 s[2:3], vcc
	s_cbranch_execz .LBB864_101
; %bb.96:
	s_movk_i32 s8, 0x80
	v_cmp_ne_u16_e32 vcc, s8, v57
	v_mov_b32_e32 v56, 0xffff8000
	s_and_saveexec_b64 s[8:9], vcc
	s_cbranch_execz .LBB864_100
; %bb.97:
	v_bfe_u32 v57, v33, 16, 7
	s_movk_i32 s10, 0x7f
	v_cmp_ne_u32_e32 vcc, s10, v57
	v_mov_b32_e32 v56, 0x7f80
	s_and_saveexec_b64 s[10:11], vcc
	s_cbranch_execz .LBB864_99
; %bb.98:
	v_and_b32_e32 v56, 7, v30
	v_ffbh_u32_e32 v58, v56
	v_min_u32_e32 v61, 32, v58
	v_subrev_u32_e32 v58, 28, v61
	v_lshlrev_b64 v[58:59], v58, v[30:31]
	v_lshrrev_b32_e32 v60, 3, v57
	v_sub_u32_e32 v30, 29, v61
	v_and_b32_e32 v58, 7, v58
	v_cmp_gt_u32_e32 vcc, 8, v57
	v_mov_b32_e32 v57, 24
	v_cndmask_b32_e32 v30, v60, v30, vcc
	v_cndmask_b32_e32 v56, v56, v58, vcc
	v_lshlrev_b32_sdwa v57, v57, v33 dst_sel:DWORD dst_unused:UNUSED_PAD src0_sel:DWORD src1_sel:WORD_1
	v_bfrev_b32_e32 v58, 60
	v_lshlrev_b32_e32 v56, 20, v56
	v_and_b32_e32 v57, 0x80000000, v57
	v_lshl_add_u32 v30, v30, 23, v58
	v_or3_b32 v30, v57, v30, v56
	v_lshrrev_b32_e32 v56, 16, v30
.LBB864_99:
	s_or_b64 exec, exec, s[10:11]
.LBB864_100:
	s_or_b64 exec, exec, s[8:9]
.LBB864_101:
	s_or_b64 exec, exec, s[2:3]
	s_mov_b32 s2, 0xffffff
	v_cmp_lt_u32_e32 vcc, s2, v33
	s_and_saveexec_b64 s[2:3], vcc
	s_cbranch_execz .LBB864_107
; %bb.102:
	v_lshrrev_b32_e32 v30, 24, v33
	s_movk_i32 s8, 0x80
	v_cmp_ne_u32_e32 vcc, s8, v30
	v_mov_b32_e32 v55, 0xffff8000
	s_and_saveexec_b64 s[8:9], vcc
	s_cbranch_execz .LBB864_106
; %bb.103:
	v_bfe_u32 v33, v33, 24, 7
	s_movk_i32 s10, 0x7f
	v_cmp_ne_u32_e32 vcc, s10, v33
	v_mov_b32_e32 v55, 0x7f80
	s_and_saveexec_b64 s[10:11], vcc
	s_cbranch_execz .LBB864_105
; %bb.104:
	v_and_b32_e32 v55, 7, v30
	v_ffbh_u32_e32 v58, v55
	v_min_u32_e32 v60, 32, v58
	v_subrev_u32_e32 v58, 28, v60
	v_lshlrev_b64 v[58:59], v58, v[30:31]
	v_lshrrev_b32_e32 v57, 3, v33
	v_sub_u32_e32 v59, 29, v60
	v_and_b32_e32 v58, 7, v58
	v_cmp_gt_u32_e32 vcc, 8, v33
	v_cndmask_b32_e32 v33, v57, v59, vcc
	v_cndmask_b32_e32 v55, v55, v58, vcc
	v_lshlrev_b32_e32 v30, 24, v30
	v_bfrev_b32_e32 v57, 60
	v_lshlrev_b32_e32 v55, 20, v55
	v_and_b32_e32 v30, 0x80000000, v30
	v_lshl_add_u32 v33, v33, 23, v57
	v_or3_b32 v30, v30, v33, v55
	v_lshrrev_b32_e32 v55, 16, v30
.LBB864_105:
	s_or_b64 exec, exec, s[10:11]
.LBB864_106:
	s_or_b64 exec, exec, s[8:9]
.LBB864_107:
	s_or_b64 exec, exec, s[2:3]
	s_mov_b32 s2, 0x5040100
	v_perm_b32 v53, v52, v53, s2
	v_perm_b32 v52, v31, v51, s2
	;; [unrolled: 1-line block ×4, first 2 shown]
	v_mfma_f32_16x16x16bf16_1k v[58:61], v[52:53], v[18:19], v[42:45]
	s_nop 6
	v_mov_b32_e32 v43, 0
	s_waitcnt vmcnt(6)
	v_cmp_ne_u16_sdwa s[8:9], v38, v43 src0_sel:BYTE_0 src1_sel:DWORD
	v_mfma_f32_16x16x16bf16_1k v[30:33], v[30:31], v[20:21], v[58:61]
	v_mov_b32_e32 v44, 0
	s_and_saveexec_b64 s[2:3], s[8:9]
	s_cbranch_execz .LBB864_113
; %bb.108:
	s_movk_i32 s8, 0x80
	v_cmp_ne_u16_sdwa s[10:11], v38, s8 src0_sel:BYTE_0 src1_sel:DWORD
	v_mov_b32_e32 v44, 0xffff8000
	s_and_saveexec_b64 s[8:9], s[10:11]
	s_cbranch_execz .LBB864_112
; %bb.109:
	s_movk_i32 s10, 0x7f
	v_and_b32_e32 v42, 0x7f, v38
	v_cmp_ne_u32_e32 vcc, s10, v42
	v_mov_b32_e32 v44, 0x7f80
	s_and_saveexec_b64 s[10:11], vcc
	s_cbranch_execz .LBB864_111
; %bb.110:
	v_and_b32_e32 v51, 7, v38
	v_ffbh_u32_e32 v44, v51
	v_min_u32_e32 v53, 32, v44
	v_subrev_u32_e32 v44, 28, v53
	v_lshlrev_b64 v[44:45], v44, v[38:39]
	v_lshrrev_b32_e32 v52, 3, v42
	v_sub_u32_e32 v45, 29, v53
	v_and_b32_e32 v44, 7, v44
	v_cmp_gt_u32_e32 vcc, 8, v42
	v_cndmask_b32_e32 v42, v52, v45, vcc
	v_cndmask_b32_e32 v44, v51, v44, vcc
	v_lshlrev_b32_e32 v45, 24, v38
	v_bfrev_b32_e32 v51, 60
	v_lshlrev_b32_e32 v44, 20, v44
	v_and_b32_e32 v45, 0x80000000, v45
	v_lshl_add_u32 v42, v42, 23, v51
	v_or3_b32 v42, v45, v42, v44
	v_lshrrev_b32_e32 v44, 16, v42
.LBB864_111:
	s_or_b64 exec, exec, s[10:11]
.LBB864_112:
	s_or_b64 exec, exec, s[8:9]
.LBB864_113:
	s_or_b64 exec, exec, s[2:3]
	v_lshrrev_b16_e32 v42, 8, v38
	v_cmp_ne_u16_e32 vcc, 0, v42
	s_and_saveexec_b64 s[2:3], vcc
	s_cbranch_execz .LBB864_119
; %bb.114:
	s_movk_i32 s8, 0x80
	v_cmp_ne_u16_e32 vcc, s8, v42
	v_mov_b32_e32 v43, 0xffff8000
	s_and_saveexec_b64 s[8:9], vcc
	s_cbranch_execz .LBB864_118
; %bb.115:
	s_movk_i32 s10, 0x7f
	v_and_b32_e32 v45, 0x7f, v42
	v_cmp_ne_u32_e32 vcc, s10, v45
	v_mov_b32_e32 v43, 0x7f80
	s_and_saveexec_b64 s[10:11], vcc
	s_cbranch_execz .LBB864_117
; %bb.116:
	v_and_b32_e32 v51, 7, v42
	v_ffbh_u32_e32 v43, v51
	v_min_u32_e32 v53, 32, v43
	v_subrev_u32_e32 v43, 28, v53
	v_lshlrev_b64 v[42:43], v43, v[42:43]
	v_lshrrev_b32_e32 v52, 3, v45
	v_sub_u32_e32 v43, 29, v53
	v_and_b32_e32 v42, 7, v42
	v_cmp_gt_u32_e32 vcc, 8, v45
	v_cndmask_b32_e32 v43, v52, v43, vcc
	v_cndmask_b32_e32 v42, v51, v42, vcc
	v_lshlrev_b32_e32 v45, 16, v38
	v_bfrev_b32_e32 v51, 60
	v_lshlrev_b32_e32 v42, 20, v42
	v_and_b32_e32 v45, 0x80000000, v45
	v_lshl_add_u32 v43, v43, 23, v51
	v_or3_b32 v42, v45, v43, v42
	v_lshrrev_b32_e32 v43, 16, v42
.LBB864_117:
	s_or_b64 exec, exec, s[10:11]
.LBB864_118:
	s_or_b64 exec, exec, s[8:9]
.LBB864_119:
	s_or_b64 exec, exec, s[2:3]
	s_movk_i32 s2, 0xff
	v_and_b32_sdwa v52, v38, s2 dst_sel:DWORD dst_unused:UNUSED_PAD src0_sel:WORD_1 src1_sel:DWORD
	v_lshrrev_b32_e32 v42, 16, v38
	v_cmp_ne_u16_e32 vcc, 0, v52
	v_mov_b32_e32 v45, 0
	v_mov_b32_e32 v51, 0
	s_and_saveexec_b64 s[2:3], vcc
	s_cbranch_execz .LBB864_125
; %bb.120:
	s_movk_i32 s8, 0x80
	v_cmp_ne_u16_e32 vcc, s8, v52
	v_mov_b32_e32 v51, 0xffff8000
	s_and_saveexec_b64 s[8:9], vcc
	s_cbranch_execz .LBB864_124
; %bb.121:
	v_bfe_u32 v52, v38, 16, 7
	s_movk_i32 s10, 0x7f
	v_cmp_ne_u32_e32 vcc, s10, v52
	v_mov_b32_e32 v51, 0x7f80
	s_and_saveexec_b64 s[10:11], vcc
	s_cbranch_execz .LBB864_123
; %bb.122:
	v_and_b32_e32 v51, 7, v42
	v_ffbh_u32_e32 v54, v51
	v_min_u32_e32 v56, 32, v54
	v_subrev_u32_e32 v54, 28, v56
	v_lshlrev_b64 v[54:55], v54, v[42:43]
	v_lshrrev_b32_e32 v53, 3, v52
	v_sub_u32_e32 v42, 29, v56
	v_and_b32_e32 v54, 7, v54
	v_cmp_gt_u32_e32 vcc, 8, v52
	v_mov_b32_e32 v52, 24
	v_cndmask_b32_e32 v42, v53, v42, vcc
	v_cndmask_b32_e32 v51, v51, v54, vcc
	v_lshlrev_b32_sdwa v52, v52, v38 dst_sel:DWORD dst_unused:UNUSED_PAD src0_sel:DWORD src1_sel:WORD_1
	v_bfrev_b32_e32 v53, 60
	v_lshlrev_b32_e32 v51, 20, v51
	v_and_b32_e32 v52, 0x80000000, v52
	v_lshl_add_u32 v42, v42, 23, v53
	v_or3_b32 v42, v52, v42, v51
	v_lshrrev_b32_e32 v51, 16, v42
.LBB864_123:
	s_or_b64 exec, exec, s[10:11]
.LBB864_124:
	s_or_b64 exec, exec, s[8:9]
.LBB864_125:
	s_or_b64 exec, exec, s[2:3]
	s_mov_b32 s2, 0xffffff
	v_cmp_lt_u32_e32 vcc, s2, v38
	s_and_saveexec_b64 s[2:3], vcc
	s_cbranch_execz .LBB864_131
; %bb.126:
	v_lshrrev_b32_e32 v42, 24, v38
	s_movk_i32 s8, 0x80
	v_cmp_ne_u32_e32 vcc, s8, v42
	v_mov_b32_e32 v45, 0xffff8000
	s_and_saveexec_b64 s[8:9], vcc
	s_cbranch_execz .LBB864_130
; %bb.127:
	v_bfe_u32 v38, v38, 24, 7
	s_movk_i32 s10, 0x7f
	v_cmp_ne_u32_e32 vcc, s10, v38
	v_mov_b32_e32 v45, 0x7f80
	s_and_saveexec_b64 s[10:11], vcc
	s_cbranch_execz .LBB864_129
; %bb.128:
	v_and_b32_e32 v45, 7, v42
	v_ffbh_u32_e32 v52, v45
	v_min_u32_e32 v55, 32, v52
	v_subrev_u32_e32 v52, 28, v55
	v_lshlrev_b64 v[52:53], v52, v[42:43]
	v_lshrrev_b32_e32 v54, 3, v38
	v_sub_u32_e32 v53, 29, v55
	v_and_b32_e32 v52, 7, v52
	v_cmp_gt_u32_e32 vcc, 8, v38
	v_cndmask_b32_e32 v38, v54, v53, vcc
	v_cndmask_b32_e32 v45, v45, v52, vcc
	v_lshlrev_b32_e32 v42, 24, v42
	v_bfrev_b32_e32 v52, 60
	v_lshlrev_b32_e32 v45, 20, v45
	v_and_b32_e32 v42, 0x80000000, v42
	v_lshl_add_u32 v38, v38, 23, v52
	v_or3_b32 v38, v42, v38, v45
	v_lshrrev_b32_e32 v45, 16, v38
.LBB864_129:
	s_or_b64 exec, exec, s[10:11]
.LBB864_130:
	s_or_b64 exec, exec, s[8:9]
.LBB864_131:
	s_or_b64 exec, exec, s[2:3]
	v_mov_b32_e32 v42, 0
	v_cmp_ne_u16_sdwa s[8:9], v39, v42 src0_sel:BYTE_0 src1_sel:DWORD
	v_mov_b32_e32 v52, 0
	s_and_saveexec_b64 s[2:3], s[8:9]
	s_cbranch_execz .LBB864_137
; %bb.132:
	s_movk_i32 s8, 0x80
	v_cmp_ne_u16_sdwa s[10:11], v39, s8 src0_sel:BYTE_0 src1_sel:DWORD
	v_mov_b32_e32 v52, 0xffff8000
	s_and_saveexec_b64 s[8:9], s[10:11]
	s_cbranch_execz .LBB864_136
; %bb.133:
	s_movk_i32 s10, 0x7f
	v_and_b32_e32 v38, 0x7f, v39
	v_cmp_ne_u32_e32 vcc, s10, v38
	v_mov_b32_e32 v52, 0x7f80
	s_and_saveexec_b64 s[10:11], vcc
	s_cbranch_execz .LBB864_135
; %bb.134:
	v_and_b32_e32 v54, 7, v39
	v_ffbh_u32_e32 v53, v54
	v_min_u32_e32 v56, 32, v53
	v_mov_b32_e32 v52, v39
	v_subrev_u32_e32 v53, 28, v56
	v_lshlrev_b64 v[52:53], v53, v[52:53]
	v_lshrrev_b32_e32 v55, 3, v38
	v_sub_u32_e32 v53, 29, v56
	v_and_b32_e32 v52, 7, v52
	v_cmp_gt_u32_e32 vcc, 8, v38
	v_cndmask_b32_e32 v38, v55, v53, vcc
	v_cndmask_b32_e32 v52, v54, v52, vcc
	v_lshlrev_b32_e32 v53, 24, v39
	v_bfrev_b32_e32 v54, 60
	v_lshlrev_b32_e32 v52, 20, v52
	v_and_b32_e32 v53, 0x80000000, v53
	v_lshl_add_u32 v38, v38, 23, v54
	v_or3_b32 v38, v53, v38, v52
	v_lshrrev_b32_e32 v52, 16, v38
.LBB864_135:
	s_or_b64 exec, exec, s[10:11]
.LBB864_136:
	s_or_b64 exec, exec, s[8:9]
.LBB864_137:
	s_or_b64 exec, exec, s[2:3]
	v_lshrrev_b16_e32 v38, 8, v39
	v_cmp_ne_u16_e32 vcc, 0, v38
	s_and_saveexec_b64 s[2:3], vcc
	s_cbranch_execz .LBB864_143
; %bb.138:
	s_movk_i32 s8, 0x80
	v_cmp_ne_u16_e32 vcc, s8, v38
	v_mov_b32_e32 v42, 0xffff8000
	s_and_saveexec_b64 s[8:9], vcc
	s_cbranch_execz .LBB864_142
; %bb.139:
	s_movk_i32 s10, 0x7f
	v_and_b32_e32 v53, 0x7f, v38
	v_cmp_ne_u32_e32 vcc, s10, v53
	v_mov_b32_e32 v42, 0x7f80
	s_and_saveexec_b64 s[10:11], vcc
	s_cbranch_execz .LBB864_141
; %bb.140:
	v_and_b32_e32 v42, 7, v38
	v_ffbh_u32_e32 v54, v42
	v_min_u32_e32 v57, 32, v54
	v_subrev_u32_e32 v54, 28, v57
	v_lshlrev_b64 v[54:55], v54, v[38:39]
	v_lshrrev_b32_e32 v56, 3, v53
	v_sub_u32_e32 v38, 29, v57
	v_and_b32_e32 v54, 7, v54
	v_cmp_gt_u32_e32 vcc, 8, v53
	v_cndmask_b32_e32 v38, v56, v38, vcc
	v_cndmask_b32_e32 v42, v42, v54, vcc
	v_lshlrev_b32_e32 v53, 16, v39
	v_bfrev_b32_e32 v54, 60
	v_lshlrev_b32_e32 v42, 20, v42
	v_and_b32_e32 v53, 0x80000000, v53
	v_lshl_add_u32 v38, v38, 23, v54
	v_or3_b32 v38, v53, v38, v42
	v_lshrrev_b32_e32 v42, 16, v38
.LBB864_141:
	s_or_b64 exec, exec, s[10:11]
.LBB864_142:
	s_or_b64 exec, exec, s[8:9]
.LBB864_143:
	s_or_b64 exec, exec, s[2:3]
	s_movk_i32 s2, 0xff
	v_and_b32_sdwa v55, v39, s2 dst_sel:DWORD dst_unused:UNUSED_PAD src0_sel:WORD_1 src1_sel:DWORD
	v_lshrrev_b32_e32 v38, 16, v39
	v_cmp_ne_u16_e32 vcc, 0, v55
	v_mov_b32_e32 v53, 0
	v_mov_b32_e32 v54, 0
	s_and_saveexec_b64 s[2:3], vcc
	s_cbranch_execz .LBB864_149
; %bb.144:
	s_movk_i32 s8, 0x80
	v_cmp_ne_u16_e32 vcc, s8, v55
	v_mov_b32_e32 v54, 0xffff8000
	s_and_saveexec_b64 s[8:9], vcc
	s_cbranch_execz .LBB864_148
; %bb.145:
	v_bfe_u32 v55, v39, 16, 7
	s_movk_i32 s10, 0x7f
	v_cmp_ne_u32_e32 vcc, s10, v55
	v_mov_b32_e32 v54, 0x7f80
	s_and_saveexec_b64 s[10:11], vcc
	s_cbranch_execz .LBB864_147
; %bb.146:
	v_and_b32_e32 v54, 7, v38
	v_ffbh_u32_e32 v56, v54
	v_min_u32_e32 v59, 32, v56
	v_subrev_u32_e32 v56, 28, v59
	v_lshlrev_b64 v[56:57], v56, v[38:39]
	v_lshrrev_b32_e32 v58, 3, v55
	v_sub_u32_e32 v38, 29, v59
	v_and_b32_e32 v56, 7, v56
	v_cmp_gt_u32_e32 vcc, 8, v55
	v_mov_b32_e32 v55, 24
	v_cndmask_b32_e32 v38, v58, v38, vcc
	v_cndmask_b32_e32 v54, v54, v56, vcc
	v_lshlrev_b32_sdwa v55, v55, v39 dst_sel:DWORD dst_unused:UNUSED_PAD src0_sel:DWORD src1_sel:WORD_1
	v_bfrev_b32_e32 v56, 60
	v_lshlrev_b32_e32 v54, 20, v54
	v_and_b32_e32 v55, 0x80000000, v55
	v_lshl_add_u32 v38, v38, 23, v56
	v_or3_b32 v38, v55, v38, v54
	v_lshrrev_b32_e32 v54, 16, v38
.LBB864_147:
	s_or_b64 exec, exec, s[10:11]
.LBB864_148:
	s_or_b64 exec, exec, s[8:9]
.LBB864_149:
	s_or_b64 exec, exec, s[2:3]
	s_mov_b32 s2, 0xffffff
	v_cmp_lt_u32_e32 vcc, s2, v39
	s_and_saveexec_b64 s[2:3], vcc
	s_cbranch_execz .LBB864_155
; %bb.150:
	v_lshrrev_b32_e32 v38, 24, v39
	s_movk_i32 s8, 0x80
	v_cmp_ne_u32_e32 vcc, s8, v38
	v_mov_b32_e32 v53, 0xffff8000
	s_and_saveexec_b64 s[8:9], vcc
	s_cbranch_execz .LBB864_154
; %bb.151:
	v_bfe_u32 v39, v39, 24, 7
	s_movk_i32 s10, 0x7f
	v_cmp_ne_u32_e32 vcc, s10, v39
	v_mov_b32_e32 v53, 0x7f80
	s_and_saveexec_b64 s[10:11], vcc
	s_cbranch_execz .LBB864_153
; %bb.152:
	v_and_b32_e32 v53, 7, v38
	v_ffbh_u32_e32 v56, v53
	v_min_u32_e32 v58, 32, v56
	v_subrev_u32_e32 v56, 28, v58
	v_lshlrev_b64 v[56:57], v56, v[38:39]
	v_lshrrev_b32_e32 v55, 3, v39
	v_sub_u32_e32 v57, 29, v58
	v_and_b32_e32 v56, 7, v56
	v_cmp_gt_u32_e32 vcc, 8, v39
	v_cndmask_b32_e32 v39, v55, v57, vcc
	v_cndmask_b32_e32 v53, v53, v56, vcc
	v_lshlrev_b32_e32 v38, 24, v38
	v_bfrev_b32_e32 v55, 60
	v_lshlrev_b32_e32 v53, 20, v53
	v_and_b32_e32 v38, 0x80000000, v38
	v_lshl_add_u32 v39, v39, 23, v55
	v_or3_b32 v38, v38, v39, v53
	v_lshrrev_b32_e32 v53, 16, v38
.LBB864_153:
	s_or_b64 exec, exec, s[10:11]
.LBB864_154:
	s_or_b64 exec, exec, s[8:9]
.LBB864_155:
	s_or_b64 exec, exec, s[2:3]
	s_mov_b32 s2, 0x5040100
	v_perm_b32 v39, v45, v51, s2
	v_perm_b32 v38, v43, v44, s2
	;; [unrolled: 1-line block ×4, first 2 shown]
	v_mov_b32_e32 v51, 0
	v_mfma_f32_16x16x16bf16_1k v[56:59], v[38:39], v[26:27], 0
	v_mov_b32_e32 v39, 0
	v_cmp_ne_u16_sdwa s[8:9], v40, v39 src0_sel:BYTE_0 src1_sel:DWORD
	v_mfma_f32_16x16x16bf16_1k v[42:45], v[42:43], v[28:29], v[56:59]
	s_and_saveexec_b64 s[2:3], s[8:9]
	s_cbranch_execz .LBB864_161
; %bb.156:
	s_movk_i32 s8, 0x80
	v_cmp_ne_u16_sdwa s[10:11], v40, s8 src0_sel:BYTE_0 src1_sel:DWORD
	v_mov_b32_e32 v51, 0xffff8000
	s_and_saveexec_b64 s[8:9], s[10:11]
	s_cbranch_execz .LBB864_160
; %bb.157:
	s_movk_i32 s10, 0x7f
	v_and_b32_e32 v38, 0x7f, v40
	v_cmp_ne_u32_e32 vcc, s10, v38
	v_mov_b32_e32 v51, 0x7f80
	s_and_saveexec_b64 s[10:11], vcc
	s_cbranch_execz .LBB864_159
; %bb.158:
	v_and_b32_e32 v51, 7, v40
	v_ffbh_u32_e32 v52, v51
	v_min_u32_e32 v55, 32, v52
	v_subrev_u32_e32 v52, 28, v55
	v_lshlrev_b64 v[52:53], v52, v[40:41]
	v_lshrrev_b32_e32 v54, 3, v38
	v_sub_u32_e32 v53, 29, v55
	v_and_b32_e32 v52, 7, v52
	v_cmp_gt_u32_e32 vcc, 8, v38
	v_cndmask_b32_e32 v38, v54, v53, vcc
	v_cndmask_b32_e32 v51, v51, v52, vcc
	v_lshlrev_b32_e32 v52, 24, v40
	v_bfrev_b32_e32 v53, 60
	v_lshlrev_b32_e32 v51, 20, v51
	v_and_b32_e32 v52, 0x80000000, v52
	v_lshl_add_u32 v38, v38, 23, v53
	v_or3_b32 v38, v52, v38, v51
	v_lshrrev_b32_e32 v51, 16, v38
.LBB864_159:
	s_or_b64 exec, exec, s[10:11]
.LBB864_160:
	s_or_b64 exec, exec, s[8:9]
.LBB864_161:
	s_or_b64 exec, exec, s[2:3]
	v_lshrrev_b16_e32 v38, 8, v40
	v_cmp_ne_u16_e32 vcc, 0, v38
	s_and_saveexec_b64 s[2:3], vcc
	s_cbranch_execz .LBB864_167
; %bb.162:
	s_movk_i32 s8, 0x80
	v_cmp_ne_u16_e32 vcc, s8, v38
	v_mov_b32_e32 v39, 0xffff8000
	s_and_saveexec_b64 s[8:9], vcc
	s_cbranch_execz .LBB864_166
; %bb.163:
	s_movk_i32 s10, 0x7f
	v_and_b32_e32 v52, 0x7f, v38
	v_cmp_ne_u32_e32 vcc, s10, v52
	v_mov_b32_e32 v39, 0x7f80
	s_and_saveexec_b64 s[10:11], vcc
	s_cbranch_execz .LBB864_165
; %bb.164:
	v_and_b32_e32 v53, 7, v38
	v_ffbh_u32_e32 v39, v53
	v_min_u32_e32 v55, 32, v39
	v_subrev_u32_e32 v39, 28, v55
	v_lshlrev_b64 v[38:39], v39, v[38:39]
	v_lshrrev_b32_e32 v54, 3, v52
	v_sub_u32_e32 v39, 29, v55
	v_and_b32_e32 v38, 7, v38
	v_cmp_gt_u32_e32 vcc, 8, v52
	v_cndmask_b32_e32 v39, v54, v39, vcc
	v_cndmask_b32_e32 v38, v53, v38, vcc
	v_lshlrev_b32_e32 v52, 16, v40
	v_bfrev_b32_e32 v53, 60
	v_lshlrev_b32_e32 v38, 20, v38
	v_and_b32_e32 v52, 0x80000000, v52
	v_lshl_add_u32 v39, v39, 23, v53
	v_or3_b32 v38, v52, v39, v38
	v_lshrrev_b32_e32 v39, 16, v38
.LBB864_165:
	s_or_b64 exec, exec, s[10:11]
.LBB864_166:
	s_or_b64 exec, exec, s[8:9]
.LBB864_167:
	s_or_b64 exec, exec, s[2:3]
	s_movk_i32 s2, 0xff
	v_and_b32_sdwa v54, v40, s2 dst_sel:DWORD dst_unused:UNUSED_PAD src0_sel:WORD_1 src1_sel:DWORD
	v_lshrrev_b32_e32 v38, 16, v40
	v_cmp_ne_u16_e32 vcc, 0, v54
	v_mov_b32_e32 v52, 0
	v_mov_b32_e32 v53, 0
	s_and_saveexec_b64 s[2:3], vcc
	s_cbranch_execz .LBB864_173
; %bb.168:
	s_movk_i32 s8, 0x80
	v_cmp_ne_u16_e32 vcc, s8, v54
	v_mov_b32_e32 v53, 0xffff8000
	s_and_saveexec_b64 s[8:9], vcc
	s_cbranch_execz .LBB864_172
; %bb.169:
	v_bfe_u32 v54, v40, 16, 7
	s_movk_i32 s10, 0x7f
	v_cmp_ne_u32_e32 vcc, s10, v54
	v_mov_b32_e32 v53, 0x7f80
	s_and_saveexec_b64 s[10:11], vcc
	s_cbranch_execz .LBB864_171
; %bb.170:
	v_and_b32_e32 v53, 7, v38
	v_ffbh_u32_e32 v56, v53
	v_min_u32_e32 v58, 32, v56
	v_subrev_u32_e32 v56, 28, v58
	v_lshlrev_b64 v[56:57], v56, v[38:39]
	v_lshrrev_b32_e32 v55, 3, v54
	v_sub_u32_e32 v38, 29, v58
	v_and_b32_e32 v56, 7, v56
	v_cmp_gt_u32_e32 vcc, 8, v54
	v_mov_b32_e32 v54, 24
	v_cndmask_b32_e32 v38, v55, v38, vcc
	v_cndmask_b32_e32 v53, v53, v56, vcc
	v_lshlrev_b32_sdwa v54, v54, v40 dst_sel:DWORD dst_unused:UNUSED_PAD src0_sel:DWORD src1_sel:WORD_1
	v_bfrev_b32_e32 v55, 60
	v_lshlrev_b32_e32 v53, 20, v53
	v_and_b32_e32 v54, 0x80000000, v54
	v_lshl_add_u32 v38, v38, 23, v55
	v_or3_b32 v38, v54, v38, v53
	v_lshrrev_b32_e32 v53, 16, v38
.LBB864_171:
	s_or_b64 exec, exec, s[10:11]
.LBB864_172:
	s_or_b64 exec, exec, s[8:9]
.LBB864_173:
	s_or_b64 exec, exec, s[2:3]
	s_mov_b32 s2, 0xffffff
	v_cmp_lt_u32_e32 vcc, s2, v40
	s_and_saveexec_b64 s[2:3], vcc
	s_cbranch_execz .LBB864_179
; %bb.174:
	v_lshrrev_b32_e32 v38, 24, v40
	s_movk_i32 s8, 0x80
	v_cmp_ne_u32_e32 vcc, s8, v38
	v_mov_b32_e32 v52, 0xffff8000
	s_and_saveexec_b64 s[8:9], vcc
	s_cbranch_execz .LBB864_178
; %bb.175:
	v_bfe_u32 v40, v40, 24, 7
	s_movk_i32 s10, 0x7f
	v_cmp_ne_u32_e32 vcc, s10, v40
	v_mov_b32_e32 v52, 0x7f80
	s_and_saveexec_b64 s[10:11], vcc
	s_cbranch_execz .LBB864_177
; %bb.176:
	v_and_b32_e32 v52, 7, v38
	v_ffbh_u32_e32 v54, v52
	v_min_u32_e32 v57, 32, v54
	v_subrev_u32_e32 v54, 28, v57
	v_lshlrev_b64 v[54:55], v54, v[38:39]
	v_lshrrev_b32_e32 v56, 3, v40
	v_sub_u32_e32 v55, 29, v57
	v_and_b32_e32 v54, 7, v54
	v_cmp_gt_u32_e32 vcc, 8, v40
	v_cndmask_b32_e32 v40, v56, v55, vcc
	v_cndmask_b32_e32 v52, v52, v54, vcc
	v_lshlrev_b32_e32 v38, 24, v38
	v_bfrev_b32_e32 v54, 60
	v_lshlrev_b32_e32 v52, 20, v52
	v_and_b32_e32 v38, 0x80000000, v38
	v_lshl_add_u32 v40, v40, 23, v54
	v_or3_b32 v38, v38, v40, v52
	v_lshrrev_b32_e32 v52, 16, v38
.LBB864_177:
	s_or_b64 exec, exec, s[10:11]
.LBB864_178:
	s_or_b64 exec, exec, s[8:9]
.LBB864_179:
	s_or_b64 exec, exec, s[2:3]
	v_mov_b32_e32 v40, 0
	v_cmp_ne_u16_sdwa s[8:9], v41, v40 src0_sel:BYTE_0 src1_sel:DWORD
	v_mov_b32_e32 v54, 0
	s_and_saveexec_b64 s[2:3], s[8:9]
	s_cbranch_execz .LBB864_185
; %bb.180:
	s_movk_i32 s8, 0x80
	v_cmp_ne_u16_sdwa s[10:11], v41, s8 src0_sel:BYTE_0 src1_sel:DWORD
	v_mov_b32_e32 v54, 0xffff8000
	s_and_saveexec_b64 s[8:9], s[10:11]
	s_cbranch_execz .LBB864_184
; %bb.181:
	s_movk_i32 s10, 0x7f
	v_and_b32_e32 v38, 0x7f, v41
	v_cmp_ne_u32_e32 vcc, s10, v38
	v_mov_b32_e32 v54, 0x7f80
	s_and_saveexec_b64 s[10:11], vcc
	s_cbranch_execz .LBB864_183
; %bb.182:
	v_and_b32_e32 v56, 7, v41
	v_ffbh_u32_e32 v55, v56
	v_min_u32_e32 v58, 32, v55
	v_mov_b32_e32 v54, v41
	v_subrev_u32_e32 v55, 28, v58
	v_lshlrev_b64 v[54:55], v55, v[54:55]
	v_lshrrev_b32_e32 v57, 3, v38
	v_sub_u32_e32 v55, 29, v58
	v_and_b32_e32 v54, 7, v54
	v_cmp_gt_u32_e32 vcc, 8, v38
	v_cndmask_b32_e32 v38, v57, v55, vcc
	v_cndmask_b32_e32 v54, v56, v54, vcc
	v_lshlrev_b32_e32 v55, 24, v41
	v_bfrev_b32_e32 v56, 60
	v_lshlrev_b32_e32 v54, 20, v54
	v_and_b32_e32 v55, 0x80000000, v55
	v_lshl_add_u32 v38, v38, 23, v56
	v_or3_b32 v38, v55, v38, v54
	v_lshrrev_b32_e32 v54, 16, v38
.LBB864_183:
	s_or_b64 exec, exec, s[10:11]
.LBB864_184:
	s_or_b64 exec, exec, s[8:9]
.LBB864_185:
	s_or_b64 exec, exec, s[2:3]
	v_lshrrev_b16_e32 v38, 8, v41
	v_cmp_ne_u16_e32 vcc, 0, v38
	s_and_saveexec_b64 s[2:3], vcc
	s_cbranch_execz .LBB864_191
; %bb.186:
	s_movk_i32 s8, 0x80
	v_cmp_ne_u16_e32 vcc, s8, v38
	v_mov_b32_e32 v40, 0xffff8000
	s_and_saveexec_b64 s[8:9], vcc
	s_cbranch_execz .LBB864_190
; %bb.187:
	s_movk_i32 s10, 0x7f
	v_and_b32_e32 v55, 0x7f, v38
	v_cmp_ne_u32_e32 vcc, s10, v55
	v_mov_b32_e32 v40, 0x7f80
	s_and_saveexec_b64 s[10:11], vcc
	s_cbranch_execz .LBB864_189
; %bb.188:
	v_and_b32_e32 v40, 7, v38
	v_ffbh_u32_e32 v56, v40
	v_min_u32_e32 v59, 32, v56
	v_subrev_u32_e32 v56, 28, v59
	v_lshlrev_b64 v[56:57], v56, v[38:39]
	v_lshrrev_b32_e32 v58, 3, v55
	v_sub_u32_e32 v38, 29, v59
	v_and_b32_e32 v56, 7, v56
	v_cmp_gt_u32_e32 vcc, 8, v55
	v_cndmask_b32_e32 v38, v58, v38, vcc
	v_cndmask_b32_e32 v40, v40, v56, vcc
	v_lshlrev_b32_e32 v55, 16, v41
	v_bfrev_b32_e32 v56, 60
	v_lshlrev_b32_e32 v40, 20, v40
	v_and_b32_e32 v55, 0x80000000, v55
	v_lshl_add_u32 v38, v38, 23, v56
	v_or3_b32 v38, v55, v38, v40
	v_lshrrev_b32_e32 v40, 16, v38
.LBB864_189:
	s_or_b64 exec, exec, s[10:11]
.LBB864_190:
	s_or_b64 exec, exec, s[8:9]
.LBB864_191:
	s_or_b64 exec, exec, s[2:3]
	s_movk_i32 s2, 0xff
	v_and_b32_sdwa v57, v41, s2 dst_sel:DWORD dst_unused:UNUSED_PAD src0_sel:WORD_1 src1_sel:DWORD
	v_lshrrev_b32_e32 v38, 16, v41
	v_cmp_ne_u16_e32 vcc, 0, v57
	v_mov_b32_e32 v55, 0
	v_mov_b32_e32 v56, 0
	s_and_saveexec_b64 s[2:3], vcc
	s_cbranch_execz .LBB864_197
; %bb.192:
	s_movk_i32 s8, 0x80
	v_cmp_ne_u16_e32 vcc, s8, v57
	v_mov_b32_e32 v56, 0xffff8000
	s_and_saveexec_b64 s[8:9], vcc
	s_cbranch_execz .LBB864_196
; %bb.193:
	v_bfe_u32 v57, v41, 16, 7
	s_movk_i32 s10, 0x7f
	v_cmp_ne_u32_e32 vcc, s10, v57
	v_mov_b32_e32 v56, 0x7f80
	s_and_saveexec_b64 s[10:11], vcc
	s_cbranch_execz .LBB864_195
; %bb.194:
	v_and_b32_e32 v56, 7, v38
	v_ffbh_u32_e32 v58, v56
	v_min_u32_e32 v61, 32, v58
	v_subrev_u32_e32 v58, 28, v61
	v_lshlrev_b64 v[58:59], v58, v[38:39]
	v_lshrrev_b32_e32 v60, 3, v57
	v_sub_u32_e32 v38, 29, v61
	v_and_b32_e32 v58, 7, v58
	v_cmp_gt_u32_e32 vcc, 8, v57
	v_mov_b32_e32 v57, 24
	v_cndmask_b32_e32 v38, v60, v38, vcc
	v_cndmask_b32_e32 v56, v56, v58, vcc
	v_lshlrev_b32_sdwa v57, v57, v41 dst_sel:DWORD dst_unused:UNUSED_PAD src0_sel:DWORD src1_sel:WORD_1
	v_bfrev_b32_e32 v58, 60
	v_lshlrev_b32_e32 v56, 20, v56
	v_and_b32_e32 v57, 0x80000000, v57
	v_lshl_add_u32 v38, v38, 23, v58
	v_or3_b32 v38, v57, v38, v56
	v_lshrrev_b32_e32 v56, 16, v38
.LBB864_195:
	s_or_b64 exec, exec, s[10:11]
.LBB864_196:
	s_or_b64 exec, exec, s[8:9]
.LBB864_197:
	s_or_b64 exec, exec, s[2:3]
	s_mov_b32 s2, 0xffffff
	v_cmp_lt_u32_e32 vcc, s2, v41
	s_and_saveexec_b64 s[2:3], vcc
	s_cbranch_execz .LBB864_203
; %bb.198:
	v_lshrrev_b32_e32 v38, 24, v41
	s_movk_i32 s8, 0x80
	v_cmp_ne_u32_e32 vcc, s8, v38
	v_mov_b32_e32 v55, 0xffff8000
	s_and_saveexec_b64 s[8:9], vcc
	s_cbranch_execz .LBB864_202
; %bb.199:
	v_bfe_u32 v41, v41, 24, 7
	s_movk_i32 s10, 0x7f
	v_cmp_ne_u32_e32 vcc, s10, v41
	v_mov_b32_e32 v55, 0x7f80
	s_and_saveexec_b64 s[10:11], vcc
	s_cbranch_execz .LBB864_201
; %bb.200:
	v_and_b32_e32 v55, 7, v38
	v_ffbh_u32_e32 v58, v55
	v_min_u32_e32 v60, 32, v58
	v_subrev_u32_e32 v58, 28, v60
	v_lshlrev_b64 v[58:59], v58, v[38:39]
	v_lshrrev_b32_e32 v57, 3, v41
	v_sub_u32_e32 v59, 29, v60
	v_and_b32_e32 v58, 7, v58
	v_cmp_gt_u32_e32 vcc, 8, v41
	v_cndmask_b32_e32 v41, v57, v59, vcc
	v_cndmask_b32_e32 v55, v55, v58, vcc
	v_lshlrev_b32_e32 v38, 24, v38
	v_bfrev_b32_e32 v57, 60
	v_lshlrev_b32_e32 v55, 20, v55
	v_and_b32_e32 v38, 0x80000000, v38
	v_lshl_add_u32 v41, v41, 23, v57
	v_or3_b32 v38, v38, v41, v55
	v_lshrrev_b32_e32 v55, 16, v38
.LBB864_201:
	s_or_b64 exec, exec, s[10:11]
.LBB864_202:
	s_or_b64 exec, exec, s[8:9]
.LBB864_203:
	s_or_b64 exec, exec, s[2:3]
	s_mov_b32 s2, 0x5040100
	v_perm_b32 v53, v52, v53, s2
	v_perm_b32 v52, v39, v51, s2
	v_perm_b32 v39, v55, v56, s2
	v_perm_b32 v38, v40, v54, s2
	v_mfma_f32_16x16x16bf16_1k v[58:61], v[52:53], v[18:19], v[42:45]
	s_nop 6
	v_mov_b32_e32 v43, 0
	s_waitcnt vmcnt(5)
	v_cmp_ne_u16_sdwa s[8:9], v34, v43 src0_sel:BYTE_0 src1_sel:DWORD
	v_mfma_f32_16x16x16bf16_1k v[38:41], v[38:39], v[20:21], v[58:61]
	v_mov_b32_e32 v44, 0
	s_and_saveexec_b64 s[2:3], s[8:9]
	s_cbranch_execz .LBB864_209
; %bb.204:
	s_movk_i32 s8, 0x80
	v_cmp_ne_u16_sdwa s[10:11], v34, s8 src0_sel:BYTE_0 src1_sel:DWORD
	v_mov_b32_e32 v44, 0xffff8000
	s_and_saveexec_b64 s[8:9], s[10:11]
	s_cbranch_execz .LBB864_208
; %bb.205:
	s_movk_i32 s10, 0x7f
	v_and_b32_e32 v42, 0x7f, v34
	v_cmp_ne_u32_e32 vcc, s10, v42
	v_mov_b32_e32 v44, 0x7f80
	s_and_saveexec_b64 s[10:11], vcc
	s_cbranch_execz .LBB864_207
; %bb.206:
	v_and_b32_e32 v51, 7, v34
	v_ffbh_u32_e32 v44, v51
	v_min_u32_e32 v53, 32, v44
	v_subrev_u32_e32 v44, 28, v53
	v_lshlrev_b64 v[44:45], v44, v[34:35]
	v_lshrrev_b32_e32 v52, 3, v42
	v_sub_u32_e32 v45, 29, v53
	v_and_b32_e32 v44, 7, v44
	v_cmp_gt_u32_e32 vcc, 8, v42
	v_cndmask_b32_e32 v42, v52, v45, vcc
	v_cndmask_b32_e32 v44, v51, v44, vcc
	v_lshlrev_b32_e32 v45, 24, v34
	v_bfrev_b32_e32 v51, 60
	v_lshlrev_b32_e32 v44, 20, v44
	v_and_b32_e32 v45, 0x80000000, v45
	v_lshl_add_u32 v42, v42, 23, v51
	v_or3_b32 v42, v45, v42, v44
	v_lshrrev_b32_e32 v44, 16, v42
.LBB864_207:
	s_or_b64 exec, exec, s[10:11]
.LBB864_208:
	s_or_b64 exec, exec, s[8:9]
.LBB864_209:
	s_or_b64 exec, exec, s[2:3]
	v_lshrrev_b16_e32 v42, 8, v34
	v_cmp_ne_u16_e32 vcc, 0, v42
	s_and_saveexec_b64 s[2:3], vcc
	s_cbranch_execz .LBB864_215
; %bb.210:
	s_movk_i32 s8, 0x80
	v_cmp_ne_u16_e32 vcc, s8, v42
	v_mov_b32_e32 v43, 0xffff8000
	s_and_saveexec_b64 s[8:9], vcc
	s_cbranch_execz .LBB864_214
; %bb.211:
	s_movk_i32 s10, 0x7f
	v_and_b32_e32 v45, 0x7f, v42
	v_cmp_ne_u32_e32 vcc, s10, v45
	v_mov_b32_e32 v43, 0x7f80
	s_and_saveexec_b64 s[10:11], vcc
	s_cbranch_execz .LBB864_213
; %bb.212:
	v_and_b32_e32 v51, 7, v42
	v_ffbh_u32_e32 v43, v51
	v_min_u32_e32 v53, 32, v43
	v_subrev_u32_e32 v43, 28, v53
	v_lshlrev_b64 v[42:43], v43, v[42:43]
	v_lshrrev_b32_e32 v52, 3, v45
	v_sub_u32_e32 v43, 29, v53
	v_and_b32_e32 v42, 7, v42
	v_cmp_gt_u32_e32 vcc, 8, v45
	v_cndmask_b32_e32 v43, v52, v43, vcc
	v_cndmask_b32_e32 v42, v51, v42, vcc
	v_lshlrev_b32_e32 v45, 16, v34
	v_bfrev_b32_e32 v51, 60
	v_lshlrev_b32_e32 v42, 20, v42
	v_and_b32_e32 v45, 0x80000000, v45
	v_lshl_add_u32 v43, v43, 23, v51
	v_or3_b32 v42, v45, v43, v42
	v_lshrrev_b32_e32 v43, 16, v42
.LBB864_213:
	s_or_b64 exec, exec, s[10:11]
.LBB864_214:
	s_or_b64 exec, exec, s[8:9]
.LBB864_215:
	s_or_b64 exec, exec, s[2:3]
	s_movk_i32 s2, 0xff
	v_and_b32_sdwa v52, v34, s2 dst_sel:DWORD dst_unused:UNUSED_PAD src0_sel:WORD_1 src1_sel:DWORD
	v_lshrrev_b32_e32 v42, 16, v34
	v_cmp_ne_u16_e32 vcc, 0, v52
	v_mov_b32_e32 v45, 0
	v_mov_b32_e32 v51, 0
	s_and_saveexec_b64 s[2:3], vcc
	s_cbranch_execz .LBB864_221
; %bb.216:
	s_movk_i32 s8, 0x80
	v_cmp_ne_u16_e32 vcc, s8, v52
	v_mov_b32_e32 v51, 0xffff8000
	s_and_saveexec_b64 s[8:9], vcc
	s_cbranch_execz .LBB864_220
; %bb.217:
	v_bfe_u32 v52, v34, 16, 7
	s_movk_i32 s10, 0x7f
	v_cmp_ne_u32_e32 vcc, s10, v52
	v_mov_b32_e32 v51, 0x7f80
	s_and_saveexec_b64 s[10:11], vcc
	s_cbranch_execz .LBB864_219
; %bb.218:
	v_and_b32_e32 v51, 7, v42
	v_ffbh_u32_e32 v54, v51
	v_min_u32_e32 v56, 32, v54
	v_subrev_u32_e32 v54, 28, v56
	v_lshlrev_b64 v[54:55], v54, v[42:43]
	v_lshrrev_b32_e32 v53, 3, v52
	v_sub_u32_e32 v42, 29, v56
	v_and_b32_e32 v54, 7, v54
	v_cmp_gt_u32_e32 vcc, 8, v52
	v_mov_b32_e32 v52, 24
	v_cndmask_b32_e32 v42, v53, v42, vcc
	v_cndmask_b32_e32 v51, v51, v54, vcc
	v_lshlrev_b32_sdwa v52, v52, v34 dst_sel:DWORD dst_unused:UNUSED_PAD src0_sel:DWORD src1_sel:WORD_1
	v_bfrev_b32_e32 v53, 60
	v_lshlrev_b32_e32 v51, 20, v51
	v_and_b32_e32 v52, 0x80000000, v52
	v_lshl_add_u32 v42, v42, 23, v53
	v_or3_b32 v42, v52, v42, v51
	v_lshrrev_b32_e32 v51, 16, v42
.LBB864_219:
	s_or_b64 exec, exec, s[10:11]
.LBB864_220:
	s_or_b64 exec, exec, s[8:9]
.LBB864_221:
	s_or_b64 exec, exec, s[2:3]
	s_mov_b32 s2, 0xffffff
	v_cmp_lt_u32_e32 vcc, s2, v34
	s_and_saveexec_b64 s[2:3], vcc
	s_cbranch_execz .LBB864_227
; %bb.222:
	v_lshrrev_b32_e32 v42, 24, v34
	s_movk_i32 s8, 0x80
	v_cmp_ne_u32_e32 vcc, s8, v42
	v_mov_b32_e32 v45, 0xffff8000
	s_and_saveexec_b64 s[8:9], vcc
	s_cbranch_execz .LBB864_226
; %bb.223:
	v_bfe_u32 v34, v34, 24, 7
	s_movk_i32 s10, 0x7f
	v_cmp_ne_u32_e32 vcc, s10, v34
	v_mov_b32_e32 v45, 0x7f80
	s_and_saveexec_b64 s[10:11], vcc
	s_cbranch_execz .LBB864_225
; %bb.224:
	v_and_b32_e32 v45, 7, v42
	v_ffbh_u32_e32 v52, v45
	v_min_u32_e32 v55, 32, v52
	v_subrev_u32_e32 v52, 28, v55
	v_lshlrev_b64 v[52:53], v52, v[42:43]
	v_lshrrev_b32_e32 v54, 3, v34
	v_sub_u32_e32 v53, 29, v55
	v_and_b32_e32 v52, 7, v52
	v_cmp_gt_u32_e32 vcc, 8, v34
	v_cndmask_b32_e32 v34, v54, v53, vcc
	v_cndmask_b32_e32 v45, v45, v52, vcc
	v_lshlrev_b32_e32 v42, 24, v42
	v_bfrev_b32_e32 v52, 60
	v_lshlrev_b32_e32 v45, 20, v45
	v_and_b32_e32 v42, 0x80000000, v42
	v_lshl_add_u32 v34, v34, 23, v52
	v_or3_b32 v34, v42, v34, v45
	v_lshrrev_b32_e32 v45, 16, v34
.LBB864_225:
	s_or_b64 exec, exec, s[10:11]
.LBB864_226:
	s_or_b64 exec, exec, s[8:9]
.LBB864_227:
	s_or_b64 exec, exec, s[2:3]
	v_mov_b32_e32 v42, 0
	v_cmp_ne_u16_sdwa s[8:9], v35, v42 src0_sel:BYTE_0 src1_sel:DWORD
	v_mov_b32_e32 v52, 0
	s_and_saveexec_b64 s[2:3], s[8:9]
	s_cbranch_execz .LBB864_233
; %bb.228:
	s_movk_i32 s8, 0x80
	v_cmp_ne_u16_sdwa s[10:11], v35, s8 src0_sel:BYTE_0 src1_sel:DWORD
	v_mov_b32_e32 v52, 0xffff8000
	s_and_saveexec_b64 s[8:9], s[10:11]
	s_cbranch_execz .LBB864_232
; %bb.229:
	s_movk_i32 s10, 0x7f
	v_and_b32_e32 v34, 0x7f, v35
	v_cmp_ne_u32_e32 vcc, s10, v34
	v_mov_b32_e32 v52, 0x7f80
	s_and_saveexec_b64 s[10:11], vcc
	s_cbranch_execz .LBB864_231
; %bb.230:
	v_and_b32_e32 v54, 7, v35
	v_ffbh_u32_e32 v53, v54
	v_min_u32_e32 v56, 32, v53
	v_mov_b32_e32 v52, v35
	v_subrev_u32_e32 v53, 28, v56
	v_lshlrev_b64 v[52:53], v53, v[52:53]
	v_lshrrev_b32_e32 v55, 3, v34
	v_sub_u32_e32 v53, 29, v56
	v_and_b32_e32 v52, 7, v52
	v_cmp_gt_u32_e32 vcc, 8, v34
	v_cndmask_b32_e32 v34, v55, v53, vcc
	v_cndmask_b32_e32 v52, v54, v52, vcc
	v_lshlrev_b32_e32 v53, 24, v35
	v_bfrev_b32_e32 v54, 60
	v_lshlrev_b32_e32 v52, 20, v52
	v_and_b32_e32 v53, 0x80000000, v53
	v_lshl_add_u32 v34, v34, 23, v54
	v_or3_b32 v34, v53, v34, v52
	v_lshrrev_b32_e32 v52, 16, v34
.LBB864_231:
	s_or_b64 exec, exec, s[10:11]
.LBB864_232:
	s_or_b64 exec, exec, s[8:9]
.LBB864_233:
	s_or_b64 exec, exec, s[2:3]
	v_lshrrev_b16_e32 v34, 8, v35
	v_cmp_ne_u16_e32 vcc, 0, v34
	s_and_saveexec_b64 s[2:3], vcc
	s_cbranch_execz .LBB864_239
; %bb.234:
	s_movk_i32 s8, 0x80
	v_cmp_ne_u16_e32 vcc, s8, v34
	v_mov_b32_e32 v42, 0xffff8000
	s_and_saveexec_b64 s[8:9], vcc
	s_cbranch_execz .LBB864_238
; %bb.235:
	s_movk_i32 s10, 0x7f
	v_and_b32_e32 v53, 0x7f, v34
	v_cmp_ne_u32_e32 vcc, s10, v53
	v_mov_b32_e32 v42, 0x7f80
	s_and_saveexec_b64 s[10:11], vcc
	s_cbranch_execz .LBB864_237
; %bb.236:
	v_and_b32_e32 v42, 7, v34
	v_ffbh_u32_e32 v54, v42
	v_min_u32_e32 v57, 32, v54
	v_subrev_u32_e32 v54, 28, v57
	v_lshlrev_b64 v[54:55], v54, v[34:35]
	v_lshrrev_b32_e32 v56, 3, v53
	v_sub_u32_e32 v34, 29, v57
	v_and_b32_e32 v54, 7, v54
	v_cmp_gt_u32_e32 vcc, 8, v53
	v_cndmask_b32_e32 v34, v56, v34, vcc
	v_cndmask_b32_e32 v42, v42, v54, vcc
	v_lshlrev_b32_e32 v53, 16, v35
	v_bfrev_b32_e32 v54, 60
	v_lshlrev_b32_e32 v42, 20, v42
	v_and_b32_e32 v53, 0x80000000, v53
	v_lshl_add_u32 v34, v34, 23, v54
	v_or3_b32 v34, v53, v34, v42
	v_lshrrev_b32_e32 v42, 16, v34
.LBB864_237:
	s_or_b64 exec, exec, s[10:11]
.LBB864_238:
	s_or_b64 exec, exec, s[8:9]
.LBB864_239:
	s_or_b64 exec, exec, s[2:3]
	s_movk_i32 s2, 0xff
	v_and_b32_sdwa v55, v35, s2 dst_sel:DWORD dst_unused:UNUSED_PAD src0_sel:WORD_1 src1_sel:DWORD
	v_lshrrev_b32_e32 v34, 16, v35
	v_cmp_ne_u16_e32 vcc, 0, v55
	v_mov_b32_e32 v53, 0
	v_mov_b32_e32 v54, 0
	s_and_saveexec_b64 s[2:3], vcc
	s_cbranch_execz .LBB864_245
; %bb.240:
	s_movk_i32 s8, 0x80
	v_cmp_ne_u16_e32 vcc, s8, v55
	v_mov_b32_e32 v54, 0xffff8000
	s_and_saveexec_b64 s[8:9], vcc
	s_cbranch_execz .LBB864_244
; %bb.241:
	v_bfe_u32 v55, v35, 16, 7
	s_movk_i32 s10, 0x7f
	v_cmp_ne_u32_e32 vcc, s10, v55
	v_mov_b32_e32 v54, 0x7f80
	s_and_saveexec_b64 s[10:11], vcc
	s_cbranch_execz .LBB864_243
; %bb.242:
	v_and_b32_e32 v54, 7, v34
	v_ffbh_u32_e32 v56, v54
	v_min_u32_e32 v59, 32, v56
	v_subrev_u32_e32 v56, 28, v59
	v_lshlrev_b64 v[56:57], v56, v[34:35]
	v_lshrrev_b32_e32 v58, 3, v55
	v_sub_u32_e32 v34, 29, v59
	v_and_b32_e32 v56, 7, v56
	v_cmp_gt_u32_e32 vcc, 8, v55
	v_mov_b32_e32 v55, 24
	v_cndmask_b32_e32 v34, v58, v34, vcc
	v_cndmask_b32_e32 v54, v54, v56, vcc
	v_lshlrev_b32_sdwa v55, v55, v35 dst_sel:DWORD dst_unused:UNUSED_PAD src0_sel:DWORD src1_sel:WORD_1
	v_bfrev_b32_e32 v56, 60
	v_lshlrev_b32_e32 v54, 20, v54
	v_and_b32_e32 v55, 0x80000000, v55
	v_lshl_add_u32 v34, v34, 23, v56
	v_or3_b32 v34, v55, v34, v54
	v_lshrrev_b32_e32 v54, 16, v34
.LBB864_243:
	s_or_b64 exec, exec, s[10:11]
.LBB864_244:
	s_or_b64 exec, exec, s[8:9]
.LBB864_245:
	s_or_b64 exec, exec, s[2:3]
	s_mov_b32 s2, 0xffffff
	v_cmp_lt_u32_e32 vcc, s2, v35
	s_and_saveexec_b64 s[2:3], vcc
	s_cbranch_execz .LBB864_251
; %bb.246:
	v_lshrrev_b32_e32 v34, 24, v35
	s_movk_i32 s8, 0x80
	v_cmp_ne_u32_e32 vcc, s8, v34
	v_mov_b32_e32 v53, 0xffff8000
	s_and_saveexec_b64 s[8:9], vcc
	s_cbranch_execz .LBB864_250
; %bb.247:
	v_bfe_u32 v35, v35, 24, 7
	s_movk_i32 s10, 0x7f
	v_cmp_ne_u32_e32 vcc, s10, v35
	v_mov_b32_e32 v53, 0x7f80
	s_and_saveexec_b64 s[10:11], vcc
	s_cbranch_execz .LBB864_249
; %bb.248:
	v_and_b32_e32 v53, 7, v34
	v_ffbh_u32_e32 v56, v53
	v_min_u32_e32 v58, 32, v56
	v_subrev_u32_e32 v56, 28, v58
	v_lshlrev_b64 v[56:57], v56, v[34:35]
	v_lshrrev_b32_e32 v55, 3, v35
	v_sub_u32_e32 v57, 29, v58
	v_and_b32_e32 v56, 7, v56
	v_cmp_gt_u32_e32 vcc, 8, v35
	v_cndmask_b32_e32 v35, v55, v57, vcc
	v_cndmask_b32_e32 v53, v53, v56, vcc
	v_lshlrev_b32_e32 v34, 24, v34
	v_bfrev_b32_e32 v55, 60
	v_lshlrev_b32_e32 v53, 20, v53
	v_and_b32_e32 v34, 0x80000000, v34
	v_lshl_add_u32 v35, v35, 23, v55
	v_or3_b32 v34, v34, v35, v53
	v_lshrrev_b32_e32 v53, 16, v34
.LBB864_249:
	s_or_b64 exec, exec, s[10:11]
.LBB864_250:
	s_or_b64 exec, exec, s[8:9]
.LBB864_251:
	s_or_b64 exec, exec, s[2:3]
	s_mov_b32 s2, 0x5040100
	v_perm_b32 v35, v45, v51, s2
	v_perm_b32 v34, v43, v44, s2
	;; [unrolled: 1-line block ×4, first 2 shown]
	v_mov_b32_e32 v51, 0
	v_mfma_f32_16x16x16bf16_1k v[56:59], v[34:35], v[26:27], 0
	v_mov_b32_e32 v35, 0
	v_cmp_ne_u16_sdwa s[8:9], v36, v35 src0_sel:BYTE_0 src1_sel:DWORD
	v_mfma_f32_16x16x16bf16_1k v[42:45], v[42:43], v[28:29], v[56:59]
	s_and_saveexec_b64 s[2:3], s[8:9]
	s_cbranch_execz .LBB864_257
; %bb.252:
	s_movk_i32 s8, 0x80
	v_cmp_ne_u16_sdwa s[10:11], v36, s8 src0_sel:BYTE_0 src1_sel:DWORD
	v_mov_b32_e32 v51, 0xffff8000
	s_and_saveexec_b64 s[8:9], s[10:11]
	s_cbranch_execz .LBB864_256
; %bb.253:
	s_movk_i32 s10, 0x7f
	v_and_b32_e32 v34, 0x7f, v36
	v_cmp_ne_u32_e32 vcc, s10, v34
	v_mov_b32_e32 v51, 0x7f80
	s_and_saveexec_b64 s[10:11], vcc
	s_cbranch_execz .LBB864_255
; %bb.254:
	v_and_b32_e32 v51, 7, v36
	v_ffbh_u32_e32 v52, v51
	v_min_u32_e32 v55, 32, v52
	v_subrev_u32_e32 v52, 28, v55
	v_lshlrev_b64 v[52:53], v52, v[36:37]
	v_lshrrev_b32_e32 v54, 3, v34
	v_sub_u32_e32 v53, 29, v55
	v_and_b32_e32 v52, 7, v52
	v_cmp_gt_u32_e32 vcc, 8, v34
	v_cndmask_b32_e32 v34, v54, v53, vcc
	v_cndmask_b32_e32 v51, v51, v52, vcc
	v_lshlrev_b32_e32 v52, 24, v36
	v_bfrev_b32_e32 v53, 60
	v_lshlrev_b32_e32 v51, 20, v51
	v_and_b32_e32 v52, 0x80000000, v52
	v_lshl_add_u32 v34, v34, 23, v53
	v_or3_b32 v34, v52, v34, v51
	v_lshrrev_b32_e32 v51, 16, v34
.LBB864_255:
	s_or_b64 exec, exec, s[10:11]
.LBB864_256:
	s_or_b64 exec, exec, s[8:9]
.LBB864_257:
	s_or_b64 exec, exec, s[2:3]
	v_lshrrev_b16_e32 v34, 8, v36
	v_cmp_ne_u16_e32 vcc, 0, v34
	s_and_saveexec_b64 s[2:3], vcc
	s_cbranch_execz .LBB864_263
; %bb.258:
	s_movk_i32 s8, 0x80
	v_cmp_ne_u16_e32 vcc, s8, v34
	v_mov_b32_e32 v35, 0xffff8000
	s_and_saveexec_b64 s[8:9], vcc
	s_cbranch_execz .LBB864_262
; %bb.259:
	s_movk_i32 s10, 0x7f
	v_and_b32_e32 v52, 0x7f, v34
	v_cmp_ne_u32_e32 vcc, s10, v52
	v_mov_b32_e32 v35, 0x7f80
	s_and_saveexec_b64 s[10:11], vcc
	s_cbranch_execz .LBB864_261
; %bb.260:
	v_and_b32_e32 v53, 7, v34
	v_ffbh_u32_e32 v35, v53
	v_min_u32_e32 v55, 32, v35
	v_subrev_u32_e32 v35, 28, v55
	v_lshlrev_b64 v[34:35], v35, v[34:35]
	v_lshrrev_b32_e32 v54, 3, v52
	v_sub_u32_e32 v35, 29, v55
	v_and_b32_e32 v34, 7, v34
	v_cmp_gt_u32_e32 vcc, 8, v52
	v_cndmask_b32_e32 v35, v54, v35, vcc
	v_cndmask_b32_e32 v34, v53, v34, vcc
	v_lshlrev_b32_e32 v52, 16, v36
	v_bfrev_b32_e32 v53, 60
	v_lshlrev_b32_e32 v34, 20, v34
	v_and_b32_e32 v52, 0x80000000, v52
	v_lshl_add_u32 v35, v35, 23, v53
	v_or3_b32 v34, v52, v35, v34
	v_lshrrev_b32_e32 v35, 16, v34
.LBB864_261:
	s_or_b64 exec, exec, s[10:11]
.LBB864_262:
	s_or_b64 exec, exec, s[8:9]
.LBB864_263:
	s_or_b64 exec, exec, s[2:3]
	s_movk_i32 s2, 0xff
	v_and_b32_sdwa v54, v36, s2 dst_sel:DWORD dst_unused:UNUSED_PAD src0_sel:WORD_1 src1_sel:DWORD
	v_lshrrev_b32_e32 v34, 16, v36
	v_cmp_ne_u16_e32 vcc, 0, v54
	v_mov_b32_e32 v52, 0
	v_mov_b32_e32 v53, 0
	s_and_saveexec_b64 s[2:3], vcc
	s_cbranch_execz .LBB864_269
; %bb.264:
	s_movk_i32 s8, 0x80
	v_cmp_ne_u16_e32 vcc, s8, v54
	v_mov_b32_e32 v53, 0xffff8000
	s_and_saveexec_b64 s[8:9], vcc
	s_cbranch_execz .LBB864_268
; %bb.265:
	v_bfe_u32 v54, v36, 16, 7
	s_movk_i32 s10, 0x7f
	v_cmp_ne_u32_e32 vcc, s10, v54
	v_mov_b32_e32 v53, 0x7f80
	s_and_saveexec_b64 s[10:11], vcc
	s_cbranch_execz .LBB864_267
; %bb.266:
	v_and_b32_e32 v53, 7, v34
	v_ffbh_u32_e32 v56, v53
	v_min_u32_e32 v58, 32, v56
	v_subrev_u32_e32 v56, 28, v58
	v_lshlrev_b64 v[56:57], v56, v[34:35]
	v_lshrrev_b32_e32 v55, 3, v54
	v_sub_u32_e32 v34, 29, v58
	v_and_b32_e32 v56, 7, v56
	v_cmp_gt_u32_e32 vcc, 8, v54
	v_mov_b32_e32 v54, 24
	v_cndmask_b32_e32 v34, v55, v34, vcc
	v_cndmask_b32_e32 v53, v53, v56, vcc
	v_lshlrev_b32_sdwa v54, v54, v36 dst_sel:DWORD dst_unused:UNUSED_PAD src0_sel:DWORD src1_sel:WORD_1
	v_bfrev_b32_e32 v55, 60
	v_lshlrev_b32_e32 v53, 20, v53
	v_and_b32_e32 v54, 0x80000000, v54
	v_lshl_add_u32 v34, v34, 23, v55
	v_or3_b32 v34, v54, v34, v53
	v_lshrrev_b32_e32 v53, 16, v34
.LBB864_267:
	s_or_b64 exec, exec, s[10:11]
.LBB864_268:
	s_or_b64 exec, exec, s[8:9]
.LBB864_269:
	s_or_b64 exec, exec, s[2:3]
	s_mov_b32 s2, 0xffffff
	v_cmp_lt_u32_e32 vcc, s2, v36
	s_and_saveexec_b64 s[2:3], vcc
	s_cbranch_execz .LBB864_275
; %bb.270:
	v_lshrrev_b32_e32 v34, 24, v36
	s_movk_i32 s8, 0x80
	v_cmp_ne_u32_e32 vcc, s8, v34
	v_mov_b32_e32 v52, 0xffff8000
	s_and_saveexec_b64 s[8:9], vcc
	s_cbranch_execz .LBB864_274
; %bb.271:
	v_bfe_u32 v36, v36, 24, 7
	s_movk_i32 s10, 0x7f
	v_cmp_ne_u32_e32 vcc, s10, v36
	v_mov_b32_e32 v52, 0x7f80
	s_and_saveexec_b64 s[10:11], vcc
	s_cbranch_execz .LBB864_273
; %bb.272:
	v_and_b32_e32 v52, 7, v34
	v_ffbh_u32_e32 v54, v52
	v_min_u32_e32 v57, 32, v54
	v_subrev_u32_e32 v54, 28, v57
	v_lshlrev_b64 v[54:55], v54, v[34:35]
	v_lshrrev_b32_e32 v56, 3, v36
	v_sub_u32_e32 v55, 29, v57
	v_and_b32_e32 v54, 7, v54
	v_cmp_gt_u32_e32 vcc, 8, v36
	v_cndmask_b32_e32 v36, v56, v55, vcc
	v_cndmask_b32_e32 v52, v52, v54, vcc
	v_lshlrev_b32_e32 v34, 24, v34
	v_bfrev_b32_e32 v54, 60
	v_lshlrev_b32_e32 v52, 20, v52
	v_and_b32_e32 v34, 0x80000000, v34
	v_lshl_add_u32 v36, v36, 23, v54
	v_or3_b32 v34, v34, v36, v52
	v_lshrrev_b32_e32 v52, 16, v34
.LBB864_273:
	s_or_b64 exec, exec, s[10:11]
.LBB864_274:
	s_or_b64 exec, exec, s[8:9]
.LBB864_275:
	s_or_b64 exec, exec, s[2:3]
	v_mov_b32_e32 v36, 0
	v_cmp_ne_u16_sdwa s[8:9], v37, v36 src0_sel:BYTE_0 src1_sel:DWORD
	v_mov_b32_e32 v54, 0
	s_and_saveexec_b64 s[2:3], s[8:9]
	s_cbranch_execz .LBB864_281
; %bb.276:
	s_movk_i32 s8, 0x80
	v_cmp_ne_u16_sdwa s[10:11], v37, s8 src0_sel:BYTE_0 src1_sel:DWORD
	v_mov_b32_e32 v54, 0xffff8000
	s_and_saveexec_b64 s[8:9], s[10:11]
	s_cbranch_execz .LBB864_280
; %bb.277:
	s_movk_i32 s10, 0x7f
	v_and_b32_e32 v34, 0x7f, v37
	v_cmp_ne_u32_e32 vcc, s10, v34
	v_mov_b32_e32 v54, 0x7f80
	s_and_saveexec_b64 s[10:11], vcc
	s_cbranch_execz .LBB864_279
; %bb.278:
	v_and_b32_e32 v56, 7, v37
	v_ffbh_u32_e32 v55, v56
	v_min_u32_e32 v58, 32, v55
	v_mov_b32_e32 v54, v37
	v_subrev_u32_e32 v55, 28, v58
	v_lshlrev_b64 v[54:55], v55, v[54:55]
	v_lshrrev_b32_e32 v57, 3, v34
	v_sub_u32_e32 v55, 29, v58
	v_and_b32_e32 v54, 7, v54
	v_cmp_gt_u32_e32 vcc, 8, v34
	v_cndmask_b32_e32 v34, v57, v55, vcc
	v_cndmask_b32_e32 v54, v56, v54, vcc
	v_lshlrev_b32_e32 v55, 24, v37
	v_bfrev_b32_e32 v56, 60
	v_lshlrev_b32_e32 v54, 20, v54
	v_and_b32_e32 v55, 0x80000000, v55
	v_lshl_add_u32 v34, v34, 23, v56
	v_or3_b32 v34, v55, v34, v54
	v_lshrrev_b32_e32 v54, 16, v34
.LBB864_279:
	s_or_b64 exec, exec, s[10:11]
.LBB864_280:
	s_or_b64 exec, exec, s[8:9]
.LBB864_281:
	s_or_b64 exec, exec, s[2:3]
	v_lshrrev_b16_e32 v34, 8, v37
	v_cmp_ne_u16_e32 vcc, 0, v34
	s_and_saveexec_b64 s[2:3], vcc
	s_cbranch_execz .LBB864_287
; %bb.282:
	s_movk_i32 s8, 0x80
	v_cmp_ne_u16_e32 vcc, s8, v34
	v_mov_b32_e32 v36, 0xffff8000
	s_and_saveexec_b64 s[8:9], vcc
	s_cbranch_execz .LBB864_286
; %bb.283:
	s_movk_i32 s10, 0x7f
	v_and_b32_e32 v55, 0x7f, v34
	v_cmp_ne_u32_e32 vcc, s10, v55
	v_mov_b32_e32 v36, 0x7f80
	s_and_saveexec_b64 s[10:11], vcc
	s_cbranch_execz .LBB864_285
; %bb.284:
	v_and_b32_e32 v36, 7, v34
	v_ffbh_u32_e32 v56, v36
	v_min_u32_e32 v59, 32, v56
	v_subrev_u32_e32 v56, 28, v59
	v_lshlrev_b64 v[56:57], v56, v[34:35]
	v_lshrrev_b32_e32 v58, 3, v55
	v_sub_u32_e32 v34, 29, v59
	v_and_b32_e32 v56, 7, v56
	v_cmp_gt_u32_e32 vcc, 8, v55
	v_cndmask_b32_e32 v34, v58, v34, vcc
	v_cndmask_b32_e32 v36, v36, v56, vcc
	v_lshlrev_b32_e32 v55, 16, v37
	v_bfrev_b32_e32 v56, 60
	v_lshlrev_b32_e32 v36, 20, v36
	v_and_b32_e32 v55, 0x80000000, v55
	v_lshl_add_u32 v34, v34, 23, v56
	v_or3_b32 v34, v55, v34, v36
	v_lshrrev_b32_e32 v36, 16, v34
.LBB864_285:
	s_or_b64 exec, exec, s[10:11]
.LBB864_286:
	s_or_b64 exec, exec, s[8:9]
.LBB864_287:
	s_or_b64 exec, exec, s[2:3]
	s_movk_i32 s2, 0xff
	v_and_b32_sdwa v57, v37, s2 dst_sel:DWORD dst_unused:UNUSED_PAD src0_sel:WORD_1 src1_sel:DWORD
	v_lshrrev_b32_e32 v34, 16, v37
	v_cmp_ne_u16_e32 vcc, 0, v57
	v_mov_b32_e32 v55, 0
	v_mov_b32_e32 v56, 0
	s_and_saveexec_b64 s[2:3], vcc
	s_cbranch_execz .LBB864_293
; %bb.288:
	s_movk_i32 s8, 0x80
	v_cmp_ne_u16_e32 vcc, s8, v57
	v_mov_b32_e32 v56, 0xffff8000
	s_and_saveexec_b64 s[8:9], vcc
	s_cbranch_execz .LBB864_292
; %bb.289:
	v_bfe_u32 v57, v37, 16, 7
	s_movk_i32 s10, 0x7f
	v_cmp_ne_u32_e32 vcc, s10, v57
	v_mov_b32_e32 v56, 0x7f80
	s_and_saveexec_b64 s[10:11], vcc
	s_cbranch_execz .LBB864_291
; %bb.290:
	v_and_b32_e32 v56, 7, v34
	v_ffbh_u32_e32 v58, v56
	v_min_u32_e32 v61, 32, v58
	v_subrev_u32_e32 v58, 28, v61
	v_lshlrev_b64 v[58:59], v58, v[34:35]
	v_lshrrev_b32_e32 v60, 3, v57
	v_sub_u32_e32 v34, 29, v61
	v_and_b32_e32 v58, 7, v58
	v_cmp_gt_u32_e32 vcc, 8, v57
	v_mov_b32_e32 v57, 24
	v_cndmask_b32_e32 v34, v60, v34, vcc
	v_cndmask_b32_e32 v56, v56, v58, vcc
	v_lshlrev_b32_sdwa v57, v57, v37 dst_sel:DWORD dst_unused:UNUSED_PAD src0_sel:DWORD src1_sel:WORD_1
	v_bfrev_b32_e32 v58, 60
	v_lshlrev_b32_e32 v56, 20, v56
	v_and_b32_e32 v57, 0x80000000, v57
	v_lshl_add_u32 v34, v34, 23, v58
	v_or3_b32 v34, v57, v34, v56
	v_lshrrev_b32_e32 v56, 16, v34
.LBB864_291:
	s_or_b64 exec, exec, s[10:11]
.LBB864_292:
	s_or_b64 exec, exec, s[8:9]
.LBB864_293:
	s_or_b64 exec, exec, s[2:3]
	s_mov_b32 s2, 0xffffff
	v_cmp_lt_u32_e32 vcc, s2, v37
	s_and_saveexec_b64 s[2:3], vcc
	s_cbranch_execz .LBB864_299
; %bb.294:
	v_lshrrev_b32_e32 v34, 24, v37
	s_movk_i32 s8, 0x80
	v_cmp_ne_u32_e32 vcc, s8, v34
	v_mov_b32_e32 v55, 0xffff8000
	s_and_saveexec_b64 s[8:9], vcc
	s_cbranch_execz .LBB864_298
; %bb.295:
	v_bfe_u32 v37, v37, 24, 7
	s_movk_i32 s10, 0x7f
	v_cmp_ne_u32_e32 vcc, s10, v37
	v_mov_b32_e32 v55, 0x7f80
	s_and_saveexec_b64 s[10:11], vcc
	s_cbranch_execz .LBB864_297
; %bb.296:
	v_and_b32_e32 v55, 7, v34
	v_ffbh_u32_e32 v58, v55
	v_min_u32_e32 v60, 32, v58
	v_subrev_u32_e32 v58, 28, v60
	v_lshlrev_b64 v[58:59], v58, v[34:35]
	v_lshrrev_b32_e32 v57, 3, v37
	v_sub_u32_e32 v59, 29, v60
	v_and_b32_e32 v58, 7, v58
	v_cmp_gt_u32_e32 vcc, 8, v37
	v_cndmask_b32_e32 v37, v57, v59, vcc
	v_cndmask_b32_e32 v55, v55, v58, vcc
	v_lshlrev_b32_e32 v34, 24, v34
	v_bfrev_b32_e32 v57, 60
	v_lshlrev_b32_e32 v55, 20, v55
	v_and_b32_e32 v34, 0x80000000, v34
	v_lshl_add_u32 v37, v37, 23, v57
	v_or3_b32 v34, v34, v37, v55
	v_lshrrev_b32_e32 v55, 16, v34
.LBB864_297:
	s_or_b64 exec, exec, s[10:11]
.LBB864_298:
	s_or_b64 exec, exec, s[8:9]
.LBB864_299:
	s_or_b64 exec, exec, s[2:3]
	s_mov_b32 s2, 0x5040100
	v_perm_b32 v53, v52, v53, s2
	v_perm_b32 v52, v35, v51, s2
	;; [unrolled: 1-line block ×4, first 2 shown]
	v_mfma_f32_16x16x16bf16_1k v[58:61], v[52:53], v[18:19], v[42:45]
	s_nop 6
	v_mov_b32_e32 v43, 0
	s_waitcnt vmcnt(4)
	v_cmp_ne_u16_sdwa s[8:9], v22, v43 src0_sel:BYTE_0 src1_sel:DWORD
	v_mfma_f32_16x16x16bf16_1k v[34:37], v[34:35], v[20:21], v[58:61]
	v_mov_b32_e32 v44, 0
	s_and_saveexec_b64 s[2:3], s[8:9]
	s_cbranch_execz .LBB864_305
; %bb.300:
	s_movk_i32 s8, 0x80
	v_cmp_ne_u16_sdwa s[10:11], v22, s8 src0_sel:BYTE_0 src1_sel:DWORD
	v_mov_b32_e32 v44, 0xffff8000
	s_and_saveexec_b64 s[8:9], s[10:11]
	s_cbranch_execz .LBB864_304
; %bb.301:
	s_movk_i32 s10, 0x7f
	v_and_b32_e32 v42, 0x7f, v22
	v_cmp_ne_u32_e32 vcc, s10, v42
	v_mov_b32_e32 v44, 0x7f80
	s_and_saveexec_b64 s[10:11], vcc
	s_cbranch_execz .LBB864_303
; %bb.302:
	v_and_b32_e32 v51, 7, v22
	v_ffbh_u32_e32 v44, v51
	v_min_u32_e32 v53, 32, v44
	v_subrev_u32_e32 v44, 28, v53
	v_lshlrev_b64 v[44:45], v44, v[22:23]
	v_lshrrev_b32_e32 v52, 3, v42
	v_sub_u32_e32 v45, 29, v53
	v_and_b32_e32 v44, 7, v44
	v_cmp_gt_u32_e32 vcc, 8, v42
	v_cndmask_b32_e32 v42, v52, v45, vcc
	v_cndmask_b32_e32 v44, v51, v44, vcc
	v_lshlrev_b32_e32 v45, 24, v22
	v_bfrev_b32_e32 v51, 60
	v_lshlrev_b32_e32 v44, 20, v44
	v_and_b32_e32 v45, 0x80000000, v45
	v_lshl_add_u32 v42, v42, 23, v51
	v_or3_b32 v42, v45, v42, v44
	v_lshrrev_b32_e32 v44, 16, v42
.LBB864_303:
	s_or_b64 exec, exec, s[10:11]
.LBB864_304:
	s_or_b64 exec, exec, s[8:9]
.LBB864_305:
	s_or_b64 exec, exec, s[2:3]
	v_lshrrev_b16_e32 v42, 8, v22
	v_cmp_ne_u16_e32 vcc, 0, v42
	s_and_saveexec_b64 s[2:3], vcc
	s_cbranch_execz .LBB864_311
; %bb.306:
	s_movk_i32 s8, 0x80
	v_cmp_ne_u16_e32 vcc, s8, v42
	v_mov_b32_e32 v43, 0xffff8000
	s_and_saveexec_b64 s[8:9], vcc
	s_cbranch_execz .LBB864_310
; %bb.307:
	s_movk_i32 s10, 0x7f
	v_and_b32_e32 v45, 0x7f, v42
	v_cmp_ne_u32_e32 vcc, s10, v45
	v_mov_b32_e32 v43, 0x7f80
	s_and_saveexec_b64 s[10:11], vcc
	s_cbranch_execz .LBB864_309
; %bb.308:
	v_and_b32_e32 v51, 7, v42
	v_ffbh_u32_e32 v43, v51
	v_min_u32_e32 v53, 32, v43
	v_subrev_u32_e32 v43, 28, v53
	v_lshlrev_b64 v[42:43], v43, v[42:43]
	v_lshrrev_b32_e32 v52, 3, v45
	v_sub_u32_e32 v43, 29, v53
	v_and_b32_e32 v42, 7, v42
	v_cmp_gt_u32_e32 vcc, 8, v45
	v_cndmask_b32_e32 v43, v52, v43, vcc
	v_cndmask_b32_e32 v42, v51, v42, vcc
	v_lshlrev_b32_e32 v45, 16, v22
	v_bfrev_b32_e32 v51, 60
	v_lshlrev_b32_e32 v42, 20, v42
	v_and_b32_e32 v45, 0x80000000, v45
	v_lshl_add_u32 v43, v43, 23, v51
	v_or3_b32 v42, v45, v43, v42
	v_lshrrev_b32_e32 v43, 16, v42
.LBB864_309:
	s_or_b64 exec, exec, s[10:11]
.LBB864_310:
	s_or_b64 exec, exec, s[8:9]
.LBB864_311:
	s_or_b64 exec, exec, s[2:3]
	s_movk_i32 s2, 0xff
	v_and_b32_sdwa v52, v22, s2 dst_sel:DWORD dst_unused:UNUSED_PAD src0_sel:WORD_1 src1_sel:DWORD
	v_lshrrev_b32_e32 v42, 16, v22
	v_cmp_ne_u16_e32 vcc, 0, v52
	v_mov_b32_e32 v45, 0
	v_mov_b32_e32 v51, 0
	s_and_saveexec_b64 s[2:3], vcc
	s_cbranch_execz .LBB864_317
; %bb.312:
	s_movk_i32 s8, 0x80
	v_cmp_ne_u16_e32 vcc, s8, v52
	v_mov_b32_e32 v51, 0xffff8000
	s_and_saveexec_b64 s[8:9], vcc
	s_cbranch_execz .LBB864_316
; %bb.313:
	v_bfe_u32 v52, v22, 16, 7
	s_movk_i32 s10, 0x7f
	v_cmp_ne_u32_e32 vcc, s10, v52
	v_mov_b32_e32 v51, 0x7f80
	s_and_saveexec_b64 s[10:11], vcc
	s_cbranch_execz .LBB864_315
; %bb.314:
	v_and_b32_e32 v51, 7, v42
	v_ffbh_u32_e32 v54, v51
	v_min_u32_e32 v56, 32, v54
	v_subrev_u32_e32 v54, 28, v56
	v_lshlrev_b64 v[54:55], v54, v[42:43]
	v_lshrrev_b32_e32 v53, 3, v52
	v_sub_u32_e32 v42, 29, v56
	v_and_b32_e32 v54, 7, v54
	v_cmp_gt_u32_e32 vcc, 8, v52
	v_mov_b32_e32 v52, 24
	v_cndmask_b32_e32 v42, v53, v42, vcc
	v_cndmask_b32_e32 v51, v51, v54, vcc
	v_lshlrev_b32_sdwa v52, v52, v22 dst_sel:DWORD dst_unused:UNUSED_PAD src0_sel:DWORD src1_sel:WORD_1
	v_bfrev_b32_e32 v53, 60
	v_lshlrev_b32_e32 v51, 20, v51
	v_and_b32_e32 v52, 0x80000000, v52
	v_lshl_add_u32 v42, v42, 23, v53
	v_or3_b32 v42, v52, v42, v51
	v_lshrrev_b32_e32 v51, 16, v42
.LBB864_315:
	s_or_b64 exec, exec, s[10:11]
.LBB864_316:
	s_or_b64 exec, exec, s[8:9]
.LBB864_317:
	s_or_b64 exec, exec, s[2:3]
	s_mov_b32 s2, 0xffffff
	v_cmp_lt_u32_e32 vcc, s2, v22
	s_and_saveexec_b64 s[2:3], vcc
	s_cbranch_execz .LBB864_323
; %bb.318:
	v_lshrrev_b32_e32 v42, 24, v22
	s_movk_i32 s8, 0x80
	v_cmp_ne_u32_e32 vcc, s8, v42
	v_mov_b32_e32 v45, 0xffff8000
	s_and_saveexec_b64 s[8:9], vcc
	s_cbranch_execz .LBB864_322
; %bb.319:
	v_bfe_u32 v22, v22, 24, 7
	s_movk_i32 s10, 0x7f
	v_cmp_ne_u32_e32 vcc, s10, v22
	v_mov_b32_e32 v45, 0x7f80
	s_and_saveexec_b64 s[10:11], vcc
	s_cbranch_execz .LBB864_321
; %bb.320:
	v_and_b32_e32 v45, 7, v42
	v_ffbh_u32_e32 v52, v45
	v_min_u32_e32 v55, 32, v52
	v_subrev_u32_e32 v52, 28, v55
	v_lshlrev_b64 v[52:53], v52, v[42:43]
	v_lshrrev_b32_e32 v54, 3, v22
	v_sub_u32_e32 v53, 29, v55
	v_and_b32_e32 v52, 7, v52
	v_cmp_gt_u32_e32 vcc, 8, v22
	v_cndmask_b32_e32 v22, v54, v53, vcc
	v_cndmask_b32_e32 v45, v45, v52, vcc
	v_lshlrev_b32_e32 v42, 24, v42
	v_bfrev_b32_e32 v52, 60
	v_lshlrev_b32_e32 v45, 20, v45
	v_and_b32_e32 v42, 0x80000000, v42
	v_lshl_add_u32 v22, v22, 23, v52
	v_or3_b32 v22, v42, v22, v45
	v_lshrrev_b32_e32 v45, 16, v22
.LBB864_321:
	s_or_b64 exec, exec, s[10:11]
.LBB864_322:
	s_or_b64 exec, exec, s[8:9]
.LBB864_323:
	s_or_b64 exec, exec, s[2:3]
	v_mov_b32_e32 v42, 0
	v_cmp_ne_u16_sdwa s[8:9], v23, v42 src0_sel:BYTE_0 src1_sel:DWORD
	v_mov_b32_e32 v52, 0
	s_and_saveexec_b64 s[2:3], s[8:9]
	s_cbranch_execz .LBB864_329
; %bb.324:
	s_movk_i32 s8, 0x80
	v_cmp_ne_u16_sdwa s[10:11], v23, s8 src0_sel:BYTE_0 src1_sel:DWORD
	v_mov_b32_e32 v52, 0xffff8000
	s_and_saveexec_b64 s[8:9], s[10:11]
	s_cbranch_execz .LBB864_328
; %bb.325:
	s_movk_i32 s10, 0x7f
	v_and_b32_e32 v22, 0x7f, v23
	v_cmp_ne_u32_e32 vcc, s10, v22
	v_mov_b32_e32 v52, 0x7f80
	s_and_saveexec_b64 s[10:11], vcc
	s_cbranch_execz .LBB864_327
; %bb.326:
	v_and_b32_e32 v54, 7, v23
	v_ffbh_u32_e32 v53, v54
	v_min_u32_e32 v56, 32, v53
	v_mov_b32_e32 v52, v23
	v_subrev_u32_e32 v53, 28, v56
	v_lshlrev_b64 v[52:53], v53, v[52:53]
	v_lshrrev_b32_e32 v55, 3, v22
	v_sub_u32_e32 v53, 29, v56
	v_and_b32_e32 v52, 7, v52
	v_cmp_gt_u32_e32 vcc, 8, v22
	v_cndmask_b32_e32 v22, v55, v53, vcc
	v_cndmask_b32_e32 v52, v54, v52, vcc
	v_lshlrev_b32_e32 v53, 24, v23
	v_bfrev_b32_e32 v54, 60
	v_lshlrev_b32_e32 v52, 20, v52
	v_and_b32_e32 v53, 0x80000000, v53
	v_lshl_add_u32 v22, v22, 23, v54
	v_or3_b32 v22, v53, v22, v52
	v_lshrrev_b32_e32 v52, 16, v22
.LBB864_327:
	s_or_b64 exec, exec, s[10:11]
.LBB864_328:
	s_or_b64 exec, exec, s[8:9]
.LBB864_329:
	s_or_b64 exec, exec, s[2:3]
	v_lshrrev_b16_e32 v22, 8, v23
	v_cmp_ne_u16_e32 vcc, 0, v22
	s_and_saveexec_b64 s[2:3], vcc
	s_cbranch_execz .LBB864_335
; %bb.330:
	s_movk_i32 s8, 0x80
	v_cmp_ne_u16_e32 vcc, s8, v22
	v_mov_b32_e32 v42, 0xffff8000
	s_and_saveexec_b64 s[8:9], vcc
	s_cbranch_execz .LBB864_334
; %bb.331:
	s_movk_i32 s10, 0x7f
	v_and_b32_e32 v53, 0x7f, v22
	v_cmp_ne_u32_e32 vcc, s10, v53
	v_mov_b32_e32 v42, 0x7f80
	s_and_saveexec_b64 s[10:11], vcc
	s_cbranch_execz .LBB864_333
; %bb.332:
	v_and_b32_e32 v42, 7, v22
	v_ffbh_u32_e32 v54, v42
	v_min_u32_e32 v57, 32, v54
	v_subrev_u32_e32 v54, 28, v57
	v_lshlrev_b64 v[54:55], v54, v[22:23]
	v_lshrrev_b32_e32 v56, 3, v53
	v_sub_u32_e32 v22, 29, v57
	v_and_b32_e32 v54, 7, v54
	v_cmp_gt_u32_e32 vcc, 8, v53
	v_cndmask_b32_e32 v22, v56, v22, vcc
	v_cndmask_b32_e32 v42, v42, v54, vcc
	v_lshlrev_b32_e32 v53, 16, v23
	v_bfrev_b32_e32 v54, 60
	v_lshlrev_b32_e32 v42, 20, v42
	v_and_b32_e32 v53, 0x80000000, v53
	v_lshl_add_u32 v22, v22, 23, v54
	v_or3_b32 v22, v53, v22, v42
	v_lshrrev_b32_e32 v42, 16, v22
.LBB864_333:
	s_or_b64 exec, exec, s[10:11]
.LBB864_334:
	s_or_b64 exec, exec, s[8:9]
.LBB864_335:
	s_or_b64 exec, exec, s[2:3]
	s_movk_i32 s2, 0xff
	v_and_b32_sdwa v55, v23, s2 dst_sel:DWORD dst_unused:UNUSED_PAD src0_sel:WORD_1 src1_sel:DWORD
	v_lshrrev_b32_e32 v22, 16, v23
	v_cmp_ne_u16_e32 vcc, 0, v55
	v_mov_b32_e32 v53, 0
	v_mov_b32_e32 v54, 0
	s_and_saveexec_b64 s[2:3], vcc
	s_cbranch_execz .LBB864_341
; %bb.336:
	s_movk_i32 s8, 0x80
	v_cmp_ne_u16_e32 vcc, s8, v55
	v_mov_b32_e32 v54, 0xffff8000
	s_and_saveexec_b64 s[8:9], vcc
	s_cbranch_execz .LBB864_340
; %bb.337:
	v_bfe_u32 v55, v23, 16, 7
	s_movk_i32 s10, 0x7f
	v_cmp_ne_u32_e32 vcc, s10, v55
	v_mov_b32_e32 v54, 0x7f80
	s_and_saveexec_b64 s[10:11], vcc
	s_cbranch_execz .LBB864_339
; %bb.338:
	v_and_b32_e32 v54, 7, v22
	v_ffbh_u32_e32 v56, v54
	v_min_u32_e32 v59, 32, v56
	v_subrev_u32_e32 v56, 28, v59
	v_lshlrev_b64 v[56:57], v56, v[22:23]
	v_lshrrev_b32_e32 v58, 3, v55
	v_sub_u32_e32 v22, 29, v59
	v_and_b32_e32 v56, 7, v56
	v_cmp_gt_u32_e32 vcc, 8, v55
	v_mov_b32_e32 v55, 24
	v_cndmask_b32_e32 v22, v58, v22, vcc
	v_cndmask_b32_e32 v54, v54, v56, vcc
	v_lshlrev_b32_sdwa v55, v55, v23 dst_sel:DWORD dst_unused:UNUSED_PAD src0_sel:DWORD src1_sel:WORD_1
	v_bfrev_b32_e32 v56, 60
	v_lshlrev_b32_e32 v54, 20, v54
	v_and_b32_e32 v55, 0x80000000, v55
	v_lshl_add_u32 v22, v22, 23, v56
	v_or3_b32 v22, v55, v22, v54
	v_lshrrev_b32_e32 v54, 16, v22
.LBB864_339:
	s_or_b64 exec, exec, s[10:11]
.LBB864_340:
	s_or_b64 exec, exec, s[8:9]
.LBB864_341:
	s_or_b64 exec, exec, s[2:3]
	s_mov_b32 s2, 0xffffff
	v_cmp_lt_u32_e32 vcc, s2, v23
	s_and_saveexec_b64 s[2:3], vcc
	s_cbranch_execz .LBB864_347
; %bb.342:
	v_lshrrev_b32_e32 v22, 24, v23
	s_movk_i32 s8, 0x80
	v_cmp_ne_u32_e32 vcc, s8, v22
	v_mov_b32_e32 v53, 0xffff8000
	s_and_saveexec_b64 s[8:9], vcc
	s_cbranch_execz .LBB864_346
; %bb.343:
	v_bfe_u32 v23, v23, 24, 7
	s_movk_i32 s10, 0x7f
	v_cmp_ne_u32_e32 vcc, s10, v23
	v_mov_b32_e32 v53, 0x7f80
	s_and_saveexec_b64 s[10:11], vcc
	s_cbranch_execz .LBB864_345
; %bb.344:
	v_and_b32_e32 v53, 7, v22
	v_ffbh_u32_e32 v56, v53
	v_min_u32_e32 v58, 32, v56
	v_subrev_u32_e32 v56, 28, v58
	v_lshlrev_b64 v[56:57], v56, v[22:23]
	v_lshrrev_b32_e32 v55, 3, v23
	v_sub_u32_e32 v57, 29, v58
	v_and_b32_e32 v56, 7, v56
	v_cmp_gt_u32_e32 vcc, 8, v23
	v_cndmask_b32_e32 v23, v55, v57, vcc
	v_cndmask_b32_e32 v53, v53, v56, vcc
	v_lshlrev_b32_e32 v22, 24, v22
	v_bfrev_b32_e32 v55, 60
	v_lshlrev_b32_e32 v53, 20, v53
	v_and_b32_e32 v22, 0x80000000, v22
	v_lshl_add_u32 v23, v23, 23, v55
	v_or3_b32 v22, v22, v23, v53
	v_lshrrev_b32_e32 v53, 16, v22
.LBB864_345:
	s_or_b64 exec, exec, s[10:11]
.LBB864_346:
	s_or_b64 exec, exec, s[8:9]
.LBB864_347:
	s_or_b64 exec, exec, s[2:3]
	s_mov_b32 s2, 0x5040100
	v_perm_b32 v23, v45, v51, s2
	v_perm_b32 v22, v43, v44, s2
	s_nop 1
	v_mfma_f32_16x16x16bf16_1k v[56:59], v[22:23], v[26:27], 0
	v_perm_b32 v27, v53, v54, s2
	v_perm_b32 v26, v42, v52, s2
	v_mov_b32_e32 v23, 0
	v_cmp_ne_u16_sdwa s[8:9], v24, v23 src0_sel:BYTE_0 src1_sel:DWORD
	v_mov_b32_e32 v42, 0
	v_mfma_f32_16x16x16bf16_1k v[26:29], v[26:27], v[28:29], v[56:59]
	s_and_saveexec_b64 s[2:3], s[8:9]
	s_cbranch_execz .LBB864_353
; %bb.348:
	s_movk_i32 s8, 0x80
	v_cmp_ne_u16_sdwa s[10:11], v24, s8 src0_sel:BYTE_0 src1_sel:DWORD
	v_mov_b32_e32 v42, 0xffff8000
	s_and_saveexec_b64 s[8:9], s[10:11]
	s_cbranch_execz .LBB864_352
; %bb.349:
	s_movk_i32 s10, 0x7f
	v_and_b32_e32 v22, 0x7f, v24
	v_cmp_ne_u32_e32 vcc, s10, v22
	v_mov_b32_e32 v42, 0x7f80
	s_and_saveexec_b64 s[10:11], vcc
	s_cbranch_execz .LBB864_351
; %bb.350:
	v_and_b32_e32 v44, 7, v24
	v_ffbh_u32_e32 v42, v44
	v_min_u32_e32 v51, 32, v42
	v_subrev_u32_e32 v42, 28, v51
	v_lshlrev_b64 v[42:43], v42, v[24:25]
	v_lshrrev_b32_e32 v45, 3, v22
	v_sub_u32_e32 v43, 29, v51
	v_and_b32_e32 v42, 7, v42
	v_cmp_gt_u32_e32 vcc, 8, v22
	v_cndmask_b32_e32 v22, v45, v43, vcc
	v_cndmask_b32_e32 v42, v44, v42, vcc
	v_lshlrev_b32_e32 v43, 24, v24
	v_bfrev_b32_e32 v44, 60
	v_lshlrev_b32_e32 v42, 20, v42
	v_and_b32_e32 v43, 0x80000000, v43
	v_lshl_add_u32 v22, v22, 23, v44
	v_or3_b32 v22, v43, v22, v42
	v_lshrrev_b32_e32 v42, 16, v22
.LBB864_351:
	s_or_b64 exec, exec, s[10:11]
.LBB864_352:
	s_or_b64 exec, exec, s[8:9]
.LBB864_353:
	s_or_b64 exec, exec, s[2:3]
	v_lshrrev_b16_e32 v22, 8, v24
	v_cmp_ne_u16_e32 vcc, 0, v22
	s_and_saveexec_b64 s[2:3], vcc
	s_cbranch_execz .LBB864_359
; %bb.354:
	s_movk_i32 s8, 0x80
	v_cmp_ne_u16_e32 vcc, s8, v22
	v_mov_b32_e32 v23, 0xffff8000
	s_and_saveexec_b64 s[8:9], vcc
	s_cbranch_execz .LBB864_358
; %bb.355:
	s_movk_i32 s10, 0x7f
	v_and_b32_e32 v43, 0x7f, v22
	v_cmp_ne_u32_e32 vcc, s10, v43
	v_mov_b32_e32 v23, 0x7f80
	s_and_saveexec_b64 s[10:11], vcc
	s_cbranch_execz .LBB864_357
; %bb.356:
	v_and_b32_e32 v44, 7, v22
	v_ffbh_u32_e32 v23, v44
	v_min_u32_e32 v51, 32, v23
	v_subrev_u32_e32 v23, 28, v51
	v_lshlrev_b64 v[22:23], v23, v[22:23]
	v_lshrrev_b32_e32 v45, 3, v43
	v_sub_u32_e32 v23, 29, v51
	v_and_b32_e32 v22, 7, v22
	v_cmp_gt_u32_e32 vcc, 8, v43
	v_cndmask_b32_e32 v23, v45, v23, vcc
	v_cndmask_b32_e32 v22, v44, v22, vcc
	v_lshlrev_b32_e32 v43, 16, v24
	v_bfrev_b32_e32 v44, 60
	v_lshlrev_b32_e32 v22, 20, v22
	v_and_b32_e32 v43, 0x80000000, v43
	v_lshl_add_u32 v23, v23, 23, v44
	v_or3_b32 v22, v43, v23, v22
	v_lshrrev_b32_e32 v23, 16, v22
.LBB864_357:
	s_or_b64 exec, exec, s[10:11]
.LBB864_358:
	s_or_b64 exec, exec, s[8:9]
.LBB864_359:
	s_or_b64 exec, exec, s[2:3]
	s_movk_i32 s2, 0xff
	v_and_b32_sdwa v45, v24, s2 dst_sel:DWORD dst_unused:UNUSED_PAD src0_sel:WORD_1 src1_sel:DWORD
	v_lshrrev_b32_e32 v22, 16, v24
	v_cmp_ne_u16_e32 vcc, 0, v45
	v_mov_b32_e32 v43, 0
	v_mov_b32_e32 v44, 0
	s_and_saveexec_b64 s[2:3], vcc
	s_cbranch_execz .LBB864_365
; %bb.360:
	s_movk_i32 s8, 0x80
	v_cmp_ne_u16_e32 vcc, s8, v45
	v_mov_b32_e32 v44, 0xffff8000
	s_and_saveexec_b64 s[8:9], vcc
	s_cbranch_execz .LBB864_364
; %bb.361:
	v_bfe_u32 v45, v24, 16, 7
	s_movk_i32 s10, 0x7f
	v_cmp_ne_u32_e32 vcc, s10, v45
	v_mov_b32_e32 v44, 0x7f80
	s_and_saveexec_b64 s[10:11], vcc
	s_cbranch_execz .LBB864_363
; %bb.362:
	v_and_b32_e32 v44, 7, v22
	v_ffbh_u32_e32 v52, v44
	v_min_u32_e32 v54, 32, v52
	v_subrev_u32_e32 v52, 28, v54
	v_lshlrev_b64 v[52:53], v52, v[22:23]
	v_lshrrev_b32_e32 v51, 3, v45
	v_sub_u32_e32 v22, 29, v54
	v_and_b32_e32 v52, 7, v52
	v_cmp_gt_u32_e32 vcc, 8, v45
	v_mov_b32_e32 v45, 24
	v_cndmask_b32_e32 v22, v51, v22, vcc
	v_cndmask_b32_e32 v44, v44, v52, vcc
	v_lshlrev_b32_sdwa v45, v45, v24 dst_sel:DWORD dst_unused:UNUSED_PAD src0_sel:DWORD src1_sel:WORD_1
	v_bfrev_b32_e32 v51, 60
	v_lshlrev_b32_e32 v44, 20, v44
	v_and_b32_e32 v45, 0x80000000, v45
	v_lshl_add_u32 v22, v22, 23, v51
	v_or3_b32 v22, v45, v22, v44
	v_lshrrev_b32_e32 v44, 16, v22
.LBB864_363:
	s_or_b64 exec, exec, s[10:11]
.LBB864_364:
	s_or_b64 exec, exec, s[8:9]
.LBB864_365:
	s_or_b64 exec, exec, s[2:3]
	s_mov_b32 s2, 0xffffff
	v_cmp_lt_u32_e32 vcc, s2, v24
	s_and_saveexec_b64 s[2:3], vcc
	s_cbranch_execz .LBB864_371
; %bb.366:
	v_lshrrev_b32_e32 v22, 24, v24
	s_movk_i32 s8, 0x80
	v_cmp_ne_u32_e32 vcc, s8, v22
	v_mov_b32_e32 v43, 0xffff8000
	s_and_saveexec_b64 s[8:9], vcc
	s_cbranch_execz .LBB864_370
; %bb.367:
	v_bfe_u32 v24, v24, 24, 7
	s_movk_i32 s10, 0x7f
	v_cmp_ne_u32_e32 vcc, s10, v24
	v_mov_b32_e32 v43, 0x7f80
	s_and_saveexec_b64 s[10:11], vcc
	s_cbranch_execz .LBB864_369
; %bb.368:
	v_and_b32_e32 v43, 7, v22
	v_ffbh_u32_e32 v51, v43
	v_min_u32_e32 v51, 32, v51
	v_subrev_u32_e32 v52, 28, v51
	v_lshlrev_b64 v[52:53], v52, v[22:23]
	v_lshrrev_b32_e32 v45, 3, v24
	v_sub_u32_e32 v51, 29, v51
	v_and_b32_e32 v52, 7, v52
	v_cmp_gt_u32_e32 vcc, 8, v24
	v_cndmask_b32_e32 v24, v45, v51, vcc
	v_cndmask_b32_e32 v43, v43, v52, vcc
	v_lshlrev_b32_e32 v22, 24, v22
	v_bfrev_b32_e32 v45, 60
	v_lshlrev_b32_e32 v43, 20, v43
	v_and_b32_e32 v22, 0x80000000, v22
	v_lshl_add_u32 v24, v24, 23, v45
	v_or3_b32 v22, v22, v24, v43
	v_lshrrev_b32_e32 v43, 16, v22
.LBB864_369:
	s_or_b64 exec, exec, s[10:11]
.LBB864_370:
	s_or_b64 exec, exec, s[8:9]
.LBB864_371:
	s_or_b64 exec, exec, s[2:3]
	v_mov_b32_e32 v24, 0
	v_cmp_ne_u16_sdwa s[8:9], v25, v24 src0_sel:BYTE_0 src1_sel:DWORD
	v_mov_b32_e32 v51, 0
	s_and_saveexec_b64 s[2:3], s[8:9]
	s_cbranch_execz .LBB864_377
; %bb.372:
	s_movk_i32 s8, 0x80
	v_cmp_ne_u16_sdwa s[10:11], v25, s8 src0_sel:BYTE_0 src1_sel:DWORD
	v_mov_b32_e32 v51, 0xffff8000
	s_and_saveexec_b64 s[8:9], s[10:11]
	s_cbranch_execz .LBB864_376
; %bb.373:
	s_movk_i32 s10, 0x7f
	v_and_b32_e32 v22, 0x7f, v25
	v_cmp_ne_u32_e32 vcc, s10, v22
	v_mov_b32_e32 v51, 0x7f80
	s_and_saveexec_b64 s[10:11], vcc
	s_cbranch_execz .LBB864_375
; %bb.374:
	v_and_b32_e32 v45, 7, v25
	v_ffbh_u32_e32 v53, v45
	v_min_u32_e32 v54, 32, v53
	v_mov_b32_e32 v52, v25
	v_subrev_u32_e32 v53, 28, v54
	v_lshlrev_b64 v[52:53], v53, v[52:53]
	v_lshrrev_b32_e32 v51, 3, v22
	v_sub_u32_e32 v53, 29, v54
	v_and_b32_e32 v52, 7, v52
	v_cmp_gt_u32_e32 vcc, 8, v22
	v_cndmask_b32_e32 v22, v51, v53, vcc
	v_cndmask_b32_e32 v45, v45, v52, vcc
	v_lshlrev_b32_e32 v51, 24, v25
	v_bfrev_b32_e32 v52, 60
	v_lshlrev_b32_e32 v45, 20, v45
	v_and_b32_e32 v51, 0x80000000, v51
	v_lshl_add_u32 v22, v22, 23, v52
	v_or3_b32 v22, v51, v22, v45
	v_lshrrev_b32_e32 v51, 16, v22
.LBB864_375:
	s_or_b64 exec, exec, s[10:11]
.LBB864_376:
	s_or_b64 exec, exec, s[8:9]
.LBB864_377:
	s_or_b64 exec, exec, s[2:3]
	v_lshrrev_b16_e32 v22, 8, v25
	v_cmp_ne_u16_e32 vcc, 0, v22
	s_and_saveexec_b64 s[2:3], vcc
	s_cbranch_execz .LBB864_383
; %bb.378:
	s_movk_i32 s8, 0x80
	v_cmp_ne_u16_e32 vcc, s8, v22
	v_mov_b32_e32 v24, 0xffff8000
	s_and_saveexec_b64 s[8:9], vcc
	s_cbranch_execz .LBB864_382
; %bb.379:
	s_movk_i32 s10, 0x7f
	v_and_b32_e32 v45, 0x7f, v22
	v_cmp_ne_u32_e32 vcc, s10, v45
	v_mov_b32_e32 v24, 0x7f80
	s_and_saveexec_b64 s[10:11], vcc
	s_cbranch_execz .LBB864_381
; %bb.380:
	v_and_b32_e32 v24, 7, v22
	v_ffbh_u32_e32 v52, v24
	v_min_u32_e32 v55, 32, v52
	v_subrev_u32_e32 v52, 28, v55
	v_lshlrev_b64 v[52:53], v52, v[22:23]
	v_lshrrev_b32_e32 v54, 3, v45
	v_sub_u32_e32 v22, 29, v55
	v_and_b32_e32 v52, 7, v52
	v_cmp_gt_u32_e32 vcc, 8, v45
	v_cndmask_b32_e32 v22, v54, v22, vcc
	v_cndmask_b32_e32 v24, v24, v52, vcc
	v_lshlrev_b32_e32 v45, 16, v25
	v_bfrev_b32_e32 v52, 60
	v_lshlrev_b32_e32 v24, 20, v24
	v_and_b32_e32 v45, 0x80000000, v45
	v_lshl_add_u32 v22, v22, 23, v52
	v_or3_b32 v22, v45, v22, v24
	v_lshrrev_b32_e32 v24, 16, v22
.LBB864_381:
	s_or_b64 exec, exec, s[10:11]
.LBB864_382:
	s_or_b64 exec, exec, s[8:9]
.LBB864_383:
	s_or_b64 exec, exec, s[2:3]
	s_movk_i32 s2, 0xff
	v_and_b32_sdwa v45, v25, s2 dst_sel:DWORD dst_unused:UNUSED_PAD src0_sel:WORD_1 src1_sel:DWORD
	v_lshrrev_b32_e32 v22, 16, v25
	v_cmp_ne_u16_e32 vcc, 0, v45
	v_mov_b32_e32 v52, 0
	v_mov_b32_e32 v53, 0
	s_and_saveexec_b64 s[2:3], vcc
	s_cbranch_execz .LBB864_389
; %bb.384:
	s_movk_i32 s8, 0x80
	v_cmp_ne_u16_e32 vcc, s8, v45
	v_mov_b32_e32 v53, 0xffff8000
	s_and_saveexec_b64 s[8:9], vcc
	s_cbranch_execz .LBB864_388
; %bb.385:
	v_bfe_u32 v45, v25, 16, 7
	s_movk_i32 s10, 0x7f
	v_cmp_ne_u32_e32 vcc, s10, v45
	v_mov_b32_e32 v53, 0x7f80
	s_and_saveexec_b64 s[10:11], vcc
	s_cbranch_execz .LBB864_387
; %bb.386:
	v_and_b32_e32 v53, 7, v22
	v_ffbh_u32_e32 v54, v53
	v_min_u32_e32 v57, 32, v54
	v_subrev_u32_e32 v54, 28, v57
	v_lshlrev_b64 v[54:55], v54, v[22:23]
	v_and_b32_e32 v54, 7, v54
	v_cmp_gt_u32_e32 vcc, 8, v45
	v_lshrrev_b32_e32 v56, 3, v45
	v_sub_u32_e32 v22, 29, v57
	v_cndmask_b32_e32 v45, v53, v54, vcc
	v_mov_b32_e32 v53, 24
	v_cndmask_b32_e32 v22, v56, v22, vcc
	v_lshlrev_b32_sdwa v53, v53, v25 dst_sel:DWORD dst_unused:UNUSED_PAD src0_sel:DWORD src1_sel:WORD_1
	v_bfrev_b32_e32 v54, 60
	v_lshlrev_b32_e32 v45, 20, v45
	v_and_b32_e32 v53, 0x80000000, v53
	v_lshl_add_u32 v22, v22, 23, v54
	v_or3_b32 v22, v53, v22, v45
	v_lshrrev_b32_e32 v53, 16, v22
.LBB864_387:
	s_or_b64 exec, exec, s[10:11]
.LBB864_388:
	s_or_b64 exec, exec, s[8:9]
.LBB864_389:
	s_or_b64 exec, exec, s[2:3]
	s_mov_b32 s2, 0xffffff
	v_and_b32_e32 v45, 63, v0
	v_cmp_lt_u32_e32 vcc, s2, v25
	s_and_saveexec_b64 s[2:3], vcc
	s_cbranch_execz .LBB864_395
; %bb.390:
	v_lshrrev_b32_e32 v22, 24, v25
	s_movk_i32 s8, 0x80
	v_cmp_ne_u32_e32 vcc, s8, v22
	v_mov_b32_e32 v52, 0xffff8000
	s_and_saveexec_b64 s[8:9], vcc
	s_cbranch_execz .LBB864_394
; %bb.391:
	v_bfe_u32 v25, v25, 24, 7
	s_movk_i32 s10, 0x7f
	v_cmp_ne_u32_e32 vcc, s10, v25
	v_mov_b32_e32 v52, 0x7f80
	s_and_saveexec_b64 s[10:11], vcc
	s_cbranch_execz .LBB864_393
; %bb.392:
	v_and_b32_e32 v52, 7, v22
	v_ffbh_u32_e32 v54, v52
	v_min_u32_e32 v57, 32, v54
	v_subrev_u32_e32 v54, 28, v57
	v_lshlrev_b64 v[54:55], v54, v[22:23]
	v_lshrrev_b32_e32 v56, 3, v25
	v_sub_u32_e32 v55, 29, v57
	v_and_b32_e32 v54, 7, v54
	v_cmp_gt_u32_e32 vcc, 8, v25
	v_cndmask_b32_e32 v25, v56, v55, vcc
	v_cndmask_b32_e32 v52, v52, v54, vcc
	v_lshlrev_b32_e32 v22, 24, v22
	v_bfrev_b32_e32 v54, 60
	v_lshlrev_b32_e32 v52, 20, v52
	v_and_b32_e32 v22, 0x80000000, v22
	v_lshl_add_u32 v25, v25, 23, v54
	v_or3_b32 v22, v22, v25, v52
	v_lshrrev_b32_e32 v52, 16, v22
.LBB864_393:
	s_or_b64 exec, exec, s[10:11]
.LBB864_394:
	s_or_b64 exec, exec, s[8:9]
.LBB864_395:
	s_or_b64 exec, exec, s[2:3]
	s_mov_b32 s3, 0x5040100
	v_perm_b32 v43, v43, v44, s3
	v_perm_b32 v42, v23, v42, s3
	s_load_dword s2, s[4:5], 0x1c
	s_mov_b32 s46, 0xff7fffff
	s_waitcnt lgkmcnt(0)
	v_mfma_f32_16x16x16bf16_1k v[26:29], v[42:43], v[18:19], v[26:29]
	v_perm_b32 v19, v52, v53, s3
	v_perm_b32 v18, v24, v51, s3
	v_and_b32_e32 v24, 0xc0, v0
	v_mov_b32_e32 v22, s2
	v_add_u32_e32 v24, s20, v24
	v_mul_f32_e32 v44, s12, v22
	v_lshl_or_b32 v42, v47, 2, v24
	v_mfma_f32_16x16x16bf16_1k v[18:21], v[18:19], v[20:21], v[26:29]
	v_pk_mul_f32 v[22:23], v[44:45], v[36:37] op_sel_hi:[0,1]
	v_pk_mul_f32 v[36:37], v[44:45], v[40:41] op_sel_hi:[0,1]
	;; [unrolled: 1-line block ×4, first 2 shown]
	v_mov_b32_e32 v43, 0xff7fffff
	v_cmp_gt_i32_e64 s[26:27], s33, v42
	v_pk_mul_f32 v[38:39], v[44:45], v[38:39] op_sel_hi:[0,1]
	s_nop 3
	v_pk_mul_f32 v[32:33], v[44:45], v[18:19] op_sel_hi:[0,1]
	v_or_b32_e32 v19, 1, v42
	v_cmp_gt_i32_e64 s[28:29], s33, v19
	v_cndmask_b32_e64 v18, v43, v30, s[26:27]
	v_cndmask_b32_e64 v19, v43, v31, s[28:29]
	v_pk_mul_f32 v[24:25], v[44:45], v[20:21] op_sel_hi:[0,1]
	v_max3_f32 v18, v18, s46, v19
	v_or_b32_e32 v19, 2, v42
	v_or_b32_e32 v20, 3, v42
	v_cmp_gt_i32_e64 s[30:31], s33, v19
	v_cmp_gt_i32_e64 s[34:35], s33, v20
	v_cndmask_b32_e64 v19, v43, v40, s[30:31]
	v_cndmask_b32_e64 v20, v43, v41, s[34:35]
	v_max3_f32 v18, v18, v19, v20
	v_or_b32_e32 v19, 16, v42
	v_or_b32_e32 v20, 17, v42
	v_cmp_gt_i32_e64 s[36:37], s33, v19
	v_cmp_gt_i32_e64 s[38:39], s33, v20
	v_cndmask_b32_e64 v19, v43, v38, s[36:37]
	v_cndmask_b32_e64 v20, v43, v39, s[38:39]
	;; [unrolled: 7-line block ×3, first 2 shown]
	v_max3_f32 v18, v18, v19, v20
	v_or_b32_e32 v19, 32, v42
	v_or_b32_e32 v20, 33, v42
	v_pk_mul_f32 v[34:35], v[44:45], v[34:35] op_sel_hi:[0,1]
	v_cmp_gt_i32_e64 s[16:17], s33, v19
	v_cmp_gt_i32_e64 s[18:19], s33, v20
	v_cndmask_b32_e64 v19, v43, v34, s[16:17]
	v_cndmask_b32_e64 v20, v43, v35, s[18:19]
	v_max3_f32 v18, v18, v19, v20
	v_or_b32_e32 v19, 34, v42
	v_or_b32_e32 v20, 35, v42
	v_cmp_gt_i32_e64 s[12:13], s33, v19
	v_cmp_gt_i32_e64 s[14:15], s33, v20
	v_cndmask_b32_e64 v19, v43, v22, s[12:13]
	v_cndmask_b32_e64 v20, v43, v23, s[14:15]
	v_max3_f32 v18, v18, v19, v20
	v_or_b32_e32 v19, 48, v42
	v_or_b32_e32 v20, 49, v42
	;; [unrolled: 7-line block ×3, first 2 shown]
	v_cmp_gt_i32_e32 vcc, s33, v19
	v_cmp_gt_i32_e64 s[2:3], s33, v20
	v_cndmask_b32_e32 v19, v43, v24, vcc
	v_cndmask_b32_e64 v20, v43, v25, s[2:3]
	v_max3_f32 v18, v18, v19, v20
	v_mbcnt_lo_u32_b32 v19, -1, 0
	v_mbcnt_hi_u32_b32 v19, -1, v19
	v_and_b32_e32 v20, 64, v19
	v_add_u32_e32 v20, 64, v20
	v_xor_b32_e32 v21, 32, v19
	v_cmp_lt_i32_e64 s[40:41], v21, v20
	v_cndmask_b32_e64 v21, v19, v21, s[40:41]
	v_lshlrev_b32_e32 v43, 2, v21
	ds_bpermute_b32 v21, v43, v18
	s_barrier
	s_waitcnt lgkmcnt(0)
	v_max_f32_e32 v21, v21, v21
	v_max_f32_e32 v18, v18, v21
	v_xor_b32_e32 v21, 16, v19
	v_cmp_lt_i32_e64 s[40:41], v21, v20
	v_cndmask_b32_e64 v19, v19, v21, s[40:41]
	v_lshlrev_b32_e32 v44, 2, v19
	ds_bpermute_b32 v19, v44, v18
	s_waitcnt lgkmcnt(0)
	v_max_f32_e32 v19, v19, v19
	v_max_f32_e32 v42, v18, v19
	v_sub_f32_e32 v21, v40, v42
	v_sub_f32_e32 v26, v41, v42
	v_mul_f32_e32 v21, 0x3fb8aa3b, v21
	v_mul_f32_e32 v26, 0x3fb8aa3b, v26
	v_sub_f32_e32 v18, v30, v42
	v_exp_f32_e32 v21, v21
	v_exp_f32_e32 v26, v26
	v_mul_f32_e32 v18, 0x3fb8aa3b, v18
	v_sub_f32_e32 v19, v31, v42
	v_exp_f32_e32 v18, v18
	v_mul_f32_e32 v19, 0x3fb8aa3b, v19
	v_exp_f32_e32 v19, v19
	v_cndmask_b32_e64 v28, 0, v21, s[30:31]
	v_cndmask_b32_e64 v29, 0, v26, s[34:35]
	v_sub_f32_e32 v21, v38, v42
	v_sub_f32_e32 v26, v39, v42
	v_mul_f32_e32 v21, 0x3fb8aa3b, v21
	v_mul_f32_e32 v26, 0x3fb8aa3b, v26
	v_cndmask_b32_e64 v18, 0, v18, s[26:27]
	v_exp_f32_e32 v21, v21
	v_exp_f32_e32 v26, v26
	v_add_f32_e32 v20, 0, v18
	v_cndmask_b32_e64 v19, 0, v19, s[28:29]
	v_add_f32_e32 v20, v20, v19
	v_add_f32_e32 v20, v20, v28
	;; [unrolled: 1-line block ×3, first 2 shown]
	v_cndmask_b32_e64 v20, 0, v21, s[36:37]
	v_cndmask_b32_e64 v21, 0, v26, s[38:39]
	v_sub_f32_e32 v26, v36, v42
	v_mul_f32_e32 v26, 0x3fb8aa3b, v26
	v_exp_f32_e32 v26, v26
	v_sub_f32_e32 v30, v37, v42
	v_add_f32_e32 v27, v27, v20
	v_mul_f32_e32 v30, 0x3fb8aa3b, v30
	v_exp_f32_e32 v31, v30
	v_add_f32_e32 v27, v27, v21
	v_cndmask_b32_e64 v30, 0, v26, s[20:21]
	v_add_f32_e32 v26, v27, v30
	v_sub_f32_e32 v27, v34, v42
	v_mul_f32_e32 v27, 0x3fb8aa3b, v27
	v_sub_f32_e32 v34, v35, v42
	v_exp_f32_e32 v27, v27
	v_mul_f32_e32 v34, 0x3fb8aa3b, v34
	v_sub_f32_e32 v22, v22, v42
	v_exp_f32_e32 v34, v34
	;; [unrolled: 3-line block ×3, first 2 shown]
	v_mul_f32_e32 v23, 0x3fb8aa3b, v23
	v_cndmask_b32_e64 v31, 0, v31, s[22:23]
	v_exp_f32_e32 v23, v23
	v_add_f32_e32 v35, v26, v31
	v_cndmask_b32_e64 v26, 0, v27, s[16:17]
	v_add_f32_e32 v35, v35, v26
	v_cndmask_b32_e64 v27, 0, v34, s[18:19]
	;; [unrolled: 2-line block ×4, first 2 shown]
	v_sub_f32_e32 v23, v32, v42
	v_mul_f32_e32 v23, 0x3fb8aa3b, v23
	v_sub_f32_e32 v32, v33, v42
	v_exp_f32_e32 v23, v23
	v_mul_f32_e32 v32, 0x3fb8aa3b, v32
	v_sub_f32_e32 v24, v24, v42
	v_exp_f32_e32 v32, v32
	;; [unrolled: 3-line block ×3, first 2 shown]
	v_mul_f32_e32 v25, 0x3fb8aa3b, v25
	v_exp_f32_e32 v25, v25
	v_add_f32_e32 v33, v22, v35
	v_cndmask_b32_e64 v22, 0, v23, s[8:9]
	v_add_f32_e32 v33, v33, v22
	v_cndmask_b32_e64 v23, 0, v32, s[10:11]
	v_add_f32_e32 v32, v33, v23
	v_cndmask_b32_e32 v24, 0, v24, vcc
	v_add_f32_e32 v32, v32, v24
	v_cndmask_b32_e64 v25, 0, v25, s[2:3]
	v_add_f32_e32 v32, v32, v25
	ds_bpermute_b32 v33, v43, v32
	v_cmp_gt_u32_e32 vcc, 16, v45
	s_waitcnt lgkmcnt(0)
	v_add_f32_e32 v32, v32, v33
	ds_bpermute_b32 v36, v44, v32
	v_lshlrev_b32_e32 v33, 2, v49
	s_and_saveexec_b64 s[2:3], vcc
	s_cbranch_execz .LBB864_397
; %bb.396:
	s_waitcnt lgkmcnt(0)
	v_add_f32_e32 v32, v32, v36
	v_lshl_or_b32 v36, v50, 6, v33
	ds_write2st64_b32 v36, v42, v32 offset1:1
.LBB864_397:
	s_or_b64 exec, exec, s[2:3]
	s_waitcnt lgkmcnt(0)
	s_barrier
	ds_read2_b32 v[36:37], v33 offset1:16
	ds_read2_b32 v[38:39], v33 offset0:32 offset1:48
	ds_read2_b32 v[40:41], v33 offset0:64 offset1:80
	s_mul_i32 s12, s45, 3
	s_waitcnt lgkmcnt(2)
	v_max3_f32 v32, v36, s46, v37
	s_waitcnt lgkmcnt(1)
	v_max3_f32 v32, v32, v38, v39
	v_sub_f32_e32 v36, v36, v32
	v_mul_f32_e32 v36, 0x3fb8aa3b, v36
	v_exp_f32_e32 v42, v36
	v_sub_f32_e32 v36, v37, v32
	v_mul_f32_e32 v36, 0x3fb8aa3b, v36
	v_exp_f32_e32 v43, v36
	;; [unrolled: 3-line block ×3, first 2 shown]
	ds_read2_b32 v[36:37], v33 offset0:96 offset1:112
	v_sub_f32_e32 v33, v39, v32
	v_mul_f32_e32 v33, 0x3fb8aa3b, v33
	v_exp_f32_e32 v39, v33
	s_waitcnt lgkmcnt(1)
	v_fma_f32 v33, v42, v40, 0
	v_fmac_f32_e32 v33, v43, v41
	s_waitcnt lgkmcnt(0)
	v_fmac_f32_e32 v33, v38, v36
	v_fmac_f32_e32 v33, v39, v37
	v_add_f32_e32 v36, 0x358637bd, v33
	v_div_scale_f32 v37, s[2:3], v36, v36, 1.0
	v_rcp_f32_e32 v40, v37
	s_movk_i32 s2, 0x7fff
	s_mov_b32 s3, 0x7060302
	v_fma_f32 v41, -v37, v40, 1.0
	v_fmac_f32_e32 v40, v41, v40
	v_div_scale_f32 v41, vcc, 1.0, v36, 1.0
	v_mul_f32_e32 v44, v41, v40
	v_fma_f32 v45, -v37, v44, v41
	v_fmac_f32_e32 v44, v45, v40
	v_fma_f32 v37, -v37, v44, v41
	v_div_fmas_f32 v37, v37, v40, v44
	v_cmp_eq_u32_e32 vcc, 1, v50
	v_div_fixup_f32 v36, v37, v36, 1.0
	v_cndmask_b32_e32 v37, v42, v43, vcc
	v_cmp_eq_u32_e32 vcc, 2, v50
	v_cndmask_b32_e32 v37, v37, v38, vcc
	v_cmp_eq_u32_e32 vcc, 3, v50
	v_cndmask_b32_e32 v37, v37, v39, vcc
	v_mul_f32_e32 v36, v37, v36
	v_pk_mul_f32 v[18:19], v[36:37], v[18:19] op_sel_hi:[0,1]
	v_pk_mul_f32 v[28:29], v[36:37], v[28:29] op_sel_hi:[0,1]
	v_bfe_u32 v37, v19, 16, 1
	v_bfe_u32 v38, v18, 16, 1
	v_add3_u32 v18, v18, v38, s2
	v_add3_u32 v19, v19, v37, s2
	v_perm_b32 v38, v19, v18, s3
	v_bfe_u32 v18, v29, 16, 1
	v_bfe_u32 v19, v28, 16, 1
	v_add3_u32 v19, v28, v19, s2
	v_add3_u32 v18, v29, v18, s2
	v_perm_b32 v39, v18, v19, s3
	v_lshlrev_b32_e32 v18, 3, v47
	v_lshlrev_b32_e32 v19, 5, v49
	;; [unrolled: 1-line block ×3, first 2 shown]
	v_pk_mul_f32 v[20:21], v[36:37], v[20:21] op_sel_hi:[0,1]
	v_or3_b32 v28, v28, v19, v18
	v_bfe_u32 v18, v21, 16, 1
	v_bfe_u32 v29, v20, 16, 1
	v_pk_mul_f32 v[30:31], v[36:37], v[30:31] op_sel_hi:[0,1]
	v_add3_u32 v20, v20, v29, s2
	v_add3_u32 v18, v21, v18, s2
	v_perm_b32 v20, v18, v20, s3
	v_bfe_u32 v18, v31, 16, 1
	v_bfe_u32 v21, v30, 16, 1
	v_add3_u32 v21, v30, v21, s2
	v_add3_u32 v18, v31, v18, s2
	v_pk_mul_f32 v[26:27], v[36:37], v[26:27] op_sel_hi:[0,1]
	v_perm_b32 v21, v18, v21, s3
	v_bfe_u32 v18, v27, 16, 1
	v_bfe_u32 v29, v26, 16, 1
	s_barrier
	ds_write2st64_b64 v28, v[38:39], v[20:21] offset1:1
	v_pk_mul_f32 v[20:21], v[36:37], v[34:35] op_sel_hi:[0,1]
	v_add3_u32 v26, v26, v29, s2
	v_add3_u32 v18, v27, v18, s2
	v_perm_b32 v26, v18, v26, s3
	v_bfe_u32 v18, v21, 16, 1
	v_bfe_u32 v27, v20, 16, 1
	v_add3_u32 v20, v20, v27, s2
	v_add3_u32 v18, v21, v18, s2
	v_pk_mul_f32 v[22:23], v[36:37], v[22:23] op_sel_hi:[0,1]
	v_perm_b32 v27, v18, v20, s3
	v_pk_mul_f32 v[20:21], v[36:37], v[24:25] op_sel_hi:[0,1]
	v_bfe_u32 v18, v23, 16, 1
	v_bfe_u32 v24, v22, 16, 1
	v_add3_u32 v22, v22, v24, s2
	v_add3_u32 v18, v23, v18, s2
	v_perm_b32 v22, v18, v22, s3
	v_bfe_u32 v18, v21, 16, 1
	v_bfe_u32 v23, v20, 16, 1
	v_add3_u32 v20, v20, v23, s2
	v_add3_u32 v18, v21, v18, s2
	v_perm_b32 v23, v18, v20, s3
	v_cmp_gt_u32_e32 vcc, 3, v0
	ds_write2st64_b64 v28, v[26:27], v[22:23] offset0:2 offset1:3
	s_and_saveexec_b64 s[2:3], vcc
	s_cbranch_execz .LBB864_399
; %bb.398:
	v_add_co_u32_e32 v22, vcc, s25, v49
	v_addc_co_u32_e64 v23, s[14:15], 0, 0, vcc
	v_mov_b32_e32 v18, s12
	v_mov_b32_e32 v21, 0
	v_mad_u64_u32 v[22:23], s[14:15], s6, v18, v[22:23]
	v_mov_b32_e32 v20, s24
	s_load_dwordx4 s[8:11], s[4:5], 0x58
	s_mul_i32 s7, s7, s12
	v_mad_u64_u32 v[20:21], s[14:15], v22, s44, v[20:21]
	v_add_u32_e32 v23, s7, v23
	v_mov_b32_e32 v18, v21
	v_mad_u64_u32 v[22:23], s[14:15], v23, s44, v[18:19]
	v_mov_b32_e32 v21, v22
	v_lshlrev_b64 v[20:21], 2, v[20:21]
	s_waitcnt lgkmcnt(0)
	v_mov_b32_e32 v18, s11
	v_add_co_u32_e32 v22, vcc, s10, v20
	v_addc_co_u32_e32 v23, vcc, v18, v21, vcc
	v_mov_b32_e32 v18, s9
	v_add_co_u32_e32 v20, vcc, s8, v20
	v_addc_co_u32_e32 v21, vcc, v18, v21, vcc
	global_store_dword v[22:23], v32, off
	global_store_dword v[20:21], v33, off
.LBB864_399:
	s_or_b64 exec, exec, s[2:3]
	v_mov_b32_e32 v20, 0
	s_waitcnt vmcnt(3)
	v_cmp_ne_u16_sdwa s[8:9], v14, v20 src0_sel:BYTE_0 src1_sel:DWORD
	v_mov_b32_e32 v21, 0
	s_waitcnt lgkmcnt(0)
	s_barrier
	s_and_saveexec_b64 s[2:3], s[8:9]
	s_cbranch_execz .LBB864_405
; %bb.400:
	s_movk_i32 s7, 0x80
	v_cmp_ne_u16_sdwa s[10:11], v14, s7 src0_sel:BYTE_0 src1_sel:DWORD
	v_mov_b32_e32 v21, 0xffff8000
	s_and_saveexec_b64 s[8:9], s[10:11]
	s_cbranch_execz .LBB864_404
; %bb.401:
	s_movk_i32 s7, 0x7f
	v_and_b32_e32 v18, 0x7f, v14
	v_cmp_ne_u32_e32 vcc, s7, v18
	v_mov_b32_e32 v21, 0x7f80
	s_and_saveexec_b64 s[10:11], vcc
	s_cbranch_execz .LBB864_403
; %bb.402:
	v_and_b32_e32 v21, 7, v14
	v_ffbh_u32_e32 v22, v21
	v_min_u32_e32 v25, 32, v22
	v_subrev_u32_e32 v22, 28, v25
	v_lshlrev_b64 v[22:23], v22, v[14:15]
	v_lshrrev_b32_e32 v24, 3, v18
	v_sub_u32_e32 v23, 29, v25
	v_and_b32_e32 v22, 7, v22
	v_cmp_gt_u32_e32 vcc, 8, v18
	v_cndmask_b32_e32 v18, v24, v23, vcc
	v_cndmask_b32_e32 v21, v21, v22, vcc
	v_lshlrev_b32_e32 v22, 24, v14
	v_bfrev_b32_e32 v23, 60
	v_lshlrev_b32_e32 v21, 20, v21
	v_and_b32_e32 v22, 0x80000000, v22
	v_lshl_add_u32 v18, v18, 23, v23
	v_or3_b32 v18, v22, v18, v21
	v_lshrrev_b32_e32 v21, 16, v18
.LBB864_403:
	s_or_b64 exec, exec, s[10:11]
.LBB864_404:
	s_or_b64 exec, exec, s[8:9]
.LBB864_405:
	s_or_b64 exec, exec, s[2:3]
	v_lshrrev_b16_e32 v18, 8, v14
	v_cmp_ne_u16_e32 vcc, 0, v18
	s_and_saveexec_b64 s[2:3], vcc
	s_cbranch_execz .LBB864_411
; %bb.406:
	s_movk_i32 s7, 0x80
	v_cmp_ne_u16_e32 vcc, s7, v18
	v_mov_b32_e32 v20, 0xffff8000
	s_and_saveexec_b64 s[8:9], vcc
	s_cbranch_execz .LBB864_410
; %bb.407:
	s_movk_i32 s7, 0x7f
	v_and_b32_e32 v22, 0x7f, v18
	v_cmp_ne_u32_e32 vcc, s7, v22
	v_mov_b32_e32 v20, 0x7f80
	s_and_saveexec_b64 s[10:11], vcc
	s_cbranch_execz .LBB864_409
; %bb.408:
	v_and_b32_e32 v20, 7, v18
	v_ffbh_u32_e32 v24, v20
	v_min_u32_e32 v26, 32, v24
	v_subrev_u32_e32 v24, 28, v26
	v_lshlrev_b64 v[24:25], v24, v[18:19]
	v_lshrrev_b32_e32 v23, 3, v22
	v_sub_u32_e32 v18, 29, v26
	v_and_b32_e32 v24, 7, v24
	v_cmp_gt_u32_e32 vcc, 8, v22
	v_cndmask_b32_e32 v18, v23, v18, vcc
	v_cndmask_b32_e32 v20, v20, v24, vcc
	v_lshlrev_b32_e32 v22, 16, v14
	v_bfrev_b32_e32 v23, 60
	v_lshlrev_b32_e32 v20, 20, v20
	v_and_b32_e32 v22, 0x80000000, v22
	v_lshl_add_u32 v18, v18, 23, v23
	v_or3_b32 v18, v22, v18, v20
	v_lshrrev_b32_e32 v20, 16, v18
.LBB864_409:
	s_or_b64 exec, exec, s[10:11]
.LBB864_410:
	s_or_b64 exec, exec, s[8:9]
.LBB864_411:
	s_or_b64 exec, exec, s[2:3]
	s_movk_i32 s2, 0xff
	v_and_b32_sdwa v24, v14, s2 dst_sel:DWORD dst_unused:UNUSED_PAD src0_sel:WORD_1 src1_sel:DWORD
	v_lshrrev_b32_e32 v18, 16, v14
	v_cmp_ne_u16_e32 vcc, 0, v24
	v_mov_b32_e32 v22, 0
	v_mov_b32_e32 v23, 0
	s_and_saveexec_b64 s[2:3], vcc
	s_cbranch_execz .LBB864_417
; %bb.412:
	s_movk_i32 s7, 0x80
	v_cmp_ne_u16_e32 vcc, s7, v24
	v_mov_b32_e32 v23, 0xffff8000
	s_and_saveexec_b64 s[8:9], vcc
	s_cbranch_execz .LBB864_416
; %bb.413:
	v_bfe_u32 v24, v14, 16, 7
	s_movk_i32 s7, 0x7f
	v_cmp_ne_u32_e32 vcc, s7, v24
	v_mov_b32_e32 v23, 0x7f80
	s_and_saveexec_b64 s[10:11], vcc
	s_cbranch_execz .LBB864_415
; %bb.414:
	v_and_b32_e32 v23, 7, v18
	v_ffbh_u32_e32 v26, v23
	v_min_u32_e32 v29, 32, v26
	v_subrev_u32_e32 v26, 28, v29
	v_lshlrev_b64 v[26:27], v26, v[18:19]
	v_lshrrev_b32_e32 v25, 3, v24
	v_sub_u32_e32 v18, 29, v29
	v_and_b32_e32 v26, 7, v26
	v_cmp_gt_u32_e32 vcc, 8, v24
	v_mov_b32_e32 v24, 24
	v_cndmask_b32_e32 v18, v25, v18, vcc
	v_cndmask_b32_e32 v23, v23, v26, vcc
	v_lshlrev_b32_sdwa v24, v24, v14 dst_sel:DWORD dst_unused:UNUSED_PAD src0_sel:DWORD src1_sel:WORD_1
	v_bfrev_b32_e32 v25, 60
	v_lshlrev_b32_e32 v23, 20, v23
	v_and_b32_e32 v24, 0x80000000, v24
	v_lshl_add_u32 v18, v18, 23, v25
	v_or3_b32 v18, v24, v18, v23
	v_lshrrev_b32_e32 v23, 16, v18
.LBB864_415:
	s_or_b64 exec, exec, s[10:11]
.LBB864_416:
	s_or_b64 exec, exec, s[8:9]
.LBB864_417:
	s_or_b64 exec, exec, s[2:3]
	s_mov_b32 s2, 0xffffff
	v_cmp_lt_u32_e32 vcc, s2, v14
	s_and_saveexec_b64 s[2:3], vcc
	s_cbranch_execz .LBB864_423
; %bb.418:
	v_lshrrev_b32_e32 v18, 24, v14
	s_movk_i32 s7, 0x80
	v_cmp_ne_u32_e32 vcc, s7, v18
	v_mov_b32_e32 v22, 0xffff8000
	s_and_saveexec_b64 s[8:9], vcc
	s_cbranch_execz .LBB864_422
; %bb.419:
	v_bfe_u32 v14, v14, 24, 7
	s_movk_i32 s7, 0x7f
	v_cmp_ne_u32_e32 vcc, s7, v14
	v_mov_b32_e32 v22, 0x7f80
	s_and_saveexec_b64 s[10:11], vcc
	s_cbranch_execz .LBB864_421
; %bb.420:
	v_and_b32_e32 v22, 7, v18
	v_ffbh_u32_e32 v24, v22
	v_min_u32_e32 v27, 32, v24
	v_subrev_u32_e32 v24, 28, v27
	v_lshlrev_b64 v[24:25], v24, v[18:19]
	v_lshrrev_b32_e32 v26, 3, v14
	v_sub_u32_e32 v25, 29, v27
	v_and_b32_e32 v24, 7, v24
	v_cmp_gt_u32_e32 vcc, 8, v14
	v_cndmask_b32_e32 v14, v26, v25, vcc
	v_cndmask_b32_e32 v22, v22, v24, vcc
	v_lshlrev_b32_e32 v18, 24, v18
	v_bfrev_b32_e32 v24, 60
	v_lshlrev_b32_e32 v22, 20, v22
	v_and_b32_e32 v18, 0x80000000, v18
	v_lshl_add_u32 v14, v14, 23, v24
	v_or3_b32 v14, v18, v14, v22
	v_lshrrev_b32_e32 v22, 16, v14
.LBB864_421:
	s_or_b64 exec, exec, s[10:11]
.LBB864_422:
	s_or_b64 exec, exec, s[8:9]
.LBB864_423:
	s_or_b64 exec, exec, s[2:3]
	v_mov_b32_e32 v18, 0
	v_cmp_ne_u16_sdwa s[8:9], v15, v18 src0_sel:BYTE_0 src1_sel:DWORD
	v_mov_b32_e32 v24, 0
	s_and_saveexec_b64 s[2:3], s[8:9]
	s_cbranch_execz .LBB864_429
; %bb.424:
	s_movk_i32 s7, 0x80
	v_cmp_ne_u16_sdwa s[10:11], v15, s7 src0_sel:BYTE_0 src1_sel:DWORD
	v_mov_b32_e32 v24, 0xffff8000
	s_and_saveexec_b64 s[8:9], s[10:11]
	s_cbranch_execz .LBB864_428
; %bb.425:
	s_movk_i32 s7, 0x7f
	v_and_b32_e32 v14, 0x7f, v15
	v_cmp_ne_u32_e32 vcc, s7, v14
	v_mov_b32_e32 v24, 0x7f80
	s_and_saveexec_b64 s[10:11], vcc
	s_cbranch_execz .LBB864_427
; %bb.426:
	v_and_b32_e32 v26, 7, v15
	v_ffbh_u32_e32 v25, v26
	v_min_u32_e32 v29, 32, v25
	v_mov_b32_e32 v24, v15
	v_subrev_u32_e32 v25, 28, v29
	v_lshlrev_b64 v[24:25], v25, v[24:25]
	v_lshrrev_b32_e32 v27, 3, v14
	v_sub_u32_e32 v25, 29, v29
	v_and_b32_e32 v24, 7, v24
	v_cmp_gt_u32_e32 vcc, 8, v14
	v_cndmask_b32_e32 v14, v27, v25, vcc
	v_cndmask_b32_e32 v24, v26, v24, vcc
	v_lshlrev_b32_e32 v25, 24, v15
	v_bfrev_b32_e32 v26, 60
	v_lshlrev_b32_e32 v24, 20, v24
	v_and_b32_e32 v25, 0x80000000, v25
	v_lshl_add_u32 v14, v14, 23, v26
	v_or3_b32 v14, v25, v14, v24
	v_lshrrev_b32_e32 v24, 16, v14
.LBB864_427:
	s_or_b64 exec, exec, s[10:11]
.LBB864_428:
	s_or_b64 exec, exec, s[8:9]
.LBB864_429:
	s_or_b64 exec, exec, s[2:3]
	v_lshrrev_b16_e32 v14, 8, v15
	v_cmp_ne_u16_e32 vcc, 0, v14
	s_and_saveexec_b64 s[2:3], vcc
	s_cbranch_execz .LBB864_435
; %bb.430:
	s_movk_i32 s7, 0x80
	v_cmp_ne_u16_e32 vcc, s7, v14
	v_mov_b32_e32 v18, 0xffff8000
	s_and_saveexec_b64 s[8:9], vcc
	s_cbranch_execz .LBB864_434
; %bb.431:
	s_movk_i32 s7, 0x7f
	v_and_b32_e32 v25, 0x7f, v14
	v_cmp_ne_u32_e32 vcc, s7, v25
	v_mov_b32_e32 v18, 0x7f80
	s_and_saveexec_b64 s[10:11], vcc
	s_cbranch_execz .LBB864_433
; %bb.432:
	v_and_b32_e32 v18, 7, v14
	v_ffbh_u32_e32 v26, v18
	v_min_u32_e32 v30, 32, v26
	v_subrev_u32_e32 v26, 28, v30
	v_lshlrev_b64 v[26:27], v26, v[14:15]
	v_lshrrev_b32_e32 v29, 3, v25
	v_sub_u32_e32 v14, 29, v30
	v_and_b32_e32 v26, 7, v26
	v_cmp_gt_u32_e32 vcc, 8, v25
	v_cndmask_b32_e32 v14, v29, v14, vcc
	v_cndmask_b32_e32 v18, v18, v26, vcc
	v_lshlrev_b32_e32 v25, 16, v15
	v_bfrev_b32_e32 v26, 60
	v_lshlrev_b32_e32 v18, 20, v18
	v_and_b32_e32 v25, 0x80000000, v25
	v_lshl_add_u32 v14, v14, 23, v26
	v_or3_b32 v14, v25, v14, v18
	v_lshrrev_b32_e32 v18, 16, v14
.LBB864_433:
	s_or_b64 exec, exec, s[10:11]
.LBB864_434:
	s_or_b64 exec, exec, s[8:9]
.LBB864_435:
	s_or_b64 exec, exec, s[2:3]
	s_movk_i32 s2, 0xff
	v_and_b32_sdwa v27, v15, s2 dst_sel:DWORD dst_unused:UNUSED_PAD src0_sel:WORD_1 src1_sel:DWORD
	v_lshrrev_b32_e32 v14, 16, v15
	v_cmp_ne_u16_e32 vcc, 0, v27
	v_mov_b32_e32 v25, 0
	v_mov_b32_e32 v26, 0
	s_and_saveexec_b64 s[2:3], vcc
	s_cbranch_execz .LBB864_441
; %bb.436:
	s_movk_i32 s7, 0x80
	v_cmp_ne_u16_e32 vcc, s7, v27
	v_mov_b32_e32 v26, 0xffff8000
	s_and_saveexec_b64 s[8:9], vcc
	s_cbranch_execz .LBB864_440
; %bb.437:
	v_bfe_u32 v27, v15, 16, 7
	s_movk_i32 s7, 0x7f
	v_cmp_ne_u32_e32 vcc, s7, v27
	v_mov_b32_e32 v26, 0x7f80
	s_and_saveexec_b64 s[10:11], vcc
	s_cbranch_execz .LBB864_439
; %bb.438:
	v_and_b32_e32 v26, 7, v14
	v_ffbh_u32_e32 v30, v26
	v_min_u32_e32 v32, 32, v30
	v_subrev_u32_e32 v30, 28, v32
	v_lshlrev_b64 v[30:31], v30, v[14:15]
	v_lshrrev_b32_e32 v29, 3, v27
	v_sub_u32_e32 v14, 29, v32
	v_and_b32_e32 v30, 7, v30
	v_cmp_gt_u32_e32 vcc, 8, v27
	v_mov_b32_e32 v27, 24
	v_cndmask_b32_e32 v14, v29, v14, vcc
	v_cndmask_b32_e32 v26, v26, v30, vcc
	v_lshlrev_b32_sdwa v27, v27, v15 dst_sel:DWORD dst_unused:UNUSED_PAD src0_sel:DWORD src1_sel:WORD_1
	v_bfrev_b32_e32 v29, 60
	v_lshlrev_b32_e32 v26, 20, v26
	v_and_b32_e32 v27, 0x80000000, v27
	v_lshl_add_u32 v14, v14, 23, v29
	v_or3_b32 v14, v27, v14, v26
	v_lshrrev_b32_e32 v26, 16, v14
.LBB864_439:
	s_or_b64 exec, exec, s[10:11]
.LBB864_440:
	s_or_b64 exec, exec, s[8:9]
.LBB864_441:
	s_or_b64 exec, exec, s[2:3]
	s_mov_b32 s2, 0xffffff
	v_cmp_lt_u32_e32 vcc, s2, v15
	s_and_saveexec_b64 s[2:3], vcc
	s_cbranch_execz .LBB864_447
; %bb.442:
	v_lshrrev_b32_e32 v14, 24, v15
	s_movk_i32 s7, 0x80
	v_cmp_ne_u32_e32 vcc, s7, v14
	v_mov_b32_e32 v25, 0xffff8000
	s_and_saveexec_b64 s[8:9], vcc
	s_cbranch_execz .LBB864_446
; %bb.443:
	v_bfe_u32 v15, v15, 24, 7
	s_movk_i32 s7, 0x7f
	v_cmp_ne_u32_e32 vcc, s7, v15
	v_mov_b32_e32 v25, 0x7f80
	s_and_saveexec_b64 s[10:11], vcc
	s_cbranch_execz .LBB864_445
; %bb.444:
	v_and_b32_e32 v25, 7, v14
	v_ffbh_u32_e32 v29, v25
	v_min_u32_e32 v29, 32, v29
	v_subrev_u32_e32 v30, 28, v29
	v_lshlrev_b64 v[30:31], v30, v[14:15]
	v_lshrrev_b32_e32 v27, 3, v15
	v_sub_u32_e32 v29, 29, v29
	v_and_b32_e32 v30, 7, v30
	v_cmp_gt_u32_e32 vcc, 8, v15
	v_cndmask_b32_e32 v15, v27, v29, vcc
	v_cndmask_b32_e32 v25, v25, v30, vcc
	v_lshlrev_b32_e32 v14, 24, v14
	v_bfrev_b32_e32 v27, 60
	v_lshlrev_b32_e32 v25, 20, v25
	v_and_b32_e32 v14, 0x80000000, v14
	v_lshl_add_u32 v15, v15, 23, v27
	v_or3_b32 v14, v14, v15, v25
	v_lshrrev_b32_e32 v25, 16, v14
.LBB864_445:
	s_or_b64 exec, exec, s[10:11]
.LBB864_446:
	s_or_b64 exec, exec, s[8:9]
.LBB864_447:
	s_or_b64 exec, exec, s[2:3]
	s_mov_b32 s2, 0x5040100
	v_perm_b32 v15, v22, v23, s2
	v_lshl_or_b32 v22, v47, 9, v19
	v_perm_b32 v14, v20, v21, s2
	ds_read_b128 v[30:33], v22
	v_perm_b32 v19, v25, v26, s2
	v_perm_b32 v18, v18, v24, s2
	s_waitcnt lgkmcnt(0)
	v_mfma_f32_16x16x16bf16_1k v[34:37], v[14:15], v[30:31], 0
	v_mov_b32_e32 v15, 0
	v_cmp_ne_u16_sdwa s[8:9], v16, v15 src0_sel:BYTE_0 src1_sel:DWORD
	v_mov_b32_e32 v23, 0
	v_mfma_f32_16x16x16bf16_1k v[18:21], v[18:19], v[32:33], v[34:37]
	s_and_saveexec_b64 s[2:3], s[8:9]
	s_cbranch_execz .LBB864_453
; %bb.448:
	s_movk_i32 s7, 0x80
	v_cmp_ne_u16_sdwa s[10:11], v16, s7 src0_sel:BYTE_0 src1_sel:DWORD
	v_mov_b32_e32 v23, 0xffff8000
	s_and_saveexec_b64 s[8:9], s[10:11]
	s_cbranch_execz .LBB864_452
; %bb.449:
	s_movk_i32 s7, 0x7f
	v_and_b32_e32 v14, 0x7f, v16
	v_cmp_ne_u32_e32 vcc, s7, v14
	v_mov_b32_e32 v23, 0x7f80
	s_and_saveexec_b64 s[10:11], vcc
	s_cbranch_execz .LBB864_451
; %bb.450:
	v_and_b32_e32 v23, 7, v16
	v_ffbh_u32_e32 v24, v23
	v_min_u32_e32 v27, 32, v24
	v_subrev_u32_e32 v24, 28, v27
	v_lshlrev_b64 v[24:25], v24, v[16:17]
	v_lshrrev_b32_e32 v26, 3, v14
	v_sub_u32_e32 v25, 29, v27
	v_and_b32_e32 v24, 7, v24
	v_cmp_gt_u32_e32 vcc, 8, v14
	v_cndmask_b32_e32 v14, v26, v25, vcc
	v_cndmask_b32_e32 v23, v23, v24, vcc
	v_lshlrev_b32_e32 v24, 24, v16
	v_bfrev_b32_e32 v25, 60
	v_lshlrev_b32_e32 v23, 20, v23
	v_and_b32_e32 v24, 0x80000000, v24
	v_lshl_add_u32 v14, v14, 23, v25
	v_or3_b32 v14, v24, v14, v23
	v_lshrrev_b32_e32 v23, 16, v14
.LBB864_451:
	s_or_b64 exec, exec, s[10:11]
.LBB864_452:
	s_or_b64 exec, exec, s[8:9]
.LBB864_453:
	s_or_b64 exec, exec, s[2:3]
	v_lshrrev_b16_e32 v14, 8, v16
	v_cmp_ne_u16_e32 vcc, 0, v14
	s_and_saveexec_b64 s[2:3], vcc
	s_cbranch_execz .LBB864_459
; %bb.454:
	s_movk_i32 s7, 0x80
	v_cmp_ne_u16_e32 vcc, s7, v14
	v_mov_b32_e32 v15, 0xffff8000
	s_and_saveexec_b64 s[8:9], vcc
	s_cbranch_execz .LBB864_458
; %bb.455:
	s_movk_i32 s7, 0x7f
	v_and_b32_e32 v24, 0x7f, v14
	v_cmp_ne_u32_e32 vcc, s7, v24
	v_mov_b32_e32 v15, 0x7f80
	s_and_saveexec_b64 s[10:11], vcc
	s_cbranch_execz .LBB864_457
; %bb.456:
	v_and_b32_e32 v25, 7, v14
	v_ffbh_u32_e32 v15, v25
	v_min_u32_e32 v27, 32, v15
	v_subrev_u32_e32 v15, 28, v27
	v_lshlrev_b64 v[14:15], v15, v[14:15]
	v_lshrrev_b32_e32 v26, 3, v24
	v_sub_u32_e32 v15, 29, v27
	v_and_b32_e32 v14, 7, v14
	v_cmp_gt_u32_e32 vcc, 8, v24
	v_cndmask_b32_e32 v15, v26, v15, vcc
	v_cndmask_b32_e32 v14, v25, v14, vcc
	v_lshlrev_b32_e32 v24, 16, v16
	v_bfrev_b32_e32 v25, 60
	v_lshlrev_b32_e32 v14, 20, v14
	v_and_b32_e32 v24, 0x80000000, v24
	v_lshl_add_u32 v15, v15, 23, v25
	v_or3_b32 v14, v24, v15, v14
	v_lshrrev_b32_e32 v15, 16, v14
.LBB864_457:
	s_or_b64 exec, exec, s[10:11]
.LBB864_458:
	s_or_b64 exec, exec, s[8:9]
.LBB864_459:
	s_or_b64 exec, exec, s[2:3]
	s_movk_i32 s2, 0xff
	v_and_b32_sdwa v26, v16, s2 dst_sel:DWORD dst_unused:UNUSED_PAD src0_sel:WORD_1 src1_sel:DWORD
	v_lshrrev_b32_e32 v14, 16, v16
	v_cmp_ne_u16_e32 vcc, 0, v26
	v_mov_b32_e32 v24, 0
	v_mov_b32_e32 v25, 0
	s_and_saveexec_b64 s[2:3], vcc
	s_cbranch_execz .LBB864_465
; %bb.460:
	s_movk_i32 s7, 0x80
	v_cmp_ne_u16_e32 vcc, s7, v26
	v_mov_b32_e32 v25, 0xffff8000
	s_and_saveexec_b64 s[8:9], vcc
	s_cbranch_execz .LBB864_464
; %bb.461:
	v_bfe_u32 v26, v16, 16, 7
	s_movk_i32 s7, 0x7f
	v_cmp_ne_u32_e32 vcc, s7, v26
	v_mov_b32_e32 v25, 0x7f80
	s_and_saveexec_b64 s[10:11], vcc
	s_cbranch_execz .LBB864_463
; %bb.462:
	v_and_b32_e32 v25, 7, v14
	v_ffbh_u32_e32 v29, v25
	v_min_u32_e32 v29, 32, v29
	v_subrev_u32_e32 v30, 28, v29
	v_lshlrev_b64 v[30:31], v30, v[14:15]
	v_lshrrev_b32_e32 v27, 3, v26
	v_sub_u32_e32 v14, 29, v29
	v_and_b32_e32 v29, 7, v30
	v_cmp_gt_u32_e32 vcc, 8, v26
	v_mov_b32_e32 v26, 24
	v_cndmask_b32_e32 v14, v27, v14, vcc
	v_cndmask_b32_e32 v25, v25, v29, vcc
	v_lshlrev_b32_sdwa v26, v26, v16 dst_sel:DWORD dst_unused:UNUSED_PAD src0_sel:DWORD src1_sel:WORD_1
	v_bfrev_b32_e32 v27, 60
	v_lshlrev_b32_e32 v25, 20, v25
	v_and_b32_e32 v26, 0x80000000, v26
	v_lshl_add_u32 v14, v14, 23, v27
	v_or3_b32 v14, v26, v14, v25
	v_lshrrev_b32_e32 v25, 16, v14
.LBB864_463:
	s_or_b64 exec, exec, s[10:11]
.LBB864_464:
	s_or_b64 exec, exec, s[8:9]
.LBB864_465:
	s_or_b64 exec, exec, s[2:3]
	s_mov_b32 s2, 0xffffff
	v_cmp_lt_u32_e32 vcc, s2, v16
	s_and_saveexec_b64 s[2:3], vcc
	s_cbranch_execz .LBB864_471
; %bb.466:
	v_lshrrev_b32_e32 v14, 24, v16
	s_movk_i32 s7, 0x80
	v_cmp_ne_u32_e32 vcc, s7, v14
	v_mov_b32_e32 v24, 0xffff8000
	s_and_saveexec_b64 s[8:9], vcc
	s_cbranch_execz .LBB864_470
; %bb.467:
	v_bfe_u32 v16, v16, 24, 7
	s_movk_i32 s7, 0x7f
	v_cmp_ne_u32_e32 vcc, s7, v16
	v_mov_b32_e32 v24, 0x7f80
	s_and_saveexec_b64 s[10:11], vcc
	s_cbranch_execz .LBB864_469
; %bb.468:
	v_and_b32_e32 v24, 7, v14
	v_ffbh_u32_e32 v26, v24
	v_min_u32_e32 v30, 32, v26
	v_subrev_u32_e32 v26, 28, v30
	v_lshlrev_b64 v[26:27], v26, v[14:15]
	v_lshrrev_b32_e32 v29, 3, v16
	v_sub_u32_e32 v27, 29, v30
	v_and_b32_e32 v26, 7, v26
	v_cmp_gt_u32_e32 vcc, 8, v16
	v_cndmask_b32_e32 v16, v29, v27, vcc
	v_cndmask_b32_e32 v24, v24, v26, vcc
	v_lshlrev_b32_e32 v14, 24, v14
	v_bfrev_b32_e32 v26, 60
	v_lshlrev_b32_e32 v24, 20, v24
	v_and_b32_e32 v14, 0x80000000, v14
	v_lshl_add_u32 v16, v16, 23, v26
	v_or3_b32 v14, v14, v16, v24
	v_lshrrev_b32_e32 v24, 16, v14
.LBB864_469:
	s_or_b64 exec, exec, s[10:11]
.LBB864_470:
	s_or_b64 exec, exec, s[8:9]
.LBB864_471:
	s_or_b64 exec, exec, s[2:3]
	v_mov_b32_e32 v16, 0
	v_cmp_ne_u16_sdwa s[8:9], v17, v16 src0_sel:BYTE_0 src1_sel:DWORD
	v_mov_b32_e32 v26, 0
	s_and_saveexec_b64 s[2:3], s[8:9]
	s_cbranch_execz .LBB864_477
; %bb.472:
	s_movk_i32 s7, 0x80
	v_cmp_ne_u16_sdwa s[10:11], v17, s7 src0_sel:BYTE_0 src1_sel:DWORD
	v_mov_b32_e32 v26, 0xffff8000
	s_and_saveexec_b64 s[8:9], s[10:11]
	s_cbranch_execz .LBB864_476
; %bb.473:
	s_movk_i32 s7, 0x7f
	v_and_b32_e32 v14, 0x7f, v17
	v_cmp_ne_u32_e32 vcc, s7, v14
	v_mov_b32_e32 v26, 0x7f80
	s_and_saveexec_b64 s[10:11], vcc
	s_cbranch_execz .LBB864_475
; %bb.474:
	v_and_b32_e32 v29, 7, v17
	v_ffbh_u32_e32 v27, v29
	v_min_u32_e32 v31, 32, v27
	v_mov_b32_e32 v26, v17
	v_subrev_u32_e32 v27, 28, v31
	v_lshlrev_b64 v[26:27], v27, v[26:27]
	v_lshrrev_b32_e32 v30, 3, v14
	v_sub_u32_e32 v27, 29, v31
	v_and_b32_e32 v26, 7, v26
	v_cmp_gt_u32_e32 vcc, 8, v14
	v_cndmask_b32_e32 v14, v30, v27, vcc
	v_cndmask_b32_e32 v26, v29, v26, vcc
	v_lshlrev_b32_e32 v27, 24, v17
	v_bfrev_b32_e32 v29, 60
	v_lshlrev_b32_e32 v26, 20, v26
	v_and_b32_e32 v27, 0x80000000, v27
	v_lshl_add_u32 v14, v14, 23, v29
	v_or3_b32 v14, v27, v14, v26
	v_lshrrev_b32_e32 v26, 16, v14
.LBB864_475:
	s_or_b64 exec, exec, s[10:11]
.LBB864_476:
	s_or_b64 exec, exec, s[8:9]
.LBB864_477:
	s_or_b64 exec, exec, s[2:3]
	v_lshrrev_b16_e32 v14, 8, v17
	v_cmp_ne_u16_e32 vcc, 0, v14
	s_and_saveexec_b64 s[2:3], vcc
	s_cbranch_execz .LBB864_483
; %bb.478:
	s_movk_i32 s7, 0x80
	v_cmp_ne_u16_e32 vcc, s7, v14
	v_mov_b32_e32 v16, 0xffff8000
	s_and_saveexec_b64 s[8:9], vcc
	s_cbranch_execz .LBB864_482
; %bb.479:
	s_movk_i32 s7, 0x7f
	v_and_b32_e32 v27, 0x7f, v14
	v_cmp_ne_u32_e32 vcc, s7, v27
	v_mov_b32_e32 v16, 0x7f80
	s_and_saveexec_b64 s[10:11], vcc
	s_cbranch_execz .LBB864_481
; %bb.480:
	v_and_b32_e32 v16, 7, v14
	v_ffbh_u32_e32 v30, v16
	v_min_u32_e32 v32, 32, v30
	v_subrev_u32_e32 v30, 28, v32
	v_lshlrev_b64 v[30:31], v30, v[14:15]
	v_lshrrev_b32_e32 v29, 3, v27
	v_sub_u32_e32 v14, 29, v32
	v_and_b32_e32 v30, 7, v30
	v_cmp_gt_u32_e32 vcc, 8, v27
	v_cndmask_b32_e32 v14, v29, v14, vcc
	v_cndmask_b32_e32 v16, v16, v30, vcc
	v_lshlrev_b32_e32 v27, 16, v17
	v_bfrev_b32_e32 v29, 60
	v_lshlrev_b32_e32 v16, 20, v16
	v_and_b32_e32 v27, 0x80000000, v27
	v_lshl_add_u32 v14, v14, 23, v29
	v_or3_b32 v14, v27, v14, v16
	v_lshrrev_b32_e32 v16, 16, v14
.LBB864_481:
	s_or_b64 exec, exec, s[10:11]
.LBB864_482:
	s_or_b64 exec, exec, s[8:9]
.LBB864_483:
	s_or_b64 exec, exec, s[2:3]
	s_movk_i32 s2, 0xff
	v_and_b32_sdwa v30, v17, s2 dst_sel:DWORD dst_unused:UNUSED_PAD src0_sel:WORD_1 src1_sel:DWORD
	v_lshrrev_b32_e32 v14, 16, v17
	v_cmp_ne_u16_e32 vcc, 0, v30
	v_mov_b32_e32 v27, 0
	v_mov_b32_e32 v29, 0
	s_and_saveexec_b64 s[2:3], vcc
	s_cbranch_execz .LBB864_489
; %bb.484:
	s_movk_i32 s7, 0x80
	v_cmp_ne_u16_e32 vcc, s7, v30
	v_mov_b32_e32 v29, 0xffff8000
	s_and_saveexec_b64 s[8:9], vcc
	s_cbranch_execz .LBB864_488
; %bb.485:
	v_bfe_u32 v30, v17, 16, 7
	s_movk_i32 s7, 0x7f
	v_cmp_ne_u32_e32 vcc, s7, v30
	v_mov_b32_e32 v29, 0x7f80
	s_and_saveexec_b64 s[10:11], vcc
	s_cbranch_execz .LBB864_487
; %bb.486:
	v_and_b32_e32 v29, 7, v14
	v_ffbh_u32_e32 v32, v29
	v_min_u32_e32 v34, 32, v32
	v_subrev_u32_e32 v32, 28, v34
	v_lshlrev_b64 v[32:33], v32, v[14:15]
	v_lshrrev_b32_e32 v31, 3, v30
	v_sub_u32_e32 v14, 29, v34
	v_and_b32_e32 v32, 7, v32
	v_cmp_gt_u32_e32 vcc, 8, v30
	v_mov_b32_e32 v30, 24
	v_cndmask_b32_e32 v14, v31, v14, vcc
	v_cndmask_b32_e32 v29, v29, v32, vcc
	v_lshlrev_b32_sdwa v30, v30, v17 dst_sel:DWORD dst_unused:UNUSED_PAD src0_sel:DWORD src1_sel:WORD_1
	v_bfrev_b32_e32 v31, 60
	v_lshlrev_b32_e32 v29, 20, v29
	v_and_b32_e32 v30, 0x80000000, v30
	v_lshl_add_u32 v14, v14, 23, v31
	v_or3_b32 v14, v30, v14, v29
	v_lshrrev_b32_e32 v29, 16, v14
.LBB864_487:
	s_or_b64 exec, exec, s[10:11]
.LBB864_488:
	s_or_b64 exec, exec, s[8:9]
.LBB864_489:
	s_or_b64 exec, exec, s[2:3]
	s_mov_b32 s2, 0xffffff
	v_cmp_lt_u32_e32 vcc, s2, v17
	s_and_saveexec_b64 s[2:3], vcc
	s_cbranch_execz .LBB864_495
; %bb.490:
	v_lshrrev_b32_e32 v14, 24, v17
	s_movk_i32 s7, 0x80
	v_cmp_ne_u32_e32 vcc, s7, v14
	v_mov_b32_e32 v27, 0xffff8000
	s_and_saveexec_b64 s[8:9], vcc
	s_cbranch_execz .LBB864_494
; %bb.491:
	v_bfe_u32 v17, v17, 24, 7
	s_movk_i32 s7, 0x7f
	v_cmp_ne_u32_e32 vcc, s7, v17
	v_mov_b32_e32 v27, 0x7f80
	s_and_saveexec_b64 s[10:11], vcc
	s_cbranch_execz .LBB864_493
; %bb.492:
	v_and_b32_e32 v27, 7, v14
	v_ffbh_u32_e32 v30, v27
	v_min_u32_e32 v33, 32, v30
	v_subrev_u32_e32 v30, 28, v33
	v_lshlrev_b64 v[30:31], v30, v[14:15]
	v_lshrrev_b32_e32 v32, 3, v17
	v_sub_u32_e32 v31, 29, v33
	v_and_b32_e32 v30, 7, v30
	v_cmp_gt_u32_e32 vcc, 8, v17
	v_cndmask_b32_e32 v17, v32, v31, vcc
	v_cndmask_b32_e32 v27, v27, v30, vcc
	v_lshlrev_b32_e32 v14, 24, v14
	v_bfrev_b32_e32 v30, 60
	v_lshlrev_b32_e32 v27, 20, v27
	v_and_b32_e32 v14, 0x80000000, v14
	v_lshl_add_u32 v17, v17, 23, v30
	v_or3_b32 v14, v14, v17, v27
	v_lshrrev_b32_e32 v27, 16, v14
.LBB864_493:
	s_or_b64 exec, exec, s[10:11]
.LBB864_494:
	s_or_b64 exec, exec, s[8:9]
.LBB864_495:
	s_or_b64 exec, exec, s[2:3]
	s_mov_b32 s2, 0x5040100
	v_perm_b32 v25, v24, v25, s2
	v_perm_b32 v24, v15, v23, s2
	ds_read_b128 v[30:33], v22 offset:16
	v_perm_b32 v15, v27, v29, s2
	v_perm_b32 v14, v16, v26, s2
	s_waitcnt lgkmcnt(0)
	v_mfma_f32_16x16x16bf16_1k v[34:37], v[24:25], v[30:31], v[18:21]
	s_nop 6
	v_mov_b32_e32 v19, 0
	s_waitcnt vmcnt(2)
	v_cmp_ne_u16_sdwa s[8:9], v10, v19 src0_sel:BYTE_0 src1_sel:DWORD
	v_mfma_f32_16x16x16bf16_1k v[14:17], v[14:15], v[32:33], v[34:37]
	v_mov_b32_e32 v20, 0
	s_and_saveexec_b64 s[2:3], s[8:9]
	s_cbranch_execz .LBB864_501
; %bb.496:
	s_movk_i32 s7, 0x80
	v_cmp_ne_u16_sdwa s[10:11], v10, s7 src0_sel:BYTE_0 src1_sel:DWORD
	v_mov_b32_e32 v20, 0xffff8000
	s_and_saveexec_b64 s[8:9], s[10:11]
	s_cbranch_execz .LBB864_500
; %bb.497:
	s_movk_i32 s7, 0x7f
	v_and_b32_e32 v18, 0x7f, v10
	v_cmp_ne_u32_e32 vcc, s7, v18
	v_mov_b32_e32 v20, 0x7f80
	s_and_saveexec_b64 s[10:11], vcc
	s_cbranch_execz .LBB864_499
; %bb.498:
	v_and_b32_e32 v23, 7, v10
	v_ffbh_u32_e32 v20, v23
	v_min_u32_e32 v25, 32, v20
	v_subrev_u32_e32 v20, 28, v25
	v_lshlrev_b64 v[20:21], v20, v[10:11]
	v_lshrrev_b32_e32 v24, 3, v18
	v_sub_u32_e32 v21, 29, v25
	v_and_b32_e32 v20, 7, v20
	v_cmp_gt_u32_e32 vcc, 8, v18
	v_cndmask_b32_e32 v18, v24, v21, vcc
	v_cndmask_b32_e32 v20, v23, v20, vcc
	v_lshlrev_b32_e32 v21, 24, v10
	v_bfrev_b32_e32 v23, 60
	v_lshlrev_b32_e32 v20, 20, v20
	v_and_b32_e32 v21, 0x80000000, v21
	v_lshl_add_u32 v18, v18, 23, v23
	v_or3_b32 v18, v21, v18, v20
	v_lshrrev_b32_e32 v20, 16, v18
.LBB864_499:
	s_or_b64 exec, exec, s[10:11]
.LBB864_500:
	s_or_b64 exec, exec, s[8:9]
.LBB864_501:
	s_or_b64 exec, exec, s[2:3]
	v_lshrrev_b16_e32 v18, 8, v10
	v_cmp_ne_u16_e32 vcc, 0, v18
	s_and_saveexec_b64 s[2:3], vcc
	s_cbranch_execz .LBB864_507
; %bb.502:
	s_movk_i32 s7, 0x80
	v_cmp_ne_u16_e32 vcc, s7, v18
	v_mov_b32_e32 v19, 0xffff8000
	s_and_saveexec_b64 s[8:9], vcc
	s_cbranch_execz .LBB864_506
; %bb.503:
	s_movk_i32 s7, 0x7f
	v_and_b32_e32 v21, 0x7f, v18
	v_cmp_ne_u32_e32 vcc, s7, v21
	v_mov_b32_e32 v19, 0x7f80
	s_and_saveexec_b64 s[10:11], vcc
	s_cbranch_execz .LBB864_505
; %bb.504:
	v_and_b32_e32 v23, 7, v18
	v_ffbh_u32_e32 v19, v23
	v_min_u32_e32 v25, 32, v19
	v_subrev_u32_e32 v19, 28, v25
	v_lshlrev_b64 v[18:19], v19, v[18:19]
	v_lshrrev_b32_e32 v24, 3, v21
	v_sub_u32_e32 v19, 29, v25
	v_and_b32_e32 v18, 7, v18
	v_cmp_gt_u32_e32 vcc, 8, v21
	v_cndmask_b32_e32 v19, v24, v19, vcc
	v_cndmask_b32_e32 v18, v23, v18, vcc
	v_lshlrev_b32_e32 v21, 16, v10
	v_bfrev_b32_e32 v23, 60
	v_lshlrev_b32_e32 v18, 20, v18
	v_and_b32_e32 v21, 0x80000000, v21
	v_lshl_add_u32 v19, v19, 23, v23
	v_or3_b32 v18, v21, v19, v18
	v_lshrrev_b32_e32 v19, 16, v18
.LBB864_505:
	s_or_b64 exec, exec, s[10:11]
.LBB864_506:
	s_or_b64 exec, exec, s[8:9]
.LBB864_507:
	s_or_b64 exec, exec, s[2:3]
	s_movk_i32 s2, 0xff
	v_and_b32_sdwa v24, v10, s2 dst_sel:DWORD dst_unused:UNUSED_PAD src0_sel:WORD_1 src1_sel:DWORD
	v_lshrrev_b32_e32 v18, 16, v10
	v_cmp_ne_u16_e32 vcc, 0, v24
	v_mov_b32_e32 v21, 0
	v_mov_b32_e32 v23, 0
	s_and_saveexec_b64 s[2:3], vcc
	s_cbranch_execz .LBB864_513
; %bb.508:
	s_movk_i32 s7, 0x80
	v_cmp_ne_u16_e32 vcc, s7, v24
	v_mov_b32_e32 v23, 0xffff8000
	s_and_saveexec_b64 s[8:9], vcc
	s_cbranch_execz .LBB864_512
; %bb.509:
	v_bfe_u32 v24, v10, 16, 7
	s_movk_i32 s7, 0x7f
	v_cmp_ne_u32_e32 vcc, s7, v24
	v_mov_b32_e32 v23, 0x7f80
	s_and_saveexec_b64 s[10:11], vcc
	s_cbranch_execz .LBB864_511
; %bb.510:
	v_and_b32_e32 v23, 7, v18
	v_ffbh_u32_e32 v26, v23
	v_min_u32_e32 v29, 32, v26
	v_subrev_u32_e32 v26, 28, v29
	v_lshlrev_b64 v[26:27], v26, v[18:19]
	v_lshrrev_b32_e32 v25, 3, v24
	v_sub_u32_e32 v18, 29, v29
	v_and_b32_e32 v26, 7, v26
	v_cmp_gt_u32_e32 vcc, 8, v24
	v_mov_b32_e32 v24, 24
	v_cndmask_b32_e32 v18, v25, v18, vcc
	v_cndmask_b32_e32 v23, v23, v26, vcc
	v_lshlrev_b32_sdwa v24, v24, v10 dst_sel:DWORD dst_unused:UNUSED_PAD src0_sel:DWORD src1_sel:WORD_1
	v_bfrev_b32_e32 v25, 60
	v_lshlrev_b32_e32 v23, 20, v23
	v_and_b32_e32 v24, 0x80000000, v24
	v_lshl_add_u32 v18, v18, 23, v25
	v_or3_b32 v18, v24, v18, v23
	v_lshrrev_b32_e32 v23, 16, v18
.LBB864_511:
	s_or_b64 exec, exec, s[10:11]
.LBB864_512:
	s_or_b64 exec, exec, s[8:9]
.LBB864_513:
	s_or_b64 exec, exec, s[2:3]
	s_mov_b32 s2, 0xffffff
	v_cmp_lt_u32_e32 vcc, s2, v10
	s_and_saveexec_b64 s[2:3], vcc
	s_cbranch_execz .LBB864_519
; %bb.514:
	v_lshrrev_b32_e32 v18, 24, v10
	s_movk_i32 s7, 0x80
	v_cmp_ne_u32_e32 vcc, s7, v18
	v_mov_b32_e32 v21, 0xffff8000
	s_and_saveexec_b64 s[8:9], vcc
	s_cbranch_execz .LBB864_518
; %bb.515:
	v_bfe_u32 v10, v10, 24, 7
	s_movk_i32 s7, 0x7f
	v_cmp_ne_u32_e32 vcc, s7, v10
	v_mov_b32_e32 v21, 0x7f80
	s_and_saveexec_b64 s[10:11], vcc
	s_cbranch_execz .LBB864_517
; %bb.516:
	v_and_b32_e32 v21, 7, v18
	v_ffbh_u32_e32 v24, v21
	v_min_u32_e32 v27, 32, v24
	v_subrev_u32_e32 v24, 28, v27
	v_lshlrev_b64 v[24:25], v24, v[18:19]
	v_lshrrev_b32_e32 v26, 3, v10
	v_sub_u32_e32 v25, 29, v27
	v_and_b32_e32 v24, 7, v24
	v_cmp_gt_u32_e32 vcc, 8, v10
	v_cndmask_b32_e32 v10, v26, v25, vcc
	v_cndmask_b32_e32 v21, v21, v24, vcc
	v_lshlrev_b32_e32 v18, 24, v18
	v_bfrev_b32_e32 v24, 60
	v_lshlrev_b32_e32 v21, 20, v21
	v_and_b32_e32 v18, 0x80000000, v18
	v_lshl_add_u32 v10, v10, 23, v24
	v_or3_b32 v10, v18, v10, v21
	v_lshrrev_b32_e32 v21, 16, v10
.LBB864_517:
	s_or_b64 exec, exec, s[10:11]
.LBB864_518:
	s_or_b64 exec, exec, s[8:9]
.LBB864_519:
	s_or_b64 exec, exec, s[2:3]
	v_mov_b32_e32 v18, 0
	v_cmp_ne_u16_sdwa s[8:9], v11, v18 src0_sel:BYTE_0 src1_sel:DWORD
	v_mov_b32_e32 v24, 0
	s_and_saveexec_b64 s[2:3], s[8:9]
	s_cbranch_execz .LBB864_525
; %bb.520:
	s_movk_i32 s7, 0x80
	v_cmp_ne_u16_sdwa s[10:11], v11, s7 src0_sel:BYTE_0 src1_sel:DWORD
	v_mov_b32_e32 v24, 0xffff8000
	s_and_saveexec_b64 s[8:9], s[10:11]
	s_cbranch_execz .LBB864_524
; %bb.521:
	s_movk_i32 s7, 0x7f
	v_and_b32_e32 v10, 0x7f, v11
	v_cmp_ne_u32_e32 vcc, s7, v10
	v_mov_b32_e32 v24, 0x7f80
	s_and_saveexec_b64 s[10:11], vcc
	s_cbranch_execz .LBB864_523
; %bb.522:
	v_and_b32_e32 v26, 7, v11
	v_ffbh_u32_e32 v25, v26
	v_min_u32_e32 v29, 32, v25
	v_mov_b32_e32 v24, v11
	v_subrev_u32_e32 v25, 28, v29
	v_lshlrev_b64 v[24:25], v25, v[24:25]
	v_lshrrev_b32_e32 v27, 3, v10
	v_sub_u32_e32 v25, 29, v29
	v_and_b32_e32 v24, 7, v24
	v_cmp_gt_u32_e32 vcc, 8, v10
	v_cndmask_b32_e32 v10, v27, v25, vcc
	v_cndmask_b32_e32 v24, v26, v24, vcc
	v_lshlrev_b32_e32 v25, 24, v11
	v_bfrev_b32_e32 v26, 60
	v_lshlrev_b32_e32 v24, 20, v24
	v_and_b32_e32 v25, 0x80000000, v25
	v_lshl_add_u32 v10, v10, 23, v26
	v_or3_b32 v10, v25, v10, v24
	v_lshrrev_b32_e32 v24, 16, v10
.LBB864_523:
	s_or_b64 exec, exec, s[10:11]
.LBB864_524:
	s_or_b64 exec, exec, s[8:9]
.LBB864_525:
	s_or_b64 exec, exec, s[2:3]
	v_lshrrev_b16_e32 v10, 8, v11
	v_cmp_ne_u16_e32 vcc, 0, v10
	s_and_saveexec_b64 s[2:3], vcc
	s_cbranch_execz .LBB864_531
; %bb.526:
	s_movk_i32 s7, 0x80
	v_cmp_ne_u16_e32 vcc, s7, v10
	v_mov_b32_e32 v18, 0xffff8000
	s_and_saveexec_b64 s[8:9], vcc
	s_cbranch_execz .LBB864_530
; %bb.527:
	s_movk_i32 s7, 0x7f
	v_and_b32_e32 v25, 0x7f, v10
	v_cmp_ne_u32_e32 vcc, s7, v25
	v_mov_b32_e32 v18, 0x7f80
	s_and_saveexec_b64 s[10:11], vcc
	s_cbranch_execz .LBB864_529
; %bb.528:
	v_and_b32_e32 v18, 7, v10
	v_ffbh_u32_e32 v26, v18
	v_min_u32_e32 v30, 32, v26
	v_subrev_u32_e32 v26, 28, v30
	v_lshlrev_b64 v[26:27], v26, v[10:11]
	v_lshrrev_b32_e32 v29, 3, v25
	v_sub_u32_e32 v10, 29, v30
	v_and_b32_e32 v26, 7, v26
	v_cmp_gt_u32_e32 vcc, 8, v25
	v_cndmask_b32_e32 v10, v29, v10, vcc
	v_cndmask_b32_e32 v18, v18, v26, vcc
	v_lshlrev_b32_e32 v25, 16, v11
	v_bfrev_b32_e32 v26, 60
	v_lshlrev_b32_e32 v18, 20, v18
	v_and_b32_e32 v25, 0x80000000, v25
	v_lshl_add_u32 v10, v10, 23, v26
	v_or3_b32 v10, v25, v10, v18
	v_lshrrev_b32_e32 v18, 16, v10
.LBB864_529:
	s_or_b64 exec, exec, s[10:11]
.LBB864_530:
	s_or_b64 exec, exec, s[8:9]
.LBB864_531:
	s_or_b64 exec, exec, s[2:3]
	s_movk_i32 s2, 0xff
	v_and_b32_sdwa v27, v11, s2 dst_sel:DWORD dst_unused:UNUSED_PAD src0_sel:WORD_1 src1_sel:DWORD
	v_lshrrev_b32_e32 v10, 16, v11
	v_cmp_ne_u16_e32 vcc, 0, v27
	v_mov_b32_e32 v25, 0
	v_mov_b32_e32 v26, 0
	s_and_saveexec_b64 s[2:3], vcc
	s_cbranch_execz .LBB864_537
; %bb.532:
	s_movk_i32 s7, 0x80
	v_cmp_ne_u16_e32 vcc, s7, v27
	v_mov_b32_e32 v26, 0xffff8000
	s_and_saveexec_b64 s[8:9], vcc
	s_cbranch_execz .LBB864_536
; %bb.533:
	v_bfe_u32 v27, v11, 16, 7
	s_movk_i32 s7, 0x7f
	v_cmp_ne_u32_e32 vcc, s7, v27
	v_mov_b32_e32 v26, 0x7f80
	s_and_saveexec_b64 s[10:11], vcc
	s_cbranch_execz .LBB864_535
; %bb.534:
	v_and_b32_e32 v26, 7, v10
	v_ffbh_u32_e32 v30, v26
	v_min_u32_e32 v32, 32, v30
	v_subrev_u32_e32 v30, 28, v32
	v_lshlrev_b64 v[30:31], v30, v[10:11]
	v_lshrrev_b32_e32 v29, 3, v27
	v_sub_u32_e32 v10, 29, v32
	v_and_b32_e32 v30, 7, v30
	v_cmp_gt_u32_e32 vcc, 8, v27
	v_mov_b32_e32 v27, 24
	v_cndmask_b32_e32 v10, v29, v10, vcc
	v_cndmask_b32_e32 v26, v26, v30, vcc
	v_lshlrev_b32_sdwa v27, v27, v11 dst_sel:DWORD dst_unused:UNUSED_PAD src0_sel:DWORD src1_sel:WORD_1
	v_bfrev_b32_e32 v29, 60
	v_lshlrev_b32_e32 v26, 20, v26
	v_and_b32_e32 v27, 0x80000000, v27
	v_lshl_add_u32 v10, v10, 23, v29
	v_or3_b32 v10, v27, v10, v26
	v_lshrrev_b32_e32 v26, 16, v10
.LBB864_535:
	s_or_b64 exec, exec, s[10:11]
.LBB864_536:
	s_or_b64 exec, exec, s[8:9]
.LBB864_537:
	s_or_b64 exec, exec, s[2:3]
	s_mov_b32 s2, 0xffffff
	v_cmp_lt_u32_e32 vcc, s2, v11
	s_and_saveexec_b64 s[2:3], vcc
	s_cbranch_execz .LBB864_543
; %bb.538:
	v_lshrrev_b32_e32 v10, 24, v11
	s_movk_i32 s7, 0x80
	v_cmp_ne_u32_e32 vcc, s7, v10
	v_mov_b32_e32 v25, 0xffff8000
	s_and_saveexec_b64 s[8:9], vcc
	s_cbranch_execz .LBB864_542
; %bb.539:
	v_bfe_u32 v11, v11, 24, 7
	s_movk_i32 s7, 0x7f
	v_cmp_ne_u32_e32 vcc, s7, v11
	v_mov_b32_e32 v25, 0x7f80
	s_and_saveexec_b64 s[10:11], vcc
	s_cbranch_execz .LBB864_541
; %bb.540:
	v_and_b32_e32 v25, 7, v10
	v_ffbh_u32_e32 v29, v25
	v_min_u32_e32 v29, 32, v29
	v_subrev_u32_e32 v30, 28, v29
	v_lshlrev_b64 v[30:31], v30, v[10:11]
	v_lshrrev_b32_e32 v27, 3, v11
	v_sub_u32_e32 v29, 29, v29
	v_and_b32_e32 v30, 7, v30
	v_cmp_gt_u32_e32 vcc, 8, v11
	v_cndmask_b32_e32 v11, v27, v29, vcc
	v_cndmask_b32_e32 v25, v25, v30, vcc
	v_lshlrev_b32_e32 v10, 24, v10
	v_bfrev_b32_e32 v27, 60
	v_lshlrev_b32_e32 v25, 20, v25
	v_and_b32_e32 v10, 0x80000000, v10
	v_lshl_add_u32 v11, v11, 23, v27
	v_or3_b32 v10, v10, v11, v25
	v_lshrrev_b32_e32 v25, 16, v10
.LBB864_541:
	s_or_b64 exec, exec, s[10:11]
.LBB864_542:
	s_or_b64 exec, exec, s[8:9]
.LBB864_543:
	s_or_b64 exec, exec, s[2:3]
	s_mov_b32 s2, 0x5040100
	v_perm_b32 v11, v21, v23, s2
	v_perm_b32 v10, v19, v20, s2
	ds_read_b128 v[30:33], v22 offset:2048
	v_perm_b32 v21, v25, v26, s2
	v_perm_b32 v20, v18, v24, s2
	s_waitcnt lgkmcnt(0)
	v_mfma_f32_16x16x16bf16_1k v[14:17], v[10:11], v[30:31], v[14:17]
	v_mov_b32_e32 v11, 0
	v_cmp_ne_u16_sdwa s[8:9], v12, v11 src0_sel:BYTE_0 src1_sel:DWORD
	v_mov_b32_e32 v18, 0
	v_mfma_f32_16x16x16bf16_1k v[14:17], v[20:21], v[32:33], v[14:17]
	s_and_saveexec_b64 s[2:3], s[8:9]
	s_cbranch_execz .LBB864_549
; %bb.544:
	s_movk_i32 s7, 0x80
	v_cmp_ne_u16_sdwa s[10:11], v12, s7 src0_sel:BYTE_0 src1_sel:DWORD
	v_mov_b32_e32 v18, 0xffff8000
	s_and_saveexec_b64 s[8:9], s[10:11]
	s_cbranch_execz .LBB864_548
; %bb.545:
	s_movk_i32 s7, 0x7f
	v_and_b32_e32 v10, 0x7f, v12
	v_cmp_ne_u32_e32 vcc, s7, v10
	v_mov_b32_e32 v18, 0x7f80
	s_and_saveexec_b64 s[10:11], vcc
	s_cbranch_execz .LBB864_547
; %bb.546:
	v_and_b32_e32 v20, 7, v12
	v_ffbh_u32_e32 v18, v20
	v_min_u32_e32 v23, 32, v18
	v_subrev_u32_e32 v18, 28, v23
	v_lshlrev_b64 v[18:19], v18, v[12:13]
	v_lshrrev_b32_e32 v21, 3, v10
	v_sub_u32_e32 v19, 29, v23
	v_and_b32_e32 v18, 7, v18
	v_cmp_gt_u32_e32 vcc, 8, v10
	v_cndmask_b32_e32 v10, v21, v19, vcc
	v_cndmask_b32_e32 v18, v20, v18, vcc
	v_lshlrev_b32_e32 v19, 24, v12
	v_bfrev_b32_e32 v20, 60
	v_lshlrev_b32_e32 v18, 20, v18
	v_and_b32_e32 v19, 0x80000000, v19
	v_lshl_add_u32 v10, v10, 23, v20
	v_or3_b32 v10, v19, v10, v18
	v_lshrrev_b32_e32 v18, 16, v10
.LBB864_547:
	s_or_b64 exec, exec, s[10:11]
.LBB864_548:
	s_or_b64 exec, exec, s[8:9]
.LBB864_549:
	s_or_b64 exec, exec, s[2:3]
	v_lshrrev_b16_e32 v10, 8, v12
	v_cmp_ne_u16_e32 vcc, 0, v10
	s_and_saveexec_b64 s[2:3], vcc
	s_cbranch_execz .LBB864_555
; %bb.550:
	s_movk_i32 s7, 0x80
	v_cmp_ne_u16_e32 vcc, s7, v10
	v_mov_b32_e32 v11, 0xffff8000
	s_and_saveexec_b64 s[8:9], vcc
	s_cbranch_execz .LBB864_554
; %bb.551:
	s_movk_i32 s7, 0x7f
	v_and_b32_e32 v19, 0x7f, v10
	v_cmp_ne_u32_e32 vcc, s7, v19
	v_mov_b32_e32 v11, 0x7f80
	s_and_saveexec_b64 s[10:11], vcc
	s_cbranch_execz .LBB864_553
; %bb.552:
	v_and_b32_e32 v20, 7, v10
	v_ffbh_u32_e32 v11, v20
	v_min_u32_e32 v23, 32, v11
	v_subrev_u32_e32 v11, 28, v23
	v_lshlrev_b64 v[10:11], v11, v[10:11]
	v_lshrrev_b32_e32 v21, 3, v19
	v_sub_u32_e32 v11, 29, v23
	v_and_b32_e32 v10, 7, v10
	v_cmp_gt_u32_e32 vcc, 8, v19
	v_cndmask_b32_e32 v11, v21, v11, vcc
	v_cndmask_b32_e32 v10, v20, v10, vcc
	v_lshlrev_b32_e32 v19, 16, v12
	v_bfrev_b32_e32 v20, 60
	v_lshlrev_b32_e32 v10, 20, v10
	v_and_b32_e32 v19, 0x80000000, v19
	v_lshl_add_u32 v11, v11, 23, v20
	v_or3_b32 v10, v19, v11, v10
	v_lshrrev_b32_e32 v11, 16, v10
.LBB864_553:
	s_or_b64 exec, exec, s[10:11]
.LBB864_554:
	s_or_b64 exec, exec, s[8:9]
.LBB864_555:
	s_or_b64 exec, exec, s[2:3]
	s_movk_i32 s2, 0xff
	v_and_b32_sdwa v21, v12, s2 dst_sel:DWORD dst_unused:UNUSED_PAD src0_sel:WORD_1 src1_sel:DWORD
	v_lshrrev_b32_e32 v10, 16, v12
	v_cmp_ne_u16_e32 vcc, 0, v21
	v_mov_b32_e32 v19, 0
	v_mov_b32_e32 v20, 0
	s_and_saveexec_b64 s[2:3], vcc
	s_cbranch_execz .LBB864_561
; %bb.556:
	s_movk_i32 s7, 0x80
	v_cmp_ne_u16_e32 vcc, s7, v21
	v_mov_b32_e32 v20, 0xffff8000
	s_and_saveexec_b64 s[8:9], vcc
	s_cbranch_execz .LBB864_560
; %bb.557:
	v_bfe_u32 v21, v12, 16, 7
	s_movk_i32 s7, 0x7f
	v_cmp_ne_u32_e32 vcc, s7, v21
	v_mov_b32_e32 v20, 0x7f80
	s_and_saveexec_b64 s[10:11], vcc
	s_cbranch_execz .LBB864_559
; %bb.558:
	v_and_b32_e32 v20, 7, v10
	v_ffbh_u32_e32 v24, v20
	v_min_u32_e32 v26, 32, v24
	v_subrev_u32_e32 v24, 28, v26
	v_lshlrev_b64 v[24:25], v24, v[10:11]
	v_lshrrev_b32_e32 v23, 3, v21
	v_sub_u32_e32 v10, 29, v26
	v_and_b32_e32 v24, 7, v24
	v_cmp_gt_u32_e32 vcc, 8, v21
	v_mov_b32_e32 v21, 24
	v_cndmask_b32_e32 v10, v23, v10, vcc
	v_cndmask_b32_e32 v20, v20, v24, vcc
	v_lshlrev_b32_sdwa v21, v21, v12 dst_sel:DWORD dst_unused:UNUSED_PAD src0_sel:DWORD src1_sel:WORD_1
	v_bfrev_b32_e32 v23, 60
	v_lshlrev_b32_e32 v20, 20, v20
	v_and_b32_e32 v21, 0x80000000, v21
	v_lshl_add_u32 v10, v10, 23, v23
	v_or3_b32 v10, v21, v10, v20
	v_lshrrev_b32_e32 v20, 16, v10
.LBB864_559:
	s_or_b64 exec, exec, s[10:11]
.LBB864_560:
	s_or_b64 exec, exec, s[8:9]
.LBB864_561:
	s_or_b64 exec, exec, s[2:3]
	s_mov_b32 s2, 0xffffff
	v_cmp_lt_u32_e32 vcc, s2, v12
	s_and_saveexec_b64 s[2:3], vcc
	s_cbranch_execz .LBB864_567
; %bb.562:
	v_lshrrev_b32_e32 v10, 24, v12
	s_movk_i32 s7, 0x80
	v_cmp_ne_u32_e32 vcc, s7, v10
	v_mov_b32_e32 v19, 0xffff8000
	s_and_saveexec_b64 s[8:9], vcc
	s_cbranch_execz .LBB864_566
; %bb.563:
	v_bfe_u32 v12, v12, 24, 7
	s_movk_i32 s7, 0x7f
	v_cmp_ne_u32_e32 vcc, s7, v12
	v_mov_b32_e32 v19, 0x7f80
	s_and_saveexec_b64 s[10:11], vcc
	s_cbranch_execz .LBB864_565
; %bb.564:
	v_and_b32_e32 v19, 7, v10
	v_ffbh_u32_e32 v23, v19
	v_min_u32_e32 v23, 32, v23
	v_subrev_u32_e32 v24, 28, v23
	v_lshlrev_b64 v[24:25], v24, v[10:11]
	v_lshrrev_b32_e32 v21, 3, v12
	v_sub_u32_e32 v23, 29, v23
	v_and_b32_e32 v24, 7, v24
	v_cmp_gt_u32_e32 vcc, 8, v12
	v_cndmask_b32_e32 v12, v21, v23, vcc
	v_cndmask_b32_e32 v19, v19, v24, vcc
	v_lshlrev_b32_e32 v10, 24, v10
	v_bfrev_b32_e32 v21, 60
	v_lshlrev_b32_e32 v19, 20, v19
	v_and_b32_e32 v10, 0x80000000, v10
	v_lshl_add_u32 v12, v12, 23, v21
	v_or3_b32 v10, v10, v12, v19
	v_lshrrev_b32_e32 v19, 16, v10
.LBB864_565:
	s_or_b64 exec, exec, s[10:11]
.LBB864_566:
	s_or_b64 exec, exec, s[8:9]
.LBB864_567:
	s_or_b64 exec, exec, s[2:3]
	v_mov_b32_e32 v12, 0
	v_cmp_ne_u16_sdwa s[8:9], v13, v12 src0_sel:BYTE_0 src1_sel:DWORD
	v_mov_b32_e32 v21, 0
	s_and_saveexec_b64 s[2:3], s[8:9]
	s_cbranch_execz .LBB864_573
; %bb.568:
	s_movk_i32 s7, 0x80
	v_cmp_ne_u16_sdwa s[10:11], v13, s7 src0_sel:BYTE_0 src1_sel:DWORD
	v_mov_b32_e32 v21, 0xffff8000
	s_and_saveexec_b64 s[8:9], s[10:11]
	s_cbranch_execz .LBB864_572
; %bb.569:
	s_movk_i32 s7, 0x7f
	v_and_b32_e32 v10, 0x7f, v13
	v_cmp_ne_u32_e32 vcc, s7, v10
	v_mov_b32_e32 v21, 0x7f80
	s_and_saveexec_b64 s[10:11], vcc
	s_cbranch_execz .LBB864_571
; %bb.570:
	v_and_b32_e32 v21, 7, v13
	v_ffbh_u32_e32 v25, v21
	v_min_u32_e32 v26, 32, v25
	v_mov_b32_e32 v24, v13
	v_subrev_u32_e32 v25, 28, v26
	v_lshlrev_b64 v[24:25], v25, v[24:25]
	v_lshrrev_b32_e32 v23, 3, v10
	v_sub_u32_e32 v25, 29, v26
	v_and_b32_e32 v24, 7, v24
	v_cmp_gt_u32_e32 vcc, 8, v10
	v_cndmask_b32_e32 v10, v23, v25, vcc
	v_cndmask_b32_e32 v21, v21, v24, vcc
	v_lshlrev_b32_e32 v23, 24, v13
	v_bfrev_b32_e32 v24, 60
	v_lshlrev_b32_e32 v21, 20, v21
	v_and_b32_e32 v23, 0x80000000, v23
	v_lshl_add_u32 v10, v10, 23, v24
	v_or3_b32 v10, v23, v10, v21
	v_lshrrev_b32_e32 v21, 16, v10
.LBB864_571:
	s_or_b64 exec, exec, s[10:11]
.LBB864_572:
	s_or_b64 exec, exec, s[8:9]
.LBB864_573:
	s_or_b64 exec, exec, s[2:3]
	v_lshrrev_b16_e32 v10, 8, v13
	v_cmp_ne_u16_e32 vcc, 0, v10
	s_and_saveexec_b64 s[2:3], vcc
	s_cbranch_execz .LBB864_579
; %bb.574:
	s_movk_i32 s7, 0x80
	v_cmp_ne_u16_e32 vcc, s7, v10
	v_mov_b32_e32 v12, 0xffff8000
	s_and_saveexec_b64 s[8:9], vcc
	s_cbranch_execz .LBB864_578
; %bb.575:
	s_movk_i32 s7, 0x7f
	v_and_b32_e32 v23, 0x7f, v10
	v_cmp_ne_u32_e32 vcc, s7, v23
	v_mov_b32_e32 v12, 0x7f80
	s_and_saveexec_b64 s[10:11], vcc
	s_cbranch_execz .LBB864_577
; %bb.576:
	v_and_b32_e32 v12, 7, v10
	v_ffbh_u32_e32 v24, v12
	v_min_u32_e32 v27, 32, v24
	v_subrev_u32_e32 v24, 28, v27
	v_lshlrev_b64 v[24:25], v24, v[10:11]
	v_lshrrev_b32_e32 v26, 3, v23
	v_sub_u32_e32 v10, 29, v27
	v_and_b32_e32 v24, 7, v24
	v_cmp_gt_u32_e32 vcc, 8, v23
	v_cndmask_b32_e32 v10, v26, v10, vcc
	v_cndmask_b32_e32 v12, v12, v24, vcc
	v_lshlrev_b32_e32 v23, 16, v13
	v_bfrev_b32_e32 v24, 60
	v_lshlrev_b32_e32 v12, 20, v12
	v_and_b32_e32 v23, 0x80000000, v23
	v_lshl_add_u32 v10, v10, 23, v24
	v_or3_b32 v10, v23, v10, v12
	v_lshrrev_b32_e32 v12, 16, v10
.LBB864_577:
	s_or_b64 exec, exec, s[10:11]
.LBB864_578:
	s_or_b64 exec, exec, s[8:9]
.LBB864_579:
	s_or_b64 exec, exec, s[2:3]
	s_movk_i32 s2, 0xff
	v_and_b32_sdwa v25, v13, s2 dst_sel:DWORD dst_unused:UNUSED_PAD src0_sel:WORD_1 src1_sel:DWORD
	v_lshrrev_b32_e32 v10, 16, v13
	v_cmp_ne_u16_e32 vcc, 0, v25
	v_mov_b32_e32 v23, 0
	v_mov_b32_e32 v24, 0
	s_and_saveexec_b64 s[2:3], vcc
	s_cbranch_execz .LBB864_585
; %bb.580:
	s_movk_i32 s7, 0x80
	v_cmp_ne_u16_e32 vcc, s7, v25
	v_mov_b32_e32 v24, 0xffff8000
	s_and_saveexec_b64 s[8:9], vcc
	s_cbranch_execz .LBB864_584
; %bb.581:
	v_bfe_u32 v25, v13, 16, 7
	s_movk_i32 s7, 0x7f
	v_cmp_ne_u32_e32 vcc, s7, v25
	v_mov_b32_e32 v24, 0x7f80
	s_and_saveexec_b64 s[10:11], vcc
	s_cbranch_execz .LBB864_583
; %bb.582:
	v_and_b32_e32 v24, 7, v10
	v_ffbh_u32_e32 v26, v24
	v_min_u32_e32 v30, 32, v26
	v_subrev_u32_e32 v26, 28, v30
	v_lshlrev_b64 v[26:27], v26, v[10:11]
	v_lshrrev_b32_e32 v29, 3, v25
	v_sub_u32_e32 v10, 29, v30
	v_and_b32_e32 v26, 7, v26
	v_cmp_gt_u32_e32 vcc, 8, v25
	v_mov_b32_e32 v25, 24
	v_cndmask_b32_e32 v10, v29, v10, vcc
	v_cndmask_b32_e32 v24, v24, v26, vcc
	v_lshlrev_b32_sdwa v25, v25, v13 dst_sel:DWORD dst_unused:UNUSED_PAD src0_sel:DWORD src1_sel:WORD_1
	v_bfrev_b32_e32 v26, 60
	v_lshlrev_b32_e32 v24, 20, v24
	v_and_b32_e32 v25, 0x80000000, v25
	v_lshl_add_u32 v10, v10, 23, v26
	v_or3_b32 v10, v25, v10, v24
	v_lshrrev_b32_e32 v24, 16, v10
.LBB864_583:
	s_or_b64 exec, exec, s[10:11]
.LBB864_584:
	s_or_b64 exec, exec, s[8:9]
.LBB864_585:
	s_or_b64 exec, exec, s[2:3]
	s_mov_b32 s2, 0xffffff
	v_cmp_lt_u32_e32 vcc, s2, v13
	s_and_saveexec_b64 s[2:3], vcc
	s_cbranch_execz .LBB864_591
; %bb.586:
	v_lshrrev_b32_e32 v10, 24, v13
	s_movk_i32 s7, 0x80
	v_cmp_ne_u32_e32 vcc, s7, v10
	v_mov_b32_e32 v23, 0xffff8000
	s_and_saveexec_b64 s[8:9], vcc
	s_cbranch_execz .LBB864_590
; %bb.587:
	v_bfe_u32 v13, v13, 24, 7
	s_movk_i32 s7, 0x7f
	v_cmp_ne_u32_e32 vcc, s7, v13
	v_mov_b32_e32 v23, 0x7f80
	s_and_saveexec_b64 s[10:11], vcc
	s_cbranch_execz .LBB864_589
; %bb.588:
	v_and_b32_e32 v23, 7, v10
	v_ffbh_u32_e32 v26, v23
	v_min_u32_e32 v29, 32, v26
	v_subrev_u32_e32 v26, 28, v29
	v_lshlrev_b64 v[26:27], v26, v[10:11]
	v_lshrrev_b32_e32 v25, 3, v13
	v_sub_u32_e32 v27, 29, v29
	v_and_b32_e32 v26, 7, v26
	v_cmp_gt_u32_e32 vcc, 8, v13
	v_cndmask_b32_e32 v13, v25, v27, vcc
	v_cndmask_b32_e32 v23, v23, v26, vcc
	v_lshlrev_b32_e32 v10, 24, v10
	v_bfrev_b32_e32 v25, 60
	v_lshlrev_b32_e32 v23, 20, v23
	v_and_b32_e32 v10, 0x80000000, v10
	v_lshl_add_u32 v13, v13, 23, v25
	v_or3_b32 v10, v10, v13, v23
	v_lshrrev_b32_e32 v23, 16, v10
.LBB864_589:
	s_or_b64 exec, exec, s[10:11]
.LBB864_590:
	s_or_b64 exec, exec, s[8:9]
.LBB864_591:
	s_or_b64 exec, exec, s[2:3]
	s_mov_b32 s2, 0x5040100
	v_perm_b32 v19, v19, v20, s2
	v_perm_b32 v18, v11, v18, s2
	ds_read_b128 v[30:33], v22 offset:2064
	v_perm_b32 v11, v23, v24, s2
	v_perm_b32 v10, v12, v21, s2
	s_waitcnt lgkmcnt(0)
	v_mfma_f32_16x16x16bf16_1k v[34:37], v[18:19], v[30:31], v[14:17]
	s_nop 6
	v_mov_b32_e32 v15, 0
	s_waitcnt vmcnt(1)
	v_cmp_ne_u16_sdwa s[8:9], v6, v15 src0_sel:BYTE_0 src1_sel:DWORD
	v_mfma_f32_16x16x16bf16_1k v[10:13], v[10:11], v[32:33], v[34:37]
	v_mov_b32_e32 v16, 0
	s_and_saveexec_b64 s[2:3], s[8:9]
	s_cbranch_execz .LBB864_597
; %bb.592:
	s_movk_i32 s7, 0x80
	v_cmp_ne_u16_sdwa s[10:11], v6, s7 src0_sel:BYTE_0 src1_sel:DWORD
	v_mov_b32_e32 v16, 0xffff8000
	s_and_saveexec_b64 s[8:9], s[10:11]
	s_cbranch_execz .LBB864_596
; %bb.593:
	s_movk_i32 s7, 0x7f
	v_and_b32_e32 v14, 0x7f, v6
	v_cmp_ne_u32_e32 vcc, s7, v14
	v_mov_b32_e32 v16, 0x7f80
	s_and_saveexec_b64 s[10:11], vcc
	s_cbranch_execz .LBB864_595
; %bb.594:
	v_and_b32_e32 v18, 7, v6
	v_ffbh_u32_e32 v16, v18
	v_min_u32_e32 v20, 32, v16
	v_subrev_u32_e32 v16, 28, v20
	v_lshlrev_b64 v[16:17], v16, v[6:7]
	v_lshrrev_b32_e32 v19, 3, v14
	v_sub_u32_e32 v17, 29, v20
	v_and_b32_e32 v16, 7, v16
	v_cmp_gt_u32_e32 vcc, 8, v14
	v_cndmask_b32_e32 v14, v19, v17, vcc
	v_cndmask_b32_e32 v16, v18, v16, vcc
	v_lshlrev_b32_e32 v17, 24, v6
	v_bfrev_b32_e32 v18, 60
	v_lshlrev_b32_e32 v16, 20, v16
	v_and_b32_e32 v17, 0x80000000, v17
	v_lshl_add_u32 v14, v14, 23, v18
	v_or3_b32 v14, v17, v14, v16
	v_lshrrev_b32_e32 v16, 16, v14
.LBB864_595:
	s_or_b64 exec, exec, s[10:11]
.LBB864_596:
	s_or_b64 exec, exec, s[8:9]
.LBB864_597:
	s_or_b64 exec, exec, s[2:3]
	v_lshrrev_b16_e32 v14, 8, v6
	v_cmp_ne_u16_e32 vcc, 0, v14
	s_and_saveexec_b64 s[2:3], vcc
	s_cbranch_execz .LBB864_603
; %bb.598:
	s_movk_i32 s7, 0x80
	v_cmp_ne_u16_e32 vcc, s7, v14
	v_mov_b32_e32 v15, 0xffff8000
	s_and_saveexec_b64 s[8:9], vcc
	s_cbranch_execz .LBB864_602
; %bb.599:
	s_movk_i32 s7, 0x7f
	v_and_b32_e32 v17, 0x7f, v14
	v_cmp_ne_u32_e32 vcc, s7, v17
	v_mov_b32_e32 v15, 0x7f80
	s_and_saveexec_b64 s[10:11], vcc
	s_cbranch_execz .LBB864_601
; %bb.600:
	v_and_b32_e32 v18, 7, v14
	v_ffbh_u32_e32 v15, v18
	v_min_u32_e32 v20, 32, v15
	v_subrev_u32_e32 v15, 28, v20
	v_lshlrev_b64 v[14:15], v15, v[14:15]
	v_lshrrev_b32_e32 v19, 3, v17
	v_sub_u32_e32 v15, 29, v20
	v_and_b32_e32 v14, 7, v14
	v_cmp_gt_u32_e32 vcc, 8, v17
	v_cndmask_b32_e32 v15, v19, v15, vcc
	v_cndmask_b32_e32 v14, v18, v14, vcc
	v_lshlrev_b32_e32 v17, 16, v6
	v_bfrev_b32_e32 v18, 60
	v_lshlrev_b32_e32 v14, 20, v14
	v_and_b32_e32 v17, 0x80000000, v17
	v_lshl_add_u32 v15, v15, 23, v18
	v_or3_b32 v14, v17, v15, v14
	v_lshrrev_b32_e32 v15, 16, v14
.LBB864_601:
	s_or_b64 exec, exec, s[10:11]
.LBB864_602:
	s_or_b64 exec, exec, s[8:9]
.LBB864_603:
	s_or_b64 exec, exec, s[2:3]
	s_movk_i32 s2, 0xff
	v_and_b32_sdwa v19, v6, s2 dst_sel:DWORD dst_unused:UNUSED_PAD src0_sel:WORD_1 src1_sel:DWORD
	v_lshrrev_b32_e32 v14, 16, v6
	v_cmp_ne_u16_e32 vcc, 0, v19
	v_mov_b32_e32 v17, 0
	v_mov_b32_e32 v18, 0
	s_and_saveexec_b64 s[2:3], vcc
	s_cbranch_execz .LBB864_609
; %bb.604:
	s_movk_i32 s7, 0x80
	v_cmp_ne_u16_e32 vcc, s7, v19
	v_mov_b32_e32 v18, 0xffff8000
	s_and_saveexec_b64 s[8:9], vcc
	s_cbranch_execz .LBB864_608
; %bb.605:
	v_bfe_u32 v19, v6, 16, 7
	s_movk_i32 s7, 0x7f
	v_cmp_ne_u32_e32 vcc, s7, v19
	v_mov_b32_e32 v18, 0x7f80
	s_and_saveexec_b64 s[10:11], vcc
	s_cbranch_execz .LBB864_607
; %bb.606:
	v_and_b32_e32 v18, 7, v14
	v_ffbh_u32_e32 v20, v18
	v_min_u32_e32 v24, 32, v20
	v_subrev_u32_e32 v20, 28, v24
	v_lshlrev_b64 v[20:21], v20, v[14:15]
	v_lshrrev_b32_e32 v23, 3, v19
	v_sub_u32_e32 v14, 29, v24
	v_and_b32_e32 v20, 7, v20
	v_cmp_gt_u32_e32 vcc, 8, v19
	v_mov_b32_e32 v19, 24
	v_cndmask_b32_e32 v14, v23, v14, vcc
	v_cndmask_b32_e32 v18, v18, v20, vcc
	v_lshlrev_b32_sdwa v19, v19, v6 dst_sel:DWORD dst_unused:UNUSED_PAD src0_sel:DWORD src1_sel:WORD_1
	v_bfrev_b32_e32 v20, 60
	v_lshlrev_b32_e32 v18, 20, v18
	v_and_b32_e32 v19, 0x80000000, v19
	v_lshl_add_u32 v14, v14, 23, v20
	v_or3_b32 v14, v19, v14, v18
	v_lshrrev_b32_e32 v18, 16, v14
.LBB864_607:
	s_or_b64 exec, exec, s[10:11]
.LBB864_608:
	s_or_b64 exec, exec, s[8:9]
.LBB864_609:
	s_or_b64 exec, exec, s[2:3]
	s_mov_b32 s2, 0xffffff
	v_cmp_lt_u32_e32 vcc, s2, v6
	s_and_saveexec_b64 s[2:3], vcc
	s_cbranch_execz .LBB864_615
; %bb.610:
	v_lshrrev_b32_e32 v14, 24, v6
	s_movk_i32 s7, 0x80
	v_cmp_ne_u32_e32 vcc, s7, v14
	v_mov_b32_e32 v17, 0xffff8000
	s_and_saveexec_b64 s[8:9], vcc
	s_cbranch_execz .LBB864_614
; %bb.611:
	v_bfe_u32 v6, v6, 24, 7
	s_movk_i32 s7, 0x7f
	v_cmp_ne_u32_e32 vcc, s7, v6
	v_mov_b32_e32 v17, 0x7f80
	s_and_saveexec_b64 s[10:11], vcc
	s_cbranch_execz .LBB864_613
; %bb.612:
	v_and_b32_e32 v17, 7, v14
	v_ffbh_u32_e32 v20, v17
	v_min_u32_e32 v23, 32, v20
	v_subrev_u32_e32 v20, 28, v23
	v_lshlrev_b64 v[20:21], v20, v[14:15]
	v_lshrrev_b32_e32 v19, 3, v6
	v_sub_u32_e32 v21, 29, v23
	v_and_b32_e32 v20, 7, v20
	v_cmp_gt_u32_e32 vcc, 8, v6
	v_cndmask_b32_e32 v6, v19, v21, vcc
	v_cndmask_b32_e32 v17, v17, v20, vcc
	v_lshlrev_b32_e32 v14, 24, v14
	v_bfrev_b32_e32 v19, 60
	v_lshlrev_b32_e32 v17, 20, v17
	v_and_b32_e32 v14, 0x80000000, v14
	v_lshl_add_u32 v6, v6, 23, v19
	v_or3_b32 v6, v14, v6, v17
	v_lshrrev_b32_e32 v17, 16, v6
.LBB864_613:
	s_or_b64 exec, exec, s[10:11]
.LBB864_614:
	s_or_b64 exec, exec, s[8:9]
.LBB864_615:
	s_or_b64 exec, exec, s[2:3]
	v_mov_b32_e32 v14, 0
	v_cmp_ne_u16_sdwa s[8:9], v7, v14 src0_sel:BYTE_0 src1_sel:DWORD
	v_mov_b32_e32 v19, 0
	s_and_saveexec_b64 s[2:3], s[8:9]
	s_cbranch_execz .LBB864_621
; %bb.616:
	s_movk_i32 s7, 0x80
	v_cmp_ne_u16_sdwa s[10:11], v7, s7 src0_sel:BYTE_0 src1_sel:DWORD
	v_mov_b32_e32 v19, 0xffff8000
	s_and_saveexec_b64 s[8:9], s[10:11]
	s_cbranch_execz .LBB864_620
; %bb.617:
	s_movk_i32 s7, 0x7f
	v_and_b32_e32 v6, 0x7f, v7
	v_cmp_ne_u32_e32 vcc, s7, v6
	v_mov_b32_e32 v19, 0x7f80
	s_and_saveexec_b64 s[10:11], vcc
	s_cbranch_execz .LBB864_619
; %bb.618:
	v_and_b32_e32 v19, 7, v7
	v_ffbh_u32_e32 v21, v19
	v_min_u32_e32 v24, 32, v21
	v_mov_b32_e32 v20, v7
	v_subrev_u32_e32 v21, 28, v24
	v_lshlrev_b64 v[20:21], v21, v[20:21]
	v_lshrrev_b32_e32 v23, 3, v6
	v_sub_u32_e32 v21, 29, v24
	v_and_b32_e32 v20, 7, v20
	v_cmp_gt_u32_e32 vcc, 8, v6
	v_cndmask_b32_e32 v6, v23, v21, vcc
	v_cndmask_b32_e32 v19, v19, v20, vcc
	v_lshlrev_b32_e32 v20, 24, v7
	v_bfrev_b32_e32 v21, 60
	v_lshlrev_b32_e32 v19, 20, v19
	v_and_b32_e32 v20, 0x80000000, v20
	v_lshl_add_u32 v6, v6, 23, v21
	v_or3_b32 v6, v20, v6, v19
	v_lshrrev_b32_e32 v19, 16, v6
.LBB864_619:
	s_or_b64 exec, exec, s[10:11]
.LBB864_620:
	s_or_b64 exec, exec, s[8:9]
.LBB864_621:
	s_or_b64 exec, exec, s[2:3]
	v_lshrrev_b16_e32 v6, 8, v7
	v_cmp_ne_u16_e32 vcc, 0, v6
	s_and_saveexec_b64 s[2:3], vcc
	s_cbranch_execz .LBB864_627
; %bb.622:
	s_movk_i32 s7, 0x80
	v_cmp_ne_u16_e32 vcc, s7, v6
	v_mov_b32_e32 v14, 0xffff8000
	s_and_saveexec_b64 s[8:9], vcc
	s_cbranch_execz .LBB864_626
; %bb.623:
	s_movk_i32 s7, 0x7f
	v_and_b32_e32 v20, 0x7f, v6
	v_cmp_ne_u32_e32 vcc, s7, v20
	v_mov_b32_e32 v14, 0x7f80
	s_and_saveexec_b64 s[10:11], vcc
	s_cbranch_execz .LBB864_625
; %bb.624:
	v_and_b32_e32 v14, 7, v6
	v_ffbh_u32_e32 v23, v14
	v_min_u32_e32 v23, 32, v23
	v_subrev_u32_e32 v24, 28, v23
	v_lshlrev_b64 v[24:25], v24, v[6:7]
	v_lshrrev_b32_e32 v21, 3, v20
	v_sub_u32_e32 v6, 29, v23
	v_and_b32_e32 v23, 7, v24
	v_cmp_gt_u32_e32 vcc, 8, v20
	v_cndmask_b32_e32 v6, v21, v6, vcc
	v_cndmask_b32_e32 v14, v14, v23, vcc
	v_lshlrev_b32_e32 v20, 16, v7
	v_bfrev_b32_e32 v21, 60
	v_lshlrev_b32_e32 v14, 20, v14
	v_and_b32_e32 v20, 0x80000000, v20
	v_lshl_add_u32 v6, v6, 23, v21
	v_or3_b32 v6, v20, v6, v14
	v_lshrrev_b32_e32 v14, 16, v6
.LBB864_625:
	s_or_b64 exec, exec, s[10:11]
.LBB864_626:
	s_or_b64 exec, exec, s[8:9]
.LBB864_627:
	s_or_b64 exec, exec, s[2:3]
	s_movk_i32 s2, 0xff
	v_and_b32_sdwa v23, v7, s2 dst_sel:DWORD dst_unused:UNUSED_PAD src0_sel:WORD_1 src1_sel:DWORD
	v_lshrrev_b32_e32 v6, 16, v7
	v_cmp_ne_u16_e32 vcc, 0, v23
	v_mov_b32_e32 v20, 0
	v_mov_b32_e32 v21, 0
	s_and_saveexec_b64 s[2:3], vcc
	s_cbranch_execz .LBB864_633
; %bb.628:
	s_movk_i32 s7, 0x80
	v_cmp_ne_u16_e32 vcc, s7, v23
	v_mov_b32_e32 v21, 0xffff8000
	s_and_saveexec_b64 s[8:9], vcc
	s_cbranch_execz .LBB864_632
; %bb.629:
	v_bfe_u32 v23, v7, 16, 7
	s_movk_i32 s7, 0x7f
	v_cmp_ne_u32_e32 vcc, s7, v23
	v_mov_b32_e32 v21, 0x7f80
	s_and_saveexec_b64 s[10:11], vcc
	s_cbranch_execz .LBB864_631
; %bb.630:
	v_and_b32_e32 v21, 7, v6
	v_ffbh_u32_e32 v24, v21
	v_min_u32_e32 v27, 32, v24
	v_subrev_u32_e32 v24, 28, v27
	v_lshlrev_b64 v[24:25], v24, v[6:7]
	v_lshrrev_b32_e32 v26, 3, v23
	v_sub_u32_e32 v6, 29, v27
	v_and_b32_e32 v24, 7, v24
	v_cmp_gt_u32_e32 vcc, 8, v23
	v_mov_b32_e32 v23, 24
	v_cndmask_b32_e32 v6, v26, v6, vcc
	v_cndmask_b32_e32 v21, v21, v24, vcc
	v_lshlrev_b32_sdwa v23, v23, v7 dst_sel:DWORD dst_unused:UNUSED_PAD src0_sel:DWORD src1_sel:WORD_1
	v_bfrev_b32_e32 v24, 60
	v_lshlrev_b32_e32 v21, 20, v21
	v_and_b32_e32 v23, 0x80000000, v23
	v_lshl_add_u32 v6, v6, 23, v24
	v_or3_b32 v6, v23, v6, v21
	v_lshrrev_b32_e32 v21, 16, v6
.LBB864_631:
	s_or_b64 exec, exec, s[10:11]
.LBB864_632:
	s_or_b64 exec, exec, s[8:9]
.LBB864_633:
	s_or_b64 exec, exec, s[2:3]
	s_mov_b32 s2, 0xffffff
	v_cmp_lt_u32_e32 vcc, s2, v7
	s_and_saveexec_b64 s[2:3], vcc
	s_cbranch_execz .LBB864_639
; %bb.634:
	v_lshrrev_b32_e32 v6, 24, v7
	s_movk_i32 s7, 0x80
	v_cmp_ne_u32_e32 vcc, s7, v6
	v_mov_b32_e32 v20, 0xffff8000
	s_and_saveexec_b64 s[8:9], vcc
	s_cbranch_execz .LBB864_638
; %bb.635:
	v_bfe_u32 v7, v7, 24, 7
	s_movk_i32 s7, 0x7f
	v_cmp_ne_u32_e32 vcc, s7, v7
	v_mov_b32_e32 v20, 0x7f80
	s_and_saveexec_b64 s[10:11], vcc
	s_cbranch_execz .LBB864_637
; %bb.636:
	v_and_b32_e32 v20, 7, v6
	v_ffbh_u32_e32 v24, v20
	v_min_u32_e32 v26, 32, v24
	v_subrev_u32_e32 v24, 28, v26
	v_lshlrev_b64 v[24:25], v24, v[6:7]
	v_lshrrev_b32_e32 v23, 3, v7
	v_sub_u32_e32 v25, 29, v26
	v_and_b32_e32 v24, 7, v24
	v_cmp_gt_u32_e32 vcc, 8, v7
	v_cndmask_b32_e32 v7, v23, v25, vcc
	v_cndmask_b32_e32 v20, v20, v24, vcc
	v_lshlrev_b32_e32 v6, 24, v6
	v_bfrev_b32_e32 v23, 60
	v_lshlrev_b32_e32 v20, 20, v20
	v_and_b32_e32 v6, 0x80000000, v6
	v_lshl_add_u32 v7, v7, 23, v23
	v_or3_b32 v6, v6, v7, v20
	v_lshrrev_b32_e32 v20, 16, v6
.LBB864_637:
	s_or_b64 exec, exec, s[10:11]
.LBB864_638:
	s_or_b64 exec, exec, s[8:9]
.LBB864_639:
	s_or_b64 exec, exec, s[2:3]
	s_mov_b32 s2, 0x5040100
	v_perm_b32 v7, v17, v18, s2
	v_perm_b32 v6, v15, v16, s2
	ds_read_b128 v[24:27], v22 offset:4096
	v_perm_b32 v17, v20, v21, s2
	v_perm_b32 v16, v14, v19, s2
	s_waitcnt lgkmcnt(0)
	v_mfma_f32_16x16x16bf16_1k v[10:13], v[6:7], v[24:25], v[10:13]
	v_mov_b32_e32 v7, 0
	v_cmp_ne_u16_sdwa s[8:9], v8, v7 src0_sel:BYTE_0 src1_sel:DWORD
	v_mov_b32_e32 v14, 0
	v_mfma_f32_16x16x16bf16_1k v[10:13], v[16:17], v[26:27], v[10:13]
	s_and_saveexec_b64 s[2:3], s[8:9]
	s_cbranch_execz .LBB864_645
; %bb.640:
	s_movk_i32 s7, 0x80
	v_cmp_ne_u16_sdwa s[10:11], v8, s7 src0_sel:BYTE_0 src1_sel:DWORD
	v_mov_b32_e32 v14, 0xffff8000
	s_and_saveexec_b64 s[8:9], s[10:11]
	s_cbranch_execz .LBB864_644
; %bb.641:
	s_movk_i32 s7, 0x7f
	v_and_b32_e32 v6, 0x7f, v8
	v_cmp_ne_u32_e32 vcc, s7, v6
	v_mov_b32_e32 v14, 0x7f80
	s_and_saveexec_b64 s[10:11], vcc
	s_cbranch_execz .LBB864_643
; %bb.642:
	v_and_b32_e32 v16, 7, v8
	v_ffbh_u32_e32 v14, v16
	v_min_u32_e32 v18, 32, v14
	v_subrev_u32_e32 v14, 28, v18
	v_lshlrev_b64 v[14:15], v14, v[8:9]
	v_lshrrev_b32_e32 v17, 3, v6
	v_sub_u32_e32 v15, 29, v18
	v_and_b32_e32 v14, 7, v14
	v_cmp_gt_u32_e32 vcc, 8, v6
	v_cndmask_b32_e32 v6, v17, v15, vcc
	v_cndmask_b32_e32 v14, v16, v14, vcc
	v_lshlrev_b32_e32 v15, 24, v8
	v_bfrev_b32_e32 v16, 60
	v_lshlrev_b32_e32 v14, 20, v14
	v_and_b32_e32 v15, 0x80000000, v15
	v_lshl_add_u32 v6, v6, 23, v16
	v_or3_b32 v6, v15, v6, v14
	v_lshrrev_b32_e32 v14, 16, v6
.LBB864_643:
	s_or_b64 exec, exec, s[10:11]
.LBB864_644:
	s_or_b64 exec, exec, s[8:9]
.LBB864_645:
	s_or_b64 exec, exec, s[2:3]
	v_lshrrev_b16_e32 v6, 8, v8
	v_cmp_ne_u16_e32 vcc, 0, v6
	s_and_saveexec_b64 s[2:3], vcc
	s_cbranch_execz .LBB864_651
; %bb.646:
	s_movk_i32 s7, 0x80
	v_cmp_ne_u16_e32 vcc, s7, v6
	v_mov_b32_e32 v7, 0xffff8000
	s_and_saveexec_b64 s[8:9], vcc
	s_cbranch_execz .LBB864_650
; %bb.647:
	s_movk_i32 s7, 0x7f
	v_and_b32_e32 v15, 0x7f, v6
	v_cmp_ne_u32_e32 vcc, s7, v15
	v_mov_b32_e32 v7, 0x7f80
	s_and_saveexec_b64 s[10:11], vcc
	s_cbranch_execz .LBB864_649
; %bb.648:
	v_and_b32_e32 v16, 7, v6
	v_ffbh_u32_e32 v7, v16
	v_min_u32_e32 v18, 32, v7
	v_subrev_u32_e32 v7, 28, v18
	v_lshlrev_b64 v[6:7], v7, v[6:7]
	v_lshrrev_b32_e32 v17, 3, v15
	v_sub_u32_e32 v7, 29, v18
	v_and_b32_e32 v6, 7, v6
	v_cmp_gt_u32_e32 vcc, 8, v15
	v_cndmask_b32_e32 v7, v17, v7, vcc
	v_cndmask_b32_e32 v6, v16, v6, vcc
	v_lshlrev_b32_e32 v15, 16, v8
	v_bfrev_b32_e32 v16, 60
	v_lshlrev_b32_e32 v6, 20, v6
	v_and_b32_e32 v15, 0x80000000, v15
	v_lshl_add_u32 v7, v7, 23, v16
	v_or3_b32 v6, v15, v7, v6
	v_lshrrev_b32_e32 v7, 16, v6
.LBB864_649:
	s_or_b64 exec, exec, s[10:11]
.LBB864_650:
	s_or_b64 exec, exec, s[8:9]
.LBB864_651:
	s_or_b64 exec, exec, s[2:3]
	s_movk_i32 s2, 0xff
	v_and_b32_sdwa v17, v8, s2 dst_sel:DWORD dst_unused:UNUSED_PAD src0_sel:WORD_1 src1_sel:DWORD
	v_lshrrev_b32_e32 v6, 16, v8
	v_cmp_ne_u16_e32 vcc, 0, v17
	v_mov_b32_e32 v15, 0
	v_mov_b32_e32 v16, 0
	s_and_saveexec_b64 s[2:3], vcc
	s_cbranch_execz .LBB864_657
; %bb.652:
	s_movk_i32 s7, 0x80
	v_cmp_ne_u16_e32 vcc, s7, v17
	v_mov_b32_e32 v16, 0xffff8000
	s_and_saveexec_b64 s[8:9], vcc
	s_cbranch_execz .LBB864_656
; %bb.653:
	v_bfe_u32 v17, v8, 16, 7
	s_movk_i32 s7, 0x7f
	v_cmp_ne_u32_e32 vcc, s7, v17
	v_mov_b32_e32 v16, 0x7f80
	s_and_saveexec_b64 s[10:11], vcc
	s_cbranch_execz .LBB864_655
; %bb.654:
	v_and_b32_e32 v16, 7, v6
	v_ffbh_u32_e32 v18, v16
	v_min_u32_e32 v21, 32, v18
	v_subrev_u32_e32 v18, 28, v21
	v_lshlrev_b64 v[18:19], v18, v[6:7]
	v_lshrrev_b32_e32 v20, 3, v17
	v_sub_u32_e32 v6, 29, v21
	v_and_b32_e32 v18, 7, v18
	v_cmp_gt_u32_e32 vcc, 8, v17
	v_mov_b32_e32 v17, 24
	v_cndmask_b32_e32 v6, v20, v6, vcc
	v_cndmask_b32_e32 v16, v16, v18, vcc
	v_lshlrev_b32_sdwa v17, v17, v8 dst_sel:DWORD dst_unused:UNUSED_PAD src0_sel:DWORD src1_sel:WORD_1
	v_bfrev_b32_e32 v18, 60
	v_lshlrev_b32_e32 v16, 20, v16
	v_and_b32_e32 v17, 0x80000000, v17
	v_lshl_add_u32 v6, v6, 23, v18
	v_or3_b32 v6, v17, v6, v16
	v_lshrrev_b32_e32 v16, 16, v6
.LBB864_655:
	s_or_b64 exec, exec, s[10:11]
.LBB864_656:
	s_or_b64 exec, exec, s[8:9]
.LBB864_657:
	s_or_b64 exec, exec, s[2:3]
	s_mov_b32 s2, 0xffffff
	v_cmp_lt_u32_e32 vcc, s2, v8
	s_and_saveexec_b64 s[2:3], vcc
	s_cbranch_execz .LBB864_663
; %bb.658:
	v_lshrrev_b32_e32 v6, 24, v8
	s_movk_i32 s7, 0x80
	v_cmp_ne_u32_e32 vcc, s7, v6
	v_mov_b32_e32 v15, 0xffff8000
	s_and_saveexec_b64 s[8:9], vcc
	s_cbranch_execz .LBB864_662
; %bb.659:
	v_bfe_u32 v8, v8, 24, 7
	s_movk_i32 s7, 0x7f
	v_cmp_ne_u32_e32 vcc, s7, v8
	v_mov_b32_e32 v15, 0x7f80
	s_and_saveexec_b64 s[10:11], vcc
	s_cbranch_execz .LBB864_661
; %bb.660:
	v_and_b32_e32 v15, 7, v6
	v_ffbh_u32_e32 v18, v15
	v_min_u32_e32 v20, 32, v18
	v_subrev_u32_e32 v18, 28, v20
	v_lshlrev_b64 v[18:19], v18, v[6:7]
	v_lshrrev_b32_e32 v17, 3, v8
	v_sub_u32_e32 v19, 29, v20
	v_and_b32_e32 v18, 7, v18
	v_cmp_gt_u32_e32 vcc, 8, v8
	v_cndmask_b32_e32 v8, v17, v19, vcc
	v_cndmask_b32_e32 v15, v15, v18, vcc
	v_lshlrev_b32_e32 v6, 24, v6
	v_bfrev_b32_e32 v17, 60
	v_lshlrev_b32_e32 v15, 20, v15
	v_and_b32_e32 v6, 0x80000000, v6
	v_lshl_add_u32 v8, v8, 23, v17
	v_or3_b32 v6, v6, v8, v15
	v_lshrrev_b32_e32 v15, 16, v6
.LBB864_661:
	s_or_b64 exec, exec, s[10:11]
.LBB864_662:
	s_or_b64 exec, exec, s[8:9]
.LBB864_663:
	s_or_b64 exec, exec, s[2:3]
	v_mov_b32_e32 v8, 0
	v_cmp_ne_u16_sdwa s[8:9], v9, v8 src0_sel:BYTE_0 src1_sel:DWORD
	v_mov_b32_e32 v17, 0
	s_and_saveexec_b64 s[2:3], s[8:9]
	s_cbranch_execz .LBB864_669
; %bb.664:
	s_movk_i32 s7, 0x80
	v_cmp_ne_u16_sdwa s[10:11], v9, s7 src0_sel:BYTE_0 src1_sel:DWORD
	v_mov_b32_e32 v17, 0xffff8000
	s_and_saveexec_b64 s[8:9], s[10:11]
	s_cbranch_execz .LBB864_668
; %bb.665:
	s_movk_i32 s7, 0x7f
	v_and_b32_e32 v6, 0x7f, v9
	v_cmp_ne_u32_e32 vcc, s7, v6
	v_mov_b32_e32 v17, 0x7f80
	s_and_saveexec_b64 s[10:11], vcc
	s_cbranch_execz .LBB864_667
; %bb.666:
	v_and_b32_e32 v17, 7, v9
	v_ffbh_u32_e32 v19, v17
	v_min_u32_e32 v21, 32, v19
	v_mov_b32_e32 v18, v9
	v_subrev_u32_e32 v19, 28, v21
	v_lshlrev_b64 v[18:19], v19, v[18:19]
	v_lshrrev_b32_e32 v20, 3, v6
	v_sub_u32_e32 v19, 29, v21
	v_and_b32_e32 v18, 7, v18
	v_cmp_gt_u32_e32 vcc, 8, v6
	v_cndmask_b32_e32 v6, v20, v19, vcc
	v_cndmask_b32_e32 v17, v17, v18, vcc
	v_lshlrev_b32_e32 v18, 24, v9
	v_bfrev_b32_e32 v19, 60
	v_lshlrev_b32_e32 v17, 20, v17
	v_and_b32_e32 v18, 0x80000000, v18
	v_lshl_add_u32 v6, v6, 23, v19
	v_or3_b32 v6, v18, v6, v17
	v_lshrrev_b32_e32 v17, 16, v6
.LBB864_667:
	s_or_b64 exec, exec, s[10:11]
.LBB864_668:
	s_or_b64 exec, exec, s[8:9]
.LBB864_669:
	s_or_b64 exec, exec, s[2:3]
	v_lshrrev_b16_e32 v6, 8, v9
	v_cmp_ne_u16_e32 vcc, 0, v6
	s_and_saveexec_b64 s[2:3], vcc
	s_cbranch_execz .LBB864_675
; %bb.670:
	s_movk_i32 s7, 0x80
	v_cmp_ne_u16_e32 vcc, s7, v6
	v_mov_b32_e32 v8, 0xffff8000
	s_and_saveexec_b64 s[8:9], vcc
	s_cbranch_execz .LBB864_674
; %bb.671:
	s_movk_i32 s7, 0x7f
	v_and_b32_e32 v18, 0x7f, v6
	v_cmp_ne_u32_e32 vcc, s7, v18
	v_mov_b32_e32 v8, 0x7f80
	s_and_saveexec_b64 s[10:11], vcc
	s_cbranch_execz .LBB864_673
; %bb.672:
	v_and_b32_e32 v8, 7, v6
	v_ffbh_u32_e32 v20, v8
	v_min_u32_e32 v23, 32, v20
	v_subrev_u32_e32 v20, 28, v23
	v_lshlrev_b64 v[20:21], v20, v[6:7]
	v_lshrrev_b32_e32 v19, 3, v18
	v_sub_u32_e32 v6, 29, v23
	v_and_b32_e32 v20, 7, v20
	v_cmp_gt_u32_e32 vcc, 8, v18
	v_cndmask_b32_e32 v6, v19, v6, vcc
	v_cndmask_b32_e32 v8, v8, v20, vcc
	v_lshlrev_b32_e32 v18, 16, v9
	v_bfrev_b32_e32 v19, 60
	v_lshlrev_b32_e32 v8, 20, v8
	v_and_b32_e32 v18, 0x80000000, v18
	v_lshl_add_u32 v6, v6, 23, v19
	v_or3_b32 v6, v18, v6, v8
	v_lshrrev_b32_e32 v8, 16, v6
.LBB864_673:
	s_or_b64 exec, exec, s[10:11]
.LBB864_674:
	s_or_b64 exec, exec, s[8:9]
.LBB864_675:
	s_or_b64 exec, exec, s[2:3]
	s_movk_i32 s2, 0xff
	v_and_b32_sdwa v20, v9, s2 dst_sel:DWORD dst_unused:UNUSED_PAD src0_sel:WORD_1 src1_sel:DWORD
	v_lshrrev_b32_e32 v6, 16, v9
	v_cmp_ne_u16_e32 vcc, 0, v20
	v_mov_b32_e32 v18, 0
	v_mov_b32_e32 v19, 0
	s_and_saveexec_b64 s[2:3], vcc
	s_cbranch_execz .LBB864_681
; %bb.676:
	s_movk_i32 s7, 0x80
	v_cmp_ne_u16_e32 vcc, s7, v20
	v_mov_b32_e32 v19, 0xffff8000
	s_and_saveexec_b64 s[8:9], vcc
	s_cbranch_execz .LBB864_680
; %bb.677:
	v_bfe_u32 v20, v9, 16, 7
	s_movk_i32 s7, 0x7f
	v_cmp_ne_u32_e32 vcc, s7, v20
	v_mov_b32_e32 v19, 0x7f80
	s_and_saveexec_b64 s[10:11], vcc
	s_cbranch_execz .LBB864_679
; %bb.678:
	v_and_b32_e32 v19, 7, v6
	v_ffbh_u32_e32 v23, v19
	v_min_u32_e32 v23, 32, v23
	v_subrev_u32_e32 v24, 28, v23
	v_lshlrev_b64 v[24:25], v24, v[6:7]
	v_lshrrev_b32_e32 v21, 3, v20
	v_sub_u32_e32 v6, 29, v23
	v_and_b32_e32 v23, 7, v24
	v_cmp_gt_u32_e32 vcc, 8, v20
	v_mov_b32_e32 v20, 24
	v_cndmask_b32_e32 v6, v21, v6, vcc
	v_cndmask_b32_e32 v19, v19, v23, vcc
	v_lshlrev_b32_sdwa v20, v20, v9 dst_sel:DWORD dst_unused:UNUSED_PAD src0_sel:DWORD src1_sel:WORD_1
	v_bfrev_b32_e32 v21, 60
	v_lshlrev_b32_e32 v19, 20, v19
	v_and_b32_e32 v20, 0x80000000, v20
	v_lshl_add_u32 v6, v6, 23, v21
	v_or3_b32 v6, v20, v6, v19
	v_lshrrev_b32_e32 v19, 16, v6
.LBB864_679:
	s_or_b64 exec, exec, s[10:11]
.LBB864_680:
	s_or_b64 exec, exec, s[8:9]
.LBB864_681:
	s_or_b64 exec, exec, s[2:3]
	s_mov_b32 s2, 0xffffff
	v_cmp_lt_u32_e32 vcc, s2, v9
	s_and_saveexec_b64 s[2:3], vcc
	s_cbranch_execz .LBB864_687
; %bb.682:
	v_lshrrev_b32_e32 v6, 24, v9
	s_movk_i32 s7, 0x80
	v_cmp_ne_u32_e32 vcc, s7, v6
	v_mov_b32_e32 v18, 0xffff8000
	s_and_saveexec_b64 s[8:9], vcc
	s_cbranch_execz .LBB864_686
; %bb.683:
	v_bfe_u32 v9, v9, 24, 7
	s_movk_i32 s7, 0x7f
	v_cmp_ne_u32_e32 vcc, s7, v9
	v_mov_b32_e32 v18, 0x7f80
	s_and_saveexec_b64 s[10:11], vcc
	s_cbranch_execz .LBB864_685
; %bb.684:
	v_and_b32_e32 v18, 7, v6
	v_ffbh_u32_e32 v20, v18
	v_min_u32_e32 v24, 32, v20
	v_subrev_u32_e32 v20, 28, v24
	v_lshlrev_b64 v[20:21], v20, v[6:7]
	v_lshrrev_b32_e32 v23, 3, v9
	v_sub_u32_e32 v21, 29, v24
	v_and_b32_e32 v20, 7, v20
	v_cmp_gt_u32_e32 vcc, 8, v9
	v_cndmask_b32_e32 v9, v23, v21, vcc
	v_cndmask_b32_e32 v18, v18, v20, vcc
	v_lshlrev_b32_e32 v6, 24, v6
	v_bfrev_b32_e32 v20, 60
	v_lshlrev_b32_e32 v18, 20, v18
	v_and_b32_e32 v6, 0x80000000, v6
	v_lshl_add_u32 v9, v9, 23, v20
	v_or3_b32 v6, v6, v9, v18
	v_lshrrev_b32_e32 v18, 16, v6
.LBB864_685:
	s_or_b64 exec, exec, s[10:11]
.LBB864_686:
	s_or_b64 exec, exec, s[8:9]
.LBB864_687:
	s_or_b64 exec, exec, s[2:3]
	s_mov_b32 s2, 0x5040100
	v_perm_b32 v15, v15, v16, s2
	v_perm_b32 v14, v7, v14, s2
	ds_read_b128 v[24:27], v22 offset:4112
	v_perm_b32 v7, v18, v19, s2
	v_perm_b32 v6, v8, v17, s2
	s_waitcnt lgkmcnt(0)
	v_mfma_f32_16x16x16bf16_1k v[30:33], v[14:15], v[24:25], v[10:13]
	s_nop 6
	v_mov_b32_e32 v11, 0
	s_waitcnt vmcnt(0)
	v_cmp_ne_u16_sdwa s[8:9], v2, v11 src0_sel:BYTE_0 src1_sel:DWORD
	v_mfma_f32_16x16x16bf16_1k v[6:9], v[6:7], v[26:27], v[30:33]
	v_mov_b32_e32 v12, 0
	s_and_saveexec_b64 s[2:3], s[8:9]
	s_cbranch_execz .LBB864_693
; %bb.688:
	s_movk_i32 s7, 0x80
	v_cmp_ne_u16_sdwa s[10:11], v2, s7 src0_sel:BYTE_0 src1_sel:DWORD
	v_mov_b32_e32 v12, 0xffff8000
	s_and_saveexec_b64 s[8:9], s[10:11]
	s_cbranch_execz .LBB864_692
; %bb.689:
	s_movk_i32 s7, 0x7f
	v_and_b32_e32 v10, 0x7f, v2
	v_cmp_ne_u32_e32 vcc, s7, v10
	v_mov_b32_e32 v12, 0x7f80
	s_and_saveexec_b64 s[10:11], vcc
	s_cbranch_execz .LBB864_691
; %bb.690:
	v_and_b32_e32 v14, 7, v2
	v_ffbh_u32_e32 v12, v14
	v_min_u32_e32 v16, 32, v12
	v_subrev_u32_e32 v12, 28, v16
	v_lshlrev_b64 v[12:13], v12, v[2:3]
	v_lshrrev_b32_e32 v15, 3, v10
	v_sub_u32_e32 v13, 29, v16
	v_and_b32_e32 v12, 7, v12
	v_cmp_gt_u32_e32 vcc, 8, v10
	v_cndmask_b32_e32 v10, v15, v13, vcc
	v_cndmask_b32_e32 v12, v14, v12, vcc
	v_lshlrev_b32_e32 v13, 24, v2
	v_bfrev_b32_e32 v14, 60
	v_lshlrev_b32_e32 v12, 20, v12
	v_and_b32_e32 v13, 0x80000000, v13
	v_lshl_add_u32 v10, v10, 23, v14
	v_or3_b32 v10, v13, v10, v12
	v_lshrrev_b32_e32 v12, 16, v10
.LBB864_691:
	s_or_b64 exec, exec, s[10:11]
.LBB864_692:
	s_or_b64 exec, exec, s[8:9]
.LBB864_693:
	s_or_b64 exec, exec, s[2:3]
	v_lshrrev_b16_e32 v10, 8, v2
	v_cmp_ne_u16_e32 vcc, 0, v10
	s_and_saveexec_b64 s[2:3], vcc
	s_cbranch_execz .LBB864_699
; %bb.694:
	s_movk_i32 s7, 0x80
	v_cmp_ne_u16_e32 vcc, s7, v10
	v_mov_b32_e32 v11, 0xffff8000
	s_and_saveexec_b64 s[8:9], vcc
	s_cbranch_execz .LBB864_698
; %bb.695:
	s_movk_i32 s7, 0x7f
	v_and_b32_e32 v13, 0x7f, v10
	v_cmp_ne_u32_e32 vcc, s7, v13
	v_mov_b32_e32 v11, 0x7f80
	s_and_saveexec_b64 s[10:11], vcc
	s_cbranch_execz .LBB864_697
; %bb.696:
	v_and_b32_e32 v14, 7, v10
	v_ffbh_u32_e32 v11, v14
	v_min_u32_e32 v16, 32, v11
	v_subrev_u32_e32 v11, 28, v16
	v_lshlrev_b64 v[10:11], v11, v[10:11]
	v_lshrrev_b32_e32 v15, 3, v13
	v_sub_u32_e32 v11, 29, v16
	v_and_b32_e32 v10, 7, v10
	v_cmp_gt_u32_e32 vcc, 8, v13
	v_cndmask_b32_e32 v11, v15, v11, vcc
	v_cndmask_b32_e32 v10, v14, v10, vcc
	v_lshlrev_b32_e32 v13, 16, v2
	v_bfrev_b32_e32 v14, 60
	v_lshlrev_b32_e32 v10, 20, v10
	v_and_b32_e32 v13, 0x80000000, v13
	v_lshl_add_u32 v11, v11, 23, v14
	v_or3_b32 v10, v13, v11, v10
	v_lshrrev_b32_e32 v11, 16, v10
.LBB864_697:
	s_or_b64 exec, exec, s[10:11]
.LBB864_698:
	s_or_b64 exec, exec, s[8:9]
.LBB864_699:
	s_or_b64 exec, exec, s[2:3]
	s_movk_i32 s2, 0xff
	v_and_b32_sdwa v15, v2, s2 dst_sel:DWORD dst_unused:UNUSED_PAD src0_sel:WORD_1 src1_sel:DWORD
	v_lshrrev_b32_e32 v10, 16, v2
	v_cmp_ne_u16_e32 vcc, 0, v15
	v_mov_b32_e32 v13, 0
	v_mov_b32_e32 v14, 0
	s_and_saveexec_b64 s[2:3], vcc
	s_cbranch_execz .LBB864_705
; %bb.700:
	s_movk_i32 s7, 0x80
	v_cmp_ne_u16_e32 vcc, s7, v15
	v_mov_b32_e32 v14, 0xffff8000
	s_and_saveexec_b64 s[8:9], vcc
	s_cbranch_execz .LBB864_704
; %bb.701:
	v_bfe_u32 v15, v2, 16, 7
	s_movk_i32 s7, 0x7f
	v_cmp_ne_u32_e32 vcc, s7, v15
	v_mov_b32_e32 v14, 0x7f80
	s_and_saveexec_b64 s[10:11], vcc
	s_cbranch_execz .LBB864_703
; %bb.702:
	v_and_b32_e32 v14, 7, v10
	v_ffbh_u32_e32 v16, v14
	v_min_u32_e32 v19, 32, v16
	v_subrev_u32_e32 v16, 28, v19
	v_lshlrev_b64 v[16:17], v16, v[10:11]
	v_lshrrev_b32_e32 v18, 3, v15
	v_sub_u32_e32 v10, 29, v19
	v_and_b32_e32 v16, 7, v16
	v_cmp_gt_u32_e32 vcc, 8, v15
	v_mov_b32_e32 v15, 24
	v_cndmask_b32_e32 v10, v18, v10, vcc
	v_cndmask_b32_e32 v14, v14, v16, vcc
	v_lshlrev_b32_sdwa v15, v15, v2 dst_sel:DWORD dst_unused:UNUSED_PAD src0_sel:DWORD src1_sel:WORD_1
	v_bfrev_b32_e32 v16, 60
	v_lshlrev_b32_e32 v14, 20, v14
	v_and_b32_e32 v15, 0x80000000, v15
	v_lshl_add_u32 v10, v10, 23, v16
	v_or3_b32 v10, v15, v10, v14
	v_lshrrev_b32_e32 v14, 16, v10
.LBB864_703:
	s_or_b64 exec, exec, s[10:11]
.LBB864_704:
	s_or_b64 exec, exec, s[8:9]
.LBB864_705:
	s_or_b64 exec, exec, s[2:3]
	s_mov_b32 s2, 0xffffff
	v_cmp_lt_u32_e32 vcc, s2, v2
	s_and_saveexec_b64 s[2:3], vcc
	s_cbranch_execz .LBB864_711
; %bb.706:
	v_lshrrev_b32_e32 v10, 24, v2
	s_movk_i32 s7, 0x80
	v_cmp_ne_u32_e32 vcc, s7, v10
	v_mov_b32_e32 v13, 0xffff8000
	s_and_saveexec_b64 s[8:9], vcc
	s_cbranch_execz .LBB864_710
; %bb.707:
	v_bfe_u32 v2, v2, 24, 7
	s_movk_i32 s7, 0x7f
	v_cmp_ne_u32_e32 vcc, s7, v2
	v_mov_b32_e32 v13, 0x7f80
	s_and_saveexec_b64 s[10:11], vcc
	s_cbranch_execz .LBB864_709
; %bb.708:
	v_and_b32_e32 v13, 7, v10
	v_ffbh_u32_e32 v16, v13
	v_min_u32_e32 v18, 32, v16
	v_subrev_u32_e32 v16, 28, v18
	v_lshlrev_b64 v[16:17], v16, v[10:11]
	v_lshrrev_b32_e32 v15, 3, v2
	v_sub_u32_e32 v17, 29, v18
	v_and_b32_e32 v16, 7, v16
	v_cmp_gt_u32_e32 vcc, 8, v2
	v_cndmask_b32_e32 v2, v15, v17, vcc
	v_cndmask_b32_e32 v13, v13, v16, vcc
	v_lshlrev_b32_e32 v10, 24, v10
	v_bfrev_b32_e32 v15, 60
	v_lshlrev_b32_e32 v13, 20, v13
	v_and_b32_e32 v10, 0x80000000, v10
	v_lshl_add_u32 v2, v2, 23, v15
	v_or3_b32 v2, v10, v2, v13
	v_lshrrev_b32_e32 v13, 16, v2
.LBB864_709:
	s_or_b64 exec, exec, s[10:11]
.LBB864_710:
	s_or_b64 exec, exec, s[8:9]
.LBB864_711:
	s_or_b64 exec, exec, s[2:3]
	v_mov_b32_e32 v10, 0
	v_cmp_ne_u16_sdwa s[8:9], v3, v10 src0_sel:BYTE_0 src1_sel:DWORD
	v_mov_b32_e32 v15, 0
	s_and_saveexec_b64 s[2:3], s[8:9]
	s_cbranch_execz .LBB864_717
; %bb.712:
	s_movk_i32 s7, 0x80
	v_cmp_ne_u16_sdwa s[10:11], v3, s7 src0_sel:BYTE_0 src1_sel:DWORD
	v_mov_b32_e32 v15, 0xffff8000
	s_and_saveexec_b64 s[8:9], s[10:11]
	s_cbranch_execz .LBB864_716
; %bb.713:
	s_movk_i32 s7, 0x7f
	v_and_b32_e32 v2, 0x7f, v3
	v_cmp_ne_u32_e32 vcc, s7, v2
	v_mov_b32_e32 v15, 0x7f80
	s_and_saveexec_b64 s[10:11], vcc
	s_cbranch_execz .LBB864_715
; %bb.714:
	v_and_b32_e32 v15, 7, v3
	v_ffbh_u32_e32 v17, v15
	v_min_u32_e32 v19, 32, v17
	v_mov_b32_e32 v16, v3
	v_subrev_u32_e32 v17, 28, v19
	v_lshlrev_b64 v[16:17], v17, v[16:17]
	v_lshrrev_b32_e32 v18, 3, v2
	v_sub_u32_e32 v17, 29, v19
	v_and_b32_e32 v16, 7, v16
	v_cmp_gt_u32_e32 vcc, 8, v2
	v_cndmask_b32_e32 v2, v18, v17, vcc
	v_cndmask_b32_e32 v15, v15, v16, vcc
	v_lshlrev_b32_e32 v16, 24, v3
	v_bfrev_b32_e32 v17, 60
	v_lshlrev_b32_e32 v15, 20, v15
	v_and_b32_e32 v16, 0x80000000, v16
	v_lshl_add_u32 v2, v2, 23, v17
	v_or3_b32 v2, v16, v2, v15
	v_lshrrev_b32_e32 v15, 16, v2
.LBB864_715:
	s_or_b64 exec, exec, s[10:11]
.LBB864_716:
	s_or_b64 exec, exec, s[8:9]
.LBB864_717:
	s_or_b64 exec, exec, s[2:3]
	v_lshrrev_b16_e32 v2, 8, v3
	v_cmp_ne_u16_e32 vcc, 0, v2
	s_and_saveexec_b64 s[2:3], vcc
	s_cbranch_execz .LBB864_723
; %bb.718:
	s_movk_i32 s7, 0x80
	v_cmp_ne_u16_e32 vcc, s7, v2
	v_mov_b32_e32 v10, 0xffff8000
	s_and_saveexec_b64 s[8:9], vcc
	s_cbranch_execz .LBB864_722
; %bb.719:
	s_movk_i32 s7, 0x7f
	v_and_b32_e32 v16, 0x7f, v2
	v_cmp_ne_u32_e32 vcc, s7, v16
	v_mov_b32_e32 v10, 0x7f80
	s_and_saveexec_b64 s[10:11], vcc
	s_cbranch_execz .LBB864_721
; %bb.720:
	v_and_b32_e32 v10, 7, v2
	v_ffbh_u32_e32 v18, v10
	v_min_u32_e32 v20, 32, v18
	v_subrev_u32_e32 v18, 28, v20
	v_lshlrev_b64 v[18:19], v18, v[2:3]
	v_lshrrev_b32_e32 v17, 3, v16
	v_sub_u32_e32 v2, 29, v20
	v_and_b32_e32 v18, 7, v18
	v_cmp_gt_u32_e32 vcc, 8, v16
	v_cndmask_b32_e32 v2, v17, v2, vcc
	v_cndmask_b32_e32 v10, v10, v18, vcc
	v_lshlrev_b32_e32 v16, 16, v3
	v_bfrev_b32_e32 v17, 60
	v_lshlrev_b32_e32 v10, 20, v10
	v_and_b32_e32 v16, 0x80000000, v16
	v_lshl_add_u32 v2, v2, 23, v17
	v_or3_b32 v2, v16, v2, v10
	v_lshrrev_b32_e32 v10, 16, v2
.LBB864_721:
	s_or_b64 exec, exec, s[10:11]
.LBB864_722:
	s_or_b64 exec, exec, s[8:9]
.LBB864_723:
	s_or_b64 exec, exec, s[2:3]
	s_movk_i32 s2, 0xff
	v_and_b32_sdwa v18, v3, s2 dst_sel:DWORD dst_unused:UNUSED_PAD src0_sel:WORD_1 src1_sel:DWORD
	v_lshrrev_b32_e32 v2, 16, v3
	v_cmp_ne_u16_e32 vcc, 0, v18
	v_mov_b32_e32 v16, 0
	v_mov_b32_e32 v17, 0
	s_and_saveexec_b64 s[2:3], vcc
	s_cbranch_execz .LBB864_729
; %bb.724:
	s_movk_i32 s7, 0x80
	v_cmp_ne_u16_e32 vcc, s7, v18
	v_mov_b32_e32 v17, 0xffff8000
	s_and_saveexec_b64 s[8:9], vcc
	s_cbranch_execz .LBB864_728
; %bb.725:
	v_bfe_u32 v18, v3, 16, 7
	s_movk_i32 s7, 0x7f
	v_cmp_ne_u32_e32 vcc, s7, v18
	v_mov_b32_e32 v17, 0x7f80
	s_and_saveexec_b64 s[10:11], vcc
	s_cbranch_execz .LBB864_727
; %bb.726:
	v_and_b32_e32 v17, 7, v2
	v_ffbh_u32_e32 v20, v17
	v_min_u32_e32 v23, 32, v20
	v_subrev_u32_e32 v20, 28, v23
	v_lshlrev_b64 v[20:21], v20, v[2:3]
	v_lshrrev_b32_e32 v19, 3, v18
	v_sub_u32_e32 v2, 29, v23
	v_and_b32_e32 v20, 7, v20
	v_cmp_gt_u32_e32 vcc, 8, v18
	v_mov_b32_e32 v18, 24
	v_cndmask_b32_e32 v2, v19, v2, vcc
	v_cndmask_b32_e32 v17, v17, v20, vcc
	v_lshlrev_b32_sdwa v18, v18, v3 dst_sel:DWORD dst_unused:UNUSED_PAD src0_sel:DWORD src1_sel:WORD_1
	v_bfrev_b32_e32 v19, 60
	v_lshlrev_b32_e32 v17, 20, v17
	v_and_b32_e32 v18, 0x80000000, v18
	v_lshl_add_u32 v2, v2, 23, v19
	v_or3_b32 v2, v18, v2, v17
	v_lshrrev_b32_e32 v17, 16, v2
.LBB864_727:
	s_or_b64 exec, exec, s[10:11]
.LBB864_728:
	s_or_b64 exec, exec, s[8:9]
.LBB864_729:
	s_or_b64 exec, exec, s[2:3]
	s_mov_b32 s2, 0xffffff
	v_cmp_lt_u32_e32 vcc, s2, v3
	s_and_saveexec_b64 s[2:3], vcc
	s_cbranch_execz .LBB864_735
; %bb.730:
	v_lshrrev_b32_e32 v2, 24, v3
	s_movk_i32 s7, 0x80
	v_cmp_ne_u32_e32 vcc, s7, v2
	v_mov_b32_e32 v16, 0xffff8000
	s_and_saveexec_b64 s[8:9], vcc
	s_cbranch_execz .LBB864_734
; %bb.731:
	v_bfe_u32 v3, v3, 24, 7
	s_movk_i32 s7, 0x7f
	v_cmp_ne_u32_e32 vcc, s7, v3
	v_mov_b32_e32 v16, 0x7f80
	s_and_saveexec_b64 s[10:11], vcc
	s_cbranch_execz .LBB864_733
; %bb.732:
	v_and_b32_e32 v16, 7, v2
	v_ffbh_u32_e32 v18, v16
	v_min_u32_e32 v21, 32, v18
	v_subrev_u32_e32 v18, 28, v21
	v_lshlrev_b64 v[18:19], v18, v[2:3]
	v_lshrrev_b32_e32 v20, 3, v3
	v_sub_u32_e32 v19, 29, v21
	v_and_b32_e32 v18, 7, v18
	v_cmp_gt_u32_e32 vcc, 8, v3
	v_cndmask_b32_e32 v3, v20, v19, vcc
	v_cndmask_b32_e32 v16, v16, v18, vcc
	v_lshlrev_b32_e32 v2, 24, v2
	v_bfrev_b32_e32 v18, 60
	v_lshlrev_b32_e32 v16, 20, v16
	v_and_b32_e32 v2, 0x80000000, v2
	v_lshl_add_u32 v3, v3, 23, v18
	v_or3_b32 v2, v2, v3, v16
	v_lshrrev_b32_e32 v16, 16, v2
.LBB864_733:
	s_or_b64 exec, exec, s[10:11]
.LBB864_734:
	s_or_b64 exec, exec, s[8:9]
.LBB864_735:
	s_or_b64 exec, exec, s[2:3]
	s_mov_b32 s2, 0x5040100
	v_perm_b32 v3, v13, v14, s2
	v_perm_b32 v2, v11, v12, s2
	ds_read_b128 v[18:21], v22 offset:6144
	v_perm_b32 v13, v16, v17, s2
	v_perm_b32 v12, v10, v15, s2
	s_waitcnt lgkmcnt(0)
	v_mfma_f32_16x16x16bf16_1k v[6:9], v[2:3], v[18:19], v[6:9]
	v_mov_b32_e32 v3, 0
	v_cmp_ne_u16_sdwa s[8:9], v4, v3 src0_sel:BYTE_0 src1_sel:DWORD
	v_mov_b32_e32 v10, 0
	v_mfma_f32_16x16x16bf16_1k v[6:9], v[12:13], v[20:21], v[6:9]
	s_and_saveexec_b64 s[2:3], s[8:9]
	s_cbranch_execz .LBB864_741
; %bb.736:
	s_movk_i32 s7, 0x80
	v_cmp_ne_u16_sdwa s[10:11], v4, s7 src0_sel:BYTE_0 src1_sel:DWORD
	v_mov_b32_e32 v10, 0xffff8000
	s_and_saveexec_b64 s[8:9], s[10:11]
	s_cbranch_execz .LBB864_740
; %bb.737:
	s_movk_i32 s7, 0x7f
	v_and_b32_e32 v2, 0x7f, v4
	v_cmp_ne_u32_e32 vcc, s7, v2
	v_mov_b32_e32 v10, 0x7f80
	s_and_saveexec_b64 s[10:11], vcc
	s_cbranch_execz .LBB864_739
; %bb.738:
	v_and_b32_e32 v12, 7, v4
	v_ffbh_u32_e32 v10, v12
	v_min_u32_e32 v14, 32, v10
	v_subrev_u32_e32 v10, 28, v14
	v_lshlrev_b64 v[10:11], v10, v[4:5]
	v_lshrrev_b32_e32 v13, 3, v2
	v_sub_u32_e32 v11, 29, v14
	v_and_b32_e32 v10, 7, v10
	v_cmp_gt_u32_e32 vcc, 8, v2
	v_cndmask_b32_e32 v2, v13, v11, vcc
	v_cndmask_b32_e32 v10, v12, v10, vcc
	v_lshlrev_b32_e32 v11, 24, v4
	v_bfrev_b32_e32 v12, 60
	v_lshlrev_b32_e32 v10, 20, v10
	v_and_b32_e32 v11, 0x80000000, v11
	v_lshl_add_u32 v2, v2, 23, v12
	v_or3_b32 v2, v11, v2, v10
	v_lshrrev_b32_e32 v10, 16, v2
.LBB864_739:
	s_or_b64 exec, exec, s[10:11]
.LBB864_740:
	s_or_b64 exec, exec, s[8:9]
.LBB864_741:
	s_or_b64 exec, exec, s[2:3]
	v_lshrrev_b16_e32 v2, 8, v4
	v_cmp_ne_u16_e32 vcc, 0, v2
	s_and_saveexec_b64 s[2:3], vcc
	s_cbranch_execz .LBB864_747
; %bb.742:
	s_movk_i32 s7, 0x80
	v_cmp_ne_u16_e32 vcc, s7, v2
	v_mov_b32_e32 v3, 0xffff8000
	s_and_saveexec_b64 s[8:9], vcc
	s_cbranch_execz .LBB864_746
; %bb.743:
	s_movk_i32 s7, 0x7f
	v_and_b32_e32 v11, 0x7f, v2
	v_cmp_ne_u32_e32 vcc, s7, v11
	v_mov_b32_e32 v3, 0x7f80
	s_and_saveexec_b64 s[10:11], vcc
	s_cbranch_execz .LBB864_745
; %bb.744:
	v_and_b32_e32 v12, 7, v2
	v_ffbh_u32_e32 v3, v12
	v_min_u32_e32 v14, 32, v3
	v_subrev_u32_e32 v3, 28, v14
	v_lshlrev_b64 v[2:3], v3, v[2:3]
	v_lshrrev_b32_e32 v13, 3, v11
	v_sub_u32_e32 v3, 29, v14
	v_and_b32_e32 v2, 7, v2
	v_cmp_gt_u32_e32 vcc, 8, v11
	v_cndmask_b32_e32 v3, v13, v3, vcc
	v_cndmask_b32_e32 v2, v12, v2, vcc
	v_lshlrev_b32_e32 v11, 16, v4
	v_bfrev_b32_e32 v12, 60
	v_lshlrev_b32_e32 v2, 20, v2
	v_and_b32_e32 v11, 0x80000000, v11
	v_lshl_add_u32 v3, v3, 23, v12
	v_or3_b32 v2, v11, v3, v2
	v_lshrrev_b32_e32 v3, 16, v2
.LBB864_745:
	s_or_b64 exec, exec, s[10:11]
.LBB864_746:
	s_or_b64 exec, exec, s[8:9]
.LBB864_747:
	s_or_b64 exec, exec, s[2:3]
	s_movk_i32 s2, 0xff
	v_and_b32_sdwa v13, v4, s2 dst_sel:DWORD dst_unused:UNUSED_PAD src0_sel:WORD_1 src1_sel:DWORD
	v_lshrrev_b32_e32 v2, 16, v4
	v_cmp_ne_u16_e32 vcc, 0, v13
	v_mov_b32_e32 v11, 0
	v_mov_b32_e32 v12, 0
	s_and_saveexec_b64 s[2:3], vcc
	s_cbranch_execz .LBB864_753
; %bb.748:
	s_movk_i32 s7, 0x80
	v_cmp_ne_u16_e32 vcc, s7, v13
	v_mov_b32_e32 v12, 0xffff8000
	s_and_saveexec_b64 s[8:9], vcc
	s_cbranch_execz .LBB864_752
; %bb.749:
	v_bfe_u32 v13, v4, 16, 7
	s_movk_i32 s7, 0x7f
	v_cmp_ne_u32_e32 vcc, s7, v13
	v_mov_b32_e32 v12, 0x7f80
	s_and_saveexec_b64 s[10:11], vcc
	s_cbranch_execz .LBB864_751
; %bb.750:
	v_and_b32_e32 v12, 7, v2
	v_ffbh_u32_e32 v14, v12
	v_min_u32_e32 v17, 32, v14
	v_subrev_u32_e32 v14, 28, v17
	v_lshlrev_b64 v[14:15], v14, v[2:3]
	v_lshrrev_b32_e32 v16, 3, v13
	v_sub_u32_e32 v2, 29, v17
	v_and_b32_e32 v14, 7, v14
	v_cmp_gt_u32_e32 vcc, 8, v13
	v_mov_b32_e32 v13, 24
	v_cndmask_b32_e32 v2, v16, v2, vcc
	v_cndmask_b32_e32 v12, v12, v14, vcc
	v_lshlrev_b32_sdwa v13, v13, v4 dst_sel:DWORD dst_unused:UNUSED_PAD src0_sel:DWORD src1_sel:WORD_1
	v_bfrev_b32_e32 v14, 60
	v_lshlrev_b32_e32 v12, 20, v12
	v_and_b32_e32 v13, 0x80000000, v13
	v_lshl_add_u32 v2, v2, 23, v14
	v_or3_b32 v2, v13, v2, v12
	v_lshrrev_b32_e32 v12, 16, v2
.LBB864_751:
	s_or_b64 exec, exec, s[10:11]
.LBB864_752:
	s_or_b64 exec, exec, s[8:9]
.LBB864_753:
	s_or_b64 exec, exec, s[2:3]
	s_mov_b32 s2, 0xffffff
	v_cmp_lt_u32_e32 vcc, s2, v4
	s_and_saveexec_b64 s[2:3], vcc
	s_cbranch_execz .LBB864_759
; %bb.754:
	v_lshrrev_b32_e32 v2, 24, v4
	s_movk_i32 s7, 0x80
	v_cmp_ne_u32_e32 vcc, s7, v2
	v_mov_b32_e32 v11, 0xffff8000
	s_and_saveexec_b64 s[8:9], vcc
	s_cbranch_execz .LBB864_758
; %bb.755:
	v_bfe_u32 v4, v4, 24, 7
	s_movk_i32 s7, 0x7f
	v_cmp_ne_u32_e32 vcc, s7, v4
	v_mov_b32_e32 v11, 0x7f80
	s_and_saveexec_b64 s[10:11], vcc
	s_cbranch_execz .LBB864_757
; %bb.756:
	v_and_b32_e32 v11, 7, v2
	v_ffbh_u32_e32 v14, v11
	v_min_u32_e32 v16, 32, v14
	v_subrev_u32_e32 v14, 28, v16
	v_lshlrev_b64 v[14:15], v14, v[2:3]
	v_lshrrev_b32_e32 v13, 3, v4
	v_sub_u32_e32 v15, 29, v16
	v_and_b32_e32 v14, 7, v14
	v_cmp_gt_u32_e32 vcc, 8, v4
	v_cndmask_b32_e32 v4, v13, v15, vcc
	v_cndmask_b32_e32 v11, v11, v14, vcc
	v_lshlrev_b32_e32 v2, 24, v2
	v_bfrev_b32_e32 v13, 60
	v_lshlrev_b32_e32 v11, 20, v11
	v_and_b32_e32 v2, 0x80000000, v2
	v_lshl_add_u32 v4, v4, 23, v13
	v_or3_b32 v2, v2, v4, v11
	v_lshrrev_b32_e32 v11, 16, v2
.LBB864_757:
	s_or_b64 exec, exec, s[10:11]
.LBB864_758:
	s_or_b64 exec, exec, s[8:9]
.LBB864_759:
	s_or_b64 exec, exec, s[2:3]
	v_mov_b32_e32 v4, 0
	v_cmp_ne_u16_sdwa s[8:9], v5, v4 src0_sel:BYTE_0 src1_sel:DWORD
	v_mov_b32_e32 v13, 0
	s_and_saveexec_b64 s[2:3], s[8:9]
	s_cbranch_execz .LBB864_765
; %bb.760:
	s_movk_i32 s7, 0x80
	v_cmp_ne_u16_sdwa s[10:11], v5, s7 src0_sel:BYTE_0 src1_sel:DWORD
	v_mov_b32_e32 v13, 0xffff8000
	s_and_saveexec_b64 s[8:9], s[10:11]
	s_cbranch_execz .LBB864_764
; %bb.761:
	s_movk_i32 s7, 0x7f
	v_and_b32_e32 v2, 0x7f, v5
	v_cmp_ne_u32_e32 vcc, s7, v2
	v_mov_b32_e32 v13, 0x7f80
	s_and_saveexec_b64 s[10:11], vcc
	s_cbranch_execz .LBB864_763
; %bb.762:
	v_and_b32_e32 v13, 7, v5
	v_ffbh_u32_e32 v15, v13
	v_min_u32_e32 v17, 32, v15
	v_mov_b32_e32 v14, v5
	v_subrev_u32_e32 v15, 28, v17
	v_lshlrev_b64 v[14:15], v15, v[14:15]
	v_lshrrev_b32_e32 v16, 3, v2
	v_sub_u32_e32 v15, 29, v17
	v_and_b32_e32 v14, 7, v14
	v_cmp_gt_u32_e32 vcc, 8, v2
	v_cndmask_b32_e32 v2, v16, v15, vcc
	v_cndmask_b32_e32 v13, v13, v14, vcc
	v_lshlrev_b32_e32 v14, 24, v5
	v_bfrev_b32_e32 v15, 60
	v_lshlrev_b32_e32 v13, 20, v13
	v_and_b32_e32 v14, 0x80000000, v14
	v_lshl_add_u32 v2, v2, 23, v15
	v_or3_b32 v2, v14, v2, v13
	v_lshrrev_b32_e32 v13, 16, v2
.LBB864_763:
	s_or_b64 exec, exec, s[10:11]
.LBB864_764:
	s_or_b64 exec, exec, s[8:9]
.LBB864_765:
	s_or_b64 exec, exec, s[2:3]
	v_lshrrev_b16_e32 v2, 8, v5
	v_cmp_ne_u16_e32 vcc, 0, v2
	s_and_saveexec_b64 s[2:3], vcc
	s_cbranch_execz .LBB864_771
; %bb.766:
	s_movk_i32 s7, 0x80
	v_cmp_ne_u16_e32 vcc, s7, v2
	v_mov_b32_e32 v4, 0xffff8000
	s_and_saveexec_b64 s[8:9], vcc
	s_cbranch_execz .LBB864_770
; %bb.767:
	s_movk_i32 s7, 0x7f
	v_and_b32_e32 v14, 0x7f, v2
	v_cmp_ne_u32_e32 vcc, s7, v14
	v_mov_b32_e32 v4, 0x7f80
	s_and_saveexec_b64 s[10:11], vcc
	s_cbranch_execz .LBB864_769
; %bb.768:
	v_and_b32_e32 v4, 7, v2
	v_ffbh_u32_e32 v16, v4
	v_min_u32_e32 v18, 32, v16
	v_subrev_u32_e32 v16, 28, v18
	v_lshlrev_b64 v[16:17], v16, v[2:3]
	v_lshrrev_b32_e32 v15, 3, v14
	v_sub_u32_e32 v2, 29, v18
	v_and_b32_e32 v16, 7, v16
	v_cmp_gt_u32_e32 vcc, 8, v14
	v_cndmask_b32_e32 v2, v15, v2, vcc
	v_cndmask_b32_e32 v4, v4, v16, vcc
	v_lshlrev_b32_e32 v14, 16, v5
	v_bfrev_b32_e32 v15, 60
	v_lshlrev_b32_e32 v4, 20, v4
	v_and_b32_e32 v14, 0x80000000, v14
	v_lshl_add_u32 v2, v2, 23, v15
	v_or3_b32 v2, v14, v2, v4
	v_lshrrev_b32_e32 v4, 16, v2
.LBB864_769:
	s_or_b64 exec, exec, s[10:11]
.LBB864_770:
	s_or_b64 exec, exec, s[8:9]
.LBB864_771:
	s_or_b64 exec, exec, s[2:3]
	s_movk_i32 s2, 0xff
	v_and_b32_sdwa v16, v5, s2 dst_sel:DWORD dst_unused:UNUSED_PAD src0_sel:WORD_1 src1_sel:DWORD
	v_lshrrev_b32_e32 v2, 16, v5
	v_cmp_ne_u16_e32 vcc, 0, v16
	v_mov_b32_e32 v14, 0
	v_mov_b32_e32 v15, 0
	s_and_saveexec_b64 s[2:3], vcc
	s_cbranch_execz .LBB864_777
; %bb.772:
	s_movk_i32 s7, 0x80
	v_cmp_ne_u16_e32 vcc, s7, v16
	v_mov_b32_e32 v15, 0xffff8000
	s_and_saveexec_b64 s[8:9], vcc
	s_cbranch_execz .LBB864_776
; %bb.773:
	v_bfe_u32 v16, v5, 16, 7
	s_movk_i32 s7, 0x7f
	v_cmp_ne_u32_e32 vcc, s7, v16
	v_mov_b32_e32 v15, 0x7f80
	s_and_saveexec_b64 s[10:11], vcc
	s_cbranch_execz .LBB864_775
; %bb.774:
	v_and_b32_e32 v15, 7, v2
	v_ffbh_u32_e32 v18, v15
	v_min_u32_e32 v20, 32, v18
	v_subrev_u32_e32 v18, 28, v20
	v_lshlrev_b64 v[18:19], v18, v[2:3]
	v_lshrrev_b32_e32 v17, 3, v16
	v_sub_u32_e32 v2, 29, v20
	v_and_b32_e32 v18, 7, v18
	v_cmp_gt_u32_e32 vcc, 8, v16
	v_mov_b32_e32 v16, 24
	v_cndmask_b32_e32 v2, v17, v2, vcc
	v_cndmask_b32_e32 v15, v15, v18, vcc
	v_lshlrev_b32_sdwa v16, v16, v5 dst_sel:DWORD dst_unused:UNUSED_PAD src0_sel:DWORD src1_sel:WORD_1
	v_bfrev_b32_e32 v17, 60
	v_lshlrev_b32_e32 v15, 20, v15
	v_and_b32_e32 v16, 0x80000000, v16
	v_lshl_add_u32 v2, v2, 23, v17
	v_or3_b32 v2, v16, v2, v15
	v_lshrrev_b32_e32 v15, 16, v2
.LBB864_775:
	s_or_b64 exec, exec, s[10:11]
.LBB864_776:
	s_or_b64 exec, exec, s[8:9]
.LBB864_777:
	s_or_b64 exec, exec, s[2:3]
	s_mov_b32 s2, 0xffffff
	v_cmp_lt_u32_e32 vcc, s2, v5
	s_and_saveexec_b64 s[2:3], vcc
	s_cbranch_execz .LBB864_783
; %bb.778:
	v_lshrrev_b32_e32 v2, 24, v5
	s_movk_i32 s7, 0x80
	v_cmp_ne_u32_e32 vcc, s7, v2
	v_mov_b32_e32 v14, 0xffff8000
	s_and_saveexec_b64 s[8:9], vcc
	s_cbranch_execz .LBB864_782
; %bb.779:
	v_bfe_u32 v5, v5, 24, 7
	s_movk_i32 s7, 0x7f
	v_cmp_ne_u32_e32 vcc, s7, v5
	v_mov_b32_e32 v14, 0x7f80
	s_and_saveexec_b64 s[10:11], vcc
	s_cbranch_execz .LBB864_781
; %bb.780:
	v_and_b32_e32 v14, 7, v2
	v_ffbh_u32_e32 v16, v14
	v_min_u32_e32 v19, 32, v16
	v_subrev_u32_e32 v16, 28, v19
	v_lshlrev_b64 v[16:17], v16, v[2:3]
	v_lshrrev_b32_e32 v18, 3, v5
	v_sub_u32_e32 v17, 29, v19
	v_and_b32_e32 v16, 7, v16
	v_cmp_gt_u32_e32 vcc, 8, v5
	v_cndmask_b32_e32 v5, v18, v17, vcc
	v_cndmask_b32_e32 v14, v14, v16, vcc
	v_lshlrev_b32_e32 v2, 24, v2
	v_bfrev_b32_e32 v16, 60
	v_lshlrev_b32_e32 v14, 20, v14
	v_and_b32_e32 v2, 0x80000000, v2
	v_lshl_add_u32 v5, v5, 23, v16
	v_or3_b32 v2, v2, v5, v14
	v_lshrrev_b32_e32 v14, 16, v2
.LBB864_781:
	s_or_b64 exec, exec, s[10:11]
.LBB864_782:
	s_or_b64 exec, exec, s[8:9]
.LBB864_783:
	s_or_b64 exec, exec, s[2:3]
	s_mov_b32 s3, 0x5040100
	v_perm_b32 v11, v11, v12, s3
	ds_read_b128 v[16:19], v22 offset:6160
	v_perm_b32 v10, v3, v10, s3
	v_perm_b32 v3, v14, v15, s3
	;; [unrolled: 1-line block ×3, first 2 shown]
	s_waitcnt lgkmcnt(0)
	v_mfma_f32_16x16x16bf16_1k v[6:9], v[10:11], v[16:17], v[6:9]
	s_load_dword s2, s[42:43], 0x0
	s_mov_b32 s3, 0x7060302
	s_movk_i32 s7, 0x7fff
	v_cmp_gt_u32_e32 vcc, 64, v0
	s_waitcnt lgkmcnt(0)
	s_barrier
	v_mfma_f32_16x16x16bf16_1k v[2:5], v[2:3], v[18:19], v[6:9]
	s_nop 7
	s_nop 2
	v_pk_mul_f32 v[4:5], v[4:5], s[2:3] op_sel_hi:[1,0]
	v_pk_mul_f32 v[2:3], v[2:3], s[2:3] op_sel_hi:[1,0]
	v_bfe_u32 v6, v3, 16, 1
	v_bfe_u32 v7, v2, 16, 1
	;; [unrolled: 1-line block ×4, first 2 shown]
	v_add3_u32 v2, v2, v7, s7
	v_add3_u32 v3, v3, v6, s7
	;; [unrolled: 1-line block ×4, first 2 shown]
	v_perm_b32 v2, v3, v2, s3
	v_perm_b32 v3, v5, v4, s3
	v_cmp_ne_u32_e64 s[2:3], 3, v47
	s_and_b64 s[2:3], s[2:3], vcc
	s_and_b64 s[0:1], s[2:3], s[0:1]
	ds_write_b64 v28, v[2:3]
	s_waitcnt lgkmcnt(0)
	s_barrier
	s_and_saveexec_b64 s[2:3], s[0:1]
	s_cbranch_execz .LBB864_785
; %bb.784:
	s_load_dwordx2 s[0:1], s[4:5], 0x68
	s_mul_i32 s2, s12, s6
	s_lshl_b32 s4, s44, 6
	s_mul_hi_u32 s3, s2, s4
	s_mul_i32 s2, s2, s4
	s_lshl_b64 s[2:3], s[2:3], 1
	s_waitcnt lgkmcnt(0)
	s_add_u32 s2, s0, s2
	s_addc_u32 s3, s1, s3
	s_lshl_b32 s0, s24, 6
	s_mov_b32 s1, 0
	v_lshlrev_b32_e32 v0, 10, v0
	s_lshl_b64 s[0:1], s[0:1], 1
	v_and_b32_e32 v0, 0x1800, v0
	v_lshlrev_b32_e32 v2, 5, v47
	v_and_b32_e32 v3, 16, v48
	s_add_u32 s2, s2, s0
	v_or3_b32 v0, v0, v2, v3
	s_addc_u32 s3, s3, s1
	v_mad_u64_u32 v[6:7], s[0:1], s4, v46, 0
	ds_read_b128 v[2:5], v0
	v_lshlrev_b64 v[6:7], 1, v[6:7]
	v_mov_b32_e32 v0, s3
	v_add_co_u32_e32 v6, vcc, s2, v6
	v_addc_co_u32_e32 v7, vcc, v0, v7, vcc
	v_add_co_u32_e32 v0, vcc, v6, v1
	v_addc_co_u32_e32 v1, vcc, 0, v7, vcc
	s_waitcnt lgkmcnt(0)
	global_store_dwordx4 v[0:1], v[2:5], off
.LBB864_785:
	s_endpgm
	.section	.rodata,"a",@progbits
	.p2align	6, 0x0
	.amdhsa_kernel _Z39paged_attention_ll4mi_QKV_mfma16_kernelI14__hip_bfloat16hLN4vllm18Fp8KVCacheDataTypeE1ES0_Li16ELi64ELi256ELb0ELi3EL8MFMAType0EEvPKT_PKT0_S9_ifPKiSB_SB_iPKfiiiPfSE_PS4_PT2_iSD_SD_
		.amdhsa_group_segment_fixed_size 8192
		.amdhsa_private_segment_fixed_size 0
		.amdhsa_kernarg_size 400
		.amdhsa_user_sgpr_count 6
		.amdhsa_user_sgpr_private_segment_buffer 1
		.amdhsa_user_sgpr_dispatch_ptr 0
		.amdhsa_user_sgpr_queue_ptr 0
		.amdhsa_user_sgpr_kernarg_segment_ptr 1
		.amdhsa_user_sgpr_dispatch_id 0
		.amdhsa_user_sgpr_flat_scratch_init 0
		.amdhsa_user_sgpr_kernarg_preload_length 0
		.amdhsa_user_sgpr_kernarg_preload_offset 0
		.amdhsa_user_sgpr_private_segment_size 0
		.amdhsa_uses_dynamic_stack 0
		.amdhsa_system_sgpr_private_segment_wavefront_offset 0
		.amdhsa_system_sgpr_workgroup_id_x 1
		.amdhsa_system_sgpr_workgroup_id_y 1
		.amdhsa_system_sgpr_workgroup_id_z 1
		.amdhsa_system_sgpr_workgroup_info 0
		.amdhsa_system_vgpr_workitem_id 0
		.amdhsa_next_free_vgpr 62
		.amdhsa_next_free_sgpr 47
		.amdhsa_accum_offset 64
		.amdhsa_reserve_vcc 1
		.amdhsa_reserve_flat_scratch 0
		.amdhsa_float_round_mode_32 0
		.amdhsa_float_round_mode_16_64 0
		.amdhsa_float_denorm_mode_32 3
		.amdhsa_float_denorm_mode_16_64 3
		.amdhsa_dx10_clamp 1
		.amdhsa_ieee_mode 1
		.amdhsa_fp16_overflow 0
		.amdhsa_tg_split 0
		.amdhsa_exception_fp_ieee_invalid_op 0
		.amdhsa_exception_fp_denorm_src 0
		.amdhsa_exception_fp_ieee_div_zero 0
		.amdhsa_exception_fp_ieee_overflow 0
		.amdhsa_exception_fp_ieee_underflow 0
		.amdhsa_exception_fp_ieee_inexact 0
		.amdhsa_exception_int_div_zero 0
	.end_amdhsa_kernel
	.section	.text._Z39paged_attention_ll4mi_QKV_mfma16_kernelI14__hip_bfloat16hLN4vllm18Fp8KVCacheDataTypeE1ES0_Li16ELi64ELi256ELb0ELi3EL8MFMAType0EEvPKT_PKT0_S9_ifPKiSB_SB_iPKfiiiPfSE_PS4_PT2_iSD_SD_,"axG",@progbits,_Z39paged_attention_ll4mi_QKV_mfma16_kernelI14__hip_bfloat16hLN4vllm18Fp8KVCacheDataTypeE1ES0_Li16ELi64ELi256ELb0ELi3EL8MFMAType0EEvPKT_PKT0_S9_ifPKiSB_SB_iPKfiiiPfSE_PS4_PT2_iSD_SD_,comdat
.Lfunc_end864:
	.size	_Z39paged_attention_ll4mi_QKV_mfma16_kernelI14__hip_bfloat16hLN4vllm18Fp8KVCacheDataTypeE1ES0_Li16ELi64ELi256ELb0ELi3EL8MFMAType0EEvPKT_PKT0_S9_ifPKiSB_SB_iPKfiiiPfSE_PS4_PT2_iSD_SD_, .Lfunc_end864-_Z39paged_attention_ll4mi_QKV_mfma16_kernelI14__hip_bfloat16hLN4vllm18Fp8KVCacheDataTypeE1ES0_Li16ELi64ELi256ELb0ELi3EL8MFMAType0EEvPKT_PKT0_S9_ifPKiSB_SB_iPKfiiiPfSE_PS4_PT2_iSD_SD_
                                        ; -- End function
	.section	.AMDGPU.csdata,"",@progbits
; Kernel info:
; codeLenInByte = 28244
; NumSgprs: 51
; NumVgprs: 62
; NumAgprs: 0
; TotalNumVgprs: 62
; ScratchSize: 0
; MemoryBound: 0
; FloatMode: 240
; IeeeMode: 1
; LDSByteSize: 8192 bytes/workgroup (compile time only)
; SGPRBlocks: 6
; VGPRBlocks: 7
; NumSGPRsForWavesPerEU: 51
; NumVGPRsForWavesPerEU: 62
; AccumOffset: 64
; Occupancy: 8
; WaveLimiterHint : 1
; COMPUTE_PGM_RSRC2:SCRATCH_EN: 0
; COMPUTE_PGM_RSRC2:USER_SGPR: 6
; COMPUTE_PGM_RSRC2:TRAP_HANDLER: 0
; COMPUTE_PGM_RSRC2:TGID_X_EN: 1
; COMPUTE_PGM_RSRC2:TGID_Y_EN: 1
; COMPUTE_PGM_RSRC2:TGID_Z_EN: 1
; COMPUTE_PGM_RSRC2:TIDIG_COMP_CNT: 0
; COMPUTE_PGM_RSRC3_GFX90A:ACCUM_OFFSET: 15
; COMPUTE_PGM_RSRC3_GFX90A:TG_SPLIT: 0
	.section	.text._Z39paged_attention_ll4mi_QKV_mfma16_kernelI14__hip_bfloat16hLN4vllm18Fp8KVCacheDataTypeE1ES0_Li16ELi64ELi256ELb0ELi4EL8MFMAType0EEvPKT_PKT0_S9_ifPKiSB_SB_iPKfiiiPfSE_PS4_PT2_iSD_SD_,"axG",@progbits,_Z39paged_attention_ll4mi_QKV_mfma16_kernelI14__hip_bfloat16hLN4vllm18Fp8KVCacheDataTypeE1ES0_Li16ELi64ELi256ELb0ELi4EL8MFMAType0EEvPKT_PKT0_S9_ifPKiSB_SB_iPKfiiiPfSE_PS4_PT2_iSD_SD_,comdat
	.protected	_Z39paged_attention_ll4mi_QKV_mfma16_kernelI14__hip_bfloat16hLN4vllm18Fp8KVCacheDataTypeE1ES0_Li16ELi64ELi256ELb0ELi4EL8MFMAType0EEvPKT_PKT0_S9_ifPKiSB_SB_iPKfiiiPfSE_PS4_PT2_iSD_SD_ ; -- Begin function _Z39paged_attention_ll4mi_QKV_mfma16_kernelI14__hip_bfloat16hLN4vllm18Fp8KVCacheDataTypeE1ES0_Li16ELi64ELi256ELb0ELi4EL8MFMAType0EEvPKT_PKT0_S9_ifPKiSB_SB_iPKfiiiPfSE_PS4_PT2_iSD_SD_
	.globl	_Z39paged_attention_ll4mi_QKV_mfma16_kernelI14__hip_bfloat16hLN4vllm18Fp8KVCacheDataTypeE1ES0_Li16ELi64ELi256ELb0ELi4EL8MFMAType0EEvPKT_PKT0_S9_ifPKiSB_SB_iPKfiiiPfSE_PS4_PT2_iSD_SD_
	.p2align	8
	.type	_Z39paged_attention_ll4mi_QKV_mfma16_kernelI14__hip_bfloat16hLN4vllm18Fp8KVCacheDataTypeE1ES0_Li16ELi64ELi256ELb0ELi4EL8MFMAType0EEvPKT_PKT0_S9_ifPKiSB_SB_iPKfiiiPfSE_PS4_PT2_iSD_SD_,@function
_Z39paged_attention_ll4mi_QKV_mfma16_kernelI14__hip_bfloat16hLN4vllm18Fp8KVCacheDataTypeE1ES0_Li16ELi64ELi256ELb0ELi4EL8MFMAType0EEvPKT_PKT0_S9_ifPKiSB_SB_iPKfiiiPfSE_PS4_PT2_iSD_SD_: ; @_Z39paged_attention_ll4mi_QKV_mfma16_kernelI14__hip_bfloat16hLN4vllm18Fp8KVCacheDataTypeE1ES0_Li16ELi64ELi256ELb0ELi4EL8MFMAType0EEvPKT_PKT0_S9_ifPKiSB_SB_iPKfiiiPfSE_PS4_PT2_iSD_SD_
; %bb.0:
	s_load_dwordx2 s[0:1], s[4:5], 0x30
	s_mov_b32 s22, s7
	s_mov_b64 s[10:11], 0
	s_waitcnt lgkmcnt(0)
	s_cmp_lg_u64 s[0:1], 0
	s_cselect_b64 s[2:3], -1, 0
	s_and_b64 vcc, exec, s[2:3]
	s_cbranch_vccz .LBB865_7
; %bb.1:
	s_add_i32 s12, s6, 1
	s_mov_b32 s13, 0
	s_lshl_b64 s[14:15], s[12:13], 2
	s_add_u32 s14, s0, s14
	s_mov_b32 s7, s13
	s_addc_u32 s15, s1, s15
	s_lshl_b64 s[12:13], s[6:7], 2
	s_add_u32 s12, s0, s12
	s_addc_u32 s13, s1, s13
	s_load_dword s9, s[14:15], 0x0
	s_load_dword s16, s[12:13], 0x0
	s_waitcnt lgkmcnt(0)
	s_sub_i32 s9, s9, s16
	s_cmp_eq_u32 s9, 1
	s_cselect_b64 s[12:13], -1, 0
	s_andn2_b64 vcc, exec, s[10:11]
	s_cbranch_vccnz .LBB865_3
.LBB865_2:
	s_mov_b32 s7, 0
	s_mov_b64 s[12:13], -1
.LBB865_3:
	s_andn2_b64 vcc, exec, s[12:13]
	s_cbranch_vccnz .LBB865_785
; %bb.4:
	s_load_dwordx2 s[12:13], s[4:5], 0x28
	s_lshl_b64 s[10:11], s[6:7], 2
	s_waitcnt lgkmcnt(0)
	s_add_u32 s12, s12, s10
	s_addc_u32 s13, s13, s11
	s_load_dword s33, s[12:13], 0x0
	s_lshl_b32 s20, s22, 8
	s_waitcnt lgkmcnt(0)
	s_cmp_ge_i32 s20, s33
	s_cbranch_scc1 .LBB865_785
; %bb.5:
	s_add_i32 s14, s33, 15
	s_load_dwordx2 s[12:13], s[4:5], 0x20
	s_load_dword s9, s[4:5], 0x38
	s_ashr_i32 s15, s14, 31
	v_and_b32_e32 v1, 0xcf, v0
	s_lshr_b32 s15, s15, 28
	v_add_u32_e32 v1, s20, v1
	s_add_i32 s14, s14, s15
	v_ashrrev_i32_e32 v2, 31, v1
	s_ashr_i32 s24, s14, 4
	v_lshrrev_b32_e32 v4, 28, v2
	s_add_i32 s24, s24, -1
	v_add_u32_e32 v2, v1, v4
	s_waitcnt lgkmcnt(0)
	s_mul_i32 s14, s6, s9
	s_mov_b32 s15, 0
	v_ashrrev_i32_e32 v2, 4, v2
	v_mov_b32_e32 v5, s24
	v_cmp_gt_i32_e32 vcc, s33, v1
	s_lshl_b64 s[14:15], s[14:15], 2
	v_cndmask_b32_e32 v2, v5, v2, vcc
	s_add_u32 s9, s12, s14
	v_ashrrev_i32_e32 v3, 31, v2
	s_addc_u32 s21, s13, s15
	v_lshlrev_b64 v[2:3], 2, v[2:3]
	v_mov_b32_e32 v7, s21
	v_add_co_u32_e32 v6, vcc, s9, v2
	v_or_b32_e32 v2, 16, v1
	v_addc_co_u32_e32 v7, vcc, v7, v3, vcc
	v_add_u32_e32 v3, v2, v4
	v_ashrrev_i32_e32 v3, 4, v3
	v_cmp_gt_i32_e32 vcc, s33, v2
	v_cndmask_b32_e32 v2, v5, v3, vcc
	v_ashrrev_i32_e32 v3, 31, v2
	v_lshlrev_b64 v[2:3], 2, v[2:3]
	v_mov_b32_e32 v9, s21
	v_add_co_u32_e32 v8, vcc, s9, v2
	v_or_b32_e32 v2, 32, v1
	v_addc_co_u32_e32 v9, vcc, v9, v3, vcc
	v_add_u32_e32 v3, v2, v4
	v_ashrrev_i32_e32 v3, 4, v3
	v_cmp_gt_i32_e32 vcc, s33, v2
	v_cndmask_b32_e32 v2, v5, v3, vcc
	v_ashrrev_i32_e32 v3, 31, v2
	;; [unrolled: 10-line block ×3, first 2 shown]
	v_lshlrev_b64 v[2:3], 2, v[2:3]
	v_mov_b32_e32 v1, s21
	v_add_co_u32_e32 v12, vcc, s9, v2
	v_addc_co_u32_e32 v13, vcc, v1, v3, vcc
	global_load_dword v4, v[6:7], off
	global_load_dword v5, v[8:9], off
	;; [unrolled: 1-line block ×4, first 2 shown]
	s_load_dwordx4 s[12:15], s[4:5], 0x8
	s_andn2_b64 vcc, exec, s[2:3]
	s_cbranch_vccnz .LBB865_8
; %bb.6:
	s_add_u32 s0, s0, s10
	s_addc_u32 s1, s1, s11
	s_load_dword s2, s[0:1], 0x0
	s_branch .LBB865_9
.LBB865_7:
	s_mov_b64 s[12:13], 0
	s_branch .LBB865_2
.LBB865_8:
	s_mov_b32 s2, s6
.LBB865_9:
	s_load_dwordx4 s[16:19], s[4:5], 0x48
	v_and_b32_e32 v51, 15, v0
	v_bfe_u32 v49, v0, 4, 2
	s_lshl_b32 s23, s8, 2
	v_lshlrev_b32_e32 v1, 3, v51
	v_cmp_gt_u32_e32 vcc, 64, v0
	v_cmp_gt_u32_e64 s[0:1], 8, v51
	v_lshrrev_b32_e32 v50, 6, v0
	v_or_b32_e32 v46, s23, v49
	s_and_b64 s[44:45], vcc, s[0:1]
	v_lshlrev_b32_e32 v1, 1, v1
	v_lshlrev_b32_e32 v47, 5, v49
	;; [unrolled: 1-line block ×3, first 2 shown]
	s_and_saveexec_b64 s[0:1], s[44:45]
	s_cbranch_execz .LBB865_11
; %bb.10:
	s_load_dwordx2 s[10:11], s[4:5], 0x0
	s_waitcnt lgkmcnt(0)
	s_ashr_i32 s3, s16, 31
	s_mul_hi_u32 s19, s2, s16
	s_mul_i32 s3, s2, s3
	s_add_i32 s3, s19, s3
	s_mul_i32 s2, s2, s16
	s_lshl_b64 s[2:3], s[2:3], 1
	v_lshlrev_b32_e32 v6, 6, v46
	s_add_u32 s2, s10, s2
	v_ashrrev_i32_e32 v7, 31, v6
	s_addc_u32 s3, s11, s3
	v_lshlrev_b64 v[6:7], 1, v[6:7]
	v_mov_b32_e32 v8, s3
	v_add_co_u32_e32 v6, vcc, s2, v6
	v_addc_co_u32_e32 v7, vcc, v8, v7, vcc
	v_add_co_u32_e32 v6, vcc, v6, v1
	v_addc_co_u32_e32 v7, vcc, 0, v7, vcc
	global_load_dwordx4 v[6:9], v[6:7], off
	v_lshlrev_b32_e32 v12, 8, v51
	v_lshl_or_b32 v10, v50, 7, v47
	v_and_b32_e32 v11, 16, v48
	v_and_b32_e32 v12, 0xe00, v12
	v_or3_b32 v10, v12, v10, v11
	s_waitcnt vmcnt(0)
	ds_write_b128 v10, v[6:9]
.LBB865_11:
	s_or_b64 exec, exec, s[0:1]
	v_and_b32_e32 v12, 48, v0
	v_or_b32_e32 v13, s20, v12
	v_ashrrev_i32_e32 v6, 4, v13
	v_mov_b32_e32 v14, s24
	v_cmp_gt_i32_e32 vcc, s33, v13
	v_cndmask_b32_e32 v6, v14, v6, vcc
	v_ashrrev_i32_e32 v7, 31, v6
	v_lshlrev_b64 v[6:7], 2, v[6:7]
	v_mov_b32_e32 v8, s21
	v_add_co_u32_e32 v6, vcc, s9, v6
	v_addc_co_u32_e32 v7, vcc, v8, v7, vcc
	v_or_b32_e32 v8, 64, v13
	v_ashrrev_i32_e32 v9, 4, v8
	v_cmp_gt_i32_e32 vcc, s33, v8
	v_cndmask_b32_e32 v8, v14, v9, vcc
	v_ashrrev_i32_e32 v9, 31, v8
	v_lshlrev_b64 v[8:9], 2, v[8:9]
	v_mov_b32_e32 v10, s21
	v_add_co_u32_e32 v8, vcc, s9, v8
	v_addc_co_u32_e32 v9, vcc, v10, v9, vcc
	v_or_b32_e32 v10, 0x80, v13
	v_ashrrev_i32_e32 v11, 4, v10
	v_cmp_gt_i32_e32 vcc, s33, v10
	v_cndmask_b32_e32 v10, v14, v11, vcc
	v_ashrrev_i32_e32 v11, 31, v10
	v_lshlrev_b64 v[10:11], 2, v[10:11]
	v_mov_b32_e32 v15, s21
	v_add_co_u32_e32 v10, vcc, s9, v10
	s_load_dwordx2 s[46:47], s[4:5], 0x94
	s_load_dwordx4 s[40:43], s[4:5], 0x80
	s_waitcnt lgkmcnt(0)
	s_barrier
	v_addc_co_u32_e32 v11, vcc, v15, v11, vcc
	global_load_dword v15, v[6:7], off
	global_load_dword v16, v[8:9], off
	;; [unrolled: 1-line block ×3, first 2 shown]
	v_or_b32_e32 v6, 0xc0, v13
	v_ashrrev_i32_e32 v7, 4, v6
	v_cmp_gt_i32_e32 vcc, s33, v6
	v_cndmask_b32_e32 v6, v14, v7, vcc
	v_ashrrev_i32_e32 v7, 31, v6
	v_lshlrev_b64 v[6:7], 2, v[6:7]
	v_mov_b32_e32 v8, s21
	v_add_co_u32_e32 v6, vcc, s9, v6
	v_addc_co_u32_e32 v7, vcc, v8, v7, vcc
	global_load_dword v20, v[6:7], off
	s_mul_i32 s8, s8, s18
	s_add_u32 s0, s12, s8
	s_addc_u32 s1, s13, 0
	v_and_b32_e32 v6, 0xf0, v48
	v_mov_b32_e32 v7, s1
	v_add_co_u32_e32 v6, vcc, s0, v6
	v_addc_co_u32_e32 v7, vcc, 0, v7, vcc
	v_lshlrev_b32_e32 v8, 4, v12
	v_add_co_u32_e32 v6, vcc, v6, v8
	v_addc_co_u32_e32 v7, vcc, 0, v7, vcc
	s_waitcnt vmcnt(7)
	v_mad_i64_i32 v[8:9], s[0:1], v4, s17, v[6:7]
	s_waitcnt vmcnt(6)
	v_mad_i64_i32 v[4:5], s[0:1], v5, s17, v[6:7]
	global_load_dwordx4 v[30:33], v[8:9], off
	global_load_dwordx4 v[38:41], v[4:5], off
	s_waitcnt vmcnt(7)
	v_mad_i64_i32 v[4:5], s[0:1], v2, s17, v[6:7]
	s_waitcnt vmcnt(6)
	v_mad_i64_i32 v[2:3], s[0:1], v3, s17, v[6:7]
	global_load_dwordx4 v[34:37], v[4:5], off
	global_load_dwordx4 v[22:25], v[2:3], off
	s_add_u32 s0, s14, s8
	v_lshlrev_b32_e32 v2, 4, v51
	s_addc_u32 s1, s15, 0
	v_lshl_or_b32 v2, v50, 8, v2
	v_mov_b32_e32 v3, s1
	v_add_co_u32_e32 v2, vcc, s0, v2
	v_addc_co_u32_e32 v3, vcc, 0, v3, vcc
	v_mov_b32_e32 v44, 0
	v_mov_b32_e32 v43, 0
	s_movk_i32 s2, 0x80
	s_waitcnt vmcnt(7)
	v_mad_i64_i32 v[4:5], s[0:1], v15, s17, v[2:3]
	s_waitcnt vmcnt(6)
	v_mad_i64_i32 v[6:7], s[0:1], v16, s17, v[2:3]
	;; [unrolled: 2-line block ×3, first 2 shown]
	global_load_dwordx4 v[14:17], v[4:5], off
	global_load_dwordx4 v[10:13], v[6:7], off
	s_waitcnt vmcnt(6)
	v_mad_i64_i32 v[20:21], s[0:1], v20, s17, v[2:3]
	global_load_dwordx4 v[6:9], v[18:19], off
	global_load_dwordx4 v[2:5], v[20:21], off
	v_and_b32_e32 v18, 3, v0
	v_lshlrev_b32_e32 v18, 5, v18
	v_lshl_or_b32 v18, v49, 9, v18
	ds_read_b128 v[26:29], v18
	ds_read_b128 v[18:21], v18 offset:16
	s_load_dword s10, s[40:41], 0x0
	s_waitcnt vmcnt(7)
	v_cmp_ne_u16_sdwa s[8:9], v30, v44 src0_sel:BYTE_0 src1_sel:DWORD
	s_and_saveexec_b64 s[0:1], s[8:9]
	s_cbranch_execz .LBB865_17
; %bb.12:
	v_cmp_ne_u16_sdwa s[8:9], v30, s2 src0_sel:BYTE_0 src1_sel:DWORD
	v_mov_b32_e32 v43, 0xffff8000
	s_and_saveexec_b64 s[2:3], s[8:9]
	s_cbranch_execz .LBB865_16
; %bb.13:
	s_movk_i32 s8, 0x7f
	v_and_b32_e32 v42, 0x7f, v30
	v_cmp_ne_u32_e32 vcc, s8, v42
	v_mov_b32_e32 v43, 0x7f80
	s_and_saveexec_b64 s[8:9], vcc
	s_cbranch_execz .LBB865_15
; %bb.14:
	v_and_b32_e32 v43, 7, v30
	v_ffbh_u32_e32 v52, v43
	v_min_u32_e32 v54, 32, v52
	v_subrev_u32_e32 v52, 28, v54
	v_lshlrev_b64 v[52:53], v52, v[30:31]
	v_lshrrev_b32_e32 v45, 3, v42
	v_sub_u32_e32 v53, 29, v54
	v_and_b32_e32 v52, 7, v52
	v_cmp_gt_u32_e32 vcc, 8, v42
	v_cndmask_b32_e32 v42, v45, v53, vcc
	v_cndmask_b32_e32 v43, v43, v52, vcc
	v_lshlrev_b32_e32 v45, 24, v30
	v_bfrev_b32_e32 v52, 60
	v_lshlrev_b32_e32 v43, 20, v43
	v_and_b32_e32 v45, 0x80000000, v45
	v_lshl_add_u32 v42, v42, 23, v52
	v_or3_b32 v42, v45, v42, v43
	v_lshrrev_b32_e32 v43, 16, v42
.LBB865_15:
	s_or_b64 exec, exec, s[8:9]
.LBB865_16:
	s_or_b64 exec, exec, s[2:3]
.LBB865_17:
	s_or_b64 exec, exec, s[0:1]
	v_lshrrev_b16_e32 v42, 8, v30
	v_cmp_ne_u16_e32 vcc, 0, v42
	s_and_saveexec_b64 s[0:1], vcc
	s_cbranch_execz .LBB865_23
; %bb.18:
	s_movk_i32 s2, 0x80
	v_cmp_ne_u16_e32 vcc, s2, v42
	v_mov_b32_e32 v44, 0xffff8000
	s_and_saveexec_b64 s[2:3], vcc
	s_cbranch_execz .LBB865_22
; %bb.19:
	s_movk_i32 s8, 0x7f
	v_and_b32_e32 v45, 0x7f, v42
	v_cmp_ne_u32_e32 vcc, s8, v45
	v_mov_b32_e32 v44, 0x7f80
	s_and_saveexec_b64 s[8:9], vcc
	s_cbranch_execz .LBB865_21
; %bb.20:
	v_and_b32_e32 v44, 7, v42
	v_ffbh_u32_e32 v52, v44
	v_min_u32_e32 v55, 32, v52
	v_subrev_u32_e32 v52, 28, v55
	v_lshlrev_b64 v[52:53], v52, v[42:43]
	v_lshrrev_b32_e32 v54, 3, v45
	v_sub_u32_e32 v42, 29, v55
	v_and_b32_e32 v52, 7, v52
	v_cmp_gt_u32_e32 vcc, 8, v45
	v_cndmask_b32_e32 v42, v54, v42, vcc
	v_cndmask_b32_e32 v44, v44, v52, vcc
	v_lshlrev_b32_e32 v45, 16, v30
	v_bfrev_b32_e32 v52, 60
	v_lshlrev_b32_e32 v44, 20, v44
	v_and_b32_e32 v45, 0x80000000, v45
	v_lshl_add_u32 v42, v42, 23, v52
	v_or3_b32 v42, v45, v42, v44
	v_lshrrev_b32_e32 v44, 16, v42
.LBB865_21:
	s_or_b64 exec, exec, s[8:9]
.LBB865_22:
	s_or_b64 exec, exec, s[2:3]
.LBB865_23:
	s_or_b64 exec, exec, s[0:1]
	s_movk_i32 s0, 0xff
	v_and_b32_sdwa v53, v30, s0 dst_sel:DWORD dst_unused:UNUSED_PAD src0_sel:WORD_1 src1_sel:DWORD
	v_lshrrev_b32_e32 v42, 16, v30
	v_cmp_ne_u16_e32 vcc, 0, v53
	v_mov_b32_e32 v45, 0
	v_mov_b32_e32 v52, 0
	s_and_saveexec_b64 s[0:1], vcc
	s_cbranch_execz .LBB865_29
; %bb.24:
	s_movk_i32 s2, 0x80
	v_cmp_ne_u16_e32 vcc, s2, v53
	v_mov_b32_e32 v52, 0xffff8000
	s_and_saveexec_b64 s[2:3], vcc
	s_cbranch_execz .LBB865_28
; %bb.25:
	v_bfe_u32 v53, v30, 16, 7
	s_movk_i32 s8, 0x7f
	v_cmp_ne_u32_e32 vcc, s8, v53
	v_mov_b32_e32 v52, 0x7f80
	s_and_saveexec_b64 s[8:9], vcc
	s_cbranch_execz .LBB865_27
; %bb.26:
	v_and_b32_e32 v52, 7, v42
	v_ffbh_u32_e32 v54, v52
	v_min_u32_e32 v57, 32, v54
	v_subrev_u32_e32 v54, 28, v57
	v_lshlrev_b64 v[54:55], v54, v[42:43]
	v_lshrrev_b32_e32 v56, 3, v53
	v_sub_u32_e32 v42, 29, v57
	v_and_b32_e32 v54, 7, v54
	v_cmp_gt_u32_e32 vcc, 8, v53
	v_mov_b32_e32 v53, 24
	v_cndmask_b32_e32 v42, v56, v42, vcc
	v_cndmask_b32_e32 v52, v52, v54, vcc
	v_lshlrev_b32_sdwa v53, v53, v30 dst_sel:DWORD dst_unused:UNUSED_PAD src0_sel:DWORD src1_sel:WORD_1
	v_bfrev_b32_e32 v54, 60
	v_lshlrev_b32_e32 v52, 20, v52
	v_and_b32_e32 v53, 0x80000000, v53
	v_lshl_add_u32 v42, v42, 23, v54
	v_or3_b32 v42, v53, v42, v52
	v_lshrrev_b32_e32 v52, 16, v42
.LBB865_27:
	s_or_b64 exec, exec, s[8:9]
.LBB865_28:
	s_or_b64 exec, exec, s[2:3]
.LBB865_29:
	s_or_b64 exec, exec, s[0:1]
	s_mov_b32 s0, 0xffffff
	v_cmp_lt_u32_e32 vcc, s0, v30
	s_and_saveexec_b64 s[0:1], vcc
	s_cbranch_execz .LBB865_35
; %bb.30:
	v_lshrrev_b32_e32 v42, 24, v30
	s_movk_i32 s2, 0x80
	v_cmp_ne_u32_e32 vcc, s2, v42
	v_mov_b32_e32 v45, 0xffff8000
	s_and_saveexec_b64 s[2:3], vcc
	s_cbranch_execz .LBB865_34
; %bb.31:
	v_bfe_u32 v30, v30, 24, 7
	s_movk_i32 s8, 0x7f
	v_cmp_ne_u32_e32 vcc, s8, v30
	v_mov_b32_e32 v45, 0x7f80
	s_and_saveexec_b64 s[8:9], vcc
	s_cbranch_execz .LBB865_33
; %bb.32:
	v_and_b32_e32 v45, 7, v42
	v_ffbh_u32_e32 v54, v45
	v_min_u32_e32 v56, 32, v54
	v_subrev_u32_e32 v54, 28, v56
	v_lshlrev_b64 v[54:55], v54, v[42:43]
	v_lshrrev_b32_e32 v53, 3, v30
	v_sub_u32_e32 v55, 29, v56
	v_and_b32_e32 v54, 7, v54
	v_cmp_gt_u32_e32 vcc, 8, v30
	v_cndmask_b32_e32 v30, v53, v55, vcc
	v_cndmask_b32_e32 v45, v45, v54, vcc
	v_lshlrev_b32_e32 v42, 24, v42
	v_bfrev_b32_e32 v53, 60
	v_lshlrev_b32_e32 v45, 20, v45
	v_and_b32_e32 v42, 0x80000000, v42
	v_lshl_add_u32 v30, v30, 23, v53
	v_or3_b32 v30, v42, v30, v45
	v_lshrrev_b32_e32 v45, 16, v30
.LBB865_33:
	s_or_b64 exec, exec, s[8:9]
.LBB865_34:
	s_or_b64 exec, exec, s[2:3]
.LBB865_35:
	s_or_b64 exec, exec, s[0:1]
	v_mov_b32_e32 v42, 0
	v_cmp_ne_u16_sdwa s[2:3], v31, v42 src0_sel:BYTE_0 src1_sel:DWORD
	v_mov_b32_e32 v53, 0
	s_and_saveexec_b64 s[0:1], s[2:3]
	s_cbranch_execz .LBB865_41
; %bb.36:
	s_movk_i32 s2, 0x80
	v_cmp_ne_u16_sdwa s[8:9], v31, s2 src0_sel:BYTE_0 src1_sel:DWORD
	v_mov_b32_e32 v53, 0xffff8000
	s_and_saveexec_b64 s[2:3], s[8:9]
	s_cbranch_execz .LBB865_40
; %bb.37:
	s_movk_i32 s8, 0x7f
	v_and_b32_e32 v30, 0x7f, v31
	v_cmp_ne_u32_e32 vcc, s8, v30
	v_mov_b32_e32 v53, 0x7f80
	s_and_saveexec_b64 s[8:9], vcc
	s_cbranch_execz .LBB865_39
; %bb.38:
	v_and_b32_e32 v53, 7, v31
	v_ffbh_u32_e32 v55, v53
	v_min_u32_e32 v57, 32, v55
	v_mov_b32_e32 v54, v31
	v_subrev_u32_e32 v55, 28, v57
	v_lshlrev_b64 v[54:55], v55, v[54:55]
	v_lshrrev_b32_e32 v56, 3, v30
	v_sub_u32_e32 v55, 29, v57
	v_and_b32_e32 v54, 7, v54
	v_cmp_gt_u32_e32 vcc, 8, v30
	v_cndmask_b32_e32 v30, v56, v55, vcc
	v_cndmask_b32_e32 v53, v53, v54, vcc
	v_lshlrev_b32_e32 v54, 24, v31
	v_bfrev_b32_e32 v55, 60
	v_lshlrev_b32_e32 v53, 20, v53
	v_and_b32_e32 v54, 0x80000000, v54
	v_lshl_add_u32 v30, v30, 23, v55
	v_or3_b32 v30, v54, v30, v53
	v_lshrrev_b32_e32 v53, 16, v30
.LBB865_39:
	s_or_b64 exec, exec, s[8:9]
.LBB865_40:
	s_or_b64 exec, exec, s[2:3]
.LBB865_41:
	s_or_b64 exec, exec, s[0:1]
	v_lshrrev_b16_e32 v30, 8, v31
	v_cmp_ne_u16_e32 vcc, 0, v30
	s_and_saveexec_b64 s[0:1], vcc
	s_cbranch_execz .LBB865_47
; %bb.42:
	s_movk_i32 s2, 0x80
	v_cmp_ne_u16_e32 vcc, s2, v30
	v_mov_b32_e32 v42, 0xffff8000
	s_and_saveexec_b64 s[2:3], vcc
	s_cbranch_execz .LBB865_46
; %bb.43:
	s_movk_i32 s8, 0x7f
	v_and_b32_e32 v54, 0x7f, v30
	v_cmp_ne_u32_e32 vcc, s8, v54
	v_mov_b32_e32 v42, 0x7f80
	s_and_saveexec_b64 s[8:9], vcc
	s_cbranch_execz .LBB865_45
; %bb.44:
	v_and_b32_e32 v42, 7, v30
	v_ffbh_u32_e32 v56, v42
	v_min_u32_e32 v58, 32, v56
	v_subrev_u32_e32 v56, 28, v58
	v_lshlrev_b64 v[56:57], v56, v[30:31]
	v_lshrrev_b32_e32 v55, 3, v54
	v_sub_u32_e32 v30, 29, v58
	v_and_b32_e32 v56, 7, v56
	v_cmp_gt_u32_e32 vcc, 8, v54
	v_cndmask_b32_e32 v30, v55, v30, vcc
	v_cndmask_b32_e32 v42, v42, v56, vcc
	v_lshlrev_b32_e32 v54, 16, v31
	v_bfrev_b32_e32 v55, 60
	v_lshlrev_b32_e32 v42, 20, v42
	v_and_b32_e32 v54, 0x80000000, v54
	v_lshl_add_u32 v30, v30, 23, v55
	v_or3_b32 v30, v54, v30, v42
	v_lshrrev_b32_e32 v42, 16, v30
.LBB865_45:
	s_or_b64 exec, exec, s[8:9]
.LBB865_46:
	s_or_b64 exec, exec, s[2:3]
.LBB865_47:
	s_or_b64 exec, exec, s[0:1]
	s_movk_i32 s0, 0xff
	v_and_b32_sdwa v56, v31, s0 dst_sel:DWORD dst_unused:UNUSED_PAD src0_sel:WORD_1 src1_sel:DWORD
	v_lshrrev_b32_e32 v30, 16, v31
	v_cmp_ne_u16_e32 vcc, 0, v56
	v_mov_b32_e32 v54, 0
	v_mov_b32_e32 v55, 0
	s_and_saveexec_b64 s[0:1], vcc
	s_cbranch_execz .LBB865_53
; %bb.48:
	s_movk_i32 s2, 0x80
	v_cmp_ne_u16_e32 vcc, s2, v56
	v_mov_b32_e32 v55, 0xffff8000
	s_and_saveexec_b64 s[2:3], vcc
	s_cbranch_execz .LBB865_52
; %bb.49:
	v_bfe_u32 v56, v31, 16, 7
	s_movk_i32 s8, 0x7f
	v_cmp_ne_u32_e32 vcc, s8, v56
	v_mov_b32_e32 v55, 0x7f80
	s_and_saveexec_b64 s[8:9], vcc
	s_cbranch_execz .LBB865_51
; %bb.50:
	v_and_b32_e32 v55, 7, v30
	v_ffbh_u32_e32 v58, v55
	v_min_u32_e32 v60, 32, v58
	v_subrev_u32_e32 v58, 28, v60
	v_lshlrev_b64 v[58:59], v58, v[30:31]
	v_lshrrev_b32_e32 v57, 3, v56
	v_sub_u32_e32 v30, 29, v60
	v_and_b32_e32 v58, 7, v58
	v_cmp_gt_u32_e32 vcc, 8, v56
	v_mov_b32_e32 v56, 24
	v_cndmask_b32_e32 v30, v57, v30, vcc
	v_cndmask_b32_e32 v55, v55, v58, vcc
	v_lshlrev_b32_sdwa v56, v56, v31 dst_sel:DWORD dst_unused:UNUSED_PAD src0_sel:DWORD src1_sel:WORD_1
	v_bfrev_b32_e32 v57, 60
	v_lshlrev_b32_e32 v55, 20, v55
	v_and_b32_e32 v56, 0x80000000, v56
	v_lshl_add_u32 v30, v30, 23, v57
	v_or3_b32 v30, v56, v30, v55
	v_lshrrev_b32_e32 v55, 16, v30
.LBB865_51:
	s_or_b64 exec, exec, s[8:9]
.LBB865_52:
	s_or_b64 exec, exec, s[2:3]
.LBB865_53:
	s_or_b64 exec, exec, s[0:1]
	s_mov_b32 s0, 0xffffff
	v_cmp_lt_u32_e32 vcc, s0, v31
	s_and_saveexec_b64 s[0:1], vcc
	s_cbranch_execz .LBB865_59
; %bb.54:
	v_lshrrev_b32_e32 v30, 24, v31
	s_movk_i32 s2, 0x80
	v_cmp_ne_u32_e32 vcc, s2, v30
	v_mov_b32_e32 v54, 0xffff8000
	s_and_saveexec_b64 s[2:3], vcc
	s_cbranch_execz .LBB865_58
; %bb.55:
	v_bfe_u32 v31, v31, 24, 7
	s_movk_i32 s8, 0x7f
	v_cmp_ne_u32_e32 vcc, s8, v31
	v_mov_b32_e32 v54, 0x7f80
	s_and_saveexec_b64 s[8:9], vcc
	s_cbranch_execz .LBB865_57
; %bb.56:
	v_and_b32_e32 v54, 7, v30
	v_ffbh_u32_e32 v56, v54
	v_min_u32_e32 v59, 32, v56
	v_subrev_u32_e32 v56, 28, v59
	v_lshlrev_b64 v[56:57], v56, v[30:31]
	v_lshrrev_b32_e32 v58, 3, v31
	v_sub_u32_e32 v57, 29, v59
	v_and_b32_e32 v56, 7, v56
	v_cmp_gt_u32_e32 vcc, 8, v31
	v_cndmask_b32_e32 v31, v58, v57, vcc
	v_cndmask_b32_e32 v54, v54, v56, vcc
	v_lshlrev_b32_e32 v30, 24, v30
	v_bfrev_b32_e32 v56, 60
	v_lshlrev_b32_e32 v54, 20, v54
	v_and_b32_e32 v30, 0x80000000, v30
	v_lshl_add_u32 v31, v31, 23, v56
	v_or3_b32 v30, v30, v31, v54
	v_lshrrev_b32_e32 v54, 16, v30
.LBB865_57:
	s_or_b64 exec, exec, s[8:9]
.LBB865_58:
	s_or_b64 exec, exec, s[2:3]
.LBB865_59:
	s_or_b64 exec, exec, s[0:1]
	s_mov_b32 s0, 0x5040100
	v_perm_b32 v31, v45, v52, s0
	v_perm_b32 v30, v44, v43, s0
	;; [unrolled: 1-line block ×4, first 2 shown]
	v_mov_b32_e32 v52, 0
	s_waitcnt lgkmcnt(0)
	v_mfma_f32_16x16x16bf16_1k v[56:59], v[30:31], v[26:27], 0
	v_mov_b32_e32 v31, 0
	v_cmp_ne_u16_sdwa s[2:3], v32, v31 src0_sel:BYTE_0 src1_sel:DWORD
	v_mfma_f32_16x16x16bf16_1k v[42:45], v[42:43], v[28:29], v[56:59]
	s_and_saveexec_b64 s[0:1], s[2:3]
	s_cbranch_execz .LBB865_65
; %bb.60:
	s_movk_i32 s2, 0x80
	v_cmp_ne_u16_sdwa s[8:9], v32, s2 src0_sel:BYTE_0 src1_sel:DWORD
	v_mov_b32_e32 v52, 0xffff8000
	s_and_saveexec_b64 s[2:3], s[8:9]
	s_cbranch_execz .LBB865_64
; %bb.61:
	s_movk_i32 s8, 0x7f
	v_and_b32_e32 v30, 0x7f, v32
	v_cmp_ne_u32_e32 vcc, s8, v30
	v_mov_b32_e32 v52, 0x7f80
	s_and_saveexec_b64 s[8:9], vcc
	s_cbranch_execz .LBB865_63
; %bb.62:
	v_and_b32_e32 v54, 7, v32
	v_ffbh_u32_e32 v52, v54
	v_min_u32_e32 v56, 32, v52
	v_subrev_u32_e32 v52, 28, v56
	v_lshlrev_b64 v[52:53], v52, v[32:33]
	v_lshrrev_b32_e32 v55, 3, v30
	v_sub_u32_e32 v53, 29, v56
	v_and_b32_e32 v52, 7, v52
	v_cmp_gt_u32_e32 vcc, 8, v30
	v_cndmask_b32_e32 v30, v55, v53, vcc
	v_cndmask_b32_e32 v52, v54, v52, vcc
	v_lshlrev_b32_e32 v53, 24, v32
	v_bfrev_b32_e32 v54, 60
	v_lshlrev_b32_e32 v52, 20, v52
	v_and_b32_e32 v53, 0x80000000, v53
	v_lshl_add_u32 v30, v30, 23, v54
	v_or3_b32 v30, v53, v30, v52
	v_lshrrev_b32_e32 v52, 16, v30
.LBB865_63:
	s_or_b64 exec, exec, s[8:9]
.LBB865_64:
	s_or_b64 exec, exec, s[2:3]
.LBB865_65:
	s_or_b64 exec, exec, s[0:1]
	v_lshrrev_b16_e32 v30, 8, v32
	v_cmp_ne_u16_e32 vcc, 0, v30
	s_and_saveexec_b64 s[0:1], vcc
	s_cbranch_execz .LBB865_71
; %bb.66:
	s_movk_i32 s2, 0x80
	v_cmp_ne_u16_e32 vcc, s2, v30
	v_mov_b32_e32 v31, 0xffff8000
	s_and_saveexec_b64 s[2:3], vcc
	s_cbranch_execz .LBB865_70
; %bb.67:
	s_movk_i32 s8, 0x7f
	v_and_b32_e32 v53, 0x7f, v30
	v_cmp_ne_u32_e32 vcc, s8, v53
	v_mov_b32_e32 v31, 0x7f80
	s_and_saveexec_b64 s[8:9], vcc
	s_cbranch_execz .LBB865_69
; %bb.68:
	v_and_b32_e32 v54, 7, v30
	v_ffbh_u32_e32 v31, v54
	v_min_u32_e32 v56, 32, v31
	v_subrev_u32_e32 v31, 28, v56
	v_lshlrev_b64 v[30:31], v31, v[30:31]
	v_lshrrev_b32_e32 v55, 3, v53
	v_sub_u32_e32 v31, 29, v56
	v_and_b32_e32 v30, 7, v30
	v_cmp_gt_u32_e32 vcc, 8, v53
	v_cndmask_b32_e32 v31, v55, v31, vcc
	v_cndmask_b32_e32 v30, v54, v30, vcc
	v_lshlrev_b32_e32 v53, 16, v32
	v_bfrev_b32_e32 v54, 60
	v_lshlrev_b32_e32 v30, 20, v30
	v_and_b32_e32 v53, 0x80000000, v53
	v_lshl_add_u32 v31, v31, 23, v54
	v_or3_b32 v30, v53, v31, v30
	v_lshrrev_b32_e32 v31, 16, v30
.LBB865_69:
	s_or_b64 exec, exec, s[8:9]
.LBB865_70:
	s_or_b64 exec, exec, s[2:3]
.LBB865_71:
	s_or_b64 exec, exec, s[0:1]
	s_movk_i32 s0, 0xff
	v_and_b32_sdwa v55, v32, s0 dst_sel:DWORD dst_unused:UNUSED_PAD src0_sel:WORD_1 src1_sel:DWORD
	v_lshrrev_b32_e32 v30, 16, v32
	v_cmp_ne_u16_e32 vcc, 0, v55
	v_mov_b32_e32 v53, 0
	v_mov_b32_e32 v54, 0
	s_and_saveexec_b64 s[0:1], vcc
	s_cbranch_execz .LBB865_77
; %bb.72:
	s_movk_i32 s2, 0x80
	v_cmp_ne_u16_e32 vcc, s2, v55
	v_mov_b32_e32 v54, 0xffff8000
	s_and_saveexec_b64 s[2:3], vcc
	s_cbranch_execz .LBB865_76
; %bb.73:
	v_bfe_u32 v55, v32, 16, 7
	s_movk_i32 s8, 0x7f
	v_cmp_ne_u32_e32 vcc, s8, v55
	v_mov_b32_e32 v54, 0x7f80
	s_and_saveexec_b64 s[8:9], vcc
	s_cbranch_execz .LBB865_75
; %bb.74:
	v_and_b32_e32 v54, 7, v30
	v_ffbh_u32_e32 v56, v54
	v_min_u32_e32 v59, 32, v56
	v_subrev_u32_e32 v56, 28, v59
	v_lshlrev_b64 v[56:57], v56, v[30:31]
	v_lshrrev_b32_e32 v58, 3, v55
	v_sub_u32_e32 v30, 29, v59
	v_and_b32_e32 v56, 7, v56
	v_cmp_gt_u32_e32 vcc, 8, v55
	v_mov_b32_e32 v55, 24
	v_cndmask_b32_e32 v30, v58, v30, vcc
	v_cndmask_b32_e32 v54, v54, v56, vcc
	v_lshlrev_b32_sdwa v55, v55, v32 dst_sel:DWORD dst_unused:UNUSED_PAD src0_sel:DWORD src1_sel:WORD_1
	v_bfrev_b32_e32 v56, 60
	v_lshlrev_b32_e32 v54, 20, v54
	v_and_b32_e32 v55, 0x80000000, v55
	v_lshl_add_u32 v30, v30, 23, v56
	v_or3_b32 v30, v55, v30, v54
	v_lshrrev_b32_e32 v54, 16, v30
.LBB865_75:
	s_or_b64 exec, exec, s[8:9]
.LBB865_76:
	s_or_b64 exec, exec, s[2:3]
.LBB865_77:
	s_or_b64 exec, exec, s[0:1]
	s_mov_b32 s0, 0xffffff
	v_cmp_lt_u32_e32 vcc, s0, v32
	s_and_saveexec_b64 s[0:1], vcc
	s_cbranch_execz .LBB865_83
; %bb.78:
	v_lshrrev_b32_e32 v30, 24, v32
	s_movk_i32 s2, 0x80
	v_cmp_ne_u32_e32 vcc, s2, v30
	v_mov_b32_e32 v53, 0xffff8000
	s_and_saveexec_b64 s[2:3], vcc
	s_cbranch_execz .LBB865_82
; %bb.79:
	v_bfe_u32 v32, v32, 24, 7
	s_movk_i32 s8, 0x7f
	v_cmp_ne_u32_e32 vcc, s8, v32
	v_mov_b32_e32 v53, 0x7f80
	s_and_saveexec_b64 s[8:9], vcc
	s_cbranch_execz .LBB865_81
; %bb.80:
	v_and_b32_e32 v53, 7, v30
	v_ffbh_u32_e32 v56, v53
	v_min_u32_e32 v58, 32, v56
	v_subrev_u32_e32 v56, 28, v58
	v_lshlrev_b64 v[56:57], v56, v[30:31]
	v_lshrrev_b32_e32 v55, 3, v32
	v_sub_u32_e32 v57, 29, v58
	v_and_b32_e32 v56, 7, v56
	v_cmp_gt_u32_e32 vcc, 8, v32
	v_cndmask_b32_e32 v32, v55, v57, vcc
	v_cndmask_b32_e32 v53, v53, v56, vcc
	v_lshlrev_b32_e32 v30, 24, v30
	v_bfrev_b32_e32 v55, 60
	v_lshlrev_b32_e32 v53, 20, v53
	v_and_b32_e32 v30, 0x80000000, v30
	v_lshl_add_u32 v32, v32, 23, v55
	v_or3_b32 v30, v30, v32, v53
	v_lshrrev_b32_e32 v53, 16, v30
.LBB865_81:
	s_or_b64 exec, exec, s[8:9]
.LBB865_82:
	s_or_b64 exec, exec, s[2:3]
.LBB865_83:
	s_or_b64 exec, exec, s[0:1]
	v_mov_b32_e32 v32, 0
	v_cmp_ne_u16_sdwa s[2:3], v33, v32 src0_sel:BYTE_0 src1_sel:DWORD
	v_mov_b32_e32 v55, 0
	s_and_saveexec_b64 s[0:1], s[2:3]
	s_cbranch_execz .LBB865_89
; %bb.84:
	s_movk_i32 s2, 0x80
	v_cmp_ne_u16_sdwa s[8:9], v33, s2 src0_sel:BYTE_0 src1_sel:DWORD
	v_mov_b32_e32 v55, 0xffff8000
	s_and_saveexec_b64 s[2:3], s[8:9]
	s_cbranch_execz .LBB865_88
; %bb.85:
	s_movk_i32 s8, 0x7f
	v_and_b32_e32 v30, 0x7f, v33
	v_cmp_ne_u32_e32 vcc, s8, v30
	v_mov_b32_e32 v55, 0x7f80
	s_and_saveexec_b64 s[8:9], vcc
	s_cbranch_execz .LBB865_87
; %bb.86:
	v_and_b32_e32 v55, 7, v33
	v_ffbh_u32_e32 v57, v55
	v_min_u32_e32 v59, 32, v57
	v_mov_b32_e32 v56, v33
	v_subrev_u32_e32 v57, 28, v59
	v_lshlrev_b64 v[56:57], v57, v[56:57]
	v_lshrrev_b32_e32 v58, 3, v30
	v_sub_u32_e32 v57, 29, v59
	v_and_b32_e32 v56, 7, v56
	v_cmp_gt_u32_e32 vcc, 8, v30
	v_cndmask_b32_e32 v30, v58, v57, vcc
	v_cndmask_b32_e32 v55, v55, v56, vcc
	v_lshlrev_b32_e32 v56, 24, v33
	v_bfrev_b32_e32 v57, 60
	v_lshlrev_b32_e32 v55, 20, v55
	v_and_b32_e32 v56, 0x80000000, v56
	v_lshl_add_u32 v30, v30, 23, v57
	v_or3_b32 v30, v56, v30, v55
	v_lshrrev_b32_e32 v55, 16, v30
.LBB865_87:
	s_or_b64 exec, exec, s[8:9]
.LBB865_88:
	s_or_b64 exec, exec, s[2:3]
.LBB865_89:
	s_or_b64 exec, exec, s[0:1]
	v_lshrrev_b16_e32 v30, 8, v33
	v_cmp_ne_u16_e32 vcc, 0, v30
	s_and_saveexec_b64 s[0:1], vcc
	s_cbranch_execz .LBB865_95
; %bb.90:
	s_movk_i32 s2, 0x80
	v_cmp_ne_u16_e32 vcc, s2, v30
	v_mov_b32_e32 v32, 0xffff8000
	s_and_saveexec_b64 s[2:3], vcc
	s_cbranch_execz .LBB865_94
; %bb.91:
	s_movk_i32 s8, 0x7f
	v_and_b32_e32 v56, 0x7f, v30
	v_cmp_ne_u32_e32 vcc, s8, v56
	v_mov_b32_e32 v32, 0x7f80
	s_and_saveexec_b64 s[8:9], vcc
	s_cbranch_execz .LBB865_93
; %bb.92:
	v_and_b32_e32 v32, 7, v30
	v_ffbh_u32_e32 v58, v32
	v_min_u32_e32 v60, 32, v58
	v_subrev_u32_e32 v58, 28, v60
	v_lshlrev_b64 v[58:59], v58, v[30:31]
	v_lshrrev_b32_e32 v57, 3, v56
	v_sub_u32_e32 v30, 29, v60
	v_and_b32_e32 v58, 7, v58
	v_cmp_gt_u32_e32 vcc, 8, v56
	v_cndmask_b32_e32 v30, v57, v30, vcc
	v_cndmask_b32_e32 v32, v32, v58, vcc
	v_lshlrev_b32_e32 v56, 16, v33
	v_bfrev_b32_e32 v57, 60
	v_lshlrev_b32_e32 v32, 20, v32
	v_and_b32_e32 v56, 0x80000000, v56
	v_lshl_add_u32 v30, v30, 23, v57
	v_or3_b32 v30, v56, v30, v32
	v_lshrrev_b32_e32 v32, 16, v30
.LBB865_93:
	s_or_b64 exec, exec, s[8:9]
.LBB865_94:
	s_or_b64 exec, exec, s[2:3]
.LBB865_95:
	s_or_b64 exec, exec, s[0:1]
	s_movk_i32 s0, 0xff
	v_and_b32_sdwa v58, v33, s0 dst_sel:DWORD dst_unused:UNUSED_PAD src0_sel:WORD_1 src1_sel:DWORD
	v_lshrrev_b32_e32 v30, 16, v33
	v_cmp_ne_u16_e32 vcc, 0, v58
	v_mov_b32_e32 v56, 0
	v_mov_b32_e32 v57, 0
	s_and_saveexec_b64 s[0:1], vcc
	s_cbranch_execz .LBB865_101
; %bb.96:
	s_movk_i32 s2, 0x80
	v_cmp_ne_u16_e32 vcc, s2, v58
	v_mov_b32_e32 v57, 0xffff8000
	s_and_saveexec_b64 s[2:3], vcc
	s_cbranch_execz .LBB865_100
; %bb.97:
	v_bfe_u32 v58, v33, 16, 7
	s_movk_i32 s8, 0x7f
	v_cmp_ne_u32_e32 vcc, s8, v58
	v_mov_b32_e32 v57, 0x7f80
	s_and_saveexec_b64 s[8:9], vcc
	s_cbranch_execz .LBB865_99
; %bb.98:
	v_and_b32_e32 v57, 7, v30
	v_ffbh_u32_e32 v60, v57
	v_min_u32_e32 v62, 32, v60
	v_subrev_u32_e32 v60, 28, v62
	v_lshlrev_b64 v[60:61], v60, v[30:31]
	v_lshrrev_b32_e32 v59, 3, v58
	v_sub_u32_e32 v30, 29, v62
	v_and_b32_e32 v60, 7, v60
	v_cmp_gt_u32_e32 vcc, 8, v58
	v_mov_b32_e32 v58, 24
	v_cndmask_b32_e32 v30, v59, v30, vcc
	v_cndmask_b32_e32 v57, v57, v60, vcc
	v_lshlrev_b32_sdwa v58, v58, v33 dst_sel:DWORD dst_unused:UNUSED_PAD src0_sel:DWORD src1_sel:WORD_1
	v_bfrev_b32_e32 v59, 60
	v_lshlrev_b32_e32 v57, 20, v57
	v_and_b32_e32 v58, 0x80000000, v58
	v_lshl_add_u32 v30, v30, 23, v59
	v_or3_b32 v30, v58, v30, v57
	v_lshrrev_b32_e32 v57, 16, v30
.LBB865_99:
	s_or_b64 exec, exec, s[8:9]
.LBB865_100:
	s_or_b64 exec, exec, s[2:3]
.LBB865_101:
	s_or_b64 exec, exec, s[0:1]
	s_mov_b32 s0, 0xffffff
	v_cmp_lt_u32_e32 vcc, s0, v33
	s_and_saveexec_b64 s[0:1], vcc
	s_cbranch_execz .LBB865_107
; %bb.102:
	v_lshrrev_b32_e32 v30, 24, v33
	s_movk_i32 s2, 0x80
	v_cmp_ne_u32_e32 vcc, s2, v30
	v_mov_b32_e32 v56, 0xffff8000
	s_and_saveexec_b64 s[2:3], vcc
	s_cbranch_execz .LBB865_106
; %bb.103:
	v_bfe_u32 v33, v33, 24, 7
	s_movk_i32 s8, 0x7f
	v_cmp_ne_u32_e32 vcc, s8, v33
	v_mov_b32_e32 v56, 0x7f80
	s_and_saveexec_b64 s[8:9], vcc
	s_cbranch_execz .LBB865_105
; %bb.104:
	v_and_b32_e32 v56, 7, v30
	v_ffbh_u32_e32 v58, v56
	v_min_u32_e32 v61, 32, v58
	v_subrev_u32_e32 v58, 28, v61
	v_lshlrev_b64 v[58:59], v58, v[30:31]
	v_lshrrev_b32_e32 v60, 3, v33
	v_sub_u32_e32 v59, 29, v61
	v_and_b32_e32 v58, 7, v58
	v_cmp_gt_u32_e32 vcc, 8, v33
	v_cndmask_b32_e32 v33, v60, v59, vcc
	v_cndmask_b32_e32 v56, v56, v58, vcc
	v_lshlrev_b32_e32 v30, 24, v30
	v_bfrev_b32_e32 v58, 60
	v_lshlrev_b32_e32 v56, 20, v56
	v_and_b32_e32 v30, 0x80000000, v30
	v_lshl_add_u32 v33, v33, 23, v58
	v_or3_b32 v30, v30, v33, v56
	v_lshrrev_b32_e32 v56, 16, v30
.LBB865_105:
	s_or_b64 exec, exec, s[8:9]
.LBB865_106:
	s_or_b64 exec, exec, s[2:3]
.LBB865_107:
	s_or_b64 exec, exec, s[0:1]
	s_mov_b32 s0, 0x5040100
	v_perm_b32 v53, v53, v54, s0
	v_perm_b32 v52, v31, v52, s0
	;; [unrolled: 1-line block ×4, first 2 shown]
	v_mfma_f32_16x16x16bf16_1k v[58:61], v[52:53], v[18:19], v[42:45]
	s_nop 6
	v_mov_b32_e32 v43, 0
	s_waitcnt vmcnt(6)
	v_cmp_ne_u16_sdwa s[2:3], v38, v43 src0_sel:BYTE_0 src1_sel:DWORD
	v_mfma_f32_16x16x16bf16_1k v[30:33], v[30:31], v[20:21], v[58:61]
	v_mov_b32_e32 v44, 0
	s_and_saveexec_b64 s[0:1], s[2:3]
	s_cbranch_execz .LBB865_113
; %bb.108:
	s_movk_i32 s2, 0x80
	v_cmp_ne_u16_sdwa s[8:9], v38, s2 src0_sel:BYTE_0 src1_sel:DWORD
	v_mov_b32_e32 v44, 0xffff8000
	s_and_saveexec_b64 s[2:3], s[8:9]
	s_cbranch_execz .LBB865_112
; %bb.109:
	s_movk_i32 s8, 0x7f
	v_and_b32_e32 v42, 0x7f, v38
	v_cmp_ne_u32_e32 vcc, s8, v42
	v_mov_b32_e32 v44, 0x7f80
	s_and_saveexec_b64 s[8:9], vcc
	s_cbranch_execz .LBB865_111
; %bb.110:
	v_and_b32_e32 v52, 7, v38
	v_ffbh_u32_e32 v44, v52
	v_min_u32_e32 v54, 32, v44
	v_subrev_u32_e32 v44, 28, v54
	v_lshlrev_b64 v[44:45], v44, v[38:39]
	v_lshrrev_b32_e32 v53, 3, v42
	v_sub_u32_e32 v45, 29, v54
	v_and_b32_e32 v44, 7, v44
	v_cmp_gt_u32_e32 vcc, 8, v42
	v_cndmask_b32_e32 v42, v53, v45, vcc
	v_cndmask_b32_e32 v44, v52, v44, vcc
	v_lshlrev_b32_e32 v45, 24, v38
	v_bfrev_b32_e32 v52, 60
	v_lshlrev_b32_e32 v44, 20, v44
	v_and_b32_e32 v45, 0x80000000, v45
	v_lshl_add_u32 v42, v42, 23, v52
	v_or3_b32 v42, v45, v42, v44
	v_lshrrev_b32_e32 v44, 16, v42
.LBB865_111:
	s_or_b64 exec, exec, s[8:9]
.LBB865_112:
	s_or_b64 exec, exec, s[2:3]
.LBB865_113:
	s_or_b64 exec, exec, s[0:1]
	v_lshrrev_b16_e32 v42, 8, v38
	v_cmp_ne_u16_e32 vcc, 0, v42
	s_and_saveexec_b64 s[0:1], vcc
	s_cbranch_execz .LBB865_119
; %bb.114:
	s_movk_i32 s2, 0x80
	v_cmp_ne_u16_e32 vcc, s2, v42
	v_mov_b32_e32 v43, 0xffff8000
	s_and_saveexec_b64 s[2:3], vcc
	s_cbranch_execz .LBB865_118
; %bb.115:
	s_movk_i32 s8, 0x7f
	v_and_b32_e32 v45, 0x7f, v42
	v_cmp_ne_u32_e32 vcc, s8, v45
	v_mov_b32_e32 v43, 0x7f80
	s_and_saveexec_b64 s[8:9], vcc
	s_cbranch_execz .LBB865_117
; %bb.116:
	v_and_b32_e32 v52, 7, v42
	v_ffbh_u32_e32 v43, v52
	v_min_u32_e32 v54, 32, v43
	v_subrev_u32_e32 v43, 28, v54
	v_lshlrev_b64 v[42:43], v43, v[42:43]
	v_lshrrev_b32_e32 v53, 3, v45
	v_sub_u32_e32 v43, 29, v54
	v_and_b32_e32 v42, 7, v42
	v_cmp_gt_u32_e32 vcc, 8, v45
	v_cndmask_b32_e32 v43, v53, v43, vcc
	v_cndmask_b32_e32 v42, v52, v42, vcc
	v_lshlrev_b32_e32 v45, 16, v38
	v_bfrev_b32_e32 v52, 60
	v_lshlrev_b32_e32 v42, 20, v42
	v_and_b32_e32 v45, 0x80000000, v45
	v_lshl_add_u32 v43, v43, 23, v52
	v_or3_b32 v42, v45, v43, v42
	v_lshrrev_b32_e32 v43, 16, v42
.LBB865_117:
	s_or_b64 exec, exec, s[8:9]
.LBB865_118:
	s_or_b64 exec, exec, s[2:3]
.LBB865_119:
	s_or_b64 exec, exec, s[0:1]
	s_movk_i32 s0, 0xff
	v_and_b32_sdwa v53, v38, s0 dst_sel:DWORD dst_unused:UNUSED_PAD src0_sel:WORD_1 src1_sel:DWORD
	v_lshrrev_b32_e32 v42, 16, v38
	v_cmp_ne_u16_e32 vcc, 0, v53
	v_mov_b32_e32 v45, 0
	v_mov_b32_e32 v52, 0
	s_and_saveexec_b64 s[0:1], vcc
	s_cbranch_execz .LBB865_125
; %bb.120:
	s_movk_i32 s2, 0x80
	v_cmp_ne_u16_e32 vcc, s2, v53
	v_mov_b32_e32 v52, 0xffff8000
	s_and_saveexec_b64 s[2:3], vcc
	s_cbranch_execz .LBB865_124
; %bb.121:
	v_bfe_u32 v53, v38, 16, 7
	s_movk_i32 s8, 0x7f
	v_cmp_ne_u32_e32 vcc, s8, v53
	v_mov_b32_e32 v52, 0x7f80
	s_and_saveexec_b64 s[8:9], vcc
	s_cbranch_execz .LBB865_123
; %bb.122:
	v_and_b32_e32 v52, 7, v42
	v_ffbh_u32_e32 v54, v52
	v_min_u32_e32 v57, 32, v54
	v_subrev_u32_e32 v54, 28, v57
	v_lshlrev_b64 v[54:55], v54, v[42:43]
	v_lshrrev_b32_e32 v56, 3, v53
	v_sub_u32_e32 v42, 29, v57
	v_and_b32_e32 v54, 7, v54
	v_cmp_gt_u32_e32 vcc, 8, v53
	v_mov_b32_e32 v53, 24
	v_cndmask_b32_e32 v42, v56, v42, vcc
	v_cndmask_b32_e32 v52, v52, v54, vcc
	v_lshlrev_b32_sdwa v53, v53, v38 dst_sel:DWORD dst_unused:UNUSED_PAD src0_sel:DWORD src1_sel:WORD_1
	v_bfrev_b32_e32 v54, 60
	v_lshlrev_b32_e32 v52, 20, v52
	v_and_b32_e32 v53, 0x80000000, v53
	v_lshl_add_u32 v42, v42, 23, v54
	v_or3_b32 v42, v53, v42, v52
	v_lshrrev_b32_e32 v52, 16, v42
.LBB865_123:
	s_or_b64 exec, exec, s[8:9]
.LBB865_124:
	s_or_b64 exec, exec, s[2:3]
.LBB865_125:
	s_or_b64 exec, exec, s[0:1]
	s_mov_b32 s0, 0xffffff
	v_cmp_lt_u32_e32 vcc, s0, v38
	s_and_saveexec_b64 s[0:1], vcc
	s_cbranch_execz .LBB865_131
; %bb.126:
	v_lshrrev_b32_e32 v42, 24, v38
	s_movk_i32 s2, 0x80
	v_cmp_ne_u32_e32 vcc, s2, v42
	v_mov_b32_e32 v45, 0xffff8000
	s_and_saveexec_b64 s[2:3], vcc
	s_cbranch_execz .LBB865_130
; %bb.127:
	v_bfe_u32 v38, v38, 24, 7
	s_movk_i32 s8, 0x7f
	v_cmp_ne_u32_e32 vcc, s8, v38
	v_mov_b32_e32 v45, 0x7f80
	s_and_saveexec_b64 s[8:9], vcc
	s_cbranch_execz .LBB865_129
; %bb.128:
	v_and_b32_e32 v45, 7, v42
	v_ffbh_u32_e32 v54, v45
	v_min_u32_e32 v56, 32, v54
	v_subrev_u32_e32 v54, 28, v56
	v_lshlrev_b64 v[54:55], v54, v[42:43]
	v_lshrrev_b32_e32 v53, 3, v38
	v_sub_u32_e32 v55, 29, v56
	v_and_b32_e32 v54, 7, v54
	v_cmp_gt_u32_e32 vcc, 8, v38
	v_cndmask_b32_e32 v38, v53, v55, vcc
	v_cndmask_b32_e32 v45, v45, v54, vcc
	v_lshlrev_b32_e32 v42, 24, v42
	v_bfrev_b32_e32 v53, 60
	v_lshlrev_b32_e32 v45, 20, v45
	v_and_b32_e32 v42, 0x80000000, v42
	v_lshl_add_u32 v38, v38, 23, v53
	v_or3_b32 v38, v42, v38, v45
	v_lshrrev_b32_e32 v45, 16, v38
.LBB865_129:
	s_or_b64 exec, exec, s[8:9]
.LBB865_130:
	s_or_b64 exec, exec, s[2:3]
.LBB865_131:
	s_or_b64 exec, exec, s[0:1]
	v_mov_b32_e32 v42, 0
	v_cmp_ne_u16_sdwa s[2:3], v39, v42 src0_sel:BYTE_0 src1_sel:DWORD
	v_mov_b32_e32 v53, 0
	s_and_saveexec_b64 s[0:1], s[2:3]
	s_cbranch_execz .LBB865_137
; %bb.132:
	s_movk_i32 s2, 0x80
	v_cmp_ne_u16_sdwa s[8:9], v39, s2 src0_sel:BYTE_0 src1_sel:DWORD
	v_mov_b32_e32 v53, 0xffff8000
	s_and_saveexec_b64 s[2:3], s[8:9]
	s_cbranch_execz .LBB865_136
; %bb.133:
	s_movk_i32 s8, 0x7f
	v_and_b32_e32 v38, 0x7f, v39
	v_cmp_ne_u32_e32 vcc, s8, v38
	v_mov_b32_e32 v53, 0x7f80
	s_and_saveexec_b64 s[8:9], vcc
	s_cbranch_execz .LBB865_135
; %bb.134:
	v_and_b32_e32 v53, 7, v39
	v_ffbh_u32_e32 v55, v53
	v_min_u32_e32 v57, 32, v55
	v_mov_b32_e32 v54, v39
	v_subrev_u32_e32 v55, 28, v57
	v_lshlrev_b64 v[54:55], v55, v[54:55]
	v_lshrrev_b32_e32 v56, 3, v38
	v_sub_u32_e32 v55, 29, v57
	v_and_b32_e32 v54, 7, v54
	v_cmp_gt_u32_e32 vcc, 8, v38
	v_cndmask_b32_e32 v38, v56, v55, vcc
	v_cndmask_b32_e32 v53, v53, v54, vcc
	v_lshlrev_b32_e32 v54, 24, v39
	v_bfrev_b32_e32 v55, 60
	v_lshlrev_b32_e32 v53, 20, v53
	v_and_b32_e32 v54, 0x80000000, v54
	v_lshl_add_u32 v38, v38, 23, v55
	v_or3_b32 v38, v54, v38, v53
	v_lshrrev_b32_e32 v53, 16, v38
.LBB865_135:
	s_or_b64 exec, exec, s[8:9]
.LBB865_136:
	s_or_b64 exec, exec, s[2:3]
.LBB865_137:
	s_or_b64 exec, exec, s[0:1]
	v_lshrrev_b16_e32 v38, 8, v39
	v_cmp_ne_u16_e32 vcc, 0, v38
	s_and_saveexec_b64 s[0:1], vcc
	s_cbranch_execz .LBB865_143
; %bb.138:
	s_movk_i32 s2, 0x80
	v_cmp_ne_u16_e32 vcc, s2, v38
	v_mov_b32_e32 v42, 0xffff8000
	s_and_saveexec_b64 s[2:3], vcc
	s_cbranch_execz .LBB865_142
; %bb.139:
	s_movk_i32 s8, 0x7f
	v_and_b32_e32 v54, 0x7f, v38
	v_cmp_ne_u32_e32 vcc, s8, v54
	v_mov_b32_e32 v42, 0x7f80
	s_and_saveexec_b64 s[8:9], vcc
	s_cbranch_execz .LBB865_141
; %bb.140:
	v_and_b32_e32 v42, 7, v38
	v_ffbh_u32_e32 v56, v42
	v_min_u32_e32 v58, 32, v56
	v_subrev_u32_e32 v56, 28, v58
	v_lshlrev_b64 v[56:57], v56, v[38:39]
	v_lshrrev_b32_e32 v55, 3, v54
	v_sub_u32_e32 v38, 29, v58
	v_and_b32_e32 v56, 7, v56
	v_cmp_gt_u32_e32 vcc, 8, v54
	v_cndmask_b32_e32 v38, v55, v38, vcc
	v_cndmask_b32_e32 v42, v42, v56, vcc
	v_lshlrev_b32_e32 v54, 16, v39
	v_bfrev_b32_e32 v55, 60
	v_lshlrev_b32_e32 v42, 20, v42
	v_and_b32_e32 v54, 0x80000000, v54
	v_lshl_add_u32 v38, v38, 23, v55
	v_or3_b32 v38, v54, v38, v42
	v_lshrrev_b32_e32 v42, 16, v38
.LBB865_141:
	s_or_b64 exec, exec, s[8:9]
.LBB865_142:
	s_or_b64 exec, exec, s[2:3]
.LBB865_143:
	s_or_b64 exec, exec, s[0:1]
	s_movk_i32 s0, 0xff
	v_and_b32_sdwa v56, v39, s0 dst_sel:DWORD dst_unused:UNUSED_PAD src0_sel:WORD_1 src1_sel:DWORD
	v_lshrrev_b32_e32 v38, 16, v39
	v_cmp_ne_u16_e32 vcc, 0, v56
	v_mov_b32_e32 v54, 0
	v_mov_b32_e32 v55, 0
	s_and_saveexec_b64 s[0:1], vcc
	s_cbranch_execz .LBB865_149
; %bb.144:
	s_movk_i32 s2, 0x80
	v_cmp_ne_u16_e32 vcc, s2, v56
	v_mov_b32_e32 v55, 0xffff8000
	s_and_saveexec_b64 s[2:3], vcc
	s_cbranch_execz .LBB865_148
; %bb.145:
	v_bfe_u32 v56, v39, 16, 7
	s_movk_i32 s8, 0x7f
	v_cmp_ne_u32_e32 vcc, s8, v56
	v_mov_b32_e32 v55, 0x7f80
	s_and_saveexec_b64 s[8:9], vcc
	s_cbranch_execz .LBB865_147
; %bb.146:
	v_and_b32_e32 v55, 7, v38
	v_ffbh_u32_e32 v58, v55
	v_min_u32_e32 v60, 32, v58
	v_subrev_u32_e32 v58, 28, v60
	v_lshlrev_b64 v[58:59], v58, v[38:39]
	v_lshrrev_b32_e32 v57, 3, v56
	v_sub_u32_e32 v38, 29, v60
	v_and_b32_e32 v58, 7, v58
	v_cmp_gt_u32_e32 vcc, 8, v56
	v_mov_b32_e32 v56, 24
	v_cndmask_b32_e32 v38, v57, v38, vcc
	v_cndmask_b32_e32 v55, v55, v58, vcc
	v_lshlrev_b32_sdwa v56, v56, v39 dst_sel:DWORD dst_unused:UNUSED_PAD src0_sel:DWORD src1_sel:WORD_1
	v_bfrev_b32_e32 v57, 60
	v_lshlrev_b32_e32 v55, 20, v55
	v_and_b32_e32 v56, 0x80000000, v56
	v_lshl_add_u32 v38, v38, 23, v57
	v_or3_b32 v38, v56, v38, v55
	v_lshrrev_b32_e32 v55, 16, v38
.LBB865_147:
	s_or_b64 exec, exec, s[8:9]
.LBB865_148:
	s_or_b64 exec, exec, s[2:3]
.LBB865_149:
	s_or_b64 exec, exec, s[0:1]
	s_mov_b32 s0, 0xffffff
	v_cmp_lt_u32_e32 vcc, s0, v39
	s_and_saveexec_b64 s[0:1], vcc
	s_cbranch_execz .LBB865_155
; %bb.150:
	v_lshrrev_b32_e32 v38, 24, v39
	s_movk_i32 s2, 0x80
	v_cmp_ne_u32_e32 vcc, s2, v38
	v_mov_b32_e32 v54, 0xffff8000
	s_and_saveexec_b64 s[2:3], vcc
	s_cbranch_execz .LBB865_154
; %bb.151:
	v_bfe_u32 v39, v39, 24, 7
	s_movk_i32 s8, 0x7f
	v_cmp_ne_u32_e32 vcc, s8, v39
	v_mov_b32_e32 v54, 0x7f80
	s_and_saveexec_b64 s[8:9], vcc
	s_cbranch_execz .LBB865_153
; %bb.152:
	v_and_b32_e32 v54, 7, v38
	v_ffbh_u32_e32 v56, v54
	v_min_u32_e32 v59, 32, v56
	v_subrev_u32_e32 v56, 28, v59
	v_lshlrev_b64 v[56:57], v56, v[38:39]
	v_lshrrev_b32_e32 v58, 3, v39
	v_sub_u32_e32 v57, 29, v59
	v_and_b32_e32 v56, 7, v56
	v_cmp_gt_u32_e32 vcc, 8, v39
	v_cndmask_b32_e32 v39, v58, v57, vcc
	v_cndmask_b32_e32 v54, v54, v56, vcc
	v_lshlrev_b32_e32 v38, 24, v38
	v_bfrev_b32_e32 v56, 60
	v_lshlrev_b32_e32 v54, 20, v54
	v_and_b32_e32 v38, 0x80000000, v38
	v_lshl_add_u32 v39, v39, 23, v56
	v_or3_b32 v38, v38, v39, v54
	v_lshrrev_b32_e32 v54, 16, v38
.LBB865_153:
	s_or_b64 exec, exec, s[8:9]
.LBB865_154:
	s_or_b64 exec, exec, s[2:3]
.LBB865_155:
	s_or_b64 exec, exec, s[0:1]
	s_mov_b32 s0, 0x5040100
	v_perm_b32 v39, v45, v52, s0
	v_perm_b32 v38, v43, v44, s0
	;; [unrolled: 1-line block ×4, first 2 shown]
	v_mov_b32_e32 v52, 0
	v_mfma_f32_16x16x16bf16_1k v[56:59], v[38:39], v[26:27], 0
	v_mov_b32_e32 v39, 0
	v_cmp_ne_u16_sdwa s[2:3], v40, v39 src0_sel:BYTE_0 src1_sel:DWORD
	v_mfma_f32_16x16x16bf16_1k v[42:45], v[42:43], v[28:29], v[56:59]
	s_and_saveexec_b64 s[0:1], s[2:3]
	s_cbranch_execz .LBB865_161
; %bb.156:
	s_movk_i32 s2, 0x80
	v_cmp_ne_u16_sdwa s[8:9], v40, s2 src0_sel:BYTE_0 src1_sel:DWORD
	v_mov_b32_e32 v52, 0xffff8000
	s_and_saveexec_b64 s[2:3], s[8:9]
	s_cbranch_execz .LBB865_160
; %bb.157:
	s_movk_i32 s8, 0x7f
	v_and_b32_e32 v38, 0x7f, v40
	v_cmp_ne_u32_e32 vcc, s8, v38
	v_mov_b32_e32 v52, 0x7f80
	s_and_saveexec_b64 s[8:9], vcc
	s_cbranch_execz .LBB865_159
; %bb.158:
	v_and_b32_e32 v54, 7, v40
	v_ffbh_u32_e32 v52, v54
	v_min_u32_e32 v56, 32, v52
	v_subrev_u32_e32 v52, 28, v56
	v_lshlrev_b64 v[52:53], v52, v[40:41]
	v_lshrrev_b32_e32 v55, 3, v38
	v_sub_u32_e32 v53, 29, v56
	v_and_b32_e32 v52, 7, v52
	v_cmp_gt_u32_e32 vcc, 8, v38
	v_cndmask_b32_e32 v38, v55, v53, vcc
	v_cndmask_b32_e32 v52, v54, v52, vcc
	v_lshlrev_b32_e32 v53, 24, v40
	v_bfrev_b32_e32 v54, 60
	v_lshlrev_b32_e32 v52, 20, v52
	v_and_b32_e32 v53, 0x80000000, v53
	v_lshl_add_u32 v38, v38, 23, v54
	v_or3_b32 v38, v53, v38, v52
	v_lshrrev_b32_e32 v52, 16, v38
.LBB865_159:
	s_or_b64 exec, exec, s[8:9]
.LBB865_160:
	s_or_b64 exec, exec, s[2:3]
.LBB865_161:
	s_or_b64 exec, exec, s[0:1]
	v_lshrrev_b16_e32 v38, 8, v40
	v_cmp_ne_u16_e32 vcc, 0, v38
	s_and_saveexec_b64 s[0:1], vcc
	s_cbranch_execz .LBB865_167
; %bb.162:
	s_movk_i32 s2, 0x80
	v_cmp_ne_u16_e32 vcc, s2, v38
	v_mov_b32_e32 v39, 0xffff8000
	s_and_saveexec_b64 s[2:3], vcc
	s_cbranch_execz .LBB865_166
; %bb.163:
	s_movk_i32 s8, 0x7f
	v_and_b32_e32 v53, 0x7f, v38
	v_cmp_ne_u32_e32 vcc, s8, v53
	v_mov_b32_e32 v39, 0x7f80
	s_and_saveexec_b64 s[8:9], vcc
	s_cbranch_execz .LBB865_165
; %bb.164:
	v_and_b32_e32 v54, 7, v38
	v_ffbh_u32_e32 v39, v54
	v_min_u32_e32 v56, 32, v39
	v_subrev_u32_e32 v39, 28, v56
	v_lshlrev_b64 v[38:39], v39, v[38:39]
	v_lshrrev_b32_e32 v55, 3, v53
	v_sub_u32_e32 v39, 29, v56
	v_and_b32_e32 v38, 7, v38
	v_cmp_gt_u32_e32 vcc, 8, v53
	v_cndmask_b32_e32 v39, v55, v39, vcc
	v_cndmask_b32_e32 v38, v54, v38, vcc
	v_lshlrev_b32_e32 v53, 16, v40
	v_bfrev_b32_e32 v54, 60
	v_lshlrev_b32_e32 v38, 20, v38
	v_and_b32_e32 v53, 0x80000000, v53
	v_lshl_add_u32 v39, v39, 23, v54
	v_or3_b32 v38, v53, v39, v38
	v_lshrrev_b32_e32 v39, 16, v38
.LBB865_165:
	s_or_b64 exec, exec, s[8:9]
.LBB865_166:
	s_or_b64 exec, exec, s[2:3]
.LBB865_167:
	s_or_b64 exec, exec, s[0:1]
	s_movk_i32 s0, 0xff
	v_and_b32_sdwa v55, v40, s0 dst_sel:DWORD dst_unused:UNUSED_PAD src0_sel:WORD_1 src1_sel:DWORD
	v_lshrrev_b32_e32 v38, 16, v40
	v_cmp_ne_u16_e32 vcc, 0, v55
	v_mov_b32_e32 v53, 0
	v_mov_b32_e32 v54, 0
	s_and_saveexec_b64 s[0:1], vcc
	s_cbranch_execz .LBB865_173
; %bb.168:
	s_movk_i32 s2, 0x80
	v_cmp_ne_u16_e32 vcc, s2, v55
	v_mov_b32_e32 v54, 0xffff8000
	s_and_saveexec_b64 s[2:3], vcc
	s_cbranch_execz .LBB865_172
; %bb.169:
	v_bfe_u32 v55, v40, 16, 7
	s_movk_i32 s8, 0x7f
	v_cmp_ne_u32_e32 vcc, s8, v55
	v_mov_b32_e32 v54, 0x7f80
	s_and_saveexec_b64 s[8:9], vcc
	s_cbranch_execz .LBB865_171
; %bb.170:
	v_and_b32_e32 v54, 7, v38
	v_ffbh_u32_e32 v56, v54
	v_min_u32_e32 v59, 32, v56
	v_subrev_u32_e32 v56, 28, v59
	v_lshlrev_b64 v[56:57], v56, v[38:39]
	v_lshrrev_b32_e32 v58, 3, v55
	v_sub_u32_e32 v38, 29, v59
	v_and_b32_e32 v56, 7, v56
	v_cmp_gt_u32_e32 vcc, 8, v55
	v_mov_b32_e32 v55, 24
	v_cndmask_b32_e32 v38, v58, v38, vcc
	v_cndmask_b32_e32 v54, v54, v56, vcc
	v_lshlrev_b32_sdwa v55, v55, v40 dst_sel:DWORD dst_unused:UNUSED_PAD src0_sel:DWORD src1_sel:WORD_1
	v_bfrev_b32_e32 v56, 60
	v_lshlrev_b32_e32 v54, 20, v54
	v_and_b32_e32 v55, 0x80000000, v55
	v_lshl_add_u32 v38, v38, 23, v56
	v_or3_b32 v38, v55, v38, v54
	v_lshrrev_b32_e32 v54, 16, v38
.LBB865_171:
	s_or_b64 exec, exec, s[8:9]
.LBB865_172:
	s_or_b64 exec, exec, s[2:3]
.LBB865_173:
	s_or_b64 exec, exec, s[0:1]
	s_mov_b32 s0, 0xffffff
	v_cmp_lt_u32_e32 vcc, s0, v40
	s_and_saveexec_b64 s[0:1], vcc
	s_cbranch_execz .LBB865_179
; %bb.174:
	v_lshrrev_b32_e32 v38, 24, v40
	s_movk_i32 s2, 0x80
	v_cmp_ne_u32_e32 vcc, s2, v38
	v_mov_b32_e32 v53, 0xffff8000
	s_and_saveexec_b64 s[2:3], vcc
	s_cbranch_execz .LBB865_178
; %bb.175:
	v_bfe_u32 v40, v40, 24, 7
	s_movk_i32 s8, 0x7f
	v_cmp_ne_u32_e32 vcc, s8, v40
	v_mov_b32_e32 v53, 0x7f80
	s_and_saveexec_b64 s[8:9], vcc
	s_cbranch_execz .LBB865_177
; %bb.176:
	v_and_b32_e32 v53, 7, v38
	v_ffbh_u32_e32 v56, v53
	v_min_u32_e32 v58, 32, v56
	v_subrev_u32_e32 v56, 28, v58
	v_lshlrev_b64 v[56:57], v56, v[38:39]
	v_lshrrev_b32_e32 v55, 3, v40
	v_sub_u32_e32 v57, 29, v58
	v_and_b32_e32 v56, 7, v56
	v_cmp_gt_u32_e32 vcc, 8, v40
	v_cndmask_b32_e32 v40, v55, v57, vcc
	v_cndmask_b32_e32 v53, v53, v56, vcc
	v_lshlrev_b32_e32 v38, 24, v38
	v_bfrev_b32_e32 v55, 60
	v_lshlrev_b32_e32 v53, 20, v53
	v_and_b32_e32 v38, 0x80000000, v38
	v_lshl_add_u32 v40, v40, 23, v55
	v_or3_b32 v38, v38, v40, v53
	v_lshrrev_b32_e32 v53, 16, v38
.LBB865_177:
	s_or_b64 exec, exec, s[8:9]
.LBB865_178:
	s_or_b64 exec, exec, s[2:3]
.LBB865_179:
	s_or_b64 exec, exec, s[0:1]
	v_mov_b32_e32 v40, 0
	v_cmp_ne_u16_sdwa s[2:3], v41, v40 src0_sel:BYTE_0 src1_sel:DWORD
	v_mov_b32_e32 v55, 0
	s_and_saveexec_b64 s[0:1], s[2:3]
	s_cbranch_execz .LBB865_185
; %bb.180:
	s_movk_i32 s2, 0x80
	v_cmp_ne_u16_sdwa s[8:9], v41, s2 src0_sel:BYTE_0 src1_sel:DWORD
	v_mov_b32_e32 v55, 0xffff8000
	s_and_saveexec_b64 s[2:3], s[8:9]
	s_cbranch_execz .LBB865_184
; %bb.181:
	s_movk_i32 s8, 0x7f
	v_and_b32_e32 v38, 0x7f, v41
	v_cmp_ne_u32_e32 vcc, s8, v38
	v_mov_b32_e32 v55, 0x7f80
	s_and_saveexec_b64 s[8:9], vcc
	s_cbranch_execz .LBB865_183
; %bb.182:
	v_and_b32_e32 v55, 7, v41
	v_ffbh_u32_e32 v57, v55
	v_min_u32_e32 v59, 32, v57
	v_mov_b32_e32 v56, v41
	v_subrev_u32_e32 v57, 28, v59
	v_lshlrev_b64 v[56:57], v57, v[56:57]
	v_lshrrev_b32_e32 v58, 3, v38
	v_sub_u32_e32 v57, 29, v59
	v_and_b32_e32 v56, 7, v56
	v_cmp_gt_u32_e32 vcc, 8, v38
	v_cndmask_b32_e32 v38, v58, v57, vcc
	v_cndmask_b32_e32 v55, v55, v56, vcc
	v_lshlrev_b32_e32 v56, 24, v41
	v_bfrev_b32_e32 v57, 60
	v_lshlrev_b32_e32 v55, 20, v55
	v_and_b32_e32 v56, 0x80000000, v56
	v_lshl_add_u32 v38, v38, 23, v57
	v_or3_b32 v38, v56, v38, v55
	v_lshrrev_b32_e32 v55, 16, v38
.LBB865_183:
	s_or_b64 exec, exec, s[8:9]
.LBB865_184:
	s_or_b64 exec, exec, s[2:3]
.LBB865_185:
	s_or_b64 exec, exec, s[0:1]
	v_lshrrev_b16_e32 v38, 8, v41
	v_cmp_ne_u16_e32 vcc, 0, v38
	s_and_saveexec_b64 s[0:1], vcc
	s_cbranch_execz .LBB865_191
; %bb.186:
	s_movk_i32 s2, 0x80
	v_cmp_ne_u16_e32 vcc, s2, v38
	v_mov_b32_e32 v40, 0xffff8000
	s_and_saveexec_b64 s[2:3], vcc
	s_cbranch_execz .LBB865_190
; %bb.187:
	s_movk_i32 s8, 0x7f
	v_and_b32_e32 v56, 0x7f, v38
	v_cmp_ne_u32_e32 vcc, s8, v56
	v_mov_b32_e32 v40, 0x7f80
	s_and_saveexec_b64 s[8:9], vcc
	s_cbranch_execz .LBB865_189
; %bb.188:
	v_and_b32_e32 v40, 7, v38
	v_ffbh_u32_e32 v58, v40
	v_min_u32_e32 v60, 32, v58
	v_subrev_u32_e32 v58, 28, v60
	v_lshlrev_b64 v[58:59], v58, v[38:39]
	v_lshrrev_b32_e32 v57, 3, v56
	v_sub_u32_e32 v38, 29, v60
	v_and_b32_e32 v58, 7, v58
	v_cmp_gt_u32_e32 vcc, 8, v56
	v_cndmask_b32_e32 v38, v57, v38, vcc
	v_cndmask_b32_e32 v40, v40, v58, vcc
	v_lshlrev_b32_e32 v56, 16, v41
	v_bfrev_b32_e32 v57, 60
	v_lshlrev_b32_e32 v40, 20, v40
	v_and_b32_e32 v56, 0x80000000, v56
	v_lshl_add_u32 v38, v38, 23, v57
	v_or3_b32 v38, v56, v38, v40
	v_lshrrev_b32_e32 v40, 16, v38
.LBB865_189:
	s_or_b64 exec, exec, s[8:9]
.LBB865_190:
	s_or_b64 exec, exec, s[2:3]
.LBB865_191:
	s_or_b64 exec, exec, s[0:1]
	s_movk_i32 s0, 0xff
	v_and_b32_sdwa v58, v41, s0 dst_sel:DWORD dst_unused:UNUSED_PAD src0_sel:WORD_1 src1_sel:DWORD
	v_lshrrev_b32_e32 v38, 16, v41
	v_cmp_ne_u16_e32 vcc, 0, v58
	v_mov_b32_e32 v56, 0
	v_mov_b32_e32 v57, 0
	s_and_saveexec_b64 s[0:1], vcc
	s_cbranch_execz .LBB865_197
; %bb.192:
	s_movk_i32 s2, 0x80
	v_cmp_ne_u16_e32 vcc, s2, v58
	v_mov_b32_e32 v57, 0xffff8000
	s_and_saveexec_b64 s[2:3], vcc
	s_cbranch_execz .LBB865_196
; %bb.193:
	v_bfe_u32 v58, v41, 16, 7
	s_movk_i32 s8, 0x7f
	v_cmp_ne_u32_e32 vcc, s8, v58
	v_mov_b32_e32 v57, 0x7f80
	s_and_saveexec_b64 s[8:9], vcc
	s_cbranch_execz .LBB865_195
; %bb.194:
	v_and_b32_e32 v57, 7, v38
	v_ffbh_u32_e32 v60, v57
	v_min_u32_e32 v62, 32, v60
	v_subrev_u32_e32 v60, 28, v62
	v_lshlrev_b64 v[60:61], v60, v[38:39]
	v_lshrrev_b32_e32 v59, 3, v58
	v_sub_u32_e32 v38, 29, v62
	v_and_b32_e32 v60, 7, v60
	v_cmp_gt_u32_e32 vcc, 8, v58
	v_mov_b32_e32 v58, 24
	v_cndmask_b32_e32 v38, v59, v38, vcc
	v_cndmask_b32_e32 v57, v57, v60, vcc
	v_lshlrev_b32_sdwa v58, v58, v41 dst_sel:DWORD dst_unused:UNUSED_PAD src0_sel:DWORD src1_sel:WORD_1
	v_bfrev_b32_e32 v59, 60
	v_lshlrev_b32_e32 v57, 20, v57
	v_and_b32_e32 v58, 0x80000000, v58
	v_lshl_add_u32 v38, v38, 23, v59
	v_or3_b32 v38, v58, v38, v57
	v_lshrrev_b32_e32 v57, 16, v38
.LBB865_195:
	s_or_b64 exec, exec, s[8:9]
.LBB865_196:
	s_or_b64 exec, exec, s[2:3]
.LBB865_197:
	s_or_b64 exec, exec, s[0:1]
	s_mov_b32 s0, 0xffffff
	v_cmp_lt_u32_e32 vcc, s0, v41
	s_and_saveexec_b64 s[0:1], vcc
	s_cbranch_execz .LBB865_203
; %bb.198:
	v_lshrrev_b32_e32 v38, 24, v41
	s_movk_i32 s2, 0x80
	v_cmp_ne_u32_e32 vcc, s2, v38
	v_mov_b32_e32 v56, 0xffff8000
	s_and_saveexec_b64 s[2:3], vcc
	s_cbranch_execz .LBB865_202
; %bb.199:
	v_bfe_u32 v41, v41, 24, 7
	s_movk_i32 s8, 0x7f
	v_cmp_ne_u32_e32 vcc, s8, v41
	v_mov_b32_e32 v56, 0x7f80
	s_and_saveexec_b64 s[8:9], vcc
	s_cbranch_execz .LBB865_201
; %bb.200:
	v_and_b32_e32 v56, 7, v38
	v_ffbh_u32_e32 v58, v56
	v_min_u32_e32 v61, 32, v58
	v_subrev_u32_e32 v58, 28, v61
	v_lshlrev_b64 v[58:59], v58, v[38:39]
	v_lshrrev_b32_e32 v60, 3, v41
	v_sub_u32_e32 v59, 29, v61
	v_and_b32_e32 v58, 7, v58
	v_cmp_gt_u32_e32 vcc, 8, v41
	v_cndmask_b32_e32 v41, v60, v59, vcc
	v_cndmask_b32_e32 v56, v56, v58, vcc
	v_lshlrev_b32_e32 v38, 24, v38
	v_bfrev_b32_e32 v58, 60
	v_lshlrev_b32_e32 v56, 20, v56
	v_and_b32_e32 v38, 0x80000000, v38
	v_lshl_add_u32 v41, v41, 23, v58
	v_or3_b32 v38, v38, v41, v56
	v_lshrrev_b32_e32 v56, 16, v38
.LBB865_201:
	s_or_b64 exec, exec, s[8:9]
.LBB865_202:
	s_or_b64 exec, exec, s[2:3]
.LBB865_203:
	s_or_b64 exec, exec, s[0:1]
	s_mov_b32 s0, 0x5040100
	v_perm_b32 v53, v53, v54, s0
	v_perm_b32 v52, v39, v52, s0
	;; [unrolled: 1-line block ×4, first 2 shown]
	v_mfma_f32_16x16x16bf16_1k v[58:61], v[52:53], v[18:19], v[42:45]
	s_nop 6
	v_mov_b32_e32 v43, 0
	s_waitcnt vmcnt(5)
	v_cmp_ne_u16_sdwa s[2:3], v34, v43 src0_sel:BYTE_0 src1_sel:DWORD
	v_mfma_f32_16x16x16bf16_1k v[38:41], v[38:39], v[20:21], v[58:61]
	v_mov_b32_e32 v44, 0
	s_and_saveexec_b64 s[0:1], s[2:3]
	s_cbranch_execz .LBB865_209
; %bb.204:
	s_movk_i32 s2, 0x80
	v_cmp_ne_u16_sdwa s[8:9], v34, s2 src0_sel:BYTE_0 src1_sel:DWORD
	v_mov_b32_e32 v44, 0xffff8000
	s_and_saveexec_b64 s[2:3], s[8:9]
	s_cbranch_execz .LBB865_208
; %bb.205:
	s_movk_i32 s8, 0x7f
	v_and_b32_e32 v42, 0x7f, v34
	v_cmp_ne_u32_e32 vcc, s8, v42
	v_mov_b32_e32 v44, 0x7f80
	s_and_saveexec_b64 s[8:9], vcc
	s_cbranch_execz .LBB865_207
; %bb.206:
	v_and_b32_e32 v52, 7, v34
	v_ffbh_u32_e32 v44, v52
	v_min_u32_e32 v54, 32, v44
	v_subrev_u32_e32 v44, 28, v54
	v_lshlrev_b64 v[44:45], v44, v[34:35]
	v_lshrrev_b32_e32 v53, 3, v42
	v_sub_u32_e32 v45, 29, v54
	v_and_b32_e32 v44, 7, v44
	v_cmp_gt_u32_e32 vcc, 8, v42
	v_cndmask_b32_e32 v42, v53, v45, vcc
	v_cndmask_b32_e32 v44, v52, v44, vcc
	v_lshlrev_b32_e32 v45, 24, v34
	v_bfrev_b32_e32 v52, 60
	v_lshlrev_b32_e32 v44, 20, v44
	v_and_b32_e32 v45, 0x80000000, v45
	v_lshl_add_u32 v42, v42, 23, v52
	v_or3_b32 v42, v45, v42, v44
	v_lshrrev_b32_e32 v44, 16, v42
.LBB865_207:
	s_or_b64 exec, exec, s[8:9]
.LBB865_208:
	s_or_b64 exec, exec, s[2:3]
.LBB865_209:
	s_or_b64 exec, exec, s[0:1]
	v_lshrrev_b16_e32 v42, 8, v34
	v_cmp_ne_u16_e32 vcc, 0, v42
	s_and_saveexec_b64 s[0:1], vcc
	s_cbranch_execz .LBB865_215
; %bb.210:
	s_movk_i32 s2, 0x80
	v_cmp_ne_u16_e32 vcc, s2, v42
	v_mov_b32_e32 v43, 0xffff8000
	s_and_saveexec_b64 s[2:3], vcc
	s_cbranch_execz .LBB865_214
; %bb.211:
	s_movk_i32 s8, 0x7f
	v_and_b32_e32 v45, 0x7f, v42
	v_cmp_ne_u32_e32 vcc, s8, v45
	v_mov_b32_e32 v43, 0x7f80
	s_and_saveexec_b64 s[8:9], vcc
	s_cbranch_execz .LBB865_213
; %bb.212:
	v_and_b32_e32 v52, 7, v42
	v_ffbh_u32_e32 v43, v52
	v_min_u32_e32 v54, 32, v43
	v_subrev_u32_e32 v43, 28, v54
	v_lshlrev_b64 v[42:43], v43, v[42:43]
	v_lshrrev_b32_e32 v53, 3, v45
	v_sub_u32_e32 v43, 29, v54
	v_and_b32_e32 v42, 7, v42
	v_cmp_gt_u32_e32 vcc, 8, v45
	v_cndmask_b32_e32 v43, v53, v43, vcc
	v_cndmask_b32_e32 v42, v52, v42, vcc
	v_lshlrev_b32_e32 v45, 16, v34
	v_bfrev_b32_e32 v52, 60
	v_lshlrev_b32_e32 v42, 20, v42
	v_and_b32_e32 v45, 0x80000000, v45
	v_lshl_add_u32 v43, v43, 23, v52
	v_or3_b32 v42, v45, v43, v42
	v_lshrrev_b32_e32 v43, 16, v42
.LBB865_213:
	s_or_b64 exec, exec, s[8:9]
.LBB865_214:
	s_or_b64 exec, exec, s[2:3]
.LBB865_215:
	s_or_b64 exec, exec, s[0:1]
	s_movk_i32 s0, 0xff
	v_and_b32_sdwa v53, v34, s0 dst_sel:DWORD dst_unused:UNUSED_PAD src0_sel:WORD_1 src1_sel:DWORD
	v_lshrrev_b32_e32 v42, 16, v34
	v_cmp_ne_u16_e32 vcc, 0, v53
	v_mov_b32_e32 v45, 0
	v_mov_b32_e32 v52, 0
	s_and_saveexec_b64 s[0:1], vcc
	s_cbranch_execz .LBB865_221
; %bb.216:
	s_movk_i32 s2, 0x80
	v_cmp_ne_u16_e32 vcc, s2, v53
	v_mov_b32_e32 v52, 0xffff8000
	s_and_saveexec_b64 s[2:3], vcc
	s_cbranch_execz .LBB865_220
; %bb.217:
	v_bfe_u32 v53, v34, 16, 7
	s_movk_i32 s8, 0x7f
	v_cmp_ne_u32_e32 vcc, s8, v53
	v_mov_b32_e32 v52, 0x7f80
	s_and_saveexec_b64 s[8:9], vcc
	s_cbranch_execz .LBB865_219
; %bb.218:
	v_and_b32_e32 v52, 7, v42
	v_ffbh_u32_e32 v54, v52
	v_min_u32_e32 v57, 32, v54
	v_subrev_u32_e32 v54, 28, v57
	v_lshlrev_b64 v[54:55], v54, v[42:43]
	v_lshrrev_b32_e32 v56, 3, v53
	v_sub_u32_e32 v42, 29, v57
	v_and_b32_e32 v54, 7, v54
	v_cmp_gt_u32_e32 vcc, 8, v53
	v_mov_b32_e32 v53, 24
	v_cndmask_b32_e32 v42, v56, v42, vcc
	v_cndmask_b32_e32 v52, v52, v54, vcc
	v_lshlrev_b32_sdwa v53, v53, v34 dst_sel:DWORD dst_unused:UNUSED_PAD src0_sel:DWORD src1_sel:WORD_1
	v_bfrev_b32_e32 v54, 60
	v_lshlrev_b32_e32 v52, 20, v52
	v_and_b32_e32 v53, 0x80000000, v53
	v_lshl_add_u32 v42, v42, 23, v54
	v_or3_b32 v42, v53, v42, v52
	v_lshrrev_b32_e32 v52, 16, v42
.LBB865_219:
	s_or_b64 exec, exec, s[8:9]
.LBB865_220:
	s_or_b64 exec, exec, s[2:3]
.LBB865_221:
	s_or_b64 exec, exec, s[0:1]
	s_mov_b32 s0, 0xffffff
	v_cmp_lt_u32_e32 vcc, s0, v34
	s_and_saveexec_b64 s[0:1], vcc
	s_cbranch_execz .LBB865_227
; %bb.222:
	v_lshrrev_b32_e32 v42, 24, v34
	s_movk_i32 s2, 0x80
	v_cmp_ne_u32_e32 vcc, s2, v42
	v_mov_b32_e32 v45, 0xffff8000
	s_and_saveexec_b64 s[2:3], vcc
	s_cbranch_execz .LBB865_226
; %bb.223:
	v_bfe_u32 v34, v34, 24, 7
	s_movk_i32 s8, 0x7f
	v_cmp_ne_u32_e32 vcc, s8, v34
	v_mov_b32_e32 v45, 0x7f80
	s_and_saveexec_b64 s[8:9], vcc
	s_cbranch_execz .LBB865_225
; %bb.224:
	v_and_b32_e32 v45, 7, v42
	v_ffbh_u32_e32 v54, v45
	v_min_u32_e32 v56, 32, v54
	v_subrev_u32_e32 v54, 28, v56
	v_lshlrev_b64 v[54:55], v54, v[42:43]
	v_lshrrev_b32_e32 v53, 3, v34
	v_sub_u32_e32 v55, 29, v56
	v_and_b32_e32 v54, 7, v54
	v_cmp_gt_u32_e32 vcc, 8, v34
	v_cndmask_b32_e32 v34, v53, v55, vcc
	v_cndmask_b32_e32 v45, v45, v54, vcc
	v_lshlrev_b32_e32 v42, 24, v42
	v_bfrev_b32_e32 v53, 60
	v_lshlrev_b32_e32 v45, 20, v45
	v_and_b32_e32 v42, 0x80000000, v42
	v_lshl_add_u32 v34, v34, 23, v53
	v_or3_b32 v34, v42, v34, v45
	v_lshrrev_b32_e32 v45, 16, v34
.LBB865_225:
	s_or_b64 exec, exec, s[8:9]
.LBB865_226:
	s_or_b64 exec, exec, s[2:3]
.LBB865_227:
	s_or_b64 exec, exec, s[0:1]
	v_mov_b32_e32 v42, 0
	v_cmp_ne_u16_sdwa s[2:3], v35, v42 src0_sel:BYTE_0 src1_sel:DWORD
	v_mov_b32_e32 v53, 0
	s_and_saveexec_b64 s[0:1], s[2:3]
	s_cbranch_execz .LBB865_233
; %bb.228:
	s_movk_i32 s2, 0x80
	v_cmp_ne_u16_sdwa s[8:9], v35, s2 src0_sel:BYTE_0 src1_sel:DWORD
	v_mov_b32_e32 v53, 0xffff8000
	s_and_saveexec_b64 s[2:3], s[8:9]
	s_cbranch_execz .LBB865_232
; %bb.229:
	s_movk_i32 s8, 0x7f
	v_and_b32_e32 v34, 0x7f, v35
	v_cmp_ne_u32_e32 vcc, s8, v34
	v_mov_b32_e32 v53, 0x7f80
	s_and_saveexec_b64 s[8:9], vcc
	s_cbranch_execz .LBB865_231
; %bb.230:
	v_and_b32_e32 v53, 7, v35
	v_ffbh_u32_e32 v55, v53
	v_min_u32_e32 v57, 32, v55
	v_mov_b32_e32 v54, v35
	v_subrev_u32_e32 v55, 28, v57
	v_lshlrev_b64 v[54:55], v55, v[54:55]
	v_lshrrev_b32_e32 v56, 3, v34
	v_sub_u32_e32 v55, 29, v57
	v_and_b32_e32 v54, 7, v54
	v_cmp_gt_u32_e32 vcc, 8, v34
	v_cndmask_b32_e32 v34, v56, v55, vcc
	v_cndmask_b32_e32 v53, v53, v54, vcc
	v_lshlrev_b32_e32 v54, 24, v35
	v_bfrev_b32_e32 v55, 60
	v_lshlrev_b32_e32 v53, 20, v53
	v_and_b32_e32 v54, 0x80000000, v54
	v_lshl_add_u32 v34, v34, 23, v55
	v_or3_b32 v34, v54, v34, v53
	v_lshrrev_b32_e32 v53, 16, v34
.LBB865_231:
	s_or_b64 exec, exec, s[8:9]
.LBB865_232:
	s_or_b64 exec, exec, s[2:3]
.LBB865_233:
	s_or_b64 exec, exec, s[0:1]
	v_lshrrev_b16_e32 v34, 8, v35
	v_cmp_ne_u16_e32 vcc, 0, v34
	s_and_saveexec_b64 s[0:1], vcc
	s_cbranch_execz .LBB865_239
; %bb.234:
	s_movk_i32 s2, 0x80
	v_cmp_ne_u16_e32 vcc, s2, v34
	v_mov_b32_e32 v42, 0xffff8000
	s_and_saveexec_b64 s[2:3], vcc
	s_cbranch_execz .LBB865_238
; %bb.235:
	s_movk_i32 s8, 0x7f
	v_and_b32_e32 v54, 0x7f, v34
	v_cmp_ne_u32_e32 vcc, s8, v54
	v_mov_b32_e32 v42, 0x7f80
	s_and_saveexec_b64 s[8:9], vcc
	s_cbranch_execz .LBB865_237
; %bb.236:
	v_and_b32_e32 v42, 7, v34
	v_ffbh_u32_e32 v56, v42
	v_min_u32_e32 v58, 32, v56
	v_subrev_u32_e32 v56, 28, v58
	v_lshlrev_b64 v[56:57], v56, v[34:35]
	v_lshrrev_b32_e32 v55, 3, v54
	v_sub_u32_e32 v34, 29, v58
	v_and_b32_e32 v56, 7, v56
	v_cmp_gt_u32_e32 vcc, 8, v54
	v_cndmask_b32_e32 v34, v55, v34, vcc
	v_cndmask_b32_e32 v42, v42, v56, vcc
	v_lshlrev_b32_e32 v54, 16, v35
	v_bfrev_b32_e32 v55, 60
	v_lshlrev_b32_e32 v42, 20, v42
	v_and_b32_e32 v54, 0x80000000, v54
	v_lshl_add_u32 v34, v34, 23, v55
	v_or3_b32 v34, v54, v34, v42
	v_lshrrev_b32_e32 v42, 16, v34
.LBB865_237:
	s_or_b64 exec, exec, s[8:9]
.LBB865_238:
	s_or_b64 exec, exec, s[2:3]
.LBB865_239:
	s_or_b64 exec, exec, s[0:1]
	s_movk_i32 s0, 0xff
	v_and_b32_sdwa v56, v35, s0 dst_sel:DWORD dst_unused:UNUSED_PAD src0_sel:WORD_1 src1_sel:DWORD
	v_lshrrev_b32_e32 v34, 16, v35
	v_cmp_ne_u16_e32 vcc, 0, v56
	v_mov_b32_e32 v54, 0
	v_mov_b32_e32 v55, 0
	s_and_saveexec_b64 s[0:1], vcc
	s_cbranch_execz .LBB865_245
; %bb.240:
	s_movk_i32 s2, 0x80
	v_cmp_ne_u16_e32 vcc, s2, v56
	v_mov_b32_e32 v55, 0xffff8000
	s_and_saveexec_b64 s[2:3], vcc
	s_cbranch_execz .LBB865_244
; %bb.241:
	v_bfe_u32 v56, v35, 16, 7
	s_movk_i32 s8, 0x7f
	v_cmp_ne_u32_e32 vcc, s8, v56
	v_mov_b32_e32 v55, 0x7f80
	s_and_saveexec_b64 s[8:9], vcc
	s_cbranch_execz .LBB865_243
; %bb.242:
	v_and_b32_e32 v55, 7, v34
	v_ffbh_u32_e32 v58, v55
	v_min_u32_e32 v60, 32, v58
	v_subrev_u32_e32 v58, 28, v60
	v_lshlrev_b64 v[58:59], v58, v[34:35]
	v_lshrrev_b32_e32 v57, 3, v56
	v_sub_u32_e32 v34, 29, v60
	v_and_b32_e32 v58, 7, v58
	v_cmp_gt_u32_e32 vcc, 8, v56
	v_mov_b32_e32 v56, 24
	v_cndmask_b32_e32 v34, v57, v34, vcc
	v_cndmask_b32_e32 v55, v55, v58, vcc
	v_lshlrev_b32_sdwa v56, v56, v35 dst_sel:DWORD dst_unused:UNUSED_PAD src0_sel:DWORD src1_sel:WORD_1
	v_bfrev_b32_e32 v57, 60
	v_lshlrev_b32_e32 v55, 20, v55
	v_and_b32_e32 v56, 0x80000000, v56
	v_lshl_add_u32 v34, v34, 23, v57
	v_or3_b32 v34, v56, v34, v55
	v_lshrrev_b32_e32 v55, 16, v34
.LBB865_243:
	s_or_b64 exec, exec, s[8:9]
.LBB865_244:
	s_or_b64 exec, exec, s[2:3]
.LBB865_245:
	s_or_b64 exec, exec, s[0:1]
	s_mov_b32 s0, 0xffffff
	v_cmp_lt_u32_e32 vcc, s0, v35
	s_and_saveexec_b64 s[0:1], vcc
	s_cbranch_execz .LBB865_251
; %bb.246:
	v_lshrrev_b32_e32 v34, 24, v35
	s_movk_i32 s2, 0x80
	v_cmp_ne_u32_e32 vcc, s2, v34
	v_mov_b32_e32 v54, 0xffff8000
	s_and_saveexec_b64 s[2:3], vcc
	s_cbranch_execz .LBB865_250
; %bb.247:
	v_bfe_u32 v35, v35, 24, 7
	s_movk_i32 s8, 0x7f
	v_cmp_ne_u32_e32 vcc, s8, v35
	v_mov_b32_e32 v54, 0x7f80
	s_and_saveexec_b64 s[8:9], vcc
	s_cbranch_execz .LBB865_249
; %bb.248:
	v_and_b32_e32 v54, 7, v34
	v_ffbh_u32_e32 v56, v54
	v_min_u32_e32 v59, 32, v56
	v_subrev_u32_e32 v56, 28, v59
	v_lshlrev_b64 v[56:57], v56, v[34:35]
	v_lshrrev_b32_e32 v58, 3, v35
	v_sub_u32_e32 v57, 29, v59
	v_and_b32_e32 v56, 7, v56
	v_cmp_gt_u32_e32 vcc, 8, v35
	v_cndmask_b32_e32 v35, v58, v57, vcc
	v_cndmask_b32_e32 v54, v54, v56, vcc
	v_lshlrev_b32_e32 v34, 24, v34
	v_bfrev_b32_e32 v56, 60
	v_lshlrev_b32_e32 v54, 20, v54
	v_and_b32_e32 v34, 0x80000000, v34
	v_lshl_add_u32 v35, v35, 23, v56
	v_or3_b32 v34, v34, v35, v54
	v_lshrrev_b32_e32 v54, 16, v34
.LBB865_249:
	s_or_b64 exec, exec, s[8:9]
.LBB865_250:
	s_or_b64 exec, exec, s[2:3]
.LBB865_251:
	s_or_b64 exec, exec, s[0:1]
	s_mov_b32 s0, 0x5040100
	v_perm_b32 v35, v45, v52, s0
	v_perm_b32 v34, v43, v44, s0
	;; [unrolled: 1-line block ×4, first 2 shown]
	v_mov_b32_e32 v52, 0
	v_mfma_f32_16x16x16bf16_1k v[56:59], v[34:35], v[26:27], 0
	v_mov_b32_e32 v35, 0
	v_cmp_ne_u16_sdwa s[2:3], v36, v35 src0_sel:BYTE_0 src1_sel:DWORD
	v_mfma_f32_16x16x16bf16_1k v[42:45], v[42:43], v[28:29], v[56:59]
	s_and_saveexec_b64 s[0:1], s[2:3]
	s_cbranch_execz .LBB865_257
; %bb.252:
	s_movk_i32 s2, 0x80
	v_cmp_ne_u16_sdwa s[8:9], v36, s2 src0_sel:BYTE_0 src1_sel:DWORD
	v_mov_b32_e32 v52, 0xffff8000
	s_and_saveexec_b64 s[2:3], s[8:9]
	s_cbranch_execz .LBB865_256
; %bb.253:
	s_movk_i32 s8, 0x7f
	v_and_b32_e32 v34, 0x7f, v36
	v_cmp_ne_u32_e32 vcc, s8, v34
	v_mov_b32_e32 v52, 0x7f80
	s_and_saveexec_b64 s[8:9], vcc
	s_cbranch_execz .LBB865_255
; %bb.254:
	v_and_b32_e32 v54, 7, v36
	v_ffbh_u32_e32 v52, v54
	v_min_u32_e32 v56, 32, v52
	v_subrev_u32_e32 v52, 28, v56
	v_lshlrev_b64 v[52:53], v52, v[36:37]
	v_lshrrev_b32_e32 v55, 3, v34
	v_sub_u32_e32 v53, 29, v56
	v_and_b32_e32 v52, 7, v52
	v_cmp_gt_u32_e32 vcc, 8, v34
	v_cndmask_b32_e32 v34, v55, v53, vcc
	v_cndmask_b32_e32 v52, v54, v52, vcc
	v_lshlrev_b32_e32 v53, 24, v36
	v_bfrev_b32_e32 v54, 60
	v_lshlrev_b32_e32 v52, 20, v52
	v_and_b32_e32 v53, 0x80000000, v53
	v_lshl_add_u32 v34, v34, 23, v54
	v_or3_b32 v34, v53, v34, v52
	v_lshrrev_b32_e32 v52, 16, v34
.LBB865_255:
	s_or_b64 exec, exec, s[8:9]
.LBB865_256:
	s_or_b64 exec, exec, s[2:3]
.LBB865_257:
	s_or_b64 exec, exec, s[0:1]
	v_lshrrev_b16_e32 v34, 8, v36
	v_cmp_ne_u16_e32 vcc, 0, v34
	s_and_saveexec_b64 s[0:1], vcc
	s_cbranch_execz .LBB865_263
; %bb.258:
	s_movk_i32 s2, 0x80
	v_cmp_ne_u16_e32 vcc, s2, v34
	v_mov_b32_e32 v35, 0xffff8000
	s_and_saveexec_b64 s[2:3], vcc
	s_cbranch_execz .LBB865_262
; %bb.259:
	s_movk_i32 s8, 0x7f
	v_and_b32_e32 v53, 0x7f, v34
	v_cmp_ne_u32_e32 vcc, s8, v53
	v_mov_b32_e32 v35, 0x7f80
	s_and_saveexec_b64 s[8:9], vcc
	s_cbranch_execz .LBB865_261
; %bb.260:
	v_and_b32_e32 v54, 7, v34
	v_ffbh_u32_e32 v35, v54
	v_min_u32_e32 v56, 32, v35
	v_subrev_u32_e32 v35, 28, v56
	v_lshlrev_b64 v[34:35], v35, v[34:35]
	v_lshrrev_b32_e32 v55, 3, v53
	v_sub_u32_e32 v35, 29, v56
	v_and_b32_e32 v34, 7, v34
	v_cmp_gt_u32_e32 vcc, 8, v53
	v_cndmask_b32_e32 v35, v55, v35, vcc
	v_cndmask_b32_e32 v34, v54, v34, vcc
	v_lshlrev_b32_e32 v53, 16, v36
	v_bfrev_b32_e32 v54, 60
	v_lshlrev_b32_e32 v34, 20, v34
	v_and_b32_e32 v53, 0x80000000, v53
	v_lshl_add_u32 v35, v35, 23, v54
	v_or3_b32 v34, v53, v35, v34
	v_lshrrev_b32_e32 v35, 16, v34
.LBB865_261:
	s_or_b64 exec, exec, s[8:9]
.LBB865_262:
	s_or_b64 exec, exec, s[2:3]
.LBB865_263:
	s_or_b64 exec, exec, s[0:1]
	s_movk_i32 s0, 0xff
	v_and_b32_sdwa v55, v36, s0 dst_sel:DWORD dst_unused:UNUSED_PAD src0_sel:WORD_1 src1_sel:DWORD
	v_lshrrev_b32_e32 v34, 16, v36
	v_cmp_ne_u16_e32 vcc, 0, v55
	v_mov_b32_e32 v53, 0
	v_mov_b32_e32 v54, 0
	s_and_saveexec_b64 s[0:1], vcc
	s_cbranch_execz .LBB865_269
; %bb.264:
	s_movk_i32 s2, 0x80
	v_cmp_ne_u16_e32 vcc, s2, v55
	v_mov_b32_e32 v54, 0xffff8000
	s_and_saveexec_b64 s[2:3], vcc
	s_cbranch_execz .LBB865_268
; %bb.265:
	v_bfe_u32 v55, v36, 16, 7
	s_movk_i32 s8, 0x7f
	v_cmp_ne_u32_e32 vcc, s8, v55
	v_mov_b32_e32 v54, 0x7f80
	s_and_saveexec_b64 s[8:9], vcc
	s_cbranch_execz .LBB865_267
; %bb.266:
	v_and_b32_e32 v54, 7, v34
	v_ffbh_u32_e32 v56, v54
	v_min_u32_e32 v59, 32, v56
	v_subrev_u32_e32 v56, 28, v59
	v_lshlrev_b64 v[56:57], v56, v[34:35]
	v_lshrrev_b32_e32 v58, 3, v55
	v_sub_u32_e32 v34, 29, v59
	v_and_b32_e32 v56, 7, v56
	v_cmp_gt_u32_e32 vcc, 8, v55
	v_mov_b32_e32 v55, 24
	v_cndmask_b32_e32 v34, v58, v34, vcc
	v_cndmask_b32_e32 v54, v54, v56, vcc
	v_lshlrev_b32_sdwa v55, v55, v36 dst_sel:DWORD dst_unused:UNUSED_PAD src0_sel:DWORD src1_sel:WORD_1
	v_bfrev_b32_e32 v56, 60
	v_lshlrev_b32_e32 v54, 20, v54
	v_and_b32_e32 v55, 0x80000000, v55
	v_lshl_add_u32 v34, v34, 23, v56
	v_or3_b32 v34, v55, v34, v54
	v_lshrrev_b32_e32 v54, 16, v34
.LBB865_267:
	s_or_b64 exec, exec, s[8:9]
.LBB865_268:
	s_or_b64 exec, exec, s[2:3]
.LBB865_269:
	s_or_b64 exec, exec, s[0:1]
	s_mov_b32 s0, 0xffffff
	v_cmp_lt_u32_e32 vcc, s0, v36
	s_and_saveexec_b64 s[0:1], vcc
	s_cbranch_execz .LBB865_275
; %bb.270:
	v_lshrrev_b32_e32 v34, 24, v36
	s_movk_i32 s2, 0x80
	v_cmp_ne_u32_e32 vcc, s2, v34
	v_mov_b32_e32 v53, 0xffff8000
	s_and_saveexec_b64 s[2:3], vcc
	s_cbranch_execz .LBB865_274
; %bb.271:
	v_bfe_u32 v36, v36, 24, 7
	s_movk_i32 s8, 0x7f
	v_cmp_ne_u32_e32 vcc, s8, v36
	v_mov_b32_e32 v53, 0x7f80
	s_and_saveexec_b64 s[8:9], vcc
	s_cbranch_execz .LBB865_273
; %bb.272:
	v_and_b32_e32 v53, 7, v34
	v_ffbh_u32_e32 v56, v53
	v_min_u32_e32 v58, 32, v56
	v_subrev_u32_e32 v56, 28, v58
	v_lshlrev_b64 v[56:57], v56, v[34:35]
	v_lshrrev_b32_e32 v55, 3, v36
	v_sub_u32_e32 v57, 29, v58
	v_and_b32_e32 v56, 7, v56
	v_cmp_gt_u32_e32 vcc, 8, v36
	v_cndmask_b32_e32 v36, v55, v57, vcc
	v_cndmask_b32_e32 v53, v53, v56, vcc
	v_lshlrev_b32_e32 v34, 24, v34
	v_bfrev_b32_e32 v55, 60
	v_lshlrev_b32_e32 v53, 20, v53
	v_and_b32_e32 v34, 0x80000000, v34
	v_lshl_add_u32 v36, v36, 23, v55
	v_or3_b32 v34, v34, v36, v53
	v_lshrrev_b32_e32 v53, 16, v34
.LBB865_273:
	s_or_b64 exec, exec, s[8:9]
.LBB865_274:
	s_or_b64 exec, exec, s[2:3]
.LBB865_275:
	s_or_b64 exec, exec, s[0:1]
	v_mov_b32_e32 v36, 0
	v_cmp_ne_u16_sdwa s[2:3], v37, v36 src0_sel:BYTE_0 src1_sel:DWORD
	v_mov_b32_e32 v55, 0
	s_and_saveexec_b64 s[0:1], s[2:3]
	s_cbranch_execz .LBB865_281
; %bb.276:
	s_movk_i32 s2, 0x80
	v_cmp_ne_u16_sdwa s[8:9], v37, s2 src0_sel:BYTE_0 src1_sel:DWORD
	v_mov_b32_e32 v55, 0xffff8000
	s_and_saveexec_b64 s[2:3], s[8:9]
	s_cbranch_execz .LBB865_280
; %bb.277:
	s_movk_i32 s8, 0x7f
	v_and_b32_e32 v34, 0x7f, v37
	v_cmp_ne_u32_e32 vcc, s8, v34
	v_mov_b32_e32 v55, 0x7f80
	s_and_saveexec_b64 s[8:9], vcc
	s_cbranch_execz .LBB865_279
; %bb.278:
	v_and_b32_e32 v55, 7, v37
	v_ffbh_u32_e32 v57, v55
	v_min_u32_e32 v59, 32, v57
	v_mov_b32_e32 v56, v37
	v_subrev_u32_e32 v57, 28, v59
	v_lshlrev_b64 v[56:57], v57, v[56:57]
	v_lshrrev_b32_e32 v58, 3, v34
	v_sub_u32_e32 v57, 29, v59
	v_and_b32_e32 v56, 7, v56
	v_cmp_gt_u32_e32 vcc, 8, v34
	v_cndmask_b32_e32 v34, v58, v57, vcc
	v_cndmask_b32_e32 v55, v55, v56, vcc
	v_lshlrev_b32_e32 v56, 24, v37
	v_bfrev_b32_e32 v57, 60
	v_lshlrev_b32_e32 v55, 20, v55
	v_and_b32_e32 v56, 0x80000000, v56
	v_lshl_add_u32 v34, v34, 23, v57
	v_or3_b32 v34, v56, v34, v55
	v_lshrrev_b32_e32 v55, 16, v34
.LBB865_279:
	s_or_b64 exec, exec, s[8:9]
.LBB865_280:
	s_or_b64 exec, exec, s[2:3]
.LBB865_281:
	s_or_b64 exec, exec, s[0:1]
	v_lshrrev_b16_e32 v34, 8, v37
	v_cmp_ne_u16_e32 vcc, 0, v34
	s_and_saveexec_b64 s[0:1], vcc
	s_cbranch_execz .LBB865_287
; %bb.282:
	s_movk_i32 s2, 0x80
	v_cmp_ne_u16_e32 vcc, s2, v34
	v_mov_b32_e32 v36, 0xffff8000
	s_and_saveexec_b64 s[2:3], vcc
	s_cbranch_execz .LBB865_286
; %bb.283:
	s_movk_i32 s8, 0x7f
	v_and_b32_e32 v56, 0x7f, v34
	v_cmp_ne_u32_e32 vcc, s8, v56
	v_mov_b32_e32 v36, 0x7f80
	s_and_saveexec_b64 s[8:9], vcc
	s_cbranch_execz .LBB865_285
; %bb.284:
	v_and_b32_e32 v36, 7, v34
	v_ffbh_u32_e32 v58, v36
	v_min_u32_e32 v60, 32, v58
	v_subrev_u32_e32 v58, 28, v60
	v_lshlrev_b64 v[58:59], v58, v[34:35]
	v_lshrrev_b32_e32 v57, 3, v56
	v_sub_u32_e32 v34, 29, v60
	v_and_b32_e32 v58, 7, v58
	v_cmp_gt_u32_e32 vcc, 8, v56
	v_cndmask_b32_e32 v34, v57, v34, vcc
	v_cndmask_b32_e32 v36, v36, v58, vcc
	v_lshlrev_b32_e32 v56, 16, v37
	v_bfrev_b32_e32 v57, 60
	v_lshlrev_b32_e32 v36, 20, v36
	v_and_b32_e32 v56, 0x80000000, v56
	v_lshl_add_u32 v34, v34, 23, v57
	v_or3_b32 v34, v56, v34, v36
	v_lshrrev_b32_e32 v36, 16, v34
.LBB865_285:
	s_or_b64 exec, exec, s[8:9]
.LBB865_286:
	s_or_b64 exec, exec, s[2:3]
.LBB865_287:
	s_or_b64 exec, exec, s[0:1]
	s_movk_i32 s0, 0xff
	v_and_b32_sdwa v58, v37, s0 dst_sel:DWORD dst_unused:UNUSED_PAD src0_sel:WORD_1 src1_sel:DWORD
	v_lshrrev_b32_e32 v34, 16, v37
	v_cmp_ne_u16_e32 vcc, 0, v58
	v_mov_b32_e32 v56, 0
	v_mov_b32_e32 v57, 0
	s_and_saveexec_b64 s[0:1], vcc
	s_cbranch_execz .LBB865_293
; %bb.288:
	s_movk_i32 s2, 0x80
	v_cmp_ne_u16_e32 vcc, s2, v58
	v_mov_b32_e32 v57, 0xffff8000
	s_and_saveexec_b64 s[2:3], vcc
	s_cbranch_execz .LBB865_292
; %bb.289:
	v_bfe_u32 v58, v37, 16, 7
	s_movk_i32 s8, 0x7f
	v_cmp_ne_u32_e32 vcc, s8, v58
	v_mov_b32_e32 v57, 0x7f80
	s_and_saveexec_b64 s[8:9], vcc
	s_cbranch_execz .LBB865_291
; %bb.290:
	v_and_b32_e32 v57, 7, v34
	v_ffbh_u32_e32 v60, v57
	v_min_u32_e32 v62, 32, v60
	v_subrev_u32_e32 v60, 28, v62
	v_lshlrev_b64 v[60:61], v60, v[34:35]
	v_lshrrev_b32_e32 v59, 3, v58
	v_sub_u32_e32 v34, 29, v62
	v_and_b32_e32 v60, 7, v60
	v_cmp_gt_u32_e32 vcc, 8, v58
	v_mov_b32_e32 v58, 24
	v_cndmask_b32_e32 v34, v59, v34, vcc
	v_cndmask_b32_e32 v57, v57, v60, vcc
	v_lshlrev_b32_sdwa v58, v58, v37 dst_sel:DWORD dst_unused:UNUSED_PAD src0_sel:DWORD src1_sel:WORD_1
	v_bfrev_b32_e32 v59, 60
	v_lshlrev_b32_e32 v57, 20, v57
	v_and_b32_e32 v58, 0x80000000, v58
	v_lshl_add_u32 v34, v34, 23, v59
	v_or3_b32 v34, v58, v34, v57
	v_lshrrev_b32_e32 v57, 16, v34
.LBB865_291:
	s_or_b64 exec, exec, s[8:9]
.LBB865_292:
	s_or_b64 exec, exec, s[2:3]
.LBB865_293:
	s_or_b64 exec, exec, s[0:1]
	s_mov_b32 s0, 0xffffff
	v_cmp_lt_u32_e32 vcc, s0, v37
	s_and_saveexec_b64 s[0:1], vcc
	s_cbranch_execz .LBB865_299
; %bb.294:
	v_lshrrev_b32_e32 v34, 24, v37
	s_movk_i32 s2, 0x80
	v_cmp_ne_u32_e32 vcc, s2, v34
	v_mov_b32_e32 v56, 0xffff8000
	s_and_saveexec_b64 s[2:3], vcc
	s_cbranch_execz .LBB865_298
; %bb.295:
	v_bfe_u32 v37, v37, 24, 7
	s_movk_i32 s8, 0x7f
	v_cmp_ne_u32_e32 vcc, s8, v37
	v_mov_b32_e32 v56, 0x7f80
	s_and_saveexec_b64 s[8:9], vcc
	s_cbranch_execz .LBB865_297
; %bb.296:
	v_and_b32_e32 v56, 7, v34
	v_ffbh_u32_e32 v58, v56
	v_min_u32_e32 v61, 32, v58
	v_subrev_u32_e32 v58, 28, v61
	v_lshlrev_b64 v[58:59], v58, v[34:35]
	v_lshrrev_b32_e32 v60, 3, v37
	v_sub_u32_e32 v59, 29, v61
	v_and_b32_e32 v58, 7, v58
	v_cmp_gt_u32_e32 vcc, 8, v37
	v_cndmask_b32_e32 v37, v60, v59, vcc
	v_cndmask_b32_e32 v56, v56, v58, vcc
	v_lshlrev_b32_e32 v34, 24, v34
	v_bfrev_b32_e32 v58, 60
	v_lshlrev_b32_e32 v56, 20, v56
	v_and_b32_e32 v34, 0x80000000, v34
	v_lshl_add_u32 v37, v37, 23, v58
	v_or3_b32 v34, v34, v37, v56
	v_lshrrev_b32_e32 v56, 16, v34
.LBB865_297:
	s_or_b64 exec, exec, s[8:9]
.LBB865_298:
	s_or_b64 exec, exec, s[2:3]
.LBB865_299:
	s_or_b64 exec, exec, s[0:1]
	s_mov_b32 s0, 0x5040100
	v_perm_b32 v53, v53, v54, s0
	v_perm_b32 v52, v35, v52, s0
	;; [unrolled: 1-line block ×4, first 2 shown]
	v_mfma_f32_16x16x16bf16_1k v[58:61], v[52:53], v[18:19], v[42:45]
	s_nop 6
	v_mov_b32_e32 v43, 0
	s_waitcnt vmcnt(4)
	v_cmp_ne_u16_sdwa s[2:3], v22, v43 src0_sel:BYTE_0 src1_sel:DWORD
	v_mfma_f32_16x16x16bf16_1k v[34:37], v[34:35], v[20:21], v[58:61]
	v_mov_b32_e32 v44, 0
	s_and_saveexec_b64 s[0:1], s[2:3]
	s_cbranch_execz .LBB865_305
; %bb.300:
	s_movk_i32 s2, 0x80
	v_cmp_ne_u16_sdwa s[8:9], v22, s2 src0_sel:BYTE_0 src1_sel:DWORD
	v_mov_b32_e32 v44, 0xffff8000
	s_and_saveexec_b64 s[2:3], s[8:9]
	s_cbranch_execz .LBB865_304
; %bb.301:
	s_movk_i32 s8, 0x7f
	v_and_b32_e32 v42, 0x7f, v22
	v_cmp_ne_u32_e32 vcc, s8, v42
	v_mov_b32_e32 v44, 0x7f80
	s_and_saveexec_b64 s[8:9], vcc
	s_cbranch_execz .LBB865_303
; %bb.302:
	v_and_b32_e32 v52, 7, v22
	v_ffbh_u32_e32 v44, v52
	v_min_u32_e32 v54, 32, v44
	v_subrev_u32_e32 v44, 28, v54
	v_lshlrev_b64 v[44:45], v44, v[22:23]
	v_lshrrev_b32_e32 v53, 3, v42
	v_sub_u32_e32 v45, 29, v54
	v_and_b32_e32 v44, 7, v44
	v_cmp_gt_u32_e32 vcc, 8, v42
	v_cndmask_b32_e32 v42, v53, v45, vcc
	v_cndmask_b32_e32 v44, v52, v44, vcc
	v_lshlrev_b32_e32 v45, 24, v22
	v_bfrev_b32_e32 v52, 60
	v_lshlrev_b32_e32 v44, 20, v44
	v_and_b32_e32 v45, 0x80000000, v45
	v_lshl_add_u32 v42, v42, 23, v52
	v_or3_b32 v42, v45, v42, v44
	v_lshrrev_b32_e32 v44, 16, v42
.LBB865_303:
	s_or_b64 exec, exec, s[8:9]
.LBB865_304:
	s_or_b64 exec, exec, s[2:3]
.LBB865_305:
	s_or_b64 exec, exec, s[0:1]
	v_lshrrev_b16_e32 v42, 8, v22
	v_cmp_ne_u16_e32 vcc, 0, v42
	s_and_saveexec_b64 s[0:1], vcc
	s_cbranch_execz .LBB865_311
; %bb.306:
	s_movk_i32 s2, 0x80
	v_cmp_ne_u16_e32 vcc, s2, v42
	v_mov_b32_e32 v43, 0xffff8000
	s_and_saveexec_b64 s[2:3], vcc
	s_cbranch_execz .LBB865_310
; %bb.307:
	s_movk_i32 s8, 0x7f
	v_and_b32_e32 v45, 0x7f, v42
	v_cmp_ne_u32_e32 vcc, s8, v45
	v_mov_b32_e32 v43, 0x7f80
	s_and_saveexec_b64 s[8:9], vcc
	s_cbranch_execz .LBB865_309
; %bb.308:
	v_and_b32_e32 v52, 7, v42
	v_ffbh_u32_e32 v43, v52
	v_min_u32_e32 v54, 32, v43
	v_subrev_u32_e32 v43, 28, v54
	v_lshlrev_b64 v[42:43], v43, v[42:43]
	v_lshrrev_b32_e32 v53, 3, v45
	v_sub_u32_e32 v43, 29, v54
	v_and_b32_e32 v42, 7, v42
	v_cmp_gt_u32_e32 vcc, 8, v45
	v_cndmask_b32_e32 v43, v53, v43, vcc
	v_cndmask_b32_e32 v42, v52, v42, vcc
	v_lshlrev_b32_e32 v45, 16, v22
	v_bfrev_b32_e32 v52, 60
	v_lshlrev_b32_e32 v42, 20, v42
	v_and_b32_e32 v45, 0x80000000, v45
	v_lshl_add_u32 v43, v43, 23, v52
	v_or3_b32 v42, v45, v43, v42
	v_lshrrev_b32_e32 v43, 16, v42
.LBB865_309:
	s_or_b64 exec, exec, s[8:9]
.LBB865_310:
	s_or_b64 exec, exec, s[2:3]
.LBB865_311:
	s_or_b64 exec, exec, s[0:1]
	s_movk_i32 s0, 0xff
	v_and_b32_sdwa v53, v22, s0 dst_sel:DWORD dst_unused:UNUSED_PAD src0_sel:WORD_1 src1_sel:DWORD
	v_lshrrev_b32_e32 v42, 16, v22
	v_cmp_ne_u16_e32 vcc, 0, v53
	v_mov_b32_e32 v45, 0
	v_mov_b32_e32 v52, 0
	s_and_saveexec_b64 s[0:1], vcc
	s_cbranch_execz .LBB865_317
; %bb.312:
	s_movk_i32 s2, 0x80
	v_cmp_ne_u16_e32 vcc, s2, v53
	v_mov_b32_e32 v52, 0xffff8000
	s_and_saveexec_b64 s[2:3], vcc
	s_cbranch_execz .LBB865_316
; %bb.313:
	v_bfe_u32 v53, v22, 16, 7
	s_movk_i32 s8, 0x7f
	v_cmp_ne_u32_e32 vcc, s8, v53
	v_mov_b32_e32 v52, 0x7f80
	s_and_saveexec_b64 s[8:9], vcc
	s_cbranch_execz .LBB865_315
; %bb.314:
	v_and_b32_e32 v52, 7, v42
	v_ffbh_u32_e32 v54, v52
	v_min_u32_e32 v57, 32, v54
	v_subrev_u32_e32 v54, 28, v57
	v_lshlrev_b64 v[54:55], v54, v[42:43]
	v_lshrrev_b32_e32 v56, 3, v53
	v_sub_u32_e32 v42, 29, v57
	v_and_b32_e32 v54, 7, v54
	v_cmp_gt_u32_e32 vcc, 8, v53
	v_mov_b32_e32 v53, 24
	v_cndmask_b32_e32 v42, v56, v42, vcc
	v_cndmask_b32_e32 v52, v52, v54, vcc
	v_lshlrev_b32_sdwa v53, v53, v22 dst_sel:DWORD dst_unused:UNUSED_PAD src0_sel:DWORD src1_sel:WORD_1
	v_bfrev_b32_e32 v54, 60
	v_lshlrev_b32_e32 v52, 20, v52
	v_and_b32_e32 v53, 0x80000000, v53
	v_lshl_add_u32 v42, v42, 23, v54
	v_or3_b32 v42, v53, v42, v52
	v_lshrrev_b32_e32 v52, 16, v42
.LBB865_315:
	s_or_b64 exec, exec, s[8:9]
.LBB865_316:
	s_or_b64 exec, exec, s[2:3]
.LBB865_317:
	s_or_b64 exec, exec, s[0:1]
	s_mov_b32 s0, 0xffffff
	v_cmp_lt_u32_e32 vcc, s0, v22
	s_and_saveexec_b64 s[0:1], vcc
	s_cbranch_execz .LBB865_323
; %bb.318:
	v_lshrrev_b32_e32 v42, 24, v22
	s_movk_i32 s2, 0x80
	v_cmp_ne_u32_e32 vcc, s2, v42
	v_mov_b32_e32 v45, 0xffff8000
	s_and_saveexec_b64 s[2:3], vcc
	s_cbranch_execz .LBB865_322
; %bb.319:
	v_bfe_u32 v22, v22, 24, 7
	s_movk_i32 s8, 0x7f
	v_cmp_ne_u32_e32 vcc, s8, v22
	v_mov_b32_e32 v45, 0x7f80
	s_and_saveexec_b64 s[8:9], vcc
	s_cbranch_execz .LBB865_321
; %bb.320:
	v_and_b32_e32 v45, 7, v42
	v_ffbh_u32_e32 v54, v45
	v_min_u32_e32 v56, 32, v54
	v_subrev_u32_e32 v54, 28, v56
	v_lshlrev_b64 v[54:55], v54, v[42:43]
	v_lshrrev_b32_e32 v53, 3, v22
	v_sub_u32_e32 v55, 29, v56
	v_and_b32_e32 v54, 7, v54
	v_cmp_gt_u32_e32 vcc, 8, v22
	v_cndmask_b32_e32 v22, v53, v55, vcc
	v_cndmask_b32_e32 v45, v45, v54, vcc
	v_lshlrev_b32_e32 v42, 24, v42
	v_bfrev_b32_e32 v53, 60
	v_lshlrev_b32_e32 v45, 20, v45
	v_and_b32_e32 v42, 0x80000000, v42
	v_lshl_add_u32 v22, v22, 23, v53
	v_or3_b32 v22, v42, v22, v45
	v_lshrrev_b32_e32 v45, 16, v22
.LBB865_321:
	s_or_b64 exec, exec, s[8:9]
.LBB865_322:
	s_or_b64 exec, exec, s[2:3]
.LBB865_323:
	s_or_b64 exec, exec, s[0:1]
	v_mov_b32_e32 v42, 0
	v_cmp_ne_u16_sdwa s[2:3], v23, v42 src0_sel:BYTE_0 src1_sel:DWORD
	v_mov_b32_e32 v53, 0
	s_and_saveexec_b64 s[0:1], s[2:3]
	s_cbranch_execz .LBB865_329
; %bb.324:
	s_movk_i32 s2, 0x80
	v_cmp_ne_u16_sdwa s[8:9], v23, s2 src0_sel:BYTE_0 src1_sel:DWORD
	v_mov_b32_e32 v53, 0xffff8000
	s_and_saveexec_b64 s[2:3], s[8:9]
	s_cbranch_execz .LBB865_328
; %bb.325:
	s_movk_i32 s8, 0x7f
	v_and_b32_e32 v22, 0x7f, v23
	v_cmp_ne_u32_e32 vcc, s8, v22
	v_mov_b32_e32 v53, 0x7f80
	s_and_saveexec_b64 s[8:9], vcc
	s_cbranch_execz .LBB865_327
; %bb.326:
	v_and_b32_e32 v53, 7, v23
	v_ffbh_u32_e32 v55, v53
	v_min_u32_e32 v57, 32, v55
	v_mov_b32_e32 v54, v23
	v_subrev_u32_e32 v55, 28, v57
	v_lshlrev_b64 v[54:55], v55, v[54:55]
	v_lshrrev_b32_e32 v56, 3, v22
	v_sub_u32_e32 v55, 29, v57
	v_and_b32_e32 v54, 7, v54
	v_cmp_gt_u32_e32 vcc, 8, v22
	v_cndmask_b32_e32 v22, v56, v55, vcc
	v_cndmask_b32_e32 v53, v53, v54, vcc
	v_lshlrev_b32_e32 v54, 24, v23
	v_bfrev_b32_e32 v55, 60
	v_lshlrev_b32_e32 v53, 20, v53
	v_and_b32_e32 v54, 0x80000000, v54
	v_lshl_add_u32 v22, v22, 23, v55
	v_or3_b32 v22, v54, v22, v53
	v_lshrrev_b32_e32 v53, 16, v22
.LBB865_327:
	s_or_b64 exec, exec, s[8:9]
.LBB865_328:
	s_or_b64 exec, exec, s[2:3]
.LBB865_329:
	s_or_b64 exec, exec, s[0:1]
	v_lshrrev_b16_e32 v22, 8, v23
	v_cmp_ne_u16_e32 vcc, 0, v22
	s_and_saveexec_b64 s[0:1], vcc
	s_cbranch_execz .LBB865_335
; %bb.330:
	s_movk_i32 s2, 0x80
	v_cmp_ne_u16_e32 vcc, s2, v22
	v_mov_b32_e32 v42, 0xffff8000
	s_and_saveexec_b64 s[2:3], vcc
	s_cbranch_execz .LBB865_334
; %bb.331:
	s_movk_i32 s8, 0x7f
	v_and_b32_e32 v54, 0x7f, v22
	v_cmp_ne_u32_e32 vcc, s8, v54
	v_mov_b32_e32 v42, 0x7f80
	s_and_saveexec_b64 s[8:9], vcc
	s_cbranch_execz .LBB865_333
; %bb.332:
	v_and_b32_e32 v42, 7, v22
	v_ffbh_u32_e32 v56, v42
	v_min_u32_e32 v58, 32, v56
	v_subrev_u32_e32 v56, 28, v58
	v_lshlrev_b64 v[56:57], v56, v[22:23]
	v_lshrrev_b32_e32 v55, 3, v54
	v_sub_u32_e32 v22, 29, v58
	v_and_b32_e32 v56, 7, v56
	v_cmp_gt_u32_e32 vcc, 8, v54
	v_cndmask_b32_e32 v22, v55, v22, vcc
	v_cndmask_b32_e32 v42, v42, v56, vcc
	v_lshlrev_b32_e32 v54, 16, v23
	v_bfrev_b32_e32 v55, 60
	v_lshlrev_b32_e32 v42, 20, v42
	v_and_b32_e32 v54, 0x80000000, v54
	v_lshl_add_u32 v22, v22, 23, v55
	v_or3_b32 v22, v54, v22, v42
	v_lshrrev_b32_e32 v42, 16, v22
.LBB865_333:
	s_or_b64 exec, exec, s[8:9]
.LBB865_334:
	s_or_b64 exec, exec, s[2:3]
.LBB865_335:
	s_or_b64 exec, exec, s[0:1]
	s_movk_i32 s0, 0xff
	v_and_b32_sdwa v56, v23, s0 dst_sel:DWORD dst_unused:UNUSED_PAD src0_sel:WORD_1 src1_sel:DWORD
	v_lshrrev_b32_e32 v22, 16, v23
	v_cmp_ne_u16_e32 vcc, 0, v56
	v_mov_b32_e32 v54, 0
	v_mov_b32_e32 v55, 0
	s_and_saveexec_b64 s[0:1], vcc
	s_cbranch_execz .LBB865_341
; %bb.336:
	s_movk_i32 s2, 0x80
	v_cmp_ne_u16_e32 vcc, s2, v56
	v_mov_b32_e32 v55, 0xffff8000
	s_and_saveexec_b64 s[2:3], vcc
	s_cbranch_execz .LBB865_340
; %bb.337:
	v_bfe_u32 v56, v23, 16, 7
	s_movk_i32 s8, 0x7f
	v_cmp_ne_u32_e32 vcc, s8, v56
	v_mov_b32_e32 v55, 0x7f80
	s_and_saveexec_b64 s[8:9], vcc
	s_cbranch_execz .LBB865_339
; %bb.338:
	v_and_b32_e32 v55, 7, v22
	v_ffbh_u32_e32 v58, v55
	v_min_u32_e32 v60, 32, v58
	v_subrev_u32_e32 v58, 28, v60
	v_lshlrev_b64 v[58:59], v58, v[22:23]
	v_lshrrev_b32_e32 v57, 3, v56
	v_sub_u32_e32 v22, 29, v60
	v_and_b32_e32 v58, 7, v58
	v_cmp_gt_u32_e32 vcc, 8, v56
	v_mov_b32_e32 v56, 24
	v_cndmask_b32_e32 v22, v57, v22, vcc
	v_cndmask_b32_e32 v55, v55, v58, vcc
	v_lshlrev_b32_sdwa v56, v56, v23 dst_sel:DWORD dst_unused:UNUSED_PAD src0_sel:DWORD src1_sel:WORD_1
	v_bfrev_b32_e32 v57, 60
	v_lshlrev_b32_e32 v55, 20, v55
	v_and_b32_e32 v56, 0x80000000, v56
	v_lshl_add_u32 v22, v22, 23, v57
	v_or3_b32 v22, v56, v22, v55
	v_lshrrev_b32_e32 v55, 16, v22
.LBB865_339:
	s_or_b64 exec, exec, s[8:9]
.LBB865_340:
	s_or_b64 exec, exec, s[2:3]
.LBB865_341:
	s_or_b64 exec, exec, s[0:1]
	s_mov_b32 s0, 0xffffff
	v_cmp_lt_u32_e32 vcc, s0, v23
	s_and_saveexec_b64 s[0:1], vcc
	s_cbranch_execz .LBB865_347
; %bb.342:
	v_lshrrev_b32_e32 v22, 24, v23
	s_movk_i32 s2, 0x80
	v_cmp_ne_u32_e32 vcc, s2, v22
	v_mov_b32_e32 v54, 0xffff8000
	s_and_saveexec_b64 s[2:3], vcc
	s_cbranch_execz .LBB865_346
; %bb.343:
	v_bfe_u32 v23, v23, 24, 7
	s_movk_i32 s8, 0x7f
	v_cmp_ne_u32_e32 vcc, s8, v23
	v_mov_b32_e32 v54, 0x7f80
	s_and_saveexec_b64 s[8:9], vcc
	s_cbranch_execz .LBB865_345
; %bb.344:
	v_and_b32_e32 v54, 7, v22
	v_ffbh_u32_e32 v56, v54
	v_min_u32_e32 v59, 32, v56
	v_subrev_u32_e32 v56, 28, v59
	v_lshlrev_b64 v[56:57], v56, v[22:23]
	v_lshrrev_b32_e32 v58, 3, v23
	v_sub_u32_e32 v57, 29, v59
	v_and_b32_e32 v56, 7, v56
	v_cmp_gt_u32_e32 vcc, 8, v23
	v_cndmask_b32_e32 v23, v58, v57, vcc
	v_cndmask_b32_e32 v54, v54, v56, vcc
	v_lshlrev_b32_e32 v22, 24, v22
	v_bfrev_b32_e32 v56, 60
	v_lshlrev_b32_e32 v54, 20, v54
	v_and_b32_e32 v22, 0x80000000, v22
	v_lshl_add_u32 v23, v23, 23, v56
	v_or3_b32 v22, v22, v23, v54
	v_lshrrev_b32_e32 v54, 16, v22
.LBB865_345:
	s_or_b64 exec, exec, s[8:9]
.LBB865_346:
	s_or_b64 exec, exec, s[2:3]
.LBB865_347:
	s_or_b64 exec, exec, s[0:1]
	s_mov_b32 s0, 0x5040100
	v_perm_b32 v23, v45, v52, s0
	v_perm_b32 v22, v43, v44, s0
	s_nop 1
	v_mfma_f32_16x16x16bf16_1k v[56:59], v[22:23], v[26:27], 0
	v_perm_b32 v27, v54, v55, s0
	v_perm_b32 v26, v42, v53, s0
	v_mov_b32_e32 v23, 0
	v_cmp_ne_u16_sdwa s[2:3], v24, v23 src0_sel:BYTE_0 src1_sel:DWORD
	v_mov_b32_e32 v42, 0
	v_mfma_f32_16x16x16bf16_1k v[26:29], v[26:27], v[28:29], v[56:59]
	s_and_saveexec_b64 s[0:1], s[2:3]
	s_cbranch_execz .LBB865_353
; %bb.348:
	s_movk_i32 s2, 0x80
	v_cmp_ne_u16_sdwa s[8:9], v24, s2 src0_sel:BYTE_0 src1_sel:DWORD
	v_mov_b32_e32 v42, 0xffff8000
	s_and_saveexec_b64 s[2:3], s[8:9]
	s_cbranch_execz .LBB865_352
; %bb.349:
	s_movk_i32 s8, 0x7f
	v_and_b32_e32 v22, 0x7f, v24
	v_cmp_ne_u32_e32 vcc, s8, v22
	v_mov_b32_e32 v42, 0x7f80
	s_and_saveexec_b64 s[8:9], vcc
	s_cbranch_execz .LBB865_351
; %bb.350:
	v_and_b32_e32 v44, 7, v24
	v_ffbh_u32_e32 v42, v44
	v_min_u32_e32 v52, 32, v42
	v_subrev_u32_e32 v42, 28, v52
	v_lshlrev_b64 v[42:43], v42, v[24:25]
	v_lshrrev_b32_e32 v45, 3, v22
	v_sub_u32_e32 v43, 29, v52
	v_and_b32_e32 v42, 7, v42
	v_cmp_gt_u32_e32 vcc, 8, v22
	v_cndmask_b32_e32 v22, v45, v43, vcc
	v_cndmask_b32_e32 v42, v44, v42, vcc
	v_lshlrev_b32_e32 v43, 24, v24
	v_bfrev_b32_e32 v44, 60
	v_lshlrev_b32_e32 v42, 20, v42
	v_and_b32_e32 v43, 0x80000000, v43
	v_lshl_add_u32 v22, v22, 23, v44
	v_or3_b32 v22, v43, v22, v42
	v_lshrrev_b32_e32 v42, 16, v22
.LBB865_351:
	s_or_b64 exec, exec, s[8:9]
.LBB865_352:
	s_or_b64 exec, exec, s[2:3]
.LBB865_353:
	s_or_b64 exec, exec, s[0:1]
	v_lshrrev_b16_e32 v22, 8, v24
	v_cmp_ne_u16_e32 vcc, 0, v22
	s_and_saveexec_b64 s[0:1], vcc
	s_cbranch_execz .LBB865_359
; %bb.354:
	s_movk_i32 s2, 0x80
	v_cmp_ne_u16_e32 vcc, s2, v22
	v_mov_b32_e32 v23, 0xffff8000
	s_and_saveexec_b64 s[2:3], vcc
	s_cbranch_execz .LBB865_358
; %bb.355:
	s_movk_i32 s8, 0x7f
	v_and_b32_e32 v43, 0x7f, v22
	v_cmp_ne_u32_e32 vcc, s8, v43
	v_mov_b32_e32 v23, 0x7f80
	s_and_saveexec_b64 s[8:9], vcc
	s_cbranch_execz .LBB865_357
; %bb.356:
	v_and_b32_e32 v44, 7, v22
	v_ffbh_u32_e32 v23, v44
	v_min_u32_e32 v52, 32, v23
	v_subrev_u32_e32 v23, 28, v52
	v_lshlrev_b64 v[22:23], v23, v[22:23]
	v_lshrrev_b32_e32 v45, 3, v43
	v_sub_u32_e32 v23, 29, v52
	v_and_b32_e32 v22, 7, v22
	v_cmp_gt_u32_e32 vcc, 8, v43
	v_cndmask_b32_e32 v23, v45, v23, vcc
	v_cndmask_b32_e32 v22, v44, v22, vcc
	v_lshlrev_b32_e32 v43, 16, v24
	v_bfrev_b32_e32 v44, 60
	v_lshlrev_b32_e32 v22, 20, v22
	v_and_b32_e32 v43, 0x80000000, v43
	v_lshl_add_u32 v23, v23, 23, v44
	v_or3_b32 v22, v43, v23, v22
	v_lshrrev_b32_e32 v23, 16, v22
.LBB865_357:
	s_or_b64 exec, exec, s[8:9]
.LBB865_358:
	s_or_b64 exec, exec, s[2:3]
.LBB865_359:
	s_or_b64 exec, exec, s[0:1]
	s_movk_i32 s0, 0xff
	v_and_b32_sdwa v45, v24, s0 dst_sel:DWORD dst_unused:UNUSED_PAD src0_sel:WORD_1 src1_sel:DWORD
	v_lshrrev_b32_e32 v22, 16, v24
	v_cmp_ne_u16_e32 vcc, 0, v45
	v_mov_b32_e32 v43, 0
	v_mov_b32_e32 v44, 0
	s_and_saveexec_b64 s[0:1], vcc
	s_cbranch_execz .LBB865_365
; %bb.360:
	s_movk_i32 s2, 0x80
	v_cmp_ne_u16_e32 vcc, s2, v45
	v_mov_b32_e32 v44, 0xffff8000
	s_and_saveexec_b64 s[2:3], vcc
	s_cbranch_execz .LBB865_364
; %bb.361:
	v_bfe_u32 v45, v24, 16, 7
	s_movk_i32 s8, 0x7f
	v_cmp_ne_u32_e32 vcc, s8, v45
	v_mov_b32_e32 v44, 0x7f80
	s_and_saveexec_b64 s[8:9], vcc
	s_cbranch_execz .LBB865_363
; %bb.362:
	v_and_b32_e32 v44, 7, v22
	v_ffbh_u32_e32 v52, v44
	v_min_u32_e32 v55, 32, v52
	v_subrev_u32_e32 v52, 28, v55
	v_lshlrev_b64 v[52:53], v52, v[22:23]
	v_lshrrev_b32_e32 v54, 3, v45
	v_sub_u32_e32 v22, 29, v55
	v_and_b32_e32 v52, 7, v52
	v_cmp_gt_u32_e32 vcc, 8, v45
	v_mov_b32_e32 v45, 24
	v_cndmask_b32_e32 v22, v54, v22, vcc
	v_cndmask_b32_e32 v44, v44, v52, vcc
	v_lshlrev_b32_sdwa v45, v45, v24 dst_sel:DWORD dst_unused:UNUSED_PAD src0_sel:DWORD src1_sel:WORD_1
	v_bfrev_b32_e32 v52, 60
	v_lshlrev_b32_e32 v44, 20, v44
	v_and_b32_e32 v45, 0x80000000, v45
	v_lshl_add_u32 v22, v22, 23, v52
	v_or3_b32 v22, v45, v22, v44
	v_lshrrev_b32_e32 v44, 16, v22
.LBB865_363:
	s_or_b64 exec, exec, s[8:9]
.LBB865_364:
	s_or_b64 exec, exec, s[2:3]
.LBB865_365:
	s_or_b64 exec, exec, s[0:1]
	s_mov_b32 s0, 0xffffff
	v_cmp_lt_u32_e32 vcc, s0, v24
	s_and_saveexec_b64 s[0:1], vcc
	s_cbranch_execz .LBB865_371
; %bb.366:
	v_lshrrev_b32_e32 v22, 24, v24
	s_movk_i32 s2, 0x80
	v_cmp_ne_u32_e32 vcc, s2, v22
	v_mov_b32_e32 v43, 0xffff8000
	s_and_saveexec_b64 s[2:3], vcc
	s_cbranch_execz .LBB865_370
; %bb.367:
	v_bfe_u32 v24, v24, 24, 7
	s_movk_i32 s8, 0x7f
	v_cmp_ne_u32_e32 vcc, s8, v24
	v_mov_b32_e32 v43, 0x7f80
	s_and_saveexec_b64 s[8:9], vcc
	s_cbranch_execz .LBB865_369
; %bb.368:
	v_and_b32_e32 v43, 7, v22
	v_ffbh_u32_e32 v52, v43
	v_min_u32_e32 v54, 32, v52
	v_subrev_u32_e32 v52, 28, v54
	v_lshlrev_b64 v[52:53], v52, v[22:23]
	v_lshrrev_b32_e32 v45, 3, v24
	v_sub_u32_e32 v53, 29, v54
	v_and_b32_e32 v52, 7, v52
	v_cmp_gt_u32_e32 vcc, 8, v24
	v_cndmask_b32_e32 v24, v45, v53, vcc
	v_cndmask_b32_e32 v43, v43, v52, vcc
	v_lshlrev_b32_e32 v22, 24, v22
	v_bfrev_b32_e32 v45, 60
	v_lshlrev_b32_e32 v43, 20, v43
	v_and_b32_e32 v22, 0x80000000, v22
	v_lshl_add_u32 v24, v24, 23, v45
	v_or3_b32 v22, v22, v24, v43
	v_lshrrev_b32_e32 v43, 16, v22
.LBB865_369:
	s_or_b64 exec, exec, s[8:9]
.LBB865_370:
	s_or_b64 exec, exec, s[2:3]
.LBB865_371:
	s_or_b64 exec, exec, s[0:1]
	v_mov_b32_e32 v24, 0
	v_cmp_ne_u16_sdwa s[2:3], v25, v24 src0_sel:BYTE_0 src1_sel:DWORD
	v_mov_b32_e32 v52, 0
	s_and_saveexec_b64 s[0:1], s[2:3]
	s_cbranch_execz .LBB865_377
; %bb.372:
	s_movk_i32 s2, 0x80
	v_cmp_ne_u16_sdwa s[8:9], v25, s2 src0_sel:BYTE_0 src1_sel:DWORD
	v_mov_b32_e32 v52, 0xffff8000
	s_and_saveexec_b64 s[2:3], s[8:9]
	s_cbranch_execz .LBB865_376
; %bb.373:
	s_movk_i32 s8, 0x7f
	v_and_b32_e32 v22, 0x7f, v25
	v_cmp_ne_u32_e32 vcc, s8, v22
	v_mov_b32_e32 v52, 0x7f80
	s_and_saveexec_b64 s[8:9], vcc
	s_cbranch_execz .LBB865_375
; %bb.374:
	v_and_b32_e32 v45, 7, v25
	v_ffbh_u32_e32 v53, v45
	v_min_u32_e32 v55, 32, v53
	v_mov_b32_e32 v52, v25
	v_subrev_u32_e32 v53, 28, v55
	v_lshlrev_b64 v[52:53], v53, v[52:53]
	v_lshrrev_b32_e32 v54, 3, v22
	v_sub_u32_e32 v53, 29, v55
	v_and_b32_e32 v52, 7, v52
	v_cmp_gt_u32_e32 vcc, 8, v22
	v_cndmask_b32_e32 v22, v54, v53, vcc
	v_cndmask_b32_e32 v45, v45, v52, vcc
	v_lshlrev_b32_e32 v52, 24, v25
	v_bfrev_b32_e32 v53, 60
	v_lshlrev_b32_e32 v45, 20, v45
	v_and_b32_e32 v52, 0x80000000, v52
	v_lshl_add_u32 v22, v22, 23, v53
	v_or3_b32 v22, v52, v22, v45
	v_lshrrev_b32_e32 v52, 16, v22
.LBB865_375:
	s_or_b64 exec, exec, s[8:9]
.LBB865_376:
	s_or_b64 exec, exec, s[2:3]
.LBB865_377:
	s_or_b64 exec, exec, s[0:1]
	v_lshrrev_b16_e32 v22, 8, v25
	v_cmp_ne_u16_e32 vcc, 0, v22
	s_and_saveexec_b64 s[0:1], vcc
	s_cbranch_execz .LBB865_383
; %bb.378:
	s_movk_i32 s2, 0x80
	v_cmp_ne_u16_e32 vcc, s2, v22
	v_mov_b32_e32 v24, 0xffff8000
	s_and_saveexec_b64 s[2:3], vcc
	s_cbranch_execz .LBB865_382
; %bb.379:
	s_movk_i32 s8, 0x7f
	v_and_b32_e32 v45, 0x7f, v22
	v_cmp_ne_u32_e32 vcc, s8, v45
	v_mov_b32_e32 v24, 0x7f80
	s_and_saveexec_b64 s[8:9], vcc
	s_cbranch_execz .LBB865_381
; %bb.380:
	v_and_b32_e32 v24, 7, v22
	v_ffbh_u32_e32 v54, v24
	v_min_u32_e32 v56, 32, v54
	v_subrev_u32_e32 v54, 28, v56
	v_lshlrev_b64 v[54:55], v54, v[22:23]
	v_lshrrev_b32_e32 v53, 3, v45
	v_sub_u32_e32 v22, 29, v56
	v_and_b32_e32 v54, 7, v54
	v_cmp_gt_u32_e32 vcc, 8, v45
	v_cndmask_b32_e32 v22, v53, v22, vcc
	v_cndmask_b32_e32 v24, v24, v54, vcc
	v_lshlrev_b32_e32 v45, 16, v25
	v_bfrev_b32_e32 v53, 60
	v_lshlrev_b32_e32 v24, 20, v24
	v_and_b32_e32 v45, 0x80000000, v45
	v_lshl_add_u32 v22, v22, 23, v53
	v_or3_b32 v22, v45, v22, v24
	v_lshrrev_b32_e32 v24, 16, v22
.LBB865_381:
	s_or_b64 exec, exec, s[8:9]
.LBB865_382:
	s_or_b64 exec, exec, s[2:3]
.LBB865_383:
	s_or_b64 exec, exec, s[0:1]
	s_movk_i32 s0, 0xff
	v_and_b32_sdwa v45, v25, s0 dst_sel:DWORD dst_unused:UNUSED_PAD src0_sel:WORD_1 src1_sel:DWORD
	v_lshrrev_b32_e32 v22, 16, v25
	v_cmp_ne_u16_e32 vcc, 0, v45
	v_mov_b32_e32 v53, 0
	v_mov_b32_e32 v54, 0
	s_and_saveexec_b64 s[0:1], vcc
	s_cbranch_execz .LBB865_389
; %bb.384:
	s_movk_i32 s2, 0x80
	v_cmp_ne_u16_e32 vcc, s2, v45
	v_mov_b32_e32 v54, 0xffff8000
	s_and_saveexec_b64 s[2:3], vcc
	s_cbranch_execz .LBB865_388
; %bb.385:
	v_bfe_u32 v45, v25, 16, 7
	s_movk_i32 s8, 0x7f
	v_cmp_ne_u32_e32 vcc, s8, v45
	v_mov_b32_e32 v54, 0x7f80
	s_and_saveexec_b64 s[8:9], vcc
	s_cbranch_execz .LBB865_387
; %bb.386:
	v_and_b32_e32 v56, 7, v22
	v_ffbh_u32_e32 v54, v56
	v_min_u32_e32 v58, 32, v54
	v_subrev_u32_e32 v54, 28, v58
	v_lshlrev_b64 v[54:55], v54, v[22:23]
	v_and_b32_e32 v54, 7, v54
	v_cmp_gt_u32_e32 vcc, 8, v45
	v_lshrrev_b32_e32 v57, 3, v45
	v_sub_u32_e32 v22, 29, v58
	v_cndmask_b32_e32 v45, v56, v54, vcc
	v_mov_b32_e32 v54, 24
	v_cndmask_b32_e32 v22, v57, v22, vcc
	v_lshlrev_b32_sdwa v54, v54, v25 dst_sel:DWORD dst_unused:UNUSED_PAD src0_sel:DWORD src1_sel:WORD_1
	v_bfrev_b32_e32 v55, 60
	v_lshlrev_b32_e32 v45, 20, v45
	v_and_b32_e32 v54, 0x80000000, v54
	v_lshl_add_u32 v22, v22, 23, v55
	v_or3_b32 v22, v54, v22, v45
	v_lshrrev_b32_e32 v54, 16, v22
.LBB865_387:
	s_or_b64 exec, exec, s[8:9]
.LBB865_388:
	s_or_b64 exec, exec, s[2:3]
.LBB865_389:
	s_or_b64 exec, exec, s[0:1]
	s_mov_b32 s0, 0xffffff
	v_and_b32_e32 v45, 63, v0
	v_cmp_lt_u32_e32 vcc, s0, v25
	s_and_saveexec_b64 s[0:1], vcc
	s_cbranch_execz .LBB865_395
; %bb.390:
	v_lshrrev_b32_e32 v22, 24, v25
	s_movk_i32 s2, 0x80
	v_cmp_ne_u32_e32 vcc, s2, v22
	v_mov_b32_e32 v53, 0xffff8000
	s_and_saveexec_b64 s[2:3], vcc
	s_cbranch_execz .LBB865_394
; %bb.391:
	v_bfe_u32 v25, v25, 24, 7
	s_movk_i32 s8, 0x7f
	v_cmp_ne_u32_e32 vcc, s8, v25
	v_mov_b32_e32 v53, 0x7f80
	s_and_saveexec_b64 s[8:9], vcc
	s_cbranch_execz .LBB865_393
; %bb.392:
	v_and_b32_e32 v53, 7, v22
	v_ffbh_u32_e32 v56, v53
	v_min_u32_e32 v58, 32, v56
	v_subrev_u32_e32 v56, 28, v58
	v_lshlrev_b64 v[56:57], v56, v[22:23]
	v_lshrrev_b32_e32 v55, 3, v25
	v_sub_u32_e32 v57, 29, v58
	v_and_b32_e32 v56, 7, v56
	v_cmp_gt_u32_e32 vcc, 8, v25
	v_cndmask_b32_e32 v25, v55, v57, vcc
	v_cndmask_b32_e32 v53, v53, v56, vcc
	v_lshlrev_b32_e32 v22, 24, v22
	v_bfrev_b32_e32 v55, 60
	v_lshlrev_b32_e32 v53, 20, v53
	v_and_b32_e32 v22, 0x80000000, v22
	v_lshl_add_u32 v25, v25, 23, v55
	v_or3_b32 v22, v22, v25, v53
	v_lshrrev_b32_e32 v53, 16, v22
.LBB865_393:
	s_or_b64 exec, exec, s[8:9]
.LBB865_394:
	s_or_b64 exec, exec, s[2:3]
.LBB865_395:
	s_or_b64 exec, exec, s[0:1]
	s_mov_b32 s1, 0x5040100
	v_perm_b32 v43, v43, v44, s1
	v_perm_b32 v42, v23, v42, s1
	s_load_dword s0, s[4:5], 0x1c
	s_mov_b32 s40, 0xff7fffff
	s_waitcnt lgkmcnt(0)
	v_mfma_f32_16x16x16bf16_1k v[26:29], v[42:43], v[18:19], v[26:29]
	v_perm_b32 v19, v53, v54, s1
	v_perm_b32 v18, v24, v52, s1
	v_and_b32_e32 v24, 0xc0, v0
	v_mov_b32_e32 v22, s0
	v_add_u32_e32 v24, s20, v24
	v_mul_f32_e32 v44, s10, v22
	v_lshl_or_b32 v42, v49, 2, v24
	v_mfma_f32_16x16x16bf16_1k v[18:21], v[18:19], v[20:21], v[26:29]
	v_pk_mul_f32 v[22:23], v[44:45], v[36:37] op_sel_hi:[0,1]
	v_pk_mul_f32 v[36:37], v[44:45], v[40:41] op_sel_hi:[0,1]
	;; [unrolled: 1-line block ×4, first 2 shown]
	v_mov_b32_e32 v43, 0xff7fffff
	v_cmp_gt_i32_e64 s[24:25], s33, v42
	v_pk_mul_f32 v[38:39], v[44:45], v[38:39] op_sel_hi:[0,1]
	s_nop 3
	v_pk_mul_f32 v[32:33], v[44:45], v[18:19] op_sel_hi:[0,1]
	v_or_b32_e32 v19, 1, v42
	v_cmp_gt_i32_e64 s[26:27], s33, v19
	v_cndmask_b32_e64 v18, v43, v30, s[24:25]
	v_cndmask_b32_e64 v19, v43, v31, s[26:27]
	v_pk_mul_f32 v[24:25], v[44:45], v[20:21] op_sel_hi:[0,1]
	v_max3_f32 v18, v18, s40, v19
	v_or_b32_e32 v19, 2, v42
	v_or_b32_e32 v20, 3, v42
	v_cmp_gt_i32_e64 s[28:29], s33, v19
	v_cmp_gt_i32_e64 s[30:31], s33, v20
	v_cndmask_b32_e64 v19, v43, v40, s[28:29]
	v_cndmask_b32_e64 v20, v43, v41, s[30:31]
	v_max3_f32 v18, v18, v19, v20
	v_or_b32_e32 v19, 16, v42
	v_or_b32_e32 v20, 17, v42
	v_cmp_gt_i32_e64 s[34:35], s33, v19
	v_cmp_gt_i32_e64 s[36:37], s33, v20
	v_cndmask_b32_e64 v19, v43, v38, s[34:35]
	v_cndmask_b32_e64 v20, v43, v39, s[36:37]
	;; [unrolled: 7-line block ×3, first 2 shown]
	v_max3_f32 v18, v18, v19, v20
	v_or_b32_e32 v19, 32, v42
	v_or_b32_e32 v20, 33, v42
	v_pk_mul_f32 v[34:35], v[44:45], v[34:35] op_sel_hi:[0,1]
	v_cmp_gt_i32_e64 s[14:15], s33, v19
	v_cmp_gt_i32_e64 s[16:17], s33, v20
	v_cndmask_b32_e64 v19, v43, v34, s[14:15]
	v_cndmask_b32_e64 v20, v43, v35, s[16:17]
	v_max3_f32 v18, v18, v19, v20
	v_or_b32_e32 v19, 34, v42
	v_or_b32_e32 v20, 35, v42
	v_cmp_gt_i32_e64 s[10:11], s33, v19
	v_cmp_gt_i32_e64 s[12:13], s33, v20
	v_cndmask_b32_e64 v19, v43, v22, s[10:11]
	v_cndmask_b32_e64 v20, v43, v23, s[12:13]
	v_max3_f32 v18, v18, v19, v20
	v_or_b32_e32 v19, 48, v42
	v_or_b32_e32 v20, 49, v42
	;; [unrolled: 7-line block ×3, first 2 shown]
	v_cmp_gt_i32_e32 vcc, s33, v19
	v_cmp_gt_i32_e64 s[0:1], s33, v20
	v_cndmask_b32_e32 v19, v43, v24, vcc
	v_cndmask_b32_e64 v20, v43, v25, s[0:1]
	v_max3_f32 v18, v18, v19, v20
	v_mbcnt_lo_u32_b32 v19, -1, 0
	v_mbcnt_hi_u32_b32 v19, -1, v19
	v_and_b32_e32 v20, 64, v19
	v_add_u32_e32 v20, 64, v20
	v_xor_b32_e32 v21, 32, v19
	v_cmp_lt_i32_e64 s[38:39], v21, v20
	v_cndmask_b32_e64 v21, v19, v21, s[38:39]
	v_lshlrev_b32_e32 v43, 2, v21
	ds_bpermute_b32 v21, v43, v18
	s_barrier
	s_waitcnt lgkmcnt(0)
	v_max_f32_e32 v21, v21, v21
	v_max_f32_e32 v18, v18, v21
	v_xor_b32_e32 v21, 16, v19
	v_cmp_lt_i32_e64 s[38:39], v21, v20
	v_cndmask_b32_e64 v19, v19, v21, s[38:39]
	v_lshlrev_b32_e32 v44, 2, v19
	ds_bpermute_b32 v19, v44, v18
	s_waitcnt lgkmcnt(0)
	v_max_f32_e32 v19, v19, v19
	v_max_f32_e32 v42, v18, v19
	v_sub_f32_e32 v21, v40, v42
	v_sub_f32_e32 v26, v41, v42
	v_mul_f32_e32 v21, 0x3fb8aa3b, v21
	v_mul_f32_e32 v26, 0x3fb8aa3b, v26
	v_sub_f32_e32 v18, v30, v42
	v_exp_f32_e32 v21, v21
	v_exp_f32_e32 v26, v26
	v_mul_f32_e32 v18, 0x3fb8aa3b, v18
	v_sub_f32_e32 v19, v31, v42
	v_exp_f32_e32 v18, v18
	v_mul_f32_e32 v19, 0x3fb8aa3b, v19
	v_exp_f32_e32 v19, v19
	v_cndmask_b32_e64 v28, 0, v21, s[28:29]
	v_cndmask_b32_e64 v29, 0, v26, s[30:31]
	v_sub_f32_e32 v21, v38, v42
	v_sub_f32_e32 v26, v39, v42
	v_mul_f32_e32 v21, 0x3fb8aa3b, v21
	v_mul_f32_e32 v26, 0x3fb8aa3b, v26
	v_cndmask_b32_e64 v18, 0, v18, s[24:25]
	v_exp_f32_e32 v21, v21
	v_exp_f32_e32 v26, v26
	v_add_f32_e32 v20, 0, v18
	v_cndmask_b32_e64 v19, 0, v19, s[26:27]
	v_add_f32_e32 v20, v20, v19
	v_add_f32_e32 v20, v20, v28
	;; [unrolled: 1-line block ×3, first 2 shown]
	v_cndmask_b32_e64 v20, 0, v21, s[34:35]
	v_cndmask_b32_e64 v21, 0, v26, s[36:37]
	v_sub_f32_e32 v26, v36, v42
	v_mul_f32_e32 v26, 0x3fb8aa3b, v26
	v_exp_f32_e32 v26, v26
	v_sub_f32_e32 v30, v37, v42
	v_add_f32_e32 v27, v27, v20
	v_mul_f32_e32 v30, 0x3fb8aa3b, v30
	v_exp_f32_e32 v31, v30
	v_add_f32_e32 v27, v27, v21
	v_cndmask_b32_e64 v30, 0, v26, s[18:19]
	v_add_f32_e32 v26, v27, v30
	v_sub_f32_e32 v27, v34, v42
	v_mul_f32_e32 v27, 0x3fb8aa3b, v27
	v_sub_f32_e32 v34, v35, v42
	v_exp_f32_e32 v27, v27
	v_mul_f32_e32 v34, 0x3fb8aa3b, v34
	v_sub_f32_e32 v22, v22, v42
	v_exp_f32_e32 v34, v34
	;; [unrolled: 3-line block ×3, first 2 shown]
	v_mul_f32_e32 v23, 0x3fb8aa3b, v23
	v_cndmask_b32_e64 v31, 0, v31, s[20:21]
	v_exp_f32_e32 v23, v23
	v_add_f32_e32 v35, v26, v31
	v_cndmask_b32_e64 v26, 0, v27, s[14:15]
	v_add_f32_e32 v35, v35, v26
	v_cndmask_b32_e64 v27, 0, v34, s[16:17]
	;; [unrolled: 2-line block ×4, first 2 shown]
	v_sub_f32_e32 v23, v32, v42
	v_mul_f32_e32 v23, 0x3fb8aa3b, v23
	v_sub_f32_e32 v32, v33, v42
	v_exp_f32_e32 v23, v23
	v_mul_f32_e32 v32, 0x3fb8aa3b, v32
	v_sub_f32_e32 v24, v24, v42
	v_exp_f32_e32 v32, v32
	;; [unrolled: 3-line block ×3, first 2 shown]
	v_mul_f32_e32 v25, 0x3fb8aa3b, v25
	v_exp_f32_e32 v25, v25
	v_add_f32_e32 v33, v22, v35
	v_cndmask_b32_e64 v22, 0, v23, s[2:3]
	v_add_f32_e32 v33, v33, v22
	v_cndmask_b32_e64 v23, 0, v32, s[8:9]
	v_add_f32_e32 v32, v33, v23
	v_cndmask_b32_e32 v24, 0, v24, vcc
	v_add_f32_e32 v32, v32, v24
	v_cndmask_b32_e64 v25, 0, v25, s[0:1]
	v_add_f32_e32 v32, v32, v25
	ds_bpermute_b32 v33, v43, v32
	v_cmp_gt_u32_e32 vcc, 16, v45
	s_waitcnt lgkmcnt(0)
	v_add_f32_e32 v32, v32, v33
	ds_bpermute_b32 v36, v44, v32
	v_lshlrev_b32_e32 v33, 2, v51
	s_and_saveexec_b64 s[0:1], vcc
	s_cbranch_execz .LBB865_397
; %bb.396:
	s_waitcnt lgkmcnt(0)
	v_add_f32_e32 v32, v32, v36
	v_lshl_or_b32 v36, v50, 6, v33
	ds_write2st64_b32 v36, v42, v32 offset1:1
.LBB865_397:
	s_or_b64 exec, exec, s[0:1]
	s_waitcnt lgkmcnt(0)
	s_barrier
	ds_read2_b32 v[36:37], v33 offset1:16
	ds_read2_b32 v[38:39], v33 offset0:32 offset1:48
	ds_read2_b32 v[40:41], v33 offset0:64 offset1:80
	s_lshl_b32 s10, s47, 2
	s_waitcnt lgkmcnt(2)
	v_max3_f32 v32, v36, s40, v37
	s_waitcnt lgkmcnt(1)
	v_max3_f32 v32, v32, v38, v39
	v_sub_f32_e32 v36, v36, v32
	v_mul_f32_e32 v36, 0x3fb8aa3b, v36
	v_exp_f32_e32 v42, v36
	v_sub_f32_e32 v36, v37, v32
	v_mul_f32_e32 v36, 0x3fb8aa3b, v36
	v_exp_f32_e32 v43, v36
	;; [unrolled: 3-line block ×3, first 2 shown]
	ds_read2_b32 v[36:37], v33 offset0:96 offset1:112
	v_sub_f32_e32 v33, v39, v32
	v_mul_f32_e32 v33, 0x3fb8aa3b, v33
	v_exp_f32_e32 v39, v33
	s_waitcnt lgkmcnt(1)
	v_fma_f32 v33, v42, v40, 0
	v_fmac_f32_e32 v33, v43, v41
	s_waitcnt lgkmcnt(0)
	v_fmac_f32_e32 v33, v38, v36
	v_fmac_f32_e32 v33, v39, v37
	v_add_f32_e32 v36, 0x358637bd, v33
	v_div_scale_f32 v37, s[0:1], v36, v36, 1.0
	v_rcp_f32_e32 v40, v37
	s_movk_i32 s0, 0x7fff
	s_mov_b32 s1, 0x7060302
	v_fma_f32 v41, -v37, v40, 1.0
	v_fmac_f32_e32 v40, v41, v40
	v_div_scale_f32 v41, vcc, 1.0, v36, 1.0
	v_mul_f32_e32 v44, v41, v40
	v_fma_f32 v45, -v37, v44, v41
	v_fmac_f32_e32 v44, v45, v40
	v_fma_f32 v37, -v37, v44, v41
	v_div_fmas_f32 v37, v37, v40, v44
	v_cmp_eq_u32_e32 vcc, 1, v50
	v_div_fixup_f32 v36, v37, v36, 1.0
	v_cndmask_b32_e32 v37, v42, v43, vcc
	v_cmp_eq_u32_e32 vcc, 2, v50
	v_cndmask_b32_e32 v37, v37, v38, vcc
	v_cmp_eq_u32_e32 vcc, 3, v50
	v_cndmask_b32_e32 v37, v37, v39, vcc
	v_mul_f32_e32 v36, v37, v36
	v_pk_mul_f32 v[18:19], v[36:37], v[18:19] op_sel_hi:[0,1]
	v_pk_mul_f32 v[28:29], v[36:37], v[28:29] op_sel_hi:[0,1]
	v_bfe_u32 v37, v19, 16, 1
	v_bfe_u32 v38, v18, 16, 1
	v_add3_u32 v18, v18, v38, s0
	v_add3_u32 v19, v19, v37, s0
	v_perm_b32 v38, v19, v18, s1
	v_bfe_u32 v18, v29, 16, 1
	v_bfe_u32 v19, v28, 16, 1
	v_add3_u32 v19, v28, v19, s0
	v_add3_u32 v18, v29, v18, s0
	v_perm_b32 v39, v18, v19, s1
	v_lshlrev_b32_e32 v18, 3, v49
	v_lshlrev_b32_e32 v19, 5, v51
	;; [unrolled: 1-line block ×3, first 2 shown]
	v_pk_mul_f32 v[20:21], v[36:37], v[20:21] op_sel_hi:[0,1]
	v_or3_b32 v28, v28, v19, v18
	v_bfe_u32 v18, v21, 16, 1
	v_bfe_u32 v29, v20, 16, 1
	v_pk_mul_f32 v[30:31], v[36:37], v[30:31] op_sel_hi:[0,1]
	v_add3_u32 v20, v20, v29, s0
	v_add3_u32 v18, v21, v18, s0
	v_perm_b32 v20, v18, v20, s1
	v_bfe_u32 v18, v31, 16, 1
	v_bfe_u32 v21, v30, 16, 1
	v_add3_u32 v21, v30, v21, s0
	v_add3_u32 v18, v31, v18, s0
	v_pk_mul_f32 v[26:27], v[36:37], v[26:27] op_sel_hi:[0,1]
	v_perm_b32 v21, v18, v21, s1
	v_bfe_u32 v18, v27, 16, 1
	v_bfe_u32 v29, v26, 16, 1
	s_barrier
	ds_write2st64_b64 v28, v[38:39], v[20:21] offset1:1
	v_pk_mul_f32 v[20:21], v[36:37], v[34:35] op_sel_hi:[0,1]
	v_add3_u32 v26, v26, v29, s0
	v_add3_u32 v18, v27, v18, s0
	v_perm_b32 v26, v18, v26, s1
	v_bfe_u32 v18, v21, 16, 1
	v_bfe_u32 v27, v20, 16, 1
	v_add3_u32 v20, v20, v27, s0
	v_add3_u32 v18, v21, v18, s0
	v_pk_mul_f32 v[22:23], v[36:37], v[22:23] op_sel_hi:[0,1]
	v_perm_b32 v27, v18, v20, s1
	v_pk_mul_f32 v[20:21], v[36:37], v[24:25] op_sel_hi:[0,1]
	v_bfe_u32 v18, v23, 16, 1
	v_bfe_u32 v24, v22, 16, 1
	v_add3_u32 v22, v22, v24, s0
	v_add3_u32 v18, v23, v18, s0
	v_perm_b32 v22, v18, v22, s1
	v_bfe_u32 v18, v21, 16, 1
	v_bfe_u32 v23, v20, 16, 1
	v_add3_u32 v20, v20, v23, s0
	v_add3_u32 v18, v21, v18, s0
	v_perm_b32 v23, v18, v20, s1
	v_cmp_gt_u32_e32 vcc, 4, v0
	ds_write2st64_b64 v28, v[26:27], v[22:23] offset0:2 offset1:3
	s_and_saveexec_b64 s[0:1], vcc
	s_cbranch_execz .LBB865_399
; %bb.398:
	v_or_b32_e32 v20, s23, v0
	v_mov_b32_e32 v21, 0
	v_mov_b32_e32 v18, s10
	v_mad_u64_u32 v[22:23], s[2:3], s6, v18, v[20:21]
	v_mov_b32_e32 v20, s22
	s_load_dwordx4 s[12:15], s[4:5], 0x58
	s_mul_i32 s7, s7, s10
	v_mad_u64_u32 v[20:21], s[2:3], v22, s46, v[20:21]
	v_add_u32_e32 v23, s7, v23
	v_mov_b32_e32 v18, v21
	v_mad_u64_u32 v[22:23], s[2:3], v23, s46, v[18:19]
	v_mov_b32_e32 v21, v22
	v_lshlrev_b64 v[20:21], 2, v[20:21]
	s_waitcnt lgkmcnt(0)
	v_mov_b32_e32 v18, s15
	v_add_co_u32_e32 v22, vcc, s14, v20
	v_addc_co_u32_e32 v23, vcc, v18, v21, vcc
	v_mov_b32_e32 v18, s13
	v_add_co_u32_e32 v20, vcc, s12, v20
	v_addc_co_u32_e32 v21, vcc, v18, v21, vcc
	global_store_dword v[22:23], v32, off
	global_store_dword v[20:21], v33, off
.LBB865_399:
	s_or_b64 exec, exec, s[0:1]
	v_mov_b32_e32 v20, 0
	s_waitcnt vmcnt(3)
	v_cmp_ne_u16_sdwa s[2:3], v14, v20 src0_sel:BYTE_0 src1_sel:DWORD
	v_mov_b32_e32 v21, 0
	s_waitcnt lgkmcnt(0)
	s_barrier
	s_and_saveexec_b64 s[0:1], s[2:3]
	s_cbranch_execz .LBB865_405
; %bb.400:
	s_movk_i32 s2, 0x80
	v_cmp_ne_u16_sdwa s[8:9], v14, s2 src0_sel:BYTE_0 src1_sel:DWORD
	v_mov_b32_e32 v21, 0xffff8000
	s_and_saveexec_b64 s[2:3], s[8:9]
	s_cbranch_execz .LBB865_404
; %bb.401:
	s_movk_i32 s7, 0x7f
	v_and_b32_e32 v18, 0x7f, v14
	v_cmp_ne_u32_e32 vcc, s7, v18
	v_mov_b32_e32 v21, 0x7f80
	s_and_saveexec_b64 s[8:9], vcc
	s_cbranch_execz .LBB865_403
; %bb.402:
	v_and_b32_e32 v21, 7, v14
	v_ffbh_u32_e32 v22, v21
	v_min_u32_e32 v25, 32, v22
	v_subrev_u32_e32 v22, 28, v25
	v_lshlrev_b64 v[22:23], v22, v[14:15]
	v_lshrrev_b32_e32 v24, 3, v18
	v_sub_u32_e32 v23, 29, v25
	v_and_b32_e32 v22, 7, v22
	v_cmp_gt_u32_e32 vcc, 8, v18
	v_cndmask_b32_e32 v18, v24, v23, vcc
	v_cndmask_b32_e32 v21, v21, v22, vcc
	v_lshlrev_b32_e32 v22, 24, v14
	v_bfrev_b32_e32 v23, 60
	v_lshlrev_b32_e32 v21, 20, v21
	v_and_b32_e32 v22, 0x80000000, v22
	v_lshl_add_u32 v18, v18, 23, v23
	v_or3_b32 v18, v22, v18, v21
	v_lshrrev_b32_e32 v21, 16, v18
.LBB865_403:
	s_or_b64 exec, exec, s[8:9]
.LBB865_404:
	s_or_b64 exec, exec, s[2:3]
.LBB865_405:
	s_or_b64 exec, exec, s[0:1]
	v_lshrrev_b16_e32 v18, 8, v14
	v_cmp_ne_u16_e32 vcc, 0, v18
	s_and_saveexec_b64 s[0:1], vcc
	s_cbranch_execz .LBB865_411
; %bb.406:
	s_movk_i32 s2, 0x80
	v_cmp_ne_u16_e32 vcc, s2, v18
	v_mov_b32_e32 v20, 0xffff8000
	s_and_saveexec_b64 s[2:3], vcc
	s_cbranch_execz .LBB865_410
; %bb.407:
	s_movk_i32 s7, 0x7f
	v_and_b32_e32 v22, 0x7f, v18
	v_cmp_ne_u32_e32 vcc, s7, v22
	v_mov_b32_e32 v20, 0x7f80
	s_and_saveexec_b64 s[8:9], vcc
	s_cbranch_execz .LBB865_409
; %bb.408:
	v_and_b32_e32 v20, 7, v18
	v_ffbh_u32_e32 v24, v20
	v_min_u32_e32 v26, 32, v24
	v_subrev_u32_e32 v24, 28, v26
	v_lshlrev_b64 v[24:25], v24, v[18:19]
	v_lshrrev_b32_e32 v23, 3, v22
	v_sub_u32_e32 v18, 29, v26
	v_and_b32_e32 v24, 7, v24
	v_cmp_gt_u32_e32 vcc, 8, v22
	v_cndmask_b32_e32 v18, v23, v18, vcc
	v_cndmask_b32_e32 v20, v20, v24, vcc
	v_lshlrev_b32_e32 v22, 16, v14
	v_bfrev_b32_e32 v23, 60
	v_lshlrev_b32_e32 v20, 20, v20
	v_and_b32_e32 v22, 0x80000000, v22
	v_lshl_add_u32 v18, v18, 23, v23
	v_or3_b32 v18, v22, v18, v20
	v_lshrrev_b32_e32 v20, 16, v18
.LBB865_409:
	s_or_b64 exec, exec, s[8:9]
.LBB865_410:
	s_or_b64 exec, exec, s[2:3]
.LBB865_411:
	s_or_b64 exec, exec, s[0:1]
	s_movk_i32 s0, 0xff
	v_and_b32_sdwa v24, v14, s0 dst_sel:DWORD dst_unused:UNUSED_PAD src0_sel:WORD_1 src1_sel:DWORD
	v_lshrrev_b32_e32 v18, 16, v14
	v_cmp_ne_u16_e32 vcc, 0, v24
	v_mov_b32_e32 v22, 0
	v_mov_b32_e32 v23, 0
	s_and_saveexec_b64 s[0:1], vcc
	s_cbranch_execz .LBB865_417
; %bb.412:
	s_movk_i32 s2, 0x80
	v_cmp_ne_u16_e32 vcc, s2, v24
	v_mov_b32_e32 v23, 0xffff8000
	s_and_saveexec_b64 s[2:3], vcc
	s_cbranch_execz .LBB865_416
; %bb.413:
	v_bfe_u32 v24, v14, 16, 7
	s_movk_i32 s7, 0x7f
	v_cmp_ne_u32_e32 vcc, s7, v24
	v_mov_b32_e32 v23, 0x7f80
	s_and_saveexec_b64 s[8:9], vcc
	s_cbranch_execz .LBB865_415
; %bb.414:
	v_and_b32_e32 v23, 7, v18
	v_ffbh_u32_e32 v26, v23
	v_min_u32_e32 v29, 32, v26
	v_subrev_u32_e32 v26, 28, v29
	v_lshlrev_b64 v[26:27], v26, v[18:19]
	v_lshrrev_b32_e32 v25, 3, v24
	v_sub_u32_e32 v18, 29, v29
	v_and_b32_e32 v26, 7, v26
	v_cmp_gt_u32_e32 vcc, 8, v24
	v_mov_b32_e32 v24, 24
	v_cndmask_b32_e32 v18, v25, v18, vcc
	v_cndmask_b32_e32 v23, v23, v26, vcc
	v_lshlrev_b32_sdwa v24, v24, v14 dst_sel:DWORD dst_unused:UNUSED_PAD src0_sel:DWORD src1_sel:WORD_1
	v_bfrev_b32_e32 v25, 60
	v_lshlrev_b32_e32 v23, 20, v23
	v_and_b32_e32 v24, 0x80000000, v24
	v_lshl_add_u32 v18, v18, 23, v25
	v_or3_b32 v18, v24, v18, v23
	v_lshrrev_b32_e32 v23, 16, v18
.LBB865_415:
	s_or_b64 exec, exec, s[8:9]
.LBB865_416:
	s_or_b64 exec, exec, s[2:3]
.LBB865_417:
	s_or_b64 exec, exec, s[0:1]
	s_mov_b32 s0, 0xffffff
	v_cmp_lt_u32_e32 vcc, s0, v14
	s_and_saveexec_b64 s[0:1], vcc
	s_cbranch_execz .LBB865_423
; %bb.418:
	v_lshrrev_b32_e32 v18, 24, v14
	s_movk_i32 s2, 0x80
	v_cmp_ne_u32_e32 vcc, s2, v18
	v_mov_b32_e32 v22, 0xffff8000
	s_and_saveexec_b64 s[2:3], vcc
	s_cbranch_execz .LBB865_422
; %bb.419:
	v_bfe_u32 v14, v14, 24, 7
	s_movk_i32 s7, 0x7f
	v_cmp_ne_u32_e32 vcc, s7, v14
	v_mov_b32_e32 v22, 0x7f80
	s_and_saveexec_b64 s[8:9], vcc
	s_cbranch_execz .LBB865_421
; %bb.420:
	v_and_b32_e32 v22, 7, v18
	v_ffbh_u32_e32 v24, v22
	v_min_u32_e32 v27, 32, v24
	v_subrev_u32_e32 v24, 28, v27
	v_lshlrev_b64 v[24:25], v24, v[18:19]
	v_lshrrev_b32_e32 v26, 3, v14
	v_sub_u32_e32 v25, 29, v27
	v_and_b32_e32 v24, 7, v24
	v_cmp_gt_u32_e32 vcc, 8, v14
	v_cndmask_b32_e32 v14, v26, v25, vcc
	v_cndmask_b32_e32 v22, v22, v24, vcc
	v_lshlrev_b32_e32 v18, 24, v18
	v_bfrev_b32_e32 v24, 60
	v_lshlrev_b32_e32 v22, 20, v22
	v_and_b32_e32 v18, 0x80000000, v18
	v_lshl_add_u32 v14, v14, 23, v24
	v_or3_b32 v14, v18, v14, v22
	v_lshrrev_b32_e32 v22, 16, v14
.LBB865_421:
	s_or_b64 exec, exec, s[8:9]
.LBB865_422:
	s_or_b64 exec, exec, s[2:3]
.LBB865_423:
	s_or_b64 exec, exec, s[0:1]
	v_mov_b32_e32 v18, 0
	v_cmp_ne_u16_sdwa s[2:3], v15, v18 src0_sel:BYTE_0 src1_sel:DWORD
	v_mov_b32_e32 v24, 0
	s_and_saveexec_b64 s[0:1], s[2:3]
	s_cbranch_execz .LBB865_429
; %bb.424:
	s_movk_i32 s2, 0x80
	v_cmp_ne_u16_sdwa s[8:9], v15, s2 src0_sel:BYTE_0 src1_sel:DWORD
	v_mov_b32_e32 v24, 0xffff8000
	s_and_saveexec_b64 s[2:3], s[8:9]
	s_cbranch_execz .LBB865_428
; %bb.425:
	s_movk_i32 s7, 0x7f
	v_and_b32_e32 v14, 0x7f, v15
	v_cmp_ne_u32_e32 vcc, s7, v14
	v_mov_b32_e32 v24, 0x7f80
	s_and_saveexec_b64 s[8:9], vcc
	s_cbranch_execz .LBB865_427
; %bb.426:
	v_and_b32_e32 v26, 7, v15
	v_ffbh_u32_e32 v25, v26
	v_min_u32_e32 v29, 32, v25
	v_mov_b32_e32 v24, v15
	v_subrev_u32_e32 v25, 28, v29
	v_lshlrev_b64 v[24:25], v25, v[24:25]
	v_lshrrev_b32_e32 v27, 3, v14
	v_sub_u32_e32 v25, 29, v29
	v_and_b32_e32 v24, 7, v24
	v_cmp_gt_u32_e32 vcc, 8, v14
	v_cndmask_b32_e32 v14, v27, v25, vcc
	v_cndmask_b32_e32 v24, v26, v24, vcc
	v_lshlrev_b32_e32 v25, 24, v15
	v_bfrev_b32_e32 v26, 60
	v_lshlrev_b32_e32 v24, 20, v24
	v_and_b32_e32 v25, 0x80000000, v25
	v_lshl_add_u32 v14, v14, 23, v26
	v_or3_b32 v14, v25, v14, v24
	v_lshrrev_b32_e32 v24, 16, v14
.LBB865_427:
	s_or_b64 exec, exec, s[8:9]
.LBB865_428:
	s_or_b64 exec, exec, s[2:3]
.LBB865_429:
	s_or_b64 exec, exec, s[0:1]
	v_lshrrev_b16_e32 v14, 8, v15
	v_cmp_ne_u16_e32 vcc, 0, v14
	s_and_saveexec_b64 s[0:1], vcc
	s_cbranch_execz .LBB865_435
; %bb.430:
	s_movk_i32 s2, 0x80
	v_cmp_ne_u16_e32 vcc, s2, v14
	v_mov_b32_e32 v18, 0xffff8000
	s_and_saveexec_b64 s[2:3], vcc
	s_cbranch_execz .LBB865_434
; %bb.431:
	s_movk_i32 s7, 0x7f
	v_and_b32_e32 v25, 0x7f, v14
	v_cmp_ne_u32_e32 vcc, s7, v25
	v_mov_b32_e32 v18, 0x7f80
	s_and_saveexec_b64 s[8:9], vcc
	s_cbranch_execz .LBB865_433
; %bb.432:
	v_and_b32_e32 v18, 7, v14
	v_ffbh_u32_e32 v26, v18
	v_min_u32_e32 v30, 32, v26
	v_subrev_u32_e32 v26, 28, v30
	v_lshlrev_b64 v[26:27], v26, v[14:15]
	v_lshrrev_b32_e32 v29, 3, v25
	v_sub_u32_e32 v14, 29, v30
	v_and_b32_e32 v26, 7, v26
	v_cmp_gt_u32_e32 vcc, 8, v25
	v_cndmask_b32_e32 v14, v29, v14, vcc
	v_cndmask_b32_e32 v18, v18, v26, vcc
	v_lshlrev_b32_e32 v25, 16, v15
	v_bfrev_b32_e32 v26, 60
	v_lshlrev_b32_e32 v18, 20, v18
	v_and_b32_e32 v25, 0x80000000, v25
	v_lshl_add_u32 v14, v14, 23, v26
	v_or3_b32 v14, v25, v14, v18
	v_lshrrev_b32_e32 v18, 16, v14
.LBB865_433:
	s_or_b64 exec, exec, s[8:9]
.LBB865_434:
	s_or_b64 exec, exec, s[2:3]
.LBB865_435:
	s_or_b64 exec, exec, s[0:1]
	s_movk_i32 s0, 0xff
	v_and_b32_sdwa v27, v15, s0 dst_sel:DWORD dst_unused:UNUSED_PAD src0_sel:WORD_1 src1_sel:DWORD
	v_lshrrev_b32_e32 v14, 16, v15
	v_cmp_ne_u16_e32 vcc, 0, v27
	v_mov_b32_e32 v25, 0
	v_mov_b32_e32 v26, 0
	s_and_saveexec_b64 s[0:1], vcc
	s_cbranch_execz .LBB865_441
; %bb.436:
	s_movk_i32 s2, 0x80
	v_cmp_ne_u16_e32 vcc, s2, v27
	v_mov_b32_e32 v26, 0xffff8000
	s_and_saveexec_b64 s[2:3], vcc
	s_cbranch_execz .LBB865_440
; %bb.437:
	v_bfe_u32 v27, v15, 16, 7
	s_movk_i32 s7, 0x7f
	v_cmp_ne_u32_e32 vcc, s7, v27
	v_mov_b32_e32 v26, 0x7f80
	s_and_saveexec_b64 s[8:9], vcc
	s_cbranch_execz .LBB865_439
; %bb.438:
	v_and_b32_e32 v26, 7, v14
	v_ffbh_u32_e32 v30, v26
	v_min_u32_e32 v32, 32, v30
	v_subrev_u32_e32 v30, 28, v32
	v_lshlrev_b64 v[30:31], v30, v[14:15]
	v_lshrrev_b32_e32 v29, 3, v27
	v_sub_u32_e32 v14, 29, v32
	v_and_b32_e32 v30, 7, v30
	v_cmp_gt_u32_e32 vcc, 8, v27
	v_mov_b32_e32 v27, 24
	v_cndmask_b32_e32 v14, v29, v14, vcc
	v_cndmask_b32_e32 v26, v26, v30, vcc
	v_lshlrev_b32_sdwa v27, v27, v15 dst_sel:DWORD dst_unused:UNUSED_PAD src0_sel:DWORD src1_sel:WORD_1
	v_bfrev_b32_e32 v29, 60
	v_lshlrev_b32_e32 v26, 20, v26
	v_and_b32_e32 v27, 0x80000000, v27
	v_lshl_add_u32 v14, v14, 23, v29
	v_or3_b32 v14, v27, v14, v26
	v_lshrrev_b32_e32 v26, 16, v14
.LBB865_439:
	s_or_b64 exec, exec, s[8:9]
.LBB865_440:
	s_or_b64 exec, exec, s[2:3]
.LBB865_441:
	s_or_b64 exec, exec, s[0:1]
	s_mov_b32 s0, 0xffffff
	v_cmp_lt_u32_e32 vcc, s0, v15
	s_and_saveexec_b64 s[0:1], vcc
	s_cbranch_execz .LBB865_447
; %bb.442:
	v_lshrrev_b32_e32 v14, 24, v15
	s_movk_i32 s2, 0x80
	v_cmp_ne_u32_e32 vcc, s2, v14
	v_mov_b32_e32 v25, 0xffff8000
	s_and_saveexec_b64 s[2:3], vcc
	s_cbranch_execz .LBB865_446
; %bb.443:
	v_bfe_u32 v15, v15, 24, 7
	s_movk_i32 s7, 0x7f
	v_cmp_ne_u32_e32 vcc, s7, v15
	v_mov_b32_e32 v25, 0x7f80
	s_and_saveexec_b64 s[8:9], vcc
	s_cbranch_execz .LBB865_445
; %bb.444:
	v_and_b32_e32 v25, 7, v14
	v_ffbh_u32_e32 v29, v25
	v_min_u32_e32 v29, 32, v29
	v_subrev_u32_e32 v30, 28, v29
	v_lshlrev_b64 v[30:31], v30, v[14:15]
	v_lshrrev_b32_e32 v27, 3, v15
	v_sub_u32_e32 v29, 29, v29
	v_and_b32_e32 v30, 7, v30
	v_cmp_gt_u32_e32 vcc, 8, v15
	v_cndmask_b32_e32 v15, v27, v29, vcc
	v_cndmask_b32_e32 v25, v25, v30, vcc
	v_lshlrev_b32_e32 v14, 24, v14
	v_bfrev_b32_e32 v27, 60
	v_lshlrev_b32_e32 v25, 20, v25
	v_and_b32_e32 v14, 0x80000000, v14
	v_lshl_add_u32 v15, v15, 23, v27
	v_or3_b32 v14, v14, v15, v25
	v_lshrrev_b32_e32 v25, 16, v14
.LBB865_445:
	s_or_b64 exec, exec, s[8:9]
.LBB865_446:
	s_or_b64 exec, exec, s[2:3]
.LBB865_447:
	s_or_b64 exec, exec, s[0:1]
	s_mov_b32 s0, 0x5040100
	v_perm_b32 v15, v22, v23, s0
	v_lshl_or_b32 v22, v49, 9, v19
	v_perm_b32 v14, v20, v21, s0
	ds_read_b128 v[30:33], v22
	v_perm_b32 v19, v25, v26, s0
	v_perm_b32 v18, v18, v24, s0
	s_waitcnt lgkmcnt(0)
	v_mfma_f32_16x16x16bf16_1k v[34:37], v[14:15], v[30:31], 0
	v_mov_b32_e32 v15, 0
	v_cmp_ne_u16_sdwa s[2:3], v16, v15 src0_sel:BYTE_0 src1_sel:DWORD
	v_mov_b32_e32 v23, 0
	v_mfma_f32_16x16x16bf16_1k v[18:21], v[18:19], v[32:33], v[34:37]
	s_and_saveexec_b64 s[0:1], s[2:3]
	s_cbranch_execz .LBB865_453
; %bb.448:
	s_movk_i32 s2, 0x80
	v_cmp_ne_u16_sdwa s[8:9], v16, s2 src0_sel:BYTE_0 src1_sel:DWORD
	v_mov_b32_e32 v23, 0xffff8000
	s_and_saveexec_b64 s[2:3], s[8:9]
	s_cbranch_execz .LBB865_452
; %bb.449:
	s_movk_i32 s7, 0x7f
	v_and_b32_e32 v14, 0x7f, v16
	v_cmp_ne_u32_e32 vcc, s7, v14
	v_mov_b32_e32 v23, 0x7f80
	s_and_saveexec_b64 s[8:9], vcc
	s_cbranch_execz .LBB865_451
; %bb.450:
	v_and_b32_e32 v23, 7, v16
	v_ffbh_u32_e32 v24, v23
	v_min_u32_e32 v27, 32, v24
	v_subrev_u32_e32 v24, 28, v27
	v_lshlrev_b64 v[24:25], v24, v[16:17]
	v_lshrrev_b32_e32 v26, 3, v14
	v_sub_u32_e32 v25, 29, v27
	v_and_b32_e32 v24, 7, v24
	v_cmp_gt_u32_e32 vcc, 8, v14
	v_cndmask_b32_e32 v14, v26, v25, vcc
	v_cndmask_b32_e32 v23, v23, v24, vcc
	v_lshlrev_b32_e32 v24, 24, v16
	v_bfrev_b32_e32 v25, 60
	v_lshlrev_b32_e32 v23, 20, v23
	v_and_b32_e32 v24, 0x80000000, v24
	v_lshl_add_u32 v14, v14, 23, v25
	v_or3_b32 v14, v24, v14, v23
	v_lshrrev_b32_e32 v23, 16, v14
.LBB865_451:
	s_or_b64 exec, exec, s[8:9]
.LBB865_452:
	s_or_b64 exec, exec, s[2:3]
.LBB865_453:
	s_or_b64 exec, exec, s[0:1]
	v_lshrrev_b16_e32 v14, 8, v16
	v_cmp_ne_u16_e32 vcc, 0, v14
	s_and_saveexec_b64 s[0:1], vcc
	s_cbranch_execz .LBB865_459
; %bb.454:
	s_movk_i32 s2, 0x80
	v_cmp_ne_u16_e32 vcc, s2, v14
	v_mov_b32_e32 v15, 0xffff8000
	s_and_saveexec_b64 s[2:3], vcc
	s_cbranch_execz .LBB865_458
; %bb.455:
	s_movk_i32 s7, 0x7f
	v_and_b32_e32 v24, 0x7f, v14
	v_cmp_ne_u32_e32 vcc, s7, v24
	v_mov_b32_e32 v15, 0x7f80
	s_and_saveexec_b64 s[8:9], vcc
	s_cbranch_execz .LBB865_457
; %bb.456:
	v_and_b32_e32 v25, 7, v14
	v_ffbh_u32_e32 v15, v25
	v_min_u32_e32 v27, 32, v15
	v_subrev_u32_e32 v15, 28, v27
	v_lshlrev_b64 v[14:15], v15, v[14:15]
	v_lshrrev_b32_e32 v26, 3, v24
	v_sub_u32_e32 v15, 29, v27
	v_and_b32_e32 v14, 7, v14
	v_cmp_gt_u32_e32 vcc, 8, v24
	v_cndmask_b32_e32 v15, v26, v15, vcc
	v_cndmask_b32_e32 v14, v25, v14, vcc
	v_lshlrev_b32_e32 v24, 16, v16
	v_bfrev_b32_e32 v25, 60
	v_lshlrev_b32_e32 v14, 20, v14
	v_and_b32_e32 v24, 0x80000000, v24
	v_lshl_add_u32 v15, v15, 23, v25
	v_or3_b32 v14, v24, v15, v14
	v_lshrrev_b32_e32 v15, 16, v14
.LBB865_457:
	s_or_b64 exec, exec, s[8:9]
.LBB865_458:
	s_or_b64 exec, exec, s[2:3]
.LBB865_459:
	s_or_b64 exec, exec, s[0:1]
	s_movk_i32 s0, 0xff
	v_and_b32_sdwa v26, v16, s0 dst_sel:DWORD dst_unused:UNUSED_PAD src0_sel:WORD_1 src1_sel:DWORD
	v_lshrrev_b32_e32 v14, 16, v16
	v_cmp_ne_u16_e32 vcc, 0, v26
	v_mov_b32_e32 v24, 0
	v_mov_b32_e32 v25, 0
	s_and_saveexec_b64 s[0:1], vcc
	s_cbranch_execz .LBB865_465
; %bb.460:
	s_movk_i32 s2, 0x80
	v_cmp_ne_u16_e32 vcc, s2, v26
	v_mov_b32_e32 v25, 0xffff8000
	s_and_saveexec_b64 s[2:3], vcc
	s_cbranch_execz .LBB865_464
; %bb.461:
	v_bfe_u32 v26, v16, 16, 7
	s_movk_i32 s7, 0x7f
	v_cmp_ne_u32_e32 vcc, s7, v26
	v_mov_b32_e32 v25, 0x7f80
	s_and_saveexec_b64 s[8:9], vcc
	s_cbranch_execz .LBB865_463
; %bb.462:
	v_and_b32_e32 v25, 7, v14
	v_ffbh_u32_e32 v29, v25
	v_min_u32_e32 v29, 32, v29
	v_subrev_u32_e32 v30, 28, v29
	v_lshlrev_b64 v[30:31], v30, v[14:15]
	v_lshrrev_b32_e32 v27, 3, v26
	v_sub_u32_e32 v14, 29, v29
	v_and_b32_e32 v29, 7, v30
	v_cmp_gt_u32_e32 vcc, 8, v26
	v_mov_b32_e32 v26, 24
	v_cndmask_b32_e32 v14, v27, v14, vcc
	v_cndmask_b32_e32 v25, v25, v29, vcc
	v_lshlrev_b32_sdwa v26, v26, v16 dst_sel:DWORD dst_unused:UNUSED_PAD src0_sel:DWORD src1_sel:WORD_1
	v_bfrev_b32_e32 v27, 60
	v_lshlrev_b32_e32 v25, 20, v25
	v_and_b32_e32 v26, 0x80000000, v26
	v_lshl_add_u32 v14, v14, 23, v27
	v_or3_b32 v14, v26, v14, v25
	v_lshrrev_b32_e32 v25, 16, v14
.LBB865_463:
	s_or_b64 exec, exec, s[8:9]
.LBB865_464:
	s_or_b64 exec, exec, s[2:3]
.LBB865_465:
	s_or_b64 exec, exec, s[0:1]
	s_mov_b32 s0, 0xffffff
	v_cmp_lt_u32_e32 vcc, s0, v16
	s_and_saveexec_b64 s[0:1], vcc
	s_cbranch_execz .LBB865_471
; %bb.466:
	v_lshrrev_b32_e32 v14, 24, v16
	s_movk_i32 s2, 0x80
	v_cmp_ne_u32_e32 vcc, s2, v14
	v_mov_b32_e32 v24, 0xffff8000
	s_and_saveexec_b64 s[2:3], vcc
	s_cbranch_execz .LBB865_470
; %bb.467:
	v_bfe_u32 v16, v16, 24, 7
	s_movk_i32 s7, 0x7f
	v_cmp_ne_u32_e32 vcc, s7, v16
	v_mov_b32_e32 v24, 0x7f80
	s_and_saveexec_b64 s[8:9], vcc
	s_cbranch_execz .LBB865_469
; %bb.468:
	v_and_b32_e32 v24, 7, v14
	v_ffbh_u32_e32 v26, v24
	v_min_u32_e32 v30, 32, v26
	v_subrev_u32_e32 v26, 28, v30
	v_lshlrev_b64 v[26:27], v26, v[14:15]
	v_lshrrev_b32_e32 v29, 3, v16
	v_sub_u32_e32 v27, 29, v30
	v_and_b32_e32 v26, 7, v26
	v_cmp_gt_u32_e32 vcc, 8, v16
	v_cndmask_b32_e32 v16, v29, v27, vcc
	v_cndmask_b32_e32 v24, v24, v26, vcc
	v_lshlrev_b32_e32 v14, 24, v14
	v_bfrev_b32_e32 v26, 60
	v_lshlrev_b32_e32 v24, 20, v24
	v_and_b32_e32 v14, 0x80000000, v14
	v_lshl_add_u32 v16, v16, 23, v26
	v_or3_b32 v14, v14, v16, v24
	v_lshrrev_b32_e32 v24, 16, v14
.LBB865_469:
	s_or_b64 exec, exec, s[8:9]
.LBB865_470:
	s_or_b64 exec, exec, s[2:3]
.LBB865_471:
	s_or_b64 exec, exec, s[0:1]
	v_mov_b32_e32 v16, 0
	v_cmp_ne_u16_sdwa s[2:3], v17, v16 src0_sel:BYTE_0 src1_sel:DWORD
	v_mov_b32_e32 v26, 0
	s_and_saveexec_b64 s[0:1], s[2:3]
	s_cbranch_execz .LBB865_477
; %bb.472:
	s_movk_i32 s2, 0x80
	v_cmp_ne_u16_sdwa s[8:9], v17, s2 src0_sel:BYTE_0 src1_sel:DWORD
	v_mov_b32_e32 v26, 0xffff8000
	s_and_saveexec_b64 s[2:3], s[8:9]
	s_cbranch_execz .LBB865_476
; %bb.473:
	s_movk_i32 s7, 0x7f
	v_and_b32_e32 v14, 0x7f, v17
	v_cmp_ne_u32_e32 vcc, s7, v14
	v_mov_b32_e32 v26, 0x7f80
	s_and_saveexec_b64 s[8:9], vcc
	s_cbranch_execz .LBB865_475
; %bb.474:
	v_and_b32_e32 v29, 7, v17
	v_ffbh_u32_e32 v27, v29
	v_min_u32_e32 v31, 32, v27
	v_mov_b32_e32 v26, v17
	v_subrev_u32_e32 v27, 28, v31
	v_lshlrev_b64 v[26:27], v27, v[26:27]
	v_lshrrev_b32_e32 v30, 3, v14
	v_sub_u32_e32 v27, 29, v31
	v_and_b32_e32 v26, 7, v26
	v_cmp_gt_u32_e32 vcc, 8, v14
	v_cndmask_b32_e32 v14, v30, v27, vcc
	v_cndmask_b32_e32 v26, v29, v26, vcc
	v_lshlrev_b32_e32 v27, 24, v17
	v_bfrev_b32_e32 v29, 60
	v_lshlrev_b32_e32 v26, 20, v26
	v_and_b32_e32 v27, 0x80000000, v27
	v_lshl_add_u32 v14, v14, 23, v29
	v_or3_b32 v14, v27, v14, v26
	v_lshrrev_b32_e32 v26, 16, v14
.LBB865_475:
	s_or_b64 exec, exec, s[8:9]
.LBB865_476:
	s_or_b64 exec, exec, s[2:3]
.LBB865_477:
	s_or_b64 exec, exec, s[0:1]
	v_lshrrev_b16_e32 v14, 8, v17
	v_cmp_ne_u16_e32 vcc, 0, v14
	s_and_saveexec_b64 s[0:1], vcc
	s_cbranch_execz .LBB865_483
; %bb.478:
	s_movk_i32 s2, 0x80
	v_cmp_ne_u16_e32 vcc, s2, v14
	v_mov_b32_e32 v16, 0xffff8000
	s_and_saveexec_b64 s[2:3], vcc
	s_cbranch_execz .LBB865_482
; %bb.479:
	s_movk_i32 s7, 0x7f
	v_and_b32_e32 v27, 0x7f, v14
	v_cmp_ne_u32_e32 vcc, s7, v27
	v_mov_b32_e32 v16, 0x7f80
	s_and_saveexec_b64 s[8:9], vcc
	s_cbranch_execz .LBB865_481
; %bb.480:
	v_and_b32_e32 v16, 7, v14
	v_ffbh_u32_e32 v30, v16
	v_min_u32_e32 v32, 32, v30
	v_subrev_u32_e32 v30, 28, v32
	v_lshlrev_b64 v[30:31], v30, v[14:15]
	v_lshrrev_b32_e32 v29, 3, v27
	v_sub_u32_e32 v14, 29, v32
	v_and_b32_e32 v30, 7, v30
	v_cmp_gt_u32_e32 vcc, 8, v27
	v_cndmask_b32_e32 v14, v29, v14, vcc
	v_cndmask_b32_e32 v16, v16, v30, vcc
	v_lshlrev_b32_e32 v27, 16, v17
	v_bfrev_b32_e32 v29, 60
	v_lshlrev_b32_e32 v16, 20, v16
	v_and_b32_e32 v27, 0x80000000, v27
	v_lshl_add_u32 v14, v14, 23, v29
	v_or3_b32 v14, v27, v14, v16
	v_lshrrev_b32_e32 v16, 16, v14
.LBB865_481:
	s_or_b64 exec, exec, s[8:9]
.LBB865_482:
	s_or_b64 exec, exec, s[2:3]
.LBB865_483:
	s_or_b64 exec, exec, s[0:1]
	s_movk_i32 s0, 0xff
	v_and_b32_sdwa v30, v17, s0 dst_sel:DWORD dst_unused:UNUSED_PAD src0_sel:WORD_1 src1_sel:DWORD
	v_lshrrev_b32_e32 v14, 16, v17
	v_cmp_ne_u16_e32 vcc, 0, v30
	v_mov_b32_e32 v27, 0
	v_mov_b32_e32 v29, 0
	s_and_saveexec_b64 s[0:1], vcc
	s_cbranch_execz .LBB865_489
; %bb.484:
	s_movk_i32 s2, 0x80
	v_cmp_ne_u16_e32 vcc, s2, v30
	v_mov_b32_e32 v29, 0xffff8000
	s_and_saveexec_b64 s[2:3], vcc
	s_cbranch_execz .LBB865_488
; %bb.485:
	v_bfe_u32 v30, v17, 16, 7
	s_movk_i32 s7, 0x7f
	v_cmp_ne_u32_e32 vcc, s7, v30
	v_mov_b32_e32 v29, 0x7f80
	s_and_saveexec_b64 s[8:9], vcc
	s_cbranch_execz .LBB865_487
; %bb.486:
	v_and_b32_e32 v29, 7, v14
	v_ffbh_u32_e32 v32, v29
	v_min_u32_e32 v34, 32, v32
	v_subrev_u32_e32 v32, 28, v34
	v_lshlrev_b64 v[32:33], v32, v[14:15]
	v_lshrrev_b32_e32 v31, 3, v30
	v_sub_u32_e32 v14, 29, v34
	v_and_b32_e32 v32, 7, v32
	v_cmp_gt_u32_e32 vcc, 8, v30
	v_mov_b32_e32 v30, 24
	v_cndmask_b32_e32 v14, v31, v14, vcc
	v_cndmask_b32_e32 v29, v29, v32, vcc
	v_lshlrev_b32_sdwa v30, v30, v17 dst_sel:DWORD dst_unused:UNUSED_PAD src0_sel:DWORD src1_sel:WORD_1
	v_bfrev_b32_e32 v31, 60
	v_lshlrev_b32_e32 v29, 20, v29
	v_and_b32_e32 v30, 0x80000000, v30
	v_lshl_add_u32 v14, v14, 23, v31
	v_or3_b32 v14, v30, v14, v29
	v_lshrrev_b32_e32 v29, 16, v14
.LBB865_487:
	s_or_b64 exec, exec, s[8:9]
.LBB865_488:
	s_or_b64 exec, exec, s[2:3]
.LBB865_489:
	s_or_b64 exec, exec, s[0:1]
	s_mov_b32 s0, 0xffffff
	v_cmp_lt_u32_e32 vcc, s0, v17
	s_and_saveexec_b64 s[0:1], vcc
	s_cbranch_execz .LBB865_495
; %bb.490:
	v_lshrrev_b32_e32 v14, 24, v17
	s_movk_i32 s2, 0x80
	v_cmp_ne_u32_e32 vcc, s2, v14
	v_mov_b32_e32 v27, 0xffff8000
	s_and_saveexec_b64 s[2:3], vcc
	s_cbranch_execz .LBB865_494
; %bb.491:
	v_bfe_u32 v17, v17, 24, 7
	s_movk_i32 s7, 0x7f
	v_cmp_ne_u32_e32 vcc, s7, v17
	v_mov_b32_e32 v27, 0x7f80
	s_and_saveexec_b64 s[8:9], vcc
	s_cbranch_execz .LBB865_493
; %bb.492:
	v_and_b32_e32 v27, 7, v14
	v_ffbh_u32_e32 v30, v27
	v_min_u32_e32 v33, 32, v30
	v_subrev_u32_e32 v30, 28, v33
	v_lshlrev_b64 v[30:31], v30, v[14:15]
	v_lshrrev_b32_e32 v32, 3, v17
	v_sub_u32_e32 v31, 29, v33
	v_and_b32_e32 v30, 7, v30
	v_cmp_gt_u32_e32 vcc, 8, v17
	v_cndmask_b32_e32 v17, v32, v31, vcc
	v_cndmask_b32_e32 v27, v27, v30, vcc
	v_lshlrev_b32_e32 v14, 24, v14
	v_bfrev_b32_e32 v30, 60
	v_lshlrev_b32_e32 v27, 20, v27
	v_and_b32_e32 v14, 0x80000000, v14
	v_lshl_add_u32 v17, v17, 23, v30
	v_or3_b32 v14, v14, v17, v27
	v_lshrrev_b32_e32 v27, 16, v14
.LBB865_493:
	s_or_b64 exec, exec, s[8:9]
.LBB865_494:
	s_or_b64 exec, exec, s[2:3]
.LBB865_495:
	s_or_b64 exec, exec, s[0:1]
	s_mov_b32 s0, 0x5040100
	v_perm_b32 v25, v24, v25, s0
	v_perm_b32 v24, v15, v23, s0
	ds_read_b128 v[30:33], v22 offset:16
	v_perm_b32 v15, v27, v29, s0
	v_perm_b32 v14, v16, v26, s0
	s_waitcnt lgkmcnt(0)
	v_mfma_f32_16x16x16bf16_1k v[34:37], v[24:25], v[30:31], v[18:21]
	s_nop 6
	v_mov_b32_e32 v19, 0
	s_waitcnt vmcnt(2)
	v_cmp_ne_u16_sdwa s[2:3], v10, v19 src0_sel:BYTE_0 src1_sel:DWORD
	v_mfma_f32_16x16x16bf16_1k v[14:17], v[14:15], v[32:33], v[34:37]
	v_mov_b32_e32 v20, 0
	s_and_saveexec_b64 s[0:1], s[2:3]
	s_cbranch_execz .LBB865_501
; %bb.496:
	s_movk_i32 s2, 0x80
	v_cmp_ne_u16_sdwa s[8:9], v10, s2 src0_sel:BYTE_0 src1_sel:DWORD
	v_mov_b32_e32 v20, 0xffff8000
	s_and_saveexec_b64 s[2:3], s[8:9]
	s_cbranch_execz .LBB865_500
; %bb.497:
	s_movk_i32 s7, 0x7f
	v_and_b32_e32 v18, 0x7f, v10
	v_cmp_ne_u32_e32 vcc, s7, v18
	v_mov_b32_e32 v20, 0x7f80
	s_and_saveexec_b64 s[8:9], vcc
	s_cbranch_execz .LBB865_499
; %bb.498:
	v_and_b32_e32 v23, 7, v10
	v_ffbh_u32_e32 v20, v23
	v_min_u32_e32 v25, 32, v20
	v_subrev_u32_e32 v20, 28, v25
	v_lshlrev_b64 v[20:21], v20, v[10:11]
	v_lshrrev_b32_e32 v24, 3, v18
	v_sub_u32_e32 v21, 29, v25
	v_and_b32_e32 v20, 7, v20
	v_cmp_gt_u32_e32 vcc, 8, v18
	v_cndmask_b32_e32 v18, v24, v21, vcc
	v_cndmask_b32_e32 v20, v23, v20, vcc
	v_lshlrev_b32_e32 v21, 24, v10
	v_bfrev_b32_e32 v23, 60
	v_lshlrev_b32_e32 v20, 20, v20
	v_and_b32_e32 v21, 0x80000000, v21
	v_lshl_add_u32 v18, v18, 23, v23
	v_or3_b32 v18, v21, v18, v20
	v_lshrrev_b32_e32 v20, 16, v18
.LBB865_499:
	s_or_b64 exec, exec, s[8:9]
.LBB865_500:
	s_or_b64 exec, exec, s[2:3]
.LBB865_501:
	s_or_b64 exec, exec, s[0:1]
	v_lshrrev_b16_e32 v18, 8, v10
	v_cmp_ne_u16_e32 vcc, 0, v18
	s_and_saveexec_b64 s[0:1], vcc
	s_cbranch_execz .LBB865_507
; %bb.502:
	s_movk_i32 s2, 0x80
	v_cmp_ne_u16_e32 vcc, s2, v18
	v_mov_b32_e32 v19, 0xffff8000
	s_and_saveexec_b64 s[2:3], vcc
	s_cbranch_execz .LBB865_506
; %bb.503:
	s_movk_i32 s7, 0x7f
	v_and_b32_e32 v21, 0x7f, v18
	v_cmp_ne_u32_e32 vcc, s7, v21
	v_mov_b32_e32 v19, 0x7f80
	s_and_saveexec_b64 s[8:9], vcc
	s_cbranch_execz .LBB865_505
; %bb.504:
	v_and_b32_e32 v23, 7, v18
	v_ffbh_u32_e32 v19, v23
	v_min_u32_e32 v25, 32, v19
	v_subrev_u32_e32 v19, 28, v25
	v_lshlrev_b64 v[18:19], v19, v[18:19]
	v_lshrrev_b32_e32 v24, 3, v21
	v_sub_u32_e32 v19, 29, v25
	v_and_b32_e32 v18, 7, v18
	v_cmp_gt_u32_e32 vcc, 8, v21
	v_cndmask_b32_e32 v19, v24, v19, vcc
	v_cndmask_b32_e32 v18, v23, v18, vcc
	v_lshlrev_b32_e32 v21, 16, v10
	v_bfrev_b32_e32 v23, 60
	v_lshlrev_b32_e32 v18, 20, v18
	v_and_b32_e32 v21, 0x80000000, v21
	v_lshl_add_u32 v19, v19, 23, v23
	v_or3_b32 v18, v21, v19, v18
	v_lshrrev_b32_e32 v19, 16, v18
.LBB865_505:
	s_or_b64 exec, exec, s[8:9]
.LBB865_506:
	s_or_b64 exec, exec, s[2:3]
.LBB865_507:
	s_or_b64 exec, exec, s[0:1]
	s_movk_i32 s0, 0xff
	v_and_b32_sdwa v24, v10, s0 dst_sel:DWORD dst_unused:UNUSED_PAD src0_sel:WORD_1 src1_sel:DWORD
	v_lshrrev_b32_e32 v18, 16, v10
	v_cmp_ne_u16_e32 vcc, 0, v24
	v_mov_b32_e32 v21, 0
	v_mov_b32_e32 v23, 0
	s_and_saveexec_b64 s[0:1], vcc
	s_cbranch_execz .LBB865_513
; %bb.508:
	s_movk_i32 s2, 0x80
	v_cmp_ne_u16_e32 vcc, s2, v24
	v_mov_b32_e32 v23, 0xffff8000
	s_and_saveexec_b64 s[2:3], vcc
	s_cbranch_execz .LBB865_512
; %bb.509:
	v_bfe_u32 v24, v10, 16, 7
	s_movk_i32 s7, 0x7f
	v_cmp_ne_u32_e32 vcc, s7, v24
	v_mov_b32_e32 v23, 0x7f80
	s_and_saveexec_b64 s[8:9], vcc
	s_cbranch_execz .LBB865_511
; %bb.510:
	v_and_b32_e32 v23, 7, v18
	v_ffbh_u32_e32 v26, v23
	v_min_u32_e32 v29, 32, v26
	v_subrev_u32_e32 v26, 28, v29
	v_lshlrev_b64 v[26:27], v26, v[18:19]
	v_lshrrev_b32_e32 v25, 3, v24
	v_sub_u32_e32 v18, 29, v29
	v_and_b32_e32 v26, 7, v26
	v_cmp_gt_u32_e32 vcc, 8, v24
	v_mov_b32_e32 v24, 24
	v_cndmask_b32_e32 v18, v25, v18, vcc
	v_cndmask_b32_e32 v23, v23, v26, vcc
	v_lshlrev_b32_sdwa v24, v24, v10 dst_sel:DWORD dst_unused:UNUSED_PAD src0_sel:DWORD src1_sel:WORD_1
	v_bfrev_b32_e32 v25, 60
	v_lshlrev_b32_e32 v23, 20, v23
	v_and_b32_e32 v24, 0x80000000, v24
	v_lshl_add_u32 v18, v18, 23, v25
	v_or3_b32 v18, v24, v18, v23
	v_lshrrev_b32_e32 v23, 16, v18
.LBB865_511:
	s_or_b64 exec, exec, s[8:9]
.LBB865_512:
	s_or_b64 exec, exec, s[2:3]
.LBB865_513:
	s_or_b64 exec, exec, s[0:1]
	s_mov_b32 s0, 0xffffff
	v_cmp_lt_u32_e32 vcc, s0, v10
	s_and_saveexec_b64 s[0:1], vcc
	s_cbranch_execz .LBB865_519
; %bb.514:
	v_lshrrev_b32_e32 v18, 24, v10
	s_movk_i32 s2, 0x80
	v_cmp_ne_u32_e32 vcc, s2, v18
	v_mov_b32_e32 v21, 0xffff8000
	s_and_saveexec_b64 s[2:3], vcc
	s_cbranch_execz .LBB865_518
; %bb.515:
	v_bfe_u32 v10, v10, 24, 7
	s_movk_i32 s7, 0x7f
	v_cmp_ne_u32_e32 vcc, s7, v10
	v_mov_b32_e32 v21, 0x7f80
	s_and_saveexec_b64 s[8:9], vcc
	s_cbranch_execz .LBB865_517
; %bb.516:
	v_and_b32_e32 v21, 7, v18
	v_ffbh_u32_e32 v24, v21
	v_min_u32_e32 v27, 32, v24
	v_subrev_u32_e32 v24, 28, v27
	v_lshlrev_b64 v[24:25], v24, v[18:19]
	v_lshrrev_b32_e32 v26, 3, v10
	v_sub_u32_e32 v25, 29, v27
	v_and_b32_e32 v24, 7, v24
	v_cmp_gt_u32_e32 vcc, 8, v10
	v_cndmask_b32_e32 v10, v26, v25, vcc
	v_cndmask_b32_e32 v21, v21, v24, vcc
	v_lshlrev_b32_e32 v18, 24, v18
	v_bfrev_b32_e32 v24, 60
	v_lshlrev_b32_e32 v21, 20, v21
	v_and_b32_e32 v18, 0x80000000, v18
	v_lshl_add_u32 v10, v10, 23, v24
	v_or3_b32 v10, v18, v10, v21
	v_lshrrev_b32_e32 v21, 16, v10
.LBB865_517:
	s_or_b64 exec, exec, s[8:9]
.LBB865_518:
	s_or_b64 exec, exec, s[2:3]
.LBB865_519:
	s_or_b64 exec, exec, s[0:1]
	v_mov_b32_e32 v18, 0
	v_cmp_ne_u16_sdwa s[2:3], v11, v18 src0_sel:BYTE_0 src1_sel:DWORD
	v_mov_b32_e32 v24, 0
	s_and_saveexec_b64 s[0:1], s[2:3]
	s_cbranch_execz .LBB865_525
; %bb.520:
	s_movk_i32 s2, 0x80
	v_cmp_ne_u16_sdwa s[8:9], v11, s2 src0_sel:BYTE_0 src1_sel:DWORD
	v_mov_b32_e32 v24, 0xffff8000
	s_and_saveexec_b64 s[2:3], s[8:9]
	s_cbranch_execz .LBB865_524
; %bb.521:
	s_movk_i32 s7, 0x7f
	v_and_b32_e32 v10, 0x7f, v11
	v_cmp_ne_u32_e32 vcc, s7, v10
	v_mov_b32_e32 v24, 0x7f80
	s_and_saveexec_b64 s[8:9], vcc
	s_cbranch_execz .LBB865_523
; %bb.522:
	v_and_b32_e32 v26, 7, v11
	v_ffbh_u32_e32 v25, v26
	v_min_u32_e32 v29, 32, v25
	v_mov_b32_e32 v24, v11
	v_subrev_u32_e32 v25, 28, v29
	v_lshlrev_b64 v[24:25], v25, v[24:25]
	v_lshrrev_b32_e32 v27, 3, v10
	v_sub_u32_e32 v25, 29, v29
	v_and_b32_e32 v24, 7, v24
	v_cmp_gt_u32_e32 vcc, 8, v10
	v_cndmask_b32_e32 v10, v27, v25, vcc
	v_cndmask_b32_e32 v24, v26, v24, vcc
	v_lshlrev_b32_e32 v25, 24, v11
	v_bfrev_b32_e32 v26, 60
	v_lshlrev_b32_e32 v24, 20, v24
	v_and_b32_e32 v25, 0x80000000, v25
	v_lshl_add_u32 v10, v10, 23, v26
	v_or3_b32 v10, v25, v10, v24
	v_lshrrev_b32_e32 v24, 16, v10
.LBB865_523:
	s_or_b64 exec, exec, s[8:9]
.LBB865_524:
	s_or_b64 exec, exec, s[2:3]
.LBB865_525:
	s_or_b64 exec, exec, s[0:1]
	v_lshrrev_b16_e32 v10, 8, v11
	v_cmp_ne_u16_e32 vcc, 0, v10
	s_and_saveexec_b64 s[0:1], vcc
	s_cbranch_execz .LBB865_531
; %bb.526:
	s_movk_i32 s2, 0x80
	v_cmp_ne_u16_e32 vcc, s2, v10
	v_mov_b32_e32 v18, 0xffff8000
	s_and_saveexec_b64 s[2:3], vcc
	s_cbranch_execz .LBB865_530
; %bb.527:
	s_movk_i32 s7, 0x7f
	v_and_b32_e32 v25, 0x7f, v10
	v_cmp_ne_u32_e32 vcc, s7, v25
	v_mov_b32_e32 v18, 0x7f80
	s_and_saveexec_b64 s[8:9], vcc
	s_cbranch_execz .LBB865_529
; %bb.528:
	v_and_b32_e32 v18, 7, v10
	v_ffbh_u32_e32 v26, v18
	v_min_u32_e32 v30, 32, v26
	v_subrev_u32_e32 v26, 28, v30
	v_lshlrev_b64 v[26:27], v26, v[10:11]
	v_lshrrev_b32_e32 v29, 3, v25
	v_sub_u32_e32 v10, 29, v30
	v_and_b32_e32 v26, 7, v26
	v_cmp_gt_u32_e32 vcc, 8, v25
	v_cndmask_b32_e32 v10, v29, v10, vcc
	v_cndmask_b32_e32 v18, v18, v26, vcc
	v_lshlrev_b32_e32 v25, 16, v11
	v_bfrev_b32_e32 v26, 60
	v_lshlrev_b32_e32 v18, 20, v18
	v_and_b32_e32 v25, 0x80000000, v25
	v_lshl_add_u32 v10, v10, 23, v26
	v_or3_b32 v10, v25, v10, v18
	v_lshrrev_b32_e32 v18, 16, v10
.LBB865_529:
	s_or_b64 exec, exec, s[8:9]
.LBB865_530:
	s_or_b64 exec, exec, s[2:3]
.LBB865_531:
	s_or_b64 exec, exec, s[0:1]
	s_movk_i32 s0, 0xff
	v_and_b32_sdwa v27, v11, s0 dst_sel:DWORD dst_unused:UNUSED_PAD src0_sel:WORD_1 src1_sel:DWORD
	v_lshrrev_b32_e32 v10, 16, v11
	v_cmp_ne_u16_e32 vcc, 0, v27
	v_mov_b32_e32 v25, 0
	v_mov_b32_e32 v26, 0
	s_and_saveexec_b64 s[0:1], vcc
	s_cbranch_execz .LBB865_537
; %bb.532:
	s_movk_i32 s2, 0x80
	v_cmp_ne_u16_e32 vcc, s2, v27
	v_mov_b32_e32 v26, 0xffff8000
	s_and_saveexec_b64 s[2:3], vcc
	s_cbranch_execz .LBB865_536
; %bb.533:
	v_bfe_u32 v27, v11, 16, 7
	s_movk_i32 s7, 0x7f
	v_cmp_ne_u32_e32 vcc, s7, v27
	v_mov_b32_e32 v26, 0x7f80
	s_and_saveexec_b64 s[8:9], vcc
	s_cbranch_execz .LBB865_535
; %bb.534:
	v_and_b32_e32 v26, 7, v10
	v_ffbh_u32_e32 v30, v26
	v_min_u32_e32 v32, 32, v30
	v_subrev_u32_e32 v30, 28, v32
	v_lshlrev_b64 v[30:31], v30, v[10:11]
	v_lshrrev_b32_e32 v29, 3, v27
	v_sub_u32_e32 v10, 29, v32
	v_and_b32_e32 v30, 7, v30
	v_cmp_gt_u32_e32 vcc, 8, v27
	v_mov_b32_e32 v27, 24
	v_cndmask_b32_e32 v10, v29, v10, vcc
	v_cndmask_b32_e32 v26, v26, v30, vcc
	v_lshlrev_b32_sdwa v27, v27, v11 dst_sel:DWORD dst_unused:UNUSED_PAD src0_sel:DWORD src1_sel:WORD_1
	v_bfrev_b32_e32 v29, 60
	v_lshlrev_b32_e32 v26, 20, v26
	v_and_b32_e32 v27, 0x80000000, v27
	v_lshl_add_u32 v10, v10, 23, v29
	v_or3_b32 v10, v27, v10, v26
	v_lshrrev_b32_e32 v26, 16, v10
.LBB865_535:
	s_or_b64 exec, exec, s[8:9]
.LBB865_536:
	s_or_b64 exec, exec, s[2:3]
.LBB865_537:
	s_or_b64 exec, exec, s[0:1]
	s_mov_b32 s0, 0xffffff
	v_cmp_lt_u32_e32 vcc, s0, v11
	s_and_saveexec_b64 s[0:1], vcc
	s_cbranch_execz .LBB865_543
; %bb.538:
	v_lshrrev_b32_e32 v10, 24, v11
	s_movk_i32 s2, 0x80
	v_cmp_ne_u32_e32 vcc, s2, v10
	v_mov_b32_e32 v25, 0xffff8000
	s_and_saveexec_b64 s[2:3], vcc
	s_cbranch_execz .LBB865_542
; %bb.539:
	v_bfe_u32 v11, v11, 24, 7
	s_movk_i32 s7, 0x7f
	v_cmp_ne_u32_e32 vcc, s7, v11
	v_mov_b32_e32 v25, 0x7f80
	s_and_saveexec_b64 s[8:9], vcc
	s_cbranch_execz .LBB865_541
; %bb.540:
	v_and_b32_e32 v25, 7, v10
	v_ffbh_u32_e32 v29, v25
	v_min_u32_e32 v29, 32, v29
	v_subrev_u32_e32 v30, 28, v29
	v_lshlrev_b64 v[30:31], v30, v[10:11]
	v_lshrrev_b32_e32 v27, 3, v11
	v_sub_u32_e32 v29, 29, v29
	v_and_b32_e32 v30, 7, v30
	v_cmp_gt_u32_e32 vcc, 8, v11
	v_cndmask_b32_e32 v11, v27, v29, vcc
	v_cndmask_b32_e32 v25, v25, v30, vcc
	v_lshlrev_b32_e32 v10, 24, v10
	v_bfrev_b32_e32 v27, 60
	v_lshlrev_b32_e32 v25, 20, v25
	v_and_b32_e32 v10, 0x80000000, v10
	v_lshl_add_u32 v11, v11, 23, v27
	v_or3_b32 v10, v10, v11, v25
	v_lshrrev_b32_e32 v25, 16, v10
.LBB865_541:
	s_or_b64 exec, exec, s[8:9]
.LBB865_542:
	s_or_b64 exec, exec, s[2:3]
.LBB865_543:
	s_or_b64 exec, exec, s[0:1]
	s_mov_b32 s0, 0x5040100
	v_perm_b32 v11, v21, v23, s0
	v_perm_b32 v10, v19, v20, s0
	ds_read_b128 v[30:33], v22 offset:2048
	v_perm_b32 v21, v25, v26, s0
	v_perm_b32 v20, v18, v24, s0
	s_waitcnt lgkmcnt(0)
	v_mfma_f32_16x16x16bf16_1k v[14:17], v[10:11], v[30:31], v[14:17]
	v_mov_b32_e32 v11, 0
	v_cmp_ne_u16_sdwa s[2:3], v12, v11 src0_sel:BYTE_0 src1_sel:DWORD
	v_mov_b32_e32 v18, 0
	v_mfma_f32_16x16x16bf16_1k v[14:17], v[20:21], v[32:33], v[14:17]
	s_and_saveexec_b64 s[0:1], s[2:3]
	s_cbranch_execz .LBB865_549
; %bb.544:
	s_movk_i32 s2, 0x80
	v_cmp_ne_u16_sdwa s[8:9], v12, s2 src0_sel:BYTE_0 src1_sel:DWORD
	v_mov_b32_e32 v18, 0xffff8000
	s_and_saveexec_b64 s[2:3], s[8:9]
	s_cbranch_execz .LBB865_548
; %bb.545:
	s_movk_i32 s7, 0x7f
	v_and_b32_e32 v10, 0x7f, v12
	v_cmp_ne_u32_e32 vcc, s7, v10
	v_mov_b32_e32 v18, 0x7f80
	s_and_saveexec_b64 s[8:9], vcc
	s_cbranch_execz .LBB865_547
; %bb.546:
	v_and_b32_e32 v20, 7, v12
	v_ffbh_u32_e32 v18, v20
	v_min_u32_e32 v23, 32, v18
	v_subrev_u32_e32 v18, 28, v23
	v_lshlrev_b64 v[18:19], v18, v[12:13]
	v_lshrrev_b32_e32 v21, 3, v10
	v_sub_u32_e32 v19, 29, v23
	v_and_b32_e32 v18, 7, v18
	v_cmp_gt_u32_e32 vcc, 8, v10
	v_cndmask_b32_e32 v10, v21, v19, vcc
	v_cndmask_b32_e32 v18, v20, v18, vcc
	v_lshlrev_b32_e32 v19, 24, v12
	v_bfrev_b32_e32 v20, 60
	v_lshlrev_b32_e32 v18, 20, v18
	v_and_b32_e32 v19, 0x80000000, v19
	v_lshl_add_u32 v10, v10, 23, v20
	v_or3_b32 v10, v19, v10, v18
	v_lshrrev_b32_e32 v18, 16, v10
.LBB865_547:
	s_or_b64 exec, exec, s[8:9]
.LBB865_548:
	s_or_b64 exec, exec, s[2:3]
.LBB865_549:
	s_or_b64 exec, exec, s[0:1]
	v_lshrrev_b16_e32 v10, 8, v12
	v_cmp_ne_u16_e32 vcc, 0, v10
	s_and_saveexec_b64 s[0:1], vcc
	s_cbranch_execz .LBB865_555
; %bb.550:
	s_movk_i32 s2, 0x80
	v_cmp_ne_u16_e32 vcc, s2, v10
	v_mov_b32_e32 v11, 0xffff8000
	s_and_saveexec_b64 s[2:3], vcc
	s_cbranch_execz .LBB865_554
; %bb.551:
	s_movk_i32 s7, 0x7f
	v_and_b32_e32 v19, 0x7f, v10
	v_cmp_ne_u32_e32 vcc, s7, v19
	v_mov_b32_e32 v11, 0x7f80
	s_and_saveexec_b64 s[8:9], vcc
	s_cbranch_execz .LBB865_553
; %bb.552:
	v_and_b32_e32 v20, 7, v10
	v_ffbh_u32_e32 v11, v20
	v_min_u32_e32 v23, 32, v11
	v_subrev_u32_e32 v11, 28, v23
	v_lshlrev_b64 v[10:11], v11, v[10:11]
	v_lshrrev_b32_e32 v21, 3, v19
	v_sub_u32_e32 v11, 29, v23
	v_and_b32_e32 v10, 7, v10
	v_cmp_gt_u32_e32 vcc, 8, v19
	v_cndmask_b32_e32 v11, v21, v11, vcc
	v_cndmask_b32_e32 v10, v20, v10, vcc
	v_lshlrev_b32_e32 v19, 16, v12
	v_bfrev_b32_e32 v20, 60
	v_lshlrev_b32_e32 v10, 20, v10
	v_and_b32_e32 v19, 0x80000000, v19
	v_lshl_add_u32 v11, v11, 23, v20
	v_or3_b32 v10, v19, v11, v10
	v_lshrrev_b32_e32 v11, 16, v10
.LBB865_553:
	s_or_b64 exec, exec, s[8:9]
.LBB865_554:
	s_or_b64 exec, exec, s[2:3]
.LBB865_555:
	s_or_b64 exec, exec, s[0:1]
	s_movk_i32 s0, 0xff
	v_and_b32_sdwa v21, v12, s0 dst_sel:DWORD dst_unused:UNUSED_PAD src0_sel:WORD_1 src1_sel:DWORD
	v_lshrrev_b32_e32 v10, 16, v12
	v_cmp_ne_u16_e32 vcc, 0, v21
	v_mov_b32_e32 v19, 0
	v_mov_b32_e32 v20, 0
	s_and_saveexec_b64 s[0:1], vcc
	s_cbranch_execz .LBB865_561
; %bb.556:
	s_movk_i32 s2, 0x80
	v_cmp_ne_u16_e32 vcc, s2, v21
	v_mov_b32_e32 v20, 0xffff8000
	s_and_saveexec_b64 s[2:3], vcc
	s_cbranch_execz .LBB865_560
; %bb.557:
	v_bfe_u32 v21, v12, 16, 7
	s_movk_i32 s7, 0x7f
	v_cmp_ne_u32_e32 vcc, s7, v21
	v_mov_b32_e32 v20, 0x7f80
	s_and_saveexec_b64 s[8:9], vcc
	s_cbranch_execz .LBB865_559
; %bb.558:
	v_and_b32_e32 v20, 7, v10
	v_ffbh_u32_e32 v24, v20
	v_min_u32_e32 v26, 32, v24
	v_subrev_u32_e32 v24, 28, v26
	v_lshlrev_b64 v[24:25], v24, v[10:11]
	v_lshrrev_b32_e32 v23, 3, v21
	v_sub_u32_e32 v10, 29, v26
	v_and_b32_e32 v24, 7, v24
	v_cmp_gt_u32_e32 vcc, 8, v21
	v_mov_b32_e32 v21, 24
	v_cndmask_b32_e32 v10, v23, v10, vcc
	v_cndmask_b32_e32 v20, v20, v24, vcc
	v_lshlrev_b32_sdwa v21, v21, v12 dst_sel:DWORD dst_unused:UNUSED_PAD src0_sel:DWORD src1_sel:WORD_1
	v_bfrev_b32_e32 v23, 60
	v_lshlrev_b32_e32 v20, 20, v20
	v_and_b32_e32 v21, 0x80000000, v21
	v_lshl_add_u32 v10, v10, 23, v23
	v_or3_b32 v10, v21, v10, v20
	v_lshrrev_b32_e32 v20, 16, v10
.LBB865_559:
	s_or_b64 exec, exec, s[8:9]
.LBB865_560:
	s_or_b64 exec, exec, s[2:3]
.LBB865_561:
	s_or_b64 exec, exec, s[0:1]
	s_mov_b32 s0, 0xffffff
	v_cmp_lt_u32_e32 vcc, s0, v12
	s_and_saveexec_b64 s[0:1], vcc
	s_cbranch_execz .LBB865_567
; %bb.562:
	v_lshrrev_b32_e32 v10, 24, v12
	s_movk_i32 s2, 0x80
	v_cmp_ne_u32_e32 vcc, s2, v10
	v_mov_b32_e32 v19, 0xffff8000
	s_and_saveexec_b64 s[2:3], vcc
	s_cbranch_execz .LBB865_566
; %bb.563:
	v_bfe_u32 v12, v12, 24, 7
	s_movk_i32 s7, 0x7f
	v_cmp_ne_u32_e32 vcc, s7, v12
	v_mov_b32_e32 v19, 0x7f80
	s_and_saveexec_b64 s[8:9], vcc
	s_cbranch_execz .LBB865_565
; %bb.564:
	v_and_b32_e32 v19, 7, v10
	v_ffbh_u32_e32 v23, v19
	v_min_u32_e32 v23, 32, v23
	v_subrev_u32_e32 v24, 28, v23
	v_lshlrev_b64 v[24:25], v24, v[10:11]
	v_lshrrev_b32_e32 v21, 3, v12
	v_sub_u32_e32 v23, 29, v23
	v_and_b32_e32 v24, 7, v24
	v_cmp_gt_u32_e32 vcc, 8, v12
	v_cndmask_b32_e32 v12, v21, v23, vcc
	v_cndmask_b32_e32 v19, v19, v24, vcc
	v_lshlrev_b32_e32 v10, 24, v10
	v_bfrev_b32_e32 v21, 60
	v_lshlrev_b32_e32 v19, 20, v19
	v_and_b32_e32 v10, 0x80000000, v10
	v_lshl_add_u32 v12, v12, 23, v21
	v_or3_b32 v10, v10, v12, v19
	v_lshrrev_b32_e32 v19, 16, v10
.LBB865_565:
	s_or_b64 exec, exec, s[8:9]
.LBB865_566:
	s_or_b64 exec, exec, s[2:3]
.LBB865_567:
	s_or_b64 exec, exec, s[0:1]
	v_mov_b32_e32 v12, 0
	v_cmp_ne_u16_sdwa s[2:3], v13, v12 src0_sel:BYTE_0 src1_sel:DWORD
	v_mov_b32_e32 v21, 0
	s_and_saveexec_b64 s[0:1], s[2:3]
	s_cbranch_execz .LBB865_573
; %bb.568:
	s_movk_i32 s2, 0x80
	v_cmp_ne_u16_sdwa s[8:9], v13, s2 src0_sel:BYTE_0 src1_sel:DWORD
	v_mov_b32_e32 v21, 0xffff8000
	s_and_saveexec_b64 s[2:3], s[8:9]
	s_cbranch_execz .LBB865_572
; %bb.569:
	s_movk_i32 s7, 0x7f
	v_and_b32_e32 v10, 0x7f, v13
	v_cmp_ne_u32_e32 vcc, s7, v10
	v_mov_b32_e32 v21, 0x7f80
	s_and_saveexec_b64 s[8:9], vcc
	s_cbranch_execz .LBB865_571
; %bb.570:
	v_and_b32_e32 v21, 7, v13
	v_ffbh_u32_e32 v25, v21
	v_min_u32_e32 v26, 32, v25
	v_mov_b32_e32 v24, v13
	v_subrev_u32_e32 v25, 28, v26
	v_lshlrev_b64 v[24:25], v25, v[24:25]
	v_lshrrev_b32_e32 v23, 3, v10
	v_sub_u32_e32 v25, 29, v26
	v_and_b32_e32 v24, 7, v24
	v_cmp_gt_u32_e32 vcc, 8, v10
	v_cndmask_b32_e32 v10, v23, v25, vcc
	v_cndmask_b32_e32 v21, v21, v24, vcc
	v_lshlrev_b32_e32 v23, 24, v13
	v_bfrev_b32_e32 v24, 60
	v_lshlrev_b32_e32 v21, 20, v21
	v_and_b32_e32 v23, 0x80000000, v23
	v_lshl_add_u32 v10, v10, 23, v24
	v_or3_b32 v10, v23, v10, v21
	v_lshrrev_b32_e32 v21, 16, v10
.LBB865_571:
	s_or_b64 exec, exec, s[8:9]
.LBB865_572:
	s_or_b64 exec, exec, s[2:3]
.LBB865_573:
	s_or_b64 exec, exec, s[0:1]
	v_lshrrev_b16_e32 v10, 8, v13
	v_cmp_ne_u16_e32 vcc, 0, v10
	s_and_saveexec_b64 s[0:1], vcc
	s_cbranch_execz .LBB865_579
; %bb.574:
	s_movk_i32 s2, 0x80
	v_cmp_ne_u16_e32 vcc, s2, v10
	v_mov_b32_e32 v12, 0xffff8000
	s_and_saveexec_b64 s[2:3], vcc
	s_cbranch_execz .LBB865_578
; %bb.575:
	s_movk_i32 s7, 0x7f
	v_and_b32_e32 v23, 0x7f, v10
	v_cmp_ne_u32_e32 vcc, s7, v23
	v_mov_b32_e32 v12, 0x7f80
	s_and_saveexec_b64 s[8:9], vcc
	s_cbranch_execz .LBB865_577
; %bb.576:
	v_and_b32_e32 v12, 7, v10
	v_ffbh_u32_e32 v24, v12
	v_min_u32_e32 v27, 32, v24
	v_subrev_u32_e32 v24, 28, v27
	v_lshlrev_b64 v[24:25], v24, v[10:11]
	v_lshrrev_b32_e32 v26, 3, v23
	v_sub_u32_e32 v10, 29, v27
	v_and_b32_e32 v24, 7, v24
	v_cmp_gt_u32_e32 vcc, 8, v23
	v_cndmask_b32_e32 v10, v26, v10, vcc
	v_cndmask_b32_e32 v12, v12, v24, vcc
	v_lshlrev_b32_e32 v23, 16, v13
	v_bfrev_b32_e32 v24, 60
	v_lshlrev_b32_e32 v12, 20, v12
	v_and_b32_e32 v23, 0x80000000, v23
	v_lshl_add_u32 v10, v10, 23, v24
	v_or3_b32 v10, v23, v10, v12
	v_lshrrev_b32_e32 v12, 16, v10
.LBB865_577:
	s_or_b64 exec, exec, s[8:9]
.LBB865_578:
	s_or_b64 exec, exec, s[2:3]
.LBB865_579:
	s_or_b64 exec, exec, s[0:1]
	s_movk_i32 s0, 0xff
	v_and_b32_sdwa v25, v13, s0 dst_sel:DWORD dst_unused:UNUSED_PAD src0_sel:WORD_1 src1_sel:DWORD
	v_lshrrev_b32_e32 v10, 16, v13
	v_cmp_ne_u16_e32 vcc, 0, v25
	v_mov_b32_e32 v23, 0
	v_mov_b32_e32 v24, 0
	s_and_saveexec_b64 s[0:1], vcc
	s_cbranch_execz .LBB865_585
; %bb.580:
	s_movk_i32 s2, 0x80
	v_cmp_ne_u16_e32 vcc, s2, v25
	v_mov_b32_e32 v24, 0xffff8000
	s_and_saveexec_b64 s[2:3], vcc
	s_cbranch_execz .LBB865_584
; %bb.581:
	v_bfe_u32 v25, v13, 16, 7
	s_movk_i32 s7, 0x7f
	v_cmp_ne_u32_e32 vcc, s7, v25
	v_mov_b32_e32 v24, 0x7f80
	s_and_saveexec_b64 s[8:9], vcc
	s_cbranch_execz .LBB865_583
; %bb.582:
	v_and_b32_e32 v24, 7, v10
	v_ffbh_u32_e32 v26, v24
	v_min_u32_e32 v30, 32, v26
	v_subrev_u32_e32 v26, 28, v30
	v_lshlrev_b64 v[26:27], v26, v[10:11]
	v_lshrrev_b32_e32 v29, 3, v25
	v_sub_u32_e32 v10, 29, v30
	v_and_b32_e32 v26, 7, v26
	v_cmp_gt_u32_e32 vcc, 8, v25
	v_mov_b32_e32 v25, 24
	v_cndmask_b32_e32 v10, v29, v10, vcc
	v_cndmask_b32_e32 v24, v24, v26, vcc
	v_lshlrev_b32_sdwa v25, v25, v13 dst_sel:DWORD dst_unused:UNUSED_PAD src0_sel:DWORD src1_sel:WORD_1
	v_bfrev_b32_e32 v26, 60
	v_lshlrev_b32_e32 v24, 20, v24
	v_and_b32_e32 v25, 0x80000000, v25
	v_lshl_add_u32 v10, v10, 23, v26
	v_or3_b32 v10, v25, v10, v24
	v_lshrrev_b32_e32 v24, 16, v10
.LBB865_583:
	s_or_b64 exec, exec, s[8:9]
.LBB865_584:
	s_or_b64 exec, exec, s[2:3]
.LBB865_585:
	s_or_b64 exec, exec, s[0:1]
	s_mov_b32 s0, 0xffffff
	v_cmp_lt_u32_e32 vcc, s0, v13
	s_and_saveexec_b64 s[0:1], vcc
	s_cbranch_execz .LBB865_591
; %bb.586:
	v_lshrrev_b32_e32 v10, 24, v13
	s_movk_i32 s2, 0x80
	v_cmp_ne_u32_e32 vcc, s2, v10
	v_mov_b32_e32 v23, 0xffff8000
	s_and_saveexec_b64 s[2:3], vcc
	s_cbranch_execz .LBB865_590
; %bb.587:
	v_bfe_u32 v13, v13, 24, 7
	s_movk_i32 s7, 0x7f
	v_cmp_ne_u32_e32 vcc, s7, v13
	v_mov_b32_e32 v23, 0x7f80
	s_and_saveexec_b64 s[8:9], vcc
	s_cbranch_execz .LBB865_589
; %bb.588:
	v_and_b32_e32 v23, 7, v10
	v_ffbh_u32_e32 v26, v23
	v_min_u32_e32 v29, 32, v26
	v_subrev_u32_e32 v26, 28, v29
	v_lshlrev_b64 v[26:27], v26, v[10:11]
	v_lshrrev_b32_e32 v25, 3, v13
	v_sub_u32_e32 v27, 29, v29
	v_and_b32_e32 v26, 7, v26
	v_cmp_gt_u32_e32 vcc, 8, v13
	v_cndmask_b32_e32 v13, v25, v27, vcc
	v_cndmask_b32_e32 v23, v23, v26, vcc
	v_lshlrev_b32_e32 v10, 24, v10
	v_bfrev_b32_e32 v25, 60
	v_lshlrev_b32_e32 v23, 20, v23
	v_and_b32_e32 v10, 0x80000000, v10
	v_lshl_add_u32 v13, v13, 23, v25
	v_or3_b32 v10, v10, v13, v23
	v_lshrrev_b32_e32 v23, 16, v10
.LBB865_589:
	s_or_b64 exec, exec, s[8:9]
.LBB865_590:
	s_or_b64 exec, exec, s[2:3]
.LBB865_591:
	s_or_b64 exec, exec, s[0:1]
	s_mov_b32 s0, 0x5040100
	v_perm_b32 v19, v19, v20, s0
	v_perm_b32 v18, v11, v18, s0
	ds_read_b128 v[30:33], v22 offset:2064
	v_perm_b32 v11, v23, v24, s0
	v_perm_b32 v10, v12, v21, s0
	s_waitcnt lgkmcnt(0)
	v_mfma_f32_16x16x16bf16_1k v[34:37], v[18:19], v[30:31], v[14:17]
	s_nop 6
	v_mov_b32_e32 v15, 0
	s_waitcnt vmcnt(1)
	v_cmp_ne_u16_sdwa s[2:3], v6, v15 src0_sel:BYTE_0 src1_sel:DWORD
	v_mfma_f32_16x16x16bf16_1k v[10:13], v[10:11], v[32:33], v[34:37]
	v_mov_b32_e32 v16, 0
	s_and_saveexec_b64 s[0:1], s[2:3]
	s_cbranch_execz .LBB865_597
; %bb.592:
	s_movk_i32 s2, 0x80
	v_cmp_ne_u16_sdwa s[8:9], v6, s2 src0_sel:BYTE_0 src1_sel:DWORD
	v_mov_b32_e32 v16, 0xffff8000
	s_and_saveexec_b64 s[2:3], s[8:9]
	s_cbranch_execz .LBB865_596
; %bb.593:
	s_movk_i32 s7, 0x7f
	v_and_b32_e32 v14, 0x7f, v6
	v_cmp_ne_u32_e32 vcc, s7, v14
	v_mov_b32_e32 v16, 0x7f80
	s_and_saveexec_b64 s[8:9], vcc
	s_cbranch_execz .LBB865_595
; %bb.594:
	v_and_b32_e32 v18, 7, v6
	v_ffbh_u32_e32 v16, v18
	v_min_u32_e32 v20, 32, v16
	v_subrev_u32_e32 v16, 28, v20
	v_lshlrev_b64 v[16:17], v16, v[6:7]
	v_lshrrev_b32_e32 v19, 3, v14
	v_sub_u32_e32 v17, 29, v20
	v_and_b32_e32 v16, 7, v16
	v_cmp_gt_u32_e32 vcc, 8, v14
	v_cndmask_b32_e32 v14, v19, v17, vcc
	v_cndmask_b32_e32 v16, v18, v16, vcc
	v_lshlrev_b32_e32 v17, 24, v6
	v_bfrev_b32_e32 v18, 60
	v_lshlrev_b32_e32 v16, 20, v16
	v_and_b32_e32 v17, 0x80000000, v17
	v_lshl_add_u32 v14, v14, 23, v18
	v_or3_b32 v14, v17, v14, v16
	v_lshrrev_b32_e32 v16, 16, v14
.LBB865_595:
	s_or_b64 exec, exec, s[8:9]
.LBB865_596:
	s_or_b64 exec, exec, s[2:3]
.LBB865_597:
	s_or_b64 exec, exec, s[0:1]
	v_lshrrev_b16_e32 v14, 8, v6
	v_cmp_ne_u16_e32 vcc, 0, v14
	s_and_saveexec_b64 s[0:1], vcc
	s_cbranch_execz .LBB865_603
; %bb.598:
	s_movk_i32 s2, 0x80
	v_cmp_ne_u16_e32 vcc, s2, v14
	v_mov_b32_e32 v15, 0xffff8000
	s_and_saveexec_b64 s[2:3], vcc
	s_cbranch_execz .LBB865_602
; %bb.599:
	s_movk_i32 s7, 0x7f
	v_and_b32_e32 v17, 0x7f, v14
	v_cmp_ne_u32_e32 vcc, s7, v17
	v_mov_b32_e32 v15, 0x7f80
	s_and_saveexec_b64 s[8:9], vcc
	s_cbranch_execz .LBB865_601
; %bb.600:
	v_and_b32_e32 v18, 7, v14
	v_ffbh_u32_e32 v15, v18
	v_min_u32_e32 v20, 32, v15
	v_subrev_u32_e32 v15, 28, v20
	v_lshlrev_b64 v[14:15], v15, v[14:15]
	v_lshrrev_b32_e32 v19, 3, v17
	v_sub_u32_e32 v15, 29, v20
	v_and_b32_e32 v14, 7, v14
	v_cmp_gt_u32_e32 vcc, 8, v17
	v_cndmask_b32_e32 v15, v19, v15, vcc
	v_cndmask_b32_e32 v14, v18, v14, vcc
	v_lshlrev_b32_e32 v17, 16, v6
	v_bfrev_b32_e32 v18, 60
	v_lshlrev_b32_e32 v14, 20, v14
	v_and_b32_e32 v17, 0x80000000, v17
	v_lshl_add_u32 v15, v15, 23, v18
	v_or3_b32 v14, v17, v15, v14
	v_lshrrev_b32_e32 v15, 16, v14
.LBB865_601:
	s_or_b64 exec, exec, s[8:9]
.LBB865_602:
	s_or_b64 exec, exec, s[2:3]
.LBB865_603:
	s_or_b64 exec, exec, s[0:1]
	s_movk_i32 s0, 0xff
	v_and_b32_sdwa v19, v6, s0 dst_sel:DWORD dst_unused:UNUSED_PAD src0_sel:WORD_1 src1_sel:DWORD
	v_lshrrev_b32_e32 v14, 16, v6
	v_cmp_ne_u16_e32 vcc, 0, v19
	v_mov_b32_e32 v17, 0
	v_mov_b32_e32 v18, 0
	s_and_saveexec_b64 s[0:1], vcc
	s_cbranch_execz .LBB865_609
; %bb.604:
	s_movk_i32 s2, 0x80
	v_cmp_ne_u16_e32 vcc, s2, v19
	v_mov_b32_e32 v18, 0xffff8000
	s_and_saveexec_b64 s[2:3], vcc
	s_cbranch_execz .LBB865_608
; %bb.605:
	v_bfe_u32 v19, v6, 16, 7
	s_movk_i32 s7, 0x7f
	v_cmp_ne_u32_e32 vcc, s7, v19
	v_mov_b32_e32 v18, 0x7f80
	s_and_saveexec_b64 s[8:9], vcc
	s_cbranch_execz .LBB865_607
; %bb.606:
	v_and_b32_e32 v18, 7, v14
	v_ffbh_u32_e32 v20, v18
	v_min_u32_e32 v24, 32, v20
	v_subrev_u32_e32 v20, 28, v24
	v_lshlrev_b64 v[20:21], v20, v[14:15]
	v_lshrrev_b32_e32 v23, 3, v19
	v_sub_u32_e32 v14, 29, v24
	v_and_b32_e32 v20, 7, v20
	v_cmp_gt_u32_e32 vcc, 8, v19
	v_mov_b32_e32 v19, 24
	v_cndmask_b32_e32 v14, v23, v14, vcc
	v_cndmask_b32_e32 v18, v18, v20, vcc
	v_lshlrev_b32_sdwa v19, v19, v6 dst_sel:DWORD dst_unused:UNUSED_PAD src0_sel:DWORD src1_sel:WORD_1
	v_bfrev_b32_e32 v20, 60
	v_lshlrev_b32_e32 v18, 20, v18
	v_and_b32_e32 v19, 0x80000000, v19
	v_lshl_add_u32 v14, v14, 23, v20
	v_or3_b32 v14, v19, v14, v18
	v_lshrrev_b32_e32 v18, 16, v14
.LBB865_607:
	s_or_b64 exec, exec, s[8:9]
.LBB865_608:
	s_or_b64 exec, exec, s[2:3]
.LBB865_609:
	s_or_b64 exec, exec, s[0:1]
	s_mov_b32 s0, 0xffffff
	v_cmp_lt_u32_e32 vcc, s0, v6
	s_and_saveexec_b64 s[0:1], vcc
	s_cbranch_execz .LBB865_615
; %bb.610:
	v_lshrrev_b32_e32 v14, 24, v6
	s_movk_i32 s2, 0x80
	v_cmp_ne_u32_e32 vcc, s2, v14
	v_mov_b32_e32 v17, 0xffff8000
	s_and_saveexec_b64 s[2:3], vcc
	s_cbranch_execz .LBB865_614
; %bb.611:
	v_bfe_u32 v6, v6, 24, 7
	s_movk_i32 s7, 0x7f
	v_cmp_ne_u32_e32 vcc, s7, v6
	v_mov_b32_e32 v17, 0x7f80
	s_and_saveexec_b64 s[8:9], vcc
	s_cbranch_execz .LBB865_613
; %bb.612:
	v_and_b32_e32 v17, 7, v14
	v_ffbh_u32_e32 v20, v17
	v_min_u32_e32 v23, 32, v20
	v_subrev_u32_e32 v20, 28, v23
	v_lshlrev_b64 v[20:21], v20, v[14:15]
	v_lshrrev_b32_e32 v19, 3, v6
	v_sub_u32_e32 v21, 29, v23
	v_and_b32_e32 v20, 7, v20
	v_cmp_gt_u32_e32 vcc, 8, v6
	v_cndmask_b32_e32 v6, v19, v21, vcc
	v_cndmask_b32_e32 v17, v17, v20, vcc
	v_lshlrev_b32_e32 v14, 24, v14
	v_bfrev_b32_e32 v19, 60
	v_lshlrev_b32_e32 v17, 20, v17
	v_and_b32_e32 v14, 0x80000000, v14
	v_lshl_add_u32 v6, v6, 23, v19
	v_or3_b32 v6, v14, v6, v17
	v_lshrrev_b32_e32 v17, 16, v6
.LBB865_613:
	s_or_b64 exec, exec, s[8:9]
.LBB865_614:
	s_or_b64 exec, exec, s[2:3]
.LBB865_615:
	s_or_b64 exec, exec, s[0:1]
	v_mov_b32_e32 v14, 0
	v_cmp_ne_u16_sdwa s[2:3], v7, v14 src0_sel:BYTE_0 src1_sel:DWORD
	v_mov_b32_e32 v19, 0
	s_and_saveexec_b64 s[0:1], s[2:3]
	s_cbranch_execz .LBB865_621
; %bb.616:
	s_movk_i32 s2, 0x80
	v_cmp_ne_u16_sdwa s[8:9], v7, s2 src0_sel:BYTE_0 src1_sel:DWORD
	v_mov_b32_e32 v19, 0xffff8000
	s_and_saveexec_b64 s[2:3], s[8:9]
	s_cbranch_execz .LBB865_620
; %bb.617:
	s_movk_i32 s7, 0x7f
	v_and_b32_e32 v6, 0x7f, v7
	v_cmp_ne_u32_e32 vcc, s7, v6
	v_mov_b32_e32 v19, 0x7f80
	s_and_saveexec_b64 s[8:9], vcc
	s_cbranch_execz .LBB865_619
; %bb.618:
	v_and_b32_e32 v19, 7, v7
	v_ffbh_u32_e32 v21, v19
	v_min_u32_e32 v24, 32, v21
	v_mov_b32_e32 v20, v7
	v_subrev_u32_e32 v21, 28, v24
	v_lshlrev_b64 v[20:21], v21, v[20:21]
	v_lshrrev_b32_e32 v23, 3, v6
	v_sub_u32_e32 v21, 29, v24
	v_and_b32_e32 v20, 7, v20
	v_cmp_gt_u32_e32 vcc, 8, v6
	v_cndmask_b32_e32 v6, v23, v21, vcc
	v_cndmask_b32_e32 v19, v19, v20, vcc
	v_lshlrev_b32_e32 v20, 24, v7
	v_bfrev_b32_e32 v21, 60
	v_lshlrev_b32_e32 v19, 20, v19
	v_and_b32_e32 v20, 0x80000000, v20
	v_lshl_add_u32 v6, v6, 23, v21
	v_or3_b32 v6, v20, v6, v19
	v_lshrrev_b32_e32 v19, 16, v6
.LBB865_619:
	s_or_b64 exec, exec, s[8:9]
.LBB865_620:
	s_or_b64 exec, exec, s[2:3]
.LBB865_621:
	s_or_b64 exec, exec, s[0:1]
	v_lshrrev_b16_e32 v6, 8, v7
	v_cmp_ne_u16_e32 vcc, 0, v6
	s_and_saveexec_b64 s[0:1], vcc
	s_cbranch_execz .LBB865_627
; %bb.622:
	s_movk_i32 s2, 0x80
	v_cmp_ne_u16_e32 vcc, s2, v6
	v_mov_b32_e32 v14, 0xffff8000
	s_and_saveexec_b64 s[2:3], vcc
	s_cbranch_execz .LBB865_626
; %bb.623:
	s_movk_i32 s7, 0x7f
	v_and_b32_e32 v20, 0x7f, v6
	v_cmp_ne_u32_e32 vcc, s7, v20
	v_mov_b32_e32 v14, 0x7f80
	s_and_saveexec_b64 s[8:9], vcc
	s_cbranch_execz .LBB865_625
; %bb.624:
	v_and_b32_e32 v14, 7, v6
	v_ffbh_u32_e32 v23, v14
	v_min_u32_e32 v23, 32, v23
	v_subrev_u32_e32 v24, 28, v23
	v_lshlrev_b64 v[24:25], v24, v[6:7]
	v_lshrrev_b32_e32 v21, 3, v20
	v_sub_u32_e32 v6, 29, v23
	v_and_b32_e32 v23, 7, v24
	v_cmp_gt_u32_e32 vcc, 8, v20
	v_cndmask_b32_e32 v6, v21, v6, vcc
	v_cndmask_b32_e32 v14, v14, v23, vcc
	v_lshlrev_b32_e32 v20, 16, v7
	v_bfrev_b32_e32 v21, 60
	v_lshlrev_b32_e32 v14, 20, v14
	v_and_b32_e32 v20, 0x80000000, v20
	v_lshl_add_u32 v6, v6, 23, v21
	v_or3_b32 v6, v20, v6, v14
	v_lshrrev_b32_e32 v14, 16, v6
.LBB865_625:
	s_or_b64 exec, exec, s[8:9]
.LBB865_626:
	s_or_b64 exec, exec, s[2:3]
.LBB865_627:
	s_or_b64 exec, exec, s[0:1]
	s_movk_i32 s0, 0xff
	v_and_b32_sdwa v23, v7, s0 dst_sel:DWORD dst_unused:UNUSED_PAD src0_sel:WORD_1 src1_sel:DWORD
	v_lshrrev_b32_e32 v6, 16, v7
	v_cmp_ne_u16_e32 vcc, 0, v23
	v_mov_b32_e32 v20, 0
	v_mov_b32_e32 v21, 0
	s_and_saveexec_b64 s[0:1], vcc
	s_cbranch_execz .LBB865_633
; %bb.628:
	s_movk_i32 s2, 0x80
	v_cmp_ne_u16_e32 vcc, s2, v23
	v_mov_b32_e32 v21, 0xffff8000
	s_and_saveexec_b64 s[2:3], vcc
	s_cbranch_execz .LBB865_632
; %bb.629:
	v_bfe_u32 v23, v7, 16, 7
	s_movk_i32 s7, 0x7f
	v_cmp_ne_u32_e32 vcc, s7, v23
	v_mov_b32_e32 v21, 0x7f80
	s_and_saveexec_b64 s[8:9], vcc
	s_cbranch_execz .LBB865_631
; %bb.630:
	v_and_b32_e32 v21, 7, v6
	v_ffbh_u32_e32 v24, v21
	v_min_u32_e32 v27, 32, v24
	v_subrev_u32_e32 v24, 28, v27
	v_lshlrev_b64 v[24:25], v24, v[6:7]
	v_lshrrev_b32_e32 v26, 3, v23
	v_sub_u32_e32 v6, 29, v27
	v_and_b32_e32 v24, 7, v24
	v_cmp_gt_u32_e32 vcc, 8, v23
	v_mov_b32_e32 v23, 24
	v_cndmask_b32_e32 v6, v26, v6, vcc
	v_cndmask_b32_e32 v21, v21, v24, vcc
	v_lshlrev_b32_sdwa v23, v23, v7 dst_sel:DWORD dst_unused:UNUSED_PAD src0_sel:DWORD src1_sel:WORD_1
	v_bfrev_b32_e32 v24, 60
	v_lshlrev_b32_e32 v21, 20, v21
	v_and_b32_e32 v23, 0x80000000, v23
	v_lshl_add_u32 v6, v6, 23, v24
	v_or3_b32 v6, v23, v6, v21
	v_lshrrev_b32_e32 v21, 16, v6
.LBB865_631:
	s_or_b64 exec, exec, s[8:9]
.LBB865_632:
	s_or_b64 exec, exec, s[2:3]
.LBB865_633:
	s_or_b64 exec, exec, s[0:1]
	s_mov_b32 s0, 0xffffff
	v_cmp_lt_u32_e32 vcc, s0, v7
	s_and_saveexec_b64 s[0:1], vcc
	s_cbranch_execz .LBB865_639
; %bb.634:
	v_lshrrev_b32_e32 v6, 24, v7
	s_movk_i32 s2, 0x80
	v_cmp_ne_u32_e32 vcc, s2, v6
	v_mov_b32_e32 v20, 0xffff8000
	s_and_saveexec_b64 s[2:3], vcc
	s_cbranch_execz .LBB865_638
; %bb.635:
	v_bfe_u32 v7, v7, 24, 7
	s_movk_i32 s7, 0x7f
	v_cmp_ne_u32_e32 vcc, s7, v7
	v_mov_b32_e32 v20, 0x7f80
	s_and_saveexec_b64 s[8:9], vcc
	s_cbranch_execz .LBB865_637
; %bb.636:
	v_and_b32_e32 v20, 7, v6
	v_ffbh_u32_e32 v24, v20
	v_min_u32_e32 v26, 32, v24
	v_subrev_u32_e32 v24, 28, v26
	v_lshlrev_b64 v[24:25], v24, v[6:7]
	v_lshrrev_b32_e32 v23, 3, v7
	v_sub_u32_e32 v25, 29, v26
	v_and_b32_e32 v24, 7, v24
	v_cmp_gt_u32_e32 vcc, 8, v7
	v_cndmask_b32_e32 v7, v23, v25, vcc
	v_cndmask_b32_e32 v20, v20, v24, vcc
	v_lshlrev_b32_e32 v6, 24, v6
	v_bfrev_b32_e32 v23, 60
	v_lshlrev_b32_e32 v20, 20, v20
	v_and_b32_e32 v6, 0x80000000, v6
	v_lshl_add_u32 v7, v7, 23, v23
	v_or3_b32 v6, v6, v7, v20
	v_lshrrev_b32_e32 v20, 16, v6
.LBB865_637:
	s_or_b64 exec, exec, s[8:9]
.LBB865_638:
	s_or_b64 exec, exec, s[2:3]
.LBB865_639:
	s_or_b64 exec, exec, s[0:1]
	s_mov_b32 s0, 0x5040100
	v_perm_b32 v7, v17, v18, s0
	v_perm_b32 v6, v15, v16, s0
	ds_read_b128 v[24:27], v22 offset:4096
	v_perm_b32 v17, v20, v21, s0
	v_perm_b32 v16, v14, v19, s0
	s_waitcnt lgkmcnt(0)
	v_mfma_f32_16x16x16bf16_1k v[10:13], v[6:7], v[24:25], v[10:13]
	v_mov_b32_e32 v7, 0
	v_cmp_ne_u16_sdwa s[2:3], v8, v7 src0_sel:BYTE_0 src1_sel:DWORD
	v_mov_b32_e32 v14, 0
	v_mfma_f32_16x16x16bf16_1k v[10:13], v[16:17], v[26:27], v[10:13]
	s_and_saveexec_b64 s[0:1], s[2:3]
	s_cbranch_execz .LBB865_645
; %bb.640:
	s_movk_i32 s2, 0x80
	v_cmp_ne_u16_sdwa s[8:9], v8, s2 src0_sel:BYTE_0 src1_sel:DWORD
	v_mov_b32_e32 v14, 0xffff8000
	s_and_saveexec_b64 s[2:3], s[8:9]
	s_cbranch_execz .LBB865_644
; %bb.641:
	s_movk_i32 s7, 0x7f
	v_and_b32_e32 v6, 0x7f, v8
	v_cmp_ne_u32_e32 vcc, s7, v6
	v_mov_b32_e32 v14, 0x7f80
	s_and_saveexec_b64 s[8:9], vcc
	s_cbranch_execz .LBB865_643
; %bb.642:
	v_and_b32_e32 v16, 7, v8
	v_ffbh_u32_e32 v14, v16
	v_min_u32_e32 v18, 32, v14
	v_subrev_u32_e32 v14, 28, v18
	v_lshlrev_b64 v[14:15], v14, v[8:9]
	v_lshrrev_b32_e32 v17, 3, v6
	v_sub_u32_e32 v15, 29, v18
	v_and_b32_e32 v14, 7, v14
	v_cmp_gt_u32_e32 vcc, 8, v6
	v_cndmask_b32_e32 v6, v17, v15, vcc
	v_cndmask_b32_e32 v14, v16, v14, vcc
	v_lshlrev_b32_e32 v15, 24, v8
	v_bfrev_b32_e32 v16, 60
	v_lshlrev_b32_e32 v14, 20, v14
	v_and_b32_e32 v15, 0x80000000, v15
	v_lshl_add_u32 v6, v6, 23, v16
	v_or3_b32 v6, v15, v6, v14
	v_lshrrev_b32_e32 v14, 16, v6
.LBB865_643:
	s_or_b64 exec, exec, s[8:9]
.LBB865_644:
	s_or_b64 exec, exec, s[2:3]
.LBB865_645:
	s_or_b64 exec, exec, s[0:1]
	v_lshrrev_b16_e32 v6, 8, v8
	v_cmp_ne_u16_e32 vcc, 0, v6
	s_and_saveexec_b64 s[0:1], vcc
	s_cbranch_execz .LBB865_651
; %bb.646:
	s_movk_i32 s2, 0x80
	v_cmp_ne_u16_e32 vcc, s2, v6
	v_mov_b32_e32 v7, 0xffff8000
	s_and_saveexec_b64 s[2:3], vcc
	s_cbranch_execz .LBB865_650
; %bb.647:
	s_movk_i32 s7, 0x7f
	v_and_b32_e32 v15, 0x7f, v6
	v_cmp_ne_u32_e32 vcc, s7, v15
	v_mov_b32_e32 v7, 0x7f80
	s_and_saveexec_b64 s[8:9], vcc
	s_cbranch_execz .LBB865_649
; %bb.648:
	v_and_b32_e32 v16, 7, v6
	v_ffbh_u32_e32 v7, v16
	v_min_u32_e32 v18, 32, v7
	v_subrev_u32_e32 v7, 28, v18
	v_lshlrev_b64 v[6:7], v7, v[6:7]
	v_lshrrev_b32_e32 v17, 3, v15
	v_sub_u32_e32 v7, 29, v18
	v_and_b32_e32 v6, 7, v6
	v_cmp_gt_u32_e32 vcc, 8, v15
	v_cndmask_b32_e32 v7, v17, v7, vcc
	v_cndmask_b32_e32 v6, v16, v6, vcc
	v_lshlrev_b32_e32 v15, 16, v8
	v_bfrev_b32_e32 v16, 60
	v_lshlrev_b32_e32 v6, 20, v6
	v_and_b32_e32 v15, 0x80000000, v15
	v_lshl_add_u32 v7, v7, 23, v16
	v_or3_b32 v6, v15, v7, v6
	v_lshrrev_b32_e32 v7, 16, v6
.LBB865_649:
	s_or_b64 exec, exec, s[8:9]
.LBB865_650:
	s_or_b64 exec, exec, s[2:3]
.LBB865_651:
	s_or_b64 exec, exec, s[0:1]
	s_movk_i32 s0, 0xff
	v_and_b32_sdwa v17, v8, s0 dst_sel:DWORD dst_unused:UNUSED_PAD src0_sel:WORD_1 src1_sel:DWORD
	v_lshrrev_b32_e32 v6, 16, v8
	v_cmp_ne_u16_e32 vcc, 0, v17
	v_mov_b32_e32 v15, 0
	v_mov_b32_e32 v16, 0
	s_and_saveexec_b64 s[0:1], vcc
	s_cbranch_execz .LBB865_657
; %bb.652:
	s_movk_i32 s2, 0x80
	v_cmp_ne_u16_e32 vcc, s2, v17
	v_mov_b32_e32 v16, 0xffff8000
	s_and_saveexec_b64 s[2:3], vcc
	s_cbranch_execz .LBB865_656
; %bb.653:
	v_bfe_u32 v17, v8, 16, 7
	s_movk_i32 s7, 0x7f
	v_cmp_ne_u32_e32 vcc, s7, v17
	v_mov_b32_e32 v16, 0x7f80
	s_and_saveexec_b64 s[8:9], vcc
	s_cbranch_execz .LBB865_655
; %bb.654:
	v_and_b32_e32 v16, 7, v6
	v_ffbh_u32_e32 v18, v16
	v_min_u32_e32 v21, 32, v18
	v_subrev_u32_e32 v18, 28, v21
	v_lshlrev_b64 v[18:19], v18, v[6:7]
	v_lshrrev_b32_e32 v20, 3, v17
	v_sub_u32_e32 v6, 29, v21
	v_and_b32_e32 v18, 7, v18
	v_cmp_gt_u32_e32 vcc, 8, v17
	v_mov_b32_e32 v17, 24
	v_cndmask_b32_e32 v6, v20, v6, vcc
	v_cndmask_b32_e32 v16, v16, v18, vcc
	v_lshlrev_b32_sdwa v17, v17, v8 dst_sel:DWORD dst_unused:UNUSED_PAD src0_sel:DWORD src1_sel:WORD_1
	v_bfrev_b32_e32 v18, 60
	v_lshlrev_b32_e32 v16, 20, v16
	v_and_b32_e32 v17, 0x80000000, v17
	v_lshl_add_u32 v6, v6, 23, v18
	v_or3_b32 v6, v17, v6, v16
	v_lshrrev_b32_e32 v16, 16, v6
.LBB865_655:
	s_or_b64 exec, exec, s[8:9]
.LBB865_656:
	s_or_b64 exec, exec, s[2:3]
.LBB865_657:
	s_or_b64 exec, exec, s[0:1]
	s_mov_b32 s0, 0xffffff
	v_cmp_lt_u32_e32 vcc, s0, v8
	s_and_saveexec_b64 s[0:1], vcc
	s_cbranch_execz .LBB865_663
; %bb.658:
	v_lshrrev_b32_e32 v6, 24, v8
	s_movk_i32 s2, 0x80
	v_cmp_ne_u32_e32 vcc, s2, v6
	v_mov_b32_e32 v15, 0xffff8000
	s_and_saveexec_b64 s[2:3], vcc
	s_cbranch_execz .LBB865_662
; %bb.659:
	v_bfe_u32 v8, v8, 24, 7
	s_movk_i32 s7, 0x7f
	v_cmp_ne_u32_e32 vcc, s7, v8
	v_mov_b32_e32 v15, 0x7f80
	s_and_saveexec_b64 s[8:9], vcc
	s_cbranch_execz .LBB865_661
; %bb.660:
	v_and_b32_e32 v15, 7, v6
	v_ffbh_u32_e32 v18, v15
	v_min_u32_e32 v20, 32, v18
	v_subrev_u32_e32 v18, 28, v20
	v_lshlrev_b64 v[18:19], v18, v[6:7]
	v_lshrrev_b32_e32 v17, 3, v8
	v_sub_u32_e32 v19, 29, v20
	v_and_b32_e32 v18, 7, v18
	v_cmp_gt_u32_e32 vcc, 8, v8
	v_cndmask_b32_e32 v8, v17, v19, vcc
	v_cndmask_b32_e32 v15, v15, v18, vcc
	v_lshlrev_b32_e32 v6, 24, v6
	v_bfrev_b32_e32 v17, 60
	v_lshlrev_b32_e32 v15, 20, v15
	v_and_b32_e32 v6, 0x80000000, v6
	v_lshl_add_u32 v8, v8, 23, v17
	v_or3_b32 v6, v6, v8, v15
	v_lshrrev_b32_e32 v15, 16, v6
.LBB865_661:
	s_or_b64 exec, exec, s[8:9]
.LBB865_662:
	s_or_b64 exec, exec, s[2:3]
.LBB865_663:
	s_or_b64 exec, exec, s[0:1]
	v_mov_b32_e32 v8, 0
	v_cmp_ne_u16_sdwa s[2:3], v9, v8 src0_sel:BYTE_0 src1_sel:DWORD
	v_mov_b32_e32 v17, 0
	s_and_saveexec_b64 s[0:1], s[2:3]
	s_cbranch_execz .LBB865_669
; %bb.664:
	s_movk_i32 s2, 0x80
	v_cmp_ne_u16_sdwa s[8:9], v9, s2 src0_sel:BYTE_0 src1_sel:DWORD
	v_mov_b32_e32 v17, 0xffff8000
	s_and_saveexec_b64 s[2:3], s[8:9]
	s_cbranch_execz .LBB865_668
; %bb.665:
	s_movk_i32 s7, 0x7f
	v_and_b32_e32 v6, 0x7f, v9
	v_cmp_ne_u32_e32 vcc, s7, v6
	v_mov_b32_e32 v17, 0x7f80
	s_and_saveexec_b64 s[8:9], vcc
	s_cbranch_execz .LBB865_667
; %bb.666:
	v_and_b32_e32 v17, 7, v9
	v_ffbh_u32_e32 v19, v17
	v_min_u32_e32 v21, 32, v19
	v_mov_b32_e32 v18, v9
	v_subrev_u32_e32 v19, 28, v21
	v_lshlrev_b64 v[18:19], v19, v[18:19]
	v_lshrrev_b32_e32 v20, 3, v6
	v_sub_u32_e32 v19, 29, v21
	v_and_b32_e32 v18, 7, v18
	v_cmp_gt_u32_e32 vcc, 8, v6
	v_cndmask_b32_e32 v6, v20, v19, vcc
	v_cndmask_b32_e32 v17, v17, v18, vcc
	v_lshlrev_b32_e32 v18, 24, v9
	v_bfrev_b32_e32 v19, 60
	v_lshlrev_b32_e32 v17, 20, v17
	v_and_b32_e32 v18, 0x80000000, v18
	v_lshl_add_u32 v6, v6, 23, v19
	v_or3_b32 v6, v18, v6, v17
	v_lshrrev_b32_e32 v17, 16, v6
.LBB865_667:
	s_or_b64 exec, exec, s[8:9]
.LBB865_668:
	s_or_b64 exec, exec, s[2:3]
.LBB865_669:
	s_or_b64 exec, exec, s[0:1]
	v_lshrrev_b16_e32 v6, 8, v9
	v_cmp_ne_u16_e32 vcc, 0, v6
	s_and_saveexec_b64 s[0:1], vcc
	s_cbranch_execz .LBB865_675
; %bb.670:
	s_movk_i32 s2, 0x80
	v_cmp_ne_u16_e32 vcc, s2, v6
	v_mov_b32_e32 v8, 0xffff8000
	s_and_saveexec_b64 s[2:3], vcc
	s_cbranch_execz .LBB865_674
; %bb.671:
	s_movk_i32 s7, 0x7f
	v_and_b32_e32 v18, 0x7f, v6
	v_cmp_ne_u32_e32 vcc, s7, v18
	v_mov_b32_e32 v8, 0x7f80
	s_and_saveexec_b64 s[8:9], vcc
	s_cbranch_execz .LBB865_673
; %bb.672:
	v_and_b32_e32 v8, 7, v6
	v_ffbh_u32_e32 v20, v8
	v_min_u32_e32 v23, 32, v20
	v_subrev_u32_e32 v20, 28, v23
	v_lshlrev_b64 v[20:21], v20, v[6:7]
	v_lshrrev_b32_e32 v19, 3, v18
	v_sub_u32_e32 v6, 29, v23
	v_and_b32_e32 v20, 7, v20
	v_cmp_gt_u32_e32 vcc, 8, v18
	v_cndmask_b32_e32 v6, v19, v6, vcc
	v_cndmask_b32_e32 v8, v8, v20, vcc
	v_lshlrev_b32_e32 v18, 16, v9
	v_bfrev_b32_e32 v19, 60
	v_lshlrev_b32_e32 v8, 20, v8
	v_and_b32_e32 v18, 0x80000000, v18
	v_lshl_add_u32 v6, v6, 23, v19
	v_or3_b32 v6, v18, v6, v8
	v_lshrrev_b32_e32 v8, 16, v6
.LBB865_673:
	s_or_b64 exec, exec, s[8:9]
.LBB865_674:
	s_or_b64 exec, exec, s[2:3]
.LBB865_675:
	s_or_b64 exec, exec, s[0:1]
	s_movk_i32 s0, 0xff
	v_and_b32_sdwa v20, v9, s0 dst_sel:DWORD dst_unused:UNUSED_PAD src0_sel:WORD_1 src1_sel:DWORD
	v_lshrrev_b32_e32 v6, 16, v9
	v_cmp_ne_u16_e32 vcc, 0, v20
	v_mov_b32_e32 v18, 0
	v_mov_b32_e32 v19, 0
	s_and_saveexec_b64 s[0:1], vcc
	s_cbranch_execz .LBB865_681
; %bb.676:
	s_movk_i32 s2, 0x80
	v_cmp_ne_u16_e32 vcc, s2, v20
	v_mov_b32_e32 v19, 0xffff8000
	s_and_saveexec_b64 s[2:3], vcc
	s_cbranch_execz .LBB865_680
; %bb.677:
	v_bfe_u32 v20, v9, 16, 7
	s_movk_i32 s7, 0x7f
	v_cmp_ne_u32_e32 vcc, s7, v20
	v_mov_b32_e32 v19, 0x7f80
	s_and_saveexec_b64 s[8:9], vcc
	s_cbranch_execz .LBB865_679
; %bb.678:
	v_and_b32_e32 v19, 7, v6
	v_ffbh_u32_e32 v23, v19
	v_min_u32_e32 v23, 32, v23
	v_subrev_u32_e32 v24, 28, v23
	v_lshlrev_b64 v[24:25], v24, v[6:7]
	v_lshrrev_b32_e32 v21, 3, v20
	v_sub_u32_e32 v6, 29, v23
	v_and_b32_e32 v23, 7, v24
	v_cmp_gt_u32_e32 vcc, 8, v20
	v_mov_b32_e32 v20, 24
	v_cndmask_b32_e32 v6, v21, v6, vcc
	v_cndmask_b32_e32 v19, v19, v23, vcc
	v_lshlrev_b32_sdwa v20, v20, v9 dst_sel:DWORD dst_unused:UNUSED_PAD src0_sel:DWORD src1_sel:WORD_1
	v_bfrev_b32_e32 v21, 60
	v_lshlrev_b32_e32 v19, 20, v19
	v_and_b32_e32 v20, 0x80000000, v20
	v_lshl_add_u32 v6, v6, 23, v21
	v_or3_b32 v6, v20, v6, v19
	v_lshrrev_b32_e32 v19, 16, v6
.LBB865_679:
	s_or_b64 exec, exec, s[8:9]
.LBB865_680:
	s_or_b64 exec, exec, s[2:3]
.LBB865_681:
	s_or_b64 exec, exec, s[0:1]
	s_mov_b32 s0, 0xffffff
	v_cmp_lt_u32_e32 vcc, s0, v9
	s_and_saveexec_b64 s[0:1], vcc
	s_cbranch_execz .LBB865_687
; %bb.682:
	v_lshrrev_b32_e32 v6, 24, v9
	s_movk_i32 s2, 0x80
	v_cmp_ne_u32_e32 vcc, s2, v6
	v_mov_b32_e32 v18, 0xffff8000
	s_and_saveexec_b64 s[2:3], vcc
	s_cbranch_execz .LBB865_686
; %bb.683:
	v_bfe_u32 v9, v9, 24, 7
	s_movk_i32 s7, 0x7f
	v_cmp_ne_u32_e32 vcc, s7, v9
	v_mov_b32_e32 v18, 0x7f80
	s_and_saveexec_b64 s[8:9], vcc
	s_cbranch_execz .LBB865_685
; %bb.684:
	v_and_b32_e32 v18, 7, v6
	v_ffbh_u32_e32 v20, v18
	v_min_u32_e32 v24, 32, v20
	v_subrev_u32_e32 v20, 28, v24
	v_lshlrev_b64 v[20:21], v20, v[6:7]
	v_lshrrev_b32_e32 v23, 3, v9
	v_sub_u32_e32 v21, 29, v24
	v_and_b32_e32 v20, 7, v20
	v_cmp_gt_u32_e32 vcc, 8, v9
	v_cndmask_b32_e32 v9, v23, v21, vcc
	v_cndmask_b32_e32 v18, v18, v20, vcc
	v_lshlrev_b32_e32 v6, 24, v6
	v_bfrev_b32_e32 v20, 60
	v_lshlrev_b32_e32 v18, 20, v18
	v_and_b32_e32 v6, 0x80000000, v6
	v_lshl_add_u32 v9, v9, 23, v20
	v_or3_b32 v6, v6, v9, v18
	v_lshrrev_b32_e32 v18, 16, v6
.LBB865_685:
	s_or_b64 exec, exec, s[8:9]
.LBB865_686:
	s_or_b64 exec, exec, s[2:3]
.LBB865_687:
	s_or_b64 exec, exec, s[0:1]
	s_mov_b32 s0, 0x5040100
	v_perm_b32 v15, v15, v16, s0
	v_perm_b32 v14, v7, v14, s0
	ds_read_b128 v[24:27], v22 offset:4112
	v_perm_b32 v7, v18, v19, s0
	v_perm_b32 v6, v8, v17, s0
	s_waitcnt lgkmcnt(0)
	v_mfma_f32_16x16x16bf16_1k v[30:33], v[14:15], v[24:25], v[10:13]
	s_nop 6
	v_mov_b32_e32 v11, 0
	s_waitcnt vmcnt(0)
	v_cmp_ne_u16_sdwa s[2:3], v2, v11 src0_sel:BYTE_0 src1_sel:DWORD
	v_mfma_f32_16x16x16bf16_1k v[6:9], v[6:7], v[26:27], v[30:33]
	v_mov_b32_e32 v12, 0
	s_and_saveexec_b64 s[0:1], s[2:3]
	s_cbranch_execz .LBB865_693
; %bb.688:
	s_movk_i32 s2, 0x80
	v_cmp_ne_u16_sdwa s[8:9], v2, s2 src0_sel:BYTE_0 src1_sel:DWORD
	v_mov_b32_e32 v12, 0xffff8000
	s_and_saveexec_b64 s[2:3], s[8:9]
	s_cbranch_execz .LBB865_692
; %bb.689:
	s_movk_i32 s7, 0x7f
	v_and_b32_e32 v10, 0x7f, v2
	v_cmp_ne_u32_e32 vcc, s7, v10
	v_mov_b32_e32 v12, 0x7f80
	s_and_saveexec_b64 s[8:9], vcc
	s_cbranch_execz .LBB865_691
; %bb.690:
	v_and_b32_e32 v14, 7, v2
	v_ffbh_u32_e32 v12, v14
	v_min_u32_e32 v16, 32, v12
	v_subrev_u32_e32 v12, 28, v16
	v_lshlrev_b64 v[12:13], v12, v[2:3]
	v_lshrrev_b32_e32 v15, 3, v10
	v_sub_u32_e32 v13, 29, v16
	v_and_b32_e32 v12, 7, v12
	v_cmp_gt_u32_e32 vcc, 8, v10
	v_cndmask_b32_e32 v10, v15, v13, vcc
	v_cndmask_b32_e32 v12, v14, v12, vcc
	v_lshlrev_b32_e32 v13, 24, v2
	v_bfrev_b32_e32 v14, 60
	v_lshlrev_b32_e32 v12, 20, v12
	v_and_b32_e32 v13, 0x80000000, v13
	v_lshl_add_u32 v10, v10, 23, v14
	v_or3_b32 v10, v13, v10, v12
	v_lshrrev_b32_e32 v12, 16, v10
.LBB865_691:
	s_or_b64 exec, exec, s[8:9]
.LBB865_692:
	s_or_b64 exec, exec, s[2:3]
.LBB865_693:
	s_or_b64 exec, exec, s[0:1]
	v_lshrrev_b16_e32 v10, 8, v2
	v_cmp_ne_u16_e32 vcc, 0, v10
	s_and_saveexec_b64 s[0:1], vcc
	s_cbranch_execz .LBB865_699
; %bb.694:
	s_movk_i32 s2, 0x80
	v_cmp_ne_u16_e32 vcc, s2, v10
	v_mov_b32_e32 v11, 0xffff8000
	s_and_saveexec_b64 s[2:3], vcc
	s_cbranch_execz .LBB865_698
; %bb.695:
	s_movk_i32 s7, 0x7f
	v_and_b32_e32 v13, 0x7f, v10
	v_cmp_ne_u32_e32 vcc, s7, v13
	v_mov_b32_e32 v11, 0x7f80
	s_and_saveexec_b64 s[8:9], vcc
	s_cbranch_execz .LBB865_697
; %bb.696:
	v_and_b32_e32 v14, 7, v10
	v_ffbh_u32_e32 v11, v14
	v_min_u32_e32 v16, 32, v11
	v_subrev_u32_e32 v11, 28, v16
	v_lshlrev_b64 v[10:11], v11, v[10:11]
	v_lshrrev_b32_e32 v15, 3, v13
	v_sub_u32_e32 v11, 29, v16
	v_and_b32_e32 v10, 7, v10
	v_cmp_gt_u32_e32 vcc, 8, v13
	v_cndmask_b32_e32 v11, v15, v11, vcc
	v_cndmask_b32_e32 v10, v14, v10, vcc
	v_lshlrev_b32_e32 v13, 16, v2
	v_bfrev_b32_e32 v14, 60
	v_lshlrev_b32_e32 v10, 20, v10
	v_and_b32_e32 v13, 0x80000000, v13
	v_lshl_add_u32 v11, v11, 23, v14
	v_or3_b32 v10, v13, v11, v10
	v_lshrrev_b32_e32 v11, 16, v10
.LBB865_697:
	s_or_b64 exec, exec, s[8:9]
.LBB865_698:
	s_or_b64 exec, exec, s[2:3]
.LBB865_699:
	s_or_b64 exec, exec, s[0:1]
	s_movk_i32 s0, 0xff
	v_and_b32_sdwa v15, v2, s0 dst_sel:DWORD dst_unused:UNUSED_PAD src0_sel:WORD_1 src1_sel:DWORD
	v_lshrrev_b32_e32 v10, 16, v2
	v_cmp_ne_u16_e32 vcc, 0, v15
	v_mov_b32_e32 v13, 0
	v_mov_b32_e32 v14, 0
	s_and_saveexec_b64 s[0:1], vcc
	s_cbranch_execz .LBB865_705
; %bb.700:
	s_movk_i32 s2, 0x80
	v_cmp_ne_u16_e32 vcc, s2, v15
	v_mov_b32_e32 v14, 0xffff8000
	s_and_saveexec_b64 s[2:3], vcc
	s_cbranch_execz .LBB865_704
; %bb.701:
	v_bfe_u32 v15, v2, 16, 7
	s_movk_i32 s7, 0x7f
	v_cmp_ne_u32_e32 vcc, s7, v15
	v_mov_b32_e32 v14, 0x7f80
	s_and_saveexec_b64 s[8:9], vcc
	s_cbranch_execz .LBB865_703
; %bb.702:
	v_and_b32_e32 v14, 7, v10
	v_ffbh_u32_e32 v16, v14
	v_min_u32_e32 v19, 32, v16
	v_subrev_u32_e32 v16, 28, v19
	v_lshlrev_b64 v[16:17], v16, v[10:11]
	v_lshrrev_b32_e32 v18, 3, v15
	v_sub_u32_e32 v10, 29, v19
	v_and_b32_e32 v16, 7, v16
	v_cmp_gt_u32_e32 vcc, 8, v15
	v_mov_b32_e32 v15, 24
	v_cndmask_b32_e32 v10, v18, v10, vcc
	v_cndmask_b32_e32 v14, v14, v16, vcc
	v_lshlrev_b32_sdwa v15, v15, v2 dst_sel:DWORD dst_unused:UNUSED_PAD src0_sel:DWORD src1_sel:WORD_1
	v_bfrev_b32_e32 v16, 60
	v_lshlrev_b32_e32 v14, 20, v14
	v_and_b32_e32 v15, 0x80000000, v15
	v_lshl_add_u32 v10, v10, 23, v16
	v_or3_b32 v10, v15, v10, v14
	v_lshrrev_b32_e32 v14, 16, v10
.LBB865_703:
	s_or_b64 exec, exec, s[8:9]
.LBB865_704:
	s_or_b64 exec, exec, s[2:3]
.LBB865_705:
	s_or_b64 exec, exec, s[0:1]
	s_mov_b32 s0, 0xffffff
	v_cmp_lt_u32_e32 vcc, s0, v2
	s_and_saveexec_b64 s[0:1], vcc
	s_cbranch_execz .LBB865_711
; %bb.706:
	v_lshrrev_b32_e32 v10, 24, v2
	s_movk_i32 s2, 0x80
	v_cmp_ne_u32_e32 vcc, s2, v10
	v_mov_b32_e32 v13, 0xffff8000
	s_and_saveexec_b64 s[2:3], vcc
	s_cbranch_execz .LBB865_710
; %bb.707:
	v_bfe_u32 v2, v2, 24, 7
	s_movk_i32 s7, 0x7f
	v_cmp_ne_u32_e32 vcc, s7, v2
	v_mov_b32_e32 v13, 0x7f80
	s_and_saveexec_b64 s[8:9], vcc
	s_cbranch_execz .LBB865_709
; %bb.708:
	v_and_b32_e32 v13, 7, v10
	v_ffbh_u32_e32 v16, v13
	v_min_u32_e32 v18, 32, v16
	v_subrev_u32_e32 v16, 28, v18
	v_lshlrev_b64 v[16:17], v16, v[10:11]
	v_lshrrev_b32_e32 v15, 3, v2
	v_sub_u32_e32 v17, 29, v18
	v_and_b32_e32 v16, 7, v16
	v_cmp_gt_u32_e32 vcc, 8, v2
	v_cndmask_b32_e32 v2, v15, v17, vcc
	v_cndmask_b32_e32 v13, v13, v16, vcc
	v_lshlrev_b32_e32 v10, 24, v10
	v_bfrev_b32_e32 v15, 60
	v_lshlrev_b32_e32 v13, 20, v13
	v_and_b32_e32 v10, 0x80000000, v10
	v_lshl_add_u32 v2, v2, 23, v15
	v_or3_b32 v2, v10, v2, v13
	v_lshrrev_b32_e32 v13, 16, v2
.LBB865_709:
	s_or_b64 exec, exec, s[8:9]
.LBB865_710:
	s_or_b64 exec, exec, s[2:3]
.LBB865_711:
	s_or_b64 exec, exec, s[0:1]
	v_mov_b32_e32 v10, 0
	v_cmp_ne_u16_sdwa s[2:3], v3, v10 src0_sel:BYTE_0 src1_sel:DWORD
	v_mov_b32_e32 v15, 0
	s_and_saveexec_b64 s[0:1], s[2:3]
	s_cbranch_execz .LBB865_717
; %bb.712:
	s_movk_i32 s2, 0x80
	v_cmp_ne_u16_sdwa s[8:9], v3, s2 src0_sel:BYTE_0 src1_sel:DWORD
	v_mov_b32_e32 v15, 0xffff8000
	s_and_saveexec_b64 s[2:3], s[8:9]
	s_cbranch_execz .LBB865_716
; %bb.713:
	s_movk_i32 s7, 0x7f
	v_and_b32_e32 v2, 0x7f, v3
	v_cmp_ne_u32_e32 vcc, s7, v2
	v_mov_b32_e32 v15, 0x7f80
	s_and_saveexec_b64 s[8:9], vcc
	s_cbranch_execz .LBB865_715
; %bb.714:
	v_and_b32_e32 v15, 7, v3
	v_ffbh_u32_e32 v17, v15
	v_min_u32_e32 v19, 32, v17
	v_mov_b32_e32 v16, v3
	v_subrev_u32_e32 v17, 28, v19
	v_lshlrev_b64 v[16:17], v17, v[16:17]
	v_lshrrev_b32_e32 v18, 3, v2
	v_sub_u32_e32 v17, 29, v19
	v_and_b32_e32 v16, 7, v16
	v_cmp_gt_u32_e32 vcc, 8, v2
	v_cndmask_b32_e32 v2, v18, v17, vcc
	v_cndmask_b32_e32 v15, v15, v16, vcc
	v_lshlrev_b32_e32 v16, 24, v3
	v_bfrev_b32_e32 v17, 60
	v_lshlrev_b32_e32 v15, 20, v15
	v_and_b32_e32 v16, 0x80000000, v16
	v_lshl_add_u32 v2, v2, 23, v17
	v_or3_b32 v2, v16, v2, v15
	v_lshrrev_b32_e32 v15, 16, v2
.LBB865_715:
	s_or_b64 exec, exec, s[8:9]
.LBB865_716:
	s_or_b64 exec, exec, s[2:3]
.LBB865_717:
	s_or_b64 exec, exec, s[0:1]
	v_lshrrev_b16_e32 v2, 8, v3
	v_cmp_ne_u16_e32 vcc, 0, v2
	s_and_saveexec_b64 s[0:1], vcc
	s_cbranch_execz .LBB865_723
; %bb.718:
	s_movk_i32 s2, 0x80
	v_cmp_ne_u16_e32 vcc, s2, v2
	v_mov_b32_e32 v10, 0xffff8000
	s_and_saveexec_b64 s[2:3], vcc
	s_cbranch_execz .LBB865_722
; %bb.719:
	s_movk_i32 s7, 0x7f
	v_and_b32_e32 v16, 0x7f, v2
	v_cmp_ne_u32_e32 vcc, s7, v16
	v_mov_b32_e32 v10, 0x7f80
	s_and_saveexec_b64 s[8:9], vcc
	s_cbranch_execz .LBB865_721
; %bb.720:
	v_and_b32_e32 v10, 7, v2
	v_ffbh_u32_e32 v18, v10
	v_min_u32_e32 v20, 32, v18
	v_subrev_u32_e32 v18, 28, v20
	v_lshlrev_b64 v[18:19], v18, v[2:3]
	v_lshrrev_b32_e32 v17, 3, v16
	v_sub_u32_e32 v2, 29, v20
	v_and_b32_e32 v18, 7, v18
	v_cmp_gt_u32_e32 vcc, 8, v16
	v_cndmask_b32_e32 v2, v17, v2, vcc
	v_cndmask_b32_e32 v10, v10, v18, vcc
	v_lshlrev_b32_e32 v16, 16, v3
	v_bfrev_b32_e32 v17, 60
	v_lshlrev_b32_e32 v10, 20, v10
	v_and_b32_e32 v16, 0x80000000, v16
	v_lshl_add_u32 v2, v2, 23, v17
	v_or3_b32 v2, v16, v2, v10
	v_lshrrev_b32_e32 v10, 16, v2
.LBB865_721:
	s_or_b64 exec, exec, s[8:9]
.LBB865_722:
	s_or_b64 exec, exec, s[2:3]
.LBB865_723:
	s_or_b64 exec, exec, s[0:1]
	s_movk_i32 s0, 0xff
	v_and_b32_sdwa v18, v3, s0 dst_sel:DWORD dst_unused:UNUSED_PAD src0_sel:WORD_1 src1_sel:DWORD
	v_lshrrev_b32_e32 v2, 16, v3
	v_cmp_ne_u16_e32 vcc, 0, v18
	v_mov_b32_e32 v16, 0
	v_mov_b32_e32 v17, 0
	s_and_saveexec_b64 s[0:1], vcc
	s_cbranch_execz .LBB865_729
; %bb.724:
	s_movk_i32 s2, 0x80
	v_cmp_ne_u16_e32 vcc, s2, v18
	v_mov_b32_e32 v17, 0xffff8000
	s_and_saveexec_b64 s[2:3], vcc
	s_cbranch_execz .LBB865_728
; %bb.725:
	v_bfe_u32 v18, v3, 16, 7
	s_movk_i32 s7, 0x7f
	v_cmp_ne_u32_e32 vcc, s7, v18
	v_mov_b32_e32 v17, 0x7f80
	s_and_saveexec_b64 s[8:9], vcc
	s_cbranch_execz .LBB865_727
; %bb.726:
	v_and_b32_e32 v17, 7, v2
	v_ffbh_u32_e32 v20, v17
	v_min_u32_e32 v23, 32, v20
	v_subrev_u32_e32 v20, 28, v23
	v_lshlrev_b64 v[20:21], v20, v[2:3]
	v_lshrrev_b32_e32 v19, 3, v18
	v_sub_u32_e32 v2, 29, v23
	v_and_b32_e32 v20, 7, v20
	v_cmp_gt_u32_e32 vcc, 8, v18
	v_mov_b32_e32 v18, 24
	v_cndmask_b32_e32 v2, v19, v2, vcc
	v_cndmask_b32_e32 v17, v17, v20, vcc
	v_lshlrev_b32_sdwa v18, v18, v3 dst_sel:DWORD dst_unused:UNUSED_PAD src0_sel:DWORD src1_sel:WORD_1
	v_bfrev_b32_e32 v19, 60
	v_lshlrev_b32_e32 v17, 20, v17
	v_and_b32_e32 v18, 0x80000000, v18
	v_lshl_add_u32 v2, v2, 23, v19
	v_or3_b32 v2, v18, v2, v17
	v_lshrrev_b32_e32 v17, 16, v2
.LBB865_727:
	s_or_b64 exec, exec, s[8:9]
.LBB865_728:
	s_or_b64 exec, exec, s[2:3]
.LBB865_729:
	s_or_b64 exec, exec, s[0:1]
	s_mov_b32 s0, 0xffffff
	v_cmp_lt_u32_e32 vcc, s0, v3
	s_and_saveexec_b64 s[0:1], vcc
	s_cbranch_execz .LBB865_735
; %bb.730:
	v_lshrrev_b32_e32 v2, 24, v3
	s_movk_i32 s2, 0x80
	v_cmp_ne_u32_e32 vcc, s2, v2
	v_mov_b32_e32 v16, 0xffff8000
	s_and_saveexec_b64 s[2:3], vcc
	s_cbranch_execz .LBB865_734
; %bb.731:
	v_bfe_u32 v3, v3, 24, 7
	s_movk_i32 s7, 0x7f
	v_cmp_ne_u32_e32 vcc, s7, v3
	v_mov_b32_e32 v16, 0x7f80
	s_and_saveexec_b64 s[8:9], vcc
	s_cbranch_execz .LBB865_733
; %bb.732:
	v_and_b32_e32 v16, 7, v2
	v_ffbh_u32_e32 v18, v16
	v_min_u32_e32 v21, 32, v18
	v_subrev_u32_e32 v18, 28, v21
	v_lshlrev_b64 v[18:19], v18, v[2:3]
	v_lshrrev_b32_e32 v20, 3, v3
	v_sub_u32_e32 v19, 29, v21
	v_and_b32_e32 v18, 7, v18
	v_cmp_gt_u32_e32 vcc, 8, v3
	v_cndmask_b32_e32 v3, v20, v19, vcc
	v_cndmask_b32_e32 v16, v16, v18, vcc
	v_lshlrev_b32_e32 v2, 24, v2
	v_bfrev_b32_e32 v18, 60
	v_lshlrev_b32_e32 v16, 20, v16
	v_and_b32_e32 v2, 0x80000000, v2
	v_lshl_add_u32 v3, v3, 23, v18
	v_or3_b32 v2, v2, v3, v16
	v_lshrrev_b32_e32 v16, 16, v2
.LBB865_733:
	s_or_b64 exec, exec, s[8:9]
.LBB865_734:
	s_or_b64 exec, exec, s[2:3]
.LBB865_735:
	s_or_b64 exec, exec, s[0:1]
	s_mov_b32 s0, 0x5040100
	v_perm_b32 v3, v13, v14, s0
	v_perm_b32 v2, v11, v12, s0
	ds_read_b128 v[18:21], v22 offset:6144
	v_perm_b32 v13, v16, v17, s0
	v_perm_b32 v12, v10, v15, s0
	s_waitcnt lgkmcnt(0)
	v_mfma_f32_16x16x16bf16_1k v[6:9], v[2:3], v[18:19], v[6:9]
	v_mov_b32_e32 v3, 0
	v_cmp_ne_u16_sdwa s[2:3], v4, v3 src0_sel:BYTE_0 src1_sel:DWORD
	v_mov_b32_e32 v10, 0
	v_mfma_f32_16x16x16bf16_1k v[6:9], v[12:13], v[20:21], v[6:9]
	s_and_saveexec_b64 s[0:1], s[2:3]
	s_cbranch_execz .LBB865_741
; %bb.736:
	s_movk_i32 s2, 0x80
	v_cmp_ne_u16_sdwa s[8:9], v4, s2 src0_sel:BYTE_0 src1_sel:DWORD
	v_mov_b32_e32 v10, 0xffff8000
	s_and_saveexec_b64 s[2:3], s[8:9]
	s_cbranch_execz .LBB865_740
; %bb.737:
	s_movk_i32 s7, 0x7f
	v_and_b32_e32 v2, 0x7f, v4
	v_cmp_ne_u32_e32 vcc, s7, v2
	v_mov_b32_e32 v10, 0x7f80
	s_and_saveexec_b64 s[8:9], vcc
	s_cbranch_execz .LBB865_739
; %bb.738:
	v_and_b32_e32 v12, 7, v4
	v_ffbh_u32_e32 v10, v12
	v_min_u32_e32 v14, 32, v10
	v_subrev_u32_e32 v10, 28, v14
	v_lshlrev_b64 v[10:11], v10, v[4:5]
	v_lshrrev_b32_e32 v13, 3, v2
	v_sub_u32_e32 v11, 29, v14
	v_and_b32_e32 v10, 7, v10
	v_cmp_gt_u32_e32 vcc, 8, v2
	v_cndmask_b32_e32 v2, v13, v11, vcc
	v_cndmask_b32_e32 v10, v12, v10, vcc
	v_lshlrev_b32_e32 v11, 24, v4
	v_bfrev_b32_e32 v12, 60
	v_lshlrev_b32_e32 v10, 20, v10
	v_and_b32_e32 v11, 0x80000000, v11
	v_lshl_add_u32 v2, v2, 23, v12
	v_or3_b32 v2, v11, v2, v10
	v_lshrrev_b32_e32 v10, 16, v2
.LBB865_739:
	s_or_b64 exec, exec, s[8:9]
.LBB865_740:
	s_or_b64 exec, exec, s[2:3]
.LBB865_741:
	s_or_b64 exec, exec, s[0:1]
	v_lshrrev_b16_e32 v2, 8, v4
	v_cmp_ne_u16_e32 vcc, 0, v2
	s_and_saveexec_b64 s[0:1], vcc
	s_cbranch_execz .LBB865_747
; %bb.742:
	s_movk_i32 s2, 0x80
	v_cmp_ne_u16_e32 vcc, s2, v2
	v_mov_b32_e32 v3, 0xffff8000
	s_and_saveexec_b64 s[2:3], vcc
	s_cbranch_execz .LBB865_746
; %bb.743:
	s_movk_i32 s7, 0x7f
	v_and_b32_e32 v11, 0x7f, v2
	v_cmp_ne_u32_e32 vcc, s7, v11
	v_mov_b32_e32 v3, 0x7f80
	s_and_saveexec_b64 s[8:9], vcc
	s_cbranch_execz .LBB865_745
; %bb.744:
	v_and_b32_e32 v12, 7, v2
	v_ffbh_u32_e32 v3, v12
	v_min_u32_e32 v14, 32, v3
	v_subrev_u32_e32 v3, 28, v14
	v_lshlrev_b64 v[2:3], v3, v[2:3]
	v_lshrrev_b32_e32 v13, 3, v11
	v_sub_u32_e32 v3, 29, v14
	v_and_b32_e32 v2, 7, v2
	v_cmp_gt_u32_e32 vcc, 8, v11
	v_cndmask_b32_e32 v3, v13, v3, vcc
	v_cndmask_b32_e32 v2, v12, v2, vcc
	v_lshlrev_b32_e32 v11, 16, v4
	v_bfrev_b32_e32 v12, 60
	v_lshlrev_b32_e32 v2, 20, v2
	v_and_b32_e32 v11, 0x80000000, v11
	v_lshl_add_u32 v3, v3, 23, v12
	v_or3_b32 v2, v11, v3, v2
	v_lshrrev_b32_e32 v3, 16, v2
.LBB865_745:
	s_or_b64 exec, exec, s[8:9]
.LBB865_746:
	s_or_b64 exec, exec, s[2:3]
.LBB865_747:
	s_or_b64 exec, exec, s[0:1]
	s_movk_i32 s0, 0xff
	v_and_b32_sdwa v13, v4, s0 dst_sel:DWORD dst_unused:UNUSED_PAD src0_sel:WORD_1 src1_sel:DWORD
	v_lshrrev_b32_e32 v2, 16, v4
	v_cmp_ne_u16_e32 vcc, 0, v13
	v_mov_b32_e32 v11, 0
	v_mov_b32_e32 v12, 0
	s_and_saveexec_b64 s[0:1], vcc
	s_cbranch_execz .LBB865_753
; %bb.748:
	s_movk_i32 s2, 0x80
	v_cmp_ne_u16_e32 vcc, s2, v13
	v_mov_b32_e32 v12, 0xffff8000
	s_and_saveexec_b64 s[2:3], vcc
	s_cbranch_execz .LBB865_752
; %bb.749:
	v_bfe_u32 v13, v4, 16, 7
	s_movk_i32 s7, 0x7f
	v_cmp_ne_u32_e32 vcc, s7, v13
	v_mov_b32_e32 v12, 0x7f80
	s_and_saveexec_b64 s[8:9], vcc
	s_cbranch_execz .LBB865_751
; %bb.750:
	v_and_b32_e32 v12, 7, v2
	v_ffbh_u32_e32 v14, v12
	v_min_u32_e32 v17, 32, v14
	v_subrev_u32_e32 v14, 28, v17
	v_lshlrev_b64 v[14:15], v14, v[2:3]
	v_lshrrev_b32_e32 v16, 3, v13
	v_sub_u32_e32 v2, 29, v17
	v_and_b32_e32 v14, 7, v14
	v_cmp_gt_u32_e32 vcc, 8, v13
	v_mov_b32_e32 v13, 24
	v_cndmask_b32_e32 v2, v16, v2, vcc
	v_cndmask_b32_e32 v12, v12, v14, vcc
	v_lshlrev_b32_sdwa v13, v13, v4 dst_sel:DWORD dst_unused:UNUSED_PAD src0_sel:DWORD src1_sel:WORD_1
	v_bfrev_b32_e32 v14, 60
	v_lshlrev_b32_e32 v12, 20, v12
	v_and_b32_e32 v13, 0x80000000, v13
	v_lshl_add_u32 v2, v2, 23, v14
	v_or3_b32 v2, v13, v2, v12
	v_lshrrev_b32_e32 v12, 16, v2
.LBB865_751:
	s_or_b64 exec, exec, s[8:9]
.LBB865_752:
	s_or_b64 exec, exec, s[2:3]
.LBB865_753:
	s_or_b64 exec, exec, s[0:1]
	s_mov_b32 s0, 0xffffff
	v_cmp_lt_u32_e32 vcc, s0, v4
	s_and_saveexec_b64 s[0:1], vcc
	s_cbranch_execz .LBB865_759
; %bb.754:
	v_lshrrev_b32_e32 v2, 24, v4
	s_movk_i32 s2, 0x80
	v_cmp_ne_u32_e32 vcc, s2, v2
	v_mov_b32_e32 v11, 0xffff8000
	s_and_saveexec_b64 s[2:3], vcc
	s_cbranch_execz .LBB865_758
; %bb.755:
	v_bfe_u32 v4, v4, 24, 7
	s_movk_i32 s7, 0x7f
	v_cmp_ne_u32_e32 vcc, s7, v4
	v_mov_b32_e32 v11, 0x7f80
	s_and_saveexec_b64 s[8:9], vcc
	s_cbranch_execz .LBB865_757
; %bb.756:
	v_and_b32_e32 v11, 7, v2
	v_ffbh_u32_e32 v14, v11
	v_min_u32_e32 v16, 32, v14
	v_subrev_u32_e32 v14, 28, v16
	v_lshlrev_b64 v[14:15], v14, v[2:3]
	v_lshrrev_b32_e32 v13, 3, v4
	v_sub_u32_e32 v15, 29, v16
	v_and_b32_e32 v14, 7, v14
	v_cmp_gt_u32_e32 vcc, 8, v4
	v_cndmask_b32_e32 v4, v13, v15, vcc
	v_cndmask_b32_e32 v11, v11, v14, vcc
	v_lshlrev_b32_e32 v2, 24, v2
	v_bfrev_b32_e32 v13, 60
	v_lshlrev_b32_e32 v11, 20, v11
	v_and_b32_e32 v2, 0x80000000, v2
	v_lshl_add_u32 v4, v4, 23, v13
	v_or3_b32 v2, v2, v4, v11
	v_lshrrev_b32_e32 v11, 16, v2
.LBB865_757:
	s_or_b64 exec, exec, s[8:9]
.LBB865_758:
	s_or_b64 exec, exec, s[2:3]
.LBB865_759:
	s_or_b64 exec, exec, s[0:1]
	v_mov_b32_e32 v4, 0
	v_cmp_ne_u16_sdwa s[2:3], v5, v4 src0_sel:BYTE_0 src1_sel:DWORD
	v_mov_b32_e32 v13, 0
	s_and_saveexec_b64 s[0:1], s[2:3]
	s_cbranch_execz .LBB865_765
; %bb.760:
	s_movk_i32 s2, 0x80
	v_cmp_ne_u16_sdwa s[8:9], v5, s2 src0_sel:BYTE_0 src1_sel:DWORD
	v_mov_b32_e32 v13, 0xffff8000
	s_and_saveexec_b64 s[2:3], s[8:9]
	s_cbranch_execz .LBB865_764
; %bb.761:
	s_movk_i32 s7, 0x7f
	v_and_b32_e32 v2, 0x7f, v5
	v_cmp_ne_u32_e32 vcc, s7, v2
	v_mov_b32_e32 v13, 0x7f80
	s_and_saveexec_b64 s[8:9], vcc
	s_cbranch_execz .LBB865_763
; %bb.762:
	v_and_b32_e32 v13, 7, v5
	v_ffbh_u32_e32 v15, v13
	v_min_u32_e32 v17, 32, v15
	v_mov_b32_e32 v14, v5
	v_subrev_u32_e32 v15, 28, v17
	v_lshlrev_b64 v[14:15], v15, v[14:15]
	v_lshrrev_b32_e32 v16, 3, v2
	v_sub_u32_e32 v15, 29, v17
	v_and_b32_e32 v14, 7, v14
	v_cmp_gt_u32_e32 vcc, 8, v2
	v_cndmask_b32_e32 v2, v16, v15, vcc
	v_cndmask_b32_e32 v13, v13, v14, vcc
	v_lshlrev_b32_e32 v14, 24, v5
	v_bfrev_b32_e32 v15, 60
	v_lshlrev_b32_e32 v13, 20, v13
	v_and_b32_e32 v14, 0x80000000, v14
	v_lshl_add_u32 v2, v2, 23, v15
	v_or3_b32 v2, v14, v2, v13
	v_lshrrev_b32_e32 v13, 16, v2
.LBB865_763:
	s_or_b64 exec, exec, s[8:9]
.LBB865_764:
	s_or_b64 exec, exec, s[2:3]
.LBB865_765:
	s_or_b64 exec, exec, s[0:1]
	v_lshrrev_b16_e32 v2, 8, v5
	v_cmp_ne_u16_e32 vcc, 0, v2
	s_and_saveexec_b64 s[0:1], vcc
	s_cbranch_execz .LBB865_771
; %bb.766:
	s_movk_i32 s2, 0x80
	v_cmp_ne_u16_e32 vcc, s2, v2
	v_mov_b32_e32 v4, 0xffff8000
	s_and_saveexec_b64 s[2:3], vcc
	s_cbranch_execz .LBB865_770
; %bb.767:
	s_movk_i32 s7, 0x7f
	v_and_b32_e32 v14, 0x7f, v2
	v_cmp_ne_u32_e32 vcc, s7, v14
	v_mov_b32_e32 v4, 0x7f80
	s_and_saveexec_b64 s[8:9], vcc
	s_cbranch_execz .LBB865_769
; %bb.768:
	v_and_b32_e32 v4, 7, v2
	v_ffbh_u32_e32 v16, v4
	v_min_u32_e32 v18, 32, v16
	v_subrev_u32_e32 v16, 28, v18
	v_lshlrev_b64 v[16:17], v16, v[2:3]
	v_lshrrev_b32_e32 v15, 3, v14
	v_sub_u32_e32 v2, 29, v18
	v_and_b32_e32 v16, 7, v16
	v_cmp_gt_u32_e32 vcc, 8, v14
	v_cndmask_b32_e32 v2, v15, v2, vcc
	v_cndmask_b32_e32 v4, v4, v16, vcc
	v_lshlrev_b32_e32 v14, 16, v5
	v_bfrev_b32_e32 v15, 60
	v_lshlrev_b32_e32 v4, 20, v4
	v_and_b32_e32 v14, 0x80000000, v14
	v_lshl_add_u32 v2, v2, 23, v15
	v_or3_b32 v2, v14, v2, v4
	v_lshrrev_b32_e32 v4, 16, v2
.LBB865_769:
	s_or_b64 exec, exec, s[8:9]
.LBB865_770:
	s_or_b64 exec, exec, s[2:3]
.LBB865_771:
	s_or_b64 exec, exec, s[0:1]
	s_movk_i32 s0, 0xff
	v_and_b32_sdwa v16, v5, s0 dst_sel:DWORD dst_unused:UNUSED_PAD src0_sel:WORD_1 src1_sel:DWORD
	v_lshrrev_b32_e32 v2, 16, v5
	v_cmp_ne_u16_e32 vcc, 0, v16
	v_mov_b32_e32 v14, 0
	v_mov_b32_e32 v15, 0
	s_and_saveexec_b64 s[0:1], vcc
	s_cbranch_execz .LBB865_777
; %bb.772:
	s_movk_i32 s2, 0x80
	v_cmp_ne_u16_e32 vcc, s2, v16
	v_mov_b32_e32 v15, 0xffff8000
	s_and_saveexec_b64 s[2:3], vcc
	s_cbranch_execz .LBB865_776
; %bb.773:
	v_bfe_u32 v16, v5, 16, 7
	s_movk_i32 s7, 0x7f
	v_cmp_ne_u32_e32 vcc, s7, v16
	v_mov_b32_e32 v15, 0x7f80
	s_and_saveexec_b64 s[8:9], vcc
	s_cbranch_execz .LBB865_775
; %bb.774:
	v_and_b32_e32 v15, 7, v2
	v_ffbh_u32_e32 v18, v15
	v_min_u32_e32 v20, 32, v18
	v_subrev_u32_e32 v18, 28, v20
	v_lshlrev_b64 v[18:19], v18, v[2:3]
	v_lshrrev_b32_e32 v17, 3, v16
	v_sub_u32_e32 v2, 29, v20
	v_and_b32_e32 v18, 7, v18
	v_cmp_gt_u32_e32 vcc, 8, v16
	v_mov_b32_e32 v16, 24
	v_cndmask_b32_e32 v2, v17, v2, vcc
	v_cndmask_b32_e32 v15, v15, v18, vcc
	v_lshlrev_b32_sdwa v16, v16, v5 dst_sel:DWORD dst_unused:UNUSED_PAD src0_sel:DWORD src1_sel:WORD_1
	v_bfrev_b32_e32 v17, 60
	v_lshlrev_b32_e32 v15, 20, v15
	v_and_b32_e32 v16, 0x80000000, v16
	v_lshl_add_u32 v2, v2, 23, v17
	v_or3_b32 v2, v16, v2, v15
	v_lshrrev_b32_e32 v15, 16, v2
.LBB865_775:
	s_or_b64 exec, exec, s[8:9]
.LBB865_776:
	s_or_b64 exec, exec, s[2:3]
.LBB865_777:
	s_or_b64 exec, exec, s[0:1]
	s_mov_b32 s0, 0xffffff
	v_cmp_lt_u32_e32 vcc, s0, v5
	s_and_saveexec_b64 s[0:1], vcc
	s_cbranch_execz .LBB865_783
; %bb.778:
	v_lshrrev_b32_e32 v2, 24, v5
	s_movk_i32 s2, 0x80
	v_cmp_ne_u32_e32 vcc, s2, v2
	v_mov_b32_e32 v14, 0xffff8000
	s_and_saveexec_b64 s[2:3], vcc
	s_cbranch_execz .LBB865_782
; %bb.779:
	v_bfe_u32 v5, v5, 24, 7
	s_movk_i32 s7, 0x7f
	v_cmp_ne_u32_e32 vcc, s7, v5
	v_mov_b32_e32 v14, 0x7f80
	s_and_saveexec_b64 s[8:9], vcc
	s_cbranch_execz .LBB865_781
; %bb.780:
	v_and_b32_e32 v14, 7, v2
	v_ffbh_u32_e32 v16, v14
	v_min_u32_e32 v19, 32, v16
	v_subrev_u32_e32 v16, 28, v19
	v_lshlrev_b64 v[16:17], v16, v[2:3]
	v_lshrrev_b32_e32 v18, 3, v5
	v_sub_u32_e32 v17, 29, v19
	v_and_b32_e32 v16, 7, v16
	v_cmp_gt_u32_e32 vcc, 8, v5
	v_cndmask_b32_e32 v5, v18, v17, vcc
	v_cndmask_b32_e32 v14, v14, v16, vcc
	v_lshlrev_b32_e32 v2, 24, v2
	v_bfrev_b32_e32 v16, 60
	v_lshlrev_b32_e32 v14, 20, v14
	v_and_b32_e32 v2, 0x80000000, v2
	v_lshl_add_u32 v5, v5, 23, v16
	v_or3_b32 v2, v2, v5, v14
	v_lshrrev_b32_e32 v14, 16, v2
.LBB865_781:
	s_or_b64 exec, exec, s[8:9]
.LBB865_782:
	s_or_b64 exec, exec, s[2:3]
.LBB865_783:
	s_or_b64 exec, exec, s[0:1]
	s_mov_b32 s1, 0x5040100
	v_perm_b32 v11, v11, v12, s1
	ds_read_b128 v[16:19], v22 offset:6160
	v_perm_b32 v10, v3, v10, s1
	v_perm_b32 v3, v14, v15, s1
	;; [unrolled: 1-line block ×3, first 2 shown]
	s_waitcnt lgkmcnt(0)
	v_mfma_f32_16x16x16bf16_1k v[6:9], v[10:11], v[16:17], v[6:9]
	s_load_dword s0, s[42:43], 0x0
	s_mov_b32 s1, 0x7060302
	s_movk_i32 s2, 0x7fff
	s_waitcnt lgkmcnt(0)
	s_barrier
	v_mfma_f32_16x16x16bf16_1k v[2:5], v[2:3], v[18:19], v[6:9]
	s_nop 7
	s_nop 2
	v_pk_mul_f32 v[4:5], v[4:5], s[0:1] op_sel_hi:[1,0]
	v_pk_mul_f32 v[2:3], v[2:3], s[0:1] op_sel_hi:[1,0]
	v_bfe_u32 v6, v3, 16, 1
	v_bfe_u32 v7, v2, 16, 1
	;; [unrolled: 1-line block ×4, first 2 shown]
	v_add3_u32 v2, v2, v7, s2
	v_add3_u32 v3, v3, v6, s2
	v_add3_u32 v4, v4, v9, s2
	v_add3_u32 v5, v5, v8, s2
	v_perm_b32 v2, v3, v2, s1
	v_perm_b32 v3, v5, v4, s1
	ds_write_b64 v28, v[2:3]
	s_waitcnt lgkmcnt(0)
	s_barrier
	s_and_saveexec_b64 s[0:1], s[44:45]
	s_cbranch_execz .LBB865_785
; %bb.784:
	s_load_dwordx2 s[0:1], s[4:5], 0x68
	s_lshl_b32 s4, s46, 6
	s_mul_i32 s2, s10, s6
	s_mul_hi_u32 s3, s2, s4
	s_mul_i32 s2, s2, s4
	s_lshl_b64 s[2:3], s[2:3], 1
	s_waitcnt lgkmcnt(0)
	s_add_u32 s2, s0, s2
	s_addc_u32 s3, s1, s3
	s_lshl_b32 s0, s22, 6
	s_mov_b32 s1, 0
	v_lshlrev_b32_e32 v0, 10, v0
	s_lshl_b64 s[0:1], s[0:1], 1
	v_and_b32_e32 v0, 0x1800, v0
	v_and_b32_e32 v2, 16, v48
	s_add_u32 s2, s2, s0
	v_or3_b32 v0, v0, v47, v2
	s_addc_u32 s3, s3, s1
	v_mad_u64_u32 v[6:7], s[0:1], s4, v46, 0
	ds_read_b128 v[2:5], v0
	v_lshlrev_b64 v[6:7], 1, v[6:7]
	v_mov_b32_e32 v0, s3
	v_add_co_u32_e32 v6, vcc, s2, v6
	v_addc_co_u32_e32 v7, vcc, v0, v7, vcc
	v_add_co_u32_e32 v0, vcc, v6, v1
	v_addc_co_u32_e32 v1, vcc, 0, v7, vcc
	s_waitcnt lgkmcnt(0)
	global_store_dwordx4 v[0:1], v[2:5], off
.LBB865_785:
	s_endpgm
	.section	.rodata,"a",@progbits
	.p2align	6, 0x0
	.amdhsa_kernel _Z39paged_attention_ll4mi_QKV_mfma16_kernelI14__hip_bfloat16hLN4vllm18Fp8KVCacheDataTypeE1ES0_Li16ELi64ELi256ELb0ELi4EL8MFMAType0EEvPKT_PKT0_S9_ifPKiSB_SB_iPKfiiiPfSE_PS4_PT2_iSD_SD_
		.amdhsa_group_segment_fixed_size 8192
		.amdhsa_private_segment_fixed_size 0
		.amdhsa_kernarg_size 400
		.amdhsa_user_sgpr_count 6
		.amdhsa_user_sgpr_private_segment_buffer 1
		.amdhsa_user_sgpr_dispatch_ptr 0
		.amdhsa_user_sgpr_queue_ptr 0
		.amdhsa_user_sgpr_kernarg_segment_ptr 1
		.amdhsa_user_sgpr_dispatch_id 0
		.amdhsa_user_sgpr_flat_scratch_init 0
		.amdhsa_user_sgpr_kernarg_preload_length 0
		.amdhsa_user_sgpr_kernarg_preload_offset 0
		.amdhsa_user_sgpr_private_segment_size 0
		.amdhsa_uses_dynamic_stack 0
		.amdhsa_system_sgpr_private_segment_wavefront_offset 0
		.amdhsa_system_sgpr_workgroup_id_x 1
		.amdhsa_system_sgpr_workgroup_id_y 1
		.amdhsa_system_sgpr_workgroup_id_z 1
		.amdhsa_system_sgpr_workgroup_info 0
		.amdhsa_system_vgpr_workitem_id 0
		.amdhsa_next_free_vgpr 63
		.amdhsa_next_free_sgpr 48
		.amdhsa_accum_offset 64
		.amdhsa_reserve_vcc 1
		.amdhsa_reserve_flat_scratch 0
		.amdhsa_float_round_mode_32 0
		.amdhsa_float_round_mode_16_64 0
		.amdhsa_float_denorm_mode_32 3
		.amdhsa_float_denorm_mode_16_64 3
		.amdhsa_dx10_clamp 1
		.amdhsa_ieee_mode 1
		.amdhsa_fp16_overflow 0
		.amdhsa_tg_split 0
		.amdhsa_exception_fp_ieee_invalid_op 0
		.amdhsa_exception_fp_denorm_src 0
		.amdhsa_exception_fp_ieee_div_zero 0
		.amdhsa_exception_fp_ieee_overflow 0
		.amdhsa_exception_fp_ieee_underflow 0
		.amdhsa_exception_fp_ieee_inexact 0
		.amdhsa_exception_int_div_zero 0
	.end_amdhsa_kernel
	.section	.text._Z39paged_attention_ll4mi_QKV_mfma16_kernelI14__hip_bfloat16hLN4vllm18Fp8KVCacheDataTypeE1ES0_Li16ELi64ELi256ELb0ELi4EL8MFMAType0EEvPKT_PKT0_S9_ifPKiSB_SB_iPKfiiiPfSE_PS4_PT2_iSD_SD_,"axG",@progbits,_Z39paged_attention_ll4mi_QKV_mfma16_kernelI14__hip_bfloat16hLN4vllm18Fp8KVCacheDataTypeE1ES0_Li16ELi64ELi256ELb0ELi4EL8MFMAType0EEvPKT_PKT0_S9_ifPKiSB_SB_iPKfiiiPfSE_PS4_PT2_iSD_SD_,comdat
.Lfunc_end865:
	.size	_Z39paged_attention_ll4mi_QKV_mfma16_kernelI14__hip_bfloat16hLN4vllm18Fp8KVCacheDataTypeE1ES0_Li16ELi64ELi256ELb0ELi4EL8MFMAType0EEvPKT_PKT0_S9_ifPKiSB_SB_iPKfiiiPfSE_PS4_PT2_iSD_SD_, .Lfunc_end865-_Z39paged_attention_ll4mi_QKV_mfma16_kernelI14__hip_bfloat16hLN4vllm18Fp8KVCacheDataTypeE1ES0_Li16ELi64ELi256ELb0ELi4EL8MFMAType0EEvPKT_PKT0_S9_ifPKiSB_SB_iPKfiiiPfSE_PS4_PT2_iSD_SD_
                                        ; -- End function
	.section	.AMDGPU.csdata,"",@progbits
; Kernel info:
; codeLenInByte = 28184
; NumSgprs: 52
; NumVgprs: 63
; NumAgprs: 0
; TotalNumVgprs: 63
; ScratchSize: 0
; MemoryBound: 0
; FloatMode: 240
; IeeeMode: 1
; LDSByteSize: 8192 bytes/workgroup (compile time only)
; SGPRBlocks: 6
; VGPRBlocks: 7
; NumSGPRsForWavesPerEU: 52
; NumVGPRsForWavesPerEU: 63
; AccumOffset: 64
; Occupancy: 8
; WaveLimiterHint : 1
; COMPUTE_PGM_RSRC2:SCRATCH_EN: 0
; COMPUTE_PGM_RSRC2:USER_SGPR: 6
; COMPUTE_PGM_RSRC2:TRAP_HANDLER: 0
; COMPUTE_PGM_RSRC2:TGID_X_EN: 1
; COMPUTE_PGM_RSRC2:TGID_Y_EN: 1
; COMPUTE_PGM_RSRC2:TGID_Z_EN: 1
; COMPUTE_PGM_RSRC2:TIDIG_COMP_CNT: 0
; COMPUTE_PGM_RSRC3_GFX90A:ACCUM_OFFSET: 15
; COMPUTE_PGM_RSRC3_GFX90A:TG_SPLIT: 0
	.section	.text._Z39paged_attention_ll4mi_QKV_mfma16_kernelI14__hip_bfloat16hLN4vllm18Fp8KVCacheDataTypeE1ES0_Li32ELi64ELi256ELb1ELi5EL8MFMAType0EEvPKT_PKT0_S9_ifPKiSB_SB_iPKfiiiPfSE_PS4_PT2_iSD_SD_,"axG",@progbits,_Z39paged_attention_ll4mi_QKV_mfma16_kernelI14__hip_bfloat16hLN4vllm18Fp8KVCacheDataTypeE1ES0_Li32ELi64ELi256ELb1ELi5EL8MFMAType0EEvPKT_PKT0_S9_ifPKiSB_SB_iPKfiiiPfSE_PS4_PT2_iSD_SD_,comdat
	.protected	_Z39paged_attention_ll4mi_QKV_mfma16_kernelI14__hip_bfloat16hLN4vllm18Fp8KVCacheDataTypeE1ES0_Li32ELi64ELi256ELb1ELi5EL8MFMAType0EEvPKT_PKT0_S9_ifPKiSB_SB_iPKfiiiPfSE_PS4_PT2_iSD_SD_ ; -- Begin function _Z39paged_attention_ll4mi_QKV_mfma16_kernelI14__hip_bfloat16hLN4vllm18Fp8KVCacheDataTypeE1ES0_Li32ELi64ELi256ELb1ELi5EL8MFMAType0EEvPKT_PKT0_S9_ifPKiSB_SB_iPKfiiiPfSE_PS4_PT2_iSD_SD_
	.globl	_Z39paged_attention_ll4mi_QKV_mfma16_kernelI14__hip_bfloat16hLN4vllm18Fp8KVCacheDataTypeE1ES0_Li32ELi64ELi256ELb1ELi5EL8MFMAType0EEvPKT_PKT0_S9_ifPKiSB_SB_iPKfiiiPfSE_PS4_PT2_iSD_SD_
	.p2align	8
	.type	_Z39paged_attention_ll4mi_QKV_mfma16_kernelI14__hip_bfloat16hLN4vllm18Fp8KVCacheDataTypeE1ES0_Li32ELi64ELi256ELb1ELi5EL8MFMAType0EEvPKT_PKT0_S9_ifPKiSB_SB_iPKfiiiPfSE_PS4_PT2_iSD_SD_,@function
_Z39paged_attention_ll4mi_QKV_mfma16_kernelI14__hip_bfloat16hLN4vllm18Fp8KVCacheDataTypeE1ES0_Li32ELi64ELi256ELb1ELi5EL8MFMAType0EEvPKT_PKT0_S9_ifPKiSB_SB_iPKfiiiPfSE_PS4_PT2_iSD_SD_: ; @_Z39paged_attention_ll4mi_QKV_mfma16_kernelI14__hip_bfloat16hLN4vllm18Fp8KVCacheDataTypeE1ES0_Li32ELi64ELi256ELb1ELi5EL8MFMAType0EEvPKT_PKT0_S9_ifPKiSB_SB_iPKfiiiPfSE_PS4_PT2_iSD_SD_
; %bb.0:
	s_load_dwordx2 s[0:1], s[4:5], 0x30
	s_mov_b32 s24, s7
	s_mov_b64 s[10:11], 0
	s_waitcnt lgkmcnt(0)
	s_cmp_lg_u64 s[0:1], 0
	s_cselect_b64 s[2:3], -1, 0
	s_and_b64 vcc, exec, s[2:3]
	s_cbranch_vccz .LBB866_7
; %bb.1:
	s_add_i32 s12, s6, 1
	s_mov_b32 s13, 0
	s_lshl_b64 s[14:15], s[12:13], 2
	s_add_u32 s14, s0, s14
	s_mov_b32 s7, s13
	s_addc_u32 s15, s1, s15
	s_lshl_b64 s[12:13], s[6:7], 2
	s_add_u32 s12, s0, s12
	s_addc_u32 s13, s1, s13
	s_load_dword s9, s[14:15], 0x0
	s_load_dword s16, s[12:13], 0x0
	s_waitcnt lgkmcnt(0)
	s_sub_i32 s9, s9, s16
	s_cmp_eq_u32 s9, 1
	s_cselect_b64 s[12:13], -1, 0
	s_andn2_b64 vcc, exec, s[10:11]
	s_cbranch_vccnz .LBB866_3
.LBB866_2:
	s_mov_b32 s7, 0
	s_mov_b64 s[12:13], -1
.LBB866_3:
	s_andn2_b64 vcc, exec, s[12:13]
	s_cbranch_vccnz .LBB866_788
; %bb.4:
	s_load_dwordx2 s[12:13], s[4:5], 0x28
	s_lshl_b64 s[10:11], s[6:7], 2
	s_waitcnt lgkmcnt(0)
	s_add_u32 s12, s12, s10
	s_addc_u32 s13, s13, s11
	s_load_dword s33, s[12:13], 0x0
	s_lshl_b32 s18, s24, 8
	s_waitcnt lgkmcnt(0)
	s_cmp_ge_i32 s18, s33
	s_cbranch_scc1 .LBB866_788
; %bb.5:
	s_add_i32 s14, s33, 31
	s_load_dwordx2 s[12:13], s[4:5], 0x20
	s_load_dword s9, s[4:5], 0x38
	s_ashr_i32 s15, s14, 31
	v_and_b32_e32 v1, 0xcf, v0
	s_lshr_b32 s15, s15, 27
	v_add_u32_e32 v1, s18, v1
	s_add_i32 s14, s14, s15
	v_ashrrev_i32_e32 v2, 31, v1
	s_ashr_i32 s21, s14, 5
	v_lshrrev_b32_e32 v4, 27, v2
	s_add_i32 s21, s21, -1
	v_add_u32_e32 v2, v1, v4
	s_waitcnt lgkmcnt(0)
	s_mul_i32 s14, s6, s9
	s_mov_b32 s15, 0
	v_ashrrev_i32_e32 v2, 5, v2
	v_mov_b32_e32 v5, s21
	v_cmp_gt_i32_e32 vcc, s33, v1
	s_lshl_b64 s[14:15], s[14:15], 2
	v_cndmask_b32_e32 v2, v5, v2, vcc
	s_add_u32 s19, s12, s14
	v_ashrrev_i32_e32 v3, 31, v2
	s_addc_u32 s20, s13, s15
	v_lshlrev_b64 v[2:3], 2, v[2:3]
	v_mov_b32_e32 v7, s20
	v_add_co_u32_e32 v6, vcc, s19, v2
	v_or_b32_e32 v2, 16, v1
	v_addc_co_u32_e32 v7, vcc, v7, v3, vcc
	v_add_u32_e32 v3, v2, v4
	v_ashrrev_i32_e32 v3, 5, v3
	v_cmp_gt_i32_e32 vcc, s33, v2
	v_cndmask_b32_e32 v2, v5, v3, vcc
	v_ashrrev_i32_e32 v3, 31, v2
	v_lshlrev_b64 v[2:3], 2, v[2:3]
	v_mov_b32_e32 v9, s20
	v_add_co_u32_e32 v8, vcc, s19, v2
	v_or_b32_e32 v2, 32, v1
	v_addc_co_u32_e32 v9, vcc, v9, v3, vcc
	v_add_u32_e32 v3, v2, v4
	v_ashrrev_i32_e32 v3, 5, v3
	v_cmp_gt_i32_e32 vcc, s33, v2
	v_cndmask_b32_e32 v2, v5, v3, vcc
	v_ashrrev_i32_e32 v3, 31, v2
	;; [unrolled: 10-line block ×3, first 2 shown]
	v_lshlrev_b64 v[2:3], 2, v[2:3]
	v_mov_b32_e32 v1, s20
	v_add_co_u32_e32 v12, vcc, s19, v2
	v_addc_co_u32_e32 v13, vcc, v1, v3, vcc
	global_load_dword v5, v[6:7], off
	global_load_dword v4, v[8:9], off
	;; [unrolled: 1-line block ×4, first 2 shown]
	s_load_dwordx2 s[16:17], s[4:5], 0x8
	s_andn2_b64 vcc, exec, s[2:3]
	s_cbranch_vccnz .LBB866_8
; %bb.6:
	s_add_u32 s0, s0, s10
	s_addc_u32 s1, s1, s11
	s_load_dword s9, s[0:1], 0x0
	s_branch .LBB866_9
.LBB866_7:
	s_mov_b64 s[12:13], 0
	s_branch .LBB866_2
.LBB866_8:
	s_mov_b32 s9, s6
.LBB866_9:
	s_load_dwordx2 s[2:3], s[4:5], 0x10
	s_load_dwordx4 s[12:15], s[4:5], 0x48
	v_lshrrev_b32_e32 v50, 6, v0
	v_bfe_u32 v1, v0, 4, 2
	v_lshl_or_b32 v6, v50, 2, v1
	v_and_b32_e32 v49, 15, v0
	v_lshlrev_b32_e32 v7, 3, v49
	v_cmp_gt_u32_e32 vcc, 5, v6
	v_cmp_gt_u32_e64 s[0:1], 8, v49
	s_mul_i32 s25, s8, 5
	s_and_b64 s[22:23], s[0:1], vcc
	v_lshlrev_b32_e32 v46, 1, v7
	v_lshlrev_b32_e32 v47, 4, v0
	s_and_saveexec_b64 s[10:11], s[22:23]
	s_cbranch_execz .LBB866_11
; %bb.10:
	s_load_dwordx2 s[22:23], s[4:5], 0x0
	s_waitcnt lgkmcnt(0)
	s_ashr_i32 s15, s12, 31
	s_mul_hi_u32 s26, s9, s12
	s_mul_i32 s15, s9, s15
	s_add_i32 s27, s26, s15
	s_mul_i32 s26, s9, s12
	s_lshl_b64 s[26:27], s[26:27], 1
	v_add_lshl_u32 v8, v6, s25, 6
	s_add_u32 s9, s22, s26
	v_ashrrev_i32_e32 v9, 31, v8
	s_addc_u32 s12, s23, s27
	v_lshlrev_b64 v[8:9], 1, v[8:9]
	v_mov_b32_e32 v7, s12
	v_add_co_u32_e32 v8, vcc, s9, v8
	v_addc_co_u32_e32 v7, vcc, v7, v9, vcc
	v_add_co_u32_e32 v8, vcc, v8, v46
	v_addc_co_u32_e32 v9, vcc, 0, v7, vcc
	global_load_dwordx4 v[8:11], v[8:9], off
	v_lshlrev_b32_e32 v12, 8, v49
	v_lshlrev_b32_e32 v6, 5, v6
	v_and_b32_e32 v7, 16, v47
	v_and_b32_e32 v12, 0xe00, v12
	v_or3_b32 v6, v12, v6, v7
	s_waitcnt vmcnt(0)
	ds_write_b128 v6, v[8:11]
.LBB866_11:
	s_or_b64 exec, exec, s[10:11]
	s_waitcnt lgkmcnt(0)
	s_mul_i32 s10, s8, s14
	s_add_u32 s8, s16, s10
	s_addc_u32 s9, s17, 0
	v_pk_mov_b32 v[8:9], s[8:9], s[8:9] op_sel:[0,1]
	s_waitcnt vmcnt(3)
	v_mad_i64_i32 v[10:11], s[8:9], v5, s13, v[8:9]
	v_lshlrev_b32_e32 v12, 4, v49
	v_and_b32_e32 v6, 48, v0
	v_add_co_u32_e32 v5, vcc, v10, v12
	v_lshlrev_b32_e32 v7, 5, v6
	v_addc_co_u32_e32 v11, vcc, 0, v11, vcc
	v_add_co_u32_e32 v10, vcc, v5, v7
	v_addc_co_u32_e32 v11, vcc, 0, v11, vcc
	s_waitcnt vmcnt(2)
	v_mad_i64_i32 v[4:5], s[8:9], v4, s13, v[8:9]
	v_or_b32_e32 v13, 0x100, v12
	v_add_co_u32_e32 v4, vcc, v4, v13
	v_addc_co_u32_e32 v5, vcc, 0, v5, vcc
	v_add_co_u32_e32 v4, vcc, v4, v7
	v_addc_co_u32_e32 v5, vcc, 0, v5, vcc
	s_barrier
	global_load_dwordx4 v[34:37], v[10:11], off
	global_load_dwordx4 v[38:41], v[4:5], off
	s_waitcnt vmcnt(3)
	v_mad_i64_i32 v[4:5], s[8:9], v3, s13, v[8:9]
	v_add_co_u32_e32 v3, vcc, v4, v12
	v_addc_co_u32_e32 v5, vcc, 0, v5, vcc
	v_add_co_u32_e32 v4, vcc, v3, v7
	v_addc_co_u32_e32 v5, vcc, 0, v5, vcc
	s_waitcnt vmcnt(2)
	v_mad_i64_i32 v[2:3], s[8:9], v2, s13, v[8:9]
	v_add_co_u32_e32 v2, vcc, v2, v13
	v_addc_co_u32_e32 v3, vcc, 0, v3, vcc
	v_add_co_u32_e32 v2, vcc, v2, v7
	v_addc_co_u32_e32 v3, vcc, 0, v3, vcc
	global_load_dwordx4 v[30:33], v[4:5], off
	global_load_dwordx4 v[22:25], v[2:3], off
	v_mul_lo_u16_e32 v2, 52, v49
	v_mov_b32_e32 v3, 5
	v_mul_lo_u16_sdwa v2, v2, v3 dst_sel:DWORD dst_unused:UNUSED_PAD src0_sel:BYTE_1 src1_sel:DWORD
	v_sub_u16_e32 v2, v49, v2
	v_lshlrev_b32_sdwa v2, v3, v2 dst_sel:DWORD dst_unused:UNUSED_PAD src0_sel:DWORD src1_sel:BYTE_0
	v_lshl_add_u32 v2, v1, 9, v2
	ds_read_b128 v[26:29], v2
	ds_read_b128 v[18:21], v2 offset:16
	v_cmp_gt_u32_e32 vcc, 5, v49
	v_mov_b32_e32 v43, 0
	v_mov_b32_e32 v51, 0
	s_and_saveexec_b64 s[8:9], vcc
	s_cbranch_execz .LBB866_13
; %bb.12:
	s_load_dwordx2 s[14:15], s[4:5], 0x40
	v_add_u32_e32 v2, s25, v49
	v_ashrrev_i32_e32 v3, 31, v2
	v_lshlrev_b64 v[2:3], 2, v[2:3]
	s_waitcnt lgkmcnt(0)
	v_mov_b32_e32 v4, s15
	v_add_co_u32_e32 v2, vcc, s14, v2
	v_addc_co_u32_e32 v3, vcc, v4, v3, vcc
	global_load_dword v51, v[2:3], off
.LBB866_13:
	s_or_b64 exec, exec, s[8:9]
	s_ashr_i32 s8, s18, 31
	v_or_b32_e32 v8, s18, v6
	s_lshr_b32 s8, s8, 27
	v_add_u32_e32 v2, s8, v8
	v_ashrrev_i32_e32 v2, 5, v2
	v_mov_b32_e32 v9, s21
	v_cmp_gt_i32_e32 vcc, s33, v8
	v_cndmask_b32_e32 v2, v9, v2, vcc
	v_ashrrev_i32_e32 v3, 31, v2
	v_lshlrev_b64 v[2:3], 2, v[2:3]
	v_mov_b32_e32 v4, s20
	v_add_co_u32_e32 v2, vcc, s19, v2
	v_addc_co_u32_e32 v3, vcc, v4, v3, vcc
	v_or_b32_e32 v4, 64, v8
	v_add_u32_e32 v5, s8, v4
	v_ashrrev_i32_e32 v5, 5, v5
	v_cmp_gt_i32_e32 vcc, s33, v4
	v_cndmask_b32_e32 v4, v9, v5, vcc
	v_ashrrev_i32_e32 v5, 31, v4
	v_lshlrev_b64 v[4:5], 2, v[4:5]
	v_mov_b32_e32 v6, s20
	v_add_co_u32_e32 v4, vcc, s19, v4
	v_addc_co_u32_e32 v5, vcc, v6, v5, vcc
	v_or_b32_e32 v6, 0x80, v8
	v_add_u32_e32 v7, s8, v6
	v_ashrrev_i32_e32 v7, 5, v7
	v_cmp_gt_i32_e32 vcc, s33, v6
	v_cndmask_b32_e32 v6, v9, v7, vcc
	v_ashrrev_i32_e32 v7, 31, v6
	v_lshlrev_b64 v[6:7], 2, v[6:7]
	v_mov_b32_e32 v10, s20
	v_add_co_u32_e32 v6, vcc, s19, v6
	v_addc_co_u32_e32 v7, vcc, v10, v7, vcc
	global_load_dword v10, v[2:3], off
	global_load_dword v11, v[4:5], off
	;; [unrolled: 1-line block ×3, first 2 shown]
	v_or_b32_e32 v2, 0xc0, v8
	v_add_u32_e32 v3, s8, v2
	v_ashrrev_i32_e32 v3, 5, v3
	v_cmp_gt_i32_e32 vcc, s33, v2
	v_cndmask_b32_e32 v2, v9, v3, vcc
	v_ashrrev_i32_e32 v3, 31, v2
	v_lshlrev_b64 v[2:3], 2, v[2:3]
	v_mov_b32_e32 v4, s20
	v_add_co_u32_e32 v2, vcc, s19, v2
	v_addc_co_u32_e32 v3, vcc, v4, v3, vcc
	global_load_dword v13, v[2:3], off
	s_add_u32 s2, s2, s10
	v_and_b32_e32 v2, 16, v0
	s_addc_u32 s3, s3, 0
	v_lshlrev_b32_e32 v48, 5, v49
	v_mov_b32_e32 v4, s3
	v_add_co_u32_e32 v2, vcc, s2, v2
	v_lshl_or_b32 v3, v50, 9, v48
	v_addc_co_u32_e32 v4, vcc, 0, v4, vcc
	v_add_co_u32_e32 v2, vcc, v2, v3
	v_addc_co_u32_e32 v3, vcc, 0, v4, vcc
	s_movk_i32 s8, 0x80
	s_waitcnt vmcnt(7)
	v_cmp_ne_u16_sdwa s[10:11], v34, v43 src0_sel:BYTE_0 src1_sel:DWORD
	s_waitcnt vmcnt(3)
	v_mad_i64_i32 v[4:5], s[2:3], v10, s13, v[2:3]
	s_waitcnt vmcnt(2)
	v_mad_i64_i32 v[6:7], s[2:3], v11, s13, v[2:3]
	;; [unrolled: 2-line block ×4, first 2 shown]
	global_load_dwordx4 v[14:17], v[4:5], off
	global_load_dwordx4 v[10:13], v[6:7], off
	s_nop 0
	global_load_dwordx4 v[6:9], v[8:9], off
	s_nop 0
	global_load_dwordx4 v[2:5], v[2:3], off
	s_load_dwordx4 s[40:43], s[4:5], 0x80
	s_load_dwordx2 s[44:45], s[4:5], 0x94
	s_waitcnt lgkmcnt(0)
	s_load_dword s12, s[40:41], 0x0
	s_and_saveexec_b64 s[2:3], s[10:11]
	s_cbranch_execz .LBB866_19
; %bb.14:
	v_cmp_ne_u16_sdwa s[10:11], v34, s8 src0_sel:BYTE_0 src1_sel:DWORD
	v_mov_b32_e32 v43, 0xffff8000
	s_and_saveexec_b64 s[8:9], s[10:11]
	s_cbranch_execz .LBB866_18
; %bb.15:
	s_movk_i32 s10, 0x7f
	v_and_b32_e32 v42, 0x7f, v34
	v_cmp_ne_u32_e32 vcc, s10, v42
	v_mov_b32_e32 v43, 0x7f80
	s_and_saveexec_b64 s[10:11], vcc
	s_cbranch_execz .LBB866_17
; %bb.16:
	v_and_b32_e32 v43, 7, v34
	v_ffbh_u32_e32 v44, v43
	v_min_u32_e32 v53, 32, v44
	v_subrev_u32_e32 v44, 28, v53
	v_lshlrev_b64 v[44:45], v44, v[34:35]
	v_lshrrev_b32_e32 v52, 3, v42
	v_sub_u32_e32 v45, 29, v53
	v_and_b32_e32 v44, 7, v44
	v_cmp_gt_u32_e32 vcc, 8, v42
	v_cndmask_b32_e32 v42, v52, v45, vcc
	v_cndmask_b32_e32 v43, v43, v44, vcc
	v_lshlrev_b32_e32 v44, 24, v34
	v_bfrev_b32_e32 v45, 60
	v_lshlrev_b32_e32 v43, 20, v43
	v_and_b32_e32 v44, 0x80000000, v44
	v_lshl_add_u32 v42, v42, 23, v45
	v_or3_b32 v42, v44, v42, v43
	v_lshrrev_b32_e32 v43, 16, v42
.LBB866_17:
	s_or_b64 exec, exec, s[10:11]
.LBB866_18:
	s_or_b64 exec, exec, s[8:9]
.LBB866_19:
	s_or_b64 exec, exec, s[2:3]
	v_lshrrev_b16_e32 v42, 8, v34
	v_cmp_ne_u16_e32 vcc, 0, v42
	v_mov_b32_e32 v45, 0
	v_mov_b32_e32 v44, 0
	s_and_saveexec_b64 s[2:3], vcc
	s_cbranch_execz .LBB866_25
; %bb.20:
	s_movk_i32 s8, 0x80
	v_cmp_ne_u16_e32 vcc, s8, v42
	v_mov_b32_e32 v44, 0xffff8000
	s_and_saveexec_b64 s[8:9], vcc
	s_cbranch_execz .LBB866_24
; %bb.21:
	s_movk_i32 s10, 0x7f
	v_and_b32_e32 v52, 0x7f, v42
	v_cmp_ne_u32_e32 vcc, s10, v52
	v_mov_b32_e32 v44, 0x7f80
	s_and_saveexec_b64 s[10:11], vcc
	s_cbranch_execz .LBB866_23
; %bb.22:
	v_and_b32_e32 v44, 7, v42
	v_ffbh_u32_e32 v54, v44
	v_min_u32_e32 v56, 32, v54
	v_subrev_u32_e32 v54, 28, v56
	v_lshlrev_b64 v[54:55], v54, v[42:43]
	v_lshrrev_b32_e32 v53, 3, v52
	v_sub_u32_e32 v42, 29, v56
	v_and_b32_e32 v54, 7, v54
	v_cmp_gt_u32_e32 vcc, 8, v52
	v_cndmask_b32_e32 v42, v53, v42, vcc
	v_cndmask_b32_e32 v44, v44, v54, vcc
	v_lshlrev_b32_e32 v52, 16, v34
	v_bfrev_b32_e32 v53, 60
	v_lshlrev_b32_e32 v44, 20, v44
	v_and_b32_e32 v52, 0x80000000, v52
	v_lshl_add_u32 v42, v42, 23, v53
	v_or3_b32 v42, v52, v42, v44
	v_lshrrev_b32_e32 v44, 16, v42
.LBB866_23:
	s_or_b64 exec, exec, s[10:11]
.LBB866_24:
	s_or_b64 exec, exec, s[8:9]
.LBB866_25:
	s_or_b64 exec, exec, s[2:3]
	s_movk_i32 s2, 0xff
	v_and_b32_sdwa v52, v34, s2 dst_sel:DWORD dst_unused:UNUSED_PAD src0_sel:WORD_1 src1_sel:DWORD
	v_lshrrev_b32_e32 v42, 16, v34
	v_cmp_ne_u16_e32 vcc, 0, v52
	s_and_saveexec_b64 s[2:3], vcc
	s_cbranch_execz .LBB866_31
; %bb.26:
	s_movk_i32 s8, 0x80
	v_cmp_ne_u16_e32 vcc, s8, v52
	v_mov_b32_e32 v45, 0xffff8000
	s_and_saveexec_b64 s[8:9], vcc
	s_cbranch_execz .LBB866_30
; %bb.27:
	v_bfe_u32 v52, v34, 16, 7
	s_movk_i32 s10, 0x7f
	v_cmp_ne_u32_e32 vcc, s10, v52
	v_mov_b32_e32 v45, 0x7f80
	s_and_saveexec_b64 s[10:11], vcc
	s_cbranch_execz .LBB866_29
; %bb.28:
	v_and_b32_e32 v45, 7, v42
	v_ffbh_u32_e32 v54, v45
	v_min_u32_e32 v56, 32, v54
	v_subrev_u32_e32 v54, 28, v56
	v_lshlrev_b64 v[54:55], v54, v[42:43]
	v_lshrrev_b32_e32 v53, 3, v52
	v_sub_u32_e32 v42, 29, v56
	v_and_b32_e32 v54, 7, v54
	v_cmp_gt_u32_e32 vcc, 8, v52
	v_mov_b32_e32 v52, 24
	v_cndmask_b32_e32 v42, v53, v42, vcc
	v_cndmask_b32_e32 v45, v45, v54, vcc
	v_lshlrev_b32_sdwa v52, v52, v34 dst_sel:DWORD dst_unused:UNUSED_PAD src0_sel:DWORD src1_sel:WORD_1
	v_bfrev_b32_e32 v53, 60
	v_lshlrev_b32_e32 v45, 20, v45
	v_and_b32_e32 v52, 0x80000000, v52
	v_lshl_add_u32 v42, v42, 23, v53
	v_or3_b32 v42, v52, v42, v45
	v_lshrrev_b32_e32 v45, 16, v42
.LBB866_29:
	s_or_b64 exec, exec, s[10:11]
.LBB866_30:
	s_or_b64 exec, exec, s[8:9]
.LBB866_31:
	s_or_b64 exec, exec, s[2:3]
	s_mov_b32 s2, 0xffffff
	v_cmp_lt_u32_e32 vcc, s2, v34
	v_mov_b32_e32 v53, 0
	v_mov_b32_e32 v54, 0
	s_and_saveexec_b64 s[2:3], vcc
	s_cbranch_execz .LBB866_37
; %bb.32:
	v_lshrrev_b32_e32 v42, 24, v34
	s_movk_i32 s8, 0x80
	v_cmp_ne_u32_e32 vcc, s8, v42
	v_mov_b32_e32 v54, 0xffff8000
	s_and_saveexec_b64 s[8:9], vcc
	s_cbranch_execz .LBB866_36
; %bb.33:
	v_bfe_u32 v34, v34, 24, 7
	s_movk_i32 s10, 0x7f
	v_cmp_ne_u32_e32 vcc, s10, v34
	v_mov_b32_e32 v54, 0x7f80
	s_and_saveexec_b64 s[10:11], vcc
	s_cbranch_execz .LBB866_35
; %bb.34:
	v_and_b32_e32 v52, 7, v42
	v_ffbh_u32_e32 v54, v52
	v_min_u32_e32 v57, 32, v54
	v_subrev_u32_e32 v54, 28, v57
	v_lshlrev_b64 v[54:55], v54, v[42:43]
	v_lshrrev_b32_e32 v56, 3, v34
	v_sub_u32_e32 v55, 29, v57
	v_and_b32_e32 v54, 7, v54
	v_cmp_gt_u32_e32 vcc, 8, v34
	v_cndmask_b32_e32 v34, v56, v55, vcc
	v_cndmask_b32_e32 v52, v52, v54, vcc
	v_lshlrev_b32_e32 v42, 24, v42
	v_bfrev_b32_e32 v54, 60
	v_lshlrev_b32_e32 v52, 20, v52
	v_and_b32_e32 v42, 0x80000000, v42
	v_lshl_add_u32 v34, v34, 23, v54
	v_or3_b32 v34, v42, v34, v52
	v_lshrrev_b32_e32 v54, 16, v34
.LBB866_35:
	s_or_b64 exec, exec, s[10:11]
.LBB866_36:
	s_or_b64 exec, exec, s[8:9]
.LBB866_37:
	s_or_b64 exec, exec, s[2:3]
	v_cmp_ne_u16_sdwa s[8:9], v35, v53 src0_sel:BYTE_0 src1_sel:DWORD
	s_and_saveexec_b64 s[2:3], s[8:9]
	s_cbranch_execz .LBB866_43
; %bb.38:
	s_movk_i32 s8, 0x80
	v_cmp_ne_u16_sdwa s[10:11], v35, s8 src0_sel:BYTE_0 src1_sel:DWORD
	v_mov_b32_e32 v53, 0xffff8000
	s_and_saveexec_b64 s[8:9], s[10:11]
	s_cbranch_execz .LBB866_42
; %bb.39:
	s_movk_i32 s10, 0x7f
	v_and_b32_e32 v34, 0x7f, v35
	v_cmp_ne_u32_e32 vcc, s10, v34
	v_mov_b32_e32 v53, 0x7f80
	s_and_saveexec_b64 s[10:11], vcc
	s_cbranch_execz .LBB866_41
; %bb.40:
	v_and_b32_e32 v55, 7, v35
	v_ffbh_u32_e32 v52, v55
	v_min_u32_e32 v57, 32, v52
	v_mov_b32_e32 v42, v35
	v_subrev_u32_e32 v52, 28, v57
	v_lshlrev_b64 v[52:53], v52, v[42:43]
	v_lshrrev_b32_e32 v56, 3, v34
	v_sub_u32_e32 v42, 29, v57
	v_and_b32_e32 v52, 7, v52
	v_cmp_gt_u32_e32 vcc, 8, v34
	v_cndmask_b32_e32 v34, v56, v42, vcc
	v_cndmask_b32_e32 v42, v55, v52, vcc
	v_lshlrev_b32_e32 v52, 24, v35
	v_bfrev_b32_e32 v53, 60
	v_lshlrev_b32_e32 v42, 20, v42
	v_and_b32_e32 v52, 0x80000000, v52
	v_lshl_add_u32 v34, v34, 23, v53
	v_or3_b32 v34, v52, v34, v42
	v_lshrrev_b32_e32 v53, 16, v34
.LBB866_41:
	s_or_b64 exec, exec, s[10:11]
.LBB866_42:
	s_or_b64 exec, exec, s[8:9]
.LBB866_43:
	s_or_b64 exec, exec, s[2:3]
	v_lshrrev_b16_e32 v34, 8, v35
	v_cmp_ne_u16_e32 vcc, 0, v34
	v_mov_b32_e32 v55, 0
	v_mov_b32_e32 v42, 0
	s_and_saveexec_b64 s[2:3], vcc
	s_cbranch_execz .LBB866_49
; %bb.44:
	s_movk_i32 s8, 0x80
	v_cmp_ne_u16_e32 vcc, s8, v34
	v_mov_b32_e32 v42, 0xffff8000
	s_and_saveexec_b64 s[8:9], vcc
	s_cbranch_execz .LBB866_48
; %bb.45:
	s_movk_i32 s10, 0x7f
	v_and_b32_e32 v52, 0x7f, v34
	v_cmp_ne_u32_e32 vcc, s10, v52
	v_mov_b32_e32 v42, 0x7f80
	s_and_saveexec_b64 s[10:11], vcc
	s_cbranch_execz .LBB866_47
; %bb.46:
	v_and_b32_e32 v42, 7, v34
	v_ffbh_u32_e32 v56, v42
	v_min_u32_e32 v59, 32, v56
	v_subrev_u32_e32 v56, 28, v59
	v_lshlrev_b64 v[56:57], v56, v[34:35]
	v_lshrrev_b32_e32 v58, 3, v52
	v_sub_u32_e32 v34, 29, v59
	v_and_b32_e32 v56, 7, v56
	v_cmp_gt_u32_e32 vcc, 8, v52
	v_cndmask_b32_e32 v34, v58, v34, vcc
	v_cndmask_b32_e32 v42, v42, v56, vcc
	v_lshlrev_b32_e32 v52, 16, v35
	v_bfrev_b32_e32 v56, 60
	v_lshlrev_b32_e32 v42, 20, v42
	v_and_b32_e32 v52, 0x80000000, v52
	v_lshl_add_u32 v34, v34, 23, v56
	v_or3_b32 v34, v52, v34, v42
	v_lshrrev_b32_e32 v42, 16, v34
.LBB866_47:
	s_or_b64 exec, exec, s[10:11]
.LBB866_48:
	s_or_b64 exec, exec, s[8:9]
.LBB866_49:
	s_or_b64 exec, exec, s[2:3]
	s_movk_i32 s2, 0xff
	v_and_b32_sdwa v52, v35, s2 dst_sel:DWORD dst_unused:UNUSED_PAD src0_sel:WORD_1 src1_sel:DWORD
	v_lshrrev_b32_e32 v34, 16, v35
	v_cmp_ne_u16_e32 vcc, 0, v52
	s_and_saveexec_b64 s[2:3], vcc
	s_cbranch_execz .LBB866_55
; %bb.50:
	s_movk_i32 s8, 0x80
	v_cmp_ne_u16_e32 vcc, s8, v52
	v_mov_b32_e32 v55, 0xffff8000
	s_and_saveexec_b64 s[8:9], vcc
	s_cbranch_execz .LBB866_54
; %bb.51:
	v_bfe_u32 v52, v35, 16, 7
	s_movk_i32 s10, 0x7f
	v_cmp_ne_u32_e32 vcc, s10, v52
	v_mov_b32_e32 v55, 0x7f80
	s_and_saveexec_b64 s[10:11], vcc
	s_cbranch_execz .LBB866_53
; %bb.52:
	v_and_b32_e32 v55, 7, v34
	v_ffbh_u32_e32 v56, v55
	v_min_u32_e32 v59, 32, v56
	v_subrev_u32_e32 v56, 28, v59
	v_lshlrev_b64 v[56:57], v56, v[34:35]
	v_and_b32_e32 v56, 7, v56
	v_cmp_gt_u32_e32 vcc, 8, v52
	v_lshrrev_b32_e32 v58, 3, v52
	v_sub_u32_e32 v34, 29, v59
	v_cndmask_b32_e32 v52, v55, v56, vcc
	v_mov_b32_e32 v55, 24
	v_cndmask_b32_e32 v34, v58, v34, vcc
	v_lshlrev_b32_sdwa v55, v55, v35 dst_sel:DWORD dst_unused:UNUSED_PAD src0_sel:DWORD src1_sel:WORD_1
	v_bfrev_b32_e32 v56, 60
	v_lshlrev_b32_e32 v52, 20, v52
	v_and_b32_e32 v55, 0x80000000, v55
	v_lshl_add_u32 v34, v34, 23, v56
	v_or3_b32 v34, v55, v34, v52
	v_lshrrev_b32_e32 v55, 16, v34
.LBB866_53:
	s_or_b64 exec, exec, s[10:11]
.LBB866_54:
	s_or_b64 exec, exec, s[8:9]
.LBB866_55:
	s_or_b64 exec, exec, s[2:3]
	s_mov_b32 s2, 0xffffff
	v_cmp_lt_u32_e32 vcc, s2, v35
	v_mov_b32_e32 v52, 0
	v_mov_b32_e32 v56, 0
	s_and_saveexec_b64 s[2:3], vcc
	s_cbranch_execz .LBB866_61
; %bb.56:
	v_lshrrev_b32_e32 v34, 24, v35
	s_movk_i32 s8, 0x80
	v_cmp_ne_u32_e32 vcc, s8, v34
	v_mov_b32_e32 v56, 0xffff8000
	s_and_saveexec_b64 s[8:9], vcc
	s_cbranch_execz .LBB866_60
; %bb.57:
	v_bfe_u32 v35, v35, 24, 7
	s_movk_i32 s10, 0x7f
	v_cmp_ne_u32_e32 vcc, s10, v35
	v_mov_b32_e32 v56, 0x7f80
	s_and_saveexec_b64 s[10:11], vcc
	s_cbranch_execz .LBB866_59
; %bb.58:
	v_and_b32_e32 v58, 7, v34
	v_ffbh_u32_e32 v56, v58
	v_min_u32_e32 v60, 32, v56
	v_subrev_u32_e32 v56, 28, v60
	v_lshlrev_b64 v[56:57], v56, v[34:35]
	v_lshrrev_b32_e32 v59, 3, v35
	v_sub_u32_e32 v57, 29, v60
	v_and_b32_e32 v56, 7, v56
	v_cmp_gt_u32_e32 vcc, 8, v35
	v_cndmask_b32_e32 v35, v59, v57, vcc
	v_cndmask_b32_e32 v56, v58, v56, vcc
	v_lshlrev_b32_e32 v34, 24, v34
	v_bfrev_b32_e32 v57, 60
	v_lshlrev_b32_e32 v56, 20, v56
	v_and_b32_e32 v34, 0x80000000, v34
	v_lshl_add_u32 v35, v35, 23, v57
	v_or3_b32 v34, v34, v35, v56
	v_lshrrev_b32_e32 v56, 16, v34
.LBB866_59:
	s_or_b64 exec, exec, s[10:11]
.LBB866_60:
	s_or_b64 exec, exec, s[8:9]
.LBB866_61:
	s_or_b64 exec, exec, s[2:3]
	s_mov_b32 s2, 0x5040100
	v_perm_b32 v35, v54, v45, s2
	v_perm_b32 v34, v44, v43, s2
	v_cmp_ne_u16_sdwa s[8:9], v36, v52 src0_sel:BYTE_0 src1_sel:DWORD
	s_nop 0
	v_mfma_f32_16x16x16bf16_1k v[58:61], v[34:35], v[26:27], 0
	v_perm_b32 v35, v56, v55, s2
	v_perm_b32 v34, v42, v53, s2
	s_nop 1
	v_mfma_f32_16x16x16bf16_1k v[42:45], v[34:35], v[28:29], v[58:61]
	s_and_saveexec_b64 s[2:3], s[8:9]
	s_cbranch_execz .LBB866_67
; %bb.62:
	s_movk_i32 s8, 0x80
	v_cmp_ne_u16_sdwa s[10:11], v36, s8 src0_sel:BYTE_0 src1_sel:DWORD
	v_mov_b32_e32 v52, 0xffff8000
	s_and_saveexec_b64 s[8:9], s[10:11]
	s_cbranch_execz .LBB866_66
; %bb.63:
	s_movk_i32 s10, 0x7f
	v_and_b32_e32 v34, 0x7f, v36
	v_cmp_ne_u32_e32 vcc, s10, v34
	v_mov_b32_e32 v52, 0x7f80
	s_and_saveexec_b64 s[10:11], vcc
	s_cbranch_execz .LBB866_65
; %bb.64:
	v_and_b32_e32 v35, 7, v36
	v_ffbh_u32_e32 v52, v35
	v_min_u32_e32 v55, 32, v52
	v_subrev_u32_e32 v52, 28, v55
	v_lshlrev_b64 v[52:53], v52, v[36:37]
	v_lshrrev_b32_e32 v54, 3, v34
	v_sub_u32_e32 v53, 29, v55
	v_and_b32_e32 v52, 7, v52
	v_cmp_gt_u32_e32 vcc, 8, v34
	v_cndmask_b32_e32 v34, v54, v53, vcc
	v_cndmask_b32_e32 v35, v35, v52, vcc
	v_lshlrev_b32_e32 v52, 24, v36
	v_bfrev_b32_e32 v53, 60
	v_lshlrev_b32_e32 v35, 20, v35
	v_and_b32_e32 v52, 0x80000000, v52
	v_lshl_add_u32 v34, v34, 23, v53
	v_or3_b32 v34, v52, v34, v35
	v_lshrrev_b32_e32 v52, 16, v34
.LBB866_65:
	s_or_b64 exec, exec, s[10:11]
.LBB866_66:
	s_or_b64 exec, exec, s[8:9]
.LBB866_67:
	s_or_b64 exec, exec, s[2:3]
	v_lshrrev_b16_e32 v34, 8, v36
	v_cmp_ne_u16_e32 vcc, 0, v34
	v_mov_b32_e32 v54, 0
	v_mov_b32_e32 v35, 0
	s_and_saveexec_b64 s[2:3], vcc
	s_cbranch_execz .LBB866_73
; %bb.68:
	s_movk_i32 s8, 0x80
	v_cmp_ne_u16_e32 vcc, s8, v34
	v_mov_b32_e32 v35, 0xffff8000
	s_and_saveexec_b64 s[8:9], vcc
	s_cbranch_execz .LBB866_72
; %bb.69:
	s_movk_i32 s10, 0x7f
	v_and_b32_e32 v53, 0x7f, v34
	v_cmp_ne_u32_e32 vcc, s10, v53
	v_mov_b32_e32 v35, 0x7f80
	s_and_saveexec_b64 s[10:11], vcc
	s_cbranch_execz .LBB866_71
; %bb.70:
	v_and_b32_e32 v55, 7, v34
	v_ffbh_u32_e32 v35, v55
	v_min_u32_e32 v57, 32, v35
	v_subrev_u32_e32 v35, 28, v57
	v_lshlrev_b64 v[34:35], v35, v[34:35]
	v_lshrrev_b32_e32 v56, 3, v53
	v_sub_u32_e32 v35, 29, v57
	v_and_b32_e32 v34, 7, v34
	v_cmp_gt_u32_e32 vcc, 8, v53
	v_cndmask_b32_e32 v35, v56, v35, vcc
	v_cndmask_b32_e32 v34, v55, v34, vcc
	v_lshlrev_b32_e32 v53, 16, v36
	v_bfrev_b32_e32 v55, 60
	v_lshlrev_b32_e32 v34, 20, v34
	v_and_b32_e32 v53, 0x80000000, v53
	v_lshl_add_u32 v35, v35, 23, v55
	v_or3_b32 v34, v53, v35, v34
	v_lshrrev_b32_e32 v35, 16, v34
.LBB866_71:
	s_or_b64 exec, exec, s[10:11]
.LBB866_72:
	s_or_b64 exec, exec, s[8:9]
.LBB866_73:
	s_or_b64 exec, exec, s[2:3]
	s_movk_i32 s2, 0xff
	v_and_b32_sdwa v53, v36, s2 dst_sel:DWORD dst_unused:UNUSED_PAD src0_sel:WORD_1 src1_sel:DWORD
	v_lshrrev_b32_e32 v34, 16, v36
	v_cmp_ne_u16_e32 vcc, 0, v53
	s_and_saveexec_b64 s[2:3], vcc
	s_cbranch_execz .LBB866_79
; %bb.74:
	s_movk_i32 s8, 0x80
	v_cmp_ne_u16_e32 vcc, s8, v53
	v_mov_b32_e32 v54, 0xffff8000
	s_and_saveexec_b64 s[8:9], vcc
	s_cbranch_execz .LBB866_78
; %bb.75:
	v_bfe_u32 v53, v36, 16, 7
	s_movk_i32 s10, 0x7f
	v_cmp_ne_u32_e32 vcc, s10, v53
	v_mov_b32_e32 v54, 0x7f80
	s_and_saveexec_b64 s[10:11], vcc
	s_cbranch_execz .LBB866_77
; %bb.76:
	v_and_b32_e32 v56, 7, v34
	v_ffbh_u32_e32 v54, v56
	v_min_u32_e32 v58, 32, v54
	v_subrev_u32_e32 v54, 28, v58
	v_lshlrev_b64 v[54:55], v54, v[34:35]
	v_and_b32_e32 v54, 7, v54
	v_cmp_gt_u32_e32 vcc, 8, v53
	v_lshrrev_b32_e32 v57, 3, v53
	v_sub_u32_e32 v34, 29, v58
	v_cndmask_b32_e32 v53, v56, v54, vcc
	v_mov_b32_e32 v54, 24
	v_cndmask_b32_e32 v34, v57, v34, vcc
	v_lshlrev_b32_sdwa v54, v54, v36 dst_sel:DWORD dst_unused:UNUSED_PAD src0_sel:DWORD src1_sel:WORD_1
	v_bfrev_b32_e32 v55, 60
	v_lshlrev_b32_e32 v53, 20, v53
	v_and_b32_e32 v54, 0x80000000, v54
	v_lshl_add_u32 v34, v34, 23, v55
	v_or3_b32 v34, v54, v34, v53
	v_lshrrev_b32_e32 v54, 16, v34
.LBB866_77:
	s_or_b64 exec, exec, s[10:11]
.LBB866_78:
	s_or_b64 exec, exec, s[8:9]
.LBB866_79:
	s_or_b64 exec, exec, s[2:3]
	s_mov_b32 s2, 0xffffff
	v_cmp_lt_u32_e32 vcc, s2, v36
	v_mov_b32_e32 v55, 0
	v_mov_b32_e32 v56, 0
	s_and_saveexec_b64 s[2:3], vcc
	s_cbranch_execz .LBB866_85
; %bb.80:
	v_lshrrev_b32_e32 v34, 24, v36
	s_movk_i32 s8, 0x80
	v_cmp_ne_u32_e32 vcc, s8, v34
	v_mov_b32_e32 v56, 0xffff8000
	s_and_saveexec_b64 s[8:9], vcc
	s_cbranch_execz .LBB866_84
; %bb.81:
	v_bfe_u32 v36, v36, 24, 7
	s_movk_i32 s10, 0x7f
	v_cmp_ne_u32_e32 vcc, s10, v36
	v_mov_b32_e32 v56, 0x7f80
	s_and_saveexec_b64 s[10:11], vcc
	s_cbranch_execz .LBB866_83
; %bb.82:
	v_and_b32_e32 v53, 7, v34
	v_ffbh_u32_e32 v56, v53
	v_min_u32_e32 v59, 32, v56
	v_subrev_u32_e32 v56, 28, v59
	v_lshlrev_b64 v[56:57], v56, v[34:35]
	v_lshrrev_b32_e32 v58, 3, v36
	v_sub_u32_e32 v57, 29, v59
	v_and_b32_e32 v56, 7, v56
	v_cmp_gt_u32_e32 vcc, 8, v36
	v_cndmask_b32_e32 v36, v58, v57, vcc
	v_cndmask_b32_e32 v53, v53, v56, vcc
	v_lshlrev_b32_e32 v34, 24, v34
	v_bfrev_b32_e32 v56, 60
	v_lshlrev_b32_e32 v53, 20, v53
	v_and_b32_e32 v34, 0x80000000, v34
	v_lshl_add_u32 v36, v36, 23, v56
	v_or3_b32 v34, v34, v36, v53
	v_lshrrev_b32_e32 v56, 16, v34
.LBB866_83:
	s_or_b64 exec, exec, s[10:11]
.LBB866_84:
	s_or_b64 exec, exec, s[8:9]
.LBB866_85:
	s_or_b64 exec, exec, s[2:3]
	v_cmp_ne_u16_sdwa s[8:9], v37, v55 src0_sel:BYTE_0 src1_sel:DWORD
	s_and_saveexec_b64 s[2:3], s[8:9]
	s_cbranch_execz .LBB866_91
; %bb.86:
	s_movk_i32 s8, 0x80
	v_cmp_ne_u16_sdwa s[10:11], v37, s8 src0_sel:BYTE_0 src1_sel:DWORD
	v_mov_b32_e32 v55, 0xffff8000
	s_and_saveexec_b64 s[8:9], s[10:11]
	s_cbranch_execz .LBB866_90
; %bb.87:
	s_movk_i32 s10, 0x7f
	v_and_b32_e32 v34, 0x7f, v37
	v_cmp_ne_u32_e32 vcc, s10, v34
	v_mov_b32_e32 v55, 0x7f80
	s_and_saveexec_b64 s[10:11], vcc
	s_cbranch_execz .LBB866_89
; %bb.88:
	v_and_b32_e32 v53, 7, v37
	v_ffbh_u32_e32 v57, v53
	v_min_u32_e32 v57, 32, v57
	v_mov_b32_e32 v36, v37
	v_subrev_u32_e32 v58, 28, v57
	v_lshlrev_b64 v[58:59], v58, v[36:37]
	v_lshrrev_b32_e32 v55, 3, v34
	v_sub_u32_e32 v36, 29, v57
	v_and_b32_e32 v57, 7, v58
	v_cmp_gt_u32_e32 vcc, 8, v34
	v_cndmask_b32_e32 v34, v55, v36, vcc
	v_cndmask_b32_e32 v36, v53, v57, vcc
	v_lshlrev_b32_e32 v53, 24, v37
	v_bfrev_b32_e32 v55, 60
	v_lshlrev_b32_e32 v36, 20, v36
	v_and_b32_e32 v53, 0x80000000, v53
	v_lshl_add_u32 v34, v34, 23, v55
	v_or3_b32 v34, v53, v34, v36
	v_lshrrev_b32_e32 v55, 16, v34
.LBB866_89:
	s_or_b64 exec, exec, s[10:11]
.LBB866_90:
	s_or_b64 exec, exec, s[8:9]
.LBB866_91:
	s_or_b64 exec, exec, s[2:3]
	v_lshrrev_b16_e32 v34, 8, v37
	v_cmp_ne_u16_e32 vcc, 0, v34
	v_mov_b32_e32 v57, 0
	v_mov_b32_e32 v36, 0
	s_and_saveexec_b64 s[2:3], vcc
	s_cbranch_execz .LBB866_97
; %bb.92:
	s_movk_i32 s8, 0x80
	v_cmp_ne_u16_e32 vcc, s8, v34
	v_mov_b32_e32 v36, 0xffff8000
	s_and_saveexec_b64 s[8:9], vcc
	s_cbranch_execz .LBB866_96
; %bb.93:
	s_movk_i32 s10, 0x7f
	v_and_b32_e32 v53, 0x7f, v34
	v_cmp_ne_u32_e32 vcc, s10, v53
	v_mov_b32_e32 v36, 0x7f80
	s_and_saveexec_b64 s[10:11], vcc
	s_cbranch_execz .LBB866_95
; %bb.94:
	v_and_b32_e32 v36, 7, v34
	v_ffbh_u32_e32 v58, v36
	v_min_u32_e32 v61, 32, v58
	v_subrev_u32_e32 v58, 28, v61
	v_lshlrev_b64 v[58:59], v58, v[34:35]
	v_lshrrev_b32_e32 v60, 3, v53
	v_sub_u32_e32 v34, 29, v61
	v_and_b32_e32 v58, 7, v58
	v_cmp_gt_u32_e32 vcc, 8, v53
	v_cndmask_b32_e32 v34, v60, v34, vcc
	v_cndmask_b32_e32 v36, v36, v58, vcc
	v_lshlrev_b32_e32 v53, 16, v37
	v_bfrev_b32_e32 v58, 60
	v_lshlrev_b32_e32 v36, 20, v36
	v_and_b32_e32 v53, 0x80000000, v53
	v_lshl_add_u32 v34, v34, 23, v58
	v_or3_b32 v34, v53, v34, v36
	v_lshrrev_b32_e32 v36, 16, v34
.LBB866_95:
	s_or_b64 exec, exec, s[10:11]
.LBB866_96:
	s_or_b64 exec, exec, s[8:9]
.LBB866_97:
	s_or_b64 exec, exec, s[2:3]
	s_movk_i32 s2, 0xff
	v_and_b32_sdwa v53, v37, s2 dst_sel:DWORD dst_unused:UNUSED_PAD src0_sel:WORD_1 src1_sel:DWORD
	v_lshrrev_b32_e32 v34, 16, v37
	v_cmp_ne_u16_e32 vcc, 0, v53
	s_and_saveexec_b64 s[2:3], vcc
	s_cbranch_execz .LBB866_103
; %bb.98:
	s_movk_i32 s8, 0x80
	v_cmp_ne_u16_e32 vcc, s8, v53
	v_mov_b32_e32 v57, 0xffff8000
	s_and_saveexec_b64 s[8:9], vcc
	s_cbranch_execz .LBB866_102
; %bb.99:
	v_bfe_u32 v53, v37, 16, 7
	s_movk_i32 s10, 0x7f
	v_cmp_ne_u32_e32 vcc, s10, v53
	v_mov_b32_e32 v57, 0x7f80
	s_and_saveexec_b64 s[10:11], vcc
	s_cbranch_execz .LBB866_101
; %bb.100:
	v_and_b32_e32 v57, 7, v34
	v_ffbh_u32_e32 v58, v57
	v_min_u32_e32 v61, 32, v58
	v_subrev_u32_e32 v58, 28, v61
	v_lshlrev_b64 v[58:59], v58, v[34:35]
	v_and_b32_e32 v58, 7, v58
	v_cmp_gt_u32_e32 vcc, 8, v53
	v_lshrrev_b32_e32 v60, 3, v53
	v_sub_u32_e32 v34, 29, v61
	v_cndmask_b32_e32 v53, v57, v58, vcc
	v_mov_b32_e32 v57, 24
	v_cndmask_b32_e32 v34, v60, v34, vcc
	v_lshlrev_b32_sdwa v57, v57, v37 dst_sel:DWORD dst_unused:UNUSED_PAD src0_sel:DWORD src1_sel:WORD_1
	v_bfrev_b32_e32 v58, 60
	v_lshlrev_b32_e32 v53, 20, v53
	v_and_b32_e32 v57, 0x80000000, v57
	v_lshl_add_u32 v34, v34, 23, v58
	v_or3_b32 v34, v57, v34, v53
	v_lshrrev_b32_e32 v57, 16, v34
.LBB866_101:
	s_or_b64 exec, exec, s[10:11]
.LBB866_102:
	s_or_b64 exec, exec, s[8:9]
.LBB866_103:
	s_or_b64 exec, exec, s[2:3]
	s_mov_b32 s2, 0xffffff
	v_cmp_lt_u32_e32 vcc, s2, v37
	v_mov_b32_e32 v53, 0
	v_mov_b32_e32 v58, 0
	s_and_saveexec_b64 s[2:3], vcc
	s_cbranch_execz .LBB866_109
; %bb.104:
	v_lshrrev_b32_e32 v34, 24, v37
	s_movk_i32 s8, 0x80
	v_cmp_ne_u32_e32 vcc, s8, v34
	v_mov_b32_e32 v58, 0xffff8000
	s_and_saveexec_b64 s[8:9], vcc
	s_cbranch_execz .LBB866_108
; %bb.105:
	v_bfe_u32 v37, v37, 24, 7
	s_movk_i32 s10, 0x7f
	v_cmp_ne_u32_e32 vcc, s10, v37
	v_mov_b32_e32 v58, 0x7f80
	s_and_saveexec_b64 s[10:11], vcc
	s_cbranch_execz .LBB866_107
; %bb.106:
	v_and_b32_e32 v60, 7, v34
	v_ffbh_u32_e32 v58, v60
	v_min_u32_e32 v62, 32, v58
	v_subrev_u32_e32 v58, 28, v62
	v_lshlrev_b64 v[58:59], v58, v[34:35]
	v_lshrrev_b32_e32 v61, 3, v37
	v_sub_u32_e32 v59, 29, v62
	v_and_b32_e32 v58, 7, v58
	v_cmp_gt_u32_e32 vcc, 8, v37
	v_cndmask_b32_e32 v37, v61, v59, vcc
	v_cndmask_b32_e32 v58, v60, v58, vcc
	v_lshlrev_b32_e32 v34, 24, v34
	v_bfrev_b32_e32 v59, 60
	v_lshlrev_b32_e32 v58, 20, v58
	v_and_b32_e32 v34, 0x80000000, v34
	v_lshl_add_u32 v37, v37, 23, v59
	v_or3_b32 v34, v34, v37, v58
	v_lshrrev_b32_e32 v58, 16, v34
.LBB866_107:
	s_or_b64 exec, exec, s[10:11]
.LBB866_108:
	s_or_b64 exec, exec, s[8:9]
.LBB866_109:
	s_or_b64 exec, exec, s[2:3]
	s_mov_b32 s2, 0x5040100
	v_perm_b32 v61, v56, v54, s2
	v_perm_b32 v60, v35, v52, s2
	;; [unrolled: 1-line block ×4, first 2 shown]
	v_cmp_ne_u16_sdwa s[8:9], v38, v53 src0_sel:BYTE_0 src1_sel:DWORD
	v_mfma_f32_16x16x16bf16_1k v[42:45], v[60:61], v[18:19], v[42:45]
	v_mfma_f32_16x16x16bf16_1k v[34:37], v[34:35], v[20:21], v[42:45]
	s_and_saveexec_b64 s[2:3], s[8:9]
	s_cbranch_execz .LBB866_115
; %bb.110:
	s_movk_i32 s8, 0x80
	v_cmp_ne_u16_sdwa s[10:11], v38, s8 src0_sel:BYTE_0 src1_sel:DWORD
	v_mov_b32_e32 v53, 0xffff8000
	s_and_saveexec_b64 s[8:9], s[10:11]
	s_cbranch_execz .LBB866_114
; %bb.111:
	s_movk_i32 s10, 0x7f
	s_nop 1
	v_and_b32_e32 v42, 0x7f, v38
	v_cmp_ne_u32_e32 vcc, s10, v42
	v_mov_b32_e32 v53, 0x7f80
	s_and_saveexec_b64 s[10:11], vcc
	s_cbranch_execz .LBB866_113
; %bb.112:
	v_and_b32_e32 v43, 7, v38
	v_ffbh_u32_e32 v44, v43
	v_min_u32_e32 v53, 32, v44
	v_subrev_u32_e32 v44, 28, v53
	v_lshlrev_b64 v[44:45], v44, v[38:39]
	v_lshrrev_b32_e32 v52, 3, v42
	v_sub_u32_e32 v45, 29, v53
	v_and_b32_e32 v44, 7, v44
	v_cmp_gt_u32_e32 vcc, 8, v42
	v_cndmask_b32_e32 v42, v52, v45, vcc
	v_cndmask_b32_e32 v43, v43, v44, vcc
	v_lshlrev_b32_e32 v44, 24, v38
	v_bfrev_b32_e32 v45, 60
	v_lshlrev_b32_e32 v43, 20, v43
	v_and_b32_e32 v44, 0x80000000, v44
	v_lshl_add_u32 v42, v42, 23, v45
	v_or3_b32 v42, v44, v42, v43
	v_lshrrev_b32_e32 v53, 16, v42
.LBB866_113:
	s_or_b64 exec, exec, s[10:11]
.LBB866_114:
	s_or_b64 exec, exec, s[8:9]
.LBB866_115:
	s_or_b64 exec, exec, s[2:3]
	s_nop 6
	v_lshrrev_b16_e32 v42, 8, v38
	v_cmp_ne_u16_e32 vcc, 0, v42
	v_mov_b32_e32 v44, 0
	v_mov_b32_e32 v43, 0
	s_and_saveexec_b64 s[2:3], vcc
	s_cbranch_execz .LBB866_121
; %bb.116:
	s_movk_i32 s8, 0x80
	v_cmp_ne_u16_e32 vcc, s8, v42
	v_mov_b32_e32 v43, 0xffff8000
	s_and_saveexec_b64 s[8:9], vcc
	s_cbranch_execz .LBB866_120
; %bb.117:
	s_movk_i32 s10, 0x7f
	v_and_b32_e32 v45, 0x7f, v42
	v_cmp_ne_u32_e32 vcc, s10, v45
	v_mov_b32_e32 v43, 0x7f80
	s_and_saveexec_b64 s[10:11], vcc
	s_cbranch_execz .LBB866_119
; %bb.118:
	v_and_b32_e32 v52, 7, v42
	v_ffbh_u32_e32 v43, v52
	v_min_u32_e32 v55, 32, v43
	v_subrev_u32_e32 v43, 28, v55
	v_lshlrev_b64 v[42:43], v43, v[42:43]
	v_lshrrev_b32_e32 v54, 3, v45
	v_sub_u32_e32 v43, 29, v55
	v_and_b32_e32 v42, 7, v42
	v_cmp_gt_u32_e32 vcc, 8, v45
	v_cndmask_b32_e32 v43, v54, v43, vcc
	v_cndmask_b32_e32 v42, v52, v42, vcc
	v_lshlrev_b32_e32 v45, 16, v38
	v_bfrev_b32_e32 v52, 60
	v_lshlrev_b32_e32 v42, 20, v42
	v_and_b32_e32 v45, 0x80000000, v45
	v_lshl_add_u32 v43, v43, 23, v52
	v_or3_b32 v42, v45, v43, v42
	v_lshrrev_b32_e32 v43, 16, v42
.LBB866_119:
	s_or_b64 exec, exec, s[10:11]
.LBB866_120:
	s_or_b64 exec, exec, s[8:9]
.LBB866_121:
	s_or_b64 exec, exec, s[2:3]
	s_movk_i32 s2, 0xff
	v_and_b32_sdwa v45, v38, s2 dst_sel:DWORD dst_unused:UNUSED_PAD src0_sel:WORD_1 src1_sel:DWORD
	v_lshrrev_b32_e32 v42, 16, v38
	v_cmp_ne_u16_e32 vcc, 0, v45
	s_and_saveexec_b64 s[2:3], vcc
	s_cbranch_execz .LBB866_127
; %bb.122:
	s_movk_i32 s8, 0x80
	v_cmp_ne_u16_e32 vcc, s8, v45
	v_mov_b32_e32 v44, 0xffff8000
	s_and_saveexec_b64 s[8:9], vcc
	s_cbranch_execz .LBB866_126
; %bb.123:
	v_bfe_u32 v45, v38, 16, 7
	s_movk_i32 s10, 0x7f
	v_cmp_ne_u32_e32 vcc, s10, v45
	v_mov_b32_e32 v44, 0x7f80
	s_and_saveexec_b64 s[10:11], vcc
	s_cbranch_execz .LBB866_125
; %bb.124:
	v_and_b32_e32 v44, 7, v42
	v_ffbh_u32_e32 v54, v44
	v_min_u32_e32 v56, 32, v54
	v_subrev_u32_e32 v54, 28, v56
	v_lshlrev_b64 v[54:55], v54, v[42:43]
	v_lshrrev_b32_e32 v52, 3, v45
	v_sub_u32_e32 v42, 29, v56
	v_and_b32_e32 v54, 7, v54
	v_cmp_gt_u32_e32 vcc, 8, v45
	v_mov_b32_e32 v45, 24
	v_cndmask_b32_e32 v42, v52, v42, vcc
	v_cndmask_b32_e32 v44, v44, v54, vcc
	v_lshlrev_b32_sdwa v45, v45, v38 dst_sel:DWORD dst_unused:UNUSED_PAD src0_sel:DWORD src1_sel:WORD_1
	v_bfrev_b32_e32 v52, 60
	v_lshlrev_b32_e32 v44, 20, v44
	v_and_b32_e32 v45, 0x80000000, v45
	v_lshl_add_u32 v42, v42, 23, v52
	v_or3_b32 v42, v45, v42, v44
	v_lshrrev_b32_e32 v44, 16, v42
.LBB866_125:
	s_or_b64 exec, exec, s[10:11]
.LBB866_126:
	s_or_b64 exec, exec, s[8:9]
.LBB866_127:
	s_or_b64 exec, exec, s[2:3]
	s_mov_b32 s2, 0xffffff
	v_cmp_lt_u32_e32 vcc, s2, v38
	v_mov_b32_e32 v45, 0
	v_mov_b32_e32 v54, 0
	s_and_saveexec_b64 s[2:3], vcc
	s_cbranch_execz .LBB866_133
; %bb.128:
	v_lshrrev_b32_e32 v42, 24, v38
	s_movk_i32 s8, 0x80
	v_cmp_ne_u32_e32 vcc, s8, v42
	v_mov_b32_e32 v54, 0xffff8000
	s_and_saveexec_b64 s[8:9], vcc
	s_cbranch_execz .LBB866_132
; %bb.129:
	v_bfe_u32 v38, v38, 24, 7
	s_movk_i32 s10, 0x7f
	v_cmp_ne_u32_e32 vcc, s10, v38
	v_mov_b32_e32 v54, 0x7f80
	s_and_saveexec_b64 s[10:11], vcc
	s_cbranch_execz .LBB866_131
; %bb.130:
	v_and_b32_e32 v52, 7, v42
	v_ffbh_u32_e32 v54, v52
	v_min_u32_e32 v57, 32, v54
	v_subrev_u32_e32 v54, 28, v57
	v_lshlrev_b64 v[54:55], v54, v[42:43]
	v_lshrrev_b32_e32 v56, 3, v38
	v_sub_u32_e32 v55, 29, v57
	v_and_b32_e32 v54, 7, v54
	v_cmp_gt_u32_e32 vcc, 8, v38
	v_cndmask_b32_e32 v38, v56, v55, vcc
	v_cndmask_b32_e32 v52, v52, v54, vcc
	v_lshlrev_b32_e32 v42, 24, v42
	v_bfrev_b32_e32 v54, 60
	v_lshlrev_b32_e32 v52, 20, v52
	v_and_b32_e32 v42, 0x80000000, v42
	v_lshl_add_u32 v38, v38, 23, v54
	v_or3_b32 v38, v42, v38, v52
	v_lshrrev_b32_e32 v54, 16, v38
.LBB866_131:
	s_or_b64 exec, exec, s[10:11]
.LBB866_132:
	s_or_b64 exec, exec, s[8:9]
.LBB866_133:
	s_or_b64 exec, exec, s[2:3]
	v_cmp_ne_u16_sdwa s[8:9], v39, v45 src0_sel:BYTE_0 src1_sel:DWORD
	s_and_saveexec_b64 s[2:3], s[8:9]
	s_cbranch_execz .LBB866_139
; %bb.134:
	s_movk_i32 s8, 0x80
	v_cmp_ne_u16_sdwa s[10:11], v39, s8 src0_sel:BYTE_0 src1_sel:DWORD
	v_mov_b32_e32 v45, 0xffff8000
	s_and_saveexec_b64 s[8:9], s[10:11]
	s_cbranch_execz .LBB866_138
; %bb.135:
	s_movk_i32 s10, 0x7f
	v_and_b32_e32 v38, 0x7f, v39
	v_cmp_ne_u32_e32 vcc, s10, v38
	v_mov_b32_e32 v45, 0x7f80
	s_and_saveexec_b64 s[10:11], vcc
	s_cbranch_execz .LBB866_137
; %bb.136:
	v_and_b32_e32 v45, 7, v39
	v_ffbh_u32_e32 v55, v45
	v_min_u32_e32 v55, 32, v55
	v_mov_b32_e32 v42, v39
	v_subrev_u32_e32 v56, 28, v55
	v_lshlrev_b64 v[56:57], v56, v[42:43]
	v_lshrrev_b32_e32 v52, 3, v38
	v_sub_u32_e32 v42, 29, v55
	v_and_b32_e32 v55, 7, v56
	v_cmp_gt_u32_e32 vcc, 8, v38
	v_cndmask_b32_e32 v38, v52, v42, vcc
	v_cndmask_b32_e32 v42, v45, v55, vcc
	v_lshlrev_b32_e32 v45, 24, v39
	v_bfrev_b32_e32 v52, 60
	v_lshlrev_b32_e32 v42, 20, v42
	v_and_b32_e32 v45, 0x80000000, v45
	v_lshl_add_u32 v38, v38, 23, v52
	v_or3_b32 v38, v45, v38, v42
	v_lshrrev_b32_e32 v45, 16, v38
.LBB866_137:
	s_or_b64 exec, exec, s[10:11]
.LBB866_138:
	s_or_b64 exec, exec, s[8:9]
.LBB866_139:
	s_or_b64 exec, exec, s[2:3]
	v_lshrrev_b16_e32 v38, 8, v39
	v_cmp_ne_u16_e32 vcc, 0, v38
	v_mov_b32_e32 v55, 0
	v_mov_b32_e32 v42, 0
	s_and_saveexec_b64 s[2:3], vcc
	s_cbranch_execz .LBB866_145
; %bb.140:
	s_movk_i32 s8, 0x80
	v_cmp_ne_u16_e32 vcc, s8, v38
	v_mov_b32_e32 v42, 0xffff8000
	s_and_saveexec_b64 s[8:9], vcc
	s_cbranch_execz .LBB866_144
; %bb.141:
	s_movk_i32 s10, 0x7f
	v_and_b32_e32 v52, 0x7f, v38
	v_cmp_ne_u32_e32 vcc, s10, v52
	v_mov_b32_e32 v42, 0x7f80
	s_and_saveexec_b64 s[10:11], vcc
	s_cbranch_execz .LBB866_143
; %bb.142:
	v_and_b32_e32 v42, 7, v38
	v_ffbh_u32_e32 v56, v42
	v_min_u32_e32 v59, 32, v56
	v_subrev_u32_e32 v56, 28, v59
	v_lshlrev_b64 v[56:57], v56, v[38:39]
	v_lshrrev_b32_e32 v58, 3, v52
	v_sub_u32_e32 v38, 29, v59
	v_and_b32_e32 v56, 7, v56
	v_cmp_gt_u32_e32 vcc, 8, v52
	v_cndmask_b32_e32 v38, v58, v38, vcc
	v_cndmask_b32_e32 v42, v42, v56, vcc
	v_lshlrev_b32_e32 v52, 16, v39
	v_bfrev_b32_e32 v56, 60
	v_lshlrev_b32_e32 v42, 20, v42
	v_and_b32_e32 v52, 0x80000000, v52
	v_lshl_add_u32 v38, v38, 23, v56
	v_or3_b32 v38, v52, v38, v42
	v_lshrrev_b32_e32 v42, 16, v38
.LBB866_143:
	s_or_b64 exec, exec, s[10:11]
.LBB866_144:
	s_or_b64 exec, exec, s[8:9]
.LBB866_145:
	s_or_b64 exec, exec, s[2:3]
	s_movk_i32 s2, 0xff
	v_and_b32_sdwa v52, v39, s2 dst_sel:DWORD dst_unused:UNUSED_PAD src0_sel:WORD_1 src1_sel:DWORD
	v_lshrrev_b32_e32 v38, 16, v39
	v_cmp_ne_u16_e32 vcc, 0, v52
	s_and_saveexec_b64 s[2:3], vcc
	s_cbranch_execz .LBB866_151
; %bb.146:
	s_movk_i32 s8, 0x80
	v_cmp_ne_u16_e32 vcc, s8, v52
	v_mov_b32_e32 v55, 0xffff8000
	s_and_saveexec_b64 s[8:9], vcc
	s_cbranch_execz .LBB866_150
; %bb.147:
	v_bfe_u32 v52, v39, 16, 7
	s_movk_i32 s10, 0x7f
	v_cmp_ne_u32_e32 vcc, s10, v52
	v_mov_b32_e32 v55, 0x7f80
	s_and_saveexec_b64 s[10:11], vcc
	s_cbranch_execz .LBB866_149
; %bb.148:
	v_and_b32_e32 v55, 7, v38
	v_ffbh_u32_e32 v56, v55
	v_min_u32_e32 v59, 32, v56
	v_subrev_u32_e32 v56, 28, v59
	v_lshlrev_b64 v[56:57], v56, v[38:39]
	v_and_b32_e32 v56, 7, v56
	v_cmp_gt_u32_e32 vcc, 8, v52
	v_lshrrev_b32_e32 v58, 3, v52
	v_sub_u32_e32 v38, 29, v59
	v_cndmask_b32_e32 v52, v55, v56, vcc
	v_mov_b32_e32 v55, 24
	v_cndmask_b32_e32 v38, v58, v38, vcc
	v_lshlrev_b32_sdwa v55, v55, v39 dst_sel:DWORD dst_unused:UNUSED_PAD src0_sel:DWORD src1_sel:WORD_1
	v_bfrev_b32_e32 v56, 60
	v_lshlrev_b32_e32 v52, 20, v52
	v_and_b32_e32 v55, 0x80000000, v55
	v_lshl_add_u32 v38, v38, 23, v56
	v_or3_b32 v38, v55, v38, v52
	v_lshrrev_b32_e32 v55, 16, v38
.LBB866_149:
	s_or_b64 exec, exec, s[10:11]
.LBB866_150:
	s_or_b64 exec, exec, s[8:9]
.LBB866_151:
	s_or_b64 exec, exec, s[2:3]
	s_mov_b32 s2, 0xffffff
	v_cmp_lt_u32_e32 vcc, s2, v39
	v_mov_b32_e32 v52, 0
	v_mov_b32_e32 v56, 0
	s_and_saveexec_b64 s[2:3], vcc
	s_cbranch_execz .LBB866_157
; %bb.152:
	v_lshrrev_b32_e32 v38, 24, v39
	s_movk_i32 s8, 0x80
	v_cmp_ne_u32_e32 vcc, s8, v38
	v_mov_b32_e32 v56, 0xffff8000
	s_and_saveexec_b64 s[8:9], vcc
	s_cbranch_execz .LBB866_156
; %bb.153:
	v_bfe_u32 v39, v39, 24, 7
	s_movk_i32 s10, 0x7f
	v_cmp_ne_u32_e32 vcc, s10, v39
	v_mov_b32_e32 v56, 0x7f80
	s_and_saveexec_b64 s[10:11], vcc
	s_cbranch_execz .LBB866_155
; %bb.154:
	v_and_b32_e32 v58, 7, v38
	v_ffbh_u32_e32 v56, v58
	v_min_u32_e32 v60, 32, v56
	v_subrev_u32_e32 v56, 28, v60
	v_lshlrev_b64 v[56:57], v56, v[38:39]
	v_lshrrev_b32_e32 v59, 3, v39
	v_sub_u32_e32 v57, 29, v60
	v_and_b32_e32 v56, 7, v56
	v_cmp_gt_u32_e32 vcc, 8, v39
	v_cndmask_b32_e32 v39, v59, v57, vcc
	v_cndmask_b32_e32 v56, v58, v56, vcc
	v_lshlrev_b32_e32 v38, 24, v38
	v_bfrev_b32_e32 v57, 60
	v_lshlrev_b32_e32 v56, 20, v56
	v_and_b32_e32 v38, 0x80000000, v38
	v_lshl_add_u32 v39, v39, 23, v57
	v_or3_b32 v38, v38, v39, v56
	v_lshrrev_b32_e32 v56, 16, v38
.LBB866_155:
	s_or_b64 exec, exec, s[10:11]
.LBB866_156:
	s_or_b64 exec, exec, s[8:9]
.LBB866_157:
	s_or_b64 exec, exec, s[2:3]
	s_mov_b32 s2, 0x5040100
	v_perm_b32 v39, v54, v44, s2
	v_perm_b32 v38, v43, v53, s2
	v_cmp_ne_u16_sdwa s[8:9], v40, v52 src0_sel:BYTE_0 src1_sel:DWORD
	s_nop 0
	v_mfma_f32_16x16x16bf16_1k v[58:61], v[38:39], v[26:27], 0
	v_perm_b32 v39, v56, v55, s2
	v_perm_b32 v38, v42, v45, s2
	s_nop 1
	v_mfma_f32_16x16x16bf16_1k v[42:45], v[38:39], v[28:29], v[58:61]
	s_and_saveexec_b64 s[2:3], s[8:9]
	s_cbranch_execz .LBB866_163
; %bb.158:
	s_movk_i32 s8, 0x80
	v_cmp_ne_u16_sdwa s[10:11], v40, s8 src0_sel:BYTE_0 src1_sel:DWORD
	v_mov_b32_e32 v52, 0xffff8000
	s_and_saveexec_b64 s[8:9], s[10:11]
	s_cbranch_execz .LBB866_162
; %bb.159:
	s_movk_i32 s10, 0x7f
	v_and_b32_e32 v38, 0x7f, v40
	v_cmp_ne_u32_e32 vcc, s10, v38
	v_mov_b32_e32 v52, 0x7f80
	s_and_saveexec_b64 s[10:11], vcc
	s_cbranch_execz .LBB866_161
; %bb.160:
	v_and_b32_e32 v39, 7, v40
	v_ffbh_u32_e32 v52, v39
	v_min_u32_e32 v55, 32, v52
	v_subrev_u32_e32 v52, 28, v55
	v_lshlrev_b64 v[52:53], v52, v[40:41]
	v_lshrrev_b32_e32 v54, 3, v38
	v_sub_u32_e32 v53, 29, v55
	v_and_b32_e32 v52, 7, v52
	v_cmp_gt_u32_e32 vcc, 8, v38
	v_cndmask_b32_e32 v38, v54, v53, vcc
	v_cndmask_b32_e32 v39, v39, v52, vcc
	v_lshlrev_b32_e32 v52, 24, v40
	v_bfrev_b32_e32 v53, 60
	v_lshlrev_b32_e32 v39, 20, v39
	v_and_b32_e32 v52, 0x80000000, v52
	v_lshl_add_u32 v38, v38, 23, v53
	v_or3_b32 v38, v52, v38, v39
	v_lshrrev_b32_e32 v52, 16, v38
.LBB866_161:
	s_or_b64 exec, exec, s[10:11]
.LBB866_162:
	s_or_b64 exec, exec, s[8:9]
.LBB866_163:
	s_or_b64 exec, exec, s[2:3]
	v_lshrrev_b16_e32 v38, 8, v40
	v_cmp_ne_u16_e32 vcc, 0, v38
	v_mov_b32_e32 v54, 0
	v_mov_b32_e32 v39, 0
	s_and_saveexec_b64 s[2:3], vcc
	s_cbranch_execz .LBB866_169
; %bb.164:
	s_movk_i32 s8, 0x80
	v_cmp_ne_u16_e32 vcc, s8, v38
	v_mov_b32_e32 v39, 0xffff8000
	s_and_saveexec_b64 s[8:9], vcc
	s_cbranch_execz .LBB866_168
; %bb.165:
	s_movk_i32 s10, 0x7f
	v_and_b32_e32 v53, 0x7f, v38
	v_cmp_ne_u32_e32 vcc, s10, v53
	v_mov_b32_e32 v39, 0x7f80
	s_and_saveexec_b64 s[10:11], vcc
	s_cbranch_execz .LBB866_167
; %bb.166:
	v_and_b32_e32 v55, 7, v38
	v_ffbh_u32_e32 v39, v55
	v_min_u32_e32 v57, 32, v39
	v_subrev_u32_e32 v39, 28, v57
	v_lshlrev_b64 v[38:39], v39, v[38:39]
	v_lshrrev_b32_e32 v56, 3, v53
	v_sub_u32_e32 v39, 29, v57
	v_and_b32_e32 v38, 7, v38
	v_cmp_gt_u32_e32 vcc, 8, v53
	v_cndmask_b32_e32 v39, v56, v39, vcc
	v_cndmask_b32_e32 v38, v55, v38, vcc
	v_lshlrev_b32_e32 v53, 16, v40
	v_bfrev_b32_e32 v55, 60
	v_lshlrev_b32_e32 v38, 20, v38
	v_and_b32_e32 v53, 0x80000000, v53
	v_lshl_add_u32 v39, v39, 23, v55
	v_or3_b32 v38, v53, v39, v38
	v_lshrrev_b32_e32 v39, 16, v38
.LBB866_167:
	s_or_b64 exec, exec, s[10:11]
.LBB866_168:
	s_or_b64 exec, exec, s[8:9]
.LBB866_169:
	s_or_b64 exec, exec, s[2:3]
	s_movk_i32 s2, 0xff
	v_and_b32_sdwa v53, v40, s2 dst_sel:DWORD dst_unused:UNUSED_PAD src0_sel:WORD_1 src1_sel:DWORD
	v_lshrrev_b32_e32 v38, 16, v40
	v_cmp_ne_u16_e32 vcc, 0, v53
	s_and_saveexec_b64 s[2:3], vcc
	s_cbranch_execz .LBB866_175
; %bb.170:
	s_movk_i32 s8, 0x80
	v_cmp_ne_u16_e32 vcc, s8, v53
	v_mov_b32_e32 v54, 0xffff8000
	s_and_saveexec_b64 s[8:9], vcc
	s_cbranch_execz .LBB866_174
; %bb.171:
	v_bfe_u32 v53, v40, 16, 7
	s_movk_i32 s10, 0x7f
	v_cmp_ne_u32_e32 vcc, s10, v53
	v_mov_b32_e32 v54, 0x7f80
	s_and_saveexec_b64 s[10:11], vcc
	s_cbranch_execz .LBB866_173
; %bb.172:
	v_and_b32_e32 v56, 7, v38
	v_ffbh_u32_e32 v54, v56
	v_min_u32_e32 v58, 32, v54
	v_subrev_u32_e32 v54, 28, v58
	v_lshlrev_b64 v[54:55], v54, v[38:39]
	v_and_b32_e32 v54, 7, v54
	v_cmp_gt_u32_e32 vcc, 8, v53
	v_lshrrev_b32_e32 v57, 3, v53
	v_sub_u32_e32 v38, 29, v58
	v_cndmask_b32_e32 v53, v56, v54, vcc
	v_mov_b32_e32 v54, 24
	v_cndmask_b32_e32 v38, v57, v38, vcc
	v_lshlrev_b32_sdwa v54, v54, v40 dst_sel:DWORD dst_unused:UNUSED_PAD src0_sel:DWORD src1_sel:WORD_1
	v_bfrev_b32_e32 v55, 60
	v_lshlrev_b32_e32 v53, 20, v53
	v_and_b32_e32 v54, 0x80000000, v54
	v_lshl_add_u32 v38, v38, 23, v55
	v_or3_b32 v38, v54, v38, v53
	v_lshrrev_b32_e32 v54, 16, v38
.LBB866_173:
	s_or_b64 exec, exec, s[10:11]
.LBB866_174:
	s_or_b64 exec, exec, s[8:9]
.LBB866_175:
	s_or_b64 exec, exec, s[2:3]
	s_mov_b32 s2, 0xffffff
	v_cmp_lt_u32_e32 vcc, s2, v40
	v_mov_b32_e32 v55, 0
	v_mov_b32_e32 v56, 0
	s_and_saveexec_b64 s[2:3], vcc
	s_cbranch_execz .LBB866_181
; %bb.176:
	v_lshrrev_b32_e32 v38, 24, v40
	s_movk_i32 s8, 0x80
	v_cmp_ne_u32_e32 vcc, s8, v38
	v_mov_b32_e32 v56, 0xffff8000
	s_and_saveexec_b64 s[8:9], vcc
	s_cbranch_execz .LBB866_180
; %bb.177:
	v_bfe_u32 v40, v40, 24, 7
	s_movk_i32 s10, 0x7f
	v_cmp_ne_u32_e32 vcc, s10, v40
	v_mov_b32_e32 v56, 0x7f80
	s_and_saveexec_b64 s[10:11], vcc
	s_cbranch_execz .LBB866_179
; %bb.178:
	v_and_b32_e32 v53, 7, v38
	v_ffbh_u32_e32 v56, v53
	v_min_u32_e32 v59, 32, v56
	v_subrev_u32_e32 v56, 28, v59
	v_lshlrev_b64 v[56:57], v56, v[38:39]
	v_lshrrev_b32_e32 v58, 3, v40
	v_sub_u32_e32 v57, 29, v59
	v_and_b32_e32 v56, 7, v56
	v_cmp_gt_u32_e32 vcc, 8, v40
	v_cndmask_b32_e32 v40, v58, v57, vcc
	v_cndmask_b32_e32 v53, v53, v56, vcc
	v_lshlrev_b32_e32 v38, 24, v38
	v_bfrev_b32_e32 v56, 60
	v_lshlrev_b32_e32 v53, 20, v53
	v_and_b32_e32 v38, 0x80000000, v38
	v_lshl_add_u32 v40, v40, 23, v56
	v_or3_b32 v38, v38, v40, v53
	v_lshrrev_b32_e32 v56, 16, v38
.LBB866_179:
	s_or_b64 exec, exec, s[10:11]
.LBB866_180:
	s_or_b64 exec, exec, s[8:9]
.LBB866_181:
	s_or_b64 exec, exec, s[2:3]
	v_cmp_ne_u16_sdwa s[8:9], v41, v55 src0_sel:BYTE_0 src1_sel:DWORD
	s_and_saveexec_b64 s[2:3], s[8:9]
	s_cbranch_execz .LBB866_187
; %bb.182:
	s_movk_i32 s8, 0x80
	v_cmp_ne_u16_sdwa s[10:11], v41, s8 src0_sel:BYTE_0 src1_sel:DWORD
	v_mov_b32_e32 v55, 0xffff8000
	s_and_saveexec_b64 s[8:9], s[10:11]
	s_cbranch_execz .LBB866_186
; %bb.183:
	s_movk_i32 s10, 0x7f
	v_and_b32_e32 v38, 0x7f, v41
	v_cmp_ne_u32_e32 vcc, s10, v38
	v_mov_b32_e32 v55, 0x7f80
	s_and_saveexec_b64 s[10:11], vcc
	s_cbranch_execz .LBB866_185
; %bb.184:
	v_and_b32_e32 v53, 7, v41
	v_ffbh_u32_e32 v57, v53
	v_min_u32_e32 v57, 32, v57
	v_mov_b32_e32 v40, v41
	v_subrev_u32_e32 v58, 28, v57
	v_lshlrev_b64 v[58:59], v58, v[40:41]
	v_lshrrev_b32_e32 v55, 3, v38
	v_sub_u32_e32 v40, 29, v57
	v_and_b32_e32 v57, 7, v58
	v_cmp_gt_u32_e32 vcc, 8, v38
	v_cndmask_b32_e32 v38, v55, v40, vcc
	v_cndmask_b32_e32 v40, v53, v57, vcc
	v_lshlrev_b32_e32 v53, 24, v41
	v_bfrev_b32_e32 v55, 60
	v_lshlrev_b32_e32 v40, 20, v40
	v_and_b32_e32 v53, 0x80000000, v53
	v_lshl_add_u32 v38, v38, 23, v55
	v_or3_b32 v38, v53, v38, v40
	v_lshrrev_b32_e32 v55, 16, v38
.LBB866_185:
	s_or_b64 exec, exec, s[10:11]
.LBB866_186:
	s_or_b64 exec, exec, s[8:9]
.LBB866_187:
	s_or_b64 exec, exec, s[2:3]
	v_lshrrev_b16_e32 v38, 8, v41
	v_cmp_ne_u16_e32 vcc, 0, v38
	v_mov_b32_e32 v57, 0
	v_mov_b32_e32 v40, 0
	s_and_saveexec_b64 s[2:3], vcc
	s_cbranch_execz .LBB866_193
; %bb.188:
	s_movk_i32 s8, 0x80
	v_cmp_ne_u16_e32 vcc, s8, v38
	v_mov_b32_e32 v40, 0xffff8000
	s_and_saveexec_b64 s[8:9], vcc
	s_cbranch_execz .LBB866_192
; %bb.189:
	s_movk_i32 s10, 0x7f
	v_and_b32_e32 v53, 0x7f, v38
	v_cmp_ne_u32_e32 vcc, s10, v53
	v_mov_b32_e32 v40, 0x7f80
	s_and_saveexec_b64 s[10:11], vcc
	s_cbranch_execz .LBB866_191
; %bb.190:
	v_and_b32_e32 v40, 7, v38
	v_ffbh_u32_e32 v58, v40
	v_min_u32_e32 v61, 32, v58
	v_subrev_u32_e32 v58, 28, v61
	v_lshlrev_b64 v[58:59], v58, v[38:39]
	v_lshrrev_b32_e32 v60, 3, v53
	v_sub_u32_e32 v38, 29, v61
	v_and_b32_e32 v58, 7, v58
	v_cmp_gt_u32_e32 vcc, 8, v53
	v_cndmask_b32_e32 v38, v60, v38, vcc
	v_cndmask_b32_e32 v40, v40, v58, vcc
	v_lshlrev_b32_e32 v53, 16, v41
	v_bfrev_b32_e32 v58, 60
	v_lshlrev_b32_e32 v40, 20, v40
	v_and_b32_e32 v53, 0x80000000, v53
	v_lshl_add_u32 v38, v38, 23, v58
	v_or3_b32 v38, v53, v38, v40
	v_lshrrev_b32_e32 v40, 16, v38
.LBB866_191:
	s_or_b64 exec, exec, s[10:11]
.LBB866_192:
	s_or_b64 exec, exec, s[8:9]
.LBB866_193:
	s_or_b64 exec, exec, s[2:3]
	s_movk_i32 s2, 0xff
	v_and_b32_sdwa v53, v41, s2 dst_sel:DWORD dst_unused:UNUSED_PAD src0_sel:WORD_1 src1_sel:DWORD
	v_lshrrev_b32_e32 v38, 16, v41
	v_cmp_ne_u16_e32 vcc, 0, v53
	s_and_saveexec_b64 s[2:3], vcc
	s_cbranch_execz .LBB866_199
; %bb.194:
	s_movk_i32 s8, 0x80
	v_cmp_ne_u16_e32 vcc, s8, v53
	v_mov_b32_e32 v57, 0xffff8000
	s_and_saveexec_b64 s[8:9], vcc
	s_cbranch_execz .LBB866_198
; %bb.195:
	v_bfe_u32 v53, v41, 16, 7
	s_movk_i32 s10, 0x7f
	v_cmp_ne_u32_e32 vcc, s10, v53
	v_mov_b32_e32 v57, 0x7f80
	s_and_saveexec_b64 s[10:11], vcc
	s_cbranch_execz .LBB866_197
; %bb.196:
	v_and_b32_e32 v57, 7, v38
	v_ffbh_u32_e32 v58, v57
	v_min_u32_e32 v61, 32, v58
	v_subrev_u32_e32 v58, 28, v61
	v_lshlrev_b64 v[58:59], v58, v[38:39]
	v_and_b32_e32 v58, 7, v58
	v_cmp_gt_u32_e32 vcc, 8, v53
	v_lshrrev_b32_e32 v60, 3, v53
	v_sub_u32_e32 v38, 29, v61
	v_cndmask_b32_e32 v53, v57, v58, vcc
	v_mov_b32_e32 v57, 24
	v_cndmask_b32_e32 v38, v60, v38, vcc
	v_lshlrev_b32_sdwa v57, v57, v41 dst_sel:DWORD dst_unused:UNUSED_PAD src0_sel:DWORD src1_sel:WORD_1
	v_bfrev_b32_e32 v58, 60
	v_lshlrev_b32_e32 v53, 20, v53
	v_and_b32_e32 v57, 0x80000000, v57
	v_lshl_add_u32 v38, v38, 23, v58
	v_or3_b32 v38, v57, v38, v53
	v_lshrrev_b32_e32 v57, 16, v38
.LBB866_197:
	s_or_b64 exec, exec, s[10:11]
.LBB866_198:
	s_or_b64 exec, exec, s[8:9]
.LBB866_199:
	s_or_b64 exec, exec, s[2:3]
	s_mov_b32 s2, 0xffffff
	v_cmp_lt_u32_e32 vcc, s2, v41
	v_mov_b32_e32 v53, 0
	v_mov_b32_e32 v58, 0
	s_and_saveexec_b64 s[2:3], vcc
	s_cbranch_execz .LBB866_205
; %bb.200:
	v_lshrrev_b32_e32 v38, 24, v41
	s_movk_i32 s8, 0x80
	v_cmp_ne_u32_e32 vcc, s8, v38
	v_mov_b32_e32 v58, 0xffff8000
	s_and_saveexec_b64 s[8:9], vcc
	s_cbranch_execz .LBB866_204
; %bb.201:
	v_bfe_u32 v41, v41, 24, 7
	s_movk_i32 s10, 0x7f
	v_cmp_ne_u32_e32 vcc, s10, v41
	v_mov_b32_e32 v58, 0x7f80
	s_and_saveexec_b64 s[10:11], vcc
	s_cbranch_execz .LBB866_203
; %bb.202:
	v_and_b32_e32 v60, 7, v38
	v_ffbh_u32_e32 v58, v60
	v_min_u32_e32 v62, 32, v58
	v_subrev_u32_e32 v58, 28, v62
	v_lshlrev_b64 v[58:59], v58, v[38:39]
	v_lshrrev_b32_e32 v61, 3, v41
	v_sub_u32_e32 v59, 29, v62
	v_and_b32_e32 v58, 7, v58
	v_cmp_gt_u32_e32 vcc, 8, v41
	v_cndmask_b32_e32 v41, v61, v59, vcc
	v_cndmask_b32_e32 v58, v60, v58, vcc
	v_lshlrev_b32_e32 v38, 24, v38
	v_bfrev_b32_e32 v59, 60
	v_lshlrev_b32_e32 v58, 20, v58
	v_and_b32_e32 v38, 0x80000000, v38
	v_lshl_add_u32 v41, v41, 23, v59
	v_or3_b32 v38, v38, v41, v58
	v_lshrrev_b32_e32 v58, 16, v38
.LBB866_203:
	s_or_b64 exec, exec, s[10:11]
.LBB866_204:
	s_or_b64 exec, exec, s[8:9]
.LBB866_205:
	s_or_b64 exec, exec, s[2:3]
	s_mov_b32 s2, 0x5040100
	v_perm_b32 v61, v56, v54, s2
	v_perm_b32 v60, v39, v52, s2
	;; [unrolled: 1-line block ×4, first 2 shown]
	v_cmp_ne_u16_sdwa s[8:9], v30, v53 src0_sel:BYTE_0 src1_sel:DWORD
	v_mfma_f32_16x16x16bf16_1k v[42:45], v[60:61], v[18:19], v[42:45]
	v_mfma_f32_16x16x16bf16_1k v[38:41], v[38:39], v[20:21], v[42:45]
	s_and_saveexec_b64 s[2:3], s[8:9]
	s_cbranch_execz .LBB866_211
; %bb.206:
	s_movk_i32 s8, 0x80
	v_cmp_ne_u16_sdwa s[10:11], v30, s8 src0_sel:BYTE_0 src1_sel:DWORD
	v_mov_b32_e32 v53, 0xffff8000
	s_and_saveexec_b64 s[8:9], s[10:11]
	s_cbranch_execz .LBB866_210
; %bb.207:
	s_movk_i32 s10, 0x7f
	s_nop 1
	v_and_b32_e32 v42, 0x7f, v30
	v_cmp_ne_u32_e32 vcc, s10, v42
	v_mov_b32_e32 v53, 0x7f80
	s_and_saveexec_b64 s[10:11], vcc
	s_cbranch_execz .LBB866_209
; %bb.208:
	v_and_b32_e32 v43, 7, v30
	v_ffbh_u32_e32 v44, v43
	v_min_u32_e32 v53, 32, v44
	v_subrev_u32_e32 v44, 28, v53
	v_lshlrev_b64 v[44:45], v44, v[30:31]
	v_lshrrev_b32_e32 v52, 3, v42
	v_sub_u32_e32 v45, 29, v53
	v_and_b32_e32 v44, 7, v44
	v_cmp_gt_u32_e32 vcc, 8, v42
	v_cndmask_b32_e32 v42, v52, v45, vcc
	v_cndmask_b32_e32 v43, v43, v44, vcc
	v_lshlrev_b32_e32 v44, 24, v30
	v_bfrev_b32_e32 v45, 60
	v_lshlrev_b32_e32 v43, 20, v43
	v_and_b32_e32 v44, 0x80000000, v44
	v_lshl_add_u32 v42, v42, 23, v45
	v_or3_b32 v42, v44, v42, v43
	v_lshrrev_b32_e32 v53, 16, v42
.LBB866_209:
	s_or_b64 exec, exec, s[10:11]
.LBB866_210:
	s_or_b64 exec, exec, s[8:9]
.LBB866_211:
	s_or_b64 exec, exec, s[2:3]
	s_nop 6
	v_lshrrev_b16_e32 v42, 8, v30
	v_cmp_ne_u16_e32 vcc, 0, v42
	v_mov_b32_e32 v44, 0
	v_mov_b32_e32 v43, 0
	s_and_saveexec_b64 s[2:3], vcc
	s_cbranch_execz .LBB866_217
; %bb.212:
	s_movk_i32 s8, 0x80
	v_cmp_ne_u16_e32 vcc, s8, v42
	v_mov_b32_e32 v43, 0xffff8000
	s_and_saveexec_b64 s[8:9], vcc
	s_cbranch_execz .LBB866_216
; %bb.213:
	s_movk_i32 s10, 0x7f
	v_and_b32_e32 v45, 0x7f, v42
	v_cmp_ne_u32_e32 vcc, s10, v45
	v_mov_b32_e32 v43, 0x7f80
	s_and_saveexec_b64 s[10:11], vcc
	s_cbranch_execz .LBB866_215
; %bb.214:
	v_and_b32_e32 v52, 7, v42
	v_ffbh_u32_e32 v43, v52
	v_min_u32_e32 v55, 32, v43
	v_subrev_u32_e32 v43, 28, v55
	v_lshlrev_b64 v[42:43], v43, v[42:43]
	v_lshrrev_b32_e32 v54, 3, v45
	v_sub_u32_e32 v43, 29, v55
	v_and_b32_e32 v42, 7, v42
	v_cmp_gt_u32_e32 vcc, 8, v45
	v_cndmask_b32_e32 v43, v54, v43, vcc
	v_cndmask_b32_e32 v42, v52, v42, vcc
	v_lshlrev_b32_e32 v45, 16, v30
	v_bfrev_b32_e32 v52, 60
	v_lshlrev_b32_e32 v42, 20, v42
	v_and_b32_e32 v45, 0x80000000, v45
	v_lshl_add_u32 v43, v43, 23, v52
	v_or3_b32 v42, v45, v43, v42
	v_lshrrev_b32_e32 v43, 16, v42
.LBB866_215:
	s_or_b64 exec, exec, s[10:11]
.LBB866_216:
	s_or_b64 exec, exec, s[8:9]
.LBB866_217:
	s_or_b64 exec, exec, s[2:3]
	s_movk_i32 s2, 0xff
	v_and_b32_sdwa v45, v30, s2 dst_sel:DWORD dst_unused:UNUSED_PAD src0_sel:WORD_1 src1_sel:DWORD
	v_lshrrev_b32_e32 v42, 16, v30
	v_cmp_ne_u16_e32 vcc, 0, v45
	s_and_saveexec_b64 s[2:3], vcc
	s_cbranch_execz .LBB866_223
; %bb.218:
	s_movk_i32 s8, 0x80
	v_cmp_ne_u16_e32 vcc, s8, v45
	v_mov_b32_e32 v44, 0xffff8000
	s_and_saveexec_b64 s[8:9], vcc
	s_cbranch_execz .LBB866_222
; %bb.219:
	v_bfe_u32 v45, v30, 16, 7
	s_movk_i32 s10, 0x7f
	v_cmp_ne_u32_e32 vcc, s10, v45
	v_mov_b32_e32 v44, 0x7f80
	s_and_saveexec_b64 s[10:11], vcc
	s_cbranch_execz .LBB866_221
; %bb.220:
	v_and_b32_e32 v44, 7, v42
	v_ffbh_u32_e32 v54, v44
	v_min_u32_e32 v56, 32, v54
	v_subrev_u32_e32 v54, 28, v56
	v_lshlrev_b64 v[54:55], v54, v[42:43]
	v_lshrrev_b32_e32 v52, 3, v45
	v_sub_u32_e32 v42, 29, v56
	v_and_b32_e32 v54, 7, v54
	v_cmp_gt_u32_e32 vcc, 8, v45
	v_mov_b32_e32 v45, 24
	v_cndmask_b32_e32 v42, v52, v42, vcc
	v_cndmask_b32_e32 v44, v44, v54, vcc
	v_lshlrev_b32_sdwa v45, v45, v30 dst_sel:DWORD dst_unused:UNUSED_PAD src0_sel:DWORD src1_sel:WORD_1
	v_bfrev_b32_e32 v52, 60
	v_lshlrev_b32_e32 v44, 20, v44
	v_and_b32_e32 v45, 0x80000000, v45
	v_lshl_add_u32 v42, v42, 23, v52
	v_or3_b32 v42, v45, v42, v44
	v_lshrrev_b32_e32 v44, 16, v42
.LBB866_221:
	s_or_b64 exec, exec, s[10:11]
.LBB866_222:
	s_or_b64 exec, exec, s[8:9]
.LBB866_223:
	s_or_b64 exec, exec, s[2:3]
	s_mov_b32 s2, 0xffffff
	v_cmp_lt_u32_e32 vcc, s2, v30
	v_mov_b32_e32 v45, 0
	v_mov_b32_e32 v54, 0
	s_and_saveexec_b64 s[2:3], vcc
	s_cbranch_execz .LBB866_229
; %bb.224:
	v_lshrrev_b32_e32 v42, 24, v30
	s_movk_i32 s8, 0x80
	v_cmp_ne_u32_e32 vcc, s8, v42
	v_mov_b32_e32 v54, 0xffff8000
	s_and_saveexec_b64 s[8:9], vcc
	s_cbranch_execz .LBB866_228
; %bb.225:
	v_bfe_u32 v30, v30, 24, 7
	s_movk_i32 s10, 0x7f
	v_cmp_ne_u32_e32 vcc, s10, v30
	v_mov_b32_e32 v54, 0x7f80
	s_and_saveexec_b64 s[10:11], vcc
	s_cbranch_execz .LBB866_227
; %bb.226:
	v_and_b32_e32 v52, 7, v42
	v_ffbh_u32_e32 v54, v52
	v_min_u32_e32 v57, 32, v54
	v_subrev_u32_e32 v54, 28, v57
	v_lshlrev_b64 v[54:55], v54, v[42:43]
	v_lshrrev_b32_e32 v56, 3, v30
	v_sub_u32_e32 v55, 29, v57
	v_and_b32_e32 v54, 7, v54
	v_cmp_gt_u32_e32 vcc, 8, v30
	v_cndmask_b32_e32 v30, v56, v55, vcc
	v_cndmask_b32_e32 v52, v52, v54, vcc
	v_lshlrev_b32_e32 v42, 24, v42
	v_bfrev_b32_e32 v54, 60
	v_lshlrev_b32_e32 v52, 20, v52
	v_and_b32_e32 v42, 0x80000000, v42
	v_lshl_add_u32 v30, v30, 23, v54
	v_or3_b32 v30, v42, v30, v52
	v_lshrrev_b32_e32 v54, 16, v30
.LBB866_227:
	s_or_b64 exec, exec, s[10:11]
.LBB866_228:
	s_or_b64 exec, exec, s[8:9]
.LBB866_229:
	s_or_b64 exec, exec, s[2:3]
	v_cmp_ne_u16_sdwa s[8:9], v31, v45 src0_sel:BYTE_0 src1_sel:DWORD
	s_and_saveexec_b64 s[2:3], s[8:9]
	s_cbranch_execz .LBB866_235
; %bb.230:
	s_movk_i32 s8, 0x80
	v_cmp_ne_u16_sdwa s[10:11], v31, s8 src0_sel:BYTE_0 src1_sel:DWORD
	v_mov_b32_e32 v45, 0xffff8000
	s_and_saveexec_b64 s[8:9], s[10:11]
	s_cbranch_execz .LBB866_234
; %bb.231:
	s_movk_i32 s10, 0x7f
	v_and_b32_e32 v30, 0x7f, v31
	v_cmp_ne_u32_e32 vcc, s10, v30
	v_mov_b32_e32 v45, 0x7f80
	s_and_saveexec_b64 s[10:11], vcc
	s_cbranch_execz .LBB866_233
; %bb.232:
	v_and_b32_e32 v45, 7, v31
	v_ffbh_u32_e32 v55, v45
	v_min_u32_e32 v55, 32, v55
	v_mov_b32_e32 v42, v31
	v_subrev_u32_e32 v56, 28, v55
	v_lshlrev_b64 v[56:57], v56, v[42:43]
	v_lshrrev_b32_e32 v52, 3, v30
	v_sub_u32_e32 v42, 29, v55
	v_and_b32_e32 v55, 7, v56
	v_cmp_gt_u32_e32 vcc, 8, v30
	v_cndmask_b32_e32 v30, v52, v42, vcc
	v_cndmask_b32_e32 v42, v45, v55, vcc
	v_lshlrev_b32_e32 v45, 24, v31
	v_bfrev_b32_e32 v52, 60
	v_lshlrev_b32_e32 v42, 20, v42
	v_and_b32_e32 v45, 0x80000000, v45
	v_lshl_add_u32 v30, v30, 23, v52
	v_or3_b32 v30, v45, v30, v42
	v_lshrrev_b32_e32 v45, 16, v30
.LBB866_233:
	s_or_b64 exec, exec, s[10:11]
.LBB866_234:
	s_or_b64 exec, exec, s[8:9]
.LBB866_235:
	s_or_b64 exec, exec, s[2:3]
	v_lshrrev_b16_e32 v30, 8, v31
	v_cmp_ne_u16_e32 vcc, 0, v30
	v_mov_b32_e32 v55, 0
	v_mov_b32_e32 v42, 0
	s_and_saveexec_b64 s[2:3], vcc
	s_cbranch_execz .LBB866_241
; %bb.236:
	s_movk_i32 s8, 0x80
	v_cmp_ne_u16_e32 vcc, s8, v30
	v_mov_b32_e32 v42, 0xffff8000
	s_and_saveexec_b64 s[8:9], vcc
	s_cbranch_execz .LBB866_240
; %bb.237:
	s_movk_i32 s10, 0x7f
	v_and_b32_e32 v52, 0x7f, v30
	v_cmp_ne_u32_e32 vcc, s10, v52
	v_mov_b32_e32 v42, 0x7f80
	s_and_saveexec_b64 s[10:11], vcc
	s_cbranch_execz .LBB866_239
; %bb.238:
	v_and_b32_e32 v42, 7, v30
	v_ffbh_u32_e32 v56, v42
	v_min_u32_e32 v59, 32, v56
	v_subrev_u32_e32 v56, 28, v59
	v_lshlrev_b64 v[56:57], v56, v[30:31]
	v_lshrrev_b32_e32 v58, 3, v52
	v_sub_u32_e32 v30, 29, v59
	v_and_b32_e32 v56, 7, v56
	v_cmp_gt_u32_e32 vcc, 8, v52
	v_cndmask_b32_e32 v30, v58, v30, vcc
	v_cndmask_b32_e32 v42, v42, v56, vcc
	v_lshlrev_b32_e32 v52, 16, v31
	v_bfrev_b32_e32 v56, 60
	v_lshlrev_b32_e32 v42, 20, v42
	v_and_b32_e32 v52, 0x80000000, v52
	v_lshl_add_u32 v30, v30, 23, v56
	v_or3_b32 v30, v52, v30, v42
	v_lshrrev_b32_e32 v42, 16, v30
.LBB866_239:
	s_or_b64 exec, exec, s[10:11]
.LBB866_240:
	s_or_b64 exec, exec, s[8:9]
.LBB866_241:
	s_or_b64 exec, exec, s[2:3]
	s_movk_i32 s2, 0xff
	v_and_b32_sdwa v52, v31, s2 dst_sel:DWORD dst_unused:UNUSED_PAD src0_sel:WORD_1 src1_sel:DWORD
	v_lshrrev_b32_e32 v30, 16, v31
	v_cmp_ne_u16_e32 vcc, 0, v52
	s_and_saveexec_b64 s[2:3], vcc
	s_cbranch_execz .LBB866_247
; %bb.242:
	s_movk_i32 s8, 0x80
	v_cmp_ne_u16_e32 vcc, s8, v52
	v_mov_b32_e32 v55, 0xffff8000
	s_and_saveexec_b64 s[8:9], vcc
	s_cbranch_execz .LBB866_246
; %bb.243:
	v_bfe_u32 v52, v31, 16, 7
	s_movk_i32 s10, 0x7f
	v_cmp_ne_u32_e32 vcc, s10, v52
	v_mov_b32_e32 v55, 0x7f80
	s_and_saveexec_b64 s[10:11], vcc
	s_cbranch_execz .LBB866_245
; %bb.244:
	v_and_b32_e32 v55, 7, v30
	v_ffbh_u32_e32 v56, v55
	v_min_u32_e32 v59, 32, v56
	v_subrev_u32_e32 v56, 28, v59
	v_lshlrev_b64 v[56:57], v56, v[30:31]
	v_and_b32_e32 v56, 7, v56
	v_cmp_gt_u32_e32 vcc, 8, v52
	v_lshrrev_b32_e32 v58, 3, v52
	v_sub_u32_e32 v30, 29, v59
	v_cndmask_b32_e32 v52, v55, v56, vcc
	v_mov_b32_e32 v55, 24
	v_cndmask_b32_e32 v30, v58, v30, vcc
	v_lshlrev_b32_sdwa v55, v55, v31 dst_sel:DWORD dst_unused:UNUSED_PAD src0_sel:DWORD src1_sel:WORD_1
	v_bfrev_b32_e32 v56, 60
	v_lshlrev_b32_e32 v52, 20, v52
	v_and_b32_e32 v55, 0x80000000, v55
	v_lshl_add_u32 v30, v30, 23, v56
	v_or3_b32 v30, v55, v30, v52
	v_lshrrev_b32_e32 v55, 16, v30
.LBB866_245:
	s_or_b64 exec, exec, s[10:11]
.LBB866_246:
	s_or_b64 exec, exec, s[8:9]
.LBB866_247:
	s_or_b64 exec, exec, s[2:3]
	s_mov_b32 s2, 0xffffff
	v_cmp_lt_u32_e32 vcc, s2, v31
	v_mov_b32_e32 v52, 0
	v_mov_b32_e32 v56, 0
	s_and_saveexec_b64 s[2:3], vcc
	s_cbranch_execz .LBB866_253
; %bb.248:
	v_lshrrev_b32_e32 v30, 24, v31
	s_movk_i32 s8, 0x80
	v_cmp_ne_u32_e32 vcc, s8, v30
	v_mov_b32_e32 v56, 0xffff8000
	s_and_saveexec_b64 s[8:9], vcc
	s_cbranch_execz .LBB866_252
; %bb.249:
	v_bfe_u32 v31, v31, 24, 7
	s_movk_i32 s10, 0x7f
	v_cmp_ne_u32_e32 vcc, s10, v31
	v_mov_b32_e32 v56, 0x7f80
	s_and_saveexec_b64 s[10:11], vcc
	s_cbranch_execz .LBB866_251
; %bb.250:
	v_and_b32_e32 v58, 7, v30
	v_ffbh_u32_e32 v56, v58
	v_min_u32_e32 v60, 32, v56
	v_subrev_u32_e32 v56, 28, v60
	v_lshlrev_b64 v[56:57], v56, v[30:31]
	v_lshrrev_b32_e32 v59, 3, v31
	v_sub_u32_e32 v57, 29, v60
	v_and_b32_e32 v56, 7, v56
	v_cmp_gt_u32_e32 vcc, 8, v31
	v_cndmask_b32_e32 v31, v59, v57, vcc
	v_cndmask_b32_e32 v56, v58, v56, vcc
	v_lshlrev_b32_e32 v30, 24, v30
	v_bfrev_b32_e32 v57, 60
	v_lshlrev_b32_e32 v56, 20, v56
	v_and_b32_e32 v30, 0x80000000, v30
	v_lshl_add_u32 v31, v31, 23, v57
	v_or3_b32 v30, v30, v31, v56
	v_lshrrev_b32_e32 v56, 16, v30
.LBB866_251:
	s_or_b64 exec, exec, s[10:11]
.LBB866_252:
	s_or_b64 exec, exec, s[8:9]
.LBB866_253:
	s_or_b64 exec, exec, s[2:3]
	s_mov_b32 s2, 0x5040100
	v_perm_b32 v31, v54, v44, s2
	v_perm_b32 v30, v43, v53, s2
	v_cmp_ne_u16_sdwa s[8:9], v32, v52 src0_sel:BYTE_0 src1_sel:DWORD
	s_nop 0
	v_mfma_f32_16x16x16bf16_1k v[58:61], v[30:31], v[26:27], 0
	v_perm_b32 v31, v56, v55, s2
	v_perm_b32 v30, v42, v45, s2
	s_nop 1
	v_mfma_f32_16x16x16bf16_1k v[42:45], v[30:31], v[28:29], v[58:61]
	s_and_saveexec_b64 s[2:3], s[8:9]
	s_cbranch_execz .LBB866_259
; %bb.254:
	s_movk_i32 s8, 0x80
	v_cmp_ne_u16_sdwa s[10:11], v32, s8 src0_sel:BYTE_0 src1_sel:DWORD
	v_mov_b32_e32 v52, 0xffff8000
	s_and_saveexec_b64 s[8:9], s[10:11]
	s_cbranch_execz .LBB866_258
; %bb.255:
	s_movk_i32 s10, 0x7f
	v_and_b32_e32 v30, 0x7f, v32
	v_cmp_ne_u32_e32 vcc, s10, v30
	v_mov_b32_e32 v52, 0x7f80
	s_and_saveexec_b64 s[10:11], vcc
	s_cbranch_execz .LBB866_257
; %bb.256:
	v_and_b32_e32 v31, 7, v32
	v_ffbh_u32_e32 v52, v31
	v_min_u32_e32 v55, 32, v52
	v_subrev_u32_e32 v52, 28, v55
	v_lshlrev_b64 v[52:53], v52, v[32:33]
	v_lshrrev_b32_e32 v54, 3, v30
	v_sub_u32_e32 v53, 29, v55
	v_and_b32_e32 v52, 7, v52
	v_cmp_gt_u32_e32 vcc, 8, v30
	v_cndmask_b32_e32 v30, v54, v53, vcc
	v_cndmask_b32_e32 v31, v31, v52, vcc
	v_lshlrev_b32_e32 v52, 24, v32
	v_bfrev_b32_e32 v53, 60
	v_lshlrev_b32_e32 v31, 20, v31
	v_and_b32_e32 v52, 0x80000000, v52
	v_lshl_add_u32 v30, v30, 23, v53
	v_or3_b32 v30, v52, v30, v31
	v_lshrrev_b32_e32 v52, 16, v30
.LBB866_257:
	s_or_b64 exec, exec, s[10:11]
.LBB866_258:
	s_or_b64 exec, exec, s[8:9]
.LBB866_259:
	s_or_b64 exec, exec, s[2:3]
	v_lshrrev_b16_e32 v30, 8, v32
	v_cmp_ne_u16_e32 vcc, 0, v30
	v_mov_b32_e32 v54, 0
	v_mov_b32_e32 v31, 0
	s_and_saveexec_b64 s[2:3], vcc
	s_cbranch_execz .LBB866_265
; %bb.260:
	s_movk_i32 s8, 0x80
	v_cmp_ne_u16_e32 vcc, s8, v30
	v_mov_b32_e32 v31, 0xffff8000
	s_and_saveexec_b64 s[8:9], vcc
	s_cbranch_execz .LBB866_264
; %bb.261:
	s_movk_i32 s10, 0x7f
	v_and_b32_e32 v53, 0x7f, v30
	v_cmp_ne_u32_e32 vcc, s10, v53
	v_mov_b32_e32 v31, 0x7f80
	s_and_saveexec_b64 s[10:11], vcc
	s_cbranch_execz .LBB866_263
; %bb.262:
	v_and_b32_e32 v55, 7, v30
	v_ffbh_u32_e32 v31, v55
	v_min_u32_e32 v57, 32, v31
	v_subrev_u32_e32 v31, 28, v57
	v_lshlrev_b64 v[30:31], v31, v[30:31]
	v_lshrrev_b32_e32 v56, 3, v53
	v_sub_u32_e32 v31, 29, v57
	v_and_b32_e32 v30, 7, v30
	v_cmp_gt_u32_e32 vcc, 8, v53
	v_cndmask_b32_e32 v31, v56, v31, vcc
	v_cndmask_b32_e32 v30, v55, v30, vcc
	v_lshlrev_b32_e32 v53, 16, v32
	v_bfrev_b32_e32 v55, 60
	v_lshlrev_b32_e32 v30, 20, v30
	v_and_b32_e32 v53, 0x80000000, v53
	v_lshl_add_u32 v31, v31, 23, v55
	v_or3_b32 v30, v53, v31, v30
	v_lshrrev_b32_e32 v31, 16, v30
.LBB866_263:
	s_or_b64 exec, exec, s[10:11]
.LBB866_264:
	s_or_b64 exec, exec, s[8:9]
.LBB866_265:
	s_or_b64 exec, exec, s[2:3]
	s_movk_i32 s2, 0xff
	v_and_b32_sdwa v53, v32, s2 dst_sel:DWORD dst_unused:UNUSED_PAD src0_sel:WORD_1 src1_sel:DWORD
	v_lshrrev_b32_e32 v30, 16, v32
	v_cmp_ne_u16_e32 vcc, 0, v53
	s_and_saveexec_b64 s[2:3], vcc
	s_cbranch_execz .LBB866_271
; %bb.266:
	s_movk_i32 s8, 0x80
	v_cmp_ne_u16_e32 vcc, s8, v53
	v_mov_b32_e32 v54, 0xffff8000
	s_and_saveexec_b64 s[8:9], vcc
	s_cbranch_execz .LBB866_270
; %bb.267:
	v_bfe_u32 v53, v32, 16, 7
	s_movk_i32 s10, 0x7f
	v_cmp_ne_u32_e32 vcc, s10, v53
	v_mov_b32_e32 v54, 0x7f80
	s_and_saveexec_b64 s[10:11], vcc
	s_cbranch_execz .LBB866_269
; %bb.268:
	v_and_b32_e32 v56, 7, v30
	v_ffbh_u32_e32 v54, v56
	v_min_u32_e32 v58, 32, v54
	v_subrev_u32_e32 v54, 28, v58
	v_lshlrev_b64 v[54:55], v54, v[30:31]
	v_and_b32_e32 v54, 7, v54
	v_cmp_gt_u32_e32 vcc, 8, v53
	v_lshrrev_b32_e32 v57, 3, v53
	v_sub_u32_e32 v30, 29, v58
	v_cndmask_b32_e32 v53, v56, v54, vcc
	v_mov_b32_e32 v54, 24
	v_cndmask_b32_e32 v30, v57, v30, vcc
	v_lshlrev_b32_sdwa v54, v54, v32 dst_sel:DWORD dst_unused:UNUSED_PAD src0_sel:DWORD src1_sel:WORD_1
	v_bfrev_b32_e32 v55, 60
	v_lshlrev_b32_e32 v53, 20, v53
	v_and_b32_e32 v54, 0x80000000, v54
	v_lshl_add_u32 v30, v30, 23, v55
	v_or3_b32 v30, v54, v30, v53
	v_lshrrev_b32_e32 v54, 16, v30
.LBB866_269:
	s_or_b64 exec, exec, s[10:11]
.LBB866_270:
	s_or_b64 exec, exec, s[8:9]
.LBB866_271:
	s_or_b64 exec, exec, s[2:3]
	s_mov_b32 s2, 0xffffff
	v_cmp_lt_u32_e32 vcc, s2, v32
	v_mov_b32_e32 v55, 0
	v_mov_b32_e32 v56, 0
	s_and_saveexec_b64 s[2:3], vcc
	s_cbranch_execz .LBB866_277
; %bb.272:
	v_lshrrev_b32_e32 v30, 24, v32
	s_movk_i32 s8, 0x80
	v_cmp_ne_u32_e32 vcc, s8, v30
	v_mov_b32_e32 v56, 0xffff8000
	s_and_saveexec_b64 s[8:9], vcc
	s_cbranch_execz .LBB866_276
; %bb.273:
	v_bfe_u32 v32, v32, 24, 7
	s_movk_i32 s10, 0x7f
	v_cmp_ne_u32_e32 vcc, s10, v32
	v_mov_b32_e32 v56, 0x7f80
	s_and_saveexec_b64 s[10:11], vcc
	s_cbranch_execz .LBB866_275
; %bb.274:
	v_and_b32_e32 v53, 7, v30
	v_ffbh_u32_e32 v56, v53
	v_min_u32_e32 v59, 32, v56
	v_subrev_u32_e32 v56, 28, v59
	v_lshlrev_b64 v[56:57], v56, v[30:31]
	v_lshrrev_b32_e32 v58, 3, v32
	v_sub_u32_e32 v57, 29, v59
	v_and_b32_e32 v56, 7, v56
	v_cmp_gt_u32_e32 vcc, 8, v32
	v_cndmask_b32_e32 v32, v58, v57, vcc
	v_cndmask_b32_e32 v53, v53, v56, vcc
	v_lshlrev_b32_e32 v30, 24, v30
	v_bfrev_b32_e32 v56, 60
	v_lshlrev_b32_e32 v53, 20, v53
	v_and_b32_e32 v30, 0x80000000, v30
	v_lshl_add_u32 v32, v32, 23, v56
	v_or3_b32 v30, v30, v32, v53
	v_lshrrev_b32_e32 v56, 16, v30
.LBB866_275:
	s_or_b64 exec, exec, s[10:11]
.LBB866_276:
	s_or_b64 exec, exec, s[8:9]
.LBB866_277:
	s_or_b64 exec, exec, s[2:3]
	v_cmp_ne_u16_sdwa s[8:9], v33, v55 src0_sel:BYTE_0 src1_sel:DWORD
	s_and_saveexec_b64 s[2:3], s[8:9]
	s_cbranch_execz .LBB866_283
; %bb.278:
	s_movk_i32 s8, 0x80
	v_cmp_ne_u16_sdwa s[10:11], v33, s8 src0_sel:BYTE_0 src1_sel:DWORD
	v_mov_b32_e32 v55, 0xffff8000
	s_and_saveexec_b64 s[8:9], s[10:11]
	s_cbranch_execz .LBB866_282
; %bb.279:
	s_movk_i32 s10, 0x7f
	v_and_b32_e32 v30, 0x7f, v33
	v_cmp_ne_u32_e32 vcc, s10, v30
	v_mov_b32_e32 v55, 0x7f80
	s_and_saveexec_b64 s[10:11], vcc
	s_cbranch_execz .LBB866_281
; %bb.280:
	v_and_b32_e32 v53, 7, v33
	v_ffbh_u32_e32 v57, v53
	v_min_u32_e32 v57, 32, v57
	v_mov_b32_e32 v32, v33
	v_subrev_u32_e32 v58, 28, v57
	v_lshlrev_b64 v[58:59], v58, v[32:33]
	v_lshrrev_b32_e32 v55, 3, v30
	v_sub_u32_e32 v32, 29, v57
	v_and_b32_e32 v57, 7, v58
	v_cmp_gt_u32_e32 vcc, 8, v30
	v_cndmask_b32_e32 v30, v55, v32, vcc
	v_cndmask_b32_e32 v32, v53, v57, vcc
	v_lshlrev_b32_e32 v53, 24, v33
	v_bfrev_b32_e32 v55, 60
	v_lshlrev_b32_e32 v32, 20, v32
	v_and_b32_e32 v53, 0x80000000, v53
	v_lshl_add_u32 v30, v30, 23, v55
	v_or3_b32 v30, v53, v30, v32
	v_lshrrev_b32_e32 v55, 16, v30
.LBB866_281:
	s_or_b64 exec, exec, s[10:11]
.LBB866_282:
	s_or_b64 exec, exec, s[8:9]
.LBB866_283:
	s_or_b64 exec, exec, s[2:3]
	v_lshrrev_b16_e32 v30, 8, v33
	v_cmp_ne_u16_e32 vcc, 0, v30
	v_mov_b32_e32 v57, 0
	v_mov_b32_e32 v32, 0
	s_and_saveexec_b64 s[2:3], vcc
	s_cbranch_execz .LBB866_289
; %bb.284:
	s_movk_i32 s8, 0x80
	v_cmp_ne_u16_e32 vcc, s8, v30
	v_mov_b32_e32 v32, 0xffff8000
	s_and_saveexec_b64 s[8:9], vcc
	s_cbranch_execz .LBB866_288
; %bb.285:
	s_movk_i32 s10, 0x7f
	v_and_b32_e32 v53, 0x7f, v30
	v_cmp_ne_u32_e32 vcc, s10, v53
	v_mov_b32_e32 v32, 0x7f80
	s_and_saveexec_b64 s[10:11], vcc
	s_cbranch_execz .LBB866_287
; %bb.286:
	v_and_b32_e32 v32, 7, v30
	v_ffbh_u32_e32 v58, v32
	v_min_u32_e32 v61, 32, v58
	v_subrev_u32_e32 v58, 28, v61
	v_lshlrev_b64 v[58:59], v58, v[30:31]
	v_lshrrev_b32_e32 v60, 3, v53
	v_sub_u32_e32 v30, 29, v61
	v_and_b32_e32 v58, 7, v58
	v_cmp_gt_u32_e32 vcc, 8, v53
	v_cndmask_b32_e32 v30, v60, v30, vcc
	v_cndmask_b32_e32 v32, v32, v58, vcc
	v_lshlrev_b32_e32 v53, 16, v33
	v_bfrev_b32_e32 v58, 60
	v_lshlrev_b32_e32 v32, 20, v32
	v_and_b32_e32 v53, 0x80000000, v53
	v_lshl_add_u32 v30, v30, 23, v58
	v_or3_b32 v30, v53, v30, v32
	v_lshrrev_b32_e32 v32, 16, v30
.LBB866_287:
	s_or_b64 exec, exec, s[10:11]
.LBB866_288:
	s_or_b64 exec, exec, s[8:9]
.LBB866_289:
	s_or_b64 exec, exec, s[2:3]
	s_movk_i32 s2, 0xff
	v_and_b32_sdwa v53, v33, s2 dst_sel:DWORD dst_unused:UNUSED_PAD src0_sel:WORD_1 src1_sel:DWORD
	v_lshrrev_b32_e32 v30, 16, v33
	v_cmp_ne_u16_e32 vcc, 0, v53
	s_and_saveexec_b64 s[2:3], vcc
	s_cbranch_execz .LBB866_295
; %bb.290:
	s_movk_i32 s8, 0x80
	v_cmp_ne_u16_e32 vcc, s8, v53
	v_mov_b32_e32 v57, 0xffff8000
	s_and_saveexec_b64 s[8:9], vcc
	s_cbranch_execz .LBB866_294
; %bb.291:
	v_bfe_u32 v53, v33, 16, 7
	s_movk_i32 s10, 0x7f
	v_cmp_ne_u32_e32 vcc, s10, v53
	v_mov_b32_e32 v57, 0x7f80
	s_and_saveexec_b64 s[10:11], vcc
	s_cbranch_execz .LBB866_293
; %bb.292:
	v_and_b32_e32 v57, 7, v30
	v_ffbh_u32_e32 v58, v57
	v_min_u32_e32 v61, 32, v58
	v_subrev_u32_e32 v58, 28, v61
	v_lshlrev_b64 v[58:59], v58, v[30:31]
	v_and_b32_e32 v58, 7, v58
	v_cmp_gt_u32_e32 vcc, 8, v53
	v_lshrrev_b32_e32 v60, 3, v53
	v_sub_u32_e32 v30, 29, v61
	v_cndmask_b32_e32 v53, v57, v58, vcc
	v_mov_b32_e32 v57, 24
	v_cndmask_b32_e32 v30, v60, v30, vcc
	v_lshlrev_b32_sdwa v57, v57, v33 dst_sel:DWORD dst_unused:UNUSED_PAD src0_sel:DWORD src1_sel:WORD_1
	v_bfrev_b32_e32 v58, 60
	v_lshlrev_b32_e32 v53, 20, v53
	v_and_b32_e32 v57, 0x80000000, v57
	v_lshl_add_u32 v30, v30, 23, v58
	v_or3_b32 v30, v57, v30, v53
	v_lshrrev_b32_e32 v57, 16, v30
.LBB866_293:
	s_or_b64 exec, exec, s[10:11]
.LBB866_294:
	s_or_b64 exec, exec, s[8:9]
.LBB866_295:
	s_or_b64 exec, exec, s[2:3]
	s_mov_b32 s2, 0xffffff
	v_cmp_lt_u32_e32 vcc, s2, v33
	v_mov_b32_e32 v53, 0
	v_mov_b32_e32 v58, 0
	s_and_saveexec_b64 s[2:3], vcc
	s_cbranch_execz .LBB866_301
; %bb.296:
	v_lshrrev_b32_e32 v30, 24, v33
	s_movk_i32 s8, 0x80
	v_cmp_ne_u32_e32 vcc, s8, v30
	v_mov_b32_e32 v58, 0xffff8000
	s_and_saveexec_b64 s[8:9], vcc
	s_cbranch_execz .LBB866_300
; %bb.297:
	v_bfe_u32 v33, v33, 24, 7
	s_movk_i32 s10, 0x7f
	v_cmp_ne_u32_e32 vcc, s10, v33
	v_mov_b32_e32 v58, 0x7f80
	s_and_saveexec_b64 s[10:11], vcc
	s_cbranch_execz .LBB866_299
; %bb.298:
	v_and_b32_e32 v60, 7, v30
	v_ffbh_u32_e32 v58, v60
	v_min_u32_e32 v62, 32, v58
	v_subrev_u32_e32 v58, 28, v62
	v_lshlrev_b64 v[58:59], v58, v[30:31]
	v_lshrrev_b32_e32 v61, 3, v33
	v_sub_u32_e32 v59, 29, v62
	v_and_b32_e32 v58, 7, v58
	v_cmp_gt_u32_e32 vcc, 8, v33
	v_cndmask_b32_e32 v33, v61, v59, vcc
	v_cndmask_b32_e32 v58, v60, v58, vcc
	v_lshlrev_b32_e32 v30, 24, v30
	v_bfrev_b32_e32 v59, 60
	v_lshlrev_b32_e32 v58, 20, v58
	v_and_b32_e32 v30, 0x80000000, v30
	v_lshl_add_u32 v33, v33, 23, v59
	v_or3_b32 v30, v30, v33, v58
	v_lshrrev_b32_e32 v58, 16, v30
.LBB866_299:
	s_or_b64 exec, exec, s[10:11]
.LBB866_300:
	s_or_b64 exec, exec, s[8:9]
.LBB866_301:
	s_or_b64 exec, exec, s[2:3]
	s_mov_b32 s2, 0x5040100
	v_perm_b32 v61, v56, v54, s2
	v_perm_b32 v60, v31, v52, s2
	v_perm_b32 v31, v58, v57, s2
	v_perm_b32 v30, v32, v55, s2
	v_cmp_ne_u16_sdwa s[8:9], v22, v53 src0_sel:BYTE_0 src1_sel:DWORD
	v_mfma_f32_16x16x16bf16_1k v[42:45], v[60:61], v[18:19], v[42:45]
	v_mfma_f32_16x16x16bf16_1k v[30:33], v[30:31], v[20:21], v[42:45]
	s_and_saveexec_b64 s[2:3], s[8:9]
	s_cbranch_execz .LBB866_307
; %bb.302:
	s_movk_i32 s8, 0x80
	v_cmp_ne_u16_sdwa s[10:11], v22, s8 src0_sel:BYTE_0 src1_sel:DWORD
	v_mov_b32_e32 v53, 0xffff8000
	s_and_saveexec_b64 s[8:9], s[10:11]
	s_cbranch_execz .LBB866_306
; %bb.303:
	s_movk_i32 s10, 0x7f
	s_nop 1
	v_and_b32_e32 v42, 0x7f, v22
	v_cmp_ne_u32_e32 vcc, s10, v42
	v_mov_b32_e32 v53, 0x7f80
	s_and_saveexec_b64 s[10:11], vcc
	s_cbranch_execz .LBB866_305
; %bb.304:
	v_and_b32_e32 v43, 7, v22
	v_ffbh_u32_e32 v44, v43
	v_min_u32_e32 v53, 32, v44
	v_subrev_u32_e32 v44, 28, v53
	v_lshlrev_b64 v[44:45], v44, v[22:23]
	v_lshrrev_b32_e32 v52, 3, v42
	v_sub_u32_e32 v45, 29, v53
	v_and_b32_e32 v44, 7, v44
	v_cmp_gt_u32_e32 vcc, 8, v42
	v_cndmask_b32_e32 v42, v52, v45, vcc
	v_cndmask_b32_e32 v43, v43, v44, vcc
	v_lshlrev_b32_e32 v44, 24, v22
	v_bfrev_b32_e32 v45, 60
	v_lshlrev_b32_e32 v43, 20, v43
	v_and_b32_e32 v44, 0x80000000, v44
	v_lshl_add_u32 v42, v42, 23, v45
	v_or3_b32 v42, v44, v42, v43
	v_lshrrev_b32_e32 v53, 16, v42
.LBB866_305:
	s_or_b64 exec, exec, s[10:11]
.LBB866_306:
	s_or_b64 exec, exec, s[8:9]
.LBB866_307:
	s_or_b64 exec, exec, s[2:3]
	s_nop 6
	v_lshrrev_b16_e32 v42, 8, v22
	v_cmp_ne_u16_e32 vcc, 0, v42
	v_mov_b32_e32 v44, 0
	v_mov_b32_e32 v43, 0
	s_and_saveexec_b64 s[2:3], vcc
	s_cbranch_execz .LBB866_313
; %bb.308:
	s_movk_i32 s8, 0x80
	v_cmp_ne_u16_e32 vcc, s8, v42
	v_mov_b32_e32 v43, 0xffff8000
	s_and_saveexec_b64 s[8:9], vcc
	s_cbranch_execz .LBB866_312
; %bb.309:
	s_movk_i32 s10, 0x7f
	v_and_b32_e32 v45, 0x7f, v42
	v_cmp_ne_u32_e32 vcc, s10, v45
	v_mov_b32_e32 v43, 0x7f80
	s_and_saveexec_b64 s[10:11], vcc
	s_cbranch_execz .LBB866_311
; %bb.310:
	v_and_b32_e32 v52, 7, v42
	v_ffbh_u32_e32 v43, v52
	v_min_u32_e32 v55, 32, v43
	v_subrev_u32_e32 v43, 28, v55
	v_lshlrev_b64 v[42:43], v43, v[42:43]
	v_lshrrev_b32_e32 v54, 3, v45
	v_sub_u32_e32 v43, 29, v55
	v_and_b32_e32 v42, 7, v42
	v_cmp_gt_u32_e32 vcc, 8, v45
	v_cndmask_b32_e32 v43, v54, v43, vcc
	v_cndmask_b32_e32 v42, v52, v42, vcc
	v_lshlrev_b32_e32 v45, 16, v22
	v_bfrev_b32_e32 v52, 60
	v_lshlrev_b32_e32 v42, 20, v42
	v_and_b32_e32 v45, 0x80000000, v45
	v_lshl_add_u32 v43, v43, 23, v52
	v_or3_b32 v42, v45, v43, v42
	v_lshrrev_b32_e32 v43, 16, v42
.LBB866_311:
	s_or_b64 exec, exec, s[10:11]
.LBB866_312:
	s_or_b64 exec, exec, s[8:9]
.LBB866_313:
	s_or_b64 exec, exec, s[2:3]
	s_movk_i32 s2, 0xff
	v_and_b32_sdwa v45, v22, s2 dst_sel:DWORD dst_unused:UNUSED_PAD src0_sel:WORD_1 src1_sel:DWORD
	v_lshrrev_b32_e32 v42, 16, v22
	v_cmp_ne_u16_e32 vcc, 0, v45
	s_and_saveexec_b64 s[2:3], vcc
	s_cbranch_execz .LBB866_319
; %bb.314:
	s_movk_i32 s8, 0x80
	v_cmp_ne_u16_e32 vcc, s8, v45
	v_mov_b32_e32 v44, 0xffff8000
	s_and_saveexec_b64 s[8:9], vcc
	s_cbranch_execz .LBB866_318
; %bb.315:
	v_bfe_u32 v45, v22, 16, 7
	s_movk_i32 s10, 0x7f
	v_cmp_ne_u32_e32 vcc, s10, v45
	v_mov_b32_e32 v44, 0x7f80
	s_and_saveexec_b64 s[10:11], vcc
	s_cbranch_execz .LBB866_317
; %bb.316:
	v_and_b32_e32 v44, 7, v42
	v_ffbh_u32_e32 v54, v44
	v_min_u32_e32 v56, 32, v54
	v_subrev_u32_e32 v54, 28, v56
	v_lshlrev_b64 v[54:55], v54, v[42:43]
	v_lshrrev_b32_e32 v52, 3, v45
	v_sub_u32_e32 v42, 29, v56
	v_and_b32_e32 v54, 7, v54
	v_cmp_gt_u32_e32 vcc, 8, v45
	v_mov_b32_e32 v45, 24
	v_cndmask_b32_e32 v42, v52, v42, vcc
	v_cndmask_b32_e32 v44, v44, v54, vcc
	v_lshlrev_b32_sdwa v45, v45, v22 dst_sel:DWORD dst_unused:UNUSED_PAD src0_sel:DWORD src1_sel:WORD_1
	v_bfrev_b32_e32 v52, 60
	v_lshlrev_b32_e32 v44, 20, v44
	v_and_b32_e32 v45, 0x80000000, v45
	v_lshl_add_u32 v42, v42, 23, v52
	v_or3_b32 v42, v45, v42, v44
	v_lshrrev_b32_e32 v44, 16, v42
.LBB866_317:
	s_or_b64 exec, exec, s[10:11]
.LBB866_318:
	s_or_b64 exec, exec, s[8:9]
.LBB866_319:
	s_or_b64 exec, exec, s[2:3]
	s_mov_b32 s2, 0xffffff
	v_cmp_lt_u32_e32 vcc, s2, v22
	v_mov_b32_e32 v45, 0
	v_mov_b32_e32 v52, 0
	s_and_saveexec_b64 s[2:3], vcc
	s_cbranch_execz .LBB866_325
; %bb.320:
	v_lshrrev_b32_e32 v42, 24, v22
	s_movk_i32 s8, 0x80
	v_cmp_ne_u32_e32 vcc, s8, v42
	v_mov_b32_e32 v52, 0xffff8000
	s_and_saveexec_b64 s[8:9], vcc
	s_cbranch_execz .LBB866_324
; %bb.321:
	v_bfe_u32 v22, v22, 24, 7
	s_movk_i32 s10, 0x7f
	v_cmp_ne_u32_e32 vcc, s10, v22
	v_mov_b32_e32 v52, 0x7f80
	s_and_saveexec_b64 s[10:11], vcc
	s_cbranch_execz .LBB866_323
; %bb.322:
	v_and_b32_e32 v52, 7, v42
	v_ffbh_u32_e32 v54, v52
	v_min_u32_e32 v57, 32, v54
	v_subrev_u32_e32 v54, 28, v57
	v_lshlrev_b64 v[54:55], v54, v[42:43]
	v_lshrrev_b32_e32 v56, 3, v22
	v_sub_u32_e32 v55, 29, v57
	v_and_b32_e32 v54, 7, v54
	v_cmp_gt_u32_e32 vcc, 8, v22
	v_cndmask_b32_e32 v22, v56, v55, vcc
	v_cndmask_b32_e32 v52, v52, v54, vcc
	v_lshlrev_b32_e32 v42, 24, v42
	v_bfrev_b32_e32 v54, 60
	v_lshlrev_b32_e32 v52, 20, v52
	v_and_b32_e32 v42, 0x80000000, v42
	v_lshl_add_u32 v22, v22, 23, v54
	v_or3_b32 v22, v42, v22, v52
	v_lshrrev_b32_e32 v52, 16, v22
.LBB866_323:
	s_or_b64 exec, exec, s[10:11]
.LBB866_324:
	s_or_b64 exec, exec, s[8:9]
.LBB866_325:
	s_or_b64 exec, exec, s[2:3]
	v_cmp_ne_u16_sdwa s[8:9], v23, v45 src0_sel:BYTE_0 src1_sel:DWORD
	s_and_saveexec_b64 s[2:3], s[8:9]
	s_cbranch_execz .LBB866_331
; %bb.326:
	s_movk_i32 s8, 0x80
	v_cmp_ne_u16_sdwa s[10:11], v23, s8 src0_sel:BYTE_0 src1_sel:DWORD
	v_mov_b32_e32 v45, 0xffff8000
	s_and_saveexec_b64 s[8:9], s[10:11]
	s_cbranch_execz .LBB866_330
; %bb.327:
	s_movk_i32 s10, 0x7f
	v_and_b32_e32 v22, 0x7f, v23
	v_cmp_ne_u32_e32 vcc, s10, v22
	v_mov_b32_e32 v45, 0x7f80
	s_and_saveexec_b64 s[10:11], vcc
	s_cbranch_execz .LBB866_329
; %bb.328:
	v_and_b32_e32 v45, 7, v23
	v_ffbh_u32_e32 v54, v45
	v_min_u32_e32 v57, 32, v54
	v_mov_b32_e32 v42, v23
	v_subrev_u32_e32 v54, 28, v57
	v_lshlrev_b64 v[54:55], v54, v[42:43]
	v_lshrrev_b32_e32 v56, 3, v22
	v_sub_u32_e32 v42, 29, v57
	v_and_b32_e32 v54, 7, v54
	v_cmp_gt_u32_e32 vcc, 8, v22
	v_cndmask_b32_e32 v22, v56, v42, vcc
	v_cndmask_b32_e32 v42, v45, v54, vcc
	v_lshlrev_b32_e32 v45, 24, v23
	v_bfrev_b32_e32 v54, 60
	v_lshlrev_b32_e32 v42, 20, v42
	v_and_b32_e32 v45, 0x80000000, v45
	v_lshl_add_u32 v22, v22, 23, v54
	v_or3_b32 v22, v45, v22, v42
	v_lshrrev_b32_e32 v45, 16, v22
.LBB866_329:
	s_or_b64 exec, exec, s[10:11]
.LBB866_330:
	s_or_b64 exec, exec, s[8:9]
.LBB866_331:
	s_or_b64 exec, exec, s[2:3]
	v_lshrrev_b16_e32 v22, 8, v23
	v_cmp_ne_u16_e32 vcc, 0, v22
	v_mov_b32_e32 v55, 0
	v_mov_b32_e32 v54, 0
	s_and_saveexec_b64 s[2:3], vcc
	s_cbranch_execz .LBB866_337
; %bb.332:
	s_movk_i32 s8, 0x80
	v_cmp_ne_u16_e32 vcc, s8, v22
	v_mov_b32_e32 v54, 0xffff8000
	s_and_saveexec_b64 s[8:9], vcc
	s_cbranch_execz .LBB866_336
; %bb.333:
	s_movk_i32 s10, 0x7f
	v_and_b32_e32 v42, 0x7f, v22
	v_cmp_ne_u32_e32 vcc, s10, v42
	v_mov_b32_e32 v54, 0x7f80
	s_and_saveexec_b64 s[10:11], vcc
	s_cbranch_execz .LBB866_335
; %bb.334:
	v_and_b32_e32 v54, 7, v22
	v_ffbh_u32_e32 v56, v54
	v_min_u32_e32 v59, 32, v56
	v_subrev_u32_e32 v56, 28, v59
	v_lshlrev_b64 v[56:57], v56, v[22:23]
	v_lshrrev_b32_e32 v58, 3, v42
	v_sub_u32_e32 v22, 29, v59
	v_and_b32_e32 v56, 7, v56
	v_cmp_gt_u32_e32 vcc, 8, v42
	v_cndmask_b32_e32 v22, v58, v22, vcc
	v_cndmask_b32_e32 v42, v54, v56, vcc
	v_lshlrev_b32_e32 v54, 16, v23
	v_bfrev_b32_e32 v56, 60
	v_lshlrev_b32_e32 v42, 20, v42
	v_and_b32_e32 v54, 0x80000000, v54
	v_lshl_add_u32 v22, v22, 23, v56
	v_or3_b32 v22, v54, v22, v42
	v_lshrrev_b32_e32 v54, 16, v22
.LBB866_335:
	s_or_b64 exec, exec, s[10:11]
.LBB866_336:
	s_or_b64 exec, exec, s[8:9]
.LBB866_337:
	s_or_b64 exec, exec, s[2:3]
	s_movk_i32 s2, 0xff
	v_and_b32_sdwa v42, v23, s2 dst_sel:DWORD dst_unused:UNUSED_PAD src0_sel:WORD_1 src1_sel:DWORD
	v_lshrrev_b32_e32 v22, 16, v23
	v_cmp_ne_u16_e32 vcc, 0, v42
	s_and_saveexec_b64 s[2:3], vcc
	s_cbranch_execz .LBB866_343
; %bb.338:
	s_movk_i32 s8, 0x80
	v_cmp_ne_u16_e32 vcc, s8, v42
	v_mov_b32_e32 v55, 0xffff8000
	s_and_saveexec_b64 s[8:9], vcc
	s_cbranch_execz .LBB866_342
; %bb.339:
	v_bfe_u32 v42, v23, 16, 7
	s_movk_i32 s10, 0x7f
	v_cmp_ne_u32_e32 vcc, s10, v42
	v_mov_b32_e32 v55, 0x7f80
	s_and_saveexec_b64 s[10:11], vcc
	s_cbranch_execz .LBB866_341
; %bb.340:
	v_and_b32_e32 v55, 7, v22
	v_ffbh_u32_e32 v56, v55
	v_min_u32_e32 v59, 32, v56
	v_subrev_u32_e32 v56, 28, v59
	v_lshlrev_b64 v[56:57], v56, v[22:23]
	v_and_b32_e32 v56, 7, v56
	v_cmp_gt_u32_e32 vcc, 8, v42
	v_lshrrev_b32_e32 v58, 3, v42
	v_sub_u32_e32 v22, 29, v59
	v_cndmask_b32_e32 v42, v55, v56, vcc
	v_mov_b32_e32 v55, 24
	v_cndmask_b32_e32 v22, v58, v22, vcc
	v_lshlrev_b32_sdwa v55, v55, v23 dst_sel:DWORD dst_unused:UNUSED_PAD src0_sel:DWORD src1_sel:WORD_1
	v_bfrev_b32_e32 v56, 60
	v_lshlrev_b32_e32 v42, 20, v42
	v_and_b32_e32 v55, 0x80000000, v55
	v_lshl_add_u32 v22, v22, 23, v56
	v_or3_b32 v22, v55, v22, v42
	v_lshrrev_b32_e32 v55, 16, v22
.LBB866_341:
	s_or_b64 exec, exec, s[10:11]
.LBB866_342:
	s_or_b64 exec, exec, s[8:9]
.LBB866_343:
	s_or_b64 exec, exec, s[2:3]
	s_mov_b32 s2, 0xffffff
	v_cmp_lt_u32_e32 vcc, s2, v23
	v_mov_b32_e32 v42, 0
	v_mov_b32_e32 v56, 0
	s_and_saveexec_b64 s[2:3], vcc
	s_cbranch_execz .LBB866_349
; %bb.344:
	v_lshrrev_b32_e32 v22, 24, v23
	s_movk_i32 s8, 0x80
	v_cmp_ne_u32_e32 vcc, s8, v22
	v_mov_b32_e32 v56, 0xffff8000
	s_and_saveexec_b64 s[8:9], vcc
	s_cbranch_execz .LBB866_348
; %bb.345:
	v_bfe_u32 v23, v23, 24, 7
	s_movk_i32 s10, 0x7f
	v_cmp_ne_u32_e32 vcc, s10, v23
	v_mov_b32_e32 v56, 0x7f80
	s_and_saveexec_b64 s[10:11], vcc
	s_cbranch_execz .LBB866_347
; %bb.346:
	v_and_b32_e32 v58, 7, v22
	v_ffbh_u32_e32 v56, v58
	v_min_u32_e32 v60, 32, v56
	v_subrev_u32_e32 v56, 28, v60
	v_lshlrev_b64 v[56:57], v56, v[22:23]
	v_lshrrev_b32_e32 v59, 3, v23
	v_sub_u32_e32 v57, 29, v60
	v_and_b32_e32 v56, 7, v56
	v_cmp_gt_u32_e32 vcc, 8, v23
	v_cndmask_b32_e32 v23, v59, v57, vcc
	v_cndmask_b32_e32 v56, v58, v56, vcc
	v_lshlrev_b32_e32 v22, 24, v22
	v_bfrev_b32_e32 v57, 60
	v_lshlrev_b32_e32 v56, 20, v56
	v_and_b32_e32 v22, 0x80000000, v22
	v_lshl_add_u32 v23, v23, 23, v57
	v_or3_b32 v22, v22, v23, v56
	v_lshrrev_b32_e32 v56, 16, v22
.LBB866_347:
	s_or_b64 exec, exec, s[10:11]
.LBB866_348:
	s_or_b64 exec, exec, s[8:9]
.LBB866_349:
	s_or_b64 exec, exec, s[2:3]
	s_mov_b32 s2, 0x5040100
	v_perm_b32 v23, v52, v44, s2
	v_perm_b32 v22, v43, v53, s2
	v_cmp_ne_u16_sdwa s[8:9], v24, v42 src0_sel:BYTE_0 src1_sel:DWORD
	s_nop 0
	v_mfma_f32_16x16x16bf16_1k v[58:61], v[22:23], v[26:27], 0
	v_perm_b32 v23, v56, v55, s2
	v_perm_b32 v22, v54, v45, s2
	s_nop 1
	v_mfma_f32_16x16x16bf16_1k v[26:29], v[22:23], v[28:29], v[58:61]
	s_and_saveexec_b64 s[2:3], s[8:9]
	s_cbranch_execz .LBB866_355
; %bb.350:
	s_movk_i32 s8, 0x80
	v_cmp_ne_u16_sdwa s[10:11], v24, s8 src0_sel:BYTE_0 src1_sel:DWORD
	v_mov_b32_e32 v42, 0xffff8000
	s_and_saveexec_b64 s[8:9], s[10:11]
	s_cbranch_execz .LBB866_354
; %bb.351:
	s_movk_i32 s10, 0x7f
	v_and_b32_e32 v22, 0x7f, v24
	v_cmp_ne_u32_e32 vcc, s10, v22
	v_mov_b32_e32 v42, 0x7f80
	s_and_saveexec_b64 s[10:11], vcc
	s_cbranch_execz .LBB866_353
; %bb.352:
	v_and_b32_e32 v23, 7, v24
	v_ffbh_u32_e32 v42, v23
	v_min_u32_e32 v45, 32, v42
	v_subrev_u32_e32 v42, 28, v45
	v_lshlrev_b64 v[42:43], v42, v[24:25]
	v_lshrrev_b32_e32 v44, 3, v22
	v_sub_u32_e32 v43, 29, v45
	v_and_b32_e32 v42, 7, v42
	v_cmp_gt_u32_e32 vcc, 8, v22
	v_cndmask_b32_e32 v22, v44, v43, vcc
	v_cndmask_b32_e32 v23, v23, v42, vcc
	v_lshlrev_b32_e32 v42, 24, v24
	v_bfrev_b32_e32 v43, 60
	v_lshlrev_b32_e32 v23, 20, v23
	v_and_b32_e32 v42, 0x80000000, v42
	v_lshl_add_u32 v22, v22, 23, v43
	v_or3_b32 v22, v42, v22, v23
	v_lshrrev_b32_e32 v42, 16, v22
.LBB866_353:
	s_or_b64 exec, exec, s[10:11]
.LBB866_354:
	s_or_b64 exec, exec, s[8:9]
.LBB866_355:
	s_or_b64 exec, exec, s[2:3]
	v_lshrrev_b16_e32 v22, 8, v24
	v_cmp_ne_u16_e32 vcc, 0, v22
	v_mov_b32_e32 v43, 0
	v_mov_b32_e32 v23, 0
	s_and_saveexec_b64 s[2:3], vcc
	s_cbranch_execz .LBB866_361
; %bb.356:
	s_movk_i32 s8, 0x80
	v_cmp_ne_u16_e32 vcc, s8, v22
	v_mov_b32_e32 v23, 0xffff8000
	s_and_saveexec_b64 s[8:9], vcc
	s_cbranch_execz .LBB866_360
; %bb.357:
	s_movk_i32 s10, 0x7f
	v_and_b32_e32 v44, 0x7f, v22
	v_cmp_ne_u32_e32 vcc, s10, v44
	v_mov_b32_e32 v23, 0x7f80
	s_and_saveexec_b64 s[10:11], vcc
	s_cbranch_execz .LBB866_359
; %bb.358:
	v_and_b32_e32 v45, 7, v22
	v_ffbh_u32_e32 v23, v45
	v_min_u32_e32 v53, 32, v23
	v_subrev_u32_e32 v23, 28, v53
	v_lshlrev_b64 v[22:23], v23, v[22:23]
	v_lshrrev_b32_e32 v52, 3, v44
	v_sub_u32_e32 v23, 29, v53
	v_and_b32_e32 v22, 7, v22
	v_cmp_gt_u32_e32 vcc, 8, v44
	v_cndmask_b32_e32 v23, v52, v23, vcc
	v_cndmask_b32_e32 v22, v45, v22, vcc
	v_lshlrev_b32_e32 v44, 16, v24
	v_bfrev_b32_e32 v45, 60
	v_lshlrev_b32_e32 v22, 20, v22
	v_and_b32_e32 v44, 0x80000000, v44
	v_lshl_add_u32 v23, v23, 23, v45
	v_or3_b32 v22, v44, v23, v22
	v_lshrrev_b32_e32 v23, 16, v22
.LBB866_359:
	s_or_b64 exec, exec, s[10:11]
.LBB866_360:
	s_or_b64 exec, exec, s[8:9]
.LBB866_361:
	s_or_b64 exec, exec, s[2:3]
	s_movk_i32 s2, 0xff
	v_and_b32_sdwa v44, v24, s2 dst_sel:DWORD dst_unused:UNUSED_PAD src0_sel:WORD_1 src1_sel:DWORD
	v_lshrrev_b32_e32 v22, 16, v24
	v_cmp_ne_u16_e32 vcc, 0, v44
	s_and_saveexec_b64 s[2:3], vcc
	s_cbranch_execz .LBB866_367
; %bb.362:
	s_movk_i32 s8, 0x80
	v_cmp_ne_u16_e32 vcc, s8, v44
	v_mov_b32_e32 v43, 0xffff8000
	s_and_saveexec_b64 s[8:9], vcc
	s_cbranch_execz .LBB866_366
; %bb.363:
	v_bfe_u32 v44, v24, 16, 7
	s_movk_i32 s10, 0x7f
	v_cmp_ne_u32_e32 vcc, s10, v44
	v_mov_b32_e32 v43, 0x7f80
	s_and_saveexec_b64 s[10:11], vcc
	s_cbranch_execz .LBB866_365
; %bb.364:
	v_and_b32_e32 v43, 7, v22
	v_ffbh_u32_e32 v52, v43
	v_min_u32_e32 v54, 32, v52
	v_subrev_u32_e32 v52, 28, v54
	v_lshlrev_b64 v[52:53], v52, v[22:23]
	v_lshrrev_b32_e32 v45, 3, v44
	v_sub_u32_e32 v22, 29, v54
	v_and_b32_e32 v52, 7, v52
	v_cmp_gt_u32_e32 vcc, 8, v44
	v_mov_b32_e32 v44, 24
	v_cndmask_b32_e32 v22, v45, v22, vcc
	v_cndmask_b32_e32 v43, v43, v52, vcc
	v_lshlrev_b32_sdwa v44, v44, v24 dst_sel:DWORD dst_unused:UNUSED_PAD src0_sel:DWORD src1_sel:WORD_1
	v_bfrev_b32_e32 v45, 60
	v_lshlrev_b32_e32 v43, 20, v43
	v_and_b32_e32 v44, 0x80000000, v44
	v_lshl_add_u32 v22, v22, 23, v45
	v_or3_b32 v22, v44, v22, v43
	v_lshrrev_b32_e32 v43, 16, v22
.LBB866_365:
	s_or_b64 exec, exec, s[10:11]
.LBB866_366:
	s_or_b64 exec, exec, s[8:9]
.LBB866_367:
	s_or_b64 exec, exec, s[2:3]
	s_mov_b32 s2, 0xffffff
	v_cmp_lt_u32_e32 vcc, s2, v24
	v_mov_b32_e32 v45, 0
	v_mov_b32_e32 v52, 0
	s_and_saveexec_b64 s[2:3], vcc
	s_cbranch_execz .LBB866_373
; %bb.368:
	v_lshrrev_b32_e32 v22, 24, v24
	s_movk_i32 s8, 0x80
	v_cmp_ne_u32_e32 vcc, s8, v22
	v_mov_b32_e32 v52, 0xffff8000
	s_and_saveexec_b64 s[8:9], vcc
	s_cbranch_execz .LBB866_372
; %bb.369:
	v_bfe_u32 v24, v24, 24, 7
	s_movk_i32 s10, 0x7f
	v_cmp_ne_u32_e32 vcc, s10, v24
	v_mov_b32_e32 v52, 0x7f80
	s_and_saveexec_b64 s[10:11], vcc
	s_cbranch_execz .LBB866_371
; %bb.370:
	v_and_b32_e32 v44, 7, v22
	v_ffbh_u32_e32 v52, v44
	v_min_u32_e32 v55, 32, v52
	v_subrev_u32_e32 v52, 28, v55
	v_lshlrev_b64 v[52:53], v52, v[22:23]
	v_lshrrev_b32_e32 v54, 3, v24
	v_sub_u32_e32 v53, 29, v55
	v_and_b32_e32 v52, 7, v52
	v_cmp_gt_u32_e32 vcc, 8, v24
	v_cndmask_b32_e32 v24, v54, v53, vcc
	v_cndmask_b32_e32 v44, v44, v52, vcc
	v_lshlrev_b32_e32 v22, 24, v22
	v_bfrev_b32_e32 v52, 60
	v_lshlrev_b32_e32 v44, 20, v44
	v_and_b32_e32 v22, 0x80000000, v22
	v_lshl_add_u32 v24, v24, 23, v52
	v_or3_b32 v22, v22, v24, v44
	v_lshrrev_b32_e32 v52, 16, v22
.LBB866_371:
	s_or_b64 exec, exec, s[10:11]
.LBB866_372:
	s_or_b64 exec, exec, s[8:9]
.LBB866_373:
	s_or_b64 exec, exec, s[2:3]
	v_cmp_ne_u16_sdwa s[8:9], v25, v45 src0_sel:BYTE_0 src1_sel:DWORD
	s_and_saveexec_b64 s[2:3], s[8:9]
	s_cbranch_execz .LBB866_379
; %bb.374:
	s_movk_i32 s8, 0x80
	v_cmp_ne_u16_sdwa s[10:11], v25, s8 src0_sel:BYTE_0 src1_sel:DWORD
	v_mov_b32_e32 v45, 0xffff8000
	s_and_saveexec_b64 s[8:9], s[10:11]
	s_cbranch_execz .LBB866_378
; %bb.375:
	s_movk_i32 s10, 0x7f
	v_and_b32_e32 v22, 0x7f, v25
	v_cmp_ne_u32_e32 vcc, s10, v22
	v_mov_b32_e32 v45, 0x7f80
	s_and_saveexec_b64 s[10:11], vcc
	s_cbranch_execz .LBB866_377
; %bb.376:
	v_and_b32_e32 v53, 7, v25
	v_ffbh_u32_e32 v44, v53
	v_min_u32_e32 v55, 32, v44
	v_mov_b32_e32 v24, v25
	v_subrev_u32_e32 v44, 28, v55
	v_lshlrev_b64 v[44:45], v44, v[24:25]
	v_lshrrev_b32_e32 v54, 3, v22
	v_sub_u32_e32 v24, 29, v55
	v_and_b32_e32 v44, 7, v44
	v_cmp_gt_u32_e32 vcc, 8, v22
	v_cndmask_b32_e32 v22, v54, v24, vcc
	v_cndmask_b32_e32 v24, v53, v44, vcc
	v_lshlrev_b32_e32 v44, 24, v25
	v_bfrev_b32_e32 v45, 60
	v_lshlrev_b32_e32 v24, 20, v24
	v_and_b32_e32 v44, 0x80000000, v44
	v_lshl_add_u32 v22, v22, 23, v45
	v_or3_b32 v22, v44, v22, v24
	v_lshrrev_b32_e32 v45, 16, v22
.LBB866_377:
	s_or_b64 exec, exec, s[10:11]
.LBB866_378:
	s_or_b64 exec, exec, s[8:9]
.LBB866_379:
	s_or_b64 exec, exec, s[2:3]
	v_lshrrev_b16_e32 v22, 8, v25
	v_cmp_ne_u16_e32 vcc, 0, v22
	v_mov_b32_e32 v54, 0
	v_mov_b32_e32 v53, 0
	s_and_saveexec_b64 s[2:3], vcc
	s_cbranch_execz .LBB866_385
; %bb.380:
	s_movk_i32 s8, 0x80
	v_cmp_ne_u16_e32 vcc, s8, v22
	v_mov_b32_e32 v53, 0xffff8000
	s_and_saveexec_b64 s[8:9], vcc
	s_cbranch_execz .LBB866_384
; %bb.381:
	s_movk_i32 s10, 0x7f
	v_and_b32_e32 v24, 0x7f, v22
	v_cmp_ne_u32_e32 vcc, s10, v24
	v_mov_b32_e32 v53, 0x7f80
	s_and_saveexec_b64 s[10:11], vcc
	s_cbranch_execz .LBB866_383
; %bb.382:
	v_and_b32_e32 v44, 7, v22
	v_ffbh_u32_e32 v55, v44
	v_min_u32_e32 v55, 32, v55
	v_subrev_u32_e32 v56, 28, v55
	v_lshlrev_b64 v[56:57], v56, v[22:23]
	v_lshrrev_b32_e32 v53, 3, v24
	v_sub_u32_e32 v22, 29, v55
	v_and_b32_e32 v55, 7, v56
	v_cmp_gt_u32_e32 vcc, 8, v24
	v_cndmask_b32_e32 v22, v53, v22, vcc
	v_cndmask_b32_e32 v24, v44, v55, vcc
	v_lshlrev_b32_e32 v44, 16, v25
	v_bfrev_b32_e32 v53, 60
	v_lshlrev_b32_e32 v24, 20, v24
	v_and_b32_e32 v44, 0x80000000, v44
	v_lshl_add_u32 v22, v22, 23, v53
	v_or3_b32 v22, v44, v22, v24
	v_lshrrev_b32_e32 v53, 16, v22
.LBB866_383:
	s_or_b64 exec, exec, s[10:11]
.LBB866_384:
	s_or_b64 exec, exec, s[8:9]
.LBB866_385:
	s_or_b64 exec, exec, s[2:3]
	s_movk_i32 s2, 0xff
	v_and_b32_sdwa v24, v25, s2 dst_sel:DWORD dst_unused:UNUSED_PAD src0_sel:WORD_1 src1_sel:DWORD
	v_lshrrev_b32_e32 v22, 16, v25
	v_cmp_ne_u16_e32 vcc, 0, v24
	s_and_saveexec_b64 s[2:3], vcc
	s_cbranch_execz .LBB866_391
; %bb.386:
	s_movk_i32 s8, 0x80
	v_cmp_ne_u16_e32 vcc, s8, v24
	v_mov_b32_e32 v54, 0xffff8000
	s_and_saveexec_b64 s[8:9], vcc
	s_cbranch_execz .LBB866_390
; %bb.387:
	v_bfe_u32 v24, v25, 16, 7
	s_movk_i32 s10, 0x7f
	v_cmp_ne_u32_e32 vcc, s10, v24
	v_mov_b32_e32 v54, 0x7f80
	s_and_saveexec_b64 s[10:11], vcc
	s_cbranch_execz .LBB866_389
; %bb.388:
	v_and_b32_e32 v44, 7, v22
	v_ffbh_u32_e32 v54, v44
	v_min_u32_e32 v57, 32, v54
	v_subrev_u32_e32 v54, 28, v57
	v_lshlrev_b64 v[54:55], v54, v[22:23]
	v_and_b32_e32 v54, 7, v54
	v_cmp_gt_u32_e32 vcc, 8, v24
	v_lshrrev_b32_e32 v56, 3, v24
	v_sub_u32_e32 v22, 29, v57
	v_cndmask_b32_e32 v24, v44, v54, vcc
	v_mov_b32_e32 v44, 24
	v_cndmask_b32_e32 v22, v56, v22, vcc
	v_lshlrev_b32_sdwa v44, v44, v25 dst_sel:DWORD dst_unused:UNUSED_PAD src0_sel:DWORD src1_sel:WORD_1
	v_bfrev_b32_e32 v54, 60
	v_lshlrev_b32_e32 v24, 20, v24
	v_and_b32_e32 v44, 0x80000000, v44
	v_lshl_add_u32 v22, v22, 23, v54
	v_or3_b32 v22, v44, v22, v24
	v_lshrrev_b32_e32 v54, 16, v22
.LBB866_389:
	s_or_b64 exec, exec, s[10:11]
.LBB866_390:
	s_or_b64 exec, exec, s[8:9]
.LBB866_391:
	s_or_b64 exec, exec, s[2:3]
	s_mov_b32 s2, 0xffffff
	v_and_b32_e32 v44, 63, v0
	v_cmp_lt_u32_e32 vcc, s2, v25
	v_mov_b32_e32 v55, 0
	s_and_saveexec_b64 s[2:3], vcc
	s_cbranch_execz .LBB866_397
; %bb.392:
	v_lshrrev_b32_e32 v22, 24, v25
	s_movk_i32 s8, 0x80
	v_cmp_ne_u32_e32 vcc, s8, v22
	v_mov_b32_e32 v55, 0xffff8000
	s_and_saveexec_b64 s[8:9], vcc
	s_cbranch_execz .LBB866_396
; %bb.393:
	v_bfe_u32 v24, v25, 24, 7
	s_movk_i32 s10, 0x7f
	v_cmp_ne_u32_e32 vcc, s10, v24
	v_mov_b32_e32 v55, 0x7f80
	s_and_saveexec_b64 s[10:11], vcc
	s_cbranch_execz .LBB866_395
; %bb.394:
	v_and_b32_e32 v25, 7, v22
	v_ffbh_u32_e32 v56, v25
	v_min_u32_e32 v58, 32, v56
	v_subrev_u32_e32 v56, 28, v58
	v_lshlrev_b64 v[56:57], v56, v[22:23]
	v_lshrrev_b32_e32 v55, 3, v24
	v_sub_u32_e32 v57, 29, v58
	v_and_b32_e32 v56, 7, v56
	v_cmp_gt_u32_e32 vcc, 8, v24
	v_cndmask_b32_e32 v24, v55, v57, vcc
	v_cndmask_b32_e32 v25, v25, v56, vcc
	v_lshlrev_b32_e32 v22, 24, v22
	v_bfrev_b32_e32 v55, 60
	v_lshlrev_b32_e32 v25, 20, v25
	v_and_b32_e32 v22, 0x80000000, v22
	v_lshl_add_u32 v24, v24, 23, v55
	v_or3_b32 v22, v22, v24, v25
	v_lshrrev_b32_e32 v55, 16, v22
.LBB866_395:
	s_or_b64 exec, exec, s[10:11]
.LBB866_396:
	s_or_b64 exec, exec, s[8:9]
.LBB866_397:
	s_or_b64 exec, exec, s[2:3]
	s_mov_b32 s3, 0x5040100
	v_perm_b32 v43, v52, v43, s3
	v_perm_b32 v42, v23, v42, s3
	s_load_dword s2, s[4:5], 0x1c
	s_mov_b32 s46, 0xff7fffff
	s_waitcnt lgkmcnt(0)
	v_mfma_f32_16x16x16bf16_1k v[26:29], v[42:43], v[18:19], v[26:29]
	v_perm_b32 v19, v55, v54, s3
	v_perm_b32 v18, v53, v45, s3
	v_mov_b32_e32 v22, s2
	v_mul_f32_e32 v52, s12, v22
	v_pk_mul_f32 v[22:23], v[52:53], v[32:33] op_sel_hi:[0,1]
	v_pk_mul_f32 v[32:33], v[52:53], v[38:39] op_sel_hi:[0,1]
	v_and_b32_e32 v38, 0xc0, v0
	v_mfma_f32_16x16x16bf16_1k v[26:29], v[18:19], v[20:21], v[26:29]
	v_add_u32_e32 v38, s18, v38
	v_lshl_or_b32 v38, v1, 2, v38
	v_or_b32_e32 v39, 1, v38
	v_pk_mul_f32 v[24:25], v[52:53], v[30:31] op_sel_hi:[0,1]
	v_pk_mul_f32 v[30:31], v[52:53], v[40:41] op_sel_hi:[0,1]
	v_subrev_u32_e32 v40, s33, v39
	v_pk_mul_f32 v[34:35], v[52:53], v[34:35] op_sel_hi:[0,1]
	s_nop 3
	v_pk_mul_f32 v[20:21], v[52:53], v[26:27] op_sel_hi:[0,1]
	v_add_u32_e32 v27, 1, v40
	v_pk_mul_f32 v[18:19], v[52:53], v[28:29] op_sel_hi:[0,1]
	v_cvt_f32_i32_e32 v27, v27
	v_add_u32_e32 v29, 3, v40
	v_cvt_f32_i32_e32 v29, v29
	v_cvt_f32_i32_e32 v26, v40
	v_pk_mul_f32 v[36:37], v[52:53], v[36:37] op_sel_hi:[0,1]
	v_fmac_f32_e32 v35, v51, v27
	v_add_u32_e32 v27, 16, v40
	v_fmac_f32_e32 v37, v51, v29
	v_cvt_f32_i32_e32 v27, v27
	v_add_u32_e32 v29, 17, v40
	v_fma_f32 v26, v51, v26, v34
	v_cvt_f32_i32_e32 v29, v29
	v_add_u32_e32 v34, 18, v40
	v_cvt_f32_i32_e32 v34, v34
	v_fma_f32 v41, v51, v27, v32
	v_add_u32_e32 v27, 32, v40
	v_fmac_f32_e32 v33, v51, v29
	v_cvt_f32_i32_e32 v27, v27
	v_add_u32_e32 v29, 33, v40
	v_add_u32_e32 v32, 34, v40
	v_fma_f32 v30, v51, v34, v30
	v_cvt_f32_i32_e32 v29, v29
	v_cvt_f32_i32_e32 v32, v32
	v_add_u32_e32 v34, 35, v40
	v_cvt_f32_i32_e32 v34, v34
	v_fma_f32 v24, v51, v27, v24
	v_add_u32_e32 v27, 48, v40
	v_fmac_f32_e32 v25, v51, v29
	v_fma_f32 v22, v51, v32, v22
	v_cvt_f32_i32_e32 v27, v27
	v_add_u32_e32 v29, 49, v40
	v_add_u32_e32 v32, 50, v40
	v_fmac_f32_e32 v23, v51, v34
	v_cvt_f32_i32_e32 v29, v29
	v_cvt_f32_i32_e32 v32, v32
	v_add_u32_e32 v34, 51, v40
	v_add_u32_e32 v28, 2, v40
	v_cvt_f32_i32_e32 v34, v34
	v_cvt_f32_i32_e32 v28, v28
	v_fma_f32 v20, v51, v27, v20
	v_mov_b32_e32 v27, 0xff7fffff
	v_cmp_gt_i32_e64 s[26:27], s33, v38
	v_cmp_gt_i32_e64 s[28:29], s33, v39
	v_fmac_f32_e32 v21, v51, v29
	v_fma_f32 v18, v51, v32, v18
	v_cndmask_b32_e64 v29, v27, v26, s[26:27]
	v_cndmask_b32_e64 v32, v27, v35, s[28:29]
	v_fmac_f32_e32 v19, v51, v34
	v_max3_f32 v29, v29, s46, v32
	v_or_b32_e32 v32, 2, v38
	v_or_b32_e32 v34, 3, v38
	v_fma_f32 v28, v51, v28, v36
	v_cmp_gt_i32_e64 s[30:31], s33, v32
	v_cmp_gt_i32_e64 s[34:35], s33, v34
	v_add_u32_e32 v36, 19, v40
	v_cndmask_b32_e64 v32, v27, v28, s[30:31]
	v_cndmask_b32_e64 v34, v27, v37, s[34:35]
	v_cvt_f32_i32_e32 v36, v36
	v_max3_f32 v29, v29, v32, v34
	v_or_b32_e32 v32, 16, v38
	v_or_b32_e32 v34, 17, v38
	v_cmp_gt_i32_e64 s[36:37], s33, v32
	v_cmp_gt_i32_e64 s[38:39], s33, v34
	v_cndmask_b32_e64 v32, v27, v41, s[36:37]
	v_cndmask_b32_e64 v34, v27, v33, s[38:39]
	v_max3_f32 v29, v29, v32, v34
	v_or_b32_e32 v32, 18, v38
	v_or_b32_e32 v34, 19, v38
	v_fmac_f32_e32 v31, v51, v36
	v_cmp_gt_i32_e64 s[20:21], s33, v32
	v_cmp_gt_i32_e64 s[22:23], s33, v34
	v_cndmask_b32_e64 v32, v27, v30, s[20:21]
	v_cndmask_b32_e64 v34, v27, v31, s[22:23]
	v_max3_f32 v29, v29, v32, v34
	v_or_b32_e32 v32, 32, v38
	v_or_b32_e32 v34, 33, v38
	v_cmp_gt_i32_e64 s[16:17], s33, v32
	v_cmp_gt_i32_e64 s[18:19], s33, v34
	v_cndmask_b32_e64 v32, v27, v24, s[16:17]
	v_cndmask_b32_e64 v34, v27, v25, s[18:19]
	v_max3_f32 v29, v29, v32, v34
	v_or_b32_e32 v32, 34, v38
	v_or_b32_e32 v34, 35, v38
	;; [unrolled: 7-line block ×4, first 2 shown]
	v_cmp_gt_i32_e32 vcc, s33, v32
	v_cmp_gt_i32_e64 s[2:3], s33, v34
	v_cndmask_b32_e32 v32, v27, v18, vcc
	v_cndmask_b32_e64 v27, v27, v19, s[2:3]
	v_max3_f32 v27, v29, v32, v27
	v_mbcnt_lo_u32_b32 v29, -1, 0
	v_mbcnt_hi_u32_b32 v29, -1, v29
	v_and_b32_e32 v32, 64, v29
	v_add_u32_e32 v32, 64, v32
	v_xor_b32_e32 v34, 32, v29
	v_cmp_lt_i32_e64 s[40:41], v34, v32
	v_cndmask_b32_e64 v34, v29, v34, s[40:41]
	v_lshlrev_b32_e32 v36, 2, v34
	ds_bpermute_b32 v34, v36, v27
	s_barrier
	s_waitcnt lgkmcnt(0)
	v_max_f32_e32 v34, v34, v34
	v_max_f32_e32 v27, v27, v34
	v_xor_b32_e32 v34, 16, v29
	v_cmp_lt_i32_e64 s[40:41], v34, v32
	v_cndmask_b32_e64 v29, v29, v34, s[40:41]
	v_lshlrev_b32_e32 v38, 2, v29
	ds_bpermute_b32 v29, v38, v27
	s_waitcnt lgkmcnt(0)
	v_max_f32_e32 v29, v29, v29
	v_max_f32_e32 v32, v27, v29
	v_sub_f32_e32 v26, v26, v32
	v_mul_f32_e32 v26, 0x3fb8aa3b, v26
	v_sub_f32_e32 v27, v35, v32
	v_exp_f32_e32 v26, v26
	v_mul_f32_e32 v27, 0x3fb8aa3b, v27
	v_sub_f32_e32 v28, v28, v32
	v_exp_f32_e32 v27, v27
	v_mul_f32_e32 v28, 0x3fb8aa3b, v28
	v_exp_f32_e32 v28, v28
	v_cndmask_b32_e64 v26, 0, v26, s[26:27]
	v_sub_f32_e32 v34, v37, v32
	v_add_f32_e32 v29, 0, v26
	v_cndmask_b32_e64 v27, 0, v27, s[28:29]
	v_mul_f32_e32 v34, 0x3fb8aa3b, v34
	v_exp_f32_e32 v35, v34
	v_add_f32_e32 v29, v29, v27
	v_cndmask_b32_e64 v34, 0, v28, s[30:31]
	v_add_f32_e32 v28, v29, v34
	v_sub_f32_e32 v29, v41, v32
	v_mul_f32_e32 v29, 0x3fb8aa3b, v29
	v_sub_f32_e32 v33, v33, v32
	v_exp_f32_e32 v29, v29
	v_mul_f32_e32 v33, 0x3fb8aa3b, v33
	v_sub_f32_e32 v30, v30, v32
	v_exp_f32_e32 v33, v33
	;; [unrolled: 3-line block ×3, first 2 shown]
	v_mul_f32_e32 v31, 0x3fb8aa3b, v31
	v_sub_f32_e32 v24, v24, v32
	v_cndmask_b32_e64 v35, 0, v35, s[34:35]
	v_exp_f32_e32 v31, v31
	v_mul_f32_e32 v24, 0x3fb8aa3b, v24
	v_sub_f32_e32 v25, v25, v32
	v_add_f32_e32 v37, v28, v35
	v_cndmask_b32_e64 v28, 0, v29, s[36:37]
	v_exp_f32_e32 v24, v24
	v_mul_f32_e32 v25, 0x3fb8aa3b, v25
	v_sub_f32_e32 v22, v22, v32
	v_add_f32_e32 v37, v37, v28
	v_cndmask_b32_e64 v29, 0, v33, s[38:39]
	v_exp_f32_e32 v25, v25
	v_mul_f32_e32 v22, 0x3fb8aa3b, v22
	v_sub_f32_e32 v23, v23, v32
	v_add_f32_e32 v33, v37, v29
	v_cndmask_b32_e64 v30, 0, v30, s[20:21]
	v_exp_f32_e32 v22, v22
	v_mul_f32_e32 v23, 0x3fb8aa3b, v23
	v_sub_f32_e32 v20, v20, v32
	v_add_f32_e32 v33, v33, v30
	v_cndmask_b32_e64 v31, 0, v31, s[22:23]
	v_exp_f32_e32 v23, v23
	v_mul_f32_e32 v20, 0x3fb8aa3b, v20
	v_sub_f32_e32 v21, v21, v32
	v_add_f32_e32 v33, v33, v31
	v_cndmask_b32_e64 v24, 0, v24, s[16:17]
	v_exp_f32_e32 v20, v20
	v_mul_f32_e32 v21, 0x3fb8aa3b, v21
	v_sub_f32_e32 v18, v18, v32
	v_add_f32_e32 v33, v33, v24
	v_cndmask_b32_e64 v25, 0, v25, s[18:19]
	v_exp_f32_e32 v21, v21
	v_mul_f32_e32 v18, 0x3fb8aa3b, v18
	v_sub_f32_e32 v19, v19, v32
	v_add_f32_e32 v33, v33, v25
	v_cndmask_b32_e64 v22, 0, v22, s[12:13]
	v_exp_f32_e32 v18, v18
	v_mul_f32_e32 v19, 0x3fb8aa3b, v19
	v_add_f32_e32 v33, v33, v22
	v_cndmask_b32_e64 v23, 0, v23, s[14:15]
	v_exp_f32_e32 v19, v19
	v_add_f32_e32 v33, v33, v23
	v_cndmask_b32_e64 v20, 0, v20, s[8:9]
	v_add_f32_e32 v33, v33, v20
	v_cndmask_b32_e64 v21, 0, v21, s[10:11]
	v_add_f32_e32 v33, v33, v21
	v_cndmask_b32_e32 v18, 0, v18, vcc
	v_add_f32_e32 v33, v33, v18
	v_cndmask_b32_e64 v19, 0, v19, s[2:3]
	v_add_f32_e32 v33, v33, v19
	ds_bpermute_b32 v36, v36, v33
	v_cmp_gt_u32_e64 s[2:3], 16, v44
	s_waitcnt lgkmcnt(0)
	v_add_f32_e32 v36, v33, v36
	ds_bpermute_b32 v37, v38, v36
	v_lshlrev_b32_e32 v33, 2, v49
	s_and_saveexec_b64 s[8:9], s[2:3]
	s_cbranch_execz .LBB866_399
; %bb.398:
	s_waitcnt lgkmcnt(0)
	v_add_f32_e32 v36, v36, v37
	v_lshl_or_b32 v37, v50, 6, v33
	ds_write2st64_b32 v37, v32, v36 offset1:1
.LBB866_399:
	s_or_b64 exec, exec, s[8:9]
	s_waitcnt lgkmcnt(0)
	s_barrier
	ds_read2_b32 v[36:37], v33 offset1:16
	ds_read2_b32 v[38:39], v33 offset0:32 offset1:48
	ds_read2_b32 v[40:41], v33 offset0:64 offset1:80
	s_mul_i32 s14, s45, 5
	s_waitcnt lgkmcnt(2)
	v_max3_f32 v32, v36, s46, v37
	s_waitcnt lgkmcnt(1)
	v_max3_f32 v32, v32, v38, v39
	v_sub_f32_e32 v36, v36, v32
	v_mul_f32_e32 v36, 0x3fb8aa3b, v36
	v_exp_f32_e32 v42, v36
	v_sub_f32_e32 v36, v37, v32
	v_mul_f32_e32 v36, 0x3fb8aa3b, v36
	v_exp_f32_e32 v43, v36
	;; [unrolled: 3-line block ×3, first 2 shown]
	ds_read2_b32 v[36:37], v33 offset0:96 offset1:112
	v_sub_f32_e32 v33, v39, v32
	v_mul_f32_e32 v33, 0x3fb8aa3b, v33
	v_exp_f32_e32 v39, v33
	s_waitcnt lgkmcnt(1)
	v_fma_f32 v33, v42, v40, 0
	v_fmac_f32_e32 v33, v43, v41
	s_waitcnt lgkmcnt(0)
	v_fmac_f32_e32 v33, v38, v36
	v_fmac_f32_e32 v33, v39, v37
	v_add_f32_e32 v36, 0x358637bd, v33
	v_div_scale_f32 v37, s[8:9], v36, v36, 1.0
	v_rcp_f32_e32 v40, v37
	s_movk_i32 s8, 0x7fff
	s_mov_b32 s9, 0x7060302
	v_fma_f32 v41, -v37, v40, 1.0
	v_fmac_f32_e32 v40, v41, v40
	v_div_scale_f32 v41, vcc, 1.0, v36, 1.0
	v_mul_f32_e32 v44, v41, v40
	v_fma_f32 v45, -v37, v44, v41
	v_fmac_f32_e32 v44, v45, v40
	v_fma_f32 v37, -v37, v44, v41
	v_div_fmas_f32 v37, v37, v40, v44
	v_cmp_eq_u32_e32 vcc, 1, v50
	v_div_fixup_f32 v36, v37, v36, 1.0
	v_cndmask_b32_e32 v37, v42, v43, vcc
	v_cmp_eq_u32_e32 vcc, 2, v50
	v_cndmask_b32_e32 v37, v37, v38, vcc
	v_cmp_eq_u32_e32 vcc, 3, v50
	v_cndmask_b32_e32 v37, v37, v39, vcc
	v_mul_f32_e32 v36, v37, v36
	v_pk_mul_f32 v[26:27], v[36:37], v[26:27] op_sel_hi:[0,1]
	v_pk_mul_f32 v[34:35], v[36:37], v[34:35] op_sel_hi:[0,1]
	v_bfe_u32 v37, v27, 16, 1
	v_bfe_u32 v38, v26, 16, 1
	v_add3_u32 v26, v26, v38, s8
	v_add3_u32 v27, v27, v37, s8
	v_perm_b32 v38, v27, v26, s9
	v_bfe_u32 v26, v35, 16, 1
	v_bfe_u32 v27, v34, 16, 1
	v_add3_u32 v27, v34, v27, s8
	v_add3_u32 v26, v35, v26, s8
	v_perm_b32 v39, v26, v27, s9
	v_lshlrev_b32_e32 v26, 3, v1
	v_lshlrev_b32_e32 v27, 11, v50
	v_pk_mul_f32 v[28:29], v[36:37], v[28:29] op_sel_hi:[0,1]
	v_or3_b32 v26, v27, v48, v26
	v_bfe_u32 v27, v29, 16, 1
	v_bfe_u32 v34, v28, 16, 1
	v_pk_mul_f32 v[30:31], v[36:37], v[30:31] op_sel_hi:[0,1]
	v_add3_u32 v28, v28, v34, s8
	v_add3_u32 v27, v29, v27, s8
	v_perm_b32 v28, v27, v28, s9
	v_bfe_u32 v27, v31, 16, 1
	v_bfe_u32 v29, v30, 16, 1
	v_add3_u32 v29, v30, v29, s8
	v_add3_u32 v27, v31, v27, s8
	v_perm_b32 v29, v27, v29, s9
	v_pk_mul_f32 v[24:25], v[36:37], v[24:25] op_sel_hi:[0,1]
	s_barrier
	ds_write2st64_b64 v26, v[38:39], v[28:29] offset1:1
	v_bfe_u32 v27, v25, 16, 1
	v_bfe_u32 v28, v24, 16, 1
	v_pk_mul_f32 v[22:23], v[36:37], v[22:23] op_sel_hi:[0,1]
	v_add3_u32 v24, v24, v28, s8
	v_add3_u32 v25, v25, v27, s8
	v_perm_b32 v24, v25, v24, s9
	v_bfe_u32 v25, v23, 16, 1
	v_bfe_u32 v27, v22, 16, 1
	v_add3_u32 v22, v22, v27, s8
	v_add3_u32 v23, v23, v25, s8
	v_pk_mul_f32 v[20:21], v[36:37], v[20:21] op_sel_hi:[0,1]
	v_perm_b32 v25, v23, v22, s9
	v_bfe_u32 v22, v21, 16, 1
	v_bfe_u32 v23, v20, 16, 1
	v_pk_mul_f32 v[18:19], v[36:37], v[18:19] op_sel_hi:[0,1]
	v_add3_u32 v20, v20, v23, s8
	v_add3_u32 v21, v21, v22, s8
	v_perm_b32 v20, v21, v20, s9
	v_bfe_u32 v21, v19, 16, 1
	v_bfe_u32 v22, v18, 16, 1
	v_add3_u32 v18, v18, v22, s8
	v_add3_u32 v19, v19, v21, s8
	v_perm_b32 v21, v19, v18, s9
	v_cmp_gt_u32_e32 vcc, 5, v0
	ds_write2st64_b64 v26, v[24:25], v[20:21] offset0:2 offset1:3
	s_and_saveexec_b64 s[8:9], vcc
	s_cbranch_execz .LBB866_401
; %bb.400:
	v_add_co_u32_e32 v20, vcc, s25, v49
	v_addc_co_u32_e64 v21, s[10:11], 0, 0, vcc
	v_mov_b32_e32 v18, s14
	v_mov_b32_e32 v19, 0
	v_mad_u64_u32 v[20:21], s[10:11], s6, v18, v[20:21]
	v_mov_b32_e32 v18, s24
	s_load_dwordx4 s[16:19], s[4:5], 0x58
	s_mul_i32 s7, s7, s14
	v_mad_u64_u32 v[18:19], s[10:11], v20, s44, v[18:19]
	v_add_u32_e32 v21, s7, v21
	v_mov_b32_e32 v20, v19
	v_mad_u64_u32 v[20:21], s[10:11], v21, s44, v[20:21]
	v_mov_b32_e32 v19, v20
	v_lshlrev_b64 v[18:19], 2, v[18:19]
	s_waitcnt lgkmcnt(0)
	v_mov_b32_e32 v21, s19
	v_add_co_u32_e32 v20, vcc, s18, v18
	v_addc_co_u32_e32 v21, vcc, v21, v19, vcc
	global_store_dword v[20:21], v32, off
	v_mov_b32_e32 v20, s17
	v_add_co_u32_e32 v18, vcc, s16, v18
	v_addc_co_u32_e32 v19, vcc, v20, v19, vcc
	global_store_dword v[18:19], v33, off
.LBB866_401:
	s_or_b64 exec, exec, s[8:9]
	v_mov_b32_e32 v19, 0
	s_waitcnt vmcnt(3)
	v_cmp_ne_u16_sdwa s[10:11], v14, v19 src0_sel:BYTE_0 src1_sel:DWORD
	v_mov_b32_e32 v20, 0
	s_waitcnt lgkmcnt(0)
	s_barrier
	s_and_saveexec_b64 s[8:9], s[10:11]
	s_cbranch_execz .LBB866_407
; %bb.402:
	s_movk_i32 s7, 0x80
	v_cmp_ne_u16_sdwa s[12:13], v14, s7 src0_sel:BYTE_0 src1_sel:DWORD
	v_mov_b32_e32 v20, 0xffff8000
	s_and_saveexec_b64 s[10:11], s[12:13]
	s_cbranch_execz .LBB866_406
; %bb.403:
	s_movk_i32 s7, 0x7f
	v_and_b32_e32 v18, 0x7f, v14
	v_cmp_ne_u32_e32 vcc, s7, v18
	v_mov_b32_e32 v20, 0x7f80
	s_and_saveexec_b64 s[12:13], vcc
	s_cbranch_execz .LBB866_405
; %bb.404:
	v_and_b32_e32 v22, 7, v14
	v_ffbh_u32_e32 v20, v22
	v_min_u32_e32 v24, 32, v20
	v_subrev_u32_e32 v20, 28, v24
	v_lshlrev_b64 v[20:21], v20, v[14:15]
	v_lshrrev_b32_e32 v23, 3, v18
	v_sub_u32_e32 v21, 29, v24
	v_and_b32_e32 v20, 7, v20
	v_cmp_gt_u32_e32 vcc, 8, v18
	v_cndmask_b32_e32 v18, v23, v21, vcc
	v_cndmask_b32_e32 v20, v22, v20, vcc
	v_lshlrev_b32_e32 v21, 24, v14
	v_bfrev_b32_e32 v22, 60
	v_lshlrev_b32_e32 v20, 20, v20
	v_and_b32_e32 v21, 0x80000000, v21
	v_lshl_add_u32 v18, v18, 23, v22
	v_or3_b32 v18, v21, v18, v20
	v_lshrrev_b32_e32 v20, 16, v18
.LBB866_405:
	s_or_b64 exec, exec, s[12:13]
.LBB866_406:
	s_or_b64 exec, exec, s[10:11]
.LBB866_407:
	s_or_b64 exec, exec, s[8:9]
	v_lshrrev_b16_e32 v18, 8, v14
	v_cmp_ne_u16_e32 vcc, 0, v18
	s_and_saveexec_b64 s[8:9], vcc
	s_cbranch_execz .LBB866_413
; %bb.408:
	s_movk_i32 s7, 0x80
	v_cmp_ne_u16_e32 vcc, s7, v18
	v_mov_b32_e32 v19, 0xffff8000
	s_and_saveexec_b64 s[10:11], vcc
	s_cbranch_execz .LBB866_412
; %bb.409:
	s_movk_i32 s7, 0x7f
	v_and_b32_e32 v21, 0x7f, v18
	v_cmp_ne_u32_e32 vcc, s7, v21
	v_mov_b32_e32 v19, 0x7f80
	s_and_saveexec_b64 s[12:13], vcc
	s_cbranch_execz .LBB866_411
; %bb.410:
	v_and_b32_e32 v22, 7, v18
	v_ffbh_u32_e32 v19, v22
	v_min_u32_e32 v24, 32, v19
	v_subrev_u32_e32 v19, 28, v24
	v_lshlrev_b64 v[18:19], v19, v[18:19]
	v_lshrrev_b32_e32 v23, 3, v21
	v_sub_u32_e32 v19, 29, v24
	v_and_b32_e32 v18, 7, v18
	v_cmp_gt_u32_e32 vcc, 8, v21
	v_cndmask_b32_e32 v19, v23, v19, vcc
	v_cndmask_b32_e32 v18, v22, v18, vcc
	v_lshlrev_b32_e32 v21, 16, v14
	v_bfrev_b32_e32 v22, 60
	v_lshlrev_b32_e32 v18, 20, v18
	v_and_b32_e32 v21, 0x80000000, v21
	v_lshl_add_u32 v19, v19, 23, v22
	v_or3_b32 v18, v21, v19, v18
	v_lshrrev_b32_e32 v19, 16, v18
.LBB866_411:
	s_or_b64 exec, exec, s[12:13]
.LBB866_412:
	s_or_b64 exec, exec, s[10:11]
.LBB866_413:
	s_or_b64 exec, exec, s[8:9]
	s_movk_i32 s7, 0xff
	v_and_b32_sdwa v23, v14, s7 dst_sel:DWORD dst_unused:UNUSED_PAD src0_sel:WORD_1 src1_sel:DWORD
	v_lshrrev_b32_e32 v18, 16, v14
	v_cmp_ne_u16_e32 vcc, 0, v23
	v_mov_b32_e32 v21, 0
	v_mov_b32_e32 v22, 0
	s_and_saveexec_b64 s[8:9], vcc
	s_cbranch_execz .LBB866_419
; %bb.414:
	s_movk_i32 s7, 0x80
	v_cmp_ne_u16_e32 vcc, s7, v23
	v_mov_b32_e32 v22, 0xffff8000
	s_and_saveexec_b64 s[10:11], vcc
	s_cbranch_execz .LBB866_418
; %bb.415:
	v_bfe_u32 v23, v14, 16, 7
	s_movk_i32 s7, 0x7f
	v_cmp_ne_u32_e32 vcc, s7, v23
	v_mov_b32_e32 v22, 0x7f80
	s_and_saveexec_b64 s[12:13], vcc
	s_cbranch_execz .LBB866_417
; %bb.416:
	v_and_b32_e32 v22, 7, v18
	v_ffbh_u32_e32 v24, v22
	v_min_u32_e32 v28, 32, v24
	v_subrev_u32_e32 v24, 28, v28
	v_lshlrev_b64 v[24:25], v24, v[18:19]
	v_lshrrev_b32_e32 v27, 3, v23
	v_sub_u32_e32 v18, 29, v28
	v_and_b32_e32 v24, 7, v24
	v_cmp_gt_u32_e32 vcc, 8, v23
	v_mov_b32_e32 v23, 24
	v_cndmask_b32_e32 v18, v27, v18, vcc
	v_cndmask_b32_e32 v22, v22, v24, vcc
	v_lshlrev_b32_sdwa v23, v23, v14 dst_sel:DWORD dst_unused:UNUSED_PAD src0_sel:DWORD src1_sel:WORD_1
	v_bfrev_b32_e32 v24, 60
	v_lshlrev_b32_e32 v22, 20, v22
	v_and_b32_e32 v23, 0x80000000, v23
	v_lshl_add_u32 v18, v18, 23, v24
	v_or3_b32 v18, v23, v18, v22
	v_lshrrev_b32_e32 v22, 16, v18
.LBB866_417:
	s_or_b64 exec, exec, s[12:13]
.LBB866_418:
	s_or_b64 exec, exec, s[10:11]
.LBB866_419:
	s_or_b64 exec, exec, s[8:9]
	s_mov_b32 s7, 0xffffff
	v_cmp_lt_u32_e32 vcc, s7, v14
	s_and_saveexec_b64 s[8:9], vcc
	s_cbranch_execz .LBB866_425
; %bb.420:
	v_lshrrev_b32_e32 v18, 24, v14
	s_movk_i32 s7, 0x80
	v_cmp_ne_u32_e32 vcc, s7, v18
	v_mov_b32_e32 v21, 0xffff8000
	s_and_saveexec_b64 s[10:11], vcc
	s_cbranch_execz .LBB866_424
; %bb.421:
	v_bfe_u32 v14, v14, 24, 7
	s_movk_i32 s7, 0x7f
	v_cmp_ne_u32_e32 vcc, s7, v14
	v_mov_b32_e32 v21, 0x7f80
	s_and_saveexec_b64 s[12:13], vcc
	s_cbranch_execz .LBB866_423
; %bb.422:
	v_and_b32_e32 v21, 7, v18
	v_ffbh_u32_e32 v24, v21
	v_min_u32_e32 v27, 32, v24
	v_subrev_u32_e32 v24, 28, v27
	v_lshlrev_b64 v[24:25], v24, v[18:19]
	v_lshrrev_b32_e32 v23, 3, v14
	v_sub_u32_e32 v25, 29, v27
	v_and_b32_e32 v24, 7, v24
	v_cmp_gt_u32_e32 vcc, 8, v14
	v_cndmask_b32_e32 v14, v23, v25, vcc
	v_cndmask_b32_e32 v21, v21, v24, vcc
	v_lshlrev_b32_e32 v18, 24, v18
	v_bfrev_b32_e32 v23, 60
	v_lshlrev_b32_e32 v21, 20, v21
	v_and_b32_e32 v18, 0x80000000, v18
	v_lshl_add_u32 v14, v14, 23, v23
	v_or3_b32 v14, v18, v14, v21
	v_lshrrev_b32_e32 v21, 16, v14
.LBB866_423:
	s_or_b64 exec, exec, s[12:13]
.LBB866_424:
	s_or_b64 exec, exec, s[10:11]
.LBB866_425:
	s_or_b64 exec, exec, s[8:9]
	v_mov_b32_e32 v18, 0
	v_cmp_ne_u16_sdwa s[10:11], v15, v18 src0_sel:BYTE_0 src1_sel:DWORD
	v_mov_b32_e32 v23, 0
	s_and_saveexec_b64 s[8:9], s[10:11]
	s_cbranch_execz .LBB866_431
; %bb.426:
	s_movk_i32 s7, 0x80
	v_cmp_ne_u16_sdwa s[12:13], v15, s7 src0_sel:BYTE_0 src1_sel:DWORD
	v_mov_b32_e32 v23, 0xffff8000
	s_and_saveexec_b64 s[10:11], s[12:13]
	s_cbranch_execz .LBB866_430
; %bb.427:
	s_movk_i32 s7, 0x7f
	v_and_b32_e32 v14, 0x7f, v15
	v_cmp_ne_u32_e32 vcc, s7, v14
	v_mov_b32_e32 v23, 0x7f80
	s_and_saveexec_b64 s[12:13], vcc
	s_cbranch_execz .LBB866_429
; %bb.428:
	v_and_b32_e32 v23, 7, v15
	v_ffbh_u32_e32 v25, v23
	v_min_u32_e32 v28, 32, v25
	v_mov_b32_e32 v24, v15
	v_subrev_u32_e32 v25, 28, v28
	v_lshlrev_b64 v[24:25], v25, v[24:25]
	v_lshrrev_b32_e32 v27, 3, v14
	v_sub_u32_e32 v25, 29, v28
	v_and_b32_e32 v24, 7, v24
	v_cmp_gt_u32_e32 vcc, 8, v14
	v_cndmask_b32_e32 v14, v27, v25, vcc
	v_cndmask_b32_e32 v23, v23, v24, vcc
	v_lshlrev_b32_e32 v24, 24, v15
	v_bfrev_b32_e32 v25, 60
	v_lshlrev_b32_e32 v23, 20, v23
	v_and_b32_e32 v24, 0x80000000, v24
	v_lshl_add_u32 v14, v14, 23, v25
	v_or3_b32 v14, v24, v14, v23
	v_lshrrev_b32_e32 v23, 16, v14
.LBB866_429:
	s_or_b64 exec, exec, s[12:13]
.LBB866_430:
	s_or_b64 exec, exec, s[10:11]
.LBB866_431:
	s_or_b64 exec, exec, s[8:9]
	v_lshrrev_b16_e32 v14, 8, v15
	v_cmp_ne_u16_e32 vcc, 0, v14
	s_and_saveexec_b64 s[8:9], vcc
	s_cbranch_execz .LBB866_437
; %bb.432:
	s_movk_i32 s7, 0x80
	v_cmp_ne_u16_e32 vcc, s7, v14
	v_mov_b32_e32 v18, 0xffff8000
	s_and_saveexec_b64 s[10:11], vcc
	s_cbranch_execz .LBB866_436
; %bb.433:
	s_movk_i32 s7, 0x7f
	v_and_b32_e32 v24, 0x7f, v14
	v_cmp_ne_u32_e32 vcc, s7, v24
	v_mov_b32_e32 v18, 0x7f80
	s_and_saveexec_b64 s[12:13], vcc
	s_cbranch_execz .LBB866_435
; %bb.434:
	v_and_b32_e32 v18, 7, v14
	v_ffbh_u32_e32 v27, v18
	v_min_u32_e32 v27, 32, v27
	v_subrev_u32_e32 v28, 28, v27
	v_lshlrev_b64 v[28:29], v28, v[14:15]
	v_lshrrev_b32_e32 v25, 3, v24
	v_sub_u32_e32 v14, 29, v27
	v_and_b32_e32 v27, 7, v28
	v_cmp_gt_u32_e32 vcc, 8, v24
	v_cndmask_b32_e32 v14, v25, v14, vcc
	v_cndmask_b32_e32 v18, v18, v27, vcc
	v_lshlrev_b32_e32 v24, 16, v15
	v_bfrev_b32_e32 v25, 60
	v_lshlrev_b32_e32 v18, 20, v18
	v_and_b32_e32 v24, 0x80000000, v24
	v_lshl_add_u32 v14, v14, 23, v25
	v_or3_b32 v14, v24, v14, v18
	v_lshrrev_b32_e32 v18, 16, v14
.LBB866_435:
	s_or_b64 exec, exec, s[12:13]
.LBB866_436:
	s_or_b64 exec, exec, s[10:11]
.LBB866_437:
	s_or_b64 exec, exec, s[8:9]
	s_movk_i32 s7, 0xff
	v_and_b32_sdwa v27, v15, s7 dst_sel:DWORD dst_unused:UNUSED_PAD src0_sel:WORD_1 src1_sel:DWORD
	v_lshrrev_b32_e32 v14, 16, v15
	v_cmp_ne_u16_e32 vcc, 0, v27
	v_mov_b32_e32 v24, 0
	v_mov_b32_e32 v25, 0
	s_and_saveexec_b64 s[8:9], vcc
	s_cbranch_execz .LBB866_443
; %bb.438:
	s_movk_i32 s7, 0x80
	v_cmp_ne_u16_e32 vcc, s7, v27
	v_mov_b32_e32 v25, 0xffff8000
	s_and_saveexec_b64 s[10:11], vcc
	s_cbranch_execz .LBB866_442
; %bb.439:
	v_bfe_u32 v27, v15, 16, 7
	s_movk_i32 s7, 0x7f
	v_cmp_ne_u32_e32 vcc, s7, v27
	v_mov_b32_e32 v25, 0x7f80
	s_and_saveexec_b64 s[12:13], vcc
	s_cbranch_execz .LBB866_441
; %bb.440:
	v_and_b32_e32 v25, 7, v14
	v_ffbh_u32_e32 v28, v25
	v_min_u32_e32 v31, 32, v28
	v_subrev_u32_e32 v28, 28, v31
	v_lshlrev_b64 v[28:29], v28, v[14:15]
	v_lshrrev_b32_e32 v30, 3, v27
	v_sub_u32_e32 v14, 29, v31
	v_and_b32_e32 v28, 7, v28
	v_cmp_gt_u32_e32 vcc, 8, v27
	v_mov_b32_e32 v27, 24
	v_cndmask_b32_e32 v14, v30, v14, vcc
	v_cndmask_b32_e32 v25, v25, v28, vcc
	v_lshlrev_b32_sdwa v27, v27, v15 dst_sel:DWORD dst_unused:UNUSED_PAD src0_sel:DWORD src1_sel:WORD_1
	v_bfrev_b32_e32 v28, 60
	v_lshlrev_b32_e32 v25, 20, v25
	v_and_b32_e32 v27, 0x80000000, v27
	v_lshl_add_u32 v14, v14, 23, v28
	v_or3_b32 v14, v27, v14, v25
	v_lshrrev_b32_e32 v25, 16, v14
.LBB866_441:
	s_or_b64 exec, exec, s[12:13]
.LBB866_442:
	s_or_b64 exec, exec, s[10:11]
.LBB866_443:
	s_or_b64 exec, exec, s[8:9]
	s_mov_b32 s7, 0xffffff
	v_cmp_lt_u32_e32 vcc, s7, v15
	s_and_saveexec_b64 s[8:9], vcc
	s_cbranch_execz .LBB866_449
; %bb.444:
	v_lshrrev_b32_e32 v14, 24, v15
	s_movk_i32 s7, 0x80
	v_cmp_ne_u32_e32 vcc, s7, v14
	v_mov_b32_e32 v24, 0xffff8000
	s_and_saveexec_b64 s[10:11], vcc
	s_cbranch_execz .LBB866_448
; %bb.445:
	v_bfe_u32 v15, v15, 24, 7
	s_movk_i32 s7, 0x7f
	v_cmp_ne_u32_e32 vcc, s7, v15
	v_mov_b32_e32 v24, 0x7f80
	s_and_saveexec_b64 s[12:13], vcc
	s_cbranch_execz .LBB866_447
; %bb.446:
	v_and_b32_e32 v24, 7, v14
	v_ffbh_u32_e32 v28, v24
	v_min_u32_e32 v30, 32, v28
	v_subrev_u32_e32 v28, 28, v30
	v_lshlrev_b64 v[28:29], v28, v[14:15]
	v_lshrrev_b32_e32 v27, 3, v15
	v_sub_u32_e32 v29, 29, v30
	v_and_b32_e32 v28, 7, v28
	v_cmp_gt_u32_e32 vcc, 8, v15
	v_cndmask_b32_e32 v15, v27, v29, vcc
	v_cndmask_b32_e32 v24, v24, v28, vcc
	v_lshlrev_b32_e32 v14, 24, v14
	v_bfrev_b32_e32 v27, 60
	v_lshlrev_b32_e32 v24, 20, v24
	v_and_b32_e32 v14, 0x80000000, v14
	v_lshl_add_u32 v15, v15, 23, v27
	v_or3_b32 v14, v14, v15, v24
	v_lshrrev_b32_e32 v24, 16, v14
.LBB866_447:
	s_or_b64 exec, exec, s[12:13]
.LBB866_448:
	s_or_b64 exec, exec, s[10:11]
.LBB866_449:
	s_or_b64 exec, exec, s[8:9]
	s_mov_b32 s7, 0x5040100
	v_perm_b32 v15, v21, v22, s7
	v_lshl_or_b32 v22, v1, 9, v48
	v_perm_b32 v14, v19, v20, s7
	ds_read_b128 v[28:31], v22
	v_perm_b32 v19, v24, v25, s7
	v_perm_b32 v18, v18, v23, s7
	s_waitcnt lgkmcnt(0)
	v_mfma_f32_16x16x16bf16_1k v[32:35], v[14:15], v[28:29], 0
	v_mov_b32_e32 v15, 0
	v_cmp_ne_u16_sdwa s[10:11], v16, v15 src0_sel:BYTE_0 src1_sel:DWORD
	v_mov_b32_e32 v23, 0
	v_mfma_f32_16x16x16bf16_1k v[18:21], v[18:19], v[30:31], v[32:35]
	s_and_saveexec_b64 s[8:9], s[10:11]
	s_cbranch_execz .LBB866_455
; %bb.450:
	s_movk_i32 s7, 0x80
	v_cmp_ne_u16_sdwa s[12:13], v16, s7 src0_sel:BYTE_0 src1_sel:DWORD
	v_mov_b32_e32 v23, 0xffff8000
	s_and_saveexec_b64 s[10:11], s[12:13]
	s_cbranch_execz .LBB866_454
; %bb.451:
	s_movk_i32 s7, 0x7f
	v_and_b32_e32 v14, 0x7f, v16
	v_cmp_ne_u32_e32 vcc, s7, v14
	v_mov_b32_e32 v23, 0x7f80
	s_and_saveexec_b64 s[12:13], vcc
	s_cbranch_execz .LBB866_453
; %bb.452:
	v_and_b32_e32 v23, 7, v16
	v_ffbh_u32_e32 v24, v23
	v_min_u32_e32 v28, 32, v24
	v_subrev_u32_e32 v24, 28, v28
	v_lshlrev_b64 v[24:25], v24, v[16:17]
	v_lshrrev_b32_e32 v27, 3, v14
	v_sub_u32_e32 v25, 29, v28
	v_and_b32_e32 v24, 7, v24
	v_cmp_gt_u32_e32 vcc, 8, v14
	v_cndmask_b32_e32 v14, v27, v25, vcc
	v_cndmask_b32_e32 v23, v23, v24, vcc
	v_lshlrev_b32_e32 v24, 24, v16
	v_bfrev_b32_e32 v25, 60
	v_lshlrev_b32_e32 v23, 20, v23
	v_and_b32_e32 v24, 0x80000000, v24
	v_lshl_add_u32 v14, v14, 23, v25
	v_or3_b32 v14, v24, v14, v23
	v_lshrrev_b32_e32 v23, 16, v14
.LBB866_453:
	s_or_b64 exec, exec, s[12:13]
.LBB866_454:
	s_or_b64 exec, exec, s[10:11]
.LBB866_455:
	s_or_b64 exec, exec, s[8:9]
	v_lshrrev_b16_e32 v14, 8, v16
	v_cmp_ne_u16_e32 vcc, 0, v14
	s_and_saveexec_b64 s[8:9], vcc
	s_cbranch_execz .LBB866_461
; %bb.456:
	s_movk_i32 s7, 0x80
	v_cmp_ne_u16_e32 vcc, s7, v14
	v_mov_b32_e32 v15, 0xffff8000
	s_and_saveexec_b64 s[10:11], vcc
	s_cbranch_execz .LBB866_460
; %bb.457:
	s_movk_i32 s7, 0x7f
	v_and_b32_e32 v24, 0x7f, v14
	v_cmp_ne_u32_e32 vcc, s7, v24
	v_mov_b32_e32 v15, 0x7f80
	s_and_saveexec_b64 s[12:13], vcc
	s_cbranch_execz .LBB866_459
; %bb.458:
	v_and_b32_e32 v25, 7, v14
	v_ffbh_u32_e32 v15, v25
	v_min_u32_e32 v28, 32, v15
	v_subrev_u32_e32 v15, 28, v28
	v_lshlrev_b64 v[14:15], v15, v[14:15]
	v_lshrrev_b32_e32 v27, 3, v24
	v_sub_u32_e32 v15, 29, v28
	v_and_b32_e32 v14, 7, v14
	v_cmp_gt_u32_e32 vcc, 8, v24
	v_cndmask_b32_e32 v15, v27, v15, vcc
	v_cndmask_b32_e32 v14, v25, v14, vcc
	v_lshlrev_b32_e32 v24, 16, v16
	v_bfrev_b32_e32 v25, 60
	v_lshlrev_b32_e32 v14, 20, v14
	v_and_b32_e32 v24, 0x80000000, v24
	v_lshl_add_u32 v15, v15, 23, v25
	v_or3_b32 v14, v24, v15, v14
	v_lshrrev_b32_e32 v15, 16, v14
.LBB866_459:
	s_or_b64 exec, exec, s[12:13]
.LBB866_460:
	s_or_b64 exec, exec, s[10:11]
.LBB866_461:
	s_or_b64 exec, exec, s[8:9]
	s_movk_i32 s7, 0xff
	v_and_b32_sdwa v27, v16, s7 dst_sel:DWORD dst_unused:UNUSED_PAD src0_sel:WORD_1 src1_sel:DWORD
	v_lshrrev_b32_e32 v14, 16, v16
	v_cmp_ne_u16_e32 vcc, 0, v27
	v_mov_b32_e32 v24, 0
	v_mov_b32_e32 v25, 0
	s_and_saveexec_b64 s[8:9], vcc
	s_cbranch_execz .LBB866_467
; %bb.462:
	s_movk_i32 s7, 0x80
	v_cmp_ne_u16_e32 vcc, s7, v27
	v_mov_b32_e32 v25, 0xffff8000
	s_and_saveexec_b64 s[10:11], vcc
	s_cbranch_execz .LBB866_466
; %bb.463:
	v_bfe_u32 v27, v16, 16, 7
	s_movk_i32 s7, 0x7f
	v_cmp_ne_u32_e32 vcc, s7, v27
	v_mov_b32_e32 v25, 0x7f80
	s_and_saveexec_b64 s[12:13], vcc
	s_cbranch_execz .LBB866_465
; %bb.464:
	v_and_b32_e32 v25, 7, v14
	v_ffbh_u32_e32 v28, v25
	v_min_u32_e32 v31, 32, v28
	v_subrev_u32_e32 v28, 28, v31
	v_lshlrev_b64 v[28:29], v28, v[14:15]
	v_lshrrev_b32_e32 v30, 3, v27
	v_sub_u32_e32 v14, 29, v31
	v_and_b32_e32 v28, 7, v28
	v_cmp_gt_u32_e32 vcc, 8, v27
	v_mov_b32_e32 v27, 24
	v_cndmask_b32_e32 v14, v30, v14, vcc
	v_cndmask_b32_e32 v25, v25, v28, vcc
	v_lshlrev_b32_sdwa v27, v27, v16 dst_sel:DWORD dst_unused:UNUSED_PAD src0_sel:DWORD src1_sel:WORD_1
	v_bfrev_b32_e32 v28, 60
	v_lshlrev_b32_e32 v25, 20, v25
	v_and_b32_e32 v27, 0x80000000, v27
	v_lshl_add_u32 v14, v14, 23, v28
	v_or3_b32 v14, v27, v14, v25
	v_lshrrev_b32_e32 v25, 16, v14
.LBB866_465:
	s_or_b64 exec, exec, s[12:13]
.LBB866_466:
	s_or_b64 exec, exec, s[10:11]
.LBB866_467:
	s_or_b64 exec, exec, s[8:9]
	s_mov_b32 s7, 0xffffff
	v_cmp_lt_u32_e32 vcc, s7, v16
	s_and_saveexec_b64 s[8:9], vcc
	s_cbranch_execz .LBB866_473
; %bb.468:
	v_lshrrev_b32_e32 v14, 24, v16
	s_movk_i32 s7, 0x80
	v_cmp_ne_u32_e32 vcc, s7, v14
	v_mov_b32_e32 v24, 0xffff8000
	s_and_saveexec_b64 s[10:11], vcc
	s_cbranch_execz .LBB866_472
; %bb.469:
	v_bfe_u32 v16, v16, 24, 7
	s_movk_i32 s7, 0x7f
	v_cmp_ne_u32_e32 vcc, s7, v16
	v_mov_b32_e32 v24, 0x7f80
	s_and_saveexec_b64 s[12:13], vcc
	s_cbranch_execz .LBB866_471
; %bb.470:
	v_and_b32_e32 v24, 7, v14
	v_ffbh_u32_e32 v28, v24
	v_min_u32_e32 v30, 32, v28
	v_subrev_u32_e32 v28, 28, v30
	v_lshlrev_b64 v[28:29], v28, v[14:15]
	v_lshrrev_b32_e32 v27, 3, v16
	v_sub_u32_e32 v29, 29, v30
	v_and_b32_e32 v28, 7, v28
	v_cmp_gt_u32_e32 vcc, 8, v16
	v_cndmask_b32_e32 v16, v27, v29, vcc
	v_cndmask_b32_e32 v24, v24, v28, vcc
	v_lshlrev_b32_e32 v14, 24, v14
	v_bfrev_b32_e32 v27, 60
	v_lshlrev_b32_e32 v24, 20, v24
	v_and_b32_e32 v14, 0x80000000, v14
	v_lshl_add_u32 v16, v16, 23, v27
	v_or3_b32 v14, v14, v16, v24
	v_lshrrev_b32_e32 v24, 16, v14
.LBB866_471:
	s_or_b64 exec, exec, s[12:13]
.LBB866_472:
	s_or_b64 exec, exec, s[10:11]
.LBB866_473:
	s_or_b64 exec, exec, s[8:9]
	v_mov_b32_e32 v16, 0
	v_cmp_ne_u16_sdwa s[10:11], v17, v16 src0_sel:BYTE_0 src1_sel:DWORD
	v_mov_b32_e32 v27, 0
	s_and_saveexec_b64 s[8:9], s[10:11]
	s_cbranch_execz .LBB866_479
; %bb.474:
	s_movk_i32 s7, 0x80
	v_cmp_ne_u16_sdwa s[12:13], v17, s7 src0_sel:BYTE_0 src1_sel:DWORD
	v_mov_b32_e32 v27, 0xffff8000
	s_and_saveexec_b64 s[10:11], s[12:13]
	s_cbranch_execz .LBB866_478
; %bb.475:
	s_movk_i32 s7, 0x7f
	v_and_b32_e32 v14, 0x7f, v17
	v_cmp_ne_u32_e32 vcc, s7, v14
	v_mov_b32_e32 v27, 0x7f80
	s_and_saveexec_b64 s[12:13], vcc
	s_cbranch_execz .LBB866_477
; %bb.476:
	v_and_b32_e32 v27, 7, v17
	v_ffbh_u32_e32 v29, v27
	v_min_u32_e32 v31, 32, v29
	v_mov_b32_e32 v28, v17
	v_subrev_u32_e32 v29, 28, v31
	v_lshlrev_b64 v[28:29], v29, v[28:29]
	v_lshrrev_b32_e32 v30, 3, v14
	v_sub_u32_e32 v29, 29, v31
	v_and_b32_e32 v28, 7, v28
	v_cmp_gt_u32_e32 vcc, 8, v14
	v_cndmask_b32_e32 v14, v30, v29, vcc
	v_cndmask_b32_e32 v27, v27, v28, vcc
	v_lshlrev_b32_e32 v28, 24, v17
	v_bfrev_b32_e32 v29, 60
	v_lshlrev_b32_e32 v27, 20, v27
	v_and_b32_e32 v28, 0x80000000, v28
	v_lshl_add_u32 v14, v14, 23, v29
	v_or3_b32 v14, v28, v14, v27
	v_lshrrev_b32_e32 v27, 16, v14
.LBB866_477:
	s_or_b64 exec, exec, s[12:13]
.LBB866_478:
	s_or_b64 exec, exec, s[10:11]
.LBB866_479:
	s_or_b64 exec, exec, s[8:9]
	v_lshrrev_b16_e32 v14, 8, v17
	v_cmp_ne_u16_e32 vcc, 0, v14
	s_and_saveexec_b64 s[8:9], vcc
	s_cbranch_execz .LBB866_485
; %bb.480:
	s_movk_i32 s7, 0x80
	v_cmp_ne_u16_e32 vcc, s7, v14
	v_mov_b32_e32 v16, 0xffff8000
	s_and_saveexec_b64 s[10:11], vcc
	s_cbranch_execz .LBB866_484
; %bb.481:
	s_movk_i32 s7, 0x7f
	v_and_b32_e32 v28, 0x7f, v14
	v_cmp_ne_u32_e32 vcc, s7, v28
	v_mov_b32_e32 v16, 0x7f80
	s_and_saveexec_b64 s[12:13], vcc
	s_cbranch_execz .LBB866_483
; %bb.482:
	v_and_b32_e32 v16, 7, v14
	v_ffbh_u32_e32 v30, v16
	v_min_u32_e32 v32, 32, v30
	v_subrev_u32_e32 v30, 28, v32
	v_lshlrev_b64 v[30:31], v30, v[14:15]
	v_lshrrev_b32_e32 v29, 3, v28
	v_sub_u32_e32 v14, 29, v32
	v_and_b32_e32 v30, 7, v30
	v_cmp_gt_u32_e32 vcc, 8, v28
	v_cndmask_b32_e32 v14, v29, v14, vcc
	v_cndmask_b32_e32 v16, v16, v30, vcc
	v_lshlrev_b32_e32 v28, 16, v17
	v_bfrev_b32_e32 v29, 60
	v_lshlrev_b32_e32 v16, 20, v16
	v_and_b32_e32 v28, 0x80000000, v28
	v_lshl_add_u32 v14, v14, 23, v29
	v_or3_b32 v14, v28, v14, v16
	v_lshrrev_b32_e32 v16, 16, v14
.LBB866_483:
	s_or_b64 exec, exec, s[12:13]
.LBB866_484:
	s_or_b64 exec, exec, s[10:11]
.LBB866_485:
	s_or_b64 exec, exec, s[8:9]
	s_movk_i32 s7, 0xff
	v_and_b32_sdwa v30, v17, s7 dst_sel:DWORD dst_unused:UNUSED_PAD src0_sel:WORD_1 src1_sel:DWORD
	v_lshrrev_b32_e32 v14, 16, v17
	v_cmp_ne_u16_e32 vcc, 0, v30
	v_mov_b32_e32 v28, 0
	v_mov_b32_e32 v29, 0
	s_and_saveexec_b64 s[8:9], vcc
	s_cbranch_execz .LBB866_491
; %bb.486:
	s_movk_i32 s7, 0x80
	v_cmp_ne_u16_e32 vcc, s7, v30
	v_mov_b32_e32 v29, 0xffff8000
	s_and_saveexec_b64 s[10:11], vcc
	s_cbranch_execz .LBB866_490
; %bb.487:
	v_bfe_u32 v30, v17, 16, 7
	s_movk_i32 s7, 0x7f
	v_cmp_ne_u32_e32 vcc, s7, v30
	v_mov_b32_e32 v29, 0x7f80
	s_and_saveexec_b64 s[12:13], vcc
	s_cbranch_execz .LBB866_489
; %bb.488:
	v_and_b32_e32 v29, 7, v14
	v_ffbh_u32_e32 v32, v29
	v_min_u32_e32 v34, 32, v32
	v_subrev_u32_e32 v32, 28, v34
	v_lshlrev_b64 v[32:33], v32, v[14:15]
	v_lshrrev_b32_e32 v31, 3, v30
	v_sub_u32_e32 v14, 29, v34
	v_and_b32_e32 v32, 7, v32
	v_cmp_gt_u32_e32 vcc, 8, v30
	v_mov_b32_e32 v30, 24
	v_cndmask_b32_e32 v14, v31, v14, vcc
	v_cndmask_b32_e32 v29, v29, v32, vcc
	v_lshlrev_b32_sdwa v30, v30, v17 dst_sel:DWORD dst_unused:UNUSED_PAD src0_sel:DWORD src1_sel:WORD_1
	v_bfrev_b32_e32 v31, 60
	v_lshlrev_b32_e32 v29, 20, v29
	v_and_b32_e32 v30, 0x80000000, v30
	v_lshl_add_u32 v14, v14, 23, v31
	v_or3_b32 v14, v30, v14, v29
	v_lshrrev_b32_e32 v29, 16, v14
.LBB866_489:
	s_or_b64 exec, exec, s[12:13]
.LBB866_490:
	s_or_b64 exec, exec, s[10:11]
.LBB866_491:
	s_or_b64 exec, exec, s[8:9]
	s_mov_b32 s7, 0xffffff
	v_cmp_lt_u32_e32 vcc, s7, v17
	s_and_saveexec_b64 s[8:9], vcc
	s_cbranch_execz .LBB866_497
; %bb.492:
	v_lshrrev_b32_e32 v14, 24, v17
	s_movk_i32 s7, 0x80
	v_cmp_ne_u32_e32 vcc, s7, v14
	v_mov_b32_e32 v28, 0xffff8000
	s_and_saveexec_b64 s[10:11], vcc
	s_cbranch_execz .LBB866_496
; %bb.493:
	v_bfe_u32 v17, v17, 24, 7
	s_movk_i32 s7, 0x7f
	v_cmp_ne_u32_e32 vcc, s7, v17
	v_mov_b32_e32 v28, 0x7f80
	s_and_saveexec_b64 s[12:13], vcc
	s_cbranch_execz .LBB866_495
; %bb.494:
	v_and_b32_e32 v28, 7, v14
	v_ffbh_u32_e32 v30, v28
	v_min_u32_e32 v33, 32, v30
	v_subrev_u32_e32 v30, 28, v33
	v_lshlrev_b64 v[30:31], v30, v[14:15]
	v_lshrrev_b32_e32 v32, 3, v17
	v_sub_u32_e32 v31, 29, v33
	v_and_b32_e32 v30, 7, v30
	v_cmp_gt_u32_e32 vcc, 8, v17
	v_cndmask_b32_e32 v17, v32, v31, vcc
	v_cndmask_b32_e32 v28, v28, v30, vcc
	v_lshlrev_b32_e32 v14, 24, v14
	v_bfrev_b32_e32 v30, 60
	v_lshlrev_b32_e32 v28, 20, v28
	v_and_b32_e32 v14, 0x80000000, v14
	v_lshl_add_u32 v17, v17, 23, v30
	v_or3_b32 v14, v14, v17, v28
	v_lshrrev_b32_e32 v28, 16, v14
.LBB866_495:
	s_or_b64 exec, exec, s[12:13]
.LBB866_496:
	s_or_b64 exec, exec, s[10:11]
.LBB866_497:
	s_or_b64 exec, exec, s[8:9]
	s_mov_b32 s7, 0x5040100
	v_perm_b32 v25, v24, v25, s7
	v_perm_b32 v24, v15, v23, s7
	ds_read_b128 v[30:33], v22 offset:16
	v_perm_b32 v15, v28, v29, s7
	v_perm_b32 v14, v16, v27, s7
	s_waitcnt lgkmcnt(0)
	v_mfma_f32_16x16x16bf16_1k v[34:37], v[24:25], v[30:31], v[18:21]
	s_nop 6
	v_mov_b32_e32 v19, 0
	s_waitcnt vmcnt(2)
	v_cmp_ne_u16_sdwa s[10:11], v10, v19 src0_sel:BYTE_0 src1_sel:DWORD
	v_mfma_f32_16x16x16bf16_1k v[14:17], v[14:15], v[32:33], v[34:37]
	v_mov_b32_e32 v20, 0
	s_and_saveexec_b64 s[8:9], s[10:11]
	s_cbranch_execz .LBB866_503
; %bb.498:
	s_movk_i32 s7, 0x80
	v_cmp_ne_u16_sdwa s[12:13], v10, s7 src0_sel:BYTE_0 src1_sel:DWORD
	v_mov_b32_e32 v20, 0xffff8000
	s_and_saveexec_b64 s[10:11], s[12:13]
	s_cbranch_execz .LBB866_502
; %bb.499:
	s_movk_i32 s7, 0x7f
	v_and_b32_e32 v18, 0x7f, v10
	v_cmp_ne_u32_e32 vcc, s7, v18
	v_mov_b32_e32 v20, 0x7f80
	s_and_saveexec_b64 s[12:13], vcc
	s_cbranch_execz .LBB866_501
; %bb.500:
	v_and_b32_e32 v23, 7, v10
	v_ffbh_u32_e32 v20, v23
	v_min_u32_e32 v25, 32, v20
	v_subrev_u32_e32 v20, 28, v25
	v_lshlrev_b64 v[20:21], v20, v[10:11]
	v_lshrrev_b32_e32 v24, 3, v18
	v_sub_u32_e32 v21, 29, v25
	v_and_b32_e32 v20, 7, v20
	v_cmp_gt_u32_e32 vcc, 8, v18
	v_cndmask_b32_e32 v18, v24, v21, vcc
	v_cndmask_b32_e32 v20, v23, v20, vcc
	v_lshlrev_b32_e32 v21, 24, v10
	v_bfrev_b32_e32 v23, 60
	v_lshlrev_b32_e32 v20, 20, v20
	v_and_b32_e32 v21, 0x80000000, v21
	v_lshl_add_u32 v18, v18, 23, v23
	v_or3_b32 v18, v21, v18, v20
	v_lshrrev_b32_e32 v20, 16, v18
.LBB866_501:
	s_or_b64 exec, exec, s[12:13]
.LBB866_502:
	s_or_b64 exec, exec, s[10:11]
.LBB866_503:
	s_or_b64 exec, exec, s[8:9]
	v_lshrrev_b16_e32 v18, 8, v10
	v_cmp_ne_u16_e32 vcc, 0, v18
	s_and_saveexec_b64 s[8:9], vcc
	s_cbranch_execz .LBB866_509
; %bb.504:
	s_movk_i32 s7, 0x80
	v_cmp_ne_u16_e32 vcc, s7, v18
	v_mov_b32_e32 v19, 0xffff8000
	s_and_saveexec_b64 s[10:11], vcc
	s_cbranch_execz .LBB866_508
; %bb.505:
	s_movk_i32 s7, 0x7f
	v_and_b32_e32 v21, 0x7f, v18
	v_cmp_ne_u32_e32 vcc, s7, v21
	v_mov_b32_e32 v19, 0x7f80
	s_and_saveexec_b64 s[12:13], vcc
	s_cbranch_execz .LBB866_507
; %bb.506:
	v_and_b32_e32 v23, 7, v18
	v_ffbh_u32_e32 v19, v23
	v_min_u32_e32 v25, 32, v19
	v_subrev_u32_e32 v19, 28, v25
	v_lshlrev_b64 v[18:19], v19, v[18:19]
	v_lshrrev_b32_e32 v24, 3, v21
	v_sub_u32_e32 v19, 29, v25
	v_and_b32_e32 v18, 7, v18
	v_cmp_gt_u32_e32 vcc, 8, v21
	v_cndmask_b32_e32 v19, v24, v19, vcc
	v_cndmask_b32_e32 v18, v23, v18, vcc
	v_lshlrev_b32_e32 v21, 16, v10
	v_bfrev_b32_e32 v23, 60
	v_lshlrev_b32_e32 v18, 20, v18
	v_and_b32_e32 v21, 0x80000000, v21
	v_lshl_add_u32 v19, v19, 23, v23
	v_or3_b32 v18, v21, v19, v18
	v_lshrrev_b32_e32 v19, 16, v18
.LBB866_507:
	s_or_b64 exec, exec, s[12:13]
.LBB866_508:
	s_or_b64 exec, exec, s[10:11]
.LBB866_509:
	s_or_b64 exec, exec, s[8:9]
	s_movk_i32 s7, 0xff
	v_and_b32_sdwa v24, v10, s7 dst_sel:DWORD dst_unused:UNUSED_PAD src0_sel:WORD_1 src1_sel:DWORD
	v_lshrrev_b32_e32 v18, 16, v10
	v_cmp_ne_u16_e32 vcc, 0, v24
	v_mov_b32_e32 v21, 0
	v_mov_b32_e32 v23, 0
	s_and_saveexec_b64 s[8:9], vcc
	s_cbranch_execz .LBB866_515
; %bb.510:
	s_movk_i32 s7, 0x80
	v_cmp_ne_u16_e32 vcc, s7, v24
	v_mov_b32_e32 v23, 0xffff8000
	s_and_saveexec_b64 s[10:11], vcc
	s_cbranch_execz .LBB866_514
; %bb.511:
	v_bfe_u32 v24, v10, 16, 7
	s_movk_i32 s7, 0x7f
	v_cmp_ne_u32_e32 vcc, s7, v24
	v_mov_b32_e32 v23, 0x7f80
	s_and_saveexec_b64 s[12:13], vcc
	s_cbranch_execz .LBB866_513
; %bb.512:
	v_and_b32_e32 v23, 7, v18
	v_ffbh_u32_e32 v27, v23
	v_min_u32_e32 v27, 32, v27
	v_subrev_u32_e32 v28, 28, v27
	v_lshlrev_b64 v[28:29], v28, v[18:19]
	v_lshrrev_b32_e32 v25, 3, v24
	v_sub_u32_e32 v18, 29, v27
	v_and_b32_e32 v27, 7, v28
	v_cmp_gt_u32_e32 vcc, 8, v24
	v_mov_b32_e32 v24, 24
	v_cndmask_b32_e32 v18, v25, v18, vcc
	v_cndmask_b32_e32 v23, v23, v27, vcc
	v_lshlrev_b32_sdwa v24, v24, v10 dst_sel:DWORD dst_unused:UNUSED_PAD src0_sel:DWORD src1_sel:WORD_1
	v_bfrev_b32_e32 v25, 60
	v_lshlrev_b32_e32 v23, 20, v23
	v_and_b32_e32 v24, 0x80000000, v24
	v_lshl_add_u32 v18, v18, 23, v25
	v_or3_b32 v18, v24, v18, v23
	v_lshrrev_b32_e32 v23, 16, v18
.LBB866_513:
	s_or_b64 exec, exec, s[12:13]
.LBB866_514:
	s_or_b64 exec, exec, s[10:11]
.LBB866_515:
	s_or_b64 exec, exec, s[8:9]
	s_mov_b32 s7, 0xffffff
	v_cmp_lt_u32_e32 vcc, s7, v10
	s_and_saveexec_b64 s[8:9], vcc
	s_cbranch_execz .LBB866_521
; %bb.516:
	v_lshrrev_b32_e32 v18, 24, v10
	s_movk_i32 s7, 0x80
	v_cmp_ne_u32_e32 vcc, s7, v18
	v_mov_b32_e32 v21, 0xffff8000
	s_and_saveexec_b64 s[10:11], vcc
	s_cbranch_execz .LBB866_520
; %bb.517:
	v_bfe_u32 v10, v10, 24, 7
	s_movk_i32 s7, 0x7f
	v_cmp_ne_u32_e32 vcc, s7, v10
	v_mov_b32_e32 v21, 0x7f80
	s_and_saveexec_b64 s[12:13], vcc
	s_cbranch_execz .LBB866_519
; %bb.518:
	v_and_b32_e32 v21, 7, v18
	v_ffbh_u32_e32 v24, v21
	v_min_u32_e32 v28, 32, v24
	v_subrev_u32_e32 v24, 28, v28
	v_lshlrev_b64 v[24:25], v24, v[18:19]
	v_lshrrev_b32_e32 v27, 3, v10
	v_sub_u32_e32 v25, 29, v28
	v_and_b32_e32 v24, 7, v24
	v_cmp_gt_u32_e32 vcc, 8, v10
	v_cndmask_b32_e32 v10, v27, v25, vcc
	v_cndmask_b32_e32 v21, v21, v24, vcc
	v_lshlrev_b32_e32 v18, 24, v18
	v_bfrev_b32_e32 v24, 60
	v_lshlrev_b32_e32 v21, 20, v21
	v_and_b32_e32 v18, 0x80000000, v18
	v_lshl_add_u32 v10, v10, 23, v24
	v_or3_b32 v10, v18, v10, v21
	v_lshrrev_b32_e32 v21, 16, v10
.LBB866_519:
	s_or_b64 exec, exec, s[12:13]
.LBB866_520:
	s_or_b64 exec, exec, s[10:11]
.LBB866_521:
	s_or_b64 exec, exec, s[8:9]
	v_mov_b32_e32 v18, 0
	v_cmp_ne_u16_sdwa s[10:11], v11, v18 src0_sel:BYTE_0 src1_sel:DWORD
	v_mov_b32_e32 v24, 0
	s_and_saveexec_b64 s[8:9], s[10:11]
	s_cbranch_execz .LBB866_527
; %bb.522:
	s_movk_i32 s7, 0x80
	v_cmp_ne_u16_sdwa s[12:13], v11, s7 src0_sel:BYTE_0 src1_sel:DWORD
	v_mov_b32_e32 v24, 0xffff8000
	s_and_saveexec_b64 s[10:11], s[12:13]
	s_cbranch_execz .LBB866_526
; %bb.523:
	s_movk_i32 s7, 0x7f
	v_and_b32_e32 v10, 0x7f, v11
	v_cmp_ne_u32_e32 vcc, s7, v10
	v_mov_b32_e32 v24, 0x7f80
	s_and_saveexec_b64 s[12:13], vcc
	s_cbranch_execz .LBB866_525
; %bb.524:
	v_and_b32_e32 v27, 7, v11
	v_ffbh_u32_e32 v25, v27
	v_min_u32_e32 v29, 32, v25
	v_mov_b32_e32 v24, v11
	v_subrev_u32_e32 v25, 28, v29
	v_lshlrev_b64 v[24:25], v25, v[24:25]
	v_lshrrev_b32_e32 v28, 3, v10
	v_sub_u32_e32 v25, 29, v29
	v_and_b32_e32 v24, 7, v24
	v_cmp_gt_u32_e32 vcc, 8, v10
	v_cndmask_b32_e32 v10, v28, v25, vcc
	v_cndmask_b32_e32 v24, v27, v24, vcc
	v_lshlrev_b32_e32 v25, 24, v11
	v_bfrev_b32_e32 v27, 60
	v_lshlrev_b32_e32 v24, 20, v24
	v_and_b32_e32 v25, 0x80000000, v25
	v_lshl_add_u32 v10, v10, 23, v27
	v_or3_b32 v10, v25, v10, v24
	v_lshrrev_b32_e32 v24, 16, v10
.LBB866_525:
	s_or_b64 exec, exec, s[12:13]
.LBB866_526:
	s_or_b64 exec, exec, s[10:11]
.LBB866_527:
	s_or_b64 exec, exec, s[8:9]
	v_lshrrev_b16_e32 v10, 8, v11
	v_cmp_ne_u16_e32 vcc, 0, v10
	s_and_saveexec_b64 s[8:9], vcc
	s_cbranch_execz .LBB866_533
; %bb.528:
	s_movk_i32 s7, 0x80
	v_cmp_ne_u16_e32 vcc, s7, v10
	v_mov_b32_e32 v18, 0xffff8000
	s_and_saveexec_b64 s[10:11], vcc
	s_cbranch_execz .LBB866_532
; %bb.529:
	s_movk_i32 s7, 0x7f
	v_and_b32_e32 v25, 0x7f, v10
	v_cmp_ne_u32_e32 vcc, s7, v25
	v_mov_b32_e32 v18, 0x7f80
	s_and_saveexec_b64 s[12:13], vcc
	s_cbranch_execz .LBB866_531
; %bb.530:
	v_and_b32_e32 v18, 7, v10
	v_ffbh_u32_e32 v28, v18
	v_min_u32_e32 v30, 32, v28
	v_subrev_u32_e32 v28, 28, v30
	v_lshlrev_b64 v[28:29], v28, v[10:11]
	v_lshrrev_b32_e32 v27, 3, v25
	v_sub_u32_e32 v10, 29, v30
	v_and_b32_e32 v28, 7, v28
	v_cmp_gt_u32_e32 vcc, 8, v25
	v_cndmask_b32_e32 v10, v27, v10, vcc
	v_cndmask_b32_e32 v18, v18, v28, vcc
	v_lshlrev_b32_e32 v25, 16, v11
	v_bfrev_b32_e32 v27, 60
	v_lshlrev_b32_e32 v18, 20, v18
	v_and_b32_e32 v25, 0x80000000, v25
	v_lshl_add_u32 v10, v10, 23, v27
	v_or3_b32 v10, v25, v10, v18
	v_lshrrev_b32_e32 v18, 16, v10
.LBB866_531:
	s_or_b64 exec, exec, s[12:13]
.LBB866_532:
	s_or_b64 exec, exec, s[10:11]
.LBB866_533:
	s_or_b64 exec, exec, s[8:9]
	s_movk_i32 s7, 0xff
	v_and_b32_sdwa v28, v11, s7 dst_sel:DWORD dst_unused:UNUSED_PAD src0_sel:WORD_1 src1_sel:DWORD
	v_lshrrev_b32_e32 v10, 16, v11
	v_cmp_ne_u16_e32 vcc, 0, v28
	v_mov_b32_e32 v25, 0
	v_mov_b32_e32 v27, 0
	s_and_saveexec_b64 s[8:9], vcc
	s_cbranch_execz .LBB866_539
; %bb.534:
	s_movk_i32 s7, 0x80
	v_cmp_ne_u16_e32 vcc, s7, v28
	v_mov_b32_e32 v27, 0xffff8000
	s_and_saveexec_b64 s[10:11], vcc
	s_cbranch_execz .LBB866_538
; %bb.535:
	v_bfe_u32 v28, v11, 16, 7
	s_movk_i32 s7, 0x7f
	v_cmp_ne_u32_e32 vcc, s7, v28
	v_mov_b32_e32 v27, 0x7f80
	s_and_saveexec_b64 s[12:13], vcc
	s_cbranch_execz .LBB866_537
; %bb.536:
	v_and_b32_e32 v27, 7, v10
	v_ffbh_u32_e32 v30, v27
	v_min_u32_e32 v32, 32, v30
	v_subrev_u32_e32 v30, 28, v32
	v_lshlrev_b64 v[30:31], v30, v[10:11]
	v_lshrrev_b32_e32 v29, 3, v28
	v_sub_u32_e32 v10, 29, v32
	v_and_b32_e32 v30, 7, v30
	v_cmp_gt_u32_e32 vcc, 8, v28
	v_mov_b32_e32 v28, 24
	v_cndmask_b32_e32 v10, v29, v10, vcc
	v_cndmask_b32_e32 v27, v27, v30, vcc
	v_lshlrev_b32_sdwa v28, v28, v11 dst_sel:DWORD dst_unused:UNUSED_PAD src0_sel:DWORD src1_sel:WORD_1
	v_bfrev_b32_e32 v29, 60
	v_lshlrev_b32_e32 v27, 20, v27
	v_and_b32_e32 v28, 0x80000000, v28
	v_lshl_add_u32 v10, v10, 23, v29
	v_or3_b32 v10, v28, v10, v27
	v_lshrrev_b32_e32 v27, 16, v10
.LBB866_537:
	s_or_b64 exec, exec, s[12:13]
.LBB866_538:
	s_or_b64 exec, exec, s[10:11]
.LBB866_539:
	s_or_b64 exec, exec, s[8:9]
	s_mov_b32 s7, 0xffffff
	v_cmp_lt_u32_e32 vcc, s7, v11
	s_and_saveexec_b64 s[8:9], vcc
	s_cbranch_execz .LBB866_545
; %bb.540:
	v_lshrrev_b32_e32 v10, 24, v11
	s_movk_i32 s7, 0x80
	v_cmp_ne_u32_e32 vcc, s7, v10
	v_mov_b32_e32 v25, 0xffff8000
	s_and_saveexec_b64 s[10:11], vcc
	s_cbranch_execz .LBB866_544
; %bb.541:
	v_bfe_u32 v11, v11, 24, 7
	s_movk_i32 s7, 0x7f
	v_cmp_ne_u32_e32 vcc, s7, v11
	v_mov_b32_e32 v25, 0x7f80
	s_and_saveexec_b64 s[12:13], vcc
	s_cbranch_execz .LBB866_543
; %bb.542:
	v_and_b32_e32 v25, 7, v10
	v_ffbh_u32_e32 v28, v25
	v_min_u32_e32 v31, 32, v28
	v_subrev_u32_e32 v28, 28, v31
	v_lshlrev_b64 v[28:29], v28, v[10:11]
	v_lshrrev_b32_e32 v30, 3, v11
	v_sub_u32_e32 v29, 29, v31
	v_and_b32_e32 v28, 7, v28
	v_cmp_gt_u32_e32 vcc, 8, v11
	v_cndmask_b32_e32 v11, v30, v29, vcc
	v_cndmask_b32_e32 v25, v25, v28, vcc
	v_lshlrev_b32_e32 v10, 24, v10
	v_bfrev_b32_e32 v28, 60
	v_lshlrev_b32_e32 v25, 20, v25
	v_and_b32_e32 v10, 0x80000000, v10
	v_lshl_add_u32 v11, v11, 23, v28
	v_or3_b32 v10, v10, v11, v25
	v_lshrrev_b32_e32 v25, 16, v10
.LBB866_543:
	s_or_b64 exec, exec, s[12:13]
.LBB866_544:
	s_or_b64 exec, exec, s[10:11]
.LBB866_545:
	s_or_b64 exec, exec, s[8:9]
	s_mov_b32 s7, 0x5040100
	v_perm_b32 v11, v21, v23, s7
	v_perm_b32 v10, v19, v20, s7
	ds_read_b128 v[28:31], v22 offset:2048
	v_perm_b32 v21, v25, v27, s7
	v_perm_b32 v20, v18, v24, s7
	s_waitcnt lgkmcnt(0)
	v_mfma_f32_16x16x16bf16_1k v[14:17], v[10:11], v[28:29], v[14:17]
	v_mov_b32_e32 v11, 0
	v_cmp_ne_u16_sdwa s[10:11], v12, v11 src0_sel:BYTE_0 src1_sel:DWORD
	v_mov_b32_e32 v18, 0
	v_mfma_f32_16x16x16bf16_1k v[14:17], v[20:21], v[30:31], v[14:17]
	s_and_saveexec_b64 s[8:9], s[10:11]
	s_cbranch_execz .LBB866_551
; %bb.546:
	s_movk_i32 s7, 0x80
	v_cmp_ne_u16_sdwa s[12:13], v12, s7 src0_sel:BYTE_0 src1_sel:DWORD
	v_mov_b32_e32 v18, 0xffff8000
	s_and_saveexec_b64 s[10:11], s[12:13]
	s_cbranch_execz .LBB866_550
; %bb.547:
	s_movk_i32 s7, 0x7f
	v_and_b32_e32 v10, 0x7f, v12
	v_cmp_ne_u32_e32 vcc, s7, v10
	v_mov_b32_e32 v18, 0x7f80
	s_and_saveexec_b64 s[12:13], vcc
	s_cbranch_execz .LBB866_549
; %bb.548:
	v_and_b32_e32 v20, 7, v12
	v_ffbh_u32_e32 v18, v20
	v_min_u32_e32 v23, 32, v18
	v_subrev_u32_e32 v18, 28, v23
	v_lshlrev_b64 v[18:19], v18, v[12:13]
	v_lshrrev_b32_e32 v21, 3, v10
	v_sub_u32_e32 v19, 29, v23
	v_and_b32_e32 v18, 7, v18
	v_cmp_gt_u32_e32 vcc, 8, v10
	v_cndmask_b32_e32 v10, v21, v19, vcc
	v_cndmask_b32_e32 v18, v20, v18, vcc
	v_lshlrev_b32_e32 v19, 24, v12
	v_bfrev_b32_e32 v20, 60
	v_lshlrev_b32_e32 v18, 20, v18
	v_and_b32_e32 v19, 0x80000000, v19
	v_lshl_add_u32 v10, v10, 23, v20
	v_or3_b32 v10, v19, v10, v18
	v_lshrrev_b32_e32 v18, 16, v10
.LBB866_549:
	s_or_b64 exec, exec, s[12:13]
.LBB866_550:
	s_or_b64 exec, exec, s[10:11]
.LBB866_551:
	s_or_b64 exec, exec, s[8:9]
	v_lshrrev_b16_e32 v10, 8, v12
	v_cmp_ne_u16_e32 vcc, 0, v10
	s_and_saveexec_b64 s[8:9], vcc
	s_cbranch_execz .LBB866_557
; %bb.552:
	s_movk_i32 s7, 0x80
	v_cmp_ne_u16_e32 vcc, s7, v10
	v_mov_b32_e32 v11, 0xffff8000
	s_and_saveexec_b64 s[10:11], vcc
	s_cbranch_execz .LBB866_556
; %bb.553:
	s_movk_i32 s7, 0x7f
	v_and_b32_e32 v19, 0x7f, v10
	v_cmp_ne_u32_e32 vcc, s7, v19
	v_mov_b32_e32 v11, 0x7f80
	s_and_saveexec_b64 s[12:13], vcc
	s_cbranch_execz .LBB866_555
; %bb.554:
	v_and_b32_e32 v20, 7, v10
	v_ffbh_u32_e32 v11, v20
	v_min_u32_e32 v23, 32, v11
	v_subrev_u32_e32 v11, 28, v23
	v_lshlrev_b64 v[10:11], v11, v[10:11]
	v_lshrrev_b32_e32 v21, 3, v19
	v_sub_u32_e32 v11, 29, v23
	v_and_b32_e32 v10, 7, v10
	v_cmp_gt_u32_e32 vcc, 8, v19
	v_cndmask_b32_e32 v11, v21, v11, vcc
	v_cndmask_b32_e32 v10, v20, v10, vcc
	v_lshlrev_b32_e32 v19, 16, v12
	v_bfrev_b32_e32 v20, 60
	v_lshlrev_b32_e32 v10, 20, v10
	v_and_b32_e32 v19, 0x80000000, v19
	v_lshl_add_u32 v11, v11, 23, v20
	v_or3_b32 v10, v19, v11, v10
	v_lshrrev_b32_e32 v11, 16, v10
.LBB866_555:
	s_or_b64 exec, exec, s[12:13]
.LBB866_556:
	s_or_b64 exec, exec, s[10:11]
.LBB866_557:
	s_or_b64 exec, exec, s[8:9]
	s_movk_i32 s7, 0xff
	v_and_b32_sdwa v21, v12, s7 dst_sel:DWORD dst_unused:UNUSED_PAD src0_sel:WORD_1 src1_sel:DWORD
	v_lshrrev_b32_e32 v10, 16, v12
	v_cmp_ne_u16_e32 vcc, 0, v21
	v_mov_b32_e32 v19, 0
	v_mov_b32_e32 v20, 0
	s_and_saveexec_b64 s[8:9], vcc
	s_cbranch_execz .LBB866_563
; %bb.558:
	s_movk_i32 s7, 0x80
	v_cmp_ne_u16_e32 vcc, s7, v21
	v_mov_b32_e32 v20, 0xffff8000
	s_and_saveexec_b64 s[10:11], vcc
	s_cbranch_execz .LBB866_562
; %bb.559:
	v_bfe_u32 v21, v12, 16, 7
	s_movk_i32 s7, 0x7f
	v_cmp_ne_u32_e32 vcc, s7, v21
	v_mov_b32_e32 v20, 0x7f80
	s_and_saveexec_b64 s[12:13], vcc
	s_cbranch_execz .LBB866_561
; %bb.560:
	v_and_b32_e32 v20, 7, v10
	v_ffbh_u32_e32 v24, v20
	v_min_u32_e32 v27, 32, v24
	v_subrev_u32_e32 v24, 28, v27
	v_lshlrev_b64 v[24:25], v24, v[10:11]
	v_lshrrev_b32_e32 v23, 3, v21
	v_sub_u32_e32 v10, 29, v27
	v_and_b32_e32 v24, 7, v24
	v_cmp_gt_u32_e32 vcc, 8, v21
	v_mov_b32_e32 v21, 24
	v_cndmask_b32_e32 v10, v23, v10, vcc
	v_cndmask_b32_e32 v20, v20, v24, vcc
	v_lshlrev_b32_sdwa v21, v21, v12 dst_sel:DWORD dst_unused:UNUSED_PAD src0_sel:DWORD src1_sel:WORD_1
	v_bfrev_b32_e32 v23, 60
	v_lshlrev_b32_e32 v20, 20, v20
	v_and_b32_e32 v21, 0x80000000, v21
	v_lshl_add_u32 v10, v10, 23, v23
	v_or3_b32 v10, v21, v10, v20
	v_lshrrev_b32_e32 v20, 16, v10
.LBB866_561:
	s_or_b64 exec, exec, s[12:13]
.LBB866_562:
	s_or_b64 exec, exec, s[10:11]
.LBB866_563:
	s_or_b64 exec, exec, s[8:9]
	s_mov_b32 s7, 0xffffff
	v_cmp_lt_u32_e32 vcc, s7, v12
	s_and_saveexec_b64 s[8:9], vcc
	s_cbranch_execz .LBB866_569
; %bb.564:
	v_lshrrev_b32_e32 v10, 24, v12
	s_movk_i32 s7, 0x80
	v_cmp_ne_u32_e32 vcc, s7, v10
	v_mov_b32_e32 v19, 0xffff8000
	s_and_saveexec_b64 s[10:11], vcc
	s_cbranch_execz .LBB866_568
; %bb.565:
	v_bfe_u32 v12, v12, 24, 7
	s_movk_i32 s7, 0x7f
	v_cmp_ne_u32_e32 vcc, s7, v12
	v_mov_b32_e32 v19, 0x7f80
	s_and_saveexec_b64 s[12:13], vcc
	s_cbranch_execz .LBB866_567
; %bb.566:
	v_and_b32_e32 v19, 7, v10
	v_ffbh_u32_e32 v23, v19
	v_min_u32_e32 v23, 32, v23
	v_subrev_u32_e32 v24, 28, v23
	v_lshlrev_b64 v[24:25], v24, v[10:11]
	v_lshrrev_b32_e32 v21, 3, v12
	v_sub_u32_e32 v23, 29, v23
	v_and_b32_e32 v24, 7, v24
	v_cmp_gt_u32_e32 vcc, 8, v12
	v_cndmask_b32_e32 v12, v21, v23, vcc
	v_cndmask_b32_e32 v19, v19, v24, vcc
	v_lshlrev_b32_e32 v10, 24, v10
	v_bfrev_b32_e32 v21, 60
	v_lshlrev_b32_e32 v19, 20, v19
	v_and_b32_e32 v10, 0x80000000, v10
	v_lshl_add_u32 v12, v12, 23, v21
	v_or3_b32 v10, v10, v12, v19
	v_lshrrev_b32_e32 v19, 16, v10
.LBB866_567:
	s_or_b64 exec, exec, s[12:13]
.LBB866_568:
	s_or_b64 exec, exec, s[10:11]
.LBB866_569:
	s_or_b64 exec, exec, s[8:9]
	v_mov_b32_e32 v12, 0
	v_cmp_ne_u16_sdwa s[10:11], v13, v12 src0_sel:BYTE_0 src1_sel:DWORD
	v_mov_b32_e32 v21, 0
	s_and_saveexec_b64 s[8:9], s[10:11]
	s_cbranch_execz .LBB866_575
; %bb.570:
	s_movk_i32 s7, 0x80
	v_cmp_ne_u16_sdwa s[12:13], v13, s7 src0_sel:BYTE_0 src1_sel:DWORD
	v_mov_b32_e32 v21, 0xffff8000
	s_and_saveexec_b64 s[10:11], s[12:13]
	s_cbranch_execz .LBB866_574
; %bb.571:
	s_movk_i32 s7, 0x7f
	v_and_b32_e32 v10, 0x7f, v13
	v_cmp_ne_u32_e32 vcc, s7, v10
	v_mov_b32_e32 v21, 0x7f80
	s_and_saveexec_b64 s[12:13], vcc
	s_cbranch_execz .LBB866_573
; %bb.572:
	v_and_b32_e32 v21, 7, v13
	v_ffbh_u32_e32 v25, v21
	v_min_u32_e32 v27, 32, v25
	v_mov_b32_e32 v24, v13
	v_subrev_u32_e32 v25, 28, v27
	v_lshlrev_b64 v[24:25], v25, v[24:25]
	v_lshrrev_b32_e32 v23, 3, v10
	v_sub_u32_e32 v25, 29, v27
	v_and_b32_e32 v24, 7, v24
	v_cmp_gt_u32_e32 vcc, 8, v10
	v_cndmask_b32_e32 v10, v23, v25, vcc
	v_cndmask_b32_e32 v21, v21, v24, vcc
	v_lshlrev_b32_e32 v23, 24, v13
	v_bfrev_b32_e32 v24, 60
	v_lshlrev_b32_e32 v21, 20, v21
	v_and_b32_e32 v23, 0x80000000, v23
	v_lshl_add_u32 v10, v10, 23, v24
	v_or3_b32 v10, v23, v10, v21
	v_lshrrev_b32_e32 v21, 16, v10
.LBB866_573:
	s_or_b64 exec, exec, s[12:13]
.LBB866_574:
	s_or_b64 exec, exec, s[10:11]
.LBB866_575:
	s_or_b64 exec, exec, s[8:9]
	v_lshrrev_b16_e32 v10, 8, v13
	v_cmp_ne_u16_e32 vcc, 0, v10
	s_and_saveexec_b64 s[8:9], vcc
	s_cbranch_execz .LBB866_581
; %bb.576:
	s_movk_i32 s7, 0x80
	v_cmp_ne_u16_e32 vcc, s7, v10
	v_mov_b32_e32 v12, 0xffff8000
	s_and_saveexec_b64 s[10:11], vcc
	s_cbranch_execz .LBB866_580
; %bb.577:
	s_movk_i32 s7, 0x7f
	v_and_b32_e32 v23, 0x7f, v10
	v_cmp_ne_u32_e32 vcc, s7, v23
	v_mov_b32_e32 v12, 0x7f80
	s_and_saveexec_b64 s[12:13], vcc
	s_cbranch_execz .LBB866_579
; %bb.578:
	v_and_b32_e32 v12, 7, v10
	v_ffbh_u32_e32 v24, v12
	v_min_u32_e32 v28, 32, v24
	v_subrev_u32_e32 v24, 28, v28
	v_lshlrev_b64 v[24:25], v24, v[10:11]
	v_lshrrev_b32_e32 v27, 3, v23
	v_sub_u32_e32 v10, 29, v28
	v_and_b32_e32 v24, 7, v24
	v_cmp_gt_u32_e32 vcc, 8, v23
	v_cndmask_b32_e32 v10, v27, v10, vcc
	v_cndmask_b32_e32 v12, v12, v24, vcc
	v_lshlrev_b32_e32 v23, 16, v13
	v_bfrev_b32_e32 v24, 60
	v_lshlrev_b32_e32 v12, 20, v12
	v_and_b32_e32 v23, 0x80000000, v23
	v_lshl_add_u32 v10, v10, 23, v24
	v_or3_b32 v10, v23, v10, v12
	v_lshrrev_b32_e32 v12, 16, v10
.LBB866_579:
	s_or_b64 exec, exec, s[12:13]
.LBB866_580:
	s_or_b64 exec, exec, s[10:11]
.LBB866_581:
	s_or_b64 exec, exec, s[8:9]
	s_movk_i32 s7, 0xff
	v_and_b32_sdwa v25, v13, s7 dst_sel:DWORD dst_unused:UNUSED_PAD src0_sel:WORD_1 src1_sel:DWORD
	v_lshrrev_b32_e32 v10, 16, v13
	v_cmp_ne_u16_e32 vcc, 0, v25
	v_mov_b32_e32 v23, 0
	v_mov_b32_e32 v24, 0
	s_and_saveexec_b64 s[8:9], vcc
	s_cbranch_execz .LBB866_587
; %bb.582:
	s_movk_i32 s7, 0x80
	v_cmp_ne_u16_e32 vcc, s7, v25
	v_mov_b32_e32 v24, 0xffff8000
	s_and_saveexec_b64 s[10:11], vcc
	s_cbranch_execz .LBB866_586
; %bb.583:
	v_bfe_u32 v25, v13, 16, 7
	s_movk_i32 s7, 0x7f
	v_cmp_ne_u32_e32 vcc, s7, v25
	v_mov_b32_e32 v24, 0x7f80
	s_and_saveexec_b64 s[12:13], vcc
	s_cbranch_execz .LBB866_585
; %bb.584:
	v_and_b32_e32 v24, 7, v10
	v_ffbh_u32_e32 v28, v24
	v_min_u32_e32 v30, 32, v28
	v_subrev_u32_e32 v28, 28, v30
	v_lshlrev_b64 v[28:29], v28, v[10:11]
	v_lshrrev_b32_e32 v27, 3, v25
	v_sub_u32_e32 v10, 29, v30
	v_and_b32_e32 v28, 7, v28
	v_cmp_gt_u32_e32 vcc, 8, v25
	v_mov_b32_e32 v25, 24
	v_cndmask_b32_e32 v10, v27, v10, vcc
	v_cndmask_b32_e32 v24, v24, v28, vcc
	v_lshlrev_b32_sdwa v25, v25, v13 dst_sel:DWORD dst_unused:UNUSED_PAD src0_sel:DWORD src1_sel:WORD_1
	v_bfrev_b32_e32 v27, 60
	v_lshlrev_b32_e32 v24, 20, v24
	v_and_b32_e32 v25, 0x80000000, v25
	v_lshl_add_u32 v10, v10, 23, v27
	v_or3_b32 v10, v25, v10, v24
	v_lshrrev_b32_e32 v24, 16, v10
.LBB866_585:
	s_or_b64 exec, exec, s[12:13]
.LBB866_586:
	s_or_b64 exec, exec, s[10:11]
.LBB866_587:
	s_or_b64 exec, exec, s[8:9]
	s_mov_b32 s7, 0xffffff
	v_cmp_lt_u32_e32 vcc, s7, v13
	s_and_saveexec_b64 s[8:9], vcc
	s_cbranch_execz .LBB866_593
; %bb.588:
	v_lshrrev_b32_e32 v10, 24, v13
	s_movk_i32 s7, 0x80
	v_cmp_ne_u32_e32 vcc, s7, v10
	v_mov_b32_e32 v23, 0xffff8000
	s_and_saveexec_b64 s[10:11], vcc
	s_cbranch_execz .LBB866_592
; %bb.589:
	v_bfe_u32 v13, v13, 24, 7
	s_movk_i32 s7, 0x7f
	v_cmp_ne_u32_e32 vcc, s7, v13
	v_mov_b32_e32 v23, 0x7f80
	s_and_saveexec_b64 s[12:13], vcc
	s_cbranch_execz .LBB866_591
; %bb.590:
	v_and_b32_e32 v23, 7, v10
	v_ffbh_u32_e32 v27, v23
	v_min_u32_e32 v27, 32, v27
	v_subrev_u32_e32 v28, 28, v27
	v_lshlrev_b64 v[28:29], v28, v[10:11]
	v_lshrrev_b32_e32 v25, 3, v13
	v_sub_u32_e32 v27, 29, v27
	v_and_b32_e32 v28, 7, v28
	v_cmp_gt_u32_e32 vcc, 8, v13
	v_cndmask_b32_e32 v13, v25, v27, vcc
	v_cndmask_b32_e32 v23, v23, v28, vcc
	v_lshlrev_b32_e32 v10, 24, v10
	v_bfrev_b32_e32 v25, 60
	v_lshlrev_b32_e32 v23, 20, v23
	v_and_b32_e32 v10, 0x80000000, v10
	v_lshl_add_u32 v13, v13, 23, v25
	v_or3_b32 v10, v10, v13, v23
	v_lshrrev_b32_e32 v23, 16, v10
.LBB866_591:
	s_or_b64 exec, exec, s[12:13]
.LBB866_592:
	s_or_b64 exec, exec, s[10:11]
.LBB866_593:
	s_or_b64 exec, exec, s[8:9]
	s_mov_b32 s7, 0x5040100
	v_perm_b32 v19, v19, v20, s7
	v_perm_b32 v18, v11, v18, s7
	ds_read_b128 v[28:31], v22 offset:2064
	v_perm_b32 v11, v23, v24, s7
	v_perm_b32 v10, v12, v21, s7
	s_waitcnt lgkmcnt(0)
	v_mfma_f32_16x16x16bf16_1k v[32:35], v[18:19], v[28:29], v[14:17]
	s_nop 6
	v_mov_b32_e32 v15, 0
	s_waitcnt vmcnt(1)
	v_cmp_ne_u16_sdwa s[10:11], v6, v15 src0_sel:BYTE_0 src1_sel:DWORD
	v_mfma_f32_16x16x16bf16_1k v[10:13], v[10:11], v[30:31], v[32:35]
	v_mov_b32_e32 v16, 0
	s_and_saveexec_b64 s[8:9], s[10:11]
	s_cbranch_execz .LBB866_599
; %bb.594:
	s_movk_i32 s7, 0x80
	v_cmp_ne_u16_sdwa s[12:13], v6, s7 src0_sel:BYTE_0 src1_sel:DWORD
	v_mov_b32_e32 v16, 0xffff8000
	s_and_saveexec_b64 s[10:11], s[12:13]
	s_cbranch_execz .LBB866_598
; %bb.595:
	s_movk_i32 s7, 0x7f
	v_and_b32_e32 v14, 0x7f, v6
	v_cmp_ne_u32_e32 vcc, s7, v14
	v_mov_b32_e32 v16, 0x7f80
	s_and_saveexec_b64 s[12:13], vcc
	s_cbranch_execz .LBB866_597
; %bb.596:
	v_and_b32_e32 v18, 7, v6
	v_ffbh_u32_e32 v16, v18
	v_min_u32_e32 v20, 32, v16
	v_subrev_u32_e32 v16, 28, v20
	v_lshlrev_b64 v[16:17], v16, v[6:7]
	v_lshrrev_b32_e32 v19, 3, v14
	v_sub_u32_e32 v17, 29, v20
	v_and_b32_e32 v16, 7, v16
	v_cmp_gt_u32_e32 vcc, 8, v14
	v_cndmask_b32_e32 v14, v19, v17, vcc
	v_cndmask_b32_e32 v16, v18, v16, vcc
	v_lshlrev_b32_e32 v17, 24, v6
	v_bfrev_b32_e32 v18, 60
	v_lshlrev_b32_e32 v16, 20, v16
	v_and_b32_e32 v17, 0x80000000, v17
	v_lshl_add_u32 v14, v14, 23, v18
	v_or3_b32 v14, v17, v14, v16
	v_lshrrev_b32_e32 v16, 16, v14
.LBB866_597:
	s_or_b64 exec, exec, s[12:13]
.LBB866_598:
	s_or_b64 exec, exec, s[10:11]
.LBB866_599:
	s_or_b64 exec, exec, s[8:9]
	v_lshrrev_b16_e32 v14, 8, v6
	v_cmp_ne_u16_e32 vcc, 0, v14
	s_and_saveexec_b64 s[8:9], vcc
	s_cbranch_execz .LBB866_605
; %bb.600:
	s_movk_i32 s7, 0x80
	v_cmp_ne_u16_e32 vcc, s7, v14
	v_mov_b32_e32 v15, 0xffff8000
	s_and_saveexec_b64 s[10:11], vcc
	s_cbranch_execz .LBB866_604
; %bb.601:
	s_movk_i32 s7, 0x7f
	v_and_b32_e32 v17, 0x7f, v14
	v_cmp_ne_u32_e32 vcc, s7, v17
	v_mov_b32_e32 v15, 0x7f80
	s_and_saveexec_b64 s[12:13], vcc
	s_cbranch_execz .LBB866_603
; %bb.602:
	v_and_b32_e32 v18, 7, v14
	v_ffbh_u32_e32 v15, v18
	v_min_u32_e32 v20, 32, v15
	v_subrev_u32_e32 v15, 28, v20
	v_lshlrev_b64 v[14:15], v15, v[14:15]
	v_lshrrev_b32_e32 v19, 3, v17
	v_sub_u32_e32 v15, 29, v20
	v_and_b32_e32 v14, 7, v14
	v_cmp_gt_u32_e32 vcc, 8, v17
	v_cndmask_b32_e32 v15, v19, v15, vcc
	v_cndmask_b32_e32 v14, v18, v14, vcc
	v_lshlrev_b32_e32 v17, 16, v6
	v_bfrev_b32_e32 v18, 60
	v_lshlrev_b32_e32 v14, 20, v14
	v_and_b32_e32 v17, 0x80000000, v17
	v_lshl_add_u32 v15, v15, 23, v18
	v_or3_b32 v14, v17, v15, v14
	v_lshrrev_b32_e32 v15, 16, v14
.LBB866_603:
	s_or_b64 exec, exec, s[12:13]
.LBB866_604:
	s_or_b64 exec, exec, s[10:11]
.LBB866_605:
	s_or_b64 exec, exec, s[8:9]
	s_movk_i32 s7, 0xff
	v_and_b32_sdwa v19, v6, s7 dst_sel:DWORD dst_unused:UNUSED_PAD src0_sel:WORD_1 src1_sel:DWORD
	v_lshrrev_b32_e32 v14, 16, v6
	v_cmp_ne_u16_e32 vcc, 0, v19
	v_mov_b32_e32 v17, 0
	v_mov_b32_e32 v18, 0
	s_and_saveexec_b64 s[8:9], vcc
	s_cbranch_execz .LBB866_611
; %bb.606:
	s_movk_i32 s7, 0x80
	v_cmp_ne_u16_e32 vcc, s7, v19
	v_mov_b32_e32 v18, 0xffff8000
	s_and_saveexec_b64 s[10:11], vcc
	s_cbranch_execz .LBB866_610
; %bb.607:
	v_bfe_u32 v19, v6, 16, 7
	s_movk_i32 s7, 0x7f
	v_cmp_ne_u32_e32 vcc, s7, v19
	v_mov_b32_e32 v18, 0x7f80
	s_and_saveexec_b64 s[12:13], vcc
	s_cbranch_execz .LBB866_609
; %bb.608:
	v_and_b32_e32 v18, 7, v14
	v_ffbh_u32_e32 v20, v18
	v_min_u32_e32 v24, 32, v20
	v_subrev_u32_e32 v20, 28, v24
	v_lshlrev_b64 v[20:21], v20, v[14:15]
	v_lshrrev_b32_e32 v23, 3, v19
	v_sub_u32_e32 v14, 29, v24
	v_and_b32_e32 v20, 7, v20
	v_cmp_gt_u32_e32 vcc, 8, v19
	v_mov_b32_e32 v19, 24
	v_cndmask_b32_e32 v14, v23, v14, vcc
	v_cndmask_b32_e32 v18, v18, v20, vcc
	v_lshlrev_b32_sdwa v19, v19, v6 dst_sel:DWORD dst_unused:UNUSED_PAD src0_sel:DWORD src1_sel:WORD_1
	v_bfrev_b32_e32 v20, 60
	v_lshlrev_b32_e32 v18, 20, v18
	v_and_b32_e32 v19, 0x80000000, v19
	v_lshl_add_u32 v14, v14, 23, v20
	v_or3_b32 v14, v19, v14, v18
	v_lshrrev_b32_e32 v18, 16, v14
.LBB866_609:
	s_or_b64 exec, exec, s[12:13]
.LBB866_610:
	s_or_b64 exec, exec, s[10:11]
.LBB866_611:
	s_or_b64 exec, exec, s[8:9]
	s_mov_b32 s7, 0xffffff
	v_cmp_lt_u32_e32 vcc, s7, v6
	s_and_saveexec_b64 s[8:9], vcc
	s_cbranch_execz .LBB866_617
; %bb.612:
	v_lshrrev_b32_e32 v14, 24, v6
	s_movk_i32 s7, 0x80
	v_cmp_ne_u32_e32 vcc, s7, v14
	v_mov_b32_e32 v17, 0xffff8000
	s_and_saveexec_b64 s[10:11], vcc
	s_cbranch_execz .LBB866_616
; %bb.613:
	v_bfe_u32 v6, v6, 24, 7
	s_movk_i32 s7, 0x7f
	v_cmp_ne_u32_e32 vcc, s7, v6
	v_mov_b32_e32 v17, 0x7f80
	s_and_saveexec_b64 s[12:13], vcc
	s_cbranch_execz .LBB866_615
; %bb.614:
	v_and_b32_e32 v17, 7, v14
	v_ffbh_u32_e32 v20, v17
	v_min_u32_e32 v23, 32, v20
	v_subrev_u32_e32 v20, 28, v23
	v_lshlrev_b64 v[20:21], v20, v[14:15]
	v_lshrrev_b32_e32 v19, 3, v6
	v_sub_u32_e32 v21, 29, v23
	v_and_b32_e32 v20, 7, v20
	v_cmp_gt_u32_e32 vcc, 8, v6
	v_cndmask_b32_e32 v6, v19, v21, vcc
	v_cndmask_b32_e32 v17, v17, v20, vcc
	v_lshlrev_b32_e32 v14, 24, v14
	v_bfrev_b32_e32 v19, 60
	v_lshlrev_b32_e32 v17, 20, v17
	v_and_b32_e32 v14, 0x80000000, v14
	v_lshl_add_u32 v6, v6, 23, v19
	v_or3_b32 v6, v14, v6, v17
	v_lshrrev_b32_e32 v17, 16, v6
.LBB866_615:
	s_or_b64 exec, exec, s[12:13]
.LBB866_616:
	s_or_b64 exec, exec, s[10:11]
.LBB866_617:
	s_or_b64 exec, exec, s[8:9]
	v_mov_b32_e32 v14, 0
	v_cmp_ne_u16_sdwa s[10:11], v7, v14 src0_sel:BYTE_0 src1_sel:DWORD
	v_mov_b32_e32 v19, 0
	s_and_saveexec_b64 s[8:9], s[10:11]
	s_cbranch_execz .LBB866_623
; %bb.618:
	s_movk_i32 s7, 0x80
	v_cmp_ne_u16_sdwa s[12:13], v7, s7 src0_sel:BYTE_0 src1_sel:DWORD
	v_mov_b32_e32 v19, 0xffff8000
	s_and_saveexec_b64 s[10:11], s[12:13]
	s_cbranch_execz .LBB866_622
; %bb.619:
	s_movk_i32 s7, 0x7f
	v_and_b32_e32 v6, 0x7f, v7
	v_cmp_ne_u32_e32 vcc, s7, v6
	v_mov_b32_e32 v19, 0x7f80
	s_and_saveexec_b64 s[12:13], vcc
	s_cbranch_execz .LBB866_621
; %bb.620:
	v_and_b32_e32 v19, 7, v7
	v_ffbh_u32_e32 v21, v19
	v_min_u32_e32 v24, 32, v21
	v_mov_b32_e32 v20, v7
	v_subrev_u32_e32 v21, 28, v24
	v_lshlrev_b64 v[20:21], v21, v[20:21]
	v_lshrrev_b32_e32 v23, 3, v6
	v_sub_u32_e32 v21, 29, v24
	v_and_b32_e32 v20, 7, v20
	v_cmp_gt_u32_e32 vcc, 8, v6
	v_cndmask_b32_e32 v6, v23, v21, vcc
	v_cndmask_b32_e32 v19, v19, v20, vcc
	v_lshlrev_b32_e32 v20, 24, v7
	v_bfrev_b32_e32 v21, 60
	v_lshlrev_b32_e32 v19, 20, v19
	v_and_b32_e32 v20, 0x80000000, v20
	v_lshl_add_u32 v6, v6, 23, v21
	v_or3_b32 v6, v20, v6, v19
	v_lshrrev_b32_e32 v19, 16, v6
.LBB866_621:
	s_or_b64 exec, exec, s[12:13]
.LBB866_622:
	s_or_b64 exec, exec, s[10:11]
.LBB866_623:
	s_or_b64 exec, exec, s[8:9]
	v_lshrrev_b16_e32 v6, 8, v7
	v_cmp_ne_u16_e32 vcc, 0, v6
	s_and_saveexec_b64 s[8:9], vcc
	s_cbranch_execz .LBB866_629
; %bb.624:
	s_movk_i32 s7, 0x80
	v_cmp_ne_u16_e32 vcc, s7, v6
	v_mov_b32_e32 v14, 0xffff8000
	s_and_saveexec_b64 s[10:11], vcc
	s_cbranch_execz .LBB866_628
; %bb.625:
	s_movk_i32 s7, 0x7f
	v_and_b32_e32 v20, 0x7f, v6
	v_cmp_ne_u32_e32 vcc, s7, v20
	v_mov_b32_e32 v14, 0x7f80
	s_and_saveexec_b64 s[12:13], vcc
	s_cbranch_execz .LBB866_627
; %bb.626:
	v_and_b32_e32 v14, 7, v6
	v_ffbh_u32_e32 v23, v14
	v_min_u32_e32 v23, 32, v23
	v_subrev_u32_e32 v24, 28, v23
	v_lshlrev_b64 v[24:25], v24, v[6:7]
	v_lshrrev_b32_e32 v21, 3, v20
	v_sub_u32_e32 v6, 29, v23
	v_and_b32_e32 v23, 7, v24
	v_cmp_gt_u32_e32 vcc, 8, v20
	v_cndmask_b32_e32 v6, v21, v6, vcc
	v_cndmask_b32_e32 v14, v14, v23, vcc
	v_lshlrev_b32_e32 v20, 16, v7
	v_bfrev_b32_e32 v21, 60
	v_lshlrev_b32_e32 v14, 20, v14
	v_and_b32_e32 v20, 0x80000000, v20
	v_lshl_add_u32 v6, v6, 23, v21
	v_or3_b32 v6, v20, v6, v14
	v_lshrrev_b32_e32 v14, 16, v6
.LBB866_627:
	s_or_b64 exec, exec, s[12:13]
.LBB866_628:
	s_or_b64 exec, exec, s[10:11]
.LBB866_629:
	s_or_b64 exec, exec, s[8:9]
	s_movk_i32 s7, 0xff
	v_and_b32_sdwa v23, v7, s7 dst_sel:DWORD dst_unused:UNUSED_PAD src0_sel:WORD_1 src1_sel:DWORD
	v_lshrrev_b32_e32 v6, 16, v7
	v_cmp_ne_u16_e32 vcc, 0, v23
	v_mov_b32_e32 v20, 0
	v_mov_b32_e32 v21, 0
	s_and_saveexec_b64 s[8:9], vcc
	s_cbranch_execz .LBB866_635
; %bb.630:
	s_movk_i32 s7, 0x80
	v_cmp_ne_u16_e32 vcc, s7, v23
	v_mov_b32_e32 v21, 0xffff8000
	s_and_saveexec_b64 s[10:11], vcc
	s_cbranch_execz .LBB866_634
; %bb.631:
	v_bfe_u32 v23, v7, 16, 7
	s_movk_i32 s7, 0x7f
	v_cmp_ne_u32_e32 vcc, s7, v23
	v_mov_b32_e32 v21, 0x7f80
	s_and_saveexec_b64 s[12:13], vcc
	s_cbranch_execz .LBB866_633
; %bb.632:
	v_and_b32_e32 v21, 7, v6
	v_ffbh_u32_e32 v24, v21
	v_min_u32_e32 v28, 32, v24
	v_subrev_u32_e32 v24, 28, v28
	v_lshlrev_b64 v[24:25], v24, v[6:7]
	v_lshrrev_b32_e32 v27, 3, v23
	v_sub_u32_e32 v6, 29, v28
	v_and_b32_e32 v24, 7, v24
	v_cmp_gt_u32_e32 vcc, 8, v23
	v_mov_b32_e32 v23, 24
	v_cndmask_b32_e32 v6, v27, v6, vcc
	v_cndmask_b32_e32 v21, v21, v24, vcc
	v_lshlrev_b32_sdwa v23, v23, v7 dst_sel:DWORD dst_unused:UNUSED_PAD src0_sel:DWORD src1_sel:WORD_1
	v_bfrev_b32_e32 v24, 60
	v_lshlrev_b32_e32 v21, 20, v21
	v_and_b32_e32 v23, 0x80000000, v23
	v_lshl_add_u32 v6, v6, 23, v24
	v_or3_b32 v6, v23, v6, v21
	v_lshrrev_b32_e32 v21, 16, v6
.LBB866_633:
	s_or_b64 exec, exec, s[12:13]
.LBB866_634:
	s_or_b64 exec, exec, s[10:11]
.LBB866_635:
	s_or_b64 exec, exec, s[8:9]
	s_mov_b32 s7, 0xffffff
	v_cmp_lt_u32_e32 vcc, s7, v7
	s_and_saveexec_b64 s[8:9], vcc
	s_cbranch_execz .LBB866_641
; %bb.636:
	v_lshrrev_b32_e32 v6, 24, v7
	s_movk_i32 s7, 0x80
	v_cmp_ne_u32_e32 vcc, s7, v6
	v_mov_b32_e32 v20, 0xffff8000
	s_and_saveexec_b64 s[10:11], vcc
	s_cbranch_execz .LBB866_640
; %bb.637:
	v_bfe_u32 v7, v7, 24, 7
	s_movk_i32 s7, 0x7f
	v_cmp_ne_u32_e32 vcc, s7, v7
	v_mov_b32_e32 v20, 0x7f80
	s_and_saveexec_b64 s[12:13], vcc
	s_cbranch_execz .LBB866_639
; %bb.638:
	v_and_b32_e32 v20, 7, v6
	v_ffbh_u32_e32 v24, v20
	v_min_u32_e32 v27, 32, v24
	v_subrev_u32_e32 v24, 28, v27
	v_lshlrev_b64 v[24:25], v24, v[6:7]
	v_lshrrev_b32_e32 v23, 3, v7
	v_sub_u32_e32 v25, 29, v27
	v_and_b32_e32 v24, 7, v24
	v_cmp_gt_u32_e32 vcc, 8, v7
	v_cndmask_b32_e32 v7, v23, v25, vcc
	v_cndmask_b32_e32 v20, v20, v24, vcc
	v_lshlrev_b32_e32 v6, 24, v6
	v_bfrev_b32_e32 v23, 60
	v_lshlrev_b32_e32 v20, 20, v20
	v_and_b32_e32 v6, 0x80000000, v6
	v_lshl_add_u32 v7, v7, 23, v23
	v_or3_b32 v6, v6, v7, v20
	v_lshrrev_b32_e32 v20, 16, v6
.LBB866_639:
	s_or_b64 exec, exec, s[12:13]
.LBB866_640:
	s_or_b64 exec, exec, s[10:11]
.LBB866_641:
	s_or_b64 exec, exec, s[8:9]
	s_mov_b32 s7, 0x5040100
	v_perm_b32 v7, v17, v18, s7
	v_perm_b32 v6, v15, v16, s7
	ds_read_b128 v[28:31], v22 offset:4096
	v_perm_b32 v17, v20, v21, s7
	v_perm_b32 v16, v14, v19, s7
	s_waitcnt lgkmcnt(0)
	v_mfma_f32_16x16x16bf16_1k v[10:13], v[6:7], v[28:29], v[10:13]
	v_mov_b32_e32 v7, 0
	v_cmp_ne_u16_sdwa s[10:11], v8, v7 src0_sel:BYTE_0 src1_sel:DWORD
	v_mov_b32_e32 v14, 0
	v_mfma_f32_16x16x16bf16_1k v[10:13], v[16:17], v[30:31], v[10:13]
	s_and_saveexec_b64 s[8:9], s[10:11]
	s_cbranch_execz .LBB866_647
; %bb.642:
	s_movk_i32 s7, 0x80
	v_cmp_ne_u16_sdwa s[12:13], v8, s7 src0_sel:BYTE_0 src1_sel:DWORD
	v_mov_b32_e32 v14, 0xffff8000
	s_and_saveexec_b64 s[10:11], s[12:13]
	s_cbranch_execz .LBB866_646
; %bb.643:
	s_movk_i32 s7, 0x7f
	v_and_b32_e32 v6, 0x7f, v8
	v_cmp_ne_u32_e32 vcc, s7, v6
	v_mov_b32_e32 v14, 0x7f80
	s_and_saveexec_b64 s[12:13], vcc
	s_cbranch_execz .LBB866_645
; %bb.644:
	v_and_b32_e32 v16, 7, v8
	v_ffbh_u32_e32 v14, v16
	v_min_u32_e32 v18, 32, v14
	v_subrev_u32_e32 v14, 28, v18
	v_lshlrev_b64 v[14:15], v14, v[8:9]
	v_lshrrev_b32_e32 v17, 3, v6
	v_sub_u32_e32 v15, 29, v18
	v_and_b32_e32 v14, 7, v14
	v_cmp_gt_u32_e32 vcc, 8, v6
	v_cndmask_b32_e32 v6, v17, v15, vcc
	v_cndmask_b32_e32 v14, v16, v14, vcc
	v_lshlrev_b32_e32 v15, 24, v8
	v_bfrev_b32_e32 v16, 60
	v_lshlrev_b32_e32 v14, 20, v14
	v_and_b32_e32 v15, 0x80000000, v15
	v_lshl_add_u32 v6, v6, 23, v16
	v_or3_b32 v6, v15, v6, v14
	v_lshrrev_b32_e32 v14, 16, v6
.LBB866_645:
	s_or_b64 exec, exec, s[12:13]
.LBB866_646:
	s_or_b64 exec, exec, s[10:11]
.LBB866_647:
	s_or_b64 exec, exec, s[8:9]
	v_lshrrev_b16_e32 v6, 8, v8
	v_cmp_ne_u16_e32 vcc, 0, v6
	s_and_saveexec_b64 s[8:9], vcc
	s_cbranch_execz .LBB866_653
; %bb.648:
	s_movk_i32 s7, 0x80
	v_cmp_ne_u16_e32 vcc, s7, v6
	v_mov_b32_e32 v7, 0xffff8000
	s_and_saveexec_b64 s[10:11], vcc
	s_cbranch_execz .LBB866_652
; %bb.649:
	s_movk_i32 s7, 0x7f
	v_and_b32_e32 v15, 0x7f, v6
	v_cmp_ne_u32_e32 vcc, s7, v15
	v_mov_b32_e32 v7, 0x7f80
	s_and_saveexec_b64 s[12:13], vcc
	s_cbranch_execz .LBB866_651
; %bb.650:
	v_and_b32_e32 v16, 7, v6
	v_ffbh_u32_e32 v7, v16
	v_min_u32_e32 v18, 32, v7
	v_subrev_u32_e32 v7, 28, v18
	v_lshlrev_b64 v[6:7], v7, v[6:7]
	v_lshrrev_b32_e32 v17, 3, v15
	v_sub_u32_e32 v7, 29, v18
	v_and_b32_e32 v6, 7, v6
	v_cmp_gt_u32_e32 vcc, 8, v15
	v_cndmask_b32_e32 v7, v17, v7, vcc
	v_cndmask_b32_e32 v6, v16, v6, vcc
	v_lshlrev_b32_e32 v15, 16, v8
	v_bfrev_b32_e32 v16, 60
	v_lshlrev_b32_e32 v6, 20, v6
	v_and_b32_e32 v15, 0x80000000, v15
	v_lshl_add_u32 v7, v7, 23, v16
	v_or3_b32 v6, v15, v7, v6
	v_lshrrev_b32_e32 v7, 16, v6
.LBB866_651:
	s_or_b64 exec, exec, s[12:13]
.LBB866_652:
	s_or_b64 exec, exec, s[10:11]
.LBB866_653:
	s_or_b64 exec, exec, s[8:9]
	s_movk_i32 s7, 0xff
	v_and_b32_sdwa v17, v8, s7 dst_sel:DWORD dst_unused:UNUSED_PAD src0_sel:WORD_1 src1_sel:DWORD
	v_lshrrev_b32_e32 v6, 16, v8
	v_cmp_ne_u16_e32 vcc, 0, v17
	v_mov_b32_e32 v15, 0
	v_mov_b32_e32 v16, 0
	s_and_saveexec_b64 s[8:9], vcc
	s_cbranch_execz .LBB866_659
; %bb.654:
	s_movk_i32 s7, 0x80
	v_cmp_ne_u16_e32 vcc, s7, v17
	v_mov_b32_e32 v16, 0xffff8000
	s_and_saveexec_b64 s[10:11], vcc
	s_cbranch_execz .LBB866_658
; %bb.655:
	v_bfe_u32 v17, v8, 16, 7
	s_movk_i32 s7, 0x7f
	v_cmp_ne_u32_e32 vcc, s7, v17
	v_mov_b32_e32 v16, 0x7f80
	s_and_saveexec_b64 s[12:13], vcc
	s_cbranch_execz .LBB866_657
; %bb.656:
	v_and_b32_e32 v16, 7, v6
	v_ffbh_u32_e32 v18, v16
	v_min_u32_e32 v21, 32, v18
	v_subrev_u32_e32 v18, 28, v21
	v_lshlrev_b64 v[18:19], v18, v[6:7]
	v_lshrrev_b32_e32 v20, 3, v17
	v_sub_u32_e32 v6, 29, v21
	v_and_b32_e32 v18, 7, v18
	v_cmp_gt_u32_e32 vcc, 8, v17
	v_mov_b32_e32 v17, 24
	v_cndmask_b32_e32 v6, v20, v6, vcc
	v_cndmask_b32_e32 v16, v16, v18, vcc
	v_lshlrev_b32_sdwa v17, v17, v8 dst_sel:DWORD dst_unused:UNUSED_PAD src0_sel:DWORD src1_sel:WORD_1
	v_bfrev_b32_e32 v18, 60
	v_lshlrev_b32_e32 v16, 20, v16
	v_and_b32_e32 v17, 0x80000000, v17
	v_lshl_add_u32 v6, v6, 23, v18
	v_or3_b32 v6, v17, v6, v16
	v_lshrrev_b32_e32 v16, 16, v6
.LBB866_657:
	s_or_b64 exec, exec, s[12:13]
.LBB866_658:
	s_or_b64 exec, exec, s[10:11]
.LBB866_659:
	s_or_b64 exec, exec, s[8:9]
	s_mov_b32 s7, 0xffffff
	v_cmp_lt_u32_e32 vcc, s7, v8
	s_and_saveexec_b64 s[8:9], vcc
	s_cbranch_execz .LBB866_665
; %bb.660:
	v_lshrrev_b32_e32 v6, 24, v8
	s_movk_i32 s7, 0x80
	v_cmp_ne_u32_e32 vcc, s7, v6
	v_mov_b32_e32 v15, 0xffff8000
	s_and_saveexec_b64 s[10:11], vcc
	s_cbranch_execz .LBB866_664
; %bb.661:
	v_bfe_u32 v8, v8, 24, 7
	s_movk_i32 s7, 0x7f
	v_cmp_ne_u32_e32 vcc, s7, v8
	v_mov_b32_e32 v15, 0x7f80
	s_and_saveexec_b64 s[12:13], vcc
	s_cbranch_execz .LBB866_663
; %bb.662:
	v_and_b32_e32 v15, 7, v6
	v_ffbh_u32_e32 v18, v15
	v_min_u32_e32 v20, 32, v18
	v_subrev_u32_e32 v18, 28, v20
	v_lshlrev_b64 v[18:19], v18, v[6:7]
	v_lshrrev_b32_e32 v17, 3, v8
	v_sub_u32_e32 v19, 29, v20
	v_and_b32_e32 v18, 7, v18
	v_cmp_gt_u32_e32 vcc, 8, v8
	v_cndmask_b32_e32 v8, v17, v19, vcc
	v_cndmask_b32_e32 v15, v15, v18, vcc
	v_lshlrev_b32_e32 v6, 24, v6
	v_bfrev_b32_e32 v17, 60
	v_lshlrev_b32_e32 v15, 20, v15
	v_and_b32_e32 v6, 0x80000000, v6
	v_lshl_add_u32 v8, v8, 23, v17
	v_or3_b32 v6, v6, v8, v15
	v_lshrrev_b32_e32 v15, 16, v6
.LBB866_663:
	s_or_b64 exec, exec, s[12:13]
.LBB866_664:
	s_or_b64 exec, exec, s[10:11]
.LBB866_665:
	s_or_b64 exec, exec, s[8:9]
	v_mov_b32_e32 v8, 0
	v_cmp_ne_u16_sdwa s[10:11], v9, v8 src0_sel:BYTE_0 src1_sel:DWORD
	v_mov_b32_e32 v17, 0
	s_and_saveexec_b64 s[8:9], s[10:11]
	s_cbranch_execz .LBB866_671
; %bb.666:
	s_movk_i32 s7, 0x80
	v_cmp_ne_u16_sdwa s[12:13], v9, s7 src0_sel:BYTE_0 src1_sel:DWORD
	v_mov_b32_e32 v17, 0xffff8000
	s_and_saveexec_b64 s[10:11], s[12:13]
	s_cbranch_execz .LBB866_670
; %bb.667:
	s_movk_i32 s7, 0x7f
	v_and_b32_e32 v6, 0x7f, v9
	v_cmp_ne_u32_e32 vcc, s7, v6
	v_mov_b32_e32 v17, 0x7f80
	s_and_saveexec_b64 s[12:13], vcc
	s_cbranch_execz .LBB866_669
; %bb.668:
	v_and_b32_e32 v17, 7, v9
	v_ffbh_u32_e32 v19, v17
	v_min_u32_e32 v21, 32, v19
	v_mov_b32_e32 v18, v9
	v_subrev_u32_e32 v19, 28, v21
	v_lshlrev_b64 v[18:19], v19, v[18:19]
	v_lshrrev_b32_e32 v20, 3, v6
	v_sub_u32_e32 v19, 29, v21
	v_and_b32_e32 v18, 7, v18
	v_cmp_gt_u32_e32 vcc, 8, v6
	v_cndmask_b32_e32 v6, v20, v19, vcc
	v_cndmask_b32_e32 v17, v17, v18, vcc
	v_lshlrev_b32_e32 v18, 24, v9
	v_bfrev_b32_e32 v19, 60
	v_lshlrev_b32_e32 v17, 20, v17
	v_and_b32_e32 v18, 0x80000000, v18
	v_lshl_add_u32 v6, v6, 23, v19
	v_or3_b32 v6, v18, v6, v17
	v_lshrrev_b32_e32 v17, 16, v6
.LBB866_669:
	s_or_b64 exec, exec, s[12:13]
.LBB866_670:
	s_or_b64 exec, exec, s[10:11]
.LBB866_671:
	s_or_b64 exec, exec, s[8:9]
	v_lshrrev_b16_e32 v6, 8, v9
	v_cmp_ne_u16_e32 vcc, 0, v6
	s_and_saveexec_b64 s[8:9], vcc
	s_cbranch_execz .LBB866_677
; %bb.672:
	s_movk_i32 s7, 0x80
	v_cmp_ne_u16_e32 vcc, s7, v6
	v_mov_b32_e32 v8, 0xffff8000
	s_and_saveexec_b64 s[10:11], vcc
	s_cbranch_execz .LBB866_676
; %bb.673:
	s_movk_i32 s7, 0x7f
	v_and_b32_e32 v18, 0x7f, v6
	v_cmp_ne_u32_e32 vcc, s7, v18
	v_mov_b32_e32 v8, 0x7f80
	s_and_saveexec_b64 s[12:13], vcc
	s_cbranch_execz .LBB866_675
; %bb.674:
	v_and_b32_e32 v8, 7, v6
	v_ffbh_u32_e32 v20, v8
	v_min_u32_e32 v23, 32, v20
	v_subrev_u32_e32 v20, 28, v23
	v_lshlrev_b64 v[20:21], v20, v[6:7]
	v_lshrrev_b32_e32 v19, 3, v18
	v_sub_u32_e32 v6, 29, v23
	v_and_b32_e32 v20, 7, v20
	v_cmp_gt_u32_e32 vcc, 8, v18
	v_cndmask_b32_e32 v6, v19, v6, vcc
	v_cndmask_b32_e32 v8, v8, v20, vcc
	v_lshlrev_b32_e32 v18, 16, v9
	v_bfrev_b32_e32 v19, 60
	v_lshlrev_b32_e32 v8, 20, v8
	v_and_b32_e32 v18, 0x80000000, v18
	v_lshl_add_u32 v6, v6, 23, v19
	v_or3_b32 v6, v18, v6, v8
	v_lshrrev_b32_e32 v8, 16, v6
.LBB866_675:
	s_or_b64 exec, exec, s[12:13]
.LBB866_676:
	s_or_b64 exec, exec, s[10:11]
.LBB866_677:
	s_or_b64 exec, exec, s[8:9]
	s_movk_i32 s7, 0xff
	v_and_b32_sdwa v20, v9, s7 dst_sel:DWORD dst_unused:UNUSED_PAD src0_sel:WORD_1 src1_sel:DWORD
	v_lshrrev_b32_e32 v6, 16, v9
	v_cmp_ne_u16_e32 vcc, 0, v20
	v_mov_b32_e32 v18, 0
	v_mov_b32_e32 v19, 0
	s_and_saveexec_b64 s[8:9], vcc
	s_cbranch_execz .LBB866_683
; %bb.678:
	s_movk_i32 s7, 0x80
	v_cmp_ne_u16_e32 vcc, s7, v20
	v_mov_b32_e32 v19, 0xffff8000
	s_and_saveexec_b64 s[10:11], vcc
	s_cbranch_execz .LBB866_682
; %bb.679:
	v_bfe_u32 v20, v9, 16, 7
	s_movk_i32 s7, 0x7f
	v_cmp_ne_u32_e32 vcc, s7, v20
	v_mov_b32_e32 v19, 0x7f80
	s_and_saveexec_b64 s[12:13], vcc
	s_cbranch_execz .LBB866_681
; %bb.680:
	v_and_b32_e32 v19, 7, v6
	v_ffbh_u32_e32 v23, v19
	v_min_u32_e32 v23, 32, v23
	v_subrev_u32_e32 v24, 28, v23
	v_lshlrev_b64 v[24:25], v24, v[6:7]
	v_lshrrev_b32_e32 v21, 3, v20
	v_sub_u32_e32 v6, 29, v23
	v_and_b32_e32 v23, 7, v24
	v_cmp_gt_u32_e32 vcc, 8, v20
	v_mov_b32_e32 v20, 24
	v_cndmask_b32_e32 v6, v21, v6, vcc
	v_cndmask_b32_e32 v19, v19, v23, vcc
	v_lshlrev_b32_sdwa v20, v20, v9 dst_sel:DWORD dst_unused:UNUSED_PAD src0_sel:DWORD src1_sel:WORD_1
	v_bfrev_b32_e32 v21, 60
	v_lshlrev_b32_e32 v19, 20, v19
	v_and_b32_e32 v20, 0x80000000, v20
	v_lshl_add_u32 v6, v6, 23, v21
	v_or3_b32 v6, v20, v6, v19
	v_lshrrev_b32_e32 v19, 16, v6
.LBB866_681:
	s_or_b64 exec, exec, s[12:13]
.LBB866_682:
	s_or_b64 exec, exec, s[10:11]
.LBB866_683:
	s_or_b64 exec, exec, s[8:9]
	s_mov_b32 s7, 0xffffff
	v_cmp_lt_u32_e32 vcc, s7, v9
	s_and_saveexec_b64 s[8:9], vcc
	s_cbranch_execz .LBB866_689
; %bb.684:
	v_lshrrev_b32_e32 v6, 24, v9
	s_movk_i32 s7, 0x80
	v_cmp_ne_u32_e32 vcc, s7, v6
	v_mov_b32_e32 v18, 0xffff8000
	s_and_saveexec_b64 s[10:11], vcc
	s_cbranch_execz .LBB866_688
; %bb.685:
	v_bfe_u32 v9, v9, 24, 7
	s_movk_i32 s7, 0x7f
	v_cmp_ne_u32_e32 vcc, s7, v9
	v_mov_b32_e32 v18, 0x7f80
	s_and_saveexec_b64 s[12:13], vcc
	s_cbranch_execz .LBB866_687
; %bb.686:
	v_and_b32_e32 v18, 7, v6
	v_ffbh_u32_e32 v20, v18
	v_min_u32_e32 v24, 32, v20
	v_subrev_u32_e32 v20, 28, v24
	v_lshlrev_b64 v[20:21], v20, v[6:7]
	v_lshrrev_b32_e32 v23, 3, v9
	v_sub_u32_e32 v21, 29, v24
	v_and_b32_e32 v20, 7, v20
	v_cmp_gt_u32_e32 vcc, 8, v9
	v_cndmask_b32_e32 v9, v23, v21, vcc
	v_cndmask_b32_e32 v18, v18, v20, vcc
	v_lshlrev_b32_e32 v6, 24, v6
	v_bfrev_b32_e32 v20, 60
	v_lshlrev_b32_e32 v18, 20, v18
	v_and_b32_e32 v6, 0x80000000, v6
	v_lshl_add_u32 v9, v9, 23, v20
	v_or3_b32 v6, v6, v9, v18
	v_lshrrev_b32_e32 v18, 16, v6
.LBB866_687:
	s_or_b64 exec, exec, s[12:13]
.LBB866_688:
	s_or_b64 exec, exec, s[10:11]
.LBB866_689:
	s_or_b64 exec, exec, s[8:9]
	s_mov_b32 s7, 0x5040100
	v_perm_b32 v15, v15, v16, s7
	v_perm_b32 v14, v7, v14, s7
	ds_read_b128 v[28:31], v22 offset:4112
	v_perm_b32 v7, v18, v19, s7
	v_perm_b32 v6, v8, v17, s7
	s_waitcnt lgkmcnt(0)
	v_mfma_f32_16x16x16bf16_1k v[32:35], v[14:15], v[28:29], v[10:13]
	s_nop 6
	v_mov_b32_e32 v11, 0
	s_waitcnt vmcnt(0)
	v_cmp_ne_u16_sdwa s[10:11], v2, v11 src0_sel:BYTE_0 src1_sel:DWORD
	v_mfma_f32_16x16x16bf16_1k v[6:9], v[6:7], v[30:31], v[32:35]
	v_mov_b32_e32 v12, 0
	s_and_saveexec_b64 s[8:9], s[10:11]
	s_cbranch_execz .LBB866_695
; %bb.690:
	s_movk_i32 s7, 0x80
	v_cmp_ne_u16_sdwa s[12:13], v2, s7 src0_sel:BYTE_0 src1_sel:DWORD
	v_mov_b32_e32 v12, 0xffff8000
	s_and_saveexec_b64 s[10:11], s[12:13]
	s_cbranch_execz .LBB866_694
; %bb.691:
	s_movk_i32 s7, 0x7f
	v_and_b32_e32 v10, 0x7f, v2
	v_cmp_ne_u32_e32 vcc, s7, v10
	v_mov_b32_e32 v12, 0x7f80
	s_and_saveexec_b64 s[12:13], vcc
	s_cbranch_execz .LBB866_693
; %bb.692:
	v_and_b32_e32 v14, 7, v2
	v_ffbh_u32_e32 v12, v14
	v_min_u32_e32 v16, 32, v12
	v_subrev_u32_e32 v12, 28, v16
	v_lshlrev_b64 v[12:13], v12, v[2:3]
	v_lshrrev_b32_e32 v15, 3, v10
	v_sub_u32_e32 v13, 29, v16
	v_and_b32_e32 v12, 7, v12
	v_cmp_gt_u32_e32 vcc, 8, v10
	v_cndmask_b32_e32 v10, v15, v13, vcc
	v_cndmask_b32_e32 v12, v14, v12, vcc
	v_lshlrev_b32_e32 v13, 24, v2
	v_bfrev_b32_e32 v14, 60
	v_lshlrev_b32_e32 v12, 20, v12
	v_and_b32_e32 v13, 0x80000000, v13
	v_lshl_add_u32 v10, v10, 23, v14
	v_or3_b32 v10, v13, v10, v12
	v_lshrrev_b32_e32 v12, 16, v10
.LBB866_693:
	s_or_b64 exec, exec, s[12:13]
.LBB866_694:
	s_or_b64 exec, exec, s[10:11]
.LBB866_695:
	s_or_b64 exec, exec, s[8:9]
	v_lshrrev_b16_e32 v10, 8, v2
	v_cmp_ne_u16_e32 vcc, 0, v10
	s_and_saveexec_b64 s[8:9], vcc
	s_cbranch_execz .LBB866_701
; %bb.696:
	s_movk_i32 s7, 0x80
	v_cmp_ne_u16_e32 vcc, s7, v10
	v_mov_b32_e32 v11, 0xffff8000
	s_and_saveexec_b64 s[10:11], vcc
	s_cbranch_execz .LBB866_700
; %bb.697:
	s_movk_i32 s7, 0x7f
	v_and_b32_e32 v13, 0x7f, v10
	v_cmp_ne_u32_e32 vcc, s7, v13
	v_mov_b32_e32 v11, 0x7f80
	s_and_saveexec_b64 s[12:13], vcc
	s_cbranch_execz .LBB866_699
; %bb.698:
	v_and_b32_e32 v14, 7, v10
	v_ffbh_u32_e32 v11, v14
	v_min_u32_e32 v16, 32, v11
	v_subrev_u32_e32 v11, 28, v16
	v_lshlrev_b64 v[10:11], v11, v[10:11]
	v_lshrrev_b32_e32 v15, 3, v13
	v_sub_u32_e32 v11, 29, v16
	v_and_b32_e32 v10, 7, v10
	v_cmp_gt_u32_e32 vcc, 8, v13
	v_cndmask_b32_e32 v11, v15, v11, vcc
	v_cndmask_b32_e32 v10, v14, v10, vcc
	v_lshlrev_b32_e32 v13, 16, v2
	v_bfrev_b32_e32 v14, 60
	v_lshlrev_b32_e32 v10, 20, v10
	v_and_b32_e32 v13, 0x80000000, v13
	v_lshl_add_u32 v11, v11, 23, v14
	v_or3_b32 v10, v13, v11, v10
	v_lshrrev_b32_e32 v11, 16, v10
.LBB866_699:
	s_or_b64 exec, exec, s[12:13]
.LBB866_700:
	s_or_b64 exec, exec, s[10:11]
.LBB866_701:
	s_or_b64 exec, exec, s[8:9]
	s_movk_i32 s7, 0xff
	v_and_b32_sdwa v15, v2, s7 dst_sel:DWORD dst_unused:UNUSED_PAD src0_sel:WORD_1 src1_sel:DWORD
	v_lshrrev_b32_e32 v10, 16, v2
	v_cmp_ne_u16_e32 vcc, 0, v15
	v_mov_b32_e32 v13, 0
	v_mov_b32_e32 v14, 0
	s_and_saveexec_b64 s[8:9], vcc
	s_cbranch_execz .LBB866_707
; %bb.702:
	s_movk_i32 s7, 0x80
	v_cmp_ne_u16_e32 vcc, s7, v15
	v_mov_b32_e32 v14, 0xffff8000
	s_and_saveexec_b64 s[10:11], vcc
	s_cbranch_execz .LBB866_706
; %bb.703:
	v_bfe_u32 v15, v2, 16, 7
	s_movk_i32 s7, 0x7f
	v_cmp_ne_u32_e32 vcc, s7, v15
	v_mov_b32_e32 v14, 0x7f80
	s_and_saveexec_b64 s[12:13], vcc
	s_cbranch_execz .LBB866_705
; %bb.704:
	v_and_b32_e32 v14, 7, v10
	v_ffbh_u32_e32 v16, v14
	v_min_u32_e32 v19, 32, v16
	v_subrev_u32_e32 v16, 28, v19
	v_lshlrev_b64 v[16:17], v16, v[10:11]
	v_lshrrev_b32_e32 v18, 3, v15
	v_sub_u32_e32 v10, 29, v19
	v_and_b32_e32 v16, 7, v16
	v_cmp_gt_u32_e32 vcc, 8, v15
	v_mov_b32_e32 v15, 24
	v_cndmask_b32_e32 v10, v18, v10, vcc
	v_cndmask_b32_e32 v14, v14, v16, vcc
	v_lshlrev_b32_sdwa v15, v15, v2 dst_sel:DWORD dst_unused:UNUSED_PAD src0_sel:DWORD src1_sel:WORD_1
	v_bfrev_b32_e32 v16, 60
	v_lshlrev_b32_e32 v14, 20, v14
	v_and_b32_e32 v15, 0x80000000, v15
	v_lshl_add_u32 v10, v10, 23, v16
	v_or3_b32 v10, v15, v10, v14
	v_lshrrev_b32_e32 v14, 16, v10
.LBB866_705:
	s_or_b64 exec, exec, s[12:13]
.LBB866_706:
	s_or_b64 exec, exec, s[10:11]
.LBB866_707:
	s_or_b64 exec, exec, s[8:9]
	s_mov_b32 s7, 0xffffff
	v_cmp_lt_u32_e32 vcc, s7, v2
	s_and_saveexec_b64 s[8:9], vcc
	s_cbranch_execz .LBB866_713
; %bb.708:
	v_lshrrev_b32_e32 v10, 24, v2
	s_movk_i32 s7, 0x80
	v_cmp_ne_u32_e32 vcc, s7, v10
	v_mov_b32_e32 v13, 0xffff8000
	s_and_saveexec_b64 s[10:11], vcc
	s_cbranch_execz .LBB866_712
; %bb.709:
	v_bfe_u32 v2, v2, 24, 7
	s_movk_i32 s7, 0x7f
	v_cmp_ne_u32_e32 vcc, s7, v2
	v_mov_b32_e32 v13, 0x7f80
	s_and_saveexec_b64 s[12:13], vcc
	s_cbranch_execz .LBB866_711
; %bb.710:
	v_and_b32_e32 v13, 7, v10
	v_ffbh_u32_e32 v16, v13
	v_min_u32_e32 v18, 32, v16
	v_subrev_u32_e32 v16, 28, v18
	v_lshlrev_b64 v[16:17], v16, v[10:11]
	v_lshrrev_b32_e32 v15, 3, v2
	v_sub_u32_e32 v17, 29, v18
	v_and_b32_e32 v16, 7, v16
	v_cmp_gt_u32_e32 vcc, 8, v2
	v_cndmask_b32_e32 v2, v15, v17, vcc
	v_cndmask_b32_e32 v13, v13, v16, vcc
	v_lshlrev_b32_e32 v10, 24, v10
	v_bfrev_b32_e32 v15, 60
	v_lshlrev_b32_e32 v13, 20, v13
	v_and_b32_e32 v10, 0x80000000, v10
	v_lshl_add_u32 v2, v2, 23, v15
	v_or3_b32 v2, v10, v2, v13
	v_lshrrev_b32_e32 v13, 16, v2
.LBB866_711:
	s_or_b64 exec, exec, s[12:13]
.LBB866_712:
	s_or_b64 exec, exec, s[10:11]
.LBB866_713:
	s_or_b64 exec, exec, s[8:9]
	v_mov_b32_e32 v10, 0
	v_cmp_ne_u16_sdwa s[10:11], v3, v10 src0_sel:BYTE_0 src1_sel:DWORD
	v_mov_b32_e32 v15, 0
	s_and_saveexec_b64 s[8:9], s[10:11]
	s_cbranch_execz .LBB866_719
; %bb.714:
	s_movk_i32 s7, 0x80
	v_cmp_ne_u16_sdwa s[12:13], v3, s7 src0_sel:BYTE_0 src1_sel:DWORD
	v_mov_b32_e32 v15, 0xffff8000
	s_and_saveexec_b64 s[10:11], s[12:13]
	s_cbranch_execz .LBB866_718
; %bb.715:
	s_movk_i32 s7, 0x7f
	v_and_b32_e32 v2, 0x7f, v3
	v_cmp_ne_u32_e32 vcc, s7, v2
	v_mov_b32_e32 v15, 0x7f80
	s_and_saveexec_b64 s[12:13], vcc
	s_cbranch_execz .LBB866_717
; %bb.716:
	v_and_b32_e32 v15, 7, v3
	v_ffbh_u32_e32 v17, v15
	v_min_u32_e32 v19, 32, v17
	v_mov_b32_e32 v16, v3
	v_subrev_u32_e32 v17, 28, v19
	v_lshlrev_b64 v[16:17], v17, v[16:17]
	v_lshrrev_b32_e32 v18, 3, v2
	v_sub_u32_e32 v17, 29, v19
	v_and_b32_e32 v16, 7, v16
	v_cmp_gt_u32_e32 vcc, 8, v2
	v_cndmask_b32_e32 v2, v18, v17, vcc
	v_cndmask_b32_e32 v15, v15, v16, vcc
	v_lshlrev_b32_e32 v16, 24, v3
	v_bfrev_b32_e32 v17, 60
	v_lshlrev_b32_e32 v15, 20, v15
	v_and_b32_e32 v16, 0x80000000, v16
	v_lshl_add_u32 v2, v2, 23, v17
	v_or3_b32 v2, v16, v2, v15
	v_lshrrev_b32_e32 v15, 16, v2
.LBB866_717:
	s_or_b64 exec, exec, s[12:13]
.LBB866_718:
	s_or_b64 exec, exec, s[10:11]
.LBB866_719:
	s_or_b64 exec, exec, s[8:9]
	v_lshrrev_b16_e32 v2, 8, v3
	v_cmp_ne_u16_e32 vcc, 0, v2
	s_and_saveexec_b64 s[8:9], vcc
	s_cbranch_execz .LBB866_725
; %bb.720:
	s_movk_i32 s7, 0x80
	v_cmp_ne_u16_e32 vcc, s7, v2
	v_mov_b32_e32 v10, 0xffff8000
	s_and_saveexec_b64 s[10:11], vcc
	s_cbranch_execz .LBB866_724
; %bb.721:
	s_movk_i32 s7, 0x7f
	v_and_b32_e32 v16, 0x7f, v2
	v_cmp_ne_u32_e32 vcc, s7, v16
	v_mov_b32_e32 v10, 0x7f80
	s_and_saveexec_b64 s[12:13], vcc
	s_cbranch_execz .LBB866_723
; %bb.722:
	v_and_b32_e32 v10, 7, v2
	v_ffbh_u32_e32 v18, v10
	v_min_u32_e32 v20, 32, v18
	v_subrev_u32_e32 v18, 28, v20
	v_lshlrev_b64 v[18:19], v18, v[2:3]
	v_lshrrev_b32_e32 v17, 3, v16
	v_sub_u32_e32 v2, 29, v20
	v_and_b32_e32 v18, 7, v18
	v_cmp_gt_u32_e32 vcc, 8, v16
	v_cndmask_b32_e32 v2, v17, v2, vcc
	v_cndmask_b32_e32 v10, v10, v18, vcc
	v_lshlrev_b32_e32 v16, 16, v3
	v_bfrev_b32_e32 v17, 60
	v_lshlrev_b32_e32 v10, 20, v10
	v_and_b32_e32 v16, 0x80000000, v16
	v_lshl_add_u32 v2, v2, 23, v17
	v_or3_b32 v2, v16, v2, v10
	v_lshrrev_b32_e32 v10, 16, v2
.LBB866_723:
	s_or_b64 exec, exec, s[12:13]
.LBB866_724:
	s_or_b64 exec, exec, s[10:11]
.LBB866_725:
	s_or_b64 exec, exec, s[8:9]
	s_movk_i32 s7, 0xff
	v_and_b32_sdwa v18, v3, s7 dst_sel:DWORD dst_unused:UNUSED_PAD src0_sel:WORD_1 src1_sel:DWORD
	v_lshrrev_b32_e32 v2, 16, v3
	v_cmp_ne_u16_e32 vcc, 0, v18
	v_mov_b32_e32 v16, 0
	v_mov_b32_e32 v17, 0
	s_and_saveexec_b64 s[8:9], vcc
	s_cbranch_execz .LBB866_731
; %bb.726:
	s_movk_i32 s7, 0x80
	v_cmp_ne_u16_e32 vcc, s7, v18
	v_mov_b32_e32 v17, 0xffff8000
	s_and_saveexec_b64 s[10:11], vcc
	s_cbranch_execz .LBB866_730
; %bb.727:
	v_bfe_u32 v18, v3, 16, 7
	s_movk_i32 s7, 0x7f
	v_cmp_ne_u32_e32 vcc, s7, v18
	v_mov_b32_e32 v17, 0x7f80
	s_and_saveexec_b64 s[12:13], vcc
	s_cbranch_execz .LBB866_729
; %bb.728:
	v_and_b32_e32 v17, 7, v2
	v_ffbh_u32_e32 v20, v17
	v_min_u32_e32 v23, 32, v20
	v_subrev_u32_e32 v20, 28, v23
	v_lshlrev_b64 v[20:21], v20, v[2:3]
	v_lshrrev_b32_e32 v19, 3, v18
	v_sub_u32_e32 v2, 29, v23
	v_and_b32_e32 v20, 7, v20
	v_cmp_gt_u32_e32 vcc, 8, v18
	v_mov_b32_e32 v18, 24
	v_cndmask_b32_e32 v2, v19, v2, vcc
	v_cndmask_b32_e32 v17, v17, v20, vcc
	v_lshlrev_b32_sdwa v18, v18, v3 dst_sel:DWORD dst_unused:UNUSED_PAD src0_sel:DWORD src1_sel:WORD_1
	v_bfrev_b32_e32 v19, 60
	v_lshlrev_b32_e32 v17, 20, v17
	v_and_b32_e32 v18, 0x80000000, v18
	v_lshl_add_u32 v2, v2, 23, v19
	v_or3_b32 v2, v18, v2, v17
	v_lshrrev_b32_e32 v17, 16, v2
.LBB866_729:
	s_or_b64 exec, exec, s[12:13]
.LBB866_730:
	s_or_b64 exec, exec, s[10:11]
.LBB866_731:
	s_or_b64 exec, exec, s[8:9]
	s_mov_b32 s7, 0xffffff
	v_cmp_lt_u32_e32 vcc, s7, v3
	s_and_saveexec_b64 s[8:9], vcc
	s_cbranch_execz .LBB866_737
; %bb.732:
	v_lshrrev_b32_e32 v2, 24, v3
	s_movk_i32 s7, 0x80
	v_cmp_ne_u32_e32 vcc, s7, v2
	v_mov_b32_e32 v16, 0xffff8000
	s_and_saveexec_b64 s[10:11], vcc
	s_cbranch_execz .LBB866_736
; %bb.733:
	v_bfe_u32 v3, v3, 24, 7
	s_movk_i32 s7, 0x7f
	v_cmp_ne_u32_e32 vcc, s7, v3
	v_mov_b32_e32 v16, 0x7f80
	s_and_saveexec_b64 s[12:13], vcc
	s_cbranch_execz .LBB866_735
; %bb.734:
	v_and_b32_e32 v16, 7, v2
	v_ffbh_u32_e32 v18, v16
	v_min_u32_e32 v21, 32, v18
	v_subrev_u32_e32 v18, 28, v21
	v_lshlrev_b64 v[18:19], v18, v[2:3]
	v_lshrrev_b32_e32 v20, 3, v3
	v_sub_u32_e32 v19, 29, v21
	v_and_b32_e32 v18, 7, v18
	v_cmp_gt_u32_e32 vcc, 8, v3
	v_cndmask_b32_e32 v3, v20, v19, vcc
	v_cndmask_b32_e32 v16, v16, v18, vcc
	v_lshlrev_b32_e32 v2, 24, v2
	v_bfrev_b32_e32 v18, 60
	v_lshlrev_b32_e32 v16, 20, v16
	v_and_b32_e32 v2, 0x80000000, v2
	v_lshl_add_u32 v3, v3, 23, v18
	v_or3_b32 v2, v2, v3, v16
	v_lshrrev_b32_e32 v16, 16, v2
.LBB866_735:
	s_or_b64 exec, exec, s[12:13]
.LBB866_736:
	s_or_b64 exec, exec, s[10:11]
.LBB866_737:
	s_or_b64 exec, exec, s[8:9]
	s_mov_b32 s7, 0x5040100
	v_perm_b32 v3, v13, v14, s7
	v_perm_b32 v2, v11, v12, s7
	ds_read_b128 v[18:21], v22 offset:6144
	v_perm_b32 v13, v16, v17, s7
	v_perm_b32 v12, v10, v15, s7
	s_waitcnt lgkmcnt(0)
	v_mfma_f32_16x16x16bf16_1k v[6:9], v[2:3], v[18:19], v[6:9]
	v_mov_b32_e32 v3, 0
	v_cmp_ne_u16_sdwa s[10:11], v4, v3 src0_sel:BYTE_0 src1_sel:DWORD
	v_mov_b32_e32 v10, 0
	v_mfma_f32_16x16x16bf16_1k v[6:9], v[12:13], v[20:21], v[6:9]
	s_and_saveexec_b64 s[8:9], s[10:11]
	s_cbranch_execz .LBB866_743
; %bb.738:
	s_movk_i32 s7, 0x80
	v_cmp_ne_u16_sdwa s[12:13], v4, s7 src0_sel:BYTE_0 src1_sel:DWORD
	v_mov_b32_e32 v10, 0xffff8000
	s_and_saveexec_b64 s[10:11], s[12:13]
	s_cbranch_execz .LBB866_742
; %bb.739:
	s_movk_i32 s7, 0x7f
	v_and_b32_e32 v2, 0x7f, v4
	v_cmp_ne_u32_e32 vcc, s7, v2
	v_mov_b32_e32 v10, 0x7f80
	s_and_saveexec_b64 s[12:13], vcc
	s_cbranch_execz .LBB866_741
; %bb.740:
	v_and_b32_e32 v12, 7, v4
	v_ffbh_u32_e32 v10, v12
	v_min_u32_e32 v14, 32, v10
	v_subrev_u32_e32 v10, 28, v14
	v_lshlrev_b64 v[10:11], v10, v[4:5]
	v_lshrrev_b32_e32 v13, 3, v2
	v_sub_u32_e32 v11, 29, v14
	v_and_b32_e32 v10, 7, v10
	v_cmp_gt_u32_e32 vcc, 8, v2
	v_cndmask_b32_e32 v2, v13, v11, vcc
	v_cndmask_b32_e32 v10, v12, v10, vcc
	v_lshlrev_b32_e32 v11, 24, v4
	v_bfrev_b32_e32 v12, 60
	v_lshlrev_b32_e32 v10, 20, v10
	v_and_b32_e32 v11, 0x80000000, v11
	v_lshl_add_u32 v2, v2, 23, v12
	v_or3_b32 v2, v11, v2, v10
	v_lshrrev_b32_e32 v10, 16, v2
.LBB866_741:
	s_or_b64 exec, exec, s[12:13]
.LBB866_742:
	s_or_b64 exec, exec, s[10:11]
.LBB866_743:
	s_or_b64 exec, exec, s[8:9]
	v_lshrrev_b16_e32 v2, 8, v4
	v_cmp_ne_u16_e32 vcc, 0, v2
	s_and_saveexec_b64 s[8:9], vcc
	s_cbranch_execz .LBB866_749
; %bb.744:
	s_movk_i32 s7, 0x80
	v_cmp_ne_u16_e32 vcc, s7, v2
	v_mov_b32_e32 v3, 0xffff8000
	s_and_saveexec_b64 s[10:11], vcc
	s_cbranch_execz .LBB866_748
; %bb.745:
	s_movk_i32 s7, 0x7f
	v_and_b32_e32 v11, 0x7f, v2
	v_cmp_ne_u32_e32 vcc, s7, v11
	v_mov_b32_e32 v3, 0x7f80
	s_and_saveexec_b64 s[12:13], vcc
	s_cbranch_execz .LBB866_747
; %bb.746:
	v_and_b32_e32 v12, 7, v2
	v_ffbh_u32_e32 v3, v12
	v_min_u32_e32 v14, 32, v3
	v_subrev_u32_e32 v3, 28, v14
	v_lshlrev_b64 v[2:3], v3, v[2:3]
	v_lshrrev_b32_e32 v13, 3, v11
	v_sub_u32_e32 v3, 29, v14
	v_and_b32_e32 v2, 7, v2
	v_cmp_gt_u32_e32 vcc, 8, v11
	v_cndmask_b32_e32 v3, v13, v3, vcc
	v_cndmask_b32_e32 v2, v12, v2, vcc
	v_lshlrev_b32_e32 v11, 16, v4
	v_bfrev_b32_e32 v12, 60
	v_lshlrev_b32_e32 v2, 20, v2
	v_and_b32_e32 v11, 0x80000000, v11
	v_lshl_add_u32 v3, v3, 23, v12
	v_or3_b32 v2, v11, v3, v2
	v_lshrrev_b32_e32 v3, 16, v2
.LBB866_747:
	s_or_b64 exec, exec, s[12:13]
.LBB866_748:
	s_or_b64 exec, exec, s[10:11]
.LBB866_749:
	s_or_b64 exec, exec, s[8:9]
	s_movk_i32 s7, 0xff
	v_and_b32_sdwa v13, v4, s7 dst_sel:DWORD dst_unused:UNUSED_PAD src0_sel:WORD_1 src1_sel:DWORD
	v_lshrrev_b32_e32 v2, 16, v4
	v_cmp_ne_u16_e32 vcc, 0, v13
	v_mov_b32_e32 v11, 0
	v_mov_b32_e32 v12, 0
	s_and_saveexec_b64 s[8:9], vcc
	s_cbranch_execz .LBB866_755
; %bb.750:
	s_movk_i32 s7, 0x80
	v_cmp_ne_u16_e32 vcc, s7, v13
	v_mov_b32_e32 v12, 0xffff8000
	s_and_saveexec_b64 s[10:11], vcc
	s_cbranch_execz .LBB866_754
; %bb.751:
	v_bfe_u32 v13, v4, 16, 7
	s_movk_i32 s7, 0x7f
	v_cmp_ne_u32_e32 vcc, s7, v13
	v_mov_b32_e32 v12, 0x7f80
	s_and_saveexec_b64 s[12:13], vcc
	s_cbranch_execz .LBB866_753
; %bb.752:
	v_and_b32_e32 v12, 7, v2
	v_ffbh_u32_e32 v14, v12
	v_min_u32_e32 v17, 32, v14
	v_subrev_u32_e32 v14, 28, v17
	v_lshlrev_b64 v[14:15], v14, v[2:3]
	v_lshrrev_b32_e32 v16, 3, v13
	v_sub_u32_e32 v2, 29, v17
	v_and_b32_e32 v14, 7, v14
	v_cmp_gt_u32_e32 vcc, 8, v13
	v_mov_b32_e32 v13, 24
	v_cndmask_b32_e32 v2, v16, v2, vcc
	v_cndmask_b32_e32 v12, v12, v14, vcc
	v_lshlrev_b32_sdwa v13, v13, v4 dst_sel:DWORD dst_unused:UNUSED_PAD src0_sel:DWORD src1_sel:WORD_1
	v_bfrev_b32_e32 v14, 60
	v_lshlrev_b32_e32 v12, 20, v12
	v_and_b32_e32 v13, 0x80000000, v13
	v_lshl_add_u32 v2, v2, 23, v14
	v_or3_b32 v2, v13, v2, v12
	v_lshrrev_b32_e32 v12, 16, v2
.LBB866_753:
	s_or_b64 exec, exec, s[12:13]
.LBB866_754:
	s_or_b64 exec, exec, s[10:11]
.LBB866_755:
	s_or_b64 exec, exec, s[8:9]
	s_mov_b32 s7, 0xffffff
	v_cmp_lt_u32_e32 vcc, s7, v4
	s_and_saveexec_b64 s[8:9], vcc
	s_cbranch_execz .LBB866_761
; %bb.756:
	v_lshrrev_b32_e32 v2, 24, v4
	s_movk_i32 s7, 0x80
	v_cmp_ne_u32_e32 vcc, s7, v2
	v_mov_b32_e32 v11, 0xffff8000
	s_and_saveexec_b64 s[10:11], vcc
	s_cbranch_execz .LBB866_760
; %bb.757:
	v_bfe_u32 v4, v4, 24, 7
	s_movk_i32 s7, 0x7f
	v_cmp_ne_u32_e32 vcc, s7, v4
	v_mov_b32_e32 v11, 0x7f80
	s_and_saveexec_b64 s[12:13], vcc
	s_cbranch_execz .LBB866_759
; %bb.758:
	v_and_b32_e32 v11, 7, v2
	v_ffbh_u32_e32 v14, v11
	v_min_u32_e32 v16, 32, v14
	v_subrev_u32_e32 v14, 28, v16
	v_lshlrev_b64 v[14:15], v14, v[2:3]
	v_lshrrev_b32_e32 v13, 3, v4
	v_sub_u32_e32 v15, 29, v16
	v_and_b32_e32 v14, 7, v14
	v_cmp_gt_u32_e32 vcc, 8, v4
	v_cndmask_b32_e32 v4, v13, v15, vcc
	v_cndmask_b32_e32 v11, v11, v14, vcc
	v_lshlrev_b32_e32 v2, 24, v2
	v_bfrev_b32_e32 v13, 60
	v_lshlrev_b32_e32 v11, 20, v11
	v_and_b32_e32 v2, 0x80000000, v2
	v_lshl_add_u32 v4, v4, 23, v13
	v_or3_b32 v2, v2, v4, v11
	v_lshrrev_b32_e32 v11, 16, v2
.LBB866_759:
	s_or_b64 exec, exec, s[12:13]
.LBB866_760:
	s_or_b64 exec, exec, s[10:11]
.LBB866_761:
	s_or_b64 exec, exec, s[8:9]
	v_mov_b32_e32 v4, 0
	v_cmp_ne_u16_sdwa s[10:11], v5, v4 src0_sel:BYTE_0 src1_sel:DWORD
	v_mov_b32_e32 v13, 0
	s_and_saveexec_b64 s[8:9], s[10:11]
	s_cbranch_execz .LBB866_767
; %bb.762:
	s_movk_i32 s7, 0x80
	v_cmp_ne_u16_sdwa s[12:13], v5, s7 src0_sel:BYTE_0 src1_sel:DWORD
	v_mov_b32_e32 v13, 0xffff8000
	s_and_saveexec_b64 s[10:11], s[12:13]
	s_cbranch_execz .LBB866_766
; %bb.763:
	s_movk_i32 s7, 0x7f
	v_and_b32_e32 v2, 0x7f, v5
	v_cmp_ne_u32_e32 vcc, s7, v2
	v_mov_b32_e32 v13, 0x7f80
	s_and_saveexec_b64 s[12:13], vcc
	s_cbranch_execz .LBB866_765
; %bb.764:
	v_and_b32_e32 v13, 7, v5
	v_ffbh_u32_e32 v15, v13
	v_min_u32_e32 v17, 32, v15
	v_mov_b32_e32 v14, v5
	v_subrev_u32_e32 v15, 28, v17
	v_lshlrev_b64 v[14:15], v15, v[14:15]
	v_lshrrev_b32_e32 v16, 3, v2
	v_sub_u32_e32 v15, 29, v17
	v_and_b32_e32 v14, 7, v14
	v_cmp_gt_u32_e32 vcc, 8, v2
	v_cndmask_b32_e32 v2, v16, v15, vcc
	v_cndmask_b32_e32 v13, v13, v14, vcc
	v_lshlrev_b32_e32 v14, 24, v5
	v_bfrev_b32_e32 v15, 60
	v_lshlrev_b32_e32 v13, 20, v13
	v_and_b32_e32 v14, 0x80000000, v14
	v_lshl_add_u32 v2, v2, 23, v15
	v_or3_b32 v2, v14, v2, v13
	v_lshrrev_b32_e32 v13, 16, v2
.LBB866_765:
	s_or_b64 exec, exec, s[12:13]
.LBB866_766:
	s_or_b64 exec, exec, s[10:11]
.LBB866_767:
	s_or_b64 exec, exec, s[8:9]
	v_lshrrev_b16_e32 v2, 8, v5
	v_cmp_ne_u16_e32 vcc, 0, v2
	s_and_saveexec_b64 s[8:9], vcc
	s_cbranch_execz .LBB866_773
; %bb.768:
	s_movk_i32 s7, 0x80
	v_cmp_ne_u16_e32 vcc, s7, v2
	v_mov_b32_e32 v4, 0xffff8000
	s_and_saveexec_b64 s[10:11], vcc
	s_cbranch_execz .LBB866_772
; %bb.769:
	s_movk_i32 s7, 0x7f
	v_and_b32_e32 v14, 0x7f, v2
	v_cmp_ne_u32_e32 vcc, s7, v14
	v_mov_b32_e32 v4, 0x7f80
	s_and_saveexec_b64 s[12:13], vcc
	s_cbranch_execz .LBB866_771
; %bb.770:
	v_and_b32_e32 v4, 7, v2
	v_ffbh_u32_e32 v16, v4
	v_min_u32_e32 v18, 32, v16
	v_subrev_u32_e32 v16, 28, v18
	v_lshlrev_b64 v[16:17], v16, v[2:3]
	v_lshrrev_b32_e32 v15, 3, v14
	v_sub_u32_e32 v2, 29, v18
	v_and_b32_e32 v16, 7, v16
	v_cmp_gt_u32_e32 vcc, 8, v14
	v_cndmask_b32_e32 v2, v15, v2, vcc
	v_cndmask_b32_e32 v4, v4, v16, vcc
	v_lshlrev_b32_e32 v14, 16, v5
	v_bfrev_b32_e32 v15, 60
	v_lshlrev_b32_e32 v4, 20, v4
	v_and_b32_e32 v14, 0x80000000, v14
	v_lshl_add_u32 v2, v2, 23, v15
	v_or3_b32 v2, v14, v2, v4
	v_lshrrev_b32_e32 v4, 16, v2
.LBB866_771:
	s_or_b64 exec, exec, s[12:13]
.LBB866_772:
	s_or_b64 exec, exec, s[10:11]
.LBB866_773:
	s_or_b64 exec, exec, s[8:9]
	s_movk_i32 s7, 0xff
	v_and_b32_sdwa v16, v5, s7 dst_sel:DWORD dst_unused:UNUSED_PAD src0_sel:WORD_1 src1_sel:DWORD
	v_lshrrev_b32_e32 v2, 16, v5
	v_cmp_ne_u16_e32 vcc, 0, v16
	v_mov_b32_e32 v14, 0
	v_mov_b32_e32 v15, 0
	s_and_saveexec_b64 s[8:9], vcc
	s_cbranch_execz .LBB866_779
; %bb.774:
	s_movk_i32 s7, 0x80
	v_cmp_ne_u16_e32 vcc, s7, v16
	v_mov_b32_e32 v15, 0xffff8000
	s_and_saveexec_b64 s[10:11], vcc
	s_cbranch_execz .LBB866_778
; %bb.775:
	v_bfe_u32 v16, v5, 16, 7
	s_movk_i32 s7, 0x7f
	v_cmp_ne_u32_e32 vcc, s7, v16
	v_mov_b32_e32 v15, 0x7f80
	s_and_saveexec_b64 s[12:13], vcc
	s_cbranch_execz .LBB866_777
; %bb.776:
	v_and_b32_e32 v15, 7, v2
	v_ffbh_u32_e32 v18, v15
	v_min_u32_e32 v20, 32, v18
	v_subrev_u32_e32 v18, 28, v20
	v_lshlrev_b64 v[18:19], v18, v[2:3]
	v_lshrrev_b32_e32 v17, 3, v16
	v_sub_u32_e32 v2, 29, v20
	v_and_b32_e32 v18, 7, v18
	v_cmp_gt_u32_e32 vcc, 8, v16
	v_mov_b32_e32 v16, 24
	v_cndmask_b32_e32 v2, v17, v2, vcc
	v_cndmask_b32_e32 v15, v15, v18, vcc
	v_lshlrev_b32_sdwa v16, v16, v5 dst_sel:DWORD dst_unused:UNUSED_PAD src0_sel:DWORD src1_sel:WORD_1
	v_bfrev_b32_e32 v17, 60
	v_lshlrev_b32_e32 v15, 20, v15
	v_and_b32_e32 v16, 0x80000000, v16
	v_lshl_add_u32 v2, v2, 23, v17
	v_or3_b32 v2, v16, v2, v15
	v_lshrrev_b32_e32 v15, 16, v2
.LBB866_777:
	s_or_b64 exec, exec, s[12:13]
.LBB866_778:
	s_or_b64 exec, exec, s[10:11]
.LBB866_779:
	s_or_b64 exec, exec, s[8:9]
	s_mov_b32 s7, 0xffffff
	v_cmp_lt_u32_e32 vcc, s7, v5
	s_and_saveexec_b64 s[8:9], vcc
	s_cbranch_execz .LBB866_785
; %bb.780:
	v_lshrrev_b32_e32 v2, 24, v5
	s_movk_i32 s7, 0x80
	v_cmp_ne_u32_e32 vcc, s7, v2
	v_mov_b32_e32 v14, 0xffff8000
	s_and_saveexec_b64 s[10:11], vcc
	s_cbranch_execz .LBB866_784
; %bb.781:
	v_bfe_u32 v5, v5, 24, 7
	s_movk_i32 s7, 0x7f
	v_cmp_ne_u32_e32 vcc, s7, v5
	v_mov_b32_e32 v14, 0x7f80
	s_and_saveexec_b64 s[12:13], vcc
	s_cbranch_execz .LBB866_783
; %bb.782:
	v_and_b32_e32 v14, 7, v2
	v_ffbh_u32_e32 v16, v14
	v_min_u32_e32 v19, 32, v16
	v_subrev_u32_e32 v16, 28, v19
	v_lshlrev_b64 v[16:17], v16, v[2:3]
	v_lshrrev_b32_e32 v18, 3, v5
	v_sub_u32_e32 v17, 29, v19
	v_and_b32_e32 v16, 7, v16
	v_cmp_gt_u32_e32 vcc, 8, v5
	v_cndmask_b32_e32 v5, v18, v17, vcc
	v_cndmask_b32_e32 v14, v14, v16, vcc
	v_lshlrev_b32_e32 v2, 24, v2
	v_bfrev_b32_e32 v16, 60
	v_lshlrev_b32_e32 v14, 20, v14
	v_and_b32_e32 v2, 0x80000000, v2
	v_lshl_add_u32 v5, v5, 23, v16
	v_or3_b32 v2, v2, v5, v14
	v_lshrrev_b32_e32 v14, 16, v2
.LBB866_783:
	s_or_b64 exec, exec, s[12:13]
.LBB866_784:
	s_or_b64 exec, exec, s[10:11]
.LBB866_785:
	s_or_b64 exec, exec, s[8:9]
	s_mov_b32 s7, 0x5040100
	v_perm_b32 v11, v11, v12, s7
	ds_read_b128 v[16:19], v22 offset:6160
	v_perm_b32 v10, v3, v10, s7
	v_perm_b32 v3, v14, v15, s7
	;; [unrolled: 1-line block ×3, first 2 shown]
	s_waitcnt lgkmcnt(0)
	v_mfma_f32_16x16x16bf16_1k v[6:9], v[10:11], v[16:17], v[6:9]
	s_load_dword s8, s[42:43], 0x0
	s_movk_i32 s9, 0x7fff
	s_mov_b32 s7, 0x7060302
	v_cmp_gt_u32_e32 vcc, 64, v0
	s_and_b64 s[0:1], vcc, s[0:1]
	s_waitcnt lgkmcnt(0)
	s_barrier
	v_mfma_f32_16x16x16bf16_1k v[2:5], v[2:3], v[18:19], v[6:9]
	s_nop 7
	s_nop 2
	v_pk_mul_f32 v[4:5], v[4:5], s[8:9] op_sel_hi:[1,0]
	v_pk_mul_f32 v[2:3], v[2:3], s[8:9] op_sel_hi:[1,0]
	v_bfe_u32 v6, v3, 16, 1
	v_bfe_u32 v7, v2, 16, 1
	v_bfe_u32 v8, v5, 16, 1
	v_bfe_u32 v9, v4, 16, 1
	v_add3_u32 v2, v2, v7, s9
	v_add3_u32 v3, v3, v6, s9
	;; [unrolled: 1-line block ×4, first 2 shown]
	v_perm_b32 v2, v3, v2, s7
	v_perm_b32 v3, v5, v4, s7
	ds_write_b64 v26, v[2:3]
	s_waitcnt lgkmcnt(0)
	s_barrier
	s_and_saveexec_b64 s[8:9], s[0:1]
	s_cbranch_execz .LBB866_788
; %bb.786:
	s_load_dwordx2 s[4:5], s[4:5], 0x68
	s_lshl_b32 s0, s44, 6
	s_mul_i32 s1, s14, s6
	s_mul_hi_u32 s9, s1, s0
	s_mul_i32 s8, s1, s0
	s_lshl_b64 s[8:9], s[8:9], 1
	s_waitcnt lgkmcnt(0)
	s_add_u32 s1, s4, s8
	v_lshlrev_b32_e32 v0, 10, v0
	s_mov_b32 s7, 0
	s_addc_u32 s8, s5, s9
	s_lshl_b32 s6, s24, 6
	v_and_b32_e32 v0, 0x1800, v0
	v_lshlrev_b32_e32 v2, 5, v1
	v_and_b32_e32 v3, 16, v47
	s_lshl_b64 s[4:5], s[6:7], 1
	v_or3_b32 v0, v0, v2, v3
	s_add_u32 s1, s1, s4
	s_addc_u32 s4, s8, s5
	ds_read_b128 v[4:7], v0
	v_add_u32_e32 v8, s25, v1
	v_mov_b32_e32 v3, s4
	v_add_co_u32_e32 v2, vcc, s1, v46
	v_mad_u64_u32 v[8:9], s[4:5], v8, s0, 0
	v_addc_co_u32_e32 v3, vcc, 0, v3, vcc
	v_lshlrev_b64 v[8:9], 1, v[8:9]
	v_add_co_u32_e32 v8, vcc, v2, v8
	v_addc_co_u32_e32 v9, vcc, v3, v9, vcc
	s_waitcnt lgkmcnt(0)
	global_store_dwordx4 v[8:9], v[4:7], off
	s_and_b64 exec, exec, s[2:3]
	s_cbranch_execz .LBB866_788
; %bb.787:
	ds_read_b128 v[4:7], v0 offset:128
	v_add3_u32 v0, s25, v1, 4
	v_mad_u64_u32 v[0:1], s[0:1], v0, s0, 0
	v_lshlrev_b64 v[0:1], 1, v[0:1]
	v_add_co_u32_e32 v0, vcc, v2, v0
	v_addc_co_u32_e32 v1, vcc, v3, v1, vcc
	s_waitcnt lgkmcnt(0)
	global_store_dwordx4 v[0:1], v[4:7], off
.LBB866_788:
	s_endpgm
	.section	.rodata,"a",@progbits
	.p2align	6, 0x0
	.amdhsa_kernel _Z39paged_attention_ll4mi_QKV_mfma16_kernelI14__hip_bfloat16hLN4vllm18Fp8KVCacheDataTypeE1ES0_Li32ELi64ELi256ELb1ELi5EL8MFMAType0EEvPKT_PKT0_S9_ifPKiSB_SB_iPKfiiiPfSE_PS4_PT2_iSD_SD_
		.amdhsa_group_segment_fixed_size 8192
		.amdhsa_private_segment_fixed_size 0
		.amdhsa_kernarg_size 400
		.amdhsa_user_sgpr_count 6
		.amdhsa_user_sgpr_private_segment_buffer 1
		.amdhsa_user_sgpr_dispatch_ptr 0
		.amdhsa_user_sgpr_queue_ptr 0
		.amdhsa_user_sgpr_kernarg_segment_ptr 1
		.amdhsa_user_sgpr_dispatch_id 0
		.amdhsa_user_sgpr_flat_scratch_init 0
		.amdhsa_user_sgpr_kernarg_preload_length 0
		.amdhsa_user_sgpr_kernarg_preload_offset 0
		.amdhsa_user_sgpr_private_segment_size 0
		.amdhsa_uses_dynamic_stack 0
		.amdhsa_system_sgpr_private_segment_wavefront_offset 0
		.amdhsa_system_sgpr_workgroup_id_x 1
		.amdhsa_system_sgpr_workgroup_id_y 1
		.amdhsa_system_sgpr_workgroup_id_z 1
		.amdhsa_system_sgpr_workgroup_info 0
		.amdhsa_system_vgpr_workitem_id 0
		.amdhsa_next_free_vgpr 63
		.amdhsa_next_free_sgpr 47
		.amdhsa_accum_offset 64
		.amdhsa_reserve_vcc 1
		.amdhsa_reserve_flat_scratch 0
		.amdhsa_float_round_mode_32 0
		.amdhsa_float_round_mode_16_64 0
		.amdhsa_float_denorm_mode_32 3
		.amdhsa_float_denorm_mode_16_64 3
		.amdhsa_dx10_clamp 1
		.amdhsa_ieee_mode 1
		.amdhsa_fp16_overflow 0
		.amdhsa_tg_split 0
		.amdhsa_exception_fp_ieee_invalid_op 0
		.amdhsa_exception_fp_denorm_src 0
		.amdhsa_exception_fp_ieee_div_zero 0
		.amdhsa_exception_fp_ieee_overflow 0
		.amdhsa_exception_fp_ieee_underflow 0
		.amdhsa_exception_fp_ieee_inexact 0
		.amdhsa_exception_int_div_zero 0
	.end_amdhsa_kernel
	.section	.text._Z39paged_attention_ll4mi_QKV_mfma16_kernelI14__hip_bfloat16hLN4vllm18Fp8KVCacheDataTypeE1ES0_Li32ELi64ELi256ELb1ELi5EL8MFMAType0EEvPKT_PKT0_S9_ifPKiSB_SB_iPKfiiiPfSE_PS4_PT2_iSD_SD_,"axG",@progbits,_Z39paged_attention_ll4mi_QKV_mfma16_kernelI14__hip_bfloat16hLN4vllm18Fp8KVCacheDataTypeE1ES0_Li32ELi64ELi256ELb1ELi5EL8MFMAType0EEvPKT_PKT0_S9_ifPKiSB_SB_iPKfiiiPfSE_PS4_PT2_iSD_SD_,comdat
.Lfunc_end866:
	.size	_Z39paged_attention_ll4mi_QKV_mfma16_kernelI14__hip_bfloat16hLN4vllm18Fp8KVCacheDataTypeE1ES0_Li32ELi64ELi256ELb1ELi5EL8MFMAType0EEvPKT_PKT0_S9_ifPKiSB_SB_iPKfiiiPfSE_PS4_PT2_iSD_SD_, .Lfunc_end866-_Z39paged_attention_ll4mi_QKV_mfma16_kernelI14__hip_bfloat16hLN4vllm18Fp8KVCacheDataTypeE1ES0_Li32ELi64ELi256ELb1ELi5EL8MFMAType0EEvPKT_PKT0_S9_ifPKiSB_SB_iPKfiiiPfSE_PS4_PT2_iSD_SD_
                                        ; -- End function
	.section	.AMDGPU.csdata,"",@progbits
; Kernel info:
; codeLenInByte = 28716
; NumSgprs: 51
; NumVgprs: 63
; NumAgprs: 0
; TotalNumVgprs: 63
; ScratchSize: 0
; MemoryBound: 0
; FloatMode: 240
; IeeeMode: 1
; LDSByteSize: 8192 bytes/workgroup (compile time only)
; SGPRBlocks: 6
; VGPRBlocks: 7
; NumSGPRsForWavesPerEU: 51
; NumVGPRsForWavesPerEU: 63
; AccumOffset: 64
; Occupancy: 8
; WaveLimiterHint : 1
; COMPUTE_PGM_RSRC2:SCRATCH_EN: 0
; COMPUTE_PGM_RSRC2:USER_SGPR: 6
; COMPUTE_PGM_RSRC2:TRAP_HANDLER: 0
; COMPUTE_PGM_RSRC2:TGID_X_EN: 1
; COMPUTE_PGM_RSRC2:TGID_Y_EN: 1
; COMPUTE_PGM_RSRC2:TGID_Z_EN: 1
; COMPUTE_PGM_RSRC2:TIDIG_COMP_CNT: 0
; COMPUTE_PGM_RSRC3_GFX90A:ACCUM_OFFSET: 15
; COMPUTE_PGM_RSRC3_GFX90A:TG_SPLIT: 0
	.section	.text._Z39paged_attention_ll4mi_QKV_mfma16_kernelI14__hip_bfloat16hLN4vllm18Fp8KVCacheDataTypeE1ES0_Li32ELi64ELi256ELb1ELi6EL8MFMAType0EEvPKT_PKT0_S9_ifPKiSB_SB_iPKfiiiPfSE_PS4_PT2_iSD_SD_,"axG",@progbits,_Z39paged_attention_ll4mi_QKV_mfma16_kernelI14__hip_bfloat16hLN4vllm18Fp8KVCacheDataTypeE1ES0_Li32ELi64ELi256ELb1ELi6EL8MFMAType0EEvPKT_PKT0_S9_ifPKiSB_SB_iPKfiiiPfSE_PS4_PT2_iSD_SD_,comdat
	.protected	_Z39paged_attention_ll4mi_QKV_mfma16_kernelI14__hip_bfloat16hLN4vllm18Fp8KVCacheDataTypeE1ES0_Li32ELi64ELi256ELb1ELi6EL8MFMAType0EEvPKT_PKT0_S9_ifPKiSB_SB_iPKfiiiPfSE_PS4_PT2_iSD_SD_ ; -- Begin function _Z39paged_attention_ll4mi_QKV_mfma16_kernelI14__hip_bfloat16hLN4vllm18Fp8KVCacheDataTypeE1ES0_Li32ELi64ELi256ELb1ELi6EL8MFMAType0EEvPKT_PKT0_S9_ifPKiSB_SB_iPKfiiiPfSE_PS4_PT2_iSD_SD_
	.globl	_Z39paged_attention_ll4mi_QKV_mfma16_kernelI14__hip_bfloat16hLN4vllm18Fp8KVCacheDataTypeE1ES0_Li32ELi64ELi256ELb1ELi6EL8MFMAType0EEvPKT_PKT0_S9_ifPKiSB_SB_iPKfiiiPfSE_PS4_PT2_iSD_SD_
	.p2align	8
	.type	_Z39paged_attention_ll4mi_QKV_mfma16_kernelI14__hip_bfloat16hLN4vllm18Fp8KVCacheDataTypeE1ES0_Li32ELi64ELi256ELb1ELi6EL8MFMAType0EEvPKT_PKT0_S9_ifPKiSB_SB_iPKfiiiPfSE_PS4_PT2_iSD_SD_,@function
_Z39paged_attention_ll4mi_QKV_mfma16_kernelI14__hip_bfloat16hLN4vllm18Fp8KVCacheDataTypeE1ES0_Li32ELi64ELi256ELb1ELi6EL8MFMAType0EEvPKT_PKT0_S9_ifPKiSB_SB_iPKfiiiPfSE_PS4_PT2_iSD_SD_: ; @_Z39paged_attention_ll4mi_QKV_mfma16_kernelI14__hip_bfloat16hLN4vllm18Fp8KVCacheDataTypeE1ES0_Li32ELi64ELi256ELb1ELi6EL8MFMAType0EEvPKT_PKT0_S9_ifPKiSB_SB_iPKfiiiPfSE_PS4_PT2_iSD_SD_
; %bb.0:
	s_load_dwordx2 s[0:1], s[4:5], 0x30
	s_mov_b32 s24, s7
	s_mov_b64 s[10:11], 0
	s_waitcnt lgkmcnt(0)
	s_cmp_lg_u64 s[0:1], 0
	s_cselect_b64 s[2:3], -1, 0
	s_and_b64 vcc, exec, s[2:3]
	s_cbranch_vccz .LBB867_7
; %bb.1:
	s_add_i32 s12, s6, 1
	s_mov_b32 s13, 0
	s_lshl_b64 s[14:15], s[12:13], 2
	s_add_u32 s14, s0, s14
	s_mov_b32 s7, s13
	s_addc_u32 s15, s1, s15
	s_lshl_b64 s[12:13], s[6:7], 2
	s_add_u32 s12, s0, s12
	s_addc_u32 s13, s1, s13
	s_load_dword s9, s[14:15], 0x0
	s_load_dword s16, s[12:13], 0x0
	s_waitcnt lgkmcnt(0)
	s_sub_i32 s9, s9, s16
	s_cmp_eq_u32 s9, 1
	s_cselect_b64 s[12:13], -1, 0
	s_andn2_b64 vcc, exec, s[10:11]
	s_cbranch_vccnz .LBB867_3
.LBB867_2:
	s_mov_b32 s7, 0
	s_mov_b64 s[12:13], -1
.LBB867_3:
	s_andn2_b64 vcc, exec, s[12:13]
	s_cbranch_vccnz .LBB867_788
; %bb.4:
	s_load_dwordx2 s[12:13], s[4:5], 0x28
	s_lshl_b64 s[10:11], s[6:7], 2
	s_waitcnt lgkmcnt(0)
	s_add_u32 s12, s12, s10
	s_addc_u32 s13, s13, s11
	s_load_dword s33, s[12:13], 0x0
	s_lshl_b32 s18, s24, 8
	s_waitcnt lgkmcnt(0)
	s_cmp_ge_i32 s18, s33
	s_cbranch_scc1 .LBB867_788
; %bb.5:
	s_add_i32 s14, s33, 31
	s_load_dwordx2 s[12:13], s[4:5], 0x20
	s_load_dword s9, s[4:5], 0x38
	s_ashr_i32 s15, s14, 31
	v_and_b32_e32 v1, 0xcf, v0
	s_lshr_b32 s15, s15, 27
	v_add_u32_e32 v1, s18, v1
	s_add_i32 s14, s14, s15
	v_ashrrev_i32_e32 v2, 31, v1
	s_ashr_i32 s21, s14, 5
	v_lshrrev_b32_e32 v4, 27, v2
	s_add_i32 s21, s21, -1
	v_add_u32_e32 v2, v1, v4
	s_waitcnt lgkmcnt(0)
	s_mul_i32 s14, s6, s9
	s_mov_b32 s15, 0
	v_ashrrev_i32_e32 v2, 5, v2
	v_mov_b32_e32 v5, s21
	v_cmp_gt_i32_e32 vcc, s33, v1
	s_lshl_b64 s[14:15], s[14:15], 2
	v_cndmask_b32_e32 v2, v5, v2, vcc
	s_add_u32 s19, s12, s14
	v_ashrrev_i32_e32 v3, 31, v2
	s_addc_u32 s20, s13, s15
	v_lshlrev_b64 v[2:3], 2, v[2:3]
	v_mov_b32_e32 v7, s20
	v_add_co_u32_e32 v6, vcc, s19, v2
	v_or_b32_e32 v2, 16, v1
	v_addc_co_u32_e32 v7, vcc, v7, v3, vcc
	v_add_u32_e32 v3, v2, v4
	v_ashrrev_i32_e32 v3, 5, v3
	v_cmp_gt_i32_e32 vcc, s33, v2
	v_cndmask_b32_e32 v2, v5, v3, vcc
	v_ashrrev_i32_e32 v3, 31, v2
	v_lshlrev_b64 v[2:3], 2, v[2:3]
	v_mov_b32_e32 v9, s20
	v_add_co_u32_e32 v8, vcc, s19, v2
	v_or_b32_e32 v2, 32, v1
	v_addc_co_u32_e32 v9, vcc, v9, v3, vcc
	v_add_u32_e32 v3, v2, v4
	v_ashrrev_i32_e32 v3, 5, v3
	v_cmp_gt_i32_e32 vcc, s33, v2
	v_cndmask_b32_e32 v2, v5, v3, vcc
	v_ashrrev_i32_e32 v3, 31, v2
	;; [unrolled: 10-line block ×3, first 2 shown]
	v_lshlrev_b64 v[2:3], 2, v[2:3]
	v_mov_b32_e32 v1, s20
	v_add_co_u32_e32 v12, vcc, s19, v2
	v_addc_co_u32_e32 v13, vcc, v1, v3, vcc
	global_load_dword v5, v[6:7], off
	global_load_dword v4, v[8:9], off
	;; [unrolled: 1-line block ×4, first 2 shown]
	s_load_dwordx2 s[16:17], s[4:5], 0x8
	s_andn2_b64 vcc, exec, s[2:3]
	s_cbranch_vccnz .LBB867_8
; %bb.6:
	s_add_u32 s0, s0, s10
	s_addc_u32 s1, s1, s11
	s_load_dword s9, s[0:1], 0x0
	s_branch .LBB867_9
.LBB867_7:
	s_mov_b64 s[12:13], 0
	s_branch .LBB867_2
.LBB867_8:
	s_mov_b32 s9, s6
.LBB867_9:
	s_load_dwordx2 s[2:3], s[4:5], 0x10
	s_load_dwordx4 s[12:15], s[4:5], 0x48
	v_lshrrev_b32_e32 v50, 6, v0
	v_bfe_u32 v1, v0, 4, 2
	v_lshl_or_b32 v6, v50, 2, v1
	v_and_b32_e32 v49, 15, v0
	v_lshlrev_b32_e32 v7, 3, v49
	v_cmp_gt_u32_e32 vcc, 6, v6
	v_cmp_gt_u32_e64 s[0:1], 8, v49
	s_mul_i32 s25, s8, 6
	s_and_b64 s[22:23], s[0:1], vcc
	v_lshlrev_b32_e32 v46, 1, v7
	v_lshlrev_b32_e32 v47, 4, v0
	s_and_saveexec_b64 s[10:11], s[22:23]
	s_cbranch_execz .LBB867_11
; %bb.10:
	s_load_dwordx2 s[22:23], s[4:5], 0x0
	s_waitcnt lgkmcnt(0)
	s_ashr_i32 s15, s12, 31
	s_mul_hi_u32 s26, s9, s12
	s_mul_i32 s15, s9, s15
	s_add_i32 s27, s26, s15
	s_mul_i32 s26, s9, s12
	s_lshl_b64 s[26:27], s[26:27], 1
	v_add_lshl_u32 v8, v6, s25, 6
	s_add_u32 s9, s22, s26
	v_ashrrev_i32_e32 v9, 31, v8
	s_addc_u32 s12, s23, s27
	v_lshlrev_b64 v[8:9], 1, v[8:9]
	v_mov_b32_e32 v7, s12
	v_add_co_u32_e32 v8, vcc, s9, v8
	v_addc_co_u32_e32 v7, vcc, v7, v9, vcc
	v_add_co_u32_e32 v8, vcc, v8, v46
	v_addc_co_u32_e32 v9, vcc, 0, v7, vcc
	global_load_dwordx4 v[8:11], v[8:9], off
	v_lshlrev_b32_e32 v12, 8, v49
	v_lshlrev_b32_e32 v6, 5, v6
	v_and_b32_e32 v7, 16, v47
	v_and_b32_e32 v12, 0xe00, v12
	v_or3_b32 v6, v12, v6, v7
	s_waitcnt vmcnt(0)
	ds_write_b128 v6, v[8:11]
.LBB867_11:
	s_or_b64 exec, exec, s[10:11]
	s_waitcnt lgkmcnt(0)
	s_mul_i32 s10, s8, s14
	s_add_u32 s8, s16, s10
	s_addc_u32 s9, s17, 0
	v_pk_mov_b32 v[8:9], s[8:9], s[8:9] op_sel:[0,1]
	s_waitcnt vmcnt(3)
	v_mad_i64_i32 v[10:11], s[8:9], v5, s13, v[8:9]
	v_lshlrev_b32_e32 v12, 4, v49
	v_and_b32_e32 v6, 48, v0
	v_add_co_u32_e32 v5, vcc, v10, v12
	v_lshlrev_b32_e32 v7, 5, v6
	v_addc_co_u32_e32 v11, vcc, 0, v11, vcc
	v_add_co_u32_e32 v10, vcc, v5, v7
	v_addc_co_u32_e32 v11, vcc, 0, v11, vcc
	s_waitcnt vmcnt(2)
	v_mad_i64_i32 v[4:5], s[8:9], v4, s13, v[8:9]
	v_or_b32_e32 v13, 0x100, v12
	v_add_co_u32_e32 v4, vcc, v4, v13
	v_addc_co_u32_e32 v5, vcc, 0, v5, vcc
	v_add_co_u32_e32 v4, vcc, v4, v7
	v_addc_co_u32_e32 v5, vcc, 0, v5, vcc
	s_barrier
	global_load_dwordx4 v[34:37], v[10:11], off
	global_load_dwordx4 v[38:41], v[4:5], off
	s_waitcnt vmcnt(3)
	v_mad_i64_i32 v[4:5], s[8:9], v3, s13, v[8:9]
	v_add_co_u32_e32 v3, vcc, v4, v12
	v_addc_co_u32_e32 v5, vcc, 0, v5, vcc
	v_add_co_u32_e32 v4, vcc, v3, v7
	v_addc_co_u32_e32 v5, vcc, 0, v5, vcc
	s_waitcnt vmcnt(2)
	v_mad_i64_i32 v[2:3], s[8:9], v2, s13, v[8:9]
	v_add_co_u32_e32 v2, vcc, v2, v13
	v_addc_co_u32_e32 v3, vcc, 0, v3, vcc
	v_add_co_u32_e32 v2, vcc, v2, v7
	v_addc_co_u32_e32 v3, vcc, 0, v3, vcc
	global_load_dwordx4 v[30:33], v[4:5], off
	global_load_dwordx4 v[22:25], v[2:3], off
	v_mul_lo_u16_e32 v2, 43, v49
	v_mov_b32_e32 v3, 6
	v_mul_lo_u16_sdwa v2, v2, v3 dst_sel:DWORD dst_unused:UNUSED_PAD src0_sel:BYTE_1 src1_sel:DWORD
	v_sub_u16_e32 v2, v49, v2
	v_mov_b32_e32 v3, 5
	v_lshlrev_b32_sdwa v2, v3, v2 dst_sel:DWORD dst_unused:UNUSED_PAD src0_sel:DWORD src1_sel:BYTE_0
	v_lshl_add_u32 v2, v1, 9, v2
	ds_read_b128 v[26:29], v2
	ds_read_b128 v[18:21], v2 offset:16
	v_cmp_gt_u32_e32 vcc, 6, v49
	v_mov_b32_e32 v43, 0
	v_mov_b32_e32 v51, 0
	s_and_saveexec_b64 s[8:9], vcc
	s_cbranch_execz .LBB867_13
; %bb.12:
	s_load_dwordx2 s[14:15], s[4:5], 0x40
	v_add_u32_e32 v2, s25, v49
	v_ashrrev_i32_e32 v3, 31, v2
	v_lshlrev_b64 v[2:3], 2, v[2:3]
	s_waitcnt lgkmcnt(0)
	v_mov_b32_e32 v4, s15
	v_add_co_u32_e32 v2, vcc, s14, v2
	v_addc_co_u32_e32 v3, vcc, v4, v3, vcc
	global_load_dword v51, v[2:3], off
.LBB867_13:
	s_or_b64 exec, exec, s[8:9]
	s_ashr_i32 s8, s18, 31
	v_or_b32_e32 v8, s18, v6
	s_lshr_b32 s8, s8, 27
	v_add_u32_e32 v2, s8, v8
	v_ashrrev_i32_e32 v2, 5, v2
	v_mov_b32_e32 v9, s21
	v_cmp_gt_i32_e32 vcc, s33, v8
	v_cndmask_b32_e32 v2, v9, v2, vcc
	v_ashrrev_i32_e32 v3, 31, v2
	v_lshlrev_b64 v[2:3], 2, v[2:3]
	v_mov_b32_e32 v4, s20
	v_add_co_u32_e32 v2, vcc, s19, v2
	v_addc_co_u32_e32 v3, vcc, v4, v3, vcc
	v_or_b32_e32 v4, 64, v8
	v_add_u32_e32 v5, s8, v4
	v_ashrrev_i32_e32 v5, 5, v5
	v_cmp_gt_i32_e32 vcc, s33, v4
	v_cndmask_b32_e32 v4, v9, v5, vcc
	v_ashrrev_i32_e32 v5, 31, v4
	v_lshlrev_b64 v[4:5], 2, v[4:5]
	v_mov_b32_e32 v6, s20
	v_add_co_u32_e32 v4, vcc, s19, v4
	v_addc_co_u32_e32 v5, vcc, v6, v5, vcc
	v_or_b32_e32 v6, 0x80, v8
	v_add_u32_e32 v7, s8, v6
	v_ashrrev_i32_e32 v7, 5, v7
	v_cmp_gt_i32_e32 vcc, s33, v6
	v_cndmask_b32_e32 v6, v9, v7, vcc
	v_ashrrev_i32_e32 v7, 31, v6
	v_lshlrev_b64 v[6:7], 2, v[6:7]
	v_mov_b32_e32 v10, s20
	v_add_co_u32_e32 v6, vcc, s19, v6
	v_addc_co_u32_e32 v7, vcc, v10, v7, vcc
	global_load_dword v10, v[2:3], off
	global_load_dword v11, v[4:5], off
	;; [unrolled: 1-line block ×3, first 2 shown]
	v_or_b32_e32 v2, 0xc0, v8
	v_add_u32_e32 v3, s8, v2
	v_ashrrev_i32_e32 v3, 5, v3
	v_cmp_gt_i32_e32 vcc, s33, v2
	v_cndmask_b32_e32 v2, v9, v3, vcc
	v_ashrrev_i32_e32 v3, 31, v2
	v_lshlrev_b64 v[2:3], 2, v[2:3]
	v_mov_b32_e32 v4, s20
	v_add_co_u32_e32 v2, vcc, s19, v2
	v_addc_co_u32_e32 v3, vcc, v4, v3, vcc
	global_load_dword v13, v[2:3], off
	s_add_u32 s2, s2, s10
	v_and_b32_e32 v2, 16, v0
	s_addc_u32 s3, s3, 0
	v_lshlrev_b32_e32 v48, 5, v49
	v_mov_b32_e32 v4, s3
	v_add_co_u32_e32 v2, vcc, s2, v2
	v_lshl_or_b32 v3, v50, 9, v48
	v_addc_co_u32_e32 v4, vcc, 0, v4, vcc
	v_add_co_u32_e32 v2, vcc, v2, v3
	v_addc_co_u32_e32 v3, vcc, 0, v4, vcc
	s_movk_i32 s8, 0x80
	s_waitcnt vmcnt(7)
	v_cmp_ne_u16_sdwa s[10:11], v34, v43 src0_sel:BYTE_0 src1_sel:DWORD
	s_waitcnt vmcnt(3)
	v_mad_i64_i32 v[4:5], s[2:3], v10, s13, v[2:3]
	s_waitcnt vmcnt(2)
	v_mad_i64_i32 v[6:7], s[2:3], v11, s13, v[2:3]
	;; [unrolled: 2-line block ×4, first 2 shown]
	global_load_dwordx4 v[14:17], v[4:5], off
	global_load_dwordx4 v[10:13], v[6:7], off
	s_nop 0
	global_load_dwordx4 v[6:9], v[8:9], off
	s_nop 0
	global_load_dwordx4 v[2:5], v[2:3], off
	s_load_dwordx4 s[40:43], s[4:5], 0x80
	s_load_dwordx2 s[44:45], s[4:5], 0x94
	s_waitcnt lgkmcnt(0)
	s_load_dword s12, s[40:41], 0x0
	s_and_saveexec_b64 s[2:3], s[10:11]
	s_cbranch_execz .LBB867_19
; %bb.14:
	v_cmp_ne_u16_sdwa s[10:11], v34, s8 src0_sel:BYTE_0 src1_sel:DWORD
	v_mov_b32_e32 v43, 0xffff8000
	s_and_saveexec_b64 s[8:9], s[10:11]
	s_cbranch_execz .LBB867_18
; %bb.15:
	s_movk_i32 s10, 0x7f
	v_and_b32_e32 v42, 0x7f, v34
	v_cmp_ne_u32_e32 vcc, s10, v42
	v_mov_b32_e32 v43, 0x7f80
	s_and_saveexec_b64 s[10:11], vcc
	s_cbranch_execz .LBB867_17
; %bb.16:
	v_and_b32_e32 v43, 7, v34
	v_ffbh_u32_e32 v44, v43
	v_min_u32_e32 v53, 32, v44
	v_subrev_u32_e32 v44, 28, v53
	v_lshlrev_b64 v[44:45], v44, v[34:35]
	v_lshrrev_b32_e32 v52, 3, v42
	v_sub_u32_e32 v45, 29, v53
	v_and_b32_e32 v44, 7, v44
	v_cmp_gt_u32_e32 vcc, 8, v42
	v_cndmask_b32_e32 v42, v52, v45, vcc
	v_cndmask_b32_e32 v43, v43, v44, vcc
	v_lshlrev_b32_e32 v44, 24, v34
	v_bfrev_b32_e32 v45, 60
	v_lshlrev_b32_e32 v43, 20, v43
	v_and_b32_e32 v44, 0x80000000, v44
	v_lshl_add_u32 v42, v42, 23, v45
	v_or3_b32 v42, v44, v42, v43
	v_lshrrev_b32_e32 v43, 16, v42
.LBB867_17:
	s_or_b64 exec, exec, s[10:11]
.LBB867_18:
	s_or_b64 exec, exec, s[8:9]
.LBB867_19:
	s_or_b64 exec, exec, s[2:3]
	v_lshrrev_b16_e32 v42, 8, v34
	v_cmp_ne_u16_e32 vcc, 0, v42
	v_mov_b32_e32 v45, 0
	v_mov_b32_e32 v44, 0
	s_and_saveexec_b64 s[2:3], vcc
	s_cbranch_execz .LBB867_25
; %bb.20:
	s_movk_i32 s8, 0x80
	v_cmp_ne_u16_e32 vcc, s8, v42
	v_mov_b32_e32 v44, 0xffff8000
	s_and_saveexec_b64 s[8:9], vcc
	s_cbranch_execz .LBB867_24
; %bb.21:
	s_movk_i32 s10, 0x7f
	v_and_b32_e32 v52, 0x7f, v42
	v_cmp_ne_u32_e32 vcc, s10, v52
	v_mov_b32_e32 v44, 0x7f80
	s_and_saveexec_b64 s[10:11], vcc
	s_cbranch_execz .LBB867_23
; %bb.22:
	v_and_b32_e32 v44, 7, v42
	v_ffbh_u32_e32 v54, v44
	v_min_u32_e32 v56, 32, v54
	v_subrev_u32_e32 v54, 28, v56
	v_lshlrev_b64 v[54:55], v54, v[42:43]
	v_lshrrev_b32_e32 v53, 3, v52
	v_sub_u32_e32 v42, 29, v56
	v_and_b32_e32 v54, 7, v54
	v_cmp_gt_u32_e32 vcc, 8, v52
	v_cndmask_b32_e32 v42, v53, v42, vcc
	v_cndmask_b32_e32 v44, v44, v54, vcc
	v_lshlrev_b32_e32 v52, 16, v34
	v_bfrev_b32_e32 v53, 60
	v_lshlrev_b32_e32 v44, 20, v44
	v_and_b32_e32 v52, 0x80000000, v52
	v_lshl_add_u32 v42, v42, 23, v53
	v_or3_b32 v42, v52, v42, v44
	v_lshrrev_b32_e32 v44, 16, v42
.LBB867_23:
	s_or_b64 exec, exec, s[10:11]
.LBB867_24:
	s_or_b64 exec, exec, s[8:9]
.LBB867_25:
	s_or_b64 exec, exec, s[2:3]
	s_movk_i32 s2, 0xff
	v_and_b32_sdwa v52, v34, s2 dst_sel:DWORD dst_unused:UNUSED_PAD src0_sel:WORD_1 src1_sel:DWORD
	v_lshrrev_b32_e32 v42, 16, v34
	v_cmp_ne_u16_e32 vcc, 0, v52
	s_and_saveexec_b64 s[2:3], vcc
	s_cbranch_execz .LBB867_31
; %bb.26:
	s_movk_i32 s8, 0x80
	v_cmp_ne_u16_e32 vcc, s8, v52
	v_mov_b32_e32 v45, 0xffff8000
	s_and_saveexec_b64 s[8:9], vcc
	s_cbranch_execz .LBB867_30
; %bb.27:
	v_bfe_u32 v52, v34, 16, 7
	s_movk_i32 s10, 0x7f
	v_cmp_ne_u32_e32 vcc, s10, v52
	v_mov_b32_e32 v45, 0x7f80
	s_and_saveexec_b64 s[10:11], vcc
	s_cbranch_execz .LBB867_29
; %bb.28:
	v_and_b32_e32 v45, 7, v42
	v_ffbh_u32_e32 v54, v45
	v_min_u32_e32 v56, 32, v54
	v_subrev_u32_e32 v54, 28, v56
	v_lshlrev_b64 v[54:55], v54, v[42:43]
	v_lshrrev_b32_e32 v53, 3, v52
	v_sub_u32_e32 v42, 29, v56
	v_and_b32_e32 v54, 7, v54
	v_cmp_gt_u32_e32 vcc, 8, v52
	v_mov_b32_e32 v52, 24
	v_cndmask_b32_e32 v42, v53, v42, vcc
	v_cndmask_b32_e32 v45, v45, v54, vcc
	v_lshlrev_b32_sdwa v52, v52, v34 dst_sel:DWORD dst_unused:UNUSED_PAD src0_sel:DWORD src1_sel:WORD_1
	v_bfrev_b32_e32 v53, 60
	v_lshlrev_b32_e32 v45, 20, v45
	v_and_b32_e32 v52, 0x80000000, v52
	v_lshl_add_u32 v42, v42, 23, v53
	v_or3_b32 v42, v52, v42, v45
	v_lshrrev_b32_e32 v45, 16, v42
.LBB867_29:
	s_or_b64 exec, exec, s[10:11]
.LBB867_30:
	s_or_b64 exec, exec, s[8:9]
.LBB867_31:
	s_or_b64 exec, exec, s[2:3]
	s_mov_b32 s2, 0xffffff
	v_cmp_lt_u32_e32 vcc, s2, v34
	v_mov_b32_e32 v53, 0
	v_mov_b32_e32 v54, 0
	s_and_saveexec_b64 s[2:3], vcc
	s_cbranch_execz .LBB867_37
; %bb.32:
	v_lshrrev_b32_e32 v42, 24, v34
	s_movk_i32 s8, 0x80
	v_cmp_ne_u32_e32 vcc, s8, v42
	v_mov_b32_e32 v54, 0xffff8000
	s_and_saveexec_b64 s[8:9], vcc
	s_cbranch_execz .LBB867_36
; %bb.33:
	v_bfe_u32 v34, v34, 24, 7
	s_movk_i32 s10, 0x7f
	v_cmp_ne_u32_e32 vcc, s10, v34
	v_mov_b32_e32 v54, 0x7f80
	s_and_saveexec_b64 s[10:11], vcc
	s_cbranch_execz .LBB867_35
; %bb.34:
	v_and_b32_e32 v52, 7, v42
	v_ffbh_u32_e32 v54, v52
	v_min_u32_e32 v57, 32, v54
	v_subrev_u32_e32 v54, 28, v57
	v_lshlrev_b64 v[54:55], v54, v[42:43]
	v_lshrrev_b32_e32 v56, 3, v34
	v_sub_u32_e32 v55, 29, v57
	v_and_b32_e32 v54, 7, v54
	v_cmp_gt_u32_e32 vcc, 8, v34
	v_cndmask_b32_e32 v34, v56, v55, vcc
	v_cndmask_b32_e32 v52, v52, v54, vcc
	v_lshlrev_b32_e32 v42, 24, v42
	v_bfrev_b32_e32 v54, 60
	v_lshlrev_b32_e32 v52, 20, v52
	v_and_b32_e32 v42, 0x80000000, v42
	v_lshl_add_u32 v34, v34, 23, v54
	v_or3_b32 v34, v42, v34, v52
	v_lshrrev_b32_e32 v54, 16, v34
.LBB867_35:
	s_or_b64 exec, exec, s[10:11]
.LBB867_36:
	s_or_b64 exec, exec, s[8:9]
.LBB867_37:
	s_or_b64 exec, exec, s[2:3]
	v_cmp_ne_u16_sdwa s[8:9], v35, v53 src0_sel:BYTE_0 src1_sel:DWORD
	s_and_saveexec_b64 s[2:3], s[8:9]
	s_cbranch_execz .LBB867_43
; %bb.38:
	s_movk_i32 s8, 0x80
	v_cmp_ne_u16_sdwa s[10:11], v35, s8 src0_sel:BYTE_0 src1_sel:DWORD
	v_mov_b32_e32 v53, 0xffff8000
	s_and_saveexec_b64 s[8:9], s[10:11]
	s_cbranch_execz .LBB867_42
; %bb.39:
	s_movk_i32 s10, 0x7f
	v_and_b32_e32 v34, 0x7f, v35
	v_cmp_ne_u32_e32 vcc, s10, v34
	v_mov_b32_e32 v53, 0x7f80
	s_and_saveexec_b64 s[10:11], vcc
	s_cbranch_execz .LBB867_41
; %bb.40:
	v_and_b32_e32 v55, 7, v35
	v_ffbh_u32_e32 v52, v55
	v_min_u32_e32 v57, 32, v52
	v_mov_b32_e32 v42, v35
	v_subrev_u32_e32 v52, 28, v57
	v_lshlrev_b64 v[52:53], v52, v[42:43]
	v_lshrrev_b32_e32 v56, 3, v34
	v_sub_u32_e32 v42, 29, v57
	v_and_b32_e32 v52, 7, v52
	v_cmp_gt_u32_e32 vcc, 8, v34
	v_cndmask_b32_e32 v34, v56, v42, vcc
	v_cndmask_b32_e32 v42, v55, v52, vcc
	v_lshlrev_b32_e32 v52, 24, v35
	v_bfrev_b32_e32 v53, 60
	v_lshlrev_b32_e32 v42, 20, v42
	v_and_b32_e32 v52, 0x80000000, v52
	v_lshl_add_u32 v34, v34, 23, v53
	v_or3_b32 v34, v52, v34, v42
	v_lshrrev_b32_e32 v53, 16, v34
.LBB867_41:
	s_or_b64 exec, exec, s[10:11]
.LBB867_42:
	s_or_b64 exec, exec, s[8:9]
.LBB867_43:
	s_or_b64 exec, exec, s[2:3]
	v_lshrrev_b16_e32 v34, 8, v35
	v_cmp_ne_u16_e32 vcc, 0, v34
	v_mov_b32_e32 v55, 0
	v_mov_b32_e32 v42, 0
	s_and_saveexec_b64 s[2:3], vcc
	s_cbranch_execz .LBB867_49
; %bb.44:
	s_movk_i32 s8, 0x80
	v_cmp_ne_u16_e32 vcc, s8, v34
	v_mov_b32_e32 v42, 0xffff8000
	s_and_saveexec_b64 s[8:9], vcc
	s_cbranch_execz .LBB867_48
; %bb.45:
	s_movk_i32 s10, 0x7f
	v_and_b32_e32 v52, 0x7f, v34
	v_cmp_ne_u32_e32 vcc, s10, v52
	v_mov_b32_e32 v42, 0x7f80
	s_and_saveexec_b64 s[10:11], vcc
	s_cbranch_execz .LBB867_47
; %bb.46:
	v_and_b32_e32 v42, 7, v34
	v_ffbh_u32_e32 v56, v42
	v_min_u32_e32 v59, 32, v56
	v_subrev_u32_e32 v56, 28, v59
	v_lshlrev_b64 v[56:57], v56, v[34:35]
	v_lshrrev_b32_e32 v58, 3, v52
	v_sub_u32_e32 v34, 29, v59
	v_and_b32_e32 v56, 7, v56
	v_cmp_gt_u32_e32 vcc, 8, v52
	v_cndmask_b32_e32 v34, v58, v34, vcc
	v_cndmask_b32_e32 v42, v42, v56, vcc
	v_lshlrev_b32_e32 v52, 16, v35
	v_bfrev_b32_e32 v56, 60
	v_lshlrev_b32_e32 v42, 20, v42
	v_and_b32_e32 v52, 0x80000000, v52
	v_lshl_add_u32 v34, v34, 23, v56
	v_or3_b32 v34, v52, v34, v42
	v_lshrrev_b32_e32 v42, 16, v34
.LBB867_47:
	s_or_b64 exec, exec, s[10:11]
.LBB867_48:
	s_or_b64 exec, exec, s[8:9]
.LBB867_49:
	s_or_b64 exec, exec, s[2:3]
	s_movk_i32 s2, 0xff
	v_and_b32_sdwa v52, v35, s2 dst_sel:DWORD dst_unused:UNUSED_PAD src0_sel:WORD_1 src1_sel:DWORD
	v_lshrrev_b32_e32 v34, 16, v35
	v_cmp_ne_u16_e32 vcc, 0, v52
	s_and_saveexec_b64 s[2:3], vcc
	s_cbranch_execz .LBB867_55
; %bb.50:
	s_movk_i32 s8, 0x80
	v_cmp_ne_u16_e32 vcc, s8, v52
	v_mov_b32_e32 v55, 0xffff8000
	s_and_saveexec_b64 s[8:9], vcc
	s_cbranch_execz .LBB867_54
; %bb.51:
	v_bfe_u32 v52, v35, 16, 7
	s_movk_i32 s10, 0x7f
	v_cmp_ne_u32_e32 vcc, s10, v52
	v_mov_b32_e32 v55, 0x7f80
	s_and_saveexec_b64 s[10:11], vcc
	s_cbranch_execz .LBB867_53
; %bb.52:
	v_and_b32_e32 v55, 7, v34
	v_ffbh_u32_e32 v56, v55
	v_min_u32_e32 v59, 32, v56
	v_subrev_u32_e32 v56, 28, v59
	v_lshlrev_b64 v[56:57], v56, v[34:35]
	v_and_b32_e32 v56, 7, v56
	v_cmp_gt_u32_e32 vcc, 8, v52
	v_lshrrev_b32_e32 v58, 3, v52
	v_sub_u32_e32 v34, 29, v59
	v_cndmask_b32_e32 v52, v55, v56, vcc
	v_mov_b32_e32 v55, 24
	v_cndmask_b32_e32 v34, v58, v34, vcc
	v_lshlrev_b32_sdwa v55, v55, v35 dst_sel:DWORD dst_unused:UNUSED_PAD src0_sel:DWORD src1_sel:WORD_1
	v_bfrev_b32_e32 v56, 60
	v_lshlrev_b32_e32 v52, 20, v52
	v_and_b32_e32 v55, 0x80000000, v55
	v_lshl_add_u32 v34, v34, 23, v56
	v_or3_b32 v34, v55, v34, v52
	v_lshrrev_b32_e32 v55, 16, v34
.LBB867_53:
	s_or_b64 exec, exec, s[10:11]
.LBB867_54:
	s_or_b64 exec, exec, s[8:9]
.LBB867_55:
	s_or_b64 exec, exec, s[2:3]
	s_mov_b32 s2, 0xffffff
	v_cmp_lt_u32_e32 vcc, s2, v35
	v_mov_b32_e32 v52, 0
	v_mov_b32_e32 v56, 0
	s_and_saveexec_b64 s[2:3], vcc
	s_cbranch_execz .LBB867_61
; %bb.56:
	v_lshrrev_b32_e32 v34, 24, v35
	s_movk_i32 s8, 0x80
	v_cmp_ne_u32_e32 vcc, s8, v34
	v_mov_b32_e32 v56, 0xffff8000
	s_and_saveexec_b64 s[8:9], vcc
	s_cbranch_execz .LBB867_60
; %bb.57:
	v_bfe_u32 v35, v35, 24, 7
	s_movk_i32 s10, 0x7f
	v_cmp_ne_u32_e32 vcc, s10, v35
	v_mov_b32_e32 v56, 0x7f80
	s_and_saveexec_b64 s[10:11], vcc
	s_cbranch_execz .LBB867_59
; %bb.58:
	v_and_b32_e32 v58, 7, v34
	v_ffbh_u32_e32 v56, v58
	v_min_u32_e32 v60, 32, v56
	v_subrev_u32_e32 v56, 28, v60
	v_lshlrev_b64 v[56:57], v56, v[34:35]
	v_lshrrev_b32_e32 v59, 3, v35
	v_sub_u32_e32 v57, 29, v60
	v_and_b32_e32 v56, 7, v56
	v_cmp_gt_u32_e32 vcc, 8, v35
	v_cndmask_b32_e32 v35, v59, v57, vcc
	v_cndmask_b32_e32 v56, v58, v56, vcc
	v_lshlrev_b32_e32 v34, 24, v34
	v_bfrev_b32_e32 v57, 60
	v_lshlrev_b32_e32 v56, 20, v56
	v_and_b32_e32 v34, 0x80000000, v34
	v_lshl_add_u32 v35, v35, 23, v57
	v_or3_b32 v34, v34, v35, v56
	v_lshrrev_b32_e32 v56, 16, v34
.LBB867_59:
	s_or_b64 exec, exec, s[10:11]
.LBB867_60:
	s_or_b64 exec, exec, s[8:9]
.LBB867_61:
	s_or_b64 exec, exec, s[2:3]
	s_mov_b32 s2, 0x5040100
	v_perm_b32 v35, v54, v45, s2
	v_perm_b32 v34, v44, v43, s2
	v_cmp_ne_u16_sdwa s[8:9], v36, v52 src0_sel:BYTE_0 src1_sel:DWORD
	s_nop 0
	v_mfma_f32_16x16x16bf16_1k v[58:61], v[34:35], v[26:27], 0
	v_perm_b32 v35, v56, v55, s2
	v_perm_b32 v34, v42, v53, s2
	s_nop 1
	v_mfma_f32_16x16x16bf16_1k v[42:45], v[34:35], v[28:29], v[58:61]
	s_and_saveexec_b64 s[2:3], s[8:9]
	s_cbranch_execz .LBB867_67
; %bb.62:
	s_movk_i32 s8, 0x80
	v_cmp_ne_u16_sdwa s[10:11], v36, s8 src0_sel:BYTE_0 src1_sel:DWORD
	v_mov_b32_e32 v52, 0xffff8000
	s_and_saveexec_b64 s[8:9], s[10:11]
	s_cbranch_execz .LBB867_66
; %bb.63:
	s_movk_i32 s10, 0x7f
	v_and_b32_e32 v34, 0x7f, v36
	v_cmp_ne_u32_e32 vcc, s10, v34
	v_mov_b32_e32 v52, 0x7f80
	s_and_saveexec_b64 s[10:11], vcc
	s_cbranch_execz .LBB867_65
; %bb.64:
	v_and_b32_e32 v35, 7, v36
	v_ffbh_u32_e32 v52, v35
	v_min_u32_e32 v55, 32, v52
	v_subrev_u32_e32 v52, 28, v55
	v_lshlrev_b64 v[52:53], v52, v[36:37]
	v_lshrrev_b32_e32 v54, 3, v34
	v_sub_u32_e32 v53, 29, v55
	v_and_b32_e32 v52, 7, v52
	v_cmp_gt_u32_e32 vcc, 8, v34
	v_cndmask_b32_e32 v34, v54, v53, vcc
	v_cndmask_b32_e32 v35, v35, v52, vcc
	v_lshlrev_b32_e32 v52, 24, v36
	v_bfrev_b32_e32 v53, 60
	v_lshlrev_b32_e32 v35, 20, v35
	v_and_b32_e32 v52, 0x80000000, v52
	v_lshl_add_u32 v34, v34, 23, v53
	v_or3_b32 v34, v52, v34, v35
	v_lshrrev_b32_e32 v52, 16, v34
.LBB867_65:
	s_or_b64 exec, exec, s[10:11]
.LBB867_66:
	s_or_b64 exec, exec, s[8:9]
.LBB867_67:
	s_or_b64 exec, exec, s[2:3]
	v_lshrrev_b16_e32 v34, 8, v36
	v_cmp_ne_u16_e32 vcc, 0, v34
	v_mov_b32_e32 v54, 0
	v_mov_b32_e32 v35, 0
	s_and_saveexec_b64 s[2:3], vcc
	s_cbranch_execz .LBB867_73
; %bb.68:
	s_movk_i32 s8, 0x80
	v_cmp_ne_u16_e32 vcc, s8, v34
	v_mov_b32_e32 v35, 0xffff8000
	s_and_saveexec_b64 s[8:9], vcc
	s_cbranch_execz .LBB867_72
; %bb.69:
	s_movk_i32 s10, 0x7f
	v_and_b32_e32 v53, 0x7f, v34
	v_cmp_ne_u32_e32 vcc, s10, v53
	v_mov_b32_e32 v35, 0x7f80
	s_and_saveexec_b64 s[10:11], vcc
	s_cbranch_execz .LBB867_71
; %bb.70:
	v_and_b32_e32 v55, 7, v34
	v_ffbh_u32_e32 v35, v55
	v_min_u32_e32 v57, 32, v35
	v_subrev_u32_e32 v35, 28, v57
	v_lshlrev_b64 v[34:35], v35, v[34:35]
	v_lshrrev_b32_e32 v56, 3, v53
	v_sub_u32_e32 v35, 29, v57
	v_and_b32_e32 v34, 7, v34
	v_cmp_gt_u32_e32 vcc, 8, v53
	v_cndmask_b32_e32 v35, v56, v35, vcc
	v_cndmask_b32_e32 v34, v55, v34, vcc
	v_lshlrev_b32_e32 v53, 16, v36
	v_bfrev_b32_e32 v55, 60
	v_lshlrev_b32_e32 v34, 20, v34
	v_and_b32_e32 v53, 0x80000000, v53
	v_lshl_add_u32 v35, v35, 23, v55
	v_or3_b32 v34, v53, v35, v34
	v_lshrrev_b32_e32 v35, 16, v34
.LBB867_71:
	s_or_b64 exec, exec, s[10:11]
.LBB867_72:
	s_or_b64 exec, exec, s[8:9]
.LBB867_73:
	s_or_b64 exec, exec, s[2:3]
	s_movk_i32 s2, 0xff
	v_and_b32_sdwa v53, v36, s2 dst_sel:DWORD dst_unused:UNUSED_PAD src0_sel:WORD_1 src1_sel:DWORD
	v_lshrrev_b32_e32 v34, 16, v36
	v_cmp_ne_u16_e32 vcc, 0, v53
	s_and_saveexec_b64 s[2:3], vcc
	s_cbranch_execz .LBB867_79
; %bb.74:
	s_movk_i32 s8, 0x80
	v_cmp_ne_u16_e32 vcc, s8, v53
	v_mov_b32_e32 v54, 0xffff8000
	s_and_saveexec_b64 s[8:9], vcc
	s_cbranch_execz .LBB867_78
; %bb.75:
	v_bfe_u32 v53, v36, 16, 7
	s_movk_i32 s10, 0x7f
	v_cmp_ne_u32_e32 vcc, s10, v53
	v_mov_b32_e32 v54, 0x7f80
	s_and_saveexec_b64 s[10:11], vcc
	s_cbranch_execz .LBB867_77
; %bb.76:
	v_and_b32_e32 v56, 7, v34
	v_ffbh_u32_e32 v54, v56
	v_min_u32_e32 v58, 32, v54
	v_subrev_u32_e32 v54, 28, v58
	v_lshlrev_b64 v[54:55], v54, v[34:35]
	v_and_b32_e32 v54, 7, v54
	v_cmp_gt_u32_e32 vcc, 8, v53
	v_lshrrev_b32_e32 v57, 3, v53
	v_sub_u32_e32 v34, 29, v58
	v_cndmask_b32_e32 v53, v56, v54, vcc
	v_mov_b32_e32 v54, 24
	v_cndmask_b32_e32 v34, v57, v34, vcc
	v_lshlrev_b32_sdwa v54, v54, v36 dst_sel:DWORD dst_unused:UNUSED_PAD src0_sel:DWORD src1_sel:WORD_1
	v_bfrev_b32_e32 v55, 60
	v_lshlrev_b32_e32 v53, 20, v53
	v_and_b32_e32 v54, 0x80000000, v54
	v_lshl_add_u32 v34, v34, 23, v55
	v_or3_b32 v34, v54, v34, v53
	v_lshrrev_b32_e32 v54, 16, v34
.LBB867_77:
	s_or_b64 exec, exec, s[10:11]
.LBB867_78:
	s_or_b64 exec, exec, s[8:9]
.LBB867_79:
	s_or_b64 exec, exec, s[2:3]
	s_mov_b32 s2, 0xffffff
	v_cmp_lt_u32_e32 vcc, s2, v36
	v_mov_b32_e32 v55, 0
	v_mov_b32_e32 v56, 0
	s_and_saveexec_b64 s[2:3], vcc
	s_cbranch_execz .LBB867_85
; %bb.80:
	v_lshrrev_b32_e32 v34, 24, v36
	s_movk_i32 s8, 0x80
	v_cmp_ne_u32_e32 vcc, s8, v34
	v_mov_b32_e32 v56, 0xffff8000
	s_and_saveexec_b64 s[8:9], vcc
	s_cbranch_execz .LBB867_84
; %bb.81:
	v_bfe_u32 v36, v36, 24, 7
	s_movk_i32 s10, 0x7f
	v_cmp_ne_u32_e32 vcc, s10, v36
	v_mov_b32_e32 v56, 0x7f80
	s_and_saveexec_b64 s[10:11], vcc
	s_cbranch_execz .LBB867_83
; %bb.82:
	v_and_b32_e32 v53, 7, v34
	v_ffbh_u32_e32 v56, v53
	v_min_u32_e32 v59, 32, v56
	v_subrev_u32_e32 v56, 28, v59
	v_lshlrev_b64 v[56:57], v56, v[34:35]
	v_lshrrev_b32_e32 v58, 3, v36
	v_sub_u32_e32 v57, 29, v59
	v_and_b32_e32 v56, 7, v56
	v_cmp_gt_u32_e32 vcc, 8, v36
	v_cndmask_b32_e32 v36, v58, v57, vcc
	v_cndmask_b32_e32 v53, v53, v56, vcc
	v_lshlrev_b32_e32 v34, 24, v34
	v_bfrev_b32_e32 v56, 60
	v_lshlrev_b32_e32 v53, 20, v53
	v_and_b32_e32 v34, 0x80000000, v34
	v_lshl_add_u32 v36, v36, 23, v56
	v_or3_b32 v34, v34, v36, v53
	v_lshrrev_b32_e32 v56, 16, v34
.LBB867_83:
	s_or_b64 exec, exec, s[10:11]
.LBB867_84:
	s_or_b64 exec, exec, s[8:9]
.LBB867_85:
	s_or_b64 exec, exec, s[2:3]
	v_cmp_ne_u16_sdwa s[8:9], v37, v55 src0_sel:BYTE_0 src1_sel:DWORD
	s_and_saveexec_b64 s[2:3], s[8:9]
	s_cbranch_execz .LBB867_91
; %bb.86:
	s_movk_i32 s8, 0x80
	v_cmp_ne_u16_sdwa s[10:11], v37, s8 src0_sel:BYTE_0 src1_sel:DWORD
	v_mov_b32_e32 v55, 0xffff8000
	s_and_saveexec_b64 s[8:9], s[10:11]
	s_cbranch_execz .LBB867_90
; %bb.87:
	s_movk_i32 s10, 0x7f
	v_and_b32_e32 v34, 0x7f, v37
	v_cmp_ne_u32_e32 vcc, s10, v34
	v_mov_b32_e32 v55, 0x7f80
	s_and_saveexec_b64 s[10:11], vcc
	s_cbranch_execz .LBB867_89
; %bb.88:
	v_and_b32_e32 v53, 7, v37
	v_ffbh_u32_e32 v57, v53
	v_min_u32_e32 v57, 32, v57
	v_mov_b32_e32 v36, v37
	v_subrev_u32_e32 v58, 28, v57
	v_lshlrev_b64 v[58:59], v58, v[36:37]
	v_lshrrev_b32_e32 v55, 3, v34
	v_sub_u32_e32 v36, 29, v57
	v_and_b32_e32 v57, 7, v58
	v_cmp_gt_u32_e32 vcc, 8, v34
	v_cndmask_b32_e32 v34, v55, v36, vcc
	v_cndmask_b32_e32 v36, v53, v57, vcc
	v_lshlrev_b32_e32 v53, 24, v37
	v_bfrev_b32_e32 v55, 60
	v_lshlrev_b32_e32 v36, 20, v36
	v_and_b32_e32 v53, 0x80000000, v53
	v_lshl_add_u32 v34, v34, 23, v55
	v_or3_b32 v34, v53, v34, v36
	v_lshrrev_b32_e32 v55, 16, v34
.LBB867_89:
	s_or_b64 exec, exec, s[10:11]
.LBB867_90:
	s_or_b64 exec, exec, s[8:9]
.LBB867_91:
	s_or_b64 exec, exec, s[2:3]
	v_lshrrev_b16_e32 v34, 8, v37
	v_cmp_ne_u16_e32 vcc, 0, v34
	v_mov_b32_e32 v57, 0
	v_mov_b32_e32 v36, 0
	s_and_saveexec_b64 s[2:3], vcc
	s_cbranch_execz .LBB867_97
; %bb.92:
	s_movk_i32 s8, 0x80
	v_cmp_ne_u16_e32 vcc, s8, v34
	v_mov_b32_e32 v36, 0xffff8000
	s_and_saveexec_b64 s[8:9], vcc
	s_cbranch_execz .LBB867_96
; %bb.93:
	s_movk_i32 s10, 0x7f
	v_and_b32_e32 v53, 0x7f, v34
	v_cmp_ne_u32_e32 vcc, s10, v53
	v_mov_b32_e32 v36, 0x7f80
	s_and_saveexec_b64 s[10:11], vcc
	s_cbranch_execz .LBB867_95
; %bb.94:
	v_and_b32_e32 v36, 7, v34
	v_ffbh_u32_e32 v58, v36
	v_min_u32_e32 v61, 32, v58
	v_subrev_u32_e32 v58, 28, v61
	v_lshlrev_b64 v[58:59], v58, v[34:35]
	v_lshrrev_b32_e32 v60, 3, v53
	v_sub_u32_e32 v34, 29, v61
	v_and_b32_e32 v58, 7, v58
	v_cmp_gt_u32_e32 vcc, 8, v53
	v_cndmask_b32_e32 v34, v60, v34, vcc
	v_cndmask_b32_e32 v36, v36, v58, vcc
	v_lshlrev_b32_e32 v53, 16, v37
	v_bfrev_b32_e32 v58, 60
	v_lshlrev_b32_e32 v36, 20, v36
	v_and_b32_e32 v53, 0x80000000, v53
	v_lshl_add_u32 v34, v34, 23, v58
	v_or3_b32 v34, v53, v34, v36
	v_lshrrev_b32_e32 v36, 16, v34
.LBB867_95:
	s_or_b64 exec, exec, s[10:11]
.LBB867_96:
	s_or_b64 exec, exec, s[8:9]
.LBB867_97:
	s_or_b64 exec, exec, s[2:3]
	s_movk_i32 s2, 0xff
	v_and_b32_sdwa v53, v37, s2 dst_sel:DWORD dst_unused:UNUSED_PAD src0_sel:WORD_1 src1_sel:DWORD
	v_lshrrev_b32_e32 v34, 16, v37
	v_cmp_ne_u16_e32 vcc, 0, v53
	s_and_saveexec_b64 s[2:3], vcc
	s_cbranch_execz .LBB867_103
; %bb.98:
	s_movk_i32 s8, 0x80
	v_cmp_ne_u16_e32 vcc, s8, v53
	v_mov_b32_e32 v57, 0xffff8000
	s_and_saveexec_b64 s[8:9], vcc
	s_cbranch_execz .LBB867_102
; %bb.99:
	v_bfe_u32 v53, v37, 16, 7
	s_movk_i32 s10, 0x7f
	v_cmp_ne_u32_e32 vcc, s10, v53
	v_mov_b32_e32 v57, 0x7f80
	s_and_saveexec_b64 s[10:11], vcc
	s_cbranch_execz .LBB867_101
; %bb.100:
	v_and_b32_e32 v57, 7, v34
	v_ffbh_u32_e32 v58, v57
	v_min_u32_e32 v61, 32, v58
	v_subrev_u32_e32 v58, 28, v61
	v_lshlrev_b64 v[58:59], v58, v[34:35]
	v_and_b32_e32 v58, 7, v58
	v_cmp_gt_u32_e32 vcc, 8, v53
	v_lshrrev_b32_e32 v60, 3, v53
	v_sub_u32_e32 v34, 29, v61
	v_cndmask_b32_e32 v53, v57, v58, vcc
	v_mov_b32_e32 v57, 24
	v_cndmask_b32_e32 v34, v60, v34, vcc
	v_lshlrev_b32_sdwa v57, v57, v37 dst_sel:DWORD dst_unused:UNUSED_PAD src0_sel:DWORD src1_sel:WORD_1
	v_bfrev_b32_e32 v58, 60
	v_lshlrev_b32_e32 v53, 20, v53
	v_and_b32_e32 v57, 0x80000000, v57
	v_lshl_add_u32 v34, v34, 23, v58
	v_or3_b32 v34, v57, v34, v53
	v_lshrrev_b32_e32 v57, 16, v34
.LBB867_101:
	s_or_b64 exec, exec, s[10:11]
.LBB867_102:
	s_or_b64 exec, exec, s[8:9]
.LBB867_103:
	s_or_b64 exec, exec, s[2:3]
	s_mov_b32 s2, 0xffffff
	v_cmp_lt_u32_e32 vcc, s2, v37
	v_mov_b32_e32 v53, 0
	v_mov_b32_e32 v58, 0
	s_and_saveexec_b64 s[2:3], vcc
	s_cbranch_execz .LBB867_109
; %bb.104:
	v_lshrrev_b32_e32 v34, 24, v37
	s_movk_i32 s8, 0x80
	v_cmp_ne_u32_e32 vcc, s8, v34
	v_mov_b32_e32 v58, 0xffff8000
	s_and_saveexec_b64 s[8:9], vcc
	s_cbranch_execz .LBB867_108
; %bb.105:
	v_bfe_u32 v37, v37, 24, 7
	s_movk_i32 s10, 0x7f
	v_cmp_ne_u32_e32 vcc, s10, v37
	v_mov_b32_e32 v58, 0x7f80
	s_and_saveexec_b64 s[10:11], vcc
	s_cbranch_execz .LBB867_107
; %bb.106:
	v_and_b32_e32 v60, 7, v34
	v_ffbh_u32_e32 v58, v60
	v_min_u32_e32 v62, 32, v58
	v_subrev_u32_e32 v58, 28, v62
	v_lshlrev_b64 v[58:59], v58, v[34:35]
	v_lshrrev_b32_e32 v61, 3, v37
	v_sub_u32_e32 v59, 29, v62
	v_and_b32_e32 v58, 7, v58
	v_cmp_gt_u32_e32 vcc, 8, v37
	v_cndmask_b32_e32 v37, v61, v59, vcc
	v_cndmask_b32_e32 v58, v60, v58, vcc
	v_lshlrev_b32_e32 v34, 24, v34
	v_bfrev_b32_e32 v59, 60
	v_lshlrev_b32_e32 v58, 20, v58
	v_and_b32_e32 v34, 0x80000000, v34
	v_lshl_add_u32 v37, v37, 23, v59
	v_or3_b32 v34, v34, v37, v58
	v_lshrrev_b32_e32 v58, 16, v34
.LBB867_107:
	s_or_b64 exec, exec, s[10:11]
.LBB867_108:
	s_or_b64 exec, exec, s[8:9]
.LBB867_109:
	s_or_b64 exec, exec, s[2:3]
	s_mov_b32 s2, 0x5040100
	v_perm_b32 v61, v56, v54, s2
	v_perm_b32 v60, v35, v52, s2
	;; [unrolled: 1-line block ×4, first 2 shown]
	v_cmp_ne_u16_sdwa s[8:9], v38, v53 src0_sel:BYTE_0 src1_sel:DWORD
	v_mfma_f32_16x16x16bf16_1k v[42:45], v[60:61], v[18:19], v[42:45]
	v_mfma_f32_16x16x16bf16_1k v[34:37], v[34:35], v[20:21], v[42:45]
	s_and_saveexec_b64 s[2:3], s[8:9]
	s_cbranch_execz .LBB867_115
; %bb.110:
	s_movk_i32 s8, 0x80
	v_cmp_ne_u16_sdwa s[10:11], v38, s8 src0_sel:BYTE_0 src1_sel:DWORD
	v_mov_b32_e32 v53, 0xffff8000
	s_and_saveexec_b64 s[8:9], s[10:11]
	s_cbranch_execz .LBB867_114
; %bb.111:
	s_movk_i32 s10, 0x7f
	s_nop 1
	v_and_b32_e32 v42, 0x7f, v38
	v_cmp_ne_u32_e32 vcc, s10, v42
	v_mov_b32_e32 v53, 0x7f80
	s_and_saveexec_b64 s[10:11], vcc
	s_cbranch_execz .LBB867_113
; %bb.112:
	v_and_b32_e32 v43, 7, v38
	v_ffbh_u32_e32 v44, v43
	v_min_u32_e32 v53, 32, v44
	v_subrev_u32_e32 v44, 28, v53
	v_lshlrev_b64 v[44:45], v44, v[38:39]
	v_lshrrev_b32_e32 v52, 3, v42
	v_sub_u32_e32 v45, 29, v53
	v_and_b32_e32 v44, 7, v44
	v_cmp_gt_u32_e32 vcc, 8, v42
	v_cndmask_b32_e32 v42, v52, v45, vcc
	v_cndmask_b32_e32 v43, v43, v44, vcc
	v_lshlrev_b32_e32 v44, 24, v38
	v_bfrev_b32_e32 v45, 60
	v_lshlrev_b32_e32 v43, 20, v43
	v_and_b32_e32 v44, 0x80000000, v44
	v_lshl_add_u32 v42, v42, 23, v45
	v_or3_b32 v42, v44, v42, v43
	v_lshrrev_b32_e32 v53, 16, v42
.LBB867_113:
	s_or_b64 exec, exec, s[10:11]
.LBB867_114:
	s_or_b64 exec, exec, s[8:9]
.LBB867_115:
	s_or_b64 exec, exec, s[2:3]
	s_nop 6
	v_lshrrev_b16_e32 v42, 8, v38
	v_cmp_ne_u16_e32 vcc, 0, v42
	v_mov_b32_e32 v44, 0
	v_mov_b32_e32 v43, 0
	s_and_saveexec_b64 s[2:3], vcc
	s_cbranch_execz .LBB867_121
; %bb.116:
	s_movk_i32 s8, 0x80
	v_cmp_ne_u16_e32 vcc, s8, v42
	v_mov_b32_e32 v43, 0xffff8000
	s_and_saveexec_b64 s[8:9], vcc
	s_cbranch_execz .LBB867_120
; %bb.117:
	s_movk_i32 s10, 0x7f
	v_and_b32_e32 v45, 0x7f, v42
	v_cmp_ne_u32_e32 vcc, s10, v45
	v_mov_b32_e32 v43, 0x7f80
	s_and_saveexec_b64 s[10:11], vcc
	s_cbranch_execz .LBB867_119
; %bb.118:
	v_and_b32_e32 v52, 7, v42
	v_ffbh_u32_e32 v43, v52
	v_min_u32_e32 v55, 32, v43
	v_subrev_u32_e32 v43, 28, v55
	v_lshlrev_b64 v[42:43], v43, v[42:43]
	v_lshrrev_b32_e32 v54, 3, v45
	v_sub_u32_e32 v43, 29, v55
	v_and_b32_e32 v42, 7, v42
	v_cmp_gt_u32_e32 vcc, 8, v45
	v_cndmask_b32_e32 v43, v54, v43, vcc
	v_cndmask_b32_e32 v42, v52, v42, vcc
	v_lshlrev_b32_e32 v45, 16, v38
	v_bfrev_b32_e32 v52, 60
	v_lshlrev_b32_e32 v42, 20, v42
	v_and_b32_e32 v45, 0x80000000, v45
	v_lshl_add_u32 v43, v43, 23, v52
	v_or3_b32 v42, v45, v43, v42
	v_lshrrev_b32_e32 v43, 16, v42
.LBB867_119:
	s_or_b64 exec, exec, s[10:11]
.LBB867_120:
	s_or_b64 exec, exec, s[8:9]
.LBB867_121:
	s_or_b64 exec, exec, s[2:3]
	s_movk_i32 s2, 0xff
	v_and_b32_sdwa v45, v38, s2 dst_sel:DWORD dst_unused:UNUSED_PAD src0_sel:WORD_1 src1_sel:DWORD
	v_lshrrev_b32_e32 v42, 16, v38
	v_cmp_ne_u16_e32 vcc, 0, v45
	s_and_saveexec_b64 s[2:3], vcc
	s_cbranch_execz .LBB867_127
; %bb.122:
	s_movk_i32 s8, 0x80
	v_cmp_ne_u16_e32 vcc, s8, v45
	v_mov_b32_e32 v44, 0xffff8000
	s_and_saveexec_b64 s[8:9], vcc
	s_cbranch_execz .LBB867_126
; %bb.123:
	v_bfe_u32 v45, v38, 16, 7
	s_movk_i32 s10, 0x7f
	v_cmp_ne_u32_e32 vcc, s10, v45
	v_mov_b32_e32 v44, 0x7f80
	s_and_saveexec_b64 s[10:11], vcc
	s_cbranch_execz .LBB867_125
; %bb.124:
	v_and_b32_e32 v44, 7, v42
	v_ffbh_u32_e32 v54, v44
	v_min_u32_e32 v56, 32, v54
	v_subrev_u32_e32 v54, 28, v56
	v_lshlrev_b64 v[54:55], v54, v[42:43]
	v_lshrrev_b32_e32 v52, 3, v45
	v_sub_u32_e32 v42, 29, v56
	v_and_b32_e32 v54, 7, v54
	v_cmp_gt_u32_e32 vcc, 8, v45
	v_mov_b32_e32 v45, 24
	v_cndmask_b32_e32 v42, v52, v42, vcc
	v_cndmask_b32_e32 v44, v44, v54, vcc
	v_lshlrev_b32_sdwa v45, v45, v38 dst_sel:DWORD dst_unused:UNUSED_PAD src0_sel:DWORD src1_sel:WORD_1
	v_bfrev_b32_e32 v52, 60
	v_lshlrev_b32_e32 v44, 20, v44
	v_and_b32_e32 v45, 0x80000000, v45
	v_lshl_add_u32 v42, v42, 23, v52
	v_or3_b32 v42, v45, v42, v44
	v_lshrrev_b32_e32 v44, 16, v42
.LBB867_125:
	s_or_b64 exec, exec, s[10:11]
.LBB867_126:
	s_or_b64 exec, exec, s[8:9]
.LBB867_127:
	s_or_b64 exec, exec, s[2:3]
	s_mov_b32 s2, 0xffffff
	v_cmp_lt_u32_e32 vcc, s2, v38
	v_mov_b32_e32 v45, 0
	v_mov_b32_e32 v54, 0
	s_and_saveexec_b64 s[2:3], vcc
	s_cbranch_execz .LBB867_133
; %bb.128:
	v_lshrrev_b32_e32 v42, 24, v38
	s_movk_i32 s8, 0x80
	v_cmp_ne_u32_e32 vcc, s8, v42
	v_mov_b32_e32 v54, 0xffff8000
	s_and_saveexec_b64 s[8:9], vcc
	s_cbranch_execz .LBB867_132
; %bb.129:
	v_bfe_u32 v38, v38, 24, 7
	s_movk_i32 s10, 0x7f
	v_cmp_ne_u32_e32 vcc, s10, v38
	v_mov_b32_e32 v54, 0x7f80
	s_and_saveexec_b64 s[10:11], vcc
	s_cbranch_execz .LBB867_131
; %bb.130:
	v_and_b32_e32 v52, 7, v42
	v_ffbh_u32_e32 v54, v52
	v_min_u32_e32 v57, 32, v54
	v_subrev_u32_e32 v54, 28, v57
	v_lshlrev_b64 v[54:55], v54, v[42:43]
	v_lshrrev_b32_e32 v56, 3, v38
	v_sub_u32_e32 v55, 29, v57
	v_and_b32_e32 v54, 7, v54
	v_cmp_gt_u32_e32 vcc, 8, v38
	v_cndmask_b32_e32 v38, v56, v55, vcc
	v_cndmask_b32_e32 v52, v52, v54, vcc
	v_lshlrev_b32_e32 v42, 24, v42
	v_bfrev_b32_e32 v54, 60
	v_lshlrev_b32_e32 v52, 20, v52
	v_and_b32_e32 v42, 0x80000000, v42
	v_lshl_add_u32 v38, v38, 23, v54
	v_or3_b32 v38, v42, v38, v52
	v_lshrrev_b32_e32 v54, 16, v38
.LBB867_131:
	s_or_b64 exec, exec, s[10:11]
.LBB867_132:
	s_or_b64 exec, exec, s[8:9]
.LBB867_133:
	s_or_b64 exec, exec, s[2:3]
	v_cmp_ne_u16_sdwa s[8:9], v39, v45 src0_sel:BYTE_0 src1_sel:DWORD
	s_and_saveexec_b64 s[2:3], s[8:9]
	s_cbranch_execz .LBB867_139
; %bb.134:
	s_movk_i32 s8, 0x80
	v_cmp_ne_u16_sdwa s[10:11], v39, s8 src0_sel:BYTE_0 src1_sel:DWORD
	v_mov_b32_e32 v45, 0xffff8000
	s_and_saveexec_b64 s[8:9], s[10:11]
	s_cbranch_execz .LBB867_138
; %bb.135:
	s_movk_i32 s10, 0x7f
	v_and_b32_e32 v38, 0x7f, v39
	v_cmp_ne_u32_e32 vcc, s10, v38
	v_mov_b32_e32 v45, 0x7f80
	s_and_saveexec_b64 s[10:11], vcc
	s_cbranch_execz .LBB867_137
; %bb.136:
	v_and_b32_e32 v45, 7, v39
	v_ffbh_u32_e32 v55, v45
	v_min_u32_e32 v55, 32, v55
	v_mov_b32_e32 v42, v39
	v_subrev_u32_e32 v56, 28, v55
	v_lshlrev_b64 v[56:57], v56, v[42:43]
	v_lshrrev_b32_e32 v52, 3, v38
	v_sub_u32_e32 v42, 29, v55
	v_and_b32_e32 v55, 7, v56
	v_cmp_gt_u32_e32 vcc, 8, v38
	v_cndmask_b32_e32 v38, v52, v42, vcc
	v_cndmask_b32_e32 v42, v45, v55, vcc
	v_lshlrev_b32_e32 v45, 24, v39
	v_bfrev_b32_e32 v52, 60
	v_lshlrev_b32_e32 v42, 20, v42
	v_and_b32_e32 v45, 0x80000000, v45
	v_lshl_add_u32 v38, v38, 23, v52
	v_or3_b32 v38, v45, v38, v42
	v_lshrrev_b32_e32 v45, 16, v38
.LBB867_137:
	s_or_b64 exec, exec, s[10:11]
.LBB867_138:
	s_or_b64 exec, exec, s[8:9]
.LBB867_139:
	s_or_b64 exec, exec, s[2:3]
	v_lshrrev_b16_e32 v38, 8, v39
	v_cmp_ne_u16_e32 vcc, 0, v38
	v_mov_b32_e32 v55, 0
	v_mov_b32_e32 v42, 0
	s_and_saveexec_b64 s[2:3], vcc
	s_cbranch_execz .LBB867_145
; %bb.140:
	s_movk_i32 s8, 0x80
	v_cmp_ne_u16_e32 vcc, s8, v38
	v_mov_b32_e32 v42, 0xffff8000
	s_and_saveexec_b64 s[8:9], vcc
	s_cbranch_execz .LBB867_144
; %bb.141:
	s_movk_i32 s10, 0x7f
	v_and_b32_e32 v52, 0x7f, v38
	v_cmp_ne_u32_e32 vcc, s10, v52
	v_mov_b32_e32 v42, 0x7f80
	s_and_saveexec_b64 s[10:11], vcc
	s_cbranch_execz .LBB867_143
; %bb.142:
	v_and_b32_e32 v42, 7, v38
	v_ffbh_u32_e32 v56, v42
	v_min_u32_e32 v59, 32, v56
	v_subrev_u32_e32 v56, 28, v59
	v_lshlrev_b64 v[56:57], v56, v[38:39]
	v_lshrrev_b32_e32 v58, 3, v52
	v_sub_u32_e32 v38, 29, v59
	v_and_b32_e32 v56, 7, v56
	v_cmp_gt_u32_e32 vcc, 8, v52
	v_cndmask_b32_e32 v38, v58, v38, vcc
	v_cndmask_b32_e32 v42, v42, v56, vcc
	v_lshlrev_b32_e32 v52, 16, v39
	v_bfrev_b32_e32 v56, 60
	v_lshlrev_b32_e32 v42, 20, v42
	v_and_b32_e32 v52, 0x80000000, v52
	v_lshl_add_u32 v38, v38, 23, v56
	v_or3_b32 v38, v52, v38, v42
	v_lshrrev_b32_e32 v42, 16, v38
.LBB867_143:
	s_or_b64 exec, exec, s[10:11]
.LBB867_144:
	s_or_b64 exec, exec, s[8:9]
.LBB867_145:
	s_or_b64 exec, exec, s[2:3]
	s_movk_i32 s2, 0xff
	v_and_b32_sdwa v52, v39, s2 dst_sel:DWORD dst_unused:UNUSED_PAD src0_sel:WORD_1 src1_sel:DWORD
	v_lshrrev_b32_e32 v38, 16, v39
	v_cmp_ne_u16_e32 vcc, 0, v52
	s_and_saveexec_b64 s[2:3], vcc
	s_cbranch_execz .LBB867_151
; %bb.146:
	s_movk_i32 s8, 0x80
	v_cmp_ne_u16_e32 vcc, s8, v52
	v_mov_b32_e32 v55, 0xffff8000
	s_and_saveexec_b64 s[8:9], vcc
	s_cbranch_execz .LBB867_150
; %bb.147:
	v_bfe_u32 v52, v39, 16, 7
	s_movk_i32 s10, 0x7f
	v_cmp_ne_u32_e32 vcc, s10, v52
	v_mov_b32_e32 v55, 0x7f80
	s_and_saveexec_b64 s[10:11], vcc
	s_cbranch_execz .LBB867_149
; %bb.148:
	v_and_b32_e32 v55, 7, v38
	v_ffbh_u32_e32 v56, v55
	v_min_u32_e32 v59, 32, v56
	v_subrev_u32_e32 v56, 28, v59
	v_lshlrev_b64 v[56:57], v56, v[38:39]
	v_and_b32_e32 v56, 7, v56
	v_cmp_gt_u32_e32 vcc, 8, v52
	v_lshrrev_b32_e32 v58, 3, v52
	v_sub_u32_e32 v38, 29, v59
	v_cndmask_b32_e32 v52, v55, v56, vcc
	v_mov_b32_e32 v55, 24
	v_cndmask_b32_e32 v38, v58, v38, vcc
	v_lshlrev_b32_sdwa v55, v55, v39 dst_sel:DWORD dst_unused:UNUSED_PAD src0_sel:DWORD src1_sel:WORD_1
	v_bfrev_b32_e32 v56, 60
	v_lshlrev_b32_e32 v52, 20, v52
	v_and_b32_e32 v55, 0x80000000, v55
	v_lshl_add_u32 v38, v38, 23, v56
	v_or3_b32 v38, v55, v38, v52
	v_lshrrev_b32_e32 v55, 16, v38
.LBB867_149:
	s_or_b64 exec, exec, s[10:11]
.LBB867_150:
	s_or_b64 exec, exec, s[8:9]
.LBB867_151:
	s_or_b64 exec, exec, s[2:3]
	s_mov_b32 s2, 0xffffff
	v_cmp_lt_u32_e32 vcc, s2, v39
	v_mov_b32_e32 v52, 0
	v_mov_b32_e32 v56, 0
	s_and_saveexec_b64 s[2:3], vcc
	s_cbranch_execz .LBB867_157
; %bb.152:
	v_lshrrev_b32_e32 v38, 24, v39
	s_movk_i32 s8, 0x80
	v_cmp_ne_u32_e32 vcc, s8, v38
	v_mov_b32_e32 v56, 0xffff8000
	s_and_saveexec_b64 s[8:9], vcc
	s_cbranch_execz .LBB867_156
; %bb.153:
	v_bfe_u32 v39, v39, 24, 7
	s_movk_i32 s10, 0x7f
	v_cmp_ne_u32_e32 vcc, s10, v39
	v_mov_b32_e32 v56, 0x7f80
	s_and_saveexec_b64 s[10:11], vcc
	s_cbranch_execz .LBB867_155
; %bb.154:
	v_and_b32_e32 v58, 7, v38
	v_ffbh_u32_e32 v56, v58
	v_min_u32_e32 v60, 32, v56
	v_subrev_u32_e32 v56, 28, v60
	v_lshlrev_b64 v[56:57], v56, v[38:39]
	v_lshrrev_b32_e32 v59, 3, v39
	v_sub_u32_e32 v57, 29, v60
	v_and_b32_e32 v56, 7, v56
	v_cmp_gt_u32_e32 vcc, 8, v39
	v_cndmask_b32_e32 v39, v59, v57, vcc
	v_cndmask_b32_e32 v56, v58, v56, vcc
	v_lshlrev_b32_e32 v38, 24, v38
	v_bfrev_b32_e32 v57, 60
	v_lshlrev_b32_e32 v56, 20, v56
	v_and_b32_e32 v38, 0x80000000, v38
	v_lshl_add_u32 v39, v39, 23, v57
	v_or3_b32 v38, v38, v39, v56
	v_lshrrev_b32_e32 v56, 16, v38
.LBB867_155:
	s_or_b64 exec, exec, s[10:11]
.LBB867_156:
	s_or_b64 exec, exec, s[8:9]
.LBB867_157:
	s_or_b64 exec, exec, s[2:3]
	s_mov_b32 s2, 0x5040100
	v_perm_b32 v39, v54, v44, s2
	v_perm_b32 v38, v43, v53, s2
	v_cmp_ne_u16_sdwa s[8:9], v40, v52 src0_sel:BYTE_0 src1_sel:DWORD
	s_nop 0
	v_mfma_f32_16x16x16bf16_1k v[58:61], v[38:39], v[26:27], 0
	v_perm_b32 v39, v56, v55, s2
	v_perm_b32 v38, v42, v45, s2
	s_nop 1
	v_mfma_f32_16x16x16bf16_1k v[42:45], v[38:39], v[28:29], v[58:61]
	s_and_saveexec_b64 s[2:3], s[8:9]
	s_cbranch_execz .LBB867_163
; %bb.158:
	s_movk_i32 s8, 0x80
	v_cmp_ne_u16_sdwa s[10:11], v40, s8 src0_sel:BYTE_0 src1_sel:DWORD
	v_mov_b32_e32 v52, 0xffff8000
	s_and_saveexec_b64 s[8:9], s[10:11]
	s_cbranch_execz .LBB867_162
; %bb.159:
	s_movk_i32 s10, 0x7f
	v_and_b32_e32 v38, 0x7f, v40
	v_cmp_ne_u32_e32 vcc, s10, v38
	v_mov_b32_e32 v52, 0x7f80
	s_and_saveexec_b64 s[10:11], vcc
	s_cbranch_execz .LBB867_161
; %bb.160:
	v_and_b32_e32 v39, 7, v40
	v_ffbh_u32_e32 v52, v39
	v_min_u32_e32 v55, 32, v52
	v_subrev_u32_e32 v52, 28, v55
	v_lshlrev_b64 v[52:53], v52, v[40:41]
	v_lshrrev_b32_e32 v54, 3, v38
	v_sub_u32_e32 v53, 29, v55
	v_and_b32_e32 v52, 7, v52
	v_cmp_gt_u32_e32 vcc, 8, v38
	v_cndmask_b32_e32 v38, v54, v53, vcc
	v_cndmask_b32_e32 v39, v39, v52, vcc
	v_lshlrev_b32_e32 v52, 24, v40
	v_bfrev_b32_e32 v53, 60
	v_lshlrev_b32_e32 v39, 20, v39
	v_and_b32_e32 v52, 0x80000000, v52
	v_lshl_add_u32 v38, v38, 23, v53
	v_or3_b32 v38, v52, v38, v39
	v_lshrrev_b32_e32 v52, 16, v38
.LBB867_161:
	s_or_b64 exec, exec, s[10:11]
.LBB867_162:
	s_or_b64 exec, exec, s[8:9]
.LBB867_163:
	s_or_b64 exec, exec, s[2:3]
	v_lshrrev_b16_e32 v38, 8, v40
	v_cmp_ne_u16_e32 vcc, 0, v38
	v_mov_b32_e32 v54, 0
	v_mov_b32_e32 v39, 0
	s_and_saveexec_b64 s[2:3], vcc
	s_cbranch_execz .LBB867_169
; %bb.164:
	s_movk_i32 s8, 0x80
	v_cmp_ne_u16_e32 vcc, s8, v38
	v_mov_b32_e32 v39, 0xffff8000
	s_and_saveexec_b64 s[8:9], vcc
	s_cbranch_execz .LBB867_168
; %bb.165:
	s_movk_i32 s10, 0x7f
	v_and_b32_e32 v53, 0x7f, v38
	v_cmp_ne_u32_e32 vcc, s10, v53
	v_mov_b32_e32 v39, 0x7f80
	s_and_saveexec_b64 s[10:11], vcc
	s_cbranch_execz .LBB867_167
; %bb.166:
	v_and_b32_e32 v55, 7, v38
	v_ffbh_u32_e32 v39, v55
	v_min_u32_e32 v57, 32, v39
	v_subrev_u32_e32 v39, 28, v57
	v_lshlrev_b64 v[38:39], v39, v[38:39]
	v_lshrrev_b32_e32 v56, 3, v53
	v_sub_u32_e32 v39, 29, v57
	v_and_b32_e32 v38, 7, v38
	v_cmp_gt_u32_e32 vcc, 8, v53
	v_cndmask_b32_e32 v39, v56, v39, vcc
	v_cndmask_b32_e32 v38, v55, v38, vcc
	v_lshlrev_b32_e32 v53, 16, v40
	v_bfrev_b32_e32 v55, 60
	v_lshlrev_b32_e32 v38, 20, v38
	v_and_b32_e32 v53, 0x80000000, v53
	v_lshl_add_u32 v39, v39, 23, v55
	v_or3_b32 v38, v53, v39, v38
	v_lshrrev_b32_e32 v39, 16, v38
.LBB867_167:
	s_or_b64 exec, exec, s[10:11]
.LBB867_168:
	s_or_b64 exec, exec, s[8:9]
.LBB867_169:
	s_or_b64 exec, exec, s[2:3]
	s_movk_i32 s2, 0xff
	v_and_b32_sdwa v53, v40, s2 dst_sel:DWORD dst_unused:UNUSED_PAD src0_sel:WORD_1 src1_sel:DWORD
	v_lshrrev_b32_e32 v38, 16, v40
	v_cmp_ne_u16_e32 vcc, 0, v53
	s_and_saveexec_b64 s[2:3], vcc
	s_cbranch_execz .LBB867_175
; %bb.170:
	s_movk_i32 s8, 0x80
	v_cmp_ne_u16_e32 vcc, s8, v53
	v_mov_b32_e32 v54, 0xffff8000
	s_and_saveexec_b64 s[8:9], vcc
	s_cbranch_execz .LBB867_174
; %bb.171:
	v_bfe_u32 v53, v40, 16, 7
	s_movk_i32 s10, 0x7f
	v_cmp_ne_u32_e32 vcc, s10, v53
	v_mov_b32_e32 v54, 0x7f80
	s_and_saveexec_b64 s[10:11], vcc
	s_cbranch_execz .LBB867_173
; %bb.172:
	v_and_b32_e32 v56, 7, v38
	v_ffbh_u32_e32 v54, v56
	v_min_u32_e32 v58, 32, v54
	v_subrev_u32_e32 v54, 28, v58
	v_lshlrev_b64 v[54:55], v54, v[38:39]
	v_and_b32_e32 v54, 7, v54
	v_cmp_gt_u32_e32 vcc, 8, v53
	v_lshrrev_b32_e32 v57, 3, v53
	v_sub_u32_e32 v38, 29, v58
	v_cndmask_b32_e32 v53, v56, v54, vcc
	v_mov_b32_e32 v54, 24
	v_cndmask_b32_e32 v38, v57, v38, vcc
	v_lshlrev_b32_sdwa v54, v54, v40 dst_sel:DWORD dst_unused:UNUSED_PAD src0_sel:DWORD src1_sel:WORD_1
	v_bfrev_b32_e32 v55, 60
	v_lshlrev_b32_e32 v53, 20, v53
	v_and_b32_e32 v54, 0x80000000, v54
	v_lshl_add_u32 v38, v38, 23, v55
	v_or3_b32 v38, v54, v38, v53
	v_lshrrev_b32_e32 v54, 16, v38
.LBB867_173:
	s_or_b64 exec, exec, s[10:11]
.LBB867_174:
	s_or_b64 exec, exec, s[8:9]
.LBB867_175:
	s_or_b64 exec, exec, s[2:3]
	s_mov_b32 s2, 0xffffff
	v_cmp_lt_u32_e32 vcc, s2, v40
	v_mov_b32_e32 v55, 0
	v_mov_b32_e32 v56, 0
	s_and_saveexec_b64 s[2:3], vcc
	s_cbranch_execz .LBB867_181
; %bb.176:
	v_lshrrev_b32_e32 v38, 24, v40
	s_movk_i32 s8, 0x80
	v_cmp_ne_u32_e32 vcc, s8, v38
	v_mov_b32_e32 v56, 0xffff8000
	s_and_saveexec_b64 s[8:9], vcc
	s_cbranch_execz .LBB867_180
; %bb.177:
	v_bfe_u32 v40, v40, 24, 7
	s_movk_i32 s10, 0x7f
	v_cmp_ne_u32_e32 vcc, s10, v40
	v_mov_b32_e32 v56, 0x7f80
	s_and_saveexec_b64 s[10:11], vcc
	s_cbranch_execz .LBB867_179
; %bb.178:
	v_and_b32_e32 v53, 7, v38
	v_ffbh_u32_e32 v56, v53
	v_min_u32_e32 v59, 32, v56
	v_subrev_u32_e32 v56, 28, v59
	v_lshlrev_b64 v[56:57], v56, v[38:39]
	v_lshrrev_b32_e32 v58, 3, v40
	v_sub_u32_e32 v57, 29, v59
	v_and_b32_e32 v56, 7, v56
	v_cmp_gt_u32_e32 vcc, 8, v40
	v_cndmask_b32_e32 v40, v58, v57, vcc
	v_cndmask_b32_e32 v53, v53, v56, vcc
	v_lshlrev_b32_e32 v38, 24, v38
	v_bfrev_b32_e32 v56, 60
	v_lshlrev_b32_e32 v53, 20, v53
	v_and_b32_e32 v38, 0x80000000, v38
	v_lshl_add_u32 v40, v40, 23, v56
	v_or3_b32 v38, v38, v40, v53
	v_lshrrev_b32_e32 v56, 16, v38
.LBB867_179:
	s_or_b64 exec, exec, s[10:11]
.LBB867_180:
	s_or_b64 exec, exec, s[8:9]
.LBB867_181:
	s_or_b64 exec, exec, s[2:3]
	v_cmp_ne_u16_sdwa s[8:9], v41, v55 src0_sel:BYTE_0 src1_sel:DWORD
	s_and_saveexec_b64 s[2:3], s[8:9]
	s_cbranch_execz .LBB867_187
; %bb.182:
	s_movk_i32 s8, 0x80
	v_cmp_ne_u16_sdwa s[10:11], v41, s8 src0_sel:BYTE_0 src1_sel:DWORD
	v_mov_b32_e32 v55, 0xffff8000
	s_and_saveexec_b64 s[8:9], s[10:11]
	s_cbranch_execz .LBB867_186
; %bb.183:
	s_movk_i32 s10, 0x7f
	v_and_b32_e32 v38, 0x7f, v41
	v_cmp_ne_u32_e32 vcc, s10, v38
	v_mov_b32_e32 v55, 0x7f80
	s_and_saveexec_b64 s[10:11], vcc
	s_cbranch_execz .LBB867_185
; %bb.184:
	v_and_b32_e32 v53, 7, v41
	v_ffbh_u32_e32 v57, v53
	v_min_u32_e32 v57, 32, v57
	v_mov_b32_e32 v40, v41
	v_subrev_u32_e32 v58, 28, v57
	v_lshlrev_b64 v[58:59], v58, v[40:41]
	v_lshrrev_b32_e32 v55, 3, v38
	v_sub_u32_e32 v40, 29, v57
	v_and_b32_e32 v57, 7, v58
	v_cmp_gt_u32_e32 vcc, 8, v38
	v_cndmask_b32_e32 v38, v55, v40, vcc
	v_cndmask_b32_e32 v40, v53, v57, vcc
	v_lshlrev_b32_e32 v53, 24, v41
	v_bfrev_b32_e32 v55, 60
	v_lshlrev_b32_e32 v40, 20, v40
	v_and_b32_e32 v53, 0x80000000, v53
	v_lshl_add_u32 v38, v38, 23, v55
	v_or3_b32 v38, v53, v38, v40
	v_lshrrev_b32_e32 v55, 16, v38
.LBB867_185:
	s_or_b64 exec, exec, s[10:11]
.LBB867_186:
	s_or_b64 exec, exec, s[8:9]
.LBB867_187:
	s_or_b64 exec, exec, s[2:3]
	v_lshrrev_b16_e32 v38, 8, v41
	v_cmp_ne_u16_e32 vcc, 0, v38
	v_mov_b32_e32 v57, 0
	v_mov_b32_e32 v40, 0
	s_and_saveexec_b64 s[2:3], vcc
	s_cbranch_execz .LBB867_193
; %bb.188:
	s_movk_i32 s8, 0x80
	v_cmp_ne_u16_e32 vcc, s8, v38
	v_mov_b32_e32 v40, 0xffff8000
	s_and_saveexec_b64 s[8:9], vcc
	s_cbranch_execz .LBB867_192
; %bb.189:
	s_movk_i32 s10, 0x7f
	v_and_b32_e32 v53, 0x7f, v38
	v_cmp_ne_u32_e32 vcc, s10, v53
	v_mov_b32_e32 v40, 0x7f80
	s_and_saveexec_b64 s[10:11], vcc
	s_cbranch_execz .LBB867_191
; %bb.190:
	v_and_b32_e32 v40, 7, v38
	v_ffbh_u32_e32 v58, v40
	v_min_u32_e32 v61, 32, v58
	v_subrev_u32_e32 v58, 28, v61
	v_lshlrev_b64 v[58:59], v58, v[38:39]
	v_lshrrev_b32_e32 v60, 3, v53
	v_sub_u32_e32 v38, 29, v61
	v_and_b32_e32 v58, 7, v58
	v_cmp_gt_u32_e32 vcc, 8, v53
	v_cndmask_b32_e32 v38, v60, v38, vcc
	v_cndmask_b32_e32 v40, v40, v58, vcc
	v_lshlrev_b32_e32 v53, 16, v41
	v_bfrev_b32_e32 v58, 60
	v_lshlrev_b32_e32 v40, 20, v40
	v_and_b32_e32 v53, 0x80000000, v53
	v_lshl_add_u32 v38, v38, 23, v58
	v_or3_b32 v38, v53, v38, v40
	v_lshrrev_b32_e32 v40, 16, v38
.LBB867_191:
	s_or_b64 exec, exec, s[10:11]
.LBB867_192:
	s_or_b64 exec, exec, s[8:9]
.LBB867_193:
	s_or_b64 exec, exec, s[2:3]
	s_movk_i32 s2, 0xff
	v_and_b32_sdwa v53, v41, s2 dst_sel:DWORD dst_unused:UNUSED_PAD src0_sel:WORD_1 src1_sel:DWORD
	v_lshrrev_b32_e32 v38, 16, v41
	v_cmp_ne_u16_e32 vcc, 0, v53
	s_and_saveexec_b64 s[2:3], vcc
	s_cbranch_execz .LBB867_199
; %bb.194:
	s_movk_i32 s8, 0x80
	v_cmp_ne_u16_e32 vcc, s8, v53
	v_mov_b32_e32 v57, 0xffff8000
	s_and_saveexec_b64 s[8:9], vcc
	s_cbranch_execz .LBB867_198
; %bb.195:
	v_bfe_u32 v53, v41, 16, 7
	s_movk_i32 s10, 0x7f
	v_cmp_ne_u32_e32 vcc, s10, v53
	v_mov_b32_e32 v57, 0x7f80
	s_and_saveexec_b64 s[10:11], vcc
	s_cbranch_execz .LBB867_197
; %bb.196:
	v_and_b32_e32 v57, 7, v38
	v_ffbh_u32_e32 v58, v57
	v_min_u32_e32 v61, 32, v58
	v_subrev_u32_e32 v58, 28, v61
	v_lshlrev_b64 v[58:59], v58, v[38:39]
	v_and_b32_e32 v58, 7, v58
	v_cmp_gt_u32_e32 vcc, 8, v53
	v_lshrrev_b32_e32 v60, 3, v53
	v_sub_u32_e32 v38, 29, v61
	v_cndmask_b32_e32 v53, v57, v58, vcc
	v_mov_b32_e32 v57, 24
	v_cndmask_b32_e32 v38, v60, v38, vcc
	v_lshlrev_b32_sdwa v57, v57, v41 dst_sel:DWORD dst_unused:UNUSED_PAD src0_sel:DWORD src1_sel:WORD_1
	v_bfrev_b32_e32 v58, 60
	v_lshlrev_b32_e32 v53, 20, v53
	v_and_b32_e32 v57, 0x80000000, v57
	v_lshl_add_u32 v38, v38, 23, v58
	v_or3_b32 v38, v57, v38, v53
	v_lshrrev_b32_e32 v57, 16, v38
.LBB867_197:
	s_or_b64 exec, exec, s[10:11]
.LBB867_198:
	s_or_b64 exec, exec, s[8:9]
.LBB867_199:
	s_or_b64 exec, exec, s[2:3]
	s_mov_b32 s2, 0xffffff
	v_cmp_lt_u32_e32 vcc, s2, v41
	v_mov_b32_e32 v53, 0
	v_mov_b32_e32 v58, 0
	s_and_saveexec_b64 s[2:3], vcc
	s_cbranch_execz .LBB867_205
; %bb.200:
	v_lshrrev_b32_e32 v38, 24, v41
	s_movk_i32 s8, 0x80
	v_cmp_ne_u32_e32 vcc, s8, v38
	v_mov_b32_e32 v58, 0xffff8000
	s_and_saveexec_b64 s[8:9], vcc
	s_cbranch_execz .LBB867_204
; %bb.201:
	v_bfe_u32 v41, v41, 24, 7
	s_movk_i32 s10, 0x7f
	v_cmp_ne_u32_e32 vcc, s10, v41
	v_mov_b32_e32 v58, 0x7f80
	s_and_saveexec_b64 s[10:11], vcc
	s_cbranch_execz .LBB867_203
; %bb.202:
	v_and_b32_e32 v60, 7, v38
	v_ffbh_u32_e32 v58, v60
	v_min_u32_e32 v62, 32, v58
	v_subrev_u32_e32 v58, 28, v62
	v_lshlrev_b64 v[58:59], v58, v[38:39]
	v_lshrrev_b32_e32 v61, 3, v41
	v_sub_u32_e32 v59, 29, v62
	v_and_b32_e32 v58, 7, v58
	v_cmp_gt_u32_e32 vcc, 8, v41
	v_cndmask_b32_e32 v41, v61, v59, vcc
	v_cndmask_b32_e32 v58, v60, v58, vcc
	v_lshlrev_b32_e32 v38, 24, v38
	v_bfrev_b32_e32 v59, 60
	v_lshlrev_b32_e32 v58, 20, v58
	v_and_b32_e32 v38, 0x80000000, v38
	v_lshl_add_u32 v41, v41, 23, v59
	v_or3_b32 v38, v38, v41, v58
	v_lshrrev_b32_e32 v58, 16, v38
.LBB867_203:
	s_or_b64 exec, exec, s[10:11]
.LBB867_204:
	s_or_b64 exec, exec, s[8:9]
.LBB867_205:
	s_or_b64 exec, exec, s[2:3]
	s_mov_b32 s2, 0x5040100
	v_perm_b32 v61, v56, v54, s2
	v_perm_b32 v60, v39, v52, s2
	;; [unrolled: 1-line block ×4, first 2 shown]
	v_cmp_ne_u16_sdwa s[8:9], v30, v53 src0_sel:BYTE_0 src1_sel:DWORD
	v_mfma_f32_16x16x16bf16_1k v[42:45], v[60:61], v[18:19], v[42:45]
	v_mfma_f32_16x16x16bf16_1k v[38:41], v[38:39], v[20:21], v[42:45]
	s_and_saveexec_b64 s[2:3], s[8:9]
	s_cbranch_execz .LBB867_211
; %bb.206:
	s_movk_i32 s8, 0x80
	v_cmp_ne_u16_sdwa s[10:11], v30, s8 src0_sel:BYTE_0 src1_sel:DWORD
	v_mov_b32_e32 v53, 0xffff8000
	s_and_saveexec_b64 s[8:9], s[10:11]
	s_cbranch_execz .LBB867_210
; %bb.207:
	s_movk_i32 s10, 0x7f
	s_nop 1
	v_and_b32_e32 v42, 0x7f, v30
	v_cmp_ne_u32_e32 vcc, s10, v42
	v_mov_b32_e32 v53, 0x7f80
	s_and_saveexec_b64 s[10:11], vcc
	s_cbranch_execz .LBB867_209
; %bb.208:
	v_and_b32_e32 v43, 7, v30
	v_ffbh_u32_e32 v44, v43
	v_min_u32_e32 v53, 32, v44
	v_subrev_u32_e32 v44, 28, v53
	v_lshlrev_b64 v[44:45], v44, v[30:31]
	v_lshrrev_b32_e32 v52, 3, v42
	v_sub_u32_e32 v45, 29, v53
	v_and_b32_e32 v44, 7, v44
	v_cmp_gt_u32_e32 vcc, 8, v42
	v_cndmask_b32_e32 v42, v52, v45, vcc
	v_cndmask_b32_e32 v43, v43, v44, vcc
	v_lshlrev_b32_e32 v44, 24, v30
	v_bfrev_b32_e32 v45, 60
	v_lshlrev_b32_e32 v43, 20, v43
	v_and_b32_e32 v44, 0x80000000, v44
	v_lshl_add_u32 v42, v42, 23, v45
	v_or3_b32 v42, v44, v42, v43
	v_lshrrev_b32_e32 v53, 16, v42
.LBB867_209:
	s_or_b64 exec, exec, s[10:11]
.LBB867_210:
	s_or_b64 exec, exec, s[8:9]
.LBB867_211:
	s_or_b64 exec, exec, s[2:3]
	s_nop 6
	v_lshrrev_b16_e32 v42, 8, v30
	v_cmp_ne_u16_e32 vcc, 0, v42
	v_mov_b32_e32 v44, 0
	v_mov_b32_e32 v43, 0
	s_and_saveexec_b64 s[2:3], vcc
	s_cbranch_execz .LBB867_217
; %bb.212:
	s_movk_i32 s8, 0x80
	v_cmp_ne_u16_e32 vcc, s8, v42
	v_mov_b32_e32 v43, 0xffff8000
	s_and_saveexec_b64 s[8:9], vcc
	s_cbranch_execz .LBB867_216
; %bb.213:
	s_movk_i32 s10, 0x7f
	v_and_b32_e32 v45, 0x7f, v42
	v_cmp_ne_u32_e32 vcc, s10, v45
	v_mov_b32_e32 v43, 0x7f80
	s_and_saveexec_b64 s[10:11], vcc
	s_cbranch_execz .LBB867_215
; %bb.214:
	v_and_b32_e32 v52, 7, v42
	v_ffbh_u32_e32 v43, v52
	v_min_u32_e32 v55, 32, v43
	v_subrev_u32_e32 v43, 28, v55
	v_lshlrev_b64 v[42:43], v43, v[42:43]
	v_lshrrev_b32_e32 v54, 3, v45
	v_sub_u32_e32 v43, 29, v55
	v_and_b32_e32 v42, 7, v42
	v_cmp_gt_u32_e32 vcc, 8, v45
	v_cndmask_b32_e32 v43, v54, v43, vcc
	v_cndmask_b32_e32 v42, v52, v42, vcc
	v_lshlrev_b32_e32 v45, 16, v30
	v_bfrev_b32_e32 v52, 60
	v_lshlrev_b32_e32 v42, 20, v42
	v_and_b32_e32 v45, 0x80000000, v45
	v_lshl_add_u32 v43, v43, 23, v52
	v_or3_b32 v42, v45, v43, v42
	v_lshrrev_b32_e32 v43, 16, v42
.LBB867_215:
	s_or_b64 exec, exec, s[10:11]
.LBB867_216:
	s_or_b64 exec, exec, s[8:9]
.LBB867_217:
	s_or_b64 exec, exec, s[2:3]
	s_movk_i32 s2, 0xff
	v_and_b32_sdwa v45, v30, s2 dst_sel:DWORD dst_unused:UNUSED_PAD src0_sel:WORD_1 src1_sel:DWORD
	v_lshrrev_b32_e32 v42, 16, v30
	v_cmp_ne_u16_e32 vcc, 0, v45
	s_and_saveexec_b64 s[2:3], vcc
	s_cbranch_execz .LBB867_223
; %bb.218:
	s_movk_i32 s8, 0x80
	v_cmp_ne_u16_e32 vcc, s8, v45
	v_mov_b32_e32 v44, 0xffff8000
	s_and_saveexec_b64 s[8:9], vcc
	s_cbranch_execz .LBB867_222
; %bb.219:
	v_bfe_u32 v45, v30, 16, 7
	s_movk_i32 s10, 0x7f
	v_cmp_ne_u32_e32 vcc, s10, v45
	v_mov_b32_e32 v44, 0x7f80
	s_and_saveexec_b64 s[10:11], vcc
	s_cbranch_execz .LBB867_221
; %bb.220:
	v_and_b32_e32 v44, 7, v42
	v_ffbh_u32_e32 v54, v44
	v_min_u32_e32 v56, 32, v54
	v_subrev_u32_e32 v54, 28, v56
	v_lshlrev_b64 v[54:55], v54, v[42:43]
	v_lshrrev_b32_e32 v52, 3, v45
	v_sub_u32_e32 v42, 29, v56
	v_and_b32_e32 v54, 7, v54
	v_cmp_gt_u32_e32 vcc, 8, v45
	v_mov_b32_e32 v45, 24
	v_cndmask_b32_e32 v42, v52, v42, vcc
	v_cndmask_b32_e32 v44, v44, v54, vcc
	v_lshlrev_b32_sdwa v45, v45, v30 dst_sel:DWORD dst_unused:UNUSED_PAD src0_sel:DWORD src1_sel:WORD_1
	v_bfrev_b32_e32 v52, 60
	v_lshlrev_b32_e32 v44, 20, v44
	v_and_b32_e32 v45, 0x80000000, v45
	v_lshl_add_u32 v42, v42, 23, v52
	v_or3_b32 v42, v45, v42, v44
	v_lshrrev_b32_e32 v44, 16, v42
.LBB867_221:
	s_or_b64 exec, exec, s[10:11]
.LBB867_222:
	s_or_b64 exec, exec, s[8:9]
.LBB867_223:
	s_or_b64 exec, exec, s[2:3]
	s_mov_b32 s2, 0xffffff
	v_cmp_lt_u32_e32 vcc, s2, v30
	v_mov_b32_e32 v45, 0
	v_mov_b32_e32 v54, 0
	s_and_saveexec_b64 s[2:3], vcc
	s_cbranch_execz .LBB867_229
; %bb.224:
	v_lshrrev_b32_e32 v42, 24, v30
	s_movk_i32 s8, 0x80
	v_cmp_ne_u32_e32 vcc, s8, v42
	v_mov_b32_e32 v54, 0xffff8000
	s_and_saveexec_b64 s[8:9], vcc
	s_cbranch_execz .LBB867_228
; %bb.225:
	v_bfe_u32 v30, v30, 24, 7
	s_movk_i32 s10, 0x7f
	v_cmp_ne_u32_e32 vcc, s10, v30
	v_mov_b32_e32 v54, 0x7f80
	s_and_saveexec_b64 s[10:11], vcc
	s_cbranch_execz .LBB867_227
; %bb.226:
	v_and_b32_e32 v52, 7, v42
	v_ffbh_u32_e32 v54, v52
	v_min_u32_e32 v57, 32, v54
	v_subrev_u32_e32 v54, 28, v57
	v_lshlrev_b64 v[54:55], v54, v[42:43]
	v_lshrrev_b32_e32 v56, 3, v30
	v_sub_u32_e32 v55, 29, v57
	v_and_b32_e32 v54, 7, v54
	v_cmp_gt_u32_e32 vcc, 8, v30
	v_cndmask_b32_e32 v30, v56, v55, vcc
	v_cndmask_b32_e32 v52, v52, v54, vcc
	v_lshlrev_b32_e32 v42, 24, v42
	v_bfrev_b32_e32 v54, 60
	v_lshlrev_b32_e32 v52, 20, v52
	v_and_b32_e32 v42, 0x80000000, v42
	v_lshl_add_u32 v30, v30, 23, v54
	v_or3_b32 v30, v42, v30, v52
	v_lshrrev_b32_e32 v54, 16, v30
.LBB867_227:
	s_or_b64 exec, exec, s[10:11]
.LBB867_228:
	s_or_b64 exec, exec, s[8:9]
.LBB867_229:
	s_or_b64 exec, exec, s[2:3]
	v_cmp_ne_u16_sdwa s[8:9], v31, v45 src0_sel:BYTE_0 src1_sel:DWORD
	s_and_saveexec_b64 s[2:3], s[8:9]
	s_cbranch_execz .LBB867_235
; %bb.230:
	s_movk_i32 s8, 0x80
	v_cmp_ne_u16_sdwa s[10:11], v31, s8 src0_sel:BYTE_0 src1_sel:DWORD
	v_mov_b32_e32 v45, 0xffff8000
	s_and_saveexec_b64 s[8:9], s[10:11]
	s_cbranch_execz .LBB867_234
; %bb.231:
	s_movk_i32 s10, 0x7f
	v_and_b32_e32 v30, 0x7f, v31
	v_cmp_ne_u32_e32 vcc, s10, v30
	v_mov_b32_e32 v45, 0x7f80
	s_and_saveexec_b64 s[10:11], vcc
	s_cbranch_execz .LBB867_233
; %bb.232:
	v_and_b32_e32 v45, 7, v31
	v_ffbh_u32_e32 v55, v45
	v_min_u32_e32 v55, 32, v55
	v_mov_b32_e32 v42, v31
	v_subrev_u32_e32 v56, 28, v55
	v_lshlrev_b64 v[56:57], v56, v[42:43]
	v_lshrrev_b32_e32 v52, 3, v30
	v_sub_u32_e32 v42, 29, v55
	v_and_b32_e32 v55, 7, v56
	v_cmp_gt_u32_e32 vcc, 8, v30
	v_cndmask_b32_e32 v30, v52, v42, vcc
	v_cndmask_b32_e32 v42, v45, v55, vcc
	v_lshlrev_b32_e32 v45, 24, v31
	v_bfrev_b32_e32 v52, 60
	v_lshlrev_b32_e32 v42, 20, v42
	v_and_b32_e32 v45, 0x80000000, v45
	v_lshl_add_u32 v30, v30, 23, v52
	v_or3_b32 v30, v45, v30, v42
	v_lshrrev_b32_e32 v45, 16, v30
.LBB867_233:
	s_or_b64 exec, exec, s[10:11]
.LBB867_234:
	s_or_b64 exec, exec, s[8:9]
.LBB867_235:
	s_or_b64 exec, exec, s[2:3]
	v_lshrrev_b16_e32 v30, 8, v31
	v_cmp_ne_u16_e32 vcc, 0, v30
	v_mov_b32_e32 v55, 0
	v_mov_b32_e32 v42, 0
	s_and_saveexec_b64 s[2:3], vcc
	s_cbranch_execz .LBB867_241
; %bb.236:
	s_movk_i32 s8, 0x80
	v_cmp_ne_u16_e32 vcc, s8, v30
	v_mov_b32_e32 v42, 0xffff8000
	s_and_saveexec_b64 s[8:9], vcc
	s_cbranch_execz .LBB867_240
; %bb.237:
	s_movk_i32 s10, 0x7f
	v_and_b32_e32 v52, 0x7f, v30
	v_cmp_ne_u32_e32 vcc, s10, v52
	v_mov_b32_e32 v42, 0x7f80
	s_and_saveexec_b64 s[10:11], vcc
	s_cbranch_execz .LBB867_239
; %bb.238:
	v_and_b32_e32 v42, 7, v30
	v_ffbh_u32_e32 v56, v42
	v_min_u32_e32 v59, 32, v56
	v_subrev_u32_e32 v56, 28, v59
	v_lshlrev_b64 v[56:57], v56, v[30:31]
	v_lshrrev_b32_e32 v58, 3, v52
	v_sub_u32_e32 v30, 29, v59
	v_and_b32_e32 v56, 7, v56
	v_cmp_gt_u32_e32 vcc, 8, v52
	v_cndmask_b32_e32 v30, v58, v30, vcc
	v_cndmask_b32_e32 v42, v42, v56, vcc
	v_lshlrev_b32_e32 v52, 16, v31
	v_bfrev_b32_e32 v56, 60
	v_lshlrev_b32_e32 v42, 20, v42
	v_and_b32_e32 v52, 0x80000000, v52
	v_lshl_add_u32 v30, v30, 23, v56
	v_or3_b32 v30, v52, v30, v42
	v_lshrrev_b32_e32 v42, 16, v30
.LBB867_239:
	s_or_b64 exec, exec, s[10:11]
.LBB867_240:
	s_or_b64 exec, exec, s[8:9]
.LBB867_241:
	s_or_b64 exec, exec, s[2:3]
	s_movk_i32 s2, 0xff
	v_and_b32_sdwa v52, v31, s2 dst_sel:DWORD dst_unused:UNUSED_PAD src0_sel:WORD_1 src1_sel:DWORD
	v_lshrrev_b32_e32 v30, 16, v31
	v_cmp_ne_u16_e32 vcc, 0, v52
	s_and_saveexec_b64 s[2:3], vcc
	s_cbranch_execz .LBB867_247
; %bb.242:
	s_movk_i32 s8, 0x80
	v_cmp_ne_u16_e32 vcc, s8, v52
	v_mov_b32_e32 v55, 0xffff8000
	s_and_saveexec_b64 s[8:9], vcc
	s_cbranch_execz .LBB867_246
; %bb.243:
	v_bfe_u32 v52, v31, 16, 7
	s_movk_i32 s10, 0x7f
	v_cmp_ne_u32_e32 vcc, s10, v52
	v_mov_b32_e32 v55, 0x7f80
	s_and_saveexec_b64 s[10:11], vcc
	s_cbranch_execz .LBB867_245
; %bb.244:
	v_and_b32_e32 v55, 7, v30
	v_ffbh_u32_e32 v56, v55
	v_min_u32_e32 v59, 32, v56
	v_subrev_u32_e32 v56, 28, v59
	v_lshlrev_b64 v[56:57], v56, v[30:31]
	v_and_b32_e32 v56, 7, v56
	v_cmp_gt_u32_e32 vcc, 8, v52
	v_lshrrev_b32_e32 v58, 3, v52
	v_sub_u32_e32 v30, 29, v59
	v_cndmask_b32_e32 v52, v55, v56, vcc
	v_mov_b32_e32 v55, 24
	v_cndmask_b32_e32 v30, v58, v30, vcc
	v_lshlrev_b32_sdwa v55, v55, v31 dst_sel:DWORD dst_unused:UNUSED_PAD src0_sel:DWORD src1_sel:WORD_1
	v_bfrev_b32_e32 v56, 60
	v_lshlrev_b32_e32 v52, 20, v52
	v_and_b32_e32 v55, 0x80000000, v55
	v_lshl_add_u32 v30, v30, 23, v56
	v_or3_b32 v30, v55, v30, v52
	v_lshrrev_b32_e32 v55, 16, v30
.LBB867_245:
	s_or_b64 exec, exec, s[10:11]
.LBB867_246:
	s_or_b64 exec, exec, s[8:9]
.LBB867_247:
	s_or_b64 exec, exec, s[2:3]
	s_mov_b32 s2, 0xffffff
	v_cmp_lt_u32_e32 vcc, s2, v31
	v_mov_b32_e32 v52, 0
	v_mov_b32_e32 v56, 0
	s_and_saveexec_b64 s[2:3], vcc
	s_cbranch_execz .LBB867_253
; %bb.248:
	v_lshrrev_b32_e32 v30, 24, v31
	s_movk_i32 s8, 0x80
	v_cmp_ne_u32_e32 vcc, s8, v30
	v_mov_b32_e32 v56, 0xffff8000
	s_and_saveexec_b64 s[8:9], vcc
	s_cbranch_execz .LBB867_252
; %bb.249:
	v_bfe_u32 v31, v31, 24, 7
	s_movk_i32 s10, 0x7f
	v_cmp_ne_u32_e32 vcc, s10, v31
	v_mov_b32_e32 v56, 0x7f80
	s_and_saveexec_b64 s[10:11], vcc
	s_cbranch_execz .LBB867_251
; %bb.250:
	v_and_b32_e32 v58, 7, v30
	v_ffbh_u32_e32 v56, v58
	v_min_u32_e32 v60, 32, v56
	v_subrev_u32_e32 v56, 28, v60
	v_lshlrev_b64 v[56:57], v56, v[30:31]
	v_lshrrev_b32_e32 v59, 3, v31
	v_sub_u32_e32 v57, 29, v60
	v_and_b32_e32 v56, 7, v56
	v_cmp_gt_u32_e32 vcc, 8, v31
	v_cndmask_b32_e32 v31, v59, v57, vcc
	v_cndmask_b32_e32 v56, v58, v56, vcc
	v_lshlrev_b32_e32 v30, 24, v30
	v_bfrev_b32_e32 v57, 60
	v_lshlrev_b32_e32 v56, 20, v56
	v_and_b32_e32 v30, 0x80000000, v30
	v_lshl_add_u32 v31, v31, 23, v57
	v_or3_b32 v30, v30, v31, v56
	v_lshrrev_b32_e32 v56, 16, v30
.LBB867_251:
	s_or_b64 exec, exec, s[10:11]
.LBB867_252:
	s_or_b64 exec, exec, s[8:9]
.LBB867_253:
	s_or_b64 exec, exec, s[2:3]
	s_mov_b32 s2, 0x5040100
	v_perm_b32 v31, v54, v44, s2
	v_perm_b32 v30, v43, v53, s2
	v_cmp_ne_u16_sdwa s[8:9], v32, v52 src0_sel:BYTE_0 src1_sel:DWORD
	s_nop 0
	v_mfma_f32_16x16x16bf16_1k v[58:61], v[30:31], v[26:27], 0
	v_perm_b32 v31, v56, v55, s2
	v_perm_b32 v30, v42, v45, s2
	s_nop 1
	v_mfma_f32_16x16x16bf16_1k v[42:45], v[30:31], v[28:29], v[58:61]
	s_and_saveexec_b64 s[2:3], s[8:9]
	s_cbranch_execz .LBB867_259
; %bb.254:
	s_movk_i32 s8, 0x80
	v_cmp_ne_u16_sdwa s[10:11], v32, s8 src0_sel:BYTE_0 src1_sel:DWORD
	v_mov_b32_e32 v52, 0xffff8000
	s_and_saveexec_b64 s[8:9], s[10:11]
	s_cbranch_execz .LBB867_258
; %bb.255:
	s_movk_i32 s10, 0x7f
	v_and_b32_e32 v30, 0x7f, v32
	v_cmp_ne_u32_e32 vcc, s10, v30
	v_mov_b32_e32 v52, 0x7f80
	s_and_saveexec_b64 s[10:11], vcc
	s_cbranch_execz .LBB867_257
; %bb.256:
	v_and_b32_e32 v31, 7, v32
	v_ffbh_u32_e32 v52, v31
	v_min_u32_e32 v55, 32, v52
	v_subrev_u32_e32 v52, 28, v55
	v_lshlrev_b64 v[52:53], v52, v[32:33]
	v_lshrrev_b32_e32 v54, 3, v30
	v_sub_u32_e32 v53, 29, v55
	v_and_b32_e32 v52, 7, v52
	v_cmp_gt_u32_e32 vcc, 8, v30
	v_cndmask_b32_e32 v30, v54, v53, vcc
	v_cndmask_b32_e32 v31, v31, v52, vcc
	v_lshlrev_b32_e32 v52, 24, v32
	v_bfrev_b32_e32 v53, 60
	v_lshlrev_b32_e32 v31, 20, v31
	v_and_b32_e32 v52, 0x80000000, v52
	v_lshl_add_u32 v30, v30, 23, v53
	v_or3_b32 v30, v52, v30, v31
	v_lshrrev_b32_e32 v52, 16, v30
.LBB867_257:
	s_or_b64 exec, exec, s[10:11]
.LBB867_258:
	s_or_b64 exec, exec, s[8:9]
.LBB867_259:
	s_or_b64 exec, exec, s[2:3]
	v_lshrrev_b16_e32 v30, 8, v32
	v_cmp_ne_u16_e32 vcc, 0, v30
	v_mov_b32_e32 v54, 0
	v_mov_b32_e32 v31, 0
	s_and_saveexec_b64 s[2:3], vcc
	s_cbranch_execz .LBB867_265
; %bb.260:
	s_movk_i32 s8, 0x80
	v_cmp_ne_u16_e32 vcc, s8, v30
	v_mov_b32_e32 v31, 0xffff8000
	s_and_saveexec_b64 s[8:9], vcc
	s_cbranch_execz .LBB867_264
; %bb.261:
	s_movk_i32 s10, 0x7f
	v_and_b32_e32 v53, 0x7f, v30
	v_cmp_ne_u32_e32 vcc, s10, v53
	v_mov_b32_e32 v31, 0x7f80
	s_and_saveexec_b64 s[10:11], vcc
	s_cbranch_execz .LBB867_263
; %bb.262:
	v_and_b32_e32 v55, 7, v30
	v_ffbh_u32_e32 v31, v55
	v_min_u32_e32 v57, 32, v31
	v_subrev_u32_e32 v31, 28, v57
	v_lshlrev_b64 v[30:31], v31, v[30:31]
	v_lshrrev_b32_e32 v56, 3, v53
	v_sub_u32_e32 v31, 29, v57
	v_and_b32_e32 v30, 7, v30
	v_cmp_gt_u32_e32 vcc, 8, v53
	v_cndmask_b32_e32 v31, v56, v31, vcc
	v_cndmask_b32_e32 v30, v55, v30, vcc
	v_lshlrev_b32_e32 v53, 16, v32
	v_bfrev_b32_e32 v55, 60
	v_lshlrev_b32_e32 v30, 20, v30
	v_and_b32_e32 v53, 0x80000000, v53
	v_lshl_add_u32 v31, v31, 23, v55
	v_or3_b32 v30, v53, v31, v30
	v_lshrrev_b32_e32 v31, 16, v30
.LBB867_263:
	s_or_b64 exec, exec, s[10:11]
.LBB867_264:
	s_or_b64 exec, exec, s[8:9]
.LBB867_265:
	s_or_b64 exec, exec, s[2:3]
	s_movk_i32 s2, 0xff
	v_and_b32_sdwa v53, v32, s2 dst_sel:DWORD dst_unused:UNUSED_PAD src0_sel:WORD_1 src1_sel:DWORD
	v_lshrrev_b32_e32 v30, 16, v32
	v_cmp_ne_u16_e32 vcc, 0, v53
	s_and_saveexec_b64 s[2:3], vcc
	s_cbranch_execz .LBB867_271
; %bb.266:
	s_movk_i32 s8, 0x80
	v_cmp_ne_u16_e32 vcc, s8, v53
	v_mov_b32_e32 v54, 0xffff8000
	s_and_saveexec_b64 s[8:9], vcc
	s_cbranch_execz .LBB867_270
; %bb.267:
	v_bfe_u32 v53, v32, 16, 7
	s_movk_i32 s10, 0x7f
	v_cmp_ne_u32_e32 vcc, s10, v53
	v_mov_b32_e32 v54, 0x7f80
	s_and_saveexec_b64 s[10:11], vcc
	s_cbranch_execz .LBB867_269
; %bb.268:
	v_and_b32_e32 v56, 7, v30
	v_ffbh_u32_e32 v54, v56
	v_min_u32_e32 v58, 32, v54
	v_subrev_u32_e32 v54, 28, v58
	v_lshlrev_b64 v[54:55], v54, v[30:31]
	v_and_b32_e32 v54, 7, v54
	v_cmp_gt_u32_e32 vcc, 8, v53
	v_lshrrev_b32_e32 v57, 3, v53
	v_sub_u32_e32 v30, 29, v58
	v_cndmask_b32_e32 v53, v56, v54, vcc
	v_mov_b32_e32 v54, 24
	v_cndmask_b32_e32 v30, v57, v30, vcc
	v_lshlrev_b32_sdwa v54, v54, v32 dst_sel:DWORD dst_unused:UNUSED_PAD src0_sel:DWORD src1_sel:WORD_1
	v_bfrev_b32_e32 v55, 60
	v_lshlrev_b32_e32 v53, 20, v53
	v_and_b32_e32 v54, 0x80000000, v54
	v_lshl_add_u32 v30, v30, 23, v55
	v_or3_b32 v30, v54, v30, v53
	v_lshrrev_b32_e32 v54, 16, v30
.LBB867_269:
	s_or_b64 exec, exec, s[10:11]
.LBB867_270:
	s_or_b64 exec, exec, s[8:9]
.LBB867_271:
	s_or_b64 exec, exec, s[2:3]
	s_mov_b32 s2, 0xffffff
	v_cmp_lt_u32_e32 vcc, s2, v32
	v_mov_b32_e32 v55, 0
	v_mov_b32_e32 v56, 0
	s_and_saveexec_b64 s[2:3], vcc
	s_cbranch_execz .LBB867_277
; %bb.272:
	v_lshrrev_b32_e32 v30, 24, v32
	s_movk_i32 s8, 0x80
	v_cmp_ne_u32_e32 vcc, s8, v30
	v_mov_b32_e32 v56, 0xffff8000
	s_and_saveexec_b64 s[8:9], vcc
	s_cbranch_execz .LBB867_276
; %bb.273:
	v_bfe_u32 v32, v32, 24, 7
	s_movk_i32 s10, 0x7f
	v_cmp_ne_u32_e32 vcc, s10, v32
	v_mov_b32_e32 v56, 0x7f80
	s_and_saveexec_b64 s[10:11], vcc
	s_cbranch_execz .LBB867_275
; %bb.274:
	v_and_b32_e32 v53, 7, v30
	v_ffbh_u32_e32 v56, v53
	v_min_u32_e32 v59, 32, v56
	v_subrev_u32_e32 v56, 28, v59
	v_lshlrev_b64 v[56:57], v56, v[30:31]
	v_lshrrev_b32_e32 v58, 3, v32
	v_sub_u32_e32 v57, 29, v59
	v_and_b32_e32 v56, 7, v56
	v_cmp_gt_u32_e32 vcc, 8, v32
	v_cndmask_b32_e32 v32, v58, v57, vcc
	v_cndmask_b32_e32 v53, v53, v56, vcc
	v_lshlrev_b32_e32 v30, 24, v30
	v_bfrev_b32_e32 v56, 60
	v_lshlrev_b32_e32 v53, 20, v53
	v_and_b32_e32 v30, 0x80000000, v30
	v_lshl_add_u32 v32, v32, 23, v56
	v_or3_b32 v30, v30, v32, v53
	v_lshrrev_b32_e32 v56, 16, v30
.LBB867_275:
	s_or_b64 exec, exec, s[10:11]
.LBB867_276:
	s_or_b64 exec, exec, s[8:9]
.LBB867_277:
	s_or_b64 exec, exec, s[2:3]
	v_cmp_ne_u16_sdwa s[8:9], v33, v55 src0_sel:BYTE_0 src1_sel:DWORD
	s_and_saveexec_b64 s[2:3], s[8:9]
	s_cbranch_execz .LBB867_283
; %bb.278:
	s_movk_i32 s8, 0x80
	v_cmp_ne_u16_sdwa s[10:11], v33, s8 src0_sel:BYTE_0 src1_sel:DWORD
	v_mov_b32_e32 v55, 0xffff8000
	s_and_saveexec_b64 s[8:9], s[10:11]
	s_cbranch_execz .LBB867_282
; %bb.279:
	s_movk_i32 s10, 0x7f
	v_and_b32_e32 v30, 0x7f, v33
	v_cmp_ne_u32_e32 vcc, s10, v30
	v_mov_b32_e32 v55, 0x7f80
	s_and_saveexec_b64 s[10:11], vcc
	s_cbranch_execz .LBB867_281
; %bb.280:
	v_and_b32_e32 v53, 7, v33
	v_ffbh_u32_e32 v57, v53
	v_min_u32_e32 v57, 32, v57
	v_mov_b32_e32 v32, v33
	v_subrev_u32_e32 v58, 28, v57
	v_lshlrev_b64 v[58:59], v58, v[32:33]
	v_lshrrev_b32_e32 v55, 3, v30
	v_sub_u32_e32 v32, 29, v57
	v_and_b32_e32 v57, 7, v58
	v_cmp_gt_u32_e32 vcc, 8, v30
	v_cndmask_b32_e32 v30, v55, v32, vcc
	v_cndmask_b32_e32 v32, v53, v57, vcc
	v_lshlrev_b32_e32 v53, 24, v33
	v_bfrev_b32_e32 v55, 60
	v_lshlrev_b32_e32 v32, 20, v32
	v_and_b32_e32 v53, 0x80000000, v53
	v_lshl_add_u32 v30, v30, 23, v55
	v_or3_b32 v30, v53, v30, v32
	v_lshrrev_b32_e32 v55, 16, v30
.LBB867_281:
	s_or_b64 exec, exec, s[10:11]
.LBB867_282:
	s_or_b64 exec, exec, s[8:9]
.LBB867_283:
	s_or_b64 exec, exec, s[2:3]
	v_lshrrev_b16_e32 v30, 8, v33
	v_cmp_ne_u16_e32 vcc, 0, v30
	v_mov_b32_e32 v57, 0
	v_mov_b32_e32 v32, 0
	s_and_saveexec_b64 s[2:3], vcc
	s_cbranch_execz .LBB867_289
; %bb.284:
	s_movk_i32 s8, 0x80
	v_cmp_ne_u16_e32 vcc, s8, v30
	v_mov_b32_e32 v32, 0xffff8000
	s_and_saveexec_b64 s[8:9], vcc
	s_cbranch_execz .LBB867_288
; %bb.285:
	s_movk_i32 s10, 0x7f
	v_and_b32_e32 v53, 0x7f, v30
	v_cmp_ne_u32_e32 vcc, s10, v53
	v_mov_b32_e32 v32, 0x7f80
	s_and_saveexec_b64 s[10:11], vcc
	s_cbranch_execz .LBB867_287
; %bb.286:
	v_and_b32_e32 v32, 7, v30
	v_ffbh_u32_e32 v58, v32
	v_min_u32_e32 v61, 32, v58
	v_subrev_u32_e32 v58, 28, v61
	v_lshlrev_b64 v[58:59], v58, v[30:31]
	v_lshrrev_b32_e32 v60, 3, v53
	v_sub_u32_e32 v30, 29, v61
	v_and_b32_e32 v58, 7, v58
	v_cmp_gt_u32_e32 vcc, 8, v53
	v_cndmask_b32_e32 v30, v60, v30, vcc
	v_cndmask_b32_e32 v32, v32, v58, vcc
	v_lshlrev_b32_e32 v53, 16, v33
	v_bfrev_b32_e32 v58, 60
	v_lshlrev_b32_e32 v32, 20, v32
	v_and_b32_e32 v53, 0x80000000, v53
	v_lshl_add_u32 v30, v30, 23, v58
	v_or3_b32 v30, v53, v30, v32
	v_lshrrev_b32_e32 v32, 16, v30
.LBB867_287:
	s_or_b64 exec, exec, s[10:11]
.LBB867_288:
	s_or_b64 exec, exec, s[8:9]
.LBB867_289:
	s_or_b64 exec, exec, s[2:3]
	s_movk_i32 s2, 0xff
	v_and_b32_sdwa v53, v33, s2 dst_sel:DWORD dst_unused:UNUSED_PAD src0_sel:WORD_1 src1_sel:DWORD
	v_lshrrev_b32_e32 v30, 16, v33
	v_cmp_ne_u16_e32 vcc, 0, v53
	s_and_saveexec_b64 s[2:3], vcc
	s_cbranch_execz .LBB867_295
; %bb.290:
	s_movk_i32 s8, 0x80
	v_cmp_ne_u16_e32 vcc, s8, v53
	v_mov_b32_e32 v57, 0xffff8000
	s_and_saveexec_b64 s[8:9], vcc
	s_cbranch_execz .LBB867_294
; %bb.291:
	v_bfe_u32 v53, v33, 16, 7
	s_movk_i32 s10, 0x7f
	v_cmp_ne_u32_e32 vcc, s10, v53
	v_mov_b32_e32 v57, 0x7f80
	s_and_saveexec_b64 s[10:11], vcc
	s_cbranch_execz .LBB867_293
; %bb.292:
	v_and_b32_e32 v57, 7, v30
	v_ffbh_u32_e32 v58, v57
	v_min_u32_e32 v61, 32, v58
	v_subrev_u32_e32 v58, 28, v61
	v_lshlrev_b64 v[58:59], v58, v[30:31]
	v_and_b32_e32 v58, 7, v58
	v_cmp_gt_u32_e32 vcc, 8, v53
	v_lshrrev_b32_e32 v60, 3, v53
	v_sub_u32_e32 v30, 29, v61
	v_cndmask_b32_e32 v53, v57, v58, vcc
	v_mov_b32_e32 v57, 24
	v_cndmask_b32_e32 v30, v60, v30, vcc
	v_lshlrev_b32_sdwa v57, v57, v33 dst_sel:DWORD dst_unused:UNUSED_PAD src0_sel:DWORD src1_sel:WORD_1
	v_bfrev_b32_e32 v58, 60
	v_lshlrev_b32_e32 v53, 20, v53
	v_and_b32_e32 v57, 0x80000000, v57
	v_lshl_add_u32 v30, v30, 23, v58
	v_or3_b32 v30, v57, v30, v53
	v_lshrrev_b32_e32 v57, 16, v30
.LBB867_293:
	s_or_b64 exec, exec, s[10:11]
.LBB867_294:
	s_or_b64 exec, exec, s[8:9]
.LBB867_295:
	s_or_b64 exec, exec, s[2:3]
	s_mov_b32 s2, 0xffffff
	v_cmp_lt_u32_e32 vcc, s2, v33
	v_mov_b32_e32 v53, 0
	v_mov_b32_e32 v58, 0
	s_and_saveexec_b64 s[2:3], vcc
	s_cbranch_execz .LBB867_301
; %bb.296:
	v_lshrrev_b32_e32 v30, 24, v33
	s_movk_i32 s8, 0x80
	v_cmp_ne_u32_e32 vcc, s8, v30
	v_mov_b32_e32 v58, 0xffff8000
	s_and_saveexec_b64 s[8:9], vcc
	s_cbranch_execz .LBB867_300
; %bb.297:
	v_bfe_u32 v33, v33, 24, 7
	s_movk_i32 s10, 0x7f
	v_cmp_ne_u32_e32 vcc, s10, v33
	v_mov_b32_e32 v58, 0x7f80
	s_and_saveexec_b64 s[10:11], vcc
	s_cbranch_execz .LBB867_299
; %bb.298:
	v_and_b32_e32 v60, 7, v30
	v_ffbh_u32_e32 v58, v60
	v_min_u32_e32 v62, 32, v58
	v_subrev_u32_e32 v58, 28, v62
	v_lshlrev_b64 v[58:59], v58, v[30:31]
	v_lshrrev_b32_e32 v61, 3, v33
	v_sub_u32_e32 v59, 29, v62
	v_and_b32_e32 v58, 7, v58
	v_cmp_gt_u32_e32 vcc, 8, v33
	v_cndmask_b32_e32 v33, v61, v59, vcc
	v_cndmask_b32_e32 v58, v60, v58, vcc
	v_lshlrev_b32_e32 v30, 24, v30
	v_bfrev_b32_e32 v59, 60
	v_lshlrev_b32_e32 v58, 20, v58
	v_and_b32_e32 v30, 0x80000000, v30
	v_lshl_add_u32 v33, v33, 23, v59
	v_or3_b32 v30, v30, v33, v58
	v_lshrrev_b32_e32 v58, 16, v30
.LBB867_299:
	s_or_b64 exec, exec, s[10:11]
.LBB867_300:
	s_or_b64 exec, exec, s[8:9]
.LBB867_301:
	s_or_b64 exec, exec, s[2:3]
	s_mov_b32 s2, 0x5040100
	v_perm_b32 v61, v56, v54, s2
	v_perm_b32 v60, v31, v52, s2
	v_perm_b32 v31, v58, v57, s2
	v_perm_b32 v30, v32, v55, s2
	v_cmp_ne_u16_sdwa s[8:9], v22, v53 src0_sel:BYTE_0 src1_sel:DWORD
	v_mfma_f32_16x16x16bf16_1k v[42:45], v[60:61], v[18:19], v[42:45]
	v_mfma_f32_16x16x16bf16_1k v[30:33], v[30:31], v[20:21], v[42:45]
	s_and_saveexec_b64 s[2:3], s[8:9]
	s_cbranch_execz .LBB867_307
; %bb.302:
	s_movk_i32 s8, 0x80
	v_cmp_ne_u16_sdwa s[10:11], v22, s8 src0_sel:BYTE_0 src1_sel:DWORD
	v_mov_b32_e32 v53, 0xffff8000
	s_and_saveexec_b64 s[8:9], s[10:11]
	s_cbranch_execz .LBB867_306
; %bb.303:
	s_movk_i32 s10, 0x7f
	s_nop 1
	v_and_b32_e32 v42, 0x7f, v22
	v_cmp_ne_u32_e32 vcc, s10, v42
	v_mov_b32_e32 v53, 0x7f80
	s_and_saveexec_b64 s[10:11], vcc
	s_cbranch_execz .LBB867_305
; %bb.304:
	v_and_b32_e32 v43, 7, v22
	v_ffbh_u32_e32 v44, v43
	v_min_u32_e32 v53, 32, v44
	v_subrev_u32_e32 v44, 28, v53
	v_lshlrev_b64 v[44:45], v44, v[22:23]
	v_lshrrev_b32_e32 v52, 3, v42
	v_sub_u32_e32 v45, 29, v53
	v_and_b32_e32 v44, 7, v44
	v_cmp_gt_u32_e32 vcc, 8, v42
	v_cndmask_b32_e32 v42, v52, v45, vcc
	v_cndmask_b32_e32 v43, v43, v44, vcc
	v_lshlrev_b32_e32 v44, 24, v22
	v_bfrev_b32_e32 v45, 60
	v_lshlrev_b32_e32 v43, 20, v43
	v_and_b32_e32 v44, 0x80000000, v44
	v_lshl_add_u32 v42, v42, 23, v45
	v_or3_b32 v42, v44, v42, v43
	v_lshrrev_b32_e32 v53, 16, v42
.LBB867_305:
	s_or_b64 exec, exec, s[10:11]
.LBB867_306:
	s_or_b64 exec, exec, s[8:9]
.LBB867_307:
	s_or_b64 exec, exec, s[2:3]
	s_nop 6
	v_lshrrev_b16_e32 v42, 8, v22
	v_cmp_ne_u16_e32 vcc, 0, v42
	v_mov_b32_e32 v44, 0
	v_mov_b32_e32 v43, 0
	s_and_saveexec_b64 s[2:3], vcc
	s_cbranch_execz .LBB867_313
; %bb.308:
	s_movk_i32 s8, 0x80
	v_cmp_ne_u16_e32 vcc, s8, v42
	v_mov_b32_e32 v43, 0xffff8000
	s_and_saveexec_b64 s[8:9], vcc
	s_cbranch_execz .LBB867_312
; %bb.309:
	s_movk_i32 s10, 0x7f
	v_and_b32_e32 v45, 0x7f, v42
	v_cmp_ne_u32_e32 vcc, s10, v45
	v_mov_b32_e32 v43, 0x7f80
	s_and_saveexec_b64 s[10:11], vcc
	s_cbranch_execz .LBB867_311
; %bb.310:
	v_and_b32_e32 v52, 7, v42
	v_ffbh_u32_e32 v43, v52
	v_min_u32_e32 v55, 32, v43
	v_subrev_u32_e32 v43, 28, v55
	v_lshlrev_b64 v[42:43], v43, v[42:43]
	v_lshrrev_b32_e32 v54, 3, v45
	v_sub_u32_e32 v43, 29, v55
	v_and_b32_e32 v42, 7, v42
	v_cmp_gt_u32_e32 vcc, 8, v45
	v_cndmask_b32_e32 v43, v54, v43, vcc
	v_cndmask_b32_e32 v42, v52, v42, vcc
	v_lshlrev_b32_e32 v45, 16, v22
	v_bfrev_b32_e32 v52, 60
	v_lshlrev_b32_e32 v42, 20, v42
	v_and_b32_e32 v45, 0x80000000, v45
	v_lshl_add_u32 v43, v43, 23, v52
	v_or3_b32 v42, v45, v43, v42
	v_lshrrev_b32_e32 v43, 16, v42
.LBB867_311:
	s_or_b64 exec, exec, s[10:11]
.LBB867_312:
	s_or_b64 exec, exec, s[8:9]
.LBB867_313:
	s_or_b64 exec, exec, s[2:3]
	s_movk_i32 s2, 0xff
	v_and_b32_sdwa v45, v22, s2 dst_sel:DWORD dst_unused:UNUSED_PAD src0_sel:WORD_1 src1_sel:DWORD
	v_lshrrev_b32_e32 v42, 16, v22
	v_cmp_ne_u16_e32 vcc, 0, v45
	s_and_saveexec_b64 s[2:3], vcc
	s_cbranch_execz .LBB867_319
; %bb.314:
	s_movk_i32 s8, 0x80
	v_cmp_ne_u16_e32 vcc, s8, v45
	v_mov_b32_e32 v44, 0xffff8000
	s_and_saveexec_b64 s[8:9], vcc
	s_cbranch_execz .LBB867_318
; %bb.315:
	v_bfe_u32 v45, v22, 16, 7
	s_movk_i32 s10, 0x7f
	v_cmp_ne_u32_e32 vcc, s10, v45
	v_mov_b32_e32 v44, 0x7f80
	s_and_saveexec_b64 s[10:11], vcc
	s_cbranch_execz .LBB867_317
; %bb.316:
	v_and_b32_e32 v44, 7, v42
	v_ffbh_u32_e32 v54, v44
	v_min_u32_e32 v56, 32, v54
	v_subrev_u32_e32 v54, 28, v56
	v_lshlrev_b64 v[54:55], v54, v[42:43]
	v_lshrrev_b32_e32 v52, 3, v45
	v_sub_u32_e32 v42, 29, v56
	v_and_b32_e32 v54, 7, v54
	v_cmp_gt_u32_e32 vcc, 8, v45
	v_mov_b32_e32 v45, 24
	v_cndmask_b32_e32 v42, v52, v42, vcc
	v_cndmask_b32_e32 v44, v44, v54, vcc
	v_lshlrev_b32_sdwa v45, v45, v22 dst_sel:DWORD dst_unused:UNUSED_PAD src0_sel:DWORD src1_sel:WORD_1
	v_bfrev_b32_e32 v52, 60
	v_lshlrev_b32_e32 v44, 20, v44
	v_and_b32_e32 v45, 0x80000000, v45
	v_lshl_add_u32 v42, v42, 23, v52
	v_or3_b32 v42, v45, v42, v44
	v_lshrrev_b32_e32 v44, 16, v42
.LBB867_317:
	s_or_b64 exec, exec, s[10:11]
.LBB867_318:
	s_or_b64 exec, exec, s[8:9]
.LBB867_319:
	s_or_b64 exec, exec, s[2:3]
	s_mov_b32 s2, 0xffffff
	v_cmp_lt_u32_e32 vcc, s2, v22
	v_mov_b32_e32 v45, 0
	v_mov_b32_e32 v52, 0
	s_and_saveexec_b64 s[2:3], vcc
	s_cbranch_execz .LBB867_325
; %bb.320:
	v_lshrrev_b32_e32 v42, 24, v22
	s_movk_i32 s8, 0x80
	v_cmp_ne_u32_e32 vcc, s8, v42
	v_mov_b32_e32 v52, 0xffff8000
	s_and_saveexec_b64 s[8:9], vcc
	s_cbranch_execz .LBB867_324
; %bb.321:
	v_bfe_u32 v22, v22, 24, 7
	s_movk_i32 s10, 0x7f
	v_cmp_ne_u32_e32 vcc, s10, v22
	v_mov_b32_e32 v52, 0x7f80
	s_and_saveexec_b64 s[10:11], vcc
	s_cbranch_execz .LBB867_323
; %bb.322:
	v_and_b32_e32 v52, 7, v42
	v_ffbh_u32_e32 v54, v52
	v_min_u32_e32 v57, 32, v54
	v_subrev_u32_e32 v54, 28, v57
	v_lshlrev_b64 v[54:55], v54, v[42:43]
	v_lshrrev_b32_e32 v56, 3, v22
	v_sub_u32_e32 v55, 29, v57
	v_and_b32_e32 v54, 7, v54
	v_cmp_gt_u32_e32 vcc, 8, v22
	v_cndmask_b32_e32 v22, v56, v55, vcc
	v_cndmask_b32_e32 v52, v52, v54, vcc
	v_lshlrev_b32_e32 v42, 24, v42
	v_bfrev_b32_e32 v54, 60
	v_lshlrev_b32_e32 v52, 20, v52
	v_and_b32_e32 v42, 0x80000000, v42
	v_lshl_add_u32 v22, v22, 23, v54
	v_or3_b32 v22, v42, v22, v52
	v_lshrrev_b32_e32 v52, 16, v22
.LBB867_323:
	s_or_b64 exec, exec, s[10:11]
.LBB867_324:
	s_or_b64 exec, exec, s[8:9]
.LBB867_325:
	s_or_b64 exec, exec, s[2:3]
	v_cmp_ne_u16_sdwa s[8:9], v23, v45 src0_sel:BYTE_0 src1_sel:DWORD
	s_and_saveexec_b64 s[2:3], s[8:9]
	s_cbranch_execz .LBB867_331
; %bb.326:
	s_movk_i32 s8, 0x80
	v_cmp_ne_u16_sdwa s[10:11], v23, s8 src0_sel:BYTE_0 src1_sel:DWORD
	v_mov_b32_e32 v45, 0xffff8000
	s_and_saveexec_b64 s[8:9], s[10:11]
	s_cbranch_execz .LBB867_330
; %bb.327:
	s_movk_i32 s10, 0x7f
	v_and_b32_e32 v22, 0x7f, v23
	v_cmp_ne_u32_e32 vcc, s10, v22
	v_mov_b32_e32 v45, 0x7f80
	s_and_saveexec_b64 s[10:11], vcc
	s_cbranch_execz .LBB867_329
; %bb.328:
	v_and_b32_e32 v45, 7, v23
	v_ffbh_u32_e32 v54, v45
	v_min_u32_e32 v57, 32, v54
	v_mov_b32_e32 v42, v23
	v_subrev_u32_e32 v54, 28, v57
	v_lshlrev_b64 v[54:55], v54, v[42:43]
	v_lshrrev_b32_e32 v56, 3, v22
	v_sub_u32_e32 v42, 29, v57
	v_and_b32_e32 v54, 7, v54
	v_cmp_gt_u32_e32 vcc, 8, v22
	v_cndmask_b32_e32 v22, v56, v42, vcc
	v_cndmask_b32_e32 v42, v45, v54, vcc
	v_lshlrev_b32_e32 v45, 24, v23
	v_bfrev_b32_e32 v54, 60
	v_lshlrev_b32_e32 v42, 20, v42
	v_and_b32_e32 v45, 0x80000000, v45
	v_lshl_add_u32 v22, v22, 23, v54
	v_or3_b32 v22, v45, v22, v42
	v_lshrrev_b32_e32 v45, 16, v22
.LBB867_329:
	s_or_b64 exec, exec, s[10:11]
.LBB867_330:
	s_or_b64 exec, exec, s[8:9]
.LBB867_331:
	s_or_b64 exec, exec, s[2:3]
	v_lshrrev_b16_e32 v22, 8, v23
	v_cmp_ne_u16_e32 vcc, 0, v22
	v_mov_b32_e32 v55, 0
	v_mov_b32_e32 v54, 0
	s_and_saveexec_b64 s[2:3], vcc
	s_cbranch_execz .LBB867_337
; %bb.332:
	s_movk_i32 s8, 0x80
	v_cmp_ne_u16_e32 vcc, s8, v22
	v_mov_b32_e32 v54, 0xffff8000
	s_and_saveexec_b64 s[8:9], vcc
	s_cbranch_execz .LBB867_336
; %bb.333:
	s_movk_i32 s10, 0x7f
	v_and_b32_e32 v42, 0x7f, v22
	v_cmp_ne_u32_e32 vcc, s10, v42
	v_mov_b32_e32 v54, 0x7f80
	s_and_saveexec_b64 s[10:11], vcc
	s_cbranch_execz .LBB867_335
; %bb.334:
	v_and_b32_e32 v54, 7, v22
	v_ffbh_u32_e32 v56, v54
	v_min_u32_e32 v59, 32, v56
	v_subrev_u32_e32 v56, 28, v59
	v_lshlrev_b64 v[56:57], v56, v[22:23]
	v_lshrrev_b32_e32 v58, 3, v42
	v_sub_u32_e32 v22, 29, v59
	v_and_b32_e32 v56, 7, v56
	v_cmp_gt_u32_e32 vcc, 8, v42
	v_cndmask_b32_e32 v22, v58, v22, vcc
	v_cndmask_b32_e32 v42, v54, v56, vcc
	v_lshlrev_b32_e32 v54, 16, v23
	v_bfrev_b32_e32 v56, 60
	v_lshlrev_b32_e32 v42, 20, v42
	v_and_b32_e32 v54, 0x80000000, v54
	v_lshl_add_u32 v22, v22, 23, v56
	v_or3_b32 v22, v54, v22, v42
	v_lshrrev_b32_e32 v54, 16, v22
.LBB867_335:
	s_or_b64 exec, exec, s[10:11]
.LBB867_336:
	s_or_b64 exec, exec, s[8:9]
.LBB867_337:
	s_or_b64 exec, exec, s[2:3]
	s_movk_i32 s2, 0xff
	v_and_b32_sdwa v42, v23, s2 dst_sel:DWORD dst_unused:UNUSED_PAD src0_sel:WORD_1 src1_sel:DWORD
	v_lshrrev_b32_e32 v22, 16, v23
	v_cmp_ne_u16_e32 vcc, 0, v42
	s_and_saveexec_b64 s[2:3], vcc
	s_cbranch_execz .LBB867_343
; %bb.338:
	s_movk_i32 s8, 0x80
	v_cmp_ne_u16_e32 vcc, s8, v42
	v_mov_b32_e32 v55, 0xffff8000
	s_and_saveexec_b64 s[8:9], vcc
	s_cbranch_execz .LBB867_342
; %bb.339:
	v_bfe_u32 v42, v23, 16, 7
	s_movk_i32 s10, 0x7f
	v_cmp_ne_u32_e32 vcc, s10, v42
	v_mov_b32_e32 v55, 0x7f80
	s_and_saveexec_b64 s[10:11], vcc
	s_cbranch_execz .LBB867_341
; %bb.340:
	v_and_b32_e32 v55, 7, v22
	v_ffbh_u32_e32 v56, v55
	v_min_u32_e32 v59, 32, v56
	v_subrev_u32_e32 v56, 28, v59
	v_lshlrev_b64 v[56:57], v56, v[22:23]
	v_and_b32_e32 v56, 7, v56
	v_cmp_gt_u32_e32 vcc, 8, v42
	v_lshrrev_b32_e32 v58, 3, v42
	v_sub_u32_e32 v22, 29, v59
	v_cndmask_b32_e32 v42, v55, v56, vcc
	v_mov_b32_e32 v55, 24
	v_cndmask_b32_e32 v22, v58, v22, vcc
	v_lshlrev_b32_sdwa v55, v55, v23 dst_sel:DWORD dst_unused:UNUSED_PAD src0_sel:DWORD src1_sel:WORD_1
	v_bfrev_b32_e32 v56, 60
	v_lshlrev_b32_e32 v42, 20, v42
	v_and_b32_e32 v55, 0x80000000, v55
	v_lshl_add_u32 v22, v22, 23, v56
	v_or3_b32 v22, v55, v22, v42
	v_lshrrev_b32_e32 v55, 16, v22
.LBB867_341:
	s_or_b64 exec, exec, s[10:11]
.LBB867_342:
	s_or_b64 exec, exec, s[8:9]
.LBB867_343:
	s_or_b64 exec, exec, s[2:3]
	s_mov_b32 s2, 0xffffff
	v_cmp_lt_u32_e32 vcc, s2, v23
	v_mov_b32_e32 v42, 0
	v_mov_b32_e32 v56, 0
	s_and_saveexec_b64 s[2:3], vcc
	s_cbranch_execz .LBB867_349
; %bb.344:
	v_lshrrev_b32_e32 v22, 24, v23
	s_movk_i32 s8, 0x80
	v_cmp_ne_u32_e32 vcc, s8, v22
	v_mov_b32_e32 v56, 0xffff8000
	s_and_saveexec_b64 s[8:9], vcc
	s_cbranch_execz .LBB867_348
; %bb.345:
	v_bfe_u32 v23, v23, 24, 7
	s_movk_i32 s10, 0x7f
	v_cmp_ne_u32_e32 vcc, s10, v23
	v_mov_b32_e32 v56, 0x7f80
	s_and_saveexec_b64 s[10:11], vcc
	s_cbranch_execz .LBB867_347
; %bb.346:
	v_and_b32_e32 v58, 7, v22
	v_ffbh_u32_e32 v56, v58
	v_min_u32_e32 v60, 32, v56
	v_subrev_u32_e32 v56, 28, v60
	v_lshlrev_b64 v[56:57], v56, v[22:23]
	v_lshrrev_b32_e32 v59, 3, v23
	v_sub_u32_e32 v57, 29, v60
	v_and_b32_e32 v56, 7, v56
	v_cmp_gt_u32_e32 vcc, 8, v23
	v_cndmask_b32_e32 v23, v59, v57, vcc
	v_cndmask_b32_e32 v56, v58, v56, vcc
	v_lshlrev_b32_e32 v22, 24, v22
	v_bfrev_b32_e32 v57, 60
	v_lshlrev_b32_e32 v56, 20, v56
	v_and_b32_e32 v22, 0x80000000, v22
	v_lshl_add_u32 v23, v23, 23, v57
	v_or3_b32 v22, v22, v23, v56
	v_lshrrev_b32_e32 v56, 16, v22
.LBB867_347:
	s_or_b64 exec, exec, s[10:11]
.LBB867_348:
	s_or_b64 exec, exec, s[8:9]
.LBB867_349:
	s_or_b64 exec, exec, s[2:3]
	s_mov_b32 s2, 0x5040100
	v_perm_b32 v23, v52, v44, s2
	v_perm_b32 v22, v43, v53, s2
	v_cmp_ne_u16_sdwa s[8:9], v24, v42 src0_sel:BYTE_0 src1_sel:DWORD
	s_nop 0
	v_mfma_f32_16x16x16bf16_1k v[58:61], v[22:23], v[26:27], 0
	v_perm_b32 v23, v56, v55, s2
	v_perm_b32 v22, v54, v45, s2
	s_nop 1
	v_mfma_f32_16x16x16bf16_1k v[26:29], v[22:23], v[28:29], v[58:61]
	s_and_saveexec_b64 s[2:3], s[8:9]
	s_cbranch_execz .LBB867_355
; %bb.350:
	s_movk_i32 s8, 0x80
	v_cmp_ne_u16_sdwa s[10:11], v24, s8 src0_sel:BYTE_0 src1_sel:DWORD
	v_mov_b32_e32 v42, 0xffff8000
	s_and_saveexec_b64 s[8:9], s[10:11]
	s_cbranch_execz .LBB867_354
; %bb.351:
	s_movk_i32 s10, 0x7f
	v_and_b32_e32 v22, 0x7f, v24
	v_cmp_ne_u32_e32 vcc, s10, v22
	v_mov_b32_e32 v42, 0x7f80
	s_and_saveexec_b64 s[10:11], vcc
	s_cbranch_execz .LBB867_353
; %bb.352:
	v_and_b32_e32 v23, 7, v24
	v_ffbh_u32_e32 v42, v23
	v_min_u32_e32 v45, 32, v42
	v_subrev_u32_e32 v42, 28, v45
	v_lshlrev_b64 v[42:43], v42, v[24:25]
	v_lshrrev_b32_e32 v44, 3, v22
	v_sub_u32_e32 v43, 29, v45
	v_and_b32_e32 v42, 7, v42
	v_cmp_gt_u32_e32 vcc, 8, v22
	v_cndmask_b32_e32 v22, v44, v43, vcc
	v_cndmask_b32_e32 v23, v23, v42, vcc
	v_lshlrev_b32_e32 v42, 24, v24
	v_bfrev_b32_e32 v43, 60
	v_lshlrev_b32_e32 v23, 20, v23
	v_and_b32_e32 v42, 0x80000000, v42
	v_lshl_add_u32 v22, v22, 23, v43
	v_or3_b32 v22, v42, v22, v23
	v_lshrrev_b32_e32 v42, 16, v22
.LBB867_353:
	s_or_b64 exec, exec, s[10:11]
.LBB867_354:
	s_or_b64 exec, exec, s[8:9]
.LBB867_355:
	s_or_b64 exec, exec, s[2:3]
	v_lshrrev_b16_e32 v22, 8, v24
	v_cmp_ne_u16_e32 vcc, 0, v22
	v_mov_b32_e32 v43, 0
	v_mov_b32_e32 v23, 0
	s_and_saveexec_b64 s[2:3], vcc
	s_cbranch_execz .LBB867_361
; %bb.356:
	s_movk_i32 s8, 0x80
	v_cmp_ne_u16_e32 vcc, s8, v22
	v_mov_b32_e32 v23, 0xffff8000
	s_and_saveexec_b64 s[8:9], vcc
	s_cbranch_execz .LBB867_360
; %bb.357:
	s_movk_i32 s10, 0x7f
	v_and_b32_e32 v44, 0x7f, v22
	v_cmp_ne_u32_e32 vcc, s10, v44
	v_mov_b32_e32 v23, 0x7f80
	s_and_saveexec_b64 s[10:11], vcc
	s_cbranch_execz .LBB867_359
; %bb.358:
	v_and_b32_e32 v45, 7, v22
	v_ffbh_u32_e32 v23, v45
	v_min_u32_e32 v53, 32, v23
	v_subrev_u32_e32 v23, 28, v53
	v_lshlrev_b64 v[22:23], v23, v[22:23]
	v_lshrrev_b32_e32 v52, 3, v44
	v_sub_u32_e32 v23, 29, v53
	v_and_b32_e32 v22, 7, v22
	v_cmp_gt_u32_e32 vcc, 8, v44
	v_cndmask_b32_e32 v23, v52, v23, vcc
	v_cndmask_b32_e32 v22, v45, v22, vcc
	v_lshlrev_b32_e32 v44, 16, v24
	v_bfrev_b32_e32 v45, 60
	v_lshlrev_b32_e32 v22, 20, v22
	v_and_b32_e32 v44, 0x80000000, v44
	v_lshl_add_u32 v23, v23, 23, v45
	v_or3_b32 v22, v44, v23, v22
	v_lshrrev_b32_e32 v23, 16, v22
.LBB867_359:
	s_or_b64 exec, exec, s[10:11]
.LBB867_360:
	s_or_b64 exec, exec, s[8:9]
.LBB867_361:
	s_or_b64 exec, exec, s[2:3]
	s_movk_i32 s2, 0xff
	v_and_b32_sdwa v44, v24, s2 dst_sel:DWORD dst_unused:UNUSED_PAD src0_sel:WORD_1 src1_sel:DWORD
	v_lshrrev_b32_e32 v22, 16, v24
	v_cmp_ne_u16_e32 vcc, 0, v44
	s_and_saveexec_b64 s[2:3], vcc
	s_cbranch_execz .LBB867_367
; %bb.362:
	s_movk_i32 s8, 0x80
	v_cmp_ne_u16_e32 vcc, s8, v44
	v_mov_b32_e32 v43, 0xffff8000
	s_and_saveexec_b64 s[8:9], vcc
	s_cbranch_execz .LBB867_366
; %bb.363:
	v_bfe_u32 v44, v24, 16, 7
	s_movk_i32 s10, 0x7f
	v_cmp_ne_u32_e32 vcc, s10, v44
	v_mov_b32_e32 v43, 0x7f80
	s_and_saveexec_b64 s[10:11], vcc
	s_cbranch_execz .LBB867_365
; %bb.364:
	v_and_b32_e32 v43, 7, v22
	v_ffbh_u32_e32 v52, v43
	v_min_u32_e32 v54, 32, v52
	v_subrev_u32_e32 v52, 28, v54
	v_lshlrev_b64 v[52:53], v52, v[22:23]
	v_lshrrev_b32_e32 v45, 3, v44
	v_sub_u32_e32 v22, 29, v54
	v_and_b32_e32 v52, 7, v52
	v_cmp_gt_u32_e32 vcc, 8, v44
	v_mov_b32_e32 v44, 24
	v_cndmask_b32_e32 v22, v45, v22, vcc
	v_cndmask_b32_e32 v43, v43, v52, vcc
	v_lshlrev_b32_sdwa v44, v44, v24 dst_sel:DWORD dst_unused:UNUSED_PAD src0_sel:DWORD src1_sel:WORD_1
	v_bfrev_b32_e32 v45, 60
	v_lshlrev_b32_e32 v43, 20, v43
	v_and_b32_e32 v44, 0x80000000, v44
	v_lshl_add_u32 v22, v22, 23, v45
	v_or3_b32 v22, v44, v22, v43
	v_lshrrev_b32_e32 v43, 16, v22
.LBB867_365:
	s_or_b64 exec, exec, s[10:11]
.LBB867_366:
	s_or_b64 exec, exec, s[8:9]
.LBB867_367:
	s_or_b64 exec, exec, s[2:3]
	s_mov_b32 s2, 0xffffff
	v_cmp_lt_u32_e32 vcc, s2, v24
	v_mov_b32_e32 v45, 0
	v_mov_b32_e32 v52, 0
	s_and_saveexec_b64 s[2:3], vcc
	s_cbranch_execz .LBB867_373
; %bb.368:
	v_lshrrev_b32_e32 v22, 24, v24
	s_movk_i32 s8, 0x80
	v_cmp_ne_u32_e32 vcc, s8, v22
	v_mov_b32_e32 v52, 0xffff8000
	s_and_saveexec_b64 s[8:9], vcc
	s_cbranch_execz .LBB867_372
; %bb.369:
	v_bfe_u32 v24, v24, 24, 7
	s_movk_i32 s10, 0x7f
	v_cmp_ne_u32_e32 vcc, s10, v24
	v_mov_b32_e32 v52, 0x7f80
	s_and_saveexec_b64 s[10:11], vcc
	s_cbranch_execz .LBB867_371
; %bb.370:
	v_and_b32_e32 v44, 7, v22
	v_ffbh_u32_e32 v52, v44
	v_min_u32_e32 v55, 32, v52
	v_subrev_u32_e32 v52, 28, v55
	v_lshlrev_b64 v[52:53], v52, v[22:23]
	v_lshrrev_b32_e32 v54, 3, v24
	v_sub_u32_e32 v53, 29, v55
	v_and_b32_e32 v52, 7, v52
	v_cmp_gt_u32_e32 vcc, 8, v24
	v_cndmask_b32_e32 v24, v54, v53, vcc
	v_cndmask_b32_e32 v44, v44, v52, vcc
	v_lshlrev_b32_e32 v22, 24, v22
	v_bfrev_b32_e32 v52, 60
	v_lshlrev_b32_e32 v44, 20, v44
	v_and_b32_e32 v22, 0x80000000, v22
	v_lshl_add_u32 v24, v24, 23, v52
	v_or3_b32 v22, v22, v24, v44
	v_lshrrev_b32_e32 v52, 16, v22
.LBB867_371:
	s_or_b64 exec, exec, s[10:11]
.LBB867_372:
	s_or_b64 exec, exec, s[8:9]
.LBB867_373:
	s_or_b64 exec, exec, s[2:3]
	v_cmp_ne_u16_sdwa s[8:9], v25, v45 src0_sel:BYTE_0 src1_sel:DWORD
	s_and_saveexec_b64 s[2:3], s[8:9]
	s_cbranch_execz .LBB867_379
; %bb.374:
	s_movk_i32 s8, 0x80
	v_cmp_ne_u16_sdwa s[10:11], v25, s8 src0_sel:BYTE_0 src1_sel:DWORD
	v_mov_b32_e32 v45, 0xffff8000
	s_and_saveexec_b64 s[8:9], s[10:11]
	s_cbranch_execz .LBB867_378
; %bb.375:
	s_movk_i32 s10, 0x7f
	v_and_b32_e32 v22, 0x7f, v25
	v_cmp_ne_u32_e32 vcc, s10, v22
	v_mov_b32_e32 v45, 0x7f80
	s_and_saveexec_b64 s[10:11], vcc
	s_cbranch_execz .LBB867_377
; %bb.376:
	v_and_b32_e32 v53, 7, v25
	v_ffbh_u32_e32 v44, v53
	v_min_u32_e32 v55, 32, v44
	v_mov_b32_e32 v24, v25
	v_subrev_u32_e32 v44, 28, v55
	v_lshlrev_b64 v[44:45], v44, v[24:25]
	v_lshrrev_b32_e32 v54, 3, v22
	v_sub_u32_e32 v24, 29, v55
	v_and_b32_e32 v44, 7, v44
	v_cmp_gt_u32_e32 vcc, 8, v22
	v_cndmask_b32_e32 v22, v54, v24, vcc
	v_cndmask_b32_e32 v24, v53, v44, vcc
	v_lshlrev_b32_e32 v44, 24, v25
	v_bfrev_b32_e32 v45, 60
	v_lshlrev_b32_e32 v24, 20, v24
	v_and_b32_e32 v44, 0x80000000, v44
	v_lshl_add_u32 v22, v22, 23, v45
	v_or3_b32 v22, v44, v22, v24
	v_lshrrev_b32_e32 v45, 16, v22
.LBB867_377:
	s_or_b64 exec, exec, s[10:11]
.LBB867_378:
	s_or_b64 exec, exec, s[8:9]
.LBB867_379:
	s_or_b64 exec, exec, s[2:3]
	v_lshrrev_b16_e32 v22, 8, v25
	v_cmp_ne_u16_e32 vcc, 0, v22
	v_mov_b32_e32 v54, 0
	v_mov_b32_e32 v53, 0
	s_and_saveexec_b64 s[2:3], vcc
	s_cbranch_execz .LBB867_385
; %bb.380:
	s_movk_i32 s8, 0x80
	v_cmp_ne_u16_e32 vcc, s8, v22
	v_mov_b32_e32 v53, 0xffff8000
	s_and_saveexec_b64 s[8:9], vcc
	s_cbranch_execz .LBB867_384
; %bb.381:
	s_movk_i32 s10, 0x7f
	v_and_b32_e32 v24, 0x7f, v22
	v_cmp_ne_u32_e32 vcc, s10, v24
	v_mov_b32_e32 v53, 0x7f80
	s_and_saveexec_b64 s[10:11], vcc
	s_cbranch_execz .LBB867_383
; %bb.382:
	v_and_b32_e32 v44, 7, v22
	v_ffbh_u32_e32 v55, v44
	v_min_u32_e32 v55, 32, v55
	v_subrev_u32_e32 v56, 28, v55
	v_lshlrev_b64 v[56:57], v56, v[22:23]
	v_lshrrev_b32_e32 v53, 3, v24
	v_sub_u32_e32 v22, 29, v55
	v_and_b32_e32 v55, 7, v56
	v_cmp_gt_u32_e32 vcc, 8, v24
	v_cndmask_b32_e32 v22, v53, v22, vcc
	v_cndmask_b32_e32 v24, v44, v55, vcc
	v_lshlrev_b32_e32 v44, 16, v25
	v_bfrev_b32_e32 v53, 60
	v_lshlrev_b32_e32 v24, 20, v24
	v_and_b32_e32 v44, 0x80000000, v44
	v_lshl_add_u32 v22, v22, 23, v53
	v_or3_b32 v22, v44, v22, v24
	v_lshrrev_b32_e32 v53, 16, v22
.LBB867_383:
	s_or_b64 exec, exec, s[10:11]
.LBB867_384:
	s_or_b64 exec, exec, s[8:9]
.LBB867_385:
	s_or_b64 exec, exec, s[2:3]
	s_movk_i32 s2, 0xff
	v_and_b32_sdwa v24, v25, s2 dst_sel:DWORD dst_unused:UNUSED_PAD src0_sel:WORD_1 src1_sel:DWORD
	v_lshrrev_b32_e32 v22, 16, v25
	v_cmp_ne_u16_e32 vcc, 0, v24
	s_and_saveexec_b64 s[2:3], vcc
	s_cbranch_execz .LBB867_391
; %bb.386:
	s_movk_i32 s8, 0x80
	v_cmp_ne_u16_e32 vcc, s8, v24
	v_mov_b32_e32 v54, 0xffff8000
	s_and_saveexec_b64 s[8:9], vcc
	s_cbranch_execz .LBB867_390
; %bb.387:
	v_bfe_u32 v24, v25, 16, 7
	s_movk_i32 s10, 0x7f
	v_cmp_ne_u32_e32 vcc, s10, v24
	v_mov_b32_e32 v54, 0x7f80
	s_and_saveexec_b64 s[10:11], vcc
	s_cbranch_execz .LBB867_389
; %bb.388:
	v_and_b32_e32 v44, 7, v22
	v_ffbh_u32_e32 v54, v44
	v_min_u32_e32 v57, 32, v54
	v_subrev_u32_e32 v54, 28, v57
	v_lshlrev_b64 v[54:55], v54, v[22:23]
	v_and_b32_e32 v54, 7, v54
	v_cmp_gt_u32_e32 vcc, 8, v24
	v_lshrrev_b32_e32 v56, 3, v24
	v_sub_u32_e32 v22, 29, v57
	v_cndmask_b32_e32 v24, v44, v54, vcc
	v_mov_b32_e32 v44, 24
	v_cndmask_b32_e32 v22, v56, v22, vcc
	v_lshlrev_b32_sdwa v44, v44, v25 dst_sel:DWORD dst_unused:UNUSED_PAD src0_sel:DWORD src1_sel:WORD_1
	v_bfrev_b32_e32 v54, 60
	v_lshlrev_b32_e32 v24, 20, v24
	v_and_b32_e32 v44, 0x80000000, v44
	v_lshl_add_u32 v22, v22, 23, v54
	v_or3_b32 v22, v44, v22, v24
	v_lshrrev_b32_e32 v54, 16, v22
.LBB867_389:
	s_or_b64 exec, exec, s[10:11]
.LBB867_390:
	s_or_b64 exec, exec, s[8:9]
.LBB867_391:
	s_or_b64 exec, exec, s[2:3]
	s_mov_b32 s2, 0xffffff
	v_and_b32_e32 v44, 63, v0
	v_cmp_lt_u32_e32 vcc, s2, v25
	v_mov_b32_e32 v55, 0
	s_and_saveexec_b64 s[2:3], vcc
	s_cbranch_execz .LBB867_397
; %bb.392:
	v_lshrrev_b32_e32 v22, 24, v25
	s_movk_i32 s8, 0x80
	v_cmp_ne_u32_e32 vcc, s8, v22
	v_mov_b32_e32 v55, 0xffff8000
	s_and_saveexec_b64 s[8:9], vcc
	s_cbranch_execz .LBB867_396
; %bb.393:
	v_bfe_u32 v24, v25, 24, 7
	s_movk_i32 s10, 0x7f
	v_cmp_ne_u32_e32 vcc, s10, v24
	v_mov_b32_e32 v55, 0x7f80
	s_and_saveexec_b64 s[10:11], vcc
	s_cbranch_execz .LBB867_395
; %bb.394:
	v_and_b32_e32 v25, 7, v22
	v_ffbh_u32_e32 v56, v25
	v_min_u32_e32 v58, 32, v56
	v_subrev_u32_e32 v56, 28, v58
	v_lshlrev_b64 v[56:57], v56, v[22:23]
	v_lshrrev_b32_e32 v55, 3, v24
	v_sub_u32_e32 v57, 29, v58
	v_and_b32_e32 v56, 7, v56
	v_cmp_gt_u32_e32 vcc, 8, v24
	v_cndmask_b32_e32 v24, v55, v57, vcc
	v_cndmask_b32_e32 v25, v25, v56, vcc
	v_lshlrev_b32_e32 v22, 24, v22
	v_bfrev_b32_e32 v55, 60
	v_lshlrev_b32_e32 v25, 20, v25
	v_and_b32_e32 v22, 0x80000000, v22
	v_lshl_add_u32 v24, v24, 23, v55
	v_or3_b32 v22, v22, v24, v25
	v_lshrrev_b32_e32 v55, 16, v22
.LBB867_395:
	s_or_b64 exec, exec, s[10:11]
.LBB867_396:
	s_or_b64 exec, exec, s[8:9]
.LBB867_397:
	s_or_b64 exec, exec, s[2:3]
	s_mov_b32 s3, 0x5040100
	v_perm_b32 v43, v52, v43, s3
	v_perm_b32 v42, v23, v42, s3
	s_load_dword s2, s[4:5], 0x1c
	s_mov_b32 s46, 0xff7fffff
	s_waitcnt lgkmcnt(0)
	v_mfma_f32_16x16x16bf16_1k v[26:29], v[42:43], v[18:19], v[26:29]
	v_perm_b32 v19, v55, v54, s3
	v_perm_b32 v18, v53, v45, s3
	v_mov_b32_e32 v22, s2
	v_mul_f32_e32 v52, s12, v22
	v_pk_mul_f32 v[22:23], v[52:53], v[32:33] op_sel_hi:[0,1]
	v_pk_mul_f32 v[32:33], v[52:53], v[38:39] op_sel_hi:[0,1]
	v_and_b32_e32 v38, 0xc0, v0
	v_mfma_f32_16x16x16bf16_1k v[26:29], v[18:19], v[20:21], v[26:29]
	v_add_u32_e32 v38, s18, v38
	v_lshl_or_b32 v38, v1, 2, v38
	v_or_b32_e32 v39, 1, v38
	v_pk_mul_f32 v[24:25], v[52:53], v[30:31] op_sel_hi:[0,1]
	v_pk_mul_f32 v[30:31], v[52:53], v[40:41] op_sel_hi:[0,1]
	v_subrev_u32_e32 v40, s33, v39
	v_pk_mul_f32 v[34:35], v[52:53], v[34:35] op_sel_hi:[0,1]
	s_nop 3
	v_pk_mul_f32 v[20:21], v[52:53], v[26:27] op_sel_hi:[0,1]
	v_add_u32_e32 v27, 1, v40
	v_pk_mul_f32 v[18:19], v[52:53], v[28:29] op_sel_hi:[0,1]
	v_cvt_f32_i32_e32 v27, v27
	v_add_u32_e32 v29, 3, v40
	v_cvt_f32_i32_e32 v29, v29
	v_cvt_f32_i32_e32 v26, v40
	v_pk_mul_f32 v[36:37], v[52:53], v[36:37] op_sel_hi:[0,1]
	v_fmac_f32_e32 v35, v51, v27
	v_add_u32_e32 v27, 16, v40
	v_fmac_f32_e32 v37, v51, v29
	v_cvt_f32_i32_e32 v27, v27
	v_add_u32_e32 v29, 17, v40
	v_fma_f32 v26, v51, v26, v34
	v_cvt_f32_i32_e32 v29, v29
	v_add_u32_e32 v34, 18, v40
	v_cvt_f32_i32_e32 v34, v34
	v_fma_f32 v41, v51, v27, v32
	v_add_u32_e32 v27, 32, v40
	v_fmac_f32_e32 v33, v51, v29
	v_cvt_f32_i32_e32 v27, v27
	v_add_u32_e32 v29, 33, v40
	v_add_u32_e32 v32, 34, v40
	v_fma_f32 v30, v51, v34, v30
	v_cvt_f32_i32_e32 v29, v29
	v_cvt_f32_i32_e32 v32, v32
	v_add_u32_e32 v34, 35, v40
	v_cvt_f32_i32_e32 v34, v34
	v_fma_f32 v24, v51, v27, v24
	v_add_u32_e32 v27, 48, v40
	v_fmac_f32_e32 v25, v51, v29
	v_fma_f32 v22, v51, v32, v22
	v_cvt_f32_i32_e32 v27, v27
	v_add_u32_e32 v29, 49, v40
	v_add_u32_e32 v32, 50, v40
	v_fmac_f32_e32 v23, v51, v34
	v_cvt_f32_i32_e32 v29, v29
	v_cvt_f32_i32_e32 v32, v32
	v_add_u32_e32 v34, 51, v40
	v_add_u32_e32 v28, 2, v40
	v_cvt_f32_i32_e32 v34, v34
	v_cvt_f32_i32_e32 v28, v28
	v_fma_f32 v20, v51, v27, v20
	v_mov_b32_e32 v27, 0xff7fffff
	v_cmp_gt_i32_e64 s[26:27], s33, v38
	v_cmp_gt_i32_e64 s[28:29], s33, v39
	v_fmac_f32_e32 v21, v51, v29
	v_fma_f32 v18, v51, v32, v18
	v_cndmask_b32_e64 v29, v27, v26, s[26:27]
	v_cndmask_b32_e64 v32, v27, v35, s[28:29]
	v_fmac_f32_e32 v19, v51, v34
	v_max3_f32 v29, v29, s46, v32
	v_or_b32_e32 v32, 2, v38
	v_or_b32_e32 v34, 3, v38
	v_fma_f32 v28, v51, v28, v36
	v_cmp_gt_i32_e64 s[30:31], s33, v32
	v_cmp_gt_i32_e64 s[34:35], s33, v34
	v_add_u32_e32 v36, 19, v40
	v_cndmask_b32_e64 v32, v27, v28, s[30:31]
	v_cndmask_b32_e64 v34, v27, v37, s[34:35]
	v_cvt_f32_i32_e32 v36, v36
	v_max3_f32 v29, v29, v32, v34
	v_or_b32_e32 v32, 16, v38
	v_or_b32_e32 v34, 17, v38
	v_cmp_gt_i32_e64 s[36:37], s33, v32
	v_cmp_gt_i32_e64 s[38:39], s33, v34
	v_cndmask_b32_e64 v32, v27, v41, s[36:37]
	v_cndmask_b32_e64 v34, v27, v33, s[38:39]
	v_max3_f32 v29, v29, v32, v34
	v_or_b32_e32 v32, 18, v38
	v_or_b32_e32 v34, 19, v38
	v_fmac_f32_e32 v31, v51, v36
	v_cmp_gt_i32_e64 s[20:21], s33, v32
	v_cmp_gt_i32_e64 s[22:23], s33, v34
	v_cndmask_b32_e64 v32, v27, v30, s[20:21]
	v_cndmask_b32_e64 v34, v27, v31, s[22:23]
	v_max3_f32 v29, v29, v32, v34
	v_or_b32_e32 v32, 32, v38
	v_or_b32_e32 v34, 33, v38
	v_cmp_gt_i32_e64 s[16:17], s33, v32
	v_cmp_gt_i32_e64 s[18:19], s33, v34
	v_cndmask_b32_e64 v32, v27, v24, s[16:17]
	v_cndmask_b32_e64 v34, v27, v25, s[18:19]
	v_max3_f32 v29, v29, v32, v34
	v_or_b32_e32 v32, 34, v38
	v_or_b32_e32 v34, 35, v38
	v_cmp_gt_i32_e64 s[12:13], s33, v32
	v_cmp_gt_i32_e64 s[14:15], s33, v34
	v_cndmask_b32_e64 v32, v27, v22, s[12:13]
	v_cndmask_b32_e64 v34, v27, v23, s[14:15]
	v_max3_f32 v29, v29, v32, v34
	v_or_b32_e32 v32, 48, v38
	v_or_b32_e32 v34, 49, v38
	v_cmp_gt_i32_e64 s[8:9], s33, v32
	v_cmp_gt_i32_e64 s[10:11], s33, v34
	v_cndmask_b32_e64 v32, v27, v20, s[8:9]
	v_cndmask_b32_e64 v34, v27, v21, s[10:11]
	v_max3_f32 v29, v29, v32, v34
	v_or_b32_e32 v32, 50, v38
	v_or_b32_e32 v34, 51, v38
	v_cmp_gt_i32_e32 vcc, s33, v32
	v_cmp_gt_i32_e64 s[2:3], s33, v34
	v_cndmask_b32_e32 v32, v27, v18, vcc
	v_cndmask_b32_e64 v27, v27, v19, s[2:3]
	v_max3_f32 v27, v29, v32, v27
	v_mbcnt_lo_u32_b32 v29, -1, 0
	v_mbcnt_hi_u32_b32 v29, -1, v29
	v_and_b32_e32 v32, 64, v29
	v_add_u32_e32 v32, 64, v32
	v_xor_b32_e32 v34, 32, v29
	v_cmp_lt_i32_e64 s[40:41], v34, v32
	v_cndmask_b32_e64 v34, v29, v34, s[40:41]
	v_lshlrev_b32_e32 v36, 2, v34
	ds_bpermute_b32 v34, v36, v27
	s_barrier
	s_waitcnt lgkmcnt(0)
	v_max_f32_e32 v34, v34, v34
	v_max_f32_e32 v27, v27, v34
	v_xor_b32_e32 v34, 16, v29
	v_cmp_lt_i32_e64 s[40:41], v34, v32
	v_cndmask_b32_e64 v29, v29, v34, s[40:41]
	v_lshlrev_b32_e32 v38, 2, v29
	ds_bpermute_b32 v29, v38, v27
	s_waitcnt lgkmcnt(0)
	v_max_f32_e32 v29, v29, v29
	v_max_f32_e32 v32, v27, v29
	v_sub_f32_e32 v26, v26, v32
	v_mul_f32_e32 v26, 0x3fb8aa3b, v26
	v_sub_f32_e32 v27, v35, v32
	v_exp_f32_e32 v26, v26
	v_mul_f32_e32 v27, 0x3fb8aa3b, v27
	v_sub_f32_e32 v28, v28, v32
	v_exp_f32_e32 v27, v27
	v_mul_f32_e32 v28, 0x3fb8aa3b, v28
	v_exp_f32_e32 v28, v28
	v_cndmask_b32_e64 v26, 0, v26, s[26:27]
	v_sub_f32_e32 v34, v37, v32
	v_add_f32_e32 v29, 0, v26
	v_cndmask_b32_e64 v27, 0, v27, s[28:29]
	v_mul_f32_e32 v34, 0x3fb8aa3b, v34
	v_exp_f32_e32 v35, v34
	v_add_f32_e32 v29, v29, v27
	v_cndmask_b32_e64 v34, 0, v28, s[30:31]
	v_add_f32_e32 v28, v29, v34
	v_sub_f32_e32 v29, v41, v32
	v_mul_f32_e32 v29, 0x3fb8aa3b, v29
	v_sub_f32_e32 v33, v33, v32
	v_exp_f32_e32 v29, v29
	v_mul_f32_e32 v33, 0x3fb8aa3b, v33
	v_sub_f32_e32 v30, v30, v32
	v_exp_f32_e32 v33, v33
	v_mul_f32_e32 v30, 0x3fb8aa3b, v30
	v_sub_f32_e32 v31, v31, v32
	v_exp_f32_e32 v30, v30
	v_mul_f32_e32 v31, 0x3fb8aa3b, v31
	v_sub_f32_e32 v24, v24, v32
	v_cndmask_b32_e64 v35, 0, v35, s[34:35]
	v_exp_f32_e32 v31, v31
	v_mul_f32_e32 v24, 0x3fb8aa3b, v24
	v_sub_f32_e32 v25, v25, v32
	v_add_f32_e32 v37, v28, v35
	v_cndmask_b32_e64 v28, 0, v29, s[36:37]
	v_exp_f32_e32 v24, v24
	v_mul_f32_e32 v25, 0x3fb8aa3b, v25
	v_sub_f32_e32 v22, v22, v32
	v_add_f32_e32 v37, v37, v28
	;; [unrolled: 5-line block ×7, first 2 shown]
	v_cndmask_b32_e64 v22, 0, v22, s[12:13]
	v_exp_f32_e32 v18, v18
	v_mul_f32_e32 v19, 0x3fb8aa3b, v19
	v_add_f32_e32 v33, v33, v22
	v_cndmask_b32_e64 v23, 0, v23, s[14:15]
	v_exp_f32_e32 v19, v19
	v_add_f32_e32 v33, v33, v23
	v_cndmask_b32_e64 v20, 0, v20, s[8:9]
	v_add_f32_e32 v33, v33, v20
	v_cndmask_b32_e64 v21, 0, v21, s[10:11]
	v_add_f32_e32 v33, v33, v21
	v_cndmask_b32_e32 v18, 0, v18, vcc
	v_add_f32_e32 v33, v33, v18
	v_cndmask_b32_e64 v19, 0, v19, s[2:3]
	v_add_f32_e32 v33, v33, v19
	ds_bpermute_b32 v36, v36, v33
	v_cmp_gt_u32_e32 vcc, 16, v44
	s_waitcnt lgkmcnt(0)
	v_add_f32_e32 v36, v33, v36
	ds_bpermute_b32 v37, v38, v36
	v_lshlrev_b32_e32 v33, 2, v49
	s_and_saveexec_b64 s[2:3], vcc
	s_cbranch_execz .LBB867_399
; %bb.398:
	s_waitcnt lgkmcnt(0)
	v_add_f32_e32 v36, v36, v37
	v_lshl_or_b32 v37, v50, 6, v33
	ds_write2st64_b32 v37, v32, v36 offset1:1
.LBB867_399:
	s_or_b64 exec, exec, s[2:3]
	s_waitcnt lgkmcnt(0)
	s_barrier
	ds_read2_b32 v[36:37], v33 offset1:16
	ds_read2_b32 v[38:39], v33 offset0:32 offset1:48
	ds_read2_b32 v[40:41], v33 offset0:64 offset1:80
	s_mul_i32 s12, s45, 6
	s_waitcnt lgkmcnt(2)
	v_max3_f32 v32, v36, s46, v37
	s_waitcnt lgkmcnt(1)
	v_max3_f32 v32, v32, v38, v39
	v_sub_f32_e32 v36, v36, v32
	v_mul_f32_e32 v36, 0x3fb8aa3b, v36
	v_exp_f32_e32 v42, v36
	v_sub_f32_e32 v36, v37, v32
	v_mul_f32_e32 v36, 0x3fb8aa3b, v36
	v_exp_f32_e32 v43, v36
	v_sub_f32_e32 v36, v38, v32
	v_mul_f32_e32 v36, 0x3fb8aa3b, v36
	v_exp_f32_e32 v38, v36
	ds_read2_b32 v[36:37], v33 offset0:96 offset1:112
	v_sub_f32_e32 v33, v39, v32
	v_mul_f32_e32 v33, 0x3fb8aa3b, v33
	v_exp_f32_e32 v39, v33
	s_waitcnt lgkmcnt(1)
	v_fma_f32 v33, v42, v40, 0
	v_fmac_f32_e32 v33, v43, v41
	s_waitcnt lgkmcnt(0)
	v_fmac_f32_e32 v33, v38, v36
	v_fmac_f32_e32 v33, v39, v37
	v_add_f32_e32 v36, 0x358637bd, v33
	v_div_scale_f32 v37, s[2:3], v36, v36, 1.0
	v_rcp_f32_e32 v40, v37
	s_movk_i32 s2, 0x7fff
	s_mov_b32 s3, 0x7060302
	v_fma_f32 v41, -v37, v40, 1.0
	v_fmac_f32_e32 v40, v41, v40
	v_div_scale_f32 v41, vcc, 1.0, v36, 1.0
	v_mul_f32_e32 v44, v41, v40
	v_fma_f32 v45, -v37, v44, v41
	v_fmac_f32_e32 v44, v45, v40
	v_fma_f32 v37, -v37, v44, v41
	v_div_fmas_f32 v37, v37, v40, v44
	v_cmp_eq_u32_e32 vcc, 1, v50
	v_div_fixup_f32 v36, v37, v36, 1.0
	v_cndmask_b32_e32 v37, v42, v43, vcc
	v_cmp_eq_u32_e32 vcc, 2, v50
	v_cndmask_b32_e32 v37, v37, v38, vcc
	v_cmp_eq_u32_e32 vcc, 3, v50
	v_cndmask_b32_e32 v37, v37, v39, vcc
	v_mul_f32_e32 v36, v37, v36
	v_pk_mul_f32 v[26:27], v[36:37], v[26:27] op_sel_hi:[0,1]
	v_pk_mul_f32 v[34:35], v[36:37], v[34:35] op_sel_hi:[0,1]
	v_bfe_u32 v37, v27, 16, 1
	v_bfe_u32 v38, v26, 16, 1
	v_add3_u32 v26, v26, v38, s2
	v_add3_u32 v27, v27, v37, s2
	v_perm_b32 v38, v27, v26, s3
	v_bfe_u32 v26, v35, 16, 1
	v_bfe_u32 v27, v34, 16, 1
	v_add3_u32 v27, v34, v27, s2
	v_add3_u32 v26, v35, v26, s2
	v_perm_b32 v39, v26, v27, s3
	v_lshlrev_b32_e32 v26, 3, v1
	v_lshlrev_b32_e32 v27, 11, v50
	v_pk_mul_f32 v[28:29], v[36:37], v[28:29] op_sel_hi:[0,1]
	v_or3_b32 v26, v27, v48, v26
	v_bfe_u32 v27, v29, 16, 1
	v_bfe_u32 v34, v28, 16, 1
	v_pk_mul_f32 v[30:31], v[36:37], v[30:31] op_sel_hi:[0,1]
	v_add3_u32 v28, v28, v34, s2
	v_add3_u32 v27, v29, v27, s2
	v_perm_b32 v28, v27, v28, s3
	v_bfe_u32 v27, v31, 16, 1
	v_bfe_u32 v29, v30, 16, 1
	v_add3_u32 v29, v30, v29, s2
	v_add3_u32 v27, v31, v27, s2
	v_perm_b32 v29, v27, v29, s3
	v_pk_mul_f32 v[24:25], v[36:37], v[24:25] op_sel_hi:[0,1]
	s_barrier
	ds_write2st64_b64 v26, v[38:39], v[28:29] offset1:1
	v_bfe_u32 v27, v25, 16, 1
	v_bfe_u32 v28, v24, 16, 1
	v_pk_mul_f32 v[22:23], v[36:37], v[22:23] op_sel_hi:[0,1]
	v_add3_u32 v24, v24, v28, s2
	v_add3_u32 v25, v25, v27, s2
	v_perm_b32 v24, v25, v24, s3
	v_bfe_u32 v25, v23, 16, 1
	v_bfe_u32 v27, v22, 16, 1
	v_add3_u32 v22, v22, v27, s2
	v_add3_u32 v23, v23, v25, s2
	v_pk_mul_f32 v[20:21], v[36:37], v[20:21] op_sel_hi:[0,1]
	v_perm_b32 v25, v23, v22, s3
	v_bfe_u32 v22, v21, 16, 1
	v_bfe_u32 v23, v20, 16, 1
	v_pk_mul_f32 v[18:19], v[36:37], v[18:19] op_sel_hi:[0,1]
	v_add3_u32 v20, v20, v23, s2
	v_add3_u32 v21, v21, v22, s2
	v_perm_b32 v20, v21, v20, s3
	v_bfe_u32 v21, v19, 16, 1
	v_bfe_u32 v22, v18, 16, 1
	v_add3_u32 v18, v18, v22, s2
	v_add3_u32 v19, v19, v21, s2
	v_perm_b32 v21, v19, v18, s3
	v_cmp_gt_u32_e32 vcc, 6, v0
	ds_write2st64_b64 v26, v[24:25], v[20:21] offset0:2 offset1:3
	s_and_saveexec_b64 s[2:3], vcc
	s_cbranch_execz .LBB867_401
; %bb.400:
	v_add_co_u32_e32 v20, vcc, s25, v49
	v_addc_co_u32_e64 v21, s[14:15], 0, 0, vcc
	v_mov_b32_e32 v18, s12
	v_mov_b32_e32 v19, 0
	v_mad_u64_u32 v[20:21], s[14:15], s6, v18, v[20:21]
	v_mov_b32_e32 v18, s24
	s_load_dwordx4 s[8:11], s[4:5], 0x58
	s_mul_i32 s7, s7, s12
	v_mad_u64_u32 v[18:19], s[14:15], v20, s44, v[18:19]
	v_add_u32_e32 v21, s7, v21
	v_mov_b32_e32 v20, v19
	v_mad_u64_u32 v[20:21], s[14:15], v21, s44, v[20:21]
	v_mov_b32_e32 v19, v20
	v_lshlrev_b64 v[18:19], 2, v[18:19]
	s_waitcnt lgkmcnt(0)
	v_mov_b32_e32 v21, s11
	v_add_co_u32_e32 v20, vcc, s10, v18
	v_addc_co_u32_e32 v21, vcc, v21, v19, vcc
	global_store_dword v[20:21], v32, off
	v_mov_b32_e32 v20, s9
	v_add_co_u32_e32 v18, vcc, s8, v18
	v_addc_co_u32_e32 v19, vcc, v20, v19, vcc
	global_store_dword v[18:19], v33, off
.LBB867_401:
	s_or_b64 exec, exec, s[2:3]
	v_mov_b32_e32 v19, 0
	s_waitcnt vmcnt(3)
	v_cmp_ne_u16_sdwa s[8:9], v14, v19 src0_sel:BYTE_0 src1_sel:DWORD
	v_mov_b32_e32 v20, 0
	s_waitcnt lgkmcnt(0)
	s_barrier
	s_and_saveexec_b64 s[2:3], s[8:9]
	s_cbranch_execz .LBB867_407
; %bb.402:
	s_movk_i32 s7, 0x80
	v_cmp_ne_u16_sdwa s[10:11], v14, s7 src0_sel:BYTE_0 src1_sel:DWORD
	v_mov_b32_e32 v20, 0xffff8000
	s_and_saveexec_b64 s[8:9], s[10:11]
	s_cbranch_execz .LBB867_406
; %bb.403:
	s_movk_i32 s7, 0x7f
	v_and_b32_e32 v18, 0x7f, v14
	v_cmp_ne_u32_e32 vcc, s7, v18
	v_mov_b32_e32 v20, 0x7f80
	s_and_saveexec_b64 s[10:11], vcc
	s_cbranch_execz .LBB867_405
; %bb.404:
	v_and_b32_e32 v22, 7, v14
	v_ffbh_u32_e32 v20, v22
	v_min_u32_e32 v24, 32, v20
	v_subrev_u32_e32 v20, 28, v24
	v_lshlrev_b64 v[20:21], v20, v[14:15]
	v_lshrrev_b32_e32 v23, 3, v18
	v_sub_u32_e32 v21, 29, v24
	v_and_b32_e32 v20, 7, v20
	v_cmp_gt_u32_e32 vcc, 8, v18
	v_cndmask_b32_e32 v18, v23, v21, vcc
	v_cndmask_b32_e32 v20, v22, v20, vcc
	v_lshlrev_b32_e32 v21, 24, v14
	v_bfrev_b32_e32 v22, 60
	v_lshlrev_b32_e32 v20, 20, v20
	v_and_b32_e32 v21, 0x80000000, v21
	v_lshl_add_u32 v18, v18, 23, v22
	v_or3_b32 v18, v21, v18, v20
	v_lshrrev_b32_e32 v20, 16, v18
.LBB867_405:
	s_or_b64 exec, exec, s[10:11]
.LBB867_406:
	s_or_b64 exec, exec, s[8:9]
.LBB867_407:
	s_or_b64 exec, exec, s[2:3]
	v_lshrrev_b16_e32 v18, 8, v14
	v_cmp_ne_u16_e32 vcc, 0, v18
	s_and_saveexec_b64 s[2:3], vcc
	s_cbranch_execz .LBB867_413
; %bb.408:
	s_movk_i32 s7, 0x80
	v_cmp_ne_u16_e32 vcc, s7, v18
	v_mov_b32_e32 v19, 0xffff8000
	s_and_saveexec_b64 s[8:9], vcc
	s_cbranch_execz .LBB867_412
; %bb.409:
	s_movk_i32 s7, 0x7f
	v_and_b32_e32 v21, 0x7f, v18
	v_cmp_ne_u32_e32 vcc, s7, v21
	v_mov_b32_e32 v19, 0x7f80
	s_and_saveexec_b64 s[10:11], vcc
	s_cbranch_execz .LBB867_411
; %bb.410:
	v_and_b32_e32 v22, 7, v18
	v_ffbh_u32_e32 v19, v22
	v_min_u32_e32 v24, 32, v19
	v_subrev_u32_e32 v19, 28, v24
	v_lshlrev_b64 v[18:19], v19, v[18:19]
	v_lshrrev_b32_e32 v23, 3, v21
	v_sub_u32_e32 v19, 29, v24
	v_and_b32_e32 v18, 7, v18
	v_cmp_gt_u32_e32 vcc, 8, v21
	v_cndmask_b32_e32 v19, v23, v19, vcc
	v_cndmask_b32_e32 v18, v22, v18, vcc
	v_lshlrev_b32_e32 v21, 16, v14
	v_bfrev_b32_e32 v22, 60
	v_lshlrev_b32_e32 v18, 20, v18
	v_and_b32_e32 v21, 0x80000000, v21
	v_lshl_add_u32 v19, v19, 23, v22
	v_or3_b32 v18, v21, v19, v18
	v_lshrrev_b32_e32 v19, 16, v18
.LBB867_411:
	s_or_b64 exec, exec, s[10:11]
.LBB867_412:
	s_or_b64 exec, exec, s[8:9]
.LBB867_413:
	s_or_b64 exec, exec, s[2:3]
	s_movk_i32 s2, 0xff
	v_and_b32_sdwa v23, v14, s2 dst_sel:DWORD dst_unused:UNUSED_PAD src0_sel:WORD_1 src1_sel:DWORD
	v_lshrrev_b32_e32 v18, 16, v14
	v_cmp_ne_u16_e32 vcc, 0, v23
	v_mov_b32_e32 v21, 0
	v_mov_b32_e32 v22, 0
	s_and_saveexec_b64 s[2:3], vcc
	s_cbranch_execz .LBB867_419
; %bb.414:
	s_movk_i32 s7, 0x80
	v_cmp_ne_u16_e32 vcc, s7, v23
	v_mov_b32_e32 v22, 0xffff8000
	s_and_saveexec_b64 s[8:9], vcc
	s_cbranch_execz .LBB867_418
; %bb.415:
	v_bfe_u32 v23, v14, 16, 7
	s_movk_i32 s7, 0x7f
	v_cmp_ne_u32_e32 vcc, s7, v23
	v_mov_b32_e32 v22, 0x7f80
	s_and_saveexec_b64 s[10:11], vcc
	s_cbranch_execz .LBB867_417
; %bb.416:
	v_and_b32_e32 v22, 7, v18
	v_ffbh_u32_e32 v24, v22
	v_min_u32_e32 v28, 32, v24
	v_subrev_u32_e32 v24, 28, v28
	v_lshlrev_b64 v[24:25], v24, v[18:19]
	v_lshrrev_b32_e32 v27, 3, v23
	v_sub_u32_e32 v18, 29, v28
	v_and_b32_e32 v24, 7, v24
	v_cmp_gt_u32_e32 vcc, 8, v23
	v_mov_b32_e32 v23, 24
	v_cndmask_b32_e32 v18, v27, v18, vcc
	v_cndmask_b32_e32 v22, v22, v24, vcc
	v_lshlrev_b32_sdwa v23, v23, v14 dst_sel:DWORD dst_unused:UNUSED_PAD src0_sel:DWORD src1_sel:WORD_1
	v_bfrev_b32_e32 v24, 60
	v_lshlrev_b32_e32 v22, 20, v22
	v_and_b32_e32 v23, 0x80000000, v23
	v_lshl_add_u32 v18, v18, 23, v24
	v_or3_b32 v18, v23, v18, v22
	v_lshrrev_b32_e32 v22, 16, v18
.LBB867_417:
	s_or_b64 exec, exec, s[10:11]
.LBB867_418:
	s_or_b64 exec, exec, s[8:9]
.LBB867_419:
	s_or_b64 exec, exec, s[2:3]
	s_mov_b32 s2, 0xffffff
	v_cmp_lt_u32_e32 vcc, s2, v14
	s_and_saveexec_b64 s[2:3], vcc
	s_cbranch_execz .LBB867_425
; %bb.420:
	v_lshrrev_b32_e32 v18, 24, v14
	s_movk_i32 s7, 0x80
	v_cmp_ne_u32_e32 vcc, s7, v18
	v_mov_b32_e32 v21, 0xffff8000
	s_and_saveexec_b64 s[8:9], vcc
	s_cbranch_execz .LBB867_424
; %bb.421:
	v_bfe_u32 v14, v14, 24, 7
	s_movk_i32 s7, 0x7f
	v_cmp_ne_u32_e32 vcc, s7, v14
	v_mov_b32_e32 v21, 0x7f80
	s_and_saveexec_b64 s[10:11], vcc
	s_cbranch_execz .LBB867_423
; %bb.422:
	v_and_b32_e32 v21, 7, v18
	v_ffbh_u32_e32 v24, v21
	v_min_u32_e32 v27, 32, v24
	v_subrev_u32_e32 v24, 28, v27
	v_lshlrev_b64 v[24:25], v24, v[18:19]
	v_lshrrev_b32_e32 v23, 3, v14
	v_sub_u32_e32 v25, 29, v27
	v_and_b32_e32 v24, 7, v24
	v_cmp_gt_u32_e32 vcc, 8, v14
	v_cndmask_b32_e32 v14, v23, v25, vcc
	v_cndmask_b32_e32 v21, v21, v24, vcc
	v_lshlrev_b32_e32 v18, 24, v18
	v_bfrev_b32_e32 v23, 60
	v_lshlrev_b32_e32 v21, 20, v21
	v_and_b32_e32 v18, 0x80000000, v18
	v_lshl_add_u32 v14, v14, 23, v23
	v_or3_b32 v14, v18, v14, v21
	v_lshrrev_b32_e32 v21, 16, v14
.LBB867_423:
	s_or_b64 exec, exec, s[10:11]
.LBB867_424:
	s_or_b64 exec, exec, s[8:9]
.LBB867_425:
	s_or_b64 exec, exec, s[2:3]
	v_mov_b32_e32 v18, 0
	v_cmp_ne_u16_sdwa s[8:9], v15, v18 src0_sel:BYTE_0 src1_sel:DWORD
	v_mov_b32_e32 v23, 0
	s_and_saveexec_b64 s[2:3], s[8:9]
	s_cbranch_execz .LBB867_431
; %bb.426:
	s_movk_i32 s7, 0x80
	v_cmp_ne_u16_sdwa s[10:11], v15, s7 src0_sel:BYTE_0 src1_sel:DWORD
	v_mov_b32_e32 v23, 0xffff8000
	s_and_saveexec_b64 s[8:9], s[10:11]
	s_cbranch_execz .LBB867_430
; %bb.427:
	s_movk_i32 s7, 0x7f
	v_and_b32_e32 v14, 0x7f, v15
	v_cmp_ne_u32_e32 vcc, s7, v14
	v_mov_b32_e32 v23, 0x7f80
	s_and_saveexec_b64 s[10:11], vcc
	s_cbranch_execz .LBB867_429
; %bb.428:
	v_and_b32_e32 v23, 7, v15
	v_ffbh_u32_e32 v25, v23
	v_min_u32_e32 v28, 32, v25
	v_mov_b32_e32 v24, v15
	v_subrev_u32_e32 v25, 28, v28
	v_lshlrev_b64 v[24:25], v25, v[24:25]
	v_lshrrev_b32_e32 v27, 3, v14
	v_sub_u32_e32 v25, 29, v28
	v_and_b32_e32 v24, 7, v24
	v_cmp_gt_u32_e32 vcc, 8, v14
	v_cndmask_b32_e32 v14, v27, v25, vcc
	v_cndmask_b32_e32 v23, v23, v24, vcc
	v_lshlrev_b32_e32 v24, 24, v15
	v_bfrev_b32_e32 v25, 60
	v_lshlrev_b32_e32 v23, 20, v23
	v_and_b32_e32 v24, 0x80000000, v24
	v_lshl_add_u32 v14, v14, 23, v25
	v_or3_b32 v14, v24, v14, v23
	v_lshrrev_b32_e32 v23, 16, v14
.LBB867_429:
	s_or_b64 exec, exec, s[10:11]
.LBB867_430:
	s_or_b64 exec, exec, s[8:9]
.LBB867_431:
	s_or_b64 exec, exec, s[2:3]
	v_lshrrev_b16_e32 v14, 8, v15
	v_cmp_ne_u16_e32 vcc, 0, v14
	s_and_saveexec_b64 s[2:3], vcc
	s_cbranch_execz .LBB867_437
; %bb.432:
	s_movk_i32 s7, 0x80
	v_cmp_ne_u16_e32 vcc, s7, v14
	v_mov_b32_e32 v18, 0xffff8000
	s_and_saveexec_b64 s[8:9], vcc
	s_cbranch_execz .LBB867_436
; %bb.433:
	s_movk_i32 s7, 0x7f
	v_and_b32_e32 v24, 0x7f, v14
	v_cmp_ne_u32_e32 vcc, s7, v24
	v_mov_b32_e32 v18, 0x7f80
	s_and_saveexec_b64 s[10:11], vcc
	s_cbranch_execz .LBB867_435
; %bb.434:
	v_and_b32_e32 v18, 7, v14
	v_ffbh_u32_e32 v27, v18
	v_min_u32_e32 v27, 32, v27
	v_subrev_u32_e32 v28, 28, v27
	v_lshlrev_b64 v[28:29], v28, v[14:15]
	v_lshrrev_b32_e32 v25, 3, v24
	v_sub_u32_e32 v14, 29, v27
	v_and_b32_e32 v27, 7, v28
	v_cmp_gt_u32_e32 vcc, 8, v24
	v_cndmask_b32_e32 v14, v25, v14, vcc
	v_cndmask_b32_e32 v18, v18, v27, vcc
	v_lshlrev_b32_e32 v24, 16, v15
	v_bfrev_b32_e32 v25, 60
	v_lshlrev_b32_e32 v18, 20, v18
	v_and_b32_e32 v24, 0x80000000, v24
	v_lshl_add_u32 v14, v14, 23, v25
	v_or3_b32 v14, v24, v14, v18
	v_lshrrev_b32_e32 v18, 16, v14
.LBB867_435:
	s_or_b64 exec, exec, s[10:11]
.LBB867_436:
	s_or_b64 exec, exec, s[8:9]
.LBB867_437:
	s_or_b64 exec, exec, s[2:3]
	s_movk_i32 s2, 0xff
	v_and_b32_sdwa v27, v15, s2 dst_sel:DWORD dst_unused:UNUSED_PAD src0_sel:WORD_1 src1_sel:DWORD
	v_lshrrev_b32_e32 v14, 16, v15
	v_cmp_ne_u16_e32 vcc, 0, v27
	v_mov_b32_e32 v24, 0
	v_mov_b32_e32 v25, 0
	s_and_saveexec_b64 s[2:3], vcc
	s_cbranch_execz .LBB867_443
; %bb.438:
	s_movk_i32 s7, 0x80
	v_cmp_ne_u16_e32 vcc, s7, v27
	v_mov_b32_e32 v25, 0xffff8000
	s_and_saveexec_b64 s[8:9], vcc
	s_cbranch_execz .LBB867_442
; %bb.439:
	v_bfe_u32 v27, v15, 16, 7
	s_movk_i32 s7, 0x7f
	v_cmp_ne_u32_e32 vcc, s7, v27
	v_mov_b32_e32 v25, 0x7f80
	s_and_saveexec_b64 s[10:11], vcc
	s_cbranch_execz .LBB867_441
; %bb.440:
	v_and_b32_e32 v25, 7, v14
	v_ffbh_u32_e32 v28, v25
	v_min_u32_e32 v31, 32, v28
	v_subrev_u32_e32 v28, 28, v31
	v_lshlrev_b64 v[28:29], v28, v[14:15]
	v_lshrrev_b32_e32 v30, 3, v27
	v_sub_u32_e32 v14, 29, v31
	v_and_b32_e32 v28, 7, v28
	v_cmp_gt_u32_e32 vcc, 8, v27
	v_mov_b32_e32 v27, 24
	v_cndmask_b32_e32 v14, v30, v14, vcc
	v_cndmask_b32_e32 v25, v25, v28, vcc
	v_lshlrev_b32_sdwa v27, v27, v15 dst_sel:DWORD dst_unused:UNUSED_PAD src0_sel:DWORD src1_sel:WORD_1
	v_bfrev_b32_e32 v28, 60
	v_lshlrev_b32_e32 v25, 20, v25
	v_and_b32_e32 v27, 0x80000000, v27
	v_lshl_add_u32 v14, v14, 23, v28
	v_or3_b32 v14, v27, v14, v25
	v_lshrrev_b32_e32 v25, 16, v14
.LBB867_441:
	s_or_b64 exec, exec, s[10:11]
.LBB867_442:
	s_or_b64 exec, exec, s[8:9]
.LBB867_443:
	s_or_b64 exec, exec, s[2:3]
	s_mov_b32 s2, 0xffffff
	v_cmp_lt_u32_e32 vcc, s2, v15
	s_and_saveexec_b64 s[2:3], vcc
	s_cbranch_execz .LBB867_449
; %bb.444:
	v_lshrrev_b32_e32 v14, 24, v15
	s_movk_i32 s7, 0x80
	v_cmp_ne_u32_e32 vcc, s7, v14
	v_mov_b32_e32 v24, 0xffff8000
	s_and_saveexec_b64 s[8:9], vcc
	s_cbranch_execz .LBB867_448
; %bb.445:
	v_bfe_u32 v15, v15, 24, 7
	s_movk_i32 s7, 0x7f
	v_cmp_ne_u32_e32 vcc, s7, v15
	v_mov_b32_e32 v24, 0x7f80
	s_and_saveexec_b64 s[10:11], vcc
	s_cbranch_execz .LBB867_447
; %bb.446:
	v_and_b32_e32 v24, 7, v14
	v_ffbh_u32_e32 v28, v24
	v_min_u32_e32 v30, 32, v28
	v_subrev_u32_e32 v28, 28, v30
	v_lshlrev_b64 v[28:29], v28, v[14:15]
	v_lshrrev_b32_e32 v27, 3, v15
	v_sub_u32_e32 v29, 29, v30
	v_and_b32_e32 v28, 7, v28
	v_cmp_gt_u32_e32 vcc, 8, v15
	v_cndmask_b32_e32 v15, v27, v29, vcc
	v_cndmask_b32_e32 v24, v24, v28, vcc
	v_lshlrev_b32_e32 v14, 24, v14
	v_bfrev_b32_e32 v27, 60
	v_lshlrev_b32_e32 v24, 20, v24
	v_and_b32_e32 v14, 0x80000000, v14
	v_lshl_add_u32 v15, v15, 23, v27
	v_or3_b32 v14, v14, v15, v24
	v_lshrrev_b32_e32 v24, 16, v14
.LBB867_447:
	s_or_b64 exec, exec, s[10:11]
.LBB867_448:
	s_or_b64 exec, exec, s[8:9]
.LBB867_449:
	s_or_b64 exec, exec, s[2:3]
	s_mov_b32 s2, 0x5040100
	v_perm_b32 v15, v21, v22, s2
	v_lshl_or_b32 v22, v1, 9, v48
	v_perm_b32 v14, v19, v20, s2
	ds_read_b128 v[28:31], v22
	v_perm_b32 v19, v24, v25, s2
	v_perm_b32 v18, v18, v23, s2
	s_waitcnt lgkmcnt(0)
	v_mfma_f32_16x16x16bf16_1k v[32:35], v[14:15], v[28:29], 0
	v_mov_b32_e32 v15, 0
	v_cmp_ne_u16_sdwa s[8:9], v16, v15 src0_sel:BYTE_0 src1_sel:DWORD
	v_mov_b32_e32 v23, 0
	v_mfma_f32_16x16x16bf16_1k v[18:21], v[18:19], v[30:31], v[32:35]
	s_and_saveexec_b64 s[2:3], s[8:9]
	s_cbranch_execz .LBB867_455
; %bb.450:
	s_movk_i32 s7, 0x80
	v_cmp_ne_u16_sdwa s[10:11], v16, s7 src0_sel:BYTE_0 src1_sel:DWORD
	v_mov_b32_e32 v23, 0xffff8000
	s_and_saveexec_b64 s[8:9], s[10:11]
	s_cbranch_execz .LBB867_454
; %bb.451:
	s_movk_i32 s7, 0x7f
	v_and_b32_e32 v14, 0x7f, v16
	v_cmp_ne_u32_e32 vcc, s7, v14
	v_mov_b32_e32 v23, 0x7f80
	s_and_saveexec_b64 s[10:11], vcc
	s_cbranch_execz .LBB867_453
; %bb.452:
	v_and_b32_e32 v23, 7, v16
	v_ffbh_u32_e32 v24, v23
	v_min_u32_e32 v28, 32, v24
	v_subrev_u32_e32 v24, 28, v28
	v_lshlrev_b64 v[24:25], v24, v[16:17]
	v_lshrrev_b32_e32 v27, 3, v14
	v_sub_u32_e32 v25, 29, v28
	v_and_b32_e32 v24, 7, v24
	v_cmp_gt_u32_e32 vcc, 8, v14
	v_cndmask_b32_e32 v14, v27, v25, vcc
	v_cndmask_b32_e32 v23, v23, v24, vcc
	v_lshlrev_b32_e32 v24, 24, v16
	v_bfrev_b32_e32 v25, 60
	v_lshlrev_b32_e32 v23, 20, v23
	v_and_b32_e32 v24, 0x80000000, v24
	v_lshl_add_u32 v14, v14, 23, v25
	v_or3_b32 v14, v24, v14, v23
	v_lshrrev_b32_e32 v23, 16, v14
.LBB867_453:
	s_or_b64 exec, exec, s[10:11]
.LBB867_454:
	s_or_b64 exec, exec, s[8:9]
.LBB867_455:
	s_or_b64 exec, exec, s[2:3]
	v_lshrrev_b16_e32 v14, 8, v16
	v_cmp_ne_u16_e32 vcc, 0, v14
	s_and_saveexec_b64 s[2:3], vcc
	s_cbranch_execz .LBB867_461
; %bb.456:
	s_movk_i32 s7, 0x80
	v_cmp_ne_u16_e32 vcc, s7, v14
	v_mov_b32_e32 v15, 0xffff8000
	s_and_saveexec_b64 s[8:9], vcc
	s_cbranch_execz .LBB867_460
; %bb.457:
	s_movk_i32 s7, 0x7f
	v_and_b32_e32 v24, 0x7f, v14
	v_cmp_ne_u32_e32 vcc, s7, v24
	v_mov_b32_e32 v15, 0x7f80
	s_and_saveexec_b64 s[10:11], vcc
	s_cbranch_execz .LBB867_459
; %bb.458:
	v_and_b32_e32 v25, 7, v14
	v_ffbh_u32_e32 v15, v25
	v_min_u32_e32 v28, 32, v15
	v_subrev_u32_e32 v15, 28, v28
	v_lshlrev_b64 v[14:15], v15, v[14:15]
	v_lshrrev_b32_e32 v27, 3, v24
	v_sub_u32_e32 v15, 29, v28
	v_and_b32_e32 v14, 7, v14
	v_cmp_gt_u32_e32 vcc, 8, v24
	v_cndmask_b32_e32 v15, v27, v15, vcc
	v_cndmask_b32_e32 v14, v25, v14, vcc
	v_lshlrev_b32_e32 v24, 16, v16
	v_bfrev_b32_e32 v25, 60
	v_lshlrev_b32_e32 v14, 20, v14
	v_and_b32_e32 v24, 0x80000000, v24
	v_lshl_add_u32 v15, v15, 23, v25
	v_or3_b32 v14, v24, v15, v14
	v_lshrrev_b32_e32 v15, 16, v14
.LBB867_459:
	s_or_b64 exec, exec, s[10:11]
.LBB867_460:
	s_or_b64 exec, exec, s[8:9]
.LBB867_461:
	s_or_b64 exec, exec, s[2:3]
	s_movk_i32 s2, 0xff
	v_and_b32_sdwa v27, v16, s2 dst_sel:DWORD dst_unused:UNUSED_PAD src0_sel:WORD_1 src1_sel:DWORD
	v_lshrrev_b32_e32 v14, 16, v16
	v_cmp_ne_u16_e32 vcc, 0, v27
	v_mov_b32_e32 v24, 0
	v_mov_b32_e32 v25, 0
	s_and_saveexec_b64 s[2:3], vcc
	s_cbranch_execz .LBB867_467
; %bb.462:
	s_movk_i32 s7, 0x80
	v_cmp_ne_u16_e32 vcc, s7, v27
	v_mov_b32_e32 v25, 0xffff8000
	s_and_saveexec_b64 s[8:9], vcc
	s_cbranch_execz .LBB867_466
; %bb.463:
	v_bfe_u32 v27, v16, 16, 7
	s_movk_i32 s7, 0x7f
	v_cmp_ne_u32_e32 vcc, s7, v27
	v_mov_b32_e32 v25, 0x7f80
	s_and_saveexec_b64 s[10:11], vcc
	s_cbranch_execz .LBB867_465
; %bb.464:
	v_and_b32_e32 v25, 7, v14
	v_ffbh_u32_e32 v28, v25
	v_min_u32_e32 v31, 32, v28
	v_subrev_u32_e32 v28, 28, v31
	v_lshlrev_b64 v[28:29], v28, v[14:15]
	v_lshrrev_b32_e32 v30, 3, v27
	v_sub_u32_e32 v14, 29, v31
	v_and_b32_e32 v28, 7, v28
	v_cmp_gt_u32_e32 vcc, 8, v27
	v_mov_b32_e32 v27, 24
	v_cndmask_b32_e32 v14, v30, v14, vcc
	v_cndmask_b32_e32 v25, v25, v28, vcc
	v_lshlrev_b32_sdwa v27, v27, v16 dst_sel:DWORD dst_unused:UNUSED_PAD src0_sel:DWORD src1_sel:WORD_1
	v_bfrev_b32_e32 v28, 60
	v_lshlrev_b32_e32 v25, 20, v25
	v_and_b32_e32 v27, 0x80000000, v27
	v_lshl_add_u32 v14, v14, 23, v28
	v_or3_b32 v14, v27, v14, v25
	v_lshrrev_b32_e32 v25, 16, v14
.LBB867_465:
	s_or_b64 exec, exec, s[10:11]
.LBB867_466:
	s_or_b64 exec, exec, s[8:9]
.LBB867_467:
	s_or_b64 exec, exec, s[2:3]
	s_mov_b32 s2, 0xffffff
	v_cmp_lt_u32_e32 vcc, s2, v16
	s_and_saveexec_b64 s[2:3], vcc
	s_cbranch_execz .LBB867_473
; %bb.468:
	v_lshrrev_b32_e32 v14, 24, v16
	s_movk_i32 s7, 0x80
	v_cmp_ne_u32_e32 vcc, s7, v14
	v_mov_b32_e32 v24, 0xffff8000
	s_and_saveexec_b64 s[8:9], vcc
	s_cbranch_execz .LBB867_472
; %bb.469:
	v_bfe_u32 v16, v16, 24, 7
	s_movk_i32 s7, 0x7f
	v_cmp_ne_u32_e32 vcc, s7, v16
	v_mov_b32_e32 v24, 0x7f80
	s_and_saveexec_b64 s[10:11], vcc
	s_cbranch_execz .LBB867_471
; %bb.470:
	v_and_b32_e32 v24, 7, v14
	v_ffbh_u32_e32 v28, v24
	v_min_u32_e32 v30, 32, v28
	v_subrev_u32_e32 v28, 28, v30
	v_lshlrev_b64 v[28:29], v28, v[14:15]
	v_lshrrev_b32_e32 v27, 3, v16
	v_sub_u32_e32 v29, 29, v30
	v_and_b32_e32 v28, 7, v28
	v_cmp_gt_u32_e32 vcc, 8, v16
	v_cndmask_b32_e32 v16, v27, v29, vcc
	v_cndmask_b32_e32 v24, v24, v28, vcc
	v_lshlrev_b32_e32 v14, 24, v14
	v_bfrev_b32_e32 v27, 60
	v_lshlrev_b32_e32 v24, 20, v24
	v_and_b32_e32 v14, 0x80000000, v14
	v_lshl_add_u32 v16, v16, 23, v27
	v_or3_b32 v14, v14, v16, v24
	v_lshrrev_b32_e32 v24, 16, v14
.LBB867_471:
	s_or_b64 exec, exec, s[10:11]
.LBB867_472:
	s_or_b64 exec, exec, s[8:9]
.LBB867_473:
	s_or_b64 exec, exec, s[2:3]
	v_mov_b32_e32 v16, 0
	v_cmp_ne_u16_sdwa s[8:9], v17, v16 src0_sel:BYTE_0 src1_sel:DWORD
	v_mov_b32_e32 v27, 0
	s_and_saveexec_b64 s[2:3], s[8:9]
	s_cbranch_execz .LBB867_479
; %bb.474:
	s_movk_i32 s7, 0x80
	v_cmp_ne_u16_sdwa s[10:11], v17, s7 src0_sel:BYTE_0 src1_sel:DWORD
	v_mov_b32_e32 v27, 0xffff8000
	s_and_saveexec_b64 s[8:9], s[10:11]
	s_cbranch_execz .LBB867_478
; %bb.475:
	s_movk_i32 s7, 0x7f
	v_and_b32_e32 v14, 0x7f, v17
	v_cmp_ne_u32_e32 vcc, s7, v14
	v_mov_b32_e32 v27, 0x7f80
	s_and_saveexec_b64 s[10:11], vcc
	s_cbranch_execz .LBB867_477
; %bb.476:
	v_and_b32_e32 v27, 7, v17
	v_ffbh_u32_e32 v29, v27
	v_min_u32_e32 v31, 32, v29
	v_mov_b32_e32 v28, v17
	v_subrev_u32_e32 v29, 28, v31
	v_lshlrev_b64 v[28:29], v29, v[28:29]
	v_lshrrev_b32_e32 v30, 3, v14
	v_sub_u32_e32 v29, 29, v31
	v_and_b32_e32 v28, 7, v28
	v_cmp_gt_u32_e32 vcc, 8, v14
	v_cndmask_b32_e32 v14, v30, v29, vcc
	v_cndmask_b32_e32 v27, v27, v28, vcc
	v_lshlrev_b32_e32 v28, 24, v17
	v_bfrev_b32_e32 v29, 60
	v_lshlrev_b32_e32 v27, 20, v27
	v_and_b32_e32 v28, 0x80000000, v28
	v_lshl_add_u32 v14, v14, 23, v29
	v_or3_b32 v14, v28, v14, v27
	v_lshrrev_b32_e32 v27, 16, v14
.LBB867_477:
	s_or_b64 exec, exec, s[10:11]
.LBB867_478:
	s_or_b64 exec, exec, s[8:9]
.LBB867_479:
	s_or_b64 exec, exec, s[2:3]
	v_lshrrev_b16_e32 v14, 8, v17
	v_cmp_ne_u16_e32 vcc, 0, v14
	s_and_saveexec_b64 s[2:3], vcc
	s_cbranch_execz .LBB867_485
; %bb.480:
	s_movk_i32 s7, 0x80
	v_cmp_ne_u16_e32 vcc, s7, v14
	v_mov_b32_e32 v16, 0xffff8000
	s_and_saveexec_b64 s[8:9], vcc
	s_cbranch_execz .LBB867_484
; %bb.481:
	s_movk_i32 s7, 0x7f
	v_and_b32_e32 v28, 0x7f, v14
	v_cmp_ne_u32_e32 vcc, s7, v28
	v_mov_b32_e32 v16, 0x7f80
	s_and_saveexec_b64 s[10:11], vcc
	s_cbranch_execz .LBB867_483
; %bb.482:
	v_and_b32_e32 v16, 7, v14
	v_ffbh_u32_e32 v30, v16
	v_min_u32_e32 v32, 32, v30
	v_subrev_u32_e32 v30, 28, v32
	v_lshlrev_b64 v[30:31], v30, v[14:15]
	v_lshrrev_b32_e32 v29, 3, v28
	v_sub_u32_e32 v14, 29, v32
	v_and_b32_e32 v30, 7, v30
	v_cmp_gt_u32_e32 vcc, 8, v28
	v_cndmask_b32_e32 v14, v29, v14, vcc
	v_cndmask_b32_e32 v16, v16, v30, vcc
	v_lshlrev_b32_e32 v28, 16, v17
	v_bfrev_b32_e32 v29, 60
	v_lshlrev_b32_e32 v16, 20, v16
	v_and_b32_e32 v28, 0x80000000, v28
	v_lshl_add_u32 v14, v14, 23, v29
	v_or3_b32 v14, v28, v14, v16
	v_lshrrev_b32_e32 v16, 16, v14
.LBB867_483:
	s_or_b64 exec, exec, s[10:11]
.LBB867_484:
	s_or_b64 exec, exec, s[8:9]
.LBB867_485:
	s_or_b64 exec, exec, s[2:3]
	s_movk_i32 s2, 0xff
	v_and_b32_sdwa v30, v17, s2 dst_sel:DWORD dst_unused:UNUSED_PAD src0_sel:WORD_1 src1_sel:DWORD
	v_lshrrev_b32_e32 v14, 16, v17
	v_cmp_ne_u16_e32 vcc, 0, v30
	v_mov_b32_e32 v28, 0
	v_mov_b32_e32 v29, 0
	s_and_saveexec_b64 s[2:3], vcc
	s_cbranch_execz .LBB867_491
; %bb.486:
	s_movk_i32 s7, 0x80
	v_cmp_ne_u16_e32 vcc, s7, v30
	v_mov_b32_e32 v29, 0xffff8000
	s_and_saveexec_b64 s[8:9], vcc
	s_cbranch_execz .LBB867_490
; %bb.487:
	v_bfe_u32 v30, v17, 16, 7
	s_movk_i32 s7, 0x7f
	v_cmp_ne_u32_e32 vcc, s7, v30
	v_mov_b32_e32 v29, 0x7f80
	s_and_saveexec_b64 s[10:11], vcc
	s_cbranch_execz .LBB867_489
; %bb.488:
	v_and_b32_e32 v29, 7, v14
	v_ffbh_u32_e32 v32, v29
	v_min_u32_e32 v34, 32, v32
	v_subrev_u32_e32 v32, 28, v34
	v_lshlrev_b64 v[32:33], v32, v[14:15]
	v_lshrrev_b32_e32 v31, 3, v30
	v_sub_u32_e32 v14, 29, v34
	v_and_b32_e32 v32, 7, v32
	v_cmp_gt_u32_e32 vcc, 8, v30
	v_mov_b32_e32 v30, 24
	v_cndmask_b32_e32 v14, v31, v14, vcc
	v_cndmask_b32_e32 v29, v29, v32, vcc
	v_lshlrev_b32_sdwa v30, v30, v17 dst_sel:DWORD dst_unused:UNUSED_PAD src0_sel:DWORD src1_sel:WORD_1
	v_bfrev_b32_e32 v31, 60
	v_lshlrev_b32_e32 v29, 20, v29
	v_and_b32_e32 v30, 0x80000000, v30
	v_lshl_add_u32 v14, v14, 23, v31
	v_or3_b32 v14, v30, v14, v29
	v_lshrrev_b32_e32 v29, 16, v14
.LBB867_489:
	s_or_b64 exec, exec, s[10:11]
.LBB867_490:
	s_or_b64 exec, exec, s[8:9]
.LBB867_491:
	s_or_b64 exec, exec, s[2:3]
	s_mov_b32 s2, 0xffffff
	v_cmp_lt_u32_e32 vcc, s2, v17
	s_and_saveexec_b64 s[2:3], vcc
	s_cbranch_execz .LBB867_497
; %bb.492:
	v_lshrrev_b32_e32 v14, 24, v17
	s_movk_i32 s7, 0x80
	v_cmp_ne_u32_e32 vcc, s7, v14
	v_mov_b32_e32 v28, 0xffff8000
	s_and_saveexec_b64 s[8:9], vcc
	s_cbranch_execz .LBB867_496
; %bb.493:
	v_bfe_u32 v17, v17, 24, 7
	s_movk_i32 s7, 0x7f
	v_cmp_ne_u32_e32 vcc, s7, v17
	v_mov_b32_e32 v28, 0x7f80
	s_and_saveexec_b64 s[10:11], vcc
	s_cbranch_execz .LBB867_495
; %bb.494:
	v_and_b32_e32 v28, 7, v14
	v_ffbh_u32_e32 v30, v28
	v_min_u32_e32 v33, 32, v30
	v_subrev_u32_e32 v30, 28, v33
	v_lshlrev_b64 v[30:31], v30, v[14:15]
	v_lshrrev_b32_e32 v32, 3, v17
	v_sub_u32_e32 v31, 29, v33
	v_and_b32_e32 v30, 7, v30
	v_cmp_gt_u32_e32 vcc, 8, v17
	v_cndmask_b32_e32 v17, v32, v31, vcc
	v_cndmask_b32_e32 v28, v28, v30, vcc
	v_lshlrev_b32_e32 v14, 24, v14
	v_bfrev_b32_e32 v30, 60
	v_lshlrev_b32_e32 v28, 20, v28
	v_and_b32_e32 v14, 0x80000000, v14
	v_lshl_add_u32 v17, v17, 23, v30
	v_or3_b32 v14, v14, v17, v28
	v_lshrrev_b32_e32 v28, 16, v14
.LBB867_495:
	s_or_b64 exec, exec, s[10:11]
.LBB867_496:
	s_or_b64 exec, exec, s[8:9]
.LBB867_497:
	s_or_b64 exec, exec, s[2:3]
	s_mov_b32 s2, 0x5040100
	v_perm_b32 v25, v24, v25, s2
	v_perm_b32 v24, v15, v23, s2
	ds_read_b128 v[30:33], v22 offset:16
	v_perm_b32 v15, v28, v29, s2
	v_perm_b32 v14, v16, v27, s2
	s_waitcnt lgkmcnt(0)
	v_mfma_f32_16x16x16bf16_1k v[34:37], v[24:25], v[30:31], v[18:21]
	s_nop 6
	v_mov_b32_e32 v19, 0
	s_waitcnt vmcnt(2)
	v_cmp_ne_u16_sdwa s[8:9], v10, v19 src0_sel:BYTE_0 src1_sel:DWORD
	v_mfma_f32_16x16x16bf16_1k v[14:17], v[14:15], v[32:33], v[34:37]
	v_mov_b32_e32 v20, 0
	s_and_saveexec_b64 s[2:3], s[8:9]
	s_cbranch_execz .LBB867_503
; %bb.498:
	s_movk_i32 s7, 0x80
	v_cmp_ne_u16_sdwa s[10:11], v10, s7 src0_sel:BYTE_0 src1_sel:DWORD
	v_mov_b32_e32 v20, 0xffff8000
	s_and_saveexec_b64 s[8:9], s[10:11]
	s_cbranch_execz .LBB867_502
; %bb.499:
	s_movk_i32 s7, 0x7f
	v_and_b32_e32 v18, 0x7f, v10
	v_cmp_ne_u32_e32 vcc, s7, v18
	v_mov_b32_e32 v20, 0x7f80
	s_and_saveexec_b64 s[10:11], vcc
	s_cbranch_execz .LBB867_501
; %bb.500:
	v_and_b32_e32 v23, 7, v10
	v_ffbh_u32_e32 v20, v23
	v_min_u32_e32 v25, 32, v20
	v_subrev_u32_e32 v20, 28, v25
	v_lshlrev_b64 v[20:21], v20, v[10:11]
	v_lshrrev_b32_e32 v24, 3, v18
	v_sub_u32_e32 v21, 29, v25
	v_and_b32_e32 v20, 7, v20
	v_cmp_gt_u32_e32 vcc, 8, v18
	v_cndmask_b32_e32 v18, v24, v21, vcc
	v_cndmask_b32_e32 v20, v23, v20, vcc
	v_lshlrev_b32_e32 v21, 24, v10
	v_bfrev_b32_e32 v23, 60
	v_lshlrev_b32_e32 v20, 20, v20
	v_and_b32_e32 v21, 0x80000000, v21
	v_lshl_add_u32 v18, v18, 23, v23
	v_or3_b32 v18, v21, v18, v20
	v_lshrrev_b32_e32 v20, 16, v18
.LBB867_501:
	s_or_b64 exec, exec, s[10:11]
.LBB867_502:
	s_or_b64 exec, exec, s[8:9]
.LBB867_503:
	s_or_b64 exec, exec, s[2:3]
	v_lshrrev_b16_e32 v18, 8, v10
	v_cmp_ne_u16_e32 vcc, 0, v18
	s_and_saveexec_b64 s[2:3], vcc
	s_cbranch_execz .LBB867_509
; %bb.504:
	s_movk_i32 s7, 0x80
	v_cmp_ne_u16_e32 vcc, s7, v18
	v_mov_b32_e32 v19, 0xffff8000
	s_and_saveexec_b64 s[8:9], vcc
	s_cbranch_execz .LBB867_508
; %bb.505:
	s_movk_i32 s7, 0x7f
	v_and_b32_e32 v21, 0x7f, v18
	v_cmp_ne_u32_e32 vcc, s7, v21
	v_mov_b32_e32 v19, 0x7f80
	s_and_saveexec_b64 s[10:11], vcc
	s_cbranch_execz .LBB867_507
; %bb.506:
	v_and_b32_e32 v23, 7, v18
	v_ffbh_u32_e32 v19, v23
	v_min_u32_e32 v25, 32, v19
	v_subrev_u32_e32 v19, 28, v25
	v_lshlrev_b64 v[18:19], v19, v[18:19]
	v_lshrrev_b32_e32 v24, 3, v21
	v_sub_u32_e32 v19, 29, v25
	v_and_b32_e32 v18, 7, v18
	v_cmp_gt_u32_e32 vcc, 8, v21
	v_cndmask_b32_e32 v19, v24, v19, vcc
	v_cndmask_b32_e32 v18, v23, v18, vcc
	v_lshlrev_b32_e32 v21, 16, v10
	v_bfrev_b32_e32 v23, 60
	v_lshlrev_b32_e32 v18, 20, v18
	v_and_b32_e32 v21, 0x80000000, v21
	v_lshl_add_u32 v19, v19, 23, v23
	v_or3_b32 v18, v21, v19, v18
	v_lshrrev_b32_e32 v19, 16, v18
.LBB867_507:
	s_or_b64 exec, exec, s[10:11]
.LBB867_508:
	s_or_b64 exec, exec, s[8:9]
.LBB867_509:
	s_or_b64 exec, exec, s[2:3]
	s_movk_i32 s2, 0xff
	v_and_b32_sdwa v24, v10, s2 dst_sel:DWORD dst_unused:UNUSED_PAD src0_sel:WORD_1 src1_sel:DWORD
	v_lshrrev_b32_e32 v18, 16, v10
	v_cmp_ne_u16_e32 vcc, 0, v24
	v_mov_b32_e32 v21, 0
	v_mov_b32_e32 v23, 0
	s_and_saveexec_b64 s[2:3], vcc
	s_cbranch_execz .LBB867_515
; %bb.510:
	s_movk_i32 s7, 0x80
	v_cmp_ne_u16_e32 vcc, s7, v24
	v_mov_b32_e32 v23, 0xffff8000
	s_and_saveexec_b64 s[8:9], vcc
	s_cbranch_execz .LBB867_514
; %bb.511:
	v_bfe_u32 v24, v10, 16, 7
	s_movk_i32 s7, 0x7f
	v_cmp_ne_u32_e32 vcc, s7, v24
	v_mov_b32_e32 v23, 0x7f80
	s_and_saveexec_b64 s[10:11], vcc
	s_cbranch_execz .LBB867_513
; %bb.512:
	v_and_b32_e32 v23, 7, v18
	v_ffbh_u32_e32 v27, v23
	v_min_u32_e32 v27, 32, v27
	v_subrev_u32_e32 v28, 28, v27
	v_lshlrev_b64 v[28:29], v28, v[18:19]
	v_lshrrev_b32_e32 v25, 3, v24
	v_sub_u32_e32 v18, 29, v27
	v_and_b32_e32 v27, 7, v28
	v_cmp_gt_u32_e32 vcc, 8, v24
	v_mov_b32_e32 v24, 24
	v_cndmask_b32_e32 v18, v25, v18, vcc
	v_cndmask_b32_e32 v23, v23, v27, vcc
	v_lshlrev_b32_sdwa v24, v24, v10 dst_sel:DWORD dst_unused:UNUSED_PAD src0_sel:DWORD src1_sel:WORD_1
	v_bfrev_b32_e32 v25, 60
	v_lshlrev_b32_e32 v23, 20, v23
	v_and_b32_e32 v24, 0x80000000, v24
	v_lshl_add_u32 v18, v18, 23, v25
	v_or3_b32 v18, v24, v18, v23
	v_lshrrev_b32_e32 v23, 16, v18
.LBB867_513:
	s_or_b64 exec, exec, s[10:11]
.LBB867_514:
	s_or_b64 exec, exec, s[8:9]
.LBB867_515:
	s_or_b64 exec, exec, s[2:3]
	s_mov_b32 s2, 0xffffff
	v_cmp_lt_u32_e32 vcc, s2, v10
	s_and_saveexec_b64 s[2:3], vcc
	s_cbranch_execz .LBB867_521
; %bb.516:
	v_lshrrev_b32_e32 v18, 24, v10
	s_movk_i32 s7, 0x80
	v_cmp_ne_u32_e32 vcc, s7, v18
	v_mov_b32_e32 v21, 0xffff8000
	s_and_saveexec_b64 s[8:9], vcc
	s_cbranch_execz .LBB867_520
; %bb.517:
	v_bfe_u32 v10, v10, 24, 7
	s_movk_i32 s7, 0x7f
	v_cmp_ne_u32_e32 vcc, s7, v10
	v_mov_b32_e32 v21, 0x7f80
	s_and_saveexec_b64 s[10:11], vcc
	s_cbranch_execz .LBB867_519
; %bb.518:
	v_and_b32_e32 v21, 7, v18
	v_ffbh_u32_e32 v24, v21
	v_min_u32_e32 v28, 32, v24
	v_subrev_u32_e32 v24, 28, v28
	v_lshlrev_b64 v[24:25], v24, v[18:19]
	v_lshrrev_b32_e32 v27, 3, v10
	v_sub_u32_e32 v25, 29, v28
	v_and_b32_e32 v24, 7, v24
	v_cmp_gt_u32_e32 vcc, 8, v10
	v_cndmask_b32_e32 v10, v27, v25, vcc
	v_cndmask_b32_e32 v21, v21, v24, vcc
	v_lshlrev_b32_e32 v18, 24, v18
	v_bfrev_b32_e32 v24, 60
	v_lshlrev_b32_e32 v21, 20, v21
	v_and_b32_e32 v18, 0x80000000, v18
	v_lshl_add_u32 v10, v10, 23, v24
	v_or3_b32 v10, v18, v10, v21
	v_lshrrev_b32_e32 v21, 16, v10
.LBB867_519:
	s_or_b64 exec, exec, s[10:11]
.LBB867_520:
	s_or_b64 exec, exec, s[8:9]
.LBB867_521:
	s_or_b64 exec, exec, s[2:3]
	v_mov_b32_e32 v18, 0
	v_cmp_ne_u16_sdwa s[8:9], v11, v18 src0_sel:BYTE_0 src1_sel:DWORD
	v_mov_b32_e32 v24, 0
	s_and_saveexec_b64 s[2:3], s[8:9]
	s_cbranch_execz .LBB867_527
; %bb.522:
	s_movk_i32 s7, 0x80
	v_cmp_ne_u16_sdwa s[10:11], v11, s7 src0_sel:BYTE_0 src1_sel:DWORD
	v_mov_b32_e32 v24, 0xffff8000
	s_and_saveexec_b64 s[8:9], s[10:11]
	s_cbranch_execz .LBB867_526
; %bb.523:
	s_movk_i32 s7, 0x7f
	v_and_b32_e32 v10, 0x7f, v11
	v_cmp_ne_u32_e32 vcc, s7, v10
	v_mov_b32_e32 v24, 0x7f80
	s_and_saveexec_b64 s[10:11], vcc
	s_cbranch_execz .LBB867_525
; %bb.524:
	v_and_b32_e32 v27, 7, v11
	v_ffbh_u32_e32 v25, v27
	v_min_u32_e32 v29, 32, v25
	v_mov_b32_e32 v24, v11
	v_subrev_u32_e32 v25, 28, v29
	v_lshlrev_b64 v[24:25], v25, v[24:25]
	v_lshrrev_b32_e32 v28, 3, v10
	v_sub_u32_e32 v25, 29, v29
	v_and_b32_e32 v24, 7, v24
	v_cmp_gt_u32_e32 vcc, 8, v10
	v_cndmask_b32_e32 v10, v28, v25, vcc
	v_cndmask_b32_e32 v24, v27, v24, vcc
	v_lshlrev_b32_e32 v25, 24, v11
	v_bfrev_b32_e32 v27, 60
	v_lshlrev_b32_e32 v24, 20, v24
	v_and_b32_e32 v25, 0x80000000, v25
	v_lshl_add_u32 v10, v10, 23, v27
	v_or3_b32 v10, v25, v10, v24
	v_lshrrev_b32_e32 v24, 16, v10
.LBB867_525:
	s_or_b64 exec, exec, s[10:11]
.LBB867_526:
	s_or_b64 exec, exec, s[8:9]
.LBB867_527:
	s_or_b64 exec, exec, s[2:3]
	v_lshrrev_b16_e32 v10, 8, v11
	v_cmp_ne_u16_e32 vcc, 0, v10
	s_and_saveexec_b64 s[2:3], vcc
	s_cbranch_execz .LBB867_533
; %bb.528:
	s_movk_i32 s7, 0x80
	v_cmp_ne_u16_e32 vcc, s7, v10
	v_mov_b32_e32 v18, 0xffff8000
	s_and_saveexec_b64 s[8:9], vcc
	s_cbranch_execz .LBB867_532
; %bb.529:
	s_movk_i32 s7, 0x7f
	v_and_b32_e32 v25, 0x7f, v10
	v_cmp_ne_u32_e32 vcc, s7, v25
	v_mov_b32_e32 v18, 0x7f80
	s_and_saveexec_b64 s[10:11], vcc
	s_cbranch_execz .LBB867_531
; %bb.530:
	v_and_b32_e32 v18, 7, v10
	v_ffbh_u32_e32 v28, v18
	v_min_u32_e32 v30, 32, v28
	v_subrev_u32_e32 v28, 28, v30
	v_lshlrev_b64 v[28:29], v28, v[10:11]
	v_lshrrev_b32_e32 v27, 3, v25
	v_sub_u32_e32 v10, 29, v30
	v_and_b32_e32 v28, 7, v28
	v_cmp_gt_u32_e32 vcc, 8, v25
	v_cndmask_b32_e32 v10, v27, v10, vcc
	v_cndmask_b32_e32 v18, v18, v28, vcc
	v_lshlrev_b32_e32 v25, 16, v11
	v_bfrev_b32_e32 v27, 60
	v_lshlrev_b32_e32 v18, 20, v18
	v_and_b32_e32 v25, 0x80000000, v25
	v_lshl_add_u32 v10, v10, 23, v27
	v_or3_b32 v10, v25, v10, v18
	v_lshrrev_b32_e32 v18, 16, v10
.LBB867_531:
	s_or_b64 exec, exec, s[10:11]
.LBB867_532:
	s_or_b64 exec, exec, s[8:9]
.LBB867_533:
	s_or_b64 exec, exec, s[2:3]
	s_movk_i32 s2, 0xff
	v_and_b32_sdwa v28, v11, s2 dst_sel:DWORD dst_unused:UNUSED_PAD src0_sel:WORD_1 src1_sel:DWORD
	v_lshrrev_b32_e32 v10, 16, v11
	v_cmp_ne_u16_e32 vcc, 0, v28
	v_mov_b32_e32 v25, 0
	v_mov_b32_e32 v27, 0
	s_and_saveexec_b64 s[2:3], vcc
	s_cbranch_execz .LBB867_539
; %bb.534:
	s_movk_i32 s7, 0x80
	v_cmp_ne_u16_e32 vcc, s7, v28
	v_mov_b32_e32 v27, 0xffff8000
	s_and_saveexec_b64 s[8:9], vcc
	s_cbranch_execz .LBB867_538
; %bb.535:
	v_bfe_u32 v28, v11, 16, 7
	s_movk_i32 s7, 0x7f
	v_cmp_ne_u32_e32 vcc, s7, v28
	v_mov_b32_e32 v27, 0x7f80
	s_and_saveexec_b64 s[10:11], vcc
	s_cbranch_execz .LBB867_537
; %bb.536:
	v_and_b32_e32 v27, 7, v10
	v_ffbh_u32_e32 v30, v27
	v_min_u32_e32 v32, 32, v30
	v_subrev_u32_e32 v30, 28, v32
	v_lshlrev_b64 v[30:31], v30, v[10:11]
	v_lshrrev_b32_e32 v29, 3, v28
	v_sub_u32_e32 v10, 29, v32
	v_and_b32_e32 v30, 7, v30
	v_cmp_gt_u32_e32 vcc, 8, v28
	v_mov_b32_e32 v28, 24
	v_cndmask_b32_e32 v10, v29, v10, vcc
	v_cndmask_b32_e32 v27, v27, v30, vcc
	v_lshlrev_b32_sdwa v28, v28, v11 dst_sel:DWORD dst_unused:UNUSED_PAD src0_sel:DWORD src1_sel:WORD_1
	v_bfrev_b32_e32 v29, 60
	v_lshlrev_b32_e32 v27, 20, v27
	v_and_b32_e32 v28, 0x80000000, v28
	v_lshl_add_u32 v10, v10, 23, v29
	v_or3_b32 v10, v28, v10, v27
	v_lshrrev_b32_e32 v27, 16, v10
.LBB867_537:
	s_or_b64 exec, exec, s[10:11]
.LBB867_538:
	s_or_b64 exec, exec, s[8:9]
.LBB867_539:
	s_or_b64 exec, exec, s[2:3]
	s_mov_b32 s2, 0xffffff
	v_cmp_lt_u32_e32 vcc, s2, v11
	s_and_saveexec_b64 s[2:3], vcc
	s_cbranch_execz .LBB867_545
; %bb.540:
	v_lshrrev_b32_e32 v10, 24, v11
	s_movk_i32 s7, 0x80
	v_cmp_ne_u32_e32 vcc, s7, v10
	v_mov_b32_e32 v25, 0xffff8000
	s_and_saveexec_b64 s[8:9], vcc
	s_cbranch_execz .LBB867_544
; %bb.541:
	v_bfe_u32 v11, v11, 24, 7
	s_movk_i32 s7, 0x7f
	v_cmp_ne_u32_e32 vcc, s7, v11
	v_mov_b32_e32 v25, 0x7f80
	s_and_saveexec_b64 s[10:11], vcc
	s_cbranch_execz .LBB867_543
; %bb.542:
	v_and_b32_e32 v25, 7, v10
	v_ffbh_u32_e32 v28, v25
	v_min_u32_e32 v31, 32, v28
	v_subrev_u32_e32 v28, 28, v31
	v_lshlrev_b64 v[28:29], v28, v[10:11]
	v_lshrrev_b32_e32 v30, 3, v11
	v_sub_u32_e32 v29, 29, v31
	v_and_b32_e32 v28, 7, v28
	v_cmp_gt_u32_e32 vcc, 8, v11
	v_cndmask_b32_e32 v11, v30, v29, vcc
	v_cndmask_b32_e32 v25, v25, v28, vcc
	v_lshlrev_b32_e32 v10, 24, v10
	v_bfrev_b32_e32 v28, 60
	v_lshlrev_b32_e32 v25, 20, v25
	v_and_b32_e32 v10, 0x80000000, v10
	v_lshl_add_u32 v11, v11, 23, v28
	v_or3_b32 v10, v10, v11, v25
	v_lshrrev_b32_e32 v25, 16, v10
.LBB867_543:
	s_or_b64 exec, exec, s[10:11]
.LBB867_544:
	s_or_b64 exec, exec, s[8:9]
.LBB867_545:
	s_or_b64 exec, exec, s[2:3]
	s_mov_b32 s2, 0x5040100
	v_perm_b32 v11, v21, v23, s2
	v_perm_b32 v10, v19, v20, s2
	ds_read_b128 v[28:31], v22 offset:2048
	v_perm_b32 v21, v25, v27, s2
	v_perm_b32 v20, v18, v24, s2
	s_waitcnt lgkmcnt(0)
	v_mfma_f32_16x16x16bf16_1k v[14:17], v[10:11], v[28:29], v[14:17]
	v_mov_b32_e32 v11, 0
	v_cmp_ne_u16_sdwa s[8:9], v12, v11 src0_sel:BYTE_0 src1_sel:DWORD
	v_mov_b32_e32 v18, 0
	v_mfma_f32_16x16x16bf16_1k v[14:17], v[20:21], v[30:31], v[14:17]
	s_and_saveexec_b64 s[2:3], s[8:9]
	s_cbranch_execz .LBB867_551
; %bb.546:
	s_movk_i32 s7, 0x80
	v_cmp_ne_u16_sdwa s[10:11], v12, s7 src0_sel:BYTE_0 src1_sel:DWORD
	v_mov_b32_e32 v18, 0xffff8000
	s_and_saveexec_b64 s[8:9], s[10:11]
	s_cbranch_execz .LBB867_550
; %bb.547:
	s_movk_i32 s7, 0x7f
	v_and_b32_e32 v10, 0x7f, v12
	v_cmp_ne_u32_e32 vcc, s7, v10
	v_mov_b32_e32 v18, 0x7f80
	s_and_saveexec_b64 s[10:11], vcc
	s_cbranch_execz .LBB867_549
; %bb.548:
	v_and_b32_e32 v20, 7, v12
	v_ffbh_u32_e32 v18, v20
	v_min_u32_e32 v23, 32, v18
	v_subrev_u32_e32 v18, 28, v23
	v_lshlrev_b64 v[18:19], v18, v[12:13]
	v_lshrrev_b32_e32 v21, 3, v10
	v_sub_u32_e32 v19, 29, v23
	v_and_b32_e32 v18, 7, v18
	v_cmp_gt_u32_e32 vcc, 8, v10
	v_cndmask_b32_e32 v10, v21, v19, vcc
	v_cndmask_b32_e32 v18, v20, v18, vcc
	v_lshlrev_b32_e32 v19, 24, v12
	v_bfrev_b32_e32 v20, 60
	v_lshlrev_b32_e32 v18, 20, v18
	v_and_b32_e32 v19, 0x80000000, v19
	v_lshl_add_u32 v10, v10, 23, v20
	v_or3_b32 v10, v19, v10, v18
	v_lshrrev_b32_e32 v18, 16, v10
.LBB867_549:
	s_or_b64 exec, exec, s[10:11]
.LBB867_550:
	s_or_b64 exec, exec, s[8:9]
.LBB867_551:
	s_or_b64 exec, exec, s[2:3]
	v_lshrrev_b16_e32 v10, 8, v12
	v_cmp_ne_u16_e32 vcc, 0, v10
	s_and_saveexec_b64 s[2:3], vcc
	s_cbranch_execz .LBB867_557
; %bb.552:
	s_movk_i32 s7, 0x80
	v_cmp_ne_u16_e32 vcc, s7, v10
	v_mov_b32_e32 v11, 0xffff8000
	s_and_saveexec_b64 s[8:9], vcc
	s_cbranch_execz .LBB867_556
; %bb.553:
	s_movk_i32 s7, 0x7f
	v_and_b32_e32 v19, 0x7f, v10
	v_cmp_ne_u32_e32 vcc, s7, v19
	v_mov_b32_e32 v11, 0x7f80
	s_and_saveexec_b64 s[10:11], vcc
	s_cbranch_execz .LBB867_555
; %bb.554:
	v_and_b32_e32 v20, 7, v10
	v_ffbh_u32_e32 v11, v20
	v_min_u32_e32 v23, 32, v11
	v_subrev_u32_e32 v11, 28, v23
	v_lshlrev_b64 v[10:11], v11, v[10:11]
	v_lshrrev_b32_e32 v21, 3, v19
	v_sub_u32_e32 v11, 29, v23
	v_and_b32_e32 v10, 7, v10
	v_cmp_gt_u32_e32 vcc, 8, v19
	v_cndmask_b32_e32 v11, v21, v11, vcc
	v_cndmask_b32_e32 v10, v20, v10, vcc
	v_lshlrev_b32_e32 v19, 16, v12
	v_bfrev_b32_e32 v20, 60
	v_lshlrev_b32_e32 v10, 20, v10
	v_and_b32_e32 v19, 0x80000000, v19
	v_lshl_add_u32 v11, v11, 23, v20
	v_or3_b32 v10, v19, v11, v10
	v_lshrrev_b32_e32 v11, 16, v10
.LBB867_555:
	s_or_b64 exec, exec, s[10:11]
.LBB867_556:
	s_or_b64 exec, exec, s[8:9]
.LBB867_557:
	s_or_b64 exec, exec, s[2:3]
	s_movk_i32 s2, 0xff
	v_and_b32_sdwa v21, v12, s2 dst_sel:DWORD dst_unused:UNUSED_PAD src0_sel:WORD_1 src1_sel:DWORD
	v_lshrrev_b32_e32 v10, 16, v12
	v_cmp_ne_u16_e32 vcc, 0, v21
	v_mov_b32_e32 v19, 0
	v_mov_b32_e32 v20, 0
	s_and_saveexec_b64 s[2:3], vcc
	s_cbranch_execz .LBB867_563
; %bb.558:
	s_movk_i32 s7, 0x80
	v_cmp_ne_u16_e32 vcc, s7, v21
	v_mov_b32_e32 v20, 0xffff8000
	s_and_saveexec_b64 s[8:9], vcc
	s_cbranch_execz .LBB867_562
; %bb.559:
	v_bfe_u32 v21, v12, 16, 7
	s_movk_i32 s7, 0x7f
	v_cmp_ne_u32_e32 vcc, s7, v21
	v_mov_b32_e32 v20, 0x7f80
	s_and_saveexec_b64 s[10:11], vcc
	s_cbranch_execz .LBB867_561
; %bb.560:
	v_and_b32_e32 v20, 7, v10
	v_ffbh_u32_e32 v24, v20
	v_min_u32_e32 v27, 32, v24
	v_subrev_u32_e32 v24, 28, v27
	v_lshlrev_b64 v[24:25], v24, v[10:11]
	v_lshrrev_b32_e32 v23, 3, v21
	v_sub_u32_e32 v10, 29, v27
	v_and_b32_e32 v24, 7, v24
	v_cmp_gt_u32_e32 vcc, 8, v21
	v_mov_b32_e32 v21, 24
	v_cndmask_b32_e32 v10, v23, v10, vcc
	v_cndmask_b32_e32 v20, v20, v24, vcc
	v_lshlrev_b32_sdwa v21, v21, v12 dst_sel:DWORD dst_unused:UNUSED_PAD src0_sel:DWORD src1_sel:WORD_1
	v_bfrev_b32_e32 v23, 60
	v_lshlrev_b32_e32 v20, 20, v20
	v_and_b32_e32 v21, 0x80000000, v21
	v_lshl_add_u32 v10, v10, 23, v23
	v_or3_b32 v10, v21, v10, v20
	v_lshrrev_b32_e32 v20, 16, v10
.LBB867_561:
	s_or_b64 exec, exec, s[10:11]
.LBB867_562:
	s_or_b64 exec, exec, s[8:9]
.LBB867_563:
	s_or_b64 exec, exec, s[2:3]
	s_mov_b32 s2, 0xffffff
	v_cmp_lt_u32_e32 vcc, s2, v12
	s_and_saveexec_b64 s[2:3], vcc
	s_cbranch_execz .LBB867_569
; %bb.564:
	v_lshrrev_b32_e32 v10, 24, v12
	s_movk_i32 s7, 0x80
	v_cmp_ne_u32_e32 vcc, s7, v10
	v_mov_b32_e32 v19, 0xffff8000
	s_and_saveexec_b64 s[8:9], vcc
	s_cbranch_execz .LBB867_568
; %bb.565:
	v_bfe_u32 v12, v12, 24, 7
	s_movk_i32 s7, 0x7f
	v_cmp_ne_u32_e32 vcc, s7, v12
	v_mov_b32_e32 v19, 0x7f80
	s_and_saveexec_b64 s[10:11], vcc
	s_cbranch_execz .LBB867_567
; %bb.566:
	v_and_b32_e32 v19, 7, v10
	v_ffbh_u32_e32 v23, v19
	v_min_u32_e32 v23, 32, v23
	v_subrev_u32_e32 v24, 28, v23
	v_lshlrev_b64 v[24:25], v24, v[10:11]
	v_lshrrev_b32_e32 v21, 3, v12
	v_sub_u32_e32 v23, 29, v23
	v_and_b32_e32 v24, 7, v24
	v_cmp_gt_u32_e32 vcc, 8, v12
	v_cndmask_b32_e32 v12, v21, v23, vcc
	v_cndmask_b32_e32 v19, v19, v24, vcc
	v_lshlrev_b32_e32 v10, 24, v10
	v_bfrev_b32_e32 v21, 60
	v_lshlrev_b32_e32 v19, 20, v19
	v_and_b32_e32 v10, 0x80000000, v10
	v_lshl_add_u32 v12, v12, 23, v21
	v_or3_b32 v10, v10, v12, v19
	v_lshrrev_b32_e32 v19, 16, v10
.LBB867_567:
	s_or_b64 exec, exec, s[10:11]
.LBB867_568:
	s_or_b64 exec, exec, s[8:9]
.LBB867_569:
	s_or_b64 exec, exec, s[2:3]
	v_mov_b32_e32 v12, 0
	v_cmp_ne_u16_sdwa s[8:9], v13, v12 src0_sel:BYTE_0 src1_sel:DWORD
	v_mov_b32_e32 v21, 0
	s_and_saveexec_b64 s[2:3], s[8:9]
	s_cbranch_execz .LBB867_575
; %bb.570:
	s_movk_i32 s7, 0x80
	v_cmp_ne_u16_sdwa s[10:11], v13, s7 src0_sel:BYTE_0 src1_sel:DWORD
	v_mov_b32_e32 v21, 0xffff8000
	s_and_saveexec_b64 s[8:9], s[10:11]
	s_cbranch_execz .LBB867_574
; %bb.571:
	s_movk_i32 s7, 0x7f
	v_and_b32_e32 v10, 0x7f, v13
	v_cmp_ne_u32_e32 vcc, s7, v10
	v_mov_b32_e32 v21, 0x7f80
	s_and_saveexec_b64 s[10:11], vcc
	s_cbranch_execz .LBB867_573
; %bb.572:
	v_and_b32_e32 v21, 7, v13
	v_ffbh_u32_e32 v25, v21
	v_min_u32_e32 v27, 32, v25
	v_mov_b32_e32 v24, v13
	v_subrev_u32_e32 v25, 28, v27
	v_lshlrev_b64 v[24:25], v25, v[24:25]
	v_lshrrev_b32_e32 v23, 3, v10
	v_sub_u32_e32 v25, 29, v27
	v_and_b32_e32 v24, 7, v24
	v_cmp_gt_u32_e32 vcc, 8, v10
	v_cndmask_b32_e32 v10, v23, v25, vcc
	v_cndmask_b32_e32 v21, v21, v24, vcc
	v_lshlrev_b32_e32 v23, 24, v13
	v_bfrev_b32_e32 v24, 60
	v_lshlrev_b32_e32 v21, 20, v21
	v_and_b32_e32 v23, 0x80000000, v23
	v_lshl_add_u32 v10, v10, 23, v24
	v_or3_b32 v10, v23, v10, v21
	v_lshrrev_b32_e32 v21, 16, v10
.LBB867_573:
	s_or_b64 exec, exec, s[10:11]
.LBB867_574:
	s_or_b64 exec, exec, s[8:9]
.LBB867_575:
	s_or_b64 exec, exec, s[2:3]
	v_lshrrev_b16_e32 v10, 8, v13
	v_cmp_ne_u16_e32 vcc, 0, v10
	s_and_saveexec_b64 s[2:3], vcc
	s_cbranch_execz .LBB867_581
; %bb.576:
	s_movk_i32 s7, 0x80
	v_cmp_ne_u16_e32 vcc, s7, v10
	v_mov_b32_e32 v12, 0xffff8000
	s_and_saveexec_b64 s[8:9], vcc
	s_cbranch_execz .LBB867_580
; %bb.577:
	s_movk_i32 s7, 0x7f
	v_and_b32_e32 v23, 0x7f, v10
	v_cmp_ne_u32_e32 vcc, s7, v23
	v_mov_b32_e32 v12, 0x7f80
	s_and_saveexec_b64 s[10:11], vcc
	s_cbranch_execz .LBB867_579
; %bb.578:
	v_and_b32_e32 v12, 7, v10
	v_ffbh_u32_e32 v24, v12
	v_min_u32_e32 v28, 32, v24
	v_subrev_u32_e32 v24, 28, v28
	v_lshlrev_b64 v[24:25], v24, v[10:11]
	v_lshrrev_b32_e32 v27, 3, v23
	v_sub_u32_e32 v10, 29, v28
	v_and_b32_e32 v24, 7, v24
	v_cmp_gt_u32_e32 vcc, 8, v23
	v_cndmask_b32_e32 v10, v27, v10, vcc
	v_cndmask_b32_e32 v12, v12, v24, vcc
	v_lshlrev_b32_e32 v23, 16, v13
	v_bfrev_b32_e32 v24, 60
	v_lshlrev_b32_e32 v12, 20, v12
	v_and_b32_e32 v23, 0x80000000, v23
	v_lshl_add_u32 v10, v10, 23, v24
	v_or3_b32 v10, v23, v10, v12
	v_lshrrev_b32_e32 v12, 16, v10
.LBB867_579:
	s_or_b64 exec, exec, s[10:11]
.LBB867_580:
	s_or_b64 exec, exec, s[8:9]
.LBB867_581:
	s_or_b64 exec, exec, s[2:3]
	s_movk_i32 s2, 0xff
	v_and_b32_sdwa v25, v13, s2 dst_sel:DWORD dst_unused:UNUSED_PAD src0_sel:WORD_1 src1_sel:DWORD
	v_lshrrev_b32_e32 v10, 16, v13
	v_cmp_ne_u16_e32 vcc, 0, v25
	v_mov_b32_e32 v23, 0
	v_mov_b32_e32 v24, 0
	s_and_saveexec_b64 s[2:3], vcc
	s_cbranch_execz .LBB867_587
; %bb.582:
	s_movk_i32 s7, 0x80
	v_cmp_ne_u16_e32 vcc, s7, v25
	v_mov_b32_e32 v24, 0xffff8000
	s_and_saveexec_b64 s[8:9], vcc
	s_cbranch_execz .LBB867_586
; %bb.583:
	v_bfe_u32 v25, v13, 16, 7
	s_movk_i32 s7, 0x7f
	v_cmp_ne_u32_e32 vcc, s7, v25
	v_mov_b32_e32 v24, 0x7f80
	s_and_saveexec_b64 s[10:11], vcc
	s_cbranch_execz .LBB867_585
; %bb.584:
	v_and_b32_e32 v24, 7, v10
	v_ffbh_u32_e32 v28, v24
	v_min_u32_e32 v30, 32, v28
	v_subrev_u32_e32 v28, 28, v30
	v_lshlrev_b64 v[28:29], v28, v[10:11]
	v_lshrrev_b32_e32 v27, 3, v25
	v_sub_u32_e32 v10, 29, v30
	v_and_b32_e32 v28, 7, v28
	v_cmp_gt_u32_e32 vcc, 8, v25
	v_mov_b32_e32 v25, 24
	v_cndmask_b32_e32 v10, v27, v10, vcc
	v_cndmask_b32_e32 v24, v24, v28, vcc
	v_lshlrev_b32_sdwa v25, v25, v13 dst_sel:DWORD dst_unused:UNUSED_PAD src0_sel:DWORD src1_sel:WORD_1
	v_bfrev_b32_e32 v27, 60
	v_lshlrev_b32_e32 v24, 20, v24
	v_and_b32_e32 v25, 0x80000000, v25
	v_lshl_add_u32 v10, v10, 23, v27
	v_or3_b32 v10, v25, v10, v24
	v_lshrrev_b32_e32 v24, 16, v10
.LBB867_585:
	s_or_b64 exec, exec, s[10:11]
.LBB867_586:
	s_or_b64 exec, exec, s[8:9]
.LBB867_587:
	s_or_b64 exec, exec, s[2:3]
	s_mov_b32 s2, 0xffffff
	v_cmp_lt_u32_e32 vcc, s2, v13
	s_and_saveexec_b64 s[2:3], vcc
	s_cbranch_execz .LBB867_593
; %bb.588:
	v_lshrrev_b32_e32 v10, 24, v13
	s_movk_i32 s7, 0x80
	v_cmp_ne_u32_e32 vcc, s7, v10
	v_mov_b32_e32 v23, 0xffff8000
	s_and_saveexec_b64 s[8:9], vcc
	s_cbranch_execz .LBB867_592
; %bb.589:
	v_bfe_u32 v13, v13, 24, 7
	s_movk_i32 s7, 0x7f
	v_cmp_ne_u32_e32 vcc, s7, v13
	v_mov_b32_e32 v23, 0x7f80
	s_and_saveexec_b64 s[10:11], vcc
	s_cbranch_execz .LBB867_591
; %bb.590:
	v_and_b32_e32 v23, 7, v10
	v_ffbh_u32_e32 v27, v23
	v_min_u32_e32 v27, 32, v27
	v_subrev_u32_e32 v28, 28, v27
	v_lshlrev_b64 v[28:29], v28, v[10:11]
	v_lshrrev_b32_e32 v25, 3, v13
	v_sub_u32_e32 v27, 29, v27
	v_and_b32_e32 v28, 7, v28
	v_cmp_gt_u32_e32 vcc, 8, v13
	v_cndmask_b32_e32 v13, v25, v27, vcc
	v_cndmask_b32_e32 v23, v23, v28, vcc
	v_lshlrev_b32_e32 v10, 24, v10
	v_bfrev_b32_e32 v25, 60
	v_lshlrev_b32_e32 v23, 20, v23
	v_and_b32_e32 v10, 0x80000000, v10
	v_lshl_add_u32 v13, v13, 23, v25
	v_or3_b32 v10, v10, v13, v23
	v_lshrrev_b32_e32 v23, 16, v10
.LBB867_591:
	s_or_b64 exec, exec, s[10:11]
.LBB867_592:
	s_or_b64 exec, exec, s[8:9]
.LBB867_593:
	s_or_b64 exec, exec, s[2:3]
	s_mov_b32 s2, 0x5040100
	v_perm_b32 v19, v19, v20, s2
	v_perm_b32 v18, v11, v18, s2
	ds_read_b128 v[28:31], v22 offset:2064
	v_perm_b32 v11, v23, v24, s2
	v_perm_b32 v10, v12, v21, s2
	s_waitcnt lgkmcnt(0)
	v_mfma_f32_16x16x16bf16_1k v[32:35], v[18:19], v[28:29], v[14:17]
	s_nop 6
	v_mov_b32_e32 v15, 0
	s_waitcnt vmcnt(1)
	v_cmp_ne_u16_sdwa s[8:9], v6, v15 src0_sel:BYTE_0 src1_sel:DWORD
	v_mfma_f32_16x16x16bf16_1k v[10:13], v[10:11], v[30:31], v[32:35]
	v_mov_b32_e32 v16, 0
	s_and_saveexec_b64 s[2:3], s[8:9]
	s_cbranch_execz .LBB867_599
; %bb.594:
	s_movk_i32 s7, 0x80
	v_cmp_ne_u16_sdwa s[10:11], v6, s7 src0_sel:BYTE_0 src1_sel:DWORD
	v_mov_b32_e32 v16, 0xffff8000
	s_and_saveexec_b64 s[8:9], s[10:11]
	s_cbranch_execz .LBB867_598
; %bb.595:
	s_movk_i32 s7, 0x7f
	v_and_b32_e32 v14, 0x7f, v6
	v_cmp_ne_u32_e32 vcc, s7, v14
	v_mov_b32_e32 v16, 0x7f80
	s_and_saveexec_b64 s[10:11], vcc
	s_cbranch_execz .LBB867_597
; %bb.596:
	v_and_b32_e32 v18, 7, v6
	v_ffbh_u32_e32 v16, v18
	v_min_u32_e32 v20, 32, v16
	v_subrev_u32_e32 v16, 28, v20
	v_lshlrev_b64 v[16:17], v16, v[6:7]
	v_lshrrev_b32_e32 v19, 3, v14
	v_sub_u32_e32 v17, 29, v20
	v_and_b32_e32 v16, 7, v16
	v_cmp_gt_u32_e32 vcc, 8, v14
	v_cndmask_b32_e32 v14, v19, v17, vcc
	v_cndmask_b32_e32 v16, v18, v16, vcc
	v_lshlrev_b32_e32 v17, 24, v6
	v_bfrev_b32_e32 v18, 60
	v_lshlrev_b32_e32 v16, 20, v16
	v_and_b32_e32 v17, 0x80000000, v17
	v_lshl_add_u32 v14, v14, 23, v18
	v_or3_b32 v14, v17, v14, v16
	v_lshrrev_b32_e32 v16, 16, v14
.LBB867_597:
	s_or_b64 exec, exec, s[10:11]
.LBB867_598:
	s_or_b64 exec, exec, s[8:9]
.LBB867_599:
	s_or_b64 exec, exec, s[2:3]
	v_lshrrev_b16_e32 v14, 8, v6
	v_cmp_ne_u16_e32 vcc, 0, v14
	s_and_saveexec_b64 s[2:3], vcc
	s_cbranch_execz .LBB867_605
; %bb.600:
	s_movk_i32 s7, 0x80
	v_cmp_ne_u16_e32 vcc, s7, v14
	v_mov_b32_e32 v15, 0xffff8000
	s_and_saveexec_b64 s[8:9], vcc
	s_cbranch_execz .LBB867_604
; %bb.601:
	s_movk_i32 s7, 0x7f
	v_and_b32_e32 v17, 0x7f, v14
	v_cmp_ne_u32_e32 vcc, s7, v17
	v_mov_b32_e32 v15, 0x7f80
	s_and_saveexec_b64 s[10:11], vcc
	s_cbranch_execz .LBB867_603
; %bb.602:
	v_and_b32_e32 v18, 7, v14
	v_ffbh_u32_e32 v15, v18
	v_min_u32_e32 v20, 32, v15
	v_subrev_u32_e32 v15, 28, v20
	v_lshlrev_b64 v[14:15], v15, v[14:15]
	v_lshrrev_b32_e32 v19, 3, v17
	v_sub_u32_e32 v15, 29, v20
	v_and_b32_e32 v14, 7, v14
	v_cmp_gt_u32_e32 vcc, 8, v17
	v_cndmask_b32_e32 v15, v19, v15, vcc
	v_cndmask_b32_e32 v14, v18, v14, vcc
	v_lshlrev_b32_e32 v17, 16, v6
	v_bfrev_b32_e32 v18, 60
	v_lshlrev_b32_e32 v14, 20, v14
	v_and_b32_e32 v17, 0x80000000, v17
	v_lshl_add_u32 v15, v15, 23, v18
	v_or3_b32 v14, v17, v15, v14
	v_lshrrev_b32_e32 v15, 16, v14
.LBB867_603:
	s_or_b64 exec, exec, s[10:11]
.LBB867_604:
	s_or_b64 exec, exec, s[8:9]
.LBB867_605:
	s_or_b64 exec, exec, s[2:3]
	s_movk_i32 s2, 0xff
	v_and_b32_sdwa v19, v6, s2 dst_sel:DWORD dst_unused:UNUSED_PAD src0_sel:WORD_1 src1_sel:DWORD
	v_lshrrev_b32_e32 v14, 16, v6
	v_cmp_ne_u16_e32 vcc, 0, v19
	v_mov_b32_e32 v17, 0
	v_mov_b32_e32 v18, 0
	s_and_saveexec_b64 s[2:3], vcc
	s_cbranch_execz .LBB867_611
; %bb.606:
	s_movk_i32 s7, 0x80
	v_cmp_ne_u16_e32 vcc, s7, v19
	v_mov_b32_e32 v18, 0xffff8000
	s_and_saveexec_b64 s[8:9], vcc
	s_cbranch_execz .LBB867_610
; %bb.607:
	v_bfe_u32 v19, v6, 16, 7
	s_movk_i32 s7, 0x7f
	v_cmp_ne_u32_e32 vcc, s7, v19
	v_mov_b32_e32 v18, 0x7f80
	s_and_saveexec_b64 s[10:11], vcc
	s_cbranch_execz .LBB867_609
; %bb.608:
	v_and_b32_e32 v18, 7, v14
	v_ffbh_u32_e32 v20, v18
	v_min_u32_e32 v24, 32, v20
	v_subrev_u32_e32 v20, 28, v24
	v_lshlrev_b64 v[20:21], v20, v[14:15]
	v_lshrrev_b32_e32 v23, 3, v19
	v_sub_u32_e32 v14, 29, v24
	v_and_b32_e32 v20, 7, v20
	v_cmp_gt_u32_e32 vcc, 8, v19
	v_mov_b32_e32 v19, 24
	v_cndmask_b32_e32 v14, v23, v14, vcc
	v_cndmask_b32_e32 v18, v18, v20, vcc
	v_lshlrev_b32_sdwa v19, v19, v6 dst_sel:DWORD dst_unused:UNUSED_PAD src0_sel:DWORD src1_sel:WORD_1
	v_bfrev_b32_e32 v20, 60
	v_lshlrev_b32_e32 v18, 20, v18
	v_and_b32_e32 v19, 0x80000000, v19
	v_lshl_add_u32 v14, v14, 23, v20
	v_or3_b32 v14, v19, v14, v18
	v_lshrrev_b32_e32 v18, 16, v14
.LBB867_609:
	s_or_b64 exec, exec, s[10:11]
.LBB867_610:
	s_or_b64 exec, exec, s[8:9]
.LBB867_611:
	s_or_b64 exec, exec, s[2:3]
	s_mov_b32 s2, 0xffffff
	v_cmp_lt_u32_e32 vcc, s2, v6
	s_and_saveexec_b64 s[2:3], vcc
	s_cbranch_execz .LBB867_617
; %bb.612:
	v_lshrrev_b32_e32 v14, 24, v6
	s_movk_i32 s7, 0x80
	v_cmp_ne_u32_e32 vcc, s7, v14
	v_mov_b32_e32 v17, 0xffff8000
	s_and_saveexec_b64 s[8:9], vcc
	s_cbranch_execz .LBB867_616
; %bb.613:
	v_bfe_u32 v6, v6, 24, 7
	s_movk_i32 s7, 0x7f
	v_cmp_ne_u32_e32 vcc, s7, v6
	v_mov_b32_e32 v17, 0x7f80
	s_and_saveexec_b64 s[10:11], vcc
	s_cbranch_execz .LBB867_615
; %bb.614:
	v_and_b32_e32 v17, 7, v14
	v_ffbh_u32_e32 v20, v17
	v_min_u32_e32 v23, 32, v20
	v_subrev_u32_e32 v20, 28, v23
	v_lshlrev_b64 v[20:21], v20, v[14:15]
	v_lshrrev_b32_e32 v19, 3, v6
	v_sub_u32_e32 v21, 29, v23
	v_and_b32_e32 v20, 7, v20
	v_cmp_gt_u32_e32 vcc, 8, v6
	v_cndmask_b32_e32 v6, v19, v21, vcc
	v_cndmask_b32_e32 v17, v17, v20, vcc
	v_lshlrev_b32_e32 v14, 24, v14
	v_bfrev_b32_e32 v19, 60
	v_lshlrev_b32_e32 v17, 20, v17
	v_and_b32_e32 v14, 0x80000000, v14
	v_lshl_add_u32 v6, v6, 23, v19
	v_or3_b32 v6, v14, v6, v17
	v_lshrrev_b32_e32 v17, 16, v6
.LBB867_615:
	s_or_b64 exec, exec, s[10:11]
.LBB867_616:
	s_or_b64 exec, exec, s[8:9]
.LBB867_617:
	s_or_b64 exec, exec, s[2:3]
	v_mov_b32_e32 v14, 0
	v_cmp_ne_u16_sdwa s[8:9], v7, v14 src0_sel:BYTE_0 src1_sel:DWORD
	v_mov_b32_e32 v19, 0
	s_and_saveexec_b64 s[2:3], s[8:9]
	s_cbranch_execz .LBB867_623
; %bb.618:
	s_movk_i32 s7, 0x80
	v_cmp_ne_u16_sdwa s[10:11], v7, s7 src0_sel:BYTE_0 src1_sel:DWORD
	v_mov_b32_e32 v19, 0xffff8000
	s_and_saveexec_b64 s[8:9], s[10:11]
	s_cbranch_execz .LBB867_622
; %bb.619:
	s_movk_i32 s7, 0x7f
	v_and_b32_e32 v6, 0x7f, v7
	v_cmp_ne_u32_e32 vcc, s7, v6
	v_mov_b32_e32 v19, 0x7f80
	s_and_saveexec_b64 s[10:11], vcc
	s_cbranch_execz .LBB867_621
; %bb.620:
	v_and_b32_e32 v19, 7, v7
	v_ffbh_u32_e32 v21, v19
	v_min_u32_e32 v24, 32, v21
	v_mov_b32_e32 v20, v7
	v_subrev_u32_e32 v21, 28, v24
	v_lshlrev_b64 v[20:21], v21, v[20:21]
	v_lshrrev_b32_e32 v23, 3, v6
	v_sub_u32_e32 v21, 29, v24
	v_and_b32_e32 v20, 7, v20
	v_cmp_gt_u32_e32 vcc, 8, v6
	v_cndmask_b32_e32 v6, v23, v21, vcc
	v_cndmask_b32_e32 v19, v19, v20, vcc
	v_lshlrev_b32_e32 v20, 24, v7
	v_bfrev_b32_e32 v21, 60
	v_lshlrev_b32_e32 v19, 20, v19
	v_and_b32_e32 v20, 0x80000000, v20
	v_lshl_add_u32 v6, v6, 23, v21
	v_or3_b32 v6, v20, v6, v19
	v_lshrrev_b32_e32 v19, 16, v6
.LBB867_621:
	s_or_b64 exec, exec, s[10:11]
.LBB867_622:
	s_or_b64 exec, exec, s[8:9]
.LBB867_623:
	s_or_b64 exec, exec, s[2:3]
	v_lshrrev_b16_e32 v6, 8, v7
	v_cmp_ne_u16_e32 vcc, 0, v6
	s_and_saveexec_b64 s[2:3], vcc
	s_cbranch_execz .LBB867_629
; %bb.624:
	s_movk_i32 s7, 0x80
	v_cmp_ne_u16_e32 vcc, s7, v6
	v_mov_b32_e32 v14, 0xffff8000
	s_and_saveexec_b64 s[8:9], vcc
	s_cbranch_execz .LBB867_628
; %bb.625:
	s_movk_i32 s7, 0x7f
	v_and_b32_e32 v20, 0x7f, v6
	v_cmp_ne_u32_e32 vcc, s7, v20
	v_mov_b32_e32 v14, 0x7f80
	s_and_saveexec_b64 s[10:11], vcc
	s_cbranch_execz .LBB867_627
; %bb.626:
	v_and_b32_e32 v14, 7, v6
	v_ffbh_u32_e32 v23, v14
	v_min_u32_e32 v23, 32, v23
	v_subrev_u32_e32 v24, 28, v23
	v_lshlrev_b64 v[24:25], v24, v[6:7]
	v_lshrrev_b32_e32 v21, 3, v20
	v_sub_u32_e32 v6, 29, v23
	v_and_b32_e32 v23, 7, v24
	v_cmp_gt_u32_e32 vcc, 8, v20
	v_cndmask_b32_e32 v6, v21, v6, vcc
	v_cndmask_b32_e32 v14, v14, v23, vcc
	v_lshlrev_b32_e32 v20, 16, v7
	v_bfrev_b32_e32 v21, 60
	v_lshlrev_b32_e32 v14, 20, v14
	v_and_b32_e32 v20, 0x80000000, v20
	v_lshl_add_u32 v6, v6, 23, v21
	v_or3_b32 v6, v20, v6, v14
	v_lshrrev_b32_e32 v14, 16, v6
.LBB867_627:
	s_or_b64 exec, exec, s[10:11]
.LBB867_628:
	s_or_b64 exec, exec, s[8:9]
.LBB867_629:
	s_or_b64 exec, exec, s[2:3]
	s_movk_i32 s2, 0xff
	v_and_b32_sdwa v23, v7, s2 dst_sel:DWORD dst_unused:UNUSED_PAD src0_sel:WORD_1 src1_sel:DWORD
	v_lshrrev_b32_e32 v6, 16, v7
	v_cmp_ne_u16_e32 vcc, 0, v23
	v_mov_b32_e32 v20, 0
	v_mov_b32_e32 v21, 0
	s_and_saveexec_b64 s[2:3], vcc
	s_cbranch_execz .LBB867_635
; %bb.630:
	s_movk_i32 s7, 0x80
	v_cmp_ne_u16_e32 vcc, s7, v23
	v_mov_b32_e32 v21, 0xffff8000
	s_and_saveexec_b64 s[8:9], vcc
	s_cbranch_execz .LBB867_634
; %bb.631:
	v_bfe_u32 v23, v7, 16, 7
	s_movk_i32 s7, 0x7f
	v_cmp_ne_u32_e32 vcc, s7, v23
	v_mov_b32_e32 v21, 0x7f80
	s_and_saveexec_b64 s[10:11], vcc
	s_cbranch_execz .LBB867_633
; %bb.632:
	v_and_b32_e32 v21, 7, v6
	v_ffbh_u32_e32 v24, v21
	v_min_u32_e32 v28, 32, v24
	v_subrev_u32_e32 v24, 28, v28
	v_lshlrev_b64 v[24:25], v24, v[6:7]
	v_lshrrev_b32_e32 v27, 3, v23
	v_sub_u32_e32 v6, 29, v28
	v_and_b32_e32 v24, 7, v24
	v_cmp_gt_u32_e32 vcc, 8, v23
	v_mov_b32_e32 v23, 24
	v_cndmask_b32_e32 v6, v27, v6, vcc
	v_cndmask_b32_e32 v21, v21, v24, vcc
	v_lshlrev_b32_sdwa v23, v23, v7 dst_sel:DWORD dst_unused:UNUSED_PAD src0_sel:DWORD src1_sel:WORD_1
	v_bfrev_b32_e32 v24, 60
	v_lshlrev_b32_e32 v21, 20, v21
	v_and_b32_e32 v23, 0x80000000, v23
	v_lshl_add_u32 v6, v6, 23, v24
	v_or3_b32 v6, v23, v6, v21
	v_lshrrev_b32_e32 v21, 16, v6
.LBB867_633:
	s_or_b64 exec, exec, s[10:11]
.LBB867_634:
	s_or_b64 exec, exec, s[8:9]
.LBB867_635:
	s_or_b64 exec, exec, s[2:3]
	s_mov_b32 s2, 0xffffff
	v_cmp_lt_u32_e32 vcc, s2, v7
	s_and_saveexec_b64 s[2:3], vcc
	s_cbranch_execz .LBB867_641
; %bb.636:
	v_lshrrev_b32_e32 v6, 24, v7
	s_movk_i32 s7, 0x80
	v_cmp_ne_u32_e32 vcc, s7, v6
	v_mov_b32_e32 v20, 0xffff8000
	s_and_saveexec_b64 s[8:9], vcc
	s_cbranch_execz .LBB867_640
; %bb.637:
	v_bfe_u32 v7, v7, 24, 7
	s_movk_i32 s7, 0x7f
	v_cmp_ne_u32_e32 vcc, s7, v7
	v_mov_b32_e32 v20, 0x7f80
	s_and_saveexec_b64 s[10:11], vcc
	s_cbranch_execz .LBB867_639
; %bb.638:
	v_and_b32_e32 v20, 7, v6
	v_ffbh_u32_e32 v24, v20
	v_min_u32_e32 v27, 32, v24
	v_subrev_u32_e32 v24, 28, v27
	v_lshlrev_b64 v[24:25], v24, v[6:7]
	v_lshrrev_b32_e32 v23, 3, v7
	v_sub_u32_e32 v25, 29, v27
	v_and_b32_e32 v24, 7, v24
	v_cmp_gt_u32_e32 vcc, 8, v7
	v_cndmask_b32_e32 v7, v23, v25, vcc
	v_cndmask_b32_e32 v20, v20, v24, vcc
	v_lshlrev_b32_e32 v6, 24, v6
	v_bfrev_b32_e32 v23, 60
	v_lshlrev_b32_e32 v20, 20, v20
	v_and_b32_e32 v6, 0x80000000, v6
	v_lshl_add_u32 v7, v7, 23, v23
	v_or3_b32 v6, v6, v7, v20
	v_lshrrev_b32_e32 v20, 16, v6
.LBB867_639:
	s_or_b64 exec, exec, s[10:11]
.LBB867_640:
	s_or_b64 exec, exec, s[8:9]
.LBB867_641:
	s_or_b64 exec, exec, s[2:3]
	s_mov_b32 s2, 0x5040100
	v_perm_b32 v7, v17, v18, s2
	v_perm_b32 v6, v15, v16, s2
	ds_read_b128 v[28:31], v22 offset:4096
	v_perm_b32 v17, v20, v21, s2
	v_perm_b32 v16, v14, v19, s2
	s_waitcnt lgkmcnt(0)
	v_mfma_f32_16x16x16bf16_1k v[10:13], v[6:7], v[28:29], v[10:13]
	v_mov_b32_e32 v7, 0
	v_cmp_ne_u16_sdwa s[8:9], v8, v7 src0_sel:BYTE_0 src1_sel:DWORD
	v_mov_b32_e32 v14, 0
	v_mfma_f32_16x16x16bf16_1k v[10:13], v[16:17], v[30:31], v[10:13]
	s_and_saveexec_b64 s[2:3], s[8:9]
	s_cbranch_execz .LBB867_647
; %bb.642:
	s_movk_i32 s7, 0x80
	v_cmp_ne_u16_sdwa s[10:11], v8, s7 src0_sel:BYTE_0 src1_sel:DWORD
	v_mov_b32_e32 v14, 0xffff8000
	s_and_saveexec_b64 s[8:9], s[10:11]
	s_cbranch_execz .LBB867_646
; %bb.643:
	s_movk_i32 s7, 0x7f
	v_and_b32_e32 v6, 0x7f, v8
	v_cmp_ne_u32_e32 vcc, s7, v6
	v_mov_b32_e32 v14, 0x7f80
	s_and_saveexec_b64 s[10:11], vcc
	s_cbranch_execz .LBB867_645
; %bb.644:
	v_and_b32_e32 v16, 7, v8
	v_ffbh_u32_e32 v14, v16
	v_min_u32_e32 v18, 32, v14
	v_subrev_u32_e32 v14, 28, v18
	v_lshlrev_b64 v[14:15], v14, v[8:9]
	v_lshrrev_b32_e32 v17, 3, v6
	v_sub_u32_e32 v15, 29, v18
	v_and_b32_e32 v14, 7, v14
	v_cmp_gt_u32_e32 vcc, 8, v6
	v_cndmask_b32_e32 v6, v17, v15, vcc
	v_cndmask_b32_e32 v14, v16, v14, vcc
	v_lshlrev_b32_e32 v15, 24, v8
	v_bfrev_b32_e32 v16, 60
	v_lshlrev_b32_e32 v14, 20, v14
	v_and_b32_e32 v15, 0x80000000, v15
	v_lshl_add_u32 v6, v6, 23, v16
	v_or3_b32 v6, v15, v6, v14
	v_lshrrev_b32_e32 v14, 16, v6
.LBB867_645:
	s_or_b64 exec, exec, s[10:11]
.LBB867_646:
	s_or_b64 exec, exec, s[8:9]
.LBB867_647:
	s_or_b64 exec, exec, s[2:3]
	v_lshrrev_b16_e32 v6, 8, v8
	v_cmp_ne_u16_e32 vcc, 0, v6
	s_and_saveexec_b64 s[2:3], vcc
	s_cbranch_execz .LBB867_653
; %bb.648:
	s_movk_i32 s7, 0x80
	v_cmp_ne_u16_e32 vcc, s7, v6
	v_mov_b32_e32 v7, 0xffff8000
	s_and_saveexec_b64 s[8:9], vcc
	s_cbranch_execz .LBB867_652
; %bb.649:
	s_movk_i32 s7, 0x7f
	v_and_b32_e32 v15, 0x7f, v6
	v_cmp_ne_u32_e32 vcc, s7, v15
	v_mov_b32_e32 v7, 0x7f80
	s_and_saveexec_b64 s[10:11], vcc
	s_cbranch_execz .LBB867_651
; %bb.650:
	v_and_b32_e32 v16, 7, v6
	v_ffbh_u32_e32 v7, v16
	v_min_u32_e32 v18, 32, v7
	v_subrev_u32_e32 v7, 28, v18
	v_lshlrev_b64 v[6:7], v7, v[6:7]
	v_lshrrev_b32_e32 v17, 3, v15
	v_sub_u32_e32 v7, 29, v18
	v_and_b32_e32 v6, 7, v6
	v_cmp_gt_u32_e32 vcc, 8, v15
	v_cndmask_b32_e32 v7, v17, v7, vcc
	v_cndmask_b32_e32 v6, v16, v6, vcc
	v_lshlrev_b32_e32 v15, 16, v8
	v_bfrev_b32_e32 v16, 60
	v_lshlrev_b32_e32 v6, 20, v6
	v_and_b32_e32 v15, 0x80000000, v15
	v_lshl_add_u32 v7, v7, 23, v16
	v_or3_b32 v6, v15, v7, v6
	v_lshrrev_b32_e32 v7, 16, v6
.LBB867_651:
	s_or_b64 exec, exec, s[10:11]
.LBB867_652:
	s_or_b64 exec, exec, s[8:9]
.LBB867_653:
	s_or_b64 exec, exec, s[2:3]
	s_movk_i32 s2, 0xff
	v_and_b32_sdwa v17, v8, s2 dst_sel:DWORD dst_unused:UNUSED_PAD src0_sel:WORD_1 src1_sel:DWORD
	v_lshrrev_b32_e32 v6, 16, v8
	v_cmp_ne_u16_e32 vcc, 0, v17
	v_mov_b32_e32 v15, 0
	v_mov_b32_e32 v16, 0
	s_and_saveexec_b64 s[2:3], vcc
	s_cbranch_execz .LBB867_659
; %bb.654:
	s_movk_i32 s7, 0x80
	v_cmp_ne_u16_e32 vcc, s7, v17
	v_mov_b32_e32 v16, 0xffff8000
	s_and_saveexec_b64 s[8:9], vcc
	s_cbranch_execz .LBB867_658
; %bb.655:
	v_bfe_u32 v17, v8, 16, 7
	s_movk_i32 s7, 0x7f
	v_cmp_ne_u32_e32 vcc, s7, v17
	v_mov_b32_e32 v16, 0x7f80
	s_and_saveexec_b64 s[10:11], vcc
	s_cbranch_execz .LBB867_657
; %bb.656:
	v_and_b32_e32 v16, 7, v6
	v_ffbh_u32_e32 v18, v16
	v_min_u32_e32 v21, 32, v18
	v_subrev_u32_e32 v18, 28, v21
	v_lshlrev_b64 v[18:19], v18, v[6:7]
	v_lshrrev_b32_e32 v20, 3, v17
	v_sub_u32_e32 v6, 29, v21
	v_and_b32_e32 v18, 7, v18
	v_cmp_gt_u32_e32 vcc, 8, v17
	v_mov_b32_e32 v17, 24
	v_cndmask_b32_e32 v6, v20, v6, vcc
	v_cndmask_b32_e32 v16, v16, v18, vcc
	v_lshlrev_b32_sdwa v17, v17, v8 dst_sel:DWORD dst_unused:UNUSED_PAD src0_sel:DWORD src1_sel:WORD_1
	v_bfrev_b32_e32 v18, 60
	v_lshlrev_b32_e32 v16, 20, v16
	v_and_b32_e32 v17, 0x80000000, v17
	v_lshl_add_u32 v6, v6, 23, v18
	v_or3_b32 v6, v17, v6, v16
	v_lshrrev_b32_e32 v16, 16, v6
.LBB867_657:
	s_or_b64 exec, exec, s[10:11]
.LBB867_658:
	s_or_b64 exec, exec, s[8:9]
.LBB867_659:
	s_or_b64 exec, exec, s[2:3]
	s_mov_b32 s2, 0xffffff
	v_cmp_lt_u32_e32 vcc, s2, v8
	s_and_saveexec_b64 s[2:3], vcc
	s_cbranch_execz .LBB867_665
; %bb.660:
	v_lshrrev_b32_e32 v6, 24, v8
	s_movk_i32 s7, 0x80
	v_cmp_ne_u32_e32 vcc, s7, v6
	v_mov_b32_e32 v15, 0xffff8000
	s_and_saveexec_b64 s[8:9], vcc
	s_cbranch_execz .LBB867_664
; %bb.661:
	v_bfe_u32 v8, v8, 24, 7
	s_movk_i32 s7, 0x7f
	v_cmp_ne_u32_e32 vcc, s7, v8
	v_mov_b32_e32 v15, 0x7f80
	s_and_saveexec_b64 s[10:11], vcc
	s_cbranch_execz .LBB867_663
; %bb.662:
	v_and_b32_e32 v15, 7, v6
	v_ffbh_u32_e32 v18, v15
	v_min_u32_e32 v20, 32, v18
	v_subrev_u32_e32 v18, 28, v20
	v_lshlrev_b64 v[18:19], v18, v[6:7]
	v_lshrrev_b32_e32 v17, 3, v8
	v_sub_u32_e32 v19, 29, v20
	v_and_b32_e32 v18, 7, v18
	v_cmp_gt_u32_e32 vcc, 8, v8
	v_cndmask_b32_e32 v8, v17, v19, vcc
	v_cndmask_b32_e32 v15, v15, v18, vcc
	v_lshlrev_b32_e32 v6, 24, v6
	v_bfrev_b32_e32 v17, 60
	v_lshlrev_b32_e32 v15, 20, v15
	v_and_b32_e32 v6, 0x80000000, v6
	v_lshl_add_u32 v8, v8, 23, v17
	v_or3_b32 v6, v6, v8, v15
	v_lshrrev_b32_e32 v15, 16, v6
.LBB867_663:
	s_or_b64 exec, exec, s[10:11]
.LBB867_664:
	s_or_b64 exec, exec, s[8:9]
.LBB867_665:
	s_or_b64 exec, exec, s[2:3]
	v_mov_b32_e32 v8, 0
	v_cmp_ne_u16_sdwa s[8:9], v9, v8 src0_sel:BYTE_0 src1_sel:DWORD
	v_mov_b32_e32 v17, 0
	s_and_saveexec_b64 s[2:3], s[8:9]
	s_cbranch_execz .LBB867_671
; %bb.666:
	s_movk_i32 s7, 0x80
	v_cmp_ne_u16_sdwa s[10:11], v9, s7 src0_sel:BYTE_0 src1_sel:DWORD
	v_mov_b32_e32 v17, 0xffff8000
	s_and_saveexec_b64 s[8:9], s[10:11]
	s_cbranch_execz .LBB867_670
; %bb.667:
	s_movk_i32 s7, 0x7f
	v_and_b32_e32 v6, 0x7f, v9
	v_cmp_ne_u32_e32 vcc, s7, v6
	v_mov_b32_e32 v17, 0x7f80
	s_and_saveexec_b64 s[10:11], vcc
	s_cbranch_execz .LBB867_669
; %bb.668:
	v_and_b32_e32 v17, 7, v9
	v_ffbh_u32_e32 v19, v17
	v_min_u32_e32 v21, 32, v19
	v_mov_b32_e32 v18, v9
	v_subrev_u32_e32 v19, 28, v21
	v_lshlrev_b64 v[18:19], v19, v[18:19]
	v_lshrrev_b32_e32 v20, 3, v6
	v_sub_u32_e32 v19, 29, v21
	v_and_b32_e32 v18, 7, v18
	v_cmp_gt_u32_e32 vcc, 8, v6
	v_cndmask_b32_e32 v6, v20, v19, vcc
	v_cndmask_b32_e32 v17, v17, v18, vcc
	v_lshlrev_b32_e32 v18, 24, v9
	v_bfrev_b32_e32 v19, 60
	v_lshlrev_b32_e32 v17, 20, v17
	v_and_b32_e32 v18, 0x80000000, v18
	v_lshl_add_u32 v6, v6, 23, v19
	v_or3_b32 v6, v18, v6, v17
	v_lshrrev_b32_e32 v17, 16, v6
.LBB867_669:
	s_or_b64 exec, exec, s[10:11]
.LBB867_670:
	s_or_b64 exec, exec, s[8:9]
.LBB867_671:
	s_or_b64 exec, exec, s[2:3]
	v_lshrrev_b16_e32 v6, 8, v9
	v_cmp_ne_u16_e32 vcc, 0, v6
	s_and_saveexec_b64 s[2:3], vcc
	s_cbranch_execz .LBB867_677
; %bb.672:
	s_movk_i32 s7, 0x80
	v_cmp_ne_u16_e32 vcc, s7, v6
	v_mov_b32_e32 v8, 0xffff8000
	s_and_saveexec_b64 s[8:9], vcc
	s_cbranch_execz .LBB867_676
; %bb.673:
	s_movk_i32 s7, 0x7f
	v_and_b32_e32 v18, 0x7f, v6
	v_cmp_ne_u32_e32 vcc, s7, v18
	v_mov_b32_e32 v8, 0x7f80
	s_and_saveexec_b64 s[10:11], vcc
	s_cbranch_execz .LBB867_675
; %bb.674:
	v_and_b32_e32 v8, 7, v6
	v_ffbh_u32_e32 v20, v8
	v_min_u32_e32 v23, 32, v20
	v_subrev_u32_e32 v20, 28, v23
	v_lshlrev_b64 v[20:21], v20, v[6:7]
	v_lshrrev_b32_e32 v19, 3, v18
	v_sub_u32_e32 v6, 29, v23
	v_and_b32_e32 v20, 7, v20
	v_cmp_gt_u32_e32 vcc, 8, v18
	v_cndmask_b32_e32 v6, v19, v6, vcc
	v_cndmask_b32_e32 v8, v8, v20, vcc
	v_lshlrev_b32_e32 v18, 16, v9
	v_bfrev_b32_e32 v19, 60
	v_lshlrev_b32_e32 v8, 20, v8
	v_and_b32_e32 v18, 0x80000000, v18
	v_lshl_add_u32 v6, v6, 23, v19
	v_or3_b32 v6, v18, v6, v8
	v_lshrrev_b32_e32 v8, 16, v6
.LBB867_675:
	s_or_b64 exec, exec, s[10:11]
.LBB867_676:
	s_or_b64 exec, exec, s[8:9]
.LBB867_677:
	s_or_b64 exec, exec, s[2:3]
	s_movk_i32 s2, 0xff
	v_and_b32_sdwa v20, v9, s2 dst_sel:DWORD dst_unused:UNUSED_PAD src0_sel:WORD_1 src1_sel:DWORD
	v_lshrrev_b32_e32 v6, 16, v9
	v_cmp_ne_u16_e32 vcc, 0, v20
	v_mov_b32_e32 v18, 0
	v_mov_b32_e32 v19, 0
	s_and_saveexec_b64 s[2:3], vcc
	s_cbranch_execz .LBB867_683
; %bb.678:
	s_movk_i32 s7, 0x80
	v_cmp_ne_u16_e32 vcc, s7, v20
	v_mov_b32_e32 v19, 0xffff8000
	s_and_saveexec_b64 s[8:9], vcc
	s_cbranch_execz .LBB867_682
; %bb.679:
	v_bfe_u32 v20, v9, 16, 7
	s_movk_i32 s7, 0x7f
	v_cmp_ne_u32_e32 vcc, s7, v20
	v_mov_b32_e32 v19, 0x7f80
	s_and_saveexec_b64 s[10:11], vcc
	s_cbranch_execz .LBB867_681
; %bb.680:
	v_and_b32_e32 v19, 7, v6
	v_ffbh_u32_e32 v23, v19
	v_min_u32_e32 v23, 32, v23
	v_subrev_u32_e32 v24, 28, v23
	v_lshlrev_b64 v[24:25], v24, v[6:7]
	v_lshrrev_b32_e32 v21, 3, v20
	v_sub_u32_e32 v6, 29, v23
	v_and_b32_e32 v23, 7, v24
	v_cmp_gt_u32_e32 vcc, 8, v20
	v_mov_b32_e32 v20, 24
	v_cndmask_b32_e32 v6, v21, v6, vcc
	v_cndmask_b32_e32 v19, v19, v23, vcc
	v_lshlrev_b32_sdwa v20, v20, v9 dst_sel:DWORD dst_unused:UNUSED_PAD src0_sel:DWORD src1_sel:WORD_1
	v_bfrev_b32_e32 v21, 60
	v_lshlrev_b32_e32 v19, 20, v19
	v_and_b32_e32 v20, 0x80000000, v20
	v_lshl_add_u32 v6, v6, 23, v21
	v_or3_b32 v6, v20, v6, v19
	v_lshrrev_b32_e32 v19, 16, v6
.LBB867_681:
	s_or_b64 exec, exec, s[10:11]
.LBB867_682:
	s_or_b64 exec, exec, s[8:9]
.LBB867_683:
	s_or_b64 exec, exec, s[2:3]
	s_mov_b32 s2, 0xffffff
	v_cmp_lt_u32_e32 vcc, s2, v9
	s_and_saveexec_b64 s[2:3], vcc
	s_cbranch_execz .LBB867_689
; %bb.684:
	v_lshrrev_b32_e32 v6, 24, v9
	s_movk_i32 s7, 0x80
	v_cmp_ne_u32_e32 vcc, s7, v6
	v_mov_b32_e32 v18, 0xffff8000
	s_and_saveexec_b64 s[8:9], vcc
	s_cbranch_execz .LBB867_688
; %bb.685:
	v_bfe_u32 v9, v9, 24, 7
	s_movk_i32 s7, 0x7f
	v_cmp_ne_u32_e32 vcc, s7, v9
	v_mov_b32_e32 v18, 0x7f80
	s_and_saveexec_b64 s[10:11], vcc
	s_cbranch_execz .LBB867_687
; %bb.686:
	v_and_b32_e32 v18, 7, v6
	v_ffbh_u32_e32 v20, v18
	v_min_u32_e32 v24, 32, v20
	v_subrev_u32_e32 v20, 28, v24
	v_lshlrev_b64 v[20:21], v20, v[6:7]
	v_lshrrev_b32_e32 v23, 3, v9
	v_sub_u32_e32 v21, 29, v24
	v_and_b32_e32 v20, 7, v20
	v_cmp_gt_u32_e32 vcc, 8, v9
	v_cndmask_b32_e32 v9, v23, v21, vcc
	v_cndmask_b32_e32 v18, v18, v20, vcc
	v_lshlrev_b32_e32 v6, 24, v6
	v_bfrev_b32_e32 v20, 60
	v_lshlrev_b32_e32 v18, 20, v18
	v_and_b32_e32 v6, 0x80000000, v6
	v_lshl_add_u32 v9, v9, 23, v20
	v_or3_b32 v6, v6, v9, v18
	v_lshrrev_b32_e32 v18, 16, v6
.LBB867_687:
	s_or_b64 exec, exec, s[10:11]
.LBB867_688:
	s_or_b64 exec, exec, s[8:9]
.LBB867_689:
	s_or_b64 exec, exec, s[2:3]
	s_mov_b32 s2, 0x5040100
	v_perm_b32 v15, v15, v16, s2
	v_perm_b32 v14, v7, v14, s2
	ds_read_b128 v[28:31], v22 offset:4112
	v_perm_b32 v7, v18, v19, s2
	v_perm_b32 v6, v8, v17, s2
	s_waitcnt lgkmcnt(0)
	v_mfma_f32_16x16x16bf16_1k v[32:35], v[14:15], v[28:29], v[10:13]
	s_nop 6
	v_mov_b32_e32 v11, 0
	s_waitcnt vmcnt(0)
	v_cmp_ne_u16_sdwa s[8:9], v2, v11 src0_sel:BYTE_0 src1_sel:DWORD
	v_mfma_f32_16x16x16bf16_1k v[6:9], v[6:7], v[30:31], v[32:35]
	v_mov_b32_e32 v12, 0
	s_and_saveexec_b64 s[2:3], s[8:9]
	s_cbranch_execz .LBB867_695
; %bb.690:
	s_movk_i32 s7, 0x80
	v_cmp_ne_u16_sdwa s[10:11], v2, s7 src0_sel:BYTE_0 src1_sel:DWORD
	v_mov_b32_e32 v12, 0xffff8000
	s_and_saveexec_b64 s[8:9], s[10:11]
	s_cbranch_execz .LBB867_694
; %bb.691:
	s_movk_i32 s7, 0x7f
	v_and_b32_e32 v10, 0x7f, v2
	v_cmp_ne_u32_e32 vcc, s7, v10
	v_mov_b32_e32 v12, 0x7f80
	s_and_saveexec_b64 s[10:11], vcc
	s_cbranch_execz .LBB867_693
; %bb.692:
	v_and_b32_e32 v14, 7, v2
	v_ffbh_u32_e32 v12, v14
	v_min_u32_e32 v16, 32, v12
	v_subrev_u32_e32 v12, 28, v16
	v_lshlrev_b64 v[12:13], v12, v[2:3]
	v_lshrrev_b32_e32 v15, 3, v10
	v_sub_u32_e32 v13, 29, v16
	v_and_b32_e32 v12, 7, v12
	v_cmp_gt_u32_e32 vcc, 8, v10
	v_cndmask_b32_e32 v10, v15, v13, vcc
	v_cndmask_b32_e32 v12, v14, v12, vcc
	v_lshlrev_b32_e32 v13, 24, v2
	v_bfrev_b32_e32 v14, 60
	v_lshlrev_b32_e32 v12, 20, v12
	v_and_b32_e32 v13, 0x80000000, v13
	v_lshl_add_u32 v10, v10, 23, v14
	v_or3_b32 v10, v13, v10, v12
	v_lshrrev_b32_e32 v12, 16, v10
.LBB867_693:
	s_or_b64 exec, exec, s[10:11]
.LBB867_694:
	s_or_b64 exec, exec, s[8:9]
.LBB867_695:
	s_or_b64 exec, exec, s[2:3]
	v_lshrrev_b16_e32 v10, 8, v2
	v_cmp_ne_u16_e32 vcc, 0, v10
	s_and_saveexec_b64 s[2:3], vcc
	s_cbranch_execz .LBB867_701
; %bb.696:
	s_movk_i32 s7, 0x80
	v_cmp_ne_u16_e32 vcc, s7, v10
	v_mov_b32_e32 v11, 0xffff8000
	s_and_saveexec_b64 s[8:9], vcc
	s_cbranch_execz .LBB867_700
; %bb.697:
	s_movk_i32 s7, 0x7f
	v_and_b32_e32 v13, 0x7f, v10
	v_cmp_ne_u32_e32 vcc, s7, v13
	v_mov_b32_e32 v11, 0x7f80
	s_and_saveexec_b64 s[10:11], vcc
	s_cbranch_execz .LBB867_699
; %bb.698:
	v_and_b32_e32 v14, 7, v10
	v_ffbh_u32_e32 v11, v14
	v_min_u32_e32 v16, 32, v11
	v_subrev_u32_e32 v11, 28, v16
	v_lshlrev_b64 v[10:11], v11, v[10:11]
	v_lshrrev_b32_e32 v15, 3, v13
	v_sub_u32_e32 v11, 29, v16
	v_and_b32_e32 v10, 7, v10
	v_cmp_gt_u32_e32 vcc, 8, v13
	v_cndmask_b32_e32 v11, v15, v11, vcc
	v_cndmask_b32_e32 v10, v14, v10, vcc
	v_lshlrev_b32_e32 v13, 16, v2
	v_bfrev_b32_e32 v14, 60
	v_lshlrev_b32_e32 v10, 20, v10
	v_and_b32_e32 v13, 0x80000000, v13
	v_lshl_add_u32 v11, v11, 23, v14
	v_or3_b32 v10, v13, v11, v10
	v_lshrrev_b32_e32 v11, 16, v10
.LBB867_699:
	s_or_b64 exec, exec, s[10:11]
.LBB867_700:
	s_or_b64 exec, exec, s[8:9]
.LBB867_701:
	s_or_b64 exec, exec, s[2:3]
	s_movk_i32 s2, 0xff
	v_and_b32_sdwa v15, v2, s2 dst_sel:DWORD dst_unused:UNUSED_PAD src0_sel:WORD_1 src1_sel:DWORD
	v_lshrrev_b32_e32 v10, 16, v2
	v_cmp_ne_u16_e32 vcc, 0, v15
	v_mov_b32_e32 v13, 0
	v_mov_b32_e32 v14, 0
	s_and_saveexec_b64 s[2:3], vcc
	s_cbranch_execz .LBB867_707
; %bb.702:
	s_movk_i32 s7, 0x80
	v_cmp_ne_u16_e32 vcc, s7, v15
	v_mov_b32_e32 v14, 0xffff8000
	s_and_saveexec_b64 s[8:9], vcc
	s_cbranch_execz .LBB867_706
; %bb.703:
	v_bfe_u32 v15, v2, 16, 7
	s_movk_i32 s7, 0x7f
	v_cmp_ne_u32_e32 vcc, s7, v15
	v_mov_b32_e32 v14, 0x7f80
	s_and_saveexec_b64 s[10:11], vcc
	s_cbranch_execz .LBB867_705
; %bb.704:
	v_and_b32_e32 v14, 7, v10
	v_ffbh_u32_e32 v16, v14
	v_min_u32_e32 v19, 32, v16
	v_subrev_u32_e32 v16, 28, v19
	v_lshlrev_b64 v[16:17], v16, v[10:11]
	v_lshrrev_b32_e32 v18, 3, v15
	v_sub_u32_e32 v10, 29, v19
	v_and_b32_e32 v16, 7, v16
	v_cmp_gt_u32_e32 vcc, 8, v15
	v_mov_b32_e32 v15, 24
	v_cndmask_b32_e32 v10, v18, v10, vcc
	v_cndmask_b32_e32 v14, v14, v16, vcc
	v_lshlrev_b32_sdwa v15, v15, v2 dst_sel:DWORD dst_unused:UNUSED_PAD src0_sel:DWORD src1_sel:WORD_1
	v_bfrev_b32_e32 v16, 60
	v_lshlrev_b32_e32 v14, 20, v14
	v_and_b32_e32 v15, 0x80000000, v15
	v_lshl_add_u32 v10, v10, 23, v16
	v_or3_b32 v10, v15, v10, v14
	v_lshrrev_b32_e32 v14, 16, v10
.LBB867_705:
	s_or_b64 exec, exec, s[10:11]
.LBB867_706:
	s_or_b64 exec, exec, s[8:9]
.LBB867_707:
	s_or_b64 exec, exec, s[2:3]
	s_mov_b32 s2, 0xffffff
	v_cmp_lt_u32_e32 vcc, s2, v2
	s_and_saveexec_b64 s[2:3], vcc
	s_cbranch_execz .LBB867_713
; %bb.708:
	v_lshrrev_b32_e32 v10, 24, v2
	s_movk_i32 s7, 0x80
	v_cmp_ne_u32_e32 vcc, s7, v10
	v_mov_b32_e32 v13, 0xffff8000
	s_and_saveexec_b64 s[8:9], vcc
	s_cbranch_execz .LBB867_712
; %bb.709:
	v_bfe_u32 v2, v2, 24, 7
	s_movk_i32 s7, 0x7f
	v_cmp_ne_u32_e32 vcc, s7, v2
	v_mov_b32_e32 v13, 0x7f80
	s_and_saveexec_b64 s[10:11], vcc
	s_cbranch_execz .LBB867_711
; %bb.710:
	v_and_b32_e32 v13, 7, v10
	v_ffbh_u32_e32 v16, v13
	v_min_u32_e32 v18, 32, v16
	v_subrev_u32_e32 v16, 28, v18
	v_lshlrev_b64 v[16:17], v16, v[10:11]
	v_lshrrev_b32_e32 v15, 3, v2
	v_sub_u32_e32 v17, 29, v18
	v_and_b32_e32 v16, 7, v16
	v_cmp_gt_u32_e32 vcc, 8, v2
	v_cndmask_b32_e32 v2, v15, v17, vcc
	v_cndmask_b32_e32 v13, v13, v16, vcc
	v_lshlrev_b32_e32 v10, 24, v10
	v_bfrev_b32_e32 v15, 60
	v_lshlrev_b32_e32 v13, 20, v13
	v_and_b32_e32 v10, 0x80000000, v10
	v_lshl_add_u32 v2, v2, 23, v15
	v_or3_b32 v2, v10, v2, v13
	v_lshrrev_b32_e32 v13, 16, v2
.LBB867_711:
	s_or_b64 exec, exec, s[10:11]
.LBB867_712:
	s_or_b64 exec, exec, s[8:9]
.LBB867_713:
	s_or_b64 exec, exec, s[2:3]
	v_mov_b32_e32 v10, 0
	v_cmp_ne_u16_sdwa s[8:9], v3, v10 src0_sel:BYTE_0 src1_sel:DWORD
	v_mov_b32_e32 v15, 0
	s_and_saveexec_b64 s[2:3], s[8:9]
	s_cbranch_execz .LBB867_719
; %bb.714:
	s_movk_i32 s7, 0x80
	v_cmp_ne_u16_sdwa s[10:11], v3, s7 src0_sel:BYTE_0 src1_sel:DWORD
	v_mov_b32_e32 v15, 0xffff8000
	s_and_saveexec_b64 s[8:9], s[10:11]
	s_cbranch_execz .LBB867_718
; %bb.715:
	s_movk_i32 s7, 0x7f
	v_and_b32_e32 v2, 0x7f, v3
	v_cmp_ne_u32_e32 vcc, s7, v2
	v_mov_b32_e32 v15, 0x7f80
	s_and_saveexec_b64 s[10:11], vcc
	s_cbranch_execz .LBB867_717
; %bb.716:
	v_and_b32_e32 v15, 7, v3
	v_ffbh_u32_e32 v17, v15
	v_min_u32_e32 v19, 32, v17
	v_mov_b32_e32 v16, v3
	v_subrev_u32_e32 v17, 28, v19
	v_lshlrev_b64 v[16:17], v17, v[16:17]
	v_lshrrev_b32_e32 v18, 3, v2
	v_sub_u32_e32 v17, 29, v19
	v_and_b32_e32 v16, 7, v16
	v_cmp_gt_u32_e32 vcc, 8, v2
	v_cndmask_b32_e32 v2, v18, v17, vcc
	v_cndmask_b32_e32 v15, v15, v16, vcc
	v_lshlrev_b32_e32 v16, 24, v3
	v_bfrev_b32_e32 v17, 60
	v_lshlrev_b32_e32 v15, 20, v15
	v_and_b32_e32 v16, 0x80000000, v16
	v_lshl_add_u32 v2, v2, 23, v17
	v_or3_b32 v2, v16, v2, v15
	v_lshrrev_b32_e32 v15, 16, v2
.LBB867_717:
	s_or_b64 exec, exec, s[10:11]
.LBB867_718:
	s_or_b64 exec, exec, s[8:9]
.LBB867_719:
	s_or_b64 exec, exec, s[2:3]
	v_lshrrev_b16_e32 v2, 8, v3
	v_cmp_ne_u16_e32 vcc, 0, v2
	s_and_saveexec_b64 s[2:3], vcc
	s_cbranch_execz .LBB867_725
; %bb.720:
	s_movk_i32 s7, 0x80
	v_cmp_ne_u16_e32 vcc, s7, v2
	v_mov_b32_e32 v10, 0xffff8000
	s_and_saveexec_b64 s[8:9], vcc
	s_cbranch_execz .LBB867_724
; %bb.721:
	s_movk_i32 s7, 0x7f
	v_and_b32_e32 v16, 0x7f, v2
	v_cmp_ne_u32_e32 vcc, s7, v16
	v_mov_b32_e32 v10, 0x7f80
	s_and_saveexec_b64 s[10:11], vcc
	s_cbranch_execz .LBB867_723
; %bb.722:
	v_and_b32_e32 v10, 7, v2
	v_ffbh_u32_e32 v18, v10
	v_min_u32_e32 v20, 32, v18
	v_subrev_u32_e32 v18, 28, v20
	v_lshlrev_b64 v[18:19], v18, v[2:3]
	v_lshrrev_b32_e32 v17, 3, v16
	v_sub_u32_e32 v2, 29, v20
	v_and_b32_e32 v18, 7, v18
	v_cmp_gt_u32_e32 vcc, 8, v16
	v_cndmask_b32_e32 v2, v17, v2, vcc
	v_cndmask_b32_e32 v10, v10, v18, vcc
	v_lshlrev_b32_e32 v16, 16, v3
	v_bfrev_b32_e32 v17, 60
	v_lshlrev_b32_e32 v10, 20, v10
	v_and_b32_e32 v16, 0x80000000, v16
	v_lshl_add_u32 v2, v2, 23, v17
	v_or3_b32 v2, v16, v2, v10
	v_lshrrev_b32_e32 v10, 16, v2
.LBB867_723:
	s_or_b64 exec, exec, s[10:11]
.LBB867_724:
	s_or_b64 exec, exec, s[8:9]
.LBB867_725:
	s_or_b64 exec, exec, s[2:3]
	s_movk_i32 s2, 0xff
	v_and_b32_sdwa v18, v3, s2 dst_sel:DWORD dst_unused:UNUSED_PAD src0_sel:WORD_1 src1_sel:DWORD
	v_lshrrev_b32_e32 v2, 16, v3
	v_cmp_ne_u16_e32 vcc, 0, v18
	v_mov_b32_e32 v16, 0
	v_mov_b32_e32 v17, 0
	s_and_saveexec_b64 s[2:3], vcc
	s_cbranch_execz .LBB867_731
; %bb.726:
	s_movk_i32 s7, 0x80
	v_cmp_ne_u16_e32 vcc, s7, v18
	v_mov_b32_e32 v17, 0xffff8000
	s_and_saveexec_b64 s[8:9], vcc
	s_cbranch_execz .LBB867_730
; %bb.727:
	v_bfe_u32 v18, v3, 16, 7
	s_movk_i32 s7, 0x7f
	v_cmp_ne_u32_e32 vcc, s7, v18
	v_mov_b32_e32 v17, 0x7f80
	s_and_saveexec_b64 s[10:11], vcc
	s_cbranch_execz .LBB867_729
; %bb.728:
	v_and_b32_e32 v17, 7, v2
	v_ffbh_u32_e32 v20, v17
	v_min_u32_e32 v23, 32, v20
	v_subrev_u32_e32 v20, 28, v23
	v_lshlrev_b64 v[20:21], v20, v[2:3]
	v_lshrrev_b32_e32 v19, 3, v18
	v_sub_u32_e32 v2, 29, v23
	v_and_b32_e32 v20, 7, v20
	v_cmp_gt_u32_e32 vcc, 8, v18
	v_mov_b32_e32 v18, 24
	v_cndmask_b32_e32 v2, v19, v2, vcc
	v_cndmask_b32_e32 v17, v17, v20, vcc
	v_lshlrev_b32_sdwa v18, v18, v3 dst_sel:DWORD dst_unused:UNUSED_PAD src0_sel:DWORD src1_sel:WORD_1
	v_bfrev_b32_e32 v19, 60
	v_lshlrev_b32_e32 v17, 20, v17
	v_and_b32_e32 v18, 0x80000000, v18
	v_lshl_add_u32 v2, v2, 23, v19
	v_or3_b32 v2, v18, v2, v17
	v_lshrrev_b32_e32 v17, 16, v2
.LBB867_729:
	s_or_b64 exec, exec, s[10:11]
.LBB867_730:
	s_or_b64 exec, exec, s[8:9]
.LBB867_731:
	s_or_b64 exec, exec, s[2:3]
	s_mov_b32 s2, 0xffffff
	v_cmp_lt_u32_e32 vcc, s2, v3
	s_and_saveexec_b64 s[2:3], vcc
	s_cbranch_execz .LBB867_737
; %bb.732:
	v_lshrrev_b32_e32 v2, 24, v3
	s_movk_i32 s7, 0x80
	v_cmp_ne_u32_e32 vcc, s7, v2
	v_mov_b32_e32 v16, 0xffff8000
	s_and_saveexec_b64 s[8:9], vcc
	s_cbranch_execz .LBB867_736
; %bb.733:
	v_bfe_u32 v3, v3, 24, 7
	s_movk_i32 s7, 0x7f
	v_cmp_ne_u32_e32 vcc, s7, v3
	v_mov_b32_e32 v16, 0x7f80
	s_and_saveexec_b64 s[10:11], vcc
	s_cbranch_execz .LBB867_735
; %bb.734:
	v_and_b32_e32 v16, 7, v2
	v_ffbh_u32_e32 v18, v16
	v_min_u32_e32 v21, 32, v18
	v_subrev_u32_e32 v18, 28, v21
	v_lshlrev_b64 v[18:19], v18, v[2:3]
	v_lshrrev_b32_e32 v20, 3, v3
	v_sub_u32_e32 v19, 29, v21
	v_and_b32_e32 v18, 7, v18
	v_cmp_gt_u32_e32 vcc, 8, v3
	v_cndmask_b32_e32 v3, v20, v19, vcc
	v_cndmask_b32_e32 v16, v16, v18, vcc
	v_lshlrev_b32_e32 v2, 24, v2
	v_bfrev_b32_e32 v18, 60
	v_lshlrev_b32_e32 v16, 20, v16
	v_and_b32_e32 v2, 0x80000000, v2
	v_lshl_add_u32 v3, v3, 23, v18
	v_or3_b32 v2, v2, v3, v16
	v_lshrrev_b32_e32 v16, 16, v2
.LBB867_735:
	s_or_b64 exec, exec, s[10:11]
.LBB867_736:
	s_or_b64 exec, exec, s[8:9]
.LBB867_737:
	s_or_b64 exec, exec, s[2:3]
	s_mov_b32 s2, 0x5040100
	v_perm_b32 v3, v13, v14, s2
	v_perm_b32 v2, v11, v12, s2
	ds_read_b128 v[18:21], v22 offset:6144
	v_perm_b32 v13, v16, v17, s2
	v_perm_b32 v12, v10, v15, s2
	s_waitcnt lgkmcnt(0)
	v_mfma_f32_16x16x16bf16_1k v[6:9], v[2:3], v[18:19], v[6:9]
	v_mov_b32_e32 v3, 0
	v_cmp_ne_u16_sdwa s[8:9], v4, v3 src0_sel:BYTE_0 src1_sel:DWORD
	v_mov_b32_e32 v10, 0
	v_mfma_f32_16x16x16bf16_1k v[6:9], v[12:13], v[20:21], v[6:9]
	s_and_saveexec_b64 s[2:3], s[8:9]
	s_cbranch_execz .LBB867_743
; %bb.738:
	s_movk_i32 s7, 0x80
	v_cmp_ne_u16_sdwa s[10:11], v4, s7 src0_sel:BYTE_0 src1_sel:DWORD
	v_mov_b32_e32 v10, 0xffff8000
	s_and_saveexec_b64 s[8:9], s[10:11]
	s_cbranch_execz .LBB867_742
; %bb.739:
	s_movk_i32 s7, 0x7f
	v_and_b32_e32 v2, 0x7f, v4
	v_cmp_ne_u32_e32 vcc, s7, v2
	v_mov_b32_e32 v10, 0x7f80
	s_and_saveexec_b64 s[10:11], vcc
	s_cbranch_execz .LBB867_741
; %bb.740:
	v_and_b32_e32 v12, 7, v4
	v_ffbh_u32_e32 v10, v12
	v_min_u32_e32 v14, 32, v10
	v_subrev_u32_e32 v10, 28, v14
	v_lshlrev_b64 v[10:11], v10, v[4:5]
	v_lshrrev_b32_e32 v13, 3, v2
	v_sub_u32_e32 v11, 29, v14
	v_and_b32_e32 v10, 7, v10
	v_cmp_gt_u32_e32 vcc, 8, v2
	v_cndmask_b32_e32 v2, v13, v11, vcc
	v_cndmask_b32_e32 v10, v12, v10, vcc
	v_lshlrev_b32_e32 v11, 24, v4
	v_bfrev_b32_e32 v12, 60
	v_lshlrev_b32_e32 v10, 20, v10
	v_and_b32_e32 v11, 0x80000000, v11
	v_lshl_add_u32 v2, v2, 23, v12
	v_or3_b32 v2, v11, v2, v10
	v_lshrrev_b32_e32 v10, 16, v2
.LBB867_741:
	s_or_b64 exec, exec, s[10:11]
.LBB867_742:
	s_or_b64 exec, exec, s[8:9]
.LBB867_743:
	s_or_b64 exec, exec, s[2:3]
	v_lshrrev_b16_e32 v2, 8, v4
	v_cmp_ne_u16_e32 vcc, 0, v2
	s_and_saveexec_b64 s[2:3], vcc
	s_cbranch_execz .LBB867_749
; %bb.744:
	s_movk_i32 s7, 0x80
	v_cmp_ne_u16_e32 vcc, s7, v2
	v_mov_b32_e32 v3, 0xffff8000
	s_and_saveexec_b64 s[8:9], vcc
	s_cbranch_execz .LBB867_748
; %bb.745:
	s_movk_i32 s7, 0x7f
	v_and_b32_e32 v11, 0x7f, v2
	v_cmp_ne_u32_e32 vcc, s7, v11
	v_mov_b32_e32 v3, 0x7f80
	s_and_saveexec_b64 s[10:11], vcc
	s_cbranch_execz .LBB867_747
; %bb.746:
	v_and_b32_e32 v12, 7, v2
	v_ffbh_u32_e32 v3, v12
	v_min_u32_e32 v14, 32, v3
	v_subrev_u32_e32 v3, 28, v14
	v_lshlrev_b64 v[2:3], v3, v[2:3]
	v_lshrrev_b32_e32 v13, 3, v11
	v_sub_u32_e32 v3, 29, v14
	v_and_b32_e32 v2, 7, v2
	v_cmp_gt_u32_e32 vcc, 8, v11
	v_cndmask_b32_e32 v3, v13, v3, vcc
	v_cndmask_b32_e32 v2, v12, v2, vcc
	v_lshlrev_b32_e32 v11, 16, v4
	v_bfrev_b32_e32 v12, 60
	v_lshlrev_b32_e32 v2, 20, v2
	v_and_b32_e32 v11, 0x80000000, v11
	v_lshl_add_u32 v3, v3, 23, v12
	v_or3_b32 v2, v11, v3, v2
	v_lshrrev_b32_e32 v3, 16, v2
.LBB867_747:
	s_or_b64 exec, exec, s[10:11]
.LBB867_748:
	s_or_b64 exec, exec, s[8:9]
.LBB867_749:
	s_or_b64 exec, exec, s[2:3]
	s_movk_i32 s2, 0xff
	v_and_b32_sdwa v13, v4, s2 dst_sel:DWORD dst_unused:UNUSED_PAD src0_sel:WORD_1 src1_sel:DWORD
	v_lshrrev_b32_e32 v2, 16, v4
	v_cmp_ne_u16_e32 vcc, 0, v13
	v_mov_b32_e32 v11, 0
	v_mov_b32_e32 v12, 0
	s_and_saveexec_b64 s[2:3], vcc
	s_cbranch_execz .LBB867_755
; %bb.750:
	s_movk_i32 s7, 0x80
	v_cmp_ne_u16_e32 vcc, s7, v13
	v_mov_b32_e32 v12, 0xffff8000
	s_and_saveexec_b64 s[8:9], vcc
	s_cbranch_execz .LBB867_754
; %bb.751:
	v_bfe_u32 v13, v4, 16, 7
	s_movk_i32 s7, 0x7f
	v_cmp_ne_u32_e32 vcc, s7, v13
	v_mov_b32_e32 v12, 0x7f80
	s_and_saveexec_b64 s[10:11], vcc
	s_cbranch_execz .LBB867_753
; %bb.752:
	v_and_b32_e32 v12, 7, v2
	v_ffbh_u32_e32 v14, v12
	v_min_u32_e32 v17, 32, v14
	v_subrev_u32_e32 v14, 28, v17
	v_lshlrev_b64 v[14:15], v14, v[2:3]
	v_lshrrev_b32_e32 v16, 3, v13
	v_sub_u32_e32 v2, 29, v17
	v_and_b32_e32 v14, 7, v14
	v_cmp_gt_u32_e32 vcc, 8, v13
	v_mov_b32_e32 v13, 24
	v_cndmask_b32_e32 v2, v16, v2, vcc
	v_cndmask_b32_e32 v12, v12, v14, vcc
	v_lshlrev_b32_sdwa v13, v13, v4 dst_sel:DWORD dst_unused:UNUSED_PAD src0_sel:DWORD src1_sel:WORD_1
	v_bfrev_b32_e32 v14, 60
	v_lshlrev_b32_e32 v12, 20, v12
	v_and_b32_e32 v13, 0x80000000, v13
	v_lshl_add_u32 v2, v2, 23, v14
	v_or3_b32 v2, v13, v2, v12
	v_lshrrev_b32_e32 v12, 16, v2
.LBB867_753:
	s_or_b64 exec, exec, s[10:11]
.LBB867_754:
	s_or_b64 exec, exec, s[8:9]
.LBB867_755:
	s_or_b64 exec, exec, s[2:3]
	s_mov_b32 s2, 0xffffff
	v_cmp_lt_u32_e32 vcc, s2, v4
	s_and_saveexec_b64 s[2:3], vcc
	s_cbranch_execz .LBB867_761
; %bb.756:
	v_lshrrev_b32_e32 v2, 24, v4
	s_movk_i32 s7, 0x80
	v_cmp_ne_u32_e32 vcc, s7, v2
	v_mov_b32_e32 v11, 0xffff8000
	s_and_saveexec_b64 s[8:9], vcc
	s_cbranch_execz .LBB867_760
; %bb.757:
	v_bfe_u32 v4, v4, 24, 7
	s_movk_i32 s7, 0x7f
	v_cmp_ne_u32_e32 vcc, s7, v4
	v_mov_b32_e32 v11, 0x7f80
	s_and_saveexec_b64 s[10:11], vcc
	s_cbranch_execz .LBB867_759
; %bb.758:
	v_and_b32_e32 v11, 7, v2
	v_ffbh_u32_e32 v14, v11
	v_min_u32_e32 v16, 32, v14
	v_subrev_u32_e32 v14, 28, v16
	v_lshlrev_b64 v[14:15], v14, v[2:3]
	v_lshrrev_b32_e32 v13, 3, v4
	v_sub_u32_e32 v15, 29, v16
	v_and_b32_e32 v14, 7, v14
	v_cmp_gt_u32_e32 vcc, 8, v4
	v_cndmask_b32_e32 v4, v13, v15, vcc
	v_cndmask_b32_e32 v11, v11, v14, vcc
	v_lshlrev_b32_e32 v2, 24, v2
	v_bfrev_b32_e32 v13, 60
	v_lshlrev_b32_e32 v11, 20, v11
	v_and_b32_e32 v2, 0x80000000, v2
	v_lshl_add_u32 v4, v4, 23, v13
	v_or3_b32 v2, v2, v4, v11
	v_lshrrev_b32_e32 v11, 16, v2
.LBB867_759:
	s_or_b64 exec, exec, s[10:11]
.LBB867_760:
	s_or_b64 exec, exec, s[8:9]
.LBB867_761:
	s_or_b64 exec, exec, s[2:3]
	v_mov_b32_e32 v4, 0
	v_cmp_ne_u16_sdwa s[8:9], v5, v4 src0_sel:BYTE_0 src1_sel:DWORD
	v_mov_b32_e32 v13, 0
	s_and_saveexec_b64 s[2:3], s[8:9]
	s_cbranch_execz .LBB867_767
; %bb.762:
	s_movk_i32 s7, 0x80
	v_cmp_ne_u16_sdwa s[10:11], v5, s7 src0_sel:BYTE_0 src1_sel:DWORD
	v_mov_b32_e32 v13, 0xffff8000
	s_and_saveexec_b64 s[8:9], s[10:11]
	s_cbranch_execz .LBB867_766
; %bb.763:
	s_movk_i32 s7, 0x7f
	v_and_b32_e32 v2, 0x7f, v5
	v_cmp_ne_u32_e32 vcc, s7, v2
	v_mov_b32_e32 v13, 0x7f80
	s_and_saveexec_b64 s[10:11], vcc
	s_cbranch_execz .LBB867_765
; %bb.764:
	v_and_b32_e32 v13, 7, v5
	v_ffbh_u32_e32 v15, v13
	v_min_u32_e32 v17, 32, v15
	v_mov_b32_e32 v14, v5
	v_subrev_u32_e32 v15, 28, v17
	v_lshlrev_b64 v[14:15], v15, v[14:15]
	v_lshrrev_b32_e32 v16, 3, v2
	v_sub_u32_e32 v15, 29, v17
	v_and_b32_e32 v14, 7, v14
	v_cmp_gt_u32_e32 vcc, 8, v2
	v_cndmask_b32_e32 v2, v16, v15, vcc
	v_cndmask_b32_e32 v13, v13, v14, vcc
	v_lshlrev_b32_e32 v14, 24, v5
	v_bfrev_b32_e32 v15, 60
	v_lshlrev_b32_e32 v13, 20, v13
	v_and_b32_e32 v14, 0x80000000, v14
	v_lshl_add_u32 v2, v2, 23, v15
	v_or3_b32 v2, v14, v2, v13
	v_lshrrev_b32_e32 v13, 16, v2
.LBB867_765:
	s_or_b64 exec, exec, s[10:11]
.LBB867_766:
	s_or_b64 exec, exec, s[8:9]
.LBB867_767:
	s_or_b64 exec, exec, s[2:3]
	v_lshrrev_b16_e32 v2, 8, v5
	v_cmp_ne_u16_e32 vcc, 0, v2
	s_and_saveexec_b64 s[2:3], vcc
	s_cbranch_execz .LBB867_773
; %bb.768:
	s_movk_i32 s7, 0x80
	v_cmp_ne_u16_e32 vcc, s7, v2
	v_mov_b32_e32 v4, 0xffff8000
	s_and_saveexec_b64 s[8:9], vcc
	s_cbranch_execz .LBB867_772
; %bb.769:
	s_movk_i32 s7, 0x7f
	v_and_b32_e32 v14, 0x7f, v2
	v_cmp_ne_u32_e32 vcc, s7, v14
	v_mov_b32_e32 v4, 0x7f80
	s_and_saveexec_b64 s[10:11], vcc
	s_cbranch_execz .LBB867_771
; %bb.770:
	v_and_b32_e32 v4, 7, v2
	v_ffbh_u32_e32 v16, v4
	v_min_u32_e32 v18, 32, v16
	v_subrev_u32_e32 v16, 28, v18
	v_lshlrev_b64 v[16:17], v16, v[2:3]
	v_lshrrev_b32_e32 v15, 3, v14
	v_sub_u32_e32 v2, 29, v18
	v_and_b32_e32 v16, 7, v16
	v_cmp_gt_u32_e32 vcc, 8, v14
	v_cndmask_b32_e32 v2, v15, v2, vcc
	v_cndmask_b32_e32 v4, v4, v16, vcc
	v_lshlrev_b32_e32 v14, 16, v5
	v_bfrev_b32_e32 v15, 60
	v_lshlrev_b32_e32 v4, 20, v4
	v_and_b32_e32 v14, 0x80000000, v14
	v_lshl_add_u32 v2, v2, 23, v15
	v_or3_b32 v2, v14, v2, v4
	v_lshrrev_b32_e32 v4, 16, v2
.LBB867_771:
	s_or_b64 exec, exec, s[10:11]
.LBB867_772:
	s_or_b64 exec, exec, s[8:9]
.LBB867_773:
	s_or_b64 exec, exec, s[2:3]
	s_movk_i32 s2, 0xff
	v_and_b32_sdwa v16, v5, s2 dst_sel:DWORD dst_unused:UNUSED_PAD src0_sel:WORD_1 src1_sel:DWORD
	v_lshrrev_b32_e32 v2, 16, v5
	v_cmp_ne_u16_e32 vcc, 0, v16
	v_mov_b32_e32 v14, 0
	v_mov_b32_e32 v15, 0
	s_and_saveexec_b64 s[2:3], vcc
	s_cbranch_execz .LBB867_779
; %bb.774:
	s_movk_i32 s7, 0x80
	v_cmp_ne_u16_e32 vcc, s7, v16
	v_mov_b32_e32 v15, 0xffff8000
	s_and_saveexec_b64 s[8:9], vcc
	s_cbranch_execz .LBB867_778
; %bb.775:
	v_bfe_u32 v16, v5, 16, 7
	s_movk_i32 s7, 0x7f
	v_cmp_ne_u32_e32 vcc, s7, v16
	v_mov_b32_e32 v15, 0x7f80
	s_and_saveexec_b64 s[10:11], vcc
	s_cbranch_execz .LBB867_777
; %bb.776:
	v_and_b32_e32 v15, 7, v2
	v_ffbh_u32_e32 v18, v15
	v_min_u32_e32 v20, 32, v18
	v_subrev_u32_e32 v18, 28, v20
	v_lshlrev_b64 v[18:19], v18, v[2:3]
	v_lshrrev_b32_e32 v17, 3, v16
	v_sub_u32_e32 v2, 29, v20
	v_and_b32_e32 v18, 7, v18
	v_cmp_gt_u32_e32 vcc, 8, v16
	v_mov_b32_e32 v16, 24
	v_cndmask_b32_e32 v2, v17, v2, vcc
	v_cndmask_b32_e32 v15, v15, v18, vcc
	v_lshlrev_b32_sdwa v16, v16, v5 dst_sel:DWORD dst_unused:UNUSED_PAD src0_sel:DWORD src1_sel:WORD_1
	v_bfrev_b32_e32 v17, 60
	v_lshlrev_b32_e32 v15, 20, v15
	v_and_b32_e32 v16, 0x80000000, v16
	v_lshl_add_u32 v2, v2, 23, v17
	v_or3_b32 v2, v16, v2, v15
	v_lshrrev_b32_e32 v15, 16, v2
.LBB867_777:
	s_or_b64 exec, exec, s[10:11]
.LBB867_778:
	s_or_b64 exec, exec, s[8:9]
.LBB867_779:
	s_or_b64 exec, exec, s[2:3]
	s_mov_b32 s2, 0xffffff
	v_cmp_lt_u32_e32 vcc, s2, v5
	s_and_saveexec_b64 s[2:3], vcc
	s_cbranch_execz .LBB867_785
; %bb.780:
	v_lshrrev_b32_e32 v2, 24, v5
	s_movk_i32 s7, 0x80
	v_cmp_ne_u32_e32 vcc, s7, v2
	v_mov_b32_e32 v14, 0xffff8000
	s_and_saveexec_b64 s[8:9], vcc
	s_cbranch_execz .LBB867_784
; %bb.781:
	v_bfe_u32 v5, v5, 24, 7
	s_movk_i32 s7, 0x7f
	v_cmp_ne_u32_e32 vcc, s7, v5
	v_mov_b32_e32 v14, 0x7f80
	s_and_saveexec_b64 s[10:11], vcc
	s_cbranch_execz .LBB867_783
; %bb.782:
	v_and_b32_e32 v14, 7, v2
	v_ffbh_u32_e32 v16, v14
	v_min_u32_e32 v19, 32, v16
	v_subrev_u32_e32 v16, 28, v19
	v_lshlrev_b64 v[16:17], v16, v[2:3]
	v_lshrrev_b32_e32 v18, 3, v5
	v_sub_u32_e32 v17, 29, v19
	v_and_b32_e32 v16, 7, v16
	v_cmp_gt_u32_e32 vcc, 8, v5
	v_cndmask_b32_e32 v5, v18, v17, vcc
	v_cndmask_b32_e32 v14, v14, v16, vcc
	v_lshlrev_b32_e32 v2, 24, v2
	v_bfrev_b32_e32 v16, 60
	v_lshlrev_b32_e32 v14, 20, v14
	v_and_b32_e32 v2, 0x80000000, v2
	v_lshl_add_u32 v5, v5, 23, v16
	v_or3_b32 v2, v2, v5, v14
	v_lshrrev_b32_e32 v14, 16, v2
.LBB867_783:
	s_or_b64 exec, exec, s[10:11]
.LBB867_784:
	s_or_b64 exec, exec, s[8:9]
.LBB867_785:
	s_or_b64 exec, exec, s[2:3]
	s_mov_b32 s3, 0x5040100
	v_perm_b32 v11, v11, v12, s3
	ds_read_b128 v[16:19], v22 offset:6160
	v_perm_b32 v10, v3, v10, s3
	v_perm_b32 v3, v14, v15, s3
	;; [unrolled: 1-line block ×3, first 2 shown]
	s_waitcnt lgkmcnt(0)
	v_mfma_f32_16x16x16bf16_1k v[6:9], v[10:11], v[16:17], v[6:9]
	s_load_dword s2, s[42:43], 0x0
	s_mov_b32 s3, 0x7060302
	s_movk_i32 s7, 0x7fff
	v_cmp_gt_u32_e32 vcc, 64, v0
	s_and_b64 s[0:1], vcc, s[0:1]
	s_waitcnt lgkmcnt(0)
	s_barrier
	v_mfma_f32_16x16x16bf16_1k v[2:5], v[2:3], v[18:19], v[6:9]
	s_nop 7
	s_nop 2
	v_pk_mul_f32 v[4:5], v[4:5], s[2:3] op_sel_hi:[1,0]
	v_pk_mul_f32 v[2:3], v[2:3], s[2:3] op_sel_hi:[1,0]
	v_bfe_u32 v6, v3, 16, 1
	v_bfe_u32 v7, v2, 16, 1
	;; [unrolled: 1-line block ×4, first 2 shown]
	v_add3_u32 v2, v2, v7, s7
	v_add3_u32 v3, v3, v6, s7
	v_add3_u32 v4, v4, v9, s7
	v_add3_u32 v5, v5, v8, s7
	v_perm_b32 v2, v3, v2, s3
	v_perm_b32 v3, v5, v4, s3
	ds_write_b64 v26, v[2:3]
	s_waitcnt lgkmcnt(0)
	s_barrier
	s_and_saveexec_b64 s[2:3], s[0:1]
	s_cbranch_execz .LBB867_788
; %bb.786:
	s_load_dwordx2 s[2:3], s[4:5], 0x68
	s_lshl_b32 s0, s44, 6
	s_mul_i32 s1, s12, s6
	s_mul_hi_u32 s7, s1, s0
	s_mul_i32 s6, s1, s0
	s_lshl_b64 s[6:7], s[6:7], 1
	s_waitcnt lgkmcnt(0)
	s_add_u32 s1, s2, s6
	s_mov_b32 s5, 0
	s_addc_u32 s6, s3, s7
	s_lshl_b32 s4, s24, 6
	v_lshlrev_b32_e32 v0, 10, v0
	s_lshl_b64 s[2:3], s[4:5], 1
	v_and_b32_e32 v2, 0x1800, v0
	v_lshlrev_b32_e32 v3, 5, v1
	v_and_b32_e32 v4, 16, v47
	s_add_u32 s1, s1, s2
	v_or_b32_e32 v0, 4, v1
	v_or3_b32 v2, v2, v3, v4
	s_addc_u32 s2, s6, s3
	v_add_u32_e32 v1, s25, v1
	v_mov_b32_e32 v4, s2
	v_add_co_u32_e32 v3, vcc, s1, v46
	ds_read_b128 v[6:9], v2
	v_mad_u64_u32 v[10:11], s[2:3], v1, s0, 0
	v_addc_co_u32_e32 v4, vcc, 0, v4, vcc
	v_lshlrev_b64 v[10:11], 1, v[10:11]
	v_add_co_u32_e32 v10, vcc, v3, v10
	v_addc_co_u32_e32 v11, vcc, v4, v11, vcc
	v_cmp_gt_u32_e32 vcc, 6, v0
	s_waitcnt lgkmcnt(0)
	global_store_dwordx4 v[10:11], v[6:9], off
	s_and_b64 exec, exec, vcc
	s_cbranch_execz .LBB867_788
; %bb.787:
	ds_read_b128 v[6:9], v2 offset:128
	v_add_u32_e32 v0, s25, v0
	v_mad_u64_u32 v[0:1], s[0:1], v0, s0, 0
	v_lshlrev_b64 v[0:1], 1, v[0:1]
	v_add_co_u32_e32 v0, vcc, v3, v0
	v_addc_co_u32_e32 v1, vcc, v4, v1, vcc
	s_waitcnt lgkmcnt(0)
	global_store_dwordx4 v[0:1], v[6:9], off
.LBB867_788:
	s_endpgm
	.section	.rodata,"a",@progbits
	.p2align	6, 0x0
	.amdhsa_kernel _Z39paged_attention_ll4mi_QKV_mfma16_kernelI14__hip_bfloat16hLN4vllm18Fp8KVCacheDataTypeE1ES0_Li32ELi64ELi256ELb1ELi6EL8MFMAType0EEvPKT_PKT0_S9_ifPKiSB_SB_iPKfiiiPfSE_PS4_PT2_iSD_SD_
		.amdhsa_group_segment_fixed_size 8192
		.amdhsa_private_segment_fixed_size 0
		.amdhsa_kernarg_size 400
		.amdhsa_user_sgpr_count 6
		.amdhsa_user_sgpr_private_segment_buffer 1
		.amdhsa_user_sgpr_dispatch_ptr 0
		.amdhsa_user_sgpr_queue_ptr 0
		.amdhsa_user_sgpr_kernarg_segment_ptr 1
		.amdhsa_user_sgpr_dispatch_id 0
		.amdhsa_user_sgpr_flat_scratch_init 0
		.amdhsa_user_sgpr_kernarg_preload_length 0
		.amdhsa_user_sgpr_kernarg_preload_offset 0
		.amdhsa_user_sgpr_private_segment_size 0
		.amdhsa_uses_dynamic_stack 0
		.amdhsa_system_sgpr_private_segment_wavefront_offset 0
		.amdhsa_system_sgpr_workgroup_id_x 1
		.amdhsa_system_sgpr_workgroup_id_y 1
		.amdhsa_system_sgpr_workgroup_id_z 1
		.amdhsa_system_sgpr_workgroup_info 0
		.amdhsa_system_vgpr_workitem_id 0
		.amdhsa_next_free_vgpr 63
		.amdhsa_next_free_sgpr 47
		.amdhsa_accum_offset 64
		.amdhsa_reserve_vcc 1
		.amdhsa_reserve_flat_scratch 0
		.amdhsa_float_round_mode_32 0
		.amdhsa_float_round_mode_16_64 0
		.amdhsa_float_denorm_mode_32 3
		.amdhsa_float_denorm_mode_16_64 3
		.amdhsa_dx10_clamp 1
		.amdhsa_ieee_mode 1
		.amdhsa_fp16_overflow 0
		.amdhsa_tg_split 0
		.amdhsa_exception_fp_ieee_invalid_op 0
		.amdhsa_exception_fp_denorm_src 0
		.amdhsa_exception_fp_ieee_div_zero 0
		.amdhsa_exception_fp_ieee_overflow 0
		.amdhsa_exception_fp_ieee_underflow 0
		.amdhsa_exception_fp_ieee_inexact 0
		.amdhsa_exception_int_div_zero 0
	.end_amdhsa_kernel
	.section	.text._Z39paged_attention_ll4mi_QKV_mfma16_kernelI14__hip_bfloat16hLN4vllm18Fp8KVCacheDataTypeE1ES0_Li32ELi64ELi256ELb1ELi6EL8MFMAType0EEvPKT_PKT0_S9_ifPKiSB_SB_iPKfiiiPfSE_PS4_PT2_iSD_SD_,"axG",@progbits,_Z39paged_attention_ll4mi_QKV_mfma16_kernelI14__hip_bfloat16hLN4vllm18Fp8KVCacheDataTypeE1ES0_Li32ELi64ELi256ELb1ELi6EL8MFMAType0EEvPKT_PKT0_S9_ifPKiSB_SB_iPKfiiiPfSE_PS4_PT2_iSD_SD_,comdat
.Lfunc_end867:
	.size	_Z39paged_attention_ll4mi_QKV_mfma16_kernelI14__hip_bfloat16hLN4vllm18Fp8KVCacheDataTypeE1ES0_Li32ELi64ELi256ELb1ELi6EL8MFMAType0EEvPKT_PKT0_S9_ifPKiSB_SB_iPKfiiiPfSE_PS4_PT2_iSD_SD_, .Lfunc_end867-_Z39paged_attention_ll4mi_QKV_mfma16_kernelI14__hip_bfloat16hLN4vllm18Fp8KVCacheDataTypeE1ES0_Li32ELi64ELi256ELb1ELi6EL8MFMAType0EEvPKT_PKT0_S9_ifPKiSB_SB_iPKfiiiPfSE_PS4_PT2_iSD_SD_
                                        ; -- End function
	.section	.AMDGPU.csdata,"",@progbits
; Kernel info:
; codeLenInByte = 28720
; NumSgprs: 51
; NumVgprs: 63
; NumAgprs: 0
; TotalNumVgprs: 63
; ScratchSize: 0
; MemoryBound: 0
; FloatMode: 240
; IeeeMode: 1
; LDSByteSize: 8192 bytes/workgroup (compile time only)
; SGPRBlocks: 6
; VGPRBlocks: 7
; NumSGPRsForWavesPerEU: 51
; NumVGPRsForWavesPerEU: 63
; AccumOffset: 64
; Occupancy: 8
; WaveLimiterHint : 1
; COMPUTE_PGM_RSRC2:SCRATCH_EN: 0
; COMPUTE_PGM_RSRC2:USER_SGPR: 6
; COMPUTE_PGM_RSRC2:TRAP_HANDLER: 0
; COMPUTE_PGM_RSRC2:TGID_X_EN: 1
; COMPUTE_PGM_RSRC2:TGID_Y_EN: 1
; COMPUTE_PGM_RSRC2:TGID_Z_EN: 1
; COMPUTE_PGM_RSRC2:TIDIG_COMP_CNT: 0
; COMPUTE_PGM_RSRC3_GFX90A:ACCUM_OFFSET: 15
; COMPUTE_PGM_RSRC3_GFX90A:TG_SPLIT: 0
	.section	.text._Z39paged_attention_ll4mi_QKV_mfma16_kernelI14__hip_bfloat16hLN4vllm18Fp8KVCacheDataTypeE1ES0_Li32ELi64ELi256ELb1ELi7EL8MFMAType0EEvPKT_PKT0_S9_ifPKiSB_SB_iPKfiiiPfSE_PS4_PT2_iSD_SD_,"axG",@progbits,_Z39paged_attention_ll4mi_QKV_mfma16_kernelI14__hip_bfloat16hLN4vllm18Fp8KVCacheDataTypeE1ES0_Li32ELi64ELi256ELb1ELi7EL8MFMAType0EEvPKT_PKT0_S9_ifPKiSB_SB_iPKfiiiPfSE_PS4_PT2_iSD_SD_,comdat
	.protected	_Z39paged_attention_ll4mi_QKV_mfma16_kernelI14__hip_bfloat16hLN4vllm18Fp8KVCacheDataTypeE1ES0_Li32ELi64ELi256ELb1ELi7EL8MFMAType0EEvPKT_PKT0_S9_ifPKiSB_SB_iPKfiiiPfSE_PS4_PT2_iSD_SD_ ; -- Begin function _Z39paged_attention_ll4mi_QKV_mfma16_kernelI14__hip_bfloat16hLN4vllm18Fp8KVCacheDataTypeE1ES0_Li32ELi64ELi256ELb1ELi7EL8MFMAType0EEvPKT_PKT0_S9_ifPKiSB_SB_iPKfiiiPfSE_PS4_PT2_iSD_SD_
	.globl	_Z39paged_attention_ll4mi_QKV_mfma16_kernelI14__hip_bfloat16hLN4vllm18Fp8KVCacheDataTypeE1ES0_Li32ELi64ELi256ELb1ELi7EL8MFMAType0EEvPKT_PKT0_S9_ifPKiSB_SB_iPKfiiiPfSE_PS4_PT2_iSD_SD_
	.p2align	8
	.type	_Z39paged_attention_ll4mi_QKV_mfma16_kernelI14__hip_bfloat16hLN4vllm18Fp8KVCacheDataTypeE1ES0_Li32ELi64ELi256ELb1ELi7EL8MFMAType0EEvPKT_PKT0_S9_ifPKiSB_SB_iPKfiiiPfSE_PS4_PT2_iSD_SD_,@function
_Z39paged_attention_ll4mi_QKV_mfma16_kernelI14__hip_bfloat16hLN4vllm18Fp8KVCacheDataTypeE1ES0_Li32ELi64ELi256ELb1ELi7EL8MFMAType0EEvPKT_PKT0_S9_ifPKiSB_SB_iPKfiiiPfSE_PS4_PT2_iSD_SD_: ; @_Z39paged_attention_ll4mi_QKV_mfma16_kernelI14__hip_bfloat16hLN4vllm18Fp8KVCacheDataTypeE1ES0_Li32ELi64ELi256ELb1ELi7EL8MFMAType0EEvPKT_PKT0_S9_ifPKiSB_SB_iPKfiiiPfSE_PS4_PT2_iSD_SD_
; %bb.0:
	s_load_dwordx2 s[0:1], s[4:5], 0x30
	s_mov_b32 s24, s7
	s_mov_b64 s[10:11], 0
	s_waitcnt lgkmcnt(0)
	s_cmp_lg_u64 s[0:1], 0
	s_cselect_b64 s[2:3], -1, 0
	s_and_b64 vcc, exec, s[2:3]
	s_cbranch_vccz .LBB868_7
; %bb.1:
	s_add_i32 s12, s6, 1
	s_mov_b32 s13, 0
	s_lshl_b64 s[14:15], s[12:13], 2
	s_add_u32 s14, s0, s14
	s_mov_b32 s7, s13
	s_addc_u32 s15, s1, s15
	s_lshl_b64 s[12:13], s[6:7], 2
	s_add_u32 s12, s0, s12
	s_addc_u32 s13, s1, s13
	s_load_dword s9, s[14:15], 0x0
	s_load_dword s16, s[12:13], 0x0
	s_waitcnt lgkmcnt(0)
	s_sub_i32 s9, s9, s16
	s_cmp_eq_u32 s9, 1
	s_cselect_b64 s[12:13], -1, 0
	s_andn2_b64 vcc, exec, s[10:11]
	s_cbranch_vccnz .LBB868_3
.LBB868_2:
	s_mov_b32 s7, 0
	s_mov_b64 s[12:13], -1
.LBB868_3:
	s_andn2_b64 vcc, exec, s[12:13]
	s_cbranch_vccnz .LBB868_788
; %bb.4:
	s_load_dwordx2 s[12:13], s[4:5], 0x28
	s_lshl_b64 s[10:11], s[6:7], 2
	s_waitcnt lgkmcnt(0)
	s_add_u32 s12, s12, s10
	s_addc_u32 s13, s13, s11
	s_load_dword s33, s[12:13], 0x0
	s_lshl_b32 s18, s24, 8
	s_waitcnt lgkmcnt(0)
	s_cmp_ge_i32 s18, s33
	s_cbranch_scc1 .LBB868_788
; %bb.5:
	s_add_i32 s14, s33, 31
	s_load_dwordx2 s[12:13], s[4:5], 0x20
	s_load_dword s9, s[4:5], 0x38
	s_ashr_i32 s15, s14, 31
	v_and_b32_e32 v1, 0xcf, v0
	s_lshr_b32 s15, s15, 27
	v_add_u32_e32 v1, s18, v1
	s_add_i32 s14, s14, s15
	v_ashrrev_i32_e32 v2, 31, v1
	s_ashr_i32 s21, s14, 5
	v_lshrrev_b32_e32 v4, 27, v2
	s_add_i32 s21, s21, -1
	v_add_u32_e32 v2, v1, v4
	s_waitcnt lgkmcnt(0)
	s_mul_i32 s14, s6, s9
	s_mov_b32 s15, 0
	v_ashrrev_i32_e32 v2, 5, v2
	v_mov_b32_e32 v5, s21
	v_cmp_gt_i32_e32 vcc, s33, v1
	s_lshl_b64 s[14:15], s[14:15], 2
	v_cndmask_b32_e32 v2, v5, v2, vcc
	s_add_u32 s19, s12, s14
	v_ashrrev_i32_e32 v3, 31, v2
	s_addc_u32 s20, s13, s15
	v_lshlrev_b64 v[2:3], 2, v[2:3]
	v_mov_b32_e32 v7, s20
	v_add_co_u32_e32 v6, vcc, s19, v2
	v_or_b32_e32 v2, 16, v1
	v_addc_co_u32_e32 v7, vcc, v7, v3, vcc
	v_add_u32_e32 v3, v2, v4
	v_ashrrev_i32_e32 v3, 5, v3
	v_cmp_gt_i32_e32 vcc, s33, v2
	v_cndmask_b32_e32 v2, v5, v3, vcc
	v_ashrrev_i32_e32 v3, 31, v2
	v_lshlrev_b64 v[2:3], 2, v[2:3]
	v_mov_b32_e32 v9, s20
	v_add_co_u32_e32 v8, vcc, s19, v2
	v_or_b32_e32 v2, 32, v1
	v_addc_co_u32_e32 v9, vcc, v9, v3, vcc
	v_add_u32_e32 v3, v2, v4
	v_ashrrev_i32_e32 v3, 5, v3
	v_cmp_gt_i32_e32 vcc, s33, v2
	v_cndmask_b32_e32 v2, v5, v3, vcc
	v_ashrrev_i32_e32 v3, 31, v2
	;; [unrolled: 10-line block ×3, first 2 shown]
	v_lshlrev_b64 v[2:3], 2, v[2:3]
	v_mov_b32_e32 v1, s20
	v_add_co_u32_e32 v12, vcc, s19, v2
	v_addc_co_u32_e32 v13, vcc, v1, v3, vcc
	global_load_dword v5, v[6:7], off
	global_load_dword v4, v[8:9], off
	;; [unrolled: 1-line block ×4, first 2 shown]
	s_load_dwordx2 s[16:17], s[4:5], 0x8
	s_andn2_b64 vcc, exec, s[2:3]
	s_cbranch_vccnz .LBB868_8
; %bb.6:
	s_add_u32 s0, s0, s10
	s_addc_u32 s1, s1, s11
	s_load_dword s9, s[0:1], 0x0
	s_branch .LBB868_9
.LBB868_7:
	s_mov_b64 s[12:13], 0
	s_branch .LBB868_2
.LBB868_8:
	s_mov_b32 s9, s6
.LBB868_9:
	s_load_dwordx2 s[2:3], s[4:5], 0x10
	s_load_dwordx4 s[12:15], s[4:5], 0x48
	v_lshrrev_b32_e32 v50, 6, v0
	v_bfe_u32 v1, v0, 4, 2
	v_lshl_or_b32 v6, v50, 2, v1
	v_and_b32_e32 v49, 15, v0
	v_lshlrev_b32_e32 v7, 3, v49
	v_cmp_gt_u32_e32 vcc, 7, v6
	v_cmp_gt_u32_e64 s[0:1], 8, v49
	s_mul_i32 s25, s8, 7
	s_and_b64 s[22:23], s[0:1], vcc
	v_lshlrev_b32_e32 v46, 1, v7
	v_lshlrev_b32_e32 v47, 4, v0
	s_and_saveexec_b64 s[10:11], s[22:23]
	s_cbranch_execz .LBB868_11
; %bb.10:
	s_load_dwordx2 s[22:23], s[4:5], 0x0
	s_waitcnt lgkmcnt(0)
	s_ashr_i32 s15, s12, 31
	s_mul_hi_u32 s26, s9, s12
	s_mul_i32 s15, s9, s15
	s_add_i32 s27, s26, s15
	s_mul_i32 s26, s9, s12
	s_lshl_b64 s[26:27], s[26:27], 1
	v_add_lshl_u32 v8, v6, s25, 6
	s_add_u32 s9, s22, s26
	v_ashrrev_i32_e32 v9, 31, v8
	s_addc_u32 s12, s23, s27
	v_lshlrev_b64 v[8:9], 1, v[8:9]
	v_mov_b32_e32 v7, s12
	v_add_co_u32_e32 v8, vcc, s9, v8
	v_addc_co_u32_e32 v7, vcc, v7, v9, vcc
	v_add_co_u32_e32 v8, vcc, v8, v46
	v_addc_co_u32_e32 v9, vcc, 0, v7, vcc
	global_load_dwordx4 v[8:11], v[8:9], off
	v_lshlrev_b32_e32 v12, 8, v49
	v_lshlrev_b32_e32 v6, 5, v6
	v_and_b32_e32 v7, 16, v47
	v_and_b32_e32 v12, 0xe00, v12
	v_or3_b32 v6, v12, v6, v7
	s_waitcnt vmcnt(0)
	ds_write_b128 v6, v[8:11]
.LBB868_11:
	s_or_b64 exec, exec, s[10:11]
	s_waitcnt lgkmcnt(0)
	s_mul_i32 s10, s8, s14
	s_add_u32 s8, s16, s10
	s_addc_u32 s9, s17, 0
	v_pk_mov_b32 v[8:9], s[8:9], s[8:9] op_sel:[0,1]
	s_waitcnt vmcnt(3)
	v_mad_i64_i32 v[10:11], s[8:9], v5, s13, v[8:9]
	v_lshlrev_b32_e32 v12, 4, v49
	v_and_b32_e32 v6, 48, v0
	v_add_co_u32_e32 v5, vcc, v10, v12
	v_lshlrev_b32_e32 v7, 5, v6
	v_addc_co_u32_e32 v11, vcc, 0, v11, vcc
	v_add_co_u32_e32 v10, vcc, v5, v7
	v_addc_co_u32_e32 v11, vcc, 0, v11, vcc
	s_waitcnt vmcnt(2)
	v_mad_i64_i32 v[4:5], s[8:9], v4, s13, v[8:9]
	v_or_b32_e32 v13, 0x100, v12
	v_add_co_u32_e32 v4, vcc, v4, v13
	v_addc_co_u32_e32 v5, vcc, 0, v5, vcc
	v_add_co_u32_e32 v4, vcc, v4, v7
	v_addc_co_u32_e32 v5, vcc, 0, v5, vcc
	s_barrier
	global_load_dwordx4 v[34:37], v[10:11], off
	global_load_dwordx4 v[38:41], v[4:5], off
	s_waitcnt vmcnt(3)
	v_mad_i64_i32 v[4:5], s[8:9], v3, s13, v[8:9]
	v_add_co_u32_e32 v3, vcc, v4, v12
	v_addc_co_u32_e32 v5, vcc, 0, v5, vcc
	v_add_co_u32_e32 v4, vcc, v3, v7
	v_addc_co_u32_e32 v5, vcc, 0, v5, vcc
	s_waitcnt vmcnt(2)
	v_mad_i64_i32 v[2:3], s[8:9], v2, s13, v[8:9]
	v_add_co_u32_e32 v2, vcc, v2, v13
	v_addc_co_u32_e32 v3, vcc, 0, v3, vcc
	v_add_co_u32_e32 v2, vcc, v2, v7
	v_addc_co_u32_e32 v3, vcc, 0, v3, vcc
	global_load_dwordx4 v[30:33], v[4:5], off
	global_load_dwordx4 v[22:25], v[2:3], off
	v_mul_lo_u16_e32 v2, 37, v49
	v_mov_b32_e32 v3, 7
	v_mul_lo_u16_sdwa v2, v2, v3 dst_sel:DWORD dst_unused:UNUSED_PAD src0_sel:BYTE_1 src1_sel:DWORD
	v_sub_u16_e32 v2, v49, v2
	v_mov_b32_e32 v3, 5
	v_lshlrev_b32_sdwa v2, v3, v2 dst_sel:DWORD dst_unused:UNUSED_PAD src0_sel:DWORD src1_sel:BYTE_0
	v_lshl_add_u32 v2, v1, 9, v2
	ds_read_b128 v[26:29], v2
	ds_read_b128 v[18:21], v2 offset:16
	v_cmp_gt_u32_e32 vcc, 7, v49
	v_mov_b32_e32 v43, 0
	v_mov_b32_e32 v51, 0
	s_and_saveexec_b64 s[8:9], vcc
	s_cbranch_execz .LBB868_13
; %bb.12:
	s_load_dwordx2 s[14:15], s[4:5], 0x40
	v_add_u32_e32 v2, s25, v49
	v_ashrrev_i32_e32 v3, 31, v2
	v_lshlrev_b64 v[2:3], 2, v[2:3]
	s_waitcnt lgkmcnt(0)
	v_mov_b32_e32 v4, s15
	v_add_co_u32_e32 v2, vcc, s14, v2
	v_addc_co_u32_e32 v3, vcc, v4, v3, vcc
	global_load_dword v51, v[2:3], off
.LBB868_13:
	s_or_b64 exec, exec, s[8:9]
	s_ashr_i32 s8, s18, 31
	v_or_b32_e32 v8, s18, v6
	s_lshr_b32 s8, s8, 27
	v_add_u32_e32 v2, s8, v8
	v_ashrrev_i32_e32 v2, 5, v2
	v_mov_b32_e32 v9, s21
	v_cmp_gt_i32_e32 vcc, s33, v8
	v_cndmask_b32_e32 v2, v9, v2, vcc
	v_ashrrev_i32_e32 v3, 31, v2
	v_lshlrev_b64 v[2:3], 2, v[2:3]
	v_mov_b32_e32 v4, s20
	v_add_co_u32_e32 v2, vcc, s19, v2
	v_addc_co_u32_e32 v3, vcc, v4, v3, vcc
	v_or_b32_e32 v4, 64, v8
	v_add_u32_e32 v5, s8, v4
	v_ashrrev_i32_e32 v5, 5, v5
	v_cmp_gt_i32_e32 vcc, s33, v4
	v_cndmask_b32_e32 v4, v9, v5, vcc
	v_ashrrev_i32_e32 v5, 31, v4
	v_lshlrev_b64 v[4:5], 2, v[4:5]
	v_mov_b32_e32 v6, s20
	v_add_co_u32_e32 v4, vcc, s19, v4
	v_addc_co_u32_e32 v5, vcc, v6, v5, vcc
	v_or_b32_e32 v6, 0x80, v8
	v_add_u32_e32 v7, s8, v6
	v_ashrrev_i32_e32 v7, 5, v7
	v_cmp_gt_i32_e32 vcc, s33, v6
	v_cndmask_b32_e32 v6, v9, v7, vcc
	v_ashrrev_i32_e32 v7, 31, v6
	v_lshlrev_b64 v[6:7], 2, v[6:7]
	v_mov_b32_e32 v10, s20
	v_add_co_u32_e32 v6, vcc, s19, v6
	v_addc_co_u32_e32 v7, vcc, v10, v7, vcc
	global_load_dword v10, v[2:3], off
	global_load_dword v11, v[4:5], off
	;; [unrolled: 1-line block ×3, first 2 shown]
	v_or_b32_e32 v2, 0xc0, v8
	v_add_u32_e32 v3, s8, v2
	v_ashrrev_i32_e32 v3, 5, v3
	v_cmp_gt_i32_e32 vcc, s33, v2
	v_cndmask_b32_e32 v2, v9, v3, vcc
	v_ashrrev_i32_e32 v3, 31, v2
	v_lshlrev_b64 v[2:3], 2, v[2:3]
	v_mov_b32_e32 v4, s20
	v_add_co_u32_e32 v2, vcc, s19, v2
	v_addc_co_u32_e32 v3, vcc, v4, v3, vcc
	global_load_dword v13, v[2:3], off
	s_add_u32 s2, s2, s10
	v_and_b32_e32 v2, 16, v0
	s_addc_u32 s3, s3, 0
	v_lshlrev_b32_e32 v48, 5, v49
	v_mov_b32_e32 v4, s3
	v_add_co_u32_e32 v2, vcc, s2, v2
	v_lshl_or_b32 v3, v50, 9, v48
	v_addc_co_u32_e32 v4, vcc, 0, v4, vcc
	v_add_co_u32_e32 v2, vcc, v2, v3
	v_addc_co_u32_e32 v3, vcc, 0, v4, vcc
	s_movk_i32 s8, 0x80
	s_waitcnt vmcnt(7)
	v_cmp_ne_u16_sdwa s[10:11], v34, v43 src0_sel:BYTE_0 src1_sel:DWORD
	s_waitcnt vmcnt(3)
	v_mad_i64_i32 v[4:5], s[2:3], v10, s13, v[2:3]
	s_waitcnt vmcnt(2)
	v_mad_i64_i32 v[6:7], s[2:3], v11, s13, v[2:3]
	;; [unrolled: 2-line block ×4, first 2 shown]
	global_load_dwordx4 v[14:17], v[4:5], off
	global_load_dwordx4 v[10:13], v[6:7], off
	s_nop 0
	global_load_dwordx4 v[6:9], v[8:9], off
	s_nop 0
	global_load_dwordx4 v[2:5], v[2:3], off
	s_load_dwordx4 s[40:43], s[4:5], 0x80
	s_load_dwordx2 s[44:45], s[4:5], 0x94
	s_waitcnt lgkmcnt(0)
	s_load_dword s12, s[40:41], 0x0
	s_and_saveexec_b64 s[2:3], s[10:11]
	s_cbranch_execz .LBB868_19
; %bb.14:
	v_cmp_ne_u16_sdwa s[10:11], v34, s8 src0_sel:BYTE_0 src1_sel:DWORD
	v_mov_b32_e32 v43, 0xffff8000
	s_and_saveexec_b64 s[8:9], s[10:11]
	s_cbranch_execz .LBB868_18
; %bb.15:
	s_movk_i32 s10, 0x7f
	v_and_b32_e32 v42, 0x7f, v34
	v_cmp_ne_u32_e32 vcc, s10, v42
	v_mov_b32_e32 v43, 0x7f80
	s_and_saveexec_b64 s[10:11], vcc
	s_cbranch_execz .LBB868_17
; %bb.16:
	v_and_b32_e32 v43, 7, v34
	v_ffbh_u32_e32 v44, v43
	v_min_u32_e32 v53, 32, v44
	v_subrev_u32_e32 v44, 28, v53
	v_lshlrev_b64 v[44:45], v44, v[34:35]
	v_lshrrev_b32_e32 v52, 3, v42
	v_sub_u32_e32 v45, 29, v53
	v_and_b32_e32 v44, 7, v44
	v_cmp_gt_u32_e32 vcc, 8, v42
	v_cndmask_b32_e32 v42, v52, v45, vcc
	v_cndmask_b32_e32 v43, v43, v44, vcc
	v_lshlrev_b32_e32 v44, 24, v34
	v_bfrev_b32_e32 v45, 60
	v_lshlrev_b32_e32 v43, 20, v43
	v_and_b32_e32 v44, 0x80000000, v44
	v_lshl_add_u32 v42, v42, 23, v45
	v_or3_b32 v42, v44, v42, v43
	v_lshrrev_b32_e32 v43, 16, v42
.LBB868_17:
	s_or_b64 exec, exec, s[10:11]
.LBB868_18:
	s_or_b64 exec, exec, s[8:9]
.LBB868_19:
	s_or_b64 exec, exec, s[2:3]
	v_lshrrev_b16_e32 v42, 8, v34
	v_cmp_ne_u16_e32 vcc, 0, v42
	v_mov_b32_e32 v45, 0
	v_mov_b32_e32 v44, 0
	s_and_saveexec_b64 s[2:3], vcc
	s_cbranch_execz .LBB868_25
; %bb.20:
	s_movk_i32 s8, 0x80
	v_cmp_ne_u16_e32 vcc, s8, v42
	v_mov_b32_e32 v44, 0xffff8000
	s_and_saveexec_b64 s[8:9], vcc
	s_cbranch_execz .LBB868_24
; %bb.21:
	s_movk_i32 s10, 0x7f
	v_and_b32_e32 v52, 0x7f, v42
	v_cmp_ne_u32_e32 vcc, s10, v52
	v_mov_b32_e32 v44, 0x7f80
	s_and_saveexec_b64 s[10:11], vcc
	s_cbranch_execz .LBB868_23
; %bb.22:
	v_and_b32_e32 v44, 7, v42
	v_ffbh_u32_e32 v54, v44
	v_min_u32_e32 v56, 32, v54
	v_subrev_u32_e32 v54, 28, v56
	v_lshlrev_b64 v[54:55], v54, v[42:43]
	v_lshrrev_b32_e32 v53, 3, v52
	v_sub_u32_e32 v42, 29, v56
	v_and_b32_e32 v54, 7, v54
	v_cmp_gt_u32_e32 vcc, 8, v52
	v_cndmask_b32_e32 v42, v53, v42, vcc
	v_cndmask_b32_e32 v44, v44, v54, vcc
	v_lshlrev_b32_e32 v52, 16, v34
	v_bfrev_b32_e32 v53, 60
	v_lshlrev_b32_e32 v44, 20, v44
	v_and_b32_e32 v52, 0x80000000, v52
	v_lshl_add_u32 v42, v42, 23, v53
	v_or3_b32 v42, v52, v42, v44
	v_lshrrev_b32_e32 v44, 16, v42
.LBB868_23:
	s_or_b64 exec, exec, s[10:11]
.LBB868_24:
	s_or_b64 exec, exec, s[8:9]
.LBB868_25:
	s_or_b64 exec, exec, s[2:3]
	s_movk_i32 s2, 0xff
	v_and_b32_sdwa v52, v34, s2 dst_sel:DWORD dst_unused:UNUSED_PAD src0_sel:WORD_1 src1_sel:DWORD
	v_lshrrev_b32_e32 v42, 16, v34
	v_cmp_ne_u16_e32 vcc, 0, v52
	s_and_saveexec_b64 s[2:3], vcc
	s_cbranch_execz .LBB868_31
; %bb.26:
	s_movk_i32 s8, 0x80
	v_cmp_ne_u16_e32 vcc, s8, v52
	v_mov_b32_e32 v45, 0xffff8000
	s_and_saveexec_b64 s[8:9], vcc
	s_cbranch_execz .LBB868_30
; %bb.27:
	v_bfe_u32 v52, v34, 16, 7
	s_movk_i32 s10, 0x7f
	v_cmp_ne_u32_e32 vcc, s10, v52
	v_mov_b32_e32 v45, 0x7f80
	s_and_saveexec_b64 s[10:11], vcc
	s_cbranch_execz .LBB868_29
; %bb.28:
	v_and_b32_e32 v45, 7, v42
	v_ffbh_u32_e32 v54, v45
	v_min_u32_e32 v56, 32, v54
	v_subrev_u32_e32 v54, 28, v56
	v_lshlrev_b64 v[54:55], v54, v[42:43]
	v_lshrrev_b32_e32 v53, 3, v52
	v_sub_u32_e32 v42, 29, v56
	v_and_b32_e32 v54, 7, v54
	v_cmp_gt_u32_e32 vcc, 8, v52
	v_mov_b32_e32 v52, 24
	v_cndmask_b32_e32 v42, v53, v42, vcc
	v_cndmask_b32_e32 v45, v45, v54, vcc
	v_lshlrev_b32_sdwa v52, v52, v34 dst_sel:DWORD dst_unused:UNUSED_PAD src0_sel:DWORD src1_sel:WORD_1
	v_bfrev_b32_e32 v53, 60
	v_lshlrev_b32_e32 v45, 20, v45
	v_and_b32_e32 v52, 0x80000000, v52
	v_lshl_add_u32 v42, v42, 23, v53
	v_or3_b32 v42, v52, v42, v45
	v_lshrrev_b32_e32 v45, 16, v42
.LBB868_29:
	s_or_b64 exec, exec, s[10:11]
.LBB868_30:
	s_or_b64 exec, exec, s[8:9]
.LBB868_31:
	s_or_b64 exec, exec, s[2:3]
	s_mov_b32 s2, 0xffffff
	v_cmp_lt_u32_e32 vcc, s2, v34
	v_mov_b32_e32 v53, 0
	v_mov_b32_e32 v54, 0
	s_and_saveexec_b64 s[2:3], vcc
	s_cbranch_execz .LBB868_37
; %bb.32:
	v_lshrrev_b32_e32 v42, 24, v34
	s_movk_i32 s8, 0x80
	v_cmp_ne_u32_e32 vcc, s8, v42
	v_mov_b32_e32 v54, 0xffff8000
	s_and_saveexec_b64 s[8:9], vcc
	s_cbranch_execz .LBB868_36
; %bb.33:
	v_bfe_u32 v34, v34, 24, 7
	s_movk_i32 s10, 0x7f
	v_cmp_ne_u32_e32 vcc, s10, v34
	v_mov_b32_e32 v54, 0x7f80
	s_and_saveexec_b64 s[10:11], vcc
	s_cbranch_execz .LBB868_35
; %bb.34:
	v_and_b32_e32 v52, 7, v42
	v_ffbh_u32_e32 v54, v52
	v_min_u32_e32 v57, 32, v54
	v_subrev_u32_e32 v54, 28, v57
	v_lshlrev_b64 v[54:55], v54, v[42:43]
	v_lshrrev_b32_e32 v56, 3, v34
	v_sub_u32_e32 v55, 29, v57
	v_and_b32_e32 v54, 7, v54
	v_cmp_gt_u32_e32 vcc, 8, v34
	v_cndmask_b32_e32 v34, v56, v55, vcc
	v_cndmask_b32_e32 v52, v52, v54, vcc
	v_lshlrev_b32_e32 v42, 24, v42
	v_bfrev_b32_e32 v54, 60
	v_lshlrev_b32_e32 v52, 20, v52
	v_and_b32_e32 v42, 0x80000000, v42
	v_lshl_add_u32 v34, v34, 23, v54
	v_or3_b32 v34, v42, v34, v52
	v_lshrrev_b32_e32 v54, 16, v34
.LBB868_35:
	s_or_b64 exec, exec, s[10:11]
.LBB868_36:
	s_or_b64 exec, exec, s[8:9]
.LBB868_37:
	s_or_b64 exec, exec, s[2:3]
	v_cmp_ne_u16_sdwa s[8:9], v35, v53 src0_sel:BYTE_0 src1_sel:DWORD
	s_and_saveexec_b64 s[2:3], s[8:9]
	s_cbranch_execz .LBB868_43
; %bb.38:
	s_movk_i32 s8, 0x80
	v_cmp_ne_u16_sdwa s[10:11], v35, s8 src0_sel:BYTE_0 src1_sel:DWORD
	v_mov_b32_e32 v53, 0xffff8000
	s_and_saveexec_b64 s[8:9], s[10:11]
	s_cbranch_execz .LBB868_42
; %bb.39:
	s_movk_i32 s10, 0x7f
	v_and_b32_e32 v34, 0x7f, v35
	v_cmp_ne_u32_e32 vcc, s10, v34
	v_mov_b32_e32 v53, 0x7f80
	s_and_saveexec_b64 s[10:11], vcc
	s_cbranch_execz .LBB868_41
; %bb.40:
	v_and_b32_e32 v55, 7, v35
	v_ffbh_u32_e32 v52, v55
	v_min_u32_e32 v57, 32, v52
	v_mov_b32_e32 v42, v35
	v_subrev_u32_e32 v52, 28, v57
	v_lshlrev_b64 v[52:53], v52, v[42:43]
	v_lshrrev_b32_e32 v56, 3, v34
	v_sub_u32_e32 v42, 29, v57
	v_and_b32_e32 v52, 7, v52
	v_cmp_gt_u32_e32 vcc, 8, v34
	v_cndmask_b32_e32 v34, v56, v42, vcc
	v_cndmask_b32_e32 v42, v55, v52, vcc
	v_lshlrev_b32_e32 v52, 24, v35
	v_bfrev_b32_e32 v53, 60
	v_lshlrev_b32_e32 v42, 20, v42
	v_and_b32_e32 v52, 0x80000000, v52
	v_lshl_add_u32 v34, v34, 23, v53
	v_or3_b32 v34, v52, v34, v42
	v_lshrrev_b32_e32 v53, 16, v34
.LBB868_41:
	s_or_b64 exec, exec, s[10:11]
.LBB868_42:
	s_or_b64 exec, exec, s[8:9]
.LBB868_43:
	s_or_b64 exec, exec, s[2:3]
	v_lshrrev_b16_e32 v34, 8, v35
	v_cmp_ne_u16_e32 vcc, 0, v34
	v_mov_b32_e32 v55, 0
	v_mov_b32_e32 v42, 0
	s_and_saveexec_b64 s[2:3], vcc
	s_cbranch_execz .LBB868_49
; %bb.44:
	s_movk_i32 s8, 0x80
	v_cmp_ne_u16_e32 vcc, s8, v34
	v_mov_b32_e32 v42, 0xffff8000
	s_and_saveexec_b64 s[8:9], vcc
	s_cbranch_execz .LBB868_48
; %bb.45:
	s_movk_i32 s10, 0x7f
	v_and_b32_e32 v52, 0x7f, v34
	v_cmp_ne_u32_e32 vcc, s10, v52
	v_mov_b32_e32 v42, 0x7f80
	s_and_saveexec_b64 s[10:11], vcc
	s_cbranch_execz .LBB868_47
; %bb.46:
	v_and_b32_e32 v42, 7, v34
	v_ffbh_u32_e32 v56, v42
	v_min_u32_e32 v59, 32, v56
	v_subrev_u32_e32 v56, 28, v59
	v_lshlrev_b64 v[56:57], v56, v[34:35]
	v_lshrrev_b32_e32 v58, 3, v52
	v_sub_u32_e32 v34, 29, v59
	v_and_b32_e32 v56, 7, v56
	v_cmp_gt_u32_e32 vcc, 8, v52
	v_cndmask_b32_e32 v34, v58, v34, vcc
	v_cndmask_b32_e32 v42, v42, v56, vcc
	v_lshlrev_b32_e32 v52, 16, v35
	v_bfrev_b32_e32 v56, 60
	v_lshlrev_b32_e32 v42, 20, v42
	v_and_b32_e32 v52, 0x80000000, v52
	v_lshl_add_u32 v34, v34, 23, v56
	v_or3_b32 v34, v52, v34, v42
	v_lshrrev_b32_e32 v42, 16, v34
.LBB868_47:
	s_or_b64 exec, exec, s[10:11]
.LBB868_48:
	s_or_b64 exec, exec, s[8:9]
.LBB868_49:
	s_or_b64 exec, exec, s[2:3]
	s_movk_i32 s2, 0xff
	v_and_b32_sdwa v52, v35, s2 dst_sel:DWORD dst_unused:UNUSED_PAD src0_sel:WORD_1 src1_sel:DWORD
	v_lshrrev_b32_e32 v34, 16, v35
	v_cmp_ne_u16_e32 vcc, 0, v52
	s_and_saveexec_b64 s[2:3], vcc
	s_cbranch_execz .LBB868_55
; %bb.50:
	s_movk_i32 s8, 0x80
	v_cmp_ne_u16_e32 vcc, s8, v52
	v_mov_b32_e32 v55, 0xffff8000
	s_and_saveexec_b64 s[8:9], vcc
	s_cbranch_execz .LBB868_54
; %bb.51:
	v_bfe_u32 v52, v35, 16, 7
	s_movk_i32 s10, 0x7f
	v_cmp_ne_u32_e32 vcc, s10, v52
	v_mov_b32_e32 v55, 0x7f80
	s_and_saveexec_b64 s[10:11], vcc
	s_cbranch_execz .LBB868_53
; %bb.52:
	v_and_b32_e32 v55, 7, v34
	v_ffbh_u32_e32 v56, v55
	v_min_u32_e32 v59, 32, v56
	v_subrev_u32_e32 v56, 28, v59
	v_lshlrev_b64 v[56:57], v56, v[34:35]
	v_and_b32_e32 v56, 7, v56
	v_cmp_gt_u32_e32 vcc, 8, v52
	v_lshrrev_b32_e32 v58, 3, v52
	v_sub_u32_e32 v34, 29, v59
	v_cndmask_b32_e32 v52, v55, v56, vcc
	v_mov_b32_e32 v55, 24
	v_cndmask_b32_e32 v34, v58, v34, vcc
	v_lshlrev_b32_sdwa v55, v55, v35 dst_sel:DWORD dst_unused:UNUSED_PAD src0_sel:DWORD src1_sel:WORD_1
	v_bfrev_b32_e32 v56, 60
	v_lshlrev_b32_e32 v52, 20, v52
	v_and_b32_e32 v55, 0x80000000, v55
	v_lshl_add_u32 v34, v34, 23, v56
	v_or3_b32 v34, v55, v34, v52
	v_lshrrev_b32_e32 v55, 16, v34
.LBB868_53:
	s_or_b64 exec, exec, s[10:11]
.LBB868_54:
	s_or_b64 exec, exec, s[8:9]
.LBB868_55:
	s_or_b64 exec, exec, s[2:3]
	s_mov_b32 s2, 0xffffff
	v_cmp_lt_u32_e32 vcc, s2, v35
	v_mov_b32_e32 v52, 0
	v_mov_b32_e32 v56, 0
	s_and_saveexec_b64 s[2:3], vcc
	s_cbranch_execz .LBB868_61
; %bb.56:
	v_lshrrev_b32_e32 v34, 24, v35
	s_movk_i32 s8, 0x80
	v_cmp_ne_u32_e32 vcc, s8, v34
	v_mov_b32_e32 v56, 0xffff8000
	s_and_saveexec_b64 s[8:9], vcc
	s_cbranch_execz .LBB868_60
; %bb.57:
	v_bfe_u32 v35, v35, 24, 7
	s_movk_i32 s10, 0x7f
	v_cmp_ne_u32_e32 vcc, s10, v35
	v_mov_b32_e32 v56, 0x7f80
	s_and_saveexec_b64 s[10:11], vcc
	s_cbranch_execz .LBB868_59
; %bb.58:
	v_and_b32_e32 v58, 7, v34
	v_ffbh_u32_e32 v56, v58
	v_min_u32_e32 v60, 32, v56
	v_subrev_u32_e32 v56, 28, v60
	v_lshlrev_b64 v[56:57], v56, v[34:35]
	v_lshrrev_b32_e32 v59, 3, v35
	v_sub_u32_e32 v57, 29, v60
	v_and_b32_e32 v56, 7, v56
	v_cmp_gt_u32_e32 vcc, 8, v35
	v_cndmask_b32_e32 v35, v59, v57, vcc
	v_cndmask_b32_e32 v56, v58, v56, vcc
	v_lshlrev_b32_e32 v34, 24, v34
	v_bfrev_b32_e32 v57, 60
	v_lshlrev_b32_e32 v56, 20, v56
	v_and_b32_e32 v34, 0x80000000, v34
	v_lshl_add_u32 v35, v35, 23, v57
	v_or3_b32 v34, v34, v35, v56
	v_lshrrev_b32_e32 v56, 16, v34
.LBB868_59:
	s_or_b64 exec, exec, s[10:11]
.LBB868_60:
	s_or_b64 exec, exec, s[8:9]
.LBB868_61:
	s_or_b64 exec, exec, s[2:3]
	s_mov_b32 s2, 0x5040100
	v_perm_b32 v35, v54, v45, s2
	v_perm_b32 v34, v44, v43, s2
	v_cmp_ne_u16_sdwa s[8:9], v36, v52 src0_sel:BYTE_0 src1_sel:DWORD
	s_nop 0
	v_mfma_f32_16x16x16bf16_1k v[58:61], v[34:35], v[26:27], 0
	v_perm_b32 v35, v56, v55, s2
	v_perm_b32 v34, v42, v53, s2
	s_nop 1
	v_mfma_f32_16x16x16bf16_1k v[42:45], v[34:35], v[28:29], v[58:61]
	s_and_saveexec_b64 s[2:3], s[8:9]
	s_cbranch_execz .LBB868_67
; %bb.62:
	s_movk_i32 s8, 0x80
	v_cmp_ne_u16_sdwa s[10:11], v36, s8 src0_sel:BYTE_0 src1_sel:DWORD
	v_mov_b32_e32 v52, 0xffff8000
	s_and_saveexec_b64 s[8:9], s[10:11]
	s_cbranch_execz .LBB868_66
; %bb.63:
	s_movk_i32 s10, 0x7f
	v_and_b32_e32 v34, 0x7f, v36
	v_cmp_ne_u32_e32 vcc, s10, v34
	v_mov_b32_e32 v52, 0x7f80
	s_and_saveexec_b64 s[10:11], vcc
	s_cbranch_execz .LBB868_65
; %bb.64:
	v_and_b32_e32 v35, 7, v36
	v_ffbh_u32_e32 v52, v35
	v_min_u32_e32 v55, 32, v52
	v_subrev_u32_e32 v52, 28, v55
	v_lshlrev_b64 v[52:53], v52, v[36:37]
	v_lshrrev_b32_e32 v54, 3, v34
	v_sub_u32_e32 v53, 29, v55
	v_and_b32_e32 v52, 7, v52
	v_cmp_gt_u32_e32 vcc, 8, v34
	v_cndmask_b32_e32 v34, v54, v53, vcc
	v_cndmask_b32_e32 v35, v35, v52, vcc
	v_lshlrev_b32_e32 v52, 24, v36
	v_bfrev_b32_e32 v53, 60
	v_lshlrev_b32_e32 v35, 20, v35
	v_and_b32_e32 v52, 0x80000000, v52
	v_lshl_add_u32 v34, v34, 23, v53
	v_or3_b32 v34, v52, v34, v35
	v_lshrrev_b32_e32 v52, 16, v34
.LBB868_65:
	s_or_b64 exec, exec, s[10:11]
.LBB868_66:
	s_or_b64 exec, exec, s[8:9]
.LBB868_67:
	s_or_b64 exec, exec, s[2:3]
	v_lshrrev_b16_e32 v34, 8, v36
	v_cmp_ne_u16_e32 vcc, 0, v34
	v_mov_b32_e32 v54, 0
	v_mov_b32_e32 v35, 0
	s_and_saveexec_b64 s[2:3], vcc
	s_cbranch_execz .LBB868_73
; %bb.68:
	s_movk_i32 s8, 0x80
	v_cmp_ne_u16_e32 vcc, s8, v34
	v_mov_b32_e32 v35, 0xffff8000
	s_and_saveexec_b64 s[8:9], vcc
	s_cbranch_execz .LBB868_72
; %bb.69:
	s_movk_i32 s10, 0x7f
	v_and_b32_e32 v53, 0x7f, v34
	v_cmp_ne_u32_e32 vcc, s10, v53
	v_mov_b32_e32 v35, 0x7f80
	s_and_saveexec_b64 s[10:11], vcc
	s_cbranch_execz .LBB868_71
; %bb.70:
	v_and_b32_e32 v55, 7, v34
	v_ffbh_u32_e32 v35, v55
	v_min_u32_e32 v57, 32, v35
	v_subrev_u32_e32 v35, 28, v57
	v_lshlrev_b64 v[34:35], v35, v[34:35]
	v_lshrrev_b32_e32 v56, 3, v53
	v_sub_u32_e32 v35, 29, v57
	v_and_b32_e32 v34, 7, v34
	v_cmp_gt_u32_e32 vcc, 8, v53
	v_cndmask_b32_e32 v35, v56, v35, vcc
	v_cndmask_b32_e32 v34, v55, v34, vcc
	v_lshlrev_b32_e32 v53, 16, v36
	v_bfrev_b32_e32 v55, 60
	v_lshlrev_b32_e32 v34, 20, v34
	v_and_b32_e32 v53, 0x80000000, v53
	v_lshl_add_u32 v35, v35, 23, v55
	v_or3_b32 v34, v53, v35, v34
	v_lshrrev_b32_e32 v35, 16, v34
.LBB868_71:
	s_or_b64 exec, exec, s[10:11]
.LBB868_72:
	s_or_b64 exec, exec, s[8:9]
.LBB868_73:
	s_or_b64 exec, exec, s[2:3]
	s_movk_i32 s2, 0xff
	v_and_b32_sdwa v53, v36, s2 dst_sel:DWORD dst_unused:UNUSED_PAD src0_sel:WORD_1 src1_sel:DWORD
	v_lshrrev_b32_e32 v34, 16, v36
	v_cmp_ne_u16_e32 vcc, 0, v53
	s_and_saveexec_b64 s[2:3], vcc
	s_cbranch_execz .LBB868_79
; %bb.74:
	s_movk_i32 s8, 0x80
	v_cmp_ne_u16_e32 vcc, s8, v53
	v_mov_b32_e32 v54, 0xffff8000
	s_and_saveexec_b64 s[8:9], vcc
	s_cbranch_execz .LBB868_78
; %bb.75:
	v_bfe_u32 v53, v36, 16, 7
	s_movk_i32 s10, 0x7f
	v_cmp_ne_u32_e32 vcc, s10, v53
	v_mov_b32_e32 v54, 0x7f80
	s_and_saveexec_b64 s[10:11], vcc
	s_cbranch_execz .LBB868_77
; %bb.76:
	v_and_b32_e32 v56, 7, v34
	v_ffbh_u32_e32 v54, v56
	v_min_u32_e32 v58, 32, v54
	v_subrev_u32_e32 v54, 28, v58
	v_lshlrev_b64 v[54:55], v54, v[34:35]
	v_and_b32_e32 v54, 7, v54
	v_cmp_gt_u32_e32 vcc, 8, v53
	v_lshrrev_b32_e32 v57, 3, v53
	v_sub_u32_e32 v34, 29, v58
	v_cndmask_b32_e32 v53, v56, v54, vcc
	v_mov_b32_e32 v54, 24
	v_cndmask_b32_e32 v34, v57, v34, vcc
	v_lshlrev_b32_sdwa v54, v54, v36 dst_sel:DWORD dst_unused:UNUSED_PAD src0_sel:DWORD src1_sel:WORD_1
	v_bfrev_b32_e32 v55, 60
	v_lshlrev_b32_e32 v53, 20, v53
	v_and_b32_e32 v54, 0x80000000, v54
	v_lshl_add_u32 v34, v34, 23, v55
	v_or3_b32 v34, v54, v34, v53
	v_lshrrev_b32_e32 v54, 16, v34
.LBB868_77:
	s_or_b64 exec, exec, s[10:11]
.LBB868_78:
	s_or_b64 exec, exec, s[8:9]
.LBB868_79:
	s_or_b64 exec, exec, s[2:3]
	s_mov_b32 s2, 0xffffff
	v_cmp_lt_u32_e32 vcc, s2, v36
	v_mov_b32_e32 v55, 0
	v_mov_b32_e32 v56, 0
	s_and_saveexec_b64 s[2:3], vcc
	s_cbranch_execz .LBB868_85
; %bb.80:
	v_lshrrev_b32_e32 v34, 24, v36
	s_movk_i32 s8, 0x80
	v_cmp_ne_u32_e32 vcc, s8, v34
	v_mov_b32_e32 v56, 0xffff8000
	s_and_saveexec_b64 s[8:9], vcc
	s_cbranch_execz .LBB868_84
; %bb.81:
	v_bfe_u32 v36, v36, 24, 7
	s_movk_i32 s10, 0x7f
	v_cmp_ne_u32_e32 vcc, s10, v36
	v_mov_b32_e32 v56, 0x7f80
	s_and_saveexec_b64 s[10:11], vcc
	s_cbranch_execz .LBB868_83
; %bb.82:
	v_and_b32_e32 v53, 7, v34
	v_ffbh_u32_e32 v56, v53
	v_min_u32_e32 v59, 32, v56
	v_subrev_u32_e32 v56, 28, v59
	v_lshlrev_b64 v[56:57], v56, v[34:35]
	v_lshrrev_b32_e32 v58, 3, v36
	v_sub_u32_e32 v57, 29, v59
	v_and_b32_e32 v56, 7, v56
	v_cmp_gt_u32_e32 vcc, 8, v36
	v_cndmask_b32_e32 v36, v58, v57, vcc
	v_cndmask_b32_e32 v53, v53, v56, vcc
	v_lshlrev_b32_e32 v34, 24, v34
	v_bfrev_b32_e32 v56, 60
	v_lshlrev_b32_e32 v53, 20, v53
	v_and_b32_e32 v34, 0x80000000, v34
	v_lshl_add_u32 v36, v36, 23, v56
	v_or3_b32 v34, v34, v36, v53
	v_lshrrev_b32_e32 v56, 16, v34
.LBB868_83:
	s_or_b64 exec, exec, s[10:11]
.LBB868_84:
	s_or_b64 exec, exec, s[8:9]
.LBB868_85:
	s_or_b64 exec, exec, s[2:3]
	v_cmp_ne_u16_sdwa s[8:9], v37, v55 src0_sel:BYTE_0 src1_sel:DWORD
	s_and_saveexec_b64 s[2:3], s[8:9]
	s_cbranch_execz .LBB868_91
; %bb.86:
	s_movk_i32 s8, 0x80
	v_cmp_ne_u16_sdwa s[10:11], v37, s8 src0_sel:BYTE_0 src1_sel:DWORD
	v_mov_b32_e32 v55, 0xffff8000
	s_and_saveexec_b64 s[8:9], s[10:11]
	s_cbranch_execz .LBB868_90
; %bb.87:
	s_movk_i32 s10, 0x7f
	v_and_b32_e32 v34, 0x7f, v37
	v_cmp_ne_u32_e32 vcc, s10, v34
	v_mov_b32_e32 v55, 0x7f80
	s_and_saveexec_b64 s[10:11], vcc
	s_cbranch_execz .LBB868_89
; %bb.88:
	v_and_b32_e32 v53, 7, v37
	v_ffbh_u32_e32 v57, v53
	v_min_u32_e32 v57, 32, v57
	v_mov_b32_e32 v36, v37
	v_subrev_u32_e32 v58, 28, v57
	v_lshlrev_b64 v[58:59], v58, v[36:37]
	v_lshrrev_b32_e32 v55, 3, v34
	v_sub_u32_e32 v36, 29, v57
	v_and_b32_e32 v57, 7, v58
	v_cmp_gt_u32_e32 vcc, 8, v34
	v_cndmask_b32_e32 v34, v55, v36, vcc
	v_cndmask_b32_e32 v36, v53, v57, vcc
	v_lshlrev_b32_e32 v53, 24, v37
	v_bfrev_b32_e32 v55, 60
	v_lshlrev_b32_e32 v36, 20, v36
	v_and_b32_e32 v53, 0x80000000, v53
	v_lshl_add_u32 v34, v34, 23, v55
	v_or3_b32 v34, v53, v34, v36
	v_lshrrev_b32_e32 v55, 16, v34
.LBB868_89:
	s_or_b64 exec, exec, s[10:11]
.LBB868_90:
	s_or_b64 exec, exec, s[8:9]
.LBB868_91:
	s_or_b64 exec, exec, s[2:3]
	v_lshrrev_b16_e32 v34, 8, v37
	v_cmp_ne_u16_e32 vcc, 0, v34
	v_mov_b32_e32 v57, 0
	v_mov_b32_e32 v36, 0
	s_and_saveexec_b64 s[2:3], vcc
	s_cbranch_execz .LBB868_97
; %bb.92:
	s_movk_i32 s8, 0x80
	v_cmp_ne_u16_e32 vcc, s8, v34
	v_mov_b32_e32 v36, 0xffff8000
	s_and_saveexec_b64 s[8:9], vcc
	s_cbranch_execz .LBB868_96
; %bb.93:
	s_movk_i32 s10, 0x7f
	v_and_b32_e32 v53, 0x7f, v34
	v_cmp_ne_u32_e32 vcc, s10, v53
	v_mov_b32_e32 v36, 0x7f80
	s_and_saveexec_b64 s[10:11], vcc
	s_cbranch_execz .LBB868_95
; %bb.94:
	v_and_b32_e32 v36, 7, v34
	v_ffbh_u32_e32 v58, v36
	v_min_u32_e32 v61, 32, v58
	v_subrev_u32_e32 v58, 28, v61
	v_lshlrev_b64 v[58:59], v58, v[34:35]
	v_lshrrev_b32_e32 v60, 3, v53
	v_sub_u32_e32 v34, 29, v61
	v_and_b32_e32 v58, 7, v58
	v_cmp_gt_u32_e32 vcc, 8, v53
	v_cndmask_b32_e32 v34, v60, v34, vcc
	v_cndmask_b32_e32 v36, v36, v58, vcc
	v_lshlrev_b32_e32 v53, 16, v37
	v_bfrev_b32_e32 v58, 60
	v_lshlrev_b32_e32 v36, 20, v36
	v_and_b32_e32 v53, 0x80000000, v53
	v_lshl_add_u32 v34, v34, 23, v58
	v_or3_b32 v34, v53, v34, v36
	v_lshrrev_b32_e32 v36, 16, v34
.LBB868_95:
	s_or_b64 exec, exec, s[10:11]
.LBB868_96:
	s_or_b64 exec, exec, s[8:9]
.LBB868_97:
	s_or_b64 exec, exec, s[2:3]
	s_movk_i32 s2, 0xff
	v_and_b32_sdwa v53, v37, s2 dst_sel:DWORD dst_unused:UNUSED_PAD src0_sel:WORD_1 src1_sel:DWORD
	v_lshrrev_b32_e32 v34, 16, v37
	v_cmp_ne_u16_e32 vcc, 0, v53
	s_and_saveexec_b64 s[2:3], vcc
	s_cbranch_execz .LBB868_103
; %bb.98:
	s_movk_i32 s8, 0x80
	v_cmp_ne_u16_e32 vcc, s8, v53
	v_mov_b32_e32 v57, 0xffff8000
	s_and_saveexec_b64 s[8:9], vcc
	s_cbranch_execz .LBB868_102
; %bb.99:
	v_bfe_u32 v53, v37, 16, 7
	s_movk_i32 s10, 0x7f
	v_cmp_ne_u32_e32 vcc, s10, v53
	v_mov_b32_e32 v57, 0x7f80
	s_and_saveexec_b64 s[10:11], vcc
	s_cbranch_execz .LBB868_101
; %bb.100:
	v_and_b32_e32 v57, 7, v34
	v_ffbh_u32_e32 v58, v57
	v_min_u32_e32 v61, 32, v58
	v_subrev_u32_e32 v58, 28, v61
	v_lshlrev_b64 v[58:59], v58, v[34:35]
	v_and_b32_e32 v58, 7, v58
	v_cmp_gt_u32_e32 vcc, 8, v53
	v_lshrrev_b32_e32 v60, 3, v53
	v_sub_u32_e32 v34, 29, v61
	v_cndmask_b32_e32 v53, v57, v58, vcc
	v_mov_b32_e32 v57, 24
	v_cndmask_b32_e32 v34, v60, v34, vcc
	v_lshlrev_b32_sdwa v57, v57, v37 dst_sel:DWORD dst_unused:UNUSED_PAD src0_sel:DWORD src1_sel:WORD_1
	v_bfrev_b32_e32 v58, 60
	v_lshlrev_b32_e32 v53, 20, v53
	v_and_b32_e32 v57, 0x80000000, v57
	v_lshl_add_u32 v34, v34, 23, v58
	v_or3_b32 v34, v57, v34, v53
	v_lshrrev_b32_e32 v57, 16, v34
.LBB868_101:
	s_or_b64 exec, exec, s[10:11]
.LBB868_102:
	s_or_b64 exec, exec, s[8:9]
.LBB868_103:
	s_or_b64 exec, exec, s[2:3]
	s_mov_b32 s2, 0xffffff
	v_cmp_lt_u32_e32 vcc, s2, v37
	v_mov_b32_e32 v53, 0
	v_mov_b32_e32 v58, 0
	s_and_saveexec_b64 s[2:3], vcc
	s_cbranch_execz .LBB868_109
; %bb.104:
	v_lshrrev_b32_e32 v34, 24, v37
	s_movk_i32 s8, 0x80
	v_cmp_ne_u32_e32 vcc, s8, v34
	v_mov_b32_e32 v58, 0xffff8000
	s_and_saveexec_b64 s[8:9], vcc
	s_cbranch_execz .LBB868_108
; %bb.105:
	v_bfe_u32 v37, v37, 24, 7
	s_movk_i32 s10, 0x7f
	v_cmp_ne_u32_e32 vcc, s10, v37
	v_mov_b32_e32 v58, 0x7f80
	s_and_saveexec_b64 s[10:11], vcc
	s_cbranch_execz .LBB868_107
; %bb.106:
	v_and_b32_e32 v60, 7, v34
	v_ffbh_u32_e32 v58, v60
	v_min_u32_e32 v62, 32, v58
	v_subrev_u32_e32 v58, 28, v62
	v_lshlrev_b64 v[58:59], v58, v[34:35]
	v_lshrrev_b32_e32 v61, 3, v37
	v_sub_u32_e32 v59, 29, v62
	v_and_b32_e32 v58, 7, v58
	v_cmp_gt_u32_e32 vcc, 8, v37
	v_cndmask_b32_e32 v37, v61, v59, vcc
	v_cndmask_b32_e32 v58, v60, v58, vcc
	v_lshlrev_b32_e32 v34, 24, v34
	v_bfrev_b32_e32 v59, 60
	v_lshlrev_b32_e32 v58, 20, v58
	v_and_b32_e32 v34, 0x80000000, v34
	v_lshl_add_u32 v37, v37, 23, v59
	v_or3_b32 v34, v34, v37, v58
	v_lshrrev_b32_e32 v58, 16, v34
.LBB868_107:
	s_or_b64 exec, exec, s[10:11]
.LBB868_108:
	s_or_b64 exec, exec, s[8:9]
.LBB868_109:
	s_or_b64 exec, exec, s[2:3]
	s_mov_b32 s2, 0x5040100
	v_perm_b32 v61, v56, v54, s2
	v_perm_b32 v60, v35, v52, s2
	;; [unrolled: 1-line block ×4, first 2 shown]
	v_cmp_ne_u16_sdwa s[8:9], v38, v53 src0_sel:BYTE_0 src1_sel:DWORD
	v_mfma_f32_16x16x16bf16_1k v[42:45], v[60:61], v[18:19], v[42:45]
	v_mfma_f32_16x16x16bf16_1k v[34:37], v[34:35], v[20:21], v[42:45]
	s_and_saveexec_b64 s[2:3], s[8:9]
	s_cbranch_execz .LBB868_115
; %bb.110:
	s_movk_i32 s8, 0x80
	v_cmp_ne_u16_sdwa s[10:11], v38, s8 src0_sel:BYTE_0 src1_sel:DWORD
	v_mov_b32_e32 v53, 0xffff8000
	s_and_saveexec_b64 s[8:9], s[10:11]
	s_cbranch_execz .LBB868_114
; %bb.111:
	s_movk_i32 s10, 0x7f
	s_nop 1
	v_and_b32_e32 v42, 0x7f, v38
	v_cmp_ne_u32_e32 vcc, s10, v42
	v_mov_b32_e32 v53, 0x7f80
	s_and_saveexec_b64 s[10:11], vcc
	s_cbranch_execz .LBB868_113
; %bb.112:
	v_and_b32_e32 v43, 7, v38
	v_ffbh_u32_e32 v44, v43
	v_min_u32_e32 v53, 32, v44
	v_subrev_u32_e32 v44, 28, v53
	v_lshlrev_b64 v[44:45], v44, v[38:39]
	v_lshrrev_b32_e32 v52, 3, v42
	v_sub_u32_e32 v45, 29, v53
	v_and_b32_e32 v44, 7, v44
	v_cmp_gt_u32_e32 vcc, 8, v42
	v_cndmask_b32_e32 v42, v52, v45, vcc
	v_cndmask_b32_e32 v43, v43, v44, vcc
	v_lshlrev_b32_e32 v44, 24, v38
	v_bfrev_b32_e32 v45, 60
	v_lshlrev_b32_e32 v43, 20, v43
	v_and_b32_e32 v44, 0x80000000, v44
	v_lshl_add_u32 v42, v42, 23, v45
	v_or3_b32 v42, v44, v42, v43
	v_lshrrev_b32_e32 v53, 16, v42
.LBB868_113:
	s_or_b64 exec, exec, s[10:11]
.LBB868_114:
	s_or_b64 exec, exec, s[8:9]
.LBB868_115:
	s_or_b64 exec, exec, s[2:3]
	s_nop 6
	v_lshrrev_b16_e32 v42, 8, v38
	v_cmp_ne_u16_e32 vcc, 0, v42
	v_mov_b32_e32 v44, 0
	v_mov_b32_e32 v43, 0
	s_and_saveexec_b64 s[2:3], vcc
	s_cbranch_execz .LBB868_121
; %bb.116:
	s_movk_i32 s8, 0x80
	v_cmp_ne_u16_e32 vcc, s8, v42
	v_mov_b32_e32 v43, 0xffff8000
	s_and_saveexec_b64 s[8:9], vcc
	s_cbranch_execz .LBB868_120
; %bb.117:
	s_movk_i32 s10, 0x7f
	v_and_b32_e32 v45, 0x7f, v42
	v_cmp_ne_u32_e32 vcc, s10, v45
	v_mov_b32_e32 v43, 0x7f80
	s_and_saveexec_b64 s[10:11], vcc
	s_cbranch_execz .LBB868_119
; %bb.118:
	v_and_b32_e32 v52, 7, v42
	v_ffbh_u32_e32 v43, v52
	v_min_u32_e32 v55, 32, v43
	v_subrev_u32_e32 v43, 28, v55
	v_lshlrev_b64 v[42:43], v43, v[42:43]
	v_lshrrev_b32_e32 v54, 3, v45
	v_sub_u32_e32 v43, 29, v55
	v_and_b32_e32 v42, 7, v42
	v_cmp_gt_u32_e32 vcc, 8, v45
	v_cndmask_b32_e32 v43, v54, v43, vcc
	v_cndmask_b32_e32 v42, v52, v42, vcc
	v_lshlrev_b32_e32 v45, 16, v38
	v_bfrev_b32_e32 v52, 60
	v_lshlrev_b32_e32 v42, 20, v42
	v_and_b32_e32 v45, 0x80000000, v45
	v_lshl_add_u32 v43, v43, 23, v52
	v_or3_b32 v42, v45, v43, v42
	v_lshrrev_b32_e32 v43, 16, v42
.LBB868_119:
	s_or_b64 exec, exec, s[10:11]
.LBB868_120:
	s_or_b64 exec, exec, s[8:9]
.LBB868_121:
	s_or_b64 exec, exec, s[2:3]
	s_movk_i32 s2, 0xff
	v_and_b32_sdwa v45, v38, s2 dst_sel:DWORD dst_unused:UNUSED_PAD src0_sel:WORD_1 src1_sel:DWORD
	v_lshrrev_b32_e32 v42, 16, v38
	v_cmp_ne_u16_e32 vcc, 0, v45
	s_and_saveexec_b64 s[2:3], vcc
	s_cbranch_execz .LBB868_127
; %bb.122:
	s_movk_i32 s8, 0x80
	v_cmp_ne_u16_e32 vcc, s8, v45
	v_mov_b32_e32 v44, 0xffff8000
	s_and_saveexec_b64 s[8:9], vcc
	s_cbranch_execz .LBB868_126
; %bb.123:
	v_bfe_u32 v45, v38, 16, 7
	s_movk_i32 s10, 0x7f
	v_cmp_ne_u32_e32 vcc, s10, v45
	v_mov_b32_e32 v44, 0x7f80
	s_and_saveexec_b64 s[10:11], vcc
	s_cbranch_execz .LBB868_125
; %bb.124:
	v_and_b32_e32 v44, 7, v42
	v_ffbh_u32_e32 v54, v44
	v_min_u32_e32 v56, 32, v54
	v_subrev_u32_e32 v54, 28, v56
	v_lshlrev_b64 v[54:55], v54, v[42:43]
	v_lshrrev_b32_e32 v52, 3, v45
	v_sub_u32_e32 v42, 29, v56
	v_and_b32_e32 v54, 7, v54
	v_cmp_gt_u32_e32 vcc, 8, v45
	v_mov_b32_e32 v45, 24
	v_cndmask_b32_e32 v42, v52, v42, vcc
	v_cndmask_b32_e32 v44, v44, v54, vcc
	v_lshlrev_b32_sdwa v45, v45, v38 dst_sel:DWORD dst_unused:UNUSED_PAD src0_sel:DWORD src1_sel:WORD_1
	v_bfrev_b32_e32 v52, 60
	v_lshlrev_b32_e32 v44, 20, v44
	v_and_b32_e32 v45, 0x80000000, v45
	v_lshl_add_u32 v42, v42, 23, v52
	v_or3_b32 v42, v45, v42, v44
	v_lshrrev_b32_e32 v44, 16, v42
.LBB868_125:
	s_or_b64 exec, exec, s[10:11]
.LBB868_126:
	s_or_b64 exec, exec, s[8:9]
.LBB868_127:
	s_or_b64 exec, exec, s[2:3]
	s_mov_b32 s2, 0xffffff
	v_cmp_lt_u32_e32 vcc, s2, v38
	v_mov_b32_e32 v45, 0
	v_mov_b32_e32 v54, 0
	s_and_saveexec_b64 s[2:3], vcc
	s_cbranch_execz .LBB868_133
; %bb.128:
	v_lshrrev_b32_e32 v42, 24, v38
	s_movk_i32 s8, 0x80
	v_cmp_ne_u32_e32 vcc, s8, v42
	v_mov_b32_e32 v54, 0xffff8000
	s_and_saveexec_b64 s[8:9], vcc
	s_cbranch_execz .LBB868_132
; %bb.129:
	v_bfe_u32 v38, v38, 24, 7
	s_movk_i32 s10, 0x7f
	v_cmp_ne_u32_e32 vcc, s10, v38
	v_mov_b32_e32 v54, 0x7f80
	s_and_saveexec_b64 s[10:11], vcc
	s_cbranch_execz .LBB868_131
; %bb.130:
	v_and_b32_e32 v52, 7, v42
	v_ffbh_u32_e32 v54, v52
	v_min_u32_e32 v57, 32, v54
	v_subrev_u32_e32 v54, 28, v57
	v_lshlrev_b64 v[54:55], v54, v[42:43]
	v_lshrrev_b32_e32 v56, 3, v38
	v_sub_u32_e32 v55, 29, v57
	v_and_b32_e32 v54, 7, v54
	v_cmp_gt_u32_e32 vcc, 8, v38
	v_cndmask_b32_e32 v38, v56, v55, vcc
	v_cndmask_b32_e32 v52, v52, v54, vcc
	v_lshlrev_b32_e32 v42, 24, v42
	v_bfrev_b32_e32 v54, 60
	v_lshlrev_b32_e32 v52, 20, v52
	v_and_b32_e32 v42, 0x80000000, v42
	v_lshl_add_u32 v38, v38, 23, v54
	v_or3_b32 v38, v42, v38, v52
	v_lshrrev_b32_e32 v54, 16, v38
.LBB868_131:
	s_or_b64 exec, exec, s[10:11]
.LBB868_132:
	s_or_b64 exec, exec, s[8:9]
.LBB868_133:
	s_or_b64 exec, exec, s[2:3]
	v_cmp_ne_u16_sdwa s[8:9], v39, v45 src0_sel:BYTE_0 src1_sel:DWORD
	s_and_saveexec_b64 s[2:3], s[8:9]
	s_cbranch_execz .LBB868_139
; %bb.134:
	s_movk_i32 s8, 0x80
	v_cmp_ne_u16_sdwa s[10:11], v39, s8 src0_sel:BYTE_0 src1_sel:DWORD
	v_mov_b32_e32 v45, 0xffff8000
	s_and_saveexec_b64 s[8:9], s[10:11]
	s_cbranch_execz .LBB868_138
; %bb.135:
	s_movk_i32 s10, 0x7f
	v_and_b32_e32 v38, 0x7f, v39
	v_cmp_ne_u32_e32 vcc, s10, v38
	v_mov_b32_e32 v45, 0x7f80
	s_and_saveexec_b64 s[10:11], vcc
	s_cbranch_execz .LBB868_137
; %bb.136:
	v_and_b32_e32 v45, 7, v39
	v_ffbh_u32_e32 v55, v45
	v_min_u32_e32 v55, 32, v55
	v_mov_b32_e32 v42, v39
	v_subrev_u32_e32 v56, 28, v55
	v_lshlrev_b64 v[56:57], v56, v[42:43]
	v_lshrrev_b32_e32 v52, 3, v38
	v_sub_u32_e32 v42, 29, v55
	v_and_b32_e32 v55, 7, v56
	v_cmp_gt_u32_e32 vcc, 8, v38
	v_cndmask_b32_e32 v38, v52, v42, vcc
	v_cndmask_b32_e32 v42, v45, v55, vcc
	v_lshlrev_b32_e32 v45, 24, v39
	v_bfrev_b32_e32 v52, 60
	v_lshlrev_b32_e32 v42, 20, v42
	v_and_b32_e32 v45, 0x80000000, v45
	v_lshl_add_u32 v38, v38, 23, v52
	v_or3_b32 v38, v45, v38, v42
	v_lshrrev_b32_e32 v45, 16, v38
.LBB868_137:
	s_or_b64 exec, exec, s[10:11]
.LBB868_138:
	s_or_b64 exec, exec, s[8:9]
.LBB868_139:
	s_or_b64 exec, exec, s[2:3]
	v_lshrrev_b16_e32 v38, 8, v39
	v_cmp_ne_u16_e32 vcc, 0, v38
	v_mov_b32_e32 v55, 0
	v_mov_b32_e32 v42, 0
	s_and_saveexec_b64 s[2:3], vcc
	s_cbranch_execz .LBB868_145
; %bb.140:
	s_movk_i32 s8, 0x80
	v_cmp_ne_u16_e32 vcc, s8, v38
	v_mov_b32_e32 v42, 0xffff8000
	s_and_saveexec_b64 s[8:9], vcc
	s_cbranch_execz .LBB868_144
; %bb.141:
	s_movk_i32 s10, 0x7f
	v_and_b32_e32 v52, 0x7f, v38
	v_cmp_ne_u32_e32 vcc, s10, v52
	v_mov_b32_e32 v42, 0x7f80
	s_and_saveexec_b64 s[10:11], vcc
	s_cbranch_execz .LBB868_143
; %bb.142:
	v_and_b32_e32 v42, 7, v38
	v_ffbh_u32_e32 v56, v42
	v_min_u32_e32 v59, 32, v56
	v_subrev_u32_e32 v56, 28, v59
	v_lshlrev_b64 v[56:57], v56, v[38:39]
	v_lshrrev_b32_e32 v58, 3, v52
	v_sub_u32_e32 v38, 29, v59
	v_and_b32_e32 v56, 7, v56
	v_cmp_gt_u32_e32 vcc, 8, v52
	v_cndmask_b32_e32 v38, v58, v38, vcc
	v_cndmask_b32_e32 v42, v42, v56, vcc
	v_lshlrev_b32_e32 v52, 16, v39
	v_bfrev_b32_e32 v56, 60
	v_lshlrev_b32_e32 v42, 20, v42
	v_and_b32_e32 v52, 0x80000000, v52
	v_lshl_add_u32 v38, v38, 23, v56
	v_or3_b32 v38, v52, v38, v42
	v_lshrrev_b32_e32 v42, 16, v38
.LBB868_143:
	s_or_b64 exec, exec, s[10:11]
.LBB868_144:
	s_or_b64 exec, exec, s[8:9]
.LBB868_145:
	s_or_b64 exec, exec, s[2:3]
	s_movk_i32 s2, 0xff
	v_and_b32_sdwa v52, v39, s2 dst_sel:DWORD dst_unused:UNUSED_PAD src0_sel:WORD_1 src1_sel:DWORD
	v_lshrrev_b32_e32 v38, 16, v39
	v_cmp_ne_u16_e32 vcc, 0, v52
	s_and_saveexec_b64 s[2:3], vcc
	s_cbranch_execz .LBB868_151
; %bb.146:
	s_movk_i32 s8, 0x80
	v_cmp_ne_u16_e32 vcc, s8, v52
	v_mov_b32_e32 v55, 0xffff8000
	s_and_saveexec_b64 s[8:9], vcc
	s_cbranch_execz .LBB868_150
; %bb.147:
	v_bfe_u32 v52, v39, 16, 7
	s_movk_i32 s10, 0x7f
	v_cmp_ne_u32_e32 vcc, s10, v52
	v_mov_b32_e32 v55, 0x7f80
	s_and_saveexec_b64 s[10:11], vcc
	s_cbranch_execz .LBB868_149
; %bb.148:
	v_and_b32_e32 v55, 7, v38
	v_ffbh_u32_e32 v56, v55
	v_min_u32_e32 v59, 32, v56
	v_subrev_u32_e32 v56, 28, v59
	v_lshlrev_b64 v[56:57], v56, v[38:39]
	v_and_b32_e32 v56, 7, v56
	v_cmp_gt_u32_e32 vcc, 8, v52
	v_lshrrev_b32_e32 v58, 3, v52
	v_sub_u32_e32 v38, 29, v59
	v_cndmask_b32_e32 v52, v55, v56, vcc
	v_mov_b32_e32 v55, 24
	v_cndmask_b32_e32 v38, v58, v38, vcc
	v_lshlrev_b32_sdwa v55, v55, v39 dst_sel:DWORD dst_unused:UNUSED_PAD src0_sel:DWORD src1_sel:WORD_1
	v_bfrev_b32_e32 v56, 60
	v_lshlrev_b32_e32 v52, 20, v52
	v_and_b32_e32 v55, 0x80000000, v55
	v_lshl_add_u32 v38, v38, 23, v56
	v_or3_b32 v38, v55, v38, v52
	v_lshrrev_b32_e32 v55, 16, v38
.LBB868_149:
	s_or_b64 exec, exec, s[10:11]
.LBB868_150:
	s_or_b64 exec, exec, s[8:9]
.LBB868_151:
	s_or_b64 exec, exec, s[2:3]
	s_mov_b32 s2, 0xffffff
	v_cmp_lt_u32_e32 vcc, s2, v39
	v_mov_b32_e32 v52, 0
	v_mov_b32_e32 v56, 0
	s_and_saveexec_b64 s[2:3], vcc
	s_cbranch_execz .LBB868_157
; %bb.152:
	v_lshrrev_b32_e32 v38, 24, v39
	s_movk_i32 s8, 0x80
	v_cmp_ne_u32_e32 vcc, s8, v38
	v_mov_b32_e32 v56, 0xffff8000
	s_and_saveexec_b64 s[8:9], vcc
	s_cbranch_execz .LBB868_156
; %bb.153:
	v_bfe_u32 v39, v39, 24, 7
	s_movk_i32 s10, 0x7f
	v_cmp_ne_u32_e32 vcc, s10, v39
	v_mov_b32_e32 v56, 0x7f80
	s_and_saveexec_b64 s[10:11], vcc
	s_cbranch_execz .LBB868_155
; %bb.154:
	v_and_b32_e32 v58, 7, v38
	v_ffbh_u32_e32 v56, v58
	v_min_u32_e32 v60, 32, v56
	v_subrev_u32_e32 v56, 28, v60
	v_lshlrev_b64 v[56:57], v56, v[38:39]
	v_lshrrev_b32_e32 v59, 3, v39
	v_sub_u32_e32 v57, 29, v60
	v_and_b32_e32 v56, 7, v56
	v_cmp_gt_u32_e32 vcc, 8, v39
	v_cndmask_b32_e32 v39, v59, v57, vcc
	v_cndmask_b32_e32 v56, v58, v56, vcc
	v_lshlrev_b32_e32 v38, 24, v38
	v_bfrev_b32_e32 v57, 60
	v_lshlrev_b32_e32 v56, 20, v56
	v_and_b32_e32 v38, 0x80000000, v38
	v_lshl_add_u32 v39, v39, 23, v57
	v_or3_b32 v38, v38, v39, v56
	v_lshrrev_b32_e32 v56, 16, v38
.LBB868_155:
	s_or_b64 exec, exec, s[10:11]
.LBB868_156:
	s_or_b64 exec, exec, s[8:9]
.LBB868_157:
	s_or_b64 exec, exec, s[2:3]
	s_mov_b32 s2, 0x5040100
	v_perm_b32 v39, v54, v44, s2
	v_perm_b32 v38, v43, v53, s2
	v_cmp_ne_u16_sdwa s[8:9], v40, v52 src0_sel:BYTE_0 src1_sel:DWORD
	s_nop 0
	v_mfma_f32_16x16x16bf16_1k v[58:61], v[38:39], v[26:27], 0
	v_perm_b32 v39, v56, v55, s2
	v_perm_b32 v38, v42, v45, s2
	s_nop 1
	v_mfma_f32_16x16x16bf16_1k v[42:45], v[38:39], v[28:29], v[58:61]
	s_and_saveexec_b64 s[2:3], s[8:9]
	s_cbranch_execz .LBB868_163
; %bb.158:
	s_movk_i32 s8, 0x80
	v_cmp_ne_u16_sdwa s[10:11], v40, s8 src0_sel:BYTE_0 src1_sel:DWORD
	v_mov_b32_e32 v52, 0xffff8000
	s_and_saveexec_b64 s[8:9], s[10:11]
	s_cbranch_execz .LBB868_162
; %bb.159:
	s_movk_i32 s10, 0x7f
	v_and_b32_e32 v38, 0x7f, v40
	v_cmp_ne_u32_e32 vcc, s10, v38
	v_mov_b32_e32 v52, 0x7f80
	s_and_saveexec_b64 s[10:11], vcc
	s_cbranch_execz .LBB868_161
; %bb.160:
	v_and_b32_e32 v39, 7, v40
	v_ffbh_u32_e32 v52, v39
	v_min_u32_e32 v55, 32, v52
	v_subrev_u32_e32 v52, 28, v55
	v_lshlrev_b64 v[52:53], v52, v[40:41]
	v_lshrrev_b32_e32 v54, 3, v38
	v_sub_u32_e32 v53, 29, v55
	v_and_b32_e32 v52, 7, v52
	v_cmp_gt_u32_e32 vcc, 8, v38
	v_cndmask_b32_e32 v38, v54, v53, vcc
	v_cndmask_b32_e32 v39, v39, v52, vcc
	v_lshlrev_b32_e32 v52, 24, v40
	v_bfrev_b32_e32 v53, 60
	v_lshlrev_b32_e32 v39, 20, v39
	v_and_b32_e32 v52, 0x80000000, v52
	v_lshl_add_u32 v38, v38, 23, v53
	v_or3_b32 v38, v52, v38, v39
	v_lshrrev_b32_e32 v52, 16, v38
.LBB868_161:
	s_or_b64 exec, exec, s[10:11]
.LBB868_162:
	s_or_b64 exec, exec, s[8:9]
.LBB868_163:
	s_or_b64 exec, exec, s[2:3]
	v_lshrrev_b16_e32 v38, 8, v40
	v_cmp_ne_u16_e32 vcc, 0, v38
	v_mov_b32_e32 v54, 0
	v_mov_b32_e32 v39, 0
	s_and_saveexec_b64 s[2:3], vcc
	s_cbranch_execz .LBB868_169
; %bb.164:
	s_movk_i32 s8, 0x80
	v_cmp_ne_u16_e32 vcc, s8, v38
	v_mov_b32_e32 v39, 0xffff8000
	s_and_saveexec_b64 s[8:9], vcc
	s_cbranch_execz .LBB868_168
; %bb.165:
	s_movk_i32 s10, 0x7f
	v_and_b32_e32 v53, 0x7f, v38
	v_cmp_ne_u32_e32 vcc, s10, v53
	v_mov_b32_e32 v39, 0x7f80
	s_and_saveexec_b64 s[10:11], vcc
	s_cbranch_execz .LBB868_167
; %bb.166:
	v_and_b32_e32 v55, 7, v38
	v_ffbh_u32_e32 v39, v55
	v_min_u32_e32 v57, 32, v39
	v_subrev_u32_e32 v39, 28, v57
	v_lshlrev_b64 v[38:39], v39, v[38:39]
	v_lshrrev_b32_e32 v56, 3, v53
	v_sub_u32_e32 v39, 29, v57
	v_and_b32_e32 v38, 7, v38
	v_cmp_gt_u32_e32 vcc, 8, v53
	v_cndmask_b32_e32 v39, v56, v39, vcc
	v_cndmask_b32_e32 v38, v55, v38, vcc
	v_lshlrev_b32_e32 v53, 16, v40
	v_bfrev_b32_e32 v55, 60
	v_lshlrev_b32_e32 v38, 20, v38
	v_and_b32_e32 v53, 0x80000000, v53
	v_lshl_add_u32 v39, v39, 23, v55
	v_or3_b32 v38, v53, v39, v38
	v_lshrrev_b32_e32 v39, 16, v38
.LBB868_167:
	s_or_b64 exec, exec, s[10:11]
.LBB868_168:
	s_or_b64 exec, exec, s[8:9]
.LBB868_169:
	s_or_b64 exec, exec, s[2:3]
	s_movk_i32 s2, 0xff
	v_and_b32_sdwa v53, v40, s2 dst_sel:DWORD dst_unused:UNUSED_PAD src0_sel:WORD_1 src1_sel:DWORD
	v_lshrrev_b32_e32 v38, 16, v40
	v_cmp_ne_u16_e32 vcc, 0, v53
	s_and_saveexec_b64 s[2:3], vcc
	s_cbranch_execz .LBB868_175
; %bb.170:
	s_movk_i32 s8, 0x80
	v_cmp_ne_u16_e32 vcc, s8, v53
	v_mov_b32_e32 v54, 0xffff8000
	s_and_saveexec_b64 s[8:9], vcc
	s_cbranch_execz .LBB868_174
; %bb.171:
	v_bfe_u32 v53, v40, 16, 7
	s_movk_i32 s10, 0x7f
	v_cmp_ne_u32_e32 vcc, s10, v53
	v_mov_b32_e32 v54, 0x7f80
	s_and_saveexec_b64 s[10:11], vcc
	s_cbranch_execz .LBB868_173
; %bb.172:
	v_and_b32_e32 v56, 7, v38
	v_ffbh_u32_e32 v54, v56
	v_min_u32_e32 v58, 32, v54
	v_subrev_u32_e32 v54, 28, v58
	v_lshlrev_b64 v[54:55], v54, v[38:39]
	v_and_b32_e32 v54, 7, v54
	v_cmp_gt_u32_e32 vcc, 8, v53
	v_lshrrev_b32_e32 v57, 3, v53
	v_sub_u32_e32 v38, 29, v58
	v_cndmask_b32_e32 v53, v56, v54, vcc
	v_mov_b32_e32 v54, 24
	v_cndmask_b32_e32 v38, v57, v38, vcc
	v_lshlrev_b32_sdwa v54, v54, v40 dst_sel:DWORD dst_unused:UNUSED_PAD src0_sel:DWORD src1_sel:WORD_1
	v_bfrev_b32_e32 v55, 60
	v_lshlrev_b32_e32 v53, 20, v53
	v_and_b32_e32 v54, 0x80000000, v54
	v_lshl_add_u32 v38, v38, 23, v55
	v_or3_b32 v38, v54, v38, v53
	v_lshrrev_b32_e32 v54, 16, v38
.LBB868_173:
	s_or_b64 exec, exec, s[10:11]
.LBB868_174:
	s_or_b64 exec, exec, s[8:9]
.LBB868_175:
	s_or_b64 exec, exec, s[2:3]
	s_mov_b32 s2, 0xffffff
	v_cmp_lt_u32_e32 vcc, s2, v40
	v_mov_b32_e32 v55, 0
	v_mov_b32_e32 v56, 0
	s_and_saveexec_b64 s[2:3], vcc
	s_cbranch_execz .LBB868_181
; %bb.176:
	v_lshrrev_b32_e32 v38, 24, v40
	s_movk_i32 s8, 0x80
	v_cmp_ne_u32_e32 vcc, s8, v38
	v_mov_b32_e32 v56, 0xffff8000
	s_and_saveexec_b64 s[8:9], vcc
	s_cbranch_execz .LBB868_180
; %bb.177:
	v_bfe_u32 v40, v40, 24, 7
	s_movk_i32 s10, 0x7f
	v_cmp_ne_u32_e32 vcc, s10, v40
	v_mov_b32_e32 v56, 0x7f80
	s_and_saveexec_b64 s[10:11], vcc
	s_cbranch_execz .LBB868_179
; %bb.178:
	v_and_b32_e32 v53, 7, v38
	v_ffbh_u32_e32 v56, v53
	v_min_u32_e32 v59, 32, v56
	v_subrev_u32_e32 v56, 28, v59
	v_lshlrev_b64 v[56:57], v56, v[38:39]
	v_lshrrev_b32_e32 v58, 3, v40
	v_sub_u32_e32 v57, 29, v59
	v_and_b32_e32 v56, 7, v56
	v_cmp_gt_u32_e32 vcc, 8, v40
	v_cndmask_b32_e32 v40, v58, v57, vcc
	v_cndmask_b32_e32 v53, v53, v56, vcc
	v_lshlrev_b32_e32 v38, 24, v38
	v_bfrev_b32_e32 v56, 60
	v_lshlrev_b32_e32 v53, 20, v53
	v_and_b32_e32 v38, 0x80000000, v38
	v_lshl_add_u32 v40, v40, 23, v56
	v_or3_b32 v38, v38, v40, v53
	v_lshrrev_b32_e32 v56, 16, v38
.LBB868_179:
	s_or_b64 exec, exec, s[10:11]
.LBB868_180:
	s_or_b64 exec, exec, s[8:9]
.LBB868_181:
	s_or_b64 exec, exec, s[2:3]
	v_cmp_ne_u16_sdwa s[8:9], v41, v55 src0_sel:BYTE_0 src1_sel:DWORD
	s_and_saveexec_b64 s[2:3], s[8:9]
	s_cbranch_execz .LBB868_187
; %bb.182:
	s_movk_i32 s8, 0x80
	v_cmp_ne_u16_sdwa s[10:11], v41, s8 src0_sel:BYTE_0 src1_sel:DWORD
	v_mov_b32_e32 v55, 0xffff8000
	s_and_saveexec_b64 s[8:9], s[10:11]
	s_cbranch_execz .LBB868_186
; %bb.183:
	s_movk_i32 s10, 0x7f
	v_and_b32_e32 v38, 0x7f, v41
	v_cmp_ne_u32_e32 vcc, s10, v38
	v_mov_b32_e32 v55, 0x7f80
	s_and_saveexec_b64 s[10:11], vcc
	s_cbranch_execz .LBB868_185
; %bb.184:
	v_and_b32_e32 v53, 7, v41
	v_ffbh_u32_e32 v57, v53
	v_min_u32_e32 v57, 32, v57
	v_mov_b32_e32 v40, v41
	v_subrev_u32_e32 v58, 28, v57
	v_lshlrev_b64 v[58:59], v58, v[40:41]
	v_lshrrev_b32_e32 v55, 3, v38
	v_sub_u32_e32 v40, 29, v57
	v_and_b32_e32 v57, 7, v58
	v_cmp_gt_u32_e32 vcc, 8, v38
	v_cndmask_b32_e32 v38, v55, v40, vcc
	v_cndmask_b32_e32 v40, v53, v57, vcc
	v_lshlrev_b32_e32 v53, 24, v41
	v_bfrev_b32_e32 v55, 60
	v_lshlrev_b32_e32 v40, 20, v40
	v_and_b32_e32 v53, 0x80000000, v53
	v_lshl_add_u32 v38, v38, 23, v55
	v_or3_b32 v38, v53, v38, v40
	v_lshrrev_b32_e32 v55, 16, v38
.LBB868_185:
	s_or_b64 exec, exec, s[10:11]
.LBB868_186:
	s_or_b64 exec, exec, s[8:9]
.LBB868_187:
	s_or_b64 exec, exec, s[2:3]
	v_lshrrev_b16_e32 v38, 8, v41
	v_cmp_ne_u16_e32 vcc, 0, v38
	v_mov_b32_e32 v57, 0
	v_mov_b32_e32 v40, 0
	s_and_saveexec_b64 s[2:3], vcc
	s_cbranch_execz .LBB868_193
; %bb.188:
	s_movk_i32 s8, 0x80
	v_cmp_ne_u16_e32 vcc, s8, v38
	v_mov_b32_e32 v40, 0xffff8000
	s_and_saveexec_b64 s[8:9], vcc
	s_cbranch_execz .LBB868_192
; %bb.189:
	s_movk_i32 s10, 0x7f
	v_and_b32_e32 v53, 0x7f, v38
	v_cmp_ne_u32_e32 vcc, s10, v53
	v_mov_b32_e32 v40, 0x7f80
	s_and_saveexec_b64 s[10:11], vcc
	s_cbranch_execz .LBB868_191
; %bb.190:
	v_and_b32_e32 v40, 7, v38
	v_ffbh_u32_e32 v58, v40
	v_min_u32_e32 v61, 32, v58
	v_subrev_u32_e32 v58, 28, v61
	v_lshlrev_b64 v[58:59], v58, v[38:39]
	v_lshrrev_b32_e32 v60, 3, v53
	v_sub_u32_e32 v38, 29, v61
	v_and_b32_e32 v58, 7, v58
	v_cmp_gt_u32_e32 vcc, 8, v53
	v_cndmask_b32_e32 v38, v60, v38, vcc
	v_cndmask_b32_e32 v40, v40, v58, vcc
	v_lshlrev_b32_e32 v53, 16, v41
	v_bfrev_b32_e32 v58, 60
	v_lshlrev_b32_e32 v40, 20, v40
	v_and_b32_e32 v53, 0x80000000, v53
	v_lshl_add_u32 v38, v38, 23, v58
	v_or3_b32 v38, v53, v38, v40
	v_lshrrev_b32_e32 v40, 16, v38
.LBB868_191:
	s_or_b64 exec, exec, s[10:11]
.LBB868_192:
	s_or_b64 exec, exec, s[8:9]
.LBB868_193:
	s_or_b64 exec, exec, s[2:3]
	s_movk_i32 s2, 0xff
	v_and_b32_sdwa v53, v41, s2 dst_sel:DWORD dst_unused:UNUSED_PAD src0_sel:WORD_1 src1_sel:DWORD
	v_lshrrev_b32_e32 v38, 16, v41
	v_cmp_ne_u16_e32 vcc, 0, v53
	s_and_saveexec_b64 s[2:3], vcc
	s_cbranch_execz .LBB868_199
; %bb.194:
	s_movk_i32 s8, 0x80
	v_cmp_ne_u16_e32 vcc, s8, v53
	v_mov_b32_e32 v57, 0xffff8000
	s_and_saveexec_b64 s[8:9], vcc
	s_cbranch_execz .LBB868_198
; %bb.195:
	v_bfe_u32 v53, v41, 16, 7
	s_movk_i32 s10, 0x7f
	v_cmp_ne_u32_e32 vcc, s10, v53
	v_mov_b32_e32 v57, 0x7f80
	s_and_saveexec_b64 s[10:11], vcc
	s_cbranch_execz .LBB868_197
; %bb.196:
	v_and_b32_e32 v57, 7, v38
	v_ffbh_u32_e32 v58, v57
	v_min_u32_e32 v61, 32, v58
	v_subrev_u32_e32 v58, 28, v61
	v_lshlrev_b64 v[58:59], v58, v[38:39]
	v_and_b32_e32 v58, 7, v58
	v_cmp_gt_u32_e32 vcc, 8, v53
	v_lshrrev_b32_e32 v60, 3, v53
	v_sub_u32_e32 v38, 29, v61
	v_cndmask_b32_e32 v53, v57, v58, vcc
	v_mov_b32_e32 v57, 24
	v_cndmask_b32_e32 v38, v60, v38, vcc
	v_lshlrev_b32_sdwa v57, v57, v41 dst_sel:DWORD dst_unused:UNUSED_PAD src0_sel:DWORD src1_sel:WORD_1
	v_bfrev_b32_e32 v58, 60
	v_lshlrev_b32_e32 v53, 20, v53
	v_and_b32_e32 v57, 0x80000000, v57
	v_lshl_add_u32 v38, v38, 23, v58
	v_or3_b32 v38, v57, v38, v53
	v_lshrrev_b32_e32 v57, 16, v38
.LBB868_197:
	s_or_b64 exec, exec, s[10:11]
.LBB868_198:
	s_or_b64 exec, exec, s[8:9]
.LBB868_199:
	s_or_b64 exec, exec, s[2:3]
	s_mov_b32 s2, 0xffffff
	v_cmp_lt_u32_e32 vcc, s2, v41
	v_mov_b32_e32 v53, 0
	v_mov_b32_e32 v58, 0
	s_and_saveexec_b64 s[2:3], vcc
	s_cbranch_execz .LBB868_205
; %bb.200:
	v_lshrrev_b32_e32 v38, 24, v41
	s_movk_i32 s8, 0x80
	v_cmp_ne_u32_e32 vcc, s8, v38
	v_mov_b32_e32 v58, 0xffff8000
	s_and_saveexec_b64 s[8:9], vcc
	s_cbranch_execz .LBB868_204
; %bb.201:
	v_bfe_u32 v41, v41, 24, 7
	s_movk_i32 s10, 0x7f
	v_cmp_ne_u32_e32 vcc, s10, v41
	v_mov_b32_e32 v58, 0x7f80
	s_and_saveexec_b64 s[10:11], vcc
	s_cbranch_execz .LBB868_203
; %bb.202:
	v_and_b32_e32 v60, 7, v38
	v_ffbh_u32_e32 v58, v60
	v_min_u32_e32 v62, 32, v58
	v_subrev_u32_e32 v58, 28, v62
	v_lshlrev_b64 v[58:59], v58, v[38:39]
	v_lshrrev_b32_e32 v61, 3, v41
	v_sub_u32_e32 v59, 29, v62
	v_and_b32_e32 v58, 7, v58
	v_cmp_gt_u32_e32 vcc, 8, v41
	v_cndmask_b32_e32 v41, v61, v59, vcc
	v_cndmask_b32_e32 v58, v60, v58, vcc
	v_lshlrev_b32_e32 v38, 24, v38
	v_bfrev_b32_e32 v59, 60
	v_lshlrev_b32_e32 v58, 20, v58
	v_and_b32_e32 v38, 0x80000000, v38
	v_lshl_add_u32 v41, v41, 23, v59
	v_or3_b32 v38, v38, v41, v58
	v_lshrrev_b32_e32 v58, 16, v38
.LBB868_203:
	s_or_b64 exec, exec, s[10:11]
.LBB868_204:
	s_or_b64 exec, exec, s[8:9]
.LBB868_205:
	s_or_b64 exec, exec, s[2:3]
	s_mov_b32 s2, 0x5040100
	v_perm_b32 v61, v56, v54, s2
	v_perm_b32 v60, v39, v52, s2
	;; [unrolled: 1-line block ×4, first 2 shown]
	v_cmp_ne_u16_sdwa s[8:9], v30, v53 src0_sel:BYTE_0 src1_sel:DWORD
	v_mfma_f32_16x16x16bf16_1k v[42:45], v[60:61], v[18:19], v[42:45]
	v_mfma_f32_16x16x16bf16_1k v[38:41], v[38:39], v[20:21], v[42:45]
	s_and_saveexec_b64 s[2:3], s[8:9]
	s_cbranch_execz .LBB868_211
; %bb.206:
	s_movk_i32 s8, 0x80
	v_cmp_ne_u16_sdwa s[10:11], v30, s8 src0_sel:BYTE_0 src1_sel:DWORD
	v_mov_b32_e32 v53, 0xffff8000
	s_and_saveexec_b64 s[8:9], s[10:11]
	s_cbranch_execz .LBB868_210
; %bb.207:
	s_movk_i32 s10, 0x7f
	s_nop 1
	v_and_b32_e32 v42, 0x7f, v30
	v_cmp_ne_u32_e32 vcc, s10, v42
	v_mov_b32_e32 v53, 0x7f80
	s_and_saveexec_b64 s[10:11], vcc
	s_cbranch_execz .LBB868_209
; %bb.208:
	v_and_b32_e32 v43, 7, v30
	v_ffbh_u32_e32 v44, v43
	v_min_u32_e32 v53, 32, v44
	v_subrev_u32_e32 v44, 28, v53
	v_lshlrev_b64 v[44:45], v44, v[30:31]
	v_lshrrev_b32_e32 v52, 3, v42
	v_sub_u32_e32 v45, 29, v53
	v_and_b32_e32 v44, 7, v44
	v_cmp_gt_u32_e32 vcc, 8, v42
	v_cndmask_b32_e32 v42, v52, v45, vcc
	v_cndmask_b32_e32 v43, v43, v44, vcc
	v_lshlrev_b32_e32 v44, 24, v30
	v_bfrev_b32_e32 v45, 60
	v_lshlrev_b32_e32 v43, 20, v43
	v_and_b32_e32 v44, 0x80000000, v44
	v_lshl_add_u32 v42, v42, 23, v45
	v_or3_b32 v42, v44, v42, v43
	v_lshrrev_b32_e32 v53, 16, v42
.LBB868_209:
	s_or_b64 exec, exec, s[10:11]
.LBB868_210:
	s_or_b64 exec, exec, s[8:9]
.LBB868_211:
	s_or_b64 exec, exec, s[2:3]
	s_nop 6
	v_lshrrev_b16_e32 v42, 8, v30
	v_cmp_ne_u16_e32 vcc, 0, v42
	v_mov_b32_e32 v44, 0
	v_mov_b32_e32 v43, 0
	s_and_saveexec_b64 s[2:3], vcc
	s_cbranch_execz .LBB868_217
; %bb.212:
	s_movk_i32 s8, 0x80
	v_cmp_ne_u16_e32 vcc, s8, v42
	v_mov_b32_e32 v43, 0xffff8000
	s_and_saveexec_b64 s[8:9], vcc
	s_cbranch_execz .LBB868_216
; %bb.213:
	s_movk_i32 s10, 0x7f
	v_and_b32_e32 v45, 0x7f, v42
	v_cmp_ne_u32_e32 vcc, s10, v45
	v_mov_b32_e32 v43, 0x7f80
	s_and_saveexec_b64 s[10:11], vcc
	s_cbranch_execz .LBB868_215
; %bb.214:
	v_and_b32_e32 v52, 7, v42
	v_ffbh_u32_e32 v43, v52
	v_min_u32_e32 v55, 32, v43
	v_subrev_u32_e32 v43, 28, v55
	v_lshlrev_b64 v[42:43], v43, v[42:43]
	v_lshrrev_b32_e32 v54, 3, v45
	v_sub_u32_e32 v43, 29, v55
	v_and_b32_e32 v42, 7, v42
	v_cmp_gt_u32_e32 vcc, 8, v45
	v_cndmask_b32_e32 v43, v54, v43, vcc
	v_cndmask_b32_e32 v42, v52, v42, vcc
	v_lshlrev_b32_e32 v45, 16, v30
	v_bfrev_b32_e32 v52, 60
	v_lshlrev_b32_e32 v42, 20, v42
	v_and_b32_e32 v45, 0x80000000, v45
	v_lshl_add_u32 v43, v43, 23, v52
	v_or3_b32 v42, v45, v43, v42
	v_lshrrev_b32_e32 v43, 16, v42
.LBB868_215:
	s_or_b64 exec, exec, s[10:11]
.LBB868_216:
	s_or_b64 exec, exec, s[8:9]
.LBB868_217:
	s_or_b64 exec, exec, s[2:3]
	s_movk_i32 s2, 0xff
	v_and_b32_sdwa v45, v30, s2 dst_sel:DWORD dst_unused:UNUSED_PAD src0_sel:WORD_1 src1_sel:DWORD
	v_lshrrev_b32_e32 v42, 16, v30
	v_cmp_ne_u16_e32 vcc, 0, v45
	s_and_saveexec_b64 s[2:3], vcc
	s_cbranch_execz .LBB868_223
; %bb.218:
	s_movk_i32 s8, 0x80
	v_cmp_ne_u16_e32 vcc, s8, v45
	v_mov_b32_e32 v44, 0xffff8000
	s_and_saveexec_b64 s[8:9], vcc
	s_cbranch_execz .LBB868_222
; %bb.219:
	v_bfe_u32 v45, v30, 16, 7
	s_movk_i32 s10, 0x7f
	v_cmp_ne_u32_e32 vcc, s10, v45
	v_mov_b32_e32 v44, 0x7f80
	s_and_saveexec_b64 s[10:11], vcc
	s_cbranch_execz .LBB868_221
; %bb.220:
	v_and_b32_e32 v44, 7, v42
	v_ffbh_u32_e32 v54, v44
	v_min_u32_e32 v56, 32, v54
	v_subrev_u32_e32 v54, 28, v56
	v_lshlrev_b64 v[54:55], v54, v[42:43]
	v_lshrrev_b32_e32 v52, 3, v45
	v_sub_u32_e32 v42, 29, v56
	v_and_b32_e32 v54, 7, v54
	v_cmp_gt_u32_e32 vcc, 8, v45
	v_mov_b32_e32 v45, 24
	v_cndmask_b32_e32 v42, v52, v42, vcc
	v_cndmask_b32_e32 v44, v44, v54, vcc
	v_lshlrev_b32_sdwa v45, v45, v30 dst_sel:DWORD dst_unused:UNUSED_PAD src0_sel:DWORD src1_sel:WORD_1
	v_bfrev_b32_e32 v52, 60
	v_lshlrev_b32_e32 v44, 20, v44
	v_and_b32_e32 v45, 0x80000000, v45
	v_lshl_add_u32 v42, v42, 23, v52
	v_or3_b32 v42, v45, v42, v44
	v_lshrrev_b32_e32 v44, 16, v42
.LBB868_221:
	s_or_b64 exec, exec, s[10:11]
.LBB868_222:
	s_or_b64 exec, exec, s[8:9]
.LBB868_223:
	s_or_b64 exec, exec, s[2:3]
	s_mov_b32 s2, 0xffffff
	v_cmp_lt_u32_e32 vcc, s2, v30
	v_mov_b32_e32 v45, 0
	v_mov_b32_e32 v54, 0
	s_and_saveexec_b64 s[2:3], vcc
	s_cbranch_execz .LBB868_229
; %bb.224:
	v_lshrrev_b32_e32 v42, 24, v30
	s_movk_i32 s8, 0x80
	v_cmp_ne_u32_e32 vcc, s8, v42
	v_mov_b32_e32 v54, 0xffff8000
	s_and_saveexec_b64 s[8:9], vcc
	s_cbranch_execz .LBB868_228
; %bb.225:
	v_bfe_u32 v30, v30, 24, 7
	s_movk_i32 s10, 0x7f
	v_cmp_ne_u32_e32 vcc, s10, v30
	v_mov_b32_e32 v54, 0x7f80
	s_and_saveexec_b64 s[10:11], vcc
	s_cbranch_execz .LBB868_227
; %bb.226:
	v_and_b32_e32 v52, 7, v42
	v_ffbh_u32_e32 v54, v52
	v_min_u32_e32 v57, 32, v54
	v_subrev_u32_e32 v54, 28, v57
	v_lshlrev_b64 v[54:55], v54, v[42:43]
	v_lshrrev_b32_e32 v56, 3, v30
	v_sub_u32_e32 v55, 29, v57
	v_and_b32_e32 v54, 7, v54
	v_cmp_gt_u32_e32 vcc, 8, v30
	v_cndmask_b32_e32 v30, v56, v55, vcc
	v_cndmask_b32_e32 v52, v52, v54, vcc
	v_lshlrev_b32_e32 v42, 24, v42
	v_bfrev_b32_e32 v54, 60
	v_lshlrev_b32_e32 v52, 20, v52
	v_and_b32_e32 v42, 0x80000000, v42
	v_lshl_add_u32 v30, v30, 23, v54
	v_or3_b32 v30, v42, v30, v52
	v_lshrrev_b32_e32 v54, 16, v30
.LBB868_227:
	s_or_b64 exec, exec, s[10:11]
.LBB868_228:
	s_or_b64 exec, exec, s[8:9]
.LBB868_229:
	s_or_b64 exec, exec, s[2:3]
	v_cmp_ne_u16_sdwa s[8:9], v31, v45 src0_sel:BYTE_0 src1_sel:DWORD
	s_and_saveexec_b64 s[2:3], s[8:9]
	s_cbranch_execz .LBB868_235
; %bb.230:
	s_movk_i32 s8, 0x80
	v_cmp_ne_u16_sdwa s[10:11], v31, s8 src0_sel:BYTE_0 src1_sel:DWORD
	v_mov_b32_e32 v45, 0xffff8000
	s_and_saveexec_b64 s[8:9], s[10:11]
	s_cbranch_execz .LBB868_234
; %bb.231:
	s_movk_i32 s10, 0x7f
	v_and_b32_e32 v30, 0x7f, v31
	v_cmp_ne_u32_e32 vcc, s10, v30
	v_mov_b32_e32 v45, 0x7f80
	s_and_saveexec_b64 s[10:11], vcc
	s_cbranch_execz .LBB868_233
; %bb.232:
	v_and_b32_e32 v45, 7, v31
	v_ffbh_u32_e32 v55, v45
	v_min_u32_e32 v55, 32, v55
	v_mov_b32_e32 v42, v31
	v_subrev_u32_e32 v56, 28, v55
	v_lshlrev_b64 v[56:57], v56, v[42:43]
	v_lshrrev_b32_e32 v52, 3, v30
	v_sub_u32_e32 v42, 29, v55
	v_and_b32_e32 v55, 7, v56
	v_cmp_gt_u32_e32 vcc, 8, v30
	v_cndmask_b32_e32 v30, v52, v42, vcc
	v_cndmask_b32_e32 v42, v45, v55, vcc
	v_lshlrev_b32_e32 v45, 24, v31
	v_bfrev_b32_e32 v52, 60
	v_lshlrev_b32_e32 v42, 20, v42
	v_and_b32_e32 v45, 0x80000000, v45
	v_lshl_add_u32 v30, v30, 23, v52
	v_or3_b32 v30, v45, v30, v42
	v_lshrrev_b32_e32 v45, 16, v30
.LBB868_233:
	s_or_b64 exec, exec, s[10:11]
.LBB868_234:
	s_or_b64 exec, exec, s[8:9]
.LBB868_235:
	s_or_b64 exec, exec, s[2:3]
	v_lshrrev_b16_e32 v30, 8, v31
	v_cmp_ne_u16_e32 vcc, 0, v30
	v_mov_b32_e32 v55, 0
	v_mov_b32_e32 v42, 0
	s_and_saveexec_b64 s[2:3], vcc
	s_cbranch_execz .LBB868_241
; %bb.236:
	s_movk_i32 s8, 0x80
	v_cmp_ne_u16_e32 vcc, s8, v30
	v_mov_b32_e32 v42, 0xffff8000
	s_and_saveexec_b64 s[8:9], vcc
	s_cbranch_execz .LBB868_240
; %bb.237:
	s_movk_i32 s10, 0x7f
	v_and_b32_e32 v52, 0x7f, v30
	v_cmp_ne_u32_e32 vcc, s10, v52
	v_mov_b32_e32 v42, 0x7f80
	s_and_saveexec_b64 s[10:11], vcc
	s_cbranch_execz .LBB868_239
; %bb.238:
	v_and_b32_e32 v42, 7, v30
	v_ffbh_u32_e32 v56, v42
	v_min_u32_e32 v59, 32, v56
	v_subrev_u32_e32 v56, 28, v59
	v_lshlrev_b64 v[56:57], v56, v[30:31]
	v_lshrrev_b32_e32 v58, 3, v52
	v_sub_u32_e32 v30, 29, v59
	v_and_b32_e32 v56, 7, v56
	v_cmp_gt_u32_e32 vcc, 8, v52
	v_cndmask_b32_e32 v30, v58, v30, vcc
	v_cndmask_b32_e32 v42, v42, v56, vcc
	v_lshlrev_b32_e32 v52, 16, v31
	v_bfrev_b32_e32 v56, 60
	v_lshlrev_b32_e32 v42, 20, v42
	v_and_b32_e32 v52, 0x80000000, v52
	v_lshl_add_u32 v30, v30, 23, v56
	v_or3_b32 v30, v52, v30, v42
	v_lshrrev_b32_e32 v42, 16, v30
.LBB868_239:
	s_or_b64 exec, exec, s[10:11]
.LBB868_240:
	s_or_b64 exec, exec, s[8:9]
.LBB868_241:
	s_or_b64 exec, exec, s[2:3]
	s_movk_i32 s2, 0xff
	v_and_b32_sdwa v52, v31, s2 dst_sel:DWORD dst_unused:UNUSED_PAD src0_sel:WORD_1 src1_sel:DWORD
	v_lshrrev_b32_e32 v30, 16, v31
	v_cmp_ne_u16_e32 vcc, 0, v52
	s_and_saveexec_b64 s[2:3], vcc
	s_cbranch_execz .LBB868_247
; %bb.242:
	s_movk_i32 s8, 0x80
	v_cmp_ne_u16_e32 vcc, s8, v52
	v_mov_b32_e32 v55, 0xffff8000
	s_and_saveexec_b64 s[8:9], vcc
	s_cbranch_execz .LBB868_246
; %bb.243:
	v_bfe_u32 v52, v31, 16, 7
	s_movk_i32 s10, 0x7f
	v_cmp_ne_u32_e32 vcc, s10, v52
	v_mov_b32_e32 v55, 0x7f80
	s_and_saveexec_b64 s[10:11], vcc
	s_cbranch_execz .LBB868_245
; %bb.244:
	v_and_b32_e32 v55, 7, v30
	v_ffbh_u32_e32 v56, v55
	v_min_u32_e32 v59, 32, v56
	v_subrev_u32_e32 v56, 28, v59
	v_lshlrev_b64 v[56:57], v56, v[30:31]
	v_and_b32_e32 v56, 7, v56
	v_cmp_gt_u32_e32 vcc, 8, v52
	v_lshrrev_b32_e32 v58, 3, v52
	v_sub_u32_e32 v30, 29, v59
	v_cndmask_b32_e32 v52, v55, v56, vcc
	v_mov_b32_e32 v55, 24
	v_cndmask_b32_e32 v30, v58, v30, vcc
	v_lshlrev_b32_sdwa v55, v55, v31 dst_sel:DWORD dst_unused:UNUSED_PAD src0_sel:DWORD src1_sel:WORD_1
	v_bfrev_b32_e32 v56, 60
	v_lshlrev_b32_e32 v52, 20, v52
	v_and_b32_e32 v55, 0x80000000, v55
	v_lshl_add_u32 v30, v30, 23, v56
	v_or3_b32 v30, v55, v30, v52
	v_lshrrev_b32_e32 v55, 16, v30
.LBB868_245:
	s_or_b64 exec, exec, s[10:11]
.LBB868_246:
	s_or_b64 exec, exec, s[8:9]
.LBB868_247:
	s_or_b64 exec, exec, s[2:3]
	s_mov_b32 s2, 0xffffff
	v_cmp_lt_u32_e32 vcc, s2, v31
	v_mov_b32_e32 v52, 0
	v_mov_b32_e32 v56, 0
	s_and_saveexec_b64 s[2:3], vcc
	s_cbranch_execz .LBB868_253
; %bb.248:
	v_lshrrev_b32_e32 v30, 24, v31
	s_movk_i32 s8, 0x80
	v_cmp_ne_u32_e32 vcc, s8, v30
	v_mov_b32_e32 v56, 0xffff8000
	s_and_saveexec_b64 s[8:9], vcc
	s_cbranch_execz .LBB868_252
; %bb.249:
	v_bfe_u32 v31, v31, 24, 7
	s_movk_i32 s10, 0x7f
	v_cmp_ne_u32_e32 vcc, s10, v31
	v_mov_b32_e32 v56, 0x7f80
	s_and_saveexec_b64 s[10:11], vcc
	s_cbranch_execz .LBB868_251
; %bb.250:
	v_and_b32_e32 v58, 7, v30
	v_ffbh_u32_e32 v56, v58
	v_min_u32_e32 v60, 32, v56
	v_subrev_u32_e32 v56, 28, v60
	v_lshlrev_b64 v[56:57], v56, v[30:31]
	v_lshrrev_b32_e32 v59, 3, v31
	v_sub_u32_e32 v57, 29, v60
	v_and_b32_e32 v56, 7, v56
	v_cmp_gt_u32_e32 vcc, 8, v31
	v_cndmask_b32_e32 v31, v59, v57, vcc
	v_cndmask_b32_e32 v56, v58, v56, vcc
	v_lshlrev_b32_e32 v30, 24, v30
	v_bfrev_b32_e32 v57, 60
	v_lshlrev_b32_e32 v56, 20, v56
	v_and_b32_e32 v30, 0x80000000, v30
	v_lshl_add_u32 v31, v31, 23, v57
	v_or3_b32 v30, v30, v31, v56
	v_lshrrev_b32_e32 v56, 16, v30
.LBB868_251:
	s_or_b64 exec, exec, s[10:11]
.LBB868_252:
	s_or_b64 exec, exec, s[8:9]
.LBB868_253:
	s_or_b64 exec, exec, s[2:3]
	s_mov_b32 s2, 0x5040100
	v_perm_b32 v31, v54, v44, s2
	v_perm_b32 v30, v43, v53, s2
	v_cmp_ne_u16_sdwa s[8:9], v32, v52 src0_sel:BYTE_0 src1_sel:DWORD
	s_nop 0
	v_mfma_f32_16x16x16bf16_1k v[58:61], v[30:31], v[26:27], 0
	v_perm_b32 v31, v56, v55, s2
	v_perm_b32 v30, v42, v45, s2
	s_nop 1
	v_mfma_f32_16x16x16bf16_1k v[42:45], v[30:31], v[28:29], v[58:61]
	s_and_saveexec_b64 s[2:3], s[8:9]
	s_cbranch_execz .LBB868_259
; %bb.254:
	s_movk_i32 s8, 0x80
	v_cmp_ne_u16_sdwa s[10:11], v32, s8 src0_sel:BYTE_0 src1_sel:DWORD
	v_mov_b32_e32 v52, 0xffff8000
	s_and_saveexec_b64 s[8:9], s[10:11]
	s_cbranch_execz .LBB868_258
; %bb.255:
	s_movk_i32 s10, 0x7f
	v_and_b32_e32 v30, 0x7f, v32
	v_cmp_ne_u32_e32 vcc, s10, v30
	v_mov_b32_e32 v52, 0x7f80
	s_and_saveexec_b64 s[10:11], vcc
	s_cbranch_execz .LBB868_257
; %bb.256:
	v_and_b32_e32 v31, 7, v32
	v_ffbh_u32_e32 v52, v31
	v_min_u32_e32 v55, 32, v52
	v_subrev_u32_e32 v52, 28, v55
	v_lshlrev_b64 v[52:53], v52, v[32:33]
	v_lshrrev_b32_e32 v54, 3, v30
	v_sub_u32_e32 v53, 29, v55
	v_and_b32_e32 v52, 7, v52
	v_cmp_gt_u32_e32 vcc, 8, v30
	v_cndmask_b32_e32 v30, v54, v53, vcc
	v_cndmask_b32_e32 v31, v31, v52, vcc
	v_lshlrev_b32_e32 v52, 24, v32
	v_bfrev_b32_e32 v53, 60
	v_lshlrev_b32_e32 v31, 20, v31
	v_and_b32_e32 v52, 0x80000000, v52
	v_lshl_add_u32 v30, v30, 23, v53
	v_or3_b32 v30, v52, v30, v31
	v_lshrrev_b32_e32 v52, 16, v30
.LBB868_257:
	s_or_b64 exec, exec, s[10:11]
.LBB868_258:
	s_or_b64 exec, exec, s[8:9]
.LBB868_259:
	s_or_b64 exec, exec, s[2:3]
	v_lshrrev_b16_e32 v30, 8, v32
	v_cmp_ne_u16_e32 vcc, 0, v30
	v_mov_b32_e32 v54, 0
	v_mov_b32_e32 v31, 0
	s_and_saveexec_b64 s[2:3], vcc
	s_cbranch_execz .LBB868_265
; %bb.260:
	s_movk_i32 s8, 0x80
	v_cmp_ne_u16_e32 vcc, s8, v30
	v_mov_b32_e32 v31, 0xffff8000
	s_and_saveexec_b64 s[8:9], vcc
	s_cbranch_execz .LBB868_264
; %bb.261:
	s_movk_i32 s10, 0x7f
	v_and_b32_e32 v53, 0x7f, v30
	v_cmp_ne_u32_e32 vcc, s10, v53
	v_mov_b32_e32 v31, 0x7f80
	s_and_saveexec_b64 s[10:11], vcc
	s_cbranch_execz .LBB868_263
; %bb.262:
	v_and_b32_e32 v55, 7, v30
	v_ffbh_u32_e32 v31, v55
	v_min_u32_e32 v57, 32, v31
	v_subrev_u32_e32 v31, 28, v57
	v_lshlrev_b64 v[30:31], v31, v[30:31]
	v_lshrrev_b32_e32 v56, 3, v53
	v_sub_u32_e32 v31, 29, v57
	v_and_b32_e32 v30, 7, v30
	v_cmp_gt_u32_e32 vcc, 8, v53
	v_cndmask_b32_e32 v31, v56, v31, vcc
	v_cndmask_b32_e32 v30, v55, v30, vcc
	v_lshlrev_b32_e32 v53, 16, v32
	v_bfrev_b32_e32 v55, 60
	v_lshlrev_b32_e32 v30, 20, v30
	v_and_b32_e32 v53, 0x80000000, v53
	v_lshl_add_u32 v31, v31, 23, v55
	v_or3_b32 v30, v53, v31, v30
	v_lshrrev_b32_e32 v31, 16, v30
.LBB868_263:
	s_or_b64 exec, exec, s[10:11]
.LBB868_264:
	s_or_b64 exec, exec, s[8:9]
.LBB868_265:
	s_or_b64 exec, exec, s[2:3]
	s_movk_i32 s2, 0xff
	v_and_b32_sdwa v53, v32, s2 dst_sel:DWORD dst_unused:UNUSED_PAD src0_sel:WORD_1 src1_sel:DWORD
	v_lshrrev_b32_e32 v30, 16, v32
	v_cmp_ne_u16_e32 vcc, 0, v53
	s_and_saveexec_b64 s[2:3], vcc
	s_cbranch_execz .LBB868_271
; %bb.266:
	s_movk_i32 s8, 0x80
	v_cmp_ne_u16_e32 vcc, s8, v53
	v_mov_b32_e32 v54, 0xffff8000
	s_and_saveexec_b64 s[8:9], vcc
	s_cbranch_execz .LBB868_270
; %bb.267:
	v_bfe_u32 v53, v32, 16, 7
	s_movk_i32 s10, 0x7f
	v_cmp_ne_u32_e32 vcc, s10, v53
	v_mov_b32_e32 v54, 0x7f80
	s_and_saveexec_b64 s[10:11], vcc
	s_cbranch_execz .LBB868_269
; %bb.268:
	v_and_b32_e32 v56, 7, v30
	v_ffbh_u32_e32 v54, v56
	v_min_u32_e32 v58, 32, v54
	v_subrev_u32_e32 v54, 28, v58
	v_lshlrev_b64 v[54:55], v54, v[30:31]
	v_and_b32_e32 v54, 7, v54
	v_cmp_gt_u32_e32 vcc, 8, v53
	v_lshrrev_b32_e32 v57, 3, v53
	v_sub_u32_e32 v30, 29, v58
	v_cndmask_b32_e32 v53, v56, v54, vcc
	v_mov_b32_e32 v54, 24
	v_cndmask_b32_e32 v30, v57, v30, vcc
	v_lshlrev_b32_sdwa v54, v54, v32 dst_sel:DWORD dst_unused:UNUSED_PAD src0_sel:DWORD src1_sel:WORD_1
	v_bfrev_b32_e32 v55, 60
	v_lshlrev_b32_e32 v53, 20, v53
	v_and_b32_e32 v54, 0x80000000, v54
	v_lshl_add_u32 v30, v30, 23, v55
	v_or3_b32 v30, v54, v30, v53
	v_lshrrev_b32_e32 v54, 16, v30
.LBB868_269:
	s_or_b64 exec, exec, s[10:11]
.LBB868_270:
	s_or_b64 exec, exec, s[8:9]
.LBB868_271:
	s_or_b64 exec, exec, s[2:3]
	s_mov_b32 s2, 0xffffff
	v_cmp_lt_u32_e32 vcc, s2, v32
	v_mov_b32_e32 v55, 0
	v_mov_b32_e32 v56, 0
	s_and_saveexec_b64 s[2:3], vcc
	s_cbranch_execz .LBB868_277
; %bb.272:
	v_lshrrev_b32_e32 v30, 24, v32
	s_movk_i32 s8, 0x80
	v_cmp_ne_u32_e32 vcc, s8, v30
	v_mov_b32_e32 v56, 0xffff8000
	s_and_saveexec_b64 s[8:9], vcc
	s_cbranch_execz .LBB868_276
; %bb.273:
	v_bfe_u32 v32, v32, 24, 7
	s_movk_i32 s10, 0x7f
	v_cmp_ne_u32_e32 vcc, s10, v32
	v_mov_b32_e32 v56, 0x7f80
	s_and_saveexec_b64 s[10:11], vcc
	s_cbranch_execz .LBB868_275
; %bb.274:
	v_and_b32_e32 v53, 7, v30
	v_ffbh_u32_e32 v56, v53
	v_min_u32_e32 v59, 32, v56
	v_subrev_u32_e32 v56, 28, v59
	v_lshlrev_b64 v[56:57], v56, v[30:31]
	v_lshrrev_b32_e32 v58, 3, v32
	v_sub_u32_e32 v57, 29, v59
	v_and_b32_e32 v56, 7, v56
	v_cmp_gt_u32_e32 vcc, 8, v32
	v_cndmask_b32_e32 v32, v58, v57, vcc
	v_cndmask_b32_e32 v53, v53, v56, vcc
	v_lshlrev_b32_e32 v30, 24, v30
	v_bfrev_b32_e32 v56, 60
	v_lshlrev_b32_e32 v53, 20, v53
	v_and_b32_e32 v30, 0x80000000, v30
	v_lshl_add_u32 v32, v32, 23, v56
	v_or3_b32 v30, v30, v32, v53
	v_lshrrev_b32_e32 v56, 16, v30
.LBB868_275:
	s_or_b64 exec, exec, s[10:11]
.LBB868_276:
	s_or_b64 exec, exec, s[8:9]
.LBB868_277:
	s_or_b64 exec, exec, s[2:3]
	v_cmp_ne_u16_sdwa s[8:9], v33, v55 src0_sel:BYTE_0 src1_sel:DWORD
	s_and_saveexec_b64 s[2:3], s[8:9]
	s_cbranch_execz .LBB868_283
; %bb.278:
	s_movk_i32 s8, 0x80
	v_cmp_ne_u16_sdwa s[10:11], v33, s8 src0_sel:BYTE_0 src1_sel:DWORD
	v_mov_b32_e32 v55, 0xffff8000
	s_and_saveexec_b64 s[8:9], s[10:11]
	s_cbranch_execz .LBB868_282
; %bb.279:
	s_movk_i32 s10, 0x7f
	v_and_b32_e32 v30, 0x7f, v33
	v_cmp_ne_u32_e32 vcc, s10, v30
	v_mov_b32_e32 v55, 0x7f80
	s_and_saveexec_b64 s[10:11], vcc
	s_cbranch_execz .LBB868_281
; %bb.280:
	v_and_b32_e32 v53, 7, v33
	v_ffbh_u32_e32 v57, v53
	v_min_u32_e32 v57, 32, v57
	v_mov_b32_e32 v32, v33
	v_subrev_u32_e32 v58, 28, v57
	v_lshlrev_b64 v[58:59], v58, v[32:33]
	v_lshrrev_b32_e32 v55, 3, v30
	v_sub_u32_e32 v32, 29, v57
	v_and_b32_e32 v57, 7, v58
	v_cmp_gt_u32_e32 vcc, 8, v30
	v_cndmask_b32_e32 v30, v55, v32, vcc
	v_cndmask_b32_e32 v32, v53, v57, vcc
	v_lshlrev_b32_e32 v53, 24, v33
	v_bfrev_b32_e32 v55, 60
	v_lshlrev_b32_e32 v32, 20, v32
	v_and_b32_e32 v53, 0x80000000, v53
	v_lshl_add_u32 v30, v30, 23, v55
	v_or3_b32 v30, v53, v30, v32
	v_lshrrev_b32_e32 v55, 16, v30
.LBB868_281:
	s_or_b64 exec, exec, s[10:11]
.LBB868_282:
	s_or_b64 exec, exec, s[8:9]
.LBB868_283:
	s_or_b64 exec, exec, s[2:3]
	v_lshrrev_b16_e32 v30, 8, v33
	v_cmp_ne_u16_e32 vcc, 0, v30
	v_mov_b32_e32 v57, 0
	v_mov_b32_e32 v32, 0
	s_and_saveexec_b64 s[2:3], vcc
	s_cbranch_execz .LBB868_289
; %bb.284:
	s_movk_i32 s8, 0x80
	v_cmp_ne_u16_e32 vcc, s8, v30
	v_mov_b32_e32 v32, 0xffff8000
	s_and_saveexec_b64 s[8:9], vcc
	s_cbranch_execz .LBB868_288
; %bb.285:
	s_movk_i32 s10, 0x7f
	v_and_b32_e32 v53, 0x7f, v30
	v_cmp_ne_u32_e32 vcc, s10, v53
	v_mov_b32_e32 v32, 0x7f80
	s_and_saveexec_b64 s[10:11], vcc
	s_cbranch_execz .LBB868_287
; %bb.286:
	v_and_b32_e32 v32, 7, v30
	v_ffbh_u32_e32 v58, v32
	v_min_u32_e32 v61, 32, v58
	v_subrev_u32_e32 v58, 28, v61
	v_lshlrev_b64 v[58:59], v58, v[30:31]
	v_lshrrev_b32_e32 v60, 3, v53
	v_sub_u32_e32 v30, 29, v61
	v_and_b32_e32 v58, 7, v58
	v_cmp_gt_u32_e32 vcc, 8, v53
	v_cndmask_b32_e32 v30, v60, v30, vcc
	v_cndmask_b32_e32 v32, v32, v58, vcc
	v_lshlrev_b32_e32 v53, 16, v33
	v_bfrev_b32_e32 v58, 60
	v_lshlrev_b32_e32 v32, 20, v32
	v_and_b32_e32 v53, 0x80000000, v53
	v_lshl_add_u32 v30, v30, 23, v58
	v_or3_b32 v30, v53, v30, v32
	v_lshrrev_b32_e32 v32, 16, v30
.LBB868_287:
	s_or_b64 exec, exec, s[10:11]
.LBB868_288:
	s_or_b64 exec, exec, s[8:9]
.LBB868_289:
	s_or_b64 exec, exec, s[2:3]
	s_movk_i32 s2, 0xff
	v_and_b32_sdwa v53, v33, s2 dst_sel:DWORD dst_unused:UNUSED_PAD src0_sel:WORD_1 src1_sel:DWORD
	v_lshrrev_b32_e32 v30, 16, v33
	v_cmp_ne_u16_e32 vcc, 0, v53
	s_and_saveexec_b64 s[2:3], vcc
	s_cbranch_execz .LBB868_295
; %bb.290:
	s_movk_i32 s8, 0x80
	v_cmp_ne_u16_e32 vcc, s8, v53
	v_mov_b32_e32 v57, 0xffff8000
	s_and_saveexec_b64 s[8:9], vcc
	s_cbranch_execz .LBB868_294
; %bb.291:
	v_bfe_u32 v53, v33, 16, 7
	s_movk_i32 s10, 0x7f
	v_cmp_ne_u32_e32 vcc, s10, v53
	v_mov_b32_e32 v57, 0x7f80
	s_and_saveexec_b64 s[10:11], vcc
	s_cbranch_execz .LBB868_293
; %bb.292:
	v_and_b32_e32 v57, 7, v30
	v_ffbh_u32_e32 v58, v57
	v_min_u32_e32 v61, 32, v58
	v_subrev_u32_e32 v58, 28, v61
	v_lshlrev_b64 v[58:59], v58, v[30:31]
	v_and_b32_e32 v58, 7, v58
	v_cmp_gt_u32_e32 vcc, 8, v53
	v_lshrrev_b32_e32 v60, 3, v53
	v_sub_u32_e32 v30, 29, v61
	v_cndmask_b32_e32 v53, v57, v58, vcc
	v_mov_b32_e32 v57, 24
	v_cndmask_b32_e32 v30, v60, v30, vcc
	v_lshlrev_b32_sdwa v57, v57, v33 dst_sel:DWORD dst_unused:UNUSED_PAD src0_sel:DWORD src1_sel:WORD_1
	v_bfrev_b32_e32 v58, 60
	v_lshlrev_b32_e32 v53, 20, v53
	v_and_b32_e32 v57, 0x80000000, v57
	v_lshl_add_u32 v30, v30, 23, v58
	v_or3_b32 v30, v57, v30, v53
	v_lshrrev_b32_e32 v57, 16, v30
.LBB868_293:
	s_or_b64 exec, exec, s[10:11]
.LBB868_294:
	s_or_b64 exec, exec, s[8:9]
.LBB868_295:
	s_or_b64 exec, exec, s[2:3]
	s_mov_b32 s2, 0xffffff
	v_cmp_lt_u32_e32 vcc, s2, v33
	v_mov_b32_e32 v53, 0
	v_mov_b32_e32 v58, 0
	s_and_saveexec_b64 s[2:3], vcc
	s_cbranch_execz .LBB868_301
; %bb.296:
	v_lshrrev_b32_e32 v30, 24, v33
	s_movk_i32 s8, 0x80
	v_cmp_ne_u32_e32 vcc, s8, v30
	v_mov_b32_e32 v58, 0xffff8000
	s_and_saveexec_b64 s[8:9], vcc
	s_cbranch_execz .LBB868_300
; %bb.297:
	v_bfe_u32 v33, v33, 24, 7
	s_movk_i32 s10, 0x7f
	v_cmp_ne_u32_e32 vcc, s10, v33
	v_mov_b32_e32 v58, 0x7f80
	s_and_saveexec_b64 s[10:11], vcc
	s_cbranch_execz .LBB868_299
; %bb.298:
	v_and_b32_e32 v60, 7, v30
	v_ffbh_u32_e32 v58, v60
	v_min_u32_e32 v62, 32, v58
	v_subrev_u32_e32 v58, 28, v62
	v_lshlrev_b64 v[58:59], v58, v[30:31]
	v_lshrrev_b32_e32 v61, 3, v33
	v_sub_u32_e32 v59, 29, v62
	v_and_b32_e32 v58, 7, v58
	v_cmp_gt_u32_e32 vcc, 8, v33
	v_cndmask_b32_e32 v33, v61, v59, vcc
	v_cndmask_b32_e32 v58, v60, v58, vcc
	v_lshlrev_b32_e32 v30, 24, v30
	v_bfrev_b32_e32 v59, 60
	v_lshlrev_b32_e32 v58, 20, v58
	v_and_b32_e32 v30, 0x80000000, v30
	v_lshl_add_u32 v33, v33, 23, v59
	v_or3_b32 v30, v30, v33, v58
	v_lshrrev_b32_e32 v58, 16, v30
.LBB868_299:
	s_or_b64 exec, exec, s[10:11]
.LBB868_300:
	s_or_b64 exec, exec, s[8:9]
.LBB868_301:
	s_or_b64 exec, exec, s[2:3]
	s_mov_b32 s2, 0x5040100
	v_perm_b32 v61, v56, v54, s2
	v_perm_b32 v60, v31, v52, s2
	;; [unrolled: 1-line block ×4, first 2 shown]
	v_cmp_ne_u16_sdwa s[8:9], v22, v53 src0_sel:BYTE_0 src1_sel:DWORD
	v_mfma_f32_16x16x16bf16_1k v[42:45], v[60:61], v[18:19], v[42:45]
	v_mfma_f32_16x16x16bf16_1k v[30:33], v[30:31], v[20:21], v[42:45]
	s_and_saveexec_b64 s[2:3], s[8:9]
	s_cbranch_execz .LBB868_307
; %bb.302:
	s_movk_i32 s8, 0x80
	v_cmp_ne_u16_sdwa s[10:11], v22, s8 src0_sel:BYTE_0 src1_sel:DWORD
	v_mov_b32_e32 v53, 0xffff8000
	s_and_saveexec_b64 s[8:9], s[10:11]
	s_cbranch_execz .LBB868_306
; %bb.303:
	s_movk_i32 s10, 0x7f
	s_nop 1
	v_and_b32_e32 v42, 0x7f, v22
	v_cmp_ne_u32_e32 vcc, s10, v42
	v_mov_b32_e32 v53, 0x7f80
	s_and_saveexec_b64 s[10:11], vcc
	s_cbranch_execz .LBB868_305
; %bb.304:
	v_and_b32_e32 v43, 7, v22
	v_ffbh_u32_e32 v44, v43
	v_min_u32_e32 v53, 32, v44
	v_subrev_u32_e32 v44, 28, v53
	v_lshlrev_b64 v[44:45], v44, v[22:23]
	v_lshrrev_b32_e32 v52, 3, v42
	v_sub_u32_e32 v45, 29, v53
	v_and_b32_e32 v44, 7, v44
	v_cmp_gt_u32_e32 vcc, 8, v42
	v_cndmask_b32_e32 v42, v52, v45, vcc
	v_cndmask_b32_e32 v43, v43, v44, vcc
	v_lshlrev_b32_e32 v44, 24, v22
	v_bfrev_b32_e32 v45, 60
	v_lshlrev_b32_e32 v43, 20, v43
	v_and_b32_e32 v44, 0x80000000, v44
	v_lshl_add_u32 v42, v42, 23, v45
	v_or3_b32 v42, v44, v42, v43
	v_lshrrev_b32_e32 v53, 16, v42
.LBB868_305:
	s_or_b64 exec, exec, s[10:11]
.LBB868_306:
	s_or_b64 exec, exec, s[8:9]
.LBB868_307:
	s_or_b64 exec, exec, s[2:3]
	s_nop 6
	v_lshrrev_b16_e32 v42, 8, v22
	v_cmp_ne_u16_e32 vcc, 0, v42
	v_mov_b32_e32 v44, 0
	v_mov_b32_e32 v43, 0
	s_and_saveexec_b64 s[2:3], vcc
	s_cbranch_execz .LBB868_313
; %bb.308:
	s_movk_i32 s8, 0x80
	v_cmp_ne_u16_e32 vcc, s8, v42
	v_mov_b32_e32 v43, 0xffff8000
	s_and_saveexec_b64 s[8:9], vcc
	s_cbranch_execz .LBB868_312
; %bb.309:
	s_movk_i32 s10, 0x7f
	v_and_b32_e32 v45, 0x7f, v42
	v_cmp_ne_u32_e32 vcc, s10, v45
	v_mov_b32_e32 v43, 0x7f80
	s_and_saveexec_b64 s[10:11], vcc
	s_cbranch_execz .LBB868_311
; %bb.310:
	v_and_b32_e32 v52, 7, v42
	v_ffbh_u32_e32 v43, v52
	v_min_u32_e32 v55, 32, v43
	v_subrev_u32_e32 v43, 28, v55
	v_lshlrev_b64 v[42:43], v43, v[42:43]
	v_lshrrev_b32_e32 v54, 3, v45
	v_sub_u32_e32 v43, 29, v55
	v_and_b32_e32 v42, 7, v42
	v_cmp_gt_u32_e32 vcc, 8, v45
	v_cndmask_b32_e32 v43, v54, v43, vcc
	v_cndmask_b32_e32 v42, v52, v42, vcc
	v_lshlrev_b32_e32 v45, 16, v22
	v_bfrev_b32_e32 v52, 60
	v_lshlrev_b32_e32 v42, 20, v42
	v_and_b32_e32 v45, 0x80000000, v45
	v_lshl_add_u32 v43, v43, 23, v52
	v_or3_b32 v42, v45, v43, v42
	v_lshrrev_b32_e32 v43, 16, v42
.LBB868_311:
	s_or_b64 exec, exec, s[10:11]
.LBB868_312:
	s_or_b64 exec, exec, s[8:9]
.LBB868_313:
	s_or_b64 exec, exec, s[2:3]
	s_movk_i32 s2, 0xff
	v_and_b32_sdwa v45, v22, s2 dst_sel:DWORD dst_unused:UNUSED_PAD src0_sel:WORD_1 src1_sel:DWORD
	v_lshrrev_b32_e32 v42, 16, v22
	v_cmp_ne_u16_e32 vcc, 0, v45
	s_and_saveexec_b64 s[2:3], vcc
	s_cbranch_execz .LBB868_319
; %bb.314:
	s_movk_i32 s8, 0x80
	v_cmp_ne_u16_e32 vcc, s8, v45
	v_mov_b32_e32 v44, 0xffff8000
	s_and_saveexec_b64 s[8:9], vcc
	s_cbranch_execz .LBB868_318
; %bb.315:
	v_bfe_u32 v45, v22, 16, 7
	s_movk_i32 s10, 0x7f
	v_cmp_ne_u32_e32 vcc, s10, v45
	v_mov_b32_e32 v44, 0x7f80
	s_and_saveexec_b64 s[10:11], vcc
	s_cbranch_execz .LBB868_317
; %bb.316:
	v_and_b32_e32 v44, 7, v42
	v_ffbh_u32_e32 v54, v44
	v_min_u32_e32 v56, 32, v54
	v_subrev_u32_e32 v54, 28, v56
	v_lshlrev_b64 v[54:55], v54, v[42:43]
	v_lshrrev_b32_e32 v52, 3, v45
	v_sub_u32_e32 v42, 29, v56
	v_and_b32_e32 v54, 7, v54
	v_cmp_gt_u32_e32 vcc, 8, v45
	v_mov_b32_e32 v45, 24
	v_cndmask_b32_e32 v42, v52, v42, vcc
	v_cndmask_b32_e32 v44, v44, v54, vcc
	v_lshlrev_b32_sdwa v45, v45, v22 dst_sel:DWORD dst_unused:UNUSED_PAD src0_sel:DWORD src1_sel:WORD_1
	v_bfrev_b32_e32 v52, 60
	v_lshlrev_b32_e32 v44, 20, v44
	v_and_b32_e32 v45, 0x80000000, v45
	v_lshl_add_u32 v42, v42, 23, v52
	v_or3_b32 v42, v45, v42, v44
	v_lshrrev_b32_e32 v44, 16, v42
.LBB868_317:
	s_or_b64 exec, exec, s[10:11]
.LBB868_318:
	s_or_b64 exec, exec, s[8:9]
.LBB868_319:
	s_or_b64 exec, exec, s[2:3]
	s_mov_b32 s2, 0xffffff
	v_cmp_lt_u32_e32 vcc, s2, v22
	v_mov_b32_e32 v45, 0
	v_mov_b32_e32 v52, 0
	s_and_saveexec_b64 s[2:3], vcc
	s_cbranch_execz .LBB868_325
; %bb.320:
	v_lshrrev_b32_e32 v42, 24, v22
	s_movk_i32 s8, 0x80
	v_cmp_ne_u32_e32 vcc, s8, v42
	v_mov_b32_e32 v52, 0xffff8000
	s_and_saveexec_b64 s[8:9], vcc
	s_cbranch_execz .LBB868_324
; %bb.321:
	v_bfe_u32 v22, v22, 24, 7
	s_movk_i32 s10, 0x7f
	v_cmp_ne_u32_e32 vcc, s10, v22
	v_mov_b32_e32 v52, 0x7f80
	s_and_saveexec_b64 s[10:11], vcc
	s_cbranch_execz .LBB868_323
; %bb.322:
	v_and_b32_e32 v52, 7, v42
	v_ffbh_u32_e32 v54, v52
	v_min_u32_e32 v57, 32, v54
	v_subrev_u32_e32 v54, 28, v57
	v_lshlrev_b64 v[54:55], v54, v[42:43]
	v_lshrrev_b32_e32 v56, 3, v22
	v_sub_u32_e32 v55, 29, v57
	v_and_b32_e32 v54, 7, v54
	v_cmp_gt_u32_e32 vcc, 8, v22
	v_cndmask_b32_e32 v22, v56, v55, vcc
	v_cndmask_b32_e32 v52, v52, v54, vcc
	v_lshlrev_b32_e32 v42, 24, v42
	v_bfrev_b32_e32 v54, 60
	v_lshlrev_b32_e32 v52, 20, v52
	v_and_b32_e32 v42, 0x80000000, v42
	v_lshl_add_u32 v22, v22, 23, v54
	v_or3_b32 v22, v42, v22, v52
	v_lshrrev_b32_e32 v52, 16, v22
.LBB868_323:
	s_or_b64 exec, exec, s[10:11]
.LBB868_324:
	s_or_b64 exec, exec, s[8:9]
.LBB868_325:
	s_or_b64 exec, exec, s[2:3]
	v_cmp_ne_u16_sdwa s[8:9], v23, v45 src0_sel:BYTE_0 src1_sel:DWORD
	s_and_saveexec_b64 s[2:3], s[8:9]
	s_cbranch_execz .LBB868_331
; %bb.326:
	s_movk_i32 s8, 0x80
	v_cmp_ne_u16_sdwa s[10:11], v23, s8 src0_sel:BYTE_0 src1_sel:DWORD
	v_mov_b32_e32 v45, 0xffff8000
	s_and_saveexec_b64 s[8:9], s[10:11]
	s_cbranch_execz .LBB868_330
; %bb.327:
	s_movk_i32 s10, 0x7f
	v_and_b32_e32 v22, 0x7f, v23
	v_cmp_ne_u32_e32 vcc, s10, v22
	v_mov_b32_e32 v45, 0x7f80
	s_and_saveexec_b64 s[10:11], vcc
	s_cbranch_execz .LBB868_329
; %bb.328:
	v_and_b32_e32 v45, 7, v23
	v_ffbh_u32_e32 v54, v45
	v_min_u32_e32 v57, 32, v54
	v_mov_b32_e32 v42, v23
	v_subrev_u32_e32 v54, 28, v57
	v_lshlrev_b64 v[54:55], v54, v[42:43]
	v_lshrrev_b32_e32 v56, 3, v22
	v_sub_u32_e32 v42, 29, v57
	v_and_b32_e32 v54, 7, v54
	v_cmp_gt_u32_e32 vcc, 8, v22
	v_cndmask_b32_e32 v22, v56, v42, vcc
	v_cndmask_b32_e32 v42, v45, v54, vcc
	v_lshlrev_b32_e32 v45, 24, v23
	v_bfrev_b32_e32 v54, 60
	v_lshlrev_b32_e32 v42, 20, v42
	v_and_b32_e32 v45, 0x80000000, v45
	v_lshl_add_u32 v22, v22, 23, v54
	v_or3_b32 v22, v45, v22, v42
	v_lshrrev_b32_e32 v45, 16, v22
.LBB868_329:
	s_or_b64 exec, exec, s[10:11]
.LBB868_330:
	s_or_b64 exec, exec, s[8:9]
.LBB868_331:
	s_or_b64 exec, exec, s[2:3]
	v_lshrrev_b16_e32 v22, 8, v23
	v_cmp_ne_u16_e32 vcc, 0, v22
	v_mov_b32_e32 v55, 0
	v_mov_b32_e32 v54, 0
	s_and_saveexec_b64 s[2:3], vcc
	s_cbranch_execz .LBB868_337
; %bb.332:
	s_movk_i32 s8, 0x80
	v_cmp_ne_u16_e32 vcc, s8, v22
	v_mov_b32_e32 v54, 0xffff8000
	s_and_saveexec_b64 s[8:9], vcc
	s_cbranch_execz .LBB868_336
; %bb.333:
	s_movk_i32 s10, 0x7f
	v_and_b32_e32 v42, 0x7f, v22
	v_cmp_ne_u32_e32 vcc, s10, v42
	v_mov_b32_e32 v54, 0x7f80
	s_and_saveexec_b64 s[10:11], vcc
	s_cbranch_execz .LBB868_335
; %bb.334:
	v_and_b32_e32 v54, 7, v22
	v_ffbh_u32_e32 v56, v54
	v_min_u32_e32 v59, 32, v56
	v_subrev_u32_e32 v56, 28, v59
	v_lshlrev_b64 v[56:57], v56, v[22:23]
	v_lshrrev_b32_e32 v58, 3, v42
	v_sub_u32_e32 v22, 29, v59
	v_and_b32_e32 v56, 7, v56
	v_cmp_gt_u32_e32 vcc, 8, v42
	v_cndmask_b32_e32 v22, v58, v22, vcc
	v_cndmask_b32_e32 v42, v54, v56, vcc
	v_lshlrev_b32_e32 v54, 16, v23
	v_bfrev_b32_e32 v56, 60
	v_lshlrev_b32_e32 v42, 20, v42
	v_and_b32_e32 v54, 0x80000000, v54
	v_lshl_add_u32 v22, v22, 23, v56
	v_or3_b32 v22, v54, v22, v42
	v_lshrrev_b32_e32 v54, 16, v22
.LBB868_335:
	s_or_b64 exec, exec, s[10:11]
.LBB868_336:
	s_or_b64 exec, exec, s[8:9]
.LBB868_337:
	s_or_b64 exec, exec, s[2:3]
	s_movk_i32 s2, 0xff
	v_and_b32_sdwa v42, v23, s2 dst_sel:DWORD dst_unused:UNUSED_PAD src0_sel:WORD_1 src1_sel:DWORD
	v_lshrrev_b32_e32 v22, 16, v23
	v_cmp_ne_u16_e32 vcc, 0, v42
	s_and_saveexec_b64 s[2:3], vcc
	s_cbranch_execz .LBB868_343
; %bb.338:
	s_movk_i32 s8, 0x80
	v_cmp_ne_u16_e32 vcc, s8, v42
	v_mov_b32_e32 v55, 0xffff8000
	s_and_saveexec_b64 s[8:9], vcc
	s_cbranch_execz .LBB868_342
; %bb.339:
	v_bfe_u32 v42, v23, 16, 7
	s_movk_i32 s10, 0x7f
	v_cmp_ne_u32_e32 vcc, s10, v42
	v_mov_b32_e32 v55, 0x7f80
	s_and_saveexec_b64 s[10:11], vcc
	s_cbranch_execz .LBB868_341
; %bb.340:
	v_and_b32_e32 v55, 7, v22
	v_ffbh_u32_e32 v56, v55
	v_min_u32_e32 v59, 32, v56
	v_subrev_u32_e32 v56, 28, v59
	v_lshlrev_b64 v[56:57], v56, v[22:23]
	v_and_b32_e32 v56, 7, v56
	v_cmp_gt_u32_e32 vcc, 8, v42
	v_lshrrev_b32_e32 v58, 3, v42
	v_sub_u32_e32 v22, 29, v59
	v_cndmask_b32_e32 v42, v55, v56, vcc
	v_mov_b32_e32 v55, 24
	v_cndmask_b32_e32 v22, v58, v22, vcc
	v_lshlrev_b32_sdwa v55, v55, v23 dst_sel:DWORD dst_unused:UNUSED_PAD src0_sel:DWORD src1_sel:WORD_1
	v_bfrev_b32_e32 v56, 60
	v_lshlrev_b32_e32 v42, 20, v42
	v_and_b32_e32 v55, 0x80000000, v55
	v_lshl_add_u32 v22, v22, 23, v56
	v_or3_b32 v22, v55, v22, v42
	v_lshrrev_b32_e32 v55, 16, v22
.LBB868_341:
	s_or_b64 exec, exec, s[10:11]
.LBB868_342:
	s_or_b64 exec, exec, s[8:9]
.LBB868_343:
	s_or_b64 exec, exec, s[2:3]
	s_mov_b32 s2, 0xffffff
	v_cmp_lt_u32_e32 vcc, s2, v23
	v_mov_b32_e32 v42, 0
	v_mov_b32_e32 v56, 0
	s_and_saveexec_b64 s[2:3], vcc
	s_cbranch_execz .LBB868_349
; %bb.344:
	v_lshrrev_b32_e32 v22, 24, v23
	s_movk_i32 s8, 0x80
	v_cmp_ne_u32_e32 vcc, s8, v22
	v_mov_b32_e32 v56, 0xffff8000
	s_and_saveexec_b64 s[8:9], vcc
	s_cbranch_execz .LBB868_348
; %bb.345:
	v_bfe_u32 v23, v23, 24, 7
	s_movk_i32 s10, 0x7f
	v_cmp_ne_u32_e32 vcc, s10, v23
	v_mov_b32_e32 v56, 0x7f80
	s_and_saveexec_b64 s[10:11], vcc
	s_cbranch_execz .LBB868_347
; %bb.346:
	v_and_b32_e32 v58, 7, v22
	v_ffbh_u32_e32 v56, v58
	v_min_u32_e32 v60, 32, v56
	v_subrev_u32_e32 v56, 28, v60
	v_lshlrev_b64 v[56:57], v56, v[22:23]
	v_lshrrev_b32_e32 v59, 3, v23
	v_sub_u32_e32 v57, 29, v60
	v_and_b32_e32 v56, 7, v56
	v_cmp_gt_u32_e32 vcc, 8, v23
	v_cndmask_b32_e32 v23, v59, v57, vcc
	v_cndmask_b32_e32 v56, v58, v56, vcc
	v_lshlrev_b32_e32 v22, 24, v22
	v_bfrev_b32_e32 v57, 60
	v_lshlrev_b32_e32 v56, 20, v56
	v_and_b32_e32 v22, 0x80000000, v22
	v_lshl_add_u32 v23, v23, 23, v57
	v_or3_b32 v22, v22, v23, v56
	v_lshrrev_b32_e32 v56, 16, v22
.LBB868_347:
	s_or_b64 exec, exec, s[10:11]
.LBB868_348:
	s_or_b64 exec, exec, s[8:9]
.LBB868_349:
	s_or_b64 exec, exec, s[2:3]
	s_mov_b32 s2, 0x5040100
	v_perm_b32 v23, v52, v44, s2
	v_perm_b32 v22, v43, v53, s2
	v_cmp_ne_u16_sdwa s[8:9], v24, v42 src0_sel:BYTE_0 src1_sel:DWORD
	s_nop 0
	v_mfma_f32_16x16x16bf16_1k v[58:61], v[22:23], v[26:27], 0
	v_perm_b32 v23, v56, v55, s2
	v_perm_b32 v22, v54, v45, s2
	s_nop 1
	v_mfma_f32_16x16x16bf16_1k v[26:29], v[22:23], v[28:29], v[58:61]
	s_and_saveexec_b64 s[2:3], s[8:9]
	s_cbranch_execz .LBB868_355
; %bb.350:
	s_movk_i32 s8, 0x80
	v_cmp_ne_u16_sdwa s[10:11], v24, s8 src0_sel:BYTE_0 src1_sel:DWORD
	v_mov_b32_e32 v42, 0xffff8000
	s_and_saveexec_b64 s[8:9], s[10:11]
	s_cbranch_execz .LBB868_354
; %bb.351:
	s_movk_i32 s10, 0x7f
	v_and_b32_e32 v22, 0x7f, v24
	v_cmp_ne_u32_e32 vcc, s10, v22
	v_mov_b32_e32 v42, 0x7f80
	s_and_saveexec_b64 s[10:11], vcc
	s_cbranch_execz .LBB868_353
; %bb.352:
	v_and_b32_e32 v23, 7, v24
	v_ffbh_u32_e32 v42, v23
	v_min_u32_e32 v45, 32, v42
	v_subrev_u32_e32 v42, 28, v45
	v_lshlrev_b64 v[42:43], v42, v[24:25]
	v_lshrrev_b32_e32 v44, 3, v22
	v_sub_u32_e32 v43, 29, v45
	v_and_b32_e32 v42, 7, v42
	v_cmp_gt_u32_e32 vcc, 8, v22
	v_cndmask_b32_e32 v22, v44, v43, vcc
	v_cndmask_b32_e32 v23, v23, v42, vcc
	v_lshlrev_b32_e32 v42, 24, v24
	v_bfrev_b32_e32 v43, 60
	v_lshlrev_b32_e32 v23, 20, v23
	v_and_b32_e32 v42, 0x80000000, v42
	v_lshl_add_u32 v22, v22, 23, v43
	v_or3_b32 v22, v42, v22, v23
	v_lshrrev_b32_e32 v42, 16, v22
.LBB868_353:
	s_or_b64 exec, exec, s[10:11]
.LBB868_354:
	s_or_b64 exec, exec, s[8:9]
.LBB868_355:
	s_or_b64 exec, exec, s[2:3]
	v_lshrrev_b16_e32 v22, 8, v24
	v_cmp_ne_u16_e32 vcc, 0, v22
	v_mov_b32_e32 v43, 0
	v_mov_b32_e32 v23, 0
	s_and_saveexec_b64 s[2:3], vcc
	s_cbranch_execz .LBB868_361
; %bb.356:
	s_movk_i32 s8, 0x80
	v_cmp_ne_u16_e32 vcc, s8, v22
	v_mov_b32_e32 v23, 0xffff8000
	s_and_saveexec_b64 s[8:9], vcc
	s_cbranch_execz .LBB868_360
; %bb.357:
	s_movk_i32 s10, 0x7f
	v_and_b32_e32 v44, 0x7f, v22
	v_cmp_ne_u32_e32 vcc, s10, v44
	v_mov_b32_e32 v23, 0x7f80
	s_and_saveexec_b64 s[10:11], vcc
	s_cbranch_execz .LBB868_359
; %bb.358:
	v_and_b32_e32 v45, 7, v22
	v_ffbh_u32_e32 v23, v45
	v_min_u32_e32 v53, 32, v23
	v_subrev_u32_e32 v23, 28, v53
	v_lshlrev_b64 v[22:23], v23, v[22:23]
	v_lshrrev_b32_e32 v52, 3, v44
	v_sub_u32_e32 v23, 29, v53
	v_and_b32_e32 v22, 7, v22
	v_cmp_gt_u32_e32 vcc, 8, v44
	v_cndmask_b32_e32 v23, v52, v23, vcc
	v_cndmask_b32_e32 v22, v45, v22, vcc
	v_lshlrev_b32_e32 v44, 16, v24
	v_bfrev_b32_e32 v45, 60
	v_lshlrev_b32_e32 v22, 20, v22
	v_and_b32_e32 v44, 0x80000000, v44
	v_lshl_add_u32 v23, v23, 23, v45
	v_or3_b32 v22, v44, v23, v22
	v_lshrrev_b32_e32 v23, 16, v22
.LBB868_359:
	s_or_b64 exec, exec, s[10:11]
.LBB868_360:
	s_or_b64 exec, exec, s[8:9]
.LBB868_361:
	s_or_b64 exec, exec, s[2:3]
	s_movk_i32 s2, 0xff
	v_and_b32_sdwa v44, v24, s2 dst_sel:DWORD dst_unused:UNUSED_PAD src0_sel:WORD_1 src1_sel:DWORD
	v_lshrrev_b32_e32 v22, 16, v24
	v_cmp_ne_u16_e32 vcc, 0, v44
	s_and_saveexec_b64 s[2:3], vcc
	s_cbranch_execz .LBB868_367
; %bb.362:
	s_movk_i32 s8, 0x80
	v_cmp_ne_u16_e32 vcc, s8, v44
	v_mov_b32_e32 v43, 0xffff8000
	s_and_saveexec_b64 s[8:9], vcc
	s_cbranch_execz .LBB868_366
; %bb.363:
	v_bfe_u32 v44, v24, 16, 7
	s_movk_i32 s10, 0x7f
	v_cmp_ne_u32_e32 vcc, s10, v44
	v_mov_b32_e32 v43, 0x7f80
	s_and_saveexec_b64 s[10:11], vcc
	s_cbranch_execz .LBB868_365
; %bb.364:
	v_and_b32_e32 v43, 7, v22
	v_ffbh_u32_e32 v52, v43
	v_min_u32_e32 v54, 32, v52
	v_subrev_u32_e32 v52, 28, v54
	v_lshlrev_b64 v[52:53], v52, v[22:23]
	v_lshrrev_b32_e32 v45, 3, v44
	v_sub_u32_e32 v22, 29, v54
	v_and_b32_e32 v52, 7, v52
	v_cmp_gt_u32_e32 vcc, 8, v44
	v_mov_b32_e32 v44, 24
	v_cndmask_b32_e32 v22, v45, v22, vcc
	v_cndmask_b32_e32 v43, v43, v52, vcc
	v_lshlrev_b32_sdwa v44, v44, v24 dst_sel:DWORD dst_unused:UNUSED_PAD src0_sel:DWORD src1_sel:WORD_1
	v_bfrev_b32_e32 v45, 60
	v_lshlrev_b32_e32 v43, 20, v43
	v_and_b32_e32 v44, 0x80000000, v44
	v_lshl_add_u32 v22, v22, 23, v45
	v_or3_b32 v22, v44, v22, v43
	v_lshrrev_b32_e32 v43, 16, v22
.LBB868_365:
	s_or_b64 exec, exec, s[10:11]
.LBB868_366:
	s_or_b64 exec, exec, s[8:9]
.LBB868_367:
	s_or_b64 exec, exec, s[2:3]
	s_mov_b32 s2, 0xffffff
	v_cmp_lt_u32_e32 vcc, s2, v24
	v_mov_b32_e32 v45, 0
	v_mov_b32_e32 v52, 0
	s_and_saveexec_b64 s[2:3], vcc
	s_cbranch_execz .LBB868_373
; %bb.368:
	v_lshrrev_b32_e32 v22, 24, v24
	s_movk_i32 s8, 0x80
	v_cmp_ne_u32_e32 vcc, s8, v22
	v_mov_b32_e32 v52, 0xffff8000
	s_and_saveexec_b64 s[8:9], vcc
	s_cbranch_execz .LBB868_372
; %bb.369:
	v_bfe_u32 v24, v24, 24, 7
	s_movk_i32 s10, 0x7f
	v_cmp_ne_u32_e32 vcc, s10, v24
	v_mov_b32_e32 v52, 0x7f80
	s_and_saveexec_b64 s[10:11], vcc
	s_cbranch_execz .LBB868_371
; %bb.370:
	v_and_b32_e32 v44, 7, v22
	v_ffbh_u32_e32 v52, v44
	v_min_u32_e32 v55, 32, v52
	v_subrev_u32_e32 v52, 28, v55
	v_lshlrev_b64 v[52:53], v52, v[22:23]
	v_lshrrev_b32_e32 v54, 3, v24
	v_sub_u32_e32 v53, 29, v55
	v_and_b32_e32 v52, 7, v52
	v_cmp_gt_u32_e32 vcc, 8, v24
	v_cndmask_b32_e32 v24, v54, v53, vcc
	v_cndmask_b32_e32 v44, v44, v52, vcc
	v_lshlrev_b32_e32 v22, 24, v22
	v_bfrev_b32_e32 v52, 60
	v_lshlrev_b32_e32 v44, 20, v44
	v_and_b32_e32 v22, 0x80000000, v22
	v_lshl_add_u32 v24, v24, 23, v52
	v_or3_b32 v22, v22, v24, v44
	v_lshrrev_b32_e32 v52, 16, v22
.LBB868_371:
	s_or_b64 exec, exec, s[10:11]
.LBB868_372:
	s_or_b64 exec, exec, s[8:9]
.LBB868_373:
	s_or_b64 exec, exec, s[2:3]
	v_cmp_ne_u16_sdwa s[8:9], v25, v45 src0_sel:BYTE_0 src1_sel:DWORD
	s_and_saveexec_b64 s[2:3], s[8:9]
	s_cbranch_execz .LBB868_379
; %bb.374:
	s_movk_i32 s8, 0x80
	v_cmp_ne_u16_sdwa s[10:11], v25, s8 src0_sel:BYTE_0 src1_sel:DWORD
	v_mov_b32_e32 v45, 0xffff8000
	s_and_saveexec_b64 s[8:9], s[10:11]
	s_cbranch_execz .LBB868_378
; %bb.375:
	s_movk_i32 s10, 0x7f
	v_and_b32_e32 v22, 0x7f, v25
	v_cmp_ne_u32_e32 vcc, s10, v22
	v_mov_b32_e32 v45, 0x7f80
	s_and_saveexec_b64 s[10:11], vcc
	s_cbranch_execz .LBB868_377
; %bb.376:
	v_and_b32_e32 v53, 7, v25
	v_ffbh_u32_e32 v44, v53
	v_min_u32_e32 v55, 32, v44
	v_mov_b32_e32 v24, v25
	v_subrev_u32_e32 v44, 28, v55
	v_lshlrev_b64 v[44:45], v44, v[24:25]
	v_lshrrev_b32_e32 v54, 3, v22
	v_sub_u32_e32 v24, 29, v55
	v_and_b32_e32 v44, 7, v44
	v_cmp_gt_u32_e32 vcc, 8, v22
	v_cndmask_b32_e32 v22, v54, v24, vcc
	v_cndmask_b32_e32 v24, v53, v44, vcc
	v_lshlrev_b32_e32 v44, 24, v25
	v_bfrev_b32_e32 v45, 60
	v_lshlrev_b32_e32 v24, 20, v24
	v_and_b32_e32 v44, 0x80000000, v44
	v_lshl_add_u32 v22, v22, 23, v45
	v_or3_b32 v22, v44, v22, v24
	v_lshrrev_b32_e32 v45, 16, v22
.LBB868_377:
	s_or_b64 exec, exec, s[10:11]
.LBB868_378:
	s_or_b64 exec, exec, s[8:9]
.LBB868_379:
	s_or_b64 exec, exec, s[2:3]
	v_lshrrev_b16_e32 v22, 8, v25
	v_cmp_ne_u16_e32 vcc, 0, v22
	v_mov_b32_e32 v54, 0
	v_mov_b32_e32 v53, 0
	s_and_saveexec_b64 s[2:3], vcc
	s_cbranch_execz .LBB868_385
; %bb.380:
	s_movk_i32 s8, 0x80
	v_cmp_ne_u16_e32 vcc, s8, v22
	v_mov_b32_e32 v53, 0xffff8000
	s_and_saveexec_b64 s[8:9], vcc
	s_cbranch_execz .LBB868_384
; %bb.381:
	s_movk_i32 s10, 0x7f
	v_and_b32_e32 v24, 0x7f, v22
	v_cmp_ne_u32_e32 vcc, s10, v24
	v_mov_b32_e32 v53, 0x7f80
	s_and_saveexec_b64 s[10:11], vcc
	s_cbranch_execz .LBB868_383
; %bb.382:
	v_and_b32_e32 v44, 7, v22
	v_ffbh_u32_e32 v55, v44
	v_min_u32_e32 v55, 32, v55
	v_subrev_u32_e32 v56, 28, v55
	v_lshlrev_b64 v[56:57], v56, v[22:23]
	v_lshrrev_b32_e32 v53, 3, v24
	v_sub_u32_e32 v22, 29, v55
	v_and_b32_e32 v55, 7, v56
	v_cmp_gt_u32_e32 vcc, 8, v24
	v_cndmask_b32_e32 v22, v53, v22, vcc
	v_cndmask_b32_e32 v24, v44, v55, vcc
	v_lshlrev_b32_e32 v44, 16, v25
	v_bfrev_b32_e32 v53, 60
	v_lshlrev_b32_e32 v24, 20, v24
	v_and_b32_e32 v44, 0x80000000, v44
	v_lshl_add_u32 v22, v22, 23, v53
	v_or3_b32 v22, v44, v22, v24
	v_lshrrev_b32_e32 v53, 16, v22
.LBB868_383:
	s_or_b64 exec, exec, s[10:11]
.LBB868_384:
	s_or_b64 exec, exec, s[8:9]
.LBB868_385:
	s_or_b64 exec, exec, s[2:3]
	s_movk_i32 s2, 0xff
	v_and_b32_sdwa v24, v25, s2 dst_sel:DWORD dst_unused:UNUSED_PAD src0_sel:WORD_1 src1_sel:DWORD
	v_lshrrev_b32_e32 v22, 16, v25
	v_cmp_ne_u16_e32 vcc, 0, v24
	s_and_saveexec_b64 s[2:3], vcc
	s_cbranch_execz .LBB868_391
; %bb.386:
	s_movk_i32 s8, 0x80
	v_cmp_ne_u16_e32 vcc, s8, v24
	v_mov_b32_e32 v54, 0xffff8000
	s_and_saveexec_b64 s[8:9], vcc
	s_cbranch_execz .LBB868_390
; %bb.387:
	v_bfe_u32 v24, v25, 16, 7
	s_movk_i32 s10, 0x7f
	v_cmp_ne_u32_e32 vcc, s10, v24
	v_mov_b32_e32 v54, 0x7f80
	s_and_saveexec_b64 s[10:11], vcc
	s_cbranch_execz .LBB868_389
; %bb.388:
	v_and_b32_e32 v44, 7, v22
	v_ffbh_u32_e32 v54, v44
	v_min_u32_e32 v57, 32, v54
	v_subrev_u32_e32 v54, 28, v57
	v_lshlrev_b64 v[54:55], v54, v[22:23]
	v_and_b32_e32 v54, 7, v54
	v_cmp_gt_u32_e32 vcc, 8, v24
	v_lshrrev_b32_e32 v56, 3, v24
	v_sub_u32_e32 v22, 29, v57
	v_cndmask_b32_e32 v24, v44, v54, vcc
	v_mov_b32_e32 v44, 24
	v_cndmask_b32_e32 v22, v56, v22, vcc
	v_lshlrev_b32_sdwa v44, v44, v25 dst_sel:DWORD dst_unused:UNUSED_PAD src0_sel:DWORD src1_sel:WORD_1
	v_bfrev_b32_e32 v54, 60
	v_lshlrev_b32_e32 v24, 20, v24
	v_and_b32_e32 v44, 0x80000000, v44
	v_lshl_add_u32 v22, v22, 23, v54
	v_or3_b32 v22, v44, v22, v24
	v_lshrrev_b32_e32 v54, 16, v22
.LBB868_389:
	s_or_b64 exec, exec, s[10:11]
.LBB868_390:
	s_or_b64 exec, exec, s[8:9]
.LBB868_391:
	s_or_b64 exec, exec, s[2:3]
	s_mov_b32 s2, 0xffffff
	v_and_b32_e32 v44, 63, v0
	v_cmp_lt_u32_e32 vcc, s2, v25
	v_mov_b32_e32 v55, 0
	s_and_saveexec_b64 s[2:3], vcc
	s_cbranch_execz .LBB868_397
; %bb.392:
	v_lshrrev_b32_e32 v22, 24, v25
	s_movk_i32 s8, 0x80
	v_cmp_ne_u32_e32 vcc, s8, v22
	v_mov_b32_e32 v55, 0xffff8000
	s_and_saveexec_b64 s[8:9], vcc
	s_cbranch_execz .LBB868_396
; %bb.393:
	v_bfe_u32 v24, v25, 24, 7
	s_movk_i32 s10, 0x7f
	v_cmp_ne_u32_e32 vcc, s10, v24
	v_mov_b32_e32 v55, 0x7f80
	s_and_saveexec_b64 s[10:11], vcc
	s_cbranch_execz .LBB868_395
; %bb.394:
	v_and_b32_e32 v25, 7, v22
	v_ffbh_u32_e32 v56, v25
	v_min_u32_e32 v58, 32, v56
	v_subrev_u32_e32 v56, 28, v58
	v_lshlrev_b64 v[56:57], v56, v[22:23]
	v_lshrrev_b32_e32 v55, 3, v24
	v_sub_u32_e32 v57, 29, v58
	v_and_b32_e32 v56, 7, v56
	v_cmp_gt_u32_e32 vcc, 8, v24
	v_cndmask_b32_e32 v24, v55, v57, vcc
	v_cndmask_b32_e32 v25, v25, v56, vcc
	v_lshlrev_b32_e32 v22, 24, v22
	v_bfrev_b32_e32 v55, 60
	v_lshlrev_b32_e32 v25, 20, v25
	v_and_b32_e32 v22, 0x80000000, v22
	v_lshl_add_u32 v24, v24, 23, v55
	v_or3_b32 v22, v22, v24, v25
	v_lshrrev_b32_e32 v55, 16, v22
.LBB868_395:
	s_or_b64 exec, exec, s[10:11]
.LBB868_396:
	s_or_b64 exec, exec, s[8:9]
.LBB868_397:
	s_or_b64 exec, exec, s[2:3]
	s_mov_b32 s3, 0x5040100
	v_perm_b32 v43, v52, v43, s3
	v_perm_b32 v42, v23, v42, s3
	s_load_dword s2, s[4:5], 0x1c
	s_mov_b32 s46, 0xff7fffff
	s_waitcnt lgkmcnt(0)
	v_mfma_f32_16x16x16bf16_1k v[26:29], v[42:43], v[18:19], v[26:29]
	v_perm_b32 v19, v55, v54, s3
	v_perm_b32 v18, v53, v45, s3
	v_mov_b32_e32 v22, s2
	v_mul_f32_e32 v52, s12, v22
	v_pk_mul_f32 v[22:23], v[52:53], v[32:33] op_sel_hi:[0,1]
	v_pk_mul_f32 v[32:33], v[52:53], v[38:39] op_sel_hi:[0,1]
	v_and_b32_e32 v38, 0xc0, v0
	v_mfma_f32_16x16x16bf16_1k v[26:29], v[18:19], v[20:21], v[26:29]
	v_add_u32_e32 v38, s18, v38
	v_lshl_or_b32 v38, v1, 2, v38
	v_or_b32_e32 v39, 1, v38
	v_pk_mul_f32 v[24:25], v[52:53], v[30:31] op_sel_hi:[0,1]
	v_pk_mul_f32 v[30:31], v[52:53], v[40:41] op_sel_hi:[0,1]
	v_subrev_u32_e32 v40, s33, v39
	v_pk_mul_f32 v[34:35], v[52:53], v[34:35] op_sel_hi:[0,1]
	s_nop 3
	v_pk_mul_f32 v[20:21], v[52:53], v[26:27] op_sel_hi:[0,1]
	v_add_u32_e32 v27, 1, v40
	v_pk_mul_f32 v[18:19], v[52:53], v[28:29] op_sel_hi:[0,1]
	v_cvt_f32_i32_e32 v27, v27
	v_add_u32_e32 v29, 3, v40
	v_cvt_f32_i32_e32 v29, v29
	v_cvt_f32_i32_e32 v26, v40
	v_pk_mul_f32 v[36:37], v[52:53], v[36:37] op_sel_hi:[0,1]
	v_fmac_f32_e32 v35, v51, v27
	v_add_u32_e32 v27, 16, v40
	v_fmac_f32_e32 v37, v51, v29
	v_cvt_f32_i32_e32 v27, v27
	v_add_u32_e32 v29, 17, v40
	v_fma_f32 v26, v51, v26, v34
	v_cvt_f32_i32_e32 v29, v29
	v_add_u32_e32 v34, 18, v40
	v_cvt_f32_i32_e32 v34, v34
	v_fma_f32 v41, v51, v27, v32
	v_add_u32_e32 v27, 32, v40
	v_fmac_f32_e32 v33, v51, v29
	v_cvt_f32_i32_e32 v27, v27
	v_add_u32_e32 v29, 33, v40
	v_add_u32_e32 v32, 34, v40
	v_fma_f32 v30, v51, v34, v30
	v_cvt_f32_i32_e32 v29, v29
	v_cvt_f32_i32_e32 v32, v32
	v_add_u32_e32 v34, 35, v40
	v_cvt_f32_i32_e32 v34, v34
	v_fma_f32 v24, v51, v27, v24
	v_add_u32_e32 v27, 48, v40
	v_fmac_f32_e32 v25, v51, v29
	v_fma_f32 v22, v51, v32, v22
	v_cvt_f32_i32_e32 v27, v27
	v_add_u32_e32 v29, 49, v40
	v_add_u32_e32 v32, 50, v40
	v_fmac_f32_e32 v23, v51, v34
	v_cvt_f32_i32_e32 v29, v29
	v_cvt_f32_i32_e32 v32, v32
	v_add_u32_e32 v34, 51, v40
	v_add_u32_e32 v28, 2, v40
	v_cvt_f32_i32_e32 v34, v34
	v_cvt_f32_i32_e32 v28, v28
	v_fma_f32 v20, v51, v27, v20
	v_mov_b32_e32 v27, 0xff7fffff
	v_cmp_gt_i32_e64 s[26:27], s33, v38
	v_cmp_gt_i32_e64 s[28:29], s33, v39
	v_fmac_f32_e32 v21, v51, v29
	v_fma_f32 v18, v51, v32, v18
	v_cndmask_b32_e64 v29, v27, v26, s[26:27]
	v_cndmask_b32_e64 v32, v27, v35, s[28:29]
	v_fmac_f32_e32 v19, v51, v34
	v_max3_f32 v29, v29, s46, v32
	v_or_b32_e32 v32, 2, v38
	v_or_b32_e32 v34, 3, v38
	v_fma_f32 v28, v51, v28, v36
	v_cmp_gt_i32_e64 s[30:31], s33, v32
	v_cmp_gt_i32_e64 s[34:35], s33, v34
	v_add_u32_e32 v36, 19, v40
	v_cndmask_b32_e64 v32, v27, v28, s[30:31]
	v_cndmask_b32_e64 v34, v27, v37, s[34:35]
	v_cvt_f32_i32_e32 v36, v36
	v_max3_f32 v29, v29, v32, v34
	v_or_b32_e32 v32, 16, v38
	v_or_b32_e32 v34, 17, v38
	v_cmp_gt_i32_e64 s[36:37], s33, v32
	v_cmp_gt_i32_e64 s[38:39], s33, v34
	v_cndmask_b32_e64 v32, v27, v41, s[36:37]
	v_cndmask_b32_e64 v34, v27, v33, s[38:39]
	v_max3_f32 v29, v29, v32, v34
	v_or_b32_e32 v32, 18, v38
	v_or_b32_e32 v34, 19, v38
	v_fmac_f32_e32 v31, v51, v36
	v_cmp_gt_i32_e64 s[20:21], s33, v32
	v_cmp_gt_i32_e64 s[22:23], s33, v34
	v_cndmask_b32_e64 v32, v27, v30, s[20:21]
	v_cndmask_b32_e64 v34, v27, v31, s[22:23]
	v_max3_f32 v29, v29, v32, v34
	v_or_b32_e32 v32, 32, v38
	v_or_b32_e32 v34, 33, v38
	v_cmp_gt_i32_e64 s[16:17], s33, v32
	v_cmp_gt_i32_e64 s[18:19], s33, v34
	v_cndmask_b32_e64 v32, v27, v24, s[16:17]
	v_cndmask_b32_e64 v34, v27, v25, s[18:19]
	v_max3_f32 v29, v29, v32, v34
	v_or_b32_e32 v32, 34, v38
	v_or_b32_e32 v34, 35, v38
	;; [unrolled: 7-line block ×4, first 2 shown]
	v_cmp_gt_i32_e32 vcc, s33, v32
	v_cmp_gt_i32_e64 s[2:3], s33, v34
	v_cndmask_b32_e32 v32, v27, v18, vcc
	v_cndmask_b32_e64 v27, v27, v19, s[2:3]
	v_max3_f32 v27, v29, v32, v27
	v_mbcnt_lo_u32_b32 v29, -1, 0
	v_mbcnt_hi_u32_b32 v29, -1, v29
	v_and_b32_e32 v32, 64, v29
	v_add_u32_e32 v32, 64, v32
	v_xor_b32_e32 v34, 32, v29
	v_cmp_lt_i32_e64 s[40:41], v34, v32
	v_cndmask_b32_e64 v34, v29, v34, s[40:41]
	v_lshlrev_b32_e32 v36, 2, v34
	ds_bpermute_b32 v34, v36, v27
	s_barrier
	s_waitcnt lgkmcnt(0)
	v_max_f32_e32 v34, v34, v34
	v_max_f32_e32 v27, v27, v34
	v_xor_b32_e32 v34, 16, v29
	v_cmp_lt_i32_e64 s[40:41], v34, v32
	v_cndmask_b32_e64 v29, v29, v34, s[40:41]
	v_lshlrev_b32_e32 v38, 2, v29
	ds_bpermute_b32 v29, v38, v27
	s_waitcnt lgkmcnt(0)
	v_max_f32_e32 v29, v29, v29
	v_max_f32_e32 v32, v27, v29
	v_sub_f32_e32 v26, v26, v32
	v_mul_f32_e32 v26, 0x3fb8aa3b, v26
	v_sub_f32_e32 v27, v35, v32
	v_exp_f32_e32 v26, v26
	v_mul_f32_e32 v27, 0x3fb8aa3b, v27
	v_sub_f32_e32 v28, v28, v32
	v_exp_f32_e32 v27, v27
	v_mul_f32_e32 v28, 0x3fb8aa3b, v28
	v_exp_f32_e32 v28, v28
	v_cndmask_b32_e64 v26, 0, v26, s[26:27]
	v_sub_f32_e32 v34, v37, v32
	v_add_f32_e32 v29, 0, v26
	v_cndmask_b32_e64 v27, 0, v27, s[28:29]
	v_mul_f32_e32 v34, 0x3fb8aa3b, v34
	v_exp_f32_e32 v35, v34
	v_add_f32_e32 v29, v29, v27
	v_cndmask_b32_e64 v34, 0, v28, s[30:31]
	v_add_f32_e32 v28, v29, v34
	v_sub_f32_e32 v29, v41, v32
	v_mul_f32_e32 v29, 0x3fb8aa3b, v29
	v_sub_f32_e32 v33, v33, v32
	v_exp_f32_e32 v29, v29
	v_mul_f32_e32 v33, 0x3fb8aa3b, v33
	v_sub_f32_e32 v30, v30, v32
	v_exp_f32_e32 v33, v33
	;; [unrolled: 3-line block ×3, first 2 shown]
	v_mul_f32_e32 v31, 0x3fb8aa3b, v31
	v_sub_f32_e32 v24, v24, v32
	v_cndmask_b32_e64 v35, 0, v35, s[34:35]
	v_exp_f32_e32 v31, v31
	v_mul_f32_e32 v24, 0x3fb8aa3b, v24
	v_sub_f32_e32 v25, v25, v32
	v_add_f32_e32 v37, v28, v35
	v_cndmask_b32_e64 v28, 0, v29, s[36:37]
	v_exp_f32_e32 v24, v24
	v_mul_f32_e32 v25, 0x3fb8aa3b, v25
	v_sub_f32_e32 v22, v22, v32
	v_add_f32_e32 v37, v37, v28
	;; [unrolled: 5-line block ×7, first 2 shown]
	v_cndmask_b32_e64 v22, 0, v22, s[12:13]
	v_exp_f32_e32 v18, v18
	v_mul_f32_e32 v19, 0x3fb8aa3b, v19
	v_add_f32_e32 v33, v33, v22
	v_cndmask_b32_e64 v23, 0, v23, s[14:15]
	v_exp_f32_e32 v19, v19
	v_add_f32_e32 v33, v33, v23
	v_cndmask_b32_e64 v20, 0, v20, s[8:9]
	v_add_f32_e32 v33, v33, v20
	v_cndmask_b32_e64 v21, 0, v21, s[10:11]
	v_add_f32_e32 v33, v33, v21
	v_cndmask_b32_e32 v18, 0, v18, vcc
	v_add_f32_e32 v33, v33, v18
	v_cndmask_b32_e64 v19, 0, v19, s[2:3]
	v_add_f32_e32 v33, v33, v19
	ds_bpermute_b32 v36, v36, v33
	v_cmp_gt_u32_e32 vcc, 16, v44
	s_waitcnt lgkmcnt(0)
	v_add_f32_e32 v36, v33, v36
	ds_bpermute_b32 v37, v38, v36
	v_lshlrev_b32_e32 v33, 2, v49
	s_and_saveexec_b64 s[2:3], vcc
	s_cbranch_execz .LBB868_399
; %bb.398:
	s_waitcnt lgkmcnt(0)
	v_add_f32_e32 v36, v36, v37
	v_lshl_or_b32 v37, v50, 6, v33
	ds_write2st64_b32 v37, v32, v36 offset1:1
.LBB868_399:
	s_or_b64 exec, exec, s[2:3]
	s_waitcnt lgkmcnt(0)
	s_barrier
	ds_read2_b32 v[36:37], v33 offset1:16
	ds_read2_b32 v[38:39], v33 offset0:32 offset1:48
	ds_read2_b32 v[40:41], v33 offset0:64 offset1:80
	s_mul_i32 s12, s45, 7
	s_waitcnt lgkmcnt(2)
	v_max3_f32 v32, v36, s46, v37
	s_waitcnt lgkmcnt(1)
	v_max3_f32 v32, v32, v38, v39
	v_sub_f32_e32 v36, v36, v32
	v_mul_f32_e32 v36, 0x3fb8aa3b, v36
	v_exp_f32_e32 v42, v36
	v_sub_f32_e32 v36, v37, v32
	v_mul_f32_e32 v36, 0x3fb8aa3b, v36
	v_exp_f32_e32 v43, v36
	;; [unrolled: 3-line block ×3, first 2 shown]
	ds_read2_b32 v[36:37], v33 offset0:96 offset1:112
	v_sub_f32_e32 v33, v39, v32
	v_mul_f32_e32 v33, 0x3fb8aa3b, v33
	v_exp_f32_e32 v39, v33
	s_waitcnt lgkmcnt(1)
	v_fma_f32 v33, v42, v40, 0
	v_fmac_f32_e32 v33, v43, v41
	s_waitcnt lgkmcnt(0)
	v_fmac_f32_e32 v33, v38, v36
	v_fmac_f32_e32 v33, v39, v37
	v_add_f32_e32 v36, 0x358637bd, v33
	v_div_scale_f32 v37, s[2:3], v36, v36, 1.0
	v_rcp_f32_e32 v40, v37
	s_movk_i32 s2, 0x7fff
	s_mov_b32 s3, 0x7060302
	v_fma_f32 v41, -v37, v40, 1.0
	v_fmac_f32_e32 v40, v41, v40
	v_div_scale_f32 v41, vcc, 1.0, v36, 1.0
	v_mul_f32_e32 v44, v41, v40
	v_fma_f32 v45, -v37, v44, v41
	v_fmac_f32_e32 v44, v45, v40
	v_fma_f32 v37, -v37, v44, v41
	v_div_fmas_f32 v37, v37, v40, v44
	v_cmp_eq_u32_e32 vcc, 1, v50
	v_div_fixup_f32 v36, v37, v36, 1.0
	v_cndmask_b32_e32 v37, v42, v43, vcc
	v_cmp_eq_u32_e32 vcc, 2, v50
	v_cndmask_b32_e32 v37, v37, v38, vcc
	v_cmp_eq_u32_e32 vcc, 3, v50
	v_cndmask_b32_e32 v37, v37, v39, vcc
	v_mul_f32_e32 v36, v37, v36
	v_pk_mul_f32 v[26:27], v[36:37], v[26:27] op_sel_hi:[0,1]
	v_pk_mul_f32 v[34:35], v[36:37], v[34:35] op_sel_hi:[0,1]
	v_bfe_u32 v37, v27, 16, 1
	v_bfe_u32 v38, v26, 16, 1
	v_add3_u32 v26, v26, v38, s2
	v_add3_u32 v27, v27, v37, s2
	v_perm_b32 v38, v27, v26, s3
	v_bfe_u32 v26, v35, 16, 1
	v_bfe_u32 v27, v34, 16, 1
	v_add3_u32 v27, v34, v27, s2
	v_add3_u32 v26, v35, v26, s2
	v_perm_b32 v39, v26, v27, s3
	v_lshlrev_b32_e32 v26, 3, v1
	v_lshlrev_b32_e32 v27, 11, v50
	v_pk_mul_f32 v[28:29], v[36:37], v[28:29] op_sel_hi:[0,1]
	v_or3_b32 v26, v27, v48, v26
	v_bfe_u32 v27, v29, 16, 1
	v_bfe_u32 v34, v28, 16, 1
	v_pk_mul_f32 v[30:31], v[36:37], v[30:31] op_sel_hi:[0,1]
	v_add3_u32 v28, v28, v34, s2
	v_add3_u32 v27, v29, v27, s2
	v_perm_b32 v28, v27, v28, s3
	v_bfe_u32 v27, v31, 16, 1
	v_bfe_u32 v29, v30, 16, 1
	v_add3_u32 v29, v30, v29, s2
	v_add3_u32 v27, v31, v27, s2
	v_perm_b32 v29, v27, v29, s3
	v_pk_mul_f32 v[24:25], v[36:37], v[24:25] op_sel_hi:[0,1]
	s_barrier
	ds_write2st64_b64 v26, v[38:39], v[28:29] offset1:1
	v_bfe_u32 v27, v25, 16, 1
	v_bfe_u32 v28, v24, 16, 1
	v_pk_mul_f32 v[22:23], v[36:37], v[22:23] op_sel_hi:[0,1]
	v_add3_u32 v24, v24, v28, s2
	v_add3_u32 v25, v25, v27, s2
	v_perm_b32 v24, v25, v24, s3
	v_bfe_u32 v25, v23, 16, 1
	v_bfe_u32 v27, v22, 16, 1
	v_add3_u32 v22, v22, v27, s2
	v_add3_u32 v23, v23, v25, s2
	v_pk_mul_f32 v[20:21], v[36:37], v[20:21] op_sel_hi:[0,1]
	v_perm_b32 v25, v23, v22, s3
	v_bfe_u32 v22, v21, 16, 1
	v_bfe_u32 v23, v20, 16, 1
	v_pk_mul_f32 v[18:19], v[36:37], v[18:19] op_sel_hi:[0,1]
	v_add3_u32 v20, v20, v23, s2
	v_add3_u32 v21, v21, v22, s2
	v_perm_b32 v20, v21, v20, s3
	v_bfe_u32 v21, v19, 16, 1
	v_bfe_u32 v22, v18, 16, 1
	v_add3_u32 v18, v18, v22, s2
	v_add3_u32 v19, v19, v21, s2
	v_perm_b32 v21, v19, v18, s3
	v_cmp_gt_u32_e32 vcc, 7, v0
	ds_write2st64_b64 v26, v[24:25], v[20:21] offset0:2 offset1:3
	s_and_saveexec_b64 s[2:3], vcc
	s_cbranch_execz .LBB868_401
; %bb.400:
	v_add_co_u32_e32 v20, vcc, s25, v49
	v_addc_co_u32_e64 v21, s[14:15], 0, 0, vcc
	v_mov_b32_e32 v18, s12
	v_mov_b32_e32 v19, 0
	v_mad_u64_u32 v[20:21], s[14:15], s6, v18, v[20:21]
	v_mov_b32_e32 v18, s24
	s_load_dwordx4 s[8:11], s[4:5], 0x58
	s_mul_i32 s7, s7, s12
	v_mad_u64_u32 v[18:19], s[14:15], v20, s44, v[18:19]
	v_add_u32_e32 v21, s7, v21
	v_mov_b32_e32 v20, v19
	v_mad_u64_u32 v[20:21], s[14:15], v21, s44, v[20:21]
	v_mov_b32_e32 v19, v20
	v_lshlrev_b64 v[18:19], 2, v[18:19]
	s_waitcnt lgkmcnt(0)
	v_mov_b32_e32 v21, s11
	v_add_co_u32_e32 v20, vcc, s10, v18
	v_addc_co_u32_e32 v21, vcc, v21, v19, vcc
	global_store_dword v[20:21], v32, off
	v_mov_b32_e32 v20, s9
	v_add_co_u32_e32 v18, vcc, s8, v18
	v_addc_co_u32_e32 v19, vcc, v20, v19, vcc
	global_store_dword v[18:19], v33, off
.LBB868_401:
	s_or_b64 exec, exec, s[2:3]
	v_mov_b32_e32 v19, 0
	s_waitcnt vmcnt(3)
	v_cmp_ne_u16_sdwa s[8:9], v14, v19 src0_sel:BYTE_0 src1_sel:DWORD
	v_mov_b32_e32 v20, 0
	s_waitcnt lgkmcnt(0)
	s_barrier
	s_and_saveexec_b64 s[2:3], s[8:9]
	s_cbranch_execz .LBB868_407
; %bb.402:
	s_movk_i32 s7, 0x80
	v_cmp_ne_u16_sdwa s[10:11], v14, s7 src0_sel:BYTE_0 src1_sel:DWORD
	v_mov_b32_e32 v20, 0xffff8000
	s_and_saveexec_b64 s[8:9], s[10:11]
	s_cbranch_execz .LBB868_406
; %bb.403:
	s_movk_i32 s7, 0x7f
	v_and_b32_e32 v18, 0x7f, v14
	v_cmp_ne_u32_e32 vcc, s7, v18
	v_mov_b32_e32 v20, 0x7f80
	s_and_saveexec_b64 s[10:11], vcc
	s_cbranch_execz .LBB868_405
; %bb.404:
	v_and_b32_e32 v22, 7, v14
	v_ffbh_u32_e32 v20, v22
	v_min_u32_e32 v24, 32, v20
	v_subrev_u32_e32 v20, 28, v24
	v_lshlrev_b64 v[20:21], v20, v[14:15]
	v_lshrrev_b32_e32 v23, 3, v18
	v_sub_u32_e32 v21, 29, v24
	v_and_b32_e32 v20, 7, v20
	v_cmp_gt_u32_e32 vcc, 8, v18
	v_cndmask_b32_e32 v18, v23, v21, vcc
	v_cndmask_b32_e32 v20, v22, v20, vcc
	v_lshlrev_b32_e32 v21, 24, v14
	v_bfrev_b32_e32 v22, 60
	v_lshlrev_b32_e32 v20, 20, v20
	v_and_b32_e32 v21, 0x80000000, v21
	v_lshl_add_u32 v18, v18, 23, v22
	v_or3_b32 v18, v21, v18, v20
	v_lshrrev_b32_e32 v20, 16, v18
.LBB868_405:
	s_or_b64 exec, exec, s[10:11]
.LBB868_406:
	s_or_b64 exec, exec, s[8:9]
.LBB868_407:
	s_or_b64 exec, exec, s[2:3]
	v_lshrrev_b16_e32 v18, 8, v14
	v_cmp_ne_u16_e32 vcc, 0, v18
	s_and_saveexec_b64 s[2:3], vcc
	s_cbranch_execz .LBB868_413
; %bb.408:
	s_movk_i32 s7, 0x80
	v_cmp_ne_u16_e32 vcc, s7, v18
	v_mov_b32_e32 v19, 0xffff8000
	s_and_saveexec_b64 s[8:9], vcc
	s_cbranch_execz .LBB868_412
; %bb.409:
	s_movk_i32 s7, 0x7f
	v_and_b32_e32 v21, 0x7f, v18
	v_cmp_ne_u32_e32 vcc, s7, v21
	v_mov_b32_e32 v19, 0x7f80
	s_and_saveexec_b64 s[10:11], vcc
	s_cbranch_execz .LBB868_411
; %bb.410:
	v_and_b32_e32 v22, 7, v18
	v_ffbh_u32_e32 v19, v22
	v_min_u32_e32 v24, 32, v19
	v_subrev_u32_e32 v19, 28, v24
	v_lshlrev_b64 v[18:19], v19, v[18:19]
	v_lshrrev_b32_e32 v23, 3, v21
	v_sub_u32_e32 v19, 29, v24
	v_and_b32_e32 v18, 7, v18
	v_cmp_gt_u32_e32 vcc, 8, v21
	v_cndmask_b32_e32 v19, v23, v19, vcc
	v_cndmask_b32_e32 v18, v22, v18, vcc
	v_lshlrev_b32_e32 v21, 16, v14
	v_bfrev_b32_e32 v22, 60
	v_lshlrev_b32_e32 v18, 20, v18
	v_and_b32_e32 v21, 0x80000000, v21
	v_lshl_add_u32 v19, v19, 23, v22
	v_or3_b32 v18, v21, v19, v18
	v_lshrrev_b32_e32 v19, 16, v18
.LBB868_411:
	s_or_b64 exec, exec, s[10:11]
.LBB868_412:
	s_or_b64 exec, exec, s[8:9]
.LBB868_413:
	s_or_b64 exec, exec, s[2:3]
	s_movk_i32 s2, 0xff
	v_and_b32_sdwa v23, v14, s2 dst_sel:DWORD dst_unused:UNUSED_PAD src0_sel:WORD_1 src1_sel:DWORD
	v_lshrrev_b32_e32 v18, 16, v14
	v_cmp_ne_u16_e32 vcc, 0, v23
	v_mov_b32_e32 v21, 0
	v_mov_b32_e32 v22, 0
	s_and_saveexec_b64 s[2:3], vcc
	s_cbranch_execz .LBB868_419
; %bb.414:
	s_movk_i32 s7, 0x80
	v_cmp_ne_u16_e32 vcc, s7, v23
	v_mov_b32_e32 v22, 0xffff8000
	s_and_saveexec_b64 s[8:9], vcc
	s_cbranch_execz .LBB868_418
; %bb.415:
	v_bfe_u32 v23, v14, 16, 7
	s_movk_i32 s7, 0x7f
	v_cmp_ne_u32_e32 vcc, s7, v23
	v_mov_b32_e32 v22, 0x7f80
	s_and_saveexec_b64 s[10:11], vcc
	s_cbranch_execz .LBB868_417
; %bb.416:
	v_and_b32_e32 v22, 7, v18
	v_ffbh_u32_e32 v24, v22
	v_min_u32_e32 v28, 32, v24
	v_subrev_u32_e32 v24, 28, v28
	v_lshlrev_b64 v[24:25], v24, v[18:19]
	v_lshrrev_b32_e32 v27, 3, v23
	v_sub_u32_e32 v18, 29, v28
	v_and_b32_e32 v24, 7, v24
	v_cmp_gt_u32_e32 vcc, 8, v23
	v_mov_b32_e32 v23, 24
	v_cndmask_b32_e32 v18, v27, v18, vcc
	v_cndmask_b32_e32 v22, v22, v24, vcc
	v_lshlrev_b32_sdwa v23, v23, v14 dst_sel:DWORD dst_unused:UNUSED_PAD src0_sel:DWORD src1_sel:WORD_1
	v_bfrev_b32_e32 v24, 60
	v_lshlrev_b32_e32 v22, 20, v22
	v_and_b32_e32 v23, 0x80000000, v23
	v_lshl_add_u32 v18, v18, 23, v24
	v_or3_b32 v18, v23, v18, v22
	v_lshrrev_b32_e32 v22, 16, v18
.LBB868_417:
	s_or_b64 exec, exec, s[10:11]
.LBB868_418:
	s_or_b64 exec, exec, s[8:9]
.LBB868_419:
	s_or_b64 exec, exec, s[2:3]
	s_mov_b32 s2, 0xffffff
	v_cmp_lt_u32_e32 vcc, s2, v14
	s_and_saveexec_b64 s[2:3], vcc
	s_cbranch_execz .LBB868_425
; %bb.420:
	v_lshrrev_b32_e32 v18, 24, v14
	s_movk_i32 s7, 0x80
	v_cmp_ne_u32_e32 vcc, s7, v18
	v_mov_b32_e32 v21, 0xffff8000
	s_and_saveexec_b64 s[8:9], vcc
	s_cbranch_execz .LBB868_424
; %bb.421:
	v_bfe_u32 v14, v14, 24, 7
	s_movk_i32 s7, 0x7f
	v_cmp_ne_u32_e32 vcc, s7, v14
	v_mov_b32_e32 v21, 0x7f80
	s_and_saveexec_b64 s[10:11], vcc
	s_cbranch_execz .LBB868_423
; %bb.422:
	v_and_b32_e32 v21, 7, v18
	v_ffbh_u32_e32 v24, v21
	v_min_u32_e32 v27, 32, v24
	v_subrev_u32_e32 v24, 28, v27
	v_lshlrev_b64 v[24:25], v24, v[18:19]
	v_lshrrev_b32_e32 v23, 3, v14
	v_sub_u32_e32 v25, 29, v27
	v_and_b32_e32 v24, 7, v24
	v_cmp_gt_u32_e32 vcc, 8, v14
	v_cndmask_b32_e32 v14, v23, v25, vcc
	v_cndmask_b32_e32 v21, v21, v24, vcc
	v_lshlrev_b32_e32 v18, 24, v18
	v_bfrev_b32_e32 v23, 60
	v_lshlrev_b32_e32 v21, 20, v21
	v_and_b32_e32 v18, 0x80000000, v18
	v_lshl_add_u32 v14, v14, 23, v23
	v_or3_b32 v14, v18, v14, v21
	v_lshrrev_b32_e32 v21, 16, v14
.LBB868_423:
	s_or_b64 exec, exec, s[10:11]
.LBB868_424:
	s_or_b64 exec, exec, s[8:9]
.LBB868_425:
	s_or_b64 exec, exec, s[2:3]
	v_mov_b32_e32 v18, 0
	v_cmp_ne_u16_sdwa s[8:9], v15, v18 src0_sel:BYTE_0 src1_sel:DWORD
	v_mov_b32_e32 v23, 0
	s_and_saveexec_b64 s[2:3], s[8:9]
	s_cbranch_execz .LBB868_431
; %bb.426:
	s_movk_i32 s7, 0x80
	v_cmp_ne_u16_sdwa s[10:11], v15, s7 src0_sel:BYTE_0 src1_sel:DWORD
	v_mov_b32_e32 v23, 0xffff8000
	s_and_saveexec_b64 s[8:9], s[10:11]
	s_cbranch_execz .LBB868_430
; %bb.427:
	s_movk_i32 s7, 0x7f
	v_and_b32_e32 v14, 0x7f, v15
	v_cmp_ne_u32_e32 vcc, s7, v14
	v_mov_b32_e32 v23, 0x7f80
	s_and_saveexec_b64 s[10:11], vcc
	s_cbranch_execz .LBB868_429
; %bb.428:
	v_and_b32_e32 v23, 7, v15
	v_ffbh_u32_e32 v25, v23
	v_min_u32_e32 v28, 32, v25
	v_mov_b32_e32 v24, v15
	v_subrev_u32_e32 v25, 28, v28
	v_lshlrev_b64 v[24:25], v25, v[24:25]
	v_lshrrev_b32_e32 v27, 3, v14
	v_sub_u32_e32 v25, 29, v28
	v_and_b32_e32 v24, 7, v24
	v_cmp_gt_u32_e32 vcc, 8, v14
	v_cndmask_b32_e32 v14, v27, v25, vcc
	v_cndmask_b32_e32 v23, v23, v24, vcc
	v_lshlrev_b32_e32 v24, 24, v15
	v_bfrev_b32_e32 v25, 60
	v_lshlrev_b32_e32 v23, 20, v23
	v_and_b32_e32 v24, 0x80000000, v24
	v_lshl_add_u32 v14, v14, 23, v25
	v_or3_b32 v14, v24, v14, v23
	v_lshrrev_b32_e32 v23, 16, v14
.LBB868_429:
	s_or_b64 exec, exec, s[10:11]
.LBB868_430:
	s_or_b64 exec, exec, s[8:9]
.LBB868_431:
	s_or_b64 exec, exec, s[2:3]
	v_lshrrev_b16_e32 v14, 8, v15
	v_cmp_ne_u16_e32 vcc, 0, v14
	s_and_saveexec_b64 s[2:3], vcc
	s_cbranch_execz .LBB868_437
; %bb.432:
	s_movk_i32 s7, 0x80
	v_cmp_ne_u16_e32 vcc, s7, v14
	v_mov_b32_e32 v18, 0xffff8000
	s_and_saveexec_b64 s[8:9], vcc
	s_cbranch_execz .LBB868_436
; %bb.433:
	s_movk_i32 s7, 0x7f
	v_and_b32_e32 v24, 0x7f, v14
	v_cmp_ne_u32_e32 vcc, s7, v24
	v_mov_b32_e32 v18, 0x7f80
	s_and_saveexec_b64 s[10:11], vcc
	s_cbranch_execz .LBB868_435
; %bb.434:
	v_and_b32_e32 v18, 7, v14
	v_ffbh_u32_e32 v27, v18
	v_min_u32_e32 v27, 32, v27
	v_subrev_u32_e32 v28, 28, v27
	v_lshlrev_b64 v[28:29], v28, v[14:15]
	v_lshrrev_b32_e32 v25, 3, v24
	v_sub_u32_e32 v14, 29, v27
	v_and_b32_e32 v27, 7, v28
	v_cmp_gt_u32_e32 vcc, 8, v24
	v_cndmask_b32_e32 v14, v25, v14, vcc
	v_cndmask_b32_e32 v18, v18, v27, vcc
	v_lshlrev_b32_e32 v24, 16, v15
	v_bfrev_b32_e32 v25, 60
	v_lshlrev_b32_e32 v18, 20, v18
	v_and_b32_e32 v24, 0x80000000, v24
	v_lshl_add_u32 v14, v14, 23, v25
	v_or3_b32 v14, v24, v14, v18
	v_lshrrev_b32_e32 v18, 16, v14
.LBB868_435:
	s_or_b64 exec, exec, s[10:11]
.LBB868_436:
	s_or_b64 exec, exec, s[8:9]
.LBB868_437:
	s_or_b64 exec, exec, s[2:3]
	s_movk_i32 s2, 0xff
	v_and_b32_sdwa v27, v15, s2 dst_sel:DWORD dst_unused:UNUSED_PAD src0_sel:WORD_1 src1_sel:DWORD
	v_lshrrev_b32_e32 v14, 16, v15
	v_cmp_ne_u16_e32 vcc, 0, v27
	v_mov_b32_e32 v24, 0
	v_mov_b32_e32 v25, 0
	s_and_saveexec_b64 s[2:3], vcc
	s_cbranch_execz .LBB868_443
; %bb.438:
	s_movk_i32 s7, 0x80
	v_cmp_ne_u16_e32 vcc, s7, v27
	v_mov_b32_e32 v25, 0xffff8000
	s_and_saveexec_b64 s[8:9], vcc
	s_cbranch_execz .LBB868_442
; %bb.439:
	v_bfe_u32 v27, v15, 16, 7
	s_movk_i32 s7, 0x7f
	v_cmp_ne_u32_e32 vcc, s7, v27
	v_mov_b32_e32 v25, 0x7f80
	s_and_saveexec_b64 s[10:11], vcc
	s_cbranch_execz .LBB868_441
; %bb.440:
	v_and_b32_e32 v25, 7, v14
	v_ffbh_u32_e32 v28, v25
	v_min_u32_e32 v31, 32, v28
	v_subrev_u32_e32 v28, 28, v31
	v_lshlrev_b64 v[28:29], v28, v[14:15]
	v_lshrrev_b32_e32 v30, 3, v27
	v_sub_u32_e32 v14, 29, v31
	v_and_b32_e32 v28, 7, v28
	v_cmp_gt_u32_e32 vcc, 8, v27
	v_mov_b32_e32 v27, 24
	v_cndmask_b32_e32 v14, v30, v14, vcc
	v_cndmask_b32_e32 v25, v25, v28, vcc
	v_lshlrev_b32_sdwa v27, v27, v15 dst_sel:DWORD dst_unused:UNUSED_PAD src0_sel:DWORD src1_sel:WORD_1
	v_bfrev_b32_e32 v28, 60
	v_lshlrev_b32_e32 v25, 20, v25
	v_and_b32_e32 v27, 0x80000000, v27
	v_lshl_add_u32 v14, v14, 23, v28
	v_or3_b32 v14, v27, v14, v25
	v_lshrrev_b32_e32 v25, 16, v14
.LBB868_441:
	s_or_b64 exec, exec, s[10:11]
.LBB868_442:
	s_or_b64 exec, exec, s[8:9]
.LBB868_443:
	s_or_b64 exec, exec, s[2:3]
	s_mov_b32 s2, 0xffffff
	v_cmp_lt_u32_e32 vcc, s2, v15
	s_and_saveexec_b64 s[2:3], vcc
	s_cbranch_execz .LBB868_449
; %bb.444:
	v_lshrrev_b32_e32 v14, 24, v15
	s_movk_i32 s7, 0x80
	v_cmp_ne_u32_e32 vcc, s7, v14
	v_mov_b32_e32 v24, 0xffff8000
	s_and_saveexec_b64 s[8:9], vcc
	s_cbranch_execz .LBB868_448
; %bb.445:
	v_bfe_u32 v15, v15, 24, 7
	s_movk_i32 s7, 0x7f
	v_cmp_ne_u32_e32 vcc, s7, v15
	v_mov_b32_e32 v24, 0x7f80
	s_and_saveexec_b64 s[10:11], vcc
	s_cbranch_execz .LBB868_447
; %bb.446:
	v_and_b32_e32 v24, 7, v14
	v_ffbh_u32_e32 v28, v24
	v_min_u32_e32 v30, 32, v28
	v_subrev_u32_e32 v28, 28, v30
	v_lshlrev_b64 v[28:29], v28, v[14:15]
	v_lshrrev_b32_e32 v27, 3, v15
	v_sub_u32_e32 v29, 29, v30
	v_and_b32_e32 v28, 7, v28
	v_cmp_gt_u32_e32 vcc, 8, v15
	v_cndmask_b32_e32 v15, v27, v29, vcc
	v_cndmask_b32_e32 v24, v24, v28, vcc
	v_lshlrev_b32_e32 v14, 24, v14
	v_bfrev_b32_e32 v27, 60
	v_lshlrev_b32_e32 v24, 20, v24
	v_and_b32_e32 v14, 0x80000000, v14
	v_lshl_add_u32 v15, v15, 23, v27
	v_or3_b32 v14, v14, v15, v24
	v_lshrrev_b32_e32 v24, 16, v14
.LBB868_447:
	s_or_b64 exec, exec, s[10:11]
.LBB868_448:
	s_or_b64 exec, exec, s[8:9]
.LBB868_449:
	s_or_b64 exec, exec, s[2:3]
	s_mov_b32 s2, 0x5040100
	v_perm_b32 v15, v21, v22, s2
	v_lshl_or_b32 v22, v1, 9, v48
	v_perm_b32 v14, v19, v20, s2
	ds_read_b128 v[28:31], v22
	v_perm_b32 v19, v24, v25, s2
	v_perm_b32 v18, v18, v23, s2
	s_waitcnt lgkmcnt(0)
	v_mfma_f32_16x16x16bf16_1k v[32:35], v[14:15], v[28:29], 0
	v_mov_b32_e32 v15, 0
	v_cmp_ne_u16_sdwa s[8:9], v16, v15 src0_sel:BYTE_0 src1_sel:DWORD
	v_mov_b32_e32 v23, 0
	v_mfma_f32_16x16x16bf16_1k v[18:21], v[18:19], v[30:31], v[32:35]
	s_and_saveexec_b64 s[2:3], s[8:9]
	s_cbranch_execz .LBB868_455
; %bb.450:
	s_movk_i32 s7, 0x80
	v_cmp_ne_u16_sdwa s[10:11], v16, s7 src0_sel:BYTE_0 src1_sel:DWORD
	v_mov_b32_e32 v23, 0xffff8000
	s_and_saveexec_b64 s[8:9], s[10:11]
	s_cbranch_execz .LBB868_454
; %bb.451:
	s_movk_i32 s7, 0x7f
	v_and_b32_e32 v14, 0x7f, v16
	v_cmp_ne_u32_e32 vcc, s7, v14
	v_mov_b32_e32 v23, 0x7f80
	s_and_saveexec_b64 s[10:11], vcc
	s_cbranch_execz .LBB868_453
; %bb.452:
	v_and_b32_e32 v23, 7, v16
	v_ffbh_u32_e32 v24, v23
	v_min_u32_e32 v28, 32, v24
	v_subrev_u32_e32 v24, 28, v28
	v_lshlrev_b64 v[24:25], v24, v[16:17]
	v_lshrrev_b32_e32 v27, 3, v14
	v_sub_u32_e32 v25, 29, v28
	v_and_b32_e32 v24, 7, v24
	v_cmp_gt_u32_e32 vcc, 8, v14
	v_cndmask_b32_e32 v14, v27, v25, vcc
	v_cndmask_b32_e32 v23, v23, v24, vcc
	v_lshlrev_b32_e32 v24, 24, v16
	v_bfrev_b32_e32 v25, 60
	v_lshlrev_b32_e32 v23, 20, v23
	v_and_b32_e32 v24, 0x80000000, v24
	v_lshl_add_u32 v14, v14, 23, v25
	v_or3_b32 v14, v24, v14, v23
	v_lshrrev_b32_e32 v23, 16, v14
.LBB868_453:
	s_or_b64 exec, exec, s[10:11]
.LBB868_454:
	s_or_b64 exec, exec, s[8:9]
.LBB868_455:
	s_or_b64 exec, exec, s[2:3]
	v_lshrrev_b16_e32 v14, 8, v16
	v_cmp_ne_u16_e32 vcc, 0, v14
	s_and_saveexec_b64 s[2:3], vcc
	s_cbranch_execz .LBB868_461
; %bb.456:
	s_movk_i32 s7, 0x80
	v_cmp_ne_u16_e32 vcc, s7, v14
	v_mov_b32_e32 v15, 0xffff8000
	s_and_saveexec_b64 s[8:9], vcc
	s_cbranch_execz .LBB868_460
; %bb.457:
	s_movk_i32 s7, 0x7f
	v_and_b32_e32 v24, 0x7f, v14
	v_cmp_ne_u32_e32 vcc, s7, v24
	v_mov_b32_e32 v15, 0x7f80
	s_and_saveexec_b64 s[10:11], vcc
	s_cbranch_execz .LBB868_459
; %bb.458:
	v_and_b32_e32 v25, 7, v14
	v_ffbh_u32_e32 v15, v25
	v_min_u32_e32 v28, 32, v15
	v_subrev_u32_e32 v15, 28, v28
	v_lshlrev_b64 v[14:15], v15, v[14:15]
	v_lshrrev_b32_e32 v27, 3, v24
	v_sub_u32_e32 v15, 29, v28
	v_and_b32_e32 v14, 7, v14
	v_cmp_gt_u32_e32 vcc, 8, v24
	v_cndmask_b32_e32 v15, v27, v15, vcc
	v_cndmask_b32_e32 v14, v25, v14, vcc
	v_lshlrev_b32_e32 v24, 16, v16
	v_bfrev_b32_e32 v25, 60
	v_lshlrev_b32_e32 v14, 20, v14
	v_and_b32_e32 v24, 0x80000000, v24
	v_lshl_add_u32 v15, v15, 23, v25
	v_or3_b32 v14, v24, v15, v14
	v_lshrrev_b32_e32 v15, 16, v14
.LBB868_459:
	s_or_b64 exec, exec, s[10:11]
.LBB868_460:
	s_or_b64 exec, exec, s[8:9]
.LBB868_461:
	s_or_b64 exec, exec, s[2:3]
	s_movk_i32 s2, 0xff
	v_and_b32_sdwa v27, v16, s2 dst_sel:DWORD dst_unused:UNUSED_PAD src0_sel:WORD_1 src1_sel:DWORD
	v_lshrrev_b32_e32 v14, 16, v16
	v_cmp_ne_u16_e32 vcc, 0, v27
	v_mov_b32_e32 v24, 0
	v_mov_b32_e32 v25, 0
	s_and_saveexec_b64 s[2:3], vcc
	s_cbranch_execz .LBB868_467
; %bb.462:
	s_movk_i32 s7, 0x80
	v_cmp_ne_u16_e32 vcc, s7, v27
	v_mov_b32_e32 v25, 0xffff8000
	s_and_saveexec_b64 s[8:9], vcc
	s_cbranch_execz .LBB868_466
; %bb.463:
	v_bfe_u32 v27, v16, 16, 7
	s_movk_i32 s7, 0x7f
	v_cmp_ne_u32_e32 vcc, s7, v27
	v_mov_b32_e32 v25, 0x7f80
	s_and_saveexec_b64 s[10:11], vcc
	s_cbranch_execz .LBB868_465
; %bb.464:
	v_and_b32_e32 v25, 7, v14
	v_ffbh_u32_e32 v28, v25
	v_min_u32_e32 v31, 32, v28
	v_subrev_u32_e32 v28, 28, v31
	v_lshlrev_b64 v[28:29], v28, v[14:15]
	v_lshrrev_b32_e32 v30, 3, v27
	v_sub_u32_e32 v14, 29, v31
	v_and_b32_e32 v28, 7, v28
	v_cmp_gt_u32_e32 vcc, 8, v27
	v_mov_b32_e32 v27, 24
	v_cndmask_b32_e32 v14, v30, v14, vcc
	v_cndmask_b32_e32 v25, v25, v28, vcc
	v_lshlrev_b32_sdwa v27, v27, v16 dst_sel:DWORD dst_unused:UNUSED_PAD src0_sel:DWORD src1_sel:WORD_1
	v_bfrev_b32_e32 v28, 60
	v_lshlrev_b32_e32 v25, 20, v25
	v_and_b32_e32 v27, 0x80000000, v27
	v_lshl_add_u32 v14, v14, 23, v28
	v_or3_b32 v14, v27, v14, v25
	v_lshrrev_b32_e32 v25, 16, v14
.LBB868_465:
	s_or_b64 exec, exec, s[10:11]
.LBB868_466:
	s_or_b64 exec, exec, s[8:9]
.LBB868_467:
	s_or_b64 exec, exec, s[2:3]
	s_mov_b32 s2, 0xffffff
	v_cmp_lt_u32_e32 vcc, s2, v16
	s_and_saveexec_b64 s[2:3], vcc
	s_cbranch_execz .LBB868_473
; %bb.468:
	v_lshrrev_b32_e32 v14, 24, v16
	s_movk_i32 s7, 0x80
	v_cmp_ne_u32_e32 vcc, s7, v14
	v_mov_b32_e32 v24, 0xffff8000
	s_and_saveexec_b64 s[8:9], vcc
	s_cbranch_execz .LBB868_472
; %bb.469:
	v_bfe_u32 v16, v16, 24, 7
	s_movk_i32 s7, 0x7f
	v_cmp_ne_u32_e32 vcc, s7, v16
	v_mov_b32_e32 v24, 0x7f80
	s_and_saveexec_b64 s[10:11], vcc
	s_cbranch_execz .LBB868_471
; %bb.470:
	v_and_b32_e32 v24, 7, v14
	v_ffbh_u32_e32 v28, v24
	v_min_u32_e32 v30, 32, v28
	v_subrev_u32_e32 v28, 28, v30
	v_lshlrev_b64 v[28:29], v28, v[14:15]
	v_lshrrev_b32_e32 v27, 3, v16
	v_sub_u32_e32 v29, 29, v30
	v_and_b32_e32 v28, 7, v28
	v_cmp_gt_u32_e32 vcc, 8, v16
	v_cndmask_b32_e32 v16, v27, v29, vcc
	v_cndmask_b32_e32 v24, v24, v28, vcc
	v_lshlrev_b32_e32 v14, 24, v14
	v_bfrev_b32_e32 v27, 60
	v_lshlrev_b32_e32 v24, 20, v24
	v_and_b32_e32 v14, 0x80000000, v14
	v_lshl_add_u32 v16, v16, 23, v27
	v_or3_b32 v14, v14, v16, v24
	v_lshrrev_b32_e32 v24, 16, v14
.LBB868_471:
	s_or_b64 exec, exec, s[10:11]
.LBB868_472:
	s_or_b64 exec, exec, s[8:9]
.LBB868_473:
	s_or_b64 exec, exec, s[2:3]
	v_mov_b32_e32 v16, 0
	v_cmp_ne_u16_sdwa s[8:9], v17, v16 src0_sel:BYTE_0 src1_sel:DWORD
	v_mov_b32_e32 v27, 0
	s_and_saveexec_b64 s[2:3], s[8:9]
	s_cbranch_execz .LBB868_479
; %bb.474:
	s_movk_i32 s7, 0x80
	v_cmp_ne_u16_sdwa s[10:11], v17, s7 src0_sel:BYTE_0 src1_sel:DWORD
	v_mov_b32_e32 v27, 0xffff8000
	s_and_saveexec_b64 s[8:9], s[10:11]
	s_cbranch_execz .LBB868_478
; %bb.475:
	s_movk_i32 s7, 0x7f
	v_and_b32_e32 v14, 0x7f, v17
	v_cmp_ne_u32_e32 vcc, s7, v14
	v_mov_b32_e32 v27, 0x7f80
	s_and_saveexec_b64 s[10:11], vcc
	s_cbranch_execz .LBB868_477
; %bb.476:
	v_and_b32_e32 v27, 7, v17
	v_ffbh_u32_e32 v29, v27
	v_min_u32_e32 v31, 32, v29
	v_mov_b32_e32 v28, v17
	v_subrev_u32_e32 v29, 28, v31
	v_lshlrev_b64 v[28:29], v29, v[28:29]
	v_lshrrev_b32_e32 v30, 3, v14
	v_sub_u32_e32 v29, 29, v31
	v_and_b32_e32 v28, 7, v28
	v_cmp_gt_u32_e32 vcc, 8, v14
	v_cndmask_b32_e32 v14, v30, v29, vcc
	v_cndmask_b32_e32 v27, v27, v28, vcc
	v_lshlrev_b32_e32 v28, 24, v17
	v_bfrev_b32_e32 v29, 60
	v_lshlrev_b32_e32 v27, 20, v27
	v_and_b32_e32 v28, 0x80000000, v28
	v_lshl_add_u32 v14, v14, 23, v29
	v_or3_b32 v14, v28, v14, v27
	v_lshrrev_b32_e32 v27, 16, v14
.LBB868_477:
	s_or_b64 exec, exec, s[10:11]
.LBB868_478:
	s_or_b64 exec, exec, s[8:9]
.LBB868_479:
	s_or_b64 exec, exec, s[2:3]
	v_lshrrev_b16_e32 v14, 8, v17
	v_cmp_ne_u16_e32 vcc, 0, v14
	s_and_saveexec_b64 s[2:3], vcc
	s_cbranch_execz .LBB868_485
; %bb.480:
	s_movk_i32 s7, 0x80
	v_cmp_ne_u16_e32 vcc, s7, v14
	v_mov_b32_e32 v16, 0xffff8000
	s_and_saveexec_b64 s[8:9], vcc
	s_cbranch_execz .LBB868_484
; %bb.481:
	s_movk_i32 s7, 0x7f
	v_and_b32_e32 v28, 0x7f, v14
	v_cmp_ne_u32_e32 vcc, s7, v28
	v_mov_b32_e32 v16, 0x7f80
	s_and_saveexec_b64 s[10:11], vcc
	s_cbranch_execz .LBB868_483
; %bb.482:
	v_and_b32_e32 v16, 7, v14
	v_ffbh_u32_e32 v30, v16
	v_min_u32_e32 v32, 32, v30
	v_subrev_u32_e32 v30, 28, v32
	v_lshlrev_b64 v[30:31], v30, v[14:15]
	v_lshrrev_b32_e32 v29, 3, v28
	v_sub_u32_e32 v14, 29, v32
	v_and_b32_e32 v30, 7, v30
	v_cmp_gt_u32_e32 vcc, 8, v28
	v_cndmask_b32_e32 v14, v29, v14, vcc
	v_cndmask_b32_e32 v16, v16, v30, vcc
	v_lshlrev_b32_e32 v28, 16, v17
	v_bfrev_b32_e32 v29, 60
	v_lshlrev_b32_e32 v16, 20, v16
	v_and_b32_e32 v28, 0x80000000, v28
	v_lshl_add_u32 v14, v14, 23, v29
	v_or3_b32 v14, v28, v14, v16
	v_lshrrev_b32_e32 v16, 16, v14
.LBB868_483:
	s_or_b64 exec, exec, s[10:11]
.LBB868_484:
	s_or_b64 exec, exec, s[8:9]
.LBB868_485:
	s_or_b64 exec, exec, s[2:3]
	s_movk_i32 s2, 0xff
	v_and_b32_sdwa v30, v17, s2 dst_sel:DWORD dst_unused:UNUSED_PAD src0_sel:WORD_1 src1_sel:DWORD
	v_lshrrev_b32_e32 v14, 16, v17
	v_cmp_ne_u16_e32 vcc, 0, v30
	v_mov_b32_e32 v28, 0
	v_mov_b32_e32 v29, 0
	s_and_saveexec_b64 s[2:3], vcc
	s_cbranch_execz .LBB868_491
; %bb.486:
	s_movk_i32 s7, 0x80
	v_cmp_ne_u16_e32 vcc, s7, v30
	v_mov_b32_e32 v29, 0xffff8000
	s_and_saveexec_b64 s[8:9], vcc
	s_cbranch_execz .LBB868_490
; %bb.487:
	v_bfe_u32 v30, v17, 16, 7
	s_movk_i32 s7, 0x7f
	v_cmp_ne_u32_e32 vcc, s7, v30
	v_mov_b32_e32 v29, 0x7f80
	s_and_saveexec_b64 s[10:11], vcc
	s_cbranch_execz .LBB868_489
; %bb.488:
	v_and_b32_e32 v29, 7, v14
	v_ffbh_u32_e32 v32, v29
	v_min_u32_e32 v34, 32, v32
	v_subrev_u32_e32 v32, 28, v34
	v_lshlrev_b64 v[32:33], v32, v[14:15]
	v_lshrrev_b32_e32 v31, 3, v30
	v_sub_u32_e32 v14, 29, v34
	v_and_b32_e32 v32, 7, v32
	v_cmp_gt_u32_e32 vcc, 8, v30
	v_mov_b32_e32 v30, 24
	v_cndmask_b32_e32 v14, v31, v14, vcc
	v_cndmask_b32_e32 v29, v29, v32, vcc
	v_lshlrev_b32_sdwa v30, v30, v17 dst_sel:DWORD dst_unused:UNUSED_PAD src0_sel:DWORD src1_sel:WORD_1
	v_bfrev_b32_e32 v31, 60
	v_lshlrev_b32_e32 v29, 20, v29
	v_and_b32_e32 v30, 0x80000000, v30
	v_lshl_add_u32 v14, v14, 23, v31
	v_or3_b32 v14, v30, v14, v29
	v_lshrrev_b32_e32 v29, 16, v14
.LBB868_489:
	s_or_b64 exec, exec, s[10:11]
.LBB868_490:
	s_or_b64 exec, exec, s[8:9]
.LBB868_491:
	s_or_b64 exec, exec, s[2:3]
	s_mov_b32 s2, 0xffffff
	v_cmp_lt_u32_e32 vcc, s2, v17
	s_and_saveexec_b64 s[2:3], vcc
	s_cbranch_execz .LBB868_497
; %bb.492:
	v_lshrrev_b32_e32 v14, 24, v17
	s_movk_i32 s7, 0x80
	v_cmp_ne_u32_e32 vcc, s7, v14
	v_mov_b32_e32 v28, 0xffff8000
	s_and_saveexec_b64 s[8:9], vcc
	s_cbranch_execz .LBB868_496
; %bb.493:
	v_bfe_u32 v17, v17, 24, 7
	s_movk_i32 s7, 0x7f
	v_cmp_ne_u32_e32 vcc, s7, v17
	v_mov_b32_e32 v28, 0x7f80
	s_and_saveexec_b64 s[10:11], vcc
	s_cbranch_execz .LBB868_495
; %bb.494:
	v_and_b32_e32 v28, 7, v14
	v_ffbh_u32_e32 v30, v28
	v_min_u32_e32 v33, 32, v30
	v_subrev_u32_e32 v30, 28, v33
	v_lshlrev_b64 v[30:31], v30, v[14:15]
	v_lshrrev_b32_e32 v32, 3, v17
	v_sub_u32_e32 v31, 29, v33
	v_and_b32_e32 v30, 7, v30
	v_cmp_gt_u32_e32 vcc, 8, v17
	v_cndmask_b32_e32 v17, v32, v31, vcc
	v_cndmask_b32_e32 v28, v28, v30, vcc
	v_lshlrev_b32_e32 v14, 24, v14
	v_bfrev_b32_e32 v30, 60
	v_lshlrev_b32_e32 v28, 20, v28
	v_and_b32_e32 v14, 0x80000000, v14
	v_lshl_add_u32 v17, v17, 23, v30
	v_or3_b32 v14, v14, v17, v28
	v_lshrrev_b32_e32 v28, 16, v14
.LBB868_495:
	s_or_b64 exec, exec, s[10:11]
.LBB868_496:
	s_or_b64 exec, exec, s[8:9]
.LBB868_497:
	s_or_b64 exec, exec, s[2:3]
	s_mov_b32 s2, 0x5040100
	v_perm_b32 v25, v24, v25, s2
	v_perm_b32 v24, v15, v23, s2
	ds_read_b128 v[30:33], v22 offset:16
	v_perm_b32 v15, v28, v29, s2
	v_perm_b32 v14, v16, v27, s2
	s_waitcnt lgkmcnt(0)
	v_mfma_f32_16x16x16bf16_1k v[34:37], v[24:25], v[30:31], v[18:21]
	s_nop 6
	v_mov_b32_e32 v19, 0
	s_waitcnt vmcnt(2)
	v_cmp_ne_u16_sdwa s[8:9], v10, v19 src0_sel:BYTE_0 src1_sel:DWORD
	v_mfma_f32_16x16x16bf16_1k v[14:17], v[14:15], v[32:33], v[34:37]
	v_mov_b32_e32 v20, 0
	s_and_saveexec_b64 s[2:3], s[8:9]
	s_cbranch_execz .LBB868_503
; %bb.498:
	s_movk_i32 s7, 0x80
	v_cmp_ne_u16_sdwa s[10:11], v10, s7 src0_sel:BYTE_0 src1_sel:DWORD
	v_mov_b32_e32 v20, 0xffff8000
	s_and_saveexec_b64 s[8:9], s[10:11]
	s_cbranch_execz .LBB868_502
; %bb.499:
	s_movk_i32 s7, 0x7f
	v_and_b32_e32 v18, 0x7f, v10
	v_cmp_ne_u32_e32 vcc, s7, v18
	v_mov_b32_e32 v20, 0x7f80
	s_and_saveexec_b64 s[10:11], vcc
	s_cbranch_execz .LBB868_501
; %bb.500:
	v_and_b32_e32 v23, 7, v10
	v_ffbh_u32_e32 v20, v23
	v_min_u32_e32 v25, 32, v20
	v_subrev_u32_e32 v20, 28, v25
	v_lshlrev_b64 v[20:21], v20, v[10:11]
	v_lshrrev_b32_e32 v24, 3, v18
	v_sub_u32_e32 v21, 29, v25
	v_and_b32_e32 v20, 7, v20
	v_cmp_gt_u32_e32 vcc, 8, v18
	v_cndmask_b32_e32 v18, v24, v21, vcc
	v_cndmask_b32_e32 v20, v23, v20, vcc
	v_lshlrev_b32_e32 v21, 24, v10
	v_bfrev_b32_e32 v23, 60
	v_lshlrev_b32_e32 v20, 20, v20
	v_and_b32_e32 v21, 0x80000000, v21
	v_lshl_add_u32 v18, v18, 23, v23
	v_or3_b32 v18, v21, v18, v20
	v_lshrrev_b32_e32 v20, 16, v18
.LBB868_501:
	s_or_b64 exec, exec, s[10:11]
.LBB868_502:
	s_or_b64 exec, exec, s[8:9]
.LBB868_503:
	s_or_b64 exec, exec, s[2:3]
	v_lshrrev_b16_e32 v18, 8, v10
	v_cmp_ne_u16_e32 vcc, 0, v18
	s_and_saveexec_b64 s[2:3], vcc
	s_cbranch_execz .LBB868_509
; %bb.504:
	s_movk_i32 s7, 0x80
	v_cmp_ne_u16_e32 vcc, s7, v18
	v_mov_b32_e32 v19, 0xffff8000
	s_and_saveexec_b64 s[8:9], vcc
	s_cbranch_execz .LBB868_508
; %bb.505:
	s_movk_i32 s7, 0x7f
	v_and_b32_e32 v21, 0x7f, v18
	v_cmp_ne_u32_e32 vcc, s7, v21
	v_mov_b32_e32 v19, 0x7f80
	s_and_saveexec_b64 s[10:11], vcc
	s_cbranch_execz .LBB868_507
; %bb.506:
	v_and_b32_e32 v23, 7, v18
	v_ffbh_u32_e32 v19, v23
	v_min_u32_e32 v25, 32, v19
	v_subrev_u32_e32 v19, 28, v25
	v_lshlrev_b64 v[18:19], v19, v[18:19]
	v_lshrrev_b32_e32 v24, 3, v21
	v_sub_u32_e32 v19, 29, v25
	v_and_b32_e32 v18, 7, v18
	v_cmp_gt_u32_e32 vcc, 8, v21
	v_cndmask_b32_e32 v19, v24, v19, vcc
	v_cndmask_b32_e32 v18, v23, v18, vcc
	v_lshlrev_b32_e32 v21, 16, v10
	v_bfrev_b32_e32 v23, 60
	v_lshlrev_b32_e32 v18, 20, v18
	v_and_b32_e32 v21, 0x80000000, v21
	v_lshl_add_u32 v19, v19, 23, v23
	v_or3_b32 v18, v21, v19, v18
	v_lshrrev_b32_e32 v19, 16, v18
.LBB868_507:
	s_or_b64 exec, exec, s[10:11]
.LBB868_508:
	s_or_b64 exec, exec, s[8:9]
.LBB868_509:
	s_or_b64 exec, exec, s[2:3]
	s_movk_i32 s2, 0xff
	v_and_b32_sdwa v24, v10, s2 dst_sel:DWORD dst_unused:UNUSED_PAD src0_sel:WORD_1 src1_sel:DWORD
	v_lshrrev_b32_e32 v18, 16, v10
	v_cmp_ne_u16_e32 vcc, 0, v24
	v_mov_b32_e32 v21, 0
	v_mov_b32_e32 v23, 0
	s_and_saveexec_b64 s[2:3], vcc
	s_cbranch_execz .LBB868_515
; %bb.510:
	s_movk_i32 s7, 0x80
	v_cmp_ne_u16_e32 vcc, s7, v24
	v_mov_b32_e32 v23, 0xffff8000
	s_and_saveexec_b64 s[8:9], vcc
	s_cbranch_execz .LBB868_514
; %bb.511:
	v_bfe_u32 v24, v10, 16, 7
	s_movk_i32 s7, 0x7f
	v_cmp_ne_u32_e32 vcc, s7, v24
	v_mov_b32_e32 v23, 0x7f80
	s_and_saveexec_b64 s[10:11], vcc
	s_cbranch_execz .LBB868_513
; %bb.512:
	v_and_b32_e32 v23, 7, v18
	v_ffbh_u32_e32 v27, v23
	v_min_u32_e32 v27, 32, v27
	v_subrev_u32_e32 v28, 28, v27
	v_lshlrev_b64 v[28:29], v28, v[18:19]
	v_lshrrev_b32_e32 v25, 3, v24
	v_sub_u32_e32 v18, 29, v27
	v_and_b32_e32 v27, 7, v28
	v_cmp_gt_u32_e32 vcc, 8, v24
	v_mov_b32_e32 v24, 24
	v_cndmask_b32_e32 v18, v25, v18, vcc
	v_cndmask_b32_e32 v23, v23, v27, vcc
	v_lshlrev_b32_sdwa v24, v24, v10 dst_sel:DWORD dst_unused:UNUSED_PAD src0_sel:DWORD src1_sel:WORD_1
	v_bfrev_b32_e32 v25, 60
	v_lshlrev_b32_e32 v23, 20, v23
	v_and_b32_e32 v24, 0x80000000, v24
	v_lshl_add_u32 v18, v18, 23, v25
	v_or3_b32 v18, v24, v18, v23
	v_lshrrev_b32_e32 v23, 16, v18
.LBB868_513:
	s_or_b64 exec, exec, s[10:11]
.LBB868_514:
	s_or_b64 exec, exec, s[8:9]
.LBB868_515:
	s_or_b64 exec, exec, s[2:3]
	s_mov_b32 s2, 0xffffff
	v_cmp_lt_u32_e32 vcc, s2, v10
	s_and_saveexec_b64 s[2:3], vcc
	s_cbranch_execz .LBB868_521
; %bb.516:
	v_lshrrev_b32_e32 v18, 24, v10
	s_movk_i32 s7, 0x80
	v_cmp_ne_u32_e32 vcc, s7, v18
	v_mov_b32_e32 v21, 0xffff8000
	s_and_saveexec_b64 s[8:9], vcc
	s_cbranch_execz .LBB868_520
; %bb.517:
	v_bfe_u32 v10, v10, 24, 7
	s_movk_i32 s7, 0x7f
	v_cmp_ne_u32_e32 vcc, s7, v10
	v_mov_b32_e32 v21, 0x7f80
	s_and_saveexec_b64 s[10:11], vcc
	s_cbranch_execz .LBB868_519
; %bb.518:
	v_and_b32_e32 v21, 7, v18
	v_ffbh_u32_e32 v24, v21
	v_min_u32_e32 v28, 32, v24
	v_subrev_u32_e32 v24, 28, v28
	v_lshlrev_b64 v[24:25], v24, v[18:19]
	v_lshrrev_b32_e32 v27, 3, v10
	v_sub_u32_e32 v25, 29, v28
	v_and_b32_e32 v24, 7, v24
	v_cmp_gt_u32_e32 vcc, 8, v10
	v_cndmask_b32_e32 v10, v27, v25, vcc
	v_cndmask_b32_e32 v21, v21, v24, vcc
	v_lshlrev_b32_e32 v18, 24, v18
	v_bfrev_b32_e32 v24, 60
	v_lshlrev_b32_e32 v21, 20, v21
	v_and_b32_e32 v18, 0x80000000, v18
	v_lshl_add_u32 v10, v10, 23, v24
	v_or3_b32 v10, v18, v10, v21
	v_lshrrev_b32_e32 v21, 16, v10
.LBB868_519:
	s_or_b64 exec, exec, s[10:11]
.LBB868_520:
	s_or_b64 exec, exec, s[8:9]
.LBB868_521:
	s_or_b64 exec, exec, s[2:3]
	v_mov_b32_e32 v18, 0
	v_cmp_ne_u16_sdwa s[8:9], v11, v18 src0_sel:BYTE_0 src1_sel:DWORD
	v_mov_b32_e32 v24, 0
	s_and_saveexec_b64 s[2:3], s[8:9]
	s_cbranch_execz .LBB868_527
; %bb.522:
	s_movk_i32 s7, 0x80
	v_cmp_ne_u16_sdwa s[10:11], v11, s7 src0_sel:BYTE_0 src1_sel:DWORD
	v_mov_b32_e32 v24, 0xffff8000
	s_and_saveexec_b64 s[8:9], s[10:11]
	s_cbranch_execz .LBB868_526
; %bb.523:
	s_movk_i32 s7, 0x7f
	v_and_b32_e32 v10, 0x7f, v11
	v_cmp_ne_u32_e32 vcc, s7, v10
	v_mov_b32_e32 v24, 0x7f80
	s_and_saveexec_b64 s[10:11], vcc
	s_cbranch_execz .LBB868_525
; %bb.524:
	v_and_b32_e32 v27, 7, v11
	v_ffbh_u32_e32 v25, v27
	v_min_u32_e32 v29, 32, v25
	v_mov_b32_e32 v24, v11
	v_subrev_u32_e32 v25, 28, v29
	v_lshlrev_b64 v[24:25], v25, v[24:25]
	v_lshrrev_b32_e32 v28, 3, v10
	v_sub_u32_e32 v25, 29, v29
	v_and_b32_e32 v24, 7, v24
	v_cmp_gt_u32_e32 vcc, 8, v10
	v_cndmask_b32_e32 v10, v28, v25, vcc
	v_cndmask_b32_e32 v24, v27, v24, vcc
	v_lshlrev_b32_e32 v25, 24, v11
	v_bfrev_b32_e32 v27, 60
	v_lshlrev_b32_e32 v24, 20, v24
	v_and_b32_e32 v25, 0x80000000, v25
	v_lshl_add_u32 v10, v10, 23, v27
	v_or3_b32 v10, v25, v10, v24
	v_lshrrev_b32_e32 v24, 16, v10
.LBB868_525:
	s_or_b64 exec, exec, s[10:11]
.LBB868_526:
	s_or_b64 exec, exec, s[8:9]
.LBB868_527:
	s_or_b64 exec, exec, s[2:3]
	v_lshrrev_b16_e32 v10, 8, v11
	v_cmp_ne_u16_e32 vcc, 0, v10
	s_and_saveexec_b64 s[2:3], vcc
	s_cbranch_execz .LBB868_533
; %bb.528:
	s_movk_i32 s7, 0x80
	v_cmp_ne_u16_e32 vcc, s7, v10
	v_mov_b32_e32 v18, 0xffff8000
	s_and_saveexec_b64 s[8:9], vcc
	s_cbranch_execz .LBB868_532
; %bb.529:
	s_movk_i32 s7, 0x7f
	v_and_b32_e32 v25, 0x7f, v10
	v_cmp_ne_u32_e32 vcc, s7, v25
	v_mov_b32_e32 v18, 0x7f80
	s_and_saveexec_b64 s[10:11], vcc
	s_cbranch_execz .LBB868_531
; %bb.530:
	v_and_b32_e32 v18, 7, v10
	v_ffbh_u32_e32 v28, v18
	v_min_u32_e32 v30, 32, v28
	v_subrev_u32_e32 v28, 28, v30
	v_lshlrev_b64 v[28:29], v28, v[10:11]
	v_lshrrev_b32_e32 v27, 3, v25
	v_sub_u32_e32 v10, 29, v30
	v_and_b32_e32 v28, 7, v28
	v_cmp_gt_u32_e32 vcc, 8, v25
	v_cndmask_b32_e32 v10, v27, v10, vcc
	v_cndmask_b32_e32 v18, v18, v28, vcc
	v_lshlrev_b32_e32 v25, 16, v11
	v_bfrev_b32_e32 v27, 60
	v_lshlrev_b32_e32 v18, 20, v18
	v_and_b32_e32 v25, 0x80000000, v25
	v_lshl_add_u32 v10, v10, 23, v27
	v_or3_b32 v10, v25, v10, v18
	v_lshrrev_b32_e32 v18, 16, v10
.LBB868_531:
	s_or_b64 exec, exec, s[10:11]
.LBB868_532:
	s_or_b64 exec, exec, s[8:9]
.LBB868_533:
	s_or_b64 exec, exec, s[2:3]
	s_movk_i32 s2, 0xff
	v_and_b32_sdwa v28, v11, s2 dst_sel:DWORD dst_unused:UNUSED_PAD src0_sel:WORD_1 src1_sel:DWORD
	v_lshrrev_b32_e32 v10, 16, v11
	v_cmp_ne_u16_e32 vcc, 0, v28
	v_mov_b32_e32 v25, 0
	v_mov_b32_e32 v27, 0
	s_and_saveexec_b64 s[2:3], vcc
	s_cbranch_execz .LBB868_539
; %bb.534:
	s_movk_i32 s7, 0x80
	v_cmp_ne_u16_e32 vcc, s7, v28
	v_mov_b32_e32 v27, 0xffff8000
	s_and_saveexec_b64 s[8:9], vcc
	s_cbranch_execz .LBB868_538
; %bb.535:
	v_bfe_u32 v28, v11, 16, 7
	s_movk_i32 s7, 0x7f
	v_cmp_ne_u32_e32 vcc, s7, v28
	v_mov_b32_e32 v27, 0x7f80
	s_and_saveexec_b64 s[10:11], vcc
	s_cbranch_execz .LBB868_537
; %bb.536:
	v_and_b32_e32 v27, 7, v10
	v_ffbh_u32_e32 v30, v27
	v_min_u32_e32 v32, 32, v30
	v_subrev_u32_e32 v30, 28, v32
	v_lshlrev_b64 v[30:31], v30, v[10:11]
	v_lshrrev_b32_e32 v29, 3, v28
	v_sub_u32_e32 v10, 29, v32
	v_and_b32_e32 v30, 7, v30
	v_cmp_gt_u32_e32 vcc, 8, v28
	v_mov_b32_e32 v28, 24
	v_cndmask_b32_e32 v10, v29, v10, vcc
	v_cndmask_b32_e32 v27, v27, v30, vcc
	v_lshlrev_b32_sdwa v28, v28, v11 dst_sel:DWORD dst_unused:UNUSED_PAD src0_sel:DWORD src1_sel:WORD_1
	v_bfrev_b32_e32 v29, 60
	v_lshlrev_b32_e32 v27, 20, v27
	v_and_b32_e32 v28, 0x80000000, v28
	v_lshl_add_u32 v10, v10, 23, v29
	v_or3_b32 v10, v28, v10, v27
	v_lshrrev_b32_e32 v27, 16, v10
.LBB868_537:
	s_or_b64 exec, exec, s[10:11]
.LBB868_538:
	s_or_b64 exec, exec, s[8:9]
.LBB868_539:
	s_or_b64 exec, exec, s[2:3]
	s_mov_b32 s2, 0xffffff
	v_cmp_lt_u32_e32 vcc, s2, v11
	s_and_saveexec_b64 s[2:3], vcc
	s_cbranch_execz .LBB868_545
; %bb.540:
	v_lshrrev_b32_e32 v10, 24, v11
	s_movk_i32 s7, 0x80
	v_cmp_ne_u32_e32 vcc, s7, v10
	v_mov_b32_e32 v25, 0xffff8000
	s_and_saveexec_b64 s[8:9], vcc
	s_cbranch_execz .LBB868_544
; %bb.541:
	v_bfe_u32 v11, v11, 24, 7
	s_movk_i32 s7, 0x7f
	v_cmp_ne_u32_e32 vcc, s7, v11
	v_mov_b32_e32 v25, 0x7f80
	s_and_saveexec_b64 s[10:11], vcc
	s_cbranch_execz .LBB868_543
; %bb.542:
	v_and_b32_e32 v25, 7, v10
	v_ffbh_u32_e32 v28, v25
	v_min_u32_e32 v31, 32, v28
	v_subrev_u32_e32 v28, 28, v31
	v_lshlrev_b64 v[28:29], v28, v[10:11]
	v_lshrrev_b32_e32 v30, 3, v11
	v_sub_u32_e32 v29, 29, v31
	v_and_b32_e32 v28, 7, v28
	v_cmp_gt_u32_e32 vcc, 8, v11
	v_cndmask_b32_e32 v11, v30, v29, vcc
	v_cndmask_b32_e32 v25, v25, v28, vcc
	v_lshlrev_b32_e32 v10, 24, v10
	v_bfrev_b32_e32 v28, 60
	v_lshlrev_b32_e32 v25, 20, v25
	v_and_b32_e32 v10, 0x80000000, v10
	v_lshl_add_u32 v11, v11, 23, v28
	v_or3_b32 v10, v10, v11, v25
	v_lshrrev_b32_e32 v25, 16, v10
.LBB868_543:
	s_or_b64 exec, exec, s[10:11]
.LBB868_544:
	s_or_b64 exec, exec, s[8:9]
.LBB868_545:
	s_or_b64 exec, exec, s[2:3]
	s_mov_b32 s2, 0x5040100
	v_perm_b32 v11, v21, v23, s2
	v_perm_b32 v10, v19, v20, s2
	ds_read_b128 v[28:31], v22 offset:2048
	v_perm_b32 v21, v25, v27, s2
	v_perm_b32 v20, v18, v24, s2
	s_waitcnt lgkmcnt(0)
	v_mfma_f32_16x16x16bf16_1k v[14:17], v[10:11], v[28:29], v[14:17]
	v_mov_b32_e32 v11, 0
	v_cmp_ne_u16_sdwa s[8:9], v12, v11 src0_sel:BYTE_0 src1_sel:DWORD
	v_mov_b32_e32 v18, 0
	v_mfma_f32_16x16x16bf16_1k v[14:17], v[20:21], v[30:31], v[14:17]
	s_and_saveexec_b64 s[2:3], s[8:9]
	s_cbranch_execz .LBB868_551
; %bb.546:
	s_movk_i32 s7, 0x80
	v_cmp_ne_u16_sdwa s[10:11], v12, s7 src0_sel:BYTE_0 src1_sel:DWORD
	v_mov_b32_e32 v18, 0xffff8000
	s_and_saveexec_b64 s[8:9], s[10:11]
	s_cbranch_execz .LBB868_550
; %bb.547:
	s_movk_i32 s7, 0x7f
	v_and_b32_e32 v10, 0x7f, v12
	v_cmp_ne_u32_e32 vcc, s7, v10
	v_mov_b32_e32 v18, 0x7f80
	s_and_saveexec_b64 s[10:11], vcc
	s_cbranch_execz .LBB868_549
; %bb.548:
	v_and_b32_e32 v20, 7, v12
	v_ffbh_u32_e32 v18, v20
	v_min_u32_e32 v23, 32, v18
	v_subrev_u32_e32 v18, 28, v23
	v_lshlrev_b64 v[18:19], v18, v[12:13]
	v_lshrrev_b32_e32 v21, 3, v10
	v_sub_u32_e32 v19, 29, v23
	v_and_b32_e32 v18, 7, v18
	v_cmp_gt_u32_e32 vcc, 8, v10
	v_cndmask_b32_e32 v10, v21, v19, vcc
	v_cndmask_b32_e32 v18, v20, v18, vcc
	v_lshlrev_b32_e32 v19, 24, v12
	v_bfrev_b32_e32 v20, 60
	v_lshlrev_b32_e32 v18, 20, v18
	v_and_b32_e32 v19, 0x80000000, v19
	v_lshl_add_u32 v10, v10, 23, v20
	v_or3_b32 v10, v19, v10, v18
	v_lshrrev_b32_e32 v18, 16, v10
.LBB868_549:
	s_or_b64 exec, exec, s[10:11]
.LBB868_550:
	s_or_b64 exec, exec, s[8:9]
.LBB868_551:
	s_or_b64 exec, exec, s[2:3]
	v_lshrrev_b16_e32 v10, 8, v12
	v_cmp_ne_u16_e32 vcc, 0, v10
	s_and_saveexec_b64 s[2:3], vcc
	s_cbranch_execz .LBB868_557
; %bb.552:
	s_movk_i32 s7, 0x80
	v_cmp_ne_u16_e32 vcc, s7, v10
	v_mov_b32_e32 v11, 0xffff8000
	s_and_saveexec_b64 s[8:9], vcc
	s_cbranch_execz .LBB868_556
; %bb.553:
	s_movk_i32 s7, 0x7f
	v_and_b32_e32 v19, 0x7f, v10
	v_cmp_ne_u32_e32 vcc, s7, v19
	v_mov_b32_e32 v11, 0x7f80
	s_and_saveexec_b64 s[10:11], vcc
	s_cbranch_execz .LBB868_555
; %bb.554:
	v_and_b32_e32 v20, 7, v10
	v_ffbh_u32_e32 v11, v20
	v_min_u32_e32 v23, 32, v11
	v_subrev_u32_e32 v11, 28, v23
	v_lshlrev_b64 v[10:11], v11, v[10:11]
	v_lshrrev_b32_e32 v21, 3, v19
	v_sub_u32_e32 v11, 29, v23
	v_and_b32_e32 v10, 7, v10
	v_cmp_gt_u32_e32 vcc, 8, v19
	v_cndmask_b32_e32 v11, v21, v11, vcc
	v_cndmask_b32_e32 v10, v20, v10, vcc
	v_lshlrev_b32_e32 v19, 16, v12
	v_bfrev_b32_e32 v20, 60
	v_lshlrev_b32_e32 v10, 20, v10
	v_and_b32_e32 v19, 0x80000000, v19
	v_lshl_add_u32 v11, v11, 23, v20
	v_or3_b32 v10, v19, v11, v10
	v_lshrrev_b32_e32 v11, 16, v10
.LBB868_555:
	s_or_b64 exec, exec, s[10:11]
.LBB868_556:
	s_or_b64 exec, exec, s[8:9]
.LBB868_557:
	s_or_b64 exec, exec, s[2:3]
	s_movk_i32 s2, 0xff
	v_and_b32_sdwa v21, v12, s2 dst_sel:DWORD dst_unused:UNUSED_PAD src0_sel:WORD_1 src1_sel:DWORD
	v_lshrrev_b32_e32 v10, 16, v12
	v_cmp_ne_u16_e32 vcc, 0, v21
	v_mov_b32_e32 v19, 0
	v_mov_b32_e32 v20, 0
	s_and_saveexec_b64 s[2:3], vcc
	s_cbranch_execz .LBB868_563
; %bb.558:
	s_movk_i32 s7, 0x80
	v_cmp_ne_u16_e32 vcc, s7, v21
	v_mov_b32_e32 v20, 0xffff8000
	s_and_saveexec_b64 s[8:9], vcc
	s_cbranch_execz .LBB868_562
; %bb.559:
	v_bfe_u32 v21, v12, 16, 7
	s_movk_i32 s7, 0x7f
	v_cmp_ne_u32_e32 vcc, s7, v21
	v_mov_b32_e32 v20, 0x7f80
	s_and_saveexec_b64 s[10:11], vcc
	s_cbranch_execz .LBB868_561
; %bb.560:
	v_and_b32_e32 v20, 7, v10
	v_ffbh_u32_e32 v24, v20
	v_min_u32_e32 v27, 32, v24
	v_subrev_u32_e32 v24, 28, v27
	v_lshlrev_b64 v[24:25], v24, v[10:11]
	v_lshrrev_b32_e32 v23, 3, v21
	v_sub_u32_e32 v10, 29, v27
	v_and_b32_e32 v24, 7, v24
	v_cmp_gt_u32_e32 vcc, 8, v21
	v_mov_b32_e32 v21, 24
	v_cndmask_b32_e32 v10, v23, v10, vcc
	v_cndmask_b32_e32 v20, v20, v24, vcc
	v_lshlrev_b32_sdwa v21, v21, v12 dst_sel:DWORD dst_unused:UNUSED_PAD src0_sel:DWORD src1_sel:WORD_1
	v_bfrev_b32_e32 v23, 60
	v_lshlrev_b32_e32 v20, 20, v20
	v_and_b32_e32 v21, 0x80000000, v21
	v_lshl_add_u32 v10, v10, 23, v23
	v_or3_b32 v10, v21, v10, v20
	v_lshrrev_b32_e32 v20, 16, v10
.LBB868_561:
	s_or_b64 exec, exec, s[10:11]
.LBB868_562:
	s_or_b64 exec, exec, s[8:9]
.LBB868_563:
	s_or_b64 exec, exec, s[2:3]
	s_mov_b32 s2, 0xffffff
	v_cmp_lt_u32_e32 vcc, s2, v12
	s_and_saveexec_b64 s[2:3], vcc
	s_cbranch_execz .LBB868_569
; %bb.564:
	v_lshrrev_b32_e32 v10, 24, v12
	s_movk_i32 s7, 0x80
	v_cmp_ne_u32_e32 vcc, s7, v10
	v_mov_b32_e32 v19, 0xffff8000
	s_and_saveexec_b64 s[8:9], vcc
	s_cbranch_execz .LBB868_568
; %bb.565:
	v_bfe_u32 v12, v12, 24, 7
	s_movk_i32 s7, 0x7f
	v_cmp_ne_u32_e32 vcc, s7, v12
	v_mov_b32_e32 v19, 0x7f80
	s_and_saveexec_b64 s[10:11], vcc
	s_cbranch_execz .LBB868_567
; %bb.566:
	v_and_b32_e32 v19, 7, v10
	v_ffbh_u32_e32 v23, v19
	v_min_u32_e32 v23, 32, v23
	v_subrev_u32_e32 v24, 28, v23
	v_lshlrev_b64 v[24:25], v24, v[10:11]
	v_lshrrev_b32_e32 v21, 3, v12
	v_sub_u32_e32 v23, 29, v23
	v_and_b32_e32 v24, 7, v24
	v_cmp_gt_u32_e32 vcc, 8, v12
	v_cndmask_b32_e32 v12, v21, v23, vcc
	v_cndmask_b32_e32 v19, v19, v24, vcc
	v_lshlrev_b32_e32 v10, 24, v10
	v_bfrev_b32_e32 v21, 60
	v_lshlrev_b32_e32 v19, 20, v19
	v_and_b32_e32 v10, 0x80000000, v10
	v_lshl_add_u32 v12, v12, 23, v21
	v_or3_b32 v10, v10, v12, v19
	v_lshrrev_b32_e32 v19, 16, v10
.LBB868_567:
	s_or_b64 exec, exec, s[10:11]
.LBB868_568:
	s_or_b64 exec, exec, s[8:9]
.LBB868_569:
	s_or_b64 exec, exec, s[2:3]
	v_mov_b32_e32 v12, 0
	v_cmp_ne_u16_sdwa s[8:9], v13, v12 src0_sel:BYTE_0 src1_sel:DWORD
	v_mov_b32_e32 v21, 0
	s_and_saveexec_b64 s[2:3], s[8:9]
	s_cbranch_execz .LBB868_575
; %bb.570:
	s_movk_i32 s7, 0x80
	v_cmp_ne_u16_sdwa s[10:11], v13, s7 src0_sel:BYTE_0 src1_sel:DWORD
	v_mov_b32_e32 v21, 0xffff8000
	s_and_saveexec_b64 s[8:9], s[10:11]
	s_cbranch_execz .LBB868_574
; %bb.571:
	s_movk_i32 s7, 0x7f
	v_and_b32_e32 v10, 0x7f, v13
	v_cmp_ne_u32_e32 vcc, s7, v10
	v_mov_b32_e32 v21, 0x7f80
	s_and_saveexec_b64 s[10:11], vcc
	s_cbranch_execz .LBB868_573
; %bb.572:
	v_and_b32_e32 v21, 7, v13
	v_ffbh_u32_e32 v25, v21
	v_min_u32_e32 v27, 32, v25
	v_mov_b32_e32 v24, v13
	v_subrev_u32_e32 v25, 28, v27
	v_lshlrev_b64 v[24:25], v25, v[24:25]
	v_lshrrev_b32_e32 v23, 3, v10
	v_sub_u32_e32 v25, 29, v27
	v_and_b32_e32 v24, 7, v24
	v_cmp_gt_u32_e32 vcc, 8, v10
	v_cndmask_b32_e32 v10, v23, v25, vcc
	v_cndmask_b32_e32 v21, v21, v24, vcc
	v_lshlrev_b32_e32 v23, 24, v13
	v_bfrev_b32_e32 v24, 60
	v_lshlrev_b32_e32 v21, 20, v21
	v_and_b32_e32 v23, 0x80000000, v23
	v_lshl_add_u32 v10, v10, 23, v24
	v_or3_b32 v10, v23, v10, v21
	v_lshrrev_b32_e32 v21, 16, v10
.LBB868_573:
	s_or_b64 exec, exec, s[10:11]
.LBB868_574:
	s_or_b64 exec, exec, s[8:9]
.LBB868_575:
	s_or_b64 exec, exec, s[2:3]
	v_lshrrev_b16_e32 v10, 8, v13
	v_cmp_ne_u16_e32 vcc, 0, v10
	s_and_saveexec_b64 s[2:3], vcc
	s_cbranch_execz .LBB868_581
; %bb.576:
	s_movk_i32 s7, 0x80
	v_cmp_ne_u16_e32 vcc, s7, v10
	v_mov_b32_e32 v12, 0xffff8000
	s_and_saveexec_b64 s[8:9], vcc
	s_cbranch_execz .LBB868_580
; %bb.577:
	s_movk_i32 s7, 0x7f
	v_and_b32_e32 v23, 0x7f, v10
	v_cmp_ne_u32_e32 vcc, s7, v23
	v_mov_b32_e32 v12, 0x7f80
	s_and_saveexec_b64 s[10:11], vcc
	s_cbranch_execz .LBB868_579
; %bb.578:
	v_and_b32_e32 v12, 7, v10
	v_ffbh_u32_e32 v24, v12
	v_min_u32_e32 v28, 32, v24
	v_subrev_u32_e32 v24, 28, v28
	v_lshlrev_b64 v[24:25], v24, v[10:11]
	v_lshrrev_b32_e32 v27, 3, v23
	v_sub_u32_e32 v10, 29, v28
	v_and_b32_e32 v24, 7, v24
	v_cmp_gt_u32_e32 vcc, 8, v23
	v_cndmask_b32_e32 v10, v27, v10, vcc
	v_cndmask_b32_e32 v12, v12, v24, vcc
	v_lshlrev_b32_e32 v23, 16, v13
	v_bfrev_b32_e32 v24, 60
	v_lshlrev_b32_e32 v12, 20, v12
	v_and_b32_e32 v23, 0x80000000, v23
	v_lshl_add_u32 v10, v10, 23, v24
	v_or3_b32 v10, v23, v10, v12
	v_lshrrev_b32_e32 v12, 16, v10
.LBB868_579:
	s_or_b64 exec, exec, s[10:11]
.LBB868_580:
	s_or_b64 exec, exec, s[8:9]
.LBB868_581:
	s_or_b64 exec, exec, s[2:3]
	s_movk_i32 s2, 0xff
	v_and_b32_sdwa v25, v13, s2 dst_sel:DWORD dst_unused:UNUSED_PAD src0_sel:WORD_1 src1_sel:DWORD
	v_lshrrev_b32_e32 v10, 16, v13
	v_cmp_ne_u16_e32 vcc, 0, v25
	v_mov_b32_e32 v23, 0
	v_mov_b32_e32 v24, 0
	s_and_saveexec_b64 s[2:3], vcc
	s_cbranch_execz .LBB868_587
; %bb.582:
	s_movk_i32 s7, 0x80
	v_cmp_ne_u16_e32 vcc, s7, v25
	v_mov_b32_e32 v24, 0xffff8000
	s_and_saveexec_b64 s[8:9], vcc
	s_cbranch_execz .LBB868_586
; %bb.583:
	v_bfe_u32 v25, v13, 16, 7
	s_movk_i32 s7, 0x7f
	v_cmp_ne_u32_e32 vcc, s7, v25
	v_mov_b32_e32 v24, 0x7f80
	s_and_saveexec_b64 s[10:11], vcc
	s_cbranch_execz .LBB868_585
; %bb.584:
	v_and_b32_e32 v24, 7, v10
	v_ffbh_u32_e32 v28, v24
	v_min_u32_e32 v30, 32, v28
	v_subrev_u32_e32 v28, 28, v30
	v_lshlrev_b64 v[28:29], v28, v[10:11]
	v_lshrrev_b32_e32 v27, 3, v25
	v_sub_u32_e32 v10, 29, v30
	v_and_b32_e32 v28, 7, v28
	v_cmp_gt_u32_e32 vcc, 8, v25
	v_mov_b32_e32 v25, 24
	v_cndmask_b32_e32 v10, v27, v10, vcc
	v_cndmask_b32_e32 v24, v24, v28, vcc
	v_lshlrev_b32_sdwa v25, v25, v13 dst_sel:DWORD dst_unused:UNUSED_PAD src0_sel:DWORD src1_sel:WORD_1
	v_bfrev_b32_e32 v27, 60
	v_lshlrev_b32_e32 v24, 20, v24
	v_and_b32_e32 v25, 0x80000000, v25
	v_lshl_add_u32 v10, v10, 23, v27
	v_or3_b32 v10, v25, v10, v24
	v_lshrrev_b32_e32 v24, 16, v10
.LBB868_585:
	s_or_b64 exec, exec, s[10:11]
.LBB868_586:
	s_or_b64 exec, exec, s[8:9]
.LBB868_587:
	s_or_b64 exec, exec, s[2:3]
	s_mov_b32 s2, 0xffffff
	v_cmp_lt_u32_e32 vcc, s2, v13
	s_and_saveexec_b64 s[2:3], vcc
	s_cbranch_execz .LBB868_593
; %bb.588:
	v_lshrrev_b32_e32 v10, 24, v13
	s_movk_i32 s7, 0x80
	v_cmp_ne_u32_e32 vcc, s7, v10
	v_mov_b32_e32 v23, 0xffff8000
	s_and_saveexec_b64 s[8:9], vcc
	s_cbranch_execz .LBB868_592
; %bb.589:
	v_bfe_u32 v13, v13, 24, 7
	s_movk_i32 s7, 0x7f
	v_cmp_ne_u32_e32 vcc, s7, v13
	v_mov_b32_e32 v23, 0x7f80
	s_and_saveexec_b64 s[10:11], vcc
	s_cbranch_execz .LBB868_591
; %bb.590:
	v_and_b32_e32 v23, 7, v10
	v_ffbh_u32_e32 v27, v23
	v_min_u32_e32 v27, 32, v27
	v_subrev_u32_e32 v28, 28, v27
	v_lshlrev_b64 v[28:29], v28, v[10:11]
	v_lshrrev_b32_e32 v25, 3, v13
	v_sub_u32_e32 v27, 29, v27
	v_and_b32_e32 v28, 7, v28
	v_cmp_gt_u32_e32 vcc, 8, v13
	v_cndmask_b32_e32 v13, v25, v27, vcc
	v_cndmask_b32_e32 v23, v23, v28, vcc
	v_lshlrev_b32_e32 v10, 24, v10
	v_bfrev_b32_e32 v25, 60
	v_lshlrev_b32_e32 v23, 20, v23
	v_and_b32_e32 v10, 0x80000000, v10
	v_lshl_add_u32 v13, v13, 23, v25
	v_or3_b32 v10, v10, v13, v23
	v_lshrrev_b32_e32 v23, 16, v10
.LBB868_591:
	s_or_b64 exec, exec, s[10:11]
.LBB868_592:
	s_or_b64 exec, exec, s[8:9]
.LBB868_593:
	s_or_b64 exec, exec, s[2:3]
	s_mov_b32 s2, 0x5040100
	v_perm_b32 v19, v19, v20, s2
	v_perm_b32 v18, v11, v18, s2
	ds_read_b128 v[28:31], v22 offset:2064
	v_perm_b32 v11, v23, v24, s2
	v_perm_b32 v10, v12, v21, s2
	s_waitcnt lgkmcnt(0)
	v_mfma_f32_16x16x16bf16_1k v[32:35], v[18:19], v[28:29], v[14:17]
	s_nop 6
	v_mov_b32_e32 v15, 0
	s_waitcnt vmcnt(1)
	v_cmp_ne_u16_sdwa s[8:9], v6, v15 src0_sel:BYTE_0 src1_sel:DWORD
	v_mfma_f32_16x16x16bf16_1k v[10:13], v[10:11], v[30:31], v[32:35]
	v_mov_b32_e32 v16, 0
	s_and_saveexec_b64 s[2:3], s[8:9]
	s_cbranch_execz .LBB868_599
; %bb.594:
	s_movk_i32 s7, 0x80
	v_cmp_ne_u16_sdwa s[10:11], v6, s7 src0_sel:BYTE_0 src1_sel:DWORD
	v_mov_b32_e32 v16, 0xffff8000
	s_and_saveexec_b64 s[8:9], s[10:11]
	s_cbranch_execz .LBB868_598
; %bb.595:
	s_movk_i32 s7, 0x7f
	v_and_b32_e32 v14, 0x7f, v6
	v_cmp_ne_u32_e32 vcc, s7, v14
	v_mov_b32_e32 v16, 0x7f80
	s_and_saveexec_b64 s[10:11], vcc
	s_cbranch_execz .LBB868_597
; %bb.596:
	v_and_b32_e32 v18, 7, v6
	v_ffbh_u32_e32 v16, v18
	v_min_u32_e32 v20, 32, v16
	v_subrev_u32_e32 v16, 28, v20
	v_lshlrev_b64 v[16:17], v16, v[6:7]
	v_lshrrev_b32_e32 v19, 3, v14
	v_sub_u32_e32 v17, 29, v20
	v_and_b32_e32 v16, 7, v16
	v_cmp_gt_u32_e32 vcc, 8, v14
	v_cndmask_b32_e32 v14, v19, v17, vcc
	v_cndmask_b32_e32 v16, v18, v16, vcc
	v_lshlrev_b32_e32 v17, 24, v6
	v_bfrev_b32_e32 v18, 60
	v_lshlrev_b32_e32 v16, 20, v16
	v_and_b32_e32 v17, 0x80000000, v17
	v_lshl_add_u32 v14, v14, 23, v18
	v_or3_b32 v14, v17, v14, v16
	v_lshrrev_b32_e32 v16, 16, v14
.LBB868_597:
	s_or_b64 exec, exec, s[10:11]
.LBB868_598:
	s_or_b64 exec, exec, s[8:9]
.LBB868_599:
	s_or_b64 exec, exec, s[2:3]
	v_lshrrev_b16_e32 v14, 8, v6
	v_cmp_ne_u16_e32 vcc, 0, v14
	s_and_saveexec_b64 s[2:3], vcc
	s_cbranch_execz .LBB868_605
; %bb.600:
	s_movk_i32 s7, 0x80
	v_cmp_ne_u16_e32 vcc, s7, v14
	v_mov_b32_e32 v15, 0xffff8000
	s_and_saveexec_b64 s[8:9], vcc
	s_cbranch_execz .LBB868_604
; %bb.601:
	s_movk_i32 s7, 0x7f
	v_and_b32_e32 v17, 0x7f, v14
	v_cmp_ne_u32_e32 vcc, s7, v17
	v_mov_b32_e32 v15, 0x7f80
	s_and_saveexec_b64 s[10:11], vcc
	s_cbranch_execz .LBB868_603
; %bb.602:
	v_and_b32_e32 v18, 7, v14
	v_ffbh_u32_e32 v15, v18
	v_min_u32_e32 v20, 32, v15
	v_subrev_u32_e32 v15, 28, v20
	v_lshlrev_b64 v[14:15], v15, v[14:15]
	v_lshrrev_b32_e32 v19, 3, v17
	v_sub_u32_e32 v15, 29, v20
	v_and_b32_e32 v14, 7, v14
	v_cmp_gt_u32_e32 vcc, 8, v17
	v_cndmask_b32_e32 v15, v19, v15, vcc
	v_cndmask_b32_e32 v14, v18, v14, vcc
	v_lshlrev_b32_e32 v17, 16, v6
	v_bfrev_b32_e32 v18, 60
	v_lshlrev_b32_e32 v14, 20, v14
	v_and_b32_e32 v17, 0x80000000, v17
	v_lshl_add_u32 v15, v15, 23, v18
	v_or3_b32 v14, v17, v15, v14
	v_lshrrev_b32_e32 v15, 16, v14
.LBB868_603:
	s_or_b64 exec, exec, s[10:11]
.LBB868_604:
	s_or_b64 exec, exec, s[8:9]
.LBB868_605:
	s_or_b64 exec, exec, s[2:3]
	s_movk_i32 s2, 0xff
	v_and_b32_sdwa v19, v6, s2 dst_sel:DWORD dst_unused:UNUSED_PAD src0_sel:WORD_1 src1_sel:DWORD
	v_lshrrev_b32_e32 v14, 16, v6
	v_cmp_ne_u16_e32 vcc, 0, v19
	v_mov_b32_e32 v17, 0
	v_mov_b32_e32 v18, 0
	s_and_saveexec_b64 s[2:3], vcc
	s_cbranch_execz .LBB868_611
; %bb.606:
	s_movk_i32 s7, 0x80
	v_cmp_ne_u16_e32 vcc, s7, v19
	v_mov_b32_e32 v18, 0xffff8000
	s_and_saveexec_b64 s[8:9], vcc
	s_cbranch_execz .LBB868_610
; %bb.607:
	v_bfe_u32 v19, v6, 16, 7
	s_movk_i32 s7, 0x7f
	v_cmp_ne_u32_e32 vcc, s7, v19
	v_mov_b32_e32 v18, 0x7f80
	s_and_saveexec_b64 s[10:11], vcc
	s_cbranch_execz .LBB868_609
; %bb.608:
	v_and_b32_e32 v18, 7, v14
	v_ffbh_u32_e32 v20, v18
	v_min_u32_e32 v24, 32, v20
	v_subrev_u32_e32 v20, 28, v24
	v_lshlrev_b64 v[20:21], v20, v[14:15]
	v_lshrrev_b32_e32 v23, 3, v19
	v_sub_u32_e32 v14, 29, v24
	v_and_b32_e32 v20, 7, v20
	v_cmp_gt_u32_e32 vcc, 8, v19
	v_mov_b32_e32 v19, 24
	v_cndmask_b32_e32 v14, v23, v14, vcc
	v_cndmask_b32_e32 v18, v18, v20, vcc
	v_lshlrev_b32_sdwa v19, v19, v6 dst_sel:DWORD dst_unused:UNUSED_PAD src0_sel:DWORD src1_sel:WORD_1
	v_bfrev_b32_e32 v20, 60
	v_lshlrev_b32_e32 v18, 20, v18
	v_and_b32_e32 v19, 0x80000000, v19
	v_lshl_add_u32 v14, v14, 23, v20
	v_or3_b32 v14, v19, v14, v18
	v_lshrrev_b32_e32 v18, 16, v14
.LBB868_609:
	s_or_b64 exec, exec, s[10:11]
.LBB868_610:
	s_or_b64 exec, exec, s[8:9]
.LBB868_611:
	s_or_b64 exec, exec, s[2:3]
	s_mov_b32 s2, 0xffffff
	v_cmp_lt_u32_e32 vcc, s2, v6
	s_and_saveexec_b64 s[2:3], vcc
	s_cbranch_execz .LBB868_617
; %bb.612:
	v_lshrrev_b32_e32 v14, 24, v6
	s_movk_i32 s7, 0x80
	v_cmp_ne_u32_e32 vcc, s7, v14
	v_mov_b32_e32 v17, 0xffff8000
	s_and_saveexec_b64 s[8:9], vcc
	s_cbranch_execz .LBB868_616
; %bb.613:
	v_bfe_u32 v6, v6, 24, 7
	s_movk_i32 s7, 0x7f
	v_cmp_ne_u32_e32 vcc, s7, v6
	v_mov_b32_e32 v17, 0x7f80
	s_and_saveexec_b64 s[10:11], vcc
	s_cbranch_execz .LBB868_615
; %bb.614:
	v_and_b32_e32 v17, 7, v14
	v_ffbh_u32_e32 v20, v17
	v_min_u32_e32 v23, 32, v20
	v_subrev_u32_e32 v20, 28, v23
	v_lshlrev_b64 v[20:21], v20, v[14:15]
	v_lshrrev_b32_e32 v19, 3, v6
	v_sub_u32_e32 v21, 29, v23
	v_and_b32_e32 v20, 7, v20
	v_cmp_gt_u32_e32 vcc, 8, v6
	v_cndmask_b32_e32 v6, v19, v21, vcc
	v_cndmask_b32_e32 v17, v17, v20, vcc
	v_lshlrev_b32_e32 v14, 24, v14
	v_bfrev_b32_e32 v19, 60
	v_lshlrev_b32_e32 v17, 20, v17
	v_and_b32_e32 v14, 0x80000000, v14
	v_lshl_add_u32 v6, v6, 23, v19
	v_or3_b32 v6, v14, v6, v17
	v_lshrrev_b32_e32 v17, 16, v6
.LBB868_615:
	s_or_b64 exec, exec, s[10:11]
.LBB868_616:
	s_or_b64 exec, exec, s[8:9]
.LBB868_617:
	s_or_b64 exec, exec, s[2:3]
	v_mov_b32_e32 v14, 0
	v_cmp_ne_u16_sdwa s[8:9], v7, v14 src0_sel:BYTE_0 src1_sel:DWORD
	v_mov_b32_e32 v19, 0
	s_and_saveexec_b64 s[2:3], s[8:9]
	s_cbranch_execz .LBB868_623
; %bb.618:
	s_movk_i32 s7, 0x80
	v_cmp_ne_u16_sdwa s[10:11], v7, s7 src0_sel:BYTE_0 src1_sel:DWORD
	v_mov_b32_e32 v19, 0xffff8000
	s_and_saveexec_b64 s[8:9], s[10:11]
	s_cbranch_execz .LBB868_622
; %bb.619:
	s_movk_i32 s7, 0x7f
	v_and_b32_e32 v6, 0x7f, v7
	v_cmp_ne_u32_e32 vcc, s7, v6
	v_mov_b32_e32 v19, 0x7f80
	s_and_saveexec_b64 s[10:11], vcc
	s_cbranch_execz .LBB868_621
; %bb.620:
	v_and_b32_e32 v19, 7, v7
	v_ffbh_u32_e32 v21, v19
	v_min_u32_e32 v24, 32, v21
	v_mov_b32_e32 v20, v7
	v_subrev_u32_e32 v21, 28, v24
	v_lshlrev_b64 v[20:21], v21, v[20:21]
	v_lshrrev_b32_e32 v23, 3, v6
	v_sub_u32_e32 v21, 29, v24
	v_and_b32_e32 v20, 7, v20
	v_cmp_gt_u32_e32 vcc, 8, v6
	v_cndmask_b32_e32 v6, v23, v21, vcc
	v_cndmask_b32_e32 v19, v19, v20, vcc
	v_lshlrev_b32_e32 v20, 24, v7
	v_bfrev_b32_e32 v21, 60
	v_lshlrev_b32_e32 v19, 20, v19
	v_and_b32_e32 v20, 0x80000000, v20
	v_lshl_add_u32 v6, v6, 23, v21
	v_or3_b32 v6, v20, v6, v19
	v_lshrrev_b32_e32 v19, 16, v6
.LBB868_621:
	s_or_b64 exec, exec, s[10:11]
.LBB868_622:
	s_or_b64 exec, exec, s[8:9]
.LBB868_623:
	s_or_b64 exec, exec, s[2:3]
	v_lshrrev_b16_e32 v6, 8, v7
	v_cmp_ne_u16_e32 vcc, 0, v6
	s_and_saveexec_b64 s[2:3], vcc
	s_cbranch_execz .LBB868_629
; %bb.624:
	s_movk_i32 s7, 0x80
	v_cmp_ne_u16_e32 vcc, s7, v6
	v_mov_b32_e32 v14, 0xffff8000
	s_and_saveexec_b64 s[8:9], vcc
	s_cbranch_execz .LBB868_628
; %bb.625:
	s_movk_i32 s7, 0x7f
	v_and_b32_e32 v20, 0x7f, v6
	v_cmp_ne_u32_e32 vcc, s7, v20
	v_mov_b32_e32 v14, 0x7f80
	s_and_saveexec_b64 s[10:11], vcc
	s_cbranch_execz .LBB868_627
; %bb.626:
	v_and_b32_e32 v14, 7, v6
	v_ffbh_u32_e32 v23, v14
	v_min_u32_e32 v23, 32, v23
	v_subrev_u32_e32 v24, 28, v23
	v_lshlrev_b64 v[24:25], v24, v[6:7]
	v_lshrrev_b32_e32 v21, 3, v20
	v_sub_u32_e32 v6, 29, v23
	v_and_b32_e32 v23, 7, v24
	v_cmp_gt_u32_e32 vcc, 8, v20
	v_cndmask_b32_e32 v6, v21, v6, vcc
	v_cndmask_b32_e32 v14, v14, v23, vcc
	v_lshlrev_b32_e32 v20, 16, v7
	v_bfrev_b32_e32 v21, 60
	v_lshlrev_b32_e32 v14, 20, v14
	v_and_b32_e32 v20, 0x80000000, v20
	v_lshl_add_u32 v6, v6, 23, v21
	v_or3_b32 v6, v20, v6, v14
	v_lshrrev_b32_e32 v14, 16, v6
.LBB868_627:
	s_or_b64 exec, exec, s[10:11]
.LBB868_628:
	s_or_b64 exec, exec, s[8:9]
.LBB868_629:
	s_or_b64 exec, exec, s[2:3]
	s_movk_i32 s2, 0xff
	v_and_b32_sdwa v23, v7, s2 dst_sel:DWORD dst_unused:UNUSED_PAD src0_sel:WORD_1 src1_sel:DWORD
	v_lshrrev_b32_e32 v6, 16, v7
	v_cmp_ne_u16_e32 vcc, 0, v23
	v_mov_b32_e32 v20, 0
	v_mov_b32_e32 v21, 0
	s_and_saveexec_b64 s[2:3], vcc
	s_cbranch_execz .LBB868_635
; %bb.630:
	s_movk_i32 s7, 0x80
	v_cmp_ne_u16_e32 vcc, s7, v23
	v_mov_b32_e32 v21, 0xffff8000
	s_and_saveexec_b64 s[8:9], vcc
	s_cbranch_execz .LBB868_634
; %bb.631:
	v_bfe_u32 v23, v7, 16, 7
	s_movk_i32 s7, 0x7f
	v_cmp_ne_u32_e32 vcc, s7, v23
	v_mov_b32_e32 v21, 0x7f80
	s_and_saveexec_b64 s[10:11], vcc
	s_cbranch_execz .LBB868_633
; %bb.632:
	v_and_b32_e32 v21, 7, v6
	v_ffbh_u32_e32 v24, v21
	v_min_u32_e32 v28, 32, v24
	v_subrev_u32_e32 v24, 28, v28
	v_lshlrev_b64 v[24:25], v24, v[6:7]
	v_lshrrev_b32_e32 v27, 3, v23
	v_sub_u32_e32 v6, 29, v28
	v_and_b32_e32 v24, 7, v24
	v_cmp_gt_u32_e32 vcc, 8, v23
	v_mov_b32_e32 v23, 24
	v_cndmask_b32_e32 v6, v27, v6, vcc
	v_cndmask_b32_e32 v21, v21, v24, vcc
	v_lshlrev_b32_sdwa v23, v23, v7 dst_sel:DWORD dst_unused:UNUSED_PAD src0_sel:DWORD src1_sel:WORD_1
	v_bfrev_b32_e32 v24, 60
	v_lshlrev_b32_e32 v21, 20, v21
	v_and_b32_e32 v23, 0x80000000, v23
	v_lshl_add_u32 v6, v6, 23, v24
	v_or3_b32 v6, v23, v6, v21
	v_lshrrev_b32_e32 v21, 16, v6
.LBB868_633:
	s_or_b64 exec, exec, s[10:11]
.LBB868_634:
	s_or_b64 exec, exec, s[8:9]
.LBB868_635:
	s_or_b64 exec, exec, s[2:3]
	s_mov_b32 s2, 0xffffff
	v_cmp_lt_u32_e32 vcc, s2, v7
	s_and_saveexec_b64 s[2:3], vcc
	s_cbranch_execz .LBB868_641
; %bb.636:
	v_lshrrev_b32_e32 v6, 24, v7
	s_movk_i32 s7, 0x80
	v_cmp_ne_u32_e32 vcc, s7, v6
	v_mov_b32_e32 v20, 0xffff8000
	s_and_saveexec_b64 s[8:9], vcc
	s_cbranch_execz .LBB868_640
; %bb.637:
	v_bfe_u32 v7, v7, 24, 7
	s_movk_i32 s7, 0x7f
	v_cmp_ne_u32_e32 vcc, s7, v7
	v_mov_b32_e32 v20, 0x7f80
	s_and_saveexec_b64 s[10:11], vcc
	s_cbranch_execz .LBB868_639
; %bb.638:
	v_and_b32_e32 v20, 7, v6
	v_ffbh_u32_e32 v24, v20
	v_min_u32_e32 v27, 32, v24
	v_subrev_u32_e32 v24, 28, v27
	v_lshlrev_b64 v[24:25], v24, v[6:7]
	v_lshrrev_b32_e32 v23, 3, v7
	v_sub_u32_e32 v25, 29, v27
	v_and_b32_e32 v24, 7, v24
	v_cmp_gt_u32_e32 vcc, 8, v7
	v_cndmask_b32_e32 v7, v23, v25, vcc
	v_cndmask_b32_e32 v20, v20, v24, vcc
	v_lshlrev_b32_e32 v6, 24, v6
	v_bfrev_b32_e32 v23, 60
	v_lshlrev_b32_e32 v20, 20, v20
	v_and_b32_e32 v6, 0x80000000, v6
	v_lshl_add_u32 v7, v7, 23, v23
	v_or3_b32 v6, v6, v7, v20
	v_lshrrev_b32_e32 v20, 16, v6
.LBB868_639:
	s_or_b64 exec, exec, s[10:11]
.LBB868_640:
	s_or_b64 exec, exec, s[8:9]
.LBB868_641:
	s_or_b64 exec, exec, s[2:3]
	s_mov_b32 s2, 0x5040100
	v_perm_b32 v7, v17, v18, s2
	v_perm_b32 v6, v15, v16, s2
	ds_read_b128 v[28:31], v22 offset:4096
	v_perm_b32 v17, v20, v21, s2
	v_perm_b32 v16, v14, v19, s2
	s_waitcnt lgkmcnt(0)
	v_mfma_f32_16x16x16bf16_1k v[10:13], v[6:7], v[28:29], v[10:13]
	v_mov_b32_e32 v7, 0
	v_cmp_ne_u16_sdwa s[8:9], v8, v7 src0_sel:BYTE_0 src1_sel:DWORD
	v_mov_b32_e32 v14, 0
	v_mfma_f32_16x16x16bf16_1k v[10:13], v[16:17], v[30:31], v[10:13]
	s_and_saveexec_b64 s[2:3], s[8:9]
	s_cbranch_execz .LBB868_647
; %bb.642:
	s_movk_i32 s7, 0x80
	v_cmp_ne_u16_sdwa s[10:11], v8, s7 src0_sel:BYTE_0 src1_sel:DWORD
	v_mov_b32_e32 v14, 0xffff8000
	s_and_saveexec_b64 s[8:9], s[10:11]
	s_cbranch_execz .LBB868_646
; %bb.643:
	s_movk_i32 s7, 0x7f
	v_and_b32_e32 v6, 0x7f, v8
	v_cmp_ne_u32_e32 vcc, s7, v6
	v_mov_b32_e32 v14, 0x7f80
	s_and_saveexec_b64 s[10:11], vcc
	s_cbranch_execz .LBB868_645
; %bb.644:
	v_and_b32_e32 v16, 7, v8
	v_ffbh_u32_e32 v14, v16
	v_min_u32_e32 v18, 32, v14
	v_subrev_u32_e32 v14, 28, v18
	v_lshlrev_b64 v[14:15], v14, v[8:9]
	v_lshrrev_b32_e32 v17, 3, v6
	v_sub_u32_e32 v15, 29, v18
	v_and_b32_e32 v14, 7, v14
	v_cmp_gt_u32_e32 vcc, 8, v6
	v_cndmask_b32_e32 v6, v17, v15, vcc
	v_cndmask_b32_e32 v14, v16, v14, vcc
	v_lshlrev_b32_e32 v15, 24, v8
	v_bfrev_b32_e32 v16, 60
	v_lshlrev_b32_e32 v14, 20, v14
	v_and_b32_e32 v15, 0x80000000, v15
	v_lshl_add_u32 v6, v6, 23, v16
	v_or3_b32 v6, v15, v6, v14
	v_lshrrev_b32_e32 v14, 16, v6
.LBB868_645:
	s_or_b64 exec, exec, s[10:11]
.LBB868_646:
	s_or_b64 exec, exec, s[8:9]
.LBB868_647:
	s_or_b64 exec, exec, s[2:3]
	v_lshrrev_b16_e32 v6, 8, v8
	v_cmp_ne_u16_e32 vcc, 0, v6
	s_and_saveexec_b64 s[2:3], vcc
	s_cbranch_execz .LBB868_653
; %bb.648:
	s_movk_i32 s7, 0x80
	v_cmp_ne_u16_e32 vcc, s7, v6
	v_mov_b32_e32 v7, 0xffff8000
	s_and_saveexec_b64 s[8:9], vcc
	s_cbranch_execz .LBB868_652
; %bb.649:
	s_movk_i32 s7, 0x7f
	v_and_b32_e32 v15, 0x7f, v6
	v_cmp_ne_u32_e32 vcc, s7, v15
	v_mov_b32_e32 v7, 0x7f80
	s_and_saveexec_b64 s[10:11], vcc
	s_cbranch_execz .LBB868_651
; %bb.650:
	v_and_b32_e32 v16, 7, v6
	v_ffbh_u32_e32 v7, v16
	v_min_u32_e32 v18, 32, v7
	v_subrev_u32_e32 v7, 28, v18
	v_lshlrev_b64 v[6:7], v7, v[6:7]
	v_lshrrev_b32_e32 v17, 3, v15
	v_sub_u32_e32 v7, 29, v18
	v_and_b32_e32 v6, 7, v6
	v_cmp_gt_u32_e32 vcc, 8, v15
	v_cndmask_b32_e32 v7, v17, v7, vcc
	v_cndmask_b32_e32 v6, v16, v6, vcc
	v_lshlrev_b32_e32 v15, 16, v8
	v_bfrev_b32_e32 v16, 60
	v_lshlrev_b32_e32 v6, 20, v6
	v_and_b32_e32 v15, 0x80000000, v15
	v_lshl_add_u32 v7, v7, 23, v16
	v_or3_b32 v6, v15, v7, v6
	v_lshrrev_b32_e32 v7, 16, v6
.LBB868_651:
	s_or_b64 exec, exec, s[10:11]
.LBB868_652:
	s_or_b64 exec, exec, s[8:9]
.LBB868_653:
	s_or_b64 exec, exec, s[2:3]
	s_movk_i32 s2, 0xff
	v_and_b32_sdwa v17, v8, s2 dst_sel:DWORD dst_unused:UNUSED_PAD src0_sel:WORD_1 src1_sel:DWORD
	v_lshrrev_b32_e32 v6, 16, v8
	v_cmp_ne_u16_e32 vcc, 0, v17
	v_mov_b32_e32 v15, 0
	v_mov_b32_e32 v16, 0
	s_and_saveexec_b64 s[2:3], vcc
	s_cbranch_execz .LBB868_659
; %bb.654:
	s_movk_i32 s7, 0x80
	v_cmp_ne_u16_e32 vcc, s7, v17
	v_mov_b32_e32 v16, 0xffff8000
	s_and_saveexec_b64 s[8:9], vcc
	s_cbranch_execz .LBB868_658
; %bb.655:
	v_bfe_u32 v17, v8, 16, 7
	s_movk_i32 s7, 0x7f
	v_cmp_ne_u32_e32 vcc, s7, v17
	v_mov_b32_e32 v16, 0x7f80
	s_and_saveexec_b64 s[10:11], vcc
	s_cbranch_execz .LBB868_657
; %bb.656:
	v_and_b32_e32 v16, 7, v6
	v_ffbh_u32_e32 v18, v16
	v_min_u32_e32 v21, 32, v18
	v_subrev_u32_e32 v18, 28, v21
	v_lshlrev_b64 v[18:19], v18, v[6:7]
	v_lshrrev_b32_e32 v20, 3, v17
	v_sub_u32_e32 v6, 29, v21
	v_and_b32_e32 v18, 7, v18
	v_cmp_gt_u32_e32 vcc, 8, v17
	v_mov_b32_e32 v17, 24
	v_cndmask_b32_e32 v6, v20, v6, vcc
	v_cndmask_b32_e32 v16, v16, v18, vcc
	v_lshlrev_b32_sdwa v17, v17, v8 dst_sel:DWORD dst_unused:UNUSED_PAD src0_sel:DWORD src1_sel:WORD_1
	v_bfrev_b32_e32 v18, 60
	v_lshlrev_b32_e32 v16, 20, v16
	v_and_b32_e32 v17, 0x80000000, v17
	v_lshl_add_u32 v6, v6, 23, v18
	v_or3_b32 v6, v17, v6, v16
	v_lshrrev_b32_e32 v16, 16, v6
.LBB868_657:
	s_or_b64 exec, exec, s[10:11]
.LBB868_658:
	s_or_b64 exec, exec, s[8:9]
.LBB868_659:
	s_or_b64 exec, exec, s[2:3]
	s_mov_b32 s2, 0xffffff
	v_cmp_lt_u32_e32 vcc, s2, v8
	s_and_saveexec_b64 s[2:3], vcc
	s_cbranch_execz .LBB868_665
; %bb.660:
	v_lshrrev_b32_e32 v6, 24, v8
	s_movk_i32 s7, 0x80
	v_cmp_ne_u32_e32 vcc, s7, v6
	v_mov_b32_e32 v15, 0xffff8000
	s_and_saveexec_b64 s[8:9], vcc
	s_cbranch_execz .LBB868_664
; %bb.661:
	v_bfe_u32 v8, v8, 24, 7
	s_movk_i32 s7, 0x7f
	v_cmp_ne_u32_e32 vcc, s7, v8
	v_mov_b32_e32 v15, 0x7f80
	s_and_saveexec_b64 s[10:11], vcc
	s_cbranch_execz .LBB868_663
; %bb.662:
	v_and_b32_e32 v15, 7, v6
	v_ffbh_u32_e32 v18, v15
	v_min_u32_e32 v20, 32, v18
	v_subrev_u32_e32 v18, 28, v20
	v_lshlrev_b64 v[18:19], v18, v[6:7]
	v_lshrrev_b32_e32 v17, 3, v8
	v_sub_u32_e32 v19, 29, v20
	v_and_b32_e32 v18, 7, v18
	v_cmp_gt_u32_e32 vcc, 8, v8
	v_cndmask_b32_e32 v8, v17, v19, vcc
	v_cndmask_b32_e32 v15, v15, v18, vcc
	v_lshlrev_b32_e32 v6, 24, v6
	v_bfrev_b32_e32 v17, 60
	v_lshlrev_b32_e32 v15, 20, v15
	v_and_b32_e32 v6, 0x80000000, v6
	v_lshl_add_u32 v8, v8, 23, v17
	v_or3_b32 v6, v6, v8, v15
	v_lshrrev_b32_e32 v15, 16, v6
.LBB868_663:
	s_or_b64 exec, exec, s[10:11]
.LBB868_664:
	s_or_b64 exec, exec, s[8:9]
.LBB868_665:
	s_or_b64 exec, exec, s[2:3]
	v_mov_b32_e32 v8, 0
	v_cmp_ne_u16_sdwa s[8:9], v9, v8 src0_sel:BYTE_0 src1_sel:DWORD
	v_mov_b32_e32 v17, 0
	s_and_saveexec_b64 s[2:3], s[8:9]
	s_cbranch_execz .LBB868_671
; %bb.666:
	s_movk_i32 s7, 0x80
	v_cmp_ne_u16_sdwa s[10:11], v9, s7 src0_sel:BYTE_0 src1_sel:DWORD
	v_mov_b32_e32 v17, 0xffff8000
	s_and_saveexec_b64 s[8:9], s[10:11]
	s_cbranch_execz .LBB868_670
; %bb.667:
	s_movk_i32 s7, 0x7f
	v_and_b32_e32 v6, 0x7f, v9
	v_cmp_ne_u32_e32 vcc, s7, v6
	v_mov_b32_e32 v17, 0x7f80
	s_and_saveexec_b64 s[10:11], vcc
	s_cbranch_execz .LBB868_669
; %bb.668:
	v_and_b32_e32 v17, 7, v9
	v_ffbh_u32_e32 v19, v17
	v_min_u32_e32 v21, 32, v19
	v_mov_b32_e32 v18, v9
	v_subrev_u32_e32 v19, 28, v21
	v_lshlrev_b64 v[18:19], v19, v[18:19]
	v_lshrrev_b32_e32 v20, 3, v6
	v_sub_u32_e32 v19, 29, v21
	v_and_b32_e32 v18, 7, v18
	v_cmp_gt_u32_e32 vcc, 8, v6
	v_cndmask_b32_e32 v6, v20, v19, vcc
	v_cndmask_b32_e32 v17, v17, v18, vcc
	v_lshlrev_b32_e32 v18, 24, v9
	v_bfrev_b32_e32 v19, 60
	v_lshlrev_b32_e32 v17, 20, v17
	v_and_b32_e32 v18, 0x80000000, v18
	v_lshl_add_u32 v6, v6, 23, v19
	v_or3_b32 v6, v18, v6, v17
	v_lshrrev_b32_e32 v17, 16, v6
.LBB868_669:
	s_or_b64 exec, exec, s[10:11]
.LBB868_670:
	s_or_b64 exec, exec, s[8:9]
.LBB868_671:
	s_or_b64 exec, exec, s[2:3]
	v_lshrrev_b16_e32 v6, 8, v9
	v_cmp_ne_u16_e32 vcc, 0, v6
	s_and_saveexec_b64 s[2:3], vcc
	s_cbranch_execz .LBB868_677
; %bb.672:
	s_movk_i32 s7, 0x80
	v_cmp_ne_u16_e32 vcc, s7, v6
	v_mov_b32_e32 v8, 0xffff8000
	s_and_saveexec_b64 s[8:9], vcc
	s_cbranch_execz .LBB868_676
; %bb.673:
	s_movk_i32 s7, 0x7f
	v_and_b32_e32 v18, 0x7f, v6
	v_cmp_ne_u32_e32 vcc, s7, v18
	v_mov_b32_e32 v8, 0x7f80
	s_and_saveexec_b64 s[10:11], vcc
	s_cbranch_execz .LBB868_675
; %bb.674:
	v_and_b32_e32 v8, 7, v6
	v_ffbh_u32_e32 v20, v8
	v_min_u32_e32 v23, 32, v20
	v_subrev_u32_e32 v20, 28, v23
	v_lshlrev_b64 v[20:21], v20, v[6:7]
	v_lshrrev_b32_e32 v19, 3, v18
	v_sub_u32_e32 v6, 29, v23
	v_and_b32_e32 v20, 7, v20
	v_cmp_gt_u32_e32 vcc, 8, v18
	v_cndmask_b32_e32 v6, v19, v6, vcc
	v_cndmask_b32_e32 v8, v8, v20, vcc
	v_lshlrev_b32_e32 v18, 16, v9
	v_bfrev_b32_e32 v19, 60
	v_lshlrev_b32_e32 v8, 20, v8
	v_and_b32_e32 v18, 0x80000000, v18
	v_lshl_add_u32 v6, v6, 23, v19
	v_or3_b32 v6, v18, v6, v8
	v_lshrrev_b32_e32 v8, 16, v6
.LBB868_675:
	s_or_b64 exec, exec, s[10:11]
.LBB868_676:
	s_or_b64 exec, exec, s[8:9]
.LBB868_677:
	s_or_b64 exec, exec, s[2:3]
	s_movk_i32 s2, 0xff
	v_and_b32_sdwa v20, v9, s2 dst_sel:DWORD dst_unused:UNUSED_PAD src0_sel:WORD_1 src1_sel:DWORD
	v_lshrrev_b32_e32 v6, 16, v9
	v_cmp_ne_u16_e32 vcc, 0, v20
	v_mov_b32_e32 v18, 0
	v_mov_b32_e32 v19, 0
	s_and_saveexec_b64 s[2:3], vcc
	s_cbranch_execz .LBB868_683
; %bb.678:
	s_movk_i32 s7, 0x80
	v_cmp_ne_u16_e32 vcc, s7, v20
	v_mov_b32_e32 v19, 0xffff8000
	s_and_saveexec_b64 s[8:9], vcc
	s_cbranch_execz .LBB868_682
; %bb.679:
	v_bfe_u32 v20, v9, 16, 7
	s_movk_i32 s7, 0x7f
	v_cmp_ne_u32_e32 vcc, s7, v20
	v_mov_b32_e32 v19, 0x7f80
	s_and_saveexec_b64 s[10:11], vcc
	s_cbranch_execz .LBB868_681
; %bb.680:
	v_and_b32_e32 v19, 7, v6
	v_ffbh_u32_e32 v23, v19
	v_min_u32_e32 v23, 32, v23
	v_subrev_u32_e32 v24, 28, v23
	v_lshlrev_b64 v[24:25], v24, v[6:7]
	v_lshrrev_b32_e32 v21, 3, v20
	v_sub_u32_e32 v6, 29, v23
	v_and_b32_e32 v23, 7, v24
	v_cmp_gt_u32_e32 vcc, 8, v20
	v_mov_b32_e32 v20, 24
	v_cndmask_b32_e32 v6, v21, v6, vcc
	v_cndmask_b32_e32 v19, v19, v23, vcc
	v_lshlrev_b32_sdwa v20, v20, v9 dst_sel:DWORD dst_unused:UNUSED_PAD src0_sel:DWORD src1_sel:WORD_1
	v_bfrev_b32_e32 v21, 60
	v_lshlrev_b32_e32 v19, 20, v19
	v_and_b32_e32 v20, 0x80000000, v20
	v_lshl_add_u32 v6, v6, 23, v21
	v_or3_b32 v6, v20, v6, v19
	v_lshrrev_b32_e32 v19, 16, v6
.LBB868_681:
	s_or_b64 exec, exec, s[10:11]
.LBB868_682:
	s_or_b64 exec, exec, s[8:9]
.LBB868_683:
	s_or_b64 exec, exec, s[2:3]
	s_mov_b32 s2, 0xffffff
	v_cmp_lt_u32_e32 vcc, s2, v9
	s_and_saveexec_b64 s[2:3], vcc
	s_cbranch_execz .LBB868_689
; %bb.684:
	v_lshrrev_b32_e32 v6, 24, v9
	s_movk_i32 s7, 0x80
	v_cmp_ne_u32_e32 vcc, s7, v6
	v_mov_b32_e32 v18, 0xffff8000
	s_and_saveexec_b64 s[8:9], vcc
	s_cbranch_execz .LBB868_688
; %bb.685:
	v_bfe_u32 v9, v9, 24, 7
	s_movk_i32 s7, 0x7f
	v_cmp_ne_u32_e32 vcc, s7, v9
	v_mov_b32_e32 v18, 0x7f80
	s_and_saveexec_b64 s[10:11], vcc
	s_cbranch_execz .LBB868_687
; %bb.686:
	v_and_b32_e32 v18, 7, v6
	v_ffbh_u32_e32 v20, v18
	v_min_u32_e32 v24, 32, v20
	v_subrev_u32_e32 v20, 28, v24
	v_lshlrev_b64 v[20:21], v20, v[6:7]
	v_lshrrev_b32_e32 v23, 3, v9
	v_sub_u32_e32 v21, 29, v24
	v_and_b32_e32 v20, 7, v20
	v_cmp_gt_u32_e32 vcc, 8, v9
	v_cndmask_b32_e32 v9, v23, v21, vcc
	v_cndmask_b32_e32 v18, v18, v20, vcc
	v_lshlrev_b32_e32 v6, 24, v6
	v_bfrev_b32_e32 v20, 60
	v_lshlrev_b32_e32 v18, 20, v18
	v_and_b32_e32 v6, 0x80000000, v6
	v_lshl_add_u32 v9, v9, 23, v20
	v_or3_b32 v6, v6, v9, v18
	v_lshrrev_b32_e32 v18, 16, v6
.LBB868_687:
	s_or_b64 exec, exec, s[10:11]
.LBB868_688:
	s_or_b64 exec, exec, s[8:9]
.LBB868_689:
	s_or_b64 exec, exec, s[2:3]
	s_mov_b32 s2, 0x5040100
	v_perm_b32 v15, v15, v16, s2
	v_perm_b32 v14, v7, v14, s2
	ds_read_b128 v[28:31], v22 offset:4112
	v_perm_b32 v7, v18, v19, s2
	v_perm_b32 v6, v8, v17, s2
	s_waitcnt lgkmcnt(0)
	v_mfma_f32_16x16x16bf16_1k v[32:35], v[14:15], v[28:29], v[10:13]
	s_nop 6
	v_mov_b32_e32 v11, 0
	s_waitcnt vmcnt(0)
	v_cmp_ne_u16_sdwa s[8:9], v2, v11 src0_sel:BYTE_0 src1_sel:DWORD
	v_mfma_f32_16x16x16bf16_1k v[6:9], v[6:7], v[30:31], v[32:35]
	v_mov_b32_e32 v12, 0
	s_and_saveexec_b64 s[2:3], s[8:9]
	s_cbranch_execz .LBB868_695
; %bb.690:
	s_movk_i32 s7, 0x80
	v_cmp_ne_u16_sdwa s[10:11], v2, s7 src0_sel:BYTE_0 src1_sel:DWORD
	v_mov_b32_e32 v12, 0xffff8000
	s_and_saveexec_b64 s[8:9], s[10:11]
	s_cbranch_execz .LBB868_694
; %bb.691:
	s_movk_i32 s7, 0x7f
	v_and_b32_e32 v10, 0x7f, v2
	v_cmp_ne_u32_e32 vcc, s7, v10
	v_mov_b32_e32 v12, 0x7f80
	s_and_saveexec_b64 s[10:11], vcc
	s_cbranch_execz .LBB868_693
; %bb.692:
	v_and_b32_e32 v14, 7, v2
	v_ffbh_u32_e32 v12, v14
	v_min_u32_e32 v16, 32, v12
	v_subrev_u32_e32 v12, 28, v16
	v_lshlrev_b64 v[12:13], v12, v[2:3]
	v_lshrrev_b32_e32 v15, 3, v10
	v_sub_u32_e32 v13, 29, v16
	v_and_b32_e32 v12, 7, v12
	v_cmp_gt_u32_e32 vcc, 8, v10
	v_cndmask_b32_e32 v10, v15, v13, vcc
	v_cndmask_b32_e32 v12, v14, v12, vcc
	v_lshlrev_b32_e32 v13, 24, v2
	v_bfrev_b32_e32 v14, 60
	v_lshlrev_b32_e32 v12, 20, v12
	v_and_b32_e32 v13, 0x80000000, v13
	v_lshl_add_u32 v10, v10, 23, v14
	v_or3_b32 v10, v13, v10, v12
	v_lshrrev_b32_e32 v12, 16, v10
.LBB868_693:
	s_or_b64 exec, exec, s[10:11]
.LBB868_694:
	s_or_b64 exec, exec, s[8:9]
.LBB868_695:
	s_or_b64 exec, exec, s[2:3]
	v_lshrrev_b16_e32 v10, 8, v2
	v_cmp_ne_u16_e32 vcc, 0, v10
	s_and_saveexec_b64 s[2:3], vcc
	s_cbranch_execz .LBB868_701
; %bb.696:
	s_movk_i32 s7, 0x80
	v_cmp_ne_u16_e32 vcc, s7, v10
	v_mov_b32_e32 v11, 0xffff8000
	s_and_saveexec_b64 s[8:9], vcc
	s_cbranch_execz .LBB868_700
; %bb.697:
	s_movk_i32 s7, 0x7f
	v_and_b32_e32 v13, 0x7f, v10
	v_cmp_ne_u32_e32 vcc, s7, v13
	v_mov_b32_e32 v11, 0x7f80
	s_and_saveexec_b64 s[10:11], vcc
	s_cbranch_execz .LBB868_699
; %bb.698:
	v_and_b32_e32 v14, 7, v10
	v_ffbh_u32_e32 v11, v14
	v_min_u32_e32 v16, 32, v11
	v_subrev_u32_e32 v11, 28, v16
	v_lshlrev_b64 v[10:11], v11, v[10:11]
	v_lshrrev_b32_e32 v15, 3, v13
	v_sub_u32_e32 v11, 29, v16
	v_and_b32_e32 v10, 7, v10
	v_cmp_gt_u32_e32 vcc, 8, v13
	v_cndmask_b32_e32 v11, v15, v11, vcc
	v_cndmask_b32_e32 v10, v14, v10, vcc
	v_lshlrev_b32_e32 v13, 16, v2
	v_bfrev_b32_e32 v14, 60
	v_lshlrev_b32_e32 v10, 20, v10
	v_and_b32_e32 v13, 0x80000000, v13
	v_lshl_add_u32 v11, v11, 23, v14
	v_or3_b32 v10, v13, v11, v10
	v_lshrrev_b32_e32 v11, 16, v10
.LBB868_699:
	s_or_b64 exec, exec, s[10:11]
.LBB868_700:
	s_or_b64 exec, exec, s[8:9]
.LBB868_701:
	s_or_b64 exec, exec, s[2:3]
	s_movk_i32 s2, 0xff
	v_and_b32_sdwa v15, v2, s2 dst_sel:DWORD dst_unused:UNUSED_PAD src0_sel:WORD_1 src1_sel:DWORD
	v_lshrrev_b32_e32 v10, 16, v2
	v_cmp_ne_u16_e32 vcc, 0, v15
	v_mov_b32_e32 v13, 0
	v_mov_b32_e32 v14, 0
	s_and_saveexec_b64 s[2:3], vcc
	s_cbranch_execz .LBB868_707
; %bb.702:
	s_movk_i32 s7, 0x80
	v_cmp_ne_u16_e32 vcc, s7, v15
	v_mov_b32_e32 v14, 0xffff8000
	s_and_saveexec_b64 s[8:9], vcc
	s_cbranch_execz .LBB868_706
; %bb.703:
	v_bfe_u32 v15, v2, 16, 7
	s_movk_i32 s7, 0x7f
	v_cmp_ne_u32_e32 vcc, s7, v15
	v_mov_b32_e32 v14, 0x7f80
	s_and_saveexec_b64 s[10:11], vcc
	s_cbranch_execz .LBB868_705
; %bb.704:
	v_and_b32_e32 v14, 7, v10
	v_ffbh_u32_e32 v16, v14
	v_min_u32_e32 v19, 32, v16
	v_subrev_u32_e32 v16, 28, v19
	v_lshlrev_b64 v[16:17], v16, v[10:11]
	v_lshrrev_b32_e32 v18, 3, v15
	v_sub_u32_e32 v10, 29, v19
	v_and_b32_e32 v16, 7, v16
	v_cmp_gt_u32_e32 vcc, 8, v15
	v_mov_b32_e32 v15, 24
	v_cndmask_b32_e32 v10, v18, v10, vcc
	v_cndmask_b32_e32 v14, v14, v16, vcc
	v_lshlrev_b32_sdwa v15, v15, v2 dst_sel:DWORD dst_unused:UNUSED_PAD src0_sel:DWORD src1_sel:WORD_1
	v_bfrev_b32_e32 v16, 60
	v_lshlrev_b32_e32 v14, 20, v14
	v_and_b32_e32 v15, 0x80000000, v15
	v_lshl_add_u32 v10, v10, 23, v16
	v_or3_b32 v10, v15, v10, v14
	v_lshrrev_b32_e32 v14, 16, v10
.LBB868_705:
	s_or_b64 exec, exec, s[10:11]
.LBB868_706:
	s_or_b64 exec, exec, s[8:9]
.LBB868_707:
	s_or_b64 exec, exec, s[2:3]
	s_mov_b32 s2, 0xffffff
	v_cmp_lt_u32_e32 vcc, s2, v2
	s_and_saveexec_b64 s[2:3], vcc
	s_cbranch_execz .LBB868_713
; %bb.708:
	v_lshrrev_b32_e32 v10, 24, v2
	s_movk_i32 s7, 0x80
	v_cmp_ne_u32_e32 vcc, s7, v10
	v_mov_b32_e32 v13, 0xffff8000
	s_and_saveexec_b64 s[8:9], vcc
	s_cbranch_execz .LBB868_712
; %bb.709:
	v_bfe_u32 v2, v2, 24, 7
	s_movk_i32 s7, 0x7f
	v_cmp_ne_u32_e32 vcc, s7, v2
	v_mov_b32_e32 v13, 0x7f80
	s_and_saveexec_b64 s[10:11], vcc
	s_cbranch_execz .LBB868_711
; %bb.710:
	v_and_b32_e32 v13, 7, v10
	v_ffbh_u32_e32 v16, v13
	v_min_u32_e32 v18, 32, v16
	v_subrev_u32_e32 v16, 28, v18
	v_lshlrev_b64 v[16:17], v16, v[10:11]
	v_lshrrev_b32_e32 v15, 3, v2
	v_sub_u32_e32 v17, 29, v18
	v_and_b32_e32 v16, 7, v16
	v_cmp_gt_u32_e32 vcc, 8, v2
	v_cndmask_b32_e32 v2, v15, v17, vcc
	v_cndmask_b32_e32 v13, v13, v16, vcc
	v_lshlrev_b32_e32 v10, 24, v10
	v_bfrev_b32_e32 v15, 60
	v_lshlrev_b32_e32 v13, 20, v13
	v_and_b32_e32 v10, 0x80000000, v10
	v_lshl_add_u32 v2, v2, 23, v15
	v_or3_b32 v2, v10, v2, v13
	v_lshrrev_b32_e32 v13, 16, v2
.LBB868_711:
	s_or_b64 exec, exec, s[10:11]
.LBB868_712:
	s_or_b64 exec, exec, s[8:9]
.LBB868_713:
	s_or_b64 exec, exec, s[2:3]
	v_mov_b32_e32 v10, 0
	v_cmp_ne_u16_sdwa s[8:9], v3, v10 src0_sel:BYTE_0 src1_sel:DWORD
	v_mov_b32_e32 v15, 0
	s_and_saveexec_b64 s[2:3], s[8:9]
	s_cbranch_execz .LBB868_719
; %bb.714:
	s_movk_i32 s7, 0x80
	v_cmp_ne_u16_sdwa s[10:11], v3, s7 src0_sel:BYTE_0 src1_sel:DWORD
	v_mov_b32_e32 v15, 0xffff8000
	s_and_saveexec_b64 s[8:9], s[10:11]
	s_cbranch_execz .LBB868_718
; %bb.715:
	s_movk_i32 s7, 0x7f
	v_and_b32_e32 v2, 0x7f, v3
	v_cmp_ne_u32_e32 vcc, s7, v2
	v_mov_b32_e32 v15, 0x7f80
	s_and_saveexec_b64 s[10:11], vcc
	s_cbranch_execz .LBB868_717
; %bb.716:
	v_and_b32_e32 v15, 7, v3
	v_ffbh_u32_e32 v17, v15
	v_min_u32_e32 v19, 32, v17
	v_mov_b32_e32 v16, v3
	v_subrev_u32_e32 v17, 28, v19
	v_lshlrev_b64 v[16:17], v17, v[16:17]
	v_lshrrev_b32_e32 v18, 3, v2
	v_sub_u32_e32 v17, 29, v19
	v_and_b32_e32 v16, 7, v16
	v_cmp_gt_u32_e32 vcc, 8, v2
	v_cndmask_b32_e32 v2, v18, v17, vcc
	v_cndmask_b32_e32 v15, v15, v16, vcc
	v_lshlrev_b32_e32 v16, 24, v3
	v_bfrev_b32_e32 v17, 60
	v_lshlrev_b32_e32 v15, 20, v15
	v_and_b32_e32 v16, 0x80000000, v16
	v_lshl_add_u32 v2, v2, 23, v17
	v_or3_b32 v2, v16, v2, v15
	v_lshrrev_b32_e32 v15, 16, v2
.LBB868_717:
	s_or_b64 exec, exec, s[10:11]
.LBB868_718:
	s_or_b64 exec, exec, s[8:9]
.LBB868_719:
	s_or_b64 exec, exec, s[2:3]
	v_lshrrev_b16_e32 v2, 8, v3
	v_cmp_ne_u16_e32 vcc, 0, v2
	s_and_saveexec_b64 s[2:3], vcc
	s_cbranch_execz .LBB868_725
; %bb.720:
	s_movk_i32 s7, 0x80
	v_cmp_ne_u16_e32 vcc, s7, v2
	v_mov_b32_e32 v10, 0xffff8000
	s_and_saveexec_b64 s[8:9], vcc
	s_cbranch_execz .LBB868_724
; %bb.721:
	s_movk_i32 s7, 0x7f
	v_and_b32_e32 v16, 0x7f, v2
	v_cmp_ne_u32_e32 vcc, s7, v16
	v_mov_b32_e32 v10, 0x7f80
	s_and_saveexec_b64 s[10:11], vcc
	s_cbranch_execz .LBB868_723
; %bb.722:
	v_and_b32_e32 v10, 7, v2
	v_ffbh_u32_e32 v18, v10
	v_min_u32_e32 v20, 32, v18
	v_subrev_u32_e32 v18, 28, v20
	v_lshlrev_b64 v[18:19], v18, v[2:3]
	v_lshrrev_b32_e32 v17, 3, v16
	v_sub_u32_e32 v2, 29, v20
	v_and_b32_e32 v18, 7, v18
	v_cmp_gt_u32_e32 vcc, 8, v16
	v_cndmask_b32_e32 v2, v17, v2, vcc
	v_cndmask_b32_e32 v10, v10, v18, vcc
	v_lshlrev_b32_e32 v16, 16, v3
	v_bfrev_b32_e32 v17, 60
	v_lshlrev_b32_e32 v10, 20, v10
	v_and_b32_e32 v16, 0x80000000, v16
	v_lshl_add_u32 v2, v2, 23, v17
	v_or3_b32 v2, v16, v2, v10
	v_lshrrev_b32_e32 v10, 16, v2
.LBB868_723:
	s_or_b64 exec, exec, s[10:11]
.LBB868_724:
	s_or_b64 exec, exec, s[8:9]
.LBB868_725:
	s_or_b64 exec, exec, s[2:3]
	s_movk_i32 s2, 0xff
	v_and_b32_sdwa v18, v3, s2 dst_sel:DWORD dst_unused:UNUSED_PAD src0_sel:WORD_1 src1_sel:DWORD
	v_lshrrev_b32_e32 v2, 16, v3
	v_cmp_ne_u16_e32 vcc, 0, v18
	v_mov_b32_e32 v16, 0
	v_mov_b32_e32 v17, 0
	s_and_saveexec_b64 s[2:3], vcc
	s_cbranch_execz .LBB868_731
; %bb.726:
	s_movk_i32 s7, 0x80
	v_cmp_ne_u16_e32 vcc, s7, v18
	v_mov_b32_e32 v17, 0xffff8000
	s_and_saveexec_b64 s[8:9], vcc
	s_cbranch_execz .LBB868_730
; %bb.727:
	v_bfe_u32 v18, v3, 16, 7
	s_movk_i32 s7, 0x7f
	v_cmp_ne_u32_e32 vcc, s7, v18
	v_mov_b32_e32 v17, 0x7f80
	s_and_saveexec_b64 s[10:11], vcc
	s_cbranch_execz .LBB868_729
; %bb.728:
	v_and_b32_e32 v17, 7, v2
	v_ffbh_u32_e32 v20, v17
	v_min_u32_e32 v23, 32, v20
	v_subrev_u32_e32 v20, 28, v23
	v_lshlrev_b64 v[20:21], v20, v[2:3]
	v_lshrrev_b32_e32 v19, 3, v18
	v_sub_u32_e32 v2, 29, v23
	v_and_b32_e32 v20, 7, v20
	v_cmp_gt_u32_e32 vcc, 8, v18
	v_mov_b32_e32 v18, 24
	v_cndmask_b32_e32 v2, v19, v2, vcc
	v_cndmask_b32_e32 v17, v17, v20, vcc
	v_lshlrev_b32_sdwa v18, v18, v3 dst_sel:DWORD dst_unused:UNUSED_PAD src0_sel:DWORD src1_sel:WORD_1
	v_bfrev_b32_e32 v19, 60
	v_lshlrev_b32_e32 v17, 20, v17
	v_and_b32_e32 v18, 0x80000000, v18
	v_lshl_add_u32 v2, v2, 23, v19
	v_or3_b32 v2, v18, v2, v17
	v_lshrrev_b32_e32 v17, 16, v2
.LBB868_729:
	s_or_b64 exec, exec, s[10:11]
.LBB868_730:
	s_or_b64 exec, exec, s[8:9]
.LBB868_731:
	s_or_b64 exec, exec, s[2:3]
	s_mov_b32 s2, 0xffffff
	v_cmp_lt_u32_e32 vcc, s2, v3
	s_and_saveexec_b64 s[2:3], vcc
	s_cbranch_execz .LBB868_737
; %bb.732:
	v_lshrrev_b32_e32 v2, 24, v3
	s_movk_i32 s7, 0x80
	v_cmp_ne_u32_e32 vcc, s7, v2
	v_mov_b32_e32 v16, 0xffff8000
	s_and_saveexec_b64 s[8:9], vcc
	s_cbranch_execz .LBB868_736
; %bb.733:
	v_bfe_u32 v3, v3, 24, 7
	s_movk_i32 s7, 0x7f
	v_cmp_ne_u32_e32 vcc, s7, v3
	v_mov_b32_e32 v16, 0x7f80
	s_and_saveexec_b64 s[10:11], vcc
	s_cbranch_execz .LBB868_735
; %bb.734:
	v_and_b32_e32 v16, 7, v2
	v_ffbh_u32_e32 v18, v16
	v_min_u32_e32 v21, 32, v18
	v_subrev_u32_e32 v18, 28, v21
	v_lshlrev_b64 v[18:19], v18, v[2:3]
	v_lshrrev_b32_e32 v20, 3, v3
	v_sub_u32_e32 v19, 29, v21
	v_and_b32_e32 v18, 7, v18
	v_cmp_gt_u32_e32 vcc, 8, v3
	v_cndmask_b32_e32 v3, v20, v19, vcc
	v_cndmask_b32_e32 v16, v16, v18, vcc
	v_lshlrev_b32_e32 v2, 24, v2
	v_bfrev_b32_e32 v18, 60
	v_lshlrev_b32_e32 v16, 20, v16
	v_and_b32_e32 v2, 0x80000000, v2
	v_lshl_add_u32 v3, v3, 23, v18
	v_or3_b32 v2, v2, v3, v16
	v_lshrrev_b32_e32 v16, 16, v2
.LBB868_735:
	s_or_b64 exec, exec, s[10:11]
.LBB868_736:
	s_or_b64 exec, exec, s[8:9]
.LBB868_737:
	s_or_b64 exec, exec, s[2:3]
	s_mov_b32 s2, 0x5040100
	v_perm_b32 v3, v13, v14, s2
	v_perm_b32 v2, v11, v12, s2
	ds_read_b128 v[18:21], v22 offset:6144
	v_perm_b32 v13, v16, v17, s2
	v_perm_b32 v12, v10, v15, s2
	s_waitcnt lgkmcnt(0)
	v_mfma_f32_16x16x16bf16_1k v[6:9], v[2:3], v[18:19], v[6:9]
	v_mov_b32_e32 v3, 0
	v_cmp_ne_u16_sdwa s[8:9], v4, v3 src0_sel:BYTE_0 src1_sel:DWORD
	v_mov_b32_e32 v10, 0
	v_mfma_f32_16x16x16bf16_1k v[6:9], v[12:13], v[20:21], v[6:9]
	s_and_saveexec_b64 s[2:3], s[8:9]
	s_cbranch_execz .LBB868_743
; %bb.738:
	s_movk_i32 s7, 0x80
	v_cmp_ne_u16_sdwa s[10:11], v4, s7 src0_sel:BYTE_0 src1_sel:DWORD
	v_mov_b32_e32 v10, 0xffff8000
	s_and_saveexec_b64 s[8:9], s[10:11]
	s_cbranch_execz .LBB868_742
; %bb.739:
	s_movk_i32 s7, 0x7f
	v_and_b32_e32 v2, 0x7f, v4
	v_cmp_ne_u32_e32 vcc, s7, v2
	v_mov_b32_e32 v10, 0x7f80
	s_and_saveexec_b64 s[10:11], vcc
	s_cbranch_execz .LBB868_741
; %bb.740:
	v_and_b32_e32 v12, 7, v4
	v_ffbh_u32_e32 v10, v12
	v_min_u32_e32 v14, 32, v10
	v_subrev_u32_e32 v10, 28, v14
	v_lshlrev_b64 v[10:11], v10, v[4:5]
	v_lshrrev_b32_e32 v13, 3, v2
	v_sub_u32_e32 v11, 29, v14
	v_and_b32_e32 v10, 7, v10
	v_cmp_gt_u32_e32 vcc, 8, v2
	v_cndmask_b32_e32 v2, v13, v11, vcc
	v_cndmask_b32_e32 v10, v12, v10, vcc
	v_lshlrev_b32_e32 v11, 24, v4
	v_bfrev_b32_e32 v12, 60
	v_lshlrev_b32_e32 v10, 20, v10
	v_and_b32_e32 v11, 0x80000000, v11
	v_lshl_add_u32 v2, v2, 23, v12
	v_or3_b32 v2, v11, v2, v10
	v_lshrrev_b32_e32 v10, 16, v2
.LBB868_741:
	s_or_b64 exec, exec, s[10:11]
.LBB868_742:
	s_or_b64 exec, exec, s[8:9]
.LBB868_743:
	s_or_b64 exec, exec, s[2:3]
	v_lshrrev_b16_e32 v2, 8, v4
	v_cmp_ne_u16_e32 vcc, 0, v2
	s_and_saveexec_b64 s[2:3], vcc
	s_cbranch_execz .LBB868_749
; %bb.744:
	s_movk_i32 s7, 0x80
	v_cmp_ne_u16_e32 vcc, s7, v2
	v_mov_b32_e32 v3, 0xffff8000
	s_and_saveexec_b64 s[8:9], vcc
	s_cbranch_execz .LBB868_748
; %bb.745:
	s_movk_i32 s7, 0x7f
	v_and_b32_e32 v11, 0x7f, v2
	v_cmp_ne_u32_e32 vcc, s7, v11
	v_mov_b32_e32 v3, 0x7f80
	s_and_saveexec_b64 s[10:11], vcc
	s_cbranch_execz .LBB868_747
; %bb.746:
	v_and_b32_e32 v12, 7, v2
	v_ffbh_u32_e32 v3, v12
	v_min_u32_e32 v14, 32, v3
	v_subrev_u32_e32 v3, 28, v14
	v_lshlrev_b64 v[2:3], v3, v[2:3]
	v_lshrrev_b32_e32 v13, 3, v11
	v_sub_u32_e32 v3, 29, v14
	v_and_b32_e32 v2, 7, v2
	v_cmp_gt_u32_e32 vcc, 8, v11
	v_cndmask_b32_e32 v3, v13, v3, vcc
	v_cndmask_b32_e32 v2, v12, v2, vcc
	v_lshlrev_b32_e32 v11, 16, v4
	v_bfrev_b32_e32 v12, 60
	v_lshlrev_b32_e32 v2, 20, v2
	v_and_b32_e32 v11, 0x80000000, v11
	v_lshl_add_u32 v3, v3, 23, v12
	v_or3_b32 v2, v11, v3, v2
	v_lshrrev_b32_e32 v3, 16, v2
.LBB868_747:
	s_or_b64 exec, exec, s[10:11]
.LBB868_748:
	s_or_b64 exec, exec, s[8:9]
.LBB868_749:
	s_or_b64 exec, exec, s[2:3]
	s_movk_i32 s2, 0xff
	v_and_b32_sdwa v13, v4, s2 dst_sel:DWORD dst_unused:UNUSED_PAD src0_sel:WORD_1 src1_sel:DWORD
	v_lshrrev_b32_e32 v2, 16, v4
	v_cmp_ne_u16_e32 vcc, 0, v13
	v_mov_b32_e32 v11, 0
	v_mov_b32_e32 v12, 0
	s_and_saveexec_b64 s[2:3], vcc
	s_cbranch_execz .LBB868_755
; %bb.750:
	s_movk_i32 s7, 0x80
	v_cmp_ne_u16_e32 vcc, s7, v13
	v_mov_b32_e32 v12, 0xffff8000
	s_and_saveexec_b64 s[8:9], vcc
	s_cbranch_execz .LBB868_754
; %bb.751:
	v_bfe_u32 v13, v4, 16, 7
	s_movk_i32 s7, 0x7f
	v_cmp_ne_u32_e32 vcc, s7, v13
	v_mov_b32_e32 v12, 0x7f80
	s_and_saveexec_b64 s[10:11], vcc
	s_cbranch_execz .LBB868_753
; %bb.752:
	v_and_b32_e32 v12, 7, v2
	v_ffbh_u32_e32 v14, v12
	v_min_u32_e32 v17, 32, v14
	v_subrev_u32_e32 v14, 28, v17
	v_lshlrev_b64 v[14:15], v14, v[2:3]
	v_lshrrev_b32_e32 v16, 3, v13
	v_sub_u32_e32 v2, 29, v17
	v_and_b32_e32 v14, 7, v14
	v_cmp_gt_u32_e32 vcc, 8, v13
	v_mov_b32_e32 v13, 24
	v_cndmask_b32_e32 v2, v16, v2, vcc
	v_cndmask_b32_e32 v12, v12, v14, vcc
	v_lshlrev_b32_sdwa v13, v13, v4 dst_sel:DWORD dst_unused:UNUSED_PAD src0_sel:DWORD src1_sel:WORD_1
	v_bfrev_b32_e32 v14, 60
	v_lshlrev_b32_e32 v12, 20, v12
	v_and_b32_e32 v13, 0x80000000, v13
	v_lshl_add_u32 v2, v2, 23, v14
	v_or3_b32 v2, v13, v2, v12
	v_lshrrev_b32_e32 v12, 16, v2
.LBB868_753:
	s_or_b64 exec, exec, s[10:11]
.LBB868_754:
	s_or_b64 exec, exec, s[8:9]
.LBB868_755:
	s_or_b64 exec, exec, s[2:3]
	s_mov_b32 s2, 0xffffff
	v_cmp_lt_u32_e32 vcc, s2, v4
	s_and_saveexec_b64 s[2:3], vcc
	s_cbranch_execz .LBB868_761
; %bb.756:
	v_lshrrev_b32_e32 v2, 24, v4
	s_movk_i32 s7, 0x80
	v_cmp_ne_u32_e32 vcc, s7, v2
	v_mov_b32_e32 v11, 0xffff8000
	s_and_saveexec_b64 s[8:9], vcc
	s_cbranch_execz .LBB868_760
; %bb.757:
	v_bfe_u32 v4, v4, 24, 7
	s_movk_i32 s7, 0x7f
	v_cmp_ne_u32_e32 vcc, s7, v4
	v_mov_b32_e32 v11, 0x7f80
	s_and_saveexec_b64 s[10:11], vcc
	s_cbranch_execz .LBB868_759
; %bb.758:
	v_and_b32_e32 v11, 7, v2
	v_ffbh_u32_e32 v14, v11
	v_min_u32_e32 v16, 32, v14
	v_subrev_u32_e32 v14, 28, v16
	v_lshlrev_b64 v[14:15], v14, v[2:3]
	v_lshrrev_b32_e32 v13, 3, v4
	v_sub_u32_e32 v15, 29, v16
	v_and_b32_e32 v14, 7, v14
	v_cmp_gt_u32_e32 vcc, 8, v4
	v_cndmask_b32_e32 v4, v13, v15, vcc
	v_cndmask_b32_e32 v11, v11, v14, vcc
	v_lshlrev_b32_e32 v2, 24, v2
	v_bfrev_b32_e32 v13, 60
	v_lshlrev_b32_e32 v11, 20, v11
	v_and_b32_e32 v2, 0x80000000, v2
	v_lshl_add_u32 v4, v4, 23, v13
	v_or3_b32 v2, v2, v4, v11
	v_lshrrev_b32_e32 v11, 16, v2
.LBB868_759:
	s_or_b64 exec, exec, s[10:11]
.LBB868_760:
	s_or_b64 exec, exec, s[8:9]
.LBB868_761:
	s_or_b64 exec, exec, s[2:3]
	v_mov_b32_e32 v4, 0
	v_cmp_ne_u16_sdwa s[8:9], v5, v4 src0_sel:BYTE_0 src1_sel:DWORD
	v_mov_b32_e32 v13, 0
	s_and_saveexec_b64 s[2:3], s[8:9]
	s_cbranch_execz .LBB868_767
; %bb.762:
	s_movk_i32 s7, 0x80
	v_cmp_ne_u16_sdwa s[10:11], v5, s7 src0_sel:BYTE_0 src1_sel:DWORD
	v_mov_b32_e32 v13, 0xffff8000
	s_and_saveexec_b64 s[8:9], s[10:11]
	s_cbranch_execz .LBB868_766
; %bb.763:
	s_movk_i32 s7, 0x7f
	v_and_b32_e32 v2, 0x7f, v5
	v_cmp_ne_u32_e32 vcc, s7, v2
	v_mov_b32_e32 v13, 0x7f80
	s_and_saveexec_b64 s[10:11], vcc
	s_cbranch_execz .LBB868_765
; %bb.764:
	v_and_b32_e32 v13, 7, v5
	v_ffbh_u32_e32 v15, v13
	v_min_u32_e32 v17, 32, v15
	v_mov_b32_e32 v14, v5
	v_subrev_u32_e32 v15, 28, v17
	v_lshlrev_b64 v[14:15], v15, v[14:15]
	v_lshrrev_b32_e32 v16, 3, v2
	v_sub_u32_e32 v15, 29, v17
	v_and_b32_e32 v14, 7, v14
	v_cmp_gt_u32_e32 vcc, 8, v2
	v_cndmask_b32_e32 v2, v16, v15, vcc
	v_cndmask_b32_e32 v13, v13, v14, vcc
	v_lshlrev_b32_e32 v14, 24, v5
	v_bfrev_b32_e32 v15, 60
	v_lshlrev_b32_e32 v13, 20, v13
	v_and_b32_e32 v14, 0x80000000, v14
	v_lshl_add_u32 v2, v2, 23, v15
	v_or3_b32 v2, v14, v2, v13
	v_lshrrev_b32_e32 v13, 16, v2
.LBB868_765:
	s_or_b64 exec, exec, s[10:11]
.LBB868_766:
	s_or_b64 exec, exec, s[8:9]
.LBB868_767:
	s_or_b64 exec, exec, s[2:3]
	v_lshrrev_b16_e32 v2, 8, v5
	v_cmp_ne_u16_e32 vcc, 0, v2
	s_and_saveexec_b64 s[2:3], vcc
	s_cbranch_execz .LBB868_773
; %bb.768:
	s_movk_i32 s7, 0x80
	v_cmp_ne_u16_e32 vcc, s7, v2
	v_mov_b32_e32 v4, 0xffff8000
	s_and_saveexec_b64 s[8:9], vcc
	s_cbranch_execz .LBB868_772
; %bb.769:
	s_movk_i32 s7, 0x7f
	v_and_b32_e32 v14, 0x7f, v2
	v_cmp_ne_u32_e32 vcc, s7, v14
	v_mov_b32_e32 v4, 0x7f80
	s_and_saveexec_b64 s[10:11], vcc
	s_cbranch_execz .LBB868_771
; %bb.770:
	v_and_b32_e32 v4, 7, v2
	v_ffbh_u32_e32 v16, v4
	v_min_u32_e32 v18, 32, v16
	v_subrev_u32_e32 v16, 28, v18
	v_lshlrev_b64 v[16:17], v16, v[2:3]
	v_lshrrev_b32_e32 v15, 3, v14
	v_sub_u32_e32 v2, 29, v18
	v_and_b32_e32 v16, 7, v16
	v_cmp_gt_u32_e32 vcc, 8, v14
	v_cndmask_b32_e32 v2, v15, v2, vcc
	v_cndmask_b32_e32 v4, v4, v16, vcc
	v_lshlrev_b32_e32 v14, 16, v5
	v_bfrev_b32_e32 v15, 60
	v_lshlrev_b32_e32 v4, 20, v4
	v_and_b32_e32 v14, 0x80000000, v14
	v_lshl_add_u32 v2, v2, 23, v15
	v_or3_b32 v2, v14, v2, v4
	v_lshrrev_b32_e32 v4, 16, v2
.LBB868_771:
	s_or_b64 exec, exec, s[10:11]
.LBB868_772:
	s_or_b64 exec, exec, s[8:9]
.LBB868_773:
	s_or_b64 exec, exec, s[2:3]
	s_movk_i32 s2, 0xff
	v_and_b32_sdwa v16, v5, s2 dst_sel:DWORD dst_unused:UNUSED_PAD src0_sel:WORD_1 src1_sel:DWORD
	v_lshrrev_b32_e32 v2, 16, v5
	v_cmp_ne_u16_e32 vcc, 0, v16
	v_mov_b32_e32 v14, 0
	v_mov_b32_e32 v15, 0
	s_and_saveexec_b64 s[2:3], vcc
	s_cbranch_execz .LBB868_779
; %bb.774:
	s_movk_i32 s7, 0x80
	v_cmp_ne_u16_e32 vcc, s7, v16
	v_mov_b32_e32 v15, 0xffff8000
	s_and_saveexec_b64 s[8:9], vcc
	s_cbranch_execz .LBB868_778
; %bb.775:
	v_bfe_u32 v16, v5, 16, 7
	s_movk_i32 s7, 0x7f
	v_cmp_ne_u32_e32 vcc, s7, v16
	v_mov_b32_e32 v15, 0x7f80
	s_and_saveexec_b64 s[10:11], vcc
	s_cbranch_execz .LBB868_777
; %bb.776:
	v_and_b32_e32 v15, 7, v2
	v_ffbh_u32_e32 v18, v15
	v_min_u32_e32 v20, 32, v18
	v_subrev_u32_e32 v18, 28, v20
	v_lshlrev_b64 v[18:19], v18, v[2:3]
	v_lshrrev_b32_e32 v17, 3, v16
	v_sub_u32_e32 v2, 29, v20
	v_and_b32_e32 v18, 7, v18
	v_cmp_gt_u32_e32 vcc, 8, v16
	v_mov_b32_e32 v16, 24
	v_cndmask_b32_e32 v2, v17, v2, vcc
	v_cndmask_b32_e32 v15, v15, v18, vcc
	v_lshlrev_b32_sdwa v16, v16, v5 dst_sel:DWORD dst_unused:UNUSED_PAD src0_sel:DWORD src1_sel:WORD_1
	v_bfrev_b32_e32 v17, 60
	v_lshlrev_b32_e32 v15, 20, v15
	v_and_b32_e32 v16, 0x80000000, v16
	v_lshl_add_u32 v2, v2, 23, v17
	v_or3_b32 v2, v16, v2, v15
	v_lshrrev_b32_e32 v15, 16, v2
.LBB868_777:
	s_or_b64 exec, exec, s[10:11]
.LBB868_778:
	s_or_b64 exec, exec, s[8:9]
.LBB868_779:
	s_or_b64 exec, exec, s[2:3]
	s_mov_b32 s2, 0xffffff
	v_cmp_lt_u32_e32 vcc, s2, v5
	s_and_saveexec_b64 s[2:3], vcc
	s_cbranch_execz .LBB868_785
; %bb.780:
	v_lshrrev_b32_e32 v2, 24, v5
	s_movk_i32 s7, 0x80
	v_cmp_ne_u32_e32 vcc, s7, v2
	v_mov_b32_e32 v14, 0xffff8000
	s_and_saveexec_b64 s[8:9], vcc
	s_cbranch_execz .LBB868_784
; %bb.781:
	v_bfe_u32 v5, v5, 24, 7
	s_movk_i32 s7, 0x7f
	v_cmp_ne_u32_e32 vcc, s7, v5
	v_mov_b32_e32 v14, 0x7f80
	s_and_saveexec_b64 s[10:11], vcc
	s_cbranch_execz .LBB868_783
; %bb.782:
	v_and_b32_e32 v14, 7, v2
	v_ffbh_u32_e32 v16, v14
	v_min_u32_e32 v19, 32, v16
	v_subrev_u32_e32 v16, 28, v19
	v_lshlrev_b64 v[16:17], v16, v[2:3]
	v_lshrrev_b32_e32 v18, 3, v5
	v_sub_u32_e32 v17, 29, v19
	v_and_b32_e32 v16, 7, v16
	v_cmp_gt_u32_e32 vcc, 8, v5
	v_cndmask_b32_e32 v5, v18, v17, vcc
	v_cndmask_b32_e32 v14, v14, v16, vcc
	v_lshlrev_b32_e32 v2, 24, v2
	v_bfrev_b32_e32 v16, 60
	v_lshlrev_b32_e32 v14, 20, v14
	v_and_b32_e32 v2, 0x80000000, v2
	v_lshl_add_u32 v5, v5, 23, v16
	v_or3_b32 v2, v2, v5, v14
	v_lshrrev_b32_e32 v14, 16, v2
.LBB868_783:
	s_or_b64 exec, exec, s[10:11]
.LBB868_784:
	s_or_b64 exec, exec, s[8:9]
.LBB868_785:
	s_or_b64 exec, exec, s[2:3]
	s_mov_b32 s3, 0x5040100
	v_perm_b32 v11, v11, v12, s3
	ds_read_b128 v[16:19], v22 offset:6160
	v_perm_b32 v10, v3, v10, s3
	v_perm_b32 v3, v14, v15, s3
	;; [unrolled: 1-line block ×3, first 2 shown]
	s_waitcnt lgkmcnt(0)
	v_mfma_f32_16x16x16bf16_1k v[6:9], v[10:11], v[16:17], v[6:9]
	s_load_dword s2, s[42:43], 0x0
	s_mov_b32 s3, 0x7060302
	s_movk_i32 s7, 0x7fff
	v_cmp_gt_u32_e32 vcc, 64, v0
	s_and_b64 s[0:1], vcc, s[0:1]
	s_waitcnt lgkmcnt(0)
	s_barrier
	v_mfma_f32_16x16x16bf16_1k v[2:5], v[2:3], v[18:19], v[6:9]
	s_nop 7
	s_nop 2
	v_pk_mul_f32 v[4:5], v[4:5], s[2:3] op_sel_hi:[1,0]
	v_pk_mul_f32 v[2:3], v[2:3], s[2:3] op_sel_hi:[1,0]
	v_bfe_u32 v6, v3, 16, 1
	v_bfe_u32 v7, v2, 16, 1
	;; [unrolled: 1-line block ×4, first 2 shown]
	v_add3_u32 v2, v2, v7, s7
	v_add3_u32 v3, v3, v6, s7
	;; [unrolled: 1-line block ×4, first 2 shown]
	v_perm_b32 v2, v3, v2, s3
	v_perm_b32 v3, v5, v4, s3
	ds_write_b64 v26, v[2:3]
	s_waitcnt lgkmcnt(0)
	s_barrier
	s_and_saveexec_b64 s[2:3], s[0:1]
	s_cbranch_execz .LBB868_788
; %bb.786:
	s_load_dwordx2 s[2:3], s[4:5], 0x68
	s_lshl_b32 s0, s44, 6
	s_mul_i32 s1, s12, s6
	s_mul_hi_u32 s7, s1, s0
	s_mul_i32 s6, s1, s0
	s_lshl_b64 s[6:7], s[6:7], 1
	s_waitcnt lgkmcnt(0)
	s_add_u32 s1, s2, s6
	s_mov_b32 s5, 0
	s_addc_u32 s6, s3, s7
	s_lshl_b32 s4, s24, 6
	v_lshlrev_b32_e32 v0, 10, v0
	s_lshl_b64 s[2:3], s[4:5], 1
	v_and_b32_e32 v0, 0x1800, v0
	v_lshlrev_b32_e32 v2, 5, v1
	v_and_b32_e32 v3, 16, v47
	s_add_u32 s1, s1, s2
	v_or3_b32 v0, v0, v2, v3
	s_addc_u32 s2, s6, s3
	v_add_u32_e32 v8, s25, v1
	v_mov_b32_e32 v3, s2
	v_add_co_u32_e32 v2, vcc, s1, v46
	ds_read_b128 v[4:7], v0
	v_mad_u64_u32 v[8:9], s[2:3], v8, s0, 0
	v_addc_co_u32_e32 v3, vcc, 0, v3, vcc
	v_lshlrev_b64 v[8:9], 1, v[8:9]
	v_add_co_u32_e32 v8, vcc, v2, v8
	v_addc_co_u32_e32 v9, vcc, v3, v9, vcc
	v_cmp_ne_u32_e32 vcc, 3, v1
	s_waitcnt lgkmcnt(0)
	global_store_dwordx4 v[8:9], v[4:7], off
	s_and_b64 exec, exec, vcc
	s_cbranch_execz .LBB868_788
; %bb.787:
	ds_read_b128 v[4:7], v0 offset:128
	v_add3_u32 v0, s25, v1, 4
	v_mad_u64_u32 v[0:1], s[0:1], v0, s0, 0
	v_lshlrev_b64 v[0:1], 1, v[0:1]
	v_add_co_u32_e32 v0, vcc, v2, v0
	v_addc_co_u32_e32 v1, vcc, v3, v1, vcc
	s_waitcnt lgkmcnt(0)
	global_store_dwordx4 v[0:1], v[4:7], off
.LBB868_788:
	s_endpgm
	.section	.rodata,"a",@progbits
	.p2align	6, 0x0
	.amdhsa_kernel _Z39paged_attention_ll4mi_QKV_mfma16_kernelI14__hip_bfloat16hLN4vllm18Fp8KVCacheDataTypeE1ES0_Li32ELi64ELi256ELb1ELi7EL8MFMAType0EEvPKT_PKT0_S9_ifPKiSB_SB_iPKfiiiPfSE_PS4_PT2_iSD_SD_
		.amdhsa_group_segment_fixed_size 8192
		.amdhsa_private_segment_fixed_size 0
		.amdhsa_kernarg_size 400
		.amdhsa_user_sgpr_count 6
		.amdhsa_user_sgpr_private_segment_buffer 1
		.amdhsa_user_sgpr_dispatch_ptr 0
		.amdhsa_user_sgpr_queue_ptr 0
		.amdhsa_user_sgpr_kernarg_segment_ptr 1
		.amdhsa_user_sgpr_dispatch_id 0
		.amdhsa_user_sgpr_flat_scratch_init 0
		.amdhsa_user_sgpr_kernarg_preload_length 0
		.amdhsa_user_sgpr_kernarg_preload_offset 0
		.amdhsa_user_sgpr_private_segment_size 0
		.amdhsa_uses_dynamic_stack 0
		.amdhsa_system_sgpr_private_segment_wavefront_offset 0
		.amdhsa_system_sgpr_workgroup_id_x 1
		.amdhsa_system_sgpr_workgroup_id_y 1
		.amdhsa_system_sgpr_workgroup_id_z 1
		.amdhsa_system_sgpr_workgroup_info 0
		.amdhsa_system_vgpr_workitem_id 0
		.amdhsa_next_free_vgpr 63
		.amdhsa_next_free_sgpr 47
		.amdhsa_accum_offset 64
		.amdhsa_reserve_vcc 1
		.amdhsa_reserve_flat_scratch 0
		.amdhsa_float_round_mode_32 0
		.amdhsa_float_round_mode_16_64 0
		.amdhsa_float_denorm_mode_32 3
		.amdhsa_float_denorm_mode_16_64 3
		.amdhsa_dx10_clamp 1
		.amdhsa_ieee_mode 1
		.amdhsa_fp16_overflow 0
		.amdhsa_tg_split 0
		.amdhsa_exception_fp_ieee_invalid_op 0
		.amdhsa_exception_fp_denorm_src 0
		.amdhsa_exception_fp_ieee_div_zero 0
		.amdhsa_exception_fp_ieee_overflow 0
		.amdhsa_exception_fp_ieee_underflow 0
		.amdhsa_exception_fp_ieee_inexact 0
		.amdhsa_exception_int_div_zero 0
	.end_amdhsa_kernel
	.section	.text._Z39paged_attention_ll4mi_QKV_mfma16_kernelI14__hip_bfloat16hLN4vllm18Fp8KVCacheDataTypeE1ES0_Li32ELi64ELi256ELb1ELi7EL8MFMAType0EEvPKT_PKT0_S9_ifPKiSB_SB_iPKfiiiPfSE_PS4_PT2_iSD_SD_,"axG",@progbits,_Z39paged_attention_ll4mi_QKV_mfma16_kernelI14__hip_bfloat16hLN4vllm18Fp8KVCacheDataTypeE1ES0_Li32ELi64ELi256ELb1ELi7EL8MFMAType0EEvPKT_PKT0_S9_ifPKiSB_SB_iPKfiiiPfSE_PS4_PT2_iSD_SD_,comdat
.Lfunc_end868:
	.size	_Z39paged_attention_ll4mi_QKV_mfma16_kernelI14__hip_bfloat16hLN4vllm18Fp8KVCacheDataTypeE1ES0_Li32ELi64ELi256ELb1ELi7EL8MFMAType0EEvPKT_PKT0_S9_ifPKiSB_SB_iPKfiiiPfSE_PS4_PT2_iSD_SD_, .Lfunc_end868-_Z39paged_attention_ll4mi_QKV_mfma16_kernelI14__hip_bfloat16hLN4vllm18Fp8KVCacheDataTypeE1ES0_Li32ELi64ELi256ELb1ELi7EL8MFMAType0EEvPKT_PKT0_S9_ifPKiSB_SB_iPKfiiiPfSE_PS4_PT2_iSD_SD_
                                        ; -- End function
	.section	.AMDGPU.csdata,"",@progbits
; Kernel info:
; codeLenInByte = 28720
; NumSgprs: 51
; NumVgprs: 63
; NumAgprs: 0
; TotalNumVgprs: 63
; ScratchSize: 0
; MemoryBound: 0
; FloatMode: 240
; IeeeMode: 1
; LDSByteSize: 8192 bytes/workgroup (compile time only)
; SGPRBlocks: 6
; VGPRBlocks: 7
; NumSGPRsForWavesPerEU: 51
; NumVGPRsForWavesPerEU: 63
; AccumOffset: 64
; Occupancy: 8
; WaveLimiterHint : 1
; COMPUTE_PGM_RSRC2:SCRATCH_EN: 0
; COMPUTE_PGM_RSRC2:USER_SGPR: 6
; COMPUTE_PGM_RSRC2:TRAP_HANDLER: 0
; COMPUTE_PGM_RSRC2:TGID_X_EN: 1
; COMPUTE_PGM_RSRC2:TGID_Y_EN: 1
; COMPUTE_PGM_RSRC2:TGID_Z_EN: 1
; COMPUTE_PGM_RSRC2:TIDIG_COMP_CNT: 0
; COMPUTE_PGM_RSRC3_GFX90A:ACCUM_OFFSET: 15
; COMPUTE_PGM_RSRC3_GFX90A:TG_SPLIT: 0
	.section	.text._Z39paged_attention_ll4mi_QKV_mfma16_kernelI14__hip_bfloat16hLN4vllm18Fp8KVCacheDataTypeE1ES0_Li32ELi64ELi256ELb1ELi8EL8MFMAType0EEvPKT_PKT0_S9_ifPKiSB_SB_iPKfiiiPfSE_PS4_PT2_iSD_SD_,"axG",@progbits,_Z39paged_attention_ll4mi_QKV_mfma16_kernelI14__hip_bfloat16hLN4vllm18Fp8KVCacheDataTypeE1ES0_Li32ELi64ELi256ELb1ELi8EL8MFMAType0EEvPKT_PKT0_S9_ifPKiSB_SB_iPKfiiiPfSE_PS4_PT2_iSD_SD_,comdat
	.protected	_Z39paged_attention_ll4mi_QKV_mfma16_kernelI14__hip_bfloat16hLN4vllm18Fp8KVCacheDataTypeE1ES0_Li32ELi64ELi256ELb1ELi8EL8MFMAType0EEvPKT_PKT0_S9_ifPKiSB_SB_iPKfiiiPfSE_PS4_PT2_iSD_SD_ ; -- Begin function _Z39paged_attention_ll4mi_QKV_mfma16_kernelI14__hip_bfloat16hLN4vllm18Fp8KVCacheDataTypeE1ES0_Li32ELi64ELi256ELb1ELi8EL8MFMAType0EEvPKT_PKT0_S9_ifPKiSB_SB_iPKfiiiPfSE_PS4_PT2_iSD_SD_
	.globl	_Z39paged_attention_ll4mi_QKV_mfma16_kernelI14__hip_bfloat16hLN4vllm18Fp8KVCacheDataTypeE1ES0_Li32ELi64ELi256ELb1ELi8EL8MFMAType0EEvPKT_PKT0_S9_ifPKiSB_SB_iPKfiiiPfSE_PS4_PT2_iSD_SD_
	.p2align	8
	.type	_Z39paged_attention_ll4mi_QKV_mfma16_kernelI14__hip_bfloat16hLN4vllm18Fp8KVCacheDataTypeE1ES0_Li32ELi64ELi256ELb1ELi8EL8MFMAType0EEvPKT_PKT0_S9_ifPKiSB_SB_iPKfiiiPfSE_PS4_PT2_iSD_SD_,@function
_Z39paged_attention_ll4mi_QKV_mfma16_kernelI14__hip_bfloat16hLN4vllm18Fp8KVCacheDataTypeE1ES0_Li32ELi64ELi256ELb1ELi8EL8MFMAType0EEvPKT_PKT0_S9_ifPKiSB_SB_iPKfiiiPfSE_PS4_PT2_iSD_SD_: ; @_Z39paged_attention_ll4mi_QKV_mfma16_kernelI14__hip_bfloat16hLN4vllm18Fp8KVCacheDataTypeE1ES0_Li32ELi64ELi256ELb1ELi8EL8MFMAType0EEvPKT_PKT0_S9_ifPKiSB_SB_iPKfiiiPfSE_PS4_PT2_iSD_SD_
; %bb.0:
	s_load_dwordx2 s[0:1], s[4:5], 0x30
	s_mov_b32 s24, s7
	s_mov_b64 s[10:11], 0
	s_waitcnt lgkmcnt(0)
	s_cmp_lg_u64 s[0:1], 0
	s_cselect_b64 s[2:3], -1, 0
	s_and_b64 vcc, exec, s[2:3]
	s_cbranch_vccz .LBB869_7
; %bb.1:
	s_add_i32 s12, s6, 1
	s_mov_b32 s13, 0
	s_lshl_b64 s[14:15], s[12:13], 2
	s_add_u32 s14, s0, s14
	s_mov_b32 s7, s13
	s_addc_u32 s15, s1, s15
	s_lshl_b64 s[12:13], s[6:7], 2
	s_add_u32 s12, s0, s12
	s_addc_u32 s13, s1, s13
	s_load_dword s9, s[14:15], 0x0
	s_load_dword s16, s[12:13], 0x0
	s_waitcnt lgkmcnt(0)
	s_sub_i32 s9, s9, s16
	s_cmp_eq_u32 s9, 1
	s_cselect_b64 s[12:13], -1, 0
	s_andn2_b64 vcc, exec, s[10:11]
	s_cbranch_vccnz .LBB869_3
.LBB869_2:
	s_mov_b32 s7, 0
	s_mov_b64 s[12:13], -1
.LBB869_3:
	s_andn2_b64 vcc, exec, s[12:13]
	s_cbranch_vccnz .LBB869_787
; %bb.4:
	s_load_dwordx2 s[12:13], s[4:5], 0x28
	s_lshl_b64 s[10:11], s[6:7], 2
	s_waitcnt lgkmcnt(0)
	s_add_u32 s12, s12, s10
	s_addc_u32 s13, s13, s11
	s_load_dword s33, s[12:13], 0x0
	s_lshl_b32 s18, s24, 8
	s_waitcnt lgkmcnt(0)
	s_cmp_ge_i32 s18, s33
	s_cbranch_scc1 .LBB869_787
; %bb.5:
	s_add_i32 s14, s33, 31
	s_load_dwordx2 s[12:13], s[4:5], 0x20
	s_load_dword s9, s[4:5], 0x38
	s_ashr_i32 s15, s14, 31
	v_and_b32_e32 v1, 0xcf, v0
	s_lshr_b32 s15, s15, 27
	v_add_u32_e32 v1, s18, v1
	s_add_i32 s14, s14, s15
	v_ashrrev_i32_e32 v2, 31, v1
	s_ashr_i32 s21, s14, 5
	v_lshrrev_b32_e32 v4, 27, v2
	s_add_i32 s21, s21, -1
	v_add_u32_e32 v2, v1, v4
	s_waitcnt lgkmcnt(0)
	s_mul_i32 s14, s6, s9
	s_mov_b32 s15, 0
	v_ashrrev_i32_e32 v2, 5, v2
	v_mov_b32_e32 v5, s21
	v_cmp_gt_i32_e32 vcc, s33, v1
	s_lshl_b64 s[14:15], s[14:15], 2
	v_cndmask_b32_e32 v2, v5, v2, vcc
	s_add_u32 s19, s12, s14
	v_ashrrev_i32_e32 v3, 31, v2
	s_addc_u32 s20, s13, s15
	v_lshlrev_b64 v[2:3], 2, v[2:3]
	v_mov_b32_e32 v7, s20
	v_add_co_u32_e32 v6, vcc, s19, v2
	v_or_b32_e32 v2, 16, v1
	v_addc_co_u32_e32 v7, vcc, v7, v3, vcc
	v_add_u32_e32 v3, v2, v4
	v_ashrrev_i32_e32 v3, 5, v3
	v_cmp_gt_i32_e32 vcc, s33, v2
	v_cndmask_b32_e32 v2, v5, v3, vcc
	v_ashrrev_i32_e32 v3, 31, v2
	v_lshlrev_b64 v[2:3], 2, v[2:3]
	v_mov_b32_e32 v9, s20
	v_add_co_u32_e32 v8, vcc, s19, v2
	v_or_b32_e32 v2, 32, v1
	v_addc_co_u32_e32 v9, vcc, v9, v3, vcc
	v_add_u32_e32 v3, v2, v4
	v_ashrrev_i32_e32 v3, 5, v3
	v_cmp_gt_i32_e32 vcc, s33, v2
	v_cndmask_b32_e32 v2, v5, v3, vcc
	v_ashrrev_i32_e32 v3, 31, v2
	;; [unrolled: 10-line block ×3, first 2 shown]
	v_lshlrev_b64 v[2:3], 2, v[2:3]
	v_mov_b32_e32 v1, s20
	v_add_co_u32_e32 v12, vcc, s19, v2
	v_addc_co_u32_e32 v13, vcc, v1, v3, vcc
	global_load_dword v5, v[6:7], off
	global_load_dword v4, v[8:9], off
	;; [unrolled: 1-line block ×4, first 2 shown]
	s_load_dwordx2 s[16:17], s[4:5], 0x8
	s_andn2_b64 vcc, exec, s[2:3]
	s_cbranch_vccnz .LBB869_8
; %bb.6:
	s_add_u32 s0, s0, s10
	s_addc_u32 s1, s1, s11
	s_load_dword s9, s[0:1], 0x0
	s_branch .LBB869_9
.LBB869_7:
	s_mov_b64 s[12:13], 0
	s_branch .LBB869_2
.LBB869_8:
	s_mov_b32 s9, s6
.LBB869_9:
	s_load_dwordx2 s[2:3], s[4:5], 0x10
	s_load_dwordx4 s[12:15], s[4:5], 0x48
	v_and_b32_e32 v50, 15, v0
	s_movk_i32 s0, 0x80
	v_lshlrev_b32_e32 v6, 3, v50
	v_cmp_gt_u32_e32 vcc, s0, v0
	v_cmp_gt_u32_e64 s[0:1], 8, v50
	v_lshrrev_b32_e32 v49, 6, v0
	v_bfe_u32 v1, v0, 4, 2
	s_lshl_b32 s25, s8, 3
	s_and_b64 s[22:23], vcc, s[0:1]
	v_lshlrev_b32_e32 v46, 1, v6
	v_lshlrev_b32_e32 v47, 4, v0
	s_and_saveexec_b64 s[10:11], s[22:23]
	s_cbranch_execz .LBB869_11
; %bb.10:
	s_load_dwordx2 s[22:23], s[4:5], 0x0
	s_waitcnt lgkmcnt(0)
	s_ashr_i32 s15, s12, 31
	s_mul_hi_u32 s26, s9, s12
	s_mul_i32 s15, s9, s15
	v_lshl_or_b32 v10, v49, 2, v1
	s_add_i32 s27, s26, s15
	s_mul_i32 s26, s9, s12
	s_lshl_b64 s[26:27], s[26:27], 1
	v_add_lshl_u32 v6, v10, s25, 6
	s_add_u32 s9, s22, s26
	v_ashrrev_i32_e32 v7, 31, v6
	s_addc_u32 s12, s23, s27
	v_lshlrev_b64 v[6:7], 1, v[6:7]
	v_mov_b32_e32 v8, s12
	v_add_co_u32_e32 v6, vcc, s9, v6
	v_addc_co_u32_e32 v7, vcc, v8, v7, vcc
	v_add_co_u32_e32 v6, vcc, v6, v46
	v_addc_co_u32_e32 v7, vcc, 0, v7, vcc
	global_load_dwordx4 v[6:9], v[6:7], off
	v_lshlrev_b32_e32 v12, 8, v50
	v_lshlrev_b32_e32 v10, 5, v10
	v_and_b32_e32 v11, 16, v47
	v_and_b32_e32 v12, 0xe00, v12
	v_or3_b32 v10, v12, v10, v11
	s_waitcnt vmcnt(0)
	ds_write_b128 v10, v[6:9]
.LBB869_11:
	s_or_b64 exec, exec, s[10:11]
	s_waitcnt lgkmcnt(0)
	s_mul_i32 s10, s8, s14
	s_add_u32 s8, s16, s10
	s_addc_u32 s9, s17, 0
	v_pk_mov_b32 v[8:9], s[8:9], s[8:9] op_sel:[0,1]
	s_waitcnt vmcnt(3)
	v_mad_i64_i32 v[10:11], s[8:9], v5, s13, v[8:9]
	v_lshlrev_b32_e32 v12, 4, v50
	v_and_b32_e32 v6, 48, v0
	v_add_co_u32_e32 v5, vcc, v10, v12
	v_lshlrev_b32_e32 v7, 5, v6
	v_addc_co_u32_e32 v11, vcc, 0, v11, vcc
	v_add_co_u32_e32 v10, vcc, v5, v7
	v_addc_co_u32_e32 v11, vcc, 0, v11, vcc
	s_waitcnt vmcnt(2)
	v_mad_i64_i32 v[4:5], s[8:9], v4, s13, v[8:9]
	v_or_b32_e32 v13, 0x100, v12
	v_add_co_u32_e32 v4, vcc, v4, v13
	v_addc_co_u32_e32 v5, vcc, 0, v5, vcc
	v_add_co_u32_e32 v4, vcc, v4, v7
	v_addc_co_u32_e32 v5, vcc, 0, v5, vcc
	s_barrier
	global_load_dwordx4 v[34:37], v[10:11], off
	global_load_dwordx4 v[38:41], v[4:5], off
	s_waitcnt vmcnt(3)
	v_mad_i64_i32 v[4:5], s[8:9], v3, s13, v[8:9]
	v_add_co_u32_e32 v3, vcc, v4, v12
	v_addc_co_u32_e32 v5, vcc, 0, v5, vcc
	v_add_co_u32_e32 v4, vcc, v3, v7
	v_addc_co_u32_e32 v5, vcc, 0, v5, vcc
	s_waitcnt vmcnt(2)
	v_mad_i64_i32 v[2:3], s[8:9], v2, s13, v[8:9]
	v_add_co_u32_e32 v2, vcc, v2, v13
	v_addc_co_u32_e32 v3, vcc, 0, v3, vcc
	v_add_co_u32_e32 v2, vcc, v2, v7
	v_addc_co_u32_e32 v3, vcc, 0, v3, vcc
	global_load_dwordx4 v[30:33], v[4:5], off
	global_load_dwordx4 v[22:25], v[2:3], off
	v_and_b32_e32 v2, 7, v0
	v_lshlrev_b32_e32 v2, 5, v2
	v_lshl_or_b32 v2, v1, 9, v2
	ds_read_b128 v[26:29], v2
	ds_read_b128 v[18:21], v2 offset:16
	v_mov_b32_e32 v43, 0
	v_mov_b32_e32 v51, 0
	s_and_saveexec_b64 s[8:9], s[0:1]
	s_cbranch_execz .LBB869_13
; %bb.12:
	s_load_dwordx2 s[14:15], s[4:5], 0x40
	v_or_b32_e32 v2, s25, v50
	v_ashrrev_i32_e32 v3, 31, v2
	v_lshlrev_b64 v[2:3], 2, v[2:3]
	s_waitcnt lgkmcnt(0)
	v_mov_b32_e32 v4, s15
	v_add_co_u32_e32 v2, vcc, s14, v2
	v_addc_co_u32_e32 v3, vcc, v4, v3, vcc
	global_load_dword v51, v[2:3], off
.LBB869_13:
	s_or_b64 exec, exec, s[8:9]
	s_ashr_i32 s8, s18, 31
	v_or_b32_e32 v8, s18, v6
	s_lshr_b32 s8, s8, 27
	v_add_u32_e32 v2, s8, v8
	v_ashrrev_i32_e32 v2, 5, v2
	v_mov_b32_e32 v9, s21
	v_cmp_gt_i32_e32 vcc, s33, v8
	v_cndmask_b32_e32 v2, v9, v2, vcc
	v_ashrrev_i32_e32 v3, 31, v2
	v_lshlrev_b64 v[2:3], 2, v[2:3]
	v_mov_b32_e32 v4, s20
	v_add_co_u32_e32 v2, vcc, s19, v2
	v_addc_co_u32_e32 v3, vcc, v4, v3, vcc
	v_or_b32_e32 v4, 64, v8
	v_add_u32_e32 v5, s8, v4
	v_ashrrev_i32_e32 v5, 5, v5
	v_cmp_gt_i32_e32 vcc, s33, v4
	v_cndmask_b32_e32 v4, v9, v5, vcc
	v_ashrrev_i32_e32 v5, 31, v4
	v_lshlrev_b64 v[4:5], 2, v[4:5]
	v_mov_b32_e32 v6, s20
	v_add_co_u32_e32 v4, vcc, s19, v4
	v_addc_co_u32_e32 v5, vcc, v6, v5, vcc
	v_or_b32_e32 v6, 0x80, v8
	v_add_u32_e32 v7, s8, v6
	v_ashrrev_i32_e32 v7, 5, v7
	v_cmp_gt_i32_e32 vcc, s33, v6
	v_cndmask_b32_e32 v6, v9, v7, vcc
	v_ashrrev_i32_e32 v7, 31, v6
	v_lshlrev_b64 v[6:7], 2, v[6:7]
	v_mov_b32_e32 v10, s20
	v_add_co_u32_e32 v6, vcc, s19, v6
	v_addc_co_u32_e32 v7, vcc, v10, v7, vcc
	global_load_dword v10, v[2:3], off
	global_load_dword v11, v[4:5], off
	;; [unrolled: 1-line block ×3, first 2 shown]
	v_or_b32_e32 v2, 0xc0, v8
	v_add_u32_e32 v3, s8, v2
	v_ashrrev_i32_e32 v3, 5, v3
	v_cmp_gt_i32_e32 vcc, s33, v2
	v_cndmask_b32_e32 v2, v9, v3, vcc
	v_ashrrev_i32_e32 v3, 31, v2
	v_lshlrev_b64 v[2:3], 2, v[2:3]
	v_mov_b32_e32 v4, s20
	v_add_co_u32_e32 v2, vcc, s19, v2
	v_addc_co_u32_e32 v3, vcc, v4, v3, vcc
	global_load_dword v13, v[2:3], off
	s_add_u32 s2, s2, s10
	v_and_b32_e32 v2, 16, v0
	s_addc_u32 s3, s3, 0
	v_lshlrev_b32_e32 v48, 5, v50
	v_mov_b32_e32 v4, s3
	v_add_co_u32_e32 v2, vcc, s2, v2
	v_lshl_or_b32 v3, v49, 9, v48
	v_addc_co_u32_e32 v4, vcc, 0, v4, vcc
	v_add_co_u32_e32 v2, vcc, v2, v3
	v_addc_co_u32_e32 v3, vcc, 0, v4, vcc
	s_movk_i32 s8, 0x80
	s_waitcnt vmcnt(7)
	v_cmp_ne_u16_sdwa s[10:11], v34, v43 src0_sel:BYTE_0 src1_sel:DWORD
	s_waitcnt vmcnt(3)
	v_mad_i64_i32 v[4:5], s[2:3], v10, s13, v[2:3]
	s_waitcnt vmcnt(2)
	v_mad_i64_i32 v[6:7], s[2:3], v11, s13, v[2:3]
	;; [unrolled: 2-line block ×4, first 2 shown]
	global_load_dwordx4 v[14:17], v[4:5], off
	global_load_dwordx4 v[10:13], v[6:7], off
	s_nop 0
	global_load_dwordx4 v[6:9], v[8:9], off
	s_nop 0
	global_load_dwordx4 v[2:5], v[2:3], off
	s_load_dwordx4 s[40:43], s[4:5], 0x80
	s_load_dwordx2 s[44:45], s[4:5], 0x94
	s_waitcnt lgkmcnt(0)
	s_load_dword s12, s[40:41], 0x0
	s_and_saveexec_b64 s[2:3], s[10:11]
	s_cbranch_execz .LBB869_19
; %bb.14:
	v_cmp_ne_u16_sdwa s[10:11], v34, s8 src0_sel:BYTE_0 src1_sel:DWORD
	v_mov_b32_e32 v43, 0xffff8000
	s_and_saveexec_b64 s[8:9], s[10:11]
	s_cbranch_execz .LBB869_18
; %bb.15:
	s_movk_i32 s10, 0x7f
	v_and_b32_e32 v42, 0x7f, v34
	v_cmp_ne_u32_e32 vcc, s10, v42
	v_mov_b32_e32 v43, 0x7f80
	s_and_saveexec_b64 s[10:11], vcc
	s_cbranch_execz .LBB869_17
; %bb.16:
	v_and_b32_e32 v43, 7, v34
	v_ffbh_u32_e32 v44, v43
	v_min_u32_e32 v53, 32, v44
	v_subrev_u32_e32 v44, 28, v53
	v_lshlrev_b64 v[44:45], v44, v[34:35]
	v_lshrrev_b32_e32 v52, 3, v42
	v_sub_u32_e32 v45, 29, v53
	v_and_b32_e32 v44, 7, v44
	v_cmp_gt_u32_e32 vcc, 8, v42
	v_cndmask_b32_e32 v42, v52, v45, vcc
	v_cndmask_b32_e32 v43, v43, v44, vcc
	v_lshlrev_b32_e32 v44, 24, v34
	v_bfrev_b32_e32 v45, 60
	v_lshlrev_b32_e32 v43, 20, v43
	v_and_b32_e32 v44, 0x80000000, v44
	v_lshl_add_u32 v42, v42, 23, v45
	v_or3_b32 v42, v44, v42, v43
	v_lshrrev_b32_e32 v43, 16, v42
.LBB869_17:
	s_or_b64 exec, exec, s[10:11]
.LBB869_18:
	s_or_b64 exec, exec, s[8:9]
.LBB869_19:
	s_or_b64 exec, exec, s[2:3]
	v_lshrrev_b16_e32 v42, 8, v34
	v_cmp_ne_u16_e32 vcc, 0, v42
	v_mov_b32_e32 v45, 0
	v_mov_b32_e32 v44, 0
	s_and_saveexec_b64 s[2:3], vcc
	s_cbranch_execz .LBB869_25
; %bb.20:
	s_movk_i32 s8, 0x80
	v_cmp_ne_u16_e32 vcc, s8, v42
	v_mov_b32_e32 v44, 0xffff8000
	s_and_saveexec_b64 s[8:9], vcc
	s_cbranch_execz .LBB869_24
; %bb.21:
	s_movk_i32 s10, 0x7f
	v_and_b32_e32 v52, 0x7f, v42
	v_cmp_ne_u32_e32 vcc, s10, v52
	v_mov_b32_e32 v44, 0x7f80
	s_and_saveexec_b64 s[10:11], vcc
	s_cbranch_execz .LBB869_23
; %bb.22:
	v_and_b32_e32 v44, 7, v42
	v_ffbh_u32_e32 v54, v44
	v_min_u32_e32 v56, 32, v54
	v_subrev_u32_e32 v54, 28, v56
	v_lshlrev_b64 v[54:55], v54, v[42:43]
	v_lshrrev_b32_e32 v53, 3, v52
	v_sub_u32_e32 v42, 29, v56
	v_and_b32_e32 v54, 7, v54
	v_cmp_gt_u32_e32 vcc, 8, v52
	v_cndmask_b32_e32 v42, v53, v42, vcc
	v_cndmask_b32_e32 v44, v44, v54, vcc
	v_lshlrev_b32_e32 v52, 16, v34
	v_bfrev_b32_e32 v53, 60
	v_lshlrev_b32_e32 v44, 20, v44
	v_and_b32_e32 v52, 0x80000000, v52
	v_lshl_add_u32 v42, v42, 23, v53
	v_or3_b32 v42, v52, v42, v44
	v_lshrrev_b32_e32 v44, 16, v42
.LBB869_23:
	s_or_b64 exec, exec, s[10:11]
.LBB869_24:
	s_or_b64 exec, exec, s[8:9]
.LBB869_25:
	s_or_b64 exec, exec, s[2:3]
	s_movk_i32 s2, 0xff
	v_and_b32_sdwa v52, v34, s2 dst_sel:DWORD dst_unused:UNUSED_PAD src0_sel:WORD_1 src1_sel:DWORD
	v_lshrrev_b32_e32 v42, 16, v34
	v_cmp_ne_u16_e32 vcc, 0, v52
	s_and_saveexec_b64 s[2:3], vcc
	s_cbranch_execz .LBB869_31
; %bb.26:
	s_movk_i32 s8, 0x80
	v_cmp_ne_u16_e32 vcc, s8, v52
	v_mov_b32_e32 v45, 0xffff8000
	s_and_saveexec_b64 s[8:9], vcc
	s_cbranch_execz .LBB869_30
; %bb.27:
	v_bfe_u32 v52, v34, 16, 7
	s_movk_i32 s10, 0x7f
	v_cmp_ne_u32_e32 vcc, s10, v52
	v_mov_b32_e32 v45, 0x7f80
	s_and_saveexec_b64 s[10:11], vcc
	s_cbranch_execz .LBB869_29
; %bb.28:
	v_and_b32_e32 v45, 7, v42
	v_ffbh_u32_e32 v54, v45
	v_min_u32_e32 v56, 32, v54
	v_subrev_u32_e32 v54, 28, v56
	v_lshlrev_b64 v[54:55], v54, v[42:43]
	v_lshrrev_b32_e32 v53, 3, v52
	v_sub_u32_e32 v42, 29, v56
	v_and_b32_e32 v54, 7, v54
	v_cmp_gt_u32_e32 vcc, 8, v52
	v_mov_b32_e32 v52, 24
	v_cndmask_b32_e32 v42, v53, v42, vcc
	v_cndmask_b32_e32 v45, v45, v54, vcc
	v_lshlrev_b32_sdwa v52, v52, v34 dst_sel:DWORD dst_unused:UNUSED_PAD src0_sel:DWORD src1_sel:WORD_1
	v_bfrev_b32_e32 v53, 60
	v_lshlrev_b32_e32 v45, 20, v45
	v_and_b32_e32 v52, 0x80000000, v52
	v_lshl_add_u32 v42, v42, 23, v53
	v_or3_b32 v42, v52, v42, v45
	v_lshrrev_b32_e32 v45, 16, v42
.LBB869_29:
	s_or_b64 exec, exec, s[10:11]
.LBB869_30:
	s_or_b64 exec, exec, s[8:9]
.LBB869_31:
	s_or_b64 exec, exec, s[2:3]
	s_mov_b32 s2, 0xffffff
	v_cmp_lt_u32_e32 vcc, s2, v34
	v_mov_b32_e32 v53, 0
	v_mov_b32_e32 v54, 0
	s_and_saveexec_b64 s[2:3], vcc
	s_cbranch_execz .LBB869_37
; %bb.32:
	v_lshrrev_b32_e32 v42, 24, v34
	s_movk_i32 s8, 0x80
	v_cmp_ne_u32_e32 vcc, s8, v42
	v_mov_b32_e32 v54, 0xffff8000
	s_and_saveexec_b64 s[8:9], vcc
	s_cbranch_execz .LBB869_36
; %bb.33:
	v_bfe_u32 v34, v34, 24, 7
	s_movk_i32 s10, 0x7f
	v_cmp_ne_u32_e32 vcc, s10, v34
	v_mov_b32_e32 v54, 0x7f80
	s_and_saveexec_b64 s[10:11], vcc
	s_cbranch_execz .LBB869_35
; %bb.34:
	v_and_b32_e32 v52, 7, v42
	v_ffbh_u32_e32 v54, v52
	v_min_u32_e32 v57, 32, v54
	v_subrev_u32_e32 v54, 28, v57
	v_lshlrev_b64 v[54:55], v54, v[42:43]
	v_lshrrev_b32_e32 v56, 3, v34
	v_sub_u32_e32 v55, 29, v57
	v_and_b32_e32 v54, 7, v54
	v_cmp_gt_u32_e32 vcc, 8, v34
	v_cndmask_b32_e32 v34, v56, v55, vcc
	v_cndmask_b32_e32 v52, v52, v54, vcc
	v_lshlrev_b32_e32 v42, 24, v42
	v_bfrev_b32_e32 v54, 60
	v_lshlrev_b32_e32 v52, 20, v52
	v_and_b32_e32 v42, 0x80000000, v42
	v_lshl_add_u32 v34, v34, 23, v54
	v_or3_b32 v34, v42, v34, v52
	v_lshrrev_b32_e32 v54, 16, v34
.LBB869_35:
	s_or_b64 exec, exec, s[10:11]
.LBB869_36:
	s_or_b64 exec, exec, s[8:9]
.LBB869_37:
	s_or_b64 exec, exec, s[2:3]
	v_cmp_ne_u16_sdwa s[8:9], v35, v53 src0_sel:BYTE_0 src1_sel:DWORD
	s_and_saveexec_b64 s[2:3], s[8:9]
	s_cbranch_execz .LBB869_43
; %bb.38:
	s_movk_i32 s8, 0x80
	v_cmp_ne_u16_sdwa s[10:11], v35, s8 src0_sel:BYTE_0 src1_sel:DWORD
	v_mov_b32_e32 v53, 0xffff8000
	s_and_saveexec_b64 s[8:9], s[10:11]
	s_cbranch_execz .LBB869_42
; %bb.39:
	s_movk_i32 s10, 0x7f
	v_and_b32_e32 v34, 0x7f, v35
	v_cmp_ne_u32_e32 vcc, s10, v34
	v_mov_b32_e32 v53, 0x7f80
	s_and_saveexec_b64 s[10:11], vcc
	s_cbranch_execz .LBB869_41
; %bb.40:
	v_and_b32_e32 v55, 7, v35
	v_ffbh_u32_e32 v52, v55
	v_min_u32_e32 v57, 32, v52
	v_mov_b32_e32 v42, v35
	v_subrev_u32_e32 v52, 28, v57
	v_lshlrev_b64 v[52:53], v52, v[42:43]
	v_lshrrev_b32_e32 v56, 3, v34
	v_sub_u32_e32 v42, 29, v57
	v_and_b32_e32 v52, 7, v52
	v_cmp_gt_u32_e32 vcc, 8, v34
	v_cndmask_b32_e32 v34, v56, v42, vcc
	v_cndmask_b32_e32 v42, v55, v52, vcc
	v_lshlrev_b32_e32 v52, 24, v35
	v_bfrev_b32_e32 v53, 60
	v_lshlrev_b32_e32 v42, 20, v42
	v_and_b32_e32 v52, 0x80000000, v52
	v_lshl_add_u32 v34, v34, 23, v53
	v_or3_b32 v34, v52, v34, v42
	v_lshrrev_b32_e32 v53, 16, v34
.LBB869_41:
	s_or_b64 exec, exec, s[10:11]
.LBB869_42:
	s_or_b64 exec, exec, s[8:9]
.LBB869_43:
	s_or_b64 exec, exec, s[2:3]
	v_lshrrev_b16_e32 v34, 8, v35
	v_cmp_ne_u16_e32 vcc, 0, v34
	v_mov_b32_e32 v55, 0
	v_mov_b32_e32 v42, 0
	s_and_saveexec_b64 s[2:3], vcc
	s_cbranch_execz .LBB869_49
; %bb.44:
	s_movk_i32 s8, 0x80
	v_cmp_ne_u16_e32 vcc, s8, v34
	v_mov_b32_e32 v42, 0xffff8000
	s_and_saveexec_b64 s[8:9], vcc
	s_cbranch_execz .LBB869_48
; %bb.45:
	s_movk_i32 s10, 0x7f
	v_and_b32_e32 v52, 0x7f, v34
	v_cmp_ne_u32_e32 vcc, s10, v52
	v_mov_b32_e32 v42, 0x7f80
	s_and_saveexec_b64 s[10:11], vcc
	s_cbranch_execz .LBB869_47
; %bb.46:
	v_and_b32_e32 v42, 7, v34
	v_ffbh_u32_e32 v56, v42
	v_min_u32_e32 v59, 32, v56
	v_subrev_u32_e32 v56, 28, v59
	v_lshlrev_b64 v[56:57], v56, v[34:35]
	v_lshrrev_b32_e32 v58, 3, v52
	v_sub_u32_e32 v34, 29, v59
	v_and_b32_e32 v56, 7, v56
	v_cmp_gt_u32_e32 vcc, 8, v52
	v_cndmask_b32_e32 v34, v58, v34, vcc
	v_cndmask_b32_e32 v42, v42, v56, vcc
	v_lshlrev_b32_e32 v52, 16, v35
	v_bfrev_b32_e32 v56, 60
	v_lshlrev_b32_e32 v42, 20, v42
	v_and_b32_e32 v52, 0x80000000, v52
	v_lshl_add_u32 v34, v34, 23, v56
	v_or3_b32 v34, v52, v34, v42
	v_lshrrev_b32_e32 v42, 16, v34
.LBB869_47:
	s_or_b64 exec, exec, s[10:11]
.LBB869_48:
	s_or_b64 exec, exec, s[8:9]
.LBB869_49:
	s_or_b64 exec, exec, s[2:3]
	s_movk_i32 s2, 0xff
	v_and_b32_sdwa v52, v35, s2 dst_sel:DWORD dst_unused:UNUSED_PAD src0_sel:WORD_1 src1_sel:DWORD
	v_lshrrev_b32_e32 v34, 16, v35
	v_cmp_ne_u16_e32 vcc, 0, v52
	s_and_saveexec_b64 s[2:3], vcc
	s_cbranch_execz .LBB869_55
; %bb.50:
	s_movk_i32 s8, 0x80
	v_cmp_ne_u16_e32 vcc, s8, v52
	v_mov_b32_e32 v55, 0xffff8000
	s_and_saveexec_b64 s[8:9], vcc
	s_cbranch_execz .LBB869_54
; %bb.51:
	v_bfe_u32 v52, v35, 16, 7
	s_movk_i32 s10, 0x7f
	v_cmp_ne_u32_e32 vcc, s10, v52
	v_mov_b32_e32 v55, 0x7f80
	s_and_saveexec_b64 s[10:11], vcc
	s_cbranch_execz .LBB869_53
; %bb.52:
	v_and_b32_e32 v55, 7, v34
	v_ffbh_u32_e32 v56, v55
	v_min_u32_e32 v59, 32, v56
	v_subrev_u32_e32 v56, 28, v59
	v_lshlrev_b64 v[56:57], v56, v[34:35]
	v_and_b32_e32 v56, 7, v56
	v_cmp_gt_u32_e32 vcc, 8, v52
	v_lshrrev_b32_e32 v58, 3, v52
	v_sub_u32_e32 v34, 29, v59
	v_cndmask_b32_e32 v52, v55, v56, vcc
	v_mov_b32_e32 v55, 24
	v_cndmask_b32_e32 v34, v58, v34, vcc
	v_lshlrev_b32_sdwa v55, v55, v35 dst_sel:DWORD dst_unused:UNUSED_PAD src0_sel:DWORD src1_sel:WORD_1
	v_bfrev_b32_e32 v56, 60
	v_lshlrev_b32_e32 v52, 20, v52
	v_and_b32_e32 v55, 0x80000000, v55
	v_lshl_add_u32 v34, v34, 23, v56
	v_or3_b32 v34, v55, v34, v52
	v_lshrrev_b32_e32 v55, 16, v34
.LBB869_53:
	s_or_b64 exec, exec, s[10:11]
.LBB869_54:
	s_or_b64 exec, exec, s[8:9]
.LBB869_55:
	s_or_b64 exec, exec, s[2:3]
	s_mov_b32 s2, 0xffffff
	v_cmp_lt_u32_e32 vcc, s2, v35
	v_mov_b32_e32 v52, 0
	v_mov_b32_e32 v56, 0
	s_and_saveexec_b64 s[2:3], vcc
	s_cbranch_execz .LBB869_61
; %bb.56:
	v_lshrrev_b32_e32 v34, 24, v35
	s_movk_i32 s8, 0x80
	v_cmp_ne_u32_e32 vcc, s8, v34
	v_mov_b32_e32 v56, 0xffff8000
	s_and_saveexec_b64 s[8:9], vcc
	s_cbranch_execz .LBB869_60
; %bb.57:
	v_bfe_u32 v35, v35, 24, 7
	s_movk_i32 s10, 0x7f
	v_cmp_ne_u32_e32 vcc, s10, v35
	v_mov_b32_e32 v56, 0x7f80
	s_and_saveexec_b64 s[10:11], vcc
	s_cbranch_execz .LBB869_59
; %bb.58:
	v_and_b32_e32 v58, 7, v34
	v_ffbh_u32_e32 v56, v58
	v_min_u32_e32 v60, 32, v56
	v_subrev_u32_e32 v56, 28, v60
	v_lshlrev_b64 v[56:57], v56, v[34:35]
	v_lshrrev_b32_e32 v59, 3, v35
	v_sub_u32_e32 v57, 29, v60
	v_and_b32_e32 v56, 7, v56
	v_cmp_gt_u32_e32 vcc, 8, v35
	v_cndmask_b32_e32 v35, v59, v57, vcc
	v_cndmask_b32_e32 v56, v58, v56, vcc
	v_lshlrev_b32_e32 v34, 24, v34
	v_bfrev_b32_e32 v57, 60
	v_lshlrev_b32_e32 v56, 20, v56
	v_and_b32_e32 v34, 0x80000000, v34
	v_lshl_add_u32 v35, v35, 23, v57
	v_or3_b32 v34, v34, v35, v56
	v_lshrrev_b32_e32 v56, 16, v34
.LBB869_59:
	s_or_b64 exec, exec, s[10:11]
.LBB869_60:
	s_or_b64 exec, exec, s[8:9]
.LBB869_61:
	s_or_b64 exec, exec, s[2:3]
	s_mov_b32 s2, 0x5040100
	v_perm_b32 v35, v54, v45, s2
	v_perm_b32 v34, v44, v43, s2
	v_cmp_ne_u16_sdwa s[8:9], v36, v52 src0_sel:BYTE_0 src1_sel:DWORD
	s_nop 0
	v_mfma_f32_16x16x16bf16_1k v[58:61], v[34:35], v[26:27], 0
	v_perm_b32 v35, v56, v55, s2
	v_perm_b32 v34, v42, v53, s2
	s_nop 1
	v_mfma_f32_16x16x16bf16_1k v[42:45], v[34:35], v[28:29], v[58:61]
	s_and_saveexec_b64 s[2:3], s[8:9]
	s_cbranch_execz .LBB869_67
; %bb.62:
	s_movk_i32 s8, 0x80
	v_cmp_ne_u16_sdwa s[10:11], v36, s8 src0_sel:BYTE_0 src1_sel:DWORD
	v_mov_b32_e32 v52, 0xffff8000
	s_and_saveexec_b64 s[8:9], s[10:11]
	s_cbranch_execz .LBB869_66
; %bb.63:
	s_movk_i32 s10, 0x7f
	v_and_b32_e32 v34, 0x7f, v36
	v_cmp_ne_u32_e32 vcc, s10, v34
	v_mov_b32_e32 v52, 0x7f80
	s_and_saveexec_b64 s[10:11], vcc
	s_cbranch_execz .LBB869_65
; %bb.64:
	v_and_b32_e32 v35, 7, v36
	v_ffbh_u32_e32 v52, v35
	v_min_u32_e32 v55, 32, v52
	v_subrev_u32_e32 v52, 28, v55
	v_lshlrev_b64 v[52:53], v52, v[36:37]
	v_lshrrev_b32_e32 v54, 3, v34
	v_sub_u32_e32 v53, 29, v55
	v_and_b32_e32 v52, 7, v52
	v_cmp_gt_u32_e32 vcc, 8, v34
	v_cndmask_b32_e32 v34, v54, v53, vcc
	v_cndmask_b32_e32 v35, v35, v52, vcc
	v_lshlrev_b32_e32 v52, 24, v36
	v_bfrev_b32_e32 v53, 60
	v_lshlrev_b32_e32 v35, 20, v35
	v_and_b32_e32 v52, 0x80000000, v52
	v_lshl_add_u32 v34, v34, 23, v53
	v_or3_b32 v34, v52, v34, v35
	v_lshrrev_b32_e32 v52, 16, v34
.LBB869_65:
	s_or_b64 exec, exec, s[10:11]
.LBB869_66:
	s_or_b64 exec, exec, s[8:9]
.LBB869_67:
	s_or_b64 exec, exec, s[2:3]
	v_lshrrev_b16_e32 v34, 8, v36
	v_cmp_ne_u16_e32 vcc, 0, v34
	v_mov_b32_e32 v54, 0
	v_mov_b32_e32 v35, 0
	s_and_saveexec_b64 s[2:3], vcc
	s_cbranch_execz .LBB869_73
; %bb.68:
	s_movk_i32 s8, 0x80
	v_cmp_ne_u16_e32 vcc, s8, v34
	v_mov_b32_e32 v35, 0xffff8000
	s_and_saveexec_b64 s[8:9], vcc
	s_cbranch_execz .LBB869_72
; %bb.69:
	s_movk_i32 s10, 0x7f
	v_and_b32_e32 v53, 0x7f, v34
	v_cmp_ne_u32_e32 vcc, s10, v53
	v_mov_b32_e32 v35, 0x7f80
	s_and_saveexec_b64 s[10:11], vcc
	s_cbranch_execz .LBB869_71
; %bb.70:
	v_and_b32_e32 v55, 7, v34
	v_ffbh_u32_e32 v35, v55
	v_min_u32_e32 v57, 32, v35
	v_subrev_u32_e32 v35, 28, v57
	v_lshlrev_b64 v[34:35], v35, v[34:35]
	v_lshrrev_b32_e32 v56, 3, v53
	v_sub_u32_e32 v35, 29, v57
	v_and_b32_e32 v34, 7, v34
	v_cmp_gt_u32_e32 vcc, 8, v53
	v_cndmask_b32_e32 v35, v56, v35, vcc
	v_cndmask_b32_e32 v34, v55, v34, vcc
	v_lshlrev_b32_e32 v53, 16, v36
	v_bfrev_b32_e32 v55, 60
	v_lshlrev_b32_e32 v34, 20, v34
	v_and_b32_e32 v53, 0x80000000, v53
	v_lshl_add_u32 v35, v35, 23, v55
	v_or3_b32 v34, v53, v35, v34
	v_lshrrev_b32_e32 v35, 16, v34
.LBB869_71:
	s_or_b64 exec, exec, s[10:11]
.LBB869_72:
	s_or_b64 exec, exec, s[8:9]
.LBB869_73:
	s_or_b64 exec, exec, s[2:3]
	s_movk_i32 s2, 0xff
	v_and_b32_sdwa v53, v36, s2 dst_sel:DWORD dst_unused:UNUSED_PAD src0_sel:WORD_1 src1_sel:DWORD
	v_lshrrev_b32_e32 v34, 16, v36
	v_cmp_ne_u16_e32 vcc, 0, v53
	s_and_saveexec_b64 s[2:3], vcc
	s_cbranch_execz .LBB869_79
; %bb.74:
	s_movk_i32 s8, 0x80
	v_cmp_ne_u16_e32 vcc, s8, v53
	v_mov_b32_e32 v54, 0xffff8000
	s_and_saveexec_b64 s[8:9], vcc
	s_cbranch_execz .LBB869_78
; %bb.75:
	v_bfe_u32 v53, v36, 16, 7
	s_movk_i32 s10, 0x7f
	v_cmp_ne_u32_e32 vcc, s10, v53
	v_mov_b32_e32 v54, 0x7f80
	s_and_saveexec_b64 s[10:11], vcc
	s_cbranch_execz .LBB869_77
; %bb.76:
	v_and_b32_e32 v56, 7, v34
	v_ffbh_u32_e32 v54, v56
	v_min_u32_e32 v58, 32, v54
	v_subrev_u32_e32 v54, 28, v58
	v_lshlrev_b64 v[54:55], v54, v[34:35]
	v_and_b32_e32 v54, 7, v54
	v_cmp_gt_u32_e32 vcc, 8, v53
	v_lshrrev_b32_e32 v57, 3, v53
	v_sub_u32_e32 v34, 29, v58
	v_cndmask_b32_e32 v53, v56, v54, vcc
	v_mov_b32_e32 v54, 24
	v_cndmask_b32_e32 v34, v57, v34, vcc
	v_lshlrev_b32_sdwa v54, v54, v36 dst_sel:DWORD dst_unused:UNUSED_PAD src0_sel:DWORD src1_sel:WORD_1
	v_bfrev_b32_e32 v55, 60
	v_lshlrev_b32_e32 v53, 20, v53
	v_and_b32_e32 v54, 0x80000000, v54
	v_lshl_add_u32 v34, v34, 23, v55
	v_or3_b32 v34, v54, v34, v53
	v_lshrrev_b32_e32 v54, 16, v34
.LBB869_77:
	s_or_b64 exec, exec, s[10:11]
.LBB869_78:
	s_or_b64 exec, exec, s[8:9]
.LBB869_79:
	s_or_b64 exec, exec, s[2:3]
	s_mov_b32 s2, 0xffffff
	v_cmp_lt_u32_e32 vcc, s2, v36
	v_mov_b32_e32 v55, 0
	v_mov_b32_e32 v56, 0
	s_and_saveexec_b64 s[2:3], vcc
	s_cbranch_execz .LBB869_85
; %bb.80:
	v_lshrrev_b32_e32 v34, 24, v36
	s_movk_i32 s8, 0x80
	v_cmp_ne_u32_e32 vcc, s8, v34
	v_mov_b32_e32 v56, 0xffff8000
	s_and_saveexec_b64 s[8:9], vcc
	s_cbranch_execz .LBB869_84
; %bb.81:
	v_bfe_u32 v36, v36, 24, 7
	s_movk_i32 s10, 0x7f
	v_cmp_ne_u32_e32 vcc, s10, v36
	v_mov_b32_e32 v56, 0x7f80
	s_and_saveexec_b64 s[10:11], vcc
	s_cbranch_execz .LBB869_83
; %bb.82:
	v_and_b32_e32 v53, 7, v34
	v_ffbh_u32_e32 v56, v53
	v_min_u32_e32 v59, 32, v56
	v_subrev_u32_e32 v56, 28, v59
	v_lshlrev_b64 v[56:57], v56, v[34:35]
	v_lshrrev_b32_e32 v58, 3, v36
	v_sub_u32_e32 v57, 29, v59
	v_and_b32_e32 v56, 7, v56
	v_cmp_gt_u32_e32 vcc, 8, v36
	v_cndmask_b32_e32 v36, v58, v57, vcc
	v_cndmask_b32_e32 v53, v53, v56, vcc
	v_lshlrev_b32_e32 v34, 24, v34
	v_bfrev_b32_e32 v56, 60
	v_lshlrev_b32_e32 v53, 20, v53
	v_and_b32_e32 v34, 0x80000000, v34
	v_lshl_add_u32 v36, v36, 23, v56
	v_or3_b32 v34, v34, v36, v53
	v_lshrrev_b32_e32 v56, 16, v34
.LBB869_83:
	s_or_b64 exec, exec, s[10:11]
.LBB869_84:
	s_or_b64 exec, exec, s[8:9]
.LBB869_85:
	s_or_b64 exec, exec, s[2:3]
	v_cmp_ne_u16_sdwa s[8:9], v37, v55 src0_sel:BYTE_0 src1_sel:DWORD
	s_and_saveexec_b64 s[2:3], s[8:9]
	s_cbranch_execz .LBB869_91
; %bb.86:
	s_movk_i32 s8, 0x80
	v_cmp_ne_u16_sdwa s[10:11], v37, s8 src0_sel:BYTE_0 src1_sel:DWORD
	v_mov_b32_e32 v55, 0xffff8000
	s_and_saveexec_b64 s[8:9], s[10:11]
	s_cbranch_execz .LBB869_90
; %bb.87:
	s_movk_i32 s10, 0x7f
	v_and_b32_e32 v34, 0x7f, v37
	v_cmp_ne_u32_e32 vcc, s10, v34
	v_mov_b32_e32 v55, 0x7f80
	s_and_saveexec_b64 s[10:11], vcc
	s_cbranch_execz .LBB869_89
; %bb.88:
	v_and_b32_e32 v53, 7, v37
	v_ffbh_u32_e32 v57, v53
	v_min_u32_e32 v57, 32, v57
	v_mov_b32_e32 v36, v37
	v_subrev_u32_e32 v58, 28, v57
	v_lshlrev_b64 v[58:59], v58, v[36:37]
	v_lshrrev_b32_e32 v55, 3, v34
	v_sub_u32_e32 v36, 29, v57
	v_and_b32_e32 v57, 7, v58
	v_cmp_gt_u32_e32 vcc, 8, v34
	v_cndmask_b32_e32 v34, v55, v36, vcc
	v_cndmask_b32_e32 v36, v53, v57, vcc
	v_lshlrev_b32_e32 v53, 24, v37
	v_bfrev_b32_e32 v55, 60
	v_lshlrev_b32_e32 v36, 20, v36
	v_and_b32_e32 v53, 0x80000000, v53
	v_lshl_add_u32 v34, v34, 23, v55
	v_or3_b32 v34, v53, v34, v36
	v_lshrrev_b32_e32 v55, 16, v34
.LBB869_89:
	s_or_b64 exec, exec, s[10:11]
.LBB869_90:
	s_or_b64 exec, exec, s[8:9]
.LBB869_91:
	s_or_b64 exec, exec, s[2:3]
	v_lshrrev_b16_e32 v34, 8, v37
	v_cmp_ne_u16_e32 vcc, 0, v34
	v_mov_b32_e32 v57, 0
	v_mov_b32_e32 v36, 0
	s_and_saveexec_b64 s[2:3], vcc
	s_cbranch_execz .LBB869_97
; %bb.92:
	s_movk_i32 s8, 0x80
	v_cmp_ne_u16_e32 vcc, s8, v34
	v_mov_b32_e32 v36, 0xffff8000
	s_and_saveexec_b64 s[8:9], vcc
	s_cbranch_execz .LBB869_96
; %bb.93:
	s_movk_i32 s10, 0x7f
	v_and_b32_e32 v53, 0x7f, v34
	v_cmp_ne_u32_e32 vcc, s10, v53
	v_mov_b32_e32 v36, 0x7f80
	s_and_saveexec_b64 s[10:11], vcc
	s_cbranch_execz .LBB869_95
; %bb.94:
	v_and_b32_e32 v36, 7, v34
	v_ffbh_u32_e32 v58, v36
	v_min_u32_e32 v61, 32, v58
	v_subrev_u32_e32 v58, 28, v61
	v_lshlrev_b64 v[58:59], v58, v[34:35]
	v_lshrrev_b32_e32 v60, 3, v53
	v_sub_u32_e32 v34, 29, v61
	v_and_b32_e32 v58, 7, v58
	v_cmp_gt_u32_e32 vcc, 8, v53
	v_cndmask_b32_e32 v34, v60, v34, vcc
	v_cndmask_b32_e32 v36, v36, v58, vcc
	v_lshlrev_b32_e32 v53, 16, v37
	v_bfrev_b32_e32 v58, 60
	v_lshlrev_b32_e32 v36, 20, v36
	v_and_b32_e32 v53, 0x80000000, v53
	v_lshl_add_u32 v34, v34, 23, v58
	v_or3_b32 v34, v53, v34, v36
	v_lshrrev_b32_e32 v36, 16, v34
.LBB869_95:
	s_or_b64 exec, exec, s[10:11]
.LBB869_96:
	s_or_b64 exec, exec, s[8:9]
.LBB869_97:
	s_or_b64 exec, exec, s[2:3]
	s_movk_i32 s2, 0xff
	v_and_b32_sdwa v53, v37, s2 dst_sel:DWORD dst_unused:UNUSED_PAD src0_sel:WORD_1 src1_sel:DWORD
	v_lshrrev_b32_e32 v34, 16, v37
	v_cmp_ne_u16_e32 vcc, 0, v53
	s_and_saveexec_b64 s[2:3], vcc
	s_cbranch_execz .LBB869_103
; %bb.98:
	s_movk_i32 s8, 0x80
	v_cmp_ne_u16_e32 vcc, s8, v53
	v_mov_b32_e32 v57, 0xffff8000
	s_and_saveexec_b64 s[8:9], vcc
	s_cbranch_execz .LBB869_102
; %bb.99:
	v_bfe_u32 v53, v37, 16, 7
	s_movk_i32 s10, 0x7f
	v_cmp_ne_u32_e32 vcc, s10, v53
	v_mov_b32_e32 v57, 0x7f80
	s_and_saveexec_b64 s[10:11], vcc
	s_cbranch_execz .LBB869_101
; %bb.100:
	v_and_b32_e32 v57, 7, v34
	v_ffbh_u32_e32 v58, v57
	v_min_u32_e32 v61, 32, v58
	v_subrev_u32_e32 v58, 28, v61
	v_lshlrev_b64 v[58:59], v58, v[34:35]
	v_and_b32_e32 v58, 7, v58
	v_cmp_gt_u32_e32 vcc, 8, v53
	v_lshrrev_b32_e32 v60, 3, v53
	v_sub_u32_e32 v34, 29, v61
	v_cndmask_b32_e32 v53, v57, v58, vcc
	v_mov_b32_e32 v57, 24
	v_cndmask_b32_e32 v34, v60, v34, vcc
	v_lshlrev_b32_sdwa v57, v57, v37 dst_sel:DWORD dst_unused:UNUSED_PAD src0_sel:DWORD src1_sel:WORD_1
	v_bfrev_b32_e32 v58, 60
	v_lshlrev_b32_e32 v53, 20, v53
	v_and_b32_e32 v57, 0x80000000, v57
	v_lshl_add_u32 v34, v34, 23, v58
	v_or3_b32 v34, v57, v34, v53
	v_lshrrev_b32_e32 v57, 16, v34
.LBB869_101:
	s_or_b64 exec, exec, s[10:11]
.LBB869_102:
	s_or_b64 exec, exec, s[8:9]
.LBB869_103:
	s_or_b64 exec, exec, s[2:3]
	s_mov_b32 s2, 0xffffff
	v_cmp_lt_u32_e32 vcc, s2, v37
	v_mov_b32_e32 v53, 0
	v_mov_b32_e32 v58, 0
	s_and_saveexec_b64 s[2:3], vcc
	s_cbranch_execz .LBB869_109
; %bb.104:
	v_lshrrev_b32_e32 v34, 24, v37
	s_movk_i32 s8, 0x80
	v_cmp_ne_u32_e32 vcc, s8, v34
	v_mov_b32_e32 v58, 0xffff8000
	s_and_saveexec_b64 s[8:9], vcc
	s_cbranch_execz .LBB869_108
; %bb.105:
	v_bfe_u32 v37, v37, 24, 7
	s_movk_i32 s10, 0x7f
	v_cmp_ne_u32_e32 vcc, s10, v37
	v_mov_b32_e32 v58, 0x7f80
	s_and_saveexec_b64 s[10:11], vcc
	s_cbranch_execz .LBB869_107
; %bb.106:
	v_and_b32_e32 v60, 7, v34
	v_ffbh_u32_e32 v58, v60
	v_min_u32_e32 v62, 32, v58
	v_subrev_u32_e32 v58, 28, v62
	v_lshlrev_b64 v[58:59], v58, v[34:35]
	v_lshrrev_b32_e32 v61, 3, v37
	v_sub_u32_e32 v59, 29, v62
	v_and_b32_e32 v58, 7, v58
	v_cmp_gt_u32_e32 vcc, 8, v37
	v_cndmask_b32_e32 v37, v61, v59, vcc
	v_cndmask_b32_e32 v58, v60, v58, vcc
	v_lshlrev_b32_e32 v34, 24, v34
	v_bfrev_b32_e32 v59, 60
	v_lshlrev_b32_e32 v58, 20, v58
	v_and_b32_e32 v34, 0x80000000, v34
	v_lshl_add_u32 v37, v37, 23, v59
	v_or3_b32 v34, v34, v37, v58
	v_lshrrev_b32_e32 v58, 16, v34
.LBB869_107:
	s_or_b64 exec, exec, s[10:11]
.LBB869_108:
	s_or_b64 exec, exec, s[8:9]
.LBB869_109:
	s_or_b64 exec, exec, s[2:3]
	s_mov_b32 s2, 0x5040100
	v_perm_b32 v61, v56, v54, s2
	v_perm_b32 v60, v35, v52, s2
	;; [unrolled: 1-line block ×4, first 2 shown]
	v_cmp_ne_u16_sdwa s[8:9], v38, v53 src0_sel:BYTE_0 src1_sel:DWORD
	v_mfma_f32_16x16x16bf16_1k v[42:45], v[60:61], v[18:19], v[42:45]
	v_mfma_f32_16x16x16bf16_1k v[34:37], v[34:35], v[20:21], v[42:45]
	s_and_saveexec_b64 s[2:3], s[8:9]
	s_cbranch_execz .LBB869_115
; %bb.110:
	s_movk_i32 s8, 0x80
	v_cmp_ne_u16_sdwa s[10:11], v38, s8 src0_sel:BYTE_0 src1_sel:DWORD
	v_mov_b32_e32 v53, 0xffff8000
	s_and_saveexec_b64 s[8:9], s[10:11]
	s_cbranch_execz .LBB869_114
; %bb.111:
	s_movk_i32 s10, 0x7f
	s_nop 1
	v_and_b32_e32 v42, 0x7f, v38
	v_cmp_ne_u32_e32 vcc, s10, v42
	v_mov_b32_e32 v53, 0x7f80
	s_and_saveexec_b64 s[10:11], vcc
	s_cbranch_execz .LBB869_113
; %bb.112:
	v_and_b32_e32 v43, 7, v38
	v_ffbh_u32_e32 v44, v43
	v_min_u32_e32 v53, 32, v44
	v_subrev_u32_e32 v44, 28, v53
	v_lshlrev_b64 v[44:45], v44, v[38:39]
	v_lshrrev_b32_e32 v52, 3, v42
	v_sub_u32_e32 v45, 29, v53
	v_and_b32_e32 v44, 7, v44
	v_cmp_gt_u32_e32 vcc, 8, v42
	v_cndmask_b32_e32 v42, v52, v45, vcc
	v_cndmask_b32_e32 v43, v43, v44, vcc
	v_lshlrev_b32_e32 v44, 24, v38
	v_bfrev_b32_e32 v45, 60
	v_lshlrev_b32_e32 v43, 20, v43
	v_and_b32_e32 v44, 0x80000000, v44
	v_lshl_add_u32 v42, v42, 23, v45
	v_or3_b32 v42, v44, v42, v43
	v_lshrrev_b32_e32 v53, 16, v42
.LBB869_113:
	s_or_b64 exec, exec, s[10:11]
.LBB869_114:
	s_or_b64 exec, exec, s[8:9]
.LBB869_115:
	s_or_b64 exec, exec, s[2:3]
	s_nop 6
	v_lshrrev_b16_e32 v42, 8, v38
	v_cmp_ne_u16_e32 vcc, 0, v42
	v_mov_b32_e32 v44, 0
	v_mov_b32_e32 v43, 0
	s_and_saveexec_b64 s[2:3], vcc
	s_cbranch_execz .LBB869_121
; %bb.116:
	s_movk_i32 s8, 0x80
	v_cmp_ne_u16_e32 vcc, s8, v42
	v_mov_b32_e32 v43, 0xffff8000
	s_and_saveexec_b64 s[8:9], vcc
	s_cbranch_execz .LBB869_120
; %bb.117:
	s_movk_i32 s10, 0x7f
	v_and_b32_e32 v45, 0x7f, v42
	v_cmp_ne_u32_e32 vcc, s10, v45
	v_mov_b32_e32 v43, 0x7f80
	s_and_saveexec_b64 s[10:11], vcc
	s_cbranch_execz .LBB869_119
; %bb.118:
	v_and_b32_e32 v52, 7, v42
	v_ffbh_u32_e32 v43, v52
	v_min_u32_e32 v55, 32, v43
	v_subrev_u32_e32 v43, 28, v55
	v_lshlrev_b64 v[42:43], v43, v[42:43]
	v_lshrrev_b32_e32 v54, 3, v45
	v_sub_u32_e32 v43, 29, v55
	v_and_b32_e32 v42, 7, v42
	v_cmp_gt_u32_e32 vcc, 8, v45
	v_cndmask_b32_e32 v43, v54, v43, vcc
	v_cndmask_b32_e32 v42, v52, v42, vcc
	v_lshlrev_b32_e32 v45, 16, v38
	v_bfrev_b32_e32 v52, 60
	v_lshlrev_b32_e32 v42, 20, v42
	v_and_b32_e32 v45, 0x80000000, v45
	v_lshl_add_u32 v43, v43, 23, v52
	v_or3_b32 v42, v45, v43, v42
	v_lshrrev_b32_e32 v43, 16, v42
.LBB869_119:
	s_or_b64 exec, exec, s[10:11]
.LBB869_120:
	s_or_b64 exec, exec, s[8:9]
.LBB869_121:
	s_or_b64 exec, exec, s[2:3]
	s_movk_i32 s2, 0xff
	v_and_b32_sdwa v45, v38, s2 dst_sel:DWORD dst_unused:UNUSED_PAD src0_sel:WORD_1 src1_sel:DWORD
	v_lshrrev_b32_e32 v42, 16, v38
	v_cmp_ne_u16_e32 vcc, 0, v45
	s_and_saveexec_b64 s[2:3], vcc
	s_cbranch_execz .LBB869_127
; %bb.122:
	s_movk_i32 s8, 0x80
	v_cmp_ne_u16_e32 vcc, s8, v45
	v_mov_b32_e32 v44, 0xffff8000
	s_and_saveexec_b64 s[8:9], vcc
	s_cbranch_execz .LBB869_126
; %bb.123:
	v_bfe_u32 v45, v38, 16, 7
	s_movk_i32 s10, 0x7f
	v_cmp_ne_u32_e32 vcc, s10, v45
	v_mov_b32_e32 v44, 0x7f80
	s_and_saveexec_b64 s[10:11], vcc
	s_cbranch_execz .LBB869_125
; %bb.124:
	v_and_b32_e32 v44, 7, v42
	v_ffbh_u32_e32 v54, v44
	v_min_u32_e32 v56, 32, v54
	v_subrev_u32_e32 v54, 28, v56
	v_lshlrev_b64 v[54:55], v54, v[42:43]
	v_lshrrev_b32_e32 v52, 3, v45
	v_sub_u32_e32 v42, 29, v56
	v_and_b32_e32 v54, 7, v54
	v_cmp_gt_u32_e32 vcc, 8, v45
	v_mov_b32_e32 v45, 24
	v_cndmask_b32_e32 v42, v52, v42, vcc
	v_cndmask_b32_e32 v44, v44, v54, vcc
	v_lshlrev_b32_sdwa v45, v45, v38 dst_sel:DWORD dst_unused:UNUSED_PAD src0_sel:DWORD src1_sel:WORD_1
	v_bfrev_b32_e32 v52, 60
	v_lshlrev_b32_e32 v44, 20, v44
	v_and_b32_e32 v45, 0x80000000, v45
	v_lshl_add_u32 v42, v42, 23, v52
	v_or3_b32 v42, v45, v42, v44
	v_lshrrev_b32_e32 v44, 16, v42
.LBB869_125:
	s_or_b64 exec, exec, s[10:11]
.LBB869_126:
	s_or_b64 exec, exec, s[8:9]
.LBB869_127:
	s_or_b64 exec, exec, s[2:3]
	s_mov_b32 s2, 0xffffff
	v_cmp_lt_u32_e32 vcc, s2, v38
	v_mov_b32_e32 v45, 0
	v_mov_b32_e32 v54, 0
	s_and_saveexec_b64 s[2:3], vcc
	s_cbranch_execz .LBB869_133
; %bb.128:
	v_lshrrev_b32_e32 v42, 24, v38
	s_movk_i32 s8, 0x80
	v_cmp_ne_u32_e32 vcc, s8, v42
	v_mov_b32_e32 v54, 0xffff8000
	s_and_saveexec_b64 s[8:9], vcc
	s_cbranch_execz .LBB869_132
; %bb.129:
	v_bfe_u32 v38, v38, 24, 7
	s_movk_i32 s10, 0x7f
	v_cmp_ne_u32_e32 vcc, s10, v38
	v_mov_b32_e32 v54, 0x7f80
	s_and_saveexec_b64 s[10:11], vcc
	s_cbranch_execz .LBB869_131
; %bb.130:
	v_and_b32_e32 v52, 7, v42
	v_ffbh_u32_e32 v54, v52
	v_min_u32_e32 v57, 32, v54
	v_subrev_u32_e32 v54, 28, v57
	v_lshlrev_b64 v[54:55], v54, v[42:43]
	v_lshrrev_b32_e32 v56, 3, v38
	v_sub_u32_e32 v55, 29, v57
	v_and_b32_e32 v54, 7, v54
	v_cmp_gt_u32_e32 vcc, 8, v38
	v_cndmask_b32_e32 v38, v56, v55, vcc
	v_cndmask_b32_e32 v52, v52, v54, vcc
	v_lshlrev_b32_e32 v42, 24, v42
	v_bfrev_b32_e32 v54, 60
	v_lshlrev_b32_e32 v52, 20, v52
	v_and_b32_e32 v42, 0x80000000, v42
	v_lshl_add_u32 v38, v38, 23, v54
	v_or3_b32 v38, v42, v38, v52
	v_lshrrev_b32_e32 v54, 16, v38
.LBB869_131:
	s_or_b64 exec, exec, s[10:11]
.LBB869_132:
	s_or_b64 exec, exec, s[8:9]
.LBB869_133:
	s_or_b64 exec, exec, s[2:3]
	v_cmp_ne_u16_sdwa s[8:9], v39, v45 src0_sel:BYTE_0 src1_sel:DWORD
	s_and_saveexec_b64 s[2:3], s[8:9]
	s_cbranch_execz .LBB869_139
; %bb.134:
	s_movk_i32 s8, 0x80
	v_cmp_ne_u16_sdwa s[10:11], v39, s8 src0_sel:BYTE_0 src1_sel:DWORD
	v_mov_b32_e32 v45, 0xffff8000
	s_and_saveexec_b64 s[8:9], s[10:11]
	s_cbranch_execz .LBB869_138
; %bb.135:
	s_movk_i32 s10, 0x7f
	v_and_b32_e32 v38, 0x7f, v39
	v_cmp_ne_u32_e32 vcc, s10, v38
	v_mov_b32_e32 v45, 0x7f80
	s_and_saveexec_b64 s[10:11], vcc
	s_cbranch_execz .LBB869_137
; %bb.136:
	v_and_b32_e32 v45, 7, v39
	v_ffbh_u32_e32 v55, v45
	v_min_u32_e32 v55, 32, v55
	v_mov_b32_e32 v42, v39
	v_subrev_u32_e32 v56, 28, v55
	v_lshlrev_b64 v[56:57], v56, v[42:43]
	v_lshrrev_b32_e32 v52, 3, v38
	v_sub_u32_e32 v42, 29, v55
	v_and_b32_e32 v55, 7, v56
	v_cmp_gt_u32_e32 vcc, 8, v38
	v_cndmask_b32_e32 v38, v52, v42, vcc
	v_cndmask_b32_e32 v42, v45, v55, vcc
	v_lshlrev_b32_e32 v45, 24, v39
	v_bfrev_b32_e32 v52, 60
	v_lshlrev_b32_e32 v42, 20, v42
	v_and_b32_e32 v45, 0x80000000, v45
	v_lshl_add_u32 v38, v38, 23, v52
	v_or3_b32 v38, v45, v38, v42
	v_lshrrev_b32_e32 v45, 16, v38
.LBB869_137:
	s_or_b64 exec, exec, s[10:11]
.LBB869_138:
	s_or_b64 exec, exec, s[8:9]
.LBB869_139:
	s_or_b64 exec, exec, s[2:3]
	v_lshrrev_b16_e32 v38, 8, v39
	v_cmp_ne_u16_e32 vcc, 0, v38
	v_mov_b32_e32 v55, 0
	v_mov_b32_e32 v42, 0
	s_and_saveexec_b64 s[2:3], vcc
	s_cbranch_execz .LBB869_145
; %bb.140:
	s_movk_i32 s8, 0x80
	v_cmp_ne_u16_e32 vcc, s8, v38
	v_mov_b32_e32 v42, 0xffff8000
	s_and_saveexec_b64 s[8:9], vcc
	s_cbranch_execz .LBB869_144
; %bb.141:
	s_movk_i32 s10, 0x7f
	v_and_b32_e32 v52, 0x7f, v38
	v_cmp_ne_u32_e32 vcc, s10, v52
	v_mov_b32_e32 v42, 0x7f80
	s_and_saveexec_b64 s[10:11], vcc
	s_cbranch_execz .LBB869_143
; %bb.142:
	v_and_b32_e32 v42, 7, v38
	v_ffbh_u32_e32 v56, v42
	v_min_u32_e32 v59, 32, v56
	v_subrev_u32_e32 v56, 28, v59
	v_lshlrev_b64 v[56:57], v56, v[38:39]
	v_lshrrev_b32_e32 v58, 3, v52
	v_sub_u32_e32 v38, 29, v59
	v_and_b32_e32 v56, 7, v56
	v_cmp_gt_u32_e32 vcc, 8, v52
	v_cndmask_b32_e32 v38, v58, v38, vcc
	v_cndmask_b32_e32 v42, v42, v56, vcc
	v_lshlrev_b32_e32 v52, 16, v39
	v_bfrev_b32_e32 v56, 60
	v_lshlrev_b32_e32 v42, 20, v42
	v_and_b32_e32 v52, 0x80000000, v52
	v_lshl_add_u32 v38, v38, 23, v56
	v_or3_b32 v38, v52, v38, v42
	v_lshrrev_b32_e32 v42, 16, v38
.LBB869_143:
	s_or_b64 exec, exec, s[10:11]
.LBB869_144:
	s_or_b64 exec, exec, s[8:9]
.LBB869_145:
	s_or_b64 exec, exec, s[2:3]
	s_movk_i32 s2, 0xff
	v_and_b32_sdwa v52, v39, s2 dst_sel:DWORD dst_unused:UNUSED_PAD src0_sel:WORD_1 src1_sel:DWORD
	v_lshrrev_b32_e32 v38, 16, v39
	v_cmp_ne_u16_e32 vcc, 0, v52
	s_and_saveexec_b64 s[2:3], vcc
	s_cbranch_execz .LBB869_151
; %bb.146:
	s_movk_i32 s8, 0x80
	v_cmp_ne_u16_e32 vcc, s8, v52
	v_mov_b32_e32 v55, 0xffff8000
	s_and_saveexec_b64 s[8:9], vcc
	s_cbranch_execz .LBB869_150
; %bb.147:
	v_bfe_u32 v52, v39, 16, 7
	s_movk_i32 s10, 0x7f
	v_cmp_ne_u32_e32 vcc, s10, v52
	v_mov_b32_e32 v55, 0x7f80
	s_and_saveexec_b64 s[10:11], vcc
	s_cbranch_execz .LBB869_149
; %bb.148:
	v_and_b32_e32 v55, 7, v38
	v_ffbh_u32_e32 v56, v55
	v_min_u32_e32 v59, 32, v56
	v_subrev_u32_e32 v56, 28, v59
	v_lshlrev_b64 v[56:57], v56, v[38:39]
	v_and_b32_e32 v56, 7, v56
	v_cmp_gt_u32_e32 vcc, 8, v52
	v_lshrrev_b32_e32 v58, 3, v52
	v_sub_u32_e32 v38, 29, v59
	v_cndmask_b32_e32 v52, v55, v56, vcc
	v_mov_b32_e32 v55, 24
	v_cndmask_b32_e32 v38, v58, v38, vcc
	v_lshlrev_b32_sdwa v55, v55, v39 dst_sel:DWORD dst_unused:UNUSED_PAD src0_sel:DWORD src1_sel:WORD_1
	v_bfrev_b32_e32 v56, 60
	v_lshlrev_b32_e32 v52, 20, v52
	v_and_b32_e32 v55, 0x80000000, v55
	v_lshl_add_u32 v38, v38, 23, v56
	v_or3_b32 v38, v55, v38, v52
	v_lshrrev_b32_e32 v55, 16, v38
.LBB869_149:
	s_or_b64 exec, exec, s[10:11]
.LBB869_150:
	s_or_b64 exec, exec, s[8:9]
.LBB869_151:
	s_or_b64 exec, exec, s[2:3]
	s_mov_b32 s2, 0xffffff
	v_cmp_lt_u32_e32 vcc, s2, v39
	v_mov_b32_e32 v52, 0
	v_mov_b32_e32 v56, 0
	s_and_saveexec_b64 s[2:3], vcc
	s_cbranch_execz .LBB869_157
; %bb.152:
	v_lshrrev_b32_e32 v38, 24, v39
	s_movk_i32 s8, 0x80
	v_cmp_ne_u32_e32 vcc, s8, v38
	v_mov_b32_e32 v56, 0xffff8000
	s_and_saveexec_b64 s[8:9], vcc
	s_cbranch_execz .LBB869_156
; %bb.153:
	v_bfe_u32 v39, v39, 24, 7
	s_movk_i32 s10, 0x7f
	v_cmp_ne_u32_e32 vcc, s10, v39
	v_mov_b32_e32 v56, 0x7f80
	s_and_saveexec_b64 s[10:11], vcc
	s_cbranch_execz .LBB869_155
; %bb.154:
	v_and_b32_e32 v58, 7, v38
	v_ffbh_u32_e32 v56, v58
	v_min_u32_e32 v60, 32, v56
	v_subrev_u32_e32 v56, 28, v60
	v_lshlrev_b64 v[56:57], v56, v[38:39]
	v_lshrrev_b32_e32 v59, 3, v39
	v_sub_u32_e32 v57, 29, v60
	v_and_b32_e32 v56, 7, v56
	v_cmp_gt_u32_e32 vcc, 8, v39
	v_cndmask_b32_e32 v39, v59, v57, vcc
	v_cndmask_b32_e32 v56, v58, v56, vcc
	v_lshlrev_b32_e32 v38, 24, v38
	v_bfrev_b32_e32 v57, 60
	v_lshlrev_b32_e32 v56, 20, v56
	v_and_b32_e32 v38, 0x80000000, v38
	v_lshl_add_u32 v39, v39, 23, v57
	v_or3_b32 v38, v38, v39, v56
	v_lshrrev_b32_e32 v56, 16, v38
.LBB869_155:
	s_or_b64 exec, exec, s[10:11]
.LBB869_156:
	s_or_b64 exec, exec, s[8:9]
.LBB869_157:
	s_or_b64 exec, exec, s[2:3]
	s_mov_b32 s2, 0x5040100
	v_perm_b32 v39, v54, v44, s2
	v_perm_b32 v38, v43, v53, s2
	v_cmp_ne_u16_sdwa s[8:9], v40, v52 src0_sel:BYTE_0 src1_sel:DWORD
	s_nop 0
	v_mfma_f32_16x16x16bf16_1k v[58:61], v[38:39], v[26:27], 0
	v_perm_b32 v39, v56, v55, s2
	v_perm_b32 v38, v42, v45, s2
	s_nop 1
	v_mfma_f32_16x16x16bf16_1k v[42:45], v[38:39], v[28:29], v[58:61]
	s_and_saveexec_b64 s[2:3], s[8:9]
	s_cbranch_execz .LBB869_163
; %bb.158:
	s_movk_i32 s8, 0x80
	v_cmp_ne_u16_sdwa s[10:11], v40, s8 src0_sel:BYTE_0 src1_sel:DWORD
	v_mov_b32_e32 v52, 0xffff8000
	s_and_saveexec_b64 s[8:9], s[10:11]
	s_cbranch_execz .LBB869_162
; %bb.159:
	s_movk_i32 s10, 0x7f
	v_and_b32_e32 v38, 0x7f, v40
	v_cmp_ne_u32_e32 vcc, s10, v38
	v_mov_b32_e32 v52, 0x7f80
	s_and_saveexec_b64 s[10:11], vcc
	s_cbranch_execz .LBB869_161
; %bb.160:
	v_and_b32_e32 v39, 7, v40
	v_ffbh_u32_e32 v52, v39
	v_min_u32_e32 v55, 32, v52
	v_subrev_u32_e32 v52, 28, v55
	v_lshlrev_b64 v[52:53], v52, v[40:41]
	v_lshrrev_b32_e32 v54, 3, v38
	v_sub_u32_e32 v53, 29, v55
	v_and_b32_e32 v52, 7, v52
	v_cmp_gt_u32_e32 vcc, 8, v38
	v_cndmask_b32_e32 v38, v54, v53, vcc
	v_cndmask_b32_e32 v39, v39, v52, vcc
	v_lshlrev_b32_e32 v52, 24, v40
	v_bfrev_b32_e32 v53, 60
	v_lshlrev_b32_e32 v39, 20, v39
	v_and_b32_e32 v52, 0x80000000, v52
	v_lshl_add_u32 v38, v38, 23, v53
	v_or3_b32 v38, v52, v38, v39
	v_lshrrev_b32_e32 v52, 16, v38
.LBB869_161:
	s_or_b64 exec, exec, s[10:11]
.LBB869_162:
	s_or_b64 exec, exec, s[8:9]
.LBB869_163:
	s_or_b64 exec, exec, s[2:3]
	v_lshrrev_b16_e32 v38, 8, v40
	v_cmp_ne_u16_e32 vcc, 0, v38
	v_mov_b32_e32 v54, 0
	v_mov_b32_e32 v39, 0
	s_and_saveexec_b64 s[2:3], vcc
	s_cbranch_execz .LBB869_169
; %bb.164:
	s_movk_i32 s8, 0x80
	v_cmp_ne_u16_e32 vcc, s8, v38
	v_mov_b32_e32 v39, 0xffff8000
	s_and_saveexec_b64 s[8:9], vcc
	s_cbranch_execz .LBB869_168
; %bb.165:
	s_movk_i32 s10, 0x7f
	v_and_b32_e32 v53, 0x7f, v38
	v_cmp_ne_u32_e32 vcc, s10, v53
	v_mov_b32_e32 v39, 0x7f80
	s_and_saveexec_b64 s[10:11], vcc
	s_cbranch_execz .LBB869_167
; %bb.166:
	v_and_b32_e32 v55, 7, v38
	v_ffbh_u32_e32 v39, v55
	v_min_u32_e32 v57, 32, v39
	v_subrev_u32_e32 v39, 28, v57
	v_lshlrev_b64 v[38:39], v39, v[38:39]
	v_lshrrev_b32_e32 v56, 3, v53
	v_sub_u32_e32 v39, 29, v57
	v_and_b32_e32 v38, 7, v38
	v_cmp_gt_u32_e32 vcc, 8, v53
	v_cndmask_b32_e32 v39, v56, v39, vcc
	v_cndmask_b32_e32 v38, v55, v38, vcc
	v_lshlrev_b32_e32 v53, 16, v40
	v_bfrev_b32_e32 v55, 60
	v_lshlrev_b32_e32 v38, 20, v38
	v_and_b32_e32 v53, 0x80000000, v53
	v_lshl_add_u32 v39, v39, 23, v55
	v_or3_b32 v38, v53, v39, v38
	v_lshrrev_b32_e32 v39, 16, v38
.LBB869_167:
	s_or_b64 exec, exec, s[10:11]
.LBB869_168:
	s_or_b64 exec, exec, s[8:9]
.LBB869_169:
	s_or_b64 exec, exec, s[2:3]
	s_movk_i32 s2, 0xff
	v_and_b32_sdwa v53, v40, s2 dst_sel:DWORD dst_unused:UNUSED_PAD src0_sel:WORD_1 src1_sel:DWORD
	v_lshrrev_b32_e32 v38, 16, v40
	v_cmp_ne_u16_e32 vcc, 0, v53
	s_and_saveexec_b64 s[2:3], vcc
	s_cbranch_execz .LBB869_175
; %bb.170:
	s_movk_i32 s8, 0x80
	v_cmp_ne_u16_e32 vcc, s8, v53
	v_mov_b32_e32 v54, 0xffff8000
	s_and_saveexec_b64 s[8:9], vcc
	s_cbranch_execz .LBB869_174
; %bb.171:
	v_bfe_u32 v53, v40, 16, 7
	s_movk_i32 s10, 0x7f
	v_cmp_ne_u32_e32 vcc, s10, v53
	v_mov_b32_e32 v54, 0x7f80
	s_and_saveexec_b64 s[10:11], vcc
	s_cbranch_execz .LBB869_173
; %bb.172:
	v_and_b32_e32 v56, 7, v38
	v_ffbh_u32_e32 v54, v56
	v_min_u32_e32 v58, 32, v54
	v_subrev_u32_e32 v54, 28, v58
	v_lshlrev_b64 v[54:55], v54, v[38:39]
	v_and_b32_e32 v54, 7, v54
	v_cmp_gt_u32_e32 vcc, 8, v53
	v_lshrrev_b32_e32 v57, 3, v53
	v_sub_u32_e32 v38, 29, v58
	v_cndmask_b32_e32 v53, v56, v54, vcc
	v_mov_b32_e32 v54, 24
	v_cndmask_b32_e32 v38, v57, v38, vcc
	v_lshlrev_b32_sdwa v54, v54, v40 dst_sel:DWORD dst_unused:UNUSED_PAD src0_sel:DWORD src1_sel:WORD_1
	v_bfrev_b32_e32 v55, 60
	v_lshlrev_b32_e32 v53, 20, v53
	v_and_b32_e32 v54, 0x80000000, v54
	v_lshl_add_u32 v38, v38, 23, v55
	v_or3_b32 v38, v54, v38, v53
	v_lshrrev_b32_e32 v54, 16, v38
.LBB869_173:
	s_or_b64 exec, exec, s[10:11]
.LBB869_174:
	s_or_b64 exec, exec, s[8:9]
.LBB869_175:
	s_or_b64 exec, exec, s[2:3]
	s_mov_b32 s2, 0xffffff
	v_cmp_lt_u32_e32 vcc, s2, v40
	v_mov_b32_e32 v55, 0
	v_mov_b32_e32 v56, 0
	s_and_saveexec_b64 s[2:3], vcc
	s_cbranch_execz .LBB869_181
; %bb.176:
	v_lshrrev_b32_e32 v38, 24, v40
	s_movk_i32 s8, 0x80
	v_cmp_ne_u32_e32 vcc, s8, v38
	v_mov_b32_e32 v56, 0xffff8000
	s_and_saveexec_b64 s[8:9], vcc
	s_cbranch_execz .LBB869_180
; %bb.177:
	v_bfe_u32 v40, v40, 24, 7
	s_movk_i32 s10, 0x7f
	v_cmp_ne_u32_e32 vcc, s10, v40
	v_mov_b32_e32 v56, 0x7f80
	s_and_saveexec_b64 s[10:11], vcc
	s_cbranch_execz .LBB869_179
; %bb.178:
	v_and_b32_e32 v53, 7, v38
	v_ffbh_u32_e32 v56, v53
	v_min_u32_e32 v59, 32, v56
	v_subrev_u32_e32 v56, 28, v59
	v_lshlrev_b64 v[56:57], v56, v[38:39]
	v_lshrrev_b32_e32 v58, 3, v40
	v_sub_u32_e32 v57, 29, v59
	v_and_b32_e32 v56, 7, v56
	v_cmp_gt_u32_e32 vcc, 8, v40
	v_cndmask_b32_e32 v40, v58, v57, vcc
	v_cndmask_b32_e32 v53, v53, v56, vcc
	v_lshlrev_b32_e32 v38, 24, v38
	v_bfrev_b32_e32 v56, 60
	v_lshlrev_b32_e32 v53, 20, v53
	v_and_b32_e32 v38, 0x80000000, v38
	v_lshl_add_u32 v40, v40, 23, v56
	v_or3_b32 v38, v38, v40, v53
	v_lshrrev_b32_e32 v56, 16, v38
.LBB869_179:
	s_or_b64 exec, exec, s[10:11]
.LBB869_180:
	s_or_b64 exec, exec, s[8:9]
.LBB869_181:
	s_or_b64 exec, exec, s[2:3]
	v_cmp_ne_u16_sdwa s[8:9], v41, v55 src0_sel:BYTE_0 src1_sel:DWORD
	s_and_saveexec_b64 s[2:3], s[8:9]
	s_cbranch_execz .LBB869_187
; %bb.182:
	s_movk_i32 s8, 0x80
	v_cmp_ne_u16_sdwa s[10:11], v41, s8 src0_sel:BYTE_0 src1_sel:DWORD
	v_mov_b32_e32 v55, 0xffff8000
	s_and_saveexec_b64 s[8:9], s[10:11]
	s_cbranch_execz .LBB869_186
; %bb.183:
	s_movk_i32 s10, 0x7f
	v_and_b32_e32 v38, 0x7f, v41
	v_cmp_ne_u32_e32 vcc, s10, v38
	v_mov_b32_e32 v55, 0x7f80
	s_and_saveexec_b64 s[10:11], vcc
	s_cbranch_execz .LBB869_185
; %bb.184:
	v_and_b32_e32 v53, 7, v41
	v_ffbh_u32_e32 v57, v53
	v_min_u32_e32 v57, 32, v57
	v_mov_b32_e32 v40, v41
	v_subrev_u32_e32 v58, 28, v57
	v_lshlrev_b64 v[58:59], v58, v[40:41]
	v_lshrrev_b32_e32 v55, 3, v38
	v_sub_u32_e32 v40, 29, v57
	v_and_b32_e32 v57, 7, v58
	v_cmp_gt_u32_e32 vcc, 8, v38
	v_cndmask_b32_e32 v38, v55, v40, vcc
	v_cndmask_b32_e32 v40, v53, v57, vcc
	v_lshlrev_b32_e32 v53, 24, v41
	v_bfrev_b32_e32 v55, 60
	v_lshlrev_b32_e32 v40, 20, v40
	v_and_b32_e32 v53, 0x80000000, v53
	v_lshl_add_u32 v38, v38, 23, v55
	v_or3_b32 v38, v53, v38, v40
	v_lshrrev_b32_e32 v55, 16, v38
.LBB869_185:
	s_or_b64 exec, exec, s[10:11]
.LBB869_186:
	s_or_b64 exec, exec, s[8:9]
.LBB869_187:
	s_or_b64 exec, exec, s[2:3]
	v_lshrrev_b16_e32 v38, 8, v41
	v_cmp_ne_u16_e32 vcc, 0, v38
	v_mov_b32_e32 v57, 0
	v_mov_b32_e32 v40, 0
	s_and_saveexec_b64 s[2:3], vcc
	s_cbranch_execz .LBB869_193
; %bb.188:
	s_movk_i32 s8, 0x80
	v_cmp_ne_u16_e32 vcc, s8, v38
	v_mov_b32_e32 v40, 0xffff8000
	s_and_saveexec_b64 s[8:9], vcc
	s_cbranch_execz .LBB869_192
; %bb.189:
	s_movk_i32 s10, 0x7f
	v_and_b32_e32 v53, 0x7f, v38
	v_cmp_ne_u32_e32 vcc, s10, v53
	v_mov_b32_e32 v40, 0x7f80
	s_and_saveexec_b64 s[10:11], vcc
	s_cbranch_execz .LBB869_191
; %bb.190:
	v_and_b32_e32 v40, 7, v38
	v_ffbh_u32_e32 v58, v40
	v_min_u32_e32 v61, 32, v58
	v_subrev_u32_e32 v58, 28, v61
	v_lshlrev_b64 v[58:59], v58, v[38:39]
	v_lshrrev_b32_e32 v60, 3, v53
	v_sub_u32_e32 v38, 29, v61
	v_and_b32_e32 v58, 7, v58
	v_cmp_gt_u32_e32 vcc, 8, v53
	v_cndmask_b32_e32 v38, v60, v38, vcc
	v_cndmask_b32_e32 v40, v40, v58, vcc
	v_lshlrev_b32_e32 v53, 16, v41
	v_bfrev_b32_e32 v58, 60
	v_lshlrev_b32_e32 v40, 20, v40
	v_and_b32_e32 v53, 0x80000000, v53
	v_lshl_add_u32 v38, v38, 23, v58
	v_or3_b32 v38, v53, v38, v40
	v_lshrrev_b32_e32 v40, 16, v38
.LBB869_191:
	s_or_b64 exec, exec, s[10:11]
.LBB869_192:
	s_or_b64 exec, exec, s[8:9]
.LBB869_193:
	s_or_b64 exec, exec, s[2:3]
	s_movk_i32 s2, 0xff
	v_and_b32_sdwa v53, v41, s2 dst_sel:DWORD dst_unused:UNUSED_PAD src0_sel:WORD_1 src1_sel:DWORD
	v_lshrrev_b32_e32 v38, 16, v41
	v_cmp_ne_u16_e32 vcc, 0, v53
	s_and_saveexec_b64 s[2:3], vcc
	s_cbranch_execz .LBB869_199
; %bb.194:
	s_movk_i32 s8, 0x80
	v_cmp_ne_u16_e32 vcc, s8, v53
	v_mov_b32_e32 v57, 0xffff8000
	s_and_saveexec_b64 s[8:9], vcc
	s_cbranch_execz .LBB869_198
; %bb.195:
	v_bfe_u32 v53, v41, 16, 7
	s_movk_i32 s10, 0x7f
	v_cmp_ne_u32_e32 vcc, s10, v53
	v_mov_b32_e32 v57, 0x7f80
	s_and_saveexec_b64 s[10:11], vcc
	s_cbranch_execz .LBB869_197
; %bb.196:
	v_and_b32_e32 v57, 7, v38
	v_ffbh_u32_e32 v58, v57
	v_min_u32_e32 v61, 32, v58
	v_subrev_u32_e32 v58, 28, v61
	v_lshlrev_b64 v[58:59], v58, v[38:39]
	v_and_b32_e32 v58, 7, v58
	v_cmp_gt_u32_e32 vcc, 8, v53
	v_lshrrev_b32_e32 v60, 3, v53
	v_sub_u32_e32 v38, 29, v61
	v_cndmask_b32_e32 v53, v57, v58, vcc
	v_mov_b32_e32 v57, 24
	v_cndmask_b32_e32 v38, v60, v38, vcc
	v_lshlrev_b32_sdwa v57, v57, v41 dst_sel:DWORD dst_unused:UNUSED_PAD src0_sel:DWORD src1_sel:WORD_1
	v_bfrev_b32_e32 v58, 60
	v_lshlrev_b32_e32 v53, 20, v53
	v_and_b32_e32 v57, 0x80000000, v57
	v_lshl_add_u32 v38, v38, 23, v58
	v_or3_b32 v38, v57, v38, v53
	v_lshrrev_b32_e32 v57, 16, v38
.LBB869_197:
	s_or_b64 exec, exec, s[10:11]
.LBB869_198:
	s_or_b64 exec, exec, s[8:9]
.LBB869_199:
	s_or_b64 exec, exec, s[2:3]
	s_mov_b32 s2, 0xffffff
	v_cmp_lt_u32_e32 vcc, s2, v41
	v_mov_b32_e32 v53, 0
	v_mov_b32_e32 v58, 0
	s_and_saveexec_b64 s[2:3], vcc
	s_cbranch_execz .LBB869_205
; %bb.200:
	v_lshrrev_b32_e32 v38, 24, v41
	s_movk_i32 s8, 0x80
	v_cmp_ne_u32_e32 vcc, s8, v38
	v_mov_b32_e32 v58, 0xffff8000
	s_and_saveexec_b64 s[8:9], vcc
	s_cbranch_execz .LBB869_204
; %bb.201:
	v_bfe_u32 v41, v41, 24, 7
	s_movk_i32 s10, 0x7f
	v_cmp_ne_u32_e32 vcc, s10, v41
	v_mov_b32_e32 v58, 0x7f80
	s_and_saveexec_b64 s[10:11], vcc
	s_cbranch_execz .LBB869_203
; %bb.202:
	v_and_b32_e32 v60, 7, v38
	v_ffbh_u32_e32 v58, v60
	v_min_u32_e32 v62, 32, v58
	v_subrev_u32_e32 v58, 28, v62
	v_lshlrev_b64 v[58:59], v58, v[38:39]
	v_lshrrev_b32_e32 v61, 3, v41
	v_sub_u32_e32 v59, 29, v62
	v_and_b32_e32 v58, 7, v58
	v_cmp_gt_u32_e32 vcc, 8, v41
	v_cndmask_b32_e32 v41, v61, v59, vcc
	v_cndmask_b32_e32 v58, v60, v58, vcc
	v_lshlrev_b32_e32 v38, 24, v38
	v_bfrev_b32_e32 v59, 60
	v_lshlrev_b32_e32 v58, 20, v58
	v_and_b32_e32 v38, 0x80000000, v38
	v_lshl_add_u32 v41, v41, 23, v59
	v_or3_b32 v38, v38, v41, v58
	v_lshrrev_b32_e32 v58, 16, v38
.LBB869_203:
	s_or_b64 exec, exec, s[10:11]
.LBB869_204:
	s_or_b64 exec, exec, s[8:9]
.LBB869_205:
	s_or_b64 exec, exec, s[2:3]
	s_mov_b32 s2, 0x5040100
	v_perm_b32 v61, v56, v54, s2
	v_perm_b32 v60, v39, v52, s2
	;; [unrolled: 1-line block ×4, first 2 shown]
	v_cmp_ne_u16_sdwa s[8:9], v30, v53 src0_sel:BYTE_0 src1_sel:DWORD
	v_mfma_f32_16x16x16bf16_1k v[42:45], v[60:61], v[18:19], v[42:45]
	v_mfma_f32_16x16x16bf16_1k v[38:41], v[38:39], v[20:21], v[42:45]
	s_and_saveexec_b64 s[2:3], s[8:9]
	s_cbranch_execz .LBB869_211
; %bb.206:
	s_movk_i32 s8, 0x80
	v_cmp_ne_u16_sdwa s[10:11], v30, s8 src0_sel:BYTE_0 src1_sel:DWORD
	v_mov_b32_e32 v53, 0xffff8000
	s_and_saveexec_b64 s[8:9], s[10:11]
	s_cbranch_execz .LBB869_210
; %bb.207:
	s_movk_i32 s10, 0x7f
	s_nop 1
	v_and_b32_e32 v42, 0x7f, v30
	v_cmp_ne_u32_e32 vcc, s10, v42
	v_mov_b32_e32 v53, 0x7f80
	s_and_saveexec_b64 s[10:11], vcc
	s_cbranch_execz .LBB869_209
; %bb.208:
	v_and_b32_e32 v43, 7, v30
	v_ffbh_u32_e32 v44, v43
	v_min_u32_e32 v53, 32, v44
	v_subrev_u32_e32 v44, 28, v53
	v_lshlrev_b64 v[44:45], v44, v[30:31]
	v_lshrrev_b32_e32 v52, 3, v42
	v_sub_u32_e32 v45, 29, v53
	v_and_b32_e32 v44, 7, v44
	v_cmp_gt_u32_e32 vcc, 8, v42
	v_cndmask_b32_e32 v42, v52, v45, vcc
	v_cndmask_b32_e32 v43, v43, v44, vcc
	v_lshlrev_b32_e32 v44, 24, v30
	v_bfrev_b32_e32 v45, 60
	v_lshlrev_b32_e32 v43, 20, v43
	v_and_b32_e32 v44, 0x80000000, v44
	v_lshl_add_u32 v42, v42, 23, v45
	v_or3_b32 v42, v44, v42, v43
	v_lshrrev_b32_e32 v53, 16, v42
.LBB869_209:
	s_or_b64 exec, exec, s[10:11]
.LBB869_210:
	s_or_b64 exec, exec, s[8:9]
.LBB869_211:
	s_or_b64 exec, exec, s[2:3]
	s_nop 6
	v_lshrrev_b16_e32 v42, 8, v30
	v_cmp_ne_u16_e32 vcc, 0, v42
	v_mov_b32_e32 v44, 0
	v_mov_b32_e32 v43, 0
	s_and_saveexec_b64 s[2:3], vcc
	s_cbranch_execz .LBB869_217
; %bb.212:
	s_movk_i32 s8, 0x80
	v_cmp_ne_u16_e32 vcc, s8, v42
	v_mov_b32_e32 v43, 0xffff8000
	s_and_saveexec_b64 s[8:9], vcc
	s_cbranch_execz .LBB869_216
; %bb.213:
	s_movk_i32 s10, 0x7f
	v_and_b32_e32 v45, 0x7f, v42
	v_cmp_ne_u32_e32 vcc, s10, v45
	v_mov_b32_e32 v43, 0x7f80
	s_and_saveexec_b64 s[10:11], vcc
	s_cbranch_execz .LBB869_215
; %bb.214:
	v_and_b32_e32 v52, 7, v42
	v_ffbh_u32_e32 v43, v52
	v_min_u32_e32 v55, 32, v43
	v_subrev_u32_e32 v43, 28, v55
	v_lshlrev_b64 v[42:43], v43, v[42:43]
	v_lshrrev_b32_e32 v54, 3, v45
	v_sub_u32_e32 v43, 29, v55
	v_and_b32_e32 v42, 7, v42
	v_cmp_gt_u32_e32 vcc, 8, v45
	v_cndmask_b32_e32 v43, v54, v43, vcc
	v_cndmask_b32_e32 v42, v52, v42, vcc
	v_lshlrev_b32_e32 v45, 16, v30
	v_bfrev_b32_e32 v52, 60
	v_lshlrev_b32_e32 v42, 20, v42
	v_and_b32_e32 v45, 0x80000000, v45
	v_lshl_add_u32 v43, v43, 23, v52
	v_or3_b32 v42, v45, v43, v42
	v_lshrrev_b32_e32 v43, 16, v42
.LBB869_215:
	s_or_b64 exec, exec, s[10:11]
.LBB869_216:
	s_or_b64 exec, exec, s[8:9]
.LBB869_217:
	s_or_b64 exec, exec, s[2:3]
	s_movk_i32 s2, 0xff
	v_and_b32_sdwa v45, v30, s2 dst_sel:DWORD dst_unused:UNUSED_PAD src0_sel:WORD_1 src1_sel:DWORD
	v_lshrrev_b32_e32 v42, 16, v30
	v_cmp_ne_u16_e32 vcc, 0, v45
	s_and_saveexec_b64 s[2:3], vcc
	s_cbranch_execz .LBB869_223
; %bb.218:
	s_movk_i32 s8, 0x80
	v_cmp_ne_u16_e32 vcc, s8, v45
	v_mov_b32_e32 v44, 0xffff8000
	s_and_saveexec_b64 s[8:9], vcc
	s_cbranch_execz .LBB869_222
; %bb.219:
	v_bfe_u32 v45, v30, 16, 7
	s_movk_i32 s10, 0x7f
	v_cmp_ne_u32_e32 vcc, s10, v45
	v_mov_b32_e32 v44, 0x7f80
	s_and_saveexec_b64 s[10:11], vcc
	s_cbranch_execz .LBB869_221
; %bb.220:
	v_and_b32_e32 v44, 7, v42
	v_ffbh_u32_e32 v54, v44
	v_min_u32_e32 v56, 32, v54
	v_subrev_u32_e32 v54, 28, v56
	v_lshlrev_b64 v[54:55], v54, v[42:43]
	v_lshrrev_b32_e32 v52, 3, v45
	v_sub_u32_e32 v42, 29, v56
	v_and_b32_e32 v54, 7, v54
	v_cmp_gt_u32_e32 vcc, 8, v45
	v_mov_b32_e32 v45, 24
	v_cndmask_b32_e32 v42, v52, v42, vcc
	v_cndmask_b32_e32 v44, v44, v54, vcc
	v_lshlrev_b32_sdwa v45, v45, v30 dst_sel:DWORD dst_unused:UNUSED_PAD src0_sel:DWORD src1_sel:WORD_1
	v_bfrev_b32_e32 v52, 60
	v_lshlrev_b32_e32 v44, 20, v44
	v_and_b32_e32 v45, 0x80000000, v45
	v_lshl_add_u32 v42, v42, 23, v52
	v_or3_b32 v42, v45, v42, v44
	v_lshrrev_b32_e32 v44, 16, v42
.LBB869_221:
	s_or_b64 exec, exec, s[10:11]
.LBB869_222:
	s_or_b64 exec, exec, s[8:9]
.LBB869_223:
	s_or_b64 exec, exec, s[2:3]
	s_mov_b32 s2, 0xffffff
	v_cmp_lt_u32_e32 vcc, s2, v30
	v_mov_b32_e32 v45, 0
	v_mov_b32_e32 v54, 0
	s_and_saveexec_b64 s[2:3], vcc
	s_cbranch_execz .LBB869_229
; %bb.224:
	v_lshrrev_b32_e32 v42, 24, v30
	s_movk_i32 s8, 0x80
	v_cmp_ne_u32_e32 vcc, s8, v42
	v_mov_b32_e32 v54, 0xffff8000
	s_and_saveexec_b64 s[8:9], vcc
	s_cbranch_execz .LBB869_228
; %bb.225:
	v_bfe_u32 v30, v30, 24, 7
	s_movk_i32 s10, 0x7f
	v_cmp_ne_u32_e32 vcc, s10, v30
	v_mov_b32_e32 v54, 0x7f80
	s_and_saveexec_b64 s[10:11], vcc
	s_cbranch_execz .LBB869_227
; %bb.226:
	v_and_b32_e32 v52, 7, v42
	v_ffbh_u32_e32 v54, v52
	v_min_u32_e32 v57, 32, v54
	v_subrev_u32_e32 v54, 28, v57
	v_lshlrev_b64 v[54:55], v54, v[42:43]
	v_lshrrev_b32_e32 v56, 3, v30
	v_sub_u32_e32 v55, 29, v57
	v_and_b32_e32 v54, 7, v54
	v_cmp_gt_u32_e32 vcc, 8, v30
	v_cndmask_b32_e32 v30, v56, v55, vcc
	v_cndmask_b32_e32 v52, v52, v54, vcc
	v_lshlrev_b32_e32 v42, 24, v42
	v_bfrev_b32_e32 v54, 60
	v_lshlrev_b32_e32 v52, 20, v52
	v_and_b32_e32 v42, 0x80000000, v42
	v_lshl_add_u32 v30, v30, 23, v54
	v_or3_b32 v30, v42, v30, v52
	v_lshrrev_b32_e32 v54, 16, v30
.LBB869_227:
	s_or_b64 exec, exec, s[10:11]
.LBB869_228:
	s_or_b64 exec, exec, s[8:9]
.LBB869_229:
	s_or_b64 exec, exec, s[2:3]
	v_cmp_ne_u16_sdwa s[8:9], v31, v45 src0_sel:BYTE_0 src1_sel:DWORD
	s_and_saveexec_b64 s[2:3], s[8:9]
	s_cbranch_execz .LBB869_235
; %bb.230:
	s_movk_i32 s8, 0x80
	v_cmp_ne_u16_sdwa s[10:11], v31, s8 src0_sel:BYTE_0 src1_sel:DWORD
	v_mov_b32_e32 v45, 0xffff8000
	s_and_saveexec_b64 s[8:9], s[10:11]
	s_cbranch_execz .LBB869_234
; %bb.231:
	s_movk_i32 s10, 0x7f
	v_and_b32_e32 v30, 0x7f, v31
	v_cmp_ne_u32_e32 vcc, s10, v30
	v_mov_b32_e32 v45, 0x7f80
	s_and_saveexec_b64 s[10:11], vcc
	s_cbranch_execz .LBB869_233
; %bb.232:
	v_and_b32_e32 v45, 7, v31
	v_ffbh_u32_e32 v55, v45
	v_min_u32_e32 v55, 32, v55
	v_mov_b32_e32 v42, v31
	v_subrev_u32_e32 v56, 28, v55
	v_lshlrev_b64 v[56:57], v56, v[42:43]
	v_lshrrev_b32_e32 v52, 3, v30
	v_sub_u32_e32 v42, 29, v55
	v_and_b32_e32 v55, 7, v56
	v_cmp_gt_u32_e32 vcc, 8, v30
	v_cndmask_b32_e32 v30, v52, v42, vcc
	v_cndmask_b32_e32 v42, v45, v55, vcc
	v_lshlrev_b32_e32 v45, 24, v31
	v_bfrev_b32_e32 v52, 60
	v_lshlrev_b32_e32 v42, 20, v42
	v_and_b32_e32 v45, 0x80000000, v45
	v_lshl_add_u32 v30, v30, 23, v52
	v_or3_b32 v30, v45, v30, v42
	v_lshrrev_b32_e32 v45, 16, v30
.LBB869_233:
	s_or_b64 exec, exec, s[10:11]
.LBB869_234:
	s_or_b64 exec, exec, s[8:9]
.LBB869_235:
	s_or_b64 exec, exec, s[2:3]
	v_lshrrev_b16_e32 v30, 8, v31
	v_cmp_ne_u16_e32 vcc, 0, v30
	v_mov_b32_e32 v55, 0
	v_mov_b32_e32 v42, 0
	s_and_saveexec_b64 s[2:3], vcc
	s_cbranch_execz .LBB869_241
; %bb.236:
	s_movk_i32 s8, 0x80
	v_cmp_ne_u16_e32 vcc, s8, v30
	v_mov_b32_e32 v42, 0xffff8000
	s_and_saveexec_b64 s[8:9], vcc
	s_cbranch_execz .LBB869_240
; %bb.237:
	s_movk_i32 s10, 0x7f
	v_and_b32_e32 v52, 0x7f, v30
	v_cmp_ne_u32_e32 vcc, s10, v52
	v_mov_b32_e32 v42, 0x7f80
	s_and_saveexec_b64 s[10:11], vcc
	s_cbranch_execz .LBB869_239
; %bb.238:
	v_and_b32_e32 v42, 7, v30
	v_ffbh_u32_e32 v56, v42
	v_min_u32_e32 v59, 32, v56
	v_subrev_u32_e32 v56, 28, v59
	v_lshlrev_b64 v[56:57], v56, v[30:31]
	v_lshrrev_b32_e32 v58, 3, v52
	v_sub_u32_e32 v30, 29, v59
	v_and_b32_e32 v56, 7, v56
	v_cmp_gt_u32_e32 vcc, 8, v52
	v_cndmask_b32_e32 v30, v58, v30, vcc
	v_cndmask_b32_e32 v42, v42, v56, vcc
	v_lshlrev_b32_e32 v52, 16, v31
	v_bfrev_b32_e32 v56, 60
	v_lshlrev_b32_e32 v42, 20, v42
	v_and_b32_e32 v52, 0x80000000, v52
	v_lshl_add_u32 v30, v30, 23, v56
	v_or3_b32 v30, v52, v30, v42
	v_lshrrev_b32_e32 v42, 16, v30
.LBB869_239:
	s_or_b64 exec, exec, s[10:11]
.LBB869_240:
	s_or_b64 exec, exec, s[8:9]
.LBB869_241:
	s_or_b64 exec, exec, s[2:3]
	s_movk_i32 s2, 0xff
	v_and_b32_sdwa v52, v31, s2 dst_sel:DWORD dst_unused:UNUSED_PAD src0_sel:WORD_1 src1_sel:DWORD
	v_lshrrev_b32_e32 v30, 16, v31
	v_cmp_ne_u16_e32 vcc, 0, v52
	s_and_saveexec_b64 s[2:3], vcc
	s_cbranch_execz .LBB869_247
; %bb.242:
	s_movk_i32 s8, 0x80
	v_cmp_ne_u16_e32 vcc, s8, v52
	v_mov_b32_e32 v55, 0xffff8000
	s_and_saveexec_b64 s[8:9], vcc
	s_cbranch_execz .LBB869_246
; %bb.243:
	v_bfe_u32 v52, v31, 16, 7
	s_movk_i32 s10, 0x7f
	v_cmp_ne_u32_e32 vcc, s10, v52
	v_mov_b32_e32 v55, 0x7f80
	s_and_saveexec_b64 s[10:11], vcc
	s_cbranch_execz .LBB869_245
; %bb.244:
	v_and_b32_e32 v55, 7, v30
	v_ffbh_u32_e32 v56, v55
	v_min_u32_e32 v59, 32, v56
	v_subrev_u32_e32 v56, 28, v59
	v_lshlrev_b64 v[56:57], v56, v[30:31]
	v_and_b32_e32 v56, 7, v56
	v_cmp_gt_u32_e32 vcc, 8, v52
	v_lshrrev_b32_e32 v58, 3, v52
	v_sub_u32_e32 v30, 29, v59
	v_cndmask_b32_e32 v52, v55, v56, vcc
	v_mov_b32_e32 v55, 24
	v_cndmask_b32_e32 v30, v58, v30, vcc
	v_lshlrev_b32_sdwa v55, v55, v31 dst_sel:DWORD dst_unused:UNUSED_PAD src0_sel:DWORD src1_sel:WORD_1
	v_bfrev_b32_e32 v56, 60
	v_lshlrev_b32_e32 v52, 20, v52
	v_and_b32_e32 v55, 0x80000000, v55
	v_lshl_add_u32 v30, v30, 23, v56
	v_or3_b32 v30, v55, v30, v52
	v_lshrrev_b32_e32 v55, 16, v30
.LBB869_245:
	s_or_b64 exec, exec, s[10:11]
.LBB869_246:
	s_or_b64 exec, exec, s[8:9]
.LBB869_247:
	s_or_b64 exec, exec, s[2:3]
	s_mov_b32 s2, 0xffffff
	v_cmp_lt_u32_e32 vcc, s2, v31
	v_mov_b32_e32 v52, 0
	v_mov_b32_e32 v56, 0
	s_and_saveexec_b64 s[2:3], vcc
	s_cbranch_execz .LBB869_253
; %bb.248:
	v_lshrrev_b32_e32 v30, 24, v31
	s_movk_i32 s8, 0x80
	v_cmp_ne_u32_e32 vcc, s8, v30
	v_mov_b32_e32 v56, 0xffff8000
	s_and_saveexec_b64 s[8:9], vcc
	s_cbranch_execz .LBB869_252
; %bb.249:
	v_bfe_u32 v31, v31, 24, 7
	s_movk_i32 s10, 0x7f
	v_cmp_ne_u32_e32 vcc, s10, v31
	v_mov_b32_e32 v56, 0x7f80
	s_and_saveexec_b64 s[10:11], vcc
	s_cbranch_execz .LBB869_251
; %bb.250:
	v_and_b32_e32 v58, 7, v30
	v_ffbh_u32_e32 v56, v58
	v_min_u32_e32 v60, 32, v56
	v_subrev_u32_e32 v56, 28, v60
	v_lshlrev_b64 v[56:57], v56, v[30:31]
	v_lshrrev_b32_e32 v59, 3, v31
	v_sub_u32_e32 v57, 29, v60
	v_and_b32_e32 v56, 7, v56
	v_cmp_gt_u32_e32 vcc, 8, v31
	v_cndmask_b32_e32 v31, v59, v57, vcc
	v_cndmask_b32_e32 v56, v58, v56, vcc
	v_lshlrev_b32_e32 v30, 24, v30
	v_bfrev_b32_e32 v57, 60
	v_lshlrev_b32_e32 v56, 20, v56
	v_and_b32_e32 v30, 0x80000000, v30
	v_lshl_add_u32 v31, v31, 23, v57
	v_or3_b32 v30, v30, v31, v56
	v_lshrrev_b32_e32 v56, 16, v30
.LBB869_251:
	s_or_b64 exec, exec, s[10:11]
.LBB869_252:
	s_or_b64 exec, exec, s[8:9]
.LBB869_253:
	s_or_b64 exec, exec, s[2:3]
	s_mov_b32 s2, 0x5040100
	v_perm_b32 v31, v54, v44, s2
	v_perm_b32 v30, v43, v53, s2
	v_cmp_ne_u16_sdwa s[8:9], v32, v52 src0_sel:BYTE_0 src1_sel:DWORD
	s_nop 0
	v_mfma_f32_16x16x16bf16_1k v[58:61], v[30:31], v[26:27], 0
	v_perm_b32 v31, v56, v55, s2
	v_perm_b32 v30, v42, v45, s2
	s_nop 1
	v_mfma_f32_16x16x16bf16_1k v[42:45], v[30:31], v[28:29], v[58:61]
	s_and_saveexec_b64 s[2:3], s[8:9]
	s_cbranch_execz .LBB869_259
; %bb.254:
	s_movk_i32 s8, 0x80
	v_cmp_ne_u16_sdwa s[10:11], v32, s8 src0_sel:BYTE_0 src1_sel:DWORD
	v_mov_b32_e32 v52, 0xffff8000
	s_and_saveexec_b64 s[8:9], s[10:11]
	s_cbranch_execz .LBB869_258
; %bb.255:
	s_movk_i32 s10, 0x7f
	v_and_b32_e32 v30, 0x7f, v32
	v_cmp_ne_u32_e32 vcc, s10, v30
	v_mov_b32_e32 v52, 0x7f80
	s_and_saveexec_b64 s[10:11], vcc
	s_cbranch_execz .LBB869_257
; %bb.256:
	v_and_b32_e32 v31, 7, v32
	v_ffbh_u32_e32 v52, v31
	v_min_u32_e32 v55, 32, v52
	v_subrev_u32_e32 v52, 28, v55
	v_lshlrev_b64 v[52:53], v52, v[32:33]
	v_lshrrev_b32_e32 v54, 3, v30
	v_sub_u32_e32 v53, 29, v55
	v_and_b32_e32 v52, 7, v52
	v_cmp_gt_u32_e32 vcc, 8, v30
	v_cndmask_b32_e32 v30, v54, v53, vcc
	v_cndmask_b32_e32 v31, v31, v52, vcc
	v_lshlrev_b32_e32 v52, 24, v32
	v_bfrev_b32_e32 v53, 60
	v_lshlrev_b32_e32 v31, 20, v31
	v_and_b32_e32 v52, 0x80000000, v52
	v_lshl_add_u32 v30, v30, 23, v53
	v_or3_b32 v30, v52, v30, v31
	v_lshrrev_b32_e32 v52, 16, v30
.LBB869_257:
	s_or_b64 exec, exec, s[10:11]
.LBB869_258:
	s_or_b64 exec, exec, s[8:9]
.LBB869_259:
	s_or_b64 exec, exec, s[2:3]
	v_lshrrev_b16_e32 v30, 8, v32
	v_cmp_ne_u16_e32 vcc, 0, v30
	v_mov_b32_e32 v54, 0
	v_mov_b32_e32 v31, 0
	s_and_saveexec_b64 s[2:3], vcc
	s_cbranch_execz .LBB869_265
; %bb.260:
	s_movk_i32 s8, 0x80
	v_cmp_ne_u16_e32 vcc, s8, v30
	v_mov_b32_e32 v31, 0xffff8000
	s_and_saveexec_b64 s[8:9], vcc
	s_cbranch_execz .LBB869_264
; %bb.261:
	s_movk_i32 s10, 0x7f
	v_and_b32_e32 v53, 0x7f, v30
	v_cmp_ne_u32_e32 vcc, s10, v53
	v_mov_b32_e32 v31, 0x7f80
	s_and_saveexec_b64 s[10:11], vcc
	s_cbranch_execz .LBB869_263
; %bb.262:
	v_and_b32_e32 v55, 7, v30
	v_ffbh_u32_e32 v31, v55
	v_min_u32_e32 v57, 32, v31
	v_subrev_u32_e32 v31, 28, v57
	v_lshlrev_b64 v[30:31], v31, v[30:31]
	v_lshrrev_b32_e32 v56, 3, v53
	v_sub_u32_e32 v31, 29, v57
	v_and_b32_e32 v30, 7, v30
	v_cmp_gt_u32_e32 vcc, 8, v53
	v_cndmask_b32_e32 v31, v56, v31, vcc
	v_cndmask_b32_e32 v30, v55, v30, vcc
	v_lshlrev_b32_e32 v53, 16, v32
	v_bfrev_b32_e32 v55, 60
	v_lshlrev_b32_e32 v30, 20, v30
	v_and_b32_e32 v53, 0x80000000, v53
	v_lshl_add_u32 v31, v31, 23, v55
	v_or3_b32 v30, v53, v31, v30
	v_lshrrev_b32_e32 v31, 16, v30
.LBB869_263:
	s_or_b64 exec, exec, s[10:11]
.LBB869_264:
	s_or_b64 exec, exec, s[8:9]
.LBB869_265:
	s_or_b64 exec, exec, s[2:3]
	s_movk_i32 s2, 0xff
	v_and_b32_sdwa v53, v32, s2 dst_sel:DWORD dst_unused:UNUSED_PAD src0_sel:WORD_1 src1_sel:DWORD
	v_lshrrev_b32_e32 v30, 16, v32
	v_cmp_ne_u16_e32 vcc, 0, v53
	s_and_saveexec_b64 s[2:3], vcc
	s_cbranch_execz .LBB869_271
; %bb.266:
	s_movk_i32 s8, 0x80
	v_cmp_ne_u16_e32 vcc, s8, v53
	v_mov_b32_e32 v54, 0xffff8000
	s_and_saveexec_b64 s[8:9], vcc
	s_cbranch_execz .LBB869_270
; %bb.267:
	v_bfe_u32 v53, v32, 16, 7
	s_movk_i32 s10, 0x7f
	v_cmp_ne_u32_e32 vcc, s10, v53
	v_mov_b32_e32 v54, 0x7f80
	s_and_saveexec_b64 s[10:11], vcc
	s_cbranch_execz .LBB869_269
; %bb.268:
	v_and_b32_e32 v56, 7, v30
	v_ffbh_u32_e32 v54, v56
	v_min_u32_e32 v58, 32, v54
	v_subrev_u32_e32 v54, 28, v58
	v_lshlrev_b64 v[54:55], v54, v[30:31]
	v_and_b32_e32 v54, 7, v54
	v_cmp_gt_u32_e32 vcc, 8, v53
	v_lshrrev_b32_e32 v57, 3, v53
	v_sub_u32_e32 v30, 29, v58
	v_cndmask_b32_e32 v53, v56, v54, vcc
	v_mov_b32_e32 v54, 24
	v_cndmask_b32_e32 v30, v57, v30, vcc
	v_lshlrev_b32_sdwa v54, v54, v32 dst_sel:DWORD dst_unused:UNUSED_PAD src0_sel:DWORD src1_sel:WORD_1
	v_bfrev_b32_e32 v55, 60
	v_lshlrev_b32_e32 v53, 20, v53
	v_and_b32_e32 v54, 0x80000000, v54
	v_lshl_add_u32 v30, v30, 23, v55
	v_or3_b32 v30, v54, v30, v53
	v_lshrrev_b32_e32 v54, 16, v30
.LBB869_269:
	s_or_b64 exec, exec, s[10:11]
.LBB869_270:
	s_or_b64 exec, exec, s[8:9]
.LBB869_271:
	s_or_b64 exec, exec, s[2:3]
	s_mov_b32 s2, 0xffffff
	v_cmp_lt_u32_e32 vcc, s2, v32
	v_mov_b32_e32 v55, 0
	v_mov_b32_e32 v56, 0
	s_and_saveexec_b64 s[2:3], vcc
	s_cbranch_execz .LBB869_277
; %bb.272:
	v_lshrrev_b32_e32 v30, 24, v32
	s_movk_i32 s8, 0x80
	v_cmp_ne_u32_e32 vcc, s8, v30
	v_mov_b32_e32 v56, 0xffff8000
	s_and_saveexec_b64 s[8:9], vcc
	s_cbranch_execz .LBB869_276
; %bb.273:
	v_bfe_u32 v32, v32, 24, 7
	s_movk_i32 s10, 0x7f
	v_cmp_ne_u32_e32 vcc, s10, v32
	v_mov_b32_e32 v56, 0x7f80
	s_and_saveexec_b64 s[10:11], vcc
	s_cbranch_execz .LBB869_275
; %bb.274:
	v_and_b32_e32 v53, 7, v30
	v_ffbh_u32_e32 v56, v53
	v_min_u32_e32 v59, 32, v56
	v_subrev_u32_e32 v56, 28, v59
	v_lshlrev_b64 v[56:57], v56, v[30:31]
	v_lshrrev_b32_e32 v58, 3, v32
	v_sub_u32_e32 v57, 29, v59
	v_and_b32_e32 v56, 7, v56
	v_cmp_gt_u32_e32 vcc, 8, v32
	v_cndmask_b32_e32 v32, v58, v57, vcc
	v_cndmask_b32_e32 v53, v53, v56, vcc
	v_lshlrev_b32_e32 v30, 24, v30
	v_bfrev_b32_e32 v56, 60
	v_lshlrev_b32_e32 v53, 20, v53
	v_and_b32_e32 v30, 0x80000000, v30
	v_lshl_add_u32 v32, v32, 23, v56
	v_or3_b32 v30, v30, v32, v53
	v_lshrrev_b32_e32 v56, 16, v30
.LBB869_275:
	s_or_b64 exec, exec, s[10:11]
.LBB869_276:
	s_or_b64 exec, exec, s[8:9]
.LBB869_277:
	s_or_b64 exec, exec, s[2:3]
	v_cmp_ne_u16_sdwa s[8:9], v33, v55 src0_sel:BYTE_0 src1_sel:DWORD
	s_and_saveexec_b64 s[2:3], s[8:9]
	s_cbranch_execz .LBB869_283
; %bb.278:
	s_movk_i32 s8, 0x80
	v_cmp_ne_u16_sdwa s[10:11], v33, s8 src0_sel:BYTE_0 src1_sel:DWORD
	v_mov_b32_e32 v55, 0xffff8000
	s_and_saveexec_b64 s[8:9], s[10:11]
	s_cbranch_execz .LBB869_282
; %bb.279:
	s_movk_i32 s10, 0x7f
	v_and_b32_e32 v30, 0x7f, v33
	v_cmp_ne_u32_e32 vcc, s10, v30
	v_mov_b32_e32 v55, 0x7f80
	s_and_saveexec_b64 s[10:11], vcc
	s_cbranch_execz .LBB869_281
; %bb.280:
	v_and_b32_e32 v53, 7, v33
	v_ffbh_u32_e32 v57, v53
	v_min_u32_e32 v57, 32, v57
	v_mov_b32_e32 v32, v33
	v_subrev_u32_e32 v58, 28, v57
	v_lshlrev_b64 v[58:59], v58, v[32:33]
	v_lshrrev_b32_e32 v55, 3, v30
	v_sub_u32_e32 v32, 29, v57
	v_and_b32_e32 v57, 7, v58
	v_cmp_gt_u32_e32 vcc, 8, v30
	v_cndmask_b32_e32 v30, v55, v32, vcc
	v_cndmask_b32_e32 v32, v53, v57, vcc
	v_lshlrev_b32_e32 v53, 24, v33
	v_bfrev_b32_e32 v55, 60
	v_lshlrev_b32_e32 v32, 20, v32
	v_and_b32_e32 v53, 0x80000000, v53
	v_lshl_add_u32 v30, v30, 23, v55
	v_or3_b32 v30, v53, v30, v32
	v_lshrrev_b32_e32 v55, 16, v30
.LBB869_281:
	s_or_b64 exec, exec, s[10:11]
.LBB869_282:
	s_or_b64 exec, exec, s[8:9]
.LBB869_283:
	s_or_b64 exec, exec, s[2:3]
	v_lshrrev_b16_e32 v30, 8, v33
	v_cmp_ne_u16_e32 vcc, 0, v30
	v_mov_b32_e32 v57, 0
	v_mov_b32_e32 v32, 0
	s_and_saveexec_b64 s[2:3], vcc
	s_cbranch_execz .LBB869_289
; %bb.284:
	s_movk_i32 s8, 0x80
	v_cmp_ne_u16_e32 vcc, s8, v30
	v_mov_b32_e32 v32, 0xffff8000
	s_and_saveexec_b64 s[8:9], vcc
	s_cbranch_execz .LBB869_288
; %bb.285:
	s_movk_i32 s10, 0x7f
	v_and_b32_e32 v53, 0x7f, v30
	v_cmp_ne_u32_e32 vcc, s10, v53
	v_mov_b32_e32 v32, 0x7f80
	s_and_saveexec_b64 s[10:11], vcc
	s_cbranch_execz .LBB869_287
; %bb.286:
	v_and_b32_e32 v32, 7, v30
	v_ffbh_u32_e32 v58, v32
	v_min_u32_e32 v61, 32, v58
	v_subrev_u32_e32 v58, 28, v61
	v_lshlrev_b64 v[58:59], v58, v[30:31]
	v_lshrrev_b32_e32 v60, 3, v53
	v_sub_u32_e32 v30, 29, v61
	v_and_b32_e32 v58, 7, v58
	v_cmp_gt_u32_e32 vcc, 8, v53
	v_cndmask_b32_e32 v30, v60, v30, vcc
	v_cndmask_b32_e32 v32, v32, v58, vcc
	v_lshlrev_b32_e32 v53, 16, v33
	v_bfrev_b32_e32 v58, 60
	v_lshlrev_b32_e32 v32, 20, v32
	v_and_b32_e32 v53, 0x80000000, v53
	v_lshl_add_u32 v30, v30, 23, v58
	v_or3_b32 v30, v53, v30, v32
	v_lshrrev_b32_e32 v32, 16, v30
.LBB869_287:
	s_or_b64 exec, exec, s[10:11]
.LBB869_288:
	s_or_b64 exec, exec, s[8:9]
.LBB869_289:
	s_or_b64 exec, exec, s[2:3]
	s_movk_i32 s2, 0xff
	v_and_b32_sdwa v53, v33, s2 dst_sel:DWORD dst_unused:UNUSED_PAD src0_sel:WORD_1 src1_sel:DWORD
	v_lshrrev_b32_e32 v30, 16, v33
	v_cmp_ne_u16_e32 vcc, 0, v53
	s_and_saveexec_b64 s[2:3], vcc
	s_cbranch_execz .LBB869_295
; %bb.290:
	s_movk_i32 s8, 0x80
	v_cmp_ne_u16_e32 vcc, s8, v53
	v_mov_b32_e32 v57, 0xffff8000
	s_and_saveexec_b64 s[8:9], vcc
	s_cbranch_execz .LBB869_294
; %bb.291:
	v_bfe_u32 v53, v33, 16, 7
	s_movk_i32 s10, 0x7f
	v_cmp_ne_u32_e32 vcc, s10, v53
	v_mov_b32_e32 v57, 0x7f80
	s_and_saveexec_b64 s[10:11], vcc
	s_cbranch_execz .LBB869_293
; %bb.292:
	v_and_b32_e32 v57, 7, v30
	v_ffbh_u32_e32 v58, v57
	v_min_u32_e32 v61, 32, v58
	v_subrev_u32_e32 v58, 28, v61
	v_lshlrev_b64 v[58:59], v58, v[30:31]
	v_and_b32_e32 v58, 7, v58
	v_cmp_gt_u32_e32 vcc, 8, v53
	v_lshrrev_b32_e32 v60, 3, v53
	v_sub_u32_e32 v30, 29, v61
	v_cndmask_b32_e32 v53, v57, v58, vcc
	v_mov_b32_e32 v57, 24
	v_cndmask_b32_e32 v30, v60, v30, vcc
	v_lshlrev_b32_sdwa v57, v57, v33 dst_sel:DWORD dst_unused:UNUSED_PAD src0_sel:DWORD src1_sel:WORD_1
	v_bfrev_b32_e32 v58, 60
	v_lshlrev_b32_e32 v53, 20, v53
	v_and_b32_e32 v57, 0x80000000, v57
	v_lshl_add_u32 v30, v30, 23, v58
	v_or3_b32 v30, v57, v30, v53
	v_lshrrev_b32_e32 v57, 16, v30
.LBB869_293:
	s_or_b64 exec, exec, s[10:11]
.LBB869_294:
	s_or_b64 exec, exec, s[8:9]
.LBB869_295:
	s_or_b64 exec, exec, s[2:3]
	s_mov_b32 s2, 0xffffff
	v_cmp_lt_u32_e32 vcc, s2, v33
	v_mov_b32_e32 v53, 0
	v_mov_b32_e32 v58, 0
	s_and_saveexec_b64 s[2:3], vcc
	s_cbranch_execz .LBB869_301
; %bb.296:
	v_lshrrev_b32_e32 v30, 24, v33
	s_movk_i32 s8, 0x80
	v_cmp_ne_u32_e32 vcc, s8, v30
	v_mov_b32_e32 v58, 0xffff8000
	s_and_saveexec_b64 s[8:9], vcc
	s_cbranch_execz .LBB869_300
; %bb.297:
	v_bfe_u32 v33, v33, 24, 7
	s_movk_i32 s10, 0x7f
	v_cmp_ne_u32_e32 vcc, s10, v33
	v_mov_b32_e32 v58, 0x7f80
	s_and_saveexec_b64 s[10:11], vcc
	s_cbranch_execz .LBB869_299
; %bb.298:
	v_and_b32_e32 v60, 7, v30
	v_ffbh_u32_e32 v58, v60
	v_min_u32_e32 v62, 32, v58
	v_subrev_u32_e32 v58, 28, v62
	v_lshlrev_b64 v[58:59], v58, v[30:31]
	v_lshrrev_b32_e32 v61, 3, v33
	v_sub_u32_e32 v59, 29, v62
	v_and_b32_e32 v58, 7, v58
	v_cmp_gt_u32_e32 vcc, 8, v33
	v_cndmask_b32_e32 v33, v61, v59, vcc
	v_cndmask_b32_e32 v58, v60, v58, vcc
	v_lshlrev_b32_e32 v30, 24, v30
	v_bfrev_b32_e32 v59, 60
	v_lshlrev_b32_e32 v58, 20, v58
	v_and_b32_e32 v30, 0x80000000, v30
	v_lshl_add_u32 v33, v33, 23, v59
	v_or3_b32 v30, v30, v33, v58
	v_lshrrev_b32_e32 v58, 16, v30
.LBB869_299:
	s_or_b64 exec, exec, s[10:11]
.LBB869_300:
	s_or_b64 exec, exec, s[8:9]
.LBB869_301:
	s_or_b64 exec, exec, s[2:3]
	s_mov_b32 s2, 0x5040100
	v_perm_b32 v61, v56, v54, s2
	v_perm_b32 v60, v31, v52, s2
	v_perm_b32 v31, v58, v57, s2
	v_perm_b32 v30, v32, v55, s2
	v_cmp_ne_u16_sdwa s[8:9], v22, v53 src0_sel:BYTE_0 src1_sel:DWORD
	v_mfma_f32_16x16x16bf16_1k v[42:45], v[60:61], v[18:19], v[42:45]
	v_mfma_f32_16x16x16bf16_1k v[30:33], v[30:31], v[20:21], v[42:45]
	s_and_saveexec_b64 s[2:3], s[8:9]
	s_cbranch_execz .LBB869_307
; %bb.302:
	s_movk_i32 s8, 0x80
	v_cmp_ne_u16_sdwa s[10:11], v22, s8 src0_sel:BYTE_0 src1_sel:DWORD
	v_mov_b32_e32 v53, 0xffff8000
	s_and_saveexec_b64 s[8:9], s[10:11]
	s_cbranch_execz .LBB869_306
; %bb.303:
	s_movk_i32 s10, 0x7f
	s_nop 1
	v_and_b32_e32 v42, 0x7f, v22
	v_cmp_ne_u32_e32 vcc, s10, v42
	v_mov_b32_e32 v53, 0x7f80
	s_and_saveexec_b64 s[10:11], vcc
	s_cbranch_execz .LBB869_305
; %bb.304:
	v_and_b32_e32 v43, 7, v22
	v_ffbh_u32_e32 v44, v43
	v_min_u32_e32 v53, 32, v44
	v_subrev_u32_e32 v44, 28, v53
	v_lshlrev_b64 v[44:45], v44, v[22:23]
	v_lshrrev_b32_e32 v52, 3, v42
	v_sub_u32_e32 v45, 29, v53
	v_and_b32_e32 v44, 7, v44
	v_cmp_gt_u32_e32 vcc, 8, v42
	v_cndmask_b32_e32 v42, v52, v45, vcc
	v_cndmask_b32_e32 v43, v43, v44, vcc
	v_lshlrev_b32_e32 v44, 24, v22
	v_bfrev_b32_e32 v45, 60
	v_lshlrev_b32_e32 v43, 20, v43
	v_and_b32_e32 v44, 0x80000000, v44
	v_lshl_add_u32 v42, v42, 23, v45
	v_or3_b32 v42, v44, v42, v43
	v_lshrrev_b32_e32 v53, 16, v42
.LBB869_305:
	s_or_b64 exec, exec, s[10:11]
.LBB869_306:
	s_or_b64 exec, exec, s[8:9]
.LBB869_307:
	s_or_b64 exec, exec, s[2:3]
	s_nop 6
	v_lshrrev_b16_e32 v42, 8, v22
	v_cmp_ne_u16_e32 vcc, 0, v42
	v_mov_b32_e32 v44, 0
	v_mov_b32_e32 v43, 0
	s_and_saveexec_b64 s[2:3], vcc
	s_cbranch_execz .LBB869_313
; %bb.308:
	s_movk_i32 s8, 0x80
	v_cmp_ne_u16_e32 vcc, s8, v42
	v_mov_b32_e32 v43, 0xffff8000
	s_and_saveexec_b64 s[8:9], vcc
	s_cbranch_execz .LBB869_312
; %bb.309:
	s_movk_i32 s10, 0x7f
	v_and_b32_e32 v45, 0x7f, v42
	v_cmp_ne_u32_e32 vcc, s10, v45
	v_mov_b32_e32 v43, 0x7f80
	s_and_saveexec_b64 s[10:11], vcc
	s_cbranch_execz .LBB869_311
; %bb.310:
	v_and_b32_e32 v52, 7, v42
	v_ffbh_u32_e32 v43, v52
	v_min_u32_e32 v55, 32, v43
	v_subrev_u32_e32 v43, 28, v55
	v_lshlrev_b64 v[42:43], v43, v[42:43]
	v_lshrrev_b32_e32 v54, 3, v45
	v_sub_u32_e32 v43, 29, v55
	v_and_b32_e32 v42, 7, v42
	v_cmp_gt_u32_e32 vcc, 8, v45
	v_cndmask_b32_e32 v43, v54, v43, vcc
	v_cndmask_b32_e32 v42, v52, v42, vcc
	v_lshlrev_b32_e32 v45, 16, v22
	v_bfrev_b32_e32 v52, 60
	v_lshlrev_b32_e32 v42, 20, v42
	v_and_b32_e32 v45, 0x80000000, v45
	v_lshl_add_u32 v43, v43, 23, v52
	v_or3_b32 v42, v45, v43, v42
	v_lshrrev_b32_e32 v43, 16, v42
.LBB869_311:
	s_or_b64 exec, exec, s[10:11]
.LBB869_312:
	s_or_b64 exec, exec, s[8:9]
.LBB869_313:
	s_or_b64 exec, exec, s[2:3]
	s_movk_i32 s2, 0xff
	v_and_b32_sdwa v45, v22, s2 dst_sel:DWORD dst_unused:UNUSED_PAD src0_sel:WORD_1 src1_sel:DWORD
	v_lshrrev_b32_e32 v42, 16, v22
	v_cmp_ne_u16_e32 vcc, 0, v45
	s_and_saveexec_b64 s[2:3], vcc
	s_cbranch_execz .LBB869_319
; %bb.314:
	s_movk_i32 s8, 0x80
	v_cmp_ne_u16_e32 vcc, s8, v45
	v_mov_b32_e32 v44, 0xffff8000
	s_and_saveexec_b64 s[8:9], vcc
	s_cbranch_execz .LBB869_318
; %bb.315:
	v_bfe_u32 v45, v22, 16, 7
	s_movk_i32 s10, 0x7f
	v_cmp_ne_u32_e32 vcc, s10, v45
	v_mov_b32_e32 v44, 0x7f80
	s_and_saveexec_b64 s[10:11], vcc
	s_cbranch_execz .LBB869_317
; %bb.316:
	v_and_b32_e32 v44, 7, v42
	v_ffbh_u32_e32 v54, v44
	v_min_u32_e32 v56, 32, v54
	v_subrev_u32_e32 v54, 28, v56
	v_lshlrev_b64 v[54:55], v54, v[42:43]
	v_lshrrev_b32_e32 v52, 3, v45
	v_sub_u32_e32 v42, 29, v56
	v_and_b32_e32 v54, 7, v54
	v_cmp_gt_u32_e32 vcc, 8, v45
	v_mov_b32_e32 v45, 24
	v_cndmask_b32_e32 v42, v52, v42, vcc
	v_cndmask_b32_e32 v44, v44, v54, vcc
	v_lshlrev_b32_sdwa v45, v45, v22 dst_sel:DWORD dst_unused:UNUSED_PAD src0_sel:DWORD src1_sel:WORD_1
	v_bfrev_b32_e32 v52, 60
	v_lshlrev_b32_e32 v44, 20, v44
	v_and_b32_e32 v45, 0x80000000, v45
	v_lshl_add_u32 v42, v42, 23, v52
	v_or3_b32 v42, v45, v42, v44
	v_lshrrev_b32_e32 v44, 16, v42
.LBB869_317:
	s_or_b64 exec, exec, s[10:11]
.LBB869_318:
	s_or_b64 exec, exec, s[8:9]
.LBB869_319:
	s_or_b64 exec, exec, s[2:3]
	s_mov_b32 s2, 0xffffff
	v_cmp_lt_u32_e32 vcc, s2, v22
	v_mov_b32_e32 v45, 0
	v_mov_b32_e32 v52, 0
	s_and_saveexec_b64 s[2:3], vcc
	s_cbranch_execz .LBB869_325
; %bb.320:
	v_lshrrev_b32_e32 v42, 24, v22
	s_movk_i32 s8, 0x80
	v_cmp_ne_u32_e32 vcc, s8, v42
	v_mov_b32_e32 v52, 0xffff8000
	s_and_saveexec_b64 s[8:9], vcc
	s_cbranch_execz .LBB869_324
; %bb.321:
	v_bfe_u32 v22, v22, 24, 7
	s_movk_i32 s10, 0x7f
	v_cmp_ne_u32_e32 vcc, s10, v22
	v_mov_b32_e32 v52, 0x7f80
	s_and_saveexec_b64 s[10:11], vcc
	s_cbranch_execz .LBB869_323
; %bb.322:
	v_and_b32_e32 v52, 7, v42
	v_ffbh_u32_e32 v54, v52
	v_min_u32_e32 v57, 32, v54
	v_subrev_u32_e32 v54, 28, v57
	v_lshlrev_b64 v[54:55], v54, v[42:43]
	v_lshrrev_b32_e32 v56, 3, v22
	v_sub_u32_e32 v55, 29, v57
	v_and_b32_e32 v54, 7, v54
	v_cmp_gt_u32_e32 vcc, 8, v22
	v_cndmask_b32_e32 v22, v56, v55, vcc
	v_cndmask_b32_e32 v52, v52, v54, vcc
	v_lshlrev_b32_e32 v42, 24, v42
	v_bfrev_b32_e32 v54, 60
	v_lshlrev_b32_e32 v52, 20, v52
	v_and_b32_e32 v42, 0x80000000, v42
	v_lshl_add_u32 v22, v22, 23, v54
	v_or3_b32 v22, v42, v22, v52
	v_lshrrev_b32_e32 v52, 16, v22
.LBB869_323:
	s_or_b64 exec, exec, s[10:11]
.LBB869_324:
	s_or_b64 exec, exec, s[8:9]
.LBB869_325:
	s_or_b64 exec, exec, s[2:3]
	v_cmp_ne_u16_sdwa s[8:9], v23, v45 src0_sel:BYTE_0 src1_sel:DWORD
	s_and_saveexec_b64 s[2:3], s[8:9]
	s_cbranch_execz .LBB869_331
; %bb.326:
	s_movk_i32 s8, 0x80
	v_cmp_ne_u16_sdwa s[10:11], v23, s8 src0_sel:BYTE_0 src1_sel:DWORD
	v_mov_b32_e32 v45, 0xffff8000
	s_and_saveexec_b64 s[8:9], s[10:11]
	s_cbranch_execz .LBB869_330
; %bb.327:
	s_movk_i32 s10, 0x7f
	v_and_b32_e32 v22, 0x7f, v23
	v_cmp_ne_u32_e32 vcc, s10, v22
	v_mov_b32_e32 v45, 0x7f80
	s_and_saveexec_b64 s[10:11], vcc
	s_cbranch_execz .LBB869_329
; %bb.328:
	v_and_b32_e32 v45, 7, v23
	v_ffbh_u32_e32 v54, v45
	v_min_u32_e32 v57, 32, v54
	v_mov_b32_e32 v42, v23
	v_subrev_u32_e32 v54, 28, v57
	v_lshlrev_b64 v[54:55], v54, v[42:43]
	v_lshrrev_b32_e32 v56, 3, v22
	v_sub_u32_e32 v42, 29, v57
	v_and_b32_e32 v54, 7, v54
	v_cmp_gt_u32_e32 vcc, 8, v22
	v_cndmask_b32_e32 v22, v56, v42, vcc
	v_cndmask_b32_e32 v42, v45, v54, vcc
	v_lshlrev_b32_e32 v45, 24, v23
	v_bfrev_b32_e32 v54, 60
	v_lshlrev_b32_e32 v42, 20, v42
	v_and_b32_e32 v45, 0x80000000, v45
	v_lshl_add_u32 v22, v22, 23, v54
	v_or3_b32 v22, v45, v22, v42
	v_lshrrev_b32_e32 v45, 16, v22
.LBB869_329:
	s_or_b64 exec, exec, s[10:11]
.LBB869_330:
	s_or_b64 exec, exec, s[8:9]
.LBB869_331:
	s_or_b64 exec, exec, s[2:3]
	v_lshrrev_b16_e32 v22, 8, v23
	v_cmp_ne_u16_e32 vcc, 0, v22
	v_mov_b32_e32 v55, 0
	v_mov_b32_e32 v54, 0
	s_and_saveexec_b64 s[2:3], vcc
	s_cbranch_execz .LBB869_337
; %bb.332:
	s_movk_i32 s8, 0x80
	v_cmp_ne_u16_e32 vcc, s8, v22
	v_mov_b32_e32 v54, 0xffff8000
	s_and_saveexec_b64 s[8:9], vcc
	s_cbranch_execz .LBB869_336
; %bb.333:
	s_movk_i32 s10, 0x7f
	v_and_b32_e32 v42, 0x7f, v22
	v_cmp_ne_u32_e32 vcc, s10, v42
	v_mov_b32_e32 v54, 0x7f80
	s_and_saveexec_b64 s[10:11], vcc
	s_cbranch_execz .LBB869_335
; %bb.334:
	v_and_b32_e32 v54, 7, v22
	v_ffbh_u32_e32 v56, v54
	v_min_u32_e32 v59, 32, v56
	v_subrev_u32_e32 v56, 28, v59
	v_lshlrev_b64 v[56:57], v56, v[22:23]
	v_lshrrev_b32_e32 v58, 3, v42
	v_sub_u32_e32 v22, 29, v59
	v_and_b32_e32 v56, 7, v56
	v_cmp_gt_u32_e32 vcc, 8, v42
	v_cndmask_b32_e32 v22, v58, v22, vcc
	v_cndmask_b32_e32 v42, v54, v56, vcc
	v_lshlrev_b32_e32 v54, 16, v23
	v_bfrev_b32_e32 v56, 60
	v_lshlrev_b32_e32 v42, 20, v42
	v_and_b32_e32 v54, 0x80000000, v54
	v_lshl_add_u32 v22, v22, 23, v56
	v_or3_b32 v22, v54, v22, v42
	v_lshrrev_b32_e32 v54, 16, v22
.LBB869_335:
	s_or_b64 exec, exec, s[10:11]
.LBB869_336:
	s_or_b64 exec, exec, s[8:9]
.LBB869_337:
	s_or_b64 exec, exec, s[2:3]
	s_movk_i32 s2, 0xff
	v_and_b32_sdwa v42, v23, s2 dst_sel:DWORD dst_unused:UNUSED_PAD src0_sel:WORD_1 src1_sel:DWORD
	v_lshrrev_b32_e32 v22, 16, v23
	v_cmp_ne_u16_e32 vcc, 0, v42
	s_and_saveexec_b64 s[2:3], vcc
	s_cbranch_execz .LBB869_343
; %bb.338:
	s_movk_i32 s8, 0x80
	v_cmp_ne_u16_e32 vcc, s8, v42
	v_mov_b32_e32 v55, 0xffff8000
	s_and_saveexec_b64 s[8:9], vcc
	s_cbranch_execz .LBB869_342
; %bb.339:
	v_bfe_u32 v42, v23, 16, 7
	s_movk_i32 s10, 0x7f
	v_cmp_ne_u32_e32 vcc, s10, v42
	v_mov_b32_e32 v55, 0x7f80
	s_and_saveexec_b64 s[10:11], vcc
	s_cbranch_execz .LBB869_341
; %bb.340:
	v_and_b32_e32 v55, 7, v22
	v_ffbh_u32_e32 v56, v55
	v_min_u32_e32 v59, 32, v56
	v_subrev_u32_e32 v56, 28, v59
	v_lshlrev_b64 v[56:57], v56, v[22:23]
	v_and_b32_e32 v56, 7, v56
	v_cmp_gt_u32_e32 vcc, 8, v42
	v_lshrrev_b32_e32 v58, 3, v42
	v_sub_u32_e32 v22, 29, v59
	v_cndmask_b32_e32 v42, v55, v56, vcc
	v_mov_b32_e32 v55, 24
	v_cndmask_b32_e32 v22, v58, v22, vcc
	v_lshlrev_b32_sdwa v55, v55, v23 dst_sel:DWORD dst_unused:UNUSED_PAD src0_sel:DWORD src1_sel:WORD_1
	v_bfrev_b32_e32 v56, 60
	v_lshlrev_b32_e32 v42, 20, v42
	v_and_b32_e32 v55, 0x80000000, v55
	v_lshl_add_u32 v22, v22, 23, v56
	v_or3_b32 v22, v55, v22, v42
	v_lshrrev_b32_e32 v55, 16, v22
.LBB869_341:
	s_or_b64 exec, exec, s[10:11]
.LBB869_342:
	s_or_b64 exec, exec, s[8:9]
.LBB869_343:
	s_or_b64 exec, exec, s[2:3]
	s_mov_b32 s2, 0xffffff
	v_cmp_lt_u32_e32 vcc, s2, v23
	v_mov_b32_e32 v42, 0
	v_mov_b32_e32 v56, 0
	s_and_saveexec_b64 s[2:3], vcc
	s_cbranch_execz .LBB869_349
; %bb.344:
	v_lshrrev_b32_e32 v22, 24, v23
	s_movk_i32 s8, 0x80
	v_cmp_ne_u32_e32 vcc, s8, v22
	v_mov_b32_e32 v56, 0xffff8000
	s_and_saveexec_b64 s[8:9], vcc
	s_cbranch_execz .LBB869_348
; %bb.345:
	v_bfe_u32 v23, v23, 24, 7
	s_movk_i32 s10, 0x7f
	v_cmp_ne_u32_e32 vcc, s10, v23
	v_mov_b32_e32 v56, 0x7f80
	s_and_saveexec_b64 s[10:11], vcc
	s_cbranch_execz .LBB869_347
; %bb.346:
	v_and_b32_e32 v58, 7, v22
	v_ffbh_u32_e32 v56, v58
	v_min_u32_e32 v60, 32, v56
	v_subrev_u32_e32 v56, 28, v60
	v_lshlrev_b64 v[56:57], v56, v[22:23]
	v_lshrrev_b32_e32 v59, 3, v23
	v_sub_u32_e32 v57, 29, v60
	v_and_b32_e32 v56, 7, v56
	v_cmp_gt_u32_e32 vcc, 8, v23
	v_cndmask_b32_e32 v23, v59, v57, vcc
	v_cndmask_b32_e32 v56, v58, v56, vcc
	v_lshlrev_b32_e32 v22, 24, v22
	v_bfrev_b32_e32 v57, 60
	v_lshlrev_b32_e32 v56, 20, v56
	v_and_b32_e32 v22, 0x80000000, v22
	v_lshl_add_u32 v23, v23, 23, v57
	v_or3_b32 v22, v22, v23, v56
	v_lshrrev_b32_e32 v56, 16, v22
.LBB869_347:
	s_or_b64 exec, exec, s[10:11]
.LBB869_348:
	s_or_b64 exec, exec, s[8:9]
.LBB869_349:
	s_or_b64 exec, exec, s[2:3]
	s_mov_b32 s2, 0x5040100
	v_perm_b32 v23, v52, v44, s2
	v_perm_b32 v22, v43, v53, s2
	v_cmp_ne_u16_sdwa s[8:9], v24, v42 src0_sel:BYTE_0 src1_sel:DWORD
	s_nop 0
	v_mfma_f32_16x16x16bf16_1k v[58:61], v[22:23], v[26:27], 0
	v_perm_b32 v23, v56, v55, s2
	v_perm_b32 v22, v54, v45, s2
	s_nop 1
	v_mfma_f32_16x16x16bf16_1k v[26:29], v[22:23], v[28:29], v[58:61]
	s_and_saveexec_b64 s[2:3], s[8:9]
	s_cbranch_execz .LBB869_355
; %bb.350:
	s_movk_i32 s8, 0x80
	v_cmp_ne_u16_sdwa s[10:11], v24, s8 src0_sel:BYTE_0 src1_sel:DWORD
	v_mov_b32_e32 v42, 0xffff8000
	s_and_saveexec_b64 s[8:9], s[10:11]
	s_cbranch_execz .LBB869_354
; %bb.351:
	s_movk_i32 s10, 0x7f
	v_and_b32_e32 v22, 0x7f, v24
	v_cmp_ne_u32_e32 vcc, s10, v22
	v_mov_b32_e32 v42, 0x7f80
	s_and_saveexec_b64 s[10:11], vcc
	s_cbranch_execz .LBB869_353
; %bb.352:
	v_and_b32_e32 v23, 7, v24
	v_ffbh_u32_e32 v42, v23
	v_min_u32_e32 v45, 32, v42
	v_subrev_u32_e32 v42, 28, v45
	v_lshlrev_b64 v[42:43], v42, v[24:25]
	v_lshrrev_b32_e32 v44, 3, v22
	v_sub_u32_e32 v43, 29, v45
	v_and_b32_e32 v42, 7, v42
	v_cmp_gt_u32_e32 vcc, 8, v22
	v_cndmask_b32_e32 v22, v44, v43, vcc
	v_cndmask_b32_e32 v23, v23, v42, vcc
	v_lshlrev_b32_e32 v42, 24, v24
	v_bfrev_b32_e32 v43, 60
	v_lshlrev_b32_e32 v23, 20, v23
	v_and_b32_e32 v42, 0x80000000, v42
	v_lshl_add_u32 v22, v22, 23, v43
	v_or3_b32 v22, v42, v22, v23
	v_lshrrev_b32_e32 v42, 16, v22
.LBB869_353:
	s_or_b64 exec, exec, s[10:11]
.LBB869_354:
	s_or_b64 exec, exec, s[8:9]
.LBB869_355:
	s_or_b64 exec, exec, s[2:3]
	v_lshrrev_b16_e32 v22, 8, v24
	v_cmp_ne_u16_e32 vcc, 0, v22
	v_mov_b32_e32 v43, 0
	v_mov_b32_e32 v23, 0
	s_and_saveexec_b64 s[2:3], vcc
	s_cbranch_execz .LBB869_361
; %bb.356:
	s_movk_i32 s8, 0x80
	v_cmp_ne_u16_e32 vcc, s8, v22
	v_mov_b32_e32 v23, 0xffff8000
	s_and_saveexec_b64 s[8:9], vcc
	s_cbranch_execz .LBB869_360
; %bb.357:
	s_movk_i32 s10, 0x7f
	v_and_b32_e32 v44, 0x7f, v22
	v_cmp_ne_u32_e32 vcc, s10, v44
	v_mov_b32_e32 v23, 0x7f80
	s_and_saveexec_b64 s[10:11], vcc
	s_cbranch_execz .LBB869_359
; %bb.358:
	v_and_b32_e32 v45, 7, v22
	v_ffbh_u32_e32 v23, v45
	v_min_u32_e32 v53, 32, v23
	v_subrev_u32_e32 v23, 28, v53
	v_lshlrev_b64 v[22:23], v23, v[22:23]
	v_lshrrev_b32_e32 v52, 3, v44
	v_sub_u32_e32 v23, 29, v53
	v_and_b32_e32 v22, 7, v22
	v_cmp_gt_u32_e32 vcc, 8, v44
	v_cndmask_b32_e32 v23, v52, v23, vcc
	v_cndmask_b32_e32 v22, v45, v22, vcc
	v_lshlrev_b32_e32 v44, 16, v24
	v_bfrev_b32_e32 v45, 60
	v_lshlrev_b32_e32 v22, 20, v22
	v_and_b32_e32 v44, 0x80000000, v44
	v_lshl_add_u32 v23, v23, 23, v45
	v_or3_b32 v22, v44, v23, v22
	v_lshrrev_b32_e32 v23, 16, v22
.LBB869_359:
	s_or_b64 exec, exec, s[10:11]
.LBB869_360:
	s_or_b64 exec, exec, s[8:9]
.LBB869_361:
	s_or_b64 exec, exec, s[2:3]
	s_movk_i32 s2, 0xff
	v_and_b32_sdwa v44, v24, s2 dst_sel:DWORD dst_unused:UNUSED_PAD src0_sel:WORD_1 src1_sel:DWORD
	v_lshrrev_b32_e32 v22, 16, v24
	v_cmp_ne_u16_e32 vcc, 0, v44
	s_and_saveexec_b64 s[2:3], vcc
	s_cbranch_execz .LBB869_367
; %bb.362:
	s_movk_i32 s8, 0x80
	v_cmp_ne_u16_e32 vcc, s8, v44
	v_mov_b32_e32 v43, 0xffff8000
	s_and_saveexec_b64 s[8:9], vcc
	s_cbranch_execz .LBB869_366
; %bb.363:
	v_bfe_u32 v44, v24, 16, 7
	s_movk_i32 s10, 0x7f
	v_cmp_ne_u32_e32 vcc, s10, v44
	v_mov_b32_e32 v43, 0x7f80
	s_and_saveexec_b64 s[10:11], vcc
	s_cbranch_execz .LBB869_365
; %bb.364:
	v_and_b32_e32 v43, 7, v22
	v_ffbh_u32_e32 v52, v43
	v_min_u32_e32 v54, 32, v52
	v_subrev_u32_e32 v52, 28, v54
	v_lshlrev_b64 v[52:53], v52, v[22:23]
	v_lshrrev_b32_e32 v45, 3, v44
	v_sub_u32_e32 v22, 29, v54
	v_and_b32_e32 v52, 7, v52
	v_cmp_gt_u32_e32 vcc, 8, v44
	v_mov_b32_e32 v44, 24
	v_cndmask_b32_e32 v22, v45, v22, vcc
	v_cndmask_b32_e32 v43, v43, v52, vcc
	v_lshlrev_b32_sdwa v44, v44, v24 dst_sel:DWORD dst_unused:UNUSED_PAD src0_sel:DWORD src1_sel:WORD_1
	v_bfrev_b32_e32 v45, 60
	v_lshlrev_b32_e32 v43, 20, v43
	v_and_b32_e32 v44, 0x80000000, v44
	v_lshl_add_u32 v22, v22, 23, v45
	v_or3_b32 v22, v44, v22, v43
	v_lshrrev_b32_e32 v43, 16, v22
.LBB869_365:
	s_or_b64 exec, exec, s[10:11]
.LBB869_366:
	s_or_b64 exec, exec, s[8:9]
.LBB869_367:
	s_or_b64 exec, exec, s[2:3]
	s_mov_b32 s2, 0xffffff
	v_cmp_lt_u32_e32 vcc, s2, v24
	v_mov_b32_e32 v45, 0
	v_mov_b32_e32 v52, 0
	s_and_saveexec_b64 s[2:3], vcc
	s_cbranch_execz .LBB869_373
; %bb.368:
	v_lshrrev_b32_e32 v22, 24, v24
	s_movk_i32 s8, 0x80
	v_cmp_ne_u32_e32 vcc, s8, v22
	v_mov_b32_e32 v52, 0xffff8000
	s_and_saveexec_b64 s[8:9], vcc
	s_cbranch_execz .LBB869_372
; %bb.369:
	v_bfe_u32 v24, v24, 24, 7
	s_movk_i32 s10, 0x7f
	v_cmp_ne_u32_e32 vcc, s10, v24
	v_mov_b32_e32 v52, 0x7f80
	s_and_saveexec_b64 s[10:11], vcc
	s_cbranch_execz .LBB869_371
; %bb.370:
	v_and_b32_e32 v44, 7, v22
	v_ffbh_u32_e32 v52, v44
	v_min_u32_e32 v55, 32, v52
	v_subrev_u32_e32 v52, 28, v55
	v_lshlrev_b64 v[52:53], v52, v[22:23]
	v_lshrrev_b32_e32 v54, 3, v24
	v_sub_u32_e32 v53, 29, v55
	v_and_b32_e32 v52, 7, v52
	v_cmp_gt_u32_e32 vcc, 8, v24
	v_cndmask_b32_e32 v24, v54, v53, vcc
	v_cndmask_b32_e32 v44, v44, v52, vcc
	v_lshlrev_b32_e32 v22, 24, v22
	v_bfrev_b32_e32 v52, 60
	v_lshlrev_b32_e32 v44, 20, v44
	v_and_b32_e32 v22, 0x80000000, v22
	v_lshl_add_u32 v24, v24, 23, v52
	v_or3_b32 v22, v22, v24, v44
	v_lshrrev_b32_e32 v52, 16, v22
.LBB869_371:
	s_or_b64 exec, exec, s[10:11]
.LBB869_372:
	s_or_b64 exec, exec, s[8:9]
.LBB869_373:
	s_or_b64 exec, exec, s[2:3]
	v_cmp_ne_u16_sdwa s[8:9], v25, v45 src0_sel:BYTE_0 src1_sel:DWORD
	s_and_saveexec_b64 s[2:3], s[8:9]
	s_cbranch_execz .LBB869_379
; %bb.374:
	s_movk_i32 s8, 0x80
	v_cmp_ne_u16_sdwa s[10:11], v25, s8 src0_sel:BYTE_0 src1_sel:DWORD
	v_mov_b32_e32 v45, 0xffff8000
	s_and_saveexec_b64 s[8:9], s[10:11]
	s_cbranch_execz .LBB869_378
; %bb.375:
	s_movk_i32 s10, 0x7f
	v_and_b32_e32 v22, 0x7f, v25
	v_cmp_ne_u32_e32 vcc, s10, v22
	v_mov_b32_e32 v45, 0x7f80
	s_and_saveexec_b64 s[10:11], vcc
	s_cbranch_execz .LBB869_377
; %bb.376:
	v_and_b32_e32 v53, 7, v25
	v_ffbh_u32_e32 v44, v53
	v_min_u32_e32 v55, 32, v44
	v_mov_b32_e32 v24, v25
	v_subrev_u32_e32 v44, 28, v55
	v_lshlrev_b64 v[44:45], v44, v[24:25]
	v_lshrrev_b32_e32 v54, 3, v22
	v_sub_u32_e32 v24, 29, v55
	v_and_b32_e32 v44, 7, v44
	v_cmp_gt_u32_e32 vcc, 8, v22
	v_cndmask_b32_e32 v22, v54, v24, vcc
	v_cndmask_b32_e32 v24, v53, v44, vcc
	v_lshlrev_b32_e32 v44, 24, v25
	v_bfrev_b32_e32 v45, 60
	v_lshlrev_b32_e32 v24, 20, v24
	v_and_b32_e32 v44, 0x80000000, v44
	v_lshl_add_u32 v22, v22, 23, v45
	v_or3_b32 v22, v44, v22, v24
	v_lshrrev_b32_e32 v45, 16, v22
.LBB869_377:
	s_or_b64 exec, exec, s[10:11]
.LBB869_378:
	s_or_b64 exec, exec, s[8:9]
.LBB869_379:
	s_or_b64 exec, exec, s[2:3]
	v_lshrrev_b16_e32 v22, 8, v25
	v_cmp_ne_u16_e32 vcc, 0, v22
	v_mov_b32_e32 v54, 0
	v_mov_b32_e32 v53, 0
	s_and_saveexec_b64 s[2:3], vcc
	s_cbranch_execz .LBB869_385
; %bb.380:
	s_movk_i32 s8, 0x80
	v_cmp_ne_u16_e32 vcc, s8, v22
	v_mov_b32_e32 v53, 0xffff8000
	s_and_saveexec_b64 s[8:9], vcc
	s_cbranch_execz .LBB869_384
; %bb.381:
	s_movk_i32 s10, 0x7f
	v_and_b32_e32 v24, 0x7f, v22
	v_cmp_ne_u32_e32 vcc, s10, v24
	v_mov_b32_e32 v53, 0x7f80
	s_and_saveexec_b64 s[10:11], vcc
	s_cbranch_execz .LBB869_383
; %bb.382:
	v_and_b32_e32 v44, 7, v22
	v_ffbh_u32_e32 v55, v44
	v_min_u32_e32 v55, 32, v55
	v_subrev_u32_e32 v56, 28, v55
	v_lshlrev_b64 v[56:57], v56, v[22:23]
	v_lshrrev_b32_e32 v53, 3, v24
	v_sub_u32_e32 v22, 29, v55
	v_and_b32_e32 v55, 7, v56
	v_cmp_gt_u32_e32 vcc, 8, v24
	v_cndmask_b32_e32 v22, v53, v22, vcc
	v_cndmask_b32_e32 v24, v44, v55, vcc
	v_lshlrev_b32_e32 v44, 16, v25
	v_bfrev_b32_e32 v53, 60
	v_lshlrev_b32_e32 v24, 20, v24
	v_and_b32_e32 v44, 0x80000000, v44
	v_lshl_add_u32 v22, v22, 23, v53
	v_or3_b32 v22, v44, v22, v24
	v_lshrrev_b32_e32 v53, 16, v22
.LBB869_383:
	s_or_b64 exec, exec, s[10:11]
.LBB869_384:
	s_or_b64 exec, exec, s[8:9]
.LBB869_385:
	s_or_b64 exec, exec, s[2:3]
	s_movk_i32 s2, 0xff
	v_and_b32_sdwa v24, v25, s2 dst_sel:DWORD dst_unused:UNUSED_PAD src0_sel:WORD_1 src1_sel:DWORD
	v_lshrrev_b32_e32 v22, 16, v25
	v_cmp_ne_u16_e32 vcc, 0, v24
	s_and_saveexec_b64 s[2:3], vcc
	s_cbranch_execz .LBB869_391
; %bb.386:
	s_movk_i32 s8, 0x80
	v_cmp_ne_u16_e32 vcc, s8, v24
	v_mov_b32_e32 v54, 0xffff8000
	s_and_saveexec_b64 s[8:9], vcc
	s_cbranch_execz .LBB869_390
; %bb.387:
	v_bfe_u32 v24, v25, 16, 7
	s_movk_i32 s10, 0x7f
	v_cmp_ne_u32_e32 vcc, s10, v24
	v_mov_b32_e32 v54, 0x7f80
	s_and_saveexec_b64 s[10:11], vcc
	s_cbranch_execz .LBB869_389
; %bb.388:
	v_and_b32_e32 v44, 7, v22
	v_ffbh_u32_e32 v54, v44
	v_min_u32_e32 v57, 32, v54
	v_subrev_u32_e32 v54, 28, v57
	v_lshlrev_b64 v[54:55], v54, v[22:23]
	v_and_b32_e32 v54, 7, v54
	v_cmp_gt_u32_e32 vcc, 8, v24
	v_lshrrev_b32_e32 v56, 3, v24
	v_sub_u32_e32 v22, 29, v57
	v_cndmask_b32_e32 v24, v44, v54, vcc
	v_mov_b32_e32 v44, 24
	v_cndmask_b32_e32 v22, v56, v22, vcc
	v_lshlrev_b32_sdwa v44, v44, v25 dst_sel:DWORD dst_unused:UNUSED_PAD src0_sel:DWORD src1_sel:WORD_1
	v_bfrev_b32_e32 v54, 60
	v_lshlrev_b32_e32 v24, 20, v24
	v_and_b32_e32 v44, 0x80000000, v44
	v_lshl_add_u32 v22, v22, 23, v54
	v_or3_b32 v22, v44, v22, v24
	v_lshrrev_b32_e32 v54, 16, v22
.LBB869_389:
	s_or_b64 exec, exec, s[10:11]
.LBB869_390:
	s_or_b64 exec, exec, s[8:9]
.LBB869_391:
	s_or_b64 exec, exec, s[2:3]
	s_mov_b32 s2, 0xffffff
	v_and_b32_e32 v44, 63, v0
	v_cmp_lt_u32_e32 vcc, s2, v25
	v_mov_b32_e32 v55, 0
	s_and_saveexec_b64 s[2:3], vcc
	s_cbranch_execz .LBB869_397
; %bb.392:
	v_lshrrev_b32_e32 v22, 24, v25
	s_movk_i32 s8, 0x80
	v_cmp_ne_u32_e32 vcc, s8, v22
	v_mov_b32_e32 v55, 0xffff8000
	s_and_saveexec_b64 s[8:9], vcc
	s_cbranch_execz .LBB869_396
; %bb.393:
	v_bfe_u32 v24, v25, 24, 7
	s_movk_i32 s10, 0x7f
	v_cmp_ne_u32_e32 vcc, s10, v24
	v_mov_b32_e32 v55, 0x7f80
	s_and_saveexec_b64 s[10:11], vcc
	s_cbranch_execz .LBB869_395
; %bb.394:
	v_and_b32_e32 v25, 7, v22
	v_ffbh_u32_e32 v56, v25
	v_min_u32_e32 v58, 32, v56
	v_subrev_u32_e32 v56, 28, v58
	v_lshlrev_b64 v[56:57], v56, v[22:23]
	v_lshrrev_b32_e32 v55, 3, v24
	v_sub_u32_e32 v57, 29, v58
	v_and_b32_e32 v56, 7, v56
	v_cmp_gt_u32_e32 vcc, 8, v24
	v_cndmask_b32_e32 v24, v55, v57, vcc
	v_cndmask_b32_e32 v25, v25, v56, vcc
	v_lshlrev_b32_e32 v22, 24, v22
	v_bfrev_b32_e32 v55, 60
	v_lshlrev_b32_e32 v25, 20, v25
	v_and_b32_e32 v22, 0x80000000, v22
	v_lshl_add_u32 v24, v24, 23, v55
	v_or3_b32 v22, v22, v24, v25
	v_lshrrev_b32_e32 v55, 16, v22
.LBB869_395:
	s_or_b64 exec, exec, s[10:11]
.LBB869_396:
	s_or_b64 exec, exec, s[8:9]
.LBB869_397:
	s_or_b64 exec, exec, s[2:3]
	s_mov_b32 s3, 0x5040100
	v_perm_b32 v43, v52, v43, s3
	v_perm_b32 v42, v23, v42, s3
	s_load_dword s2, s[4:5], 0x1c
	s_mov_b32 s46, 0xff7fffff
	s_waitcnt lgkmcnt(0)
	v_mfma_f32_16x16x16bf16_1k v[26:29], v[42:43], v[18:19], v[26:29]
	v_perm_b32 v19, v55, v54, s3
	v_perm_b32 v18, v53, v45, s3
	v_mov_b32_e32 v22, s2
	v_mul_f32_e32 v52, s12, v22
	v_pk_mul_f32 v[22:23], v[52:53], v[32:33] op_sel_hi:[0,1]
	v_pk_mul_f32 v[32:33], v[52:53], v[38:39] op_sel_hi:[0,1]
	v_and_b32_e32 v38, 0xc0, v0
	v_mfma_f32_16x16x16bf16_1k v[26:29], v[18:19], v[20:21], v[26:29]
	v_add_u32_e32 v38, s18, v38
	v_lshl_or_b32 v38, v1, 2, v38
	v_or_b32_e32 v39, 1, v38
	v_pk_mul_f32 v[24:25], v[52:53], v[30:31] op_sel_hi:[0,1]
	v_pk_mul_f32 v[30:31], v[52:53], v[40:41] op_sel_hi:[0,1]
	v_subrev_u32_e32 v40, s33, v39
	v_pk_mul_f32 v[34:35], v[52:53], v[34:35] op_sel_hi:[0,1]
	s_nop 3
	v_pk_mul_f32 v[20:21], v[52:53], v[26:27] op_sel_hi:[0,1]
	v_add_u32_e32 v27, 1, v40
	v_pk_mul_f32 v[18:19], v[52:53], v[28:29] op_sel_hi:[0,1]
	v_cvt_f32_i32_e32 v27, v27
	v_add_u32_e32 v29, 3, v40
	v_cvt_f32_i32_e32 v29, v29
	v_cvt_f32_i32_e32 v26, v40
	v_pk_mul_f32 v[36:37], v[52:53], v[36:37] op_sel_hi:[0,1]
	v_fmac_f32_e32 v35, v51, v27
	v_add_u32_e32 v27, 16, v40
	v_fmac_f32_e32 v37, v51, v29
	v_cvt_f32_i32_e32 v27, v27
	v_add_u32_e32 v29, 17, v40
	v_fma_f32 v26, v51, v26, v34
	v_cvt_f32_i32_e32 v29, v29
	v_add_u32_e32 v34, 18, v40
	v_cvt_f32_i32_e32 v34, v34
	v_fma_f32 v41, v51, v27, v32
	v_add_u32_e32 v27, 32, v40
	v_fmac_f32_e32 v33, v51, v29
	v_cvt_f32_i32_e32 v27, v27
	v_add_u32_e32 v29, 33, v40
	v_add_u32_e32 v32, 34, v40
	v_fma_f32 v30, v51, v34, v30
	v_cvt_f32_i32_e32 v29, v29
	v_cvt_f32_i32_e32 v32, v32
	v_add_u32_e32 v34, 35, v40
	v_cvt_f32_i32_e32 v34, v34
	v_fma_f32 v24, v51, v27, v24
	v_add_u32_e32 v27, 48, v40
	v_fmac_f32_e32 v25, v51, v29
	v_fma_f32 v22, v51, v32, v22
	v_cvt_f32_i32_e32 v27, v27
	v_add_u32_e32 v29, 49, v40
	v_add_u32_e32 v32, 50, v40
	v_fmac_f32_e32 v23, v51, v34
	v_cvt_f32_i32_e32 v29, v29
	v_cvt_f32_i32_e32 v32, v32
	v_add_u32_e32 v34, 51, v40
	v_add_u32_e32 v28, 2, v40
	v_cvt_f32_i32_e32 v34, v34
	v_cvt_f32_i32_e32 v28, v28
	v_fma_f32 v20, v51, v27, v20
	v_mov_b32_e32 v27, 0xff7fffff
	v_cmp_gt_i32_e64 s[26:27], s33, v38
	v_cmp_gt_i32_e64 s[28:29], s33, v39
	v_fmac_f32_e32 v21, v51, v29
	v_fma_f32 v18, v51, v32, v18
	v_cndmask_b32_e64 v29, v27, v26, s[26:27]
	v_cndmask_b32_e64 v32, v27, v35, s[28:29]
	v_fmac_f32_e32 v19, v51, v34
	v_max3_f32 v29, v29, s46, v32
	v_or_b32_e32 v32, 2, v38
	v_or_b32_e32 v34, 3, v38
	v_fma_f32 v28, v51, v28, v36
	v_cmp_gt_i32_e64 s[30:31], s33, v32
	v_cmp_gt_i32_e64 s[34:35], s33, v34
	v_add_u32_e32 v36, 19, v40
	v_cndmask_b32_e64 v32, v27, v28, s[30:31]
	v_cndmask_b32_e64 v34, v27, v37, s[34:35]
	v_cvt_f32_i32_e32 v36, v36
	v_max3_f32 v29, v29, v32, v34
	v_or_b32_e32 v32, 16, v38
	v_or_b32_e32 v34, 17, v38
	v_cmp_gt_i32_e64 s[36:37], s33, v32
	v_cmp_gt_i32_e64 s[38:39], s33, v34
	v_cndmask_b32_e64 v32, v27, v41, s[36:37]
	v_cndmask_b32_e64 v34, v27, v33, s[38:39]
	v_max3_f32 v29, v29, v32, v34
	v_or_b32_e32 v32, 18, v38
	v_or_b32_e32 v34, 19, v38
	v_fmac_f32_e32 v31, v51, v36
	v_cmp_gt_i32_e64 s[20:21], s33, v32
	v_cmp_gt_i32_e64 s[22:23], s33, v34
	v_cndmask_b32_e64 v32, v27, v30, s[20:21]
	v_cndmask_b32_e64 v34, v27, v31, s[22:23]
	v_max3_f32 v29, v29, v32, v34
	v_or_b32_e32 v32, 32, v38
	v_or_b32_e32 v34, 33, v38
	v_cmp_gt_i32_e64 s[16:17], s33, v32
	v_cmp_gt_i32_e64 s[18:19], s33, v34
	v_cndmask_b32_e64 v32, v27, v24, s[16:17]
	v_cndmask_b32_e64 v34, v27, v25, s[18:19]
	v_max3_f32 v29, v29, v32, v34
	v_or_b32_e32 v32, 34, v38
	v_or_b32_e32 v34, 35, v38
	;; [unrolled: 7-line block ×4, first 2 shown]
	v_cmp_gt_i32_e32 vcc, s33, v32
	v_cmp_gt_i32_e64 s[2:3], s33, v34
	v_cndmask_b32_e32 v32, v27, v18, vcc
	v_cndmask_b32_e64 v27, v27, v19, s[2:3]
	v_max3_f32 v27, v29, v32, v27
	v_mbcnt_lo_u32_b32 v29, -1, 0
	v_mbcnt_hi_u32_b32 v29, -1, v29
	v_and_b32_e32 v32, 64, v29
	v_add_u32_e32 v32, 64, v32
	v_xor_b32_e32 v34, 32, v29
	v_cmp_lt_i32_e64 s[40:41], v34, v32
	v_cndmask_b32_e64 v34, v29, v34, s[40:41]
	v_lshlrev_b32_e32 v36, 2, v34
	ds_bpermute_b32 v34, v36, v27
	s_barrier
	s_waitcnt lgkmcnt(0)
	v_max_f32_e32 v34, v34, v34
	v_max_f32_e32 v27, v27, v34
	v_xor_b32_e32 v34, 16, v29
	v_cmp_lt_i32_e64 s[40:41], v34, v32
	v_cndmask_b32_e64 v29, v29, v34, s[40:41]
	v_lshlrev_b32_e32 v38, 2, v29
	ds_bpermute_b32 v29, v38, v27
	s_waitcnt lgkmcnt(0)
	v_max_f32_e32 v29, v29, v29
	v_max_f32_e32 v32, v27, v29
	v_sub_f32_e32 v26, v26, v32
	v_mul_f32_e32 v26, 0x3fb8aa3b, v26
	v_sub_f32_e32 v27, v35, v32
	v_exp_f32_e32 v26, v26
	v_mul_f32_e32 v27, 0x3fb8aa3b, v27
	v_sub_f32_e32 v28, v28, v32
	v_exp_f32_e32 v27, v27
	v_mul_f32_e32 v28, 0x3fb8aa3b, v28
	v_exp_f32_e32 v28, v28
	v_cndmask_b32_e64 v26, 0, v26, s[26:27]
	v_sub_f32_e32 v34, v37, v32
	v_add_f32_e32 v29, 0, v26
	v_cndmask_b32_e64 v27, 0, v27, s[28:29]
	v_mul_f32_e32 v34, 0x3fb8aa3b, v34
	v_exp_f32_e32 v35, v34
	v_add_f32_e32 v29, v29, v27
	v_cndmask_b32_e64 v34, 0, v28, s[30:31]
	v_add_f32_e32 v28, v29, v34
	v_sub_f32_e32 v29, v41, v32
	v_mul_f32_e32 v29, 0x3fb8aa3b, v29
	v_sub_f32_e32 v33, v33, v32
	v_exp_f32_e32 v29, v29
	v_mul_f32_e32 v33, 0x3fb8aa3b, v33
	v_sub_f32_e32 v30, v30, v32
	v_exp_f32_e32 v33, v33
	;; [unrolled: 3-line block ×3, first 2 shown]
	v_mul_f32_e32 v31, 0x3fb8aa3b, v31
	v_sub_f32_e32 v24, v24, v32
	v_cndmask_b32_e64 v35, 0, v35, s[34:35]
	v_exp_f32_e32 v31, v31
	v_mul_f32_e32 v24, 0x3fb8aa3b, v24
	v_sub_f32_e32 v25, v25, v32
	v_add_f32_e32 v37, v28, v35
	v_cndmask_b32_e64 v28, 0, v29, s[36:37]
	v_exp_f32_e32 v24, v24
	v_mul_f32_e32 v25, 0x3fb8aa3b, v25
	v_sub_f32_e32 v22, v22, v32
	v_add_f32_e32 v37, v37, v28
	;; [unrolled: 5-line block ×7, first 2 shown]
	v_cndmask_b32_e64 v22, 0, v22, s[12:13]
	v_exp_f32_e32 v18, v18
	v_mul_f32_e32 v19, 0x3fb8aa3b, v19
	v_add_f32_e32 v33, v33, v22
	v_cndmask_b32_e64 v23, 0, v23, s[14:15]
	v_exp_f32_e32 v19, v19
	v_add_f32_e32 v33, v33, v23
	v_cndmask_b32_e64 v20, 0, v20, s[8:9]
	v_add_f32_e32 v33, v33, v20
	v_cndmask_b32_e64 v21, 0, v21, s[10:11]
	v_add_f32_e32 v33, v33, v21
	v_cndmask_b32_e32 v18, 0, v18, vcc
	v_add_f32_e32 v33, v33, v18
	v_cndmask_b32_e64 v19, 0, v19, s[2:3]
	v_add_f32_e32 v33, v33, v19
	ds_bpermute_b32 v36, v36, v33
	v_cmp_gt_u32_e32 vcc, 16, v44
	s_waitcnt lgkmcnt(0)
	v_add_f32_e32 v36, v33, v36
	ds_bpermute_b32 v37, v38, v36
	v_lshlrev_b32_e32 v33, 2, v50
	s_and_saveexec_b64 s[2:3], vcc
	s_cbranch_execz .LBB869_399
; %bb.398:
	s_waitcnt lgkmcnt(0)
	v_add_f32_e32 v36, v36, v37
	v_lshl_or_b32 v37, v49, 6, v33
	ds_write2st64_b32 v37, v32, v36 offset1:1
.LBB869_399:
	s_or_b64 exec, exec, s[2:3]
	s_waitcnt lgkmcnt(0)
	s_barrier
	ds_read2_b32 v[36:37], v33 offset1:16
	ds_read2_b32 v[38:39], v33 offset0:32 offset1:48
	ds_read2_b32 v[40:41], v33 offset0:64 offset1:80
	s_lshl_b32 s12, s45, 3
	s_waitcnt lgkmcnt(2)
	v_max3_f32 v32, v36, s46, v37
	s_waitcnt lgkmcnt(1)
	v_max3_f32 v32, v32, v38, v39
	v_sub_f32_e32 v36, v36, v32
	v_mul_f32_e32 v36, 0x3fb8aa3b, v36
	v_exp_f32_e32 v42, v36
	v_sub_f32_e32 v36, v37, v32
	v_mul_f32_e32 v36, 0x3fb8aa3b, v36
	v_exp_f32_e32 v43, v36
	;; [unrolled: 3-line block ×3, first 2 shown]
	ds_read2_b32 v[36:37], v33 offset0:96 offset1:112
	v_sub_f32_e32 v33, v39, v32
	v_mul_f32_e32 v33, 0x3fb8aa3b, v33
	v_exp_f32_e32 v39, v33
	s_waitcnt lgkmcnt(1)
	v_fma_f32 v33, v42, v40, 0
	v_fmac_f32_e32 v33, v43, v41
	s_waitcnt lgkmcnt(0)
	v_fmac_f32_e32 v33, v38, v36
	v_fmac_f32_e32 v33, v39, v37
	v_add_f32_e32 v36, 0x358637bd, v33
	v_div_scale_f32 v37, s[2:3], v36, v36, 1.0
	v_rcp_f32_e32 v40, v37
	s_movk_i32 s2, 0x7fff
	s_mov_b32 s3, 0x7060302
	v_fma_f32 v41, -v37, v40, 1.0
	v_fmac_f32_e32 v40, v41, v40
	v_div_scale_f32 v41, vcc, 1.0, v36, 1.0
	v_mul_f32_e32 v44, v41, v40
	v_fma_f32 v45, -v37, v44, v41
	v_fmac_f32_e32 v44, v45, v40
	v_fma_f32 v37, -v37, v44, v41
	v_div_fmas_f32 v37, v37, v40, v44
	v_cmp_eq_u32_e32 vcc, 1, v49
	v_div_fixup_f32 v36, v37, v36, 1.0
	v_cndmask_b32_e32 v37, v42, v43, vcc
	v_cmp_eq_u32_e32 vcc, 2, v49
	v_cndmask_b32_e32 v37, v37, v38, vcc
	v_cmp_eq_u32_e32 vcc, 3, v49
	v_cndmask_b32_e32 v37, v37, v39, vcc
	v_mul_f32_e32 v36, v37, v36
	v_pk_mul_f32 v[26:27], v[36:37], v[26:27] op_sel_hi:[0,1]
	v_pk_mul_f32 v[34:35], v[36:37], v[34:35] op_sel_hi:[0,1]
	v_bfe_u32 v37, v27, 16, 1
	v_bfe_u32 v38, v26, 16, 1
	v_add3_u32 v26, v26, v38, s2
	v_add3_u32 v27, v27, v37, s2
	v_perm_b32 v38, v27, v26, s3
	v_bfe_u32 v26, v35, 16, 1
	v_bfe_u32 v27, v34, 16, 1
	v_add3_u32 v27, v34, v27, s2
	v_add3_u32 v26, v35, v26, s2
	v_perm_b32 v39, v26, v27, s3
	v_lshlrev_b32_e32 v26, 3, v1
	v_lshlrev_b32_e32 v27, 11, v49
	v_pk_mul_f32 v[28:29], v[36:37], v[28:29] op_sel_hi:[0,1]
	v_or3_b32 v26, v27, v48, v26
	v_bfe_u32 v27, v29, 16, 1
	v_bfe_u32 v34, v28, 16, 1
	v_pk_mul_f32 v[30:31], v[36:37], v[30:31] op_sel_hi:[0,1]
	v_add3_u32 v28, v28, v34, s2
	v_add3_u32 v27, v29, v27, s2
	v_perm_b32 v28, v27, v28, s3
	v_bfe_u32 v27, v31, 16, 1
	v_bfe_u32 v29, v30, 16, 1
	v_add3_u32 v29, v30, v29, s2
	v_add3_u32 v27, v31, v27, s2
	v_perm_b32 v29, v27, v29, s3
	v_pk_mul_f32 v[24:25], v[36:37], v[24:25] op_sel_hi:[0,1]
	s_barrier
	ds_write2st64_b64 v26, v[38:39], v[28:29] offset1:1
	v_bfe_u32 v27, v25, 16, 1
	v_bfe_u32 v28, v24, 16, 1
	v_pk_mul_f32 v[22:23], v[36:37], v[22:23] op_sel_hi:[0,1]
	v_add3_u32 v24, v24, v28, s2
	v_add3_u32 v25, v25, v27, s2
	v_perm_b32 v24, v25, v24, s3
	v_bfe_u32 v25, v23, 16, 1
	v_bfe_u32 v27, v22, 16, 1
	v_add3_u32 v22, v22, v27, s2
	v_add3_u32 v23, v23, v25, s2
	v_pk_mul_f32 v[20:21], v[36:37], v[20:21] op_sel_hi:[0,1]
	v_perm_b32 v25, v23, v22, s3
	v_bfe_u32 v22, v21, 16, 1
	v_bfe_u32 v23, v20, 16, 1
	v_pk_mul_f32 v[18:19], v[36:37], v[18:19] op_sel_hi:[0,1]
	v_add3_u32 v20, v20, v23, s2
	v_add3_u32 v21, v21, v22, s2
	v_perm_b32 v20, v21, v20, s3
	v_bfe_u32 v21, v19, 16, 1
	v_bfe_u32 v22, v18, 16, 1
	v_add3_u32 v18, v18, v22, s2
	v_add3_u32 v19, v19, v21, s2
	v_perm_b32 v21, v19, v18, s3
	v_cmp_gt_u32_e32 vcc, 8, v0
	ds_write2st64_b64 v26, v[24:25], v[20:21] offset0:2 offset1:3
	s_and_saveexec_b64 s[2:3], vcc
	s_cbranch_execz .LBB869_401
; %bb.400:
	v_or_b32_e32 v18, s25, v0
	v_mov_b32_e32 v19, 0
	v_mov_b32_e32 v20, s12
	v_mad_u64_u32 v[20:21], s[14:15], s6, v20, v[18:19]
	v_mov_b32_e32 v18, s24
	s_load_dwordx4 s[8:11], s[4:5], 0x58
	s_mul_i32 s7, s7, s12
	v_mad_u64_u32 v[18:19], s[14:15], v20, s44, v[18:19]
	v_add_u32_e32 v21, s7, v21
	v_mov_b32_e32 v20, v19
	v_mad_u64_u32 v[20:21], s[14:15], v21, s44, v[20:21]
	v_mov_b32_e32 v19, v20
	v_lshlrev_b64 v[18:19], 2, v[18:19]
	s_waitcnt lgkmcnt(0)
	v_mov_b32_e32 v21, s11
	v_add_co_u32_e32 v20, vcc, s10, v18
	v_addc_co_u32_e32 v21, vcc, v21, v19, vcc
	global_store_dword v[20:21], v32, off
	v_mov_b32_e32 v20, s9
	v_add_co_u32_e32 v18, vcc, s8, v18
	v_addc_co_u32_e32 v19, vcc, v20, v19, vcc
	global_store_dword v[18:19], v33, off
.LBB869_401:
	s_or_b64 exec, exec, s[2:3]
	v_mov_b32_e32 v19, 0
	s_waitcnt vmcnt(3)
	v_cmp_ne_u16_sdwa s[8:9], v14, v19 src0_sel:BYTE_0 src1_sel:DWORD
	v_mov_b32_e32 v20, 0
	s_waitcnt lgkmcnt(0)
	s_barrier
	s_and_saveexec_b64 s[2:3], s[8:9]
	s_cbranch_execz .LBB869_407
; %bb.402:
	s_movk_i32 s7, 0x80
	v_cmp_ne_u16_sdwa s[10:11], v14, s7 src0_sel:BYTE_0 src1_sel:DWORD
	v_mov_b32_e32 v20, 0xffff8000
	s_and_saveexec_b64 s[8:9], s[10:11]
	s_cbranch_execz .LBB869_406
; %bb.403:
	s_movk_i32 s7, 0x7f
	v_and_b32_e32 v18, 0x7f, v14
	v_cmp_ne_u32_e32 vcc, s7, v18
	v_mov_b32_e32 v20, 0x7f80
	s_and_saveexec_b64 s[10:11], vcc
	s_cbranch_execz .LBB869_405
; %bb.404:
	v_and_b32_e32 v22, 7, v14
	v_ffbh_u32_e32 v20, v22
	v_min_u32_e32 v24, 32, v20
	v_subrev_u32_e32 v20, 28, v24
	v_lshlrev_b64 v[20:21], v20, v[14:15]
	v_lshrrev_b32_e32 v23, 3, v18
	v_sub_u32_e32 v21, 29, v24
	v_and_b32_e32 v20, 7, v20
	v_cmp_gt_u32_e32 vcc, 8, v18
	v_cndmask_b32_e32 v18, v23, v21, vcc
	v_cndmask_b32_e32 v20, v22, v20, vcc
	v_lshlrev_b32_e32 v21, 24, v14
	v_bfrev_b32_e32 v22, 60
	v_lshlrev_b32_e32 v20, 20, v20
	v_and_b32_e32 v21, 0x80000000, v21
	v_lshl_add_u32 v18, v18, 23, v22
	v_or3_b32 v18, v21, v18, v20
	v_lshrrev_b32_e32 v20, 16, v18
.LBB869_405:
	s_or_b64 exec, exec, s[10:11]
.LBB869_406:
	s_or_b64 exec, exec, s[8:9]
.LBB869_407:
	s_or_b64 exec, exec, s[2:3]
	v_lshrrev_b16_e32 v18, 8, v14
	v_cmp_ne_u16_e32 vcc, 0, v18
	s_and_saveexec_b64 s[2:3], vcc
	s_cbranch_execz .LBB869_413
; %bb.408:
	s_movk_i32 s7, 0x80
	v_cmp_ne_u16_e32 vcc, s7, v18
	v_mov_b32_e32 v19, 0xffff8000
	s_and_saveexec_b64 s[8:9], vcc
	s_cbranch_execz .LBB869_412
; %bb.409:
	s_movk_i32 s7, 0x7f
	v_and_b32_e32 v21, 0x7f, v18
	v_cmp_ne_u32_e32 vcc, s7, v21
	v_mov_b32_e32 v19, 0x7f80
	s_and_saveexec_b64 s[10:11], vcc
	s_cbranch_execz .LBB869_411
; %bb.410:
	v_and_b32_e32 v22, 7, v18
	v_ffbh_u32_e32 v19, v22
	v_min_u32_e32 v24, 32, v19
	v_subrev_u32_e32 v19, 28, v24
	v_lshlrev_b64 v[18:19], v19, v[18:19]
	v_lshrrev_b32_e32 v23, 3, v21
	v_sub_u32_e32 v19, 29, v24
	v_and_b32_e32 v18, 7, v18
	v_cmp_gt_u32_e32 vcc, 8, v21
	v_cndmask_b32_e32 v19, v23, v19, vcc
	v_cndmask_b32_e32 v18, v22, v18, vcc
	v_lshlrev_b32_e32 v21, 16, v14
	v_bfrev_b32_e32 v22, 60
	v_lshlrev_b32_e32 v18, 20, v18
	v_and_b32_e32 v21, 0x80000000, v21
	v_lshl_add_u32 v19, v19, 23, v22
	v_or3_b32 v18, v21, v19, v18
	v_lshrrev_b32_e32 v19, 16, v18
.LBB869_411:
	s_or_b64 exec, exec, s[10:11]
.LBB869_412:
	s_or_b64 exec, exec, s[8:9]
.LBB869_413:
	s_or_b64 exec, exec, s[2:3]
	s_movk_i32 s2, 0xff
	v_and_b32_sdwa v23, v14, s2 dst_sel:DWORD dst_unused:UNUSED_PAD src0_sel:WORD_1 src1_sel:DWORD
	v_lshrrev_b32_e32 v18, 16, v14
	v_cmp_ne_u16_e32 vcc, 0, v23
	v_mov_b32_e32 v21, 0
	v_mov_b32_e32 v22, 0
	s_and_saveexec_b64 s[2:3], vcc
	s_cbranch_execz .LBB869_419
; %bb.414:
	s_movk_i32 s7, 0x80
	v_cmp_ne_u16_e32 vcc, s7, v23
	v_mov_b32_e32 v22, 0xffff8000
	s_and_saveexec_b64 s[8:9], vcc
	s_cbranch_execz .LBB869_418
; %bb.415:
	v_bfe_u32 v23, v14, 16, 7
	s_movk_i32 s7, 0x7f
	v_cmp_ne_u32_e32 vcc, s7, v23
	v_mov_b32_e32 v22, 0x7f80
	s_and_saveexec_b64 s[10:11], vcc
	s_cbranch_execz .LBB869_417
; %bb.416:
	v_and_b32_e32 v22, 7, v18
	v_ffbh_u32_e32 v24, v22
	v_min_u32_e32 v28, 32, v24
	v_subrev_u32_e32 v24, 28, v28
	v_lshlrev_b64 v[24:25], v24, v[18:19]
	v_lshrrev_b32_e32 v27, 3, v23
	v_sub_u32_e32 v18, 29, v28
	v_and_b32_e32 v24, 7, v24
	v_cmp_gt_u32_e32 vcc, 8, v23
	v_mov_b32_e32 v23, 24
	v_cndmask_b32_e32 v18, v27, v18, vcc
	v_cndmask_b32_e32 v22, v22, v24, vcc
	v_lshlrev_b32_sdwa v23, v23, v14 dst_sel:DWORD dst_unused:UNUSED_PAD src0_sel:DWORD src1_sel:WORD_1
	v_bfrev_b32_e32 v24, 60
	v_lshlrev_b32_e32 v22, 20, v22
	v_and_b32_e32 v23, 0x80000000, v23
	v_lshl_add_u32 v18, v18, 23, v24
	v_or3_b32 v18, v23, v18, v22
	v_lshrrev_b32_e32 v22, 16, v18
.LBB869_417:
	s_or_b64 exec, exec, s[10:11]
.LBB869_418:
	s_or_b64 exec, exec, s[8:9]
.LBB869_419:
	s_or_b64 exec, exec, s[2:3]
	s_mov_b32 s2, 0xffffff
	v_cmp_lt_u32_e32 vcc, s2, v14
	s_and_saveexec_b64 s[2:3], vcc
	s_cbranch_execz .LBB869_425
; %bb.420:
	v_lshrrev_b32_e32 v18, 24, v14
	s_movk_i32 s7, 0x80
	v_cmp_ne_u32_e32 vcc, s7, v18
	v_mov_b32_e32 v21, 0xffff8000
	s_and_saveexec_b64 s[8:9], vcc
	s_cbranch_execz .LBB869_424
; %bb.421:
	v_bfe_u32 v14, v14, 24, 7
	s_movk_i32 s7, 0x7f
	v_cmp_ne_u32_e32 vcc, s7, v14
	v_mov_b32_e32 v21, 0x7f80
	s_and_saveexec_b64 s[10:11], vcc
	s_cbranch_execz .LBB869_423
; %bb.422:
	v_and_b32_e32 v21, 7, v18
	v_ffbh_u32_e32 v24, v21
	v_min_u32_e32 v27, 32, v24
	v_subrev_u32_e32 v24, 28, v27
	v_lshlrev_b64 v[24:25], v24, v[18:19]
	v_lshrrev_b32_e32 v23, 3, v14
	v_sub_u32_e32 v25, 29, v27
	v_and_b32_e32 v24, 7, v24
	v_cmp_gt_u32_e32 vcc, 8, v14
	v_cndmask_b32_e32 v14, v23, v25, vcc
	v_cndmask_b32_e32 v21, v21, v24, vcc
	v_lshlrev_b32_e32 v18, 24, v18
	v_bfrev_b32_e32 v23, 60
	v_lshlrev_b32_e32 v21, 20, v21
	v_and_b32_e32 v18, 0x80000000, v18
	v_lshl_add_u32 v14, v14, 23, v23
	v_or3_b32 v14, v18, v14, v21
	v_lshrrev_b32_e32 v21, 16, v14
.LBB869_423:
	s_or_b64 exec, exec, s[10:11]
.LBB869_424:
	s_or_b64 exec, exec, s[8:9]
.LBB869_425:
	s_or_b64 exec, exec, s[2:3]
	v_mov_b32_e32 v18, 0
	v_cmp_ne_u16_sdwa s[8:9], v15, v18 src0_sel:BYTE_0 src1_sel:DWORD
	v_mov_b32_e32 v23, 0
	s_and_saveexec_b64 s[2:3], s[8:9]
	s_cbranch_execz .LBB869_431
; %bb.426:
	s_movk_i32 s7, 0x80
	v_cmp_ne_u16_sdwa s[10:11], v15, s7 src0_sel:BYTE_0 src1_sel:DWORD
	v_mov_b32_e32 v23, 0xffff8000
	s_and_saveexec_b64 s[8:9], s[10:11]
	s_cbranch_execz .LBB869_430
; %bb.427:
	s_movk_i32 s7, 0x7f
	v_and_b32_e32 v14, 0x7f, v15
	v_cmp_ne_u32_e32 vcc, s7, v14
	v_mov_b32_e32 v23, 0x7f80
	s_and_saveexec_b64 s[10:11], vcc
	s_cbranch_execz .LBB869_429
; %bb.428:
	v_and_b32_e32 v23, 7, v15
	v_ffbh_u32_e32 v25, v23
	v_min_u32_e32 v28, 32, v25
	v_mov_b32_e32 v24, v15
	v_subrev_u32_e32 v25, 28, v28
	v_lshlrev_b64 v[24:25], v25, v[24:25]
	v_lshrrev_b32_e32 v27, 3, v14
	v_sub_u32_e32 v25, 29, v28
	v_and_b32_e32 v24, 7, v24
	v_cmp_gt_u32_e32 vcc, 8, v14
	v_cndmask_b32_e32 v14, v27, v25, vcc
	v_cndmask_b32_e32 v23, v23, v24, vcc
	v_lshlrev_b32_e32 v24, 24, v15
	v_bfrev_b32_e32 v25, 60
	v_lshlrev_b32_e32 v23, 20, v23
	v_and_b32_e32 v24, 0x80000000, v24
	v_lshl_add_u32 v14, v14, 23, v25
	v_or3_b32 v14, v24, v14, v23
	v_lshrrev_b32_e32 v23, 16, v14
.LBB869_429:
	s_or_b64 exec, exec, s[10:11]
.LBB869_430:
	s_or_b64 exec, exec, s[8:9]
.LBB869_431:
	s_or_b64 exec, exec, s[2:3]
	v_lshrrev_b16_e32 v14, 8, v15
	v_cmp_ne_u16_e32 vcc, 0, v14
	s_and_saveexec_b64 s[2:3], vcc
	s_cbranch_execz .LBB869_437
; %bb.432:
	s_movk_i32 s7, 0x80
	v_cmp_ne_u16_e32 vcc, s7, v14
	v_mov_b32_e32 v18, 0xffff8000
	s_and_saveexec_b64 s[8:9], vcc
	s_cbranch_execz .LBB869_436
; %bb.433:
	s_movk_i32 s7, 0x7f
	v_and_b32_e32 v24, 0x7f, v14
	v_cmp_ne_u32_e32 vcc, s7, v24
	v_mov_b32_e32 v18, 0x7f80
	s_and_saveexec_b64 s[10:11], vcc
	s_cbranch_execz .LBB869_435
; %bb.434:
	v_and_b32_e32 v18, 7, v14
	v_ffbh_u32_e32 v27, v18
	v_min_u32_e32 v27, 32, v27
	v_subrev_u32_e32 v28, 28, v27
	v_lshlrev_b64 v[28:29], v28, v[14:15]
	v_lshrrev_b32_e32 v25, 3, v24
	v_sub_u32_e32 v14, 29, v27
	v_and_b32_e32 v27, 7, v28
	v_cmp_gt_u32_e32 vcc, 8, v24
	v_cndmask_b32_e32 v14, v25, v14, vcc
	v_cndmask_b32_e32 v18, v18, v27, vcc
	v_lshlrev_b32_e32 v24, 16, v15
	v_bfrev_b32_e32 v25, 60
	v_lshlrev_b32_e32 v18, 20, v18
	v_and_b32_e32 v24, 0x80000000, v24
	v_lshl_add_u32 v14, v14, 23, v25
	v_or3_b32 v14, v24, v14, v18
	v_lshrrev_b32_e32 v18, 16, v14
.LBB869_435:
	s_or_b64 exec, exec, s[10:11]
.LBB869_436:
	s_or_b64 exec, exec, s[8:9]
.LBB869_437:
	s_or_b64 exec, exec, s[2:3]
	s_movk_i32 s2, 0xff
	v_and_b32_sdwa v27, v15, s2 dst_sel:DWORD dst_unused:UNUSED_PAD src0_sel:WORD_1 src1_sel:DWORD
	v_lshrrev_b32_e32 v14, 16, v15
	v_cmp_ne_u16_e32 vcc, 0, v27
	v_mov_b32_e32 v24, 0
	v_mov_b32_e32 v25, 0
	s_and_saveexec_b64 s[2:3], vcc
	s_cbranch_execz .LBB869_443
; %bb.438:
	s_movk_i32 s7, 0x80
	v_cmp_ne_u16_e32 vcc, s7, v27
	v_mov_b32_e32 v25, 0xffff8000
	s_and_saveexec_b64 s[8:9], vcc
	s_cbranch_execz .LBB869_442
; %bb.439:
	v_bfe_u32 v27, v15, 16, 7
	s_movk_i32 s7, 0x7f
	v_cmp_ne_u32_e32 vcc, s7, v27
	v_mov_b32_e32 v25, 0x7f80
	s_and_saveexec_b64 s[10:11], vcc
	s_cbranch_execz .LBB869_441
; %bb.440:
	v_and_b32_e32 v25, 7, v14
	v_ffbh_u32_e32 v28, v25
	v_min_u32_e32 v31, 32, v28
	v_subrev_u32_e32 v28, 28, v31
	v_lshlrev_b64 v[28:29], v28, v[14:15]
	v_lshrrev_b32_e32 v30, 3, v27
	v_sub_u32_e32 v14, 29, v31
	v_and_b32_e32 v28, 7, v28
	v_cmp_gt_u32_e32 vcc, 8, v27
	v_mov_b32_e32 v27, 24
	v_cndmask_b32_e32 v14, v30, v14, vcc
	v_cndmask_b32_e32 v25, v25, v28, vcc
	v_lshlrev_b32_sdwa v27, v27, v15 dst_sel:DWORD dst_unused:UNUSED_PAD src0_sel:DWORD src1_sel:WORD_1
	v_bfrev_b32_e32 v28, 60
	v_lshlrev_b32_e32 v25, 20, v25
	v_and_b32_e32 v27, 0x80000000, v27
	v_lshl_add_u32 v14, v14, 23, v28
	v_or3_b32 v14, v27, v14, v25
	v_lshrrev_b32_e32 v25, 16, v14
.LBB869_441:
	s_or_b64 exec, exec, s[10:11]
.LBB869_442:
	s_or_b64 exec, exec, s[8:9]
.LBB869_443:
	s_or_b64 exec, exec, s[2:3]
	s_mov_b32 s2, 0xffffff
	v_cmp_lt_u32_e32 vcc, s2, v15
	s_and_saveexec_b64 s[2:3], vcc
	s_cbranch_execz .LBB869_449
; %bb.444:
	v_lshrrev_b32_e32 v14, 24, v15
	s_movk_i32 s7, 0x80
	v_cmp_ne_u32_e32 vcc, s7, v14
	v_mov_b32_e32 v24, 0xffff8000
	s_and_saveexec_b64 s[8:9], vcc
	s_cbranch_execz .LBB869_448
; %bb.445:
	v_bfe_u32 v15, v15, 24, 7
	s_movk_i32 s7, 0x7f
	v_cmp_ne_u32_e32 vcc, s7, v15
	v_mov_b32_e32 v24, 0x7f80
	s_and_saveexec_b64 s[10:11], vcc
	s_cbranch_execz .LBB869_447
; %bb.446:
	v_and_b32_e32 v24, 7, v14
	v_ffbh_u32_e32 v28, v24
	v_min_u32_e32 v30, 32, v28
	v_subrev_u32_e32 v28, 28, v30
	v_lshlrev_b64 v[28:29], v28, v[14:15]
	v_lshrrev_b32_e32 v27, 3, v15
	v_sub_u32_e32 v29, 29, v30
	v_and_b32_e32 v28, 7, v28
	v_cmp_gt_u32_e32 vcc, 8, v15
	v_cndmask_b32_e32 v15, v27, v29, vcc
	v_cndmask_b32_e32 v24, v24, v28, vcc
	v_lshlrev_b32_e32 v14, 24, v14
	v_bfrev_b32_e32 v27, 60
	v_lshlrev_b32_e32 v24, 20, v24
	v_and_b32_e32 v14, 0x80000000, v14
	v_lshl_add_u32 v15, v15, 23, v27
	v_or3_b32 v14, v14, v15, v24
	v_lshrrev_b32_e32 v24, 16, v14
.LBB869_447:
	s_or_b64 exec, exec, s[10:11]
.LBB869_448:
	s_or_b64 exec, exec, s[8:9]
.LBB869_449:
	s_or_b64 exec, exec, s[2:3]
	s_mov_b32 s2, 0x5040100
	v_perm_b32 v15, v21, v22, s2
	v_lshl_or_b32 v22, v1, 9, v48
	v_perm_b32 v14, v19, v20, s2
	ds_read_b128 v[28:31], v22
	v_perm_b32 v19, v24, v25, s2
	v_perm_b32 v18, v18, v23, s2
	s_waitcnt lgkmcnt(0)
	v_mfma_f32_16x16x16bf16_1k v[32:35], v[14:15], v[28:29], 0
	v_mov_b32_e32 v15, 0
	v_cmp_ne_u16_sdwa s[8:9], v16, v15 src0_sel:BYTE_0 src1_sel:DWORD
	v_mov_b32_e32 v23, 0
	v_mfma_f32_16x16x16bf16_1k v[18:21], v[18:19], v[30:31], v[32:35]
	s_and_saveexec_b64 s[2:3], s[8:9]
	s_cbranch_execz .LBB869_455
; %bb.450:
	s_movk_i32 s7, 0x80
	v_cmp_ne_u16_sdwa s[10:11], v16, s7 src0_sel:BYTE_0 src1_sel:DWORD
	v_mov_b32_e32 v23, 0xffff8000
	s_and_saveexec_b64 s[8:9], s[10:11]
	s_cbranch_execz .LBB869_454
; %bb.451:
	s_movk_i32 s7, 0x7f
	v_and_b32_e32 v14, 0x7f, v16
	v_cmp_ne_u32_e32 vcc, s7, v14
	v_mov_b32_e32 v23, 0x7f80
	s_and_saveexec_b64 s[10:11], vcc
	s_cbranch_execz .LBB869_453
; %bb.452:
	v_and_b32_e32 v23, 7, v16
	v_ffbh_u32_e32 v24, v23
	v_min_u32_e32 v28, 32, v24
	v_subrev_u32_e32 v24, 28, v28
	v_lshlrev_b64 v[24:25], v24, v[16:17]
	v_lshrrev_b32_e32 v27, 3, v14
	v_sub_u32_e32 v25, 29, v28
	v_and_b32_e32 v24, 7, v24
	v_cmp_gt_u32_e32 vcc, 8, v14
	v_cndmask_b32_e32 v14, v27, v25, vcc
	v_cndmask_b32_e32 v23, v23, v24, vcc
	v_lshlrev_b32_e32 v24, 24, v16
	v_bfrev_b32_e32 v25, 60
	v_lshlrev_b32_e32 v23, 20, v23
	v_and_b32_e32 v24, 0x80000000, v24
	v_lshl_add_u32 v14, v14, 23, v25
	v_or3_b32 v14, v24, v14, v23
	v_lshrrev_b32_e32 v23, 16, v14
.LBB869_453:
	s_or_b64 exec, exec, s[10:11]
.LBB869_454:
	s_or_b64 exec, exec, s[8:9]
.LBB869_455:
	s_or_b64 exec, exec, s[2:3]
	v_lshrrev_b16_e32 v14, 8, v16
	v_cmp_ne_u16_e32 vcc, 0, v14
	s_and_saveexec_b64 s[2:3], vcc
	s_cbranch_execz .LBB869_461
; %bb.456:
	s_movk_i32 s7, 0x80
	v_cmp_ne_u16_e32 vcc, s7, v14
	v_mov_b32_e32 v15, 0xffff8000
	s_and_saveexec_b64 s[8:9], vcc
	s_cbranch_execz .LBB869_460
; %bb.457:
	s_movk_i32 s7, 0x7f
	v_and_b32_e32 v24, 0x7f, v14
	v_cmp_ne_u32_e32 vcc, s7, v24
	v_mov_b32_e32 v15, 0x7f80
	s_and_saveexec_b64 s[10:11], vcc
	s_cbranch_execz .LBB869_459
; %bb.458:
	v_and_b32_e32 v25, 7, v14
	v_ffbh_u32_e32 v15, v25
	v_min_u32_e32 v28, 32, v15
	v_subrev_u32_e32 v15, 28, v28
	v_lshlrev_b64 v[14:15], v15, v[14:15]
	v_lshrrev_b32_e32 v27, 3, v24
	v_sub_u32_e32 v15, 29, v28
	v_and_b32_e32 v14, 7, v14
	v_cmp_gt_u32_e32 vcc, 8, v24
	v_cndmask_b32_e32 v15, v27, v15, vcc
	v_cndmask_b32_e32 v14, v25, v14, vcc
	v_lshlrev_b32_e32 v24, 16, v16
	v_bfrev_b32_e32 v25, 60
	v_lshlrev_b32_e32 v14, 20, v14
	v_and_b32_e32 v24, 0x80000000, v24
	v_lshl_add_u32 v15, v15, 23, v25
	v_or3_b32 v14, v24, v15, v14
	v_lshrrev_b32_e32 v15, 16, v14
.LBB869_459:
	s_or_b64 exec, exec, s[10:11]
.LBB869_460:
	s_or_b64 exec, exec, s[8:9]
.LBB869_461:
	s_or_b64 exec, exec, s[2:3]
	s_movk_i32 s2, 0xff
	v_and_b32_sdwa v27, v16, s2 dst_sel:DWORD dst_unused:UNUSED_PAD src0_sel:WORD_1 src1_sel:DWORD
	v_lshrrev_b32_e32 v14, 16, v16
	v_cmp_ne_u16_e32 vcc, 0, v27
	v_mov_b32_e32 v24, 0
	v_mov_b32_e32 v25, 0
	s_and_saveexec_b64 s[2:3], vcc
	s_cbranch_execz .LBB869_467
; %bb.462:
	s_movk_i32 s7, 0x80
	v_cmp_ne_u16_e32 vcc, s7, v27
	v_mov_b32_e32 v25, 0xffff8000
	s_and_saveexec_b64 s[8:9], vcc
	s_cbranch_execz .LBB869_466
; %bb.463:
	v_bfe_u32 v27, v16, 16, 7
	s_movk_i32 s7, 0x7f
	v_cmp_ne_u32_e32 vcc, s7, v27
	v_mov_b32_e32 v25, 0x7f80
	s_and_saveexec_b64 s[10:11], vcc
	s_cbranch_execz .LBB869_465
; %bb.464:
	v_and_b32_e32 v25, 7, v14
	v_ffbh_u32_e32 v28, v25
	v_min_u32_e32 v31, 32, v28
	v_subrev_u32_e32 v28, 28, v31
	v_lshlrev_b64 v[28:29], v28, v[14:15]
	v_lshrrev_b32_e32 v30, 3, v27
	v_sub_u32_e32 v14, 29, v31
	v_and_b32_e32 v28, 7, v28
	v_cmp_gt_u32_e32 vcc, 8, v27
	v_mov_b32_e32 v27, 24
	v_cndmask_b32_e32 v14, v30, v14, vcc
	v_cndmask_b32_e32 v25, v25, v28, vcc
	v_lshlrev_b32_sdwa v27, v27, v16 dst_sel:DWORD dst_unused:UNUSED_PAD src0_sel:DWORD src1_sel:WORD_1
	v_bfrev_b32_e32 v28, 60
	v_lshlrev_b32_e32 v25, 20, v25
	v_and_b32_e32 v27, 0x80000000, v27
	v_lshl_add_u32 v14, v14, 23, v28
	v_or3_b32 v14, v27, v14, v25
	v_lshrrev_b32_e32 v25, 16, v14
.LBB869_465:
	s_or_b64 exec, exec, s[10:11]
.LBB869_466:
	s_or_b64 exec, exec, s[8:9]
.LBB869_467:
	s_or_b64 exec, exec, s[2:3]
	s_mov_b32 s2, 0xffffff
	v_cmp_lt_u32_e32 vcc, s2, v16
	s_and_saveexec_b64 s[2:3], vcc
	s_cbranch_execz .LBB869_473
; %bb.468:
	v_lshrrev_b32_e32 v14, 24, v16
	s_movk_i32 s7, 0x80
	v_cmp_ne_u32_e32 vcc, s7, v14
	v_mov_b32_e32 v24, 0xffff8000
	s_and_saveexec_b64 s[8:9], vcc
	s_cbranch_execz .LBB869_472
; %bb.469:
	v_bfe_u32 v16, v16, 24, 7
	s_movk_i32 s7, 0x7f
	v_cmp_ne_u32_e32 vcc, s7, v16
	v_mov_b32_e32 v24, 0x7f80
	s_and_saveexec_b64 s[10:11], vcc
	s_cbranch_execz .LBB869_471
; %bb.470:
	v_and_b32_e32 v24, 7, v14
	v_ffbh_u32_e32 v28, v24
	v_min_u32_e32 v30, 32, v28
	v_subrev_u32_e32 v28, 28, v30
	v_lshlrev_b64 v[28:29], v28, v[14:15]
	v_lshrrev_b32_e32 v27, 3, v16
	v_sub_u32_e32 v29, 29, v30
	v_and_b32_e32 v28, 7, v28
	v_cmp_gt_u32_e32 vcc, 8, v16
	v_cndmask_b32_e32 v16, v27, v29, vcc
	v_cndmask_b32_e32 v24, v24, v28, vcc
	v_lshlrev_b32_e32 v14, 24, v14
	v_bfrev_b32_e32 v27, 60
	v_lshlrev_b32_e32 v24, 20, v24
	v_and_b32_e32 v14, 0x80000000, v14
	v_lshl_add_u32 v16, v16, 23, v27
	v_or3_b32 v14, v14, v16, v24
	v_lshrrev_b32_e32 v24, 16, v14
.LBB869_471:
	s_or_b64 exec, exec, s[10:11]
.LBB869_472:
	s_or_b64 exec, exec, s[8:9]
.LBB869_473:
	s_or_b64 exec, exec, s[2:3]
	v_mov_b32_e32 v16, 0
	v_cmp_ne_u16_sdwa s[8:9], v17, v16 src0_sel:BYTE_0 src1_sel:DWORD
	v_mov_b32_e32 v27, 0
	s_and_saveexec_b64 s[2:3], s[8:9]
	s_cbranch_execz .LBB869_479
; %bb.474:
	s_movk_i32 s7, 0x80
	v_cmp_ne_u16_sdwa s[10:11], v17, s7 src0_sel:BYTE_0 src1_sel:DWORD
	v_mov_b32_e32 v27, 0xffff8000
	s_and_saveexec_b64 s[8:9], s[10:11]
	s_cbranch_execz .LBB869_478
; %bb.475:
	s_movk_i32 s7, 0x7f
	v_and_b32_e32 v14, 0x7f, v17
	v_cmp_ne_u32_e32 vcc, s7, v14
	v_mov_b32_e32 v27, 0x7f80
	s_and_saveexec_b64 s[10:11], vcc
	s_cbranch_execz .LBB869_477
; %bb.476:
	v_and_b32_e32 v27, 7, v17
	v_ffbh_u32_e32 v29, v27
	v_min_u32_e32 v31, 32, v29
	v_mov_b32_e32 v28, v17
	v_subrev_u32_e32 v29, 28, v31
	v_lshlrev_b64 v[28:29], v29, v[28:29]
	v_lshrrev_b32_e32 v30, 3, v14
	v_sub_u32_e32 v29, 29, v31
	v_and_b32_e32 v28, 7, v28
	v_cmp_gt_u32_e32 vcc, 8, v14
	v_cndmask_b32_e32 v14, v30, v29, vcc
	v_cndmask_b32_e32 v27, v27, v28, vcc
	v_lshlrev_b32_e32 v28, 24, v17
	v_bfrev_b32_e32 v29, 60
	v_lshlrev_b32_e32 v27, 20, v27
	v_and_b32_e32 v28, 0x80000000, v28
	v_lshl_add_u32 v14, v14, 23, v29
	v_or3_b32 v14, v28, v14, v27
	v_lshrrev_b32_e32 v27, 16, v14
.LBB869_477:
	s_or_b64 exec, exec, s[10:11]
.LBB869_478:
	s_or_b64 exec, exec, s[8:9]
.LBB869_479:
	s_or_b64 exec, exec, s[2:3]
	v_lshrrev_b16_e32 v14, 8, v17
	v_cmp_ne_u16_e32 vcc, 0, v14
	s_and_saveexec_b64 s[2:3], vcc
	s_cbranch_execz .LBB869_485
; %bb.480:
	s_movk_i32 s7, 0x80
	v_cmp_ne_u16_e32 vcc, s7, v14
	v_mov_b32_e32 v16, 0xffff8000
	s_and_saveexec_b64 s[8:9], vcc
	s_cbranch_execz .LBB869_484
; %bb.481:
	s_movk_i32 s7, 0x7f
	v_and_b32_e32 v28, 0x7f, v14
	v_cmp_ne_u32_e32 vcc, s7, v28
	v_mov_b32_e32 v16, 0x7f80
	s_and_saveexec_b64 s[10:11], vcc
	s_cbranch_execz .LBB869_483
; %bb.482:
	v_and_b32_e32 v16, 7, v14
	v_ffbh_u32_e32 v30, v16
	v_min_u32_e32 v32, 32, v30
	v_subrev_u32_e32 v30, 28, v32
	v_lshlrev_b64 v[30:31], v30, v[14:15]
	v_lshrrev_b32_e32 v29, 3, v28
	v_sub_u32_e32 v14, 29, v32
	v_and_b32_e32 v30, 7, v30
	v_cmp_gt_u32_e32 vcc, 8, v28
	v_cndmask_b32_e32 v14, v29, v14, vcc
	v_cndmask_b32_e32 v16, v16, v30, vcc
	v_lshlrev_b32_e32 v28, 16, v17
	v_bfrev_b32_e32 v29, 60
	v_lshlrev_b32_e32 v16, 20, v16
	v_and_b32_e32 v28, 0x80000000, v28
	v_lshl_add_u32 v14, v14, 23, v29
	v_or3_b32 v14, v28, v14, v16
	v_lshrrev_b32_e32 v16, 16, v14
.LBB869_483:
	s_or_b64 exec, exec, s[10:11]
.LBB869_484:
	s_or_b64 exec, exec, s[8:9]
.LBB869_485:
	s_or_b64 exec, exec, s[2:3]
	s_movk_i32 s2, 0xff
	v_and_b32_sdwa v30, v17, s2 dst_sel:DWORD dst_unused:UNUSED_PAD src0_sel:WORD_1 src1_sel:DWORD
	v_lshrrev_b32_e32 v14, 16, v17
	v_cmp_ne_u16_e32 vcc, 0, v30
	v_mov_b32_e32 v28, 0
	v_mov_b32_e32 v29, 0
	s_and_saveexec_b64 s[2:3], vcc
	s_cbranch_execz .LBB869_491
; %bb.486:
	s_movk_i32 s7, 0x80
	v_cmp_ne_u16_e32 vcc, s7, v30
	v_mov_b32_e32 v29, 0xffff8000
	s_and_saveexec_b64 s[8:9], vcc
	s_cbranch_execz .LBB869_490
; %bb.487:
	v_bfe_u32 v30, v17, 16, 7
	s_movk_i32 s7, 0x7f
	v_cmp_ne_u32_e32 vcc, s7, v30
	v_mov_b32_e32 v29, 0x7f80
	s_and_saveexec_b64 s[10:11], vcc
	s_cbranch_execz .LBB869_489
; %bb.488:
	v_and_b32_e32 v29, 7, v14
	v_ffbh_u32_e32 v32, v29
	v_min_u32_e32 v34, 32, v32
	v_subrev_u32_e32 v32, 28, v34
	v_lshlrev_b64 v[32:33], v32, v[14:15]
	v_lshrrev_b32_e32 v31, 3, v30
	v_sub_u32_e32 v14, 29, v34
	v_and_b32_e32 v32, 7, v32
	v_cmp_gt_u32_e32 vcc, 8, v30
	v_mov_b32_e32 v30, 24
	v_cndmask_b32_e32 v14, v31, v14, vcc
	v_cndmask_b32_e32 v29, v29, v32, vcc
	v_lshlrev_b32_sdwa v30, v30, v17 dst_sel:DWORD dst_unused:UNUSED_PAD src0_sel:DWORD src1_sel:WORD_1
	v_bfrev_b32_e32 v31, 60
	v_lshlrev_b32_e32 v29, 20, v29
	v_and_b32_e32 v30, 0x80000000, v30
	v_lshl_add_u32 v14, v14, 23, v31
	v_or3_b32 v14, v30, v14, v29
	v_lshrrev_b32_e32 v29, 16, v14
.LBB869_489:
	s_or_b64 exec, exec, s[10:11]
.LBB869_490:
	s_or_b64 exec, exec, s[8:9]
.LBB869_491:
	s_or_b64 exec, exec, s[2:3]
	s_mov_b32 s2, 0xffffff
	v_cmp_lt_u32_e32 vcc, s2, v17
	s_and_saveexec_b64 s[2:3], vcc
	s_cbranch_execz .LBB869_497
; %bb.492:
	v_lshrrev_b32_e32 v14, 24, v17
	s_movk_i32 s7, 0x80
	v_cmp_ne_u32_e32 vcc, s7, v14
	v_mov_b32_e32 v28, 0xffff8000
	s_and_saveexec_b64 s[8:9], vcc
	s_cbranch_execz .LBB869_496
; %bb.493:
	v_bfe_u32 v17, v17, 24, 7
	s_movk_i32 s7, 0x7f
	v_cmp_ne_u32_e32 vcc, s7, v17
	v_mov_b32_e32 v28, 0x7f80
	s_and_saveexec_b64 s[10:11], vcc
	s_cbranch_execz .LBB869_495
; %bb.494:
	v_and_b32_e32 v28, 7, v14
	v_ffbh_u32_e32 v30, v28
	v_min_u32_e32 v33, 32, v30
	v_subrev_u32_e32 v30, 28, v33
	v_lshlrev_b64 v[30:31], v30, v[14:15]
	v_lshrrev_b32_e32 v32, 3, v17
	v_sub_u32_e32 v31, 29, v33
	v_and_b32_e32 v30, 7, v30
	v_cmp_gt_u32_e32 vcc, 8, v17
	v_cndmask_b32_e32 v17, v32, v31, vcc
	v_cndmask_b32_e32 v28, v28, v30, vcc
	v_lshlrev_b32_e32 v14, 24, v14
	v_bfrev_b32_e32 v30, 60
	v_lshlrev_b32_e32 v28, 20, v28
	v_and_b32_e32 v14, 0x80000000, v14
	v_lshl_add_u32 v17, v17, 23, v30
	v_or3_b32 v14, v14, v17, v28
	v_lshrrev_b32_e32 v28, 16, v14
.LBB869_495:
	s_or_b64 exec, exec, s[10:11]
.LBB869_496:
	s_or_b64 exec, exec, s[8:9]
.LBB869_497:
	s_or_b64 exec, exec, s[2:3]
	s_mov_b32 s2, 0x5040100
	v_perm_b32 v25, v24, v25, s2
	v_perm_b32 v24, v15, v23, s2
	ds_read_b128 v[30:33], v22 offset:16
	v_perm_b32 v15, v28, v29, s2
	v_perm_b32 v14, v16, v27, s2
	s_waitcnt lgkmcnt(0)
	v_mfma_f32_16x16x16bf16_1k v[34:37], v[24:25], v[30:31], v[18:21]
	s_nop 6
	v_mov_b32_e32 v19, 0
	s_waitcnt vmcnt(2)
	v_cmp_ne_u16_sdwa s[8:9], v10, v19 src0_sel:BYTE_0 src1_sel:DWORD
	v_mfma_f32_16x16x16bf16_1k v[14:17], v[14:15], v[32:33], v[34:37]
	v_mov_b32_e32 v20, 0
	s_and_saveexec_b64 s[2:3], s[8:9]
	s_cbranch_execz .LBB869_503
; %bb.498:
	s_movk_i32 s7, 0x80
	v_cmp_ne_u16_sdwa s[10:11], v10, s7 src0_sel:BYTE_0 src1_sel:DWORD
	v_mov_b32_e32 v20, 0xffff8000
	s_and_saveexec_b64 s[8:9], s[10:11]
	s_cbranch_execz .LBB869_502
; %bb.499:
	s_movk_i32 s7, 0x7f
	v_and_b32_e32 v18, 0x7f, v10
	v_cmp_ne_u32_e32 vcc, s7, v18
	v_mov_b32_e32 v20, 0x7f80
	s_and_saveexec_b64 s[10:11], vcc
	s_cbranch_execz .LBB869_501
; %bb.500:
	v_and_b32_e32 v23, 7, v10
	v_ffbh_u32_e32 v20, v23
	v_min_u32_e32 v25, 32, v20
	v_subrev_u32_e32 v20, 28, v25
	v_lshlrev_b64 v[20:21], v20, v[10:11]
	v_lshrrev_b32_e32 v24, 3, v18
	v_sub_u32_e32 v21, 29, v25
	v_and_b32_e32 v20, 7, v20
	v_cmp_gt_u32_e32 vcc, 8, v18
	v_cndmask_b32_e32 v18, v24, v21, vcc
	v_cndmask_b32_e32 v20, v23, v20, vcc
	v_lshlrev_b32_e32 v21, 24, v10
	v_bfrev_b32_e32 v23, 60
	v_lshlrev_b32_e32 v20, 20, v20
	v_and_b32_e32 v21, 0x80000000, v21
	v_lshl_add_u32 v18, v18, 23, v23
	v_or3_b32 v18, v21, v18, v20
	v_lshrrev_b32_e32 v20, 16, v18
.LBB869_501:
	s_or_b64 exec, exec, s[10:11]
.LBB869_502:
	s_or_b64 exec, exec, s[8:9]
.LBB869_503:
	s_or_b64 exec, exec, s[2:3]
	v_lshrrev_b16_e32 v18, 8, v10
	v_cmp_ne_u16_e32 vcc, 0, v18
	s_and_saveexec_b64 s[2:3], vcc
	s_cbranch_execz .LBB869_509
; %bb.504:
	s_movk_i32 s7, 0x80
	v_cmp_ne_u16_e32 vcc, s7, v18
	v_mov_b32_e32 v19, 0xffff8000
	s_and_saveexec_b64 s[8:9], vcc
	s_cbranch_execz .LBB869_508
; %bb.505:
	s_movk_i32 s7, 0x7f
	v_and_b32_e32 v21, 0x7f, v18
	v_cmp_ne_u32_e32 vcc, s7, v21
	v_mov_b32_e32 v19, 0x7f80
	s_and_saveexec_b64 s[10:11], vcc
	s_cbranch_execz .LBB869_507
; %bb.506:
	v_and_b32_e32 v23, 7, v18
	v_ffbh_u32_e32 v19, v23
	v_min_u32_e32 v25, 32, v19
	v_subrev_u32_e32 v19, 28, v25
	v_lshlrev_b64 v[18:19], v19, v[18:19]
	v_lshrrev_b32_e32 v24, 3, v21
	v_sub_u32_e32 v19, 29, v25
	v_and_b32_e32 v18, 7, v18
	v_cmp_gt_u32_e32 vcc, 8, v21
	v_cndmask_b32_e32 v19, v24, v19, vcc
	v_cndmask_b32_e32 v18, v23, v18, vcc
	v_lshlrev_b32_e32 v21, 16, v10
	v_bfrev_b32_e32 v23, 60
	v_lshlrev_b32_e32 v18, 20, v18
	v_and_b32_e32 v21, 0x80000000, v21
	v_lshl_add_u32 v19, v19, 23, v23
	v_or3_b32 v18, v21, v19, v18
	v_lshrrev_b32_e32 v19, 16, v18
.LBB869_507:
	s_or_b64 exec, exec, s[10:11]
.LBB869_508:
	s_or_b64 exec, exec, s[8:9]
.LBB869_509:
	s_or_b64 exec, exec, s[2:3]
	s_movk_i32 s2, 0xff
	v_and_b32_sdwa v24, v10, s2 dst_sel:DWORD dst_unused:UNUSED_PAD src0_sel:WORD_1 src1_sel:DWORD
	v_lshrrev_b32_e32 v18, 16, v10
	v_cmp_ne_u16_e32 vcc, 0, v24
	v_mov_b32_e32 v21, 0
	v_mov_b32_e32 v23, 0
	s_and_saveexec_b64 s[2:3], vcc
	s_cbranch_execz .LBB869_515
; %bb.510:
	s_movk_i32 s7, 0x80
	v_cmp_ne_u16_e32 vcc, s7, v24
	v_mov_b32_e32 v23, 0xffff8000
	s_and_saveexec_b64 s[8:9], vcc
	s_cbranch_execz .LBB869_514
; %bb.511:
	v_bfe_u32 v24, v10, 16, 7
	s_movk_i32 s7, 0x7f
	v_cmp_ne_u32_e32 vcc, s7, v24
	v_mov_b32_e32 v23, 0x7f80
	s_and_saveexec_b64 s[10:11], vcc
	s_cbranch_execz .LBB869_513
; %bb.512:
	v_and_b32_e32 v23, 7, v18
	v_ffbh_u32_e32 v27, v23
	v_min_u32_e32 v27, 32, v27
	v_subrev_u32_e32 v28, 28, v27
	v_lshlrev_b64 v[28:29], v28, v[18:19]
	v_lshrrev_b32_e32 v25, 3, v24
	v_sub_u32_e32 v18, 29, v27
	v_and_b32_e32 v27, 7, v28
	v_cmp_gt_u32_e32 vcc, 8, v24
	v_mov_b32_e32 v24, 24
	v_cndmask_b32_e32 v18, v25, v18, vcc
	v_cndmask_b32_e32 v23, v23, v27, vcc
	v_lshlrev_b32_sdwa v24, v24, v10 dst_sel:DWORD dst_unused:UNUSED_PAD src0_sel:DWORD src1_sel:WORD_1
	v_bfrev_b32_e32 v25, 60
	v_lshlrev_b32_e32 v23, 20, v23
	v_and_b32_e32 v24, 0x80000000, v24
	v_lshl_add_u32 v18, v18, 23, v25
	v_or3_b32 v18, v24, v18, v23
	v_lshrrev_b32_e32 v23, 16, v18
.LBB869_513:
	s_or_b64 exec, exec, s[10:11]
.LBB869_514:
	s_or_b64 exec, exec, s[8:9]
.LBB869_515:
	s_or_b64 exec, exec, s[2:3]
	s_mov_b32 s2, 0xffffff
	v_cmp_lt_u32_e32 vcc, s2, v10
	s_and_saveexec_b64 s[2:3], vcc
	s_cbranch_execz .LBB869_521
; %bb.516:
	v_lshrrev_b32_e32 v18, 24, v10
	s_movk_i32 s7, 0x80
	v_cmp_ne_u32_e32 vcc, s7, v18
	v_mov_b32_e32 v21, 0xffff8000
	s_and_saveexec_b64 s[8:9], vcc
	s_cbranch_execz .LBB869_520
; %bb.517:
	v_bfe_u32 v10, v10, 24, 7
	s_movk_i32 s7, 0x7f
	v_cmp_ne_u32_e32 vcc, s7, v10
	v_mov_b32_e32 v21, 0x7f80
	s_and_saveexec_b64 s[10:11], vcc
	s_cbranch_execz .LBB869_519
; %bb.518:
	v_and_b32_e32 v21, 7, v18
	v_ffbh_u32_e32 v24, v21
	v_min_u32_e32 v28, 32, v24
	v_subrev_u32_e32 v24, 28, v28
	v_lshlrev_b64 v[24:25], v24, v[18:19]
	v_lshrrev_b32_e32 v27, 3, v10
	v_sub_u32_e32 v25, 29, v28
	v_and_b32_e32 v24, 7, v24
	v_cmp_gt_u32_e32 vcc, 8, v10
	v_cndmask_b32_e32 v10, v27, v25, vcc
	v_cndmask_b32_e32 v21, v21, v24, vcc
	v_lshlrev_b32_e32 v18, 24, v18
	v_bfrev_b32_e32 v24, 60
	v_lshlrev_b32_e32 v21, 20, v21
	v_and_b32_e32 v18, 0x80000000, v18
	v_lshl_add_u32 v10, v10, 23, v24
	v_or3_b32 v10, v18, v10, v21
	v_lshrrev_b32_e32 v21, 16, v10
.LBB869_519:
	s_or_b64 exec, exec, s[10:11]
.LBB869_520:
	s_or_b64 exec, exec, s[8:9]
.LBB869_521:
	s_or_b64 exec, exec, s[2:3]
	v_mov_b32_e32 v18, 0
	v_cmp_ne_u16_sdwa s[8:9], v11, v18 src0_sel:BYTE_0 src1_sel:DWORD
	v_mov_b32_e32 v24, 0
	s_and_saveexec_b64 s[2:3], s[8:9]
	s_cbranch_execz .LBB869_527
; %bb.522:
	s_movk_i32 s7, 0x80
	v_cmp_ne_u16_sdwa s[10:11], v11, s7 src0_sel:BYTE_0 src1_sel:DWORD
	v_mov_b32_e32 v24, 0xffff8000
	s_and_saveexec_b64 s[8:9], s[10:11]
	s_cbranch_execz .LBB869_526
; %bb.523:
	s_movk_i32 s7, 0x7f
	v_and_b32_e32 v10, 0x7f, v11
	v_cmp_ne_u32_e32 vcc, s7, v10
	v_mov_b32_e32 v24, 0x7f80
	s_and_saveexec_b64 s[10:11], vcc
	s_cbranch_execz .LBB869_525
; %bb.524:
	v_and_b32_e32 v27, 7, v11
	v_ffbh_u32_e32 v25, v27
	v_min_u32_e32 v29, 32, v25
	v_mov_b32_e32 v24, v11
	v_subrev_u32_e32 v25, 28, v29
	v_lshlrev_b64 v[24:25], v25, v[24:25]
	v_lshrrev_b32_e32 v28, 3, v10
	v_sub_u32_e32 v25, 29, v29
	v_and_b32_e32 v24, 7, v24
	v_cmp_gt_u32_e32 vcc, 8, v10
	v_cndmask_b32_e32 v10, v28, v25, vcc
	v_cndmask_b32_e32 v24, v27, v24, vcc
	v_lshlrev_b32_e32 v25, 24, v11
	v_bfrev_b32_e32 v27, 60
	v_lshlrev_b32_e32 v24, 20, v24
	v_and_b32_e32 v25, 0x80000000, v25
	v_lshl_add_u32 v10, v10, 23, v27
	v_or3_b32 v10, v25, v10, v24
	v_lshrrev_b32_e32 v24, 16, v10
.LBB869_525:
	s_or_b64 exec, exec, s[10:11]
.LBB869_526:
	s_or_b64 exec, exec, s[8:9]
.LBB869_527:
	s_or_b64 exec, exec, s[2:3]
	v_lshrrev_b16_e32 v10, 8, v11
	v_cmp_ne_u16_e32 vcc, 0, v10
	s_and_saveexec_b64 s[2:3], vcc
	s_cbranch_execz .LBB869_533
; %bb.528:
	s_movk_i32 s7, 0x80
	v_cmp_ne_u16_e32 vcc, s7, v10
	v_mov_b32_e32 v18, 0xffff8000
	s_and_saveexec_b64 s[8:9], vcc
	s_cbranch_execz .LBB869_532
; %bb.529:
	s_movk_i32 s7, 0x7f
	v_and_b32_e32 v25, 0x7f, v10
	v_cmp_ne_u32_e32 vcc, s7, v25
	v_mov_b32_e32 v18, 0x7f80
	s_and_saveexec_b64 s[10:11], vcc
	s_cbranch_execz .LBB869_531
; %bb.530:
	v_and_b32_e32 v18, 7, v10
	v_ffbh_u32_e32 v28, v18
	v_min_u32_e32 v30, 32, v28
	v_subrev_u32_e32 v28, 28, v30
	v_lshlrev_b64 v[28:29], v28, v[10:11]
	v_lshrrev_b32_e32 v27, 3, v25
	v_sub_u32_e32 v10, 29, v30
	v_and_b32_e32 v28, 7, v28
	v_cmp_gt_u32_e32 vcc, 8, v25
	v_cndmask_b32_e32 v10, v27, v10, vcc
	v_cndmask_b32_e32 v18, v18, v28, vcc
	v_lshlrev_b32_e32 v25, 16, v11
	v_bfrev_b32_e32 v27, 60
	v_lshlrev_b32_e32 v18, 20, v18
	v_and_b32_e32 v25, 0x80000000, v25
	v_lshl_add_u32 v10, v10, 23, v27
	v_or3_b32 v10, v25, v10, v18
	v_lshrrev_b32_e32 v18, 16, v10
.LBB869_531:
	s_or_b64 exec, exec, s[10:11]
.LBB869_532:
	s_or_b64 exec, exec, s[8:9]
.LBB869_533:
	s_or_b64 exec, exec, s[2:3]
	s_movk_i32 s2, 0xff
	v_and_b32_sdwa v28, v11, s2 dst_sel:DWORD dst_unused:UNUSED_PAD src0_sel:WORD_1 src1_sel:DWORD
	v_lshrrev_b32_e32 v10, 16, v11
	v_cmp_ne_u16_e32 vcc, 0, v28
	v_mov_b32_e32 v25, 0
	v_mov_b32_e32 v27, 0
	s_and_saveexec_b64 s[2:3], vcc
	s_cbranch_execz .LBB869_539
; %bb.534:
	s_movk_i32 s7, 0x80
	v_cmp_ne_u16_e32 vcc, s7, v28
	v_mov_b32_e32 v27, 0xffff8000
	s_and_saveexec_b64 s[8:9], vcc
	s_cbranch_execz .LBB869_538
; %bb.535:
	v_bfe_u32 v28, v11, 16, 7
	s_movk_i32 s7, 0x7f
	v_cmp_ne_u32_e32 vcc, s7, v28
	v_mov_b32_e32 v27, 0x7f80
	s_and_saveexec_b64 s[10:11], vcc
	s_cbranch_execz .LBB869_537
; %bb.536:
	v_and_b32_e32 v27, 7, v10
	v_ffbh_u32_e32 v30, v27
	v_min_u32_e32 v32, 32, v30
	v_subrev_u32_e32 v30, 28, v32
	v_lshlrev_b64 v[30:31], v30, v[10:11]
	v_lshrrev_b32_e32 v29, 3, v28
	v_sub_u32_e32 v10, 29, v32
	v_and_b32_e32 v30, 7, v30
	v_cmp_gt_u32_e32 vcc, 8, v28
	v_mov_b32_e32 v28, 24
	v_cndmask_b32_e32 v10, v29, v10, vcc
	v_cndmask_b32_e32 v27, v27, v30, vcc
	v_lshlrev_b32_sdwa v28, v28, v11 dst_sel:DWORD dst_unused:UNUSED_PAD src0_sel:DWORD src1_sel:WORD_1
	v_bfrev_b32_e32 v29, 60
	v_lshlrev_b32_e32 v27, 20, v27
	v_and_b32_e32 v28, 0x80000000, v28
	v_lshl_add_u32 v10, v10, 23, v29
	v_or3_b32 v10, v28, v10, v27
	v_lshrrev_b32_e32 v27, 16, v10
.LBB869_537:
	s_or_b64 exec, exec, s[10:11]
.LBB869_538:
	s_or_b64 exec, exec, s[8:9]
.LBB869_539:
	s_or_b64 exec, exec, s[2:3]
	s_mov_b32 s2, 0xffffff
	v_cmp_lt_u32_e32 vcc, s2, v11
	s_and_saveexec_b64 s[2:3], vcc
	s_cbranch_execz .LBB869_545
; %bb.540:
	v_lshrrev_b32_e32 v10, 24, v11
	s_movk_i32 s7, 0x80
	v_cmp_ne_u32_e32 vcc, s7, v10
	v_mov_b32_e32 v25, 0xffff8000
	s_and_saveexec_b64 s[8:9], vcc
	s_cbranch_execz .LBB869_544
; %bb.541:
	v_bfe_u32 v11, v11, 24, 7
	s_movk_i32 s7, 0x7f
	v_cmp_ne_u32_e32 vcc, s7, v11
	v_mov_b32_e32 v25, 0x7f80
	s_and_saveexec_b64 s[10:11], vcc
	s_cbranch_execz .LBB869_543
; %bb.542:
	v_and_b32_e32 v25, 7, v10
	v_ffbh_u32_e32 v28, v25
	v_min_u32_e32 v31, 32, v28
	v_subrev_u32_e32 v28, 28, v31
	v_lshlrev_b64 v[28:29], v28, v[10:11]
	v_lshrrev_b32_e32 v30, 3, v11
	v_sub_u32_e32 v29, 29, v31
	v_and_b32_e32 v28, 7, v28
	v_cmp_gt_u32_e32 vcc, 8, v11
	v_cndmask_b32_e32 v11, v30, v29, vcc
	v_cndmask_b32_e32 v25, v25, v28, vcc
	v_lshlrev_b32_e32 v10, 24, v10
	v_bfrev_b32_e32 v28, 60
	v_lshlrev_b32_e32 v25, 20, v25
	v_and_b32_e32 v10, 0x80000000, v10
	v_lshl_add_u32 v11, v11, 23, v28
	v_or3_b32 v10, v10, v11, v25
	v_lshrrev_b32_e32 v25, 16, v10
.LBB869_543:
	s_or_b64 exec, exec, s[10:11]
.LBB869_544:
	s_or_b64 exec, exec, s[8:9]
.LBB869_545:
	s_or_b64 exec, exec, s[2:3]
	s_mov_b32 s2, 0x5040100
	v_perm_b32 v11, v21, v23, s2
	v_perm_b32 v10, v19, v20, s2
	ds_read_b128 v[28:31], v22 offset:2048
	v_perm_b32 v21, v25, v27, s2
	v_perm_b32 v20, v18, v24, s2
	s_waitcnt lgkmcnt(0)
	v_mfma_f32_16x16x16bf16_1k v[14:17], v[10:11], v[28:29], v[14:17]
	v_mov_b32_e32 v11, 0
	v_cmp_ne_u16_sdwa s[8:9], v12, v11 src0_sel:BYTE_0 src1_sel:DWORD
	v_mov_b32_e32 v18, 0
	v_mfma_f32_16x16x16bf16_1k v[14:17], v[20:21], v[30:31], v[14:17]
	s_and_saveexec_b64 s[2:3], s[8:9]
	s_cbranch_execz .LBB869_551
; %bb.546:
	s_movk_i32 s7, 0x80
	v_cmp_ne_u16_sdwa s[10:11], v12, s7 src0_sel:BYTE_0 src1_sel:DWORD
	v_mov_b32_e32 v18, 0xffff8000
	s_and_saveexec_b64 s[8:9], s[10:11]
	s_cbranch_execz .LBB869_550
; %bb.547:
	s_movk_i32 s7, 0x7f
	v_and_b32_e32 v10, 0x7f, v12
	v_cmp_ne_u32_e32 vcc, s7, v10
	v_mov_b32_e32 v18, 0x7f80
	s_and_saveexec_b64 s[10:11], vcc
	s_cbranch_execz .LBB869_549
; %bb.548:
	v_and_b32_e32 v20, 7, v12
	v_ffbh_u32_e32 v18, v20
	v_min_u32_e32 v23, 32, v18
	v_subrev_u32_e32 v18, 28, v23
	v_lshlrev_b64 v[18:19], v18, v[12:13]
	v_lshrrev_b32_e32 v21, 3, v10
	v_sub_u32_e32 v19, 29, v23
	v_and_b32_e32 v18, 7, v18
	v_cmp_gt_u32_e32 vcc, 8, v10
	v_cndmask_b32_e32 v10, v21, v19, vcc
	v_cndmask_b32_e32 v18, v20, v18, vcc
	v_lshlrev_b32_e32 v19, 24, v12
	v_bfrev_b32_e32 v20, 60
	v_lshlrev_b32_e32 v18, 20, v18
	v_and_b32_e32 v19, 0x80000000, v19
	v_lshl_add_u32 v10, v10, 23, v20
	v_or3_b32 v10, v19, v10, v18
	v_lshrrev_b32_e32 v18, 16, v10
.LBB869_549:
	s_or_b64 exec, exec, s[10:11]
.LBB869_550:
	s_or_b64 exec, exec, s[8:9]
.LBB869_551:
	s_or_b64 exec, exec, s[2:3]
	v_lshrrev_b16_e32 v10, 8, v12
	v_cmp_ne_u16_e32 vcc, 0, v10
	s_and_saveexec_b64 s[2:3], vcc
	s_cbranch_execz .LBB869_557
; %bb.552:
	s_movk_i32 s7, 0x80
	v_cmp_ne_u16_e32 vcc, s7, v10
	v_mov_b32_e32 v11, 0xffff8000
	s_and_saveexec_b64 s[8:9], vcc
	s_cbranch_execz .LBB869_556
; %bb.553:
	s_movk_i32 s7, 0x7f
	v_and_b32_e32 v19, 0x7f, v10
	v_cmp_ne_u32_e32 vcc, s7, v19
	v_mov_b32_e32 v11, 0x7f80
	s_and_saveexec_b64 s[10:11], vcc
	s_cbranch_execz .LBB869_555
; %bb.554:
	v_and_b32_e32 v20, 7, v10
	v_ffbh_u32_e32 v11, v20
	v_min_u32_e32 v23, 32, v11
	v_subrev_u32_e32 v11, 28, v23
	v_lshlrev_b64 v[10:11], v11, v[10:11]
	v_lshrrev_b32_e32 v21, 3, v19
	v_sub_u32_e32 v11, 29, v23
	v_and_b32_e32 v10, 7, v10
	v_cmp_gt_u32_e32 vcc, 8, v19
	v_cndmask_b32_e32 v11, v21, v11, vcc
	v_cndmask_b32_e32 v10, v20, v10, vcc
	v_lshlrev_b32_e32 v19, 16, v12
	v_bfrev_b32_e32 v20, 60
	v_lshlrev_b32_e32 v10, 20, v10
	v_and_b32_e32 v19, 0x80000000, v19
	v_lshl_add_u32 v11, v11, 23, v20
	v_or3_b32 v10, v19, v11, v10
	v_lshrrev_b32_e32 v11, 16, v10
.LBB869_555:
	s_or_b64 exec, exec, s[10:11]
.LBB869_556:
	s_or_b64 exec, exec, s[8:9]
.LBB869_557:
	s_or_b64 exec, exec, s[2:3]
	s_movk_i32 s2, 0xff
	v_and_b32_sdwa v21, v12, s2 dst_sel:DWORD dst_unused:UNUSED_PAD src0_sel:WORD_1 src1_sel:DWORD
	v_lshrrev_b32_e32 v10, 16, v12
	v_cmp_ne_u16_e32 vcc, 0, v21
	v_mov_b32_e32 v19, 0
	v_mov_b32_e32 v20, 0
	s_and_saveexec_b64 s[2:3], vcc
	s_cbranch_execz .LBB869_563
; %bb.558:
	s_movk_i32 s7, 0x80
	v_cmp_ne_u16_e32 vcc, s7, v21
	v_mov_b32_e32 v20, 0xffff8000
	s_and_saveexec_b64 s[8:9], vcc
	s_cbranch_execz .LBB869_562
; %bb.559:
	v_bfe_u32 v21, v12, 16, 7
	s_movk_i32 s7, 0x7f
	v_cmp_ne_u32_e32 vcc, s7, v21
	v_mov_b32_e32 v20, 0x7f80
	s_and_saveexec_b64 s[10:11], vcc
	s_cbranch_execz .LBB869_561
; %bb.560:
	v_and_b32_e32 v20, 7, v10
	v_ffbh_u32_e32 v24, v20
	v_min_u32_e32 v27, 32, v24
	v_subrev_u32_e32 v24, 28, v27
	v_lshlrev_b64 v[24:25], v24, v[10:11]
	v_lshrrev_b32_e32 v23, 3, v21
	v_sub_u32_e32 v10, 29, v27
	v_and_b32_e32 v24, 7, v24
	v_cmp_gt_u32_e32 vcc, 8, v21
	v_mov_b32_e32 v21, 24
	v_cndmask_b32_e32 v10, v23, v10, vcc
	v_cndmask_b32_e32 v20, v20, v24, vcc
	v_lshlrev_b32_sdwa v21, v21, v12 dst_sel:DWORD dst_unused:UNUSED_PAD src0_sel:DWORD src1_sel:WORD_1
	v_bfrev_b32_e32 v23, 60
	v_lshlrev_b32_e32 v20, 20, v20
	v_and_b32_e32 v21, 0x80000000, v21
	v_lshl_add_u32 v10, v10, 23, v23
	v_or3_b32 v10, v21, v10, v20
	v_lshrrev_b32_e32 v20, 16, v10
.LBB869_561:
	s_or_b64 exec, exec, s[10:11]
.LBB869_562:
	s_or_b64 exec, exec, s[8:9]
.LBB869_563:
	s_or_b64 exec, exec, s[2:3]
	s_mov_b32 s2, 0xffffff
	v_cmp_lt_u32_e32 vcc, s2, v12
	s_and_saveexec_b64 s[2:3], vcc
	s_cbranch_execz .LBB869_569
; %bb.564:
	v_lshrrev_b32_e32 v10, 24, v12
	s_movk_i32 s7, 0x80
	v_cmp_ne_u32_e32 vcc, s7, v10
	v_mov_b32_e32 v19, 0xffff8000
	s_and_saveexec_b64 s[8:9], vcc
	s_cbranch_execz .LBB869_568
; %bb.565:
	v_bfe_u32 v12, v12, 24, 7
	s_movk_i32 s7, 0x7f
	v_cmp_ne_u32_e32 vcc, s7, v12
	v_mov_b32_e32 v19, 0x7f80
	s_and_saveexec_b64 s[10:11], vcc
	s_cbranch_execz .LBB869_567
; %bb.566:
	v_and_b32_e32 v19, 7, v10
	v_ffbh_u32_e32 v23, v19
	v_min_u32_e32 v23, 32, v23
	v_subrev_u32_e32 v24, 28, v23
	v_lshlrev_b64 v[24:25], v24, v[10:11]
	v_lshrrev_b32_e32 v21, 3, v12
	v_sub_u32_e32 v23, 29, v23
	v_and_b32_e32 v24, 7, v24
	v_cmp_gt_u32_e32 vcc, 8, v12
	v_cndmask_b32_e32 v12, v21, v23, vcc
	v_cndmask_b32_e32 v19, v19, v24, vcc
	v_lshlrev_b32_e32 v10, 24, v10
	v_bfrev_b32_e32 v21, 60
	v_lshlrev_b32_e32 v19, 20, v19
	v_and_b32_e32 v10, 0x80000000, v10
	v_lshl_add_u32 v12, v12, 23, v21
	v_or3_b32 v10, v10, v12, v19
	v_lshrrev_b32_e32 v19, 16, v10
.LBB869_567:
	s_or_b64 exec, exec, s[10:11]
.LBB869_568:
	s_or_b64 exec, exec, s[8:9]
.LBB869_569:
	s_or_b64 exec, exec, s[2:3]
	v_mov_b32_e32 v12, 0
	v_cmp_ne_u16_sdwa s[8:9], v13, v12 src0_sel:BYTE_0 src1_sel:DWORD
	v_mov_b32_e32 v21, 0
	s_and_saveexec_b64 s[2:3], s[8:9]
	s_cbranch_execz .LBB869_575
; %bb.570:
	s_movk_i32 s7, 0x80
	v_cmp_ne_u16_sdwa s[10:11], v13, s7 src0_sel:BYTE_0 src1_sel:DWORD
	v_mov_b32_e32 v21, 0xffff8000
	s_and_saveexec_b64 s[8:9], s[10:11]
	s_cbranch_execz .LBB869_574
; %bb.571:
	s_movk_i32 s7, 0x7f
	v_and_b32_e32 v10, 0x7f, v13
	v_cmp_ne_u32_e32 vcc, s7, v10
	v_mov_b32_e32 v21, 0x7f80
	s_and_saveexec_b64 s[10:11], vcc
	s_cbranch_execz .LBB869_573
; %bb.572:
	v_and_b32_e32 v21, 7, v13
	v_ffbh_u32_e32 v25, v21
	v_min_u32_e32 v27, 32, v25
	v_mov_b32_e32 v24, v13
	v_subrev_u32_e32 v25, 28, v27
	v_lshlrev_b64 v[24:25], v25, v[24:25]
	v_lshrrev_b32_e32 v23, 3, v10
	v_sub_u32_e32 v25, 29, v27
	v_and_b32_e32 v24, 7, v24
	v_cmp_gt_u32_e32 vcc, 8, v10
	v_cndmask_b32_e32 v10, v23, v25, vcc
	v_cndmask_b32_e32 v21, v21, v24, vcc
	v_lshlrev_b32_e32 v23, 24, v13
	v_bfrev_b32_e32 v24, 60
	v_lshlrev_b32_e32 v21, 20, v21
	v_and_b32_e32 v23, 0x80000000, v23
	v_lshl_add_u32 v10, v10, 23, v24
	v_or3_b32 v10, v23, v10, v21
	v_lshrrev_b32_e32 v21, 16, v10
.LBB869_573:
	s_or_b64 exec, exec, s[10:11]
.LBB869_574:
	s_or_b64 exec, exec, s[8:9]
.LBB869_575:
	s_or_b64 exec, exec, s[2:3]
	v_lshrrev_b16_e32 v10, 8, v13
	v_cmp_ne_u16_e32 vcc, 0, v10
	s_and_saveexec_b64 s[2:3], vcc
	s_cbranch_execz .LBB869_581
; %bb.576:
	s_movk_i32 s7, 0x80
	v_cmp_ne_u16_e32 vcc, s7, v10
	v_mov_b32_e32 v12, 0xffff8000
	s_and_saveexec_b64 s[8:9], vcc
	s_cbranch_execz .LBB869_580
; %bb.577:
	s_movk_i32 s7, 0x7f
	v_and_b32_e32 v23, 0x7f, v10
	v_cmp_ne_u32_e32 vcc, s7, v23
	v_mov_b32_e32 v12, 0x7f80
	s_and_saveexec_b64 s[10:11], vcc
	s_cbranch_execz .LBB869_579
; %bb.578:
	v_and_b32_e32 v12, 7, v10
	v_ffbh_u32_e32 v24, v12
	v_min_u32_e32 v28, 32, v24
	v_subrev_u32_e32 v24, 28, v28
	v_lshlrev_b64 v[24:25], v24, v[10:11]
	v_lshrrev_b32_e32 v27, 3, v23
	v_sub_u32_e32 v10, 29, v28
	v_and_b32_e32 v24, 7, v24
	v_cmp_gt_u32_e32 vcc, 8, v23
	v_cndmask_b32_e32 v10, v27, v10, vcc
	v_cndmask_b32_e32 v12, v12, v24, vcc
	v_lshlrev_b32_e32 v23, 16, v13
	v_bfrev_b32_e32 v24, 60
	v_lshlrev_b32_e32 v12, 20, v12
	v_and_b32_e32 v23, 0x80000000, v23
	v_lshl_add_u32 v10, v10, 23, v24
	v_or3_b32 v10, v23, v10, v12
	v_lshrrev_b32_e32 v12, 16, v10
.LBB869_579:
	s_or_b64 exec, exec, s[10:11]
.LBB869_580:
	s_or_b64 exec, exec, s[8:9]
.LBB869_581:
	s_or_b64 exec, exec, s[2:3]
	s_movk_i32 s2, 0xff
	v_and_b32_sdwa v25, v13, s2 dst_sel:DWORD dst_unused:UNUSED_PAD src0_sel:WORD_1 src1_sel:DWORD
	v_lshrrev_b32_e32 v10, 16, v13
	v_cmp_ne_u16_e32 vcc, 0, v25
	v_mov_b32_e32 v23, 0
	v_mov_b32_e32 v24, 0
	s_and_saveexec_b64 s[2:3], vcc
	s_cbranch_execz .LBB869_587
; %bb.582:
	s_movk_i32 s7, 0x80
	v_cmp_ne_u16_e32 vcc, s7, v25
	v_mov_b32_e32 v24, 0xffff8000
	s_and_saveexec_b64 s[8:9], vcc
	s_cbranch_execz .LBB869_586
; %bb.583:
	v_bfe_u32 v25, v13, 16, 7
	s_movk_i32 s7, 0x7f
	v_cmp_ne_u32_e32 vcc, s7, v25
	v_mov_b32_e32 v24, 0x7f80
	s_and_saveexec_b64 s[10:11], vcc
	s_cbranch_execz .LBB869_585
; %bb.584:
	v_and_b32_e32 v24, 7, v10
	v_ffbh_u32_e32 v28, v24
	v_min_u32_e32 v30, 32, v28
	v_subrev_u32_e32 v28, 28, v30
	v_lshlrev_b64 v[28:29], v28, v[10:11]
	v_lshrrev_b32_e32 v27, 3, v25
	v_sub_u32_e32 v10, 29, v30
	v_and_b32_e32 v28, 7, v28
	v_cmp_gt_u32_e32 vcc, 8, v25
	v_mov_b32_e32 v25, 24
	v_cndmask_b32_e32 v10, v27, v10, vcc
	v_cndmask_b32_e32 v24, v24, v28, vcc
	v_lshlrev_b32_sdwa v25, v25, v13 dst_sel:DWORD dst_unused:UNUSED_PAD src0_sel:DWORD src1_sel:WORD_1
	v_bfrev_b32_e32 v27, 60
	v_lshlrev_b32_e32 v24, 20, v24
	v_and_b32_e32 v25, 0x80000000, v25
	v_lshl_add_u32 v10, v10, 23, v27
	v_or3_b32 v10, v25, v10, v24
	v_lshrrev_b32_e32 v24, 16, v10
.LBB869_585:
	s_or_b64 exec, exec, s[10:11]
.LBB869_586:
	s_or_b64 exec, exec, s[8:9]
.LBB869_587:
	s_or_b64 exec, exec, s[2:3]
	s_mov_b32 s2, 0xffffff
	v_cmp_lt_u32_e32 vcc, s2, v13
	s_and_saveexec_b64 s[2:3], vcc
	s_cbranch_execz .LBB869_593
; %bb.588:
	v_lshrrev_b32_e32 v10, 24, v13
	s_movk_i32 s7, 0x80
	v_cmp_ne_u32_e32 vcc, s7, v10
	v_mov_b32_e32 v23, 0xffff8000
	s_and_saveexec_b64 s[8:9], vcc
	s_cbranch_execz .LBB869_592
; %bb.589:
	v_bfe_u32 v13, v13, 24, 7
	s_movk_i32 s7, 0x7f
	v_cmp_ne_u32_e32 vcc, s7, v13
	v_mov_b32_e32 v23, 0x7f80
	s_and_saveexec_b64 s[10:11], vcc
	s_cbranch_execz .LBB869_591
; %bb.590:
	v_and_b32_e32 v23, 7, v10
	v_ffbh_u32_e32 v27, v23
	v_min_u32_e32 v27, 32, v27
	v_subrev_u32_e32 v28, 28, v27
	v_lshlrev_b64 v[28:29], v28, v[10:11]
	v_lshrrev_b32_e32 v25, 3, v13
	v_sub_u32_e32 v27, 29, v27
	v_and_b32_e32 v28, 7, v28
	v_cmp_gt_u32_e32 vcc, 8, v13
	v_cndmask_b32_e32 v13, v25, v27, vcc
	v_cndmask_b32_e32 v23, v23, v28, vcc
	v_lshlrev_b32_e32 v10, 24, v10
	v_bfrev_b32_e32 v25, 60
	v_lshlrev_b32_e32 v23, 20, v23
	v_and_b32_e32 v10, 0x80000000, v10
	v_lshl_add_u32 v13, v13, 23, v25
	v_or3_b32 v10, v10, v13, v23
	v_lshrrev_b32_e32 v23, 16, v10
.LBB869_591:
	s_or_b64 exec, exec, s[10:11]
.LBB869_592:
	s_or_b64 exec, exec, s[8:9]
.LBB869_593:
	s_or_b64 exec, exec, s[2:3]
	s_mov_b32 s2, 0x5040100
	v_perm_b32 v19, v19, v20, s2
	v_perm_b32 v18, v11, v18, s2
	ds_read_b128 v[28:31], v22 offset:2064
	v_perm_b32 v11, v23, v24, s2
	v_perm_b32 v10, v12, v21, s2
	s_waitcnt lgkmcnt(0)
	v_mfma_f32_16x16x16bf16_1k v[32:35], v[18:19], v[28:29], v[14:17]
	s_nop 6
	v_mov_b32_e32 v15, 0
	s_waitcnt vmcnt(1)
	v_cmp_ne_u16_sdwa s[8:9], v6, v15 src0_sel:BYTE_0 src1_sel:DWORD
	v_mfma_f32_16x16x16bf16_1k v[10:13], v[10:11], v[30:31], v[32:35]
	v_mov_b32_e32 v16, 0
	s_and_saveexec_b64 s[2:3], s[8:9]
	s_cbranch_execz .LBB869_599
; %bb.594:
	s_movk_i32 s7, 0x80
	v_cmp_ne_u16_sdwa s[10:11], v6, s7 src0_sel:BYTE_0 src1_sel:DWORD
	v_mov_b32_e32 v16, 0xffff8000
	s_and_saveexec_b64 s[8:9], s[10:11]
	s_cbranch_execz .LBB869_598
; %bb.595:
	s_movk_i32 s7, 0x7f
	v_and_b32_e32 v14, 0x7f, v6
	v_cmp_ne_u32_e32 vcc, s7, v14
	v_mov_b32_e32 v16, 0x7f80
	s_and_saveexec_b64 s[10:11], vcc
	s_cbranch_execz .LBB869_597
; %bb.596:
	v_and_b32_e32 v18, 7, v6
	v_ffbh_u32_e32 v16, v18
	v_min_u32_e32 v20, 32, v16
	v_subrev_u32_e32 v16, 28, v20
	v_lshlrev_b64 v[16:17], v16, v[6:7]
	v_lshrrev_b32_e32 v19, 3, v14
	v_sub_u32_e32 v17, 29, v20
	v_and_b32_e32 v16, 7, v16
	v_cmp_gt_u32_e32 vcc, 8, v14
	v_cndmask_b32_e32 v14, v19, v17, vcc
	v_cndmask_b32_e32 v16, v18, v16, vcc
	v_lshlrev_b32_e32 v17, 24, v6
	v_bfrev_b32_e32 v18, 60
	v_lshlrev_b32_e32 v16, 20, v16
	v_and_b32_e32 v17, 0x80000000, v17
	v_lshl_add_u32 v14, v14, 23, v18
	v_or3_b32 v14, v17, v14, v16
	v_lshrrev_b32_e32 v16, 16, v14
.LBB869_597:
	s_or_b64 exec, exec, s[10:11]
.LBB869_598:
	s_or_b64 exec, exec, s[8:9]
.LBB869_599:
	s_or_b64 exec, exec, s[2:3]
	v_lshrrev_b16_e32 v14, 8, v6
	v_cmp_ne_u16_e32 vcc, 0, v14
	s_and_saveexec_b64 s[2:3], vcc
	s_cbranch_execz .LBB869_605
; %bb.600:
	s_movk_i32 s7, 0x80
	v_cmp_ne_u16_e32 vcc, s7, v14
	v_mov_b32_e32 v15, 0xffff8000
	s_and_saveexec_b64 s[8:9], vcc
	s_cbranch_execz .LBB869_604
; %bb.601:
	s_movk_i32 s7, 0x7f
	v_and_b32_e32 v17, 0x7f, v14
	v_cmp_ne_u32_e32 vcc, s7, v17
	v_mov_b32_e32 v15, 0x7f80
	s_and_saveexec_b64 s[10:11], vcc
	s_cbranch_execz .LBB869_603
; %bb.602:
	v_and_b32_e32 v18, 7, v14
	v_ffbh_u32_e32 v15, v18
	v_min_u32_e32 v20, 32, v15
	v_subrev_u32_e32 v15, 28, v20
	v_lshlrev_b64 v[14:15], v15, v[14:15]
	v_lshrrev_b32_e32 v19, 3, v17
	v_sub_u32_e32 v15, 29, v20
	v_and_b32_e32 v14, 7, v14
	v_cmp_gt_u32_e32 vcc, 8, v17
	v_cndmask_b32_e32 v15, v19, v15, vcc
	v_cndmask_b32_e32 v14, v18, v14, vcc
	v_lshlrev_b32_e32 v17, 16, v6
	v_bfrev_b32_e32 v18, 60
	v_lshlrev_b32_e32 v14, 20, v14
	v_and_b32_e32 v17, 0x80000000, v17
	v_lshl_add_u32 v15, v15, 23, v18
	v_or3_b32 v14, v17, v15, v14
	v_lshrrev_b32_e32 v15, 16, v14
.LBB869_603:
	s_or_b64 exec, exec, s[10:11]
.LBB869_604:
	s_or_b64 exec, exec, s[8:9]
.LBB869_605:
	s_or_b64 exec, exec, s[2:3]
	s_movk_i32 s2, 0xff
	v_and_b32_sdwa v19, v6, s2 dst_sel:DWORD dst_unused:UNUSED_PAD src0_sel:WORD_1 src1_sel:DWORD
	v_lshrrev_b32_e32 v14, 16, v6
	v_cmp_ne_u16_e32 vcc, 0, v19
	v_mov_b32_e32 v17, 0
	v_mov_b32_e32 v18, 0
	s_and_saveexec_b64 s[2:3], vcc
	s_cbranch_execz .LBB869_611
; %bb.606:
	s_movk_i32 s7, 0x80
	v_cmp_ne_u16_e32 vcc, s7, v19
	v_mov_b32_e32 v18, 0xffff8000
	s_and_saveexec_b64 s[8:9], vcc
	s_cbranch_execz .LBB869_610
; %bb.607:
	v_bfe_u32 v19, v6, 16, 7
	s_movk_i32 s7, 0x7f
	v_cmp_ne_u32_e32 vcc, s7, v19
	v_mov_b32_e32 v18, 0x7f80
	s_and_saveexec_b64 s[10:11], vcc
	s_cbranch_execz .LBB869_609
; %bb.608:
	v_and_b32_e32 v18, 7, v14
	v_ffbh_u32_e32 v20, v18
	v_min_u32_e32 v24, 32, v20
	v_subrev_u32_e32 v20, 28, v24
	v_lshlrev_b64 v[20:21], v20, v[14:15]
	v_lshrrev_b32_e32 v23, 3, v19
	v_sub_u32_e32 v14, 29, v24
	v_and_b32_e32 v20, 7, v20
	v_cmp_gt_u32_e32 vcc, 8, v19
	v_mov_b32_e32 v19, 24
	v_cndmask_b32_e32 v14, v23, v14, vcc
	v_cndmask_b32_e32 v18, v18, v20, vcc
	v_lshlrev_b32_sdwa v19, v19, v6 dst_sel:DWORD dst_unused:UNUSED_PAD src0_sel:DWORD src1_sel:WORD_1
	v_bfrev_b32_e32 v20, 60
	v_lshlrev_b32_e32 v18, 20, v18
	v_and_b32_e32 v19, 0x80000000, v19
	v_lshl_add_u32 v14, v14, 23, v20
	v_or3_b32 v14, v19, v14, v18
	v_lshrrev_b32_e32 v18, 16, v14
.LBB869_609:
	s_or_b64 exec, exec, s[10:11]
.LBB869_610:
	s_or_b64 exec, exec, s[8:9]
.LBB869_611:
	s_or_b64 exec, exec, s[2:3]
	s_mov_b32 s2, 0xffffff
	v_cmp_lt_u32_e32 vcc, s2, v6
	s_and_saveexec_b64 s[2:3], vcc
	s_cbranch_execz .LBB869_617
; %bb.612:
	v_lshrrev_b32_e32 v14, 24, v6
	s_movk_i32 s7, 0x80
	v_cmp_ne_u32_e32 vcc, s7, v14
	v_mov_b32_e32 v17, 0xffff8000
	s_and_saveexec_b64 s[8:9], vcc
	s_cbranch_execz .LBB869_616
; %bb.613:
	v_bfe_u32 v6, v6, 24, 7
	s_movk_i32 s7, 0x7f
	v_cmp_ne_u32_e32 vcc, s7, v6
	v_mov_b32_e32 v17, 0x7f80
	s_and_saveexec_b64 s[10:11], vcc
	s_cbranch_execz .LBB869_615
; %bb.614:
	v_and_b32_e32 v17, 7, v14
	v_ffbh_u32_e32 v20, v17
	v_min_u32_e32 v23, 32, v20
	v_subrev_u32_e32 v20, 28, v23
	v_lshlrev_b64 v[20:21], v20, v[14:15]
	v_lshrrev_b32_e32 v19, 3, v6
	v_sub_u32_e32 v21, 29, v23
	v_and_b32_e32 v20, 7, v20
	v_cmp_gt_u32_e32 vcc, 8, v6
	v_cndmask_b32_e32 v6, v19, v21, vcc
	v_cndmask_b32_e32 v17, v17, v20, vcc
	v_lshlrev_b32_e32 v14, 24, v14
	v_bfrev_b32_e32 v19, 60
	v_lshlrev_b32_e32 v17, 20, v17
	v_and_b32_e32 v14, 0x80000000, v14
	v_lshl_add_u32 v6, v6, 23, v19
	v_or3_b32 v6, v14, v6, v17
	v_lshrrev_b32_e32 v17, 16, v6
.LBB869_615:
	s_or_b64 exec, exec, s[10:11]
.LBB869_616:
	s_or_b64 exec, exec, s[8:9]
.LBB869_617:
	s_or_b64 exec, exec, s[2:3]
	v_mov_b32_e32 v14, 0
	v_cmp_ne_u16_sdwa s[8:9], v7, v14 src0_sel:BYTE_0 src1_sel:DWORD
	v_mov_b32_e32 v19, 0
	s_and_saveexec_b64 s[2:3], s[8:9]
	s_cbranch_execz .LBB869_623
; %bb.618:
	s_movk_i32 s7, 0x80
	v_cmp_ne_u16_sdwa s[10:11], v7, s7 src0_sel:BYTE_0 src1_sel:DWORD
	v_mov_b32_e32 v19, 0xffff8000
	s_and_saveexec_b64 s[8:9], s[10:11]
	s_cbranch_execz .LBB869_622
; %bb.619:
	s_movk_i32 s7, 0x7f
	v_and_b32_e32 v6, 0x7f, v7
	v_cmp_ne_u32_e32 vcc, s7, v6
	v_mov_b32_e32 v19, 0x7f80
	s_and_saveexec_b64 s[10:11], vcc
	s_cbranch_execz .LBB869_621
; %bb.620:
	v_and_b32_e32 v19, 7, v7
	v_ffbh_u32_e32 v21, v19
	v_min_u32_e32 v24, 32, v21
	v_mov_b32_e32 v20, v7
	v_subrev_u32_e32 v21, 28, v24
	v_lshlrev_b64 v[20:21], v21, v[20:21]
	v_lshrrev_b32_e32 v23, 3, v6
	v_sub_u32_e32 v21, 29, v24
	v_and_b32_e32 v20, 7, v20
	v_cmp_gt_u32_e32 vcc, 8, v6
	v_cndmask_b32_e32 v6, v23, v21, vcc
	v_cndmask_b32_e32 v19, v19, v20, vcc
	v_lshlrev_b32_e32 v20, 24, v7
	v_bfrev_b32_e32 v21, 60
	v_lshlrev_b32_e32 v19, 20, v19
	v_and_b32_e32 v20, 0x80000000, v20
	v_lshl_add_u32 v6, v6, 23, v21
	v_or3_b32 v6, v20, v6, v19
	v_lshrrev_b32_e32 v19, 16, v6
.LBB869_621:
	s_or_b64 exec, exec, s[10:11]
.LBB869_622:
	s_or_b64 exec, exec, s[8:9]
.LBB869_623:
	s_or_b64 exec, exec, s[2:3]
	v_lshrrev_b16_e32 v6, 8, v7
	v_cmp_ne_u16_e32 vcc, 0, v6
	s_and_saveexec_b64 s[2:3], vcc
	s_cbranch_execz .LBB869_629
; %bb.624:
	s_movk_i32 s7, 0x80
	v_cmp_ne_u16_e32 vcc, s7, v6
	v_mov_b32_e32 v14, 0xffff8000
	s_and_saveexec_b64 s[8:9], vcc
	s_cbranch_execz .LBB869_628
; %bb.625:
	s_movk_i32 s7, 0x7f
	v_and_b32_e32 v20, 0x7f, v6
	v_cmp_ne_u32_e32 vcc, s7, v20
	v_mov_b32_e32 v14, 0x7f80
	s_and_saveexec_b64 s[10:11], vcc
	s_cbranch_execz .LBB869_627
; %bb.626:
	v_and_b32_e32 v14, 7, v6
	v_ffbh_u32_e32 v23, v14
	v_min_u32_e32 v23, 32, v23
	v_subrev_u32_e32 v24, 28, v23
	v_lshlrev_b64 v[24:25], v24, v[6:7]
	v_lshrrev_b32_e32 v21, 3, v20
	v_sub_u32_e32 v6, 29, v23
	v_and_b32_e32 v23, 7, v24
	v_cmp_gt_u32_e32 vcc, 8, v20
	v_cndmask_b32_e32 v6, v21, v6, vcc
	v_cndmask_b32_e32 v14, v14, v23, vcc
	v_lshlrev_b32_e32 v20, 16, v7
	v_bfrev_b32_e32 v21, 60
	v_lshlrev_b32_e32 v14, 20, v14
	v_and_b32_e32 v20, 0x80000000, v20
	v_lshl_add_u32 v6, v6, 23, v21
	v_or3_b32 v6, v20, v6, v14
	v_lshrrev_b32_e32 v14, 16, v6
.LBB869_627:
	s_or_b64 exec, exec, s[10:11]
.LBB869_628:
	s_or_b64 exec, exec, s[8:9]
.LBB869_629:
	s_or_b64 exec, exec, s[2:3]
	s_movk_i32 s2, 0xff
	v_and_b32_sdwa v23, v7, s2 dst_sel:DWORD dst_unused:UNUSED_PAD src0_sel:WORD_1 src1_sel:DWORD
	v_lshrrev_b32_e32 v6, 16, v7
	v_cmp_ne_u16_e32 vcc, 0, v23
	v_mov_b32_e32 v20, 0
	v_mov_b32_e32 v21, 0
	s_and_saveexec_b64 s[2:3], vcc
	s_cbranch_execz .LBB869_635
; %bb.630:
	s_movk_i32 s7, 0x80
	v_cmp_ne_u16_e32 vcc, s7, v23
	v_mov_b32_e32 v21, 0xffff8000
	s_and_saveexec_b64 s[8:9], vcc
	s_cbranch_execz .LBB869_634
; %bb.631:
	v_bfe_u32 v23, v7, 16, 7
	s_movk_i32 s7, 0x7f
	v_cmp_ne_u32_e32 vcc, s7, v23
	v_mov_b32_e32 v21, 0x7f80
	s_and_saveexec_b64 s[10:11], vcc
	s_cbranch_execz .LBB869_633
; %bb.632:
	v_and_b32_e32 v21, 7, v6
	v_ffbh_u32_e32 v24, v21
	v_min_u32_e32 v28, 32, v24
	v_subrev_u32_e32 v24, 28, v28
	v_lshlrev_b64 v[24:25], v24, v[6:7]
	v_lshrrev_b32_e32 v27, 3, v23
	v_sub_u32_e32 v6, 29, v28
	v_and_b32_e32 v24, 7, v24
	v_cmp_gt_u32_e32 vcc, 8, v23
	v_mov_b32_e32 v23, 24
	v_cndmask_b32_e32 v6, v27, v6, vcc
	v_cndmask_b32_e32 v21, v21, v24, vcc
	v_lshlrev_b32_sdwa v23, v23, v7 dst_sel:DWORD dst_unused:UNUSED_PAD src0_sel:DWORD src1_sel:WORD_1
	v_bfrev_b32_e32 v24, 60
	v_lshlrev_b32_e32 v21, 20, v21
	v_and_b32_e32 v23, 0x80000000, v23
	v_lshl_add_u32 v6, v6, 23, v24
	v_or3_b32 v6, v23, v6, v21
	v_lshrrev_b32_e32 v21, 16, v6
.LBB869_633:
	s_or_b64 exec, exec, s[10:11]
.LBB869_634:
	s_or_b64 exec, exec, s[8:9]
.LBB869_635:
	s_or_b64 exec, exec, s[2:3]
	s_mov_b32 s2, 0xffffff
	v_cmp_lt_u32_e32 vcc, s2, v7
	s_and_saveexec_b64 s[2:3], vcc
	s_cbranch_execz .LBB869_641
; %bb.636:
	v_lshrrev_b32_e32 v6, 24, v7
	s_movk_i32 s7, 0x80
	v_cmp_ne_u32_e32 vcc, s7, v6
	v_mov_b32_e32 v20, 0xffff8000
	s_and_saveexec_b64 s[8:9], vcc
	s_cbranch_execz .LBB869_640
; %bb.637:
	v_bfe_u32 v7, v7, 24, 7
	s_movk_i32 s7, 0x7f
	v_cmp_ne_u32_e32 vcc, s7, v7
	v_mov_b32_e32 v20, 0x7f80
	s_and_saveexec_b64 s[10:11], vcc
	s_cbranch_execz .LBB869_639
; %bb.638:
	v_and_b32_e32 v20, 7, v6
	v_ffbh_u32_e32 v24, v20
	v_min_u32_e32 v27, 32, v24
	v_subrev_u32_e32 v24, 28, v27
	v_lshlrev_b64 v[24:25], v24, v[6:7]
	v_lshrrev_b32_e32 v23, 3, v7
	v_sub_u32_e32 v25, 29, v27
	v_and_b32_e32 v24, 7, v24
	v_cmp_gt_u32_e32 vcc, 8, v7
	v_cndmask_b32_e32 v7, v23, v25, vcc
	v_cndmask_b32_e32 v20, v20, v24, vcc
	v_lshlrev_b32_e32 v6, 24, v6
	v_bfrev_b32_e32 v23, 60
	v_lshlrev_b32_e32 v20, 20, v20
	v_and_b32_e32 v6, 0x80000000, v6
	v_lshl_add_u32 v7, v7, 23, v23
	v_or3_b32 v6, v6, v7, v20
	v_lshrrev_b32_e32 v20, 16, v6
.LBB869_639:
	s_or_b64 exec, exec, s[10:11]
.LBB869_640:
	s_or_b64 exec, exec, s[8:9]
.LBB869_641:
	s_or_b64 exec, exec, s[2:3]
	s_mov_b32 s2, 0x5040100
	v_perm_b32 v7, v17, v18, s2
	v_perm_b32 v6, v15, v16, s2
	ds_read_b128 v[28:31], v22 offset:4096
	v_perm_b32 v17, v20, v21, s2
	v_perm_b32 v16, v14, v19, s2
	s_waitcnt lgkmcnt(0)
	v_mfma_f32_16x16x16bf16_1k v[10:13], v[6:7], v[28:29], v[10:13]
	v_mov_b32_e32 v7, 0
	v_cmp_ne_u16_sdwa s[8:9], v8, v7 src0_sel:BYTE_0 src1_sel:DWORD
	v_mov_b32_e32 v14, 0
	v_mfma_f32_16x16x16bf16_1k v[10:13], v[16:17], v[30:31], v[10:13]
	s_and_saveexec_b64 s[2:3], s[8:9]
	s_cbranch_execz .LBB869_647
; %bb.642:
	s_movk_i32 s7, 0x80
	v_cmp_ne_u16_sdwa s[10:11], v8, s7 src0_sel:BYTE_0 src1_sel:DWORD
	v_mov_b32_e32 v14, 0xffff8000
	s_and_saveexec_b64 s[8:9], s[10:11]
	s_cbranch_execz .LBB869_646
; %bb.643:
	s_movk_i32 s7, 0x7f
	v_and_b32_e32 v6, 0x7f, v8
	v_cmp_ne_u32_e32 vcc, s7, v6
	v_mov_b32_e32 v14, 0x7f80
	s_and_saveexec_b64 s[10:11], vcc
	s_cbranch_execz .LBB869_645
; %bb.644:
	v_and_b32_e32 v16, 7, v8
	v_ffbh_u32_e32 v14, v16
	v_min_u32_e32 v18, 32, v14
	v_subrev_u32_e32 v14, 28, v18
	v_lshlrev_b64 v[14:15], v14, v[8:9]
	v_lshrrev_b32_e32 v17, 3, v6
	v_sub_u32_e32 v15, 29, v18
	v_and_b32_e32 v14, 7, v14
	v_cmp_gt_u32_e32 vcc, 8, v6
	v_cndmask_b32_e32 v6, v17, v15, vcc
	v_cndmask_b32_e32 v14, v16, v14, vcc
	v_lshlrev_b32_e32 v15, 24, v8
	v_bfrev_b32_e32 v16, 60
	v_lshlrev_b32_e32 v14, 20, v14
	v_and_b32_e32 v15, 0x80000000, v15
	v_lshl_add_u32 v6, v6, 23, v16
	v_or3_b32 v6, v15, v6, v14
	v_lshrrev_b32_e32 v14, 16, v6
.LBB869_645:
	s_or_b64 exec, exec, s[10:11]
.LBB869_646:
	s_or_b64 exec, exec, s[8:9]
.LBB869_647:
	s_or_b64 exec, exec, s[2:3]
	v_lshrrev_b16_e32 v6, 8, v8
	v_cmp_ne_u16_e32 vcc, 0, v6
	s_and_saveexec_b64 s[2:3], vcc
	s_cbranch_execz .LBB869_653
; %bb.648:
	s_movk_i32 s7, 0x80
	v_cmp_ne_u16_e32 vcc, s7, v6
	v_mov_b32_e32 v7, 0xffff8000
	s_and_saveexec_b64 s[8:9], vcc
	s_cbranch_execz .LBB869_652
; %bb.649:
	s_movk_i32 s7, 0x7f
	v_and_b32_e32 v15, 0x7f, v6
	v_cmp_ne_u32_e32 vcc, s7, v15
	v_mov_b32_e32 v7, 0x7f80
	s_and_saveexec_b64 s[10:11], vcc
	s_cbranch_execz .LBB869_651
; %bb.650:
	v_and_b32_e32 v16, 7, v6
	v_ffbh_u32_e32 v7, v16
	v_min_u32_e32 v18, 32, v7
	v_subrev_u32_e32 v7, 28, v18
	v_lshlrev_b64 v[6:7], v7, v[6:7]
	v_lshrrev_b32_e32 v17, 3, v15
	v_sub_u32_e32 v7, 29, v18
	v_and_b32_e32 v6, 7, v6
	v_cmp_gt_u32_e32 vcc, 8, v15
	v_cndmask_b32_e32 v7, v17, v7, vcc
	v_cndmask_b32_e32 v6, v16, v6, vcc
	v_lshlrev_b32_e32 v15, 16, v8
	v_bfrev_b32_e32 v16, 60
	v_lshlrev_b32_e32 v6, 20, v6
	v_and_b32_e32 v15, 0x80000000, v15
	v_lshl_add_u32 v7, v7, 23, v16
	v_or3_b32 v6, v15, v7, v6
	v_lshrrev_b32_e32 v7, 16, v6
.LBB869_651:
	s_or_b64 exec, exec, s[10:11]
.LBB869_652:
	s_or_b64 exec, exec, s[8:9]
.LBB869_653:
	s_or_b64 exec, exec, s[2:3]
	s_movk_i32 s2, 0xff
	v_and_b32_sdwa v17, v8, s2 dst_sel:DWORD dst_unused:UNUSED_PAD src0_sel:WORD_1 src1_sel:DWORD
	v_lshrrev_b32_e32 v6, 16, v8
	v_cmp_ne_u16_e32 vcc, 0, v17
	v_mov_b32_e32 v15, 0
	v_mov_b32_e32 v16, 0
	s_and_saveexec_b64 s[2:3], vcc
	s_cbranch_execz .LBB869_659
; %bb.654:
	s_movk_i32 s7, 0x80
	v_cmp_ne_u16_e32 vcc, s7, v17
	v_mov_b32_e32 v16, 0xffff8000
	s_and_saveexec_b64 s[8:9], vcc
	s_cbranch_execz .LBB869_658
; %bb.655:
	v_bfe_u32 v17, v8, 16, 7
	s_movk_i32 s7, 0x7f
	v_cmp_ne_u32_e32 vcc, s7, v17
	v_mov_b32_e32 v16, 0x7f80
	s_and_saveexec_b64 s[10:11], vcc
	s_cbranch_execz .LBB869_657
; %bb.656:
	v_and_b32_e32 v16, 7, v6
	v_ffbh_u32_e32 v18, v16
	v_min_u32_e32 v21, 32, v18
	v_subrev_u32_e32 v18, 28, v21
	v_lshlrev_b64 v[18:19], v18, v[6:7]
	v_lshrrev_b32_e32 v20, 3, v17
	v_sub_u32_e32 v6, 29, v21
	v_and_b32_e32 v18, 7, v18
	v_cmp_gt_u32_e32 vcc, 8, v17
	v_mov_b32_e32 v17, 24
	v_cndmask_b32_e32 v6, v20, v6, vcc
	v_cndmask_b32_e32 v16, v16, v18, vcc
	v_lshlrev_b32_sdwa v17, v17, v8 dst_sel:DWORD dst_unused:UNUSED_PAD src0_sel:DWORD src1_sel:WORD_1
	v_bfrev_b32_e32 v18, 60
	v_lshlrev_b32_e32 v16, 20, v16
	v_and_b32_e32 v17, 0x80000000, v17
	v_lshl_add_u32 v6, v6, 23, v18
	v_or3_b32 v6, v17, v6, v16
	v_lshrrev_b32_e32 v16, 16, v6
.LBB869_657:
	s_or_b64 exec, exec, s[10:11]
.LBB869_658:
	s_or_b64 exec, exec, s[8:9]
.LBB869_659:
	s_or_b64 exec, exec, s[2:3]
	s_mov_b32 s2, 0xffffff
	v_cmp_lt_u32_e32 vcc, s2, v8
	s_and_saveexec_b64 s[2:3], vcc
	s_cbranch_execz .LBB869_665
; %bb.660:
	v_lshrrev_b32_e32 v6, 24, v8
	s_movk_i32 s7, 0x80
	v_cmp_ne_u32_e32 vcc, s7, v6
	v_mov_b32_e32 v15, 0xffff8000
	s_and_saveexec_b64 s[8:9], vcc
	s_cbranch_execz .LBB869_664
; %bb.661:
	v_bfe_u32 v8, v8, 24, 7
	s_movk_i32 s7, 0x7f
	v_cmp_ne_u32_e32 vcc, s7, v8
	v_mov_b32_e32 v15, 0x7f80
	s_and_saveexec_b64 s[10:11], vcc
	s_cbranch_execz .LBB869_663
; %bb.662:
	v_and_b32_e32 v15, 7, v6
	v_ffbh_u32_e32 v18, v15
	v_min_u32_e32 v20, 32, v18
	v_subrev_u32_e32 v18, 28, v20
	v_lshlrev_b64 v[18:19], v18, v[6:7]
	v_lshrrev_b32_e32 v17, 3, v8
	v_sub_u32_e32 v19, 29, v20
	v_and_b32_e32 v18, 7, v18
	v_cmp_gt_u32_e32 vcc, 8, v8
	v_cndmask_b32_e32 v8, v17, v19, vcc
	v_cndmask_b32_e32 v15, v15, v18, vcc
	v_lshlrev_b32_e32 v6, 24, v6
	v_bfrev_b32_e32 v17, 60
	v_lshlrev_b32_e32 v15, 20, v15
	v_and_b32_e32 v6, 0x80000000, v6
	v_lshl_add_u32 v8, v8, 23, v17
	v_or3_b32 v6, v6, v8, v15
	v_lshrrev_b32_e32 v15, 16, v6
.LBB869_663:
	s_or_b64 exec, exec, s[10:11]
.LBB869_664:
	s_or_b64 exec, exec, s[8:9]
.LBB869_665:
	s_or_b64 exec, exec, s[2:3]
	v_mov_b32_e32 v8, 0
	v_cmp_ne_u16_sdwa s[8:9], v9, v8 src0_sel:BYTE_0 src1_sel:DWORD
	v_mov_b32_e32 v17, 0
	s_and_saveexec_b64 s[2:3], s[8:9]
	s_cbranch_execz .LBB869_671
; %bb.666:
	s_movk_i32 s7, 0x80
	v_cmp_ne_u16_sdwa s[10:11], v9, s7 src0_sel:BYTE_0 src1_sel:DWORD
	v_mov_b32_e32 v17, 0xffff8000
	s_and_saveexec_b64 s[8:9], s[10:11]
	s_cbranch_execz .LBB869_670
; %bb.667:
	s_movk_i32 s7, 0x7f
	v_and_b32_e32 v6, 0x7f, v9
	v_cmp_ne_u32_e32 vcc, s7, v6
	v_mov_b32_e32 v17, 0x7f80
	s_and_saveexec_b64 s[10:11], vcc
	s_cbranch_execz .LBB869_669
; %bb.668:
	v_and_b32_e32 v17, 7, v9
	v_ffbh_u32_e32 v19, v17
	v_min_u32_e32 v21, 32, v19
	v_mov_b32_e32 v18, v9
	v_subrev_u32_e32 v19, 28, v21
	v_lshlrev_b64 v[18:19], v19, v[18:19]
	v_lshrrev_b32_e32 v20, 3, v6
	v_sub_u32_e32 v19, 29, v21
	v_and_b32_e32 v18, 7, v18
	v_cmp_gt_u32_e32 vcc, 8, v6
	v_cndmask_b32_e32 v6, v20, v19, vcc
	v_cndmask_b32_e32 v17, v17, v18, vcc
	v_lshlrev_b32_e32 v18, 24, v9
	v_bfrev_b32_e32 v19, 60
	v_lshlrev_b32_e32 v17, 20, v17
	v_and_b32_e32 v18, 0x80000000, v18
	v_lshl_add_u32 v6, v6, 23, v19
	v_or3_b32 v6, v18, v6, v17
	v_lshrrev_b32_e32 v17, 16, v6
.LBB869_669:
	s_or_b64 exec, exec, s[10:11]
.LBB869_670:
	s_or_b64 exec, exec, s[8:9]
.LBB869_671:
	s_or_b64 exec, exec, s[2:3]
	v_lshrrev_b16_e32 v6, 8, v9
	v_cmp_ne_u16_e32 vcc, 0, v6
	s_and_saveexec_b64 s[2:3], vcc
	s_cbranch_execz .LBB869_677
; %bb.672:
	s_movk_i32 s7, 0x80
	v_cmp_ne_u16_e32 vcc, s7, v6
	v_mov_b32_e32 v8, 0xffff8000
	s_and_saveexec_b64 s[8:9], vcc
	s_cbranch_execz .LBB869_676
; %bb.673:
	s_movk_i32 s7, 0x7f
	v_and_b32_e32 v18, 0x7f, v6
	v_cmp_ne_u32_e32 vcc, s7, v18
	v_mov_b32_e32 v8, 0x7f80
	s_and_saveexec_b64 s[10:11], vcc
	s_cbranch_execz .LBB869_675
; %bb.674:
	v_and_b32_e32 v8, 7, v6
	v_ffbh_u32_e32 v20, v8
	v_min_u32_e32 v23, 32, v20
	v_subrev_u32_e32 v20, 28, v23
	v_lshlrev_b64 v[20:21], v20, v[6:7]
	v_lshrrev_b32_e32 v19, 3, v18
	v_sub_u32_e32 v6, 29, v23
	v_and_b32_e32 v20, 7, v20
	v_cmp_gt_u32_e32 vcc, 8, v18
	v_cndmask_b32_e32 v6, v19, v6, vcc
	v_cndmask_b32_e32 v8, v8, v20, vcc
	v_lshlrev_b32_e32 v18, 16, v9
	v_bfrev_b32_e32 v19, 60
	v_lshlrev_b32_e32 v8, 20, v8
	v_and_b32_e32 v18, 0x80000000, v18
	v_lshl_add_u32 v6, v6, 23, v19
	v_or3_b32 v6, v18, v6, v8
	v_lshrrev_b32_e32 v8, 16, v6
.LBB869_675:
	s_or_b64 exec, exec, s[10:11]
.LBB869_676:
	s_or_b64 exec, exec, s[8:9]
.LBB869_677:
	s_or_b64 exec, exec, s[2:3]
	s_movk_i32 s2, 0xff
	v_and_b32_sdwa v20, v9, s2 dst_sel:DWORD dst_unused:UNUSED_PAD src0_sel:WORD_1 src1_sel:DWORD
	v_lshrrev_b32_e32 v6, 16, v9
	v_cmp_ne_u16_e32 vcc, 0, v20
	v_mov_b32_e32 v18, 0
	v_mov_b32_e32 v19, 0
	s_and_saveexec_b64 s[2:3], vcc
	s_cbranch_execz .LBB869_683
; %bb.678:
	s_movk_i32 s7, 0x80
	v_cmp_ne_u16_e32 vcc, s7, v20
	v_mov_b32_e32 v19, 0xffff8000
	s_and_saveexec_b64 s[8:9], vcc
	s_cbranch_execz .LBB869_682
; %bb.679:
	v_bfe_u32 v20, v9, 16, 7
	s_movk_i32 s7, 0x7f
	v_cmp_ne_u32_e32 vcc, s7, v20
	v_mov_b32_e32 v19, 0x7f80
	s_and_saveexec_b64 s[10:11], vcc
	s_cbranch_execz .LBB869_681
; %bb.680:
	v_and_b32_e32 v19, 7, v6
	v_ffbh_u32_e32 v23, v19
	v_min_u32_e32 v23, 32, v23
	v_subrev_u32_e32 v24, 28, v23
	v_lshlrev_b64 v[24:25], v24, v[6:7]
	v_lshrrev_b32_e32 v21, 3, v20
	v_sub_u32_e32 v6, 29, v23
	v_and_b32_e32 v23, 7, v24
	v_cmp_gt_u32_e32 vcc, 8, v20
	v_mov_b32_e32 v20, 24
	v_cndmask_b32_e32 v6, v21, v6, vcc
	v_cndmask_b32_e32 v19, v19, v23, vcc
	v_lshlrev_b32_sdwa v20, v20, v9 dst_sel:DWORD dst_unused:UNUSED_PAD src0_sel:DWORD src1_sel:WORD_1
	v_bfrev_b32_e32 v21, 60
	v_lshlrev_b32_e32 v19, 20, v19
	v_and_b32_e32 v20, 0x80000000, v20
	v_lshl_add_u32 v6, v6, 23, v21
	v_or3_b32 v6, v20, v6, v19
	v_lshrrev_b32_e32 v19, 16, v6
.LBB869_681:
	s_or_b64 exec, exec, s[10:11]
.LBB869_682:
	s_or_b64 exec, exec, s[8:9]
.LBB869_683:
	s_or_b64 exec, exec, s[2:3]
	s_mov_b32 s2, 0xffffff
	v_cmp_lt_u32_e32 vcc, s2, v9
	s_and_saveexec_b64 s[2:3], vcc
	s_cbranch_execz .LBB869_689
; %bb.684:
	v_lshrrev_b32_e32 v6, 24, v9
	s_movk_i32 s7, 0x80
	v_cmp_ne_u32_e32 vcc, s7, v6
	v_mov_b32_e32 v18, 0xffff8000
	s_and_saveexec_b64 s[8:9], vcc
	s_cbranch_execz .LBB869_688
; %bb.685:
	v_bfe_u32 v9, v9, 24, 7
	s_movk_i32 s7, 0x7f
	v_cmp_ne_u32_e32 vcc, s7, v9
	v_mov_b32_e32 v18, 0x7f80
	s_and_saveexec_b64 s[10:11], vcc
	s_cbranch_execz .LBB869_687
; %bb.686:
	v_and_b32_e32 v18, 7, v6
	v_ffbh_u32_e32 v20, v18
	v_min_u32_e32 v24, 32, v20
	v_subrev_u32_e32 v20, 28, v24
	v_lshlrev_b64 v[20:21], v20, v[6:7]
	v_lshrrev_b32_e32 v23, 3, v9
	v_sub_u32_e32 v21, 29, v24
	v_and_b32_e32 v20, 7, v20
	v_cmp_gt_u32_e32 vcc, 8, v9
	v_cndmask_b32_e32 v9, v23, v21, vcc
	v_cndmask_b32_e32 v18, v18, v20, vcc
	v_lshlrev_b32_e32 v6, 24, v6
	v_bfrev_b32_e32 v20, 60
	v_lshlrev_b32_e32 v18, 20, v18
	v_and_b32_e32 v6, 0x80000000, v6
	v_lshl_add_u32 v9, v9, 23, v20
	v_or3_b32 v6, v6, v9, v18
	v_lshrrev_b32_e32 v18, 16, v6
.LBB869_687:
	s_or_b64 exec, exec, s[10:11]
.LBB869_688:
	s_or_b64 exec, exec, s[8:9]
.LBB869_689:
	s_or_b64 exec, exec, s[2:3]
	s_mov_b32 s2, 0x5040100
	v_perm_b32 v15, v15, v16, s2
	v_perm_b32 v14, v7, v14, s2
	ds_read_b128 v[28:31], v22 offset:4112
	v_perm_b32 v7, v18, v19, s2
	v_perm_b32 v6, v8, v17, s2
	s_waitcnt lgkmcnt(0)
	v_mfma_f32_16x16x16bf16_1k v[32:35], v[14:15], v[28:29], v[10:13]
	s_nop 6
	v_mov_b32_e32 v11, 0
	s_waitcnt vmcnt(0)
	v_cmp_ne_u16_sdwa s[8:9], v2, v11 src0_sel:BYTE_0 src1_sel:DWORD
	v_mfma_f32_16x16x16bf16_1k v[6:9], v[6:7], v[30:31], v[32:35]
	v_mov_b32_e32 v12, 0
	s_and_saveexec_b64 s[2:3], s[8:9]
	s_cbranch_execz .LBB869_695
; %bb.690:
	s_movk_i32 s7, 0x80
	v_cmp_ne_u16_sdwa s[10:11], v2, s7 src0_sel:BYTE_0 src1_sel:DWORD
	v_mov_b32_e32 v12, 0xffff8000
	s_and_saveexec_b64 s[8:9], s[10:11]
	s_cbranch_execz .LBB869_694
; %bb.691:
	s_movk_i32 s7, 0x7f
	v_and_b32_e32 v10, 0x7f, v2
	v_cmp_ne_u32_e32 vcc, s7, v10
	v_mov_b32_e32 v12, 0x7f80
	s_and_saveexec_b64 s[10:11], vcc
	s_cbranch_execz .LBB869_693
; %bb.692:
	v_and_b32_e32 v14, 7, v2
	v_ffbh_u32_e32 v12, v14
	v_min_u32_e32 v16, 32, v12
	v_subrev_u32_e32 v12, 28, v16
	v_lshlrev_b64 v[12:13], v12, v[2:3]
	v_lshrrev_b32_e32 v15, 3, v10
	v_sub_u32_e32 v13, 29, v16
	v_and_b32_e32 v12, 7, v12
	v_cmp_gt_u32_e32 vcc, 8, v10
	v_cndmask_b32_e32 v10, v15, v13, vcc
	v_cndmask_b32_e32 v12, v14, v12, vcc
	v_lshlrev_b32_e32 v13, 24, v2
	v_bfrev_b32_e32 v14, 60
	v_lshlrev_b32_e32 v12, 20, v12
	v_and_b32_e32 v13, 0x80000000, v13
	v_lshl_add_u32 v10, v10, 23, v14
	v_or3_b32 v10, v13, v10, v12
	v_lshrrev_b32_e32 v12, 16, v10
.LBB869_693:
	s_or_b64 exec, exec, s[10:11]
.LBB869_694:
	s_or_b64 exec, exec, s[8:9]
.LBB869_695:
	s_or_b64 exec, exec, s[2:3]
	v_lshrrev_b16_e32 v10, 8, v2
	v_cmp_ne_u16_e32 vcc, 0, v10
	s_and_saveexec_b64 s[2:3], vcc
	s_cbranch_execz .LBB869_701
; %bb.696:
	s_movk_i32 s7, 0x80
	v_cmp_ne_u16_e32 vcc, s7, v10
	v_mov_b32_e32 v11, 0xffff8000
	s_and_saveexec_b64 s[8:9], vcc
	s_cbranch_execz .LBB869_700
; %bb.697:
	s_movk_i32 s7, 0x7f
	v_and_b32_e32 v13, 0x7f, v10
	v_cmp_ne_u32_e32 vcc, s7, v13
	v_mov_b32_e32 v11, 0x7f80
	s_and_saveexec_b64 s[10:11], vcc
	s_cbranch_execz .LBB869_699
; %bb.698:
	v_and_b32_e32 v14, 7, v10
	v_ffbh_u32_e32 v11, v14
	v_min_u32_e32 v16, 32, v11
	v_subrev_u32_e32 v11, 28, v16
	v_lshlrev_b64 v[10:11], v11, v[10:11]
	v_lshrrev_b32_e32 v15, 3, v13
	v_sub_u32_e32 v11, 29, v16
	v_and_b32_e32 v10, 7, v10
	v_cmp_gt_u32_e32 vcc, 8, v13
	v_cndmask_b32_e32 v11, v15, v11, vcc
	v_cndmask_b32_e32 v10, v14, v10, vcc
	v_lshlrev_b32_e32 v13, 16, v2
	v_bfrev_b32_e32 v14, 60
	v_lshlrev_b32_e32 v10, 20, v10
	v_and_b32_e32 v13, 0x80000000, v13
	v_lshl_add_u32 v11, v11, 23, v14
	v_or3_b32 v10, v13, v11, v10
	v_lshrrev_b32_e32 v11, 16, v10
.LBB869_699:
	s_or_b64 exec, exec, s[10:11]
.LBB869_700:
	s_or_b64 exec, exec, s[8:9]
.LBB869_701:
	s_or_b64 exec, exec, s[2:3]
	s_movk_i32 s2, 0xff
	v_and_b32_sdwa v15, v2, s2 dst_sel:DWORD dst_unused:UNUSED_PAD src0_sel:WORD_1 src1_sel:DWORD
	v_lshrrev_b32_e32 v10, 16, v2
	v_cmp_ne_u16_e32 vcc, 0, v15
	v_mov_b32_e32 v13, 0
	v_mov_b32_e32 v14, 0
	s_and_saveexec_b64 s[2:3], vcc
	s_cbranch_execz .LBB869_707
; %bb.702:
	s_movk_i32 s7, 0x80
	v_cmp_ne_u16_e32 vcc, s7, v15
	v_mov_b32_e32 v14, 0xffff8000
	s_and_saveexec_b64 s[8:9], vcc
	s_cbranch_execz .LBB869_706
; %bb.703:
	v_bfe_u32 v15, v2, 16, 7
	s_movk_i32 s7, 0x7f
	v_cmp_ne_u32_e32 vcc, s7, v15
	v_mov_b32_e32 v14, 0x7f80
	s_and_saveexec_b64 s[10:11], vcc
	s_cbranch_execz .LBB869_705
; %bb.704:
	v_and_b32_e32 v14, 7, v10
	v_ffbh_u32_e32 v16, v14
	v_min_u32_e32 v19, 32, v16
	v_subrev_u32_e32 v16, 28, v19
	v_lshlrev_b64 v[16:17], v16, v[10:11]
	v_lshrrev_b32_e32 v18, 3, v15
	v_sub_u32_e32 v10, 29, v19
	v_and_b32_e32 v16, 7, v16
	v_cmp_gt_u32_e32 vcc, 8, v15
	v_mov_b32_e32 v15, 24
	v_cndmask_b32_e32 v10, v18, v10, vcc
	v_cndmask_b32_e32 v14, v14, v16, vcc
	v_lshlrev_b32_sdwa v15, v15, v2 dst_sel:DWORD dst_unused:UNUSED_PAD src0_sel:DWORD src1_sel:WORD_1
	v_bfrev_b32_e32 v16, 60
	v_lshlrev_b32_e32 v14, 20, v14
	v_and_b32_e32 v15, 0x80000000, v15
	v_lshl_add_u32 v10, v10, 23, v16
	v_or3_b32 v10, v15, v10, v14
	v_lshrrev_b32_e32 v14, 16, v10
.LBB869_705:
	s_or_b64 exec, exec, s[10:11]
.LBB869_706:
	s_or_b64 exec, exec, s[8:9]
.LBB869_707:
	s_or_b64 exec, exec, s[2:3]
	s_mov_b32 s2, 0xffffff
	v_cmp_lt_u32_e32 vcc, s2, v2
	s_and_saveexec_b64 s[2:3], vcc
	s_cbranch_execz .LBB869_713
; %bb.708:
	v_lshrrev_b32_e32 v10, 24, v2
	s_movk_i32 s7, 0x80
	v_cmp_ne_u32_e32 vcc, s7, v10
	v_mov_b32_e32 v13, 0xffff8000
	s_and_saveexec_b64 s[8:9], vcc
	s_cbranch_execz .LBB869_712
; %bb.709:
	v_bfe_u32 v2, v2, 24, 7
	s_movk_i32 s7, 0x7f
	v_cmp_ne_u32_e32 vcc, s7, v2
	v_mov_b32_e32 v13, 0x7f80
	s_and_saveexec_b64 s[10:11], vcc
	s_cbranch_execz .LBB869_711
; %bb.710:
	v_and_b32_e32 v13, 7, v10
	v_ffbh_u32_e32 v16, v13
	v_min_u32_e32 v18, 32, v16
	v_subrev_u32_e32 v16, 28, v18
	v_lshlrev_b64 v[16:17], v16, v[10:11]
	v_lshrrev_b32_e32 v15, 3, v2
	v_sub_u32_e32 v17, 29, v18
	v_and_b32_e32 v16, 7, v16
	v_cmp_gt_u32_e32 vcc, 8, v2
	v_cndmask_b32_e32 v2, v15, v17, vcc
	v_cndmask_b32_e32 v13, v13, v16, vcc
	v_lshlrev_b32_e32 v10, 24, v10
	v_bfrev_b32_e32 v15, 60
	v_lshlrev_b32_e32 v13, 20, v13
	v_and_b32_e32 v10, 0x80000000, v10
	v_lshl_add_u32 v2, v2, 23, v15
	v_or3_b32 v2, v10, v2, v13
	v_lshrrev_b32_e32 v13, 16, v2
.LBB869_711:
	s_or_b64 exec, exec, s[10:11]
.LBB869_712:
	s_or_b64 exec, exec, s[8:9]
.LBB869_713:
	s_or_b64 exec, exec, s[2:3]
	v_mov_b32_e32 v10, 0
	v_cmp_ne_u16_sdwa s[8:9], v3, v10 src0_sel:BYTE_0 src1_sel:DWORD
	v_mov_b32_e32 v15, 0
	s_and_saveexec_b64 s[2:3], s[8:9]
	s_cbranch_execz .LBB869_719
; %bb.714:
	s_movk_i32 s7, 0x80
	v_cmp_ne_u16_sdwa s[10:11], v3, s7 src0_sel:BYTE_0 src1_sel:DWORD
	v_mov_b32_e32 v15, 0xffff8000
	s_and_saveexec_b64 s[8:9], s[10:11]
	s_cbranch_execz .LBB869_718
; %bb.715:
	s_movk_i32 s7, 0x7f
	v_and_b32_e32 v2, 0x7f, v3
	v_cmp_ne_u32_e32 vcc, s7, v2
	v_mov_b32_e32 v15, 0x7f80
	s_and_saveexec_b64 s[10:11], vcc
	s_cbranch_execz .LBB869_717
; %bb.716:
	v_and_b32_e32 v15, 7, v3
	v_ffbh_u32_e32 v17, v15
	v_min_u32_e32 v19, 32, v17
	v_mov_b32_e32 v16, v3
	v_subrev_u32_e32 v17, 28, v19
	v_lshlrev_b64 v[16:17], v17, v[16:17]
	v_lshrrev_b32_e32 v18, 3, v2
	v_sub_u32_e32 v17, 29, v19
	v_and_b32_e32 v16, 7, v16
	v_cmp_gt_u32_e32 vcc, 8, v2
	v_cndmask_b32_e32 v2, v18, v17, vcc
	v_cndmask_b32_e32 v15, v15, v16, vcc
	v_lshlrev_b32_e32 v16, 24, v3
	v_bfrev_b32_e32 v17, 60
	v_lshlrev_b32_e32 v15, 20, v15
	v_and_b32_e32 v16, 0x80000000, v16
	v_lshl_add_u32 v2, v2, 23, v17
	v_or3_b32 v2, v16, v2, v15
	v_lshrrev_b32_e32 v15, 16, v2
.LBB869_717:
	s_or_b64 exec, exec, s[10:11]
.LBB869_718:
	s_or_b64 exec, exec, s[8:9]
.LBB869_719:
	s_or_b64 exec, exec, s[2:3]
	v_lshrrev_b16_e32 v2, 8, v3
	v_cmp_ne_u16_e32 vcc, 0, v2
	s_and_saveexec_b64 s[2:3], vcc
	s_cbranch_execz .LBB869_725
; %bb.720:
	s_movk_i32 s7, 0x80
	v_cmp_ne_u16_e32 vcc, s7, v2
	v_mov_b32_e32 v10, 0xffff8000
	s_and_saveexec_b64 s[8:9], vcc
	s_cbranch_execz .LBB869_724
; %bb.721:
	s_movk_i32 s7, 0x7f
	v_and_b32_e32 v16, 0x7f, v2
	v_cmp_ne_u32_e32 vcc, s7, v16
	v_mov_b32_e32 v10, 0x7f80
	s_and_saveexec_b64 s[10:11], vcc
	s_cbranch_execz .LBB869_723
; %bb.722:
	v_and_b32_e32 v10, 7, v2
	v_ffbh_u32_e32 v18, v10
	v_min_u32_e32 v20, 32, v18
	v_subrev_u32_e32 v18, 28, v20
	v_lshlrev_b64 v[18:19], v18, v[2:3]
	v_lshrrev_b32_e32 v17, 3, v16
	v_sub_u32_e32 v2, 29, v20
	v_and_b32_e32 v18, 7, v18
	v_cmp_gt_u32_e32 vcc, 8, v16
	v_cndmask_b32_e32 v2, v17, v2, vcc
	v_cndmask_b32_e32 v10, v10, v18, vcc
	v_lshlrev_b32_e32 v16, 16, v3
	v_bfrev_b32_e32 v17, 60
	v_lshlrev_b32_e32 v10, 20, v10
	v_and_b32_e32 v16, 0x80000000, v16
	v_lshl_add_u32 v2, v2, 23, v17
	v_or3_b32 v2, v16, v2, v10
	v_lshrrev_b32_e32 v10, 16, v2
.LBB869_723:
	s_or_b64 exec, exec, s[10:11]
.LBB869_724:
	s_or_b64 exec, exec, s[8:9]
.LBB869_725:
	s_or_b64 exec, exec, s[2:3]
	s_movk_i32 s2, 0xff
	v_and_b32_sdwa v18, v3, s2 dst_sel:DWORD dst_unused:UNUSED_PAD src0_sel:WORD_1 src1_sel:DWORD
	v_lshrrev_b32_e32 v2, 16, v3
	v_cmp_ne_u16_e32 vcc, 0, v18
	v_mov_b32_e32 v16, 0
	v_mov_b32_e32 v17, 0
	s_and_saveexec_b64 s[2:3], vcc
	s_cbranch_execz .LBB869_731
; %bb.726:
	s_movk_i32 s7, 0x80
	v_cmp_ne_u16_e32 vcc, s7, v18
	v_mov_b32_e32 v17, 0xffff8000
	s_and_saveexec_b64 s[8:9], vcc
	s_cbranch_execz .LBB869_730
; %bb.727:
	v_bfe_u32 v18, v3, 16, 7
	s_movk_i32 s7, 0x7f
	v_cmp_ne_u32_e32 vcc, s7, v18
	v_mov_b32_e32 v17, 0x7f80
	s_and_saveexec_b64 s[10:11], vcc
	s_cbranch_execz .LBB869_729
; %bb.728:
	v_and_b32_e32 v17, 7, v2
	v_ffbh_u32_e32 v20, v17
	v_min_u32_e32 v23, 32, v20
	v_subrev_u32_e32 v20, 28, v23
	v_lshlrev_b64 v[20:21], v20, v[2:3]
	v_lshrrev_b32_e32 v19, 3, v18
	v_sub_u32_e32 v2, 29, v23
	v_and_b32_e32 v20, 7, v20
	v_cmp_gt_u32_e32 vcc, 8, v18
	v_mov_b32_e32 v18, 24
	v_cndmask_b32_e32 v2, v19, v2, vcc
	v_cndmask_b32_e32 v17, v17, v20, vcc
	v_lshlrev_b32_sdwa v18, v18, v3 dst_sel:DWORD dst_unused:UNUSED_PAD src0_sel:DWORD src1_sel:WORD_1
	v_bfrev_b32_e32 v19, 60
	v_lshlrev_b32_e32 v17, 20, v17
	v_and_b32_e32 v18, 0x80000000, v18
	v_lshl_add_u32 v2, v2, 23, v19
	v_or3_b32 v2, v18, v2, v17
	v_lshrrev_b32_e32 v17, 16, v2
.LBB869_729:
	s_or_b64 exec, exec, s[10:11]
.LBB869_730:
	s_or_b64 exec, exec, s[8:9]
.LBB869_731:
	s_or_b64 exec, exec, s[2:3]
	s_mov_b32 s2, 0xffffff
	v_cmp_lt_u32_e32 vcc, s2, v3
	s_and_saveexec_b64 s[2:3], vcc
	s_cbranch_execz .LBB869_737
; %bb.732:
	v_lshrrev_b32_e32 v2, 24, v3
	s_movk_i32 s7, 0x80
	v_cmp_ne_u32_e32 vcc, s7, v2
	v_mov_b32_e32 v16, 0xffff8000
	s_and_saveexec_b64 s[8:9], vcc
	s_cbranch_execz .LBB869_736
; %bb.733:
	v_bfe_u32 v3, v3, 24, 7
	s_movk_i32 s7, 0x7f
	v_cmp_ne_u32_e32 vcc, s7, v3
	v_mov_b32_e32 v16, 0x7f80
	s_and_saveexec_b64 s[10:11], vcc
	s_cbranch_execz .LBB869_735
; %bb.734:
	v_and_b32_e32 v16, 7, v2
	v_ffbh_u32_e32 v18, v16
	v_min_u32_e32 v21, 32, v18
	v_subrev_u32_e32 v18, 28, v21
	v_lshlrev_b64 v[18:19], v18, v[2:3]
	v_lshrrev_b32_e32 v20, 3, v3
	v_sub_u32_e32 v19, 29, v21
	v_and_b32_e32 v18, 7, v18
	v_cmp_gt_u32_e32 vcc, 8, v3
	v_cndmask_b32_e32 v3, v20, v19, vcc
	v_cndmask_b32_e32 v16, v16, v18, vcc
	v_lshlrev_b32_e32 v2, 24, v2
	v_bfrev_b32_e32 v18, 60
	v_lshlrev_b32_e32 v16, 20, v16
	v_and_b32_e32 v2, 0x80000000, v2
	v_lshl_add_u32 v3, v3, 23, v18
	v_or3_b32 v2, v2, v3, v16
	v_lshrrev_b32_e32 v16, 16, v2
.LBB869_735:
	s_or_b64 exec, exec, s[10:11]
.LBB869_736:
	s_or_b64 exec, exec, s[8:9]
.LBB869_737:
	s_or_b64 exec, exec, s[2:3]
	s_mov_b32 s2, 0x5040100
	v_perm_b32 v3, v13, v14, s2
	v_perm_b32 v2, v11, v12, s2
	ds_read_b128 v[18:21], v22 offset:6144
	v_perm_b32 v13, v16, v17, s2
	v_perm_b32 v12, v10, v15, s2
	s_waitcnt lgkmcnt(0)
	v_mfma_f32_16x16x16bf16_1k v[6:9], v[2:3], v[18:19], v[6:9]
	v_mov_b32_e32 v3, 0
	v_cmp_ne_u16_sdwa s[8:9], v4, v3 src0_sel:BYTE_0 src1_sel:DWORD
	v_mov_b32_e32 v10, 0
	v_mfma_f32_16x16x16bf16_1k v[6:9], v[12:13], v[20:21], v[6:9]
	s_and_saveexec_b64 s[2:3], s[8:9]
	s_cbranch_execz .LBB869_743
; %bb.738:
	s_movk_i32 s7, 0x80
	v_cmp_ne_u16_sdwa s[10:11], v4, s7 src0_sel:BYTE_0 src1_sel:DWORD
	v_mov_b32_e32 v10, 0xffff8000
	s_and_saveexec_b64 s[8:9], s[10:11]
	s_cbranch_execz .LBB869_742
; %bb.739:
	s_movk_i32 s7, 0x7f
	v_and_b32_e32 v2, 0x7f, v4
	v_cmp_ne_u32_e32 vcc, s7, v2
	v_mov_b32_e32 v10, 0x7f80
	s_and_saveexec_b64 s[10:11], vcc
	s_cbranch_execz .LBB869_741
; %bb.740:
	v_and_b32_e32 v12, 7, v4
	v_ffbh_u32_e32 v10, v12
	v_min_u32_e32 v14, 32, v10
	v_subrev_u32_e32 v10, 28, v14
	v_lshlrev_b64 v[10:11], v10, v[4:5]
	v_lshrrev_b32_e32 v13, 3, v2
	v_sub_u32_e32 v11, 29, v14
	v_and_b32_e32 v10, 7, v10
	v_cmp_gt_u32_e32 vcc, 8, v2
	v_cndmask_b32_e32 v2, v13, v11, vcc
	v_cndmask_b32_e32 v10, v12, v10, vcc
	v_lshlrev_b32_e32 v11, 24, v4
	v_bfrev_b32_e32 v12, 60
	v_lshlrev_b32_e32 v10, 20, v10
	v_and_b32_e32 v11, 0x80000000, v11
	v_lshl_add_u32 v2, v2, 23, v12
	v_or3_b32 v2, v11, v2, v10
	v_lshrrev_b32_e32 v10, 16, v2
.LBB869_741:
	s_or_b64 exec, exec, s[10:11]
.LBB869_742:
	s_or_b64 exec, exec, s[8:9]
.LBB869_743:
	s_or_b64 exec, exec, s[2:3]
	v_lshrrev_b16_e32 v2, 8, v4
	v_cmp_ne_u16_e32 vcc, 0, v2
	s_and_saveexec_b64 s[2:3], vcc
	s_cbranch_execz .LBB869_749
; %bb.744:
	s_movk_i32 s7, 0x80
	v_cmp_ne_u16_e32 vcc, s7, v2
	v_mov_b32_e32 v3, 0xffff8000
	s_and_saveexec_b64 s[8:9], vcc
	s_cbranch_execz .LBB869_748
; %bb.745:
	s_movk_i32 s7, 0x7f
	v_and_b32_e32 v11, 0x7f, v2
	v_cmp_ne_u32_e32 vcc, s7, v11
	v_mov_b32_e32 v3, 0x7f80
	s_and_saveexec_b64 s[10:11], vcc
	s_cbranch_execz .LBB869_747
; %bb.746:
	v_and_b32_e32 v12, 7, v2
	v_ffbh_u32_e32 v3, v12
	v_min_u32_e32 v14, 32, v3
	v_subrev_u32_e32 v3, 28, v14
	v_lshlrev_b64 v[2:3], v3, v[2:3]
	v_lshrrev_b32_e32 v13, 3, v11
	v_sub_u32_e32 v3, 29, v14
	v_and_b32_e32 v2, 7, v2
	v_cmp_gt_u32_e32 vcc, 8, v11
	v_cndmask_b32_e32 v3, v13, v3, vcc
	v_cndmask_b32_e32 v2, v12, v2, vcc
	v_lshlrev_b32_e32 v11, 16, v4
	v_bfrev_b32_e32 v12, 60
	v_lshlrev_b32_e32 v2, 20, v2
	v_and_b32_e32 v11, 0x80000000, v11
	v_lshl_add_u32 v3, v3, 23, v12
	v_or3_b32 v2, v11, v3, v2
	v_lshrrev_b32_e32 v3, 16, v2
.LBB869_747:
	s_or_b64 exec, exec, s[10:11]
.LBB869_748:
	s_or_b64 exec, exec, s[8:9]
.LBB869_749:
	s_or_b64 exec, exec, s[2:3]
	s_movk_i32 s2, 0xff
	v_and_b32_sdwa v13, v4, s2 dst_sel:DWORD dst_unused:UNUSED_PAD src0_sel:WORD_1 src1_sel:DWORD
	v_lshrrev_b32_e32 v2, 16, v4
	v_cmp_ne_u16_e32 vcc, 0, v13
	v_mov_b32_e32 v11, 0
	v_mov_b32_e32 v12, 0
	s_and_saveexec_b64 s[2:3], vcc
	s_cbranch_execz .LBB869_755
; %bb.750:
	s_movk_i32 s7, 0x80
	v_cmp_ne_u16_e32 vcc, s7, v13
	v_mov_b32_e32 v12, 0xffff8000
	s_and_saveexec_b64 s[8:9], vcc
	s_cbranch_execz .LBB869_754
; %bb.751:
	v_bfe_u32 v13, v4, 16, 7
	s_movk_i32 s7, 0x7f
	v_cmp_ne_u32_e32 vcc, s7, v13
	v_mov_b32_e32 v12, 0x7f80
	s_and_saveexec_b64 s[10:11], vcc
	s_cbranch_execz .LBB869_753
; %bb.752:
	v_and_b32_e32 v12, 7, v2
	v_ffbh_u32_e32 v14, v12
	v_min_u32_e32 v17, 32, v14
	v_subrev_u32_e32 v14, 28, v17
	v_lshlrev_b64 v[14:15], v14, v[2:3]
	v_lshrrev_b32_e32 v16, 3, v13
	v_sub_u32_e32 v2, 29, v17
	v_and_b32_e32 v14, 7, v14
	v_cmp_gt_u32_e32 vcc, 8, v13
	v_mov_b32_e32 v13, 24
	v_cndmask_b32_e32 v2, v16, v2, vcc
	v_cndmask_b32_e32 v12, v12, v14, vcc
	v_lshlrev_b32_sdwa v13, v13, v4 dst_sel:DWORD dst_unused:UNUSED_PAD src0_sel:DWORD src1_sel:WORD_1
	v_bfrev_b32_e32 v14, 60
	v_lshlrev_b32_e32 v12, 20, v12
	v_and_b32_e32 v13, 0x80000000, v13
	v_lshl_add_u32 v2, v2, 23, v14
	v_or3_b32 v2, v13, v2, v12
	v_lshrrev_b32_e32 v12, 16, v2
.LBB869_753:
	s_or_b64 exec, exec, s[10:11]
.LBB869_754:
	s_or_b64 exec, exec, s[8:9]
.LBB869_755:
	s_or_b64 exec, exec, s[2:3]
	s_mov_b32 s2, 0xffffff
	v_cmp_lt_u32_e32 vcc, s2, v4
	s_and_saveexec_b64 s[2:3], vcc
	s_cbranch_execz .LBB869_761
; %bb.756:
	v_lshrrev_b32_e32 v2, 24, v4
	s_movk_i32 s7, 0x80
	v_cmp_ne_u32_e32 vcc, s7, v2
	v_mov_b32_e32 v11, 0xffff8000
	s_and_saveexec_b64 s[8:9], vcc
	s_cbranch_execz .LBB869_760
; %bb.757:
	v_bfe_u32 v4, v4, 24, 7
	s_movk_i32 s7, 0x7f
	v_cmp_ne_u32_e32 vcc, s7, v4
	v_mov_b32_e32 v11, 0x7f80
	s_and_saveexec_b64 s[10:11], vcc
	s_cbranch_execz .LBB869_759
; %bb.758:
	v_and_b32_e32 v11, 7, v2
	v_ffbh_u32_e32 v14, v11
	v_min_u32_e32 v16, 32, v14
	v_subrev_u32_e32 v14, 28, v16
	v_lshlrev_b64 v[14:15], v14, v[2:3]
	v_lshrrev_b32_e32 v13, 3, v4
	v_sub_u32_e32 v15, 29, v16
	v_and_b32_e32 v14, 7, v14
	v_cmp_gt_u32_e32 vcc, 8, v4
	v_cndmask_b32_e32 v4, v13, v15, vcc
	v_cndmask_b32_e32 v11, v11, v14, vcc
	v_lshlrev_b32_e32 v2, 24, v2
	v_bfrev_b32_e32 v13, 60
	v_lshlrev_b32_e32 v11, 20, v11
	v_and_b32_e32 v2, 0x80000000, v2
	v_lshl_add_u32 v4, v4, 23, v13
	v_or3_b32 v2, v2, v4, v11
	v_lshrrev_b32_e32 v11, 16, v2
.LBB869_759:
	s_or_b64 exec, exec, s[10:11]
.LBB869_760:
	s_or_b64 exec, exec, s[8:9]
.LBB869_761:
	s_or_b64 exec, exec, s[2:3]
	v_mov_b32_e32 v4, 0
	v_cmp_ne_u16_sdwa s[8:9], v5, v4 src0_sel:BYTE_0 src1_sel:DWORD
	v_mov_b32_e32 v13, 0
	s_and_saveexec_b64 s[2:3], s[8:9]
	s_cbranch_execz .LBB869_767
; %bb.762:
	s_movk_i32 s7, 0x80
	v_cmp_ne_u16_sdwa s[10:11], v5, s7 src0_sel:BYTE_0 src1_sel:DWORD
	v_mov_b32_e32 v13, 0xffff8000
	s_and_saveexec_b64 s[8:9], s[10:11]
	s_cbranch_execz .LBB869_766
; %bb.763:
	s_movk_i32 s7, 0x7f
	v_and_b32_e32 v2, 0x7f, v5
	v_cmp_ne_u32_e32 vcc, s7, v2
	v_mov_b32_e32 v13, 0x7f80
	s_and_saveexec_b64 s[10:11], vcc
	s_cbranch_execz .LBB869_765
; %bb.764:
	v_and_b32_e32 v13, 7, v5
	v_ffbh_u32_e32 v15, v13
	v_min_u32_e32 v17, 32, v15
	v_mov_b32_e32 v14, v5
	v_subrev_u32_e32 v15, 28, v17
	v_lshlrev_b64 v[14:15], v15, v[14:15]
	v_lshrrev_b32_e32 v16, 3, v2
	v_sub_u32_e32 v15, 29, v17
	v_and_b32_e32 v14, 7, v14
	v_cmp_gt_u32_e32 vcc, 8, v2
	v_cndmask_b32_e32 v2, v16, v15, vcc
	v_cndmask_b32_e32 v13, v13, v14, vcc
	v_lshlrev_b32_e32 v14, 24, v5
	v_bfrev_b32_e32 v15, 60
	v_lshlrev_b32_e32 v13, 20, v13
	v_and_b32_e32 v14, 0x80000000, v14
	v_lshl_add_u32 v2, v2, 23, v15
	v_or3_b32 v2, v14, v2, v13
	v_lshrrev_b32_e32 v13, 16, v2
.LBB869_765:
	s_or_b64 exec, exec, s[10:11]
.LBB869_766:
	s_or_b64 exec, exec, s[8:9]
.LBB869_767:
	s_or_b64 exec, exec, s[2:3]
	v_lshrrev_b16_e32 v2, 8, v5
	v_cmp_ne_u16_e32 vcc, 0, v2
	s_and_saveexec_b64 s[2:3], vcc
	s_cbranch_execz .LBB869_773
; %bb.768:
	s_movk_i32 s7, 0x80
	v_cmp_ne_u16_e32 vcc, s7, v2
	v_mov_b32_e32 v4, 0xffff8000
	s_and_saveexec_b64 s[8:9], vcc
	s_cbranch_execz .LBB869_772
; %bb.769:
	s_movk_i32 s7, 0x7f
	v_and_b32_e32 v14, 0x7f, v2
	v_cmp_ne_u32_e32 vcc, s7, v14
	v_mov_b32_e32 v4, 0x7f80
	s_and_saveexec_b64 s[10:11], vcc
	s_cbranch_execz .LBB869_771
; %bb.770:
	v_and_b32_e32 v4, 7, v2
	v_ffbh_u32_e32 v16, v4
	v_min_u32_e32 v18, 32, v16
	v_subrev_u32_e32 v16, 28, v18
	v_lshlrev_b64 v[16:17], v16, v[2:3]
	v_lshrrev_b32_e32 v15, 3, v14
	v_sub_u32_e32 v2, 29, v18
	v_and_b32_e32 v16, 7, v16
	v_cmp_gt_u32_e32 vcc, 8, v14
	v_cndmask_b32_e32 v2, v15, v2, vcc
	v_cndmask_b32_e32 v4, v4, v16, vcc
	v_lshlrev_b32_e32 v14, 16, v5
	v_bfrev_b32_e32 v15, 60
	v_lshlrev_b32_e32 v4, 20, v4
	v_and_b32_e32 v14, 0x80000000, v14
	v_lshl_add_u32 v2, v2, 23, v15
	v_or3_b32 v2, v14, v2, v4
	v_lshrrev_b32_e32 v4, 16, v2
.LBB869_771:
	s_or_b64 exec, exec, s[10:11]
.LBB869_772:
	s_or_b64 exec, exec, s[8:9]
.LBB869_773:
	s_or_b64 exec, exec, s[2:3]
	s_movk_i32 s2, 0xff
	v_and_b32_sdwa v16, v5, s2 dst_sel:DWORD dst_unused:UNUSED_PAD src0_sel:WORD_1 src1_sel:DWORD
	v_lshrrev_b32_e32 v2, 16, v5
	v_cmp_ne_u16_e32 vcc, 0, v16
	v_mov_b32_e32 v14, 0
	v_mov_b32_e32 v15, 0
	s_and_saveexec_b64 s[2:3], vcc
	s_cbranch_execz .LBB869_779
; %bb.774:
	s_movk_i32 s7, 0x80
	v_cmp_ne_u16_e32 vcc, s7, v16
	v_mov_b32_e32 v15, 0xffff8000
	s_and_saveexec_b64 s[8:9], vcc
	s_cbranch_execz .LBB869_778
; %bb.775:
	v_bfe_u32 v16, v5, 16, 7
	s_movk_i32 s7, 0x7f
	v_cmp_ne_u32_e32 vcc, s7, v16
	v_mov_b32_e32 v15, 0x7f80
	s_and_saveexec_b64 s[10:11], vcc
	s_cbranch_execz .LBB869_777
; %bb.776:
	v_and_b32_e32 v15, 7, v2
	v_ffbh_u32_e32 v18, v15
	v_min_u32_e32 v20, 32, v18
	v_subrev_u32_e32 v18, 28, v20
	v_lshlrev_b64 v[18:19], v18, v[2:3]
	v_lshrrev_b32_e32 v17, 3, v16
	v_sub_u32_e32 v2, 29, v20
	v_and_b32_e32 v18, 7, v18
	v_cmp_gt_u32_e32 vcc, 8, v16
	v_mov_b32_e32 v16, 24
	v_cndmask_b32_e32 v2, v17, v2, vcc
	v_cndmask_b32_e32 v15, v15, v18, vcc
	v_lshlrev_b32_sdwa v16, v16, v5 dst_sel:DWORD dst_unused:UNUSED_PAD src0_sel:DWORD src1_sel:WORD_1
	v_bfrev_b32_e32 v17, 60
	v_lshlrev_b32_e32 v15, 20, v15
	v_and_b32_e32 v16, 0x80000000, v16
	v_lshl_add_u32 v2, v2, 23, v17
	v_or3_b32 v2, v16, v2, v15
	v_lshrrev_b32_e32 v15, 16, v2
.LBB869_777:
	s_or_b64 exec, exec, s[10:11]
.LBB869_778:
	s_or_b64 exec, exec, s[8:9]
.LBB869_779:
	s_or_b64 exec, exec, s[2:3]
	s_mov_b32 s2, 0xffffff
	v_cmp_lt_u32_e32 vcc, s2, v5
	s_and_saveexec_b64 s[2:3], vcc
	s_cbranch_execz .LBB869_785
; %bb.780:
	v_lshrrev_b32_e32 v2, 24, v5
	s_movk_i32 s7, 0x80
	v_cmp_ne_u32_e32 vcc, s7, v2
	v_mov_b32_e32 v14, 0xffff8000
	s_and_saveexec_b64 s[8:9], vcc
	s_cbranch_execz .LBB869_784
; %bb.781:
	v_bfe_u32 v5, v5, 24, 7
	s_movk_i32 s7, 0x7f
	v_cmp_ne_u32_e32 vcc, s7, v5
	v_mov_b32_e32 v14, 0x7f80
	s_and_saveexec_b64 s[10:11], vcc
	s_cbranch_execz .LBB869_783
; %bb.782:
	v_and_b32_e32 v14, 7, v2
	v_ffbh_u32_e32 v16, v14
	v_min_u32_e32 v19, 32, v16
	v_subrev_u32_e32 v16, 28, v19
	v_lshlrev_b64 v[16:17], v16, v[2:3]
	v_lshrrev_b32_e32 v18, 3, v5
	v_sub_u32_e32 v17, 29, v19
	v_and_b32_e32 v16, 7, v16
	v_cmp_gt_u32_e32 vcc, 8, v5
	v_cndmask_b32_e32 v5, v18, v17, vcc
	v_cndmask_b32_e32 v14, v14, v16, vcc
	v_lshlrev_b32_e32 v2, 24, v2
	v_bfrev_b32_e32 v16, 60
	v_lshlrev_b32_e32 v14, 20, v14
	v_and_b32_e32 v2, 0x80000000, v2
	v_lshl_add_u32 v5, v5, 23, v16
	v_or3_b32 v2, v2, v5, v14
	v_lshrrev_b32_e32 v14, 16, v2
.LBB869_783:
	s_or_b64 exec, exec, s[10:11]
.LBB869_784:
	s_or_b64 exec, exec, s[8:9]
.LBB869_785:
	s_or_b64 exec, exec, s[2:3]
	s_mov_b32 s3, 0x5040100
	v_perm_b32 v11, v11, v12, s3
	ds_read_b128 v[16:19], v22 offset:6160
	v_perm_b32 v10, v3, v10, s3
	v_perm_b32 v3, v14, v15, s3
	;; [unrolled: 1-line block ×3, first 2 shown]
	s_waitcnt lgkmcnt(0)
	v_mfma_f32_16x16x16bf16_1k v[6:9], v[10:11], v[16:17], v[6:9]
	s_load_dword s2, s[42:43], 0x0
	s_mov_b32 s3, 0x7060302
	s_movk_i32 s7, 0x7fff
	v_cmp_gt_u32_e32 vcc, 64, v0
	s_and_b64 s[0:1], vcc, s[0:1]
	s_waitcnt lgkmcnt(0)
	s_barrier
	v_mfma_f32_16x16x16bf16_1k v[2:5], v[2:3], v[18:19], v[6:9]
	s_nop 7
	s_nop 2
	v_pk_mul_f32 v[4:5], v[4:5], s[2:3] op_sel_hi:[1,0]
	v_pk_mul_f32 v[2:3], v[2:3], s[2:3] op_sel_hi:[1,0]
	v_bfe_u32 v6, v3, 16, 1
	v_bfe_u32 v7, v2, 16, 1
	;; [unrolled: 1-line block ×4, first 2 shown]
	v_add3_u32 v2, v2, v7, s7
	v_add3_u32 v3, v3, v6, s7
	;; [unrolled: 1-line block ×4, first 2 shown]
	v_perm_b32 v2, v3, v2, s3
	v_perm_b32 v3, v5, v4, s3
	ds_write_b64 v26, v[2:3]
	s_waitcnt lgkmcnt(0)
	s_barrier
	s_and_saveexec_b64 s[2:3], s[0:1]
	s_cbranch_execz .LBB869_787
; %bb.786:
	s_load_dwordx2 s[0:1], s[4:5], 0x68
	s_lshl_b32 s4, s44, 6
	s_mul_i32 s2, s12, s6
	s_mul_hi_u32 s3, s2, s4
	s_mul_i32 s2, s2, s4
	s_lshl_b64 s[2:3], s[2:3], 1
	s_waitcnt lgkmcnt(0)
	s_add_u32 s2, s0, s2
	s_addc_u32 s3, s1, s3
	s_lshl_b32 s0, s24, 6
	s_mov_b32 s1, 0
	v_lshlrev_b32_e32 v0, 10, v0
	s_lshl_b64 s[0:1], s[0:1], 1
	v_and_b32_e32 v0, 0x1800, v0
	v_lshlrev_b32_e32 v2, 5, v1
	v_and_b32_e32 v3, 16, v47
	s_add_u32 s0, s2, s0
	v_or3_b32 v0, v0, v2, v3
	s_addc_u32 s1, s3, s1
	ds_read_b128 v[2:5], v0
	ds_read_b128 v[6:9], v0 offset:128
	v_mov_b32_e32 v0, s1
	v_add_co_u32_e32 v10, vcc, s0, v46
	v_or_b32_e32 v12, s25, v1
	v_addc_co_u32_e32 v11, vcc, 0, v0, vcc
	v_mad_u64_u32 v[0:1], s[0:1], v12, s4, 0
	v_lshlrev_b64 v[0:1], 1, v[0:1]
	v_add_co_u32_e32 v0, vcc, v10, v0
	v_addc_co_u32_e32 v1, vcc, v11, v1, vcc
	s_waitcnt lgkmcnt(1)
	global_store_dwordx4 v[0:1], v[2:5], off
	v_or_b32_e32 v0, 4, v12
	v_mad_u64_u32 v[0:1], s[0:1], v0, s4, 0
	v_lshlrev_b64 v[0:1], 1, v[0:1]
	v_add_co_u32_e32 v0, vcc, v10, v0
	v_addc_co_u32_e32 v1, vcc, v11, v1, vcc
	s_waitcnt lgkmcnt(0)
	global_store_dwordx4 v[0:1], v[6:9], off
.LBB869_787:
	s_endpgm
	.section	.rodata,"a",@progbits
	.p2align	6, 0x0
	.amdhsa_kernel _Z39paged_attention_ll4mi_QKV_mfma16_kernelI14__hip_bfloat16hLN4vllm18Fp8KVCacheDataTypeE1ES0_Li32ELi64ELi256ELb1ELi8EL8MFMAType0EEvPKT_PKT0_S9_ifPKiSB_SB_iPKfiiiPfSE_PS4_PT2_iSD_SD_
		.amdhsa_group_segment_fixed_size 8192
		.amdhsa_private_segment_fixed_size 0
		.amdhsa_kernarg_size 400
		.amdhsa_user_sgpr_count 6
		.amdhsa_user_sgpr_private_segment_buffer 1
		.amdhsa_user_sgpr_dispatch_ptr 0
		.amdhsa_user_sgpr_queue_ptr 0
		.amdhsa_user_sgpr_kernarg_segment_ptr 1
		.amdhsa_user_sgpr_dispatch_id 0
		.amdhsa_user_sgpr_flat_scratch_init 0
		.amdhsa_user_sgpr_kernarg_preload_length 0
		.amdhsa_user_sgpr_kernarg_preload_offset 0
		.amdhsa_user_sgpr_private_segment_size 0
		.amdhsa_uses_dynamic_stack 0
		.amdhsa_system_sgpr_private_segment_wavefront_offset 0
		.amdhsa_system_sgpr_workgroup_id_x 1
		.amdhsa_system_sgpr_workgroup_id_y 1
		.amdhsa_system_sgpr_workgroup_id_z 1
		.amdhsa_system_sgpr_workgroup_info 0
		.amdhsa_system_vgpr_workitem_id 0
		.amdhsa_next_free_vgpr 63
		.amdhsa_next_free_sgpr 47
		.amdhsa_accum_offset 64
		.amdhsa_reserve_vcc 1
		.amdhsa_reserve_flat_scratch 0
		.amdhsa_float_round_mode_32 0
		.amdhsa_float_round_mode_16_64 0
		.amdhsa_float_denorm_mode_32 3
		.amdhsa_float_denorm_mode_16_64 3
		.amdhsa_dx10_clamp 1
		.amdhsa_ieee_mode 1
		.amdhsa_fp16_overflow 0
		.amdhsa_tg_split 0
		.amdhsa_exception_fp_ieee_invalid_op 0
		.amdhsa_exception_fp_denorm_src 0
		.amdhsa_exception_fp_ieee_div_zero 0
		.amdhsa_exception_fp_ieee_overflow 0
		.amdhsa_exception_fp_ieee_underflow 0
		.amdhsa_exception_fp_ieee_inexact 0
		.amdhsa_exception_int_div_zero 0
	.end_amdhsa_kernel
	.section	.text._Z39paged_attention_ll4mi_QKV_mfma16_kernelI14__hip_bfloat16hLN4vllm18Fp8KVCacheDataTypeE1ES0_Li32ELi64ELi256ELb1ELi8EL8MFMAType0EEvPKT_PKT0_S9_ifPKiSB_SB_iPKfiiiPfSE_PS4_PT2_iSD_SD_,"axG",@progbits,_Z39paged_attention_ll4mi_QKV_mfma16_kernelI14__hip_bfloat16hLN4vllm18Fp8KVCacheDataTypeE1ES0_Li32ELi64ELi256ELb1ELi8EL8MFMAType0EEvPKT_PKT0_S9_ifPKiSB_SB_iPKfiiiPfSE_PS4_PT2_iSD_SD_,comdat
.Lfunc_end869:
	.size	_Z39paged_attention_ll4mi_QKV_mfma16_kernelI14__hip_bfloat16hLN4vllm18Fp8KVCacheDataTypeE1ES0_Li32ELi64ELi256ELb1ELi8EL8MFMAType0EEvPKT_PKT0_S9_ifPKiSB_SB_iPKfiiiPfSE_PS4_PT2_iSD_SD_, .Lfunc_end869-_Z39paged_attention_ll4mi_QKV_mfma16_kernelI14__hip_bfloat16hLN4vllm18Fp8KVCacheDataTypeE1ES0_Li32ELi64ELi256ELb1ELi8EL8MFMAType0EEvPKT_PKT0_S9_ifPKiSB_SB_iPKfiiiPfSE_PS4_PT2_iSD_SD_
                                        ; -- End function
	.section	.AMDGPU.csdata,"",@progbits
; Kernel info:
; codeLenInByte = 28672
; NumSgprs: 51
; NumVgprs: 63
; NumAgprs: 0
; TotalNumVgprs: 63
; ScratchSize: 0
; MemoryBound: 0
; FloatMode: 240
; IeeeMode: 1
; LDSByteSize: 8192 bytes/workgroup (compile time only)
; SGPRBlocks: 6
; VGPRBlocks: 7
; NumSGPRsForWavesPerEU: 51
; NumVGPRsForWavesPerEU: 63
; AccumOffset: 64
; Occupancy: 8
; WaveLimiterHint : 1
; COMPUTE_PGM_RSRC2:SCRATCH_EN: 0
; COMPUTE_PGM_RSRC2:USER_SGPR: 6
; COMPUTE_PGM_RSRC2:TRAP_HANDLER: 0
; COMPUTE_PGM_RSRC2:TGID_X_EN: 1
; COMPUTE_PGM_RSRC2:TGID_Y_EN: 1
; COMPUTE_PGM_RSRC2:TGID_Z_EN: 1
; COMPUTE_PGM_RSRC2:TIDIG_COMP_CNT: 0
; COMPUTE_PGM_RSRC3_GFX90A:ACCUM_OFFSET: 15
; COMPUTE_PGM_RSRC3_GFX90A:TG_SPLIT: 0
	.section	.text._Z39paged_attention_ll4mi_QKV_mfma16_kernelI14__hip_bfloat16hLN4vllm18Fp8KVCacheDataTypeE1ES0_Li32ELi64ELi256ELb1ELi9EL8MFMAType0EEvPKT_PKT0_S9_ifPKiSB_SB_iPKfiiiPfSE_PS4_PT2_iSD_SD_,"axG",@progbits,_Z39paged_attention_ll4mi_QKV_mfma16_kernelI14__hip_bfloat16hLN4vllm18Fp8KVCacheDataTypeE1ES0_Li32ELi64ELi256ELb1ELi9EL8MFMAType0EEvPKT_PKT0_S9_ifPKiSB_SB_iPKfiiiPfSE_PS4_PT2_iSD_SD_,comdat
	.protected	_Z39paged_attention_ll4mi_QKV_mfma16_kernelI14__hip_bfloat16hLN4vllm18Fp8KVCacheDataTypeE1ES0_Li32ELi64ELi256ELb1ELi9EL8MFMAType0EEvPKT_PKT0_S9_ifPKiSB_SB_iPKfiiiPfSE_PS4_PT2_iSD_SD_ ; -- Begin function _Z39paged_attention_ll4mi_QKV_mfma16_kernelI14__hip_bfloat16hLN4vllm18Fp8KVCacheDataTypeE1ES0_Li32ELi64ELi256ELb1ELi9EL8MFMAType0EEvPKT_PKT0_S9_ifPKiSB_SB_iPKfiiiPfSE_PS4_PT2_iSD_SD_
	.globl	_Z39paged_attention_ll4mi_QKV_mfma16_kernelI14__hip_bfloat16hLN4vllm18Fp8KVCacheDataTypeE1ES0_Li32ELi64ELi256ELb1ELi9EL8MFMAType0EEvPKT_PKT0_S9_ifPKiSB_SB_iPKfiiiPfSE_PS4_PT2_iSD_SD_
	.p2align	8
	.type	_Z39paged_attention_ll4mi_QKV_mfma16_kernelI14__hip_bfloat16hLN4vllm18Fp8KVCacheDataTypeE1ES0_Li32ELi64ELi256ELb1ELi9EL8MFMAType0EEvPKT_PKT0_S9_ifPKiSB_SB_iPKfiiiPfSE_PS4_PT2_iSD_SD_,@function
_Z39paged_attention_ll4mi_QKV_mfma16_kernelI14__hip_bfloat16hLN4vllm18Fp8KVCacheDataTypeE1ES0_Li32ELi64ELi256ELb1ELi9EL8MFMAType0EEvPKT_PKT0_S9_ifPKiSB_SB_iPKfiiiPfSE_PS4_PT2_iSD_SD_: ; @_Z39paged_attention_ll4mi_QKV_mfma16_kernelI14__hip_bfloat16hLN4vllm18Fp8KVCacheDataTypeE1ES0_Li32ELi64ELi256ELb1ELi9EL8MFMAType0EEvPKT_PKT0_S9_ifPKiSB_SB_iPKfiiiPfSE_PS4_PT2_iSD_SD_
; %bb.0:
	s_load_dwordx2 s[0:1], s[4:5], 0x30
	s_mov_b32 s24, s7
	s_mov_b64 s[10:11], 0
	s_waitcnt lgkmcnt(0)
	s_cmp_lg_u64 s[0:1], 0
	s_cselect_b64 s[2:3], -1, 0
	s_and_b64 vcc, exec, s[2:3]
	s_cbranch_vccz .LBB870_7
; %bb.1:
	s_add_i32 s12, s6, 1
	s_mov_b32 s13, 0
	s_lshl_b64 s[14:15], s[12:13], 2
	s_add_u32 s14, s0, s14
	s_mov_b32 s7, s13
	s_addc_u32 s15, s1, s15
	s_lshl_b64 s[12:13], s[6:7], 2
	s_add_u32 s12, s0, s12
	s_addc_u32 s13, s1, s13
	s_load_dword s9, s[14:15], 0x0
	s_load_dword s16, s[12:13], 0x0
	s_waitcnt lgkmcnt(0)
	s_sub_i32 s9, s9, s16
	s_cmp_eq_u32 s9, 1
	s_cselect_b64 s[12:13], -1, 0
	s_andn2_b64 vcc, exec, s[10:11]
	s_cbranch_vccnz .LBB870_3
.LBB870_2:
	s_mov_b32 s7, 0
	s_mov_b64 s[12:13], -1
.LBB870_3:
	s_andn2_b64 vcc, exec, s[12:13]
	s_cbranch_vccnz .LBB870_788
; %bb.4:
	s_load_dwordx2 s[12:13], s[4:5], 0x28
	s_lshl_b64 s[10:11], s[6:7], 2
	s_waitcnt lgkmcnt(0)
	s_add_u32 s12, s12, s10
	s_addc_u32 s13, s13, s11
	s_load_dword s33, s[12:13], 0x0
	s_lshl_b32 s18, s24, 8
	s_waitcnt lgkmcnt(0)
	s_cmp_ge_i32 s18, s33
	s_cbranch_scc1 .LBB870_788
; %bb.5:
	s_add_i32 s14, s33, 31
	s_load_dwordx2 s[12:13], s[4:5], 0x20
	s_load_dword s9, s[4:5], 0x38
	s_ashr_i32 s15, s14, 31
	v_and_b32_e32 v1, 0xcf, v0
	s_lshr_b32 s15, s15, 27
	v_add_u32_e32 v1, s18, v1
	s_add_i32 s14, s14, s15
	v_ashrrev_i32_e32 v2, 31, v1
	s_ashr_i32 s21, s14, 5
	v_lshrrev_b32_e32 v4, 27, v2
	s_add_i32 s21, s21, -1
	v_add_u32_e32 v2, v1, v4
	s_waitcnt lgkmcnt(0)
	s_mul_i32 s14, s6, s9
	s_mov_b32 s15, 0
	v_ashrrev_i32_e32 v2, 5, v2
	v_mov_b32_e32 v5, s21
	v_cmp_gt_i32_e32 vcc, s33, v1
	s_lshl_b64 s[14:15], s[14:15], 2
	v_cndmask_b32_e32 v2, v5, v2, vcc
	s_add_u32 s19, s12, s14
	v_ashrrev_i32_e32 v3, 31, v2
	s_addc_u32 s20, s13, s15
	v_lshlrev_b64 v[2:3], 2, v[2:3]
	v_mov_b32_e32 v7, s20
	v_add_co_u32_e32 v6, vcc, s19, v2
	v_or_b32_e32 v2, 16, v1
	v_addc_co_u32_e32 v7, vcc, v7, v3, vcc
	v_add_u32_e32 v3, v2, v4
	v_ashrrev_i32_e32 v3, 5, v3
	v_cmp_gt_i32_e32 vcc, s33, v2
	v_cndmask_b32_e32 v2, v5, v3, vcc
	v_ashrrev_i32_e32 v3, 31, v2
	v_lshlrev_b64 v[2:3], 2, v[2:3]
	v_mov_b32_e32 v9, s20
	v_add_co_u32_e32 v8, vcc, s19, v2
	v_or_b32_e32 v2, 32, v1
	v_addc_co_u32_e32 v9, vcc, v9, v3, vcc
	v_add_u32_e32 v3, v2, v4
	v_ashrrev_i32_e32 v3, 5, v3
	v_cmp_gt_i32_e32 vcc, s33, v2
	v_cndmask_b32_e32 v2, v5, v3, vcc
	v_ashrrev_i32_e32 v3, 31, v2
	;; [unrolled: 10-line block ×3, first 2 shown]
	v_lshlrev_b64 v[2:3], 2, v[2:3]
	v_mov_b32_e32 v1, s20
	v_add_co_u32_e32 v12, vcc, s19, v2
	v_addc_co_u32_e32 v13, vcc, v1, v3, vcc
	global_load_dword v5, v[6:7], off
	global_load_dword v4, v[8:9], off
	;; [unrolled: 1-line block ×4, first 2 shown]
	s_load_dwordx2 s[16:17], s[4:5], 0x8
	s_andn2_b64 vcc, exec, s[2:3]
	s_cbranch_vccnz .LBB870_8
; %bb.6:
	s_add_u32 s0, s0, s10
	s_addc_u32 s1, s1, s11
	s_load_dword s9, s[0:1], 0x0
	s_branch .LBB870_9
.LBB870_7:
	s_mov_b64 s[12:13], 0
	s_branch .LBB870_2
.LBB870_8:
	s_mov_b32 s9, s6
.LBB870_9:
	s_load_dwordx2 s[2:3], s[4:5], 0x10
	s_load_dwordx4 s[12:15], s[4:5], 0x48
	v_lshrrev_b32_e32 v50, 6, v0
	v_bfe_u32 v1, v0, 4, 2
	v_lshl_or_b32 v6, v50, 2, v1
	v_and_b32_e32 v49, 15, v0
	v_lshlrev_b32_e32 v7, 3, v49
	v_cmp_gt_u32_e32 vcc, 9, v6
	v_cmp_gt_u32_e64 s[0:1], 8, v49
	s_mul_i32 s25, s8, 9
	s_and_b64 s[22:23], s[0:1], vcc
	v_lshlrev_b32_e32 v46, 1, v7
	v_lshlrev_b32_e32 v47, 4, v0
	s_and_saveexec_b64 s[10:11], s[22:23]
	s_cbranch_execz .LBB870_11
; %bb.10:
	s_load_dwordx2 s[22:23], s[4:5], 0x0
	s_waitcnt lgkmcnt(0)
	s_ashr_i32 s15, s12, 31
	s_mul_hi_u32 s26, s9, s12
	s_mul_i32 s15, s9, s15
	s_add_i32 s27, s26, s15
	s_mul_i32 s26, s9, s12
	s_lshl_b64 s[26:27], s[26:27], 1
	v_add_lshl_u32 v8, v6, s25, 6
	s_add_u32 s9, s22, s26
	v_ashrrev_i32_e32 v9, 31, v8
	s_addc_u32 s12, s23, s27
	v_lshlrev_b64 v[8:9], 1, v[8:9]
	v_mov_b32_e32 v7, s12
	v_add_co_u32_e32 v8, vcc, s9, v8
	v_addc_co_u32_e32 v7, vcc, v7, v9, vcc
	v_add_co_u32_e32 v8, vcc, v8, v46
	v_addc_co_u32_e32 v9, vcc, 0, v7, vcc
	global_load_dwordx4 v[8:11], v[8:9], off
	v_lshlrev_b32_e32 v12, 8, v49
	v_lshlrev_b32_e32 v6, 5, v6
	v_and_b32_e32 v7, 16, v47
	v_and_b32_e32 v12, 0xe00, v12
	v_or3_b32 v6, v12, v6, v7
	s_waitcnt vmcnt(0)
	ds_write_b128 v6, v[8:11]
.LBB870_11:
	s_or_b64 exec, exec, s[10:11]
	s_waitcnt lgkmcnt(0)
	s_mul_i32 s10, s8, s14
	s_add_u32 s8, s16, s10
	s_addc_u32 s9, s17, 0
	v_pk_mov_b32 v[8:9], s[8:9], s[8:9] op_sel:[0,1]
	s_waitcnt vmcnt(3)
	v_mad_i64_i32 v[10:11], s[8:9], v5, s13, v[8:9]
	v_lshlrev_b32_e32 v12, 4, v49
	v_and_b32_e32 v6, 48, v0
	v_add_co_u32_e32 v5, vcc, v10, v12
	v_lshlrev_b32_e32 v7, 5, v6
	v_addc_co_u32_e32 v11, vcc, 0, v11, vcc
	v_add_co_u32_e32 v10, vcc, v5, v7
	v_addc_co_u32_e32 v11, vcc, 0, v11, vcc
	s_waitcnt vmcnt(2)
	v_mad_i64_i32 v[4:5], s[8:9], v4, s13, v[8:9]
	v_or_b32_e32 v13, 0x100, v12
	v_add_co_u32_e32 v4, vcc, v4, v13
	v_addc_co_u32_e32 v5, vcc, 0, v5, vcc
	v_add_co_u32_e32 v4, vcc, v4, v7
	v_addc_co_u32_e32 v5, vcc, 0, v5, vcc
	s_barrier
	global_load_dwordx4 v[34:37], v[10:11], off
	global_load_dwordx4 v[38:41], v[4:5], off
	s_waitcnt vmcnt(3)
	v_mad_i64_i32 v[4:5], s[8:9], v3, s13, v[8:9]
	v_add_co_u32_e32 v3, vcc, v4, v12
	v_addc_co_u32_e32 v5, vcc, 0, v5, vcc
	v_add_co_u32_e32 v4, vcc, v3, v7
	v_addc_co_u32_e32 v5, vcc, 0, v5, vcc
	s_waitcnt vmcnt(2)
	v_mad_i64_i32 v[2:3], s[8:9], v2, s13, v[8:9]
	v_add_co_u32_e32 v2, vcc, v2, v13
	v_addc_co_u32_e32 v3, vcc, 0, v3, vcc
	v_add_co_u32_e32 v2, vcc, v2, v7
	v_addc_co_u32_e32 v3, vcc, 0, v3, vcc
	global_load_dwordx4 v[30:33], v[4:5], off
	global_load_dwordx4 v[22:25], v[2:3], off
	v_add_u32_e32 v2, -9, v49
	v_cmp_gt_u32_e32 vcc, 9, v49
	v_cndmask_b32_e32 v2, v2, v49, vcc
	v_lshlrev_b32_e32 v2, 5, v2
	v_lshl_add_u32 v2, v1, 9, v2
	ds_read_b128 v[26:29], v2
	ds_read_b128 v[18:21], v2 offset:16
	v_mov_b32_e32 v43, 0
	v_mov_b32_e32 v51, 0
	s_and_saveexec_b64 s[8:9], vcc
	s_cbranch_execz .LBB870_13
; %bb.12:
	s_load_dwordx2 s[14:15], s[4:5], 0x40
	v_add_u32_e32 v2, s25, v49
	v_ashrrev_i32_e32 v3, 31, v2
	v_lshlrev_b64 v[2:3], 2, v[2:3]
	s_waitcnt lgkmcnt(0)
	v_mov_b32_e32 v4, s15
	v_add_co_u32_e32 v2, vcc, s14, v2
	v_addc_co_u32_e32 v3, vcc, v4, v3, vcc
	global_load_dword v51, v[2:3], off
.LBB870_13:
	s_or_b64 exec, exec, s[8:9]
	s_ashr_i32 s8, s18, 31
	v_or_b32_e32 v8, s18, v6
	s_lshr_b32 s8, s8, 27
	v_add_u32_e32 v2, s8, v8
	v_ashrrev_i32_e32 v2, 5, v2
	v_mov_b32_e32 v9, s21
	v_cmp_gt_i32_e32 vcc, s33, v8
	v_cndmask_b32_e32 v2, v9, v2, vcc
	v_ashrrev_i32_e32 v3, 31, v2
	v_lshlrev_b64 v[2:3], 2, v[2:3]
	v_mov_b32_e32 v4, s20
	v_add_co_u32_e32 v2, vcc, s19, v2
	v_addc_co_u32_e32 v3, vcc, v4, v3, vcc
	v_or_b32_e32 v4, 64, v8
	v_add_u32_e32 v5, s8, v4
	v_ashrrev_i32_e32 v5, 5, v5
	v_cmp_gt_i32_e32 vcc, s33, v4
	v_cndmask_b32_e32 v4, v9, v5, vcc
	v_ashrrev_i32_e32 v5, 31, v4
	v_lshlrev_b64 v[4:5], 2, v[4:5]
	v_mov_b32_e32 v6, s20
	v_add_co_u32_e32 v4, vcc, s19, v4
	v_addc_co_u32_e32 v5, vcc, v6, v5, vcc
	v_or_b32_e32 v6, 0x80, v8
	v_add_u32_e32 v7, s8, v6
	v_ashrrev_i32_e32 v7, 5, v7
	v_cmp_gt_i32_e32 vcc, s33, v6
	v_cndmask_b32_e32 v6, v9, v7, vcc
	v_ashrrev_i32_e32 v7, 31, v6
	v_lshlrev_b64 v[6:7], 2, v[6:7]
	v_mov_b32_e32 v10, s20
	v_add_co_u32_e32 v6, vcc, s19, v6
	v_addc_co_u32_e32 v7, vcc, v10, v7, vcc
	global_load_dword v10, v[2:3], off
	global_load_dword v11, v[4:5], off
	;; [unrolled: 1-line block ×3, first 2 shown]
	v_or_b32_e32 v2, 0xc0, v8
	v_add_u32_e32 v3, s8, v2
	v_ashrrev_i32_e32 v3, 5, v3
	v_cmp_gt_i32_e32 vcc, s33, v2
	v_cndmask_b32_e32 v2, v9, v3, vcc
	v_ashrrev_i32_e32 v3, 31, v2
	v_lshlrev_b64 v[2:3], 2, v[2:3]
	v_mov_b32_e32 v4, s20
	v_add_co_u32_e32 v2, vcc, s19, v2
	v_addc_co_u32_e32 v3, vcc, v4, v3, vcc
	global_load_dword v13, v[2:3], off
	s_add_u32 s2, s2, s10
	v_and_b32_e32 v2, 16, v0
	s_addc_u32 s3, s3, 0
	v_lshlrev_b32_e32 v48, 5, v49
	v_mov_b32_e32 v4, s3
	v_add_co_u32_e32 v2, vcc, s2, v2
	v_lshl_or_b32 v3, v50, 9, v48
	v_addc_co_u32_e32 v4, vcc, 0, v4, vcc
	v_add_co_u32_e32 v2, vcc, v2, v3
	v_addc_co_u32_e32 v3, vcc, 0, v4, vcc
	s_movk_i32 s8, 0x80
	s_waitcnt vmcnt(7)
	v_cmp_ne_u16_sdwa s[10:11], v34, v43 src0_sel:BYTE_0 src1_sel:DWORD
	s_waitcnt vmcnt(3)
	v_mad_i64_i32 v[4:5], s[2:3], v10, s13, v[2:3]
	s_waitcnt vmcnt(2)
	v_mad_i64_i32 v[6:7], s[2:3], v11, s13, v[2:3]
	s_waitcnt vmcnt(1)
	v_mad_i64_i32 v[8:9], s[2:3], v12, s13, v[2:3]
	s_waitcnt vmcnt(0)
	v_mad_i64_i32 v[2:3], s[2:3], v13, s13, v[2:3]
	global_load_dwordx4 v[14:17], v[4:5], off
	global_load_dwordx4 v[10:13], v[6:7], off
	s_nop 0
	global_load_dwordx4 v[6:9], v[8:9], off
	s_nop 0
	global_load_dwordx4 v[2:5], v[2:3], off
	s_load_dwordx4 s[40:43], s[4:5], 0x80
	s_load_dwordx2 s[44:45], s[4:5], 0x94
	s_waitcnt lgkmcnt(0)
	s_load_dword s12, s[40:41], 0x0
	s_and_saveexec_b64 s[2:3], s[10:11]
	s_cbranch_execz .LBB870_19
; %bb.14:
	v_cmp_ne_u16_sdwa s[10:11], v34, s8 src0_sel:BYTE_0 src1_sel:DWORD
	v_mov_b32_e32 v43, 0xffff8000
	s_and_saveexec_b64 s[8:9], s[10:11]
	s_cbranch_execz .LBB870_18
; %bb.15:
	s_movk_i32 s10, 0x7f
	v_and_b32_e32 v42, 0x7f, v34
	v_cmp_ne_u32_e32 vcc, s10, v42
	v_mov_b32_e32 v43, 0x7f80
	s_and_saveexec_b64 s[10:11], vcc
	s_cbranch_execz .LBB870_17
; %bb.16:
	v_and_b32_e32 v43, 7, v34
	v_ffbh_u32_e32 v44, v43
	v_min_u32_e32 v53, 32, v44
	v_subrev_u32_e32 v44, 28, v53
	v_lshlrev_b64 v[44:45], v44, v[34:35]
	v_lshrrev_b32_e32 v52, 3, v42
	v_sub_u32_e32 v45, 29, v53
	v_and_b32_e32 v44, 7, v44
	v_cmp_gt_u32_e32 vcc, 8, v42
	v_cndmask_b32_e32 v42, v52, v45, vcc
	v_cndmask_b32_e32 v43, v43, v44, vcc
	v_lshlrev_b32_e32 v44, 24, v34
	v_bfrev_b32_e32 v45, 60
	v_lshlrev_b32_e32 v43, 20, v43
	v_and_b32_e32 v44, 0x80000000, v44
	v_lshl_add_u32 v42, v42, 23, v45
	v_or3_b32 v42, v44, v42, v43
	v_lshrrev_b32_e32 v43, 16, v42
.LBB870_17:
	s_or_b64 exec, exec, s[10:11]
.LBB870_18:
	s_or_b64 exec, exec, s[8:9]
.LBB870_19:
	s_or_b64 exec, exec, s[2:3]
	v_lshrrev_b16_e32 v42, 8, v34
	v_cmp_ne_u16_e32 vcc, 0, v42
	v_mov_b32_e32 v45, 0
	v_mov_b32_e32 v44, 0
	s_and_saveexec_b64 s[2:3], vcc
	s_cbranch_execz .LBB870_25
; %bb.20:
	s_movk_i32 s8, 0x80
	v_cmp_ne_u16_e32 vcc, s8, v42
	v_mov_b32_e32 v44, 0xffff8000
	s_and_saveexec_b64 s[8:9], vcc
	s_cbranch_execz .LBB870_24
; %bb.21:
	s_movk_i32 s10, 0x7f
	v_and_b32_e32 v52, 0x7f, v42
	v_cmp_ne_u32_e32 vcc, s10, v52
	v_mov_b32_e32 v44, 0x7f80
	s_and_saveexec_b64 s[10:11], vcc
	s_cbranch_execz .LBB870_23
; %bb.22:
	v_and_b32_e32 v44, 7, v42
	v_ffbh_u32_e32 v54, v44
	v_min_u32_e32 v56, 32, v54
	v_subrev_u32_e32 v54, 28, v56
	v_lshlrev_b64 v[54:55], v54, v[42:43]
	v_lshrrev_b32_e32 v53, 3, v52
	v_sub_u32_e32 v42, 29, v56
	v_and_b32_e32 v54, 7, v54
	v_cmp_gt_u32_e32 vcc, 8, v52
	v_cndmask_b32_e32 v42, v53, v42, vcc
	v_cndmask_b32_e32 v44, v44, v54, vcc
	v_lshlrev_b32_e32 v52, 16, v34
	v_bfrev_b32_e32 v53, 60
	v_lshlrev_b32_e32 v44, 20, v44
	v_and_b32_e32 v52, 0x80000000, v52
	v_lshl_add_u32 v42, v42, 23, v53
	v_or3_b32 v42, v52, v42, v44
	v_lshrrev_b32_e32 v44, 16, v42
.LBB870_23:
	s_or_b64 exec, exec, s[10:11]
.LBB870_24:
	s_or_b64 exec, exec, s[8:9]
.LBB870_25:
	s_or_b64 exec, exec, s[2:3]
	s_movk_i32 s2, 0xff
	v_and_b32_sdwa v52, v34, s2 dst_sel:DWORD dst_unused:UNUSED_PAD src0_sel:WORD_1 src1_sel:DWORD
	v_lshrrev_b32_e32 v42, 16, v34
	v_cmp_ne_u16_e32 vcc, 0, v52
	s_and_saveexec_b64 s[2:3], vcc
	s_cbranch_execz .LBB870_31
; %bb.26:
	s_movk_i32 s8, 0x80
	v_cmp_ne_u16_e32 vcc, s8, v52
	v_mov_b32_e32 v45, 0xffff8000
	s_and_saveexec_b64 s[8:9], vcc
	s_cbranch_execz .LBB870_30
; %bb.27:
	v_bfe_u32 v52, v34, 16, 7
	s_movk_i32 s10, 0x7f
	v_cmp_ne_u32_e32 vcc, s10, v52
	v_mov_b32_e32 v45, 0x7f80
	s_and_saveexec_b64 s[10:11], vcc
	s_cbranch_execz .LBB870_29
; %bb.28:
	v_and_b32_e32 v45, 7, v42
	v_ffbh_u32_e32 v54, v45
	v_min_u32_e32 v56, 32, v54
	v_subrev_u32_e32 v54, 28, v56
	v_lshlrev_b64 v[54:55], v54, v[42:43]
	v_lshrrev_b32_e32 v53, 3, v52
	v_sub_u32_e32 v42, 29, v56
	v_and_b32_e32 v54, 7, v54
	v_cmp_gt_u32_e32 vcc, 8, v52
	v_mov_b32_e32 v52, 24
	v_cndmask_b32_e32 v42, v53, v42, vcc
	v_cndmask_b32_e32 v45, v45, v54, vcc
	v_lshlrev_b32_sdwa v52, v52, v34 dst_sel:DWORD dst_unused:UNUSED_PAD src0_sel:DWORD src1_sel:WORD_1
	v_bfrev_b32_e32 v53, 60
	v_lshlrev_b32_e32 v45, 20, v45
	v_and_b32_e32 v52, 0x80000000, v52
	v_lshl_add_u32 v42, v42, 23, v53
	v_or3_b32 v42, v52, v42, v45
	v_lshrrev_b32_e32 v45, 16, v42
.LBB870_29:
	s_or_b64 exec, exec, s[10:11]
.LBB870_30:
	s_or_b64 exec, exec, s[8:9]
.LBB870_31:
	s_or_b64 exec, exec, s[2:3]
	s_mov_b32 s2, 0xffffff
	v_cmp_lt_u32_e32 vcc, s2, v34
	v_mov_b32_e32 v53, 0
	v_mov_b32_e32 v54, 0
	s_and_saveexec_b64 s[2:3], vcc
	s_cbranch_execz .LBB870_37
; %bb.32:
	v_lshrrev_b32_e32 v42, 24, v34
	s_movk_i32 s8, 0x80
	v_cmp_ne_u32_e32 vcc, s8, v42
	v_mov_b32_e32 v54, 0xffff8000
	s_and_saveexec_b64 s[8:9], vcc
	s_cbranch_execz .LBB870_36
; %bb.33:
	v_bfe_u32 v34, v34, 24, 7
	s_movk_i32 s10, 0x7f
	v_cmp_ne_u32_e32 vcc, s10, v34
	v_mov_b32_e32 v54, 0x7f80
	s_and_saveexec_b64 s[10:11], vcc
	s_cbranch_execz .LBB870_35
; %bb.34:
	v_and_b32_e32 v52, 7, v42
	v_ffbh_u32_e32 v54, v52
	v_min_u32_e32 v57, 32, v54
	v_subrev_u32_e32 v54, 28, v57
	v_lshlrev_b64 v[54:55], v54, v[42:43]
	v_lshrrev_b32_e32 v56, 3, v34
	v_sub_u32_e32 v55, 29, v57
	v_and_b32_e32 v54, 7, v54
	v_cmp_gt_u32_e32 vcc, 8, v34
	v_cndmask_b32_e32 v34, v56, v55, vcc
	v_cndmask_b32_e32 v52, v52, v54, vcc
	v_lshlrev_b32_e32 v42, 24, v42
	v_bfrev_b32_e32 v54, 60
	v_lshlrev_b32_e32 v52, 20, v52
	v_and_b32_e32 v42, 0x80000000, v42
	v_lshl_add_u32 v34, v34, 23, v54
	v_or3_b32 v34, v42, v34, v52
	v_lshrrev_b32_e32 v54, 16, v34
.LBB870_35:
	s_or_b64 exec, exec, s[10:11]
.LBB870_36:
	s_or_b64 exec, exec, s[8:9]
.LBB870_37:
	s_or_b64 exec, exec, s[2:3]
	v_cmp_ne_u16_sdwa s[8:9], v35, v53 src0_sel:BYTE_0 src1_sel:DWORD
	s_and_saveexec_b64 s[2:3], s[8:9]
	s_cbranch_execz .LBB870_43
; %bb.38:
	s_movk_i32 s8, 0x80
	v_cmp_ne_u16_sdwa s[10:11], v35, s8 src0_sel:BYTE_0 src1_sel:DWORD
	v_mov_b32_e32 v53, 0xffff8000
	s_and_saveexec_b64 s[8:9], s[10:11]
	s_cbranch_execz .LBB870_42
; %bb.39:
	s_movk_i32 s10, 0x7f
	v_and_b32_e32 v34, 0x7f, v35
	v_cmp_ne_u32_e32 vcc, s10, v34
	v_mov_b32_e32 v53, 0x7f80
	s_and_saveexec_b64 s[10:11], vcc
	s_cbranch_execz .LBB870_41
; %bb.40:
	v_and_b32_e32 v55, 7, v35
	v_ffbh_u32_e32 v52, v55
	v_min_u32_e32 v57, 32, v52
	v_mov_b32_e32 v42, v35
	v_subrev_u32_e32 v52, 28, v57
	v_lshlrev_b64 v[52:53], v52, v[42:43]
	v_lshrrev_b32_e32 v56, 3, v34
	v_sub_u32_e32 v42, 29, v57
	v_and_b32_e32 v52, 7, v52
	v_cmp_gt_u32_e32 vcc, 8, v34
	v_cndmask_b32_e32 v34, v56, v42, vcc
	v_cndmask_b32_e32 v42, v55, v52, vcc
	v_lshlrev_b32_e32 v52, 24, v35
	v_bfrev_b32_e32 v53, 60
	v_lshlrev_b32_e32 v42, 20, v42
	v_and_b32_e32 v52, 0x80000000, v52
	v_lshl_add_u32 v34, v34, 23, v53
	v_or3_b32 v34, v52, v34, v42
	v_lshrrev_b32_e32 v53, 16, v34
.LBB870_41:
	s_or_b64 exec, exec, s[10:11]
.LBB870_42:
	s_or_b64 exec, exec, s[8:9]
.LBB870_43:
	s_or_b64 exec, exec, s[2:3]
	v_lshrrev_b16_e32 v34, 8, v35
	v_cmp_ne_u16_e32 vcc, 0, v34
	v_mov_b32_e32 v55, 0
	v_mov_b32_e32 v42, 0
	s_and_saveexec_b64 s[2:3], vcc
	s_cbranch_execz .LBB870_49
; %bb.44:
	s_movk_i32 s8, 0x80
	v_cmp_ne_u16_e32 vcc, s8, v34
	v_mov_b32_e32 v42, 0xffff8000
	s_and_saveexec_b64 s[8:9], vcc
	s_cbranch_execz .LBB870_48
; %bb.45:
	s_movk_i32 s10, 0x7f
	v_and_b32_e32 v52, 0x7f, v34
	v_cmp_ne_u32_e32 vcc, s10, v52
	v_mov_b32_e32 v42, 0x7f80
	s_and_saveexec_b64 s[10:11], vcc
	s_cbranch_execz .LBB870_47
; %bb.46:
	v_and_b32_e32 v42, 7, v34
	v_ffbh_u32_e32 v56, v42
	v_min_u32_e32 v59, 32, v56
	v_subrev_u32_e32 v56, 28, v59
	v_lshlrev_b64 v[56:57], v56, v[34:35]
	v_lshrrev_b32_e32 v58, 3, v52
	v_sub_u32_e32 v34, 29, v59
	v_and_b32_e32 v56, 7, v56
	v_cmp_gt_u32_e32 vcc, 8, v52
	v_cndmask_b32_e32 v34, v58, v34, vcc
	v_cndmask_b32_e32 v42, v42, v56, vcc
	v_lshlrev_b32_e32 v52, 16, v35
	v_bfrev_b32_e32 v56, 60
	v_lshlrev_b32_e32 v42, 20, v42
	v_and_b32_e32 v52, 0x80000000, v52
	v_lshl_add_u32 v34, v34, 23, v56
	v_or3_b32 v34, v52, v34, v42
	v_lshrrev_b32_e32 v42, 16, v34
.LBB870_47:
	s_or_b64 exec, exec, s[10:11]
.LBB870_48:
	s_or_b64 exec, exec, s[8:9]
.LBB870_49:
	s_or_b64 exec, exec, s[2:3]
	s_movk_i32 s2, 0xff
	v_and_b32_sdwa v52, v35, s2 dst_sel:DWORD dst_unused:UNUSED_PAD src0_sel:WORD_1 src1_sel:DWORD
	v_lshrrev_b32_e32 v34, 16, v35
	v_cmp_ne_u16_e32 vcc, 0, v52
	s_and_saveexec_b64 s[2:3], vcc
	s_cbranch_execz .LBB870_55
; %bb.50:
	s_movk_i32 s8, 0x80
	v_cmp_ne_u16_e32 vcc, s8, v52
	v_mov_b32_e32 v55, 0xffff8000
	s_and_saveexec_b64 s[8:9], vcc
	s_cbranch_execz .LBB870_54
; %bb.51:
	v_bfe_u32 v52, v35, 16, 7
	s_movk_i32 s10, 0x7f
	v_cmp_ne_u32_e32 vcc, s10, v52
	v_mov_b32_e32 v55, 0x7f80
	s_and_saveexec_b64 s[10:11], vcc
	s_cbranch_execz .LBB870_53
; %bb.52:
	v_and_b32_e32 v55, 7, v34
	v_ffbh_u32_e32 v56, v55
	v_min_u32_e32 v59, 32, v56
	v_subrev_u32_e32 v56, 28, v59
	v_lshlrev_b64 v[56:57], v56, v[34:35]
	v_and_b32_e32 v56, 7, v56
	v_cmp_gt_u32_e32 vcc, 8, v52
	v_lshrrev_b32_e32 v58, 3, v52
	v_sub_u32_e32 v34, 29, v59
	v_cndmask_b32_e32 v52, v55, v56, vcc
	v_mov_b32_e32 v55, 24
	v_cndmask_b32_e32 v34, v58, v34, vcc
	v_lshlrev_b32_sdwa v55, v55, v35 dst_sel:DWORD dst_unused:UNUSED_PAD src0_sel:DWORD src1_sel:WORD_1
	v_bfrev_b32_e32 v56, 60
	v_lshlrev_b32_e32 v52, 20, v52
	v_and_b32_e32 v55, 0x80000000, v55
	v_lshl_add_u32 v34, v34, 23, v56
	v_or3_b32 v34, v55, v34, v52
	v_lshrrev_b32_e32 v55, 16, v34
.LBB870_53:
	s_or_b64 exec, exec, s[10:11]
.LBB870_54:
	s_or_b64 exec, exec, s[8:9]
.LBB870_55:
	s_or_b64 exec, exec, s[2:3]
	s_mov_b32 s2, 0xffffff
	v_cmp_lt_u32_e32 vcc, s2, v35
	v_mov_b32_e32 v52, 0
	v_mov_b32_e32 v56, 0
	s_and_saveexec_b64 s[2:3], vcc
	s_cbranch_execz .LBB870_61
; %bb.56:
	v_lshrrev_b32_e32 v34, 24, v35
	s_movk_i32 s8, 0x80
	v_cmp_ne_u32_e32 vcc, s8, v34
	v_mov_b32_e32 v56, 0xffff8000
	s_and_saveexec_b64 s[8:9], vcc
	s_cbranch_execz .LBB870_60
; %bb.57:
	v_bfe_u32 v35, v35, 24, 7
	s_movk_i32 s10, 0x7f
	v_cmp_ne_u32_e32 vcc, s10, v35
	v_mov_b32_e32 v56, 0x7f80
	s_and_saveexec_b64 s[10:11], vcc
	s_cbranch_execz .LBB870_59
; %bb.58:
	v_and_b32_e32 v58, 7, v34
	v_ffbh_u32_e32 v56, v58
	v_min_u32_e32 v60, 32, v56
	v_subrev_u32_e32 v56, 28, v60
	v_lshlrev_b64 v[56:57], v56, v[34:35]
	v_lshrrev_b32_e32 v59, 3, v35
	v_sub_u32_e32 v57, 29, v60
	v_and_b32_e32 v56, 7, v56
	v_cmp_gt_u32_e32 vcc, 8, v35
	v_cndmask_b32_e32 v35, v59, v57, vcc
	v_cndmask_b32_e32 v56, v58, v56, vcc
	v_lshlrev_b32_e32 v34, 24, v34
	v_bfrev_b32_e32 v57, 60
	v_lshlrev_b32_e32 v56, 20, v56
	v_and_b32_e32 v34, 0x80000000, v34
	v_lshl_add_u32 v35, v35, 23, v57
	v_or3_b32 v34, v34, v35, v56
	v_lshrrev_b32_e32 v56, 16, v34
.LBB870_59:
	s_or_b64 exec, exec, s[10:11]
.LBB870_60:
	s_or_b64 exec, exec, s[8:9]
.LBB870_61:
	s_or_b64 exec, exec, s[2:3]
	s_mov_b32 s2, 0x5040100
	v_perm_b32 v35, v54, v45, s2
	v_perm_b32 v34, v44, v43, s2
	v_cmp_ne_u16_sdwa s[8:9], v36, v52 src0_sel:BYTE_0 src1_sel:DWORD
	s_nop 0
	v_mfma_f32_16x16x16bf16_1k v[58:61], v[34:35], v[26:27], 0
	v_perm_b32 v35, v56, v55, s2
	v_perm_b32 v34, v42, v53, s2
	s_nop 1
	v_mfma_f32_16x16x16bf16_1k v[42:45], v[34:35], v[28:29], v[58:61]
	s_and_saveexec_b64 s[2:3], s[8:9]
	s_cbranch_execz .LBB870_67
; %bb.62:
	s_movk_i32 s8, 0x80
	v_cmp_ne_u16_sdwa s[10:11], v36, s8 src0_sel:BYTE_0 src1_sel:DWORD
	v_mov_b32_e32 v52, 0xffff8000
	s_and_saveexec_b64 s[8:9], s[10:11]
	s_cbranch_execz .LBB870_66
; %bb.63:
	s_movk_i32 s10, 0x7f
	v_and_b32_e32 v34, 0x7f, v36
	v_cmp_ne_u32_e32 vcc, s10, v34
	v_mov_b32_e32 v52, 0x7f80
	s_and_saveexec_b64 s[10:11], vcc
	s_cbranch_execz .LBB870_65
; %bb.64:
	v_and_b32_e32 v35, 7, v36
	v_ffbh_u32_e32 v52, v35
	v_min_u32_e32 v55, 32, v52
	v_subrev_u32_e32 v52, 28, v55
	v_lshlrev_b64 v[52:53], v52, v[36:37]
	v_lshrrev_b32_e32 v54, 3, v34
	v_sub_u32_e32 v53, 29, v55
	v_and_b32_e32 v52, 7, v52
	v_cmp_gt_u32_e32 vcc, 8, v34
	v_cndmask_b32_e32 v34, v54, v53, vcc
	v_cndmask_b32_e32 v35, v35, v52, vcc
	v_lshlrev_b32_e32 v52, 24, v36
	v_bfrev_b32_e32 v53, 60
	v_lshlrev_b32_e32 v35, 20, v35
	v_and_b32_e32 v52, 0x80000000, v52
	v_lshl_add_u32 v34, v34, 23, v53
	v_or3_b32 v34, v52, v34, v35
	v_lshrrev_b32_e32 v52, 16, v34
.LBB870_65:
	s_or_b64 exec, exec, s[10:11]
.LBB870_66:
	s_or_b64 exec, exec, s[8:9]
.LBB870_67:
	s_or_b64 exec, exec, s[2:3]
	v_lshrrev_b16_e32 v34, 8, v36
	v_cmp_ne_u16_e32 vcc, 0, v34
	v_mov_b32_e32 v54, 0
	v_mov_b32_e32 v35, 0
	s_and_saveexec_b64 s[2:3], vcc
	s_cbranch_execz .LBB870_73
; %bb.68:
	s_movk_i32 s8, 0x80
	v_cmp_ne_u16_e32 vcc, s8, v34
	v_mov_b32_e32 v35, 0xffff8000
	s_and_saveexec_b64 s[8:9], vcc
	s_cbranch_execz .LBB870_72
; %bb.69:
	s_movk_i32 s10, 0x7f
	v_and_b32_e32 v53, 0x7f, v34
	v_cmp_ne_u32_e32 vcc, s10, v53
	v_mov_b32_e32 v35, 0x7f80
	s_and_saveexec_b64 s[10:11], vcc
	s_cbranch_execz .LBB870_71
; %bb.70:
	v_and_b32_e32 v55, 7, v34
	v_ffbh_u32_e32 v35, v55
	v_min_u32_e32 v57, 32, v35
	v_subrev_u32_e32 v35, 28, v57
	v_lshlrev_b64 v[34:35], v35, v[34:35]
	v_lshrrev_b32_e32 v56, 3, v53
	v_sub_u32_e32 v35, 29, v57
	v_and_b32_e32 v34, 7, v34
	v_cmp_gt_u32_e32 vcc, 8, v53
	v_cndmask_b32_e32 v35, v56, v35, vcc
	v_cndmask_b32_e32 v34, v55, v34, vcc
	v_lshlrev_b32_e32 v53, 16, v36
	v_bfrev_b32_e32 v55, 60
	v_lshlrev_b32_e32 v34, 20, v34
	v_and_b32_e32 v53, 0x80000000, v53
	v_lshl_add_u32 v35, v35, 23, v55
	v_or3_b32 v34, v53, v35, v34
	v_lshrrev_b32_e32 v35, 16, v34
.LBB870_71:
	s_or_b64 exec, exec, s[10:11]
.LBB870_72:
	s_or_b64 exec, exec, s[8:9]
.LBB870_73:
	s_or_b64 exec, exec, s[2:3]
	s_movk_i32 s2, 0xff
	v_and_b32_sdwa v53, v36, s2 dst_sel:DWORD dst_unused:UNUSED_PAD src0_sel:WORD_1 src1_sel:DWORD
	v_lshrrev_b32_e32 v34, 16, v36
	v_cmp_ne_u16_e32 vcc, 0, v53
	s_and_saveexec_b64 s[2:3], vcc
	s_cbranch_execz .LBB870_79
; %bb.74:
	s_movk_i32 s8, 0x80
	v_cmp_ne_u16_e32 vcc, s8, v53
	v_mov_b32_e32 v54, 0xffff8000
	s_and_saveexec_b64 s[8:9], vcc
	s_cbranch_execz .LBB870_78
; %bb.75:
	v_bfe_u32 v53, v36, 16, 7
	s_movk_i32 s10, 0x7f
	v_cmp_ne_u32_e32 vcc, s10, v53
	v_mov_b32_e32 v54, 0x7f80
	s_and_saveexec_b64 s[10:11], vcc
	s_cbranch_execz .LBB870_77
; %bb.76:
	v_and_b32_e32 v56, 7, v34
	v_ffbh_u32_e32 v54, v56
	v_min_u32_e32 v58, 32, v54
	v_subrev_u32_e32 v54, 28, v58
	v_lshlrev_b64 v[54:55], v54, v[34:35]
	v_and_b32_e32 v54, 7, v54
	v_cmp_gt_u32_e32 vcc, 8, v53
	v_lshrrev_b32_e32 v57, 3, v53
	v_sub_u32_e32 v34, 29, v58
	v_cndmask_b32_e32 v53, v56, v54, vcc
	v_mov_b32_e32 v54, 24
	v_cndmask_b32_e32 v34, v57, v34, vcc
	v_lshlrev_b32_sdwa v54, v54, v36 dst_sel:DWORD dst_unused:UNUSED_PAD src0_sel:DWORD src1_sel:WORD_1
	v_bfrev_b32_e32 v55, 60
	v_lshlrev_b32_e32 v53, 20, v53
	v_and_b32_e32 v54, 0x80000000, v54
	v_lshl_add_u32 v34, v34, 23, v55
	v_or3_b32 v34, v54, v34, v53
	v_lshrrev_b32_e32 v54, 16, v34
.LBB870_77:
	s_or_b64 exec, exec, s[10:11]
.LBB870_78:
	s_or_b64 exec, exec, s[8:9]
.LBB870_79:
	s_or_b64 exec, exec, s[2:3]
	s_mov_b32 s2, 0xffffff
	v_cmp_lt_u32_e32 vcc, s2, v36
	v_mov_b32_e32 v55, 0
	v_mov_b32_e32 v56, 0
	s_and_saveexec_b64 s[2:3], vcc
	s_cbranch_execz .LBB870_85
; %bb.80:
	v_lshrrev_b32_e32 v34, 24, v36
	s_movk_i32 s8, 0x80
	v_cmp_ne_u32_e32 vcc, s8, v34
	v_mov_b32_e32 v56, 0xffff8000
	s_and_saveexec_b64 s[8:9], vcc
	s_cbranch_execz .LBB870_84
; %bb.81:
	v_bfe_u32 v36, v36, 24, 7
	s_movk_i32 s10, 0x7f
	v_cmp_ne_u32_e32 vcc, s10, v36
	v_mov_b32_e32 v56, 0x7f80
	s_and_saveexec_b64 s[10:11], vcc
	s_cbranch_execz .LBB870_83
; %bb.82:
	v_and_b32_e32 v53, 7, v34
	v_ffbh_u32_e32 v56, v53
	v_min_u32_e32 v59, 32, v56
	v_subrev_u32_e32 v56, 28, v59
	v_lshlrev_b64 v[56:57], v56, v[34:35]
	v_lshrrev_b32_e32 v58, 3, v36
	v_sub_u32_e32 v57, 29, v59
	v_and_b32_e32 v56, 7, v56
	v_cmp_gt_u32_e32 vcc, 8, v36
	v_cndmask_b32_e32 v36, v58, v57, vcc
	v_cndmask_b32_e32 v53, v53, v56, vcc
	v_lshlrev_b32_e32 v34, 24, v34
	v_bfrev_b32_e32 v56, 60
	v_lshlrev_b32_e32 v53, 20, v53
	v_and_b32_e32 v34, 0x80000000, v34
	v_lshl_add_u32 v36, v36, 23, v56
	v_or3_b32 v34, v34, v36, v53
	v_lshrrev_b32_e32 v56, 16, v34
.LBB870_83:
	s_or_b64 exec, exec, s[10:11]
.LBB870_84:
	s_or_b64 exec, exec, s[8:9]
.LBB870_85:
	s_or_b64 exec, exec, s[2:3]
	v_cmp_ne_u16_sdwa s[8:9], v37, v55 src0_sel:BYTE_0 src1_sel:DWORD
	s_and_saveexec_b64 s[2:3], s[8:9]
	s_cbranch_execz .LBB870_91
; %bb.86:
	s_movk_i32 s8, 0x80
	v_cmp_ne_u16_sdwa s[10:11], v37, s8 src0_sel:BYTE_0 src1_sel:DWORD
	v_mov_b32_e32 v55, 0xffff8000
	s_and_saveexec_b64 s[8:9], s[10:11]
	s_cbranch_execz .LBB870_90
; %bb.87:
	s_movk_i32 s10, 0x7f
	v_and_b32_e32 v34, 0x7f, v37
	v_cmp_ne_u32_e32 vcc, s10, v34
	v_mov_b32_e32 v55, 0x7f80
	s_and_saveexec_b64 s[10:11], vcc
	s_cbranch_execz .LBB870_89
; %bb.88:
	v_and_b32_e32 v53, 7, v37
	v_ffbh_u32_e32 v57, v53
	v_min_u32_e32 v57, 32, v57
	v_mov_b32_e32 v36, v37
	v_subrev_u32_e32 v58, 28, v57
	v_lshlrev_b64 v[58:59], v58, v[36:37]
	v_lshrrev_b32_e32 v55, 3, v34
	v_sub_u32_e32 v36, 29, v57
	v_and_b32_e32 v57, 7, v58
	v_cmp_gt_u32_e32 vcc, 8, v34
	v_cndmask_b32_e32 v34, v55, v36, vcc
	v_cndmask_b32_e32 v36, v53, v57, vcc
	v_lshlrev_b32_e32 v53, 24, v37
	v_bfrev_b32_e32 v55, 60
	v_lshlrev_b32_e32 v36, 20, v36
	v_and_b32_e32 v53, 0x80000000, v53
	v_lshl_add_u32 v34, v34, 23, v55
	v_or3_b32 v34, v53, v34, v36
	v_lshrrev_b32_e32 v55, 16, v34
.LBB870_89:
	s_or_b64 exec, exec, s[10:11]
.LBB870_90:
	s_or_b64 exec, exec, s[8:9]
.LBB870_91:
	s_or_b64 exec, exec, s[2:3]
	v_lshrrev_b16_e32 v34, 8, v37
	v_cmp_ne_u16_e32 vcc, 0, v34
	v_mov_b32_e32 v57, 0
	v_mov_b32_e32 v36, 0
	s_and_saveexec_b64 s[2:3], vcc
	s_cbranch_execz .LBB870_97
; %bb.92:
	s_movk_i32 s8, 0x80
	v_cmp_ne_u16_e32 vcc, s8, v34
	v_mov_b32_e32 v36, 0xffff8000
	s_and_saveexec_b64 s[8:9], vcc
	s_cbranch_execz .LBB870_96
; %bb.93:
	s_movk_i32 s10, 0x7f
	v_and_b32_e32 v53, 0x7f, v34
	v_cmp_ne_u32_e32 vcc, s10, v53
	v_mov_b32_e32 v36, 0x7f80
	s_and_saveexec_b64 s[10:11], vcc
	s_cbranch_execz .LBB870_95
; %bb.94:
	v_and_b32_e32 v36, 7, v34
	v_ffbh_u32_e32 v58, v36
	v_min_u32_e32 v61, 32, v58
	v_subrev_u32_e32 v58, 28, v61
	v_lshlrev_b64 v[58:59], v58, v[34:35]
	v_lshrrev_b32_e32 v60, 3, v53
	v_sub_u32_e32 v34, 29, v61
	v_and_b32_e32 v58, 7, v58
	v_cmp_gt_u32_e32 vcc, 8, v53
	v_cndmask_b32_e32 v34, v60, v34, vcc
	v_cndmask_b32_e32 v36, v36, v58, vcc
	v_lshlrev_b32_e32 v53, 16, v37
	v_bfrev_b32_e32 v58, 60
	v_lshlrev_b32_e32 v36, 20, v36
	v_and_b32_e32 v53, 0x80000000, v53
	v_lshl_add_u32 v34, v34, 23, v58
	v_or3_b32 v34, v53, v34, v36
	v_lshrrev_b32_e32 v36, 16, v34
.LBB870_95:
	s_or_b64 exec, exec, s[10:11]
.LBB870_96:
	s_or_b64 exec, exec, s[8:9]
.LBB870_97:
	s_or_b64 exec, exec, s[2:3]
	s_movk_i32 s2, 0xff
	v_and_b32_sdwa v53, v37, s2 dst_sel:DWORD dst_unused:UNUSED_PAD src0_sel:WORD_1 src1_sel:DWORD
	v_lshrrev_b32_e32 v34, 16, v37
	v_cmp_ne_u16_e32 vcc, 0, v53
	s_and_saveexec_b64 s[2:3], vcc
	s_cbranch_execz .LBB870_103
; %bb.98:
	s_movk_i32 s8, 0x80
	v_cmp_ne_u16_e32 vcc, s8, v53
	v_mov_b32_e32 v57, 0xffff8000
	s_and_saveexec_b64 s[8:9], vcc
	s_cbranch_execz .LBB870_102
; %bb.99:
	v_bfe_u32 v53, v37, 16, 7
	s_movk_i32 s10, 0x7f
	v_cmp_ne_u32_e32 vcc, s10, v53
	v_mov_b32_e32 v57, 0x7f80
	s_and_saveexec_b64 s[10:11], vcc
	s_cbranch_execz .LBB870_101
; %bb.100:
	v_and_b32_e32 v57, 7, v34
	v_ffbh_u32_e32 v58, v57
	v_min_u32_e32 v61, 32, v58
	v_subrev_u32_e32 v58, 28, v61
	v_lshlrev_b64 v[58:59], v58, v[34:35]
	v_and_b32_e32 v58, 7, v58
	v_cmp_gt_u32_e32 vcc, 8, v53
	v_lshrrev_b32_e32 v60, 3, v53
	v_sub_u32_e32 v34, 29, v61
	v_cndmask_b32_e32 v53, v57, v58, vcc
	v_mov_b32_e32 v57, 24
	v_cndmask_b32_e32 v34, v60, v34, vcc
	v_lshlrev_b32_sdwa v57, v57, v37 dst_sel:DWORD dst_unused:UNUSED_PAD src0_sel:DWORD src1_sel:WORD_1
	v_bfrev_b32_e32 v58, 60
	v_lshlrev_b32_e32 v53, 20, v53
	v_and_b32_e32 v57, 0x80000000, v57
	v_lshl_add_u32 v34, v34, 23, v58
	v_or3_b32 v34, v57, v34, v53
	v_lshrrev_b32_e32 v57, 16, v34
.LBB870_101:
	s_or_b64 exec, exec, s[10:11]
.LBB870_102:
	s_or_b64 exec, exec, s[8:9]
.LBB870_103:
	s_or_b64 exec, exec, s[2:3]
	s_mov_b32 s2, 0xffffff
	v_cmp_lt_u32_e32 vcc, s2, v37
	v_mov_b32_e32 v53, 0
	v_mov_b32_e32 v58, 0
	s_and_saveexec_b64 s[2:3], vcc
	s_cbranch_execz .LBB870_109
; %bb.104:
	v_lshrrev_b32_e32 v34, 24, v37
	s_movk_i32 s8, 0x80
	v_cmp_ne_u32_e32 vcc, s8, v34
	v_mov_b32_e32 v58, 0xffff8000
	s_and_saveexec_b64 s[8:9], vcc
	s_cbranch_execz .LBB870_108
; %bb.105:
	v_bfe_u32 v37, v37, 24, 7
	s_movk_i32 s10, 0x7f
	v_cmp_ne_u32_e32 vcc, s10, v37
	v_mov_b32_e32 v58, 0x7f80
	s_and_saveexec_b64 s[10:11], vcc
	s_cbranch_execz .LBB870_107
; %bb.106:
	v_and_b32_e32 v60, 7, v34
	v_ffbh_u32_e32 v58, v60
	v_min_u32_e32 v62, 32, v58
	v_subrev_u32_e32 v58, 28, v62
	v_lshlrev_b64 v[58:59], v58, v[34:35]
	v_lshrrev_b32_e32 v61, 3, v37
	v_sub_u32_e32 v59, 29, v62
	v_and_b32_e32 v58, 7, v58
	v_cmp_gt_u32_e32 vcc, 8, v37
	v_cndmask_b32_e32 v37, v61, v59, vcc
	v_cndmask_b32_e32 v58, v60, v58, vcc
	v_lshlrev_b32_e32 v34, 24, v34
	v_bfrev_b32_e32 v59, 60
	v_lshlrev_b32_e32 v58, 20, v58
	v_and_b32_e32 v34, 0x80000000, v34
	v_lshl_add_u32 v37, v37, 23, v59
	v_or3_b32 v34, v34, v37, v58
	v_lshrrev_b32_e32 v58, 16, v34
.LBB870_107:
	s_or_b64 exec, exec, s[10:11]
.LBB870_108:
	s_or_b64 exec, exec, s[8:9]
.LBB870_109:
	s_or_b64 exec, exec, s[2:3]
	s_mov_b32 s2, 0x5040100
	v_perm_b32 v61, v56, v54, s2
	v_perm_b32 v60, v35, v52, s2
	;; [unrolled: 1-line block ×4, first 2 shown]
	v_cmp_ne_u16_sdwa s[8:9], v38, v53 src0_sel:BYTE_0 src1_sel:DWORD
	v_mfma_f32_16x16x16bf16_1k v[42:45], v[60:61], v[18:19], v[42:45]
	v_mfma_f32_16x16x16bf16_1k v[34:37], v[34:35], v[20:21], v[42:45]
	s_and_saveexec_b64 s[2:3], s[8:9]
	s_cbranch_execz .LBB870_115
; %bb.110:
	s_movk_i32 s8, 0x80
	v_cmp_ne_u16_sdwa s[10:11], v38, s8 src0_sel:BYTE_0 src1_sel:DWORD
	v_mov_b32_e32 v53, 0xffff8000
	s_and_saveexec_b64 s[8:9], s[10:11]
	s_cbranch_execz .LBB870_114
; %bb.111:
	s_movk_i32 s10, 0x7f
	s_nop 1
	v_and_b32_e32 v42, 0x7f, v38
	v_cmp_ne_u32_e32 vcc, s10, v42
	v_mov_b32_e32 v53, 0x7f80
	s_and_saveexec_b64 s[10:11], vcc
	s_cbranch_execz .LBB870_113
; %bb.112:
	v_and_b32_e32 v43, 7, v38
	v_ffbh_u32_e32 v44, v43
	v_min_u32_e32 v53, 32, v44
	v_subrev_u32_e32 v44, 28, v53
	v_lshlrev_b64 v[44:45], v44, v[38:39]
	v_lshrrev_b32_e32 v52, 3, v42
	v_sub_u32_e32 v45, 29, v53
	v_and_b32_e32 v44, 7, v44
	v_cmp_gt_u32_e32 vcc, 8, v42
	v_cndmask_b32_e32 v42, v52, v45, vcc
	v_cndmask_b32_e32 v43, v43, v44, vcc
	v_lshlrev_b32_e32 v44, 24, v38
	v_bfrev_b32_e32 v45, 60
	v_lshlrev_b32_e32 v43, 20, v43
	v_and_b32_e32 v44, 0x80000000, v44
	v_lshl_add_u32 v42, v42, 23, v45
	v_or3_b32 v42, v44, v42, v43
	v_lshrrev_b32_e32 v53, 16, v42
.LBB870_113:
	s_or_b64 exec, exec, s[10:11]
.LBB870_114:
	s_or_b64 exec, exec, s[8:9]
.LBB870_115:
	s_or_b64 exec, exec, s[2:3]
	s_nop 6
	v_lshrrev_b16_e32 v42, 8, v38
	v_cmp_ne_u16_e32 vcc, 0, v42
	v_mov_b32_e32 v44, 0
	v_mov_b32_e32 v43, 0
	s_and_saveexec_b64 s[2:3], vcc
	s_cbranch_execz .LBB870_121
; %bb.116:
	s_movk_i32 s8, 0x80
	v_cmp_ne_u16_e32 vcc, s8, v42
	v_mov_b32_e32 v43, 0xffff8000
	s_and_saveexec_b64 s[8:9], vcc
	s_cbranch_execz .LBB870_120
; %bb.117:
	s_movk_i32 s10, 0x7f
	v_and_b32_e32 v45, 0x7f, v42
	v_cmp_ne_u32_e32 vcc, s10, v45
	v_mov_b32_e32 v43, 0x7f80
	s_and_saveexec_b64 s[10:11], vcc
	s_cbranch_execz .LBB870_119
; %bb.118:
	v_and_b32_e32 v52, 7, v42
	v_ffbh_u32_e32 v43, v52
	v_min_u32_e32 v55, 32, v43
	v_subrev_u32_e32 v43, 28, v55
	v_lshlrev_b64 v[42:43], v43, v[42:43]
	v_lshrrev_b32_e32 v54, 3, v45
	v_sub_u32_e32 v43, 29, v55
	v_and_b32_e32 v42, 7, v42
	v_cmp_gt_u32_e32 vcc, 8, v45
	v_cndmask_b32_e32 v43, v54, v43, vcc
	v_cndmask_b32_e32 v42, v52, v42, vcc
	v_lshlrev_b32_e32 v45, 16, v38
	v_bfrev_b32_e32 v52, 60
	v_lshlrev_b32_e32 v42, 20, v42
	v_and_b32_e32 v45, 0x80000000, v45
	v_lshl_add_u32 v43, v43, 23, v52
	v_or3_b32 v42, v45, v43, v42
	v_lshrrev_b32_e32 v43, 16, v42
.LBB870_119:
	s_or_b64 exec, exec, s[10:11]
.LBB870_120:
	s_or_b64 exec, exec, s[8:9]
.LBB870_121:
	s_or_b64 exec, exec, s[2:3]
	s_movk_i32 s2, 0xff
	v_and_b32_sdwa v45, v38, s2 dst_sel:DWORD dst_unused:UNUSED_PAD src0_sel:WORD_1 src1_sel:DWORD
	v_lshrrev_b32_e32 v42, 16, v38
	v_cmp_ne_u16_e32 vcc, 0, v45
	s_and_saveexec_b64 s[2:3], vcc
	s_cbranch_execz .LBB870_127
; %bb.122:
	s_movk_i32 s8, 0x80
	v_cmp_ne_u16_e32 vcc, s8, v45
	v_mov_b32_e32 v44, 0xffff8000
	s_and_saveexec_b64 s[8:9], vcc
	s_cbranch_execz .LBB870_126
; %bb.123:
	v_bfe_u32 v45, v38, 16, 7
	s_movk_i32 s10, 0x7f
	v_cmp_ne_u32_e32 vcc, s10, v45
	v_mov_b32_e32 v44, 0x7f80
	s_and_saveexec_b64 s[10:11], vcc
	s_cbranch_execz .LBB870_125
; %bb.124:
	v_and_b32_e32 v44, 7, v42
	v_ffbh_u32_e32 v54, v44
	v_min_u32_e32 v56, 32, v54
	v_subrev_u32_e32 v54, 28, v56
	v_lshlrev_b64 v[54:55], v54, v[42:43]
	v_lshrrev_b32_e32 v52, 3, v45
	v_sub_u32_e32 v42, 29, v56
	v_and_b32_e32 v54, 7, v54
	v_cmp_gt_u32_e32 vcc, 8, v45
	v_mov_b32_e32 v45, 24
	v_cndmask_b32_e32 v42, v52, v42, vcc
	v_cndmask_b32_e32 v44, v44, v54, vcc
	v_lshlrev_b32_sdwa v45, v45, v38 dst_sel:DWORD dst_unused:UNUSED_PAD src0_sel:DWORD src1_sel:WORD_1
	v_bfrev_b32_e32 v52, 60
	v_lshlrev_b32_e32 v44, 20, v44
	v_and_b32_e32 v45, 0x80000000, v45
	v_lshl_add_u32 v42, v42, 23, v52
	v_or3_b32 v42, v45, v42, v44
	v_lshrrev_b32_e32 v44, 16, v42
.LBB870_125:
	s_or_b64 exec, exec, s[10:11]
.LBB870_126:
	s_or_b64 exec, exec, s[8:9]
.LBB870_127:
	s_or_b64 exec, exec, s[2:3]
	s_mov_b32 s2, 0xffffff
	v_cmp_lt_u32_e32 vcc, s2, v38
	v_mov_b32_e32 v45, 0
	v_mov_b32_e32 v54, 0
	s_and_saveexec_b64 s[2:3], vcc
	s_cbranch_execz .LBB870_133
; %bb.128:
	v_lshrrev_b32_e32 v42, 24, v38
	s_movk_i32 s8, 0x80
	v_cmp_ne_u32_e32 vcc, s8, v42
	v_mov_b32_e32 v54, 0xffff8000
	s_and_saveexec_b64 s[8:9], vcc
	s_cbranch_execz .LBB870_132
; %bb.129:
	v_bfe_u32 v38, v38, 24, 7
	s_movk_i32 s10, 0x7f
	v_cmp_ne_u32_e32 vcc, s10, v38
	v_mov_b32_e32 v54, 0x7f80
	s_and_saveexec_b64 s[10:11], vcc
	s_cbranch_execz .LBB870_131
; %bb.130:
	v_and_b32_e32 v52, 7, v42
	v_ffbh_u32_e32 v54, v52
	v_min_u32_e32 v57, 32, v54
	v_subrev_u32_e32 v54, 28, v57
	v_lshlrev_b64 v[54:55], v54, v[42:43]
	v_lshrrev_b32_e32 v56, 3, v38
	v_sub_u32_e32 v55, 29, v57
	v_and_b32_e32 v54, 7, v54
	v_cmp_gt_u32_e32 vcc, 8, v38
	v_cndmask_b32_e32 v38, v56, v55, vcc
	v_cndmask_b32_e32 v52, v52, v54, vcc
	v_lshlrev_b32_e32 v42, 24, v42
	v_bfrev_b32_e32 v54, 60
	v_lshlrev_b32_e32 v52, 20, v52
	v_and_b32_e32 v42, 0x80000000, v42
	v_lshl_add_u32 v38, v38, 23, v54
	v_or3_b32 v38, v42, v38, v52
	v_lshrrev_b32_e32 v54, 16, v38
.LBB870_131:
	s_or_b64 exec, exec, s[10:11]
.LBB870_132:
	s_or_b64 exec, exec, s[8:9]
.LBB870_133:
	s_or_b64 exec, exec, s[2:3]
	v_cmp_ne_u16_sdwa s[8:9], v39, v45 src0_sel:BYTE_0 src1_sel:DWORD
	s_and_saveexec_b64 s[2:3], s[8:9]
	s_cbranch_execz .LBB870_139
; %bb.134:
	s_movk_i32 s8, 0x80
	v_cmp_ne_u16_sdwa s[10:11], v39, s8 src0_sel:BYTE_0 src1_sel:DWORD
	v_mov_b32_e32 v45, 0xffff8000
	s_and_saveexec_b64 s[8:9], s[10:11]
	s_cbranch_execz .LBB870_138
; %bb.135:
	s_movk_i32 s10, 0x7f
	v_and_b32_e32 v38, 0x7f, v39
	v_cmp_ne_u32_e32 vcc, s10, v38
	v_mov_b32_e32 v45, 0x7f80
	s_and_saveexec_b64 s[10:11], vcc
	s_cbranch_execz .LBB870_137
; %bb.136:
	v_and_b32_e32 v45, 7, v39
	v_ffbh_u32_e32 v55, v45
	v_min_u32_e32 v55, 32, v55
	v_mov_b32_e32 v42, v39
	v_subrev_u32_e32 v56, 28, v55
	v_lshlrev_b64 v[56:57], v56, v[42:43]
	v_lshrrev_b32_e32 v52, 3, v38
	v_sub_u32_e32 v42, 29, v55
	v_and_b32_e32 v55, 7, v56
	v_cmp_gt_u32_e32 vcc, 8, v38
	v_cndmask_b32_e32 v38, v52, v42, vcc
	v_cndmask_b32_e32 v42, v45, v55, vcc
	v_lshlrev_b32_e32 v45, 24, v39
	v_bfrev_b32_e32 v52, 60
	v_lshlrev_b32_e32 v42, 20, v42
	v_and_b32_e32 v45, 0x80000000, v45
	v_lshl_add_u32 v38, v38, 23, v52
	v_or3_b32 v38, v45, v38, v42
	v_lshrrev_b32_e32 v45, 16, v38
.LBB870_137:
	s_or_b64 exec, exec, s[10:11]
.LBB870_138:
	s_or_b64 exec, exec, s[8:9]
.LBB870_139:
	s_or_b64 exec, exec, s[2:3]
	v_lshrrev_b16_e32 v38, 8, v39
	v_cmp_ne_u16_e32 vcc, 0, v38
	v_mov_b32_e32 v55, 0
	v_mov_b32_e32 v42, 0
	s_and_saveexec_b64 s[2:3], vcc
	s_cbranch_execz .LBB870_145
; %bb.140:
	s_movk_i32 s8, 0x80
	v_cmp_ne_u16_e32 vcc, s8, v38
	v_mov_b32_e32 v42, 0xffff8000
	s_and_saveexec_b64 s[8:9], vcc
	s_cbranch_execz .LBB870_144
; %bb.141:
	s_movk_i32 s10, 0x7f
	v_and_b32_e32 v52, 0x7f, v38
	v_cmp_ne_u32_e32 vcc, s10, v52
	v_mov_b32_e32 v42, 0x7f80
	s_and_saveexec_b64 s[10:11], vcc
	s_cbranch_execz .LBB870_143
; %bb.142:
	v_and_b32_e32 v42, 7, v38
	v_ffbh_u32_e32 v56, v42
	v_min_u32_e32 v59, 32, v56
	v_subrev_u32_e32 v56, 28, v59
	v_lshlrev_b64 v[56:57], v56, v[38:39]
	v_lshrrev_b32_e32 v58, 3, v52
	v_sub_u32_e32 v38, 29, v59
	v_and_b32_e32 v56, 7, v56
	v_cmp_gt_u32_e32 vcc, 8, v52
	v_cndmask_b32_e32 v38, v58, v38, vcc
	v_cndmask_b32_e32 v42, v42, v56, vcc
	v_lshlrev_b32_e32 v52, 16, v39
	v_bfrev_b32_e32 v56, 60
	v_lshlrev_b32_e32 v42, 20, v42
	v_and_b32_e32 v52, 0x80000000, v52
	v_lshl_add_u32 v38, v38, 23, v56
	v_or3_b32 v38, v52, v38, v42
	v_lshrrev_b32_e32 v42, 16, v38
.LBB870_143:
	s_or_b64 exec, exec, s[10:11]
.LBB870_144:
	s_or_b64 exec, exec, s[8:9]
.LBB870_145:
	s_or_b64 exec, exec, s[2:3]
	s_movk_i32 s2, 0xff
	v_and_b32_sdwa v52, v39, s2 dst_sel:DWORD dst_unused:UNUSED_PAD src0_sel:WORD_1 src1_sel:DWORD
	v_lshrrev_b32_e32 v38, 16, v39
	v_cmp_ne_u16_e32 vcc, 0, v52
	s_and_saveexec_b64 s[2:3], vcc
	s_cbranch_execz .LBB870_151
; %bb.146:
	s_movk_i32 s8, 0x80
	v_cmp_ne_u16_e32 vcc, s8, v52
	v_mov_b32_e32 v55, 0xffff8000
	s_and_saveexec_b64 s[8:9], vcc
	s_cbranch_execz .LBB870_150
; %bb.147:
	v_bfe_u32 v52, v39, 16, 7
	s_movk_i32 s10, 0x7f
	v_cmp_ne_u32_e32 vcc, s10, v52
	v_mov_b32_e32 v55, 0x7f80
	s_and_saveexec_b64 s[10:11], vcc
	s_cbranch_execz .LBB870_149
; %bb.148:
	v_and_b32_e32 v55, 7, v38
	v_ffbh_u32_e32 v56, v55
	v_min_u32_e32 v59, 32, v56
	v_subrev_u32_e32 v56, 28, v59
	v_lshlrev_b64 v[56:57], v56, v[38:39]
	v_and_b32_e32 v56, 7, v56
	v_cmp_gt_u32_e32 vcc, 8, v52
	v_lshrrev_b32_e32 v58, 3, v52
	v_sub_u32_e32 v38, 29, v59
	v_cndmask_b32_e32 v52, v55, v56, vcc
	v_mov_b32_e32 v55, 24
	v_cndmask_b32_e32 v38, v58, v38, vcc
	v_lshlrev_b32_sdwa v55, v55, v39 dst_sel:DWORD dst_unused:UNUSED_PAD src0_sel:DWORD src1_sel:WORD_1
	v_bfrev_b32_e32 v56, 60
	v_lshlrev_b32_e32 v52, 20, v52
	v_and_b32_e32 v55, 0x80000000, v55
	v_lshl_add_u32 v38, v38, 23, v56
	v_or3_b32 v38, v55, v38, v52
	v_lshrrev_b32_e32 v55, 16, v38
.LBB870_149:
	s_or_b64 exec, exec, s[10:11]
.LBB870_150:
	s_or_b64 exec, exec, s[8:9]
.LBB870_151:
	s_or_b64 exec, exec, s[2:3]
	s_mov_b32 s2, 0xffffff
	v_cmp_lt_u32_e32 vcc, s2, v39
	v_mov_b32_e32 v52, 0
	v_mov_b32_e32 v56, 0
	s_and_saveexec_b64 s[2:3], vcc
	s_cbranch_execz .LBB870_157
; %bb.152:
	v_lshrrev_b32_e32 v38, 24, v39
	s_movk_i32 s8, 0x80
	v_cmp_ne_u32_e32 vcc, s8, v38
	v_mov_b32_e32 v56, 0xffff8000
	s_and_saveexec_b64 s[8:9], vcc
	s_cbranch_execz .LBB870_156
; %bb.153:
	v_bfe_u32 v39, v39, 24, 7
	s_movk_i32 s10, 0x7f
	v_cmp_ne_u32_e32 vcc, s10, v39
	v_mov_b32_e32 v56, 0x7f80
	s_and_saveexec_b64 s[10:11], vcc
	s_cbranch_execz .LBB870_155
; %bb.154:
	v_and_b32_e32 v58, 7, v38
	v_ffbh_u32_e32 v56, v58
	v_min_u32_e32 v60, 32, v56
	v_subrev_u32_e32 v56, 28, v60
	v_lshlrev_b64 v[56:57], v56, v[38:39]
	v_lshrrev_b32_e32 v59, 3, v39
	v_sub_u32_e32 v57, 29, v60
	v_and_b32_e32 v56, 7, v56
	v_cmp_gt_u32_e32 vcc, 8, v39
	v_cndmask_b32_e32 v39, v59, v57, vcc
	v_cndmask_b32_e32 v56, v58, v56, vcc
	v_lshlrev_b32_e32 v38, 24, v38
	v_bfrev_b32_e32 v57, 60
	v_lshlrev_b32_e32 v56, 20, v56
	v_and_b32_e32 v38, 0x80000000, v38
	v_lshl_add_u32 v39, v39, 23, v57
	v_or3_b32 v38, v38, v39, v56
	v_lshrrev_b32_e32 v56, 16, v38
.LBB870_155:
	s_or_b64 exec, exec, s[10:11]
.LBB870_156:
	s_or_b64 exec, exec, s[8:9]
.LBB870_157:
	s_or_b64 exec, exec, s[2:3]
	s_mov_b32 s2, 0x5040100
	v_perm_b32 v39, v54, v44, s2
	v_perm_b32 v38, v43, v53, s2
	v_cmp_ne_u16_sdwa s[8:9], v40, v52 src0_sel:BYTE_0 src1_sel:DWORD
	s_nop 0
	v_mfma_f32_16x16x16bf16_1k v[58:61], v[38:39], v[26:27], 0
	v_perm_b32 v39, v56, v55, s2
	v_perm_b32 v38, v42, v45, s2
	s_nop 1
	v_mfma_f32_16x16x16bf16_1k v[42:45], v[38:39], v[28:29], v[58:61]
	s_and_saveexec_b64 s[2:3], s[8:9]
	s_cbranch_execz .LBB870_163
; %bb.158:
	s_movk_i32 s8, 0x80
	v_cmp_ne_u16_sdwa s[10:11], v40, s8 src0_sel:BYTE_0 src1_sel:DWORD
	v_mov_b32_e32 v52, 0xffff8000
	s_and_saveexec_b64 s[8:9], s[10:11]
	s_cbranch_execz .LBB870_162
; %bb.159:
	s_movk_i32 s10, 0x7f
	v_and_b32_e32 v38, 0x7f, v40
	v_cmp_ne_u32_e32 vcc, s10, v38
	v_mov_b32_e32 v52, 0x7f80
	s_and_saveexec_b64 s[10:11], vcc
	s_cbranch_execz .LBB870_161
; %bb.160:
	v_and_b32_e32 v39, 7, v40
	v_ffbh_u32_e32 v52, v39
	v_min_u32_e32 v55, 32, v52
	v_subrev_u32_e32 v52, 28, v55
	v_lshlrev_b64 v[52:53], v52, v[40:41]
	v_lshrrev_b32_e32 v54, 3, v38
	v_sub_u32_e32 v53, 29, v55
	v_and_b32_e32 v52, 7, v52
	v_cmp_gt_u32_e32 vcc, 8, v38
	v_cndmask_b32_e32 v38, v54, v53, vcc
	v_cndmask_b32_e32 v39, v39, v52, vcc
	v_lshlrev_b32_e32 v52, 24, v40
	v_bfrev_b32_e32 v53, 60
	v_lshlrev_b32_e32 v39, 20, v39
	v_and_b32_e32 v52, 0x80000000, v52
	v_lshl_add_u32 v38, v38, 23, v53
	v_or3_b32 v38, v52, v38, v39
	v_lshrrev_b32_e32 v52, 16, v38
.LBB870_161:
	s_or_b64 exec, exec, s[10:11]
.LBB870_162:
	s_or_b64 exec, exec, s[8:9]
.LBB870_163:
	s_or_b64 exec, exec, s[2:3]
	v_lshrrev_b16_e32 v38, 8, v40
	v_cmp_ne_u16_e32 vcc, 0, v38
	v_mov_b32_e32 v54, 0
	v_mov_b32_e32 v39, 0
	s_and_saveexec_b64 s[2:3], vcc
	s_cbranch_execz .LBB870_169
; %bb.164:
	s_movk_i32 s8, 0x80
	v_cmp_ne_u16_e32 vcc, s8, v38
	v_mov_b32_e32 v39, 0xffff8000
	s_and_saveexec_b64 s[8:9], vcc
	s_cbranch_execz .LBB870_168
; %bb.165:
	s_movk_i32 s10, 0x7f
	v_and_b32_e32 v53, 0x7f, v38
	v_cmp_ne_u32_e32 vcc, s10, v53
	v_mov_b32_e32 v39, 0x7f80
	s_and_saveexec_b64 s[10:11], vcc
	s_cbranch_execz .LBB870_167
; %bb.166:
	v_and_b32_e32 v55, 7, v38
	v_ffbh_u32_e32 v39, v55
	v_min_u32_e32 v57, 32, v39
	v_subrev_u32_e32 v39, 28, v57
	v_lshlrev_b64 v[38:39], v39, v[38:39]
	v_lshrrev_b32_e32 v56, 3, v53
	v_sub_u32_e32 v39, 29, v57
	v_and_b32_e32 v38, 7, v38
	v_cmp_gt_u32_e32 vcc, 8, v53
	v_cndmask_b32_e32 v39, v56, v39, vcc
	v_cndmask_b32_e32 v38, v55, v38, vcc
	v_lshlrev_b32_e32 v53, 16, v40
	v_bfrev_b32_e32 v55, 60
	v_lshlrev_b32_e32 v38, 20, v38
	v_and_b32_e32 v53, 0x80000000, v53
	v_lshl_add_u32 v39, v39, 23, v55
	v_or3_b32 v38, v53, v39, v38
	v_lshrrev_b32_e32 v39, 16, v38
.LBB870_167:
	s_or_b64 exec, exec, s[10:11]
.LBB870_168:
	s_or_b64 exec, exec, s[8:9]
.LBB870_169:
	s_or_b64 exec, exec, s[2:3]
	s_movk_i32 s2, 0xff
	v_and_b32_sdwa v53, v40, s2 dst_sel:DWORD dst_unused:UNUSED_PAD src0_sel:WORD_1 src1_sel:DWORD
	v_lshrrev_b32_e32 v38, 16, v40
	v_cmp_ne_u16_e32 vcc, 0, v53
	s_and_saveexec_b64 s[2:3], vcc
	s_cbranch_execz .LBB870_175
; %bb.170:
	s_movk_i32 s8, 0x80
	v_cmp_ne_u16_e32 vcc, s8, v53
	v_mov_b32_e32 v54, 0xffff8000
	s_and_saveexec_b64 s[8:9], vcc
	s_cbranch_execz .LBB870_174
; %bb.171:
	v_bfe_u32 v53, v40, 16, 7
	s_movk_i32 s10, 0x7f
	v_cmp_ne_u32_e32 vcc, s10, v53
	v_mov_b32_e32 v54, 0x7f80
	s_and_saveexec_b64 s[10:11], vcc
	s_cbranch_execz .LBB870_173
; %bb.172:
	v_and_b32_e32 v56, 7, v38
	v_ffbh_u32_e32 v54, v56
	v_min_u32_e32 v58, 32, v54
	v_subrev_u32_e32 v54, 28, v58
	v_lshlrev_b64 v[54:55], v54, v[38:39]
	v_and_b32_e32 v54, 7, v54
	v_cmp_gt_u32_e32 vcc, 8, v53
	v_lshrrev_b32_e32 v57, 3, v53
	v_sub_u32_e32 v38, 29, v58
	v_cndmask_b32_e32 v53, v56, v54, vcc
	v_mov_b32_e32 v54, 24
	v_cndmask_b32_e32 v38, v57, v38, vcc
	v_lshlrev_b32_sdwa v54, v54, v40 dst_sel:DWORD dst_unused:UNUSED_PAD src0_sel:DWORD src1_sel:WORD_1
	v_bfrev_b32_e32 v55, 60
	v_lshlrev_b32_e32 v53, 20, v53
	v_and_b32_e32 v54, 0x80000000, v54
	v_lshl_add_u32 v38, v38, 23, v55
	v_or3_b32 v38, v54, v38, v53
	v_lshrrev_b32_e32 v54, 16, v38
.LBB870_173:
	s_or_b64 exec, exec, s[10:11]
.LBB870_174:
	s_or_b64 exec, exec, s[8:9]
.LBB870_175:
	s_or_b64 exec, exec, s[2:3]
	s_mov_b32 s2, 0xffffff
	v_cmp_lt_u32_e32 vcc, s2, v40
	v_mov_b32_e32 v55, 0
	v_mov_b32_e32 v56, 0
	s_and_saveexec_b64 s[2:3], vcc
	s_cbranch_execz .LBB870_181
; %bb.176:
	v_lshrrev_b32_e32 v38, 24, v40
	s_movk_i32 s8, 0x80
	v_cmp_ne_u32_e32 vcc, s8, v38
	v_mov_b32_e32 v56, 0xffff8000
	s_and_saveexec_b64 s[8:9], vcc
	s_cbranch_execz .LBB870_180
; %bb.177:
	v_bfe_u32 v40, v40, 24, 7
	s_movk_i32 s10, 0x7f
	v_cmp_ne_u32_e32 vcc, s10, v40
	v_mov_b32_e32 v56, 0x7f80
	s_and_saveexec_b64 s[10:11], vcc
	s_cbranch_execz .LBB870_179
; %bb.178:
	v_and_b32_e32 v53, 7, v38
	v_ffbh_u32_e32 v56, v53
	v_min_u32_e32 v59, 32, v56
	v_subrev_u32_e32 v56, 28, v59
	v_lshlrev_b64 v[56:57], v56, v[38:39]
	v_lshrrev_b32_e32 v58, 3, v40
	v_sub_u32_e32 v57, 29, v59
	v_and_b32_e32 v56, 7, v56
	v_cmp_gt_u32_e32 vcc, 8, v40
	v_cndmask_b32_e32 v40, v58, v57, vcc
	v_cndmask_b32_e32 v53, v53, v56, vcc
	v_lshlrev_b32_e32 v38, 24, v38
	v_bfrev_b32_e32 v56, 60
	v_lshlrev_b32_e32 v53, 20, v53
	v_and_b32_e32 v38, 0x80000000, v38
	v_lshl_add_u32 v40, v40, 23, v56
	v_or3_b32 v38, v38, v40, v53
	v_lshrrev_b32_e32 v56, 16, v38
.LBB870_179:
	s_or_b64 exec, exec, s[10:11]
.LBB870_180:
	s_or_b64 exec, exec, s[8:9]
.LBB870_181:
	s_or_b64 exec, exec, s[2:3]
	v_cmp_ne_u16_sdwa s[8:9], v41, v55 src0_sel:BYTE_0 src1_sel:DWORD
	s_and_saveexec_b64 s[2:3], s[8:9]
	s_cbranch_execz .LBB870_187
; %bb.182:
	s_movk_i32 s8, 0x80
	v_cmp_ne_u16_sdwa s[10:11], v41, s8 src0_sel:BYTE_0 src1_sel:DWORD
	v_mov_b32_e32 v55, 0xffff8000
	s_and_saveexec_b64 s[8:9], s[10:11]
	s_cbranch_execz .LBB870_186
; %bb.183:
	s_movk_i32 s10, 0x7f
	v_and_b32_e32 v38, 0x7f, v41
	v_cmp_ne_u32_e32 vcc, s10, v38
	v_mov_b32_e32 v55, 0x7f80
	s_and_saveexec_b64 s[10:11], vcc
	s_cbranch_execz .LBB870_185
; %bb.184:
	v_and_b32_e32 v53, 7, v41
	v_ffbh_u32_e32 v57, v53
	v_min_u32_e32 v57, 32, v57
	v_mov_b32_e32 v40, v41
	v_subrev_u32_e32 v58, 28, v57
	v_lshlrev_b64 v[58:59], v58, v[40:41]
	v_lshrrev_b32_e32 v55, 3, v38
	v_sub_u32_e32 v40, 29, v57
	v_and_b32_e32 v57, 7, v58
	v_cmp_gt_u32_e32 vcc, 8, v38
	v_cndmask_b32_e32 v38, v55, v40, vcc
	v_cndmask_b32_e32 v40, v53, v57, vcc
	v_lshlrev_b32_e32 v53, 24, v41
	v_bfrev_b32_e32 v55, 60
	v_lshlrev_b32_e32 v40, 20, v40
	v_and_b32_e32 v53, 0x80000000, v53
	v_lshl_add_u32 v38, v38, 23, v55
	v_or3_b32 v38, v53, v38, v40
	v_lshrrev_b32_e32 v55, 16, v38
.LBB870_185:
	s_or_b64 exec, exec, s[10:11]
.LBB870_186:
	s_or_b64 exec, exec, s[8:9]
.LBB870_187:
	s_or_b64 exec, exec, s[2:3]
	v_lshrrev_b16_e32 v38, 8, v41
	v_cmp_ne_u16_e32 vcc, 0, v38
	v_mov_b32_e32 v57, 0
	v_mov_b32_e32 v40, 0
	s_and_saveexec_b64 s[2:3], vcc
	s_cbranch_execz .LBB870_193
; %bb.188:
	s_movk_i32 s8, 0x80
	v_cmp_ne_u16_e32 vcc, s8, v38
	v_mov_b32_e32 v40, 0xffff8000
	s_and_saveexec_b64 s[8:9], vcc
	s_cbranch_execz .LBB870_192
; %bb.189:
	s_movk_i32 s10, 0x7f
	v_and_b32_e32 v53, 0x7f, v38
	v_cmp_ne_u32_e32 vcc, s10, v53
	v_mov_b32_e32 v40, 0x7f80
	s_and_saveexec_b64 s[10:11], vcc
	s_cbranch_execz .LBB870_191
; %bb.190:
	v_and_b32_e32 v40, 7, v38
	v_ffbh_u32_e32 v58, v40
	v_min_u32_e32 v61, 32, v58
	v_subrev_u32_e32 v58, 28, v61
	v_lshlrev_b64 v[58:59], v58, v[38:39]
	v_lshrrev_b32_e32 v60, 3, v53
	v_sub_u32_e32 v38, 29, v61
	v_and_b32_e32 v58, 7, v58
	v_cmp_gt_u32_e32 vcc, 8, v53
	v_cndmask_b32_e32 v38, v60, v38, vcc
	v_cndmask_b32_e32 v40, v40, v58, vcc
	v_lshlrev_b32_e32 v53, 16, v41
	v_bfrev_b32_e32 v58, 60
	v_lshlrev_b32_e32 v40, 20, v40
	v_and_b32_e32 v53, 0x80000000, v53
	v_lshl_add_u32 v38, v38, 23, v58
	v_or3_b32 v38, v53, v38, v40
	v_lshrrev_b32_e32 v40, 16, v38
.LBB870_191:
	s_or_b64 exec, exec, s[10:11]
.LBB870_192:
	s_or_b64 exec, exec, s[8:9]
.LBB870_193:
	s_or_b64 exec, exec, s[2:3]
	s_movk_i32 s2, 0xff
	v_and_b32_sdwa v53, v41, s2 dst_sel:DWORD dst_unused:UNUSED_PAD src0_sel:WORD_1 src1_sel:DWORD
	v_lshrrev_b32_e32 v38, 16, v41
	v_cmp_ne_u16_e32 vcc, 0, v53
	s_and_saveexec_b64 s[2:3], vcc
	s_cbranch_execz .LBB870_199
; %bb.194:
	s_movk_i32 s8, 0x80
	v_cmp_ne_u16_e32 vcc, s8, v53
	v_mov_b32_e32 v57, 0xffff8000
	s_and_saveexec_b64 s[8:9], vcc
	s_cbranch_execz .LBB870_198
; %bb.195:
	v_bfe_u32 v53, v41, 16, 7
	s_movk_i32 s10, 0x7f
	v_cmp_ne_u32_e32 vcc, s10, v53
	v_mov_b32_e32 v57, 0x7f80
	s_and_saveexec_b64 s[10:11], vcc
	s_cbranch_execz .LBB870_197
; %bb.196:
	v_and_b32_e32 v57, 7, v38
	v_ffbh_u32_e32 v58, v57
	v_min_u32_e32 v61, 32, v58
	v_subrev_u32_e32 v58, 28, v61
	v_lshlrev_b64 v[58:59], v58, v[38:39]
	v_and_b32_e32 v58, 7, v58
	v_cmp_gt_u32_e32 vcc, 8, v53
	v_lshrrev_b32_e32 v60, 3, v53
	v_sub_u32_e32 v38, 29, v61
	v_cndmask_b32_e32 v53, v57, v58, vcc
	v_mov_b32_e32 v57, 24
	v_cndmask_b32_e32 v38, v60, v38, vcc
	v_lshlrev_b32_sdwa v57, v57, v41 dst_sel:DWORD dst_unused:UNUSED_PAD src0_sel:DWORD src1_sel:WORD_1
	v_bfrev_b32_e32 v58, 60
	v_lshlrev_b32_e32 v53, 20, v53
	v_and_b32_e32 v57, 0x80000000, v57
	v_lshl_add_u32 v38, v38, 23, v58
	v_or3_b32 v38, v57, v38, v53
	v_lshrrev_b32_e32 v57, 16, v38
.LBB870_197:
	s_or_b64 exec, exec, s[10:11]
.LBB870_198:
	s_or_b64 exec, exec, s[8:9]
.LBB870_199:
	s_or_b64 exec, exec, s[2:3]
	s_mov_b32 s2, 0xffffff
	v_cmp_lt_u32_e32 vcc, s2, v41
	v_mov_b32_e32 v53, 0
	v_mov_b32_e32 v58, 0
	s_and_saveexec_b64 s[2:3], vcc
	s_cbranch_execz .LBB870_205
; %bb.200:
	v_lshrrev_b32_e32 v38, 24, v41
	s_movk_i32 s8, 0x80
	v_cmp_ne_u32_e32 vcc, s8, v38
	v_mov_b32_e32 v58, 0xffff8000
	s_and_saveexec_b64 s[8:9], vcc
	s_cbranch_execz .LBB870_204
; %bb.201:
	v_bfe_u32 v41, v41, 24, 7
	s_movk_i32 s10, 0x7f
	v_cmp_ne_u32_e32 vcc, s10, v41
	v_mov_b32_e32 v58, 0x7f80
	s_and_saveexec_b64 s[10:11], vcc
	s_cbranch_execz .LBB870_203
; %bb.202:
	v_and_b32_e32 v60, 7, v38
	v_ffbh_u32_e32 v58, v60
	v_min_u32_e32 v62, 32, v58
	v_subrev_u32_e32 v58, 28, v62
	v_lshlrev_b64 v[58:59], v58, v[38:39]
	v_lshrrev_b32_e32 v61, 3, v41
	v_sub_u32_e32 v59, 29, v62
	v_and_b32_e32 v58, 7, v58
	v_cmp_gt_u32_e32 vcc, 8, v41
	v_cndmask_b32_e32 v41, v61, v59, vcc
	v_cndmask_b32_e32 v58, v60, v58, vcc
	v_lshlrev_b32_e32 v38, 24, v38
	v_bfrev_b32_e32 v59, 60
	v_lshlrev_b32_e32 v58, 20, v58
	v_and_b32_e32 v38, 0x80000000, v38
	v_lshl_add_u32 v41, v41, 23, v59
	v_or3_b32 v38, v38, v41, v58
	v_lshrrev_b32_e32 v58, 16, v38
.LBB870_203:
	s_or_b64 exec, exec, s[10:11]
.LBB870_204:
	s_or_b64 exec, exec, s[8:9]
.LBB870_205:
	s_or_b64 exec, exec, s[2:3]
	s_mov_b32 s2, 0x5040100
	v_perm_b32 v61, v56, v54, s2
	v_perm_b32 v60, v39, v52, s2
	;; [unrolled: 1-line block ×4, first 2 shown]
	v_cmp_ne_u16_sdwa s[8:9], v30, v53 src0_sel:BYTE_0 src1_sel:DWORD
	v_mfma_f32_16x16x16bf16_1k v[42:45], v[60:61], v[18:19], v[42:45]
	v_mfma_f32_16x16x16bf16_1k v[38:41], v[38:39], v[20:21], v[42:45]
	s_and_saveexec_b64 s[2:3], s[8:9]
	s_cbranch_execz .LBB870_211
; %bb.206:
	s_movk_i32 s8, 0x80
	v_cmp_ne_u16_sdwa s[10:11], v30, s8 src0_sel:BYTE_0 src1_sel:DWORD
	v_mov_b32_e32 v53, 0xffff8000
	s_and_saveexec_b64 s[8:9], s[10:11]
	s_cbranch_execz .LBB870_210
; %bb.207:
	s_movk_i32 s10, 0x7f
	s_nop 1
	v_and_b32_e32 v42, 0x7f, v30
	v_cmp_ne_u32_e32 vcc, s10, v42
	v_mov_b32_e32 v53, 0x7f80
	s_and_saveexec_b64 s[10:11], vcc
	s_cbranch_execz .LBB870_209
; %bb.208:
	v_and_b32_e32 v43, 7, v30
	v_ffbh_u32_e32 v44, v43
	v_min_u32_e32 v53, 32, v44
	v_subrev_u32_e32 v44, 28, v53
	v_lshlrev_b64 v[44:45], v44, v[30:31]
	v_lshrrev_b32_e32 v52, 3, v42
	v_sub_u32_e32 v45, 29, v53
	v_and_b32_e32 v44, 7, v44
	v_cmp_gt_u32_e32 vcc, 8, v42
	v_cndmask_b32_e32 v42, v52, v45, vcc
	v_cndmask_b32_e32 v43, v43, v44, vcc
	v_lshlrev_b32_e32 v44, 24, v30
	v_bfrev_b32_e32 v45, 60
	v_lshlrev_b32_e32 v43, 20, v43
	v_and_b32_e32 v44, 0x80000000, v44
	v_lshl_add_u32 v42, v42, 23, v45
	v_or3_b32 v42, v44, v42, v43
	v_lshrrev_b32_e32 v53, 16, v42
.LBB870_209:
	s_or_b64 exec, exec, s[10:11]
.LBB870_210:
	s_or_b64 exec, exec, s[8:9]
.LBB870_211:
	s_or_b64 exec, exec, s[2:3]
	s_nop 6
	v_lshrrev_b16_e32 v42, 8, v30
	v_cmp_ne_u16_e32 vcc, 0, v42
	v_mov_b32_e32 v44, 0
	v_mov_b32_e32 v43, 0
	s_and_saveexec_b64 s[2:3], vcc
	s_cbranch_execz .LBB870_217
; %bb.212:
	s_movk_i32 s8, 0x80
	v_cmp_ne_u16_e32 vcc, s8, v42
	v_mov_b32_e32 v43, 0xffff8000
	s_and_saveexec_b64 s[8:9], vcc
	s_cbranch_execz .LBB870_216
; %bb.213:
	s_movk_i32 s10, 0x7f
	v_and_b32_e32 v45, 0x7f, v42
	v_cmp_ne_u32_e32 vcc, s10, v45
	v_mov_b32_e32 v43, 0x7f80
	s_and_saveexec_b64 s[10:11], vcc
	s_cbranch_execz .LBB870_215
; %bb.214:
	v_and_b32_e32 v52, 7, v42
	v_ffbh_u32_e32 v43, v52
	v_min_u32_e32 v55, 32, v43
	v_subrev_u32_e32 v43, 28, v55
	v_lshlrev_b64 v[42:43], v43, v[42:43]
	v_lshrrev_b32_e32 v54, 3, v45
	v_sub_u32_e32 v43, 29, v55
	v_and_b32_e32 v42, 7, v42
	v_cmp_gt_u32_e32 vcc, 8, v45
	v_cndmask_b32_e32 v43, v54, v43, vcc
	v_cndmask_b32_e32 v42, v52, v42, vcc
	v_lshlrev_b32_e32 v45, 16, v30
	v_bfrev_b32_e32 v52, 60
	v_lshlrev_b32_e32 v42, 20, v42
	v_and_b32_e32 v45, 0x80000000, v45
	v_lshl_add_u32 v43, v43, 23, v52
	v_or3_b32 v42, v45, v43, v42
	v_lshrrev_b32_e32 v43, 16, v42
.LBB870_215:
	s_or_b64 exec, exec, s[10:11]
.LBB870_216:
	s_or_b64 exec, exec, s[8:9]
.LBB870_217:
	s_or_b64 exec, exec, s[2:3]
	s_movk_i32 s2, 0xff
	v_and_b32_sdwa v45, v30, s2 dst_sel:DWORD dst_unused:UNUSED_PAD src0_sel:WORD_1 src1_sel:DWORD
	v_lshrrev_b32_e32 v42, 16, v30
	v_cmp_ne_u16_e32 vcc, 0, v45
	s_and_saveexec_b64 s[2:3], vcc
	s_cbranch_execz .LBB870_223
; %bb.218:
	s_movk_i32 s8, 0x80
	v_cmp_ne_u16_e32 vcc, s8, v45
	v_mov_b32_e32 v44, 0xffff8000
	s_and_saveexec_b64 s[8:9], vcc
	s_cbranch_execz .LBB870_222
; %bb.219:
	v_bfe_u32 v45, v30, 16, 7
	s_movk_i32 s10, 0x7f
	v_cmp_ne_u32_e32 vcc, s10, v45
	v_mov_b32_e32 v44, 0x7f80
	s_and_saveexec_b64 s[10:11], vcc
	s_cbranch_execz .LBB870_221
; %bb.220:
	v_and_b32_e32 v44, 7, v42
	v_ffbh_u32_e32 v54, v44
	v_min_u32_e32 v56, 32, v54
	v_subrev_u32_e32 v54, 28, v56
	v_lshlrev_b64 v[54:55], v54, v[42:43]
	v_lshrrev_b32_e32 v52, 3, v45
	v_sub_u32_e32 v42, 29, v56
	v_and_b32_e32 v54, 7, v54
	v_cmp_gt_u32_e32 vcc, 8, v45
	v_mov_b32_e32 v45, 24
	v_cndmask_b32_e32 v42, v52, v42, vcc
	v_cndmask_b32_e32 v44, v44, v54, vcc
	v_lshlrev_b32_sdwa v45, v45, v30 dst_sel:DWORD dst_unused:UNUSED_PAD src0_sel:DWORD src1_sel:WORD_1
	v_bfrev_b32_e32 v52, 60
	v_lshlrev_b32_e32 v44, 20, v44
	v_and_b32_e32 v45, 0x80000000, v45
	v_lshl_add_u32 v42, v42, 23, v52
	v_or3_b32 v42, v45, v42, v44
	v_lshrrev_b32_e32 v44, 16, v42
.LBB870_221:
	s_or_b64 exec, exec, s[10:11]
.LBB870_222:
	s_or_b64 exec, exec, s[8:9]
.LBB870_223:
	s_or_b64 exec, exec, s[2:3]
	s_mov_b32 s2, 0xffffff
	v_cmp_lt_u32_e32 vcc, s2, v30
	v_mov_b32_e32 v45, 0
	v_mov_b32_e32 v54, 0
	s_and_saveexec_b64 s[2:3], vcc
	s_cbranch_execz .LBB870_229
; %bb.224:
	v_lshrrev_b32_e32 v42, 24, v30
	s_movk_i32 s8, 0x80
	v_cmp_ne_u32_e32 vcc, s8, v42
	v_mov_b32_e32 v54, 0xffff8000
	s_and_saveexec_b64 s[8:9], vcc
	s_cbranch_execz .LBB870_228
; %bb.225:
	v_bfe_u32 v30, v30, 24, 7
	s_movk_i32 s10, 0x7f
	v_cmp_ne_u32_e32 vcc, s10, v30
	v_mov_b32_e32 v54, 0x7f80
	s_and_saveexec_b64 s[10:11], vcc
	s_cbranch_execz .LBB870_227
; %bb.226:
	v_and_b32_e32 v52, 7, v42
	v_ffbh_u32_e32 v54, v52
	v_min_u32_e32 v57, 32, v54
	v_subrev_u32_e32 v54, 28, v57
	v_lshlrev_b64 v[54:55], v54, v[42:43]
	v_lshrrev_b32_e32 v56, 3, v30
	v_sub_u32_e32 v55, 29, v57
	v_and_b32_e32 v54, 7, v54
	v_cmp_gt_u32_e32 vcc, 8, v30
	v_cndmask_b32_e32 v30, v56, v55, vcc
	v_cndmask_b32_e32 v52, v52, v54, vcc
	v_lshlrev_b32_e32 v42, 24, v42
	v_bfrev_b32_e32 v54, 60
	v_lshlrev_b32_e32 v52, 20, v52
	v_and_b32_e32 v42, 0x80000000, v42
	v_lshl_add_u32 v30, v30, 23, v54
	v_or3_b32 v30, v42, v30, v52
	v_lshrrev_b32_e32 v54, 16, v30
.LBB870_227:
	s_or_b64 exec, exec, s[10:11]
.LBB870_228:
	s_or_b64 exec, exec, s[8:9]
.LBB870_229:
	s_or_b64 exec, exec, s[2:3]
	v_cmp_ne_u16_sdwa s[8:9], v31, v45 src0_sel:BYTE_0 src1_sel:DWORD
	s_and_saveexec_b64 s[2:3], s[8:9]
	s_cbranch_execz .LBB870_235
; %bb.230:
	s_movk_i32 s8, 0x80
	v_cmp_ne_u16_sdwa s[10:11], v31, s8 src0_sel:BYTE_0 src1_sel:DWORD
	v_mov_b32_e32 v45, 0xffff8000
	s_and_saveexec_b64 s[8:9], s[10:11]
	s_cbranch_execz .LBB870_234
; %bb.231:
	s_movk_i32 s10, 0x7f
	v_and_b32_e32 v30, 0x7f, v31
	v_cmp_ne_u32_e32 vcc, s10, v30
	v_mov_b32_e32 v45, 0x7f80
	s_and_saveexec_b64 s[10:11], vcc
	s_cbranch_execz .LBB870_233
; %bb.232:
	v_and_b32_e32 v45, 7, v31
	v_ffbh_u32_e32 v55, v45
	v_min_u32_e32 v55, 32, v55
	v_mov_b32_e32 v42, v31
	v_subrev_u32_e32 v56, 28, v55
	v_lshlrev_b64 v[56:57], v56, v[42:43]
	v_lshrrev_b32_e32 v52, 3, v30
	v_sub_u32_e32 v42, 29, v55
	v_and_b32_e32 v55, 7, v56
	v_cmp_gt_u32_e32 vcc, 8, v30
	v_cndmask_b32_e32 v30, v52, v42, vcc
	v_cndmask_b32_e32 v42, v45, v55, vcc
	v_lshlrev_b32_e32 v45, 24, v31
	v_bfrev_b32_e32 v52, 60
	v_lshlrev_b32_e32 v42, 20, v42
	v_and_b32_e32 v45, 0x80000000, v45
	v_lshl_add_u32 v30, v30, 23, v52
	v_or3_b32 v30, v45, v30, v42
	v_lshrrev_b32_e32 v45, 16, v30
.LBB870_233:
	s_or_b64 exec, exec, s[10:11]
.LBB870_234:
	s_or_b64 exec, exec, s[8:9]
.LBB870_235:
	s_or_b64 exec, exec, s[2:3]
	v_lshrrev_b16_e32 v30, 8, v31
	v_cmp_ne_u16_e32 vcc, 0, v30
	v_mov_b32_e32 v55, 0
	v_mov_b32_e32 v42, 0
	s_and_saveexec_b64 s[2:3], vcc
	s_cbranch_execz .LBB870_241
; %bb.236:
	s_movk_i32 s8, 0x80
	v_cmp_ne_u16_e32 vcc, s8, v30
	v_mov_b32_e32 v42, 0xffff8000
	s_and_saveexec_b64 s[8:9], vcc
	s_cbranch_execz .LBB870_240
; %bb.237:
	s_movk_i32 s10, 0x7f
	v_and_b32_e32 v52, 0x7f, v30
	v_cmp_ne_u32_e32 vcc, s10, v52
	v_mov_b32_e32 v42, 0x7f80
	s_and_saveexec_b64 s[10:11], vcc
	s_cbranch_execz .LBB870_239
; %bb.238:
	v_and_b32_e32 v42, 7, v30
	v_ffbh_u32_e32 v56, v42
	v_min_u32_e32 v59, 32, v56
	v_subrev_u32_e32 v56, 28, v59
	v_lshlrev_b64 v[56:57], v56, v[30:31]
	v_lshrrev_b32_e32 v58, 3, v52
	v_sub_u32_e32 v30, 29, v59
	v_and_b32_e32 v56, 7, v56
	v_cmp_gt_u32_e32 vcc, 8, v52
	v_cndmask_b32_e32 v30, v58, v30, vcc
	v_cndmask_b32_e32 v42, v42, v56, vcc
	v_lshlrev_b32_e32 v52, 16, v31
	v_bfrev_b32_e32 v56, 60
	v_lshlrev_b32_e32 v42, 20, v42
	v_and_b32_e32 v52, 0x80000000, v52
	v_lshl_add_u32 v30, v30, 23, v56
	v_or3_b32 v30, v52, v30, v42
	v_lshrrev_b32_e32 v42, 16, v30
.LBB870_239:
	s_or_b64 exec, exec, s[10:11]
.LBB870_240:
	s_or_b64 exec, exec, s[8:9]
.LBB870_241:
	s_or_b64 exec, exec, s[2:3]
	s_movk_i32 s2, 0xff
	v_and_b32_sdwa v52, v31, s2 dst_sel:DWORD dst_unused:UNUSED_PAD src0_sel:WORD_1 src1_sel:DWORD
	v_lshrrev_b32_e32 v30, 16, v31
	v_cmp_ne_u16_e32 vcc, 0, v52
	s_and_saveexec_b64 s[2:3], vcc
	s_cbranch_execz .LBB870_247
; %bb.242:
	s_movk_i32 s8, 0x80
	v_cmp_ne_u16_e32 vcc, s8, v52
	v_mov_b32_e32 v55, 0xffff8000
	s_and_saveexec_b64 s[8:9], vcc
	s_cbranch_execz .LBB870_246
; %bb.243:
	v_bfe_u32 v52, v31, 16, 7
	s_movk_i32 s10, 0x7f
	v_cmp_ne_u32_e32 vcc, s10, v52
	v_mov_b32_e32 v55, 0x7f80
	s_and_saveexec_b64 s[10:11], vcc
	s_cbranch_execz .LBB870_245
; %bb.244:
	v_and_b32_e32 v55, 7, v30
	v_ffbh_u32_e32 v56, v55
	v_min_u32_e32 v59, 32, v56
	v_subrev_u32_e32 v56, 28, v59
	v_lshlrev_b64 v[56:57], v56, v[30:31]
	v_and_b32_e32 v56, 7, v56
	v_cmp_gt_u32_e32 vcc, 8, v52
	v_lshrrev_b32_e32 v58, 3, v52
	v_sub_u32_e32 v30, 29, v59
	v_cndmask_b32_e32 v52, v55, v56, vcc
	v_mov_b32_e32 v55, 24
	v_cndmask_b32_e32 v30, v58, v30, vcc
	v_lshlrev_b32_sdwa v55, v55, v31 dst_sel:DWORD dst_unused:UNUSED_PAD src0_sel:DWORD src1_sel:WORD_1
	v_bfrev_b32_e32 v56, 60
	v_lshlrev_b32_e32 v52, 20, v52
	v_and_b32_e32 v55, 0x80000000, v55
	v_lshl_add_u32 v30, v30, 23, v56
	v_or3_b32 v30, v55, v30, v52
	v_lshrrev_b32_e32 v55, 16, v30
.LBB870_245:
	s_or_b64 exec, exec, s[10:11]
.LBB870_246:
	s_or_b64 exec, exec, s[8:9]
.LBB870_247:
	s_or_b64 exec, exec, s[2:3]
	s_mov_b32 s2, 0xffffff
	v_cmp_lt_u32_e32 vcc, s2, v31
	v_mov_b32_e32 v52, 0
	v_mov_b32_e32 v56, 0
	s_and_saveexec_b64 s[2:3], vcc
	s_cbranch_execz .LBB870_253
; %bb.248:
	v_lshrrev_b32_e32 v30, 24, v31
	s_movk_i32 s8, 0x80
	v_cmp_ne_u32_e32 vcc, s8, v30
	v_mov_b32_e32 v56, 0xffff8000
	s_and_saveexec_b64 s[8:9], vcc
	s_cbranch_execz .LBB870_252
; %bb.249:
	v_bfe_u32 v31, v31, 24, 7
	s_movk_i32 s10, 0x7f
	v_cmp_ne_u32_e32 vcc, s10, v31
	v_mov_b32_e32 v56, 0x7f80
	s_and_saveexec_b64 s[10:11], vcc
	s_cbranch_execz .LBB870_251
; %bb.250:
	v_and_b32_e32 v58, 7, v30
	v_ffbh_u32_e32 v56, v58
	v_min_u32_e32 v60, 32, v56
	v_subrev_u32_e32 v56, 28, v60
	v_lshlrev_b64 v[56:57], v56, v[30:31]
	v_lshrrev_b32_e32 v59, 3, v31
	v_sub_u32_e32 v57, 29, v60
	v_and_b32_e32 v56, 7, v56
	v_cmp_gt_u32_e32 vcc, 8, v31
	v_cndmask_b32_e32 v31, v59, v57, vcc
	v_cndmask_b32_e32 v56, v58, v56, vcc
	v_lshlrev_b32_e32 v30, 24, v30
	v_bfrev_b32_e32 v57, 60
	v_lshlrev_b32_e32 v56, 20, v56
	v_and_b32_e32 v30, 0x80000000, v30
	v_lshl_add_u32 v31, v31, 23, v57
	v_or3_b32 v30, v30, v31, v56
	v_lshrrev_b32_e32 v56, 16, v30
.LBB870_251:
	s_or_b64 exec, exec, s[10:11]
.LBB870_252:
	s_or_b64 exec, exec, s[8:9]
.LBB870_253:
	s_or_b64 exec, exec, s[2:3]
	s_mov_b32 s2, 0x5040100
	v_perm_b32 v31, v54, v44, s2
	v_perm_b32 v30, v43, v53, s2
	v_cmp_ne_u16_sdwa s[8:9], v32, v52 src0_sel:BYTE_0 src1_sel:DWORD
	s_nop 0
	v_mfma_f32_16x16x16bf16_1k v[58:61], v[30:31], v[26:27], 0
	v_perm_b32 v31, v56, v55, s2
	v_perm_b32 v30, v42, v45, s2
	s_nop 1
	v_mfma_f32_16x16x16bf16_1k v[42:45], v[30:31], v[28:29], v[58:61]
	s_and_saveexec_b64 s[2:3], s[8:9]
	s_cbranch_execz .LBB870_259
; %bb.254:
	s_movk_i32 s8, 0x80
	v_cmp_ne_u16_sdwa s[10:11], v32, s8 src0_sel:BYTE_0 src1_sel:DWORD
	v_mov_b32_e32 v52, 0xffff8000
	s_and_saveexec_b64 s[8:9], s[10:11]
	s_cbranch_execz .LBB870_258
; %bb.255:
	s_movk_i32 s10, 0x7f
	v_and_b32_e32 v30, 0x7f, v32
	v_cmp_ne_u32_e32 vcc, s10, v30
	v_mov_b32_e32 v52, 0x7f80
	s_and_saveexec_b64 s[10:11], vcc
	s_cbranch_execz .LBB870_257
; %bb.256:
	v_and_b32_e32 v31, 7, v32
	v_ffbh_u32_e32 v52, v31
	v_min_u32_e32 v55, 32, v52
	v_subrev_u32_e32 v52, 28, v55
	v_lshlrev_b64 v[52:53], v52, v[32:33]
	v_lshrrev_b32_e32 v54, 3, v30
	v_sub_u32_e32 v53, 29, v55
	v_and_b32_e32 v52, 7, v52
	v_cmp_gt_u32_e32 vcc, 8, v30
	v_cndmask_b32_e32 v30, v54, v53, vcc
	v_cndmask_b32_e32 v31, v31, v52, vcc
	v_lshlrev_b32_e32 v52, 24, v32
	v_bfrev_b32_e32 v53, 60
	v_lshlrev_b32_e32 v31, 20, v31
	v_and_b32_e32 v52, 0x80000000, v52
	v_lshl_add_u32 v30, v30, 23, v53
	v_or3_b32 v30, v52, v30, v31
	v_lshrrev_b32_e32 v52, 16, v30
.LBB870_257:
	s_or_b64 exec, exec, s[10:11]
.LBB870_258:
	s_or_b64 exec, exec, s[8:9]
.LBB870_259:
	s_or_b64 exec, exec, s[2:3]
	v_lshrrev_b16_e32 v30, 8, v32
	v_cmp_ne_u16_e32 vcc, 0, v30
	v_mov_b32_e32 v54, 0
	v_mov_b32_e32 v31, 0
	s_and_saveexec_b64 s[2:3], vcc
	s_cbranch_execz .LBB870_265
; %bb.260:
	s_movk_i32 s8, 0x80
	v_cmp_ne_u16_e32 vcc, s8, v30
	v_mov_b32_e32 v31, 0xffff8000
	s_and_saveexec_b64 s[8:9], vcc
	s_cbranch_execz .LBB870_264
; %bb.261:
	s_movk_i32 s10, 0x7f
	v_and_b32_e32 v53, 0x7f, v30
	v_cmp_ne_u32_e32 vcc, s10, v53
	v_mov_b32_e32 v31, 0x7f80
	s_and_saveexec_b64 s[10:11], vcc
	s_cbranch_execz .LBB870_263
; %bb.262:
	v_and_b32_e32 v55, 7, v30
	v_ffbh_u32_e32 v31, v55
	v_min_u32_e32 v57, 32, v31
	v_subrev_u32_e32 v31, 28, v57
	v_lshlrev_b64 v[30:31], v31, v[30:31]
	v_lshrrev_b32_e32 v56, 3, v53
	v_sub_u32_e32 v31, 29, v57
	v_and_b32_e32 v30, 7, v30
	v_cmp_gt_u32_e32 vcc, 8, v53
	v_cndmask_b32_e32 v31, v56, v31, vcc
	v_cndmask_b32_e32 v30, v55, v30, vcc
	v_lshlrev_b32_e32 v53, 16, v32
	v_bfrev_b32_e32 v55, 60
	v_lshlrev_b32_e32 v30, 20, v30
	v_and_b32_e32 v53, 0x80000000, v53
	v_lshl_add_u32 v31, v31, 23, v55
	v_or3_b32 v30, v53, v31, v30
	v_lshrrev_b32_e32 v31, 16, v30
.LBB870_263:
	s_or_b64 exec, exec, s[10:11]
.LBB870_264:
	s_or_b64 exec, exec, s[8:9]
.LBB870_265:
	s_or_b64 exec, exec, s[2:3]
	s_movk_i32 s2, 0xff
	v_and_b32_sdwa v53, v32, s2 dst_sel:DWORD dst_unused:UNUSED_PAD src0_sel:WORD_1 src1_sel:DWORD
	v_lshrrev_b32_e32 v30, 16, v32
	v_cmp_ne_u16_e32 vcc, 0, v53
	s_and_saveexec_b64 s[2:3], vcc
	s_cbranch_execz .LBB870_271
; %bb.266:
	s_movk_i32 s8, 0x80
	v_cmp_ne_u16_e32 vcc, s8, v53
	v_mov_b32_e32 v54, 0xffff8000
	s_and_saveexec_b64 s[8:9], vcc
	s_cbranch_execz .LBB870_270
; %bb.267:
	v_bfe_u32 v53, v32, 16, 7
	s_movk_i32 s10, 0x7f
	v_cmp_ne_u32_e32 vcc, s10, v53
	v_mov_b32_e32 v54, 0x7f80
	s_and_saveexec_b64 s[10:11], vcc
	s_cbranch_execz .LBB870_269
; %bb.268:
	v_and_b32_e32 v56, 7, v30
	v_ffbh_u32_e32 v54, v56
	v_min_u32_e32 v58, 32, v54
	v_subrev_u32_e32 v54, 28, v58
	v_lshlrev_b64 v[54:55], v54, v[30:31]
	v_and_b32_e32 v54, 7, v54
	v_cmp_gt_u32_e32 vcc, 8, v53
	v_lshrrev_b32_e32 v57, 3, v53
	v_sub_u32_e32 v30, 29, v58
	v_cndmask_b32_e32 v53, v56, v54, vcc
	v_mov_b32_e32 v54, 24
	v_cndmask_b32_e32 v30, v57, v30, vcc
	v_lshlrev_b32_sdwa v54, v54, v32 dst_sel:DWORD dst_unused:UNUSED_PAD src0_sel:DWORD src1_sel:WORD_1
	v_bfrev_b32_e32 v55, 60
	v_lshlrev_b32_e32 v53, 20, v53
	v_and_b32_e32 v54, 0x80000000, v54
	v_lshl_add_u32 v30, v30, 23, v55
	v_or3_b32 v30, v54, v30, v53
	v_lshrrev_b32_e32 v54, 16, v30
.LBB870_269:
	s_or_b64 exec, exec, s[10:11]
.LBB870_270:
	s_or_b64 exec, exec, s[8:9]
.LBB870_271:
	s_or_b64 exec, exec, s[2:3]
	s_mov_b32 s2, 0xffffff
	v_cmp_lt_u32_e32 vcc, s2, v32
	v_mov_b32_e32 v55, 0
	v_mov_b32_e32 v56, 0
	s_and_saveexec_b64 s[2:3], vcc
	s_cbranch_execz .LBB870_277
; %bb.272:
	v_lshrrev_b32_e32 v30, 24, v32
	s_movk_i32 s8, 0x80
	v_cmp_ne_u32_e32 vcc, s8, v30
	v_mov_b32_e32 v56, 0xffff8000
	s_and_saveexec_b64 s[8:9], vcc
	s_cbranch_execz .LBB870_276
; %bb.273:
	v_bfe_u32 v32, v32, 24, 7
	s_movk_i32 s10, 0x7f
	v_cmp_ne_u32_e32 vcc, s10, v32
	v_mov_b32_e32 v56, 0x7f80
	s_and_saveexec_b64 s[10:11], vcc
	s_cbranch_execz .LBB870_275
; %bb.274:
	v_and_b32_e32 v53, 7, v30
	v_ffbh_u32_e32 v56, v53
	v_min_u32_e32 v59, 32, v56
	v_subrev_u32_e32 v56, 28, v59
	v_lshlrev_b64 v[56:57], v56, v[30:31]
	v_lshrrev_b32_e32 v58, 3, v32
	v_sub_u32_e32 v57, 29, v59
	v_and_b32_e32 v56, 7, v56
	v_cmp_gt_u32_e32 vcc, 8, v32
	v_cndmask_b32_e32 v32, v58, v57, vcc
	v_cndmask_b32_e32 v53, v53, v56, vcc
	v_lshlrev_b32_e32 v30, 24, v30
	v_bfrev_b32_e32 v56, 60
	v_lshlrev_b32_e32 v53, 20, v53
	v_and_b32_e32 v30, 0x80000000, v30
	v_lshl_add_u32 v32, v32, 23, v56
	v_or3_b32 v30, v30, v32, v53
	v_lshrrev_b32_e32 v56, 16, v30
.LBB870_275:
	s_or_b64 exec, exec, s[10:11]
.LBB870_276:
	s_or_b64 exec, exec, s[8:9]
.LBB870_277:
	s_or_b64 exec, exec, s[2:3]
	v_cmp_ne_u16_sdwa s[8:9], v33, v55 src0_sel:BYTE_0 src1_sel:DWORD
	s_and_saveexec_b64 s[2:3], s[8:9]
	s_cbranch_execz .LBB870_283
; %bb.278:
	s_movk_i32 s8, 0x80
	v_cmp_ne_u16_sdwa s[10:11], v33, s8 src0_sel:BYTE_0 src1_sel:DWORD
	v_mov_b32_e32 v55, 0xffff8000
	s_and_saveexec_b64 s[8:9], s[10:11]
	s_cbranch_execz .LBB870_282
; %bb.279:
	s_movk_i32 s10, 0x7f
	v_and_b32_e32 v30, 0x7f, v33
	v_cmp_ne_u32_e32 vcc, s10, v30
	v_mov_b32_e32 v55, 0x7f80
	s_and_saveexec_b64 s[10:11], vcc
	s_cbranch_execz .LBB870_281
; %bb.280:
	v_and_b32_e32 v53, 7, v33
	v_ffbh_u32_e32 v57, v53
	v_min_u32_e32 v57, 32, v57
	v_mov_b32_e32 v32, v33
	v_subrev_u32_e32 v58, 28, v57
	v_lshlrev_b64 v[58:59], v58, v[32:33]
	v_lshrrev_b32_e32 v55, 3, v30
	v_sub_u32_e32 v32, 29, v57
	v_and_b32_e32 v57, 7, v58
	v_cmp_gt_u32_e32 vcc, 8, v30
	v_cndmask_b32_e32 v30, v55, v32, vcc
	v_cndmask_b32_e32 v32, v53, v57, vcc
	v_lshlrev_b32_e32 v53, 24, v33
	v_bfrev_b32_e32 v55, 60
	v_lshlrev_b32_e32 v32, 20, v32
	v_and_b32_e32 v53, 0x80000000, v53
	v_lshl_add_u32 v30, v30, 23, v55
	v_or3_b32 v30, v53, v30, v32
	v_lshrrev_b32_e32 v55, 16, v30
.LBB870_281:
	s_or_b64 exec, exec, s[10:11]
.LBB870_282:
	s_or_b64 exec, exec, s[8:9]
.LBB870_283:
	s_or_b64 exec, exec, s[2:3]
	v_lshrrev_b16_e32 v30, 8, v33
	v_cmp_ne_u16_e32 vcc, 0, v30
	v_mov_b32_e32 v57, 0
	v_mov_b32_e32 v32, 0
	s_and_saveexec_b64 s[2:3], vcc
	s_cbranch_execz .LBB870_289
; %bb.284:
	s_movk_i32 s8, 0x80
	v_cmp_ne_u16_e32 vcc, s8, v30
	v_mov_b32_e32 v32, 0xffff8000
	s_and_saveexec_b64 s[8:9], vcc
	s_cbranch_execz .LBB870_288
; %bb.285:
	s_movk_i32 s10, 0x7f
	v_and_b32_e32 v53, 0x7f, v30
	v_cmp_ne_u32_e32 vcc, s10, v53
	v_mov_b32_e32 v32, 0x7f80
	s_and_saveexec_b64 s[10:11], vcc
	s_cbranch_execz .LBB870_287
; %bb.286:
	v_and_b32_e32 v32, 7, v30
	v_ffbh_u32_e32 v58, v32
	v_min_u32_e32 v61, 32, v58
	v_subrev_u32_e32 v58, 28, v61
	v_lshlrev_b64 v[58:59], v58, v[30:31]
	v_lshrrev_b32_e32 v60, 3, v53
	v_sub_u32_e32 v30, 29, v61
	v_and_b32_e32 v58, 7, v58
	v_cmp_gt_u32_e32 vcc, 8, v53
	v_cndmask_b32_e32 v30, v60, v30, vcc
	v_cndmask_b32_e32 v32, v32, v58, vcc
	v_lshlrev_b32_e32 v53, 16, v33
	v_bfrev_b32_e32 v58, 60
	v_lshlrev_b32_e32 v32, 20, v32
	v_and_b32_e32 v53, 0x80000000, v53
	v_lshl_add_u32 v30, v30, 23, v58
	v_or3_b32 v30, v53, v30, v32
	v_lshrrev_b32_e32 v32, 16, v30
.LBB870_287:
	s_or_b64 exec, exec, s[10:11]
.LBB870_288:
	s_or_b64 exec, exec, s[8:9]
.LBB870_289:
	s_or_b64 exec, exec, s[2:3]
	s_movk_i32 s2, 0xff
	v_and_b32_sdwa v53, v33, s2 dst_sel:DWORD dst_unused:UNUSED_PAD src0_sel:WORD_1 src1_sel:DWORD
	v_lshrrev_b32_e32 v30, 16, v33
	v_cmp_ne_u16_e32 vcc, 0, v53
	s_and_saveexec_b64 s[2:3], vcc
	s_cbranch_execz .LBB870_295
; %bb.290:
	s_movk_i32 s8, 0x80
	v_cmp_ne_u16_e32 vcc, s8, v53
	v_mov_b32_e32 v57, 0xffff8000
	s_and_saveexec_b64 s[8:9], vcc
	s_cbranch_execz .LBB870_294
; %bb.291:
	v_bfe_u32 v53, v33, 16, 7
	s_movk_i32 s10, 0x7f
	v_cmp_ne_u32_e32 vcc, s10, v53
	v_mov_b32_e32 v57, 0x7f80
	s_and_saveexec_b64 s[10:11], vcc
	s_cbranch_execz .LBB870_293
; %bb.292:
	v_and_b32_e32 v57, 7, v30
	v_ffbh_u32_e32 v58, v57
	v_min_u32_e32 v61, 32, v58
	v_subrev_u32_e32 v58, 28, v61
	v_lshlrev_b64 v[58:59], v58, v[30:31]
	v_and_b32_e32 v58, 7, v58
	v_cmp_gt_u32_e32 vcc, 8, v53
	v_lshrrev_b32_e32 v60, 3, v53
	v_sub_u32_e32 v30, 29, v61
	v_cndmask_b32_e32 v53, v57, v58, vcc
	v_mov_b32_e32 v57, 24
	v_cndmask_b32_e32 v30, v60, v30, vcc
	v_lshlrev_b32_sdwa v57, v57, v33 dst_sel:DWORD dst_unused:UNUSED_PAD src0_sel:DWORD src1_sel:WORD_1
	v_bfrev_b32_e32 v58, 60
	v_lshlrev_b32_e32 v53, 20, v53
	v_and_b32_e32 v57, 0x80000000, v57
	v_lshl_add_u32 v30, v30, 23, v58
	v_or3_b32 v30, v57, v30, v53
	v_lshrrev_b32_e32 v57, 16, v30
.LBB870_293:
	s_or_b64 exec, exec, s[10:11]
.LBB870_294:
	s_or_b64 exec, exec, s[8:9]
.LBB870_295:
	s_or_b64 exec, exec, s[2:3]
	s_mov_b32 s2, 0xffffff
	v_cmp_lt_u32_e32 vcc, s2, v33
	v_mov_b32_e32 v53, 0
	v_mov_b32_e32 v58, 0
	s_and_saveexec_b64 s[2:3], vcc
	s_cbranch_execz .LBB870_301
; %bb.296:
	v_lshrrev_b32_e32 v30, 24, v33
	s_movk_i32 s8, 0x80
	v_cmp_ne_u32_e32 vcc, s8, v30
	v_mov_b32_e32 v58, 0xffff8000
	s_and_saveexec_b64 s[8:9], vcc
	s_cbranch_execz .LBB870_300
; %bb.297:
	v_bfe_u32 v33, v33, 24, 7
	s_movk_i32 s10, 0x7f
	v_cmp_ne_u32_e32 vcc, s10, v33
	v_mov_b32_e32 v58, 0x7f80
	s_and_saveexec_b64 s[10:11], vcc
	s_cbranch_execz .LBB870_299
; %bb.298:
	v_and_b32_e32 v60, 7, v30
	v_ffbh_u32_e32 v58, v60
	v_min_u32_e32 v62, 32, v58
	v_subrev_u32_e32 v58, 28, v62
	v_lshlrev_b64 v[58:59], v58, v[30:31]
	v_lshrrev_b32_e32 v61, 3, v33
	v_sub_u32_e32 v59, 29, v62
	v_and_b32_e32 v58, 7, v58
	v_cmp_gt_u32_e32 vcc, 8, v33
	v_cndmask_b32_e32 v33, v61, v59, vcc
	v_cndmask_b32_e32 v58, v60, v58, vcc
	v_lshlrev_b32_e32 v30, 24, v30
	v_bfrev_b32_e32 v59, 60
	v_lshlrev_b32_e32 v58, 20, v58
	v_and_b32_e32 v30, 0x80000000, v30
	v_lshl_add_u32 v33, v33, 23, v59
	v_or3_b32 v30, v30, v33, v58
	v_lshrrev_b32_e32 v58, 16, v30
.LBB870_299:
	s_or_b64 exec, exec, s[10:11]
.LBB870_300:
	s_or_b64 exec, exec, s[8:9]
.LBB870_301:
	s_or_b64 exec, exec, s[2:3]
	s_mov_b32 s2, 0x5040100
	v_perm_b32 v61, v56, v54, s2
	v_perm_b32 v60, v31, v52, s2
	;; [unrolled: 1-line block ×4, first 2 shown]
	v_cmp_ne_u16_sdwa s[8:9], v22, v53 src0_sel:BYTE_0 src1_sel:DWORD
	v_mfma_f32_16x16x16bf16_1k v[42:45], v[60:61], v[18:19], v[42:45]
	v_mfma_f32_16x16x16bf16_1k v[30:33], v[30:31], v[20:21], v[42:45]
	s_and_saveexec_b64 s[2:3], s[8:9]
	s_cbranch_execz .LBB870_307
; %bb.302:
	s_movk_i32 s8, 0x80
	v_cmp_ne_u16_sdwa s[10:11], v22, s8 src0_sel:BYTE_0 src1_sel:DWORD
	v_mov_b32_e32 v53, 0xffff8000
	s_and_saveexec_b64 s[8:9], s[10:11]
	s_cbranch_execz .LBB870_306
; %bb.303:
	s_movk_i32 s10, 0x7f
	s_nop 1
	v_and_b32_e32 v42, 0x7f, v22
	v_cmp_ne_u32_e32 vcc, s10, v42
	v_mov_b32_e32 v53, 0x7f80
	s_and_saveexec_b64 s[10:11], vcc
	s_cbranch_execz .LBB870_305
; %bb.304:
	v_and_b32_e32 v43, 7, v22
	v_ffbh_u32_e32 v44, v43
	v_min_u32_e32 v53, 32, v44
	v_subrev_u32_e32 v44, 28, v53
	v_lshlrev_b64 v[44:45], v44, v[22:23]
	v_lshrrev_b32_e32 v52, 3, v42
	v_sub_u32_e32 v45, 29, v53
	v_and_b32_e32 v44, 7, v44
	v_cmp_gt_u32_e32 vcc, 8, v42
	v_cndmask_b32_e32 v42, v52, v45, vcc
	v_cndmask_b32_e32 v43, v43, v44, vcc
	v_lshlrev_b32_e32 v44, 24, v22
	v_bfrev_b32_e32 v45, 60
	v_lshlrev_b32_e32 v43, 20, v43
	v_and_b32_e32 v44, 0x80000000, v44
	v_lshl_add_u32 v42, v42, 23, v45
	v_or3_b32 v42, v44, v42, v43
	v_lshrrev_b32_e32 v53, 16, v42
.LBB870_305:
	s_or_b64 exec, exec, s[10:11]
.LBB870_306:
	s_or_b64 exec, exec, s[8:9]
.LBB870_307:
	s_or_b64 exec, exec, s[2:3]
	s_nop 6
	v_lshrrev_b16_e32 v42, 8, v22
	v_cmp_ne_u16_e32 vcc, 0, v42
	v_mov_b32_e32 v44, 0
	v_mov_b32_e32 v43, 0
	s_and_saveexec_b64 s[2:3], vcc
	s_cbranch_execz .LBB870_313
; %bb.308:
	s_movk_i32 s8, 0x80
	v_cmp_ne_u16_e32 vcc, s8, v42
	v_mov_b32_e32 v43, 0xffff8000
	s_and_saveexec_b64 s[8:9], vcc
	s_cbranch_execz .LBB870_312
; %bb.309:
	s_movk_i32 s10, 0x7f
	v_and_b32_e32 v45, 0x7f, v42
	v_cmp_ne_u32_e32 vcc, s10, v45
	v_mov_b32_e32 v43, 0x7f80
	s_and_saveexec_b64 s[10:11], vcc
	s_cbranch_execz .LBB870_311
; %bb.310:
	v_and_b32_e32 v52, 7, v42
	v_ffbh_u32_e32 v43, v52
	v_min_u32_e32 v55, 32, v43
	v_subrev_u32_e32 v43, 28, v55
	v_lshlrev_b64 v[42:43], v43, v[42:43]
	v_lshrrev_b32_e32 v54, 3, v45
	v_sub_u32_e32 v43, 29, v55
	v_and_b32_e32 v42, 7, v42
	v_cmp_gt_u32_e32 vcc, 8, v45
	v_cndmask_b32_e32 v43, v54, v43, vcc
	v_cndmask_b32_e32 v42, v52, v42, vcc
	v_lshlrev_b32_e32 v45, 16, v22
	v_bfrev_b32_e32 v52, 60
	v_lshlrev_b32_e32 v42, 20, v42
	v_and_b32_e32 v45, 0x80000000, v45
	v_lshl_add_u32 v43, v43, 23, v52
	v_or3_b32 v42, v45, v43, v42
	v_lshrrev_b32_e32 v43, 16, v42
.LBB870_311:
	s_or_b64 exec, exec, s[10:11]
.LBB870_312:
	s_or_b64 exec, exec, s[8:9]
.LBB870_313:
	s_or_b64 exec, exec, s[2:3]
	s_movk_i32 s2, 0xff
	v_and_b32_sdwa v45, v22, s2 dst_sel:DWORD dst_unused:UNUSED_PAD src0_sel:WORD_1 src1_sel:DWORD
	v_lshrrev_b32_e32 v42, 16, v22
	v_cmp_ne_u16_e32 vcc, 0, v45
	s_and_saveexec_b64 s[2:3], vcc
	s_cbranch_execz .LBB870_319
; %bb.314:
	s_movk_i32 s8, 0x80
	v_cmp_ne_u16_e32 vcc, s8, v45
	v_mov_b32_e32 v44, 0xffff8000
	s_and_saveexec_b64 s[8:9], vcc
	s_cbranch_execz .LBB870_318
; %bb.315:
	v_bfe_u32 v45, v22, 16, 7
	s_movk_i32 s10, 0x7f
	v_cmp_ne_u32_e32 vcc, s10, v45
	v_mov_b32_e32 v44, 0x7f80
	s_and_saveexec_b64 s[10:11], vcc
	s_cbranch_execz .LBB870_317
; %bb.316:
	v_and_b32_e32 v44, 7, v42
	v_ffbh_u32_e32 v54, v44
	v_min_u32_e32 v56, 32, v54
	v_subrev_u32_e32 v54, 28, v56
	v_lshlrev_b64 v[54:55], v54, v[42:43]
	v_lshrrev_b32_e32 v52, 3, v45
	v_sub_u32_e32 v42, 29, v56
	v_and_b32_e32 v54, 7, v54
	v_cmp_gt_u32_e32 vcc, 8, v45
	v_mov_b32_e32 v45, 24
	v_cndmask_b32_e32 v42, v52, v42, vcc
	v_cndmask_b32_e32 v44, v44, v54, vcc
	v_lshlrev_b32_sdwa v45, v45, v22 dst_sel:DWORD dst_unused:UNUSED_PAD src0_sel:DWORD src1_sel:WORD_1
	v_bfrev_b32_e32 v52, 60
	v_lshlrev_b32_e32 v44, 20, v44
	v_and_b32_e32 v45, 0x80000000, v45
	v_lshl_add_u32 v42, v42, 23, v52
	v_or3_b32 v42, v45, v42, v44
	v_lshrrev_b32_e32 v44, 16, v42
.LBB870_317:
	s_or_b64 exec, exec, s[10:11]
.LBB870_318:
	s_or_b64 exec, exec, s[8:9]
.LBB870_319:
	s_or_b64 exec, exec, s[2:3]
	s_mov_b32 s2, 0xffffff
	v_cmp_lt_u32_e32 vcc, s2, v22
	v_mov_b32_e32 v45, 0
	v_mov_b32_e32 v52, 0
	s_and_saveexec_b64 s[2:3], vcc
	s_cbranch_execz .LBB870_325
; %bb.320:
	v_lshrrev_b32_e32 v42, 24, v22
	s_movk_i32 s8, 0x80
	v_cmp_ne_u32_e32 vcc, s8, v42
	v_mov_b32_e32 v52, 0xffff8000
	s_and_saveexec_b64 s[8:9], vcc
	s_cbranch_execz .LBB870_324
; %bb.321:
	v_bfe_u32 v22, v22, 24, 7
	s_movk_i32 s10, 0x7f
	v_cmp_ne_u32_e32 vcc, s10, v22
	v_mov_b32_e32 v52, 0x7f80
	s_and_saveexec_b64 s[10:11], vcc
	s_cbranch_execz .LBB870_323
; %bb.322:
	v_and_b32_e32 v52, 7, v42
	v_ffbh_u32_e32 v54, v52
	v_min_u32_e32 v57, 32, v54
	v_subrev_u32_e32 v54, 28, v57
	v_lshlrev_b64 v[54:55], v54, v[42:43]
	v_lshrrev_b32_e32 v56, 3, v22
	v_sub_u32_e32 v55, 29, v57
	v_and_b32_e32 v54, 7, v54
	v_cmp_gt_u32_e32 vcc, 8, v22
	v_cndmask_b32_e32 v22, v56, v55, vcc
	v_cndmask_b32_e32 v52, v52, v54, vcc
	v_lshlrev_b32_e32 v42, 24, v42
	v_bfrev_b32_e32 v54, 60
	v_lshlrev_b32_e32 v52, 20, v52
	v_and_b32_e32 v42, 0x80000000, v42
	v_lshl_add_u32 v22, v22, 23, v54
	v_or3_b32 v22, v42, v22, v52
	v_lshrrev_b32_e32 v52, 16, v22
.LBB870_323:
	s_or_b64 exec, exec, s[10:11]
.LBB870_324:
	s_or_b64 exec, exec, s[8:9]
.LBB870_325:
	s_or_b64 exec, exec, s[2:3]
	v_cmp_ne_u16_sdwa s[8:9], v23, v45 src0_sel:BYTE_0 src1_sel:DWORD
	s_and_saveexec_b64 s[2:3], s[8:9]
	s_cbranch_execz .LBB870_331
; %bb.326:
	s_movk_i32 s8, 0x80
	v_cmp_ne_u16_sdwa s[10:11], v23, s8 src0_sel:BYTE_0 src1_sel:DWORD
	v_mov_b32_e32 v45, 0xffff8000
	s_and_saveexec_b64 s[8:9], s[10:11]
	s_cbranch_execz .LBB870_330
; %bb.327:
	s_movk_i32 s10, 0x7f
	v_and_b32_e32 v22, 0x7f, v23
	v_cmp_ne_u32_e32 vcc, s10, v22
	v_mov_b32_e32 v45, 0x7f80
	s_and_saveexec_b64 s[10:11], vcc
	s_cbranch_execz .LBB870_329
; %bb.328:
	v_and_b32_e32 v45, 7, v23
	v_ffbh_u32_e32 v54, v45
	v_min_u32_e32 v57, 32, v54
	v_mov_b32_e32 v42, v23
	v_subrev_u32_e32 v54, 28, v57
	v_lshlrev_b64 v[54:55], v54, v[42:43]
	v_lshrrev_b32_e32 v56, 3, v22
	v_sub_u32_e32 v42, 29, v57
	v_and_b32_e32 v54, 7, v54
	v_cmp_gt_u32_e32 vcc, 8, v22
	v_cndmask_b32_e32 v22, v56, v42, vcc
	v_cndmask_b32_e32 v42, v45, v54, vcc
	v_lshlrev_b32_e32 v45, 24, v23
	v_bfrev_b32_e32 v54, 60
	v_lshlrev_b32_e32 v42, 20, v42
	v_and_b32_e32 v45, 0x80000000, v45
	v_lshl_add_u32 v22, v22, 23, v54
	v_or3_b32 v22, v45, v22, v42
	v_lshrrev_b32_e32 v45, 16, v22
.LBB870_329:
	s_or_b64 exec, exec, s[10:11]
.LBB870_330:
	s_or_b64 exec, exec, s[8:9]
.LBB870_331:
	s_or_b64 exec, exec, s[2:3]
	v_lshrrev_b16_e32 v22, 8, v23
	v_cmp_ne_u16_e32 vcc, 0, v22
	v_mov_b32_e32 v55, 0
	v_mov_b32_e32 v54, 0
	s_and_saveexec_b64 s[2:3], vcc
	s_cbranch_execz .LBB870_337
; %bb.332:
	s_movk_i32 s8, 0x80
	v_cmp_ne_u16_e32 vcc, s8, v22
	v_mov_b32_e32 v54, 0xffff8000
	s_and_saveexec_b64 s[8:9], vcc
	s_cbranch_execz .LBB870_336
; %bb.333:
	s_movk_i32 s10, 0x7f
	v_and_b32_e32 v42, 0x7f, v22
	v_cmp_ne_u32_e32 vcc, s10, v42
	v_mov_b32_e32 v54, 0x7f80
	s_and_saveexec_b64 s[10:11], vcc
	s_cbranch_execz .LBB870_335
; %bb.334:
	v_and_b32_e32 v54, 7, v22
	v_ffbh_u32_e32 v56, v54
	v_min_u32_e32 v59, 32, v56
	v_subrev_u32_e32 v56, 28, v59
	v_lshlrev_b64 v[56:57], v56, v[22:23]
	v_lshrrev_b32_e32 v58, 3, v42
	v_sub_u32_e32 v22, 29, v59
	v_and_b32_e32 v56, 7, v56
	v_cmp_gt_u32_e32 vcc, 8, v42
	v_cndmask_b32_e32 v22, v58, v22, vcc
	v_cndmask_b32_e32 v42, v54, v56, vcc
	v_lshlrev_b32_e32 v54, 16, v23
	v_bfrev_b32_e32 v56, 60
	v_lshlrev_b32_e32 v42, 20, v42
	v_and_b32_e32 v54, 0x80000000, v54
	v_lshl_add_u32 v22, v22, 23, v56
	v_or3_b32 v22, v54, v22, v42
	v_lshrrev_b32_e32 v54, 16, v22
.LBB870_335:
	s_or_b64 exec, exec, s[10:11]
.LBB870_336:
	s_or_b64 exec, exec, s[8:9]
.LBB870_337:
	s_or_b64 exec, exec, s[2:3]
	s_movk_i32 s2, 0xff
	v_and_b32_sdwa v42, v23, s2 dst_sel:DWORD dst_unused:UNUSED_PAD src0_sel:WORD_1 src1_sel:DWORD
	v_lshrrev_b32_e32 v22, 16, v23
	v_cmp_ne_u16_e32 vcc, 0, v42
	s_and_saveexec_b64 s[2:3], vcc
	s_cbranch_execz .LBB870_343
; %bb.338:
	s_movk_i32 s8, 0x80
	v_cmp_ne_u16_e32 vcc, s8, v42
	v_mov_b32_e32 v55, 0xffff8000
	s_and_saveexec_b64 s[8:9], vcc
	s_cbranch_execz .LBB870_342
; %bb.339:
	v_bfe_u32 v42, v23, 16, 7
	s_movk_i32 s10, 0x7f
	v_cmp_ne_u32_e32 vcc, s10, v42
	v_mov_b32_e32 v55, 0x7f80
	s_and_saveexec_b64 s[10:11], vcc
	s_cbranch_execz .LBB870_341
; %bb.340:
	v_and_b32_e32 v55, 7, v22
	v_ffbh_u32_e32 v56, v55
	v_min_u32_e32 v59, 32, v56
	v_subrev_u32_e32 v56, 28, v59
	v_lshlrev_b64 v[56:57], v56, v[22:23]
	v_and_b32_e32 v56, 7, v56
	v_cmp_gt_u32_e32 vcc, 8, v42
	v_lshrrev_b32_e32 v58, 3, v42
	v_sub_u32_e32 v22, 29, v59
	v_cndmask_b32_e32 v42, v55, v56, vcc
	v_mov_b32_e32 v55, 24
	v_cndmask_b32_e32 v22, v58, v22, vcc
	v_lshlrev_b32_sdwa v55, v55, v23 dst_sel:DWORD dst_unused:UNUSED_PAD src0_sel:DWORD src1_sel:WORD_1
	v_bfrev_b32_e32 v56, 60
	v_lshlrev_b32_e32 v42, 20, v42
	v_and_b32_e32 v55, 0x80000000, v55
	v_lshl_add_u32 v22, v22, 23, v56
	v_or3_b32 v22, v55, v22, v42
	v_lshrrev_b32_e32 v55, 16, v22
.LBB870_341:
	s_or_b64 exec, exec, s[10:11]
.LBB870_342:
	s_or_b64 exec, exec, s[8:9]
.LBB870_343:
	s_or_b64 exec, exec, s[2:3]
	s_mov_b32 s2, 0xffffff
	v_cmp_lt_u32_e32 vcc, s2, v23
	v_mov_b32_e32 v42, 0
	v_mov_b32_e32 v56, 0
	s_and_saveexec_b64 s[2:3], vcc
	s_cbranch_execz .LBB870_349
; %bb.344:
	v_lshrrev_b32_e32 v22, 24, v23
	s_movk_i32 s8, 0x80
	v_cmp_ne_u32_e32 vcc, s8, v22
	v_mov_b32_e32 v56, 0xffff8000
	s_and_saveexec_b64 s[8:9], vcc
	s_cbranch_execz .LBB870_348
; %bb.345:
	v_bfe_u32 v23, v23, 24, 7
	s_movk_i32 s10, 0x7f
	v_cmp_ne_u32_e32 vcc, s10, v23
	v_mov_b32_e32 v56, 0x7f80
	s_and_saveexec_b64 s[10:11], vcc
	s_cbranch_execz .LBB870_347
; %bb.346:
	v_and_b32_e32 v58, 7, v22
	v_ffbh_u32_e32 v56, v58
	v_min_u32_e32 v60, 32, v56
	v_subrev_u32_e32 v56, 28, v60
	v_lshlrev_b64 v[56:57], v56, v[22:23]
	v_lshrrev_b32_e32 v59, 3, v23
	v_sub_u32_e32 v57, 29, v60
	v_and_b32_e32 v56, 7, v56
	v_cmp_gt_u32_e32 vcc, 8, v23
	v_cndmask_b32_e32 v23, v59, v57, vcc
	v_cndmask_b32_e32 v56, v58, v56, vcc
	v_lshlrev_b32_e32 v22, 24, v22
	v_bfrev_b32_e32 v57, 60
	v_lshlrev_b32_e32 v56, 20, v56
	v_and_b32_e32 v22, 0x80000000, v22
	v_lshl_add_u32 v23, v23, 23, v57
	v_or3_b32 v22, v22, v23, v56
	v_lshrrev_b32_e32 v56, 16, v22
.LBB870_347:
	s_or_b64 exec, exec, s[10:11]
.LBB870_348:
	s_or_b64 exec, exec, s[8:9]
.LBB870_349:
	s_or_b64 exec, exec, s[2:3]
	s_mov_b32 s2, 0x5040100
	v_perm_b32 v23, v52, v44, s2
	v_perm_b32 v22, v43, v53, s2
	v_cmp_ne_u16_sdwa s[8:9], v24, v42 src0_sel:BYTE_0 src1_sel:DWORD
	s_nop 0
	v_mfma_f32_16x16x16bf16_1k v[58:61], v[22:23], v[26:27], 0
	v_perm_b32 v23, v56, v55, s2
	v_perm_b32 v22, v54, v45, s2
	s_nop 1
	v_mfma_f32_16x16x16bf16_1k v[26:29], v[22:23], v[28:29], v[58:61]
	s_and_saveexec_b64 s[2:3], s[8:9]
	s_cbranch_execz .LBB870_355
; %bb.350:
	s_movk_i32 s8, 0x80
	v_cmp_ne_u16_sdwa s[10:11], v24, s8 src0_sel:BYTE_0 src1_sel:DWORD
	v_mov_b32_e32 v42, 0xffff8000
	s_and_saveexec_b64 s[8:9], s[10:11]
	s_cbranch_execz .LBB870_354
; %bb.351:
	s_movk_i32 s10, 0x7f
	v_and_b32_e32 v22, 0x7f, v24
	v_cmp_ne_u32_e32 vcc, s10, v22
	v_mov_b32_e32 v42, 0x7f80
	s_and_saveexec_b64 s[10:11], vcc
	s_cbranch_execz .LBB870_353
; %bb.352:
	v_and_b32_e32 v23, 7, v24
	v_ffbh_u32_e32 v42, v23
	v_min_u32_e32 v45, 32, v42
	v_subrev_u32_e32 v42, 28, v45
	v_lshlrev_b64 v[42:43], v42, v[24:25]
	v_lshrrev_b32_e32 v44, 3, v22
	v_sub_u32_e32 v43, 29, v45
	v_and_b32_e32 v42, 7, v42
	v_cmp_gt_u32_e32 vcc, 8, v22
	v_cndmask_b32_e32 v22, v44, v43, vcc
	v_cndmask_b32_e32 v23, v23, v42, vcc
	v_lshlrev_b32_e32 v42, 24, v24
	v_bfrev_b32_e32 v43, 60
	v_lshlrev_b32_e32 v23, 20, v23
	v_and_b32_e32 v42, 0x80000000, v42
	v_lshl_add_u32 v22, v22, 23, v43
	v_or3_b32 v22, v42, v22, v23
	v_lshrrev_b32_e32 v42, 16, v22
.LBB870_353:
	s_or_b64 exec, exec, s[10:11]
.LBB870_354:
	s_or_b64 exec, exec, s[8:9]
.LBB870_355:
	s_or_b64 exec, exec, s[2:3]
	v_lshrrev_b16_e32 v22, 8, v24
	v_cmp_ne_u16_e32 vcc, 0, v22
	v_mov_b32_e32 v43, 0
	v_mov_b32_e32 v23, 0
	s_and_saveexec_b64 s[2:3], vcc
	s_cbranch_execz .LBB870_361
; %bb.356:
	s_movk_i32 s8, 0x80
	v_cmp_ne_u16_e32 vcc, s8, v22
	v_mov_b32_e32 v23, 0xffff8000
	s_and_saveexec_b64 s[8:9], vcc
	s_cbranch_execz .LBB870_360
; %bb.357:
	s_movk_i32 s10, 0x7f
	v_and_b32_e32 v44, 0x7f, v22
	v_cmp_ne_u32_e32 vcc, s10, v44
	v_mov_b32_e32 v23, 0x7f80
	s_and_saveexec_b64 s[10:11], vcc
	s_cbranch_execz .LBB870_359
; %bb.358:
	v_and_b32_e32 v45, 7, v22
	v_ffbh_u32_e32 v23, v45
	v_min_u32_e32 v53, 32, v23
	v_subrev_u32_e32 v23, 28, v53
	v_lshlrev_b64 v[22:23], v23, v[22:23]
	v_lshrrev_b32_e32 v52, 3, v44
	v_sub_u32_e32 v23, 29, v53
	v_and_b32_e32 v22, 7, v22
	v_cmp_gt_u32_e32 vcc, 8, v44
	v_cndmask_b32_e32 v23, v52, v23, vcc
	v_cndmask_b32_e32 v22, v45, v22, vcc
	v_lshlrev_b32_e32 v44, 16, v24
	v_bfrev_b32_e32 v45, 60
	v_lshlrev_b32_e32 v22, 20, v22
	v_and_b32_e32 v44, 0x80000000, v44
	v_lshl_add_u32 v23, v23, 23, v45
	v_or3_b32 v22, v44, v23, v22
	v_lshrrev_b32_e32 v23, 16, v22
.LBB870_359:
	s_or_b64 exec, exec, s[10:11]
.LBB870_360:
	s_or_b64 exec, exec, s[8:9]
.LBB870_361:
	s_or_b64 exec, exec, s[2:3]
	s_movk_i32 s2, 0xff
	v_and_b32_sdwa v44, v24, s2 dst_sel:DWORD dst_unused:UNUSED_PAD src0_sel:WORD_1 src1_sel:DWORD
	v_lshrrev_b32_e32 v22, 16, v24
	v_cmp_ne_u16_e32 vcc, 0, v44
	s_and_saveexec_b64 s[2:3], vcc
	s_cbranch_execz .LBB870_367
; %bb.362:
	s_movk_i32 s8, 0x80
	v_cmp_ne_u16_e32 vcc, s8, v44
	v_mov_b32_e32 v43, 0xffff8000
	s_and_saveexec_b64 s[8:9], vcc
	s_cbranch_execz .LBB870_366
; %bb.363:
	v_bfe_u32 v44, v24, 16, 7
	s_movk_i32 s10, 0x7f
	v_cmp_ne_u32_e32 vcc, s10, v44
	v_mov_b32_e32 v43, 0x7f80
	s_and_saveexec_b64 s[10:11], vcc
	s_cbranch_execz .LBB870_365
; %bb.364:
	v_and_b32_e32 v43, 7, v22
	v_ffbh_u32_e32 v52, v43
	v_min_u32_e32 v54, 32, v52
	v_subrev_u32_e32 v52, 28, v54
	v_lshlrev_b64 v[52:53], v52, v[22:23]
	v_lshrrev_b32_e32 v45, 3, v44
	v_sub_u32_e32 v22, 29, v54
	v_and_b32_e32 v52, 7, v52
	v_cmp_gt_u32_e32 vcc, 8, v44
	v_mov_b32_e32 v44, 24
	v_cndmask_b32_e32 v22, v45, v22, vcc
	v_cndmask_b32_e32 v43, v43, v52, vcc
	v_lshlrev_b32_sdwa v44, v44, v24 dst_sel:DWORD dst_unused:UNUSED_PAD src0_sel:DWORD src1_sel:WORD_1
	v_bfrev_b32_e32 v45, 60
	v_lshlrev_b32_e32 v43, 20, v43
	v_and_b32_e32 v44, 0x80000000, v44
	v_lshl_add_u32 v22, v22, 23, v45
	v_or3_b32 v22, v44, v22, v43
	v_lshrrev_b32_e32 v43, 16, v22
.LBB870_365:
	s_or_b64 exec, exec, s[10:11]
.LBB870_366:
	s_or_b64 exec, exec, s[8:9]
.LBB870_367:
	s_or_b64 exec, exec, s[2:3]
	s_mov_b32 s2, 0xffffff
	v_cmp_lt_u32_e32 vcc, s2, v24
	v_mov_b32_e32 v45, 0
	v_mov_b32_e32 v52, 0
	s_and_saveexec_b64 s[2:3], vcc
	s_cbranch_execz .LBB870_373
; %bb.368:
	v_lshrrev_b32_e32 v22, 24, v24
	s_movk_i32 s8, 0x80
	v_cmp_ne_u32_e32 vcc, s8, v22
	v_mov_b32_e32 v52, 0xffff8000
	s_and_saveexec_b64 s[8:9], vcc
	s_cbranch_execz .LBB870_372
; %bb.369:
	v_bfe_u32 v24, v24, 24, 7
	s_movk_i32 s10, 0x7f
	v_cmp_ne_u32_e32 vcc, s10, v24
	v_mov_b32_e32 v52, 0x7f80
	s_and_saveexec_b64 s[10:11], vcc
	s_cbranch_execz .LBB870_371
; %bb.370:
	v_and_b32_e32 v44, 7, v22
	v_ffbh_u32_e32 v52, v44
	v_min_u32_e32 v55, 32, v52
	v_subrev_u32_e32 v52, 28, v55
	v_lshlrev_b64 v[52:53], v52, v[22:23]
	v_lshrrev_b32_e32 v54, 3, v24
	v_sub_u32_e32 v53, 29, v55
	v_and_b32_e32 v52, 7, v52
	v_cmp_gt_u32_e32 vcc, 8, v24
	v_cndmask_b32_e32 v24, v54, v53, vcc
	v_cndmask_b32_e32 v44, v44, v52, vcc
	v_lshlrev_b32_e32 v22, 24, v22
	v_bfrev_b32_e32 v52, 60
	v_lshlrev_b32_e32 v44, 20, v44
	v_and_b32_e32 v22, 0x80000000, v22
	v_lshl_add_u32 v24, v24, 23, v52
	v_or3_b32 v22, v22, v24, v44
	v_lshrrev_b32_e32 v52, 16, v22
.LBB870_371:
	s_or_b64 exec, exec, s[10:11]
.LBB870_372:
	s_or_b64 exec, exec, s[8:9]
.LBB870_373:
	s_or_b64 exec, exec, s[2:3]
	v_cmp_ne_u16_sdwa s[8:9], v25, v45 src0_sel:BYTE_0 src1_sel:DWORD
	s_and_saveexec_b64 s[2:3], s[8:9]
	s_cbranch_execz .LBB870_379
; %bb.374:
	s_movk_i32 s8, 0x80
	v_cmp_ne_u16_sdwa s[10:11], v25, s8 src0_sel:BYTE_0 src1_sel:DWORD
	v_mov_b32_e32 v45, 0xffff8000
	s_and_saveexec_b64 s[8:9], s[10:11]
	s_cbranch_execz .LBB870_378
; %bb.375:
	s_movk_i32 s10, 0x7f
	v_and_b32_e32 v22, 0x7f, v25
	v_cmp_ne_u32_e32 vcc, s10, v22
	v_mov_b32_e32 v45, 0x7f80
	s_and_saveexec_b64 s[10:11], vcc
	s_cbranch_execz .LBB870_377
; %bb.376:
	v_and_b32_e32 v53, 7, v25
	v_ffbh_u32_e32 v44, v53
	v_min_u32_e32 v55, 32, v44
	v_mov_b32_e32 v24, v25
	v_subrev_u32_e32 v44, 28, v55
	v_lshlrev_b64 v[44:45], v44, v[24:25]
	v_lshrrev_b32_e32 v54, 3, v22
	v_sub_u32_e32 v24, 29, v55
	v_and_b32_e32 v44, 7, v44
	v_cmp_gt_u32_e32 vcc, 8, v22
	v_cndmask_b32_e32 v22, v54, v24, vcc
	v_cndmask_b32_e32 v24, v53, v44, vcc
	v_lshlrev_b32_e32 v44, 24, v25
	v_bfrev_b32_e32 v45, 60
	v_lshlrev_b32_e32 v24, 20, v24
	v_and_b32_e32 v44, 0x80000000, v44
	v_lshl_add_u32 v22, v22, 23, v45
	v_or3_b32 v22, v44, v22, v24
	v_lshrrev_b32_e32 v45, 16, v22
.LBB870_377:
	s_or_b64 exec, exec, s[10:11]
.LBB870_378:
	s_or_b64 exec, exec, s[8:9]
.LBB870_379:
	s_or_b64 exec, exec, s[2:3]
	v_lshrrev_b16_e32 v22, 8, v25
	v_cmp_ne_u16_e32 vcc, 0, v22
	v_mov_b32_e32 v54, 0
	v_mov_b32_e32 v53, 0
	s_and_saveexec_b64 s[2:3], vcc
	s_cbranch_execz .LBB870_385
; %bb.380:
	s_movk_i32 s8, 0x80
	v_cmp_ne_u16_e32 vcc, s8, v22
	v_mov_b32_e32 v53, 0xffff8000
	s_and_saveexec_b64 s[8:9], vcc
	s_cbranch_execz .LBB870_384
; %bb.381:
	s_movk_i32 s10, 0x7f
	v_and_b32_e32 v24, 0x7f, v22
	v_cmp_ne_u32_e32 vcc, s10, v24
	v_mov_b32_e32 v53, 0x7f80
	s_and_saveexec_b64 s[10:11], vcc
	s_cbranch_execz .LBB870_383
; %bb.382:
	v_and_b32_e32 v44, 7, v22
	v_ffbh_u32_e32 v55, v44
	v_min_u32_e32 v55, 32, v55
	v_subrev_u32_e32 v56, 28, v55
	v_lshlrev_b64 v[56:57], v56, v[22:23]
	v_lshrrev_b32_e32 v53, 3, v24
	v_sub_u32_e32 v22, 29, v55
	v_and_b32_e32 v55, 7, v56
	v_cmp_gt_u32_e32 vcc, 8, v24
	v_cndmask_b32_e32 v22, v53, v22, vcc
	v_cndmask_b32_e32 v24, v44, v55, vcc
	v_lshlrev_b32_e32 v44, 16, v25
	v_bfrev_b32_e32 v53, 60
	v_lshlrev_b32_e32 v24, 20, v24
	v_and_b32_e32 v44, 0x80000000, v44
	v_lshl_add_u32 v22, v22, 23, v53
	v_or3_b32 v22, v44, v22, v24
	v_lshrrev_b32_e32 v53, 16, v22
.LBB870_383:
	s_or_b64 exec, exec, s[10:11]
.LBB870_384:
	s_or_b64 exec, exec, s[8:9]
.LBB870_385:
	s_or_b64 exec, exec, s[2:3]
	s_movk_i32 s2, 0xff
	v_and_b32_sdwa v24, v25, s2 dst_sel:DWORD dst_unused:UNUSED_PAD src0_sel:WORD_1 src1_sel:DWORD
	v_lshrrev_b32_e32 v22, 16, v25
	v_cmp_ne_u16_e32 vcc, 0, v24
	s_and_saveexec_b64 s[2:3], vcc
	s_cbranch_execz .LBB870_391
; %bb.386:
	s_movk_i32 s8, 0x80
	v_cmp_ne_u16_e32 vcc, s8, v24
	v_mov_b32_e32 v54, 0xffff8000
	s_and_saveexec_b64 s[8:9], vcc
	s_cbranch_execz .LBB870_390
; %bb.387:
	v_bfe_u32 v24, v25, 16, 7
	s_movk_i32 s10, 0x7f
	v_cmp_ne_u32_e32 vcc, s10, v24
	v_mov_b32_e32 v54, 0x7f80
	s_and_saveexec_b64 s[10:11], vcc
	s_cbranch_execz .LBB870_389
; %bb.388:
	v_and_b32_e32 v44, 7, v22
	v_ffbh_u32_e32 v54, v44
	v_min_u32_e32 v57, 32, v54
	v_subrev_u32_e32 v54, 28, v57
	v_lshlrev_b64 v[54:55], v54, v[22:23]
	v_and_b32_e32 v54, 7, v54
	v_cmp_gt_u32_e32 vcc, 8, v24
	v_lshrrev_b32_e32 v56, 3, v24
	v_sub_u32_e32 v22, 29, v57
	v_cndmask_b32_e32 v24, v44, v54, vcc
	v_mov_b32_e32 v44, 24
	v_cndmask_b32_e32 v22, v56, v22, vcc
	v_lshlrev_b32_sdwa v44, v44, v25 dst_sel:DWORD dst_unused:UNUSED_PAD src0_sel:DWORD src1_sel:WORD_1
	v_bfrev_b32_e32 v54, 60
	v_lshlrev_b32_e32 v24, 20, v24
	v_and_b32_e32 v44, 0x80000000, v44
	v_lshl_add_u32 v22, v22, 23, v54
	v_or3_b32 v22, v44, v22, v24
	v_lshrrev_b32_e32 v54, 16, v22
.LBB870_389:
	s_or_b64 exec, exec, s[10:11]
.LBB870_390:
	s_or_b64 exec, exec, s[8:9]
.LBB870_391:
	s_or_b64 exec, exec, s[2:3]
	s_mov_b32 s2, 0xffffff
	v_and_b32_e32 v44, 63, v0
	v_cmp_lt_u32_e32 vcc, s2, v25
	v_mov_b32_e32 v55, 0
	s_and_saveexec_b64 s[2:3], vcc
	s_cbranch_execz .LBB870_397
; %bb.392:
	v_lshrrev_b32_e32 v22, 24, v25
	s_movk_i32 s8, 0x80
	v_cmp_ne_u32_e32 vcc, s8, v22
	v_mov_b32_e32 v55, 0xffff8000
	s_and_saveexec_b64 s[8:9], vcc
	s_cbranch_execz .LBB870_396
; %bb.393:
	v_bfe_u32 v24, v25, 24, 7
	s_movk_i32 s10, 0x7f
	v_cmp_ne_u32_e32 vcc, s10, v24
	v_mov_b32_e32 v55, 0x7f80
	s_and_saveexec_b64 s[10:11], vcc
	s_cbranch_execz .LBB870_395
; %bb.394:
	v_and_b32_e32 v25, 7, v22
	v_ffbh_u32_e32 v56, v25
	v_min_u32_e32 v58, 32, v56
	v_subrev_u32_e32 v56, 28, v58
	v_lshlrev_b64 v[56:57], v56, v[22:23]
	v_lshrrev_b32_e32 v55, 3, v24
	v_sub_u32_e32 v57, 29, v58
	v_and_b32_e32 v56, 7, v56
	v_cmp_gt_u32_e32 vcc, 8, v24
	v_cndmask_b32_e32 v24, v55, v57, vcc
	v_cndmask_b32_e32 v25, v25, v56, vcc
	v_lshlrev_b32_e32 v22, 24, v22
	v_bfrev_b32_e32 v55, 60
	v_lshlrev_b32_e32 v25, 20, v25
	v_and_b32_e32 v22, 0x80000000, v22
	v_lshl_add_u32 v24, v24, 23, v55
	v_or3_b32 v22, v22, v24, v25
	v_lshrrev_b32_e32 v55, 16, v22
.LBB870_395:
	s_or_b64 exec, exec, s[10:11]
.LBB870_396:
	s_or_b64 exec, exec, s[8:9]
.LBB870_397:
	s_or_b64 exec, exec, s[2:3]
	s_mov_b32 s3, 0x5040100
	v_perm_b32 v43, v52, v43, s3
	v_perm_b32 v42, v23, v42, s3
	s_load_dword s2, s[4:5], 0x1c
	s_mov_b32 s46, 0xff7fffff
	s_waitcnt lgkmcnt(0)
	v_mfma_f32_16x16x16bf16_1k v[26:29], v[42:43], v[18:19], v[26:29]
	v_perm_b32 v19, v55, v54, s3
	v_perm_b32 v18, v53, v45, s3
	v_mov_b32_e32 v22, s2
	v_mul_f32_e32 v52, s12, v22
	v_pk_mul_f32 v[22:23], v[52:53], v[32:33] op_sel_hi:[0,1]
	v_pk_mul_f32 v[32:33], v[52:53], v[38:39] op_sel_hi:[0,1]
	v_and_b32_e32 v38, 0xc0, v0
	v_mfma_f32_16x16x16bf16_1k v[26:29], v[18:19], v[20:21], v[26:29]
	v_add_u32_e32 v38, s18, v38
	v_lshl_or_b32 v38, v1, 2, v38
	v_or_b32_e32 v39, 1, v38
	v_pk_mul_f32 v[24:25], v[52:53], v[30:31] op_sel_hi:[0,1]
	v_pk_mul_f32 v[30:31], v[52:53], v[40:41] op_sel_hi:[0,1]
	v_subrev_u32_e32 v40, s33, v39
	v_pk_mul_f32 v[34:35], v[52:53], v[34:35] op_sel_hi:[0,1]
	s_nop 3
	v_pk_mul_f32 v[20:21], v[52:53], v[26:27] op_sel_hi:[0,1]
	v_add_u32_e32 v27, 1, v40
	v_pk_mul_f32 v[18:19], v[52:53], v[28:29] op_sel_hi:[0,1]
	v_cvt_f32_i32_e32 v27, v27
	v_add_u32_e32 v29, 3, v40
	v_cvt_f32_i32_e32 v29, v29
	v_cvt_f32_i32_e32 v26, v40
	v_pk_mul_f32 v[36:37], v[52:53], v[36:37] op_sel_hi:[0,1]
	v_fmac_f32_e32 v35, v51, v27
	v_add_u32_e32 v27, 16, v40
	v_fmac_f32_e32 v37, v51, v29
	v_cvt_f32_i32_e32 v27, v27
	v_add_u32_e32 v29, 17, v40
	v_fma_f32 v26, v51, v26, v34
	v_cvt_f32_i32_e32 v29, v29
	v_add_u32_e32 v34, 18, v40
	v_cvt_f32_i32_e32 v34, v34
	v_fma_f32 v41, v51, v27, v32
	v_add_u32_e32 v27, 32, v40
	v_fmac_f32_e32 v33, v51, v29
	v_cvt_f32_i32_e32 v27, v27
	v_add_u32_e32 v29, 33, v40
	v_add_u32_e32 v32, 34, v40
	v_fma_f32 v30, v51, v34, v30
	v_cvt_f32_i32_e32 v29, v29
	v_cvt_f32_i32_e32 v32, v32
	v_add_u32_e32 v34, 35, v40
	v_cvt_f32_i32_e32 v34, v34
	v_fma_f32 v24, v51, v27, v24
	v_add_u32_e32 v27, 48, v40
	v_fmac_f32_e32 v25, v51, v29
	v_fma_f32 v22, v51, v32, v22
	v_cvt_f32_i32_e32 v27, v27
	v_add_u32_e32 v29, 49, v40
	v_add_u32_e32 v32, 50, v40
	v_fmac_f32_e32 v23, v51, v34
	v_cvt_f32_i32_e32 v29, v29
	v_cvt_f32_i32_e32 v32, v32
	v_add_u32_e32 v34, 51, v40
	v_add_u32_e32 v28, 2, v40
	v_cvt_f32_i32_e32 v34, v34
	v_cvt_f32_i32_e32 v28, v28
	v_fma_f32 v20, v51, v27, v20
	v_mov_b32_e32 v27, 0xff7fffff
	v_cmp_gt_i32_e64 s[26:27], s33, v38
	v_cmp_gt_i32_e64 s[28:29], s33, v39
	v_fmac_f32_e32 v21, v51, v29
	v_fma_f32 v18, v51, v32, v18
	v_cndmask_b32_e64 v29, v27, v26, s[26:27]
	v_cndmask_b32_e64 v32, v27, v35, s[28:29]
	v_fmac_f32_e32 v19, v51, v34
	v_max3_f32 v29, v29, s46, v32
	v_or_b32_e32 v32, 2, v38
	v_or_b32_e32 v34, 3, v38
	v_fma_f32 v28, v51, v28, v36
	v_cmp_gt_i32_e64 s[30:31], s33, v32
	v_cmp_gt_i32_e64 s[34:35], s33, v34
	v_add_u32_e32 v36, 19, v40
	v_cndmask_b32_e64 v32, v27, v28, s[30:31]
	v_cndmask_b32_e64 v34, v27, v37, s[34:35]
	v_cvt_f32_i32_e32 v36, v36
	v_max3_f32 v29, v29, v32, v34
	v_or_b32_e32 v32, 16, v38
	v_or_b32_e32 v34, 17, v38
	v_cmp_gt_i32_e64 s[36:37], s33, v32
	v_cmp_gt_i32_e64 s[38:39], s33, v34
	v_cndmask_b32_e64 v32, v27, v41, s[36:37]
	v_cndmask_b32_e64 v34, v27, v33, s[38:39]
	v_max3_f32 v29, v29, v32, v34
	v_or_b32_e32 v32, 18, v38
	v_or_b32_e32 v34, 19, v38
	v_fmac_f32_e32 v31, v51, v36
	v_cmp_gt_i32_e64 s[20:21], s33, v32
	v_cmp_gt_i32_e64 s[22:23], s33, v34
	v_cndmask_b32_e64 v32, v27, v30, s[20:21]
	v_cndmask_b32_e64 v34, v27, v31, s[22:23]
	v_max3_f32 v29, v29, v32, v34
	v_or_b32_e32 v32, 32, v38
	v_or_b32_e32 v34, 33, v38
	v_cmp_gt_i32_e64 s[16:17], s33, v32
	v_cmp_gt_i32_e64 s[18:19], s33, v34
	v_cndmask_b32_e64 v32, v27, v24, s[16:17]
	v_cndmask_b32_e64 v34, v27, v25, s[18:19]
	v_max3_f32 v29, v29, v32, v34
	v_or_b32_e32 v32, 34, v38
	v_or_b32_e32 v34, 35, v38
	;; [unrolled: 7-line block ×4, first 2 shown]
	v_cmp_gt_i32_e32 vcc, s33, v32
	v_cmp_gt_i32_e64 s[2:3], s33, v34
	v_cndmask_b32_e32 v32, v27, v18, vcc
	v_cndmask_b32_e64 v27, v27, v19, s[2:3]
	v_max3_f32 v27, v29, v32, v27
	v_mbcnt_lo_u32_b32 v29, -1, 0
	v_mbcnt_hi_u32_b32 v29, -1, v29
	v_and_b32_e32 v32, 64, v29
	v_add_u32_e32 v32, 64, v32
	v_xor_b32_e32 v34, 32, v29
	v_cmp_lt_i32_e64 s[40:41], v34, v32
	v_cndmask_b32_e64 v34, v29, v34, s[40:41]
	v_lshlrev_b32_e32 v36, 2, v34
	ds_bpermute_b32 v34, v36, v27
	s_barrier
	s_waitcnt lgkmcnt(0)
	v_max_f32_e32 v34, v34, v34
	v_max_f32_e32 v27, v27, v34
	v_xor_b32_e32 v34, 16, v29
	v_cmp_lt_i32_e64 s[40:41], v34, v32
	v_cndmask_b32_e64 v29, v29, v34, s[40:41]
	v_lshlrev_b32_e32 v38, 2, v29
	ds_bpermute_b32 v29, v38, v27
	s_waitcnt lgkmcnt(0)
	v_max_f32_e32 v29, v29, v29
	v_max_f32_e32 v32, v27, v29
	v_sub_f32_e32 v26, v26, v32
	v_mul_f32_e32 v26, 0x3fb8aa3b, v26
	v_sub_f32_e32 v27, v35, v32
	v_exp_f32_e32 v26, v26
	v_mul_f32_e32 v27, 0x3fb8aa3b, v27
	v_sub_f32_e32 v28, v28, v32
	v_exp_f32_e32 v27, v27
	v_mul_f32_e32 v28, 0x3fb8aa3b, v28
	v_exp_f32_e32 v28, v28
	v_cndmask_b32_e64 v26, 0, v26, s[26:27]
	v_sub_f32_e32 v34, v37, v32
	v_add_f32_e32 v29, 0, v26
	v_cndmask_b32_e64 v27, 0, v27, s[28:29]
	v_mul_f32_e32 v34, 0x3fb8aa3b, v34
	v_exp_f32_e32 v35, v34
	v_add_f32_e32 v29, v29, v27
	v_cndmask_b32_e64 v34, 0, v28, s[30:31]
	v_add_f32_e32 v28, v29, v34
	v_sub_f32_e32 v29, v41, v32
	v_mul_f32_e32 v29, 0x3fb8aa3b, v29
	v_sub_f32_e32 v33, v33, v32
	v_exp_f32_e32 v29, v29
	v_mul_f32_e32 v33, 0x3fb8aa3b, v33
	v_sub_f32_e32 v30, v30, v32
	v_exp_f32_e32 v33, v33
	;; [unrolled: 3-line block ×3, first 2 shown]
	v_mul_f32_e32 v31, 0x3fb8aa3b, v31
	v_sub_f32_e32 v24, v24, v32
	v_cndmask_b32_e64 v35, 0, v35, s[34:35]
	v_exp_f32_e32 v31, v31
	v_mul_f32_e32 v24, 0x3fb8aa3b, v24
	v_sub_f32_e32 v25, v25, v32
	v_add_f32_e32 v37, v28, v35
	v_cndmask_b32_e64 v28, 0, v29, s[36:37]
	v_exp_f32_e32 v24, v24
	v_mul_f32_e32 v25, 0x3fb8aa3b, v25
	v_sub_f32_e32 v22, v22, v32
	v_add_f32_e32 v37, v37, v28
	;; [unrolled: 5-line block ×7, first 2 shown]
	v_cndmask_b32_e64 v22, 0, v22, s[12:13]
	v_exp_f32_e32 v18, v18
	v_mul_f32_e32 v19, 0x3fb8aa3b, v19
	v_add_f32_e32 v33, v33, v22
	v_cndmask_b32_e64 v23, 0, v23, s[14:15]
	v_exp_f32_e32 v19, v19
	v_add_f32_e32 v33, v33, v23
	v_cndmask_b32_e64 v20, 0, v20, s[8:9]
	v_add_f32_e32 v33, v33, v20
	v_cndmask_b32_e64 v21, 0, v21, s[10:11]
	v_add_f32_e32 v33, v33, v21
	v_cndmask_b32_e32 v18, 0, v18, vcc
	v_add_f32_e32 v33, v33, v18
	v_cndmask_b32_e64 v19, 0, v19, s[2:3]
	v_add_f32_e32 v33, v33, v19
	ds_bpermute_b32 v36, v36, v33
	v_cmp_gt_u32_e64 s[2:3], 16, v44
	s_waitcnt lgkmcnt(0)
	v_add_f32_e32 v36, v33, v36
	ds_bpermute_b32 v37, v38, v36
	v_lshlrev_b32_e32 v33, 2, v49
	s_and_saveexec_b64 s[8:9], s[2:3]
	s_cbranch_execz .LBB870_399
; %bb.398:
	s_waitcnt lgkmcnt(0)
	v_add_f32_e32 v36, v36, v37
	v_lshl_or_b32 v37, v50, 6, v33
	ds_write2st64_b32 v37, v32, v36 offset1:1
.LBB870_399:
	s_or_b64 exec, exec, s[8:9]
	s_waitcnt lgkmcnt(0)
	s_barrier
	ds_read2_b32 v[36:37], v33 offset1:16
	ds_read2_b32 v[38:39], v33 offset0:32 offset1:48
	ds_read2_b32 v[40:41], v33 offset0:64 offset1:80
	s_mul_i32 s14, s45, 9
	s_waitcnt lgkmcnt(2)
	v_max3_f32 v32, v36, s46, v37
	s_waitcnt lgkmcnt(1)
	v_max3_f32 v32, v32, v38, v39
	v_sub_f32_e32 v36, v36, v32
	v_mul_f32_e32 v36, 0x3fb8aa3b, v36
	v_exp_f32_e32 v42, v36
	v_sub_f32_e32 v36, v37, v32
	v_mul_f32_e32 v36, 0x3fb8aa3b, v36
	v_exp_f32_e32 v43, v36
	v_sub_f32_e32 v36, v38, v32
	v_mul_f32_e32 v36, 0x3fb8aa3b, v36
	v_exp_f32_e32 v38, v36
	ds_read2_b32 v[36:37], v33 offset0:96 offset1:112
	v_sub_f32_e32 v33, v39, v32
	v_mul_f32_e32 v33, 0x3fb8aa3b, v33
	v_exp_f32_e32 v39, v33
	s_waitcnt lgkmcnt(1)
	v_fma_f32 v33, v42, v40, 0
	v_fmac_f32_e32 v33, v43, v41
	s_waitcnt lgkmcnt(0)
	v_fmac_f32_e32 v33, v38, v36
	v_fmac_f32_e32 v33, v39, v37
	v_add_f32_e32 v36, 0x358637bd, v33
	v_div_scale_f32 v37, s[8:9], v36, v36, 1.0
	v_rcp_f32_e32 v40, v37
	s_movk_i32 s8, 0x7fff
	s_mov_b32 s9, 0x7060302
	v_fma_f32 v41, -v37, v40, 1.0
	v_fmac_f32_e32 v40, v41, v40
	v_div_scale_f32 v41, vcc, 1.0, v36, 1.0
	v_mul_f32_e32 v44, v41, v40
	v_fma_f32 v45, -v37, v44, v41
	v_fmac_f32_e32 v44, v45, v40
	v_fma_f32 v37, -v37, v44, v41
	v_div_fmas_f32 v37, v37, v40, v44
	v_cmp_eq_u32_e32 vcc, 1, v50
	v_div_fixup_f32 v36, v37, v36, 1.0
	v_cndmask_b32_e32 v37, v42, v43, vcc
	v_cmp_eq_u32_e32 vcc, 2, v50
	v_cndmask_b32_e32 v37, v37, v38, vcc
	v_cmp_eq_u32_e32 vcc, 3, v50
	v_cndmask_b32_e32 v37, v37, v39, vcc
	v_mul_f32_e32 v36, v37, v36
	v_pk_mul_f32 v[26:27], v[36:37], v[26:27] op_sel_hi:[0,1]
	v_pk_mul_f32 v[34:35], v[36:37], v[34:35] op_sel_hi:[0,1]
	v_bfe_u32 v37, v27, 16, 1
	v_bfe_u32 v38, v26, 16, 1
	v_add3_u32 v26, v26, v38, s8
	v_add3_u32 v27, v27, v37, s8
	v_perm_b32 v38, v27, v26, s9
	v_bfe_u32 v26, v35, 16, 1
	v_bfe_u32 v27, v34, 16, 1
	v_add3_u32 v27, v34, v27, s8
	v_add3_u32 v26, v35, v26, s8
	v_perm_b32 v39, v26, v27, s9
	v_lshlrev_b32_e32 v26, 3, v1
	v_lshlrev_b32_e32 v27, 11, v50
	v_pk_mul_f32 v[28:29], v[36:37], v[28:29] op_sel_hi:[0,1]
	v_or3_b32 v26, v27, v48, v26
	v_bfe_u32 v27, v29, 16, 1
	v_bfe_u32 v34, v28, 16, 1
	v_pk_mul_f32 v[30:31], v[36:37], v[30:31] op_sel_hi:[0,1]
	v_add3_u32 v28, v28, v34, s8
	v_add3_u32 v27, v29, v27, s8
	v_perm_b32 v28, v27, v28, s9
	v_bfe_u32 v27, v31, 16, 1
	v_bfe_u32 v29, v30, 16, 1
	v_add3_u32 v29, v30, v29, s8
	v_add3_u32 v27, v31, v27, s8
	v_perm_b32 v29, v27, v29, s9
	v_pk_mul_f32 v[24:25], v[36:37], v[24:25] op_sel_hi:[0,1]
	s_barrier
	ds_write2st64_b64 v26, v[38:39], v[28:29] offset1:1
	v_bfe_u32 v27, v25, 16, 1
	v_bfe_u32 v28, v24, 16, 1
	v_pk_mul_f32 v[22:23], v[36:37], v[22:23] op_sel_hi:[0,1]
	v_add3_u32 v24, v24, v28, s8
	v_add3_u32 v25, v25, v27, s8
	v_perm_b32 v24, v25, v24, s9
	v_bfe_u32 v25, v23, 16, 1
	v_bfe_u32 v27, v22, 16, 1
	v_add3_u32 v22, v22, v27, s8
	v_add3_u32 v23, v23, v25, s8
	v_pk_mul_f32 v[20:21], v[36:37], v[20:21] op_sel_hi:[0,1]
	v_perm_b32 v25, v23, v22, s9
	v_bfe_u32 v22, v21, 16, 1
	v_bfe_u32 v23, v20, 16, 1
	v_pk_mul_f32 v[18:19], v[36:37], v[18:19] op_sel_hi:[0,1]
	v_add3_u32 v20, v20, v23, s8
	v_add3_u32 v21, v21, v22, s8
	v_perm_b32 v20, v21, v20, s9
	v_bfe_u32 v21, v19, 16, 1
	v_bfe_u32 v22, v18, 16, 1
	v_add3_u32 v18, v18, v22, s8
	v_add3_u32 v19, v19, v21, s8
	v_perm_b32 v21, v19, v18, s9
	v_cmp_gt_u32_e32 vcc, 9, v0
	ds_write2st64_b64 v26, v[24:25], v[20:21] offset0:2 offset1:3
	s_and_saveexec_b64 s[8:9], vcc
	s_cbranch_execz .LBB870_401
; %bb.400:
	v_add_co_u32_e32 v20, vcc, s25, v49
	v_addc_co_u32_e64 v21, s[10:11], 0, 0, vcc
	v_mov_b32_e32 v18, s14
	v_mov_b32_e32 v19, 0
	v_mad_u64_u32 v[20:21], s[10:11], s6, v18, v[20:21]
	v_mov_b32_e32 v18, s24
	s_load_dwordx4 s[16:19], s[4:5], 0x58
	s_mul_i32 s7, s7, s14
	v_mad_u64_u32 v[18:19], s[10:11], v20, s44, v[18:19]
	v_add_u32_e32 v21, s7, v21
	v_mov_b32_e32 v20, v19
	v_mad_u64_u32 v[20:21], s[10:11], v21, s44, v[20:21]
	v_mov_b32_e32 v19, v20
	v_lshlrev_b64 v[18:19], 2, v[18:19]
	s_waitcnt lgkmcnt(0)
	v_mov_b32_e32 v21, s19
	v_add_co_u32_e32 v20, vcc, s18, v18
	v_addc_co_u32_e32 v21, vcc, v21, v19, vcc
	global_store_dword v[20:21], v32, off
	v_mov_b32_e32 v20, s17
	v_add_co_u32_e32 v18, vcc, s16, v18
	v_addc_co_u32_e32 v19, vcc, v20, v19, vcc
	global_store_dword v[18:19], v33, off
.LBB870_401:
	s_or_b64 exec, exec, s[8:9]
	v_mov_b32_e32 v19, 0
	s_waitcnt vmcnt(3)
	v_cmp_ne_u16_sdwa s[10:11], v14, v19 src0_sel:BYTE_0 src1_sel:DWORD
	v_mov_b32_e32 v20, 0
	s_waitcnt lgkmcnt(0)
	s_barrier
	s_and_saveexec_b64 s[8:9], s[10:11]
	s_cbranch_execz .LBB870_407
; %bb.402:
	s_movk_i32 s7, 0x80
	v_cmp_ne_u16_sdwa s[12:13], v14, s7 src0_sel:BYTE_0 src1_sel:DWORD
	v_mov_b32_e32 v20, 0xffff8000
	s_and_saveexec_b64 s[10:11], s[12:13]
	s_cbranch_execz .LBB870_406
; %bb.403:
	s_movk_i32 s7, 0x7f
	v_and_b32_e32 v18, 0x7f, v14
	v_cmp_ne_u32_e32 vcc, s7, v18
	v_mov_b32_e32 v20, 0x7f80
	s_and_saveexec_b64 s[12:13], vcc
	s_cbranch_execz .LBB870_405
; %bb.404:
	v_and_b32_e32 v22, 7, v14
	v_ffbh_u32_e32 v20, v22
	v_min_u32_e32 v24, 32, v20
	v_subrev_u32_e32 v20, 28, v24
	v_lshlrev_b64 v[20:21], v20, v[14:15]
	v_lshrrev_b32_e32 v23, 3, v18
	v_sub_u32_e32 v21, 29, v24
	v_and_b32_e32 v20, 7, v20
	v_cmp_gt_u32_e32 vcc, 8, v18
	v_cndmask_b32_e32 v18, v23, v21, vcc
	v_cndmask_b32_e32 v20, v22, v20, vcc
	v_lshlrev_b32_e32 v21, 24, v14
	v_bfrev_b32_e32 v22, 60
	v_lshlrev_b32_e32 v20, 20, v20
	v_and_b32_e32 v21, 0x80000000, v21
	v_lshl_add_u32 v18, v18, 23, v22
	v_or3_b32 v18, v21, v18, v20
	v_lshrrev_b32_e32 v20, 16, v18
.LBB870_405:
	s_or_b64 exec, exec, s[12:13]
.LBB870_406:
	s_or_b64 exec, exec, s[10:11]
.LBB870_407:
	s_or_b64 exec, exec, s[8:9]
	v_lshrrev_b16_e32 v18, 8, v14
	v_cmp_ne_u16_e32 vcc, 0, v18
	s_and_saveexec_b64 s[8:9], vcc
	s_cbranch_execz .LBB870_413
; %bb.408:
	s_movk_i32 s7, 0x80
	v_cmp_ne_u16_e32 vcc, s7, v18
	v_mov_b32_e32 v19, 0xffff8000
	s_and_saveexec_b64 s[10:11], vcc
	s_cbranch_execz .LBB870_412
; %bb.409:
	s_movk_i32 s7, 0x7f
	v_and_b32_e32 v21, 0x7f, v18
	v_cmp_ne_u32_e32 vcc, s7, v21
	v_mov_b32_e32 v19, 0x7f80
	s_and_saveexec_b64 s[12:13], vcc
	s_cbranch_execz .LBB870_411
; %bb.410:
	v_and_b32_e32 v22, 7, v18
	v_ffbh_u32_e32 v19, v22
	v_min_u32_e32 v24, 32, v19
	v_subrev_u32_e32 v19, 28, v24
	v_lshlrev_b64 v[18:19], v19, v[18:19]
	v_lshrrev_b32_e32 v23, 3, v21
	v_sub_u32_e32 v19, 29, v24
	v_and_b32_e32 v18, 7, v18
	v_cmp_gt_u32_e32 vcc, 8, v21
	v_cndmask_b32_e32 v19, v23, v19, vcc
	v_cndmask_b32_e32 v18, v22, v18, vcc
	v_lshlrev_b32_e32 v21, 16, v14
	v_bfrev_b32_e32 v22, 60
	v_lshlrev_b32_e32 v18, 20, v18
	v_and_b32_e32 v21, 0x80000000, v21
	v_lshl_add_u32 v19, v19, 23, v22
	v_or3_b32 v18, v21, v19, v18
	v_lshrrev_b32_e32 v19, 16, v18
.LBB870_411:
	s_or_b64 exec, exec, s[12:13]
.LBB870_412:
	s_or_b64 exec, exec, s[10:11]
.LBB870_413:
	s_or_b64 exec, exec, s[8:9]
	s_movk_i32 s7, 0xff
	v_and_b32_sdwa v23, v14, s7 dst_sel:DWORD dst_unused:UNUSED_PAD src0_sel:WORD_1 src1_sel:DWORD
	v_lshrrev_b32_e32 v18, 16, v14
	v_cmp_ne_u16_e32 vcc, 0, v23
	v_mov_b32_e32 v21, 0
	v_mov_b32_e32 v22, 0
	s_and_saveexec_b64 s[8:9], vcc
	s_cbranch_execz .LBB870_419
; %bb.414:
	s_movk_i32 s7, 0x80
	v_cmp_ne_u16_e32 vcc, s7, v23
	v_mov_b32_e32 v22, 0xffff8000
	s_and_saveexec_b64 s[10:11], vcc
	s_cbranch_execz .LBB870_418
; %bb.415:
	v_bfe_u32 v23, v14, 16, 7
	s_movk_i32 s7, 0x7f
	v_cmp_ne_u32_e32 vcc, s7, v23
	v_mov_b32_e32 v22, 0x7f80
	s_and_saveexec_b64 s[12:13], vcc
	s_cbranch_execz .LBB870_417
; %bb.416:
	v_and_b32_e32 v22, 7, v18
	v_ffbh_u32_e32 v24, v22
	v_min_u32_e32 v28, 32, v24
	v_subrev_u32_e32 v24, 28, v28
	v_lshlrev_b64 v[24:25], v24, v[18:19]
	v_lshrrev_b32_e32 v27, 3, v23
	v_sub_u32_e32 v18, 29, v28
	v_and_b32_e32 v24, 7, v24
	v_cmp_gt_u32_e32 vcc, 8, v23
	v_mov_b32_e32 v23, 24
	v_cndmask_b32_e32 v18, v27, v18, vcc
	v_cndmask_b32_e32 v22, v22, v24, vcc
	v_lshlrev_b32_sdwa v23, v23, v14 dst_sel:DWORD dst_unused:UNUSED_PAD src0_sel:DWORD src1_sel:WORD_1
	v_bfrev_b32_e32 v24, 60
	v_lshlrev_b32_e32 v22, 20, v22
	v_and_b32_e32 v23, 0x80000000, v23
	v_lshl_add_u32 v18, v18, 23, v24
	v_or3_b32 v18, v23, v18, v22
	v_lshrrev_b32_e32 v22, 16, v18
.LBB870_417:
	s_or_b64 exec, exec, s[12:13]
.LBB870_418:
	s_or_b64 exec, exec, s[10:11]
.LBB870_419:
	s_or_b64 exec, exec, s[8:9]
	s_mov_b32 s7, 0xffffff
	v_cmp_lt_u32_e32 vcc, s7, v14
	s_and_saveexec_b64 s[8:9], vcc
	s_cbranch_execz .LBB870_425
; %bb.420:
	v_lshrrev_b32_e32 v18, 24, v14
	s_movk_i32 s7, 0x80
	v_cmp_ne_u32_e32 vcc, s7, v18
	v_mov_b32_e32 v21, 0xffff8000
	s_and_saveexec_b64 s[10:11], vcc
	s_cbranch_execz .LBB870_424
; %bb.421:
	v_bfe_u32 v14, v14, 24, 7
	s_movk_i32 s7, 0x7f
	v_cmp_ne_u32_e32 vcc, s7, v14
	v_mov_b32_e32 v21, 0x7f80
	s_and_saveexec_b64 s[12:13], vcc
	s_cbranch_execz .LBB870_423
; %bb.422:
	v_and_b32_e32 v21, 7, v18
	v_ffbh_u32_e32 v24, v21
	v_min_u32_e32 v27, 32, v24
	v_subrev_u32_e32 v24, 28, v27
	v_lshlrev_b64 v[24:25], v24, v[18:19]
	v_lshrrev_b32_e32 v23, 3, v14
	v_sub_u32_e32 v25, 29, v27
	v_and_b32_e32 v24, 7, v24
	v_cmp_gt_u32_e32 vcc, 8, v14
	v_cndmask_b32_e32 v14, v23, v25, vcc
	v_cndmask_b32_e32 v21, v21, v24, vcc
	v_lshlrev_b32_e32 v18, 24, v18
	v_bfrev_b32_e32 v23, 60
	v_lshlrev_b32_e32 v21, 20, v21
	v_and_b32_e32 v18, 0x80000000, v18
	v_lshl_add_u32 v14, v14, 23, v23
	v_or3_b32 v14, v18, v14, v21
	v_lshrrev_b32_e32 v21, 16, v14
.LBB870_423:
	s_or_b64 exec, exec, s[12:13]
.LBB870_424:
	s_or_b64 exec, exec, s[10:11]
.LBB870_425:
	s_or_b64 exec, exec, s[8:9]
	v_mov_b32_e32 v18, 0
	v_cmp_ne_u16_sdwa s[10:11], v15, v18 src0_sel:BYTE_0 src1_sel:DWORD
	v_mov_b32_e32 v23, 0
	s_and_saveexec_b64 s[8:9], s[10:11]
	s_cbranch_execz .LBB870_431
; %bb.426:
	s_movk_i32 s7, 0x80
	v_cmp_ne_u16_sdwa s[12:13], v15, s7 src0_sel:BYTE_0 src1_sel:DWORD
	v_mov_b32_e32 v23, 0xffff8000
	s_and_saveexec_b64 s[10:11], s[12:13]
	s_cbranch_execz .LBB870_430
; %bb.427:
	s_movk_i32 s7, 0x7f
	v_and_b32_e32 v14, 0x7f, v15
	v_cmp_ne_u32_e32 vcc, s7, v14
	v_mov_b32_e32 v23, 0x7f80
	s_and_saveexec_b64 s[12:13], vcc
	s_cbranch_execz .LBB870_429
; %bb.428:
	v_and_b32_e32 v23, 7, v15
	v_ffbh_u32_e32 v25, v23
	v_min_u32_e32 v28, 32, v25
	v_mov_b32_e32 v24, v15
	v_subrev_u32_e32 v25, 28, v28
	v_lshlrev_b64 v[24:25], v25, v[24:25]
	v_lshrrev_b32_e32 v27, 3, v14
	v_sub_u32_e32 v25, 29, v28
	v_and_b32_e32 v24, 7, v24
	v_cmp_gt_u32_e32 vcc, 8, v14
	v_cndmask_b32_e32 v14, v27, v25, vcc
	v_cndmask_b32_e32 v23, v23, v24, vcc
	v_lshlrev_b32_e32 v24, 24, v15
	v_bfrev_b32_e32 v25, 60
	v_lshlrev_b32_e32 v23, 20, v23
	v_and_b32_e32 v24, 0x80000000, v24
	v_lshl_add_u32 v14, v14, 23, v25
	v_or3_b32 v14, v24, v14, v23
	v_lshrrev_b32_e32 v23, 16, v14
.LBB870_429:
	s_or_b64 exec, exec, s[12:13]
.LBB870_430:
	s_or_b64 exec, exec, s[10:11]
.LBB870_431:
	s_or_b64 exec, exec, s[8:9]
	v_lshrrev_b16_e32 v14, 8, v15
	v_cmp_ne_u16_e32 vcc, 0, v14
	s_and_saveexec_b64 s[8:9], vcc
	s_cbranch_execz .LBB870_437
; %bb.432:
	s_movk_i32 s7, 0x80
	v_cmp_ne_u16_e32 vcc, s7, v14
	v_mov_b32_e32 v18, 0xffff8000
	s_and_saveexec_b64 s[10:11], vcc
	s_cbranch_execz .LBB870_436
; %bb.433:
	s_movk_i32 s7, 0x7f
	v_and_b32_e32 v24, 0x7f, v14
	v_cmp_ne_u32_e32 vcc, s7, v24
	v_mov_b32_e32 v18, 0x7f80
	s_and_saveexec_b64 s[12:13], vcc
	s_cbranch_execz .LBB870_435
; %bb.434:
	v_and_b32_e32 v18, 7, v14
	v_ffbh_u32_e32 v27, v18
	v_min_u32_e32 v27, 32, v27
	v_subrev_u32_e32 v28, 28, v27
	v_lshlrev_b64 v[28:29], v28, v[14:15]
	v_lshrrev_b32_e32 v25, 3, v24
	v_sub_u32_e32 v14, 29, v27
	v_and_b32_e32 v27, 7, v28
	v_cmp_gt_u32_e32 vcc, 8, v24
	v_cndmask_b32_e32 v14, v25, v14, vcc
	v_cndmask_b32_e32 v18, v18, v27, vcc
	v_lshlrev_b32_e32 v24, 16, v15
	v_bfrev_b32_e32 v25, 60
	v_lshlrev_b32_e32 v18, 20, v18
	v_and_b32_e32 v24, 0x80000000, v24
	v_lshl_add_u32 v14, v14, 23, v25
	v_or3_b32 v14, v24, v14, v18
	v_lshrrev_b32_e32 v18, 16, v14
.LBB870_435:
	s_or_b64 exec, exec, s[12:13]
.LBB870_436:
	s_or_b64 exec, exec, s[10:11]
.LBB870_437:
	s_or_b64 exec, exec, s[8:9]
	s_movk_i32 s7, 0xff
	v_and_b32_sdwa v27, v15, s7 dst_sel:DWORD dst_unused:UNUSED_PAD src0_sel:WORD_1 src1_sel:DWORD
	v_lshrrev_b32_e32 v14, 16, v15
	v_cmp_ne_u16_e32 vcc, 0, v27
	v_mov_b32_e32 v24, 0
	v_mov_b32_e32 v25, 0
	s_and_saveexec_b64 s[8:9], vcc
	s_cbranch_execz .LBB870_443
; %bb.438:
	s_movk_i32 s7, 0x80
	v_cmp_ne_u16_e32 vcc, s7, v27
	v_mov_b32_e32 v25, 0xffff8000
	s_and_saveexec_b64 s[10:11], vcc
	s_cbranch_execz .LBB870_442
; %bb.439:
	v_bfe_u32 v27, v15, 16, 7
	s_movk_i32 s7, 0x7f
	v_cmp_ne_u32_e32 vcc, s7, v27
	v_mov_b32_e32 v25, 0x7f80
	s_and_saveexec_b64 s[12:13], vcc
	s_cbranch_execz .LBB870_441
; %bb.440:
	v_and_b32_e32 v25, 7, v14
	v_ffbh_u32_e32 v28, v25
	v_min_u32_e32 v31, 32, v28
	v_subrev_u32_e32 v28, 28, v31
	v_lshlrev_b64 v[28:29], v28, v[14:15]
	v_lshrrev_b32_e32 v30, 3, v27
	v_sub_u32_e32 v14, 29, v31
	v_and_b32_e32 v28, 7, v28
	v_cmp_gt_u32_e32 vcc, 8, v27
	v_mov_b32_e32 v27, 24
	v_cndmask_b32_e32 v14, v30, v14, vcc
	v_cndmask_b32_e32 v25, v25, v28, vcc
	v_lshlrev_b32_sdwa v27, v27, v15 dst_sel:DWORD dst_unused:UNUSED_PAD src0_sel:DWORD src1_sel:WORD_1
	v_bfrev_b32_e32 v28, 60
	v_lshlrev_b32_e32 v25, 20, v25
	v_and_b32_e32 v27, 0x80000000, v27
	v_lshl_add_u32 v14, v14, 23, v28
	v_or3_b32 v14, v27, v14, v25
	v_lshrrev_b32_e32 v25, 16, v14
.LBB870_441:
	s_or_b64 exec, exec, s[12:13]
.LBB870_442:
	s_or_b64 exec, exec, s[10:11]
.LBB870_443:
	s_or_b64 exec, exec, s[8:9]
	s_mov_b32 s7, 0xffffff
	v_cmp_lt_u32_e32 vcc, s7, v15
	s_and_saveexec_b64 s[8:9], vcc
	s_cbranch_execz .LBB870_449
; %bb.444:
	v_lshrrev_b32_e32 v14, 24, v15
	s_movk_i32 s7, 0x80
	v_cmp_ne_u32_e32 vcc, s7, v14
	v_mov_b32_e32 v24, 0xffff8000
	s_and_saveexec_b64 s[10:11], vcc
	s_cbranch_execz .LBB870_448
; %bb.445:
	v_bfe_u32 v15, v15, 24, 7
	s_movk_i32 s7, 0x7f
	v_cmp_ne_u32_e32 vcc, s7, v15
	v_mov_b32_e32 v24, 0x7f80
	s_and_saveexec_b64 s[12:13], vcc
	s_cbranch_execz .LBB870_447
; %bb.446:
	v_and_b32_e32 v24, 7, v14
	v_ffbh_u32_e32 v28, v24
	v_min_u32_e32 v30, 32, v28
	v_subrev_u32_e32 v28, 28, v30
	v_lshlrev_b64 v[28:29], v28, v[14:15]
	v_lshrrev_b32_e32 v27, 3, v15
	v_sub_u32_e32 v29, 29, v30
	v_and_b32_e32 v28, 7, v28
	v_cmp_gt_u32_e32 vcc, 8, v15
	v_cndmask_b32_e32 v15, v27, v29, vcc
	v_cndmask_b32_e32 v24, v24, v28, vcc
	v_lshlrev_b32_e32 v14, 24, v14
	v_bfrev_b32_e32 v27, 60
	v_lshlrev_b32_e32 v24, 20, v24
	v_and_b32_e32 v14, 0x80000000, v14
	v_lshl_add_u32 v15, v15, 23, v27
	v_or3_b32 v14, v14, v15, v24
	v_lshrrev_b32_e32 v24, 16, v14
.LBB870_447:
	s_or_b64 exec, exec, s[12:13]
.LBB870_448:
	s_or_b64 exec, exec, s[10:11]
.LBB870_449:
	s_or_b64 exec, exec, s[8:9]
	s_mov_b32 s7, 0x5040100
	v_perm_b32 v15, v21, v22, s7
	v_lshl_or_b32 v22, v1, 9, v48
	v_perm_b32 v14, v19, v20, s7
	ds_read_b128 v[28:31], v22
	v_perm_b32 v19, v24, v25, s7
	v_perm_b32 v18, v18, v23, s7
	s_waitcnt lgkmcnt(0)
	v_mfma_f32_16x16x16bf16_1k v[32:35], v[14:15], v[28:29], 0
	v_mov_b32_e32 v15, 0
	v_cmp_ne_u16_sdwa s[10:11], v16, v15 src0_sel:BYTE_0 src1_sel:DWORD
	v_mov_b32_e32 v23, 0
	v_mfma_f32_16x16x16bf16_1k v[18:21], v[18:19], v[30:31], v[32:35]
	s_and_saveexec_b64 s[8:9], s[10:11]
	s_cbranch_execz .LBB870_455
; %bb.450:
	s_movk_i32 s7, 0x80
	v_cmp_ne_u16_sdwa s[12:13], v16, s7 src0_sel:BYTE_0 src1_sel:DWORD
	v_mov_b32_e32 v23, 0xffff8000
	s_and_saveexec_b64 s[10:11], s[12:13]
	s_cbranch_execz .LBB870_454
; %bb.451:
	s_movk_i32 s7, 0x7f
	v_and_b32_e32 v14, 0x7f, v16
	v_cmp_ne_u32_e32 vcc, s7, v14
	v_mov_b32_e32 v23, 0x7f80
	s_and_saveexec_b64 s[12:13], vcc
	s_cbranch_execz .LBB870_453
; %bb.452:
	v_and_b32_e32 v23, 7, v16
	v_ffbh_u32_e32 v24, v23
	v_min_u32_e32 v28, 32, v24
	v_subrev_u32_e32 v24, 28, v28
	v_lshlrev_b64 v[24:25], v24, v[16:17]
	v_lshrrev_b32_e32 v27, 3, v14
	v_sub_u32_e32 v25, 29, v28
	v_and_b32_e32 v24, 7, v24
	v_cmp_gt_u32_e32 vcc, 8, v14
	v_cndmask_b32_e32 v14, v27, v25, vcc
	v_cndmask_b32_e32 v23, v23, v24, vcc
	v_lshlrev_b32_e32 v24, 24, v16
	v_bfrev_b32_e32 v25, 60
	v_lshlrev_b32_e32 v23, 20, v23
	v_and_b32_e32 v24, 0x80000000, v24
	v_lshl_add_u32 v14, v14, 23, v25
	v_or3_b32 v14, v24, v14, v23
	v_lshrrev_b32_e32 v23, 16, v14
.LBB870_453:
	s_or_b64 exec, exec, s[12:13]
.LBB870_454:
	s_or_b64 exec, exec, s[10:11]
.LBB870_455:
	s_or_b64 exec, exec, s[8:9]
	v_lshrrev_b16_e32 v14, 8, v16
	v_cmp_ne_u16_e32 vcc, 0, v14
	s_and_saveexec_b64 s[8:9], vcc
	s_cbranch_execz .LBB870_461
; %bb.456:
	s_movk_i32 s7, 0x80
	v_cmp_ne_u16_e32 vcc, s7, v14
	v_mov_b32_e32 v15, 0xffff8000
	s_and_saveexec_b64 s[10:11], vcc
	s_cbranch_execz .LBB870_460
; %bb.457:
	s_movk_i32 s7, 0x7f
	v_and_b32_e32 v24, 0x7f, v14
	v_cmp_ne_u32_e32 vcc, s7, v24
	v_mov_b32_e32 v15, 0x7f80
	s_and_saveexec_b64 s[12:13], vcc
	s_cbranch_execz .LBB870_459
; %bb.458:
	v_and_b32_e32 v25, 7, v14
	v_ffbh_u32_e32 v15, v25
	v_min_u32_e32 v28, 32, v15
	v_subrev_u32_e32 v15, 28, v28
	v_lshlrev_b64 v[14:15], v15, v[14:15]
	v_lshrrev_b32_e32 v27, 3, v24
	v_sub_u32_e32 v15, 29, v28
	v_and_b32_e32 v14, 7, v14
	v_cmp_gt_u32_e32 vcc, 8, v24
	v_cndmask_b32_e32 v15, v27, v15, vcc
	v_cndmask_b32_e32 v14, v25, v14, vcc
	v_lshlrev_b32_e32 v24, 16, v16
	v_bfrev_b32_e32 v25, 60
	v_lshlrev_b32_e32 v14, 20, v14
	v_and_b32_e32 v24, 0x80000000, v24
	v_lshl_add_u32 v15, v15, 23, v25
	v_or3_b32 v14, v24, v15, v14
	v_lshrrev_b32_e32 v15, 16, v14
.LBB870_459:
	s_or_b64 exec, exec, s[12:13]
.LBB870_460:
	s_or_b64 exec, exec, s[10:11]
.LBB870_461:
	s_or_b64 exec, exec, s[8:9]
	s_movk_i32 s7, 0xff
	v_and_b32_sdwa v27, v16, s7 dst_sel:DWORD dst_unused:UNUSED_PAD src0_sel:WORD_1 src1_sel:DWORD
	v_lshrrev_b32_e32 v14, 16, v16
	v_cmp_ne_u16_e32 vcc, 0, v27
	v_mov_b32_e32 v24, 0
	v_mov_b32_e32 v25, 0
	s_and_saveexec_b64 s[8:9], vcc
	s_cbranch_execz .LBB870_467
; %bb.462:
	s_movk_i32 s7, 0x80
	v_cmp_ne_u16_e32 vcc, s7, v27
	v_mov_b32_e32 v25, 0xffff8000
	s_and_saveexec_b64 s[10:11], vcc
	s_cbranch_execz .LBB870_466
; %bb.463:
	v_bfe_u32 v27, v16, 16, 7
	s_movk_i32 s7, 0x7f
	v_cmp_ne_u32_e32 vcc, s7, v27
	v_mov_b32_e32 v25, 0x7f80
	s_and_saveexec_b64 s[12:13], vcc
	s_cbranch_execz .LBB870_465
; %bb.464:
	v_and_b32_e32 v25, 7, v14
	v_ffbh_u32_e32 v28, v25
	v_min_u32_e32 v31, 32, v28
	v_subrev_u32_e32 v28, 28, v31
	v_lshlrev_b64 v[28:29], v28, v[14:15]
	v_lshrrev_b32_e32 v30, 3, v27
	v_sub_u32_e32 v14, 29, v31
	v_and_b32_e32 v28, 7, v28
	v_cmp_gt_u32_e32 vcc, 8, v27
	v_mov_b32_e32 v27, 24
	v_cndmask_b32_e32 v14, v30, v14, vcc
	v_cndmask_b32_e32 v25, v25, v28, vcc
	v_lshlrev_b32_sdwa v27, v27, v16 dst_sel:DWORD dst_unused:UNUSED_PAD src0_sel:DWORD src1_sel:WORD_1
	v_bfrev_b32_e32 v28, 60
	v_lshlrev_b32_e32 v25, 20, v25
	v_and_b32_e32 v27, 0x80000000, v27
	v_lshl_add_u32 v14, v14, 23, v28
	v_or3_b32 v14, v27, v14, v25
	v_lshrrev_b32_e32 v25, 16, v14
.LBB870_465:
	s_or_b64 exec, exec, s[12:13]
.LBB870_466:
	s_or_b64 exec, exec, s[10:11]
.LBB870_467:
	s_or_b64 exec, exec, s[8:9]
	s_mov_b32 s7, 0xffffff
	v_cmp_lt_u32_e32 vcc, s7, v16
	s_and_saveexec_b64 s[8:9], vcc
	s_cbranch_execz .LBB870_473
; %bb.468:
	v_lshrrev_b32_e32 v14, 24, v16
	s_movk_i32 s7, 0x80
	v_cmp_ne_u32_e32 vcc, s7, v14
	v_mov_b32_e32 v24, 0xffff8000
	s_and_saveexec_b64 s[10:11], vcc
	s_cbranch_execz .LBB870_472
; %bb.469:
	v_bfe_u32 v16, v16, 24, 7
	s_movk_i32 s7, 0x7f
	v_cmp_ne_u32_e32 vcc, s7, v16
	v_mov_b32_e32 v24, 0x7f80
	s_and_saveexec_b64 s[12:13], vcc
	s_cbranch_execz .LBB870_471
; %bb.470:
	v_and_b32_e32 v24, 7, v14
	v_ffbh_u32_e32 v28, v24
	v_min_u32_e32 v30, 32, v28
	v_subrev_u32_e32 v28, 28, v30
	v_lshlrev_b64 v[28:29], v28, v[14:15]
	v_lshrrev_b32_e32 v27, 3, v16
	v_sub_u32_e32 v29, 29, v30
	v_and_b32_e32 v28, 7, v28
	v_cmp_gt_u32_e32 vcc, 8, v16
	v_cndmask_b32_e32 v16, v27, v29, vcc
	v_cndmask_b32_e32 v24, v24, v28, vcc
	v_lshlrev_b32_e32 v14, 24, v14
	v_bfrev_b32_e32 v27, 60
	v_lshlrev_b32_e32 v24, 20, v24
	v_and_b32_e32 v14, 0x80000000, v14
	v_lshl_add_u32 v16, v16, 23, v27
	v_or3_b32 v14, v14, v16, v24
	v_lshrrev_b32_e32 v24, 16, v14
.LBB870_471:
	s_or_b64 exec, exec, s[12:13]
.LBB870_472:
	s_or_b64 exec, exec, s[10:11]
.LBB870_473:
	s_or_b64 exec, exec, s[8:9]
	v_mov_b32_e32 v16, 0
	v_cmp_ne_u16_sdwa s[10:11], v17, v16 src0_sel:BYTE_0 src1_sel:DWORD
	v_mov_b32_e32 v27, 0
	s_and_saveexec_b64 s[8:9], s[10:11]
	s_cbranch_execz .LBB870_479
; %bb.474:
	s_movk_i32 s7, 0x80
	v_cmp_ne_u16_sdwa s[12:13], v17, s7 src0_sel:BYTE_0 src1_sel:DWORD
	v_mov_b32_e32 v27, 0xffff8000
	s_and_saveexec_b64 s[10:11], s[12:13]
	s_cbranch_execz .LBB870_478
; %bb.475:
	s_movk_i32 s7, 0x7f
	v_and_b32_e32 v14, 0x7f, v17
	v_cmp_ne_u32_e32 vcc, s7, v14
	v_mov_b32_e32 v27, 0x7f80
	s_and_saveexec_b64 s[12:13], vcc
	s_cbranch_execz .LBB870_477
; %bb.476:
	v_and_b32_e32 v27, 7, v17
	v_ffbh_u32_e32 v29, v27
	v_min_u32_e32 v31, 32, v29
	v_mov_b32_e32 v28, v17
	v_subrev_u32_e32 v29, 28, v31
	v_lshlrev_b64 v[28:29], v29, v[28:29]
	v_lshrrev_b32_e32 v30, 3, v14
	v_sub_u32_e32 v29, 29, v31
	v_and_b32_e32 v28, 7, v28
	v_cmp_gt_u32_e32 vcc, 8, v14
	v_cndmask_b32_e32 v14, v30, v29, vcc
	v_cndmask_b32_e32 v27, v27, v28, vcc
	v_lshlrev_b32_e32 v28, 24, v17
	v_bfrev_b32_e32 v29, 60
	v_lshlrev_b32_e32 v27, 20, v27
	v_and_b32_e32 v28, 0x80000000, v28
	v_lshl_add_u32 v14, v14, 23, v29
	v_or3_b32 v14, v28, v14, v27
	v_lshrrev_b32_e32 v27, 16, v14
.LBB870_477:
	s_or_b64 exec, exec, s[12:13]
.LBB870_478:
	s_or_b64 exec, exec, s[10:11]
.LBB870_479:
	s_or_b64 exec, exec, s[8:9]
	v_lshrrev_b16_e32 v14, 8, v17
	v_cmp_ne_u16_e32 vcc, 0, v14
	s_and_saveexec_b64 s[8:9], vcc
	s_cbranch_execz .LBB870_485
; %bb.480:
	s_movk_i32 s7, 0x80
	v_cmp_ne_u16_e32 vcc, s7, v14
	v_mov_b32_e32 v16, 0xffff8000
	s_and_saveexec_b64 s[10:11], vcc
	s_cbranch_execz .LBB870_484
; %bb.481:
	s_movk_i32 s7, 0x7f
	v_and_b32_e32 v28, 0x7f, v14
	v_cmp_ne_u32_e32 vcc, s7, v28
	v_mov_b32_e32 v16, 0x7f80
	s_and_saveexec_b64 s[12:13], vcc
	s_cbranch_execz .LBB870_483
; %bb.482:
	v_and_b32_e32 v16, 7, v14
	v_ffbh_u32_e32 v30, v16
	v_min_u32_e32 v32, 32, v30
	v_subrev_u32_e32 v30, 28, v32
	v_lshlrev_b64 v[30:31], v30, v[14:15]
	v_lshrrev_b32_e32 v29, 3, v28
	v_sub_u32_e32 v14, 29, v32
	v_and_b32_e32 v30, 7, v30
	v_cmp_gt_u32_e32 vcc, 8, v28
	v_cndmask_b32_e32 v14, v29, v14, vcc
	v_cndmask_b32_e32 v16, v16, v30, vcc
	v_lshlrev_b32_e32 v28, 16, v17
	v_bfrev_b32_e32 v29, 60
	v_lshlrev_b32_e32 v16, 20, v16
	v_and_b32_e32 v28, 0x80000000, v28
	v_lshl_add_u32 v14, v14, 23, v29
	v_or3_b32 v14, v28, v14, v16
	v_lshrrev_b32_e32 v16, 16, v14
.LBB870_483:
	s_or_b64 exec, exec, s[12:13]
.LBB870_484:
	s_or_b64 exec, exec, s[10:11]
.LBB870_485:
	s_or_b64 exec, exec, s[8:9]
	s_movk_i32 s7, 0xff
	v_and_b32_sdwa v30, v17, s7 dst_sel:DWORD dst_unused:UNUSED_PAD src0_sel:WORD_1 src1_sel:DWORD
	v_lshrrev_b32_e32 v14, 16, v17
	v_cmp_ne_u16_e32 vcc, 0, v30
	v_mov_b32_e32 v28, 0
	v_mov_b32_e32 v29, 0
	s_and_saveexec_b64 s[8:9], vcc
	s_cbranch_execz .LBB870_491
; %bb.486:
	s_movk_i32 s7, 0x80
	v_cmp_ne_u16_e32 vcc, s7, v30
	v_mov_b32_e32 v29, 0xffff8000
	s_and_saveexec_b64 s[10:11], vcc
	s_cbranch_execz .LBB870_490
; %bb.487:
	v_bfe_u32 v30, v17, 16, 7
	s_movk_i32 s7, 0x7f
	v_cmp_ne_u32_e32 vcc, s7, v30
	v_mov_b32_e32 v29, 0x7f80
	s_and_saveexec_b64 s[12:13], vcc
	s_cbranch_execz .LBB870_489
; %bb.488:
	v_and_b32_e32 v29, 7, v14
	v_ffbh_u32_e32 v32, v29
	v_min_u32_e32 v34, 32, v32
	v_subrev_u32_e32 v32, 28, v34
	v_lshlrev_b64 v[32:33], v32, v[14:15]
	v_lshrrev_b32_e32 v31, 3, v30
	v_sub_u32_e32 v14, 29, v34
	v_and_b32_e32 v32, 7, v32
	v_cmp_gt_u32_e32 vcc, 8, v30
	v_mov_b32_e32 v30, 24
	v_cndmask_b32_e32 v14, v31, v14, vcc
	v_cndmask_b32_e32 v29, v29, v32, vcc
	v_lshlrev_b32_sdwa v30, v30, v17 dst_sel:DWORD dst_unused:UNUSED_PAD src0_sel:DWORD src1_sel:WORD_1
	v_bfrev_b32_e32 v31, 60
	v_lshlrev_b32_e32 v29, 20, v29
	v_and_b32_e32 v30, 0x80000000, v30
	v_lshl_add_u32 v14, v14, 23, v31
	v_or3_b32 v14, v30, v14, v29
	v_lshrrev_b32_e32 v29, 16, v14
.LBB870_489:
	s_or_b64 exec, exec, s[12:13]
.LBB870_490:
	s_or_b64 exec, exec, s[10:11]
.LBB870_491:
	s_or_b64 exec, exec, s[8:9]
	s_mov_b32 s7, 0xffffff
	v_cmp_lt_u32_e32 vcc, s7, v17
	s_and_saveexec_b64 s[8:9], vcc
	s_cbranch_execz .LBB870_497
; %bb.492:
	v_lshrrev_b32_e32 v14, 24, v17
	s_movk_i32 s7, 0x80
	v_cmp_ne_u32_e32 vcc, s7, v14
	v_mov_b32_e32 v28, 0xffff8000
	s_and_saveexec_b64 s[10:11], vcc
	s_cbranch_execz .LBB870_496
; %bb.493:
	v_bfe_u32 v17, v17, 24, 7
	s_movk_i32 s7, 0x7f
	v_cmp_ne_u32_e32 vcc, s7, v17
	v_mov_b32_e32 v28, 0x7f80
	s_and_saveexec_b64 s[12:13], vcc
	s_cbranch_execz .LBB870_495
; %bb.494:
	v_and_b32_e32 v28, 7, v14
	v_ffbh_u32_e32 v30, v28
	v_min_u32_e32 v33, 32, v30
	v_subrev_u32_e32 v30, 28, v33
	v_lshlrev_b64 v[30:31], v30, v[14:15]
	v_lshrrev_b32_e32 v32, 3, v17
	v_sub_u32_e32 v31, 29, v33
	v_and_b32_e32 v30, 7, v30
	v_cmp_gt_u32_e32 vcc, 8, v17
	v_cndmask_b32_e32 v17, v32, v31, vcc
	v_cndmask_b32_e32 v28, v28, v30, vcc
	v_lshlrev_b32_e32 v14, 24, v14
	v_bfrev_b32_e32 v30, 60
	v_lshlrev_b32_e32 v28, 20, v28
	v_and_b32_e32 v14, 0x80000000, v14
	v_lshl_add_u32 v17, v17, 23, v30
	v_or3_b32 v14, v14, v17, v28
	v_lshrrev_b32_e32 v28, 16, v14
.LBB870_495:
	s_or_b64 exec, exec, s[12:13]
.LBB870_496:
	s_or_b64 exec, exec, s[10:11]
.LBB870_497:
	s_or_b64 exec, exec, s[8:9]
	s_mov_b32 s7, 0x5040100
	v_perm_b32 v25, v24, v25, s7
	v_perm_b32 v24, v15, v23, s7
	ds_read_b128 v[30:33], v22 offset:16
	v_perm_b32 v15, v28, v29, s7
	v_perm_b32 v14, v16, v27, s7
	s_waitcnt lgkmcnt(0)
	v_mfma_f32_16x16x16bf16_1k v[34:37], v[24:25], v[30:31], v[18:21]
	s_nop 6
	v_mov_b32_e32 v19, 0
	s_waitcnt vmcnt(2)
	v_cmp_ne_u16_sdwa s[10:11], v10, v19 src0_sel:BYTE_0 src1_sel:DWORD
	v_mfma_f32_16x16x16bf16_1k v[14:17], v[14:15], v[32:33], v[34:37]
	v_mov_b32_e32 v20, 0
	s_and_saveexec_b64 s[8:9], s[10:11]
	s_cbranch_execz .LBB870_503
; %bb.498:
	s_movk_i32 s7, 0x80
	v_cmp_ne_u16_sdwa s[12:13], v10, s7 src0_sel:BYTE_0 src1_sel:DWORD
	v_mov_b32_e32 v20, 0xffff8000
	s_and_saveexec_b64 s[10:11], s[12:13]
	s_cbranch_execz .LBB870_502
; %bb.499:
	s_movk_i32 s7, 0x7f
	v_and_b32_e32 v18, 0x7f, v10
	v_cmp_ne_u32_e32 vcc, s7, v18
	v_mov_b32_e32 v20, 0x7f80
	s_and_saveexec_b64 s[12:13], vcc
	s_cbranch_execz .LBB870_501
; %bb.500:
	v_and_b32_e32 v23, 7, v10
	v_ffbh_u32_e32 v20, v23
	v_min_u32_e32 v25, 32, v20
	v_subrev_u32_e32 v20, 28, v25
	v_lshlrev_b64 v[20:21], v20, v[10:11]
	v_lshrrev_b32_e32 v24, 3, v18
	v_sub_u32_e32 v21, 29, v25
	v_and_b32_e32 v20, 7, v20
	v_cmp_gt_u32_e32 vcc, 8, v18
	v_cndmask_b32_e32 v18, v24, v21, vcc
	v_cndmask_b32_e32 v20, v23, v20, vcc
	v_lshlrev_b32_e32 v21, 24, v10
	v_bfrev_b32_e32 v23, 60
	v_lshlrev_b32_e32 v20, 20, v20
	v_and_b32_e32 v21, 0x80000000, v21
	v_lshl_add_u32 v18, v18, 23, v23
	v_or3_b32 v18, v21, v18, v20
	v_lshrrev_b32_e32 v20, 16, v18
.LBB870_501:
	s_or_b64 exec, exec, s[12:13]
.LBB870_502:
	s_or_b64 exec, exec, s[10:11]
.LBB870_503:
	s_or_b64 exec, exec, s[8:9]
	v_lshrrev_b16_e32 v18, 8, v10
	v_cmp_ne_u16_e32 vcc, 0, v18
	s_and_saveexec_b64 s[8:9], vcc
	s_cbranch_execz .LBB870_509
; %bb.504:
	s_movk_i32 s7, 0x80
	v_cmp_ne_u16_e32 vcc, s7, v18
	v_mov_b32_e32 v19, 0xffff8000
	s_and_saveexec_b64 s[10:11], vcc
	s_cbranch_execz .LBB870_508
; %bb.505:
	s_movk_i32 s7, 0x7f
	v_and_b32_e32 v21, 0x7f, v18
	v_cmp_ne_u32_e32 vcc, s7, v21
	v_mov_b32_e32 v19, 0x7f80
	s_and_saveexec_b64 s[12:13], vcc
	s_cbranch_execz .LBB870_507
; %bb.506:
	v_and_b32_e32 v23, 7, v18
	v_ffbh_u32_e32 v19, v23
	v_min_u32_e32 v25, 32, v19
	v_subrev_u32_e32 v19, 28, v25
	v_lshlrev_b64 v[18:19], v19, v[18:19]
	v_lshrrev_b32_e32 v24, 3, v21
	v_sub_u32_e32 v19, 29, v25
	v_and_b32_e32 v18, 7, v18
	v_cmp_gt_u32_e32 vcc, 8, v21
	v_cndmask_b32_e32 v19, v24, v19, vcc
	v_cndmask_b32_e32 v18, v23, v18, vcc
	v_lshlrev_b32_e32 v21, 16, v10
	v_bfrev_b32_e32 v23, 60
	v_lshlrev_b32_e32 v18, 20, v18
	v_and_b32_e32 v21, 0x80000000, v21
	v_lshl_add_u32 v19, v19, 23, v23
	v_or3_b32 v18, v21, v19, v18
	v_lshrrev_b32_e32 v19, 16, v18
.LBB870_507:
	s_or_b64 exec, exec, s[12:13]
.LBB870_508:
	s_or_b64 exec, exec, s[10:11]
.LBB870_509:
	s_or_b64 exec, exec, s[8:9]
	s_movk_i32 s7, 0xff
	v_and_b32_sdwa v24, v10, s7 dst_sel:DWORD dst_unused:UNUSED_PAD src0_sel:WORD_1 src1_sel:DWORD
	v_lshrrev_b32_e32 v18, 16, v10
	v_cmp_ne_u16_e32 vcc, 0, v24
	v_mov_b32_e32 v21, 0
	v_mov_b32_e32 v23, 0
	s_and_saveexec_b64 s[8:9], vcc
	s_cbranch_execz .LBB870_515
; %bb.510:
	s_movk_i32 s7, 0x80
	v_cmp_ne_u16_e32 vcc, s7, v24
	v_mov_b32_e32 v23, 0xffff8000
	s_and_saveexec_b64 s[10:11], vcc
	s_cbranch_execz .LBB870_514
; %bb.511:
	v_bfe_u32 v24, v10, 16, 7
	s_movk_i32 s7, 0x7f
	v_cmp_ne_u32_e32 vcc, s7, v24
	v_mov_b32_e32 v23, 0x7f80
	s_and_saveexec_b64 s[12:13], vcc
	s_cbranch_execz .LBB870_513
; %bb.512:
	v_and_b32_e32 v23, 7, v18
	v_ffbh_u32_e32 v27, v23
	v_min_u32_e32 v27, 32, v27
	v_subrev_u32_e32 v28, 28, v27
	v_lshlrev_b64 v[28:29], v28, v[18:19]
	v_lshrrev_b32_e32 v25, 3, v24
	v_sub_u32_e32 v18, 29, v27
	v_and_b32_e32 v27, 7, v28
	v_cmp_gt_u32_e32 vcc, 8, v24
	v_mov_b32_e32 v24, 24
	v_cndmask_b32_e32 v18, v25, v18, vcc
	v_cndmask_b32_e32 v23, v23, v27, vcc
	v_lshlrev_b32_sdwa v24, v24, v10 dst_sel:DWORD dst_unused:UNUSED_PAD src0_sel:DWORD src1_sel:WORD_1
	v_bfrev_b32_e32 v25, 60
	v_lshlrev_b32_e32 v23, 20, v23
	v_and_b32_e32 v24, 0x80000000, v24
	v_lshl_add_u32 v18, v18, 23, v25
	v_or3_b32 v18, v24, v18, v23
	v_lshrrev_b32_e32 v23, 16, v18
.LBB870_513:
	s_or_b64 exec, exec, s[12:13]
.LBB870_514:
	s_or_b64 exec, exec, s[10:11]
.LBB870_515:
	s_or_b64 exec, exec, s[8:9]
	s_mov_b32 s7, 0xffffff
	v_cmp_lt_u32_e32 vcc, s7, v10
	s_and_saveexec_b64 s[8:9], vcc
	s_cbranch_execz .LBB870_521
; %bb.516:
	v_lshrrev_b32_e32 v18, 24, v10
	s_movk_i32 s7, 0x80
	v_cmp_ne_u32_e32 vcc, s7, v18
	v_mov_b32_e32 v21, 0xffff8000
	s_and_saveexec_b64 s[10:11], vcc
	s_cbranch_execz .LBB870_520
; %bb.517:
	v_bfe_u32 v10, v10, 24, 7
	s_movk_i32 s7, 0x7f
	v_cmp_ne_u32_e32 vcc, s7, v10
	v_mov_b32_e32 v21, 0x7f80
	s_and_saveexec_b64 s[12:13], vcc
	s_cbranch_execz .LBB870_519
; %bb.518:
	v_and_b32_e32 v21, 7, v18
	v_ffbh_u32_e32 v24, v21
	v_min_u32_e32 v28, 32, v24
	v_subrev_u32_e32 v24, 28, v28
	v_lshlrev_b64 v[24:25], v24, v[18:19]
	v_lshrrev_b32_e32 v27, 3, v10
	v_sub_u32_e32 v25, 29, v28
	v_and_b32_e32 v24, 7, v24
	v_cmp_gt_u32_e32 vcc, 8, v10
	v_cndmask_b32_e32 v10, v27, v25, vcc
	v_cndmask_b32_e32 v21, v21, v24, vcc
	v_lshlrev_b32_e32 v18, 24, v18
	v_bfrev_b32_e32 v24, 60
	v_lshlrev_b32_e32 v21, 20, v21
	v_and_b32_e32 v18, 0x80000000, v18
	v_lshl_add_u32 v10, v10, 23, v24
	v_or3_b32 v10, v18, v10, v21
	v_lshrrev_b32_e32 v21, 16, v10
.LBB870_519:
	s_or_b64 exec, exec, s[12:13]
.LBB870_520:
	s_or_b64 exec, exec, s[10:11]
.LBB870_521:
	s_or_b64 exec, exec, s[8:9]
	v_mov_b32_e32 v18, 0
	v_cmp_ne_u16_sdwa s[10:11], v11, v18 src0_sel:BYTE_0 src1_sel:DWORD
	v_mov_b32_e32 v24, 0
	s_and_saveexec_b64 s[8:9], s[10:11]
	s_cbranch_execz .LBB870_527
; %bb.522:
	s_movk_i32 s7, 0x80
	v_cmp_ne_u16_sdwa s[12:13], v11, s7 src0_sel:BYTE_0 src1_sel:DWORD
	v_mov_b32_e32 v24, 0xffff8000
	s_and_saveexec_b64 s[10:11], s[12:13]
	s_cbranch_execz .LBB870_526
; %bb.523:
	s_movk_i32 s7, 0x7f
	v_and_b32_e32 v10, 0x7f, v11
	v_cmp_ne_u32_e32 vcc, s7, v10
	v_mov_b32_e32 v24, 0x7f80
	s_and_saveexec_b64 s[12:13], vcc
	s_cbranch_execz .LBB870_525
; %bb.524:
	v_and_b32_e32 v27, 7, v11
	v_ffbh_u32_e32 v25, v27
	v_min_u32_e32 v29, 32, v25
	v_mov_b32_e32 v24, v11
	v_subrev_u32_e32 v25, 28, v29
	v_lshlrev_b64 v[24:25], v25, v[24:25]
	v_lshrrev_b32_e32 v28, 3, v10
	v_sub_u32_e32 v25, 29, v29
	v_and_b32_e32 v24, 7, v24
	v_cmp_gt_u32_e32 vcc, 8, v10
	v_cndmask_b32_e32 v10, v28, v25, vcc
	v_cndmask_b32_e32 v24, v27, v24, vcc
	v_lshlrev_b32_e32 v25, 24, v11
	v_bfrev_b32_e32 v27, 60
	v_lshlrev_b32_e32 v24, 20, v24
	v_and_b32_e32 v25, 0x80000000, v25
	v_lshl_add_u32 v10, v10, 23, v27
	v_or3_b32 v10, v25, v10, v24
	v_lshrrev_b32_e32 v24, 16, v10
.LBB870_525:
	s_or_b64 exec, exec, s[12:13]
.LBB870_526:
	s_or_b64 exec, exec, s[10:11]
.LBB870_527:
	s_or_b64 exec, exec, s[8:9]
	v_lshrrev_b16_e32 v10, 8, v11
	v_cmp_ne_u16_e32 vcc, 0, v10
	s_and_saveexec_b64 s[8:9], vcc
	s_cbranch_execz .LBB870_533
; %bb.528:
	s_movk_i32 s7, 0x80
	v_cmp_ne_u16_e32 vcc, s7, v10
	v_mov_b32_e32 v18, 0xffff8000
	s_and_saveexec_b64 s[10:11], vcc
	s_cbranch_execz .LBB870_532
; %bb.529:
	s_movk_i32 s7, 0x7f
	v_and_b32_e32 v25, 0x7f, v10
	v_cmp_ne_u32_e32 vcc, s7, v25
	v_mov_b32_e32 v18, 0x7f80
	s_and_saveexec_b64 s[12:13], vcc
	s_cbranch_execz .LBB870_531
; %bb.530:
	v_and_b32_e32 v18, 7, v10
	v_ffbh_u32_e32 v28, v18
	v_min_u32_e32 v30, 32, v28
	v_subrev_u32_e32 v28, 28, v30
	v_lshlrev_b64 v[28:29], v28, v[10:11]
	v_lshrrev_b32_e32 v27, 3, v25
	v_sub_u32_e32 v10, 29, v30
	v_and_b32_e32 v28, 7, v28
	v_cmp_gt_u32_e32 vcc, 8, v25
	v_cndmask_b32_e32 v10, v27, v10, vcc
	v_cndmask_b32_e32 v18, v18, v28, vcc
	v_lshlrev_b32_e32 v25, 16, v11
	v_bfrev_b32_e32 v27, 60
	v_lshlrev_b32_e32 v18, 20, v18
	v_and_b32_e32 v25, 0x80000000, v25
	v_lshl_add_u32 v10, v10, 23, v27
	v_or3_b32 v10, v25, v10, v18
	v_lshrrev_b32_e32 v18, 16, v10
.LBB870_531:
	s_or_b64 exec, exec, s[12:13]
.LBB870_532:
	s_or_b64 exec, exec, s[10:11]
.LBB870_533:
	s_or_b64 exec, exec, s[8:9]
	s_movk_i32 s7, 0xff
	v_and_b32_sdwa v28, v11, s7 dst_sel:DWORD dst_unused:UNUSED_PAD src0_sel:WORD_1 src1_sel:DWORD
	v_lshrrev_b32_e32 v10, 16, v11
	v_cmp_ne_u16_e32 vcc, 0, v28
	v_mov_b32_e32 v25, 0
	v_mov_b32_e32 v27, 0
	s_and_saveexec_b64 s[8:9], vcc
	s_cbranch_execz .LBB870_539
; %bb.534:
	s_movk_i32 s7, 0x80
	v_cmp_ne_u16_e32 vcc, s7, v28
	v_mov_b32_e32 v27, 0xffff8000
	s_and_saveexec_b64 s[10:11], vcc
	s_cbranch_execz .LBB870_538
; %bb.535:
	v_bfe_u32 v28, v11, 16, 7
	s_movk_i32 s7, 0x7f
	v_cmp_ne_u32_e32 vcc, s7, v28
	v_mov_b32_e32 v27, 0x7f80
	s_and_saveexec_b64 s[12:13], vcc
	s_cbranch_execz .LBB870_537
; %bb.536:
	v_and_b32_e32 v27, 7, v10
	v_ffbh_u32_e32 v30, v27
	v_min_u32_e32 v32, 32, v30
	v_subrev_u32_e32 v30, 28, v32
	v_lshlrev_b64 v[30:31], v30, v[10:11]
	v_lshrrev_b32_e32 v29, 3, v28
	v_sub_u32_e32 v10, 29, v32
	v_and_b32_e32 v30, 7, v30
	v_cmp_gt_u32_e32 vcc, 8, v28
	v_mov_b32_e32 v28, 24
	v_cndmask_b32_e32 v10, v29, v10, vcc
	v_cndmask_b32_e32 v27, v27, v30, vcc
	v_lshlrev_b32_sdwa v28, v28, v11 dst_sel:DWORD dst_unused:UNUSED_PAD src0_sel:DWORD src1_sel:WORD_1
	v_bfrev_b32_e32 v29, 60
	v_lshlrev_b32_e32 v27, 20, v27
	v_and_b32_e32 v28, 0x80000000, v28
	v_lshl_add_u32 v10, v10, 23, v29
	v_or3_b32 v10, v28, v10, v27
	v_lshrrev_b32_e32 v27, 16, v10
.LBB870_537:
	s_or_b64 exec, exec, s[12:13]
.LBB870_538:
	s_or_b64 exec, exec, s[10:11]
.LBB870_539:
	s_or_b64 exec, exec, s[8:9]
	s_mov_b32 s7, 0xffffff
	v_cmp_lt_u32_e32 vcc, s7, v11
	s_and_saveexec_b64 s[8:9], vcc
	s_cbranch_execz .LBB870_545
; %bb.540:
	v_lshrrev_b32_e32 v10, 24, v11
	s_movk_i32 s7, 0x80
	v_cmp_ne_u32_e32 vcc, s7, v10
	v_mov_b32_e32 v25, 0xffff8000
	s_and_saveexec_b64 s[10:11], vcc
	s_cbranch_execz .LBB870_544
; %bb.541:
	v_bfe_u32 v11, v11, 24, 7
	s_movk_i32 s7, 0x7f
	v_cmp_ne_u32_e32 vcc, s7, v11
	v_mov_b32_e32 v25, 0x7f80
	s_and_saveexec_b64 s[12:13], vcc
	s_cbranch_execz .LBB870_543
; %bb.542:
	v_and_b32_e32 v25, 7, v10
	v_ffbh_u32_e32 v28, v25
	v_min_u32_e32 v31, 32, v28
	v_subrev_u32_e32 v28, 28, v31
	v_lshlrev_b64 v[28:29], v28, v[10:11]
	v_lshrrev_b32_e32 v30, 3, v11
	v_sub_u32_e32 v29, 29, v31
	v_and_b32_e32 v28, 7, v28
	v_cmp_gt_u32_e32 vcc, 8, v11
	v_cndmask_b32_e32 v11, v30, v29, vcc
	v_cndmask_b32_e32 v25, v25, v28, vcc
	v_lshlrev_b32_e32 v10, 24, v10
	v_bfrev_b32_e32 v28, 60
	v_lshlrev_b32_e32 v25, 20, v25
	v_and_b32_e32 v10, 0x80000000, v10
	v_lshl_add_u32 v11, v11, 23, v28
	v_or3_b32 v10, v10, v11, v25
	v_lshrrev_b32_e32 v25, 16, v10
.LBB870_543:
	s_or_b64 exec, exec, s[12:13]
.LBB870_544:
	s_or_b64 exec, exec, s[10:11]
.LBB870_545:
	s_or_b64 exec, exec, s[8:9]
	s_mov_b32 s7, 0x5040100
	v_perm_b32 v11, v21, v23, s7
	v_perm_b32 v10, v19, v20, s7
	ds_read_b128 v[28:31], v22 offset:2048
	v_perm_b32 v21, v25, v27, s7
	v_perm_b32 v20, v18, v24, s7
	s_waitcnt lgkmcnt(0)
	v_mfma_f32_16x16x16bf16_1k v[14:17], v[10:11], v[28:29], v[14:17]
	v_mov_b32_e32 v11, 0
	v_cmp_ne_u16_sdwa s[10:11], v12, v11 src0_sel:BYTE_0 src1_sel:DWORD
	v_mov_b32_e32 v18, 0
	v_mfma_f32_16x16x16bf16_1k v[14:17], v[20:21], v[30:31], v[14:17]
	s_and_saveexec_b64 s[8:9], s[10:11]
	s_cbranch_execz .LBB870_551
; %bb.546:
	s_movk_i32 s7, 0x80
	v_cmp_ne_u16_sdwa s[12:13], v12, s7 src0_sel:BYTE_0 src1_sel:DWORD
	v_mov_b32_e32 v18, 0xffff8000
	s_and_saveexec_b64 s[10:11], s[12:13]
	s_cbranch_execz .LBB870_550
; %bb.547:
	s_movk_i32 s7, 0x7f
	v_and_b32_e32 v10, 0x7f, v12
	v_cmp_ne_u32_e32 vcc, s7, v10
	v_mov_b32_e32 v18, 0x7f80
	s_and_saveexec_b64 s[12:13], vcc
	s_cbranch_execz .LBB870_549
; %bb.548:
	v_and_b32_e32 v20, 7, v12
	v_ffbh_u32_e32 v18, v20
	v_min_u32_e32 v23, 32, v18
	v_subrev_u32_e32 v18, 28, v23
	v_lshlrev_b64 v[18:19], v18, v[12:13]
	v_lshrrev_b32_e32 v21, 3, v10
	v_sub_u32_e32 v19, 29, v23
	v_and_b32_e32 v18, 7, v18
	v_cmp_gt_u32_e32 vcc, 8, v10
	v_cndmask_b32_e32 v10, v21, v19, vcc
	v_cndmask_b32_e32 v18, v20, v18, vcc
	v_lshlrev_b32_e32 v19, 24, v12
	v_bfrev_b32_e32 v20, 60
	v_lshlrev_b32_e32 v18, 20, v18
	v_and_b32_e32 v19, 0x80000000, v19
	v_lshl_add_u32 v10, v10, 23, v20
	v_or3_b32 v10, v19, v10, v18
	v_lshrrev_b32_e32 v18, 16, v10
.LBB870_549:
	s_or_b64 exec, exec, s[12:13]
.LBB870_550:
	s_or_b64 exec, exec, s[10:11]
.LBB870_551:
	s_or_b64 exec, exec, s[8:9]
	v_lshrrev_b16_e32 v10, 8, v12
	v_cmp_ne_u16_e32 vcc, 0, v10
	s_and_saveexec_b64 s[8:9], vcc
	s_cbranch_execz .LBB870_557
; %bb.552:
	s_movk_i32 s7, 0x80
	v_cmp_ne_u16_e32 vcc, s7, v10
	v_mov_b32_e32 v11, 0xffff8000
	s_and_saveexec_b64 s[10:11], vcc
	s_cbranch_execz .LBB870_556
; %bb.553:
	s_movk_i32 s7, 0x7f
	v_and_b32_e32 v19, 0x7f, v10
	v_cmp_ne_u32_e32 vcc, s7, v19
	v_mov_b32_e32 v11, 0x7f80
	s_and_saveexec_b64 s[12:13], vcc
	s_cbranch_execz .LBB870_555
; %bb.554:
	v_and_b32_e32 v20, 7, v10
	v_ffbh_u32_e32 v11, v20
	v_min_u32_e32 v23, 32, v11
	v_subrev_u32_e32 v11, 28, v23
	v_lshlrev_b64 v[10:11], v11, v[10:11]
	v_lshrrev_b32_e32 v21, 3, v19
	v_sub_u32_e32 v11, 29, v23
	v_and_b32_e32 v10, 7, v10
	v_cmp_gt_u32_e32 vcc, 8, v19
	v_cndmask_b32_e32 v11, v21, v11, vcc
	v_cndmask_b32_e32 v10, v20, v10, vcc
	v_lshlrev_b32_e32 v19, 16, v12
	v_bfrev_b32_e32 v20, 60
	v_lshlrev_b32_e32 v10, 20, v10
	v_and_b32_e32 v19, 0x80000000, v19
	v_lshl_add_u32 v11, v11, 23, v20
	v_or3_b32 v10, v19, v11, v10
	v_lshrrev_b32_e32 v11, 16, v10
.LBB870_555:
	s_or_b64 exec, exec, s[12:13]
.LBB870_556:
	s_or_b64 exec, exec, s[10:11]
.LBB870_557:
	s_or_b64 exec, exec, s[8:9]
	s_movk_i32 s7, 0xff
	v_and_b32_sdwa v21, v12, s7 dst_sel:DWORD dst_unused:UNUSED_PAD src0_sel:WORD_1 src1_sel:DWORD
	v_lshrrev_b32_e32 v10, 16, v12
	v_cmp_ne_u16_e32 vcc, 0, v21
	v_mov_b32_e32 v19, 0
	v_mov_b32_e32 v20, 0
	s_and_saveexec_b64 s[8:9], vcc
	s_cbranch_execz .LBB870_563
; %bb.558:
	s_movk_i32 s7, 0x80
	v_cmp_ne_u16_e32 vcc, s7, v21
	v_mov_b32_e32 v20, 0xffff8000
	s_and_saveexec_b64 s[10:11], vcc
	s_cbranch_execz .LBB870_562
; %bb.559:
	v_bfe_u32 v21, v12, 16, 7
	s_movk_i32 s7, 0x7f
	v_cmp_ne_u32_e32 vcc, s7, v21
	v_mov_b32_e32 v20, 0x7f80
	s_and_saveexec_b64 s[12:13], vcc
	s_cbranch_execz .LBB870_561
; %bb.560:
	v_and_b32_e32 v20, 7, v10
	v_ffbh_u32_e32 v24, v20
	v_min_u32_e32 v27, 32, v24
	v_subrev_u32_e32 v24, 28, v27
	v_lshlrev_b64 v[24:25], v24, v[10:11]
	v_lshrrev_b32_e32 v23, 3, v21
	v_sub_u32_e32 v10, 29, v27
	v_and_b32_e32 v24, 7, v24
	v_cmp_gt_u32_e32 vcc, 8, v21
	v_mov_b32_e32 v21, 24
	v_cndmask_b32_e32 v10, v23, v10, vcc
	v_cndmask_b32_e32 v20, v20, v24, vcc
	v_lshlrev_b32_sdwa v21, v21, v12 dst_sel:DWORD dst_unused:UNUSED_PAD src0_sel:DWORD src1_sel:WORD_1
	v_bfrev_b32_e32 v23, 60
	v_lshlrev_b32_e32 v20, 20, v20
	v_and_b32_e32 v21, 0x80000000, v21
	v_lshl_add_u32 v10, v10, 23, v23
	v_or3_b32 v10, v21, v10, v20
	v_lshrrev_b32_e32 v20, 16, v10
.LBB870_561:
	s_or_b64 exec, exec, s[12:13]
.LBB870_562:
	s_or_b64 exec, exec, s[10:11]
.LBB870_563:
	s_or_b64 exec, exec, s[8:9]
	s_mov_b32 s7, 0xffffff
	v_cmp_lt_u32_e32 vcc, s7, v12
	s_and_saveexec_b64 s[8:9], vcc
	s_cbranch_execz .LBB870_569
; %bb.564:
	v_lshrrev_b32_e32 v10, 24, v12
	s_movk_i32 s7, 0x80
	v_cmp_ne_u32_e32 vcc, s7, v10
	v_mov_b32_e32 v19, 0xffff8000
	s_and_saveexec_b64 s[10:11], vcc
	s_cbranch_execz .LBB870_568
; %bb.565:
	v_bfe_u32 v12, v12, 24, 7
	s_movk_i32 s7, 0x7f
	v_cmp_ne_u32_e32 vcc, s7, v12
	v_mov_b32_e32 v19, 0x7f80
	s_and_saveexec_b64 s[12:13], vcc
	s_cbranch_execz .LBB870_567
; %bb.566:
	v_and_b32_e32 v19, 7, v10
	v_ffbh_u32_e32 v23, v19
	v_min_u32_e32 v23, 32, v23
	v_subrev_u32_e32 v24, 28, v23
	v_lshlrev_b64 v[24:25], v24, v[10:11]
	v_lshrrev_b32_e32 v21, 3, v12
	v_sub_u32_e32 v23, 29, v23
	v_and_b32_e32 v24, 7, v24
	v_cmp_gt_u32_e32 vcc, 8, v12
	v_cndmask_b32_e32 v12, v21, v23, vcc
	v_cndmask_b32_e32 v19, v19, v24, vcc
	v_lshlrev_b32_e32 v10, 24, v10
	v_bfrev_b32_e32 v21, 60
	v_lshlrev_b32_e32 v19, 20, v19
	v_and_b32_e32 v10, 0x80000000, v10
	v_lshl_add_u32 v12, v12, 23, v21
	v_or3_b32 v10, v10, v12, v19
	v_lshrrev_b32_e32 v19, 16, v10
.LBB870_567:
	s_or_b64 exec, exec, s[12:13]
.LBB870_568:
	s_or_b64 exec, exec, s[10:11]
.LBB870_569:
	s_or_b64 exec, exec, s[8:9]
	v_mov_b32_e32 v12, 0
	v_cmp_ne_u16_sdwa s[10:11], v13, v12 src0_sel:BYTE_0 src1_sel:DWORD
	v_mov_b32_e32 v21, 0
	s_and_saveexec_b64 s[8:9], s[10:11]
	s_cbranch_execz .LBB870_575
; %bb.570:
	s_movk_i32 s7, 0x80
	v_cmp_ne_u16_sdwa s[12:13], v13, s7 src0_sel:BYTE_0 src1_sel:DWORD
	v_mov_b32_e32 v21, 0xffff8000
	s_and_saveexec_b64 s[10:11], s[12:13]
	s_cbranch_execz .LBB870_574
; %bb.571:
	s_movk_i32 s7, 0x7f
	v_and_b32_e32 v10, 0x7f, v13
	v_cmp_ne_u32_e32 vcc, s7, v10
	v_mov_b32_e32 v21, 0x7f80
	s_and_saveexec_b64 s[12:13], vcc
	s_cbranch_execz .LBB870_573
; %bb.572:
	v_and_b32_e32 v21, 7, v13
	v_ffbh_u32_e32 v25, v21
	v_min_u32_e32 v27, 32, v25
	v_mov_b32_e32 v24, v13
	v_subrev_u32_e32 v25, 28, v27
	v_lshlrev_b64 v[24:25], v25, v[24:25]
	v_lshrrev_b32_e32 v23, 3, v10
	v_sub_u32_e32 v25, 29, v27
	v_and_b32_e32 v24, 7, v24
	v_cmp_gt_u32_e32 vcc, 8, v10
	v_cndmask_b32_e32 v10, v23, v25, vcc
	v_cndmask_b32_e32 v21, v21, v24, vcc
	v_lshlrev_b32_e32 v23, 24, v13
	v_bfrev_b32_e32 v24, 60
	v_lshlrev_b32_e32 v21, 20, v21
	v_and_b32_e32 v23, 0x80000000, v23
	v_lshl_add_u32 v10, v10, 23, v24
	v_or3_b32 v10, v23, v10, v21
	v_lshrrev_b32_e32 v21, 16, v10
.LBB870_573:
	s_or_b64 exec, exec, s[12:13]
.LBB870_574:
	s_or_b64 exec, exec, s[10:11]
.LBB870_575:
	s_or_b64 exec, exec, s[8:9]
	v_lshrrev_b16_e32 v10, 8, v13
	v_cmp_ne_u16_e32 vcc, 0, v10
	s_and_saveexec_b64 s[8:9], vcc
	s_cbranch_execz .LBB870_581
; %bb.576:
	s_movk_i32 s7, 0x80
	v_cmp_ne_u16_e32 vcc, s7, v10
	v_mov_b32_e32 v12, 0xffff8000
	s_and_saveexec_b64 s[10:11], vcc
	s_cbranch_execz .LBB870_580
; %bb.577:
	s_movk_i32 s7, 0x7f
	v_and_b32_e32 v23, 0x7f, v10
	v_cmp_ne_u32_e32 vcc, s7, v23
	v_mov_b32_e32 v12, 0x7f80
	s_and_saveexec_b64 s[12:13], vcc
	s_cbranch_execz .LBB870_579
; %bb.578:
	v_and_b32_e32 v12, 7, v10
	v_ffbh_u32_e32 v24, v12
	v_min_u32_e32 v28, 32, v24
	v_subrev_u32_e32 v24, 28, v28
	v_lshlrev_b64 v[24:25], v24, v[10:11]
	v_lshrrev_b32_e32 v27, 3, v23
	v_sub_u32_e32 v10, 29, v28
	v_and_b32_e32 v24, 7, v24
	v_cmp_gt_u32_e32 vcc, 8, v23
	v_cndmask_b32_e32 v10, v27, v10, vcc
	v_cndmask_b32_e32 v12, v12, v24, vcc
	v_lshlrev_b32_e32 v23, 16, v13
	v_bfrev_b32_e32 v24, 60
	v_lshlrev_b32_e32 v12, 20, v12
	v_and_b32_e32 v23, 0x80000000, v23
	v_lshl_add_u32 v10, v10, 23, v24
	v_or3_b32 v10, v23, v10, v12
	v_lshrrev_b32_e32 v12, 16, v10
.LBB870_579:
	s_or_b64 exec, exec, s[12:13]
.LBB870_580:
	s_or_b64 exec, exec, s[10:11]
.LBB870_581:
	s_or_b64 exec, exec, s[8:9]
	s_movk_i32 s7, 0xff
	v_and_b32_sdwa v25, v13, s7 dst_sel:DWORD dst_unused:UNUSED_PAD src0_sel:WORD_1 src1_sel:DWORD
	v_lshrrev_b32_e32 v10, 16, v13
	v_cmp_ne_u16_e32 vcc, 0, v25
	v_mov_b32_e32 v23, 0
	v_mov_b32_e32 v24, 0
	s_and_saveexec_b64 s[8:9], vcc
	s_cbranch_execz .LBB870_587
; %bb.582:
	s_movk_i32 s7, 0x80
	v_cmp_ne_u16_e32 vcc, s7, v25
	v_mov_b32_e32 v24, 0xffff8000
	s_and_saveexec_b64 s[10:11], vcc
	s_cbranch_execz .LBB870_586
; %bb.583:
	v_bfe_u32 v25, v13, 16, 7
	s_movk_i32 s7, 0x7f
	v_cmp_ne_u32_e32 vcc, s7, v25
	v_mov_b32_e32 v24, 0x7f80
	s_and_saveexec_b64 s[12:13], vcc
	s_cbranch_execz .LBB870_585
; %bb.584:
	v_and_b32_e32 v24, 7, v10
	v_ffbh_u32_e32 v28, v24
	v_min_u32_e32 v30, 32, v28
	v_subrev_u32_e32 v28, 28, v30
	v_lshlrev_b64 v[28:29], v28, v[10:11]
	v_lshrrev_b32_e32 v27, 3, v25
	v_sub_u32_e32 v10, 29, v30
	v_and_b32_e32 v28, 7, v28
	v_cmp_gt_u32_e32 vcc, 8, v25
	v_mov_b32_e32 v25, 24
	v_cndmask_b32_e32 v10, v27, v10, vcc
	v_cndmask_b32_e32 v24, v24, v28, vcc
	v_lshlrev_b32_sdwa v25, v25, v13 dst_sel:DWORD dst_unused:UNUSED_PAD src0_sel:DWORD src1_sel:WORD_1
	v_bfrev_b32_e32 v27, 60
	v_lshlrev_b32_e32 v24, 20, v24
	v_and_b32_e32 v25, 0x80000000, v25
	v_lshl_add_u32 v10, v10, 23, v27
	v_or3_b32 v10, v25, v10, v24
	v_lshrrev_b32_e32 v24, 16, v10
.LBB870_585:
	s_or_b64 exec, exec, s[12:13]
.LBB870_586:
	s_or_b64 exec, exec, s[10:11]
.LBB870_587:
	s_or_b64 exec, exec, s[8:9]
	s_mov_b32 s7, 0xffffff
	v_cmp_lt_u32_e32 vcc, s7, v13
	s_and_saveexec_b64 s[8:9], vcc
	s_cbranch_execz .LBB870_593
; %bb.588:
	v_lshrrev_b32_e32 v10, 24, v13
	s_movk_i32 s7, 0x80
	v_cmp_ne_u32_e32 vcc, s7, v10
	v_mov_b32_e32 v23, 0xffff8000
	s_and_saveexec_b64 s[10:11], vcc
	s_cbranch_execz .LBB870_592
; %bb.589:
	v_bfe_u32 v13, v13, 24, 7
	s_movk_i32 s7, 0x7f
	v_cmp_ne_u32_e32 vcc, s7, v13
	v_mov_b32_e32 v23, 0x7f80
	s_and_saveexec_b64 s[12:13], vcc
	s_cbranch_execz .LBB870_591
; %bb.590:
	v_and_b32_e32 v23, 7, v10
	v_ffbh_u32_e32 v27, v23
	v_min_u32_e32 v27, 32, v27
	v_subrev_u32_e32 v28, 28, v27
	v_lshlrev_b64 v[28:29], v28, v[10:11]
	v_lshrrev_b32_e32 v25, 3, v13
	v_sub_u32_e32 v27, 29, v27
	v_and_b32_e32 v28, 7, v28
	v_cmp_gt_u32_e32 vcc, 8, v13
	v_cndmask_b32_e32 v13, v25, v27, vcc
	v_cndmask_b32_e32 v23, v23, v28, vcc
	v_lshlrev_b32_e32 v10, 24, v10
	v_bfrev_b32_e32 v25, 60
	v_lshlrev_b32_e32 v23, 20, v23
	v_and_b32_e32 v10, 0x80000000, v10
	v_lshl_add_u32 v13, v13, 23, v25
	v_or3_b32 v10, v10, v13, v23
	v_lshrrev_b32_e32 v23, 16, v10
.LBB870_591:
	s_or_b64 exec, exec, s[12:13]
.LBB870_592:
	s_or_b64 exec, exec, s[10:11]
.LBB870_593:
	s_or_b64 exec, exec, s[8:9]
	s_mov_b32 s7, 0x5040100
	v_perm_b32 v19, v19, v20, s7
	v_perm_b32 v18, v11, v18, s7
	ds_read_b128 v[28:31], v22 offset:2064
	v_perm_b32 v11, v23, v24, s7
	v_perm_b32 v10, v12, v21, s7
	s_waitcnt lgkmcnt(0)
	v_mfma_f32_16x16x16bf16_1k v[32:35], v[18:19], v[28:29], v[14:17]
	s_nop 6
	v_mov_b32_e32 v15, 0
	s_waitcnt vmcnt(1)
	v_cmp_ne_u16_sdwa s[10:11], v6, v15 src0_sel:BYTE_0 src1_sel:DWORD
	v_mfma_f32_16x16x16bf16_1k v[10:13], v[10:11], v[30:31], v[32:35]
	v_mov_b32_e32 v16, 0
	s_and_saveexec_b64 s[8:9], s[10:11]
	s_cbranch_execz .LBB870_599
; %bb.594:
	s_movk_i32 s7, 0x80
	v_cmp_ne_u16_sdwa s[12:13], v6, s7 src0_sel:BYTE_0 src1_sel:DWORD
	v_mov_b32_e32 v16, 0xffff8000
	s_and_saveexec_b64 s[10:11], s[12:13]
	s_cbranch_execz .LBB870_598
; %bb.595:
	s_movk_i32 s7, 0x7f
	v_and_b32_e32 v14, 0x7f, v6
	v_cmp_ne_u32_e32 vcc, s7, v14
	v_mov_b32_e32 v16, 0x7f80
	s_and_saveexec_b64 s[12:13], vcc
	s_cbranch_execz .LBB870_597
; %bb.596:
	v_and_b32_e32 v18, 7, v6
	v_ffbh_u32_e32 v16, v18
	v_min_u32_e32 v20, 32, v16
	v_subrev_u32_e32 v16, 28, v20
	v_lshlrev_b64 v[16:17], v16, v[6:7]
	v_lshrrev_b32_e32 v19, 3, v14
	v_sub_u32_e32 v17, 29, v20
	v_and_b32_e32 v16, 7, v16
	v_cmp_gt_u32_e32 vcc, 8, v14
	v_cndmask_b32_e32 v14, v19, v17, vcc
	v_cndmask_b32_e32 v16, v18, v16, vcc
	v_lshlrev_b32_e32 v17, 24, v6
	v_bfrev_b32_e32 v18, 60
	v_lshlrev_b32_e32 v16, 20, v16
	v_and_b32_e32 v17, 0x80000000, v17
	v_lshl_add_u32 v14, v14, 23, v18
	v_or3_b32 v14, v17, v14, v16
	v_lshrrev_b32_e32 v16, 16, v14
.LBB870_597:
	s_or_b64 exec, exec, s[12:13]
.LBB870_598:
	s_or_b64 exec, exec, s[10:11]
.LBB870_599:
	s_or_b64 exec, exec, s[8:9]
	v_lshrrev_b16_e32 v14, 8, v6
	v_cmp_ne_u16_e32 vcc, 0, v14
	s_and_saveexec_b64 s[8:9], vcc
	s_cbranch_execz .LBB870_605
; %bb.600:
	s_movk_i32 s7, 0x80
	v_cmp_ne_u16_e32 vcc, s7, v14
	v_mov_b32_e32 v15, 0xffff8000
	s_and_saveexec_b64 s[10:11], vcc
	s_cbranch_execz .LBB870_604
; %bb.601:
	s_movk_i32 s7, 0x7f
	v_and_b32_e32 v17, 0x7f, v14
	v_cmp_ne_u32_e32 vcc, s7, v17
	v_mov_b32_e32 v15, 0x7f80
	s_and_saveexec_b64 s[12:13], vcc
	s_cbranch_execz .LBB870_603
; %bb.602:
	v_and_b32_e32 v18, 7, v14
	v_ffbh_u32_e32 v15, v18
	v_min_u32_e32 v20, 32, v15
	v_subrev_u32_e32 v15, 28, v20
	v_lshlrev_b64 v[14:15], v15, v[14:15]
	v_lshrrev_b32_e32 v19, 3, v17
	v_sub_u32_e32 v15, 29, v20
	v_and_b32_e32 v14, 7, v14
	v_cmp_gt_u32_e32 vcc, 8, v17
	v_cndmask_b32_e32 v15, v19, v15, vcc
	v_cndmask_b32_e32 v14, v18, v14, vcc
	v_lshlrev_b32_e32 v17, 16, v6
	v_bfrev_b32_e32 v18, 60
	v_lshlrev_b32_e32 v14, 20, v14
	v_and_b32_e32 v17, 0x80000000, v17
	v_lshl_add_u32 v15, v15, 23, v18
	v_or3_b32 v14, v17, v15, v14
	v_lshrrev_b32_e32 v15, 16, v14
.LBB870_603:
	s_or_b64 exec, exec, s[12:13]
.LBB870_604:
	s_or_b64 exec, exec, s[10:11]
.LBB870_605:
	s_or_b64 exec, exec, s[8:9]
	s_movk_i32 s7, 0xff
	v_and_b32_sdwa v19, v6, s7 dst_sel:DWORD dst_unused:UNUSED_PAD src0_sel:WORD_1 src1_sel:DWORD
	v_lshrrev_b32_e32 v14, 16, v6
	v_cmp_ne_u16_e32 vcc, 0, v19
	v_mov_b32_e32 v17, 0
	v_mov_b32_e32 v18, 0
	s_and_saveexec_b64 s[8:9], vcc
	s_cbranch_execz .LBB870_611
; %bb.606:
	s_movk_i32 s7, 0x80
	v_cmp_ne_u16_e32 vcc, s7, v19
	v_mov_b32_e32 v18, 0xffff8000
	s_and_saveexec_b64 s[10:11], vcc
	s_cbranch_execz .LBB870_610
; %bb.607:
	v_bfe_u32 v19, v6, 16, 7
	s_movk_i32 s7, 0x7f
	v_cmp_ne_u32_e32 vcc, s7, v19
	v_mov_b32_e32 v18, 0x7f80
	s_and_saveexec_b64 s[12:13], vcc
	s_cbranch_execz .LBB870_609
; %bb.608:
	v_and_b32_e32 v18, 7, v14
	v_ffbh_u32_e32 v20, v18
	v_min_u32_e32 v24, 32, v20
	v_subrev_u32_e32 v20, 28, v24
	v_lshlrev_b64 v[20:21], v20, v[14:15]
	v_lshrrev_b32_e32 v23, 3, v19
	v_sub_u32_e32 v14, 29, v24
	v_and_b32_e32 v20, 7, v20
	v_cmp_gt_u32_e32 vcc, 8, v19
	v_mov_b32_e32 v19, 24
	v_cndmask_b32_e32 v14, v23, v14, vcc
	v_cndmask_b32_e32 v18, v18, v20, vcc
	v_lshlrev_b32_sdwa v19, v19, v6 dst_sel:DWORD dst_unused:UNUSED_PAD src0_sel:DWORD src1_sel:WORD_1
	v_bfrev_b32_e32 v20, 60
	v_lshlrev_b32_e32 v18, 20, v18
	v_and_b32_e32 v19, 0x80000000, v19
	v_lshl_add_u32 v14, v14, 23, v20
	v_or3_b32 v14, v19, v14, v18
	v_lshrrev_b32_e32 v18, 16, v14
.LBB870_609:
	s_or_b64 exec, exec, s[12:13]
.LBB870_610:
	s_or_b64 exec, exec, s[10:11]
.LBB870_611:
	s_or_b64 exec, exec, s[8:9]
	s_mov_b32 s7, 0xffffff
	v_cmp_lt_u32_e32 vcc, s7, v6
	s_and_saveexec_b64 s[8:9], vcc
	s_cbranch_execz .LBB870_617
; %bb.612:
	v_lshrrev_b32_e32 v14, 24, v6
	s_movk_i32 s7, 0x80
	v_cmp_ne_u32_e32 vcc, s7, v14
	v_mov_b32_e32 v17, 0xffff8000
	s_and_saveexec_b64 s[10:11], vcc
	s_cbranch_execz .LBB870_616
; %bb.613:
	v_bfe_u32 v6, v6, 24, 7
	s_movk_i32 s7, 0x7f
	v_cmp_ne_u32_e32 vcc, s7, v6
	v_mov_b32_e32 v17, 0x7f80
	s_and_saveexec_b64 s[12:13], vcc
	s_cbranch_execz .LBB870_615
; %bb.614:
	v_and_b32_e32 v17, 7, v14
	v_ffbh_u32_e32 v20, v17
	v_min_u32_e32 v23, 32, v20
	v_subrev_u32_e32 v20, 28, v23
	v_lshlrev_b64 v[20:21], v20, v[14:15]
	v_lshrrev_b32_e32 v19, 3, v6
	v_sub_u32_e32 v21, 29, v23
	v_and_b32_e32 v20, 7, v20
	v_cmp_gt_u32_e32 vcc, 8, v6
	v_cndmask_b32_e32 v6, v19, v21, vcc
	v_cndmask_b32_e32 v17, v17, v20, vcc
	v_lshlrev_b32_e32 v14, 24, v14
	v_bfrev_b32_e32 v19, 60
	v_lshlrev_b32_e32 v17, 20, v17
	v_and_b32_e32 v14, 0x80000000, v14
	v_lshl_add_u32 v6, v6, 23, v19
	v_or3_b32 v6, v14, v6, v17
	v_lshrrev_b32_e32 v17, 16, v6
.LBB870_615:
	s_or_b64 exec, exec, s[12:13]
.LBB870_616:
	s_or_b64 exec, exec, s[10:11]
.LBB870_617:
	s_or_b64 exec, exec, s[8:9]
	v_mov_b32_e32 v14, 0
	v_cmp_ne_u16_sdwa s[10:11], v7, v14 src0_sel:BYTE_0 src1_sel:DWORD
	v_mov_b32_e32 v19, 0
	s_and_saveexec_b64 s[8:9], s[10:11]
	s_cbranch_execz .LBB870_623
; %bb.618:
	s_movk_i32 s7, 0x80
	v_cmp_ne_u16_sdwa s[12:13], v7, s7 src0_sel:BYTE_0 src1_sel:DWORD
	v_mov_b32_e32 v19, 0xffff8000
	s_and_saveexec_b64 s[10:11], s[12:13]
	s_cbranch_execz .LBB870_622
; %bb.619:
	s_movk_i32 s7, 0x7f
	v_and_b32_e32 v6, 0x7f, v7
	v_cmp_ne_u32_e32 vcc, s7, v6
	v_mov_b32_e32 v19, 0x7f80
	s_and_saveexec_b64 s[12:13], vcc
	s_cbranch_execz .LBB870_621
; %bb.620:
	v_and_b32_e32 v19, 7, v7
	v_ffbh_u32_e32 v21, v19
	v_min_u32_e32 v24, 32, v21
	v_mov_b32_e32 v20, v7
	v_subrev_u32_e32 v21, 28, v24
	v_lshlrev_b64 v[20:21], v21, v[20:21]
	v_lshrrev_b32_e32 v23, 3, v6
	v_sub_u32_e32 v21, 29, v24
	v_and_b32_e32 v20, 7, v20
	v_cmp_gt_u32_e32 vcc, 8, v6
	v_cndmask_b32_e32 v6, v23, v21, vcc
	v_cndmask_b32_e32 v19, v19, v20, vcc
	v_lshlrev_b32_e32 v20, 24, v7
	v_bfrev_b32_e32 v21, 60
	v_lshlrev_b32_e32 v19, 20, v19
	v_and_b32_e32 v20, 0x80000000, v20
	v_lshl_add_u32 v6, v6, 23, v21
	v_or3_b32 v6, v20, v6, v19
	v_lshrrev_b32_e32 v19, 16, v6
.LBB870_621:
	s_or_b64 exec, exec, s[12:13]
.LBB870_622:
	s_or_b64 exec, exec, s[10:11]
.LBB870_623:
	s_or_b64 exec, exec, s[8:9]
	v_lshrrev_b16_e32 v6, 8, v7
	v_cmp_ne_u16_e32 vcc, 0, v6
	s_and_saveexec_b64 s[8:9], vcc
	s_cbranch_execz .LBB870_629
; %bb.624:
	s_movk_i32 s7, 0x80
	v_cmp_ne_u16_e32 vcc, s7, v6
	v_mov_b32_e32 v14, 0xffff8000
	s_and_saveexec_b64 s[10:11], vcc
	s_cbranch_execz .LBB870_628
; %bb.625:
	s_movk_i32 s7, 0x7f
	v_and_b32_e32 v20, 0x7f, v6
	v_cmp_ne_u32_e32 vcc, s7, v20
	v_mov_b32_e32 v14, 0x7f80
	s_and_saveexec_b64 s[12:13], vcc
	s_cbranch_execz .LBB870_627
; %bb.626:
	v_and_b32_e32 v14, 7, v6
	v_ffbh_u32_e32 v23, v14
	v_min_u32_e32 v23, 32, v23
	v_subrev_u32_e32 v24, 28, v23
	v_lshlrev_b64 v[24:25], v24, v[6:7]
	v_lshrrev_b32_e32 v21, 3, v20
	v_sub_u32_e32 v6, 29, v23
	v_and_b32_e32 v23, 7, v24
	v_cmp_gt_u32_e32 vcc, 8, v20
	v_cndmask_b32_e32 v6, v21, v6, vcc
	v_cndmask_b32_e32 v14, v14, v23, vcc
	v_lshlrev_b32_e32 v20, 16, v7
	v_bfrev_b32_e32 v21, 60
	v_lshlrev_b32_e32 v14, 20, v14
	v_and_b32_e32 v20, 0x80000000, v20
	v_lshl_add_u32 v6, v6, 23, v21
	v_or3_b32 v6, v20, v6, v14
	v_lshrrev_b32_e32 v14, 16, v6
.LBB870_627:
	s_or_b64 exec, exec, s[12:13]
.LBB870_628:
	s_or_b64 exec, exec, s[10:11]
.LBB870_629:
	s_or_b64 exec, exec, s[8:9]
	s_movk_i32 s7, 0xff
	v_and_b32_sdwa v23, v7, s7 dst_sel:DWORD dst_unused:UNUSED_PAD src0_sel:WORD_1 src1_sel:DWORD
	v_lshrrev_b32_e32 v6, 16, v7
	v_cmp_ne_u16_e32 vcc, 0, v23
	v_mov_b32_e32 v20, 0
	v_mov_b32_e32 v21, 0
	s_and_saveexec_b64 s[8:9], vcc
	s_cbranch_execz .LBB870_635
; %bb.630:
	s_movk_i32 s7, 0x80
	v_cmp_ne_u16_e32 vcc, s7, v23
	v_mov_b32_e32 v21, 0xffff8000
	s_and_saveexec_b64 s[10:11], vcc
	s_cbranch_execz .LBB870_634
; %bb.631:
	v_bfe_u32 v23, v7, 16, 7
	s_movk_i32 s7, 0x7f
	v_cmp_ne_u32_e32 vcc, s7, v23
	v_mov_b32_e32 v21, 0x7f80
	s_and_saveexec_b64 s[12:13], vcc
	s_cbranch_execz .LBB870_633
; %bb.632:
	v_and_b32_e32 v21, 7, v6
	v_ffbh_u32_e32 v24, v21
	v_min_u32_e32 v28, 32, v24
	v_subrev_u32_e32 v24, 28, v28
	v_lshlrev_b64 v[24:25], v24, v[6:7]
	v_lshrrev_b32_e32 v27, 3, v23
	v_sub_u32_e32 v6, 29, v28
	v_and_b32_e32 v24, 7, v24
	v_cmp_gt_u32_e32 vcc, 8, v23
	v_mov_b32_e32 v23, 24
	v_cndmask_b32_e32 v6, v27, v6, vcc
	v_cndmask_b32_e32 v21, v21, v24, vcc
	v_lshlrev_b32_sdwa v23, v23, v7 dst_sel:DWORD dst_unused:UNUSED_PAD src0_sel:DWORD src1_sel:WORD_1
	v_bfrev_b32_e32 v24, 60
	v_lshlrev_b32_e32 v21, 20, v21
	v_and_b32_e32 v23, 0x80000000, v23
	v_lshl_add_u32 v6, v6, 23, v24
	v_or3_b32 v6, v23, v6, v21
	v_lshrrev_b32_e32 v21, 16, v6
.LBB870_633:
	s_or_b64 exec, exec, s[12:13]
.LBB870_634:
	s_or_b64 exec, exec, s[10:11]
.LBB870_635:
	s_or_b64 exec, exec, s[8:9]
	s_mov_b32 s7, 0xffffff
	v_cmp_lt_u32_e32 vcc, s7, v7
	s_and_saveexec_b64 s[8:9], vcc
	s_cbranch_execz .LBB870_641
; %bb.636:
	v_lshrrev_b32_e32 v6, 24, v7
	s_movk_i32 s7, 0x80
	v_cmp_ne_u32_e32 vcc, s7, v6
	v_mov_b32_e32 v20, 0xffff8000
	s_and_saveexec_b64 s[10:11], vcc
	s_cbranch_execz .LBB870_640
; %bb.637:
	v_bfe_u32 v7, v7, 24, 7
	s_movk_i32 s7, 0x7f
	v_cmp_ne_u32_e32 vcc, s7, v7
	v_mov_b32_e32 v20, 0x7f80
	s_and_saveexec_b64 s[12:13], vcc
	s_cbranch_execz .LBB870_639
; %bb.638:
	v_and_b32_e32 v20, 7, v6
	v_ffbh_u32_e32 v24, v20
	v_min_u32_e32 v27, 32, v24
	v_subrev_u32_e32 v24, 28, v27
	v_lshlrev_b64 v[24:25], v24, v[6:7]
	v_lshrrev_b32_e32 v23, 3, v7
	v_sub_u32_e32 v25, 29, v27
	v_and_b32_e32 v24, 7, v24
	v_cmp_gt_u32_e32 vcc, 8, v7
	v_cndmask_b32_e32 v7, v23, v25, vcc
	v_cndmask_b32_e32 v20, v20, v24, vcc
	v_lshlrev_b32_e32 v6, 24, v6
	v_bfrev_b32_e32 v23, 60
	v_lshlrev_b32_e32 v20, 20, v20
	v_and_b32_e32 v6, 0x80000000, v6
	v_lshl_add_u32 v7, v7, 23, v23
	v_or3_b32 v6, v6, v7, v20
	v_lshrrev_b32_e32 v20, 16, v6
.LBB870_639:
	s_or_b64 exec, exec, s[12:13]
.LBB870_640:
	s_or_b64 exec, exec, s[10:11]
.LBB870_641:
	s_or_b64 exec, exec, s[8:9]
	s_mov_b32 s7, 0x5040100
	v_perm_b32 v7, v17, v18, s7
	v_perm_b32 v6, v15, v16, s7
	ds_read_b128 v[28:31], v22 offset:4096
	v_perm_b32 v17, v20, v21, s7
	v_perm_b32 v16, v14, v19, s7
	s_waitcnt lgkmcnt(0)
	v_mfma_f32_16x16x16bf16_1k v[10:13], v[6:7], v[28:29], v[10:13]
	v_mov_b32_e32 v7, 0
	v_cmp_ne_u16_sdwa s[10:11], v8, v7 src0_sel:BYTE_0 src1_sel:DWORD
	v_mov_b32_e32 v14, 0
	v_mfma_f32_16x16x16bf16_1k v[10:13], v[16:17], v[30:31], v[10:13]
	s_and_saveexec_b64 s[8:9], s[10:11]
	s_cbranch_execz .LBB870_647
; %bb.642:
	s_movk_i32 s7, 0x80
	v_cmp_ne_u16_sdwa s[12:13], v8, s7 src0_sel:BYTE_0 src1_sel:DWORD
	v_mov_b32_e32 v14, 0xffff8000
	s_and_saveexec_b64 s[10:11], s[12:13]
	s_cbranch_execz .LBB870_646
; %bb.643:
	s_movk_i32 s7, 0x7f
	v_and_b32_e32 v6, 0x7f, v8
	v_cmp_ne_u32_e32 vcc, s7, v6
	v_mov_b32_e32 v14, 0x7f80
	s_and_saveexec_b64 s[12:13], vcc
	s_cbranch_execz .LBB870_645
; %bb.644:
	v_and_b32_e32 v16, 7, v8
	v_ffbh_u32_e32 v14, v16
	v_min_u32_e32 v18, 32, v14
	v_subrev_u32_e32 v14, 28, v18
	v_lshlrev_b64 v[14:15], v14, v[8:9]
	v_lshrrev_b32_e32 v17, 3, v6
	v_sub_u32_e32 v15, 29, v18
	v_and_b32_e32 v14, 7, v14
	v_cmp_gt_u32_e32 vcc, 8, v6
	v_cndmask_b32_e32 v6, v17, v15, vcc
	v_cndmask_b32_e32 v14, v16, v14, vcc
	v_lshlrev_b32_e32 v15, 24, v8
	v_bfrev_b32_e32 v16, 60
	v_lshlrev_b32_e32 v14, 20, v14
	v_and_b32_e32 v15, 0x80000000, v15
	v_lshl_add_u32 v6, v6, 23, v16
	v_or3_b32 v6, v15, v6, v14
	v_lshrrev_b32_e32 v14, 16, v6
.LBB870_645:
	s_or_b64 exec, exec, s[12:13]
.LBB870_646:
	s_or_b64 exec, exec, s[10:11]
.LBB870_647:
	s_or_b64 exec, exec, s[8:9]
	v_lshrrev_b16_e32 v6, 8, v8
	v_cmp_ne_u16_e32 vcc, 0, v6
	s_and_saveexec_b64 s[8:9], vcc
	s_cbranch_execz .LBB870_653
; %bb.648:
	s_movk_i32 s7, 0x80
	v_cmp_ne_u16_e32 vcc, s7, v6
	v_mov_b32_e32 v7, 0xffff8000
	s_and_saveexec_b64 s[10:11], vcc
	s_cbranch_execz .LBB870_652
; %bb.649:
	s_movk_i32 s7, 0x7f
	v_and_b32_e32 v15, 0x7f, v6
	v_cmp_ne_u32_e32 vcc, s7, v15
	v_mov_b32_e32 v7, 0x7f80
	s_and_saveexec_b64 s[12:13], vcc
	s_cbranch_execz .LBB870_651
; %bb.650:
	v_and_b32_e32 v16, 7, v6
	v_ffbh_u32_e32 v7, v16
	v_min_u32_e32 v18, 32, v7
	v_subrev_u32_e32 v7, 28, v18
	v_lshlrev_b64 v[6:7], v7, v[6:7]
	v_lshrrev_b32_e32 v17, 3, v15
	v_sub_u32_e32 v7, 29, v18
	v_and_b32_e32 v6, 7, v6
	v_cmp_gt_u32_e32 vcc, 8, v15
	v_cndmask_b32_e32 v7, v17, v7, vcc
	v_cndmask_b32_e32 v6, v16, v6, vcc
	v_lshlrev_b32_e32 v15, 16, v8
	v_bfrev_b32_e32 v16, 60
	v_lshlrev_b32_e32 v6, 20, v6
	v_and_b32_e32 v15, 0x80000000, v15
	v_lshl_add_u32 v7, v7, 23, v16
	v_or3_b32 v6, v15, v7, v6
	v_lshrrev_b32_e32 v7, 16, v6
.LBB870_651:
	s_or_b64 exec, exec, s[12:13]
.LBB870_652:
	s_or_b64 exec, exec, s[10:11]
.LBB870_653:
	s_or_b64 exec, exec, s[8:9]
	s_movk_i32 s7, 0xff
	v_and_b32_sdwa v17, v8, s7 dst_sel:DWORD dst_unused:UNUSED_PAD src0_sel:WORD_1 src1_sel:DWORD
	v_lshrrev_b32_e32 v6, 16, v8
	v_cmp_ne_u16_e32 vcc, 0, v17
	v_mov_b32_e32 v15, 0
	v_mov_b32_e32 v16, 0
	s_and_saveexec_b64 s[8:9], vcc
	s_cbranch_execz .LBB870_659
; %bb.654:
	s_movk_i32 s7, 0x80
	v_cmp_ne_u16_e32 vcc, s7, v17
	v_mov_b32_e32 v16, 0xffff8000
	s_and_saveexec_b64 s[10:11], vcc
	s_cbranch_execz .LBB870_658
; %bb.655:
	v_bfe_u32 v17, v8, 16, 7
	s_movk_i32 s7, 0x7f
	v_cmp_ne_u32_e32 vcc, s7, v17
	v_mov_b32_e32 v16, 0x7f80
	s_and_saveexec_b64 s[12:13], vcc
	s_cbranch_execz .LBB870_657
; %bb.656:
	v_and_b32_e32 v16, 7, v6
	v_ffbh_u32_e32 v18, v16
	v_min_u32_e32 v21, 32, v18
	v_subrev_u32_e32 v18, 28, v21
	v_lshlrev_b64 v[18:19], v18, v[6:7]
	v_lshrrev_b32_e32 v20, 3, v17
	v_sub_u32_e32 v6, 29, v21
	v_and_b32_e32 v18, 7, v18
	v_cmp_gt_u32_e32 vcc, 8, v17
	v_mov_b32_e32 v17, 24
	v_cndmask_b32_e32 v6, v20, v6, vcc
	v_cndmask_b32_e32 v16, v16, v18, vcc
	v_lshlrev_b32_sdwa v17, v17, v8 dst_sel:DWORD dst_unused:UNUSED_PAD src0_sel:DWORD src1_sel:WORD_1
	v_bfrev_b32_e32 v18, 60
	v_lshlrev_b32_e32 v16, 20, v16
	v_and_b32_e32 v17, 0x80000000, v17
	v_lshl_add_u32 v6, v6, 23, v18
	v_or3_b32 v6, v17, v6, v16
	v_lshrrev_b32_e32 v16, 16, v6
.LBB870_657:
	s_or_b64 exec, exec, s[12:13]
.LBB870_658:
	s_or_b64 exec, exec, s[10:11]
.LBB870_659:
	s_or_b64 exec, exec, s[8:9]
	s_mov_b32 s7, 0xffffff
	v_cmp_lt_u32_e32 vcc, s7, v8
	s_and_saveexec_b64 s[8:9], vcc
	s_cbranch_execz .LBB870_665
; %bb.660:
	v_lshrrev_b32_e32 v6, 24, v8
	s_movk_i32 s7, 0x80
	v_cmp_ne_u32_e32 vcc, s7, v6
	v_mov_b32_e32 v15, 0xffff8000
	s_and_saveexec_b64 s[10:11], vcc
	s_cbranch_execz .LBB870_664
; %bb.661:
	v_bfe_u32 v8, v8, 24, 7
	s_movk_i32 s7, 0x7f
	v_cmp_ne_u32_e32 vcc, s7, v8
	v_mov_b32_e32 v15, 0x7f80
	s_and_saveexec_b64 s[12:13], vcc
	s_cbranch_execz .LBB870_663
; %bb.662:
	v_and_b32_e32 v15, 7, v6
	v_ffbh_u32_e32 v18, v15
	v_min_u32_e32 v20, 32, v18
	v_subrev_u32_e32 v18, 28, v20
	v_lshlrev_b64 v[18:19], v18, v[6:7]
	v_lshrrev_b32_e32 v17, 3, v8
	v_sub_u32_e32 v19, 29, v20
	v_and_b32_e32 v18, 7, v18
	v_cmp_gt_u32_e32 vcc, 8, v8
	v_cndmask_b32_e32 v8, v17, v19, vcc
	v_cndmask_b32_e32 v15, v15, v18, vcc
	v_lshlrev_b32_e32 v6, 24, v6
	v_bfrev_b32_e32 v17, 60
	v_lshlrev_b32_e32 v15, 20, v15
	v_and_b32_e32 v6, 0x80000000, v6
	v_lshl_add_u32 v8, v8, 23, v17
	v_or3_b32 v6, v6, v8, v15
	v_lshrrev_b32_e32 v15, 16, v6
.LBB870_663:
	s_or_b64 exec, exec, s[12:13]
.LBB870_664:
	s_or_b64 exec, exec, s[10:11]
.LBB870_665:
	s_or_b64 exec, exec, s[8:9]
	v_mov_b32_e32 v8, 0
	v_cmp_ne_u16_sdwa s[10:11], v9, v8 src0_sel:BYTE_0 src1_sel:DWORD
	v_mov_b32_e32 v17, 0
	s_and_saveexec_b64 s[8:9], s[10:11]
	s_cbranch_execz .LBB870_671
; %bb.666:
	s_movk_i32 s7, 0x80
	v_cmp_ne_u16_sdwa s[12:13], v9, s7 src0_sel:BYTE_0 src1_sel:DWORD
	v_mov_b32_e32 v17, 0xffff8000
	s_and_saveexec_b64 s[10:11], s[12:13]
	s_cbranch_execz .LBB870_670
; %bb.667:
	s_movk_i32 s7, 0x7f
	v_and_b32_e32 v6, 0x7f, v9
	v_cmp_ne_u32_e32 vcc, s7, v6
	v_mov_b32_e32 v17, 0x7f80
	s_and_saveexec_b64 s[12:13], vcc
	s_cbranch_execz .LBB870_669
; %bb.668:
	v_and_b32_e32 v17, 7, v9
	v_ffbh_u32_e32 v19, v17
	v_min_u32_e32 v21, 32, v19
	v_mov_b32_e32 v18, v9
	v_subrev_u32_e32 v19, 28, v21
	v_lshlrev_b64 v[18:19], v19, v[18:19]
	v_lshrrev_b32_e32 v20, 3, v6
	v_sub_u32_e32 v19, 29, v21
	v_and_b32_e32 v18, 7, v18
	v_cmp_gt_u32_e32 vcc, 8, v6
	v_cndmask_b32_e32 v6, v20, v19, vcc
	v_cndmask_b32_e32 v17, v17, v18, vcc
	v_lshlrev_b32_e32 v18, 24, v9
	v_bfrev_b32_e32 v19, 60
	v_lshlrev_b32_e32 v17, 20, v17
	v_and_b32_e32 v18, 0x80000000, v18
	v_lshl_add_u32 v6, v6, 23, v19
	v_or3_b32 v6, v18, v6, v17
	v_lshrrev_b32_e32 v17, 16, v6
.LBB870_669:
	s_or_b64 exec, exec, s[12:13]
.LBB870_670:
	s_or_b64 exec, exec, s[10:11]
.LBB870_671:
	s_or_b64 exec, exec, s[8:9]
	v_lshrrev_b16_e32 v6, 8, v9
	v_cmp_ne_u16_e32 vcc, 0, v6
	s_and_saveexec_b64 s[8:9], vcc
	s_cbranch_execz .LBB870_677
; %bb.672:
	s_movk_i32 s7, 0x80
	v_cmp_ne_u16_e32 vcc, s7, v6
	v_mov_b32_e32 v8, 0xffff8000
	s_and_saveexec_b64 s[10:11], vcc
	s_cbranch_execz .LBB870_676
; %bb.673:
	s_movk_i32 s7, 0x7f
	v_and_b32_e32 v18, 0x7f, v6
	v_cmp_ne_u32_e32 vcc, s7, v18
	v_mov_b32_e32 v8, 0x7f80
	s_and_saveexec_b64 s[12:13], vcc
	s_cbranch_execz .LBB870_675
; %bb.674:
	v_and_b32_e32 v8, 7, v6
	v_ffbh_u32_e32 v20, v8
	v_min_u32_e32 v23, 32, v20
	v_subrev_u32_e32 v20, 28, v23
	v_lshlrev_b64 v[20:21], v20, v[6:7]
	v_lshrrev_b32_e32 v19, 3, v18
	v_sub_u32_e32 v6, 29, v23
	v_and_b32_e32 v20, 7, v20
	v_cmp_gt_u32_e32 vcc, 8, v18
	v_cndmask_b32_e32 v6, v19, v6, vcc
	v_cndmask_b32_e32 v8, v8, v20, vcc
	v_lshlrev_b32_e32 v18, 16, v9
	v_bfrev_b32_e32 v19, 60
	v_lshlrev_b32_e32 v8, 20, v8
	v_and_b32_e32 v18, 0x80000000, v18
	v_lshl_add_u32 v6, v6, 23, v19
	v_or3_b32 v6, v18, v6, v8
	v_lshrrev_b32_e32 v8, 16, v6
.LBB870_675:
	s_or_b64 exec, exec, s[12:13]
.LBB870_676:
	s_or_b64 exec, exec, s[10:11]
.LBB870_677:
	s_or_b64 exec, exec, s[8:9]
	s_movk_i32 s7, 0xff
	v_and_b32_sdwa v20, v9, s7 dst_sel:DWORD dst_unused:UNUSED_PAD src0_sel:WORD_1 src1_sel:DWORD
	v_lshrrev_b32_e32 v6, 16, v9
	v_cmp_ne_u16_e32 vcc, 0, v20
	v_mov_b32_e32 v18, 0
	v_mov_b32_e32 v19, 0
	s_and_saveexec_b64 s[8:9], vcc
	s_cbranch_execz .LBB870_683
; %bb.678:
	s_movk_i32 s7, 0x80
	v_cmp_ne_u16_e32 vcc, s7, v20
	v_mov_b32_e32 v19, 0xffff8000
	s_and_saveexec_b64 s[10:11], vcc
	s_cbranch_execz .LBB870_682
; %bb.679:
	v_bfe_u32 v20, v9, 16, 7
	s_movk_i32 s7, 0x7f
	v_cmp_ne_u32_e32 vcc, s7, v20
	v_mov_b32_e32 v19, 0x7f80
	s_and_saveexec_b64 s[12:13], vcc
	s_cbranch_execz .LBB870_681
; %bb.680:
	v_and_b32_e32 v19, 7, v6
	v_ffbh_u32_e32 v23, v19
	v_min_u32_e32 v23, 32, v23
	v_subrev_u32_e32 v24, 28, v23
	v_lshlrev_b64 v[24:25], v24, v[6:7]
	v_lshrrev_b32_e32 v21, 3, v20
	v_sub_u32_e32 v6, 29, v23
	v_and_b32_e32 v23, 7, v24
	v_cmp_gt_u32_e32 vcc, 8, v20
	v_mov_b32_e32 v20, 24
	v_cndmask_b32_e32 v6, v21, v6, vcc
	v_cndmask_b32_e32 v19, v19, v23, vcc
	v_lshlrev_b32_sdwa v20, v20, v9 dst_sel:DWORD dst_unused:UNUSED_PAD src0_sel:DWORD src1_sel:WORD_1
	v_bfrev_b32_e32 v21, 60
	v_lshlrev_b32_e32 v19, 20, v19
	v_and_b32_e32 v20, 0x80000000, v20
	v_lshl_add_u32 v6, v6, 23, v21
	v_or3_b32 v6, v20, v6, v19
	v_lshrrev_b32_e32 v19, 16, v6
.LBB870_681:
	s_or_b64 exec, exec, s[12:13]
.LBB870_682:
	s_or_b64 exec, exec, s[10:11]
.LBB870_683:
	s_or_b64 exec, exec, s[8:9]
	s_mov_b32 s7, 0xffffff
	v_cmp_lt_u32_e32 vcc, s7, v9
	s_and_saveexec_b64 s[8:9], vcc
	s_cbranch_execz .LBB870_689
; %bb.684:
	v_lshrrev_b32_e32 v6, 24, v9
	s_movk_i32 s7, 0x80
	v_cmp_ne_u32_e32 vcc, s7, v6
	v_mov_b32_e32 v18, 0xffff8000
	s_and_saveexec_b64 s[10:11], vcc
	s_cbranch_execz .LBB870_688
; %bb.685:
	v_bfe_u32 v9, v9, 24, 7
	s_movk_i32 s7, 0x7f
	v_cmp_ne_u32_e32 vcc, s7, v9
	v_mov_b32_e32 v18, 0x7f80
	s_and_saveexec_b64 s[12:13], vcc
	s_cbranch_execz .LBB870_687
; %bb.686:
	v_and_b32_e32 v18, 7, v6
	v_ffbh_u32_e32 v20, v18
	v_min_u32_e32 v24, 32, v20
	v_subrev_u32_e32 v20, 28, v24
	v_lshlrev_b64 v[20:21], v20, v[6:7]
	v_lshrrev_b32_e32 v23, 3, v9
	v_sub_u32_e32 v21, 29, v24
	v_and_b32_e32 v20, 7, v20
	v_cmp_gt_u32_e32 vcc, 8, v9
	v_cndmask_b32_e32 v9, v23, v21, vcc
	v_cndmask_b32_e32 v18, v18, v20, vcc
	v_lshlrev_b32_e32 v6, 24, v6
	v_bfrev_b32_e32 v20, 60
	v_lshlrev_b32_e32 v18, 20, v18
	v_and_b32_e32 v6, 0x80000000, v6
	v_lshl_add_u32 v9, v9, 23, v20
	v_or3_b32 v6, v6, v9, v18
	v_lshrrev_b32_e32 v18, 16, v6
.LBB870_687:
	s_or_b64 exec, exec, s[12:13]
.LBB870_688:
	s_or_b64 exec, exec, s[10:11]
.LBB870_689:
	s_or_b64 exec, exec, s[8:9]
	s_mov_b32 s7, 0x5040100
	v_perm_b32 v15, v15, v16, s7
	v_perm_b32 v14, v7, v14, s7
	ds_read_b128 v[28:31], v22 offset:4112
	v_perm_b32 v7, v18, v19, s7
	v_perm_b32 v6, v8, v17, s7
	s_waitcnt lgkmcnt(0)
	v_mfma_f32_16x16x16bf16_1k v[32:35], v[14:15], v[28:29], v[10:13]
	s_nop 6
	v_mov_b32_e32 v11, 0
	s_waitcnt vmcnt(0)
	v_cmp_ne_u16_sdwa s[10:11], v2, v11 src0_sel:BYTE_0 src1_sel:DWORD
	v_mfma_f32_16x16x16bf16_1k v[6:9], v[6:7], v[30:31], v[32:35]
	v_mov_b32_e32 v12, 0
	s_and_saveexec_b64 s[8:9], s[10:11]
	s_cbranch_execz .LBB870_695
; %bb.690:
	s_movk_i32 s7, 0x80
	v_cmp_ne_u16_sdwa s[12:13], v2, s7 src0_sel:BYTE_0 src1_sel:DWORD
	v_mov_b32_e32 v12, 0xffff8000
	s_and_saveexec_b64 s[10:11], s[12:13]
	s_cbranch_execz .LBB870_694
; %bb.691:
	s_movk_i32 s7, 0x7f
	v_and_b32_e32 v10, 0x7f, v2
	v_cmp_ne_u32_e32 vcc, s7, v10
	v_mov_b32_e32 v12, 0x7f80
	s_and_saveexec_b64 s[12:13], vcc
	s_cbranch_execz .LBB870_693
; %bb.692:
	v_and_b32_e32 v14, 7, v2
	v_ffbh_u32_e32 v12, v14
	v_min_u32_e32 v16, 32, v12
	v_subrev_u32_e32 v12, 28, v16
	v_lshlrev_b64 v[12:13], v12, v[2:3]
	v_lshrrev_b32_e32 v15, 3, v10
	v_sub_u32_e32 v13, 29, v16
	v_and_b32_e32 v12, 7, v12
	v_cmp_gt_u32_e32 vcc, 8, v10
	v_cndmask_b32_e32 v10, v15, v13, vcc
	v_cndmask_b32_e32 v12, v14, v12, vcc
	v_lshlrev_b32_e32 v13, 24, v2
	v_bfrev_b32_e32 v14, 60
	v_lshlrev_b32_e32 v12, 20, v12
	v_and_b32_e32 v13, 0x80000000, v13
	v_lshl_add_u32 v10, v10, 23, v14
	v_or3_b32 v10, v13, v10, v12
	v_lshrrev_b32_e32 v12, 16, v10
.LBB870_693:
	s_or_b64 exec, exec, s[12:13]
.LBB870_694:
	s_or_b64 exec, exec, s[10:11]
.LBB870_695:
	s_or_b64 exec, exec, s[8:9]
	v_lshrrev_b16_e32 v10, 8, v2
	v_cmp_ne_u16_e32 vcc, 0, v10
	s_and_saveexec_b64 s[8:9], vcc
	s_cbranch_execz .LBB870_701
; %bb.696:
	s_movk_i32 s7, 0x80
	v_cmp_ne_u16_e32 vcc, s7, v10
	v_mov_b32_e32 v11, 0xffff8000
	s_and_saveexec_b64 s[10:11], vcc
	s_cbranch_execz .LBB870_700
; %bb.697:
	s_movk_i32 s7, 0x7f
	v_and_b32_e32 v13, 0x7f, v10
	v_cmp_ne_u32_e32 vcc, s7, v13
	v_mov_b32_e32 v11, 0x7f80
	s_and_saveexec_b64 s[12:13], vcc
	s_cbranch_execz .LBB870_699
; %bb.698:
	v_and_b32_e32 v14, 7, v10
	v_ffbh_u32_e32 v11, v14
	v_min_u32_e32 v16, 32, v11
	v_subrev_u32_e32 v11, 28, v16
	v_lshlrev_b64 v[10:11], v11, v[10:11]
	v_lshrrev_b32_e32 v15, 3, v13
	v_sub_u32_e32 v11, 29, v16
	v_and_b32_e32 v10, 7, v10
	v_cmp_gt_u32_e32 vcc, 8, v13
	v_cndmask_b32_e32 v11, v15, v11, vcc
	v_cndmask_b32_e32 v10, v14, v10, vcc
	v_lshlrev_b32_e32 v13, 16, v2
	v_bfrev_b32_e32 v14, 60
	v_lshlrev_b32_e32 v10, 20, v10
	v_and_b32_e32 v13, 0x80000000, v13
	v_lshl_add_u32 v11, v11, 23, v14
	v_or3_b32 v10, v13, v11, v10
	v_lshrrev_b32_e32 v11, 16, v10
.LBB870_699:
	s_or_b64 exec, exec, s[12:13]
.LBB870_700:
	s_or_b64 exec, exec, s[10:11]
.LBB870_701:
	s_or_b64 exec, exec, s[8:9]
	s_movk_i32 s7, 0xff
	v_and_b32_sdwa v15, v2, s7 dst_sel:DWORD dst_unused:UNUSED_PAD src0_sel:WORD_1 src1_sel:DWORD
	v_lshrrev_b32_e32 v10, 16, v2
	v_cmp_ne_u16_e32 vcc, 0, v15
	v_mov_b32_e32 v13, 0
	v_mov_b32_e32 v14, 0
	s_and_saveexec_b64 s[8:9], vcc
	s_cbranch_execz .LBB870_707
; %bb.702:
	s_movk_i32 s7, 0x80
	v_cmp_ne_u16_e32 vcc, s7, v15
	v_mov_b32_e32 v14, 0xffff8000
	s_and_saveexec_b64 s[10:11], vcc
	s_cbranch_execz .LBB870_706
; %bb.703:
	v_bfe_u32 v15, v2, 16, 7
	s_movk_i32 s7, 0x7f
	v_cmp_ne_u32_e32 vcc, s7, v15
	v_mov_b32_e32 v14, 0x7f80
	s_and_saveexec_b64 s[12:13], vcc
	s_cbranch_execz .LBB870_705
; %bb.704:
	v_and_b32_e32 v14, 7, v10
	v_ffbh_u32_e32 v16, v14
	v_min_u32_e32 v19, 32, v16
	v_subrev_u32_e32 v16, 28, v19
	v_lshlrev_b64 v[16:17], v16, v[10:11]
	v_lshrrev_b32_e32 v18, 3, v15
	v_sub_u32_e32 v10, 29, v19
	v_and_b32_e32 v16, 7, v16
	v_cmp_gt_u32_e32 vcc, 8, v15
	v_mov_b32_e32 v15, 24
	v_cndmask_b32_e32 v10, v18, v10, vcc
	v_cndmask_b32_e32 v14, v14, v16, vcc
	v_lshlrev_b32_sdwa v15, v15, v2 dst_sel:DWORD dst_unused:UNUSED_PAD src0_sel:DWORD src1_sel:WORD_1
	v_bfrev_b32_e32 v16, 60
	v_lshlrev_b32_e32 v14, 20, v14
	v_and_b32_e32 v15, 0x80000000, v15
	v_lshl_add_u32 v10, v10, 23, v16
	v_or3_b32 v10, v15, v10, v14
	v_lshrrev_b32_e32 v14, 16, v10
.LBB870_705:
	s_or_b64 exec, exec, s[12:13]
.LBB870_706:
	s_or_b64 exec, exec, s[10:11]
.LBB870_707:
	s_or_b64 exec, exec, s[8:9]
	s_mov_b32 s7, 0xffffff
	v_cmp_lt_u32_e32 vcc, s7, v2
	s_and_saveexec_b64 s[8:9], vcc
	s_cbranch_execz .LBB870_713
; %bb.708:
	v_lshrrev_b32_e32 v10, 24, v2
	s_movk_i32 s7, 0x80
	v_cmp_ne_u32_e32 vcc, s7, v10
	v_mov_b32_e32 v13, 0xffff8000
	s_and_saveexec_b64 s[10:11], vcc
	s_cbranch_execz .LBB870_712
; %bb.709:
	v_bfe_u32 v2, v2, 24, 7
	s_movk_i32 s7, 0x7f
	v_cmp_ne_u32_e32 vcc, s7, v2
	v_mov_b32_e32 v13, 0x7f80
	s_and_saveexec_b64 s[12:13], vcc
	s_cbranch_execz .LBB870_711
; %bb.710:
	v_and_b32_e32 v13, 7, v10
	v_ffbh_u32_e32 v16, v13
	v_min_u32_e32 v18, 32, v16
	v_subrev_u32_e32 v16, 28, v18
	v_lshlrev_b64 v[16:17], v16, v[10:11]
	v_lshrrev_b32_e32 v15, 3, v2
	v_sub_u32_e32 v17, 29, v18
	v_and_b32_e32 v16, 7, v16
	v_cmp_gt_u32_e32 vcc, 8, v2
	v_cndmask_b32_e32 v2, v15, v17, vcc
	v_cndmask_b32_e32 v13, v13, v16, vcc
	v_lshlrev_b32_e32 v10, 24, v10
	v_bfrev_b32_e32 v15, 60
	v_lshlrev_b32_e32 v13, 20, v13
	v_and_b32_e32 v10, 0x80000000, v10
	v_lshl_add_u32 v2, v2, 23, v15
	v_or3_b32 v2, v10, v2, v13
	v_lshrrev_b32_e32 v13, 16, v2
.LBB870_711:
	s_or_b64 exec, exec, s[12:13]
.LBB870_712:
	s_or_b64 exec, exec, s[10:11]
.LBB870_713:
	s_or_b64 exec, exec, s[8:9]
	v_mov_b32_e32 v10, 0
	v_cmp_ne_u16_sdwa s[10:11], v3, v10 src0_sel:BYTE_0 src1_sel:DWORD
	v_mov_b32_e32 v15, 0
	s_and_saveexec_b64 s[8:9], s[10:11]
	s_cbranch_execz .LBB870_719
; %bb.714:
	s_movk_i32 s7, 0x80
	v_cmp_ne_u16_sdwa s[12:13], v3, s7 src0_sel:BYTE_0 src1_sel:DWORD
	v_mov_b32_e32 v15, 0xffff8000
	s_and_saveexec_b64 s[10:11], s[12:13]
	s_cbranch_execz .LBB870_718
; %bb.715:
	s_movk_i32 s7, 0x7f
	v_and_b32_e32 v2, 0x7f, v3
	v_cmp_ne_u32_e32 vcc, s7, v2
	v_mov_b32_e32 v15, 0x7f80
	s_and_saveexec_b64 s[12:13], vcc
	s_cbranch_execz .LBB870_717
; %bb.716:
	v_and_b32_e32 v15, 7, v3
	v_ffbh_u32_e32 v17, v15
	v_min_u32_e32 v19, 32, v17
	v_mov_b32_e32 v16, v3
	v_subrev_u32_e32 v17, 28, v19
	v_lshlrev_b64 v[16:17], v17, v[16:17]
	v_lshrrev_b32_e32 v18, 3, v2
	v_sub_u32_e32 v17, 29, v19
	v_and_b32_e32 v16, 7, v16
	v_cmp_gt_u32_e32 vcc, 8, v2
	v_cndmask_b32_e32 v2, v18, v17, vcc
	v_cndmask_b32_e32 v15, v15, v16, vcc
	v_lshlrev_b32_e32 v16, 24, v3
	v_bfrev_b32_e32 v17, 60
	v_lshlrev_b32_e32 v15, 20, v15
	v_and_b32_e32 v16, 0x80000000, v16
	v_lshl_add_u32 v2, v2, 23, v17
	v_or3_b32 v2, v16, v2, v15
	v_lshrrev_b32_e32 v15, 16, v2
.LBB870_717:
	s_or_b64 exec, exec, s[12:13]
.LBB870_718:
	s_or_b64 exec, exec, s[10:11]
.LBB870_719:
	s_or_b64 exec, exec, s[8:9]
	v_lshrrev_b16_e32 v2, 8, v3
	v_cmp_ne_u16_e32 vcc, 0, v2
	s_and_saveexec_b64 s[8:9], vcc
	s_cbranch_execz .LBB870_725
; %bb.720:
	s_movk_i32 s7, 0x80
	v_cmp_ne_u16_e32 vcc, s7, v2
	v_mov_b32_e32 v10, 0xffff8000
	s_and_saveexec_b64 s[10:11], vcc
	s_cbranch_execz .LBB870_724
; %bb.721:
	s_movk_i32 s7, 0x7f
	v_and_b32_e32 v16, 0x7f, v2
	v_cmp_ne_u32_e32 vcc, s7, v16
	v_mov_b32_e32 v10, 0x7f80
	s_and_saveexec_b64 s[12:13], vcc
	s_cbranch_execz .LBB870_723
; %bb.722:
	v_and_b32_e32 v10, 7, v2
	v_ffbh_u32_e32 v18, v10
	v_min_u32_e32 v20, 32, v18
	v_subrev_u32_e32 v18, 28, v20
	v_lshlrev_b64 v[18:19], v18, v[2:3]
	v_lshrrev_b32_e32 v17, 3, v16
	v_sub_u32_e32 v2, 29, v20
	v_and_b32_e32 v18, 7, v18
	v_cmp_gt_u32_e32 vcc, 8, v16
	v_cndmask_b32_e32 v2, v17, v2, vcc
	v_cndmask_b32_e32 v10, v10, v18, vcc
	v_lshlrev_b32_e32 v16, 16, v3
	v_bfrev_b32_e32 v17, 60
	v_lshlrev_b32_e32 v10, 20, v10
	v_and_b32_e32 v16, 0x80000000, v16
	v_lshl_add_u32 v2, v2, 23, v17
	v_or3_b32 v2, v16, v2, v10
	v_lshrrev_b32_e32 v10, 16, v2
.LBB870_723:
	s_or_b64 exec, exec, s[12:13]
.LBB870_724:
	s_or_b64 exec, exec, s[10:11]
.LBB870_725:
	s_or_b64 exec, exec, s[8:9]
	s_movk_i32 s7, 0xff
	v_and_b32_sdwa v18, v3, s7 dst_sel:DWORD dst_unused:UNUSED_PAD src0_sel:WORD_1 src1_sel:DWORD
	v_lshrrev_b32_e32 v2, 16, v3
	v_cmp_ne_u16_e32 vcc, 0, v18
	v_mov_b32_e32 v16, 0
	v_mov_b32_e32 v17, 0
	s_and_saveexec_b64 s[8:9], vcc
	s_cbranch_execz .LBB870_731
; %bb.726:
	s_movk_i32 s7, 0x80
	v_cmp_ne_u16_e32 vcc, s7, v18
	v_mov_b32_e32 v17, 0xffff8000
	s_and_saveexec_b64 s[10:11], vcc
	s_cbranch_execz .LBB870_730
; %bb.727:
	v_bfe_u32 v18, v3, 16, 7
	s_movk_i32 s7, 0x7f
	v_cmp_ne_u32_e32 vcc, s7, v18
	v_mov_b32_e32 v17, 0x7f80
	s_and_saveexec_b64 s[12:13], vcc
	s_cbranch_execz .LBB870_729
; %bb.728:
	v_and_b32_e32 v17, 7, v2
	v_ffbh_u32_e32 v20, v17
	v_min_u32_e32 v23, 32, v20
	v_subrev_u32_e32 v20, 28, v23
	v_lshlrev_b64 v[20:21], v20, v[2:3]
	v_lshrrev_b32_e32 v19, 3, v18
	v_sub_u32_e32 v2, 29, v23
	v_and_b32_e32 v20, 7, v20
	v_cmp_gt_u32_e32 vcc, 8, v18
	v_mov_b32_e32 v18, 24
	v_cndmask_b32_e32 v2, v19, v2, vcc
	v_cndmask_b32_e32 v17, v17, v20, vcc
	v_lshlrev_b32_sdwa v18, v18, v3 dst_sel:DWORD dst_unused:UNUSED_PAD src0_sel:DWORD src1_sel:WORD_1
	v_bfrev_b32_e32 v19, 60
	v_lshlrev_b32_e32 v17, 20, v17
	v_and_b32_e32 v18, 0x80000000, v18
	v_lshl_add_u32 v2, v2, 23, v19
	v_or3_b32 v2, v18, v2, v17
	v_lshrrev_b32_e32 v17, 16, v2
.LBB870_729:
	s_or_b64 exec, exec, s[12:13]
.LBB870_730:
	s_or_b64 exec, exec, s[10:11]
.LBB870_731:
	s_or_b64 exec, exec, s[8:9]
	s_mov_b32 s7, 0xffffff
	v_cmp_lt_u32_e32 vcc, s7, v3
	s_and_saveexec_b64 s[8:9], vcc
	s_cbranch_execz .LBB870_737
; %bb.732:
	v_lshrrev_b32_e32 v2, 24, v3
	s_movk_i32 s7, 0x80
	v_cmp_ne_u32_e32 vcc, s7, v2
	v_mov_b32_e32 v16, 0xffff8000
	s_and_saveexec_b64 s[10:11], vcc
	s_cbranch_execz .LBB870_736
; %bb.733:
	v_bfe_u32 v3, v3, 24, 7
	s_movk_i32 s7, 0x7f
	v_cmp_ne_u32_e32 vcc, s7, v3
	v_mov_b32_e32 v16, 0x7f80
	s_and_saveexec_b64 s[12:13], vcc
	s_cbranch_execz .LBB870_735
; %bb.734:
	v_and_b32_e32 v16, 7, v2
	v_ffbh_u32_e32 v18, v16
	v_min_u32_e32 v21, 32, v18
	v_subrev_u32_e32 v18, 28, v21
	v_lshlrev_b64 v[18:19], v18, v[2:3]
	v_lshrrev_b32_e32 v20, 3, v3
	v_sub_u32_e32 v19, 29, v21
	v_and_b32_e32 v18, 7, v18
	v_cmp_gt_u32_e32 vcc, 8, v3
	v_cndmask_b32_e32 v3, v20, v19, vcc
	v_cndmask_b32_e32 v16, v16, v18, vcc
	v_lshlrev_b32_e32 v2, 24, v2
	v_bfrev_b32_e32 v18, 60
	v_lshlrev_b32_e32 v16, 20, v16
	v_and_b32_e32 v2, 0x80000000, v2
	v_lshl_add_u32 v3, v3, 23, v18
	v_or3_b32 v2, v2, v3, v16
	v_lshrrev_b32_e32 v16, 16, v2
.LBB870_735:
	s_or_b64 exec, exec, s[12:13]
.LBB870_736:
	s_or_b64 exec, exec, s[10:11]
.LBB870_737:
	s_or_b64 exec, exec, s[8:9]
	s_mov_b32 s7, 0x5040100
	v_perm_b32 v3, v13, v14, s7
	v_perm_b32 v2, v11, v12, s7
	ds_read_b128 v[18:21], v22 offset:6144
	v_perm_b32 v13, v16, v17, s7
	v_perm_b32 v12, v10, v15, s7
	s_waitcnt lgkmcnt(0)
	v_mfma_f32_16x16x16bf16_1k v[6:9], v[2:3], v[18:19], v[6:9]
	v_mov_b32_e32 v3, 0
	v_cmp_ne_u16_sdwa s[10:11], v4, v3 src0_sel:BYTE_0 src1_sel:DWORD
	v_mov_b32_e32 v10, 0
	v_mfma_f32_16x16x16bf16_1k v[6:9], v[12:13], v[20:21], v[6:9]
	s_and_saveexec_b64 s[8:9], s[10:11]
	s_cbranch_execz .LBB870_743
; %bb.738:
	s_movk_i32 s7, 0x80
	v_cmp_ne_u16_sdwa s[12:13], v4, s7 src0_sel:BYTE_0 src1_sel:DWORD
	v_mov_b32_e32 v10, 0xffff8000
	s_and_saveexec_b64 s[10:11], s[12:13]
	s_cbranch_execz .LBB870_742
; %bb.739:
	s_movk_i32 s7, 0x7f
	v_and_b32_e32 v2, 0x7f, v4
	v_cmp_ne_u32_e32 vcc, s7, v2
	v_mov_b32_e32 v10, 0x7f80
	s_and_saveexec_b64 s[12:13], vcc
	s_cbranch_execz .LBB870_741
; %bb.740:
	v_and_b32_e32 v12, 7, v4
	v_ffbh_u32_e32 v10, v12
	v_min_u32_e32 v14, 32, v10
	v_subrev_u32_e32 v10, 28, v14
	v_lshlrev_b64 v[10:11], v10, v[4:5]
	v_lshrrev_b32_e32 v13, 3, v2
	v_sub_u32_e32 v11, 29, v14
	v_and_b32_e32 v10, 7, v10
	v_cmp_gt_u32_e32 vcc, 8, v2
	v_cndmask_b32_e32 v2, v13, v11, vcc
	v_cndmask_b32_e32 v10, v12, v10, vcc
	v_lshlrev_b32_e32 v11, 24, v4
	v_bfrev_b32_e32 v12, 60
	v_lshlrev_b32_e32 v10, 20, v10
	v_and_b32_e32 v11, 0x80000000, v11
	v_lshl_add_u32 v2, v2, 23, v12
	v_or3_b32 v2, v11, v2, v10
	v_lshrrev_b32_e32 v10, 16, v2
.LBB870_741:
	s_or_b64 exec, exec, s[12:13]
.LBB870_742:
	s_or_b64 exec, exec, s[10:11]
.LBB870_743:
	s_or_b64 exec, exec, s[8:9]
	v_lshrrev_b16_e32 v2, 8, v4
	v_cmp_ne_u16_e32 vcc, 0, v2
	s_and_saveexec_b64 s[8:9], vcc
	s_cbranch_execz .LBB870_749
; %bb.744:
	s_movk_i32 s7, 0x80
	v_cmp_ne_u16_e32 vcc, s7, v2
	v_mov_b32_e32 v3, 0xffff8000
	s_and_saveexec_b64 s[10:11], vcc
	s_cbranch_execz .LBB870_748
; %bb.745:
	s_movk_i32 s7, 0x7f
	v_and_b32_e32 v11, 0x7f, v2
	v_cmp_ne_u32_e32 vcc, s7, v11
	v_mov_b32_e32 v3, 0x7f80
	s_and_saveexec_b64 s[12:13], vcc
	s_cbranch_execz .LBB870_747
; %bb.746:
	v_and_b32_e32 v12, 7, v2
	v_ffbh_u32_e32 v3, v12
	v_min_u32_e32 v14, 32, v3
	v_subrev_u32_e32 v3, 28, v14
	v_lshlrev_b64 v[2:3], v3, v[2:3]
	v_lshrrev_b32_e32 v13, 3, v11
	v_sub_u32_e32 v3, 29, v14
	v_and_b32_e32 v2, 7, v2
	v_cmp_gt_u32_e32 vcc, 8, v11
	v_cndmask_b32_e32 v3, v13, v3, vcc
	v_cndmask_b32_e32 v2, v12, v2, vcc
	v_lshlrev_b32_e32 v11, 16, v4
	v_bfrev_b32_e32 v12, 60
	v_lshlrev_b32_e32 v2, 20, v2
	v_and_b32_e32 v11, 0x80000000, v11
	v_lshl_add_u32 v3, v3, 23, v12
	v_or3_b32 v2, v11, v3, v2
	v_lshrrev_b32_e32 v3, 16, v2
.LBB870_747:
	s_or_b64 exec, exec, s[12:13]
.LBB870_748:
	s_or_b64 exec, exec, s[10:11]
.LBB870_749:
	s_or_b64 exec, exec, s[8:9]
	s_movk_i32 s7, 0xff
	v_and_b32_sdwa v13, v4, s7 dst_sel:DWORD dst_unused:UNUSED_PAD src0_sel:WORD_1 src1_sel:DWORD
	v_lshrrev_b32_e32 v2, 16, v4
	v_cmp_ne_u16_e32 vcc, 0, v13
	v_mov_b32_e32 v11, 0
	v_mov_b32_e32 v12, 0
	s_and_saveexec_b64 s[8:9], vcc
	s_cbranch_execz .LBB870_755
; %bb.750:
	s_movk_i32 s7, 0x80
	v_cmp_ne_u16_e32 vcc, s7, v13
	v_mov_b32_e32 v12, 0xffff8000
	s_and_saveexec_b64 s[10:11], vcc
	s_cbranch_execz .LBB870_754
; %bb.751:
	v_bfe_u32 v13, v4, 16, 7
	s_movk_i32 s7, 0x7f
	v_cmp_ne_u32_e32 vcc, s7, v13
	v_mov_b32_e32 v12, 0x7f80
	s_and_saveexec_b64 s[12:13], vcc
	s_cbranch_execz .LBB870_753
; %bb.752:
	v_and_b32_e32 v12, 7, v2
	v_ffbh_u32_e32 v14, v12
	v_min_u32_e32 v17, 32, v14
	v_subrev_u32_e32 v14, 28, v17
	v_lshlrev_b64 v[14:15], v14, v[2:3]
	v_lshrrev_b32_e32 v16, 3, v13
	v_sub_u32_e32 v2, 29, v17
	v_and_b32_e32 v14, 7, v14
	v_cmp_gt_u32_e32 vcc, 8, v13
	v_mov_b32_e32 v13, 24
	v_cndmask_b32_e32 v2, v16, v2, vcc
	v_cndmask_b32_e32 v12, v12, v14, vcc
	v_lshlrev_b32_sdwa v13, v13, v4 dst_sel:DWORD dst_unused:UNUSED_PAD src0_sel:DWORD src1_sel:WORD_1
	v_bfrev_b32_e32 v14, 60
	v_lshlrev_b32_e32 v12, 20, v12
	v_and_b32_e32 v13, 0x80000000, v13
	v_lshl_add_u32 v2, v2, 23, v14
	v_or3_b32 v2, v13, v2, v12
	v_lshrrev_b32_e32 v12, 16, v2
.LBB870_753:
	s_or_b64 exec, exec, s[12:13]
.LBB870_754:
	s_or_b64 exec, exec, s[10:11]
.LBB870_755:
	s_or_b64 exec, exec, s[8:9]
	s_mov_b32 s7, 0xffffff
	v_cmp_lt_u32_e32 vcc, s7, v4
	s_and_saveexec_b64 s[8:9], vcc
	s_cbranch_execz .LBB870_761
; %bb.756:
	v_lshrrev_b32_e32 v2, 24, v4
	s_movk_i32 s7, 0x80
	v_cmp_ne_u32_e32 vcc, s7, v2
	v_mov_b32_e32 v11, 0xffff8000
	s_and_saveexec_b64 s[10:11], vcc
	s_cbranch_execz .LBB870_760
; %bb.757:
	v_bfe_u32 v4, v4, 24, 7
	s_movk_i32 s7, 0x7f
	v_cmp_ne_u32_e32 vcc, s7, v4
	v_mov_b32_e32 v11, 0x7f80
	s_and_saveexec_b64 s[12:13], vcc
	s_cbranch_execz .LBB870_759
; %bb.758:
	v_and_b32_e32 v11, 7, v2
	v_ffbh_u32_e32 v14, v11
	v_min_u32_e32 v16, 32, v14
	v_subrev_u32_e32 v14, 28, v16
	v_lshlrev_b64 v[14:15], v14, v[2:3]
	v_lshrrev_b32_e32 v13, 3, v4
	v_sub_u32_e32 v15, 29, v16
	v_and_b32_e32 v14, 7, v14
	v_cmp_gt_u32_e32 vcc, 8, v4
	v_cndmask_b32_e32 v4, v13, v15, vcc
	v_cndmask_b32_e32 v11, v11, v14, vcc
	v_lshlrev_b32_e32 v2, 24, v2
	v_bfrev_b32_e32 v13, 60
	v_lshlrev_b32_e32 v11, 20, v11
	v_and_b32_e32 v2, 0x80000000, v2
	v_lshl_add_u32 v4, v4, 23, v13
	v_or3_b32 v2, v2, v4, v11
	v_lshrrev_b32_e32 v11, 16, v2
.LBB870_759:
	s_or_b64 exec, exec, s[12:13]
.LBB870_760:
	s_or_b64 exec, exec, s[10:11]
.LBB870_761:
	s_or_b64 exec, exec, s[8:9]
	v_mov_b32_e32 v4, 0
	v_cmp_ne_u16_sdwa s[10:11], v5, v4 src0_sel:BYTE_0 src1_sel:DWORD
	v_mov_b32_e32 v13, 0
	s_and_saveexec_b64 s[8:9], s[10:11]
	s_cbranch_execz .LBB870_767
; %bb.762:
	s_movk_i32 s7, 0x80
	v_cmp_ne_u16_sdwa s[12:13], v5, s7 src0_sel:BYTE_0 src1_sel:DWORD
	v_mov_b32_e32 v13, 0xffff8000
	s_and_saveexec_b64 s[10:11], s[12:13]
	s_cbranch_execz .LBB870_766
; %bb.763:
	s_movk_i32 s7, 0x7f
	v_and_b32_e32 v2, 0x7f, v5
	v_cmp_ne_u32_e32 vcc, s7, v2
	v_mov_b32_e32 v13, 0x7f80
	s_and_saveexec_b64 s[12:13], vcc
	s_cbranch_execz .LBB870_765
; %bb.764:
	v_and_b32_e32 v13, 7, v5
	v_ffbh_u32_e32 v15, v13
	v_min_u32_e32 v17, 32, v15
	v_mov_b32_e32 v14, v5
	v_subrev_u32_e32 v15, 28, v17
	v_lshlrev_b64 v[14:15], v15, v[14:15]
	v_lshrrev_b32_e32 v16, 3, v2
	v_sub_u32_e32 v15, 29, v17
	v_and_b32_e32 v14, 7, v14
	v_cmp_gt_u32_e32 vcc, 8, v2
	v_cndmask_b32_e32 v2, v16, v15, vcc
	v_cndmask_b32_e32 v13, v13, v14, vcc
	v_lshlrev_b32_e32 v14, 24, v5
	v_bfrev_b32_e32 v15, 60
	v_lshlrev_b32_e32 v13, 20, v13
	v_and_b32_e32 v14, 0x80000000, v14
	v_lshl_add_u32 v2, v2, 23, v15
	v_or3_b32 v2, v14, v2, v13
	v_lshrrev_b32_e32 v13, 16, v2
.LBB870_765:
	s_or_b64 exec, exec, s[12:13]
.LBB870_766:
	s_or_b64 exec, exec, s[10:11]
.LBB870_767:
	s_or_b64 exec, exec, s[8:9]
	v_lshrrev_b16_e32 v2, 8, v5
	v_cmp_ne_u16_e32 vcc, 0, v2
	s_and_saveexec_b64 s[8:9], vcc
	s_cbranch_execz .LBB870_773
; %bb.768:
	s_movk_i32 s7, 0x80
	v_cmp_ne_u16_e32 vcc, s7, v2
	v_mov_b32_e32 v4, 0xffff8000
	s_and_saveexec_b64 s[10:11], vcc
	s_cbranch_execz .LBB870_772
; %bb.769:
	s_movk_i32 s7, 0x7f
	v_and_b32_e32 v14, 0x7f, v2
	v_cmp_ne_u32_e32 vcc, s7, v14
	v_mov_b32_e32 v4, 0x7f80
	s_and_saveexec_b64 s[12:13], vcc
	s_cbranch_execz .LBB870_771
; %bb.770:
	v_and_b32_e32 v4, 7, v2
	v_ffbh_u32_e32 v16, v4
	v_min_u32_e32 v18, 32, v16
	v_subrev_u32_e32 v16, 28, v18
	v_lshlrev_b64 v[16:17], v16, v[2:3]
	v_lshrrev_b32_e32 v15, 3, v14
	v_sub_u32_e32 v2, 29, v18
	v_and_b32_e32 v16, 7, v16
	v_cmp_gt_u32_e32 vcc, 8, v14
	v_cndmask_b32_e32 v2, v15, v2, vcc
	v_cndmask_b32_e32 v4, v4, v16, vcc
	v_lshlrev_b32_e32 v14, 16, v5
	v_bfrev_b32_e32 v15, 60
	v_lshlrev_b32_e32 v4, 20, v4
	v_and_b32_e32 v14, 0x80000000, v14
	v_lshl_add_u32 v2, v2, 23, v15
	v_or3_b32 v2, v14, v2, v4
	v_lshrrev_b32_e32 v4, 16, v2
.LBB870_771:
	s_or_b64 exec, exec, s[12:13]
.LBB870_772:
	s_or_b64 exec, exec, s[10:11]
.LBB870_773:
	s_or_b64 exec, exec, s[8:9]
	s_movk_i32 s7, 0xff
	v_and_b32_sdwa v16, v5, s7 dst_sel:DWORD dst_unused:UNUSED_PAD src0_sel:WORD_1 src1_sel:DWORD
	v_lshrrev_b32_e32 v2, 16, v5
	v_cmp_ne_u16_e32 vcc, 0, v16
	v_mov_b32_e32 v14, 0
	v_mov_b32_e32 v15, 0
	s_and_saveexec_b64 s[8:9], vcc
	s_cbranch_execz .LBB870_779
; %bb.774:
	s_movk_i32 s7, 0x80
	v_cmp_ne_u16_e32 vcc, s7, v16
	v_mov_b32_e32 v15, 0xffff8000
	s_and_saveexec_b64 s[10:11], vcc
	s_cbranch_execz .LBB870_778
; %bb.775:
	v_bfe_u32 v16, v5, 16, 7
	s_movk_i32 s7, 0x7f
	v_cmp_ne_u32_e32 vcc, s7, v16
	v_mov_b32_e32 v15, 0x7f80
	s_and_saveexec_b64 s[12:13], vcc
	s_cbranch_execz .LBB870_777
; %bb.776:
	v_and_b32_e32 v15, 7, v2
	v_ffbh_u32_e32 v18, v15
	v_min_u32_e32 v20, 32, v18
	v_subrev_u32_e32 v18, 28, v20
	v_lshlrev_b64 v[18:19], v18, v[2:3]
	v_lshrrev_b32_e32 v17, 3, v16
	v_sub_u32_e32 v2, 29, v20
	v_and_b32_e32 v18, 7, v18
	v_cmp_gt_u32_e32 vcc, 8, v16
	v_mov_b32_e32 v16, 24
	v_cndmask_b32_e32 v2, v17, v2, vcc
	v_cndmask_b32_e32 v15, v15, v18, vcc
	v_lshlrev_b32_sdwa v16, v16, v5 dst_sel:DWORD dst_unused:UNUSED_PAD src0_sel:DWORD src1_sel:WORD_1
	v_bfrev_b32_e32 v17, 60
	v_lshlrev_b32_e32 v15, 20, v15
	v_and_b32_e32 v16, 0x80000000, v16
	v_lshl_add_u32 v2, v2, 23, v17
	v_or3_b32 v2, v16, v2, v15
	v_lshrrev_b32_e32 v15, 16, v2
.LBB870_777:
	s_or_b64 exec, exec, s[12:13]
.LBB870_778:
	s_or_b64 exec, exec, s[10:11]
.LBB870_779:
	s_or_b64 exec, exec, s[8:9]
	s_mov_b32 s7, 0xffffff
	v_cmp_lt_u32_e32 vcc, s7, v5
	s_and_saveexec_b64 s[8:9], vcc
	s_cbranch_execz .LBB870_785
; %bb.780:
	v_lshrrev_b32_e32 v2, 24, v5
	s_movk_i32 s7, 0x80
	v_cmp_ne_u32_e32 vcc, s7, v2
	v_mov_b32_e32 v14, 0xffff8000
	s_and_saveexec_b64 s[10:11], vcc
	s_cbranch_execz .LBB870_784
; %bb.781:
	v_bfe_u32 v5, v5, 24, 7
	s_movk_i32 s7, 0x7f
	v_cmp_ne_u32_e32 vcc, s7, v5
	v_mov_b32_e32 v14, 0x7f80
	s_and_saveexec_b64 s[12:13], vcc
	s_cbranch_execz .LBB870_783
; %bb.782:
	v_and_b32_e32 v14, 7, v2
	v_ffbh_u32_e32 v16, v14
	v_min_u32_e32 v19, 32, v16
	v_subrev_u32_e32 v16, 28, v19
	v_lshlrev_b64 v[16:17], v16, v[2:3]
	v_lshrrev_b32_e32 v18, 3, v5
	v_sub_u32_e32 v17, 29, v19
	v_and_b32_e32 v16, 7, v16
	v_cmp_gt_u32_e32 vcc, 8, v5
	v_cndmask_b32_e32 v5, v18, v17, vcc
	v_cndmask_b32_e32 v14, v14, v16, vcc
	v_lshlrev_b32_e32 v2, 24, v2
	v_bfrev_b32_e32 v16, 60
	v_lshlrev_b32_e32 v14, 20, v14
	v_and_b32_e32 v2, 0x80000000, v2
	v_lshl_add_u32 v5, v5, 23, v16
	v_or3_b32 v2, v2, v5, v14
	v_lshrrev_b32_e32 v14, 16, v2
.LBB870_783:
	s_or_b64 exec, exec, s[12:13]
.LBB870_784:
	s_or_b64 exec, exec, s[10:11]
.LBB870_785:
	s_or_b64 exec, exec, s[8:9]
	s_mov_b32 s7, 0x5040100
	v_perm_b32 v11, v11, v12, s7
	ds_read_b128 v[16:19], v22 offset:6160
	v_perm_b32 v10, v3, v10, s7
	v_perm_b32 v3, v14, v15, s7
	v_perm_b32 v2, v4, v13, s7
	s_waitcnt lgkmcnt(0)
	v_mfma_f32_16x16x16bf16_1k v[6:9], v[10:11], v[16:17], v[6:9]
	s_load_dword s8, s[42:43], 0x0
	s_movk_i32 s9, 0x7fff
	s_mov_b32 s7, 0x7060302
	v_cmp_gt_u32_e32 vcc, 64, v0
	s_and_b64 s[0:1], vcc, s[0:1]
	s_waitcnt lgkmcnt(0)
	s_barrier
	v_mfma_f32_16x16x16bf16_1k v[2:5], v[2:3], v[18:19], v[6:9]
	s_nop 7
	s_nop 2
	v_pk_mul_f32 v[4:5], v[4:5], s[8:9] op_sel_hi:[1,0]
	v_pk_mul_f32 v[2:3], v[2:3], s[8:9] op_sel_hi:[1,0]
	v_bfe_u32 v6, v3, 16, 1
	v_bfe_u32 v7, v2, 16, 1
	;; [unrolled: 1-line block ×4, first 2 shown]
	v_add3_u32 v2, v2, v7, s9
	v_add3_u32 v3, v3, v6, s9
	;; [unrolled: 1-line block ×4, first 2 shown]
	v_perm_b32 v2, v3, v2, s7
	v_perm_b32 v3, v5, v4, s7
	ds_write_b64 v26, v[2:3]
	s_waitcnt lgkmcnt(0)
	s_barrier
	s_and_saveexec_b64 s[8:9], s[0:1]
	s_cbranch_execz .LBB870_788
; %bb.786:
	s_load_dwordx2 s[4:5], s[4:5], 0x68
	s_lshl_b32 s0, s44, 6
	s_mul_i32 s1, s14, s6
	s_mul_hi_u32 s9, s1, s0
	s_mul_i32 s8, s1, s0
	s_lshl_b64 s[8:9], s[8:9], 1
	s_waitcnt lgkmcnt(0)
	s_add_u32 s1, s4, s8
	v_lshlrev_b32_e32 v0, 10, v0
	s_mov_b32 s7, 0
	s_addc_u32 s8, s5, s9
	s_lshl_b32 s6, s24, 6
	v_and_b32_e32 v0, 0x1800, v0
	v_lshlrev_b32_e32 v2, 5, v1
	v_and_b32_e32 v3, 16, v47
	s_lshl_b64 s[4:5], s[6:7], 1
	v_or3_b32 v0, v0, v2, v3
	s_add_u32 s1, s1, s4
	s_addc_u32 s4, s8, s5
	ds_read_b128 v[4:7], v0 offset:128
	ds_read_b128 v[8:11], v0
	v_add_u32_e32 v14, s25, v1
	v_mov_b32_e32 v3, s4
	v_add_co_u32_e32 v2, vcc, s1, v46
	v_mad_u64_u32 v[12:13], s[4:5], v14, s0, 0
	v_addc_co_u32_e32 v3, vcc, 0, v3, vcc
	v_lshlrev_b64 v[12:13], 1, v[12:13]
	v_add_co_u32_e32 v12, vcc, v2, v12
	v_addc_co_u32_e32 v13, vcc, v3, v13, vcc
	s_waitcnt lgkmcnt(0)
	global_store_dwordx4 v[12:13], v[8:11], off
	s_nop 0
	v_add_u32_e32 v8, 4, v14
	v_mad_u64_u32 v[8:9], s[4:5], v8, s0, 0
	v_lshlrev_b64 v[8:9], 1, v[8:9]
	v_add_co_u32_e32 v8, vcc, v2, v8
	v_addc_co_u32_e32 v9, vcc, v3, v9, vcc
	global_store_dwordx4 v[8:9], v[4:7], off
	s_and_b64 exec, exec, s[2:3]
	s_cbranch_execz .LBB870_788
; %bb.787:
	ds_read_b128 v[4:7], v0 offset:256
	v_add3_u32 v0, s25, v1, 8
	v_mad_u64_u32 v[0:1], s[0:1], v0, s0, 0
	v_lshlrev_b64 v[0:1], 1, v[0:1]
	v_add_co_u32_e32 v0, vcc, v2, v0
	v_addc_co_u32_e32 v1, vcc, v3, v1, vcc
	s_waitcnt lgkmcnt(0)
	global_store_dwordx4 v[0:1], v[4:7], off
.LBB870_788:
	s_endpgm
	.section	.rodata,"a",@progbits
	.p2align	6, 0x0
	.amdhsa_kernel _Z39paged_attention_ll4mi_QKV_mfma16_kernelI14__hip_bfloat16hLN4vllm18Fp8KVCacheDataTypeE1ES0_Li32ELi64ELi256ELb1ELi9EL8MFMAType0EEvPKT_PKT0_S9_ifPKiSB_SB_iPKfiiiPfSE_PS4_PT2_iSD_SD_
		.amdhsa_group_segment_fixed_size 8192
		.amdhsa_private_segment_fixed_size 0
		.amdhsa_kernarg_size 400
		.amdhsa_user_sgpr_count 6
		.amdhsa_user_sgpr_private_segment_buffer 1
		.amdhsa_user_sgpr_dispatch_ptr 0
		.amdhsa_user_sgpr_queue_ptr 0
		.amdhsa_user_sgpr_kernarg_segment_ptr 1
		.amdhsa_user_sgpr_dispatch_id 0
		.amdhsa_user_sgpr_flat_scratch_init 0
		.amdhsa_user_sgpr_kernarg_preload_length 0
		.amdhsa_user_sgpr_kernarg_preload_offset 0
		.amdhsa_user_sgpr_private_segment_size 0
		.amdhsa_uses_dynamic_stack 0
		.amdhsa_system_sgpr_private_segment_wavefront_offset 0
		.amdhsa_system_sgpr_workgroup_id_x 1
		.amdhsa_system_sgpr_workgroup_id_y 1
		.amdhsa_system_sgpr_workgroup_id_z 1
		.amdhsa_system_sgpr_workgroup_info 0
		.amdhsa_system_vgpr_workitem_id 0
		.amdhsa_next_free_vgpr 63
		.amdhsa_next_free_sgpr 47
		.amdhsa_accum_offset 64
		.amdhsa_reserve_vcc 1
		.amdhsa_reserve_flat_scratch 0
		.amdhsa_float_round_mode_32 0
		.amdhsa_float_round_mode_16_64 0
		.amdhsa_float_denorm_mode_32 3
		.amdhsa_float_denorm_mode_16_64 3
		.amdhsa_dx10_clamp 1
		.amdhsa_ieee_mode 1
		.amdhsa_fp16_overflow 0
		.amdhsa_tg_split 0
		.amdhsa_exception_fp_ieee_invalid_op 0
		.amdhsa_exception_fp_denorm_src 0
		.amdhsa_exception_fp_ieee_div_zero 0
		.amdhsa_exception_fp_ieee_overflow 0
		.amdhsa_exception_fp_ieee_underflow 0
		.amdhsa_exception_fp_ieee_inexact 0
		.amdhsa_exception_int_div_zero 0
	.end_amdhsa_kernel
	.section	.text._Z39paged_attention_ll4mi_QKV_mfma16_kernelI14__hip_bfloat16hLN4vllm18Fp8KVCacheDataTypeE1ES0_Li32ELi64ELi256ELb1ELi9EL8MFMAType0EEvPKT_PKT0_S9_ifPKiSB_SB_iPKfiiiPfSE_PS4_PT2_iSD_SD_,"axG",@progbits,_Z39paged_attention_ll4mi_QKV_mfma16_kernelI14__hip_bfloat16hLN4vllm18Fp8KVCacheDataTypeE1ES0_Li32ELi64ELi256ELb1ELi9EL8MFMAType0EEvPKT_PKT0_S9_ifPKiSB_SB_iPKfiiiPfSE_PS4_PT2_iSD_SD_,comdat
.Lfunc_end870:
	.size	_Z39paged_attention_ll4mi_QKV_mfma16_kernelI14__hip_bfloat16hLN4vllm18Fp8KVCacheDataTypeE1ES0_Li32ELi64ELi256ELb1ELi9EL8MFMAType0EEvPKT_PKT0_S9_ifPKiSB_SB_iPKfiiiPfSE_PS4_PT2_iSD_SD_, .Lfunc_end870-_Z39paged_attention_ll4mi_QKV_mfma16_kernelI14__hip_bfloat16hLN4vllm18Fp8KVCacheDataTypeE1ES0_Li32ELi64ELi256ELb1ELi9EL8MFMAType0EEvPKT_PKT0_S9_ifPKiSB_SB_iPKfiiiPfSE_PS4_PT2_iSD_SD_
                                        ; -- End function
	.section	.AMDGPU.csdata,"",@progbits
; Kernel info:
; codeLenInByte = 28748
; NumSgprs: 51
; NumVgprs: 63
; NumAgprs: 0
; TotalNumVgprs: 63
; ScratchSize: 0
; MemoryBound: 0
; FloatMode: 240
; IeeeMode: 1
; LDSByteSize: 8192 bytes/workgroup (compile time only)
; SGPRBlocks: 6
; VGPRBlocks: 7
; NumSGPRsForWavesPerEU: 51
; NumVGPRsForWavesPerEU: 63
; AccumOffset: 64
; Occupancy: 8
; WaveLimiterHint : 1
; COMPUTE_PGM_RSRC2:SCRATCH_EN: 0
; COMPUTE_PGM_RSRC2:USER_SGPR: 6
; COMPUTE_PGM_RSRC2:TRAP_HANDLER: 0
; COMPUTE_PGM_RSRC2:TGID_X_EN: 1
; COMPUTE_PGM_RSRC2:TGID_Y_EN: 1
; COMPUTE_PGM_RSRC2:TGID_Z_EN: 1
; COMPUTE_PGM_RSRC2:TIDIG_COMP_CNT: 0
; COMPUTE_PGM_RSRC3_GFX90A:ACCUM_OFFSET: 15
; COMPUTE_PGM_RSRC3_GFX90A:TG_SPLIT: 0
	.section	.text._Z39paged_attention_ll4mi_QKV_mfma16_kernelI14__hip_bfloat16hLN4vllm18Fp8KVCacheDataTypeE1ES0_Li32ELi64ELi256ELb1ELi10EL8MFMAType0EEvPKT_PKT0_S9_ifPKiSB_SB_iPKfiiiPfSE_PS4_PT2_iSD_SD_,"axG",@progbits,_Z39paged_attention_ll4mi_QKV_mfma16_kernelI14__hip_bfloat16hLN4vllm18Fp8KVCacheDataTypeE1ES0_Li32ELi64ELi256ELb1ELi10EL8MFMAType0EEvPKT_PKT0_S9_ifPKiSB_SB_iPKfiiiPfSE_PS4_PT2_iSD_SD_,comdat
	.protected	_Z39paged_attention_ll4mi_QKV_mfma16_kernelI14__hip_bfloat16hLN4vllm18Fp8KVCacheDataTypeE1ES0_Li32ELi64ELi256ELb1ELi10EL8MFMAType0EEvPKT_PKT0_S9_ifPKiSB_SB_iPKfiiiPfSE_PS4_PT2_iSD_SD_ ; -- Begin function _Z39paged_attention_ll4mi_QKV_mfma16_kernelI14__hip_bfloat16hLN4vllm18Fp8KVCacheDataTypeE1ES0_Li32ELi64ELi256ELb1ELi10EL8MFMAType0EEvPKT_PKT0_S9_ifPKiSB_SB_iPKfiiiPfSE_PS4_PT2_iSD_SD_
	.globl	_Z39paged_attention_ll4mi_QKV_mfma16_kernelI14__hip_bfloat16hLN4vllm18Fp8KVCacheDataTypeE1ES0_Li32ELi64ELi256ELb1ELi10EL8MFMAType0EEvPKT_PKT0_S9_ifPKiSB_SB_iPKfiiiPfSE_PS4_PT2_iSD_SD_
	.p2align	8
	.type	_Z39paged_attention_ll4mi_QKV_mfma16_kernelI14__hip_bfloat16hLN4vllm18Fp8KVCacheDataTypeE1ES0_Li32ELi64ELi256ELb1ELi10EL8MFMAType0EEvPKT_PKT0_S9_ifPKiSB_SB_iPKfiiiPfSE_PS4_PT2_iSD_SD_,@function
_Z39paged_attention_ll4mi_QKV_mfma16_kernelI14__hip_bfloat16hLN4vllm18Fp8KVCacheDataTypeE1ES0_Li32ELi64ELi256ELb1ELi10EL8MFMAType0EEvPKT_PKT0_S9_ifPKiSB_SB_iPKfiiiPfSE_PS4_PT2_iSD_SD_: ; @_Z39paged_attention_ll4mi_QKV_mfma16_kernelI14__hip_bfloat16hLN4vllm18Fp8KVCacheDataTypeE1ES0_Li32ELi64ELi256ELb1ELi10EL8MFMAType0EEvPKT_PKT0_S9_ifPKiSB_SB_iPKfiiiPfSE_PS4_PT2_iSD_SD_
; %bb.0:
	s_load_dwordx2 s[0:1], s[4:5], 0x30
	s_mov_b32 s24, s7
	s_mov_b64 s[10:11], 0
	s_waitcnt lgkmcnt(0)
	s_cmp_lg_u64 s[0:1], 0
	s_cselect_b64 s[2:3], -1, 0
	s_and_b64 vcc, exec, s[2:3]
	s_cbranch_vccz .LBB871_7
; %bb.1:
	s_add_i32 s12, s6, 1
	s_mov_b32 s13, 0
	s_lshl_b64 s[14:15], s[12:13], 2
	s_add_u32 s14, s0, s14
	s_mov_b32 s7, s13
	s_addc_u32 s15, s1, s15
	s_lshl_b64 s[12:13], s[6:7], 2
	s_add_u32 s12, s0, s12
	s_addc_u32 s13, s1, s13
	s_load_dword s9, s[14:15], 0x0
	s_load_dword s16, s[12:13], 0x0
	s_waitcnt lgkmcnt(0)
	s_sub_i32 s9, s9, s16
	s_cmp_eq_u32 s9, 1
	s_cselect_b64 s[12:13], -1, 0
	s_andn2_b64 vcc, exec, s[10:11]
	s_cbranch_vccnz .LBB871_3
.LBB871_2:
	s_mov_b32 s7, 0
	s_mov_b64 s[12:13], -1
.LBB871_3:
	s_andn2_b64 vcc, exec, s[12:13]
	s_cbranch_vccnz .LBB871_788
; %bb.4:
	s_load_dwordx2 s[12:13], s[4:5], 0x28
	s_lshl_b64 s[10:11], s[6:7], 2
	s_waitcnt lgkmcnt(0)
	s_add_u32 s12, s12, s10
	s_addc_u32 s13, s13, s11
	s_load_dword s33, s[12:13], 0x0
	s_lshl_b32 s18, s24, 8
	s_waitcnt lgkmcnt(0)
	s_cmp_ge_i32 s18, s33
	s_cbranch_scc1 .LBB871_788
; %bb.5:
	s_add_i32 s14, s33, 31
	s_load_dwordx2 s[12:13], s[4:5], 0x20
	s_load_dword s9, s[4:5], 0x38
	s_ashr_i32 s15, s14, 31
	v_and_b32_e32 v1, 0xcf, v0
	s_lshr_b32 s15, s15, 27
	v_add_u32_e32 v1, s18, v1
	s_add_i32 s14, s14, s15
	v_ashrrev_i32_e32 v2, 31, v1
	s_ashr_i32 s21, s14, 5
	v_lshrrev_b32_e32 v4, 27, v2
	s_add_i32 s21, s21, -1
	v_add_u32_e32 v2, v1, v4
	s_waitcnt lgkmcnt(0)
	s_mul_i32 s14, s6, s9
	s_mov_b32 s15, 0
	v_ashrrev_i32_e32 v2, 5, v2
	v_mov_b32_e32 v5, s21
	v_cmp_gt_i32_e32 vcc, s33, v1
	s_lshl_b64 s[14:15], s[14:15], 2
	v_cndmask_b32_e32 v2, v5, v2, vcc
	s_add_u32 s19, s12, s14
	v_ashrrev_i32_e32 v3, 31, v2
	s_addc_u32 s20, s13, s15
	v_lshlrev_b64 v[2:3], 2, v[2:3]
	v_mov_b32_e32 v7, s20
	v_add_co_u32_e32 v6, vcc, s19, v2
	v_or_b32_e32 v2, 16, v1
	v_addc_co_u32_e32 v7, vcc, v7, v3, vcc
	v_add_u32_e32 v3, v2, v4
	v_ashrrev_i32_e32 v3, 5, v3
	v_cmp_gt_i32_e32 vcc, s33, v2
	v_cndmask_b32_e32 v2, v5, v3, vcc
	v_ashrrev_i32_e32 v3, 31, v2
	v_lshlrev_b64 v[2:3], 2, v[2:3]
	v_mov_b32_e32 v9, s20
	v_add_co_u32_e32 v8, vcc, s19, v2
	v_or_b32_e32 v2, 32, v1
	v_addc_co_u32_e32 v9, vcc, v9, v3, vcc
	v_add_u32_e32 v3, v2, v4
	v_ashrrev_i32_e32 v3, 5, v3
	v_cmp_gt_i32_e32 vcc, s33, v2
	v_cndmask_b32_e32 v2, v5, v3, vcc
	v_ashrrev_i32_e32 v3, 31, v2
	;; [unrolled: 10-line block ×3, first 2 shown]
	v_lshlrev_b64 v[2:3], 2, v[2:3]
	v_mov_b32_e32 v1, s20
	v_add_co_u32_e32 v12, vcc, s19, v2
	v_addc_co_u32_e32 v13, vcc, v1, v3, vcc
	global_load_dword v5, v[6:7], off
	global_load_dword v4, v[8:9], off
	;; [unrolled: 1-line block ×4, first 2 shown]
	s_load_dwordx2 s[16:17], s[4:5], 0x8
	s_andn2_b64 vcc, exec, s[2:3]
	s_cbranch_vccnz .LBB871_8
; %bb.6:
	s_add_u32 s0, s0, s10
	s_addc_u32 s1, s1, s11
	s_load_dword s9, s[0:1], 0x0
	s_branch .LBB871_9
.LBB871_7:
	s_mov_b64 s[12:13], 0
	s_branch .LBB871_2
.LBB871_8:
	s_mov_b32 s9, s6
.LBB871_9:
	s_load_dwordx2 s[2:3], s[4:5], 0x10
	s_load_dwordx4 s[12:15], s[4:5], 0x48
	v_lshrrev_b32_e32 v50, 6, v0
	v_bfe_u32 v1, v0, 4, 2
	v_lshl_or_b32 v6, v50, 2, v1
	v_and_b32_e32 v49, 15, v0
	v_lshlrev_b32_e32 v7, 3, v49
	v_cmp_gt_u32_e32 vcc, 10, v6
	v_cmp_gt_u32_e64 s[0:1], 8, v49
	s_mul_i32 s25, s8, 10
	s_and_b64 s[22:23], s[0:1], vcc
	v_lshlrev_b32_e32 v46, 1, v7
	v_lshlrev_b32_e32 v47, 4, v0
	s_and_saveexec_b64 s[10:11], s[22:23]
	s_cbranch_execz .LBB871_11
; %bb.10:
	s_load_dwordx2 s[22:23], s[4:5], 0x0
	s_waitcnt lgkmcnt(0)
	s_ashr_i32 s15, s12, 31
	s_mul_hi_u32 s26, s9, s12
	s_mul_i32 s15, s9, s15
	s_add_i32 s27, s26, s15
	s_mul_i32 s26, s9, s12
	s_lshl_b64 s[26:27], s[26:27], 1
	v_add_lshl_u32 v8, v6, s25, 6
	s_add_u32 s9, s22, s26
	v_ashrrev_i32_e32 v9, 31, v8
	s_addc_u32 s12, s23, s27
	v_lshlrev_b64 v[8:9], 1, v[8:9]
	v_mov_b32_e32 v7, s12
	v_add_co_u32_e32 v8, vcc, s9, v8
	v_addc_co_u32_e32 v7, vcc, v7, v9, vcc
	v_add_co_u32_e32 v8, vcc, v8, v46
	v_addc_co_u32_e32 v9, vcc, 0, v7, vcc
	global_load_dwordx4 v[8:11], v[8:9], off
	v_lshlrev_b32_e32 v12, 8, v49
	v_lshlrev_b32_e32 v6, 5, v6
	v_and_b32_e32 v7, 16, v47
	v_and_b32_e32 v12, 0xe00, v12
	v_or3_b32 v6, v12, v6, v7
	s_waitcnt vmcnt(0)
	ds_write_b128 v6, v[8:11]
.LBB871_11:
	s_or_b64 exec, exec, s[10:11]
	s_waitcnt lgkmcnt(0)
	s_mul_i32 s10, s8, s14
	s_add_u32 s8, s16, s10
	s_addc_u32 s9, s17, 0
	v_pk_mov_b32 v[8:9], s[8:9], s[8:9] op_sel:[0,1]
	s_waitcnt vmcnt(3)
	v_mad_i64_i32 v[10:11], s[8:9], v5, s13, v[8:9]
	v_lshlrev_b32_e32 v12, 4, v49
	v_and_b32_e32 v6, 48, v0
	v_add_co_u32_e32 v5, vcc, v10, v12
	v_lshlrev_b32_e32 v7, 5, v6
	v_addc_co_u32_e32 v11, vcc, 0, v11, vcc
	v_add_co_u32_e32 v10, vcc, v5, v7
	v_addc_co_u32_e32 v11, vcc, 0, v11, vcc
	s_waitcnt vmcnt(2)
	v_mad_i64_i32 v[4:5], s[8:9], v4, s13, v[8:9]
	v_or_b32_e32 v13, 0x100, v12
	v_add_co_u32_e32 v4, vcc, v4, v13
	v_addc_co_u32_e32 v5, vcc, 0, v5, vcc
	v_add_co_u32_e32 v4, vcc, v4, v7
	v_addc_co_u32_e32 v5, vcc, 0, v5, vcc
	s_barrier
	global_load_dwordx4 v[34:37], v[10:11], off
	global_load_dwordx4 v[38:41], v[4:5], off
	s_waitcnt vmcnt(3)
	v_mad_i64_i32 v[4:5], s[8:9], v3, s13, v[8:9]
	v_add_co_u32_e32 v3, vcc, v4, v12
	v_addc_co_u32_e32 v5, vcc, 0, v5, vcc
	v_add_co_u32_e32 v4, vcc, v3, v7
	v_addc_co_u32_e32 v5, vcc, 0, v5, vcc
	s_waitcnt vmcnt(2)
	v_mad_i64_i32 v[2:3], s[8:9], v2, s13, v[8:9]
	v_add_co_u32_e32 v2, vcc, v2, v13
	v_addc_co_u32_e32 v3, vcc, 0, v3, vcc
	v_add_co_u32_e32 v2, vcc, v2, v7
	v_addc_co_u32_e32 v3, vcc, 0, v3, vcc
	global_load_dwordx4 v[30:33], v[4:5], off
	global_load_dwordx4 v[22:25], v[2:3], off
	v_add_u32_e32 v2, -10, v49
	v_cmp_gt_u32_e32 vcc, 10, v49
	v_cndmask_b32_e32 v2, v2, v49, vcc
	v_lshlrev_b32_e32 v2, 5, v2
	v_lshl_add_u32 v2, v1, 9, v2
	ds_read_b128 v[26:29], v2
	ds_read_b128 v[18:21], v2 offset:16
	v_mov_b32_e32 v43, 0
	v_mov_b32_e32 v51, 0
	s_and_saveexec_b64 s[8:9], vcc
	s_cbranch_execz .LBB871_13
; %bb.12:
	s_load_dwordx2 s[14:15], s[4:5], 0x40
	v_add_u32_e32 v2, s25, v49
	v_ashrrev_i32_e32 v3, 31, v2
	v_lshlrev_b64 v[2:3], 2, v[2:3]
	s_waitcnt lgkmcnt(0)
	v_mov_b32_e32 v4, s15
	v_add_co_u32_e32 v2, vcc, s14, v2
	v_addc_co_u32_e32 v3, vcc, v4, v3, vcc
	global_load_dword v51, v[2:3], off
.LBB871_13:
	s_or_b64 exec, exec, s[8:9]
	s_ashr_i32 s8, s18, 31
	v_or_b32_e32 v8, s18, v6
	s_lshr_b32 s8, s8, 27
	v_add_u32_e32 v2, s8, v8
	v_ashrrev_i32_e32 v2, 5, v2
	v_mov_b32_e32 v9, s21
	v_cmp_gt_i32_e32 vcc, s33, v8
	v_cndmask_b32_e32 v2, v9, v2, vcc
	v_ashrrev_i32_e32 v3, 31, v2
	v_lshlrev_b64 v[2:3], 2, v[2:3]
	v_mov_b32_e32 v4, s20
	v_add_co_u32_e32 v2, vcc, s19, v2
	v_addc_co_u32_e32 v3, vcc, v4, v3, vcc
	v_or_b32_e32 v4, 64, v8
	v_add_u32_e32 v5, s8, v4
	v_ashrrev_i32_e32 v5, 5, v5
	v_cmp_gt_i32_e32 vcc, s33, v4
	v_cndmask_b32_e32 v4, v9, v5, vcc
	v_ashrrev_i32_e32 v5, 31, v4
	v_lshlrev_b64 v[4:5], 2, v[4:5]
	v_mov_b32_e32 v6, s20
	v_add_co_u32_e32 v4, vcc, s19, v4
	v_addc_co_u32_e32 v5, vcc, v6, v5, vcc
	v_or_b32_e32 v6, 0x80, v8
	v_add_u32_e32 v7, s8, v6
	v_ashrrev_i32_e32 v7, 5, v7
	v_cmp_gt_i32_e32 vcc, s33, v6
	v_cndmask_b32_e32 v6, v9, v7, vcc
	v_ashrrev_i32_e32 v7, 31, v6
	v_lshlrev_b64 v[6:7], 2, v[6:7]
	v_mov_b32_e32 v10, s20
	v_add_co_u32_e32 v6, vcc, s19, v6
	v_addc_co_u32_e32 v7, vcc, v10, v7, vcc
	global_load_dword v10, v[2:3], off
	global_load_dword v11, v[4:5], off
	;; [unrolled: 1-line block ×3, first 2 shown]
	v_or_b32_e32 v2, 0xc0, v8
	v_add_u32_e32 v3, s8, v2
	v_ashrrev_i32_e32 v3, 5, v3
	v_cmp_gt_i32_e32 vcc, s33, v2
	v_cndmask_b32_e32 v2, v9, v3, vcc
	v_ashrrev_i32_e32 v3, 31, v2
	v_lshlrev_b64 v[2:3], 2, v[2:3]
	v_mov_b32_e32 v4, s20
	v_add_co_u32_e32 v2, vcc, s19, v2
	v_addc_co_u32_e32 v3, vcc, v4, v3, vcc
	global_load_dword v13, v[2:3], off
	s_add_u32 s2, s2, s10
	v_and_b32_e32 v2, 16, v0
	s_addc_u32 s3, s3, 0
	v_lshlrev_b32_e32 v48, 5, v49
	v_mov_b32_e32 v4, s3
	v_add_co_u32_e32 v2, vcc, s2, v2
	v_lshl_or_b32 v3, v50, 9, v48
	v_addc_co_u32_e32 v4, vcc, 0, v4, vcc
	v_add_co_u32_e32 v2, vcc, v2, v3
	v_addc_co_u32_e32 v3, vcc, 0, v4, vcc
	s_movk_i32 s8, 0x80
	s_waitcnt vmcnt(7)
	v_cmp_ne_u16_sdwa s[10:11], v34, v43 src0_sel:BYTE_0 src1_sel:DWORD
	s_waitcnt vmcnt(3)
	v_mad_i64_i32 v[4:5], s[2:3], v10, s13, v[2:3]
	s_waitcnt vmcnt(2)
	v_mad_i64_i32 v[6:7], s[2:3], v11, s13, v[2:3]
	;; [unrolled: 2-line block ×4, first 2 shown]
	global_load_dwordx4 v[14:17], v[4:5], off
	global_load_dwordx4 v[10:13], v[6:7], off
	s_nop 0
	global_load_dwordx4 v[6:9], v[8:9], off
	s_nop 0
	global_load_dwordx4 v[2:5], v[2:3], off
	s_load_dwordx4 s[40:43], s[4:5], 0x80
	s_load_dwordx2 s[44:45], s[4:5], 0x94
	s_waitcnt lgkmcnt(0)
	s_load_dword s12, s[40:41], 0x0
	s_and_saveexec_b64 s[2:3], s[10:11]
	s_cbranch_execz .LBB871_19
; %bb.14:
	v_cmp_ne_u16_sdwa s[10:11], v34, s8 src0_sel:BYTE_0 src1_sel:DWORD
	v_mov_b32_e32 v43, 0xffff8000
	s_and_saveexec_b64 s[8:9], s[10:11]
	s_cbranch_execz .LBB871_18
; %bb.15:
	s_movk_i32 s10, 0x7f
	v_and_b32_e32 v42, 0x7f, v34
	v_cmp_ne_u32_e32 vcc, s10, v42
	v_mov_b32_e32 v43, 0x7f80
	s_and_saveexec_b64 s[10:11], vcc
	s_cbranch_execz .LBB871_17
; %bb.16:
	v_and_b32_e32 v43, 7, v34
	v_ffbh_u32_e32 v44, v43
	v_min_u32_e32 v53, 32, v44
	v_subrev_u32_e32 v44, 28, v53
	v_lshlrev_b64 v[44:45], v44, v[34:35]
	v_lshrrev_b32_e32 v52, 3, v42
	v_sub_u32_e32 v45, 29, v53
	v_and_b32_e32 v44, 7, v44
	v_cmp_gt_u32_e32 vcc, 8, v42
	v_cndmask_b32_e32 v42, v52, v45, vcc
	v_cndmask_b32_e32 v43, v43, v44, vcc
	v_lshlrev_b32_e32 v44, 24, v34
	v_bfrev_b32_e32 v45, 60
	v_lshlrev_b32_e32 v43, 20, v43
	v_and_b32_e32 v44, 0x80000000, v44
	v_lshl_add_u32 v42, v42, 23, v45
	v_or3_b32 v42, v44, v42, v43
	v_lshrrev_b32_e32 v43, 16, v42
.LBB871_17:
	s_or_b64 exec, exec, s[10:11]
.LBB871_18:
	s_or_b64 exec, exec, s[8:9]
.LBB871_19:
	s_or_b64 exec, exec, s[2:3]
	v_lshrrev_b16_e32 v42, 8, v34
	v_cmp_ne_u16_e32 vcc, 0, v42
	v_mov_b32_e32 v45, 0
	v_mov_b32_e32 v44, 0
	s_and_saveexec_b64 s[2:3], vcc
	s_cbranch_execz .LBB871_25
; %bb.20:
	s_movk_i32 s8, 0x80
	v_cmp_ne_u16_e32 vcc, s8, v42
	v_mov_b32_e32 v44, 0xffff8000
	s_and_saveexec_b64 s[8:9], vcc
	s_cbranch_execz .LBB871_24
; %bb.21:
	s_movk_i32 s10, 0x7f
	v_and_b32_e32 v52, 0x7f, v42
	v_cmp_ne_u32_e32 vcc, s10, v52
	v_mov_b32_e32 v44, 0x7f80
	s_and_saveexec_b64 s[10:11], vcc
	s_cbranch_execz .LBB871_23
; %bb.22:
	v_and_b32_e32 v44, 7, v42
	v_ffbh_u32_e32 v54, v44
	v_min_u32_e32 v56, 32, v54
	v_subrev_u32_e32 v54, 28, v56
	v_lshlrev_b64 v[54:55], v54, v[42:43]
	v_lshrrev_b32_e32 v53, 3, v52
	v_sub_u32_e32 v42, 29, v56
	v_and_b32_e32 v54, 7, v54
	v_cmp_gt_u32_e32 vcc, 8, v52
	v_cndmask_b32_e32 v42, v53, v42, vcc
	v_cndmask_b32_e32 v44, v44, v54, vcc
	v_lshlrev_b32_e32 v52, 16, v34
	v_bfrev_b32_e32 v53, 60
	v_lshlrev_b32_e32 v44, 20, v44
	v_and_b32_e32 v52, 0x80000000, v52
	v_lshl_add_u32 v42, v42, 23, v53
	v_or3_b32 v42, v52, v42, v44
	v_lshrrev_b32_e32 v44, 16, v42
.LBB871_23:
	s_or_b64 exec, exec, s[10:11]
.LBB871_24:
	s_or_b64 exec, exec, s[8:9]
.LBB871_25:
	s_or_b64 exec, exec, s[2:3]
	s_movk_i32 s2, 0xff
	v_and_b32_sdwa v52, v34, s2 dst_sel:DWORD dst_unused:UNUSED_PAD src0_sel:WORD_1 src1_sel:DWORD
	v_lshrrev_b32_e32 v42, 16, v34
	v_cmp_ne_u16_e32 vcc, 0, v52
	s_and_saveexec_b64 s[2:3], vcc
	s_cbranch_execz .LBB871_31
; %bb.26:
	s_movk_i32 s8, 0x80
	v_cmp_ne_u16_e32 vcc, s8, v52
	v_mov_b32_e32 v45, 0xffff8000
	s_and_saveexec_b64 s[8:9], vcc
	s_cbranch_execz .LBB871_30
; %bb.27:
	v_bfe_u32 v52, v34, 16, 7
	s_movk_i32 s10, 0x7f
	v_cmp_ne_u32_e32 vcc, s10, v52
	v_mov_b32_e32 v45, 0x7f80
	s_and_saveexec_b64 s[10:11], vcc
	s_cbranch_execz .LBB871_29
; %bb.28:
	v_and_b32_e32 v45, 7, v42
	v_ffbh_u32_e32 v54, v45
	v_min_u32_e32 v56, 32, v54
	v_subrev_u32_e32 v54, 28, v56
	v_lshlrev_b64 v[54:55], v54, v[42:43]
	v_lshrrev_b32_e32 v53, 3, v52
	v_sub_u32_e32 v42, 29, v56
	v_and_b32_e32 v54, 7, v54
	v_cmp_gt_u32_e32 vcc, 8, v52
	v_mov_b32_e32 v52, 24
	v_cndmask_b32_e32 v42, v53, v42, vcc
	v_cndmask_b32_e32 v45, v45, v54, vcc
	v_lshlrev_b32_sdwa v52, v52, v34 dst_sel:DWORD dst_unused:UNUSED_PAD src0_sel:DWORD src1_sel:WORD_1
	v_bfrev_b32_e32 v53, 60
	v_lshlrev_b32_e32 v45, 20, v45
	v_and_b32_e32 v52, 0x80000000, v52
	v_lshl_add_u32 v42, v42, 23, v53
	v_or3_b32 v42, v52, v42, v45
	v_lshrrev_b32_e32 v45, 16, v42
.LBB871_29:
	s_or_b64 exec, exec, s[10:11]
.LBB871_30:
	s_or_b64 exec, exec, s[8:9]
.LBB871_31:
	s_or_b64 exec, exec, s[2:3]
	s_mov_b32 s2, 0xffffff
	v_cmp_lt_u32_e32 vcc, s2, v34
	v_mov_b32_e32 v53, 0
	v_mov_b32_e32 v54, 0
	s_and_saveexec_b64 s[2:3], vcc
	s_cbranch_execz .LBB871_37
; %bb.32:
	v_lshrrev_b32_e32 v42, 24, v34
	s_movk_i32 s8, 0x80
	v_cmp_ne_u32_e32 vcc, s8, v42
	v_mov_b32_e32 v54, 0xffff8000
	s_and_saveexec_b64 s[8:9], vcc
	s_cbranch_execz .LBB871_36
; %bb.33:
	v_bfe_u32 v34, v34, 24, 7
	s_movk_i32 s10, 0x7f
	v_cmp_ne_u32_e32 vcc, s10, v34
	v_mov_b32_e32 v54, 0x7f80
	s_and_saveexec_b64 s[10:11], vcc
	s_cbranch_execz .LBB871_35
; %bb.34:
	v_and_b32_e32 v52, 7, v42
	v_ffbh_u32_e32 v54, v52
	v_min_u32_e32 v57, 32, v54
	v_subrev_u32_e32 v54, 28, v57
	v_lshlrev_b64 v[54:55], v54, v[42:43]
	v_lshrrev_b32_e32 v56, 3, v34
	v_sub_u32_e32 v55, 29, v57
	v_and_b32_e32 v54, 7, v54
	v_cmp_gt_u32_e32 vcc, 8, v34
	v_cndmask_b32_e32 v34, v56, v55, vcc
	v_cndmask_b32_e32 v52, v52, v54, vcc
	v_lshlrev_b32_e32 v42, 24, v42
	v_bfrev_b32_e32 v54, 60
	v_lshlrev_b32_e32 v52, 20, v52
	v_and_b32_e32 v42, 0x80000000, v42
	v_lshl_add_u32 v34, v34, 23, v54
	v_or3_b32 v34, v42, v34, v52
	v_lshrrev_b32_e32 v54, 16, v34
.LBB871_35:
	s_or_b64 exec, exec, s[10:11]
.LBB871_36:
	s_or_b64 exec, exec, s[8:9]
.LBB871_37:
	s_or_b64 exec, exec, s[2:3]
	v_cmp_ne_u16_sdwa s[8:9], v35, v53 src0_sel:BYTE_0 src1_sel:DWORD
	s_and_saveexec_b64 s[2:3], s[8:9]
	s_cbranch_execz .LBB871_43
; %bb.38:
	s_movk_i32 s8, 0x80
	v_cmp_ne_u16_sdwa s[10:11], v35, s8 src0_sel:BYTE_0 src1_sel:DWORD
	v_mov_b32_e32 v53, 0xffff8000
	s_and_saveexec_b64 s[8:9], s[10:11]
	s_cbranch_execz .LBB871_42
; %bb.39:
	s_movk_i32 s10, 0x7f
	v_and_b32_e32 v34, 0x7f, v35
	v_cmp_ne_u32_e32 vcc, s10, v34
	v_mov_b32_e32 v53, 0x7f80
	s_and_saveexec_b64 s[10:11], vcc
	s_cbranch_execz .LBB871_41
; %bb.40:
	v_and_b32_e32 v55, 7, v35
	v_ffbh_u32_e32 v52, v55
	v_min_u32_e32 v57, 32, v52
	v_mov_b32_e32 v42, v35
	v_subrev_u32_e32 v52, 28, v57
	v_lshlrev_b64 v[52:53], v52, v[42:43]
	v_lshrrev_b32_e32 v56, 3, v34
	v_sub_u32_e32 v42, 29, v57
	v_and_b32_e32 v52, 7, v52
	v_cmp_gt_u32_e32 vcc, 8, v34
	v_cndmask_b32_e32 v34, v56, v42, vcc
	v_cndmask_b32_e32 v42, v55, v52, vcc
	v_lshlrev_b32_e32 v52, 24, v35
	v_bfrev_b32_e32 v53, 60
	v_lshlrev_b32_e32 v42, 20, v42
	v_and_b32_e32 v52, 0x80000000, v52
	v_lshl_add_u32 v34, v34, 23, v53
	v_or3_b32 v34, v52, v34, v42
	v_lshrrev_b32_e32 v53, 16, v34
.LBB871_41:
	s_or_b64 exec, exec, s[10:11]
.LBB871_42:
	s_or_b64 exec, exec, s[8:9]
.LBB871_43:
	s_or_b64 exec, exec, s[2:3]
	v_lshrrev_b16_e32 v34, 8, v35
	v_cmp_ne_u16_e32 vcc, 0, v34
	v_mov_b32_e32 v55, 0
	v_mov_b32_e32 v42, 0
	s_and_saveexec_b64 s[2:3], vcc
	s_cbranch_execz .LBB871_49
; %bb.44:
	s_movk_i32 s8, 0x80
	v_cmp_ne_u16_e32 vcc, s8, v34
	v_mov_b32_e32 v42, 0xffff8000
	s_and_saveexec_b64 s[8:9], vcc
	s_cbranch_execz .LBB871_48
; %bb.45:
	s_movk_i32 s10, 0x7f
	v_and_b32_e32 v52, 0x7f, v34
	v_cmp_ne_u32_e32 vcc, s10, v52
	v_mov_b32_e32 v42, 0x7f80
	s_and_saveexec_b64 s[10:11], vcc
	s_cbranch_execz .LBB871_47
; %bb.46:
	v_and_b32_e32 v42, 7, v34
	v_ffbh_u32_e32 v56, v42
	v_min_u32_e32 v59, 32, v56
	v_subrev_u32_e32 v56, 28, v59
	v_lshlrev_b64 v[56:57], v56, v[34:35]
	v_lshrrev_b32_e32 v58, 3, v52
	v_sub_u32_e32 v34, 29, v59
	v_and_b32_e32 v56, 7, v56
	v_cmp_gt_u32_e32 vcc, 8, v52
	v_cndmask_b32_e32 v34, v58, v34, vcc
	v_cndmask_b32_e32 v42, v42, v56, vcc
	v_lshlrev_b32_e32 v52, 16, v35
	v_bfrev_b32_e32 v56, 60
	v_lshlrev_b32_e32 v42, 20, v42
	v_and_b32_e32 v52, 0x80000000, v52
	v_lshl_add_u32 v34, v34, 23, v56
	v_or3_b32 v34, v52, v34, v42
	v_lshrrev_b32_e32 v42, 16, v34
.LBB871_47:
	s_or_b64 exec, exec, s[10:11]
.LBB871_48:
	s_or_b64 exec, exec, s[8:9]
.LBB871_49:
	s_or_b64 exec, exec, s[2:3]
	s_movk_i32 s2, 0xff
	v_and_b32_sdwa v52, v35, s2 dst_sel:DWORD dst_unused:UNUSED_PAD src0_sel:WORD_1 src1_sel:DWORD
	v_lshrrev_b32_e32 v34, 16, v35
	v_cmp_ne_u16_e32 vcc, 0, v52
	s_and_saveexec_b64 s[2:3], vcc
	s_cbranch_execz .LBB871_55
; %bb.50:
	s_movk_i32 s8, 0x80
	v_cmp_ne_u16_e32 vcc, s8, v52
	v_mov_b32_e32 v55, 0xffff8000
	s_and_saveexec_b64 s[8:9], vcc
	s_cbranch_execz .LBB871_54
; %bb.51:
	v_bfe_u32 v52, v35, 16, 7
	s_movk_i32 s10, 0x7f
	v_cmp_ne_u32_e32 vcc, s10, v52
	v_mov_b32_e32 v55, 0x7f80
	s_and_saveexec_b64 s[10:11], vcc
	s_cbranch_execz .LBB871_53
; %bb.52:
	v_and_b32_e32 v55, 7, v34
	v_ffbh_u32_e32 v56, v55
	v_min_u32_e32 v59, 32, v56
	v_subrev_u32_e32 v56, 28, v59
	v_lshlrev_b64 v[56:57], v56, v[34:35]
	v_and_b32_e32 v56, 7, v56
	v_cmp_gt_u32_e32 vcc, 8, v52
	v_lshrrev_b32_e32 v58, 3, v52
	v_sub_u32_e32 v34, 29, v59
	v_cndmask_b32_e32 v52, v55, v56, vcc
	v_mov_b32_e32 v55, 24
	v_cndmask_b32_e32 v34, v58, v34, vcc
	v_lshlrev_b32_sdwa v55, v55, v35 dst_sel:DWORD dst_unused:UNUSED_PAD src0_sel:DWORD src1_sel:WORD_1
	v_bfrev_b32_e32 v56, 60
	v_lshlrev_b32_e32 v52, 20, v52
	v_and_b32_e32 v55, 0x80000000, v55
	v_lshl_add_u32 v34, v34, 23, v56
	v_or3_b32 v34, v55, v34, v52
	v_lshrrev_b32_e32 v55, 16, v34
.LBB871_53:
	s_or_b64 exec, exec, s[10:11]
.LBB871_54:
	s_or_b64 exec, exec, s[8:9]
.LBB871_55:
	s_or_b64 exec, exec, s[2:3]
	s_mov_b32 s2, 0xffffff
	v_cmp_lt_u32_e32 vcc, s2, v35
	v_mov_b32_e32 v52, 0
	v_mov_b32_e32 v56, 0
	s_and_saveexec_b64 s[2:3], vcc
	s_cbranch_execz .LBB871_61
; %bb.56:
	v_lshrrev_b32_e32 v34, 24, v35
	s_movk_i32 s8, 0x80
	v_cmp_ne_u32_e32 vcc, s8, v34
	v_mov_b32_e32 v56, 0xffff8000
	s_and_saveexec_b64 s[8:9], vcc
	s_cbranch_execz .LBB871_60
; %bb.57:
	v_bfe_u32 v35, v35, 24, 7
	s_movk_i32 s10, 0x7f
	v_cmp_ne_u32_e32 vcc, s10, v35
	v_mov_b32_e32 v56, 0x7f80
	s_and_saveexec_b64 s[10:11], vcc
	s_cbranch_execz .LBB871_59
; %bb.58:
	v_and_b32_e32 v58, 7, v34
	v_ffbh_u32_e32 v56, v58
	v_min_u32_e32 v60, 32, v56
	v_subrev_u32_e32 v56, 28, v60
	v_lshlrev_b64 v[56:57], v56, v[34:35]
	v_lshrrev_b32_e32 v59, 3, v35
	v_sub_u32_e32 v57, 29, v60
	v_and_b32_e32 v56, 7, v56
	v_cmp_gt_u32_e32 vcc, 8, v35
	v_cndmask_b32_e32 v35, v59, v57, vcc
	v_cndmask_b32_e32 v56, v58, v56, vcc
	v_lshlrev_b32_e32 v34, 24, v34
	v_bfrev_b32_e32 v57, 60
	v_lshlrev_b32_e32 v56, 20, v56
	v_and_b32_e32 v34, 0x80000000, v34
	v_lshl_add_u32 v35, v35, 23, v57
	v_or3_b32 v34, v34, v35, v56
	v_lshrrev_b32_e32 v56, 16, v34
.LBB871_59:
	s_or_b64 exec, exec, s[10:11]
.LBB871_60:
	s_or_b64 exec, exec, s[8:9]
.LBB871_61:
	s_or_b64 exec, exec, s[2:3]
	s_mov_b32 s2, 0x5040100
	v_perm_b32 v35, v54, v45, s2
	v_perm_b32 v34, v44, v43, s2
	v_cmp_ne_u16_sdwa s[8:9], v36, v52 src0_sel:BYTE_0 src1_sel:DWORD
	s_nop 0
	v_mfma_f32_16x16x16bf16_1k v[58:61], v[34:35], v[26:27], 0
	v_perm_b32 v35, v56, v55, s2
	v_perm_b32 v34, v42, v53, s2
	s_nop 1
	v_mfma_f32_16x16x16bf16_1k v[42:45], v[34:35], v[28:29], v[58:61]
	s_and_saveexec_b64 s[2:3], s[8:9]
	s_cbranch_execz .LBB871_67
; %bb.62:
	s_movk_i32 s8, 0x80
	v_cmp_ne_u16_sdwa s[10:11], v36, s8 src0_sel:BYTE_0 src1_sel:DWORD
	v_mov_b32_e32 v52, 0xffff8000
	s_and_saveexec_b64 s[8:9], s[10:11]
	s_cbranch_execz .LBB871_66
; %bb.63:
	s_movk_i32 s10, 0x7f
	v_and_b32_e32 v34, 0x7f, v36
	v_cmp_ne_u32_e32 vcc, s10, v34
	v_mov_b32_e32 v52, 0x7f80
	s_and_saveexec_b64 s[10:11], vcc
	s_cbranch_execz .LBB871_65
; %bb.64:
	v_and_b32_e32 v35, 7, v36
	v_ffbh_u32_e32 v52, v35
	v_min_u32_e32 v55, 32, v52
	v_subrev_u32_e32 v52, 28, v55
	v_lshlrev_b64 v[52:53], v52, v[36:37]
	v_lshrrev_b32_e32 v54, 3, v34
	v_sub_u32_e32 v53, 29, v55
	v_and_b32_e32 v52, 7, v52
	v_cmp_gt_u32_e32 vcc, 8, v34
	v_cndmask_b32_e32 v34, v54, v53, vcc
	v_cndmask_b32_e32 v35, v35, v52, vcc
	v_lshlrev_b32_e32 v52, 24, v36
	v_bfrev_b32_e32 v53, 60
	v_lshlrev_b32_e32 v35, 20, v35
	v_and_b32_e32 v52, 0x80000000, v52
	v_lshl_add_u32 v34, v34, 23, v53
	v_or3_b32 v34, v52, v34, v35
	v_lshrrev_b32_e32 v52, 16, v34
.LBB871_65:
	s_or_b64 exec, exec, s[10:11]
.LBB871_66:
	s_or_b64 exec, exec, s[8:9]
.LBB871_67:
	s_or_b64 exec, exec, s[2:3]
	v_lshrrev_b16_e32 v34, 8, v36
	v_cmp_ne_u16_e32 vcc, 0, v34
	v_mov_b32_e32 v54, 0
	v_mov_b32_e32 v35, 0
	s_and_saveexec_b64 s[2:3], vcc
	s_cbranch_execz .LBB871_73
; %bb.68:
	s_movk_i32 s8, 0x80
	v_cmp_ne_u16_e32 vcc, s8, v34
	v_mov_b32_e32 v35, 0xffff8000
	s_and_saveexec_b64 s[8:9], vcc
	s_cbranch_execz .LBB871_72
; %bb.69:
	s_movk_i32 s10, 0x7f
	v_and_b32_e32 v53, 0x7f, v34
	v_cmp_ne_u32_e32 vcc, s10, v53
	v_mov_b32_e32 v35, 0x7f80
	s_and_saveexec_b64 s[10:11], vcc
	s_cbranch_execz .LBB871_71
; %bb.70:
	v_and_b32_e32 v55, 7, v34
	v_ffbh_u32_e32 v35, v55
	v_min_u32_e32 v57, 32, v35
	v_subrev_u32_e32 v35, 28, v57
	v_lshlrev_b64 v[34:35], v35, v[34:35]
	v_lshrrev_b32_e32 v56, 3, v53
	v_sub_u32_e32 v35, 29, v57
	v_and_b32_e32 v34, 7, v34
	v_cmp_gt_u32_e32 vcc, 8, v53
	v_cndmask_b32_e32 v35, v56, v35, vcc
	v_cndmask_b32_e32 v34, v55, v34, vcc
	v_lshlrev_b32_e32 v53, 16, v36
	v_bfrev_b32_e32 v55, 60
	v_lshlrev_b32_e32 v34, 20, v34
	v_and_b32_e32 v53, 0x80000000, v53
	v_lshl_add_u32 v35, v35, 23, v55
	v_or3_b32 v34, v53, v35, v34
	v_lshrrev_b32_e32 v35, 16, v34
.LBB871_71:
	s_or_b64 exec, exec, s[10:11]
.LBB871_72:
	s_or_b64 exec, exec, s[8:9]
.LBB871_73:
	s_or_b64 exec, exec, s[2:3]
	s_movk_i32 s2, 0xff
	v_and_b32_sdwa v53, v36, s2 dst_sel:DWORD dst_unused:UNUSED_PAD src0_sel:WORD_1 src1_sel:DWORD
	v_lshrrev_b32_e32 v34, 16, v36
	v_cmp_ne_u16_e32 vcc, 0, v53
	s_and_saveexec_b64 s[2:3], vcc
	s_cbranch_execz .LBB871_79
; %bb.74:
	s_movk_i32 s8, 0x80
	v_cmp_ne_u16_e32 vcc, s8, v53
	v_mov_b32_e32 v54, 0xffff8000
	s_and_saveexec_b64 s[8:9], vcc
	s_cbranch_execz .LBB871_78
; %bb.75:
	v_bfe_u32 v53, v36, 16, 7
	s_movk_i32 s10, 0x7f
	v_cmp_ne_u32_e32 vcc, s10, v53
	v_mov_b32_e32 v54, 0x7f80
	s_and_saveexec_b64 s[10:11], vcc
	s_cbranch_execz .LBB871_77
; %bb.76:
	v_and_b32_e32 v56, 7, v34
	v_ffbh_u32_e32 v54, v56
	v_min_u32_e32 v58, 32, v54
	v_subrev_u32_e32 v54, 28, v58
	v_lshlrev_b64 v[54:55], v54, v[34:35]
	v_and_b32_e32 v54, 7, v54
	v_cmp_gt_u32_e32 vcc, 8, v53
	v_lshrrev_b32_e32 v57, 3, v53
	v_sub_u32_e32 v34, 29, v58
	v_cndmask_b32_e32 v53, v56, v54, vcc
	v_mov_b32_e32 v54, 24
	v_cndmask_b32_e32 v34, v57, v34, vcc
	v_lshlrev_b32_sdwa v54, v54, v36 dst_sel:DWORD dst_unused:UNUSED_PAD src0_sel:DWORD src1_sel:WORD_1
	v_bfrev_b32_e32 v55, 60
	v_lshlrev_b32_e32 v53, 20, v53
	v_and_b32_e32 v54, 0x80000000, v54
	v_lshl_add_u32 v34, v34, 23, v55
	v_or3_b32 v34, v54, v34, v53
	v_lshrrev_b32_e32 v54, 16, v34
.LBB871_77:
	s_or_b64 exec, exec, s[10:11]
.LBB871_78:
	s_or_b64 exec, exec, s[8:9]
.LBB871_79:
	s_or_b64 exec, exec, s[2:3]
	s_mov_b32 s2, 0xffffff
	v_cmp_lt_u32_e32 vcc, s2, v36
	v_mov_b32_e32 v55, 0
	v_mov_b32_e32 v56, 0
	s_and_saveexec_b64 s[2:3], vcc
	s_cbranch_execz .LBB871_85
; %bb.80:
	v_lshrrev_b32_e32 v34, 24, v36
	s_movk_i32 s8, 0x80
	v_cmp_ne_u32_e32 vcc, s8, v34
	v_mov_b32_e32 v56, 0xffff8000
	s_and_saveexec_b64 s[8:9], vcc
	s_cbranch_execz .LBB871_84
; %bb.81:
	v_bfe_u32 v36, v36, 24, 7
	s_movk_i32 s10, 0x7f
	v_cmp_ne_u32_e32 vcc, s10, v36
	v_mov_b32_e32 v56, 0x7f80
	s_and_saveexec_b64 s[10:11], vcc
	s_cbranch_execz .LBB871_83
; %bb.82:
	v_and_b32_e32 v53, 7, v34
	v_ffbh_u32_e32 v56, v53
	v_min_u32_e32 v59, 32, v56
	v_subrev_u32_e32 v56, 28, v59
	v_lshlrev_b64 v[56:57], v56, v[34:35]
	v_lshrrev_b32_e32 v58, 3, v36
	v_sub_u32_e32 v57, 29, v59
	v_and_b32_e32 v56, 7, v56
	v_cmp_gt_u32_e32 vcc, 8, v36
	v_cndmask_b32_e32 v36, v58, v57, vcc
	v_cndmask_b32_e32 v53, v53, v56, vcc
	v_lshlrev_b32_e32 v34, 24, v34
	v_bfrev_b32_e32 v56, 60
	v_lshlrev_b32_e32 v53, 20, v53
	v_and_b32_e32 v34, 0x80000000, v34
	v_lshl_add_u32 v36, v36, 23, v56
	v_or3_b32 v34, v34, v36, v53
	v_lshrrev_b32_e32 v56, 16, v34
.LBB871_83:
	s_or_b64 exec, exec, s[10:11]
.LBB871_84:
	s_or_b64 exec, exec, s[8:9]
.LBB871_85:
	s_or_b64 exec, exec, s[2:3]
	v_cmp_ne_u16_sdwa s[8:9], v37, v55 src0_sel:BYTE_0 src1_sel:DWORD
	s_and_saveexec_b64 s[2:3], s[8:9]
	s_cbranch_execz .LBB871_91
; %bb.86:
	s_movk_i32 s8, 0x80
	v_cmp_ne_u16_sdwa s[10:11], v37, s8 src0_sel:BYTE_0 src1_sel:DWORD
	v_mov_b32_e32 v55, 0xffff8000
	s_and_saveexec_b64 s[8:9], s[10:11]
	s_cbranch_execz .LBB871_90
; %bb.87:
	s_movk_i32 s10, 0x7f
	v_and_b32_e32 v34, 0x7f, v37
	v_cmp_ne_u32_e32 vcc, s10, v34
	v_mov_b32_e32 v55, 0x7f80
	s_and_saveexec_b64 s[10:11], vcc
	s_cbranch_execz .LBB871_89
; %bb.88:
	v_and_b32_e32 v53, 7, v37
	v_ffbh_u32_e32 v57, v53
	v_min_u32_e32 v57, 32, v57
	v_mov_b32_e32 v36, v37
	v_subrev_u32_e32 v58, 28, v57
	v_lshlrev_b64 v[58:59], v58, v[36:37]
	v_lshrrev_b32_e32 v55, 3, v34
	v_sub_u32_e32 v36, 29, v57
	v_and_b32_e32 v57, 7, v58
	v_cmp_gt_u32_e32 vcc, 8, v34
	v_cndmask_b32_e32 v34, v55, v36, vcc
	v_cndmask_b32_e32 v36, v53, v57, vcc
	v_lshlrev_b32_e32 v53, 24, v37
	v_bfrev_b32_e32 v55, 60
	v_lshlrev_b32_e32 v36, 20, v36
	v_and_b32_e32 v53, 0x80000000, v53
	v_lshl_add_u32 v34, v34, 23, v55
	v_or3_b32 v34, v53, v34, v36
	v_lshrrev_b32_e32 v55, 16, v34
.LBB871_89:
	s_or_b64 exec, exec, s[10:11]
.LBB871_90:
	s_or_b64 exec, exec, s[8:9]
.LBB871_91:
	s_or_b64 exec, exec, s[2:3]
	v_lshrrev_b16_e32 v34, 8, v37
	v_cmp_ne_u16_e32 vcc, 0, v34
	v_mov_b32_e32 v57, 0
	v_mov_b32_e32 v36, 0
	s_and_saveexec_b64 s[2:3], vcc
	s_cbranch_execz .LBB871_97
; %bb.92:
	s_movk_i32 s8, 0x80
	v_cmp_ne_u16_e32 vcc, s8, v34
	v_mov_b32_e32 v36, 0xffff8000
	s_and_saveexec_b64 s[8:9], vcc
	s_cbranch_execz .LBB871_96
; %bb.93:
	s_movk_i32 s10, 0x7f
	v_and_b32_e32 v53, 0x7f, v34
	v_cmp_ne_u32_e32 vcc, s10, v53
	v_mov_b32_e32 v36, 0x7f80
	s_and_saveexec_b64 s[10:11], vcc
	s_cbranch_execz .LBB871_95
; %bb.94:
	v_and_b32_e32 v36, 7, v34
	v_ffbh_u32_e32 v58, v36
	v_min_u32_e32 v61, 32, v58
	v_subrev_u32_e32 v58, 28, v61
	v_lshlrev_b64 v[58:59], v58, v[34:35]
	v_lshrrev_b32_e32 v60, 3, v53
	v_sub_u32_e32 v34, 29, v61
	v_and_b32_e32 v58, 7, v58
	v_cmp_gt_u32_e32 vcc, 8, v53
	v_cndmask_b32_e32 v34, v60, v34, vcc
	v_cndmask_b32_e32 v36, v36, v58, vcc
	v_lshlrev_b32_e32 v53, 16, v37
	v_bfrev_b32_e32 v58, 60
	v_lshlrev_b32_e32 v36, 20, v36
	v_and_b32_e32 v53, 0x80000000, v53
	v_lshl_add_u32 v34, v34, 23, v58
	v_or3_b32 v34, v53, v34, v36
	v_lshrrev_b32_e32 v36, 16, v34
.LBB871_95:
	s_or_b64 exec, exec, s[10:11]
.LBB871_96:
	s_or_b64 exec, exec, s[8:9]
.LBB871_97:
	s_or_b64 exec, exec, s[2:3]
	s_movk_i32 s2, 0xff
	v_and_b32_sdwa v53, v37, s2 dst_sel:DWORD dst_unused:UNUSED_PAD src0_sel:WORD_1 src1_sel:DWORD
	v_lshrrev_b32_e32 v34, 16, v37
	v_cmp_ne_u16_e32 vcc, 0, v53
	s_and_saveexec_b64 s[2:3], vcc
	s_cbranch_execz .LBB871_103
; %bb.98:
	s_movk_i32 s8, 0x80
	v_cmp_ne_u16_e32 vcc, s8, v53
	v_mov_b32_e32 v57, 0xffff8000
	s_and_saveexec_b64 s[8:9], vcc
	s_cbranch_execz .LBB871_102
; %bb.99:
	v_bfe_u32 v53, v37, 16, 7
	s_movk_i32 s10, 0x7f
	v_cmp_ne_u32_e32 vcc, s10, v53
	v_mov_b32_e32 v57, 0x7f80
	s_and_saveexec_b64 s[10:11], vcc
	s_cbranch_execz .LBB871_101
; %bb.100:
	v_and_b32_e32 v57, 7, v34
	v_ffbh_u32_e32 v58, v57
	v_min_u32_e32 v61, 32, v58
	v_subrev_u32_e32 v58, 28, v61
	v_lshlrev_b64 v[58:59], v58, v[34:35]
	v_and_b32_e32 v58, 7, v58
	v_cmp_gt_u32_e32 vcc, 8, v53
	v_lshrrev_b32_e32 v60, 3, v53
	v_sub_u32_e32 v34, 29, v61
	v_cndmask_b32_e32 v53, v57, v58, vcc
	v_mov_b32_e32 v57, 24
	v_cndmask_b32_e32 v34, v60, v34, vcc
	v_lshlrev_b32_sdwa v57, v57, v37 dst_sel:DWORD dst_unused:UNUSED_PAD src0_sel:DWORD src1_sel:WORD_1
	v_bfrev_b32_e32 v58, 60
	v_lshlrev_b32_e32 v53, 20, v53
	v_and_b32_e32 v57, 0x80000000, v57
	v_lshl_add_u32 v34, v34, 23, v58
	v_or3_b32 v34, v57, v34, v53
	v_lshrrev_b32_e32 v57, 16, v34
.LBB871_101:
	s_or_b64 exec, exec, s[10:11]
.LBB871_102:
	s_or_b64 exec, exec, s[8:9]
.LBB871_103:
	s_or_b64 exec, exec, s[2:3]
	s_mov_b32 s2, 0xffffff
	v_cmp_lt_u32_e32 vcc, s2, v37
	v_mov_b32_e32 v53, 0
	v_mov_b32_e32 v58, 0
	s_and_saveexec_b64 s[2:3], vcc
	s_cbranch_execz .LBB871_109
; %bb.104:
	v_lshrrev_b32_e32 v34, 24, v37
	s_movk_i32 s8, 0x80
	v_cmp_ne_u32_e32 vcc, s8, v34
	v_mov_b32_e32 v58, 0xffff8000
	s_and_saveexec_b64 s[8:9], vcc
	s_cbranch_execz .LBB871_108
; %bb.105:
	v_bfe_u32 v37, v37, 24, 7
	s_movk_i32 s10, 0x7f
	v_cmp_ne_u32_e32 vcc, s10, v37
	v_mov_b32_e32 v58, 0x7f80
	s_and_saveexec_b64 s[10:11], vcc
	s_cbranch_execz .LBB871_107
; %bb.106:
	v_and_b32_e32 v60, 7, v34
	v_ffbh_u32_e32 v58, v60
	v_min_u32_e32 v62, 32, v58
	v_subrev_u32_e32 v58, 28, v62
	v_lshlrev_b64 v[58:59], v58, v[34:35]
	v_lshrrev_b32_e32 v61, 3, v37
	v_sub_u32_e32 v59, 29, v62
	v_and_b32_e32 v58, 7, v58
	v_cmp_gt_u32_e32 vcc, 8, v37
	v_cndmask_b32_e32 v37, v61, v59, vcc
	v_cndmask_b32_e32 v58, v60, v58, vcc
	v_lshlrev_b32_e32 v34, 24, v34
	v_bfrev_b32_e32 v59, 60
	v_lshlrev_b32_e32 v58, 20, v58
	v_and_b32_e32 v34, 0x80000000, v34
	v_lshl_add_u32 v37, v37, 23, v59
	v_or3_b32 v34, v34, v37, v58
	v_lshrrev_b32_e32 v58, 16, v34
.LBB871_107:
	s_or_b64 exec, exec, s[10:11]
.LBB871_108:
	s_or_b64 exec, exec, s[8:9]
.LBB871_109:
	s_or_b64 exec, exec, s[2:3]
	s_mov_b32 s2, 0x5040100
	v_perm_b32 v61, v56, v54, s2
	v_perm_b32 v60, v35, v52, s2
	;; [unrolled: 1-line block ×4, first 2 shown]
	v_cmp_ne_u16_sdwa s[8:9], v38, v53 src0_sel:BYTE_0 src1_sel:DWORD
	v_mfma_f32_16x16x16bf16_1k v[42:45], v[60:61], v[18:19], v[42:45]
	v_mfma_f32_16x16x16bf16_1k v[34:37], v[34:35], v[20:21], v[42:45]
	s_and_saveexec_b64 s[2:3], s[8:9]
	s_cbranch_execz .LBB871_115
; %bb.110:
	s_movk_i32 s8, 0x80
	v_cmp_ne_u16_sdwa s[10:11], v38, s8 src0_sel:BYTE_0 src1_sel:DWORD
	v_mov_b32_e32 v53, 0xffff8000
	s_and_saveexec_b64 s[8:9], s[10:11]
	s_cbranch_execz .LBB871_114
; %bb.111:
	s_movk_i32 s10, 0x7f
	s_nop 1
	v_and_b32_e32 v42, 0x7f, v38
	v_cmp_ne_u32_e32 vcc, s10, v42
	v_mov_b32_e32 v53, 0x7f80
	s_and_saveexec_b64 s[10:11], vcc
	s_cbranch_execz .LBB871_113
; %bb.112:
	v_and_b32_e32 v43, 7, v38
	v_ffbh_u32_e32 v44, v43
	v_min_u32_e32 v53, 32, v44
	v_subrev_u32_e32 v44, 28, v53
	v_lshlrev_b64 v[44:45], v44, v[38:39]
	v_lshrrev_b32_e32 v52, 3, v42
	v_sub_u32_e32 v45, 29, v53
	v_and_b32_e32 v44, 7, v44
	v_cmp_gt_u32_e32 vcc, 8, v42
	v_cndmask_b32_e32 v42, v52, v45, vcc
	v_cndmask_b32_e32 v43, v43, v44, vcc
	v_lshlrev_b32_e32 v44, 24, v38
	v_bfrev_b32_e32 v45, 60
	v_lshlrev_b32_e32 v43, 20, v43
	v_and_b32_e32 v44, 0x80000000, v44
	v_lshl_add_u32 v42, v42, 23, v45
	v_or3_b32 v42, v44, v42, v43
	v_lshrrev_b32_e32 v53, 16, v42
.LBB871_113:
	s_or_b64 exec, exec, s[10:11]
.LBB871_114:
	s_or_b64 exec, exec, s[8:9]
.LBB871_115:
	s_or_b64 exec, exec, s[2:3]
	s_nop 6
	v_lshrrev_b16_e32 v42, 8, v38
	v_cmp_ne_u16_e32 vcc, 0, v42
	v_mov_b32_e32 v44, 0
	v_mov_b32_e32 v43, 0
	s_and_saveexec_b64 s[2:3], vcc
	s_cbranch_execz .LBB871_121
; %bb.116:
	s_movk_i32 s8, 0x80
	v_cmp_ne_u16_e32 vcc, s8, v42
	v_mov_b32_e32 v43, 0xffff8000
	s_and_saveexec_b64 s[8:9], vcc
	s_cbranch_execz .LBB871_120
; %bb.117:
	s_movk_i32 s10, 0x7f
	v_and_b32_e32 v45, 0x7f, v42
	v_cmp_ne_u32_e32 vcc, s10, v45
	v_mov_b32_e32 v43, 0x7f80
	s_and_saveexec_b64 s[10:11], vcc
	s_cbranch_execz .LBB871_119
; %bb.118:
	v_and_b32_e32 v52, 7, v42
	v_ffbh_u32_e32 v43, v52
	v_min_u32_e32 v55, 32, v43
	v_subrev_u32_e32 v43, 28, v55
	v_lshlrev_b64 v[42:43], v43, v[42:43]
	v_lshrrev_b32_e32 v54, 3, v45
	v_sub_u32_e32 v43, 29, v55
	v_and_b32_e32 v42, 7, v42
	v_cmp_gt_u32_e32 vcc, 8, v45
	v_cndmask_b32_e32 v43, v54, v43, vcc
	v_cndmask_b32_e32 v42, v52, v42, vcc
	v_lshlrev_b32_e32 v45, 16, v38
	v_bfrev_b32_e32 v52, 60
	v_lshlrev_b32_e32 v42, 20, v42
	v_and_b32_e32 v45, 0x80000000, v45
	v_lshl_add_u32 v43, v43, 23, v52
	v_or3_b32 v42, v45, v43, v42
	v_lshrrev_b32_e32 v43, 16, v42
.LBB871_119:
	s_or_b64 exec, exec, s[10:11]
.LBB871_120:
	s_or_b64 exec, exec, s[8:9]
.LBB871_121:
	s_or_b64 exec, exec, s[2:3]
	s_movk_i32 s2, 0xff
	v_and_b32_sdwa v45, v38, s2 dst_sel:DWORD dst_unused:UNUSED_PAD src0_sel:WORD_1 src1_sel:DWORD
	v_lshrrev_b32_e32 v42, 16, v38
	v_cmp_ne_u16_e32 vcc, 0, v45
	s_and_saveexec_b64 s[2:3], vcc
	s_cbranch_execz .LBB871_127
; %bb.122:
	s_movk_i32 s8, 0x80
	v_cmp_ne_u16_e32 vcc, s8, v45
	v_mov_b32_e32 v44, 0xffff8000
	s_and_saveexec_b64 s[8:9], vcc
	s_cbranch_execz .LBB871_126
; %bb.123:
	v_bfe_u32 v45, v38, 16, 7
	s_movk_i32 s10, 0x7f
	v_cmp_ne_u32_e32 vcc, s10, v45
	v_mov_b32_e32 v44, 0x7f80
	s_and_saveexec_b64 s[10:11], vcc
	s_cbranch_execz .LBB871_125
; %bb.124:
	v_and_b32_e32 v44, 7, v42
	v_ffbh_u32_e32 v54, v44
	v_min_u32_e32 v56, 32, v54
	v_subrev_u32_e32 v54, 28, v56
	v_lshlrev_b64 v[54:55], v54, v[42:43]
	v_lshrrev_b32_e32 v52, 3, v45
	v_sub_u32_e32 v42, 29, v56
	v_and_b32_e32 v54, 7, v54
	v_cmp_gt_u32_e32 vcc, 8, v45
	v_mov_b32_e32 v45, 24
	v_cndmask_b32_e32 v42, v52, v42, vcc
	v_cndmask_b32_e32 v44, v44, v54, vcc
	v_lshlrev_b32_sdwa v45, v45, v38 dst_sel:DWORD dst_unused:UNUSED_PAD src0_sel:DWORD src1_sel:WORD_1
	v_bfrev_b32_e32 v52, 60
	v_lshlrev_b32_e32 v44, 20, v44
	v_and_b32_e32 v45, 0x80000000, v45
	v_lshl_add_u32 v42, v42, 23, v52
	v_or3_b32 v42, v45, v42, v44
	v_lshrrev_b32_e32 v44, 16, v42
.LBB871_125:
	s_or_b64 exec, exec, s[10:11]
.LBB871_126:
	s_or_b64 exec, exec, s[8:9]
.LBB871_127:
	s_or_b64 exec, exec, s[2:3]
	s_mov_b32 s2, 0xffffff
	v_cmp_lt_u32_e32 vcc, s2, v38
	v_mov_b32_e32 v45, 0
	v_mov_b32_e32 v54, 0
	s_and_saveexec_b64 s[2:3], vcc
	s_cbranch_execz .LBB871_133
; %bb.128:
	v_lshrrev_b32_e32 v42, 24, v38
	s_movk_i32 s8, 0x80
	v_cmp_ne_u32_e32 vcc, s8, v42
	v_mov_b32_e32 v54, 0xffff8000
	s_and_saveexec_b64 s[8:9], vcc
	s_cbranch_execz .LBB871_132
; %bb.129:
	v_bfe_u32 v38, v38, 24, 7
	s_movk_i32 s10, 0x7f
	v_cmp_ne_u32_e32 vcc, s10, v38
	v_mov_b32_e32 v54, 0x7f80
	s_and_saveexec_b64 s[10:11], vcc
	s_cbranch_execz .LBB871_131
; %bb.130:
	v_and_b32_e32 v52, 7, v42
	v_ffbh_u32_e32 v54, v52
	v_min_u32_e32 v57, 32, v54
	v_subrev_u32_e32 v54, 28, v57
	v_lshlrev_b64 v[54:55], v54, v[42:43]
	v_lshrrev_b32_e32 v56, 3, v38
	v_sub_u32_e32 v55, 29, v57
	v_and_b32_e32 v54, 7, v54
	v_cmp_gt_u32_e32 vcc, 8, v38
	v_cndmask_b32_e32 v38, v56, v55, vcc
	v_cndmask_b32_e32 v52, v52, v54, vcc
	v_lshlrev_b32_e32 v42, 24, v42
	v_bfrev_b32_e32 v54, 60
	v_lshlrev_b32_e32 v52, 20, v52
	v_and_b32_e32 v42, 0x80000000, v42
	v_lshl_add_u32 v38, v38, 23, v54
	v_or3_b32 v38, v42, v38, v52
	v_lshrrev_b32_e32 v54, 16, v38
.LBB871_131:
	s_or_b64 exec, exec, s[10:11]
.LBB871_132:
	s_or_b64 exec, exec, s[8:9]
.LBB871_133:
	s_or_b64 exec, exec, s[2:3]
	v_cmp_ne_u16_sdwa s[8:9], v39, v45 src0_sel:BYTE_0 src1_sel:DWORD
	s_and_saveexec_b64 s[2:3], s[8:9]
	s_cbranch_execz .LBB871_139
; %bb.134:
	s_movk_i32 s8, 0x80
	v_cmp_ne_u16_sdwa s[10:11], v39, s8 src0_sel:BYTE_0 src1_sel:DWORD
	v_mov_b32_e32 v45, 0xffff8000
	s_and_saveexec_b64 s[8:9], s[10:11]
	s_cbranch_execz .LBB871_138
; %bb.135:
	s_movk_i32 s10, 0x7f
	v_and_b32_e32 v38, 0x7f, v39
	v_cmp_ne_u32_e32 vcc, s10, v38
	v_mov_b32_e32 v45, 0x7f80
	s_and_saveexec_b64 s[10:11], vcc
	s_cbranch_execz .LBB871_137
; %bb.136:
	v_and_b32_e32 v45, 7, v39
	v_ffbh_u32_e32 v55, v45
	v_min_u32_e32 v55, 32, v55
	v_mov_b32_e32 v42, v39
	v_subrev_u32_e32 v56, 28, v55
	v_lshlrev_b64 v[56:57], v56, v[42:43]
	v_lshrrev_b32_e32 v52, 3, v38
	v_sub_u32_e32 v42, 29, v55
	v_and_b32_e32 v55, 7, v56
	v_cmp_gt_u32_e32 vcc, 8, v38
	v_cndmask_b32_e32 v38, v52, v42, vcc
	v_cndmask_b32_e32 v42, v45, v55, vcc
	v_lshlrev_b32_e32 v45, 24, v39
	v_bfrev_b32_e32 v52, 60
	v_lshlrev_b32_e32 v42, 20, v42
	v_and_b32_e32 v45, 0x80000000, v45
	v_lshl_add_u32 v38, v38, 23, v52
	v_or3_b32 v38, v45, v38, v42
	v_lshrrev_b32_e32 v45, 16, v38
.LBB871_137:
	s_or_b64 exec, exec, s[10:11]
.LBB871_138:
	s_or_b64 exec, exec, s[8:9]
.LBB871_139:
	s_or_b64 exec, exec, s[2:3]
	v_lshrrev_b16_e32 v38, 8, v39
	v_cmp_ne_u16_e32 vcc, 0, v38
	v_mov_b32_e32 v55, 0
	v_mov_b32_e32 v42, 0
	s_and_saveexec_b64 s[2:3], vcc
	s_cbranch_execz .LBB871_145
; %bb.140:
	s_movk_i32 s8, 0x80
	v_cmp_ne_u16_e32 vcc, s8, v38
	v_mov_b32_e32 v42, 0xffff8000
	s_and_saveexec_b64 s[8:9], vcc
	s_cbranch_execz .LBB871_144
; %bb.141:
	s_movk_i32 s10, 0x7f
	v_and_b32_e32 v52, 0x7f, v38
	v_cmp_ne_u32_e32 vcc, s10, v52
	v_mov_b32_e32 v42, 0x7f80
	s_and_saveexec_b64 s[10:11], vcc
	s_cbranch_execz .LBB871_143
; %bb.142:
	v_and_b32_e32 v42, 7, v38
	v_ffbh_u32_e32 v56, v42
	v_min_u32_e32 v59, 32, v56
	v_subrev_u32_e32 v56, 28, v59
	v_lshlrev_b64 v[56:57], v56, v[38:39]
	v_lshrrev_b32_e32 v58, 3, v52
	v_sub_u32_e32 v38, 29, v59
	v_and_b32_e32 v56, 7, v56
	v_cmp_gt_u32_e32 vcc, 8, v52
	v_cndmask_b32_e32 v38, v58, v38, vcc
	v_cndmask_b32_e32 v42, v42, v56, vcc
	v_lshlrev_b32_e32 v52, 16, v39
	v_bfrev_b32_e32 v56, 60
	v_lshlrev_b32_e32 v42, 20, v42
	v_and_b32_e32 v52, 0x80000000, v52
	v_lshl_add_u32 v38, v38, 23, v56
	v_or3_b32 v38, v52, v38, v42
	v_lshrrev_b32_e32 v42, 16, v38
.LBB871_143:
	s_or_b64 exec, exec, s[10:11]
.LBB871_144:
	s_or_b64 exec, exec, s[8:9]
.LBB871_145:
	s_or_b64 exec, exec, s[2:3]
	s_movk_i32 s2, 0xff
	v_and_b32_sdwa v52, v39, s2 dst_sel:DWORD dst_unused:UNUSED_PAD src0_sel:WORD_1 src1_sel:DWORD
	v_lshrrev_b32_e32 v38, 16, v39
	v_cmp_ne_u16_e32 vcc, 0, v52
	s_and_saveexec_b64 s[2:3], vcc
	s_cbranch_execz .LBB871_151
; %bb.146:
	s_movk_i32 s8, 0x80
	v_cmp_ne_u16_e32 vcc, s8, v52
	v_mov_b32_e32 v55, 0xffff8000
	s_and_saveexec_b64 s[8:9], vcc
	s_cbranch_execz .LBB871_150
; %bb.147:
	v_bfe_u32 v52, v39, 16, 7
	s_movk_i32 s10, 0x7f
	v_cmp_ne_u32_e32 vcc, s10, v52
	v_mov_b32_e32 v55, 0x7f80
	s_and_saveexec_b64 s[10:11], vcc
	s_cbranch_execz .LBB871_149
; %bb.148:
	v_and_b32_e32 v55, 7, v38
	v_ffbh_u32_e32 v56, v55
	v_min_u32_e32 v59, 32, v56
	v_subrev_u32_e32 v56, 28, v59
	v_lshlrev_b64 v[56:57], v56, v[38:39]
	v_and_b32_e32 v56, 7, v56
	v_cmp_gt_u32_e32 vcc, 8, v52
	v_lshrrev_b32_e32 v58, 3, v52
	v_sub_u32_e32 v38, 29, v59
	v_cndmask_b32_e32 v52, v55, v56, vcc
	v_mov_b32_e32 v55, 24
	v_cndmask_b32_e32 v38, v58, v38, vcc
	v_lshlrev_b32_sdwa v55, v55, v39 dst_sel:DWORD dst_unused:UNUSED_PAD src0_sel:DWORD src1_sel:WORD_1
	v_bfrev_b32_e32 v56, 60
	v_lshlrev_b32_e32 v52, 20, v52
	v_and_b32_e32 v55, 0x80000000, v55
	v_lshl_add_u32 v38, v38, 23, v56
	v_or3_b32 v38, v55, v38, v52
	v_lshrrev_b32_e32 v55, 16, v38
.LBB871_149:
	s_or_b64 exec, exec, s[10:11]
.LBB871_150:
	s_or_b64 exec, exec, s[8:9]
.LBB871_151:
	s_or_b64 exec, exec, s[2:3]
	s_mov_b32 s2, 0xffffff
	v_cmp_lt_u32_e32 vcc, s2, v39
	v_mov_b32_e32 v52, 0
	v_mov_b32_e32 v56, 0
	s_and_saveexec_b64 s[2:3], vcc
	s_cbranch_execz .LBB871_157
; %bb.152:
	v_lshrrev_b32_e32 v38, 24, v39
	s_movk_i32 s8, 0x80
	v_cmp_ne_u32_e32 vcc, s8, v38
	v_mov_b32_e32 v56, 0xffff8000
	s_and_saveexec_b64 s[8:9], vcc
	s_cbranch_execz .LBB871_156
; %bb.153:
	v_bfe_u32 v39, v39, 24, 7
	s_movk_i32 s10, 0x7f
	v_cmp_ne_u32_e32 vcc, s10, v39
	v_mov_b32_e32 v56, 0x7f80
	s_and_saveexec_b64 s[10:11], vcc
	s_cbranch_execz .LBB871_155
; %bb.154:
	v_and_b32_e32 v58, 7, v38
	v_ffbh_u32_e32 v56, v58
	v_min_u32_e32 v60, 32, v56
	v_subrev_u32_e32 v56, 28, v60
	v_lshlrev_b64 v[56:57], v56, v[38:39]
	v_lshrrev_b32_e32 v59, 3, v39
	v_sub_u32_e32 v57, 29, v60
	v_and_b32_e32 v56, 7, v56
	v_cmp_gt_u32_e32 vcc, 8, v39
	v_cndmask_b32_e32 v39, v59, v57, vcc
	v_cndmask_b32_e32 v56, v58, v56, vcc
	v_lshlrev_b32_e32 v38, 24, v38
	v_bfrev_b32_e32 v57, 60
	v_lshlrev_b32_e32 v56, 20, v56
	v_and_b32_e32 v38, 0x80000000, v38
	v_lshl_add_u32 v39, v39, 23, v57
	v_or3_b32 v38, v38, v39, v56
	v_lshrrev_b32_e32 v56, 16, v38
.LBB871_155:
	s_or_b64 exec, exec, s[10:11]
.LBB871_156:
	s_or_b64 exec, exec, s[8:9]
.LBB871_157:
	s_or_b64 exec, exec, s[2:3]
	s_mov_b32 s2, 0x5040100
	v_perm_b32 v39, v54, v44, s2
	v_perm_b32 v38, v43, v53, s2
	v_cmp_ne_u16_sdwa s[8:9], v40, v52 src0_sel:BYTE_0 src1_sel:DWORD
	s_nop 0
	v_mfma_f32_16x16x16bf16_1k v[58:61], v[38:39], v[26:27], 0
	v_perm_b32 v39, v56, v55, s2
	v_perm_b32 v38, v42, v45, s2
	s_nop 1
	v_mfma_f32_16x16x16bf16_1k v[42:45], v[38:39], v[28:29], v[58:61]
	s_and_saveexec_b64 s[2:3], s[8:9]
	s_cbranch_execz .LBB871_163
; %bb.158:
	s_movk_i32 s8, 0x80
	v_cmp_ne_u16_sdwa s[10:11], v40, s8 src0_sel:BYTE_0 src1_sel:DWORD
	v_mov_b32_e32 v52, 0xffff8000
	s_and_saveexec_b64 s[8:9], s[10:11]
	s_cbranch_execz .LBB871_162
; %bb.159:
	s_movk_i32 s10, 0x7f
	v_and_b32_e32 v38, 0x7f, v40
	v_cmp_ne_u32_e32 vcc, s10, v38
	v_mov_b32_e32 v52, 0x7f80
	s_and_saveexec_b64 s[10:11], vcc
	s_cbranch_execz .LBB871_161
; %bb.160:
	v_and_b32_e32 v39, 7, v40
	v_ffbh_u32_e32 v52, v39
	v_min_u32_e32 v55, 32, v52
	v_subrev_u32_e32 v52, 28, v55
	v_lshlrev_b64 v[52:53], v52, v[40:41]
	v_lshrrev_b32_e32 v54, 3, v38
	v_sub_u32_e32 v53, 29, v55
	v_and_b32_e32 v52, 7, v52
	v_cmp_gt_u32_e32 vcc, 8, v38
	v_cndmask_b32_e32 v38, v54, v53, vcc
	v_cndmask_b32_e32 v39, v39, v52, vcc
	v_lshlrev_b32_e32 v52, 24, v40
	v_bfrev_b32_e32 v53, 60
	v_lshlrev_b32_e32 v39, 20, v39
	v_and_b32_e32 v52, 0x80000000, v52
	v_lshl_add_u32 v38, v38, 23, v53
	v_or3_b32 v38, v52, v38, v39
	v_lshrrev_b32_e32 v52, 16, v38
.LBB871_161:
	s_or_b64 exec, exec, s[10:11]
.LBB871_162:
	s_or_b64 exec, exec, s[8:9]
.LBB871_163:
	s_or_b64 exec, exec, s[2:3]
	v_lshrrev_b16_e32 v38, 8, v40
	v_cmp_ne_u16_e32 vcc, 0, v38
	v_mov_b32_e32 v54, 0
	v_mov_b32_e32 v39, 0
	s_and_saveexec_b64 s[2:3], vcc
	s_cbranch_execz .LBB871_169
; %bb.164:
	s_movk_i32 s8, 0x80
	v_cmp_ne_u16_e32 vcc, s8, v38
	v_mov_b32_e32 v39, 0xffff8000
	s_and_saveexec_b64 s[8:9], vcc
	s_cbranch_execz .LBB871_168
; %bb.165:
	s_movk_i32 s10, 0x7f
	v_and_b32_e32 v53, 0x7f, v38
	v_cmp_ne_u32_e32 vcc, s10, v53
	v_mov_b32_e32 v39, 0x7f80
	s_and_saveexec_b64 s[10:11], vcc
	s_cbranch_execz .LBB871_167
; %bb.166:
	v_and_b32_e32 v55, 7, v38
	v_ffbh_u32_e32 v39, v55
	v_min_u32_e32 v57, 32, v39
	v_subrev_u32_e32 v39, 28, v57
	v_lshlrev_b64 v[38:39], v39, v[38:39]
	v_lshrrev_b32_e32 v56, 3, v53
	v_sub_u32_e32 v39, 29, v57
	v_and_b32_e32 v38, 7, v38
	v_cmp_gt_u32_e32 vcc, 8, v53
	v_cndmask_b32_e32 v39, v56, v39, vcc
	v_cndmask_b32_e32 v38, v55, v38, vcc
	v_lshlrev_b32_e32 v53, 16, v40
	v_bfrev_b32_e32 v55, 60
	v_lshlrev_b32_e32 v38, 20, v38
	v_and_b32_e32 v53, 0x80000000, v53
	v_lshl_add_u32 v39, v39, 23, v55
	v_or3_b32 v38, v53, v39, v38
	v_lshrrev_b32_e32 v39, 16, v38
.LBB871_167:
	s_or_b64 exec, exec, s[10:11]
.LBB871_168:
	s_or_b64 exec, exec, s[8:9]
.LBB871_169:
	s_or_b64 exec, exec, s[2:3]
	s_movk_i32 s2, 0xff
	v_and_b32_sdwa v53, v40, s2 dst_sel:DWORD dst_unused:UNUSED_PAD src0_sel:WORD_1 src1_sel:DWORD
	v_lshrrev_b32_e32 v38, 16, v40
	v_cmp_ne_u16_e32 vcc, 0, v53
	s_and_saveexec_b64 s[2:3], vcc
	s_cbranch_execz .LBB871_175
; %bb.170:
	s_movk_i32 s8, 0x80
	v_cmp_ne_u16_e32 vcc, s8, v53
	v_mov_b32_e32 v54, 0xffff8000
	s_and_saveexec_b64 s[8:9], vcc
	s_cbranch_execz .LBB871_174
; %bb.171:
	v_bfe_u32 v53, v40, 16, 7
	s_movk_i32 s10, 0x7f
	v_cmp_ne_u32_e32 vcc, s10, v53
	v_mov_b32_e32 v54, 0x7f80
	s_and_saveexec_b64 s[10:11], vcc
	s_cbranch_execz .LBB871_173
; %bb.172:
	v_and_b32_e32 v56, 7, v38
	v_ffbh_u32_e32 v54, v56
	v_min_u32_e32 v58, 32, v54
	v_subrev_u32_e32 v54, 28, v58
	v_lshlrev_b64 v[54:55], v54, v[38:39]
	v_and_b32_e32 v54, 7, v54
	v_cmp_gt_u32_e32 vcc, 8, v53
	v_lshrrev_b32_e32 v57, 3, v53
	v_sub_u32_e32 v38, 29, v58
	v_cndmask_b32_e32 v53, v56, v54, vcc
	v_mov_b32_e32 v54, 24
	v_cndmask_b32_e32 v38, v57, v38, vcc
	v_lshlrev_b32_sdwa v54, v54, v40 dst_sel:DWORD dst_unused:UNUSED_PAD src0_sel:DWORD src1_sel:WORD_1
	v_bfrev_b32_e32 v55, 60
	v_lshlrev_b32_e32 v53, 20, v53
	v_and_b32_e32 v54, 0x80000000, v54
	v_lshl_add_u32 v38, v38, 23, v55
	v_or3_b32 v38, v54, v38, v53
	v_lshrrev_b32_e32 v54, 16, v38
.LBB871_173:
	s_or_b64 exec, exec, s[10:11]
.LBB871_174:
	s_or_b64 exec, exec, s[8:9]
.LBB871_175:
	s_or_b64 exec, exec, s[2:3]
	s_mov_b32 s2, 0xffffff
	v_cmp_lt_u32_e32 vcc, s2, v40
	v_mov_b32_e32 v55, 0
	v_mov_b32_e32 v56, 0
	s_and_saveexec_b64 s[2:3], vcc
	s_cbranch_execz .LBB871_181
; %bb.176:
	v_lshrrev_b32_e32 v38, 24, v40
	s_movk_i32 s8, 0x80
	v_cmp_ne_u32_e32 vcc, s8, v38
	v_mov_b32_e32 v56, 0xffff8000
	s_and_saveexec_b64 s[8:9], vcc
	s_cbranch_execz .LBB871_180
; %bb.177:
	v_bfe_u32 v40, v40, 24, 7
	s_movk_i32 s10, 0x7f
	v_cmp_ne_u32_e32 vcc, s10, v40
	v_mov_b32_e32 v56, 0x7f80
	s_and_saveexec_b64 s[10:11], vcc
	s_cbranch_execz .LBB871_179
; %bb.178:
	v_and_b32_e32 v53, 7, v38
	v_ffbh_u32_e32 v56, v53
	v_min_u32_e32 v59, 32, v56
	v_subrev_u32_e32 v56, 28, v59
	v_lshlrev_b64 v[56:57], v56, v[38:39]
	v_lshrrev_b32_e32 v58, 3, v40
	v_sub_u32_e32 v57, 29, v59
	v_and_b32_e32 v56, 7, v56
	v_cmp_gt_u32_e32 vcc, 8, v40
	v_cndmask_b32_e32 v40, v58, v57, vcc
	v_cndmask_b32_e32 v53, v53, v56, vcc
	v_lshlrev_b32_e32 v38, 24, v38
	v_bfrev_b32_e32 v56, 60
	v_lshlrev_b32_e32 v53, 20, v53
	v_and_b32_e32 v38, 0x80000000, v38
	v_lshl_add_u32 v40, v40, 23, v56
	v_or3_b32 v38, v38, v40, v53
	v_lshrrev_b32_e32 v56, 16, v38
.LBB871_179:
	s_or_b64 exec, exec, s[10:11]
.LBB871_180:
	s_or_b64 exec, exec, s[8:9]
.LBB871_181:
	s_or_b64 exec, exec, s[2:3]
	v_cmp_ne_u16_sdwa s[8:9], v41, v55 src0_sel:BYTE_0 src1_sel:DWORD
	s_and_saveexec_b64 s[2:3], s[8:9]
	s_cbranch_execz .LBB871_187
; %bb.182:
	s_movk_i32 s8, 0x80
	v_cmp_ne_u16_sdwa s[10:11], v41, s8 src0_sel:BYTE_0 src1_sel:DWORD
	v_mov_b32_e32 v55, 0xffff8000
	s_and_saveexec_b64 s[8:9], s[10:11]
	s_cbranch_execz .LBB871_186
; %bb.183:
	s_movk_i32 s10, 0x7f
	v_and_b32_e32 v38, 0x7f, v41
	v_cmp_ne_u32_e32 vcc, s10, v38
	v_mov_b32_e32 v55, 0x7f80
	s_and_saveexec_b64 s[10:11], vcc
	s_cbranch_execz .LBB871_185
; %bb.184:
	v_and_b32_e32 v53, 7, v41
	v_ffbh_u32_e32 v57, v53
	v_min_u32_e32 v57, 32, v57
	v_mov_b32_e32 v40, v41
	v_subrev_u32_e32 v58, 28, v57
	v_lshlrev_b64 v[58:59], v58, v[40:41]
	v_lshrrev_b32_e32 v55, 3, v38
	v_sub_u32_e32 v40, 29, v57
	v_and_b32_e32 v57, 7, v58
	v_cmp_gt_u32_e32 vcc, 8, v38
	v_cndmask_b32_e32 v38, v55, v40, vcc
	v_cndmask_b32_e32 v40, v53, v57, vcc
	v_lshlrev_b32_e32 v53, 24, v41
	v_bfrev_b32_e32 v55, 60
	v_lshlrev_b32_e32 v40, 20, v40
	v_and_b32_e32 v53, 0x80000000, v53
	v_lshl_add_u32 v38, v38, 23, v55
	v_or3_b32 v38, v53, v38, v40
	v_lshrrev_b32_e32 v55, 16, v38
.LBB871_185:
	s_or_b64 exec, exec, s[10:11]
.LBB871_186:
	s_or_b64 exec, exec, s[8:9]
.LBB871_187:
	s_or_b64 exec, exec, s[2:3]
	v_lshrrev_b16_e32 v38, 8, v41
	v_cmp_ne_u16_e32 vcc, 0, v38
	v_mov_b32_e32 v57, 0
	v_mov_b32_e32 v40, 0
	s_and_saveexec_b64 s[2:3], vcc
	s_cbranch_execz .LBB871_193
; %bb.188:
	s_movk_i32 s8, 0x80
	v_cmp_ne_u16_e32 vcc, s8, v38
	v_mov_b32_e32 v40, 0xffff8000
	s_and_saveexec_b64 s[8:9], vcc
	s_cbranch_execz .LBB871_192
; %bb.189:
	s_movk_i32 s10, 0x7f
	v_and_b32_e32 v53, 0x7f, v38
	v_cmp_ne_u32_e32 vcc, s10, v53
	v_mov_b32_e32 v40, 0x7f80
	s_and_saveexec_b64 s[10:11], vcc
	s_cbranch_execz .LBB871_191
; %bb.190:
	v_and_b32_e32 v40, 7, v38
	v_ffbh_u32_e32 v58, v40
	v_min_u32_e32 v61, 32, v58
	v_subrev_u32_e32 v58, 28, v61
	v_lshlrev_b64 v[58:59], v58, v[38:39]
	v_lshrrev_b32_e32 v60, 3, v53
	v_sub_u32_e32 v38, 29, v61
	v_and_b32_e32 v58, 7, v58
	v_cmp_gt_u32_e32 vcc, 8, v53
	v_cndmask_b32_e32 v38, v60, v38, vcc
	v_cndmask_b32_e32 v40, v40, v58, vcc
	v_lshlrev_b32_e32 v53, 16, v41
	v_bfrev_b32_e32 v58, 60
	v_lshlrev_b32_e32 v40, 20, v40
	v_and_b32_e32 v53, 0x80000000, v53
	v_lshl_add_u32 v38, v38, 23, v58
	v_or3_b32 v38, v53, v38, v40
	v_lshrrev_b32_e32 v40, 16, v38
.LBB871_191:
	s_or_b64 exec, exec, s[10:11]
.LBB871_192:
	s_or_b64 exec, exec, s[8:9]
.LBB871_193:
	s_or_b64 exec, exec, s[2:3]
	s_movk_i32 s2, 0xff
	v_and_b32_sdwa v53, v41, s2 dst_sel:DWORD dst_unused:UNUSED_PAD src0_sel:WORD_1 src1_sel:DWORD
	v_lshrrev_b32_e32 v38, 16, v41
	v_cmp_ne_u16_e32 vcc, 0, v53
	s_and_saveexec_b64 s[2:3], vcc
	s_cbranch_execz .LBB871_199
; %bb.194:
	s_movk_i32 s8, 0x80
	v_cmp_ne_u16_e32 vcc, s8, v53
	v_mov_b32_e32 v57, 0xffff8000
	s_and_saveexec_b64 s[8:9], vcc
	s_cbranch_execz .LBB871_198
; %bb.195:
	v_bfe_u32 v53, v41, 16, 7
	s_movk_i32 s10, 0x7f
	v_cmp_ne_u32_e32 vcc, s10, v53
	v_mov_b32_e32 v57, 0x7f80
	s_and_saveexec_b64 s[10:11], vcc
	s_cbranch_execz .LBB871_197
; %bb.196:
	v_and_b32_e32 v57, 7, v38
	v_ffbh_u32_e32 v58, v57
	v_min_u32_e32 v61, 32, v58
	v_subrev_u32_e32 v58, 28, v61
	v_lshlrev_b64 v[58:59], v58, v[38:39]
	v_and_b32_e32 v58, 7, v58
	v_cmp_gt_u32_e32 vcc, 8, v53
	v_lshrrev_b32_e32 v60, 3, v53
	v_sub_u32_e32 v38, 29, v61
	v_cndmask_b32_e32 v53, v57, v58, vcc
	v_mov_b32_e32 v57, 24
	v_cndmask_b32_e32 v38, v60, v38, vcc
	v_lshlrev_b32_sdwa v57, v57, v41 dst_sel:DWORD dst_unused:UNUSED_PAD src0_sel:DWORD src1_sel:WORD_1
	v_bfrev_b32_e32 v58, 60
	v_lshlrev_b32_e32 v53, 20, v53
	v_and_b32_e32 v57, 0x80000000, v57
	v_lshl_add_u32 v38, v38, 23, v58
	v_or3_b32 v38, v57, v38, v53
	v_lshrrev_b32_e32 v57, 16, v38
.LBB871_197:
	s_or_b64 exec, exec, s[10:11]
.LBB871_198:
	s_or_b64 exec, exec, s[8:9]
.LBB871_199:
	s_or_b64 exec, exec, s[2:3]
	s_mov_b32 s2, 0xffffff
	v_cmp_lt_u32_e32 vcc, s2, v41
	v_mov_b32_e32 v53, 0
	v_mov_b32_e32 v58, 0
	s_and_saveexec_b64 s[2:3], vcc
	s_cbranch_execz .LBB871_205
; %bb.200:
	v_lshrrev_b32_e32 v38, 24, v41
	s_movk_i32 s8, 0x80
	v_cmp_ne_u32_e32 vcc, s8, v38
	v_mov_b32_e32 v58, 0xffff8000
	s_and_saveexec_b64 s[8:9], vcc
	s_cbranch_execz .LBB871_204
; %bb.201:
	v_bfe_u32 v41, v41, 24, 7
	s_movk_i32 s10, 0x7f
	v_cmp_ne_u32_e32 vcc, s10, v41
	v_mov_b32_e32 v58, 0x7f80
	s_and_saveexec_b64 s[10:11], vcc
	s_cbranch_execz .LBB871_203
; %bb.202:
	v_and_b32_e32 v60, 7, v38
	v_ffbh_u32_e32 v58, v60
	v_min_u32_e32 v62, 32, v58
	v_subrev_u32_e32 v58, 28, v62
	v_lshlrev_b64 v[58:59], v58, v[38:39]
	v_lshrrev_b32_e32 v61, 3, v41
	v_sub_u32_e32 v59, 29, v62
	v_and_b32_e32 v58, 7, v58
	v_cmp_gt_u32_e32 vcc, 8, v41
	v_cndmask_b32_e32 v41, v61, v59, vcc
	v_cndmask_b32_e32 v58, v60, v58, vcc
	v_lshlrev_b32_e32 v38, 24, v38
	v_bfrev_b32_e32 v59, 60
	v_lshlrev_b32_e32 v58, 20, v58
	v_and_b32_e32 v38, 0x80000000, v38
	v_lshl_add_u32 v41, v41, 23, v59
	v_or3_b32 v38, v38, v41, v58
	v_lshrrev_b32_e32 v58, 16, v38
.LBB871_203:
	s_or_b64 exec, exec, s[10:11]
.LBB871_204:
	s_or_b64 exec, exec, s[8:9]
.LBB871_205:
	s_or_b64 exec, exec, s[2:3]
	s_mov_b32 s2, 0x5040100
	v_perm_b32 v61, v56, v54, s2
	v_perm_b32 v60, v39, v52, s2
	;; [unrolled: 1-line block ×4, first 2 shown]
	v_cmp_ne_u16_sdwa s[8:9], v30, v53 src0_sel:BYTE_0 src1_sel:DWORD
	v_mfma_f32_16x16x16bf16_1k v[42:45], v[60:61], v[18:19], v[42:45]
	v_mfma_f32_16x16x16bf16_1k v[38:41], v[38:39], v[20:21], v[42:45]
	s_and_saveexec_b64 s[2:3], s[8:9]
	s_cbranch_execz .LBB871_211
; %bb.206:
	s_movk_i32 s8, 0x80
	v_cmp_ne_u16_sdwa s[10:11], v30, s8 src0_sel:BYTE_0 src1_sel:DWORD
	v_mov_b32_e32 v53, 0xffff8000
	s_and_saveexec_b64 s[8:9], s[10:11]
	s_cbranch_execz .LBB871_210
; %bb.207:
	s_movk_i32 s10, 0x7f
	s_nop 1
	v_and_b32_e32 v42, 0x7f, v30
	v_cmp_ne_u32_e32 vcc, s10, v42
	v_mov_b32_e32 v53, 0x7f80
	s_and_saveexec_b64 s[10:11], vcc
	s_cbranch_execz .LBB871_209
; %bb.208:
	v_and_b32_e32 v43, 7, v30
	v_ffbh_u32_e32 v44, v43
	v_min_u32_e32 v53, 32, v44
	v_subrev_u32_e32 v44, 28, v53
	v_lshlrev_b64 v[44:45], v44, v[30:31]
	v_lshrrev_b32_e32 v52, 3, v42
	v_sub_u32_e32 v45, 29, v53
	v_and_b32_e32 v44, 7, v44
	v_cmp_gt_u32_e32 vcc, 8, v42
	v_cndmask_b32_e32 v42, v52, v45, vcc
	v_cndmask_b32_e32 v43, v43, v44, vcc
	v_lshlrev_b32_e32 v44, 24, v30
	v_bfrev_b32_e32 v45, 60
	v_lshlrev_b32_e32 v43, 20, v43
	v_and_b32_e32 v44, 0x80000000, v44
	v_lshl_add_u32 v42, v42, 23, v45
	v_or3_b32 v42, v44, v42, v43
	v_lshrrev_b32_e32 v53, 16, v42
.LBB871_209:
	s_or_b64 exec, exec, s[10:11]
.LBB871_210:
	s_or_b64 exec, exec, s[8:9]
.LBB871_211:
	s_or_b64 exec, exec, s[2:3]
	s_nop 6
	v_lshrrev_b16_e32 v42, 8, v30
	v_cmp_ne_u16_e32 vcc, 0, v42
	v_mov_b32_e32 v44, 0
	v_mov_b32_e32 v43, 0
	s_and_saveexec_b64 s[2:3], vcc
	s_cbranch_execz .LBB871_217
; %bb.212:
	s_movk_i32 s8, 0x80
	v_cmp_ne_u16_e32 vcc, s8, v42
	v_mov_b32_e32 v43, 0xffff8000
	s_and_saveexec_b64 s[8:9], vcc
	s_cbranch_execz .LBB871_216
; %bb.213:
	s_movk_i32 s10, 0x7f
	v_and_b32_e32 v45, 0x7f, v42
	v_cmp_ne_u32_e32 vcc, s10, v45
	v_mov_b32_e32 v43, 0x7f80
	s_and_saveexec_b64 s[10:11], vcc
	s_cbranch_execz .LBB871_215
; %bb.214:
	v_and_b32_e32 v52, 7, v42
	v_ffbh_u32_e32 v43, v52
	v_min_u32_e32 v55, 32, v43
	v_subrev_u32_e32 v43, 28, v55
	v_lshlrev_b64 v[42:43], v43, v[42:43]
	v_lshrrev_b32_e32 v54, 3, v45
	v_sub_u32_e32 v43, 29, v55
	v_and_b32_e32 v42, 7, v42
	v_cmp_gt_u32_e32 vcc, 8, v45
	v_cndmask_b32_e32 v43, v54, v43, vcc
	v_cndmask_b32_e32 v42, v52, v42, vcc
	v_lshlrev_b32_e32 v45, 16, v30
	v_bfrev_b32_e32 v52, 60
	v_lshlrev_b32_e32 v42, 20, v42
	v_and_b32_e32 v45, 0x80000000, v45
	v_lshl_add_u32 v43, v43, 23, v52
	v_or3_b32 v42, v45, v43, v42
	v_lshrrev_b32_e32 v43, 16, v42
.LBB871_215:
	s_or_b64 exec, exec, s[10:11]
.LBB871_216:
	s_or_b64 exec, exec, s[8:9]
.LBB871_217:
	s_or_b64 exec, exec, s[2:3]
	s_movk_i32 s2, 0xff
	v_and_b32_sdwa v45, v30, s2 dst_sel:DWORD dst_unused:UNUSED_PAD src0_sel:WORD_1 src1_sel:DWORD
	v_lshrrev_b32_e32 v42, 16, v30
	v_cmp_ne_u16_e32 vcc, 0, v45
	s_and_saveexec_b64 s[2:3], vcc
	s_cbranch_execz .LBB871_223
; %bb.218:
	s_movk_i32 s8, 0x80
	v_cmp_ne_u16_e32 vcc, s8, v45
	v_mov_b32_e32 v44, 0xffff8000
	s_and_saveexec_b64 s[8:9], vcc
	s_cbranch_execz .LBB871_222
; %bb.219:
	v_bfe_u32 v45, v30, 16, 7
	s_movk_i32 s10, 0x7f
	v_cmp_ne_u32_e32 vcc, s10, v45
	v_mov_b32_e32 v44, 0x7f80
	s_and_saveexec_b64 s[10:11], vcc
	s_cbranch_execz .LBB871_221
; %bb.220:
	v_and_b32_e32 v44, 7, v42
	v_ffbh_u32_e32 v54, v44
	v_min_u32_e32 v56, 32, v54
	v_subrev_u32_e32 v54, 28, v56
	v_lshlrev_b64 v[54:55], v54, v[42:43]
	v_lshrrev_b32_e32 v52, 3, v45
	v_sub_u32_e32 v42, 29, v56
	v_and_b32_e32 v54, 7, v54
	v_cmp_gt_u32_e32 vcc, 8, v45
	v_mov_b32_e32 v45, 24
	v_cndmask_b32_e32 v42, v52, v42, vcc
	v_cndmask_b32_e32 v44, v44, v54, vcc
	v_lshlrev_b32_sdwa v45, v45, v30 dst_sel:DWORD dst_unused:UNUSED_PAD src0_sel:DWORD src1_sel:WORD_1
	v_bfrev_b32_e32 v52, 60
	v_lshlrev_b32_e32 v44, 20, v44
	v_and_b32_e32 v45, 0x80000000, v45
	v_lshl_add_u32 v42, v42, 23, v52
	v_or3_b32 v42, v45, v42, v44
	v_lshrrev_b32_e32 v44, 16, v42
.LBB871_221:
	s_or_b64 exec, exec, s[10:11]
.LBB871_222:
	s_or_b64 exec, exec, s[8:9]
.LBB871_223:
	s_or_b64 exec, exec, s[2:3]
	s_mov_b32 s2, 0xffffff
	v_cmp_lt_u32_e32 vcc, s2, v30
	v_mov_b32_e32 v45, 0
	v_mov_b32_e32 v54, 0
	s_and_saveexec_b64 s[2:3], vcc
	s_cbranch_execz .LBB871_229
; %bb.224:
	v_lshrrev_b32_e32 v42, 24, v30
	s_movk_i32 s8, 0x80
	v_cmp_ne_u32_e32 vcc, s8, v42
	v_mov_b32_e32 v54, 0xffff8000
	s_and_saveexec_b64 s[8:9], vcc
	s_cbranch_execz .LBB871_228
; %bb.225:
	v_bfe_u32 v30, v30, 24, 7
	s_movk_i32 s10, 0x7f
	v_cmp_ne_u32_e32 vcc, s10, v30
	v_mov_b32_e32 v54, 0x7f80
	s_and_saveexec_b64 s[10:11], vcc
	s_cbranch_execz .LBB871_227
; %bb.226:
	v_and_b32_e32 v52, 7, v42
	v_ffbh_u32_e32 v54, v52
	v_min_u32_e32 v57, 32, v54
	v_subrev_u32_e32 v54, 28, v57
	v_lshlrev_b64 v[54:55], v54, v[42:43]
	v_lshrrev_b32_e32 v56, 3, v30
	v_sub_u32_e32 v55, 29, v57
	v_and_b32_e32 v54, 7, v54
	v_cmp_gt_u32_e32 vcc, 8, v30
	v_cndmask_b32_e32 v30, v56, v55, vcc
	v_cndmask_b32_e32 v52, v52, v54, vcc
	v_lshlrev_b32_e32 v42, 24, v42
	v_bfrev_b32_e32 v54, 60
	v_lshlrev_b32_e32 v52, 20, v52
	v_and_b32_e32 v42, 0x80000000, v42
	v_lshl_add_u32 v30, v30, 23, v54
	v_or3_b32 v30, v42, v30, v52
	v_lshrrev_b32_e32 v54, 16, v30
.LBB871_227:
	s_or_b64 exec, exec, s[10:11]
.LBB871_228:
	s_or_b64 exec, exec, s[8:9]
.LBB871_229:
	s_or_b64 exec, exec, s[2:3]
	v_cmp_ne_u16_sdwa s[8:9], v31, v45 src0_sel:BYTE_0 src1_sel:DWORD
	s_and_saveexec_b64 s[2:3], s[8:9]
	s_cbranch_execz .LBB871_235
; %bb.230:
	s_movk_i32 s8, 0x80
	v_cmp_ne_u16_sdwa s[10:11], v31, s8 src0_sel:BYTE_0 src1_sel:DWORD
	v_mov_b32_e32 v45, 0xffff8000
	s_and_saveexec_b64 s[8:9], s[10:11]
	s_cbranch_execz .LBB871_234
; %bb.231:
	s_movk_i32 s10, 0x7f
	v_and_b32_e32 v30, 0x7f, v31
	v_cmp_ne_u32_e32 vcc, s10, v30
	v_mov_b32_e32 v45, 0x7f80
	s_and_saveexec_b64 s[10:11], vcc
	s_cbranch_execz .LBB871_233
; %bb.232:
	v_and_b32_e32 v45, 7, v31
	v_ffbh_u32_e32 v55, v45
	v_min_u32_e32 v55, 32, v55
	v_mov_b32_e32 v42, v31
	v_subrev_u32_e32 v56, 28, v55
	v_lshlrev_b64 v[56:57], v56, v[42:43]
	v_lshrrev_b32_e32 v52, 3, v30
	v_sub_u32_e32 v42, 29, v55
	v_and_b32_e32 v55, 7, v56
	v_cmp_gt_u32_e32 vcc, 8, v30
	v_cndmask_b32_e32 v30, v52, v42, vcc
	v_cndmask_b32_e32 v42, v45, v55, vcc
	v_lshlrev_b32_e32 v45, 24, v31
	v_bfrev_b32_e32 v52, 60
	v_lshlrev_b32_e32 v42, 20, v42
	v_and_b32_e32 v45, 0x80000000, v45
	v_lshl_add_u32 v30, v30, 23, v52
	v_or3_b32 v30, v45, v30, v42
	v_lshrrev_b32_e32 v45, 16, v30
.LBB871_233:
	s_or_b64 exec, exec, s[10:11]
.LBB871_234:
	s_or_b64 exec, exec, s[8:9]
.LBB871_235:
	s_or_b64 exec, exec, s[2:3]
	v_lshrrev_b16_e32 v30, 8, v31
	v_cmp_ne_u16_e32 vcc, 0, v30
	v_mov_b32_e32 v55, 0
	v_mov_b32_e32 v42, 0
	s_and_saveexec_b64 s[2:3], vcc
	s_cbranch_execz .LBB871_241
; %bb.236:
	s_movk_i32 s8, 0x80
	v_cmp_ne_u16_e32 vcc, s8, v30
	v_mov_b32_e32 v42, 0xffff8000
	s_and_saveexec_b64 s[8:9], vcc
	s_cbranch_execz .LBB871_240
; %bb.237:
	s_movk_i32 s10, 0x7f
	v_and_b32_e32 v52, 0x7f, v30
	v_cmp_ne_u32_e32 vcc, s10, v52
	v_mov_b32_e32 v42, 0x7f80
	s_and_saveexec_b64 s[10:11], vcc
	s_cbranch_execz .LBB871_239
; %bb.238:
	v_and_b32_e32 v42, 7, v30
	v_ffbh_u32_e32 v56, v42
	v_min_u32_e32 v59, 32, v56
	v_subrev_u32_e32 v56, 28, v59
	v_lshlrev_b64 v[56:57], v56, v[30:31]
	v_lshrrev_b32_e32 v58, 3, v52
	v_sub_u32_e32 v30, 29, v59
	v_and_b32_e32 v56, 7, v56
	v_cmp_gt_u32_e32 vcc, 8, v52
	v_cndmask_b32_e32 v30, v58, v30, vcc
	v_cndmask_b32_e32 v42, v42, v56, vcc
	v_lshlrev_b32_e32 v52, 16, v31
	v_bfrev_b32_e32 v56, 60
	v_lshlrev_b32_e32 v42, 20, v42
	v_and_b32_e32 v52, 0x80000000, v52
	v_lshl_add_u32 v30, v30, 23, v56
	v_or3_b32 v30, v52, v30, v42
	v_lshrrev_b32_e32 v42, 16, v30
.LBB871_239:
	s_or_b64 exec, exec, s[10:11]
.LBB871_240:
	s_or_b64 exec, exec, s[8:9]
.LBB871_241:
	s_or_b64 exec, exec, s[2:3]
	s_movk_i32 s2, 0xff
	v_and_b32_sdwa v52, v31, s2 dst_sel:DWORD dst_unused:UNUSED_PAD src0_sel:WORD_1 src1_sel:DWORD
	v_lshrrev_b32_e32 v30, 16, v31
	v_cmp_ne_u16_e32 vcc, 0, v52
	s_and_saveexec_b64 s[2:3], vcc
	s_cbranch_execz .LBB871_247
; %bb.242:
	s_movk_i32 s8, 0x80
	v_cmp_ne_u16_e32 vcc, s8, v52
	v_mov_b32_e32 v55, 0xffff8000
	s_and_saveexec_b64 s[8:9], vcc
	s_cbranch_execz .LBB871_246
; %bb.243:
	v_bfe_u32 v52, v31, 16, 7
	s_movk_i32 s10, 0x7f
	v_cmp_ne_u32_e32 vcc, s10, v52
	v_mov_b32_e32 v55, 0x7f80
	s_and_saveexec_b64 s[10:11], vcc
	s_cbranch_execz .LBB871_245
; %bb.244:
	v_and_b32_e32 v55, 7, v30
	v_ffbh_u32_e32 v56, v55
	v_min_u32_e32 v59, 32, v56
	v_subrev_u32_e32 v56, 28, v59
	v_lshlrev_b64 v[56:57], v56, v[30:31]
	v_and_b32_e32 v56, 7, v56
	v_cmp_gt_u32_e32 vcc, 8, v52
	v_lshrrev_b32_e32 v58, 3, v52
	v_sub_u32_e32 v30, 29, v59
	v_cndmask_b32_e32 v52, v55, v56, vcc
	v_mov_b32_e32 v55, 24
	v_cndmask_b32_e32 v30, v58, v30, vcc
	v_lshlrev_b32_sdwa v55, v55, v31 dst_sel:DWORD dst_unused:UNUSED_PAD src0_sel:DWORD src1_sel:WORD_1
	v_bfrev_b32_e32 v56, 60
	v_lshlrev_b32_e32 v52, 20, v52
	v_and_b32_e32 v55, 0x80000000, v55
	v_lshl_add_u32 v30, v30, 23, v56
	v_or3_b32 v30, v55, v30, v52
	v_lshrrev_b32_e32 v55, 16, v30
.LBB871_245:
	s_or_b64 exec, exec, s[10:11]
.LBB871_246:
	s_or_b64 exec, exec, s[8:9]
.LBB871_247:
	s_or_b64 exec, exec, s[2:3]
	s_mov_b32 s2, 0xffffff
	v_cmp_lt_u32_e32 vcc, s2, v31
	v_mov_b32_e32 v52, 0
	v_mov_b32_e32 v56, 0
	s_and_saveexec_b64 s[2:3], vcc
	s_cbranch_execz .LBB871_253
; %bb.248:
	v_lshrrev_b32_e32 v30, 24, v31
	s_movk_i32 s8, 0x80
	v_cmp_ne_u32_e32 vcc, s8, v30
	v_mov_b32_e32 v56, 0xffff8000
	s_and_saveexec_b64 s[8:9], vcc
	s_cbranch_execz .LBB871_252
; %bb.249:
	v_bfe_u32 v31, v31, 24, 7
	s_movk_i32 s10, 0x7f
	v_cmp_ne_u32_e32 vcc, s10, v31
	v_mov_b32_e32 v56, 0x7f80
	s_and_saveexec_b64 s[10:11], vcc
	s_cbranch_execz .LBB871_251
; %bb.250:
	v_and_b32_e32 v58, 7, v30
	v_ffbh_u32_e32 v56, v58
	v_min_u32_e32 v60, 32, v56
	v_subrev_u32_e32 v56, 28, v60
	v_lshlrev_b64 v[56:57], v56, v[30:31]
	v_lshrrev_b32_e32 v59, 3, v31
	v_sub_u32_e32 v57, 29, v60
	v_and_b32_e32 v56, 7, v56
	v_cmp_gt_u32_e32 vcc, 8, v31
	v_cndmask_b32_e32 v31, v59, v57, vcc
	v_cndmask_b32_e32 v56, v58, v56, vcc
	v_lshlrev_b32_e32 v30, 24, v30
	v_bfrev_b32_e32 v57, 60
	v_lshlrev_b32_e32 v56, 20, v56
	v_and_b32_e32 v30, 0x80000000, v30
	v_lshl_add_u32 v31, v31, 23, v57
	v_or3_b32 v30, v30, v31, v56
	v_lshrrev_b32_e32 v56, 16, v30
.LBB871_251:
	s_or_b64 exec, exec, s[10:11]
.LBB871_252:
	s_or_b64 exec, exec, s[8:9]
.LBB871_253:
	s_or_b64 exec, exec, s[2:3]
	s_mov_b32 s2, 0x5040100
	v_perm_b32 v31, v54, v44, s2
	v_perm_b32 v30, v43, v53, s2
	v_cmp_ne_u16_sdwa s[8:9], v32, v52 src0_sel:BYTE_0 src1_sel:DWORD
	s_nop 0
	v_mfma_f32_16x16x16bf16_1k v[58:61], v[30:31], v[26:27], 0
	v_perm_b32 v31, v56, v55, s2
	v_perm_b32 v30, v42, v45, s2
	s_nop 1
	v_mfma_f32_16x16x16bf16_1k v[42:45], v[30:31], v[28:29], v[58:61]
	s_and_saveexec_b64 s[2:3], s[8:9]
	s_cbranch_execz .LBB871_259
; %bb.254:
	s_movk_i32 s8, 0x80
	v_cmp_ne_u16_sdwa s[10:11], v32, s8 src0_sel:BYTE_0 src1_sel:DWORD
	v_mov_b32_e32 v52, 0xffff8000
	s_and_saveexec_b64 s[8:9], s[10:11]
	s_cbranch_execz .LBB871_258
; %bb.255:
	s_movk_i32 s10, 0x7f
	v_and_b32_e32 v30, 0x7f, v32
	v_cmp_ne_u32_e32 vcc, s10, v30
	v_mov_b32_e32 v52, 0x7f80
	s_and_saveexec_b64 s[10:11], vcc
	s_cbranch_execz .LBB871_257
; %bb.256:
	v_and_b32_e32 v31, 7, v32
	v_ffbh_u32_e32 v52, v31
	v_min_u32_e32 v55, 32, v52
	v_subrev_u32_e32 v52, 28, v55
	v_lshlrev_b64 v[52:53], v52, v[32:33]
	v_lshrrev_b32_e32 v54, 3, v30
	v_sub_u32_e32 v53, 29, v55
	v_and_b32_e32 v52, 7, v52
	v_cmp_gt_u32_e32 vcc, 8, v30
	v_cndmask_b32_e32 v30, v54, v53, vcc
	v_cndmask_b32_e32 v31, v31, v52, vcc
	v_lshlrev_b32_e32 v52, 24, v32
	v_bfrev_b32_e32 v53, 60
	v_lshlrev_b32_e32 v31, 20, v31
	v_and_b32_e32 v52, 0x80000000, v52
	v_lshl_add_u32 v30, v30, 23, v53
	v_or3_b32 v30, v52, v30, v31
	v_lshrrev_b32_e32 v52, 16, v30
.LBB871_257:
	s_or_b64 exec, exec, s[10:11]
.LBB871_258:
	s_or_b64 exec, exec, s[8:9]
.LBB871_259:
	s_or_b64 exec, exec, s[2:3]
	v_lshrrev_b16_e32 v30, 8, v32
	v_cmp_ne_u16_e32 vcc, 0, v30
	v_mov_b32_e32 v54, 0
	v_mov_b32_e32 v31, 0
	s_and_saveexec_b64 s[2:3], vcc
	s_cbranch_execz .LBB871_265
; %bb.260:
	s_movk_i32 s8, 0x80
	v_cmp_ne_u16_e32 vcc, s8, v30
	v_mov_b32_e32 v31, 0xffff8000
	s_and_saveexec_b64 s[8:9], vcc
	s_cbranch_execz .LBB871_264
; %bb.261:
	s_movk_i32 s10, 0x7f
	v_and_b32_e32 v53, 0x7f, v30
	v_cmp_ne_u32_e32 vcc, s10, v53
	v_mov_b32_e32 v31, 0x7f80
	s_and_saveexec_b64 s[10:11], vcc
	s_cbranch_execz .LBB871_263
; %bb.262:
	v_and_b32_e32 v55, 7, v30
	v_ffbh_u32_e32 v31, v55
	v_min_u32_e32 v57, 32, v31
	v_subrev_u32_e32 v31, 28, v57
	v_lshlrev_b64 v[30:31], v31, v[30:31]
	v_lshrrev_b32_e32 v56, 3, v53
	v_sub_u32_e32 v31, 29, v57
	v_and_b32_e32 v30, 7, v30
	v_cmp_gt_u32_e32 vcc, 8, v53
	v_cndmask_b32_e32 v31, v56, v31, vcc
	v_cndmask_b32_e32 v30, v55, v30, vcc
	v_lshlrev_b32_e32 v53, 16, v32
	v_bfrev_b32_e32 v55, 60
	v_lshlrev_b32_e32 v30, 20, v30
	v_and_b32_e32 v53, 0x80000000, v53
	v_lshl_add_u32 v31, v31, 23, v55
	v_or3_b32 v30, v53, v31, v30
	v_lshrrev_b32_e32 v31, 16, v30
.LBB871_263:
	s_or_b64 exec, exec, s[10:11]
.LBB871_264:
	s_or_b64 exec, exec, s[8:9]
.LBB871_265:
	s_or_b64 exec, exec, s[2:3]
	s_movk_i32 s2, 0xff
	v_and_b32_sdwa v53, v32, s2 dst_sel:DWORD dst_unused:UNUSED_PAD src0_sel:WORD_1 src1_sel:DWORD
	v_lshrrev_b32_e32 v30, 16, v32
	v_cmp_ne_u16_e32 vcc, 0, v53
	s_and_saveexec_b64 s[2:3], vcc
	s_cbranch_execz .LBB871_271
; %bb.266:
	s_movk_i32 s8, 0x80
	v_cmp_ne_u16_e32 vcc, s8, v53
	v_mov_b32_e32 v54, 0xffff8000
	s_and_saveexec_b64 s[8:9], vcc
	s_cbranch_execz .LBB871_270
; %bb.267:
	v_bfe_u32 v53, v32, 16, 7
	s_movk_i32 s10, 0x7f
	v_cmp_ne_u32_e32 vcc, s10, v53
	v_mov_b32_e32 v54, 0x7f80
	s_and_saveexec_b64 s[10:11], vcc
	s_cbranch_execz .LBB871_269
; %bb.268:
	v_and_b32_e32 v56, 7, v30
	v_ffbh_u32_e32 v54, v56
	v_min_u32_e32 v58, 32, v54
	v_subrev_u32_e32 v54, 28, v58
	v_lshlrev_b64 v[54:55], v54, v[30:31]
	v_and_b32_e32 v54, 7, v54
	v_cmp_gt_u32_e32 vcc, 8, v53
	v_lshrrev_b32_e32 v57, 3, v53
	v_sub_u32_e32 v30, 29, v58
	v_cndmask_b32_e32 v53, v56, v54, vcc
	v_mov_b32_e32 v54, 24
	v_cndmask_b32_e32 v30, v57, v30, vcc
	v_lshlrev_b32_sdwa v54, v54, v32 dst_sel:DWORD dst_unused:UNUSED_PAD src0_sel:DWORD src1_sel:WORD_1
	v_bfrev_b32_e32 v55, 60
	v_lshlrev_b32_e32 v53, 20, v53
	v_and_b32_e32 v54, 0x80000000, v54
	v_lshl_add_u32 v30, v30, 23, v55
	v_or3_b32 v30, v54, v30, v53
	v_lshrrev_b32_e32 v54, 16, v30
.LBB871_269:
	s_or_b64 exec, exec, s[10:11]
.LBB871_270:
	s_or_b64 exec, exec, s[8:9]
.LBB871_271:
	s_or_b64 exec, exec, s[2:3]
	s_mov_b32 s2, 0xffffff
	v_cmp_lt_u32_e32 vcc, s2, v32
	v_mov_b32_e32 v55, 0
	v_mov_b32_e32 v56, 0
	s_and_saveexec_b64 s[2:3], vcc
	s_cbranch_execz .LBB871_277
; %bb.272:
	v_lshrrev_b32_e32 v30, 24, v32
	s_movk_i32 s8, 0x80
	v_cmp_ne_u32_e32 vcc, s8, v30
	v_mov_b32_e32 v56, 0xffff8000
	s_and_saveexec_b64 s[8:9], vcc
	s_cbranch_execz .LBB871_276
; %bb.273:
	v_bfe_u32 v32, v32, 24, 7
	s_movk_i32 s10, 0x7f
	v_cmp_ne_u32_e32 vcc, s10, v32
	v_mov_b32_e32 v56, 0x7f80
	s_and_saveexec_b64 s[10:11], vcc
	s_cbranch_execz .LBB871_275
; %bb.274:
	v_and_b32_e32 v53, 7, v30
	v_ffbh_u32_e32 v56, v53
	v_min_u32_e32 v59, 32, v56
	v_subrev_u32_e32 v56, 28, v59
	v_lshlrev_b64 v[56:57], v56, v[30:31]
	v_lshrrev_b32_e32 v58, 3, v32
	v_sub_u32_e32 v57, 29, v59
	v_and_b32_e32 v56, 7, v56
	v_cmp_gt_u32_e32 vcc, 8, v32
	v_cndmask_b32_e32 v32, v58, v57, vcc
	v_cndmask_b32_e32 v53, v53, v56, vcc
	v_lshlrev_b32_e32 v30, 24, v30
	v_bfrev_b32_e32 v56, 60
	v_lshlrev_b32_e32 v53, 20, v53
	v_and_b32_e32 v30, 0x80000000, v30
	v_lshl_add_u32 v32, v32, 23, v56
	v_or3_b32 v30, v30, v32, v53
	v_lshrrev_b32_e32 v56, 16, v30
.LBB871_275:
	s_or_b64 exec, exec, s[10:11]
.LBB871_276:
	s_or_b64 exec, exec, s[8:9]
.LBB871_277:
	s_or_b64 exec, exec, s[2:3]
	v_cmp_ne_u16_sdwa s[8:9], v33, v55 src0_sel:BYTE_0 src1_sel:DWORD
	s_and_saveexec_b64 s[2:3], s[8:9]
	s_cbranch_execz .LBB871_283
; %bb.278:
	s_movk_i32 s8, 0x80
	v_cmp_ne_u16_sdwa s[10:11], v33, s8 src0_sel:BYTE_0 src1_sel:DWORD
	v_mov_b32_e32 v55, 0xffff8000
	s_and_saveexec_b64 s[8:9], s[10:11]
	s_cbranch_execz .LBB871_282
; %bb.279:
	s_movk_i32 s10, 0x7f
	v_and_b32_e32 v30, 0x7f, v33
	v_cmp_ne_u32_e32 vcc, s10, v30
	v_mov_b32_e32 v55, 0x7f80
	s_and_saveexec_b64 s[10:11], vcc
	s_cbranch_execz .LBB871_281
; %bb.280:
	v_and_b32_e32 v53, 7, v33
	v_ffbh_u32_e32 v57, v53
	v_min_u32_e32 v57, 32, v57
	v_mov_b32_e32 v32, v33
	v_subrev_u32_e32 v58, 28, v57
	v_lshlrev_b64 v[58:59], v58, v[32:33]
	v_lshrrev_b32_e32 v55, 3, v30
	v_sub_u32_e32 v32, 29, v57
	v_and_b32_e32 v57, 7, v58
	v_cmp_gt_u32_e32 vcc, 8, v30
	v_cndmask_b32_e32 v30, v55, v32, vcc
	v_cndmask_b32_e32 v32, v53, v57, vcc
	v_lshlrev_b32_e32 v53, 24, v33
	v_bfrev_b32_e32 v55, 60
	v_lshlrev_b32_e32 v32, 20, v32
	v_and_b32_e32 v53, 0x80000000, v53
	v_lshl_add_u32 v30, v30, 23, v55
	v_or3_b32 v30, v53, v30, v32
	v_lshrrev_b32_e32 v55, 16, v30
.LBB871_281:
	s_or_b64 exec, exec, s[10:11]
.LBB871_282:
	s_or_b64 exec, exec, s[8:9]
.LBB871_283:
	s_or_b64 exec, exec, s[2:3]
	v_lshrrev_b16_e32 v30, 8, v33
	v_cmp_ne_u16_e32 vcc, 0, v30
	v_mov_b32_e32 v57, 0
	v_mov_b32_e32 v32, 0
	s_and_saveexec_b64 s[2:3], vcc
	s_cbranch_execz .LBB871_289
; %bb.284:
	s_movk_i32 s8, 0x80
	v_cmp_ne_u16_e32 vcc, s8, v30
	v_mov_b32_e32 v32, 0xffff8000
	s_and_saveexec_b64 s[8:9], vcc
	s_cbranch_execz .LBB871_288
; %bb.285:
	s_movk_i32 s10, 0x7f
	v_and_b32_e32 v53, 0x7f, v30
	v_cmp_ne_u32_e32 vcc, s10, v53
	v_mov_b32_e32 v32, 0x7f80
	s_and_saveexec_b64 s[10:11], vcc
	s_cbranch_execz .LBB871_287
; %bb.286:
	v_and_b32_e32 v32, 7, v30
	v_ffbh_u32_e32 v58, v32
	v_min_u32_e32 v61, 32, v58
	v_subrev_u32_e32 v58, 28, v61
	v_lshlrev_b64 v[58:59], v58, v[30:31]
	v_lshrrev_b32_e32 v60, 3, v53
	v_sub_u32_e32 v30, 29, v61
	v_and_b32_e32 v58, 7, v58
	v_cmp_gt_u32_e32 vcc, 8, v53
	v_cndmask_b32_e32 v30, v60, v30, vcc
	v_cndmask_b32_e32 v32, v32, v58, vcc
	v_lshlrev_b32_e32 v53, 16, v33
	v_bfrev_b32_e32 v58, 60
	v_lshlrev_b32_e32 v32, 20, v32
	v_and_b32_e32 v53, 0x80000000, v53
	v_lshl_add_u32 v30, v30, 23, v58
	v_or3_b32 v30, v53, v30, v32
	v_lshrrev_b32_e32 v32, 16, v30
.LBB871_287:
	s_or_b64 exec, exec, s[10:11]
.LBB871_288:
	s_or_b64 exec, exec, s[8:9]
.LBB871_289:
	s_or_b64 exec, exec, s[2:3]
	s_movk_i32 s2, 0xff
	v_and_b32_sdwa v53, v33, s2 dst_sel:DWORD dst_unused:UNUSED_PAD src0_sel:WORD_1 src1_sel:DWORD
	v_lshrrev_b32_e32 v30, 16, v33
	v_cmp_ne_u16_e32 vcc, 0, v53
	s_and_saveexec_b64 s[2:3], vcc
	s_cbranch_execz .LBB871_295
; %bb.290:
	s_movk_i32 s8, 0x80
	v_cmp_ne_u16_e32 vcc, s8, v53
	v_mov_b32_e32 v57, 0xffff8000
	s_and_saveexec_b64 s[8:9], vcc
	s_cbranch_execz .LBB871_294
; %bb.291:
	v_bfe_u32 v53, v33, 16, 7
	s_movk_i32 s10, 0x7f
	v_cmp_ne_u32_e32 vcc, s10, v53
	v_mov_b32_e32 v57, 0x7f80
	s_and_saveexec_b64 s[10:11], vcc
	s_cbranch_execz .LBB871_293
; %bb.292:
	v_and_b32_e32 v57, 7, v30
	v_ffbh_u32_e32 v58, v57
	v_min_u32_e32 v61, 32, v58
	v_subrev_u32_e32 v58, 28, v61
	v_lshlrev_b64 v[58:59], v58, v[30:31]
	v_and_b32_e32 v58, 7, v58
	v_cmp_gt_u32_e32 vcc, 8, v53
	v_lshrrev_b32_e32 v60, 3, v53
	v_sub_u32_e32 v30, 29, v61
	v_cndmask_b32_e32 v53, v57, v58, vcc
	v_mov_b32_e32 v57, 24
	v_cndmask_b32_e32 v30, v60, v30, vcc
	v_lshlrev_b32_sdwa v57, v57, v33 dst_sel:DWORD dst_unused:UNUSED_PAD src0_sel:DWORD src1_sel:WORD_1
	v_bfrev_b32_e32 v58, 60
	v_lshlrev_b32_e32 v53, 20, v53
	v_and_b32_e32 v57, 0x80000000, v57
	v_lshl_add_u32 v30, v30, 23, v58
	v_or3_b32 v30, v57, v30, v53
	v_lshrrev_b32_e32 v57, 16, v30
.LBB871_293:
	s_or_b64 exec, exec, s[10:11]
.LBB871_294:
	s_or_b64 exec, exec, s[8:9]
.LBB871_295:
	s_or_b64 exec, exec, s[2:3]
	s_mov_b32 s2, 0xffffff
	v_cmp_lt_u32_e32 vcc, s2, v33
	v_mov_b32_e32 v53, 0
	v_mov_b32_e32 v58, 0
	s_and_saveexec_b64 s[2:3], vcc
	s_cbranch_execz .LBB871_301
; %bb.296:
	v_lshrrev_b32_e32 v30, 24, v33
	s_movk_i32 s8, 0x80
	v_cmp_ne_u32_e32 vcc, s8, v30
	v_mov_b32_e32 v58, 0xffff8000
	s_and_saveexec_b64 s[8:9], vcc
	s_cbranch_execz .LBB871_300
; %bb.297:
	v_bfe_u32 v33, v33, 24, 7
	s_movk_i32 s10, 0x7f
	v_cmp_ne_u32_e32 vcc, s10, v33
	v_mov_b32_e32 v58, 0x7f80
	s_and_saveexec_b64 s[10:11], vcc
	s_cbranch_execz .LBB871_299
; %bb.298:
	v_and_b32_e32 v60, 7, v30
	v_ffbh_u32_e32 v58, v60
	v_min_u32_e32 v62, 32, v58
	v_subrev_u32_e32 v58, 28, v62
	v_lshlrev_b64 v[58:59], v58, v[30:31]
	v_lshrrev_b32_e32 v61, 3, v33
	v_sub_u32_e32 v59, 29, v62
	v_and_b32_e32 v58, 7, v58
	v_cmp_gt_u32_e32 vcc, 8, v33
	v_cndmask_b32_e32 v33, v61, v59, vcc
	v_cndmask_b32_e32 v58, v60, v58, vcc
	v_lshlrev_b32_e32 v30, 24, v30
	v_bfrev_b32_e32 v59, 60
	v_lshlrev_b32_e32 v58, 20, v58
	v_and_b32_e32 v30, 0x80000000, v30
	v_lshl_add_u32 v33, v33, 23, v59
	v_or3_b32 v30, v30, v33, v58
	v_lshrrev_b32_e32 v58, 16, v30
.LBB871_299:
	s_or_b64 exec, exec, s[10:11]
.LBB871_300:
	s_or_b64 exec, exec, s[8:9]
.LBB871_301:
	s_or_b64 exec, exec, s[2:3]
	s_mov_b32 s2, 0x5040100
	v_perm_b32 v61, v56, v54, s2
	v_perm_b32 v60, v31, v52, s2
	;; [unrolled: 1-line block ×4, first 2 shown]
	v_cmp_ne_u16_sdwa s[8:9], v22, v53 src0_sel:BYTE_0 src1_sel:DWORD
	v_mfma_f32_16x16x16bf16_1k v[42:45], v[60:61], v[18:19], v[42:45]
	v_mfma_f32_16x16x16bf16_1k v[30:33], v[30:31], v[20:21], v[42:45]
	s_and_saveexec_b64 s[2:3], s[8:9]
	s_cbranch_execz .LBB871_307
; %bb.302:
	s_movk_i32 s8, 0x80
	v_cmp_ne_u16_sdwa s[10:11], v22, s8 src0_sel:BYTE_0 src1_sel:DWORD
	v_mov_b32_e32 v53, 0xffff8000
	s_and_saveexec_b64 s[8:9], s[10:11]
	s_cbranch_execz .LBB871_306
; %bb.303:
	s_movk_i32 s10, 0x7f
	s_nop 1
	v_and_b32_e32 v42, 0x7f, v22
	v_cmp_ne_u32_e32 vcc, s10, v42
	v_mov_b32_e32 v53, 0x7f80
	s_and_saveexec_b64 s[10:11], vcc
	s_cbranch_execz .LBB871_305
; %bb.304:
	v_and_b32_e32 v43, 7, v22
	v_ffbh_u32_e32 v44, v43
	v_min_u32_e32 v53, 32, v44
	v_subrev_u32_e32 v44, 28, v53
	v_lshlrev_b64 v[44:45], v44, v[22:23]
	v_lshrrev_b32_e32 v52, 3, v42
	v_sub_u32_e32 v45, 29, v53
	v_and_b32_e32 v44, 7, v44
	v_cmp_gt_u32_e32 vcc, 8, v42
	v_cndmask_b32_e32 v42, v52, v45, vcc
	v_cndmask_b32_e32 v43, v43, v44, vcc
	v_lshlrev_b32_e32 v44, 24, v22
	v_bfrev_b32_e32 v45, 60
	v_lshlrev_b32_e32 v43, 20, v43
	v_and_b32_e32 v44, 0x80000000, v44
	v_lshl_add_u32 v42, v42, 23, v45
	v_or3_b32 v42, v44, v42, v43
	v_lshrrev_b32_e32 v53, 16, v42
.LBB871_305:
	s_or_b64 exec, exec, s[10:11]
.LBB871_306:
	s_or_b64 exec, exec, s[8:9]
.LBB871_307:
	s_or_b64 exec, exec, s[2:3]
	s_nop 6
	v_lshrrev_b16_e32 v42, 8, v22
	v_cmp_ne_u16_e32 vcc, 0, v42
	v_mov_b32_e32 v44, 0
	v_mov_b32_e32 v43, 0
	s_and_saveexec_b64 s[2:3], vcc
	s_cbranch_execz .LBB871_313
; %bb.308:
	s_movk_i32 s8, 0x80
	v_cmp_ne_u16_e32 vcc, s8, v42
	v_mov_b32_e32 v43, 0xffff8000
	s_and_saveexec_b64 s[8:9], vcc
	s_cbranch_execz .LBB871_312
; %bb.309:
	s_movk_i32 s10, 0x7f
	v_and_b32_e32 v45, 0x7f, v42
	v_cmp_ne_u32_e32 vcc, s10, v45
	v_mov_b32_e32 v43, 0x7f80
	s_and_saveexec_b64 s[10:11], vcc
	s_cbranch_execz .LBB871_311
; %bb.310:
	v_and_b32_e32 v52, 7, v42
	v_ffbh_u32_e32 v43, v52
	v_min_u32_e32 v55, 32, v43
	v_subrev_u32_e32 v43, 28, v55
	v_lshlrev_b64 v[42:43], v43, v[42:43]
	v_lshrrev_b32_e32 v54, 3, v45
	v_sub_u32_e32 v43, 29, v55
	v_and_b32_e32 v42, 7, v42
	v_cmp_gt_u32_e32 vcc, 8, v45
	v_cndmask_b32_e32 v43, v54, v43, vcc
	v_cndmask_b32_e32 v42, v52, v42, vcc
	v_lshlrev_b32_e32 v45, 16, v22
	v_bfrev_b32_e32 v52, 60
	v_lshlrev_b32_e32 v42, 20, v42
	v_and_b32_e32 v45, 0x80000000, v45
	v_lshl_add_u32 v43, v43, 23, v52
	v_or3_b32 v42, v45, v43, v42
	v_lshrrev_b32_e32 v43, 16, v42
.LBB871_311:
	s_or_b64 exec, exec, s[10:11]
.LBB871_312:
	s_or_b64 exec, exec, s[8:9]
.LBB871_313:
	s_or_b64 exec, exec, s[2:3]
	s_movk_i32 s2, 0xff
	v_and_b32_sdwa v45, v22, s2 dst_sel:DWORD dst_unused:UNUSED_PAD src0_sel:WORD_1 src1_sel:DWORD
	v_lshrrev_b32_e32 v42, 16, v22
	v_cmp_ne_u16_e32 vcc, 0, v45
	s_and_saveexec_b64 s[2:3], vcc
	s_cbranch_execz .LBB871_319
; %bb.314:
	s_movk_i32 s8, 0x80
	v_cmp_ne_u16_e32 vcc, s8, v45
	v_mov_b32_e32 v44, 0xffff8000
	s_and_saveexec_b64 s[8:9], vcc
	s_cbranch_execz .LBB871_318
; %bb.315:
	v_bfe_u32 v45, v22, 16, 7
	s_movk_i32 s10, 0x7f
	v_cmp_ne_u32_e32 vcc, s10, v45
	v_mov_b32_e32 v44, 0x7f80
	s_and_saveexec_b64 s[10:11], vcc
	s_cbranch_execz .LBB871_317
; %bb.316:
	v_and_b32_e32 v44, 7, v42
	v_ffbh_u32_e32 v54, v44
	v_min_u32_e32 v56, 32, v54
	v_subrev_u32_e32 v54, 28, v56
	v_lshlrev_b64 v[54:55], v54, v[42:43]
	v_lshrrev_b32_e32 v52, 3, v45
	v_sub_u32_e32 v42, 29, v56
	v_and_b32_e32 v54, 7, v54
	v_cmp_gt_u32_e32 vcc, 8, v45
	v_mov_b32_e32 v45, 24
	v_cndmask_b32_e32 v42, v52, v42, vcc
	v_cndmask_b32_e32 v44, v44, v54, vcc
	v_lshlrev_b32_sdwa v45, v45, v22 dst_sel:DWORD dst_unused:UNUSED_PAD src0_sel:DWORD src1_sel:WORD_1
	v_bfrev_b32_e32 v52, 60
	v_lshlrev_b32_e32 v44, 20, v44
	v_and_b32_e32 v45, 0x80000000, v45
	v_lshl_add_u32 v42, v42, 23, v52
	v_or3_b32 v42, v45, v42, v44
	v_lshrrev_b32_e32 v44, 16, v42
.LBB871_317:
	s_or_b64 exec, exec, s[10:11]
.LBB871_318:
	s_or_b64 exec, exec, s[8:9]
.LBB871_319:
	s_or_b64 exec, exec, s[2:3]
	s_mov_b32 s2, 0xffffff
	v_cmp_lt_u32_e32 vcc, s2, v22
	v_mov_b32_e32 v45, 0
	v_mov_b32_e32 v52, 0
	s_and_saveexec_b64 s[2:3], vcc
	s_cbranch_execz .LBB871_325
; %bb.320:
	v_lshrrev_b32_e32 v42, 24, v22
	s_movk_i32 s8, 0x80
	v_cmp_ne_u32_e32 vcc, s8, v42
	v_mov_b32_e32 v52, 0xffff8000
	s_and_saveexec_b64 s[8:9], vcc
	s_cbranch_execz .LBB871_324
; %bb.321:
	v_bfe_u32 v22, v22, 24, 7
	s_movk_i32 s10, 0x7f
	v_cmp_ne_u32_e32 vcc, s10, v22
	v_mov_b32_e32 v52, 0x7f80
	s_and_saveexec_b64 s[10:11], vcc
	s_cbranch_execz .LBB871_323
; %bb.322:
	v_and_b32_e32 v52, 7, v42
	v_ffbh_u32_e32 v54, v52
	v_min_u32_e32 v57, 32, v54
	v_subrev_u32_e32 v54, 28, v57
	v_lshlrev_b64 v[54:55], v54, v[42:43]
	v_lshrrev_b32_e32 v56, 3, v22
	v_sub_u32_e32 v55, 29, v57
	v_and_b32_e32 v54, 7, v54
	v_cmp_gt_u32_e32 vcc, 8, v22
	v_cndmask_b32_e32 v22, v56, v55, vcc
	v_cndmask_b32_e32 v52, v52, v54, vcc
	v_lshlrev_b32_e32 v42, 24, v42
	v_bfrev_b32_e32 v54, 60
	v_lshlrev_b32_e32 v52, 20, v52
	v_and_b32_e32 v42, 0x80000000, v42
	v_lshl_add_u32 v22, v22, 23, v54
	v_or3_b32 v22, v42, v22, v52
	v_lshrrev_b32_e32 v52, 16, v22
.LBB871_323:
	s_or_b64 exec, exec, s[10:11]
.LBB871_324:
	s_or_b64 exec, exec, s[8:9]
.LBB871_325:
	s_or_b64 exec, exec, s[2:3]
	v_cmp_ne_u16_sdwa s[8:9], v23, v45 src0_sel:BYTE_0 src1_sel:DWORD
	s_and_saveexec_b64 s[2:3], s[8:9]
	s_cbranch_execz .LBB871_331
; %bb.326:
	s_movk_i32 s8, 0x80
	v_cmp_ne_u16_sdwa s[10:11], v23, s8 src0_sel:BYTE_0 src1_sel:DWORD
	v_mov_b32_e32 v45, 0xffff8000
	s_and_saveexec_b64 s[8:9], s[10:11]
	s_cbranch_execz .LBB871_330
; %bb.327:
	s_movk_i32 s10, 0x7f
	v_and_b32_e32 v22, 0x7f, v23
	v_cmp_ne_u32_e32 vcc, s10, v22
	v_mov_b32_e32 v45, 0x7f80
	s_and_saveexec_b64 s[10:11], vcc
	s_cbranch_execz .LBB871_329
; %bb.328:
	v_and_b32_e32 v45, 7, v23
	v_ffbh_u32_e32 v54, v45
	v_min_u32_e32 v57, 32, v54
	v_mov_b32_e32 v42, v23
	v_subrev_u32_e32 v54, 28, v57
	v_lshlrev_b64 v[54:55], v54, v[42:43]
	v_lshrrev_b32_e32 v56, 3, v22
	v_sub_u32_e32 v42, 29, v57
	v_and_b32_e32 v54, 7, v54
	v_cmp_gt_u32_e32 vcc, 8, v22
	v_cndmask_b32_e32 v22, v56, v42, vcc
	v_cndmask_b32_e32 v42, v45, v54, vcc
	v_lshlrev_b32_e32 v45, 24, v23
	v_bfrev_b32_e32 v54, 60
	v_lshlrev_b32_e32 v42, 20, v42
	v_and_b32_e32 v45, 0x80000000, v45
	v_lshl_add_u32 v22, v22, 23, v54
	v_or3_b32 v22, v45, v22, v42
	v_lshrrev_b32_e32 v45, 16, v22
.LBB871_329:
	s_or_b64 exec, exec, s[10:11]
.LBB871_330:
	s_or_b64 exec, exec, s[8:9]
.LBB871_331:
	s_or_b64 exec, exec, s[2:3]
	v_lshrrev_b16_e32 v22, 8, v23
	v_cmp_ne_u16_e32 vcc, 0, v22
	v_mov_b32_e32 v55, 0
	v_mov_b32_e32 v54, 0
	s_and_saveexec_b64 s[2:3], vcc
	s_cbranch_execz .LBB871_337
; %bb.332:
	s_movk_i32 s8, 0x80
	v_cmp_ne_u16_e32 vcc, s8, v22
	v_mov_b32_e32 v54, 0xffff8000
	s_and_saveexec_b64 s[8:9], vcc
	s_cbranch_execz .LBB871_336
; %bb.333:
	s_movk_i32 s10, 0x7f
	v_and_b32_e32 v42, 0x7f, v22
	v_cmp_ne_u32_e32 vcc, s10, v42
	v_mov_b32_e32 v54, 0x7f80
	s_and_saveexec_b64 s[10:11], vcc
	s_cbranch_execz .LBB871_335
; %bb.334:
	v_and_b32_e32 v54, 7, v22
	v_ffbh_u32_e32 v56, v54
	v_min_u32_e32 v59, 32, v56
	v_subrev_u32_e32 v56, 28, v59
	v_lshlrev_b64 v[56:57], v56, v[22:23]
	v_lshrrev_b32_e32 v58, 3, v42
	v_sub_u32_e32 v22, 29, v59
	v_and_b32_e32 v56, 7, v56
	v_cmp_gt_u32_e32 vcc, 8, v42
	v_cndmask_b32_e32 v22, v58, v22, vcc
	v_cndmask_b32_e32 v42, v54, v56, vcc
	v_lshlrev_b32_e32 v54, 16, v23
	v_bfrev_b32_e32 v56, 60
	v_lshlrev_b32_e32 v42, 20, v42
	v_and_b32_e32 v54, 0x80000000, v54
	v_lshl_add_u32 v22, v22, 23, v56
	v_or3_b32 v22, v54, v22, v42
	v_lshrrev_b32_e32 v54, 16, v22
.LBB871_335:
	s_or_b64 exec, exec, s[10:11]
.LBB871_336:
	s_or_b64 exec, exec, s[8:9]
.LBB871_337:
	s_or_b64 exec, exec, s[2:3]
	s_movk_i32 s2, 0xff
	v_and_b32_sdwa v42, v23, s2 dst_sel:DWORD dst_unused:UNUSED_PAD src0_sel:WORD_1 src1_sel:DWORD
	v_lshrrev_b32_e32 v22, 16, v23
	v_cmp_ne_u16_e32 vcc, 0, v42
	s_and_saveexec_b64 s[2:3], vcc
	s_cbranch_execz .LBB871_343
; %bb.338:
	s_movk_i32 s8, 0x80
	v_cmp_ne_u16_e32 vcc, s8, v42
	v_mov_b32_e32 v55, 0xffff8000
	s_and_saveexec_b64 s[8:9], vcc
	s_cbranch_execz .LBB871_342
; %bb.339:
	v_bfe_u32 v42, v23, 16, 7
	s_movk_i32 s10, 0x7f
	v_cmp_ne_u32_e32 vcc, s10, v42
	v_mov_b32_e32 v55, 0x7f80
	s_and_saveexec_b64 s[10:11], vcc
	s_cbranch_execz .LBB871_341
; %bb.340:
	v_and_b32_e32 v55, 7, v22
	v_ffbh_u32_e32 v56, v55
	v_min_u32_e32 v59, 32, v56
	v_subrev_u32_e32 v56, 28, v59
	v_lshlrev_b64 v[56:57], v56, v[22:23]
	v_and_b32_e32 v56, 7, v56
	v_cmp_gt_u32_e32 vcc, 8, v42
	v_lshrrev_b32_e32 v58, 3, v42
	v_sub_u32_e32 v22, 29, v59
	v_cndmask_b32_e32 v42, v55, v56, vcc
	v_mov_b32_e32 v55, 24
	v_cndmask_b32_e32 v22, v58, v22, vcc
	v_lshlrev_b32_sdwa v55, v55, v23 dst_sel:DWORD dst_unused:UNUSED_PAD src0_sel:DWORD src1_sel:WORD_1
	v_bfrev_b32_e32 v56, 60
	v_lshlrev_b32_e32 v42, 20, v42
	v_and_b32_e32 v55, 0x80000000, v55
	v_lshl_add_u32 v22, v22, 23, v56
	v_or3_b32 v22, v55, v22, v42
	v_lshrrev_b32_e32 v55, 16, v22
.LBB871_341:
	s_or_b64 exec, exec, s[10:11]
.LBB871_342:
	s_or_b64 exec, exec, s[8:9]
.LBB871_343:
	s_or_b64 exec, exec, s[2:3]
	s_mov_b32 s2, 0xffffff
	v_cmp_lt_u32_e32 vcc, s2, v23
	v_mov_b32_e32 v42, 0
	v_mov_b32_e32 v56, 0
	s_and_saveexec_b64 s[2:3], vcc
	s_cbranch_execz .LBB871_349
; %bb.344:
	v_lshrrev_b32_e32 v22, 24, v23
	s_movk_i32 s8, 0x80
	v_cmp_ne_u32_e32 vcc, s8, v22
	v_mov_b32_e32 v56, 0xffff8000
	s_and_saveexec_b64 s[8:9], vcc
	s_cbranch_execz .LBB871_348
; %bb.345:
	v_bfe_u32 v23, v23, 24, 7
	s_movk_i32 s10, 0x7f
	v_cmp_ne_u32_e32 vcc, s10, v23
	v_mov_b32_e32 v56, 0x7f80
	s_and_saveexec_b64 s[10:11], vcc
	s_cbranch_execz .LBB871_347
; %bb.346:
	v_and_b32_e32 v58, 7, v22
	v_ffbh_u32_e32 v56, v58
	v_min_u32_e32 v60, 32, v56
	v_subrev_u32_e32 v56, 28, v60
	v_lshlrev_b64 v[56:57], v56, v[22:23]
	v_lshrrev_b32_e32 v59, 3, v23
	v_sub_u32_e32 v57, 29, v60
	v_and_b32_e32 v56, 7, v56
	v_cmp_gt_u32_e32 vcc, 8, v23
	v_cndmask_b32_e32 v23, v59, v57, vcc
	v_cndmask_b32_e32 v56, v58, v56, vcc
	v_lshlrev_b32_e32 v22, 24, v22
	v_bfrev_b32_e32 v57, 60
	v_lshlrev_b32_e32 v56, 20, v56
	v_and_b32_e32 v22, 0x80000000, v22
	v_lshl_add_u32 v23, v23, 23, v57
	v_or3_b32 v22, v22, v23, v56
	v_lshrrev_b32_e32 v56, 16, v22
.LBB871_347:
	s_or_b64 exec, exec, s[10:11]
.LBB871_348:
	s_or_b64 exec, exec, s[8:9]
.LBB871_349:
	s_or_b64 exec, exec, s[2:3]
	s_mov_b32 s2, 0x5040100
	v_perm_b32 v23, v52, v44, s2
	v_perm_b32 v22, v43, v53, s2
	v_cmp_ne_u16_sdwa s[8:9], v24, v42 src0_sel:BYTE_0 src1_sel:DWORD
	s_nop 0
	v_mfma_f32_16x16x16bf16_1k v[58:61], v[22:23], v[26:27], 0
	v_perm_b32 v23, v56, v55, s2
	v_perm_b32 v22, v54, v45, s2
	s_nop 1
	v_mfma_f32_16x16x16bf16_1k v[26:29], v[22:23], v[28:29], v[58:61]
	s_and_saveexec_b64 s[2:3], s[8:9]
	s_cbranch_execz .LBB871_355
; %bb.350:
	s_movk_i32 s8, 0x80
	v_cmp_ne_u16_sdwa s[10:11], v24, s8 src0_sel:BYTE_0 src1_sel:DWORD
	v_mov_b32_e32 v42, 0xffff8000
	s_and_saveexec_b64 s[8:9], s[10:11]
	s_cbranch_execz .LBB871_354
; %bb.351:
	s_movk_i32 s10, 0x7f
	v_and_b32_e32 v22, 0x7f, v24
	v_cmp_ne_u32_e32 vcc, s10, v22
	v_mov_b32_e32 v42, 0x7f80
	s_and_saveexec_b64 s[10:11], vcc
	s_cbranch_execz .LBB871_353
; %bb.352:
	v_and_b32_e32 v23, 7, v24
	v_ffbh_u32_e32 v42, v23
	v_min_u32_e32 v45, 32, v42
	v_subrev_u32_e32 v42, 28, v45
	v_lshlrev_b64 v[42:43], v42, v[24:25]
	v_lshrrev_b32_e32 v44, 3, v22
	v_sub_u32_e32 v43, 29, v45
	v_and_b32_e32 v42, 7, v42
	v_cmp_gt_u32_e32 vcc, 8, v22
	v_cndmask_b32_e32 v22, v44, v43, vcc
	v_cndmask_b32_e32 v23, v23, v42, vcc
	v_lshlrev_b32_e32 v42, 24, v24
	v_bfrev_b32_e32 v43, 60
	v_lshlrev_b32_e32 v23, 20, v23
	v_and_b32_e32 v42, 0x80000000, v42
	v_lshl_add_u32 v22, v22, 23, v43
	v_or3_b32 v22, v42, v22, v23
	v_lshrrev_b32_e32 v42, 16, v22
.LBB871_353:
	s_or_b64 exec, exec, s[10:11]
.LBB871_354:
	s_or_b64 exec, exec, s[8:9]
.LBB871_355:
	s_or_b64 exec, exec, s[2:3]
	v_lshrrev_b16_e32 v22, 8, v24
	v_cmp_ne_u16_e32 vcc, 0, v22
	v_mov_b32_e32 v43, 0
	v_mov_b32_e32 v23, 0
	s_and_saveexec_b64 s[2:3], vcc
	s_cbranch_execz .LBB871_361
; %bb.356:
	s_movk_i32 s8, 0x80
	v_cmp_ne_u16_e32 vcc, s8, v22
	v_mov_b32_e32 v23, 0xffff8000
	s_and_saveexec_b64 s[8:9], vcc
	s_cbranch_execz .LBB871_360
; %bb.357:
	s_movk_i32 s10, 0x7f
	v_and_b32_e32 v44, 0x7f, v22
	v_cmp_ne_u32_e32 vcc, s10, v44
	v_mov_b32_e32 v23, 0x7f80
	s_and_saveexec_b64 s[10:11], vcc
	s_cbranch_execz .LBB871_359
; %bb.358:
	v_and_b32_e32 v45, 7, v22
	v_ffbh_u32_e32 v23, v45
	v_min_u32_e32 v53, 32, v23
	v_subrev_u32_e32 v23, 28, v53
	v_lshlrev_b64 v[22:23], v23, v[22:23]
	v_lshrrev_b32_e32 v52, 3, v44
	v_sub_u32_e32 v23, 29, v53
	v_and_b32_e32 v22, 7, v22
	v_cmp_gt_u32_e32 vcc, 8, v44
	v_cndmask_b32_e32 v23, v52, v23, vcc
	v_cndmask_b32_e32 v22, v45, v22, vcc
	v_lshlrev_b32_e32 v44, 16, v24
	v_bfrev_b32_e32 v45, 60
	v_lshlrev_b32_e32 v22, 20, v22
	v_and_b32_e32 v44, 0x80000000, v44
	v_lshl_add_u32 v23, v23, 23, v45
	v_or3_b32 v22, v44, v23, v22
	v_lshrrev_b32_e32 v23, 16, v22
.LBB871_359:
	s_or_b64 exec, exec, s[10:11]
.LBB871_360:
	s_or_b64 exec, exec, s[8:9]
.LBB871_361:
	s_or_b64 exec, exec, s[2:3]
	s_movk_i32 s2, 0xff
	v_and_b32_sdwa v44, v24, s2 dst_sel:DWORD dst_unused:UNUSED_PAD src0_sel:WORD_1 src1_sel:DWORD
	v_lshrrev_b32_e32 v22, 16, v24
	v_cmp_ne_u16_e32 vcc, 0, v44
	s_and_saveexec_b64 s[2:3], vcc
	s_cbranch_execz .LBB871_367
; %bb.362:
	s_movk_i32 s8, 0x80
	v_cmp_ne_u16_e32 vcc, s8, v44
	v_mov_b32_e32 v43, 0xffff8000
	s_and_saveexec_b64 s[8:9], vcc
	s_cbranch_execz .LBB871_366
; %bb.363:
	v_bfe_u32 v44, v24, 16, 7
	s_movk_i32 s10, 0x7f
	v_cmp_ne_u32_e32 vcc, s10, v44
	v_mov_b32_e32 v43, 0x7f80
	s_and_saveexec_b64 s[10:11], vcc
	s_cbranch_execz .LBB871_365
; %bb.364:
	v_and_b32_e32 v43, 7, v22
	v_ffbh_u32_e32 v52, v43
	v_min_u32_e32 v54, 32, v52
	v_subrev_u32_e32 v52, 28, v54
	v_lshlrev_b64 v[52:53], v52, v[22:23]
	v_lshrrev_b32_e32 v45, 3, v44
	v_sub_u32_e32 v22, 29, v54
	v_and_b32_e32 v52, 7, v52
	v_cmp_gt_u32_e32 vcc, 8, v44
	v_mov_b32_e32 v44, 24
	v_cndmask_b32_e32 v22, v45, v22, vcc
	v_cndmask_b32_e32 v43, v43, v52, vcc
	v_lshlrev_b32_sdwa v44, v44, v24 dst_sel:DWORD dst_unused:UNUSED_PAD src0_sel:DWORD src1_sel:WORD_1
	v_bfrev_b32_e32 v45, 60
	v_lshlrev_b32_e32 v43, 20, v43
	v_and_b32_e32 v44, 0x80000000, v44
	v_lshl_add_u32 v22, v22, 23, v45
	v_or3_b32 v22, v44, v22, v43
	v_lshrrev_b32_e32 v43, 16, v22
.LBB871_365:
	s_or_b64 exec, exec, s[10:11]
.LBB871_366:
	s_or_b64 exec, exec, s[8:9]
.LBB871_367:
	s_or_b64 exec, exec, s[2:3]
	s_mov_b32 s2, 0xffffff
	v_cmp_lt_u32_e32 vcc, s2, v24
	v_mov_b32_e32 v45, 0
	v_mov_b32_e32 v52, 0
	s_and_saveexec_b64 s[2:3], vcc
	s_cbranch_execz .LBB871_373
; %bb.368:
	v_lshrrev_b32_e32 v22, 24, v24
	s_movk_i32 s8, 0x80
	v_cmp_ne_u32_e32 vcc, s8, v22
	v_mov_b32_e32 v52, 0xffff8000
	s_and_saveexec_b64 s[8:9], vcc
	s_cbranch_execz .LBB871_372
; %bb.369:
	v_bfe_u32 v24, v24, 24, 7
	s_movk_i32 s10, 0x7f
	v_cmp_ne_u32_e32 vcc, s10, v24
	v_mov_b32_e32 v52, 0x7f80
	s_and_saveexec_b64 s[10:11], vcc
	s_cbranch_execz .LBB871_371
; %bb.370:
	v_and_b32_e32 v44, 7, v22
	v_ffbh_u32_e32 v52, v44
	v_min_u32_e32 v55, 32, v52
	v_subrev_u32_e32 v52, 28, v55
	v_lshlrev_b64 v[52:53], v52, v[22:23]
	v_lshrrev_b32_e32 v54, 3, v24
	v_sub_u32_e32 v53, 29, v55
	v_and_b32_e32 v52, 7, v52
	v_cmp_gt_u32_e32 vcc, 8, v24
	v_cndmask_b32_e32 v24, v54, v53, vcc
	v_cndmask_b32_e32 v44, v44, v52, vcc
	v_lshlrev_b32_e32 v22, 24, v22
	v_bfrev_b32_e32 v52, 60
	v_lshlrev_b32_e32 v44, 20, v44
	v_and_b32_e32 v22, 0x80000000, v22
	v_lshl_add_u32 v24, v24, 23, v52
	v_or3_b32 v22, v22, v24, v44
	v_lshrrev_b32_e32 v52, 16, v22
.LBB871_371:
	s_or_b64 exec, exec, s[10:11]
.LBB871_372:
	s_or_b64 exec, exec, s[8:9]
.LBB871_373:
	s_or_b64 exec, exec, s[2:3]
	v_cmp_ne_u16_sdwa s[8:9], v25, v45 src0_sel:BYTE_0 src1_sel:DWORD
	s_and_saveexec_b64 s[2:3], s[8:9]
	s_cbranch_execz .LBB871_379
; %bb.374:
	s_movk_i32 s8, 0x80
	v_cmp_ne_u16_sdwa s[10:11], v25, s8 src0_sel:BYTE_0 src1_sel:DWORD
	v_mov_b32_e32 v45, 0xffff8000
	s_and_saveexec_b64 s[8:9], s[10:11]
	s_cbranch_execz .LBB871_378
; %bb.375:
	s_movk_i32 s10, 0x7f
	v_and_b32_e32 v22, 0x7f, v25
	v_cmp_ne_u32_e32 vcc, s10, v22
	v_mov_b32_e32 v45, 0x7f80
	s_and_saveexec_b64 s[10:11], vcc
	s_cbranch_execz .LBB871_377
; %bb.376:
	v_and_b32_e32 v53, 7, v25
	v_ffbh_u32_e32 v44, v53
	v_min_u32_e32 v55, 32, v44
	v_mov_b32_e32 v24, v25
	v_subrev_u32_e32 v44, 28, v55
	v_lshlrev_b64 v[44:45], v44, v[24:25]
	v_lshrrev_b32_e32 v54, 3, v22
	v_sub_u32_e32 v24, 29, v55
	v_and_b32_e32 v44, 7, v44
	v_cmp_gt_u32_e32 vcc, 8, v22
	v_cndmask_b32_e32 v22, v54, v24, vcc
	v_cndmask_b32_e32 v24, v53, v44, vcc
	v_lshlrev_b32_e32 v44, 24, v25
	v_bfrev_b32_e32 v45, 60
	v_lshlrev_b32_e32 v24, 20, v24
	v_and_b32_e32 v44, 0x80000000, v44
	v_lshl_add_u32 v22, v22, 23, v45
	v_or3_b32 v22, v44, v22, v24
	v_lshrrev_b32_e32 v45, 16, v22
.LBB871_377:
	s_or_b64 exec, exec, s[10:11]
.LBB871_378:
	s_or_b64 exec, exec, s[8:9]
.LBB871_379:
	s_or_b64 exec, exec, s[2:3]
	v_lshrrev_b16_e32 v22, 8, v25
	v_cmp_ne_u16_e32 vcc, 0, v22
	v_mov_b32_e32 v54, 0
	v_mov_b32_e32 v53, 0
	s_and_saveexec_b64 s[2:3], vcc
	s_cbranch_execz .LBB871_385
; %bb.380:
	s_movk_i32 s8, 0x80
	v_cmp_ne_u16_e32 vcc, s8, v22
	v_mov_b32_e32 v53, 0xffff8000
	s_and_saveexec_b64 s[8:9], vcc
	s_cbranch_execz .LBB871_384
; %bb.381:
	s_movk_i32 s10, 0x7f
	v_and_b32_e32 v24, 0x7f, v22
	v_cmp_ne_u32_e32 vcc, s10, v24
	v_mov_b32_e32 v53, 0x7f80
	s_and_saveexec_b64 s[10:11], vcc
	s_cbranch_execz .LBB871_383
; %bb.382:
	v_and_b32_e32 v44, 7, v22
	v_ffbh_u32_e32 v55, v44
	v_min_u32_e32 v55, 32, v55
	v_subrev_u32_e32 v56, 28, v55
	v_lshlrev_b64 v[56:57], v56, v[22:23]
	v_lshrrev_b32_e32 v53, 3, v24
	v_sub_u32_e32 v22, 29, v55
	v_and_b32_e32 v55, 7, v56
	v_cmp_gt_u32_e32 vcc, 8, v24
	v_cndmask_b32_e32 v22, v53, v22, vcc
	v_cndmask_b32_e32 v24, v44, v55, vcc
	v_lshlrev_b32_e32 v44, 16, v25
	v_bfrev_b32_e32 v53, 60
	v_lshlrev_b32_e32 v24, 20, v24
	v_and_b32_e32 v44, 0x80000000, v44
	v_lshl_add_u32 v22, v22, 23, v53
	v_or3_b32 v22, v44, v22, v24
	v_lshrrev_b32_e32 v53, 16, v22
.LBB871_383:
	s_or_b64 exec, exec, s[10:11]
.LBB871_384:
	s_or_b64 exec, exec, s[8:9]
.LBB871_385:
	s_or_b64 exec, exec, s[2:3]
	s_movk_i32 s2, 0xff
	v_and_b32_sdwa v24, v25, s2 dst_sel:DWORD dst_unused:UNUSED_PAD src0_sel:WORD_1 src1_sel:DWORD
	v_lshrrev_b32_e32 v22, 16, v25
	v_cmp_ne_u16_e32 vcc, 0, v24
	s_and_saveexec_b64 s[2:3], vcc
	s_cbranch_execz .LBB871_391
; %bb.386:
	s_movk_i32 s8, 0x80
	v_cmp_ne_u16_e32 vcc, s8, v24
	v_mov_b32_e32 v54, 0xffff8000
	s_and_saveexec_b64 s[8:9], vcc
	s_cbranch_execz .LBB871_390
; %bb.387:
	v_bfe_u32 v24, v25, 16, 7
	s_movk_i32 s10, 0x7f
	v_cmp_ne_u32_e32 vcc, s10, v24
	v_mov_b32_e32 v54, 0x7f80
	s_and_saveexec_b64 s[10:11], vcc
	s_cbranch_execz .LBB871_389
; %bb.388:
	v_and_b32_e32 v44, 7, v22
	v_ffbh_u32_e32 v54, v44
	v_min_u32_e32 v57, 32, v54
	v_subrev_u32_e32 v54, 28, v57
	v_lshlrev_b64 v[54:55], v54, v[22:23]
	v_and_b32_e32 v54, 7, v54
	v_cmp_gt_u32_e32 vcc, 8, v24
	v_lshrrev_b32_e32 v56, 3, v24
	v_sub_u32_e32 v22, 29, v57
	v_cndmask_b32_e32 v24, v44, v54, vcc
	v_mov_b32_e32 v44, 24
	v_cndmask_b32_e32 v22, v56, v22, vcc
	v_lshlrev_b32_sdwa v44, v44, v25 dst_sel:DWORD dst_unused:UNUSED_PAD src0_sel:DWORD src1_sel:WORD_1
	v_bfrev_b32_e32 v54, 60
	v_lshlrev_b32_e32 v24, 20, v24
	v_and_b32_e32 v44, 0x80000000, v44
	v_lshl_add_u32 v22, v22, 23, v54
	v_or3_b32 v22, v44, v22, v24
	v_lshrrev_b32_e32 v54, 16, v22
.LBB871_389:
	s_or_b64 exec, exec, s[10:11]
.LBB871_390:
	s_or_b64 exec, exec, s[8:9]
.LBB871_391:
	s_or_b64 exec, exec, s[2:3]
	s_mov_b32 s2, 0xffffff
	v_and_b32_e32 v44, 63, v0
	v_cmp_lt_u32_e32 vcc, s2, v25
	v_mov_b32_e32 v55, 0
	s_and_saveexec_b64 s[2:3], vcc
	s_cbranch_execz .LBB871_397
; %bb.392:
	v_lshrrev_b32_e32 v22, 24, v25
	s_movk_i32 s8, 0x80
	v_cmp_ne_u32_e32 vcc, s8, v22
	v_mov_b32_e32 v55, 0xffff8000
	s_and_saveexec_b64 s[8:9], vcc
	s_cbranch_execz .LBB871_396
; %bb.393:
	v_bfe_u32 v24, v25, 24, 7
	s_movk_i32 s10, 0x7f
	v_cmp_ne_u32_e32 vcc, s10, v24
	v_mov_b32_e32 v55, 0x7f80
	s_and_saveexec_b64 s[10:11], vcc
	s_cbranch_execz .LBB871_395
; %bb.394:
	v_and_b32_e32 v25, 7, v22
	v_ffbh_u32_e32 v56, v25
	v_min_u32_e32 v58, 32, v56
	v_subrev_u32_e32 v56, 28, v58
	v_lshlrev_b64 v[56:57], v56, v[22:23]
	v_lshrrev_b32_e32 v55, 3, v24
	v_sub_u32_e32 v57, 29, v58
	v_and_b32_e32 v56, 7, v56
	v_cmp_gt_u32_e32 vcc, 8, v24
	v_cndmask_b32_e32 v24, v55, v57, vcc
	v_cndmask_b32_e32 v25, v25, v56, vcc
	v_lshlrev_b32_e32 v22, 24, v22
	v_bfrev_b32_e32 v55, 60
	v_lshlrev_b32_e32 v25, 20, v25
	v_and_b32_e32 v22, 0x80000000, v22
	v_lshl_add_u32 v24, v24, 23, v55
	v_or3_b32 v22, v22, v24, v25
	v_lshrrev_b32_e32 v55, 16, v22
.LBB871_395:
	s_or_b64 exec, exec, s[10:11]
.LBB871_396:
	s_or_b64 exec, exec, s[8:9]
.LBB871_397:
	s_or_b64 exec, exec, s[2:3]
	s_mov_b32 s3, 0x5040100
	v_perm_b32 v43, v52, v43, s3
	v_perm_b32 v42, v23, v42, s3
	s_load_dword s2, s[4:5], 0x1c
	s_mov_b32 s46, 0xff7fffff
	s_waitcnt lgkmcnt(0)
	v_mfma_f32_16x16x16bf16_1k v[26:29], v[42:43], v[18:19], v[26:29]
	v_perm_b32 v19, v55, v54, s3
	v_perm_b32 v18, v53, v45, s3
	v_mov_b32_e32 v22, s2
	v_mul_f32_e32 v52, s12, v22
	v_pk_mul_f32 v[22:23], v[52:53], v[32:33] op_sel_hi:[0,1]
	v_pk_mul_f32 v[32:33], v[52:53], v[38:39] op_sel_hi:[0,1]
	v_and_b32_e32 v38, 0xc0, v0
	v_mfma_f32_16x16x16bf16_1k v[26:29], v[18:19], v[20:21], v[26:29]
	v_add_u32_e32 v38, s18, v38
	v_lshl_or_b32 v38, v1, 2, v38
	v_or_b32_e32 v39, 1, v38
	v_pk_mul_f32 v[24:25], v[52:53], v[30:31] op_sel_hi:[0,1]
	v_pk_mul_f32 v[30:31], v[52:53], v[40:41] op_sel_hi:[0,1]
	v_subrev_u32_e32 v40, s33, v39
	v_pk_mul_f32 v[34:35], v[52:53], v[34:35] op_sel_hi:[0,1]
	s_nop 3
	v_pk_mul_f32 v[20:21], v[52:53], v[26:27] op_sel_hi:[0,1]
	v_add_u32_e32 v27, 1, v40
	v_pk_mul_f32 v[18:19], v[52:53], v[28:29] op_sel_hi:[0,1]
	v_cvt_f32_i32_e32 v27, v27
	v_add_u32_e32 v29, 3, v40
	v_cvt_f32_i32_e32 v29, v29
	v_cvt_f32_i32_e32 v26, v40
	v_pk_mul_f32 v[36:37], v[52:53], v[36:37] op_sel_hi:[0,1]
	v_fmac_f32_e32 v35, v51, v27
	v_add_u32_e32 v27, 16, v40
	v_fmac_f32_e32 v37, v51, v29
	v_cvt_f32_i32_e32 v27, v27
	v_add_u32_e32 v29, 17, v40
	v_fma_f32 v26, v51, v26, v34
	v_cvt_f32_i32_e32 v29, v29
	v_add_u32_e32 v34, 18, v40
	v_cvt_f32_i32_e32 v34, v34
	v_fma_f32 v41, v51, v27, v32
	v_add_u32_e32 v27, 32, v40
	v_fmac_f32_e32 v33, v51, v29
	v_cvt_f32_i32_e32 v27, v27
	v_add_u32_e32 v29, 33, v40
	v_add_u32_e32 v32, 34, v40
	v_fma_f32 v30, v51, v34, v30
	v_cvt_f32_i32_e32 v29, v29
	v_cvt_f32_i32_e32 v32, v32
	v_add_u32_e32 v34, 35, v40
	v_cvt_f32_i32_e32 v34, v34
	v_fma_f32 v24, v51, v27, v24
	v_add_u32_e32 v27, 48, v40
	v_fmac_f32_e32 v25, v51, v29
	v_fma_f32 v22, v51, v32, v22
	v_cvt_f32_i32_e32 v27, v27
	v_add_u32_e32 v29, 49, v40
	v_add_u32_e32 v32, 50, v40
	v_fmac_f32_e32 v23, v51, v34
	v_cvt_f32_i32_e32 v29, v29
	v_cvt_f32_i32_e32 v32, v32
	v_add_u32_e32 v34, 51, v40
	v_add_u32_e32 v28, 2, v40
	v_cvt_f32_i32_e32 v34, v34
	v_cvt_f32_i32_e32 v28, v28
	v_fma_f32 v20, v51, v27, v20
	v_mov_b32_e32 v27, 0xff7fffff
	v_cmp_gt_i32_e64 s[26:27], s33, v38
	v_cmp_gt_i32_e64 s[28:29], s33, v39
	v_fmac_f32_e32 v21, v51, v29
	v_fma_f32 v18, v51, v32, v18
	v_cndmask_b32_e64 v29, v27, v26, s[26:27]
	v_cndmask_b32_e64 v32, v27, v35, s[28:29]
	v_fmac_f32_e32 v19, v51, v34
	v_max3_f32 v29, v29, s46, v32
	v_or_b32_e32 v32, 2, v38
	v_or_b32_e32 v34, 3, v38
	v_fma_f32 v28, v51, v28, v36
	v_cmp_gt_i32_e64 s[30:31], s33, v32
	v_cmp_gt_i32_e64 s[34:35], s33, v34
	v_add_u32_e32 v36, 19, v40
	v_cndmask_b32_e64 v32, v27, v28, s[30:31]
	v_cndmask_b32_e64 v34, v27, v37, s[34:35]
	v_cvt_f32_i32_e32 v36, v36
	v_max3_f32 v29, v29, v32, v34
	v_or_b32_e32 v32, 16, v38
	v_or_b32_e32 v34, 17, v38
	v_cmp_gt_i32_e64 s[36:37], s33, v32
	v_cmp_gt_i32_e64 s[38:39], s33, v34
	v_cndmask_b32_e64 v32, v27, v41, s[36:37]
	v_cndmask_b32_e64 v34, v27, v33, s[38:39]
	v_max3_f32 v29, v29, v32, v34
	v_or_b32_e32 v32, 18, v38
	v_or_b32_e32 v34, 19, v38
	v_fmac_f32_e32 v31, v51, v36
	v_cmp_gt_i32_e64 s[20:21], s33, v32
	v_cmp_gt_i32_e64 s[22:23], s33, v34
	v_cndmask_b32_e64 v32, v27, v30, s[20:21]
	v_cndmask_b32_e64 v34, v27, v31, s[22:23]
	v_max3_f32 v29, v29, v32, v34
	v_or_b32_e32 v32, 32, v38
	v_or_b32_e32 v34, 33, v38
	v_cmp_gt_i32_e64 s[16:17], s33, v32
	v_cmp_gt_i32_e64 s[18:19], s33, v34
	v_cndmask_b32_e64 v32, v27, v24, s[16:17]
	v_cndmask_b32_e64 v34, v27, v25, s[18:19]
	v_max3_f32 v29, v29, v32, v34
	v_or_b32_e32 v32, 34, v38
	v_or_b32_e32 v34, 35, v38
	;; [unrolled: 7-line block ×4, first 2 shown]
	v_cmp_gt_i32_e32 vcc, s33, v32
	v_cmp_gt_i32_e64 s[2:3], s33, v34
	v_cndmask_b32_e32 v32, v27, v18, vcc
	v_cndmask_b32_e64 v27, v27, v19, s[2:3]
	v_max3_f32 v27, v29, v32, v27
	v_mbcnt_lo_u32_b32 v29, -1, 0
	v_mbcnt_hi_u32_b32 v29, -1, v29
	v_and_b32_e32 v32, 64, v29
	v_add_u32_e32 v32, 64, v32
	v_xor_b32_e32 v34, 32, v29
	v_cmp_lt_i32_e64 s[40:41], v34, v32
	v_cndmask_b32_e64 v34, v29, v34, s[40:41]
	v_lshlrev_b32_e32 v36, 2, v34
	ds_bpermute_b32 v34, v36, v27
	s_barrier
	s_waitcnt lgkmcnt(0)
	v_max_f32_e32 v34, v34, v34
	v_max_f32_e32 v27, v27, v34
	v_xor_b32_e32 v34, 16, v29
	v_cmp_lt_i32_e64 s[40:41], v34, v32
	v_cndmask_b32_e64 v29, v29, v34, s[40:41]
	v_lshlrev_b32_e32 v38, 2, v29
	ds_bpermute_b32 v29, v38, v27
	s_waitcnt lgkmcnt(0)
	v_max_f32_e32 v29, v29, v29
	v_max_f32_e32 v32, v27, v29
	v_sub_f32_e32 v26, v26, v32
	v_mul_f32_e32 v26, 0x3fb8aa3b, v26
	v_sub_f32_e32 v27, v35, v32
	v_exp_f32_e32 v26, v26
	v_mul_f32_e32 v27, 0x3fb8aa3b, v27
	v_sub_f32_e32 v28, v28, v32
	v_exp_f32_e32 v27, v27
	v_mul_f32_e32 v28, 0x3fb8aa3b, v28
	v_exp_f32_e32 v28, v28
	v_cndmask_b32_e64 v26, 0, v26, s[26:27]
	v_sub_f32_e32 v34, v37, v32
	v_add_f32_e32 v29, 0, v26
	v_cndmask_b32_e64 v27, 0, v27, s[28:29]
	v_mul_f32_e32 v34, 0x3fb8aa3b, v34
	v_exp_f32_e32 v35, v34
	v_add_f32_e32 v29, v29, v27
	v_cndmask_b32_e64 v34, 0, v28, s[30:31]
	v_add_f32_e32 v28, v29, v34
	v_sub_f32_e32 v29, v41, v32
	v_mul_f32_e32 v29, 0x3fb8aa3b, v29
	v_sub_f32_e32 v33, v33, v32
	v_exp_f32_e32 v29, v29
	v_mul_f32_e32 v33, 0x3fb8aa3b, v33
	v_sub_f32_e32 v30, v30, v32
	v_exp_f32_e32 v33, v33
	;; [unrolled: 3-line block ×3, first 2 shown]
	v_mul_f32_e32 v31, 0x3fb8aa3b, v31
	v_sub_f32_e32 v24, v24, v32
	v_cndmask_b32_e64 v35, 0, v35, s[34:35]
	v_exp_f32_e32 v31, v31
	v_mul_f32_e32 v24, 0x3fb8aa3b, v24
	v_sub_f32_e32 v25, v25, v32
	v_add_f32_e32 v37, v28, v35
	v_cndmask_b32_e64 v28, 0, v29, s[36:37]
	v_exp_f32_e32 v24, v24
	v_mul_f32_e32 v25, 0x3fb8aa3b, v25
	v_sub_f32_e32 v22, v22, v32
	v_add_f32_e32 v37, v37, v28
	;; [unrolled: 5-line block ×7, first 2 shown]
	v_cndmask_b32_e64 v22, 0, v22, s[12:13]
	v_exp_f32_e32 v18, v18
	v_mul_f32_e32 v19, 0x3fb8aa3b, v19
	v_add_f32_e32 v33, v33, v22
	v_cndmask_b32_e64 v23, 0, v23, s[14:15]
	v_exp_f32_e32 v19, v19
	v_add_f32_e32 v33, v33, v23
	v_cndmask_b32_e64 v20, 0, v20, s[8:9]
	v_add_f32_e32 v33, v33, v20
	v_cndmask_b32_e64 v21, 0, v21, s[10:11]
	v_add_f32_e32 v33, v33, v21
	v_cndmask_b32_e32 v18, 0, v18, vcc
	v_add_f32_e32 v33, v33, v18
	v_cndmask_b32_e64 v19, 0, v19, s[2:3]
	v_add_f32_e32 v33, v33, v19
	ds_bpermute_b32 v36, v36, v33
	v_cmp_gt_u32_e32 vcc, 16, v44
	s_waitcnt lgkmcnt(0)
	v_add_f32_e32 v36, v33, v36
	ds_bpermute_b32 v37, v38, v36
	v_lshlrev_b32_e32 v33, 2, v49
	s_and_saveexec_b64 s[2:3], vcc
	s_cbranch_execz .LBB871_399
; %bb.398:
	s_waitcnt lgkmcnt(0)
	v_add_f32_e32 v36, v36, v37
	v_lshl_or_b32 v37, v50, 6, v33
	ds_write2st64_b32 v37, v32, v36 offset1:1
.LBB871_399:
	s_or_b64 exec, exec, s[2:3]
	s_waitcnt lgkmcnt(0)
	s_barrier
	ds_read2_b32 v[36:37], v33 offset1:16
	ds_read2_b32 v[38:39], v33 offset0:32 offset1:48
	ds_read2_b32 v[40:41], v33 offset0:64 offset1:80
	s_mul_i32 s12, s45, 10
	s_waitcnt lgkmcnt(2)
	v_max3_f32 v32, v36, s46, v37
	s_waitcnt lgkmcnt(1)
	v_max3_f32 v32, v32, v38, v39
	v_sub_f32_e32 v36, v36, v32
	v_mul_f32_e32 v36, 0x3fb8aa3b, v36
	v_exp_f32_e32 v42, v36
	v_sub_f32_e32 v36, v37, v32
	v_mul_f32_e32 v36, 0x3fb8aa3b, v36
	v_exp_f32_e32 v43, v36
	;; [unrolled: 3-line block ×3, first 2 shown]
	ds_read2_b32 v[36:37], v33 offset0:96 offset1:112
	v_sub_f32_e32 v33, v39, v32
	v_mul_f32_e32 v33, 0x3fb8aa3b, v33
	v_exp_f32_e32 v39, v33
	s_waitcnt lgkmcnt(1)
	v_fma_f32 v33, v42, v40, 0
	v_fmac_f32_e32 v33, v43, v41
	s_waitcnt lgkmcnt(0)
	v_fmac_f32_e32 v33, v38, v36
	v_fmac_f32_e32 v33, v39, v37
	v_add_f32_e32 v36, 0x358637bd, v33
	v_div_scale_f32 v37, s[2:3], v36, v36, 1.0
	v_rcp_f32_e32 v40, v37
	s_movk_i32 s2, 0x7fff
	s_mov_b32 s3, 0x7060302
	v_fma_f32 v41, -v37, v40, 1.0
	v_fmac_f32_e32 v40, v41, v40
	v_div_scale_f32 v41, vcc, 1.0, v36, 1.0
	v_mul_f32_e32 v44, v41, v40
	v_fma_f32 v45, -v37, v44, v41
	v_fmac_f32_e32 v44, v45, v40
	v_fma_f32 v37, -v37, v44, v41
	v_div_fmas_f32 v37, v37, v40, v44
	v_cmp_eq_u32_e32 vcc, 1, v50
	v_div_fixup_f32 v36, v37, v36, 1.0
	v_cndmask_b32_e32 v37, v42, v43, vcc
	v_cmp_eq_u32_e32 vcc, 2, v50
	v_cndmask_b32_e32 v37, v37, v38, vcc
	v_cmp_eq_u32_e32 vcc, 3, v50
	v_cndmask_b32_e32 v37, v37, v39, vcc
	v_mul_f32_e32 v36, v37, v36
	v_pk_mul_f32 v[26:27], v[36:37], v[26:27] op_sel_hi:[0,1]
	v_pk_mul_f32 v[34:35], v[36:37], v[34:35] op_sel_hi:[0,1]
	v_bfe_u32 v37, v27, 16, 1
	v_bfe_u32 v38, v26, 16, 1
	v_add3_u32 v26, v26, v38, s2
	v_add3_u32 v27, v27, v37, s2
	v_perm_b32 v38, v27, v26, s3
	v_bfe_u32 v26, v35, 16, 1
	v_bfe_u32 v27, v34, 16, 1
	v_add3_u32 v27, v34, v27, s2
	v_add3_u32 v26, v35, v26, s2
	v_perm_b32 v39, v26, v27, s3
	v_lshlrev_b32_e32 v26, 3, v1
	v_lshlrev_b32_e32 v27, 11, v50
	v_pk_mul_f32 v[28:29], v[36:37], v[28:29] op_sel_hi:[0,1]
	v_or3_b32 v26, v27, v48, v26
	v_bfe_u32 v27, v29, 16, 1
	v_bfe_u32 v34, v28, 16, 1
	v_pk_mul_f32 v[30:31], v[36:37], v[30:31] op_sel_hi:[0,1]
	v_add3_u32 v28, v28, v34, s2
	v_add3_u32 v27, v29, v27, s2
	v_perm_b32 v28, v27, v28, s3
	v_bfe_u32 v27, v31, 16, 1
	v_bfe_u32 v29, v30, 16, 1
	v_add3_u32 v29, v30, v29, s2
	v_add3_u32 v27, v31, v27, s2
	v_perm_b32 v29, v27, v29, s3
	v_pk_mul_f32 v[24:25], v[36:37], v[24:25] op_sel_hi:[0,1]
	s_barrier
	ds_write2st64_b64 v26, v[38:39], v[28:29] offset1:1
	v_bfe_u32 v27, v25, 16, 1
	v_bfe_u32 v28, v24, 16, 1
	v_pk_mul_f32 v[22:23], v[36:37], v[22:23] op_sel_hi:[0,1]
	v_add3_u32 v24, v24, v28, s2
	v_add3_u32 v25, v25, v27, s2
	v_perm_b32 v24, v25, v24, s3
	v_bfe_u32 v25, v23, 16, 1
	v_bfe_u32 v27, v22, 16, 1
	v_add3_u32 v22, v22, v27, s2
	v_add3_u32 v23, v23, v25, s2
	v_pk_mul_f32 v[20:21], v[36:37], v[20:21] op_sel_hi:[0,1]
	v_perm_b32 v25, v23, v22, s3
	v_bfe_u32 v22, v21, 16, 1
	v_bfe_u32 v23, v20, 16, 1
	v_pk_mul_f32 v[18:19], v[36:37], v[18:19] op_sel_hi:[0,1]
	v_add3_u32 v20, v20, v23, s2
	v_add3_u32 v21, v21, v22, s2
	v_perm_b32 v20, v21, v20, s3
	v_bfe_u32 v21, v19, 16, 1
	v_bfe_u32 v22, v18, 16, 1
	v_add3_u32 v18, v18, v22, s2
	v_add3_u32 v19, v19, v21, s2
	v_perm_b32 v21, v19, v18, s3
	v_cmp_gt_u32_e32 vcc, 10, v0
	ds_write2st64_b64 v26, v[24:25], v[20:21] offset0:2 offset1:3
	s_and_saveexec_b64 s[2:3], vcc
	s_cbranch_execz .LBB871_401
; %bb.400:
	v_add_co_u32_e32 v20, vcc, s25, v49
	v_addc_co_u32_e64 v21, s[14:15], 0, 0, vcc
	v_mov_b32_e32 v18, s12
	v_mov_b32_e32 v19, 0
	v_mad_u64_u32 v[20:21], s[14:15], s6, v18, v[20:21]
	v_mov_b32_e32 v18, s24
	s_load_dwordx4 s[8:11], s[4:5], 0x58
	s_mul_i32 s7, s7, s12
	v_mad_u64_u32 v[18:19], s[14:15], v20, s44, v[18:19]
	v_add_u32_e32 v21, s7, v21
	v_mov_b32_e32 v20, v19
	v_mad_u64_u32 v[20:21], s[14:15], v21, s44, v[20:21]
	v_mov_b32_e32 v19, v20
	v_lshlrev_b64 v[18:19], 2, v[18:19]
	s_waitcnt lgkmcnt(0)
	v_mov_b32_e32 v21, s11
	v_add_co_u32_e32 v20, vcc, s10, v18
	v_addc_co_u32_e32 v21, vcc, v21, v19, vcc
	global_store_dword v[20:21], v32, off
	v_mov_b32_e32 v20, s9
	v_add_co_u32_e32 v18, vcc, s8, v18
	v_addc_co_u32_e32 v19, vcc, v20, v19, vcc
	global_store_dword v[18:19], v33, off
.LBB871_401:
	s_or_b64 exec, exec, s[2:3]
	v_mov_b32_e32 v19, 0
	s_waitcnt vmcnt(3)
	v_cmp_ne_u16_sdwa s[8:9], v14, v19 src0_sel:BYTE_0 src1_sel:DWORD
	v_mov_b32_e32 v20, 0
	s_waitcnt lgkmcnt(0)
	s_barrier
	s_and_saveexec_b64 s[2:3], s[8:9]
	s_cbranch_execz .LBB871_407
; %bb.402:
	s_movk_i32 s7, 0x80
	v_cmp_ne_u16_sdwa s[10:11], v14, s7 src0_sel:BYTE_0 src1_sel:DWORD
	v_mov_b32_e32 v20, 0xffff8000
	s_and_saveexec_b64 s[8:9], s[10:11]
	s_cbranch_execz .LBB871_406
; %bb.403:
	s_movk_i32 s7, 0x7f
	v_and_b32_e32 v18, 0x7f, v14
	v_cmp_ne_u32_e32 vcc, s7, v18
	v_mov_b32_e32 v20, 0x7f80
	s_and_saveexec_b64 s[10:11], vcc
	s_cbranch_execz .LBB871_405
; %bb.404:
	v_and_b32_e32 v22, 7, v14
	v_ffbh_u32_e32 v20, v22
	v_min_u32_e32 v24, 32, v20
	v_subrev_u32_e32 v20, 28, v24
	v_lshlrev_b64 v[20:21], v20, v[14:15]
	v_lshrrev_b32_e32 v23, 3, v18
	v_sub_u32_e32 v21, 29, v24
	v_and_b32_e32 v20, 7, v20
	v_cmp_gt_u32_e32 vcc, 8, v18
	v_cndmask_b32_e32 v18, v23, v21, vcc
	v_cndmask_b32_e32 v20, v22, v20, vcc
	v_lshlrev_b32_e32 v21, 24, v14
	v_bfrev_b32_e32 v22, 60
	v_lshlrev_b32_e32 v20, 20, v20
	v_and_b32_e32 v21, 0x80000000, v21
	v_lshl_add_u32 v18, v18, 23, v22
	v_or3_b32 v18, v21, v18, v20
	v_lshrrev_b32_e32 v20, 16, v18
.LBB871_405:
	s_or_b64 exec, exec, s[10:11]
.LBB871_406:
	s_or_b64 exec, exec, s[8:9]
.LBB871_407:
	s_or_b64 exec, exec, s[2:3]
	v_lshrrev_b16_e32 v18, 8, v14
	v_cmp_ne_u16_e32 vcc, 0, v18
	s_and_saveexec_b64 s[2:3], vcc
	s_cbranch_execz .LBB871_413
; %bb.408:
	s_movk_i32 s7, 0x80
	v_cmp_ne_u16_e32 vcc, s7, v18
	v_mov_b32_e32 v19, 0xffff8000
	s_and_saveexec_b64 s[8:9], vcc
	s_cbranch_execz .LBB871_412
; %bb.409:
	s_movk_i32 s7, 0x7f
	v_and_b32_e32 v21, 0x7f, v18
	v_cmp_ne_u32_e32 vcc, s7, v21
	v_mov_b32_e32 v19, 0x7f80
	s_and_saveexec_b64 s[10:11], vcc
	s_cbranch_execz .LBB871_411
; %bb.410:
	v_and_b32_e32 v22, 7, v18
	v_ffbh_u32_e32 v19, v22
	v_min_u32_e32 v24, 32, v19
	v_subrev_u32_e32 v19, 28, v24
	v_lshlrev_b64 v[18:19], v19, v[18:19]
	v_lshrrev_b32_e32 v23, 3, v21
	v_sub_u32_e32 v19, 29, v24
	v_and_b32_e32 v18, 7, v18
	v_cmp_gt_u32_e32 vcc, 8, v21
	v_cndmask_b32_e32 v19, v23, v19, vcc
	v_cndmask_b32_e32 v18, v22, v18, vcc
	v_lshlrev_b32_e32 v21, 16, v14
	v_bfrev_b32_e32 v22, 60
	v_lshlrev_b32_e32 v18, 20, v18
	v_and_b32_e32 v21, 0x80000000, v21
	v_lshl_add_u32 v19, v19, 23, v22
	v_or3_b32 v18, v21, v19, v18
	v_lshrrev_b32_e32 v19, 16, v18
.LBB871_411:
	s_or_b64 exec, exec, s[10:11]
.LBB871_412:
	s_or_b64 exec, exec, s[8:9]
.LBB871_413:
	s_or_b64 exec, exec, s[2:3]
	s_movk_i32 s2, 0xff
	v_and_b32_sdwa v23, v14, s2 dst_sel:DWORD dst_unused:UNUSED_PAD src0_sel:WORD_1 src1_sel:DWORD
	v_lshrrev_b32_e32 v18, 16, v14
	v_cmp_ne_u16_e32 vcc, 0, v23
	v_mov_b32_e32 v21, 0
	v_mov_b32_e32 v22, 0
	s_and_saveexec_b64 s[2:3], vcc
	s_cbranch_execz .LBB871_419
; %bb.414:
	s_movk_i32 s7, 0x80
	v_cmp_ne_u16_e32 vcc, s7, v23
	v_mov_b32_e32 v22, 0xffff8000
	s_and_saveexec_b64 s[8:9], vcc
	s_cbranch_execz .LBB871_418
; %bb.415:
	v_bfe_u32 v23, v14, 16, 7
	s_movk_i32 s7, 0x7f
	v_cmp_ne_u32_e32 vcc, s7, v23
	v_mov_b32_e32 v22, 0x7f80
	s_and_saveexec_b64 s[10:11], vcc
	s_cbranch_execz .LBB871_417
; %bb.416:
	v_and_b32_e32 v22, 7, v18
	v_ffbh_u32_e32 v24, v22
	v_min_u32_e32 v28, 32, v24
	v_subrev_u32_e32 v24, 28, v28
	v_lshlrev_b64 v[24:25], v24, v[18:19]
	v_lshrrev_b32_e32 v27, 3, v23
	v_sub_u32_e32 v18, 29, v28
	v_and_b32_e32 v24, 7, v24
	v_cmp_gt_u32_e32 vcc, 8, v23
	v_mov_b32_e32 v23, 24
	v_cndmask_b32_e32 v18, v27, v18, vcc
	v_cndmask_b32_e32 v22, v22, v24, vcc
	v_lshlrev_b32_sdwa v23, v23, v14 dst_sel:DWORD dst_unused:UNUSED_PAD src0_sel:DWORD src1_sel:WORD_1
	v_bfrev_b32_e32 v24, 60
	v_lshlrev_b32_e32 v22, 20, v22
	v_and_b32_e32 v23, 0x80000000, v23
	v_lshl_add_u32 v18, v18, 23, v24
	v_or3_b32 v18, v23, v18, v22
	v_lshrrev_b32_e32 v22, 16, v18
.LBB871_417:
	s_or_b64 exec, exec, s[10:11]
.LBB871_418:
	s_or_b64 exec, exec, s[8:9]
.LBB871_419:
	s_or_b64 exec, exec, s[2:3]
	s_mov_b32 s2, 0xffffff
	v_cmp_lt_u32_e32 vcc, s2, v14
	s_and_saveexec_b64 s[2:3], vcc
	s_cbranch_execz .LBB871_425
; %bb.420:
	v_lshrrev_b32_e32 v18, 24, v14
	s_movk_i32 s7, 0x80
	v_cmp_ne_u32_e32 vcc, s7, v18
	v_mov_b32_e32 v21, 0xffff8000
	s_and_saveexec_b64 s[8:9], vcc
	s_cbranch_execz .LBB871_424
; %bb.421:
	v_bfe_u32 v14, v14, 24, 7
	s_movk_i32 s7, 0x7f
	v_cmp_ne_u32_e32 vcc, s7, v14
	v_mov_b32_e32 v21, 0x7f80
	s_and_saveexec_b64 s[10:11], vcc
	s_cbranch_execz .LBB871_423
; %bb.422:
	v_and_b32_e32 v21, 7, v18
	v_ffbh_u32_e32 v24, v21
	v_min_u32_e32 v27, 32, v24
	v_subrev_u32_e32 v24, 28, v27
	v_lshlrev_b64 v[24:25], v24, v[18:19]
	v_lshrrev_b32_e32 v23, 3, v14
	v_sub_u32_e32 v25, 29, v27
	v_and_b32_e32 v24, 7, v24
	v_cmp_gt_u32_e32 vcc, 8, v14
	v_cndmask_b32_e32 v14, v23, v25, vcc
	v_cndmask_b32_e32 v21, v21, v24, vcc
	v_lshlrev_b32_e32 v18, 24, v18
	v_bfrev_b32_e32 v23, 60
	v_lshlrev_b32_e32 v21, 20, v21
	v_and_b32_e32 v18, 0x80000000, v18
	v_lshl_add_u32 v14, v14, 23, v23
	v_or3_b32 v14, v18, v14, v21
	v_lshrrev_b32_e32 v21, 16, v14
.LBB871_423:
	s_or_b64 exec, exec, s[10:11]
.LBB871_424:
	s_or_b64 exec, exec, s[8:9]
.LBB871_425:
	s_or_b64 exec, exec, s[2:3]
	v_mov_b32_e32 v18, 0
	v_cmp_ne_u16_sdwa s[8:9], v15, v18 src0_sel:BYTE_0 src1_sel:DWORD
	v_mov_b32_e32 v23, 0
	s_and_saveexec_b64 s[2:3], s[8:9]
	s_cbranch_execz .LBB871_431
; %bb.426:
	s_movk_i32 s7, 0x80
	v_cmp_ne_u16_sdwa s[10:11], v15, s7 src0_sel:BYTE_0 src1_sel:DWORD
	v_mov_b32_e32 v23, 0xffff8000
	s_and_saveexec_b64 s[8:9], s[10:11]
	s_cbranch_execz .LBB871_430
; %bb.427:
	s_movk_i32 s7, 0x7f
	v_and_b32_e32 v14, 0x7f, v15
	v_cmp_ne_u32_e32 vcc, s7, v14
	v_mov_b32_e32 v23, 0x7f80
	s_and_saveexec_b64 s[10:11], vcc
	s_cbranch_execz .LBB871_429
; %bb.428:
	v_and_b32_e32 v23, 7, v15
	v_ffbh_u32_e32 v25, v23
	v_min_u32_e32 v28, 32, v25
	v_mov_b32_e32 v24, v15
	v_subrev_u32_e32 v25, 28, v28
	v_lshlrev_b64 v[24:25], v25, v[24:25]
	v_lshrrev_b32_e32 v27, 3, v14
	v_sub_u32_e32 v25, 29, v28
	v_and_b32_e32 v24, 7, v24
	v_cmp_gt_u32_e32 vcc, 8, v14
	v_cndmask_b32_e32 v14, v27, v25, vcc
	v_cndmask_b32_e32 v23, v23, v24, vcc
	v_lshlrev_b32_e32 v24, 24, v15
	v_bfrev_b32_e32 v25, 60
	v_lshlrev_b32_e32 v23, 20, v23
	v_and_b32_e32 v24, 0x80000000, v24
	v_lshl_add_u32 v14, v14, 23, v25
	v_or3_b32 v14, v24, v14, v23
	v_lshrrev_b32_e32 v23, 16, v14
.LBB871_429:
	s_or_b64 exec, exec, s[10:11]
.LBB871_430:
	s_or_b64 exec, exec, s[8:9]
.LBB871_431:
	s_or_b64 exec, exec, s[2:3]
	v_lshrrev_b16_e32 v14, 8, v15
	v_cmp_ne_u16_e32 vcc, 0, v14
	s_and_saveexec_b64 s[2:3], vcc
	s_cbranch_execz .LBB871_437
; %bb.432:
	s_movk_i32 s7, 0x80
	v_cmp_ne_u16_e32 vcc, s7, v14
	v_mov_b32_e32 v18, 0xffff8000
	s_and_saveexec_b64 s[8:9], vcc
	s_cbranch_execz .LBB871_436
; %bb.433:
	s_movk_i32 s7, 0x7f
	v_and_b32_e32 v24, 0x7f, v14
	v_cmp_ne_u32_e32 vcc, s7, v24
	v_mov_b32_e32 v18, 0x7f80
	s_and_saveexec_b64 s[10:11], vcc
	s_cbranch_execz .LBB871_435
; %bb.434:
	v_and_b32_e32 v18, 7, v14
	v_ffbh_u32_e32 v27, v18
	v_min_u32_e32 v27, 32, v27
	v_subrev_u32_e32 v28, 28, v27
	v_lshlrev_b64 v[28:29], v28, v[14:15]
	v_lshrrev_b32_e32 v25, 3, v24
	v_sub_u32_e32 v14, 29, v27
	v_and_b32_e32 v27, 7, v28
	v_cmp_gt_u32_e32 vcc, 8, v24
	v_cndmask_b32_e32 v14, v25, v14, vcc
	v_cndmask_b32_e32 v18, v18, v27, vcc
	v_lshlrev_b32_e32 v24, 16, v15
	v_bfrev_b32_e32 v25, 60
	v_lshlrev_b32_e32 v18, 20, v18
	v_and_b32_e32 v24, 0x80000000, v24
	v_lshl_add_u32 v14, v14, 23, v25
	v_or3_b32 v14, v24, v14, v18
	v_lshrrev_b32_e32 v18, 16, v14
.LBB871_435:
	s_or_b64 exec, exec, s[10:11]
.LBB871_436:
	s_or_b64 exec, exec, s[8:9]
.LBB871_437:
	s_or_b64 exec, exec, s[2:3]
	s_movk_i32 s2, 0xff
	v_and_b32_sdwa v27, v15, s2 dst_sel:DWORD dst_unused:UNUSED_PAD src0_sel:WORD_1 src1_sel:DWORD
	v_lshrrev_b32_e32 v14, 16, v15
	v_cmp_ne_u16_e32 vcc, 0, v27
	v_mov_b32_e32 v24, 0
	v_mov_b32_e32 v25, 0
	s_and_saveexec_b64 s[2:3], vcc
	s_cbranch_execz .LBB871_443
; %bb.438:
	s_movk_i32 s7, 0x80
	v_cmp_ne_u16_e32 vcc, s7, v27
	v_mov_b32_e32 v25, 0xffff8000
	s_and_saveexec_b64 s[8:9], vcc
	s_cbranch_execz .LBB871_442
; %bb.439:
	v_bfe_u32 v27, v15, 16, 7
	s_movk_i32 s7, 0x7f
	v_cmp_ne_u32_e32 vcc, s7, v27
	v_mov_b32_e32 v25, 0x7f80
	s_and_saveexec_b64 s[10:11], vcc
	s_cbranch_execz .LBB871_441
; %bb.440:
	v_and_b32_e32 v25, 7, v14
	v_ffbh_u32_e32 v28, v25
	v_min_u32_e32 v31, 32, v28
	v_subrev_u32_e32 v28, 28, v31
	v_lshlrev_b64 v[28:29], v28, v[14:15]
	v_lshrrev_b32_e32 v30, 3, v27
	v_sub_u32_e32 v14, 29, v31
	v_and_b32_e32 v28, 7, v28
	v_cmp_gt_u32_e32 vcc, 8, v27
	v_mov_b32_e32 v27, 24
	v_cndmask_b32_e32 v14, v30, v14, vcc
	v_cndmask_b32_e32 v25, v25, v28, vcc
	v_lshlrev_b32_sdwa v27, v27, v15 dst_sel:DWORD dst_unused:UNUSED_PAD src0_sel:DWORD src1_sel:WORD_1
	v_bfrev_b32_e32 v28, 60
	v_lshlrev_b32_e32 v25, 20, v25
	v_and_b32_e32 v27, 0x80000000, v27
	v_lshl_add_u32 v14, v14, 23, v28
	v_or3_b32 v14, v27, v14, v25
	v_lshrrev_b32_e32 v25, 16, v14
.LBB871_441:
	s_or_b64 exec, exec, s[10:11]
.LBB871_442:
	s_or_b64 exec, exec, s[8:9]
.LBB871_443:
	s_or_b64 exec, exec, s[2:3]
	s_mov_b32 s2, 0xffffff
	v_cmp_lt_u32_e32 vcc, s2, v15
	s_and_saveexec_b64 s[2:3], vcc
	s_cbranch_execz .LBB871_449
; %bb.444:
	v_lshrrev_b32_e32 v14, 24, v15
	s_movk_i32 s7, 0x80
	v_cmp_ne_u32_e32 vcc, s7, v14
	v_mov_b32_e32 v24, 0xffff8000
	s_and_saveexec_b64 s[8:9], vcc
	s_cbranch_execz .LBB871_448
; %bb.445:
	v_bfe_u32 v15, v15, 24, 7
	s_movk_i32 s7, 0x7f
	v_cmp_ne_u32_e32 vcc, s7, v15
	v_mov_b32_e32 v24, 0x7f80
	s_and_saveexec_b64 s[10:11], vcc
	s_cbranch_execz .LBB871_447
; %bb.446:
	v_and_b32_e32 v24, 7, v14
	v_ffbh_u32_e32 v28, v24
	v_min_u32_e32 v30, 32, v28
	v_subrev_u32_e32 v28, 28, v30
	v_lshlrev_b64 v[28:29], v28, v[14:15]
	v_lshrrev_b32_e32 v27, 3, v15
	v_sub_u32_e32 v29, 29, v30
	v_and_b32_e32 v28, 7, v28
	v_cmp_gt_u32_e32 vcc, 8, v15
	v_cndmask_b32_e32 v15, v27, v29, vcc
	v_cndmask_b32_e32 v24, v24, v28, vcc
	v_lshlrev_b32_e32 v14, 24, v14
	v_bfrev_b32_e32 v27, 60
	v_lshlrev_b32_e32 v24, 20, v24
	v_and_b32_e32 v14, 0x80000000, v14
	v_lshl_add_u32 v15, v15, 23, v27
	v_or3_b32 v14, v14, v15, v24
	v_lshrrev_b32_e32 v24, 16, v14
.LBB871_447:
	s_or_b64 exec, exec, s[10:11]
.LBB871_448:
	s_or_b64 exec, exec, s[8:9]
.LBB871_449:
	s_or_b64 exec, exec, s[2:3]
	s_mov_b32 s2, 0x5040100
	v_perm_b32 v15, v21, v22, s2
	v_lshl_or_b32 v22, v1, 9, v48
	v_perm_b32 v14, v19, v20, s2
	ds_read_b128 v[28:31], v22
	v_perm_b32 v19, v24, v25, s2
	v_perm_b32 v18, v18, v23, s2
	s_waitcnt lgkmcnt(0)
	v_mfma_f32_16x16x16bf16_1k v[32:35], v[14:15], v[28:29], 0
	v_mov_b32_e32 v15, 0
	v_cmp_ne_u16_sdwa s[8:9], v16, v15 src0_sel:BYTE_0 src1_sel:DWORD
	v_mov_b32_e32 v23, 0
	v_mfma_f32_16x16x16bf16_1k v[18:21], v[18:19], v[30:31], v[32:35]
	s_and_saveexec_b64 s[2:3], s[8:9]
	s_cbranch_execz .LBB871_455
; %bb.450:
	s_movk_i32 s7, 0x80
	v_cmp_ne_u16_sdwa s[10:11], v16, s7 src0_sel:BYTE_0 src1_sel:DWORD
	v_mov_b32_e32 v23, 0xffff8000
	s_and_saveexec_b64 s[8:9], s[10:11]
	s_cbranch_execz .LBB871_454
; %bb.451:
	s_movk_i32 s7, 0x7f
	v_and_b32_e32 v14, 0x7f, v16
	v_cmp_ne_u32_e32 vcc, s7, v14
	v_mov_b32_e32 v23, 0x7f80
	s_and_saveexec_b64 s[10:11], vcc
	s_cbranch_execz .LBB871_453
; %bb.452:
	v_and_b32_e32 v23, 7, v16
	v_ffbh_u32_e32 v24, v23
	v_min_u32_e32 v28, 32, v24
	v_subrev_u32_e32 v24, 28, v28
	v_lshlrev_b64 v[24:25], v24, v[16:17]
	v_lshrrev_b32_e32 v27, 3, v14
	v_sub_u32_e32 v25, 29, v28
	v_and_b32_e32 v24, 7, v24
	v_cmp_gt_u32_e32 vcc, 8, v14
	v_cndmask_b32_e32 v14, v27, v25, vcc
	v_cndmask_b32_e32 v23, v23, v24, vcc
	v_lshlrev_b32_e32 v24, 24, v16
	v_bfrev_b32_e32 v25, 60
	v_lshlrev_b32_e32 v23, 20, v23
	v_and_b32_e32 v24, 0x80000000, v24
	v_lshl_add_u32 v14, v14, 23, v25
	v_or3_b32 v14, v24, v14, v23
	v_lshrrev_b32_e32 v23, 16, v14
.LBB871_453:
	s_or_b64 exec, exec, s[10:11]
.LBB871_454:
	s_or_b64 exec, exec, s[8:9]
.LBB871_455:
	s_or_b64 exec, exec, s[2:3]
	v_lshrrev_b16_e32 v14, 8, v16
	v_cmp_ne_u16_e32 vcc, 0, v14
	s_and_saveexec_b64 s[2:3], vcc
	s_cbranch_execz .LBB871_461
; %bb.456:
	s_movk_i32 s7, 0x80
	v_cmp_ne_u16_e32 vcc, s7, v14
	v_mov_b32_e32 v15, 0xffff8000
	s_and_saveexec_b64 s[8:9], vcc
	s_cbranch_execz .LBB871_460
; %bb.457:
	s_movk_i32 s7, 0x7f
	v_and_b32_e32 v24, 0x7f, v14
	v_cmp_ne_u32_e32 vcc, s7, v24
	v_mov_b32_e32 v15, 0x7f80
	s_and_saveexec_b64 s[10:11], vcc
	s_cbranch_execz .LBB871_459
; %bb.458:
	v_and_b32_e32 v25, 7, v14
	v_ffbh_u32_e32 v15, v25
	v_min_u32_e32 v28, 32, v15
	v_subrev_u32_e32 v15, 28, v28
	v_lshlrev_b64 v[14:15], v15, v[14:15]
	v_lshrrev_b32_e32 v27, 3, v24
	v_sub_u32_e32 v15, 29, v28
	v_and_b32_e32 v14, 7, v14
	v_cmp_gt_u32_e32 vcc, 8, v24
	v_cndmask_b32_e32 v15, v27, v15, vcc
	v_cndmask_b32_e32 v14, v25, v14, vcc
	v_lshlrev_b32_e32 v24, 16, v16
	v_bfrev_b32_e32 v25, 60
	v_lshlrev_b32_e32 v14, 20, v14
	v_and_b32_e32 v24, 0x80000000, v24
	v_lshl_add_u32 v15, v15, 23, v25
	v_or3_b32 v14, v24, v15, v14
	v_lshrrev_b32_e32 v15, 16, v14
.LBB871_459:
	s_or_b64 exec, exec, s[10:11]
.LBB871_460:
	s_or_b64 exec, exec, s[8:9]
.LBB871_461:
	s_or_b64 exec, exec, s[2:3]
	s_movk_i32 s2, 0xff
	v_and_b32_sdwa v27, v16, s2 dst_sel:DWORD dst_unused:UNUSED_PAD src0_sel:WORD_1 src1_sel:DWORD
	v_lshrrev_b32_e32 v14, 16, v16
	v_cmp_ne_u16_e32 vcc, 0, v27
	v_mov_b32_e32 v24, 0
	v_mov_b32_e32 v25, 0
	s_and_saveexec_b64 s[2:3], vcc
	s_cbranch_execz .LBB871_467
; %bb.462:
	s_movk_i32 s7, 0x80
	v_cmp_ne_u16_e32 vcc, s7, v27
	v_mov_b32_e32 v25, 0xffff8000
	s_and_saveexec_b64 s[8:9], vcc
	s_cbranch_execz .LBB871_466
; %bb.463:
	v_bfe_u32 v27, v16, 16, 7
	s_movk_i32 s7, 0x7f
	v_cmp_ne_u32_e32 vcc, s7, v27
	v_mov_b32_e32 v25, 0x7f80
	s_and_saveexec_b64 s[10:11], vcc
	s_cbranch_execz .LBB871_465
; %bb.464:
	v_and_b32_e32 v25, 7, v14
	v_ffbh_u32_e32 v28, v25
	v_min_u32_e32 v31, 32, v28
	v_subrev_u32_e32 v28, 28, v31
	v_lshlrev_b64 v[28:29], v28, v[14:15]
	v_lshrrev_b32_e32 v30, 3, v27
	v_sub_u32_e32 v14, 29, v31
	v_and_b32_e32 v28, 7, v28
	v_cmp_gt_u32_e32 vcc, 8, v27
	v_mov_b32_e32 v27, 24
	v_cndmask_b32_e32 v14, v30, v14, vcc
	v_cndmask_b32_e32 v25, v25, v28, vcc
	v_lshlrev_b32_sdwa v27, v27, v16 dst_sel:DWORD dst_unused:UNUSED_PAD src0_sel:DWORD src1_sel:WORD_1
	v_bfrev_b32_e32 v28, 60
	v_lshlrev_b32_e32 v25, 20, v25
	v_and_b32_e32 v27, 0x80000000, v27
	v_lshl_add_u32 v14, v14, 23, v28
	v_or3_b32 v14, v27, v14, v25
	v_lshrrev_b32_e32 v25, 16, v14
.LBB871_465:
	s_or_b64 exec, exec, s[10:11]
.LBB871_466:
	s_or_b64 exec, exec, s[8:9]
.LBB871_467:
	s_or_b64 exec, exec, s[2:3]
	s_mov_b32 s2, 0xffffff
	v_cmp_lt_u32_e32 vcc, s2, v16
	s_and_saveexec_b64 s[2:3], vcc
	s_cbranch_execz .LBB871_473
; %bb.468:
	v_lshrrev_b32_e32 v14, 24, v16
	s_movk_i32 s7, 0x80
	v_cmp_ne_u32_e32 vcc, s7, v14
	v_mov_b32_e32 v24, 0xffff8000
	s_and_saveexec_b64 s[8:9], vcc
	s_cbranch_execz .LBB871_472
; %bb.469:
	v_bfe_u32 v16, v16, 24, 7
	s_movk_i32 s7, 0x7f
	v_cmp_ne_u32_e32 vcc, s7, v16
	v_mov_b32_e32 v24, 0x7f80
	s_and_saveexec_b64 s[10:11], vcc
	s_cbranch_execz .LBB871_471
; %bb.470:
	v_and_b32_e32 v24, 7, v14
	v_ffbh_u32_e32 v28, v24
	v_min_u32_e32 v30, 32, v28
	v_subrev_u32_e32 v28, 28, v30
	v_lshlrev_b64 v[28:29], v28, v[14:15]
	v_lshrrev_b32_e32 v27, 3, v16
	v_sub_u32_e32 v29, 29, v30
	v_and_b32_e32 v28, 7, v28
	v_cmp_gt_u32_e32 vcc, 8, v16
	v_cndmask_b32_e32 v16, v27, v29, vcc
	v_cndmask_b32_e32 v24, v24, v28, vcc
	v_lshlrev_b32_e32 v14, 24, v14
	v_bfrev_b32_e32 v27, 60
	v_lshlrev_b32_e32 v24, 20, v24
	v_and_b32_e32 v14, 0x80000000, v14
	v_lshl_add_u32 v16, v16, 23, v27
	v_or3_b32 v14, v14, v16, v24
	v_lshrrev_b32_e32 v24, 16, v14
.LBB871_471:
	s_or_b64 exec, exec, s[10:11]
.LBB871_472:
	s_or_b64 exec, exec, s[8:9]
.LBB871_473:
	s_or_b64 exec, exec, s[2:3]
	v_mov_b32_e32 v16, 0
	v_cmp_ne_u16_sdwa s[8:9], v17, v16 src0_sel:BYTE_0 src1_sel:DWORD
	v_mov_b32_e32 v27, 0
	s_and_saveexec_b64 s[2:3], s[8:9]
	s_cbranch_execz .LBB871_479
; %bb.474:
	s_movk_i32 s7, 0x80
	v_cmp_ne_u16_sdwa s[10:11], v17, s7 src0_sel:BYTE_0 src1_sel:DWORD
	v_mov_b32_e32 v27, 0xffff8000
	s_and_saveexec_b64 s[8:9], s[10:11]
	s_cbranch_execz .LBB871_478
; %bb.475:
	s_movk_i32 s7, 0x7f
	v_and_b32_e32 v14, 0x7f, v17
	v_cmp_ne_u32_e32 vcc, s7, v14
	v_mov_b32_e32 v27, 0x7f80
	s_and_saveexec_b64 s[10:11], vcc
	s_cbranch_execz .LBB871_477
; %bb.476:
	v_and_b32_e32 v27, 7, v17
	v_ffbh_u32_e32 v29, v27
	v_min_u32_e32 v31, 32, v29
	v_mov_b32_e32 v28, v17
	v_subrev_u32_e32 v29, 28, v31
	v_lshlrev_b64 v[28:29], v29, v[28:29]
	v_lshrrev_b32_e32 v30, 3, v14
	v_sub_u32_e32 v29, 29, v31
	v_and_b32_e32 v28, 7, v28
	v_cmp_gt_u32_e32 vcc, 8, v14
	v_cndmask_b32_e32 v14, v30, v29, vcc
	v_cndmask_b32_e32 v27, v27, v28, vcc
	v_lshlrev_b32_e32 v28, 24, v17
	v_bfrev_b32_e32 v29, 60
	v_lshlrev_b32_e32 v27, 20, v27
	v_and_b32_e32 v28, 0x80000000, v28
	v_lshl_add_u32 v14, v14, 23, v29
	v_or3_b32 v14, v28, v14, v27
	v_lshrrev_b32_e32 v27, 16, v14
.LBB871_477:
	s_or_b64 exec, exec, s[10:11]
.LBB871_478:
	s_or_b64 exec, exec, s[8:9]
.LBB871_479:
	s_or_b64 exec, exec, s[2:3]
	v_lshrrev_b16_e32 v14, 8, v17
	v_cmp_ne_u16_e32 vcc, 0, v14
	s_and_saveexec_b64 s[2:3], vcc
	s_cbranch_execz .LBB871_485
; %bb.480:
	s_movk_i32 s7, 0x80
	v_cmp_ne_u16_e32 vcc, s7, v14
	v_mov_b32_e32 v16, 0xffff8000
	s_and_saveexec_b64 s[8:9], vcc
	s_cbranch_execz .LBB871_484
; %bb.481:
	s_movk_i32 s7, 0x7f
	v_and_b32_e32 v28, 0x7f, v14
	v_cmp_ne_u32_e32 vcc, s7, v28
	v_mov_b32_e32 v16, 0x7f80
	s_and_saveexec_b64 s[10:11], vcc
	s_cbranch_execz .LBB871_483
; %bb.482:
	v_and_b32_e32 v16, 7, v14
	v_ffbh_u32_e32 v30, v16
	v_min_u32_e32 v32, 32, v30
	v_subrev_u32_e32 v30, 28, v32
	v_lshlrev_b64 v[30:31], v30, v[14:15]
	v_lshrrev_b32_e32 v29, 3, v28
	v_sub_u32_e32 v14, 29, v32
	v_and_b32_e32 v30, 7, v30
	v_cmp_gt_u32_e32 vcc, 8, v28
	v_cndmask_b32_e32 v14, v29, v14, vcc
	v_cndmask_b32_e32 v16, v16, v30, vcc
	v_lshlrev_b32_e32 v28, 16, v17
	v_bfrev_b32_e32 v29, 60
	v_lshlrev_b32_e32 v16, 20, v16
	v_and_b32_e32 v28, 0x80000000, v28
	v_lshl_add_u32 v14, v14, 23, v29
	v_or3_b32 v14, v28, v14, v16
	v_lshrrev_b32_e32 v16, 16, v14
.LBB871_483:
	s_or_b64 exec, exec, s[10:11]
.LBB871_484:
	s_or_b64 exec, exec, s[8:9]
.LBB871_485:
	s_or_b64 exec, exec, s[2:3]
	s_movk_i32 s2, 0xff
	v_and_b32_sdwa v30, v17, s2 dst_sel:DWORD dst_unused:UNUSED_PAD src0_sel:WORD_1 src1_sel:DWORD
	v_lshrrev_b32_e32 v14, 16, v17
	v_cmp_ne_u16_e32 vcc, 0, v30
	v_mov_b32_e32 v28, 0
	v_mov_b32_e32 v29, 0
	s_and_saveexec_b64 s[2:3], vcc
	s_cbranch_execz .LBB871_491
; %bb.486:
	s_movk_i32 s7, 0x80
	v_cmp_ne_u16_e32 vcc, s7, v30
	v_mov_b32_e32 v29, 0xffff8000
	s_and_saveexec_b64 s[8:9], vcc
	s_cbranch_execz .LBB871_490
; %bb.487:
	v_bfe_u32 v30, v17, 16, 7
	s_movk_i32 s7, 0x7f
	v_cmp_ne_u32_e32 vcc, s7, v30
	v_mov_b32_e32 v29, 0x7f80
	s_and_saveexec_b64 s[10:11], vcc
	s_cbranch_execz .LBB871_489
; %bb.488:
	v_and_b32_e32 v29, 7, v14
	v_ffbh_u32_e32 v32, v29
	v_min_u32_e32 v34, 32, v32
	v_subrev_u32_e32 v32, 28, v34
	v_lshlrev_b64 v[32:33], v32, v[14:15]
	v_lshrrev_b32_e32 v31, 3, v30
	v_sub_u32_e32 v14, 29, v34
	v_and_b32_e32 v32, 7, v32
	v_cmp_gt_u32_e32 vcc, 8, v30
	v_mov_b32_e32 v30, 24
	v_cndmask_b32_e32 v14, v31, v14, vcc
	v_cndmask_b32_e32 v29, v29, v32, vcc
	v_lshlrev_b32_sdwa v30, v30, v17 dst_sel:DWORD dst_unused:UNUSED_PAD src0_sel:DWORD src1_sel:WORD_1
	v_bfrev_b32_e32 v31, 60
	v_lshlrev_b32_e32 v29, 20, v29
	v_and_b32_e32 v30, 0x80000000, v30
	v_lshl_add_u32 v14, v14, 23, v31
	v_or3_b32 v14, v30, v14, v29
	v_lshrrev_b32_e32 v29, 16, v14
.LBB871_489:
	s_or_b64 exec, exec, s[10:11]
.LBB871_490:
	s_or_b64 exec, exec, s[8:9]
.LBB871_491:
	s_or_b64 exec, exec, s[2:3]
	s_mov_b32 s2, 0xffffff
	v_cmp_lt_u32_e32 vcc, s2, v17
	s_and_saveexec_b64 s[2:3], vcc
	s_cbranch_execz .LBB871_497
; %bb.492:
	v_lshrrev_b32_e32 v14, 24, v17
	s_movk_i32 s7, 0x80
	v_cmp_ne_u32_e32 vcc, s7, v14
	v_mov_b32_e32 v28, 0xffff8000
	s_and_saveexec_b64 s[8:9], vcc
	s_cbranch_execz .LBB871_496
; %bb.493:
	v_bfe_u32 v17, v17, 24, 7
	s_movk_i32 s7, 0x7f
	v_cmp_ne_u32_e32 vcc, s7, v17
	v_mov_b32_e32 v28, 0x7f80
	s_and_saveexec_b64 s[10:11], vcc
	s_cbranch_execz .LBB871_495
; %bb.494:
	v_and_b32_e32 v28, 7, v14
	v_ffbh_u32_e32 v30, v28
	v_min_u32_e32 v33, 32, v30
	v_subrev_u32_e32 v30, 28, v33
	v_lshlrev_b64 v[30:31], v30, v[14:15]
	v_lshrrev_b32_e32 v32, 3, v17
	v_sub_u32_e32 v31, 29, v33
	v_and_b32_e32 v30, 7, v30
	v_cmp_gt_u32_e32 vcc, 8, v17
	v_cndmask_b32_e32 v17, v32, v31, vcc
	v_cndmask_b32_e32 v28, v28, v30, vcc
	v_lshlrev_b32_e32 v14, 24, v14
	v_bfrev_b32_e32 v30, 60
	v_lshlrev_b32_e32 v28, 20, v28
	v_and_b32_e32 v14, 0x80000000, v14
	v_lshl_add_u32 v17, v17, 23, v30
	v_or3_b32 v14, v14, v17, v28
	v_lshrrev_b32_e32 v28, 16, v14
.LBB871_495:
	s_or_b64 exec, exec, s[10:11]
.LBB871_496:
	s_or_b64 exec, exec, s[8:9]
.LBB871_497:
	s_or_b64 exec, exec, s[2:3]
	s_mov_b32 s2, 0x5040100
	v_perm_b32 v25, v24, v25, s2
	v_perm_b32 v24, v15, v23, s2
	ds_read_b128 v[30:33], v22 offset:16
	v_perm_b32 v15, v28, v29, s2
	v_perm_b32 v14, v16, v27, s2
	s_waitcnt lgkmcnt(0)
	v_mfma_f32_16x16x16bf16_1k v[34:37], v[24:25], v[30:31], v[18:21]
	s_nop 6
	v_mov_b32_e32 v19, 0
	s_waitcnt vmcnt(2)
	v_cmp_ne_u16_sdwa s[8:9], v10, v19 src0_sel:BYTE_0 src1_sel:DWORD
	v_mfma_f32_16x16x16bf16_1k v[14:17], v[14:15], v[32:33], v[34:37]
	v_mov_b32_e32 v20, 0
	s_and_saveexec_b64 s[2:3], s[8:9]
	s_cbranch_execz .LBB871_503
; %bb.498:
	s_movk_i32 s7, 0x80
	v_cmp_ne_u16_sdwa s[10:11], v10, s7 src0_sel:BYTE_0 src1_sel:DWORD
	v_mov_b32_e32 v20, 0xffff8000
	s_and_saveexec_b64 s[8:9], s[10:11]
	s_cbranch_execz .LBB871_502
; %bb.499:
	s_movk_i32 s7, 0x7f
	v_and_b32_e32 v18, 0x7f, v10
	v_cmp_ne_u32_e32 vcc, s7, v18
	v_mov_b32_e32 v20, 0x7f80
	s_and_saveexec_b64 s[10:11], vcc
	s_cbranch_execz .LBB871_501
; %bb.500:
	v_and_b32_e32 v23, 7, v10
	v_ffbh_u32_e32 v20, v23
	v_min_u32_e32 v25, 32, v20
	v_subrev_u32_e32 v20, 28, v25
	v_lshlrev_b64 v[20:21], v20, v[10:11]
	v_lshrrev_b32_e32 v24, 3, v18
	v_sub_u32_e32 v21, 29, v25
	v_and_b32_e32 v20, 7, v20
	v_cmp_gt_u32_e32 vcc, 8, v18
	v_cndmask_b32_e32 v18, v24, v21, vcc
	v_cndmask_b32_e32 v20, v23, v20, vcc
	v_lshlrev_b32_e32 v21, 24, v10
	v_bfrev_b32_e32 v23, 60
	v_lshlrev_b32_e32 v20, 20, v20
	v_and_b32_e32 v21, 0x80000000, v21
	v_lshl_add_u32 v18, v18, 23, v23
	v_or3_b32 v18, v21, v18, v20
	v_lshrrev_b32_e32 v20, 16, v18
.LBB871_501:
	s_or_b64 exec, exec, s[10:11]
.LBB871_502:
	s_or_b64 exec, exec, s[8:9]
.LBB871_503:
	s_or_b64 exec, exec, s[2:3]
	v_lshrrev_b16_e32 v18, 8, v10
	v_cmp_ne_u16_e32 vcc, 0, v18
	s_and_saveexec_b64 s[2:3], vcc
	s_cbranch_execz .LBB871_509
; %bb.504:
	s_movk_i32 s7, 0x80
	v_cmp_ne_u16_e32 vcc, s7, v18
	v_mov_b32_e32 v19, 0xffff8000
	s_and_saveexec_b64 s[8:9], vcc
	s_cbranch_execz .LBB871_508
; %bb.505:
	s_movk_i32 s7, 0x7f
	v_and_b32_e32 v21, 0x7f, v18
	v_cmp_ne_u32_e32 vcc, s7, v21
	v_mov_b32_e32 v19, 0x7f80
	s_and_saveexec_b64 s[10:11], vcc
	s_cbranch_execz .LBB871_507
; %bb.506:
	v_and_b32_e32 v23, 7, v18
	v_ffbh_u32_e32 v19, v23
	v_min_u32_e32 v25, 32, v19
	v_subrev_u32_e32 v19, 28, v25
	v_lshlrev_b64 v[18:19], v19, v[18:19]
	v_lshrrev_b32_e32 v24, 3, v21
	v_sub_u32_e32 v19, 29, v25
	v_and_b32_e32 v18, 7, v18
	v_cmp_gt_u32_e32 vcc, 8, v21
	v_cndmask_b32_e32 v19, v24, v19, vcc
	v_cndmask_b32_e32 v18, v23, v18, vcc
	v_lshlrev_b32_e32 v21, 16, v10
	v_bfrev_b32_e32 v23, 60
	v_lshlrev_b32_e32 v18, 20, v18
	v_and_b32_e32 v21, 0x80000000, v21
	v_lshl_add_u32 v19, v19, 23, v23
	v_or3_b32 v18, v21, v19, v18
	v_lshrrev_b32_e32 v19, 16, v18
.LBB871_507:
	s_or_b64 exec, exec, s[10:11]
.LBB871_508:
	s_or_b64 exec, exec, s[8:9]
.LBB871_509:
	s_or_b64 exec, exec, s[2:3]
	s_movk_i32 s2, 0xff
	v_and_b32_sdwa v24, v10, s2 dst_sel:DWORD dst_unused:UNUSED_PAD src0_sel:WORD_1 src1_sel:DWORD
	v_lshrrev_b32_e32 v18, 16, v10
	v_cmp_ne_u16_e32 vcc, 0, v24
	v_mov_b32_e32 v21, 0
	v_mov_b32_e32 v23, 0
	s_and_saveexec_b64 s[2:3], vcc
	s_cbranch_execz .LBB871_515
; %bb.510:
	s_movk_i32 s7, 0x80
	v_cmp_ne_u16_e32 vcc, s7, v24
	v_mov_b32_e32 v23, 0xffff8000
	s_and_saveexec_b64 s[8:9], vcc
	s_cbranch_execz .LBB871_514
; %bb.511:
	v_bfe_u32 v24, v10, 16, 7
	s_movk_i32 s7, 0x7f
	v_cmp_ne_u32_e32 vcc, s7, v24
	v_mov_b32_e32 v23, 0x7f80
	s_and_saveexec_b64 s[10:11], vcc
	s_cbranch_execz .LBB871_513
; %bb.512:
	v_and_b32_e32 v23, 7, v18
	v_ffbh_u32_e32 v27, v23
	v_min_u32_e32 v27, 32, v27
	v_subrev_u32_e32 v28, 28, v27
	v_lshlrev_b64 v[28:29], v28, v[18:19]
	v_lshrrev_b32_e32 v25, 3, v24
	v_sub_u32_e32 v18, 29, v27
	v_and_b32_e32 v27, 7, v28
	v_cmp_gt_u32_e32 vcc, 8, v24
	v_mov_b32_e32 v24, 24
	v_cndmask_b32_e32 v18, v25, v18, vcc
	v_cndmask_b32_e32 v23, v23, v27, vcc
	v_lshlrev_b32_sdwa v24, v24, v10 dst_sel:DWORD dst_unused:UNUSED_PAD src0_sel:DWORD src1_sel:WORD_1
	v_bfrev_b32_e32 v25, 60
	v_lshlrev_b32_e32 v23, 20, v23
	v_and_b32_e32 v24, 0x80000000, v24
	v_lshl_add_u32 v18, v18, 23, v25
	v_or3_b32 v18, v24, v18, v23
	v_lshrrev_b32_e32 v23, 16, v18
.LBB871_513:
	s_or_b64 exec, exec, s[10:11]
.LBB871_514:
	s_or_b64 exec, exec, s[8:9]
.LBB871_515:
	s_or_b64 exec, exec, s[2:3]
	s_mov_b32 s2, 0xffffff
	v_cmp_lt_u32_e32 vcc, s2, v10
	s_and_saveexec_b64 s[2:3], vcc
	s_cbranch_execz .LBB871_521
; %bb.516:
	v_lshrrev_b32_e32 v18, 24, v10
	s_movk_i32 s7, 0x80
	v_cmp_ne_u32_e32 vcc, s7, v18
	v_mov_b32_e32 v21, 0xffff8000
	s_and_saveexec_b64 s[8:9], vcc
	s_cbranch_execz .LBB871_520
; %bb.517:
	v_bfe_u32 v10, v10, 24, 7
	s_movk_i32 s7, 0x7f
	v_cmp_ne_u32_e32 vcc, s7, v10
	v_mov_b32_e32 v21, 0x7f80
	s_and_saveexec_b64 s[10:11], vcc
	s_cbranch_execz .LBB871_519
; %bb.518:
	v_and_b32_e32 v21, 7, v18
	v_ffbh_u32_e32 v24, v21
	v_min_u32_e32 v28, 32, v24
	v_subrev_u32_e32 v24, 28, v28
	v_lshlrev_b64 v[24:25], v24, v[18:19]
	v_lshrrev_b32_e32 v27, 3, v10
	v_sub_u32_e32 v25, 29, v28
	v_and_b32_e32 v24, 7, v24
	v_cmp_gt_u32_e32 vcc, 8, v10
	v_cndmask_b32_e32 v10, v27, v25, vcc
	v_cndmask_b32_e32 v21, v21, v24, vcc
	v_lshlrev_b32_e32 v18, 24, v18
	v_bfrev_b32_e32 v24, 60
	v_lshlrev_b32_e32 v21, 20, v21
	v_and_b32_e32 v18, 0x80000000, v18
	v_lshl_add_u32 v10, v10, 23, v24
	v_or3_b32 v10, v18, v10, v21
	v_lshrrev_b32_e32 v21, 16, v10
.LBB871_519:
	s_or_b64 exec, exec, s[10:11]
.LBB871_520:
	s_or_b64 exec, exec, s[8:9]
.LBB871_521:
	s_or_b64 exec, exec, s[2:3]
	v_mov_b32_e32 v18, 0
	v_cmp_ne_u16_sdwa s[8:9], v11, v18 src0_sel:BYTE_0 src1_sel:DWORD
	v_mov_b32_e32 v24, 0
	s_and_saveexec_b64 s[2:3], s[8:9]
	s_cbranch_execz .LBB871_527
; %bb.522:
	s_movk_i32 s7, 0x80
	v_cmp_ne_u16_sdwa s[10:11], v11, s7 src0_sel:BYTE_0 src1_sel:DWORD
	v_mov_b32_e32 v24, 0xffff8000
	s_and_saveexec_b64 s[8:9], s[10:11]
	s_cbranch_execz .LBB871_526
; %bb.523:
	s_movk_i32 s7, 0x7f
	v_and_b32_e32 v10, 0x7f, v11
	v_cmp_ne_u32_e32 vcc, s7, v10
	v_mov_b32_e32 v24, 0x7f80
	s_and_saveexec_b64 s[10:11], vcc
	s_cbranch_execz .LBB871_525
; %bb.524:
	v_and_b32_e32 v27, 7, v11
	v_ffbh_u32_e32 v25, v27
	v_min_u32_e32 v29, 32, v25
	v_mov_b32_e32 v24, v11
	v_subrev_u32_e32 v25, 28, v29
	v_lshlrev_b64 v[24:25], v25, v[24:25]
	v_lshrrev_b32_e32 v28, 3, v10
	v_sub_u32_e32 v25, 29, v29
	v_and_b32_e32 v24, 7, v24
	v_cmp_gt_u32_e32 vcc, 8, v10
	v_cndmask_b32_e32 v10, v28, v25, vcc
	v_cndmask_b32_e32 v24, v27, v24, vcc
	v_lshlrev_b32_e32 v25, 24, v11
	v_bfrev_b32_e32 v27, 60
	v_lshlrev_b32_e32 v24, 20, v24
	v_and_b32_e32 v25, 0x80000000, v25
	v_lshl_add_u32 v10, v10, 23, v27
	v_or3_b32 v10, v25, v10, v24
	v_lshrrev_b32_e32 v24, 16, v10
.LBB871_525:
	s_or_b64 exec, exec, s[10:11]
.LBB871_526:
	s_or_b64 exec, exec, s[8:9]
.LBB871_527:
	s_or_b64 exec, exec, s[2:3]
	v_lshrrev_b16_e32 v10, 8, v11
	v_cmp_ne_u16_e32 vcc, 0, v10
	s_and_saveexec_b64 s[2:3], vcc
	s_cbranch_execz .LBB871_533
; %bb.528:
	s_movk_i32 s7, 0x80
	v_cmp_ne_u16_e32 vcc, s7, v10
	v_mov_b32_e32 v18, 0xffff8000
	s_and_saveexec_b64 s[8:9], vcc
	s_cbranch_execz .LBB871_532
; %bb.529:
	s_movk_i32 s7, 0x7f
	v_and_b32_e32 v25, 0x7f, v10
	v_cmp_ne_u32_e32 vcc, s7, v25
	v_mov_b32_e32 v18, 0x7f80
	s_and_saveexec_b64 s[10:11], vcc
	s_cbranch_execz .LBB871_531
; %bb.530:
	v_and_b32_e32 v18, 7, v10
	v_ffbh_u32_e32 v28, v18
	v_min_u32_e32 v30, 32, v28
	v_subrev_u32_e32 v28, 28, v30
	v_lshlrev_b64 v[28:29], v28, v[10:11]
	v_lshrrev_b32_e32 v27, 3, v25
	v_sub_u32_e32 v10, 29, v30
	v_and_b32_e32 v28, 7, v28
	v_cmp_gt_u32_e32 vcc, 8, v25
	v_cndmask_b32_e32 v10, v27, v10, vcc
	v_cndmask_b32_e32 v18, v18, v28, vcc
	v_lshlrev_b32_e32 v25, 16, v11
	v_bfrev_b32_e32 v27, 60
	v_lshlrev_b32_e32 v18, 20, v18
	v_and_b32_e32 v25, 0x80000000, v25
	v_lshl_add_u32 v10, v10, 23, v27
	v_or3_b32 v10, v25, v10, v18
	v_lshrrev_b32_e32 v18, 16, v10
.LBB871_531:
	s_or_b64 exec, exec, s[10:11]
.LBB871_532:
	s_or_b64 exec, exec, s[8:9]
.LBB871_533:
	s_or_b64 exec, exec, s[2:3]
	s_movk_i32 s2, 0xff
	v_and_b32_sdwa v28, v11, s2 dst_sel:DWORD dst_unused:UNUSED_PAD src0_sel:WORD_1 src1_sel:DWORD
	v_lshrrev_b32_e32 v10, 16, v11
	v_cmp_ne_u16_e32 vcc, 0, v28
	v_mov_b32_e32 v25, 0
	v_mov_b32_e32 v27, 0
	s_and_saveexec_b64 s[2:3], vcc
	s_cbranch_execz .LBB871_539
; %bb.534:
	s_movk_i32 s7, 0x80
	v_cmp_ne_u16_e32 vcc, s7, v28
	v_mov_b32_e32 v27, 0xffff8000
	s_and_saveexec_b64 s[8:9], vcc
	s_cbranch_execz .LBB871_538
; %bb.535:
	v_bfe_u32 v28, v11, 16, 7
	s_movk_i32 s7, 0x7f
	v_cmp_ne_u32_e32 vcc, s7, v28
	v_mov_b32_e32 v27, 0x7f80
	s_and_saveexec_b64 s[10:11], vcc
	s_cbranch_execz .LBB871_537
; %bb.536:
	v_and_b32_e32 v27, 7, v10
	v_ffbh_u32_e32 v30, v27
	v_min_u32_e32 v32, 32, v30
	v_subrev_u32_e32 v30, 28, v32
	v_lshlrev_b64 v[30:31], v30, v[10:11]
	v_lshrrev_b32_e32 v29, 3, v28
	v_sub_u32_e32 v10, 29, v32
	v_and_b32_e32 v30, 7, v30
	v_cmp_gt_u32_e32 vcc, 8, v28
	v_mov_b32_e32 v28, 24
	v_cndmask_b32_e32 v10, v29, v10, vcc
	v_cndmask_b32_e32 v27, v27, v30, vcc
	v_lshlrev_b32_sdwa v28, v28, v11 dst_sel:DWORD dst_unused:UNUSED_PAD src0_sel:DWORD src1_sel:WORD_1
	v_bfrev_b32_e32 v29, 60
	v_lshlrev_b32_e32 v27, 20, v27
	v_and_b32_e32 v28, 0x80000000, v28
	v_lshl_add_u32 v10, v10, 23, v29
	v_or3_b32 v10, v28, v10, v27
	v_lshrrev_b32_e32 v27, 16, v10
.LBB871_537:
	s_or_b64 exec, exec, s[10:11]
.LBB871_538:
	s_or_b64 exec, exec, s[8:9]
.LBB871_539:
	s_or_b64 exec, exec, s[2:3]
	s_mov_b32 s2, 0xffffff
	v_cmp_lt_u32_e32 vcc, s2, v11
	s_and_saveexec_b64 s[2:3], vcc
	s_cbranch_execz .LBB871_545
; %bb.540:
	v_lshrrev_b32_e32 v10, 24, v11
	s_movk_i32 s7, 0x80
	v_cmp_ne_u32_e32 vcc, s7, v10
	v_mov_b32_e32 v25, 0xffff8000
	s_and_saveexec_b64 s[8:9], vcc
	s_cbranch_execz .LBB871_544
; %bb.541:
	v_bfe_u32 v11, v11, 24, 7
	s_movk_i32 s7, 0x7f
	v_cmp_ne_u32_e32 vcc, s7, v11
	v_mov_b32_e32 v25, 0x7f80
	s_and_saveexec_b64 s[10:11], vcc
	s_cbranch_execz .LBB871_543
; %bb.542:
	v_and_b32_e32 v25, 7, v10
	v_ffbh_u32_e32 v28, v25
	v_min_u32_e32 v31, 32, v28
	v_subrev_u32_e32 v28, 28, v31
	v_lshlrev_b64 v[28:29], v28, v[10:11]
	v_lshrrev_b32_e32 v30, 3, v11
	v_sub_u32_e32 v29, 29, v31
	v_and_b32_e32 v28, 7, v28
	v_cmp_gt_u32_e32 vcc, 8, v11
	v_cndmask_b32_e32 v11, v30, v29, vcc
	v_cndmask_b32_e32 v25, v25, v28, vcc
	v_lshlrev_b32_e32 v10, 24, v10
	v_bfrev_b32_e32 v28, 60
	v_lshlrev_b32_e32 v25, 20, v25
	v_and_b32_e32 v10, 0x80000000, v10
	v_lshl_add_u32 v11, v11, 23, v28
	v_or3_b32 v10, v10, v11, v25
	v_lshrrev_b32_e32 v25, 16, v10
.LBB871_543:
	s_or_b64 exec, exec, s[10:11]
.LBB871_544:
	s_or_b64 exec, exec, s[8:9]
.LBB871_545:
	s_or_b64 exec, exec, s[2:3]
	s_mov_b32 s2, 0x5040100
	v_perm_b32 v11, v21, v23, s2
	v_perm_b32 v10, v19, v20, s2
	ds_read_b128 v[28:31], v22 offset:2048
	v_perm_b32 v21, v25, v27, s2
	v_perm_b32 v20, v18, v24, s2
	s_waitcnt lgkmcnt(0)
	v_mfma_f32_16x16x16bf16_1k v[14:17], v[10:11], v[28:29], v[14:17]
	v_mov_b32_e32 v11, 0
	v_cmp_ne_u16_sdwa s[8:9], v12, v11 src0_sel:BYTE_0 src1_sel:DWORD
	v_mov_b32_e32 v18, 0
	v_mfma_f32_16x16x16bf16_1k v[14:17], v[20:21], v[30:31], v[14:17]
	s_and_saveexec_b64 s[2:3], s[8:9]
	s_cbranch_execz .LBB871_551
; %bb.546:
	s_movk_i32 s7, 0x80
	v_cmp_ne_u16_sdwa s[10:11], v12, s7 src0_sel:BYTE_0 src1_sel:DWORD
	v_mov_b32_e32 v18, 0xffff8000
	s_and_saveexec_b64 s[8:9], s[10:11]
	s_cbranch_execz .LBB871_550
; %bb.547:
	s_movk_i32 s7, 0x7f
	v_and_b32_e32 v10, 0x7f, v12
	v_cmp_ne_u32_e32 vcc, s7, v10
	v_mov_b32_e32 v18, 0x7f80
	s_and_saveexec_b64 s[10:11], vcc
	s_cbranch_execz .LBB871_549
; %bb.548:
	v_and_b32_e32 v20, 7, v12
	v_ffbh_u32_e32 v18, v20
	v_min_u32_e32 v23, 32, v18
	v_subrev_u32_e32 v18, 28, v23
	v_lshlrev_b64 v[18:19], v18, v[12:13]
	v_lshrrev_b32_e32 v21, 3, v10
	v_sub_u32_e32 v19, 29, v23
	v_and_b32_e32 v18, 7, v18
	v_cmp_gt_u32_e32 vcc, 8, v10
	v_cndmask_b32_e32 v10, v21, v19, vcc
	v_cndmask_b32_e32 v18, v20, v18, vcc
	v_lshlrev_b32_e32 v19, 24, v12
	v_bfrev_b32_e32 v20, 60
	v_lshlrev_b32_e32 v18, 20, v18
	v_and_b32_e32 v19, 0x80000000, v19
	v_lshl_add_u32 v10, v10, 23, v20
	v_or3_b32 v10, v19, v10, v18
	v_lshrrev_b32_e32 v18, 16, v10
.LBB871_549:
	s_or_b64 exec, exec, s[10:11]
.LBB871_550:
	s_or_b64 exec, exec, s[8:9]
.LBB871_551:
	s_or_b64 exec, exec, s[2:3]
	v_lshrrev_b16_e32 v10, 8, v12
	v_cmp_ne_u16_e32 vcc, 0, v10
	s_and_saveexec_b64 s[2:3], vcc
	s_cbranch_execz .LBB871_557
; %bb.552:
	s_movk_i32 s7, 0x80
	v_cmp_ne_u16_e32 vcc, s7, v10
	v_mov_b32_e32 v11, 0xffff8000
	s_and_saveexec_b64 s[8:9], vcc
	s_cbranch_execz .LBB871_556
; %bb.553:
	s_movk_i32 s7, 0x7f
	v_and_b32_e32 v19, 0x7f, v10
	v_cmp_ne_u32_e32 vcc, s7, v19
	v_mov_b32_e32 v11, 0x7f80
	s_and_saveexec_b64 s[10:11], vcc
	s_cbranch_execz .LBB871_555
; %bb.554:
	v_and_b32_e32 v20, 7, v10
	v_ffbh_u32_e32 v11, v20
	v_min_u32_e32 v23, 32, v11
	v_subrev_u32_e32 v11, 28, v23
	v_lshlrev_b64 v[10:11], v11, v[10:11]
	v_lshrrev_b32_e32 v21, 3, v19
	v_sub_u32_e32 v11, 29, v23
	v_and_b32_e32 v10, 7, v10
	v_cmp_gt_u32_e32 vcc, 8, v19
	v_cndmask_b32_e32 v11, v21, v11, vcc
	v_cndmask_b32_e32 v10, v20, v10, vcc
	v_lshlrev_b32_e32 v19, 16, v12
	v_bfrev_b32_e32 v20, 60
	v_lshlrev_b32_e32 v10, 20, v10
	v_and_b32_e32 v19, 0x80000000, v19
	v_lshl_add_u32 v11, v11, 23, v20
	v_or3_b32 v10, v19, v11, v10
	v_lshrrev_b32_e32 v11, 16, v10
.LBB871_555:
	s_or_b64 exec, exec, s[10:11]
.LBB871_556:
	s_or_b64 exec, exec, s[8:9]
.LBB871_557:
	s_or_b64 exec, exec, s[2:3]
	s_movk_i32 s2, 0xff
	v_and_b32_sdwa v21, v12, s2 dst_sel:DWORD dst_unused:UNUSED_PAD src0_sel:WORD_1 src1_sel:DWORD
	v_lshrrev_b32_e32 v10, 16, v12
	v_cmp_ne_u16_e32 vcc, 0, v21
	v_mov_b32_e32 v19, 0
	v_mov_b32_e32 v20, 0
	s_and_saveexec_b64 s[2:3], vcc
	s_cbranch_execz .LBB871_563
; %bb.558:
	s_movk_i32 s7, 0x80
	v_cmp_ne_u16_e32 vcc, s7, v21
	v_mov_b32_e32 v20, 0xffff8000
	s_and_saveexec_b64 s[8:9], vcc
	s_cbranch_execz .LBB871_562
; %bb.559:
	v_bfe_u32 v21, v12, 16, 7
	s_movk_i32 s7, 0x7f
	v_cmp_ne_u32_e32 vcc, s7, v21
	v_mov_b32_e32 v20, 0x7f80
	s_and_saveexec_b64 s[10:11], vcc
	s_cbranch_execz .LBB871_561
; %bb.560:
	v_and_b32_e32 v20, 7, v10
	v_ffbh_u32_e32 v24, v20
	v_min_u32_e32 v27, 32, v24
	v_subrev_u32_e32 v24, 28, v27
	v_lshlrev_b64 v[24:25], v24, v[10:11]
	v_lshrrev_b32_e32 v23, 3, v21
	v_sub_u32_e32 v10, 29, v27
	v_and_b32_e32 v24, 7, v24
	v_cmp_gt_u32_e32 vcc, 8, v21
	v_mov_b32_e32 v21, 24
	v_cndmask_b32_e32 v10, v23, v10, vcc
	v_cndmask_b32_e32 v20, v20, v24, vcc
	v_lshlrev_b32_sdwa v21, v21, v12 dst_sel:DWORD dst_unused:UNUSED_PAD src0_sel:DWORD src1_sel:WORD_1
	v_bfrev_b32_e32 v23, 60
	v_lshlrev_b32_e32 v20, 20, v20
	v_and_b32_e32 v21, 0x80000000, v21
	v_lshl_add_u32 v10, v10, 23, v23
	v_or3_b32 v10, v21, v10, v20
	v_lshrrev_b32_e32 v20, 16, v10
.LBB871_561:
	s_or_b64 exec, exec, s[10:11]
.LBB871_562:
	s_or_b64 exec, exec, s[8:9]
.LBB871_563:
	s_or_b64 exec, exec, s[2:3]
	s_mov_b32 s2, 0xffffff
	v_cmp_lt_u32_e32 vcc, s2, v12
	s_and_saveexec_b64 s[2:3], vcc
	s_cbranch_execz .LBB871_569
; %bb.564:
	v_lshrrev_b32_e32 v10, 24, v12
	s_movk_i32 s7, 0x80
	v_cmp_ne_u32_e32 vcc, s7, v10
	v_mov_b32_e32 v19, 0xffff8000
	s_and_saveexec_b64 s[8:9], vcc
	s_cbranch_execz .LBB871_568
; %bb.565:
	v_bfe_u32 v12, v12, 24, 7
	s_movk_i32 s7, 0x7f
	v_cmp_ne_u32_e32 vcc, s7, v12
	v_mov_b32_e32 v19, 0x7f80
	s_and_saveexec_b64 s[10:11], vcc
	s_cbranch_execz .LBB871_567
; %bb.566:
	v_and_b32_e32 v19, 7, v10
	v_ffbh_u32_e32 v23, v19
	v_min_u32_e32 v23, 32, v23
	v_subrev_u32_e32 v24, 28, v23
	v_lshlrev_b64 v[24:25], v24, v[10:11]
	v_lshrrev_b32_e32 v21, 3, v12
	v_sub_u32_e32 v23, 29, v23
	v_and_b32_e32 v24, 7, v24
	v_cmp_gt_u32_e32 vcc, 8, v12
	v_cndmask_b32_e32 v12, v21, v23, vcc
	v_cndmask_b32_e32 v19, v19, v24, vcc
	v_lshlrev_b32_e32 v10, 24, v10
	v_bfrev_b32_e32 v21, 60
	v_lshlrev_b32_e32 v19, 20, v19
	v_and_b32_e32 v10, 0x80000000, v10
	v_lshl_add_u32 v12, v12, 23, v21
	v_or3_b32 v10, v10, v12, v19
	v_lshrrev_b32_e32 v19, 16, v10
.LBB871_567:
	s_or_b64 exec, exec, s[10:11]
.LBB871_568:
	s_or_b64 exec, exec, s[8:9]
.LBB871_569:
	s_or_b64 exec, exec, s[2:3]
	v_mov_b32_e32 v12, 0
	v_cmp_ne_u16_sdwa s[8:9], v13, v12 src0_sel:BYTE_0 src1_sel:DWORD
	v_mov_b32_e32 v21, 0
	s_and_saveexec_b64 s[2:3], s[8:9]
	s_cbranch_execz .LBB871_575
; %bb.570:
	s_movk_i32 s7, 0x80
	v_cmp_ne_u16_sdwa s[10:11], v13, s7 src0_sel:BYTE_0 src1_sel:DWORD
	v_mov_b32_e32 v21, 0xffff8000
	s_and_saveexec_b64 s[8:9], s[10:11]
	s_cbranch_execz .LBB871_574
; %bb.571:
	s_movk_i32 s7, 0x7f
	v_and_b32_e32 v10, 0x7f, v13
	v_cmp_ne_u32_e32 vcc, s7, v10
	v_mov_b32_e32 v21, 0x7f80
	s_and_saveexec_b64 s[10:11], vcc
	s_cbranch_execz .LBB871_573
; %bb.572:
	v_and_b32_e32 v21, 7, v13
	v_ffbh_u32_e32 v25, v21
	v_min_u32_e32 v27, 32, v25
	v_mov_b32_e32 v24, v13
	v_subrev_u32_e32 v25, 28, v27
	v_lshlrev_b64 v[24:25], v25, v[24:25]
	v_lshrrev_b32_e32 v23, 3, v10
	v_sub_u32_e32 v25, 29, v27
	v_and_b32_e32 v24, 7, v24
	v_cmp_gt_u32_e32 vcc, 8, v10
	v_cndmask_b32_e32 v10, v23, v25, vcc
	v_cndmask_b32_e32 v21, v21, v24, vcc
	v_lshlrev_b32_e32 v23, 24, v13
	v_bfrev_b32_e32 v24, 60
	v_lshlrev_b32_e32 v21, 20, v21
	v_and_b32_e32 v23, 0x80000000, v23
	v_lshl_add_u32 v10, v10, 23, v24
	v_or3_b32 v10, v23, v10, v21
	v_lshrrev_b32_e32 v21, 16, v10
.LBB871_573:
	s_or_b64 exec, exec, s[10:11]
.LBB871_574:
	s_or_b64 exec, exec, s[8:9]
.LBB871_575:
	s_or_b64 exec, exec, s[2:3]
	v_lshrrev_b16_e32 v10, 8, v13
	v_cmp_ne_u16_e32 vcc, 0, v10
	s_and_saveexec_b64 s[2:3], vcc
	s_cbranch_execz .LBB871_581
; %bb.576:
	s_movk_i32 s7, 0x80
	v_cmp_ne_u16_e32 vcc, s7, v10
	v_mov_b32_e32 v12, 0xffff8000
	s_and_saveexec_b64 s[8:9], vcc
	s_cbranch_execz .LBB871_580
; %bb.577:
	s_movk_i32 s7, 0x7f
	v_and_b32_e32 v23, 0x7f, v10
	v_cmp_ne_u32_e32 vcc, s7, v23
	v_mov_b32_e32 v12, 0x7f80
	s_and_saveexec_b64 s[10:11], vcc
	s_cbranch_execz .LBB871_579
; %bb.578:
	v_and_b32_e32 v12, 7, v10
	v_ffbh_u32_e32 v24, v12
	v_min_u32_e32 v28, 32, v24
	v_subrev_u32_e32 v24, 28, v28
	v_lshlrev_b64 v[24:25], v24, v[10:11]
	v_lshrrev_b32_e32 v27, 3, v23
	v_sub_u32_e32 v10, 29, v28
	v_and_b32_e32 v24, 7, v24
	v_cmp_gt_u32_e32 vcc, 8, v23
	v_cndmask_b32_e32 v10, v27, v10, vcc
	v_cndmask_b32_e32 v12, v12, v24, vcc
	v_lshlrev_b32_e32 v23, 16, v13
	v_bfrev_b32_e32 v24, 60
	v_lshlrev_b32_e32 v12, 20, v12
	v_and_b32_e32 v23, 0x80000000, v23
	v_lshl_add_u32 v10, v10, 23, v24
	v_or3_b32 v10, v23, v10, v12
	v_lshrrev_b32_e32 v12, 16, v10
.LBB871_579:
	s_or_b64 exec, exec, s[10:11]
.LBB871_580:
	s_or_b64 exec, exec, s[8:9]
.LBB871_581:
	s_or_b64 exec, exec, s[2:3]
	s_movk_i32 s2, 0xff
	v_and_b32_sdwa v25, v13, s2 dst_sel:DWORD dst_unused:UNUSED_PAD src0_sel:WORD_1 src1_sel:DWORD
	v_lshrrev_b32_e32 v10, 16, v13
	v_cmp_ne_u16_e32 vcc, 0, v25
	v_mov_b32_e32 v23, 0
	v_mov_b32_e32 v24, 0
	s_and_saveexec_b64 s[2:3], vcc
	s_cbranch_execz .LBB871_587
; %bb.582:
	s_movk_i32 s7, 0x80
	v_cmp_ne_u16_e32 vcc, s7, v25
	v_mov_b32_e32 v24, 0xffff8000
	s_and_saveexec_b64 s[8:9], vcc
	s_cbranch_execz .LBB871_586
; %bb.583:
	v_bfe_u32 v25, v13, 16, 7
	s_movk_i32 s7, 0x7f
	v_cmp_ne_u32_e32 vcc, s7, v25
	v_mov_b32_e32 v24, 0x7f80
	s_and_saveexec_b64 s[10:11], vcc
	s_cbranch_execz .LBB871_585
; %bb.584:
	v_and_b32_e32 v24, 7, v10
	v_ffbh_u32_e32 v28, v24
	v_min_u32_e32 v30, 32, v28
	v_subrev_u32_e32 v28, 28, v30
	v_lshlrev_b64 v[28:29], v28, v[10:11]
	v_lshrrev_b32_e32 v27, 3, v25
	v_sub_u32_e32 v10, 29, v30
	v_and_b32_e32 v28, 7, v28
	v_cmp_gt_u32_e32 vcc, 8, v25
	v_mov_b32_e32 v25, 24
	v_cndmask_b32_e32 v10, v27, v10, vcc
	v_cndmask_b32_e32 v24, v24, v28, vcc
	v_lshlrev_b32_sdwa v25, v25, v13 dst_sel:DWORD dst_unused:UNUSED_PAD src0_sel:DWORD src1_sel:WORD_1
	v_bfrev_b32_e32 v27, 60
	v_lshlrev_b32_e32 v24, 20, v24
	v_and_b32_e32 v25, 0x80000000, v25
	v_lshl_add_u32 v10, v10, 23, v27
	v_or3_b32 v10, v25, v10, v24
	v_lshrrev_b32_e32 v24, 16, v10
.LBB871_585:
	s_or_b64 exec, exec, s[10:11]
.LBB871_586:
	s_or_b64 exec, exec, s[8:9]
.LBB871_587:
	s_or_b64 exec, exec, s[2:3]
	s_mov_b32 s2, 0xffffff
	v_cmp_lt_u32_e32 vcc, s2, v13
	s_and_saveexec_b64 s[2:3], vcc
	s_cbranch_execz .LBB871_593
; %bb.588:
	v_lshrrev_b32_e32 v10, 24, v13
	s_movk_i32 s7, 0x80
	v_cmp_ne_u32_e32 vcc, s7, v10
	v_mov_b32_e32 v23, 0xffff8000
	s_and_saveexec_b64 s[8:9], vcc
	s_cbranch_execz .LBB871_592
; %bb.589:
	v_bfe_u32 v13, v13, 24, 7
	s_movk_i32 s7, 0x7f
	v_cmp_ne_u32_e32 vcc, s7, v13
	v_mov_b32_e32 v23, 0x7f80
	s_and_saveexec_b64 s[10:11], vcc
	s_cbranch_execz .LBB871_591
; %bb.590:
	v_and_b32_e32 v23, 7, v10
	v_ffbh_u32_e32 v27, v23
	v_min_u32_e32 v27, 32, v27
	v_subrev_u32_e32 v28, 28, v27
	v_lshlrev_b64 v[28:29], v28, v[10:11]
	v_lshrrev_b32_e32 v25, 3, v13
	v_sub_u32_e32 v27, 29, v27
	v_and_b32_e32 v28, 7, v28
	v_cmp_gt_u32_e32 vcc, 8, v13
	v_cndmask_b32_e32 v13, v25, v27, vcc
	v_cndmask_b32_e32 v23, v23, v28, vcc
	v_lshlrev_b32_e32 v10, 24, v10
	v_bfrev_b32_e32 v25, 60
	v_lshlrev_b32_e32 v23, 20, v23
	v_and_b32_e32 v10, 0x80000000, v10
	v_lshl_add_u32 v13, v13, 23, v25
	v_or3_b32 v10, v10, v13, v23
	v_lshrrev_b32_e32 v23, 16, v10
.LBB871_591:
	s_or_b64 exec, exec, s[10:11]
.LBB871_592:
	s_or_b64 exec, exec, s[8:9]
.LBB871_593:
	s_or_b64 exec, exec, s[2:3]
	s_mov_b32 s2, 0x5040100
	v_perm_b32 v19, v19, v20, s2
	v_perm_b32 v18, v11, v18, s2
	ds_read_b128 v[28:31], v22 offset:2064
	v_perm_b32 v11, v23, v24, s2
	v_perm_b32 v10, v12, v21, s2
	s_waitcnt lgkmcnt(0)
	v_mfma_f32_16x16x16bf16_1k v[32:35], v[18:19], v[28:29], v[14:17]
	s_nop 6
	v_mov_b32_e32 v15, 0
	s_waitcnt vmcnt(1)
	v_cmp_ne_u16_sdwa s[8:9], v6, v15 src0_sel:BYTE_0 src1_sel:DWORD
	v_mfma_f32_16x16x16bf16_1k v[10:13], v[10:11], v[30:31], v[32:35]
	v_mov_b32_e32 v16, 0
	s_and_saveexec_b64 s[2:3], s[8:9]
	s_cbranch_execz .LBB871_599
; %bb.594:
	s_movk_i32 s7, 0x80
	v_cmp_ne_u16_sdwa s[10:11], v6, s7 src0_sel:BYTE_0 src1_sel:DWORD
	v_mov_b32_e32 v16, 0xffff8000
	s_and_saveexec_b64 s[8:9], s[10:11]
	s_cbranch_execz .LBB871_598
; %bb.595:
	s_movk_i32 s7, 0x7f
	v_and_b32_e32 v14, 0x7f, v6
	v_cmp_ne_u32_e32 vcc, s7, v14
	v_mov_b32_e32 v16, 0x7f80
	s_and_saveexec_b64 s[10:11], vcc
	s_cbranch_execz .LBB871_597
; %bb.596:
	v_and_b32_e32 v18, 7, v6
	v_ffbh_u32_e32 v16, v18
	v_min_u32_e32 v20, 32, v16
	v_subrev_u32_e32 v16, 28, v20
	v_lshlrev_b64 v[16:17], v16, v[6:7]
	v_lshrrev_b32_e32 v19, 3, v14
	v_sub_u32_e32 v17, 29, v20
	v_and_b32_e32 v16, 7, v16
	v_cmp_gt_u32_e32 vcc, 8, v14
	v_cndmask_b32_e32 v14, v19, v17, vcc
	v_cndmask_b32_e32 v16, v18, v16, vcc
	v_lshlrev_b32_e32 v17, 24, v6
	v_bfrev_b32_e32 v18, 60
	v_lshlrev_b32_e32 v16, 20, v16
	v_and_b32_e32 v17, 0x80000000, v17
	v_lshl_add_u32 v14, v14, 23, v18
	v_or3_b32 v14, v17, v14, v16
	v_lshrrev_b32_e32 v16, 16, v14
.LBB871_597:
	s_or_b64 exec, exec, s[10:11]
.LBB871_598:
	s_or_b64 exec, exec, s[8:9]
.LBB871_599:
	s_or_b64 exec, exec, s[2:3]
	v_lshrrev_b16_e32 v14, 8, v6
	v_cmp_ne_u16_e32 vcc, 0, v14
	s_and_saveexec_b64 s[2:3], vcc
	s_cbranch_execz .LBB871_605
; %bb.600:
	s_movk_i32 s7, 0x80
	v_cmp_ne_u16_e32 vcc, s7, v14
	v_mov_b32_e32 v15, 0xffff8000
	s_and_saveexec_b64 s[8:9], vcc
	s_cbranch_execz .LBB871_604
; %bb.601:
	s_movk_i32 s7, 0x7f
	v_and_b32_e32 v17, 0x7f, v14
	v_cmp_ne_u32_e32 vcc, s7, v17
	v_mov_b32_e32 v15, 0x7f80
	s_and_saveexec_b64 s[10:11], vcc
	s_cbranch_execz .LBB871_603
; %bb.602:
	v_and_b32_e32 v18, 7, v14
	v_ffbh_u32_e32 v15, v18
	v_min_u32_e32 v20, 32, v15
	v_subrev_u32_e32 v15, 28, v20
	v_lshlrev_b64 v[14:15], v15, v[14:15]
	v_lshrrev_b32_e32 v19, 3, v17
	v_sub_u32_e32 v15, 29, v20
	v_and_b32_e32 v14, 7, v14
	v_cmp_gt_u32_e32 vcc, 8, v17
	v_cndmask_b32_e32 v15, v19, v15, vcc
	v_cndmask_b32_e32 v14, v18, v14, vcc
	v_lshlrev_b32_e32 v17, 16, v6
	v_bfrev_b32_e32 v18, 60
	v_lshlrev_b32_e32 v14, 20, v14
	v_and_b32_e32 v17, 0x80000000, v17
	v_lshl_add_u32 v15, v15, 23, v18
	v_or3_b32 v14, v17, v15, v14
	v_lshrrev_b32_e32 v15, 16, v14
.LBB871_603:
	s_or_b64 exec, exec, s[10:11]
.LBB871_604:
	s_or_b64 exec, exec, s[8:9]
.LBB871_605:
	s_or_b64 exec, exec, s[2:3]
	s_movk_i32 s2, 0xff
	v_and_b32_sdwa v19, v6, s2 dst_sel:DWORD dst_unused:UNUSED_PAD src0_sel:WORD_1 src1_sel:DWORD
	v_lshrrev_b32_e32 v14, 16, v6
	v_cmp_ne_u16_e32 vcc, 0, v19
	v_mov_b32_e32 v17, 0
	v_mov_b32_e32 v18, 0
	s_and_saveexec_b64 s[2:3], vcc
	s_cbranch_execz .LBB871_611
; %bb.606:
	s_movk_i32 s7, 0x80
	v_cmp_ne_u16_e32 vcc, s7, v19
	v_mov_b32_e32 v18, 0xffff8000
	s_and_saveexec_b64 s[8:9], vcc
	s_cbranch_execz .LBB871_610
; %bb.607:
	v_bfe_u32 v19, v6, 16, 7
	s_movk_i32 s7, 0x7f
	v_cmp_ne_u32_e32 vcc, s7, v19
	v_mov_b32_e32 v18, 0x7f80
	s_and_saveexec_b64 s[10:11], vcc
	s_cbranch_execz .LBB871_609
; %bb.608:
	v_and_b32_e32 v18, 7, v14
	v_ffbh_u32_e32 v20, v18
	v_min_u32_e32 v24, 32, v20
	v_subrev_u32_e32 v20, 28, v24
	v_lshlrev_b64 v[20:21], v20, v[14:15]
	v_lshrrev_b32_e32 v23, 3, v19
	v_sub_u32_e32 v14, 29, v24
	v_and_b32_e32 v20, 7, v20
	v_cmp_gt_u32_e32 vcc, 8, v19
	v_mov_b32_e32 v19, 24
	v_cndmask_b32_e32 v14, v23, v14, vcc
	v_cndmask_b32_e32 v18, v18, v20, vcc
	v_lshlrev_b32_sdwa v19, v19, v6 dst_sel:DWORD dst_unused:UNUSED_PAD src0_sel:DWORD src1_sel:WORD_1
	v_bfrev_b32_e32 v20, 60
	v_lshlrev_b32_e32 v18, 20, v18
	v_and_b32_e32 v19, 0x80000000, v19
	v_lshl_add_u32 v14, v14, 23, v20
	v_or3_b32 v14, v19, v14, v18
	v_lshrrev_b32_e32 v18, 16, v14
.LBB871_609:
	s_or_b64 exec, exec, s[10:11]
.LBB871_610:
	s_or_b64 exec, exec, s[8:9]
.LBB871_611:
	s_or_b64 exec, exec, s[2:3]
	s_mov_b32 s2, 0xffffff
	v_cmp_lt_u32_e32 vcc, s2, v6
	s_and_saveexec_b64 s[2:3], vcc
	s_cbranch_execz .LBB871_617
; %bb.612:
	v_lshrrev_b32_e32 v14, 24, v6
	s_movk_i32 s7, 0x80
	v_cmp_ne_u32_e32 vcc, s7, v14
	v_mov_b32_e32 v17, 0xffff8000
	s_and_saveexec_b64 s[8:9], vcc
	s_cbranch_execz .LBB871_616
; %bb.613:
	v_bfe_u32 v6, v6, 24, 7
	s_movk_i32 s7, 0x7f
	v_cmp_ne_u32_e32 vcc, s7, v6
	v_mov_b32_e32 v17, 0x7f80
	s_and_saveexec_b64 s[10:11], vcc
	s_cbranch_execz .LBB871_615
; %bb.614:
	v_and_b32_e32 v17, 7, v14
	v_ffbh_u32_e32 v20, v17
	v_min_u32_e32 v23, 32, v20
	v_subrev_u32_e32 v20, 28, v23
	v_lshlrev_b64 v[20:21], v20, v[14:15]
	v_lshrrev_b32_e32 v19, 3, v6
	v_sub_u32_e32 v21, 29, v23
	v_and_b32_e32 v20, 7, v20
	v_cmp_gt_u32_e32 vcc, 8, v6
	v_cndmask_b32_e32 v6, v19, v21, vcc
	v_cndmask_b32_e32 v17, v17, v20, vcc
	v_lshlrev_b32_e32 v14, 24, v14
	v_bfrev_b32_e32 v19, 60
	v_lshlrev_b32_e32 v17, 20, v17
	v_and_b32_e32 v14, 0x80000000, v14
	v_lshl_add_u32 v6, v6, 23, v19
	v_or3_b32 v6, v14, v6, v17
	v_lshrrev_b32_e32 v17, 16, v6
.LBB871_615:
	s_or_b64 exec, exec, s[10:11]
.LBB871_616:
	s_or_b64 exec, exec, s[8:9]
.LBB871_617:
	s_or_b64 exec, exec, s[2:3]
	v_mov_b32_e32 v14, 0
	v_cmp_ne_u16_sdwa s[8:9], v7, v14 src0_sel:BYTE_0 src1_sel:DWORD
	v_mov_b32_e32 v19, 0
	s_and_saveexec_b64 s[2:3], s[8:9]
	s_cbranch_execz .LBB871_623
; %bb.618:
	s_movk_i32 s7, 0x80
	v_cmp_ne_u16_sdwa s[10:11], v7, s7 src0_sel:BYTE_0 src1_sel:DWORD
	v_mov_b32_e32 v19, 0xffff8000
	s_and_saveexec_b64 s[8:9], s[10:11]
	s_cbranch_execz .LBB871_622
; %bb.619:
	s_movk_i32 s7, 0x7f
	v_and_b32_e32 v6, 0x7f, v7
	v_cmp_ne_u32_e32 vcc, s7, v6
	v_mov_b32_e32 v19, 0x7f80
	s_and_saveexec_b64 s[10:11], vcc
	s_cbranch_execz .LBB871_621
; %bb.620:
	v_and_b32_e32 v19, 7, v7
	v_ffbh_u32_e32 v21, v19
	v_min_u32_e32 v24, 32, v21
	v_mov_b32_e32 v20, v7
	v_subrev_u32_e32 v21, 28, v24
	v_lshlrev_b64 v[20:21], v21, v[20:21]
	v_lshrrev_b32_e32 v23, 3, v6
	v_sub_u32_e32 v21, 29, v24
	v_and_b32_e32 v20, 7, v20
	v_cmp_gt_u32_e32 vcc, 8, v6
	v_cndmask_b32_e32 v6, v23, v21, vcc
	v_cndmask_b32_e32 v19, v19, v20, vcc
	v_lshlrev_b32_e32 v20, 24, v7
	v_bfrev_b32_e32 v21, 60
	v_lshlrev_b32_e32 v19, 20, v19
	v_and_b32_e32 v20, 0x80000000, v20
	v_lshl_add_u32 v6, v6, 23, v21
	v_or3_b32 v6, v20, v6, v19
	v_lshrrev_b32_e32 v19, 16, v6
.LBB871_621:
	s_or_b64 exec, exec, s[10:11]
.LBB871_622:
	s_or_b64 exec, exec, s[8:9]
.LBB871_623:
	s_or_b64 exec, exec, s[2:3]
	v_lshrrev_b16_e32 v6, 8, v7
	v_cmp_ne_u16_e32 vcc, 0, v6
	s_and_saveexec_b64 s[2:3], vcc
	s_cbranch_execz .LBB871_629
; %bb.624:
	s_movk_i32 s7, 0x80
	v_cmp_ne_u16_e32 vcc, s7, v6
	v_mov_b32_e32 v14, 0xffff8000
	s_and_saveexec_b64 s[8:9], vcc
	s_cbranch_execz .LBB871_628
; %bb.625:
	s_movk_i32 s7, 0x7f
	v_and_b32_e32 v20, 0x7f, v6
	v_cmp_ne_u32_e32 vcc, s7, v20
	v_mov_b32_e32 v14, 0x7f80
	s_and_saveexec_b64 s[10:11], vcc
	s_cbranch_execz .LBB871_627
; %bb.626:
	v_and_b32_e32 v14, 7, v6
	v_ffbh_u32_e32 v23, v14
	v_min_u32_e32 v23, 32, v23
	v_subrev_u32_e32 v24, 28, v23
	v_lshlrev_b64 v[24:25], v24, v[6:7]
	v_lshrrev_b32_e32 v21, 3, v20
	v_sub_u32_e32 v6, 29, v23
	v_and_b32_e32 v23, 7, v24
	v_cmp_gt_u32_e32 vcc, 8, v20
	v_cndmask_b32_e32 v6, v21, v6, vcc
	v_cndmask_b32_e32 v14, v14, v23, vcc
	v_lshlrev_b32_e32 v20, 16, v7
	v_bfrev_b32_e32 v21, 60
	v_lshlrev_b32_e32 v14, 20, v14
	v_and_b32_e32 v20, 0x80000000, v20
	v_lshl_add_u32 v6, v6, 23, v21
	v_or3_b32 v6, v20, v6, v14
	v_lshrrev_b32_e32 v14, 16, v6
.LBB871_627:
	s_or_b64 exec, exec, s[10:11]
.LBB871_628:
	s_or_b64 exec, exec, s[8:9]
.LBB871_629:
	s_or_b64 exec, exec, s[2:3]
	s_movk_i32 s2, 0xff
	v_and_b32_sdwa v23, v7, s2 dst_sel:DWORD dst_unused:UNUSED_PAD src0_sel:WORD_1 src1_sel:DWORD
	v_lshrrev_b32_e32 v6, 16, v7
	v_cmp_ne_u16_e32 vcc, 0, v23
	v_mov_b32_e32 v20, 0
	v_mov_b32_e32 v21, 0
	s_and_saveexec_b64 s[2:3], vcc
	s_cbranch_execz .LBB871_635
; %bb.630:
	s_movk_i32 s7, 0x80
	v_cmp_ne_u16_e32 vcc, s7, v23
	v_mov_b32_e32 v21, 0xffff8000
	s_and_saveexec_b64 s[8:9], vcc
	s_cbranch_execz .LBB871_634
; %bb.631:
	v_bfe_u32 v23, v7, 16, 7
	s_movk_i32 s7, 0x7f
	v_cmp_ne_u32_e32 vcc, s7, v23
	v_mov_b32_e32 v21, 0x7f80
	s_and_saveexec_b64 s[10:11], vcc
	s_cbranch_execz .LBB871_633
; %bb.632:
	v_and_b32_e32 v21, 7, v6
	v_ffbh_u32_e32 v24, v21
	v_min_u32_e32 v28, 32, v24
	v_subrev_u32_e32 v24, 28, v28
	v_lshlrev_b64 v[24:25], v24, v[6:7]
	v_lshrrev_b32_e32 v27, 3, v23
	v_sub_u32_e32 v6, 29, v28
	v_and_b32_e32 v24, 7, v24
	v_cmp_gt_u32_e32 vcc, 8, v23
	v_mov_b32_e32 v23, 24
	v_cndmask_b32_e32 v6, v27, v6, vcc
	v_cndmask_b32_e32 v21, v21, v24, vcc
	v_lshlrev_b32_sdwa v23, v23, v7 dst_sel:DWORD dst_unused:UNUSED_PAD src0_sel:DWORD src1_sel:WORD_1
	v_bfrev_b32_e32 v24, 60
	v_lshlrev_b32_e32 v21, 20, v21
	v_and_b32_e32 v23, 0x80000000, v23
	v_lshl_add_u32 v6, v6, 23, v24
	v_or3_b32 v6, v23, v6, v21
	v_lshrrev_b32_e32 v21, 16, v6
.LBB871_633:
	s_or_b64 exec, exec, s[10:11]
.LBB871_634:
	s_or_b64 exec, exec, s[8:9]
.LBB871_635:
	s_or_b64 exec, exec, s[2:3]
	s_mov_b32 s2, 0xffffff
	v_cmp_lt_u32_e32 vcc, s2, v7
	s_and_saveexec_b64 s[2:3], vcc
	s_cbranch_execz .LBB871_641
; %bb.636:
	v_lshrrev_b32_e32 v6, 24, v7
	s_movk_i32 s7, 0x80
	v_cmp_ne_u32_e32 vcc, s7, v6
	v_mov_b32_e32 v20, 0xffff8000
	s_and_saveexec_b64 s[8:9], vcc
	s_cbranch_execz .LBB871_640
; %bb.637:
	v_bfe_u32 v7, v7, 24, 7
	s_movk_i32 s7, 0x7f
	v_cmp_ne_u32_e32 vcc, s7, v7
	v_mov_b32_e32 v20, 0x7f80
	s_and_saveexec_b64 s[10:11], vcc
	s_cbranch_execz .LBB871_639
; %bb.638:
	v_and_b32_e32 v20, 7, v6
	v_ffbh_u32_e32 v24, v20
	v_min_u32_e32 v27, 32, v24
	v_subrev_u32_e32 v24, 28, v27
	v_lshlrev_b64 v[24:25], v24, v[6:7]
	v_lshrrev_b32_e32 v23, 3, v7
	v_sub_u32_e32 v25, 29, v27
	v_and_b32_e32 v24, 7, v24
	v_cmp_gt_u32_e32 vcc, 8, v7
	v_cndmask_b32_e32 v7, v23, v25, vcc
	v_cndmask_b32_e32 v20, v20, v24, vcc
	v_lshlrev_b32_e32 v6, 24, v6
	v_bfrev_b32_e32 v23, 60
	v_lshlrev_b32_e32 v20, 20, v20
	v_and_b32_e32 v6, 0x80000000, v6
	v_lshl_add_u32 v7, v7, 23, v23
	v_or3_b32 v6, v6, v7, v20
	v_lshrrev_b32_e32 v20, 16, v6
.LBB871_639:
	s_or_b64 exec, exec, s[10:11]
.LBB871_640:
	s_or_b64 exec, exec, s[8:9]
.LBB871_641:
	s_or_b64 exec, exec, s[2:3]
	s_mov_b32 s2, 0x5040100
	v_perm_b32 v7, v17, v18, s2
	v_perm_b32 v6, v15, v16, s2
	ds_read_b128 v[28:31], v22 offset:4096
	v_perm_b32 v17, v20, v21, s2
	v_perm_b32 v16, v14, v19, s2
	s_waitcnt lgkmcnt(0)
	v_mfma_f32_16x16x16bf16_1k v[10:13], v[6:7], v[28:29], v[10:13]
	v_mov_b32_e32 v7, 0
	v_cmp_ne_u16_sdwa s[8:9], v8, v7 src0_sel:BYTE_0 src1_sel:DWORD
	v_mov_b32_e32 v14, 0
	v_mfma_f32_16x16x16bf16_1k v[10:13], v[16:17], v[30:31], v[10:13]
	s_and_saveexec_b64 s[2:3], s[8:9]
	s_cbranch_execz .LBB871_647
; %bb.642:
	s_movk_i32 s7, 0x80
	v_cmp_ne_u16_sdwa s[10:11], v8, s7 src0_sel:BYTE_0 src1_sel:DWORD
	v_mov_b32_e32 v14, 0xffff8000
	s_and_saveexec_b64 s[8:9], s[10:11]
	s_cbranch_execz .LBB871_646
; %bb.643:
	s_movk_i32 s7, 0x7f
	v_and_b32_e32 v6, 0x7f, v8
	v_cmp_ne_u32_e32 vcc, s7, v6
	v_mov_b32_e32 v14, 0x7f80
	s_and_saveexec_b64 s[10:11], vcc
	s_cbranch_execz .LBB871_645
; %bb.644:
	v_and_b32_e32 v16, 7, v8
	v_ffbh_u32_e32 v14, v16
	v_min_u32_e32 v18, 32, v14
	v_subrev_u32_e32 v14, 28, v18
	v_lshlrev_b64 v[14:15], v14, v[8:9]
	v_lshrrev_b32_e32 v17, 3, v6
	v_sub_u32_e32 v15, 29, v18
	v_and_b32_e32 v14, 7, v14
	v_cmp_gt_u32_e32 vcc, 8, v6
	v_cndmask_b32_e32 v6, v17, v15, vcc
	v_cndmask_b32_e32 v14, v16, v14, vcc
	v_lshlrev_b32_e32 v15, 24, v8
	v_bfrev_b32_e32 v16, 60
	v_lshlrev_b32_e32 v14, 20, v14
	v_and_b32_e32 v15, 0x80000000, v15
	v_lshl_add_u32 v6, v6, 23, v16
	v_or3_b32 v6, v15, v6, v14
	v_lshrrev_b32_e32 v14, 16, v6
.LBB871_645:
	s_or_b64 exec, exec, s[10:11]
.LBB871_646:
	s_or_b64 exec, exec, s[8:9]
.LBB871_647:
	s_or_b64 exec, exec, s[2:3]
	v_lshrrev_b16_e32 v6, 8, v8
	v_cmp_ne_u16_e32 vcc, 0, v6
	s_and_saveexec_b64 s[2:3], vcc
	s_cbranch_execz .LBB871_653
; %bb.648:
	s_movk_i32 s7, 0x80
	v_cmp_ne_u16_e32 vcc, s7, v6
	v_mov_b32_e32 v7, 0xffff8000
	s_and_saveexec_b64 s[8:9], vcc
	s_cbranch_execz .LBB871_652
; %bb.649:
	s_movk_i32 s7, 0x7f
	v_and_b32_e32 v15, 0x7f, v6
	v_cmp_ne_u32_e32 vcc, s7, v15
	v_mov_b32_e32 v7, 0x7f80
	s_and_saveexec_b64 s[10:11], vcc
	s_cbranch_execz .LBB871_651
; %bb.650:
	v_and_b32_e32 v16, 7, v6
	v_ffbh_u32_e32 v7, v16
	v_min_u32_e32 v18, 32, v7
	v_subrev_u32_e32 v7, 28, v18
	v_lshlrev_b64 v[6:7], v7, v[6:7]
	v_lshrrev_b32_e32 v17, 3, v15
	v_sub_u32_e32 v7, 29, v18
	v_and_b32_e32 v6, 7, v6
	v_cmp_gt_u32_e32 vcc, 8, v15
	v_cndmask_b32_e32 v7, v17, v7, vcc
	v_cndmask_b32_e32 v6, v16, v6, vcc
	v_lshlrev_b32_e32 v15, 16, v8
	v_bfrev_b32_e32 v16, 60
	v_lshlrev_b32_e32 v6, 20, v6
	v_and_b32_e32 v15, 0x80000000, v15
	v_lshl_add_u32 v7, v7, 23, v16
	v_or3_b32 v6, v15, v7, v6
	v_lshrrev_b32_e32 v7, 16, v6
.LBB871_651:
	s_or_b64 exec, exec, s[10:11]
.LBB871_652:
	s_or_b64 exec, exec, s[8:9]
.LBB871_653:
	s_or_b64 exec, exec, s[2:3]
	s_movk_i32 s2, 0xff
	v_and_b32_sdwa v17, v8, s2 dst_sel:DWORD dst_unused:UNUSED_PAD src0_sel:WORD_1 src1_sel:DWORD
	v_lshrrev_b32_e32 v6, 16, v8
	v_cmp_ne_u16_e32 vcc, 0, v17
	v_mov_b32_e32 v15, 0
	v_mov_b32_e32 v16, 0
	s_and_saveexec_b64 s[2:3], vcc
	s_cbranch_execz .LBB871_659
; %bb.654:
	s_movk_i32 s7, 0x80
	v_cmp_ne_u16_e32 vcc, s7, v17
	v_mov_b32_e32 v16, 0xffff8000
	s_and_saveexec_b64 s[8:9], vcc
	s_cbranch_execz .LBB871_658
; %bb.655:
	v_bfe_u32 v17, v8, 16, 7
	s_movk_i32 s7, 0x7f
	v_cmp_ne_u32_e32 vcc, s7, v17
	v_mov_b32_e32 v16, 0x7f80
	s_and_saveexec_b64 s[10:11], vcc
	s_cbranch_execz .LBB871_657
; %bb.656:
	v_and_b32_e32 v16, 7, v6
	v_ffbh_u32_e32 v18, v16
	v_min_u32_e32 v21, 32, v18
	v_subrev_u32_e32 v18, 28, v21
	v_lshlrev_b64 v[18:19], v18, v[6:7]
	v_lshrrev_b32_e32 v20, 3, v17
	v_sub_u32_e32 v6, 29, v21
	v_and_b32_e32 v18, 7, v18
	v_cmp_gt_u32_e32 vcc, 8, v17
	v_mov_b32_e32 v17, 24
	v_cndmask_b32_e32 v6, v20, v6, vcc
	v_cndmask_b32_e32 v16, v16, v18, vcc
	v_lshlrev_b32_sdwa v17, v17, v8 dst_sel:DWORD dst_unused:UNUSED_PAD src0_sel:DWORD src1_sel:WORD_1
	v_bfrev_b32_e32 v18, 60
	v_lshlrev_b32_e32 v16, 20, v16
	v_and_b32_e32 v17, 0x80000000, v17
	v_lshl_add_u32 v6, v6, 23, v18
	v_or3_b32 v6, v17, v6, v16
	v_lshrrev_b32_e32 v16, 16, v6
.LBB871_657:
	s_or_b64 exec, exec, s[10:11]
.LBB871_658:
	s_or_b64 exec, exec, s[8:9]
.LBB871_659:
	s_or_b64 exec, exec, s[2:3]
	s_mov_b32 s2, 0xffffff
	v_cmp_lt_u32_e32 vcc, s2, v8
	s_and_saveexec_b64 s[2:3], vcc
	s_cbranch_execz .LBB871_665
; %bb.660:
	v_lshrrev_b32_e32 v6, 24, v8
	s_movk_i32 s7, 0x80
	v_cmp_ne_u32_e32 vcc, s7, v6
	v_mov_b32_e32 v15, 0xffff8000
	s_and_saveexec_b64 s[8:9], vcc
	s_cbranch_execz .LBB871_664
; %bb.661:
	v_bfe_u32 v8, v8, 24, 7
	s_movk_i32 s7, 0x7f
	v_cmp_ne_u32_e32 vcc, s7, v8
	v_mov_b32_e32 v15, 0x7f80
	s_and_saveexec_b64 s[10:11], vcc
	s_cbranch_execz .LBB871_663
; %bb.662:
	v_and_b32_e32 v15, 7, v6
	v_ffbh_u32_e32 v18, v15
	v_min_u32_e32 v20, 32, v18
	v_subrev_u32_e32 v18, 28, v20
	v_lshlrev_b64 v[18:19], v18, v[6:7]
	v_lshrrev_b32_e32 v17, 3, v8
	v_sub_u32_e32 v19, 29, v20
	v_and_b32_e32 v18, 7, v18
	v_cmp_gt_u32_e32 vcc, 8, v8
	v_cndmask_b32_e32 v8, v17, v19, vcc
	v_cndmask_b32_e32 v15, v15, v18, vcc
	v_lshlrev_b32_e32 v6, 24, v6
	v_bfrev_b32_e32 v17, 60
	v_lshlrev_b32_e32 v15, 20, v15
	v_and_b32_e32 v6, 0x80000000, v6
	v_lshl_add_u32 v8, v8, 23, v17
	v_or3_b32 v6, v6, v8, v15
	v_lshrrev_b32_e32 v15, 16, v6
.LBB871_663:
	s_or_b64 exec, exec, s[10:11]
.LBB871_664:
	s_or_b64 exec, exec, s[8:9]
.LBB871_665:
	s_or_b64 exec, exec, s[2:3]
	v_mov_b32_e32 v8, 0
	v_cmp_ne_u16_sdwa s[8:9], v9, v8 src0_sel:BYTE_0 src1_sel:DWORD
	v_mov_b32_e32 v17, 0
	s_and_saveexec_b64 s[2:3], s[8:9]
	s_cbranch_execz .LBB871_671
; %bb.666:
	s_movk_i32 s7, 0x80
	v_cmp_ne_u16_sdwa s[10:11], v9, s7 src0_sel:BYTE_0 src1_sel:DWORD
	v_mov_b32_e32 v17, 0xffff8000
	s_and_saveexec_b64 s[8:9], s[10:11]
	s_cbranch_execz .LBB871_670
; %bb.667:
	s_movk_i32 s7, 0x7f
	v_and_b32_e32 v6, 0x7f, v9
	v_cmp_ne_u32_e32 vcc, s7, v6
	v_mov_b32_e32 v17, 0x7f80
	s_and_saveexec_b64 s[10:11], vcc
	s_cbranch_execz .LBB871_669
; %bb.668:
	v_and_b32_e32 v17, 7, v9
	v_ffbh_u32_e32 v19, v17
	v_min_u32_e32 v21, 32, v19
	v_mov_b32_e32 v18, v9
	v_subrev_u32_e32 v19, 28, v21
	v_lshlrev_b64 v[18:19], v19, v[18:19]
	v_lshrrev_b32_e32 v20, 3, v6
	v_sub_u32_e32 v19, 29, v21
	v_and_b32_e32 v18, 7, v18
	v_cmp_gt_u32_e32 vcc, 8, v6
	v_cndmask_b32_e32 v6, v20, v19, vcc
	v_cndmask_b32_e32 v17, v17, v18, vcc
	v_lshlrev_b32_e32 v18, 24, v9
	v_bfrev_b32_e32 v19, 60
	v_lshlrev_b32_e32 v17, 20, v17
	v_and_b32_e32 v18, 0x80000000, v18
	v_lshl_add_u32 v6, v6, 23, v19
	v_or3_b32 v6, v18, v6, v17
	v_lshrrev_b32_e32 v17, 16, v6
.LBB871_669:
	s_or_b64 exec, exec, s[10:11]
.LBB871_670:
	s_or_b64 exec, exec, s[8:9]
.LBB871_671:
	s_or_b64 exec, exec, s[2:3]
	v_lshrrev_b16_e32 v6, 8, v9
	v_cmp_ne_u16_e32 vcc, 0, v6
	s_and_saveexec_b64 s[2:3], vcc
	s_cbranch_execz .LBB871_677
; %bb.672:
	s_movk_i32 s7, 0x80
	v_cmp_ne_u16_e32 vcc, s7, v6
	v_mov_b32_e32 v8, 0xffff8000
	s_and_saveexec_b64 s[8:9], vcc
	s_cbranch_execz .LBB871_676
; %bb.673:
	s_movk_i32 s7, 0x7f
	v_and_b32_e32 v18, 0x7f, v6
	v_cmp_ne_u32_e32 vcc, s7, v18
	v_mov_b32_e32 v8, 0x7f80
	s_and_saveexec_b64 s[10:11], vcc
	s_cbranch_execz .LBB871_675
; %bb.674:
	v_and_b32_e32 v8, 7, v6
	v_ffbh_u32_e32 v20, v8
	v_min_u32_e32 v23, 32, v20
	v_subrev_u32_e32 v20, 28, v23
	v_lshlrev_b64 v[20:21], v20, v[6:7]
	v_lshrrev_b32_e32 v19, 3, v18
	v_sub_u32_e32 v6, 29, v23
	v_and_b32_e32 v20, 7, v20
	v_cmp_gt_u32_e32 vcc, 8, v18
	v_cndmask_b32_e32 v6, v19, v6, vcc
	v_cndmask_b32_e32 v8, v8, v20, vcc
	v_lshlrev_b32_e32 v18, 16, v9
	v_bfrev_b32_e32 v19, 60
	v_lshlrev_b32_e32 v8, 20, v8
	v_and_b32_e32 v18, 0x80000000, v18
	v_lshl_add_u32 v6, v6, 23, v19
	v_or3_b32 v6, v18, v6, v8
	v_lshrrev_b32_e32 v8, 16, v6
.LBB871_675:
	s_or_b64 exec, exec, s[10:11]
.LBB871_676:
	s_or_b64 exec, exec, s[8:9]
.LBB871_677:
	s_or_b64 exec, exec, s[2:3]
	s_movk_i32 s2, 0xff
	v_and_b32_sdwa v20, v9, s2 dst_sel:DWORD dst_unused:UNUSED_PAD src0_sel:WORD_1 src1_sel:DWORD
	v_lshrrev_b32_e32 v6, 16, v9
	v_cmp_ne_u16_e32 vcc, 0, v20
	v_mov_b32_e32 v18, 0
	v_mov_b32_e32 v19, 0
	s_and_saveexec_b64 s[2:3], vcc
	s_cbranch_execz .LBB871_683
; %bb.678:
	s_movk_i32 s7, 0x80
	v_cmp_ne_u16_e32 vcc, s7, v20
	v_mov_b32_e32 v19, 0xffff8000
	s_and_saveexec_b64 s[8:9], vcc
	s_cbranch_execz .LBB871_682
; %bb.679:
	v_bfe_u32 v20, v9, 16, 7
	s_movk_i32 s7, 0x7f
	v_cmp_ne_u32_e32 vcc, s7, v20
	v_mov_b32_e32 v19, 0x7f80
	s_and_saveexec_b64 s[10:11], vcc
	s_cbranch_execz .LBB871_681
; %bb.680:
	v_and_b32_e32 v19, 7, v6
	v_ffbh_u32_e32 v23, v19
	v_min_u32_e32 v23, 32, v23
	v_subrev_u32_e32 v24, 28, v23
	v_lshlrev_b64 v[24:25], v24, v[6:7]
	v_lshrrev_b32_e32 v21, 3, v20
	v_sub_u32_e32 v6, 29, v23
	v_and_b32_e32 v23, 7, v24
	v_cmp_gt_u32_e32 vcc, 8, v20
	v_mov_b32_e32 v20, 24
	v_cndmask_b32_e32 v6, v21, v6, vcc
	v_cndmask_b32_e32 v19, v19, v23, vcc
	v_lshlrev_b32_sdwa v20, v20, v9 dst_sel:DWORD dst_unused:UNUSED_PAD src0_sel:DWORD src1_sel:WORD_1
	v_bfrev_b32_e32 v21, 60
	v_lshlrev_b32_e32 v19, 20, v19
	v_and_b32_e32 v20, 0x80000000, v20
	v_lshl_add_u32 v6, v6, 23, v21
	v_or3_b32 v6, v20, v6, v19
	v_lshrrev_b32_e32 v19, 16, v6
.LBB871_681:
	s_or_b64 exec, exec, s[10:11]
.LBB871_682:
	s_or_b64 exec, exec, s[8:9]
.LBB871_683:
	s_or_b64 exec, exec, s[2:3]
	s_mov_b32 s2, 0xffffff
	v_cmp_lt_u32_e32 vcc, s2, v9
	s_and_saveexec_b64 s[2:3], vcc
	s_cbranch_execz .LBB871_689
; %bb.684:
	v_lshrrev_b32_e32 v6, 24, v9
	s_movk_i32 s7, 0x80
	v_cmp_ne_u32_e32 vcc, s7, v6
	v_mov_b32_e32 v18, 0xffff8000
	s_and_saveexec_b64 s[8:9], vcc
	s_cbranch_execz .LBB871_688
; %bb.685:
	v_bfe_u32 v9, v9, 24, 7
	s_movk_i32 s7, 0x7f
	v_cmp_ne_u32_e32 vcc, s7, v9
	v_mov_b32_e32 v18, 0x7f80
	s_and_saveexec_b64 s[10:11], vcc
	s_cbranch_execz .LBB871_687
; %bb.686:
	v_and_b32_e32 v18, 7, v6
	v_ffbh_u32_e32 v20, v18
	v_min_u32_e32 v24, 32, v20
	v_subrev_u32_e32 v20, 28, v24
	v_lshlrev_b64 v[20:21], v20, v[6:7]
	v_lshrrev_b32_e32 v23, 3, v9
	v_sub_u32_e32 v21, 29, v24
	v_and_b32_e32 v20, 7, v20
	v_cmp_gt_u32_e32 vcc, 8, v9
	v_cndmask_b32_e32 v9, v23, v21, vcc
	v_cndmask_b32_e32 v18, v18, v20, vcc
	v_lshlrev_b32_e32 v6, 24, v6
	v_bfrev_b32_e32 v20, 60
	v_lshlrev_b32_e32 v18, 20, v18
	v_and_b32_e32 v6, 0x80000000, v6
	v_lshl_add_u32 v9, v9, 23, v20
	v_or3_b32 v6, v6, v9, v18
	v_lshrrev_b32_e32 v18, 16, v6
.LBB871_687:
	s_or_b64 exec, exec, s[10:11]
.LBB871_688:
	s_or_b64 exec, exec, s[8:9]
.LBB871_689:
	s_or_b64 exec, exec, s[2:3]
	s_mov_b32 s2, 0x5040100
	v_perm_b32 v15, v15, v16, s2
	v_perm_b32 v14, v7, v14, s2
	ds_read_b128 v[28:31], v22 offset:4112
	v_perm_b32 v7, v18, v19, s2
	v_perm_b32 v6, v8, v17, s2
	s_waitcnt lgkmcnt(0)
	v_mfma_f32_16x16x16bf16_1k v[32:35], v[14:15], v[28:29], v[10:13]
	s_nop 6
	v_mov_b32_e32 v11, 0
	s_waitcnt vmcnt(0)
	v_cmp_ne_u16_sdwa s[8:9], v2, v11 src0_sel:BYTE_0 src1_sel:DWORD
	v_mfma_f32_16x16x16bf16_1k v[6:9], v[6:7], v[30:31], v[32:35]
	v_mov_b32_e32 v12, 0
	s_and_saveexec_b64 s[2:3], s[8:9]
	s_cbranch_execz .LBB871_695
; %bb.690:
	s_movk_i32 s7, 0x80
	v_cmp_ne_u16_sdwa s[10:11], v2, s7 src0_sel:BYTE_0 src1_sel:DWORD
	v_mov_b32_e32 v12, 0xffff8000
	s_and_saveexec_b64 s[8:9], s[10:11]
	s_cbranch_execz .LBB871_694
; %bb.691:
	s_movk_i32 s7, 0x7f
	v_and_b32_e32 v10, 0x7f, v2
	v_cmp_ne_u32_e32 vcc, s7, v10
	v_mov_b32_e32 v12, 0x7f80
	s_and_saveexec_b64 s[10:11], vcc
	s_cbranch_execz .LBB871_693
; %bb.692:
	v_and_b32_e32 v14, 7, v2
	v_ffbh_u32_e32 v12, v14
	v_min_u32_e32 v16, 32, v12
	v_subrev_u32_e32 v12, 28, v16
	v_lshlrev_b64 v[12:13], v12, v[2:3]
	v_lshrrev_b32_e32 v15, 3, v10
	v_sub_u32_e32 v13, 29, v16
	v_and_b32_e32 v12, 7, v12
	v_cmp_gt_u32_e32 vcc, 8, v10
	v_cndmask_b32_e32 v10, v15, v13, vcc
	v_cndmask_b32_e32 v12, v14, v12, vcc
	v_lshlrev_b32_e32 v13, 24, v2
	v_bfrev_b32_e32 v14, 60
	v_lshlrev_b32_e32 v12, 20, v12
	v_and_b32_e32 v13, 0x80000000, v13
	v_lshl_add_u32 v10, v10, 23, v14
	v_or3_b32 v10, v13, v10, v12
	v_lshrrev_b32_e32 v12, 16, v10
.LBB871_693:
	s_or_b64 exec, exec, s[10:11]
.LBB871_694:
	s_or_b64 exec, exec, s[8:9]
.LBB871_695:
	s_or_b64 exec, exec, s[2:3]
	v_lshrrev_b16_e32 v10, 8, v2
	v_cmp_ne_u16_e32 vcc, 0, v10
	s_and_saveexec_b64 s[2:3], vcc
	s_cbranch_execz .LBB871_701
; %bb.696:
	s_movk_i32 s7, 0x80
	v_cmp_ne_u16_e32 vcc, s7, v10
	v_mov_b32_e32 v11, 0xffff8000
	s_and_saveexec_b64 s[8:9], vcc
	s_cbranch_execz .LBB871_700
; %bb.697:
	s_movk_i32 s7, 0x7f
	v_and_b32_e32 v13, 0x7f, v10
	v_cmp_ne_u32_e32 vcc, s7, v13
	v_mov_b32_e32 v11, 0x7f80
	s_and_saveexec_b64 s[10:11], vcc
	s_cbranch_execz .LBB871_699
; %bb.698:
	v_and_b32_e32 v14, 7, v10
	v_ffbh_u32_e32 v11, v14
	v_min_u32_e32 v16, 32, v11
	v_subrev_u32_e32 v11, 28, v16
	v_lshlrev_b64 v[10:11], v11, v[10:11]
	v_lshrrev_b32_e32 v15, 3, v13
	v_sub_u32_e32 v11, 29, v16
	v_and_b32_e32 v10, 7, v10
	v_cmp_gt_u32_e32 vcc, 8, v13
	v_cndmask_b32_e32 v11, v15, v11, vcc
	v_cndmask_b32_e32 v10, v14, v10, vcc
	v_lshlrev_b32_e32 v13, 16, v2
	v_bfrev_b32_e32 v14, 60
	v_lshlrev_b32_e32 v10, 20, v10
	v_and_b32_e32 v13, 0x80000000, v13
	v_lshl_add_u32 v11, v11, 23, v14
	v_or3_b32 v10, v13, v11, v10
	v_lshrrev_b32_e32 v11, 16, v10
.LBB871_699:
	s_or_b64 exec, exec, s[10:11]
.LBB871_700:
	s_or_b64 exec, exec, s[8:9]
.LBB871_701:
	s_or_b64 exec, exec, s[2:3]
	s_movk_i32 s2, 0xff
	v_and_b32_sdwa v15, v2, s2 dst_sel:DWORD dst_unused:UNUSED_PAD src0_sel:WORD_1 src1_sel:DWORD
	v_lshrrev_b32_e32 v10, 16, v2
	v_cmp_ne_u16_e32 vcc, 0, v15
	v_mov_b32_e32 v13, 0
	v_mov_b32_e32 v14, 0
	s_and_saveexec_b64 s[2:3], vcc
	s_cbranch_execz .LBB871_707
; %bb.702:
	s_movk_i32 s7, 0x80
	v_cmp_ne_u16_e32 vcc, s7, v15
	v_mov_b32_e32 v14, 0xffff8000
	s_and_saveexec_b64 s[8:9], vcc
	s_cbranch_execz .LBB871_706
; %bb.703:
	v_bfe_u32 v15, v2, 16, 7
	s_movk_i32 s7, 0x7f
	v_cmp_ne_u32_e32 vcc, s7, v15
	v_mov_b32_e32 v14, 0x7f80
	s_and_saveexec_b64 s[10:11], vcc
	s_cbranch_execz .LBB871_705
; %bb.704:
	v_and_b32_e32 v14, 7, v10
	v_ffbh_u32_e32 v16, v14
	v_min_u32_e32 v19, 32, v16
	v_subrev_u32_e32 v16, 28, v19
	v_lshlrev_b64 v[16:17], v16, v[10:11]
	v_lshrrev_b32_e32 v18, 3, v15
	v_sub_u32_e32 v10, 29, v19
	v_and_b32_e32 v16, 7, v16
	v_cmp_gt_u32_e32 vcc, 8, v15
	v_mov_b32_e32 v15, 24
	v_cndmask_b32_e32 v10, v18, v10, vcc
	v_cndmask_b32_e32 v14, v14, v16, vcc
	v_lshlrev_b32_sdwa v15, v15, v2 dst_sel:DWORD dst_unused:UNUSED_PAD src0_sel:DWORD src1_sel:WORD_1
	v_bfrev_b32_e32 v16, 60
	v_lshlrev_b32_e32 v14, 20, v14
	v_and_b32_e32 v15, 0x80000000, v15
	v_lshl_add_u32 v10, v10, 23, v16
	v_or3_b32 v10, v15, v10, v14
	v_lshrrev_b32_e32 v14, 16, v10
.LBB871_705:
	s_or_b64 exec, exec, s[10:11]
.LBB871_706:
	s_or_b64 exec, exec, s[8:9]
.LBB871_707:
	s_or_b64 exec, exec, s[2:3]
	s_mov_b32 s2, 0xffffff
	v_cmp_lt_u32_e32 vcc, s2, v2
	s_and_saveexec_b64 s[2:3], vcc
	s_cbranch_execz .LBB871_713
; %bb.708:
	v_lshrrev_b32_e32 v10, 24, v2
	s_movk_i32 s7, 0x80
	v_cmp_ne_u32_e32 vcc, s7, v10
	v_mov_b32_e32 v13, 0xffff8000
	s_and_saveexec_b64 s[8:9], vcc
	s_cbranch_execz .LBB871_712
; %bb.709:
	v_bfe_u32 v2, v2, 24, 7
	s_movk_i32 s7, 0x7f
	v_cmp_ne_u32_e32 vcc, s7, v2
	v_mov_b32_e32 v13, 0x7f80
	s_and_saveexec_b64 s[10:11], vcc
	s_cbranch_execz .LBB871_711
; %bb.710:
	v_and_b32_e32 v13, 7, v10
	v_ffbh_u32_e32 v16, v13
	v_min_u32_e32 v18, 32, v16
	v_subrev_u32_e32 v16, 28, v18
	v_lshlrev_b64 v[16:17], v16, v[10:11]
	v_lshrrev_b32_e32 v15, 3, v2
	v_sub_u32_e32 v17, 29, v18
	v_and_b32_e32 v16, 7, v16
	v_cmp_gt_u32_e32 vcc, 8, v2
	v_cndmask_b32_e32 v2, v15, v17, vcc
	v_cndmask_b32_e32 v13, v13, v16, vcc
	v_lshlrev_b32_e32 v10, 24, v10
	v_bfrev_b32_e32 v15, 60
	v_lshlrev_b32_e32 v13, 20, v13
	v_and_b32_e32 v10, 0x80000000, v10
	v_lshl_add_u32 v2, v2, 23, v15
	v_or3_b32 v2, v10, v2, v13
	v_lshrrev_b32_e32 v13, 16, v2
.LBB871_711:
	s_or_b64 exec, exec, s[10:11]
.LBB871_712:
	s_or_b64 exec, exec, s[8:9]
.LBB871_713:
	s_or_b64 exec, exec, s[2:3]
	v_mov_b32_e32 v10, 0
	v_cmp_ne_u16_sdwa s[8:9], v3, v10 src0_sel:BYTE_0 src1_sel:DWORD
	v_mov_b32_e32 v15, 0
	s_and_saveexec_b64 s[2:3], s[8:9]
	s_cbranch_execz .LBB871_719
; %bb.714:
	s_movk_i32 s7, 0x80
	v_cmp_ne_u16_sdwa s[10:11], v3, s7 src0_sel:BYTE_0 src1_sel:DWORD
	v_mov_b32_e32 v15, 0xffff8000
	s_and_saveexec_b64 s[8:9], s[10:11]
	s_cbranch_execz .LBB871_718
; %bb.715:
	s_movk_i32 s7, 0x7f
	v_and_b32_e32 v2, 0x7f, v3
	v_cmp_ne_u32_e32 vcc, s7, v2
	v_mov_b32_e32 v15, 0x7f80
	s_and_saveexec_b64 s[10:11], vcc
	s_cbranch_execz .LBB871_717
; %bb.716:
	v_and_b32_e32 v15, 7, v3
	v_ffbh_u32_e32 v17, v15
	v_min_u32_e32 v19, 32, v17
	v_mov_b32_e32 v16, v3
	v_subrev_u32_e32 v17, 28, v19
	v_lshlrev_b64 v[16:17], v17, v[16:17]
	v_lshrrev_b32_e32 v18, 3, v2
	v_sub_u32_e32 v17, 29, v19
	v_and_b32_e32 v16, 7, v16
	v_cmp_gt_u32_e32 vcc, 8, v2
	v_cndmask_b32_e32 v2, v18, v17, vcc
	v_cndmask_b32_e32 v15, v15, v16, vcc
	v_lshlrev_b32_e32 v16, 24, v3
	v_bfrev_b32_e32 v17, 60
	v_lshlrev_b32_e32 v15, 20, v15
	v_and_b32_e32 v16, 0x80000000, v16
	v_lshl_add_u32 v2, v2, 23, v17
	v_or3_b32 v2, v16, v2, v15
	v_lshrrev_b32_e32 v15, 16, v2
.LBB871_717:
	s_or_b64 exec, exec, s[10:11]
.LBB871_718:
	s_or_b64 exec, exec, s[8:9]
.LBB871_719:
	s_or_b64 exec, exec, s[2:3]
	v_lshrrev_b16_e32 v2, 8, v3
	v_cmp_ne_u16_e32 vcc, 0, v2
	s_and_saveexec_b64 s[2:3], vcc
	s_cbranch_execz .LBB871_725
; %bb.720:
	s_movk_i32 s7, 0x80
	v_cmp_ne_u16_e32 vcc, s7, v2
	v_mov_b32_e32 v10, 0xffff8000
	s_and_saveexec_b64 s[8:9], vcc
	s_cbranch_execz .LBB871_724
; %bb.721:
	s_movk_i32 s7, 0x7f
	v_and_b32_e32 v16, 0x7f, v2
	v_cmp_ne_u32_e32 vcc, s7, v16
	v_mov_b32_e32 v10, 0x7f80
	s_and_saveexec_b64 s[10:11], vcc
	s_cbranch_execz .LBB871_723
; %bb.722:
	v_and_b32_e32 v10, 7, v2
	v_ffbh_u32_e32 v18, v10
	v_min_u32_e32 v20, 32, v18
	v_subrev_u32_e32 v18, 28, v20
	v_lshlrev_b64 v[18:19], v18, v[2:3]
	v_lshrrev_b32_e32 v17, 3, v16
	v_sub_u32_e32 v2, 29, v20
	v_and_b32_e32 v18, 7, v18
	v_cmp_gt_u32_e32 vcc, 8, v16
	v_cndmask_b32_e32 v2, v17, v2, vcc
	v_cndmask_b32_e32 v10, v10, v18, vcc
	v_lshlrev_b32_e32 v16, 16, v3
	v_bfrev_b32_e32 v17, 60
	v_lshlrev_b32_e32 v10, 20, v10
	v_and_b32_e32 v16, 0x80000000, v16
	v_lshl_add_u32 v2, v2, 23, v17
	v_or3_b32 v2, v16, v2, v10
	v_lshrrev_b32_e32 v10, 16, v2
.LBB871_723:
	s_or_b64 exec, exec, s[10:11]
.LBB871_724:
	s_or_b64 exec, exec, s[8:9]
.LBB871_725:
	s_or_b64 exec, exec, s[2:3]
	s_movk_i32 s2, 0xff
	v_and_b32_sdwa v18, v3, s2 dst_sel:DWORD dst_unused:UNUSED_PAD src0_sel:WORD_1 src1_sel:DWORD
	v_lshrrev_b32_e32 v2, 16, v3
	v_cmp_ne_u16_e32 vcc, 0, v18
	v_mov_b32_e32 v16, 0
	v_mov_b32_e32 v17, 0
	s_and_saveexec_b64 s[2:3], vcc
	s_cbranch_execz .LBB871_731
; %bb.726:
	s_movk_i32 s7, 0x80
	v_cmp_ne_u16_e32 vcc, s7, v18
	v_mov_b32_e32 v17, 0xffff8000
	s_and_saveexec_b64 s[8:9], vcc
	s_cbranch_execz .LBB871_730
; %bb.727:
	v_bfe_u32 v18, v3, 16, 7
	s_movk_i32 s7, 0x7f
	v_cmp_ne_u32_e32 vcc, s7, v18
	v_mov_b32_e32 v17, 0x7f80
	s_and_saveexec_b64 s[10:11], vcc
	s_cbranch_execz .LBB871_729
; %bb.728:
	v_and_b32_e32 v17, 7, v2
	v_ffbh_u32_e32 v20, v17
	v_min_u32_e32 v23, 32, v20
	v_subrev_u32_e32 v20, 28, v23
	v_lshlrev_b64 v[20:21], v20, v[2:3]
	v_lshrrev_b32_e32 v19, 3, v18
	v_sub_u32_e32 v2, 29, v23
	v_and_b32_e32 v20, 7, v20
	v_cmp_gt_u32_e32 vcc, 8, v18
	v_mov_b32_e32 v18, 24
	v_cndmask_b32_e32 v2, v19, v2, vcc
	v_cndmask_b32_e32 v17, v17, v20, vcc
	v_lshlrev_b32_sdwa v18, v18, v3 dst_sel:DWORD dst_unused:UNUSED_PAD src0_sel:DWORD src1_sel:WORD_1
	v_bfrev_b32_e32 v19, 60
	v_lshlrev_b32_e32 v17, 20, v17
	v_and_b32_e32 v18, 0x80000000, v18
	v_lshl_add_u32 v2, v2, 23, v19
	v_or3_b32 v2, v18, v2, v17
	v_lshrrev_b32_e32 v17, 16, v2
.LBB871_729:
	s_or_b64 exec, exec, s[10:11]
.LBB871_730:
	s_or_b64 exec, exec, s[8:9]
.LBB871_731:
	s_or_b64 exec, exec, s[2:3]
	s_mov_b32 s2, 0xffffff
	v_cmp_lt_u32_e32 vcc, s2, v3
	s_and_saveexec_b64 s[2:3], vcc
	s_cbranch_execz .LBB871_737
; %bb.732:
	v_lshrrev_b32_e32 v2, 24, v3
	s_movk_i32 s7, 0x80
	v_cmp_ne_u32_e32 vcc, s7, v2
	v_mov_b32_e32 v16, 0xffff8000
	s_and_saveexec_b64 s[8:9], vcc
	s_cbranch_execz .LBB871_736
; %bb.733:
	v_bfe_u32 v3, v3, 24, 7
	s_movk_i32 s7, 0x7f
	v_cmp_ne_u32_e32 vcc, s7, v3
	v_mov_b32_e32 v16, 0x7f80
	s_and_saveexec_b64 s[10:11], vcc
	s_cbranch_execz .LBB871_735
; %bb.734:
	v_and_b32_e32 v16, 7, v2
	v_ffbh_u32_e32 v18, v16
	v_min_u32_e32 v21, 32, v18
	v_subrev_u32_e32 v18, 28, v21
	v_lshlrev_b64 v[18:19], v18, v[2:3]
	v_lshrrev_b32_e32 v20, 3, v3
	v_sub_u32_e32 v19, 29, v21
	v_and_b32_e32 v18, 7, v18
	v_cmp_gt_u32_e32 vcc, 8, v3
	v_cndmask_b32_e32 v3, v20, v19, vcc
	v_cndmask_b32_e32 v16, v16, v18, vcc
	v_lshlrev_b32_e32 v2, 24, v2
	v_bfrev_b32_e32 v18, 60
	v_lshlrev_b32_e32 v16, 20, v16
	v_and_b32_e32 v2, 0x80000000, v2
	v_lshl_add_u32 v3, v3, 23, v18
	v_or3_b32 v2, v2, v3, v16
	v_lshrrev_b32_e32 v16, 16, v2
.LBB871_735:
	s_or_b64 exec, exec, s[10:11]
.LBB871_736:
	s_or_b64 exec, exec, s[8:9]
.LBB871_737:
	s_or_b64 exec, exec, s[2:3]
	s_mov_b32 s2, 0x5040100
	v_perm_b32 v3, v13, v14, s2
	v_perm_b32 v2, v11, v12, s2
	ds_read_b128 v[18:21], v22 offset:6144
	v_perm_b32 v13, v16, v17, s2
	v_perm_b32 v12, v10, v15, s2
	s_waitcnt lgkmcnt(0)
	v_mfma_f32_16x16x16bf16_1k v[6:9], v[2:3], v[18:19], v[6:9]
	v_mov_b32_e32 v3, 0
	v_cmp_ne_u16_sdwa s[8:9], v4, v3 src0_sel:BYTE_0 src1_sel:DWORD
	v_mov_b32_e32 v10, 0
	v_mfma_f32_16x16x16bf16_1k v[6:9], v[12:13], v[20:21], v[6:9]
	s_and_saveexec_b64 s[2:3], s[8:9]
	s_cbranch_execz .LBB871_743
; %bb.738:
	s_movk_i32 s7, 0x80
	v_cmp_ne_u16_sdwa s[10:11], v4, s7 src0_sel:BYTE_0 src1_sel:DWORD
	v_mov_b32_e32 v10, 0xffff8000
	s_and_saveexec_b64 s[8:9], s[10:11]
	s_cbranch_execz .LBB871_742
; %bb.739:
	s_movk_i32 s7, 0x7f
	v_and_b32_e32 v2, 0x7f, v4
	v_cmp_ne_u32_e32 vcc, s7, v2
	v_mov_b32_e32 v10, 0x7f80
	s_and_saveexec_b64 s[10:11], vcc
	s_cbranch_execz .LBB871_741
; %bb.740:
	v_and_b32_e32 v12, 7, v4
	v_ffbh_u32_e32 v10, v12
	v_min_u32_e32 v14, 32, v10
	v_subrev_u32_e32 v10, 28, v14
	v_lshlrev_b64 v[10:11], v10, v[4:5]
	v_lshrrev_b32_e32 v13, 3, v2
	v_sub_u32_e32 v11, 29, v14
	v_and_b32_e32 v10, 7, v10
	v_cmp_gt_u32_e32 vcc, 8, v2
	v_cndmask_b32_e32 v2, v13, v11, vcc
	v_cndmask_b32_e32 v10, v12, v10, vcc
	v_lshlrev_b32_e32 v11, 24, v4
	v_bfrev_b32_e32 v12, 60
	v_lshlrev_b32_e32 v10, 20, v10
	v_and_b32_e32 v11, 0x80000000, v11
	v_lshl_add_u32 v2, v2, 23, v12
	v_or3_b32 v2, v11, v2, v10
	v_lshrrev_b32_e32 v10, 16, v2
.LBB871_741:
	s_or_b64 exec, exec, s[10:11]
.LBB871_742:
	s_or_b64 exec, exec, s[8:9]
.LBB871_743:
	s_or_b64 exec, exec, s[2:3]
	v_lshrrev_b16_e32 v2, 8, v4
	v_cmp_ne_u16_e32 vcc, 0, v2
	s_and_saveexec_b64 s[2:3], vcc
	s_cbranch_execz .LBB871_749
; %bb.744:
	s_movk_i32 s7, 0x80
	v_cmp_ne_u16_e32 vcc, s7, v2
	v_mov_b32_e32 v3, 0xffff8000
	s_and_saveexec_b64 s[8:9], vcc
	s_cbranch_execz .LBB871_748
; %bb.745:
	s_movk_i32 s7, 0x7f
	v_and_b32_e32 v11, 0x7f, v2
	v_cmp_ne_u32_e32 vcc, s7, v11
	v_mov_b32_e32 v3, 0x7f80
	s_and_saveexec_b64 s[10:11], vcc
	s_cbranch_execz .LBB871_747
; %bb.746:
	v_and_b32_e32 v12, 7, v2
	v_ffbh_u32_e32 v3, v12
	v_min_u32_e32 v14, 32, v3
	v_subrev_u32_e32 v3, 28, v14
	v_lshlrev_b64 v[2:3], v3, v[2:3]
	v_lshrrev_b32_e32 v13, 3, v11
	v_sub_u32_e32 v3, 29, v14
	v_and_b32_e32 v2, 7, v2
	v_cmp_gt_u32_e32 vcc, 8, v11
	v_cndmask_b32_e32 v3, v13, v3, vcc
	v_cndmask_b32_e32 v2, v12, v2, vcc
	v_lshlrev_b32_e32 v11, 16, v4
	v_bfrev_b32_e32 v12, 60
	v_lshlrev_b32_e32 v2, 20, v2
	v_and_b32_e32 v11, 0x80000000, v11
	v_lshl_add_u32 v3, v3, 23, v12
	v_or3_b32 v2, v11, v3, v2
	v_lshrrev_b32_e32 v3, 16, v2
.LBB871_747:
	s_or_b64 exec, exec, s[10:11]
.LBB871_748:
	s_or_b64 exec, exec, s[8:9]
.LBB871_749:
	s_or_b64 exec, exec, s[2:3]
	s_movk_i32 s2, 0xff
	v_and_b32_sdwa v13, v4, s2 dst_sel:DWORD dst_unused:UNUSED_PAD src0_sel:WORD_1 src1_sel:DWORD
	v_lshrrev_b32_e32 v2, 16, v4
	v_cmp_ne_u16_e32 vcc, 0, v13
	v_mov_b32_e32 v11, 0
	v_mov_b32_e32 v12, 0
	s_and_saveexec_b64 s[2:3], vcc
	s_cbranch_execz .LBB871_755
; %bb.750:
	s_movk_i32 s7, 0x80
	v_cmp_ne_u16_e32 vcc, s7, v13
	v_mov_b32_e32 v12, 0xffff8000
	s_and_saveexec_b64 s[8:9], vcc
	s_cbranch_execz .LBB871_754
; %bb.751:
	v_bfe_u32 v13, v4, 16, 7
	s_movk_i32 s7, 0x7f
	v_cmp_ne_u32_e32 vcc, s7, v13
	v_mov_b32_e32 v12, 0x7f80
	s_and_saveexec_b64 s[10:11], vcc
	s_cbranch_execz .LBB871_753
; %bb.752:
	v_and_b32_e32 v12, 7, v2
	v_ffbh_u32_e32 v14, v12
	v_min_u32_e32 v17, 32, v14
	v_subrev_u32_e32 v14, 28, v17
	v_lshlrev_b64 v[14:15], v14, v[2:3]
	v_lshrrev_b32_e32 v16, 3, v13
	v_sub_u32_e32 v2, 29, v17
	v_and_b32_e32 v14, 7, v14
	v_cmp_gt_u32_e32 vcc, 8, v13
	v_mov_b32_e32 v13, 24
	v_cndmask_b32_e32 v2, v16, v2, vcc
	v_cndmask_b32_e32 v12, v12, v14, vcc
	v_lshlrev_b32_sdwa v13, v13, v4 dst_sel:DWORD dst_unused:UNUSED_PAD src0_sel:DWORD src1_sel:WORD_1
	v_bfrev_b32_e32 v14, 60
	v_lshlrev_b32_e32 v12, 20, v12
	v_and_b32_e32 v13, 0x80000000, v13
	v_lshl_add_u32 v2, v2, 23, v14
	v_or3_b32 v2, v13, v2, v12
	v_lshrrev_b32_e32 v12, 16, v2
.LBB871_753:
	s_or_b64 exec, exec, s[10:11]
.LBB871_754:
	s_or_b64 exec, exec, s[8:9]
.LBB871_755:
	s_or_b64 exec, exec, s[2:3]
	s_mov_b32 s2, 0xffffff
	v_cmp_lt_u32_e32 vcc, s2, v4
	s_and_saveexec_b64 s[2:3], vcc
	s_cbranch_execz .LBB871_761
; %bb.756:
	v_lshrrev_b32_e32 v2, 24, v4
	s_movk_i32 s7, 0x80
	v_cmp_ne_u32_e32 vcc, s7, v2
	v_mov_b32_e32 v11, 0xffff8000
	s_and_saveexec_b64 s[8:9], vcc
	s_cbranch_execz .LBB871_760
; %bb.757:
	v_bfe_u32 v4, v4, 24, 7
	s_movk_i32 s7, 0x7f
	v_cmp_ne_u32_e32 vcc, s7, v4
	v_mov_b32_e32 v11, 0x7f80
	s_and_saveexec_b64 s[10:11], vcc
	s_cbranch_execz .LBB871_759
; %bb.758:
	v_and_b32_e32 v11, 7, v2
	v_ffbh_u32_e32 v14, v11
	v_min_u32_e32 v16, 32, v14
	v_subrev_u32_e32 v14, 28, v16
	v_lshlrev_b64 v[14:15], v14, v[2:3]
	v_lshrrev_b32_e32 v13, 3, v4
	v_sub_u32_e32 v15, 29, v16
	v_and_b32_e32 v14, 7, v14
	v_cmp_gt_u32_e32 vcc, 8, v4
	v_cndmask_b32_e32 v4, v13, v15, vcc
	v_cndmask_b32_e32 v11, v11, v14, vcc
	v_lshlrev_b32_e32 v2, 24, v2
	v_bfrev_b32_e32 v13, 60
	v_lshlrev_b32_e32 v11, 20, v11
	v_and_b32_e32 v2, 0x80000000, v2
	v_lshl_add_u32 v4, v4, 23, v13
	v_or3_b32 v2, v2, v4, v11
	v_lshrrev_b32_e32 v11, 16, v2
.LBB871_759:
	s_or_b64 exec, exec, s[10:11]
.LBB871_760:
	s_or_b64 exec, exec, s[8:9]
.LBB871_761:
	s_or_b64 exec, exec, s[2:3]
	v_mov_b32_e32 v4, 0
	v_cmp_ne_u16_sdwa s[8:9], v5, v4 src0_sel:BYTE_0 src1_sel:DWORD
	v_mov_b32_e32 v13, 0
	s_and_saveexec_b64 s[2:3], s[8:9]
	s_cbranch_execz .LBB871_767
; %bb.762:
	s_movk_i32 s7, 0x80
	v_cmp_ne_u16_sdwa s[10:11], v5, s7 src0_sel:BYTE_0 src1_sel:DWORD
	v_mov_b32_e32 v13, 0xffff8000
	s_and_saveexec_b64 s[8:9], s[10:11]
	s_cbranch_execz .LBB871_766
; %bb.763:
	s_movk_i32 s7, 0x7f
	v_and_b32_e32 v2, 0x7f, v5
	v_cmp_ne_u32_e32 vcc, s7, v2
	v_mov_b32_e32 v13, 0x7f80
	s_and_saveexec_b64 s[10:11], vcc
	s_cbranch_execz .LBB871_765
; %bb.764:
	v_and_b32_e32 v13, 7, v5
	v_ffbh_u32_e32 v15, v13
	v_min_u32_e32 v17, 32, v15
	v_mov_b32_e32 v14, v5
	v_subrev_u32_e32 v15, 28, v17
	v_lshlrev_b64 v[14:15], v15, v[14:15]
	v_lshrrev_b32_e32 v16, 3, v2
	v_sub_u32_e32 v15, 29, v17
	v_and_b32_e32 v14, 7, v14
	v_cmp_gt_u32_e32 vcc, 8, v2
	v_cndmask_b32_e32 v2, v16, v15, vcc
	v_cndmask_b32_e32 v13, v13, v14, vcc
	v_lshlrev_b32_e32 v14, 24, v5
	v_bfrev_b32_e32 v15, 60
	v_lshlrev_b32_e32 v13, 20, v13
	v_and_b32_e32 v14, 0x80000000, v14
	v_lshl_add_u32 v2, v2, 23, v15
	v_or3_b32 v2, v14, v2, v13
	v_lshrrev_b32_e32 v13, 16, v2
.LBB871_765:
	s_or_b64 exec, exec, s[10:11]
.LBB871_766:
	s_or_b64 exec, exec, s[8:9]
.LBB871_767:
	s_or_b64 exec, exec, s[2:3]
	v_lshrrev_b16_e32 v2, 8, v5
	v_cmp_ne_u16_e32 vcc, 0, v2
	s_and_saveexec_b64 s[2:3], vcc
	s_cbranch_execz .LBB871_773
; %bb.768:
	s_movk_i32 s7, 0x80
	v_cmp_ne_u16_e32 vcc, s7, v2
	v_mov_b32_e32 v4, 0xffff8000
	s_and_saveexec_b64 s[8:9], vcc
	s_cbranch_execz .LBB871_772
; %bb.769:
	s_movk_i32 s7, 0x7f
	v_and_b32_e32 v14, 0x7f, v2
	v_cmp_ne_u32_e32 vcc, s7, v14
	v_mov_b32_e32 v4, 0x7f80
	s_and_saveexec_b64 s[10:11], vcc
	s_cbranch_execz .LBB871_771
; %bb.770:
	v_and_b32_e32 v4, 7, v2
	v_ffbh_u32_e32 v16, v4
	v_min_u32_e32 v18, 32, v16
	v_subrev_u32_e32 v16, 28, v18
	v_lshlrev_b64 v[16:17], v16, v[2:3]
	v_lshrrev_b32_e32 v15, 3, v14
	v_sub_u32_e32 v2, 29, v18
	v_and_b32_e32 v16, 7, v16
	v_cmp_gt_u32_e32 vcc, 8, v14
	v_cndmask_b32_e32 v2, v15, v2, vcc
	v_cndmask_b32_e32 v4, v4, v16, vcc
	v_lshlrev_b32_e32 v14, 16, v5
	v_bfrev_b32_e32 v15, 60
	v_lshlrev_b32_e32 v4, 20, v4
	v_and_b32_e32 v14, 0x80000000, v14
	v_lshl_add_u32 v2, v2, 23, v15
	v_or3_b32 v2, v14, v2, v4
	v_lshrrev_b32_e32 v4, 16, v2
.LBB871_771:
	s_or_b64 exec, exec, s[10:11]
.LBB871_772:
	s_or_b64 exec, exec, s[8:9]
.LBB871_773:
	s_or_b64 exec, exec, s[2:3]
	s_movk_i32 s2, 0xff
	v_and_b32_sdwa v16, v5, s2 dst_sel:DWORD dst_unused:UNUSED_PAD src0_sel:WORD_1 src1_sel:DWORD
	v_lshrrev_b32_e32 v2, 16, v5
	v_cmp_ne_u16_e32 vcc, 0, v16
	v_mov_b32_e32 v14, 0
	v_mov_b32_e32 v15, 0
	s_and_saveexec_b64 s[2:3], vcc
	s_cbranch_execz .LBB871_779
; %bb.774:
	s_movk_i32 s7, 0x80
	v_cmp_ne_u16_e32 vcc, s7, v16
	v_mov_b32_e32 v15, 0xffff8000
	s_and_saveexec_b64 s[8:9], vcc
	s_cbranch_execz .LBB871_778
; %bb.775:
	v_bfe_u32 v16, v5, 16, 7
	s_movk_i32 s7, 0x7f
	v_cmp_ne_u32_e32 vcc, s7, v16
	v_mov_b32_e32 v15, 0x7f80
	s_and_saveexec_b64 s[10:11], vcc
	s_cbranch_execz .LBB871_777
; %bb.776:
	v_and_b32_e32 v15, 7, v2
	v_ffbh_u32_e32 v18, v15
	v_min_u32_e32 v20, 32, v18
	v_subrev_u32_e32 v18, 28, v20
	v_lshlrev_b64 v[18:19], v18, v[2:3]
	v_lshrrev_b32_e32 v17, 3, v16
	v_sub_u32_e32 v2, 29, v20
	v_and_b32_e32 v18, 7, v18
	v_cmp_gt_u32_e32 vcc, 8, v16
	v_mov_b32_e32 v16, 24
	v_cndmask_b32_e32 v2, v17, v2, vcc
	v_cndmask_b32_e32 v15, v15, v18, vcc
	v_lshlrev_b32_sdwa v16, v16, v5 dst_sel:DWORD dst_unused:UNUSED_PAD src0_sel:DWORD src1_sel:WORD_1
	v_bfrev_b32_e32 v17, 60
	v_lshlrev_b32_e32 v15, 20, v15
	v_and_b32_e32 v16, 0x80000000, v16
	v_lshl_add_u32 v2, v2, 23, v17
	v_or3_b32 v2, v16, v2, v15
	v_lshrrev_b32_e32 v15, 16, v2
.LBB871_777:
	s_or_b64 exec, exec, s[10:11]
.LBB871_778:
	s_or_b64 exec, exec, s[8:9]
.LBB871_779:
	s_or_b64 exec, exec, s[2:3]
	s_mov_b32 s2, 0xffffff
	v_cmp_lt_u32_e32 vcc, s2, v5
	s_and_saveexec_b64 s[2:3], vcc
	s_cbranch_execz .LBB871_785
; %bb.780:
	v_lshrrev_b32_e32 v2, 24, v5
	s_movk_i32 s7, 0x80
	v_cmp_ne_u32_e32 vcc, s7, v2
	v_mov_b32_e32 v14, 0xffff8000
	s_and_saveexec_b64 s[8:9], vcc
	s_cbranch_execz .LBB871_784
; %bb.781:
	v_bfe_u32 v5, v5, 24, 7
	s_movk_i32 s7, 0x7f
	v_cmp_ne_u32_e32 vcc, s7, v5
	v_mov_b32_e32 v14, 0x7f80
	s_and_saveexec_b64 s[10:11], vcc
	s_cbranch_execz .LBB871_783
; %bb.782:
	v_and_b32_e32 v14, 7, v2
	v_ffbh_u32_e32 v16, v14
	v_min_u32_e32 v19, 32, v16
	v_subrev_u32_e32 v16, 28, v19
	v_lshlrev_b64 v[16:17], v16, v[2:3]
	v_lshrrev_b32_e32 v18, 3, v5
	v_sub_u32_e32 v17, 29, v19
	v_and_b32_e32 v16, 7, v16
	v_cmp_gt_u32_e32 vcc, 8, v5
	v_cndmask_b32_e32 v5, v18, v17, vcc
	v_cndmask_b32_e32 v14, v14, v16, vcc
	v_lshlrev_b32_e32 v2, 24, v2
	v_bfrev_b32_e32 v16, 60
	v_lshlrev_b32_e32 v14, 20, v14
	v_and_b32_e32 v2, 0x80000000, v2
	v_lshl_add_u32 v5, v5, 23, v16
	v_or3_b32 v2, v2, v5, v14
	v_lshrrev_b32_e32 v14, 16, v2
.LBB871_783:
	s_or_b64 exec, exec, s[10:11]
.LBB871_784:
	s_or_b64 exec, exec, s[8:9]
.LBB871_785:
	s_or_b64 exec, exec, s[2:3]
	s_mov_b32 s3, 0x5040100
	v_perm_b32 v11, v11, v12, s3
	ds_read_b128 v[16:19], v22 offset:6160
	v_perm_b32 v10, v3, v10, s3
	v_perm_b32 v3, v14, v15, s3
	;; [unrolled: 1-line block ×3, first 2 shown]
	s_waitcnt lgkmcnt(0)
	v_mfma_f32_16x16x16bf16_1k v[6:9], v[10:11], v[16:17], v[6:9]
	s_load_dword s2, s[42:43], 0x0
	s_mov_b32 s3, 0x7060302
	s_movk_i32 s7, 0x7fff
	v_cmp_gt_u32_e32 vcc, 64, v0
	s_and_b64 s[0:1], vcc, s[0:1]
	s_waitcnt lgkmcnt(0)
	s_barrier
	v_mfma_f32_16x16x16bf16_1k v[2:5], v[2:3], v[18:19], v[6:9]
	s_nop 7
	s_nop 2
	v_pk_mul_f32 v[4:5], v[4:5], s[2:3] op_sel_hi:[1,0]
	v_pk_mul_f32 v[2:3], v[2:3], s[2:3] op_sel_hi:[1,0]
	v_bfe_u32 v6, v3, 16, 1
	v_bfe_u32 v7, v2, 16, 1
	;; [unrolled: 1-line block ×4, first 2 shown]
	v_add3_u32 v2, v2, v7, s7
	v_add3_u32 v3, v3, v6, s7
	;; [unrolled: 1-line block ×4, first 2 shown]
	v_perm_b32 v2, v3, v2, s3
	v_perm_b32 v3, v5, v4, s3
	ds_write_b64 v26, v[2:3]
	s_waitcnt lgkmcnt(0)
	s_barrier
	s_and_saveexec_b64 s[2:3], s[0:1]
	s_cbranch_execz .LBB871_788
; %bb.786:
	s_load_dwordx2 s[2:3], s[4:5], 0x68
	s_lshl_b32 s0, s44, 6
	s_mul_i32 s1, s12, s6
	s_mul_hi_u32 s7, s1, s0
	s_mul_i32 s6, s1, s0
	s_lshl_b64 s[6:7], s[6:7], 1
	s_waitcnt lgkmcnt(0)
	s_add_u32 s1, s2, s6
	v_lshlrev_b32_e32 v0, 10, v0
	s_mov_b32 s5, 0
	s_addc_u32 s6, s3, s7
	s_lshl_b32 s4, s24, 6
	v_and_b32_e32 v0, 0x1800, v0
	v_lshlrev_b32_e32 v2, 5, v1
	v_and_b32_e32 v3, 16, v47
	s_lshl_b64 s[2:3], s[4:5], 1
	v_or3_b32 v0, v0, v2, v3
	s_add_u32 s1, s1, s2
	v_or_b32_e32 v2, 8, v1
	s_addc_u32 s2, s6, s3
	ds_read_b128 v[6:9], v0 offset:128
	ds_read_b128 v[10:13], v0
	v_add_u32_e32 v1, s25, v1
	v_mov_b32_e32 v4, s2
	v_add_co_u32_e32 v3, vcc, s1, v46
	v_mad_u64_u32 v[14:15], s[2:3], v1, s0, 0
	v_addc_co_u32_e32 v4, vcc, 0, v4, vcc
	v_lshlrev_b64 v[14:15], 1, v[14:15]
	v_add_co_u32_e32 v14, vcc, v3, v14
	v_addc_co_u32_e32 v15, vcc, v4, v15, vcc
	v_add_u32_e32 v1, 4, v1
	s_waitcnt lgkmcnt(0)
	global_store_dwordx4 v[14:15], v[10:13], off
	s_nop 0
	v_mad_u64_u32 v[10:11], s[2:3], v1, s0, 0
	v_lshlrev_b64 v[10:11], 1, v[10:11]
	v_add_co_u32_e32 v10, vcc, v3, v10
	v_addc_co_u32_e32 v11, vcc, v4, v11, vcc
	v_cmp_gt_u32_e32 vcc, 10, v2
	global_store_dwordx4 v[10:11], v[6:9], off
	s_and_b64 exec, exec, vcc
	s_cbranch_execz .LBB871_788
; %bb.787:
	ds_read_b128 v[6:9], v0 offset:256
	v_add_u32_e32 v0, s25, v2
	v_mad_u64_u32 v[0:1], s[0:1], v0, s0, 0
	v_lshlrev_b64 v[0:1], 1, v[0:1]
	v_add_co_u32_e32 v0, vcc, v3, v0
	v_addc_co_u32_e32 v1, vcc, v4, v1, vcc
	s_waitcnt lgkmcnt(0)
	global_store_dwordx4 v[0:1], v[6:9], off
.LBB871_788:
	s_endpgm
	.section	.rodata,"a",@progbits
	.p2align	6, 0x0
	.amdhsa_kernel _Z39paged_attention_ll4mi_QKV_mfma16_kernelI14__hip_bfloat16hLN4vllm18Fp8KVCacheDataTypeE1ES0_Li32ELi64ELi256ELb1ELi10EL8MFMAType0EEvPKT_PKT0_S9_ifPKiSB_SB_iPKfiiiPfSE_PS4_PT2_iSD_SD_
		.amdhsa_group_segment_fixed_size 8192
		.amdhsa_private_segment_fixed_size 0
		.amdhsa_kernarg_size 400
		.amdhsa_user_sgpr_count 6
		.amdhsa_user_sgpr_private_segment_buffer 1
		.amdhsa_user_sgpr_dispatch_ptr 0
		.amdhsa_user_sgpr_queue_ptr 0
		.amdhsa_user_sgpr_kernarg_segment_ptr 1
		.amdhsa_user_sgpr_dispatch_id 0
		.amdhsa_user_sgpr_flat_scratch_init 0
		.amdhsa_user_sgpr_kernarg_preload_length 0
		.amdhsa_user_sgpr_kernarg_preload_offset 0
		.amdhsa_user_sgpr_private_segment_size 0
		.amdhsa_uses_dynamic_stack 0
		.amdhsa_system_sgpr_private_segment_wavefront_offset 0
		.amdhsa_system_sgpr_workgroup_id_x 1
		.amdhsa_system_sgpr_workgroup_id_y 1
		.amdhsa_system_sgpr_workgroup_id_z 1
		.amdhsa_system_sgpr_workgroup_info 0
		.amdhsa_system_vgpr_workitem_id 0
		.amdhsa_next_free_vgpr 63
		.amdhsa_next_free_sgpr 47
		.amdhsa_accum_offset 64
		.amdhsa_reserve_vcc 1
		.amdhsa_reserve_flat_scratch 0
		.amdhsa_float_round_mode_32 0
		.amdhsa_float_round_mode_16_64 0
		.amdhsa_float_denorm_mode_32 3
		.amdhsa_float_denorm_mode_16_64 3
		.amdhsa_dx10_clamp 1
		.amdhsa_ieee_mode 1
		.amdhsa_fp16_overflow 0
		.amdhsa_tg_split 0
		.amdhsa_exception_fp_ieee_invalid_op 0
		.amdhsa_exception_fp_denorm_src 0
		.amdhsa_exception_fp_ieee_div_zero 0
		.amdhsa_exception_fp_ieee_overflow 0
		.amdhsa_exception_fp_ieee_underflow 0
		.amdhsa_exception_fp_ieee_inexact 0
		.amdhsa_exception_int_div_zero 0
	.end_amdhsa_kernel
	.section	.text._Z39paged_attention_ll4mi_QKV_mfma16_kernelI14__hip_bfloat16hLN4vllm18Fp8KVCacheDataTypeE1ES0_Li32ELi64ELi256ELb1ELi10EL8MFMAType0EEvPKT_PKT0_S9_ifPKiSB_SB_iPKfiiiPfSE_PS4_PT2_iSD_SD_,"axG",@progbits,_Z39paged_attention_ll4mi_QKV_mfma16_kernelI14__hip_bfloat16hLN4vllm18Fp8KVCacheDataTypeE1ES0_Li32ELi64ELi256ELb1ELi10EL8MFMAType0EEvPKT_PKT0_S9_ifPKiSB_SB_iPKfiiiPfSE_PS4_PT2_iSD_SD_,comdat
.Lfunc_end871:
	.size	_Z39paged_attention_ll4mi_QKV_mfma16_kernelI14__hip_bfloat16hLN4vllm18Fp8KVCacheDataTypeE1ES0_Li32ELi64ELi256ELb1ELi10EL8MFMAType0EEvPKT_PKT0_S9_ifPKiSB_SB_iPKfiiiPfSE_PS4_PT2_iSD_SD_, .Lfunc_end871-_Z39paged_attention_ll4mi_QKV_mfma16_kernelI14__hip_bfloat16hLN4vllm18Fp8KVCacheDataTypeE1ES0_Li32ELi64ELi256ELb1ELi10EL8MFMAType0EEvPKT_PKT0_S9_ifPKiSB_SB_iPKfiiiPfSE_PS4_PT2_iSD_SD_
                                        ; -- End function
	.section	.AMDGPU.csdata,"",@progbits
; Kernel info:
; codeLenInByte = 28748
; NumSgprs: 51
; NumVgprs: 63
; NumAgprs: 0
; TotalNumVgprs: 63
; ScratchSize: 0
; MemoryBound: 0
; FloatMode: 240
; IeeeMode: 1
; LDSByteSize: 8192 bytes/workgroup (compile time only)
; SGPRBlocks: 6
; VGPRBlocks: 7
; NumSGPRsForWavesPerEU: 51
; NumVGPRsForWavesPerEU: 63
; AccumOffset: 64
; Occupancy: 8
; WaveLimiterHint : 1
; COMPUTE_PGM_RSRC2:SCRATCH_EN: 0
; COMPUTE_PGM_RSRC2:USER_SGPR: 6
; COMPUTE_PGM_RSRC2:TRAP_HANDLER: 0
; COMPUTE_PGM_RSRC2:TGID_X_EN: 1
; COMPUTE_PGM_RSRC2:TGID_Y_EN: 1
; COMPUTE_PGM_RSRC2:TGID_Z_EN: 1
; COMPUTE_PGM_RSRC2:TIDIG_COMP_CNT: 0
; COMPUTE_PGM_RSRC3_GFX90A:ACCUM_OFFSET: 15
; COMPUTE_PGM_RSRC3_GFX90A:TG_SPLIT: 0
	.section	.text._Z39paged_attention_ll4mi_QKV_mfma16_kernelI14__hip_bfloat16hLN4vllm18Fp8KVCacheDataTypeE1ES0_Li32ELi64ELi256ELb1ELi11EL8MFMAType0EEvPKT_PKT0_S9_ifPKiSB_SB_iPKfiiiPfSE_PS4_PT2_iSD_SD_,"axG",@progbits,_Z39paged_attention_ll4mi_QKV_mfma16_kernelI14__hip_bfloat16hLN4vllm18Fp8KVCacheDataTypeE1ES0_Li32ELi64ELi256ELb1ELi11EL8MFMAType0EEvPKT_PKT0_S9_ifPKiSB_SB_iPKfiiiPfSE_PS4_PT2_iSD_SD_,comdat
	.protected	_Z39paged_attention_ll4mi_QKV_mfma16_kernelI14__hip_bfloat16hLN4vllm18Fp8KVCacheDataTypeE1ES0_Li32ELi64ELi256ELb1ELi11EL8MFMAType0EEvPKT_PKT0_S9_ifPKiSB_SB_iPKfiiiPfSE_PS4_PT2_iSD_SD_ ; -- Begin function _Z39paged_attention_ll4mi_QKV_mfma16_kernelI14__hip_bfloat16hLN4vllm18Fp8KVCacheDataTypeE1ES0_Li32ELi64ELi256ELb1ELi11EL8MFMAType0EEvPKT_PKT0_S9_ifPKiSB_SB_iPKfiiiPfSE_PS4_PT2_iSD_SD_
	.globl	_Z39paged_attention_ll4mi_QKV_mfma16_kernelI14__hip_bfloat16hLN4vllm18Fp8KVCacheDataTypeE1ES0_Li32ELi64ELi256ELb1ELi11EL8MFMAType0EEvPKT_PKT0_S9_ifPKiSB_SB_iPKfiiiPfSE_PS4_PT2_iSD_SD_
	.p2align	8
	.type	_Z39paged_attention_ll4mi_QKV_mfma16_kernelI14__hip_bfloat16hLN4vllm18Fp8KVCacheDataTypeE1ES0_Li32ELi64ELi256ELb1ELi11EL8MFMAType0EEvPKT_PKT0_S9_ifPKiSB_SB_iPKfiiiPfSE_PS4_PT2_iSD_SD_,@function
_Z39paged_attention_ll4mi_QKV_mfma16_kernelI14__hip_bfloat16hLN4vllm18Fp8KVCacheDataTypeE1ES0_Li32ELi64ELi256ELb1ELi11EL8MFMAType0EEvPKT_PKT0_S9_ifPKiSB_SB_iPKfiiiPfSE_PS4_PT2_iSD_SD_: ; @_Z39paged_attention_ll4mi_QKV_mfma16_kernelI14__hip_bfloat16hLN4vllm18Fp8KVCacheDataTypeE1ES0_Li32ELi64ELi256ELb1ELi11EL8MFMAType0EEvPKT_PKT0_S9_ifPKiSB_SB_iPKfiiiPfSE_PS4_PT2_iSD_SD_
; %bb.0:
	s_load_dwordx2 s[0:1], s[4:5], 0x30
	s_mov_b32 s24, s7
	s_mov_b64 s[10:11], 0
	s_waitcnt lgkmcnt(0)
	s_cmp_lg_u64 s[0:1], 0
	s_cselect_b64 s[2:3], -1, 0
	s_and_b64 vcc, exec, s[2:3]
	s_cbranch_vccz .LBB872_7
; %bb.1:
	s_add_i32 s12, s6, 1
	s_mov_b32 s13, 0
	s_lshl_b64 s[14:15], s[12:13], 2
	s_add_u32 s14, s0, s14
	s_mov_b32 s7, s13
	s_addc_u32 s15, s1, s15
	s_lshl_b64 s[12:13], s[6:7], 2
	s_add_u32 s12, s0, s12
	s_addc_u32 s13, s1, s13
	s_load_dword s9, s[14:15], 0x0
	s_load_dword s16, s[12:13], 0x0
	s_waitcnt lgkmcnt(0)
	s_sub_i32 s9, s9, s16
	s_cmp_eq_u32 s9, 1
	s_cselect_b64 s[12:13], -1, 0
	s_andn2_b64 vcc, exec, s[10:11]
	s_cbranch_vccnz .LBB872_3
.LBB872_2:
	s_mov_b32 s7, 0
	s_mov_b64 s[12:13], -1
.LBB872_3:
	s_andn2_b64 vcc, exec, s[12:13]
	s_cbranch_vccnz .LBB872_788
; %bb.4:
	s_load_dwordx2 s[12:13], s[4:5], 0x28
	s_lshl_b64 s[10:11], s[6:7], 2
	s_waitcnt lgkmcnt(0)
	s_add_u32 s12, s12, s10
	s_addc_u32 s13, s13, s11
	s_load_dword s33, s[12:13], 0x0
	s_lshl_b32 s18, s24, 8
	s_waitcnt lgkmcnt(0)
	s_cmp_ge_i32 s18, s33
	s_cbranch_scc1 .LBB872_788
; %bb.5:
	s_add_i32 s14, s33, 31
	s_load_dwordx2 s[12:13], s[4:5], 0x20
	s_load_dword s9, s[4:5], 0x38
	s_ashr_i32 s15, s14, 31
	v_and_b32_e32 v1, 0xcf, v0
	s_lshr_b32 s15, s15, 27
	v_add_u32_e32 v1, s18, v1
	s_add_i32 s14, s14, s15
	v_ashrrev_i32_e32 v2, 31, v1
	s_ashr_i32 s21, s14, 5
	v_lshrrev_b32_e32 v4, 27, v2
	s_add_i32 s21, s21, -1
	v_add_u32_e32 v2, v1, v4
	s_waitcnt lgkmcnt(0)
	s_mul_i32 s14, s6, s9
	s_mov_b32 s15, 0
	v_ashrrev_i32_e32 v2, 5, v2
	v_mov_b32_e32 v5, s21
	v_cmp_gt_i32_e32 vcc, s33, v1
	s_lshl_b64 s[14:15], s[14:15], 2
	v_cndmask_b32_e32 v2, v5, v2, vcc
	s_add_u32 s19, s12, s14
	v_ashrrev_i32_e32 v3, 31, v2
	s_addc_u32 s20, s13, s15
	v_lshlrev_b64 v[2:3], 2, v[2:3]
	v_mov_b32_e32 v7, s20
	v_add_co_u32_e32 v6, vcc, s19, v2
	v_or_b32_e32 v2, 16, v1
	v_addc_co_u32_e32 v7, vcc, v7, v3, vcc
	v_add_u32_e32 v3, v2, v4
	v_ashrrev_i32_e32 v3, 5, v3
	v_cmp_gt_i32_e32 vcc, s33, v2
	v_cndmask_b32_e32 v2, v5, v3, vcc
	v_ashrrev_i32_e32 v3, 31, v2
	v_lshlrev_b64 v[2:3], 2, v[2:3]
	v_mov_b32_e32 v9, s20
	v_add_co_u32_e32 v8, vcc, s19, v2
	v_or_b32_e32 v2, 32, v1
	v_addc_co_u32_e32 v9, vcc, v9, v3, vcc
	v_add_u32_e32 v3, v2, v4
	v_ashrrev_i32_e32 v3, 5, v3
	v_cmp_gt_i32_e32 vcc, s33, v2
	v_cndmask_b32_e32 v2, v5, v3, vcc
	v_ashrrev_i32_e32 v3, 31, v2
	;; [unrolled: 10-line block ×3, first 2 shown]
	v_lshlrev_b64 v[2:3], 2, v[2:3]
	v_mov_b32_e32 v1, s20
	v_add_co_u32_e32 v12, vcc, s19, v2
	v_addc_co_u32_e32 v13, vcc, v1, v3, vcc
	global_load_dword v5, v[6:7], off
	global_load_dword v4, v[8:9], off
	;; [unrolled: 1-line block ×4, first 2 shown]
	s_load_dwordx2 s[16:17], s[4:5], 0x8
	s_andn2_b64 vcc, exec, s[2:3]
	s_cbranch_vccnz .LBB872_8
; %bb.6:
	s_add_u32 s0, s0, s10
	s_addc_u32 s1, s1, s11
	s_load_dword s9, s[0:1], 0x0
	s_branch .LBB872_9
.LBB872_7:
	s_mov_b64 s[12:13], 0
	s_branch .LBB872_2
.LBB872_8:
	s_mov_b32 s9, s6
.LBB872_9:
	s_load_dwordx2 s[2:3], s[4:5], 0x10
	s_load_dwordx4 s[12:15], s[4:5], 0x48
	v_lshrrev_b32_e32 v50, 6, v0
	v_bfe_u32 v1, v0, 4, 2
	v_lshl_or_b32 v6, v50, 2, v1
	v_and_b32_e32 v49, 15, v0
	v_lshlrev_b32_e32 v7, 3, v49
	v_cmp_gt_u32_e32 vcc, 11, v6
	v_cmp_gt_u32_e64 s[0:1], 8, v49
	s_mul_i32 s25, s8, 11
	s_and_b64 s[22:23], s[0:1], vcc
	v_lshlrev_b32_e32 v46, 1, v7
	v_lshlrev_b32_e32 v47, 4, v0
	s_and_saveexec_b64 s[10:11], s[22:23]
	s_cbranch_execz .LBB872_11
; %bb.10:
	s_load_dwordx2 s[22:23], s[4:5], 0x0
	s_waitcnt lgkmcnt(0)
	s_ashr_i32 s15, s12, 31
	s_mul_hi_u32 s26, s9, s12
	s_mul_i32 s15, s9, s15
	s_add_i32 s27, s26, s15
	s_mul_i32 s26, s9, s12
	s_lshl_b64 s[26:27], s[26:27], 1
	v_add_lshl_u32 v8, v6, s25, 6
	s_add_u32 s9, s22, s26
	v_ashrrev_i32_e32 v9, 31, v8
	s_addc_u32 s12, s23, s27
	v_lshlrev_b64 v[8:9], 1, v[8:9]
	v_mov_b32_e32 v7, s12
	v_add_co_u32_e32 v8, vcc, s9, v8
	v_addc_co_u32_e32 v7, vcc, v7, v9, vcc
	v_add_co_u32_e32 v8, vcc, v8, v46
	v_addc_co_u32_e32 v9, vcc, 0, v7, vcc
	global_load_dwordx4 v[8:11], v[8:9], off
	v_lshlrev_b32_e32 v12, 8, v49
	v_lshlrev_b32_e32 v6, 5, v6
	v_and_b32_e32 v7, 16, v47
	v_and_b32_e32 v12, 0xe00, v12
	v_or3_b32 v6, v12, v6, v7
	s_waitcnt vmcnt(0)
	ds_write_b128 v6, v[8:11]
.LBB872_11:
	s_or_b64 exec, exec, s[10:11]
	s_waitcnt lgkmcnt(0)
	s_mul_i32 s10, s8, s14
	s_add_u32 s8, s16, s10
	s_addc_u32 s9, s17, 0
	v_pk_mov_b32 v[8:9], s[8:9], s[8:9] op_sel:[0,1]
	s_waitcnt vmcnt(3)
	v_mad_i64_i32 v[10:11], s[8:9], v5, s13, v[8:9]
	v_lshlrev_b32_e32 v12, 4, v49
	v_and_b32_e32 v6, 48, v0
	v_add_co_u32_e32 v5, vcc, v10, v12
	v_lshlrev_b32_e32 v7, 5, v6
	v_addc_co_u32_e32 v11, vcc, 0, v11, vcc
	v_add_co_u32_e32 v10, vcc, v5, v7
	v_addc_co_u32_e32 v11, vcc, 0, v11, vcc
	s_waitcnt vmcnt(2)
	v_mad_i64_i32 v[4:5], s[8:9], v4, s13, v[8:9]
	v_or_b32_e32 v13, 0x100, v12
	v_add_co_u32_e32 v4, vcc, v4, v13
	v_addc_co_u32_e32 v5, vcc, 0, v5, vcc
	v_add_co_u32_e32 v4, vcc, v4, v7
	v_addc_co_u32_e32 v5, vcc, 0, v5, vcc
	s_barrier
	global_load_dwordx4 v[34:37], v[10:11], off
	global_load_dwordx4 v[38:41], v[4:5], off
	s_waitcnt vmcnt(3)
	v_mad_i64_i32 v[4:5], s[8:9], v3, s13, v[8:9]
	v_add_co_u32_e32 v3, vcc, v4, v12
	v_addc_co_u32_e32 v5, vcc, 0, v5, vcc
	v_add_co_u32_e32 v4, vcc, v3, v7
	v_addc_co_u32_e32 v5, vcc, 0, v5, vcc
	s_waitcnt vmcnt(2)
	v_mad_i64_i32 v[2:3], s[8:9], v2, s13, v[8:9]
	v_add_co_u32_e32 v2, vcc, v2, v13
	v_addc_co_u32_e32 v3, vcc, 0, v3, vcc
	v_add_co_u32_e32 v2, vcc, v2, v7
	v_addc_co_u32_e32 v3, vcc, 0, v3, vcc
	global_load_dwordx4 v[30:33], v[4:5], off
	global_load_dwordx4 v[22:25], v[2:3], off
	v_add_u32_e32 v2, -11, v49
	v_cmp_gt_u32_e32 vcc, 11, v49
	v_cndmask_b32_e32 v2, v2, v49, vcc
	v_lshlrev_b32_e32 v2, 5, v2
	v_lshl_add_u32 v2, v1, 9, v2
	ds_read_b128 v[26:29], v2
	ds_read_b128 v[18:21], v2 offset:16
	v_mov_b32_e32 v43, 0
	v_mov_b32_e32 v51, 0
	s_and_saveexec_b64 s[8:9], vcc
	s_cbranch_execz .LBB872_13
; %bb.12:
	s_load_dwordx2 s[14:15], s[4:5], 0x40
	v_add_u32_e32 v2, s25, v49
	v_ashrrev_i32_e32 v3, 31, v2
	v_lshlrev_b64 v[2:3], 2, v[2:3]
	s_waitcnt lgkmcnt(0)
	v_mov_b32_e32 v4, s15
	v_add_co_u32_e32 v2, vcc, s14, v2
	v_addc_co_u32_e32 v3, vcc, v4, v3, vcc
	global_load_dword v51, v[2:3], off
.LBB872_13:
	s_or_b64 exec, exec, s[8:9]
	s_ashr_i32 s8, s18, 31
	v_or_b32_e32 v8, s18, v6
	s_lshr_b32 s8, s8, 27
	v_add_u32_e32 v2, s8, v8
	v_ashrrev_i32_e32 v2, 5, v2
	v_mov_b32_e32 v9, s21
	v_cmp_gt_i32_e32 vcc, s33, v8
	v_cndmask_b32_e32 v2, v9, v2, vcc
	v_ashrrev_i32_e32 v3, 31, v2
	v_lshlrev_b64 v[2:3], 2, v[2:3]
	v_mov_b32_e32 v4, s20
	v_add_co_u32_e32 v2, vcc, s19, v2
	v_addc_co_u32_e32 v3, vcc, v4, v3, vcc
	v_or_b32_e32 v4, 64, v8
	v_add_u32_e32 v5, s8, v4
	v_ashrrev_i32_e32 v5, 5, v5
	v_cmp_gt_i32_e32 vcc, s33, v4
	v_cndmask_b32_e32 v4, v9, v5, vcc
	v_ashrrev_i32_e32 v5, 31, v4
	v_lshlrev_b64 v[4:5], 2, v[4:5]
	v_mov_b32_e32 v6, s20
	v_add_co_u32_e32 v4, vcc, s19, v4
	v_addc_co_u32_e32 v5, vcc, v6, v5, vcc
	v_or_b32_e32 v6, 0x80, v8
	v_add_u32_e32 v7, s8, v6
	v_ashrrev_i32_e32 v7, 5, v7
	v_cmp_gt_i32_e32 vcc, s33, v6
	v_cndmask_b32_e32 v6, v9, v7, vcc
	v_ashrrev_i32_e32 v7, 31, v6
	v_lshlrev_b64 v[6:7], 2, v[6:7]
	v_mov_b32_e32 v10, s20
	v_add_co_u32_e32 v6, vcc, s19, v6
	v_addc_co_u32_e32 v7, vcc, v10, v7, vcc
	global_load_dword v10, v[2:3], off
	global_load_dword v11, v[4:5], off
	;; [unrolled: 1-line block ×3, first 2 shown]
	v_or_b32_e32 v2, 0xc0, v8
	v_add_u32_e32 v3, s8, v2
	v_ashrrev_i32_e32 v3, 5, v3
	v_cmp_gt_i32_e32 vcc, s33, v2
	v_cndmask_b32_e32 v2, v9, v3, vcc
	v_ashrrev_i32_e32 v3, 31, v2
	v_lshlrev_b64 v[2:3], 2, v[2:3]
	v_mov_b32_e32 v4, s20
	v_add_co_u32_e32 v2, vcc, s19, v2
	v_addc_co_u32_e32 v3, vcc, v4, v3, vcc
	global_load_dword v13, v[2:3], off
	s_add_u32 s2, s2, s10
	v_and_b32_e32 v2, 16, v0
	s_addc_u32 s3, s3, 0
	v_lshlrev_b32_e32 v48, 5, v49
	v_mov_b32_e32 v4, s3
	v_add_co_u32_e32 v2, vcc, s2, v2
	v_lshl_or_b32 v3, v50, 9, v48
	v_addc_co_u32_e32 v4, vcc, 0, v4, vcc
	v_add_co_u32_e32 v2, vcc, v2, v3
	v_addc_co_u32_e32 v3, vcc, 0, v4, vcc
	s_movk_i32 s8, 0x80
	s_waitcnt vmcnt(7)
	v_cmp_ne_u16_sdwa s[10:11], v34, v43 src0_sel:BYTE_0 src1_sel:DWORD
	s_waitcnt vmcnt(3)
	v_mad_i64_i32 v[4:5], s[2:3], v10, s13, v[2:3]
	s_waitcnt vmcnt(2)
	v_mad_i64_i32 v[6:7], s[2:3], v11, s13, v[2:3]
	;; [unrolled: 2-line block ×4, first 2 shown]
	global_load_dwordx4 v[14:17], v[4:5], off
	global_load_dwordx4 v[10:13], v[6:7], off
	s_nop 0
	global_load_dwordx4 v[6:9], v[8:9], off
	s_nop 0
	global_load_dwordx4 v[2:5], v[2:3], off
	s_load_dwordx4 s[40:43], s[4:5], 0x80
	s_load_dwordx2 s[44:45], s[4:5], 0x94
	s_waitcnt lgkmcnt(0)
	s_load_dword s12, s[40:41], 0x0
	s_and_saveexec_b64 s[2:3], s[10:11]
	s_cbranch_execz .LBB872_19
; %bb.14:
	v_cmp_ne_u16_sdwa s[10:11], v34, s8 src0_sel:BYTE_0 src1_sel:DWORD
	v_mov_b32_e32 v43, 0xffff8000
	s_and_saveexec_b64 s[8:9], s[10:11]
	s_cbranch_execz .LBB872_18
; %bb.15:
	s_movk_i32 s10, 0x7f
	v_and_b32_e32 v42, 0x7f, v34
	v_cmp_ne_u32_e32 vcc, s10, v42
	v_mov_b32_e32 v43, 0x7f80
	s_and_saveexec_b64 s[10:11], vcc
	s_cbranch_execz .LBB872_17
; %bb.16:
	v_and_b32_e32 v43, 7, v34
	v_ffbh_u32_e32 v44, v43
	v_min_u32_e32 v53, 32, v44
	v_subrev_u32_e32 v44, 28, v53
	v_lshlrev_b64 v[44:45], v44, v[34:35]
	v_lshrrev_b32_e32 v52, 3, v42
	v_sub_u32_e32 v45, 29, v53
	v_and_b32_e32 v44, 7, v44
	v_cmp_gt_u32_e32 vcc, 8, v42
	v_cndmask_b32_e32 v42, v52, v45, vcc
	v_cndmask_b32_e32 v43, v43, v44, vcc
	v_lshlrev_b32_e32 v44, 24, v34
	v_bfrev_b32_e32 v45, 60
	v_lshlrev_b32_e32 v43, 20, v43
	v_and_b32_e32 v44, 0x80000000, v44
	v_lshl_add_u32 v42, v42, 23, v45
	v_or3_b32 v42, v44, v42, v43
	v_lshrrev_b32_e32 v43, 16, v42
.LBB872_17:
	s_or_b64 exec, exec, s[10:11]
.LBB872_18:
	s_or_b64 exec, exec, s[8:9]
.LBB872_19:
	s_or_b64 exec, exec, s[2:3]
	v_lshrrev_b16_e32 v42, 8, v34
	v_cmp_ne_u16_e32 vcc, 0, v42
	v_mov_b32_e32 v45, 0
	v_mov_b32_e32 v44, 0
	s_and_saveexec_b64 s[2:3], vcc
	s_cbranch_execz .LBB872_25
; %bb.20:
	s_movk_i32 s8, 0x80
	v_cmp_ne_u16_e32 vcc, s8, v42
	v_mov_b32_e32 v44, 0xffff8000
	s_and_saveexec_b64 s[8:9], vcc
	s_cbranch_execz .LBB872_24
; %bb.21:
	s_movk_i32 s10, 0x7f
	v_and_b32_e32 v52, 0x7f, v42
	v_cmp_ne_u32_e32 vcc, s10, v52
	v_mov_b32_e32 v44, 0x7f80
	s_and_saveexec_b64 s[10:11], vcc
	s_cbranch_execz .LBB872_23
; %bb.22:
	v_and_b32_e32 v44, 7, v42
	v_ffbh_u32_e32 v54, v44
	v_min_u32_e32 v56, 32, v54
	v_subrev_u32_e32 v54, 28, v56
	v_lshlrev_b64 v[54:55], v54, v[42:43]
	v_lshrrev_b32_e32 v53, 3, v52
	v_sub_u32_e32 v42, 29, v56
	v_and_b32_e32 v54, 7, v54
	v_cmp_gt_u32_e32 vcc, 8, v52
	v_cndmask_b32_e32 v42, v53, v42, vcc
	v_cndmask_b32_e32 v44, v44, v54, vcc
	v_lshlrev_b32_e32 v52, 16, v34
	v_bfrev_b32_e32 v53, 60
	v_lshlrev_b32_e32 v44, 20, v44
	v_and_b32_e32 v52, 0x80000000, v52
	v_lshl_add_u32 v42, v42, 23, v53
	v_or3_b32 v42, v52, v42, v44
	v_lshrrev_b32_e32 v44, 16, v42
.LBB872_23:
	s_or_b64 exec, exec, s[10:11]
.LBB872_24:
	s_or_b64 exec, exec, s[8:9]
.LBB872_25:
	s_or_b64 exec, exec, s[2:3]
	s_movk_i32 s2, 0xff
	v_and_b32_sdwa v52, v34, s2 dst_sel:DWORD dst_unused:UNUSED_PAD src0_sel:WORD_1 src1_sel:DWORD
	v_lshrrev_b32_e32 v42, 16, v34
	v_cmp_ne_u16_e32 vcc, 0, v52
	s_and_saveexec_b64 s[2:3], vcc
	s_cbranch_execz .LBB872_31
; %bb.26:
	s_movk_i32 s8, 0x80
	v_cmp_ne_u16_e32 vcc, s8, v52
	v_mov_b32_e32 v45, 0xffff8000
	s_and_saveexec_b64 s[8:9], vcc
	s_cbranch_execz .LBB872_30
; %bb.27:
	v_bfe_u32 v52, v34, 16, 7
	s_movk_i32 s10, 0x7f
	v_cmp_ne_u32_e32 vcc, s10, v52
	v_mov_b32_e32 v45, 0x7f80
	s_and_saveexec_b64 s[10:11], vcc
	s_cbranch_execz .LBB872_29
; %bb.28:
	v_and_b32_e32 v45, 7, v42
	v_ffbh_u32_e32 v54, v45
	v_min_u32_e32 v56, 32, v54
	v_subrev_u32_e32 v54, 28, v56
	v_lshlrev_b64 v[54:55], v54, v[42:43]
	v_lshrrev_b32_e32 v53, 3, v52
	v_sub_u32_e32 v42, 29, v56
	v_and_b32_e32 v54, 7, v54
	v_cmp_gt_u32_e32 vcc, 8, v52
	v_mov_b32_e32 v52, 24
	v_cndmask_b32_e32 v42, v53, v42, vcc
	v_cndmask_b32_e32 v45, v45, v54, vcc
	v_lshlrev_b32_sdwa v52, v52, v34 dst_sel:DWORD dst_unused:UNUSED_PAD src0_sel:DWORD src1_sel:WORD_1
	v_bfrev_b32_e32 v53, 60
	v_lshlrev_b32_e32 v45, 20, v45
	v_and_b32_e32 v52, 0x80000000, v52
	v_lshl_add_u32 v42, v42, 23, v53
	v_or3_b32 v42, v52, v42, v45
	v_lshrrev_b32_e32 v45, 16, v42
.LBB872_29:
	s_or_b64 exec, exec, s[10:11]
.LBB872_30:
	s_or_b64 exec, exec, s[8:9]
.LBB872_31:
	s_or_b64 exec, exec, s[2:3]
	s_mov_b32 s2, 0xffffff
	v_cmp_lt_u32_e32 vcc, s2, v34
	v_mov_b32_e32 v53, 0
	v_mov_b32_e32 v54, 0
	s_and_saveexec_b64 s[2:3], vcc
	s_cbranch_execz .LBB872_37
; %bb.32:
	v_lshrrev_b32_e32 v42, 24, v34
	s_movk_i32 s8, 0x80
	v_cmp_ne_u32_e32 vcc, s8, v42
	v_mov_b32_e32 v54, 0xffff8000
	s_and_saveexec_b64 s[8:9], vcc
	s_cbranch_execz .LBB872_36
; %bb.33:
	v_bfe_u32 v34, v34, 24, 7
	s_movk_i32 s10, 0x7f
	v_cmp_ne_u32_e32 vcc, s10, v34
	v_mov_b32_e32 v54, 0x7f80
	s_and_saveexec_b64 s[10:11], vcc
	s_cbranch_execz .LBB872_35
; %bb.34:
	v_and_b32_e32 v52, 7, v42
	v_ffbh_u32_e32 v54, v52
	v_min_u32_e32 v57, 32, v54
	v_subrev_u32_e32 v54, 28, v57
	v_lshlrev_b64 v[54:55], v54, v[42:43]
	v_lshrrev_b32_e32 v56, 3, v34
	v_sub_u32_e32 v55, 29, v57
	v_and_b32_e32 v54, 7, v54
	v_cmp_gt_u32_e32 vcc, 8, v34
	v_cndmask_b32_e32 v34, v56, v55, vcc
	v_cndmask_b32_e32 v52, v52, v54, vcc
	v_lshlrev_b32_e32 v42, 24, v42
	v_bfrev_b32_e32 v54, 60
	v_lshlrev_b32_e32 v52, 20, v52
	v_and_b32_e32 v42, 0x80000000, v42
	v_lshl_add_u32 v34, v34, 23, v54
	v_or3_b32 v34, v42, v34, v52
	v_lshrrev_b32_e32 v54, 16, v34
.LBB872_35:
	s_or_b64 exec, exec, s[10:11]
.LBB872_36:
	s_or_b64 exec, exec, s[8:9]
.LBB872_37:
	s_or_b64 exec, exec, s[2:3]
	v_cmp_ne_u16_sdwa s[8:9], v35, v53 src0_sel:BYTE_0 src1_sel:DWORD
	s_and_saveexec_b64 s[2:3], s[8:9]
	s_cbranch_execz .LBB872_43
; %bb.38:
	s_movk_i32 s8, 0x80
	v_cmp_ne_u16_sdwa s[10:11], v35, s8 src0_sel:BYTE_0 src1_sel:DWORD
	v_mov_b32_e32 v53, 0xffff8000
	s_and_saveexec_b64 s[8:9], s[10:11]
	s_cbranch_execz .LBB872_42
; %bb.39:
	s_movk_i32 s10, 0x7f
	v_and_b32_e32 v34, 0x7f, v35
	v_cmp_ne_u32_e32 vcc, s10, v34
	v_mov_b32_e32 v53, 0x7f80
	s_and_saveexec_b64 s[10:11], vcc
	s_cbranch_execz .LBB872_41
; %bb.40:
	v_and_b32_e32 v55, 7, v35
	v_ffbh_u32_e32 v52, v55
	v_min_u32_e32 v57, 32, v52
	v_mov_b32_e32 v42, v35
	v_subrev_u32_e32 v52, 28, v57
	v_lshlrev_b64 v[52:53], v52, v[42:43]
	v_lshrrev_b32_e32 v56, 3, v34
	v_sub_u32_e32 v42, 29, v57
	v_and_b32_e32 v52, 7, v52
	v_cmp_gt_u32_e32 vcc, 8, v34
	v_cndmask_b32_e32 v34, v56, v42, vcc
	v_cndmask_b32_e32 v42, v55, v52, vcc
	v_lshlrev_b32_e32 v52, 24, v35
	v_bfrev_b32_e32 v53, 60
	v_lshlrev_b32_e32 v42, 20, v42
	v_and_b32_e32 v52, 0x80000000, v52
	v_lshl_add_u32 v34, v34, 23, v53
	v_or3_b32 v34, v52, v34, v42
	v_lshrrev_b32_e32 v53, 16, v34
.LBB872_41:
	s_or_b64 exec, exec, s[10:11]
.LBB872_42:
	s_or_b64 exec, exec, s[8:9]
.LBB872_43:
	s_or_b64 exec, exec, s[2:3]
	v_lshrrev_b16_e32 v34, 8, v35
	v_cmp_ne_u16_e32 vcc, 0, v34
	v_mov_b32_e32 v55, 0
	v_mov_b32_e32 v42, 0
	s_and_saveexec_b64 s[2:3], vcc
	s_cbranch_execz .LBB872_49
; %bb.44:
	s_movk_i32 s8, 0x80
	v_cmp_ne_u16_e32 vcc, s8, v34
	v_mov_b32_e32 v42, 0xffff8000
	s_and_saveexec_b64 s[8:9], vcc
	s_cbranch_execz .LBB872_48
; %bb.45:
	s_movk_i32 s10, 0x7f
	v_and_b32_e32 v52, 0x7f, v34
	v_cmp_ne_u32_e32 vcc, s10, v52
	v_mov_b32_e32 v42, 0x7f80
	s_and_saveexec_b64 s[10:11], vcc
	s_cbranch_execz .LBB872_47
; %bb.46:
	v_and_b32_e32 v42, 7, v34
	v_ffbh_u32_e32 v56, v42
	v_min_u32_e32 v59, 32, v56
	v_subrev_u32_e32 v56, 28, v59
	v_lshlrev_b64 v[56:57], v56, v[34:35]
	v_lshrrev_b32_e32 v58, 3, v52
	v_sub_u32_e32 v34, 29, v59
	v_and_b32_e32 v56, 7, v56
	v_cmp_gt_u32_e32 vcc, 8, v52
	v_cndmask_b32_e32 v34, v58, v34, vcc
	v_cndmask_b32_e32 v42, v42, v56, vcc
	v_lshlrev_b32_e32 v52, 16, v35
	v_bfrev_b32_e32 v56, 60
	v_lshlrev_b32_e32 v42, 20, v42
	v_and_b32_e32 v52, 0x80000000, v52
	v_lshl_add_u32 v34, v34, 23, v56
	v_or3_b32 v34, v52, v34, v42
	v_lshrrev_b32_e32 v42, 16, v34
.LBB872_47:
	s_or_b64 exec, exec, s[10:11]
.LBB872_48:
	s_or_b64 exec, exec, s[8:9]
.LBB872_49:
	s_or_b64 exec, exec, s[2:3]
	s_movk_i32 s2, 0xff
	v_and_b32_sdwa v52, v35, s2 dst_sel:DWORD dst_unused:UNUSED_PAD src0_sel:WORD_1 src1_sel:DWORD
	v_lshrrev_b32_e32 v34, 16, v35
	v_cmp_ne_u16_e32 vcc, 0, v52
	s_and_saveexec_b64 s[2:3], vcc
	s_cbranch_execz .LBB872_55
; %bb.50:
	s_movk_i32 s8, 0x80
	v_cmp_ne_u16_e32 vcc, s8, v52
	v_mov_b32_e32 v55, 0xffff8000
	s_and_saveexec_b64 s[8:9], vcc
	s_cbranch_execz .LBB872_54
; %bb.51:
	v_bfe_u32 v52, v35, 16, 7
	s_movk_i32 s10, 0x7f
	v_cmp_ne_u32_e32 vcc, s10, v52
	v_mov_b32_e32 v55, 0x7f80
	s_and_saveexec_b64 s[10:11], vcc
	s_cbranch_execz .LBB872_53
; %bb.52:
	v_and_b32_e32 v55, 7, v34
	v_ffbh_u32_e32 v56, v55
	v_min_u32_e32 v59, 32, v56
	v_subrev_u32_e32 v56, 28, v59
	v_lshlrev_b64 v[56:57], v56, v[34:35]
	v_and_b32_e32 v56, 7, v56
	v_cmp_gt_u32_e32 vcc, 8, v52
	v_lshrrev_b32_e32 v58, 3, v52
	v_sub_u32_e32 v34, 29, v59
	v_cndmask_b32_e32 v52, v55, v56, vcc
	v_mov_b32_e32 v55, 24
	v_cndmask_b32_e32 v34, v58, v34, vcc
	v_lshlrev_b32_sdwa v55, v55, v35 dst_sel:DWORD dst_unused:UNUSED_PAD src0_sel:DWORD src1_sel:WORD_1
	v_bfrev_b32_e32 v56, 60
	v_lshlrev_b32_e32 v52, 20, v52
	v_and_b32_e32 v55, 0x80000000, v55
	v_lshl_add_u32 v34, v34, 23, v56
	v_or3_b32 v34, v55, v34, v52
	v_lshrrev_b32_e32 v55, 16, v34
.LBB872_53:
	s_or_b64 exec, exec, s[10:11]
.LBB872_54:
	s_or_b64 exec, exec, s[8:9]
.LBB872_55:
	s_or_b64 exec, exec, s[2:3]
	s_mov_b32 s2, 0xffffff
	v_cmp_lt_u32_e32 vcc, s2, v35
	v_mov_b32_e32 v52, 0
	v_mov_b32_e32 v56, 0
	s_and_saveexec_b64 s[2:3], vcc
	s_cbranch_execz .LBB872_61
; %bb.56:
	v_lshrrev_b32_e32 v34, 24, v35
	s_movk_i32 s8, 0x80
	v_cmp_ne_u32_e32 vcc, s8, v34
	v_mov_b32_e32 v56, 0xffff8000
	s_and_saveexec_b64 s[8:9], vcc
	s_cbranch_execz .LBB872_60
; %bb.57:
	v_bfe_u32 v35, v35, 24, 7
	s_movk_i32 s10, 0x7f
	v_cmp_ne_u32_e32 vcc, s10, v35
	v_mov_b32_e32 v56, 0x7f80
	s_and_saveexec_b64 s[10:11], vcc
	s_cbranch_execz .LBB872_59
; %bb.58:
	v_and_b32_e32 v58, 7, v34
	v_ffbh_u32_e32 v56, v58
	v_min_u32_e32 v60, 32, v56
	v_subrev_u32_e32 v56, 28, v60
	v_lshlrev_b64 v[56:57], v56, v[34:35]
	v_lshrrev_b32_e32 v59, 3, v35
	v_sub_u32_e32 v57, 29, v60
	v_and_b32_e32 v56, 7, v56
	v_cmp_gt_u32_e32 vcc, 8, v35
	v_cndmask_b32_e32 v35, v59, v57, vcc
	v_cndmask_b32_e32 v56, v58, v56, vcc
	v_lshlrev_b32_e32 v34, 24, v34
	v_bfrev_b32_e32 v57, 60
	v_lshlrev_b32_e32 v56, 20, v56
	v_and_b32_e32 v34, 0x80000000, v34
	v_lshl_add_u32 v35, v35, 23, v57
	v_or3_b32 v34, v34, v35, v56
	v_lshrrev_b32_e32 v56, 16, v34
.LBB872_59:
	s_or_b64 exec, exec, s[10:11]
.LBB872_60:
	s_or_b64 exec, exec, s[8:9]
.LBB872_61:
	s_or_b64 exec, exec, s[2:3]
	s_mov_b32 s2, 0x5040100
	v_perm_b32 v35, v54, v45, s2
	v_perm_b32 v34, v44, v43, s2
	v_cmp_ne_u16_sdwa s[8:9], v36, v52 src0_sel:BYTE_0 src1_sel:DWORD
	s_nop 0
	v_mfma_f32_16x16x16bf16_1k v[58:61], v[34:35], v[26:27], 0
	v_perm_b32 v35, v56, v55, s2
	v_perm_b32 v34, v42, v53, s2
	s_nop 1
	v_mfma_f32_16x16x16bf16_1k v[42:45], v[34:35], v[28:29], v[58:61]
	s_and_saveexec_b64 s[2:3], s[8:9]
	s_cbranch_execz .LBB872_67
; %bb.62:
	s_movk_i32 s8, 0x80
	v_cmp_ne_u16_sdwa s[10:11], v36, s8 src0_sel:BYTE_0 src1_sel:DWORD
	v_mov_b32_e32 v52, 0xffff8000
	s_and_saveexec_b64 s[8:9], s[10:11]
	s_cbranch_execz .LBB872_66
; %bb.63:
	s_movk_i32 s10, 0x7f
	v_and_b32_e32 v34, 0x7f, v36
	v_cmp_ne_u32_e32 vcc, s10, v34
	v_mov_b32_e32 v52, 0x7f80
	s_and_saveexec_b64 s[10:11], vcc
	s_cbranch_execz .LBB872_65
; %bb.64:
	v_and_b32_e32 v35, 7, v36
	v_ffbh_u32_e32 v52, v35
	v_min_u32_e32 v55, 32, v52
	v_subrev_u32_e32 v52, 28, v55
	v_lshlrev_b64 v[52:53], v52, v[36:37]
	v_lshrrev_b32_e32 v54, 3, v34
	v_sub_u32_e32 v53, 29, v55
	v_and_b32_e32 v52, 7, v52
	v_cmp_gt_u32_e32 vcc, 8, v34
	v_cndmask_b32_e32 v34, v54, v53, vcc
	v_cndmask_b32_e32 v35, v35, v52, vcc
	v_lshlrev_b32_e32 v52, 24, v36
	v_bfrev_b32_e32 v53, 60
	v_lshlrev_b32_e32 v35, 20, v35
	v_and_b32_e32 v52, 0x80000000, v52
	v_lshl_add_u32 v34, v34, 23, v53
	v_or3_b32 v34, v52, v34, v35
	v_lshrrev_b32_e32 v52, 16, v34
.LBB872_65:
	s_or_b64 exec, exec, s[10:11]
.LBB872_66:
	s_or_b64 exec, exec, s[8:9]
.LBB872_67:
	s_or_b64 exec, exec, s[2:3]
	v_lshrrev_b16_e32 v34, 8, v36
	v_cmp_ne_u16_e32 vcc, 0, v34
	v_mov_b32_e32 v54, 0
	v_mov_b32_e32 v35, 0
	s_and_saveexec_b64 s[2:3], vcc
	s_cbranch_execz .LBB872_73
; %bb.68:
	s_movk_i32 s8, 0x80
	v_cmp_ne_u16_e32 vcc, s8, v34
	v_mov_b32_e32 v35, 0xffff8000
	s_and_saveexec_b64 s[8:9], vcc
	s_cbranch_execz .LBB872_72
; %bb.69:
	s_movk_i32 s10, 0x7f
	v_and_b32_e32 v53, 0x7f, v34
	v_cmp_ne_u32_e32 vcc, s10, v53
	v_mov_b32_e32 v35, 0x7f80
	s_and_saveexec_b64 s[10:11], vcc
	s_cbranch_execz .LBB872_71
; %bb.70:
	v_and_b32_e32 v55, 7, v34
	v_ffbh_u32_e32 v35, v55
	v_min_u32_e32 v57, 32, v35
	v_subrev_u32_e32 v35, 28, v57
	v_lshlrev_b64 v[34:35], v35, v[34:35]
	v_lshrrev_b32_e32 v56, 3, v53
	v_sub_u32_e32 v35, 29, v57
	v_and_b32_e32 v34, 7, v34
	v_cmp_gt_u32_e32 vcc, 8, v53
	v_cndmask_b32_e32 v35, v56, v35, vcc
	v_cndmask_b32_e32 v34, v55, v34, vcc
	v_lshlrev_b32_e32 v53, 16, v36
	v_bfrev_b32_e32 v55, 60
	v_lshlrev_b32_e32 v34, 20, v34
	v_and_b32_e32 v53, 0x80000000, v53
	v_lshl_add_u32 v35, v35, 23, v55
	v_or3_b32 v34, v53, v35, v34
	v_lshrrev_b32_e32 v35, 16, v34
.LBB872_71:
	s_or_b64 exec, exec, s[10:11]
.LBB872_72:
	s_or_b64 exec, exec, s[8:9]
.LBB872_73:
	s_or_b64 exec, exec, s[2:3]
	s_movk_i32 s2, 0xff
	v_and_b32_sdwa v53, v36, s2 dst_sel:DWORD dst_unused:UNUSED_PAD src0_sel:WORD_1 src1_sel:DWORD
	v_lshrrev_b32_e32 v34, 16, v36
	v_cmp_ne_u16_e32 vcc, 0, v53
	s_and_saveexec_b64 s[2:3], vcc
	s_cbranch_execz .LBB872_79
; %bb.74:
	s_movk_i32 s8, 0x80
	v_cmp_ne_u16_e32 vcc, s8, v53
	v_mov_b32_e32 v54, 0xffff8000
	s_and_saveexec_b64 s[8:9], vcc
	s_cbranch_execz .LBB872_78
; %bb.75:
	v_bfe_u32 v53, v36, 16, 7
	s_movk_i32 s10, 0x7f
	v_cmp_ne_u32_e32 vcc, s10, v53
	v_mov_b32_e32 v54, 0x7f80
	s_and_saveexec_b64 s[10:11], vcc
	s_cbranch_execz .LBB872_77
; %bb.76:
	v_and_b32_e32 v56, 7, v34
	v_ffbh_u32_e32 v54, v56
	v_min_u32_e32 v58, 32, v54
	v_subrev_u32_e32 v54, 28, v58
	v_lshlrev_b64 v[54:55], v54, v[34:35]
	v_and_b32_e32 v54, 7, v54
	v_cmp_gt_u32_e32 vcc, 8, v53
	v_lshrrev_b32_e32 v57, 3, v53
	v_sub_u32_e32 v34, 29, v58
	v_cndmask_b32_e32 v53, v56, v54, vcc
	v_mov_b32_e32 v54, 24
	v_cndmask_b32_e32 v34, v57, v34, vcc
	v_lshlrev_b32_sdwa v54, v54, v36 dst_sel:DWORD dst_unused:UNUSED_PAD src0_sel:DWORD src1_sel:WORD_1
	v_bfrev_b32_e32 v55, 60
	v_lshlrev_b32_e32 v53, 20, v53
	v_and_b32_e32 v54, 0x80000000, v54
	v_lshl_add_u32 v34, v34, 23, v55
	v_or3_b32 v34, v54, v34, v53
	v_lshrrev_b32_e32 v54, 16, v34
.LBB872_77:
	s_or_b64 exec, exec, s[10:11]
.LBB872_78:
	s_or_b64 exec, exec, s[8:9]
.LBB872_79:
	s_or_b64 exec, exec, s[2:3]
	s_mov_b32 s2, 0xffffff
	v_cmp_lt_u32_e32 vcc, s2, v36
	v_mov_b32_e32 v55, 0
	v_mov_b32_e32 v56, 0
	s_and_saveexec_b64 s[2:3], vcc
	s_cbranch_execz .LBB872_85
; %bb.80:
	v_lshrrev_b32_e32 v34, 24, v36
	s_movk_i32 s8, 0x80
	v_cmp_ne_u32_e32 vcc, s8, v34
	v_mov_b32_e32 v56, 0xffff8000
	s_and_saveexec_b64 s[8:9], vcc
	s_cbranch_execz .LBB872_84
; %bb.81:
	v_bfe_u32 v36, v36, 24, 7
	s_movk_i32 s10, 0x7f
	v_cmp_ne_u32_e32 vcc, s10, v36
	v_mov_b32_e32 v56, 0x7f80
	s_and_saveexec_b64 s[10:11], vcc
	s_cbranch_execz .LBB872_83
; %bb.82:
	v_and_b32_e32 v53, 7, v34
	v_ffbh_u32_e32 v56, v53
	v_min_u32_e32 v59, 32, v56
	v_subrev_u32_e32 v56, 28, v59
	v_lshlrev_b64 v[56:57], v56, v[34:35]
	v_lshrrev_b32_e32 v58, 3, v36
	v_sub_u32_e32 v57, 29, v59
	v_and_b32_e32 v56, 7, v56
	v_cmp_gt_u32_e32 vcc, 8, v36
	v_cndmask_b32_e32 v36, v58, v57, vcc
	v_cndmask_b32_e32 v53, v53, v56, vcc
	v_lshlrev_b32_e32 v34, 24, v34
	v_bfrev_b32_e32 v56, 60
	v_lshlrev_b32_e32 v53, 20, v53
	v_and_b32_e32 v34, 0x80000000, v34
	v_lshl_add_u32 v36, v36, 23, v56
	v_or3_b32 v34, v34, v36, v53
	v_lshrrev_b32_e32 v56, 16, v34
.LBB872_83:
	s_or_b64 exec, exec, s[10:11]
.LBB872_84:
	s_or_b64 exec, exec, s[8:9]
.LBB872_85:
	s_or_b64 exec, exec, s[2:3]
	v_cmp_ne_u16_sdwa s[8:9], v37, v55 src0_sel:BYTE_0 src1_sel:DWORD
	s_and_saveexec_b64 s[2:3], s[8:9]
	s_cbranch_execz .LBB872_91
; %bb.86:
	s_movk_i32 s8, 0x80
	v_cmp_ne_u16_sdwa s[10:11], v37, s8 src0_sel:BYTE_0 src1_sel:DWORD
	v_mov_b32_e32 v55, 0xffff8000
	s_and_saveexec_b64 s[8:9], s[10:11]
	s_cbranch_execz .LBB872_90
; %bb.87:
	s_movk_i32 s10, 0x7f
	v_and_b32_e32 v34, 0x7f, v37
	v_cmp_ne_u32_e32 vcc, s10, v34
	v_mov_b32_e32 v55, 0x7f80
	s_and_saveexec_b64 s[10:11], vcc
	s_cbranch_execz .LBB872_89
; %bb.88:
	v_and_b32_e32 v53, 7, v37
	v_ffbh_u32_e32 v57, v53
	v_min_u32_e32 v57, 32, v57
	v_mov_b32_e32 v36, v37
	v_subrev_u32_e32 v58, 28, v57
	v_lshlrev_b64 v[58:59], v58, v[36:37]
	v_lshrrev_b32_e32 v55, 3, v34
	v_sub_u32_e32 v36, 29, v57
	v_and_b32_e32 v57, 7, v58
	v_cmp_gt_u32_e32 vcc, 8, v34
	v_cndmask_b32_e32 v34, v55, v36, vcc
	v_cndmask_b32_e32 v36, v53, v57, vcc
	v_lshlrev_b32_e32 v53, 24, v37
	v_bfrev_b32_e32 v55, 60
	v_lshlrev_b32_e32 v36, 20, v36
	v_and_b32_e32 v53, 0x80000000, v53
	v_lshl_add_u32 v34, v34, 23, v55
	v_or3_b32 v34, v53, v34, v36
	v_lshrrev_b32_e32 v55, 16, v34
.LBB872_89:
	s_or_b64 exec, exec, s[10:11]
.LBB872_90:
	s_or_b64 exec, exec, s[8:9]
.LBB872_91:
	s_or_b64 exec, exec, s[2:3]
	v_lshrrev_b16_e32 v34, 8, v37
	v_cmp_ne_u16_e32 vcc, 0, v34
	v_mov_b32_e32 v57, 0
	v_mov_b32_e32 v36, 0
	s_and_saveexec_b64 s[2:3], vcc
	s_cbranch_execz .LBB872_97
; %bb.92:
	s_movk_i32 s8, 0x80
	v_cmp_ne_u16_e32 vcc, s8, v34
	v_mov_b32_e32 v36, 0xffff8000
	s_and_saveexec_b64 s[8:9], vcc
	s_cbranch_execz .LBB872_96
; %bb.93:
	s_movk_i32 s10, 0x7f
	v_and_b32_e32 v53, 0x7f, v34
	v_cmp_ne_u32_e32 vcc, s10, v53
	v_mov_b32_e32 v36, 0x7f80
	s_and_saveexec_b64 s[10:11], vcc
	s_cbranch_execz .LBB872_95
; %bb.94:
	v_and_b32_e32 v36, 7, v34
	v_ffbh_u32_e32 v58, v36
	v_min_u32_e32 v61, 32, v58
	v_subrev_u32_e32 v58, 28, v61
	v_lshlrev_b64 v[58:59], v58, v[34:35]
	v_lshrrev_b32_e32 v60, 3, v53
	v_sub_u32_e32 v34, 29, v61
	v_and_b32_e32 v58, 7, v58
	v_cmp_gt_u32_e32 vcc, 8, v53
	v_cndmask_b32_e32 v34, v60, v34, vcc
	v_cndmask_b32_e32 v36, v36, v58, vcc
	v_lshlrev_b32_e32 v53, 16, v37
	v_bfrev_b32_e32 v58, 60
	v_lshlrev_b32_e32 v36, 20, v36
	v_and_b32_e32 v53, 0x80000000, v53
	v_lshl_add_u32 v34, v34, 23, v58
	v_or3_b32 v34, v53, v34, v36
	v_lshrrev_b32_e32 v36, 16, v34
.LBB872_95:
	s_or_b64 exec, exec, s[10:11]
.LBB872_96:
	s_or_b64 exec, exec, s[8:9]
.LBB872_97:
	s_or_b64 exec, exec, s[2:3]
	s_movk_i32 s2, 0xff
	v_and_b32_sdwa v53, v37, s2 dst_sel:DWORD dst_unused:UNUSED_PAD src0_sel:WORD_1 src1_sel:DWORD
	v_lshrrev_b32_e32 v34, 16, v37
	v_cmp_ne_u16_e32 vcc, 0, v53
	s_and_saveexec_b64 s[2:3], vcc
	s_cbranch_execz .LBB872_103
; %bb.98:
	s_movk_i32 s8, 0x80
	v_cmp_ne_u16_e32 vcc, s8, v53
	v_mov_b32_e32 v57, 0xffff8000
	s_and_saveexec_b64 s[8:9], vcc
	s_cbranch_execz .LBB872_102
; %bb.99:
	v_bfe_u32 v53, v37, 16, 7
	s_movk_i32 s10, 0x7f
	v_cmp_ne_u32_e32 vcc, s10, v53
	v_mov_b32_e32 v57, 0x7f80
	s_and_saveexec_b64 s[10:11], vcc
	s_cbranch_execz .LBB872_101
; %bb.100:
	v_and_b32_e32 v57, 7, v34
	v_ffbh_u32_e32 v58, v57
	v_min_u32_e32 v61, 32, v58
	v_subrev_u32_e32 v58, 28, v61
	v_lshlrev_b64 v[58:59], v58, v[34:35]
	v_and_b32_e32 v58, 7, v58
	v_cmp_gt_u32_e32 vcc, 8, v53
	v_lshrrev_b32_e32 v60, 3, v53
	v_sub_u32_e32 v34, 29, v61
	v_cndmask_b32_e32 v53, v57, v58, vcc
	v_mov_b32_e32 v57, 24
	v_cndmask_b32_e32 v34, v60, v34, vcc
	v_lshlrev_b32_sdwa v57, v57, v37 dst_sel:DWORD dst_unused:UNUSED_PAD src0_sel:DWORD src1_sel:WORD_1
	v_bfrev_b32_e32 v58, 60
	v_lshlrev_b32_e32 v53, 20, v53
	v_and_b32_e32 v57, 0x80000000, v57
	v_lshl_add_u32 v34, v34, 23, v58
	v_or3_b32 v34, v57, v34, v53
	v_lshrrev_b32_e32 v57, 16, v34
.LBB872_101:
	s_or_b64 exec, exec, s[10:11]
.LBB872_102:
	s_or_b64 exec, exec, s[8:9]
.LBB872_103:
	s_or_b64 exec, exec, s[2:3]
	s_mov_b32 s2, 0xffffff
	v_cmp_lt_u32_e32 vcc, s2, v37
	v_mov_b32_e32 v53, 0
	v_mov_b32_e32 v58, 0
	s_and_saveexec_b64 s[2:3], vcc
	s_cbranch_execz .LBB872_109
; %bb.104:
	v_lshrrev_b32_e32 v34, 24, v37
	s_movk_i32 s8, 0x80
	v_cmp_ne_u32_e32 vcc, s8, v34
	v_mov_b32_e32 v58, 0xffff8000
	s_and_saveexec_b64 s[8:9], vcc
	s_cbranch_execz .LBB872_108
; %bb.105:
	v_bfe_u32 v37, v37, 24, 7
	s_movk_i32 s10, 0x7f
	v_cmp_ne_u32_e32 vcc, s10, v37
	v_mov_b32_e32 v58, 0x7f80
	s_and_saveexec_b64 s[10:11], vcc
	s_cbranch_execz .LBB872_107
; %bb.106:
	v_and_b32_e32 v60, 7, v34
	v_ffbh_u32_e32 v58, v60
	v_min_u32_e32 v62, 32, v58
	v_subrev_u32_e32 v58, 28, v62
	v_lshlrev_b64 v[58:59], v58, v[34:35]
	v_lshrrev_b32_e32 v61, 3, v37
	v_sub_u32_e32 v59, 29, v62
	v_and_b32_e32 v58, 7, v58
	v_cmp_gt_u32_e32 vcc, 8, v37
	v_cndmask_b32_e32 v37, v61, v59, vcc
	v_cndmask_b32_e32 v58, v60, v58, vcc
	v_lshlrev_b32_e32 v34, 24, v34
	v_bfrev_b32_e32 v59, 60
	v_lshlrev_b32_e32 v58, 20, v58
	v_and_b32_e32 v34, 0x80000000, v34
	v_lshl_add_u32 v37, v37, 23, v59
	v_or3_b32 v34, v34, v37, v58
	v_lshrrev_b32_e32 v58, 16, v34
.LBB872_107:
	s_or_b64 exec, exec, s[10:11]
.LBB872_108:
	s_or_b64 exec, exec, s[8:9]
.LBB872_109:
	s_or_b64 exec, exec, s[2:3]
	s_mov_b32 s2, 0x5040100
	v_perm_b32 v61, v56, v54, s2
	v_perm_b32 v60, v35, v52, s2
	;; [unrolled: 1-line block ×4, first 2 shown]
	v_cmp_ne_u16_sdwa s[8:9], v38, v53 src0_sel:BYTE_0 src1_sel:DWORD
	v_mfma_f32_16x16x16bf16_1k v[42:45], v[60:61], v[18:19], v[42:45]
	v_mfma_f32_16x16x16bf16_1k v[34:37], v[34:35], v[20:21], v[42:45]
	s_and_saveexec_b64 s[2:3], s[8:9]
	s_cbranch_execz .LBB872_115
; %bb.110:
	s_movk_i32 s8, 0x80
	v_cmp_ne_u16_sdwa s[10:11], v38, s8 src0_sel:BYTE_0 src1_sel:DWORD
	v_mov_b32_e32 v53, 0xffff8000
	s_and_saveexec_b64 s[8:9], s[10:11]
	s_cbranch_execz .LBB872_114
; %bb.111:
	s_movk_i32 s10, 0x7f
	s_nop 1
	v_and_b32_e32 v42, 0x7f, v38
	v_cmp_ne_u32_e32 vcc, s10, v42
	v_mov_b32_e32 v53, 0x7f80
	s_and_saveexec_b64 s[10:11], vcc
	s_cbranch_execz .LBB872_113
; %bb.112:
	v_and_b32_e32 v43, 7, v38
	v_ffbh_u32_e32 v44, v43
	v_min_u32_e32 v53, 32, v44
	v_subrev_u32_e32 v44, 28, v53
	v_lshlrev_b64 v[44:45], v44, v[38:39]
	v_lshrrev_b32_e32 v52, 3, v42
	v_sub_u32_e32 v45, 29, v53
	v_and_b32_e32 v44, 7, v44
	v_cmp_gt_u32_e32 vcc, 8, v42
	v_cndmask_b32_e32 v42, v52, v45, vcc
	v_cndmask_b32_e32 v43, v43, v44, vcc
	v_lshlrev_b32_e32 v44, 24, v38
	v_bfrev_b32_e32 v45, 60
	v_lshlrev_b32_e32 v43, 20, v43
	v_and_b32_e32 v44, 0x80000000, v44
	v_lshl_add_u32 v42, v42, 23, v45
	v_or3_b32 v42, v44, v42, v43
	v_lshrrev_b32_e32 v53, 16, v42
.LBB872_113:
	s_or_b64 exec, exec, s[10:11]
.LBB872_114:
	s_or_b64 exec, exec, s[8:9]
.LBB872_115:
	s_or_b64 exec, exec, s[2:3]
	s_nop 6
	v_lshrrev_b16_e32 v42, 8, v38
	v_cmp_ne_u16_e32 vcc, 0, v42
	v_mov_b32_e32 v44, 0
	v_mov_b32_e32 v43, 0
	s_and_saveexec_b64 s[2:3], vcc
	s_cbranch_execz .LBB872_121
; %bb.116:
	s_movk_i32 s8, 0x80
	v_cmp_ne_u16_e32 vcc, s8, v42
	v_mov_b32_e32 v43, 0xffff8000
	s_and_saveexec_b64 s[8:9], vcc
	s_cbranch_execz .LBB872_120
; %bb.117:
	s_movk_i32 s10, 0x7f
	v_and_b32_e32 v45, 0x7f, v42
	v_cmp_ne_u32_e32 vcc, s10, v45
	v_mov_b32_e32 v43, 0x7f80
	s_and_saveexec_b64 s[10:11], vcc
	s_cbranch_execz .LBB872_119
; %bb.118:
	v_and_b32_e32 v52, 7, v42
	v_ffbh_u32_e32 v43, v52
	v_min_u32_e32 v55, 32, v43
	v_subrev_u32_e32 v43, 28, v55
	v_lshlrev_b64 v[42:43], v43, v[42:43]
	v_lshrrev_b32_e32 v54, 3, v45
	v_sub_u32_e32 v43, 29, v55
	v_and_b32_e32 v42, 7, v42
	v_cmp_gt_u32_e32 vcc, 8, v45
	v_cndmask_b32_e32 v43, v54, v43, vcc
	v_cndmask_b32_e32 v42, v52, v42, vcc
	v_lshlrev_b32_e32 v45, 16, v38
	v_bfrev_b32_e32 v52, 60
	v_lshlrev_b32_e32 v42, 20, v42
	v_and_b32_e32 v45, 0x80000000, v45
	v_lshl_add_u32 v43, v43, 23, v52
	v_or3_b32 v42, v45, v43, v42
	v_lshrrev_b32_e32 v43, 16, v42
.LBB872_119:
	s_or_b64 exec, exec, s[10:11]
.LBB872_120:
	s_or_b64 exec, exec, s[8:9]
.LBB872_121:
	s_or_b64 exec, exec, s[2:3]
	s_movk_i32 s2, 0xff
	v_and_b32_sdwa v45, v38, s2 dst_sel:DWORD dst_unused:UNUSED_PAD src0_sel:WORD_1 src1_sel:DWORD
	v_lshrrev_b32_e32 v42, 16, v38
	v_cmp_ne_u16_e32 vcc, 0, v45
	s_and_saveexec_b64 s[2:3], vcc
	s_cbranch_execz .LBB872_127
; %bb.122:
	s_movk_i32 s8, 0x80
	v_cmp_ne_u16_e32 vcc, s8, v45
	v_mov_b32_e32 v44, 0xffff8000
	s_and_saveexec_b64 s[8:9], vcc
	s_cbranch_execz .LBB872_126
; %bb.123:
	v_bfe_u32 v45, v38, 16, 7
	s_movk_i32 s10, 0x7f
	v_cmp_ne_u32_e32 vcc, s10, v45
	v_mov_b32_e32 v44, 0x7f80
	s_and_saveexec_b64 s[10:11], vcc
	s_cbranch_execz .LBB872_125
; %bb.124:
	v_and_b32_e32 v44, 7, v42
	v_ffbh_u32_e32 v54, v44
	v_min_u32_e32 v56, 32, v54
	v_subrev_u32_e32 v54, 28, v56
	v_lshlrev_b64 v[54:55], v54, v[42:43]
	v_lshrrev_b32_e32 v52, 3, v45
	v_sub_u32_e32 v42, 29, v56
	v_and_b32_e32 v54, 7, v54
	v_cmp_gt_u32_e32 vcc, 8, v45
	v_mov_b32_e32 v45, 24
	v_cndmask_b32_e32 v42, v52, v42, vcc
	v_cndmask_b32_e32 v44, v44, v54, vcc
	v_lshlrev_b32_sdwa v45, v45, v38 dst_sel:DWORD dst_unused:UNUSED_PAD src0_sel:DWORD src1_sel:WORD_1
	v_bfrev_b32_e32 v52, 60
	v_lshlrev_b32_e32 v44, 20, v44
	v_and_b32_e32 v45, 0x80000000, v45
	v_lshl_add_u32 v42, v42, 23, v52
	v_or3_b32 v42, v45, v42, v44
	v_lshrrev_b32_e32 v44, 16, v42
.LBB872_125:
	s_or_b64 exec, exec, s[10:11]
.LBB872_126:
	s_or_b64 exec, exec, s[8:9]
.LBB872_127:
	s_or_b64 exec, exec, s[2:3]
	s_mov_b32 s2, 0xffffff
	v_cmp_lt_u32_e32 vcc, s2, v38
	v_mov_b32_e32 v45, 0
	v_mov_b32_e32 v54, 0
	s_and_saveexec_b64 s[2:3], vcc
	s_cbranch_execz .LBB872_133
; %bb.128:
	v_lshrrev_b32_e32 v42, 24, v38
	s_movk_i32 s8, 0x80
	v_cmp_ne_u32_e32 vcc, s8, v42
	v_mov_b32_e32 v54, 0xffff8000
	s_and_saveexec_b64 s[8:9], vcc
	s_cbranch_execz .LBB872_132
; %bb.129:
	v_bfe_u32 v38, v38, 24, 7
	s_movk_i32 s10, 0x7f
	v_cmp_ne_u32_e32 vcc, s10, v38
	v_mov_b32_e32 v54, 0x7f80
	s_and_saveexec_b64 s[10:11], vcc
	s_cbranch_execz .LBB872_131
; %bb.130:
	v_and_b32_e32 v52, 7, v42
	v_ffbh_u32_e32 v54, v52
	v_min_u32_e32 v57, 32, v54
	v_subrev_u32_e32 v54, 28, v57
	v_lshlrev_b64 v[54:55], v54, v[42:43]
	v_lshrrev_b32_e32 v56, 3, v38
	v_sub_u32_e32 v55, 29, v57
	v_and_b32_e32 v54, 7, v54
	v_cmp_gt_u32_e32 vcc, 8, v38
	v_cndmask_b32_e32 v38, v56, v55, vcc
	v_cndmask_b32_e32 v52, v52, v54, vcc
	v_lshlrev_b32_e32 v42, 24, v42
	v_bfrev_b32_e32 v54, 60
	v_lshlrev_b32_e32 v52, 20, v52
	v_and_b32_e32 v42, 0x80000000, v42
	v_lshl_add_u32 v38, v38, 23, v54
	v_or3_b32 v38, v42, v38, v52
	v_lshrrev_b32_e32 v54, 16, v38
.LBB872_131:
	s_or_b64 exec, exec, s[10:11]
.LBB872_132:
	s_or_b64 exec, exec, s[8:9]
.LBB872_133:
	s_or_b64 exec, exec, s[2:3]
	v_cmp_ne_u16_sdwa s[8:9], v39, v45 src0_sel:BYTE_0 src1_sel:DWORD
	s_and_saveexec_b64 s[2:3], s[8:9]
	s_cbranch_execz .LBB872_139
; %bb.134:
	s_movk_i32 s8, 0x80
	v_cmp_ne_u16_sdwa s[10:11], v39, s8 src0_sel:BYTE_0 src1_sel:DWORD
	v_mov_b32_e32 v45, 0xffff8000
	s_and_saveexec_b64 s[8:9], s[10:11]
	s_cbranch_execz .LBB872_138
; %bb.135:
	s_movk_i32 s10, 0x7f
	v_and_b32_e32 v38, 0x7f, v39
	v_cmp_ne_u32_e32 vcc, s10, v38
	v_mov_b32_e32 v45, 0x7f80
	s_and_saveexec_b64 s[10:11], vcc
	s_cbranch_execz .LBB872_137
; %bb.136:
	v_and_b32_e32 v45, 7, v39
	v_ffbh_u32_e32 v55, v45
	v_min_u32_e32 v55, 32, v55
	v_mov_b32_e32 v42, v39
	v_subrev_u32_e32 v56, 28, v55
	v_lshlrev_b64 v[56:57], v56, v[42:43]
	v_lshrrev_b32_e32 v52, 3, v38
	v_sub_u32_e32 v42, 29, v55
	v_and_b32_e32 v55, 7, v56
	v_cmp_gt_u32_e32 vcc, 8, v38
	v_cndmask_b32_e32 v38, v52, v42, vcc
	v_cndmask_b32_e32 v42, v45, v55, vcc
	v_lshlrev_b32_e32 v45, 24, v39
	v_bfrev_b32_e32 v52, 60
	v_lshlrev_b32_e32 v42, 20, v42
	v_and_b32_e32 v45, 0x80000000, v45
	v_lshl_add_u32 v38, v38, 23, v52
	v_or3_b32 v38, v45, v38, v42
	v_lshrrev_b32_e32 v45, 16, v38
.LBB872_137:
	s_or_b64 exec, exec, s[10:11]
.LBB872_138:
	s_or_b64 exec, exec, s[8:9]
.LBB872_139:
	s_or_b64 exec, exec, s[2:3]
	v_lshrrev_b16_e32 v38, 8, v39
	v_cmp_ne_u16_e32 vcc, 0, v38
	v_mov_b32_e32 v55, 0
	v_mov_b32_e32 v42, 0
	s_and_saveexec_b64 s[2:3], vcc
	s_cbranch_execz .LBB872_145
; %bb.140:
	s_movk_i32 s8, 0x80
	v_cmp_ne_u16_e32 vcc, s8, v38
	v_mov_b32_e32 v42, 0xffff8000
	s_and_saveexec_b64 s[8:9], vcc
	s_cbranch_execz .LBB872_144
; %bb.141:
	s_movk_i32 s10, 0x7f
	v_and_b32_e32 v52, 0x7f, v38
	v_cmp_ne_u32_e32 vcc, s10, v52
	v_mov_b32_e32 v42, 0x7f80
	s_and_saveexec_b64 s[10:11], vcc
	s_cbranch_execz .LBB872_143
; %bb.142:
	v_and_b32_e32 v42, 7, v38
	v_ffbh_u32_e32 v56, v42
	v_min_u32_e32 v59, 32, v56
	v_subrev_u32_e32 v56, 28, v59
	v_lshlrev_b64 v[56:57], v56, v[38:39]
	v_lshrrev_b32_e32 v58, 3, v52
	v_sub_u32_e32 v38, 29, v59
	v_and_b32_e32 v56, 7, v56
	v_cmp_gt_u32_e32 vcc, 8, v52
	v_cndmask_b32_e32 v38, v58, v38, vcc
	v_cndmask_b32_e32 v42, v42, v56, vcc
	v_lshlrev_b32_e32 v52, 16, v39
	v_bfrev_b32_e32 v56, 60
	v_lshlrev_b32_e32 v42, 20, v42
	v_and_b32_e32 v52, 0x80000000, v52
	v_lshl_add_u32 v38, v38, 23, v56
	v_or3_b32 v38, v52, v38, v42
	v_lshrrev_b32_e32 v42, 16, v38
.LBB872_143:
	s_or_b64 exec, exec, s[10:11]
.LBB872_144:
	s_or_b64 exec, exec, s[8:9]
.LBB872_145:
	s_or_b64 exec, exec, s[2:3]
	s_movk_i32 s2, 0xff
	v_and_b32_sdwa v52, v39, s2 dst_sel:DWORD dst_unused:UNUSED_PAD src0_sel:WORD_1 src1_sel:DWORD
	v_lshrrev_b32_e32 v38, 16, v39
	v_cmp_ne_u16_e32 vcc, 0, v52
	s_and_saveexec_b64 s[2:3], vcc
	s_cbranch_execz .LBB872_151
; %bb.146:
	s_movk_i32 s8, 0x80
	v_cmp_ne_u16_e32 vcc, s8, v52
	v_mov_b32_e32 v55, 0xffff8000
	s_and_saveexec_b64 s[8:9], vcc
	s_cbranch_execz .LBB872_150
; %bb.147:
	v_bfe_u32 v52, v39, 16, 7
	s_movk_i32 s10, 0x7f
	v_cmp_ne_u32_e32 vcc, s10, v52
	v_mov_b32_e32 v55, 0x7f80
	s_and_saveexec_b64 s[10:11], vcc
	s_cbranch_execz .LBB872_149
; %bb.148:
	v_and_b32_e32 v55, 7, v38
	v_ffbh_u32_e32 v56, v55
	v_min_u32_e32 v59, 32, v56
	v_subrev_u32_e32 v56, 28, v59
	v_lshlrev_b64 v[56:57], v56, v[38:39]
	v_and_b32_e32 v56, 7, v56
	v_cmp_gt_u32_e32 vcc, 8, v52
	v_lshrrev_b32_e32 v58, 3, v52
	v_sub_u32_e32 v38, 29, v59
	v_cndmask_b32_e32 v52, v55, v56, vcc
	v_mov_b32_e32 v55, 24
	v_cndmask_b32_e32 v38, v58, v38, vcc
	v_lshlrev_b32_sdwa v55, v55, v39 dst_sel:DWORD dst_unused:UNUSED_PAD src0_sel:DWORD src1_sel:WORD_1
	v_bfrev_b32_e32 v56, 60
	v_lshlrev_b32_e32 v52, 20, v52
	v_and_b32_e32 v55, 0x80000000, v55
	v_lshl_add_u32 v38, v38, 23, v56
	v_or3_b32 v38, v55, v38, v52
	v_lshrrev_b32_e32 v55, 16, v38
.LBB872_149:
	s_or_b64 exec, exec, s[10:11]
.LBB872_150:
	s_or_b64 exec, exec, s[8:9]
.LBB872_151:
	s_or_b64 exec, exec, s[2:3]
	s_mov_b32 s2, 0xffffff
	v_cmp_lt_u32_e32 vcc, s2, v39
	v_mov_b32_e32 v52, 0
	v_mov_b32_e32 v56, 0
	s_and_saveexec_b64 s[2:3], vcc
	s_cbranch_execz .LBB872_157
; %bb.152:
	v_lshrrev_b32_e32 v38, 24, v39
	s_movk_i32 s8, 0x80
	v_cmp_ne_u32_e32 vcc, s8, v38
	v_mov_b32_e32 v56, 0xffff8000
	s_and_saveexec_b64 s[8:9], vcc
	s_cbranch_execz .LBB872_156
; %bb.153:
	v_bfe_u32 v39, v39, 24, 7
	s_movk_i32 s10, 0x7f
	v_cmp_ne_u32_e32 vcc, s10, v39
	v_mov_b32_e32 v56, 0x7f80
	s_and_saveexec_b64 s[10:11], vcc
	s_cbranch_execz .LBB872_155
; %bb.154:
	v_and_b32_e32 v58, 7, v38
	v_ffbh_u32_e32 v56, v58
	v_min_u32_e32 v60, 32, v56
	v_subrev_u32_e32 v56, 28, v60
	v_lshlrev_b64 v[56:57], v56, v[38:39]
	v_lshrrev_b32_e32 v59, 3, v39
	v_sub_u32_e32 v57, 29, v60
	v_and_b32_e32 v56, 7, v56
	v_cmp_gt_u32_e32 vcc, 8, v39
	v_cndmask_b32_e32 v39, v59, v57, vcc
	v_cndmask_b32_e32 v56, v58, v56, vcc
	v_lshlrev_b32_e32 v38, 24, v38
	v_bfrev_b32_e32 v57, 60
	v_lshlrev_b32_e32 v56, 20, v56
	v_and_b32_e32 v38, 0x80000000, v38
	v_lshl_add_u32 v39, v39, 23, v57
	v_or3_b32 v38, v38, v39, v56
	v_lshrrev_b32_e32 v56, 16, v38
.LBB872_155:
	s_or_b64 exec, exec, s[10:11]
.LBB872_156:
	s_or_b64 exec, exec, s[8:9]
.LBB872_157:
	s_or_b64 exec, exec, s[2:3]
	s_mov_b32 s2, 0x5040100
	v_perm_b32 v39, v54, v44, s2
	v_perm_b32 v38, v43, v53, s2
	v_cmp_ne_u16_sdwa s[8:9], v40, v52 src0_sel:BYTE_0 src1_sel:DWORD
	s_nop 0
	v_mfma_f32_16x16x16bf16_1k v[58:61], v[38:39], v[26:27], 0
	v_perm_b32 v39, v56, v55, s2
	v_perm_b32 v38, v42, v45, s2
	s_nop 1
	v_mfma_f32_16x16x16bf16_1k v[42:45], v[38:39], v[28:29], v[58:61]
	s_and_saveexec_b64 s[2:3], s[8:9]
	s_cbranch_execz .LBB872_163
; %bb.158:
	s_movk_i32 s8, 0x80
	v_cmp_ne_u16_sdwa s[10:11], v40, s8 src0_sel:BYTE_0 src1_sel:DWORD
	v_mov_b32_e32 v52, 0xffff8000
	s_and_saveexec_b64 s[8:9], s[10:11]
	s_cbranch_execz .LBB872_162
; %bb.159:
	s_movk_i32 s10, 0x7f
	v_and_b32_e32 v38, 0x7f, v40
	v_cmp_ne_u32_e32 vcc, s10, v38
	v_mov_b32_e32 v52, 0x7f80
	s_and_saveexec_b64 s[10:11], vcc
	s_cbranch_execz .LBB872_161
; %bb.160:
	v_and_b32_e32 v39, 7, v40
	v_ffbh_u32_e32 v52, v39
	v_min_u32_e32 v55, 32, v52
	v_subrev_u32_e32 v52, 28, v55
	v_lshlrev_b64 v[52:53], v52, v[40:41]
	v_lshrrev_b32_e32 v54, 3, v38
	v_sub_u32_e32 v53, 29, v55
	v_and_b32_e32 v52, 7, v52
	v_cmp_gt_u32_e32 vcc, 8, v38
	v_cndmask_b32_e32 v38, v54, v53, vcc
	v_cndmask_b32_e32 v39, v39, v52, vcc
	v_lshlrev_b32_e32 v52, 24, v40
	v_bfrev_b32_e32 v53, 60
	v_lshlrev_b32_e32 v39, 20, v39
	v_and_b32_e32 v52, 0x80000000, v52
	v_lshl_add_u32 v38, v38, 23, v53
	v_or3_b32 v38, v52, v38, v39
	v_lshrrev_b32_e32 v52, 16, v38
.LBB872_161:
	s_or_b64 exec, exec, s[10:11]
.LBB872_162:
	s_or_b64 exec, exec, s[8:9]
.LBB872_163:
	s_or_b64 exec, exec, s[2:3]
	v_lshrrev_b16_e32 v38, 8, v40
	v_cmp_ne_u16_e32 vcc, 0, v38
	v_mov_b32_e32 v54, 0
	v_mov_b32_e32 v39, 0
	s_and_saveexec_b64 s[2:3], vcc
	s_cbranch_execz .LBB872_169
; %bb.164:
	s_movk_i32 s8, 0x80
	v_cmp_ne_u16_e32 vcc, s8, v38
	v_mov_b32_e32 v39, 0xffff8000
	s_and_saveexec_b64 s[8:9], vcc
	s_cbranch_execz .LBB872_168
; %bb.165:
	s_movk_i32 s10, 0x7f
	v_and_b32_e32 v53, 0x7f, v38
	v_cmp_ne_u32_e32 vcc, s10, v53
	v_mov_b32_e32 v39, 0x7f80
	s_and_saveexec_b64 s[10:11], vcc
	s_cbranch_execz .LBB872_167
; %bb.166:
	v_and_b32_e32 v55, 7, v38
	v_ffbh_u32_e32 v39, v55
	v_min_u32_e32 v57, 32, v39
	v_subrev_u32_e32 v39, 28, v57
	v_lshlrev_b64 v[38:39], v39, v[38:39]
	v_lshrrev_b32_e32 v56, 3, v53
	v_sub_u32_e32 v39, 29, v57
	v_and_b32_e32 v38, 7, v38
	v_cmp_gt_u32_e32 vcc, 8, v53
	v_cndmask_b32_e32 v39, v56, v39, vcc
	v_cndmask_b32_e32 v38, v55, v38, vcc
	v_lshlrev_b32_e32 v53, 16, v40
	v_bfrev_b32_e32 v55, 60
	v_lshlrev_b32_e32 v38, 20, v38
	v_and_b32_e32 v53, 0x80000000, v53
	v_lshl_add_u32 v39, v39, 23, v55
	v_or3_b32 v38, v53, v39, v38
	v_lshrrev_b32_e32 v39, 16, v38
.LBB872_167:
	s_or_b64 exec, exec, s[10:11]
.LBB872_168:
	s_or_b64 exec, exec, s[8:9]
.LBB872_169:
	s_or_b64 exec, exec, s[2:3]
	s_movk_i32 s2, 0xff
	v_and_b32_sdwa v53, v40, s2 dst_sel:DWORD dst_unused:UNUSED_PAD src0_sel:WORD_1 src1_sel:DWORD
	v_lshrrev_b32_e32 v38, 16, v40
	v_cmp_ne_u16_e32 vcc, 0, v53
	s_and_saveexec_b64 s[2:3], vcc
	s_cbranch_execz .LBB872_175
; %bb.170:
	s_movk_i32 s8, 0x80
	v_cmp_ne_u16_e32 vcc, s8, v53
	v_mov_b32_e32 v54, 0xffff8000
	s_and_saveexec_b64 s[8:9], vcc
	s_cbranch_execz .LBB872_174
; %bb.171:
	v_bfe_u32 v53, v40, 16, 7
	s_movk_i32 s10, 0x7f
	v_cmp_ne_u32_e32 vcc, s10, v53
	v_mov_b32_e32 v54, 0x7f80
	s_and_saveexec_b64 s[10:11], vcc
	s_cbranch_execz .LBB872_173
; %bb.172:
	v_and_b32_e32 v56, 7, v38
	v_ffbh_u32_e32 v54, v56
	v_min_u32_e32 v58, 32, v54
	v_subrev_u32_e32 v54, 28, v58
	v_lshlrev_b64 v[54:55], v54, v[38:39]
	v_and_b32_e32 v54, 7, v54
	v_cmp_gt_u32_e32 vcc, 8, v53
	v_lshrrev_b32_e32 v57, 3, v53
	v_sub_u32_e32 v38, 29, v58
	v_cndmask_b32_e32 v53, v56, v54, vcc
	v_mov_b32_e32 v54, 24
	v_cndmask_b32_e32 v38, v57, v38, vcc
	v_lshlrev_b32_sdwa v54, v54, v40 dst_sel:DWORD dst_unused:UNUSED_PAD src0_sel:DWORD src1_sel:WORD_1
	v_bfrev_b32_e32 v55, 60
	v_lshlrev_b32_e32 v53, 20, v53
	v_and_b32_e32 v54, 0x80000000, v54
	v_lshl_add_u32 v38, v38, 23, v55
	v_or3_b32 v38, v54, v38, v53
	v_lshrrev_b32_e32 v54, 16, v38
.LBB872_173:
	s_or_b64 exec, exec, s[10:11]
.LBB872_174:
	s_or_b64 exec, exec, s[8:9]
.LBB872_175:
	s_or_b64 exec, exec, s[2:3]
	s_mov_b32 s2, 0xffffff
	v_cmp_lt_u32_e32 vcc, s2, v40
	v_mov_b32_e32 v55, 0
	v_mov_b32_e32 v56, 0
	s_and_saveexec_b64 s[2:3], vcc
	s_cbranch_execz .LBB872_181
; %bb.176:
	v_lshrrev_b32_e32 v38, 24, v40
	s_movk_i32 s8, 0x80
	v_cmp_ne_u32_e32 vcc, s8, v38
	v_mov_b32_e32 v56, 0xffff8000
	s_and_saveexec_b64 s[8:9], vcc
	s_cbranch_execz .LBB872_180
; %bb.177:
	v_bfe_u32 v40, v40, 24, 7
	s_movk_i32 s10, 0x7f
	v_cmp_ne_u32_e32 vcc, s10, v40
	v_mov_b32_e32 v56, 0x7f80
	s_and_saveexec_b64 s[10:11], vcc
	s_cbranch_execz .LBB872_179
; %bb.178:
	v_and_b32_e32 v53, 7, v38
	v_ffbh_u32_e32 v56, v53
	v_min_u32_e32 v59, 32, v56
	v_subrev_u32_e32 v56, 28, v59
	v_lshlrev_b64 v[56:57], v56, v[38:39]
	v_lshrrev_b32_e32 v58, 3, v40
	v_sub_u32_e32 v57, 29, v59
	v_and_b32_e32 v56, 7, v56
	v_cmp_gt_u32_e32 vcc, 8, v40
	v_cndmask_b32_e32 v40, v58, v57, vcc
	v_cndmask_b32_e32 v53, v53, v56, vcc
	v_lshlrev_b32_e32 v38, 24, v38
	v_bfrev_b32_e32 v56, 60
	v_lshlrev_b32_e32 v53, 20, v53
	v_and_b32_e32 v38, 0x80000000, v38
	v_lshl_add_u32 v40, v40, 23, v56
	v_or3_b32 v38, v38, v40, v53
	v_lshrrev_b32_e32 v56, 16, v38
.LBB872_179:
	s_or_b64 exec, exec, s[10:11]
.LBB872_180:
	s_or_b64 exec, exec, s[8:9]
.LBB872_181:
	s_or_b64 exec, exec, s[2:3]
	v_cmp_ne_u16_sdwa s[8:9], v41, v55 src0_sel:BYTE_0 src1_sel:DWORD
	s_and_saveexec_b64 s[2:3], s[8:9]
	s_cbranch_execz .LBB872_187
; %bb.182:
	s_movk_i32 s8, 0x80
	v_cmp_ne_u16_sdwa s[10:11], v41, s8 src0_sel:BYTE_0 src1_sel:DWORD
	v_mov_b32_e32 v55, 0xffff8000
	s_and_saveexec_b64 s[8:9], s[10:11]
	s_cbranch_execz .LBB872_186
; %bb.183:
	s_movk_i32 s10, 0x7f
	v_and_b32_e32 v38, 0x7f, v41
	v_cmp_ne_u32_e32 vcc, s10, v38
	v_mov_b32_e32 v55, 0x7f80
	s_and_saveexec_b64 s[10:11], vcc
	s_cbranch_execz .LBB872_185
; %bb.184:
	v_and_b32_e32 v53, 7, v41
	v_ffbh_u32_e32 v57, v53
	v_min_u32_e32 v57, 32, v57
	v_mov_b32_e32 v40, v41
	v_subrev_u32_e32 v58, 28, v57
	v_lshlrev_b64 v[58:59], v58, v[40:41]
	v_lshrrev_b32_e32 v55, 3, v38
	v_sub_u32_e32 v40, 29, v57
	v_and_b32_e32 v57, 7, v58
	v_cmp_gt_u32_e32 vcc, 8, v38
	v_cndmask_b32_e32 v38, v55, v40, vcc
	v_cndmask_b32_e32 v40, v53, v57, vcc
	v_lshlrev_b32_e32 v53, 24, v41
	v_bfrev_b32_e32 v55, 60
	v_lshlrev_b32_e32 v40, 20, v40
	v_and_b32_e32 v53, 0x80000000, v53
	v_lshl_add_u32 v38, v38, 23, v55
	v_or3_b32 v38, v53, v38, v40
	v_lshrrev_b32_e32 v55, 16, v38
.LBB872_185:
	s_or_b64 exec, exec, s[10:11]
.LBB872_186:
	s_or_b64 exec, exec, s[8:9]
.LBB872_187:
	s_or_b64 exec, exec, s[2:3]
	v_lshrrev_b16_e32 v38, 8, v41
	v_cmp_ne_u16_e32 vcc, 0, v38
	v_mov_b32_e32 v57, 0
	v_mov_b32_e32 v40, 0
	s_and_saveexec_b64 s[2:3], vcc
	s_cbranch_execz .LBB872_193
; %bb.188:
	s_movk_i32 s8, 0x80
	v_cmp_ne_u16_e32 vcc, s8, v38
	v_mov_b32_e32 v40, 0xffff8000
	s_and_saveexec_b64 s[8:9], vcc
	s_cbranch_execz .LBB872_192
; %bb.189:
	s_movk_i32 s10, 0x7f
	v_and_b32_e32 v53, 0x7f, v38
	v_cmp_ne_u32_e32 vcc, s10, v53
	v_mov_b32_e32 v40, 0x7f80
	s_and_saveexec_b64 s[10:11], vcc
	s_cbranch_execz .LBB872_191
; %bb.190:
	v_and_b32_e32 v40, 7, v38
	v_ffbh_u32_e32 v58, v40
	v_min_u32_e32 v61, 32, v58
	v_subrev_u32_e32 v58, 28, v61
	v_lshlrev_b64 v[58:59], v58, v[38:39]
	v_lshrrev_b32_e32 v60, 3, v53
	v_sub_u32_e32 v38, 29, v61
	v_and_b32_e32 v58, 7, v58
	v_cmp_gt_u32_e32 vcc, 8, v53
	v_cndmask_b32_e32 v38, v60, v38, vcc
	v_cndmask_b32_e32 v40, v40, v58, vcc
	v_lshlrev_b32_e32 v53, 16, v41
	v_bfrev_b32_e32 v58, 60
	v_lshlrev_b32_e32 v40, 20, v40
	v_and_b32_e32 v53, 0x80000000, v53
	v_lshl_add_u32 v38, v38, 23, v58
	v_or3_b32 v38, v53, v38, v40
	v_lshrrev_b32_e32 v40, 16, v38
.LBB872_191:
	s_or_b64 exec, exec, s[10:11]
.LBB872_192:
	s_or_b64 exec, exec, s[8:9]
.LBB872_193:
	s_or_b64 exec, exec, s[2:3]
	s_movk_i32 s2, 0xff
	v_and_b32_sdwa v53, v41, s2 dst_sel:DWORD dst_unused:UNUSED_PAD src0_sel:WORD_1 src1_sel:DWORD
	v_lshrrev_b32_e32 v38, 16, v41
	v_cmp_ne_u16_e32 vcc, 0, v53
	s_and_saveexec_b64 s[2:3], vcc
	s_cbranch_execz .LBB872_199
; %bb.194:
	s_movk_i32 s8, 0x80
	v_cmp_ne_u16_e32 vcc, s8, v53
	v_mov_b32_e32 v57, 0xffff8000
	s_and_saveexec_b64 s[8:9], vcc
	s_cbranch_execz .LBB872_198
; %bb.195:
	v_bfe_u32 v53, v41, 16, 7
	s_movk_i32 s10, 0x7f
	v_cmp_ne_u32_e32 vcc, s10, v53
	v_mov_b32_e32 v57, 0x7f80
	s_and_saveexec_b64 s[10:11], vcc
	s_cbranch_execz .LBB872_197
; %bb.196:
	v_and_b32_e32 v57, 7, v38
	v_ffbh_u32_e32 v58, v57
	v_min_u32_e32 v61, 32, v58
	v_subrev_u32_e32 v58, 28, v61
	v_lshlrev_b64 v[58:59], v58, v[38:39]
	v_and_b32_e32 v58, 7, v58
	v_cmp_gt_u32_e32 vcc, 8, v53
	v_lshrrev_b32_e32 v60, 3, v53
	v_sub_u32_e32 v38, 29, v61
	v_cndmask_b32_e32 v53, v57, v58, vcc
	v_mov_b32_e32 v57, 24
	v_cndmask_b32_e32 v38, v60, v38, vcc
	v_lshlrev_b32_sdwa v57, v57, v41 dst_sel:DWORD dst_unused:UNUSED_PAD src0_sel:DWORD src1_sel:WORD_1
	v_bfrev_b32_e32 v58, 60
	v_lshlrev_b32_e32 v53, 20, v53
	v_and_b32_e32 v57, 0x80000000, v57
	v_lshl_add_u32 v38, v38, 23, v58
	v_or3_b32 v38, v57, v38, v53
	v_lshrrev_b32_e32 v57, 16, v38
.LBB872_197:
	s_or_b64 exec, exec, s[10:11]
.LBB872_198:
	s_or_b64 exec, exec, s[8:9]
.LBB872_199:
	s_or_b64 exec, exec, s[2:3]
	s_mov_b32 s2, 0xffffff
	v_cmp_lt_u32_e32 vcc, s2, v41
	v_mov_b32_e32 v53, 0
	v_mov_b32_e32 v58, 0
	s_and_saveexec_b64 s[2:3], vcc
	s_cbranch_execz .LBB872_205
; %bb.200:
	v_lshrrev_b32_e32 v38, 24, v41
	s_movk_i32 s8, 0x80
	v_cmp_ne_u32_e32 vcc, s8, v38
	v_mov_b32_e32 v58, 0xffff8000
	s_and_saveexec_b64 s[8:9], vcc
	s_cbranch_execz .LBB872_204
; %bb.201:
	v_bfe_u32 v41, v41, 24, 7
	s_movk_i32 s10, 0x7f
	v_cmp_ne_u32_e32 vcc, s10, v41
	v_mov_b32_e32 v58, 0x7f80
	s_and_saveexec_b64 s[10:11], vcc
	s_cbranch_execz .LBB872_203
; %bb.202:
	v_and_b32_e32 v60, 7, v38
	v_ffbh_u32_e32 v58, v60
	v_min_u32_e32 v62, 32, v58
	v_subrev_u32_e32 v58, 28, v62
	v_lshlrev_b64 v[58:59], v58, v[38:39]
	v_lshrrev_b32_e32 v61, 3, v41
	v_sub_u32_e32 v59, 29, v62
	v_and_b32_e32 v58, 7, v58
	v_cmp_gt_u32_e32 vcc, 8, v41
	v_cndmask_b32_e32 v41, v61, v59, vcc
	v_cndmask_b32_e32 v58, v60, v58, vcc
	v_lshlrev_b32_e32 v38, 24, v38
	v_bfrev_b32_e32 v59, 60
	v_lshlrev_b32_e32 v58, 20, v58
	v_and_b32_e32 v38, 0x80000000, v38
	v_lshl_add_u32 v41, v41, 23, v59
	v_or3_b32 v38, v38, v41, v58
	v_lshrrev_b32_e32 v58, 16, v38
.LBB872_203:
	s_or_b64 exec, exec, s[10:11]
.LBB872_204:
	s_or_b64 exec, exec, s[8:9]
.LBB872_205:
	s_or_b64 exec, exec, s[2:3]
	s_mov_b32 s2, 0x5040100
	v_perm_b32 v61, v56, v54, s2
	v_perm_b32 v60, v39, v52, s2
	;; [unrolled: 1-line block ×4, first 2 shown]
	v_cmp_ne_u16_sdwa s[8:9], v30, v53 src0_sel:BYTE_0 src1_sel:DWORD
	v_mfma_f32_16x16x16bf16_1k v[42:45], v[60:61], v[18:19], v[42:45]
	v_mfma_f32_16x16x16bf16_1k v[38:41], v[38:39], v[20:21], v[42:45]
	s_and_saveexec_b64 s[2:3], s[8:9]
	s_cbranch_execz .LBB872_211
; %bb.206:
	s_movk_i32 s8, 0x80
	v_cmp_ne_u16_sdwa s[10:11], v30, s8 src0_sel:BYTE_0 src1_sel:DWORD
	v_mov_b32_e32 v53, 0xffff8000
	s_and_saveexec_b64 s[8:9], s[10:11]
	s_cbranch_execz .LBB872_210
; %bb.207:
	s_movk_i32 s10, 0x7f
	s_nop 1
	v_and_b32_e32 v42, 0x7f, v30
	v_cmp_ne_u32_e32 vcc, s10, v42
	v_mov_b32_e32 v53, 0x7f80
	s_and_saveexec_b64 s[10:11], vcc
	s_cbranch_execz .LBB872_209
; %bb.208:
	v_and_b32_e32 v43, 7, v30
	v_ffbh_u32_e32 v44, v43
	v_min_u32_e32 v53, 32, v44
	v_subrev_u32_e32 v44, 28, v53
	v_lshlrev_b64 v[44:45], v44, v[30:31]
	v_lshrrev_b32_e32 v52, 3, v42
	v_sub_u32_e32 v45, 29, v53
	v_and_b32_e32 v44, 7, v44
	v_cmp_gt_u32_e32 vcc, 8, v42
	v_cndmask_b32_e32 v42, v52, v45, vcc
	v_cndmask_b32_e32 v43, v43, v44, vcc
	v_lshlrev_b32_e32 v44, 24, v30
	v_bfrev_b32_e32 v45, 60
	v_lshlrev_b32_e32 v43, 20, v43
	v_and_b32_e32 v44, 0x80000000, v44
	v_lshl_add_u32 v42, v42, 23, v45
	v_or3_b32 v42, v44, v42, v43
	v_lshrrev_b32_e32 v53, 16, v42
.LBB872_209:
	s_or_b64 exec, exec, s[10:11]
.LBB872_210:
	s_or_b64 exec, exec, s[8:9]
.LBB872_211:
	s_or_b64 exec, exec, s[2:3]
	s_nop 6
	v_lshrrev_b16_e32 v42, 8, v30
	v_cmp_ne_u16_e32 vcc, 0, v42
	v_mov_b32_e32 v44, 0
	v_mov_b32_e32 v43, 0
	s_and_saveexec_b64 s[2:3], vcc
	s_cbranch_execz .LBB872_217
; %bb.212:
	s_movk_i32 s8, 0x80
	v_cmp_ne_u16_e32 vcc, s8, v42
	v_mov_b32_e32 v43, 0xffff8000
	s_and_saveexec_b64 s[8:9], vcc
	s_cbranch_execz .LBB872_216
; %bb.213:
	s_movk_i32 s10, 0x7f
	v_and_b32_e32 v45, 0x7f, v42
	v_cmp_ne_u32_e32 vcc, s10, v45
	v_mov_b32_e32 v43, 0x7f80
	s_and_saveexec_b64 s[10:11], vcc
	s_cbranch_execz .LBB872_215
; %bb.214:
	v_and_b32_e32 v52, 7, v42
	v_ffbh_u32_e32 v43, v52
	v_min_u32_e32 v55, 32, v43
	v_subrev_u32_e32 v43, 28, v55
	v_lshlrev_b64 v[42:43], v43, v[42:43]
	v_lshrrev_b32_e32 v54, 3, v45
	v_sub_u32_e32 v43, 29, v55
	v_and_b32_e32 v42, 7, v42
	v_cmp_gt_u32_e32 vcc, 8, v45
	v_cndmask_b32_e32 v43, v54, v43, vcc
	v_cndmask_b32_e32 v42, v52, v42, vcc
	v_lshlrev_b32_e32 v45, 16, v30
	v_bfrev_b32_e32 v52, 60
	v_lshlrev_b32_e32 v42, 20, v42
	v_and_b32_e32 v45, 0x80000000, v45
	v_lshl_add_u32 v43, v43, 23, v52
	v_or3_b32 v42, v45, v43, v42
	v_lshrrev_b32_e32 v43, 16, v42
.LBB872_215:
	s_or_b64 exec, exec, s[10:11]
.LBB872_216:
	s_or_b64 exec, exec, s[8:9]
.LBB872_217:
	s_or_b64 exec, exec, s[2:3]
	s_movk_i32 s2, 0xff
	v_and_b32_sdwa v45, v30, s2 dst_sel:DWORD dst_unused:UNUSED_PAD src0_sel:WORD_1 src1_sel:DWORD
	v_lshrrev_b32_e32 v42, 16, v30
	v_cmp_ne_u16_e32 vcc, 0, v45
	s_and_saveexec_b64 s[2:3], vcc
	s_cbranch_execz .LBB872_223
; %bb.218:
	s_movk_i32 s8, 0x80
	v_cmp_ne_u16_e32 vcc, s8, v45
	v_mov_b32_e32 v44, 0xffff8000
	s_and_saveexec_b64 s[8:9], vcc
	s_cbranch_execz .LBB872_222
; %bb.219:
	v_bfe_u32 v45, v30, 16, 7
	s_movk_i32 s10, 0x7f
	v_cmp_ne_u32_e32 vcc, s10, v45
	v_mov_b32_e32 v44, 0x7f80
	s_and_saveexec_b64 s[10:11], vcc
	s_cbranch_execz .LBB872_221
; %bb.220:
	v_and_b32_e32 v44, 7, v42
	v_ffbh_u32_e32 v54, v44
	v_min_u32_e32 v56, 32, v54
	v_subrev_u32_e32 v54, 28, v56
	v_lshlrev_b64 v[54:55], v54, v[42:43]
	v_lshrrev_b32_e32 v52, 3, v45
	v_sub_u32_e32 v42, 29, v56
	v_and_b32_e32 v54, 7, v54
	v_cmp_gt_u32_e32 vcc, 8, v45
	v_mov_b32_e32 v45, 24
	v_cndmask_b32_e32 v42, v52, v42, vcc
	v_cndmask_b32_e32 v44, v44, v54, vcc
	v_lshlrev_b32_sdwa v45, v45, v30 dst_sel:DWORD dst_unused:UNUSED_PAD src0_sel:DWORD src1_sel:WORD_1
	v_bfrev_b32_e32 v52, 60
	v_lshlrev_b32_e32 v44, 20, v44
	v_and_b32_e32 v45, 0x80000000, v45
	v_lshl_add_u32 v42, v42, 23, v52
	v_or3_b32 v42, v45, v42, v44
	v_lshrrev_b32_e32 v44, 16, v42
.LBB872_221:
	s_or_b64 exec, exec, s[10:11]
.LBB872_222:
	s_or_b64 exec, exec, s[8:9]
.LBB872_223:
	s_or_b64 exec, exec, s[2:3]
	s_mov_b32 s2, 0xffffff
	v_cmp_lt_u32_e32 vcc, s2, v30
	v_mov_b32_e32 v45, 0
	v_mov_b32_e32 v54, 0
	s_and_saveexec_b64 s[2:3], vcc
	s_cbranch_execz .LBB872_229
; %bb.224:
	v_lshrrev_b32_e32 v42, 24, v30
	s_movk_i32 s8, 0x80
	v_cmp_ne_u32_e32 vcc, s8, v42
	v_mov_b32_e32 v54, 0xffff8000
	s_and_saveexec_b64 s[8:9], vcc
	s_cbranch_execz .LBB872_228
; %bb.225:
	v_bfe_u32 v30, v30, 24, 7
	s_movk_i32 s10, 0x7f
	v_cmp_ne_u32_e32 vcc, s10, v30
	v_mov_b32_e32 v54, 0x7f80
	s_and_saveexec_b64 s[10:11], vcc
	s_cbranch_execz .LBB872_227
; %bb.226:
	v_and_b32_e32 v52, 7, v42
	v_ffbh_u32_e32 v54, v52
	v_min_u32_e32 v57, 32, v54
	v_subrev_u32_e32 v54, 28, v57
	v_lshlrev_b64 v[54:55], v54, v[42:43]
	v_lshrrev_b32_e32 v56, 3, v30
	v_sub_u32_e32 v55, 29, v57
	v_and_b32_e32 v54, 7, v54
	v_cmp_gt_u32_e32 vcc, 8, v30
	v_cndmask_b32_e32 v30, v56, v55, vcc
	v_cndmask_b32_e32 v52, v52, v54, vcc
	v_lshlrev_b32_e32 v42, 24, v42
	v_bfrev_b32_e32 v54, 60
	v_lshlrev_b32_e32 v52, 20, v52
	v_and_b32_e32 v42, 0x80000000, v42
	v_lshl_add_u32 v30, v30, 23, v54
	v_or3_b32 v30, v42, v30, v52
	v_lshrrev_b32_e32 v54, 16, v30
.LBB872_227:
	s_or_b64 exec, exec, s[10:11]
.LBB872_228:
	s_or_b64 exec, exec, s[8:9]
.LBB872_229:
	s_or_b64 exec, exec, s[2:3]
	v_cmp_ne_u16_sdwa s[8:9], v31, v45 src0_sel:BYTE_0 src1_sel:DWORD
	s_and_saveexec_b64 s[2:3], s[8:9]
	s_cbranch_execz .LBB872_235
; %bb.230:
	s_movk_i32 s8, 0x80
	v_cmp_ne_u16_sdwa s[10:11], v31, s8 src0_sel:BYTE_0 src1_sel:DWORD
	v_mov_b32_e32 v45, 0xffff8000
	s_and_saveexec_b64 s[8:9], s[10:11]
	s_cbranch_execz .LBB872_234
; %bb.231:
	s_movk_i32 s10, 0x7f
	v_and_b32_e32 v30, 0x7f, v31
	v_cmp_ne_u32_e32 vcc, s10, v30
	v_mov_b32_e32 v45, 0x7f80
	s_and_saveexec_b64 s[10:11], vcc
	s_cbranch_execz .LBB872_233
; %bb.232:
	v_and_b32_e32 v45, 7, v31
	v_ffbh_u32_e32 v55, v45
	v_min_u32_e32 v55, 32, v55
	v_mov_b32_e32 v42, v31
	v_subrev_u32_e32 v56, 28, v55
	v_lshlrev_b64 v[56:57], v56, v[42:43]
	v_lshrrev_b32_e32 v52, 3, v30
	v_sub_u32_e32 v42, 29, v55
	v_and_b32_e32 v55, 7, v56
	v_cmp_gt_u32_e32 vcc, 8, v30
	v_cndmask_b32_e32 v30, v52, v42, vcc
	v_cndmask_b32_e32 v42, v45, v55, vcc
	v_lshlrev_b32_e32 v45, 24, v31
	v_bfrev_b32_e32 v52, 60
	v_lshlrev_b32_e32 v42, 20, v42
	v_and_b32_e32 v45, 0x80000000, v45
	v_lshl_add_u32 v30, v30, 23, v52
	v_or3_b32 v30, v45, v30, v42
	v_lshrrev_b32_e32 v45, 16, v30
.LBB872_233:
	s_or_b64 exec, exec, s[10:11]
.LBB872_234:
	s_or_b64 exec, exec, s[8:9]
.LBB872_235:
	s_or_b64 exec, exec, s[2:3]
	v_lshrrev_b16_e32 v30, 8, v31
	v_cmp_ne_u16_e32 vcc, 0, v30
	v_mov_b32_e32 v55, 0
	v_mov_b32_e32 v42, 0
	s_and_saveexec_b64 s[2:3], vcc
	s_cbranch_execz .LBB872_241
; %bb.236:
	s_movk_i32 s8, 0x80
	v_cmp_ne_u16_e32 vcc, s8, v30
	v_mov_b32_e32 v42, 0xffff8000
	s_and_saveexec_b64 s[8:9], vcc
	s_cbranch_execz .LBB872_240
; %bb.237:
	s_movk_i32 s10, 0x7f
	v_and_b32_e32 v52, 0x7f, v30
	v_cmp_ne_u32_e32 vcc, s10, v52
	v_mov_b32_e32 v42, 0x7f80
	s_and_saveexec_b64 s[10:11], vcc
	s_cbranch_execz .LBB872_239
; %bb.238:
	v_and_b32_e32 v42, 7, v30
	v_ffbh_u32_e32 v56, v42
	v_min_u32_e32 v59, 32, v56
	v_subrev_u32_e32 v56, 28, v59
	v_lshlrev_b64 v[56:57], v56, v[30:31]
	v_lshrrev_b32_e32 v58, 3, v52
	v_sub_u32_e32 v30, 29, v59
	v_and_b32_e32 v56, 7, v56
	v_cmp_gt_u32_e32 vcc, 8, v52
	v_cndmask_b32_e32 v30, v58, v30, vcc
	v_cndmask_b32_e32 v42, v42, v56, vcc
	v_lshlrev_b32_e32 v52, 16, v31
	v_bfrev_b32_e32 v56, 60
	v_lshlrev_b32_e32 v42, 20, v42
	v_and_b32_e32 v52, 0x80000000, v52
	v_lshl_add_u32 v30, v30, 23, v56
	v_or3_b32 v30, v52, v30, v42
	v_lshrrev_b32_e32 v42, 16, v30
.LBB872_239:
	s_or_b64 exec, exec, s[10:11]
.LBB872_240:
	s_or_b64 exec, exec, s[8:9]
.LBB872_241:
	s_or_b64 exec, exec, s[2:3]
	s_movk_i32 s2, 0xff
	v_and_b32_sdwa v52, v31, s2 dst_sel:DWORD dst_unused:UNUSED_PAD src0_sel:WORD_1 src1_sel:DWORD
	v_lshrrev_b32_e32 v30, 16, v31
	v_cmp_ne_u16_e32 vcc, 0, v52
	s_and_saveexec_b64 s[2:3], vcc
	s_cbranch_execz .LBB872_247
; %bb.242:
	s_movk_i32 s8, 0x80
	v_cmp_ne_u16_e32 vcc, s8, v52
	v_mov_b32_e32 v55, 0xffff8000
	s_and_saveexec_b64 s[8:9], vcc
	s_cbranch_execz .LBB872_246
; %bb.243:
	v_bfe_u32 v52, v31, 16, 7
	s_movk_i32 s10, 0x7f
	v_cmp_ne_u32_e32 vcc, s10, v52
	v_mov_b32_e32 v55, 0x7f80
	s_and_saveexec_b64 s[10:11], vcc
	s_cbranch_execz .LBB872_245
; %bb.244:
	v_and_b32_e32 v55, 7, v30
	v_ffbh_u32_e32 v56, v55
	v_min_u32_e32 v59, 32, v56
	v_subrev_u32_e32 v56, 28, v59
	v_lshlrev_b64 v[56:57], v56, v[30:31]
	v_and_b32_e32 v56, 7, v56
	v_cmp_gt_u32_e32 vcc, 8, v52
	v_lshrrev_b32_e32 v58, 3, v52
	v_sub_u32_e32 v30, 29, v59
	v_cndmask_b32_e32 v52, v55, v56, vcc
	v_mov_b32_e32 v55, 24
	v_cndmask_b32_e32 v30, v58, v30, vcc
	v_lshlrev_b32_sdwa v55, v55, v31 dst_sel:DWORD dst_unused:UNUSED_PAD src0_sel:DWORD src1_sel:WORD_1
	v_bfrev_b32_e32 v56, 60
	v_lshlrev_b32_e32 v52, 20, v52
	v_and_b32_e32 v55, 0x80000000, v55
	v_lshl_add_u32 v30, v30, 23, v56
	v_or3_b32 v30, v55, v30, v52
	v_lshrrev_b32_e32 v55, 16, v30
.LBB872_245:
	s_or_b64 exec, exec, s[10:11]
.LBB872_246:
	s_or_b64 exec, exec, s[8:9]
.LBB872_247:
	s_or_b64 exec, exec, s[2:3]
	s_mov_b32 s2, 0xffffff
	v_cmp_lt_u32_e32 vcc, s2, v31
	v_mov_b32_e32 v52, 0
	v_mov_b32_e32 v56, 0
	s_and_saveexec_b64 s[2:3], vcc
	s_cbranch_execz .LBB872_253
; %bb.248:
	v_lshrrev_b32_e32 v30, 24, v31
	s_movk_i32 s8, 0x80
	v_cmp_ne_u32_e32 vcc, s8, v30
	v_mov_b32_e32 v56, 0xffff8000
	s_and_saveexec_b64 s[8:9], vcc
	s_cbranch_execz .LBB872_252
; %bb.249:
	v_bfe_u32 v31, v31, 24, 7
	s_movk_i32 s10, 0x7f
	v_cmp_ne_u32_e32 vcc, s10, v31
	v_mov_b32_e32 v56, 0x7f80
	s_and_saveexec_b64 s[10:11], vcc
	s_cbranch_execz .LBB872_251
; %bb.250:
	v_and_b32_e32 v58, 7, v30
	v_ffbh_u32_e32 v56, v58
	v_min_u32_e32 v60, 32, v56
	v_subrev_u32_e32 v56, 28, v60
	v_lshlrev_b64 v[56:57], v56, v[30:31]
	v_lshrrev_b32_e32 v59, 3, v31
	v_sub_u32_e32 v57, 29, v60
	v_and_b32_e32 v56, 7, v56
	v_cmp_gt_u32_e32 vcc, 8, v31
	v_cndmask_b32_e32 v31, v59, v57, vcc
	v_cndmask_b32_e32 v56, v58, v56, vcc
	v_lshlrev_b32_e32 v30, 24, v30
	v_bfrev_b32_e32 v57, 60
	v_lshlrev_b32_e32 v56, 20, v56
	v_and_b32_e32 v30, 0x80000000, v30
	v_lshl_add_u32 v31, v31, 23, v57
	v_or3_b32 v30, v30, v31, v56
	v_lshrrev_b32_e32 v56, 16, v30
.LBB872_251:
	s_or_b64 exec, exec, s[10:11]
.LBB872_252:
	s_or_b64 exec, exec, s[8:9]
.LBB872_253:
	s_or_b64 exec, exec, s[2:3]
	s_mov_b32 s2, 0x5040100
	v_perm_b32 v31, v54, v44, s2
	v_perm_b32 v30, v43, v53, s2
	v_cmp_ne_u16_sdwa s[8:9], v32, v52 src0_sel:BYTE_0 src1_sel:DWORD
	s_nop 0
	v_mfma_f32_16x16x16bf16_1k v[58:61], v[30:31], v[26:27], 0
	v_perm_b32 v31, v56, v55, s2
	v_perm_b32 v30, v42, v45, s2
	s_nop 1
	v_mfma_f32_16x16x16bf16_1k v[42:45], v[30:31], v[28:29], v[58:61]
	s_and_saveexec_b64 s[2:3], s[8:9]
	s_cbranch_execz .LBB872_259
; %bb.254:
	s_movk_i32 s8, 0x80
	v_cmp_ne_u16_sdwa s[10:11], v32, s8 src0_sel:BYTE_0 src1_sel:DWORD
	v_mov_b32_e32 v52, 0xffff8000
	s_and_saveexec_b64 s[8:9], s[10:11]
	s_cbranch_execz .LBB872_258
; %bb.255:
	s_movk_i32 s10, 0x7f
	v_and_b32_e32 v30, 0x7f, v32
	v_cmp_ne_u32_e32 vcc, s10, v30
	v_mov_b32_e32 v52, 0x7f80
	s_and_saveexec_b64 s[10:11], vcc
	s_cbranch_execz .LBB872_257
; %bb.256:
	v_and_b32_e32 v31, 7, v32
	v_ffbh_u32_e32 v52, v31
	v_min_u32_e32 v55, 32, v52
	v_subrev_u32_e32 v52, 28, v55
	v_lshlrev_b64 v[52:53], v52, v[32:33]
	v_lshrrev_b32_e32 v54, 3, v30
	v_sub_u32_e32 v53, 29, v55
	v_and_b32_e32 v52, 7, v52
	v_cmp_gt_u32_e32 vcc, 8, v30
	v_cndmask_b32_e32 v30, v54, v53, vcc
	v_cndmask_b32_e32 v31, v31, v52, vcc
	v_lshlrev_b32_e32 v52, 24, v32
	v_bfrev_b32_e32 v53, 60
	v_lshlrev_b32_e32 v31, 20, v31
	v_and_b32_e32 v52, 0x80000000, v52
	v_lshl_add_u32 v30, v30, 23, v53
	v_or3_b32 v30, v52, v30, v31
	v_lshrrev_b32_e32 v52, 16, v30
.LBB872_257:
	s_or_b64 exec, exec, s[10:11]
.LBB872_258:
	s_or_b64 exec, exec, s[8:9]
.LBB872_259:
	s_or_b64 exec, exec, s[2:3]
	v_lshrrev_b16_e32 v30, 8, v32
	v_cmp_ne_u16_e32 vcc, 0, v30
	v_mov_b32_e32 v54, 0
	v_mov_b32_e32 v31, 0
	s_and_saveexec_b64 s[2:3], vcc
	s_cbranch_execz .LBB872_265
; %bb.260:
	s_movk_i32 s8, 0x80
	v_cmp_ne_u16_e32 vcc, s8, v30
	v_mov_b32_e32 v31, 0xffff8000
	s_and_saveexec_b64 s[8:9], vcc
	s_cbranch_execz .LBB872_264
; %bb.261:
	s_movk_i32 s10, 0x7f
	v_and_b32_e32 v53, 0x7f, v30
	v_cmp_ne_u32_e32 vcc, s10, v53
	v_mov_b32_e32 v31, 0x7f80
	s_and_saveexec_b64 s[10:11], vcc
	s_cbranch_execz .LBB872_263
; %bb.262:
	v_and_b32_e32 v55, 7, v30
	v_ffbh_u32_e32 v31, v55
	v_min_u32_e32 v57, 32, v31
	v_subrev_u32_e32 v31, 28, v57
	v_lshlrev_b64 v[30:31], v31, v[30:31]
	v_lshrrev_b32_e32 v56, 3, v53
	v_sub_u32_e32 v31, 29, v57
	v_and_b32_e32 v30, 7, v30
	v_cmp_gt_u32_e32 vcc, 8, v53
	v_cndmask_b32_e32 v31, v56, v31, vcc
	v_cndmask_b32_e32 v30, v55, v30, vcc
	v_lshlrev_b32_e32 v53, 16, v32
	v_bfrev_b32_e32 v55, 60
	v_lshlrev_b32_e32 v30, 20, v30
	v_and_b32_e32 v53, 0x80000000, v53
	v_lshl_add_u32 v31, v31, 23, v55
	v_or3_b32 v30, v53, v31, v30
	v_lshrrev_b32_e32 v31, 16, v30
.LBB872_263:
	s_or_b64 exec, exec, s[10:11]
.LBB872_264:
	s_or_b64 exec, exec, s[8:9]
.LBB872_265:
	s_or_b64 exec, exec, s[2:3]
	s_movk_i32 s2, 0xff
	v_and_b32_sdwa v53, v32, s2 dst_sel:DWORD dst_unused:UNUSED_PAD src0_sel:WORD_1 src1_sel:DWORD
	v_lshrrev_b32_e32 v30, 16, v32
	v_cmp_ne_u16_e32 vcc, 0, v53
	s_and_saveexec_b64 s[2:3], vcc
	s_cbranch_execz .LBB872_271
; %bb.266:
	s_movk_i32 s8, 0x80
	v_cmp_ne_u16_e32 vcc, s8, v53
	v_mov_b32_e32 v54, 0xffff8000
	s_and_saveexec_b64 s[8:9], vcc
	s_cbranch_execz .LBB872_270
; %bb.267:
	v_bfe_u32 v53, v32, 16, 7
	s_movk_i32 s10, 0x7f
	v_cmp_ne_u32_e32 vcc, s10, v53
	v_mov_b32_e32 v54, 0x7f80
	s_and_saveexec_b64 s[10:11], vcc
	s_cbranch_execz .LBB872_269
; %bb.268:
	v_and_b32_e32 v56, 7, v30
	v_ffbh_u32_e32 v54, v56
	v_min_u32_e32 v58, 32, v54
	v_subrev_u32_e32 v54, 28, v58
	v_lshlrev_b64 v[54:55], v54, v[30:31]
	v_and_b32_e32 v54, 7, v54
	v_cmp_gt_u32_e32 vcc, 8, v53
	v_lshrrev_b32_e32 v57, 3, v53
	v_sub_u32_e32 v30, 29, v58
	v_cndmask_b32_e32 v53, v56, v54, vcc
	v_mov_b32_e32 v54, 24
	v_cndmask_b32_e32 v30, v57, v30, vcc
	v_lshlrev_b32_sdwa v54, v54, v32 dst_sel:DWORD dst_unused:UNUSED_PAD src0_sel:DWORD src1_sel:WORD_1
	v_bfrev_b32_e32 v55, 60
	v_lshlrev_b32_e32 v53, 20, v53
	v_and_b32_e32 v54, 0x80000000, v54
	v_lshl_add_u32 v30, v30, 23, v55
	v_or3_b32 v30, v54, v30, v53
	v_lshrrev_b32_e32 v54, 16, v30
.LBB872_269:
	s_or_b64 exec, exec, s[10:11]
.LBB872_270:
	s_or_b64 exec, exec, s[8:9]
.LBB872_271:
	s_or_b64 exec, exec, s[2:3]
	s_mov_b32 s2, 0xffffff
	v_cmp_lt_u32_e32 vcc, s2, v32
	v_mov_b32_e32 v55, 0
	v_mov_b32_e32 v56, 0
	s_and_saveexec_b64 s[2:3], vcc
	s_cbranch_execz .LBB872_277
; %bb.272:
	v_lshrrev_b32_e32 v30, 24, v32
	s_movk_i32 s8, 0x80
	v_cmp_ne_u32_e32 vcc, s8, v30
	v_mov_b32_e32 v56, 0xffff8000
	s_and_saveexec_b64 s[8:9], vcc
	s_cbranch_execz .LBB872_276
; %bb.273:
	v_bfe_u32 v32, v32, 24, 7
	s_movk_i32 s10, 0x7f
	v_cmp_ne_u32_e32 vcc, s10, v32
	v_mov_b32_e32 v56, 0x7f80
	s_and_saveexec_b64 s[10:11], vcc
	s_cbranch_execz .LBB872_275
; %bb.274:
	v_and_b32_e32 v53, 7, v30
	v_ffbh_u32_e32 v56, v53
	v_min_u32_e32 v59, 32, v56
	v_subrev_u32_e32 v56, 28, v59
	v_lshlrev_b64 v[56:57], v56, v[30:31]
	v_lshrrev_b32_e32 v58, 3, v32
	v_sub_u32_e32 v57, 29, v59
	v_and_b32_e32 v56, 7, v56
	v_cmp_gt_u32_e32 vcc, 8, v32
	v_cndmask_b32_e32 v32, v58, v57, vcc
	v_cndmask_b32_e32 v53, v53, v56, vcc
	v_lshlrev_b32_e32 v30, 24, v30
	v_bfrev_b32_e32 v56, 60
	v_lshlrev_b32_e32 v53, 20, v53
	v_and_b32_e32 v30, 0x80000000, v30
	v_lshl_add_u32 v32, v32, 23, v56
	v_or3_b32 v30, v30, v32, v53
	v_lshrrev_b32_e32 v56, 16, v30
.LBB872_275:
	s_or_b64 exec, exec, s[10:11]
.LBB872_276:
	s_or_b64 exec, exec, s[8:9]
.LBB872_277:
	s_or_b64 exec, exec, s[2:3]
	v_cmp_ne_u16_sdwa s[8:9], v33, v55 src0_sel:BYTE_0 src1_sel:DWORD
	s_and_saveexec_b64 s[2:3], s[8:9]
	s_cbranch_execz .LBB872_283
; %bb.278:
	s_movk_i32 s8, 0x80
	v_cmp_ne_u16_sdwa s[10:11], v33, s8 src0_sel:BYTE_0 src1_sel:DWORD
	v_mov_b32_e32 v55, 0xffff8000
	s_and_saveexec_b64 s[8:9], s[10:11]
	s_cbranch_execz .LBB872_282
; %bb.279:
	s_movk_i32 s10, 0x7f
	v_and_b32_e32 v30, 0x7f, v33
	v_cmp_ne_u32_e32 vcc, s10, v30
	v_mov_b32_e32 v55, 0x7f80
	s_and_saveexec_b64 s[10:11], vcc
	s_cbranch_execz .LBB872_281
; %bb.280:
	v_and_b32_e32 v53, 7, v33
	v_ffbh_u32_e32 v57, v53
	v_min_u32_e32 v57, 32, v57
	v_mov_b32_e32 v32, v33
	v_subrev_u32_e32 v58, 28, v57
	v_lshlrev_b64 v[58:59], v58, v[32:33]
	v_lshrrev_b32_e32 v55, 3, v30
	v_sub_u32_e32 v32, 29, v57
	v_and_b32_e32 v57, 7, v58
	v_cmp_gt_u32_e32 vcc, 8, v30
	v_cndmask_b32_e32 v30, v55, v32, vcc
	v_cndmask_b32_e32 v32, v53, v57, vcc
	v_lshlrev_b32_e32 v53, 24, v33
	v_bfrev_b32_e32 v55, 60
	v_lshlrev_b32_e32 v32, 20, v32
	v_and_b32_e32 v53, 0x80000000, v53
	v_lshl_add_u32 v30, v30, 23, v55
	v_or3_b32 v30, v53, v30, v32
	v_lshrrev_b32_e32 v55, 16, v30
.LBB872_281:
	s_or_b64 exec, exec, s[10:11]
.LBB872_282:
	s_or_b64 exec, exec, s[8:9]
.LBB872_283:
	s_or_b64 exec, exec, s[2:3]
	v_lshrrev_b16_e32 v30, 8, v33
	v_cmp_ne_u16_e32 vcc, 0, v30
	v_mov_b32_e32 v57, 0
	v_mov_b32_e32 v32, 0
	s_and_saveexec_b64 s[2:3], vcc
	s_cbranch_execz .LBB872_289
; %bb.284:
	s_movk_i32 s8, 0x80
	v_cmp_ne_u16_e32 vcc, s8, v30
	v_mov_b32_e32 v32, 0xffff8000
	s_and_saveexec_b64 s[8:9], vcc
	s_cbranch_execz .LBB872_288
; %bb.285:
	s_movk_i32 s10, 0x7f
	v_and_b32_e32 v53, 0x7f, v30
	v_cmp_ne_u32_e32 vcc, s10, v53
	v_mov_b32_e32 v32, 0x7f80
	s_and_saveexec_b64 s[10:11], vcc
	s_cbranch_execz .LBB872_287
; %bb.286:
	v_and_b32_e32 v32, 7, v30
	v_ffbh_u32_e32 v58, v32
	v_min_u32_e32 v61, 32, v58
	v_subrev_u32_e32 v58, 28, v61
	v_lshlrev_b64 v[58:59], v58, v[30:31]
	v_lshrrev_b32_e32 v60, 3, v53
	v_sub_u32_e32 v30, 29, v61
	v_and_b32_e32 v58, 7, v58
	v_cmp_gt_u32_e32 vcc, 8, v53
	v_cndmask_b32_e32 v30, v60, v30, vcc
	v_cndmask_b32_e32 v32, v32, v58, vcc
	v_lshlrev_b32_e32 v53, 16, v33
	v_bfrev_b32_e32 v58, 60
	v_lshlrev_b32_e32 v32, 20, v32
	v_and_b32_e32 v53, 0x80000000, v53
	v_lshl_add_u32 v30, v30, 23, v58
	v_or3_b32 v30, v53, v30, v32
	v_lshrrev_b32_e32 v32, 16, v30
.LBB872_287:
	s_or_b64 exec, exec, s[10:11]
.LBB872_288:
	s_or_b64 exec, exec, s[8:9]
.LBB872_289:
	s_or_b64 exec, exec, s[2:3]
	s_movk_i32 s2, 0xff
	v_and_b32_sdwa v53, v33, s2 dst_sel:DWORD dst_unused:UNUSED_PAD src0_sel:WORD_1 src1_sel:DWORD
	v_lshrrev_b32_e32 v30, 16, v33
	v_cmp_ne_u16_e32 vcc, 0, v53
	s_and_saveexec_b64 s[2:3], vcc
	s_cbranch_execz .LBB872_295
; %bb.290:
	s_movk_i32 s8, 0x80
	v_cmp_ne_u16_e32 vcc, s8, v53
	v_mov_b32_e32 v57, 0xffff8000
	s_and_saveexec_b64 s[8:9], vcc
	s_cbranch_execz .LBB872_294
; %bb.291:
	v_bfe_u32 v53, v33, 16, 7
	s_movk_i32 s10, 0x7f
	v_cmp_ne_u32_e32 vcc, s10, v53
	v_mov_b32_e32 v57, 0x7f80
	s_and_saveexec_b64 s[10:11], vcc
	s_cbranch_execz .LBB872_293
; %bb.292:
	v_and_b32_e32 v57, 7, v30
	v_ffbh_u32_e32 v58, v57
	v_min_u32_e32 v61, 32, v58
	v_subrev_u32_e32 v58, 28, v61
	v_lshlrev_b64 v[58:59], v58, v[30:31]
	v_and_b32_e32 v58, 7, v58
	v_cmp_gt_u32_e32 vcc, 8, v53
	v_lshrrev_b32_e32 v60, 3, v53
	v_sub_u32_e32 v30, 29, v61
	v_cndmask_b32_e32 v53, v57, v58, vcc
	v_mov_b32_e32 v57, 24
	v_cndmask_b32_e32 v30, v60, v30, vcc
	v_lshlrev_b32_sdwa v57, v57, v33 dst_sel:DWORD dst_unused:UNUSED_PAD src0_sel:DWORD src1_sel:WORD_1
	v_bfrev_b32_e32 v58, 60
	v_lshlrev_b32_e32 v53, 20, v53
	v_and_b32_e32 v57, 0x80000000, v57
	v_lshl_add_u32 v30, v30, 23, v58
	v_or3_b32 v30, v57, v30, v53
	v_lshrrev_b32_e32 v57, 16, v30
.LBB872_293:
	s_or_b64 exec, exec, s[10:11]
.LBB872_294:
	s_or_b64 exec, exec, s[8:9]
.LBB872_295:
	s_or_b64 exec, exec, s[2:3]
	s_mov_b32 s2, 0xffffff
	v_cmp_lt_u32_e32 vcc, s2, v33
	v_mov_b32_e32 v53, 0
	v_mov_b32_e32 v58, 0
	s_and_saveexec_b64 s[2:3], vcc
	s_cbranch_execz .LBB872_301
; %bb.296:
	v_lshrrev_b32_e32 v30, 24, v33
	s_movk_i32 s8, 0x80
	v_cmp_ne_u32_e32 vcc, s8, v30
	v_mov_b32_e32 v58, 0xffff8000
	s_and_saveexec_b64 s[8:9], vcc
	s_cbranch_execz .LBB872_300
; %bb.297:
	v_bfe_u32 v33, v33, 24, 7
	s_movk_i32 s10, 0x7f
	v_cmp_ne_u32_e32 vcc, s10, v33
	v_mov_b32_e32 v58, 0x7f80
	s_and_saveexec_b64 s[10:11], vcc
	s_cbranch_execz .LBB872_299
; %bb.298:
	v_and_b32_e32 v60, 7, v30
	v_ffbh_u32_e32 v58, v60
	v_min_u32_e32 v62, 32, v58
	v_subrev_u32_e32 v58, 28, v62
	v_lshlrev_b64 v[58:59], v58, v[30:31]
	v_lshrrev_b32_e32 v61, 3, v33
	v_sub_u32_e32 v59, 29, v62
	v_and_b32_e32 v58, 7, v58
	v_cmp_gt_u32_e32 vcc, 8, v33
	v_cndmask_b32_e32 v33, v61, v59, vcc
	v_cndmask_b32_e32 v58, v60, v58, vcc
	v_lshlrev_b32_e32 v30, 24, v30
	v_bfrev_b32_e32 v59, 60
	v_lshlrev_b32_e32 v58, 20, v58
	v_and_b32_e32 v30, 0x80000000, v30
	v_lshl_add_u32 v33, v33, 23, v59
	v_or3_b32 v30, v30, v33, v58
	v_lshrrev_b32_e32 v58, 16, v30
.LBB872_299:
	s_or_b64 exec, exec, s[10:11]
.LBB872_300:
	s_or_b64 exec, exec, s[8:9]
.LBB872_301:
	s_or_b64 exec, exec, s[2:3]
	s_mov_b32 s2, 0x5040100
	v_perm_b32 v61, v56, v54, s2
	v_perm_b32 v60, v31, v52, s2
	;; [unrolled: 1-line block ×4, first 2 shown]
	v_cmp_ne_u16_sdwa s[8:9], v22, v53 src0_sel:BYTE_0 src1_sel:DWORD
	v_mfma_f32_16x16x16bf16_1k v[42:45], v[60:61], v[18:19], v[42:45]
	v_mfma_f32_16x16x16bf16_1k v[30:33], v[30:31], v[20:21], v[42:45]
	s_and_saveexec_b64 s[2:3], s[8:9]
	s_cbranch_execz .LBB872_307
; %bb.302:
	s_movk_i32 s8, 0x80
	v_cmp_ne_u16_sdwa s[10:11], v22, s8 src0_sel:BYTE_0 src1_sel:DWORD
	v_mov_b32_e32 v53, 0xffff8000
	s_and_saveexec_b64 s[8:9], s[10:11]
	s_cbranch_execz .LBB872_306
; %bb.303:
	s_movk_i32 s10, 0x7f
	s_nop 1
	v_and_b32_e32 v42, 0x7f, v22
	v_cmp_ne_u32_e32 vcc, s10, v42
	v_mov_b32_e32 v53, 0x7f80
	s_and_saveexec_b64 s[10:11], vcc
	s_cbranch_execz .LBB872_305
; %bb.304:
	v_and_b32_e32 v43, 7, v22
	v_ffbh_u32_e32 v44, v43
	v_min_u32_e32 v53, 32, v44
	v_subrev_u32_e32 v44, 28, v53
	v_lshlrev_b64 v[44:45], v44, v[22:23]
	v_lshrrev_b32_e32 v52, 3, v42
	v_sub_u32_e32 v45, 29, v53
	v_and_b32_e32 v44, 7, v44
	v_cmp_gt_u32_e32 vcc, 8, v42
	v_cndmask_b32_e32 v42, v52, v45, vcc
	v_cndmask_b32_e32 v43, v43, v44, vcc
	v_lshlrev_b32_e32 v44, 24, v22
	v_bfrev_b32_e32 v45, 60
	v_lshlrev_b32_e32 v43, 20, v43
	v_and_b32_e32 v44, 0x80000000, v44
	v_lshl_add_u32 v42, v42, 23, v45
	v_or3_b32 v42, v44, v42, v43
	v_lshrrev_b32_e32 v53, 16, v42
.LBB872_305:
	s_or_b64 exec, exec, s[10:11]
.LBB872_306:
	s_or_b64 exec, exec, s[8:9]
.LBB872_307:
	s_or_b64 exec, exec, s[2:3]
	s_nop 6
	v_lshrrev_b16_e32 v42, 8, v22
	v_cmp_ne_u16_e32 vcc, 0, v42
	v_mov_b32_e32 v44, 0
	v_mov_b32_e32 v43, 0
	s_and_saveexec_b64 s[2:3], vcc
	s_cbranch_execz .LBB872_313
; %bb.308:
	s_movk_i32 s8, 0x80
	v_cmp_ne_u16_e32 vcc, s8, v42
	v_mov_b32_e32 v43, 0xffff8000
	s_and_saveexec_b64 s[8:9], vcc
	s_cbranch_execz .LBB872_312
; %bb.309:
	s_movk_i32 s10, 0x7f
	v_and_b32_e32 v45, 0x7f, v42
	v_cmp_ne_u32_e32 vcc, s10, v45
	v_mov_b32_e32 v43, 0x7f80
	s_and_saveexec_b64 s[10:11], vcc
	s_cbranch_execz .LBB872_311
; %bb.310:
	v_and_b32_e32 v52, 7, v42
	v_ffbh_u32_e32 v43, v52
	v_min_u32_e32 v55, 32, v43
	v_subrev_u32_e32 v43, 28, v55
	v_lshlrev_b64 v[42:43], v43, v[42:43]
	v_lshrrev_b32_e32 v54, 3, v45
	v_sub_u32_e32 v43, 29, v55
	v_and_b32_e32 v42, 7, v42
	v_cmp_gt_u32_e32 vcc, 8, v45
	v_cndmask_b32_e32 v43, v54, v43, vcc
	v_cndmask_b32_e32 v42, v52, v42, vcc
	v_lshlrev_b32_e32 v45, 16, v22
	v_bfrev_b32_e32 v52, 60
	v_lshlrev_b32_e32 v42, 20, v42
	v_and_b32_e32 v45, 0x80000000, v45
	v_lshl_add_u32 v43, v43, 23, v52
	v_or3_b32 v42, v45, v43, v42
	v_lshrrev_b32_e32 v43, 16, v42
.LBB872_311:
	s_or_b64 exec, exec, s[10:11]
.LBB872_312:
	s_or_b64 exec, exec, s[8:9]
.LBB872_313:
	s_or_b64 exec, exec, s[2:3]
	s_movk_i32 s2, 0xff
	v_and_b32_sdwa v45, v22, s2 dst_sel:DWORD dst_unused:UNUSED_PAD src0_sel:WORD_1 src1_sel:DWORD
	v_lshrrev_b32_e32 v42, 16, v22
	v_cmp_ne_u16_e32 vcc, 0, v45
	s_and_saveexec_b64 s[2:3], vcc
	s_cbranch_execz .LBB872_319
; %bb.314:
	s_movk_i32 s8, 0x80
	v_cmp_ne_u16_e32 vcc, s8, v45
	v_mov_b32_e32 v44, 0xffff8000
	s_and_saveexec_b64 s[8:9], vcc
	s_cbranch_execz .LBB872_318
; %bb.315:
	v_bfe_u32 v45, v22, 16, 7
	s_movk_i32 s10, 0x7f
	v_cmp_ne_u32_e32 vcc, s10, v45
	v_mov_b32_e32 v44, 0x7f80
	s_and_saveexec_b64 s[10:11], vcc
	s_cbranch_execz .LBB872_317
; %bb.316:
	v_and_b32_e32 v44, 7, v42
	v_ffbh_u32_e32 v54, v44
	v_min_u32_e32 v56, 32, v54
	v_subrev_u32_e32 v54, 28, v56
	v_lshlrev_b64 v[54:55], v54, v[42:43]
	v_lshrrev_b32_e32 v52, 3, v45
	v_sub_u32_e32 v42, 29, v56
	v_and_b32_e32 v54, 7, v54
	v_cmp_gt_u32_e32 vcc, 8, v45
	v_mov_b32_e32 v45, 24
	v_cndmask_b32_e32 v42, v52, v42, vcc
	v_cndmask_b32_e32 v44, v44, v54, vcc
	v_lshlrev_b32_sdwa v45, v45, v22 dst_sel:DWORD dst_unused:UNUSED_PAD src0_sel:DWORD src1_sel:WORD_1
	v_bfrev_b32_e32 v52, 60
	v_lshlrev_b32_e32 v44, 20, v44
	v_and_b32_e32 v45, 0x80000000, v45
	v_lshl_add_u32 v42, v42, 23, v52
	v_or3_b32 v42, v45, v42, v44
	v_lshrrev_b32_e32 v44, 16, v42
.LBB872_317:
	s_or_b64 exec, exec, s[10:11]
.LBB872_318:
	s_or_b64 exec, exec, s[8:9]
.LBB872_319:
	s_or_b64 exec, exec, s[2:3]
	s_mov_b32 s2, 0xffffff
	v_cmp_lt_u32_e32 vcc, s2, v22
	v_mov_b32_e32 v45, 0
	v_mov_b32_e32 v52, 0
	s_and_saveexec_b64 s[2:3], vcc
	s_cbranch_execz .LBB872_325
; %bb.320:
	v_lshrrev_b32_e32 v42, 24, v22
	s_movk_i32 s8, 0x80
	v_cmp_ne_u32_e32 vcc, s8, v42
	v_mov_b32_e32 v52, 0xffff8000
	s_and_saveexec_b64 s[8:9], vcc
	s_cbranch_execz .LBB872_324
; %bb.321:
	v_bfe_u32 v22, v22, 24, 7
	s_movk_i32 s10, 0x7f
	v_cmp_ne_u32_e32 vcc, s10, v22
	v_mov_b32_e32 v52, 0x7f80
	s_and_saveexec_b64 s[10:11], vcc
	s_cbranch_execz .LBB872_323
; %bb.322:
	v_and_b32_e32 v52, 7, v42
	v_ffbh_u32_e32 v54, v52
	v_min_u32_e32 v57, 32, v54
	v_subrev_u32_e32 v54, 28, v57
	v_lshlrev_b64 v[54:55], v54, v[42:43]
	v_lshrrev_b32_e32 v56, 3, v22
	v_sub_u32_e32 v55, 29, v57
	v_and_b32_e32 v54, 7, v54
	v_cmp_gt_u32_e32 vcc, 8, v22
	v_cndmask_b32_e32 v22, v56, v55, vcc
	v_cndmask_b32_e32 v52, v52, v54, vcc
	v_lshlrev_b32_e32 v42, 24, v42
	v_bfrev_b32_e32 v54, 60
	v_lshlrev_b32_e32 v52, 20, v52
	v_and_b32_e32 v42, 0x80000000, v42
	v_lshl_add_u32 v22, v22, 23, v54
	v_or3_b32 v22, v42, v22, v52
	v_lshrrev_b32_e32 v52, 16, v22
.LBB872_323:
	s_or_b64 exec, exec, s[10:11]
.LBB872_324:
	s_or_b64 exec, exec, s[8:9]
.LBB872_325:
	s_or_b64 exec, exec, s[2:3]
	v_cmp_ne_u16_sdwa s[8:9], v23, v45 src0_sel:BYTE_0 src1_sel:DWORD
	s_and_saveexec_b64 s[2:3], s[8:9]
	s_cbranch_execz .LBB872_331
; %bb.326:
	s_movk_i32 s8, 0x80
	v_cmp_ne_u16_sdwa s[10:11], v23, s8 src0_sel:BYTE_0 src1_sel:DWORD
	v_mov_b32_e32 v45, 0xffff8000
	s_and_saveexec_b64 s[8:9], s[10:11]
	s_cbranch_execz .LBB872_330
; %bb.327:
	s_movk_i32 s10, 0x7f
	v_and_b32_e32 v22, 0x7f, v23
	v_cmp_ne_u32_e32 vcc, s10, v22
	v_mov_b32_e32 v45, 0x7f80
	s_and_saveexec_b64 s[10:11], vcc
	s_cbranch_execz .LBB872_329
; %bb.328:
	v_and_b32_e32 v45, 7, v23
	v_ffbh_u32_e32 v54, v45
	v_min_u32_e32 v57, 32, v54
	v_mov_b32_e32 v42, v23
	v_subrev_u32_e32 v54, 28, v57
	v_lshlrev_b64 v[54:55], v54, v[42:43]
	v_lshrrev_b32_e32 v56, 3, v22
	v_sub_u32_e32 v42, 29, v57
	v_and_b32_e32 v54, 7, v54
	v_cmp_gt_u32_e32 vcc, 8, v22
	v_cndmask_b32_e32 v22, v56, v42, vcc
	v_cndmask_b32_e32 v42, v45, v54, vcc
	v_lshlrev_b32_e32 v45, 24, v23
	v_bfrev_b32_e32 v54, 60
	v_lshlrev_b32_e32 v42, 20, v42
	v_and_b32_e32 v45, 0x80000000, v45
	v_lshl_add_u32 v22, v22, 23, v54
	v_or3_b32 v22, v45, v22, v42
	v_lshrrev_b32_e32 v45, 16, v22
.LBB872_329:
	s_or_b64 exec, exec, s[10:11]
.LBB872_330:
	s_or_b64 exec, exec, s[8:9]
.LBB872_331:
	s_or_b64 exec, exec, s[2:3]
	v_lshrrev_b16_e32 v22, 8, v23
	v_cmp_ne_u16_e32 vcc, 0, v22
	v_mov_b32_e32 v55, 0
	v_mov_b32_e32 v54, 0
	s_and_saveexec_b64 s[2:3], vcc
	s_cbranch_execz .LBB872_337
; %bb.332:
	s_movk_i32 s8, 0x80
	v_cmp_ne_u16_e32 vcc, s8, v22
	v_mov_b32_e32 v54, 0xffff8000
	s_and_saveexec_b64 s[8:9], vcc
	s_cbranch_execz .LBB872_336
; %bb.333:
	s_movk_i32 s10, 0x7f
	v_and_b32_e32 v42, 0x7f, v22
	v_cmp_ne_u32_e32 vcc, s10, v42
	v_mov_b32_e32 v54, 0x7f80
	s_and_saveexec_b64 s[10:11], vcc
	s_cbranch_execz .LBB872_335
; %bb.334:
	v_and_b32_e32 v54, 7, v22
	v_ffbh_u32_e32 v56, v54
	v_min_u32_e32 v59, 32, v56
	v_subrev_u32_e32 v56, 28, v59
	v_lshlrev_b64 v[56:57], v56, v[22:23]
	v_lshrrev_b32_e32 v58, 3, v42
	v_sub_u32_e32 v22, 29, v59
	v_and_b32_e32 v56, 7, v56
	v_cmp_gt_u32_e32 vcc, 8, v42
	v_cndmask_b32_e32 v22, v58, v22, vcc
	v_cndmask_b32_e32 v42, v54, v56, vcc
	v_lshlrev_b32_e32 v54, 16, v23
	v_bfrev_b32_e32 v56, 60
	v_lshlrev_b32_e32 v42, 20, v42
	v_and_b32_e32 v54, 0x80000000, v54
	v_lshl_add_u32 v22, v22, 23, v56
	v_or3_b32 v22, v54, v22, v42
	v_lshrrev_b32_e32 v54, 16, v22
.LBB872_335:
	s_or_b64 exec, exec, s[10:11]
.LBB872_336:
	s_or_b64 exec, exec, s[8:9]
.LBB872_337:
	s_or_b64 exec, exec, s[2:3]
	s_movk_i32 s2, 0xff
	v_and_b32_sdwa v42, v23, s2 dst_sel:DWORD dst_unused:UNUSED_PAD src0_sel:WORD_1 src1_sel:DWORD
	v_lshrrev_b32_e32 v22, 16, v23
	v_cmp_ne_u16_e32 vcc, 0, v42
	s_and_saveexec_b64 s[2:3], vcc
	s_cbranch_execz .LBB872_343
; %bb.338:
	s_movk_i32 s8, 0x80
	v_cmp_ne_u16_e32 vcc, s8, v42
	v_mov_b32_e32 v55, 0xffff8000
	s_and_saveexec_b64 s[8:9], vcc
	s_cbranch_execz .LBB872_342
; %bb.339:
	v_bfe_u32 v42, v23, 16, 7
	s_movk_i32 s10, 0x7f
	v_cmp_ne_u32_e32 vcc, s10, v42
	v_mov_b32_e32 v55, 0x7f80
	s_and_saveexec_b64 s[10:11], vcc
	s_cbranch_execz .LBB872_341
; %bb.340:
	v_and_b32_e32 v55, 7, v22
	v_ffbh_u32_e32 v56, v55
	v_min_u32_e32 v59, 32, v56
	v_subrev_u32_e32 v56, 28, v59
	v_lshlrev_b64 v[56:57], v56, v[22:23]
	v_and_b32_e32 v56, 7, v56
	v_cmp_gt_u32_e32 vcc, 8, v42
	v_lshrrev_b32_e32 v58, 3, v42
	v_sub_u32_e32 v22, 29, v59
	v_cndmask_b32_e32 v42, v55, v56, vcc
	v_mov_b32_e32 v55, 24
	v_cndmask_b32_e32 v22, v58, v22, vcc
	v_lshlrev_b32_sdwa v55, v55, v23 dst_sel:DWORD dst_unused:UNUSED_PAD src0_sel:DWORD src1_sel:WORD_1
	v_bfrev_b32_e32 v56, 60
	v_lshlrev_b32_e32 v42, 20, v42
	v_and_b32_e32 v55, 0x80000000, v55
	v_lshl_add_u32 v22, v22, 23, v56
	v_or3_b32 v22, v55, v22, v42
	v_lshrrev_b32_e32 v55, 16, v22
.LBB872_341:
	s_or_b64 exec, exec, s[10:11]
.LBB872_342:
	s_or_b64 exec, exec, s[8:9]
.LBB872_343:
	s_or_b64 exec, exec, s[2:3]
	s_mov_b32 s2, 0xffffff
	v_cmp_lt_u32_e32 vcc, s2, v23
	v_mov_b32_e32 v42, 0
	v_mov_b32_e32 v56, 0
	s_and_saveexec_b64 s[2:3], vcc
	s_cbranch_execz .LBB872_349
; %bb.344:
	v_lshrrev_b32_e32 v22, 24, v23
	s_movk_i32 s8, 0x80
	v_cmp_ne_u32_e32 vcc, s8, v22
	v_mov_b32_e32 v56, 0xffff8000
	s_and_saveexec_b64 s[8:9], vcc
	s_cbranch_execz .LBB872_348
; %bb.345:
	v_bfe_u32 v23, v23, 24, 7
	s_movk_i32 s10, 0x7f
	v_cmp_ne_u32_e32 vcc, s10, v23
	v_mov_b32_e32 v56, 0x7f80
	s_and_saveexec_b64 s[10:11], vcc
	s_cbranch_execz .LBB872_347
; %bb.346:
	v_and_b32_e32 v58, 7, v22
	v_ffbh_u32_e32 v56, v58
	v_min_u32_e32 v60, 32, v56
	v_subrev_u32_e32 v56, 28, v60
	v_lshlrev_b64 v[56:57], v56, v[22:23]
	v_lshrrev_b32_e32 v59, 3, v23
	v_sub_u32_e32 v57, 29, v60
	v_and_b32_e32 v56, 7, v56
	v_cmp_gt_u32_e32 vcc, 8, v23
	v_cndmask_b32_e32 v23, v59, v57, vcc
	v_cndmask_b32_e32 v56, v58, v56, vcc
	v_lshlrev_b32_e32 v22, 24, v22
	v_bfrev_b32_e32 v57, 60
	v_lshlrev_b32_e32 v56, 20, v56
	v_and_b32_e32 v22, 0x80000000, v22
	v_lshl_add_u32 v23, v23, 23, v57
	v_or3_b32 v22, v22, v23, v56
	v_lshrrev_b32_e32 v56, 16, v22
.LBB872_347:
	s_or_b64 exec, exec, s[10:11]
.LBB872_348:
	s_or_b64 exec, exec, s[8:9]
.LBB872_349:
	s_or_b64 exec, exec, s[2:3]
	s_mov_b32 s2, 0x5040100
	v_perm_b32 v23, v52, v44, s2
	v_perm_b32 v22, v43, v53, s2
	v_cmp_ne_u16_sdwa s[8:9], v24, v42 src0_sel:BYTE_0 src1_sel:DWORD
	s_nop 0
	v_mfma_f32_16x16x16bf16_1k v[58:61], v[22:23], v[26:27], 0
	v_perm_b32 v23, v56, v55, s2
	v_perm_b32 v22, v54, v45, s2
	s_nop 1
	v_mfma_f32_16x16x16bf16_1k v[26:29], v[22:23], v[28:29], v[58:61]
	s_and_saveexec_b64 s[2:3], s[8:9]
	s_cbranch_execz .LBB872_355
; %bb.350:
	s_movk_i32 s8, 0x80
	v_cmp_ne_u16_sdwa s[10:11], v24, s8 src0_sel:BYTE_0 src1_sel:DWORD
	v_mov_b32_e32 v42, 0xffff8000
	s_and_saveexec_b64 s[8:9], s[10:11]
	s_cbranch_execz .LBB872_354
; %bb.351:
	s_movk_i32 s10, 0x7f
	v_and_b32_e32 v22, 0x7f, v24
	v_cmp_ne_u32_e32 vcc, s10, v22
	v_mov_b32_e32 v42, 0x7f80
	s_and_saveexec_b64 s[10:11], vcc
	s_cbranch_execz .LBB872_353
; %bb.352:
	v_and_b32_e32 v23, 7, v24
	v_ffbh_u32_e32 v42, v23
	v_min_u32_e32 v45, 32, v42
	v_subrev_u32_e32 v42, 28, v45
	v_lshlrev_b64 v[42:43], v42, v[24:25]
	v_lshrrev_b32_e32 v44, 3, v22
	v_sub_u32_e32 v43, 29, v45
	v_and_b32_e32 v42, 7, v42
	v_cmp_gt_u32_e32 vcc, 8, v22
	v_cndmask_b32_e32 v22, v44, v43, vcc
	v_cndmask_b32_e32 v23, v23, v42, vcc
	v_lshlrev_b32_e32 v42, 24, v24
	v_bfrev_b32_e32 v43, 60
	v_lshlrev_b32_e32 v23, 20, v23
	v_and_b32_e32 v42, 0x80000000, v42
	v_lshl_add_u32 v22, v22, 23, v43
	v_or3_b32 v22, v42, v22, v23
	v_lshrrev_b32_e32 v42, 16, v22
.LBB872_353:
	s_or_b64 exec, exec, s[10:11]
.LBB872_354:
	s_or_b64 exec, exec, s[8:9]
.LBB872_355:
	s_or_b64 exec, exec, s[2:3]
	v_lshrrev_b16_e32 v22, 8, v24
	v_cmp_ne_u16_e32 vcc, 0, v22
	v_mov_b32_e32 v43, 0
	v_mov_b32_e32 v23, 0
	s_and_saveexec_b64 s[2:3], vcc
	s_cbranch_execz .LBB872_361
; %bb.356:
	s_movk_i32 s8, 0x80
	v_cmp_ne_u16_e32 vcc, s8, v22
	v_mov_b32_e32 v23, 0xffff8000
	s_and_saveexec_b64 s[8:9], vcc
	s_cbranch_execz .LBB872_360
; %bb.357:
	s_movk_i32 s10, 0x7f
	v_and_b32_e32 v44, 0x7f, v22
	v_cmp_ne_u32_e32 vcc, s10, v44
	v_mov_b32_e32 v23, 0x7f80
	s_and_saveexec_b64 s[10:11], vcc
	s_cbranch_execz .LBB872_359
; %bb.358:
	v_and_b32_e32 v45, 7, v22
	v_ffbh_u32_e32 v23, v45
	v_min_u32_e32 v53, 32, v23
	v_subrev_u32_e32 v23, 28, v53
	v_lshlrev_b64 v[22:23], v23, v[22:23]
	v_lshrrev_b32_e32 v52, 3, v44
	v_sub_u32_e32 v23, 29, v53
	v_and_b32_e32 v22, 7, v22
	v_cmp_gt_u32_e32 vcc, 8, v44
	v_cndmask_b32_e32 v23, v52, v23, vcc
	v_cndmask_b32_e32 v22, v45, v22, vcc
	v_lshlrev_b32_e32 v44, 16, v24
	v_bfrev_b32_e32 v45, 60
	v_lshlrev_b32_e32 v22, 20, v22
	v_and_b32_e32 v44, 0x80000000, v44
	v_lshl_add_u32 v23, v23, 23, v45
	v_or3_b32 v22, v44, v23, v22
	v_lshrrev_b32_e32 v23, 16, v22
.LBB872_359:
	s_or_b64 exec, exec, s[10:11]
.LBB872_360:
	s_or_b64 exec, exec, s[8:9]
.LBB872_361:
	s_or_b64 exec, exec, s[2:3]
	s_movk_i32 s2, 0xff
	v_and_b32_sdwa v44, v24, s2 dst_sel:DWORD dst_unused:UNUSED_PAD src0_sel:WORD_1 src1_sel:DWORD
	v_lshrrev_b32_e32 v22, 16, v24
	v_cmp_ne_u16_e32 vcc, 0, v44
	s_and_saveexec_b64 s[2:3], vcc
	s_cbranch_execz .LBB872_367
; %bb.362:
	s_movk_i32 s8, 0x80
	v_cmp_ne_u16_e32 vcc, s8, v44
	v_mov_b32_e32 v43, 0xffff8000
	s_and_saveexec_b64 s[8:9], vcc
	s_cbranch_execz .LBB872_366
; %bb.363:
	v_bfe_u32 v44, v24, 16, 7
	s_movk_i32 s10, 0x7f
	v_cmp_ne_u32_e32 vcc, s10, v44
	v_mov_b32_e32 v43, 0x7f80
	s_and_saveexec_b64 s[10:11], vcc
	s_cbranch_execz .LBB872_365
; %bb.364:
	v_and_b32_e32 v43, 7, v22
	v_ffbh_u32_e32 v52, v43
	v_min_u32_e32 v54, 32, v52
	v_subrev_u32_e32 v52, 28, v54
	v_lshlrev_b64 v[52:53], v52, v[22:23]
	v_lshrrev_b32_e32 v45, 3, v44
	v_sub_u32_e32 v22, 29, v54
	v_and_b32_e32 v52, 7, v52
	v_cmp_gt_u32_e32 vcc, 8, v44
	v_mov_b32_e32 v44, 24
	v_cndmask_b32_e32 v22, v45, v22, vcc
	v_cndmask_b32_e32 v43, v43, v52, vcc
	v_lshlrev_b32_sdwa v44, v44, v24 dst_sel:DWORD dst_unused:UNUSED_PAD src0_sel:DWORD src1_sel:WORD_1
	v_bfrev_b32_e32 v45, 60
	v_lshlrev_b32_e32 v43, 20, v43
	v_and_b32_e32 v44, 0x80000000, v44
	v_lshl_add_u32 v22, v22, 23, v45
	v_or3_b32 v22, v44, v22, v43
	v_lshrrev_b32_e32 v43, 16, v22
.LBB872_365:
	s_or_b64 exec, exec, s[10:11]
.LBB872_366:
	s_or_b64 exec, exec, s[8:9]
.LBB872_367:
	s_or_b64 exec, exec, s[2:3]
	s_mov_b32 s2, 0xffffff
	v_cmp_lt_u32_e32 vcc, s2, v24
	v_mov_b32_e32 v45, 0
	v_mov_b32_e32 v52, 0
	s_and_saveexec_b64 s[2:3], vcc
	s_cbranch_execz .LBB872_373
; %bb.368:
	v_lshrrev_b32_e32 v22, 24, v24
	s_movk_i32 s8, 0x80
	v_cmp_ne_u32_e32 vcc, s8, v22
	v_mov_b32_e32 v52, 0xffff8000
	s_and_saveexec_b64 s[8:9], vcc
	s_cbranch_execz .LBB872_372
; %bb.369:
	v_bfe_u32 v24, v24, 24, 7
	s_movk_i32 s10, 0x7f
	v_cmp_ne_u32_e32 vcc, s10, v24
	v_mov_b32_e32 v52, 0x7f80
	s_and_saveexec_b64 s[10:11], vcc
	s_cbranch_execz .LBB872_371
; %bb.370:
	v_and_b32_e32 v44, 7, v22
	v_ffbh_u32_e32 v52, v44
	v_min_u32_e32 v55, 32, v52
	v_subrev_u32_e32 v52, 28, v55
	v_lshlrev_b64 v[52:53], v52, v[22:23]
	v_lshrrev_b32_e32 v54, 3, v24
	v_sub_u32_e32 v53, 29, v55
	v_and_b32_e32 v52, 7, v52
	v_cmp_gt_u32_e32 vcc, 8, v24
	v_cndmask_b32_e32 v24, v54, v53, vcc
	v_cndmask_b32_e32 v44, v44, v52, vcc
	v_lshlrev_b32_e32 v22, 24, v22
	v_bfrev_b32_e32 v52, 60
	v_lshlrev_b32_e32 v44, 20, v44
	v_and_b32_e32 v22, 0x80000000, v22
	v_lshl_add_u32 v24, v24, 23, v52
	v_or3_b32 v22, v22, v24, v44
	v_lshrrev_b32_e32 v52, 16, v22
.LBB872_371:
	s_or_b64 exec, exec, s[10:11]
.LBB872_372:
	s_or_b64 exec, exec, s[8:9]
.LBB872_373:
	s_or_b64 exec, exec, s[2:3]
	v_cmp_ne_u16_sdwa s[8:9], v25, v45 src0_sel:BYTE_0 src1_sel:DWORD
	s_and_saveexec_b64 s[2:3], s[8:9]
	s_cbranch_execz .LBB872_379
; %bb.374:
	s_movk_i32 s8, 0x80
	v_cmp_ne_u16_sdwa s[10:11], v25, s8 src0_sel:BYTE_0 src1_sel:DWORD
	v_mov_b32_e32 v45, 0xffff8000
	s_and_saveexec_b64 s[8:9], s[10:11]
	s_cbranch_execz .LBB872_378
; %bb.375:
	s_movk_i32 s10, 0x7f
	v_and_b32_e32 v22, 0x7f, v25
	v_cmp_ne_u32_e32 vcc, s10, v22
	v_mov_b32_e32 v45, 0x7f80
	s_and_saveexec_b64 s[10:11], vcc
	s_cbranch_execz .LBB872_377
; %bb.376:
	v_and_b32_e32 v53, 7, v25
	v_ffbh_u32_e32 v44, v53
	v_min_u32_e32 v55, 32, v44
	v_mov_b32_e32 v24, v25
	v_subrev_u32_e32 v44, 28, v55
	v_lshlrev_b64 v[44:45], v44, v[24:25]
	v_lshrrev_b32_e32 v54, 3, v22
	v_sub_u32_e32 v24, 29, v55
	v_and_b32_e32 v44, 7, v44
	v_cmp_gt_u32_e32 vcc, 8, v22
	v_cndmask_b32_e32 v22, v54, v24, vcc
	v_cndmask_b32_e32 v24, v53, v44, vcc
	v_lshlrev_b32_e32 v44, 24, v25
	v_bfrev_b32_e32 v45, 60
	v_lshlrev_b32_e32 v24, 20, v24
	v_and_b32_e32 v44, 0x80000000, v44
	v_lshl_add_u32 v22, v22, 23, v45
	v_or3_b32 v22, v44, v22, v24
	v_lshrrev_b32_e32 v45, 16, v22
.LBB872_377:
	s_or_b64 exec, exec, s[10:11]
.LBB872_378:
	s_or_b64 exec, exec, s[8:9]
.LBB872_379:
	s_or_b64 exec, exec, s[2:3]
	v_lshrrev_b16_e32 v22, 8, v25
	v_cmp_ne_u16_e32 vcc, 0, v22
	v_mov_b32_e32 v54, 0
	v_mov_b32_e32 v53, 0
	s_and_saveexec_b64 s[2:3], vcc
	s_cbranch_execz .LBB872_385
; %bb.380:
	s_movk_i32 s8, 0x80
	v_cmp_ne_u16_e32 vcc, s8, v22
	v_mov_b32_e32 v53, 0xffff8000
	s_and_saveexec_b64 s[8:9], vcc
	s_cbranch_execz .LBB872_384
; %bb.381:
	s_movk_i32 s10, 0x7f
	v_and_b32_e32 v24, 0x7f, v22
	v_cmp_ne_u32_e32 vcc, s10, v24
	v_mov_b32_e32 v53, 0x7f80
	s_and_saveexec_b64 s[10:11], vcc
	s_cbranch_execz .LBB872_383
; %bb.382:
	v_and_b32_e32 v44, 7, v22
	v_ffbh_u32_e32 v55, v44
	v_min_u32_e32 v55, 32, v55
	v_subrev_u32_e32 v56, 28, v55
	v_lshlrev_b64 v[56:57], v56, v[22:23]
	v_lshrrev_b32_e32 v53, 3, v24
	v_sub_u32_e32 v22, 29, v55
	v_and_b32_e32 v55, 7, v56
	v_cmp_gt_u32_e32 vcc, 8, v24
	v_cndmask_b32_e32 v22, v53, v22, vcc
	v_cndmask_b32_e32 v24, v44, v55, vcc
	v_lshlrev_b32_e32 v44, 16, v25
	v_bfrev_b32_e32 v53, 60
	v_lshlrev_b32_e32 v24, 20, v24
	v_and_b32_e32 v44, 0x80000000, v44
	v_lshl_add_u32 v22, v22, 23, v53
	v_or3_b32 v22, v44, v22, v24
	v_lshrrev_b32_e32 v53, 16, v22
.LBB872_383:
	s_or_b64 exec, exec, s[10:11]
.LBB872_384:
	s_or_b64 exec, exec, s[8:9]
.LBB872_385:
	s_or_b64 exec, exec, s[2:3]
	s_movk_i32 s2, 0xff
	v_and_b32_sdwa v24, v25, s2 dst_sel:DWORD dst_unused:UNUSED_PAD src0_sel:WORD_1 src1_sel:DWORD
	v_lshrrev_b32_e32 v22, 16, v25
	v_cmp_ne_u16_e32 vcc, 0, v24
	s_and_saveexec_b64 s[2:3], vcc
	s_cbranch_execz .LBB872_391
; %bb.386:
	s_movk_i32 s8, 0x80
	v_cmp_ne_u16_e32 vcc, s8, v24
	v_mov_b32_e32 v54, 0xffff8000
	s_and_saveexec_b64 s[8:9], vcc
	s_cbranch_execz .LBB872_390
; %bb.387:
	v_bfe_u32 v24, v25, 16, 7
	s_movk_i32 s10, 0x7f
	v_cmp_ne_u32_e32 vcc, s10, v24
	v_mov_b32_e32 v54, 0x7f80
	s_and_saveexec_b64 s[10:11], vcc
	s_cbranch_execz .LBB872_389
; %bb.388:
	v_and_b32_e32 v44, 7, v22
	v_ffbh_u32_e32 v54, v44
	v_min_u32_e32 v57, 32, v54
	v_subrev_u32_e32 v54, 28, v57
	v_lshlrev_b64 v[54:55], v54, v[22:23]
	v_and_b32_e32 v54, 7, v54
	v_cmp_gt_u32_e32 vcc, 8, v24
	v_lshrrev_b32_e32 v56, 3, v24
	v_sub_u32_e32 v22, 29, v57
	v_cndmask_b32_e32 v24, v44, v54, vcc
	v_mov_b32_e32 v44, 24
	v_cndmask_b32_e32 v22, v56, v22, vcc
	v_lshlrev_b32_sdwa v44, v44, v25 dst_sel:DWORD dst_unused:UNUSED_PAD src0_sel:DWORD src1_sel:WORD_1
	v_bfrev_b32_e32 v54, 60
	v_lshlrev_b32_e32 v24, 20, v24
	v_and_b32_e32 v44, 0x80000000, v44
	v_lshl_add_u32 v22, v22, 23, v54
	v_or3_b32 v22, v44, v22, v24
	v_lshrrev_b32_e32 v54, 16, v22
.LBB872_389:
	s_or_b64 exec, exec, s[10:11]
.LBB872_390:
	s_or_b64 exec, exec, s[8:9]
.LBB872_391:
	s_or_b64 exec, exec, s[2:3]
	s_mov_b32 s2, 0xffffff
	v_and_b32_e32 v44, 63, v0
	v_cmp_lt_u32_e32 vcc, s2, v25
	v_mov_b32_e32 v55, 0
	s_and_saveexec_b64 s[2:3], vcc
	s_cbranch_execz .LBB872_397
; %bb.392:
	v_lshrrev_b32_e32 v22, 24, v25
	s_movk_i32 s8, 0x80
	v_cmp_ne_u32_e32 vcc, s8, v22
	v_mov_b32_e32 v55, 0xffff8000
	s_and_saveexec_b64 s[8:9], vcc
	s_cbranch_execz .LBB872_396
; %bb.393:
	v_bfe_u32 v24, v25, 24, 7
	s_movk_i32 s10, 0x7f
	v_cmp_ne_u32_e32 vcc, s10, v24
	v_mov_b32_e32 v55, 0x7f80
	s_and_saveexec_b64 s[10:11], vcc
	s_cbranch_execz .LBB872_395
; %bb.394:
	v_and_b32_e32 v25, 7, v22
	v_ffbh_u32_e32 v56, v25
	v_min_u32_e32 v58, 32, v56
	v_subrev_u32_e32 v56, 28, v58
	v_lshlrev_b64 v[56:57], v56, v[22:23]
	v_lshrrev_b32_e32 v55, 3, v24
	v_sub_u32_e32 v57, 29, v58
	v_and_b32_e32 v56, 7, v56
	v_cmp_gt_u32_e32 vcc, 8, v24
	v_cndmask_b32_e32 v24, v55, v57, vcc
	v_cndmask_b32_e32 v25, v25, v56, vcc
	v_lshlrev_b32_e32 v22, 24, v22
	v_bfrev_b32_e32 v55, 60
	v_lshlrev_b32_e32 v25, 20, v25
	v_and_b32_e32 v22, 0x80000000, v22
	v_lshl_add_u32 v24, v24, 23, v55
	v_or3_b32 v22, v22, v24, v25
	v_lshrrev_b32_e32 v55, 16, v22
.LBB872_395:
	s_or_b64 exec, exec, s[10:11]
.LBB872_396:
	s_or_b64 exec, exec, s[8:9]
.LBB872_397:
	s_or_b64 exec, exec, s[2:3]
	s_mov_b32 s3, 0x5040100
	v_perm_b32 v43, v52, v43, s3
	v_perm_b32 v42, v23, v42, s3
	s_load_dword s2, s[4:5], 0x1c
	s_mov_b32 s46, 0xff7fffff
	s_waitcnt lgkmcnt(0)
	v_mfma_f32_16x16x16bf16_1k v[26:29], v[42:43], v[18:19], v[26:29]
	v_perm_b32 v19, v55, v54, s3
	v_perm_b32 v18, v53, v45, s3
	v_mov_b32_e32 v22, s2
	v_mul_f32_e32 v52, s12, v22
	v_pk_mul_f32 v[22:23], v[52:53], v[32:33] op_sel_hi:[0,1]
	v_pk_mul_f32 v[32:33], v[52:53], v[38:39] op_sel_hi:[0,1]
	v_and_b32_e32 v38, 0xc0, v0
	v_mfma_f32_16x16x16bf16_1k v[26:29], v[18:19], v[20:21], v[26:29]
	v_add_u32_e32 v38, s18, v38
	v_lshl_or_b32 v38, v1, 2, v38
	v_or_b32_e32 v39, 1, v38
	v_pk_mul_f32 v[24:25], v[52:53], v[30:31] op_sel_hi:[0,1]
	v_pk_mul_f32 v[30:31], v[52:53], v[40:41] op_sel_hi:[0,1]
	v_subrev_u32_e32 v40, s33, v39
	v_pk_mul_f32 v[34:35], v[52:53], v[34:35] op_sel_hi:[0,1]
	s_nop 3
	v_pk_mul_f32 v[20:21], v[52:53], v[26:27] op_sel_hi:[0,1]
	v_add_u32_e32 v27, 1, v40
	v_pk_mul_f32 v[18:19], v[52:53], v[28:29] op_sel_hi:[0,1]
	v_cvt_f32_i32_e32 v27, v27
	v_add_u32_e32 v29, 3, v40
	v_cvt_f32_i32_e32 v29, v29
	v_cvt_f32_i32_e32 v26, v40
	v_pk_mul_f32 v[36:37], v[52:53], v[36:37] op_sel_hi:[0,1]
	v_fmac_f32_e32 v35, v51, v27
	v_add_u32_e32 v27, 16, v40
	v_fmac_f32_e32 v37, v51, v29
	v_cvt_f32_i32_e32 v27, v27
	v_add_u32_e32 v29, 17, v40
	v_fma_f32 v26, v51, v26, v34
	v_cvt_f32_i32_e32 v29, v29
	v_add_u32_e32 v34, 18, v40
	v_cvt_f32_i32_e32 v34, v34
	v_fma_f32 v41, v51, v27, v32
	v_add_u32_e32 v27, 32, v40
	v_fmac_f32_e32 v33, v51, v29
	v_cvt_f32_i32_e32 v27, v27
	v_add_u32_e32 v29, 33, v40
	v_add_u32_e32 v32, 34, v40
	v_fma_f32 v30, v51, v34, v30
	v_cvt_f32_i32_e32 v29, v29
	v_cvt_f32_i32_e32 v32, v32
	v_add_u32_e32 v34, 35, v40
	v_cvt_f32_i32_e32 v34, v34
	v_fma_f32 v24, v51, v27, v24
	v_add_u32_e32 v27, 48, v40
	v_fmac_f32_e32 v25, v51, v29
	v_fma_f32 v22, v51, v32, v22
	v_cvt_f32_i32_e32 v27, v27
	v_add_u32_e32 v29, 49, v40
	v_add_u32_e32 v32, 50, v40
	v_fmac_f32_e32 v23, v51, v34
	v_cvt_f32_i32_e32 v29, v29
	v_cvt_f32_i32_e32 v32, v32
	v_add_u32_e32 v34, 51, v40
	v_add_u32_e32 v28, 2, v40
	v_cvt_f32_i32_e32 v34, v34
	v_cvt_f32_i32_e32 v28, v28
	v_fma_f32 v20, v51, v27, v20
	v_mov_b32_e32 v27, 0xff7fffff
	v_cmp_gt_i32_e64 s[26:27], s33, v38
	v_cmp_gt_i32_e64 s[28:29], s33, v39
	v_fmac_f32_e32 v21, v51, v29
	v_fma_f32 v18, v51, v32, v18
	v_cndmask_b32_e64 v29, v27, v26, s[26:27]
	v_cndmask_b32_e64 v32, v27, v35, s[28:29]
	v_fmac_f32_e32 v19, v51, v34
	v_max3_f32 v29, v29, s46, v32
	v_or_b32_e32 v32, 2, v38
	v_or_b32_e32 v34, 3, v38
	v_fma_f32 v28, v51, v28, v36
	v_cmp_gt_i32_e64 s[30:31], s33, v32
	v_cmp_gt_i32_e64 s[34:35], s33, v34
	v_add_u32_e32 v36, 19, v40
	v_cndmask_b32_e64 v32, v27, v28, s[30:31]
	v_cndmask_b32_e64 v34, v27, v37, s[34:35]
	v_cvt_f32_i32_e32 v36, v36
	v_max3_f32 v29, v29, v32, v34
	v_or_b32_e32 v32, 16, v38
	v_or_b32_e32 v34, 17, v38
	v_cmp_gt_i32_e64 s[36:37], s33, v32
	v_cmp_gt_i32_e64 s[38:39], s33, v34
	v_cndmask_b32_e64 v32, v27, v41, s[36:37]
	v_cndmask_b32_e64 v34, v27, v33, s[38:39]
	v_max3_f32 v29, v29, v32, v34
	v_or_b32_e32 v32, 18, v38
	v_or_b32_e32 v34, 19, v38
	v_fmac_f32_e32 v31, v51, v36
	v_cmp_gt_i32_e64 s[20:21], s33, v32
	v_cmp_gt_i32_e64 s[22:23], s33, v34
	v_cndmask_b32_e64 v32, v27, v30, s[20:21]
	v_cndmask_b32_e64 v34, v27, v31, s[22:23]
	v_max3_f32 v29, v29, v32, v34
	v_or_b32_e32 v32, 32, v38
	v_or_b32_e32 v34, 33, v38
	v_cmp_gt_i32_e64 s[16:17], s33, v32
	v_cmp_gt_i32_e64 s[18:19], s33, v34
	v_cndmask_b32_e64 v32, v27, v24, s[16:17]
	v_cndmask_b32_e64 v34, v27, v25, s[18:19]
	v_max3_f32 v29, v29, v32, v34
	v_or_b32_e32 v32, 34, v38
	v_or_b32_e32 v34, 35, v38
	;; [unrolled: 7-line block ×4, first 2 shown]
	v_cmp_gt_i32_e32 vcc, s33, v32
	v_cmp_gt_i32_e64 s[2:3], s33, v34
	v_cndmask_b32_e32 v32, v27, v18, vcc
	v_cndmask_b32_e64 v27, v27, v19, s[2:3]
	v_max3_f32 v27, v29, v32, v27
	v_mbcnt_lo_u32_b32 v29, -1, 0
	v_mbcnt_hi_u32_b32 v29, -1, v29
	v_and_b32_e32 v32, 64, v29
	v_add_u32_e32 v32, 64, v32
	v_xor_b32_e32 v34, 32, v29
	v_cmp_lt_i32_e64 s[40:41], v34, v32
	v_cndmask_b32_e64 v34, v29, v34, s[40:41]
	v_lshlrev_b32_e32 v36, 2, v34
	ds_bpermute_b32 v34, v36, v27
	s_barrier
	s_waitcnt lgkmcnt(0)
	v_max_f32_e32 v34, v34, v34
	v_max_f32_e32 v27, v27, v34
	v_xor_b32_e32 v34, 16, v29
	v_cmp_lt_i32_e64 s[40:41], v34, v32
	v_cndmask_b32_e64 v29, v29, v34, s[40:41]
	v_lshlrev_b32_e32 v38, 2, v29
	ds_bpermute_b32 v29, v38, v27
	s_waitcnt lgkmcnt(0)
	v_max_f32_e32 v29, v29, v29
	v_max_f32_e32 v32, v27, v29
	v_sub_f32_e32 v26, v26, v32
	v_mul_f32_e32 v26, 0x3fb8aa3b, v26
	v_sub_f32_e32 v27, v35, v32
	v_exp_f32_e32 v26, v26
	v_mul_f32_e32 v27, 0x3fb8aa3b, v27
	v_sub_f32_e32 v28, v28, v32
	v_exp_f32_e32 v27, v27
	v_mul_f32_e32 v28, 0x3fb8aa3b, v28
	v_exp_f32_e32 v28, v28
	v_cndmask_b32_e64 v26, 0, v26, s[26:27]
	v_sub_f32_e32 v34, v37, v32
	v_add_f32_e32 v29, 0, v26
	v_cndmask_b32_e64 v27, 0, v27, s[28:29]
	v_mul_f32_e32 v34, 0x3fb8aa3b, v34
	v_exp_f32_e32 v35, v34
	v_add_f32_e32 v29, v29, v27
	v_cndmask_b32_e64 v34, 0, v28, s[30:31]
	v_add_f32_e32 v28, v29, v34
	v_sub_f32_e32 v29, v41, v32
	v_mul_f32_e32 v29, 0x3fb8aa3b, v29
	v_sub_f32_e32 v33, v33, v32
	v_exp_f32_e32 v29, v29
	v_mul_f32_e32 v33, 0x3fb8aa3b, v33
	v_sub_f32_e32 v30, v30, v32
	v_exp_f32_e32 v33, v33
	;; [unrolled: 3-line block ×3, first 2 shown]
	v_mul_f32_e32 v31, 0x3fb8aa3b, v31
	v_sub_f32_e32 v24, v24, v32
	v_cndmask_b32_e64 v35, 0, v35, s[34:35]
	v_exp_f32_e32 v31, v31
	v_mul_f32_e32 v24, 0x3fb8aa3b, v24
	v_sub_f32_e32 v25, v25, v32
	v_add_f32_e32 v37, v28, v35
	v_cndmask_b32_e64 v28, 0, v29, s[36:37]
	v_exp_f32_e32 v24, v24
	v_mul_f32_e32 v25, 0x3fb8aa3b, v25
	v_sub_f32_e32 v22, v22, v32
	v_add_f32_e32 v37, v37, v28
	;; [unrolled: 5-line block ×7, first 2 shown]
	v_cndmask_b32_e64 v22, 0, v22, s[12:13]
	v_exp_f32_e32 v18, v18
	v_mul_f32_e32 v19, 0x3fb8aa3b, v19
	v_add_f32_e32 v33, v33, v22
	v_cndmask_b32_e64 v23, 0, v23, s[14:15]
	v_exp_f32_e32 v19, v19
	v_add_f32_e32 v33, v33, v23
	v_cndmask_b32_e64 v20, 0, v20, s[8:9]
	v_add_f32_e32 v33, v33, v20
	v_cndmask_b32_e64 v21, 0, v21, s[10:11]
	v_add_f32_e32 v33, v33, v21
	v_cndmask_b32_e32 v18, 0, v18, vcc
	v_add_f32_e32 v33, v33, v18
	v_cndmask_b32_e64 v19, 0, v19, s[2:3]
	v_add_f32_e32 v33, v33, v19
	ds_bpermute_b32 v36, v36, v33
	v_cmp_gt_u32_e32 vcc, 16, v44
	s_waitcnt lgkmcnt(0)
	v_add_f32_e32 v36, v33, v36
	ds_bpermute_b32 v37, v38, v36
	v_lshlrev_b32_e32 v33, 2, v49
	s_and_saveexec_b64 s[2:3], vcc
	s_cbranch_execz .LBB872_399
; %bb.398:
	s_waitcnt lgkmcnt(0)
	v_add_f32_e32 v36, v36, v37
	v_lshl_or_b32 v37, v50, 6, v33
	ds_write2st64_b32 v37, v32, v36 offset1:1
.LBB872_399:
	s_or_b64 exec, exec, s[2:3]
	s_waitcnt lgkmcnt(0)
	s_barrier
	ds_read2_b32 v[36:37], v33 offset1:16
	ds_read2_b32 v[38:39], v33 offset0:32 offset1:48
	ds_read2_b32 v[40:41], v33 offset0:64 offset1:80
	s_mul_i32 s12, s45, 11
	s_waitcnt lgkmcnt(2)
	v_max3_f32 v32, v36, s46, v37
	s_waitcnt lgkmcnt(1)
	v_max3_f32 v32, v32, v38, v39
	v_sub_f32_e32 v36, v36, v32
	v_mul_f32_e32 v36, 0x3fb8aa3b, v36
	v_exp_f32_e32 v42, v36
	v_sub_f32_e32 v36, v37, v32
	v_mul_f32_e32 v36, 0x3fb8aa3b, v36
	v_exp_f32_e32 v43, v36
	;; [unrolled: 3-line block ×3, first 2 shown]
	ds_read2_b32 v[36:37], v33 offset0:96 offset1:112
	v_sub_f32_e32 v33, v39, v32
	v_mul_f32_e32 v33, 0x3fb8aa3b, v33
	v_exp_f32_e32 v39, v33
	s_waitcnt lgkmcnt(1)
	v_fma_f32 v33, v42, v40, 0
	v_fmac_f32_e32 v33, v43, v41
	s_waitcnt lgkmcnt(0)
	v_fmac_f32_e32 v33, v38, v36
	v_fmac_f32_e32 v33, v39, v37
	v_add_f32_e32 v36, 0x358637bd, v33
	v_div_scale_f32 v37, s[2:3], v36, v36, 1.0
	v_rcp_f32_e32 v40, v37
	s_movk_i32 s2, 0x7fff
	s_mov_b32 s3, 0x7060302
	v_fma_f32 v41, -v37, v40, 1.0
	v_fmac_f32_e32 v40, v41, v40
	v_div_scale_f32 v41, vcc, 1.0, v36, 1.0
	v_mul_f32_e32 v44, v41, v40
	v_fma_f32 v45, -v37, v44, v41
	v_fmac_f32_e32 v44, v45, v40
	v_fma_f32 v37, -v37, v44, v41
	v_div_fmas_f32 v37, v37, v40, v44
	v_cmp_eq_u32_e32 vcc, 1, v50
	v_div_fixup_f32 v36, v37, v36, 1.0
	v_cndmask_b32_e32 v37, v42, v43, vcc
	v_cmp_eq_u32_e32 vcc, 2, v50
	v_cndmask_b32_e32 v37, v37, v38, vcc
	v_cmp_eq_u32_e32 vcc, 3, v50
	v_cndmask_b32_e32 v37, v37, v39, vcc
	v_mul_f32_e32 v36, v37, v36
	v_pk_mul_f32 v[26:27], v[36:37], v[26:27] op_sel_hi:[0,1]
	v_pk_mul_f32 v[34:35], v[36:37], v[34:35] op_sel_hi:[0,1]
	v_bfe_u32 v37, v27, 16, 1
	v_bfe_u32 v38, v26, 16, 1
	v_add3_u32 v26, v26, v38, s2
	v_add3_u32 v27, v27, v37, s2
	v_perm_b32 v38, v27, v26, s3
	v_bfe_u32 v26, v35, 16, 1
	v_bfe_u32 v27, v34, 16, 1
	v_add3_u32 v27, v34, v27, s2
	v_add3_u32 v26, v35, v26, s2
	v_perm_b32 v39, v26, v27, s3
	v_lshlrev_b32_e32 v26, 3, v1
	v_lshlrev_b32_e32 v27, 11, v50
	v_pk_mul_f32 v[28:29], v[36:37], v[28:29] op_sel_hi:[0,1]
	v_or3_b32 v26, v27, v48, v26
	v_bfe_u32 v27, v29, 16, 1
	v_bfe_u32 v34, v28, 16, 1
	v_pk_mul_f32 v[30:31], v[36:37], v[30:31] op_sel_hi:[0,1]
	v_add3_u32 v28, v28, v34, s2
	v_add3_u32 v27, v29, v27, s2
	v_perm_b32 v28, v27, v28, s3
	v_bfe_u32 v27, v31, 16, 1
	v_bfe_u32 v29, v30, 16, 1
	v_add3_u32 v29, v30, v29, s2
	v_add3_u32 v27, v31, v27, s2
	v_perm_b32 v29, v27, v29, s3
	v_pk_mul_f32 v[24:25], v[36:37], v[24:25] op_sel_hi:[0,1]
	s_barrier
	ds_write2st64_b64 v26, v[38:39], v[28:29] offset1:1
	v_bfe_u32 v27, v25, 16, 1
	v_bfe_u32 v28, v24, 16, 1
	v_pk_mul_f32 v[22:23], v[36:37], v[22:23] op_sel_hi:[0,1]
	v_add3_u32 v24, v24, v28, s2
	v_add3_u32 v25, v25, v27, s2
	v_perm_b32 v24, v25, v24, s3
	v_bfe_u32 v25, v23, 16, 1
	v_bfe_u32 v27, v22, 16, 1
	v_add3_u32 v22, v22, v27, s2
	v_add3_u32 v23, v23, v25, s2
	v_pk_mul_f32 v[20:21], v[36:37], v[20:21] op_sel_hi:[0,1]
	v_perm_b32 v25, v23, v22, s3
	v_bfe_u32 v22, v21, 16, 1
	v_bfe_u32 v23, v20, 16, 1
	v_pk_mul_f32 v[18:19], v[36:37], v[18:19] op_sel_hi:[0,1]
	v_add3_u32 v20, v20, v23, s2
	v_add3_u32 v21, v21, v22, s2
	v_perm_b32 v20, v21, v20, s3
	v_bfe_u32 v21, v19, 16, 1
	v_bfe_u32 v22, v18, 16, 1
	v_add3_u32 v18, v18, v22, s2
	v_add3_u32 v19, v19, v21, s2
	v_perm_b32 v21, v19, v18, s3
	v_cmp_gt_u32_e32 vcc, 11, v0
	ds_write2st64_b64 v26, v[24:25], v[20:21] offset0:2 offset1:3
	s_and_saveexec_b64 s[2:3], vcc
	s_cbranch_execz .LBB872_401
; %bb.400:
	v_add_co_u32_e32 v20, vcc, s25, v49
	v_addc_co_u32_e64 v21, s[14:15], 0, 0, vcc
	v_mov_b32_e32 v18, s12
	v_mov_b32_e32 v19, 0
	v_mad_u64_u32 v[20:21], s[14:15], s6, v18, v[20:21]
	v_mov_b32_e32 v18, s24
	s_load_dwordx4 s[8:11], s[4:5], 0x58
	s_mul_i32 s7, s7, s12
	v_mad_u64_u32 v[18:19], s[14:15], v20, s44, v[18:19]
	v_add_u32_e32 v21, s7, v21
	v_mov_b32_e32 v20, v19
	v_mad_u64_u32 v[20:21], s[14:15], v21, s44, v[20:21]
	v_mov_b32_e32 v19, v20
	v_lshlrev_b64 v[18:19], 2, v[18:19]
	s_waitcnt lgkmcnt(0)
	v_mov_b32_e32 v21, s11
	v_add_co_u32_e32 v20, vcc, s10, v18
	v_addc_co_u32_e32 v21, vcc, v21, v19, vcc
	global_store_dword v[20:21], v32, off
	v_mov_b32_e32 v20, s9
	v_add_co_u32_e32 v18, vcc, s8, v18
	v_addc_co_u32_e32 v19, vcc, v20, v19, vcc
	global_store_dword v[18:19], v33, off
.LBB872_401:
	s_or_b64 exec, exec, s[2:3]
	v_mov_b32_e32 v19, 0
	s_waitcnt vmcnt(3)
	v_cmp_ne_u16_sdwa s[8:9], v14, v19 src0_sel:BYTE_0 src1_sel:DWORD
	v_mov_b32_e32 v20, 0
	s_waitcnt lgkmcnt(0)
	s_barrier
	s_and_saveexec_b64 s[2:3], s[8:9]
	s_cbranch_execz .LBB872_407
; %bb.402:
	s_movk_i32 s7, 0x80
	v_cmp_ne_u16_sdwa s[10:11], v14, s7 src0_sel:BYTE_0 src1_sel:DWORD
	v_mov_b32_e32 v20, 0xffff8000
	s_and_saveexec_b64 s[8:9], s[10:11]
	s_cbranch_execz .LBB872_406
; %bb.403:
	s_movk_i32 s7, 0x7f
	v_and_b32_e32 v18, 0x7f, v14
	v_cmp_ne_u32_e32 vcc, s7, v18
	v_mov_b32_e32 v20, 0x7f80
	s_and_saveexec_b64 s[10:11], vcc
	s_cbranch_execz .LBB872_405
; %bb.404:
	v_and_b32_e32 v22, 7, v14
	v_ffbh_u32_e32 v20, v22
	v_min_u32_e32 v24, 32, v20
	v_subrev_u32_e32 v20, 28, v24
	v_lshlrev_b64 v[20:21], v20, v[14:15]
	v_lshrrev_b32_e32 v23, 3, v18
	v_sub_u32_e32 v21, 29, v24
	v_and_b32_e32 v20, 7, v20
	v_cmp_gt_u32_e32 vcc, 8, v18
	v_cndmask_b32_e32 v18, v23, v21, vcc
	v_cndmask_b32_e32 v20, v22, v20, vcc
	v_lshlrev_b32_e32 v21, 24, v14
	v_bfrev_b32_e32 v22, 60
	v_lshlrev_b32_e32 v20, 20, v20
	v_and_b32_e32 v21, 0x80000000, v21
	v_lshl_add_u32 v18, v18, 23, v22
	v_or3_b32 v18, v21, v18, v20
	v_lshrrev_b32_e32 v20, 16, v18
.LBB872_405:
	s_or_b64 exec, exec, s[10:11]
.LBB872_406:
	s_or_b64 exec, exec, s[8:9]
.LBB872_407:
	s_or_b64 exec, exec, s[2:3]
	v_lshrrev_b16_e32 v18, 8, v14
	v_cmp_ne_u16_e32 vcc, 0, v18
	s_and_saveexec_b64 s[2:3], vcc
	s_cbranch_execz .LBB872_413
; %bb.408:
	s_movk_i32 s7, 0x80
	v_cmp_ne_u16_e32 vcc, s7, v18
	v_mov_b32_e32 v19, 0xffff8000
	s_and_saveexec_b64 s[8:9], vcc
	s_cbranch_execz .LBB872_412
; %bb.409:
	s_movk_i32 s7, 0x7f
	v_and_b32_e32 v21, 0x7f, v18
	v_cmp_ne_u32_e32 vcc, s7, v21
	v_mov_b32_e32 v19, 0x7f80
	s_and_saveexec_b64 s[10:11], vcc
	s_cbranch_execz .LBB872_411
; %bb.410:
	v_and_b32_e32 v22, 7, v18
	v_ffbh_u32_e32 v19, v22
	v_min_u32_e32 v24, 32, v19
	v_subrev_u32_e32 v19, 28, v24
	v_lshlrev_b64 v[18:19], v19, v[18:19]
	v_lshrrev_b32_e32 v23, 3, v21
	v_sub_u32_e32 v19, 29, v24
	v_and_b32_e32 v18, 7, v18
	v_cmp_gt_u32_e32 vcc, 8, v21
	v_cndmask_b32_e32 v19, v23, v19, vcc
	v_cndmask_b32_e32 v18, v22, v18, vcc
	v_lshlrev_b32_e32 v21, 16, v14
	v_bfrev_b32_e32 v22, 60
	v_lshlrev_b32_e32 v18, 20, v18
	v_and_b32_e32 v21, 0x80000000, v21
	v_lshl_add_u32 v19, v19, 23, v22
	v_or3_b32 v18, v21, v19, v18
	v_lshrrev_b32_e32 v19, 16, v18
.LBB872_411:
	s_or_b64 exec, exec, s[10:11]
.LBB872_412:
	s_or_b64 exec, exec, s[8:9]
.LBB872_413:
	s_or_b64 exec, exec, s[2:3]
	s_movk_i32 s2, 0xff
	v_and_b32_sdwa v23, v14, s2 dst_sel:DWORD dst_unused:UNUSED_PAD src0_sel:WORD_1 src1_sel:DWORD
	v_lshrrev_b32_e32 v18, 16, v14
	v_cmp_ne_u16_e32 vcc, 0, v23
	v_mov_b32_e32 v21, 0
	v_mov_b32_e32 v22, 0
	s_and_saveexec_b64 s[2:3], vcc
	s_cbranch_execz .LBB872_419
; %bb.414:
	s_movk_i32 s7, 0x80
	v_cmp_ne_u16_e32 vcc, s7, v23
	v_mov_b32_e32 v22, 0xffff8000
	s_and_saveexec_b64 s[8:9], vcc
	s_cbranch_execz .LBB872_418
; %bb.415:
	v_bfe_u32 v23, v14, 16, 7
	s_movk_i32 s7, 0x7f
	v_cmp_ne_u32_e32 vcc, s7, v23
	v_mov_b32_e32 v22, 0x7f80
	s_and_saveexec_b64 s[10:11], vcc
	s_cbranch_execz .LBB872_417
; %bb.416:
	v_and_b32_e32 v22, 7, v18
	v_ffbh_u32_e32 v24, v22
	v_min_u32_e32 v28, 32, v24
	v_subrev_u32_e32 v24, 28, v28
	v_lshlrev_b64 v[24:25], v24, v[18:19]
	v_lshrrev_b32_e32 v27, 3, v23
	v_sub_u32_e32 v18, 29, v28
	v_and_b32_e32 v24, 7, v24
	v_cmp_gt_u32_e32 vcc, 8, v23
	v_mov_b32_e32 v23, 24
	v_cndmask_b32_e32 v18, v27, v18, vcc
	v_cndmask_b32_e32 v22, v22, v24, vcc
	v_lshlrev_b32_sdwa v23, v23, v14 dst_sel:DWORD dst_unused:UNUSED_PAD src0_sel:DWORD src1_sel:WORD_1
	v_bfrev_b32_e32 v24, 60
	v_lshlrev_b32_e32 v22, 20, v22
	v_and_b32_e32 v23, 0x80000000, v23
	v_lshl_add_u32 v18, v18, 23, v24
	v_or3_b32 v18, v23, v18, v22
	v_lshrrev_b32_e32 v22, 16, v18
.LBB872_417:
	s_or_b64 exec, exec, s[10:11]
.LBB872_418:
	s_or_b64 exec, exec, s[8:9]
.LBB872_419:
	s_or_b64 exec, exec, s[2:3]
	s_mov_b32 s2, 0xffffff
	v_cmp_lt_u32_e32 vcc, s2, v14
	s_and_saveexec_b64 s[2:3], vcc
	s_cbranch_execz .LBB872_425
; %bb.420:
	v_lshrrev_b32_e32 v18, 24, v14
	s_movk_i32 s7, 0x80
	v_cmp_ne_u32_e32 vcc, s7, v18
	v_mov_b32_e32 v21, 0xffff8000
	s_and_saveexec_b64 s[8:9], vcc
	s_cbranch_execz .LBB872_424
; %bb.421:
	v_bfe_u32 v14, v14, 24, 7
	s_movk_i32 s7, 0x7f
	v_cmp_ne_u32_e32 vcc, s7, v14
	v_mov_b32_e32 v21, 0x7f80
	s_and_saveexec_b64 s[10:11], vcc
	s_cbranch_execz .LBB872_423
; %bb.422:
	v_and_b32_e32 v21, 7, v18
	v_ffbh_u32_e32 v24, v21
	v_min_u32_e32 v27, 32, v24
	v_subrev_u32_e32 v24, 28, v27
	v_lshlrev_b64 v[24:25], v24, v[18:19]
	v_lshrrev_b32_e32 v23, 3, v14
	v_sub_u32_e32 v25, 29, v27
	v_and_b32_e32 v24, 7, v24
	v_cmp_gt_u32_e32 vcc, 8, v14
	v_cndmask_b32_e32 v14, v23, v25, vcc
	v_cndmask_b32_e32 v21, v21, v24, vcc
	v_lshlrev_b32_e32 v18, 24, v18
	v_bfrev_b32_e32 v23, 60
	v_lshlrev_b32_e32 v21, 20, v21
	v_and_b32_e32 v18, 0x80000000, v18
	v_lshl_add_u32 v14, v14, 23, v23
	v_or3_b32 v14, v18, v14, v21
	v_lshrrev_b32_e32 v21, 16, v14
.LBB872_423:
	s_or_b64 exec, exec, s[10:11]
.LBB872_424:
	s_or_b64 exec, exec, s[8:9]
.LBB872_425:
	s_or_b64 exec, exec, s[2:3]
	v_mov_b32_e32 v18, 0
	v_cmp_ne_u16_sdwa s[8:9], v15, v18 src0_sel:BYTE_0 src1_sel:DWORD
	v_mov_b32_e32 v23, 0
	s_and_saveexec_b64 s[2:3], s[8:9]
	s_cbranch_execz .LBB872_431
; %bb.426:
	s_movk_i32 s7, 0x80
	v_cmp_ne_u16_sdwa s[10:11], v15, s7 src0_sel:BYTE_0 src1_sel:DWORD
	v_mov_b32_e32 v23, 0xffff8000
	s_and_saveexec_b64 s[8:9], s[10:11]
	s_cbranch_execz .LBB872_430
; %bb.427:
	s_movk_i32 s7, 0x7f
	v_and_b32_e32 v14, 0x7f, v15
	v_cmp_ne_u32_e32 vcc, s7, v14
	v_mov_b32_e32 v23, 0x7f80
	s_and_saveexec_b64 s[10:11], vcc
	s_cbranch_execz .LBB872_429
; %bb.428:
	v_and_b32_e32 v23, 7, v15
	v_ffbh_u32_e32 v25, v23
	v_min_u32_e32 v28, 32, v25
	v_mov_b32_e32 v24, v15
	v_subrev_u32_e32 v25, 28, v28
	v_lshlrev_b64 v[24:25], v25, v[24:25]
	v_lshrrev_b32_e32 v27, 3, v14
	v_sub_u32_e32 v25, 29, v28
	v_and_b32_e32 v24, 7, v24
	v_cmp_gt_u32_e32 vcc, 8, v14
	v_cndmask_b32_e32 v14, v27, v25, vcc
	v_cndmask_b32_e32 v23, v23, v24, vcc
	v_lshlrev_b32_e32 v24, 24, v15
	v_bfrev_b32_e32 v25, 60
	v_lshlrev_b32_e32 v23, 20, v23
	v_and_b32_e32 v24, 0x80000000, v24
	v_lshl_add_u32 v14, v14, 23, v25
	v_or3_b32 v14, v24, v14, v23
	v_lshrrev_b32_e32 v23, 16, v14
.LBB872_429:
	s_or_b64 exec, exec, s[10:11]
.LBB872_430:
	s_or_b64 exec, exec, s[8:9]
.LBB872_431:
	s_or_b64 exec, exec, s[2:3]
	v_lshrrev_b16_e32 v14, 8, v15
	v_cmp_ne_u16_e32 vcc, 0, v14
	s_and_saveexec_b64 s[2:3], vcc
	s_cbranch_execz .LBB872_437
; %bb.432:
	s_movk_i32 s7, 0x80
	v_cmp_ne_u16_e32 vcc, s7, v14
	v_mov_b32_e32 v18, 0xffff8000
	s_and_saveexec_b64 s[8:9], vcc
	s_cbranch_execz .LBB872_436
; %bb.433:
	s_movk_i32 s7, 0x7f
	v_and_b32_e32 v24, 0x7f, v14
	v_cmp_ne_u32_e32 vcc, s7, v24
	v_mov_b32_e32 v18, 0x7f80
	s_and_saveexec_b64 s[10:11], vcc
	s_cbranch_execz .LBB872_435
; %bb.434:
	v_and_b32_e32 v18, 7, v14
	v_ffbh_u32_e32 v27, v18
	v_min_u32_e32 v27, 32, v27
	v_subrev_u32_e32 v28, 28, v27
	v_lshlrev_b64 v[28:29], v28, v[14:15]
	v_lshrrev_b32_e32 v25, 3, v24
	v_sub_u32_e32 v14, 29, v27
	v_and_b32_e32 v27, 7, v28
	v_cmp_gt_u32_e32 vcc, 8, v24
	v_cndmask_b32_e32 v14, v25, v14, vcc
	v_cndmask_b32_e32 v18, v18, v27, vcc
	v_lshlrev_b32_e32 v24, 16, v15
	v_bfrev_b32_e32 v25, 60
	v_lshlrev_b32_e32 v18, 20, v18
	v_and_b32_e32 v24, 0x80000000, v24
	v_lshl_add_u32 v14, v14, 23, v25
	v_or3_b32 v14, v24, v14, v18
	v_lshrrev_b32_e32 v18, 16, v14
.LBB872_435:
	s_or_b64 exec, exec, s[10:11]
.LBB872_436:
	s_or_b64 exec, exec, s[8:9]
.LBB872_437:
	s_or_b64 exec, exec, s[2:3]
	s_movk_i32 s2, 0xff
	v_and_b32_sdwa v27, v15, s2 dst_sel:DWORD dst_unused:UNUSED_PAD src0_sel:WORD_1 src1_sel:DWORD
	v_lshrrev_b32_e32 v14, 16, v15
	v_cmp_ne_u16_e32 vcc, 0, v27
	v_mov_b32_e32 v24, 0
	v_mov_b32_e32 v25, 0
	s_and_saveexec_b64 s[2:3], vcc
	s_cbranch_execz .LBB872_443
; %bb.438:
	s_movk_i32 s7, 0x80
	v_cmp_ne_u16_e32 vcc, s7, v27
	v_mov_b32_e32 v25, 0xffff8000
	s_and_saveexec_b64 s[8:9], vcc
	s_cbranch_execz .LBB872_442
; %bb.439:
	v_bfe_u32 v27, v15, 16, 7
	s_movk_i32 s7, 0x7f
	v_cmp_ne_u32_e32 vcc, s7, v27
	v_mov_b32_e32 v25, 0x7f80
	s_and_saveexec_b64 s[10:11], vcc
	s_cbranch_execz .LBB872_441
; %bb.440:
	v_and_b32_e32 v25, 7, v14
	v_ffbh_u32_e32 v28, v25
	v_min_u32_e32 v31, 32, v28
	v_subrev_u32_e32 v28, 28, v31
	v_lshlrev_b64 v[28:29], v28, v[14:15]
	v_lshrrev_b32_e32 v30, 3, v27
	v_sub_u32_e32 v14, 29, v31
	v_and_b32_e32 v28, 7, v28
	v_cmp_gt_u32_e32 vcc, 8, v27
	v_mov_b32_e32 v27, 24
	v_cndmask_b32_e32 v14, v30, v14, vcc
	v_cndmask_b32_e32 v25, v25, v28, vcc
	v_lshlrev_b32_sdwa v27, v27, v15 dst_sel:DWORD dst_unused:UNUSED_PAD src0_sel:DWORD src1_sel:WORD_1
	v_bfrev_b32_e32 v28, 60
	v_lshlrev_b32_e32 v25, 20, v25
	v_and_b32_e32 v27, 0x80000000, v27
	v_lshl_add_u32 v14, v14, 23, v28
	v_or3_b32 v14, v27, v14, v25
	v_lshrrev_b32_e32 v25, 16, v14
.LBB872_441:
	s_or_b64 exec, exec, s[10:11]
.LBB872_442:
	s_or_b64 exec, exec, s[8:9]
.LBB872_443:
	s_or_b64 exec, exec, s[2:3]
	s_mov_b32 s2, 0xffffff
	v_cmp_lt_u32_e32 vcc, s2, v15
	s_and_saveexec_b64 s[2:3], vcc
	s_cbranch_execz .LBB872_449
; %bb.444:
	v_lshrrev_b32_e32 v14, 24, v15
	s_movk_i32 s7, 0x80
	v_cmp_ne_u32_e32 vcc, s7, v14
	v_mov_b32_e32 v24, 0xffff8000
	s_and_saveexec_b64 s[8:9], vcc
	s_cbranch_execz .LBB872_448
; %bb.445:
	v_bfe_u32 v15, v15, 24, 7
	s_movk_i32 s7, 0x7f
	v_cmp_ne_u32_e32 vcc, s7, v15
	v_mov_b32_e32 v24, 0x7f80
	s_and_saveexec_b64 s[10:11], vcc
	s_cbranch_execz .LBB872_447
; %bb.446:
	v_and_b32_e32 v24, 7, v14
	v_ffbh_u32_e32 v28, v24
	v_min_u32_e32 v30, 32, v28
	v_subrev_u32_e32 v28, 28, v30
	v_lshlrev_b64 v[28:29], v28, v[14:15]
	v_lshrrev_b32_e32 v27, 3, v15
	v_sub_u32_e32 v29, 29, v30
	v_and_b32_e32 v28, 7, v28
	v_cmp_gt_u32_e32 vcc, 8, v15
	v_cndmask_b32_e32 v15, v27, v29, vcc
	v_cndmask_b32_e32 v24, v24, v28, vcc
	v_lshlrev_b32_e32 v14, 24, v14
	v_bfrev_b32_e32 v27, 60
	v_lshlrev_b32_e32 v24, 20, v24
	v_and_b32_e32 v14, 0x80000000, v14
	v_lshl_add_u32 v15, v15, 23, v27
	v_or3_b32 v14, v14, v15, v24
	v_lshrrev_b32_e32 v24, 16, v14
.LBB872_447:
	s_or_b64 exec, exec, s[10:11]
.LBB872_448:
	s_or_b64 exec, exec, s[8:9]
.LBB872_449:
	s_or_b64 exec, exec, s[2:3]
	s_mov_b32 s2, 0x5040100
	v_perm_b32 v15, v21, v22, s2
	v_lshl_or_b32 v22, v1, 9, v48
	v_perm_b32 v14, v19, v20, s2
	ds_read_b128 v[28:31], v22
	v_perm_b32 v19, v24, v25, s2
	v_perm_b32 v18, v18, v23, s2
	s_waitcnt lgkmcnt(0)
	v_mfma_f32_16x16x16bf16_1k v[32:35], v[14:15], v[28:29], 0
	v_mov_b32_e32 v15, 0
	v_cmp_ne_u16_sdwa s[8:9], v16, v15 src0_sel:BYTE_0 src1_sel:DWORD
	v_mov_b32_e32 v23, 0
	v_mfma_f32_16x16x16bf16_1k v[18:21], v[18:19], v[30:31], v[32:35]
	s_and_saveexec_b64 s[2:3], s[8:9]
	s_cbranch_execz .LBB872_455
; %bb.450:
	s_movk_i32 s7, 0x80
	v_cmp_ne_u16_sdwa s[10:11], v16, s7 src0_sel:BYTE_0 src1_sel:DWORD
	v_mov_b32_e32 v23, 0xffff8000
	s_and_saveexec_b64 s[8:9], s[10:11]
	s_cbranch_execz .LBB872_454
; %bb.451:
	s_movk_i32 s7, 0x7f
	v_and_b32_e32 v14, 0x7f, v16
	v_cmp_ne_u32_e32 vcc, s7, v14
	v_mov_b32_e32 v23, 0x7f80
	s_and_saveexec_b64 s[10:11], vcc
	s_cbranch_execz .LBB872_453
; %bb.452:
	v_and_b32_e32 v23, 7, v16
	v_ffbh_u32_e32 v24, v23
	v_min_u32_e32 v28, 32, v24
	v_subrev_u32_e32 v24, 28, v28
	v_lshlrev_b64 v[24:25], v24, v[16:17]
	v_lshrrev_b32_e32 v27, 3, v14
	v_sub_u32_e32 v25, 29, v28
	v_and_b32_e32 v24, 7, v24
	v_cmp_gt_u32_e32 vcc, 8, v14
	v_cndmask_b32_e32 v14, v27, v25, vcc
	v_cndmask_b32_e32 v23, v23, v24, vcc
	v_lshlrev_b32_e32 v24, 24, v16
	v_bfrev_b32_e32 v25, 60
	v_lshlrev_b32_e32 v23, 20, v23
	v_and_b32_e32 v24, 0x80000000, v24
	v_lshl_add_u32 v14, v14, 23, v25
	v_or3_b32 v14, v24, v14, v23
	v_lshrrev_b32_e32 v23, 16, v14
.LBB872_453:
	s_or_b64 exec, exec, s[10:11]
.LBB872_454:
	s_or_b64 exec, exec, s[8:9]
.LBB872_455:
	s_or_b64 exec, exec, s[2:3]
	v_lshrrev_b16_e32 v14, 8, v16
	v_cmp_ne_u16_e32 vcc, 0, v14
	s_and_saveexec_b64 s[2:3], vcc
	s_cbranch_execz .LBB872_461
; %bb.456:
	s_movk_i32 s7, 0x80
	v_cmp_ne_u16_e32 vcc, s7, v14
	v_mov_b32_e32 v15, 0xffff8000
	s_and_saveexec_b64 s[8:9], vcc
	s_cbranch_execz .LBB872_460
; %bb.457:
	s_movk_i32 s7, 0x7f
	v_and_b32_e32 v24, 0x7f, v14
	v_cmp_ne_u32_e32 vcc, s7, v24
	v_mov_b32_e32 v15, 0x7f80
	s_and_saveexec_b64 s[10:11], vcc
	s_cbranch_execz .LBB872_459
; %bb.458:
	v_and_b32_e32 v25, 7, v14
	v_ffbh_u32_e32 v15, v25
	v_min_u32_e32 v28, 32, v15
	v_subrev_u32_e32 v15, 28, v28
	v_lshlrev_b64 v[14:15], v15, v[14:15]
	v_lshrrev_b32_e32 v27, 3, v24
	v_sub_u32_e32 v15, 29, v28
	v_and_b32_e32 v14, 7, v14
	v_cmp_gt_u32_e32 vcc, 8, v24
	v_cndmask_b32_e32 v15, v27, v15, vcc
	v_cndmask_b32_e32 v14, v25, v14, vcc
	v_lshlrev_b32_e32 v24, 16, v16
	v_bfrev_b32_e32 v25, 60
	v_lshlrev_b32_e32 v14, 20, v14
	v_and_b32_e32 v24, 0x80000000, v24
	v_lshl_add_u32 v15, v15, 23, v25
	v_or3_b32 v14, v24, v15, v14
	v_lshrrev_b32_e32 v15, 16, v14
.LBB872_459:
	s_or_b64 exec, exec, s[10:11]
.LBB872_460:
	s_or_b64 exec, exec, s[8:9]
.LBB872_461:
	s_or_b64 exec, exec, s[2:3]
	s_movk_i32 s2, 0xff
	v_and_b32_sdwa v27, v16, s2 dst_sel:DWORD dst_unused:UNUSED_PAD src0_sel:WORD_1 src1_sel:DWORD
	v_lshrrev_b32_e32 v14, 16, v16
	v_cmp_ne_u16_e32 vcc, 0, v27
	v_mov_b32_e32 v24, 0
	v_mov_b32_e32 v25, 0
	s_and_saveexec_b64 s[2:3], vcc
	s_cbranch_execz .LBB872_467
; %bb.462:
	s_movk_i32 s7, 0x80
	v_cmp_ne_u16_e32 vcc, s7, v27
	v_mov_b32_e32 v25, 0xffff8000
	s_and_saveexec_b64 s[8:9], vcc
	s_cbranch_execz .LBB872_466
; %bb.463:
	v_bfe_u32 v27, v16, 16, 7
	s_movk_i32 s7, 0x7f
	v_cmp_ne_u32_e32 vcc, s7, v27
	v_mov_b32_e32 v25, 0x7f80
	s_and_saveexec_b64 s[10:11], vcc
	s_cbranch_execz .LBB872_465
; %bb.464:
	v_and_b32_e32 v25, 7, v14
	v_ffbh_u32_e32 v28, v25
	v_min_u32_e32 v31, 32, v28
	v_subrev_u32_e32 v28, 28, v31
	v_lshlrev_b64 v[28:29], v28, v[14:15]
	v_lshrrev_b32_e32 v30, 3, v27
	v_sub_u32_e32 v14, 29, v31
	v_and_b32_e32 v28, 7, v28
	v_cmp_gt_u32_e32 vcc, 8, v27
	v_mov_b32_e32 v27, 24
	v_cndmask_b32_e32 v14, v30, v14, vcc
	v_cndmask_b32_e32 v25, v25, v28, vcc
	v_lshlrev_b32_sdwa v27, v27, v16 dst_sel:DWORD dst_unused:UNUSED_PAD src0_sel:DWORD src1_sel:WORD_1
	v_bfrev_b32_e32 v28, 60
	v_lshlrev_b32_e32 v25, 20, v25
	v_and_b32_e32 v27, 0x80000000, v27
	v_lshl_add_u32 v14, v14, 23, v28
	v_or3_b32 v14, v27, v14, v25
	v_lshrrev_b32_e32 v25, 16, v14
.LBB872_465:
	s_or_b64 exec, exec, s[10:11]
.LBB872_466:
	s_or_b64 exec, exec, s[8:9]
.LBB872_467:
	s_or_b64 exec, exec, s[2:3]
	s_mov_b32 s2, 0xffffff
	v_cmp_lt_u32_e32 vcc, s2, v16
	s_and_saveexec_b64 s[2:3], vcc
	s_cbranch_execz .LBB872_473
; %bb.468:
	v_lshrrev_b32_e32 v14, 24, v16
	s_movk_i32 s7, 0x80
	v_cmp_ne_u32_e32 vcc, s7, v14
	v_mov_b32_e32 v24, 0xffff8000
	s_and_saveexec_b64 s[8:9], vcc
	s_cbranch_execz .LBB872_472
; %bb.469:
	v_bfe_u32 v16, v16, 24, 7
	s_movk_i32 s7, 0x7f
	v_cmp_ne_u32_e32 vcc, s7, v16
	v_mov_b32_e32 v24, 0x7f80
	s_and_saveexec_b64 s[10:11], vcc
	s_cbranch_execz .LBB872_471
; %bb.470:
	v_and_b32_e32 v24, 7, v14
	v_ffbh_u32_e32 v28, v24
	v_min_u32_e32 v30, 32, v28
	v_subrev_u32_e32 v28, 28, v30
	v_lshlrev_b64 v[28:29], v28, v[14:15]
	v_lshrrev_b32_e32 v27, 3, v16
	v_sub_u32_e32 v29, 29, v30
	v_and_b32_e32 v28, 7, v28
	v_cmp_gt_u32_e32 vcc, 8, v16
	v_cndmask_b32_e32 v16, v27, v29, vcc
	v_cndmask_b32_e32 v24, v24, v28, vcc
	v_lshlrev_b32_e32 v14, 24, v14
	v_bfrev_b32_e32 v27, 60
	v_lshlrev_b32_e32 v24, 20, v24
	v_and_b32_e32 v14, 0x80000000, v14
	v_lshl_add_u32 v16, v16, 23, v27
	v_or3_b32 v14, v14, v16, v24
	v_lshrrev_b32_e32 v24, 16, v14
.LBB872_471:
	s_or_b64 exec, exec, s[10:11]
.LBB872_472:
	s_or_b64 exec, exec, s[8:9]
.LBB872_473:
	s_or_b64 exec, exec, s[2:3]
	v_mov_b32_e32 v16, 0
	v_cmp_ne_u16_sdwa s[8:9], v17, v16 src0_sel:BYTE_0 src1_sel:DWORD
	v_mov_b32_e32 v27, 0
	s_and_saveexec_b64 s[2:3], s[8:9]
	s_cbranch_execz .LBB872_479
; %bb.474:
	s_movk_i32 s7, 0x80
	v_cmp_ne_u16_sdwa s[10:11], v17, s7 src0_sel:BYTE_0 src1_sel:DWORD
	v_mov_b32_e32 v27, 0xffff8000
	s_and_saveexec_b64 s[8:9], s[10:11]
	s_cbranch_execz .LBB872_478
; %bb.475:
	s_movk_i32 s7, 0x7f
	v_and_b32_e32 v14, 0x7f, v17
	v_cmp_ne_u32_e32 vcc, s7, v14
	v_mov_b32_e32 v27, 0x7f80
	s_and_saveexec_b64 s[10:11], vcc
	s_cbranch_execz .LBB872_477
; %bb.476:
	v_and_b32_e32 v27, 7, v17
	v_ffbh_u32_e32 v29, v27
	v_min_u32_e32 v31, 32, v29
	v_mov_b32_e32 v28, v17
	v_subrev_u32_e32 v29, 28, v31
	v_lshlrev_b64 v[28:29], v29, v[28:29]
	v_lshrrev_b32_e32 v30, 3, v14
	v_sub_u32_e32 v29, 29, v31
	v_and_b32_e32 v28, 7, v28
	v_cmp_gt_u32_e32 vcc, 8, v14
	v_cndmask_b32_e32 v14, v30, v29, vcc
	v_cndmask_b32_e32 v27, v27, v28, vcc
	v_lshlrev_b32_e32 v28, 24, v17
	v_bfrev_b32_e32 v29, 60
	v_lshlrev_b32_e32 v27, 20, v27
	v_and_b32_e32 v28, 0x80000000, v28
	v_lshl_add_u32 v14, v14, 23, v29
	v_or3_b32 v14, v28, v14, v27
	v_lshrrev_b32_e32 v27, 16, v14
.LBB872_477:
	s_or_b64 exec, exec, s[10:11]
.LBB872_478:
	s_or_b64 exec, exec, s[8:9]
.LBB872_479:
	s_or_b64 exec, exec, s[2:3]
	v_lshrrev_b16_e32 v14, 8, v17
	v_cmp_ne_u16_e32 vcc, 0, v14
	s_and_saveexec_b64 s[2:3], vcc
	s_cbranch_execz .LBB872_485
; %bb.480:
	s_movk_i32 s7, 0x80
	v_cmp_ne_u16_e32 vcc, s7, v14
	v_mov_b32_e32 v16, 0xffff8000
	s_and_saveexec_b64 s[8:9], vcc
	s_cbranch_execz .LBB872_484
; %bb.481:
	s_movk_i32 s7, 0x7f
	v_and_b32_e32 v28, 0x7f, v14
	v_cmp_ne_u32_e32 vcc, s7, v28
	v_mov_b32_e32 v16, 0x7f80
	s_and_saveexec_b64 s[10:11], vcc
	s_cbranch_execz .LBB872_483
; %bb.482:
	v_and_b32_e32 v16, 7, v14
	v_ffbh_u32_e32 v30, v16
	v_min_u32_e32 v32, 32, v30
	v_subrev_u32_e32 v30, 28, v32
	v_lshlrev_b64 v[30:31], v30, v[14:15]
	v_lshrrev_b32_e32 v29, 3, v28
	v_sub_u32_e32 v14, 29, v32
	v_and_b32_e32 v30, 7, v30
	v_cmp_gt_u32_e32 vcc, 8, v28
	v_cndmask_b32_e32 v14, v29, v14, vcc
	v_cndmask_b32_e32 v16, v16, v30, vcc
	v_lshlrev_b32_e32 v28, 16, v17
	v_bfrev_b32_e32 v29, 60
	v_lshlrev_b32_e32 v16, 20, v16
	v_and_b32_e32 v28, 0x80000000, v28
	v_lshl_add_u32 v14, v14, 23, v29
	v_or3_b32 v14, v28, v14, v16
	v_lshrrev_b32_e32 v16, 16, v14
.LBB872_483:
	s_or_b64 exec, exec, s[10:11]
.LBB872_484:
	s_or_b64 exec, exec, s[8:9]
.LBB872_485:
	s_or_b64 exec, exec, s[2:3]
	s_movk_i32 s2, 0xff
	v_and_b32_sdwa v30, v17, s2 dst_sel:DWORD dst_unused:UNUSED_PAD src0_sel:WORD_1 src1_sel:DWORD
	v_lshrrev_b32_e32 v14, 16, v17
	v_cmp_ne_u16_e32 vcc, 0, v30
	v_mov_b32_e32 v28, 0
	v_mov_b32_e32 v29, 0
	s_and_saveexec_b64 s[2:3], vcc
	s_cbranch_execz .LBB872_491
; %bb.486:
	s_movk_i32 s7, 0x80
	v_cmp_ne_u16_e32 vcc, s7, v30
	v_mov_b32_e32 v29, 0xffff8000
	s_and_saveexec_b64 s[8:9], vcc
	s_cbranch_execz .LBB872_490
; %bb.487:
	v_bfe_u32 v30, v17, 16, 7
	s_movk_i32 s7, 0x7f
	v_cmp_ne_u32_e32 vcc, s7, v30
	v_mov_b32_e32 v29, 0x7f80
	s_and_saveexec_b64 s[10:11], vcc
	s_cbranch_execz .LBB872_489
; %bb.488:
	v_and_b32_e32 v29, 7, v14
	v_ffbh_u32_e32 v32, v29
	v_min_u32_e32 v34, 32, v32
	v_subrev_u32_e32 v32, 28, v34
	v_lshlrev_b64 v[32:33], v32, v[14:15]
	v_lshrrev_b32_e32 v31, 3, v30
	v_sub_u32_e32 v14, 29, v34
	v_and_b32_e32 v32, 7, v32
	v_cmp_gt_u32_e32 vcc, 8, v30
	v_mov_b32_e32 v30, 24
	v_cndmask_b32_e32 v14, v31, v14, vcc
	v_cndmask_b32_e32 v29, v29, v32, vcc
	v_lshlrev_b32_sdwa v30, v30, v17 dst_sel:DWORD dst_unused:UNUSED_PAD src0_sel:DWORD src1_sel:WORD_1
	v_bfrev_b32_e32 v31, 60
	v_lshlrev_b32_e32 v29, 20, v29
	v_and_b32_e32 v30, 0x80000000, v30
	v_lshl_add_u32 v14, v14, 23, v31
	v_or3_b32 v14, v30, v14, v29
	v_lshrrev_b32_e32 v29, 16, v14
.LBB872_489:
	s_or_b64 exec, exec, s[10:11]
.LBB872_490:
	s_or_b64 exec, exec, s[8:9]
.LBB872_491:
	s_or_b64 exec, exec, s[2:3]
	s_mov_b32 s2, 0xffffff
	v_cmp_lt_u32_e32 vcc, s2, v17
	s_and_saveexec_b64 s[2:3], vcc
	s_cbranch_execz .LBB872_497
; %bb.492:
	v_lshrrev_b32_e32 v14, 24, v17
	s_movk_i32 s7, 0x80
	v_cmp_ne_u32_e32 vcc, s7, v14
	v_mov_b32_e32 v28, 0xffff8000
	s_and_saveexec_b64 s[8:9], vcc
	s_cbranch_execz .LBB872_496
; %bb.493:
	v_bfe_u32 v17, v17, 24, 7
	s_movk_i32 s7, 0x7f
	v_cmp_ne_u32_e32 vcc, s7, v17
	v_mov_b32_e32 v28, 0x7f80
	s_and_saveexec_b64 s[10:11], vcc
	s_cbranch_execz .LBB872_495
; %bb.494:
	v_and_b32_e32 v28, 7, v14
	v_ffbh_u32_e32 v30, v28
	v_min_u32_e32 v33, 32, v30
	v_subrev_u32_e32 v30, 28, v33
	v_lshlrev_b64 v[30:31], v30, v[14:15]
	v_lshrrev_b32_e32 v32, 3, v17
	v_sub_u32_e32 v31, 29, v33
	v_and_b32_e32 v30, 7, v30
	v_cmp_gt_u32_e32 vcc, 8, v17
	v_cndmask_b32_e32 v17, v32, v31, vcc
	v_cndmask_b32_e32 v28, v28, v30, vcc
	v_lshlrev_b32_e32 v14, 24, v14
	v_bfrev_b32_e32 v30, 60
	v_lshlrev_b32_e32 v28, 20, v28
	v_and_b32_e32 v14, 0x80000000, v14
	v_lshl_add_u32 v17, v17, 23, v30
	v_or3_b32 v14, v14, v17, v28
	v_lshrrev_b32_e32 v28, 16, v14
.LBB872_495:
	s_or_b64 exec, exec, s[10:11]
.LBB872_496:
	s_or_b64 exec, exec, s[8:9]
.LBB872_497:
	s_or_b64 exec, exec, s[2:3]
	s_mov_b32 s2, 0x5040100
	v_perm_b32 v25, v24, v25, s2
	v_perm_b32 v24, v15, v23, s2
	ds_read_b128 v[30:33], v22 offset:16
	v_perm_b32 v15, v28, v29, s2
	v_perm_b32 v14, v16, v27, s2
	s_waitcnt lgkmcnt(0)
	v_mfma_f32_16x16x16bf16_1k v[34:37], v[24:25], v[30:31], v[18:21]
	s_nop 6
	v_mov_b32_e32 v19, 0
	s_waitcnt vmcnt(2)
	v_cmp_ne_u16_sdwa s[8:9], v10, v19 src0_sel:BYTE_0 src1_sel:DWORD
	v_mfma_f32_16x16x16bf16_1k v[14:17], v[14:15], v[32:33], v[34:37]
	v_mov_b32_e32 v20, 0
	s_and_saveexec_b64 s[2:3], s[8:9]
	s_cbranch_execz .LBB872_503
; %bb.498:
	s_movk_i32 s7, 0x80
	v_cmp_ne_u16_sdwa s[10:11], v10, s7 src0_sel:BYTE_0 src1_sel:DWORD
	v_mov_b32_e32 v20, 0xffff8000
	s_and_saveexec_b64 s[8:9], s[10:11]
	s_cbranch_execz .LBB872_502
; %bb.499:
	s_movk_i32 s7, 0x7f
	v_and_b32_e32 v18, 0x7f, v10
	v_cmp_ne_u32_e32 vcc, s7, v18
	v_mov_b32_e32 v20, 0x7f80
	s_and_saveexec_b64 s[10:11], vcc
	s_cbranch_execz .LBB872_501
; %bb.500:
	v_and_b32_e32 v23, 7, v10
	v_ffbh_u32_e32 v20, v23
	v_min_u32_e32 v25, 32, v20
	v_subrev_u32_e32 v20, 28, v25
	v_lshlrev_b64 v[20:21], v20, v[10:11]
	v_lshrrev_b32_e32 v24, 3, v18
	v_sub_u32_e32 v21, 29, v25
	v_and_b32_e32 v20, 7, v20
	v_cmp_gt_u32_e32 vcc, 8, v18
	v_cndmask_b32_e32 v18, v24, v21, vcc
	v_cndmask_b32_e32 v20, v23, v20, vcc
	v_lshlrev_b32_e32 v21, 24, v10
	v_bfrev_b32_e32 v23, 60
	v_lshlrev_b32_e32 v20, 20, v20
	v_and_b32_e32 v21, 0x80000000, v21
	v_lshl_add_u32 v18, v18, 23, v23
	v_or3_b32 v18, v21, v18, v20
	v_lshrrev_b32_e32 v20, 16, v18
.LBB872_501:
	s_or_b64 exec, exec, s[10:11]
.LBB872_502:
	s_or_b64 exec, exec, s[8:9]
.LBB872_503:
	s_or_b64 exec, exec, s[2:3]
	v_lshrrev_b16_e32 v18, 8, v10
	v_cmp_ne_u16_e32 vcc, 0, v18
	s_and_saveexec_b64 s[2:3], vcc
	s_cbranch_execz .LBB872_509
; %bb.504:
	s_movk_i32 s7, 0x80
	v_cmp_ne_u16_e32 vcc, s7, v18
	v_mov_b32_e32 v19, 0xffff8000
	s_and_saveexec_b64 s[8:9], vcc
	s_cbranch_execz .LBB872_508
; %bb.505:
	s_movk_i32 s7, 0x7f
	v_and_b32_e32 v21, 0x7f, v18
	v_cmp_ne_u32_e32 vcc, s7, v21
	v_mov_b32_e32 v19, 0x7f80
	s_and_saveexec_b64 s[10:11], vcc
	s_cbranch_execz .LBB872_507
; %bb.506:
	v_and_b32_e32 v23, 7, v18
	v_ffbh_u32_e32 v19, v23
	v_min_u32_e32 v25, 32, v19
	v_subrev_u32_e32 v19, 28, v25
	v_lshlrev_b64 v[18:19], v19, v[18:19]
	v_lshrrev_b32_e32 v24, 3, v21
	v_sub_u32_e32 v19, 29, v25
	v_and_b32_e32 v18, 7, v18
	v_cmp_gt_u32_e32 vcc, 8, v21
	v_cndmask_b32_e32 v19, v24, v19, vcc
	v_cndmask_b32_e32 v18, v23, v18, vcc
	v_lshlrev_b32_e32 v21, 16, v10
	v_bfrev_b32_e32 v23, 60
	v_lshlrev_b32_e32 v18, 20, v18
	v_and_b32_e32 v21, 0x80000000, v21
	v_lshl_add_u32 v19, v19, 23, v23
	v_or3_b32 v18, v21, v19, v18
	v_lshrrev_b32_e32 v19, 16, v18
.LBB872_507:
	s_or_b64 exec, exec, s[10:11]
.LBB872_508:
	s_or_b64 exec, exec, s[8:9]
.LBB872_509:
	s_or_b64 exec, exec, s[2:3]
	s_movk_i32 s2, 0xff
	v_and_b32_sdwa v24, v10, s2 dst_sel:DWORD dst_unused:UNUSED_PAD src0_sel:WORD_1 src1_sel:DWORD
	v_lshrrev_b32_e32 v18, 16, v10
	v_cmp_ne_u16_e32 vcc, 0, v24
	v_mov_b32_e32 v21, 0
	v_mov_b32_e32 v23, 0
	s_and_saveexec_b64 s[2:3], vcc
	s_cbranch_execz .LBB872_515
; %bb.510:
	s_movk_i32 s7, 0x80
	v_cmp_ne_u16_e32 vcc, s7, v24
	v_mov_b32_e32 v23, 0xffff8000
	s_and_saveexec_b64 s[8:9], vcc
	s_cbranch_execz .LBB872_514
; %bb.511:
	v_bfe_u32 v24, v10, 16, 7
	s_movk_i32 s7, 0x7f
	v_cmp_ne_u32_e32 vcc, s7, v24
	v_mov_b32_e32 v23, 0x7f80
	s_and_saveexec_b64 s[10:11], vcc
	s_cbranch_execz .LBB872_513
; %bb.512:
	v_and_b32_e32 v23, 7, v18
	v_ffbh_u32_e32 v27, v23
	v_min_u32_e32 v27, 32, v27
	v_subrev_u32_e32 v28, 28, v27
	v_lshlrev_b64 v[28:29], v28, v[18:19]
	v_lshrrev_b32_e32 v25, 3, v24
	v_sub_u32_e32 v18, 29, v27
	v_and_b32_e32 v27, 7, v28
	v_cmp_gt_u32_e32 vcc, 8, v24
	v_mov_b32_e32 v24, 24
	v_cndmask_b32_e32 v18, v25, v18, vcc
	v_cndmask_b32_e32 v23, v23, v27, vcc
	v_lshlrev_b32_sdwa v24, v24, v10 dst_sel:DWORD dst_unused:UNUSED_PAD src0_sel:DWORD src1_sel:WORD_1
	v_bfrev_b32_e32 v25, 60
	v_lshlrev_b32_e32 v23, 20, v23
	v_and_b32_e32 v24, 0x80000000, v24
	v_lshl_add_u32 v18, v18, 23, v25
	v_or3_b32 v18, v24, v18, v23
	v_lshrrev_b32_e32 v23, 16, v18
.LBB872_513:
	s_or_b64 exec, exec, s[10:11]
.LBB872_514:
	s_or_b64 exec, exec, s[8:9]
.LBB872_515:
	s_or_b64 exec, exec, s[2:3]
	s_mov_b32 s2, 0xffffff
	v_cmp_lt_u32_e32 vcc, s2, v10
	s_and_saveexec_b64 s[2:3], vcc
	s_cbranch_execz .LBB872_521
; %bb.516:
	v_lshrrev_b32_e32 v18, 24, v10
	s_movk_i32 s7, 0x80
	v_cmp_ne_u32_e32 vcc, s7, v18
	v_mov_b32_e32 v21, 0xffff8000
	s_and_saveexec_b64 s[8:9], vcc
	s_cbranch_execz .LBB872_520
; %bb.517:
	v_bfe_u32 v10, v10, 24, 7
	s_movk_i32 s7, 0x7f
	v_cmp_ne_u32_e32 vcc, s7, v10
	v_mov_b32_e32 v21, 0x7f80
	s_and_saveexec_b64 s[10:11], vcc
	s_cbranch_execz .LBB872_519
; %bb.518:
	v_and_b32_e32 v21, 7, v18
	v_ffbh_u32_e32 v24, v21
	v_min_u32_e32 v28, 32, v24
	v_subrev_u32_e32 v24, 28, v28
	v_lshlrev_b64 v[24:25], v24, v[18:19]
	v_lshrrev_b32_e32 v27, 3, v10
	v_sub_u32_e32 v25, 29, v28
	v_and_b32_e32 v24, 7, v24
	v_cmp_gt_u32_e32 vcc, 8, v10
	v_cndmask_b32_e32 v10, v27, v25, vcc
	v_cndmask_b32_e32 v21, v21, v24, vcc
	v_lshlrev_b32_e32 v18, 24, v18
	v_bfrev_b32_e32 v24, 60
	v_lshlrev_b32_e32 v21, 20, v21
	v_and_b32_e32 v18, 0x80000000, v18
	v_lshl_add_u32 v10, v10, 23, v24
	v_or3_b32 v10, v18, v10, v21
	v_lshrrev_b32_e32 v21, 16, v10
.LBB872_519:
	s_or_b64 exec, exec, s[10:11]
.LBB872_520:
	s_or_b64 exec, exec, s[8:9]
.LBB872_521:
	s_or_b64 exec, exec, s[2:3]
	v_mov_b32_e32 v18, 0
	v_cmp_ne_u16_sdwa s[8:9], v11, v18 src0_sel:BYTE_0 src1_sel:DWORD
	v_mov_b32_e32 v24, 0
	s_and_saveexec_b64 s[2:3], s[8:9]
	s_cbranch_execz .LBB872_527
; %bb.522:
	s_movk_i32 s7, 0x80
	v_cmp_ne_u16_sdwa s[10:11], v11, s7 src0_sel:BYTE_0 src1_sel:DWORD
	v_mov_b32_e32 v24, 0xffff8000
	s_and_saveexec_b64 s[8:9], s[10:11]
	s_cbranch_execz .LBB872_526
; %bb.523:
	s_movk_i32 s7, 0x7f
	v_and_b32_e32 v10, 0x7f, v11
	v_cmp_ne_u32_e32 vcc, s7, v10
	v_mov_b32_e32 v24, 0x7f80
	s_and_saveexec_b64 s[10:11], vcc
	s_cbranch_execz .LBB872_525
; %bb.524:
	v_and_b32_e32 v27, 7, v11
	v_ffbh_u32_e32 v25, v27
	v_min_u32_e32 v29, 32, v25
	v_mov_b32_e32 v24, v11
	v_subrev_u32_e32 v25, 28, v29
	v_lshlrev_b64 v[24:25], v25, v[24:25]
	v_lshrrev_b32_e32 v28, 3, v10
	v_sub_u32_e32 v25, 29, v29
	v_and_b32_e32 v24, 7, v24
	v_cmp_gt_u32_e32 vcc, 8, v10
	v_cndmask_b32_e32 v10, v28, v25, vcc
	v_cndmask_b32_e32 v24, v27, v24, vcc
	v_lshlrev_b32_e32 v25, 24, v11
	v_bfrev_b32_e32 v27, 60
	v_lshlrev_b32_e32 v24, 20, v24
	v_and_b32_e32 v25, 0x80000000, v25
	v_lshl_add_u32 v10, v10, 23, v27
	v_or3_b32 v10, v25, v10, v24
	v_lshrrev_b32_e32 v24, 16, v10
.LBB872_525:
	s_or_b64 exec, exec, s[10:11]
.LBB872_526:
	s_or_b64 exec, exec, s[8:9]
.LBB872_527:
	s_or_b64 exec, exec, s[2:3]
	v_lshrrev_b16_e32 v10, 8, v11
	v_cmp_ne_u16_e32 vcc, 0, v10
	s_and_saveexec_b64 s[2:3], vcc
	s_cbranch_execz .LBB872_533
; %bb.528:
	s_movk_i32 s7, 0x80
	v_cmp_ne_u16_e32 vcc, s7, v10
	v_mov_b32_e32 v18, 0xffff8000
	s_and_saveexec_b64 s[8:9], vcc
	s_cbranch_execz .LBB872_532
; %bb.529:
	s_movk_i32 s7, 0x7f
	v_and_b32_e32 v25, 0x7f, v10
	v_cmp_ne_u32_e32 vcc, s7, v25
	v_mov_b32_e32 v18, 0x7f80
	s_and_saveexec_b64 s[10:11], vcc
	s_cbranch_execz .LBB872_531
; %bb.530:
	v_and_b32_e32 v18, 7, v10
	v_ffbh_u32_e32 v28, v18
	v_min_u32_e32 v30, 32, v28
	v_subrev_u32_e32 v28, 28, v30
	v_lshlrev_b64 v[28:29], v28, v[10:11]
	v_lshrrev_b32_e32 v27, 3, v25
	v_sub_u32_e32 v10, 29, v30
	v_and_b32_e32 v28, 7, v28
	v_cmp_gt_u32_e32 vcc, 8, v25
	v_cndmask_b32_e32 v10, v27, v10, vcc
	v_cndmask_b32_e32 v18, v18, v28, vcc
	v_lshlrev_b32_e32 v25, 16, v11
	v_bfrev_b32_e32 v27, 60
	v_lshlrev_b32_e32 v18, 20, v18
	v_and_b32_e32 v25, 0x80000000, v25
	v_lshl_add_u32 v10, v10, 23, v27
	v_or3_b32 v10, v25, v10, v18
	v_lshrrev_b32_e32 v18, 16, v10
.LBB872_531:
	s_or_b64 exec, exec, s[10:11]
.LBB872_532:
	s_or_b64 exec, exec, s[8:9]
.LBB872_533:
	s_or_b64 exec, exec, s[2:3]
	s_movk_i32 s2, 0xff
	v_and_b32_sdwa v28, v11, s2 dst_sel:DWORD dst_unused:UNUSED_PAD src0_sel:WORD_1 src1_sel:DWORD
	v_lshrrev_b32_e32 v10, 16, v11
	v_cmp_ne_u16_e32 vcc, 0, v28
	v_mov_b32_e32 v25, 0
	v_mov_b32_e32 v27, 0
	s_and_saveexec_b64 s[2:3], vcc
	s_cbranch_execz .LBB872_539
; %bb.534:
	s_movk_i32 s7, 0x80
	v_cmp_ne_u16_e32 vcc, s7, v28
	v_mov_b32_e32 v27, 0xffff8000
	s_and_saveexec_b64 s[8:9], vcc
	s_cbranch_execz .LBB872_538
; %bb.535:
	v_bfe_u32 v28, v11, 16, 7
	s_movk_i32 s7, 0x7f
	v_cmp_ne_u32_e32 vcc, s7, v28
	v_mov_b32_e32 v27, 0x7f80
	s_and_saveexec_b64 s[10:11], vcc
	s_cbranch_execz .LBB872_537
; %bb.536:
	v_and_b32_e32 v27, 7, v10
	v_ffbh_u32_e32 v30, v27
	v_min_u32_e32 v32, 32, v30
	v_subrev_u32_e32 v30, 28, v32
	v_lshlrev_b64 v[30:31], v30, v[10:11]
	v_lshrrev_b32_e32 v29, 3, v28
	v_sub_u32_e32 v10, 29, v32
	v_and_b32_e32 v30, 7, v30
	v_cmp_gt_u32_e32 vcc, 8, v28
	v_mov_b32_e32 v28, 24
	v_cndmask_b32_e32 v10, v29, v10, vcc
	v_cndmask_b32_e32 v27, v27, v30, vcc
	v_lshlrev_b32_sdwa v28, v28, v11 dst_sel:DWORD dst_unused:UNUSED_PAD src0_sel:DWORD src1_sel:WORD_1
	v_bfrev_b32_e32 v29, 60
	v_lshlrev_b32_e32 v27, 20, v27
	v_and_b32_e32 v28, 0x80000000, v28
	v_lshl_add_u32 v10, v10, 23, v29
	v_or3_b32 v10, v28, v10, v27
	v_lshrrev_b32_e32 v27, 16, v10
.LBB872_537:
	s_or_b64 exec, exec, s[10:11]
.LBB872_538:
	s_or_b64 exec, exec, s[8:9]
.LBB872_539:
	s_or_b64 exec, exec, s[2:3]
	s_mov_b32 s2, 0xffffff
	v_cmp_lt_u32_e32 vcc, s2, v11
	s_and_saveexec_b64 s[2:3], vcc
	s_cbranch_execz .LBB872_545
; %bb.540:
	v_lshrrev_b32_e32 v10, 24, v11
	s_movk_i32 s7, 0x80
	v_cmp_ne_u32_e32 vcc, s7, v10
	v_mov_b32_e32 v25, 0xffff8000
	s_and_saveexec_b64 s[8:9], vcc
	s_cbranch_execz .LBB872_544
; %bb.541:
	v_bfe_u32 v11, v11, 24, 7
	s_movk_i32 s7, 0x7f
	v_cmp_ne_u32_e32 vcc, s7, v11
	v_mov_b32_e32 v25, 0x7f80
	s_and_saveexec_b64 s[10:11], vcc
	s_cbranch_execz .LBB872_543
; %bb.542:
	v_and_b32_e32 v25, 7, v10
	v_ffbh_u32_e32 v28, v25
	v_min_u32_e32 v31, 32, v28
	v_subrev_u32_e32 v28, 28, v31
	v_lshlrev_b64 v[28:29], v28, v[10:11]
	v_lshrrev_b32_e32 v30, 3, v11
	v_sub_u32_e32 v29, 29, v31
	v_and_b32_e32 v28, 7, v28
	v_cmp_gt_u32_e32 vcc, 8, v11
	v_cndmask_b32_e32 v11, v30, v29, vcc
	v_cndmask_b32_e32 v25, v25, v28, vcc
	v_lshlrev_b32_e32 v10, 24, v10
	v_bfrev_b32_e32 v28, 60
	v_lshlrev_b32_e32 v25, 20, v25
	v_and_b32_e32 v10, 0x80000000, v10
	v_lshl_add_u32 v11, v11, 23, v28
	v_or3_b32 v10, v10, v11, v25
	v_lshrrev_b32_e32 v25, 16, v10
.LBB872_543:
	s_or_b64 exec, exec, s[10:11]
.LBB872_544:
	s_or_b64 exec, exec, s[8:9]
.LBB872_545:
	s_or_b64 exec, exec, s[2:3]
	s_mov_b32 s2, 0x5040100
	v_perm_b32 v11, v21, v23, s2
	v_perm_b32 v10, v19, v20, s2
	ds_read_b128 v[28:31], v22 offset:2048
	v_perm_b32 v21, v25, v27, s2
	v_perm_b32 v20, v18, v24, s2
	s_waitcnt lgkmcnt(0)
	v_mfma_f32_16x16x16bf16_1k v[14:17], v[10:11], v[28:29], v[14:17]
	v_mov_b32_e32 v11, 0
	v_cmp_ne_u16_sdwa s[8:9], v12, v11 src0_sel:BYTE_0 src1_sel:DWORD
	v_mov_b32_e32 v18, 0
	v_mfma_f32_16x16x16bf16_1k v[14:17], v[20:21], v[30:31], v[14:17]
	s_and_saveexec_b64 s[2:3], s[8:9]
	s_cbranch_execz .LBB872_551
; %bb.546:
	s_movk_i32 s7, 0x80
	v_cmp_ne_u16_sdwa s[10:11], v12, s7 src0_sel:BYTE_0 src1_sel:DWORD
	v_mov_b32_e32 v18, 0xffff8000
	s_and_saveexec_b64 s[8:9], s[10:11]
	s_cbranch_execz .LBB872_550
; %bb.547:
	s_movk_i32 s7, 0x7f
	v_and_b32_e32 v10, 0x7f, v12
	v_cmp_ne_u32_e32 vcc, s7, v10
	v_mov_b32_e32 v18, 0x7f80
	s_and_saveexec_b64 s[10:11], vcc
	s_cbranch_execz .LBB872_549
; %bb.548:
	v_and_b32_e32 v20, 7, v12
	v_ffbh_u32_e32 v18, v20
	v_min_u32_e32 v23, 32, v18
	v_subrev_u32_e32 v18, 28, v23
	v_lshlrev_b64 v[18:19], v18, v[12:13]
	v_lshrrev_b32_e32 v21, 3, v10
	v_sub_u32_e32 v19, 29, v23
	v_and_b32_e32 v18, 7, v18
	v_cmp_gt_u32_e32 vcc, 8, v10
	v_cndmask_b32_e32 v10, v21, v19, vcc
	v_cndmask_b32_e32 v18, v20, v18, vcc
	v_lshlrev_b32_e32 v19, 24, v12
	v_bfrev_b32_e32 v20, 60
	v_lshlrev_b32_e32 v18, 20, v18
	v_and_b32_e32 v19, 0x80000000, v19
	v_lshl_add_u32 v10, v10, 23, v20
	v_or3_b32 v10, v19, v10, v18
	v_lshrrev_b32_e32 v18, 16, v10
.LBB872_549:
	s_or_b64 exec, exec, s[10:11]
.LBB872_550:
	s_or_b64 exec, exec, s[8:9]
.LBB872_551:
	s_or_b64 exec, exec, s[2:3]
	v_lshrrev_b16_e32 v10, 8, v12
	v_cmp_ne_u16_e32 vcc, 0, v10
	s_and_saveexec_b64 s[2:3], vcc
	s_cbranch_execz .LBB872_557
; %bb.552:
	s_movk_i32 s7, 0x80
	v_cmp_ne_u16_e32 vcc, s7, v10
	v_mov_b32_e32 v11, 0xffff8000
	s_and_saveexec_b64 s[8:9], vcc
	s_cbranch_execz .LBB872_556
; %bb.553:
	s_movk_i32 s7, 0x7f
	v_and_b32_e32 v19, 0x7f, v10
	v_cmp_ne_u32_e32 vcc, s7, v19
	v_mov_b32_e32 v11, 0x7f80
	s_and_saveexec_b64 s[10:11], vcc
	s_cbranch_execz .LBB872_555
; %bb.554:
	v_and_b32_e32 v20, 7, v10
	v_ffbh_u32_e32 v11, v20
	v_min_u32_e32 v23, 32, v11
	v_subrev_u32_e32 v11, 28, v23
	v_lshlrev_b64 v[10:11], v11, v[10:11]
	v_lshrrev_b32_e32 v21, 3, v19
	v_sub_u32_e32 v11, 29, v23
	v_and_b32_e32 v10, 7, v10
	v_cmp_gt_u32_e32 vcc, 8, v19
	v_cndmask_b32_e32 v11, v21, v11, vcc
	v_cndmask_b32_e32 v10, v20, v10, vcc
	v_lshlrev_b32_e32 v19, 16, v12
	v_bfrev_b32_e32 v20, 60
	v_lshlrev_b32_e32 v10, 20, v10
	v_and_b32_e32 v19, 0x80000000, v19
	v_lshl_add_u32 v11, v11, 23, v20
	v_or3_b32 v10, v19, v11, v10
	v_lshrrev_b32_e32 v11, 16, v10
.LBB872_555:
	s_or_b64 exec, exec, s[10:11]
.LBB872_556:
	s_or_b64 exec, exec, s[8:9]
.LBB872_557:
	s_or_b64 exec, exec, s[2:3]
	s_movk_i32 s2, 0xff
	v_and_b32_sdwa v21, v12, s2 dst_sel:DWORD dst_unused:UNUSED_PAD src0_sel:WORD_1 src1_sel:DWORD
	v_lshrrev_b32_e32 v10, 16, v12
	v_cmp_ne_u16_e32 vcc, 0, v21
	v_mov_b32_e32 v19, 0
	v_mov_b32_e32 v20, 0
	s_and_saveexec_b64 s[2:3], vcc
	s_cbranch_execz .LBB872_563
; %bb.558:
	s_movk_i32 s7, 0x80
	v_cmp_ne_u16_e32 vcc, s7, v21
	v_mov_b32_e32 v20, 0xffff8000
	s_and_saveexec_b64 s[8:9], vcc
	s_cbranch_execz .LBB872_562
; %bb.559:
	v_bfe_u32 v21, v12, 16, 7
	s_movk_i32 s7, 0x7f
	v_cmp_ne_u32_e32 vcc, s7, v21
	v_mov_b32_e32 v20, 0x7f80
	s_and_saveexec_b64 s[10:11], vcc
	s_cbranch_execz .LBB872_561
; %bb.560:
	v_and_b32_e32 v20, 7, v10
	v_ffbh_u32_e32 v24, v20
	v_min_u32_e32 v27, 32, v24
	v_subrev_u32_e32 v24, 28, v27
	v_lshlrev_b64 v[24:25], v24, v[10:11]
	v_lshrrev_b32_e32 v23, 3, v21
	v_sub_u32_e32 v10, 29, v27
	v_and_b32_e32 v24, 7, v24
	v_cmp_gt_u32_e32 vcc, 8, v21
	v_mov_b32_e32 v21, 24
	v_cndmask_b32_e32 v10, v23, v10, vcc
	v_cndmask_b32_e32 v20, v20, v24, vcc
	v_lshlrev_b32_sdwa v21, v21, v12 dst_sel:DWORD dst_unused:UNUSED_PAD src0_sel:DWORD src1_sel:WORD_1
	v_bfrev_b32_e32 v23, 60
	v_lshlrev_b32_e32 v20, 20, v20
	v_and_b32_e32 v21, 0x80000000, v21
	v_lshl_add_u32 v10, v10, 23, v23
	v_or3_b32 v10, v21, v10, v20
	v_lshrrev_b32_e32 v20, 16, v10
.LBB872_561:
	s_or_b64 exec, exec, s[10:11]
.LBB872_562:
	s_or_b64 exec, exec, s[8:9]
.LBB872_563:
	s_or_b64 exec, exec, s[2:3]
	s_mov_b32 s2, 0xffffff
	v_cmp_lt_u32_e32 vcc, s2, v12
	s_and_saveexec_b64 s[2:3], vcc
	s_cbranch_execz .LBB872_569
; %bb.564:
	v_lshrrev_b32_e32 v10, 24, v12
	s_movk_i32 s7, 0x80
	v_cmp_ne_u32_e32 vcc, s7, v10
	v_mov_b32_e32 v19, 0xffff8000
	s_and_saveexec_b64 s[8:9], vcc
	s_cbranch_execz .LBB872_568
; %bb.565:
	v_bfe_u32 v12, v12, 24, 7
	s_movk_i32 s7, 0x7f
	v_cmp_ne_u32_e32 vcc, s7, v12
	v_mov_b32_e32 v19, 0x7f80
	s_and_saveexec_b64 s[10:11], vcc
	s_cbranch_execz .LBB872_567
; %bb.566:
	v_and_b32_e32 v19, 7, v10
	v_ffbh_u32_e32 v23, v19
	v_min_u32_e32 v23, 32, v23
	v_subrev_u32_e32 v24, 28, v23
	v_lshlrev_b64 v[24:25], v24, v[10:11]
	v_lshrrev_b32_e32 v21, 3, v12
	v_sub_u32_e32 v23, 29, v23
	v_and_b32_e32 v24, 7, v24
	v_cmp_gt_u32_e32 vcc, 8, v12
	v_cndmask_b32_e32 v12, v21, v23, vcc
	v_cndmask_b32_e32 v19, v19, v24, vcc
	v_lshlrev_b32_e32 v10, 24, v10
	v_bfrev_b32_e32 v21, 60
	v_lshlrev_b32_e32 v19, 20, v19
	v_and_b32_e32 v10, 0x80000000, v10
	v_lshl_add_u32 v12, v12, 23, v21
	v_or3_b32 v10, v10, v12, v19
	v_lshrrev_b32_e32 v19, 16, v10
.LBB872_567:
	s_or_b64 exec, exec, s[10:11]
.LBB872_568:
	s_or_b64 exec, exec, s[8:9]
.LBB872_569:
	s_or_b64 exec, exec, s[2:3]
	v_mov_b32_e32 v12, 0
	v_cmp_ne_u16_sdwa s[8:9], v13, v12 src0_sel:BYTE_0 src1_sel:DWORD
	v_mov_b32_e32 v21, 0
	s_and_saveexec_b64 s[2:3], s[8:9]
	s_cbranch_execz .LBB872_575
; %bb.570:
	s_movk_i32 s7, 0x80
	v_cmp_ne_u16_sdwa s[10:11], v13, s7 src0_sel:BYTE_0 src1_sel:DWORD
	v_mov_b32_e32 v21, 0xffff8000
	s_and_saveexec_b64 s[8:9], s[10:11]
	s_cbranch_execz .LBB872_574
; %bb.571:
	s_movk_i32 s7, 0x7f
	v_and_b32_e32 v10, 0x7f, v13
	v_cmp_ne_u32_e32 vcc, s7, v10
	v_mov_b32_e32 v21, 0x7f80
	s_and_saveexec_b64 s[10:11], vcc
	s_cbranch_execz .LBB872_573
; %bb.572:
	v_and_b32_e32 v21, 7, v13
	v_ffbh_u32_e32 v25, v21
	v_min_u32_e32 v27, 32, v25
	v_mov_b32_e32 v24, v13
	v_subrev_u32_e32 v25, 28, v27
	v_lshlrev_b64 v[24:25], v25, v[24:25]
	v_lshrrev_b32_e32 v23, 3, v10
	v_sub_u32_e32 v25, 29, v27
	v_and_b32_e32 v24, 7, v24
	v_cmp_gt_u32_e32 vcc, 8, v10
	v_cndmask_b32_e32 v10, v23, v25, vcc
	v_cndmask_b32_e32 v21, v21, v24, vcc
	v_lshlrev_b32_e32 v23, 24, v13
	v_bfrev_b32_e32 v24, 60
	v_lshlrev_b32_e32 v21, 20, v21
	v_and_b32_e32 v23, 0x80000000, v23
	v_lshl_add_u32 v10, v10, 23, v24
	v_or3_b32 v10, v23, v10, v21
	v_lshrrev_b32_e32 v21, 16, v10
.LBB872_573:
	s_or_b64 exec, exec, s[10:11]
.LBB872_574:
	s_or_b64 exec, exec, s[8:9]
.LBB872_575:
	s_or_b64 exec, exec, s[2:3]
	v_lshrrev_b16_e32 v10, 8, v13
	v_cmp_ne_u16_e32 vcc, 0, v10
	s_and_saveexec_b64 s[2:3], vcc
	s_cbranch_execz .LBB872_581
; %bb.576:
	s_movk_i32 s7, 0x80
	v_cmp_ne_u16_e32 vcc, s7, v10
	v_mov_b32_e32 v12, 0xffff8000
	s_and_saveexec_b64 s[8:9], vcc
	s_cbranch_execz .LBB872_580
; %bb.577:
	s_movk_i32 s7, 0x7f
	v_and_b32_e32 v23, 0x7f, v10
	v_cmp_ne_u32_e32 vcc, s7, v23
	v_mov_b32_e32 v12, 0x7f80
	s_and_saveexec_b64 s[10:11], vcc
	s_cbranch_execz .LBB872_579
; %bb.578:
	v_and_b32_e32 v12, 7, v10
	v_ffbh_u32_e32 v24, v12
	v_min_u32_e32 v28, 32, v24
	v_subrev_u32_e32 v24, 28, v28
	v_lshlrev_b64 v[24:25], v24, v[10:11]
	v_lshrrev_b32_e32 v27, 3, v23
	v_sub_u32_e32 v10, 29, v28
	v_and_b32_e32 v24, 7, v24
	v_cmp_gt_u32_e32 vcc, 8, v23
	v_cndmask_b32_e32 v10, v27, v10, vcc
	v_cndmask_b32_e32 v12, v12, v24, vcc
	v_lshlrev_b32_e32 v23, 16, v13
	v_bfrev_b32_e32 v24, 60
	v_lshlrev_b32_e32 v12, 20, v12
	v_and_b32_e32 v23, 0x80000000, v23
	v_lshl_add_u32 v10, v10, 23, v24
	v_or3_b32 v10, v23, v10, v12
	v_lshrrev_b32_e32 v12, 16, v10
.LBB872_579:
	s_or_b64 exec, exec, s[10:11]
.LBB872_580:
	s_or_b64 exec, exec, s[8:9]
.LBB872_581:
	s_or_b64 exec, exec, s[2:3]
	s_movk_i32 s2, 0xff
	v_and_b32_sdwa v25, v13, s2 dst_sel:DWORD dst_unused:UNUSED_PAD src0_sel:WORD_1 src1_sel:DWORD
	v_lshrrev_b32_e32 v10, 16, v13
	v_cmp_ne_u16_e32 vcc, 0, v25
	v_mov_b32_e32 v23, 0
	v_mov_b32_e32 v24, 0
	s_and_saveexec_b64 s[2:3], vcc
	s_cbranch_execz .LBB872_587
; %bb.582:
	s_movk_i32 s7, 0x80
	v_cmp_ne_u16_e32 vcc, s7, v25
	v_mov_b32_e32 v24, 0xffff8000
	s_and_saveexec_b64 s[8:9], vcc
	s_cbranch_execz .LBB872_586
; %bb.583:
	v_bfe_u32 v25, v13, 16, 7
	s_movk_i32 s7, 0x7f
	v_cmp_ne_u32_e32 vcc, s7, v25
	v_mov_b32_e32 v24, 0x7f80
	s_and_saveexec_b64 s[10:11], vcc
	s_cbranch_execz .LBB872_585
; %bb.584:
	v_and_b32_e32 v24, 7, v10
	v_ffbh_u32_e32 v28, v24
	v_min_u32_e32 v30, 32, v28
	v_subrev_u32_e32 v28, 28, v30
	v_lshlrev_b64 v[28:29], v28, v[10:11]
	v_lshrrev_b32_e32 v27, 3, v25
	v_sub_u32_e32 v10, 29, v30
	v_and_b32_e32 v28, 7, v28
	v_cmp_gt_u32_e32 vcc, 8, v25
	v_mov_b32_e32 v25, 24
	v_cndmask_b32_e32 v10, v27, v10, vcc
	v_cndmask_b32_e32 v24, v24, v28, vcc
	v_lshlrev_b32_sdwa v25, v25, v13 dst_sel:DWORD dst_unused:UNUSED_PAD src0_sel:DWORD src1_sel:WORD_1
	v_bfrev_b32_e32 v27, 60
	v_lshlrev_b32_e32 v24, 20, v24
	v_and_b32_e32 v25, 0x80000000, v25
	v_lshl_add_u32 v10, v10, 23, v27
	v_or3_b32 v10, v25, v10, v24
	v_lshrrev_b32_e32 v24, 16, v10
.LBB872_585:
	s_or_b64 exec, exec, s[10:11]
.LBB872_586:
	s_or_b64 exec, exec, s[8:9]
.LBB872_587:
	s_or_b64 exec, exec, s[2:3]
	s_mov_b32 s2, 0xffffff
	v_cmp_lt_u32_e32 vcc, s2, v13
	s_and_saveexec_b64 s[2:3], vcc
	s_cbranch_execz .LBB872_593
; %bb.588:
	v_lshrrev_b32_e32 v10, 24, v13
	s_movk_i32 s7, 0x80
	v_cmp_ne_u32_e32 vcc, s7, v10
	v_mov_b32_e32 v23, 0xffff8000
	s_and_saveexec_b64 s[8:9], vcc
	s_cbranch_execz .LBB872_592
; %bb.589:
	v_bfe_u32 v13, v13, 24, 7
	s_movk_i32 s7, 0x7f
	v_cmp_ne_u32_e32 vcc, s7, v13
	v_mov_b32_e32 v23, 0x7f80
	s_and_saveexec_b64 s[10:11], vcc
	s_cbranch_execz .LBB872_591
; %bb.590:
	v_and_b32_e32 v23, 7, v10
	v_ffbh_u32_e32 v27, v23
	v_min_u32_e32 v27, 32, v27
	v_subrev_u32_e32 v28, 28, v27
	v_lshlrev_b64 v[28:29], v28, v[10:11]
	v_lshrrev_b32_e32 v25, 3, v13
	v_sub_u32_e32 v27, 29, v27
	v_and_b32_e32 v28, 7, v28
	v_cmp_gt_u32_e32 vcc, 8, v13
	v_cndmask_b32_e32 v13, v25, v27, vcc
	v_cndmask_b32_e32 v23, v23, v28, vcc
	v_lshlrev_b32_e32 v10, 24, v10
	v_bfrev_b32_e32 v25, 60
	v_lshlrev_b32_e32 v23, 20, v23
	v_and_b32_e32 v10, 0x80000000, v10
	v_lshl_add_u32 v13, v13, 23, v25
	v_or3_b32 v10, v10, v13, v23
	v_lshrrev_b32_e32 v23, 16, v10
.LBB872_591:
	s_or_b64 exec, exec, s[10:11]
.LBB872_592:
	s_or_b64 exec, exec, s[8:9]
.LBB872_593:
	s_or_b64 exec, exec, s[2:3]
	s_mov_b32 s2, 0x5040100
	v_perm_b32 v19, v19, v20, s2
	v_perm_b32 v18, v11, v18, s2
	ds_read_b128 v[28:31], v22 offset:2064
	v_perm_b32 v11, v23, v24, s2
	v_perm_b32 v10, v12, v21, s2
	s_waitcnt lgkmcnt(0)
	v_mfma_f32_16x16x16bf16_1k v[32:35], v[18:19], v[28:29], v[14:17]
	s_nop 6
	v_mov_b32_e32 v15, 0
	s_waitcnt vmcnt(1)
	v_cmp_ne_u16_sdwa s[8:9], v6, v15 src0_sel:BYTE_0 src1_sel:DWORD
	v_mfma_f32_16x16x16bf16_1k v[10:13], v[10:11], v[30:31], v[32:35]
	v_mov_b32_e32 v16, 0
	s_and_saveexec_b64 s[2:3], s[8:9]
	s_cbranch_execz .LBB872_599
; %bb.594:
	s_movk_i32 s7, 0x80
	v_cmp_ne_u16_sdwa s[10:11], v6, s7 src0_sel:BYTE_0 src1_sel:DWORD
	v_mov_b32_e32 v16, 0xffff8000
	s_and_saveexec_b64 s[8:9], s[10:11]
	s_cbranch_execz .LBB872_598
; %bb.595:
	s_movk_i32 s7, 0x7f
	v_and_b32_e32 v14, 0x7f, v6
	v_cmp_ne_u32_e32 vcc, s7, v14
	v_mov_b32_e32 v16, 0x7f80
	s_and_saveexec_b64 s[10:11], vcc
	s_cbranch_execz .LBB872_597
; %bb.596:
	v_and_b32_e32 v18, 7, v6
	v_ffbh_u32_e32 v16, v18
	v_min_u32_e32 v20, 32, v16
	v_subrev_u32_e32 v16, 28, v20
	v_lshlrev_b64 v[16:17], v16, v[6:7]
	v_lshrrev_b32_e32 v19, 3, v14
	v_sub_u32_e32 v17, 29, v20
	v_and_b32_e32 v16, 7, v16
	v_cmp_gt_u32_e32 vcc, 8, v14
	v_cndmask_b32_e32 v14, v19, v17, vcc
	v_cndmask_b32_e32 v16, v18, v16, vcc
	v_lshlrev_b32_e32 v17, 24, v6
	v_bfrev_b32_e32 v18, 60
	v_lshlrev_b32_e32 v16, 20, v16
	v_and_b32_e32 v17, 0x80000000, v17
	v_lshl_add_u32 v14, v14, 23, v18
	v_or3_b32 v14, v17, v14, v16
	v_lshrrev_b32_e32 v16, 16, v14
.LBB872_597:
	s_or_b64 exec, exec, s[10:11]
.LBB872_598:
	s_or_b64 exec, exec, s[8:9]
.LBB872_599:
	s_or_b64 exec, exec, s[2:3]
	v_lshrrev_b16_e32 v14, 8, v6
	v_cmp_ne_u16_e32 vcc, 0, v14
	s_and_saveexec_b64 s[2:3], vcc
	s_cbranch_execz .LBB872_605
; %bb.600:
	s_movk_i32 s7, 0x80
	v_cmp_ne_u16_e32 vcc, s7, v14
	v_mov_b32_e32 v15, 0xffff8000
	s_and_saveexec_b64 s[8:9], vcc
	s_cbranch_execz .LBB872_604
; %bb.601:
	s_movk_i32 s7, 0x7f
	v_and_b32_e32 v17, 0x7f, v14
	v_cmp_ne_u32_e32 vcc, s7, v17
	v_mov_b32_e32 v15, 0x7f80
	s_and_saveexec_b64 s[10:11], vcc
	s_cbranch_execz .LBB872_603
; %bb.602:
	v_and_b32_e32 v18, 7, v14
	v_ffbh_u32_e32 v15, v18
	v_min_u32_e32 v20, 32, v15
	v_subrev_u32_e32 v15, 28, v20
	v_lshlrev_b64 v[14:15], v15, v[14:15]
	v_lshrrev_b32_e32 v19, 3, v17
	v_sub_u32_e32 v15, 29, v20
	v_and_b32_e32 v14, 7, v14
	v_cmp_gt_u32_e32 vcc, 8, v17
	v_cndmask_b32_e32 v15, v19, v15, vcc
	v_cndmask_b32_e32 v14, v18, v14, vcc
	v_lshlrev_b32_e32 v17, 16, v6
	v_bfrev_b32_e32 v18, 60
	v_lshlrev_b32_e32 v14, 20, v14
	v_and_b32_e32 v17, 0x80000000, v17
	v_lshl_add_u32 v15, v15, 23, v18
	v_or3_b32 v14, v17, v15, v14
	v_lshrrev_b32_e32 v15, 16, v14
.LBB872_603:
	s_or_b64 exec, exec, s[10:11]
.LBB872_604:
	s_or_b64 exec, exec, s[8:9]
.LBB872_605:
	s_or_b64 exec, exec, s[2:3]
	s_movk_i32 s2, 0xff
	v_and_b32_sdwa v19, v6, s2 dst_sel:DWORD dst_unused:UNUSED_PAD src0_sel:WORD_1 src1_sel:DWORD
	v_lshrrev_b32_e32 v14, 16, v6
	v_cmp_ne_u16_e32 vcc, 0, v19
	v_mov_b32_e32 v17, 0
	v_mov_b32_e32 v18, 0
	s_and_saveexec_b64 s[2:3], vcc
	s_cbranch_execz .LBB872_611
; %bb.606:
	s_movk_i32 s7, 0x80
	v_cmp_ne_u16_e32 vcc, s7, v19
	v_mov_b32_e32 v18, 0xffff8000
	s_and_saveexec_b64 s[8:9], vcc
	s_cbranch_execz .LBB872_610
; %bb.607:
	v_bfe_u32 v19, v6, 16, 7
	s_movk_i32 s7, 0x7f
	v_cmp_ne_u32_e32 vcc, s7, v19
	v_mov_b32_e32 v18, 0x7f80
	s_and_saveexec_b64 s[10:11], vcc
	s_cbranch_execz .LBB872_609
; %bb.608:
	v_and_b32_e32 v18, 7, v14
	v_ffbh_u32_e32 v20, v18
	v_min_u32_e32 v24, 32, v20
	v_subrev_u32_e32 v20, 28, v24
	v_lshlrev_b64 v[20:21], v20, v[14:15]
	v_lshrrev_b32_e32 v23, 3, v19
	v_sub_u32_e32 v14, 29, v24
	v_and_b32_e32 v20, 7, v20
	v_cmp_gt_u32_e32 vcc, 8, v19
	v_mov_b32_e32 v19, 24
	v_cndmask_b32_e32 v14, v23, v14, vcc
	v_cndmask_b32_e32 v18, v18, v20, vcc
	v_lshlrev_b32_sdwa v19, v19, v6 dst_sel:DWORD dst_unused:UNUSED_PAD src0_sel:DWORD src1_sel:WORD_1
	v_bfrev_b32_e32 v20, 60
	v_lshlrev_b32_e32 v18, 20, v18
	v_and_b32_e32 v19, 0x80000000, v19
	v_lshl_add_u32 v14, v14, 23, v20
	v_or3_b32 v14, v19, v14, v18
	v_lshrrev_b32_e32 v18, 16, v14
.LBB872_609:
	s_or_b64 exec, exec, s[10:11]
.LBB872_610:
	s_or_b64 exec, exec, s[8:9]
.LBB872_611:
	s_or_b64 exec, exec, s[2:3]
	s_mov_b32 s2, 0xffffff
	v_cmp_lt_u32_e32 vcc, s2, v6
	s_and_saveexec_b64 s[2:3], vcc
	s_cbranch_execz .LBB872_617
; %bb.612:
	v_lshrrev_b32_e32 v14, 24, v6
	s_movk_i32 s7, 0x80
	v_cmp_ne_u32_e32 vcc, s7, v14
	v_mov_b32_e32 v17, 0xffff8000
	s_and_saveexec_b64 s[8:9], vcc
	s_cbranch_execz .LBB872_616
; %bb.613:
	v_bfe_u32 v6, v6, 24, 7
	s_movk_i32 s7, 0x7f
	v_cmp_ne_u32_e32 vcc, s7, v6
	v_mov_b32_e32 v17, 0x7f80
	s_and_saveexec_b64 s[10:11], vcc
	s_cbranch_execz .LBB872_615
; %bb.614:
	v_and_b32_e32 v17, 7, v14
	v_ffbh_u32_e32 v20, v17
	v_min_u32_e32 v23, 32, v20
	v_subrev_u32_e32 v20, 28, v23
	v_lshlrev_b64 v[20:21], v20, v[14:15]
	v_lshrrev_b32_e32 v19, 3, v6
	v_sub_u32_e32 v21, 29, v23
	v_and_b32_e32 v20, 7, v20
	v_cmp_gt_u32_e32 vcc, 8, v6
	v_cndmask_b32_e32 v6, v19, v21, vcc
	v_cndmask_b32_e32 v17, v17, v20, vcc
	v_lshlrev_b32_e32 v14, 24, v14
	v_bfrev_b32_e32 v19, 60
	v_lshlrev_b32_e32 v17, 20, v17
	v_and_b32_e32 v14, 0x80000000, v14
	v_lshl_add_u32 v6, v6, 23, v19
	v_or3_b32 v6, v14, v6, v17
	v_lshrrev_b32_e32 v17, 16, v6
.LBB872_615:
	s_or_b64 exec, exec, s[10:11]
.LBB872_616:
	s_or_b64 exec, exec, s[8:9]
.LBB872_617:
	s_or_b64 exec, exec, s[2:3]
	v_mov_b32_e32 v14, 0
	v_cmp_ne_u16_sdwa s[8:9], v7, v14 src0_sel:BYTE_0 src1_sel:DWORD
	v_mov_b32_e32 v19, 0
	s_and_saveexec_b64 s[2:3], s[8:9]
	s_cbranch_execz .LBB872_623
; %bb.618:
	s_movk_i32 s7, 0x80
	v_cmp_ne_u16_sdwa s[10:11], v7, s7 src0_sel:BYTE_0 src1_sel:DWORD
	v_mov_b32_e32 v19, 0xffff8000
	s_and_saveexec_b64 s[8:9], s[10:11]
	s_cbranch_execz .LBB872_622
; %bb.619:
	s_movk_i32 s7, 0x7f
	v_and_b32_e32 v6, 0x7f, v7
	v_cmp_ne_u32_e32 vcc, s7, v6
	v_mov_b32_e32 v19, 0x7f80
	s_and_saveexec_b64 s[10:11], vcc
	s_cbranch_execz .LBB872_621
; %bb.620:
	v_and_b32_e32 v19, 7, v7
	v_ffbh_u32_e32 v21, v19
	v_min_u32_e32 v24, 32, v21
	v_mov_b32_e32 v20, v7
	v_subrev_u32_e32 v21, 28, v24
	v_lshlrev_b64 v[20:21], v21, v[20:21]
	v_lshrrev_b32_e32 v23, 3, v6
	v_sub_u32_e32 v21, 29, v24
	v_and_b32_e32 v20, 7, v20
	v_cmp_gt_u32_e32 vcc, 8, v6
	v_cndmask_b32_e32 v6, v23, v21, vcc
	v_cndmask_b32_e32 v19, v19, v20, vcc
	v_lshlrev_b32_e32 v20, 24, v7
	v_bfrev_b32_e32 v21, 60
	v_lshlrev_b32_e32 v19, 20, v19
	v_and_b32_e32 v20, 0x80000000, v20
	v_lshl_add_u32 v6, v6, 23, v21
	v_or3_b32 v6, v20, v6, v19
	v_lshrrev_b32_e32 v19, 16, v6
.LBB872_621:
	s_or_b64 exec, exec, s[10:11]
.LBB872_622:
	s_or_b64 exec, exec, s[8:9]
.LBB872_623:
	s_or_b64 exec, exec, s[2:3]
	v_lshrrev_b16_e32 v6, 8, v7
	v_cmp_ne_u16_e32 vcc, 0, v6
	s_and_saveexec_b64 s[2:3], vcc
	s_cbranch_execz .LBB872_629
; %bb.624:
	s_movk_i32 s7, 0x80
	v_cmp_ne_u16_e32 vcc, s7, v6
	v_mov_b32_e32 v14, 0xffff8000
	s_and_saveexec_b64 s[8:9], vcc
	s_cbranch_execz .LBB872_628
; %bb.625:
	s_movk_i32 s7, 0x7f
	v_and_b32_e32 v20, 0x7f, v6
	v_cmp_ne_u32_e32 vcc, s7, v20
	v_mov_b32_e32 v14, 0x7f80
	s_and_saveexec_b64 s[10:11], vcc
	s_cbranch_execz .LBB872_627
; %bb.626:
	v_and_b32_e32 v14, 7, v6
	v_ffbh_u32_e32 v23, v14
	v_min_u32_e32 v23, 32, v23
	v_subrev_u32_e32 v24, 28, v23
	v_lshlrev_b64 v[24:25], v24, v[6:7]
	v_lshrrev_b32_e32 v21, 3, v20
	v_sub_u32_e32 v6, 29, v23
	v_and_b32_e32 v23, 7, v24
	v_cmp_gt_u32_e32 vcc, 8, v20
	v_cndmask_b32_e32 v6, v21, v6, vcc
	v_cndmask_b32_e32 v14, v14, v23, vcc
	v_lshlrev_b32_e32 v20, 16, v7
	v_bfrev_b32_e32 v21, 60
	v_lshlrev_b32_e32 v14, 20, v14
	v_and_b32_e32 v20, 0x80000000, v20
	v_lshl_add_u32 v6, v6, 23, v21
	v_or3_b32 v6, v20, v6, v14
	v_lshrrev_b32_e32 v14, 16, v6
.LBB872_627:
	s_or_b64 exec, exec, s[10:11]
.LBB872_628:
	s_or_b64 exec, exec, s[8:9]
.LBB872_629:
	s_or_b64 exec, exec, s[2:3]
	s_movk_i32 s2, 0xff
	v_and_b32_sdwa v23, v7, s2 dst_sel:DWORD dst_unused:UNUSED_PAD src0_sel:WORD_1 src1_sel:DWORD
	v_lshrrev_b32_e32 v6, 16, v7
	v_cmp_ne_u16_e32 vcc, 0, v23
	v_mov_b32_e32 v20, 0
	v_mov_b32_e32 v21, 0
	s_and_saveexec_b64 s[2:3], vcc
	s_cbranch_execz .LBB872_635
; %bb.630:
	s_movk_i32 s7, 0x80
	v_cmp_ne_u16_e32 vcc, s7, v23
	v_mov_b32_e32 v21, 0xffff8000
	s_and_saveexec_b64 s[8:9], vcc
	s_cbranch_execz .LBB872_634
; %bb.631:
	v_bfe_u32 v23, v7, 16, 7
	s_movk_i32 s7, 0x7f
	v_cmp_ne_u32_e32 vcc, s7, v23
	v_mov_b32_e32 v21, 0x7f80
	s_and_saveexec_b64 s[10:11], vcc
	s_cbranch_execz .LBB872_633
; %bb.632:
	v_and_b32_e32 v21, 7, v6
	v_ffbh_u32_e32 v24, v21
	v_min_u32_e32 v28, 32, v24
	v_subrev_u32_e32 v24, 28, v28
	v_lshlrev_b64 v[24:25], v24, v[6:7]
	v_lshrrev_b32_e32 v27, 3, v23
	v_sub_u32_e32 v6, 29, v28
	v_and_b32_e32 v24, 7, v24
	v_cmp_gt_u32_e32 vcc, 8, v23
	v_mov_b32_e32 v23, 24
	v_cndmask_b32_e32 v6, v27, v6, vcc
	v_cndmask_b32_e32 v21, v21, v24, vcc
	v_lshlrev_b32_sdwa v23, v23, v7 dst_sel:DWORD dst_unused:UNUSED_PAD src0_sel:DWORD src1_sel:WORD_1
	v_bfrev_b32_e32 v24, 60
	v_lshlrev_b32_e32 v21, 20, v21
	v_and_b32_e32 v23, 0x80000000, v23
	v_lshl_add_u32 v6, v6, 23, v24
	v_or3_b32 v6, v23, v6, v21
	v_lshrrev_b32_e32 v21, 16, v6
.LBB872_633:
	s_or_b64 exec, exec, s[10:11]
.LBB872_634:
	s_or_b64 exec, exec, s[8:9]
.LBB872_635:
	s_or_b64 exec, exec, s[2:3]
	s_mov_b32 s2, 0xffffff
	v_cmp_lt_u32_e32 vcc, s2, v7
	s_and_saveexec_b64 s[2:3], vcc
	s_cbranch_execz .LBB872_641
; %bb.636:
	v_lshrrev_b32_e32 v6, 24, v7
	s_movk_i32 s7, 0x80
	v_cmp_ne_u32_e32 vcc, s7, v6
	v_mov_b32_e32 v20, 0xffff8000
	s_and_saveexec_b64 s[8:9], vcc
	s_cbranch_execz .LBB872_640
; %bb.637:
	v_bfe_u32 v7, v7, 24, 7
	s_movk_i32 s7, 0x7f
	v_cmp_ne_u32_e32 vcc, s7, v7
	v_mov_b32_e32 v20, 0x7f80
	s_and_saveexec_b64 s[10:11], vcc
	s_cbranch_execz .LBB872_639
; %bb.638:
	v_and_b32_e32 v20, 7, v6
	v_ffbh_u32_e32 v24, v20
	v_min_u32_e32 v27, 32, v24
	v_subrev_u32_e32 v24, 28, v27
	v_lshlrev_b64 v[24:25], v24, v[6:7]
	v_lshrrev_b32_e32 v23, 3, v7
	v_sub_u32_e32 v25, 29, v27
	v_and_b32_e32 v24, 7, v24
	v_cmp_gt_u32_e32 vcc, 8, v7
	v_cndmask_b32_e32 v7, v23, v25, vcc
	v_cndmask_b32_e32 v20, v20, v24, vcc
	v_lshlrev_b32_e32 v6, 24, v6
	v_bfrev_b32_e32 v23, 60
	v_lshlrev_b32_e32 v20, 20, v20
	v_and_b32_e32 v6, 0x80000000, v6
	v_lshl_add_u32 v7, v7, 23, v23
	v_or3_b32 v6, v6, v7, v20
	v_lshrrev_b32_e32 v20, 16, v6
.LBB872_639:
	s_or_b64 exec, exec, s[10:11]
.LBB872_640:
	s_or_b64 exec, exec, s[8:9]
.LBB872_641:
	s_or_b64 exec, exec, s[2:3]
	s_mov_b32 s2, 0x5040100
	v_perm_b32 v7, v17, v18, s2
	v_perm_b32 v6, v15, v16, s2
	ds_read_b128 v[28:31], v22 offset:4096
	v_perm_b32 v17, v20, v21, s2
	v_perm_b32 v16, v14, v19, s2
	s_waitcnt lgkmcnt(0)
	v_mfma_f32_16x16x16bf16_1k v[10:13], v[6:7], v[28:29], v[10:13]
	v_mov_b32_e32 v7, 0
	v_cmp_ne_u16_sdwa s[8:9], v8, v7 src0_sel:BYTE_0 src1_sel:DWORD
	v_mov_b32_e32 v14, 0
	v_mfma_f32_16x16x16bf16_1k v[10:13], v[16:17], v[30:31], v[10:13]
	s_and_saveexec_b64 s[2:3], s[8:9]
	s_cbranch_execz .LBB872_647
; %bb.642:
	s_movk_i32 s7, 0x80
	v_cmp_ne_u16_sdwa s[10:11], v8, s7 src0_sel:BYTE_0 src1_sel:DWORD
	v_mov_b32_e32 v14, 0xffff8000
	s_and_saveexec_b64 s[8:9], s[10:11]
	s_cbranch_execz .LBB872_646
; %bb.643:
	s_movk_i32 s7, 0x7f
	v_and_b32_e32 v6, 0x7f, v8
	v_cmp_ne_u32_e32 vcc, s7, v6
	v_mov_b32_e32 v14, 0x7f80
	s_and_saveexec_b64 s[10:11], vcc
	s_cbranch_execz .LBB872_645
; %bb.644:
	v_and_b32_e32 v16, 7, v8
	v_ffbh_u32_e32 v14, v16
	v_min_u32_e32 v18, 32, v14
	v_subrev_u32_e32 v14, 28, v18
	v_lshlrev_b64 v[14:15], v14, v[8:9]
	v_lshrrev_b32_e32 v17, 3, v6
	v_sub_u32_e32 v15, 29, v18
	v_and_b32_e32 v14, 7, v14
	v_cmp_gt_u32_e32 vcc, 8, v6
	v_cndmask_b32_e32 v6, v17, v15, vcc
	v_cndmask_b32_e32 v14, v16, v14, vcc
	v_lshlrev_b32_e32 v15, 24, v8
	v_bfrev_b32_e32 v16, 60
	v_lshlrev_b32_e32 v14, 20, v14
	v_and_b32_e32 v15, 0x80000000, v15
	v_lshl_add_u32 v6, v6, 23, v16
	v_or3_b32 v6, v15, v6, v14
	v_lshrrev_b32_e32 v14, 16, v6
.LBB872_645:
	s_or_b64 exec, exec, s[10:11]
.LBB872_646:
	s_or_b64 exec, exec, s[8:9]
.LBB872_647:
	s_or_b64 exec, exec, s[2:3]
	v_lshrrev_b16_e32 v6, 8, v8
	v_cmp_ne_u16_e32 vcc, 0, v6
	s_and_saveexec_b64 s[2:3], vcc
	s_cbranch_execz .LBB872_653
; %bb.648:
	s_movk_i32 s7, 0x80
	v_cmp_ne_u16_e32 vcc, s7, v6
	v_mov_b32_e32 v7, 0xffff8000
	s_and_saveexec_b64 s[8:9], vcc
	s_cbranch_execz .LBB872_652
; %bb.649:
	s_movk_i32 s7, 0x7f
	v_and_b32_e32 v15, 0x7f, v6
	v_cmp_ne_u32_e32 vcc, s7, v15
	v_mov_b32_e32 v7, 0x7f80
	s_and_saveexec_b64 s[10:11], vcc
	s_cbranch_execz .LBB872_651
; %bb.650:
	v_and_b32_e32 v16, 7, v6
	v_ffbh_u32_e32 v7, v16
	v_min_u32_e32 v18, 32, v7
	v_subrev_u32_e32 v7, 28, v18
	v_lshlrev_b64 v[6:7], v7, v[6:7]
	v_lshrrev_b32_e32 v17, 3, v15
	v_sub_u32_e32 v7, 29, v18
	v_and_b32_e32 v6, 7, v6
	v_cmp_gt_u32_e32 vcc, 8, v15
	v_cndmask_b32_e32 v7, v17, v7, vcc
	v_cndmask_b32_e32 v6, v16, v6, vcc
	v_lshlrev_b32_e32 v15, 16, v8
	v_bfrev_b32_e32 v16, 60
	v_lshlrev_b32_e32 v6, 20, v6
	v_and_b32_e32 v15, 0x80000000, v15
	v_lshl_add_u32 v7, v7, 23, v16
	v_or3_b32 v6, v15, v7, v6
	v_lshrrev_b32_e32 v7, 16, v6
.LBB872_651:
	s_or_b64 exec, exec, s[10:11]
.LBB872_652:
	s_or_b64 exec, exec, s[8:9]
.LBB872_653:
	s_or_b64 exec, exec, s[2:3]
	s_movk_i32 s2, 0xff
	v_and_b32_sdwa v17, v8, s2 dst_sel:DWORD dst_unused:UNUSED_PAD src0_sel:WORD_1 src1_sel:DWORD
	v_lshrrev_b32_e32 v6, 16, v8
	v_cmp_ne_u16_e32 vcc, 0, v17
	v_mov_b32_e32 v15, 0
	v_mov_b32_e32 v16, 0
	s_and_saveexec_b64 s[2:3], vcc
	s_cbranch_execz .LBB872_659
; %bb.654:
	s_movk_i32 s7, 0x80
	v_cmp_ne_u16_e32 vcc, s7, v17
	v_mov_b32_e32 v16, 0xffff8000
	s_and_saveexec_b64 s[8:9], vcc
	s_cbranch_execz .LBB872_658
; %bb.655:
	v_bfe_u32 v17, v8, 16, 7
	s_movk_i32 s7, 0x7f
	v_cmp_ne_u32_e32 vcc, s7, v17
	v_mov_b32_e32 v16, 0x7f80
	s_and_saveexec_b64 s[10:11], vcc
	s_cbranch_execz .LBB872_657
; %bb.656:
	v_and_b32_e32 v16, 7, v6
	v_ffbh_u32_e32 v18, v16
	v_min_u32_e32 v21, 32, v18
	v_subrev_u32_e32 v18, 28, v21
	v_lshlrev_b64 v[18:19], v18, v[6:7]
	v_lshrrev_b32_e32 v20, 3, v17
	v_sub_u32_e32 v6, 29, v21
	v_and_b32_e32 v18, 7, v18
	v_cmp_gt_u32_e32 vcc, 8, v17
	v_mov_b32_e32 v17, 24
	v_cndmask_b32_e32 v6, v20, v6, vcc
	v_cndmask_b32_e32 v16, v16, v18, vcc
	v_lshlrev_b32_sdwa v17, v17, v8 dst_sel:DWORD dst_unused:UNUSED_PAD src0_sel:DWORD src1_sel:WORD_1
	v_bfrev_b32_e32 v18, 60
	v_lshlrev_b32_e32 v16, 20, v16
	v_and_b32_e32 v17, 0x80000000, v17
	v_lshl_add_u32 v6, v6, 23, v18
	v_or3_b32 v6, v17, v6, v16
	v_lshrrev_b32_e32 v16, 16, v6
.LBB872_657:
	s_or_b64 exec, exec, s[10:11]
.LBB872_658:
	s_or_b64 exec, exec, s[8:9]
.LBB872_659:
	s_or_b64 exec, exec, s[2:3]
	s_mov_b32 s2, 0xffffff
	v_cmp_lt_u32_e32 vcc, s2, v8
	s_and_saveexec_b64 s[2:3], vcc
	s_cbranch_execz .LBB872_665
; %bb.660:
	v_lshrrev_b32_e32 v6, 24, v8
	s_movk_i32 s7, 0x80
	v_cmp_ne_u32_e32 vcc, s7, v6
	v_mov_b32_e32 v15, 0xffff8000
	s_and_saveexec_b64 s[8:9], vcc
	s_cbranch_execz .LBB872_664
; %bb.661:
	v_bfe_u32 v8, v8, 24, 7
	s_movk_i32 s7, 0x7f
	v_cmp_ne_u32_e32 vcc, s7, v8
	v_mov_b32_e32 v15, 0x7f80
	s_and_saveexec_b64 s[10:11], vcc
	s_cbranch_execz .LBB872_663
; %bb.662:
	v_and_b32_e32 v15, 7, v6
	v_ffbh_u32_e32 v18, v15
	v_min_u32_e32 v20, 32, v18
	v_subrev_u32_e32 v18, 28, v20
	v_lshlrev_b64 v[18:19], v18, v[6:7]
	v_lshrrev_b32_e32 v17, 3, v8
	v_sub_u32_e32 v19, 29, v20
	v_and_b32_e32 v18, 7, v18
	v_cmp_gt_u32_e32 vcc, 8, v8
	v_cndmask_b32_e32 v8, v17, v19, vcc
	v_cndmask_b32_e32 v15, v15, v18, vcc
	v_lshlrev_b32_e32 v6, 24, v6
	v_bfrev_b32_e32 v17, 60
	v_lshlrev_b32_e32 v15, 20, v15
	v_and_b32_e32 v6, 0x80000000, v6
	v_lshl_add_u32 v8, v8, 23, v17
	v_or3_b32 v6, v6, v8, v15
	v_lshrrev_b32_e32 v15, 16, v6
.LBB872_663:
	s_or_b64 exec, exec, s[10:11]
.LBB872_664:
	s_or_b64 exec, exec, s[8:9]
.LBB872_665:
	s_or_b64 exec, exec, s[2:3]
	v_mov_b32_e32 v8, 0
	v_cmp_ne_u16_sdwa s[8:9], v9, v8 src0_sel:BYTE_0 src1_sel:DWORD
	v_mov_b32_e32 v17, 0
	s_and_saveexec_b64 s[2:3], s[8:9]
	s_cbranch_execz .LBB872_671
; %bb.666:
	s_movk_i32 s7, 0x80
	v_cmp_ne_u16_sdwa s[10:11], v9, s7 src0_sel:BYTE_0 src1_sel:DWORD
	v_mov_b32_e32 v17, 0xffff8000
	s_and_saveexec_b64 s[8:9], s[10:11]
	s_cbranch_execz .LBB872_670
; %bb.667:
	s_movk_i32 s7, 0x7f
	v_and_b32_e32 v6, 0x7f, v9
	v_cmp_ne_u32_e32 vcc, s7, v6
	v_mov_b32_e32 v17, 0x7f80
	s_and_saveexec_b64 s[10:11], vcc
	s_cbranch_execz .LBB872_669
; %bb.668:
	v_and_b32_e32 v17, 7, v9
	v_ffbh_u32_e32 v19, v17
	v_min_u32_e32 v21, 32, v19
	v_mov_b32_e32 v18, v9
	v_subrev_u32_e32 v19, 28, v21
	v_lshlrev_b64 v[18:19], v19, v[18:19]
	v_lshrrev_b32_e32 v20, 3, v6
	v_sub_u32_e32 v19, 29, v21
	v_and_b32_e32 v18, 7, v18
	v_cmp_gt_u32_e32 vcc, 8, v6
	v_cndmask_b32_e32 v6, v20, v19, vcc
	v_cndmask_b32_e32 v17, v17, v18, vcc
	v_lshlrev_b32_e32 v18, 24, v9
	v_bfrev_b32_e32 v19, 60
	v_lshlrev_b32_e32 v17, 20, v17
	v_and_b32_e32 v18, 0x80000000, v18
	v_lshl_add_u32 v6, v6, 23, v19
	v_or3_b32 v6, v18, v6, v17
	v_lshrrev_b32_e32 v17, 16, v6
.LBB872_669:
	s_or_b64 exec, exec, s[10:11]
.LBB872_670:
	s_or_b64 exec, exec, s[8:9]
.LBB872_671:
	s_or_b64 exec, exec, s[2:3]
	v_lshrrev_b16_e32 v6, 8, v9
	v_cmp_ne_u16_e32 vcc, 0, v6
	s_and_saveexec_b64 s[2:3], vcc
	s_cbranch_execz .LBB872_677
; %bb.672:
	s_movk_i32 s7, 0x80
	v_cmp_ne_u16_e32 vcc, s7, v6
	v_mov_b32_e32 v8, 0xffff8000
	s_and_saveexec_b64 s[8:9], vcc
	s_cbranch_execz .LBB872_676
; %bb.673:
	s_movk_i32 s7, 0x7f
	v_and_b32_e32 v18, 0x7f, v6
	v_cmp_ne_u32_e32 vcc, s7, v18
	v_mov_b32_e32 v8, 0x7f80
	s_and_saveexec_b64 s[10:11], vcc
	s_cbranch_execz .LBB872_675
; %bb.674:
	v_and_b32_e32 v8, 7, v6
	v_ffbh_u32_e32 v20, v8
	v_min_u32_e32 v23, 32, v20
	v_subrev_u32_e32 v20, 28, v23
	v_lshlrev_b64 v[20:21], v20, v[6:7]
	v_lshrrev_b32_e32 v19, 3, v18
	v_sub_u32_e32 v6, 29, v23
	v_and_b32_e32 v20, 7, v20
	v_cmp_gt_u32_e32 vcc, 8, v18
	v_cndmask_b32_e32 v6, v19, v6, vcc
	v_cndmask_b32_e32 v8, v8, v20, vcc
	v_lshlrev_b32_e32 v18, 16, v9
	v_bfrev_b32_e32 v19, 60
	v_lshlrev_b32_e32 v8, 20, v8
	v_and_b32_e32 v18, 0x80000000, v18
	v_lshl_add_u32 v6, v6, 23, v19
	v_or3_b32 v6, v18, v6, v8
	v_lshrrev_b32_e32 v8, 16, v6
.LBB872_675:
	s_or_b64 exec, exec, s[10:11]
.LBB872_676:
	s_or_b64 exec, exec, s[8:9]
.LBB872_677:
	s_or_b64 exec, exec, s[2:3]
	s_movk_i32 s2, 0xff
	v_and_b32_sdwa v20, v9, s2 dst_sel:DWORD dst_unused:UNUSED_PAD src0_sel:WORD_1 src1_sel:DWORD
	v_lshrrev_b32_e32 v6, 16, v9
	v_cmp_ne_u16_e32 vcc, 0, v20
	v_mov_b32_e32 v18, 0
	v_mov_b32_e32 v19, 0
	s_and_saveexec_b64 s[2:3], vcc
	s_cbranch_execz .LBB872_683
; %bb.678:
	s_movk_i32 s7, 0x80
	v_cmp_ne_u16_e32 vcc, s7, v20
	v_mov_b32_e32 v19, 0xffff8000
	s_and_saveexec_b64 s[8:9], vcc
	s_cbranch_execz .LBB872_682
; %bb.679:
	v_bfe_u32 v20, v9, 16, 7
	s_movk_i32 s7, 0x7f
	v_cmp_ne_u32_e32 vcc, s7, v20
	v_mov_b32_e32 v19, 0x7f80
	s_and_saveexec_b64 s[10:11], vcc
	s_cbranch_execz .LBB872_681
; %bb.680:
	v_and_b32_e32 v19, 7, v6
	v_ffbh_u32_e32 v23, v19
	v_min_u32_e32 v23, 32, v23
	v_subrev_u32_e32 v24, 28, v23
	v_lshlrev_b64 v[24:25], v24, v[6:7]
	v_lshrrev_b32_e32 v21, 3, v20
	v_sub_u32_e32 v6, 29, v23
	v_and_b32_e32 v23, 7, v24
	v_cmp_gt_u32_e32 vcc, 8, v20
	v_mov_b32_e32 v20, 24
	v_cndmask_b32_e32 v6, v21, v6, vcc
	v_cndmask_b32_e32 v19, v19, v23, vcc
	v_lshlrev_b32_sdwa v20, v20, v9 dst_sel:DWORD dst_unused:UNUSED_PAD src0_sel:DWORD src1_sel:WORD_1
	v_bfrev_b32_e32 v21, 60
	v_lshlrev_b32_e32 v19, 20, v19
	v_and_b32_e32 v20, 0x80000000, v20
	v_lshl_add_u32 v6, v6, 23, v21
	v_or3_b32 v6, v20, v6, v19
	v_lshrrev_b32_e32 v19, 16, v6
.LBB872_681:
	s_or_b64 exec, exec, s[10:11]
.LBB872_682:
	s_or_b64 exec, exec, s[8:9]
.LBB872_683:
	s_or_b64 exec, exec, s[2:3]
	s_mov_b32 s2, 0xffffff
	v_cmp_lt_u32_e32 vcc, s2, v9
	s_and_saveexec_b64 s[2:3], vcc
	s_cbranch_execz .LBB872_689
; %bb.684:
	v_lshrrev_b32_e32 v6, 24, v9
	s_movk_i32 s7, 0x80
	v_cmp_ne_u32_e32 vcc, s7, v6
	v_mov_b32_e32 v18, 0xffff8000
	s_and_saveexec_b64 s[8:9], vcc
	s_cbranch_execz .LBB872_688
; %bb.685:
	v_bfe_u32 v9, v9, 24, 7
	s_movk_i32 s7, 0x7f
	v_cmp_ne_u32_e32 vcc, s7, v9
	v_mov_b32_e32 v18, 0x7f80
	s_and_saveexec_b64 s[10:11], vcc
	s_cbranch_execz .LBB872_687
; %bb.686:
	v_and_b32_e32 v18, 7, v6
	v_ffbh_u32_e32 v20, v18
	v_min_u32_e32 v24, 32, v20
	v_subrev_u32_e32 v20, 28, v24
	v_lshlrev_b64 v[20:21], v20, v[6:7]
	v_lshrrev_b32_e32 v23, 3, v9
	v_sub_u32_e32 v21, 29, v24
	v_and_b32_e32 v20, 7, v20
	v_cmp_gt_u32_e32 vcc, 8, v9
	v_cndmask_b32_e32 v9, v23, v21, vcc
	v_cndmask_b32_e32 v18, v18, v20, vcc
	v_lshlrev_b32_e32 v6, 24, v6
	v_bfrev_b32_e32 v20, 60
	v_lshlrev_b32_e32 v18, 20, v18
	v_and_b32_e32 v6, 0x80000000, v6
	v_lshl_add_u32 v9, v9, 23, v20
	v_or3_b32 v6, v6, v9, v18
	v_lshrrev_b32_e32 v18, 16, v6
.LBB872_687:
	s_or_b64 exec, exec, s[10:11]
.LBB872_688:
	s_or_b64 exec, exec, s[8:9]
.LBB872_689:
	s_or_b64 exec, exec, s[2:3]
	s_mov_b32 s2, 0x5040100
	v_perm_b32 v15, v15, v16, s2
	v_perm_b32 v14, v7, v14, s2
	ds_read_b128 v[28:31], v22 offset:4112
	v_perm_b32 v7, v18, v19, s2
	v_perm_b32 v6, v8, v17, s2
	s_waitcnt lgkmcnt(0)
	v_mfma_f32_16x16x16bf16_1k v[32:35], v[14:15], v[28:29], v[10:13]
	s_nop 6
	v_mov_b32_e32 v11, 0
	s_waitcnt vmcnt(0)
	v_cmp_ne_u16_sdwa s[8:9], v2, v11 src0_sel:BYTE_0 src1_sel:DWORD
	v_mfma_f32_16x16x16bf16_1k v[6:9], v[6:7], v[30:31], v[32:35]
	v_mov_b32_e32 v12, 0
	s_and_saveexec_b64 s[2:3], s[8:9]
	s_cbranch_execz .LBB872_695
; %bb.690:
	s_movk_i32 s7, 0x80
	v_cmp_ne_u16_sdwa s[10:11], v2, s7 src0_sel:BYTE_0 src1_sel:DWORD
	v_mov_b32_e32 v12, 0xffff8000
	s_and_saveexec_b64 s[8:9], s[10:11]
	s_cbranch_execz .LBB872_694
; %bb.691:
	s_movk_i32 s7, 0x7f
	v_and_b32_e32 v10, 0x7f, v2
	v_cmp_ne_u32_e32 vcc, s7, v10
	v_mov_b32_e32 v12, 0x7f80
	s_and_saveexec_b64 s[10:11], vcc
	s_cbranch_execz .LBB872_693
; %bb.692:
	v_and_b32_e32 v14, 7, v2
	v_ffbh_u32_e32 v12, v14
	v_min_u32_e32 v16, 32, v12
	v_subrev_u32_e32 v12, 28, v16
	v_lshlrev_b64 v[12:13], v12, v[2:3]
	v_lshrrev_b32_e32 v15, 3, v10
	v_sub_u32_e32 v13, 29, v16
	v_and_b32_e32 v12, 7, v12
	v_cmp_gt_u32_e32 vcc, 8, v10
	v_cndmask_b32_e32 v10, v15, v13, vcc
	v_cndmask_b32_e32 v12, v14, v12, vcc
	v_lshlrev_b32_e32 v13, 24, v2
	v_bfrev_b32_e32 v14, 60
	v_lshlrev_b32_e32 v12, 20, v12
	v_and_b32_e32 v13, 0x80000000, v13
	v_lshl_add_u32 v10, v10, 23, v14
	v_or3_b32 v10, v13, v10, v12
	v_lshrrev_b32_e32 v12, 16, v10
.LBB872_693:
	s_or_b64 exec, exec, s[10:11]
.LBB872_694:
	s_or_b64 exec, exec, s[8:9]
.LBB872_695:
	s_or_b64 exec, exec, s[2:3]
	v_lshrrev_b16_e32 v10, 8, v2
	v_cmp_ne_u16_e32 vcc, 0, v10
	s_and_saveexec_b64 s[2:3], vcc
	s_cbranch_execz .LBB872_701
; %bb.696:
	s_movk_i32 s7, 0x80
	v_cmp_ne_u16_e32 vcc, s7, v10
	v_mov_b32_e32 v11, 0xffff8000
	s_and_saveexec_b64 s[8:9], vcc
	s_cbranch_execz .LBB872_700
; %bb.697:
	s_movk_i32 s7, 0x7f
	v_and_b32_e32 v13, 0x7f, v10
	v_cmp_ne_u32_e32 vcc, s7, v13
	v_mov_b32_e32 v11, 0x7f80
	s_and_saveexec_b64 s[10:11], vcc
	s_cbranch_execz .LBB872_699
; %bb.698:
	v_and_b32_e32 v14, 7, v10
	v_ffbh_u32_e32 v11, v14
	v_min_u32_e32 v16, 32, v11
	v_subrev_u32_e32 v11, 28, v16
	v_lshlrev_b64 v[10:11], v11, v[10:11]
	v_lshrrev_b32_e32 v15, 3, v13
	v_sub_u32_e32 v11, 29, v16
	v_and_b32_e32 v10, 7, v10
	v_cmp_gt_u32_e32 vcc, 8, v13
	v_cndmask_b32_e32 v11, v15, v11, vcc
	v_cndmask_b32_e32 v10, v14, v10, vcc
	v_lshlrev_b32_e32 v13, 16, v2
	v_bfrev_b32_e32 v14, 60
	v_lshlrev_b32_e32 v10, 20, v10
	v_and_b32_e32 v13, 0x80000000, v13
	v_lshl_add_u32 v11, v11, 23, v14
	v_or3_b32 v10, v13, v11, v10
	v_lshrrev_b32_e32 v11, 16, v10
.LBB872_699:
	s_or_b64 exec, exec, s[10:11]
.LBB872_700:
	s_or_b64 exec, exec, s[8:9]
.LBB872_701:
	s_or_b64 exec, exec, s[2:3]
	s_movk_i32 s2, 0xff
	v_and_b32_sdwa v15, v2, s2 dst_sel:DWORD dst_unused:UNUSED_PAD src0_sel:WORD_1 src1_sel:DWORD
	v_lshrrev_b32_e32 v10, 16, v2
	v_cmp_ne_u16_e32 vcc, 0, v15
	v_mov_b32_e32 v13, 0
	v_mov_b32_e32 v14, 0
	s_and_saveexec_b64 s[2:3], vcc
	s_cbranch_execz .LBB872_707
; %bb.702:
	s_movk_i32 s7, 0x80
	v_cmp_ne_u16_e32 vcc, s7, v15
	v_mov_b32_e32 v14, 0xffff8000
	s_and_saveexec_b64 s[8:9], vcc
	s_cbranch_execz .LBB872_706
; %bb.703:
	v_bfe_u32 v15, v2, 16, 7
	s_movk_i32 s7, 0x7f
	v_cmp_ne_u32_e32 vcc, s7, v15
	v_mov_b32_e32 v14, 0x7f80
	s_and_saveexec_b64 s[10:11], vcc
	s_cbranch_execz .LBB872_705
; %bb.704:
	v_and_b32_e32 v14, 7, v10
	v_ffbh_u32_e32 v16, v14
	v_min_u32_e32 v19, 32, v16
	v_subrev_u32_e32 v16, 28, v19
	v_lshlrev_b64 v[16:17], v16, v[10:11]
	v_lshrrev_b32_e32 v18, 3, v15
	v_sub_u32_e32 v10, 29, v19
	v_and_b32_e32 v16, 7, v16
	v_cmp_gt_u32_e32 vcc, 8, v15
	v_mov_b32_e32 v15, 24
	v_cndmask_b32_e32 v10, v18, v10, vcc
	v_cndmask_b32_e32 v14, v14, v16, vcc
	v_lshlrev_b32_sdwa v15, v15, v2 dst_sel:DWORD dst_unused:UNUSED_PAD src0_sel:DWORD src1_sel:WORD_1
	v_bfrev_b32_e32 v16, 60
	v_lshlrev_b32_e32 v14, 20, v14
	v_and_b32_e32 v15, 0x80000000, v15
	v_lshl_add_u32 v10, v10, 23, v16
	v_or3_b32 v10, v15, v10, v14
	v_lshrrev_b32_e32 v14, 16, v10
.LBB872_705:
	s_or_b64 exec, exec, s[10:11]
.LBB872_706:
	s_or_b64 exec, exec, s[8:9]
.LBB872_707:
	s_or_b64 exec, exec, s[2:3]
	s_mov_b32 s2, 0xffffff
	v_cmp_lt_u32_e32 vcc, s2, v2
	s_and_saveexec_b64 s[2:3], vcc
	s_cbranch_execz .LBB872_713
; %bb.708:
	v_lshrrev_b32_e32 v10, 24, v2
	s_movk_i32 s7, 0x80
	v_cmp_ne_u32_e32 vcc, s7, v10
	v_mov_b32_e32 v13, 0xffff8000
	s_and_saveexec_b64 s[8:9], vcc
	s_cbranch_execz .LBB872_712
; %bb.709:
	v_bfe_u32 v2, v2, 24, 7
	s_movk_i32 s7, 0x7f
	v_cmp_ne_u32_e32 vcc, s7, v2
	v_mov_b32_e32 v13, 0x7f80
	s_and_saveexec_b64 s[10:11], vcc
	s_cbranch_execz .LBB872_711
; %bb.710:
	v_and_b32_e32 v13, 7, v10
	v_ffbh_u32_e32 v16, v13
	v_min_u32_e32 v18, 32, v16
	v_subrev_u32_e32 v16, 28, v18
	v_lshlrev_b64 v[16:17], v16, v[10:11]
	v_lshrrev_b32_e32 v15, 3, v2
	v_sub_u32_e32 v17, 29, v18
	v_and_b32_e32 v16, 7, v16
	v_cmp_gt_u32_e32 vcc, 8, v2
	v_cndmask_b32_e32 v2, v15, v17, vcc
	v_cndmask_b32_e32 v13, v13, v16, vcc
	v_lshlrev_b32_e32 v10, 24, v10
	v_bfrev_b32_e32 v15, 60
	v_lshlrev_b32_e32 v13, 20, v13
	v_and_b32_e32 v10, 0x80000000, v10
	v_lshl_add_u32 v2, v2, 23, v15
	v_or3_b32 v2, v10, v2, v13
	v_lshrrev_b32_e32 v13, 16, v2
.LBB872_711:
	s_or_b64 exec, exec, s[10:11]
.LBB872_712:
	s_or_b64 exec, exec, s[8:9]
.LBB872_713:
	s_or_b64 exec, exec, s[2:3]
	v_mov_b32_e32 v10, 0
	v_cmp_ne_u16_sdwa s[8:9], v3, v10 src0_sel:BYTE_0 src1_sel:DWORD
	v_mov_b32_e32 v15, 0
	s_and_saveexec_b64 s[2:3], s[8:9]
	s_cbranch_execz .LBB872_719
; %bb.714:
	s_movk_i32 s7, 0x80
	v_cmp_ne_u16_sdwa s[10:11], v3, s7 src0_sel:BYTE_0 src1_sel:DWORD
	v_mov_b32_e32 v15, 0xffff8000
	s_and_saveexec_b64 s[8:9], s[10:11]
	s_cbranch_execz .LBB872_718
; %bb.715:
	s_movk_i32 s7, 0x7f
	v_and_b32_e32 v2, 0x7f, v3
	v_cmp_ne_u32_e32 vcc, s7, v2
	v_mov_b32_e32 v15, 0x7f80
	s_and_saveexec_b64 s[10:11], vcc
	s_cbranch_execz .LBB872_717
; %bb.716:
	v_and_b32_e32 v15, 7, v3
	v_ffbh_u32_e32 v17, v15
	v_min_u32_e32 v19, 32, v17
	v_mov_b32_e32 v16, v3
	v_subrev_u32_e32 v17, 28, v19
	v_lshlrev_b64 v[16:17], v17, v[16:17]
	v_lshrrev_b32_e32 v18, 3, v2
	v_sub_u32_e32 v17, 29, v19
	v_and_b32_e32 v16, 7, v16
	v_cmp_gt_u32_e32 vcc, 8, v2
	v_cndmask_b32_e32 v2, v18, v17, vcc
	v_cndmask_b32_e32 v15, v15, v16, vcc
	v_lshlrev_b32_e32 v16, 24, v3
	v_bfrev_b32_e32 v17, 60
	v_lshlrev_b32_e32 v15, 20, v15
	v_and_b32_e32 v16, 0x80000000, v16
	v_lshl_add_u32 v2, v2, 23, v17
	v_or3_b32 v2, v16, v2, v15
	v_lshrrev_b32_e32 v15, 16, v2
.LBB872_717:
	s_or_b64 exec, exec, s[10:11]
.LBB872_718:
	s_or_b64 exec, exec, s[8:9]
.LBB872_719:
	s_or_b64 exec, exec, s[2:3]
	v_lshrrev_b16_e32 v2, 8, v3
	v_cmp_ne_u16_e32 vcc, 0, v2
	s_and_saveexec_b64 s[2:3], vcc
	s_cbranch_execz .LBB872_725
; %bb.720:
	s_movk_i32 s7, 0x80
	v_cmp_ne_u16_e32 vcc, s7, v2
	v_mov_b32_e32 v10, 0xffff8000
	s_and_saveexec_b64 s[8:9], vcc
	s_cbranch_execz .LBB872_724
; %bb.721:
	s_movk_i32 s7, 0x7f
	v_and_b32_e32 v16, 0x7f, v2
	v_cmp_ne_u32_e32 vcc, s7, v16
	v_mov_b32_e32 v10, 0x7f80
	s_and_saveexec_b64 s[10:11], vcc
	s_cbranch_execz .LBB872_723
; %bb.722:
	v_and_b32_e32 v10, 7, v2
	v_ffbh_u32_e32 v18, v10
	v_min_u32_e32 v20, 32, v18
	v_subrev_u32_e32 v18, 28, v20
	v_lshlrev_b64 v[18:19], v18, v[2:3]
	v_lshrrev_b32_e32 v17, 3, v16
	v_sub_u32_e32 v2, 29, v20
	v_and_b32_e32 v18, 7, v18
	v_cmp_gt_u32_e32 vcc, 8, v16
	v_cndmask_b32_e32 v2, v17, v2, vcc
	v_cndmask_b32_e32 v10, v10, v18, vcc
	v_lshlrev_b32_e32 v16, 16, v3
	v_bfrev_b32_e32 v17, 60
	v_lshlrev_b32_e32 v10, 20, v10
	v_and_b32_e32 v16, 0x80000000, v16
	v_lshl_add_u32 v2, v2, 23, v17
	v_or3_b32 v2, v16, v2, v10
	v_lshrrev_b32_e32 v10, 16, v2
.LBB872_723:
	s_or_b64 exec, exec, s[10:11]
.LBB872_724:
	s_or_b64 exec, exec, s[8:9]
.LBB872_725:
	s_or_b64 exec, exec, s[2:3]
	s_movk_i32 s2, 0xff
	v_and_b32_sdwa v18, v3, s2 dst_sel:DWORD dst_unused:UNUSED_PAD src0_sel:WORD_1 src1_sel:DWORD
	v_lshrrev_b32_e32 v2, 16, v3
	v_cmp_ne_u16_e32 vcc, 0, v18
	v_mov_b32_e32 v16, 0
	v_mov_b32_e32 v17, 0
	s_and_saveexec_b64 s[2:3], vcc
	s_cbranch_execz .LBB872_731
; %bb.726:
	s_movk_i32 s7, 0x80
	v_cmp_ne_u16_e32 vcc, s7, v18
	v_mov_b32_e32 v17, 0xffff8000
	s_and_saveexec_b64 s[8:9], vcc
	s_cbranch_execz .LBB872_730
; %bb.727:
	v_bfe_u32 v18, v3, 16, 7
	s_movk_i32 s7, 0x7f
	v_cmp_ne_u32_e32 vcc, s7, v18
	v_mov_b32_e32 v17, 0x7f80
	s_and_saveexec_b64 s[10:11], vcc
	s_cbranch_execz .LBB872_729
; %bb.728:
	v_and_b32_e32 v17, 7, v2
	v_ffbh_u32_e32 v20, v17
	v_min_u32_e32 v23, 32, v20
	v_subrev_u32_e32 v20, 28, v23
	v_lshlrev_b64 v[20:21], v20, v[2:3]
	v_lshrrev_b32_e32 v19, 3, v18
	v_sub_u32_e32 v2, 29, v23
	v_and_b32_e32 v20, 7, v20
	v_cmp_gt_u32_e32 vcc, 8, v18
	v_mov_b32_e32 v18, 24
	v_cndmask_b32_e32 v2, v19, v2, vcc
	v_cndmask_b32_e32 v17, v17, v20, vcc
	v_lshlrev_b32_sdwa v18, v18, v3 dst_sel:DWORD dst_unused:UNUSED_PAD src0_sel:DWORD src1_sel:WORD_1
	v_bfrev_b32_e32 v19, 60
	v_lshlrev_b32_e32 v17, 20, v17
	v_and_b32_e32 v18, 0x80000000, v18
	v_lshl_add_u32 v2, v2, 23, v19
	v_or3_b32 v2, v18, v2, v17
	v_lshrrev_b32_e32 v17, 16, v2
.LBB872_729:
	s_or_b64 exec, exec, s[10:11]
.LBB872_730:
	s_or_b64 exec, exec, s[8:9]
.LBB872_731:
	s_or_b64 exec, exec, s[2:3]
	s_mov_b32 s2, 0xffffff
	v_cmp_lt_u32_e32 vcc, s2, v3
	s_and_saveexec_b64 s[2:3], vcc
	s_cbranch_execz .LBB872_737
; %bb.732:
	v_lshrrev_b32_e32 v2, 24, v3
	s_movk_i32 s7, 0x80
	v_cmp_ne_u32_e32 vcc, s7, v2
	v_mov_b32_e32 v16, 0xffff8000
	s_and_saveexec_b64 s[8:9], vcc
	s_cbranch_execz .LBB872_736
; %bb.733:
	v_bfe_u32 v3, v3, 24, 7
	s_movk_i32 s7, 0x7f
	v_cmp_ne_u32_e32 vcc, s7, v3
	v_mov_b32_e32 v16, 0x7f80
	s_and_saveexec_b64 s[10:11], vcc
	s_cbranch_execz .LBB872_735
; %bb.734:
	v_and_b32_e32 v16, 7, v2
	v_ffbh_u32_e32 v18, v16
	v_min_u32_e32 v21, 32, v18
	v_subrev_u32_e32 v18, 28, v21
	v_lshlrev_b64 v[18:19], v18, v[2:3]
	v_lshrrev_b32_e32 v20, 3, v3
	v_sub_u32_e32 v19, 29, v21
	v_and_b32_e32 v18, 7, v18
	v_cmp_gt_u32_e32 vcc, 8, v3
	v_cndmask_b32_e32 v3, v20, v19, vcc
	v_cndmask_b32_e32 v16, v16, v18, vcc
	v_lshlrev_b32_e32 v2, 24, v2
	v_bfrev_b32_e32 v18, 60
	v_lshlrev_b32_e32 v16, 20, v16
	v_and_b32_e32 v2, 0x80000000, v2
	v_lshl_add_u32 v3, v3, 23, v18
	v_or3_b32 v2, v2, v3, v16
	v_lshrrev_b32_e32 v16, 16, v2
.LBB872_735:
	s_or_b64 exec, exec, s[10:11]
.LBB872_736:
	s_or_b64 exec, exec, s[8:9]
.LBB872_737:
	s_or_b64 exec, exec, s[2:3]
	s_mov_b32 s2, 0x5040100
	v_perm_b32 v3, v13, v14, s2
	v_perm_b32 v2, v11, v12, s2
	ds_read_b128 v[18:21], v22 offset:6144
	v_perm_b32 v13, v16, v17, s2
	v_perm_b32 v12, v10, v15, s2
	s_waitcnt lgkmcnt(0)
	v_mfma_f32_16x16x16bf16_1k v[6:9], v[2:3], v[18:19], v[6:9]
	v_mov_b32_e32 v3, 0
	v_cmp_ne_u16_sdwa s[8:9], v4, v3 src0_sel:BYTE_0 src1_sel:DWORD
	v_mov_b32_e32 v10, 0
	v_mfma_f32_16x16x16bf16_1k v[6:9], v[12:13], v[20:21], v[6:9]
	s_and_saveexec_b64 s[2:3], s[8:9]
	s_cbranch_execz .LBB872_743
; %bb.738:
	s_movk_i32 s7, 0x80
	v_cmp_ne_u16_sdwa s[10:11], v4, s7 src0_sel:BYTE_0 src1_sel:DWORD
	v_mov_b32_e32 v10, 0xffff8000
	s_and_saveexec_b64 s[8:9], s[10:11]
	s_cbranch_execz .LBB872_742
; %bb.739:
	s_movk_i32 s7, 0x7f
	v_and_b32_e32 v2, 0x7f, v4
	v_cmp_ne_u32_e32 vcc, s7, v2
	v_mov_b32_e32 v10, 0x7f80
	s_and_saveexec_b64 s[10:11], vcc
	s_cbranch_execz .LBB872_741
; %bb.740:
	v_and_b32_e32 v12, 7, v4
	v_ffbh_u32_e32 v10, v12
	v_min_u32_e32 v14, 32, v10
	v_subrev_u32_e32 v10, 28, v14
	v_lshlrev_b64 v[10:11], v10, v[4:5]
	v_lshrrev_b32_e32 v13, 3, v2
	v_sub_u32_e32 v11, 29, v14
	v_and_b32_e32 v10, 7, v10
	v_cmp_gt_u32_e32 vcc, 8, v2
	v_cndmask_b32_e32 v2, v13, v11, vcc
	v_cndmask_b32_e32 v10, v12, v10, vcc
	v_lshlrev_b32_e32 v11, 24, v4
	v_bfrev_b32_e32 v12, 60
	v_lshlrev_b32_e32 v10, 20, v10
	v_and_b32_e32 v11, 0x80000000, v11
	v_lshl_add_u32 v2, v2, 23, v12
	v_or3_b32 v2, v11, v2, v10
	v_lshrrev_b32_e32 v10, 16, v2
.LBB872_741:
	s_or_b64 exec, exec, s[10:11]
.LBB872_742:
	s_or_b64 exec, exec, s[8:9]
.LBB872_743:
	s_or_b64 exec, exec, s[2:3]
	v_lshrrev_b16_e32 v2, 8, v4
	v_cmp_ne_u16_e32 vcc, 0, v2
	s_and_saveexec_b64 s[2:3], vcc
	s_cbranch_execz .LBB872_749
; %bb.744:
	s_movk_i32 s7, 0x80
	v_cmp_ne_u16_e32 vcc, s7, v2
	v_mov_b32_e32 v3, 0xffff8000
	s_and_saveexec_b64 s[8:9], vcc
	s_cbranch_execz .LBB872_748
; %bb.745:
	s_movk_i32 s7, 0x7f
	v_and_b32_e32 v11, 0x7f, v2
	v_cmp_ne_u32_e32 vcc, s7, v11
	v_mov_b32_e32 v3, 0x7f80
	s_and_saveexec_b64 s[10:11], vcc
	s_cbranch_execz .LBB872_747
; %bb.746:
	v_and_b32_e32 v12, 7, v2
	v_ffbh_u32_e32 v3, v12
	v_min_u32_e32 v14, 32, v3
	v_subrev_u32_e32 v3, 28, v14
	v_lshlrev_b64 v[2:3], v3, v[2:3]
	v_lshrrev_b32_e32 v13, 3, v11
	v_sub_u32_e32 v3, 29, v14
	v_and_b32_e32 v2, 7, v2
	v_cmp_gt_u32_e32 vcc, 8, v11
	v_cndmask_b32_e32 v3, v13, v3, vcc
	v_cndmask_b32_e32 v2, v12, v2, vcc
	v_lshlrev_b32_e32 v11, 16, v4
	v_bfrev_b32_e32 v12, 60
	v_lshlrev_b32_e32 v2, 20, v2
	v_and_b32_e32 v11, 0x80000000, v11
	v_lshl_add_u32 v3, v3, 23, v12
	v_or3_b32 v2, v11, v3, v2
	v_lshrrev_b32_e32 v3, 16, v2
.LBB872_747:
	s_or_b64 exec, exec, s[10:11]
.LBB872_748:
	s_or_b64 exec, exec, s[8:9]
.LBB872_749:
	s_or_b64 exec, exec, s[2:3]
	s_movk_i32 s2, 0xff
	v_and_b32_sdwa v13, v4, s2 dst_sel:DWORD dst_unused:UNUSED_PAD src0_sel:WORD_1 src1_sel:DWORD
	v_lshrrev_b32_e32 v2, 16, v4
	v_cmp_ne_u16_e32 vcc, 0, v13
	v_mov_b32_e32 v11, 0
	v_mov_b32_e32 v12, 0
	s_and_saveexec_b64 s[2:3], vcc
	s_cbranch_execz .LBB872_755
; %bb.750:
	s_movk_i32 s7, 0x80
	v_cmp_ne_u16_e32 vcc, s7, v13
	v_mov_b32_e32 v12, 0xffff8000
	s_and_saveexec_b64 s[8:9], vcc
	s_cbranch_execz .LBB872_754
; %bb.751:
	v_bfe_u32 v13, v4, 16, 7
	s_movk_i32 s7, 0x7f
	v_cmp_ne_u32_e32 vcc, s7, v13
	v_mov_b32_e32 v12, 0x7f80
	s_and_saveexec_b64 s[10:11], vcc
	s_cbranch_execz .LBB872_753
; %bb.752:
	v_and_b32_e32 v12, 7, v2
	v_ffbh_u32_e32 v14, v12
	v_min_u32_e32 v17, 32, v14
	v_subrev_u32_e32 v14, 28, v17
	v_lshlrev_b64 v[14:15], v14, v[2:3]
	v_lshrrev_b32_e32 v16, 3, v13
	v_sub_u32_e32 v2, 29, v17
	v_and_b32_e32 v14, 7, v14
	v_cmp_gt_u32_e32 vcc, 8, v13
	v_mov_b32_e32 v13, 24
	v_cndmask_b32_e32 v2, v16, v2, vcc
	v_cndmask_b32_e32 v12, v12, v14, vcc
	v_lshlrev_b32_sdwa v13, v13, v4 dst_sel:DWORD dst_unused:UNUSED_PAD src0_sel:DWORD src1_sel:WORD_1
	v_bfrev_b32_e32 v14, 60
	v_lshlrev_b32_e32 v12, 20, v12
	v_and_b32_e32 v13, 0x80000000, v13
	v_lshl_add_u32 v2, v2, 23, v14
	v_or3_b32 v2, v13, v2, v12
	v_lshrrev_b32_e32 v12, 16, v2
.LBB872_753:
	s_or_b64 exec, exec, s[10:11]
.LBB872_754:
	s_or_b64 exec, exec, s[8:9]
.LBB872_755:
	s_or_b64 exec, exec, s[2:3]
	s_mov_b32 s2, 0xffffff
	v_cmp_lt_u32_e32 vcc, s2, v4
	s_and_saveexec_b64 s[2:3], vcc
	s_cbranch_execz .LBB872_761
; %bb.756:
	v_lshrrev_b32_e32 v2, 24, v4
	s_movk_i32 s7, 0x80
	v_cmp_ne_u32_e32 vcc, s7, v2
	v_mov_b32_e32 v11, 0xffff8000
	s_and_saveexec_b64 s[8:9], vcc
	s_cbranch_execz .LBB872_760
; %bb.757:
	v_bfe_u32 v4, v4, 24, 7
	s_movk_i32 s7, 0x7f
	v_cmp_ne_u32_e32 vcc, s7, v4
	v_mov_b32_e32 v11, 0x7f80
	s_and_saveexec_b64 s[10:11], vcc
	s_cbranch_execz .LBB872_759
; %bb.758:
	v_and_b32_e32 v11, 7, v2
	v_ffbh_u32_e32 v14, v11
	v_min_u32_e32 v16, 32, v14
	v_subrev_u32_e32 v14, 28, v16
	v_lshlrev_b64 v[14:15], v14, v[2:3]
	v_lshrrev_b32_e32 v13, 3, v4
	v_sub_u32_e32 v15, 29, v16
	v_and_b32_e32 v14, 7, v14
	v_cmp_gt_u32_e32 vcc, 8, v4
	v_cndmask_b32_e32 v4, v13, v15, vcc
	v_cndmask_b32_e32 v11, v11, v14, vcc
	v_lshlrev_b32_e32 v2, 24, v2
	v_bfrev_b32_e32 v13, 60
	v_lshlrev_b32_e32 v11, 20, v11
	v_and_b32_e32 v2, 0x80000000, v2
	v_lshl_add_u32 v4, v4, 23, v13
	v_or3_b32 v2, v2, v4, v11
	v_lshrrev_b32_e32 v11, 16, v2
.LBB872_759:
	s_or_b64 exec, exec, s[10:11]
.LBB872_760:
	s_or_b64 exec, exec, s[8:9]
.LBB872_761:
	s_or_b64 exec, exec, s[2:3]
	v_mov_b32_e32 v4, 0
	v_cmp_ne_u16_sdwa s[8:9], v5, v4 src0_sel:BYTE_0 src1_sel:DWORD
	v_mov_b32_e32 v13, 0
	s_and_saveexec_b64 s[2:3], s[8:9]
	s_cbranch_execz .LBB872_767
; %bb.762:
	s_movk_i32 s7, 0x80
	v_cmp_ne_u16_sdwa s[10:11], v5, s7 src0_sel:BYTE_0 src1_sel:DWORD
	v_mov_b32_e32 v13, 0xffff8000
	s_and_saveexec_b64 s[8:9], s[10:11]
	s_cbranch_execz .LBB872_766
; %bb.763:
	s_movk_i32 s7, 0x7f
	v_and_b32_e32 v2, 0x7f, v5
	v_cmp_ne_u32_e32 vcc, s7, v2
	v_mov_b32_e32 v13, 0x7f80
	s_and_saveexec_b64 s[10:11], vcc
	s_cbranch_execz .LBB872_765
; %bb.764:
	v_and_b32_e32 v13, 7, v5
	v_ffbh_u32_e32 v15, v13
	v_min_u32_e32 v17, 32, v15
	v_mov_b32_e32 v14, v5
	v_subrev_u32_e32 v15, 28, v17
	v_lshlrev_b64 v[14:15], v15, v[14:15]
	v_lshrrev_b32_e32 v16, 3, v2
	v_sub_u32_e32 v15, 29, v17
	v_and_b32_e32 v14, 7, v14
	v_cmp_gt_u32_e32 vcc, 8, v2
	v_cndmask_b32_e32 v2, v16, v15, vcc
	v_cndmask_b32_e32 v13, v13, v14, vcc
	v_lshlrev_b32_e32 v14, 24, v5
	v_bfrev_b32_e32 v15, 60
	v_lshlrev_b32_e32 v13, 20, v13
	v_and_b32_e32 v14, 0x80000000, v14
	v_lshl_add_u32 v2, v2, 23, v15
	v_or3_b32 v2, v14, v2, v13
	v_lshrrev_b32_e32 v13, 16, v2
.LBB872_765:
	s_or_b64 exec, exec, s[10:11]
.LBB872_766:
	s_or_b64 exec, exec, s[8:9]
.LBB872_767:
	s_or_b64 exec, exec, s[2:3]
	v_lshrrev_b16_e32 v2, 8, v5
	v_cmp_ne_u16_e32 vcc, 0, v2
	s_and_saveexec_b64 s[2:3], vcc
	s_cbranch_execz .LBB872_773
; %bb.768:
	s_movk_i32 s7, 0x80
	v_cmp_ne_u16_e32 vcc, s7, v2
	v_mov_b32_e32 v4, 0xffff8000
	s_and_saveexec_b64 s[8:9], vcc
	s_cbranch_execz .LBB872_772
; %bb.769:
	s_movk_i32 s7, 0x7f
	v_and_b32_e32 v14, 0x7f, v2
	v_cmp_ne_u32_e32 vcc, s7, v14
	v_mov_b32_e32 v4, 0x7f80
	s_and_saveexec_b64 s[10:11], vcc
	s_cbranch_execz .LBB872_771
; %bb.770:
	v_and_b32_e32 v4, 7, v2
	v_ffbh_u32_e32 v16, v4
	v_min_u32_e32 v18, 32, v16
	v_subrev_u32_e32 v16, 28, v18
	v_lshlrev_b64 v[16:17], v16, v[2:3]
	v_lshrrev_b32_e32 v15, 3, v14
	v_sub_u32_e32 v2, 29, v18
	v_and_b32_e32 v16, 7, v16
	v_cmp_gt_u32_e32 vcc, 8, v14
	v_cndmask_b32_e32 v2, v15, v2, vcc
	v_cndmask_b32_e32 v4, v4, v16, vcc
	v_lshlrev_b32_e32 v14, 16, v5
	v_bfrev_b32_e32 v15, 60
	v_lshlrev_b32_e32 v4, 20, v4
	v_and_b32_e32 v14, 0x80000000, v14
	v_lshl_add_u32 v2, v2, 23, v15
	v_or3_b32 v2, v14, v2, v4
	v_lshrrev_b32_e32 v4, 16, v2
.LBB872_771:
	s_or_b64 exec, exec, s[10:11]
.LBB872_772:
	s_or_b64 exec, exec, s[8:9]
.LBB872_773:
	s_or_b64 exec, exec, s[2:3]
	s_movk_i32 s2, 0xff
	v_and_b32_sdwa v16, v5, s2 dst_sel:DWORD dst_unused:UNUSED_PAD src0_sel:WORD_1 src1_sel:DWORD
	v_lshrrev_b32_e32 v2, 16, v5
	v_cmp_ne_u16_e32 vcc, 0, v16
	v_mov_b32_e32 v14, 0
	v_mov_b32_e32 v15, 0
	s_and_saveexec_b64 s[2:3], vcc
	s_cbranch_execz .LBB872_779
; %bb.774:
	s_movk_i32 s7, 0x80
	v_cmp_ne_u16_e32 vcc, s7, v16
	v_mov_b32_e32 v15, 0xffff8000
	s_and_saveexec_b64 s[8:9], vcc
	s_cbranch_execz .LBB872_778
; %bb.775:
	v_bfe_u32 v16, v5, 16, 7
	s_movk_i32 s7, 0x7f
	v_cmp_ne_u32_e32 vcc, s7, v16
	v_mov_b32_e32 v15, 0x7f80
	s_and_saveexec_b64 s[10:11], vcc
	s_cbranch_execz .LBB872_777
; %bb.776:
	v_and_b32_e32 v15, 7, v2
	v_ffbh_u32_e32 v18, v15
	v_min_u32_e32 v20, 32, v18
	v_subrev_u32_e32 v18, 28, v20
	v_lshlrev_b64 v[18:19], v18, v[2:3]
	v_lshrrev_b32_e32 v17, 3, v16
	v_sub_u32_e32 v2, 29, v20
	v_and_b32_e32 v18, 7, v18
	v_cmp_gt_u32_e32 vcc, 8, v16
	v_mov_b32_e32 v16, 24
	v_cndmask_b32_e32 v2, v17, v2, vcc
	v_cndmask_b32_e32 v15, v15, v18, vcc
	v_lshlrev_b32_sdwa v16, v16, v5 dst_sel:DWORD dst_unused:UNUSED_PAD src0_sel:DWORD src1_sel:WORD_1
	v_bfrev_b32_e32 v17, 60
	v_lshlrev_b32_e32 v15, 20, v15
	v_and_b32_e32 v16, 0x80000000, v16
	v_lshl_add_u32 v2, v2, 23, v17
	v_or3_b32 v2, v16, v2, v15
	v_lshrrev_b32_e32 v15, 16, v2
.LBB872_777:
	s_or_b64 exec, exec, s[10:11]
.LBB872_778:
	s_or_b64 exec, exec, s[8:9]
.LBB872_779:
	s_or_b64 exec, exec, s[2:3]
	s_mov_b32 s2, 0xffffff
	v_cmp_lt_u32_e32 vcc, s2, v5
	s_and_saveexec_b64 s[2:3], vcc
	s_cbranch_execz .LBB872_785
; %bb.780:
	v_lshrrev_b32_e32 v2, 24, v5
	s_movk_i32 s7, 0x80
	v_cmp_ne_u32_e32 vcc, s7, v2
	v_mov_b32_e32 v14, 0xffff8000
	s_and_saveexec_b64 s[8:9], vcc
	s_cbranch_execz .LBB872_784
; %bb.781:
	v_bfe_u32 v5, v5, 24, 7
	s_movk_i32 s7, 0x7f
	v_cmp_ne_u32_e32 vcc, s7, v5
	v_mov_b32_e32 v14, 0x7f80
	s_and_saveexec_b64 s[10:11], vcc
	s_cbranch_execz .LBB872_783
; %bb.782:
	v_and_b32_e32 v14, 7, v2
	v_ffbh_u32_e32 v16, v14
	v_min_u32_e32 v19, 32, v16
	v_subrev_u32_e32 v16, 28, v19
	v_lshlrev_b64 v[16:17], v16, v[2:3]
	v_lshrrev_b32_e32 v18, 3, v5
	v_sub_u32_e32 v17, 29, v19
	v_and_b32_e32 v16, 7, v16
	v_cmp_gt_u32_e32 vcc, 8, v5
	v_cndmask_b32_e32 v5, v18, v17, vcc
	v_cndmask_b32_e32 v14, v14, v16, vcc
	v_lshlrev_b32_e32 v2, 24, v2
	v_bfrev_b32_e32 v16, 60
	v_lshlrev_b32_e32 v14, 20, v14
	v_and_b32_e32 v2, 0x80000000, v2
	v_lshl_add_u32 v5, v5, 23, v16
	v_or3_b32 v2, v2, v5, v14
	v_lshrrev_b32_e32 v14, 16, v2
.LBB872_783:
	s_or_b64 exec, exec, s[10:11]
.LBB872_784:
	s_or_b64 exec, exec, s[8:9]
.LBB872_785:
	s_or_b64 exec, exec, s[2:3]
	s_mov_b32 s3, 0x5040100
	v_perm_b32 v11, v11, v12, s3
	ds_read_b128 v[16:19], v22 offset:6160
	v_perm_b32 v10, v3, v10, s3
	v_perm_b32 v3, v14, v15, s3
	;; [unrolled: 1-line block ×3, first 2 shown]
	s_waitcnt lgkmcnt(0)
	v_mfma_f32_16x16x16bf16_1k v[6:9], v[10:11], v[16:17], v[6:9]
	s_load_dword s2, s[42:43], 0x0
	s_mov_b32 s3, 0x7060302
	s_movk_i32 s7, 0x7fff
	v_cmp_gt_u32_e32 vcc, 64, v0
	s_and_b64 s[0:1], vcc, s[0:1]
	s_waitcnt lgkmcnt(0)
	s_barrier
	v_mfma_f32_16x16x16bf16_1k v[2:5], v[2:3], v[18:19], v[6:9]
	s_nop 7
	s_nop 2
	v_pk_mul_f32 v[4:5], v[4:5], s[2:3] op_sel_hi:[1,0]
	v_pk_mul_f32 v[2:3], v[2:3], s[2:3] op_sel_hi:[1,0]
	v_bfe_u32 v6, v3, 16, 1
	v_bfe_u32 v7, v2, 16, 1
	;; [unrolled: 1-line block ×4, first 2 shown]
	v_add3_u32 v2, v2, v7, s7
	v_add3_u32 v3, v3, v6, s7
	v_add3_u32 v4, v4, v9, s7
	v_add3_u32 v5, v5, v8, s7
	v_perm_b32 v2, v3, v2, s3
	v_perm_b32 v3, v5, v4, s3
	ds_write_b64 v26, v[2:3]
	s_waitcnt lgkmcnt(0)
	s_barrier
	s_and_saveexec_b64 s[2:3], s[0:1]
	s_cbranch_execz .LBB872_788
; %bb.786:
	s_load_dwordx2 s[2:3], s[4:5], 0x68
	s_lshl_b32 s0, s44, 6
	s_mul_i32 s1, s12, s6
	s_mul_hi_u32 s7, s1, s0
	s_mul_i32 s6, s1, s0
	s_lshl_b64 s[6:7], s[6:7], 1
	s_waitcnt lgkmcnt(0)
	s_add_u32 s1, s2, s6
	v_lshlrev_b32_e32 v0, 10, v0
	s_mov_b32 s5, 0
	s_addc_u32 s6, s3, s7
	s_lshl_b32 s4, s24, 6
	v_and_b32_e32 v0, 0x1800, v0
	v_lshlrev_b32_e32 v2, 5, v1
	v_and_b32_e32 v3, 16, v47
	s_lshl_b64 s[2:3], s[4:5], 1
	v_or3_b32 v0, v0, v2, v3
	s_add_u32 s1, s1, s2
	s_addc_u32 s2, s6, s3
	ds_read_b128 v[4:7], v0 offset:128
	ds_read_b128 v[8:11], v0
	v_add_u32_e32 v14, s25, v1
	v_mov_b32_e32 v3, s2
	v_add_co_u32_e32 v2, vcc, s1, v46
	v_mad_u64_u32 v[12:13], s[2:3], v14, s0, 0
	v_addc_co_u32_e32 v3, vcc, 0, v3, vcc
	v_lshlrev_b64 v[12:13], 1, v[12:13]
	v_add_co_u32_e32 v12, vcc, v2, v12
	v_addc_co_u32_e32 v13, vcc, v3, v13, vcc
	s_waitcnt lgkmcnt(0)
	global_store_dwordx4 v[12:13], v[8:11], off
	s_nop 0
	v_add_u32_e32 v8, 4, v14
	v_mad_u64_u32 v[8:9], s[2:3], v8, s0, 0
	v_lshlrev_b64 v[8:9], 1, v[8:9]
	v_add_co_u32_e32 v8, vcc, v2, v8
	v_addc_co_u32_e32 v9, vcc, v3, v9, vcc
	v_cmp_ne_u32_e32 vcc, 3, v1
	global_store_dwordx4 v[8:9], v[4:7], off
	s_and_b64 exec, exec, vcc
	s_cbranch_execz .LBB872_788
; %bb.787:
	ds_read_b128 v[4:7], v0 offset:256
	v_add3_u32 v0, s25, v1, 8
	v_mad_u64_u32 v[0:1], s[0:1], v0, s0, 0
	v_lshlrev_b64 v[0:1], 1, v[0:1]
	v_add_co_u32_e32 v0, vcc, v2, v0
	v_addc_co_u32_e32 v1, vcc, v3, v1, vcc
	s_waitcnt lgkmcnt(0)
	global_store_dwordx4 v[0:1], v[4:7], off
.LBB872_788:
	s_endpgm
	.section	.rodata,"a",@progbits
	.p2align	6, 0x0
	.amdhsa_kernel _Z39paged_attention_ll4mi_QKV_mfma16_kernelI14__hip_bfloat16hLN4vllm18Fp8KVCacheDataTypeE1ES0_Li32ELi64ELi256ELb1ELi11EL8MFMAType0EEvPKT_PKT0_S9_ifPKiSB_SB_iPKfiiiPfSE_PS4_PT2_iSD_SD_
		.amdhsa_group_segment_fixed_size 8192
		.amdhsa_private_segment_fixed_size 0
		.amdhsa_kernarg_size 400
		.amdhsa_user_sgpr_count 6
		.amdhsa_user_sgpr_private_segment_buffer 1
		.amdhsa_user_sgpr_dispatch_ptr 0
		.amdhsa_user_sgpr_queue_ptr 0
		.amdhsa_user_sgpr_kernarg_segment_ptr 1
		.amdhsa_user_sgpr_dispatch_id 0
		.amdhsa_user_sgpr_flat_scratch_init 0
		.amdhsa_user_sgpr_kernarg_preload_length 0
		.amdhsa_user_sgpr_kernarg_preload_offset 0
		.amdhsa_user_sgpr_private_segment_size 0
		.amdhsa_uses_dynamic_stack 0
		.amdhsa_system_sgpr_private_segment_wavefront_offset 0
		.amdhsa_system_sgpr_workgroup_id_x 1
		.amdhsa_system_sgpr_workgroup_id_y 1
		.amdhsa_system_sgpr_workgroup_id_z 1
		.amdhsa_system_sgpr_workgroup_info 0
		.amdhsa_system_vgpr_workitem_id 0
		.amdhsa_next_free_vgpr 63
		.amdhsa_next_free_sgpr 47
		.amdhsa_accum_offset 64
		.amdhsa_reserve_vcc 1
		.amdhsa_reserve_flat_scratch 0
		.amdhsa_float_round_mode_32 0
		.amdhsa_float_round_mode_16_64 0
		.amdhsa_float_denorm_mode_32 3
		.amdhsa_float_denorm_mode_16_64 3
		.amdhsa_dx10_clamp 1
		.amdhsa_ieee_mode 1
		.amdhsa_fp16_overflow 0
		.amdhsa_tg_split 0
		.amdhsa_exception_fp_ieee_invalid_op 0
		.amdhsa_exception_fp_denorm_src 0
		.amdhsa_exception_fp_ieee_div_zero 0
		.amdhsa_exception_fp_ieee_overflow 0
		.amdhsa_exception_fp_ieee_underflow 0
		.amdhsa_exception_fp_ieee_inexact 0
		.amdhsa_exception_int_div_zero 0
	.end_amdhsa_kernel
	.section	.text._Z39paged_attention_ll4mi_QKV_mfma16_kernelI14__hip_bfloat16hLN4vllm18Fp8KVCacheDataTypeE1ES0_Li32ELi64ELi256ELb1ELi11EL8MFMAType0EEvPKT_PKT0_S9_ifPKiSB_SB_iPKfiiiPfSE_PS4_PT2_iSD_SD_,"axG",@progbits,_Z39paged_attention_ll4mi_QKV_mfma16_kernelI14__hip_bfloat16hLN4vllm18Fp8KVCacheDataTypeE1ES0_Li32ELi64ELi256ELb1ELi11EL8MFMAType0EEvPKT_PKT0_S9_ifPKiSB_SB_iPKfiiiPfSE_PS4_PT2_iSD_SD_,comdat
.Lfunc_end872:
	.size	_Z39paged_attention_ll4mi_QKV_mfma16_kernelI14__hip_bfloat16hLN4vllm18Fp8KVCacheDataTypeE1ES0_Li32ELi64ELi256ELb1ELi11EL8MFMAType0EEvPKT_PKT0_S9_ifPKiSB_SB_iPKfiiiPfSE_PS4_PT2_iSD_SD_, .Lfunc_end872-_Z39paged_attention_ll4mi_QKV_mfma16_kernelI14__hip_bfloat16hLN4vllm18Fp8KVCacheDataTypeE1ES0_Li32ELi64ELi256ELb1ELi11EL8MFMAType0EEvPKT_PKT0_S9_ifPKiSB_SB_iPKfiiiPfSE_PS4_PT2_iSD_SD_
                                        ; -- End function
	.section	.AMDGPU.csdata,"",@progbits
; Kernel info:
; codeLenInByte = 28748
; NumSgprs: 51
; NumVgprs: 63
; NumAgprs: 0
; TotalNumVgprs: 63
; ScratchSize: 0
; MemoryBound: 0
; FloatMode: 240
; IeeeMode: 1
; LDSByteSize: 8192 bytes/workgroup (compile time only)
; SGPRBlocks: 6
; VGPRBlocks: 7
; NumSGPRsForWavesPerEU: 51
; NumVGPRsForWavesPerEU: 63
; AccumOffset: 64
; Occupancy: 8
; WaveLimiterHint : 1
; COMPUTE_PGM_RSRC2:SCRATCH_EN: 0
; COMPUTE_PGM_RSRC2:USER_SGPR: 6
; COMPUTE_PGM_RSRC2:TRAP_HANDLER: 0
; COMPUTE_PGM_RSRC2:TGID_X_EN: 1
; COMPUTE_PGM_RSRC2:TGID_Y_EN: 1
; COMPUTE_PGM_RSRC2:TGID_Z_EN: 1
; COMPUTE_PGM_RSRC2:TIDIG_COMP_CNT: 0
; COMPUTE_PGM_RSRC3_GFX90A:ACCUM_OFFSET: 15
; COMPUTE_PGM_RSRC3_GFX90A:TG_SPLIT: 0
	.section	.text._Z39paged_attention_ll4mi_QKV_mfma16_kernelI14__hip_bfloat16hLN4vllm18Fp8KVCacheDataTypeE1ES0_Li32ELi64ELi256ELb1ELi12EL8MFMAType0EEvPKT_PKT0_S9_ifPKiSB_SB_iPKfiiiPfSE_PS4_PT2_iSD_SD_,"axG",@progbits,_Z39paged_attention_ll4mi_QKV_mfma16_kernelI14__hip_bfloat16hLN4vllm18Fp8KVCacheDataTypeE1ES0_Li32ELi64ELi256ELb1ELi12EL8MFMAType0EEvPKT_PKT0_S9_ifPKiSB_SB_iPKfiiiPfSE_PS4_PT2_iSD_SD_,comdat
	.protected	_Z39paged_attention_ll4mi_QKV_mfma16_kernelI14__hip_bfloat16hLN4vllm18Fp8KVCacheDataTypeE1ES0_Li32ELi64ELi256ELb1ELi12EL8MFMAType0EEvPKT_PKT0_S9_ifPKiSB_SB_iPKfiiiPfSE_PS4_PT2_iSD_SD_ ; -- Begin function _Z39paged_attention_ll4mi_QKV_mfma16_kernelI14__hip_bfloat16hLN4vllm18Fp8KVCacheDataTypeE1ES0_Li32ELi64ELi256ELb1ELi12EL8MFMAType0EEvPKT_PKT0_S9_ifPKiSB_SB_iPKfiiiPfSE_PS4_PT2_iSD_SD_
	.globl	_Z39paged_attention_ll4mi_QKV_mfma16_kernelI14__hip_bfloat16hLN4vllm18Fp8KVCacheDataTypeE1ES0_Li32ELi64ELi256ELb1ELi12EL8MFMAType0EEvPKT_PKT0_S9_ifPKiSB_SB_iPKfiiiPfSE_PS4_PT2_iSD_SD_
	.p2align	8
	.type	_Z39paged_attention_ll4mi_QKV_mfma16_kernelI14__hip_bfloat16hLN4vllm18Fp8KVCacheDataTypeE1ES0_Li32ELi64ELi256ELb1ELi12EL8MFMAType0EEvPKT_PKT0_S9_ifPKiSB_SB_iPKfiiiPfSE_PS4_PT2_iSD_SD_,@function
_Z39paged_attention_ll4mi_QKV_mfma16_kernelI14__hip_bfloat16hLN4vllm18Fp8KVCacheDataTypeE1ES0_Li32ELi64ELi256ELb1ELi12EL8MFMAType0EEvPKT_PKT0_S9_ifPKiSB_SB_iPKfiiiPfSE_PS4_PT2_iSD_SD_: ; @_Z39paged_attention_ll4mi_QKV_mfma16_kernelI14__hip_bfloat16hLN4vllm18Fp8KVCacheDataTypeE1ES0_Li32ELi64ELi256ELb1ELi12EL8MFMAType0EEvPKT_PKT0_S9_ifPKiSB_SB_iPKfiiiPfSE_PS4_PT2_iSD_SD_
; %bb.0:
	s_load_dwordx2 s[0:1], s[4:5], 0x30
	s_mov_b32 s24, s7
	s_mov_b64 s[10:11], 0
	s_waitcnt lgkmcnt(0)
	s_cmp_lg_u64 s[0:1], 0
	s_cselect_b64 s[2:3], -1, 0
	s_and_b64 vcc, exec, s[2:3]
	s_cbranch_vccz .LBB873_7
; %bb.1:
	s_add_i32 s12, s6, 1
	s_mov_b32 s13, 0
	s_lshl_b64 s[14:15], s[12:13], 2
	s_add_u32 s14, s0, s14
	s_mov_b32 s7, s13
	s_addc_u32 s15, s1, s15
	s_lshl_b64 s[12:13], s[6:7], 2
	s_add_u32 s12, s0, s12
	s_addc_u32 s13, s1, s13
	s_load_dword s9, s[14:15], 0x0
	s_load_dword s16, s[12:13], 0x0
	s_waitcnt lgkmcnt(0)
	s_sub_i32 s9, s9, s16
	s_cmp_eq_u32 s9, 1
	s_cselect_b64 s[12:13], -1, 0
	s_andn2_b64 vcc, exec, s[10:11]
	s_cbranch_vccnz .LBB873_3
.LBB873_2:
	s_mov_b32 s7, 0
	s_mov_b64 s[12:13], -1
.LBB873_3:
	s_andn2_b64 vcc, exec, s[12:13]
	s_cbranch_vccnz .LBB873_787
; %bb.4:
	s_load_dwordx2 s[12:13], s[4:5], 0x28
	s_lshl_b64 s[10:11], s[6:7], 2
	s_waitcnt lgkmcnt(0)
	s_add_u32 s12, s12, s10
	s_addc_u32 s13, s13, s11
	s_load_dword s33, s[12:13], 0x0
	s_lshl_b32 s18, s24, 8
	s_waitcnt lgkmcnt(0)
	s_cmp_ge_i32 s18, s33
	s_cbranch_scc1 .LBB873_787
; %bb.5:
	s_add_i32 s14, s33, 31
	s_load_dwordx2 s[12:13], s[4:5], 0x20
	s_load_dword s9, s[4:5], 0x38
	s_ashr_i32 s15, s14, 31
	v_and_b32_e32 v1, 0xcf, v0
	s_lshr_b32 s15, s15, 27
	v_add_u32_e32 v1, s18, v1
	s_add_i32 s14, s14, s15
	v_ashrrev_i32_e32 v2, 31, v1
	s_ashr_i32 s21, s14, 5
	v_lshrrev_b32_e32 v4, 27, v2
	s_add_i32 s21, s21, -1
	v_add_u32_e32 v2, v1, v4
	s_waitcnt lgkmcnt(0)
	s_mul_i32 s14, s6, s9
	s_mov_b32 s15, 0
	v_ashrrev_i32_e32 v2, 5, v2
	v_mov_b32_e32 v5, s21
	v_cmp_gt_i32_e32 vcc, s33, v1
	s_lshl_b64 s[14:15], s[14:15], 2
	v_cndmask_b32_e32 v2, v5, v2, vcc
	s_add_u32 s19, s12, s14
	v_ashrrev_i32_e32 v3, 31, v2
	s_addc_u32 s20, s13, s15
	v_lshlrev_b64 v[2:3], 2, v[2:3]
	v_mov_b32_e32 v7, s20
	v_add_co_u32_e32 v6, vcc, s19, v2
	v_or_b32_e32 v2, 16, v1
	v_addc_co_u32_e32 v7, vcc, v7, v3, vcc
	v_add_u32_e32 v3, v2, v4
	v_ashrrev_i32_e32 v3, 5, v3
	v_cmp_gt_i32_e32 vcc, s33, v2
	v_cndmask_b32_e32 v2, v5, v3, vcc
	v_ashrrev_i32_e32 v3, 31, v2
	v_lshlrev_b64 v[2:3], 2, v[2:3]
	v_mov_b32_e32 v9, s20
	v_add_co_u32_e32 v8, vcc, s19, v2
	v_or_b32_e32 v2, 32, v1
	v_addc_co_u32_e32 v9, vcc, v9, v3, vcc
	v_add_u32_e32 v3, v2, v4
	v_ashrrev_i32_e32 v3, 5, v3
	v_cmp_gt_i32_e32 vcc, s33, v2
	v_cndmask_b32_e32 v2, v5, v3, vcc
	v_ashrrev_i32_e32 v3, 31, v2
	;; [unrolled: 10-line block ×3, first 2 shown]
	v_lshlrev_b64 v[2:3], 2, v[2:3]
	v_mov_b32_e32 v1, s20
	v_add_co_u32_e32 v12, vcc, s19, v2
	v_addc_co_u32_e32 v13, vcc, v1, v3, vcc
	global_load_dword v5, v[6:7], off
	global_load_dword v4, v[8:9], off
	global_load_dword v3, v[10:11], off
	global_load_dword v2, v[12:13], off
	s_load_dwordx2 s[16:17], s[4:5], 0x8
	s_andn2_b64 vcc, exec, s[2:3]
	s_cbranch_vccnz .LBB873_8
; %bb.6:
	s_add_u32 s0, s0, s10
	s_addc_u32 s1, s1, s11
	s_load_dword s9, s[0:1], 0x0
	s_branch .LBB873_9
.LBB873_7:
	s_mov_b64 s[12:13], 0
	s_branch .LBB873_2
.LBB873_8:
	s_mov_b32 s9, s6
.LBB873_9:
	s_load_dwordx2 s[2:3], s[4:5], 0x10
	s_load_dwordx4 s[12:15], s[4:5], 0x48
	v_and_b32_e32 v49, 15, v0
	s_movk_i32 s0, 0xc0
	v_lshlrev_b32_e32 v6, 3, v49
	v_cmp_gt_u32_e32 vcc, s0, v0
	v_cmp_gt_u32_e64 s[0:1], 8, v49
	v_lshrrev_b32_e32 v50, 6, v0
	v_bfe_u32 v1, v0, 4, 2
	s_mul_i32 s25, s8, 12
	s_and_b64 s[22:23], vcc, s[0:1]
	v_lshlrev_b32_e32 v46, 1, v6
	v_lshlrev_b32_e32 v47, 4, v0
	s_and_saveexec_b64 s[10:11], s[22:23]
	s_cbranch_execz .LBB873_11
; %bb.10:
	s_load_dwordx2 s[22:23], s[4:5], 0x0
	s_waitcnt lgkmcnt(0)
	s_ashr_i32 s15, s12, 31
	s_mul_hi_u32 s26, s9, s12
	s_mul_i32 s15, s9, s15
	v_lshl_or_b32 v10, v50, 2, v1
	s_add_i32 s27, s26, s15
	s_mul_i32 s26, s9, s12
	s_lshl_b64 s[26:27], s[26:27], 1
	v_add_lshl_u32 v6, v10, s25, 6
	s_add_u32 s9, s22, s26
	v_ashrrev_i32_e32 v7, 31, v6
	s_addc_u32 s12, s23, s27
	v_lshlrev_b64 v[6:7], 1, v[6:7]
	v_mov_b32_e32 v8, s12
	v_add_co_u32_e32 v6, vcc, s9, v6
	v_addc_co_u32_e32 v7, vcc, v8, v7, vcc
	v_add_co_u32_e32 v6, vcc, v6, v46
	v_addc_co_u32_e32 v7, vcc, 0, v7, vcc
	global_load_dwordx4 v[6:9], v[6:7], off
	v_lshlrev_b32_e32 v12, 8, v49
	v_lshlrev_b32_e32 v10, 5, v10
	v_and_b32_e32 v11, 16, v47
	v_and_b32_e32 v12, 0xe00, v12
	v_or3_b32 v10, v12, v10, v11
	s_waitcnt vmcnt(0)
	ds_write_b128 v10, v[6:9]
.LBB873_11:
	s_or_b64 exec, exec, s[10:11]
	s_waitcnt lgkmcnt(0)
	s_mul_i32 s10, s8, s14
	s_add_u32 s8, s16, s10
	s_addc_u32 s9, s17, 0
	v_pk_mov_b32 v[8:9], s[8:9], s[8:9] op_sel:[0,1]
	s_waitcnt vmcnt(3)
	v_mad_i64_i32 v[10:11], s[8:9], v5, s13, v[8:9]
	v_lshlrev_b32_e32 v12, 4, v49
	v_and_b32_e32 v6, 48, v0
	v_add_co_u32_e32 v5, vcc, v10, v12
	v_lshlrev_b32_e32 v7, 5, v6
	v_addc_co_u32_e32 v11, vcc, 0, v11, vcc
	v_add_co_u32_e32 v10, vcc, v5, v7
	v_addc_co_u32_e32 v11, vcc, 0, v11, vcc
	s_waitcnt vmcnt(2)
	v_mad_i64_i32 v[4:5], s[8:9], v4, s13, v[8:9]
	v_or_b32_e32 v13, 0x100, v12
	v_add_co_u32_e32 v4, vcc, v4, v13
	v_addc_co_u32_e32 v5, vcc, 0, v5, vcc
	v_add_co_u32_e32 v4, vcc, v4, v7
	v_addc_co_u32_e32 v5, vcc, 0, v5, vcc
	s_barrier
	global_load_dwordx4 v[34:37], v[10:11], off
	global_load_dwordx4 v[38:41], v[4:5], off
	s_waitcnt vmcnt(3)
	v_mad_i64_i32 v[4:5], s[8:9], v3, s13, v[8:9]
	v_add_co_u32_e32 v3, vcc, v4, v12
	v_addc_co_u32_e32 v5, vcc, 0, v5, vcc
	v_add_co_u32_e32 v4, vcc, v3, v7
	v_addc_co_u32_e32 v5, vcc, 0, v5, vcc
	s_waitcnt vmcnt(2)
	v_mad_i64_i32 v[2:3], s[8:9], v2, s13, v[8:9]
	v_add_co_u32_e32 v2, vcc, v2, v13
	v_addc_co_u32_e32 v3, vcc, 0, v3, vcc
	v_add_co_u32_e32 v2, vcc, v2, v7
	v_addc_co_u32_e32 v3, vcc, 0, v3, vcc
	global_load_dwordx4 v[30:33], v[4:5], off
	global_load_dwordx4 v[22:25], v[2:3], off
	v_add_u32_e32 v2, -12, v49
	v_cmp_gt_u32_e32 vcc, 12, v49
	v_cndmask_b32_e32 v2, v2, v49, vcc
	v_lshlrev_b32_e32 v2, 5, v2
	v_lshl_add_u32 v2, v1, 9, v2
	ds_read_b128 v[26:29], v2
	ds_read_b128 v[18:21], v2 offset:16
	v_mov_b32_e32 v43, 0
	v_mov_b32_e32 v51, 0
	s_and_saveexec_b64 s[8:9], vcc
	s_cbranch_execz .LBB873_13
; %bb.12:
	s_load_dwordx2 s[14:15], s[4:5], 0x40
	v_add_u32_e32 v2, s25, v49
	v_ashrrev_i32_e32 v3, 31, v2
	v_lshlrev_b64 v[2:3], 2, v[2:3]
	s_waitcnt lgkmcnt(0)
	v_mov_b32_e32 v4, s15
	v_add_co_u32_e32 v2, vcc, s14, v2
	v_addc_co_u32_e32 v3, vcc, v4, v3, vcc
	global_load_dword v51, v[2:3], off
.LBB873_13:
	s_or_b64 exec, exec, s[8:9]
	s_ashr_i32 s8, s18, 31
	v_or_b32_e32 v8, s18, v6
	s_lshr_b32 s8, s8, 27
	v_add_u32_e32 v2, s8, v8
	v_ashrrev_i32_e32 v2, 5, v2
	v_mov_b32_e32 v9, s21
	v_cmp_gt_i32_e32 vcc, s33, v8
	v_cndmask_b32_e32 v2, v9, v2, vcc
	v_ashrrev_i32_e32 v3, 31, v2
	v_lshlrev_b64 v[2:3], 2, v[2:3]
	v_mov_b32_e32 v4, s20
	v_add_co_u32_e32 v2, vcc, s19, v2
	v_addc_co_u32_e32 v3, vcc, v4, v3, vcc
	v_or_b32_e32 v4, 64, v8
	v_add_u32_e32 v5, s8, v4
	v_ashrrev_i32_e32 v5, 5, v5
	v_cmp_gt_i32_e32 vcc, s33, v4
	v_cndmask_b32_e32 v4, v9, v5, vcc
	v_ashrrev_i32_e32 v5, 31, v4
	v_lshlrev_b64 v[4:5], 2, v[4:5]
	v_mov_b32_e32 v6, s20
	v_add_co_u32_e32 v4, vcc, s19, v4
	v_addc_co_u32_e32 v5, vcc, v6, v5, vcc
	v_or_b32_e32 v6, 0x80, v8
	v_add_u32_e32 v7, s8, v6
	v_ashrrev_i32_e32 v7, 5, v7
	v_cmp_gt_i32_e32 vcc, s33, v6
	v_cndmask_b32_e32 v6, v9, v7, vcc
	v_ashrrev_i32_e32 v7, 31, v6
	v_lshlrev_b64 v[6:7], 2, v[6:7]
	v_mov_b32_e32 v10, s20
	v_add_co_u32_e32 v6, vcc, s19, v6
	v_addc_co_u32_e32 v7, vcc, v10, v7, vcc
	global_load_dword v10, v[2:3], off
	global_load_dword v11, v[4:5], off
	global_load_dword v12, v[6:7], off
	v_or_b32_e32 v2, 0xc0, v8
	v_add_u32_e32 v3, s8, v2
	v_ashrrev_i32_e32 v3, 5, v3
	v_cmp_gt_i32_e32 vcc, s33, v2
	v_cndmask_b32_e32 v2, v9, v3, vcc
	v_ashrrev_i32_e32 v3, 31, v2
	v_lshlrev_b64 v[2:3], 2, v[2:3]
	v_mov_b32_e32 v4, s20
	v_add_co_u32_e32 v2, vcc, s19, v2
	v_addc_co_u32_e32 v3, vcc, v4, v3, vcc
	global_load_dword v13, v[2:3], off
	s_add_u32 s2, s2, s10
	v_and_b32_e32 v2, 16, v0
	s_addc_u32 s3, s3, 0
	v_lshlrev_b32_e32 v48, 5, v49
	v_mov_b32_e32 v4, s3
	v_add_co_u32_e32 v2, vcc, s2, v2
	v_lshl_or_b32 v3, v50, 9, v48
	v_addc_co_u32_e32 v4, vcc, 0, v4, vcc
	v_add_co_u32_e32 v2, vcc, v2, v3
	v_addc_co_u32_e32 v3, vcc, 0, v4, vcc
	s_movk_i32 s8, 0x80
	s_waitcnt vmcnt(7)
	v_cmp_ne_u16_sdwa s[10:11], v34, v43 src0_sel:BYTE_0 src1_sel:DWORD
	s_waitcnt vmcnt(3)
	v_mad_i64_i32 v[4:5], s[2:3], v10, s13, v[2:3]
	s_waitcnt vmcnt(2)
	v_mad_i64_i32 v[6:7], s[2:3], v11, s13, v[2:3]
	;; [unrolled: 2-line block ×4, first 2 shown]
	global_load_dwordx4 v[14:17], v[4:5], off
	global_load_dwordx4 v[10:13], v[6:7], off
	s_nop 0
	global_load_dwordx4 v[6:9], v[8:9], off
	s_nop 0
	global_load_dwordx4 v[2:5], v[2:3], off
	s_load_dwordx4 s[40:43], s[4:5], 0x80
	s_load_dwordx2 s[44:45], s[4:5], 0x94
	s_waitcnt lgkmcnt(0)
	s_load_dword s12, s[40:41], 0x0
	s_and_saveexec_b64 s[2:3], s[10:11]
	s_cbranch_execz .LBB873_19
; %bb.14:
	v_cmp_ne_u16_sdwa s[10:11], v34, s8 src0_sel:BYTE_0 src1_sel:DWORD
	v_mov_b32_e32 v43, 0xffff8000
	s_and_saveexec_b64 s[8:9], s[10:11]
	s_cbranch_execz .LBB873_18
; %bb.15:
	s_movk_i32 s10, 0x7f
	v_and_b32_e32 v42, 0x7f, v34
	v_cmp_ne_u32_e32 vcc, s10, v42
	v_mov_b32_e32 v43, 0x7f80
	s_and_saveexec_b64 s[10:11], vcc
	s_cbranch_execz .LBB873_17
; %bb.16:
	v_and_b32_e32 v43, 7, v34
	v_ffbh_u32_e32 v44, v43
	v_min_u32_e32 v53, 32, v44
	v_subrev_u32_e32 v44, 28, v53
	v_lshlrev_b64 v[44:45], v44, v[34:35]
	v_lshrrev_b32_e32 v52, 3, v42
	v_sub_u32_e32 v45, 29, v53
	v_and_b32_e32 v44, 7, v44
	v_cmp_gt_u32_e32 vcc, 8, v42
	v_cndmask_b32_e32 v42, v52, v45, vcc
	v_cndmask_b32_e32 v43, v43, v44, vcc
	v_lshlrev_b32_e32 v44, 24, v34
	v_bfrev_b32_e32 v45, 60
	v_lshlrev_b32_e32 v43, 20, v43
	v_and_b32_e32 v44, 0x80000000, v44
	v_lshl_add_u32 v42, v42, 23, v45
	v_or3_b32 v42, v44, v42, v43
	v_lshrrev_b32_e32 v43, 16, v42
.LBB873_17:
	s_or_b64 exec, exec, s[10:11]
.LBB873_18:
	s_or_b64 exec, exec, s[8:9]
.LBB873_19:
	s_or_b64 exec, exec, s[2:3]
	v_lshrrev_b16_e32 v42, 8, v34
	v_cmp_ne_u16_e32 vcc, 0, v42
	v_mov_b32_e32 v45, 0
	v_mov_b32_e32 v44, 0
	s_and_saveexec_b64 s[2:3], vcc
	s_cbranch_execz .LBB873_25
; %bb.20:
	s_movk_i32 s8, 0x80
	v_cmp_ne_u16_e32 vcc, s8, v42
	v_mov_b32_e32 v44, 0xffff8000
	s_and_saveexec_b64 s[8:9], vcc
	s_cbranch_execz .LBB873_24
; %bb.21:
	s_movk_i32 s10, 0x7f
	v_and_b32_e32 v52, 0x7f, v42
	v_cmp_ne_u32_e32 vcc, s10, v52
	v_mov_b32_e32 v44, 0x7f80
	s_and_saveexec_b64 s[10:11], vcc
	s_cbranch_execz .LBB873_23
; %bb.22:
	v_and_b32_e32 v44, 7, v42
	v_ffbh_u32_e32 v54, v44
	v_min_u32_e32 v56, 32, v54
	v_subrev_u32_e32 v54, 28, v56
	v_lshlrev_b64 v[54:55], v54, v[42:43]
	v_lshrrev_b32_e32 v53, 3, v52
	v_sub_u32_e32 v42, 29, v56
	v_and_b32_e32 v54, 7, v54
	v_cmp_gt_u32_e32 vcc, 8, v52
	v_cndmask_b32_e32 v42, v53, v42, vcc
	v_cndmask_b32_e32 v44, v44, v54, vcc
	v_lshlrev_b32_e32 v52, 16, v34
	v_bfrev_b32_e32 v53, 60
	v_lshlrev_b32_e32 v44, 20, v44
	v_and_b32_e32 v52, 0x80000000, v52
	v_lshl_add_u32 v42, v42, 23, v53
	v_or3_b32 v42, v52, v42, v44
	v_lshrrev_b32_e32 v44, 16, v42
.LBB873_23:
	s_or_b64 exec, exec, s[10:11]
.LBB873_24:
	s_or_b64 exec, exec, s[8:9]
.LBB873_25:
	s_or_b64 exec, exec, s[2:3]
	s_movk_i32 s2, 0xff
	v_and_b32_sdwa v52, v34, s2 dst_sel:DWORD dst_unused:UNUSED_PAD src0_sel:WORD_1 src1_sel:DWORD
	v_lshrrev_b32_e32 v42, 16, v34
	v_cmp_ne_u16_e32 vcc, 0, v52
	s_and_saveexec_b64 s[2:3], vcc
	s_cbranch_execz .LBB873_31
; %bb.26:
	s_movk_i32 s8, 0x80
	v_cmp_ne_u16_e32 vcc, s8, v52
	v_mov_b32_e32 v45, 0xffff8000
	s_and_saveexec_b64 s[8:9], vcc
	s_cbranch_execz .LBB873_30
; %bb.27:
	v_bfe_u32 v52, v34, 16, 7
	s_movk_i32 s10, 0x7f
	v_cmp_ne_u32_e32 vcc, s10, v52
	v_mov_b32_e32 v45, 0x7f80
	s_and_saveexec_b64 s[10:11], vcc
	s_cbranch_execz .LBB873_29
; %bb.28:
	v_and_b32_e32 v45, 7, v42
	v_ffbh_u32_e32 v54, v45
	v_min_u32_e32 v56, 32, v54
	v_subrev_u32_e32 v54, 28, v56
	v_lshlrev_b64 v[54:55], v54, v[42:43]
	v_lshrrev_b32_e32 v53, 3, v52
	v_sub_u32_e32 v42, 29, v56
	v_and_b32_e32 v54, 7, v54
	v_cmp_gt_u32_e32 vcc, 8, v52
	v_mov_b32_e32 v52, 24
	v_cndmask_b32_e32 v42, v53, v42, vcc
	v_cndmask_b32_e32 v45, v45, v54, vcc
	v_lshlrev_b32_sdwa v52, v52, v34 dst_sel:DWORD dst_unused:UNUSED_PAD src0_sel:DWORD src1_sel:WORD_1
	v_bfrev_b32_e32 v53, 60
	v_lshlrev_b32_e32 v45, 20, v45
	v_and_b32_e32 v52, 0x80000000, v52
	v_lshl_add_u32 v42, v42, 23, v53
	v_or3_b32 v42, v52, v42, v45
	v_lshrrev_b32_e32 v45, 16, v42
.LBB873_29:
	s_or_b64 exec, exec, s[10:11]
.LBB873_30:
	s_or_b64 exec, exec, s[8:9]
.LBB873_31:
	s_or_b64 exec, exec, s[2:3]
	s_mov_b32 s2, 0xffffff
	v_cmp_lt_u32_e32 vcc, s2, v34
	v_mov_b32_e32 v53, 0
	v_mov_b32_e32 v54, 0
	s_and_saveexec_b64 s[2:3], vcc
	s_cbranch_execz .LBB873_37
; %bb.32:
	v_lshrrev_b32_e32 v42, 24, v34
	s_movk_i32 s8, 0x80
	v_cmp_ne_u32_e32 vcc, s8, v42
	v_mov_b32_e32 v54, 0xffff8000
	s_and_saveexec_b64 s[8:9], vcc
	s_cbranch_execz .LBB873_36
; %bb.33:
	v_bfe_u32 v34, v34, 24, 7
	s_movk_i32 s10, 0x7f
	v_cmp_ne_u32_e32 vcc, s10, v34
	v_mov_b32_e32 v54, 0x7f80
	s_and_saveexec_b64 s[10:11], vcc
	s_cbranch_execz .LBB873_35
; %bb.34:
	v_and_b32_e32 v52, 7, v42
	v_ffbh_u32_e32 v54, v52
	v_min_u32_e32 v57, 32, v54
	v_subrev_u32_e32 v54, 28, v57
	v_lshlrev_b64 v[54:55], v54, v[42:43]
	v_lshrrev_b32_e32 v56, 3, v34
	v_sub_u32_e32 v55, 29, v57
	v_and_b32_e32 v54, 7, v54
	v_cmp_gt_u32_e32 vcc, 8, v34
	v_cndmask_b32_e32 v34, v56, v55, vcc
	v_cndmask_b32_e32 v52, v52, v54, vcc
	v_lshlrev_b32_e32 v42, 24, v42
	v_bfrev_b32_e32 v54, 60
	v_lshlrev_b32_e32 v52, 20, v52
	v_and_b32_e32 v42, 0x80000000, v42
	v_lshl_add_u32 v34, v34, 23, v54
	v_or3_b32 v34, v42, v34, v52
	v_lshrrev_b32_e32 v54, 16, v34
.LBB873_35:
	s_or_b64 exec, exec, s[10:11]
.LBB873_36:
	s_or_b64 exec, exec, s[8:9]
.LBB873_37:
	s_or_b64 exec, exec, s[2:3]
	v_cmp_ne_u16_sdwa s[8:9], v35, v53 src0_sel:BYTE_0 src1_sel:DWORD
	s_and_saveexec_b64 s[2:3], s[8:9]
	s_cbranch_execz .LBB873_43
; %bb.38:
	s_movk_i32 s8, 0x80
	v_cmp_ne_u16_sdwa s[10:11], v35, s8 src0_sel:BYTE_0 src1_sel:DWORD
	v_mov_b32_e32 v53, 0xffff8000
	s_and_saveexec_b64 s[8:9], s[10:11]
	s_cbranch_execz .LBB873_42
; %bb.39:
	s_movk_i32 s10, 0x7f
	v_and_b32_e32 v34, 0x7f, v35
	v_cmp_ne_u32_e32 vcc, s10, v34
	v_mov_b32_e32 v53, 0x7f80
	s_and_saveexec_b64 s[10:11], vcc
	s_cbranch_execz .LBB873_41
; %bb.40:
	v_and_b32_e32 v55, 7, v35
	v_ffbh_u32_e32 v52, v55
	v_min_u32_e32 v57, 32, v52
	v_mov_b32_e32 v42, v35
	v_subrev_u32_e32 v52, 28, v57
	v_lshlrev_b64 v[52:53], v52, v[42:43]
	v_lshrrev_b32_e32 v56, 3, v34
	v_sub_u32_e32 v42, 29, v57
	v_and_b32_e32 v52, 7, v52
	v_cmp_gt_u32_e32 vcc, 8, v34
	v_cndmask_b32_e32 v34, v56, v42, vcc
	v_cndmask_b32_e32 v42, v55, v52, vcc
	v_lshlrev_b32_e32 v52, 24, v35
	v_bfrev_b32_e32 v53, 60
	v_lshlrev_b32_e32 v42, 20, v42
	v_and_b32_e32 v52, 0x80000000, v52
	v_lshl_add_u32 v34, v34, 23, v53
	v_or3_b32 v34, v52, v34, v42
	v_lshrrev_b32_e32 v53, 16, v34
.LBB873_41:
	s_or_b64 exec, exec, s[10:11]
.LBB873_42:
	s_or_b64 exec, exec, s[8:9]
.LBB873_43:
	s_or_b64 exec, exec, s[2:3]
	v_lshrrev_b16_e32 v34, 8, v35
	v_cmp_ne_u16_e32 vcc, 0, v34
	v_mov_b32_e32 v55, 0
	v_mov_b32_e32 v42, 0
	s_and_saveexec_b64 s[2:3], vcc
	s_cbranch_execz .LBB873_49
; %bb.44:
	s_movk_i32 s8, 0x80
	v_cmp_ne_u16_e32 vcc, s8, v34
	v_mov_b32_e32 v42, 0xffff8000
	s_and_saveexec_b64 s[8:9], vcc
	s_cbranch_execz .LBB873_48
; %bb.45:
	s_movk_i32 s10, 0x7f
	v_and_b32_e32 v52, 0x7f, v34
	v_cmp_ne_u32_e32 vcc, s10, v52
	v_mov_b32_e32 v42, 0x7f80
	s_and_saveexec_b64 s[10:11], vcc
	s_cbranch_execz .LBB873_47
; %bb.46:
	v_and_b32_e32 v42, 7, v34
	v_ffbh_u32_e32 v56, v42
	v_min_u32_e32 v59, 32, v56
	v_subrev_u32_e32 v56, 28, v59
	v_lshlrev_b64 v[56:57], v56, v[34:35]
	v_lshrrev_b32_e32 v58, 3, v52
	v_sub_u32_e32 v34, 29, v59
	v_and_b32_e32 v56, 7, v56
	v_cmp_gt_u32_e32 vcc, 8, v52
	v_cndmask_b32_e32 v34, v58, v34, vcc
	v_cndmask_b32_e32 v42, v42, v56, vcc
	v_lshlrev_b32_e32 v52, 16, v35
	v_bfrev_b32_e32 v56, 60
	v_lshlrev_b32_e32 v42, 20, v42
	v_and_b32_e32 v52, 0x80000000, v52
	v_lshl_add_u32 v34, v34, 23, v56
	v_or3_b32 v34, v52, v34, v42
	v_lshrrev_b32_e32 v42, 16, v34
.LBB873_47:
	s_or_b64 exec, exec, s[10:11]
.LBB873_48:
	s_or_b64 exec, exec, s[8:9]
.LBB873_49:
	s_or_b64 exec, exec, s[2:3]
	s_movk_i32 s2, 0xff
	v_and_b32_sdwa v52, v35, s2 dst_sel:DWORD dst_unused:UNUSED_PAD src0_sel:WORD_1 src1_sel:DWORD
	v_lshrrev_b32_e32 v34, 16, v35
	v_cmp_ne_u16_e32 vcc, 0, v52
	s_and_saveexec_b64 s[2:3], vcc
	s_cbranch_execz .LBB873_55
; %bb.50:
	s_movk_i32 s8, 0x80
	v_cmp_ne_u16_e32 vcc, s8, v52
	v_mov_b32_e32 v55, 0xffff8000
	s_and_saveexec_b64 s[8:9], vcc
	s_cbranch_execz .LBB873_54
; %bb.51:
	v_bfe_u32 v52, v35, 16, 7
	s_movk_i32 s10, 0x7f
	v_cmp_ne_u32_e32 vcc, s10, v52
	v_mov_b32_e32 v55, 0x7f80
	s_and_saveexec_b64 s[10:11], vcc
	s_cbranch_execz .LBB873_53
; %bb.52:
	v_and_b32_e32 v55, 7, v34
	v_ffbh_u32_e32 v56, v55
	v_min_u32_e32 v59, 32, v56
	v_subrev_u32_e32 v56, 28, v59
	v_lshlrev_b64 v[56:57], v56, v[34:35]
	v_and_b32_e32 v56, 7, v56
	v_cmp_gt_u32_e32 vcc, 8, v52
	v_lshrrev_b32_e32 v58, 3, v52
	v_sub_u32_e32 v34, 29, v59
	v_cndmask_b32_e32 v52, v55, v56, vcc
	v_mov_b32_e32 v55, 24
	v_cndmask_b32_e32 v34, v58, v34, vcc
	v_lshlrev_b32_sdwa v55, v55, v35 dst_sel:DWORD dst_unused:UNUSED_PAD src0_sel:DWORD src1_sel:WORD_1
	v_bfrev_b32_e32 v56, 60
	v_lshlrev_b32_e32 v52, 20, v52
	v_and_b32_e32 v55, 0x80000000, v55
	v_lshl_add_u32 v34, v34, 23, v56
	v_or3_b32 v34, v55, v34, v52
	v_lshrrev_b32_e32 v55, 16, v34
.LBB873_53:
	s_or_b64 exec, exec, s[10:11]
.LBB873_54:
	s_or_b64 exec, exec, s[8:9]
.LBB873_55:
	s_or_b64 exec, exec, s[2:3]
	s_mov_b32 s2, 0xffffff
	v_cmp_lt_u32_e32 vcc, s2, v35
	v_mov_b32_e32 v52, 0
	v_mov_b32_e32 v56, 0
	s_and_saveexec_b64 s[2:3], vcc
	s_cbranch_execz .LBB873_61
; %bb.56:
	v_lshrrev_b32_e32 v34, 24, v35
	s_movk_i32 s8, 0x80
	v_cmp_ne_u32_e32 vcc, s8, v34
	v_mov_b32_e32 v56, 0xffff8000
	s_and_saveexec_b64 s[8:9], vcc
	s_cbranch_execz .LBB873_60
; %bb.57:
	v_bfe_u32 v35, v35, 24, 7
	s_movk_i32 s10, 0x7f
	v_cmp_ne_u32_e32 vcc, s10, v35
	v_mov_b32_e32 v56, 0x7f80
	s_and_saveexec_b64 s[10:11], vcc
	s_cbranch_execz .LBB873_59
; %bb.58:
	v_and_b32_e32 v58, 7, v34
	v_ffbh_u32_e32 v56, v58
	v_min_u32_e32 v60, 32, v56
	v_subrev_u32_e32 v56, 28, v60
	v_lshlrev_b64 v[56:57], v56, v[34:35]
	v_lshrrev_b32_e32 v59, 3, v35
	v_sub_u32_e32 v57, 29, v60
	v_and_b32_e32 v56, 7, v56
	v_cmp_gt_u32_e32 vcc, 8, v35
	v_cndmask_b32_e32 v35, v59, v57, vcc
	v_cndmask_b32_e32 v56, v58, v56, vcc
	v_lshlrev_b32_e32 v34, 24, v34
	v_bfrev_b32_e32 v57, 60
	v_lshlrev_b32_e32 v56, 20, v56
	v_and_b32_e32 v34, 0x80000000, v34
	v_lshl_add_u32 v35, v35, 23, v57
	v_or3_b32 v34, v34, v35, v56
	v_lshrrev_b32_e32 v56, 16, v34
.LBB873_59:
	s_or_b64 exec, exec, s[10:11]
.LBB873_60:
	s_or_b64 exec, exec, s[8:9]
.LBB873_61:
	s_or_b64 exec, exec, s[2:3]
	s_mov_b32 s2, 0x5040100
	v_perm_b32 v35, v54, v45, s2
	v_perm_b32 v34, v44, v43, s2
	v_cmp_ne_u16_sdwa s[8:9], v36, v52 src0_sel:BYTE_0 src1_sel:DWORD
	s_nop 0
	v_mfma_f32_16x16x16bf16_1k v[58:61], v[34:35], v[26:27], 0
	v_perm_b32 v35, v56, v55, s2
	v_perm_b32 v34, v42, v53, s2
	s_nop 1
	v_mfma_f32_16x16x16bf16_1k v[42:45], v[34:35], v[28:29], v[58:61]
	s_and_saveexec_b64 s[2:3], s[8:9]
	s_cbranch_execz .LBB873_67
; %bb.62:
	s_movk_i32 s8, 0x80
	v_cmp_ne_u16_sdwa s[10:11], v36, s8 src0_sel:BYTE_0 src1_sel:DWORD
	v_mov_b32_e32 v52, 0xffff8000
	s_and_saveexec_b64 s[8:9], s[10:11]
	s_cbranch_execz .LBB873_66
; %bb.63:
	s_movk_i32 s10, 0x7f
	v_and_b32_e32 v34, 0x7f, v36
	v_cmp_ne_u32_e32 vcc, s10, v34
	v_mov_b32_e32 v52, 0x7f80
	s_and_saveexec_b64 s[10:11], vcc
	s_cbranch_execz .LBB873_65
; %bb.64:
	v_and_b32_e32 v35, 7, v36
	v_ffbh_u32_e32 v52, v35
	v_min_u32_e32 v55, 32, v52
	v_subrev_u32_e32 v52, 28, v55
	v_lshlrev_b64 v[52:53], v52, v[36:37]
	v_lshrrev_b32_e32 v54, 3, v34
	v_sub_u32_e32 v53, 29, v55
	v_and_b32_e32 v52, 7, v52
	v_cmp_gt_u32_e32 vcc, 8, v34
	v_cndmask_b32_e32 v34, v54, v53, vcc
	v_cndmask_b32_e32 v35, v35, v52, vcc
	v_lshlrev_b32_e32 v52, 24, v36
	v_bfrev_b32_e32 v53, 60
	v_lshlrev_b32_e32 v35, 20, v35
	v_and_b32_e32 v52, 0x80000000, v52
	v_lshl_add_u32 v34, v34, 23, v53
	v_or3_b32 v34, v52, v34, v35
	v_lshrrev_b32_e32 v52, 16, v34
.LBB873_65:
	s_or_b64 exec, exec, s[10:11]
.LBB873_66:
	s_or_b64 exec, exec, s[8:9]
.LBB873_67:
	s_or_b64 exec, exec, s[2:3]
	v_lshrrev_b16_e32 v34, 8, v36
	v_cmp_ne_u16_e32 vcc, 0, v34
	v_mov_b32_e32 v54, 0
	v_mov_b32_e32 v35, 0
	s_and_saveexec_b64 s[2:3], vcc
	s_cbranch_execz .LBB873_73
; %bb.68:
	s_movk_i32 s8, 0x80
	v_cmp_ne_u16_e32 vcc, s8, v34
	v_mov_b32_e32 v35, 0xffff8000
	s_and_saveexec_b64 s[8:9], vcc
	s_cbranch_execz .LBB873_72
; %bb.69:
	s_movk_i32 s10, 0x7f
	v_and_b32_e32 v53, 0x7f, v34
	v_cmp_ne_u32_e32 vcc, s10, v53
	v_mov_b32_e32 v35, 0x7f80
	s_and_saveexec_b64 s[10:11], vcc
	s_cbranch_execz .LBB873_71
; %bb.70:
	v_and_b32_e32 v55, 7, v34
	v_ffbh_u32_e32 v35, v55
	v_min_u32_e32 v57, 32, v35
	v_subrev_u32_e32 v35, 28, v57
	v_lshlrev_b64 v[34:35], v35, v[34:35]
	v_lshrrev_b32_e32 v56, 3, v53
	v_sub_u32_e32 v35, 29, v57
	v_and_b32_e32 v34, 7, v34
	v_cmp_gt_u32_e32 vcc, 8, v53
	v_cndmask_b32_e32 v35, v56, v35, vcc
	v_cndmask_b32_e32 v34, v55, v34, vcc
	v_lshlrev_b32_e32 v53, 16, v36
	v_bfrev_b32_e32 v55, 60
	v_lshlrev_b32_e32 v34, 20, v34
	v_and_b32_e32 v53, 0x80000000, v53
	v_lshl_add_u32 v35, v35, 23, v55
	v_or3_b32 v34, v53, v35, v34
	v_lshrrev_b32_e32 v35, 16, v34
.LBB873_71:
	s_or_b64 exec, exec, s[10:11]
.LBB873_72:
	s_or_b64 exec, exec, s[8:9]
.LBB873_73:
	s_or_b64 exec, exec, s[2:3]
	s_movk_i32 s2, 0xff
	v_and_b32_sdwa v53, v36, s2 dst_sel:DWORD dst_unused:UNUSED_PAD src0_sel:WORD_1 src1_sel:DWORD
	v_lshrrev_b32_e32 v34, 16, v36
	v_cmp_ne_u16_e32 vcc, 0, v53
	s_and_saveexec_b64 s[2:3], vcc
	s_cbranch_execz .LBB873_79
; %bb.74:
	s_movk_i32 s8, 0x80
	v_cmp_ne_u16_e32 vcc, s8, v53
	v_mov_b32_e32 v54, 0xffff8000
	s_and_saveexec_b64 s[8:9], vcc
	s_cbranch_execz .LBB873_78
; %bb.75:
	v_bfe_u32 v53, v36, 16, 7
	s_movk_i32 s10, 0x7f
	v_cmp_ne_u32_e32 vcc, s10, v53
	v_mov_b32_e32 v54, 0x7f80
	s_and_saveexec_b64 s[10:11], vcc
	s_cbranch_execz .LBB873_77
; %bb.76:
	v_and_b32_e32 v56, 7, v34
	v_ffbh_u32_e32 v54, v56
	v_min_u32_e32 v58, 32, v54
	v_subrev_u32_e32 v54, 28, v58
	v_lshlrev_b64 v[54:55], v54, v[34:35]
	v_and_b32_e32 v54, 7, v54
	v_cmp_gt_u32_e32 vcc, 8, v53
	v_lshrrev_b32_e32 v57, 3, v53
	v_sub_u32_e32 v34, 29, v58
	v_cndmask_b32_e32 v53, v56, v54, vcc
	v_mov_b32_e32 v54, 24
	v_cndmask_b32_e32 v34, v57, v34, vcc
	v_lshlrev_b32_sdwa v54, v54, v36 dst_sel:DWORD dst_unused:UNUSED_PAD src0_sel:DWORD src1_sel:WORD_1
	v_bfrev_b32_e32 v55, 60
	v_lshlrev_b32_e32 v53, 20, v53
	v_and_b32_e32 v54, 0x80000000, v54
	v_lshl_add_u32 v34, v34, 23, v55
	v_or3_b32 v34, v54, v34, v53
	v_lshrrev_b32_e32 v54, 16, v34
.LBB873_77:
	s_or_b64 exec, exec, s[10:11]
.LBB873_78:
	s_or_b64 exec, exec, s[8:9]
.LBB873_79:
	s_or_b64 exec, exec, s[2:3]
	s_mov_b32 s2, 0xffffff
	v_cmp_lt_u32_e32 vcc, s2, v36
	v_mov_b32_e32 v55, 0
	v_mov_b32_e32 v56, 0
	s_and_saveexec_b64 s[2:3], vcc
	s_cbranch_execz .LBB873_85
; %bb.80:
	v_lshrrev_b32_e32 v34, 24, v36
	s_movk_i32 s8, 0x80
	v_cmp_ne_u32_e32 vcc, s8, v34
	v_mov_b32_e32 v56, 0xffff8000
	s_and_saveexec_b64 s[8:9], vcc
	s_cbranch_execz .LBB873_84
; %bb.81:
	v_bfe_u32 v36, v36, 24, 7
	s_movk_i32 s10, 0x7f
	v_cmp_ne_u32_e32 vcc, s10, v36
	v_mov_b32_e32 v56, 0x7f80
	s_and_saveexec_b64 s[10:11], vcc
	s_cbranch_execz .LBB873_83
; %bb.82:
	v_and_b32_e32 v53, 7, v34
	v_ffbh_u32_e32 v56, v53
	v_min_u32_e32 v59, 32, v56
	v_subrev_u32_e32 v56, 28, v59
	v_lshlrev_b64 v[56:57], v56, v[34:35]
	v_lshrrev_b32_e32 v58, 3, v36
	v_sub_u32_e32 v57, 29, v59
	v_and_b32_e32 v56, 7, v56
	v_cmp_gt_u32_e32 vcc, 8, v36
	v_cndmask_b32_e32 v36, v58, v57, vcc
	v_cndmask_b32_e32 v53, v53, v56, vcc
	v_lshlrev_b32_e32 v34, 24, v34
	v_bfrev_b32_e32 v56, 60
	v_lshlrev_b32_e32 v53, 20, v53
	v_and_b32_e32 v34, 0x80000000, v34
	v_lshl_add_u32 v36, v36, 23, v56
	v_or3_b32 v34, v34, v36, v53
	v_lshrrev_b32_e32 v56, 16, v34
.LBB873_83:
	s_or_b64 exec, exec, s[10:11]
.LBB873_84:
	s_or_b64 exec, exec, s[8:9]
.LBB873_85:
	s_or_b64 exec, exec, s[2:3]
	v_cmp_ne_u16_sdwa s[8:9], v37, v55 src0_sel:BYTE_0 src1_sel:DWORD
	s_and_saveexec_b64 s[2:3], s[8:9]
	s_cbranch_execz .LBB873_91
; %bb.86:
	s_movk_i32 s8, 0x80
	v_cmp_ne_u16_sdwa s[10:11], v37, s8 src0_sel:BYTE_0 src1_sel:DWORD
	v_mov_b32_e32 v55, 0xffff8000
	s_and_saveexec_b64 s[8:9], s[10:11]
	s_cbranch_execz .LBB873_90
; %bb.87:
	s_movk_i32 s10, 0x7f
	v_and_b32_e32 v34, 0x7f, v37
	v_cmp_ne_u32_e32 vcc, s10, v34
	v_mov_b32_e32 v55, 0x7f80
	s_and_saveexec_b64 s[10:11], vcc
	s_cbranch_execz .LBB873_89
; %bb.88:
	v_and_b32_e32 v53, 7, v37
	v_ffbh_u32_e32 v57, v53
	v_min_u32_e32 v57, 32, v57
	v_mov_b32_e32 v36, v37
	v_subrev_u32_e32 v58, 28, v57
	v_lshlrev_b64 v[58:59], v58, v[36:37]
	v_lshrrev_b32_e32 v55, 3, v34
	v_sub_u32_e32 v36, 29, v57
	v_and_b32_e32 v57, 7, v58
	v_cmp_gt_u32_e32 vcc, 8, v34
	v_cndmask_b32_e32 v34, v55, v36, vcc
	v_cndmask_b32_e32 v36, v53, v57, vcc
	v_lshlrev_b32_e32 v53, 24, v37
	v_bfrev_b32_e32 v55, 60
	v_lshlrev_b32_e32 v36, 20, v36
	v_and_b32_e32 v53, 0x80000000, v53
	v_lshl_add_u32 v34, v34, 23, v55
	v_or3_b32 v34, v53, v34, v36
	v_lshrrev_b32_e32 v55, 16, v34
.LBB873_89:
	s_or_b64 exec, exec, s[10:11]
.LBB873_90:
	s_or_b64 exec, exec, s[8:9]
.LBB873_91:
	s_or_b64 exec, exec, s[2:3]
	v_lshrrev_b16_e32 v34, 8, v37
	v_cmp_ne_u16_e32 vcc, 0, v34
	v_mov_b32_e32 v57, 0
	v_mov_b32_e32 v36, 0
	s_and_saveexec_b64 s[2:3], vcc
	s_cbranch_execz .LBB873_97
; %bb.92:
	s_movk_i32 s8, 0x80
	v_cmp_ne_u16_e32 vcc, s8, v34
	v_mov_b32_e32 v36, 0xffff8000
	s_and_saveexec_b64 s[8:9], vcc
	s_cbranch_execz .LBB873_96
; %bb.93:
	s_movk_i32 s10, 0x7f
	v_and_b32_e32 v53, 0x7f, v34
	v_cmp_ne_u32_e32 vcc, s10, v53
	v_mov_b32_e32 v36, 0x7f80
	s_and_saveexec_b64 s[10:11], vcc
	s_cbranch_execz .LBB873_95
; %bb.94:
	v_and_b32_e32 v36, 7, v34
	v_ffbh_u32_e32 v58, v36
	v_min_u32_e32 v61, 32, v58
	v_subrev_u32_e32 v58, 28, v61
	v_lshlrev_b64 v[58:59], v58, v[34:35]
	v_lshrrev_b32_e32 v60, 3, v53
	v_sub_u32_e32 v34, 29, v61
	v_and_b32_e32 v58, 7, v58
	v_cmp_gt_u32_e32 vcc, 8, v53
	v_cndmask_b32_e32 v34, v60, v34, vcc
	v_cndmask_b32_e32 v36, v36, v58, vcc
	v_lshlrev_b32_e32 v53, 16, v37
	v_bfrev_b32_e32 v58, 60
	v_lshlrev_b32_e32 v36, 20, v36
	v_and_b32_e32 v53, 0x80000000, v53
	v_lshl_add_u32 v34, v34, 23, v58
	v_or3_b32 v34, v53, v34, v36
	v_lshrrev_b32_e32 v36, 16, v34
.LBB873_95:
	s_or_b64 exec, exec, s[10:11]
.LBB873_96:
	s_or_b64 exec, exec, s[8:9]
.LBB873_97:
	s_or_b64 exec, exec, s[2:3]
	s_movk_i32 s2, 0xff
	v_and_b32_sdwa v53, v37, s2 dst_sel:DWORD dst_unused:UNUSED_PAD src0_sel:WORD_1 src1_sel:DWORD
	v_lshrrev_b32_e32 v34, 16, v37
	v_cmp_ne_u16_e32 vcc, 0, v53
	s_and_saveexec_b64 s[2:3], vcc
	s_cbranch_execz .LBB873_103
; %bb.98:
	s_movk_i32 s8, 0x80
	v_cmp_ne_u16_e32 vcc, s8, v53
	v_mov_b32_e32 v57, 0xffff8000
	s_and_saveexec_b64 s[8:9], vcc
	s_cbranch_execz .LBB873_102
; %bb.99:
	v_bfe_u32 v53, v37, 16, 7
	s_movk_i32 s10, 0x7f
	v_cmp_ne_u32_e32 vcc, s10, v53
	v_mov_b32_e32 v57, 0x7f80
	s_and_saveexec_b64 s[10:11], vcc
	s_cbranch_execz .LBB873_101
; %bb.100:
	v_and_b32_e32 v57, 7, v34
	v_ffbh_u32_e32 v58, v57
	v_min_u32_e32 v61, 32, v58
	v_subrev_u32_e32 v58, 28, v61
	v_lshlrev_b64 v[58:59], v58, v[34:35]
	v_and_b32_e32 v58, 7, v58
	v_cmp_gt_u32_e32 vcc, 8, v53
	v_lshrrev_b32_e32 v60, 3, v53
	v_sub_u32_e32 v34, 29, v61
	v_cndmask_b32_e32 v53, v57, v58, vcc
	v_mov_b32_e32 v57, 24
	v_cndmask_b32_e32 v34, v60, v34, vcc
	v_lshlrev_b32_sdwa v57, v57, v37 dst_sel:DWORD dst_unused:UNUSED_PAD src0_sel:DWORD src1_sel:WORD_1
	v_bfrev_b32_e32 v58, 60
	v_lshlrev_b32_e32 v53, 20, v53
	v_and_b32_e32 v57, 0x80000000, v57
	v_lshl_add_u32 v34, v34, 23, v58
	v_or3_b32 v34, v57, v34, v53
	v_lshrrev_b32_e32 v57, 16, v34
.LBB873_101:
	s_or_b64 exec, exec, s[10:11]
.LBB873_102:
	s_or_b64 exec, exec, s[8:9]
.LBB873_103:
	s_or_b64 exec, exec, s[2:3]
	s_mov_b32 s2, 0xffffff
	v_cmp_lt_u32_e32 vcc, s2, v37
	v_mov_b32_e32 v53, 0
	v_mov_b32_e32 v58, 0
	s_and_saveexec_b64 s[2:3], vcc
	s_cbranch_execz .LBB873_109
; %bb.104:
	v_lshrrev_b32_e32 v34, 24, v37
	s_movk_i32 s8, 0x80
	v_cmp_ne_u32_e32 vcc, s8, v34
	v_mov_b32_e32 v58, 0xffff8000
	s_and_saveexec_b64 s[8:9], vcc
	s_cbranch_execz .LBB873_108
; %bb.105:
	v_bfe_u32 v37, v37, 24, 7
	s_movk_i32 s10, 0x7f
	v_cmp_ne_u32_e32 vcc, s10, v37
	v_mov_b32_e32 v58, 0x7f80
	s_and_saveexec_b64 s[10:11], vcc
	s_cbranch_execz .LBB873_107
; %bb.106:
	v_and_b32_e32 v60, 7, v34
	v_ffbh_u32_e32 v58, v60
	v_min_u32_e32 v62, 32, v58
	v_subrev_u32_e32 v58, 28, v62
	v_lshlrev_b64 v[58:59], v58, v[34:35]
	v_lshrrev_b32_e32 v61, 3, v37
	v_sub_u32_e32 v59, 29, v62
	v_and_b32_e32 v58, 7, v58
	v_cmp_gt_u32_e32 vcc, 8, v37
	v_cndmask_b32_e32 v37, v61, v59, vcc
	v_cndmask_b32_e32 v58, v60, v58, vcc
	v_lshlrev_b32_e32 v34, 24, v34
	v_bfrev_b32_e32 v59, 60
	v_lshlrev_b32_e32 v58, 20, v58
	v_and_b32_e32 v34, 0x80000000, v34
	v_lshl_add_u32 v37, v37, 23, v59
	v_or3_b32 v34, v34, v37, v58
	v_lshrrev_b32_e32 v58, 16, v34
.LBB873_107:
	s_or_b64 exec, exec, s[10:11]
.LBB873_108:
	s_or_b64 exec, exec, s[8:9]
.LBB873_109:
	s_or_b64 exec, exec, s[2:3]
	s_mov_b32 s2, 0x5040100
	v_perm_b32 v61, v56, v54, s2
	v_perm_b32 v60, v35, v52, s2
	;; [unrolled: 1-line block ×4, first 2 shown]
	v_cmp_ne_u16_sdwa s[8:9], v38, v53 src0_sel:BYTE_0 src1_sel:DWORD
	v_mfma_f32_16x16x16bf16_1k v[42:45], v[60:61], v[18:19], v[42:45]
	v_mfma_f32_16x16x16bf16_1k v[34:37], v[34:35], v[20:21], v[42:45]
	s_and_saveexec_b64 s[2:3], s[8:9]
	s_cbranch_execz .LBB873_115
; %bb.110:
	s_movk_i32 s8, 0x80
	v_cmp_ne_u16_sdwa s[10:11], v38, s8 src0_sel:BYTE_0 src1_sel:DWORD
	v_mov_b32_e32 v53, 0xffff8000
	s_and_saveexec_b64 s[8:9], s[10:11]
	s_cbranch_execz .LBB873_114
; %bb.111:
	s_movk_i32 s10, 0x7f
	s_nop 1
	v_and_b32_e32 v42, 0x7f, v38
	v_cmp_ne_u32_e32 vcc, s10, v42
	v_mov_b32_e32 v53, 0x7f80
	s_and_saveexec_b64 s[10:11], vcc
	s_cbranch_execz .LBB873_113
; %bb.112:
	v_and_b32_e32 v43, 7, v38
	v_ffbh_u32_e32 v44, v43
	v_min_u32_e32 v53, 32, v44
	v_subrev_u32_e32 v44, 28, v53
	v_lshlrev_b64 v[44:45], v44, v[38:39]
	v_lshrrev_b32_e32 v52, 3, v42
	v_sub_u32_e32 v45, 29, v53
	v_and_b32_e32 v44, 7, v44
	v_cmp_gt_u32_e32 vcc, 8, v42
	v_cndmask_b32_e32 v42, v52, v45, vcc
	v_cndmask_b32_e32 v43, v43, v44, vcc
	v_lshlrev_b32_e32 v44, 24, v38
	v_bfrev_b32_e32 v45, 60
	v_lshlrev_b32_e32 v43, 20, v43
	v_and_b32_e32 v44, 0x80000000, v44
	v_lshl_add_u32 v42, v42, 23, v45
	v_or3_b32 v42, v44, v42, v43
	v_lshrrev_b32_e32 v53, 16, v42
.LBB873_113:
	s_or_b64 exec, exec, s[10:11]
.LBB873_114:
	s_or_b64 exec, exec, s[8:9]
.LBB873_115:
	s_or_b64 exec, exec, s[2:3]
	s_nop 6
	v_lshrrev_b16_e32 v42, 8, v38
	v_cmp_ne_u16_e32 vcc, 0, v42
	v_mov_b32_e32 v44, 0
	v_mov_b32_e32 v43, 0
	s_and_saveexec_b64 s[2:3], vcc
	s_cbranch_execz .LBB873_121
; %bb.116:
	s_movk_i32 s8, 0x80
	v_cmp_ne_u16_e32 vcc, s8, v42
	v_mov_b32_e32 v43, 0xffff8000
	s_and_saveexec_b64 s[8:9], vcc
	s_cbranch_execz .LBB873_120
; %bb.117:
	s_movk_i32 s10, 0x7f
	v_and_b32_e32 v45, 0x7f, v42
	v_cmp_ne_u32_e32 vcc, s10, v45
	v_mov_b32_e32 v43, 0x7f80
	s_and_saveexec_b64 s[10:11], vcc
	s_cbranch_execz .LBB873_119
; %bb.118:
	v_and_b32_e32 v52, 7, v42
	v_ffbh_u32_e32 v43, v52
	v_min_u32_e32 v55, 32, v43
	v_subrev_u32_e32 v43, 28, v55
	v_lshlrev_b64 v[42:43], v43, v[42:43]
	v_lshrrev_b32_e32 v54, 3, v45
	v_sub_u32_e32 v43, 29, v55
	v_and_b32_e32 v42, 7, v42
	v_cmp_gt_u32_e32 vcc, 8, v45
	v_cndmask_b32_e32 v43, v54, v43, vcc
	v_cndmask_b32_e32 v42, v52, v42, vcc
	v_lshlrev_b32_e32 v45, 16, v38
	v_bfrev_b32_e32 v52, 60
	v_lshlrev_b32_e32 v42, 20, v42
	v_and_b32_e32 v45, 0x80000000, v45
	v_lshl_add_u32 v43, v43, 23, v52
	v_or3_b32 v42, v45, v43, v42
	v_lshrrev_b32_e32 v43, 16, v42
.LBB873_119:
	s_or_b64 exec, exec, s[10:11]
.LBB873_120:
	s_or_b64 exec, exec, s[8:9]
.LBB873_121:
	s_or_b64 exec, exec, s[2:3]
	s_movk_i32 s2, 0xff
	v_and_b32_sdwa v45, v38, s2 dst_sel:DWORD dst_unused:UNUSED_PAD src0_sel:WORD_1 src1_sel:DWORD
	v_lshrrev_b32_e32 v42, 16, v38
	v_cmp_ne_u16_e32 vcc, 0, v45
	s_and_saveexec_b64 s[2:3], vcc
	s_cbranch_execz .LBB873_127
; %bb.122:
	s_movk_i32 s8, 0x80
	v_cmp_ne_u16_e32 vcc, s8, v45
	v_mov_b32_e32 v44, 0xffff8000
	s_and_saveexec_b64 s[8:9], vcc
	s_cbranch_execz .LBB873_126
; %bb.123:
	v_bfe_u32 v45, v38, 16, 7
	s_movk_i32 s10, 0x7f
	v_cmp_ne_u32_e32 vcc, s10, v45
	v_mov_b32_e32 v44, 0x7f80
	s_and_saveexec_b64 s[10:11], vcc
	s_cbranch_execz .LBB873_125
; %bb.124:
	v_and_b32_e32 v44, 7, v42
	v_ffbh_u32_e32 v54, v44
	v_min_u32_e32 v56, 32, v54
	v_subrev_u32_e32 v54, 28, v56
	v_lshlrev_b64 v[54:55], v54, v[42:43]
	v_lshrrev_b32_e32 v52, 3, v45
	v_sub_u32_e32 v42, 29, v56
	v_and_b32_e32 v54, 7, v54
	v_cmp_gt_u32_e32 vcc, 8, v45
	v_mov_b32_e32 v45, 24
	v_cndmask_b32_e32 v42, v52, v42, vcc
	v_cndmask_b32_e32 v44, v44, v54, vcc
	v_lshlrev_b32_sdwa v45, v45, v38 dst_sel:DWORD dst_unused:UNUSED_PAD src0_sel:DWORD src1_sel:WORD_1
	v_bfrev_b32_e32 v52, 60
	v_lshlrev_b32_e32 v44, 20, v44
	v_and_b32_e32 v45, 0x80000000, v45
	v_lshl_add_u32 v42, v42, 23, v52
	v_or3_b32 v42, v45, v42, v44
	v_lshrrev_b32_e32 v44, 16, v42
.LBB873_125:
	s_or_b64 exec, exec, s[10:11]
.LBB873_126:
	s_or_b64 exec, exec, s[8:9]
.LBB873_127:
	s_or_b64 exec, exec, s[2:3]
	s_mov_b32 s2, 0xffffff
	v_cmp_lt_u32_e32 vcc, s2, v38
	v_mov_b32_e32 v45, 0
	v_mov_b32_e32 v54, 0
	s_and_saveexec_b64 s[2:3], vcc
	s_cbranch_execz .LBB873_133
; %bb.128:
	v_lshrrev_b32_e32 v42, 24, v38
	s_movk_i32 s8, 0x80
	v_cmp_ne_u32_e32 vcc, s8, v42
	v_mov_b32_e32 v54, 0xffff8000
	s_and_saveexec_b64 s[8:9], vcc
	s_cbranch_execz .LBB873_132
; %bb.129:
	v_bfe_u32 v38, v38, 24, 7
	s_movk_i32 s10, 0x7f
	v_cmp_ne_u32_e32 vcc, s10, v38
	v_mov_b32_e32 v54, 0x7f80
	s_and_saveexec_b64 s[10:11], vcc
	s_cbranch_execz .LBB873_131
; %bb.130:
	v_and_b32_e32 v52, 7, v42
	v_ffbh_u32_e32 v54, v52
	v_min_u32_e32 v57, 32, v54
	v_subrev_u32_e32 v54, 28, v57
	v_lshlrev_b64 v[54:55], v54, v[42:43]
	v_lshrrev_b32_e32 v56, 3, v38
	v_sub_u32_e32 v55, 29, v57
	v_and_b32_e32 v54, 7, v54
	v_cmp_gt_u32_e32 vcc, 8, v38
	v_cndmask_b32_e32 v38, v56, v55, vcc
	v_cndmask_b32_e32 v52, v52, v54, vcc
	v_lshlrev_b32_e32 v42, 24, v42
	v_bfrev_b32_e32 v54, 60
	v_lshlrev_b32_e32 v52, 20, v52
	v_and_b32_e32 v42, 0x80000000, v42
	v_lshl_add_u32 v38, v38, 23, v54
	v_or3_b32 v38, v42, v38, v52
	v_lshrrev_b32_e32 v54, 16, v38
.LBB873_131:
	s_or_b64 exec, exec, s[10:11]
.LBB873_132:
	s_or_b64 exec, exec, s[8:9]
.LBB873_133:
	s_or_b64 exec, exec, s[2:3]
	v_cmp_ne_u16_sdwa s[8:9], v39, v45 src0_sel:BYTE_0 src1_sel:DWORD
	s_and_saveexec_b64 s[2:3], s[8:9]
	s_cbranch_execz .LBB873_139
; %bb.134:
	s_movk_i32 s8, 0x80
	v_cmp_ne_u16_sdwa s[10:11], v39, s8 src0_sel:BYTE_0 src1_sel:DWORD
	v_mov_b32_e32 v45, 0xffff8000
	s_and_saveexec_b64 s[8:9], s[10:11]
	s_cbranch_execz .LBB873_138
; %bb.135:
	s_movk_i32 s10, 0x7f
	v_and_b32_e32 v38, 0x7f, v39
	v_cmp_ne_u32_e32 vcc, s10, v38
	v_mov_b32_e32 v45, 0x7f80
	s_and_saveexec_b64 s[10:11], vcc
	s_cbranch_execz .LBB873_137
; %bb.136:
	v_and_b32_e32 v45, 7, v39
	v_ffbh_u32_e32 v55, v45
	v_min_u32_e32 v55, 32, v55
	v_mov_b32_e32 v42, v39
	v_subrev_u32_e32 v56, 28, v55
	v_lshlrev_b64 v[56:57], v56, v[42:43]
	v_lshrrev_b32_e32 v52, 3, v38
	v_sub_u32_e32 v42, 29, v55
	v_and_b32_e32 v55, 7, v56
	v_cmp_gt_u32_e32 vcc, 8, v38
	v_cndmask_b32_e32 v38, v52, v42, vcc
	v_cndmask_b32_e32 v42, v45, v55, vcc
	v_lshlrev_b32_e32 v45, 24, v39
	v_bfrev_b32_e32 v52, 60
	v_lshlrev_b32_e32 v42, 20, v42
	v_and_b32_e32 v45, 0x80000000, v45
	v_lshl_add_u32 v38, v38, 23, v52
	v_or3_b32 v38, v45, v38, v42
	v_lshrrev_b32_e32 v45, 16, v38
.LBB873_137:
	s_or_b64 exec, exec, s[10:11]
.LBB873_138:
	s_or_b64 exec, exec, s[8:9]
.LBB873_139:
	s_or_b64 exec, exec, s[2:3]
	v_lshrrev_b16_e32 v38, 8, v39
	v_cmp_ne_u16_e32 vcc, 0, v38
	v_mov_b32_e32 v55, 0
	v_mov_b32_e32 v42, 0
	s_and_saveexec_b64 s[2:3], vcc
	s_cbranch_execz .LBB873_145
; %bb.140:
	s_movk_i32 s8, 0x80
	v_cmp_ne_u16_e32 vcc, s8, v38
	v_mov_b32_e32 v42, 0xffff8000
	s_and_saveexec_b64 s[8:9], vcc
	s_cbranch_execz .LBB873_144
; %bb.141:
	s_movk_i32 s10, 0x7f
	v_and_b32_e32 v52, 0x7f, v38
	v_cmp_ne_u32_e32 vcc, s10, v52
	v_mov_b32_e32 v42, 0x7f80
	s_and_saveexec_b64 s[10:11], vcc
	s_cbranch_execz .LBB873_143
; %bb.142:
	v_and_b32_e32 v42, 7, v38
	v_ffbh_u32_e32 v56, v42
	v_min_u32_e32 v59, 32, v56
	v_subrev_u32_e32 v56, 28, v59
	v_lshlrev_b64 v[56:57], v56, v[38:39]
	v_lshrrev_b32_e32 v58, 3, v52
	v_sub_u32_e32 v38, 29, v59
	v_and_b32_e32 v56, 7, v56
	v_cmp_gt_u32_e32 vcc, 8, v52
	v_cndmask_b32_e32 v38, v58, v38, vcc
	v_cndmask_b32_e32 v42, v42, v56, vcc
	v_lshlrev_b32_e32 v52, 16, v39
	v_bfrev_b32_e32 v56, 60
	v_lshlrev_b32_e32 v42, 20, v42
	v_and_b32_e32 v52, 0x80000000, v52
	v_lshl_add_u32 v38, v38, 23, v56
	v_or3_b32 v38, v52, v38, v42
	v_lshrrev_b32_e32 v42, 16, v38
.LBB873_143:
	s_or_b64 exec, exec, s[10:11]
.LBB873_144:
	s_or_b64 exec, exec, s[8:9]
.LBB873_145:
	s_or_b64 exec, exec, s[2:3]
	s_movk_i32 s2, 0xff
	v_and_b32_sdwa v52, v39, s2 dst_sel:DWORD dst_unused:UNUSED_PAD src0_sel:WORD_1 src1_sel:DWORD
	v_lshrrev_b32_e32 v38, 16, v39
	v_cmp_ne_u16_e32 vcc, 0, v52
	s_and_saveexec_b64 s[2:3], vcc
	s_cbranch_execz .LBB873_151
; %bb.146:
	s_movk_i32 s8, 0x80
	v_cmp_ne_u16_e32 vcc, s8, v52
	v_mov_b32_e32 v55, 0xffff8000
	s_and_saveexec_b64 s[8:9], vcc
	s_cbranch_execz .LBB873_150
; %bb.147:
	v_bfe_u32 v52, v39, 16, 7
	s_movk_i32 s10, 0x7f
	v_cmp_ne_u32_e32 vcc, s10, v52
	v_mov_b32_e32 v55, 0x7f80
	s_and_saveexec_b64 s[10:11], vcc
	s_cbranch_execz .LBB873_149
; %bb.148:
	v_and_b32_e32 v55, 7, v38
	v_ffbh_u32_e32 v56, v55
	v_min_u32_e32 v59, 32, v56
	v_subrev_u32_e32 v56, 28, v59
	v_lshlrev_b64 v[56:57], v56, v[38:39]
	v_and_b32_e32 v56, 7, v56
	v_cmp_gt_u32_e32 vcc, 8, v52
	v_lshrrev_b32_e32 v58, 3, v52
	v_sub_u32_e32 v38, 29, v59
	v_cndmask_b32_e32 v52, v55, v56, vcc
	v_mov_b32_e32 v55, 24
	v_cndmask_b32_e32 v38, v58, v38, vcc
	v_lshlrev_b32_sdwa v55, v55, v39 dst_sel:DWORD dst_unused:UNUSED_PAD src0_sel:DWORD src1_sel:WORD_1
	v_bfrev_b32_e32 v56, 60
	v_lshlrev_b32_e32 v52, 20, v52
	v_and_b32_e32 v55, 0x80000000, v55
	v_lshl_add_u32 v38, v38, 23, v56
	v_or3_b32 v38, v55, v38, v52
	v_lshrrev_b32_e32 v55, 16, v38
.LBB873_149:
	s_or_b64 exec, exec, s[10:11]
.LBB873_150:
	s_or_b64 exec, exec, s[8:9]
.LBB873_151:
	s_or_b64 exec, exec, s[2:3]
	s_mov_b32 s2, 0xffffff
	v_cmp_lt_u32_e32 vcc, s2, v39
	v_mov_b32_e32 v52, 0
	v_mov_b32_e32 v56, 0
	s_and_saveexec_b64 s[2:3], vcc
	s_cbranch_execz .LBB873_157
; %bb.152:
	v_lshrrev_b32_e32 v38, 24, v39
	s_movk_i32 s8, 0x80
	v_cmp_ne_u32_e32 vcc, s8, v38
	v_mov_b32_e32 v56, 0xffff8000
	s_and_saveexec_b64 s[8:9], vcc
	s_cbranch_execz .LBB873_156
; %bb.153:
	v_bfe_u32 v39, v39, 24, 7
	s_movk_i32 s10, 0x7f
	v_cmp_ne_u32_e32 vcc, s10, v39
	v_mov_b32_e32 v56, 0x7f80
	s_and_saveexec_b64 s[10:11], vcc
	s_cbranch_execz .LBB873_155
; %bb.154:
	v_and_b32_e32 v58, 7, v38
	v_ffbh_u32_e32 v56, v58
	v_min_u32_e32 v60, 32, v56
	v_subrev_u32_e32 v56, 28, v60
	v_lshlrev_b64 v[56:57], v56, v[38:39]
	v_lshrrev_b32_e32 v59, 3, v39
	v_sub_u32_e32 v57, 29, v60
	v_and_b32_e32 v56, 7, v56
	v_cmp_gt_u32_e32 vcc, 8, v39
	v_cndmask_b32_e32 v39, v59, v57, vcc
	v_cndmask_b32_e32 v56, v58, v56, vcc
	v_lshlrev_b32_e32 v38, 24, v38
	v_bfrev_b32_e32 v57, 60
	v_lshlrev_b32_e32 v56, 20, v56
	v_and_b32_e32 v38, 0x80000000, v38
	v_lshl_add_u32 v39, v39, 23, v57
	v_or3_b32 v38, v38, v39, v56
	v_lshrrev_b32_e32 v56, 16, v38
.LBB873_155:
	s_or_b64 exec, exec, s[10:11]
.LBB873_156:
	s_or_b64 exec, exec, s[8:9]
.LBB873_157:
	s_or_b64 exec, exec, s[2:3]
	s_mov_b32 s2, 0x5040100
	v_perm_b32 v39, v54, v44, s2
	v_perm_b32 v38, v43, v53, s2
	v_cmp_ne_u16_sdwa s[8:9], v40, v52 src0_sel:BYTE_0 src1_sel:DWORD
	s_nop 0
	v_mfma_f32_16x16x16bf16_1k v[58:61], v[38:39], v[26:27], 0
	v_perm_b32 v39, v56, v55, s2
	v_perm_b32 v38, v42, v45, s2
	s_nop 1
	v_mfma_f32_16x16x16bf16_1k v[42:45], v[38:39], v[28:29], v[58:61]
	s_and_saveexec_b64 s[2:3], s[8:9]
	s_cbranch_execz .LBB873_163
; %bb.158:
	s_movk_i32 s8, 0x80
	v_cmp_ne_u16_sdwa s[10:11], v40, s8 src0_sel:BYTE_0 src1_sel:DWORD
	v_mov_b32_e32 v52, 0xffff8000
	s_and_saveexec_b64 s[8:9], s[10:11]
	s_cbranch_execz .LBB873_162
; %bb.159:
	s_movk_i32 s10, 0x7f
	v_and_b32_e32 v38, 0x7f, v40
	v_cmp_ne_u32_e32 vcc, s10, v38
	v_mov_b32_e32 v52, 0x7f80
	s_and_saveexec_b64 s[10:11], vcc
	s_cbranch_execz .LBB873_161
; %bb.160:
	v_and_b32_e32 v39, 7, v40
	v_ffbh_u32_e32 v52, v39
	v_min_u32_e32 v55, 32, v52
	v_subrev_u32_e32 v52, 28, v55
	v_lshlrev_b64 v[52:53], v52, v[40:41]
	v_lshrrev_b32_e32 v54, 3, v38
	v_sub_u32_e32 v53, 29, v55
	v_and_b32_e32 v52, 7, v52
	v_cmp_gt_u32_e32 vcc, 8, v38
	v_cndmask_b32_e32 v38, v54, v53, vcc
	v_cndmask_b32_e32 v39, v39, v52, vcc
	v_lshlrev_b32_e32 v52, 24, v40
	v_bfrev_b32_e32 v53, 60
	v_lshlrev_b32_e32 v39, 20, v39
	v_and_b32_e32 v52, 0x80000000, v52
	v_lshl_add_u32 v38, v38, 23, v53
	v_or3_b32 v38, v52, v38, v39
	v_lshrrev_b32_e32 v52, 16, v38
.LBB873_161:
	s_or_b64 exec, exec, s[10:11]
.LBB873_162:
	s_or_b64 exec, exec, s[8:9]
.LBB873_163:
	s_or_b64 exec, exec, s[2:3]
	v_lshrrev_b16_e32 v38, 8, v40
	v_cmp_ne_u16_e32 vcc, 0, v38
	v_mov_b32_e32 v54, 0
	v_mov_b32_e32 v39, 0
	s_and_saveexec_b64 s[2:3], vcc
	s_cbranch_execz .LBB873_169
; %bb.164:
	s_movk_i32 s8, 0x80
	v_cmp_ne_u16_e32 vcc, s8, v38
	v_mov_b32_e32 v39, 0xffff8000
	s_and_saveexec_b64 s[8:9], vcc
	s_cbranch_execz .LBB873_168
; %bb.165:
	s_movk_i32 s10, 0x7f
	v_and_b32_e32 v53, 0x7f, v38
	v_cmp_ne_u32_e32 vcc, s10, v53
	v_mov_b32_e32 v39, 0x7f80
	s_and_saveexec_b64 s[10:11], vcc
	s_cbranch_execz .LBB873_167
; %bb.166:
	v_and_b32_e32 v55, 7, v38
	v_ffbh_u32_e32 v39, v55
	v_min_u32_e32 v57, 32, v39
	v_subrev_u32_e32 v39, 28, v57
	v_lshlrev_b64 v[38:39], v39, v[38:39]
	v_lshrrev_b32_e32 v56, 3, v53
	v_sub_u32_e32 v39, 29, v57
	v_and_b32_e32 v38, 7, v38
	v_cmp_gt_u32_e32 vcc, 8, v53
	v_cndmask_b32_e32 v39, v56, v39, vcc
	v_cndmask_b32_e32 v38, v55, v38, vcc
	v_lshlrev_b32_e32 v53, 16, v40
	v_bfrev_b32_e32 v55, 60
	v_lshlrev_b32_e32 v38, 20, v38
	v_and_b32_e32 v53, 0x80000000, v53
	v_lshl_add_u32 v39, v39, 23, v55
	v_or3_b32 v38, v53, v39, v38
	v_lshrrev_b32_e32 v39, 16, v38
.LBB873_167:
	s_or_b64 exec, exec, s[10:11]
.LBB873_168:
	s_or_b64 exec, exec, s[8:9]
.LBB873_169:
	s_or_b64 exec, exec, s[2:3]
	s_movk_i32 s2, 0xff
	v_and_b32_sdwa v53, v40, s2 dst_sel:DWORD dst_unused:UNUSED_PAD src0_sel:WORD_1 src1_sel:DWORD
	v_lshrrev_b32_e32 v38, 16, v40
	v_cmp_ne_u16_e32 vcc, 0, v53
	s_and_saveexec_b64 s[2:3], vcc
	s_cbranch_execz .LBB873_175
; %bb.170:
	s_movk_i32 s8, 0x80
	v_cmp_ne_u16_e32 vcc, s8, v53
	v_mov_b32_e32 v54, 0xffff8000
	s_and_saveexec_b64 s[8:9], vcc
	s_cbranch_execz .LBB873_174
; %bb.171:
	v_bfe_u32 v53, v40, 16, 7
	s_movk_i32 s10, 0x7f
	v_cmp_ne_u32_e32 vcc, s10, v53
	v_mov_b32_e32 v54, 0x7f80
	s_and_saveexec_b64 s[10:11], vcc
	s_cbranch_execz .LBB873_173
; %bb.172:
	v_and_b32_e32 v56, 7, v38
	v_ffbh_u32_e32 v54, v56
	v_min_u32_e32 v58, 32, v54
	v_subrev_u32_e32 v54, 28, v58
	v_lshlrev_b64 v[54:55], v54, v[38:39]
	v_and_b32_e32 v54, 7, v54
	v_cmp_gt_u32_e32 vcc, 8, v53
	v_lshrrev_b32_e32 v57, 3, v53
	v_sub_u32_e32 v38, 29, v58
	v_cndmask_b32_e32 v53, v56, v54, vcc
	v_mov_b32_e32 v54, 24
	v_cndmask_b32_e32 v38, v57, v38, vcc
	v_lshlrev_b32_sdwa v54, v54, v40 dst_sel:DWORD dst_unused:UNUSED_PAD src0_sel:DWORD src1_sel:WORD_1
	v_bfrev_b32_e32 v55, 60
	v_lshlrev_b32_e32 v53, 20, v53
	v_and_b32_e32 v54, 0x80000000, v54
	v_lshl_add_u32 v38, v38, 23, v55
	v_or3_b32 v38, v54, v38, v53
	v_lshrrev_b32_e32 v54, 16, v38
.LBB873_173:
	s_or_b64 exec, exec, s[10:11]
.LBB873_174:
	s_or_b64 exec, exec, s[8:9]
.LBB873_175:
	s_or_b64 exec, exec, s[2:3]
	s_mov_b32 s2, 0xffffff
	v_cmp_lt_u32_e32 vcc, s2, v40
	v_mov_b32_e32 v55, 0
	v_mov_b32_e32 v56, 0
	s_and_saveexec_b64 s[2:3], vcc
	s_cbranch_execz .LBB873_181
; %bb.176:
	v_lshrrev_b32_e32 v38, 24, v40
	s_movk_i32 s8, 0x80
	v_cmp_ne_u32_e32 vcc, s8, v38
	v_mov_b32_e32 v56, 0xffff8000
	s_and_saveexec_b64 s[8:9], vcc
	s_cbranch_execz .LBB873_180
; %bb.177:
	v_bfe_u32 v40, v40, 24, 7
	s_movk_i32 s10, 0x7f
	v_cmp_ne_u32_e32 vcc, s10, v40
	v_mov_b32_e32 v56, 0x7f80
	s_and_saveexec_b64 s[10:11], vcc
	s_cbranch_execz .LBB873_179
; %bb.178:
	v_and_b32_e32 v53, 7, v38
	v_ffbh_u32_e32 v56, v53
	v_min_u32_e32 v59, 32, v56
	v_subrev_u32_e32 v56, 28, v59
	v_lshlrev_b64 v[56:57], v56, v[38:39]
	v_lshrrev_b32_e32 v58, 3, v40
	v_sub_u32_e32 v57, 29, v59
	v_and_b32_e32 v56, 7, v56
	v_cmp_gt_u32_e32 vcc, 8, v40
	v_cndmask_b32_e32 v40, v58, v57, vcc
	v_cndmask_b32_e32 v53, v53, v56, vcc
	v_lshlrev_b32_e32 v38, 24, v38
	v_bfrev_b32_e32 v56, 60
	v_lshlrev_b32_e32 v53, 20, v53
	v_and_b32_e32 v38, 0x80000000, v38
	v_lshl_add_u32 v40, v40, 23, v56
	v_or3_b32 v38, v38, v40, v53
	v_lshrrev_b32_e32 v56, 16, v38
.LBB873_179:
	s_or_b64 exec, exec, s[10:11]
.LBB873_180:
	s_or_b64 exec, exec, s[8:9]
.LBB873_181:
	s_or_b64 exec, exec, s[2:3]
	v_cmp_ne_u16_sdwa s[8:9], v41, v55 src0_sel:BYTE_0 src1_sel:DWORD
	s_and_saveexec_b64 s[2:3], s[8:9]
	s_cbranch_execz .LBB873_187
; %bb.182:
	s_movk_i32 s8, 0x80
	v_cmp_ne_u16_sdwa s[10:11], v41, s8 src0_sel:BYTE_0 src1_sel:DWORD
	v_mov_b32_e32 v55, 0xffff8000
	s_and_saveexec_b64 s[8:9], s[10:11]
	s_cbranch_execz .LBB873_186
; %bb.183:
	s_movk_i32 s10, 0x7f
	v_and_b32_e32 v38, 0x7f, v41
	v_cmp_ne_u32_e32 vcc, s10, v38
	v_mov_b32_e32 v55, 0x7f80
	s_and_saveexec_b64 s[10:11], vcc
	s_cbranch_execz .LBB873_185
; %bb.184:
	v_and_b32_e32 v53, 7, v41
	v_ffbh_u32_e32 v57, v53
	v_min_u32_e32 v57, 32, v57
	v_mov_b32_e32 v40, v41
	v_subrev_u32_e32 v58, 28, v57
	v_lshlrev_b64 v[58:59], v58, v[40:41]
	v_lshrrev_b32_e32 v55, 3, v38
	v_sub_u32_e32 v40, 29, v57
	v_and_b32_e32 v57, 7, v58
	v_cmp_gt_u32_e32 vcc, 8, v38
	v_cndmask_b32_e32 v38, v55, v40, vcc
	v_cndmask_b32_e32 v40, v53, v57, vcc
	v_lshlrev_b32_e32 v53, 24, v41
	v_bfrev_b32_e32 v55, 60
	v_lshlrev_b32_e32 v40, 20, v40
	v_and_b32_e32 v53, 0x80000000, v53
	v_lshl_add_u32 v38, v38, 23, v55
	v_or3_b32 v38, v53, v38, v40
	v_lshrrev_b32_e32 v55, 16, v38
.LBB873_185:
	s_or_b64 exec, exec, s[10:11]
.LBB873_186:
	s_or_b64 exec, exec, s[8:9]
.LBB873_187:
	s_or_b64 exec, exec, s[2:3]
	v_lshrrev_b16_e32 v38, 8, v41
	v_cmp_ne_u16_e32 vcc, 0, v38
	v_mov_b32_e32 v57, 0
	v_mov_b32_e32 v40, 0
	s_and_saveexec_b64 s[2:3], vcc
	s_cbranch_execz .LBB873_193
; %bb.188:
	s_movk_i32 s8, 0x80
	v_cmp_ne_u16_e32 vcc, s8, v38
	v_mov_b32_e32 v40, 0xffff8000
	s_and_saveexec_b64 s[8:9], vcc
	s_cbranch_execz .LBB873_192
; %bb.189:
	s_movk_i32 s10, 0x7f
	v_and_b32_e32 v53, 0x7f, v38
	v_cmp_ne_u32_e32 vcc, s10, v53
	v_mov_b32_e32 v40, 0x7f80
	s_and_saveexec_b64 s[10:11], vcc
	s_cbranch_execz .LBB873_191
; %bb.190:
	v_and_b32_e32 v40, 7, v38
	v_ffbh_u32_e32 v58, v40
	v_min_u32_e32 v61, 32, v58
	v_subrev_u32_e32 v58, 28, v61
	v_lshlrev_b64 v[58:59], v58, v[38:39]
	v_lshrrev_b32_e32 v60, 3, v53
	v_sub_u32_e32 v38, 29, v61
	v_and_b32_e32 v58, 7, v58
	v_cmp_gt_u32_e32 vcc, 8, v53
	v_cndmask_b32_e32 v38, v60, v38, vcc
	v_cndmask_b32_e32 v40, v40, v58, vcc
	v_lshlrev_b32_e32 v53, 16, v41
	v_bfrev_b32_e32 v58, 60
	v_lshlrev_b32_e32 v40, 20, v40
	v_and_b32_e32 v53, 0x80000000, v53
	v_lshl_add_u32 v38, v38, 23, v58
	v_or3_b32 v38, v53, v38, v40
	v_lshrrev_b32_e32 v40, 16, v38
.LBB873_191:
	s_or_b64 exec, exec, s[10:11]
.LBB873_192:
	s_or_b64 exec, exec, s[8:9]
.LBB873_193:
	s_or_b64 exec, exec, s[2:3]
	s_movk_i32 s2, 0xff
	v_and_b32_sdwa v53, v41, s2 dst_sel:DWORD dst_unused:UNUSED_PAD src0_sel:WORD_1 src1_sel:DWORD
	v_lshrrev_b32_e32 v38, 16, v41
	v_cmp_ne_u16_e32 vcc, 0, v53
	s_and_saveexec_b64 s[2:3], vcc
	s_cbranch_execz .LBB873_199
; %bb.194:
	s_movk_i32 s8, 0x80
	v_cmp_ne_u16_e32 vcc, s8, v53
	v_mov_b32_e32 v57, 0xffff8000
	s_and_saveexec_b64 s[8:9], vcc
	s_cbranch_execz .LBB873_198
; %bb.195:
	v_bfe_u32 v53, v41, 16, 7
	s_movk_i32 s10, 0x7f
	v_cmp_ne_u32_e32 vcc, s10, v53
	v_mov_b32_e32 v57, 0x7f80
	s_and_saveexec_b64 s[10:11], vcc
	s_cbranch_execz .LBB873_197
; %bb.196:
	v_and_b32_e32 v57, 7, v38
	v_ffbh_u32_e32 v58, v57
	v_min_u32_e32 v61, 32, v58
	v_subrev_u32_e32 v58, 28, v61
	v_lshlrev_b64 v[58:59], v58, v[38:39]
	v_and_b32_e32 v58, 7, v58
	v_cmp_gt_u32_e32 vcc, 8, v53
	v_lshrrev_b32_e32 v60, 3, v53
	v_sub_u32_e32 v38, 29, v61
	v_cndmask_b32_e32 v53, v57, v58, vcc
	v_mov_b32_e32 v57, 24
	v_cndmask_b32_e32 v38, v60, v38, vcc
	v_lshlrev_b32_sdwa v57, v57, v41 dst_sel:DWORD dst_unused:UNUSED_PAD src0_sel:DWORD src1_sel:WORD_1
	v_bfrev_b32_e32 v58, 60
	v_lshlrev_b32_e32 v53, 20, v53
	v_and_b32_e32 v57, 0x80000000, v57
	v_lshl_add_u32 v38, v38, 23, v58
	v_or3_b32 v38, v57, v38, v53
	v_lshrrev_b32_e32 v57, 16, v38
.LBB873_197:
	s_or_b64 exec, exec, s[10:11]
.LBB873_198:
	s_or_b64 exec, exec, s[8:9]
.LBB873_199:
	s_or_b64 exec, exec, s[2:3]
	s_mov_b32 s2, 0xffffff
	v_cmp_lt_u32_e32 vcc, s2, v41
	v_mov_b32_e32 v53, 0
	v_mov_b32_e32 v58, 0
	s_and_saveexec_b64 s[2:3], vcc
	s_cbranch_execz .LBB873_205
; %bb.200:
	v_lshrrev_b32_e32 v38, 24, v41
	s_movk_i32 s8, 0x80
	v_cmp_ne_u32_e32 vcc, s8, v38
	v_mov_b32_e32 v58, 0xffff8000
	s_and_saveexec_b64 s[8:9], vcc
	s_cbranch_execz .LBB873_204
; %bb.201:
	v_bfe_u32 v41, v41, 24, 7
	s_movk_i32 s10, 0x7f
	v_cmp_ne_u32_e32 vcc, s10, v41
	v_mov_b32_e32 v58, 0x7f80
	s_and_saveexec_b64 s[10:11], vcc
	s_cbranch_execz .LBB873_203
; %bb.202:
	v_and_b32_e32 v60, 7, v38
	v_ffbh_u32_e32 v58, v60
	v_min_u32_e32 v62, 32, v58
	v_subrev_u32_e32 v58, 28, v62
	v_lshlrev_b64 v[58:59], v58, v[38:39]
	v_lshrrev_b32_e32 v61, 3, v41
	v_sub_u32_e32 v59, 29, v62
	v_and_b32_e32 v58, 7, v58
	v_cmp_gt_u32_e32 vcc, 8, v41
	v_cndmask_b32_e32 v41, v61, v59, vcc
	v_cndmask_b32_e32 v58, v60, v58, vcc
	v_lshlrev_b32_e32 v38, 24, v38
	v_bfrev_b32_e32 v59, 60
	v_lshlrev_b32_e32 v58, 20, v58
	v_and_b32_e32 v38, 0x80000000, v38
	v_lshl_add_u32 v41, v41, 23, v59
	v_or3_b32 v38, v38, v41, v58
	v_lshrrev_b32_e32 v58, 16, v38
.LBB873_203:
	s_or_b64 exec, exec, s[10:11]
.LBB873_204:
	s_or_b64 exec, exec, s[8:9]
.LBB873_205:
	s_or_b64 exec, exec, s[2:3]
	s_mov_b32 s2, 0x5040100
	v_perm_b32 v61, v56, v54, s2
	v_perm_b32 v60, v39, v52, s2
	v_perm_b32 v39, v58, v57, s2
	v_perm_b32 v38, v40, v55, s2
	v_cmp_ne_u16_sdwa s[8:9], v30, v53 src0_sel:BYTE_0 src1_sel:DWORD
	v_mfma_f32_16x16x16bf16_1k v[42:45], v[60:61], v[18:19], v[42:45]
	v_mfma_f32_16x16x16bf16_1k v[38:41], v[38:39], v[20:21], v[42:45]
	s_and_saveexec_b64 s[2:3], s[8:9]
	s_cbranch_execz .LBB873_211
; %bb.206:
	s_movk_i32 s8, 0x80
	v_cmp_ne_u16_sdwa s[10:11], v30, s8 src0_sel:BYTE_0 src1_sel:DWORD
	v_mov_b32_e32 v53, 0xffff8000
	s_and_saveexec_b64 s[8:9], s[10:11]
	s_cbranch_execz .LBB873_210
; %bb.207:
	s_movk_i32 s10, 0x7f
	s_nop 1
	v_and_b32_e32 v42, 0x7f, v30
	v_cmp_ne_u32_e32 vcc, s10, v42
	v_mov_b32_e32 v53, 0x7f80
	s_and_saveexec_b64 s[10:11], vcc
	s_cbranch_execz .LBB873_209
; %bb.208:
	v_and_b32_e32 v43, 7, v30
	v_ffbh_u32_e32 v44, v43
	v_min_u32_e32 v53, 32, v44
	v_subrev_u32_e32 v44, 28, v53
	v_lshlrev_b64 v[44:45], v44, v[30:31]
	v_lshrrev_b32_e32 v52, 3, v42
	v_sub_u32_e32 v45, 29, v53
	v_and_b32_e32 v44, 7, v44
	v_cmp_gt_u32_e32 vcc, 8, v42
	v_cndmask_b32_e32 v42, v52, v45, vcc
	v_cndmask_b32_e32 v43, v43, v44, vcc
	v_lshlrev_b32_e32 v44, 24, v30
	v_bfrev_b32_e32 v45, 60
	v_lshlrev_b32_e32 v43, 20, v43
	v_and_b32_e32 v44, 0x80000000, v44
	v_lshl_add_u32 v42, v42, 23, v45
	v_or3_b32 v42, v44, v42, v43
	v_lshrrev_b32_e32 v53, 16, v42
.LBB873_209:
	s_or_b64 exec, exec, s[10:11]
.LBB873_210:
	s_or_b64 exec, exec, s[8:9]
.LBB873_211:
	s_or_b64 exec, exec, s[2:3]
	s_nop 6
	v_lshrrev_b16_e32 v42, 8, v30
	v_cmp_ne_u16_e32 vcc, 0, v42
	v_mov_b32_e32 v44, 0
	v_mov_b32_e32 v43, 0
	s_and_saveexec_b64 s[2:3], vcc
	s_cbranch_execz .LBB873_217
; %bb.212:
	s_movk_i32 s8, 0x80
	v_cmp_ne_u16_e32 vcc, s8, v42
	v_mov_b32_e32 v43, 0xffff8000
	s_and_saveexec_b64 s[8:9], vcc
	s_cbranch_execz .LBB873_216
; %bb.213:
	s_movk_i32 s10, 0x7f
	v_and_b32_e32 v45, 0x7f, v42
	v_cmp_ne_u32_e32 vcc, s10, v45
	v_mov_b32_e32 v43, 0x7f80
	s_and_saveexec_b64 s[10:11], vcc
	s_cbranch_execz .LBB873_215
; %bb.214:
	v_and_b32_e32 v52, 7, v42
	v_ffbh_u32_e32 v43, v52
	v_min_u32_e32 v55, 32, v43
	v_subrev_u32_e32 v43, 28, v55
	v_lshlrev_b64 v[42:43], v43, v[42:43]
	v_lshrrev_b32_e32 v54, 3, v45
	v_sub_u32_e32 v43, 29, v55
	v_and_b32_e32 v42, 7, v42
	v_cmp_gt_u32_e32 vcc, 8, v45
	v_cndmask_b32_e32 v43, v54, v43, vcc
	v_cndmask_b32_e32 v42, v52, v42, vcc
	v_lshlrev_b32_e32 v45, 16, v30
	v_bfrev_b32_e32 v52, 60
	v_lshlrev_b32_e32 v42, 20, v42
	v_and_b32_e32 v45, 0x80000000, v45
	v_lshl_add_u32 v43, v43, 23, v52
	v_or3_b32 v42, v45, v43, v42
	v_lshrrev_b32_e32 v43, 16, v42
.LBB873_215:
	s_or_b64 exec, exec, s[10:11]
.LBB873_216:
	s_or_b64 exec, exec, s[8:9]
.LBB873_217:
	s_or_b64 exec, exec, s[2:3]
	s_movk_i32 s2, 0xff
	v_and_b32_sdwa v45, v30, s2 dst_sel:DWORD dst_unused:UNUSED_PAD src0_sel:WORD_1 src1_sel:DWORD
	v_lshrrev_b32_e32 v42, 16, v30
	v_cmp_ne_u16_e32 vcc, 0, v45
	s_and_saveexec_b64 s[2:3], vcc
	s_cbranch_execz .LBB873_223
; %bb.218:
	s_movk_i32 s8, 0x80
	v_cmp_ne_u16_e32 vcc, s8, v45
	v_mov_b32_e32 v44, 0xffff8000
	s_and_saveexec_b64 s[8:9], vcc
	s_cbranch_execz .LBB873_222
; %bb.219:
	v_bfe_u32 v45, v30, 16, 7
	s_movk_i32 s10, 0x7f
	v_cmp_ne_u32_e32 vcc, s10, v45
	v_mov_b32_e32 v44, 0x7f80
	s_and_saveexec_b64 s[10:11], vcc
	s_cbranch_execz .LBB873_221
; %bb.220:
	v_and_b32_e32 v44, 7, v42
	v_ffbh_u32_e32 v54, v44
	v_min_u32_e32 v56, 32, v54
	v_subrev_u32_e32 v54, 28, v56
	v_lshlrev_b64 v[54:55], v54, v[42:43]
	v_lshrrev_b32_e32 v52, 3, v45
	v_sub_u32_e32 v42, 29, v56
	v_and_b32_e32 v54, 7, v54
	v_cmp_gt_u32_e32 vcc, 8, v45
	v_mov_b32_e32 v45, 24
	v_cndmask_b32_e32 v42, v52, v42, vcc
	v_cndmask_b32_e32 v44, v44, v54, vcc
	v_lshlrev_b32_sdwa v45, v45, v30 dst_sel:DWORD dst_unused:UNUSED_PAD src0_sel:DWORD src1_sel:WORD_1
	v_bfrev_b32_e32 v52, 60
	v_lshlrev_b32_e32 v44, 20, v44
	v_and_b32_e32 v45, 0x80000000, v45
	v_lshl_add_u32 v42, v42, 23, v52
	v_or3_b32 v42, v45, v42, v44
	v_lshrrev_b32_e32 v44, 16, v42
.LBB873_221:
	s_or_b64 exec, exec, s[10:11]
.LBB873_222:
	s_or_b64 exec, exec, s[8:9]
.LBB873_223:
	s_or_b64 exec, exec, s[2:3]
	s_mov_b32 s2, 0xffffff
	v_cmp_lt_u32_e32 vcc, s2, v30
	v_mov_b32_e32 v45, 0
	v_mov_b32_e32 v54, 0
	s_and_saveexec_b64 s[2:3], vcc
	s_cbranch_execz .LBB873_229
; %bb.224:
	v_lshrrev_b32_e32 v42, 24, v30
	s_movk_i32 s8, 0x80
	v_cmp_ne_u32_e32 vcc, s8, v42
	v_mov_b32_e32 v54, 0xffff8000
	s_and_saveexec_b64 s[8:9], vcc
	s_cbranch_execz .LBB873_228
; %bb.225:
	v_bfe_u32 v30, v30, 24, 7
	s_movk_i32 s10, 0x7f
	v_cmp_ne_u32_e32 vcc, s10, v30
	v_mov_b32_e32 v54, 0x7f80
	s_and_saveexec_b64 s[10:11], vcc
	s_cbranch_execz .LBB873_227
; %bb.226:
	v_and_b32_e32 v52, 7, v42
	v_ffbh_u32_e32 v54, v52
	v_min_u32_e32 v57, 32, v54
	v_subrev_u32_e32 v54, 28, v57
	v_lshlrev_b64 v[54:55], v54, v[42:43]
	v_lshrrev_b32_e32 v56, 3, v30
	v_sub_u32_e32 v55, 29, v57
	v_and_b32_e32 v54, 7, v54
	v_cmp_gt_u32_e32 vcc, 8, v30
	v_cndmask_b32_e32 v30, v56, v55, vcc
	v_cndmask_b32_e32 v52, v52, v54, vcc
	v_lshlrev_b32_e32 v42, 24, v42
	v_bfrev_b32_e32 v54, 60
	v_lshlrev_b32_e32 v52, 20, v52
	v_and_b32_e32 v42, 0x80000000, v42
	v_lshl_add_u32 v30, v30, 23, v54
	v_or3_b32 v30, v42, v30, v52
	v_lshrrev_b32_e32 v54, 16, v30
.LBB873_227:
	s_or_b64 exec, exec, s[10:11]
.LBB873_228:
	s_or_b64 exec, exec, s[8:9]
.LBB873_229:
	s_or_b64 exec, exec, s[2:3]
	v_cmp_ne_u16_sdwa s[8:9], v31, v45 src0_sel:BYTE_0 src1_sel:DWORD
	s_and_saveexec_b64 s[2:3], s[8:9]
	s_cbranch_execz .LBB873_235
; %bb.230:
	s_movk_i32 s8, 0x80
	v_cmp_ne_u16_sdwa s[10:11], v31, s8 src0_sel:BYTE_0 src1_sel:DWORD
	v_mov_b32_e32 v45, 0xffff8000
	s_and_saveexec_b64 s[8:9], s[10:11]
	s_cbranch_execz .LBB873_234
; %bb.231:
	s_movk_i32 s10, 0x7f
	v_and_b32_e32 v30, 0x7f, v31
	v_cmp_ne_u32_e32 vcc, s10, v30
	v_mov_b32_e32 v45, 0x7f80
	s_and_saveexec_b64 s[10:11], vcc
	s_cbranch_execz .LBB873_233
; %bb.232:
	v_and_b32_e32 v45, 7, v31
	v_ffbh_u32_e32 v55, v45
	v_min_u32_e32 v55, 32, v55
	v_mov_b32_e32 v42, v31
	v_subrev_u32_e32 v56, 28, v55
	v_lshlrev_b64 v[56:57], v56, v[42:43]
	v_lshrrev_b32_e32 v52, 3, v30
	v_sub_u32_e32 v42, 29, v55
	v_and_b32_e32 v55, 7, v56
	v_cmp_gt_u32_e32 vcc, 8, v30
	v_cndmask_b32_e32 v30, v52, v42, vcc
	v_cndmask_b32_e32 v42, v45, v55, vcc
	v_lshlrev_b32_e32 v45, 24, v31
	v_bfrev_b32_e32 v52, 60
	v_lshlrev_b32_e32 v42, 20, v42
	v_and_b32_e32 v45, 0x80000000, v45
	v_lshl_add_u32 v30, v30, 23, v52
	v_or3_b32 v30, v45, v30, v42
	v_lshrrev_b32_e32 v45, 16, v30
.LBB873_233:
	s_or_b64 exec, exec, s[10:11]
.LBB873_234:
	s_or_b64 exec, exec, s[8:9]
.LBB873_235:
	s_or_b64 exec, exec, s[2:3]
	v_lshrrev_b16_e32 v30, 8, v31
	v_cmp_ne_u16_e32 vcc, 0, v30
	v_mov_b32_e32 v55, 0
	v_mov_b32_e32 v42, 0
	s_and_saveexec_b64 s[2:3], vcc
	s_cbranch_execz .LBB873_241
; %bb.236:
	s_movk_i32 s8, 0x80
	v_cmp_ne_u16_e32 vcc, s8, v30
	v_mov_b32_e32 v42, 0xffff8000
	s_and_saveexec_b64 s[8:9], vcc
	s_cbranch_execz .LBB873_240
; %bb.237:
	s_movk_i32 s10, 0x7f
	v_and_b32_e32 v52, 0x7f, v30
	v_cmp_ne_u32_e32 vcc, s10, v52
	v_mov_b32_e32 v42, 0x7f80
	s_and_saveexec_b64 s[10:11], vcc
	s_cbranch_execz .LBB873_239
; %bb.238:
	v_and_b32_e32 v42, 7, v30
	v_ffbh_u32_e32 v56, v42
	v_min_u32_e32 v59, 32, v56
	v_subrev_u32_e32 v56, 28, v59
	v_lshlrev_b64 v[56:57], v56, v[30:31]
	v_lshrrev_b32_e32 v58, 3, v52
	v_sub_u32_e32 v30, 29, v59
	v_and_b32_e32 v56, 7, v56
	v_cmp_gt_u32_e32 vcc, 8, v52
	v_cndmask_b32_e32 v30, v58, v30, vcc
	v_cndmask_b32_e32 v42, v42, v56, vcc
	v_lshlrev_b32_e32 v52, 16, v31
	v_bfrev_b32_e32 v56, 60
	v_lshlrev_b32_e32 v42, 20, v42
	v_and_b32_e32 v52, 0x80000000, v52
	v_lshl_add_u32 v30, v30, 23, v56
	v_or3_b32 v30, v52, v30, v42
	v_lshrrev_b32_e32 v42, 16, v30
.LBB873_239:
	s_or_b64 exec, exec, s[10:11]
.LBB873_240:
	s_or_b64 exec, exec, s[8:9]
.LBB873_241:
	s_or_b64 exec, exec, s[2:3]
	s_movk_i32 s2, 0xff
	v_and_b32_sdwa v52, v31, s2 dst_sel:DWORD dst_unused:UNUSED_PAD src0_sel:WORD_1 src1_sel:DWORD
	v_lshrrev_b32_e32 v30, 16, v31
	v_cmp_ne_u16_e32 vcc, 0, v52
	s_and_saveexec_b64 s[2:3], vcc
	s_cbranch_execz .LBB873_247
; %bb.242:
	s_movk_i32 s8, 0x80
	v_cmp_ne_u16_e32 vcc, s8, v52
	v_mov_b32_e32 v55, 0xffff8000
	s_and_saveexec_b64 s[8:9], vcc
	s_cbranch_execz .LBB873_246
; %bb.243:
	v_bfe_u32 v52, v31, 16, 7
	s_movk_i32 s10, 0x7f
	v_cmp_ne_u32_e32 vcc, s10, v52
	v_mov_b32_e32 v55, 0x7f80
	s_and_saveexec_b64 s[10:11], vcc
	s_cbranch_execz .LBB873_245
; %bb.244:
	v_and_b32_e32 v55, 7, v30
	v_ffbh_u32_e32 v56, v55
	v_min_u32_e32 v59, 32, v56
	v_subrev_u32_e32 v56, 28, v59
	v_lshlrev_b64 v[56:57], v56, v[30:31]
	v_and_b32_e32 v56, 7, v56
	v_cmp_gt_u32_e32 vcc, 8, v52
	v_lshrrev_b32_e32 v58, 3, v52
	v_sub_u32_e32 v30, 29, v59
	v_cndmask_b32_e32 v52, v55, v56, vcc
	v_mov_b32_e32 v55, 24
	v_cndmask_b32_e32 v30, v58, v30, vcc
	v_lshlrev_b32_sdwa v55, v55, v31 dst_sel:DWORD dst_unused:UNUSED_PAD src0_sel:DWORD src1_sel:WORD_1
	v_bfrev_b32_e32 v56, 60
	v_lshlrev_b32_e32 v52, 20, v52
	v_and_b32_e32 v55, 0x80000000, v55
	v_lshl_add_u32 v30, v30, 23, v56
	v_or3_b32 v30, v55, v30, v52
	v_lshrrev_b32_e32 v55, 16, v30
.LBB873_245:
	s_or_b64 exec, exec, s[10:11]
.LBB873_246:
	s_or_b64 exec, exec, s[8:9]
.LBB873_247:
	s_or_b64 exec, exec, s[2:3]
	s_mov_b32 s2, 0xffffff
	v_cmp_lt_u32_e32 vcc, s2, v31
	v_mov_b32_e32 v52, 0
	v_mov_b32_e32 v56, 0
	s_and_saveexec_b64 s[2:3], vcc
	s_cbranch_execz .LBB873_253
; %bb.248:
	v_lshrrev_b32_e32 v30, 24, v31
	s_movk_i32 s8, 0x80
	v_cmp_ne_u32_e32 vcc, s8, v30
	v_mov_b32_e32 v56, 0xffff8000
	s_and_saveexec_b64 s[8:9], vcc
	s_cbranch_execz .LBB873_252
; %bb.249:
	v_bfe_u32 v31, v31, 24, 7
	s_movk_i32 s10, 0x7f
	v_cmp_ne_u32_e32 vcc, s10, v31
	v_mov_b32_e32 v56, 0x7f80
	s_and_saveexec_b64 s[10:11], vcc
	s_cbranch_execz .LBB873_251
; %bb.250:
	v_and_b32_e32 v58, 7, v30
	v_ffbh_u32_e32 v56, v58
	v_min_u32_e32 v60, 32, v56
	v_subrev_u32_e32 v56, 28, v60
	v_lshlrev_b64 v[56:57], v56, v[30:31]
	v_lshrrev_b32_e32 v59, 3, v31
	v_sub_u32_e32 v57, 29, v60
	v_and_b32_e32 v56, 7, v56
	v_cmp_gt_u32_e32 vcc, 8, v31
	v_cndmask_b32_e32 v31, v59, v57, vcc
	v_cndmask_b32_e32 v56, v58, v56, vcc
	v_lshlrev_b32_e32 v30, 24, v30
	v_bfrev_b32_e32 v57, 60
	v_lshlrev_b32_e32 v56, 20, v56
	v_and_b32_e32 v30, 0x80000000, v30
	v_lshl_add_u32 v31, v31, 23, v57
	v_or3_b32 v30, v30, v31, v56
	v_lshrrev_b32_e32 v56, 16, v30
.LBB873_251:
	s_or_b64 exec, exec, s[10:11]
.LBB873_252:
	s_or_b64 exec, exec, s[8:9]
.LBB873_253:
	s_or_b64 exec, exec, s[2:3]
	s_mov_b32 s2, 0x5040100
	v_perm_b32 v31, v54, v44, s2
	v_perm_b32 v30, v43, v53, s2
	v_cmp_ne_u16_sdwa s[8:9], v32, v52 src0_sel:BYTE_0 src1_sel:DWORD
	s_nop 0
	v_mfma_f32_16x16x16bf16_1k v[58:61], v[30:31], v[26:27], 0
	v_perm_b32 v31, v56, v55, s2
	v_perm_b32 v30, v42, v45, s2
	s_nop 1
	v_mfma_f32_16x16x16bf16_1k v[42:45], v[30:31], v[28:29], v[58:61]
	s_and_saveexec_b64 s[2:3], s[8:9]
	s_cbranch_execz .LBB873_259
; %bb.254:
	s_movk_i32 s8, 0x80
	v_cmp_ne_u16_sdwa s[10:11], v32, s8 src0_sel:BYTE_0 src1_sel:DWORD
	v_mov_b32_e32 v52, 0xffff8000
	s_and_saveexec_b64 s[8:9], s[10:11]
	s_cbranch_execz .LBB873_258
; %bb.255:
	s_movk_i32 s10, 0x7f
	v_and_b32_e32 v30, 0x7f, v32
	v_cmp_ne_u32_e32 vcc, s10, v30
	v_mov_b32_e32 v52, 0x7f80
	s_and_saveexec_b64 s[10:11], vcc
	s_cbranch_execz .LBB873_257
; %bb.256:
	v_and_b32_e32 v31, 7, v32
	v_ffbh_u32_e32 v52, v31
	v_min_u32_e32 v55, 32, v52
	v_subrev_u32_e32 v52, 28, v55
	v_lshlrev_b64 v[52:53], v52, v[32:33]
	v_lshrrev_b32_e32 v54, 3, v30
	v_sub_u32_e32 v53, 29, v55
	v_and_b32_e32 v52, 7, v52
	v_cmp_gt_u32_e32 vcc, 8, v30
	v_cndmask_b32_e32 v30, v54, v53, vcc
	v_cndmask_b32_e32 v31, v31, v52, vcc
	v_lshlrev_b32_e32 v52, 24, v32
	v_bfrev_b32_e32 v53, 60
	v_lshlrev_b32_e32 v31, 20, v31
	v_and_b32_e32 v52, 0x80000000, v52
	v_lshl_add_u32 v30, v30, 23, v53
	v_or3_b32 v30, v52, v30, v31
	v_lshrrev_b32_e32 v52, 16, v30
.LBB873_257:
	s_or_b64 exec, exec, s[10:11]
.LBB873_258:
	s_or_b64 exec, exec, s[8:9]
.LBB873_259:
	s_or_b64 exec, exec, s[2:3]
	v_lshrrev_b16_e32 v30, 8, v32
	v_cmp_ne_u16_e32 vcc, 0, v30
	v_mov_b32_e32 v54, 0
	v_mov_b32_e32 v31, 0
	s_and_saveexec_b64 s[2:3], vcc
	s_cbranch_execz .LBB873_265
; %bb.260:
	s_movk_i32 s8, 0x80
	v_cmp_ne_u16_e32 vcc, s8, v30
	v_mov_b32_e32 v31, 0xffff8000
	s_and_saveexec_b64 s[8:9], vcc
	s_cbranch_execz .LBB873_264
; %bb.261:
	s_movk_i32 s10, 0x7f
	v_and_b32_e32 v53, 0x7f, v30
	v_cmp_ne_u32_e32 vcc, s10, v53
	v_mov_b32_e32 v31, 0x7f80
	s_and_saveexec_b64 s[10:11], vcc
	s_cbranch_execz .LBB873_263
; %bb.262:
	v_and_b32_e32 v55, 7, v30
	v_ffbh_u32_e32 v31, v55
	v_min_u32_e32 v57, 32, v31
	v_subrev_u32_e32 v31, 28, v57
	v_lshlrev_b64 v[30:31], v31, v[30:31]
	v_lshrrev_b32_e32 v56, 3, v53
	v_sub_u32_e32 v31, 29, v57
	v_and_b32_e32 v30, 7, v30
	v_cmp_gt_u32_e32 vcc, 8, v53
	v_cndmask_b32_e32 v31, v56, v31, vcc
	v_cndmask_b32_e32 v30, v55, v30, vcc
	v_lshlrev_b32_e32 v53, 16, v32
	v_bfrev_b32_e32 v55, 60
	v_lshlrev_b32_e32 v30, 20, v30
	v_and_b32_e32 v53, 0x80000000, v53
	v_lshl_add_u32 v31, v31, 23, v55
	v_or3_b32 v30, v53, v31, v30
	v_lshrrev_b32_e32 v31, 16, v30
.LBB873_263:
	s_or_b64 exec, exec, s[10:11]
.LBB873_264:
	s_or_b64 exec, exec, s[8:9]
.LBB873_265:
	s_or_b64 exec, exec, s[2:3]
	s_movk_i32 s2, 0xff
	v_and_b32_sdwa v53, v32, s2 dst_sel:DWORD dst_unused:UNUSED_PAD src0_sel:WORD_1 src1_sel:DWORD
	v_lshrrev_b32_e32 v30, 16, v32
	v_cmp_ne_u16_e32 vcc, 0, v53
	s_and_saveexec_b64 s[2:3], vcc
	s_cbranch_execz .LBB873_271
; %bb.266:
	s_movk_i32 s8, 0x80
	v_cmp_ne_u16_e32 vcc, s8, v53
	v_mov_b32_e32 v54, 0xffff8000
	s_and_saveexec_b64 s[8:9], vcc
	s_cbranch_execz .LBB873_270
; %bb.267:
	v_bfe_u32 v53, v32, 16, 7
	s_movk_i32 s10, 0x7f
	v_cmp_ne_u32_e32 vcc, s10, v53
	v_mov_b32_e32 v54, 0x7f80
	s_and_saveexec_b64 s[10:11], vcc
	s_cbranch_execz .LBB873_269
; %bb.268:
	v_and_b32_e32 v56, 7, v30
	v_ffbh_u32_e32 v54, v56
	v_min_u32_e32 v58, 32, v54
	v_subrev_u32_e32 v54, 28, v58
	v_lshlrev_b64 v[54:55], v54, v[30:31]
	v_and_b32_e32 v54, 7, v54
	v_cmp_gt_u32_e32 vcc, 8, v53
	v_lshrrev_b32_e32 v57, 3, v53
	v_sub_u32_e32 v30, 29, v58
	v_cndmask_b32_e32 v53, v56, v54, vcc
	v_mov_b32_e32 v54, 24
	v_cndmask_b32_e32 v30, v57, v30, vcc
	v_lshlrev_b32_sdwa v54, v54, v32 dst_sel:DWORD dst_unused:UNUSED_PAD src0_sel:DWORD src1_sel:WORD_1
	v_bfrev_b32_e32 v55, 60
	v_lshlrev_b32_e32 v53, 20, v53
	v_and_b32_e32 v54, 0x80000000, v54
	v_lshl_add_u32 v30, v30, 23, v55
	v_or3_b32 v30, v54, v30, v53
	v_lshrrev_b32_e32 v54, 16, v30
.LBB873_269:
	s_or_b64 exec, exec, s[10:11]
.LBB873_270:
	s_or_b64 exec, exec, s[8:9]
.LBB873_271:
	s_or_b64 exec, exec, s[2:3]
	s_mov_b32 s2, 0xffffff
	v_cmp_lt_u32_e32 vcc, s2, v32
	v_mov_b32_e32 v55, 0
	v_mov_b32_e32 v56, 0
	s_and_saveexec_b64 s[2:3], vcc
	s_cbranch_execz .LBB873_277
; %bb.272:
	v_lshrrev_b32_e32 v30, 24, v32
	s_movk_i32 s8, 0x80
	v_cmp_ne_u32_e32 vcc, s8, v30
	v_mov_b32_e32 v56, 0xffff8000
	s_and_saveexec_b64 s[8:9], vcc
	s_cbranch_execz .LBB873_276
; %bb.273:
	v_bfe_u32 v32, v32, 24, 7
	s_movk_i32 s10, 0x7f
	v_cmp_ne_u32_e32 vcc, s10, v32
	v_mov_b32_e32 v56, 0x7f80
	s_and_saveexec_b64 s[10:11], vcc
	s_cbranch_execz .LBB873_275
; %bb.274:
	v_and_b32_e32 v53, 7, v30
	v_ffbh_u32_e32 v56, v53
	v_min_u32_e32 v59, 32, v56
	v_subrev_u32_e32 v56, 28, v59
	v_lshlrev_b64 v[56:57], v56, v[30:31]
	v_lshrrev_b32_e32 v58, 3, v32
	v_sub_u32_e32 v57, 29, v59
	v_and_b32_e32 v56, 7, v56
	v_cmp_gt_u32_e32 vcc, 8, v32
	v_cndmask_b32_e32 v32, v58, v57, vcc
	v_cndmask_b32_e32 v53, v53, v56, vcc
	v_lshlrev_b32_e32 v30, 24, v30
	v_bfrev_b32_e32 v56, 60
	v_lshlrev_b32_e32 v53, 20, v53
	v_and_b32_e32 v30, 0x80000000, v30
	v_lshl_add_u32 v32, v32, 23, v56
	v_or3_b32 v30, v30, v32, v53
	v_lshrrev_b32_e32 v56, 16, v30
.LBB873_275:
	s_or_b64 exec, exec, s[10:11]
.LBB873_276:
	s_or_b64 exec, exec, s[8:9]
.LBB873_277:
	s_or_b64 exec, exec, s[2:3]
	v_cmp_ne_u16_sdwa s[8:9], v33, v55 src0_sel:BYTE_0 src1_sel:DWORD
	s_and_saveexec_b64 s[2:3], s[8:9]
	s_cbranch_execz .LBB873_283
; %bb.278:
	s_movk_i32 s8, 0x80
	v_cmp_ne_u16_sdwa s[10:11], v33, s8 src0_sel:BYTE_0 src1_sel:DWORD
	v_mov_b32_e32 v55, 0xffff8000
	s_and_saveexec_b64 s[8:9], s[10:11]
	s_cbranch_execz .LBB873_282
; %bb.279:
	s_movk_i32 s10, 0x7f
	v_and_b32_e32 v30, 0x7f, v33
	v_cmp_ne_u32_e32 vcc, s10, v30
	v_mov_b32_e32 v55, 0x7f80
	s_and_saveexec_b64 s[10:11], vcc
	s_cbranch_execz .LBB873_281
; %bb.280:
	v_and_b32_e32 v53, 7, v33
	v_ffbh_u32_e32 v57, v53
	v_min_u32_e32 v57, 32, v57
	v_mov_b32_e32 v32, v33
	v_subrev_u32_e32 v58, 28, v57
	v_lshlrev_b64 v[58:59], v58, v[32:33]
	v_lshrrev_b32_e32 v55, 3, v30
	v_sub_u32_e32 v32, 29, v57
	v_and_b32_e32 v57, 7, v58
	v_cmp_gt_u32_e32 vcc, 8, v30
	v_cndmask_b32_e32 v30, v55, v32, vcc
	v_cndmask_b32_e32 v32, v53, v57, vcc
	v_lshlrev_b32_e32 v53, 24, v33
	v_bfrev_b32_e32 v55, 60
	v_lshlrev_b32_e32 v32, 20, v32
	v_and_b32_e32 v53, 0x80000000, v53
	v_lshl_add_u32 v30, v30, 23, v55
	v_or3_b32 v30, v53, v30, v32
	v_lshrrev_b32_e32 v55, 16, v30
.LBB873_281:
	s_or_b64 exec, exec, s[10:11]
.LBB873_282:
	s_or_b64 exec, exec, s[8:9]
.LBB873_283:
	s_or_b64 exec, exec, s[2:3]
	v_lshrrev_b16_e32 v30, 8, v33
	v_cmp_ne_u16_e32 vcc, 0, v30
	v_mov_b32_e32 v57, 0
	v_mov_b32_e32 v32, 0
	s_and_saveexec_b64 s[2:3], vcc
	s_cbranch_execz .LBB873_289
; %bb.284:
	s_movk_i32 s8, 0x80
	v_cmp_ne_u16_e32 vcc, s8, v30
	v_mov_b32_e32 v32, 0xffff8000
	s_and_saveexec_b64 s[8:9], vcc
	s_cbranch_execz .LBB873_288
; %bb.285:
	s_movk_i32 s10, 0x7f
	v_and_b32_e32 v53, 0x7f, v30
	v_cmp_ne_u32_e32 vcc, s10, v53
	v_mov_b32_e32 v32, 0x7f80
	s_and_saveexec_b64 s[10:11], vcc
	s_cbranch_execz .LBB873_287
; %bb.286:
	v_and_b32_e32 v32, 7, v30
	v_ffbh_u32_e32 v58, v32
	v_min_u32_e32 v61, 32, v58
	v_subrev_u32_e32 v58, 28, v61
	v_lshlrev_b64 v[58:59], v58, v[30:31]
	v_lshrrev_b32_e32 v60, 3, v53
	v_sub_u32_e32 v30, 29, v61
	v_and_b32_e32 v58, 7, v58
	v_cmp_gt_u32_e32 vcc, 8, v53
	v_cndmask_b32_e32 v30, v60, v30, vcc
	v_cndmask_b32_e32 v32, v32, v58, vcc
	v_lshlrev_b32_e32 v53, 16, v33
	v_bfrev_b32_e32 v58, 60
	v_lshlrev_b32_e32 v32, 20, v32
	v_and_b32_e32 v53, 0x80000000, v53
	v_lshl_add_u32 v30, v30, 23, v58
	v_or3_b32 v30, v53, v30, v32
	v_lshrrev_b32_e32 v32, 16, v30
.LBB873_287:
	s_or_b64 exec, exec, s[10:11]
.LBB873_288:
	s_or_b64 exec, exec, s[8:9]
.LBB873_289:
	s_or_b64 exec, exec, s[2:3]
	s_movk_i32 s2, 0xff
	v_and_b32_sdwa v53, v33, s2 dst_sel:DWORD dst_unused:UNUSED_PAD src0_sel:WORD_1 src1_sel:DWORD
	v_lshrrev_b32_e32 v30, 16, v33
	v_cmp_ne_u16_e32 vcc, 0, v53
	s_and_saveexec_b64 s[2:3], vcc
	s_cbranch_execz .LBB873_295
; %bb.290:
	s_movk_i32 s8, 0x80
	v_cmp_ne_u16_e32 vcc, s8, v53
	v_mov_b32_e32 v57, 0xffff8000
	s_and_saveexec_b64 s[8:9], vcc
	s_cbranch_execz .LBB873_294
; %bb.291:
	v_bfe_u32 v53, v33, 16, 7
	s_movk_i32 s10, 0x7f
	v_cmp_ne_u32_e32 vcc, s10, v53
	v_mov_b32_e32 v57, 0x7f80
	s_and_saveexec_b64 s[10:11], vcc
	s_cbranch_execz .LBB873_293
; %bb.292:
	v_and_b32_e32 v57, 7, v30
	v_ffbh_u32_e32 v58, v57
	v_min_u32_e32 v61, 32, v58
	v_subrev_u32_e32 v58, 28, v61
	v_lshlrev_b64 v[58:59], v58, v[30:31]
	v_and_b32_e32 v58, 7, v58
	v_cmp_gt_u32_e32 vcc, 8, v53
	v_lshrrev_b32_e32 v60, 3, v53
	v_sub_u32_e32 v30, 29, v61
	v_cndmask_b32_e32 v53, v57, v58, vcc
	v_mov_b32_e32 v57, 24
	v_cndmask_b32_e32 v30, v60, v30, vcc
	v_lshlrev_b32_sdwa v57, v57, v33 dst_sel:DWORD dst_unused:UNUSED_PAD src0_sel:DWORD src1_sel:WORD_1
	v_bfrev_b32_e32 v58, 60
	v_lshlrev_b32_e32 v53, 20, v53
	v_and_b32_e32 v57, 0x80000000, v57
	v_lshl_add_u32 v30, v30, 23, v58
	v_or3_b32 v30, v57, v30, v53
	v_lshrrev_b32_e32 v57, 16, v30
.LBB873_293:
	s_or_b64 exec, exec, s[10:11]
.LBB873_294:
	s_or_b64 exec, exec, s[8:9]
.LBB873_295:
	s_or_b64 exec, exec, s[2:3]
	s_mov_b32 s2, 0xffffff
	v_cmp_lt_u32_e32 vcc, s2, v33
	v_mov_b32_e32 v53, 0
	v_mov_b32_e32 v58, 0
	s_and_saveexec_b64 s[2:3], vcc
	s_cbranch_execz .LBB873_301
; %bb.296:
	v_lshrrev_b32_e32 v30, 24, v33
	s_movk_i32 s8, 0x80
	v_cmp_ne_u32_e32 vcc, s8, v30
	v_mov_b32_e32 v58, 0xffff8000
	s_and_saveexec_b64 s[8:9], vcc
	s_cbranch_execz .LBB873_300
; %bb.297:
	v_bfe_u32 v33, v33, 24, 7
	s_movk_i32 s10, 0x7f
	v_cmp_ne_u32_e32 vcc, s10, v33
	v_mov_b32_e32 v58, 0x7f80
	s_and_saveexec_b64 s[10:11], vcc
	s_cbranch_execz .LBB873_299
; %bb.298:
	v_and_b32_e32 v60, 7, v30
	v_ffbh_u32_e32 v58, v60
	v_min_u32_e32 v62, 32, v58
	v_subrev_u32_e32 v58, 28, v62
	v_lshlrev_b64 v[58:59], v58, v[30:31]
	v_lshrrev_b32_e32 v61, 3, v33
	v_sub_u32_e32 v59, 29, v62
	v_and_b32_e32 v58, 7, v58
	v_cmp_gt_u32_e32 vcc, 8, v33
	v_cndmask_b32_e32 v33, v61, v59, vcc
	v_cndmask_b32_e32 v58, v60, v58, vcc
	v_lshlrev_b32_e32 v30, 24, v30
	v_bfrev_b32_e32 v59, 60
	v_lshlrev_b32_e32 v58, 20, v58
	v_and_b32_e32 v30, 0x80000000, v30
	v_lshl_add_u32 v33, v33, 23, v59
	v_or3_b32 v30, v30, v33, v58
	v_lshrrev_b32_e32 v58, 16, v30
.LBB873_299:
	s_or_b64 exec, exec, s[10:11]
.LBB873_300:
	s_or_b64 exec, exec, s[8:9]
.LBB873_301:
	s_or_b64 exec, exec, s[2:3]
	s_mov_b32 s2, 0x5040100
	v_perm_b32 v61, v56, v54, s2
	v_perm_b32 v60, v31, v52, s2
	;; [unrolled: 1-line block ×4, first 2 shown]
	v_cmp_ne_u16_sdwa s[8:9], v22, v53 src0_sel:BYTE_0 src1_sel:DWORD
	v_mfma_f32_16x16x16bf16_1k v[42:45], v[60:61], v[18:19], v[42:45]
	v_mfma_f32_16x16x16bf16_1k v[30:33], v[30:31], v[20:21], v[42:45]
	s_and_saveexec_b64 s[2:3], s[8:9]
	s_cbranch_execz .LBB873_307
; %bb.302:
	s_movk_i32 s8, 0x80
	v_cmp_ne_u16_sdwa s[10:11], v22, s8 src0_sel:BYTE_0 src1_sel:DWORD
	v_mov_b32_e32 v53, 0xffff8000
	s_and_saveexec_b64 s[8:9], s[10:11]
	s_cbranch_execz .LBB873_306
; %bb.303:
	s_movk_i32 s10, 0x7f
	s_nop 1
	v_and_b32_e32 v42, 0x7f, v22
	v_cmp_ne_u32_e32 vcc, s10, v42
	v_mov_b32_e32 v53, 0x7f80
	s_and_saveexec_b64 s[10:11], vcc
	s_cbranch_execz .LBB873_305
; %bb.304:
	v_and_b32_e32 v43, 7, v22
	v_ffbh_u32_e32 v44, v43
	v_min_u32_e32 v53, 32, v44
	v_subrev_u32_e32 v44, 28, v53
	v_lshlrev_b64 v[44:45], v44, v[22:23]
	v_lshrrev_b32_e32 v52, 3, v42
	v_sub_u32_e32 v45, 29, v53
	v_and_b32_e32 v44, 7, v44
	v_cmp_gt_u32_e32 vcc, 8, v42
	v_cndmask_b32_e32 v42, v52, v45, vcc
	v_cndmask_b32_e32 v43, v43, v44, vcc
	v_lshlrev_b32_e32 v44, 24, v22
	v_bfrev_b32_e32 v45, 60
	v_lshlrev_b32_e32 v43, 20, v43
	v_and_b32_e32 v44, 0x80000000, v44
	v_lshl_add_u32 v42, v42, 23, v45
	v_or3_b32 v42, v44, v42, v43
	v_lshrrev_b32_e32 v53, 16, v42
.LBB873_305:
	s_or_b64 exec, exec, s[10:11]
.LBB873_306:
	s_or_b64 exec, exec, s[8:9]
.LBB873_307:
	s_or_b64 exec, exec, s[2:3]
	s_nop 6
	v_lshrrev_b16_e32 v42, 8, v22
	v_cmp_ne_u16_e32 vcc, 0, v42
	v_mov_b32_e32 v44, 0
	v_mov_b32_e32 v43, 0
	s_and_saveexec_b64 s[2:3], vcc
	s_cbranch_execz .LBB873_313
; %bb.308:
	s_movk_i32 s8, 0x80
	v_cmp_ne_u16_e32 vcc, s8, v42
	v_mov_b32_e32 v43, 0xffff8000
	s_and_saveexec_b64 s[8:9], vcc
	s_cbranch_execz .LBB873_312
; %bb.309:
	s_movk_i32 s10, 0x7f
	v_and_b32_e32 v45, 0x7f, v42
	v_cmp_ne_u32_e32 vcc, s10, v45
	v_mov_b32_e32 v43, 0x7f80
	s_and_saveexec_b64 s[10:11], vcc
	s_cbranch_execz .LBB873_311
; %bb.310:
	v_and_b32_e32 v52, 7, v42
	v_ffbh_u32_e32 v43, v52
	v_min_u32_e32 v55, 32, v43
	v_subrev_u32_e32 v43, 28, v55
	v_lshlrev_b64 v[42:43], v43, v[42:43]
	v_lshrrev_b32_e32 v54, 3, v45
	v_sub_u32_e32 v43, 29, v55
	v_and_b32_e32 v42, 7, v42
	v_cmp_gt_u32_e32 vcc, 8, v45
	v_cndmask_b32_e32 v43, v54, v43, vcc
	v_cndmask_b32_e32 v42, v52, v42, vcc
	v_lshlrev_b32_e32 v45, 16, v22
	v_bfrev_b32_e32 v52, 60
	v_lshlrev_b32_e32 v42, 20, v42
	v_and_b32_e32 v45, 0x80000000, v45
	v_lshl_add_u32 v43, v43, 23, v52
	v_or3_b32 v42, v45, v43, v42
	v_lshrrev_b32_e32 v43, 16, v42
.LBB873_311:
	s_or_b64 exec, exec, s[10:11]
.LBB873_312:
	s_or_b64 exec, exec, s[8:9]
.LBB873_313:
	s_or_b64 exec, exec, s[2:3]
	s_movk_i32 s2, 0xff
	v_and_b32_sdwa v45, v22, s2 dst_sel:DWORD dst_unused:UNUSED_PAD src0_sel:WORD_1 src1_sel:DWORD
	v_lshrrev_b32_e32 v42, 16, v22
	v_cmp_ne_u16_e32 vcc, 0, v45
	s_and_saveexec_b64 s[2:3], vcc
	s_cbranch_execz .LBB873_319
; %bb.314:
	s_movk_i32 s8, 0x80
	v_cmp_ne_u16_e32 vcc, s8, v45
	v_mov_b32_e32 v44, 0xffff8000
	s_and_saveexec_b64 s[8:9], vcc
	s_cbranch_execz .LBB873_318
; %bb.315:
	v_bfe_u32 v45, v22, 16, 7
	s_movk_i32 s10, 0x7f
	v_cmp_ne_u32_e32 vcc, s10, v45
	v_mov_b32_e32 v44, 0x7f80
	s_and_saveexec_b64 s[10:11], vcc
	s_cbranch_execz .LBB873_317
; %bb.316:
	v_and_b32_e32 v44, 7, v42
	v_ffbh_u32_e32 v54, v44
	v_min_u32_e32 v56, 32, v54
	v_subrev_u32_e32 v54, 28, v56
	v_lshlrev_b64 v[54:55], v54, v[42:43]
	v_lshrrev_b32_e32 v52, 3, v45
	v_sub_u32_e32 v42, 29, v56
	v_and_b32_e32 v54, 7, v54
	v_cmp_gt_u32_e32 vcc, 8, v45
	v_mov_b32_e32 v45, 24
	v_cndmask_b32_e32 v42, v52, v42, vcc
	v_cndmask_b32_e32 v44, v44, v54, vcc
	v_lshlrev_b32_sdwa v45, v45, v22 dst_sel:DWORD dst_unused:UNUSED_PAD src0_sel:DWORD src1_sel:WORD_1
	v_bfrev_b32_e32 v52, 60
	v_lshlrev_b32_e32 v44, 20, v44
	v_and_b32_e32 v45, 0x80000000, v45
	v_lshl_add_u32 v42, v42, 23, v52
	v_or3_b32 v42, v45, v42, v44
	v_lshrrev_b32_e32 v44, 16, v42
.LBB873_317:
	s_or_b64 exec, exec, s[10:11]
.LBB873_318:
	s_or_b64 exec, exec, s[8:9]
.LBB873_319:
	s_or_b64 exec, exec, s[2:3]
	s_mov_b32 s2, 0xffffff
	v_cmp_lt_u32_e32 vcc, s2, v22
	v_mov_b32_e32 v45, 0
	v_mov_b32_e32 v52, 0
	s_and_saveexec_b64 s[2:3], vcc
	s_cbranch_execz .LBB873_325
; %bb.320:
	v_lshrrev_b32_e32 v42, 24, v22
	s_movk_i32 s8, 0x80
	v_cmp_ne_u32_e32 vcc, s8, v42
	v_mov_b32_e32 v52, 0xffff8000
	s_and_saveexec_b64 s[8:9], vcc
	s_cbranch_execz .LBB873_324
; %bb.321:
	v_bfe_u32 v22, v22, 24, 7
	s_movk_i32 s10, 0x7f
	v_cmp_ne_u32_e32 vcc, s10, v22
	v_mov_b32_e32 v52, 0x7f80
	s_and_saveexec_b64 s[10:11], vcc
	s_cbranch_execz .LBB873_323
; %bb.322:
	v_and_b32_e32 v52, 7, v42
	v_ffbh_u32_e32 v54, v52
	v_min_u32_e32 v57, 32, v54
	v_subrev_u32_e32 v54, 28, v57
	v_lshlrev_b64 v[54:55], v54, v[42:43]
	v_lshrrev_b32_e32 v56, 3, v22
	v_sub_u32_e32 v55, 29, v57
	v_and_b32_e32 v54, 7, v54
	v_cmp_gt_u32_e32 vcc, 8, v22
	v_cndmask_b32_e32 v22, v56, v55, vcc
	v_cndmask_b32_e32 v52, v52, v54, vcc
	v_lshlrev_b32_e32 v42, 24, v42
	v_bfrev_b32_e32 v54, 60
	v_lshlrev_b32_e32 v52, 20, v52
	v_and_b32_e32 v42, 0x80000000, v42
	v_lshl_add_u32 v22, v22, 23, v54
	v_or3_b32 v22, v42, v22, v52
	v_lshrrev_b32_e32 v52, 16, v22
.LBB873_323:
	s_or_b64 exec, exec, s[10:11]
.LBB873_324:
	s_or_b64 exec, exec, s[8:9]
.LBB873_325:
	s_or_b64 exec, exec, s[2:3]
	v_cmp_ne_u16_sdwa s[8:9], v23, v45 src0_sel:BYTE_0 src1_sel:DWORD
	s_and_saveexec_b64 s[2:3], s[8:9]
	s_cbranch_execz .LBB873_331
; %bb.326:
	s_movk_i32 s8, 0x80
	v_cmp_ne_u16_sdwa s[10:11], v23, s8 src0_sel:BYTE_0 src1_sel:DWORD
	v_mov_b32_e32 v45, 0xffff8000
	s_and_saveexec_b64 s[8:9], s[10:11]
	s_cbranch_execz .LBB873_330
; %bb.327:
	s_movk_i32 s10, 0x7f
	v_and_b32_e32 v22, 0x7f, v23
	v_cmp_ne_u32_e32 vcc, s10, v22
	v_mov_b32_e32 v45, 0x7f80
	s_and_saveexec_b64 s[10:11], vcc
	s_cbranch_execz .LBB873_329
; %bb.328:
	v_and_b32_e32 v45, 7, v23
	v_ffbh_u32_e32 v54, v45
	v_min_u32_e32 v57, 32, v54
	v_mov_b32_e32 v42, v23
	v_subrev_u32_e32 v54, 28, v57
	v_lshlrev_b64 v[54:55], v54, v[42:43]
	v_lshrrev_b32_e32 v56, 3, v22
	v_sub_u32_e32 v42, 29, v57
	v_and_b32_e32 v54, 7, v54
	v_cmp_gt_u32_e32 vcc, 8, v22
	v_cndmask_b32_e32 v22, v56, v42, vcc
	v_cndmask_b32_e32 v42, v45, v54, vcc
	v_lshlrev_b32_e32 v45, 24, v23
	v_bfrev_b32_e32 v54, 60
	v_lshlrev_b32_e32 v42, 20, v42
	v_and_b32_e32 v45, 0x80000000, v45
	v_lshl_add_u32 v22, v22, 23, v54
	v_or3_b32 v22, v45, v22, v42
	v_lshrrev_b32_e32 v45, 16, v22
.LBB873_329:
	s_or_b64 exec, exec, s[10:11]
.LBB873_330:
	s_or_b64 exec, exec, s[8:9]
.LBB873_331:
	s_or_b64 exec, exec, s[2:3]
	v_lshrrev_b16_e32 v22, 8, v23
	v_cmp_ne_u16_e32 vcc, 0, v22
	v_mov_b32_e32 v55, 0
	v_mov_b32_e32 v54, 0
	s_and_saveexec_b64 s[2:3], vcc
	s_cbranch_execz .LBB873_337
; %bb.332:
	s_movk_i32 s8, 0x80
	v_cmp_ne_u16_e32 vcc, s8, v22
	v_mov_b32_e32 v54, 0xffff8000
	s_and_saveexec_b64 s[8:9], vcc
	s_cbranch_execz .LBB873_336
; %bb.333:
	s_movk_i32 s10, 0x7f
	v_and_b32_e32 v42, 0x7f, v22
	v_cmp_ne_u32_e32 vcc, s10, v42
	v_mov_b32_e32 v54, 0x7f80
	s_and_saveexec_b64 s[10:11], vcc
	s_cbranch_execz .LBB873_335
; %bb.334:
	v_and_b32_e32 v54, 7, v22
	v_ffbh_u32_e32 v56, v54
	v_min_u32_e32 v59, 32, v56
	v_subrev_u32_e32 v56, 28, v59
	v_lshlrev_b64 v[56:57], v56, v[22:23]
	v_lshrrev_b32_e32 v58, 3, v42
	v_sub_u32_e32 v22, 29, v59
	v_and_b32_e32 v56, 7, v56
	v_cmp_gt_u32_e32 vcc, 8, v42
	v_cndmask_b32_e32 v22, v58, v22, vcc
	v_cndmask_b32_e32 v42, v54, v56, vcc
	v_lshlrev_b32_e32 v54, 16, v23
	v_bfrev_b32_e32 v56, 60
	v_lshlrev_b32_e32 v42, 20, v42
	v_and_b32_e32 v54, 0x80000000, v54
	v_lshl_add_u32 v22, v22, 23, v56
	v_or3_b32 v22, v54, v22, v42
	v_lshrrev_b32_e32 v54, 16, v22
.LBB873_335:
	s_or_b64 exec, exec, s[10:11]
.LBB873_336:
	s_or_b64 exec, exec, s[8:9]
.LBB873_337:
	s_or_b64 exec, exec, s[2:3]
	s_movk_i32 s2, 0xff
	v_and_b32_sdwa v42, v23, s2 dst_sel:DWORD dst_unused:UNUSED_PAD src0_sel:WORD_1 src1_sel:DWORD
	v_lshrrev_b32_e32 v22, 16, v23
	v_cmp_ne_u16_e32 vcc, 0, v42
	s_and_saveexec_b64 s[2:3], vcc
	s_cbranch_execz .LBB873_343
; %bb.338:
	s_movk_i32 s8, 0x80
	v_cmp_ne_u16_e32 vcc, s8, v42
	v_mov_b32_e32 v55, 0xffff8000
	s_and_saveexec_b64 s[8:9], vcc
	s_cbranch_execz .LBB873_342
; %bb.339:
	v_bfe_u32 v42, v23, 16, 7
	s_movk_i32 s10, 0x7f
	v_cmp_ne_u32_e32 vcc, s10, v42
	v_mov_b32_e32 v55, 0x7f80
	s_and_saveexec_b64 s[10:11], vcc
	s_cbranch_execz .LBB873_341
; %bb.340:
	v_and_b32_e32 v55, 7, v22
	v_ffbh_u32_e32 v56, v55
	v_min_u32_e32 v59, 32, v56
	v_subrev_u32_e32 v56, 28, v59
	v_lshlrev_b64 v[56:57], v56, v[22:23]
	v_and_b32_e32 v56, 7, v56
	v_cmp_gt_u32_e32 vcc, 8, v42
	v_lshrrev_b32_e32 v58, 3, v42
	v_sub_u32_e32 v22, 29, v59
	v_cndmask_b32_e32 v42, v55, v56, vcc
	v_mov_b32_e32 v55, 24
	v_cndmask_b32_e32 v22, v58, v22, vcc
	v_lshlrev_b32_sdwa v55, v55, v23 dst_sel:DWORD dst_unused:UNUSED_PAD src0_sel:DWORD src1_sel:WORD_1
	v_bfrev_b32_e32 v56, 60
	v_lshlrev_b32_e32 v42, 20, v42
	v_and_b32_e32 v55, 0x80000000, v55
	v_lshl_add_u32 v22, v22, 23, v56
	v_or3_b32 v22, v55, v22, v42
	v_lshrrev_b32_e32 v55, 16, v22
.LBB873_341:
	s_or_b64 exec, exec, s[10:11]
.LBB873_342:
	s_or_b64 exec, exec, s[8:9]
.LBB873_343:
	s_or_b64 exec, exec, s[2:3]
	s_mov_b32 s2, 0xffffff
	v_cmp_lt_u32_e32 vcc, s2, v23
	v_mov_b32_e32 v42, 0
	v_mov_b32_e32 v56, 0
	s_and_saveexec_b64 s[2:3], vcc
	s_cbranch_execz .LBB873_349
; %bb.344:
	v_lshrrev_b32_e32 v22, 24, v23
	s_movk_i32 s8, 0x80
	v_cmp_ne_u32_e32 vcc, s8, v22
	v_mov_b32_e32 v56, 0xffff8000
	s_and_saveexec_b64 s[8:9], vcc
	s_cbranch_execz .LBB873_348
; %bb.345:
	v_bfe_u32 v23, v23, 24, 7
	s_movk_i32 s10, 0x7f
	v_cmp_ne_u32_e32 vcc, s10, v23
	v_mov_b32_e32 v56, 0x7f80
	s_and_saveexec_b64 s[10:11], vcc
	s_cbranch_execz .LBB873_347
; %bb.346:
	v_and_b32_e32 v58, 7, v22
	v_ffbh_u32_e32 v56, v58
	v_min_u32_e32 v60, 32, v56
	v_subrev_u32_e32 v56, 28, v60
	v_lshlrev_b64 v[56:57], v56, v[22:23]
	v_lshrrev_b32_e32 v59, 3, v23
	v_sub_u32_e32 v57, 29, v60
	v_and_b32_e32 v56, 7, v56
	v_cmp_gt_u32_e32 vcc, 8, v23
	v_cndmask_b32_e32 v23, v59, v57, vcc
	v_cndmask_b32_e32 v56, v58, v56, vcc
	v_lshlrev_b32_e32 v22, 24, v22
	v_bfrev_b32_e32 v57, 60
	v_lshlrev_b32_e32 v56, 20, v56
	v_and_b32_e32 v22, 0x80000000, v22
	v_lshl_add_u32 v23, v23, 23, v57
	v_or3_b32 v22, v22, v23, v56
	v_lshrrev_b32_e32 v56, 16, v22
.LBB873_347:
	s_or_b64 exec, exec, s[10:11]
.LBB873_348:
	s_or_b64 exec, exec, s[8:9]
.LBB873_349:
	s_or_b64 exec, exec, s[2:3]
	s_mov_b32 s2, 0x5040100
	v_perm_b32 v23, v52, v44, s2
	v_perm_b32 v22, v43, v53, s2
	v_cmp_ne_u16_sdwa s[8:9], v24, v42 src0_sel:BYTE_0 src1_sel:DWORD
	s_nop 0
	v_mfma_f32_16x16x16bf16_1k v[58:61], v[22:23], v[26:27], 0
	v_perm_b32 v23, v56, v55, s2
	v_perm_b32 v22, v54, v45, s2
	s_nop 1
	v_mfma_f32_16x16x16bf16_1k v[26:29], v[22:23], v[28:29], v[58:61]
	s_and_saveexec_b64 s[2:3], s[8:9]
	s_cbranch_execz .LBB873_355
; %bb.350:
	s_movk_i32 s8, 0x80
	v_cmp_ne_u16_sdwa s[10:11], v24, s8 src0_sel:BYTE_0 src1_sel:DWORD
	v_mov_b32_e32 v42, 0xffff8000
	s_and_saveexec_b64 s[8:9], s[10:11]
	s_cbranch_execz .LBB873_354
; %bb.351:
	s_movk_i32 s10, 0x7f
	v_and_b32_e32 v22, 0x7f, v24
	v_cmp_ne_u32_e32 vcc, s10, v22
	v_mov_b32_e32 v42, 0x7f80
	s_and_saveexec_b64 s[10:11], vcc
	s_cbranch_execz .LBB873_353
; %bb.352:
	v_and_b32_e32 v23, 7, v24
	v_ffbh_u32_e32 v42, v23
	v_min_u32_e32 v45, 32, v42
	v_subrev_u32_e32 v42, 28, v45
	v_lshlrev_b64 v[42:43], v42, v[24:25]
	v_lshrrev_b32_e32 v44, 3, v22
	v_sub_u32_e32 v43, 29, v45
	v_and_b32_e32 v42, 7, v42
	v_cmp_gt_u32_e32 vcc, 8, v22
	v_cndmask_b32_e32 v22, v44, v43, vcc
	v_cndmask_b32_e32 v23, v23, v42, vcc
	v_lshlrev_b32_e32 v42, 24, v24
	v_bfrev_b32_e32 v43, 60
	v_lshlrev_b32_e32 v23, 20, v23
	v_and_b32_e32 v42, 0x80000000, v42
	v_lshl_add_u32 v22, v22, 23, v43
	v_or3_b32 v22, v42, v22, v23
	v_lshrrev_b32_e32 v42, 16, v22
.LBB873_353:
	s_or_b64 exec, exec, s[10:11]
.LBB873_354:
	s_or_b64 exec, exec, s[8:9]
.LBB873_355:
	s_or_b64 exec, exec, s[2:3]
	v_lshrrev_b16_e32 v22, 8, v24
	v_cmp_ne_u16_e32 vcc, 0, v22
	v_mov_b32_e32 v43, 0
	v_mov_b32_e32 v23, 0
	s_and_saveexec_b64 s[2:3], vcc
	s_cbranch_execz .LBB873_361
; %bb.356:
	s_movk_i32 s8, 0x80
	v_cmp_ne_u16_e32 vcc, s8, v22
	v_mov_b32_e32 v23, 0xffff8000
	s_and_saveexec_b64 s[8:9], vcc
	s_cbranch_execz .LBB873_360
; %bb.357:
	s_movk_i32 s10, 0x7f
	v_and_b32_e32 v44, 0x7f, v22
	v_cmp_ne_u32_e32 vcc, s10, v44
	v_mov_b32_e32 v23, 0x7f80
	s_and_saveexec_b64 s[10:11], vcc
	s_cbranch_execz .LBB873_359
; %bb.358:
	v_and_b32_e32 v45, 7, v22
	v_ffbh_u32_e32 v23, v45
	v_min_u32_e32 v53, 32, v23
	v_subrev_u32_e32 v23, 28, v53
	v_lshlrev_b64 v[22:23], v23, v[22:23]
	v_lshrrev_b32_e32 v52, 3, v44
	v_sub_u32_e32 v23, 29, v53
	v_and_b32_e32 v22, 7, v22
	v_cmp_gt_u32_e32 vcc, 8, v44
	v_cndmask_b32_e32 v23, v52, v23, vcc
	v_cndmask_b32_e32 v22, v45, v22, vcc
	v_lshlrev_b32_e32 v44, 16, v24
	v_bfrev_b32_e32 v45, 60
	v_lshlrev_b32_e32 v22, 20, v22
	v_and_b32_e32 v44, 0x80000000, v44
	v_lshl_add_u32 v23, v23, 23, v45
	v_or3_b32 v22, v44, v23, v22
	v_lshrrev_b32_e32 v23, 16, v22
.LBB873_359:
	s_or_b64 exec, exec, s[10:11]
.LBB873_360:
	s_or_b64 exec, exec, s[8:9]
.LBB873_361:
	s_or_b64 exec, exec, s[2:3]
	s_movk_i32 s2, 0xff
	v_and_b32_sdwa v44, v24, s2 dst_sel:DWORD dst_unused:UNUSED_PAD src0_sel:WORD_1 src1_sel:DWORD
	v_lshrrev_b32_e32 v22, 16, v24
	v_cmp_ne_u16_e32 vcc, 0, v44
	s_and_saveexec_b64 s[2:3], vcc
	s_cbranch_execz .LBB873_367
; %bb.362:
	s_movk_i32 s8, 0x80
	v_cmp_ne_u16_e32 vcc, s8, v44
	v_mov_b32_e32 v43, 0xffff8000
	s_and_saveexec_b64 s[8:9], vcc
	s_cbranch_execz .LBB873_366
; %bb.363:
	v_bfe_u32 v44, v24, 16, 7
	s_movk_i32 s10, 0x7f
	v_cmp_ne_u32_e32 vcc, s10, v44
	v_mov_b32_e32 v43, 0x7f80
	s_and_saveexec_b64 s[10:11], vcc
	s_cbranch_execz .LBB873_365
; %bb.364:
	v_and_b32_e32 v43, 7, v22
	v_ffbh_u32_e32 v52, v43
	v_min_u32_e32 v54, 32, v52
	v_subrev_u32_e32 v52, 28, v54
	v_lshlrev_b64 v[52:53], v52, v[22:23]
	v_lshrrev_b32_e32 v45, 3, v44
	v_sub_u32_e32 v22, 29, v54
	v_and_b32_e32 v52, 7, v52
	v_cmp_gt_u32_e32 vcc, 8, v44
	v_mov_b32_e32 v44, 24
	v_cndmask_b32_e32 v22, v45, v22, vcc
	v_cndmask_b32_e32 v43, v43, v52, vcc
	v_lshlrev_b32_sdwa v44, v44, v24 dst_sel:DWORD dst_unused:UNUSED_PAD src0_sel:DWORD src1_sel:WORD_1
	v_bfrev_b32_e32 v45, 60
	v_lshlrev_b32_e32 v43, 20, v43
	v_and_b32_e32 v44, 0x80000000, v44
	v_lshl_add_u32 v22, v22, 23, v45
	v_or3_b32 v22, v44, v22, v43
	v_lshrrev_b32_e32 v43, 16, v22
.LBB873_365:
	s_or_b64 exec, exec, s[10:11]
.LBB873_366:
	s_or_b64 exec, exec, s[8:9]
.LBB873_367:
	s_or_b64 exec, exec, s[2:3]
	s_mov_b32 s2, 0xffffff
	v_cmp_lt_u32_e32 vcc, s2, v24
	v_mov_b32_e32 v45, 0
	v_mov_b32_e32 v52, 0
	s_and_saveexec_b64 s[2:3], vcc
	s_cbranch_execz .LBB873_373
; %bb.368:
	v_lshrrev_b32_e32 v22, 24, v24
	s_movk_i32 s8, 0x80
	v_cmp_ne_u32_e32 vcc, s8, v22
	v_mov_b32_e32 v52, 0xffff8000
	s_and_saveexec_b64 s[8:9], vcc
	s_cbranch_execz .LBB873_372
; %bb.369:
	v_bfe_u32 v24, v24, 24, 7
	s_movk_i32 s10, 0x7f
	v_cmp_ne_u32_e32 vcc, s10, v24
	v_mov_b32_e32 v52, 0x7f80
	s_and_saveexec_b64 s[10:11], vcc
	s_cbranch_execz .LBB873_371
; %bb.370:
	v_and_b32_e32 v44, 7, v22
	v_ffbh_u32_e32 v52, v44
	v_min_u32_e32 v55, 32, v52
	v_subrev_u32_e32 v52, 28, v55
	v_lshlrev_b64 v[52:53], v52, v[22:23]
	v_lshrrev_b32_e32 v54, 3, v24
	v_sub_u32_e32 v53, 29, v55
	v_and_b32_e32 v52, 7, v52
	v_cmp_gt_u32_e32 vcc, 8, v24
	v_cndmask_b32_e32 v24, v54, v53, vcc
	v_cndmask_b32_e32 v44, v44, v52, vcc
	v_lshlrev_b32_e32 v22, 24, v22
	v_bfrev_b32_e32 v52, 60
	v_lshlrev_b32_e32 v44, 20, v44
	v_and_b32_e32 v22, 0x80000000, v22
	v_lshl_add_u32 v24, v24, 23, v52
	v_or3_b32 v22, v22, v24, v44
	v_lshrrev_b32_e32 v52, 16, v22
.LBB873_371:
	s_or_b64 exec, exec, s[10:11]
.LBB873_372:
	s_or_b64 exec, exec, s[8:9]
.LBB873_373:
	s_or_b64 exec, exec, s[2:3]
	v_cmp_ne_u16_sdwa s[8:9], v25, v45 src0_sel:BYTE_0 src1_sel:DWORD
	s_and_saveexec_b64 s[2:3], s[8:9]
	s_cbranch_execz .LBB873_379
; %bb.374:
	s_movk_i32 s8, 0x80
	v_cmp_ne_u16_sdwa s[10:11], v25, s8 src0_sel:BYTE_0 src1_sel:DWORD
	v_mov_b32_e32 v45, 0xffff8000
	s_and_saveexec_b64 s[8:9], s[10:11]
	s_cbranch_execz .LBB873_378
; %bb.375:
	s_movk_i32 s10, 0x7f
	v_and_b32_e32 v22, 0x7f, v25
	v_cmp_ne_u32_e32 vcc, s10, v22
	v_mov_b32_e32 v45, 0x7f80
	s_and_saveexec_b64 s[10:11], vcc
	s_cbranch_execz .LBB873_377
; %bb.376:
	v_and_b32_e32 v53, 7, v25
	v_ffbh_u32_e32 v44, v53
	v_min_u32_e32 v55, 32, v44
	v_mov_b32_e32 v24, v25
	v_subrev_u32_e32 v44, 28, v55
	v_lshlrev_b64 v[44:45], v44, v[24:25]
	v_lshrrev_b32_e32 v54, 3, v22
	v_sub_u32_e32 v24, 29, v55
	v_and_b32_e32 v44, 7, v44
	v_cmp_gt_u32_e32 vcc, 8, v22
	v_cndmask_b32_e32 v22, v54, v24, vcc
	v_cndmask_b32_e32 v24, v53, v44, vcc
	v_lshlrev_b32_e32 v44, 24, v25
	v_bfrev_b32_e32 v45, 60
	v_lshlrev_b32_e32 v24, 20, v24
	v_and_b32_e32 v44, 0x80000000, v44
	v_lshl_add_u32 v22, v22, 23, v45
	v_or3_b32 v22, v44, v22, v24
	v_lshrrev_b32_e32 v45, 16, v22
.LBB873_377:
	s_or_b64 exec, exec, s[10:11]
.LBB873_378:
	s_or_b64 exec, exec, s[8:9]
.LBB873_379:
	s_or_b64 exec, exec, s[2:3]
	v_lshrrev_b16_e32 v22, 8, v25
	v_cmp_ne_u16_e32 vcc, 0, v22
	v_mov_b32_e32 v54, 0
	v_mov_b32_e32 v53, 0
	s_and_saveexec_b64 s[2:3], vcc
	s_cbranch_execz .LBB873_385
; %bb.380:
	s_movk_i32 s8, 0x80
	v_cmp_ne_u16_e32 vcc, s8, v22
	v_mov_b32_e32 v53, 0xffff8000
	s_and_saveexec_b64 s[8:9], vcc
	s_cbranch_execz .LBB873_384
; %bb.381:
	s_movk_i32 s10, 0x7f
	v_and_b32_e32 v24, 0x7f, v22
	v_cmp_ne_u32_e32 vcc, s10, v24
	v_mov_b32_e32 v53, 0x7f80
	s_and_saveexec_b64 s[10:11], vcc
	s_cbranch_execz .LBB873_383
; %bb.382:
	v_and_b32_e32 v44, 7, v22
	v_ffbh_u32_e32 v55, v44
	v_min_u32_e32 v55, 32, v55
	v_subrev_u32_e32 v56, 28, v55
	v_lshlrev_b64 v[56:57], v56, v[22:23]
	v_lshrrev_b32_e32 v53, 3, v24
	v_sub_u32_e32 v22, 29, v55
	v_and_b32_e32 v55, 7, v56
	v_cmp_gt_u32_e32 vcc, 8, v24
	v_cndmask_b32_e32 v22, v53, v22, vcc
	v_cndmask_b32_e32 v24, v44, v55, vcc
	v_lshlrev_b32_e32 v44, 16, v25
	v_bfrev_b32_e32 v53, 60
	v_lshlrev_b32_e32 v24, 20, v24
	v_and_b32_e32 v44, 0x80000000, v44
	v_lshl_add_u32 v22, v22, 23, v53
	v_or3_b32 v22, v44, v22, v24
	v_lshrrev_b32_e32 v53, 16, v22
.LBB873_383:
	s_or_b64 exec, exec, s[10:11]
.LBB873_384:
	s_or_b64 exec, exec, s[8:9]
.LBB873_385:
	s_or_b64 exec, exec, s[2:3]
	s_movk_i32 s2, 0xff
	v_and_b32_sdwa v24, v25, s2 dst_sel:DWORD dst_unused:UNUSED_PAD src0_sel:WORD_1 src1_sel:DWORD
	v_lshrrev_b32_e32 v22, 16, v25
	v_cmp_ne_u16_e32 vcc, 0, v24
	s_and_saveexec_b64 s[2:3], vcc
	s_cbranch_execz .LBB873_391
; %bb.386:
	s_movk_i32 s8, 0x80
	v_cmp_ne_u16_e32 vcc, s8, v24
	v_mov_b32_e32 v54, 0xffff8000
	s_and_saveexec_b64 s[8:9], vcc
	s_cbranch_execz .LBB873_390
; %bb.387:
	v_bfe_u32 v24, v25, 16, 7
	s_movk_i32 s10, 0x7f
	v_cmp_ne_u32_e32 vcc, s10, v24
	v_mov_b32_e32 v54, 0x7f80
	s_and_saveexec_b64 s[10:11], vcc
	s_cbranch_execz .LBB873_389
; %bb.388:
	v_and_b32_e32 v44, 7, v22
	v_ffbh_u32_e32 v54, v44
	v_min_u32_e32 v57, 32, v54
	v_subrev_u32_e32 v54, 28, v57
	v_lshlrev_b64 v[54:55], v54, v[22:23]
	v_and_b32_e32 v54, 7, v54
	v_cmp_gt_u32_e32 vcc, 8, v24
	v_lshrrev_b32_e32 v56, 3, v24
	v_sub_u32_e32 v22, 29, v57
	v_cndmask_b32_e32 v24, v44, v54, vcc
	v_mov_b32_e32 v44, 24
	v_cndmask_b32_e32 v22, v56, v22, vcc
	v_lshlrev_b32_sdwa v44, v44, v25 dst_sel:DWORD dst_unused:UNUSED_PAD src0_sel:DWORD src1_sel:WORD_1
	v_bfrev_b32_e32 v54, 60
	v_lshlrev_b32_e32 v24, 20, v24
	v_and_b32_e32 v44, 0x80000000, v44
	v_lshl_add_u32 v22, v22, 23, v54
	v_or3_b32 v22, v44, v22, v24
	v_lshrrev_b32_e32 v54, 16, v22
.LBB873_389:
	s_or_b64 exec, exec, s[10:11]
.LBB873_390:
	s_or_b64 exec, exec, s[8:9]
.LBB873_391:
	s_or_b64 exec, exec, s[2:3]
	s_mov_b32 s2, 0xffffff
	v_and_b32_e32 v44, 63, v0
	v_cmp_lt_u32_e32 vcc, s2, v25
	v_mov_b32_e32 v55, 0
	s_and_saveexec_b64 s[2:3], vcc
	s_cbranch_execz .LBB873_397
; %bb.392:
	v_lshrrev_b32_e32 v22, 24, v25
	s_movk_i32 s8, 0x80
	v_cmp_ne_u32_e32 vcc, s8, v22
	v_mov_b32_e32 v55, 0xffff8000
	s_and_saveexec_b64 s[8:9], vcc
	s_cbranch_execz .LBB873_396
; %bb.393:
	v_bfe_u32 v24, v25, 24, 7
	s_movk_i32 s10, 0x7f
	v_cmp_ne_u32_e32 vcc, s10, v24
	v_mov_b32_e32 v55, 0x7f80
	s_and_saveexec_b64 s[10:11], vcc
	s_cbranch_execz .LBB873_395
; %bb.394:
	v_and_b32_e32 v25, 7, v22
	v_ffbh_u32_e32 v56, v25
	v_min_u32_e32 v58, 32, v56
	v_subrev_u32_e32 v56, 28, v58
	v_lshlrev_b64 v[56:57], v56, v[22:23]
	v_lshrrev_b32_e32 v55, 3, v24
	v_sub_u32_e32 v57, 29, v58
	v_and_b32_e32 v56, 7, v56
	v_cmp_gt_u32_e32 vcc, 8, v24
	v_cndmask_b32_e32 v24, v55, v57, vcc
	v_cndmask_b32_e32 v25, v25, v56, vcc
	v_lshlrev_b32_e32 v22, 24, v22
	v_bfrev_b32_e32 v55, 60
	v_lshlrev_b32_e32 v25, 20, v25
	v_and_b32_e32 v22, 0x80000000, v22
	v_lshl_add_u32 v24, v24, 23, v55
	v_or3_b32 v22, v22, v24, v25
	v_lshrrev_b32_e32 v55, 16, v22
.LBB873_395:
	s_or_b64 exec, exec, s[10:11]
.LBB873_396:
	s_or_b64 exec, exec, s[8:9]
.LBB873_397:
	s_or_b64 exec, exec, s[2:3]
	s_mov_b32 s3, 0x5040100
	v_perm_b32 v43, v52, v43, s3
	v_perm_b32 v42, v23, v42, s3
	s_load_dword s2, s[4:5], 0x1c
	s_mov_b32 s46, 0xff7fffff
	s_waitcnt lgkmcnt(0)
	v_mfma_f32_16x16x16bf16_1k v[26:29], v[42:43], v[18:19], v[26:29]
	v_perm_b32 v19, v55, v54, s3
	v_perm_b32 v18, v53, v45, s3
	v_mov_b32_e32 v22, s2
	v_mul_f32_e32 v52, s12, v22
	v_pk_mul_f32 v[22:23], v[52:53], v[32:33] op_sel_hi:[0,1]
	v_pk_mul_f32 v[32:33], v[52:53], v[38:39] op_sel_hi:[0,1]
	v_and_b32_e32 v38, 0xc0, v0
	v_mfma_f32_16x16x16bf16_1k v[26:29], v[18:19], v[20:21], v[26:29]
	v_add_u32_e32 v38, s18, v38
	v_lshl_or_b32 v38, v1, 2, v38
	v_or_b32_e32 v39, 1, v38
	v_pk_mul_f32 v[24:25], v[52:53], v[30:31] op_sel_hi:[0,1]
	v_pk_mul_f32 v[30:31], v[52:53], v[40:41] op_sel_hi:[0,1]
	v_subrev_u32_e32 v40, s33, v39
	v_pk_mul_f32 v[34:35], v[52:53], v[34:35] op_sel_hi:[0,1]
	s_nop 3
	v_pk_mul_f32 v[20:21], v[52:53], v[26:27] op_sel_hi:[0,1]
	v_add_u32_e32 v27, 1, v40
	v_pk_mul_f32 v[18:19], v[52:53], v[28:29] op_sel_hi:[0,1]
	v_cvt_f32_i32_e32 v27, v27
	v_add_u32_e32 v29, 3, v40
	v_cvt_f32_i32_e32 v29, v29
	v_cvt_f32_i32_e32 v26, v40
	v_pk_mul_f32 v[36:37], v[52:53], v[36:37] op_sel_hi:[0,1]
	v_fmac_f32_e32 v35, v51, v27
	v_add_u32_e32 v27, 16, v40
	v_fmac_f32_e32 v37, v51, v29
	v_cvt_f32_i32_e32 v27, v27
	v_add_u32_e32 v29, 17, v40
	v_fma_f32 v26, v51, v26, v34
	v_cvt_f32_i32_e32 v29, v29
	v_add_u32_e32 v34, 18, v40
	v_cvt_f32_i32_e32 v34, v34
	v_fma_f32 v41, v51, v27, v32
	v_add_u32_e32 v27, 32, v40
	v_fmac_f32_e32 v33, v51, v29
	v_cvt_f32_i32_e32 v27, v27
	v_add_u32_e32 v29, 33, v40
	v_add_u32_e32 v32, 34, v40
	v_fma_f32 v30, v51, v34, v30
	v_cvt_f32_i32_e32 v29, v29
	v_cvt_f32_i32_e32 v32, v32
	v_add_u32_e32 v34, 35, v40
	v_cvt_f32_i32_e32 v34, v34
	v_fma_f32 v24, v51, v27, v24
	v_add_u32_e32 v27, 48, v40
	v_fmac_f32_e32 v25, v51, v29
	v_fma_f32 v22, v51, v32, v22
	v_cvt_f32_i32_e32 v27, v27
	v_add_u32_e32 v29, 49, v40
	v_add_u32_e32 v32, 50, v40
	v_fmac_f32_e32 v23, v51, v34
	v_cvt_f32_i32_e32 v29, v29
	v_cvt_f32_i32_e32 v32, v32
	v_add_u32_e32 v34, 51, v40
	v_add_u32_e32 v28, 2, v40
	v_cvt_f32_i32_e32 v34, v34
	v_cvt_f32_i32_e32 v28, v28
	v_fma_f32 v20, v51, v27, v20
	v_mov_b32_e32 v27, 0xff7fffff
	v_cmp_gt_i32_e64 s[26:27], s33, v38
	v_cmp_gt_i32_e64 s[28:29], s33, v39
	v_fmac_f32_e32 v21, v51, v29
	v_fma_f32 v18, v51, v32, v18
	v_cndmask_b32_e64 v29, v27, v26, s[26:27]
	v_cndmask_b32_e64 v32, v27, v35, s[28:29]
	v_fmac_f32_e32 v19, v51, v34
	v_max3_f32 v29, v29, s46, v32
	v_or_b32_e32 v32, 2, v38
	v_or_b32_e32 v34, 3, v38
	v_fma_f32 v28, v51, v28, v36
	v_cmp_gt_i32_e64 s[30:31], s33, v32
	v_cmp_gt_i32_e64 s[34:35], s33, v34
	v_add_u32_e32 v36, 19, v40
	v_cndmask_b32_e64 v32, v27, v28, s[30:31]
	v_cndmask_b32_e64 v34, v27, v37, s[34:35]
	v_cvt_f32_i32_e32 v36, v36
	v_max3_f32 v29, v29, v32, v34
	v_or_b32_e32 v32, 16, v38
	v_or_b32_e32 v34, 17, v38
	v_cmp_gt_i32_e64 s[36:37], s33, v32
	v_cmp_gt_i32_e64 s[38:39], s33, v34
	v_cndmask_b32_e64 v32, v27, v41, s[36:37]
	v_cndmask_b32_e64 v34, v27, v33, s[38:39]
	v_max3_f32 v29, v29, v32, v34
	v_or_b32_e32 v32, 18, v38
	v_or_b32_e32 v34, 19, v38
	v_fmac_f32_e32 v31, v51, v36
	v_cmp_gt_i32_e64 s[20:21], s33, v32
	v_cmp_gt_i32_e64 s[22:23], s33, v34
	v_cndmask_b32_e64 v32, v27, v30, s[20:21]
	v_cndmask_b32_e64 v34, v27, v31, s[22:23]
	v_max3_f32 v29, v29, v32, v34
	v_or_b32_e32 v32, 32, v38
	v_or_b32_e32 v34, 33, v38
	v_cmp_gt_i32_e64 s[16:17], s33, v32
	v_cmp_gt_i32_e64 s[18:19], s33, v34
	v_cndmask_b32_e64 v32, v27, v24, s[16:17]
	v_cndmask_b32_e64 v34, v27, v25, s[18:19]
	v_max3_f32 v29, v29, v32, v34
	v_or_b32_e32 v32, 34, v38
	v_or_b32_e32 v34, 35, v38
	;; [unrolled: 7-line block ×4, first 2 shown]
	v_cmp_gt_i32_e32 vcc, s33, v32
	v_cmp_gt_i32_e64 s[2:3], s33, v34
	v_cndmask_b32_e32 v32, v27, v18, vcc
	v_cndmask_b32_e64 v27, v27, v19, s[2:3]
	v_max3_f32 v27, v29, v32, v27
	v_mbcnt_lo_u32_b32 v29, -1, 0
	v_mbcnt_hi_u32_b32 v29, -1, v29
	v_and_b32_e32 v32, 64, v29
	v_add_u32_e32 v32, 64, v32
	v_xor_b32_e32 v34, 32, v29
	v_cmp_lt_i32_e64 s[40:41], v34, v32
	v_cndmask_b32_e64 v34, v29, v34, s[40:41]
	v_lshlrev_b32_e32 v36, 2, v34
	ds_bpermute_b32 v34, v36, v27
	s_barrier
	s_waitcnt lgkmcnt(0)
	v_max_f32_e32 v34, v34, v34
	v_max_f32_e32 v27, v27, v34
	v_xor_b32_e32 v34, 16, v29
	v_cmp_lt_i32_e64 s[40:41], v34, v32
	v_cndmask_b32_e64 v29, v29, v34, s[40:41]
	v_lshlrev_b32_e32 v38, 2, v29
	ds_bpermute_b32 v29, v38, v27
	s_waitcnt lgkmcnt(0)
	v_max_f32_e32 v29, v29, v29
	v_max_f32_e32 v32, v27, v29
	v_sub_f32_e32 v26, v26, v32
	v_mul_f32_e32 v26, 0x3fb8aa3b, v26
	v_sub_f32_e32 v27, v35, v32
	v_exp_f32_e32 v26, v26
	v_mul_f32_e32 v27, 0x3fb8aa3b, v27
	v_sub_f32_e32 v28, v28, v32
	v_exp_f32_e32 v27, v27
	v_mul_f32_e32 v28, 0x3fb8aa3b, v28
	v_exp_f32_e32 v28, v28
	v_cndmask_b32_e64 v26, 0, v26, s[26:27]
	v_sub_f32_e32 v34, v37, v32
	v_add_f32_e32 v29, 0, v26
	v_cndmask_b32_e64 v27, 0, v27, s[28:29]
	v_mul_f32_e32 v34, 0x3fb8aa3b, v34
	v_exp_f32_e32 v35, v34
	v_add_f32_e32 v29, v29, v27
	v_cndmask_b32_e64 v34, 0, v28, s[30:31]
	v_add_f32_e32 v28, v29, v34
	v_sub_f32_e32 v29, v41, v32
	v_mul_f32_e32 v29, 0x3fb8aa3b, v29
	v_sub_f32_e32 v33, v33, v32
	v_exp_f32_e32 v29, v29
	v_mul_f32_e32 v33, 0x3fb8aa3b, v33
	v_sub_f32_e32 v30, v30, v32
	v_exp_f32_e32 v33, v33
	v_mul_f32_e32 v30, 0x3fb8aa3b, v30
	v_sub_f32_e32 v31, v31, v32
	v_exp_f32_e32 v30, v30
	v_mul_f32_e32 v31, 0x3fb8aa3b, v31
	v_sub_f32_e32 v24, v24, v32
	v_cndmask_b32_e64 v35, 0, v35, s[34:35]
	v_exp_f32_e32 v31, v31
	v_mul_f32_e32 v24, 0x3fb8aa3b, v24
	v_sub_f32_e32 v25, v25, v32
	v_add_f32_e32 v37, v28, v35
	v_cndmask_b32_e64 v28, 0, v29, s[36:37]
	v_exp_f32_e32 v24, v24
	v_mul_f32_e32 v25, 0x3fb8aa3b, v25
	v_sub_f32_e32 v22, v22, v32
	v_add_f32_e32 v37, v37, v28
	;; [unrolled: 5-line block ×7, first 2 shown]
	v_cndmask_b32_e64 v22, 0, v22, s[12:13]
	v_exp_f32_e32 v18, v18
	v_mul_f32_e32 v19, 0x3fb8aa3b, v19
	v_add_f32_e32 v33, v33, v22
	v_cndmask_b32_e64 v23, 0, v23, s[14:15]
	v_exp_f32_e32 v19, v19
	v_add_f32_e32 v33, v33, v23
	v_cndmask_b32_e64 v20, 0, v20, s[8:9]
	v_add_f32_e32 v33, v33, v20
	v_cndmask_b32_e64 v21, 0, v21, s[10:11]
	v_add_f32_e32 v33, v33, v21
	v_cndmask_b32_e32 v18, 0, v18, vcc
	v_add_f32_e32 v33, v33, v18
	v_cndmask_b32_e64 v19, 0, v19, s[2:3]
	v_add_f32_e32 v33, v33, v19
	ds_bpermute_b32 v36, v36, v33
	v_cmp_gt_u32_e32 vcc, 16, v44
	s_waitcnt lgkmcnt(0)
	v_add_f32_e32 v36, v33, v36
	ds_bpermute_b32 v37, v38, v36
	v_lshlrev_b32_e32 v33, 2, v49
	s_and_saveexec_b64 s[2:3], vcc
	s_cbranch_execz .LBB873_399
; %bb.398:
	s_waitcnt lgkmcnt(0)
	v_add_f32_e32 v36, v36, v37
	v_lshl_or_b32 v37, v50, 6, v33
	ds_write2st64_b32 v37, v32, v36 offset1:1
.LBB873_399:
	s_or_b64 exec, exec, s[2:3]
	s_waitcnt lgkmcnt(0)
	s_barrier
	ds_read2_b32 v[36:37], v33 offset1:16
	ds_read2_b32 v[38:39], v33 offset0:32 offset1:48
	ds_read2_b32 v[40:41], v33 offset0:64 offset1:80
	s_mul_i32 s12, s45, 12
	s_waitcnt lgkmcnt(2)
	v_max3_f32 v32, v36, s46, v37
	s_waitcnt lgkmcnt(1)
	v_max3_f32 v32, v32, v38, v39
	v_sub_f32_e32 v36, v36, v32
	v_mul_f32_e32 v36, 0x3fb8aa3b, v36
	v_exp_f32_e32 v42, v36
	v_sub_f32_e32 v36, v37, v32
	v_mul_f32_e32 v36, 0x3fb8aa3b, v36
	v_exp_f32_e32 v43, v36
	;; [unrolled: 3-line block ×3, first 2 shown]
	ds_read2_b32 v[36:37], v33 offset0:96 offset1:112
	v_sub_f32_e32 v33, v39, v32
	v_mul_f32_e32 v33, 0x3fb8aa3b, v33
	v_exp_f32_e32 v39, v33
	s_waitcnt lgkmcnt(1)
	v_fma_f32 v33, v42, v40, 0
	v_fmac_f32_e32 v33, v43, v41
	s_waitcnt lgkmcnt(0)
	v_fmac_f32_e32 v33, v38, v36
	v_fmac_f32_e32 v33, v39, v37
	v_add_f32_e32 v36, 0x358637bd, v33
	v_div_scale_f32 v37, s[2:3], v36, v36, 1.0
	v_rcp_f32_e32 v40, v37
	s_movk_i32 s2, 0x7fff
	s_mov_b32 s3, 0x7060302
	v_fma_f32 v41, -v37, v40, 1.0
	v_fmac_f32_e32 v40, v41, v40
	v_div_scale_f32 v41, vcc, 1.0, v36, 1.0
	v_mul_f32_e32 v44, v41, v40
	v_fma_f32 v45, -v37, v44, v41
	v_fmac_f32_e32 v44, v45, v40
	v_fma_f32 v37, -v37, v44, v41
	v_div_fmas_f32 v37, v37, v40, v44
	v_cmp_eq_u32_e32 vcc, 1, v50
	v_div_fixup_f32 v36, v37, v36, 1.0
	v_cndmask_b32_e32 v37, v42, v43, vcc
	v_cmp_eq_u32_e32 vcc, 2, v50
	v_cndmask_b32_e32 v37, v37, v38, vcc
	v_cmp_eq_u32_e32 vcc, 3, v50
	v_cndmask_b32_e32 v37, v37, v39, vcc
	v_mul_f32_e32 v36, v37, v36
	v_pk_mul_f32 v[26:27], v[36:37], v[26:27] op_sel_hi:[0,1]
	v_pk_mul_f32 v[34:35], v[36:37], v[34:35] op_sel_hi:[0,1]
	v_bfe_u32 v37, v27, 16, 1
	v_bfe_u32 v38, v26, 16, 1
	v_add3_u32 v26, v26, v38, s2
	v_add3_u32 v27, v27, v37, s2
	v_perm_b32 v38, v27, v26, s3
	v_bfe_u32 v26, v35, 16, 1
	v_bfe_u32 v27, v34, 16, 1
	v_add3_u32 v27, v34, v27, s2
	v_add3_u32 v26, v35, v26, s2
	v_perm_b32 v39, v26, v27, s3
	v_lshlrev_b32_e32 v26, 3, v1
	v_lshlrev_b32_e32 v27, 11, v50
	v_pk_mul_f32 v[28:29], v[36:37], v[28:29] op_sel_hi:[0,1]
	v_or3_b32 v26, v27, v48, v26
	v_bfe_u32 v27, v29, 16, 1
	v_bfe_u32 v34, v28, 16, 1
	v_pk_mul_f32 v[30:31], v[36:37], v[30:31] op_sel_hi:[0,1]
	v_add3_u32 v28, v28, v34, s2
	v_add3_u32 v27, v29, v27, s2
	v_perm_b32 v28, v27, v28, s3
	v_bfe_u32 v27, v31, 16, 1
	v_bfe_u32 v29, v30, 16, 1
	v_add3_u32 v29, v30, v29, s2
	v_add3_u32 v27, v31, v27, s2
	v_perm_b32 v29, v27, v29, s3
	v_pk_mul_f32 v[24:25], v[36:37], v[24:25] op_sel_hi:[0,1]
	s_barrier
	ds_write2st64_b64 v26, v[38:39], v[28:29] offset1:1
	v_bfe_u32 v27, v25, 16, 1
	v_bfe_u32 v28, v24, 16, 1
	v_pk_mul_f32 v[22:23], v[36:37], v[22:23] op_sel_hi:[0,1]
	v_add3_u32 v24, v24, v28, s2
	v_add3_u32 v25, v25, v27, s2
	v_perm_b32 v24, v25, v24, s3
	v_bfe_u32 v25, v23, 16, 1
	v_bfe_u32 v27, v22, 16, 1
	v_add3_u32 v22, v22, v27, s2
	v_add3_u32 v23, v23, v25, s2
	v_pk_mul_f32 v[20:21], v[36:37], v[20:21] op_sel_hi:[0,1]
	v_perm_b32 v25, v23, v22, s3
	v_bfe_u32 v22, v21, 16, 1
	v_bfe_u32 v23, v20, 16, 1
	v_pk_mul_f32 v[18:19], v[36:37], v[18:19] op_sel_hi:[0,1]
	v_add3_u32 v20, v20, v23, s2
	v_add3_u32 v21, v21, v22, s2
	v_perm_b32 v20, v21, v20, s3
	v_bfe_u32 v21, v19, 16, 1
	v_bfe_u32 v22, v18, 16, 1
	v_add3_u32 v18, v18, v22, s2
	v_add3_u32 v19, v19, v21, s2
	v_perm_b32 v21, v19, v18, s3
	v_cmp_gt_u32_e32 vcc, 12, v0
	ds_write2st64_b64 v26, v[24:25], v[20:21] offset0:2 offset1:3
	s_and_saveexec_b64 s[2:3], vcc
	s_cbranch_execz .LBB873_401
; %bb.400:
	v_add_co_u32_e32 v20, vcc, s25, v49
	v_addc_co_u32_e64 v21, s[14:15], 0, 0, vcc
	v_mov_b32_e32 v18, s12
	v_mov_b32_e32 v19, 0
	v_mad_u64_u32 v[20:21], s[14:15], s6, v18, v[20:21]
	v_mov_b32_e32 v18, s24
	s_load_dwordx4 s[8:11], s[4:5], 0x58
	s_mul_i32 s7, s7, s12
	v_mad_u64_u32 v[18:19], s[14:15], v20, s44, v[18:19]
	v_add_u32_e32 v21, s7, v21
	v_mov_b32_e32 v20, v19
	v_mad_u64_u32 v[20:21], s[14:15], v21, s44, v[20:21]
	v_mov_b32_e32 v19, v20
	v_lshlrev_b64 v[18:19], 2, v[18:19]
	s_waitcnt lgkmcnt(0)
	v_mov_b32_e32 v21, s11
	v_add_co_u32_e32 v20, vcc, s10, v18
	v_addc_co_u32_e32 v21, vcc, v21, v19, vcc
	global_store_dword v[20:21], v32, off
	v_mov_b32_e32 v20, s9
	v_add_co_u32_e32 v18, vcc, s8, v18
	v_addc_co_u32_e32 v19, vcc, v20, v19, vcc
	global_store_dword v[18:19], v33, off
.LBB873_401:
	s_or_b64 exec, exec, s[2:3]
	v_mov_b32_e32 v19, 0
	s_waitcnt vmcnt(3)
	v_cmp_ne_u16_sdwa s[8:9], v14, v19 src0_sel:BYTE_0 src1_sel:DWORD
	v_mov_b32_e32 v20, 0
	s_waitcnt lgkmcnt(0)
	s_barrier
	s_and_saveexec_b64 s[2:3], s[8:9]
	s_cbranch_execz .LBB873_407
; %bb.402:
	s_movk_i32 s7, 0x80
	v_cmp_ne_u16_sdwa s[10:11], v14, s7 src0_sel:BYTE_0 src1_sel:DWORD
	v_mov_b32_e32 v20, 0xffff8000
	s_and_saveexec_b64 s[8:9], s[10:11]
	s_cbranch_execz .LBB873_406
; %bb.403:
	s_movk_i32 s7, 0x7f
	v_and_b32_e32 v18, 0x7f, v14
	v_cmp_ne_u32_e32 vcc, s7, v18
	v_mov_b32_e32 v20, 0x7f80
	s_and_saveexec_b64 s[10:11], vcc
	s_cbranch_execz .LBB873_405
; %bb.404:
	v_and_b32_e32 v22, 7, v14
	v_ffbh_u32_e32 v20, v22
	v_min_u32_e32 v24, 32, v20
	v_subrev_u32_e32 v20, 28, v24
	v_lshlrev_b64 v[20:21], v20, v[14:15]
	v_lshrrev_b32_e32 v23, 3, v18
	v_sub_u32_e32 v21, 29, v24
	v_and_b32_e32 v20, 7, v20
	v_cmp_gt_u32_e32 vcc, 8, v18
	v_cndmask_b32_e32 v18, v23, v21, vcc
	v_cndmask_b32_e32 v20, v22, v20, vcc
	v_lshlrev_b32_e32 v21, 24, v14
	v_bfrev_b32_e32 v22, 60
	v_lshlrev_b32_e32 v20, 20, v20
	v_and_b32_e32 v21, 0x80000000, v21
	v_lshl_add_u32 v18, v18, 23, v22
	v_or3_b32 v18, v21, v18, v20
	v_lshrrev_b32_e32 v20, 16, v18
.LBB873_405:
	s_or_b64 exec, exec, s[10:11]
.LBB873_406:
	s_or_b64 exec, exec, s[8:9]
.LBB873_407:
	s_or_b64 exec, exec, s[2:3]
	v_lshrrev_b16_e32 v18, 8, v14
	v_cmp_ne_u16_e32 vcc, 0, v18
	s_and_saveexec_b64 s[2:3], vcc
	s_cbranch_execz .LBB873_413
; %bb.408:
	s_movk_i32 s7, 0x80
	v_cmp_ne_u16_e32 vcc, s7, v18
	v_mov_b32_e32 v19, 0xffff8000
	s_and_saveexec_b64 s[8:9], vcc
	s_cbranch_execz .LBB873_412
; %bb.409:
	s_movk_i32 s7, 0x7f
	v_and_b32_e32 v21, 0x7f, v18
	v_cmp_ne_u32_e32 vcc, s7, v21
	v_mov_b32_e32 v19, 0x7f80
	s_and_saveexec_b64 s[10:11], vcc
	s_cbranch_execz .LBB873_411
; %bb.410:
	v_and_b32_e32 v22, 7, v18
	v_ffbh_u32_e32 v19, v22
	v_min_u32_e32 v24, 32, v19
	v_subrev_u32_e32 v19, 28, v24
	v_lshlrev_b64 v[18:19], v19, v[18:19]
	v_lshrrev_b32_e32 v23, 3, v21
	v_sub_u32_e32 v19, 29, v24
	v_and_b32_e32 v18, 7, v18
	v_cmp_gt_u32_e32 vcc, 8, v21
	v_cndmask_b32_e32 v19, v23, v19, vcc
	v_cndmask_b32_e32 v18, v22, v18, vcc
	v_lshlrev_b32_e32 v21, 16, v14
	v_bfrev_b32_e32 v22, 60
	v_lshlrev_b32_e32 v18, 20, v18
	v_and_b32_e32 v21, 0x80000000, v21
	v_lshl_add_u32 v19, v19, 23, v22
	v_or3_b32 v18, v21, v19, v18
	v_lshrrev_b32_e32 v19, 16, v18
.LBB873_411:
	s_or_b64 exec, exec, s[10:11]
.LBB873_412:
	s_or_b64 exec, exec, s[8:9]
.LBB873_413:
	s_or_b64 exec, exec, s[2:3]
	s_movk_i32 s2, 0xff
	v_and_b32_sdwa v23, v14, s2 dst_sel:DWORD dst_unused:UNUSED_PAD src0_sel:WORD_1 src1_sel:DWORD
	v_lshrrev_b32_e32 v18, 16, v14
	v_cmp_ne_u16_e32 vcc, 0, v23
	v_mov_b32_e32 v21, 0
	v_mov_b32_e32 v22, 0
	s_and_saveexec_b64 s[2:3], vcc
	s_cbranch_execz .LBB873_419
; %bb.414:
	s_movk_i32 s7, 0x80
	v_cmp_ne_u16_e32 vcc, s7, v23
	v_mov_b32_e32 v22, 0xffff8000
	s_and_saveexec_b64 s[8:9], vcc
	s_cbranch_execz .LBB873_418
; %bb.415:
	v_bfe_u32 v23, v14, 16, 7
	s_movk_i32 s7, 0x7f
	v_cmp_ne_u32_e32 vcc, s7, v23
	v_mov_b32_e32 v22, 0x7f80
	s_and_saveexec_b64 s[10:11], vcc
	s_cbranch_execz .LBB873_417
; %bb.416:
	v_and_b32_e32 v22, 7, v18
	v_ffbh_u32_e32 v24, v22
	v_min_u32_e32 v28, 32, v24
	v_subrev_u32_e32 v24, 28, v28
	v_lshlrev_b64 v[24:25], v24, v[18:19]
	v_lshrrev_b32_e32 v27, 3, v23
	v_sub_u32_e32 v18, 29, v28
	v_and_b32_e32 v24, 7, v24
	v_cmp_gt_u32_e32 vcc, 8, v23
	v_mov_b32_e32 v23, 24
	v_cndmask_b32_e32 v18, v27, v18, vcc
	v_cndmask_b32_e32 v22, v22, v24, vcc
	v_lshlrev_b32_sdwa v23, v23, v14 dst_sel:DWORD dst_unused:UNUSED_PAD src0_sel:DWORD src1_sel:WORD_1
	v_bfrev_b32_e32 v24, 60
	v_lshlrev_b32_e32 v22, 20, v22
	v_and_b32_e32 v23, 0x80000000, v23
	v_lshl_add_u32 v18, v18, 23, v24
	v_or3_b32 v18, v23, v18, v22
	v_lshrrev_b32_e32 v22, 16, v18
.LBB873_417:
	s_or_b64 exec, exec, s[10:11]
.LBB873_418:
	s_or_b64 exec, exec, s[8:9]
.LBB873_419:
	s_or_b64 exec, exec, s[2:3]
	s_mov_b32 s2, 0xffffff
	v_cmp_lt_u32_e32 vcc, s2, v14
	s_and_saveexec_b64 s[2:3], vcc
	s_cbranch_execz .LBB873_425
; %bb.420:
	v_lshrrev_b32_e32 v18, 24, v14
	s_movk_i32 s7, 0x80
	v_cmp_ne_u32_e32 vcc, s7, v18
	v_mov_b32_e32 v21, 0xffff8000
	s_and_saveexec_b64 s[8:9], vcc
	s_cbranch_execz .LBB873_424
; %bb.421:
	v_bfe_u32 v14, v14, 24, 7
	s_movk_i32 s7, 0x7f
	v_cmp_ne_u32_e32 vcc, s7, v14
	v_mov_b32_e32 v21, 0x7f80
	s_and_saveexec_b64 s[10:11], vcc
	s_cbranch_execz .LBB873_423
; %bb.422:
	v_and_b32_e32 v21, 7, v18
	v_ffbh_u32_e32 v24, v21
	v_min_u32_e32 v27, 32, v24
	v_subrev_u32_e32 v24, 28, v27
	v_lshlrev_b64 v[24:25], v24, v[18:19]
	v_lshrrev_b32_e32 v23, 3, v14
	v_sub_u32_e32 v25, 29, v27
	v_and_b32_e32 v24, 7, v24
	v_cmp_gt_u32_e32 vcc, 8, v14
	v_cndmask_b32_e32 v14, v23, v25, vcc
	v_cndmask_b32_e32 v21, v21, v24, vcc
	v_lshlrev_b32_e32 v18, 24, v18
	v_bfrev_b32_e32 v23, 60
	v_lshlrev_b32_e32 v21, 20, v21
	v_and_b32_e32 v18, 0x80000000, v18
	v_lshl_add_u32 v14, v14, 23, v23
	v_or3_b32 v14, v18, v14, v21
	v_lshrrev_b32_e32 v21, 16, v14
.LBB873_423:
	s_or_b64 exec, exec, s[10:11]
.LBB873_424:
	s_or_b64 exec, exec, s[8:9]
.LBB873_425:
	s_or_b64 exec, exec, s[2:3]
	v_mov_b32_e32 v18, 0
	v_cmp_ne_u16_sdwa s[8:9], v15, v18 src0_sel:BYTE_0 src1_sel:DWORD
	v_mov_b32_e32 v23, 0
	s_and_saveexec_b64 s[2:3], s[8:9]
	s_cbranch_execz .LBB873_431
; %bb.426:
	s_movk_i32 s7, 0x80
	v_cmp_ne_u16_sdwa s[10:11], v15, s7 src0_sel:BYTE_0 src1_sel:DWORD
	v_mov_b32_e32 v23, 0xffff8000
	s_and_saveexec_b64 s[8:9], s[10:11]
	s_cbranch_execz .LBB873_430
; %bb.427:
	s_movk_i32 s7, 0x7f
	v_and_b32_e32 v14, 0x7f, v15
	v_cmp_ne_u32_e32 vcc, s7, v14
	v_mov_b32_e32 v23, 0x7f80
	s_and_saveexec_b64 s[10:11], vcc
	s_cbranch_execz .LBB873_429
; %bb.428:
	v_and_b32_e32 v23, 7, v15
	v_ffbh_u32_e32 v25, v23
	v_min_u32_e32 v28, 32, v25
	v_mov_b32_e32 v24, v15
	v_subrev_u32_e32 v25, 28, v28
	v_lshlrev_b64 v[24:25], v25, v[24:25]
	v_lshrrev_b32_e32 v27, 3, v14
	v_sub_u32_e32 v25, 29, v28
	v_and_b32_e32 v24, 7, v24
	v_cmp_gt_u32_e32 vcc, 8, v14
	v_cndmask_b32_e32 v14, v27, v25, vcc
	v_cndmask_b32_e32 v23, v23, v24, vcc
	v_lshlrev_b32_e32 v24, 24, v15
	v_bfrev_b32_e32 v25, 60
	v_lshlrev_b32_e32 v23, 20, v23
	v_and_b32_e32 v24, 0x80000000, v24
	v_lshl_add_u32 v14, v14, 23, v25
	v_or3_b32 v14, v24, v14, v23
	v_lshrrev_b32_e32 v23, 16, v14
.LBB873_429:
	s_or_b64 exec, exec, s[10:11]
.LBB873_430:
	s_or_b64 exec, exec, s[8:9]
.LBB873_431:
	s_or_b64 exec, exec, s[2:3]
	v_lshrrev_b16_e32 v14, 8, v15
	v_cmp_ne_u16_e32 vcc, 0, v14
	s_and_saveexec_b64 s[2:3], vcc
	s_cbranch_execz .LBB873_437
; %bb.432:
	s_movk_i32 s7, 0x80
	v_cmp_ne_u16_e32 vcc, s7, v14
	v_mov_b32_e32 v18, 0xffff8000
	s_and_saveexec_b64 s[8:9], vcc
	s_cbranch_execz .LBB873_436
; %bb.433:
	s_movk_i32 s7, 0x7f
	v_and_b32_e32 v24, 0x7f, v14
	v_cmp_ne_u32_e32 vcc, s7, v24
	v_mov_b32_e32 v18, 0x7f80
	s_and_saveexec_b64 s[10:11], vcc
	s_cbranch_execz .LBB873_435
; %bb.434:
	v_and_b32_e32 v18, 7, v14
	v_ffbh_u32_e32 v27, v18
	v_min_u32_e32 v27, 32, v27
	v_subrev_u32_e32 v28, 28, v27
	v_lshlrev_b64 v[28:29], v28, v[14:15]
	v_lshrrev_b32_e32 v25, 3, v24
	v_sub_u32_e32 v14, 29, v27
	v_and_b32_e32 v27, 7, v28
	v_cmp_gt_u32_e32 vcc, 8, v24
	v_cndmask_b32_e32 v14, v25, v14, vcc
	v_cndmask_b32_e32 v18, v18, v27, vcc
	v_lshlrev_b32_e32 v24, 16, v15
	v_bfrev_b32_e32 v25, 60
	v_lshlrev_b32_e32 v18, 20, v18
	v_and_b32_e32 v24, 0x80000000, v24
	v_lshl_add_u32 v14, v14, 23, v25
	v_or3_b32 v14, v24, v14, v18
	v_lshrrev_b32_e32 v18, 16, v14
.LBB873_435:
	s_or_b64 exec, exec, s[10:11]
.LBB873_436:
	s_or_b64 exec, exec, s[8:9]
.LBB873_437:
	s_or_b64 exec, exec, s[2:3]
	s_movk_i32 s2, 0xff
	v_and_b32_sdwa v27, v15, s2 dst_sel:DWORD dst_unused:UNUSED_PAD src0_sel:WORD_1 src1_sel:DWORD
	v_lshrrev_b32_e32 v14, 16, v15
	v_cmp_ne_u16_e32 vcc, 0, v27
	v_mov_b32_e32 v24, 0
	v_mov_b32_e32 v25, 0
	s_and_saveexec_b64 s[2:3], vcc
	s_cbranch_execz .LBB873_443
; %bb.438:
	s_movk_i32 s7, 0x80
	v_cmp_ne_u16_e32 vcc, s7, v27
	v_mov_b32_e32 v25, 0xffff8000
	s_and_saveexec_b64 s[8:9], vcc
	s_cbranch_execz .LBB873_442
; %bb.439:
	v_bfe_u32 v27, v15, 16, 7
	s_movk_i32 s7, 0x7f
	v_cmp_ne_u32_e32 vcc, s7, v27
	v_mov_b32_e32 v25, 0x7f80
	s_and_saveexec_b64 s[10:11], vcc
	s_cbranch_execz .LBB873_441
; %bb.440:
	v_and_b32_e32 v25, 7, v14
	v_ffbh_u32_e32 v28, v25
	v_min_u32_e32 v31, 32, v28
	v_subrev_u32_e32 v28, 28, v31
	v_lshlrev_b64 v[28:29], v28, v[14:15]
	v_lshrrev_b32_e32 v30, 3, v27
	v_sub_u32_e32 v14, 29, v31
	v_and_b32_e32 v28, 7, v28
	v_cmp_gt_u32_e32 vcc, 8, v27
	v_mov_b32_e32 v27, 24
	v_cndmask_b32_e32 v14, v30, v14, vcc
	v_cndmask_b32_e32 v25, v25, v28, vcc
	v_lshlrev_b32_sdwa v27, v27, v15 dst_sel:DWORD dst_unused:UNUSED_PAD src0_sel:DWORD src1_sel:WORD_1
	v_bfrev_b32_e32 v28, 60
	v_lshlrev_b32_e32 v25, 20, v25
	v_and_b32_e32 v27, 0x80000000, v27
	v_lshl_add_u32 v14, v14, 23, v28
	v_or3_b32 v14, v27, v14, v25
	v_lshrrev_b32_e32 v25, 16, v14
.LBB873_441:
	s_or_b64 exec, exec, s[10:11]
.LBB873_442:
	s_or_b64 exec, exec, s[8:9]
.LBB873_443:
	s_or_b64 exec, exec, s[2:3]
	s_mov_b32 s2, 0xffffff
	v_cmp_lt_u32_e32 vcc, s2, v15
	s_and_saveexec_b64 s[2:3], vcc
	s_cbranch_execz .LBB873_449
; %bb.444:
	v_lshrrev_b32_e32 v14, 24, v15
	s_movk_i32 s7, 0x80
	v_cmp_ne_u32_e32 vcc, s7, v14
	v_mov_b32_e32 v24, 0xffff8000
	s_and_saveexec_b64 s[8:9], vcc
	s_cbranch_execz .LBB873_448
; %bb.445:
	v_bfe_u32 v15, v15, 24, 7
	s_movk_i32 s7, 0x7f
	v_cmp_ne_u32_e32 vcc, s7, v15
	v_mov_b32_e32 v24, 0x7f80
	s_and_saveexec_b64 s[10:11], vcc
	s_cbranch_execz .LBB873_447
; %bb.446:
	v_and_b32_e32 v24, 7, v14
	v_ffbh_u32_e32 v28, v24
	v_min_u32_e32 v30, 32, v28
	v_subrev_u32_e32 v28, 28, v30
	v_lshlrev_b64 v[28:29], v28, v[14:15]
	v_lshrrev_b32_e32 v27, 3, v15
	v_sub_u32_e32 v29, 29, v30
	v_and_b32_e32 v28, 7, v28
	v_cmp_gt_u32_e32 vcc, 8, v15
	v_cndmask_b32_e32 v15, v27, v29, vcc
	v_cndmask_b32_e32 v24, v24, v28, vcc
	v_lshlrev_b32_e32 v14, 24, v14
	v_bfrev_b32_e32 v27, 60
	v_lshlrev_b32_e32 v24, 20, v24
	v_and_b32_e32 v14, 0x80000000, v14
	v_lshl_add_u32 v15, v15, 23, v27
	v_or3_b32 v14, v14, v15, v24
	v_lshrrev_b32_e32 v24, 16, v14
.LBB873_447:
	s_or_b64 exec, exec, s[10:11]
.LBB873_448:
	s_or_b64 exec, exec, s[8:9]
.LBB873_449:
	s_or_b64 exec, exec, s[2:3]
	s_mov_b32 s2, 0x5040100
	v_perm_b32 v15, v21, v22, s2
	v_lshl_or_b32 v22, v1, 9, v48
	v_perm_b32 v14, v19, v20, s2
	ds_read_b128 v[28:31], v22
	v_perm_b32 v19, v24, v25, s2
	v_perm_b32 v18, v18, v23, s2
	s_waitcnt lgkmcnt(0)
	v_mfma_f32_16x16x16bf16_1k v[32:35], v[14:15], v[28:29], 0
	v_mov_b32_e32 v15, 0
	v_cmp_ne_u16_sdwa s[8:9], v16, v15 src0_sel:BYTE_0 src1_sel:DWORD
	v_mov_b32_e32 v23, 0
	v_mfma_f32_16x16x16bf16_1k v[18:21], v[18:19], v[30:31], v[32:35]
	s_and_saveexec_b64 s[2:3], s[8:9]
	s_cbranch_execz .LBB873_455
; %bb.450:
	s_movk_i32 s7, 0x80
	v_cmp_ne_u16_sdwa s[10:11], v16, s7 src0_sel:BYTE_0 src1_sel:DWORD
	v_mov_b32_e32 v23, 0xffff8000
	s_and_saveexec_b64 s[8:9], s[10:11]
	s_cbranch_execz .LBB873_454
; %bb.451:
	s_movk_i32 s7, 0x7f
	v_and_b32_e32 v14, 0x7f, v16
	v_cmp_ne_u32_e32 vcc, s7, v14
	v_mov_b32_e32 v23, 0x7f80
	s_and_saveexec_b64 s[10:11], vcc
	s_cbranch_execz .LBB873_453
; %bb.452:
	v_and_b32_e32 v23, 7, v16
	v_ffbh_u32_e32 v24, v23
	v_min_u32_e32 v28, 32, v24
	v_subrev_u32_e32 v24, 28, v28
	v_lshlrev_b64 v[24:25], v24, v[16:17]
	v_lshrrev_b32_e32 v27, 3, v14
	v_sub_u32_e32 v25, 29, v28
	v_and_b32_e32 v24, 7, v24
	v_cmp_gt_u32_e32 vcc, 8, v14
	v_cndmask_b32_e32 v14, v27, v25, vcc
	v_cndmask_b32_e32 v23, v23, v24, vcc
	v_lshlrev_b32_e32 v24, 24, v16
	v_bfrev_b32_e32 v25, 60
	v_lshlrev_b32_e32 v23, 20, v23
	v_and_b32_e32 v24, 0x80000000, v24
	v_lshl_add_u32 v14, v14, 23, v25
	v_or3_b32 v14, v24, v14, v23
	v_lshrrev_b32_e32 v23, 16, v14
.LBB873_453:
	s_or_b64 exec, exec, s[10:11]
.LBB873_454:
	s_or_b64 exec, exec, s[8:9]
.LBB873_455:
	s_or_b64 exec, exec, s[2:3]
	v_lshrrev_b16_e32 v14, 8, v16
	v_cmp_ne_u16_e32 vcc, 0, v14
	s_and_saveexec_b64 s[2:3], vcc
	s_cbranch_execz .LBB873_461
; %bb.456:
	s_movk_i32 s7, 0x80
	v_cmp_ne_u16_e32 vcc, s7, v14
	v_mov_b32_e32 v15, 0xffff8000
	s_and_saveexec_b64 s[8:9], vcc
	s_cbranch_execz .LBB873_460
; %bb.457:
	s_movk_i32 s7, 0x7f
	v_and_b32_e32 v24, 0x7f, v14
	v_cmp_ne_u32_e32 vcc, s7, v24
	v_mov_b32_e32 v15, 0x7f80
	s_and_saveexec_b64 s[10:11], vcc
	s_cbranch_execz .LBB873_459
; %bb.458:
	v_and_b32_e32 v25, 7, v14
	v_ffbh_u32_e32 v15, v25
	v_min_u32_e32 v28, 32, v15
	v_subrev_u32_e32 v15, 28, v28
	v_lshlrev_b64 v[14:15], v15, v[14:15]
	v_lshrrev_b32_e32 v27, 3, v24
	v_sub_u32_e32 v15, 29, v28
	v_and_b32_e32 v14, 7, v14
	v_cmp_gt_u32_e32 vcc, 8, v24
	v_cndmask_b32_e32 v15, v27, v15, vcc
	v_cndmask_b32_e32 v14, v25, v14, vcc
	v_lshlrev_b32_e32 v24, 16, v16
	v_bfrev_b32_e32 v25, 60
	v_lshlrev_b32_e32 v14, 20, v14
	v_and_b32_e32 v24, 0x80000000, v24
	v_lshl_add_u32 v15, v15, 23, v25
	v_or3_b32 v14, v24, v15, v14
	v_lshrrev_b32_e32 v15, 16, v14
.LBB873_459:
	s_or_b64 exec, exec, s[10:11]
.LBB873_460:
	s_or_b64 exec, exec, s[8:9]
.LBB873_461:
	s_or_b64 exec, exec, s[2:3]
	s_movk_i32 s2, 0xff
	v_and_b32_sdwa v27, v16, s2 dst_sel:DWORD dst_unused:UNUSED_PAD src0_sel:WORD_1 src1_sel:DWORD
	v_lshrrev_b32_e32 v14, 16, v16
	v_cmp_ne_u16_e32 vcc, 0, v27
	v_mov_b32_e32 v24, 0
	v_mov_b32_e32 v25, 0
	s_and_saveexec_b64 s[2:3], vcc
	s_cbranch_execz .LBB873_467
; %bb.462:
	s_movk_i32 s7, 0x80
	v_cmp_ne_u16_e32 vcc, s7, v27
	v_mov_b32_e32 v25, 0xffff8000
	s_and_saveexec_b64 s[8:9], vcc
	s_cbranch_execz .LBB873_466
; %bb.463:
	v_bfe_u32 v27, v16, 16, 7
	s_movk_i32 s7, 0x7f
	v_cmp_ne_u32_e32 vcc, s7, v27
	v_mov_b32_e32 v25, 0x7f80
	s_and_saveexec_b64 s[10:11], vcc
	s_cbranch_execz .LBB873_465
; %bb.464:
	v_and_b32_e32 v25, 7, v14
	v_ffbh_u32_e32 v28, v25
	v_min_u32_e32 v31, 32, v28
	v_subrev_u32_e32 v28, 28, v31
	v_lshlrev_b64 v[28:29], v28, v[14:15]
	v_lshrrev_b32_e32 v30, 3, v27
	v_sub_u32_e32 v14, 29, v31
	v_and_b32_e32 v28, 7, v28
	v_cmp_gt_u32_e32 vcc, 8, v27
	v_mov_b32_e32 v27, 24
	v_cndmask_b32_e32 v14, v30, v14, vcc
	v_cndmask_b32_e32 v25, v25, v28, vcc
	v_lshlrev_b32_sdwa v27, v27, v16 dst_sel:DWORD dst_unused:UNUSED_PAD src0_sel:DWORD src1_sel:WORD_1
	v_bfrev_b32_e32 v28, 60
	v_lshlrev_b32_e32 v25, 20, v25
	v_and_b32_e32 v27, 0x80000000, v27
	v_lshl_add_u32 v14, v14, 23, v28
	v_or3_b32 v14, v27, v14, v25
	v_lshrrev_b32_e32 v25, 16, v14
.LBB873_465:
	s_or_b64 exec, exec, s[10:11]
.LBB873_466:
	s_or_b64 exec, exec, s[8:9]
.LBB873_467:
	s_or_b64 exec, exec, s[2:3]
	s_mov_b32 s2, 0xffffff
	v_cmp_lt_u32_e32 vcc, s2, v16
	s_and_saveexec_b64 s[2:3], vcc
	s_cbranch_execz .LBB873_473
; %bb.468:
	v_lshrrev_b32_e32 v14, 24, v16
	s_movk_i32 s7, 0x80
	v_cmp_ne_u32_e32 vcc, s7, v14
	v_mov_b32_e32 v24, 0xffff8000
	s_and_saveexec_b64 s[8:9], vcc
	s_cbranch_execz .LBB873_472
; %bb.469:
	v_bfe_u32 v16, v16, 24, 7
	s_movk_i32 s7, 0x7f
	v_cmp_ne_u32_e32 vcc, s7, v16
	v_mov_b32_e32 v24, 0x7f80
	s_and_saveexec_b64 s[10:11], vcc
	s_cbranch_execz .LBB873_471
; %bb.470:
	v_and_b32_e32 v24, 7, v14
	v_ffbh_u32_e32 v28, v24
	v_min_u32_e32 v30, 32, v28
	v_subrev_u32_e32 v28, 28, v30
	v_lshlrev_b64 v[28:29], v28, v[14:15]
	v_lshrrev_b32_e32 v27, 3, v16
	v_sub_u32_e32 v29, 29, v30
	v_and_b32_e32 v28, 7, v28
	v_cmp_gt_u32_e32 vcc, 8, v16
	v_cndmask_b32_e32 v16, v27, v29, vcc
	v_cndmask_b32_e32 v24, v24, v28, vcc
	v_lshlrev_b32_e32 v14, 24, v14
	v_bfrev_b32_e32 v27, 60
	v_lshlrev_b32_e32 v24, 20, v24
	v_and_b32_e32 v14, 0x80000000, v14
	v_lshl_add_u32 v16, v16, 23, v27
	v_or3_b32 v14, v14, v16, v24
	v_lshrrev_b32_e32 v24, 16, v14
.LBB873_471:
	s_or_b64 exec, exec, s[10:11]
.LBB873_472:
	s_or_b64 exec, exec, s[8:9]
.LBB873_473:
	s_or_b64 exec, exec, s[2:3]
	v_mov_b32_e32 v16, 0
	v_cmp_ne_u16_sdwa s[8:9], v17, v16 src0_sel:BYTE_0 src1_sel:DWORD
	v_mov_b32_e32 v27, 0
	s_and_saveexec_b64 s[2:3], s[8:9]
	s_cbranch_execz .LBB873_479
; %bb.474:
	s_movk_i32 s7, 0x80
	v_cmp_ne_u16_sdwa s[10:11], v17, s7 src0_sel:BYTE_0 src1_sel:DWORD
	v_mov_b32_e32 v27, 0xffff8000
	s_and_saveexec_b64 s[8:9], s[10:11]
	s_cbranch_execz .LBB873_478
; %bb.475:
	s_movk_i32 s7, 0x7f
	v_and_b32_e32 v14, 0x7f, v17
	v_cmp_ne_u32_e32 vcc, s7, v14
	v_mov_b32_e32 v27, 0x7f80
	s_and_saveexec_b64 s[10:11], vcc
	s_cbranch_execz .LBB873_477
; %bb.476:
	v_and_b32_e32 v27, 7, v17
	v_ffbh_u32_e32 v29, v27
	v_min_u32_e32 v31, 32, v29
	v_mov_b32_e32 v28, v17
	v_subrev_u32_e32 v29, 28, v31
	v_lshlrev_b64 v[28:29], v29, v[28:29]
	v_lshrrev_b32_e32 v30, 3, v14
	v_sub_u32_e32 v29, 29, v31
	v_and_b32_e32 v28, 7, v28
	v_cmp_gt_u32_e32 vcc, 8, v14
	v_cndmask_b32_e32 v14, v30, v29, vcc
	v_cndmask_b32_e32 v27, v27, v28, vcc
	v_lshlrev_b32_e32 v28, 24, v17
	v_bfrev_b32_e32 v29, 60
	v_lshlrev_b32_e32 v27, 20, v27
	v_and_b32_e32 v28, 0x80000000, v28
	v_lshl_add_u32 v14, v14, 23, v29
	v_or3_b32 v14, v28, v14, v27
	v_lshrrev_b32_e32 v27, 16, v14
.LBB873_477:
	s_or_b64 exec, exec, s[10:11]
.LBB873_478:
	s_or_b64 exec, exec, s[8:9]
.LBB873_479:
	s_or_b64 exec, exec, s[2:3]
	v_lshrrev_b16_e32 v14, 8, v17
	v_cmp_ne_u16_e32 vcc, 0, v14
	s_and_saveexec_b64 s[2:3], vcc
	s_cbranch_execz .LBB873_485
; %bb.480:
	s_movk_i32 s7, 0x80
	v_cmp_ne_u16_e32 vcc, s7, v14
	v_mov_b32_e32 v16, 0xffff8000
	s_and_saveexec_b64 s[8:9], vcc
	s_cbranch_execz .LBB873_484
; %bb.481:
	s_movk_i32 s7, 0x7f
	v_and_b32_e32 v28, 0x7f, v14
	v_cmp_ne_u32_e32 vcc, s7, v28
	v_mov_b32_e32 v16, 0x7f80
	s_and_saveexec_b64 s[10:11], vcc
	s_cbranch_execz .LBB873_483
; %bb.482:
	v_and_b32_e32 v16, 7, v14
	v_ffbh_u32_e32 v30, v16
	v_min_u32_e32 v32, 32, v30
	v_subrev_u32_e32 v30, 28, v32
	v_lshlrev_b64 v[30:31], v30, v[14:15]
	v_lshrrev_b32_e32 v29, 3, v28
	v_sub_u32_e32 v14, 29, v32
	v_and_b32_e32 v30, 7, v30
	v_cmp_gt_u32_e32 vcc, 8, v28
	v_cndmask_b32_e32 v14, v29, v14, vcc
	v_cndmask_b32_e32 v16, v16, v30, vcc
	v_lshlrev_b32_e32 v28, 16, v17
	v_bfrev_b32_e32 v29, 60
	v_lshlrev_b32_e32 v16, 20, v16
	v_and_b32_e32 v28, 0x80000000, v28
	v_lshl_add_u32 v14, v14, 23, v29
	v_or3_b32 v14, v28, v14, v16
	v_lshrrev_b32_e32 v16, 16, v14
.LBB873_483:
	s_or_b64 exec, exec, s[10:11]
.LBB873_484:
	s_or_b64 exec, exec, s[8:9]
.LBB873_485:
	s_or_b64 exec, exec, s[2:3]
	s_movk_i32 s2, 0xff
	v_and_b32_sdwa v30, v17, s2 dst_sel:DWORD dst_unused:UNUSED_PAD src0_sel:WORD_1 src1_sel:DWORD
	v_lshrrev_b32_e32 v14, 16, v17
	v_cmp_ne_u16_e32 vcc, 0, v30
	v_mov_b32_e32 v28, 0
	v_mov_b32_e32 v29, 0
	s_and_saveexec_b64 s[2:3], vcc
	s_cbranch_execz .LBB873_491
; %bb.486:
	s_movk_i32 s7, 0x80
	v_cmp_ne_u16_e32 vcc, s7, v30
	v_mov_b32_e32 v29, 0xffff8000
	s_and_saveexec_b64 s[8:9], vcc
	s_cbranch_execz .LBB873_490
; %bb.487:
	v_bfe_u32 v30, v17, 16, 7
	s_movk_i32 s7, 0x7f
	v_cmp_ne_u32_e32 vcc, s7, v30
	v_mov_b32_e32 v29, 0x7f80
	s_and_saveexec_b64 s[10:11], vcc
	s_cbranch_execz .LBB873_489
; %bb.488:
	v_and_b32_e32 v29, 7, v14
	v_ffbh_u32_e32 v32, v29
	v_min_u32_e32 v34, 32, v32
	v_subrev_u32_e32 v32, 28, v34
	v_lshlrev_b64 v[32:33], v32, v[14:15]
	v_lshrrev_b32_e32 v31, 3, v30
	v_sub_u32_e32 v14, 29, v34
	v_and_b32_e32 v32, 7, v32
	v_cmp_gt_u32_e32 vcc, 8, v30
	v_mov_b32_e32 v30, 24
	v_cndmask_b32_e32 v14, v31, v14, vcc
	v_cndmask_b32_e32 v29, v29, v32, vcc
	v_lshlrev_b32_sdwa v30, v30, v17 dst_sel:DWORD dst_unused:UNUSED_PAD src0_sel:DWORD src1_sel:WORD_1
	v_bfrev_b32_e32 v31, 60
	v_lshlrev_b32_e32 v29, 20, v29
	v_and_b32_e32 v30, 0x80000000, v30
	v_lshl_add_u32 v14, v14, 23, v31
	v_or3_b32 v14, v30, v14, v29
	v_lshrrev_b32_e32 v29, 16, v14
.LBB873_489:
	s_or_b64 exec, exec, s[10:11]
.LBB873_490:
	s_or_b64 exec, exec, s[8:9]
.LBB873_491:
	s_or_b64 exec, exec, s[2:3]
	s_mov_b32 s2, 0xffffff
	v_cmp_lt_u32_e32 vcc, s2, v17
	s_and_saveexec_b64 s[2:3], vcc
	s_cbranch_execz .LBB873_497
; %bb.492:
	v_lshrrev_b32_e32 v14, 24, v17
	s_movk_i32 s7, 0x80
	v_cmp_ne_u32_e32 vcc, s7, v14
	v_mov_b32_e32 v28, 0xffff8000
	s_and_saveexec_b64 s[8:9], vcc
	s_cbranch_execz .LBB873_496
; %bb.493:
	v_bfe_u32 v17, v17, 24, 7
	s_movk_i32 s7, 0x7f
	v_cmp_ne_u32_e32 vcc, s7, v17
	v_mov_b32_e32 v28, 0x7f80
	s_and_saveexec_b64 s[10:11], vcc
	s_cbranch_execz .LBB873_495
; %bb.494:
	v_and_b32_e32 v28, 7, v14
	v_ffbh_u32_e32 v30, v28
	v_min_u32_e32 v33, 32, v30
	v_subrev_u32_e32 v30, 28, v33
	v_lshlrev_b64 v[30:31], v30, v[14:15]
	v_lshrrev_b32_e32 v32, 3, v17
	v_sub_u32_e32 v31, 29, v33
	v_and_b32_e32 v30, 7, v30
	v_cmp_gt_u32_e32 vcc, 8, v17
	v_cndmask_b32_e32 v17, v32, v31, vcc
	v_cndmask_b32_e32 v28, v28, v30, vcc
	v_lshlrev_b32_e32 v14, 24, v14
	v_bfrev_b32_e32 v30, 60
	v_lshlrev_b32_e32 v28, 20, v28
	v_and_b32_e32 v14, 0x80000000, v14
	v_lshl_add_u32 v17, v17, 23, v30
	v_or3_b32 v14, v14, v17, v28
	v_lshrrev_b32_e32 v28, 16, v14
.LBB873_495:
	s_or_b64 exec, exec, s[10:11]
.LBB873_496:
	s_or_b64 exec, exec, s[8:9]
.LBB873_497:
	s_or_b64 exec, exec, s[2:3]
	s_mov_b32 s2, 0x5040100
	v_perm_b32 v25, v24, v25, s2
	v_perm_b32 v24, v15, v23, s2
	ds_read_b128 v[30:33], v22 offset:16
	v_perm_b32 v15, v28, v29, s2
	v_perm_b32 v14, v16, v27, s2
	s_waitcnt lgkmcnt(0)
	v_mfma_f32_16x16x16bf16_1k v[34:37], v[24:25], v[30:31], v[18:21]
	s_nop 6
	v_mov_b32_e32 v19, 0
	s_waitcnt vmcnt(2)
	v_cmp_ne_u16_sdwa s[8:9], v10, v19 src0_sel:BYTE_0 src1_sel:DWORD
	v_mfma_f32_16x16x16bf16_1k v[14:17], v[14:15], v[32:33], v[34:37]
	v_mov_b32_e32 v20, 0
	s_and_saveexec_b64 s[2:3], s[8:9]
	s_cbranch_execz .LBB873_503
; %bb.498:
	s_movk_i32 s7, 0x80
	v_cmp_ne_u16_sdwa s[10:11], v10, s7 src0_sel:BYTE_0 src1_sel:DWORD
	v_mov_b32_e32 v20, 0xffff8000
	s_and_saveexec_b64 s[8:9], s[10:11]
	s_cbranch_execz .LBB873_502
; %bb.499:
	s_movk_i32 s7, 0x7f
	v_and_b32_e32 v18, 0x7f, v10
	v_cmp_ne_u32_e32 vcc, s7, v18
	v_mov_b32_e32 v20, 0x7f80
	s_and_saveexec_b64 s[10:11], vcc
	s_cbranch_execz .LBB873_501
; %bb.500:
	v_and_b32_e32 v23, 7, v10
	v_ffbh_u32_e32 v20, v23
	v_min_u32_e32 v25, 32, v20
	v_subrev_u32_e32 v20, 28, v25
	v_lshlrev_b64 v[20:21], v20, v[10:11]
	v_lshrrev_b32_e32 v24, 3, v18
	v_sub_u32_e32 v21, 29, v25
	v_and_b32_e32 v20, 7, v20
	v_cmp_gt_u32_e32 vcc, 8, v18
	v_cndmask_b32_e32 v18, v24, v21, vcc
	v_cndmask_b32_e32 v20, v23, v20, vcc
	v_lshlrev_b32_e32 v21, 24, v10
	v_bfrev_b32_e32 v23, 60
	v_lshlrev_b32_e32 v20, 20, v20
	v_and_b32_e32 v21, 0x80000000, v21
	v_lshl_add_u32 v18, v18, 23, v23
	v_or3_b32 v18, v21, v18, v20
	v_lshrrev_b32_e32 v20, 16, v18
.LBB873_501:
	s_or_b64 exec, exec, s[10:11]
.LBB873_502:
	s_or_b64 exec, exec, s[8:9]
.LBB873_503:
	s_or_b64 exec, exec, s[2:3]
	v_lshrrev_b16_e32 v18, 8, v10
	v_cmp_ne_u16_e32 vcc, 0, v18
	s_and_saveexec_b64 s[2:3], vcc
	s_cbranch_execz .LBB873_509
; %bb.504:
	s_movk_i32 s7, 0x80
	v_cmp_ne_u16_e32 vcc, s7, v18
	v_mov_b32_e32 v19, 0xffff8000
	s_and_saveexec_b64 s[8:9], vcc
	s_cbranch_execz .LBB873_508
; %bb.505:
	s_movk_i32 s7, 0x7f
	v_and_b32_e32 v21, 0x7f, v18
	v_cmp_ne_u32_e32 vcc, s7, v21
	v_mov_b32_e32 v19, 0x7f80
	s_and_saveexec_b64 s[10:11], vcc
	s_cbranch_execz .LBB873_507
; %bb.506:
	v_and_b32_e32 v23, 7, v18
	v_ffbh_u32_e32 v19, v23
	v_min_u32_e32 v25, 32, v19
	v_subrev_u32_e32 v19, 28, v25
	v_lshlrev_b64 v[18:19], v19, v[18:19]
	v_lshrrev_b32_e32 v24, 3, v21
	v_sub_u32_e32 v19, 29, v25
	v_and_b32_e32 v18, 7, v18
	v_cmp_gt_u32_e32 vcc, 8, v21
	v_cndmask_b32_e32 v19, v24, v19, vcc
	v_cndmask_b32_e32 v18, v23, v18, vcc
	v_lshlrev_b32_e32 v21, 16, v10
	v_bfrev_b32_e32 v23, 60
	v_lshlrev_b32_e32 v18, 20, v18
	v_and_b32_e32 v21, 0x80000000, v21
	v_lshl_add_u32 v19, v19, 23, v23
	v_or3_b32 v18, v21, v19, v18
	v_lshrrev_b32_e32 v19, 16, v18
.LBB873_507:
	s_or_b64 exec, exec, s[10:11]
.LBB873_508:
	s_or_b64 exec, exec, s[8:9]
.LBB873_509:
	s_or_b64 exec, exec, s[2:3]
	s_movk_i32 s2, 0xff
	v_and_b32_sdwa v24, v10, s2 dst_sel:DWORD dst_unused:UNUSED_PAD src0_sel:WORD_1 src1_sel:DWORD
	v_lshrrev_b32_e32 v18, 16, v10
	v_cmp_ne_u16_e32 vcc, 0, v24
	v_mov_b32_e32 v21, 0
	v_mov_b32_e32 v23, 0
	s_and_saveexec_b64 s[2:3], vcc
	s_cbranch_execz .LBB873_515
; %bb.510:
	s_movk_i32 s7, 0x80
	v_cmp_ne_u16_e32 vcc, s7, v24
	v_mov_b32_e32 v23, 0xffff8000
	s_and_saveexec_b64 s[8:9], vcc
	s_cbranch_execz .LBB873_514
; %bb.511:
	v_bfe_u32 v24, v10, 16, 7
	s_movk_i32 s7, 0x7f
	v_cmp_ne_u32_e32 vcc, s7, v24
	v_mov_b32_e32 v23, 0x7f80
	s_and_saveexec_b64 s[10:11], vcc
	s_cbranch_execz .LBB873_513
; %bb.512:
	v_and_b32_e32 v23, 7, v18
	v_ffbh_u32_e32 v27, v23
	v_min_u32_e32 v27, 32, v27
	v_subrev_u32_e32 v28, 28, v27
	v_lshlrev_b64 v[28:29], v28, v[18:19]
	v_lshrrev_b32_e32 v25, 3, v24
	v_sub_u32_e32 v18, 29, v27
	v_and_b32_e32 v27, 7, v28
	v_cmp_gt_u32_e32 vcc, 8, v24
	v_mov_b32_e32 v24, 24
	v_cndmask_b32_e32 v18, v25, v18, vcc
	v_cndmask_b32_e32 v23, v23, v27, vcc
	v_lshlrev_b32_sdwa v24, v24, v10 dst_sel:DWORD dst_unused:UNUSED_PAD src0_sel:DWORD src1_sel:WORD_1
	v_bfrev_b32_e32 v25, 60
	v_lshlrev_b32_e32 v23, 20, v23
	v_and_b32_e32 v24, 0x80000000, v24
	v_lshl_add_u32 v18, v18, 23, v25
	v_or3_b32 v18, v24, v18, v23
	v_lshrrev_b32_e32 v23, 16, v18
.LBB873_513:
	s_or_b64 exec, exec, s[10:11]
.LBB873_514:
	s_or_b64 exec, exec, s[8:9]
.LBB873_515:
	s_or_b64 exec, exec, s[2:3]
	s_mov_b32 s2, 0xffffff
	v_cmp_lt_u32_e32 vcc, s2, v10
	s_and_saveexec_b64 s[2:3], vcc
	s_cbranch_execz .LBB873_521
; %bb.516:
	v_lshrrev_b32_e32 v18, 24, v10
	s_movk_i32 s7, 0x80
	v_cmp_ne_u32_e32 vcc, s7, v18
	v_mov_b32_e32 v21, 0xffff8000
	s_and_saveexec_b64 s[8:9], vcc
	s_cbranch_execz .LBB873_520
; %bb.517:
	v_bfe_u32 v10, v10, 24, 7
	s_movk_i32 s7, 0x7f
	v_cmp_ne_u32_e32 vcc, s7, v10
	v_mov_b32_e32 v21, 0x7f80
	s_and_saveexec_b64 s[10:11], vcc
	s_cbranch_execz .LBB873_519
; %bb.518:
	v_and_b32_e32 v21, 7, v18
	v_ffbh_u32_e32 v24, v21
	v_min_u32_e32 v28, 32, v24
	v_subrev_u32_e32 v24, 28, v28
	v_lshlrev_b64 v[24:25], v24, v[18:19]
	v_lshrrev_b32_e32 v27, 3, v10
	v_sub_u32_e32 v25, 29, v28
	v_and_b32_e32 v24, 7, v24
	v_cmp_gt_u32_e32 vcc, 8, v10
	v_cndmask_b32_e32 v10, v27, v25, vcc
	v_cndmask_b32_e32 v21, v21, v24, vcc
	v_lshlrev_b32_e32 v18, 24, v18
	v_bfrev_b32_e32 v24, 60
	v_lshlrev_b32_e32 v21, 20, v21
	v_and_b32_e32 v18, 0x80000000, v18
	v_lshl_add_u32 v10, v10, 23, v24
	v_or3_b32 v10, v18, v10, v21
	v_lshrrev_b32_e32 v21, 16, v10
.LBB873_519:
	s_or_b64 exec, exec, s[10:11]
.LBB873_520:
	s_or_b64 exec, exec, s[8:9]
.LBB873_521:
	s_or_b64 exec, exec, s[2:3]
	v_mov_b32_e32 v18, 0
	v_cmp_ne_u16_sdwa s[8:9], v11, v18 src0_sel:BYTE_0 src1_sel:DWORD
	v_mov_b32_e32 v24, 0
	s_and_saveexec_b64 s[2:3], s[8:9]
	s_cbranch_execz .LBB873_527
; %bb.522:
	s_movk_i32 s7, 0x80
	v_cmp_ne_u16_sdwa s[10:11], v11, s7 src0_sel:BYTE_0 src1_sel:DWORD
	v_mov_b32_e32 v24, 0xffff8000
	s_and_saveexec_b64 s[8:9], s[10:11]
	s_cbranch_execz .LBB873_526
; %bb.523:
	s_movk_i32 s7, 0x7f
	v_and_b32_e32 v10, 0x7f, v11
	v_cmp_ne_u32_e32 vcc, s7, v10
	v_mov_b32_e32 v24, 0x7f80
	s_and_saveexec_b64 s[10:11], vcc
	s_cbranch_execz .LBB873_525
; %bb.524:
	v_and_b32_e32 v27, 7, v11
	v_ffbh_u32_e32 v25, v27
	v_min_u32_e32 v29, 32, v25
	v_mov_b32_e32 v24, v11
	v_subrev_u32_e32 v25, 28, v29
	v_lshlrev_b64 v[24:25], v25, v[24:25]
	v_lshrrev_b32_e32 v28, 3, v10
	v_sub_u32_e32 v25, 29, v29
	v_and_b32_e32 v24, 7, v24
	v_cmp_gt_u32_e32 vcc, 8, v10
	v_cndmask_b32_e32 v10, v28, v25, vcc
	v_cndmask_b32_e32 v24, v27, v24, vcc
	v_lshlrev_b32_e32 v25, 24, v11
	v_bfrev_b32_e32 v27, 60
	v_lshlrev_b32_e32 v24, 20, v24
	v_and_b32_e32 v25, 0x80000000, v25
	v_lshl_add_u32 v10, v10, 23, v27
	v_or3_b32 v10, v25, v10, v24
	v_lshrrev_b32_e32 v24, 16, v10
.LBB873_525:
	s_or_b64 exec, exec, s[10:11]
.LBB873_526:
	s_or_b64 exec, exec, s[8:9]
.LBB873_527:
	s_or_b64 exec, exec, s[2:3]
	v_lshrrev_b16_e32 v10, 8, v11
	v_cmp_ne_u16_e32 vcc, 0, v10
	s_and_saveexec_b64 s[2:3], vcc
	s_cbranch_execz .LBB873_533
; %bb.528:
	s_movk_i32 s7, 0x80
	v_cmp_ne_u16_e32 vcc, s7, v10
	v_mov_b32_e32 v18, 0xffff8000
	s_and_saveexec_b64 s[8:9], vcc
	s_cbranch_execz .LBB873_532
; %bb.529:
	s_movk_i32 s7, 0x7f
	v_and_b32_e32 v25, 0x7f, v10
	v_cmp_ne_u32_e32 vcc, s7, v25
	v_mov_b32_e32 v18, 0x7f80
	s_and_saveexec_b64 s[10:11], vcc
	s_cbranch_execz .LBB873_531
; %bb.530:
	v_and_b32_e32 v18, 7, v10
	v_ffbh_u32_e32 v28, v18
	v_min_u32_e32 v30, 32, v28
	v_subrev_u32_e32 v28, 28, v30
	v_lshlrev_b64 v[28:29], v28, v[10:11]
	v_lshrrev_b32_e32 v27, 3, v25
	v_sub_u32_e32 v10, 29, v30
	v_and_b32_e32 v28, 7, v28
	v_cmp_gt_u32_e32 vcc, 8, v25
	v_cndmask_b32_e32 v10, v27, v10, vcc
	v_cndmask_b32_e32 v18, v18, v28, vcc
	v_lshlrev_b32_e32 v25, 16, v11
	v_bfrev_b32_e32 v27, 60
	v_lshlrev_b32_e32 v18, 20, v18
	v_and_b32_e32 v25, 0x80000000, v25
	v_lshl_add_u32 v10, v10, 23, v27
	v_or3_b32 v10, v25, v10, v18
	v_lshrrev_b32_e32 v18, 16, v10
.LBB873_531:
	s_or_b64 exec, exec, s[10:11]
.LBB873_532:
	s_or_b64 exec, exec, s[8:9]
.LBB873_533:
	s_or_b64 exec, exec, s[2:3]
	s_movk_i32 s2, 0xff
	v_and_b32_sdwa v28, v11, s2 dst_sel:DWORD dst_unused:UNUSED_PAD src0_sel:WORD_1 src1_sel:DWORD
	v_lshrrev_b32_e32 v10, 16, v11
	v_cmp_ne_u16_e32 vcc, 0, v28
	v_mov_b32_e32 v25, 0
	v_mov_b32_e32 v27, 0
	s_and_saveexec_b64 s[2:3], vcc
	s_cbranch_execz .LBB873_539
; %bb.534:
	s_movk_i32 s7, 0x80
	v_cmp_ne_u16_e32 vcc, s7, v28
	v_mov_b32_e32 v27, 0xffff8000
	s_and_saveexec_b64 s[8:9], vcc
	s_cbranch_execz .LBB873_538
; %bb.535:
	v_bfe_u32 v28, v11, 16, 7
	s_movk_i32 s7, 0x7f
	v_cmp_ne_u32_e32 vcc, s7, v28
	v_mov_b32_e32 v27, 0x7f80
	s_and_saveexec_b64 s[10:11], vcc
	s_cbranch_execz .LBB873_537
; %bb.536:
	v_and_b32_e32 v27, 7, v10
	v_ffbh_u32_e32 v30, v27
	v_min_u32_e32 v32, 32, v30
	v_subrev_u32_e32 v30, 28, v32
	v_lshlrev_b64 v[30:31], v30, v[10:11]
	v_lshrrev_b32_e32 v29, 3, v28
	v_sub_u32_e32 v10, 29, v32
	v_and_b32_e32 v30, 7, v30
	v_cmp_gt_u32_e32 vcc, 8, v28
	v_mov_b32_e32 v28, 24
	v_cndmask_b32_e32 v10, v29, v10, vcc
	v_cndmask_b32_e32 v27, v27, v30, vcc
	v_lshlrev_b32_sdwa v28, v28, v11 dst_sel:DWORD dst_unused:UNUSED_PAD src0_sel:DWORD src1_sel:WORD_1
	v_bfrev_b32_e32 v29, 60
	v_lshlrev_b32_e32 v27, 20, v27
	v_and_b32_e32 v28, 0x80000000, v28
	v_lshl_add_u32 v10, v10, 23, v29
	v_or3_b32 v10, v28, v10, v27
	v_lshrrev_b32_e32 v27, 16, v10
.LBB873_537:
	s_or_b64 exec, exec, s[10:11]
.LBB873_538:
	s_or_b64 exec, exec, s[8:9]
.LBB873_539:
	s_or_b64 exec, exec, s[2:3]
	s_mov_b32 s2, 0xffffff
	v_cmp_lt_u32_e32 vcc, s2, v11
	s_and_saveexec_b64 s[2:3], vcc
	s_cbranch_execz .LBB873_545
; %bb.540:
	v_lshrrev_b32_e32 v10, 24, v11
	s_movk_i32 s7, 0x80
	v_cmp_ne_u32_e32 vcc, s7, v10
	v_mov_b32_e32 v25, 0xffff8000
	s_and_saveexec_b64 s[8:9], vcc
	s_cbranch_execz .LBB873_544
; %bb.541:
	v_bfe_u32 v11, v11, 24, 7
	s_movk_i32 s7, 0x7f
	v_cmp_ne_u32_e32 vcc, s7, v11
	v_mov_b32_e32 v25, 0x7f80
	s_and_saveexec_b64 s[10:11], vcc
	s_cbranch_execz .LBB873_543
; %bb.542:
	v_and_b32_e32 v25, 7, v10
	v_ffbh_u32_e32 v28, v25
	v_min_u32_e32 v31, 32, v28
	v_subrev_u32_e32 v28, 28, v31
	v_lshlrev_b64 v[28:29], v28, v[10:11]
	v_lshrrev_b32_e32 v30, 3, v11
	v_sub_u32_e32 v29, 29, v31
	v_and_b32_e32 v28, 7, v28
	v_cmp_gt_u32_e32 vcc, 8, v11
	v_cndmask_b32_e32 v11, v30, v29, vcc
	v_cndmask_b32_e32 v25, v25, v28, vcc
	v_lshlrev_b32_e32 v10, 24, v10
	v_bfrev_b32_e32 v28, 60
	v_lshlrev_b32_e32 v25, 20, v25
	v_and_b32_e32 v10, 0x80000000, v10
	v_lshl_add_u32 v11, v11, 23, v28
	v_or3_b32 v10, v10, v11, v25
	v_lshrrev_b32_e32 v25, 16, v10
.LBB873_543:
	s_or_b64 exec, exec, s[10:11]
.LBB873_544:
	s_or_b64 exec, exec, s[8:9]
.LBB873_545:
	s_or_b64 exec, exec, s[2:3]
	s_mov_b32 s2, 0x5040100
	v_perm_b32 v11, v21, v23, s2
	v_perm_b32 v10, v19, v20, s2
	ds_read_b128 v[28:31], v22 offset:2048
	v_perm_b32 v21, v25, v27, s2
	v_perm_b32 v20, v18, v24, s2
	s_waitcnt lgkmcnt(0)
	v_mfma_f32_16x16x16bf16_1k v[14:17], v[10:11], v[28:29], v[14:17]
	v_mov_b32_e32 v11, 0
	v_cmp_ne_u16_sdwa s[8:9], v12, v11 src0_sel:BYTE_0 src1_sel:DWORD
	v_mov_b32_e32 v18, 0
	v_mfma_f32_16x16x16bf16_1k v[14:17], v[20:21], v[30:31], v[14:17]
	s_and_saveexec_b64 s[2:3], s[8:9]
	s_cbranch_execz .LBB873_551
; %bb.546:
	s_movk_i32 s7, 0x80
	v_cmp_ne_u16_sdwa s[10:11], v12, s7 src0_sel:BYTE_0 src1_sel:DWORD
	v_mov_b32_e32 v18, 0xffff8000
	s_and_saveexec_b64 s[8:9], s[10:11]
	s_cbranch_execz .LBB873_550
; %bb.547:
	s_movk_i32 s7, 0x7f
	v_and_b32_e32 v10, 0x7f, v12
	v_cmp_ne_u32_e32 vcc, s7, v10
	v_mov_b32_e32 v18, 0x7f80
	s_and_saveexec_b64 s[10:11], vcc
	s_cbranch_execz .LBB873_549
; %bb.548:
	v_and_b32_e32 v20, 7, v12
	v_ffbh_u32_e32 v18, v20
	v_min_u32_e32 v23, 32, v18
	v_subrev_u32_e32 v18, 28, v23
	v_lshlrev_b64 v[18:19], v18, v[12:13]
	v_lshrrev_b32_e32 v21, 3, v10
	v_sub_u32_e32 v19, 29, v23
	v_and_b32_e32 v18, 7, v18
	v_cmp_gt_u32_e32 vcc, 8, v10
	v_cndmask_b32_e32 v10, v21, v19, vcc
	v_cndmask_b32_e32 v18, v20, v18, vcc
	v_lshlrev_b32_e32 v19, 24, v12
	v_bfrev_b32_e32 v20, 60
	v_lshlrev_b32_e32 v18, 20, v18
	v_and_b32_e32 v19, 0x80000000, v19
	v_lshl_add_u32 v10, v10, 23, v20
	v_or3_b32 v10, v19, v10, v18
	v_lshrrev_b32_e32 v18, 16, v10
.LBB873_549:
	s_or_b64 exec, exec, s[10:11]
.LBB873_550:
	s_or_b64 exec, exec, s[8:9]
.LBB873_551:
	s_or_b64 exec, exec, s[2:3]
	v_lshrrev_b16_e32 v10, 8, v12
	v_cmp_ne_u16_e32 vcc, 0, v10
	s_and_saveexec_b64 s[2:3], vcc
	s_cbranch_execz .LBB873_557
; %bb.552:
	s_movk_i32 s7, 0x80
	v_cmp_ne_u16_e32 vcc, s7, v10
	v_mov_b32_e32 v11, 0xffff8000
	s_and_saveexec_b64 s[8:9], vcc
	s_cbranch_execz .LBB873_556
; %bb.553:
	s_movk_i32 s7, 0x7f
	v_and_b32_e32 v19, 0x7f, v10
	v_cmp_ne_u32_e32 vcc, s7, v19
	v_mov_b32_e32 v11, 0x7f80
	s_and_saveexec_b64 s[10:11], vcc
	s_cbranch_execz .LBB873_555
; %bb.554:
	v_and_b32_e32 v20, 7, v10
	v_ffbh_u32_e32 v11, v20
	v_min_u32_e32 v23, 32, v11
	v_subrev_u32_e32 v11, 28, v23
	v_lshlrev_b64 v[10:11], v11, v[10:11]
	v_lshrrev_b32_e32 v21, 3, v19
	v_sub_u32_e32 v11, 29, v23
	v_and_b32_e32 v10, 7, v10
	v_cmp_gt_u32_e32 vcc, 8, v19
	v_cndmask_b32_e32 v11, v21, v11, vcc
	v_cndmask_b32_e32 v10, v20, v10, vcc
	v_lshlrev_b32_e32 v19, 16, v12
	v_bfrev_b32_e32 v20, 60
	v_lshlrev_b32_e32 v10, 20, v10
	v_and_b32_e32 v19, 0x80000000, v19
	v_lshl_add_u32 v11, v11, 23, v20
	v_or3_b32 v10, v19, v11, v10
	v_lshrrev_b32_e32 v11, 16, v10
.LBB873_555:
	s_or_b64 exec, exec, s[10:11]
.LBB873_556:
	s_or_b64 exec, exec, s[8:9]
.LBB873_557:
	s_or_b64 exec, exec, s[2:3]
	s_movk_i32 s2, 0xff
	v_and_b32_sdwa v21, v12, s2 dst_sel:DWORD dst_unused:UNUSED_PAD src0_sel:WORD_1 src1_sel:DWORD
	v_lshrrev_b32_e32 v10, 16, v12
	v_cmp_ne_u16_e32 vcc, 0, v21
	v_mov_b32_e32 v19, 0
	v_mov_b32_e32 v20, 0
	s_and_saveexec_b64 s[2:3], vcc
	s_cbranch_execz .LBB873_563
; %bb.558:
	s_movk_i32 s7, 0x80
	v_cmp_ne_u16_e32 vcc, s7, v21
	v_mov_b32_e32 v20, 0xffff8000
	s_and_saveexec_b64 s[8:9], vcc
	s_cbranch_execz .LBB873_562
; %bb.559:
	v_bfe_u32 v21, v12, 16, 7
	s_movk_i32 s7, 0x7f
	v_cmp_ne_u32_e32 vcc, s7, v21
	v_mov_b32_e32 v20, 0x7f80
	s_and_saveexec_b64 s[10:11], vcc
	s_cbranch_execz .LBB873_561
; %bb.560:
	v_and_b32_e32 v20, 7, v10
	v_ffbh_u32_e32 v24, v20
	v_min_u32_e32 v27, 32, v24
	v_subrev_u32_e32 v24, 28, v27
	v_lshlrev_b64 v[24:25], v24, v[10:11]
	v_lshrrev_b32_e32 v23, 3, v21
	v_sub_u32_e32 v10, 29, v27
	v_and_b32_e32 v24, 7, v24
	v_cmp_gt_u32_e32 vcc, 8, v21
	v_mov_b32_e32 v21, 24
	v_cndmask_b32_e32 v10, v23, v10, vcc
	v_cndmask_b32_e32 v20, v20, v24, vcc
	v_lshlrev_b32_sdwa v21, v21, v12 dst_sel:DWORD dst_unused:UNUSED_PAD src0_sel:DWORD src1_sel:WORD_1
	v_bfrev_b32_e32 v23, 60
	v_lshlrev_b32_e32 v20, 20, v20
	v_and_b32_e32 v21, 0x80000000, v21
	v_lshl_add_u32 v10, v10, 23, v23
	v_or3_b32 v10, v21, v10, v20
	v_lshrrev_b32_e32 v20, 16, v10
.LBB873_561:
	s_or_b64 exec, exec, s[10:11]
.LBB873_562:
	s_or_b64 exec, exec, s[8:9]
.LBB873_563:
	s_or_b64 exec, exec, s[2:3]
	s_mov_b32 s2, 0xffffff
	v_cmp_lt_u32_e32 vcc, s2, v12
	s_and_saveexec_b64 s[2:3], vcc
	s_cbranch_execz .LBB873_569
; %bb.564:
	v_lshrrev_b32_e32 v10, 24, v12
	s_movk_i32 s7, 0x80
	v_cmp_ne_u32_e32 vcc, s7, v10
	v_mov_b32_e32 v19, 0xffff8000
	s_and_saveexec_b64 s[8:9], vcc
	s_cbranch_execz .LBB873_568
; %bb.565:
	v_bfe_u32 v12, v12, 24, 7
	s_movk_i32 s7, 0x7f
	v_cmp_ne_u32_e32 vcc, s7, v12
	v_mov_b32_e32 v19, 0x7f80
	s_and_saveexec_b64 s[10:11], vcc
	s_cbranch_execz .LBB873_567
; %bb.566:
	v_and_b32_e32 v19, 7, v10
	v_ffbh_u32_e32 v23, v19
	v_min_u32_e32 v23, 32, v23
	v_subrev_u32_e32 v24, 28, v23
	v_lshlrev_b64 v[24:25], v24, v[10:11]
	v_lshrrev_b32_e32 v21, 3, v12
	v_sub_u32_e32 v23, 29, v23
	v_and_b32_e32 v24, 7, v24
	v_cmp_gt_u32_e32 vcc, 8, v12
	v_cndmask_b32_e32 v12, v21, v23, vcc
	v_cndmask_b32_e32 v19, v19, v24, vcc
	v_lshlrev_b32_e32 v10, 24, v10
	v_bfrev_b32_e32 v21, 60
	v_lshlrev_b32_e32 v19, 20, v19
	v_and_b32_e32 v10, 0x80000000, v10
	v_lshl_add_u32 v12, v12, 23, v21
	v_or3_b32 v10, v10, v12, v19
	v_lshrrev_b32_e32 v19, 16, v10
.LBB873_567:
	s_or_b64 exec, exec, s[10:11]
.LBB873_568:
	s_or_b64 exec, exec, s[8:9]
.LBB873_569:
	s_or_b64 exec, exec, s[2:3]
	v_mov_b32_e32 v12, 0
	v_cmp_ne_u16_sdwa s[8:9], v13, v12 src0_sel:BYTE_0 src1_sel:DWORD
	v_mov_b32_e32 v21, 0
	s_and_saveexec_b64 s[2:3], s[8:9]
	s_cbranch_execz .LBB873_575
; %bb.570:
	s_movk_i32 s7, 0x80
	v_cmp_ne_u16_sdwa s[10:11], v13, s7 src0_sel:BYTE_0 src1_sel:DWORD
	v_mov_b32_e32 v21, 0xffff8000
	s_and_saveexec_b64 s[8:9], s[10:11]
	s_cbranch_execz .LBB873_574
; %bb.571:
	s_movk_i32 s7, 0x7f
	v_and_b32_e32 v10, 0x7f, v13
	v_cmp_ne_u32_e32 vcc, s7, v10
	v_mov_b32_e32 v21, 0x7f80
	s_and_saveexec_b64 s[10:11], vcc
	s_cbranch_execz .LBB873_573
; %bb.572:
	v_and_b32_e32 v21, 7, v13
	v_ffbh_u32_e32 v25, v21
	v_min_u32_e32 v27, 32, v25
	v_mov_b32_e32 v24, v13
	v_subrev_u32_e32 v25, 28, v27
	v_lshlrev_b64 v[24:25], v25, v[24:25]
	v_lshrrev_b32_e32 v23, 3, v10
	v_sub_u32_e32 v25, 29, v27
	v_and_b32_e32 v24, 7, v24
	v_cmp_gt_u32_e32 vcc, 8, v10
	v_cndmask_b32_e32 v10, v23, v25, vcc
	v_cndmask_b32_e32 v21, v21, v24, vcc
	v_lshlrev_b32_e32 v23, 24, v13
	v_bfrev_b32_e32 v24, 60
	v_lshlrev_b32_e32 v21, 20, v21
	v_and_b32_e32 v23, 0x80000000, v23
	v_lshl_add_u32 v10, v10, 23, v24
	v_or3_b32 v10, v23, v10, v21
	v_lshrrev_b32_e32 v21, 16, v10
.LBB873_573:
	s_or_b64 exec, exec, s[10:11]
.LBB873_574:
	s_or_b64 exec, exec, s[8:9]
.LBB873_575:
	s_or_b64 exec, exec, s[2:3]
	v_lshrrev_b16_e32 v10, 8, v13
	v_cmp_ne_u16_e32 vcc, 0, v10
	s_and_saveexec_b64 s[2:3], vcc
	s_cbranch_execz .LBB873_581
; %bb.576:
	s_movk_i32 s7, 0x80
	v_cmp_ne_u16_e32 vcc, s7, v10
	v_mov_b32_e32 v12, 0xffff8000
	s_and_saveexec_b64 s[8:9], vcc
	s_cbranch_execz .LBB873_580
; %bb.577:
	s_movk_i32 s7, 0x7f
	v_and_b32_e32 v23, 0x7f, v10
	v_cmp_ne_u32_e32 vcc, s7, v23
	v_mov_b32_e32 v12, 0x7f80
	s_and_saveexec_b64 s[10:11], vcc
	s_cbranch_execz .LBB873_579
; %bb.578:
	v_and_b32_e32 v12, 7, v10
	v_ffbh_u32_e32 v24, v12
	v_min_u32_e32 v28, 32, v24
	v_subrev_u32_e32 v24, 28, v28
	v_lshlrev_b64 v[24:25], v24, v[10:11]
	v_lshrrev_b32_e32 v27, 3, v23
	v_sub_u32_e32 v10, 29, v28
	v_and_b32_e32 v24, 7, v24
	v_cmp_gt_u32_e32 vcc, 8, v23
	v_cndmask_b32_e32 v10, v27, v10, vcc
	v_cndmask_b32_e32 v12, v12, v24, vcc
	v_lshlrev_b32_e32 v23, 16, v13
	v_bfrev_b32_e32 v24, 60
	v_lshlrev_b32_e32 v12, 20, v12
	v_and_b32_e32 v23, 0x80000000, v23
	v_lshl_add_u32 v10, v10, 23, v24
	v_or3_b32 v10, v23, v10, v12
	v_lshrrev_b32_e32 v12, 16, v10
.LBB873_579:
	s_or_b64 exec, exec, s[10:11]
.LBB873_580:
	s_or_b64 exec, exec, s[8:9]
.LBB873_581:
	s_or_b64 exec, exec, s[2:3]
	s_movk_i32 s2, 0xff
	v_and_b32_sdwa v25, v13, s2 dst_sel:DWORD dst_unused:UNUSED_PAD src0_sel:WORD_1 src1_sel:DWORD
	v_lshrrev_b32_e32 v10, 16, v13
	v_cmp_ne_u16_e32 vcc, 0, v25
	v_mov_b32_e32 v23, 0
	v_mov_b32_e32 v24, 0
	s_and_saveexec_b64 s[2:3], vcc
	s_cbranch_execz .LBB873_587
; %bb.582:
	s_movk_i32 s7, 0x80
	v_cmp_ne_u16_e32 vcc, s7, v25
	v_mov_b32_e32 v24, 0xffff8000
	s_and_saveexec_b64 s[8:9], vcc
	s_cbranch_execz .LBB873_586
; %bb.583:
	v_bfe_u32 v25, v13, 16, 7
	s_movk_i32 s7, 0x7f
	v_cmp_ne_u32_e32 vcc, s7, v25
	v_mov_b32_e32 v24, 0x7f80
	s_and_saveexec_b64 s[10:11], vcc
	s_cbranch_execz .LBB873_585
; %bb.584:
	v_and_b32_e32 v24, 7, v10
	v_ffbh_u32_e32 v28, v24
	v_min_u32_e32 v30, 32, v28
	v_subrev_u32_e32 v28, 28, v30
	v_lshlrev_b64 v[28:29], v28, v[10:11]
	v_lshrrev_b32_e32 v27, 3, v25
	v_sub_u32_e32 v10, 29, v30
	v_and_b32_e32 v28, 7, v28
	v_cmp_gt_u32_e32 vcc, 8, v25
	v_mov_b32_e32 v25, 24
	v_cndmask_b32_e32 v10, v27, v10, vcc
	v_cndmask_b32_e32 v24, v24, v28, vcc
	v_lshlrev_b32_sdwa v25, v25, v13 dst_sel:DWORD dst_unused:UNUSED_PAD src0_sel:DWORD src1_sel:WORD_1
	v_bfrev_b32_e32 v27, 60
	v_lshlrev_b32_e32 v24, 20, v24
	v_and_b32_e32 v25, 0x80000000, v25
	v_lshl_add_u32 v10, v10, 23, v27
	v_or3_b32 v10, v25, v10, v24
	v_lshrrev_b32_e32 v24, 16, v10
.LBB873_585:
	s_or_b64 exec, exec, s[10:11]
.LBB873_586:
	s_or_b64 exec, exec, s[8:9]
.LBB873_587:
	s_or_b64 exec, exec, s[2:3]
	s_mov_b32 s2, 0xffffff
	v_cmp_lt_u32_e32 vcc, s2, v13
	s_and_saveexec_b64 s[2:3], vcc
	s_cbranch_execz .LBB873_593
; %bb.588:
	v_lshrrev_b32_e32 v10, 24, v13
	s_movk_i32 s7, 0x80
	v_cmp_ne_u32_e32 vcc, s7, v10
	v_mov_b32_e32 v23, 0xffff8000
	s_and_saveexec_b64 s[8:9], vcc
	s_cbranch_execz .LBB873_592
; %bb.589:
	v_bfe_u32 v13, v13, 24, 7
	s_movk_i32 s7, 0x7f
	v_cmp_ne_u32_e32 vcc, s7, v13
	v_mov_b32_e32 v23, 0x7f80
	s_and_saveexec_b64 s[10:11], vcc
	s_cbranch_execz .LBB873_591
; %bb.590:
	v_and_b32_e32 v23, 7, v10
	v_ffbh_u32_e32 v27, v23
	v_min_u32_e32 v27, 32, v27
	v_subrev_u32_e32 v28, 28, v27
	v_lshlrev_b64 v[28:29], v28, v[10:11]
	v_lshrrev_b32_e32 v25, 3, v13
	v_sub_u32_e32 v27, 29, v27
	v_and_b32_e32 v28, 7, v28
	v_cmp_gt_u32_e32 vcc, 8, v13
	v_cndmask_b32_e32 v13, v25, v27, vcc
	v_cndmask_b32_e32 v23, v23, v28, vcc
	v_lshlrev_b32_e32 v10, 24, v10
	v_bfrev_b32_e32 v25, 60
	v_lshlrev_b32_e32 v23, 20, v23
	v_and_b32_e32 v10, 0x80000000, v10
	v_lshl_add_u32 v13, v13, 23, v25
	v_or3_b32 v10, v10, v13, v23
	v_lshrrev_b32_e32 v23, 16, v10
.LBB873_591:
	s_or_b64 exec, exec, s[10:11]
.LBB873_592:
	s_or_b64 exec, exec, s[8:9]
.LBB873_593:
	s_or_b64 exec, exec, s[2:3]
	s_mov_b32 s2, 0x5040100
	v_perm_b32 v19, v19, v20, s2
	v_perm_b32 v18, v11, v18, s2
	ds_read_b128 v[28:31], v22 offset:2064
	v_perm_b32 v11, v23, v24, s2
	v_perm_b32 v10, v12, v21, s2
	s_waitcnt lgkmcnt(0)
	v_mfma_f32_16x16x16bf16_1k v[32:35], v[18:19], v[28:29], v[14:17]
	s_nop 6
	v_mov_b32_e32 v15, 0
	s_waitcnt vmcnt(1)
	v_cmp_ne_u16_sdwa s[8:9], v6, v15 src0_sel:BYTE_0 src1_sel:DWORD
	v_mfma_f32_16x16x16bf16_1k v[10:13], v[10:11], v[30:31], v[32:35]
	v_mov_b32_e32 v16, 0
	s_and_saveexec_b64 s[2:3], s[8:9]
	s_cbranch_execz .LBB873_599
; %bb.594:
	s_movk_i32 s7, 0x80
	v_cmp_ne_u16_sdwa s[10:11], v6, s7 src0_sel:BYTE_0 src1_sel:DWORD
	v_mov_b32_e32 v16, 0xffff8000
	s_and_saveexec_b64 s[8:9], s[10:11]
	s_cbranch_execz .LBB873_598
; %bb.595:
	s_movk_i32 s7, 0x7f
	v_and_b32_e32 v14, 0x7f, v6
	v_cmp_ne_u32_e32 vcc, s7, v14
	v_mov_b32_e32 v16, 0x7f80
	s_and_saveexec_b64 s[10:11], vcc
	s_cbranch_execz .LBB873_597
; %bb.596:
	v_and_b32_e32 v18, 7, v6
	v_ffbh_u32_e32 v16, v18
	v_min_u32_e32 v20, 32, v16
	v_subrev_u32_e32 v16, 28, v20
	v_lshlrev_b64 v[16:17], v16, v[6:7]
	v_lshrrev_b32_e32 v19, 3, v14
	v_sub_u32_e32 v17, 29, v20
	v_and_b32_e32 v16, 7, v16
	v_cmp_gt_u32_e32 vcc, 8, v14
	v_cndmask_b32_e32 v14, v19, v17, vcc
	v_cndmask_b32_e32 v16, v18, v16, vcc
	v_lshlrev_b32_e32 v17, 24, v6
	v_bfrev_b32_e32 v18, 60
	v_lshlrev_b32_e32 v16, 20, v16
	v_and_b32_e32 v17, 0x80000000, v17
	v_lshl_add_u32 v14, v14, 23, v18
	v_or3_b32 v14, v17, v14, v16
	v_lshrrev_b32_e32 v16, 16, v14
.LBB873_597:
	s_or_b64 exec, exec, s[10:11]
.LBB873_598:
	s_or_b64 exec, exec, s[8:9]
.LBB873_599:
	s_or_b64 exec, exec, s[2:3]
	v_lshrrev_b16_e32 v14, 8, v6
	v_cmp_ne_u16_e32 vcc, 0, v14
	s_and_saveexec_b64 s[2:3], vcc
	s_cbranch_execz .LBB873_605
; %bb.600:
	s_movk_i32 s7, 0x80
	v_cmp_ne_u16_e32 vcc, s7, v14
	v_mov_b32_e32 v15, 0xffff8000
	s_and_saveexec_b64 s[8:9], vcc
	s_cbranch_execz .LBB873_604
; %bb.601:
	s_movk_i32 s7, 0x7f
	v_and_b32_e32 v17, 0x7f, v14
	v_cmp_ne_u32_e32 vcc, s7, v17
	v_mov_b32_e32 v15, 0x7f80
	s_and_saveexec_b64 s[10:11], vcc
	s_cbranch_execz .LBB873_603
; %bb.602:
	v_and_b32_e32 v18, 7, v14
	v_ffbh_u32_e32 v15, v18
	v_min_u32_e32 v20, 32, v15
	v_subrev_u32_e32 v15, 28, v20
	v_lshlrev_b64 v[14:15], v15, v[14:15]
	v_lshrrev_b32_e32 v19, 3, v17
	v_sub_u32_e32 v15, 29, v20
	v_and_b32_e32 v14, 7, v14
	v_cmp_gt_u32_e32 vcc, 8, v17
	v_cndmask_b32_e32 v15, v19, v15, vcc
	v_cndmask_b32_e32 v14, v18, v14, vcc
	v_lshlrev_b32_e32 v17, 16, v6
	v_bfrev_b32_e32 v18, 60
	v_lshlrev_b32_e32 v14, 20, v14
	v_and_b32_e32 v17, 0x80000000, v17
	v_lshl_add_u32 v15, v15, 23, v18
	v_or3_b32 v14, v17, v15, v14
	v_lshrrev_b32_e32 v15, 16, v14
.LBB873_603:
	s_or_b64 exec, exec, s[10:11]
.LBB873_604:
	s_or_b64 exec, exec, s[8:9]
.LBB873_605:
	s_or_b64 exec, exec, s[2:3]
	s_movk_i32 s2, 0xff
	v_and_b32_sdwa v19, v6, s2 dst_sel:DWORD dst_unused:UNUSED_PAD src0_sel:WORD_1 src1_sel:DWORD
	v_lshrrev_b32_e32 v14, 16, v6
	v_cmp_ne_u16_e32 vcc, 0, v19
	v_mov_b32_e32 v17, 0
	v_mov_b32_e32 v18, 0
	s_and_saveexec_b64 s[2:3], vcc
	s_cbranch_execz .LBB873_611
; %bb.606:
	s_movk_i32 s7, 0x80
	v_cmp_ne_u16_e32 vcc, s7, v19
	v_mov_b32_e32 v18, 0xffff8000
	s_and_saveexec_b64 s[8:9], vcc
	s_cbranch_execz .LBB873_610
; %bb.607:
	v_bfe_u32 v19, v6, 16, 7
	s_movk_i32 s7, 0x7f
	v_cmp_ne_u32_e32 vcc, s7, v19
	v_mov_b32_e32 v18, 0x7f80
	s_and_saveexec_b64 s[10:11], vcc
	s_cbranch_execz .LBB873_609
; %bb.608:
	v_and_b32_e32 v18, 7, v14
	v_ffbh_u32_e32 v20, v18
	v_min_u32_e32 v24, 32, v20
	v_subrev_u32_e32 v20, 28, v24
	v_lshlrev_b64 v[20:21], v20, v[14:15]
	v_lshrrev_b32_e32 v23, 3, v19
	v_sub_u32_e32 v14, 29, v24
	v_and_b32_e32 v20, 7, v20
	v_cmp_gt_u32_e32 vcc, 8, v19
	v_mov_b32_e32 v19, 24
	v_cndmask_b32_e32 v14, v23, v14, vcc
	v_cndmask_b32_e32 v18, v18, v20, vcc
	v_lshlrev_b32_sdwa v19, v19, v6 dst_sel:DWORD dst_unused:UNUSED_PAD src0_sel:DWORD src1_sel:WORD_1
	v_bfrev_b32_e32 v20, 60
	v_lshlrev_b32_e32 v18, 20, v18
	v_and_b32_e32 v19, 0x80000000, v19
	v_lshl_add_u32 v14, v14, 23, v20
	v_or3_b32 v14, v19, v14, v18
	v_lshrrev_b32_e32 v18, 16, v14
.LBB873_609:
	s_or_b64 exec, exec, s[10:11]
.LBB873_610:
	s_or_b64 exec, exec, s[8:9]
.LBB873_611:
	s_or_b64 exec, exec, s[2:3]
	s_mov_b32 s2, 0xffffff
	v_cmp_lt_u32_e32 vcc, s2, v6
	s_and_saveexec_b64 s[2:3], vcc
	s_cbranch_execz .LBB873_617
; %bb.612:
	v_lshrrev_b32_e32 v14, 24, v6
	s_movk_i32 s7, 0x80
	v_cmp_ne_u32_e32 vcc, s7, v14
	v_mov_b32_e32 v17, 0xffff8000
	s_and_saveexec_b64 s[8:9], vcc
	s_cbranch_execz .LBB873_616
; %bb.613:
	v_bfe_u32 v6, v6, 24, 7
	s_movk_i32 s7, 0x7f
	v_cmp_ne_u32_e32 vcc, s7, v6
	v_mov_b32_e32 v17, 0x7f80
	s_and_saveexec_b64 s[10:11], vcc
	s_cbranch_execz .LBB873_615
; %bb.614:
	v_and_b32_e32 v17, 7, v14
	v_ffbh_u32_e32 v20, v17
	v_min_u32_e32 v23, 32, v20
	v_subrev_u32_e32 v20, 28, v23
	v_lshlrev_b64 v[20:21], v20, v[14:15]
	v_lshrrev_b32_e32 v19, 3, v6
	v_sub_u32_e32 v21, 29, v23
	v_and_b32_e32 v20, 7, v20
	v_cmp_gt_u32_e32 vcc, 8, v6
	v_cndmask_b32_e32 v6, v19, v21, vcc
	v_cndmask_b32_e32 v17, v17, v20, vcc
	v_lshlrev_b32_e32 v14, 24, v14
	v_bfrev_b32_e32 v19, 60
	v_lshlrev_b32_e32 v17, 20, v17
	v_and_b32_e32 v14, 0x80000000, v14
	v_lshl_add_u32 v6, v6, 23, v19
	v_or3_b32 v6, v14, v6, v17
	v_lshrrev_b32_e32 v17, 16, v6
.LBB873_615:
	s_or_b64 exec, exec, s[10:11]
.LBB873_616:
	s_or_b64 exec, exec, s[8:9]
.LBB873_617:
	s_or_b64 exec, exec, s[2:3]
	v_mov_b32_e32 v14, 0
	v_cmp_ne_u16_sdwa s[8:9], v7, v14 src0_sel:BYTE_0 src1_sel:DWORD
	v_mov_b32_e32 v19, 0
	s_and_saveexec_b64 s[2:3], s[8:9]
	s_cbranch_execz .LBB873_623
; %bb.618:
	s_movk_i32 s7, 0x80
	v_cmp_ne_u16_sdwa s[10:11], v7, s7 src0_sel:BYTE_0 src1_sel:DWORD
	v_mov_b32_e32 v19, 0xffff8000
	s_and_saveexec_b64 s[8:9], s[10:11]
	s_cbranch_execz .LBB873_622
; %bb.619:
	s_movk_i32 s7, 0x7f
	v_and_b32_e32 v6, 0x7f, v7
	v_cmp_ne_u32_e32 vcc, s7, v6
	v_mov_b32_e32 v19, 0x7f80
	s_and_saveexec_b64 s[10:11], vcc
	s_cbranch_execz .LBB873_621
; %bb.620:
	v_and_b32_e32 v19, 7, v7
	v_ffbh_u32_e32 v21, v19
	v_min_u32_e32 v24, 32, v21
	v_mov_b32_e32 v20, v7
	v_subrev_u32_e32 v21, 28, v24
	v_lshlrev_b64 v[20:21], v21, v[20:21]
	v_lshrrev_b32_e32 v23, 3, v6
	v_sub_u32_e32 v21, 29, v24
	v_and_b32_e32 v20, 7, v20
	v_cmp_gt_u32_e32 vcc, 8, v6
	v_cndmask_b32_e32 v6, v23, v21, vcc
	v_cndmask_b32_e32 v19, v19, v20, vcc
	v_lshlrev_b32_e32 v20, 24, v7
	v_bfrev_b32_e32 v21, 60
	v_lshlrev_b32_e32 v19, 20, v19
	v_and_b32_e32 v20, 0x80000000, v20
	v_lshl_add_u32 v6, v6, 23, v21
	v_or3_b32 v6, v20, v6, v19
	v_lshrrev_b32_e32 v19, 16, v6
.LBB873_621:
	s_or_b64 exec, exec, s[10:11]
.LBB873_622:
	s_or_b64 exec, exec, s[8:9]
.LBB873_623:
	s_or_b64 exec, exec, s[2:3]
	v_lshrrev_b16_e32 v6, 8, v7
	v_cmp_ne_u16_e32 vcc, 0, v6
	s_and_saveexec_b64 s[2:3], vcc
	s_cbranch_execz .LBB873_629
; %bb.624:
	s_movk_i32 s7, 0x80
	v_cmp_ne_u16_e32 vcc, s7, v6
	v_mov_b32_e32 v14, 0xffff8000
	s_and_saveexec_b64 s[8:9], vcc
	s_cbranch_execz .LBB873_628
; %bb.625:
	s_movk_i32 s7, 0x7f
	v_and_b32_e32 v20, 0x7f, v6
	v_cmp_ne_u32_e32 vcc, s7, v20
	v_mov_b32_e32 v14, 0x7f80
	s_and_saveexec_b64 s[10:11], vcc
	s_cbranch_execz .LBB873_627
; %bb.626:
	v_and_b32_e32 v14, 7, v6
	v_ffbh_u32_e32 v23, v14
	v_min_u32_e32 v23, 32, v23
	v_subrev_u32_e32 v24, 28, v23
	v_lshlrev_b64 v[24:25], v24, v[6:7]
	v_lshrrev_b32_e32 v21, 3, v20
	v_sub_u32_e32 v6, 29, v23
	v_and_b32_e32 v23, 7, v24
	v_cmp_gt_u32_e32 vcc, 8, v20
	v_cndmask_b32_e32 v6, v21, v6, vcc
	v_cndmask_b32_e32 v14, v14, v23, vcc
	v_lshlrev_b32_e32 v20, 16, v7
	v_bfrev_b32_e32 v21, 60
	v_lshlrev_b32_e32 v14, 20, v14
	v_and_b32_e32 v20, 0x80000000, v20
	v_lshl_add_u32 v6, v6, 23, v21
	v_or3_b32 v6, v20, v6, v14
	v_lshrrev_b32_e32 v14, 16, v6
.LBB873_627:
	s_or_b64 exec, exec, s[10:11]
.LBB873_628:
	s_or_b64 exec, exec, s[8:9]
.LBB873_629:
	s_or_b64 exec, exec, s[2:3]
	s_movk_i32 s2, 0xff
	v_and_b32_sdwa v23, v7, s2 dst_sel:DWORD dst_unused:UNUSED_PAD src0_sel:WORD_1 src1_sel:DWORD
	v_lshrrev_b32_e32 v6, 16, v7
	v_cmp_ne_u16_e32 vcc, 0, v23
	v_mov_b32_e32 v20, 0
	v_mov_b32_e32 v21, 0
	s_and_saveexec_b64 s[2:3], vcc
	s_cbranch_execz .LBB873_635
; %bb.630:
	s_movk_i32 s7, 0x80
	v_cmp_ne_u16_e32 vcc, s7, v23
	v_mov_b32_e32 v21, 0xffff8000
	s_and_saveexec_b64 s[8:9], vcc
	s_cbranch_execz .LBB873_634
; %bb.631:
	v_bfe_u32 v23, v7, 16, 7
	s_movk_i32 s7, 0x7f
	v_cmp_ne_u32_e32 vcc, s7, v23
	v_mov_b32_e32 v21, 0x7f80
	s_and_saveexec_b64 s[10:11], vcc
	s_cbranch_execz .LBB873_633
; %bb.632:
	v_and_b32_e32 v21, 7, v6
	v_ffbh_u32_e32 v24, v21
	v_min_u32_e32 v28, 32, v24
	v_subrev_u32_e32 v24, 28, v28
	v_lshlrev_b64 v[24:25], v24, v[6:7]
	v_lshrrev_b32_e32 v27, 3, v23
	v_sub_u32_e32 v6, 29, v28
	v_and_b32_e32 v24, 7, v24
	v_cmp_gt_u32_e32 vcc, 8, v23
	v_mov_b32_e32 v23, 24
	v_cndmask_b32_e32 v6, v27, v6, vcc
	v_cndmask_b32_e32 v21, v21, v24, vcc
	v_lshlrev_b32_sdwa v23, v23, v7 dst_sel:DWORD dst_unused:UNUSED_PAD src0_sel:DWORD src1_sel:WORD_1
	v_bfrev_b32_e32 v24, 60
	v_lshlrev_b32_e32 v21, 20, v21
	v_and_b32_e32 v23, 0x80000000, v23
	v_lshl_add_u32 v6, v6, 23, v24
	v_or3_b32 v6, v23, v6, v21
	v_lshrrev_b32_e32 v21, 16, v6
.LBB873_633:
	s_or_b64 exec, exec, s[10:11]
.LBB873_634:
	s_or_b64 exec, exec, s[8:9]
.LBB873_635:
	s_or_b64 exec, exec, s[2:3]
	s_mov_b32 s2, 0xffffff
	v_cmp_lt_u32_e32 vcc, s2, v7
	s_and_saveexec_b64 s[2:3], vcc
	s_cbranch_execz .LBB873_641
; %bb.636:
	v_lshrrev_b32_e32 v6, 24, v7
	s_movk_i32 s7, 0x80
	v_cmp_ne_u32_e32 vcc, s7, v6
	v_mov_b32_e32 v20, 0xffff8000
	s_and_saveexec_b64 s[8:9], vcc
	s_cbranch_execz .LBB873_640
; %bb.637:
	v_bfe_u32 v7, v7, 24, 7
	s_movk_i32 s7, 0x7f
	v_cmp_ne_u32_e32 vcc, s7, v7
	v_mov_b32_e32 v20, 0x7f80
	s_and_saveexec_b64 s[10:11], vcc
	s_cbranch_execz .LBB873_639
; %bb.638:
	v_and_b32_e32 v20, 7, v6
	v_ffbh_u32_e32 v24, v20
	v_min_u32_e32 v27, 32, v24
	v_subrev_u32_e32 v24, 28, v27
	v_lshlrev_b64 v[24:25], v24, v[6:7]
	v_lshrrev_b32_e32 v23, 3, v7
	v_sub_u32_e32 v25, 29, v27
	v_and_b32_e32 v24, 7, v24
	v_cmp_gt_u32_e32 vcc, 8, v7
	v_cndmask_b32_e32 v7, v23, v25, vcc
	v_cndmask_b32_e32 v20, v20, v24, vcc
	v_lshlrev_b32_e32 v6, 24, v6
	v_bfrev_b32_e32 v23, 60
	v_lshlrev_b32_e32 v20, 20, v20
	v_and_b32_e32 v6, 0x80000000, v6
	v_lshl_add_u32 v7, v7, 23, v23
	v_or3_b32 v6, v6, v7, v20
	v_lshrrev_b32_e32 v20, 16, v6
.LBB873_639:
	s_or_b64 exec, exec, s[10:11]
.LBB873_640:
	s_or_b64 exec, exec, s[8:9]
.LBB873_641:
	s_or_b64 exec, exec, s[2:3]
	s_mov_b32 s2, 0x5040100
	v_perm_b32 v7, v17, v18, s2
	v_perm_b32 v6, v15, v16, s2
	ds_read_b128 v[28:31], v22 offset:4096
	v_perm_b32 v17, v20, v21, s2
	v_perm_b32 v16, v14, v19, s2
	s_waitcnt lgkmcnt(0)
	v_mfma_f32_16x16x16bf16_1k v[10:13], v[6:7], v[28:29], v[10:13]
	v_mov_b32_e32 v7, 0
	v_cmp_ne_u16_sdwa s[8:9], v8, v7 src0_sel:BYTE_0 src1_sel:DWORD
	v_mov_b32_e32 v14, 0
	v_mfma_f32_16x16x16bf16_1k v[10:13], v[16:17], v[30:31], v[10:13]
	s_and_saveexec_b64 s[2:3], s[8:9]
	s_cbranch_execz .LBB873_647
; %bb.642:
	s_movk_i32 s7, 0x80
	v_cmp_ne_u16_sdwa s[10:11], v8, s7 src0_sel:BYTE_0 src1_sel:DWORD
	v_mov_b32_e32 v14, 0xffff8000
	s_and_saveexec_b64 s[8:9], s[10:11]
	s_cbranch_execz .LBB873_646
; %bb.643:
	s_movk_i32 s7, 0x7f
	v_and_b32_e32 v6, 0x7f, v8
	v_cmp_ne_u32_e32 vcc, s7, v6
	v_mov_b32_e32 v14, 0x7f80
	s_and_saveexec_b64 s[10:11], vcc
	s_cbranch_execz .LBB873_645
; %bb.644:
	v_and_b32_e32 v16, 7, v8
	v_ffbh_u32_e32 v14, v16
	v_min_u32_e32 v18, 32, v14
	v_subrev_u32_e32 v14, 28, v18
	v_lshlrev_b64 v[14:15], v14, v[8:9]
	v_lshrrev_b32_e32 v17, 3, v6
	v_sub_u32_e32 v15, 29, v18
	v_and_b32_e32 v14, 7, v14
	v_cmp_gt_u32_e32 vcc, 8, v6
	v_cndmask_b32_e32 v6, v17, v15, vcc
	v_cndmask_b32_e32 v14, v16, v14, vcc
	v_lshlrev_b32_e32 v15, 24, v8
	v_bfrev_b32_e32 v16, 60
	v_lshlrev_b32_e32 v14, 20, v14
	v_and_b32_e32 v15, 0x80000000, v15
	v_lshl_add_u32 v6, v6, 23, v16
	v_or3_b32 v6, v15, v6, v14
	v_lshrrev_b32_e32 v14, 16, v6
.LBB873_645:
	s_or_b64 exec, exec, s[10:11]
.LBB873_646:
	s_or_b64 exec, exec, s[8:9]
.LBB873_647:
	s_or_b64 exec, exec, s[2:3]
	v_lshrrev_b16_e32 v6, 8, v8
	v_cmp_ne_u16_e32 vcc, 0, v6
	s_and_saveexec_b64 s[2:3], vcc
	s_cbranch_execz .LBB873_653
; %bb.648:
	s_movk_i32 s7, 0x80
	v_cmp_ne_u16_e32 vcc, s7, v6
	v_mov_b32_e32 v7, 0xffff8000
	s_and_saveexec_b64 s[8:9], vcc
	s_cbranch_execz .LBB873_652
; %bb.649:
	s_movk_i32 s7, 0x7f
	v_and_b32_e32 v15, 0x7f, v6
	v_cmp_ne_u32_e32 vcc, s7, v15
	v_mov_b32_e32 v7, 0x7f80
	s_and_saveexec_b64 s[10:11], vcc
	s_cbranch_execz .LBB873_651
; %bb.650:
	v_and_b32_e32 v16, 7, v6
	v_ffbh_u32_e32 v7, v16
	v_min_u32_e32 v18, 32, v7
	v_subrev_u32_e32 v7, 28, v18
	v_lshlrev_b64 v[6:7], v7, v[6:7]
	v_lshrrev_b32_e32 v17, 3, v15
	v_sub_u32_e32 v7, 29, v18
	v_and_b32_e32 v6, 7, v6
	v_cmp_gt_u32_e32 vcc, 8, v15
	v_cndmask_b32_e32 v7, v17, v7, vcc
	v_cndmask_b32_e32 v6, v16, v6, vcc
	v_lshlrev_b32_e32 v15, 16, v8
	v_bfrev_b32_e32 v16, 60
	v_lshlrev_b32_e32 v6, 20, v6
	v_and_b32_e32 v15, 0x80000000, v15
	v_lshl_add_u32 v7, v7, 23, v16
	v_or3_b32 v6, v15, v7, v6
	v_lshrrev_b32_e32 v7, 16, v6
.LBB873_651:
	s_or_b64 exec, exec, s[10:11]
.LBB873_652:
	s_or_b64 exec, exec, s[8:9]
.LBB873_653:
	s_or_b64 exec, exec, s[2:3]
	s_movk_i32 s2, 0xff
	v_and_b32_sdwa v17, v8, s2 dst_sel:DWORD dst_unused:UNUSED_PAD src0_sel:WORD_1 src1_sel:DWORD
	v_lshrrev_b32_e32 v6, 16, v8
	v_cmp_ne_u16_e32 vcc, 0, v17
	v_mov_b32_e32 v15, 0
	v_mov_b32_e32 v16, 0
	s_and_saveexec_b64 s[2:3], vcc
	s_cbranch_execz .LBB873_659
; %bb.654:
	s_movk_i32 s7, 0x80
	v_cmp_ne_u16_e32 vcc, s7, v17
	v_mov_b32_e32 v16, 0xffff8000
	s_and_saveexec_b64 s[8:9], vcc
	s_cbranch_execz .LBB873_658
; %bb.655:
	v_bfe_u32 v17, v8, 16, 7
	s_movk_i32 s7, 0x7f
	v_cmp_ne_u32_e32 vcc, s7, v17
	v_mov_b32_e32 v16, 0x7f80
	s_and_saveexec_b64 s[10:11], vcc
	s_cbranch_execz .LBB873_657
; %bb.656:
	v_and_b32_e32 v16, 7, v6
	v_ffbh_u32_e32 v18, v16
	v_min_u32_e32 v21, 32, v18
	v_subrev_u32_e32 v18, 28, v21
	v_lshlrev_b64 v[18:19], v18, v[6:7]
	v_lshrrev_b32_e32 v20, 3, v17
	v_sub_u32_e32 v6, 29, v21
	v_and_b32_e32 v18, 7, v18
	v_cmp_gt_u32_e32 vcc, 8, v17
	v_mov_b32_e32 v17, 24
	v_cndmask_b32_e32 v6, v20, v6, vcc
	v_cndmask_b32_e32 v16, v16, v18, vcc
	v_lshlrev_b32_sdwa v17, v17, v8 dst_sel:DWORD dst_unused:UNUSED_PAD src0_sel:DWORD src1_sel:WORD_1
	v_bfrev_b32_e32 v18, 60
	v_lshlrev_b32_e32 v16, 20, v16
	v_and_b32_e32 v17, 0x80000000, v17
	v_lshl_add_u32 v6, v6, 23, v18
	v_or3_b32 v6, v17, v6, v16
	v_lshrrev_b32_e32 v16, 16, v6
.LBB873_657:
	s_or_b64 exec, exec, s[10:11]
.LBB873_658:
	s_or_b64 exec, exec, s[8:9]
.LBB873_659:
	s_or_b64 exec, exec, s[2:3]
	s_mov_b32 s2, 0xffffff
	v_cmp_lt_u32_e32 vcc, s2, v8
	s_and_saveexec_b64 s[2:3], vcc
	s_cbranch_execz .LBB873_665
; %bb.660:
	v_lshrrev_b32_e32 v6, 24, v8
	s_movk_i32 s7, 0x80
	v_cmp_ne_u32_e32 vcc, s7, v6
	v_mov_b32_e32 v15, 0xffff8000
	s_and_saveexec_b64 s[8:9], vcc
	s_cbranch_execz .LBB873_664
; %bb.661:
	v_bfe_u32 v8, v8, 24, 7
	s_movk_i32 s7, 0x7f
	v_cmp_ne_u32_e32 vcc, s7, v8
	v_mov_b32_e32 v15, 0x7f80
	s_and_saveexec_b64 s[10:11], vcc
	s_cbranch_execz .LBB873_663
; %bb.662:
	v_and_b32_e32 v15, 7, v6
	v_ffbh_u32_e32 v18, v15
	v_min_u32_e32 v20, 32, v18
	v_subrev_u32_e32 v18, 28, v20
	v_lshlrev_b64 v[18:19], v18, v[6:7]
	v_lshrrev_b32_e32 v17, 3, v8
	v_sub_u32_e32 v19, 29, v20
	v_and_b32_e32 v18, 7, v18
	v_cmp_gt_u32_e32 vcc, 8, v8
	v_cndmask_b32_e32 v8, v17, v19, vcc
	v_cndmask_b32_e32 v15, v15, v18, vcc
	v_lshlrev_b32_e32 v6, 24, v6
	v_bfrev_b32_e32 v17, 60
	v_lshlrev_b32_e32 v15, 20, v15
	v_and_b32_e32 v6, 0x80000000, v6
	v_lshl_add_u32 v8, v8, 23, v17
	v_or3_b32 v6, v6, v8, v15
	v_lshrrev_b32_e32 v15, 16, v6
.LBB873_663:
	s_or_b64 exec, exec, s[10:11]
.LBB873_664:
	s_or_b64 exec, exec, s[8:9]
.LBB873_665:
	s_or_b64 exec, exec, s[2:3]
	v_mov_b32_e32 v8, 0
	v_cmp_ne_u16_sdwa s[8:9], v9, v8 src0_sel:BYTE_0 src1_sel:DWORD
	v_mov_b32_e32 v17, 0
	s_and_saveexec_b64 s[2:3], s[8:9]
	s_cbranch_execz .LBB873_671
; %bb.666:
	s_movk_i32 s7, 0x80
	v_cmp_ne_u16_sdwa s[10:11], v9, s7 src0_sel:BYTE_0 src1_sel:DWORD
	v_mov_b32_e32 v17, 0xffff8000
	s_and_saveexec_b64 s[8:9], s[10:11]
	s_cbranch_execz .LBB873_670
; %bb.667:
	s_movk_i32 s7, 0x7f
	v_and_b32_e32 v6, 0x7f, v9
	v_cmp_ne_u32_e32 vcc, s7, v6
	v_mov_b32_e32 v17, 0x7f80
	s_and_saveexec_b64 s[10:11], vcc
	s_cbranch_execz .LBB873_669
; %bb.668:
	v_and_b32_e32 v17, 7, v9
	v_ffbh_u32_e32 v19, v17
	v_min_u32_e32 v21, 32, v19
	v_mov_b32_e32 v18, v9
	v_subrev_u32_e32 v19, 28, v21
	v_lshlrev_b64 v[18:19], v19, v[18:19]
	v_lshrrev_b32_e32 v20, 3, v6
	v_sub_u32_e32 v19, 29, v21
	v_and_b32_e32 v18, 7, v18
	v_cmp_gt_u32_e32 vcc, 8, v6
	v_cndmask_b32_e32 v6, v20, v19, vcc
	v_cndmask_b32_e32 v17, v17, v18, vcc
	v_lshlrev_b32_e32 v18, 24, v9
	v_bfrev_b32_e32 v19, 60
	v_lshlrev_b32_e32 v17, 20, v17
	v_and_b32_e32 v18, 0x80000000, v18
	v_lshl_add_u32 v6, v6, 23, v19
	v_or3_b32 v6, v18, v6, v17
	v_lshrrev_b32_e32 v17, 16, v6
.LBB873_669:
	s_or_b64 exec, exec, s[10:11]
.LBB873_670:
	s_or_b64 exec, exec, s[8:9]
.LBB873_671:
	s_or_b64 exec, exec, s[2:3]
	v_lshrrev_b16_e32 v6, 8, v9
	v_cmp_ne_u16_e32 vcc, 0, v6
	s_and_saveexec_b64 s[2:3], vcc
	s_cbranch_execz .LBB873_677
; %bb.672:
	s_movk_i32 s7, 0x80
	v_cmp_ne_u16_e32 vcc, s7, v6
	v_mov_b32_e32 v8, 0xffff8000
	s_and_saveexec_b64 s[8:9], vcc
	s_cbranch_execz .LBB873_676
; %bb.673:
	s_movk_i32 s7, 0x7f
	v_and_b32_e32 v18, 0x7f, v6
	v_cmp_ne_u32_e32 vcc, s7, v18
	v_mov_b32_e32 v8, 0x7f80
	s_and_saveexec_b64 s[10:11], vcc
	s_cbranch_execz .LBB873_675
; %bb.674:
	v_and_b32_e32 v8, 7, v6
	v_ffbh_u32_e32 v20, v8
	v_min_u32_e32 v23, 32, v20
	v_subrev_u32_e32 v20, 28, v23
	v_lshlrev_b64 v[20:21], v20, v[6:7]
	v_lshrrev_b32_e32 v19, 3, v18
	v_sub_u32_e32 v6, 29, v23
	v_and_b32_e32 v20, 7, v20
	v_cmp_gt_u32_e32 vcc, 8, v18
	v_cndmask_b32_e32 v6, v19, v6, vcc
	v_cndmask_b32_e32 v8, v8, v20, vcc
	v_lshlrev_b32_e32 v18, 16, v9
	v_bfrev_b32_e32 v19, 60
	v_lshlrev_b32_e32 v8, 20, v8
	v_and_b32_e32 v18, 0x80000000, v18
	v_lshl_add_u32 v6, v6, 23, v19
	v_or3_b32 v6, v18, v6, v8
	v_lshrrev_b32_e32 v8, 16, v6
.LBB873_675:
	s_or_b64 exec, exec, s[10:11]
.LBB873_676:
	s_or_b64 exec, exec, s[8:9]
.LBB873_677:
	s_or_b64 exec, exec, s[2:3]
	s_movk_i32 s2, 0xff
	v_and_b32_sdwa v20, v9, s2 dst_sel:DWORD dst_unused:UNUSED_PAD src0_sel:WORD_1 src1_sel:DWORD
	v_lshrrev_b32_e32 v6, 16, v9
	v_cmp_ne_u16_e32 vcc, 0, v20
	v_mov_b32_e32 v18, 0
	v_mov_b32_e32 v19, 0
	s_and_saveexec_b64 s[2:3], vcc
	s_cbranch_execz .LBB873_683
; %bb.678:
	s_movk_i32 s7, 0x80
	v_cmp_ne_u16_e32 vcc, s7, v20
	v_mov_b32_e32 v19, 0xffff8000
	s_and_saveexec_b64 s[8:9], vcc
	s_cbranch_execz .LBB873_682
; %bb.679:
	v_bfe_u32 v20, v9, 16, 7
	s_movk_i32 s7, 0x7f
	v_cmp_ne_u32_e32 vcc, s7, v20
	v_mov_b32_e32 v19, 0x7f80
	s_and_saveexec_b64 s[10:11], vcc
	s_cbranch_execz .LBB873_681
; %bb.680:
	v_and_b32_e32 v19, 7, v6
	v_ffbh_u32_e32 v23, v19
	v_min_u32_e32 v23, 32, v23
	v_subrev_u32_e32 v24, 28, v23
	v_lshlrev_b64 v[24:25], v24, v[6:7]
	v_lshrrev_b32_e32 v21, 3, v20
	v_sub_u32_e32 v6, 29, v23
	v_and_b32_e32 v23, 7, v24
	v_cmp_gt_u32_e32 vcc, 8, v20
	v_mov_b32_e32 v20, 24
	v_cndmask_b32_e32 v6, v21, v6, vcc
	v_cndmask_b32_e32 v19, v19, v23, vcc
	v_lshlrev_b32_sdwa v20, v20, v9 dst_sel:DWORD dst_unused:UNUSED_PAD src0_sel:DWORD src1_sel:WORD_1
	v_bfrev_b32_e32 v21, 60
	v_lshlrev_b32_e32 v19, 20, v19
	v_and_b32_e32 v20, 0x80000000, v20
	v_lshl_add_u32 v6, v6, 23, v21
	v_or3_b32 v6, v20, v6, v19
	v_lshrrev_b32_e32 v19, 16, v6
.LBB873_681:
	s_or_b64 exec, exec, s[10:11]
.LBB873_682:
	s_or_b64 exec, exec, s[8:9]
.LBB873_683:
	s_or_b64 exec, exec, s[2:3]
	s_mov_b32 s2, 0xffffff
	v_cmp_lt_u32_e32 vcc, s2, v9
	s_and_saveexec_b64 s[2:3], vcc
	s_cbranch_execz .LBB873_689
; %bb.684:
	v_lshrrev_b32_e32 v6, 24, v9
	s_movk_i32 s7, 0x80
	v_cmp_ne_u32_e32 vcc, s7, v6
	v_mov_b32_e32 v18, 0xffff8000
	s_and_saveexec_b64 s[8:9], vcc
	s_cbranch_execz .LBB873_688
; %bb.685:
	v_bfe_u32 v9, v9, 24, 7
	s_movk_i32 s7, 0x7f
	v_cmp_ne_u32_e32 vcc, s7, v9
	v_mov_b32_e32 v18, 0x7f80
	s_and_saveexec_b64 s[10:11], vcc
	s_cbranch_execz .LBB873_687
; %bb.686:
	v_and_b32_e32 v18, 7, v6
	v_ffbh_u32_e32 v20, v18
	v_min_u32_e32 v24, 32, v20
	v_subrev_u32_e32 v20, 28, v24
	v_lshlrev_b64 v[20:21], v20, v[6:7]
	v_lshrrev_b32_e32 v23, 3, v9
	v_sub_u32_e32 v21, 29, v24
	v_and_b32_e32 v20, 7, v20
	v_cmp_gt_u32_e32 vcc, 8, v9
	v_cndmask_b32_e32 v9, v23, v21, vcc
	v_cndmask_b32_e32 v18, v18, v20, vcc
	v_lshlrev_b32_e32 v6, 24, v6
	v_bfrev_b32_e32 v20, 60
	v_lshlrev_b32_e32 v18, 20, v18
	v_and_b32_e32 v6, 0x80000000, v6
	v_lshl_add_u32 v9, v9, 23, v20
	v_or3_b32 v6, v6, v9, v18
	v_lshrrev_b32_e32 v18, 16, v6
.LBB873_687:
	s_or_b64 exec, exec, s[10:11]
.LBB873_688:
	s_or_b64 exec, exec, s[8:9]
.LBB873_689:
	s_or_b64 exec, exec, s[2:3]
	s_mov_b32 s2, 0x5040100
	v_perm_b32 v15, v15, v16, s2
	v_perm_b32 v14, v7, v14, s2
	ds_read_b128 v[28:31], v22 offset:4112
	v_perm_b32 v7, v18, v19, s2
	v_perm_b32 v6, v8, v17, s2
	s_waitcnt lgkmcnt(0)
	v_mfma_f32_16x16x16bf16_1k v[32:35], v[14:15], v[28:29], v[10:13]
	s_nop 6
	v_mov_b32_e32 v11, 0
	s_waitcnt vmcnt(0)
	v_cmp_ne_u16_sdwa s[8:9], v2, v11 src0_sel:BYTE_0 src1_sel:DWORD
	v_mfma_f32_16x16x16bf16_1k v[6:9], v[6:7], v[30:31], v[32:35]
	v_mov_b32_e32 v12, 0
	s_and_saveexec_b64 s[2:3], s[8:9]
	s_cbranch_execz .LBB873_695
; %bb.690:
	s_movk_i32 s7, 0x80
	v_cmp_ne_u16_sdwa s[10:11], v2, s7 src0_sel:BYTE_0 src1_sel:DWORD
	v_mov_b32_e32 v12, 0xffff8000
	s_and_saveexec_b64 s[8:9], s[10:11]
	s_cbranch_execz .LBB873_694
; %bb.691:
	s_movk_i32 s7, 0x7f
	v_and_b32_e32 v10, 0x7f, v2
	v_cmp_ne_u32_e32 vcc, s7, v10
	v_mov_b32_e32 v12, 0x7f80
	s_and_saveexec_b64 s[10:11], vcc
	s_cbranch_execz .LBB873_693
; %bb.692:
	v_and_b32_e32 v14, 7, v2
	v_ffbh_u32_e32 v12, v14
	v_min_u32_e32 v16, 32, v12
	v_subrev_u32_e32 v12, 28, v16
	v_lshlrev_b64 v[12:13], v12, v[2:3]
	v_lshrrev_b32_e32 v15, 3, v10
	v_sub_u32_e32 v13, 29, v16
	v_and_b32_e32 v12, 7, v12
	v_cmp_gt_u32_e32 vcc, 8, v10
	v_cndmask_b32_e32 v10, v15, v13, vcc
	v_cndmask_b32_e32 v12, v14, v12, vcc
	v_lshlrev_b32_e32 v13, 24, v2
	v_bfrev_b32_e32 v14, 60
	v_lshlrev_b32_e32 v12, 20, v12
	v_and_b32_e32 v13, 0x80000000, v13
	v_lshl_add_u32 v10, v10, 23, v14
	v_or3_b32 v10, v13, v10, v12
	v_lshrrev_b32_e32 v12, 16, v10
.LBB873_693:
	s_or_b64 exec, exec, s[10:11]
.LBB873_694:
	s_or_b64 exec, exec, s[8:9]
.LBB873_695:
	s_or_b64 exec, exec, s[2:3]
	v_lshrrev_b16_e32 v10, 8, v2
	v_cmp_ne_u16_e32 vcc, 0, v10
	s_and_saveexec_b64 s[2:3], vcc
	s_cbranch_execz .LBB873_701
; %bb.696:
	s_movk_i32 s7, 0x80
	v_cmp_ne_u16_e32 vcc, s7, v10
	v_mov_b32_e32 v11, 0xffff8000
	s_and_saveexec_b64 s[8:9], vcc
	s_cbranch_execz .LBB873_700
; %bb.697:
	s_movk_i32 s7, 0x7f
	v_and_b32_e32 v13, 0x7f, v10
	v_cmp_ne_u32_e32 vcc, s7, v13
	v_mov_b32_e32 v11, 0x7f80
	s_and_saveexec_b64 s[10:11], vcc
	s_cbranch_execz .LBB873_699
; %bb.698:
	v_and_b32_e32 v14, 7, v10
	v_ffbh_u32_e32 v11, v14
	v_min_u32_e32 v16, 32, v11
	v_subrev_u32_e32 v11, 28, v16
	v_lshlrev_b64 v[10:11], v11, v[10:11]
	v_lshrrev_b32_e32 v15, 3, v13
	v_sub_u32_e32 v11, 29, v16
	v_and_b32_e32 v10, 7, v10
	v_cmp_gt_u32_e32 vcc, 8, v13
	v_cndmask_b32_e32 v11, v15, v11, vcc
	v_cndmask_b32_e32 v10, v14, v10, vcc
	v_lshlrev_b32_e32 v13, 16, v2
	v_bfrev_b32_e32 v14, 60
	v_lshlrev_b32_e32 v10, 20, v10
	v_and_b32_e32 v13, 0x80000000, v13
	v_lshl_add_u32 v11, v11, 23, v14
	v_or3_b32 v10, v13, v11, v10
	v_lshrrev_b32_e32 v11, 16, v10
.LBB873_699:
	s_or_b64 exec, exec, s[10:11]
.LBB873_700:
	s_or_b64 exec, exec, s[8:9]
.LBB873_701:
	s_or_b64 exec, exec, s[2:3]
	s_movk_i32 s2, 0xff
	v_and_b32_sdwa v15, v2, s2 dst_sel:DWORD dst_unused:UNUSED_PAD src0_sel:WORD_1 src1_sel:DWORD
	v_lshrrev_b32_e32 v10, 16, v2
	v_cmp_ne_u16_e32 vcc, 0, v15
	v_mov_b32_e32 v13, 0
	v_mov_b32_e32 v14, 0
	s_and_saveexec_b64 s[2:3], vcc
	s_cbranch_execz .LBB873_707
; %bb.702:
	s_movk_i32 s7, 0x80
	v_cmp_ne_u16_e32 vcc, s7, v15
	v_mov_b32_e32 v14, 0xffff8000
	s_and_saveexec_b64 s[8:9], vcc
	s_cbranch_execz .LBB873_706
; %bb.703:
	v_bfe_u32 v15, v2, 16, 7
	s_movk_i32 s7, 0x7f
	v_cmp_ne_u32_e32 vcc, s7, v15
	v_mov_b32_e32 v14, 0x7f80
	s_and_saveexec_b64 s[10:11], vcc
	s_cbranch_execz .LBB873_705
; %bb.704:
	v_and_b32_e32 v14, 7, v10
	v_ffbh_u32_e32 v16, v14
	v_min_u32_e32 v19, 32, v16
	v_subrev_u32_e32 v16, 28, v19
	v_lshlrev_b64 v[16:17], v16, v[10:11]
	v_lshrrev_b32_e32 v18, 3, v15
	v_sub_u32_e32 v10, 29, v19
	v_and_b32_e32 v16, 7, v16
	v_cmp_gt_u32_e32 vcc, 8, v15
	v_mov_b32_e32 v15, 24
	v_cndmask_b32_e32 v10, v18, v10, vcc
	v_cndmask_b32_e32 v14, v14, v16, vcc
	v_lshlrev_b32_sdwa v15, v15, v2 dst_sel:DWORD dst_unused:UNUSED_PAD src0_sel:DWORD src1_sel:WORD_1
	v_bfrev_b32_e32 v16, 60
	v_lshlrev_b32_e32 v14, 20, v14
	v_and_b32_e32 v15, 0x80000000, v15
	v_lshl_add_u32 v10, v10, 23, v16
	v_or3_b32 v10, v15, v10, v14
	v_lshrrev_b32_e32 v14, 16, v10
.LBB873_705:
	s_or_b64 exec, exec, s[10:11]
.LBB873_706:
	s_or_b64 exec, exec, s[8:9]
.LBB873_707:
	s_or_b64 exec, exec, s[2:3]
	s_mov_b32 s2, 0xffffff
	v_cmp_lt_u32_e32 vcc, s2, v2
	s_and_saveexec_b64 s[2:3], vcc
	s_cbranch_execz .LBB873_713
; %bb.708:
	v_lshrrev_b32_e32 v10, 24, v2
	s_movk_i32 s7, 0x80
	v_cmp_ne_u32_e32 vcc, s7, v10
	v_mov_b32_e32 v13, 0xffff8000
	s_and_saveexec_b64 s[8:9], vcc
	s_cbranch_execz .LBB873_712
; %bb.709:
	v_bfe_u32 v2, v2, 24, 7
	s_movk_i32 s7, 0x7f
	v_cmp_ne_u32_e32 vcc, s7, v2
	v_mov_b32_e32 v13, 0x7f80
	s_and_saveexec_b64 s[10:11], vcc
	s_cbranch_execz .LBB873_711
; %bb.710:
	v_and_b32_e32 v13, 7, v10
	v_ffbh_u32_e32 v16, v13
	v_min_u32_e32 v18, 32, v16
	v_subrev_u32_e32 v16, 28, v18
	v_lshlrev_b64 v[16:17], v16, v[10:11]
	v_lshrrev_b32_e32 v15, 3, v2
	v_sub_u32_e32 v17, 29, v18
	v_and_b32_e32 v16, 7, v16
	v_cmp_gt_u32_e32 vcc, 8, v2
	v_cndmask_b32_e32 v2, v15, v17, vcc
	v_cndmask_b32_e32 v13, v13, v16, vcc
	v_lshlrev_b32_e32 v10, 24, v10
	v_bfrev_b32_e32 v15, 60
	v_lshlrev_b32_e32 v13, 20, v13
	v_and_b32_e32 v10, 0x80000000, v10
	v_lshl_add_u32 v2, v2, 23, v15
	v_or3_b32 v2, v10, v2, v13
	v_lshrrev_b32_e32 v13, 16, v2
.LBB873_711:
	s_or_b64 exec, exec, s[10:11]
.LBB873_712:
	s_or_b64 exec, exec, s[8:9]
.LBB873_713:
	s_or_b64 exec, exec, s[2:3]
	v_mov_b32_e32 v10, 0
	v_cmp_ne_u16_sdwa s[8:9], v3, v10 src0_sel:BYTE_0 src1_sel:DWORD
	v_mov_b32_e32 v15, 0
	s_and_saveexec_b64 s[2:3], s[8:9]
	s_cbranch_execz .LBB873_719
; %bb.714:
	s_movk_i32 s7, 0x80
	v_cmp_ne_u16_sdwa s[10:11], v3, s7 src0_sel:BYTE_0 src1_sel:DWORD
	v_mov_b32_e32 v15, 0xffff8000
	s_and_saveexec_b64 s[8:9], s[10:11]
	s_cbranch_execz .LBB873_718
; %bb.715:
	s_movk_i32 s7, 0x7f
	v_and_b32_e32 v2, 0x7f, v3
	v_cmp_ne_u32_e32 vcc, s7, v2
	v_mov_b32_e32 v15, 0x7f80
	s_and_saveexec_b64 s[10:11], vcc
	s_cbranch_execz .LBB873_717
; %bb.716:
	v_and_b32_e32 v15, 7, v3
	v_ffbh_u32_e32 v17, v15
	v_min_u32_e32 v19, 32, v17
	v_mov_b32_e32 v16, v3
	v_subrev_u32_e32 v17, 28, v19
	v_lshlrev_b64 v[16:17], v17, v[16:17]
	v_lshrrev_b32_e32 v18, 3, v2
	v_sub_u32_e32 v17, 29, v19
	v_and_b32_e32 v16, 7, v16
	v_cmp_gt_u32_e32 vcc, 8, v2
	v_cndmask_b32_e32 v2, v18, v17, vcc
	v_cndmask_b32_e32 v15, v15, v16, vcc
	v_lshlrev_b32_e32 v16, 24, v3
	v_bfrev_b32_e32 v17, 60
	v_lshlrev_b32_e32 v15, 20, v15
	v_and_b32_e32 v16, 0x80000000, v16
	v_lshl_add_u32 v2, v2, 23, v17
	v_or3_b32 v2, v16, v2, v15
	v_lshrrev_b32_e32 v15, 16, v2
.LBB873_717:
	s_or_b64 exec, exec, s[10:11]
.LBB873_718:
	s_or_b64 exec, exec, s[8:9]
.LBB873_719:
	s_or_b64 exec, exec, s[2:3]
	v_lshrrev_b16_e32 v2, 8, v3
	v_cmp_ne_u16_e32 vcc, 0, v2
	s_and_saveexec_b64 s[2:3], vcc
	s_cbranch_execz .LBB873_725
; %bb.720:
	s_movk_i32 s7, 0x80
	v_cmp_ne_u16_e32 vcc, s7, v2
	v_mov_b32_e32 v10, 0xffff8000
	s_and_saveexec_b64 s[8:9], vcc
	s_cbranch_execz .LBB873_724
; %bb.721:
	s_movk_i32 s7, 0x7f
	v_and_b32_e32 v16, 0x7f, v2
	v_cmp_ne_u32_e32 vcc, s7, v16
	v_mov_b32_e32 v10, 0x7f80
	s_and_saveexec_b64 s[10:11], vcc
	s_cbranch_execz .LBB873_723
; %bb.722:
	v_and_b32_e32 v10, 7, v2
	v_ffbh_u32_e32 v18, v10
	v_min_u32_e32 v20, 32, v18
	v_subrev_u32_e32 v18, 28, v20
	v_lshlrev_b64 v[18:19], v18, v[2:3]
	v_lshrrev_b32_e32 v17, 3, v16
	v_sub_u32_e32 v2, 29, v20
	v_and_b32_e32 v18, 7, v18
	v_cmp_gt_u32_e32 vcc, 8, v16
	v_cndmask_b32_e32 v2, v17, v2, vcc
	v_cndmask_b32_e32 v10, v10, v18, vcc
	v_lshlrev_b32_e32 v16, 16, v3
	v_bfrev_b32_e32 v17, 60
	v_lshlrev_b32_e32 v10, 20, v10
	v_and_b32_e32 v16, 0x80000000, v16
	v_lshl_add_u32 v2, v2, 23, v17
	v_or3_b32 v2, v16, v2, v10
	v_lshrrev_b32_e32 v10, 16, v2
.LBB873_723:
	s_or_b64 exec, exec, s[10:11]
.LBB873_724:
	s_or_b64 exec, exec, s[8:9]
.LBB873_725:
	s_or_b64 exec, exec, s[2:3]
	s_movk_i32 s2, 0xff
	v_and_b32_sdwa v18, v3, s2 dst_sel:DWORD dst_unused:UNUSED_PAD src0_sel:WORD_1 src1_sel:DWORD
	v_lshrrev_b32_e32 v2, 16, v3
	v_cmp_ne_u16_e32 vcc, 0, v18
	v_mov_b32_e32 v16, 0
	v_mov_b32_e32 v17, 0
	s_and_saveexec_b64 s[2:3], vcc
	s_cbranch_execz .LBB873_731
; %bb.726:
	s_movk_i32 s7, 0x80
	v_cmp_ne_u16_e32 vcc, s7, v18
	v_mov_b32_e32 v17, 0xffff8000
	s_and_saveexec_b64 s[8:9], vcc
	s_cbranch_execz .LBB873_730
; %bb.727:
	v_bfe_u32 v18, v3, 16, 7
	s_movk_i32 s7, 0x7f
	v_cmp_ne_u32_e32 vcc, s7, v18
	v_mov_b32_e32 v17, 0x7f80
	s_and_saveexec_b64 s[10:11], vcc
	s_cbranch_execz .LBB873_729
; %bb.728:
	v_and_b32_e32 v17, 7, v2
	v_ffbh_u32_e32 v20, v17
	v_min_u32_e32 v23, 32, v20
	v_subrev_u32_e32 v20, 28, v23
	v_lshlrev_b64 v[20:21], v20, v[2:3]
	v_lshrrev_b32_e32 v19, 3, v18
	v_sub_u32_e32 v2, 29, v23
	v_and_b32_e32 v20, 7, v20
	v_cmp_gt_u32_e32 vcc, 8, v18
	v_mov_b32_e32 v18, 24
	v_cndmask_b32_e32 v2, v19, v2, vcc
	v_cndmask_b32_e32 v17, v17, v20, vcc
	v_lshlrev_b32_sdwa v18, v18, v3 dst_sel:DWORD dst_unused:UNUSED_PAD src0_sel:DWORD src1_sel:WORD_1
	v_bfrev_b32_e32 v19, 60
	v_lshlrev_b32_e32 v17, 20, v17
	v_and_b32_e32 v18, 0x80000000, v18
	v_lshl_add_u32 v2, v2, 23, v19
	v_or3_b32 v2, v18, v2, v17
	v_lshrrev_b32_e32 v17, 16, v2
.LBB873_729:
	s_or_b64 exec, exec, s[10:11]
.LBB873_730:
	s_or_b64 exec, exec, s[8:9]
.LBB873_731:
	s_or_b64 exec, exec, s[2:3]
	s_mov_b32 s2, 0xffffff
	v_cmp_lt_u32_e32 vcc, s2, v3
	s_and_saveexec_b64 s[2:3], vcc
	s_cbranch_execz .LBB873_737
; %bb.732:
	v_lshrrev_b32_e32 v2, 24, v3
	s_movk_i32 s7, 0x80
	v_cmp_ne_u32_e32 vcc, s7, v2
	v_mov_b32_e32 v16, 0xffff8000
	s_and_saveexec_b64 s[8:9], vcc
	s_cbranch_execz .LBB873_736
; %bb.733:
	v_bfe_u32 v3, v3, 24, 7
	s_movk_i32 s7, 0x7f
	v_cmp_ne_u32_e32 vcc, s7, v3
	v_mov_b32_e32 v16, 0x7f80
	s_and_saveexec_b64 s[10:11], vcc
	s_cbranch_execz .LBB873_735
; %bb.734:
	v_and_b32_e32 v16, 7, v2
	v_ffbh_u32_e32 v18, v16
	v_min_u32_e32 v21, 32, v18
	v_subrev_u32_e32 v18, 28, v21
	v_lshlrev_b64 v[18:19], v18, v[2:3]
	v_lshrrev_b32_e32 v20, 3, v3
	v_sub_u32_e32 v19, 29, v21
	v_and_b32_e32 v18, 7, v18
	v_cmp_gt_u32_e32 vcc, 8, v3
	v_cndmask_b32_e32 v3, v20, v19, vcc
	v_cndmask_b32_e32 v16, v16, v18, vcc
	v_lshlrev_b32_e32 v2, 24, v2
	v_bfrev_b32_e32 v18, 60
	v_lshlrev_b32_e32 v16, 20, v16
	v_and_b32_e32 v2, 0x80000000, v2
	v_lshl_add_u32 v3, v3, 23, v18
	v_or3_b32 v2, v2, v3, v16
	v_lshrrev_b32_e32 v16, 16, v2
.LBB873_735:
	s_or_b64 exec, exec, s[10:11]
.LBB873_736:
	s_or_b64 exec, exec, s[8:9]
.LBB873_737:
	s_or_b64 exec, exec, s[2:3]
	s_mov_b32 s2, 0x5040100
	v_perm_b32 v3, v13, v14, s2
	v_perm_b32 v2, v11, v12, s2
	ds_read_b128 v[18:21], v22 offset:6144
	v_perm_b32 v13, v16, v17, s2
	v_perm_b32 v12, v10, v15, s2
	s_waitcnt lgkmcnt(0)
	v_mfma_f32_16x16x16bf16_1k v[6:9], v[2:3], v[18:19], v[6:9]
	v_mov_b32_e32 v3, 0
	v_cmp_ne_u16_sdwa s[8:9], v4, v3 src0_sel:BYTE_0 src1_sel:DWORD
	v_mov_b32_e32 v10, 0
	v_mfma_f32_16x16x16bf16_1k v[6:9], v[12:13], v[20:21], v[6:9]
	s_and_saveexec_b64 s[2:3], s[8:9]
	s_cbranch_execz .LBB873_743
; %bb.738:
	s_movk_i32 s7, 0x80
	v_cmp_ne_u16_sdwa s[10:11], v4, s7 src0_sel:BYTE_0 src1_sel:DWORD
	v_mov_b32_e32 v10, 0xffff8000
	s_and_saveexec_b64 s[8:9], s[10:11]
	s_cbranch_execz .LBB873_742
; %bb.739:
	s_movk_i32 s7, 0x7f
	v_and_b32_e32 v2, 0x7f, v4
	v_cmp_ne_u32_e32 vcc, s7, v2
	v_mov_b32_e32 v10, 0x7f80
	s_and_saveexec_b64 s[10:11], vcc
	s_cbranch_execz .LBB873_741
; %bb.740:
	v_and_b32_e32 v12, 7, v4
	v_ffbh_u32_e32 v10, v12
	v_min_u32_e32 v14, 32, v10
	v_subrev_u32_e32 v10, 28, v14
	v_lshlrev_b64 v[10:11], v10, v[4:5]
	v_lshrrev_b32_e32 v13, 3, v2
	v_sub_u32_e32 v11, 29, v14
	v_and_b32_e32 v10, 7, v10
	v_cmp_gt_u32_e32 vcc, 8, v2
	v_cndmask_b32_e32 v2, v13, v11, vcc
	v_cndmask_b32_e32 v10, v12, v10, vcc
	v_lshlrev_b32_e32 v11, 24, v4
	v_bfrev_b32_e32 v12, 60
	v_lshlrev_b32_e32 v10, 20, v10
	v_and_b32_e32 v11, 0x80000000, v11
	v_lshl_add_u32 v2, v2, 23, v12
	v_or3_b32 v2, v11, v2, v10
	v_lshrrev_b32_e32 v10, 16, v2
.LBB873_741:
	s_or_b64 exec, exec, s[10:11]
.LBB873_742:
	s_or_b64 exec, exec, s[8:9]
.LBB873_743:
	s_or_b64 exec, exec, s[2:3]
	v_lshrrev_b16_e32 v2, 8, v4
	v_cmp_ne_u16_e32 vcc, 0, v2
	s_and_saveexec_b64 s[2:3], vcc
	s_cbranch_execz .LBB873_749
; %bb.744:
	s_movk_i32 s7, 0x80
	v_cmp_ne_u16_e32 vcc, s7, v2
	v_mov_b32_e32 v3, 0xffff8000
	s_and_saveexec_b64 s[8:9], vcc
	s_cbranch_execz .LBB873_748
; %bb.745:
	s_movk_i32 s7, 0x7f
	v_and_b32_e32 v11, 0x7f, v2
	v_cmp_ne_u32_e32 vcc, s7, v11
	v_mov_b32_e32 v3, 0x7f80
	s_and_saveexec_b64 s[10:11], vcc
	s_cbranch_execz .LBB873_747
; %bb.746:
	v_and_b32_e32 v12, 7, v2
	v_ffbh_u32_e32 v3, v12
	v_min_u32_e32 v14, 32, v3
	v_subrev_u32_e32 v3, 28, v14
	v_lshlrev_b64 v[2:3], v3, v[2:3]
	v_lshrrev_b32_e32 v13, 3, v11
	v_sub_u32_e32 v3, 29, v14
	v_and_b32_e32 v2, 7, v2
	v_cmp_gt_u32_e32 vcc, 8, v11
	v_cndmask_b32_e32 v3, v13, v3, vcc
	v_cndmask_b32_e32 v2, v12, v2, vcc
	v_lshlrev_b32_e32 v11, 16, v4
	v_bfrev_b32_e32 v12, 60
	v_lshlrev_b32_e32 v2, 20, v2
	v_and_b32_e32 v11, 0x80000000, v11
	v_lshl_add_u32 v3, v3, 23, v12
	v_or3_b32 v2, v11, v3, v2
	v_lshrrev_b32_e32 v3, 16, v2
.LBB873_747:
	s_or_b64 exec, exec, s[10:11]
.LBB873_748:
	s_or_b64 exec, exec, s[8:9]
.LBB873_749:
	s_or_b64 exec, exec, s[2:3]
	s_movk_i32 s2, 0xff
	v_and_b32_sdwa v13, v4, s2 dst_sel:DWORD dst_unused:UNUSED_PAD src0_sel:WORD_1 src1_sel:DWORD
	v_lshrrev_b32_e32 v2, 16, v4
	v_cmp_ne_u16_e32 vcc, 0, v13
	v_mov_b32_e32 v11, 0
	v_mov_b32_e32 v12, 0
	s_and_saveexec_b64 s[2:3], vcc
	s_cbranch_execz .LBB873_755
; %bb.750:
	s_movk_i32 s7, 0x80
	v_cmp_ne_u16_e32 vcc, s7, v13
	v_mov_b32_e32 v12, 0xffff8000
	s_and_saveexec_b64 s[8:9], vcc
	s_cbranch_execz .LBB873_754
; %bb.751:
	v_bfe_u32 v13, v4, 16, 7
	s_movk_i32 s7, 0x7f
	v_cmp_ne_u32_e32 vcc, s7, v13
	v_mov_b32_e32 v12, 0x7f80
	s_and_saveexec_b64 s[10:11], vcc
	s_cbranch_execz .LBB873_753
; %bb.752:
	v_and_b32_e32 v12, 7, v2
	v_ffbh_u32_e32 v14, v12
	v_min_u32_e32 v17, 32, v14
	v_subrev_u32_e32 v14, 28, v17
	v_lshlrev_b64 v[14:15], v14, v[2:3]
	v_lshrrev_b32_e32 v16, 3, v13
	v_sub_u32_e32 v2, 29, v17
	v_and_b32_e32 v14, 7, v14
	v_cmp_gt_u32_e32 vcc, 8, v13
	v_mov_b32_e32 v13, 24
	v_cndmask_b32_e32 v2, v16, v2, vcc
	v_cndmask_b32_e32 v12, v12, v14, vcc
	v_lshlrev_b32_sdwa v13, v13, v4 dst_sel:DWORD dst_unused:UNUSED_PAD src0_sel:DWORD src1_sel:WORD_1
	v_bfrev_b32_e32 v14, 60
	v_lshlrev_b32_e32 v12, 20, v12
	v_and_b32_e32 v13, 0x80000000, v13
	v_lshl_add_u32 v2, v2, 23, v14
	v_or3_b32 v2, v13, v2, v12
	v_lshrrev_b32_e32 v12, 16, v2
.LBB873_753:
	s_or_b64 exec, exec, s[10:11]
.LBB873_754:
	s_or_b64 exec, exec, s[8:9]
.LBB873_755:
	s_or_b64 exec, exec, s[2:3]
	s_mov_b32 s2, 0xffffff
	v_cmp_lt_u32_e32 vcc, s2, v4
	s_and_saveexec_b64 s[2:3], vcc
	s_cbranch_execz .LBB873_761
; %bb.756:
	v_lshrrev_b32_e32 v2, 24, v4
	s_movk_i32 s7, 0x80
	v_cmp_ne_u32_e32 vcc, s7, v2
	v_mov_b32_e32 v11, 0xffff8000
	s_and_saveexec_b64 s[8:9], vcc
	s_cbranch_execz .LBB873_760
; %bb.757:
	v_bfe_u32 v4, v4, 24, 7
	s_movk_i32 s7, 0x7f
	v_cmp_ne_u32_e32 vcc, s7, v4
	v_mov_b32_e32 v11, 0x7f80
	s_and_saveexec_b64 s[10:11], vcc
	s_cbranch_execz .LBB873_759
; %bb.758:
	v_and_b32_e32 v11, 7, v2
	v_ffbh_u32_e32 v14, v11
	v_min_u32_e32 v16, 32, v14
	v_subrev_u32_e32 v14, 28, v16
	v_lshlrev_b64 v[14:15], v14, v[2:3]
	v_lshrrev_b32_e32 v13, 3, v4
	v_sub_u32_e32 v15, 29, v16
	v_and_b32_e32 v14, 7, v14
	v_cmp_gt_u32_e32 vcc, 8, v4
	v_cndmask_b32_e32 v4, v13, v15, vcc
	v_cndmask_b32_e32 v11, v11, v14, vcc
	v_lshlrev_b32_e32 v2, 24, v2
	v_bfrev_b32_e32 v13, 60
	v_lshlrev_b32_e32 v11, 20, v11
	v_and_b32_e32 v2, 0x80000000, v2
	v_lshl_add_u32 v4, v4, 23, v13
	v_or3_b32 v2, v2, v4, v11
	v_lshrrev_b32_e32 v11, 16, v2
.LBB873_759:
	s_or_b64 exec, exec, s[10:11]
.LBB873_760:
	s_or_b64 exec, exec, s[8:9]
.LBB873_761:
	s_or_b64 exec, exec, s[2:3]
	v_mov_b32_e32 v4, 0
	v_cmp_ne_u16_sdwa s[8:9], v5, v4 src0_sel:BYTE_0 src1_sel:DWORD
	v_mov_b32_e32 v13, 0
	s_and_saveexec_b64 s[2:3], s[8:9]
	s_cbranch_execz .LBB873_767
; %bb.762:
	s_movk_i32 s7, 0x80
	v_cmp_ne_u16_sdwa s[10:11], v5, s7 src0_sel:BYTE_0 src1_sel:DWORD
	v_mov_b32_e32 v13, 0xffff8000
	s_and_saveexec_b64 s[8:9], s[10:11]
	s_cbranch_execz .LBB873_766
; %bb.763:
	s_movk_i32 s7, 0x7f
	v_and_b32_e32 v2, 0x7f, v5
	v_cmp_ne_u32_e32 vcc, s7, v2
	v_mov_b32_e32 v13, 0x7f80
	s_and_saveexec_b64 s[10:11], vcc
	s_cbranch_execz .LBB873_765
; %bb.764:
	v_and_b32_e32 v13, 7, v5
	v_ffbh_u32_e32 v15, v13
	v_min_u32_e32 v17, 32, v15
	v_mov_b32_e32 v14, v5
	v_subrev_u32_e32 v15, 28, v17
	v_lshlrev_b64 v[14:15], v15, v[14:15]
	v_lshrrev_b32_e32 v16, 3, v2
	v_sub_u32_e32 v15, 29, v17
	v_and_b32_e32 v14, 7, v14
	v_cmp_gt_u32_e32 vcc, 8, v2
	v_cndmask_b32_e32 v2, v16, v15, vcc
	v_cndmask_b32_e32 v13, v13, v14, vcc
	v_lshlrev_b32_e32 v14, 24, v5
	v_bfrev_b32_e32 v15, 60
	v_lshlrev_b32_e32 v13, 20, v13
	v_and_b32_e32 v14, 0x80000000, v14
	v_lshl_add_u32 v2, v2, 23, v15
	v_or3_b32 v2, v14, v2, v13
	v_lshrrev_b32_e32 v13, 16, v2
.LBB873_765:
	s_or_b64 exec, exec, s[10:11]
.LBB873_766:
	s_or_b64 exec, exec, s[8:9]
.LBB873_767:
	s_or_b64 exec, exec, s[2:3]
	v_lshrrev_b16_e32 v2, 8, v5
	v_cmp_ne_u16_e32 vcc, 0, v2
	s_and_saveexec_b64 s[2:3], vcc
	s_cbranch_execz .LBB873_773
; %bb.768:
	s_movk_i32 s7, 0x80
	v_cmp_ne_u16_e32 vcc, s7, v2
	v_mov_b32_e32 v4, 0xffff8000
	s_and_saveexec_b64 s[8:9], vcc
	s_cbranch_execz .LBB873_772
; %bb.769:
	s_movk_i32 s7, 0x7f
	v_and_b32_e32 v14, 0x7f, v2
	v_cmp_ne_u32_e32 vcc, s7, v14
	v_mov_b32_e32 v4, 0x7f80
	s_and_saveexec_b64 s[10:11], vcc
	s_cbranch_execz .LBB873_771
; %bb.770:
	v_and_b32_e32 v4, 7, v2
	v_ffbh_u32_e32 v16, v4
	v_min_u32_e32 v18, 32, v16
	v_subrev_u32_e32 v16, 28, v18
	v_lshlrev_b64 v[16:17], v16, v[2:3]
	v_lshrrev_b32_e32 v15, 3, v14
	v_sub_u32_e32 v2, 29, v18
	v_and_b32_e32 v16, 7, v16
	v_cmp_gt_u32_e32 vcc, 8, v14
	v_cndmask_b32_e32 v2, v15, v2, vcc
	v_cndmask_b32_e32 v4, v4, v16, vcc
	v_lshlrev_b32_e32 v14, 16, v5
	v_bfrev_b32_e32 v15, 60
	v_lshlrev_b32_e32 v4, 20, v4
	v_and_b32_e32 v14, 0x80000000, v14
	v_lshl_add_u32 v2, v2, 23, v15
	v_or3_b32 v2, v14, v2, v4
	v_lshrrev_b32_e32 v4, 16, v2
.LBB873_771:
	s_or_b64 exec, exec, s[10:11]
.LBB873_772:
	s_or_b64 exec, exec, s[8:9]
.LBB873_773:
	s_or_b64 exec, exec, s[2:3]
	s_movk_i32 s2, 0xff
	v_and_b32_sdwa v16, v5, s2 dst_sel:DWORD dst_unused:UNUSED_PAD src0_sel:WORD_1 src1_sel:DWORD
	v_lshrrev_b32_e32 v2, 16, v5
	v_cmp_ne_u16_e32 vcc, 0, v16
	v_mov_b32_e32 v14, 0
	v_mov_b32_e32 v15, 0
	s_and_saveexec_b64 s[2:3], vcc
	s_cbranch_execz .LBB873_779
; %bb.774:
	s_movk_i32 s7, 0x80
	v_cmp_ne_u16_e32 vcc, s7, v16
	v_mov_b32_e32 v15, 0xffff8000
	s_and_saveexec_b64 s[8:9], vcc
	s_cbranch_execz .LBB873_778
; %bb.775:
	v_bfe_u32 v16, v5, 16, 7
	s_movk_i32 s7, 0x7f
	v_cmp_ne_u32_e32 vcc, s7, v16
	v_mov_b32_e32 v15, 0x7f80
	s_and_saveexec_b64 s[10:11], vcc
	s_cbranch_execz .LBB873_777
; %bb.776:
	v_and_b32_e32 v15, 7, v2
	v_ffbh_u32_e32 v18, v15
	v_min_u32_e32 v20, 32, v18
	v_subrev_u32_e32 v18, 28, v20
	v_lshlrev_b64 v[18:19], v18, v[2:3]
	v_lshrrev_b32_e32 v17, 3, v16
	v_sub_u32_e32 v2, 29, v20
	v_and_b32_e32 v18, 7, v18
	v_cmp_gt_u32_e32 vcc, 8, v16
	v_mov_b32_e32 v16, 24
	v_cndmask_b32_e32 v2, v17, v2, vcc
	v_cndmask_b32_e32 v15, v15, v18, vcc
	v_lshlrev_b32_sdwa v16, v16, v5 dst_sel:DWORD dst_unused:UNUSED_PAD src0_sel:DWORD src1_sel:WORD_1
	v_bfrev_b32_e32 v17, 60
	v_lshlrev_b32_e32 v15, 20, v15
	v_and_b32_e32 v16, 0x80000000, v16
	v_lshl_add_u32 v2, v2, 23, v17
	v_or3_b32 v2, v16, v2, v15
	v_lshrrev_b32_e32 v15, 16, v2
.LBB873_777:
	s_or_b64 exec, exec, s[10:11]
.LBB873_778:
	s_or_b64 exec, exec, s[8:9]
.LBB873_779:
	s_or_b64 exec, exec, s[2:3]
	s_mov_b32 s2, 0xffffff
	v_cmp_lt_u32_e32 vcc, s2, v5
	s_and_saveexec_b64 s[2:3], vcc
	s_cbranch_execz .LBB873_785
; %bb.780:
	v_lshrrev_b32_e32 v2, 24, v5
	s_movk_i32 s7, 0x80
	v_cmp_ne_u32_e32 vcc, s7, v2
	v_mov_b32_e32 v14, 0xffff8000
	s_and_saveexec_b64 s[8:9], vcc
	s_cbranch_execz .LBB873_784
; %bb.781:
	v_bfe_u32 v5, v5, 24, 7
	s_movk_i32 s7, 0x7f
	v_cmp_ne_u32_e32 vcc, s7, v5
	v_mov_b32_e32 v14, 0x7f80
	s_and_saveexec_b64 s[10:11], vcc
	s_cbranch_execz .LBB873_783
; %bb.782:
	v_and_b32_e32 v14, 7, v2
	v_ffbh_u32_e32 v16, v14
	v_min_u32_e32 v19, 32, v16
	v_subrev_u32_e32 v16, 28, v19
	v_lshlrev_b64 v[16:17], v16, v[2:3]
	v_lshrrev_b32_e32 v18, 3, v5
	v_sub_u32_e32 v17, 29, v19
	v_and_b32_e32 v16, 7, v16
	v_cmp_gt_u32_e32 vcc, 8, v5
	v_cndmask_b32_e32 v5, v18, v17, vcc
	v_cndmask_b32_e32 v14, v14, v16, vcc
	v_lshlrev_b32_e32 v2, 24, v2
	v_bfrev_b32_e32 v16, 60
	v_lshlrev_b32_e32 v14, 20, v14
	v_and_b32_e32 v2, 0x80000000, v2
	v_lshl_add_u32 v5, v5, 23, v16
	v_or3_b32 v2, v2, v5, v14
	v_lshrrev_b32_e32 v14, 16, v2
.LBB873_783:
	s_or_b64 exec, exec, s[10:11]
.LBB873_784:
	s_or_b64 exec, exec, s[8:9]
.LBB873_785:
	s_or_b64 exec, exec, s[2:3]
	s_mov_b32 s3, 0x5040100
	v_perm_b32 v11, v11, v12, s3
	ds_read_b128 v[16:19], v22 offset:6160
	v_perm_b32 v10, v3, v10, s3
	v_perm_b32 v3, v14, v15, s3
	;; [unrolled: 1-line block ×3, first 2 shown]
	s_waitcnt lgkmcnt(0)
	v_mfma_f32_16x16x16bf16_1k v[6:9], v[10:11], v[16:17], v[6:9]
	s_load_dword s2, s[42:43], 0x0
	s_mov_b32 s3, 0x7060302
	s_movk_i32 s7, 0x7fff
	v_cmp_gt_u32_e32 vcc, 64, v0
	s_and_b64 s[0:1], vcc, s[0:1]
	s_waitcnt lgkmcnt(0)
	s_barrier
	v_mfma_f32_16x16x16bf16_1k v[2:5], v[2:3], v[18:19], v[6:9]
	s_nop 7
	s_nop 2
	v_pk_mul_f32 v[4:5], v[4:5], s[2:3] op_sel_hi:[1,0]
	v_pk_mul_f32 v[2:3], v[2:3], s[2:3] op_sel_hi:[1,0]
	v_bfe_u32 v6, v3, 16, 1
	v_bfe_u32 v7, v2, 16, 1
	;; [unrolled: 1-line block ×4, first 2 shown]
	v_add3_u32 v2, v2, v7, s7
	v_add3_u32 v3, v3, v6, s7
	;; [unrolled: 1-line block ×4, first 2 shown]
	v_perm_b32 v2, v3, v2, s3
	v_perm_b32 v3, v5, v4, s3
	ds_write_b64 v26, v[2:3]
	s_waitcnt lgkmcnt(0)
	s_barrier
	s_and_saveexec_b64 s[2:3], s[0:1]
	s_cbranch_execz .LBB873_787
; %bb.786:
	s_load_dwordx2 s[0:1], s[4:5], 0x68
	s_lshl_b32 s4, s44, 6
	s_mul_i32 s2, s12, s6
	s_mul_hi_u32 s3, s2, s4
	s_mul_i32 s2, s2, s4
	s_lshl_b64 s[2:3], s[2:3], 1
	s_waitcnt lgkmcnt(0)
	s_add_u32 s2, s0, s2
	s_addc_u32 s3, s1, s3
	s_lshl_b32 s0, s24, 6
	s_mov_b32 s1, 0
	v_lshlrev_b32_e32 v0, 10, v0
	s_lshl_b64 s[0:1], s[0:1], 1
	v_and_b32_e32 v0, 0x1800, v0
	v_lshlrev_b32_e32 v2, 5, v1
	v_and_b32_e32 v3, 16, v47
	s_add_u32 s0, s2, s0
	v_or3_b32 v0, v0, v2, v3
	s_addc_u32 s1, s3, s1
	ds_read_b128 v[2:5], v0
	ds_read_b128 v[6:9], v0 offset:128
	ds_read_b128 v[10:13], v0 offset:256
	v_or_b32_e32 v14, s25, v1
	v_mov_b32_e32 v0, s1
	v_add_co_u32_e32 v15, vcc, s0, v46
	v_addc_co_u32_e32 v16, vcc, 0, v0, vcc
	v_mad_u64_u32 v[0:1], s[0:1], v14, s4, 0
	v_lshlrev_b64 v[0:1], 1, v[0:1]
	v_add_co_u32_e32 v0, vcc, v15, v0
	v_addc_co_u32_e32 v1, vcc, v16, v1, vcc
	s_waitcnt lgkmcnt(2)
	global_store_dwordx4 v[0:1], v[2:5], off
	v_add_u32_e32 v0, 4, v14
	v_mad_u64_u32 v[0:1], s[0:1], v0, s4, 0
	v_lshlrev_b64 v[0:1], 1, v[0:1]
	v_add_co_u32_e32 v0, vcc, v15, v0
	v_addc_co_u32_e32 v1, vcc, v16, v1, vcc
	s_waitcnt lgkmcnt(1)
	global_store_dwordx4 v[0:1], v[6:9], off
	v_add_u32_e32 v0, 8, v14
	v_mad_u64_u32 v[0:1], s[0:1], v0, s4, 0
	v_lshlrev_b64 v[0:1], 1, v[0:1]
	v_add_co_u32_e32 v0, vcc, v15, v0
	v_addc_co_u32_e32 v1, vcc, v16, v1, vcc
	s_waitcnt lgkmcnt(0)
	global_store_dwordx4 v[0:1], v[10:13], off
.LBB873_787:
	s_endpgm
	.section	.rodata,"a",@progbits
	.p2align	6, 0x0
	.amdhsa_kernel _Z39paged_attention_ll4mi_QKV_mfma16_kernelI14__hip_bfloat16hLN4vllm18Fp8KVCacheDataTypeE1ES0_Li32ELi64ELi256ELb1ELi12EL8MFMAType0EEvPKT_PKT0_S9_ifPKiSB_SB_iPKfiiiPfSE_PS4_PT2_iSD_SD_
		.amdhsa_group_segment_fixed_size 8192
		.amdhsa_private_segment_fixed_size 0
		.amdhsa_kernarg_size 400
		.amdhsa_user_sgpr_count 6
		.amdhsa_user_sgpr_private_segment_buffer 1
		.amdhsa_user_sgpr_dispatch_ptr 0
		.amdhsa_user_sgpr_queue_ptr 0
		.amdhsa_user_sgpr_kernarg_segment_ptr 1
		.amdhsa_user_sgpr_dispatch_id 0
		.amdhsa_user_sgpr_flat_scratch_init 0
		.amdhsa_user_sgpr_kernarg_preload_length 0
		.amdhsa_user_sgpr_kernarg_preload_offset 0
		.amdhsa_user_sgpr_private_segment_size 0
		.amdhsa_uses_dynamic_stack 0
		.amdhsa_system_sgpr_private_segment_wavefront_offset 0
		.amdhsa_system_sgpr_workgroup_id_x 1
		.amdhsa_system_sgpr_workgroup_id_y 1
		.amdhsa_system_sgpr_workgroup_id_z 1
		.amdhsa_system_sgpr_workgroup_info 0
		.amdhsa_system_vgpr_workitem_id 0
		.amdhsa_next_free_vgpr 63
		.amdhsa_next_free_sgpr 47
		.amdhsa_accum_offset 64
		.amdhsa_reserve_vcc 1
		.amdhsa_reserve_flat_scratch 0
		.amdhsa_float_round_mode_32 0
		.amdhsa_float_round_mode_16_64 0
		.amdhsa_float_denorm_mode_32 3
		.amdhsa_float_denorm_mode_16_64 3
		.amdhsa_dx10_clamp 1
		.amdhsa_ieee_mode 1
		.amdhsa_fp16_overflow 0
		.amdhsa_tg_split 0
		.amdhsa_exception_fp_ieee_invalid_op 0
		.amdhsa_exception_fp_denorm_src 0
		.amdhsa_exception_fp_ieee_div_zero 0
		.amdhsa_exception_fp_ieee_overflow 0
		.amdhsa_exception_fp_ieee_underflow 0
		.amdhsa_exception_fp_ieee_inexact 0
		.amdhsa_exception_int_div_zero 0
	.end_amdhsa_kernel
	.section	.text._Z39paged_attention_ll4mi_QKV_mfma16_kernelI14__hip_bfloat16hLN4vllm18Fp8KVCacheDataTypeE1ES0_Li32ELi64ELi256ELb1ELi12EL8MFMAType0EEvPKT_PKT0_S9_ifPKiSB_SB_iPKfiiiPfSE_PS4_PT2_iSD_SD_,"axG",@progbits,_Z39paged_attention_ll4mi_QKV_mfma16_kernelI14__hip_bfloat16hLN4vllm18Fp8KVCacheDataTypeE1ES0_Li32ELi64ELi256ELb1ELi12EL8MFMAType0EEvPKT_PKT0_S9_ifPKiSB_SB_iPKfiiiPfSE_PS4_PT2_iSD_SD_,comdat
.Lfunc_end873:
	.size	_Z39paged_attention_ll4mi_QKV_mfma16_kernelI14__hip_bfloat16hLN4vllm18Fp8KVCacheDataTypeE1ES0_Li32ELi64ELi256ELb1ELi12EL8MFMAType0EEvPKT_PKT0_S9_ifPKiSB_SB_iPKfiiiPfSE_PS4_PT2_iSD_SD_, .Lfunc_end873-_Z39paged_attention_ll4mi_QKV_mfma16_kernelI14__hip_bfloat16hLN4vllm18Fp8KVCacheDataTypeE1ES0_Li32ELi64ELi256ELb1ELi12EL8MFMAType0EEvPKT_PKT0_S9_ifPKiSB_SB_iPKfiiiPfSE_PS4_PT2_iSD_SD_
                                        ; -- End function
	.section	.AMDGPU.csdata,"",@progbits
; Kernel info:
; codeLenInByte = 28736
; NumSgprs: 51
; NumVgprs: 63
; NumAgprs: 0
; TotalNumVgprs: 63
; ScratchSize: 0
; MemoryBound: 0
; FloatMode: 240
; IeeeMode: 1
; LDSByteSize: 8192 bytes/workgroup (compile time only)
; SGPRBlocks: 6
; VGPRBlocks: 7
; NumSGPRsForWavesPerEU: 51
; NumVGPRsForWavesPerEU: 63
; AccumOffset: 64
; Occupancy: 8
; WaveLimiterHint : 1
; COMPUTE_PGM_RSRC2:SCRATCH_EN: 0
; COMPUTE_PGM_RSRC2:USER_SGPR: 6
; COMPUTE_PGM_RSRC2:TRAP_HANDLER: 0
; COMPUTE_PGM_RSRC2:TGID_X_EN: 1
; COMPUTE_PGM_RSRC2:TGID_Y_EN: 1
; COMPUTE_PGM_RSRC2:TGID_Z_EN: 1
; COMPUTE_PGM_RSRC2:TIDIG_COMP_CNT: 0
; COMPUTE_PGM_RSRC3_GFX90A:ACCUM_OFFSET: 15
; COMPUTE_PGM_RSRC3_GFX90A:TG_SPLIT: 0
	.section	.text._Z39paged_attention_ll4mi_QKV_mfma16_kernelI14__hip_bfloat16hLN4vllm18Fp8KVCacheDataTypeE1ES0_Li32ELi64ELi256ELb1ELi13EL8MFMAType0EEvPKT_PKT0_S9_ifPKiSB_SB_iPKfiiiPfSE_PS4_PT2_iSD_SD_,"axG",@progbits,_Z39paged_attention_ll4mi_QKV_mfma16_kernelI14__hip_bfloat16hLN4vllm18Fp8KVCacheDataTypeE1ES0_Li32ELi64ELi256ELb1ELi13EL8MFMAType0EEvPKT_PKT0_S9_ifPKiSB_SB_iPKfiiiPfSE_PS4_PT2_iSD_SD_,comdat
	.protected	_Z39paged_attention_ll4mi_QKV_mfma16_kernelI14__hip_bfloat16hLN4vllm18Fp8KVCacheDataTypeE1ES0_Li32ELi64ELi256ELb1ELi13EL8MFMAType0EEvPKT_PKT0_S9_ifPKiSB_SB_iPKfiiiPfSE_PS4_PT2_iSD_SD_ ; -- Begin function _Z39paged_attention_ll4mi_QKV_mfma16_kernelI14__hip_bfloat16hLN4vllm18Fp8KVCacheDataTypeE1ES0_Li32ELi64ELi256ELb1ELi13EL8MFMAType0EEvPKT_PKT0_S9_ifPKiSB_SB_iPKfiiiPfSE_PS4_PT2_iSD_SD_
	.globl	_Z39paged_attention_ll4mi_QKV_mfma16_kernelI14__hip_bfloat16hLN4vllm18Fp8KVCacheDataTypeE1ES0_Li32ELi64ELi256ELb1ELi13EL8MFMAType0EEvPKT_PKT0_S9_ifPKiSB_SB_iPKfiiiPfSE_PS4_PT2_iSD_SD_
	.p2align	8
	.type	_Z39paged_attention_ll4mi_QKV_mfma16_kernelI14__hip_bfloat16hLN4vllm18Fp8KVCacheDataTypeE1ES0_Li32ELi64ELi256ELb1ELi13EL8MFMAType0EEvPKT_PKT0_S9_ifPKiSB_SB_iPKfiiiPfSE_PS4_PT2_iSD_SD_,@function
_Z39paged_attention_ll4mi_QKV_mfma16_kernelI14__hip_bfloat16hLN4vllm18Fp8KVCacheDataTypeE1ES0_Li32ELi64ELi256ELb1ELi13EL8MFMAType0EEvPKT_PKT0_S9_ifPKiSB_SB_iPKfiiiPfSE_PS4_PT2_iSD_SD_: ; @_Z39paged_attention_ll4mi_QKV_mfma16_kernelI14__hip_bfloat16hLN4vllm18Fp8KVCacheDataTypeE1ES0_Li32ELi64ELi256ELb1ELi13EL8MFMAType0EEvPKT_PKT0_S9_ifPKiSB_SB_iPKfiiiPfSE_PS4_PT2_iSD_SD_
; %bb.0:
	s_load_dwordx2 s[0:1], s[4:5], 0x30
	s_mov_b32 s24, s7
	s_mov_b64 s[10:11], 0
	s_waitcnt lgkmcnt(0)
	s_cmp_lg_u64 s[0:1], 0
	s_cselect_b64 s[2:3], -1, 0
	s_and_b64 vcc, exec, s[2:3]
	s_cbranch_vccz .LBB874_7
; %bb.1:
	s_add_i32 s12, s6, 1
	s_mov_b32 s13, 0
	s_lshl_b64 s[14:15], s[12:13], 2
	s_add_u32 s14, s0, s14
	s_mov_b32 s7, s13
	s_addc_u32 s15, s1, s15
	s_lshl_b64 s[12:13], s[6:7], 2
	s_add_u32 s12, s0, s12
	s_addc_u32 s13, s1, s13
	s_load_dword s9, s[14:15], 0x0
	s_load_dword s16, s[12:13], 0x0
	s_waitcnt lgkmcnt(0)
	s_sub_i32 s9, s9, s16
	s_cmp_eq_u32 s9, 1
	s_cselect_b64 s[12:13], -1, 0
	s_andn2_b64 vcc, exec, s[10:11]
	s_cbranch_vccnz .LBB874_3
.LBB874_2:
	s_mov_b32 s7, 0
	s_mov_b64 s[12:13], -1
.LBB874_3:
	s_andn2_b64 vcc, exec, s[12:13]
	s_cbranch_vccnz .LBB874_788
; %bb.4:
	s_load_dwordx2 s[12:13], s[4:5], 0x28
	s_lshl_b64 s[10:11], s[6:7], 2
	s_waitcnt lgkmcnt(0)
	s_add_u32 s12, s12, s10
	s_addc_u32 s13, s13, s11
	s_load_dword s33, s[12:13], 0x0
	s_lshl_b32 s18, s24, 8
	s_waitcnt lgkmcnt(0)
	s_cmp_ge_i32 s18, s33
	s_cbranch_scc1 .LBB874_788
; %bb.5:
	s_add_i32 s14, s33, 31
	s_load_dwordx2 s[12:13], s[4:5], 0x20
	s_load_dword s9, s[4:5], 0x38
	s_ashr_i32 s15, s14, 31
	v_and_b32_e32 v1, 0xcf, v0
	s_lshr_b32 s15, s15, 27
	v_add_u32_e32 v1, s18, v1
	s_add_i32 s14, s14, s15
	v_ashrrev_i32_e32 v2, 31, v1
	s_ashr_i32 s21, s14, 5
	v_lshrrev_b32_e32 v4, 27, v2
	s_add_i32 s21, s21, -1
	v_add_u32_e32 v2, v1, v4
	s_waitcnt lgkmcnt(0)
	s_mul_i32 s14, s6, s9
	s_mov_b32 s15, 0
	v_ashrrev_i32_e32 v2, 5, v2
	v_mov_b32_e32 v5, s21
	v_cmp_gt_i32_e32 vcc, s33, v1
	s_lshl_b64 s[14:15], s[14:15], 2
	v_cndmask_b32_e32 v2, v5, v2, vcc
	s_add_u32 s19, s12, s14
	v_ashrrev_i32_e32 v3, 31, v2
	s_addc_u32 s20, s13, s15
	v_lshlrev_b64 v[2:3], 2, v[2:3]
	v_mov_b32_e32 v7, s20
	v_add_co_u32_e32 v6, vcc, s19, v2
	v_or_b32_e32 v2, 16, v1
	v_addc_co_u32_e32 v7, vcc, v7, v3, vcc
	v_add_u32_e32 v3, v2, v4
	v_ashrrev_i32_e32 v3, 5, v3
	v_cmp_gt_i32_e32 vcc, s33, v2
	v_cndmask_b32_e32 v2, v5, v3, vcc
	v_ashrrev_i32_e32 v3, 31, v2
	v_lshlrev_b64 v[2:3], 2, v[2:3]
	v_mov_b32_e32 v9, s20
	v_add_co_u32_e32 v8, vcc, s19, v2
	v_or_b32_e32 v2, 32, v1
	v_addc_co_u32_e32 v9, vcc, v9, v3, vcc
	v_add_u32_e32 v3, v2, v4
	v_ashrrev_i32_e32 v3, 5, v3
	v_cmp_gt_i32_e32 vcc, s33, v2
	v_cndmask_b32_e32 v2, v5, v3, vcc
	v_ashrrev_i32_e32 v3, 31, v2
	;; [unrolled: 10-line block ×3, first 2 shown]
	v_lshlrev_b64 v[2:3], 2, v[2:3]
	v_mov_b32_e32 v1, s20
	v_add_co_u32_e32 v12, vcc, s19, v2
	v_addc_co_u32_e32 v13, vcc, v1, v3, vcc
	global_load_dword v5, v[6:7], off
	global_load_dword v4, v[8:9], off
	;; [unrolled: 1-line block ×4, first 2 shown]
	s_load_dwordx2 s[16:17], s[4:5], 0x8
	s_andn2_b64 vcc, exec, s[2:3]
	s_cbranch_vccnz .LBB874_8
; %bb.6:
	s_add_u32 s0, s0, s10
	s_addc_u32 s1, s1, s11
	s_load_dword s9, s[0:1], 0x0
	s_branch .LBB874_9
.LBB874_7:
	s_mov_b64 s[12:13], 0
	s_branch .LBB874_2
.LBB874_8:
	s_mov_b32 s9, s6
.LBB874_9:
	s_load_dwordx2 s[2:3], s[4:5], 0x10
	s_load_dwordx4 s[12:15], s[4:5], 0x48
	v_lshrrev_b32_e32 v50, 6, v0
	v_bfe_u32 v1, v0, 4, 2
	v_lshl_or_b32 v6, v50, 2, v1
	v_and_b32_e32 v49, 15, v0
	v_lshlrev_b32_e32 v7, 3, v49
	v_cmp_gt_u32_e32 vcc, 13, v6
	v_cmp_gt_u32_e64 s[0:1], 8, v49
	s_mul_i32 s25, s8, 13
	s_and_b64 s[22:23], s[0:1], vcc
	v_lshlrev_b32_e32 v46, 1, v7
	v_lshlrev_b32_e32 v47, 4, v0
	s_and_saveexec_b64 s[10:11], s[22:23]
	s_cbranch_execz .LBB874_11
; %bb.10:
	s_load_dwordx2 s[22:23], s[4:5], 0x0
	s_waitcnt lgkmcnt(0)
	s_ashr_i32 s15, s12, 31
	s_mul_hi_u32 s26, s9, s12
	s_mul_i32 s15, s9, s15
	s_add_i32 s27, s26, s15
	s_mul_i32 s26, s9, s12
	s_lshl_b64 s[26:27], s[26:27], 1
	v_add_lshl_u32 v8, v6, s25, 6
	s_add_u32 s9, s22, s26
	v_ashrrev_i32_e32 v9, 31, v8
	s_addc_u32 s12, s23, s27
	v_lshlrev_b64 v[8:9], 1, v[8:9]
	v_mov_b32_e32 v7, s12
	v_add_co_u32_e32 v8, vcc, s9, v8
	v_addc_co_u32_e32 v7, vcc, v7, v9, vcc
	v_add_co_u32_e32 v8, vcc, v8, v46
	v_addc_co_u32_e32 v9, vcc, 0, v7, vcc
	global_load_dwordx4 v[8:11], v[8:9], off
	v_lshlrev_b32_e32 v12, 8, v49
	v_lshlrev_b32_e32 v6, 5, v6
	v_and_b32_e32 v7, 16, v47
	v_and_b32_e32 v12, 0xe00, v12
	v_or3_b32 v6, v12, v6, v7
	s_waitcnt vmcnt(0)
	ds_write_b128 v6, v[8:11]
.LBB874_11:
	s_or_b64 exec, exec, s[10:11]
	s_waitcnt lgkmcnt(0)
	s_mul_i32 s10, s8, s14
	s_add_u32 s8, s16, s10
	s_addc_u32 s9, s17, 0
	v_pk_mov_b32 v[8:9], s[8:9], s[8:9] op_sel:[0,1]
	s_waitcnt vmcnt(3)
	v_mad_i64_i32 v[10:11], s[8:9], v5, s13, v[8:9]
	v_lshlrev_b32_e32 v12, 4, v49
	v_and_b32_e32 v6, 48, v0
	v_add_co_u32_e32 v5, vcc, v10, v12
	v_lshlrev_b32_e32 v7, 5, v6
	v_addc_co_u32_e32 v11, vcc, 0, v11, vcc
	v_add_co_u32_e32 v10, vcc, v5, v7
	v_addc_co_u32_e32 v11, vcc, 0, v11, vcc
	s_waitcnt vmcnt(2)
	v_mad_i64_i32 v[4:5], s[8:9], v4, s13, v[8:9]
	v_or_b32_e32 v13, 0x100, v12
	v_add_co_u32_e32 v4, vcc, v4, v13
	v_addc_co_u32_e32 v5, vcc, 0, v5, vcc
	v_add_co_u32_e32 v4, vcc, v4, v7
	v_addc_co_u32_e32 v5, vcc, 0, v5, vcc
	s_barrier
	global_load_dwordx4 v[34:37], v[10:11], off
	global_load_dwordx4 v[38:41], v[4:5], off
	s_waitcnt vmcnt(3)
	v_mad_i64_i32 v[4:5], s[8:9], v3, s13, v[8:9]
	v_add_co_u32_e32 v3, vcc, v4, v12
	v_addc_co_u32_e32 v5, vcc, 0, v5, vcc
	v_add_co_u32_e32 v4, vcc, v3, v7
	v_addc_co_u32_e32 v5, vcc, 0, v5, vcc
	s_waitcnt vmcnt(2)
	v_mad_i64_i32 v[2:3], s[8:9], v2, s13, v[8:9]
	v_add_co_u32_e32 v2, vcc, v2, v13
	v_addc_co_u32_e32 v3, vcc, 0, v3, vcc
	v_add_co_u32_e32 v2, vcc, v2, v7
	v_addc_co_u32_e32 v3, vcc, 0, v3, vcc
	global_load_dwordx4 v[30:33], v[4:5], off
	global_load_dwordx4 v[22:25], v[2:3], off
	v_add_u32_e32 v2, -13, v49
	v_cmp_gt_u32_e32 vcc, 13, v49
	v_cndmask_b32_e32 v2, v2, v49, vcc
	v_lshlrev_b32_e32 v2, 5, v2
	v_lshl_add_u32 v2, v1, 9, v2
	ds_read_b128 v[26:29], v2
	ds_read_b128 v[18:21], v2 offset:16
	v_mov_b32_e32 v43, 0
	v_mov_b32_e32 v51, 0
	s_and_saveexec_b64 s[8:9], vcc
	s_cbranch_execz .LBB874_13
; %bb.12:
	s_load_dwordx2 s[14:15], s[4:5], 0x40
	v_add_u32_e32 v2, s25, v49
	v_ashrrev_i32_e32 v3, 31, v2
	v_lshlrev_b64 v[2:3], 2, v[2:3]
	s_waitcnt lgkmcnt(0)
	v_mov_b32_e32 v4, s15
	v_add_co_u32_e32 v2, vcc, s14, v2
	v_addc_co_u32_e32 v3, vcc, v4, v3, vcc
	global_load_dword v51, v[2:3], off
.LBB874_13:
	s_or_b64 exec, exec, s[8:9]
	s_ashr_i32 s8, s18, 31
	v_or_b32_e32 v8, s18, v6
	s_lshr_b32 s8, s8, 27
	v_add_u32_e32 v2, s8, v8
	v_ashrrev_i32_e32 v2, 5, v2
	v_mov_b32_e32 v9, s21
	v_cmp_gt_i32_e32 vcc, s33, v8
	v_cndmask_b32_e32 v2, v9, v2, vcc
	v_ashrrev_i32_e32 v3, 31, v2
	v_lshlrev_b64 v[2:3], 2, v[2:3]
	v_mov_b32_e32 v4, s20
	v_add_co_u32_e32 v2, vcc, s19, v2
	v_addc_co_u32_e32 v3, vcc, v4, v3, vcc
	v_or_b32_e32 v4, 64, v8
	v_add_u32_e32 v5, s8, v4
	v_ashrrev_i32_e32 v5, 5, v5
	v_cmp_gt_i32_e32 vcc, s33, v4
	v_cndmask_b32_e32 v4, v9, v5, vcc
	v_ashrrev_i32_e32 v5, 31, v4
	v_lshlrev_b64 v[4:5], 2, v[4:5]
	v_mov_b32_e32 v6, s20
	v_add_co_u32_e32 v4, vcc, s19, v4
	v_addc_co_u32_e32 v5, vcc, v6, v5, vcc
	v_or_b32_e32 v6, 0x80, v8
	v_add_u32_e32 v7, s8, v6
	v_ashrrev_i32_e32 v7, 5, v7
	v_cmp_gt_i32_e32 vcc, s33, v6
	v_cndmask_b32_e32 v6, v9, v7, vcc
	v_ashrrev_i32_e32 v7, 31, v6
	v_lshlrev_b64 v[6:7], 2, v[6:7]
	v_mov_b32_e32 v10, s20
	v_add_co_u32_e32 v6, vcc, s19, v6
	v_addc_co_u32_e32 v7, vcc, v10, v7, vcc
	global_load_dword v10, v[2:3], off
	global_load_dword v11, v[4:5], off
	;; [unrolled: 1-line block ×3, first 2 shown]
	v_or_b32_e32 v2, 0xc0, v8
	v_add_u32_e32 v3, s8, v2
	v_ashrrev_i32_e32 v3, 5, v3
	v_cmp_gt_i32_e32 vcc, s33, v2
	v_cndmask_b32_e32 v2, v9, v3, vcc
	v_ashrrev_i32_e32 v3, 31, v2
	v_lshlrev_b64 v[2:3], 2, v[2:3]
	v_mov_b32_e32 v4, s20
	v_add_co_u32_e32 v2, vcc, s19, v2
	v_addc_co_u32_e32 v3, vcc, v4, v3, vcc
	global_load_dword v13, v[2:3], off
	s_add_u32 s2, s2, s10
	v_and_b32_e32 v2, 16, v0
	s_addc_u32 s3, s3, 0
	v_lshlrev_b32_e32 v48, 5, v49
	v_mov_b32_e32 v4, s3
	v_add_co_u32_e32 v2, vcc, s2, v2
	v_lshl_or_b32 v3, v50, 9, v48
	v_addc_co_u32_e32 v4, vcc, 0, v4, vcc
	v_add_co_u32_e32 v2, vcc, v2, v3
	v_addc_co_u32_e32 v3, vcc, 0, v4, vcc
	s_movk_i32 s8, 0x80
	s_waitcnt vmcnt(7)
	v_cmp_ne_u16_sdwa s[10:11], v34, v43 src0_sel:BYTE_0 src1_sel:DWORD
	s_waitcnt vmcnt(3)
	v_mad_i64_i32 v[4:5], s[2:3], v10, s13, v[2:3]
	s_waitcnt vmcnt(2)
	v_mad_i64_i32 v[6:7], s[2:3], v11, s13, v[2:3]
	;; [unrolled: 2-line block ×4, first 2 shown]
	global_load_dwordx4 v[14:17], v[4:5], off
	global_load_dwordx4 v[10:13], v[6:7], off
	s_nop 0
	global_load_dwordx4 v[6:9], v[8:9], off
	s_nop 0
	global_load_dwordx4 v[2:5], v[2:3], off
	s_load_dwordx4 s[40:43], s[4:5], 0x80
	s_load_dwordx2 s[44:45], s[4:5], 0x94
	s_waitcnt lgkmcnt(0)
	s_load_dword s12, s[40:41], 0x0
	s_and_saveexec_b64 s[2:3], s[10:11]
	s_cbranch_execz .LBB874_19
; %bb.14:
	v_cmp_ne_u16_sdwa s[10:11], v34, s8 src0_sel:BYTE_0 src1_sel:DWORD
	v_mov_b32_e32 v43, 0xffff8000
	s_and_saveexec_b64 s[8:9], s[10:11]
	s_cbranch_execz .LBB874_18
; %bb.15:
	s_movk_i32 s10, 0x7f
	v_and_b32_e32 v42, 0x7f, v34
	v_cmp_ne_u32_e32 vcc, s10, v42
	v_mov_b32_e32 v43, 0x7f80
	s_and_saveexec_b64 s[10:11], vcc
	s_cbranch_execz .LBB874_17
; %bb.16:
	v_and_b32_e32 v43, 7, v34
	v_ffbh_u32_e32 v44, v43
	v_min_u32_e32 v53, 32, v44
	v_subrev_u32_e32 v44, 28, v53
	v_lshlrev_b64 v[44:45], v44, v[34:35]
	v_lshrrev_b32_e32 v52, 3, v42
	v_sub_u32_e32 v45, 29, v53
	v_and_b32_e32 v44, 7, v44
	v_cmp_gt_u32_e32 vcc, 8, v42
	v_cndmask_b32_e32 v42, v52, v45, vcc
	v_cndmask_b32_e32 v43, v43, v44, vcc
	v_lshlrev_b32_e32 v44, 24, v34
	v_bfrev_b32_e32 v45, 60
	v_lshlrev_b32_e32 v43, 20, v43
	v_and_b32_e32 v44, 0x80000000, v44
	v_lshl_add_u32 v42, v42, 23, v45
	v_or3_b32 v42, v44, v42, v43
	v_lshrrev_b32_e32 v43, 16, v42
.LBB874_17:
	s_or_b64 exec, exec, s[10:11]
.LBB874_18:
	s_or_b64 exec, exec, s[8:9]
.LBB874_19:
	s_or_b64 exec, exec, s[2:3]
	v_lshrrev_b16_e32 v42, 8, v34
	v_cmp_ne_u16_e32 vcc, 0, v42
	v_mov_b32_e32 v45, 0
	v_mov_b32_e32 v44, 0
	s_and_saveexec_b64 s[2:3], vcc
	s_cbranch_execz .LBB874_25
; %bb.20:
	s_movk_i32 s8, 0x80
	v_cmp_ne_u16_e32 vcc, s8, v42
	v_mov_b32_e32 v44, 0xffff8000
	s_and_saveexec_b64 s[8:9], vcc
	s_cbranch_execz .LBB874_24
; %bb.21:
	s_movk_i32 s10, 0x7f
	v_and_b32_e32 v52, 0x7f, v42
	v_cmp_ne_u32_e32 vcc, s10, v52
	v_mov_b32_e32 v44, 0x7f80
	s_and_saveexec_b64 s[10:11], vcc
	s_cbranch_execz .LBB874_23
; %bb.22:
	v_and_b32_e32 v44, 7, v42
	v_ffbh_u32_e32 v54, v44
	v_min_u32_e32 v56, 32, v54
	v_subrev_u32_e32 v54, 28, v56
	v_lshlrev_b64 v[54:55], v54, v[42:43]
	v_lshrrev_b32_e32 v53, 3, v52
	v_sub_u32_e32 v42, 29, v56
	v_and_b32_e32 v54, 7, v54
	v_cmp_gt_u32_e32 vcc, 8, v52
	v_cndmask_b32_e32 v42, v53, v42, vcc
	v_cndmask_b32_e32 v44, v44, v54, vcc
	v_lshlrev_b32_e32 v52, 16, v34
	v_bfrev_b32_e32 v53, 60
	v_lshlrev_b32_e32 v44, 20, v44
	v_and_b32_e32 v52, 0x80000000, v52
	v_lshl_add_u32 v42, v42, 23, v53
	v_or3_b32 v42, v52, v42, v44
	v_lshrrev_b32_e32 v44, 16, v42
.LBB874_23:
	s_or_b64 exec, exec, s[10:11]
.LBB874_24:
	s_or_b64 exec, exec, s[8:9]
.LBB874_25:
	s_or_b64 exec, exec, s[2:3]
	s_movk_i32 s2, 0xff
	v_and_b32_sdwa v52, v34, s2 dst_sel:DWORD dst_unused:UNUSED_PAD src0_sel:WORD_1 src1_sel:DWORD
	v_lshrrev_b32_e32 v42, 16, v34
	v_cmp_ne_u16_e32 vcc, 0, v52
	s_and_saveexec_b64 s[2:3], vcc
	s_cbranch_execz .LBB874_31
; %bb.26:
	s_movk_i32 s8, 0x80
	v_cmp_ne_u16_e32 vcc, s8, v52
	v_mov_b32_e32 v45, 0xffff8000
	s_and_saveexec_b64 s[8:9], vcc
	s_cbranch_execz .LBB874_30
; %bb.27:
	v_bfe_u32 v52, v34, 16, 7
	s_movk_i32 s10, 0x7f
	v_cmp_ne_u32_e32 vcc, s10, v52
	v_mov_b32_e32 v45, 0x7f80
	s_and_saveexec_b64 s[10:11], vcc
	s_cbranch_execz .LBB874_29
; %bb.28:
	v_and_b32_e32 v45, 7, v42
	v_ffbh_u32_e32 v54, v45
	v_min_u32_e32 v56, 32, v54
	v_subrev_u32_e32 v54, 28, v56
	v_lshlrev_b64 v[54:55], v54, v[42:43]
	v_lshrrev_b32_e32 v53, 3, v52
	v_sub_u32_e32 v42, 29, v56
	v_and_b32_e32 v54, 7, v54
	v_cmp_gt_u32_e32 vcc, 8, v52
	v_mov_b32_e32 v52, 24
	v_cndmask_b32_e32 v42, v53, v42, vcc
	v_cndmask_b32_e32 v45, v45, v54, vcc
	v_lshlrev_b32_sdwa v52, v52, v34 dst_sel:DWORD dst_unused:UNUSED_PAD src0_sel:DWORD src1_sel:WORD_1
	v_bfrev_b32_e32 v53, 60
	v_lshlrev_b32_e32 v45, 20, v45
	v_and_b32_e32 v52, 0x80000000, v52
	v_lshl_add_u32 v42, v42, 23, v53
	v_or3_b32 v42, v52, v42, v45
	v_lshrrev_b32_e32 v45, 16, v42
.LBB874_29:
	s_or_b64 exec, exec, s[10:11]
.LBB874_30:
	s_or_b64 exec, exec, s[8:9]
.LBB874_31:
	s_or_b64 exec, exec, s[2:3]
	s_mov_b32 s2, 0xffffff
	v_cmp_lt_u32_e32 vcc, s2, v34
	v_mov_b32_e32 v53, 0
	v_mov_b32_e32 v54, 0
	s_and_saveexec_b64 s[2:3], vcc
	s_cbranch_execz .LBB874_37
; %bb.32:
	v_lshrrev_b32_e32 v42, 24, v34
	s_movk_i32 s8, 0x80
	v_cmp_ne_u32_e32 vcc, s8, v42
	v_mov_b32_e32 v54, 0xffff8000
	s_and_saveexec_b64 s[8:9], vcc
	s_cbranch_execz .LBB874_36
; %bb.33:
	v_bfe_u32 v34, v34, 24, 7
	s_movk_i32 s10, 0x7f
	v_cmp_ne_u32_e32 vcc, s10, v34
	v_mov_b32_e32 v54, 0x7f80
	s_and_saveexec_b64 s[10:11], vcc
	s_cbranch_execz .LBB874_35
; %bb.34:
	v_and_b32_e32 v52, 7, v42
	v_ffbh_u32_e32 v54, v52
	v_min_u32_e32 v57, 32, v54
	v_subrev_u32_e32 v54, 28, v57
	v_lshlrev_b64 v[54:55], v54, v[42:43]
	v_lshrrev_b32_e32 v56, 3, v34
	v_sub_u32_e32 v55, 29, v57
	v_and_b32_e32 v54, 7, v54
	v_cmp_gt_u32_e32 vcc, 8, v34
	v_cndmask_b32_e32 v34, v56, v55, vcc
	v_cndmask_b32_e32 v52, v52, v54, vcc
	v_lshlrev_b32_e32 v42, 24, v42
	v_bfrev_b32_e32 v54, 60
	v_lshlrev_b32_e32 v52, 20, v52
	v_and_b32_e32 v42, 0x80000000, v42
	v_lshl_add_u32 v34, v34, 23, v54
	v_or3_b32 v34, v42, v34, v52
	v_lshrrev_b32_e32 v54, 16, v34
.LBB874_35:
	s_or_b64 exec, exec, s[10:11]
.LBB874_36:
	s_or_b64 exec, exec, s[8:9]
.LBB874_37:
	s_or_b64 exec, exec, s[2:3]
	v_cmp_ne_u16_sdwa s[8:9], v35, v53 src0_sel:BYTE_0 src1_sel:DWORD
	s_and_saveexec_b64 s[2:3], s[8:9]
	s_cbranch_execz .LBB874_43
; %bb.38:
	s_movk_i32 s8, 0x80
	v_cmp_ne_u16_sdwa s[10:11], v35, s8 src0_sel:BYTE_0 src1_sel:DWORD
	v_mov_b32_e32 v53, 0xffff8000
	s_and_saveexec_b64 s[8:9], s[10:11]
	s_cbranch_execz .LBB874_42
; %bb.39:
	s_movk_i32 s10, 0x7f
	v_and_b32_e32 v34, 0x7f, v35
	v_cmp_ne_u32_e32 vcc, s10, v34
	v_mov_b32_e32 v53, 0x7f80
	s_and_saveexec_b64 s[10:11], vcc
	s_cbranch_execz .LBB874_41
; %bb.40:
	v_and_b32_e32 v55, 7, v35
	v_ffbh_u32_e32 v52, v55
	v_min_u32_e32 v57, 32, v52
	v_mov_b32_e32 v42, v35
	v_subrev_u32_e32 v52, 28, v57
	v_lshlrev_b64 v[52:53], v52, v[42:43]
	v_lshrrev_b32_e32 v56, 3, v34
	v_sub_u32_e32 v42, 29, v57
	v_and_b32_e32 v52, 7, v52
	v_cmp_gt_u32_e32 vcc, 8, v34
	v_cndmask_b32_e32 v34, v56, v42, vcc
	v_cndmask_b32_e32 v42, v55, v52, vcc
	v_lshlrev_b32_e32 v52, 24, v35
	v_bfrev_b32_e32 v53, 60
	v_lshlrev_b32_e32 v42, 20, v42
	v_and_b32_e32 v52, 0x80000000, v52
	v_lshl_add_u32 v34, v34, 23, v53
	v_or3_b32 v34, v52, v34, v42
	v_lshrrev_b32_e32 v53, 16, v34
.LBB874_41:
	s_or_b64 exec, exec, s[10:11]
.LBB874_42:
	s_or_b64 exec, exec, s[8:9]
.LBB874_43:
	s_or_b64 exec, exec, s[2:3]
	v_lshrrev_b16_e32 v34, 8, v35
	v_cmp_ne_u16_e32 vcc, 0, v34
	v_mov_b32_e32 v55, 0
	v_mov_b32_e32 v42, 0
	s_and_saveexec_b64 s[2:3], vcc
	s_cbranch_execz .LBB874_49
; %bb.44:
	s_movk_i32 s8, 0x80
	v_cmp_ne_u16_e32 vcc, s8, v34
	v_mov_b32_e32 v42, 0xffff8000
	s_and_saveexec_b64 s[8:9], vcc
	s_cbranch_execz .LBB874_48
; %bb.45:
	s_movk_i32 s10, 0x7f
	v_and_b32_e32 v52, 0x7f, v34
	v_cmp_ne_u32_e32 vcc, s10, v52
	v_mov_b32_e32 v42, 0x7f80
	s_and_saveexec_b64 s[10:11], vcc
	s_cbranch_execz .LBB874_47
; %bb.46:
	v_and_b32_e32 v42, 7, v34
	v_ffbh_u32_e32 v56, v42
	v_min_u32_e32 v59, 32, v56
	v_subrev_u32_e32 v56, 28, v59
	v_lshlrev_b64 v[56:57], v56, v[34:35]
	v_lshrrev_b32_e32 v58, 3, v52
	v_sub_u32_e32 v34, 29, v59
	v_and_b32_e32 v56, 7, v56
	v_cmp_gt_u32_e32 vcc, 8, v52
	v_cndmask_b32_e32 v34, v58, v34, vcc
	v_cndmask_b32_e32 v42, v42, v56, vcc
	v_lshlrev_b32_e32 v52, 16, v35
	v_bfrev_b32_e32 v56, 60
	v_lshlrev_b32_e32 v42, 20, v42
	v_and_b32_e32 v52, 0x80000000, v52
	v_lshl_add_u32 v34, v34, 23, v56
	v_or3_b32 v34, v52, v34, v42
	v_lshrrev_b32_e32 v42, 16, v34
.LBB874_47:
	s_or_b64 exec, exec, s[10:11]
.LBB874_48:
	s_or_b64 exec, exec, s[8:9]
.LBB874_49:
	s_or_b64 exec, exec, s[2:3]
	s_movk_i32 s2, 0xff
	v_and_b32_sdwa v52, v35, s2 dst_sel:DWORD dst_unused:UNUSED_PAD src0_sel:WORD_1 src1_sel:DWORD
	v_lshrrev_b32_e32 v34, 16, v35
	v_cmp_ne_u16_e32 vcc, 0, v52
	s_and_saveexec_b64 s[2:3], vcc
	s_cbranch_execz .LBB874_55
; %bb.50:
	s_movk_i32 s8, 0x80
	v_cmp_ne_u16_e32 vcc, s8, v52
	v_mov_b32_e32 v55, 0xffff8000
	s_and_saveexec_b64 s[8:9], vcc
	s_cbranch_execz .LBB874_54
; %bb.51:
	v_bfe_u32 v52, v35, 16, 7
	s_movk_i32 s10, 0x7f
	v_cmp_ne_u32_e32 vcc, s10, v52
	v_mov_b32_e32 v55, 0x7f80
	s_and_saveexec_b64 s[10:11], vcc
	s_cbranch_execz .LBB874_53
; %bb.52:
	v_and_b32_e32 v55, 7, v34
	v_ffbh_u32_e32 v56, v55
	v_min_u32_e32 v59, 32, v56
	v_subrev_u32_e32 v56, 28, v59
	v_lshlrev_b64 v[56:57], v56, v[34:35]
	v_and_b32_e32 v56, 7, v56
	v_cmp_gt_u32_e32 vcc, 8, v52
	v_lshrrev_b32_e32 v58, 3, v52
	v_sub_u32_e32 v34, 29, v59
	v_cndmask_b32_e32 v52, v55, v56, vcc
	v_mov_b32_e32 v55, 24
	v_cndmask_b32_e32 v34, v58, v34, vcc
	v_lshlrev_b32_sdwa v55, v55, v35 dst_sel:DWORD dst_unused:UNUSED_PAD src0_sel:DWORD src1_sel:WORD_1
	v_bfrev_b32_e32 v56, 60
	v_lshlrev_b32_e32 v52, 20, v52
	v_and_b32_e32 v55, 0x80000000, v55
	v_lshl_add_u32 v34, v34, 23, v56
	v_or3_b32 v34, v55, v34, v52
	v_lshrrev_b32_e32 v55, 16, v34
.LBB874_53:
	s_or_b64 exec, exec, s[10:11]
.LBB874_54:
	s_or_b64 exec, exec, s[8:9]
.LBB874_55:
	s_or_b64 exec, exec, s[2:3]
	s_mov_b32 s2, 0xffffff
	v_cmp_lt_u32_e32 vcc, s2, v35
	v_mov_b32_e32 v52, 0
	v_mov_b32_e32 v56, 0
	s_and_saveexec_b64 s[2:3], vcc
	s_cbranch_execz .LBB874_61
; %bb.56:
	v_lshrrev_b32_e32 v34, 24, v35
	s_movk_i32 s8, 0x80
	v_cmp_ne_u32_e32 vcc, s8, v34
	v_mov_b32_e32 v56, 0xffff8000
	s_and_saveexec_b64 s[8:9], vcc
	s_cbranch_execz .LBB874_60
; %bb.57:
	v_bfe_u32 v35, v35, 24, 7
	s_movk_i32 s10, 0x7f
	v_cmp_ne_u32_e32 vcc, s10, v35
	v_mov_b32_e32 v56, 0x7f80
	s_and_saveexec_b64 s[10:11], vcc
	s_cbranch_execz .LBB874_59
; %bb.58:
	v_and_b32_e32 v58, 7, v34
	v_ffbh_u32_e32 v56, v58
	v_min_u32_e32 v60, 32, v56
	v_subrev_u32_e32 v56, 28, v60
	v_lshlrev_b64 v[56:57], v56, v[34:35]
	v_lshrrev_b32_e32 v59, 3, v35
	v_sub_u32_e32 v57, 29, v60
	v_and_b32_e32 v56, 7, v56
	v_cmp_gt_u32_e32 vcc, 8, v35
	v_cndmask_b32_e32 v35, v59, v57, vcc
	v_cndmask_b32_e32 v56, v58, v56, vcc
	v_lshlrev_b32_e32 v34, 24, v34
	v_bfrev_b32_e32 v57, 60
	v_lshlrev_b32_e32 v56, 20, v56
	v_and_b32_e32 v34, 0x80000000, v34
	v_lshl_add_u32 v35, v35, 23, v57
	v_or3_b32 v34, v34, v35, v56
	v_lshrrev_b32_e32 v56, 16, v34
.LBB874_59:
	s_or_b64 exec, exec, s[10:11]
.LBB874_60:
	s_or_b64 exec, exec, s[8:9]
.LBB874_61:
	s_or_b64 exec, exec, s[2:3]
	s_mov_b32 s2, 0x5040100
	v_perm_b32 v35, v54, v45, s2
	v_perm_b32 v34, v44, v43, s2
	v_cmp_ne_u16_sdwa s[8:9], v36, v52 src0_sel:BYTE_0 src1_sel:DWORD
	s_nop 0
	v_mfma_f32_16x16x16bf16_1k v[58:61], v[34:35], v[26:27], 0
	v_perm_b32 v35, v56, v55, s2
	v_perm_b32 v34, v42, v53, s2
	s_nop 1
	v_mfma_f32_16x16x16bf16_1k v[42:45], v[34:35], v[28:29], v[58:61]
	s_and_saveexec_b64 s[2:3], s[8:9]
	s_cbranch_execz .LBB874_67
; %bb.62:
	s_movk_i32 s8, 0x80
	v_cmp_ne_u16_sdwa s[10:11], v36, s8 src0_sel:BYTE_0 src1_sel:DWORD
	v_mov_b32_e32 v52, 0xffff8000
	s_and_saveexec_b64 s[8:9], s[10:11]
	s_cbranch_execz .LBB874_66
; %bb.63:
	s_movk_i32 s10, 0x7f
	v_and_b32_e32 v34, 0x7f, v36
	v_cmp_ne_u32_e32 vcc, s10, v34
	v_mov_b32_e32 v52, 0x7f80
	s_and_saveexec_b64 s[10:11], vcc
	s_cbranch_execz .LBB874_65
; %bb.64:
	v_and_b32_e32 v35, 7, v36
	v_ffbh_u32_e32 v52, v35
	v_min_u32_e32 v55, 32, v52
	v_subrev_u32_e32 v52, 28, v55
	v_lshlrev_b64 v[52:53], v52, v[36:37]
	v_lshrrev_b32_e32 v54, 3, v34
	v_sub_u32_e32 v53, 29, v55
	v_and_b32_e32 v52, 7, v52
	v_cmp_gt_u32_e32 vcc, 8, v34
	v_cndmask_b32_e32 v34, v54, v53, vcc
	v_cndmask_b32_e32 v35, v35, v52, vcc
	v_lshlrev_b32_e32 v52, 24, v36
	v_bfrev_b32_e32 v53, 60
	v_lshlrev_b32_e32 v35, 20, v35
	v_and_b32_e32 v52, 0x80000000, v52
	v_lshl_add_u32 v34, v34, 23, v53
	v_or3_b32 v34, v52, v34, v35
	v_lshrrev_b32_e32 v52, 16, v34
.LBB874_65:
	s_or_b64 exec, exec, s[10:11]
.LBB874_66:
	s_or_b64 exec, exec, s[8:9]
.LBB874_67:
	s_or_b64 exec, exec, s[2:3]
	v_lshrrev_b16_e32 v34, 8, v36
	v_cmp_ne_u16_e32 vcc, 0, v34
	v_mov_b32_e32 v54, 0
	v_mov_b32_e32 v35, 0
	s_and_saveexec_b64 s[2:3], vcc
	s_cbranch_execz .LBB874_73
; %bb.68:
	s_movk_i32 s8, 0x80
	v_cmp_ne_u16_e32 vcc, s8, v34
	v_mov_b32_e32 v35, 0xffff8000
	s_and_saveexec_b64 s[8:9], vcc
	s_cbranch_execz .LBB874_72
; %bb.69:
	s_movk_i32 s10, 0x7f
	v_and_b32_e32 v53, 0x7f, v34
	v_cmp_ne_u32_e32 vcc, s10, v53
	v_mov_b32_e32 v35, 0x7f80
	s_and_saveexec_b64 s[10:11], vcc
	s_cbranch_execz .LBB874_71
; %bb.70:
	v_and_b32_e32 v55, 7, v34
	v_ffbh_u32_e32 v35, v55
	v_min_u32_e32 v57, 32, v35
	v_subrev_u32_e32 v35, 28, v57
	v_lshlrev_b64 v[34:35], v35, v[34:35]
	v_lshrrev_b32_e32 v56, 3, v53
	v_sub_u32_e32 v35, 29, v57
	v_and_b32_e32 v34, 7, v34
	v_cmp_gt_u32_e32 vcc, 8, v53
	v_cndmask_b32_e32 v35, v56, v35, vcc
	v_cndmask_b32_e32 v34, v55, v34, vcc
	v_lshlrev_b32_e32 v53, 16, v36
	v_bfrev_b32_e32 v55, 60
	v_lshlrev_b32_e32 v34, 20, v34
	v_and_b32_e32 v53, 0x80000000, v53
	v_lshl_add_u32 v35, v35, 23, v55
	v_or3_b32 v34, v53, v35, v34
	v_lshrrev_b32_e32 v35, 16, v34
.LBB874_71:
	s_or_b64 exec, exec, s[10:11]
.LBB874_72:
	s_or_b64 exec, exec, s[8:9]
.LBB874_73:
	s_or_b64 exec, exec, s[2:3]
	s_movk_i32 s2, 0xff
	v_and_b32_sdwa v53, v36, s2 dst_sel:DWORD dst_unused:UNUSED_PAD src0_sel:WORD_1 src1_sel:DWORD
	v_lshrrev_b32_e32 v34, 16, v36
	v_cmp_ne_u16_e32 vcc, 0, v53
	s_and_saveexec_b64 s[2:3], vcc
	s_cbranch_execz .LBB874_79
; %bb.74:
	s_movk_i32 s8, 0x80
	v_cmp_ne_u16_e32 vcc, s8, v53
	v_mov_b32_e32 v54, 0xffff8000
	s_and_saveexec_b64 s[8:9], vcc
	s_cbranch_execz .LBB874_78
; %bb.75:
	v_bfe_u32 v53, v36, 16, 7
	s_movk_i32 s10, 0x7f
	v_cmp_ne_u32_e32 vcc, s10, v53
	v_mov_b32_e32 v54, 0x7f80
	s_and_saveexec_b64 s[10:11], vcc
	s_cbranch_execz .LBB874_77
; %bb.76:
	v_and_b32_e32 v56, 7, v34
	v_ffbh_u32_e32 v54, v56
	v_min_u32_e32 v58, 32, v54
	v_subrev_u32_e32 v54, 28, v58
	v_lshlrev_b64 v[54:55], v54, v[34:35]
	v_and_b32_e32 v54, 7, v54
	v_cmp_gt_u32_e32 vcc, 8, v53
	v_lshrrev_b32_e32 v57, 3, v53
	v_sub_u32_e32 v34, 29, v58
	v_cndmask_b32_e32 v53, v56, v54, vcc
	v_mov_b32_e32 v54, 24
	v_cndmask_b32_e32 v34, v57, v34, vcc
	v_lshlrev_b32_sdwa v54, v54, v36 dst_sel:DWORD dst_unused:UNUSED_PAD src0_sel:DWORD src1_sel:WORD_1
	v_bfrev_b32_e32 v55, 60
	v_lshlrev_b32_e32 v53, 20, v53
	v_and_b32_e32 v54, 0x80000000, v54
	v_lshl_add_u32 v34, v34, 23, v55
	v_or3_b32 v34, v54, v34, v53
	v_lshrrev_b32_e32 v54, 16, v34
.LBB874_77:
	s_or_b64 exec, exec, s[10:11]
.LBB874_78:
	s_or_b64 exec, exec, s[8:9]
.LBB874_79:
	s_or_b64 exec, exec, s[2:3]
	s_mov_b32 s2, 0xffffff
	v_cmp_lt_u32_e32 vcc, s2, v36
	v_mov_b32_e32 v55, 0
	v_mov_b32_e32 v56, 0
	s_and_saveexec_b64 s[2:3], vcc
	s_cbranch_execz .LBB874_85
; %bb.80:
	v_lshrrev_b32_e32 v34, 24, v36
	s_movk_i32 s8, 0x80
	v_cmp_ne_u32_e32 vcc, s8, v34
	v_mov_b32_e32 v56, 0xffff8000
	s_and_saveexec_b64 s[8:9], vcc
	s_cbranch_execz .LBB874_84
; %bb.81:
	v_bfe_u32 v36, v36, 24, 7
	s_movk_i32 s10, 0x7f
	v_cmp_ne_u32_e32 vcc, s10, v36
	v_mov_b32_e32 v56, 0x7f80
	s_and_saveexec_b64 s[10:11], vcc
	s_cbranch_execz .LBB874_83
; %bb.82:
	v_and_b32_e32 v53, 7, v34
	v_ffbh_u32_e32 v56, v53
	v_min_u32_e32 v59, 32, v56
	v_subrev_u32_e32 v56, 28, v59
	v_lshlrev_b64 v[56:57], v56, v[34:35]
	v_lshrrev_b32_e32 v58, 3, v36
	v_sub_u32_e32 v57, 29, v59
	v_and_b32_e32 v56, 7, v56
	v_cmp_gt_u32_e32 vcc, 8, v36
	v_cndmask_b32_e32 v36, v58, v57, vcc
	v_cndmask_b32_e32 v53, v53, v56, vcc
	v_lshlrev_b32_e32 v34, 24, v34
	v_bfrev_b32_e32 v56, 60
	v_lshlrev_b32_e32 v53, 20, v53
	v_and_b32_e32 v34, 0x80000000, v34
	v_lshl_add_u32 v36, v36, 23, v56
	v_or3_b32 v34, v34, v36, v53
	v_lshrrev_b32_e32 v56, 16, v34
.LBB874_83:
	s_or_b64 exec, exec, s[10:11]
.LBB874_84:
	s_or_b64 exec, exec, s[8:9]
.LBB874_85:
	s_or_b64 exec, exec, s[2:3]
	v_cmp_ne_u16_sdwa s[8:9], v37, v55 src0_sel:BYTE_0 src1_sel:DWORD
	s_and_saveexec_b64 s[2:3], s[8:9]
	s_cbranch_execz .LBB874_91
; %bb.86:
	s_movk_i32 s8, 0x80
	v_cmp_ne_u16_sdwa s[10:11], v37, s8 src0_sel:BYTE_0 src1_sel:DWORD
	v_mov_b32_e32 v55, 0xffff8000
	s_and_saveexec_b64 s[8:9], s[10:11]
	s_cbranch_execz .LBB874_90
; %bb.87:
	s_movk_i32 s10, 0x7f
	v_and_b32_e32 v34, 0x7f, v37
	v_cmp_ne_u32_e32 vcc, s10, v34
	v_mov_b32_e32 v55, 0x7f80
	s_and_saveexec_b64 s[10:11], vcc
	s_cbranch_execz .LBB874_89
; %bb.88:
	v_and_b32_e32 v53, 7, v37
	v_ffbh_u32_e32 v57, v53
	v_min_u32_e32 v57, 32, v57
	v_mov_b32_e32 v36, v37
	v_subrev_u32_e32 v58, 28, v57
	v_lshlrev_b64 v[58:59], v58, v[36:37]
	v_lshrrev_b32_e32 v55, 3, v34
	v_sub_u32_e32 v36, 29, v57
	v_and_b32_e32 v57, 7, v58
	v_cmp_gt_u32_e32 vcc, 8, v34
	v_cndmask_b32_e32 v34, v55, v36, vcc
	v_cndmask_b32_e32 v36, v53, v57, vcc
	v_lshlrev_b32_e32 v53, 24, v37
	v_bfrev_b32_e32 v55, 60
	v_lshlrev_b32_e32 v36, 20, v36
	v_and_b32_e32 v53, 0x80000000, v53
	v_lshl_add_u32 v34, v34, 23, v55
	v_or3_b32 v34, v53, v34, v36
	v_lshrrev_b32_e32 v55, 16, v34
.LBB874_89:
	s_or_b64 exec, exec, s[10:11]
.LBB874_90:
	s_or_b64 exec, exec, s[8:9]
.LBB874_91:
	s_or_b64 exec, exec, s[2:3]
	v_lshrrev_b16_e32 v34, 8, v37
	v_cmp_ne_u16_e32 vcc, 0, v34
	v_mov_b32_e32 v57, 0
	v_mov_b32_e32 v36, 0
	s_and_saveexec_b64 s[2:3], vcc
	s_cbranch_execz .LBB874_97
; %bb.92:
	s_movk_i32 s8, 0x80
	v_cmp_ne_u16_e32 vcc, s8, v34
	v_mov_b32_e32 v36, 0xffff8000
	s_and_saveexec_b64 s[8:9], vcc
	s_cbranch_execz .LBB874_96
; %bb.93:
	s_movk_i32 s10, 0x7f
	v_and_b32_e32 v53, 0x7f, v34
	v_cmp_ne_u32_e32 vcc, s10, v53
	v_mov_b32_e32 v36, 0x7f80
	s_and_saveexec_b64 s[10:11], vcc
	s_cbranch_execz .LBB874_95
; %bb.94:
	v_and_b32_e32 v36, 7, v34
	v_ffbh_u32_e32 v58, v36
	v_min_u32_e32 v61, 32, v58
	v_subrev_u32_e32 v58, 28, v61
	v_lshlrev_b64 v[58:59], v58, v[34:35]
	v_lshrrev_b32_e32 v60, 3, v53
	v_sub_u32_e32 v34, 29, v61
	v_and_b32_e32 v58, 7, v58
	v_cmp_gt_u32_e32 vcc, 8, v53
	v_cndmask_b32_e32 v34, v60, v34, vcc
	v_cndmask_b32_e32 v36, v36, v58, vcc
	v_lshlrev_b32_e32 v53, 16, v37
	v_bfrev_b32_e32 v58, 60
	v_lshlrev_b32_e32 v36, 20, v36
	v_and_b32_e32 v53, 0x80000000, v53
	v_lshl_add_u32 v34, v34, 23, v58
	v_or3_b32 v34, v53, v34, v36
	v_lshrrev_b32_e32 v36, 16, v34
.LBB874_95:
	s_or_b64 exec, exec, s[10:11]
.LBB874_96:
	s_or_b64 exec, exec, s[8:9]
.LBB874_97:
	s_or_b64 exec, exec, s[2:3]
	s_movk_i32 s2, 0xff
	v_and_b32_sdwa v53, v37, s2 dst_sel:DWORD dst_unused:UNUSED_PAD src0_sel:WORD_1 src1_sel:DWORD
	v_lshrrev_b32_e32 v34, 16, v37
	v_cmp_ne_u16_e32 vcc, 0, v53
	s_and_saveexec_b64 s[2:3], vcc
	s_cbranch_execz .LBB874_103
; %bb.98:
	s_movk_i32 s8, 0x80
	v_cmp_ne_u16_e32 vcc, s8, v53
	v_mov_b32_e32 v57, 0xffff8000
	s_and_saveexec_b64 s[8:9], vcc
	s_cbranch_execz .LBB874_102
; %bb.99:
	v_bfe_u32 v53, v37, 16, 7
	s_movk_i32 s10, 0x7f
	v_cmp_ne_u32_e32 vcc, s10, v53
	v_mov_b32_e32 v57, 0x7f80
	s_and_saveexec_b64 s[10:11], vcc
	s_cbranch_execz .LBB874_101
; %bb.100:
	v_and_b32_e32 v57, 7, v34
	v_ffbh_u32_e32 v58, v57
	v_min_u32_e32 v61, 32, v58
	v_subrev_u32_e32 v58, 28, v61
	v_lshlrev_b64 v[58:59], v58, v[34:35]
	v_and_b32_e32 v58, 7, v58
	v_cmp_gt_u32_e32 vcc, 8, v53
	v_lshrrev_b32_e32 v60, 3, v53
	v_sub_u32_e32 v34, 29, v61
	v_cndmask_b32_e32 v53, v57, v58, vcc
	v_mov_b32_e32 v57, 24
	v_cndmask_b32_e32 v34, v60, v34, vcc
	v_lshlrev_b32_sdwa v57, v57, v37 dst_sel:DWORD dst_unused:UNUSED_PAD src0_sel:DWORD src1_sel:WORD_1
	v_bfrev_b32_e32 v58, 60
	v_lshlrev_b32_e32 v53, 20, v53
	v_and_b32_e32 v57, 0x80000000, v57
	v_lshl_add_u32 v34, v34, 23, v58
	v_or3_b32 v34, v57, v34, v53
	v_lshrrev_b32_e32 v57, 16, v34
.LBB874_101:
	s_or_b64 exec, exec, s[10:11]
.LBB874_102:
	s_or_b64 exec, exec, s[8:9]
.LBB874_103:
	s_or_b64 exec, exec, s[2:3]
	s_mov_b32 s2, 0xffffff
	v_cmp_lt_u32_e32 vcc, s2, v37
	v_mov_b32_e32 v53, 0
	v_mov_b32_e32 v58, 0
	s_and_saveexec_b64 s[2:3], vcc
	s_cbranch_execz .LBB874_109
; %bb.104:
	v_lshrrev_b32_e32 v34, 24, v37
	s_movk_i32 s8, 0x80
	v_cmp_ne_u32_e32 vcc, s8, v34
	v_mov_b32_e32 v58, 0xffff8000
	s_and_saveexec_b64 s[8:9], vcc
	s_cbranch_execz .LBB874_108
; %bb.105:
	v_bfe_u32 v37, v37, 24, 7
	s_movk_i32 s10, 0x7f
	v_cmp_ne_u32_e32 vcc, s10, v37
	v_mov_b32_e32 v58, 0x7f80
	s_and_saveexec_b64 s[10:11], vcc
	s_cbranch_execz .LBB874_107
; %bb.106:
	v_and_b32_e32 v60, 7, v34
	v_ffbh_u32_e32 v58, v60
	v_min_u32_e32 v62, 32, v58
	v_subrev_u32_e32 v58, 28, v62
	v_lshlrev_b64 v[58:59], v58, v[34:35]
	v_lshrrev_b32_e32 v61, 3, v37
	v_sub_u32_e32 v59, 29, v62
	v_and_b32_e32 v58, 7, v58
	v_cmp_gt_u32_e32 vcc, 8, v37
	v_cndmask_b32_e32 v37, v61, v59, vcc
	v_cndmask_b32_e32 v58, v60, v58, vcc
	v_lshlrev_b32_e32 v34, 24, v34
	v_bfrev_b32_e32 v59, 60
	v_lshlrev_b32_e32 v58, 20, v58
	v_and_b32_e32 v34, 0x80000000, v34
	v_lshl_add_u32 v37, v37, 23, v59
	v_or3_b32 v34, v34, v37, v58
	v_lshrrev_b32_e32 v58, 16, v34
.LBB874_107:
	s_or_b64 exec, exec, s[10:11]
.LBB874_108:
	s_or_b64 exec, exec, s[8:9]
.LBB874_109:
	s_or_b64 exec, exec, s[2:3]
	s_mov_b32 s2, 0x5040100
	v_perm_b32 v61, v56, v54, s2
	v_perm_b32 v60, v35, v52, s2
	;; [unrolled: 1-line block ×4, first 2 shown]
	v_cmp_ne_u16_sdwa s[8:9], v38, v53 src0_sel:BYTE_0 src1_sel:DWORD
	v_mfma_f32_16x16x16bf16_1k v[42:45], v[60:61], v[18:19], v[42:45]
	v_mfma_f32_16x16x16bf16_1k v[34:37], v[34:35], v[20:21], v[42:45]
	s_and_saveexec_b64 s[2:3], s[8:9]
	s_cbranch_execz .LBB874_115
; %bb.110:
	s_movk_i32 s8, 0x80
	v_cmp_ne_u16_sdwa s[10:11], v38, s8 src0_sel:BYTE_0 src1_sel:DWORD
	v_mov_b32_e32 v53, 0xffff8000
	s_and_saveexec_b64 s[8:9], s[10:11]
	s_cbranch_execz .LBB874_114
; %bb.111:
	s_movk_i32 s10, 0x7f
	s_nop 1
	v_and_b32_e32 v42, 0x7f, v38
	v_cmp_ne_u32_e32 vcc, s10, v42
	v_mov_b32_e32 v53, 0x7f80
	s_and_saveexec_b64 s[10:11], vcc
	s_cbranch_execz .LBB874_113
; %bb.112:
	v_and_b32_e32 v43, 7, v38
	v_ffbh_u32_e32 v44, v43
	v_min_u32_e32 v53, 32, v44
	v_subrev_u32_e32 v44, 28, v53
	v_lshlrev_b64 v[44:45], v44, v[38:39]
	v_lshrrev_b32_e32 v52, 3, v42
	v_sub_u32_e32 v45, 29, v53
	v_and_b32_e32 v44, 7, v44
	v_cmp_gt_u32_e32 vcc, 8, v42
	v_cndmask_b32_e32 v42, v52, v45, vcc
	v_cndmask_b32_e32 v43, v43, v44, vcc
	v_lshlrev_b32_e32 v44, 24, v38
	v_bfrev_b32_e32 v45, 60
	v_lshlrev_b32_e32 v43, 20, v43
	v_and_b32_e32 v44, 0x80000000, v44
	v_lshl_add_u32 v42, v42, 23, v45
	v_or3_b32 v42, v44, v42, v43
	v_lshrrev_b32_e32 v53, 16, v42
.LBB874_113:
	s_or_b64 exec, exec, s[10:11]
.LBB874_114:
	s_or_b64 exec, exec, s[8:9]
.LBB874_115:
	s_or_b64 exec, exec, s[2:3]
	s_nop 6
	v_lshrrev_b16_e32 v42, 8, v38
	v_cmp_ne_u16_e32 vcc, 0, v42
	v_mov_b32_e32 v44, 0
	v_mov_b32_e32 v43, 0
	s_and_saveexec_b64 s[2:3], vcc
	s_cbranch_execz .LBB874_121
; %bb.116:
	s_movk_i32 s8, 0x80
	v_cmp_ne_u16_e32 vcc, s8, v42
	v_mov_b32_e32 v43, 0xffff8000
	s_and_saveexec_b64 s[8:9], vcc
	s_cbranch_execz .LBB874_120
; %bb.117:
	s_movk_i32 s10, 0x7f
	v_and_b32_e32 v45, 0x7f, v42
	v_cmp_ne_u32_e32 vcc, s10, v45
	v_mov_b32_e32 v43, 0x7f80
	s_and_saveexec_b64 s[10:11], vcc
	s_cbranch_execz .LBB874_119
; %bb.118:
	v_and_b32_e32 v52, 7, v42
	v_ffbh_u32_e32 v43, v52
	v_min_u32_e32 v55, 32, v43
	v_subrev_u32_e32 v43, 28, v55
	v_lshlrev_b64 v[42:43], v43, v[42:43]
	v_lshrrev_b32_e32 v54, 3, v45
	v_sub_u32_e32 v43, 29, v55
	v_and_b32_e32 v42, 7, v42
	v_cmp_gt_u32_e32 vcc, 8, v45
	v_cndmask_b32_e32 v43, v54, v43, vcc
	v_cndmask_b32_e32 v42, v52, v42, vcc
	v_lshlrev_b32_e32 v45, 16, v38
	v_bfrev_b32_e32 v52, 60
	v_lshlrev_b32_e32 v42, 20, v42
	v_and_b32_e32 v45, 0x80000000, v45
	v_lshl_add_u32 v43, v43, 23, v52
	v_or3_b32 v42, v45, v43, v42
	v_lshrrev_b32_e32 v43, 16, v42
.LBB874_119:
	s_or_b64 exec, exec, s[10:11]
.LBB874_120:
	s_or_b64 exec, exec, s[8:9]
.LBB874_121:
	s_or_b64 exec, exec, s[2:3]
	s_movk_i32 s2, 0xff
	v_and_b32_sdwa v45, v38, s2 dst_sel:DWORD dst_unused:UNUSED_PAD src0_sel:WORD_1 src1_sel:DWORD
	v_lshrrev_b32_e32 v42, 16, v38
	v_cmp_ne_u16_e32 vcc, 0, v45
	s_and_saveexec_b64 s[2:3], vcc
	s_cbranch_execz .LBB874_127
; %bb.122:
	s_movk_i32 s8, 0x80
	v_cmp_ne_u16_e32 vcc, s8, v45
	v_mov_b32_e32 v44, 0xffff8000
	s_and_saveexec_b64 s[8:9], vcc
	s_cbranch_execz .LBB874_126
; %bb.123:
	v_bfe_u32 v45, v38, 16, 7
	s_movk_i32 s10, 0x7f
	v_cmp_ne_u32_e32 vcc, s10, v45
	v_mov_b32_e32 v44, 0x7f80
	s_and_saveexec_b64 s[10:11], vcc
	s_cbranch_execz .LBB874_125
; %bb.124:
	v_and_b32_e32 v44, 7, v42
	v_ffbh_u32_e32 v54, v44
	v_min_u32_e32 v56, 32, v54
	v_subrev_u32_e32 v54, 28, v56
	v_lshlrev_b64 v[54:55], v54, v[42:43]
	v_lshrrev_b32_e32 v52, 3, v45
	v_sub_u32_e32 v42, 29, v56
	v_and_b32_e32 v54, 7, v54
	v_cmp_gt_u32_e32 vcc, 8, v45
	v_mov_b32_e32 v45, 24
	v_cndmask_b32_e32 v42, v52, v42, vcc
	v_cndmask_b32_e32 v44, v44, v54, vcc
	v_lshlrev_b32_sdwa v45, v45, v38 dst_sel:DWORD dst_unused:UNUSED_PAD src0_sel:DWORD src1_sel:WORD_1
	v_bfrev_b32_e32 v52, 60
	v_lshlrev_b32_e32 v44, 20, v44
	v_and_b32_e32 v45, 0x80000000, v45
	v_lshl_add_u32 v42, v42, 23, v52
	v_or3_b32 v42, v45, v42, v44
	v_lshrrev_b32_e32 v44, 16, v42
.LBB874_125:
	s_or_b64 exec, exec, s[10:11]
.LBB874_126:
	s_or_b64 exec, exec, s[8:9]
.LBB874_127:
	s_or_b64 exec, exec, s[2:3]
	s_mov_b32 s2, 0xffffff
	v_cmp_lt_u32_e32 vcc, s2, v38
	v_mov_b32_e32 v45, 0
	v_mov_b32_e32 v54, 0
	s_and_saveexec_b64 s[2:3], vcc
	s_cbranch_execz .LBB874_133
; %bb.128:
	v_lshrrev_b32_e32 v42, 24, v38
	s_movk_i32 s8, 0x80
	v_cmp_ne_u32_e32 vcc, s8, v42
	v_mov_b32_e32 v54, 0xffff8000
	s_and_saveexec_b64 s[8:9], vcc
	s_cbranch_execz .LBB874_132
; %bb.129:
	v_bfe_u32 v38, v38, 24, 7
	s_movk_i32 s10, 0x7f
	v_cmp_ne_u32_e32 vcc, s10, v38
	v_mov_b32_e32 v54, 0x7f80
	s_and_saveexec_b64 s[10:11], vcc
	s_cbranch_execz .LBB874_131
; %bb.130:
	v_and_b32_e32 v52, 7, v42
	v_ffbh_u32_e32 v54, v52
	v_min_u32_e32 v57, 32, v54
	v_subrev_u32_e32 v54, 28, v57
	v_lshlrev_b64 v[54:55], v54, v[42:43]
	v_lshrrev_b32_e32 v56, 3, v38
	v_sub_u32_e32 v55, 29, v57
	v_and_b32_e32 v54, 7, v54
	v_cmp_gt_u32_e32 vcc, 8, v38
	v_cndmask_b32_e32 v38, v56, v55, vcc
	v_cndmask_b32_e32 v52, v52, v54, vcc
	v_lshlrev_b32_e32 v42, 24, v42
	v_bfrev_b32_e32 v54, 60
	v_lshlrev_b32_e32 v52, 20, v52
	v_and_b32_e32 v42, 0x80000000, v42
	v_lshl_add_u32 v38, v38, 23, v54
	v_or3_b32 v38, v42, v38, v52
	v_lshrrev_b32_e32 v54, 16, v38
.LBB874_131:
	s_or_b64 exec, exec, s[10:11]
.LBB874_132:
	s_or_b64 exec, exec, s[8:9]
.LBB874_133:
	s_or_b64 exec, exec, s[2:3]
	v_cmp_ne_u16_sdwa s[8:9], v39, v45 src0_sel:BYTE_0 src1_sel:DWORD
	s_and_saveexec_b64 s[2:3], s[8:9]
	s_cbranch_execz .LBB874_139
; %bb.134:
	s_movk_i32 s8, 0x80
	v_cmp_ne_u16_sdwa s[10:11], v39, s8 src0_sel:BYTE_0 src1_sel:DWORD
	v_mov_b32_e32 v45, 0xffff8000
	s_and_saveexec_b64 s[8:9], s[10:11]
	s_cbranch_execz .LBB874_138
; %bb.135:
	s_movk_i32 s10, 0x7f
	v_and_b32_e32 v38, 0x7f, v39
	v_cmp_ne_u32_e32 vcc, s10, v38
	v_mov_b32_e32 v45, 0x7f80
	s_and_saveexec_b64 s[10:11], vcc
	s_cbranch_execz .LBB874_137
; %bb.136:
	v_and_b32_e32 v45, 7, v39
	v_ffbh_u32_e32 v55, v45
	v_min_u32_e32 v55, 32, v55
	v_mov_b32_e32 v42, v39
	v_subrev_u32_e32 v56, 28, v55
	v_lshlrev_b64 v[56:57], v56, v[42:43]
	v_lshrrev_b32_e32 v52, 3, v38
	v_sub_u32_e32 v42, 29, v55
	v_and_b32_e32 v55, 7, v56
	v_cmp_gt_u32_e32 vcc, 8, v38
	v_cndmask_b32_e32 v38, v52, v42, vcc
	v_cndmask_b32_e32 v42, v45, v55, vcc
	v_lshlrev_b32_e32 v45, 24, v39
	v_bfrev_b32_e32 v52, 60
	v_lshlrev_b32_e32 v42, 20, v42
	v_and_b32_e32 v45, 0x80000000, v45
	v_lshl_add_u32 v38, v38, 23, v52
	v_or3_b32 v38, v45, v38, v42
	v_lshrrev_b32_e32 v45, 16, v38
.LBB874_137:
	s_or_b64 exec, exec, s[10:11]
.LBB874_138:
	s_or_b64 exec, exec, s[8:9]
.LBB874_139:
	s_or_b64 exec, exec, s[2:3]
	v_lshrrev_b16_e32 v38, 8, v39
	v_cmp_ne_u16_e32 vcc, 0, v38
	v_mov_b32_e32 v55, 0
	v_mov_b32_e32 v42, 0
	s_and_saveexec_b64 s[2:3], vcc
	s_cbranch_execz .LBB874_145
; %bb.140:
	s_movk_i32 s8, 0x80
	v_cmp_ne_u16_e32 vcc, s8, v38
	v_mov_b32_e32 v42, 0xffff8000
	s_and_saveexec_b64 s[8:9], vcc
	s_cbranch_execz .LBB874_144
; %bb.141:
	s_movk_i32 s10, 0x7f
	v_and_b32_e32 v52, 0x7f, v38
	v_cmp_ne_u32_e32 vcc, s10, v52
	v_mov_b32_e32 v42, 0x7f80
	s_and_saveexec_b64 s[10:11], vcc
	s_cbranch_execz .LBB874_143
; %bb.142:
	v_and_b32_e32 v42, 7, v38
	v_ffbh_u32_e32 v56, v42
	v_min_u32_e32 v59, 32, v56
	v_subrev_u32_e32 v56, 28, v59
	v_lshlrev_b64 v[56:57], v56, v[38:39]
	v_lshrrev_b32_e32 v58, 3, v52
	v_sub_u32_e32 v38, 29, v59
	v_and_b32_e32 v56, 7, v56
	v_cmp_gt_u32_e32 vcc, 8, v52
	v_cndmask_b32_e32 v38, v58, v38, vcc
	v_cndmask_b32_e32 v42, v42, v56, vcc
	v_lshlrev_b32_e32 v52, 16, v39
	v_bfrev_b32_e32 v56, 60
	v_lshlrev_b32_e32 v42, 20, v42
	v_and_b32_e32 v52, 0x80000000, v52
	v_lshl_add_u32 v38, v38, 23, v56
	v_or3_b32 v38, v52, v38, v42
	v_lshrrev_b32_e32 v42, 16, v38
.LBB874_143:
	s_or_b64 exec, exec, s[10:11]
.LBB874_144:
	s_or_b64 exec, exec, s[8:9]
.LBB874_145:
	s_or_b64 exec, exec, s[2:3]
	s_movk_i32 s2, 0xff
	v_and_b32_sdwa v52, v39, s2 dst_sel:DWORD dst_unused:UNUSED_PAD src0_sel:WORD_1 src1_sel:DWORD
	v_lshrrev_b32_e32 v38, 16, v39
	v_cmp_ne_u16_e32 vcc, 0, v52
	s_and_saveexec_b64 s[2:3], vcc
	s_cbranch_execz .LBB874_151
; %bb.146:
	s_movk_i32 s8, 0x80
	v_cmp_ne_u16_e32 vcc, s8, v52
	v_mov_b32_e32 v55, 0xffff8000
	s_and_saveexec_b64 s[8:9], vcc
	s_cbranch_execz .LBB874_150
; %bb.147:
	v_bfe_u32 v52, v39, 16, 7
	s_movk_i32 s10, 0x7f
	v_cmp_ne_u32_e32 vcc, s10, v52
	v_mov_b32_e32 v55, 0x7f80
	s_and_saveexec_b64 s[10:11], vcc
	s_cbranch_execz .LBB874_149
; %bb.148:
	v_and_b32_e32 v55, 7, v38
	v_ffbh_u32_e32 v56, v55
	v_min_u32_e32 v59, 32, v56
	v_subrev_u32_e32 v56, 28, v59
	v_lshlrev_b64 v[56:57], v56, v[38:39]
	v_and_b32_e32 v56, 7, v56
	v_cmp_gt_u32_e32 vcc, 8, v52
	v_lshrrev_b32_e32 v58, 3, v52
	v_sub_u32_e32 v38, 29, v59
	v_cndmask_b32_e32 v52, v55, v56, vcc
	v_mov_b32_e32 v55, 24
	v_cndmask_b32_e32 v38, v58, v38, vcc
	v_lshlrev_b32_sdwa v55, v55, v39 dst_sel:DWORD dst_unused:UNUSED_PAD src0_sel:DWORD src1_sel:WORD_1
	v_bfrev_b32_e32 v56, 60
	v_lshlrev_b32_e32 v52, 20, v52
	v_and_b32_e32 v55, 0x80000000, v55
	v_lshl_add_u32 v38, v38, 23, v56
	v_or3_b32 v38, v55, v38, v52
	v_lshrrev_b32_e32 v55, 16, v38
.LBB874_149:
	s_or_b64 exec, exec, s[10:11]
.LBB874_150:
	s_or_b64 exec, exec, s[8:9]
.LBB874_151:
	s_or_b64 exec, exec, s[2:3]
	s_mov_b32 s2, 0xffffff
	v_cmp_lt_u32_e32 vcc, s2, v39
	v_mov_b32_e32 v52, 0
	v_mov_b32_e32 v56, 0
	s_and_saveexec_b64 s[2:3], vcc
	s_cbranch_execz .LBB874_157
; %bb.152:
	v_lshrrev_b32_e32 v38, 24, v39
	s_movk_i32 s8, 0x80
	v_cmp_ne_u32_e32 vcc, s8, v38
	v_mov_b32_e32 v56, 0xffff8000
	s_and_saveexec_b64 s[8:9], vcc
	s_cbranch_execz .LBB874_156
; %bb.153:
	v_bfe_u32 v39, v39, 24, 7
	s_movk_i32 s10, 0x7f
	v_cmp_ne_u32_e32 vcc, s10, v39
	v_mov_b32_e32 v56, 0x7f80
	s_and_saveexec_b64 s[10:11], vcc
	s_cbranch_execz .LBB874_155
; %bb.154:
	v_and_b32_e32 v58, 7, v38
	v_ffbh_u32_e32 v56, v58
	v_min_u32_e32 v60, 32, v56
	v_subrev_u32_e32 v56, 28, v60
	v_lshlrev_b64 v[56:57], v56, v[38:39]
	v_lshrrev_b32_e32 v59, 3, v39
	v_sub_u32_e32 v57, 29, v60
	v_and_b32_e32 v56, 7, v56
	v_cmp_gt_u32_e32 vcc, 8, v39
	v_cndmask_b32_e32 v39, v59, v57, vcc
	v_cndmask_b32_e32 v56, v58, v56, vcc
	v_lshlrev_b32_e32 v38, 24, v38
	v_bfrev_b32_e32 v57, 60
	v_lshlrev_b32_e32 v56, 20, v56
	v_and_b32_e32 v38, 0x80000000, v38
	v_lshl_add_u32 v39, v39, 23, v57
	v_or3_b32 v38, v38, v39, v56
	v_lshrrev_b32_e32 v56, 16, v38
.LBB874_155:
	s_or_b64 exec, exec, s[10:11]
.LBB874_156:
	s_or_b64 exec, exec, s[8:9]
.LBB874_157:
	s_or_b64 exec, exec, s[2:3]
	s_mov_b32 s2, 0x5040100
	v_perm_b32 v39, v54, v44, s2
	v_perm_b32 v38, v43, v53, s2
	v_cmp_ne_u16_sdwa s[8:9], v40, v52 src0_sel:BYTE_0 src1_sel:DWORD
	s_nop 0
	v_mfma_f32_16x16x16bf16_1k v[58:61], v[38:39], v[26:27], 0
	v_perm_b32 v39, v56, v55, s2
	v_perm_b32 v38, v42, v45, s2
	s_nop 1
	v_mfma_f32_16x16x16bf16_1k v[42:45], v[38:39], v[28:29], v[58:61]
	s_and_saveexec_b64 s[2:3], s[8:9]
	s_cbranch_execz .LBB874_163
; %bb.158:
	s_movk_i32 s8, 0x80
	v_cmp_ne_u16_sdwa s[10:11], v40, s8 src0_sel:BYTE_0 src1_sel:DWORD
	v_mov_b32_e32 v52, 0xffff8000
	s_and_saveexec_b64 s[8:9], s[10:11]
	s_cbranch_execz .LBB874_162
; %bb.159:
	s_movk_i32 s10, 0x7f
	v_and_b32_e32 v38, 0x7f, v40
	v_cmp_ne_u32_e32 vcc, s10, v38
	v_mov_b32_e32 v52, 0x7f80
	s_and_saveexec_b64 s[10:11], vcc
	s_cbranch_execz .LBB874_161
; %bb.160:
	v_and_b32_e32 v39, 7, v40
	v_ffbh_u32_e32 v52, v39
	v_min_u32_e32 v55, 32, v52
	v_subrev_u32_e32 v52, 28, v55
	v_lshlrev_b64 v[52:53], v52, v[40:41]
	v_lshrrev_b32_e32 v54, 3, v38
	v_sub_u32_e32 v53, 29, v55
	v_and_b32_e32 v52, 7, v52
	v_cmp_gt_u32_e32 vcc, 8, v38
	v_cndmask_b32_e32 v38, v54, v53, vcc
	v_cndmask_b32_e32 v39, v39, v52, vcc
	v_lshlrev_b32_e32 v52, 24, v40
	v_bfrev_b32_e32 v53, 60
	v_lshlrev_b32_e32 v39, 20, v39
	v_and_b32_e32 v52, 0x80000000, v52
	v_lshl_add_u32 v38, v38, 23, v53
	v_or3_b32 v38, v52, v38, v39
	v_lshrrev_b32_e32 v52, 16, v38
.LBB874_161:
	s_or_b64 exec, exec, s[10:11]
.LBB874_162:
	s_or_b64 exec, exec, s[8:9]
.LBB874_163:
	s_or_b64 exec, exec, s[2:3]
	v_lshrrev_b16_e32 v38, 8, v40
	v_cmp_ne_u16_e32 vcc, 0, v38
	v_mov_b32_e32 v54, 0
	v_mov_b32_e32 v39, 0
	s_and_saveexec_b64 s[2:3], vcc
	s_cbranch_execz .LBB874_169
; %bb.164:
	s_movk_i32 s8, 0x80
	v_cmp_ne_u16_e32 vcc, s8, v38
	v_mov_b32_e32 v39, 0xffff8000
	s_and_saveexec_b64 s[8:9], vcc
	s_cbranch_execz .LBB874_168
; %bb.165:
	s_movk_i32 s10, 0x7f
	v_and_b32_e32 v53, 0x7f, v38
	v_cmp_ne_u32_e32 vcc, s10, v53
	v_mov_b32_e32 v39, 0x7f80
	s_and_saveexec_b64 s[10:11], vcc
	s_cbranch_execz .LBB874_167
; %bb.166:
	v_and_b32_e32 v55, 7, v38
	v_ffbh_u32_e32 v39, v55
	v_min_u32_e32 v57, 32, v39
	v_subrev_u32_e32 v39, 28, v57
	v_lshlrev_b64 v[38:39], v39, v[38:39]
	v_lshrrev_b32_e32 v56, 3, v53
	v_sub_u32_e32 v39, 29, v57
	v_and_b32_e32 v38, 7, v38
	v_cmp_gt_u32_e32 vcc, 8, v53
	v_cndmask_b32_e32 v39, v56, v39, vcc
	v_cndmask_b32_e32 v38, v55, v38, vcc
	v_lshlrev_b32_e32 v53, 16, v40
	v_bfrev_b32_e32 v55, 60
	v_lshlrev_b32_e32 v38, 20, v38
	v_and_b32_e32 v53, 0x80000000, v53
	v_lshl_add_u32 v39, v39, 23, v55
	v_or3_b32 v38, v53, v39, v38
	v_lshrrev_b32_e32 v39, 16, v38
.LBB874_167:
	s_or_b64 exec, exec, s[10:11]
.LBB874_168:
	s_or_b64 exec, exec, s[8:9]
.LBB874_169:
	s_or_b64 exec, exec, s[2:3]
	s_movk_i32 s2, 0xff
	v_and_b32_sdwa v53, v40, s2 dst_sel:DWORD dst_unused:UNUSED_PAD src0_sel:WORD_1 src1_sel:DWORD
	v_lshrrev_b32_e32 v38, 16, v40
	v_cmp_ne_u16_e32 vcc, 0, v53
	s_and_saveexec_b64 s[2:3], vcc
	s_cbranch_execz .LBB874_175
; %bb.170:
	s_movk_i32 s8, 0x80
	v_cmp_ne_u16_e32 vcc, s8, v53
	v_mov_b32_e32 v54, 0xffff8000
	s_and_saveexec_b64 s[8:9], vcc
	s_cbranch_execz .LBB874_174
; %bb.171:
	v_bfe_u32 v53, v40, 16, 7
	s_movk_i32 s10, 0x7f
	v_cmp_ne_u32_e32 vcc, s10, v53
	v_mov_b32_e32 v54, 0x7f80
	s_and_saveexec_b64 s[10:11], vcc
	s_cbranch_execz .LBB874_173
; %bb.172:
	v_and_b32_e32 v56, 7, v38
	v_ffbh_u32_e32 v54, v56
	v_min_u32_e32 v58, 32, v54
	v_subrev_u32_e32 v54, 28, v58
	v_lshlrev_b64 v[54:55], v54, v[38:39]
	v_and_b32_e32 v54, 7, v54
	v_cmp_gt_u32_e32 vcc, 8, v53
	v_lshrrev_b32_e32 v57, 3, v53
	v_sub_u32_e32 v38, 29, v58
	v_cndmask_b32_e32 v53, v56, v54, vcc
	v_mov_b32_e32 v54, 24
	v_cndmask_b32_e32 v38, v57, v38, vcc
	v_lshlrev_b32_sdwa v54, v54, v40 dst_sel:DWORD dst_unused:UNUSED_PAD src0_sel:DWORD src1_sel:WORD_1
	v_bfrev_b32_e32 v55, 60
	v_lshlrev_b32_e32 v53, 20, v53
	v_and_b32_e32 v54, 0x80000000, v54
	v_lshl_add_u32 v38, v38, 23, v55
	v_or3_b32 v38, v54, v38, v53
	v_lshrrev_b32_e32 v54, 16, v38
.LBB874_173:
	s_or_b64 exec, exec, s[10:11]
.LBB874_174:
	s_or_b64 exec, exec, s[8:9]
.LBB874_175:
	s_or_b64 exec, exec, s[2:3]
	s_mov_b32 s2, 0xffffff
	v_cmp_lt_u32_e32 vcc, s2, v40
	v_mov_b32_e32 v55, 0
	v_mov_b32_e32 v56, 0
	s_and_saveexec_b64 s[2:3], vcc
	s_cbranch_execz .LBB874_181
; %bb.176:
	v_lshrrev_b32_e32 v38, 24, v40
	s_movk_i32 s8, 0x80
	v_cmp_ne_u32_e32 vcc, s8, v38
	v_mov_b32_e32 v56, 0xffff8000
	s_and_saveexec_b64 s[8:9], vcc
	s_cbranch_execz .LBB874_180
; %bb.177:
	v_bfe_u32 v40, v40, 24, 7
	s_movk_i32 s10, 0x7f
	v_cmp_ne_u32_e32 vcc, s10, v40
	v_mov_b32_e32 v56, 0x7f80
	s_and_saveexec_b64 s[10:11], vcc
	s_cbranch_execz .LBB874_179
; %bb.178:
	v_and_b32_e32 v53, 7, v38
	v_ffbh_u32_e32 v56, v53
	v_min_u32_e32 v59, 32, v56
	v_subrev_u32_e32 v56, 28, v59
	v_lshlrev_b64 v[56:57], v56, v[38:39]
	v_lshrrev_b32_e32 v58, 3, v40
	v_sub_u32_e32 v57, 29, v59
	v_and_b32_e32 v56, 7, v56
	v_cmp_gt_u32_e32 vcc, 8, v40
	v_cndmask_b32_e32 v40, v58, v57, vcc
	v_cndmask_b32_e32 v53, v53, v56, vcc
	v_lshlrev_b32_e32 v38, 24, v38
	v_bfrev_b32_e32 v56, 60
	v_lshlrev_b32_e32 v53, 20, v53
	v_and_b32_e32 v38, 0x80000000, v38
	v_lshl_add_u32 v40, v40, 23, v56
	v_or3_b32 v38, v38, v40, v53
	v_lshrrev_b32_e32 v56, 16, v38
.LBB874_179:
	s_or_b64 exec, exec, s[10:11]
.LBB874_180:
	s_or_b64 exec, exec, s[8:9]
.LBB874_181:
	s_or_b64 exec, exec, s[2:3]
	v_cmp_ne_u16_sdwa s[8:9], v41, v55 src0_sel:BYTE_0 src1_sel:DWORD
	s_and_saveexec_b64 s[2:3], s[8:9]
	s_cbranch_execz .LBB874_187
; %bb.182:
	s_movk_i32 s8, 0x80
	v_cmp_ne_u16_sdwa s[10:11], v41, s8 src0_sel:BYTE_0 src1_sel:DWORD
	v_mov_b32_e32 v55, 0xffff8000
	s_and_saveexec_b64 s[8:9], s[10:11]
	s_cbranch_execz .LBB874_186
; %bb.183:
	s_movk_i32 s10, 0x7f
	v_and_b32_e32 v38, 0x7f, v41
	v_cmp_ne_u32_e32 vcc, s10, v38
	v_mov_b32_e32 v55, 0x7f80
	s_and_saveexec_b64 s[10:11], vcc
	s_cbranch_execz .LBB874_185
; %bb.184:
	v_and_b32_e32 v53, 7, v41
	v_ffbh_u32_e32 v57, v53
	v_min_u32_e32 v57, 32, v57
	v_mov_b32_e32 v40, v41
	v_subrev_u32_e32 v58, 28, v57
	v_lshlrev_b64 v[58:59], v58, v[40:41]
	v_lshrrev_b32_e32 v55, 3, v38
	v_sub_u32_e32 v40, 29, v57
	v_and_b32_e32 v57, 7, v58
	v_cmp_gt_u32_e32 vcc, 8, v38
	v_cndmask_b32_e32 v38, v55, v40, vcc
	v_cndmask_b32_e32 v40, v53, v57, vcc
	v_lshlrev_b32_e32 v53, 24, v41
	v_bfrev_b32_e32 v55, 60
	v_lshlrev_b32_e32 v40, 20, v40
	v_and_b32_e32 v53, 0x80000000, v53
	v_lshl_add_u32 v38, v38, 23, v55
	v_or3_b32 v38, v53, v38, v40
	v_lshrrev_b32_e32 v55, 16, v38
.LBB874_185:
	s_or_b64 exec, exec, s[10:11]
.LBB874_186:
	s_or_b64 exec, exec, s[8:9]
.LBB874_187:
	s_or_b64 exec, exec, s[2:3]
	v_lshrrev_b16_e32 v38, 8, v41
	v_cmp_ne_u16_e32 vcc, 0, v38
	v_mov_b32_e32 v57, 0
	v_mov_b32_e32 v40, 0
	s_and_saveexec_b64 s[2:3], vcc
	s_cbranch_execz .LBB874_193
; %bb.188:
	s_movk_i32 s8, 0x80
	v_cmp_ne_u16_e32 vcc, s8, v38
	v_mov_b32_e32 v40, 0xffff8000
	s_and_saveexec_b64 s[8:9], vcc
	s_cbranch_execz .LBB874_192
; %bb.189:
	s_movk_i32 s10, 0x7f
	v_and_b32_e32 v53, 0x7f, v38
	v_cmp_ne_u32_e32 vcc, s10, v53
	v_mov_b32_e32 v40, 0x7f80
	s_and_saveexec_b64 s[10:11], vcc
	s_cbranch_execz .LBB874_191
; %bb.190:
	v_and_b32_e32 v40, 7, v38
	v_ffbh_u32_e32 v58, v40
	v_min_u32_e32 v61, 32, v58
	v_subrev_u32_e32 v58, 28, v61
	v_lshlrev_b64 v[58:59], v58, v[38:39]
	v_lshrrev_b32_e32 v60, 3, v53
	v_sub_u32_e32 v38, 29, v61
	v_and_b32_e32 v58, 7, v58
	v_cmp_gt_u32_e32 vcc, 8, v53
	v_cndmask_b32_e32 v38, v60, v38, vcc
	v_cndmask_b32_e32 v40, v40, v58, vcc
	v_lshlrev_b32_e32 v53, 16, v41
	v_bfrev_b32_e32 v58, 60
	v_lshlrev_b32_e32 v40, 20, v40
	v_and_b32_e32 v53, 0x80000000, v53
	v_lshl_add_u32 v38, v38, 23, v58
	v_or3_b32 v38, v53, v38, v40
	v_lshrrev_b32_e32 v40, 16, v38
.LBB874_191:
	s_or_b64 exec, exec, s[10:11]
.LBB874_192:
	s_or_b64 exec, exec, s[8:9]
.LBB874_193:
	s_or_b64 exec, exec, s[2:3]
	s_movk_i32 s2, 0xff
	v_and_b32_sdwa v53, v41, s2 dst_sel:DWORD dst_unused:UNUSED_PAD src0_sel:WORD_1 src1_sel:DWORD
	v_lshrrev_b32_e32 v38, 16, v41
	v_cmp_ne_u16_e32 vcc, 0, v53
	s_and_saveexec_b64 s[2:3], vcc
	s_cbranch_execz .LBB874_199
; %bb.194:
	s_movk_i32 s8, 0x80
	v_cmp_ne_u16_e32 vcc, s8, v53
	v_mov_b32_e32 v57, 0xffff8000
	s_and_saveexec_b64 s[8:9], vcc
	s_cbranch_execz .LBB874_198
; %bb.195:
	v_bfe_u32 v53, v41, 16, 7
	s_movk_i32 s10, 0x7f
	v_cmp_ne_u32_e32 vcc, s10, v53
	v_mov_b32_e32 v57, 0x7f80
	s_and_saveexec_b64 s[10:11], vcc
	s_cbranch_execz .LBB874_197
; %bb.196:
	v_and_b32_e32 v57, 7, v38
	v_ffbh_u32_e32 v58, v57
	v_min_u32_e32 v61, 32, v58
	v_subrev_u32_e32 v58, 28, v61
	v_lshlrev_b64 v[58:59], v58, v[38:39]
	v_and_b32_e32 v58, 7, v58
	v_cmp_gt_u32_e32 vcc, 8, v53
	v_lshrrev_b32_e32 v60, 3, v53
	v_sub_u32_e32 v38, 29, v61
	v_cndmask_b32_e32 v53, v57, v58, vcc
	v_mov_b32_e32 v57, 24
	v_cndmask_b32_e32 v38, v60, v38, vcc
	v_lshlrev_b32_sdwa v57, v57, v41 dst_sel:DWORD dst_unused:UNUSED_PAD src0_sel:DWORD src1_sel:WORD_1
	v_bfrev_b32_e32 v58, 60
	v_lshlrev_b32_e32 v53, 20, v53
	v_and_b32_e32 v57, 0x80000000, v57
	v_lshl_add_u32 v38, v38, 23, v58
	v_or3_b32 v38, v57, v38, v53
	v_lshrrev_b32_e32 v57, 16, v38
.LBB874_197:
	s_or_b64 exec, exec, s[10:11]
.LBB874_198:
	s_or_b64 exec, exec, s[8:9]
.LBB874_199:
	s_or_b64 exec, exec, s[2:3]
	s_mov_b32 s2, 0xffffff
	v_cmp_lt_u32_e32 vcc, s2, v41
	v_mov_b32_e32 v53, 0
	v_mov_b32_e32 v58, 0
	s_and_saveexec_b64 s[2:3], vcc
	s_cbranch_execz .LBB874_205
; %bb.200:
	v_lshrrev_b32_e32 v38, 24, v41
	s_movk_i32 s8, 0x80
	v_cmp_ne_u32_e32 vcc, s8, v38
	v_mov_b32_e32 v58, 0xffff8000
	s_and_saveexec_b64 s[8:9], vcc
	s_cbranch_execz .LBB874_204
; %bb.201:
	v_bfe_u32 v41, v41, 24, 7
	s_movk_i32 s10, 0x7f
	v_cmp_ne_u32_e32 vcc, s10, v41
	v_mov_b32_e32 v58, 0x7f80
	s_and_saveexec_b64 s[10:11], vcc
	s_cbranch_execz .LBB874_203
; %bb.202:
	v_and_b32_e32 v60, 7, v38
	v_ffbh_u32_e32 v58, v60
	v_min_u32_e32 v62, 32, v58
	v_subrev_u32_e32 v58, 28, v62
	v_lshlrev_b64 v[58:59], v58, v[38:39]
	v_lshrrev_b32_e32 v61, 3, v41
	v_sub_u32_e32 v59, 29, v62
	v_and_b32_e32 v58, 7, v58
	v_cmp_gt_u32_e32 vcc, 8, v41
	v_cndmask_b32_e32 v41, v61, v59, vcc
	v_cndmask_b32_e32 v58, v60, v58, vcc
	v_lshlrev_b32_e32 v38, 24, v38
	v_bfrev_b32_e32 v59, 60
	v_lshlrev_b32_e32 v58, 20, v58
	v_and_b32_e32 v38, 0x80000000, v38
	v_lshl_add_u32 v41, v41, 23, v59
	v_or3_b32 v38, v38, v41, v58
	v_lshrrev_b32_e32 v58, 16, v38
.LBB874_203:
	s_or_b64 exec, exec, s[10:11]
.LBB874_204:
	s_or_b64 exec, exec, s[8:9]
.LBB874_205:
	s_or_b64 exec, exec, s[2:3]
	s_mov_b32 s2, 0x5040100
	v_perm_b32 v61, v56, v54, s2
	v_perm_b32 v60, v39, v52, s2
	v_perm_b32 v39, v58, v57, s2
	v_perm_b32 v38, v40, v55, s2
	v_cmp_ne_u16_sdwa s[8:9], v30, v53 src0_sel:BYTE_0 src1_sel:DWORD
	v_mfma_f32_16x16x16bf16_1k v[42:45], v[60:61], v[18:19], v[42:45]
	v_mfma_f32_16x16x16bf16_1k v[38:41], v[38:39], v[20:21], v[42:45]
	s_and_saveexec_b64 s[2:3], s[8:9]
	s_cbranch_execz .LBB874_211
; %bb.206:
	s_movk_i32 s8, 0x80
	v_cmp_ne_u16_sdwa s[10:11], v30, s8 src0_sel:BYTE_0 src1_sel:DWORD
	v_mov_b32_e32 v53, 0xffff8000
	s_and_saveexec_b64 s[8:9], s[10:11]
	s_cbranch_execz .LBB874_210
; %bb.207:
	s_movk_i32 s10, 0x7f
	s_nop 1
	v_and_b32_e32 v42, 0x7f, v30
	v_cmp_ne_u32_e32 vcc, s10, v42
	v_mov_b32_e32 v53, 0x7f80
	s_and_saveexec_b64 s[10:11], vcc
	s_cbranch_execz .LBB874_209
; %bb.208:
	v_and_b32_e32 v43, 7, v30
	v_ffbh_u32_e32 v44, v43
	v_min_u32_e32 v53, 32, v44
	v_subrev_u32_e32 v44, 28, v53
	v_lshlrev_b64 v[44:45], v44, v[30:31]
	v_lshrrev_b32_e32 v52, 3, v42
	v_sub_u32_e32 v45, 29, v53
	v_and_b32_e32 v44, 7, v44
	v_cmp_gt_u32_e32 vcc, 8, v42
	v_cndmask_b32_e32 v42, v52, v45, vcc
	v_cndmask_b32_e32 v43, v43, v44, vcc
	v_lshlrev_b32_e32 v44, 24, v30
	v_bfrev_b32_e32 v45, 60
	v_lshlrev_b32_e32 v43, 20, v43
	v_and_b32_e32 v44, 0x80000000, v44
	v_lshl_add_u32 v42, v42, 23, v45
	v_or3_b32 v42, v44, v42, v43
	v_lshrrev_b32_e32 v53, 16, v42
.LBB874_209:
	s_or_b64 exec, exec, s[10:11]
.LBB874_210:
	s_or_b64 exec, exec, s[8:9]
.LBB874_211:
	s_or_b64 exec, exec, s[2:3]
	s_nop 6
	v_lshrrev_b16_e32 v42, 8, v30
	v_cmp_ne_u16_e32 vcc, 0, v42
	v_mov_b32_e32 v44, 0
	v_mov_b32_e32 v43, 0
	s_and_saveexec_b64 s[2:3], vcc
	s_cbranch_execz .LBB874_217
; %bb.212:
	s_movk_i32 s8, 0x80
	v_cmp_ne_u16_e32 vcc, s8, v42
	v_mov_b32_e32 v43, 0xffff8000
	s_and_saveexec_b64 s[8:9], vcc
	s_cbranch_execz .LBB874_216
; %bb.213:
	s_movk_i32 s10, 0x7f
	v_and_b32_e32 v45, 0x7f, v42
	v_cmp_ne_u32_e32 vcc, s10, v45
	v_mov_b32_e32 v43, 0x7f80
	s_and_saveexec_b64 s[10:11], vcc
	s_cbranch_execz .LBB874_215
; %bb.214:
	v_and_b32_e32 v52, 7, v42
	v_ffbh_u32_e32 v43, v52
	v_min_u32_e32 v55, 32, v43
	v_subrev_u32_e32 v43, 28, v55
	v_lshlrev_b64 v[42:43], v43, v[42:43]
	v_lshrrev_b32_e32 v54, 3, v45
	v_sub_u32_e32 v43, 29, v55
	v_and_b32_e32 v42, 7, v42
	v_cmp_gt_u32_e32 vcc, 8, v45
	v_cndmask_b32_e32 v43, v54, v43, vcc
	v_cndmask_b32_e32 v42, v52, v42, vcc
	v_lshlrev_b32_e32 v45, 16, v30
	v_bfrev_b32_e32 v52, 60
	v_lshlrev_b32_e32 v42, 20, v42
	v_and_b32_e32 v45, 0x80000000, v45
	v_lshl_add_u32 v43, v43, 23, v52
	v_or3_b32 v42, v45, v43, v42
	v_lshrrev_b32_e32 v43, 16, v42
.LBB874_215:
	s_or_b64 exec, exec, s[10:11]
.LBB874_216:
	s_or_b64 exec, exec, s[8:9]
.LBB874_217:
	s_or_b64 exec, exec, s[2:3]
	s_movk_i32 s2, 0xff
	v_and_b32_sdwa v45, v30, s2 dst_sel:DWORD dst_unused:UNUSED_PAD src0_sel:WORD_1 src1_sel:DWORD
	v_lshrrev_b32_e32 v42, 16, v30
	v_cmp_ne_u16_e32 vcc, 0, v45
	s_and_saveexec_b64 s[2:3], vcc
	s_cbranch_execz .LBB874_223
; %bb.218:
	s_movk_i32 s8, 0x80
	v_cmp_ne_u16_e32 vcc, s8, v45
	v_mov_b32_e32 v44, 0xffff8000
	s_and_saveexec_b64 s[8:9], vcc
	s_cbranch_execz .LBB874_222
; %bb.219:
	v_bfe_u32 v45, v30, 16, 7
	s_movk_i32 s10, 0x7f
	v_cmp_ne_u32_e32 vcc, s10, v45
	v_mov_b32_e32 v44, 0x7f80
	s_and_saveexec_b64 s[10:11], vcc
	s_cbranch_execz .LBB874_221
; %bb.220:
	v_and_b32_e32 v44, 7, v42
	v_ffbh_u32_e32 v54, v44
	v_min_u32_e32 v56, 32, v54
	v_subrev_u32_e32 v54, 28, v56
	v_lshlrev_b64 v[54:55], v54, v[42:43]
	v_lshrrev_b32_e32 v52, 3, v45
	v_sub_u32_e32 v42, 29, v56
	v_and_b32_e32 v54, 7, v54
	v_cmp_gt_u32_e32 vcc, 8, v45
	v_mov_b32_e32 v45, 24
	v_cndmask_b32_e32 v42, v52, v42, vcc
	v_cndmask_b32_e32 v44, v44, v54, vcc
	v_lshlrev_b32_sdwa v45, v45, v30 dst_sel:DWORD dst_unused:UNUSED_PAD src0_sel:DWORD src1_sel:WORD_1
	v_bfrev_b32_e32 v52, 60
	v_lshlrev_b32_e32 v44, 20, v44
	v_and_b32_e32 v45, 0x80000000, v45
	v_lshl_add_u32 v42, v42, 23, v52
	v_or3_b32 v42, v45, v42, v44
	v_lshrrev_b32_e32 v44, 16, v42
.LBB874_221:
	s_or_b64 exec, exec, s[10:11]
.LBB874_222:
	s_or_b64 exec, exec, s[8:9]
.LBB874_223:
	s_or_b64 exec, exec, s[2:3]
	s_mov_b32 s2, 0xffffff
	v_cmp_lt_u32_e32 vcc, s2, v30
	v_mov_b32_e32 v45, 0
	v_mov_b32_e32 v54, 0
	s_and_saveexec_b64 s[2:3], vcc
	s_cbranch_execz .LBB874_229
; %bb.224:
	v_lshrrev_b32_e32 v42, 24, v30
	s_movk_i32 s8, 0x80
	v_cmp_ne_u32_e32 vcc, s8, v42
	v_mov_b32_e32 v54, 0xffff8000
	s_and_saveexec_b64 s[8:9], vcc
	s_cbranch_execz .LBB874_228
; %bb.225:
	v_bfe_u32 v30, v30, 24, 7
	s_movk_i32 s10, 0x7f
	v_cmp_ne_u32_e32 vcc, s10, v30
	v_mov_b32_e32 v54, 0x7f80
	s_and_saveexec_b64 s[10:11], vcc
	s_cbranch_execz .LBB874_227
; %bb.226:
	v_and_b32_e32 v52, 7, v42
	v_ffbh_u32_e32 v54, v52
	v_min_u32_e32 v57, 32, v54
	v_subrev_u32_e32 v54, 28, v57
	v_lshlrev_b64 v[54:55], v54, v[42:43]
	v_lshrrev_b32_e32 v56, 3, v30
	v_sub_u32_e32 v55, 29, v57
	v_and_b32_e32 v54, 7, v54
	v_cmp_gt_u32_e32 vcc, 8, v30
	v_cndmask_b32_e32 v30, v56, v55, vcc
	v_cndmask_b32_e32 v52, v52, v54, vcc
	v_lshlrev_b32_e32 v42, 24, v42
	v_bfrev_b32_e32 v54, 60
	v_lshlrev_b32_e32 v52, 20, v52
	v_and_b32_e32 v42, 0x80000000, v42
	v_lshl_add_u32 v30, v30, 23, v54
	v_or3_b32 v30, v42, v30, v52
	v_lshrrev_b32_e32 v54, 16, v30
.LBB874_227:
	s_or_b64 exec, exec, s[10:11]
.LBB874_228:
	s_or_b64 exec, exec, s[8:9]
.LBB874_229:
	s_or_b64 exec, exec, s[2:3]
	v_cmp_ne_u16_sdwa s[8:9], v31, v45 src0_sel:BYTE_0 src1_sel:DWORD
	s_and_saveexec_b64 s[2:3], s[8:9]
	s_cbranch_execz .LBB874_235
; %bb.230:
	s_movk_i32 s8, 0x80
	v_cmp_ne_u16_sdwa s[10:11], v31, s8 src0_sel:BYTE_0 src1_sel:DWORD
	v_mov_b32_e32 v45, 0xffff8000
	s_and_saveexec_b64 s[8:9], s[10:11]
	s_cbranch_execz .LBB874_234
; %bb.231:
	s_movk_i32 s10, 0x7f
	v_and_b32_e32 v30, 0x7f, v31
	v_cmp_ne_u32_e32 vcc, s10, v30
	v_mov_b32_e32 v45, 0x7f80
	s_and_saveexec_b64 s[10:11], vcc
	s_cbranch_execz .LBB874_233
; %bb.232:
	v_and_b32_e32 v45, 7, v31
	v_ffbh_u32_e32 v55, v45
	v_min_u32_e32 v55, 32, v55
	v_mov_b32_e32 v42, v31
	v_subrev_u32_e32 v56, 28, v55
	v_lshlrev_b64 v[56:57], v56, v[42:43]
	v_lshrrev_b32_e32 v52, 3, v30
	v_sub_u32_e32 v42, 29, v55
	v_and_b32_e32 v55, 7, v56
	v_cmp_gt_u32_e32 vcc, 8, v30
	v_cndmask_b32_e32 v30, v52, v42, vcc
	v_cndmask_b32_e32 v42, v45, v55, vcc
	v_lshlrev_b32_e32 v45, 24, v31
	v_bfrev_b32_e32 v52, 60
	v_lshlrev_b32_e32 v42, 20, v42
	v_and_b32_e32 v45, 0x80000000, v45
	v_lshl_add_u32 v30, v30, 23, v52
	v_or3_b32 v30, v45, v30, v42
	v_lshrrev_b32_e32 v45, 16, v30
.LBB874_233:
	s_or_b64 exec, exec, s[10:11]
.LBB874_234:
	s_or_b64 exec, exec, s[8:9]
.LBB874_235:
	s_or_b64 exec, exec, s[2:3]
	v_lshrrev_b16_e32 v30, 8, v31
	v_cmp_ne_u16_e32 vcc, 0, v30
	v_mov_b32_e32 v55, 0
	v_mov_b32_e32 v42, 0
	s_and_saveexec_b64 s[2:3], vcc
	s_cbranch_execz .LBB874_241
; %bb.236:
	s_movk_i32 s8, 0x80
	v_cmp_ne_u16_e32 vcc, s8, v30
	v_mov_b32_e32 v42, 0xffff8000
	s_and_saveexec_b64 s[8:9], vcc
	s_cbranch_execz .LBB874_240
; %bb.237:
	s_movk_i32 s10, 0x7f
	v_and_b32_e32 v52, 0x7f, v30
	v_cmp_ne_u32_e32 vcc, s10, v52
	v_mov_b32_e32 v42, 0x7f80
	s_and_saveexec_b64 s[10:11], vcc
	s_cbranch_execz .LBB874_239
; %bb.238:
	v_and_b32_e32 v42, 7, v30
	v_ffbh_u32_e32 v56, v42
	v_min_u32_e32 v59, 32, v56
	v_subrev_u32_e32 v56, 28, v59
	v_lshlrev_b64 v[56:57], v56, v[30:31]
	v_lshrrev_b32_e32 v58, 3, v52
	v_sub_u32_e32 v30, 29, v59
	v_and_b32_e32 v56, 7, v56
	v_cmp_gt_u32_e32 vcc, 8, v52
	v_cndmask_b32_e32 v30, v58, v30, vcc
	v_cndmask_b32_e32 v42, v42, v56, vcc
	v_lshlrev_b32_e32 v52, 16, v31
	v_bfrev_b32_e32 v56, 60
	v_lshlrev_b32_e32 v42, 20, v42
	v_and_b32_e32 v52, 0x80000000, v52
	v_lshl_add_u32 v30, v30, 23, v56
	v_or3_b32 v30, v52, v30, v42
	v_lshrrev_b32_e32 v42, 16, v30
.LBB874_239:
	s_or_b64 exec, exec, s[10:11]
.LBB874_240:
	s_or_b64 exec, exec, s[8:9]
.LBB874_241:
	s_or_b64 exec, exec, s[2:3]
	s_movk_i32 s2, 0xff
	v_and_b32_sdwa v52, v31, s2 dst_sel:DWORD dst_unused:UNUSED_PAD src0_sel:WORD_1 src1_sel:DWORD
	v_lshrrev_b32_e32 v30, 16, v31
	v_cmp_ne_u16_e32 vcc, 0, v52
	s_and_saveexec_b64 s[2:3], vcc
	s_cbranch_execz .LBB874_247
; %bb.242:
	s_movk_i32 s8, 0x80
	v_cmp_ne_u16_e32 vcc, s8, v52
	v_mov_b32_e32 v55, 0xffff8000
	s_and_saveexec_b64 s[8:9], vcc
	s_cbranch_execz .LBB874_246
; %bb.243:
	v_bfe_u32 v52, v31, 16, 7
	s_movk_i32 s10, 0x7f
	v_cmp_ne_u32_e32 vcc, s10, v52
	v_mov_b32_e32 v55, 0x7f80
	s_and_saveexec_b64 s[10:11], vcc
	s_cbranch_execz .LBB874_245
; %bb.244:
	v_and_b32_e32 v55, 7, v30
	v_ffbh_u32_e32 v56, v55
	v_min_u32_e32 v59, 32, v56
	v_subrev_u32_e32 v56, 28, v59
	v_lshlrev_b64 v[56:57], v56, v[30:31]
	v_and_b32_e32 v56, 7, v56
	v_cmp_gt_u32_e32 vcc, 8, v52
	v_lshrrev_b32_e32 v58, 3, v52
	v_sub_u32_e32 v30, 29, v59
	v_cndmask_b32_e32 v52, v55, v56, vcc
	v_mov_b32_e32 v55, 24
	v_cndmask_b32_e32 v30, v58, v30, vcc
	v_lshlrev_b32_sdwa v55, v55, v31 dst_sel:DWORD dst_unused:UNUSED_PAD src0_sel:DWORD src1_sel:WORD_1
	v_bfrev_b32_e32 v56, 60
	v_lshlrev_b32_e32 v52, 20, v52
	v_and_b32_e32 v55, 0x80000000, v55
	v_lshl_add_u32 v30, v30, 23, v56
	v_or3_b32 v30, v55, v30, v52
	v_lshrrev_b32_e32 v55, 16, v30
.LBB874_245:
	s_or_b64 exec, exec, s[10:11]
.LBB874_246:
	s_or_b64 exec, exec, s[8:9]
.LBB874_247:
	s_or_b64 exec, exec, s[2:3]
	s_mov_b32 s2, 0xffffff
	v_cmp_lt_u32_e32 vcc, s2, v31
	v_mov_b32_e32 v52, 0
	v_mov_b32_e32 v56, 0
	s_and_saveexec_b64 s[2:3], vcc
	s_cbranch_execz .LBB874_253
; %bb.248:
	v_lshrrev_b32_e32 v30, 24, v31
	s_movk_i32 s8, 0x80
	v_cmp_ne_u32_e32 vcc, s8, v30
	v_mov_b32_e32 v56, 0xffff8000
	s_and_saveexec_b64 s[8:9], vcc
	s_cbranch_execz .LBB874_252
; %bb.249:
	v_bfe_u32 v31, v31, 24, 7
	s_movk_i32 s10, 0x7f
	v_cmp_ne_u32_e32 vcc, s10, v31
	v_mov_b32_e32 v56, 0x7f80
	s_and_saveexec_b64 s[10:11], vcc
	s_cbranch_execz .LBB874_251
; %bb.250:
	v_and_b32_e32 v58, 7, v30
	v_ffbh_u32_e32 v56, v58
	v_min_u32_e32 v60, 32, v56
	v_subrev_u32_e32 v56, 28, v60
	v_lshlrev_b64 v[56:57], v56, v[30:31]
	v_lshrrev_b32_e32 v59, 3, v31
	v_sub_u32_e32 v57, 29, v60
	v_and_b32_e32 v56, 7, v56
	v_cmp_gt_u32_e32 vcc, 8, v31
	v_cndmask_b32_e32 v31, v59, v57, vcc
	v_cndmask_b32_e32 v56, v58, v56, vcc
	v_lshlrev_b32_e32 v30, 24, v30
	v_bfrev_b32_e32 v57, 60
	v_lshlrev_b32_e32 v56, 20, v56
	v_and_b32_e32 v30, 0x80000000, v30
	v_lshl_add_u32 v31, v31, 23, v57
	v_or3_b32 v30, v30, v31, v56
	v_lshrrev_b32_e32 v56, 16, v30
.LBB874_251:
	s_or_b64 exec, exec, s[10:11]
.LBB874_252:
	s_or_b64 exec, exec, s[8:9]
.LBB874_253:
	s_or_b64 exec, exec, s[2:3]
	s_mov_b32 s2, 0x5040100
	v_perm_b32 v31, v54, v44, s2
	v_perm_b32 v30, v43, v53, s2
	v_cmp_ne_u16_sdwa s[8:9], v32, v52 src0_sel:BYTE_0 src1_sel:DWORD
	s_nop 0
	v_mfma_f32_16x16x16bf16_1k v[58:61], v[30:31], v[26:27], 0
	v_perm_b32 v31, v56, v55, s2
	v_perm_b32 v30, v42, v45, s2
	s_nop 1
	v_mfma_f32_16x16x16bf16_1k v[42:45], v[30:31], v[28:29], v[58:61]
	s_and_saveexec_b64 s[2:3], s[8:9]
	s_cbranch_execz .LBB874_259
; %bb.254:
	s_movk_i32 s8, 0x80
	v_cmp_ne_u16_sdwa s[10:11], v32, s8 src0_sel:BYTE_0 src1_sel:DWORD
	v_mov_b32_e32 v52, 0xffff8000
	s_and_saveexec_b64 s[8:9], s[10:11]
	s_cbranch_execz .LBB874_258
; %bb.255:
	s_movk_i32 s10, 0x7f
	v_and_b32_e32 v30, 0x7f, v32
	v_cmp_ne_u32_e32 vcc, s10, v30
	v_mov_b32_e32 v52, 0x7f80
	s_and_saveexec_b64 s[10:11], vcc
	s_cbranch_execz .LBB874_257
; %bb.256:
	v_and_b32_e32 v31, 7, v32
	v_ffbh_u32_e32 v52, v31
	v_min_u32_e32 v55, 32, v52
	v_subrev_u32_e32 v52, 28, v55
	v_lshlrev_b64 v[52:53], v52, v[32:33]
	v_lshrrev_b32_e32 v54, 3, v30
	v_sub_u32_e32 v53, 29, v55
	v_and_b32_e32 v52, 7, v52
	v_cmp_gt_u32_e32 vcc, 8, v30
	v_cndmask_b32_e32 v30, v54, v53, vcc
	v_cndmask_b32_e32 v31, v31, v52, vcc
	v_lshlrev_b32_e32 v52, 24, v32
	v_bfrev_b32_e32 v53, 60
	v_lshlrev_b32_e32 v31, 20, v31
	v_and_b32_e32 v52, 0x80000000, v52
	v_lshl_add_u32 v30, v30, 23, v53
	v_or3_b32 v30, v52, v30, v31
	v_lshrrev_b32_e32 v52, 16, v30
.LBB874_257:
	s_or_b64 exec, exec, s[10:11]
.LBB874_258:
	s_or_b64 exec, exec, s[8:9]
.LBB874_259:
	s_or_b64 exec, exec, s[2:3]
	v_lshrrev_b16_e32 v30, 8, v32
	v_cmp_ne_u16_e32 vcc, 0, v30
	v_mov_b32_e32 v54, 0
	v_mov_b32_e32 v31, 0
	s_and_saveexec_b64 s[2:3], vcc
	s_cbranch_execz .LBB874_265
; %bb.260:
	s_movk_i32 s8, 0x80
	v_cmp_ne_u16_e32 vcc, s8, v30
	v_mov_b32_e32 v31, 0xffff8000
	s_and_saveexec_b64 s[8:9], vcc
	s_cbranch_execz .LBB874_264
; %bb.261:
	s_movk_i32 s10, 0x7f
	v_and_b32_e32 v53, 0x7f, v30
	v_cmp_ne_u32_e32 vcc, s10, v53
	v_mov_b32_e32 v31, 0x7f80
	s_and_saveexec_b64 s[10:11], vcc
	s_cbranch_execz .LBB874_263
; %bb.262:
	v_and_b32_e32 v55, 7, v30
	v_ffbh_u32_e32 v31, v55
	v_min_u32_e32 v57, 32, v31
	v_subrev_u32_e32 v31, 28, v57
	v_lshlrev_b64 v[30:31], v31, v[30:31]
	v_lshrrev_b32_e32 v56, 3, v53
	v_sub_u32_e32 v31, 29, v57
	v_and_b32_e32 v30, 7, v30
	v_cmp_gt_u32_e32 vcc, 8, v53
	v_cndmask_b32_e32 v31, v56, v31, vcc
	v_cndmask_b32_e32 v30, v55, v30, vcc
	v_lshlrev_b32_e32 v53, 16, v32
	v_bfrev_b32_e32 v55, 60
	v_lshlrev_b32_e32 v30, 20, v30
	v_and_b32_e32 v53, 0x80000000, v53
	v_lshl_add_u32 v31, v31, 23, v55
	v_or3_b32 v30, v53, v31, v30
	v_lshrrev_b32_e32 v31, 16, v30
.LBB874_263:
	s_or_b64 exec, exec, s[10:11]
.LBB874_264:
	s_or_b64 exec, exec, s[8:9]
.LBB874_265:
	s_or_b64 exec, exec, s[2:3]
	s_movk_i32 s2, 0xff
	v_and_b32_sdwa v53, v32, s2 dst_sel:DWORD dst_unused:UNUSED_PAD src0_sel:WORD_1 src1_sel:DWORD
	v_lshrrev_b32_e32 v30, 16, v32
	v_cmp_ne_u16_e32 vcc, 0, v53
	s_and_saveexec_b64 s[2:3], vcc
	s_cbranch_execz .LBB874_271
; %bb.266:
	s_movk_i32 s8, 0x80
	v_cmp_ne_u16_e32 vcc, s8, v53
	v_mov_b32_e32 v54, 0xffff8000
	s_and_saveexec_b64 s[8:9], vcc
	s_cbranch_execz .LBB874_270
; %bb.267:
	v_bfe_u32 v53, v32, 16, 7
	s_movk_i32 s10, 0x7f
	v_cmp_ne_u32_e32 vcc, s10, v53
	v_mov_b32_e32 v54, 0x7f80
	s_and_saveexec_b64 s[10:11], vcc
	s_cbranch_execz .LBB874_269
; %bb.268:
	v_and_b32_e32 v56, 7, v30
	v_ffbh_u32_e32 v54, v56
	v_min_u32_e32 v58, 32, v54
	v_subrev_u32_e32 v54, 28, v58
	v_lshlrev_b64 v[54:55], v54, v[30:31]
	v_and_b32_e32 v54, 7, v54
	v_cmp_gt_u32_e32 vcc, 8, v53
	v_lshrrev_b32_e32 v57, 3, v53
	v_sub_u32_e32 v30, 29, v58
	v_cndmask_b32_e32 v53, v56, v54, vcc
	v_mov_b32_e32 v54, 24
	v_cndmask_b32_e32 v30, v57, v30, vcc
	v_lshlrev_b32_sdwa v54, v54, v32 dst_sel:DWORD dst_unused:UNUSED_PAD src0_sel:DWORD src1_sel:WORD_1
	v_bfrev_b32_e32 v55, 60
	v_lshlrev_b32_e32 v53, 20, v53
	v_and_b32_e32 v54, 0x80000000, v54
	v_lshl_add_u32 v30, v30, 23, v55
	v_or3_b32 v30, v54, v30, v53
	v_lshrrev_b32_e32 v54, 16, v30
.LBB874_269:
	s_or_b64 exec, exec, s[10:11]
.LBB874_270:
	s_or_b64 exec, exec, s[8:9]
.LBB874_271:
	s_or_b64 exec, exec, s[2:3]
	s_mov_b32 s2, 0xffffff
	v_cmp_lt_u32_e32 vcc, s2, v32
	v_mov_b32_e32 v55, 0
	v_mov_b32_e32 v56, 0
	s_and_saveexec_b64 s[2:3], vcc
	s_cbranch_execz .LBB874_277
; %bb.272:
	v_lshrrev_b32_e32 v30, 24, v32
	s_movk_i32 s8, 0x80
	v_cmp_ne_u32_e32 vcc, s8, v30
	v_mov_b32_e32 v56, 0xffff8000
	s_and_saveexec_b64 s[8:9], vcc
	s_cbranch_execz .LBB874_276
; %bb.273:
	v_bfe_u32 v32, v32, 24, 7
	s_movk_i32 s10, 0x7f
	v_cmp_ne_u32_e32 vcc, s10, v32
	v_mov_b32_e32 v56, 0x7f80
	s_and_saveexec_b64 s[10:11], vcc
	s_cbranch_execz .LBB874_275
; %bb.274:
	v_and_b32_e32 v53, 7, v30
	v_ffbh_u32_e32 v56, v53
	v_min_u32_e32 v59, 32, v56
	v_subrev_u32_e32 v56, 28, v59
	v_lshlrev_b64 v[56:57], v56, v[30:31]
	v_lshrrev_b32_e32 v58, 3, v32
	v_sub_u32_e32 v57, 29, v59
	v_and_b32_e32 v56, 7, v56
	v_cmp_gt_u32_e32 vcc, 8, v32
	v_cndmask_b32_e32 v32, v58, v57, vcc
	v_cndmask_b32_e32 v53, v53, v56, vcc
	v_lshlrev_b32_e32 v30, 24, v30
	v_bfrev_b32_e32 v56, 60
	v_lshlrev_b32_e32 v53, 20, v53
	v_and_b32_e32 v30, 0x80000000, v30
	v_lshl_add_u32 v32, v32, 23, v56
	v_or3_b32 v30, v30, v32, v53
	v_lshrrev_b32_e32 v56, 16, v30
.LBB874_275:
	s_or_b64 exec, exec, s[10:11]
.LBB874_276:
	s_or_b64 exec, exec, s[8:9]
.LBB874_277:
	s_or_b64 exec, exec, s[2:3]
	v_cmp_ne_u16_sdwa s[8:9], v33, v55 src0_sel:BYTE_0 src1_sel:DWORD
	s_and_saveexec_b64 s[2:3], s[8:9]
	s_cbranch_execz .LBB874_283
; %bb.278:
	s_movk_i32 s8, 0x80
	v_cmp_ne_u16_sdwa s[10:11], v33, s8 src0_sel:BYTE_0 src1_sel:DWORD
	v_mov_b32_e32 v55, 0xffff8000
	s_and_saveexec_b64 s[8:9], s[10:11]
	s_cbranch_execz .LBB874_282
; %bb.279:
	s_movk_i32 s10, 0x7f
	v_and_b32_e32 v30, 0x7f, v33
	v_cmp_ne_u32_e32 vcc, s10, v30
	v_mov_b32_e32 v55, 0x7f80
	s_and_saveexec_b64 s[10:11], vcc
	s_cbranch_execz .LBB874_281
; %bb.280:
	v_and_b32_e32 v53, 7, v33
	v_ffbh_u32_e32 v57, v53
	v_min_u32_e32 v57, 32, v57
	v_mov_b32_e32 v32, v33
	v_subrev_u32_e32 v58, 28, v57
	v_lshlrev_b64 v[58:59], v58, v[32:33]
	v_lshrrev_b32_e32 v55, 3, v30
	v_sub_u32_e32 v32, 29, v57
	v_and_b32_e32 v57, 7, v58
	v_cmp_gt_u32_e32 vcc, 8, v30
	v_cndmask_b32_e32 v30, v55, v32, vcc
	v_cndmask_b32_e32 v32, v53, v57, vcc
	v_lshlrev_b32_e32 v53, 24, v33
	v_bfrev_b32_e32 v55, 60
	v_lshlrev_b32_e32 v32, 20, v32
	v_and_b32_e32 v53, 0x80000000, v53
	v_lshl_add_u32 v30, v30, 23, v55
	v_or3_b32 v30, v53, v30, v32
	v_lshrrev_b32_e32 v55, 16, v30
.LBB874_281:
	s_or_b64 exec, exec, s[10:11]
.LBB874_282:
	s_or_b64 exec, exec, s[8:9]
.LBB874_283:
	s_or_b64 exec, exec, s[2:3]
	v_lshrrev_b16_e32 v30, 8, v33
	v_cmp_ne_u16_e32 vcc, 0, v30
	v_mov_b32_e32 v57, 0
	v_mov_b32_e32 v32, 0
	s_and_saveexec_b64 s[2:3], vcc
	s_cbranch_execz .LBB874_289
; %bb.284:
	s_movk_i32 s8, 0x80
	v_cmp_ne_u16_e32 vcc, s8, v30
	v_mov_b32_e32 v32, 0xffff8000
	s_and_saveexec_b64 s[8:9], vcc
	s_cbranch_execz .LBB874_288
; %bb.285:
	s_movk_i32 s10, 0x7f
	v_and_b32_e32 v53, 0x7f, v30
	v_cmp_ne_u32_e32 vcc, s10, v53
	v_mov_b32_e32 v32, 0x7f80
	s_and_saveexec_b64 s[10:11], vcc
	s_cbranch_execz .LBB874_287
; %bb.286:
	v_and_b32_e32 v32, 7, v30
	v_ffbh_u32_e32 v58, v32
	v_min_u32_e32 v61, 32, v58
	v_subrev_u32_e32 v58, 28, v61
	v_lshlrev_b64 v[58:59], v58, v[30:31]
	v_lshrrev_b32_e32 v60, 3, v53
	v_sub_u32_e32 v30, 29, v61
	v_and_b32_e32 v58, 7, v58
	v_cmp_gt_u32_e32 vcc, 8, v53
	v_cndmask_b32_e32 v30, v60, v30, vcc
	v_cndmask_b32_e32 v32, v32, v58, vcc
	v_lshlrev_b32_e32 v53, 16, v33
	v_bfrev_b32_e32 v58, 60
	v_lshlrev_b32_e32 v32, 20, v32
	v_and_b32_e32 v53, 0x80000000, v53
	v_lshl_add_u32 v30, v30, 23, v58
	v_or3_b32 v30, v53, v30, v32
	v_lshrrev_b32_e32 v32, 16, v30
.LBB874_287:
	s_or_b64 exec, exec, s[10:11]
.LBB874_288:
	s_or_b64 exec, exec, s[8:9]
.LBB874_289:
	s_or_b64 exec, exec, s[2:3]
	s_movk_i32 s2, 0xff
	v_and_b32_sdwa v53, v33, s2 dst_sel:DWORD dst_unused:UNUSED_PAD src0_sel:WORD_1 src1_sel:DWORD
	v_lshrrev_b32_e32 v30, 16, v33
	v_cmp_ne_u16_e32 vcc, 0, v53
	s_and_saveexec_b64 s[2:3], vcc
	s_cbranch_execz .LBB874_295
; %bb.290:
	s_movk_i32 s8, 0x80
	v_cmp_ne_u16_e32 vcc, s8, v53
	v_mov_b32_e32 v57, 0xffff8000
	s_and_saveexec_b64 s[8:9], vcc
	s_cbranch_execz .LBB874_294
; %bb.291:
	v_bfe_u32 v53, v33, 16, 7
	s_movk_i32 s10, 0x7f
	v_cmp_ne_u32_e32 vcc, s10, v53
	v_mov_b32_e32 v57, 0x7f80
	s_and_saveexec_b64 s[10:11], vcc
	s_cbranch_execz .LBB874_293
; %bb.292:
	v_and_b32_e32 v57, 7, v30
	v_ffbh_u32_e32 v58, v57
	v_min_u32_e32 v61, 32, v58
	v_subrev_u32_e32 v58, 28, v61
	v_lshlrev_b64 v[58:59], v58, v[30:31]
	v_and_b32_e32 v58, 7, v58
	v_cmp_gt_u32_e32 vcc, 8, v53
	v_lshrrev_b32_e32 v60, 3, v53
	v_sub_u32_e32 v30, 29, v61
	v_cndmask_b32_e32 v53, v57, v58, vcc
	v_mov_b32_e32 v57, 24
	v_cndmask_b32_e32 v30, v60, v30, vcc
	v_lshlrev_b32_sdwa v57, v57, v33 dst_sel:DWORD dst_unused:UNUSED_PAD src0_sel:DWORD src1_sel:WORD_1
	v_bfrev_b32_e32 v58, 60
	v_lshlrev_b32_e32 v53, 20, v53
	v_and_b32_e32 v57, 0x80000000, v57
	v_lshl_add_u32 v30, v30, 23, v58
	v_or3_b32 v30, v57, v30, v53
	v_lshrrev_b32_e32 v57, 16, v30
.LBB874_293:
	s_or_b64 exec, exec, s[10:11]
.LBB874_294:
	s_or_b64 exec, exec, s[8:9]
.LBB874_295:
	s_or_b64 exec, exec, s[2:3]
	s_mov_b32 s2, 0xffffff
	v_cmp_lt_u32_e32 vcc, s2, v33
	v_mov_b32_e32 v53, 0
	v_mov_b32_e32 v58, 0
	s_and_saveexec_b64 s[2:3], vcc
	s_cbranch_execz .LBB874_301
; %bb.296:
	v_lshrrev_b32_e32 v30, 24, v33
	s_movk_i32 s8, 0x80
	v_cmp_ne_u32_e32 vcc, s8, v30
	v_mov_b32_e32 v58, 0xffff8000
	s_and_saveexec_b64 s[8:9], vcc
	s_cbranch_execz .LBB874_300
; %bb.297:
	v_bfe_u32 v33, v33, 24, 7
	s_movk_i32 s10, 0x7f
	v_cmp_ne_u32_e32 vcc, s10, v33
	v_mov_b32_e32 v58, 0x7f80
	s_and_saveexec_b64 s[10:11], vcc
	s_cbranch_execz .LBB874_299
; %bb.298:
	v_and_b32_e32 v60, 7, v30
	v_ffbh_u32_e32 v58, v60
	v_min_u32_e32 v62, 32, v58
	v_subrev_u32_e32 v58, 28, v62
	v_lshlrev_b64 v[58:59], v58, v[30:31]
	v_lshrrev_b32_e32 v61, 3, v33
	v_sub_u32_e32 v59, 29, v62
	v_and_b32_e32 v58, 7, v58
	v_cmp_gt_u32_e32 vcc, 8, v33
	v_cndmask_b32_e32 v33, v61, v59, vcc
	v_cndmask_b32_e32 v58, v60, v58, vcc
	v_lshlrev_b32_e32 v30, 24, v30
	v_bfrev_b32_e32 v59, 60
	v_lshlrev_b32_e32 v58, 20, v58
	v_and_b32_e32 v30, 0x80000000, v30
	v_lshl_add_u32 v33, v33, 23, v59
	v_or3_b32 v30, v30, v33, v58
	v_lshrrev_b32_e32 v58, 16, v30
.LBB874_299:
	s_or_b64 exec, exec, s[10:11]
.LBB874_300:
	s_or_b64 exec, exec, s[8:9]
.LBB874_301:
	s_or_b64 exec, exec, s[2:3]
	s_mov_b32 s2, 0x5040100
	v_perm_b32 v61, v56, v54, s2
	v_perm_b32 v60, v31, v52, s2
	v_perm_b32 v31, v58, v57, s2
	v_perm_b32 v30, v32, v55, s2
	v_cmp_ne_u16_sdwa s[8:9], v22, v53 src0_sel:BYTE_0 src1_sel:DWORD
	v_mfma_f32_16x16x16bf16_1k v[42:45], v[60:61], v[18:19], v[42:45]
	v_mfma_f32_16x16x16bf16_1k v[30:33], v[30:31], v[20:21], v[42:45]
	s_and_saveexec_b64 s[2:3], s[8:9]
	s_cbranch_execz .LBB874_307
; %bb.302:
	s_movk_i32 s8, 0x80
	v_cmp_ne_u16_sdwa s[10:11], v22, s8 src0_sel:BYTE_0 src1_sel:DWORD
	v_mov_b32_e32 v53, 0xffff8000
	s_and_saveexec_b64 s[8:9], s[10:11]
	s_cbranch_execz .LBB874_306
; %bb.303:
	s_movk_i32 s10, 0x7f
	s_nop 1
	v_and_b32_e32 v42, 0x7f, v22
	v_cmp_ne_u32_e32 vcc, s10, v42
	v_mov_b32_e32 v53, 0x7f80
	s_and_saveexec_b64 s[10:11], vcc
	s_cbranch_execz .LBB874_305
; %bb.304:
	v_and_b32_e32 v43, 7, v22
	v_ffbh_u32_e32 v44, v43
	v_min_u32_e32 v53, 32, v44
	v_subrev_u32_e32 v44, 28, v53
	v_lshlrev_b64 v[44:45], v44, v[22:23]
	v_lshrrev_b32_e32 v52, 3, v42
	v_sub_u32_e32 v45, 29, v53
	v_and_b32_e32 v44, 7, v44
	v_cmp_gt_u32_e32 vcc, 8, v42
	v_cndmask_b32_e32 v42, v52, v45, vcc
	v_cndmask_b32_e32 v43, v43, v44, vcc
	v_lshlrev_b32_e32 v44, 24, v22
	v_bfrev_b32_e32 v45, 60
	v_lshlrev_b32_e32 v43, 20, v43
	v_and_b32_e32 v44, 0x80000000, v44
	v_lshl_add_u32 v42, v42, 23, v45
	v_or3_b32 v42, v44, v42, v43
	v_lshrrev_b32_e32 v53, 16, v42
.LBB874_305:
	s_or_b64 exec, exec, s[10:11]
.LBB874_306:
	s_or_b64 exec, exec, s[8:9]
.LBB874_307:
	s_or_b64 exec, exec, s[2:3]
	s_nop 6
	v_lshrrev_b16_e32 v42, 8, v22
	v_cmp_ne_u16_e32 vcc, 0, v42
	v_mov_b32_e32 v44, 0
	v_mov_b32_e32 v43, 0
	s_and_saveexec_b64 s[2:3], vcc
	s_cbranch_execz .LBB874_313
; %bb.308:
	s_movk_i32 s8, 0x80
	v_cmp_ne_u16_e32 vcc, s8, v42
	v_mov_b32_e32 v43, 0xffff8000
	s_and_saveexec_b64 s[8:9], vcc
	s_cbranch_execz .LBB874_312
; %bb.309:
	s_movk_i32 s10, 0x7f
	v_and_b32_e32 v45, 0x7f, v42
	v_cmp_ne_u32_e32 vcc, s10, v45
	v_mov_b32_e32 v43, 0x7f80
	s_and_saveexec_b64 s[10:11], vcc
	s_cbranch_execz .LBB874_311
; %bb.310:
	v_and_b32_e32 v52, 7, v42
	v_ffbh_u32_e32 v43, v52
	v_min_u32_e32 v55, 32, v43
	v_subrev_u32_e32 v43, 28, v55
	v_lshlrev_b64 v[42:43], v43, v[42:43]
	v_lshrrev_b32_e32 v54, 3, v45
	v_sub_u32_e32 v43, 29, v55
	v_and_b32_e32 v42, 7, v42
	v_cmp_gt_u32_e32 vcc, 8, v45
	v_cndmask_b32_e32 v43, v54, v43, vcc
	v_cndmask_b32_e32 v42, v52, v42, vcc
	v_lshlrev_b32_e32 v45, 16, v22
	v_bfrev_b32_e32 v52, 60
	v_lshlrev_b32_e32 v42, 20, v42
	v_and_b32_e32 v45, 0x80000000, v45
	v_lshl_add_u32 v43, v43, 23, v52
	v_or3_b32 v42, v45, v43, v42
	v_lshrrev_b32_e32 v43, 16, v42
.LBB874_311:
	s_or_b64 exec, exec, s[10:11]
.LBB874_312:
	s_or_b64 exec, exec, s[8:9]
.LBB874_313:
	s_or_b64 exec, exec, s[2:3]
	s_movk_i32 s2, 0xff
	v_and_b32_sdwa v45, v22, s2 dst_sel:DWORD dst_unused:UNUSED_PAD src0_sel:WORD_1 src1_sel:DWORD
	v_lshrrev_b32_e32 v42, 16, v22
	v_cmp_ne_u16_e32 vcc, 0, v45
	s_and_saveexec_b64 s[2:3], vcc
	s_cbranch_execz .LBB874_319
; %bb.314:
	s_movk_i32 s8, 0x80
	v_cmp_ne_u16_e32 vcc, s8, v45
	v_mov_b32_e32 v44, 0xffff8000
	s_and_saveexec_b64 s[8:9], vcc
	s_cbranch_execz .LBB874_318
; %bb.315:
	v_bfe_u32 v45, v22, 16, 7
	s_movk_i32 s10, 0x7f
	v_cmp_ne_u32_e32 vcc, s10, v45
	v_mov_b32_e32 v44, 0x7f80
	s_and_saveexec_b64 s[10:11], vcc
	s_cbranch_execz .LBB874_317
; %bb.316:
	v_and_b32_e32 v44, 7, v42
	v_ffbh_u32_e32 v54, v44
	v_min_u32_e32 v56, 32, v54
	v_subrev_u32_e32 v54, 28, v56
	v_lshlrev_b64 v[54:55], v54, v[42:43]
	v_lshrrev_b32_e32 v52, 3, v45
	v_sub_u32_e32 v42, 29, v56
	v_and_b32_e32 v54, 7, v54
	v_cmp_gt_u32_e32 vcc, 8, v45
	v_mov_b32_e32 v45, 24
	v_cndmask_b32_e32 v42, v52, v42, vcc
	v_cndmask_b32_e32 v44, v44, v54, vcc
	v_lshlrev_b32_sdwa v45, v45, v22 dst_sel:DWORD dst_unused:UNUSED_PAD src0_sel:DWORD src1_sel:WORD_1
	v_bfrev_b32_e32 v52, 60
	v_lshlrev_b32_e32 v44, 20, v44
	v_and_b32_e32 v45, 0x80000000, v45
	v_lshl_add_u32 v42, v42, 23, v52
	v_or3_b32 v42, v45, v42, v44
	v_lshrrev_b32_e32 v44, 16, v42
.LBB874_317:
	s_or_b64 exec, exec, s[10:11]
.LBB874_318:
	s_or_b64 exec, exec, s[8:9]
.LBB874_319:
	s_or_b64 exec, exec, s[2:3]
	s_mov_b32 s2, 0xffffff
	v_cmp_lt_u32_e32 vcc, s2, v22
	v_mov_b32_e32 v45, 0
	v_mov_b32_e32 v52, 0
	s_and_saveexec_b64 s[2:3], vcc
	s_cbranch_execz .LBB874_325
; %bb.320:
	v_lshrrev_b32_e32 v42, 24, v22
	s_movk_i32 s8, 0x80
	v_cmp_ne_u32_e32 vcc, s8, v42
	v_mov_b32_e32 v52, 0xffff8000
	s_and_saveexec_b64 s[8:9], vcc
	s_cbranch_execz .LBB874_324
; %bb.321:
	v_bfe_u32 v22, v22, 24, 7
	s_movk_i32 s10, 0x7f
	v_cmp_ne_u32_e32 vcc, s10, v22
	v_mov_b32_e32 v52, 0x7f80
	s_and_saveexec_b64 s[10:11], vcc
	s_cbranch_execz .LBB874_323
; %bb.322:
	v_and_b32_e32 v52, 7, v42
	v_ffbh_u32_e32 v54, v52
	v_min_u32_e32 v57, 32, v54
	v_subrev_u32_e32 v54, 28, v57
	v_lshlrev_b64 v[54:55], v54, v[42:43]
	v_lshrrev_b32_e32 v56, 3, v22
	v_sub_u32_e32 v55, 29, v57
	v_and_b32_e32 v54, 7, v54
	v_cmp_gt_u32_e32 vcc, 8, v22
	v_cndmask_b32_e32 v22, v56, v55, vcc
	v_cndmask_b32_e32 v52, v52, v54, vcc
	v_lshlrev_b32_e32 v42, 24, v42
	v_bfrev_b32_e32 v54, 60
	v_lshlrev_b32_e32 v52, 20, v52
	v_and_b32_e32 v42, 0x80000000, v42
	v_lshl_add_u32 v22, v22, 23, v54
	v_or3_b32 v22, v42, v22, v52
	v_lshrrev_b32_e32 v52, 16, v22
.LBB874_323:
	s_or_b64 exec, exec, s[10:11]
.LBB874_324:
	s_or_b64 exec, exec, s[8:9]
.LBB874_325:
	s_or_b64 exec, exec, s[2:3]
	v_cmp_ne_u16_sdwa s[8:9], v23, v45 src0_sel:BYTE_0 src1_sel:DWORD
	s_and_saveexec_b64 s[2:3], s[8:9]
	s_cbranch_execz .LBB874_331
; %bb.326:
	s_movk_i32 s8, 0x80
	v_cmp_ne_u16_sdwa s[10:11], v23, s8 src0_sel:BYTE_0 src1_sel:DWORD
	v_mov_b32_e32 v45, 0xffff8000
	s_and_saveexec_b64 s[8:9], s[10:11]
	s_cbranch_execz .LBB874_330
; %bb.327:
	s_movk_i32 s10, 0x7f
	v_and_b32_e32 v22, 0x7f, v23
	v_cmp_ne_u32_e32 vcc, s10, v22
	v_mov_b32_e32 v45, 0x7f80
	s_and_saveexec_b64 s[10:11], vcc
	s_cbranch_execz .LBB874_329
; %bb.328:
	v_and_b32_e32 v45, 7, v23
	v_ffbh_u32_e32 v54, v45
	v_min_u32_e32 v57, 32, v54
	v_mov_b32_e32 v42, v23
	v_subrev_u32_e32 v54, 28, v57
	v_lshlrev_b64 v[54:55], v54, v[42:43]
	v_lshrrev_b32_e32 v56, 3, v22
	v_sub_u32_e32 v42, 29, v57
	v_and_b32_e32 v54, 7, v54
	v_cmp_gt_u32_e32 vcc, 8, v22
	v_cndmask_b32_e32 v22, v56, v42, vcc
	v_cndmask_b32_e32 v42, v45, v54, vcc
	v_lshlrev_b32_e32 v45, 24, v23
	v_bfrev_b32_e32 v54, 60
	v_lshlrev_b32_e32 v42, 20, v42
	v_and_b32_e32 v45, 0x80000000, v45
	v_lshl_add_u32 v22, v22, 23, v54
	v_or3_b32 v22, v45, v22, v42
	v_lshrrev_b32_e32 v45, 16, v22
.LBB874_329:
	s_or_b64 exec, exec, s[10:11]
.LBB874_330:
	s_or_b64 exec, exec, s[8:9]
.LBB874_331:
	s_or_b64 exec, exec, s[2:3]
	v_lshrrev_b16_e32 v22, 8, v23
	v_cmp_ne_u16_e32 vcc, 0, v22
	v_mov_b32_e32 v55, 0
	v_mov_b32_e32 v54, 0
	s_and_saveexec_b64 s[2:3], vcc
	s_cbranch_execz .LBB874_337
; %bb.332:
	s_movk_i32 s8, 0x80
	v_cmp_ne_u16_e32 vcc, s8, v22
	v_mov_b32_e32 v54, 0xffff8000
	s_and_saveexec_b64 s[8:9], vcc
	s_cbranch_execz .LBB874_336
; %bb.333:
	s_movk_i32 s10, 0x7f
	v_and_b32_e32 v42, 0x7f, v22
	v_cmp_ne_u32_e32 vcc, s10, v42
	v_mov_b32_e32 v54, 0x7f80
	s_and_saveexec_b64 s[10:11], vcc
	s_cbranch_execz .LBB874_335
; %bb.334:
	v_and_b32_e32 v54, 7, v22
	v_ffbh_u32_e32 v56, v54
	v_min_u32_e32 v59, 32, v56
	v_subrev_u32_e32 v56, 28, v59
	v_lshlrev_b64 v[56:57], v56, v[22:23]
	v_lshrrev_b32_e32 v58, 3, v42
	v_sub_u32_e32 v22, 29, v59
	v_and_b32_e32 v56, 7, v56
	v_cmp_gt_u32_e32 vcc, 8, v42
	v_cndmask_b32_e32 v22, v58, v22, vcc
	v_cndmask_b32_e32 v42, v54, v56, vcc
	v_lshlrev_b32_e32 v54, 16, v23
	v_bfrev_b32_e32 v56, 60
	v_lshlrev_b32_e32 v42, 20, v42
	v_and_b32_e32 v54, 0x80000000, v54
	v_lshl_add_u32 v22, v22, 23, v56
	v_or3_b32 v22, v54, v22, v42
	v_lshrrev_b32_e32 v54, 16, v22
.LBB874_335:
	s_or_b64 exec, exec, s[10:11]
.LBB874_336:
	s_or_b64 exec, exec, s[8:9]
.LBB874_337:
	s_or_b64 exec, exec, s[2:3]
	s_movk_i32 s2, 0xff
	v_and_b32_sdwa v42, v23, s2 dst_sel:DWORD dst_unused:UNUSED_PAD src0_sel:WORD_1 src1_sel:DWORD
	v_lshrrev_b32_e32 v22, 16, v23
	v_cmp_ne_u16_e32 vcc, 0, v42
	s_and_saveexec_b64 s[2:3], vcc
	s_cbranch_execz .LBB874_343
; %bb.338:
	s_movk_i32 s8, 0x80
	v_cmp_ne_u16_e32 vcc, s8, v42
	v_mov_b32_e32 v55, 0xffff8000
	s_and_saveexec_b64 s[8:9], vcc
	s_cbranch_execz .LBB874_342
; %bb.339:
	v_bfe_u32 v42, v23, 16, 7
	s_movk_i32 s10, 0x7f
	v_cmp_ne_u32_e32 vcc, s10, v42
	v_mov_b32_e32 v55, 0x7f80
	s_and_saveexec_b64 s[10:11], vcc
	s_cbranch_execz .LBB874_341
; %bb.340:
	v_and_b32_e32 v55, 7, v22
	v_ffbh_u32_e32 v56, v55
	v_min_u32_e32 v59, 32, v56
	v_subrev_u32_e32 v56, 28, v59
	v_lshlrev_b64 v[56:57], v56, v[22:23]
	v_and_b32_e32 v56, 7, v56
	v_cmp_gt_u32_e32 vcc, 8, v42
	v_lshrrev_b32_e32 v58, 3, v42
	v_sub_u32_e32 v22, 29, v59
	v_cndmask_b32_e32 v42, v55, v56, vcc
	v_mov_b32_e32 v55, 24
	v_cndmask_b32_e32 v22, v58, v22, vcc
	v_lshlrev_b32_sdwa v55, v55, v23 dst_sel:DWORD dst_unused:UNUSED_PAD src0_sel:DWORD src1_sel:WORD_1
	v_bfrev_b32_e32 v56, 60
	v_lshlrev_b32_e32 v42, 20, v42
	v_and_b32_e32 v55, 0x80000000, v55
	v_lshl_add_u32 v22, v22, 23, v56
	v_or3_b32 v22, v55, v22, v42
	v_lshrrev_b32_e32 v55, 16, v22
.LBB874_341:
	s_or_b64 exec, exec, s[10:11]
.LBB874_342:
	s_or_b64 exec, exec, s[8:9]
.LBB874_343:
	s_or_b64 exec, exec, s[2:3]
	s_mov_b32 s2, 0xffffff
	v_cmp_lt_u32_e32 vcc, s2, v23
	v_mov_b32_e32 v42, 0
	v_mov_b32_e32 v56, 0
	s_and_saveexec_b64 s[2:3], vcc
	s_cbranch_execz .LBB874_349
; %bb.344:
	v_lshrrev_b32_e32 v22, 24, v23
	s_movk_i32 s8, 0x80
	v_cmp_ne_u32_e32 vcc, s8, v22
	v_mov_b32_e32 v56, 0xffff8000
	s_and_saveexec_b64 s[8:9], vcc
	s_cbranch_execz .LBB874_348
; %bb.345:
	v_bfe_u32 v23, v23, 24, 7
	s_movk_i32 s10, 0x7f
	v_cmp_ne_u32_e32 vcc, s10, v23
	v_mov_b32_e32 v56, 0x7f80
	s_and_saveexec_b64 s[10:11], vcc
	s_cbranch_execz .LBB874_347
; %bb.346:
	v_and_b32_e32 v58, 7, v22
	v_ffbh_u32_e32 v56, v58
	v_min_u32_e32 v60, 32, v56
	v_subrev_u32_e32 v56, 28, v60
	v_lshlrev_b64 v[56:57], v56, v[22:23]
	v_lshrrev_b32_e32 v59, 3, v23
	v_sub_u32_e32 v57, 29, v60
	v_and_b32_e32 v56, 7, v56
	v_cmp_gt_u32_e32 vcc, 8, v23
	v_cndmask_b32_e32 v23, v59, v57, vcc
	v_cndmask_b32_e32 v56, v58, v56, vcc
	v_lshlrev_b32_e32 v22, 24, v22
	v_bfrev_b32_e32 v57, 60
	v_lshlrev_b32_e32 v56, 20, v56
	v_and_b32_e32 v22, 0x80000000, v22
	v_lshl_add_u32 v23, v23, 23, v57
	v_or3_b32 v22, v22, v23, v56
	v_lshrrev_b32_e32 v56, 16, v22
.LBB874_347:
	s_or_b64 exec, exec, s[10:11]
.LBB874_348:
	s_or_b64 exec, exec, s[8:9]
.LBB874_349:
	s_or_b64 exec, exec, s[2:3]
	s_mov_b32 s2, 0x5040100
	v_perm_b32 v23, v52, v44, s2
	v_perm_b32 v22, v43, v53, s2
	v_cmp_ne_u16_sdwa s[8:9], v24, v42 src0_sel:BYTE_0 src1_sel:DWORD
	s_nop 0
	v_mfma_f32_16x16x16bf16_1k v[58:61], v[22:23], v[26:27], 0
	v_perm_b32 v23, v56, v55, s2
	v_perm_b32 v22, v54, v45, s2
	s_nop 1
	v_mfma_f32_16x16x16bf16_1k v[26:29], v[22:23], v[28:29], v[58:61]
	s_and_saveexec_b64 s[2:3], s[8:9]
	s_cbranch_execz .LBB874_355
; %bb.350:
	s_movk_i32 s8, 0x80
	v_cmp_ne_u16_sdwa s[10:11], v24, s8 src0_sel:BYTE_0 src1_sel:DWORD
	v_mov_b32_e32 v42, 0xffff8000
	s_and_saveexec_b64 s[8:9], s[10:11]
	s_cbranch_execz .LBB874_354
; %bb.351:
	s_movk_i32 s10, 0x7f
	v_and_b32_e32 v22, 0x7f, v24
	v_cmp_ne_u32_e32 vcc, s10, v22
	v_mov_b32_e32 v42, 0x7f80
	s_and_saveexec_b64 s[10:11], vcc
	s_cbranch_execz .LBB874_353
; %bb.352:
	v_and_b32_e32 v23, 7, v24
	v_ffbh_u32_e32 v42, v23
	v_min_u32_e32 v45, 32, v42
	v_subrev_u32_e32 v42, 28, v45
	v_lshlrev_b64 v[42:43], v42, v[24:25]
	v_lshrrev_b32_e32 v44, 3, v22
	v_sub_u32_e32 v43, 29, v45
	v_and_b32_e32 v42, 7, v42
	v_cmp_gt_u32_e32 vcc, 8, v22
	v_cndmask_b32_e32 v22, v44, v43, vcc
	v_cndmask_b32_e32 v23, v23, v42, vcc
	v_lshlrev_b32_e32 v42, 24, v24
	v_bfrev_b32_e32 v43, 60
	v_lshlrev_b32_e32 v23, 20, v23
	v_and_b32_e32 v42, 0x80000000, v42
	v_lshl_add_u32 v22, v22, 23, v43
	v_or3_b32 v22, v42, v22, v23
	v_lshrrev_b32_e32 v42, 16, v22
.LBB874_353:
	s_or_b64 exec, exec, s[10:11]
.LBB874_354:
	s_or_b64 exec, exec, s[8:9]
.LBB874_355:
	s_or_b64 exec, exec, s[2:3]
	v_lshrrev_b16_e32 v22, 8, v24
	v_cmp_ne_u16_e32 vcc, 0, v22
	v_mov_b32_e32 v43, 0
	v_mov_b32_e32 v23, 0
	s_and_saveexec_b64 s[2:3], vcc
	s_cbranch_execz .LBB874_361
; %bb.356:
	s_movk_i32 s8, 0x80
	v_cmp_ne_u16_e32 vcc, s8, v22
	v_mov_b32_e32 v23, 0xffff8000
	s_and_saveexec_b64 s[8:9], vcc
	s_cbranch_execz .LBB874_360
; %bb.357:
	s_movk_i32 s10, 0x7f
	v_and_b32_e32 v44, 0x7f, v22
	v_cmp_ne_u32_e32 vcc, s10, v44
	v_mov_b32_e32 v23, 0x7f80
	s_and_saveexec_b64 s[10:11], vcc
	s_cbranch_execz .LBB874_359
; %bb.358:
	v_and_b32_e32 v45, 7, v22
	v_ffbh_u32_e32 v23, v45
	v_min_u32_e32 v53, 32, v23
	v_subrev_u32_e32 v23, 28, v53
	v_lshlrev_b64 v[22:23], v23, v[22:23]
	v_lshrrev_b32_e32 v52, 3, v44
	v_sub_u32_e32 v23, 29, v53
	v_and_b32_e32 v22, 7, v22
	v_cmp_gt_u32_e32 vcc, 8, v44
	v_cndmask_b32_e32 v23, v52, v23, vcc
	v_cndmask_b32_e32 v22, v45, v22, vcc
	v_lshlrev_b32_e32 v44, 16, v24
	v_bfrev_b32_e32 v45, 60
	v_lshlrev_b32_e32 v22, 20, v22
	v_and_b32_e32 v44, 0x80000000, v44
	v_lshl_add_u32 v23, v23, 23, v45
	v_or3_b32 v22, v44, v23, v22
	v_lshrrev_b32_e32 v23, 16, v22
.LBB874_359:
	s_or_b64 exec, exec, s[10:11]
.LBB874_360:
	s_or_b64 exec, exec, s[8:9]
.LBB874_361:
	s_or_b64 exec, exec, s[2:3]
	s_movk_i32 s2, 0xff
	v_and_b32_sdwa v44, v24, s2 dst_sel:DWORD dst_unused:UNUSED_PAD src0_sel:WORD_1 src1_sel:DWORD
	v_lshrrev_b32_e32 v22, 16, v24
	v_cmp_ne_u16_e32 vcc, 0, v44
	s_and_saveexec_b64 s[2:3], vcc
	s_cbranch_execz .LBB874_367
; %bb.362:
	s_movk_i32 s8, 0x80
	v_cmp_ne_u16_e32 vcc, s8, v44
	v_mov_b32_e32 v43, 0xffff8000
	s_and_saveexec_b64 s[8:9], vcc
	s_cbranch_execz .LBB874_366
; %bb.363:
	v_bfe_u32 v44, v24, 16, 7
	s_movk_i32 s10, 0x7f
	v_cmp_ne_u32_e32 vcc, s10, v44
	v_mov_b32_e32 v43, 0x7f80
	s_and_saveexec_b64 s[10:11], vcc
	s_cbranch_execz .LBB874_365
; %bb.364:
	v_and_b32_e32 v43, 7, v22
	v_ffbh_u32_e32 v52, v43
	v_min_u32_e32 v54, 32, v52
	v_subrev_u32_e32 v52, 28, v54
	v_lshlrev_b64 v[52:53], v52, v[22:23]
	v_lshrrev_b32_e32 v45, 3, v44
	v_sub_u32_e32 v22, 29, v54
	v_and_b32_e32 v52, 7, v52
	v_cmp_gt_u32_e32 vcc, 8, v44
	v_mov_b32_e32 v44, 24
	v_cndmask_b32_e32 v22, v45, v22, vcc
	v_cndmask_b32_e32 v43, v43, v52, vcc
	v_lshlrev_b32_sdwa v44, v44, v24 dst_sel:DWORD dst_unused:UNUSED_PAD src0_sel:DWORD src1_sel:WORD_1
	v_bfrev_b32_e32 v45, 60
	v_lshlrev_b32_e32 v43, 20, v43
	v_and_b32_e32 v44, 0x80000000, v44
	v_lshl_add_u32 v22, v22, 23, v45
	v_or3_b32 v22, v44, v22, v43
	v_lshrrev_b32_e32 v43, 16, v22
.LBB874_365:
	s_or_b64 exec, exec, s[10:11]
.LBB874_366:
	s_or_b64 exec, exec, s[8:9]
.LBB874_367:
	s_or_b64 exec, exec, s[2:3]
	s_mov_b32 s2, 0xffffff
	v_cmp_lt_u32_e32 vcc, s2, v24
	v_mov_b32_e32 v45, 0
	v_mov_b32_e32 v52, 0
	s_and_saveexec_b64 s[2:3], vcc
	s_cbranch_execz .LBB874_373
; %bb.368:
	v_lshrrev_b32_e32 v22, 24, v24
	s_movk_i32 s8, 0x80
	v_cmp_ne_u32_e32 vcc, s8, v22
	v_mov_b32_e32 v52, 0xffff8000
	s_and_saveexec_b64 s[8:9], vcc
	s_cbranch_execz .LBB874_372
; %bb.369:
	v_bfe_u32 v24, v24, 24, 7
	s_movk_i32 s10, 0x7f
	v_cmp_ne_u32_e32 vcc, s10, v24
	v_mov_b32_e32 v52, 0x7f80
	s_and_saveexec_b64 s[10:11], vcc
	s_cbranch_execz .LBB874_371
; %bb.370:
	v_and_b32_e32 v44, 7, v22
	v_ffbh_u32_e32 v52, v44
	v_min_u32_e32 v55, 32, v52
	v_subrev_u32_e32 v52, 28, v55
	v_lshlrev_b64 v[52:53], v52, v[22:23]
	v_lshrrev_b32_e32 v54, 3, v24
	v_sub_u32_e32 v53, 29, v55
	v_and_b32_e32 v52, 7, v52
	v_cmp_gt_u32_e32 vcc, 8, v24
	v_cndmask_b32_e32 v24, v54, v53, vcc
	v_cndmask_b32_e32 v44, v44, v52, vcc
	v_lshlrev_b32_e32 v22, 24, v22
	v_bfrev_b32_e32 v52, 60
	v_lshlrev_b32_e32 v44, 20, v44
	v_and_b32_e32 v22, 0x80000000, v22
	v_lshl_add_u32 v24, v24, 23, v52
	v_or3_b32 v22, v22, v24, v44
	v_lshrrev_b32_e32 v52, 16, v22
.LBB874_371:
	s_or_b64 exec, exec, s[10:11]
.LBB874_372:
	s_or_b64 exec, exec, s[8:9]
.LBB874_373:
	s_or_b64 exec, exec, s[2:3]
	v_cmp_ne_u16_sdwa s[8:9], v25, v45 src0_sel:BYTE_0 src1_sel:DWORD
	s_and_saveexec_b64 s[2:3], s[8:9]
	s_cbranch_execz .LBB874_379
; %bb.374:
	s_movk_i32 s8, 0x80
	v_cmp_ne_u16_sdwa s[10:11], v25, s8 src0_sel:BYTE_0 src1_sel:DWORD
	v_mov_b32_e32 v45, 0xffff8000
	s_and_saveexec_b64 s[8:9], s[10:11]
	s_cbranch_execz .LBB874_378
; %bb.375:
	s_movk_i32 s10, 0x7f
	v_and_b32_e32 v22, 0x7f, v25
	v_cmp_ne_u32_e32 vcc, s10, v22
	v_mov_b32_e32 v45, 0x7f80
	s_and_saveexec_b64 s[10:11], vcc
	s_cbranch_execz .LBB874_377
; %bb.376:
	v_and_b32_e32 v53, 7, v25
	v_ffbh_u32_e32 v44, v53
	v_min_u32_e32 v55, 32, v44
	v_mov_b32_e32 v24, v25
	v_subrev_u32_e32 v44, 28, v55
	v_lshlrev_b64 v[44:45], v44, v[24:25]
	v_lshrrev_b32_e32 v54, 3, v22
	v_sub_u32_e32 v24, 29, v55
	v_and_b32_e32 v44, 7, v44
	v_cmp_gt_u32_e32 vcc, 8, v22
	v_cndmask_b32_e32 v22, v54, v24, vcc
	v_cndmask_b32_e32 v24, v53, v44, vcc
	v_lshlrev_b32_e32 v44, 24, v25
	v_bfrev_b32_e32 v45, 60
	v_lshlrev_b32_e32 v24, 20, v24
	v_and_b32_e32 v44, 0x80000000, v44
	v_lshl_add_u32 v22, v22, 23, v45
	v_or3_b32 v22, v44, v22, v24
	v_lshrrev_b32_e32 v45, 16, v22
.LBB874_377:
	s_or_b64 exec, exec, s[10:11]
.LBB874_378:
	s_or_b64 exec, exec, s[8:9]
.LBB874_379:
	s_or_b64 exec, exec, s[2:3]
	v_lshrrev_b16_e32 v22, 8, v25
	v_cmp_ne_u16_e32 vcc, 0, v22
	v_mov_b32_e32 v54, 0
	v_mov_b32_e32 v53, 0
	s_and_saveexec_b64 s[2:3], vcc
	s_cbranch_execz .LBB874_385
; %bb.380:
	s_movk_i32 s8, 0x80
	v_cmp_ne_u16_e32 vcc, s8, v22
	v_mov_b32_e32 v53, 0xffff8000
	s_and_saveexec_b64 s[8:9], vcc
	s_cbranch_execz .LBB874_384
; %bb.381:
	s_movk_i32 s10, 0x7f
	v_and_b32_e32 v24, 0x7f, v22
	v_cmp_ne_u32_e32 vcc, s10, v24
	v_mov_b32_e32 v53, 0x7f80
	s_and_saveexec_b64 s[10:11], vcc
	s_cbranch_execz .LBB874_383
; %bb.382:
	v_and_b32_e32 v44, 7, v22
	v_ffbh_u32_e32 v55, v44
	v_min_u32_e32 v55, 32, v55
	v_subrev_u32_e32 v56, 28, v55
	v_lshlrev_b64 v[56:57], v56, v[22:23]
	v_lshrrev_b32_e32 v53, 3, v24
	v_sub_u32_e32 v22, 29, v55
	v_and_b32_e32 v55, 7, v56
	v_cmp_gt_u32_e32 vcc, 8, v24
	v_cndmask_b32_e32 v22, v53, v22, vcc
	v_cndmask_b32_e32 v24, v44, v55, vcc
	v_lshlrev_b32_e32 v44, 16, v25
	v_bfrev_b32_e32 v53, 60
	v_lshlrev_b32_e32 v24, 20, v24
	v_and_b32_e32 v44, 0x80000000, v44
	v_lshl_add_u32 v22, v22, 23, v53
	v_or3_b32 v22, v44, v22, v24
	v_lshrrev_b32_e32 v53, 16, v22
.LBB874_383:
	s_or_b64 exec, exec, s[10:11]
.LBB874_384:
	s_or_b64 exec, exec, s[8:9]
.LBB874_385:
	s_or_b64 exec, exec, s[2:3]
	s_movk_i32 s2, 0xff
	v_and_b32_sdwa v24, v25, s2 dst_sel:DWORD dst_unused:UNUSED_PAD src0_sel:WORD_1 src1_sel:DWORD
	v_lshrrev_b32_e32 v22, 16, v25
	v_cmp_ne_u16_e32 vcc, 0, v24
	s_and_saveexec_b64 s[2:3], vcc
	s_cbranch_execz .LBB874_391
; %bb.386:
	s_movk_i32 s8, 0x80
	v_cmp_ne_u16_e32 vcc, s8, v24
	v_mov_b32_e32 v54, 0xffff8000
	s_and_saveexec_b64 s[8:9], vcc
	s_cbranch_execz .LBB874_390
; %bb.387:
	v_bfe_u32 v24, v25, 16, 7
	s_movk_i32 s10, 0x7f
	v_cmp_ne_u32_e32 vcc, s10, v24
	v_mov_b32_e32 v54, 0x7f80
	s_and_saveexec_b64 s[10:11], vcc
	s_cbranch_execz .LBB874_389
; %bb.388:
	v_and_b32_e32 v44, 7, v22
	v_ffbh_u32_e32 v54, v44
	v_min_u32_e32 v57, 32, v54
	v_subrev_u32_e32 v54, 28, v57
	v_lshlrev_b64 v[54:55], v54, v[22:23]
	v_and_b32_e32 v54, 7, v54
	v_cmp_gt_u32_e32 vcc, 8, v24
	v_lshrrev_b32_e32 v56, 3, v24
	v_sub_u32_e32 v22, 29, v57
	v_cndmask_b32_e32 v24, v44, v54, vcc
	v_mov_b32_e32 v44, 24
	v_cndmask_b32_e32 v22, v56, v22, vcc
	v_lshlrev_b32_sdwa v44, v44, v25 dst_sel:DWORD dst_unused:UNUSED_PAD src0_sel:DWORD src1_sel:WORD_1
	v_bfrev_b32_e32 v54, 60
	v_lshlrev_b32_e32 v24, 20, v24
	v_and_b32_e32 v44, 0x80000000, v44
	v_lshl_add_u32 v22, v22, 23, v54
	v_or3_b32 v22, v44, v22, v24
	v_lshrrev_b32_e32 v54, 16, v22
.LBB874_389:
	s_or_b64 exec, exec, s[10:11]
.LBB874_390:
	s_or_b64 exec, exec, s[8:9]
.LBB874_391:
	s_or_b64 exec, exec, s[2:3]
	s_mov_b32 s2, 0xffffff
	v_and_b32_e32 v44, 63, v0
	v_cmp_lt_u32_e32 vcc, s2, v25
	v_mov_b32_e32 v55, 0
	s_and_saveexec_b64 s[2:3], vcc
	s_cbranch_execz .LBB874_397
; %bb.392:
	v_lshrrev_b32_e32 v22, 24, v25
	s_movk_i32 s8, 0x80
	v_cmp_ne_u32_e32 vcc, s8, v22
	v_mov_b32_e32 v55, 0xffff8000
	s_and_saveexec_b64 s[8:9], vcc
	s_cbranch_execz .LBB874_396
; %bb.393:
	v_bfe_u32 v24, v25, 24, 7
	s_movk_i32 s10, 0x7f
	v_cmp_ne_u32_e32 vcc, s10, v24
	v_mov_b32_e32 v55, 0x7f80
	s_and_saveexec_b64 s[10:11], vcc
	s_cbranch_execz .LBB874_395
; %bb.394:
	v_and_b32_e32 v25, 7, v22
	v_ffbh_u32_e32 v56, v25
	v_min_u32_e32 v58, 32, v56
	v_subrev_u32_e32 v56, 28, v58
	v_lshlrev_b64 v[56:57], v56, v[22:23]
	v_lshrrev_b32_e32 v55, 3, v24
	v_sub_u32_e32 v57, 29, v58
	v_and_b32_e32 v56, 7, v56
	v_cmp_gt_u32_e32 vcc, 8, v24
	v_cndmask_b32_e32 v24, v55, v57, vcc
	v_cndmask_b32_e32 v25, v25, v56, vcc
	v_lshlrev_b32_e32 v22, 24, v22
	v_bfrev_b32_e32 v55, 60
	v_lshlrev_b32_e32 v25, 20, v25
	v_and_b32_e32 v22, 0x80000000, v22
	v_lshl_add_u32 v24, v24, 23, v55
	v_or3_b32 v22, v22, v24, v25
	v_lshrrev_b32_e32 v55, 16, v22
.LBB874_395:
	s_or_b64 exec, exec, s[10:11]
.LBB874_396:
	s_or_b64 exec, exec, s[8:9]
.LBB874_397:
	s_or_b64 exec, exec, s[2:3]
	s_mov_b32 s3, 0x5040100
	v_perm_b32 v43, v52, v43, s3
	v_perm_b32 v42, v23, v42, s3
	s_load_dword s2, s[4:5], 0x1c
	s_mov_b32 s46, 0xff7fffff
	s_waitcnt lgkmcnt(0)
	v_mfma_f32_16x16x16bf16_1k v[26:29], v[42:43], v[18:19], v[26:29]
	v_perm_b32 v19, v55, v54, s3
	v_perm_b32 v18, v53, v45, s3
	v_mov_b32_e32 v22, s2
	v_mul_f32_e32 v52, s12, v22
	v_pk_mul_f32 v[22:23], v[52:53], v[32:33] op_sel_hi:[0,1]
	v_pk_mul_f32 v[32:33], v[52:53], v[38:39] op_sel_hi:[0,1]
	v_and_b32_e32 v38, 0xc0, v0
	v_mfma_f32_16x16x16bf16_1k v[26:29], v[18:19], v[20:21], v[26:29]
	v_add_u32_e32 v38, s18, v38
	v_lshl_or_b32 v38, v1, 2, v38
	v_or_b32_e32 v39, 1, v38
	v_pk_mul_f32 v[24:25], v[52:53], v[30:31] op_sel_hi:[0,1]
	v_pk_mul_f32 v[30:31], v[52:53], v[40:41] op_sel_hi:[0,1]
	v_subrev_u32_e32 v40, s33, v39
	v_pk_mul_f32 v[34:35], v[52:53], v[34:35] op_sel_hi:[0,1]
	s_nop 3
	v_pk_mul_f32 v[20:21], v[52:53], v[26:27] op_sel_hi:[0,1]
	v_add_u32_e32 v27, 1, v40
	v_pk_mul_f32 v[18:19], v[52:53], v[28:29] op_sel_hi:[0,1]
	v_cvt_f32_i32_e32 v27, v27
	v_add_u32_e32 v29, 3, v40
	v_cvt_f32_i32_e32 v29, v29
	v_cvt_f32_i32_e32 v26, v40
	v_pk_mul_f32 v[36:37], v[52:53], v[36:37] op_sel_hi:[0,1]
	v_fmac_f32_e32 v35, v51, v27
	v_add_u32_e32 v27, 16, v40
	v_fmac_f32_e32 v37, v51, v29
	v_cvt_f32_i32_e32 v27, v27
	v_add_u32_e32 v29, 17, v40
	v_fma_f32 v26, v51, v26, v34
	v_cvt_f32_i32_e32 v29, v29
	v_add_u32_e32 v34, 18, v40
	v_cvt_f32_i32_e32 v34, v34
	v_fma_f32 v41, v51, v27, v32
	v_add_u32_e32 v27, 32, v40
	v_fmac_f32_e32 v33, v51, v29
	v_cvt_f32_i32_e32 v27, v27
	v_add_u32_e32 v29, 33, v40
	v_add_u32_e32 v32, 34, v40
	v_fma_f32 v30, v51, v34, v30
	v_cvt_f32_i32_e32 v29, v29
	v_cvt_f32_i32_e32 v32, v32
	v_add_u32_e32 v34, 35, v40
	v_cvt_f32_i32_e32 v34, v34
	v_fma_f32 v24, v51, v27, v24
	v_add_u32_e32 v27, 48, v40
	v_fmac_f32_e32 v25, v51, v29
	v_fma_f32 v22, v51, v32, v22
	v_cvt_f32_i32_e32 v27, v27
	v_add_u32_e32 v29, 49, v40
	v_add_u32_e32 v32, 50, v40
	v_fmac_f32_e32 v23, v51, v34
	v_cvt_f32_i32_e32 v29, v29
	v_cvt_f32_i32_e32 v32, v32
	v_add_u32_e32 v34, 51, v40
	v_add_u32_e32 v28, 2, v40
	v_cvt_f32_i32_e32 v34, v34
	v_cvt_f32_i32_e32 v28, v28
	v_fma_f32 v20, v51, v27, v20
	v_mov_b32_e32 v27, 0xff7fffff
	v_cmp_gt_i32_e64 s[26:27], s33, v38
	v_cmp_gt_i32_e64 s[28:29], s33, v39
	v_fmac_f32_e32 v21, v51, v29
	v_fma_f32 v18, v51, v32, v18
	v_cndmask_b32_e64 v29, v27, v26, s[26:27]
	v_cndmask_b32_e64 v32, v27, v35, s[28:29]
	v_fmac_f32_e32 v19, v51, v34
	v_max3_f32 v29, v29, s46, v32
	v_or_b32_e32 v32, 2, v38
	v_or_b32_e32 v34, 3, v38
	v_fma_f32 v28, v51, v28, v36
	v_cmp_gt_i32_e64 s[30:31], s33, v32
	v_cmp_gt_i32_e64 s[34:35], s33, v34
	v_add_u32_e32 v36, 19, v40
	v_cndmask_b32_e64 v32, v27, v28, s[30:31]
	v_cndmask_b32_e64 v34, v27, v37, s[34:35]
	v_cvt_f32_i32_e32 v36, v36
	v_max3_f32 v29, v29, v32, v34
	v_or_b32_e32 v32, 16, v38
	v_or_b32_e32 v34, 17, v38
	v_cmp_gt_i32_e64 s[36:37], s33, v32
	v_cmp_gt_i32_e64 s[38:39], s33, v34
	v_cndmask_b32_e64 v32, v27, v41, s[36:37]
	v_cndmask_b32_e64 v34, v27, v33, s[38:39]
	v_max3_f32 v29, v29, v32, v34
	v_or_b32_e32 v32, 18, v38
	v_or_b32_e32 v34, 19, v38
	v_fmac_f32_e32 v31, v51, v36
	v_cmp_gt_i32_e64 s[20:21], s33, v32
	v_cmp_gt_i32_e64 s[22:23], s33, v34
	v_cndmask_b32_e64 v32, v27, v30, s[20:21]
	v_cndmask_b32_e64 v34, v27, v31, s[22:23]
	v_max3_f32 v29, v29, v32, v34
	v_or_b32_e32 v32, 32, v38
	v_or_b32_e32 v34, 33, v38
	v_cmp_gt_i32_e64 s[16:17], s33, v32
	v_cmp_gt_i32_e64 s[18:19], s33, v34
	v_cndmask_b32_e64 v32, v27, v24, s[16:17]
	v_cndmask_b32_e64 v34, v27, v25, s[18:19]
	v_max3_f32 v29, v29, v32, v34
	v_or_b32_e32 v32, 34, v38
	v_or_b32_e32 v34, 35, v38
	;; [unrolled: 7-line block ×4, first 2 shown]
	v_cmp_gt_i32_e32 vcc, s33, v32
	v_cmp_gt_i32_e64 s[2:3], s33, v34
	v_cndmask_b32_e32 v32, v27, v18, vcc
	v_cndmask_b32_e64 v27, v27, v19, s[2:3]
	v_max3_f32 v27, v29, v32, v27
	v_mbcnt_lo_u32_b32 v29, -1, 0
	v_mbcnt_hi_u32_b32 v29, -1, v29
	v_and_b32_e32 v32, 64, v29
	v_add_u32_e32 v32, 64, v32
	v_xor_b32_e32 v34, 32, v29
	v_cmp_lt_i32_e64 s[40:41], v34, v32
	v_cndmask_b32_e64 v34, v29, v34, s[40:41]
	v_lshlrev_b32_e32 v36, 2, v34
	ds_bpermute_b32 v34, v36, v27
	s_barrier
	s_waitcnt lgkmcnt(0)
	v_max_f32_e32 v34, v34, v34
	v_max_f32_e32 v27, v27, v34
	v_xor_b32_e32 v34, 16, v29
	v_cmp_lt_i32_e64 s[40:41], v34, v32
	v_cndmask_b32_e64 v29, v29, v34, s[40:41]
	v_lshlrev_b32_e32 v38, 2, v29
	ds_bpermute_b32 v29, v38, v27
	s_waitcnt lgkmcnt(0)
	v_max_f32_e32 v29, v29, v29
	v_max_f32_e32 v32, v27, v29
	v_sub_f32_e32 v26, v26, v32
	v_mul_f32_e32 v26, 0x3fb8aa3b, v26
	v_sub_f32_e32 v27, v35, v32
	v_exp_f32_e32 v26, v26
	v_mul_f32_e32 v27, 0x3fb8aa3b, v27
	v_sub_f32_e32 v28, v28, v32
	v_exp_f32_e32 v27, v27
	v_mul_f32_e32 v28, 0x3fb8aa3b, v28
	v_exp_f32_e32 v28, v28
	v_cndmask_b32_e64 v26, 0, v26, s[26:27]
	v_sub_f32_e32 v34, v37, v32
	v_add_f32_e32 v29, 0, v26
	v_cndmask_b32_e64 v27, 0, v27, s[28:29]
	v_mul_f32_e32 v34, 0x3fb8aa3b, v34
	v_exp_f32_e32 v35, v34
	v_add_f32_e32 v29, v29, v27
	v_cndmask_b32_e64 v34, 0, v28, s[30:31]
	v_add_f32_e32 v28, v29, v34
	v_sub_f32_e32 v29, v41, v32
	v_mul_f32_e32 v29, 0x3fb8aa3b, v29
	v_sub_f32_e32 v33, v33, v32
	v_exp_f32_e32 v29, v29
	v_mul_f32_e32 v33, 0x3fb8aa3b, v33
	v_sub_f32_e32 v30, v30, v32
	v_exp_f32_e32 v33, v33
	;; [unrolled: 3-line block ×3, first 2 shown]
	v_mul_f32_e32 v31, 0x3fb8aa3b, v31
	v_sub_f32_e32 v24, v24, v32
	v_cndmask_b32_e64 v35, 0, v35, s[34:35]
	v_exp_f32_e32 v31, v31
	v_mul_f32_e32 v24, 0x3fb8aa3b, v24
	v_sub_f32_e32 v25, v25, v32
	v_add_f32_e32 v37, v28, v35
	v_cndmask_b32_e64 v28, 0, v29, s[36:37]
	v_exp_f32_e32 v24, v24
	v_mul_f32_e32 v25, 0x3fb8aa3b, v25
	v_sub_f32_e32 v22, v22, v32
	v_add_f32_e32 v37, v37, v28
	;; [unrolled: 5-line block ×7, first 2 shown]
	v_cndmask_b32_e64 v22, 0, v22, s[12:13]
	v_exp_f32_e32 v18, v18
	v_mul_f32_e32 v19, 0x3fb8aa3b, v19
	v_add_f32_e32 v33, v33, v22
	v_cndmask_b32_e64 v23, 0, v23, s[14:15]
	v_exp_f32_e32 v19, v19
	v_add_f32_e32 v33, v33, v23
	v_cndmask_b32_e64 v20, 0, v20, s[8:9]
	v_add_f32_e32 v33, v33, v20
	v_cndmask_b32_e64 v21, 0, v21, s[10:11]
	v_add_f32_e32 v33, v33, v21
	v_cndmask_b32_e32 v18, 0, v18, vcc
	v_add_f32_e32 v33, v33, v18
	v_cndmask_b32_e64 v19, 0, v19, s[2:3]
	v_add_f32_e32 v33, v33, v19
	ds_bpermute_b32 v36, v36, v33
	v_cmp_gt_u32_e64 s[2:3], 16, v44
	s_waitcnt lgkmcnt(0)
	v_add_f32_e32 v36, v33, v36
	ds_bpermute_b32 v37, v38, v36
	v_lshlrev_b32_e32 v33, 2, v49
	s_and_saveexec_b64 s[8:9], s[2:3]
	s_cbranch_execz .LBB874_399
; %bb.398:
	s_waitcnt lgkmcnt(0)
	v_add_f32_e32 v36, v36, v37
	v_lshl_or_b32 v37, v50, 6, v33
	ds_write2st64_b32 v37, v32, v36 offset1:1
.LBB874_399:
	s_or_b64 exec, exec, s[8:9]
	s_waitcnt lgkmcnt(0)
	s_barrier
	ds_read2_b32 v[36:37], v33 offset1:16
	ds_read2_b32 v[38:39], v33 offset0:32 offset1:48
	ds_read2_b32 v[40:41], v33 offset0:64 offset1:80
	s_mul_i32 s14, s45, 13
	s_waitcnt lgkmcnt(2)
	v_max3_f32 v32, v36, s46, v37
	s_waitcnt lgkmcnt(1)
	v_max3_f32 v32, v32, v38, v39
	v_sub_f32_e32 v36, v36, v32
	v_mul_f32_e32 v36, 0x3fb8aa3b, v36
	v_exp_f32_e32 v42, v36
	v_sub_f32_e32 v36, v37, v32
	v_mul_f32_e32 v36, 0x3fb8aa3b, v36
	v_exp_f32_e32 v43, v36
	v_sub_f32_e32 v36, v38, v32
	v_mul_f32_e32 v36, 0x3fb8aa3b, v36
	v_exp_f32_e32 v38, v36
	ds_read2_b32 v[36:37], v33 offset0:96 offset1:112
	v_sub_f32_e32 v33, v39, v32
	v_mul_f32_e32 v33, 0x3fb8aa3b, v33
	v_exp_f32_e32 v39, v33
	s_waitcnt lgkmcnt(1)
	v_fma_f32 v33, v42, v40, 0
	v_fmac_f32_e32 v33, v43, v41
	s_waitcnt lgkmcnt(0)
	v_fmac_f32_e32 v33, v38, v36
	v_fmac_f32_e32 v33, v39, v37
	v_add_f32_e32 v36, 0x358637bd, v33
	v_div_scale_f32 v37, s[8:9], v36, v36, 1.0
	v_rcp_f32_e32 v40, v37
	s_movk_i32 s8, 0x7fff
	s_mov_b32 s9, 0x7060302
	v_fma_f32 v41, -v37, v40, 1.0
	v_fmac_f32_e32 v40, v41, v40
	v_div_scale_f32 v41, vcc, 1.0, v36, 1.0
	v_mul_f32_e32 v44, v41, v40
	v_fma_f32 v45, -v37, v44, v41
	v_fmac_f32_e32 v44, v45, v40
	v_fma_f32 v37, -v37, v44, v41
	v_div_fmas_f32 v37, v37, v40, v44
	v_cmp_eq_u32_e32 vcc, 1, v50
	v_div_fixup_f32 v36, v37, v36, 1.0
	v_cndmask_b32_e32 v37, v42, v43, vcc
	v_cmp_eq_u32_e32 vcc, 2, v50
	v_cndmask_b32_e32 v37, v37, v38, vcc
	v_cmp_eq_u32_e32 vcc, 3, v50
	v_cndmask_b32_e32 v37, v37, v39, vcc
	v_mul_f32_e32 v36, v37, v36
	v_pk_mul_f32 v[26:27], v[36:37], v[26:27] op_sel_hi:[0,1]
	v_pk_mul_f32 v[34:35], v[36:37], v[34:35] op_sel_hi:[0,1]
	v_bfe_u32 v37, v27, 16, 1
	v_bfe_u32 v38, v26, 16, 1
	v_add3_u32 v26, v26, v38, s8
	v_add3_u32 v27, v27, v37, s8
	v_perm_b32 v38, v27, v26, s9
	v_bfe_u32 v26, v35, 16, 1
	v_bfe_u32 v27, v34, 16, 1
	v_add3_u32 v27, v34, v27, s8
	v_add3_u32 v26, v35, v26, s8
	v_perm_b32 v39, v26, v27, s9
	v_lshlrev_b32_e32 v26, 3, v1
	v_lshlrev_b32_e32 v27, 11, v50
	v_pk_mul_f32 v[28:29], v[36:37], v[28:29] op_sel_hi:[0,1]
	v_or3_b32 v26, v27, v48, v26
	v_bfe_u32 v27, v29, 16, 1
	v_bfe_u32 v34, v28, 16, 1
	v_pk_mul_f32 v[30:31], v[36:37], v[30:31] op_sel_hi:[0,1]
	v_add3_u32 v28, v28, v34, s8
	v_add3_u32 v27, v29, v27, s8
	v_perm_b32 v28, v27, v28, s9
	v_bfe_u32 v27, v31, 16, 1
	v_bfe_u32 v29, v30, 16, 1
	v_add3_u32 v29, v30, v29, s8
	v_add3_u32 v27, v31, v27, s8
	v_perm_b32 v29, v27, v29, s9
	v_pk_mul_f32 v[24:25], v[36:37], v[24:25] op_sel_hi:[0,1]
	s_barrier
	ds_write2st64_b64 v26, v[38:39], v[28:29] offset1:1
	v_bfe_u32 v27, v25, 16, 1
	v_bfe_u32 v28, v24, 16, 1
	v_pk_mul_f32 v[22:23], v[36:37], v[22:23] op_sel_hi:[0,1]
	v_add3_u32 v24, v24, v28, s8
	v_add3_u32 v25, v25, v27, s8
	v_perm_b32 v24, v25, v24, s9
	v_bfe_u32 v25, v23, 16, 1
	v_bfe_u32 v27, v22, 16, 1
	v_add3_u32 v22, v22, v27, s8
	v_add3_u32 v23, v23, v25, s8
	v_pk_mul_f32 v[20:21], v[36:37], v[20:21] op_sel_hi:[0,1]
	v_perm_b32 v25, v23, v22, s9
	v_bfe_u32 v22, v21, 16, 1
	v_bfe_u32 v23, v20, 16, 1
	v_pk_mul_f32 v[18:19], v[36:37], v[18:19] op_sel_hi:[0,1]
	v_add3_u32 v20, v20, v23, s8
	v_add3_u32 v21, v21, v22, s8
	v_perm_b32 v20, v21, v20, s9
	v_bfe_u32 v21, v19, 16, 1
	v_bfe_u32 v22, v18, 16, 1
	v_add3_u32 v18, v18, v22, s8
	v_add3_u32 v19, v19, v21, s8
	v_perm_b32 v21, v19, v18, s9
	v_cmp_gt_u32_e32 vcc, 13, v0
	ds_write2st64_b64 v26, v[24:25], v[20:21] offset0:2 offset1:3
	s_and_saveexec_b64 s[8:9], vcc
	s_cbranch_execz .LBB874_401
; %bb.400:
	v_add_co_u32_e32 v20, vcc, s25, v49
	v_addc_co_u32_e64 v21, s[10:11], 0, 0, vcc
	v_mov_b32_e32 v18, s14
	v_mov_b32_e32 v19, 0
	v_mad_u64_u32 v[20:21], s[10:11], s6, v18, v[20:21]
	v_mov_b32_e32 v18, s24
	s_load_dwordx4 s[16:19], s[4:5], 0x58
	s_mul_i32 s7, s7, s14
	v_mad_u64_u32 v[18:19], s[10:11], v20, s44, v[18:19]
	v_add_u32_e32 v21, s7, v21
	v_mov_b32_e32 v20, v19
	v_mad_u64_u32 v[20:21], s[10:11], v21, s44, v[20:21]
	v_mov_b32_e32 v19, v20
	v_lshlrev_b64 v[18:19], 2, v[18:19]
	s_waitcnt lgkmcnt(0)
	v_mov_b32_e32 v21, s19
	v_add_co_u32_e32 v20, vcc, s18, v18
	v_addc_co_u32_e32 v21, vcc, v21, v19, vcc
	global_store_dword v[20:21], v32, off
	v_mov_b32_e32 v20, s17
	v_add_co_u32_e32 v18, vcc, s16, v18
	v_addc_co_u32_e32 v19, vcc, v20, v19, vcc
	global_store_dword v[18:19], v33, off
.LBB874_401:
	s_or_b64 exec, exec, s[8:9]
	v_mov_b32_e32 v19, 0
	s_waitcnt vmcnt(3)
	v_cmp_ne_u16_sdwa s[10:11], v14, v19 src0_sel:BYTE_0 src1_sel:DWORD
	v_mov_b32_e32 v20, 0
	s_waitcnt lgkmcnt(0)
	s_barrier
	s_and_saveexec_b64 s[8:9], s[10:11]
	s_cbranch_execz .LBB874_407
; %bb.402:
	s_movk_i32 s7, 0x80
	v_cmp_ne_u16_sdwa s[12:13], v14, s7 src0_sel:BYTE_0 src1_sel:DWORD
	v_mov_b32_e32 v20, 0xffff8000
	s_and_saveexec_b64 s[10:11], s[12:13]
	s_cbranch_execz .LBB874_406
; %bb.403:
	s_movk_i32 s7, 0x7f
	v_and_b32_e32 v18, 0x7f, v14
	v_cmp_ne_u32_e32 vcc, s7, v18
	v_mov_b32_e32 v20, 0x7f80
	s_and_saveexec_b64 s[12:13], vcc
	s_cbranch_execz .LBB874_405
; %bb.404:
	v_and_b32_e32 v22, 7, v14
	v_ffbh_u32_e32 v20, v22
	v_min_u32_e32 v24, 32, v20
	v_subrev_u32_e32 v20, 28, v24
	v_lshlrev_b64 v[20:21], v20, v[14:15]
	v_lshrrev_b32_e32 v23, 3, v18
	v_sub_u32_e32 v21, 29, v24
	v_and_b32_e32 v20, 7, v20
	v_cmp_gt_u32_e32 vcc, 8, v18
	v_cndmask_b32_e32 v18, v23, v21, vcc
	v_cndmask_b32_e32 v20, v22, v20, vcc
	v_lshlrev_b32_e32 v21, 24, v14
	v_bfrev_b32_e32 v22, 60
	v_lshlrev_b32_e32 v20, 20, v20
	v_and_b32_e32 v21, 0x80000000, v21
	v_lshl_add_u32 v18, v18, 23, v22
	v_or3_b32 v18, v21, v18, v20
	v_lshrrev_b32_e32 v20, 16, v18
.LBB874_405:
	s_or_b64 exec, exec, s[12:13]
.LBB874_406:
	s_or_b64 exec, exec, s[10:11]
.LBB874_407:
	s_or_b64 exec, exec, s[8:9]
	v_lshrrev_b16_e32 v18, 8, v14
	v_cmp_ne_u16_e32 vcc, 0, v18
	s_and_saveexec_b64 s[8:9], vcc
	s_cbranch_execz .LBB874_413
; %bb.408:
	s_movk_i32 s7, 0x80
	v_cmp_ne_u16_e32 vcc, s7, v18
	v_mov_b32_e32 v19, 0xffff8000
	s_and_saveexec_b64 s[10:11], vcc
	s_cbranch_execz .LBB874_412
; %bb.409:
	s_movk_i32 s7, 0x7f
	v_and_b32_e32 v21, 0x7f, v18
	v_cmp_ne_u32_e32 vcc, s7, v21
	v_mov_b32_e32 v19, 0x7f80
	s_and_saveexec_b64 s[12:13], vcc
	s_cbranch_execz .LBB874_411
; %bb.410:
	v_and_b32_e32 v22, 7, v18
	v_ffbh_u32_e32 v19, v22
	v_min_u32_e32 v24, 32, v19
	v_subrev_u32_e32 v19, 28, v24
	v_lshlrev_b64 v[18:19], v19, v[18:19]
	v_lshrrev_b32_e32 v23, 3, v21
	v_sub_u32_e32 v19, 29, v24
	v_and_b32_e32 v18, 7, v18
	v_cmp_gt_u32_e32 vcc, 8, v21
	v_cndmask_b32_e32 v19, v23, v19, vcc
	v_cndmask_b32_e32 v18, v22, v18, vcc
	v_lshlrev_b32_e32 v21, 16, v14
	v_bfrev_b32_e32 v22, 60
	v_lshlrev_b32_e32 v18, 20, v18
	v_and_b32_e32 v21, 0x80000000, v21
	v_lshl_add_u32 v19, v19, 23, v22
	v_or3_b32 v18, v21, v19, v18
	v_lshrrev_b32_e32 v19, 16, v18
.LBB874_411:
	s_or_b64 exec, exec, s[12:13]
.LBB874_412:
	s_or_b64 exec, exec, s[10:11]
.LBB874_413:
	s_or_b64 exec, exec, s[8:9]
	s_movk_i32 s7, 0xff
	v_and_b32_sdwa v23, v14, s7 dst_sel:DWORD dst_unused:UNUSED_PAD src0_sel:WORD_1 src1_sel:DWORD
	v_lshrrev_b32_e32 v18, 16, v14
	v_cmp_ne_u16_e32 vcc, 0, v23
	v_mov_b32_e32 v21, 0
	v_mov_b32_e32 v22, 0
	s_and_saveexec_b64 s[8:9], vcc
	s_cbranch_execz .LBB874_419
; %bb.414:
	s_movk_i32 s7, 0x80
	v_cmp_ne_u16_e32 vcc, s7, v23
	v_mov_b32_e32 v22, 0xffff8000
	s_and_saveexec_b64 s[10:11], vcc
	s_cbranch_execz .LBB874_418
; %bb.415:
	v_bfe_u32 v23, v14, 16, 7
	s_movk_i32 s7, 0x7f
	v_cmp_ne_u32_e32 vcc, s7, v23
	v_mov_b32_e32 v22, 0x7f80
	s_and_saveexec_b64 s[12:13], vcc
	s_cbranch_execz .LBB874_417
; %bb.416:
	v_and_b32_e32 v22, 7, v18
	v_ffbh_u32_e32 v24, v22
	v_min_u32_e32 v28, 32, v24
	v_subrev_u32_e32 v24, 28, v28
	v_lshlrev_b64 v[24:25], v24, v[18:19]
	v_lshrrev_b32_e32 v27, 3, v23
	v_sub_u32_e32 v18, 29, v28
	v_and_b32_e32 v24, 7, v24
	v_cmp_gt_u32_e32 vcc, 8, v23
	v_mov_b32_e32 v23, 24
	v_cndmask_b32_e32 v18, v27, v18, vcc
	v_cndmask_b32_e32 v22, v22, v24, vcc
	v_lshlrev_b32_sdwa v23, v23, v14 dst_sel:DWORD dst_unused:UNUSED_PAD src0_sel:DWORD src1_sel:WORD_1
	v_bfrev_b32_e32 v24, 60
	v_lshlrev_b32_e32 v22, 20, v22
	v_and_b32_e32 v23, 0x80000000, v23
	v_lshl_add_u32 v18, v18, 23, v24
	v_or3_b32 v18, v23, v18, v22
	v_lshrrev_b32_e32 v22, 16, v18
.LBB874_417:
	s_or_b64 exec, exec, s[12:13]
.LBB874_418:
	s_or_b64 exec, exec, s[10:11]
.LBB874_419:
	s_or_b64 exec, exec, s[8:9]
	s_mov_b32 s7, 0xffffff
	v_cmp_lt_u32_e32 vcc, s7, v14
	s_and_saveexec_b64 s[8:9], vcc
	s_cbranch_execz .LBB874_425
; %bb.420:
	v_lshrrev_b32_e32 v18, 24, v14
	s_movk_i32 s7, 0x80
	v_cmp_ne_u32_e32 vcc, s7, v18
	v_mov_b32_e32 v21, 0xffff8000
	s_and_saveexec_b64 s[10:11], vcc
	s_cbranch_execz .LBB874_424
; %bb.421:
	v_bfe_u32 v14, v14, 24, 7
	s_movk_i32 s7, 0x7f
	v_cmp_ne_u32_e32 vcc, s7, v14
	v_mov_b32_e32 v21, 0x7f80
	s_and_saveexec_b64 s[12:13], vcc
	s_cbranch_execz .LBB874_423
; %bb.422:
	v_and_b32_e32 v21, 7, v18
	v_ffbh_u32_e32 v24, v21
	v_min_u32_e32 v27, 32, v24
	v_subrev_u32_e32 v24, 28, v27
	v_lshlrev_b64 v[24:25], v24, v[18:19]
	v_lshrrev_b32_e32 v23, 3, v14
	v_sub_u32_e32 v25, 29, v27
	v_and_b32_e32 v24, 7, v24
	v_cmp_gt_u32_e32 vcc, 8, v14
	v_cndmask_b32_e32 v14, v23, v25, vcc
	v_cndmask_b32_e32 v21, v21, v24, vcc
	v_lshlrev_b32_e32 v18, 24, v18
	v_bfrev_b32_e32 v23, 60
	v_lshlrev_b32_e32 v21, 20, v21
	v_and_b32_e32 v18, 0x80000000, v18
	v_lshl_add_u32 v14, v14, 23, v23
	v_or3_b32 v14, v18, v14, v21
	v_lshrrev_b32_e32 v21, 16, v14
.LBB874_423:
	s_or_b64 exec, exec, s[12:13]
.LBB874_424:
	s_or_b64 exec, exec, s[10:11]
.LBB874_425:
	s_or_b64 exec, exec, s[8:9]
	v_mov_b32_e32 v18, 0
	v_cmp_ne_u16_sdwa s[10:11], v15, v18 src0_sel:BYTE_0 src1_sel:DWORD
	v_mov_b32_e32 v23, 0
	s_and_saveexec_b64 s[8:9], s[10:11]
	s_cbranch_execz .LBB874_431
; %bb.426:
	s_movk_i32 s7, 0x80
	v_cmp_ne_u16_sdwa s[12:13], v15, s7 src0_sel:BYTE_0 src1_sel:DWORD
	v_mov_b32_e32 v23, 0xffff8000
	s_and_saveexec_b64 s[10:11], s[12:13]
	s_cbranch_execz .LBB874_430
; %bb.427:
	s_movk_i32 s7, 0x7f
	v_and_b32_e32 v14, 0x7f, v15
	v_cmp_ne_u32_e32 vcc, s7, v14
	v_mov_b32_e32 v23, 0x7f80
	s_and_saveexec_b64 s[12:13], vcc
	s_cbranch_execz .LBB874_429
; %bb.428:
	v_and_b32_e32 v23, 7, v15
	v_ffbh_u32_e32 v25, v23
	v_min_u32_e32 v28, 32, v25
	v_mov_b32_e32 v24, v15
	v_subrev_u32_e32 v25, 28, v28
	v_lshlrev_b64 v[24:25], v25, v[24:25]
	v_lshrrev_b32_e32 v27, 3, v14
	v_sub_u32_e32 v25, 29, v28
	v_and_b32_e32 v24, 7, v24
	v_cmp_gt_u32_e32 vcc, 8, v14
	v_cndmask_b32_e32 v14, v27, v25, vcc
	v_cndmask_b32_e32 v23, v23, v24, vcc
	v_lshlrev_b32_e32 v24, 24, v15
	v_bfrev_b32_e32 v25, 60
	v_lshlrev_b32_e32 v23, 20, v23
	v_and_b32_e32 v24, 0x80000000, v24
	v_lshl_add_u32 v14, v14, 23, v25
	v_or3_b32 v14, v24, v14, v23
	v_lshrrev_b32_e32 v23, 16, v14
.LBB874_429:
	s_or_b64 exec, exec, s[12:13]
.LBB874_430:
	s_or_b64 exec, exec, s[10:11]
.LBB874_431:
	s_or_b64 exec, exec, s[8:9]
	v_lshrrev_b16_e32 v14, 8, v15
	v_cmp_ne_u16_e32 vcc, 0, v14
	s_and_saveexec_b64 s[8:9], vcc
	s_cbranch_execz .LBB874_437
; %bb.432:
	s_movk_i32 s7, 0x80
	v_cmp_ne_u16_e32 vcc, s7, v14
	v_mov_b32_e32 v18, 0xffff8000
	s_and_saveexec_b64 s[10:11], vcc
	s_cbranch_execz .LBB874_436
; %bb.433:
	s_movk_i32 s7, 0x7f
	v_and_b32_e32 v24, 0x7f, v14
	v_cmp_ne_u32_e32 vcc, s7, v24
	v_mov_b32_e32 v18, 0x7f80
	s_and_saveexec_b64 s[12:13], vcc
	s_cbranch_execz .LBB874_435
; %bb.434:
	v_and_b32_e32 v18, 7, v14
	v_ffbh_u32_e32 v27, v18
	v_min_u32_e32 v27, 32, v27
	v_subrev_u32_e32 v28, 28, v27
	v_lshlrev_b64 v[28:29], v28, v[14:15]
	v_lshrrev_b32_e32 v25, 3, v24
	v_sub_u32_e32 v14, 29, v27
	v_and_b32_e32 v27, 7, v28
	v_cmp_gt_u32_e32 vcc, 8, v24
	v_cndmask_b32_e32 v14, v25, v14, vcc
	v_cndmask_b32_e32 v18, v18, v27, vcc
	v_lshlrev_b32_e32 v24, 16, v15
	v_bfrev_b32_e32 v25, 60
	v_lshlrev_b32_e32 v18, 20, v18
	v_and_b32_e32 v24, 0x80000000, v24
	v_lshl_add_u32 v14, v14, 23, v25
	v_or3_b32 v14, v24, v14, v18
	v_lshrrev_b32_e32 v18, 16, v14
.LBB874_435:
	s_or_b64 exec, exec, s[12:13]
.LBB874_436:
	s_or_b64 exec, exec, s[10:11]
.LBB874_437:
	s_or_b64 exec, exec, s[8:9]
	s_movk_i32 s7, 0xff
	v_and_b32_sdwa v27, v15, s7 dst_sel:DWORD dst_unused:UNUSED_PAD src0_sel:WORD_1 src1_sel:DWORD
	v_lshrrev_b32_e32 v14, 16, v15
	v_cmp_ne_u16_e32 vcc, 0, v27
	v_mov_b32_e32 v24, 0
	v_mov_b32_e32 v25, 0
	s_and_saveexec_b64 s[8:9], vcc
	s_cbranch_execz .LBB874_443
; %bb.438:
	s_movk_i32 s7, 0x80
	v_cmp_ne_u16_e32 vcc, s7, v27
	v_mov_b32_e32 v25, 0xffff8000
	s_and_saveexec_b64 s[10:11], vcc
	s_cbranch_execz .LBB874_442
; %bb.439:
	v_bfe_u32 v27, v15, 16, 7
	s_movk_i32 s7, 0x7f
	v_cmp_ne_u32_e32 vcc, s7, v27
	v_mov_b32_e32 v25, 0x7f80
	s_and_saveexec_b64 s[12:13], vcc
	s_cbranch_execz .LBB874_441
; %bb.440:
	v_and_b32_e32 v25, 7, v14
	v_ffbh_u32_e32 v28, v25
	v_min_u32_e32 v31, 32, v28
	v_subrev_u32_e32 v28, 28, v31
	v_lshlrev_b64 v[28:29], v28, v[14:15]
	v_lshrrev_b32_e32 v30, 3, v27
	v_sub_u32_e32 v14, 29, v31
	v_and_b32_e32 v28, 7, v28
	v_cmp_gt_u32_e32 vcc, 8, v27
	v_mov_b32_e32 v27, 24
	v_cndmask_b32_e32 v14, v30, v14, vcc
	v_cndmask_b32_e32 v25, v25, v28, vcc
	v_lshlrev_b32_sdwa v27, v27, v15 dst_sel:DWORD dst_unused:UNUSED_PAD src0_sel:DWORD src1_sel:WORD_1
	v_bfrev_b32_e32 v28, 60
	v_lshlrev_b32_e32 v25, 20, v25
	v_and_b32_e32 v27, 0x80000000, v27
	v_lshl_add_u32 v14, v14, 23, v28
	v_or3_b32 v14, v27, v14, v25
	v_lshrrev_b32_e32 v25, 16, v14
.LBB874_441:
	s_or_b64 exec, exec, s[12:13]
.LBB874_442:
	s_or_b64 exec, exec, s[10:11]
.LBB874_443:
	s_or_b64 exec, exec, s[8:9]
	s_mov_b32 s7, 0xffffff
	v_cmp_lt_u32_e32 vcc, s7, v15
	s_and_saveexec_b64 s[8:9], vcc
	s_cbranch_execz .LBB874_449
; %bb.444:
	v_lshrrev_b32_e32 v14, 24, v15
	s_movk_i32 s7, 0x80
	v_cmp_ne_u32_e32 vcc, s7, v14
	v_mov_b32_e32 v24, 0xffff8000
	s_and_saveexec_b64 s[10:11], vcc
	s_cbranch_execz .LBB874_448
; %bb.445:
	v_bfe_u32 v15, v15, 24, 7
	s_movk_i32 s7, 0x7f
	v_cmp_ne_u32_e32 vcc, s7, v15
	v_mov_b32_e32 v24, 0x7f80
	s_and_saveexec_b64 s[12:13], vcc
	s_cbranch_execz .LBB874_447
; %bb.446:
	v_and_b32_e32 v24, 7, v14
	v_ffbh_u32_e32 v28, v24
	v_min_u32_e32 v30, 32, v28
	v_subrev_u32_e32 v28, 28, v30
	v_lshlrev_b64 v[28:29], v28, v[14:15]
	v_lshrrev_b32_e32 v27, 3, v15
	v_sub_u32_e32 v29, 29, v30
	v_and_b32_e32 v28, 7, v28
	v_cmp_gt_u32_e32 vcc, 8, v15
	v_cndmask_b32_e32 v15, v27, v29, vcc
	v_cndmask_b32_e32 v24, v24, v28, vcc
	v_lshlrev_b32_e32 v14, 24, v14
	v_bfrev_b32_e32 v27, 60
	v_lshlrev_b32_e32 v24, 20, v24
	v_and_b32_e32 v14, 0x80000000, v14
	v_lshl_add_u32 v15, v15, 23, v27
	v_or3_b32 v14, v14, v15, v24
	v_lshrrev_b32_e32 v24, 16, v14
.LBB874_447:
	s_or_b64 exec, exec, s[12:13]
.LBB874_448:
	s_or_b64 exec, exec, s[10:11]
.LBB874_449:
	s_or_b64 exec, exec, s[8:9]
	s_mov_b32 s7, 0x5040100
	v_perm_b32 v15, v21, v22, s7
	v_lshl_or_b32 v22, v1, 9, v48
	v_perm_b32 v14, v19, v20, s7
	ds_read_b128 v[28:31], v22
	v_perm_b32 v19, v24, v25, s7
	v_perm_b32 v18, v18, v23, s7
	s_waitcnt lgkmcnt(0)
	v_mfma_f32_16x16x16bf16_1k v[32:35], v[14:15], v[28:29], 0
	v_mov_b32_e32 v15, 0
	v_cmp_ne_u16_sdwa s[10:11], v16, v15 src0_sel:BYTE_0 src1_sel:DWORD
	v_mov_b32_e32 v23, 0
	v_mfma_f32_16x16x16bf16_1k v[18:21], v[18:19], v[30:31], v[32:35]
	s_and_saveexec_b64 s[8:9], s[10:11]
	s_cbranch_execz .LBB874_455
; %bb.450:
	s_movk_i32 s7, 0x80
	v_cmp_ne_u16_sdwa s[12:13], v16, s7 src0_sel:BYTE_0 src1_sel:DWORD
	v_mov_b32_e32 v23, 0xffff8000
	s_and_saveexec_b64 s[10:11], s[12:13]
	s_cbranch_execz .LBB874_454
; %bb.451:
	s_movk_i32 s7, 0x7f
	v_and_b32_e32 v14, 0x7f, v16
	v_cmp_ne_u32_e32 vcc, s7, v14
	v_mov_b32_e32 v23, 0x7f80
	s_and_saveexec_b64 s[12:13], vcc
	s_cbranch_execz .LBB874_453
; %bb.452:
	v_and_b32_e32 v23, 7, v16
	v_ffbh_u32_e32 v24, v23
	v_min_u32_e32 v28, 32, v24
	v_subrev_u32_e32 v24, 28, v28
	v_lshlrev_b64 v[24:25], v24, v[16:17]
	v_lshrrev_b32_e32 v27, 3, v14
	v_sub_u32_e32 v25, 29, v28
	v_and_b32_e32 v24, 7, v24
	v_cmp_gt_u32_e32 vcc, 8, v14
	v_cndmask_b32_e32 v14, v27, v25, vcc
	v_cndmask_b32_e32 v23, v23, v24, vcc
	v_lshlrev_b32_e32 v24, 24, v16
	v_bfrev_b32_e32 v25, 60
	v_lshlrev_b32_e32 v23, 20, v23
	v_and_b32_e32 v24, 0x80000000, v24
	v_lshl_add_u32 v14, v14, 23, v25
	v_or3_b32 v14, v24, v14, v23
	v_lshrrev_b32_e32 v23, 16, v14
.LBB874_453:
	s_or_b64 exec, exec, s[12:13]
.LBB874_454:
	s_or_b64 exec, exec, s[10:11]
.LBB874_455:
	s_or_b64 exec, exec, s[8:9]
	v_lshrrev_b16_e32 v14, 8, v16
	v_cmp_ne_u16_e32 vcc, 0, v14
	s_and_saveexec_b64 s[8:9], vcc
	s_cbranch_execz .LBB874_461
; %bb.456:
	s_movk_i32 s7, 0x80
	v_cmp_ne_u16_e32 vcc, s7, v14
	v_mov_b32_e32 v15, 0xffff8000
	s_and_saveexec_b64 s[10:11], vcc
	s_cbranch_execz .LBB874_460
; %bb.457:
	s_movk_i32 s7, 0x7f
	v_and_b32_e32 v24, 0x7f, v14
	v_cmp_ne_u32_e32 vcc, s7, v24
	v_mov_b32_e32 v15, 0x7f80
	s_and_saveexec_b64 s[12:13], vcc
	s_cbranch_execz .LBB874_459
; %bb.458:
	v_and_b32_e32 v25, 7, v14
	v_ffbh_u32_e32 v15, v25
	v_min_u32_e32 v28, 32, v15
	v_subrev_u32_e32 v15, 28, v28
	v_lshlrev_b64 v[14:15], v15, v[14:15]
	v_lshrrev_b32_e32 v27, 3, v24
	v_sub_u32_e32 v15, 29, v28
	v_and_b32_e32 v14, 7, v14
	v_cmp_gt_u32_e32 vcc, 8, v24
	v_cndmask_b32_e32 v15, v27, v15, vcc
	v_cndmask_b32_e32 v14, v25, v14, vcc
	v_lshlrev_b32_e32 v24, 16, v16
	v_bfrev_b32_e32 v25, 60
	v_lshlrev_b32_e32 v14, 20, v14
	v_and_b32_e32 v24, 0x80000000, v24
	v_lshl_add_u32 v15, v15, 23, v25
	v_or3_b32 v14, v24, v15, v14
	v_lshrrev_b32_e32 v15, 16, v14
.LBB874_459:
	s_or_b64 exec, exec, s[12:13]
.LBB874_460:
	s_or_b64 exec, exec, s[10:11]
.LBB874_461:
	s_or_b64 exec, exec, s[8:9]
	s_movk_i32 s7, 0xff
	v_and_b32_sdwa v27, v16, s7 dst_sel:DWORD dst_unused:UNUSED_PAD src0_sel:WORD_1 src1_sel:DWORD
	v_lshrrev_b32_e32 v14, 16, v16
	v_cmp_ne_u16_e32 vcc, 0, v27
	v_mov_b32_e32 v24, 0
	v_mov_b32_e32 v25, 0
	s_and_saveexec_b64 s[8:9], vcc
	s_cbranch_execz .LBB874_467
; %bb.462:
	s_movk_i32 s7, 0x80
	v_cmp_ne_u16_e32 vcc, s7, v27
	v_mov_b32_e32 v25, 0xffff8000
	s_and_saveexec_b64 s[10:11], vcc
	s_cbranch_execz .LBB874_466
; %bb.463:
	v_bfe_u32 v27, v16, 16, 7
	s_movk_i32 s7, 0x7f
	v_cmp_ne_u32_e32 vcc, s7, v27
	v_mov_b32_e32 v25, 0x7f80
	s_and_saveexec_b64 s[12:13], vcc
	s_cbranch_execz .LBB874_465
; %bb.464:
	v_and_b32_e32 v25, 7, v14
	v_ffbh_u32_e32 v28, v25
	v_min_u32_e32 v31, 32, v28
	v_subrev_u32_e32 v28, 28, v31
	v_lshlrev_b64 v[28:29], v28, v[14:15]
	v_lshrrev_b32_e32 v30, 3, v27
	v_sub_u32_e32 v14, 29, v31
	v_and_b32_e32 v28, 7, v28
	v_cmp_gt_u32_e32 vcc, 8, v27
	v_mov_b32_e32 v27, 24
	v_cndmask_b32_e32 v14, v30, v14, vcc
	v_cndmask_b32_e32 v25, v25, v28, vcc
	v_lshlrev_b32_sdwa v27, v27, v16 dst_sel:DWORD dst_unused:UNUSED_PAD src0_sel:DWORD src1_sel:WORD_1
	v_bfrev_b32_e32 v28, 60
	v_lshlrev_b32_e32 v25, 20, v25
	v_and_b32_e32 v27, 0x80000000, v27
	v_lshl_add_u32 v14, v14, 23, v28
	v_or3_b32 v14, v27, v14, v25
	v_lshrrev_b32_e32 v25, 16, v14
.LBB874_465:
	s_or_b64 exec, exec, s[12:13]
.LBB874_466:
	s_or_b64 exec, exec, s[10:11]
.LBB874_467:
	s_or_b64 exec, exec, s[8:9]
	s_mov_b32 s7, 0xffffff
	v_cmp_lt_u32_e32 vcc, s7, v16
	s_and_saveexec_b64 s[8:9], vcc
	s_cbranch_execz .LBB874_473
; %bb.468:
	v_lshrrev_b32_e32 v14, 24, v16
	s_movk_i32 s7, 0x80
	v_cmp_ne_u32_e32 vcc, s7, v14
	v_mov_b32_e32 v24, 0xffff8000
	s_and_saveexec_b64 s[10:11], vcc
	s_cbranch_execz .LBB874_472
; %bb.469:
	v_bfe_u32 v16, v16, 24, 7
	s_movk_i32 s7, 0x7f
	v_cmp_ne_u32_e32 vcc, s7, v16
	v_mov_b32_e32 v24, 0x7f80
	s_and_saveexec_b64 s[12:13], vcc
	s_cbranch_execz .LBB874_471
; %bb.470:
	v_and_b32_e32 v24, 7, v14
	v_ffbh_u32_e32 v28, v24
	v_min_u32_e32 v30, 32, v28
	v_subrev_u32_e32 v28, 28, v30
	v_lshlrev_b64 v[28:29], v28, v[14:15]
	v_lshrrev_b32_e32 v27, 3, v16
	v_sub_u32_e32 v29, 29, v30
	v_and_b32_e32 v28, 7, v28
	v_cmp_gt_u32_e32 vcc, 8, v16
	v_cndmask_b32_e32 v16, v27, v29, vcc
	v_cndmask_b32_e32 v24, v24, v28, vcc
	v_lshlrev_b32_e32 v14, 24, v14
	v_bfrev_b32_e32 v27, 60
	v_lshlrev_b32_e32 v24, 20, v24
	v_and_b32_e32 v14, 0x80000000, v14
	v_lshl_add_u32 v16, v16, 23, v27
	v_or3_b32 v14, v14, v16, v24
	v_lshrrev_b32_e32 v24, 16, v14
.LBB874_471:
	s_or_b64 exec, exec, s[12:13]
.LBB874_472:
	s_or_b64 exec, exec, s[10:11]
.LBB874_473:
	s_or_b64 exec, exec, s[8:9]
	v_mov_b32_e32 v16, 0
	v_cmp_ne_u16_sdwa s[10:11], v17, v16 src0_sel:BYTE_0 src1_sel:DWORD
	v_mov_b32_e32 v27, 0
	s_and_saveexec_b64 s[8:9], s[10:11]
	s_cbranch_execz .LBB874_479
; %bb.474:
	s_movk_i32 s7, 0x80
	v_cmp_ne_u16_sdwa s[12:13], v17, s7 src0_sel:BYTE_0 src1_sel:DWORD
	v_mov_b32_e32 v27, 0xffff8000
	s_and_saveexec_b64 s[10:11], s[12:13]
	s_cbranch_execz .LBB874_478
; %bb.475:
	s_movk_i32 s7, 0x7f
	v_and_b32_e32 v14, 0x7f, v17
	v_cmp_ne_u32_e32 vcc, s7, v14
	v_mov_b32_e32 v27, 0x7f80
	s_and_saveexec_b64 s[12:13], vcc
	s_cbranch_execz .LBB874_477
; %bb.476:
	v_and_b32_e32 v27, 7, v17
	v_ffbh_u32_e32 v29, v27
	v_min_u32_e32 v31, 32, v29
	v_mov_b32_e32 v28, v17
	v_subrev_u32_e32 v29, 28, v31
	v_lshlrev_b64 v[28:29], v29, v[28:29]
	v_lshrrev_b32_e32 v30, 3, v14
	v_sub_u32_e32 v29, 29, v31
	v_and_b32_e32 v28, 7, v28
	v_cmp_gt_u32_e32 vcc, 8, v14
	v_cndmask_b32_e32 v14, v30, v29, vcc
	v_cndmask_b32_e32 v27, v27, v28, vcc
	v_lshlrev_b32_e32 v28, 24, v17
	v_bfrev_b32_e32 v29, 60
	v_lshlrev_b32_e32 v27, 20, v27
	v_and_b32_e32 v28, 0x80000000, v28
	v_lshl_add_u32 v14, v14, 23, v29
	v_or3_b32 v14, v28, v14, v27
	v_lshrrev_b32_e32 v27, 16, v14
.LBB874_477:
	s_or_b64 exec, exec, s[12:13]
.LBB874_478:
	s_or_b64 exec, exec, s[10:11]
.LBB874_479:
	s_or_b64 exec, exec, s[8:9]
	v_lshrrev_b16_e32 v14, 8, v17
	v_cmp_ne_u16_e32 vcc, 0, v14
	s_and_saveexec_b64 s[8:9], vcc
	s_cbranch_execz .LBB874_485
; %bb.480:
	s_movk_i32 s7, 0x80
	v_cmp_ne_u16_e32 vcc, s7, v14
	v_mov_b32_e32 v16, 0xffff8000
	s_and_saveexec_b64 s[10:11], vcc
	s_cbranch_execz .LBB874_484
; %bb.481:
	s_movk_i32 s7, 0x7f
	v_and_b32_e32 v28, 0x7f, v14
	v_cmp_ne_u32_e32 vcc, s7, v28
	v_mov_b32_e32 v16, 0x7f80
	s_and_saveexec_b64 s[12:13], vcc
	s_cbranch_execz .LBB874_483
; %bb.482:
	v_and_b32_e32 v16, 7, v14
	v_ffbh_u32_e32 v30, v16
	v_min_u32_e32 v32, 32, v30
	v_subrev_u32_e32 v30, 28, v32
	v_lshlrev_b64 v[30:31], v30, v[14:15]
	v_lshrrev_b32_e32 v29, 3, v28
	v_sub_u32_e32 v14, 29, v32
	v_and_b32_e32 v30, 7, v30
	v_cmp_gt_u32_e32 vcc, 8, v28
	v_cndmask_b32_e32 v14, v29, v14, vcc
	v_cndmask_b32_e32 v16, v16, v30, vcc
	v_lshlrev_b32_e32 v28, 16, v17
	v_bfrev_b32_e32 v29, 60
	v_lshlrev_b32_e32 v16, 20, v16
	v_and_b32_e32 v28, 0x80000000, v28
	v_lshl_add_u32 v14, v14, 23, v29
	v_or3_b32 v14, v28, v14, v16
	v_lshrrev_b32_e32 v16, 16, v14
.LBB874_483:
	s_or_b64 exec, exec, s[12:13]
.LBB874_484:
	s_or_b64 exec, exec, s[10:11]
.LBB874_485:
	s_or_b64 exec, exec, s[8:9]
	s_movk_i32 s7, 0xff
	v_and_b32_sdwa v30, v17, s7 dst_sel:DWORD dst_unused:UNUSED_PAD src0_sel:WORD_1 src1_sel:DWORD
	v_lshrrev_b32_e32 v14, 16, v17
	v_cmp_ne_u16_e32 vcc, 0, v30
	v_mov_b32_e32 v28, 0
	v_mov_b32_e32 v29, 0
	s_and_saveexec_b64 s[8:9], vcc
	s_cbranch_execz .LBB874_491
; %bb.486:
	s_movk_i32 s7, 0x80
	v_cmp_ne_u16_e32 vcc, s7, v30
	v_mov_b32_e32 v29, 0xffff8000
	s_and_saveexec_b64 s[10:11], vcc
	s_cbranch_execz .LBB874_490
; %bb.487:
	v_bfe_u32 v30, v17, 16, 7
	s_movk_i32 s7, 0x7f
	v_cmp_ne_u32_e32 vcc, s7, v30
	v_mov_b32_e32 v29, 0x7f80
	s_and_saveexec_b64 s[12:13], vcc
	s_cbranch_execz .LBB874_489
; %bb.488:
	v_and_b32_e32 v29, 7, v14
	v_ffbh_u32_e32 v32, v29
	v_min_u32_e32 v34, 32, v32
	v_subrev_u32_e32 v32, 28, v34
	v_lshlrev_b64 v[32:33], v32, v[14:15]
	v_lshrrev_b32_e32 v31, 3, v30
	v_sub_u32_e32 v14, 29, v34
	v_and_b32_e32 v32, 7, v32
	v_cmp_gt_u32_e32 vcc, 8, v30
	v_mov_b32_e32 v30, 24
	v_cndmask_b32_e32 v14, v31, v14, vcc
	v_cndmask_b32_e32 v29, v29, v32, vcc
	v_lshlrev_b32_sdwa v30, v30, v17 dst_sel:DWORD dst_unused:UNUSED_PAD src0_sel:DWORD src1_sel:WORD_1
	v_bfrev_b32_e32 v31, 60
	v_lshlrev_b32_e32 v29, 20, v29
	v_and_b32_e32 v30, 0x80000000, v30
	v_lshl_add_u32 v14, v14, 23, v31
	v_or3_b32 v14, v30, v14, v29
	v_lshrrev_b32_e32 v29, 16, v14
.LBB874_489:
	s_or_b64 exec, exec, s[12:13]
.LBB874_490:
	s_or_b64 exec, exec, s[10:11]
.LBB874_491:
	s_or_b64 exec, exec, s[8:9]
	s_mov_b32 s7, 0xffffff
	v_cmp_lt_u32_e32 vcc, s7, v17
	s_and_saveexec_b64 s[8:9], vcc
	s_cbranch_execz .LBB874_497
; %bb.492:
	v_lshrrev_b32_e32 v14, 24, v17
	s_movk_i32 s7, 0x80
	v_cmp_ne_u32_e32 vcc, s7, v14
	v_mov_b32_e32 v28, 0xffff8000
	s_and_saveexec_b64 s[10:11], vcc
	s_cbranch_execz .LBB874_496
; %bb.493:
	v_bfe_u32 v17, v17, 24, 7
	s_movk_i32 s7, 0x7f
	v_cmp_ne_u32_e32 vcc, s7, v17
	v_mov_b32_e32 v28, 0x7f80
	s_and_saveexec_b64 s[12:13], vcc
	s_cbranch_execz .LBB874_495
; %bb.494:
	v_and_b32_e32 v28, 7, v14
	v_ffbh_u32_e32 v30, v28
	v_min_u32_e32 v33, 32, v30
	v_subrev_u32_e32 v30, 28, v33
	v_lshlrev_b64 v[30:31], v30, v[14:15]
	v_lshrrev_b32_e32 v32, 3, v17
	v_sub_u32_e32 v31, 29, v33
	v_and_b32_e32 v30, 7, v30
	v_cmp_gt_u32_e32 vcc, 8, v17
	v_cndmask_b32_e32 v17, v32, v31, vcc
	v_cndmask_b32_e32 v28, v28, v30, vcc
	v_lshlrev_b32_e32 v14, 24, v14
	v_bfrev_b32_e32 v30, 60
	v_lshlrev_b32_e32 v28, 20, v28
	v_and_b32_e32 v14, 0x80000000, v14
	v_lshl_add_u32 v17, v17, 23, v30
	v_or3_b32 v14, v14, v17, v28
	v_lshrrev_b32_e32 v28, 16, v14
.LBB874_495:
	s_or_b64 exec, exec, s[12:13]
.LBB874_496:
	s_or_b64 exec, exec, s[10:11]
.LBB874_497:
	s_or_b64 exec, exec, s[8:9]
	s_mov_b32 s7, 0x5040100
	v_perm_b32 v25, v24, v25, s7
	v_perm_b32 v24, v15, v23, s7
	ds_read_b128 v[30:33], v22 offset:16
	v_perm_b32 v15, v28, v29, s7
	v_perm_b32 v14, v16, v27, s7
	s_waitcnt lgkmcnt(0)
	v_mfma_f32_16x16x16bf16_1k v[34:37], v[24:25], v[30:31], v[18:21]
	s_nop 6
	v_mov_b32_e32 v19, 0
	s_waitcnt vmcnt(2)
	v_cmp_ne_u16_sdwa s[10:11], v10, v19 src0_sel:BYTE_0 src1_sel:DWORD
	v_mfma_f32_16x16x16bf16_1k v[14:17], v[14:15], v[32:33], v[34:37]
	v_mov_b32_e32 v20, 0
	s_and_saveexec_b64 s[8:9], s[10:11]
	s_cbranch_execz .LBB874_503
; %bb.498:
	s_movk_i32 s7, 0x80
	v_cmp_ne_u16_sdwa s[12:13], v10, s7 src0_sel:BYTE_0 src1_sel:DWORD
	v_mov_b32_e32 v20, 0xffff8000
	s_and_saveexec_b64 s[10:11], s[12:13]
	s_cbranch_execz .LBB874_502
; %bb.499:
	s_movk_i32 s7, 0x7f
	v_and_b32_e32 v18, 0x7f, v10
	v_cmp_ne_u32_e32 vcc, s7, v18
	v_mov_b32_e32 v20, 0x7f80
	s_and_saveexec_b64 s[12:13], vcc
	s_cbranch_execz .LBB874_501
; %bb.500:
	v_and_b32_e32 v23, 7, v10
	v_ffbh_u32_e32 v20, v23
	v_min_u32_e32 v25, 32, v20
	v_subrev_u32_e32 v20, 28, v25
	v_lshlrev_b64 v[20:21], v20, v[10:11]
	v_lshrrev_b32_e32 v24, 3, v18
	v_sub_u32_e32 v21, 29, v25
	v_and_b32_e32 v20, 7, v20
	v_cmp_gt_u32_e32 vcc, 8, v18
	v_cndmask_b32_e32 v18, v24, v21, vcc
	v_cndmask_b32_e32 v20, v23, v20, vcc
	v_lshlrev_b32_e32 v21, 24, v10
	v_bfrev_b32_e32 v23, 60
	v_lshlrev_b32_e32 v20, 20, v20
	v_and_b32_e32 v21, 0x80000000, v21
	v_lshl_add_u32 v18, v18, 23, v23
	v_or3_b32 v18, v21, v18, v20
	v_lshrrev_b32_e32 v20, 16, v18
.LBB874_501:
	s_or_b64 exec, exec, s[12:13]
.LBB874_502:
	s_or_b64 exec, exec, s[10:11]
.LBB874_503:
	s_or_b64 exec, exec, s[8:9]
	v_lshrrev_b16_e32 v18, 8, v10
	v_cmp_ne_u16_e32 vcc, 0, v18
	s_and_saveexec_b64 s[8:9], vcc
	s_cbranch_execz .LBB874_509
; %bb.504:
	s_movk_i32 s7, 0x80
	v_cmp_ne_u16_e32 vcc, s7, v18
	v_mov_b32_e32 v19, 0xffff8000
	s_and_saveexec_b64 s[10:11], vcc
	s_cbranch_execz .LBB874_508
; %bb.505:
	s_movk_i32 s7, 0x7f
	v_and_b32_e32 v21, 0x7f, v18
	v_cmp_ne_u32_e32 vcc, s7, v21
	v_mov_b32_e32 v19, 0x7f80
	s_and_saveexec_b64 s[12:13], vcc
	s_cbranch_execz .LBB874_507
; %bb.506:
	v_and_b32_e32 v23, 7, v18
	v_ffbh_u32_e32 v19, v23
	v_min_u32_e32 v25, 32, v19
	v_subrev_u32_e32 v19, 28, v25
	v_lshlrev_b64 v[18:19], v19, v[18:19]
	v_lshrrev_b32_e32 v24, 3, v21
	v_sub_u32_e32 v19, 29, v25
	v_and_b32_e32 v18, 7, v18
	v_cmp_gt_u32_e32 vcc, 8, v21
	v_cndmask_b32_e32 v19, v24, v19, vcc
	v_cndmask_b32_e32 v18, v23, v18, vcc
	v_lshlrev_b32_e32 v21, 16, v10
	v_bfrev_b32_e32 v23, 60
	v_lshlrev_b32_e32 v18, 20, v18
	v_and_b32_e32 v21, 0x80000000, v21
	v_lshl_add_u32 v19, v19, 23, v23
	v_or3_b32 v18, v21, v19, v18
	v_lshrrev_b32_e32 v19, 16, v18
.LBB874_507:
	s_or_b64 exec, exec, s[12:13]
.LBB874_508:
	s_or_b64 exec, exec, s[10:11]
.LBB874_509:
	s_or_b64 exec, exec, s[8:9]
	s_movk_i32 s7, 0xff
	v_and_b32_sdwa v24, v10, s7 dst_sel:DWORD dst_unused:UNUSED_PAD src0_sel:WORD_1 src1_sel:DWORD
	v_lshrrev_b32_e32 v18, 16, v10
	v_cmp_ne_u16_e32 vcc, 0, v24
	v_mov_b32_e32 v21, 0
	v_mov_b32_e32 v23, 0
	s_and_saveexec_b64 s[8:9], vcc
	s_cbranch_execz .LBB874_515
; %bb.510:
	s_movk_i32 s7, 0x80
	v_cmp_ne_u16_e32 vcc, s7, v24
	v_mov_b32_e32 v23, 0xffff8000
	s_and_saveexec_b64 s[10:11], vcc
	s_cbranch_execz .LBB874_514
; %bb.511:
	v_bfe_u32 v24, v10, 16, 7
	s_movk_i32 s7, 0x7f
	v_cmp_ne_u32_e32 vcc, s7, v24
	v_mov_b32_e32 v23, 0x7f80
	s_and_saveexec_b64 s[12:13], vcc
	s_cbranch_execz .LBB874_513
; %bb.512:
	v_and_b32_e32 v23, 7, v18
	v_ffbh_u32_e32 v27, v23
	v_min_u32_e32 v27, 32, v27
	v_subrev_u32_e32 v28, 28, v27
	v_lshlrev_b64 v[28:29], v28, v[18:19]
	v_lshrrev_b32_e32 v25, 3, v24
	v_sub_u32_e32 v18, 29, v27
	v_and_b32_e32 v27, 7, v28
	v_cmp_gt_u32_e32 vcc, 8, v24
	v_mov_b32_e32 v24, 24
	v_cndmask_b32_e32 v18, v25, v18, vcc
	v_cndmask_b32_e32 v23, v23, v27, vcc
	v_lshlrev_b32_sdwa v24, v24, v10 dst_sel:DWORD dst_unused:UNUSED_PAD src0_sel:DWORD src1_sel:WORD_1
	v_bfrev_b32_e32 v25, 60
	v_lshlrev_b32_e32 v23, 20, v23
	v_and_b32_e32 v24, 0x80000000, v24
	v_lshl_add_u32 v18, v18, 23, v25
	v_or3_b32 v18, v24, v18, v23
	v_lshrrev_b32_e32 v23, 16, v18
.LBB874_513:
	s_or_b64 exec, exec, s[12:13]
.LBB874_514:
	s_or_b64 exec, exec, s[10:11]
.LBB874_515:
	s_or_b64 exec, exec, s[8:9]
	s_mov_b32 s7, 0xffffff
	v_cmp_lt_u32_e32 vcc, s7, v10
	s_and_saveexec_b64 s[8:9], vcc
	s_cbranch_execz .LBB874_521
; %bb.516:
	v_lshrrev_b32_e32 v18, 24, v10
	s_movk_i32 s7, 0x80
	v_cmp_ne_u32_e32 vcc, s7, v18
	v_mov_b32_e32 v21, 0xffff8000
	s_and_saveexec_b64 s[10:11], vcc
	s_cbranch_execz .LBB874_520
; %bb.517:
	v_bfe_u32 v10, v10, 24, 7
	s_movk_i32 s7, 0x7f
	v_cmp_ne_u32_e32 vcc, s7, v10
	v_mov_b32_e32 v21, 0x7f80
	s_and_saveexec_b64 s[12:13], vcc
	s_cbranch_execz .LBB874_519
; %bb.518:
	v_and_b32_e32 v21, 7, v18
	v_ffbh_u32_e32 v24, v21
	v_min_u32_e32 v28, 32, v24
	v_subrev_u32_e32 v24, 28, v28
	v_lshlrev_b64 v[24:25], v24, v[18:19]
	v_lshrrev_b32_e32 v27, 3, v10
	v_sub_u32_e32 v25, 29, v28
	v_and_b32_e32 v24, 7, v24
	v_cmp_gt_u32_e32 vcc, 8, v10
	v_cndmask_b32_e32 v10, v27, v25, vcc
	v_cndmask_b32_e32 v21, v21, v24, vcc
	v_lshlrev_b32_e32 v18, 24, v18
	v_bfrev_b32_e32 v24, 60
	v_lshlrev_b32_e32 v21, 20, v21
	v_and_b32_e32 v18, 0x80000000, v18
	v_lshl_add_u32 v10, v10, 23, v24
	v_or3_b32 v10, v18, v10, v21
	v_lshrrev_b32_e32 v21, 16, v10
.LBB874_519:
	s_or_b64 exec, exec, s[12:13]
.LBB874_520:
	s_or_b64 exec, exec, s[10:11]
.LBB874_521:
	s_or_b64 exec, exec, s[8:9]
	v_mov_b32_e32 v18, 0
	v_cmp_ne_u16_sdwa s[10:11], v11, v18 src0_sel:BYTE_0 src1_sel:DWORD
	v_mov_b32_e32 v24, 0
	s_and_saveexec_b64 s[8:9], s[10:11]
	s_cbranch_execz .LBB874_527
; %bb.522:
	s_movk_i32 s7, 0x80
	v_cmp_ne_u16_sdwa s[12:13], v11, s7 src0_sel:BYTE_0 src1_sel:DWORD
	v_mov_b32_e32 v24, 0xffff8000
	s_and_saveexec_b64 s[10:11], s[12:13]
	s_cbranch_execz .LBB874_526
; %bb.523:
	s_movk_i32 s7, 0x7f
	v_and_b32_e32 v10, 0x7f, v11
	v_cmp_ne_u32_e32 vcc, s7, v10
	v_mov_b32_e32 v24, 0x7f80
	s_and_saveexec_b64 s[12:13], vcc
	s_cbranch_execz .LBB874_525
; %bb.524:
	v_and_b32_e32 v27, 7, v11
	v_ffbh_u32_e32 v25, v27
	v_min_u32_e32 v29, 32, v25
	v_mov_b32_e32 v24, v11
	v_subrev_u32_e32 v25, 28, v29
	v_lshlrev_b64 v[24:25], v25, v[24:25]
	v_lshrrev_b32_e32 v28, 3, v10
	v_sub_u32_e32 v25, 29, v29
	v_and_b32_e32 v24, 7, v24
	v_cmp_gt_u32_e32 vcc, 8, v10
	v_cndmask_b32_e32 v10, v28, v25, vcc
	v_cndmask_b32_e32 v24, v27, v24, vcc
	v_lshlrev_b32_e32 v25, 24, v11
	v_bfrev_b32_e32 v27, 60
	v_lshlrev_b32_e32 v24, 20, v24
	v_and_b32_e32 v25, 0x80000000, v25
	v_lshl_add_u32 v10, v10, 23, v27
	v_or3_b32 v10, v25, v10, v24
	v_lshrrev_b32_e32 v24, 16, v10
.LBB874_525:
	s_or_b64 exec, exec, s[12:13]
.LBB874_526:
	s_or_b64 exec, exec, s[10:11]
.LBB874_527:
	s_or_b64 exec, exec, s[8:9]
	v_lshrrev_b16_e32 v10, 8, v11
	v_cmp_ne_u16_e32 vcc, 0, v10
	s_and_saveexec_b64 s[8:9], vcc
	s_cbranch_execz .LBB874_533
; %bb.528:
	s_movk_i32 s7, 0x80
	v_cmp_ne_u16_e32 vcc, s7, v10
	v_mov_b32_e32 v18, 0xffff8000
	s_and_saveexec_b64 s[10:11], vcc
	s_cbranch_execz .LBB874_532
; %bb.529:
	s_movk_i32 s7, 0x7f
	v_and_b32_e32 v25, 0x7f, v10
	v_cmp_ne_u32_e32 vcc, s7, v25
	v_mov_b32_e32 v18, 0x7f80
	s_and_saveexec_b64 s[12:13], vcc
	s_cbranch_execz .LBB874_531
; %bb.530:
	v_and_b32_e32 v18, 7, v10
	v_ffbh_u32_e32 v28, v18
	v_min_u32_e32 v30, 32, v28
	v_subrev_u32_e32 v28, 28, v30
	v_lshlrev_b64 v[28:29], v28, v[10:11]
	v_lshrrev_b32_e32 v27, 3, v25
	v_sub_u32_e32 v10, 29, v30
	v_and_b32_e32 v28, 7, v28
	v_cmp_gt_u32_e32 vcc, 8, v25
	v_cndmask_b32_e32 v10, v27, v10, vcc
	v_cndmask_b32_e32 v18, v18, v28, vcc
	v_lshlrev_b32_e32 v25, 16, v11
	v_bfrev_b32_e32 v27, 60
	v_lshlrev_b32_e32 v18, 20, v18
	v_and_b32_e32 v25, 0x80000000, v25
	v_lshl_add_u32 v10, v10, 23, v27
	v_or3_b32 v10, v25, v10, v18
	v_lshrrev_b32_e32 v18, 16, v10
.LBB874_531:
	s_or_b64 exec, exec, s[12:13]
.LBB874_532:
	s_or_b64 exec, exec, s[10:11]
.LBB874_533:
	s_or_b64 exec, exec, s[8:9]
	s_movk_i32 s7, 0xff
	v_and_b32_sdwa v28, v11, s7 dst_sel:DWORD dst_unused:UNUSED_PAD src0_sel:WORD_1 src1_sel:DWORD
	v_lshrrev_b32_e32 v10, 16, v11
	v_cmp_ne_u16_e32 vcc, 0, v28
	v_mov_b32_e32 v25, 0
	v_mov_b32_e32 v27, 0
	s_and_saveexec_b64 s[8:9], vcc
	s_cbranch_execz .LBB874_539
; %bb.534:
	s_movk_i32 s7, 0x80
	v_cmp_ne_u16_e32 vcc, s7, v28
	v_mov_b32_e32 v27, 0xffff8000
	s_and_saveexec_b64 s[10:11], vcc
	s_cbranch_execz .LBB874_538
; %bb.535:
	v_bfe_u32 v28, v11, 16, 7
	s_movk_i32 s7, 0x7f
	v_cmp_ne_u32_e32 vcc, s7, v28
	v_mov_b32_e32 v27, 0x7f80
	s_and_saveexec_b64 s[12:13], vcc
	s_cbranch_execz .LBB874_537
; %bb.536:
	v_and_b32_e32 v27, 7, v10
	v_ffbh_u32_e32 v30, v27
	v_min_u32_e32 v32, 32, v30
	v_subrev_u32_e32 v30, 28, v32
	v_lshlrev_b64 v[30:31], v30, v[10:11]
	v_lshrrev_b32_e32 v29, 3, v28
	v_sub_u32_e32 v10, 29, v32
	v_and_b32_e32 v30, 7, v30
	v_cmp_gt_u32_e32 vcc, 8, v28
	v_mov_b32_e32 v28, 24
	v_cndmask_b32_e32 v10, v29, v10, vcc
	v_cndmask_b32_e32 v27, v27, v30, vcc
	v_lshlrev_b32_sdwa v28, v28, v11 dst_sel:DWORD dst_unused:UNUSED_PAD src0_sel:DWORD src1_sel:WORD_1
	v_bfrev_b32_e32 v29, 60
	v_lshlrev_b32_e32 v27, 20, v27
	v_and_b32_e32 v28, 0x80000000, v28
	v_lshl_add_u32 v10, v10, 23, v29
	v_or3_b32 v10, v28, v10, v27
	v_lshrrev_b32_e32 v27, 16, v10
.LBB874_537:
	s_or_b64 exec, exec, s[12:13]
.LBB874_538:
	s_or_b64 exec, exec, s[10:11]
.LBB874_539:
	s_or_b64 exec, exec, s[8:9]
	s_mov_b32 s7, 0xffffff
	v_cmp_lt_u32_e32 vcc, s7, v11
	s_and_saveexec_b64 s[8:9], vcc
	s_cbranch_execz .LBB874_545
; %bb.540:
	v_lshrrev_b32_e32 v10, 24, v11
	s_movk_i32 s7, 0x80
	v_cmp_ne_u32_e32 vcc, s7, v10
	v_mov_b32_e32 v25, 0xffff8000
	s_and_saveexec_b64 s[10:11], vcc
	s_cbranch_execz .LBB874_544
; %bb.541:
	v_bfe_u32 v11, v11, 24, 7
	s_movk_i32 s7, 0x7f
	v_cmp_ne_u32_e32 vcc, s7, v11
	v_mov_b32_e32 v25, 0x7f80
	s_and_saveexec_b64 s[12:13], vcc
	s_cbranch_execz .LBB874_543
; %bb.542:
	v_and_b32_e32 v25, 7, v10
	v_ffbh_u32_e32 v28, v25
	v_min_u32_e32 v31, 32, v28
	v_subrev_u32_e32 v28, 28, v31
	v_lshlrev_b64 v[28:29], v28, v[10:11]
	v_lshrrev_b32_e32 v30, 3, v11
	v_sub_u32_e32 v29, 29, v31
	v_and_b32_e32 v28, 7, v28
	v_cmp_gt_u32_e32 vcc, 8, v11
	v_cndmask_b32_e32 v11, v30, v29, vcc
	v_cndmask_b32_e32 v25, v25, v28, vcc
	v_lshlrev_b32_e32 v10, 24, v10
	v_bfrev_b32_e32 v28, 60
	v_lshlrev_b32_e32 v25, 20, v25
	v_and_b32_e32 v10, 0x80000000, v10
	v_lshl_add_u32 v11, v11, 23, v28
	v_or3_b32 v10, v10, v11, v25
	v_lshrrev_b32_e32 v25, 16, v10
.LBB874_543:
	s_or_b64 exec, exec, s[12:13]
.LBB874_544:
	s_or_b64 exec, exec, s[10:11]
.LBB874_545:
	s_or_b64 exec, exec, s[8:9]
	s_mov_b32 s7, 0x5040100
	v_perm_b32 v11, v21, v23, s7
	v_perm_b32 v10, v19, v20, s7
	ds_read_b128 v[28:31], v22 offset:2048
	v_perm_b32 v21, v25, v27, s7
	v_perm_b32 v20, v18, v24, s7
	s_waitcnt lgkmcnt(0)
	v_mfma_f32_16x16x16bf16_1k v[14:17], v[10:11], v[28:29], v[14:17]
	v_mov_b32_e32 v11, 0
	v_cmp_ne_u16_sdwa s[10:11], v12, v11 src0_sel:BYTE_0 src1_sel:DWORD
	v_mov_b32_e32 v18, 0
	v_mfma_f32_16x16x16bf16_1k v[14:17], v[20:21], v[30:31], v[14:17]
	s_and_saveexec_b64 s[8:9], s[10:11]
	s_cbranch_execz .LBB874_551
; %bb.546:
	s_movk_i32 s7, 0x80
	v_cmp_ne_u16_sdwa s[12:13], v12, s7 src0_sel:BYTE_0 src1_sel:DWORD
	v_mov_b32_e32 v18, 0xffff8000
	s_and_saveexec_b64 s[10:11], s[12:13]
	s_cbranch_execz .LBB874_550
; %bb.547:
	s_movk_i32 s7, 0x7f
	v_and_b32_e32 v10, 0x7f, v12
	v_cmp_ne_u32_e32 vcc, s7, v10
	v_mov_b32_e32 v18, 0x7f80
	s_and_saveexec_b64 s[12:13], vcc
	s_cbranch_execz .LBB874_549
; %bb.548:
	v_and_b32_e32 v20, 7, v12
	v_ffbh_u32_e32 v18, v20
	v_min_u32_e32 v23, 32, v18
	v_subrev_u32_e32 v18, 28, v23
	v_lshlrev_b64 v[18:19], v18, v[12:13]
	v_lshrrev_b32_e32 v21, 3, v10
	v_sub_u32_e32 v19, 29, v23
	v_and_b32_e32 v18, 7, v18
	v_cmp_gt_u32_e32 vcc, 8, v10
	v_cndmask_b32_e32 v10, v21, v19, vcc
	v_cndmask_b32_e32 v18, v20, v18, vcc
	v_lshlrev_b32_e32 v19, 24, v12
	v_bfrev_b32_e32 v20, 60
	v_lshlrev_b32_e32 v18, 20, v18
	v_and_b32_e32 v19, 0x80000000, v19
	v_lshl_add_u32 v10, v10, 23, v20
	v_or3_b32 v10, v19, v10, v18
	v_lshrrev_b32_e32 v18, 16, v10
.LBB874_549:
	s_or_b64 exec, exec, s[12:13]
.LBB874_550:
	s_or_b64 exec, exec, s[10:11]
.LBB874_551:
	s_or_b64 exec, exec, s[8:9]
	v_lshrrev_b16_e32 v10, 8, v12
	v_cmp_ne_u16_e32 vcc, 0, v10
	s_and_saveexec_b64 s[8:9], vcc
	s_cbranch_execz .LBB874_557
; %bb.552:
	s_movk_i32 s7, 0x80
	v_cmp_ne_u16_e32 vcc, s7, v10
	v_mov_b32_e32 v11, 0xffff8000
	s_and_saveexec_b64 s[10:11], vcc
	s_cbranch_execz .LBB874_556
; %bb.553:
	s_movk_i32 s7, 0x7f
	v_and_b32_e32 v19, 0x7f, v10
	v_cmp_ne_u32_e32 vcc, s7, v19
	v_mov_b32_e32 v11, 0x7f80
	s_and_saveexec_b64 s[12:13], vcc
	s_cbranch_execz .LBB874_555
; %bb.554:
	v_and_b32_e32 v20, 7, v10
	v_ffbh_u32_e32 v11, v20
	v_min_u32_e32 v23, 32, v11
	v_subrev_u32_e32 v11, 28, v23
	v_lshlrev_b64 v[10:11], v11, v[10:11]
	v_lshrrev_b32_e32 v21, 3, v19
	v_sub_u32_e32 v11, 29, v23
	v_and_b32_e32 v10, 7, v10
	v_cmp_gt_u32_e32 vcc, 8, v19
	v_cndmask_b32_e32 v11, v21, v11, vcc
	v_cndmask_b32_e32 v10, v20, v10, vcc
	v_lshlrev_b32_e32 v19, 16, v12
	v_bfrev_b32_e32 v20, 60
	v_lshlrev_b32_e32 v10, 20, v10
	v_and_b32_e32 v19, 0x80000000, v19
	v_lshl_add_u32 v11, v11, 23, v20
	v_or3_b32 v10, v19, v11, v10
	v_lshrrev_b32_e32 v11, 16, v10
.LBB874_555:
	s_or_b64 exec, exec, s[12:13]
.LBB874_556:
	s_or_b64 exec, exec, s[10:11]
.LBB874_557:
	s_or_b64 exec, exec, s[8:9]
	s_movk_i32 s7, 0xff
	v_and_b32_sdwa v21, v12, s7 dst_sel:DWORD dst_unused:UNUSED_PAD src0_sel:WORD_1 src1_sel:DWORD
	v_lshrrev_b32_e32 v10, 16, v12
	v_cmp_ne_u16_e32 vcc, 0, v21
	v_mov_b32_e32 v19, 0
	v_mov_b32_e32 v20, 0
	s_and_saveexec_b64 s[8:9], vcc
	s_cbranch_execz .LBB874_563
; %bb.558:
	s_movk_i32 s7, 0x80
	v_cmp_ne_u16_e32 vcc, s7, v21
	v_mov_b32_e32 v20, 0xffff8000
	s_and_saveexec_b64 s[10:11], vcc
	s_cbranch_execz .LBB874_562
; %bb.559:
	v_bfe_u32 v21, v12, 16, 7
	s_movk_i32 s7, 0x7f
	v_cmp_ne_u32_e32 vcc, s7, v21
	v_mov_b32_e32 v20, 0x7f80
	s_and_saveexec_b64 s[12:13], vcc
	s_cbranch_execz .LBB874_561
; %bb.560:
	v_and_b32_e32 v20, 7, v10
	v_ffbh_u32_e32 v24, v20
	v_min_u32_e32 v27, 32, v24
	v_subrev_u32_e32 v24, 28, v27
	v_lshlrev_b64 v[24:25], v24, v[10:11]
	v_lshrrev_b32_e32 v23, 3, v21
	v_sub_u32_e32 v10, 29, v27
	v_and_b32_e32 v24, 7, v24
	v_cmp_gt_u32_e32 vcc, 8, v21
	v_mov_b32_e32 v21, 24
	v_cndmask_b32_e32 v10, v23, v10, vcc
	v_cndmask_b32_e32 v20, v20, v24, vcc
	v_lshlrev_b32_sdwa v21, v21, v12 dst_sel:DWORD dst_unused:UNUSED_PAD src0_sel:DWORD src1_sel:WORD_1
	v_bfrev_b32_e32 v23, 60
	v_lshlrev_b32_e32 v20, 20, v20
	v_and_b32_e32 v21, 0x80000000, v21
	v_lshl_add_u32 v10, v10, 23, v23
	v_or3_b32 v10, v21, v10, v20
	v_lshrrev_b32_e32 v20, 16, v10
.LBB874_561:
	s_or_b64 exec, exec, s[12:13]
.LBB874_562:
	s_or_b64 exec, exec, s[10:11]
.LBB874_563:
	s_or_b64 exec, exec, s[8:9]
	s_mov_b32 s7, 0xffffff
	v_cmp_lt_u32_e32 vcc, s7, v12
	s_and_saveexec_b64 s[8:9], vcc
	s_cbranch_execz .LBB874_569
; %bb.564:
	v_lshrrev_b32_e32 v10, 24, v12
	s_movk_i32 s7, 0x80
	v_cmp_ne_u32_e32 vcc, s7, v10
	v_mov_b32_e32 v19, 0xffff8000
	s_and_saveexec_b64 s[10:11], vcc
	s_cbranch_execz .LBB874_568
; %bb.565:
	v_bfe_u32 v12, v12, 24, 7
	s_movk_i32 s7, 0x7f
	v_cmp_ne_u32_e32 vcc, s7, v12
	v_mov_b32_e32 v19, 0x7f80
	s_and_saveexec_b64 s[12:13], vcc
	s_cbranch_execz .LBB874_567
; %bb.566:
	v_and_b32_e32 v19, 7, v10
	v_ffbh_u32_e32 v23, v19
	v_min_u32_e32 v23, 32, v23
	v_subrev_u32_e32 v24, 28, v23
	v_lshlrev_b64 v[24:25], v24, v[10:11]
	v_lshrrev_b32_e32 v21, 3, v12
	v_sub_u32_e32 v23, 29, v23
	v_and_b32_e32 v24, 7, v24
	v_cmp_gt_u32_e32 vcc, 8, v12
	v_cndmask_b32_e32 v12, v21, v23, vcc
	v_cndmask_b32_e32 v19, v19, v24, vcc
	v_lshlrev_b32_e32 v10, 24, v10
	v_bfrev_b32_e32 v21, 60
	v_lshlrev_b32_e32 v19, 20, v19
	v_and_b32_e32 v10, 0x80000000, v10
	v_lshl_add_u32 v12, v12, 23, v21
	v_or3_b32 v10, v10, v12, v19
	v_lshrrev_b32_e32 v19, 16, v10
.LBB874_567:
	s_or_b64 exec, exec, s[12:13]
.LBB874_568:
	s_or_b64 exec, exec, s[10:11]
.LBB874_569:
	s_or_b64 exec, exec, s[8:9]
	v_mov_b32_e32 v12, 0
	v_cmp_ne_u16_sdwa s[10:11], v13, v12 src0_sel:BYTE_0 src1_sel:DWORD
	v_mov_b32_e32 v21, 0
	s_and_saveexec_b64 s[8:9], s[10:11]
	s_cbranch_execz .LBB874_575
; %bb.570:
	s_movk_i32 s7, 0x80
	v_cmp_ne_u16_sdwa s[12:13], v13, s7 src0_sel:BYTE_0 src1_sel:DWORD
	v_mov_b32_e32 v21, 0xffff8000
	s_and_saveexec_b64 s[10:11], s[12:13]
	s_cbranch_execz .LBB874_574
; %bb.571:
	s_movk_i32 s7, 0x7f
	v_and_b32_e32 v10, 0x7f, v13
	v_cmp_ne_u32_e32 vcc, s7, v10
	v_mov_b32_e32 v21, 0x7f80
	s_and_saveexec_b64 s[12:13], vcc
	s_cbranch_execz .LBB874_573
; %bb.572:
	v_and_b32_e32 v21, 7, v13
	v_ffbh_u32_e32 v25, v21
	v_min_u32_e32 v27, 32, v25
	v_mov_b32_e32 v24, v13
	v_subrev_u32_e32 v25, 28, v27
	v_lshlrev_b64 v[24:25], v25, v[24:25]
	v_lshrrev_b32_e32 v23, 3, v10
	v_sub_u32_e32 v25, 29, v27
	v_and_b32_e32 v24, 7, v24
	v_cmp_gt_u32_e32 vcc, 8, v10
	v_cndmask_b32_e32 v10, v23, v25, vcc
	v_cndmask_b32_e32 v21, v21, v24, vcc
	v_lshlrev_b32_e32 v23, 24, v13
	v_bfrev_b32_e32 v24, 60
	v_lshlrev_b32_e32 v21, 20, v21
	v_and_b32_e32 v23, 0x80000000, v23
	v_lshl_add_u32 v10, v10, 23, v24
	v_or3_b32 v10, v23, v10, v21
	v_lshrrev_b32_e32 v21, 16, v10
.LBB874_573:
	s_or_b64 exec, exec, s[12:13]
.LBB874_574:
	s_or_b64 exec, exec, s[10:11]
.LBB874_575:
	s_or_b64 exec, exec, s[8:9]
	v_lshrrev_b16_e32 v10, 8, v13
	v_cmp_ne_u16_e32 vcc, 0, v10
	s_and_saveexec_b64 s[8:9], vcc
	s_cbranch_execz .LBB874_581
; %bb.576:
	s_movk_i32 s7, 0x80
	v_cmp_ne_u16_e32 vcc, s7, v10
	v_mov_b32_e32 v12, 0xffff8000
	s_and_saveexec_b64 s[10:11], vcc
	s_cbranch_execz .LBB874_580
; %bb.577:
	s_movk_i32 s7, 0x7f
	v_and_b32_e32 v23, 0x7f, v10
	v_cmp_ne_u32_e32 vcc, s7, v23
	v_mov_b32_e32 v12, 0x7f80
	s_and_saveexec_b64 s[12:13], vcc
	s_cbranch_execz .LBB874_579
; %bb.578:
	v_and_b32_e32 v12, 7, v10
	v_ffbh_u32_e32 v24, v12
	v_min_u32_e32 v28, 32, v24
	v_subrev_u32_e32 v24, 28, v28
	v_lshlrev_b64 v[24:25], v24, v[10:11]
	v_lshrrev_b32_e32 v27, 3, v23
	v_sub_u32_e32 v10, 29, v28
	v_and_b32_e32 v24, 7, v24
	v_cmp_gt_u32_e32 vcc, 8, v23
	v_cndmask_b32_e32 v10, v27, v10, vcc
	v_cndmask_b32_e32 v12, v12, v24, vcc
	v_lshlrev_b32_e32 v23, 16, v13
	v_bfrev_b32_e32 v24, 60
	v_lshlrev_b32_e32 v12, 20, v12
	v_and_b32_e32 v23, 0x80000000, v23
	v_lshl_add_u32 v10, v10, 23, v24
	v_or3_b32 v10, v23, v10, v12
	v_lshrrev_b32_e32 v12, 16, v10
.LBB874_579:
	s_or_b64 exec, exec, s[12:13]
.LBB874_580:
	s_or_b64 exec, exec, s[10:11]
.LBB874_581:
	s_or_b64 exec, exec, s[8:9]
	s_movk_i32 s7, 0xff
	v_and_b32_sdwa v25, v13, s7 dst_sel:DWORD dst_unused:UNUSED_PAD src0_sel:WORD_1 src1_sel:DWORD
	v_lshrrev_b32_e32 v10, 16, v13
	v_cmp_ne_u16_e32 vcc, 0, v25
	v_mov_b32_e32 v23, 0
	v_mov_b32_e32 v24, 0
	s_and_saveexec_b64 s[8:9], vcc
	s_cbranch_execz .LBB874_587
; %bb.582:
	s_movk_i32 s7, 0x80
	v_cmp_ne_u16_e32 vcc, s7, v25
	v_mov_b32_e32 v24, 0xffff8000
	s_and_saveexec_b64 s[10:11], vcc
	s_cbranch_execz .LBB874_586
; %bb.583:
	v_bfe_u32 v25, v13, 16, 7
	s_movk_i32 s7, 0x7f
	v_cmp_ne_u32_e32 vcc, s7, v25
	v_mov_b32_e32 v24, 0x7f80
	s_and_saveexec_b64 s[12:13], vcc
	s_cbranch_execz .LBB874_585
; %bb.584:
	v_and_b32_e32 v24, 7, v10
	v_ffbh_u32_e32 v28, v24
	v_min_u32_e32 v30, 32, v28
	v_subrev_u32_e32 v28, 28, v30
	v_lshlrev_b64 v[28:29], v28, v[10:11]
	v_lshrrev_b32_e32 v27, 3, v25
	v_sub_u32_e32 v10, 29, v30
	v_and_b32_e32 v28, 7, v28
	v_cmp_gt_u32_e32 vcc, 8, v25
	v_mov_b32_e32 v25, 24
	v_cndmask_b32_e32 v10, v27, v10, vcc
	v_cndmask_b32_e32 v24, v24, v28, vcc
	v_lshlrev_b32_sdwa v25, v25, v13 dst_sel:DWORD dst_unused:UNUSED_PAD src0_sel:DWORD src1_sel:WORD_1
	v_bfrev_b32_e32 v27, 60
	v_lshlrev_b32_e32 v24, 20, v24
	v_and_b32_e32 v25, 0x80000000, v25
	v_lshl_add_u32 v10, v10, 23, v27
	v_or3_b32 v10, v25, v10, v24
	v_lshrrev_b32_e32 v24, 16, v10
.LBB874_585:
	s_or_b64 exec, exec, s[12:13]
.LBB874_586:
	s_or_b64 exec, exec, s[10:11]
.LBB874_587:
	s_or_b64 exec, exec, s[8:9]
	s_mov_b32 s7, 0xffffff
	v_cmp_lt_u32_e32 vcc, s7, v13
	s_and_saveexec_b64 s[8:9], vcc
	s_cbranch_execz .LBB874_593
; %bb.588:
	v_lshrrev_b32_e32 v10, 24, v13
	s_movk_i32 s7, 0x80
	v_cmp_ne_u32_e32 vcc, s7, v10
	v_mov_b32_e32 v23, 0xffff8000
	s_and_saveexec_b64 s[10:11], vcc
	s_cbranch_execz .LBB874_592
; %bb.589:
	v_bfe_u32 v13, v13, 24, 7
	s_movk_i32 s7, 0x7f
	v_cmp_ne_u32_e32 vcc, s7, v13
	v_mov_b32_e32 v23, 0x7f80
	s_and_saveexec_b64 s[12:13], vcc
	s_cbranch_execz .LBB874_591
; %bb.590:
	v_and_b32_e32 v23, 7, v10
	v_ffbh_u32_e32 v27, v23
	v_min_u32_e32 v27, 32, v27
	v_subrev_u32_e32 v28, 28, v27
	v_lshlrev_b64 v[28:29], v28, v[10:11]
	v_lshrrev_b32_e32 v25, 3, v13
	v_sub_u32_e32 v27, 29, v27
	v_and_b32_e32 v28, 7, v28
	v_cmp_gt_u32_e32 vcc, 8, v13
	v_cndmask_b32_e32 v13, v25, v27, vcc
	v_cndmask_b32_e32 v23, v23, v28, vcc
	v_lshlrev_b32_e32 v10, 24, v10
	v_bfrev_b32_e32 v25, 60
	v_lshlrev_b32_e32 v23, 20, v23
	v_and_b32_e32 v10, 0x80000000, v10
	v_lshl_add_u32 v13, v13, 23, v25
	v_or3_b32 v10, v10, v13, v23
	v_lshrrev_b32_e32 v23, 16, v10
.LBB874_591:
	s_or_b64 exec, exec, s[12:13]
.LBB874_592:
	s_or_b64 exec, exec, s[10:11]
.LBB874_593:
	s_or_b64 exec, exec, s[8:9]
	s_mov_b32 s7, 0x5040100
	v_perm_b32 v19, v19, v20, s7
	v_perm_b32 v18, v11, v18, s7
	ds_read_b128 v[28:31], v22 offset:2064
	v_perm_b32 v11, v23, v24, s7
	v_perm_b32 v10, v12, v21, s7
	s_waitcnt lgkmcnt(0)
	v_mfma_f32_16x16x16bf16_1k v[32:35], v[18:19], v[28:29], v[14:17]
	s_nop 6
	v_mov_b32_e32 v15, 0
	s_waitcnt vmcnt(1)
	v_cmp_ne_u16_sdwa s[10:11], v6, v15 src0_sel:BYTE_0 src1_sel:DWORD
	v_mfma_f32_16x16x16bf16_1k v[10:13], v[10:11], v[30:31], v[32:35]
	v_mov_b32_e32 v16, 0
	s_and_saveexec_b64 s[8:9], s[10:11]
	s_cbranch_execz .LBB874_599
; %bb.594:
	s_movk_i32 s7, 0x80
	v_cmp_ne_u16_sdwa s[12:13], v6, s7 src0_sel:BYTE_0 src1_sel:DWORD
	v_mov_b32_e32 v16, 0xffff8000
	s_and_saveexec_b64 s[10:11], s[12:13]
	s_cbranch_execz .LBB874_598
; %bb.595:
	s_movk_i32 s7, 0x7f
	v_and_b32_e32 v14, 0x7f, v6
	v_cmp_ne_u32_e32 vcc, s7, v14
	v_mov_b32_e32 v16, 0x7f80
	s_and_saveexec_b64 s[12:13], vcc
	s_cbranch_execz .LBB874_597
; %bb.596:
	v_and_b32_e32 v18, 7, v6
	v_ffbh_u32_e32 v16, v18
	v_min_u32_e32 v20, 32, v16
	v_subrev_u32_e32 v16, 28, v20
	v_lshlrev_b64 v[16:17], v16, v[6:7]
	v_lshrrev_b32_e32 v19, 3, v14
	v_sub_u32_e32 v17, 29, v20
	v_and_b32_e32 v16, 7, v16
	v_cmp_gt_u32_e32 vcc, 8, v14
	v_cndmask_b32_e32 v14, v19, v17, vcc
	v_cndmask_b32_e32 v16, v18, v16, vcc
	v_lshlrev_b32_e32 v17, 24, v6
	v_bfrev_b32_e32 v18, 60
	v_lshlrev_b32_e32 v16, 20, v16
	v_and_b32_e32 v17, 0x80000000, v17
	v_lshl_add_u32 v14, v14, 23, v18
	v_or3_b32 v14, v17, v14, v16
	v_lshrrev_b32_e32 v16, 16, v14
.LBB874_597:
	s_or_b64 exec, exec, s[12:13]
.LBB874_598:
	s_or_b64 exec, exec, s[10:11]
.LBB874_599:
	s_or_b64 exec, exec, s[8:9]
	v_lshrrev_b16_e32 v14, 8, v6
	v_cmp_ne_u16_e32 vcc, 0, v14
	s_and_saveexec_b64 s[8:9], vcc
	s_cbranch_execz .LBB874_605
; %bb.600:
	s_movk_i32 s7, 0x80
	v_cmp_ne_u16_e32 vcc, s7, v14
	v_mov_b32_e32 v15, 0xffff8000
	s_and_saveexec_b64 s[10:11], vcc
	s_cbranch_execz .LBB874_604
; %bb.601:
	s_movk_i32 s7, 0x7f
	v_and_b32_e32 v17, 0x7f, v14
	v_cmp_ne_u32_e32 vcc, s7, v17
	v_mov_b32_e32 v15, 0x7f80
	s_and_saveexec_b64 s[12:13], vcc
	s_cbranch_execz .LBB874_603
; %bb.602:
	v_and_b32_e32 v18, 7, v14
	v_ffbh_u32_e32 v15, v18
	v_min_u32_e32 v20, 32, v15
	v_subrev_u32_e32 v15, 28, v20
	v_lshlrev_b64 v[14:15], v15, v[14:15]
	v_lshrrev_b32_e32 v19, 3, v17
	v_sub_u32_e32 v15, 29, v20
	v_and_b32_e32 v14, 7, v14
	v_cmp_gt_u32_e32 vcc, 8, v17
	v_cndmask_b32_e32 v15, v19, v15, vcc
	v_cndmask_b32_e32 v14, v18, v14, vcc
	v_lshlrev_b32_e32 v17, 16, v6
	v_bfrev_b32_e32 v18, 60
	v_lshlrev_b32_e32 v14, 20, v14
	v_and_b32_e32 v17, 0x80000000, v17
	v_lshl_add_u32 v15, v15, 23, v18
	v_or3_b32 v14, v17, v15, v14
	v_lshrrev_b32_e32 v15, 16, v14
.LBB874_603:
	s_or_b64 exec, exec, s[12:13]
.LBB874_604:
	s_or_b64 exec, exec, s[10:11]
.LBB874_605:
	s_or_b64 exec, exec, s[8:9]
	s_movk_i32 s7, 0xff
	v_and_b32_sdwa v19, v6, s7 dst_sel:DWORD dst_unused:UNUSED_PAD src0_sel:WORD_1 src1_sel:DWORD
	v_lshrrev_b32_e32 v14, 16, v6
	v_cmp_ne_u16_e32 vcc, 0, v19
	v_mov_b32_e32 v17, 0
	v_mov_b32_e32 v18, 0
	s_and_saveexec_b64 s[8:9], vcc
	s_cbranch_execz .LBB874_611
; %bb.606:
	s_movk_i32 s7, 0x80
	v_cmp_ne_u16_e32 vcc, s7, v19
	v_mov_b32_e32 v18, 0xffff8000
	s_and_saveexec_b64 s[10:11], vcc
	s_cbranch_execz .LBB874_610
; %bb.607:
	v_bfe_u32 v19, v6, 16, 7
	s_movk_i32 s7, 0x7f
	v_cmp_ne_u32_e32 vcc, s7, v19
	v_mov_b32_e32 v18, 0x7f80
	s_and_saveexec_b64 s[12:13], vcc
	s_cbranch_execz .LBB874_609
; %bb.608:
	v_and_b32_e32 v18, 7, v14
	v_ffbh_u32_e32 v20, v18
	v_min_u32_e32 v24, 32, v20
	v_subrev_u32_e32 v20, 28, v24
	v_lshlrev_b64 v[20:21], v20, v[14:15]
	v_lshrrev_b32_e32 v23, 3, v19
	v_sub_u32_e32 v14, 29, v24
	v_and_b32_e32 v20, 7, v20
	v_cmp_gt_u32_e32 vcc, 8, v19
	v_mov_b32_e32 v19, 24
	v_cndmask_b32_e32 v14, v23, v14, vcc
	v_cndmask_b32_e32 v18, v18, v20, vcc
	v_lshlrev_b32_sdwa v19, v19, v6 dst_sel:DWORD dst_unused:UNUSED_PAD src0_sel:DWORD src1_sel:WORD_1
	v_bfrev_b32_e32 v20, 60
	v_lshlrev_b32_e32 v18, 20, v18
	v_and_b32_e32 v19, 0x80000000, v19
	v_lshl_add_u32 v14, v14, 23, v20
	v_or3_b32 v14, v19, v14, v18
	v_lshrrev_b32_e32 v18, 16, v14
.LBB874_609:
	s_or_b64 exec, exec, s[12:13]
.LBB874_610:
	s_or_b64 exec, exec, s[10:11]
.LBB874_611:
	s_or_b64 exec, exec, s[8:9]
	s_mov_b32 s7, 0xffffff
	v_cmp_lt_u32_e32 vcc, s7, v6
	s_and_saveexec_b64 s[8:9], vcc
	s_cbranch_execz .LBB874_617
; %bb.612:
	v_lshrrev_b32_e32 v14, 24, v6
	s_movk_i32 s7, 0x80
	v_cmp_ne_u32_e32 vcc, s7, v14
	v_mov_b32_e32 v17, 0xffff8000
	s_and_saveexec_b64 s[10:11], vcc
	s_cbranch_execz .LBB874_616
; %bb.613:
	v_bfe_u32 v6, v6, 24, 7
	s_movk_i32 s7, 0x7f
	v_cmp_ne_u32_e32 vcc, s7, v6
	v_mov_b32_e32 v17, 0x7f80
	s_and_saveexec_b64 s[12:13], vcc
	s_cbranch_execz .LBB874_615
; %bb.614:
	v_and_b32_e32 v17, 7, v14
	v_ffbh_u32_e32 v20, v17
	v_min_u32_e32 v23, 32, v20
	v_subrev_u32_e32 v20, 28, v23
	v_lshlrev_b64 v[20:21], v20, v[14:15]
	v_lshrrev_b32_e32 v19, 3, v6
	v_sub_u32_e32 v21, 29, v23
	v_and_b32_e32 v20, 7, v20
	v_cmp_gt_u32_e32 vcc, 8, v6
	v_cndmask_b32_e32 v6, v19, v21, vcc
	v_cndmask_b32_e32 v17, v17, v20, vcc
	v_lshlrev_b32_e32 v14, 24, v14
	v_bfrev_b32_e32 v19, 60
	v_lshlrev_b32_e32 v17, 20, v17
	v_and_b32_e32 v14, 0x80000000, v14
	v_lshl_add_u32 v6, v6, 23, v19
	v_or3_b32 v6, v14, v6, v17
	v_lshrrev_b32_e32 v17, 16, v6
.LBB874_615:
	s_or_b64 exec, exec, s[12:13]
.LBB874_616:
	s_or_b64 exec, exec, s[10:11]
.LBB874_617:
	s_or_b64 exec, exec, s[8:9]
	v_mov_b32_e32 v14, 0
	v_cmp_ne_u16_sdwa s[10:11], v7, v14 src0_sel:BYTE_0 src1_sel:DWORD
	v_mov_b32_e32 v19, 0
	s_and_saveexec_b64 s[8:9], s[10:11]
	s_cbranch_execz .LBB874_623
; %bb.618:
	s_movk_i32 s7, 0x80
	v_cmp_ne_u16_sdwa s[12:13], v7, s7 src0_sel:BYTE_0 src1_sel:DWORD
	v_mov_b32_e32 v19, 0xffff8000
	s_and_saveexec_b64 s[10:11], s[12:13]
	s_cbranch_execz .LBB874_622
; %bb.619:
	s_movk_i32 s7, 0x7f
	v_and_b32_e32 v6, 0x7f, v7
	v_cmp_ne_u32_e32 vcc, s7, v6
	v_mov_b32_e32 v19, 0x7f80
	s_and_saveexec_b64 s[12:13], vcc
	s_cbranch_execz .LBB874_621
; %bb.620:
	v_and_b32_e32 v19, 7, v7
	v_ffbh_u32_e32 v21, v19
	v_min_u32_e32 v24, 32, v21
	v_mov_b32_e32 v20, v7
	v_subrev_u32_e32 v21, 28, v24
	v_lshlrev_b64 v[20:21], v21, v[20:21]
	v_lshrrev_b32_e32 v23, 3, v6
	v_sub_u32_e32 v21, 29, v24
	v_and_b32_e32 v20, 7, v20
	v_cmp_gt_u32_e32 vcc, 8, v6
	v_cndmask_b32_e32 v6, v23, v21, vcc
	v_cndmask_b32_e32 v19, v19, v20, vcc
	v_lshlrev_b32_e32 v20, 24, v7
	v_bfrev_b32_e32 v21, 60
	v_lshlrev_b32_e32 v19, 20, v19
	v_and_b32_e32 v20, 0x80000000, v20
	v_lshl_add_u32 v6, v6, 23, v21
	v_or3_b32 v6, v20, v6, v19
	v_lshrrev_b32_e32 v19, 16, v6
.LBB874_621:
	s_or_b64 exec, exec, s[12:13]
.LBB874_622:
	s_or_b64 exec, exec, s[10:11]
.LBB874_623:
	s_or_b64 exec, exec, s[8:9]
	v_lshrrev_b16_e32 v6, 8, v7
	v_cmp_ne_u16_e32 vcc, 0, v6
	s_and_saveexec_b64 s[8:9], vcc
	s_cbranch_execz .LBB874_629
; %bb.624:
	s_movk_i32 s7, 0x80
	v_cmp_ne_u16_e32 vcc, s7, v6
	v_mov_b32_e32 v14, 0xffff8000
	s_and_saveexec_b64 s[10:11], vcc
	s_cbranch_execz .LBB874_628
; %bb.625:
	s_movk_i32 s7, 0x7f
	v_and_b32_e32 v20, 0x7f, v6
	v_cmp_ne_u32_e32 vcc, s7, v20
	v_mov_b32_e32 v14, 0x7f80
	s_and_saveexec_b64 s[12:13], vcc
	s_cbranch_execz .LBB874_627
; %bb.626:
	v_and_b32_e32 v14, 7, v6
	v_ffbh_u32_e32 v23, v14
	v_min_u32_e32 v23, 32, v23
	v_subrev_u32_e32 v24, 28, v23
	v_lshlrev_b64 v[24:25], v24, v[6:7]
	v_lshrrev_b32_e32 v21, 3, v20
	v_sub_u32_e32 v6, 29, v23
	v_and_b32_e32 v23, 7, v24
	v_cmp_gt_u32_e32 vcc, 8, v20
	v_cndmask_b32_e32 v6, v21, v6, vcc
	v_cndmask_b32_e32 v14, v14, v23, vcc
	v_lshlrev_b32_e32 v20, 16, v7
	v_bfrev_b32_e32 v21, 60
	v_lshlrev_b32_e32 v14, 20, v14
	v_and_b32_e32 v20, 0x80000000, v20
	v_lshl_add_u32 v6, v6, 23, v21
	v_or3_b32 v6, v20, v6, v14
	v_lshrrev_b32_e32 v14, 16, v6
.LBB874_627:
	s_or_b64 exec, exec, s[12:13]
.LBB874_628:
	s_or_b64 exec, exec, s[10:11]
.LBB874_629:
	s_or_b64 exec, exec, s[8:9]
	s_movk_i32 s7, 0xff
	v_and_b32_sdwa v23, v7, s7 dst_sel:DWORD dst_unused:UNUSED_PAD src0_sel:WORD_1 src1_sel:DWORD
	v_lshrrev_b32_e32 v6, 16, v7
	v_cmp_ne_u16_e32 vcc, 0, v23
	v_mov_b32_e32 v20, 0
	v_mov_b32_e32 v21, 0
	s_and_saveexec_b64 s[8:9], vcc
	s_cbranch_execz .LBB874_635
; %bb.630:
	s_movk_i32 s7, 0x80
	v_cmp_ne_u16_e32 vcc, s7, v23
	v_mov_b32_e32 v21, 0xffff8000
	s_and_saveexec_b64 s[10:11], vcc
	s_cbranch_execz .LBB874_634
; %bb.631:
	v_bfe_u32 v23, v7, 16, 7
	s_movk_i32 s7, 0x7f
	v_cmp_ne_u32_e32 vcc, s7, v23
	v_mov_b32_e32 v21, 0x7f80
	s_and_saveexec_b64 s[12:13], vcc
	s_cbranch_execz .LBB874_633
; %bb.632:
	v_and_b32_e32 v21, 7, v6
	v_ffbh_u32_e32 v24, v21
	v_min_u32_e32 v28, 32, v24
	v_subrev_u32_e32 v24, 28, v28
	v_lshlrev_b64 v[24:25], v24, v[6:7]
	v_lshrrev_b32_e32 v27, 3, v23
	v_sub_u32_e32 v6, 29, v28
	v_and_b32_e32 v24, 7, v24
	v_cmp_gt_u32_e32 vcc, 8, v23
	v_mov_b32_e32 v23, 24
	v_cndmask_b32_e32 v6, v27, v6, vcc
	v_cndmask_b32_e32 v21, v21, v24, vcc
	v_lshlrev_b32_sdwa v23, v23, v7 dst_sel:DWORD dst_unused:UNUSED_PAD src0_sel:DWORD src1_sel:WORD_1
	v_bfrev_b32_e32 v24, 60
	v_lshlrev_b32_e32 v21, 20, v21
	v_and_b32_e32 v23, 0x80000000, v23
	v_lshl_add_u32 v6, v6, 23, v24
	v_or3_b32 v6, v23, v6, v21
	v_lshrrev_b32_e32 v21, 16, v6
.LBB874_633:
	s_or_b64 exec, exec, s[12:13]
.LBB874_634:
	s_or_b64 exec, exec, s[10:11]
.LBB874_635:
	s_or_b64 exec, exec, s[8:9]
	s_mov_b32 s7, 0xffffff
	v_cmp_lt_u32_e32 vcc, s7, v7
	s_and_saveexec_b64 s[8:9], vcc
	s_cbranch_execz .LBB874_641
; %bb.636:
	v_lshrrev_b32_e32 v6, 24, v7
	s_movk_i32 s7, 0x80
	v_cmp_ne_u32_e32 vcc, s7, v6
	v_mov_b32_e32 v20, 0xffff8000
	s_and_saveexec_b64 s[10:11], vcc
	s_cbranch_execz .LBB874_640
; %bb.637:
	v_bfe_u32 v7, v7, 24, 7
	s_movk_i32 s7, 0x7f
	v_cmp_ne_u32_e32 vcc, s7, v7
	v_mov_b32_e32 v20, 0x7f80
	s_and_saveexec_b64 s[12:13], vcc
	s_cbranch_execz .LBB874_639
; %bb.638:
	v_and_b32_e32 v20, 7, v6
	v_ffbh_u32_e32 v24, v20
	v_min_u32_e32 v27, 32, v24
	v_subrev_u32_e32 v24, 28, v27
	v_lshlrev_b64 v[24:25], v24, v[6:7]
	v_lshrrev_b32_e32 v23, 3, v7
	v_sub_u32_e32 v25, 29, v27
	v_and_b32_e32 v24, 7, v24
	v_cmp_gt_u32_e32 vcc, 8, v7
	v_cndmask_b32_e32 v7, v23, v25, vcc
	v_cndmask_b32_e32 v20, v20, v24, vcc
	v_lshlrev_b32_e32 v6, 24, v6
	v_bfrev_b32_e32 v23, 60
	v_lshlrev_b32_e32 v20, 20, v20
	v_and_b32_e32 v6, 0x80000000, v6
	v_lshl_add_u32 v7, v7, 23, v23
	v_or3_b32 v6, v6, v7, v20
	v_lshrrev_b32_e32 v20, 16, v6
.LBB874_639:
	s_or_b64 exec, exec, s[12:13]
.LBB874_640:
	s_or_b64 exec, exec, s[10:11]
.LBB874_641:
	s_or_b64 exec, exec, s[8:9]
	s_mov_b32 s7, 0x5040100
	v_perm_b32 v7, v17, v18, s7
	v_perm_b32 v6, v15, v16, s7
	ds_read_b128 v[28:31], v22 offset:4096
	v_perm_b32 v17, v20, v21, s7
	v_perm_b32 v16, v14, v19, s7
	s_waitcnt lgkmcnt(0)
	v_mfma_f32_16x16x16bf16_1k v[10:13], v[6:7], v[28:29], v[10:13]
	v_mov_b32_e32 v7, 0
	v_cmp_ne_u16_sdwa s[10:11], v8, v7 src0_sel:BYTE_0 src1_sel:DWORD
	v_mov_b32_e32 v14, 0
	v_mfma_f32_16x16x16bf16_1k v[10:13], v[16:17], v[30:31], v[10:13]
	s_and_saveexec_b64 s[8:9], s[10:11]
	s_cbranch_execz .LBB874_647
; %bb.642:
	s_movk_i32 s7, 0x80
	v_cmp_ne_u16_sdwa s[12:13], v8, s7 src0_sel:BYTE_0 src1_sel:DWORD
	v_mov_b32_e32 v14, 0xffff8000
	s_and_saveexec_b64 s[10:11], s[12:13]
	s_cbranch_execz .LBB874_646
; %bb.643:
	s_movk_i32 s7, 0x7f
	v_and_b32_e32 v6, 0x7f, v8
	v_cmp_ne_u32_e32 vcc, s7, v6
	v_mov_b32_e32 v14, 0x7f80
	s_and_saveexec_b64 s[12:13], vcc
	s_cbranch_execz .LBB874_645
; %bb.644:
	v_and_b32_e32 v16, 7, v8
	v_ffbh_u32_e32 v14, v16
	v_min_u32_e32 v18, 32, v14
	v_subrev_u32_e32 v14, 28, v18
	v_lshlrev_b64 v[14:15], v14, v[8:9]
	v_lshrrev_b32_e32 v17, 3, v6
	v_sub_u32_e32 v15, 29, v18
	v_and_b32_e32 v14, 7, v14
	v_cmp_gt_u32_e32 vcc, 8, v6
	v_cndmask_b32_e32 v6, v17, v15, vcc
	v_cndmask_b32_e32 v14, v16, v14, vcc
	v_lshlrev_b32_e32 v15, 24, v8
	v_bfrev_b32_e32 v16, 60
	v_lshlrev_b32_e32 v14, 20, v14
	v_and_b32_e32 v15, 0x80000000, v15
	v_lshl_add_u32 v6, v6, 23, v16
	v_or3_b32 v6, v15, v6, v14
	v_lshrrev_b32_e32 v14, 16, v6
.LBB874_645:
	s_or_b64 exec, exec, s[12:13]
.LBB874_646:
	s_or_b64 exec, exec, s[10:11]
.LBB874_647:
	s_or_b64 exec, exec, s[8:9]
	v_lshrrev_b16_e32 v6, 8, v8
	v_cmp_ne_u16_e32 vcc, 0, v6
	s_and_saveexec_b64 s[8:9], vcc
	s_cbranch_execz .LBB874_653
; %bb.648:
	s_movk_i32 s7, 0x80
	v_cmp_ne_u16_e32 vcc, s7, v6
	v_mov_b32_e32 v7, 0xffff8000
	s_and_saveexec_b64 s[10:11], vcc
	s_cbranch_execz .LBB874_652
; %bb.649:
	s_movk_i32 s7, 0x7f
	v_and_b32_e32 v15, 0x7f, v6
	v_cmp_ne_u32_e32 vcc, s7, v15
	v_mov_b32_e32 v7, 0x7f80
	s_and_saveexec_b64 s[12:13], vcc
	s_cbranch_execz .LBB874_651
; %bb.650:
	v_and_b32_e32 v16, 7, v6
	v_ffbh_u32_e32 v7, v16
	v_min_u32_e32 v18, 32, v7
	v_subrev_u32_e32 v7, 28, v18
	v_lshlrev_b64 v[6:7], v7, v[6:7]
	v_lshrrev_b32_e32 v17, 3, v15
	v_sub_u32_e32 v7, 29, v18
	v_and_b32_e32 v6, 7, v6
	v_cmp_gt_u32_e32 vcc, 8, v15
	v_cndmask_b32_e32 v7, v17, v7, vcc
	v_cndmask_b32_e32 v6, v16, v6, vcc
	v_lshlrev_b32_e32 v15, 16, v8
	v_bfrev_b32_e32 v16, 60
	v_lshlrev_b32_e32 v6, 20, v6
	v_and_b32_e32 v15, 0x80000000, v15
	v_lshl_add_u32 v7, v7, 23, v16
	v_or3_b32 v6, v15, v7, v6
	v_lshrrev_b32_e32 v7, 16, v6
.LBB874_651:
	s_or_b64 exec, exec, s[12:13]
.LBB874_652:
	s_or_b64 exec, exec, s[10:11]
.LBB874_653:
	s_or_b64 exec, exec, s[8:9]
	s_movk_i32 s7, 0xff
	v_and_b32_sdwa v17, v8, s7 dst_sel:DWORD dst_unused:UNUSED_PAD src0_sel:WORD_1 src1_sel:DWORD
	v_lshrrev_b32_e32 v6, 16, v8
	v_cmp_ne_u16_e32 vcc, 0, v17
	v_mov_b32_e32 v15, 0
	v_mov_b32_e32 v16, 0
	s_and_saveexec_b64 s[8:9], vcc
	s_cbranch_execz .LBB874_659
; %bb.654:
	s_movk_i32 s7, 0x80
	v_cmp_ne_u16_e32 vcc, s7, v17
	v_mov_b32_e32 v16, 0xffff8000
	s_and_saveexec_b64 s[10:11], vcc
	s_cbranch_execz .LBB874_658
; %bb.655:
	v_bfe_u32 v17, v8, 16, 7
	s_movk_i32 s7, 0x7f
	v_cmp_ne_u32_e32 vcc, s7, v17
	v_mov_b32_e32 v16, 0x7f80
	s_and_saveexec_b64 s[12:13], vcc
	s_cbranch_execz .LBB874_657
; %bb.656:
	v_and_b32_e32 v16, 7, v6
	v_ffbh_u32_e32 v18, v16
	v_min_u32_e32 v21, 32, v18
	v_subrev_u32_e32 v18, 28, v21
	v_lshlrev_b64 v[18:19], v18, v[6:7]
	v_lshrrev_b32_e32 v20, 3, v17
	v_sub_u32_e32 v6, 29, v21
	v_and_b32_e32 v18, 7, v18
	v_cmp_gt_u32_e32 vcc, 8, v17
	v_mov_b32_e32 v17, 24
	v_cndmask_b32_e32 v6, v20, v6, vcc
	v_cndmask_b32_e32 v16, v16, v18, vcc
	v_lshlrev_b32_sdwa v17, v17, v8 dst_sel:DWORD dst_unused:UNUSED_PAD src0_sel:DWORD src1_sel:WORD_1
	v_bfrev_b32_e32 v18, 60
	v_lshlrev_b32_e32 v16, 20, v16
	v_and_b32_e32 v17, 0x80000000, v17
	v_lshl_add_u32 v6, v6, 23, v18
	v_or3_b32 v6, v17, v6, v16
	v_lshrrev_b32_e32 v16, 16, v6
.LBB874_657:
	s_or_b64 exec, exec, s[12:13]
.LBB874_658:
	s_or_b64 exec, exec, s[10:11]
.LBB874_659:
	s_or_b64 exec, exec, s[8:9]
	s_mov_b32 s7, 0xffffff
	v_cmp_lt_u32_e32 vcc, s7, v8
	s_and_saveexec_b64 s[8:9], vcc
	s_cbranch_execz .LBB874_665
; %bb.660:
	v_lshrrev_b32_e32 v6, 24, v8
	s_movk_i32 s7, 0x80
	v_cmp_ne_u32_e32 vcc, s7, v6
	v_mov_b32_e32 v15, 0xffff8000
	s_and_saveexec_b64 s[10:11], vcc
	s_cbranch_execz .LBB874_664
; %bb.661:
	v_bfe_u32 v8, v8, 24, 7
	s_movk_i32 s7, 0x7f
	v_cmp_ne_u32_e32 vcc, s7, v8
	v_mov_b32_e32 v15, 0x7f80
	s_and_saveexec_b64 s[12:13], vcc
	s_cbranch_execz .LBB874_663
; %bb.662:
	v_and_b32_e32 v15, 7, v6
	v_ffbh_u32_e32 v18, v15
	v_min_u32_e32 v20, 32, v18
	v_subrev_u32_e32 v18, 28, v20
	v_lshlrev_b64 v[18:19], v18, v[6:7]
	v_lshrrev_b32_e32 v17, 3, v8
	v_sub_u32_e32 v19, 29, v20
	v_and_b32_e32 v18, 7, v18
	v_cmp_gt_u32_e32 vcc, 8, v8
	v_cndmask_b32_e32 v8, v17, v19, vcc
	v_cndmask_b32_e32 v15, v15, v18, vcc
	v_lshlrev_b32_e32 v6, 24, v6
	v_bfrev_b32_e32 v17, 60
	v_lshlrev_b32_e32 v15, 20, v15
	v_and_b32_e32 v6, 0x80000000, v6
	v_lshl_add_u32 v8, v8, 23, v17
	v_or3_b32 v6, v6, v8, v15
	v_lshrrev_b32_e32 v15, 16, v6
.LBB874_663:
	s_or_b64 exec, exec, s[12:13]
.LBB874_664:
	s_or_b64 exec, exec, s[10:11]
.LBB874_665:
	s_or_b64 exec, exec, s[8:9]
	v_mov_b32_e32 v8, 0
	v_cmp_ne_u16_sdwa s[10:11], v9, v8 src0_sel:BYTE_0 src1_sel:DWORD
	v_mov_b32_e32 v17, 0
	s_and_saveexec_b64 s[8:9], s[10:11]
	s_cbranch_execz .LBB874_671
; %bb.666:
	s_movk_i32 s7, 0x80
	v_cmp_ne_u16_sdwa s[12:13], v9, s7 src0_sel:BYTE_0 src1_sel:DWORD
	v_mov_b32_e32 v17, 0xffff8000
	s_and_saveexec_b64 s[10:11], s[12:13]
	s_cbranch_execz .LBB874_670
; %bb.667:
	s_movk_i32 s7, 0x7f
	v_and_b32_e32 v6, 0x7f, v9
	v_cmp_ne_u32_e32 vcc, s7, v6
	v_mov_b32_e32 v17, 0x7f80
	s_and_saveexec_b64 s[12:13], vcc
	s_cbranch_execz .LBB874_669
; %bb.668:
	v_and_b32_e32 v17, 7, v9
	v_ffbh_u32_e32 v19, v17
	v_min_u32_e32 v21, 32, v19
	v_mov_b32_e32 v18, v9
	v_subrev_u32_e32 v19, 28, v21
	v_lshlrev_b64 v[18:19], v19, v[18:19]
	v_lshrrev_b32_e32 v20, 3, v6
	v_sub_u32_e32 v19, 29, v21
	v_and_b32_e32 v18, 7, v18
	v_cmp_gt_u32_e32 vcc, 8, v6
	v_cndmask_b32_e32 v6, v20, v19, vcc
	v_cndmask_b32_e32 v17, v17, v18, vcc
	v_lshlrev_b32_e32 v18, 24, v9
	v_bfrev_b32_e32 v19, 60
	v_lshlrev_b32_e32 v17, 20, v17
	v_and_b32_e32 v18, 0x80000000, v18
	v_lshl_add_u32 v6, v6, 23, v19
	v_or3_b32 v6, v18, v6, v17
	v_lshrrev_b32_e32 v17, 16, v6
.LBB874_669:
	s_or_b64 exec, exec, s[12:13]
.LBB874_670:
	s_or_b64 exec, exec, s[10:11]
.LBB874_671:
	s_or_b64 exec, exec, s[8:9]
	v_lshrrev_b16_e32 v6, 8, v9
	v_cmp_ne_u16_e32 vcc, 0, v6
	s_and_saveexec_b64 s[8:9], vcc
	s_cbranch_execz .LBB874_677
; %bb.672:
	s_movk_i32 s7, 0x80
	v_cmp_ne_u16_e32 vcc, s7, v6
	v_mov_b32_e32 v8, 0xffff8000
	s_and_saveexec_b64 s[10:11], vcc
	s_cbranch_execz .LBB874_676
; %bb.673:
	s_movk_i32 s7, 0x7f
	v_and_b32_e32 v18, 0x7f, v6
	v_cmp_ne_u32_e32 vcc, s7, v18
	v_mov_b32_e32 v8, 0x7f80
	s_and_saveexec_b64 s[12:13], vcc
	s_cbranch_execz .LBB874_675
; %bb.674:
	v_and_b32_e32 v8, 7, v6
	v_ffbh_u32_e32 v20, v8
	v_min_u32_e32 v23, 32, v20
	v_subrev_u32_e32 v20, 28, v23
	v_lshlrev_b64 v[20:21], v20, v[6:7]
	v_lshrrev_b32_e32 v19, 3, v18
	v_sub_u32_e32 v6, 29, v23
	v_and_b32_e32 v20, 7, v20
	v_cmp_gt_u32_e32 vcc, 8, v18
	v_cndmask_b32_e32 v6, v19, v6, vcc
	v_cndmask_b32_e32 v8, v8, v20, vcc
	v_lshlrev_b32_e32 v18, 16, v9
	v_bfrev_b32_e32 v19, 60
	v_lshlrev_b32_e32 v8, 20, v8
	v_and_b32_e32 v18, 0x80000000, v18
	v_lshl_add_u32 v6, v6, 23, v19
	v_or3_b32 v6, v18, v6, v8
	v_lshrrev_b32_e32 v8, 16, v6
.LBB874_675:
	s_or_b64 exec, exec, s[12:13]
.LBB874_676:
	s_or_b64 exec, exec, s[10:11]
.LBB874_677:
	s_or_b64 exec, exec, s[8:9]
	s_movk_i32 s7, 0xff
	v_and_b32_sdwa v20, v9, s7 dst_sel:DWORD dst_unused:UNUSED_PAD src0_sel:WORD_1 src1_sel:DWORD
	v_lshrrev_b32_e32 v6, 16, v9
	v_cmp_ne_u16_e32 vcc, 0, v20
	v_mov_b32_e32 v18, 0
	v_mov_b32_e32 v19, 0
	s_and_saveexec_b64 s[8:9], vcc
	s_cbranch_execz .LBB874_683
; %bb.678:
	s_movk_i32 s7, 0x80
	v_cmp_ne_u16_e32 vcc, s7, v20
	v_mov_b32_e32 v19, 0xffff8000
	s_and_saveexec_b64 s[10:11], vcc
	s_cbranch_execz .LBB874_682
; %bb.679:
	v_bfe_u32 v20, v9, 16, 7
	s_movk_i32 s7, 0x7f
	v_cmp_ne_u32_e32 vcc, s7, v20
	v_mov_b32_e32 v19, 0x7f80
	s_and_saveexec_b64 s[12:13], vcc
	s_cbranch_execz .LBB874_681
; %bb.680:
	v_and_b32_e32 v19, 7, v6
	v_ffbh_u32_e32 v23, v19
	v_min_u32_e32 v23, 32, v23
	v_subrev_u32_e32 v24, 28, v23
	v_lshlrev_b64 v[24:25], v24, v[6:7]
	v_lshrrev_b32_e32 v21, 3, v20
	v_sub_u32_e32 v6, 29, v23
	v_and_b32_e32 v23, 7, v24
	v_cmp_gt_u32_e32 vcc, 8, v20
	v_mov_b32_e32 v20, 24
	v_cndmask_b32_e32 v6, v21, v6, vcc
	v_cndmask_b32_e32 v19, v19, v23, vcc
	v_lshlrev_b32_sdwa v20, v20, v9 dst_sel:DWORD dst_unused:UNUSED_PAD src0_sel:DWORD src1_sel:WORD_1
	v_bfrev_b32_e32 v21, 60
	v_lshlrev_b32_e32 v19, 20, v19
	v_and_b32_e32 v20, 0x80000000, v20
	v_lshl_add_u32 v6, v6, 23, v21
	v_or3_b32 v6, v20, v6, v19
	v_lshrrev_b32_e32 v19, 16, v6
.LBB874_681:
	s_or_b64 exec, exec, s[12:13]
.LBB874_682:
	s_or_b64 exec, exec, s[10:11]
.LBB874_683:
	s_or_b64 exec, exec, s[8:9]
	s_mov_b32 s7, 0xffffff
	v_cmp_lt_u32_e32 vcc, s7, v9
	s_and_saveexec_b64 s[8:9], vcc
	s_cbranch_execz .LBB874_689
; %bb.684:
	v_lshrrev_b32_e32 v6, 24, v9
	s_movk_i32 s7, 0x80
	v_cmp_ne_u32_e32 vcc, s7, v6
	v_mov_b32_e32 v18, 0xffff8000
	s_and_saveexec_b64 s[10:11], vcc
	s_cbranch_execz .LBB874_688
; %bb.685:
	v_bfe_u32 v9, v9, 24, 7
	s_movk_i32 s7, 0x7f
	v_cmp_ne_u32_e32 vcc, s7, v9
	v_mov_b32_e32 v18, 0x7f80
	s_and_saveexec_b64 s[12:13], vcc
	s_cbranch_execz .LBB874_687
; %bb.686:
	v_and_b32_e32 v18, 7, v6
	v_ffbh_u32_e32 v20, v18
	v_min_u32_e32 v24, 32, v20
	v_subrev_u32_e32 v20, 28, v24
	v_lshlrev_b64 v[20:21], v20, v[6:7]
	v_lshrrev_b32_e32 v23, 3, v9
	v_sub_u32_e32 v21, 29, v24
	v_and_b32_e32 v20, 7, v20
	v_cmp_gt_u32_e32 vcc, 8, v9
	v_cndmask_b32_e32 v9, v23, v21, vcc
	v_cndmask_b32_e32 v18, v18, v20, vcc
	v_lshlrev_b32_e32 v6, 24, v6
	v_bfrev_b32_e32 v20, 60
	v_lshlrev_b32_e32 v18, 20, v18
	v_and_b32_e32 v6, 0x80000000, v6
	v_lshl_add_u32 v9, v9, 23, v20
	v_or3_b32 v6, v6, v9, v18
	v_lshrrev_b32_e32 v18, 16, v6
.LBB874_687:
	s_or_b64 exec, exec, s[12:13]
.LBB874_688:
	s_or_b64 exec, exec, s[10:11]
.LBB874_689:
	s_or_b64 exec, exec, s[8:9]
	s_mov_b32 s7, 0x5040100
	v_perm_b32 v15, v15, v16, s7
	v_perm_b32 v14, v7, v14, s7
	ds_read_b128 v[28:31], v22 offset:4112
	v_perm_b32 v7, v18, v19, s7
	v_perm_b32 v6, v8, v17, s7
	s_waitcnt lgkmcnt(0)
	v_mfma_f32_16x16x16bf16_1k v[32:35], v[14:15], v[28:29], v[10:13]
	s_nop 6
	v_mov_b32_e32 v11, 0
	s_waitcnt vmcnt(0)
	v_cmp_ne_u16_sdwa s[10:11], v2, v11 src0_sel:BYTE_0 src1_sel:DWORD
	v_mfma_f32_16x16x16bf16_1k v[6:9], v[6:7], v[30:31], v[32:35]
	v_mov_b32_e32 v12, 0
	s_and_saveexec_b64 s[8:9], s[10:11]
	s_cbranch_execz .LBB874_695
; %bb.690:
	s_movk_i32 s7, 0x80
	v_cmp_ne_u16_sdwa s[12:13], v2, s7 src0_sel:BYTE_0 src1_sel:DWORD
	v_mov_b32_e32 v12, 0xffff8000
	s_and_saveexec_b64 s[10:11], s[12:13]
	s_cbranch_execz .LBB874_694
; %bb.691:
	s_movk_i32 s7, 0x7f
	v_and_b32_e32 v10, 0x7f, v2
	v_cmp_ne_u32_e32 vcc, s7, v10
	v_mov_b32_e32 v12, 0x7f80
	s_and_saveexec_b64 s[12:13], vcc
	s_cbranch_execz .LBB874_693
; %bb.692:
	v_and_b32_e32 v14, 7, v2
	v_ffbh_u32_e32 v12, v14
	v_min_u32_e32 v16, 32, v12
	v_subrev_u32_e32 v12, 28, v16
	v_lshlrev_b64 v[12:13], v12, v[2:3]
	v_lshrrev_b32_e32 v15, 3, v10
	v_sub_u32_e32 v13, 29, v16
	v_and_b32_e32 v12, 7, v12
	v_cmp_gt_u32_e32 vcc, 8, v10
	v_cndmask_b32_e32 v10, v15, v13, vcc
	v_cndmask_b32_e32 v12, v14, v12, vcc
	v_lshlrev_b32_e32 v13, 24, v2
	v_bfrev_b32_e32 v14, 60
	v_lshlrev_b32_e32 v12, 20, v12
	v_and_b32_e32 v13, 0x80000000, v13
	v_lshl_add_u32 v10, v10, 23, v14
	v_or3_b32 v10, v13, v10, v12
	v_lshrrev_b32_e32 v12, 16, v10
.LBB874_693:
	s_or_b64 exec, exec, s[12:13]
.LBB874_694:
	s_or_b64 exec, exec, s[10:11]
.LBB874_695:
	s_or_b64 exec, exec, s[8:9]
	v_lshrrev_b16_e32 v10, 8, v2
	v_cmp_ne_u16_e32 vcc, 0, v10
	s_and_saveexec_b64 s[8:9], vcc
	s_cbranch_execz .LBB874_701
; %bb.696:
	s_movk_i32 s7, 0x80
	v_cmp_ne_u16_e32 vcc, s7, v10
	v_mov_b32_e32 v11, 0xffff8000
	s_and_saveexec_b64 s[10:11], vcc
	s_cbranch_execz .LBB874_700
; %bb.697:
	s_movk_i32 s7, 0x7f
	v_and_b32_e32 v13, 0x7f, v10
	v_cmp_ne_u32_e32 vcc, s7, v13
	v_mov_b32_e32 v11, 0x7f80
	s_and_saveexec_b64 s[12:13], vcc
	s_cbranch_execz .LBB874_699
; %bb.698:
	v_and_b32_e32 v14, 7, v10
	v_ffbh_u32_e32 v11, v14
	v_min_u32_e32 v16, 32, v11
	v_subrev_u32_e32 v11, 28, v16
	v_lshlrev_b64 v[10:11], v11, v[10:11]
	v_lshrrev_b32_e32 v15, 3, v13
	v_sub_u32_e32 v11, 29, v16
	v_and_b32_e32 v10, 7, v10
	v_cmp_gt_u32_e32 vcc, 8, v13
	v_cndmask_b32_e32 v11, v15, v11, vcc
	v_cndmask_b32_e32 v10, v14, v10, vcc
	v_lshlrev_b32_e32 v13, 16, v2
	v_bfrev_b32_e32 v14, 60
	v_lshlrev_b32_e32 v10, 20, v10
	v_and_b32_e32 v13, 0x80000000, v13
	v_lshl_add_u32 v11, v11, 23, v14
	v_or3_b32 v10, v13, v11, v10
	v_lshrrev_b32_e32 v11, 16, v10
.LBB874_699:
	s_or_b64 exec, exec, s[12:13]
.LBB874_700:
	s_or_b64 exec, exec, s[10:11]
.LBB874_701:
	s_or_b64 exec, exec, s[8:9]
	s_movk_i32 s7, 0xff
	v_and_b32_sdwa v15, v2, s7 dst_sel:DWORD dst_unused:UNUSED_PAD src0_sel:WORD_1 src1_sel:DWORD
	v_lshrrev_b32_e32 v10, 16, v2
	v_cmp_ne_u16_e32 vcc, 0, v15
	v_mov_b32_e32 v13, 0
	v_mov_b32_e32 v14, 0
	s_and_saveexec_b64 s[8:9], vcc
	s_cbranch_execz .LBB874_707
; %bb.702:
	s_movk_i32 s7, 0x80
	v_cmp_ne_u16_e32 vcc, s7, v15
	v_mov_b32_e32 v14, 0xffff8000
	s_and_saveexec_b64 s[10:11], vcc
	s_cbranch_execz .LBB874_706
; %bb.703:
	v_bfe_u32 v15, v2, 16, 7
	s_movk_i32 s7, 0x7f
	v_cmp_ne_u32_e32 vcc, s7, v15
	v_mov_b32_e32 v14, 0x7f80
	s_and_saveexec_b64 s[12:13], vcc
	s_cbranch_execz .LBB874_705
; %bb.704:
	v_and_b32_e32 v14, 7, v10
	v_ffbh_u32_e32 v16, v14
	v_min_u32_e32 v19, 32, v16
	v_subrev_u32_e32 v16, 28, v19
	v_lshlrev_b64 v[16:17], v16, v[10:11]
	v_lshrrev_b32_e32 v18, 3, v15
	v_sub_u32_e32 v10, 29, v19
	v_and_b32_e32 v16, 7, v16
	v_cmp_gt_u32_e32 vcc, 8, v15
	v_mov_b32_e32 v15, 24
	v_cndmask_b32_e32 v10, v18, v10, vcc
	v_cndmask_b32_e32 v14, v14, v16, vcc
	v_lshlrev_b32_sdwa v15, v15, v2 dst_sel:DWORD dst_unused:UNUSED_PAD src0_sel:DWORD src1_sel:WORD_1
	v_bfrev_b32_e32 v16, 60
	v_lshlrev_b32_e32 v14, 20, v14
	v_and_b32_e32 v15, 0x80000000, v15
	v_lshl_add_u32 v10, v10, 23, v16
	v_or3_b32 v10, v15, v10, v14
	v_lshrrev_b32_e32 v14, 16, v10
.LBB874_705:
	s_or_b64 exec, exec, s[12:13]
.LBB874_706:
	s_or_b64 exec, exec, s[10:11]
.LBB874_707:
	s_or_b64 exec, exec, s[8:9]
	s_mov_b32 s7, 0xffffff
	v_cmp_lt_u32_e32 vcc, s7, v2
	s_and_saveexec_b64 s[8:9], vcc
	s_cbranch_execz .LBB874_713
; %bb.708:
	v_lshrrev_b32_e32 v10, 24, v2
	s_movk_i32 s7, 0x80
	v_cmp_ne_u32_e32 vcc, s7, v10
	v_mov_b32_e32 v13, 0xffff8000
	s_and_saveexec_b64 s[10:11], vcc
	s_cbranch_execz .LBB874_712
; %bb.709:
	v_bfe_u32 v2, v2, 24, 7
	s_movk_i32 s7, 0x7f
	v_cmp_ne_u32_e32 vcc, s7, v2
	v_mov_b32_e32 v13, 0x7f80
	s_and_saveexec_b64 s[12:13], vcc
	s_cbranch_execz .LBB874_711
; %bb.710:
	v_and_b32_e32 v13, 7, v10
	v_ffbh_u32_e32 v16, v13
	v_min_u32_e32 v18, 32, v16
	v_subrev_u32_e32 v16, 28, v18
	v_lshlrev_b64 v[16:17], v16, v[10:11]
	v_lshrrev_b32_e32 v15, 3, v2
	v_sub_u32_e32 v17, 29, v18
	v_and_b32_e32 v16, 7, v16
	v_cmp_gt_u32_e32 vcc, 8, v2
	v_cndmask_b32_e32 v2, v15, v17, vcc
	v_cndmask_b32_e32 v13, v13, v16, vcc
	v_lshlrev_b32_e32 v10, 24, v10
	v_bfrev_b32_e32 v15, 60
	v_lshlrev_b32_e32 v13, 20, v13
	v_and_b32_e32 v10, 0x80000000, v10
	v_lshl_add_u32 v2, v2, 23, v15
	v_or3_b32 v2, v10, v2, v13
	v_lshrrev_b32_e32 v13, 16, v2
.LBB874_711:
	s_or_b64 exec, exec, s[12:13]
.LBB874_712:
	s_or_b64 exec, exec, s[10:11]
.LBB874_713:
	s_or_b64 exec, exec, s[8:9]
	v_mov_b32_e32 v10, 0
	v_cmp_ne_u16_sdwa s[10:11], v3, v10 src0_sel:BYTE_0 src1_sel:DWORD
	v_mov_b32_e32 v15, 0
	s_and_saveexec_b64 s[8:9], s[10:11]
	s_cbranch_execz .LBB874_719
; %bb.714:
	s_movk_i32 s7, 0x80
	v_cmp_ne_u16_sdwa s[12:13], v3, s7 src0_sel:BYTE_0 src1_sel:DWORD
	v_mov_b32_e32 v15, 0xffff8000
	s_and_saveexec_b64 s[10:11], s[12:13]
	s_cbranch_execz .LBB874_718
; %bb.715:
	s_movk_i32 s7, 0x7f
	v_and_b32_e32 v2, 0x7f, v3
	v_cmp_ne_u32_e32 vcc, s7, v2
	v_mov_b32_e32 v15, 0x7f80
	s_and_saveexec_b64 s[12:13], vcc
	s_cbranch_execz .LBB874_717
; %bb.716:
	v_and_b32_e32 v15, 7, v3
	v_ffbh_u32_e32 v17, v15
	v_min_u32_e32 v19, 32, v17
	v_mov_b32_e32 v16, v3
	v_subrev_u32_e32 v17, 28, v19
	v_lshlrev_b64 v[16:17], v17, v[16:17]
	v_lshrrev_b32_e32 v18, 3, v2
	v_sub_u32_e32 v17, 29, v19
	v_and_b32_e32 v16, 7, v16
	v_cmp_gt_u32_e32 vcc, 8, v2
	v_cndmask_b32_e32 v2, v18, v17, vcc
	v_cndmask_b32_e32 v15, v15, v16, vcc
	v_lshlrev_b32_e32 v16, 24, v3
	v_bfrev_b32_e32 v17, 60
	v_lshlrev_b32_e32 v15, 20, v15
	v_and_b32_e32 v16, 0x80000000, v16
	v_lshl_add_u32 v2, v2, 23, v17
	v_or3_b32 v2, v16, v2, v15
	v_lshrrev_b32_e32 v15, 16, v2
.LBB874_717:
	s_or_b64 exec, exec, s[12:13]
.LBB874_718:
	s_or_b64 exec, exec, s[10:11]
.LBB874_719:
	s_or_b64 exec, exec, s[8:9]
	v_lshrrev_b16_e32 v2, 8, v3
	v_cmp_ne_u16_e32 vcc, 0, v2
	s_and_saveexec_b64 s[8:9], vcc
	s_cbranch_execz .LBB874_725
; %bb.720:
	s_movk_i32 s7, 0x80
	v_cmp_ne_u16_e32 vcc, s7, v2
	v_mov_b32_e32 v10, 0xffff8000
	s_and_saveexec_b64 s[10:11], vcc
	s_cbranch_execz .LBB874_724
; %bb.721:
	s_movk_i32 s7, 0x7f
	v_and_b32_e32 v16, 0x7f, v2
	v_cmp_ne_u32_e32 vcc, s7, v16
	v_mov_b32_e32 v10, 0x7f80
	s_and_saveexec_b64 s[12:13], vcc
	s_cbranch_execz .LBB874_723
; %bb.722:
	v_and_b32_e32 v10, 7, v2
	v_ffbh_u32_e32 v18, v10
	v_min_u32_e32 v20, 32, v18
	v_subrev_u32_e32 v18, 28, v20
	v_lshlrev_b64 v[18:19], v18, v[2:3]
	v_lshrrev_b32_e32 v17, 3, v16
	v_sub_u32_e32 v2, 29, v20
	v_and_b32_e32 v18, 7, v18
	v_cmp_gt_u32_e32 vcc, 8, v16
	v_cndmask_b32_e32 v2, v17, v2, vcc
	v_cndmask_b32_e32 v10, v10, v18, vcc
	v_lshlrev_b32_e32 v16, 16, v3
	v_bfrev_b32_e32 v17, 60
	v_lshlrev_b32_e32 v10, 20, v10
	v_and_b32_e32 v16, 0x80000000, v16
	v_lshl_add_u32 v2, v2, 23, v17
	v_or3_b32 v2, v16, v2, v10
	v_lshrrev_b32_e32 v10, 16, v2
.LBB874_723:
	s_or_b64 exec, exec, s[12:13]
.LBB874_724:
	s_or_b64 exec, exec, s[10:11]
.LBB874_725:
	s_or_b64 exec, exec, s[8:9]
	s_movk_i32 s7, 0xff
	v_and_b32_sdwa v18, v3, s7 dst_sel:DWORD dst_unused:UNUSED_PAD src0_sel:WORD_1 src1_sel:DWORD
	v_lshrrev_b32_e32 v2, 16, v3
	v_cmp_ne_u16_e32 vcc, 0, v18
	v_mov_b32_e32 v16, 0
	v_mov_b32_e32 v17, 0
	s_and_saveexec_b64 s[8:9], vcc
	s_cbranch_execz .LBB874_731
; %bb.726:
	s_movk_i32 s7, 0x80
	v_cmp_ne_u16_e32 vcc, s7, v18
	v_mov_b32_e32 v17, 0xffff8000
	s_and_saveexec_b64 s[10:11], vcc
	s_cbranch_execz .LBB874_730
; %bb.727:
	v_bfe_u32 v18, v3, 16, 7
	s_movk_i32 s7, 0x7f
	v_cmp_ne_u32_e32 vcc, s7, v18
	v_mov_b32_e32 v17, 0x7f80
	s_and_saveexec_b64 s[12:13], vcc
	s_cbranch_execz .LBB874_729
; %bb.728:
	v_and_b32_e32 v17, 7, v2
	v_ffbh_u32_e32 v20, v17
	v_min_u32_e32 v23, 32, v20
	v_subrev_u32_e32 v20, 28, v23
	v_lshlrev_b64 v[20:21], v20, v[2:3]
	v_lshrrev_b32_e32 v19, 3, v18
	v_sub_u32_e32 v2, 29, v23
	v_and_b32_e32 v20, 7, v20
	v_cmp_gt_u32_e32 vcc, 8, v18
	v_mov_b32_e32 v18, 24
	v_cndmask_b32_e32 v2, v19, v2, vcc
	v_cndmask_b32_e32 v17, v17, v20, vcc
	v_lshlrev_b32_sdwa v18, v18, v3 dst_sel:DWORD dst_unused:UNUSED_PAD src0_sel:DWORD src1_sel:WORD_1
	v_bfrev_b32_e32 v19, 60
	v_lshlrev_b32_e32 v17, 20, v17
	v_and_b32_e32 v18, 0x80000000, v18
	v_lshl_add_u32 v2, v2, 23, v19
	v_or3_b32 v2, v18, v2, v17
	v_lshrrev_b32_e32 v17, 16, v2
.LBB874_729:
	s_or_b64 exec, exec, s[12:13]
.LBB874_730:
	s_or_b64 exec, exec, s[10:11]
.LBB874_731:
	s_or_b64 exec, exec, s[8:9]
	s_mov_b32 s7, 0xffffff
	v_cmp_lt_u32_e32 vcc, s7, v3
	s_and_saveexec_b64 s[8:9], vcc
	s_cbranch_execz .LBB874_737
; %bb.732:
	v_lshrrev_b32_e32 v2, 24, v3
	s_movk_i32 s7, 0x80
	v_cmp_ne_u32_e32 vcc, s7, v2
	v_mov_b32_e32 v16, 0xffff8000
	s_and_saveexec_b64 s[10:11], vcc
	s_cbranch_execz .LBB874_736
; %bb.733:
	v_bfe_u32 v3, v3, 24, 7
	s_movk_i32 s7, 0x7f
	v_cmp_ne_u32_e32 vcc, s7, v3
	v_mov_b32_e32 v16, 0x7f80
	s_and_saveexec_b64 s[12:13], vcc
	s_cbranch_execz .LBB874_735
; %bb.734:
	v_and_b32_e32 v16, 7, v2
	v_ffbh_u32_e32 v18, v16
	v_min_u32_e32 v21, 32, v18
	v_subrev_u32_e32 v18, 28, v21
	v_lshlrev_b64 v[18:19], v18, v[2:3]
	v_lshrrev_b32_e32 v20, 3, v3
	v_sub_u32_e32 v19, 29, v21
	v_and_b32_e32 v18, 7, v18
	v_cmp_gt_u32_e32 vcc, 8, v3
	v_cndmask_b32_e32 v3, v20, v19, vcc
	v_cndmask_b32_e32 v16, v16, v18, vcc
	v_lshlrev_b32_e32 v2, 24, v2
	v_bfrev_b32_e32 v18, 60
	v_lshlrev_b32_e32 v16, 20, v16
	v_and_b32_e32 v2, 0x80000000, v2
	v_lshl_add_u32 v3, v3, 23, v18
	v_or3_b32 v2, v2, v3, v16
	v_lshrrev_b32_e32 v16, 16, v2
.LBB874_735:
	s_or_b64 exec, exec, s[12:13]
.LBB874_736:
	s_or_b64 exec, exec, s[10:11]
.LBB874_737:
	s_or_b64 exec, exec, s[8:9]
	s_mov_b32 s7, 0x5040100
	v_perm_b32 v3, v13, v14, s7
	v_perm_b32 v2, v11, v12, s7
	ds_read_b128 v[18:21], v22 offset:6144
	v_perm_b32 v13, v16, v17, s7
	v_perm_b32 v12, v10, v15, s7
	s_waitcnt lgkmcnt(0)
	v_mfma_f32_16x16x16bf16_1k v[6:9], v[2:3], v[18:19], v[6:9]
	v_mov_b32_e32 v3, 0
	v_cmp_ne_u16_sdwa s[10:11], v4, v3 src0_sel:BYTE_0 src1_sel:DWORD
	v_mov_b32_e32 v10, 0
	v_mfma_f32_16x16x16bf16_1k v[6:9], v[12:13], v[20:21], v[6:9]
	s_and_saveexec_b64 s[8:9], s[10:11]
	s_cbranch_execz .LBB874_743
; %bb.738:
	s_movk_i32 s7, 0x80
	v_cmp_ne_u16_sdwa s[12:13], v4, s7 src0_sel:BYTE_0 src1_sel:DWORD
	v_mov_b32_e32 v10, 0xffff8000
	s_and_saveexec_b64 s[10:11], s[12:13]
	s_cbranch_execz .LBB874_742
; %bb.739:
	s_movk_i32 s7, 0x7f
	v_and_b32_e32 v2, 0x7f, v4
	v_cmp_ne_u32_e32 vcc, s7, v2
	v_mov_b32_e32 v10, 0x7f80
	s_and_saveexec_b64 s[12:13], vcc
	s_cbranch_execz .LBB874_741
; %bb.740:
	v_and_b32_e32 v12, 7, v4
	v_ffbh_u32_e32 v10, v12
	v_min_u32_e32 v14, 32, v10
	v_subrev_u32_e32 v10, 28, v14
	v_lshlrev_b64 v[10:11], v10, v[4:5]
	v_lshrrev_b32_e32 v13, 3, v2
	v_sub_u32_e32 v11, 29, v14
	v_and_b32_e32 v10, 7, v10
	v_cmp_gt_u32_e32 vcc, 8, v2
	v_cndmask_b32_e32 v2, v13, v11, vcc
	v_cndmask_b32_e32 v10, v12, v10, vcc
	v_lshlrev_b32_e32 v11, 24, v4
	v_bfrev_b32_e32 v12, 60
	v_lshlrev_b32_e32 v10, 20, v10
	v_and_b32_e32 v11, 0x80000000, v11
	v_lshl_add_u32 v2, v2, 23, v12
	v_or3_b32 v2, v11, v2, v10
	v_lshrrev_b32_e32 v10, 16, v2
.LBB874_741:
	s_or_b64 exec, exec, s[12:13]
.LBB874_742:
	s_or_b64 exec, exec, s[10:11]
.LBB874_743:
	s_or_b64 exec, exec, s[8:9]
	v_lshrrev_b16_e32 v2, 8, v4
	v_cmp_ne_u16_e32 vcc, 0, v2
	s_and_saveexec_b64 s[8:9], vcc
	s_cbranch_execz .LBB874_749
; %bb.744:
	s_movk_i32 s7, 0x80
	v_cmp_ne_u16_e32 vcc, s7, v2
	v_mov_b32_e32 v3, 0xffff8000
	s_and_saveexec_b64 s[10:11], vcc
	s_cbranch_execz .LBB874_748
; %bb.745:
	s_movk_i32 s7, 0x7f
	v_and_b32_e32 v11, 0x7f, v2
	v_cmp_ne_u32_e32 vcc, s7, v11
	v_mov_b32_e32 v3, 0x7f80
	s_and_saveexec_b64 s[12:13], vcc
	s_cbranch_execz .LBB874_747
; %bb.746:
	v_and_b32_e32 v12, 7, v2
	v_ffbh_u32_e32 v3, v12
	v_min_u32_e32 v14, 32, v3
	v_subrev_u32_e32 v3, 28, v14
	v_lshlrev_b64 v[2:3], v3, v[2:3]
	v_lshrrev_b32_e32 v13, 3, v11
	v_sub_u32_e32 v3, 29, v14
	v_and_b32_e32 v2, 7, v2
	v_cmp_gt_u32_e32 vcc, 8, v11
	v_cndmask_b32_e32 v3, v13, v3, vcc
	v_cndmask_b32_e32 v2, v12, v2, vcc
	v_lshlrev_b32_e32 v11, 16, v4
	v_bfrev_b32_e32 v12, 60
	v_lshlrev_b32_e32 v2, 20, v2
	v_and_b32_e32 v11, 0x80000000, v11
	v_lshl_add_u32 v3, v3, 23, v12
	v_or3_b32 v2, v11, v3, v2
	v_lshrrev_b32_e32 v3, 16, v2
.LBB874_747:
	s_or_b64 exec, exec, s[12:13]
.LBB874_748:
	s_or_b64 exec, exec, s[10:11]
.LBB874_749:
	s_or_b64 exec, exec, s[8:9]
	s_movk_i32 s7, 0xff
	v_and_b32_sdwa v13, v4, s7 dst_sel:DWORD dst_unused:UNUSED_PAD src0_sel:WORD_1 src1_sel:DWORD
	v_lshrrev_b32_e32 v2, 16, v4
	v_cmp_ne_u16_e32 vcc, 0, v13
	v_mov_b32_e32 v11, 0
	v_mov_b32_e32 v12, 0
	s_and_saveexec_b64 s[8:9], vcc
	s_cbranch_execz .LBB874_755
; %bb.750:
	s_movk_i32 s7, 0x80
	v_cmp_ne_u16_e32 vcc, s7, v13
	v_mov_b32_e32 v12, 0xffff8000
	s_and_saveexec_b64 s[10:11], vcc
	s_cbranch_execz .LBB874_754
; %bb.751:
	v_bfe_u32 v13, v4, 16, 7
	s_movk_i32 s7, 0x7f
	v_cmp_ne_u32_e32 vcc, s7, v13
	v_mov_b32_e32 v12, 0x7f80
	s_and_saveexec_b64 s[12:13], vcc
	s_cbranch_execz .LBB874_753
; %bb.752:
	v_and_b32_e32 v12, 7, v2
	v_ffbh_u32_e32 v14, v12
	v_min_u32_e32 v17, 32, v14
	v_subrev_u32_e32 v14, 28, v17
	v_lshlrev_b64 v[14:15], v14, v[2:3]
	v_lshrrev_b32_e32 v16, 3, v13
	v_sub_u32_e32 v2, 29, v17
	v_and_b32_e32 v14, 7, v14
	v_cmp_gt_u32_e32 vcc, 8, v13
	v_mov_b32_e32 v13, 24
	v_cndmask_b32_e32 v2, v16, v2, vcc
	v_cndmask_b32_e32 v12, v12, v14, vcc
	v_lshlrev_b32_sdwa v13, v13, v4 dst_sel:DWORD dst_unused:UNUSED_PAD src0_sel:DWORD src1_sel:WORD_1
	v_bfrev_b32_e32 v14, 60
	v_lshlrev_b32_e32 v12, 20, v12
	v_and_b32_e32 v13, 0x80000000, v13
	v_lshl_add_u32 v2, v2, 23, v14
	v_or3_b32 v2, v13, v2, v12
	v_lshrrev_b32_e32 v12, 16, v2
.LBB874_753:
	s_or_b64 exec, exec, s[12:13]
.LBB874_754:
	s_or_b64 exec, exec, s[10:11]
.LBB874_755:
	s_or_b64 exec, exec, s[8:9]
	s_mov_b32 s7, 0xffffff
	v_cmp_lt_u32_e32 vcc, s7, v4
	s_and_saveexec_b64 s[8:9], vcc
	s_cbranch_execz .LBB874_761
; %bb.756:
	v_lshrrev_b32_e32 v2, 24, v4
	s_movk_i32 s7, 0x80
	v_cmp_ne_u32_e32 vcc, s7, v2
	v_mov_b32_e32 v11, 0xffff8000
	s_and_saveexec_b64 s[10:11], vcc
	s_cbranch_execz .LBB874_760
; %bb.757:
	v_bfe_u32 v4, v4, 24, 7
	s_movk_i32 s7, 0x7f
	v_cmp_ne_u32_e32 vcc, s7, v4
	v_mov_b32_e32 v11, 0x7f80
	s_and_saveexec_b64 s[12:13], vcc
	s_cbranch_execz .LBB874_759
; %bb.758:
	v_and_b32_e32 v11, 7, v2
	v_ffbh_u32_e32 v14, v11
	v_min_u32_e32 v16, 32, v14
	v_subrev_u32_e32 v14, 28, v16
	v_lshlrev_b64 v[14:15], v14, v[2:3]
	v_lshrrev_b32_e32 v13, 3, v4
	v_sub_u32_e32 v15, 29, v16
	v_and_b32_e32 v14, 7, v14
	v_cmp_gt_u32_e32 vcc, 8, v4
	v_cndmask_b32_e32 v4, v13, v15, vcc
	v_cndmask_b32_e32 v11, v11, v14, vcc
	v_lshlrev_b32_e32 v2, 24, v2
	v_bfrev_b32_e32 v13, 60
	v_lshlrev_b32_e32 v11, 20, v11
	v_and_b32_e32 v2, 0x80000000, v2
	v_lshl_add_u32 v4, v4, 23, v13
	v_or3_b32 v2, v2, v4, v11
	v_lshrrev_b32_e32 v11, 16, v2
.LBB874_759:
	s_or_b64 exec, exec, s[12:13]
.LBB874_760:
	s_or_b64 exec, exec, s[10:11]
.LBB874_761:
	s_or_b64 exec, exec, s[8:9]
	v_mov_b32_e32 v4, 0
	v_cmp_ne_u16_sdwa s[10:11], v5, v4 src0_sel:BYTE_0 src1_sel:DWORD
	v_mov_b32_e32 v13, 0
	s_and_saveexec_b64 s[8:9], s[10:11]
	s_cbranch_execz .LBB874_767
; %bb.762:
	s_movk_i32 s7, 0x80
	v_cmp_ne_u16_sdwa s[12:13], v5, s7 src0_sel:BYTE_0 src1_sel:DWORD
	v_mov_b32_e32 v13, 0xffff8000
	s_and_saveexec_b64 s[10:11], s[12:13]
	s_cbranch_execz .LBB874_766
; %bb.763:
	s_movk_i32 s7, 0x7f
	v_and_b32_e32 v2, 0x7f, v5
	v_cmp_ne_u32_e32 vcc, s7, v2
	v_mov_b32_e32 v13, 0x7f80
	s_and_saveexec_b64 s[12:13], vcc
	s_cbranch_execz .LBB874_765
; %bb.764:
	v_and_b32_e32 v13, 7, v5
	v_ffbh_u32_e32 v15, v13
	v_min_u32_e32 v17, 32, v15
	v_mov_b32_e32 v14, v5
	v_subrev_u32_e32 v15, 28, v17
	v_lshlrev_b64 v[14:15], v15, v[14:15]
	v_lshrrev_b32_e32 v16, 3, v2
	v_sub_u32_e32 v15, 29, v17
	v_and_b32_e32 v14, 7, v14
	v_cmp_gt_u32_e32 vcc, 8, v2
	v_cndmask_b32_e32 v2, v16, v15, vcc
	v_cndmask_b32_e32 v13, v13, v14, vcc
	v_lshlrev_b32_e32 v14, 24, v5
	v_bfrev_b32_e32 v15, 60
	v_lshlrev_b32_e32 v13, 20, v13
	v_and_b32_e32 v14, 0x80000000, v14
	v_lshl_add_u32 v2, v2, 23, v15
	v_or3_b32 v2, v14, v2, v13
	v_lshrrev_b32_e32 v13, 16, v2
.LBB874_765:
	s_or_b64 exec, exec, s[12:13]
.LBB874_766:
	s_or_b64 exec, exec, s[10:11]
.LBB874_767:
	s_or_b64 exec, exec, s[8:9]
	v_lshrrev_b16_e32 v2, 8, v5
	v_cmp_ne_u16_e32 vcc, 0, v2
	s_and_saveexec_b64 s[8:9], vcc
	s_cbranch_execz .LBB874_773
; %bb.768:
	s_movk_i32 s7, 0x80
	v_cmp_ne_u16_e32 vcc, s7, v2
	v_mov_b32_e32 v4, 0xffff8000
	s_and_saveexec_b64 s[10:11], vcc
	s_cbranch_execz .LBB874_772
; %bb.769:
	s_movk_i32 s7, 0x7f
	v_and_b32_e32 v14, 0x7f, v2
	v_cmp_ne_u32_e32 vcc, s7, v14
	v_mov_b32_e32 v4, 0x7f80
	s_and_saveexec_b64 s[12:13], vcc
	s_cbranch_execz .LBB874_771
; %bb.770:
	v_and_b32_e32 v4, 7, v2
	v_ffbh_u32_e32 v16, v4
	v_min_u32_e32 v18, 32, v16
	v_subrev_u32_e32 v16, 28, v18
	v_lshlrev_b64 v[16:17], v16, v[2:3]
	v_lshrrev_b32_e32 v15, 3, v14
	v_sub_u32_e32 v2, 29, v18
	v_and_b32_e32 v16, 7, v16
	v_cmp_gt_u32_e32 vcc, 8, v14
	v_cndmask_b32_e32 v2, v15, v2, vcc
	v_cndmask_b32_e32 v4, v4, v16, vcc
	v_lshlrev_b32_e32 v14, 16, v5
	v_bfrev_b32_e32 v15, 60
	v_lshlrev_b32_e32 v4, 20, v4
	v_and_b32_e32 v14, 0x80000000, v14
	v_lshl_add_u32 v2, v2, 23, v15
	v_or3_b32 v2, v14, v2, v4
	v_lshrrev_b32_e32 v4, 16, v2
.LBB874_771:
	s_or_b64 exec, exec, s[12:13]
.LBB874_772:
	s_or_b64 exec, exec, s[10:11]
.LBB874_773:
	s_or_b64 exec, exec, s[8:9]
	s_movk_i32 s7, 0xff
	v_and_b32_sdwa v16, v5, s7 dst_sel:DWORD dst_unused:UNUSED_PAD src0_sel:WORD_1 src1_sel:DWORD
	v_lshrrev_b32_e32 v2, 16, v5
	v_cmp_ne_u16_e32 vcc, 0, v16
	v_mov_b32_e32 v14, 0
	v_mov_b32_e32 v15, 0
	s_and_saveexec_b64 s[8:9], vcc
	s_cbranch_execz .LBB874_779
; %bb.774:
	s_movk_i32 s7, 0x80
	v_cmp_ne_u16_e32 vcc, s7, v16
	v_mov_b32_e32 v15, 0xffff8000
	s_and_saveexec_b64 s[10:11], vcc
	s_cbranch_execz .LBB874_778
; %bb.775:
	v_bfe_u32 v16, v5, 16, 7
	s_movk_i32 s7, 0x7f
	v_cmp_ne_u32_e32 vcc, s7, v16
	v_mov_b32_e32 v15, 0x7f80
	s_and_saveexec_b64 s[12:13], vcc
	s_cbranch_execz .LBB874_777
; %bb.776:
	v_and_b32_e32 v15, 7, v2
	v_ffbh_u32_e32 v18, v15
	v_min_u32_e32 v20, 32, v18
	v_subrev_u32_e32 v18, 28, v20
	v_lshlrev_b64 v[18:19], v18, v[2:3]
	v_lshrrev_b32_e32 v17, 3, v16
	v_sub_u32_e32 v2, 29, v20
	v_and_b32_e32 v18, 7, v18
	v_cmp_gt_u32_e32 vcc, 8, v16
	v_mov_b32_e32 v16, 24
	v_cndmask_b32_e32 v2, v17, v2, vcc
	v_cndmask_b32_e32 v15, v15, v18, vcc
	v_lshlrev_b32_sdwa v16, v16, v5 dst_sel:DWORD dst_unused:UNUSED_PAD src0_sel:DWORD src1_sel:WORD_1
	v_bfrev_b32_e32 v17, 60
	v_lshlrev_b32_e32 v15, 20, v15
	v_and_b32_e32 v16, 0x80000000, v16
	v_lshl_add_u32 v2, v2, 23, v17
	v_or3_b32 v2, v16, v2, v15
	v_lshrrev_b32_e32 v15, 16, v2
.LBB874_777:
	s_or_b64 exec, exec, s[12:13]
.LBB874_778:
	s_or_b64 exec, exec, s[10:11]
.LBB874_779:
	s_or_b64 exec, exec, s[8:9]
	s_mov_b32 s7, 0xffffff
	v_cmp_lt_u32_e32 vcc, s7, v5
	s_and_saveexec_b64 s[8:9], vcc
	s_cbranch_execz .LBB874_785
; %bb.780:
	v_lshrrev_b32_e32 v2, 24, v5
	s_movk_i32 s7, 0x80
	v_cmp_ne_u32_e32 vcc, s7, v2
	v_mov_b32_e32 v14, 0xffff8000
	s_and_saveexec_b64 s[10:11], vcc
	s_cbranch_execz .LBB874_784
; %bb.781:
	v_bfe_u32 v5, v5, 24, 7
	s_movk_i32 s7, 0x7f
	v_cmp_ne_u32_e32 vcc, s7, v5
	v_mov_b32_e32 v14, 0x7f80
	s_and_saveexec_b64 s[12:13], vcc
	s_cbranch_execz .LBB874_783
; %bb.782:
	v_and_b32_e32 v14, 7, v2
	v_ffbh_u32_e32 v16, v14
	v_min_u32_e32 v19, 32, v16
	v_subrev_u32_e32 v16, 28, v19
	v_lshlrev_b64 v[16:17], v16, v[2:3]
	v_lshrrev_b32_e32 v18, 3, v5
	v_sub_u32_e32 v17, 29, v19
	v_and_b32_e32 v16, 7, v16
	v_cmp_gt_u32_e32 vcc, 8, v5
	v_cndmask_b32_e32 v5, v18, v17, vcc
	v_cndmask_b32_e32 v14, v14, v16, vcc
	v_lshlrev_b32_e32 v2, 24, v2
	v_bfrev_b32_e32 v16, 60
	v_lshlrev_b32_e32 v14, 20, v14
	v_and_b32_e32 v2, 0x80000000, v2
	v_lshl_add_u32 v5, v5, 23, v16
	v_or3_b32 v2, v2, v5, v14
	v_lshrrev_b32_e32 v14, 16, v2
.LBB874_783:
	s_or_b64 exec, exec, s[12:13]
.LBB874_784:
	s_or_b64 exec, exec, s[10:11]
.LBB874_785:
	s_or_b64 exec, exec, s[8:9]
	s_mov_b32 s7, 0x5040100
	v_perm_b32 v11, v11, v12, s7
	ds_read_b128 v[16:19], v22 offset:6160
	v_perm_b32 v10, v3, v10, s7
	v_perm_b32 v3, v14, v15, s7
	;; [unrolled: 1-line block ×3, first 2 shown]
	s_waitcnt lgkmcnt(0)
	v_mfma_f32_16x16x16bf16_1k v[6:9], v[10:11], v[16:17], v[6:9]
	s_load_dword s8, s[42:43], 0x0
	s_movk_i32 s9, 0x7fff
	s_mov_b32 s7, 0x7060302
	v_cmp_gt_u32_e32 vcc, 64, v0
	s_and_b64 s[0:1], vcc, s[0:1]
	s_waitcnt lgkmcnt(0)
	s_barrier
	v_mfma_f32_16x16x16bf16_1k v[2:5], v[2:3], v[18:19], v[6:9]
	s_nop 7
	s_nop 2
	v_pk_mul_f32 v[4:5], v[4:5], s[8:9] op_sel_hi:[1,0]
	v_pk_mul_f32 v[2:3], v[2:3], s[8:9] op_sel_hi:[1,0]
	v_bfe_u32 v6, v3, 16, 1
	v_bfe_u32 v7, v2, 16, 1
	v_bfe_u32 v8, v5, 16, 1
	v_bfe_u32 v9, v4, 16, 1
	v_add3_u32 v2, v2, v7, s9
	v_add3_u32 v3, v3, v6, s9
	;; [unrolled: 1-line block ×4, first 2 shown]
	v_perm_b32 v2, v3, v2, s7
	v_perm_b32 v3, v5, v4, s7
	ds_write_b64 v26, v[2:3]
	s_waitcnt lgkmcnt(0)
	s_barrier
	s_and_saveexec_b64 s[8:9], s[0:1]
	s_cbranch_execz .LBB874_788
; %bb.786:
	s_load_dwordx2 s[4:5], s[4:5], 0x68
	s_lshl_b32 s0, s44, 6
	s_mul_i32 s1, s14, s6
	s_mul_hi_u32 s9, s1, s0
	s_mul_i32 s8, s1, s0
	s_lshl_b64 s[8:9], s[8:9], 1
	s_waitcnt lgkmcnt(0)
	s_add_u32 s1, s4, s8
	v_lshlrev_b32_e32 v0, 10, v0
	s_mov_b32 s7, 0
	s_addc_u32 s8, s5, s9
	s_lshl_b32 s6, s24, 6
	v_and_b32_e32 v0, 0x1800, v0
	v_lshlrev_b32_e32 v2, 5, v1
	v_and_b32_e32 v3, 16, v47
	s_lshl_b64 s[4:5], s[6:7], 1
	v_or3_b32 v0, v0, v2, v3
	s_add_u32 s1, s1, s4
	ds_read_b128 v[4:7], v0 offset:256
	s_addc_u32 s4, s8, s5
	ds_read_b128 v[8:11], v0 offset:128
	ds_read_b128 v[12:15], v0
	v_add_u32_e32 v18, s25, v1
	v_mov_b32_e32 v3, s4
	v_add_co_u32_e32 v2, vcc, s1, v46
	v_mad_u64_u32 v[16:17], s[4:5], v18, s0, 0
	v_addc_co_u32_e32 v3, vcc, 0, v3, vcc
	v_lshlrev_b64 v[16:17], 1, v[16:17]
	v_add_co_u32_e32 v16, vcc, v2, v16
	v_addc_co_u32_e32 v17, vcc, v3, v17, vcc
	s_waitcnt lgkmcnt(0)
	global_store_dwordx4 v[16:17], v[12:15], off
	s_nop 0
	v_add_u32_e32 v12, 4, v18
	v_mad_u64_u32 v[12:13], s[4:5], v12, s0, 0
	v_lshlrev_b64 v[12:13], 1, v[12:13]
	v_add_co_u32_e32 v12, vcc, v2, v12
	v_addc_co_u32_e32 v13, vcc, v3, v13, vcc
	global_store_dwordx4 v[12:13], v[8:11], off
	s_nop 0
	v_add_u32_e32 v8, 8, v18
	v_mad_u64_u32 v[8:9], s[4:5], v8, s0, 0
	v_lshlrev_b64 v[8:9], 1, v[8:9]
	v_add_co_u32_e32 v8, vcc, v2, v8
	v_addc_co_u32_e32 v9, vcc, v3, v9, vcc
	global_store_dwordx4 v[8:9], v[4:7], off
	s_and_b64 exec, exec, s[2:3]
	s_cbranch_execz .LBB874_788
; %bb.787:
	ds_read_b128 v[4:7], v0 offset:384
	v_add3_u32 v0, s25, v1, 12
	v_mad_u64_u32 v[0:1], s[0:1], v0, s0, 0
	v_lshlrev_b64 v[0:1], 1, v[0:1]
	v_add_co_u32_e32 v0, vcc, v2, v0
	v_addc_co_u32_e32 v1, vcc, v3, v1, vcc
	s_waitcnt lgkmcnt(0)
	global_store_dwordx4 v[0:1], v[4:7], off
.LBB874_788:
	s_endpgm
	.section	.rodata,"a",@progbits
	.p2align	6, 0x0
	.amdhsa_kernel _Z39paged_attention_ll4mi_QKV_mfma16_kernelI14__hip_bfloat16hLN4vllm18Fp8KVCacheDataTypeE1ES0_Li32ELi64ELi256ELb1ELi13EL8MFMAType0EEvPKT_PKT0_S9_ifPKiSB_SB_iPKfiiiPfSE_PS4_PT2_iSD_SD_
		.amdhsa_group_segment_fixed_size 8192
		.amdhsa_private_segment_fixed_size 0
		.amdhsa_kernarg_size 400
		.amdhsa_user_sgpr_count 6
		.amdhsa_user_sgpr_private_segment_buffer 1
		.amdhsa_user_sgpr_dispatch_ptr 0
		.amdhsa_user_sgpr_queue_ptr 0
		.amdhsa_user_sgpr_kernarg_segment_ptr 1
		.amdhsa_user_sgpr_dispatch_id 0
		.amdhsa_user_sgpr_flat_scratch_init 0
		.amdhsa_user_sgpr_kernarg_preload_length 0
		.amdhsa_user_sgpr_kernarg_preload_offset 0
		.amdhsa_user_sgpr_private_segment_size 0
		.amdhsa_uses_dynamic_stack 0
		.amdhsa_system_sgpr_private_segment_wavefront_offset 0
		.amdhsa_system_sgpr_workgroup_id_x 1
		.amdhsa_system_sgpr_workgroup_id_y 1
		.amdhsa_system_sgpr_workgroup_id_z 1
		.amdhsa_system_sgpr_workgroup_info 0
		.amdhsa_system_vgpr_workitem_id 0
		.amdhsa_next_free_vgpr 63
		.amdhsa_next_free_sgpr 47
		.amdhsa_accum_offset 64
		.amdhsa_reserve_vcc 1
		.amdhsa_reserve_flat_scratch 0
		.amdhsa_float_round_mode_32 0
		.amdhsa_float_round_mode_16_64 0
		.amdhsa_float_denorm_mode_32 3
		.amdhsa_float_denorm_mode_16_64 3
		.amdhsa_dx10_clamp 1
		.amdhsa_ieee_mode 1
		.amdhsa_fp16_overflow 0
		.amdhsa_tg_split 0
		.amdhsa_exception_fp_ieee_invalid_op 0
		.amdhsa_exception_fp_denorm_src 0
		.amdhsa_exception_fp_ieee_div_zero 0
		.amdhsa_exception_fp_ieee_overflow 0
		.amdhsa_exception_fp_ieee_underflow 0
		.amdhsa_exception_fp_ieee_inexact 0
		.amdhsa_exception_int_div_zero 0
	.end_amdhsa_kernel
	.section	.text._Z39paged_attention_ll4mi_QKV_mfma16_kernelI14__hip_bfloat16hLN4vllm18Fp8KVCacheDataTypeE1ES0_Li32ELi64ELi256ELb1ELi13EL8MFMAType0EEvPKT_PKT0_S9_ifPKiSB_SB_iPKfiiiPfSE_PS4_PT2_iSD_SD_,"axG",@progbits,_Z39paged_attention_ll4mi_QKV_mfma16_kernelI14__hip_bfloat16hLN4vllm18Fp8KVCacheDataTypeE1ES0_Li32ELi64ELi256ELb1ELi13EL8MFMAType0EEvPKT_PKT0_S9_ifPKiSB_SB_iPKfiiiPfSE_PS4_PT2_iSD_SD_,comdat
.Lfunc_end874:
	.size	_Z39paged_attention_ll4mi_QKV_mfma16_kernelI14__hip_bfloat16hLN4vllm18Fp8KVCacheDataTypeE1ES0_Li32ELi64ELi256ELb1ELi13EL8MFMAType0EEvPKT_PKT0_S9_ifPKiSB_SB_iPKfiiiPfSE_PS4_PT2_iSD_SD_, .Lfunc_end874-_Z39paged_attention_ll4mi_QKV_mfma16_kernelI14__hip_bfloat16hLN4vllm18Fp8KVCacheDataTypeE1ES0_Li32ELi64ELi256ELb1ELi13EL8MFMAType0EEvPKT_PKT0_S9_ifPKiSB_SB_iPKfiiiPfSE_PS4_PT2_iSD_SD_
                                        ; -- End function
	.section	.AMDGPU.csdata,"",@progbits
; Kernel info:
; codeLenInByte = 28796
; NumSgprs: 51
; NumVgprs: 63
; NumAgprs: 0
; TotalNumVgprs: 63
; ScratchSize: 0
; MemoryBound: 0
; FloatMode: 240
; IeeeMode: 1
; LDSByteSize: 8192 bytes/workgroup (compile time only)
; SGPRBlocks: 6
; VGPRBlocks: 7
; NumSGPRsForWavesPerEU: 51
; NumVGPRsForWavesPerEU: 63
; AccumOffset: 64
; Occupancy: 8
; WaveLimiterHint : 1
; COMPUTE_PGM_RSRC2:SCRATCH_EN: 0
; COMPUTE_PGM_RSRC2:USER_SGPR: 6
; COMPUTE_PGM_RSRC2:TRAP_HANDLER: 0
; COMPUTE_PGM_RSRC2:TGID_X_EN: 1
; COMPUTE_PGM_RSRC2:TGID_Y_EN: 1
; COMPUTE_PGM_RSRC2:TGID_Z_EN: 1
; COMPUTE_PGM_RSRC2:TIDIG_COMP_CNT: 0
; COMPUTE_PGM_RSRC3_GFX90A:ACCUM_OFFSET: 15
; COMPUTE_PGM_RSRC3_GFX90A:TG_SPLIT: 0
	.section	.text._Z39paged_attention_ll4mi_QKV_mfma16_kernelI14__hip_bfloat16hLN4vllm18Fp8KVCacheDataTypeE1ES0_Li32ELi64ELi256ELb1ELi14EL8MFMAType0EEvPKT_PKT0_S9_ifPKiSB_SB_iPKfiiiPfSE_PS4_PT2_iSD_SD_,"axG",@progbits,_Z39paged_attention_ll4mi_QKV_mfma16_kernelI14__hip_bfloat16hLN4vllm18Fp8KVCacheDataTypeE1ES0_Li32ELi64ELi256ELb1ELi14EL8MFMAType0EEvPKT_PKT0_S9_ifPKiSB_SB_iPKfiiiPfSE_PS4_PT2_iSD_SD_,comdat
	.protected	_Z39paged_attention_ll4mi_QKV_mfma16_kernelI14__hip_bfloat16hLN4vllm18Fp8KVCacheDataTypeE1ES0_Li32ELi64ELi256ELb1ELi14EL8MFMAType0EEvPKT_PKT0_S9_ifPKiSB_SB_iPKfiiiPfSE_PS4_PT2_iSD_SD_ ; -- Begin function _Z39paged_attention_ll4mi_QKV_mfma16_kernelI14__hip_bfloat16hLN4vllm18Fp8KVCacheDataTypeE1ES0_Li32ELi64ELi256ELb1ELi14EL8MFMAType0EEvPKT_PKT0_S9_ifPKiSB_SB_iPKfiiiPfSE_PS4_PT2_iSD_SD_
	.globl	_Z39paged_attention_ll4mi_QKV_mfma16_kernelI14__hip_bfloat16hLN4vllm18Fp8KVCacheDataTypeE1ES0_Li32ELi64ELi256ELb1ELi14EL8MFMAType0EEvPKT_PKT0_S9_ifPKiSB_SB_iPKfiiiPfSE_PS4_PT2_iSD_SD_
	.p2align	8
	.type	_Z39paged_attention_ll4mi_QKV_mfma16_kernelI14__hip_bfloat16hLN4vllm18Fp8KVCacheDataTypeE1ES0_Li32ELi64ELi256ELb1ELi14EL8MFMAType0EEvPKT_PKT0_S9_ifPKiSB_SB_iPKfiiiPfSE_PS4_PT2_iSD_SD_,@function
_Z39paged_attention_ll4mi_QKV_mfma16_kernelI14__hip_bfloat16hLN4vllm18Fp8KVCacheDataTypeE1ES0_Li32ELi64ELi256ELb1ELi14EL8MFMAType0EEvPKT_PKT0_S9_ifPKiSB_SB_iPKfiiiPfSE_PS4_PT2_iSD_SD_: ; @_Z39paged_attention_ll4mi_QKV_mfma16_kernelI14__hip_bfloat16hLN4vllm18Fp8KVCacheDataTypeE1ES0_Li32ELi64ELi256ELb1ELi14EL8MFMAType0EEvPKT_PKT0_S9_ifPKiSB_SB_iPKfiiiPfSE_PS4_PT2_iSD_SD_
; %bb.0:
	s_load_dwordx2 s[0:1], s[4:5], 0x30
	s_mov_b32 s24, s7
	s_mov_b64 s[10:11], 0
	s_waitcnt lgkmcnt(0)
	s_cmp_lg_u64 s[0:1], 0
	s_cselect_b64 s[2:3], -1, 0
	s_and_b64 vcc, exec, s[2:3]
	s_cbranch_vccz .LBB875_7
; %bb.1:
	s_add_i32 s12, s6, 1
	s_mov_b32 s13, 0
	s_lshl_b64 s[14:15], s[12:13], 2
	s_add_u32 s14, s0, s14
	s_mov_b32 s7, s13
	s_addc_u32 s15, s1, s15
	s_lshl_b64 s[12:13], s[6:7], 2
	s_add_u32 s12, s0, s12
	s_addc_u32 s13, s1, s13
	s_load_dword s9, s[14:15], 0x0
	s_load_dword s16, s[12:13], 0x0
	s_waitcnt lgkmcnt(0)
	s_sub_i32 s9, s9, s16
	s_cmp_eq_u32 s9, 1
	s_cselect_b64 s[12:13], -1, 0
	s_andn2_b64 vcc, exec, s[10:11]
	s_cbranch_vccnz .LBB875_3
.LBB875_2:
	s_mov_b32 s7, 0
	s_mov_b64 s[12:13], -1
.LBB875_3:
	s_andn2_b64 vcc, exec, s[12:13]
	s_cbranch_vccnz .LBB875_788
; %bb.4:
	s_load_dwordx2 s[12:13], s[4:5], 0x28
	s_lshl_b64 s[10:11], s[6:7], 2
	s_waitcnt lgkmcnt(0)
	s_add_u32 s12, s12, s10
	s_addc_u32 s13, s13, s11
	s_load_dword s33, s[12:13], 0x0
	s_lshl_b32 s18, s24, 8
	s_waitcnt lgkmcnt(0)
	s_cmp_ge_i32 s18, s33
	s_cbranch_scc1 .LBB875_788
; %bb.5:
	s_add_i32 s14, s33, 31
	s_load_dwordx2 s[12:13], s[4:5], 0x20
	s_load_dword s9, s[4:5], 0x38
	s_ashr_i32 s15, s14, 31
	v_and_b32_e32 v1, 0xcf, v0
	s_lshr_b32 s15, s15, 27
	v_add_u32_e32 v1, s18, v1
	s_add_i32 s14, s14, s15
	v_ashrrev_i32_e32 v2, 31, v1
	s_ashr_i32 s21, s14, 5
	v_lshrrev_b32_e32 v4, 27, v2
	s_add_i32 s21, s21, -1
	v_add_u32_e32 v2, v1, v4
	s_waitcnt lgkmcnt(0)
	s_mul_i32 s14, s6, s9
	s_mov_b32 s15, 0
	v_ashrrev_i32_e32 v2, 5, v2
	v_mov_b32_e32 v5, s21
	v_cmp_gt_i32_e32 vcc, s33, v1
	s_lshl_b64 s[14:15], s[14:15], 2
	v_cndmask_b32_e32 v2, v5, v2, vcc
	s_add_u32 s19, s12, s14
	v_ashrrev_i32_e32 v3, 31, v2
	s_addc_u32 s20, s13, s15
	v_lshlrev_b64 v[2:3], 2, v[2:3]
	v_mov_b32_e32 v7, s20
	v_add_co_u32_e32 v6, vcc, s19, v2
	v_or_b32_e32 v2, 16, v1
	v_addc_co_u32_e32 v7, vcc, v7, v3, vcc
	v_add_u32_e32 v3, v2, v4
	v_ashrrev_i32_e32 v3, 5, v3
	v_cmp_gt_i32_e32 vcc, s33, v2
	v_cndmask_b32_e32 v2, v5, v3, vcc
	v_ashrrev_i32_e32 v3, 31, v2
	v_lshlrev_b64 v[2:3], 2, v[2:3]
	v_mov_b32_e32 v9, s20
	v_add_co_u32_e32 v8, vcc, s19, v2
	v_or_b32_e32 v2, 32, v1
	v_addc_co_u32_e32 v9, vcc, v9, v3, vcc
	v_add_u32_e32 v3, v2, v4
	v_ashrrev_i32_e32 v3, 5, v3
	v_cmp_gt_i32_e32 vcc, s33, v2
	v_cndmask_b32_e32 v2, v5, v3, vcc
	v_ashrrev_i32_e32 v3, 31, v2
	;; [unrolled: 10-line block ×3, first 2 shown]
	v_lshlrev_b64 v[2:3], 2, v[2:3]
	v_mov_b32_e32 v1, s20
	v_add_co_u32_e32 v12, vcc, s19, v2
	v_addc_co_u32_e32 v13, vcc, v1, v3, vcc
	global_load_dword v5, v[6:7], off
	global_load_dword v4, v[8:9], off
	;; [unrolled: 1-line block ×4, first 2 shown]
	s_load_dwordx2 s[16:17], s[4:5], 0x8
	s_andn2_b64 vcc, exec, s[2:3]
	s_cbranch_vccnz .LBB875_8
; %bb.6:
	s_add_u32 s0, s0, s10
	s_addc_u32 s1, s1, s11
	s_load_dword s9, s[0:1], 0x0
	s_branch .LBB875_9
.LBB875_7:
	s_mov_b64 s[12:13], 0
	s_branch .LBB875_2
.LBB875_8:
	s_mov_b32 s9, s6
.LBB875_9:
	s_load_dwordx2 s[2:3], s[4:5], 0x10
	s_load_dwordx4 s[12:15], s[4:5], 0x48
	v_lshrrev_b32_e32 v50, 6, v0
	v_bfe_u32 v1, v0, 4, 2
	v_lshl_or_b32 v6, v50, 2, v1
	v_and_b32_e32 v49, 15, v0
	v_lshlrev_b32_e32 v7, 3, v49
	v_cmp_gt_u32_e32 vcc, 14, v6
	v_cmp_gt_u32_e64 s[0:1], 8, v49
	s_mul_i32 s25, s8, 14
	s_and_b64 s[22:23], s[0:1], vcc
	v_lshlrev_b32_e32 v46, 1, v7
	v_lshlrev_b32_e32 v47, 4, v0
	s_and_saveexec_b64 s[10:11], s[22:23]
	s_cbranch_execz .LBB875_11
; %bb.10:
	s_load_dwordx2 s[22:23], s[4:5], 0x0
	s_waitcnt lgkmcnt(0)
	s_ashr_i32 s15, s12, 31
	s_mul_hi_u32 s26, s9, s12
	s_mul_i32 s15, s9, s15
	s_add_i32 s27, s26, s15
	s_mul_i32 s26, s9, s12
	s_lshl_b64 s[26:27], s[26:27], 1
	v_add_lshl_u32 v8, v6, s25, 6
	s_add_u32 s9, s22, s26
	v_ashrrev_i32_e32 v9, 31, v8
	s_addc_u32 s12, s23, s27
	v_lshlrev_b64 v[8:9], 1, v[8:9]
	v_mov_b32_e32 v7, s12
	v_add_co_u32_e32 v8, vcc, s9, v8
	v_addc_co_u32_e32 v7, vcc, v7, v9, vcc
	v_add_co_u32_e32 v8, vcc, v8, v46
	v_addc_co_u32_e32 v9, vcc, 0, v7, vcc
	global_load_dwordx4 v[8:11], v[8:9], off
	v_lshlrev_b32_e32 v12, 8, v49
	v_lshlrev_b32_e32 v6, 5, v6
	v_and_b32_e32 v7, 16, v47
	v_and_b32_e32 v12, 0xe00, v12
	v_or3_b32 v6, v12, v6, v7
	s_waitcnt vmcnt(0)
	ds_write_b128 v6, v[8:11]
.LBB875_11:
	s_or_b64 exec, exec, s[10:11]
	s_waitcnt lgkmcnt(0)
	s_mul_i32 s10, s8, s14
	s_add_u32 s8, s16, s10
	s_addc_u32 s9, s17, 0
	v_pk_mov_b32 v[8:9], s[8:9], s[8:9] op_sel:[0,1]
	s_waitcnt vmcnt(3)
	v_mad_i64_i32 v[10:11], s[8:9], v5, s13, v[8:9]
	v_lshlrev_b32_e32 v12, 4, v49
	v_and_b32_e32 v6, 48, v0
	v_add_co_u32_e32 v5, vcc, v10, v12
	v_lshlrev_b32_e32 v7, 5, v6
	v_addc_co_u32_e32 v11, vcc, 0, v11, vcc
	v_add_co_u32_e32 v10, vcc, v5, v7
	v_addc_co_u32_e32 v11, vcc, 0, v11, vcc
	s_waitcnt vmcnt(2)
	v_mad_i64_i32 v[4:5], s[8:9], v4, s13, v[8:9]
	v_or_b32_e32 v13, 0x100, v12
	v_add_co_u32_e32 v4, vcc, v4, v13
	v_addc_co_u32_e32 v5, vcc, 0, v5, vcc
	v_add_co_u32_e32 v4, vcc, v4, v7
	v_addc_co_u32_e32 v5, vcc, 0, v5, vcc
	s_barrier
	global_load_dwordx4 v[34:37], v[10:11], off
	global_load_dwordx4 v[38:41], v[4:5], off
	s_waitcnt vmcnt(3)
	v_mad_i64_i32 v[4:5], s[8:9], v3, s13, v[8:9]
	v_add_co_u32_e32 v3, vcc, v4, v12
	v_addc_co_u32_e32 v5, vcc, 0, v5, vcc
	v_add_co_u32_e32 v4, vcc, v3, v7
	v_addc_co_u32_e32 v5, vcc, 0, v5, vcc
	s_waitcnt vmcnt(2)
	v_mad_i64_i32 v[2:3], s[8:9], v2, s13, v[8:9]
	v_add_co_u32_e32 v2, vcc, v2, v13
	v_addc_co_u32_e32 v3, vcc, 0, v3, vcc
	v_add_co_u32_e32 v2, vcc, v2, v7
	v_addc_co_u32_e32 v3, vcc, 0, v3, vcc
	global_load_dwordx4 v[30:33], v[4:5], off
	global_load_dwordx4 v[22:25], v[2:3], off
	v_add_u32_e32 v2, -14, v49
	v_cmp_gt_u32_e32 vcc, 14, v49
	v_cndmask_b32_e32 v2, v2, v49, vcc
	v_lshlrev_b32_e32 v2, 5, v2
	v_lshl_add_u32 v2, v1, 9, v2
	ds_read_b128 v[26:29], v2
	ds_read_b128 v[18:21], v2 offset:16
	v_mov_b32_e32 v43, 0
	v_mov_b32_e32 v51, 0
	s_and_saveexec_b64 s[8:9], vcc
	s_cbranch_execz .LBB875_13
; %bb.12:
	s_load_dwordx2 s[14:15], s[4:5], 0x40
	v_add_u32_e32 v2, s25, v49
	v_ashrrev_i32_e32 v3, 31, v2
	v_lshlrev_b64 v[2:3], 2, v[2:3]
	s_waitcnt lgkmcnt(0)
	v_mov_b32_e32 v4, s15
	v_add_co_u32_e32 v2, vcc, s14, v2
	v_addc_co_u32_e32 v3, vcc, v4, v3, vcc
	global_load_dword v51, v[2:3], off
.LBB875_13:
	s_or_b64 exec, exec, s[8:9]
	s_ashr_i32 s8, s18, 31
	v_or_b32_e32 v8, s18, v6
	s_lshr_b32 s8, s8, 27
	v_add_u32_e32 v2, s8, v8
	v_ashrrev_i32_e32 v2, 5, v2
	v_mov_b32_e32 v9, s21
	v_cmp_gt_i32_e32 vcc, s33, v8
	v_cndmask_b32_e32 v2, v9, v2, vcc
	v_ashrrev_i32_e32 v3, 31, v2
	v_lshlrev_b64 v[2:3], 2, v[2:3]
	v_mov_b32_e32 v4, s20
	v_add_co_u32_e32 v2, vcc, s19, v2
	v_addc_co_u32_e32 v3, vcc, v4, v3, vcc
	v_or_b32_e32 v4, 64, v8
	v_add_u32_e32 v5, s8, v4
	v_ashrrev_i32_e32 v5, 5, v5
	v_cmp_gt_i32_e32 vcc, s33, v4
	v_cndmask_b32_e32 v4, v9, v5, vcc
	v_ashrrev_i32_e32 v5, 31, v4
	v_lshlrev_b64 v[4:5], 2, v[4:5]
	v_mov_b32_e32 v6, s20
	v_add_co_u32_e32 v4, vcc, s19, v4
	v_addc_co_u32_e32 v5, vcc, v6, v5, vcc
	v_or_b32_e32 v6, 0x80, v8
	v_add_u32_e32 v7, s8, v6
	v_ashrrev_i32_e32 v7, 5, v7
	v_cmp_gt_i32_e32 vcc, s33, v6
	v_cndmask_b32_e32 v6, v9, v7, vcc
	v_ashrrev_i32_e32 v7, 31, v6
	v_lshlrev_b64 v[6:7], 2, v[6:7]
	v_mov_b32_e32 v10, s20
	v_add_co_u32_e32 v6, vcc, s19, v6
	v_addc_co_u32_e32 v7, vcc, v10, v7, vcc
	global_load_dword v10, v[2:3], off
	global_load_dword v11, v[4:5], off
	;; [unrolled: 1-line block ×3, first 2 shown]
	v_or_b32_e32 v2, 0xc0, v8
	v_add_u32_e32 v3, s8, v2
	v_ashrrev_i32_e32 v3, 5, v3
	v_cmp_gt_i32_e32 vcc, s33, v2
	v_cndmask_b32_e32 v2, v9, v3, vcc
	v_ashrrev_i32_e32 v3, 31, v2
	v_lshlrev_b64 v[2:3], 2, v[2:3]
	v_mov_b32_e32 v4, s20
	v_add_co_u32_e32 v2, vcc, s19, v2
	v_addc_co_u32_e32 v3, vcc, v4, v3, vcc
	global_load_dword v13, v[2:3], off
	s_add_u32 s2, s2, s10
	v_and_b32_e32 v2, 16, v0
	s_addc_u32 s3, s3, 0
	v_lshlrev_b32_e32 v48, 5, v49
	v_mov_b32_e32 v4, s3
	v_add_co_u32_e32 v2, vcc, s2, v2
	v_lshl_or_b32 v3, v50, 9, v48
	v_addc_co_u32_e32 v4, vcc, 0, v4, vcc
	v_add_co_u32_e32 v2, vcc, v2, v3
	v_addc_co_u32_e32 v3, vcc, 0, v4, vcc
	s_movk_i32 s8, 0x80
	s_waitcnt vmcnt(7)
	v_cmp_ne_u16_sdwa s[10:11], v34, v43 src0_sel:BYTE_0 src1_sel:DWORD
	s_waitcnt vmcnt(3)
	v_mad_i64_i32 v[4:5], s[2:3], v10, s13, v[2:3]
	s_waitcnt vmcnt(2)
	v_mad_i64_i32 v[6:7], s[2:3], v11, s13, v[2:3]
	;; [unrolled: 2-line block ×4, first 2 shown]
	global_load_dwordx4 v[14:17], v[4:5], off
	global_load_dwordx4 v[10:13], v[6:7], off
	s_nop 0
	global_load_dwordx4 v[6:9], v[8:9], off
	s_nop 0
	global_load_dwordx4 v[2:5], v[2:3], off
	s_load_dwordx4 s[40:43], s[4:5], 0x80
	s_load_dwordx2 s[44:45], s[4:5], 0x94
	s_waitcnt lgkmcnt(0)
	s_load_dword s12, s[40:41], 0x0
	s_and_saveexec_b64 s[2:3], s[10:11]
	s_cbranch_execz .LBB875_19
; %bb.14:
	v_cmp_ne_u16_sdwa s[10:11], v34, s8 src0_sel:BYTE_0 src1_sel:DWORD
	v_mov_b32_e32 v43, 0xffff8000
	s_and_saveexec_b64 s[8:9], s[10:11]
	s_cbranch_execz .LBB875_18
; %bb.15:
	s_movk_i32 s10, 0x7f
	v_and_b32_e32 v42, 0x7f, v34
	v_cmp_ne_u32_e32 vcc, s10, v42
	v_mov_b32_e32 v43, 0x7f80
	s_and_saveexec_b64 s[10:11], vcc
	s_cbranch_execz .LBB875_17
; %bb.16:
	v_and_b32_e32 v43, 7, v34
	v_ffbh_u32_e32 v44, v43
	v_min_u32_e32 v53, 32, v44
	v_subrev_u32_e32 v44, 28, v53
	v_lshlrev_b64 v[44:45], v44, v[34:35]
	v_lshrrev_b32_e32 v52, 3, v42
	v_sub_u32_e32 v45, 29, v53
	v_and_b32_e32 v44, 7, v44
	v_cmp_gt_u32_e32 vcc, 8, v42
	v_cndmask_b32_e32 v42, v52, v45, vcc
	v_cndmask_b32_e32 v43, v43, v44, vcc
	v_lshlrev_b32_e32 v44, 24, v34
	v_bfrev_b32_e32 v45, 60
	v_lshlrev_b32_e32 v43, 20, v43
	v_and_b32_e32 v44, 0x80000000, v44
	v_lshl_add_u32 v42, v42, 23, v45
	v_or3_b32 v42, v44, v42, v43
	v_lshrrev_b32_e32 v43, 16, v42
.LBB875_17:
	s_or_b64 exec, exec, s[10:11]
.LBB875_18:
	s_or_b64 exec, exec, s[8:9]
.LBB875_19:
	s_or_b64 exec, exec, s[2:3]
	v_lshrrev_b16_e32 v42, 8, v34
	v_cmp_ne_u16_e32 vcc, 0, v42
	v_mov_b32_e32 v45, 0
	v_mov_b32_e32 v44, 0
	s_and_saveexec_b64 s[2:3], vcc
	s_cbranch_execz .LBB875_25
; %bb.20:
	s_movk_i32 s8, 0x80
	v_cmp_ne_u16_e32 vcc, s8, v42
	v_mov_b32_e32 v44, 0xffff8000
	s_and_saveexec_b64 s[8:9], vcc
	s_cbranch_execz .LBB875_24
; %bb.21:
	s_movk_i32 s10, 0x7f
	v_and_b32_e32 v52, 0x7f, v42
	v_cmp_ne_u32_e32 vcc, s10, v52
	v_mov_b32_e32 v44, 0x7f80
	s_and_saveexec_b64 s[10:11], vcc
	s_cbranch_execz .LBB875_23
; %bb.22:
	v_and_b32_e32 v44, 7, v42
	v_ffbh_u32_e32 v54, v44
	v_min_u32_e32 v56, 32, v54
	v_subrev_u32_e32 v54, 28, v56
	v_lshlrev_b64 v[54:55], v54, v[42:43]
	v_lshrrev_b32_e32 v53, 3, v52
	v_sub_u32_e32 v42, 29, v56
	v_and_b32_e32 v54, 7, v54
	v_cmp_gt_u32_e32 vcc, 8, v52
	v_cndmask_b32_e32 v42, v53, v42, vcc
	v_cndmask_b32_e32 v44, v44, v54, vcc
	v_lshlrev_b32_e32 v52, 16, v34
	v_bfrev_b32_e32 v53, 60
	v_lshlrev_b32_e32 v44, 20, v44
	v_and_b32_e32 v52, 0x80000000, v52
	v_lshl_add_u32 v42, v42, 23, v53
	v_or3_b32 v42, v52, v42, v44
	v_lshrrev_b32_e32 v44, 16, v42
.LBB875_23:
	s_or_b64 exec, exec, s[10:11]
.LBB875_24:
	s_or_b64 exec, exec, s[8:9]
.LBB875_25:
	s_or_b64 exec, exec, s[2:3]
	s_movk_i32 s2, 0xff
	v_and_b32_sdwa v52, v34, s2 dst_sel:DWORD dst_unused:UNUSED_PAD src0_sel:WORD_1 src1_sel:DWORD
	v_lshrrev_b32_e32 v42, 16, v34
	v_cmp_ne_u16_e32 vcc, 0, v52
	s_and_saveexec_b64 s[2:3], vcc
	s_cbranch_execz .LBB875_31
; %bb.26:
	s_movk_i32 s8, 0x80
	v_cmp_ne_u16_e32 vcc, s8, v52
	v_mov_b32_e32 v45, 0xffff8000
	s_and_saveexec_b64 s[8:9], vcc
	s_cbranch_execz .LBB875_30
; %bb.27:
	v_bfe_u32 v52, v34, 16, 7
	s_movk_i32 s10, 0x7f
	v_cmp_ne_u32_e32 vcc, s10, v52
	v_mov_b32_e32 v45, 0x7f80
	s_and_saveexec_b64 s[10:11], vcc
	s_cbranch_execz .LBB875_29
; %bb.28:
	v_and_b32_e32 v45, 7, v42
	v_ffbh_u32_e32 v54, v45
	v_min_u32_e32 v56, 32, v54
	v_subrev_u32_e32 v54, 28, v56
	v_lshlrev_b64 v[54:55], v54, v[42:43]
	v_lshrrev_b32_e32 v53, 3, v52
	v_sub_u32_e32 v42, 29, v56
	v_and_b32_e32 v54, 7, v54
	v_cmp_gt_u32_e32 vcc, 8, v52
	v_mov_b32_e32 v52, 24
	v_cndmask_b32_e32 v42, v53, v42, vcc
	v_cndmask_b32_e32 v45, v45, v54, vcc
	v_lshlrev_b32_sdwa v52, v52, v34 dst_sel:DWORD dst_unused:UNUSED_PAD src0_sel:DWORD src1_sel:WORD_1
	v_bfrev_b32_e32 v53, 60
	v_lshlrev_b32_e32 v45, 20, v45
	v_and_b32_e32 v52, 0x80000000, v52
	v_lshl_add_u32 v42, v42, 23, v53
	v_or3_b32 v42, v52, v42, v45
	v_lshrrev_b32_e32 v45, 16, v42
.LBB875_29:
	s_or_b64 exec, exec, s[10:11]
.LBB875_30:
	s_or_b64 exec, exec, s[8:9]
.LBB875_31:
	s_or_b64 exec, exec, s[2:3]
	s_mov_b32 s2, 0xffffff
	v_cmp_lt_u32_e32 vcc, s2, v34
	v_mov_b32_e32 v53, 0
	v_mov_b32_e32 v54, 0
	s_and_saveexec_b64 s[2:3], vcc
	s_cbranch_execz .LBB875_37
; %bb.32:
	v_lshrrev_b32_e32 v42, 24, v34
	s_movk_i32 s8, 0x80
	v_cmp_ne_u32_e32 vcc, s8, v42
	v_mov_b32_e32 v54, 0xffff8000
	s_and_saveexec_b64 s[8:9], vcc
	s_cbranch_execz .LBB875_36
; %bb.33:
	v_bfe_u32 v34, v34, 24, 7
	s_movk_i32 s10, 0x7f
	v_cmp_ne_u32_e32 vcc, s10, v34
	v_mov_b32_e32 v54, 0x7f80
	s_and_saveexec_b64 s[10:11], vcc
	s_cbranch_execz .LBB875_35
; %bb.34:
	v_and_b32_e32 v52, 7, v42
	v_ffbh_u32_e32 v54, v52
	v_min_u32_e32 v57, 32, v54
	v_subrev_u32_e32 v54, 28, v57
	v_lshlrev_b64 v[54:55], v54, v[42:43]
	v_lshrrev_b32_e32 v56, 3, v34
	v_sub_u32_e32 v55, 29, v57
	v_and_b32_e32 v54, 7, v54
	v_cmp_gt_u32_e32 vcc, 8, v34
	v_cndmask_b32_e32 v34, v56, v55, vcc
	v_cndmask_b32_e32 v52, v52, v54, vcc
	v_lshlrev_b32_e32 v42, 24, v42
	v_bfrev_b32_e32 v54, 60
	v_lshlrev_b32_e32 v52, 20, v52
	v_and_b32_e32 v42, 0x80000000, v42
	v_lshl_add_u32 v34, v34, 23, v54
	v_or3_b32 v34, v42, v34, v52
	v_lshrrev_b32_e32 v54, 16, v34
.LBB875_35:
	s_or_b64 exec, exec, s[10:11]
.LBB875_36:
	s_or_b64 exec, exec, s[8:9]
.LBB875_37:
	s_or_b64 exec, exec, s[2:3]
	v_cmp_ne_u16_sdwa s[8:9], v35, v53 src0_sel:BYTE_0 src1_sel:DWORD
	s_and_saveexec_b64 s[2:3], s[8:9]
	s_cbranch_execz .LBB875_43
; %bb.38:
	s_movk_i32 s8, 0x80
	v_cmp_ne_u16_sdwa s[10:11], v35, s8 src0_sel:BYTE_0 src1_sel:DWORD
	v_mov_b32_e32 v53, 0xffff8000
	s_and_saveexec_b64 s[8:9], s[10:11]
	s_cbranch_execz .LBB875_42
; %bb.39:
	s_movk_i32 s10, 0x7f
	v_and_b32_e32 v34, 0x7f, v35
	v_cmp_ne_u32_e32 vcc, s10, v34
	v_mov_b32_e32 v53, 0x7f80
	s_and_saveexec_b64 s[10:11], vcc
	s_cbranch_execz .LBB875_41
; %bb.40:
	v_and_b32_e32 v55, 7, v35
	v_ffbh_u32_e32 v52, v55
	v_min_u32_e32 v57, 32, v52
	v_mov_b32_e32 v42, v35
	v_subrev_u32_e32 v52, 28, v57
	v_lshlrev_b64 v[52:53], v52, v[42:43]
	v_lshrrev_b32_e32 v56, 3, v34
	v_sub_u32_e32 v42, 29, v57
	v_and_b32_e32 v52, 7, v52
	v_cmp_gt_u32_e32 vcc, 8, v34
	v_cndmask_b32_e32 v34, v56, v42, vcc
	v_cndmask_b32_e32 v42, v55, v52, vcc
	v_lshlrev_b32_e32 v52, 24, v35
	v_bfrev_b32_e32 v53, 60
	v_lshlrev_b32_e32 v42, 20, v42
	v_and_b32_e32 v52, 0x80000000, v52
	v_lshl_add_u32 v34, v34, 23, v53
	v_or3_b32 v34, v52, v34, v42
	v_lshrrev_b32_e32 v53, 16, v34
.LBB875_41:
	s_or_b64 exec, exec, s[10:11]
.LBB875_42:
	s_or_b64 exec, exec, s[8:9]
.LBB875_43:
	s_or_b64 exec, exec, s[2:3]
	v_lshrrev_b16_e32 v34, 8, v35
	v_cmp_ne_u16_e32 vcc, 0, v34
	v_mov_b32_e32 v55, 0
	v_mov_b32_e32 v42, 0
	s_and_saveexec_b64 s[2:3], vcc
	s_cbranch_execz .LBB875_49
; %bb.44:
	s_movk_i32 s8, 0x80
	v_cmp_ne_u16_e32 vcc, s8, v34
	v_mov_b32_e32 v42, 0xffff8000
	s_and_saveexec_b64 s[8:9], vcc
	s_cbranch_execz .LBB875_48
; %bb.45:
	s_movk_i32 s10, 0x7f
	v_and_b32_e32 v52, 0x7f, v34
	v_cmp_ne_u32_e32 vcc, s10, v52
	v_mov_b32_e32 v42, 0x7f80
	s_and_saveexec_b64 s[10:11], vcc
	s_cbranch_execz .LBB875_47
; %bb.46:
	v_and_b32_e32 v42, 7, v34
	v_ffbh_u32_e32 v56, v42
	v_min_u32_e32 v59, 32, v56
	v_subrev_u32_e32 v56, 28, v59
	v_lshlrev_b64 v[56:57], v56, v[34:35]
	v_lshrrev_b32_e32 v58, 3, v52
	v_sub_u32_e32 v34, 29, v59
	v_and_b32_e32 v56, 7, v56
	v_cmp_gt_u32_e32 vcc, 8, v52
	v_cndmask_b32_e32 v34, v58, v34, vcc
	v_cndmask_b32_e32 v42, v42, v56, vcc
	v_lshlrev_b32_e32 v52, 16, v35
	v_bfrev_b32_e32 v56, 60
	v_lshlrev_b32_e32 v42, 20, v42
	v_and_b32_e32 v52, 0x80000000, v52
	v_lshl_add_u32 v34, v34, 23, v56
	v_or3_b32 v34, v52, v34, v42
	v_lshrrev_b32_e32 v42, 16, v34
.LBB875_47:
	s_or_b64 exec, exec, s[10:11]
.LBB875_48:
	s_or_b64 exec, exec, s[8:9]
.LBB875_49:
	s_or_b64 exec, exec, s[2:3]
	s_movk_i32 s2, 0xff
	v_and_b32_sdwa v52, v35, s2 dst_sel:DWORD dst_unused:UNUSED_PAD src0_sel:WORD_1 src1_sel:DWORD
	v_lshrrev_b32_e32 v34, 16, v35
	v_cmp_ne_u16_e32 vcc, 0, v52
	s_and_saveexec_b64 s[2:3], vcc
	s_cbranch_execz .LBB875_55
; %bb.50:
	s_movk_i32 s8, 0x80
	v_cmp_ne_u16_e32 vcc, s8, v52
	v_mov_b32_e32 v55, 0xffff8000
	s_and_saveexec_b64 s[8:9], vcc
	s_cbranch_execz .LBB875_54
; %bb.51:
	v_bfe_u32 v52, v35, 16, 7
	s_movk_i32 s10, 0x7f
	v_cmp_ne_u32_e32 vcc, s10, v52
	v_mov_b32_e32 v55, 0x7f80
	s_and_saveexec_b64 s[10:11], vcc
	s_cbranch_execz .LBB875_53
; %bb.52:
	v_and_b32_e32 v55, 7, v34
	v_ffbh_u32_e32 v56, v55
	v_min_u32_e32 v59, 32, v56
	v_subrev_u32_e32 v56, 28, v59
	v_lshlrev_b64 v[56:57], v56, v[34:35]
	v_and_b32_e32 v56, 7, v56
	v_cmp_gt_u32_e32 vcc, 8, v52
	v_lshrrev_b32_e32 v58, 3, v52
	v_sub_u32_e32 v34, 29, v59
	v_cndmask_b32_e32 v52, v55, v56, vcc
	v_mov_b32_e32 v55, 24
	v_cndmask_b32_e32 v34, v58, v34, vcc
	v_lshlrev_b32_sdwa v55, v55, v35 dst_sel:DWORD dst_unused:UNUSED_PAD src0_sel:DWORD src1_sel:WORD_1
	v_bfrev_b32_e32 v56, 60
	v_lshlrev_b32_e32 v52, 20, v52
	v_and_b32_e32 v55, 0x80000000, v55
	v_lshl_add_u32 v34, v34, 23, v56
	v_or3_b32 v34, v55, v34, v52
	v_lshrrev_b32_e32 v55, 16, v34
.LBB875_53:
	s_or_b64 exec, exec, s[10:11]
.LBB875_54:
	s_or_b64 exec, exec, s[8:9]
.LBB875_55:
	s_or_b64 exec, exec, s[2:3]
	s_mov_b32 s2, 0xffffff
	v_cmp_lt_u32_e32 vcc, s2, v35
	v_mov_b32_e32 v52, 0
	v_mov_b32_e32 v56, 0
	s_and_saveexec_b64 s[2:3], vcc
	s_cbranch_execz .LBB875_61
; %bb.56:
	v_lshrrev_b32_e32 v34, 24, v35
	s_movk_i32 s8, 0x80
	v_cmp_ne_u32_e32 vcc, s8, v34
	v_mov_b32_e32 v56, 0xffff8000
	s_and_saveexec_b64 s[8:9], vcc
	s_cbranch_execz .LBB875_60
; %bb.57:
	v_bfe_u32 v35, v35, 24, 7
	s_movk_i32 s10, 0x7f
	v_cmp_ne_u32_e32 vcc, s10, v35
	v_mov_b32_e32 v56, 0x7f80
	s_and_saveexec_b64 s[10:11], vcc
	s_cbranch_execz .LBB875_59
; %bb.58:
	v_and_b32_e32 v58, 7, v34
	v_ffbh_u32_e32 v56, v58
	v_min_u32_e32 v60, 32, v56
	v_subrev_u32_e32 v56, 28, v60
	v_lshlrev_b64 v[56:57], v56, v[34:35]
	v_lshrrev_b32_e32 v59, 3, v35
	v_sub_u32_e32 v57, 29, v60
	v_and_b32_e32 v56, 7, v56
	v_cmp_gt_u32_e32 vcc, 8, v35
	v_cndmask_b32_e32 v35, v59, v57, vcc
	v_cndmask_b32_e32 v56, v58, v56, vcc
	v_lshlrev_b32_e32 v34, 24, v34
	v_bfrev_b32_e32 v57, 60
	v_lshlrev_b32_e32 v56, 20, v56
	v_and_b32_e32 v34, 0x80000000, v34
	v_lshl_add_u32 v35, v35, 23, v57
	v_or3_b32 v34, v34, v35, v56
	v_lshrrev_b32_e32 v56, 16, v34
.LBB875_59:
	s_or_b64 exec, exec, s[10:11]
.LBB875_60:
	s_or_b64 exec, exec, s[8:9]
.LBB875_61:
	s_or_b64 exec, exec, s[2:3]
	s_mov_b32 s2, 0x5040100
	v_perm_b32 v35, v54, v45, s2
	v_perm_b32 v34, v44, v43, s2
	v_cmp_ne_u16_sdwa s[8:9], v36, v52 src0_sel:BYTE_0 src1_sel:DWORD
	s_nop 0
	v_mfma_f32_16x16x16bf16_1k v[58:61], v[34:35], v[26:27], 0
	v_perm_b32 v35, v56, v55, s2
	v_perm_b32 v34, v42, v53, s2
	s_nop 1
	v_mfma_f32_16x16x16bf16_1k v[42:45], v[34:35], v[28:29], v[58:61]
	s_and_saveexec_b64 s[2:3], s[8:9]
	s_cbranch_execz .LBB875_67
; %bb.62:
	s_movk_i32 s8, 0x80
	v_cmp_ne_u16_sdwa s[10:11], v36, s8 src0_sel:BYTE_0 src1_sel:DWORD
	v_mov_b32_e32 v52, 0xffff8000
	s_and_saveexec_b64 s[8:9], s[10:11]
	s_cbranch_execz .LBB875_66
; %bb.63:
	s_movk_i32 s10, 0x7f
	v_and_b32_e32 v34, 0x7f, v36
	v_cmp_ne_u32_e32 vcc, s10, v34
	v_mov_b32_e32 v52, 0x7f80
	s_and_saveexec_b64 s[10:11], vcc
	s_cbranch_execz .LBB875_65
; %bb.64:
	v_and_b32_e32 v35, 7, v36
	v_ffbh_u32_e32 v52, v35
	v_min_u32_e32 v55, 32, v52
	v_subrev_u32_e32 v52, 28, v55
	v_lshlrev_b64 v[52:53], v52, v[36:37]
	v_lshrrev_b32_e32 v54, 3, v34
	v_sub_u32_e32 v53, 29, v55
	v_and_b32_e32 v52, 7, v52
	v_cmp_gt_u32_e32 vcc, 8, v34
	v_cndmask_b32_e32 v34, v54, v53, vcc
	v_cndmask_b32_e32 v35, v35, v52, vcc
	v_lshlrev_b32_e32 v52, 24, v36
	v_bfrev_b32_e32 v53, 60
	v_lshlrev_b32_e32 v35, 20, v35
	v_and_b32_e32 v52, 0x80000000, v52
	v_lshl_add_u32 v34, v34, 23, v53
	v_or3_b32 v34, v52, v34, v35
	v_lshrrev_b32_e32 v52, 16, v34
.LBB875_65:
	s_or_b64 exec, exec, s[10:11]
.LBB875_66:
	s_or_b64 exec, exec, s[8:9]
.LBB875_67:
	s_or_b64 exec, exec, s[2:3]
	v_lshrrev_b16_e32 v34, 8, v36
	v_cmp_ne_u16_e32 vcc, 0, v34
	v_mov_b32_e32 v54, 0
	v_mov_b32_e32 v35, 0
	s_and_saveexec_b64 s[2:3], vcc
	s_cbranch_execz .LBB875_73
; %bb.68:
	s_movk_i32 s8, 0x80
	v_cmp_ne_u16_e32 vcc, s8, v34
	v_mov_b32_e32 v35, 0xffff8000
	s_and_saveexec_b64 s[8:9], vcc
	s_cbranch_execz .LBB875_72
; %bb.69:
	s_movk_i32 s10, 0x7f
	v_and_b32_e32 v53, 0x7f, v34
	v_cmp_ne_u32_e32 vcc, s10, v53
	v_mov_b32_e32 v35, 0x7f80
	s_and_saveexec_b64 s[10:11], vcc
	s_cbranch_execz .LBB875_71
; %bb.70:
	v_and_b32_e32 v55, 7, v34
	v_ffbh_u32_e32 v35, v55
	v_min_u32_e32 v57, 32, v35
	v_subrev_u32_e32 v35, 28, v57
	v_lshlrev_b64 v[34:35], v35, v[34:35]
	v_lshrrev_b32_e32 v56, 3, v53
	v_sub_u32_e32 v35, 29, v57
	v_and_b32_e32 v34, 7, v34
	v_cmp_gt_u32_e32 vcc, 8, v53
	v_cndmask_b32_e32 v35, v56, v35, vcc
	v_cndmask_b32_e32 v34, v55, v34, vcc
	v_lshlrev_b32_e32 v53, 16, v36
	v_bfrev_b32_e32 v55, 60
	v_lshlrev_b32_e32 v34, 20, v34
	v_and_b32_e32 v53, 0x80000000, v53
	v_lshl_add_u32 v35, v35, 23, v55
	v_or3_b32 v34, v53, v35, v34
	v_lshrrev_b32_e32 v35, 16, v34
.LBB875_71:
	s_or_b64 exec, exec, s[10:11]
.LBB875_72:
	s_or_b64 exec, exec, s[8:9]
.LBB875_73:
	s_or_b64 exec, exec, s[2:3]
	s_movk_i32 s2, 0xff
	v_and_b32_sdwa v53, v36, s2 dst_sel:DWORD dst_unused:UNUSED_PAD src0_sel:WORD_1 src1_sel:DWORD
	v_lshrrev_b32_e32 v34, 16, v36
	v_cmp_ne_u16_e32 vcc, 0, v53
	s_and_saveexec_b64 s[2:3], vcc
	s_cbranch_execz .LBB875_79
; %bb.74:
	s_movk_i32 s8, 0x80
	v_cmp_ne_u16_e32 vcc, s8, v53
	v_mov_b32_e32 v54, 0xffff8000
	s_and_saveexec_b64 s[8:9], vcc
	s_cbranch_execz .LBB875_78
; %bb.75:
	v_bfe_u32 v53, v36, 16, 7
	s_movk_i32 s10, 0x7f
	v_cmp_ne_u32_e32 vcc, s10, v53
	v_mov_b32_e32 v54, 0x7f80
	s_and_saveexec_b64 s[10:11], vcc
	s_cbranch_execz .LBB875_77
; %bb.76:
	v_and_b32_e32 v56, 7, v34
	v_ffbh_u32_e32 v54, v56
	v_min_u32_e32 v58, 32, v54
	v_subrev_u32_e32 v54, 28, v58
	v_lshlrev_b64 v[54:55], v54, v[34:35]
	v_and_b32_e32 v54, 7, v54
	v_cmp_gt_u32_e32 vcc, 8, v53
	v_lshrrev_b32_e32 v57, 3, v53
	v_sub_u32_e32 v34, 29, v58
	v_cndmask_b32_e32 v53, v56, v54, vcc
	v_mov_b32_e32 v54, 24
	v_cndmask_b32_e32 v34, v57, v34, vcc
	v_lshlrev_b32_sdwa v54, v54, v36 dst_sel:DWORD dst_unused:UNUSED_PAD src0_sel:DWORD src1_sel:WORD_1
	v_bfrev_b32_e32 v55, 60
	v_lshlrev_b32_e32 v53, 20, v53
	v_and_b32_e32 v54, 0x80000000, v54
	v_lshl_add_u32 v34, v34, 23, v55
	v_or3_b32 v34, v54, v34, v53
	v_lshrrev_b32_e32 v54, 16, v34
.LBB875_77:
	s_or_b64 exec, exec, s[10:11]
.LBB875_78:
	s_or_b64 exec, exec, s[8:9]
.LBB875_79:
	s_or_b64 exec, exec, s[2:3]
	s_mov_b32 s2, 0xffffff
	v_cmp_lt_u32_e32 vcc, s2, v36
	v_mov_b32_e32 v55, 0
	v_mov_b32_e32 v56, 0
	s_and_saveexec_b64 s[2:3], vcc
	s_cbranch_execz .LBB875_85
; %bb.80:
	v_lshrrev_b32_e32 v34, 24, v36
	s_movk_i32 s8, 0x80
	v_cmp_ne_u32_e32 vcc, s8, v34
	v_mov_b32_e32 v56, 0xffff8000
	s_and_saveexec_b64 s[8:9], vcc
	s_cbranch_execz .LBB875_84
; %bb.81:
	v_bfe_u32 v36, v36, 24, 7
	s_movk_i32 s10, 0x7f
	v_cmp_ne_u32_e32 vcc, s10, v36
	v_mov_b32_e32 v56, 0x7f80
	s_and_saveexec_b64 s[10:11], vcc
	s_cbranch_execz .LBB875_83
; %bb.82:
	v_and_b32_e32 v53, 7, v34
	v_ffbh_u32_e32 v56, v53
	v_min_u32_e32 v59, 32, v56
	v_subrev_u32_e32 v56, 28, v59
	v_lshlrev_b64 v[56:57], v56, v[34:35]
	v_lshrrev_b32_e32 v58, 3, v36
	v_sub_u32_e32 v57, 29, v59
	v_and_b32_e32 v56, 7, v56
	v_cmp_gt_u32_e32 vcc, 8, v36
	v_cndmask_b32_e32 v36, v58, v57, vcc
	v_cndmask_b32_e32 v53, v53, v56, vcc
	v_lshlrev_b32_e32 v34, 24, v34
	v_bfrev_b32_e32 v56, 60
	v_lshlrev_b32_e32 v53, 20, v53
	v_and_b32_e32 v34, 0x80000000, v34
	v_lshl_add_u32 v36, v36, 23, v56
	v_or3_b32 v34, v34, v36, v53
	v_lshrrev_b32_e32 v56, 16, v34
.LBB875_83:
	s_or_b64 exec, exec, s[10:11]
.LBB875_84:
	s_or_b64 exec, exec, s[8:9]
.LBB875_85:
	s_or_b64 exec, exec, s[2:3]
	v_cmp_ne_u16_sdwa s[8:9], v37, v55 src0_sel:BYTE_0 src1_sel:DWORD
	s_and_saveexec_b64 s[2:3], s[8:9]
	s_cbranch_execz .LBB875_91
; %bb.86:
	s_movk_i32 s8, 0x80
	v_cmp_ne_u16_sdwa s[10:11], v37, s8 src0_sel:BYTE_0 src1_sel:DWORD
	v_mov_b32_e32 v55, 0xffff8000
	s_and_saveexec_b64 s[8:9], s[10:11]
	s_cbranch_execz .LBB875_90
; %bb.87:
	s_movk_i32 s10, 0x7f
	v_and_b32_e32 v34, 0x7f, v37
	v_cmp_ne_u32_e32 vcc, s10, v34
	v_mov_b32_e32 v55, 0x7f80
	s_and_saveexec_b64 s[10:11], vcc
	s_cbranch_execz .LBB875_89
; %bb.88:
	v_and_b32_e32 v53, 7, v37
	v_ffbh_u32_e32 v57, v53
	v_min_u32_e32 v57, 32, v57
	v_mov_b32_e32 v36, v37
	v_subrev_u32_e32 v58, 28, v57
	v_lshlrev_b64 v[58:59], v58, v[36:37]
	v_lshrrev_b32_e32 v55, 3, v34
	v_sub_u32_e32 v36, 29, v57
	v_and_b32_e32 v57, 7, v58
	v_cmp_gt_u32_e32 vcc, 8, v34
	v_cndmask_b32_e32 v34, v55, v36, vcc
	v_cndmask_b32_e32 v36, v53, v57, vcc
	v_lshlrev_b32_e32 v53, 24, v37
	v_bfrev_b32_e32 v55, 60
	v_lshlrev_b32_e32 v36, 20, v36
	v_and_b32_e32 v53, 0x80000000, v53
	v_lshl_add_u32 v34, v34, 23, v55
	v_or3_b32 v34, v53, v34, v36
	v_lshrrev_b32_e32 v55, 16, v34
.LBB875_89:
	s_or_b64 exec, exec, s[10:11]
.LBB875_90:
	s_or_b64 exec, exec, s[8:9]
.LBB875_91:
	s_or_b64 exec, exec, s[2:3]
	v_lshrrev_b16_e32 v34, 8, v37
	v_cmp_ne_u16_e32 vcc, 0, v34
	v_mov_b32_e32 v57, 0
	v_mov_b32_e32 v36, 0
	s_and_saveexec_b64 s[2:3], vcc
	s_cbranch_execz .LBB875_97
; %bb.92:
	s_movk_i32 s8, 0x80
	v_cmp_ne_u16_e32 vcc, s8, v34
	v_mov_b32_e32 v36, 0xffff8000
	s_and_saveexec_b64 s[8:9], vcc
	s_cbranch_execz .LBB875_96
; %bb.93:
	s_movk_i32 s10, 0x7f
	v_and_b32_e32 v53, 0x7f, v34
	v_cmp_ne_u32_e32 vcc, s10, v53
	v_mov_b32_e32 v36, 0x7f80
	s_and_saveexec_b64 s[10:11], vcc
	s_cbranch_execz .LBB875_95
; %bb.94:
	v_and_b32_e32 v36, 7, v34
	v_ffbh_u32_e32 v58, v36
	v_min_u32_e32 v61, 32, v58
	v_subrev_u32_e32 v58, 28, v61
	v_lshlrev_b64 v[58:59], v58, v[34:35]
	v_lshrrev_b32_e32 v60, 3, v53
	v_sub_u32_e32 v34, 29, v61
	v_and_b32_e32 v58, 7, v58
	v_cmp_gt_u32_e32 vcc, 8, v53
	v_cndmask_b32_e32 v34, v60, v34, vcc
	v_cndmask_b32_e32 v36, v36, v58, vcc
	v_lshlrev_b32_e32 v53, 16, v37
	v_bfrev_b32_e32 v58, 60
	v_lshlrev_b32_e32 v36, 20, v36
	v_and_b32_e32 v53, 0x80000000, v53
	v_lshl_add_u32 v34, v34, 23, v58
	v_or3_b32 v34, v53, v34, v36
	v_lshrrev_b32_e32 v36, 16, v34
.LBB875_95:
	s_or_b64 exec, exec, s[10:11]
.LBB875_96:
	s_or_b64 exec, exec, s[8:9]
.LBB875_97:
	s_or_b64 exec, exec, s[2:3]
	s_movk_i32 s2, 0xff
	v_and_b32_sdwa v53, v37, s2 dst_sel:DWORD dst_unused:UNUSED_PAD src0_sel:WORD_1 src1_sel:DWORD
	v_lshrrev_b32_e32 v34, 16, v37
	v_cmp_ne_u16_e32 vcc, 0, v53
	s_and_saveexec_b64 s[2:3], vcc
	s_cbranch_execz .LBB875_103
; %bb.98:
	s_movk_i32 s8, 0x80
	v_cmp_ne_u16_e32 vcc, s8, v53
	v_mov_b32_e32 v57, 0xffff8000
	s_and_saveexec_b64 s[8:9], vcc
	s_cbranch_execz .LBB875_102
; %bb.99:
	v_bfe_u32 v53, v37, 16, 7
	s_movk_i32 s10, 0x7f
	v_cmp_ne_u32_e32 vcc, s10, v53
	v_mov_b32_e32 v57, 0x7f80
	s_and_saveexec_b64 s[10:11], vcc
	s_cbranch_execz .LBB875_101
; %bb.100:
	v_and_b32_e32 v57, 7, v34
	v_ffbh_u32_e32 v58, v57
	v_min_u32_e32 v61, 32, v58
	v_subrev_u32_e32 v58, 28, v61
	v_lshlrev_b64 v[58:59], v58, v[34:35]
	v_and_b32_e32 v58, 7, v58
	v_cmp_gt_u32_e32 vcc, 8, v53
	v_lshrrev_b32_e32 v60, 3, v53
	v_sub_u32_e32 v34, 29, v61
	v_cndmask_b32_e32 v53, v57, v58, vcc
	v_mov_b32_e32 v57, 24
	v_cndmask_b32_e32 v34, v60, v34, vcc
	v_lshlrev_b32_sdwa v57, v57, v37 dst_sel:DWORD dst_unused:UNUSED_PAD src0_sel:DWORD src1_sel:WORD_1
	v_bfrev_b32_e32 v58, 60
	v_lshlrev_b32_e32 v53, 20, v53
	v_and_b32_e32 v57, 0x80000000, v57
	v_lshl_add_u32 v34, v34, 23, v58
	v_or3_b32 v34, v57, v34, v53
	v_lshrrev_b32_e32 v57, 16, v34
.LBB875_101:
	s_or_b64 exec, exec, s[10:11]
.LBB875_102:
	s_or_b64 exec, exec, s[8:9]
.LBB875_103:
	s_or_b64 exec, exec, s[2:3]
	s_mov_b32 s2, 0xffffff
	v_cmp_lt_u32_e32 vcc, s2, v37
	v_mov_b32_e32 v53, 0
	v_mov_b32_e32 v58, 0
	s_and_saveexec_b64 s[2:3], vcc
	s_cbranch_execz .LBB875_109
; %bb.104:
	v_lshrrev_b32_e32 v34, 24, v37
	s_movk_i32 s8, 0x80
	v_cmp_ne_u32_e32 vcc, s8, v34
	v_mov_b32_e32 v58, 0xffff8000
	s_and_saveexec_b64 s[8:9], vcc
	s_cbranch_execz .LBB875_108
; %bb.105:
	v_bfe_u32 v37, v37, 24, 7
	s_movk_i32 s10, 0x7f
	v_cmp_ne_u32_e32 vcc, s10, v37
	v_mov_b32_e32 v58, 0x7f80
	s_and_saveexec_b64 s[10:11], vcc
	s_cbranch_execz .LBB875_107
; %bb.106:
	v_and_b32_e32 v60, 7, v34
	v_ffbh_u32_e32 v58, v60
	v_min_u32_e32 v62, 32, v58
	v_subrev_u32_e32 v58, 28, v62
	v_lshlrev_b64 v[58:59], v58, v[34:35]
	v_lshrrev_b32_e32 v61, 3, v37
	v_sub_u32_e32 v59, 29, v62
	v_and_b32_e32 v58, 7, v58
	v_cmp_gt_u32_e32 vcc, 8, v37
	v_cndmask_b32_e32 v37, v61, v59, vcc
	v_cndmask_b32_e32 v58, v60, v58, vcc
	v_lshlrev_b32_e32 v34, 24, v34
	v_bfrev_b32_e32 v59, 60
	v_lshlrev_b32_e32 v58, 20, v58
	v_and_b32_e32 v34, 0x80000000, v34
	v_lshl_add_u32 v37, v37, 23, v59
	v_or3_b32 v34, v34, v37, v58
	v_lshrrev_b32_e32 v58, 16, v34
.LBB875_107:
	s_or_b64 exec, exec, s[10:11]
.LBB875_108:
	s_or_b64 exec, exec, s[8:9]
.LBB875_109:
	s_or_b64 exec, exec, s[2:3]
	s_mov_b32 s2, 0x5040100
	v_perm_b32 v61, v56, v54, s2
	v_perm_b32 v60, v35, v52, s2
	;; [unrolled: 1-line block ×4, first 2 shown]
	v_cmp_ne_u16_sdwa s[8:9], v38, v53 src0_sel:BYTE_0 src1_sel:DWORD
	v_mfma_f32_16x16x16bf16_1k v[42:45], v[60:61], v[18:19], v[42:45]
	v_mfma_f32_16x16x16bf16_1k v[34:37], v[34:35], v[20:21], v[42:45]
	s_and_saveexec_b64 s[2:3], s[8:9]
	s_cbranch_execz .LBB875_115
; %bb.110:
	s_movk_i32 s8, 0x80
	v_cmp_ne_u16_sdwa s[10:11], v38, s8 src0_sel:BYTE_0 src1_sel:DWORD
	v_mov_b32_e32 v53, 0xffff8000
	s_and_saveexec_b64 s[8:9], s[10:11]
	s_cbranch_execz .LBB875_114
; %bb.111:
	s_movk_i32 s10, 0x7f
	s_nop 1
	v_and_b32_e32 v42, 0x7f, v38
	v_cmp_ne_u32_e32 vcc, s10, v42
	v_mov_b32_e32 v53, 0x7f80
	s_and_saveexec_b64 s[10:11], vcc
	s_cbranch_execz .LBB875_113
; %bb.112:
	v_and_b32_e32 v43, 7, v38
	v_ffbh_u32_e32 v44, v43
	v_min_u32_e32 v53, 32, v44
	v_subrev_u32_e32 v44, 28, v53
	v_lshlrev_b64 v[44:45], v44, v[38:39]
	v_lshrrev_b32_e32 v52, 3, v42
	v_sub_u32_e32 v45, 29, v53
	v_and_b32_e32 v44, 7, v44
	v_cmp_gt_u32_e32 vcc, 8, v42
	v_cndmask_b32_e32 v42, v52, v45, vcc
	v_cndmask_b32_e32 v43, v43, v44, vcc
	v_lshlrev_b32_e32 v44, 24, v38
	v_bfrev_b32_e32 v45, 60
	v_lshlrev_b32_e32 v43, 20, v43
	v_and_b32_e32 v44, 0x80000000, v44
	v_lshl_add_u32 v42, v42, 23, v45
	v_or3_b32 v42, v44, v42, v43
	v_lshrrev_b32_e32 v53, 16, v42
.LBB875_113:
	s_or_b64 exec, exec, s[10:11]
.LBB875_114:
	s_or_b64 exec, exec, s[8:9]
.LBB875_115:
	s_or_b64 exec, exec, s[2:3]
	s_nop 6
	v_lshrrev_b16_e32 v42, 8, v38
	v_cmp_ne_u16_e32 vcc, 0, v42
	v_mov_b32_e32 v44, 0
	v_mov_b32_e32 v43, 0
	s_and_saveexec_b64 s[2:3], vcc
	s_cbranch_execz .LBB875_121
; %bb.116:
	s_movk_i32 s8, 0x80
	v_cmp_ne_u16_e32 vcc, s8, v42
	v_mov_b32_e32 v43, 0xffff8000
	s_and_saveexec_b64 s[8:9], vcc
	s_cbranch_execz .LBB875_120
; %bb.117:
	s_movk_i32 s10, 0x7f
	v_and_b32_e32 v45, 0x7f, v42
	v_cmp_ne_u32_e32 vcc, s10, v45
	v_mov_b32_e32 v43, 0x7f80
	s_and_saveexec_b64 s[10:11], vcc
	s_cbranch_execz .LBB875_119
; %bb.118:
	v_and_b32_e32 v52, 7, v42
	v_ffbh_u32_e32 v43, v52
	v_min_u32_e32 v55, 32, v43
	v_subrev_u32_e32 v43, 28, v55
	v_lshlrev_b64 v[42:43], v43, v[42:43]
	v_lshrrev_b32_e32 v54, 3, v45
	v_sub_u32_e32 v43, 29, v55
	v_and_b32_e32 v42, 7, v42
	v_cmp_gt_u32_e32 vcc, 8, v45
	v_cndmask_b32_e32 v43, v54, v43, vcc
	v_cndmask_b32_e32 v42, v52, v42, vcc
	v_lshlrev_b32_e32 v45, 16, v38
	v_bfrev_b32_e32 v52, 60
	v_lshlrev_b32_e32 v42, 20, v42
	v_and_b32_e32 v45, 0x80000000, v45
	v_lshl_add_u32 v43, v43, 23, v52
	v_or3_b32 v42, v45, v43, v42
	v_lshrrev_b32_e32 v43, 16, v42
.LBB875_119:
	s_or_b64 exec, exec, s[10:11]
.LBB875_120:
	s_or_b64 exec, exec, s[8:9]
.LBB875_121:
	s_or_b64 exec, exec, s[2:3]
	s_movk_i32 s2, 0xff
	v_and_b32_sdwa v45, v38, s2 dst_sel:DWORD dst_unused:UNUSED_PAD src0_sel:WORD_1 src1_sel:DWORD
	v_lshrrev_b32_e32 v42, 16, v38
	v_cmp_ne_u16_e32 vcc, 0, v45
	s_and_saveexec_b64 s[2:3], vcc
	s_cbranch_execz .LBB875_127
; %bb.122:
	s_movk_i32 s8, 0x80
	v_cmp_ne_u16_e32 vcc, s8, v45
	v_mov_b32_e32 v44, 0xffff8000
	s_and_saveexec_b64 s[8:9], vcc
	s_cbranch_execz .LBB875_126
; %bb.123:
	v_bfe_u32 v45, v38, 16, 7
	s_movk_i32 s10, 0x7f
	v_cmp_ne_u32_e32 vcc, s10, v45
	v_mov_b32_e32 v44, 0x7f80
	s_and_saveexec_b64 s[10:11], vcc
	s_cbranch_execz .LBB875_125
; %bb.124:
	v_and_b32_e32 v44, 7, v42
	v_ffbh_u32_e32 v54, v44
	v_min_u32_e32 v56, 32, v54
	v_subrev_u32_e32 v54, 28, v56
	v_lshlrev_b64 v[54:55], v54, v[42:43]
	v_lshrrev_b32_e32 v52, 3, v45
	v_sub_u32_e32 v42, 29, v56
	v_and_b32_e32 v54, 7, v54
	v_cmp_gt_u32_e32 vcc, 8, v45
	v_mov_b32_e32 v45, 24
	v_cndmask_b32_e32 v42, v52, v42, vcc
	v_cndmask_b32_e32 v44, v44, v54, vcc
	v_lshlrev_b32_sdwa v45, v45, v38 dst_sel:DWORD dst_unused:UNUSED_PAD src0_sel:DWORD src1_sel:WORD_1
	v_bfrev_b32_e32 v52, 60
	v_lshlrev_b32_e32 v44, 20, v44
	v_and_b32_e32 v45, 0x80000000, v45
	v_lshl_add_u32 v42, v42, 23, v52
	v_or3_b32 v42, v45, v42, v44
	v_lshrrev_b32_e32 v44, 16, v42
.LBB875_125:
	s_or_b64 exec, exec, s[10:11]
.LBB875_126:
	s_or_b64 exec, exec, s[8:9]
.LBB875_127:
	s_or_b64 exec, exec, s[2:3]
	s_mov_b32 s2, 0xffffff
	v_cmp_lt_u32_e32 vcc, s2, v38
	v_mov_b32_e32 v45, 0
	v_mov_b32_e32 v54, 0
	s_and_saveexec_b64 s[2:3], vcc
	s_cbranch_execz .LBB875_133
; %bb.128:
	v_lshrrev_b32_e32 v42, 24, v38
	s_movk_i32 s8, 0x80
	v_cmp_ne_u32_e32 vcc, s8, v42
	v_mov_b32_e32 v54, 0xffff8000
	s_and_saveexec_b64 s[8:9], vcc
	s_cbranch_execz .LBB875_132
; %bb.129:
	v_bfe_u32 v38, v38, 24, 7
	s_movk_i32 s10, 0x7f
	v_cmp_ne_u32_e32 vcc, s10, v38
	v_mov_b32_e32 v54, 0x7f80
	s_and_saveexec_b64 s[10:11], vcc
	s_cbranch_execz .LBB875_131
; %bb.130:
	v_and_b32_e32 v52, 7, v42
	v_ffbh_u32_e32 v54, v52
	v_min_u32_e32 v57, 32, v54
	v_subrev_u32_e32 v54, 28, v57
	v_lshlrev_b64 v[54:55], v54, v[42:43]
	v_lshrrev_b32_e32 v56, 3, v38
	v_sub_u32_e32 v55, 29, v57
	v_and_b32_e32 v54, 7, v54
	v_cmp_gt_u32_e32 vcc, 8, v38
	v_cndmask_b32_e32 v38, v56, v55, vcc
	v_cndmask_b32_e32 v52, v52, v54, vcc
	v_lshlrev_b32_e32 v42, 24, v42
	v_bfrev_b32_e32 v54, 60
	v_lshlrev_b32_e32 v52, 20, v52
	v_and_b32_e32 v42, 0x80000000, v42
	v_lshl_add_u32 v38, v38, 23, v54
	v_or3_b32 v38, v42, v38, v52
	v_lshrrev_b32_e32 v54, 16, v38
.LBB875_131:
	s_or_b64 exec, exec, s[10:11]
.LBB875_132:
	s_or_b64 exec, exec, s[8:9]
.LBB875_133:
	s_or_b64 exec, exec, s[2:3]
	v_cmp_ne_u16_sdwa s[8:9], v39, v45 src0_sel:BYTE_0 src1_sel:DWORD
	s_and_saveexec_b64 s[2:3], s[8:9]
	s_cbranch_execz .LBB875_139
; %bb.134:
	s_movk_i32 s8, 0x80
	v_cmp_ne_u16_sdwa s[10:11], v39, s8 src0_sel:BYTE_0 src1_sel:DWORD
	v_mov_b32_e32 v45, 0xffff8000
	s_and_saveexec_b64 s[8:9], s[10:11]
	s_cbranch_execz .LBB875_138
; %bb.135:
	s_movk_i32 s10, 0x7f
	v_and_b32_e32 v38, 0x7f, v39
	v_cmp_ne_u32_e32 vcc, s10, v38
	v_mov_b32_e32 v45, 0x7f80
	s_and_saveexec_b64 s[10:11], vcc
	s_cbranch_execz .LBB875_137
; %bb.136:
	v_and_b32_e32 v45, 7, v39
	v_ffbh_u32_e32 v55, v45
	v_min_u32_e32 v55, 32, v55
	v_mov_b32_e32 v42, v39
	v_subrev_u32_e32 v56, 28, v55
	v_lshlrev_b64 v[56:57], v56, v[42:43]
	v_lshrrev_b32_e32 v52, 3, v38
	v_sub_u32_e32 v42, 29, v55
	v_and_b32_e32 v55, 7, v56
	v_cmp_gt_u32_e32 vcc, 8, v38
	v_cndmask_b32_e32 v38, v52, v42, vcc
	v_cndmask_b32_e32 v42, v45, v55, vcc
	v_lshlrev_b32_e32 v45, 24, v39
	v_bfrev_b32_e32 v52, 60
	v_lshlrev_b32_e32 v42, 20, v42
	v_and_b32_e32 v45, 0x80000000, v45
	v_lshl_add_u32 v38, v38, 23, v52
	v_or3_b32 v38, v45, v38, v42
	v_lshrrev_b32_e32 v45, 16, v38
.LBB875_137:
	s_or_b64 exec, exec, s[10:11]
.LBB875_138:
	s_or_b64 exec, exec, s[8:9]
.LBB875_139:
	s_or_b64 exec, exec, s[2:3]
	v_lshrrev_b16_e32 v38, 8, v39
	v_cmp_ne_u16_e32 vcc, 0, v38
	v_mov_b32_e32 v55, 0
	v_mov_b32_e32 v42, 0
	s_and_saveexec_b64 s[2:3], vcc
	s_cbranch_execz .LBB875_145
; %bb.140:
	s_movk_i32 s8, 0x80
	v_cmp_ne_u16_e32 vcc, s8, v38
	v_mov_b32_e32 v42, 0xffff8000
	s_and_saveexec_b64 s[8:9], vcc
	s_cbranch_execz .LBB875_144
; %bb.141:
	s_movk_i32 s10, 0x7f
	v_and_b32_e32 v52, 0x7f, v38
	v_cmp_ne_u32_e32 vcc, s10, v52
	v_mov_b32_e32 v42, 0x7f80
	s_and_saveexec_b64 s[10:11], vcc
	s_cbranch_execz .LBB875_143
; %bb.142:
	v_and_b32_e32 v42, 7, v38
	v_ffbh_u32_e32 v56, v42
	v_min_u32_e32 v59, 32, v56
	v_subrev_u32_e32 v56, 28, v59
	v_lshlrev_b64 v[56:57], v56, v[38:39]
	v_lshrrev_b32_e32 v58, 3, v52
	v_sub_u32_e32 v38, 29, v59
	v_and_b32_e32 v56, 7, v56
	v_cmp_gt_u32_e32 vcc, 8, v52
	v_cndmask_b32_e32 v38, v58, v38, vcc
	v_cndmask_b32_e32 v42, v42, v56, vcc
	v_lshlrev_b32_e32 v52, 16, v39
	v_bfrev_b32_e32 v56, 60
	v_lshlrev_b32_e32 v42, 20, v42
	v_and_b32_e32 v52, 0x80000000, v52
	v_lshl_add_u32 v38, v38, 23, v56
	v_or3_b32 v38, v52, v38, v42
	v_lshrrev_b32_e32 v42, 16, v38
.LBB875_143:
	s_or_b64 exec, exec, s[10:11]
.LBB875_144:
	s_or_b64 exec, exec, s[8:9]
.LBB875_145:
	s_or_b64 exec, exec, s[2:3]
	s_movk_i32 s2, 0xff
	v_and_b32_sdwa v52, v39, s2 dst_sel:DWORD dst_unused:UNUSED_PAD src0_sel:WORD_1 src1_sel:DWORD
	v_lshrrev_b32_e32 v38, 16, v39
	v_cmp_ne_u16_e32 vcc, 0, v52
	s_and_saveexec_b64 s[2:3], vcc
	s_cbranch_execz .LBB875_151
; %bb.146:
	s_movk_i32 s8, 0x80
	v_cmp_ne_u16_e32 vcc, s8, v52
	v_mov_b32_e32 v55, 0xffff8000
	s_and_saveexec_b64 s[8:9], vcc
	s_cbranch_execz .LBB875_150
; %bb.147:
	v_bfe_u32 v52, v39, 16, 7
	s_movk_i32 s10, 0x7f
	v_cmp_ne_u32_e32 vcc, s10, v52
	v_mov_b32_e32 v55, 0x7f80
	s_and_saveexec_b64 s[10:11], vcc
	s_cbranch_execz .LBB875_149
; %bb.148:
	v_and_b32_e32 v55, 7, v38
	v_ffbh_u32_e32 v56, v55
	v_min_u32_e32 v59, 32, v56
	v_subrev_u32_e32 v56, 28, v59
	v_lshlrev_b64 v[56:57], v56, v[38:39]
	v_and_b32_e32 v56, 7, v56
	v_cmp_gt_u32_e32 vcc, 8, v52
	v_lshrrev_b32_e32 v58, 3, v52
	v_sub_u32_e32 v38, 29, v59
	v_cndmask_b32_e32 v52, v55, v56, vcc
	v_mov_b32_e32 v55, 24
	v_cndmask_b32_e32 v38, v58, v38, vcc
	v_lshlrev_b32_sdwa v55, v55, v39 dst_sel:DWORD dst_unused:UNUSED_PAD src0_sel:DWORD src1_sel:WORD_1
	v_bfrev_b32_e32 v56, 60
	v_lshlrev_b32_e32 v52, 20, v52
	v_and_b32_e32 v55, 0x80000000, v55
	v_lshl_add_u32 v38, v38, 23, v56
	v_or3_b32 v38, v55, v38, v52
	v_lshrrev_b32_e32 v55, 16, v38
.LBB875_149:
	s_or_b64 exec, exec, s[10:11]
.LBB875_150:
	s_or_b64 exec, exec, s[8:9]
.LBB875_151:
	s_or_b64 exec, exec, s[2:3]
	s_mov_b32 s2, 0xffffff
	v_cmp_lt_u32_e32 vcc, s2, v39
	v_mov_b32_e32 v52, 0
	v_mov_b32_e32 v56, 0
	s_and_saveexec_b64 s[2:3], vcc
	s_cbranch_execz .LBB875_157
; %bb.152:
	v_lshrrev_b32_e32 v38, 24, v39
	s_movk_i32 s8, 0x80
	v_cmp_ne_u32_e32 vcc, s8, v38
	v_mov_b32_e32 v56, 0xffff8000
	s_and_saveexec_b64 s[8:9], vcc
	s_cbranch_execz .LBB875_156
; %bb.153:
	v_bfe_u32 v39, v39, 24, 7
	s_movk_i32 s10, 0x7f
	v_cmp_ne_u32_e32 vcc, s10, v39
	v_mov_b32_e32 v56, 0x7f80
	s_and_saveexec_b64 s[10:11], vcc
	s_cbranch_execz .LBB875_155
; %bb.154:
	v_and_b32_e32 v58, 7, v38
	v_ffbh_u32_e32 v56, v58
	v_min_u32_e32 v60, 32, v56
	v_subrev_u32_e32 v56, 28, v60
	v_lshlrev_b64 v[56:57], v56, v[38:39]
	v_lshrrev_b32_e32 v59, 3, v39
	v_sub_u32_e32 v57, 29, v60
	v_and_b32_e32 v56, 7, v56
	v_cmp_gt_u32_e32 vcc, 8, v39
	v_cndmask_b32_e32 v39, v59, v57, vcc
	v_cndmask_b32_e32 v56, v58, v56, vcc
	v_lshlrev_b32_e32 v38, 24, v38
	v_bfrev_b32_e32 v57, 60
	v_lshlrev_b32_e32 v56, 20, v56
	v_and_b32_e32 v38, 0x80000000, v38
	v_lshl_add_u32 v39, v39, 23, v57
	v_or3_b32 v38, v38, v39, v56
	v_lshrrev_b32_e32 v56, 16, v38
.LBB875_155:
	s_or_b64 exec, exec, s[10:11]
.LBB875_156:
	s_or_b64 exec, exec, s[8:9]
.LBB875_157:
	s_or_b64 exec, exec, s[2:3]
	s_mov_b32 s2, 0x5040100
	v_perm_b32 v39, v54, v44, s2
	v_perm_b32 v38, v43, v53, s2
	v_cmp_ne_u16_sdwa s[8:9], v40, v52 src0_sel:BYTE_0 src1_sel:DWORD
	s_nop 0
	v_mfma_f32_16x16x16bf16_1k v[58:61], v[38:39], v[26:27], 0
	v_perm_b32 v39, v56, v55, s2
	v_perm_b32 v38, v42, v45, s2
	s_nop 1
	v_mfma_f32_16x16x16bf16_1k v[42:45], v[38:39], v[28:29], v[58:61]
	s_and_saveexec_b64 s[2:3], s[8:9]
	s_cbranch_execz .LBB875_163
; %bb.158:
	s_movk_i32 s8, 0x80
	v_cmp_ne_u16_sdwa s[10:11], v40, s8 src0_sel:BYTE_0 src1_sel:DWORD
	v_mov_b32_e32 v52, 0xffff8000
	s_and_saveexec_b64 s[8:9], s[10:11]
	s_cbranch_execz .LBB875_162
; %bb.159:
	s_movk_i32 s10, 0x7f
	v_and_b32_e32 v38, 0x7f, v40
	v_cmp_ne_u32_e32 vcc, s10, v38
	v_mov_b32_e32 v52, 0x7f80
	s_and_saveexec_b64 s[10:11], vcc
	s_cbranch_execz .LBB875_161
; %bb.160:
	v_and_b32_e32 v39, 7, v40
	v_ffbh_u32_e32 v52, v39
	v_min_u32_e32 v55, 32, v52
	v_subrev_u32_e32 v52, 28, v55
	v_lshlrev_b64 v[52:53], v52, v[40:41]
	v_lshrrev_b32_e32 v54, 3, v38
	v_sub_u32_e32 v53, 29, v55
	v_and_b32_e32 v52, 7, v52
	v_cmp_gt_u32_e32 vcc, 8, v38
	v_cndmask_b32_e32 v38, v54, v53, vcc
	v_cndmask_b32_e32 v39, v39, v52, vcc
	v_lshlrev_b32_e32 v52, 24, v40
	v_bfrev_b32_e32 v53, 60
	v_lshlrev_b32_e32 v39, 20, v39
	v_and_b32_e32 v52, 0x80000000, v52
	v_lshl_add_u32 v38, v38, 23, v53
	v_or3_b32 v38, v52, v38, v39
	v_lshrrev_b32_e32 v52, 16, v38
.LBB875_161:
	s_or_b64 exec, exec, s[10:11]
.LBB875_162:
	s_or_b64 exec, exec, s[8:9]
.LBB875_163:
	s_or_b64 exec, exec, s[2:3]
	v_lshrrev_b16_e32 v38, 8, v40
	v_cmp_ne_u16_e32 vcc, 0, v38
	v_mov_b32_e32 v54, 0
	v_mov_b32_e32 v39, 0
	s_and_saveexec_b64 s[2:3], vcc
	s_cbranch_execz .LBB875_169
; %bb.164:
	s_movk_i32 s8, 0x80
	v_cmp_ne_u16_e32 vcc, s8, v38
	v_mov_b32_e32 v39, 0xffff8000
	s_and_saveexec_b64 s[8:9], vcc
	s_cbranch_execz .LBB875_168
; %bb.165:
	s_movk_i32 s10, 0x7f
	v_and_b32_e32 v53, 0x7f, v38
	v_cmp_ne_u32_e32 vcc, s10, v53
	v_mov_b32_e32 v39, 0x7f80
	s_and_saveexec_b64 s[10:11], vcc
	s_cbranch_execz .LBB875_167
; %bb.166:
	v_and_b32_e32 v55, 7, v38
	v_ffbh_u32_e32 v39, v55
	v_min_u32_e32 v57, 32, v39
	v_subrev_u32_e32 v39, 28, v57
	v_lshlrev_b64 v[38:39], v39, v[38:39]
	v_lshrrev_b32_e32 v56, 3, v53
	v_sub_u32_e32 v39, 29, v57
	v_and_b32_e32 v38, 7, v38
	v_cmp_gt_u32_e32 vcc, 8, v53
	v_cndmask_b32_e32 v39, v56, v39, vcc
	v_cndmask_b32_e32 v38, v55, v38, vcc
	v_lshlrev_b32_e32 v53, 16, v40
	v_bfrev_b32_e32 v55, 60
	v_lshlrev_b32_e32 v38, 20, v38
	v_and_b32_e32 v53, 0x80000000, v53
	v_lshl_add_u32 v39, v39, 23, v55
	v_or3_b32 v38, v53, v39, v38
	v_lshrrev_b32_e32 v39, 16, v38
.LBB875_167:
	s_or_b64 exec, exec, s[10:11]
.LBB875_168:
	s_or_b64 exec, exec, s[8:9]
.LBB875_169:
	s_or_b64 exec, exec, s[2:3]
	s_movk_i32 s2, 0xff
	v_and_b32_sdwa v53, v40, s2 dst_sel:DWORD dst_unused:UNUSED_PAD src0_sel:WORD_1 src1_sel:DWORD
	v_lshrrev_b32_e32 v38, 16, v40
	v_cmp_ne_u16_e32 vcc, 0, v53
	s_and_saveexec_b64 s[2:3], vcc
	s_cbranch_execz .LBB875_175
; %bb.170:
	s_movk_i32 s8, 0x80
	v_cmp_ne_u16_e32 vcc, s8, v53
	v_mov_b32_e32 v54, 0xffff8000
	s_and_saveexec_b64 s[8:9], vcc
	s_cbranch_execz .LBB875_174
; %bb.171:
	v_bfe_u32 v53, v40, 16, 7
	s_movk_i32 s10, 0x7f
	v_cmp_ne_u32_e32 vcc, s10, v53
	v_mov_b32_e32 v54, 0x7f80
	s_and_saveexec_b64 s[10:11], vcc
	s_cbranch_execz .LBB875_173
; %bb.172:
	v_and_b32_e32 v56, 7, v38
	v_ffbh_u32_e32 v54, v56
	v_min_u32_e32 v58, 32, v54
	v_subrev_u32_e32 v54, 28, v58
	v_lshlrev_b64 v[54:55], v54, v[38:39]
	v_and_b32_e32 v54, 7, v54
	v_cmp_gt_u32_e32 vcc, 8, v53
	v_lshrrev_b32_e32 v57, 3, v53
	v_sub_u32_e32 v38, 29, v58
	v_cndmask_b32_e32 v53, v56, v54, vcc
	v_mov_b32_e32 v54, 24
	v_cndmask_b32_e32 v38, v57, v38, vcc
	v_lshlrev_b32_sdwa v54, v54, v40 dst_sel:DWORD dst_unused:UNUSED_PAD src0_sel:DWORD src1_sel:WORD_1
	v_bfrev_b32_e32 v55, 60
	v_lshlrev_b32_e32 v53, 20, v53
	v_and_b32_e32 v54, 0x80000000, v54
	v_lshl_add_u32 v38, v38, 23, v55
	v_or3_b32 v38, v54, v38, v53
	v_lshrrev_b32_e32 v54, 16, v38
.LBB875_173:
	s_or_b64 exec, exec, s[10:11]
.LBB875_174:
	s_or_b64 exec, exec, s[8:9]
.LBB875_175:
	s_or_b64 exec, exec, s[2:3]
	s_mov_b32 s2, 0xffffff
	v_cmp_lt_u32_e32 vcc, s2, v40
	v_mov_b32_e32 v55, 0
	v_mov_b32_e32 v56, 0
	s_and_saveexec_b64 s[2:3], vcc
	s_cbranch_execz .LBB875_181
; %bb.176:
	v_lshrrev_b32_e32 v38, 24, v40
	s_movk_i32 s8, 0x80
	v_cmp_ne_u32_e32 vcc, s8, v38
	v_mov_b32_e32 v56, 0xffff8000
	s_and_saveexec_b64 s[8:9], vcc
	s_cbranch_execz .LBB875_180
; %bb.177:
	v_bfe_u32 v40, v40, 24, 7
	s_movk_i32 s10, 0x7f
	v_cmp_ne_u32_e32 vcc, s10, v40
	v_mov_b32_e32 v56, 0x7f80
	s_and_saveexec_b64 s[10:11], vcc
	s_cbranch_execz .LBB875_179
; %bb.178:
	v_and_b32_e32 v53, 7, v38
	v_ffbh_u32_e32 v56, v53
	v_min_u32_e32 v59, 32, v56
	v_subrev_u32_e32 v56, 28, v59
	v_lshlrev_b64 v[56:57], v56, v[38:39]
	v_lshrrev_b32_e32 v58, 3, v40
	v_sub_u32_e32 v57, 29, v59
	v_and_b32_e32 v56, 7, v56
	v_cmp_gt_u32_e32 vcc, 8, v40
	v_cndmask_b32_e32 v40, v58, v57, vcc
	v_cndmask_b32_e32 v53, v53, v56, vcc
	v_lshlrev_b32_e32 v38, 24, v38
	v_bfrev_b32_e32 v56, 60
	v_lshlrev_b32_e32 v53, 20, v53
	v_and_b32_e32 v38, 0x80000000, v38
	v_lshl_add_u32 v40, v40, 23, v56
	v_or3_b32 v38, v38, v40, v53
	v_lshrrev_b32_e32 v56, 16, v38
.LBB875_179:
	s_or_b64 exec, exec, s[10:11]
.LBB875_180:
	s_or_b64 exec, exec, s[8:9]
.LBB875_181:
	s_or_b64 exec, exec, s[2:3]
	v_cmp_ne_u16_sdwa s[8:9], v41, v55 src0_sel:BYTE_0 src1_sel:DWORD
	s_and_saveexec_b64 s[2:3], s[8:9]
	s_cbranch_execz .LBB875_187
; %bb.182:
	s_movk_i32 s8, 0x80
	v_cmp_ne_u16_sdwa s[10:11], v41, s8 src0_sel:BYTE_0 src1_sel:DWORD
	v_mov_b32_e32 v55, 0xffff8000
	s_and_saveexec_b64 s[8:9], s[10:11]
	s_cbranch_execz .LBB875_186
; %bb.183:
	s_movk_i32 s10, 0x7f
	v_and_b32_e32 v38, 0x7f, v41
	v_cmp_ne_u32_e32 vcc, s10, v38
	v_mov_b32_e32 v55, 0x7f80
	s_and_saveexec_b64 s[10:11], vcc
	s_cbranch_execz .LBB875_185
; %bb.184:
	v_and_b32_e32 v53, 7, v41
	v_ffbh_u32_e32 v57, v53
	v_min_u32_e32 v57, 32, v57
	v_mov_b32_e32 v40, v41
	v_subrev_u32_e32 v58, 28, v57
	v_lshlrev_b64 v[58:59], v58, v[40:41]
	v_lshrrev_b32_e32 v55, 3, v38
	v_sub_u32_e32 v40, 29, v57
	v_and_b32_e32 v57, 7, v58
	v_cmp_gt_u32_e32 vcc, 8, v38
	v_cndmask_b32_e32 v38, v55, v40, vcc
	v_cndmask_b32_e32 v40, v53, v57, vcc
	v_lshlrev_b32_e32 v53, 24, v41
	v_bfrev_b32_e32 v55, 60
	v_lshlrev_b32_e32 v40, 20, v40
	v_and_b32_e32 v53, 0x80000000, v53
	v_lshl_add_u32 v38, v38, 23, v55
	v_or3_b32 v38, v53, v38, v40
	v_lshrrev_b32_e32 v55, 16, v38
.LBB875_185:
	s_or_b64 exec, exec, s[10:11]
.LBB875_186:
	s_or_b64 exec, exec, s[8:9]
.LBB875_187:
	s_or_b64 exec, exec, s[2:3]
	v_lshrrev_b16_e32 v38, 8, v41
	v_cmp_ne_u16_e32 vcc, 0, v38
	v_mov_b32_e32 v57, 0
	v_mov_b32_e32 v40, 0
	s_and_saveexec_b64 s[2:3], vcc
	s_cbranch_execz .LBB875_193
; %bb.188:
	s_movk_i32 s8, 0x80
	v_cmp_ne_u16_e32 vcc, s8, v38
	v_mov_b32_e32 v40, 0xffff8000
	s_and_saveexec_b64 s[8:9], vcc
	s_cbranch_execz .LBB875_192
; %bb.189:
	s_movk_i32 s10, 0x7f
	v_and_b32_e32 v53, 0x7f, v38
	v_cmp_ne_u32_e32 vcc, s10, v53
	v_mov_b32_e32 v40, 0x7f80
	s_and_saveexec_b64 s[10:11], vcc
	s_cbranch_execz .LBB875_191
; %bb.190:
	v_and_b32_e32 v40, 7, v38
	v_ffbh_u32_e32 v58, v40
	v_min_u32_e32 v61, 32, v58
	v_subrev_u32_e32 v58, 28, v61
	v_lshlrev_b64 v[58:59], v58, v[38:39]
	v_lshrrev_b32_e32 v60, 3, v53
	v_sub_u32_e32 v38, 29, v61
	v_and_b32_e32 v58, 7, v58
	v_cmp_gt_u32_e32 vcc, 8, v53
	v_cndmask_b32_e32 v38, v60, v38, vcc
	v_cndmask_b32_e32 v40, v40, v58, vcc
	v_lshlrev_b32_e32 v53, 16, v41
	v_bfrev_b32_e32 v58, 60
	v_lshlrev_b32_e32 v40, 20, v40
	v_and_b32_e32 v53, 0x80000000, v53
	v_lshl_add_u32 v38, v38, 23, v58
	v_or3_b32 v38, v53, v38, v40
	v_lshrrev_b32_e32 v40, 16, v38
.LBB875_191:
	s_or_b64 exec, exec, s[10:11]
.LBB875_192:
	s_or_b64 exec, exec, s[8:9]
.LBB875_193:
	s_or_b64 exec, exec, s[2:3]
	s_movk_i32 s2, 0xff
	v_and_b32_sdwa v53, v41, s2 dst_sel:DWORD dst_unused:UNUSED_PAD src0_sel:WORD_1 src1_sel:DWORD
	v_lshrrev_b32_e32 v38, 16, v41
	v_cmp_ne_u16_e32 vcc, 0, v53
	s_and_saveexec_b64 s[2:3], vcc
	s_cbranch_execz .LBB875_199
; %bb.194:
	s_movk_i32 s8, 0x80
	v_cmp_ne_u16_e32 vcc, s8, v53
	v_mov_b32_e32 v57, 0xffff8000
	s_and_saveexec_b64 s[8:9], vcc
	s_cbranch_execz .LBB875_198
; %bb.195:
	v_bfe_u32 v53, v41, 16, 7
	s_movk_i32 s10, 0x7f
	v_cmp_ne_u32_e32 vcc, s10, v53
	v_mov_b32_e32 v57, 0x7f80
	s_and_saveexec_b64 s[10:11], vcc
	s_cbranch_execz .LBB875_197
; %bb.196:
	v_and_b32_e32 v57, 7, v38
	v_ffbh_u32_e32 v58, v57
	v_min_u32_e32 v61, 32, v58
	v_subrev_u32_e32 v58, 28, v61
	v_lshlrev_b64 v[58:59], v58, v[38:39]
	v_and_b32_e32 v58, 7, v58
	v_cmp_gt_u32_e32 vcc, 8, v53
	v_lshrrev_b32_e32 v60, 3, v53
	v_sub_u32_e32 v38, 29, v61
	v_cndmask_b32_e32 v53, v57, v58, vcc
	v_mov_b32_e32 v57, 24
	v_cndmask_b32_e32 v38, v60, v38, vcc
	v_lshlrev_b32_sdwa v57, v57, v41 dst_sel:DWORD dst_unused:UNUSED_PAD src0_sel:DWORD src1_sel:WORD_1
	v_bfrev_b32_e32 v58, 60
	v_lshlrev_b32_e32 v53, 20, v53
	v_and_b32_e32 v57, 0x80000000, v57
	v_lshl_add_u32 v38, v38, 23, v58
	v_or3_b32 v38, v57, v38, v53
	v_lshrrev_b32_e32 v57, 16, v38
.LBB875_197:
	s_or_b64 exec, exec, s[10:11]
.LBB875_198:
	s_or_b64 exec, exec, s[8:9]
.LBB875_199:
	s_or_b64 exec, exec, s[2:3]
	s_mov_b32 s2, 0xffffff
	v_cmp_lt_u32_e32 vcc, s2, v41
	v_mov_b32_e32 v53, 0
	v_mov_b32_e32 v58, 0
	s_and_saveexec_b64 s[2:3], vcc
	s_cbranch_execz .LBB875_205
; %bb.200:
	v_lshrrev_b32_e32 v38, 24, v41
	s_movk_i32 s8, 0x80
	v_cmp_ne_u32_e32 vcc, s8, v38
	v_mov_b32_e32 v58, 0xffff8000
	s_and_saveexec_b64 s[8:9], vcc
	s_cbranch_execz .LBB875_204
; %bb.201:
	v_bfe_u32 v41, v41, 24, 7
	s_movk_i32 s10, 0x7f
	v_cmp_ne_u32_e32 vcc, s10, v41
	v_mov_b32_e32 v58, 0x7f80
	s_and_saveexec_b64 s[10:11], vcc
	s_cbranch_execz .LBB875_203
; %bb.202:
	v_and_b32_e32 v60, 7, v38
	v_ffbh_u32_e32 v58, v60
	v_min_u32_e32 v62, 32, v58
	v_subrev_u32_e32 v58, 28, v62
	v_lshlrev_b64 v[58:59], v58, v[38:39]
	v_lshrrev_b32_e32 v61, 3, v41
	v_sub_u32_e32 v59, 29, v62
	v_and_b32_e32 v58, 7, v58
	v_cmp_gt_u32_e32 vcc, 8, v41
	v_cndmask_b32_e32 v41, v61, v59, vcc
	v_cndmask_b32_e32 v58, v60, v58, vcc
	v_lshlrev_b32_e32 v38, 24, v38
	v_bfrev_b32_e32 v59, 60
	v_lshlrev_b32_e32 v58, 20, v58
	v_and_b32_e32 v38, 0x80000000, v38
	v_lshl_add_u32 v41, v41, 23, v59
	v_or3_b32 v38, v38, v41, v58
	v_lshrrev_b32_e32 v58, 16, v38
.LBB875_203:
	s_or_b64 exec, exec, s[10:11]
.LBB875_204:
	s_or_b64 exec, exec, s[8:9]
.LBB875_205:
	s_or_b64 exec, exec, s[2:3]
	s_mov_b32 s2, 0x5040100
	v_perm_b32 v61, v56, v54, s2
	v_perm_b32 v60, v39, v52, s2
	;; [unrolled: 1-line block ×4, first 2 shown]
	v_cmp_ne_u16_sdwa s[8:9], v30, v53 src0_sel:BYTE_0 src1_sel:DWORD
	v_mfma_f32_16x16x16bf16_1k v[42:45], v[60:61], v[18:19], v[42:45]
	v_mfma_f32_16x16x16bf16_1k v[38:41], v[38:39], v[20:21], v[42:45]
	s_and_saveexec_b64 s[2:3], s[8:9]
	s_cbranch_execz .LBB875_211
; %bb.206:
	s_movk_i32 s8, 0x80
	v_cmp_ne_u16_sdwa s[10:11], v30, s8 src0_sel:BYTE_0 src1_sel:DWORD
	v_mov_b32_e32 v53, 0xffff8000
	s_and_saveexec_b64 s[8:9], s[10:11]
	s_cbranch_execz .LBB875_210
; %bb.207:
	s_movk_i32 s10, 0x7f
	s_nop 1
	v_and_b32_e32 v42, 0x7f, v30
	v_cmp_ne_u32_e32 vcc, s10, v42
	v_mov_b32_e32 v53, 0x7f80
	s_and_saveexec_b64 s[10:11], vcc
	s_cbranch_execz .LBB875_209
; %bb.208:
	v_and_b32_e32 v43, 7, v30
	v_ffbh_u32_e32 v44, v43
	v_min_u32_e32 v53, 32, v44
	v_subrev_u32_e32 v44, 28, v53
	v_lshlrev_b64 v[44:45], v44, v[30:31]
	v_lshrrev_b32_e32 v52, 3, v42
	v_sub_u32_e32 v45, 29, v53
	v_and_b32_e32 v44, 7, v44
	v_cmp_gt_u32_e32 vcc, 8, v42
	v_cndmask_b32_e32 v42, v52, v45, vcc
	v_cndmask_b32_e32 v43, v43, v44, vcc
	v_lshlrev_b32_e32 v44, 24, v30
	v_bfrev_b32_e32 v45, 60
	v_lshlrev_b32_e32 v43, 20, v43
	v_and_b32_e32 v44, 0x80000000, v44
	v_lshl_add_u32 v42, v42, 23, v45
	v_or3_b32 v42, v44, v42, v43
	v_lshrrev_b32_e32 v53, 16, v42
.LBB875_209:
	s_or_b64 exec, exec, s[10:11]
.LBB875_210:
	s_or_b64 exec, exec, s[8:9]
.LBB875_211:
	s_or_b64 exec, exec, s[2:3]
	s_nop 6
	v_lshrrev_b16_e32 v42, 8, v30
	v_cmp_ne_u16_e32 vcc, 0, v42
	v_mov_b32_e32 v44, 0
	v_mov_b32_e32 v43, 0
	s_and_saveexec_b64 s[2:3], vcc
	s_cbranch_execz .LBB875_217
; %bb.212:
	s_movk_i32 s8, 0x80
	v_cmp_ne_u16_e32 vcc, s8, v42
	v_mov_b32_e32 v43, 0xffff8000
	s_and_saveexec_b64 s[8:9], vcc
	s_cbranch_execz .LBB875_216
; %bb.213:
	s_movk_i32 s10, 0x7f
	v_and_b32_e32 v45, 0x7f, v42
	v_cmp_ne_u32_e32 vcc, s10, v45
	v_mov_b32_e32 v43, 0x7f80
	s_and_saveexec_b64 s[10:11], vcc
	s_cbranch_execz .LBB875_215
; %bb.214:
	v_and_b32_e32 v52, 7, v42
	v_ffbh_u32_e32 v43, v52
	v_min_u32_e32 v55, 32, v43
	v_subrev_u32_e32 v43, 28, v55
	v_lshlrev_b64 v[42:43], v43, v[42:43]
	v_lshrrev_b32_e32 v54, 3, v45
	v_sub_u32_e32 v43, 29, v55
	v_and_b32_e32 v42, 7, v42
	v_cmp_gt_u32_e32 vcc, 8, v45
	v_cndmask_b32_e32 v43, v54, v43, vcc
	v_cndmask_b32_e32 v42, v52, v42, vcc
	v_lshlrev_b32_e32 v45, 16, v30
	v_bfrev_b32_e32 v52, 60
	v_lshlrev_b32_e32 v42, 20, v42
	v_and_b32_e32 v45, 0x80000000, v45
	v_lshl_add_u32 v43, v43, 23, v52
	v_or3_b32 v42, v45, v43, v42
	v_lshrrev_b32_e32 v43, 16, v42
.LBB875_215:
	s_or_b64 exec, exec, s[10:11]
.LBB875_216:
	s_or_b64 exec, exec, s[8:9]
.LBB875_217:
	s_or_b64 exec, exec, s[2:3]
	s_movk_i32 s2, 0xff
	v_and_b32_sdwa v45, v30, s2 dst_sel:DWORD dst_unused:UNUSED_PAD src0_sel:WORD_1 src1_sel:DWORD
	v_lshrrev_b32_e32 v42, 16, v30
	v_cmp_ne_u16_e32 vcc, 0, v45
	s_and_saveexec_b64 s[2:3], vcc
	s_cbranch_execz .LBB875_223
; %bb.218:
	s_movk_i32 s8, 0x80
	v_cmp_ne_u16_e32 vcc, s8, v45
	v_mov_b32_e32 v44, 0xffff8000
	s_and_saveexec_b64 s[8:9], vcc
	s_cbranch_execz .LBB875_222
; %bb.219:
	v_bfe_u32 v45, v30, 16, 7
	s_movk_i32 s10, 0x7f
	v_cmp_ne_u32_e32 vcc, s10, v45
	v_mov_b32_e32 v44, 0x7f80
	s_and_saveexec_b64 s[10:11], vcc
	s_cbranch_execz .LBB875_221
; %bb.220:
	v_and_b32_e32 v44, 7, v42
	v_ffbh_u32_e32 v54, v44
	v_min_u32_e32 v56, 32, v54
	v_subrev_u32_e32 v54, 28, v56
	v_lshlrev_b64 v[54:55], v54, v[42:43]
	v_lshrrev_b32_e32 v52, 3, v45
	v_sub_u32_e32 v42, 29, v56
	v_and_b32_e32 v54, 7, v54
	v_cmp_gt_u32_e32 vcc, 8, v45
	v_mov_b32_e32 v45, 24
	v_cndmask_b32_e32 v42, v52, v42, vcc
	v_cndmask_b32_e32 v44, v44, v54, vcc
	v_lshlrev_b32_sdwa v45, v45, v30 dst_sel:DWORD dst_unused:UNUSED_PAD src0_sel:DWORD src1_sel:WORD_1
	v_bfrev_b32_e32 v52, 60
	v_lshlrev_b32_e32 v44, 20, v44
	v_and_b32_e32 v45, 0x80000000, v45
	v_lshl_add_u32 v42, v42, 23, v52
	v_or3_b32 v42, v45, v42, v44
	v_lshrrev_b32_e32 v44, 16, v42
.LBB875_221:
	s_or_b64 exec, exec, s[10:11]
.LBB875_222:
	s_or_b64 exec, exec, s[8:9]
.LBB875_223:
	s_or_b64 exec, exec, s[2:3]
	s_mov_b32 s2, 0xffffff
	v_cmp_lt_u32_e32 vcc, s2, v30
	v_mov_b32_e32 v45, 0
	v_mov_b32_e32 v54, 0
	s_and_saveexec_b64 s[2:3], vcc
	s_cbranch_execz .LBB875_229
; %bb.224:
	v_lshrrev_b32_e32 v42, 24, v30
	s_movk_i32 s8, 0x80
	v_cmp_ne_u32_e32 vcc, s8, v42
	v_mov_b32_e32 v54, 0xffff8000
	s_and_saveexec_b64 s[8:9], vcc
	s_cbranch_execz .LBB875_228
; %bb.225:
	v_bfe_u32 v30, v30, 24, 7
	s_movk_i32 s10, 0x7f
	v_cmp_ne_u32_e32 vcc, s10, v30
	v_mov_b32_e32 v54, 0x7f80
	s_and_saveexec_b64 s[10:11], vcc
	s_cbranch_execz .LBB875_227
; %bb.226:
	v_and_b32_e32 v52, 7, v42
	v_ffbh_u32_e32 v54, v52
	v_min_u32_e32 v57, 32, v54
	v_subrev_u32_e32 v54, 28, v57
	v_lshlrev_b64 v[54:55], v54, v[42:43]
	v_lshrrev_b32_e32 v56, 3, v30
	v_sub_u32_e32 v55, 29, v57
	v_and_b32_e32 v54, 7, v54
	v_cmp_gt_u32_e32 vcc, 8, v30
	v_cndmask_b32_e32 v30, v56, v55, vcc
	v_cndmask_b32_e32 v52, v52, v54, vcc
	v_lshlrev_b32_e32 v42, 24, v42
	v_bfrev_b32_e32 v54, 60
	v_lshlrev_b32_e32 v52, 20, v52
	v_and_b32_e32 v42, 0x80000000, v42
	v_lshl_add_u32 v30, v30, 23, v54
	v_or3_b32 v30, v42, v30, v52
	v_lshrrev_b32_e32 v54, 16, v30
.LBB875_227:
	s_or_b64 exec, exec, s[10:11]
.LBB875_228:
	s_or_b64 exec, exec, s[8:9]
.LBB875_229:
	s_or_b64 exec, exec, s[2:3]
	v_cmp_ne_u16_sdwa s[8:9], v31, v45 src0_sel:BYTE_0 src1_sel:DWORD
	s_and_saveexec_b64 s[2:3], s[8:9]
	s_cbranch_execz .LBB875_235
; %bb.230:
	s_movk_i32 s8, 0x80
	v_cmp_ne_u16_sdwa s[10:11], v31, s8 src0_sel:BYTE_0 src1_sel:DWORD
	v_mov_b32_e32 v45, 0xffff8000
	s_and_saveexec_b64 s[8:9], s[10:11]
	s_cbranch_execz .LBB875_234
; %bb.231:
	s_movk_i32 s10, 0x7f
	v_and_b32_e32 v30, 0x7f, v31
	v_cmp_ne_u32_e32 vcc, s10, v30
	v_mov_b32_e32 v45, 0x7f80
	s_and_saveexec_b64 s[10:11], vcc
	s_cbranch_execz .LBB875_233
; %bb.232:
	v_and_b32_e32 v45, 7, v31
	v_ffbh_u32_e32 v55, v45
	v_min_u32_e32 v55, 32, v55
	v_mov_b32_e32 v42, v31
	v_subrev_u32_e32 v56, 28, v55
	v_lshlrev_b64 v[56:57], v56, v[42:43]
	v_lshrrev_b32_e32 v52, 3, v30
	v_sub_u32_e32 v42, 29, v55
	v_and_b32_e32 v55, 7, v56
	v_cmp_gt_u32_e32 vcc, 8, v30
	v_cndmask_b32_e32 v30, v52, v42, vcc
	v_cndmask_b32_e32 v42, v45, v55, vcc
	v_lshlrev_b32_e32 v45, 24, v31
	v_bfrev_b32_e32 v52, 60
	v_lshlrev_b32_e32 v42, 20, v42
	v_and_b32_e32 v45, 0x80000000, v45
	v_lshl_add_u32 v30, v30, 23, v52
	v_or3_b32 v30, v45, v30, v42
	v_lshrrev_b32_e32 v45, 16, v30
.LBB875_233:
	s_or_b64 exec, exec, s[10:11]
.LBB875_234:
	s_or_b64 exec, exec, s[8:9]
.LBB875_235:
	s_or_b64 exec, exec, s[2:3]
	v_lshrrev_b16_e32 v30, 8, v31
	v_cmp_ne_u16_e32 vcc, 0, v30
	v_mov_b32_e32 v55, 0
	v_mov_b32_e32 v42, 0
	s_and_saveexec_b64 s[2:3], vcc
	s_cbranch_execz .LBB875_241
; %bb.236:
	s_movk_i32 s8, 0x80
	v_cmp_ne_u16_e32 vcc, s8, v30
	v_mov_b32_e32 v42, 0xffff8000
	s_and_saveexec_b64 s[8:9], vcc
	s_cbranch_execz .LBB875_240
; %bb.237:
	s_movk_i32 s10, 0x7f
	v_and_b32_e32 v52, 0x7f, v30
	v_cmp_ne_u32_e32 vcc, s10, v52
	v_mov_b32_e32 v42, 0x7f80
	s_and_saveexec_b64 s[10:11], vcc
	s_cbranch_execz .LBB875_239
; %bb.238:
	v_and_b32_e32 v42, 7, v30
	v_ffbh_u32_e32 v56, v42
	v_min_u32_e32 v59, 32, v56
	v_subrev_u32_e32 v56, 28, v59
	v_lshlrev_b64 v[56:57], v56, v[30:31]
	v_lshrrev_b32_e32 v58, 3, v52
	v_sub_u32_e32 v30, 29, v59
	v_and_b32_e32 v56, 7, v56
	v_cmp_gt_u32_e32 vcc, 8, v52
	v_cndmask_b32_e32 v30, v58, v30, vcc
	v_cndmask_b32_e32 v42, v42, v56, vcc
	v_lshlrev_b32_e32 v52, 16, v31
	v_bfrev_b32_e32 v56, 60
	v_lshlrev_b32_e32 v42, 20, v42
	v_and_b32_e32 v52, 0x80000000, v52
	v_lshl_add_u32 v30, v30, 23, v56
	v_or3_b32 v30, v52, v30, v42
	v_lshrrev_b32_e32 v42, 16, v30
.LBB875_239:
	s_or_b64 exec, exec, s[10:11]
.LBB875_240:
	s_or_b64 exec, exec, s[8:9]
.LBB875_241:
	s_or_b64 exec, exec, s[2:3]
	s_movk_i32 s2, 0xff
	v_and_b32_sdwa v52, v31, s2 dst_sel:DWORD dst_unused:UNUSED_PAD src0_sel:WORD_1 src1_sel:DWORD
	v_lshrrev_b32_e32 v30, 16, v31
	v_cmp_ne_u16_e32 vcc, 0, v52
	s_and_saveexec_b64 s[2:3], vcc
	s_cbranch_execz .LBB875_247
; %bb.242:
	s_movk_i32 s8, 0x80
	v_cmp_ne_u16_e32 vcc, s8, v52
	v_mov_b32_e32 v55, 0xffff8000
	s_and_saveexec_b64 s[8:9], vcc
	s_cbranch_execz .LBB875_246
; %bb.243:
	v_bfe_u32 v52, v31, 16, 7
	s_movk_i32 s10, 0x7f
	v_cmp_ne_u32_e32 vcc, s10, v52
	v_mov_b32_e32 v55, 0x7f80
	s_and_saveexec_b64 s[10:11], vcc
	s_cbranch_execz .LBB875_245
; %bb.244:
	v_and_b32_e32 v55, 7, v30
	v_ffbh_u32_e32 v56, v55
	v_min_u32_e32 v59, 32, v56
	v_subrev_u32_e32 v56, 28, v59
	v_lshlrev_b64 v[56:57], v56, v[30:31]
	v_and_b32_e32 v56, 7, v56
	v_cmp_gt_u32_e32 vcc, 8, v52
	v_lshrrev_b32_e32 v58, 3, v52
	v_sub_u32_e32 v30, 29, v59
	v_cndmask_b32_e32 v52, v55, v56, vcc
	v_mov_b32_e32 v55, 24
	v_cndmask_b32_e32 v30, v58, v30, vcc
	v_lshlrev_b32_sdwa v55, v55, v31 dst_sel:DWORD dst_unused:UNUSED_PAD src0_sel:DWORD src1_sel:WORD_1
	v_bfrev_b32_e32 v56, 60
	v_lshlrev_b32_e32 v52, 20, v52
	v_and_b32_e32 v55, 0x80000000, v55
	v_lshl_add_u32 v30, v30, 23, v56
	v_or3_b32 v30, v55, v30, v52
	v_lshrrev_b32_e32 v55, 16, v30
.LBB875_245:
	s_or_b64 exec, exec, s[10:11]
.LBB875_246:
	s_or_b64 exec, exec, s[8:9]
.LBB875_247:
	s_or_b64 exec, exec, s[2:3]
	s_mov_b32 s2, 0xffffff
	v_cmp_lt_u32_e32 vcc, s2, v31
	v_mov_b32_e32 v52, 0
	v_mov_b32_e32 v56, 0
	s_and_saveexec_b64 s[2:3], vcc
	s_cbranch_execz .LBB875_253
; %bb.248:
	v_lshrrev_b32_e32 v30, 24, v31
	s_movk_i32 s8, 0x80
	v_cmp_ne_u32_e32 vcc, s8, v30
	v_mov_b32_e32 v56, 0xffff8000
	s_and_saveexec_b64 s[8:9], vcc
	s_cbranch_execz .LBB875_252
; %bb.249:
	v_bfe_u32 v31, v31, 24, 7
	s_movk_i32 s10, 0x7f
	v_cmp_ne_u32_e32 vcc, s10, v31
	v_mov_b32_e32 v56, 0x7f80
	s_and_saveexec_b64 s[10:11], vcc
	s_cbranch_execz .LBB875_251
; %bb.250:
	v_and_b32_e32 v58, 7, v30
	v_ffbh_u32_e32 v56, v58
	v_min_u32_e32 v60, 32, v56
	v_subrev_u32_e32 v56, 28, v60
	v_lshlrev_b64 v[56:57], v56, v[30:31]
	v_lshrrev_b32_e32 v59, 3, v31
	v_sub_u32_e32 v57, 29, v60
	v_and_b32_e32 v56, 7, v56
	v_cmp_gt_u32_e32 vcc, 8, v31
	v_cndmask_b32_e32 v31, v59, v57, vcc
	v_cndmask_b32_e32 v56, v58, v56, vcc
	v_lshlrev_b32_e32 v30, 24, v30
	v_bfrev_b32_e32 v57, 60
	v_lshlrev_b32_e32 v56, 20, v56
	v_and_b32_e32 v30, 0x80000000, v30
	v_lshl_add_u32 v31, v31, 23, v57
	v_or3_b32 v30, v30, v31, v56
	v_lshrrev_b32_e32 v56, 16, v30
.LBB875_251:
	s_or_b64 exec, exec, s[10:11]
.LBB875_252:
	s_or_b64 exec, exec, s[8:9]
.LBB875_253:
	s_or_b64 exec, exec, s[2:3]
	s_mov_b32 s2, 0x5040100
	v_perm_b32 v31, v54, v44, s2
	v_perm_b32 v30, v43, v53, s2
	v_cmp_ne_u16_sdwa s[8:9], v32, v52 src0_sel:BYTE_0 src1_sel:DWORD
	s_nop 0
	v_mfma_f32_16x16x16bf16_1k v[58:61], v[30:31], v[26:27], 0
	v_perm_b32 v31, v56, v55, s2
	v_perm_b32 v30, v42, v45, s2
	s_nop 1
	v_mfma_f32_16x16x16bf16_1k v[42:45], v[30:31], v[28:29], v[58:61]
	s_and_saveexec_b64 s[2:3], s[8:9]
	s_cbranch_execz .LBB875_259
; %bb.254:
	s_movk_i32 s8, 0x80
	v_cmp_ne_u16_sdwa s[10:11], v32, s8 src0_sel:BYTE_0 src1_sel:DWORD
	v_mov_b32_e32 v52, 0xffff8000
	s_and_saveexec_b64 s[8:9], s[10:11]
	s_cbranch_execz .LBB875_258
; %bb.255:
	s_movk_i32 s10, 0x7f
	v_and_b32_e32 v30, 0x7f, v32
	v_cmp_ne_u32_e32 vcc, s10, v30
	v_mov_b32_e32 v52, 0x7f80
	s_and_saveexec_b64 s[10:11], vcc
	s_cbranch_execz .LBB875_257
; %bb.256:
	v_and_b32_e32 v31, 7, v32
	v_ffbh_u32_e32 v52, v31
	v_min_u32_e32 v55, 32, v52
	v_subrev_u32_e32 v52, 28, v55
	v_lshlrev_b64 v[52:53], v52, v[32:33]
	v_lshrrev_b32_e32 v54, 3, v30
	v_sub_u32_e32 v53, 29, v55
	v_and_b32_e32 v52, 7, v52
	v_cmp_gt_u32_e32 vcc, 8, v30
	v_cndmask_b32_e32 v30, v54, v53, vcc
	v_cndmask_b32_e32 v31, v31, v52, vcc
	v_lshlrev_b32_e32 v52, 24, v32
	v_bfrev_b32_e32 v53, 60
	v_lshlrev_b32_e32 v31, 20, v31
	v_and_b32_e32 v52, 0x80000000, v52
	v_lshl_add_u32 v30, v30, 23, v53
	v_or3_b32 v30, v52, v30, v31
	v_lshrrev_b32_e32 v52, 16, v30
.LBB875_257:
	s_or_b64 exec, exec, s[10:11]
.LBB875_258:
	s_or_b64 exec, exec, s[8:9]
.LBB875_259:
	s_or_b64 exec, exec, s[2:3]
	v_lshrrev_b16_e32 v30, 8, v32
	v_cmp_ne_u16_e32 vcc, 0, v30
	v_mov_b32_e32 v54, 0
	v_mov_b32_e32 v31, 0
	s_and_saveexec_b64 s[2:3], vcc
	s_cbranch_execz .LBB875_265
; %bb.260:
	s_movk_i32 s8, 0x80
	v_cmp_ne_u16_e32 vcc, s8, v30
	v_mov_b32_e32 v31, 0xffff8000
	s_and_saveexec_b64 s[8:9], vcc
	s_cbranch_execz .LBB875_264
; %bb.261:
	s_movk_i32 s10, 0x7f
	v_and_b32_e32 v53, 0x7f, v30
	v_cmp_ne_u32_e32 vcc, s10, v53
	v_mov_b32_e32 v31, 0x7f80
	s_and_saveexec_b64 s[10:11], vcc
	s_cbranch_execz .LBB875_263
; %bb.262:
	v_and_b32_e32 v55, 7, v30
	v_ffbh_u32_e32 v31, v55
	v_min_u32_e32 v57, 32, v31
	v_subrev_u32_e32 v31, 28, v57
	v_lshlrev_b64 v[30:31], v31, v[30:31]
	v_lshrrev_b32_e32 v56, 3, v53
	v_sub_u32_e32 v31, 29, v57
	v_and_b32_e32 v30, 7, v30
	v_cmp_gt_u32_e32 vcc, 8, v53
	v_cndmask_b32_e32 v31, v56, v31, vcc
	v_cndmask_b32_e32 v30, v55, v30, vcc
	v_lshlrev_b32_e32 v53, 16, v32
	v_bfrev_b32_e32 v55, 60
	v_lshlrev_b32_e32 v30, 20, v30
	v_and_b32_e32 v53, 0x80000000, v53
	v_lshl_add_u32 v31, v31, 23, v55
	v_or3_b32 v30, v53, v31, v30
	v_lshrrev_b32_e32 v31, 16, v30
.LBB875_263:
	s_or_b64 exec, exec, s[10:11]
.LBB875_264:
	s_or_b64 exec, exec, s[8:9]
.LBB875_265:
	s_or_b64 exec, exec, s[2:3]
	s_movk_i32 s2, 0xff
	v_and_b32_sdwa v53, v32, s2 dst_sel:DWORD dst_unused:UNUSED_PAD src0_sel:WORD_1 src1_sel:DWORD
	v_lshrrev_b32_e32 v30, 16, v32
	v_cmp_ne_u16_e32 vcc, 0, v53
	s_and_saveexec_b64 s[2:3], vcc
	s_cbranch_execz .LBB875_271
; %bb.266:
	s_movk_i32 s8, 0x80
	v_cmp_ne_u16_e32 vcc, s8, v53
	v_mov_b32_e32 v54, 0xffff8000
	s_and_saveexec_b64 s[8:9], vcc
	s_cbranch_execz .LBB875_270
; %bb.267:
	v_bfe_u32 v53, v32, 16, 7
	s_movk_i32 s10, 0x7f
	v_cmp_ne_u32_e32 vcc, s10, v53
	v_mov_b32_e32 v54, 0x7f80
	s_and_saveexec_b64 s[10:11], vcc
	s_cbranch_execz .LBB875_269
; %bb.268:
	v_and_b32_e32 v56, 7, v30
	v_ffbh_u32_e32 v54, v56
	v_min_u32_e32 v58, 32, v54
	v_subrev_u32_e32 v54, 28, v58
	v_lshlrev_b64 v[54:55], v54, v[30:31]
	v_and_b32_e32 v54, 7, v54
	v_cmp_gt_u32_e32 vcc, 8, v53
	v_lshrrev_b32_e32 v57, 3, v53
	v_sub_u32_e32 v30, 29, v58
	v_cndmask_b32_e32 v53, v56, v54, vcc
	v_mov_b32_e32 v54, 24
	v_cndmask_b32_e32 v30, v57, v30, vcc
	v_lshlrev_b32_sdwa v54, v54, v32 dst_sel:DWORD dst_unused:UNUSED_PAD src0_sel:DWORD src1_sel:WORD_1
	v_bfrev_b32_e32 v55, 60
	v_lshlrev_b32_e32 v53, 20, v53
	v_and_b32_e32 v54, 0x80000000, v54
	v_lshl_add_u32 v30, v30, 23, v55
	v_or3_b32 v30, v54, v30, v53
	v_lshrrev_b32_e32 v54, 16, v30
.LBB875_269:
	s_or_b64 exec, exec, s[10:11]
.LBB875_270:
	s_or_b64 exec, exec, s[8:9]
.LBB875_271:
	s_or_b64 exec, exec, s[2:3]
	s_mov_b32 s2, 0xffffff
	v_cmp_lt_u32_e32 vcc, s2, v32
	v_mov_b32_e32 v55, 0
	v_mov_b32_e32 v56, 0
	s_and_saveexec_b64 s[2:3], vcc
	s_cbranch_execz .LBB875_277
; %bb.272:
	v_lshrrev_b32_e32 v30, 24, v32
	s_movk_i32 s8, 0x80
	v_cmp_ne_u32_e32 vcc, s8, v30
	v_mov_b32_e32 v56, 0xffff8000
	s_and_saveexec_b64 s[8:9], vcc
	s_cbranch_execz .LBB875_276
; %bb.273:
	v_bfe_u32 v32, v32, 24, 7
	s_movk_i32 s10, 0x7f
	v_cmp_ne_u32_e32 vcc, s10, v32
	v_mov_b32_e32 v56, 0x7f80
	s_and_saveexec_b64 s[10:11], vcc
	s_cbranch_execz .LBB875_275
; %bb.274:
	v_and_b32_e32 v53, 7, v30
	v_ffbh_u32_e32 v56, v53
	v_min_u32_e32 v59, 32, v56
	v_subrev_u32_e32 v56, 28, v59
	v_lshlrev_b64 v[56:57], v56, v[30:31]
	v_lshrrev_b32_e32 v58, 3, v32
	v_sub_u32_e32 v57, 29, v59
	v_and_b32_e32 v56, 7, v56
	v_cmp_gt_u32_e32 vcc, 8, v32
	v_cndmask_b32_e32 v32, v58, v57, vcc
	v_cndmask_b32_e32 v53, v53, v56, vcc
	v_lshlrev_b32_e32 v30, 24, v30
	v_bfrev_b32_e32 v56, 60
	v_lshlrev_b32_e32 v53, 20, v53
	v_and_b32_e32 v30, 0x80000000, v30
	v_lshl_add_u32 v32, v32, 23, v56
	v_or3_b32 v30, v30, v32, v53
	v_lshrrev_b32_e32 v56, 16, v30
.LBB875_275:
	s_or_b64 exec, exec, s[10:11]
.LBB875_276:
	s_or_b64 exec, exec, s[8:9]
.LBB875_277:
	s_or_b64 exec, exec, s[2:3]
	v_cmp_ne_u16_sdwa s[8:9], v33, v55 src0_sel:BYTE_0 src1_sel:DWORD
	s_and_saveexec_b64 s[2:3], s[8:9]
	s_cbranch_execz .LBB875_283
; %bb.278:
	s_movk_i32 s8, 0x80
	v_cmp_ne_u16_sdwa s[10:11], v33, s8 src0_sel:BYTE_0 src1_sel:DWORD
	v_mov_b32_e32 v55, 0xffff8000
	s_and_saveexec_b64 s[8:9], s[10:11]
	s_cbranch_execz .LBB875_282
; %bb.279:
	s_movk_i32 s10, 0x7f
	v_and_b32_e32 v30, 0x7f, v33
	v_cmp_ne_u32_e32 vcc, s10, v30
	v_mov_b32_e32 v55, 0x7f80
	s_and_saveexec_b64 s[10:11], vcc
	s_cbranch_execz .LBB875_281
; %bb.280:
	v_and_b32_e32 v53, 7, v33
	v_ffbh_u32_e32 v57, v53
	v_min_u32_e32 v57, 32, v57
	v_mov_b32_e32 v32, v33
	v_subrev_u32_e32 v58, 28, v57
	v_lshlrev_b64 v[58:59], v58, v[32:33]
	v_lshrrev_b32_e32 v55, 3, v30
	v_sub_u32_e32 v32, 29, v57
	v_and_b32_e32 v57, 7, v58
	v_cmp_gt_u32_e32 vcc, 8, v30
	v_cndmask_b32_e32 v30, v55, v32, vcc
	v_cndmask_b32_e32 v32, v53, v57, vcc
	v_lshlrev_b32_e32 v53, 24, v33
	v_bfrev_b32_e32 v55, 60
	v_lshlrev_b32_e32 v32, 20, v32
	v_and_b32_e32 v53, 0x80000000, v53
	v_lshl_add_u32 v30, v30, 23, v55
	v_or3_b32 v30, v53, v30, v32
	v_lshrrev_b32_e32 v55, 16, v30
.LBB875_281:
	s_or_b64 exec, exec, s[10:11]
.LBB875_282:
	s_or_b64 exec, exec, s[8:9]
.LBB875_283:
	s_or_b64 exec, exec, s[2:3]
	v_lshrrev_b16_e32 v30, 8, v33
	v_cmp_ne_u16_e32 vcc, 0, v30
	v_mov_b32_e32 v57, 0
	v_mov_b32_e32 v32, 0
	s_and_saveexec_b64 s[2:3], vcc
	s_cbranch_execz .LBB875_289
; %bb.284:
	s_movk_i32 s8, 0x80
	v_cmp_ne_u16_e32 vcc, s8, v30
	v_mov_b32_e32 v32, 0xffff8000
	s_and_saveexec_b64 s[8:9], vcc
	s_cbranch_execz .LBB875_288
; %bb.285:
	s_movk_i32 s10, 0x7f
	v_and_b32_e32 v53, 0x7f, v30
	v_cmp_ne_u32_e32 vcc, s10, v53
	v_mov_b32_e32 v32, 0x7f80
	s_and_saveexec_b64 s[10:11], vcc
	s_cbranch_execz .LBB875_287
; %bb.286:
	v_and_b32_e32 v32, 7, v30
	v_ffbh_u32_e32 v58, v32
	v_min_u32_e32 v61, 32, v58
	v_subrev_u32_e32 v58, 28, v61
	v_lshlrev_b64 v[58:59], v58, v[30:31]
	v_lshrrev_b32_e32 v60, 3, v53
	v_sub_u32_e32 v30, 29, v61
	v_and_b32_e32 v58, 7, v58
	v_cmp_gt_u32_e32 vcc, 8, v53
	v_cndmask_b32_e32 v30, v60, v30, vcc
	v_cndmask_b32_e32 v32, v32, v58, vcc
	v_lshlrev_b32_e32 v53, 16, v33
	v_bfrev_b32_e32 v58, 60
	v_lshlrev_b32_e32 v32, 20, v32
	v_and_b32_e32 v53, 0x80000000, v53
	v_lshl_add_u32 v30, v30, 23, v58
	v_or3_b32 v30, v53, v30, v32
	v_lshrrev_b32_e32 v32, 16, v30
.LBB875_287:
	s_or_b64 exec, exec, s[10:11]
.LBB875_288:
	s_or_b64 exec, exec, s[8:9]
.LBB875_289:
	s_or_b64 exec, exec, s[2:3]
	s_movk_i32 s2, 0xff
	v_and_b32_sdwa v53, v33, s2 dst_sel:DWORD dst_unused:UNUSED_PAD src0_sel:WORD_1 src1_sel:DWORD
	v_lshrrev_b32_e32 v30, 16, v33
	v_cmp_ne_u16_e32 vcc, 0, v53
	s_and_saveexec_b64 s[2:3], vcc
	s_cbranch_execz .LBB875_295
; %bb.290:
	s_movk_i32 s8, 0x80
	v_cmp_ne_u16_e32 vcc, s8, v53
	v_mov_b32_e32 v57, 0xffff8000
	s_and_saveexec_b64 s[8:9], vcc
	s_cbranch_execz .LBB875_294
; %bb.291:
	v_bfe_u32 v53, v33, 16, 7
	s_movk_i32 s10, 0x7f
	v_cmp_ne_u32_e32 vcc, s10, v53
	v_mov_b32_e32 v57, 0x7f80
	s_and_saveexec_b64 s[10:11], vcc
	s_cbranch_execz .LBB875_293
; %bb.292:
	v_and_b32_e32 v57, 7, v30
	v_ffbh_u32_e32 v58, v57
	v_min_u32_e32 v61, 32, v58
	v_subrev_u32_e32 v58, 28, v61
	v_lshlrev_b64 v[58:59], v58, v[30:31]
	v_and_b32_e32 v58, 7, v58
	v_cmp_gt_u32_e32 vcc, 8, v53
	v_lshrrev_b32_e32 v60, 3, v53
	v_sub_u32_e32 v30, 29, v61
	v_cndmask_b32_e32 v53, v57, v58, vcc
	v_mov_b32_e32 v57, 24
	v_cndmask_b32_e32 v30, v60, v30, vcc
	v_lshlrev_b32_sdwa v57, v57, v33 dst_sel:DWORD dst_unused:UNUSED_PAD src0_sel:DWORD src1_sel:WORD_1
	v_bfrev_b32_e32 v58, 60
	v_lshlrev_b32_e32 v53, 20, v53
	v_and_b32_e32 v57, 0x80000000, v57
	v_lshl_add_u32 v30, v30, 23, v58
	v_or3_b32 v30, v57, v30, v53
	v_lshrrev_b32_e32 v57, 16, v30
.LBB875_293:
	s_or_b64 exec, exec, s[10:11]
.LBB875_294:
	s_or_b64 exec, exec, s[8:9]
.LBB875_295:
	s_or_b64 exec, exec, s[2:3]
	s_mov_b32 s2, 0xffffff
	v_cmp_lt_u32_e32 vcc, s2, v33
	v_mov_b32_e32 v53, 0
	v_mov_b32_e32 v58, 0
	s_and_saveexec_b64 s[2:3], vcc
	s_cbranch_execz .LBB875_301
; %bb.296:
	v_lshrrev_b32_e32 v30, 24, v33
	s_movk_i32 s8, 0x80
	v_cmp_ne_u32_e32 vcc, s8, v30
	v_mov_b32_e32 v58, 0xffff8000
	s_and_saveexec_b64 s[8:9], vcc
	s_cbranch_execz .LBB875_300
; %bb.297:
	v_bfe_u32 v33, v33, 24, 7
	s_movk_i32 s10, 0x7f
	v_cmp_ne_u32_e32 vcc, s10, v33
	v_mov_b32_e32 v58, 0x7f80
	s_and_saveexec_b64 s[10:11], vcc
	s_cbranch_execz .LBB875_299
; %bb.298:
	v_and_b32_e32 v60, 7, v30
	v_ffbh_u32_e32 v58, v60
	v_min_u32_e32 v62, 32, v58
	v_subrev_u32_e32 v58, 28, v62
	v_lshlrev_b64 v[58:59], v58, v[30:31]
	v_lshrrev_b32_e32 v61, 3, v33
	v_sub_u32_e32 v59, 29, v62
	v_and_b32_e32 v58, 7, v58
	v_cmp_gt_u32_e32 vcc, 8, v33
	v_cndmask_b32_e32 v33, v61, v59, vcc
	v_cndmask_b32_e32 v58, v60, v58, vcc
	v_lshlrev_b32_e32 v30, 24, v30
	v_bfrev_b32_e32 v59, 60
	v_lshlrev_b32_e32 v58, 20, v58
	v_and_b32_e32 v30, 0x80000000, v30
	v_lshl_add_u32 v33, v33, 23, v59
	v_or3_b32 v30, v30, v33, v58
	v_lshrrev_b32_e32 v58, 16, v30
.LBB875_299:
	s_or_b64 exec, exec, s[10:11]
.LBB875_300:
	s_or_b64 exec, exec, s[8:9]
.LBB875_301:
	s_or_b64 exec, exec, s[2:3]
	s_mov_b32 s2, 0x5040100
	v_perm_b32 v61, v56, v54, s2
	v_perm_b32 v60, v31, v52, s2
	;; [unrolled: 1-line block ×4, first 2 shown]
	v_cmp_ne_u16_sdwa s[8:9], v22, v53 src0_sel:BYTE_0 src1_sel:DWORD
	v_mfma_f32_16x16x16bf16_1k v[42:45], v[60:61], v[18:19], v[42:45]
	v_mfma_f32_16x16x16bf16_1k v[30:33], v[30:31], v[20:21], v[42:45]
	s_and_saveexec_b64 s[2:3], s[8:9]
	s_cbranch_execz .LBB875_307
; %bb.302:
	s_movk_i32 s8, 0x80
	v_cmp_ne_u16_sdwa s[10:11], v22, s8 src0_sel:BYTE_0 src1_sel:DWORD
	v_mov_b32_e32 v53, 0xffff8000
	s_and_saveexec_b64 s[8:9], s[10:11]
	s_cbranch_execz .LBB875_306
; %bb.303:
	s_movk_i32 s10, 0x7f
	s_nop 1
	v_and_b32_e32 v42, 0x7f, v22
	v_cmp_ne_u32_e32 vcc, s10, v42
	v_mov_b32_e32 v53, 0x7f80
	s_and_saveexec_b64 s[10:11], vcc
	s_cbranch_execz .LBB875_305
; %bb.304:
	v_and_b32_e32 v43, 7, v22
	v_ffbh_u32_e32 v44, v43
	v_min_u32_e32 v53, 32, v44
	v_subrev_u32_e32 v44, 28, v53
	v_lshlrev_b64 v[44:45], v44, v[22:23]
	v_lshrrev_b32_e32 v52, 3, v42
	v_sub_u32_e32 v45, 29, v53
	v_and_b32_e32 v44, 7, v44
	v_cmp_gt_u32_e32 vcc, 8, v42
	v_cndmask_b32_e32 v42, v52, v45, vcc
	v_cndmask_b32_e32 v43, v43, v44, vcc
	v_lshlrev_b32_e32 v44, 24, v22
	v_bfrev_b32_e32 v45, 60
	v_lshlrev_b32_e32 v43, 20, v43
	v_and_b32_e32 v44, 0x80000000, v44
	v_lshl_add_u32 v42, v42, 23, v45
	v_or3_b32 v42, v44, v42, v43
	v_lshrrev_b32_e32 v53, 16, v42
.LBB875_305:
	s_or_b64 exec, exec, s[10:11]
.LBB875_306:
	s_or_b64 exec, exec, s[8:9]
.LBB875_307:
	s_or_b64 exec, exec, s[2:3]
	s_nop 6
	v_lshrrev_b16_e32 v42, 8, v22
	v_cmp_ne_u16_e32 vcc, 0, v42
	v_mov_b32_e32 v44, 0
	v_mov_b32_e32 v43, 0
	s_and_saveexec_b64 s[2:3], vcc
	s_cbranch_execz .LBB875_313
; %bb.308:
	s_movk_i32 s8, 0x80
	v_cmp_ne_u16_e32 vcc, s8, v42
	v_mov_b32_e32 v43, 0xffff8000
	s_and_saveexec_b64 s[8:9], vcc
	s_cbranch_execz .LBB875_312
; %bb.309:
	s_movk_i32 s10, 0x7f
	v_and_b32_e32 v45, 0x7f, v42
	v_cmp_ne_u32_e32 vcc, s10, v45
	v_mov_b32_e32 v43, 0x7f80
	s_and_saveexec_b64 s[10:11], vcc
	s_cbranch_execz .LBB875_311
; %bb.310:
	v_and_b32_e32 v52, 7, v42
	v_ffbh_u32_e32 v43, v52
	v_min_u32_e32 v55, 32, v43
	v_subrev_u32_e32 v43, 28, v55
	v_lshlrev_b64 v[42:43], v43, v[42:43]
	v_lshrrev_b32_e32 v54, 3, v45
	v_sub_u32_e32 v43, 29, v55
	v_and_b32_e32 v42, 7, v42
	v_cmp_gt_u32_e32 vcc, 8, v45
	v_cndmask_b32_e32 v43, v54, v43, vcc
	v_cndmask_b32_e32 v42, v52, v42, vcc
	v_lshlrev_b32_e32 v45, 16, v22
	v_bfrev_b32_e32 v52, 60
	v_lshlrev_b32_e32 v42, 20, v42
	v_and_b32_e32 v45, 0x80000000, v45
	v_lshl_add_u32 v43, v43, 23, v52
	v_or3_b32 v42, v45, v43, v42
	v_lshrrev_b32_e32 v43, 16, v42
.LBB875_311:
	s_or_b64 exec, exec, s[10:11]
.LBB875_312:
	s_or_b64 exec, exec, s[8:9]
.LBB875_313:
	s_or_b64 exec, exec, s[2:3]
	s_movk_i32 s2, 0xff
	v_and_b32_sdwa v45, v22, s2 dst_sel:DWORD dst_unused:UNUSED_PAD src0_sel:WORD_1 src1_sel:DWORD
	v_lshrrev_b32_e32 v42, 16, v22
	v_cmp_ne_u16_e32 vcc, 0, v45
	s_and_saveexec_b64 s[2:3], vcc
	s_cbranch_execz .LBB875_319
; %bb.314:
	s_movk_i32 s8, 0x80
	v_cmp_ne_u16_e32 vcc, s8, v45
	v_mov_b32_e32 v44, 0xffff8000
	s_and_saveexec_b64 s[8:9], vcc
	s_cbranch_execz .LBB875_318
; %bb.315:
	v_bfe_u32 v45, v22, 16, 7
	s_movk_i32 s10, 0x7f
	v_cmp_ne_u32_e32 vcc, s10, v45
	v_mov_b32_e32 v44, 0x7f80
	s_and_saveexec_b64 s[10:11], vcc
	s_cbranch_execz .LBB875_317
; %bb.316:
	v_and_b32_e32 v44, 7, v42
	v_ffbh_u32_e32 v54, v44
	v_min_u32_e32 v56, 32, v54
	v_subrev_u32_e32 v54, 28, v56
	v_lshlrev_b64 v[54:55], v54, v[42:43]
	v_lshrrev_b32_e32 v52, 3, v45
	v_sub_u32_e32 v42, 29, v56
	v_and_b32_e32 v54, 7, v54
	v_cmp_gt_u32_e32 vcc, 8, v45
	v_mov_b32_e32 v45, 24
	v_cndmask_b32_e32 v42, v52, v42, vcc
	v_cndmask_b32_e32 v44, v44, v54, vcc
	v_lshlrev_b32_sdwa v45, v45, v22 dst_sel:DWORD dst_unused:UNUSED_PAD src0_sel:DWORD src1_sel:WORD_1
	v_bfrev_b32_e32 v52, 60
	v_lshlrev_b32_e32 v44, 20, v44
	v_and_b32_e32 v45, 0x80000000, v45
	v_lshl_add_u32 v42, v42, 23, v52
	v_or3_b32 v42, v45, v42, v44
	v_lshrrev_b32_e32 v44, 16, v42
.LBB875_317:
	s_or_b64 exec, exec, s[10:11]
.LBB875_318:
	s_or_b64 exec, exec, s[8:9]
.LBB875_319:
	s_or_b64 exec, exec, s[2:3]
	s_mov_b32 s2, 0xffffff
	v_cmp_lt_u32_e32 vcc, s2, v22
	v_mov_b32_e32 v45, 0
	v_mov_b32_e32 v52, 0
	s_and_saveexec_b64 s[2:3], vcc
	s_cbranch_execz .LBB875_325
; %bb.320:
	v_lshrrev_b32_e32 v42, 24, v22
	s_movk_i32 s8, 0x80
	v_cmp_ne_u32_e32 vcc, s8, v42
	v_mov_b32_e32 v52, 0xffff8000
	s_and_saveexec_b64 s[8:9], vcc
	s_cbranch_execz .LBB875_324
; %bb.321:
	v_bfe_u32 v22, v22, 24, 7
	s_movk_i32 s10, 0x7f
	v_cmp_ne_u32_e32 vcc, s10, v22
	v_mov_b32_e32 v52, 0x7f80
	s_and_saveexec_b64 s[10:11], vcc
	s_cbranch_execz .LBB875_323
; %bb.322:
	v_and_b32_e32 v52, 7, v42
	v_ffbh_u32_e32 v54, v52
	v_min_u32_e32 v57, 32, v54
	v_subrev_u32_e32 v54, 28, v57
	v_lshlrev_b64 v[54:55], v54, v[42:43]
	v_lshrrev_b32_e32 v56, 3, v22
	v_sub_u32_e32 v55, 29, v57
	v_and_b32_e32 v54, 7, v54
	v_cmp_gt_u32_e32 vcc, 8, v22
	v_cndmask_b32_e32 v22, v56, v55, vcc
	v_cndmask_b32_e32 v52, v52, v54, vcc
	v_lshlrev_b32_e32 v42, 24, v42
	v_bfrev_b32_e32 v54, 60
	v_lshlrev_b32_e32 v52, 20, v52
	v_and_b32_e32 v42, 0x80000000, v42
	v_lshl_add_u32 v22, v22, 23, v54
	v_or3_b32 v22, v42, v22, v52
	v_lshrrev_b32_e32 v52, 16, v22
.LBB875_323:
	s_or_b64 exec, exec, s[10:11]
.LBB875_324:
	s_or_b64 exec, exec, s[8:9]
.LBB875_325:
	s_or_b64 exec, exec, s[2:3]
	v_cmp_ne_u16_sdwa s[8:9], v23, v45 src0_sel:BYTE_0 src1_sel:DWORD
	s_and_saveexec_b64 s[2:3], s[8:9]
	s_cbranch_execz .LBB875_331
; %bb.326:
	s_movk_i32 s8, 0x80
	v_cmp_ne_u16_sdwa s[10:11], v23, s8 src0_sel:BYTE_0 src1_sel:DWORD
	v_mov_b32_e32 v45, 0xffff8000
	s_and_saveexec_b64 s[8:9], s[10:11]
	s_cbranch_execz .LBB875_330
; %bb.327:
	s_movk_i32 s10, 0x7f
	v_and_b32_e32 v22, 0x7f, v23
	v_cmp_ne_u32_e32 vcc, s10, v22
	v_mov_b32_e32 v45, 0x7f80
	s_and_saveexec_b64 s[10:11], vcc
	s_cbranch_execz .LBB875_329
; %bb.328:
	v_and_b32_e32 v45, 7, v23
	v_ffbh_u32_e32 v54, v45
	v_min_u32_e32 v57, 32, v54
	v_mov_b32_e32 v42, v23
	v_subrev_u32_e32 v54, 28, v57
	v_lshlrev_b64 v[54:55], v54, v[42:43]
	v_lshrrev_b32_e32 v56, 3, v22
	v_sub_u32_e32 v42, 29, v57
	v_and_b32_e32 v54, 7, v54
	v_cmp_gt_u32_e32 vcc, 8, v22
	v_cndmask_b32_e32 v22, v56, v42, vcc
	v_cndmask_b32_e32 v42, v45, v54, vcc
	v_lshlrev_b32_e32 v45, 24, v23
	v_bfrev_b32_e32 v54, 60
	v_lshlrev_b32_e32 v42, 20, v42
	v_and_b32_e32 v45, 0x80000000, v45
	v_lshl_add_u32 v22, v22, 23, v54
	v_or3_b32 v22, v45, v22, v42
	v_lshrrev_b32_e32 v45, 16, v22
.LBB875_329:
	s_or_b64 exec, exec, s[10:11]
.LBB875_330:
	s_or_b64 exec, exec, s[8:9]
.LBB875_331:
	s_or_b64 exec, exec, s[2:3]
	v_lshrrev_b16_e32 v22, 8, v23
	v_cmp_ne_u16_e32 vcc, 0, v22
	v_mov_b32_e32 v55, 0
	v_mov_b32_e32 v54, 0
	s_and_saveexec_b64 s[2:3], vcc
	s_cbranch_execz .LBB875_337
; %bb.332:
	s_movk_i32 s8, 0x80
	v_cmp_ne_u16_e32 vcc, s8, v22
	v_mov_b32_e32 v54, 0xffff8000
	s_and_saveexec_b64 s[8:9], vcc
	s_cbranch_execz .LBB875_336
; %bb.333:
	s_movk_i32 s10, 0x7f
	v_and_b32_e32 v42, 0x7f, v22
	v_cmp_ne_u32_e32 vcc, s10, v42
	v_mov_b32_e32 v54, 0x7f80
	s_and_saveexec_b64 s[10:11], vcc
	s_cbranch_execz .LBB875_335
; %bb.334:
	v_and_b32_e32 v54, 7, v22
	v_ffbh_u32_e32 v56, v54
	v_min_u32_e32 v59, 32, v56
	v_subrev_u32_e32 v56, 28, v59
	v_lshlrev_b64 v[56:57], v56, v[22:23]
	v_lshrrev_b32_e32 v58, 3, v42
	v_sub_u32_e32 v22, 29, v59
	v_and_b32_e32 v56, 7, v56
	v_cmp_gt_u32_e32 vcc, 8, v42
	v_cndmask_b32_e32 v22, v58, v22, vcc
	v_cndmask_b32_e32 v42, v54, v56, vcc
	v_lshlrev_b32_e32 v54, 16, v23
	v_bfrev_b32_e32 v56, 60
	v_lshlrev_b32_e32 v42, 20, v42
	v_and_b32_e32 v54, 0x80000000, v54
	v_lshl_add_u32 v22, v22, 23, v56
	v_or3_b32 v22, v54, v22, v42
	v_lshrrev_b32_e32 v54, 16, v22
.LBB875_335:
	s_or_b64 exec, exec, s[10:11]
.LBB875_336:
	s_or_b64 exec, exec, s[8:9]
.LBB875_337:
	s_or_b64 exec, exec, s[2:3]
	s_movk_i32 s2, 0xff
	v_and_b32_sdwa v42, v23, s2 dst_sel:DWORD dst_unused:UNUSED_PAD src0_sel:WORD_1 src1_sel:DWORD
	v_lshrrev_b32_e32 v22, 16, v23
	v_cmp_ne_u16_e32 vcc, 0, v42
	s_and_saveexec_b64 s[2:3], vcc
	s_cbranch_execz .LBB875_343
; %bb.338:
	s_movk_i32 s8, 0x80
	v_cmp_ne_u16_e32 vcc, s8, v42
	v_mov_b32_e32 v55, 0xffff8000
	s_and_saveexec_b64 s[8:9], vcc
	s_cbranch_execz .LBB875_342
; %bb.339:
	v_bfe_u32 v42, v23, 16, 7
	s_movk_i32 s10, 0x7f
	v_cmp_ne_u32_e32 vcc, s10, v42
	v_mov_b32_e32 v55, 0x7f80
	s_and_saveexec_b64 s[10:11], vcc
	s_cbranch_execz .LBB875_341
; %bb.340:
	v_and_b32_e32 v55, 7, v22
	v_ffbh_u32_e32 v56, v55
	v_min_u32_e32 v59, 32, v56
	v_subrev_u32_e32 v56, 28, v59
	v_lshlrev_b64 v[56:57], v56, v[22:23]
	v_and_b32_e32 v56, 7, v56
	v_cmp_gt_u32_e32 vcc, 8, v42
	v_lshrrev_b32_e32 v58, 3, v42
	v_sub_u32_e32 v22, 29, v59
	v_cndmask_b32_e32 v42, v55, v56, vcc
	v_mov_b32_e32 v55, 24
	v_cndmask_b32_e32 v22, v58, v22, vcc
	v_lshlrev_b32_sdwa v55, v55, v23 dst_sel:DWORD dst_unused:UNUSED_PAD src0_sel:DWORD src1_sel:WORD_1
	v_bfrev_b32_e32 v56, 60
	v_lshlrev_b32_e32 v42, 20, v42
	v_and_b32_e32 v55, 0x80000000, v55
	v_lshl_add_u32 v22, v22, 23, v56
	v_or3_b32 v22, v55, v22, v42
	v_lshrrev_b32_e32 v55, 16, v22
.LBB875_341:
	s_or_b64 exec, exec, s[10:11]
.LBB875_342:
	s_or_b64 exec, exec, s[8:9]
.LBB875_343:
	s_or_b64 exec, exec, s[2:3]
	s_mov_b32 s2, 0xffffff
	v_cmp_lt_u32_e32 vcc, s2, v23
	v_mov_b32_e32 v42, 0
	v_mov_b32_e32 v56, 0
	s_and_saveexec_b64 s[2:3], vcc
	s_cbranch_execz .LBB875_349
; %bb.344:
	v_lshrrev_b32_e32 v22, 24, v23
	s_movk_i32 s8, 0x80
	v_cmp_ne_u32_e32 vcc, s8, v22
	v_mov_b32_e32 v56, 0xffff8000
	s_and_saveexec_b64 s[8:9], vcc
	s_cbranch_execz .LBB875_348
; %bb.345:
	v_bfe_u32 v23, v23, 24, 7
	s_movk_i32 s10, 0x7f
	v_cmp_ne_u32_e32 vcc, s10, v23
	v_mov_b32_e32 v56, 0x7f80
	s_and_saveexec_b64 s[10:11], vcc
	s_cbranch_execz .LBB875_347
; %bb.346:
	v_and_b32_e32 v58, 7, v22
	v_ffbh_u32_e32 v56, v58
	v_min_u32_e32 v60, 32, v56
	v_subrev_u32_e32 v56, 28, v60
	v_lshlrev_b64 v[56:57], v56, v[22:23]
	v_lshrrev_b32_e32 v59, 3, v23
	v_sub_u32_e32 v57, 29, v60
	v_and_b32_e32 v56, 7, v56
	v_cmp_gt_u32_e32 vcc, 8, v23
	v_cndmask_b32_e32 v23, v59, v57, vcc
	v_cndmask_b32_e32 v56, v58, v56, vcc
	v_lshlrev_b32_e32 v22, 24, v22
	v_bfrev_b32_e32 v57, 60
	v_lshlrev_b32_e32 v56, 20, v56
	v_and_b32_e32 v22, 0x80000000, v22
	v_lshl_add_u32 v23, v23, 23, v57
	v_or3_b32 v22, v22, v23, v56
	v_lshrrev_b32_e32 v56, 16, v22
.LBB875_347:
	s_or_b64 exec, exec, s[10:11]
.LBB875_348:
	s_or_b64 exec, exec, s[8:9]
.LBB875_349:
	s_or_b64 exec, exec, s[2:3]
	s_mov_b32 s2, 0x5040100
	v_perm_b32 v23, v52, v44, s2
	v_perm_b32 v22, v43, v53, s2
	v_cmp_ne_u16_sdwa s[8:9], v24, v42 src0_sel:BYTE_0 src1_sel:DWORD
	s_nop 0
	v_mfma_f32_16x16x16bf16_1k v[58:61], v[22:23], v[26:27], 0
	v_perm_b32 v23, v56, v55, s2
	v_perm_b32 v22, v54, v45, s2
	s_nop 1
	v_mfma_f32_16x16x16bf16_1k v[26:29], v[22:23], v[28:29], v[58:61]
	s_and_saveexec_b64 s[2:3], s[8:9]
	s_cbranch_execz .LBB875_355
; %bb.350:
	s_movk_i32 s8, 0x80
	v_cmp_ne_u16_sdwa s[10:11], v24, s8 src0_sel:BYTE_0 src1_sel:DWORD
	v_mov_b32_e32 v42, 0xffff8000
	s_and_saveexec_b64 s[8:9], s[10:11]
	s_cbranch_execz .LBB875_354
; %bb.351:
	s_movk_i32 s10, 0x7f
	v_and_b32_e32 v22, 0x7f, v24
	v_cmp_ne_u32_e32 vcc, s10, v22
	v_mov_b32_e32 v42, 0x7f80
	s_and_saveexec_b64 s[10:11], vcc
	s_cbranch_execz .LBB875_353
; %bb.352:
	v_and_b32_e32 v23, 7, v24
	v_ffbh_u32_e32 v42, v23
	v_min_u32_e32 v45, 32, v42
	v_subrev_u32_e32 v42, 28, v45
	v_lshlrev_b64 v[42:43], v42, v[24:25]
	v_lshrrev_b32_e32 v44, 3, v22
	v_sub_u32_e32 v43, 29, v45
	v_and_b32_e32 v42, 7, v42
	v_cmp_gt_u32_e32 vcc, 8, v22
	v_cndmask_b32_e32 v22, v44, v43, vcc
	v_cndmask_b32_e32 v23, v23, v42, vcc
	v_lshlrev_b32_e32 v42, 24, v24
	v_bfrev_b32_e32 v43, 60
	v_lshlrev_b32_e32 v23, 20, v23
	v_and_b32_e32 v42, 0x80000000, v42
	v_lshl_add_u32 v22, v22, 23, v43
	v_or3_b32 v22, v42, v22, v23
	v_lshrrev_b32_e32 v42, 16, v22
.LBB875_353:
	s_or_b64 exec, exec, s[10:11]
.LBB875_354:
	s_or_b64 exec, exec, s[8:9]
.LBB875_355:
	s_or_b64 exec, exec, s[2:3]
	v_lshrrev_b16_e32 v22, 8, v24
	v_cmp_ne_u16_e32 vcc, 0, v22
	v_mov_b32_e32 v43, 0
	v_mov_b32_e32 v23, 0
	s_and_saveexec_b64 s[2:3], vcc
	s_cbranch_execz .LBB875_361
; %bb.356:
	s_movk_i32 s8, 0x80
	v_cmp_ne_u16_e32 vcc, s8, v22
	v_mov_b32_e32 v23, 0xffff8000
	s_and_saveexec_b64 s[8:9], vcc
	s_cbranch_execz .LBB875_360
; %bb.357:
	s_movk_i32 s10, 0x7f
	v_and_b32_e32 v44, 0x7f, v22
	v_cmp_ne_u32_e32 vcc, s10, v44
	v_mov_b32_e32 v23, 0x7f80
	s_and_saveexec_b64 s[10:11], vcc
	s_cbranch_execz .LBB875_359
; %bb.358:
	v_and_b32_e32 v45, 7, v22
	v_ffbh_u32_e32 v23, v45
	v_min_u32_e32 v53, 32, v23
	v_subrev_u32_e32 v23, 28, v53
	v_lshlrev_b64 v[22:23], v23, v[22:23]
	v_lshrrev_b32_e32 v52, 3, v44
	v_sub_u32_e32 v23, 29, v53
	v_and_b32_e32 v22, 7, v22
	v_cmp_gt_u32_e32 vcc, 8, v44
	v_cndmask_b32_e32 v23, v52, v23, vcc
	v_cndmask_b32_e32 v22, v45, v22, vcc
	v_lshlrev_b32_e32 v44, 16, v24
	v_bfrev_b32_e32 v45, 60
	v_lshlrev_b32_e32 v22, 20, v22
	v_and_b32_e32 v44, 0x80000000, v44
	v_lshl_add_u32 v23, v23, 23, v45
	v_or3_b32 v22, v44, v23, v22
	v_lshrrev_b32_e32 v23, 16, v22
.LBB875_359:
	s_or_b64 exec, exec, s[10:11]
.LBB875_360:
	s_or_b64 exec, exec, s[8:9]
.LBB875_361:
	s_or_b64 exec, exec, s[2:3]
	s_movk_i32 s2, 0xff
	v_and_b32_sdwa v44, v24, s2 dst_sel:DWORD dst_unused:UNUSED_PAD src0_sel:WORD_1 src1_sel:DWORD
	v_lshrrev_b32_e32 v22, 16, v24
	v_cmp_ne_u16_e32 vcc, 0, v44
	s_and_saveexec_b64 s[2:3], vcc
	s_cbranch_execz .LBB875_367
; %bb.362:
	s_movk_i32 s8, 0x80
	v_cmp_ne_u16_e32 vcc, s8, v44
	v_mov_b32_e32 v43, 0xffff8000
	s_and_saveexec_b64 s[8:9], vcc
	s_cbranch_execz .LBB875_366
; %bb.363:
	v_bfe_u32 v44, v24, 16, 7
	s_movk_i32 s10, 0x7f
	v_cmp_ne_u32_e32 vcc, s10, v44
	v_mov_b32_e32 v43, 0x7f80
	s_and_saveexec_b64 s[10:11], vcc
	s_cbranch_execz .LBB875_365
; %bb.364:
	v_and_b32_e32 v43, 7, v22
	v_ffbh_u32_e32 v52, v43
	v_min_u32_e32 v54, 32, v52
	v_subrev_u32_e32 v52, 28, v54
	v_lshlrev_b64 v[52:53], v52, v[22:23]
	v_lshrrev_b32_e32 v45, 3, v44
	v_sub_u32_e32 v22, 29, v54
	v_and_b32_e32 v52, 7, v52
	v_cmp_gt_u32_e32 vcc, 8, v44
	v_mov_b32_e32 v44, 24
	v_cndmask_b32_e32 v22, v45, v22, vcc
	v_cndmask_b32_e32 v43, v43, v52, vcc
	v_lshlrev_b32_sdwa v44, v44, v24 dst_sel:DWORD dst_unused:UNUSED_PAD src0_sel:DWORD src1_sel:WORD_1
	v_bfrev_b32_e32 v45, 60
	v_lshlrev_b32_e32 v43, 20, v43
	v_and_b32_e32 v44, 0x80000000, v44
	v_lshl_add_u32 v22, v22, 23, v45
	v_or3_b32 v22, v44, v22, v43
	v_lshrrev_b32_e32 v43, 16, v22
.LBB875_365:
	s_or_b64 exec, exec, s[10:11]
.LBB875_366:
	s_or_b64 exec, exec, s[8:9]
.LBB875_367:
	s_or_b64 exec, exec, s[2:3]
	s_mov_b32 s2, 0xffffff
	v_cmp_lt_u32_e32 vcc, s2, v24
	v_mov_b32_e32 v45, 0
	v_mov_b32_e32 v52, 0
	s_and_saveexec_b64 s[2:3], vcc
	s_cbranch_execz .LBB875_373
; %bb.368:
	v_lshrrev_b32_e32 v22, 24, v24
	s_movk_i32 s8, 0x80
	v_cmp_ne_u32_e32 vcc, s8, v22
	v_mov_b32_e32 v52, 0xffff8000
	s_and_saveexec_b64 s[8:9], vcc
	s_cbranch_execz .LBB875_372
; %bb.369:
	v_bfe_u32 v24, v24, 24, 7
	s_movk_i32 s10, 0x7f
	v_cmp_ne_u32_e32 vcc, s10, v24
	v_mov_b32_e32 v52, 0x7f80
	s_and_saveexec_b64 s[10:11], vcc
	s_cbranch_execz .LBB875_371
; %bb.370:
	v_and_b32_e32 v44, 7, v22
	v_ffbh_u32_e32 v52, v44
	v_min_u32_e32 v55, 32, v52
	v_subrev_u32_e32 v52, 28, v55
	v_lshlrev_b64 v[52:53], v52, v[22:23]
	v_lshrrev_b32_e32 v54, 3, v24
	v_sub_u32_e32 v53, 29, v55
	v_and_b32_e32 v52, 7, v52
	v_cmp_gt_u32_e32 vcc, 8, v24
	v_cndmask_b32_e32 v24, v54, v53, vcc
	v_cndmask_b32_e32 v44, v44, v52, vcc
	v_lshlrev_b32_e32 v22, 24, v22
	v_bfrev_b32_e32 v52, 60
	v_lshlrev_b32_e32 v44, 20, v44
	v_and_b32_e32 v22, 0x80000000, v22
	v_lshl_add_u32 v24, v24, 23, v52
	v_or3_b32 v22, v22, v24, v44
	v_lshrrev_b32_e32 v52, 16, v22
.LBB875_371:
	s_or_b64 exec, exec, s[10:11]
.LBB875_372:
	s_or_b64 exec, exec, s[8:9]
.LBB875_373:
	s_or_b64 exec, exec, s[2:3]
	v_cmp_ne_u16_sdwa s[8:9], v25, v45 src0_sel:BYTE_0 src1_sel:DWORD
	s_and_saveexec_b64 s[2:3], s[8:9]
	s_cbranch_execz .LBB875_379
; %bb.374:
	s_movk_i32 s8, 0x80
	v_cmp_ne_u16_sdwa s[10:11], v25, s8 src0_sel:BYTE_0 src1_sel:DWORD
	v_mov_b32_e32 v45, 0xffff8000
	s_and_saveexec_b64 s[8:9], s[10:11]
	s_cbranch_execz .LBB875_378
; %bb.375:
	s_movk_i32 s10, 0x7f
	v_and_b32_e32 v22, 0x7f, v25
	v_cmp_ne_u32_e32 vcc, s10, v22
	v_mov_b32_e32 v45, 0x7f80
	s_and_saveexec_b64 s[10:11], vcc
	s_cbranch_execz .LBB875_377
; %bb.376:
	v_and_b32_e32 v53, 7, v25
	v_ffbh_u32_e32 v44, v53
	v_min_u32_e32 v55, 32, v44
	v_mov_b32_e32 v24, v25
	v_subrev_u32_e32 v44, 28, v55
	v_lshlrev_b64 v[44:45], v44, v[24:25]
	v_lshrrev_b32_e32 v54, 3, v22
	v_sub_u32_e32 v24, 29, v55
	v_and_b32_e32 v44, 7, v44
	v_cmp_gt_u32_e32 vcc, 8, v22
	v_cndmask_b32_e32 v22, v54, v24, vcc
	v_cndmask_b32_e32 v24, v53, v44, vcc
	v_lshlrev_b32_e32 v44, 24, v25
	v_bfrev_b32_e32 v45, 60
	v_lshlrev_b32_e32 v24, 20, v24
	v_and_b32_e32 v44, 0x80000000, v44
	v_lshl_add_u32 v22, v22, 23, v45
	v_or3_b32 v22, v44, v22, v24
	v_lshrrev_b32_e32 v45, 16, v22
.LBB875_377:
	s_or_b64 exec, exec, s[10:11]
.LBB875_378:
	s_or_b64 exec, exec, s[8:9]
.LBB875_379:
	s_or_b64 exec, exec, s[2:3]
	v_lshrrev_b16_e32 v22, 8, v25
	v_cmp_ne_u16_e32 vcc, 0, v22
	v_mov_b32_e32 v54, 0
	v_mov_b32_e32 v53, 0
	s_and_saveexec_b64 s[2:3], vcc
	s_cbranch_execz .LBB875_385
; %bb.380:
	s_movk_i32 s8, 0x80
	v_cmp_ne_u16_e32 vcc, s8, v22
	v_mov_b32_e32 v53, 0xffff8000
	s_and_saveexec_b64 s[8:9], vcc
	s_cbranch_execz .LBB875_384
; %bb.381:
	s_movk_i32 s10, 0x7f
	v_and_b32_e32 v24, 0x7f, v22
	v_cmp_ne_u32_e32 vcc, s10, v24
	v_mov_b32_e32 v53, 0x7f80
	s_and_saveexec_b64 s[10:11], vcc
	s_cbranch_execz .LBB875_383
; %bb.382:
	v_and_b32_e32 v44, 7, v22
	v_ffbh_u32_e32 v55, v44
	v_min_u32_e32 v55, 32, v55
	v_subrev_u32_e32 v56, 28, v55
	v_lshlrev_b64 v[56:57], v56, v[22:23]
	v_lshrrev_b32_e32 v53, 3, v24
	v_sub_u32_e32 v22, 29, v55
	v_and_b32_e32 v55, 7, v56
	v_cmp_gt_u32_e32 vcc, 8, v24
	v_cndmask_b32_e32 v22, v53, v22, vcc
	v_cndmask_b32_e32 v24, v44, v55, vcc
	v_lshlrev_b32_e32 v44, 16, v25
	v_bfrev_b32_e32 v53, 60
	v_lshlrev_b32_e32 v24, 20, v24
	v_and_b32_e32 v44, 0x80000000, v44
	v_lshl_add_u32 v22, v22, 23, v53
	v_or3_b32 v22, v44, v22, v24
	v_lshrrev_b32_e32 v53, 16, v22
.LBB875_383:
	s_or_b64 exec, exec, s[10:11]
.LBB875_384:
	s_or_b64 exec, exec, s[8:9]
.LBB875_385:
	s_or_b64 exec, exec, s[2:3]
	s_movk_i32 s2, 0xff
	v_and_b32_sdwa v24, v25, s2 dst_sel:DWORD dst_unused:UNUSED_PAD src0_sel:WORD_1 src1_sel:DWORD
	v_lshrrev_b32_e32 v22, 16, v25
	v_cmp_ne_u16_e32 vcc, 0, v24
	s_and_saveexec_b64 s[2:3], vcc
	s_cbranch_execz .LBB875_391
; %bb.386:
	s_movk_i32 s8, 0x80
	v_cmp_ne_u16_e32 vcc, s8, v24
	v_mov_b32_e32 v54, 0xffff8000
	s_and_saveexec_b64 s[8:9], vcc
	s_cbranch_execz .LBB875_390
; %bb.387:
	v_bfe_u32 v24, v25, 16, 7
	s_movk_i32 s10, 0x7f
	v_cmp_ne_u32_e32 vcc, s10, v24
	v_mov_b32_e32 v54, 0x7f80
	s_and_saveexec_b64 s[10:11], vcc
	s_cbranch_execz .LBB875_389
; %bb.388:
	v_and_b32_e32 v44, 7, v22
	v_ffbh_u32_e32 v54, v44
	v_min_u32_e32 v57, 32, v54
	v_subrev_u32_e32 v54, 28, v57
	v_lshlrev_b64 v[54:55], v54, v[22:23]
	v_and_b32_e32 v54, 7, v54
	v_cmp_gt_u32_e32 vcc, 8, v24
	v_lshrrev_b32_e32 v56, 3, v24
	v_sub_u32_e32 v22, 29, v57
	v_cndmask_b32_e32 v24, v44, v54, vcc
	v_mov_b32_e32 v44, 24
	v_cndmask_b32_e32 v22, v56, v22, vcc
	v_lshlrev_b32_sdwa v44, v44, v25 dst_sel:DWORD dst_unused:UNUSED_PAD src0_sel:DWORD src1_sel:WORD_1
	v_bfrev_b32_e32 v54, 60
	v_lshlrev_b32_e32 v24, 20, v24
	v_and_b32_e32 v44, 0x80000000, v44
	v_lshl_add_u32 v22, v22, 23, v54
	v_or3_b32 v22, v44, v22, v24
	v_lshrrev_b32_e32 v54, 16, v22
.LBB875_389:
	s_or_b64 exec, exec, s[10:11]
.LBB875_390:
	s_or_b64 exec, exec, s[8:9]
.LBB875_391:
	s_or_b64 exec, exec, s[2:3]
	s_mov_b32 s2, 0xffffff
	v_and_b32_e32 v44, 63, v0
	v_cmp_lt_u32_e32 vcc, s2, v25
	v_mov_b32_e32 v55, 0
	s_and_saveexec_b64 s[2:3], vcc
	s_cbranch_execz .LBB875_397
; %bb.392:
	v_lshrrev_b32_e32 v22, 24, v25
	s_movk_i32 s8, 0x80
	v_cmp_ne_u32_e32 vcc, s8, v22
	v_mov_b32_e32 v55, 0xffff8000
	s_and_saveexec_b64 s[8:9], vcc
	s_cbranch_execz .LBB875_396
; %bb.393:
	v_bfe_u32 v24, v25, 24, 7
	s_movk_i32 s10, 0x7f
	v_cmp_ne_u32_e32 vcc, s10, v24
	v_mov_b32_e32 v55, 0x7f80
	s_and_saveexec_b64 s[10:11], vcc
	s_cbranch_execz .LBB875_395
; %bb.394:
	v_and_b32_e32 v25, 7, v22
	v_ffbh_u32_e32 v56, v25
	v_min_u32_e32 v58, 32, v56
	v_subrev_u32_e32 v56, 28, v58
	v_lshlrev_b64 v[56:57], v56, v[22:23]
	v_lshrrev_b32_e32 v55, 3, v24
	v_sub_u32_e32 v57, 29, v58
	v_and_b32_e32 v56, 7, v56
	v_cmp_gt_u32_e32 vcc, 8, v24
	v_cndmask_b32_e32 v24, v55, v57, vcc
	v_cndmask_b32_e32 v25, v25, v56, vcc
	v_lshlrev_b32_e32 v22, 24, v22
	v_bfrev_b32_e32 v55, 60
	v_lshlrev_b32_e32 v25, 20, v25
	v_and_b32_e32 v22, 0x80000000, v22
	v_lshl_add_u32 v24, v24, 23, v55
	v_or3_b32 v22, v22, v24, v25
	v_lshrrev_b32_e32 v55, 16, v22
.LBB875_395:
	s_or_b64 exec, exec, s[10:11]
.LBB875_396:
	s_or_b64 exec, exec, s[8:9]
.LBB875_397:
	s_or_b64 exec, exec, s[2:3]
	s_mov_b32 s3, 0x5040100
	v_perm_b32 v43, v52, v43, s3
	v_perm_b32 v42, v23, v42, s3
	s_load_dword s2, s[4:5], 0x1c
	s_mov_b32 s46, 0xff7fffff
	s_waitcnt lgkmcnt(0)
	v_mfma_f32_16x16x16bf16_1k v[26:29], v[42:43], v[18:19], v[26:29]
	v_perm_b32 v19, v55, v54, s3
	v_perm_b32 v18, v53, v45, s3
	v_mov_b32_e32 v22, s2
	v_mul_f32_e32 v52, s12, v22
	v_pk_mul_f32 v[22:23], v[52:53], v[32:33] op_sel_hi:[0,1]
	v_pk_mul_f32 v[32:33], v[52:53], v[38:39] op_sel_hi:[0,1]
	v_and_b32_e32 v38, 0xc0, v0
	v_mfma_f32_16x16x16bf16_1k v[26:29], v[18:19], v[20:21], v[26:29]
	v_add_u32_e32 v38, s18, v38
	v_lshl_or_b32 v38, v1, 2, v38
	v_or_b32_e32 v39, 1, v38
	v_pk_mul_f32 v[24:25], v[52:53], v[30:31] op_sel_hi:[0,1]
	v_pk_mul_f32 v[30:31], v[52:53], v[40:41] op_sel_hi:[0,1]
	v_subrev_u32_e32 v40, s33, v39
	v_pk_mul_f32 v[34:35], v[52:53], v[34:35] op_sel_hi:[0,1]
	s_nop 3
	v_pk_mul_f32 v[20:21], v[52:53], v[26:27] op_sel_hi:[0,1]
	v_add_u32_e32 v27, 1, v40
	v_pk_mul_f32 v[18:19], v[52:53], v[28:29] op_sel_hi:[0,1]
	v_cvt_f32_i32_e32 v27, v27
	v_add_u32_e32 v29, 3, v40
	v_cvt_f32_i32_e32 v29, v29
	v_cvt_f32_i32_e32 v26, v40
	v_pk_mul_f32 v[36:37], v[52:53], v[36:37] op_sel_hi:[0,1]
	v_fmac_f32_e32 v35, v51, v27
	v_add_u32_e32 v27, 16, v40
	v_fmac_f32_e32 v37, v51, v29
	v_cvt_f32_i32_e32 v27, v27
	v_add_u32_e32 v29, 17, v40
	v_fma_f32 v26, v51, v26, v34
	v_cvt_f32_i32_e32 v29, v29
	v_add_u32_e32 v34, 18, v40
	v_cvt_f32_i32_e32 v34, v34
	v_fma_f32 v41, v51, v27, v32
	v_add_u32_e32 v27, 32, v40
	v_fmac_f32_e32 v33, v51, v29
	v_cvt_f32_i32_e32 v27, v27
	v_add_u32_e32 v29, 33, v40
	v_add_u32_e32 v32, 34, v40
	v_fma_f32 v30, v51, v34, v30
	v_cvt_f32_i32_e32 v29, v29
	v_cvt_f32_i32_e32 v32, v32
	v_add_u32_e32 v34, 35, v40
	v_cvt_f32_i32_e32 v34, v34
	v_fma_f32 v24, v51, v27, v24
	v_add_u32_e32 v27, 48, v40
	v_fmac_f32_e32 v25, v51, v29
	v_fma_f32 v22, v51, v32, v22
	v_cvt_f32_i32_e32 v27, v27
	v_add_u32_e32 v29, 49, v40
	v_add_u32_e32 v32, 50, v40
	v_fmac_f32_e32 v23, v51, v34
	v_cvt_f32_i32_e32 v29, v29
	v_cvt_f32_i32_e32 v32, v32
	v_add_u32_e32 v34, 51, v40
	v_add_u32_e32 v28, 2, v40
	v_cvt_f32_i32_e32 v34, v34
	v_cvt_f32_i32_e32 v28, v28
	v_fma_f32 v20, v51, v27, v20
	v_mov_b32_e32 v27, 0xff7fffff
	v_cmp_gt_i32_e64 s[26:27], s33, v38
	v_cmp_gt_i32_e64 s[28:29], s33, v39
	v_fmac_f32_e32 v21, v51, v29
	v_fma_f32 v18, v51, v32, v18
	v_cndmask_b32_e64 v29, v27, v26, s[26:27]
	v_cndmask_b32_e64 v32, v27, v35, s[28:29]
	v_fmac_f32_e32 v19, v51, v34
	v_max3_f32 v29, v29, s46, v32
	v_or_b32_e32 v32, 2, v38
	v_or_b32_e32 v34, 3, v38
	v_fma_f32 v28, v51, v28, v36
	v_cmp_gt_i32_e64 s[30:31], s33, v32
	v_cmp_gt_i32_e64 s[34:35], s33, v34
	v_add_u32_e32 v36, 19, v40
	v_cndmask_b32_e64 v32, v27, v28, s[30:31]
	v_cndmask_b32_e64 v34, v27, v37, s[34:35]
	v_cvt_f32_i32_e32 v36, v36
	v_max3_f32 v29, v29, v32, v34
	v_or_b32_e32 v32, 16, v38
	v_or_b32_e32 v34, 17, v38
	v_cmp_gt_i32_e64 s[36:37], s33, v32
	v_cmp_gt_i32_e64 s[38:39], s33, v34
	v_cndmask_b32_e64 v32, v27, v41, s[36:37]
	v_cndmask_b32_e64 v34, v27, v33, s[38:39]
	v_max3_f32 v29, v29, v32, v34
	v_or_b32_e32 v32, 18, v38
	v_or_b32_e32 v34, 19, v38
	v_fmac_f32_e32 v31, v51, v36
	v_cmp_gt_i32_e64 s[20:21], s33, v32
	v_cmp_gt_i32_e64 s[22:23], s33, v34
	v_cndmask_b32_e64 v32, v27, v30, s[20:21]
	v_cndmask_b32_e64 v34, v27, v31, s[22:23]
	v_max3_f32 v29, v29, v32, v34
	v_or_b32_e32 v32, 32, v38
	v_or_b32_e32 v34, 33, v38
	v_cmp_gt_i32_e64 s[16:17], s33, v32
	v_cmp_gt_i32_e64 s[18:19], s33, v34
	v_cndmask_b32_e64 v32, v27, v24, s[16:17]
	v_cndmask_b32_e64 v34, v27, v25, s[18:19]
	v_max3_f32 v29, v29, v32, v34
	v_or_b32_e32 v32, 34, v38
	v_or_b32_e32 v34, 35, v38
	;; [unrolled: 7-line block ×4, first 2 shown]
	v_cmp_gt_i32_e32 vcc, s33, v32
	v_cmp_gt_i32_e64 s[2:3], s33, v34
	v_cndmask_b32_e32 v32, v27, v18, vcc
	v_cndmask_b32_e64 v27, v27, v19, s[2:3]
	v_max3_f32 v27, v29, v32, v27
	v_mbcnt_lo_u32_b32 v29, -1, 0
	v_mbcnt_hi_u32_b32 v29, -1, v29
	v_and_b32_e32 v32, 64, v29
	v_add_u32_e32 v32, 64, v32
	v_xor_b32_e32 v34, 32, v29
	v_cmp_lt_i32_e64 s[40:41], v34, v32
	v_cndmask_b32_e64 v34, v29, v34, s[40:41]
	v_lshlrev_b32_e32 v36, 2, v34
	ds_bpermute_b32 v34, v36, v27
	s_barrier
	s_waitcnt lgkmcnt(0)
	v_max_f32_e32 v34, v34, v34
	v_max_f32_e32 v27, v27, v34
	v_xor_b32_e32 v34, 16, v29
	v_cmp_lt_i32_e64 s[40:41], v34, v32
	v_cndmask_b32_e64 v29, v29, v34, s[40:41]
	v_lshlrev_b32_e32 v38, 2, v29
	ds_bpermute_b32 v29, v38, v27
	s_waitcnt lgkmcnt(0)
	v_max_f32_e32 v29, v29, v29
	v_max_f32_e32 v32, v27, v29
	v_sub_f32_e32 v26, v26, v32
	v_mul_f32_e32 v26, 0x3fb8aa3b, v26
	v_sub_f32_e32 v27, v35, v32
	v_exp_f32_e32 v26, v26
	v_mul_f32_e32 v27, 0x3fb8aa3b, v27
	v_sub_f32_e32 v28, v28, v32
	v_exp_f32_e32 v27, v27
	v_mul_f32_e32 v28, 0x3fb8aa3b, v28
	v_exp_f32_e32 v28, v28
	v_cndmask_b32_e64 v26, 0, v26, s[26:27]
	v_sub_f32_e32 v34, v37, v32
	v_add_f32_e32 v29, 0, v26
	v_cndmask_b32_e64 v27, 0, v27, s[28:29]
	v_mul_f32_e32 v34, 0x3fb8aa3b, v34
	v_exp_f32_e32 v35, v34
	v_add_f32_e32 v29, v29, v27
	v_cndmask_b32_e64 v34, 0, v28, s[30:31]
	v_add_f32_e32 v28, v29, v34
	v_sub_f32_e32 v29, v41, v32
	v_mul_f32_e32 v29, 0x3fb8aa3b, v29
	v_sub_f32_e32 v33, v33, v32
	v_exp_f32_e32 v29, v29
	v_mul_f32_e32 v33, 0x3fb8aa3b, v33
	v_sub_f32_e32 v30, v30, v32
	v_exp_f32_e32 v33, v33
	;; [unrolled: 3-line block ×3, first 2 shown]
	v_mul_f32_e32 v31, 0x3fb8aa3b, v31
	v_sub_f32_e32 v24, v24, v32
	v_cndmask_b32_e64 v35, 0, v35, s[34:35]
	v_exp_f32_e32 v31, v31
	v_mul_f32_e32 v24, 0x3fb8aa3b, v24
	v_sub_f32_e32 v25, v25, v32
	v_add_f32_e32 v37, v28, v35
	v_cndmask_b32_e64 v28, 0, v29, s[36:37]
	v_exp_f32_e32 v24, v24
	v_mul_f32_e32 v25, 0x3fb8aa3b, v25
	v_sub_f32_e32 v22, v22, v32
	v_add_f32_e32 v37, v37, v28
	;; [unrolled: 5-line block ×7, first 2 shown]
	v_cndmask_b32_e64 v22, 0, v22, s[12:13]
	v_exp_f32_e32 v18, v18
	v_mul_f32_e32 v19, 0x3fb8aa3b, v19
	v_add_f32_e32 v33, v33, v22
	v_cndmask_b32_e64 v23, 0, v23, s[14:15]
	v_exp_f32_e32 v19, v19
	v_add_f32_e32 v33, v33, v23
	v_cndmask_b32_e64 v20, 0, v20, s[8:9]
	v_add_f32_e32 v33, v33, v20
	v_cndmask_b32_e64 v21, 0, v21, s[10:11]
	v_add_f32_e32 v33, v33, v21
	v_cndmask_b32_e32 v18, 0, v18, vcc
	v_add_f32_e32 v33, v33, v18
	v_cndmask_b32_e64 v19, 0, v19, s[2:3]
	v_add_f32_e32 v33, v33, v19
	ds_bpermute_b32 v36, v36, v33
	v_cmp_gt_u32_e32 vcc, 16, v44
	s_waitcnt lgkmcnt(0)
	v_add_f32_e32 v36, v33, v36
	ds_bpermute_b32 v37, v38, v36
	v_lshlrev_b32_e32 v33, 2, v49
	s_and_saveexec_b64 s[2:3], vcc
	s_cbranch_execz .LBB875_399
; %bb.398:
	s_waitcnt lgkmcnt(0)
	v_add_f32_e32 v36, v36, v37
	v_lshl_or_b32 v37, v50, 6, v33
	ds_write2st64_b32 v37, v32, v36 offset1:1
.LBB875_399:
	s_or_b64 exec, exec, s[2:3]
	s_waitcnt lgkmcnt(0)
	s_barrier
	ds_read2_b32 v[36:37], v33 offset1:16
	ds_read2_b32 v[38:39], v33 offset0:32 offset1:48
	ds_read2_b32 v[40:41], v33 offset0:64 offset1:80
	s_mul_i32 s12, s45, 14
	s_waitcnt lgkmcnt(2)
	v_max3_f32 v32, v36, s46, v37
	s_waitcnt lgkmcnt(1)
	v_max3_f32 v32, v32, v38, v39
	v_sub_f32_e32 v36, v36, v32
	v_mul_f32_e32 v36, 0x3fb8aa3b, v36
	v_exp_f32_e32 v42, v36
	v_sub_f32_e32 v36, v37, v32
	v_mul_f32_e32 v36, 0x3fb8aa3b, v36
	v_exp_f32_e32 v43, v36
	;; [unrolled: 3-line block ×3, first 2 shown]
	ds_read2_b32 v[36:37], v33 offset0:96 offset1:112
	v_sub_f32_e32 v33, v39, v32
	v_mul_f32_e32 v33, 0x3fb8aa3b, v33
	v_exp_f32_e32 v39, v33
	s_waitcnt lgkmcnt(1)
	v_fma_f32 v33, v42, v40, 0
	v_fmac_f32_e32 v33, v43, v41
	s_waitcnt lgkmcnt(0)
	v_fmac_f32_e32 v33, v38, v36
	v_fmac_f32_e32 v33, v39, v37
	v_add_f32_e32 v36, 0x358637bd, v33
	v_div_scale_f32 v37, s[2:3], v36, v36, 1.0
	v_rcp_f32_e32 v40, v37
	s_movk_i32 s2, 0x7fff
	s_mov_b32 s3, 0x7060302
	v_fma_f32 v41, -v37, v40, 1.0
	v_fmac_f32_e32 v40, v41, v40
	v_div_scale_f32 v41, vcc, 1.0, v36, 1.0
	v_mul_f32_e32 v44, v41, v40
	v_fma_f32 v45, -v37, v44, v41
	v_fmac_f32_e32 v44, v45, v40
	v_fma_f32 v37, -v37, v44, v41
	v_div_fmas_f32 v37, v37, v40, v44
	v_cmp_eq_u32_e32 vcc, 1, v50
	v_div_fixup_f32 v36, v37, v36, 1.0
	v_cndmask_b32_e32 v37, v42, v43, vcc
	v_cmp_eq_u32_e32 vcc, 2, v50
	v_cndmask_b32_e32 v37, v37, v38, vcc
	v_cmp_eq_u32_e32 vcc, 3, v50
	v_cndmask_b32_e32 v37, v37, v39, vcc
	v_mul_f32_e32 v36, v37, v36
	v_pk_mul_f32 v[26:27], v[36:37], v[26:27] op_sel_hi:[0,1]
	v_pk_mul_f32 v[34:35], v[36:37], v[34:35] op_sel_hi:[0,1]
	v_bfe_u32 v37, v27, 16, 1
	v_bfe_u32 v38, v26, 16, 1
	v_add3_u32 v26, v26, v38, s2
	v_add3_u32 v27, v27, v37, s2
	v_perm_b32 v38, v27, v26, s3
	v_bfe_u32 v26, v35, 16, 1
	v_bfe_u32 v27, v34, 16, 1
	v_add3_u32 v27, v34, v27, s2
	v_add3_u32 v26, v35, v26, s2
	v_perm_b32 v39, v26, v27, s3
	v_lshlrev_b32_e32 v26, 3, v1
	v_lshlrev_b32_e32 v27, 11, v50
	v_pk_mul_f32 v[28:29], v[36:37], v[28:29] op_sel_hi:[0,1]
	v_or3_b32 v26, v27, v48, v26
	v_bfe_u32 v27, v29, 16, 1
	v_bfe_u32 v34, v28, 16, 1
	v_pk_mul_f32 v[30:31], v[36:37], v[30:31] op_sel_hi:[0,1]
	v_add3_u32 v28, v28, v34, s2
	v_add3_u32 v27, v29, v27, s2
	v_perm_b32 v28, v27, v28, s3
	v_bfe_u32 v27, v31, 16, 1
	v_bfe_u32 v29, v30, 16, 1
	v_add3_u32 v29, v30, v29, s2
	v_add3_u32 v27, v31, v27, s2
	v_perm_b32 v29, v27, v29, s3
	v_pk_mul_f32 v[24:25], v[36:37], v[24:25] op_sel_hi:[0,1]
	s_barrier
	ds_write2st64_b64 v26, v[38:39], v[28:29] offset1:1
	v_bfe_u32 v27, v25, 16, 1
	v_bfe_u32 v28, v24, 16, 1
	v_pk_mul_f32 v[22:23], v[36:37], v[22:23] op_sel_hi:[0,1]
	v_add3_u32 v24, v24, v28, s2
	v_add3_u32 v25, v25, v27, s2
	v_perm_b32 v24, v25, v24, s3
	v_bfe_u32 v25, v23, 16, 1
	v_bfe_u32 v27, v22, 16, 1
	v_add3_u32 v22, v22, v27, s2
	v_add3_u32 v23, v23, v25, s2
	v_pk_mul_f32 v[20:21], v[36:37], v[20:21] op_sel_hi:[0,1]
	v_perm_b32 v25, v23, v22, s3
	v_bfe_u32 v22, v21, 16, 1
	v_bfe_u32 v23, v20, 16, 1
	v_pk_mul_f32 v[18:19], v[36:37], v[18:19] op_sel_hi:[0,1]
	v_add3_u32 v20, v20, v23, s2
	v_add3_u32 v21, v21, v22, s2
	v_perm_b32 v20, v21, v20, s3
	v_bfe_u32 v21, v19, 16, 1
	v_bfe_u32 v22, v18, 16, 1
	v_add3_u32 v18, v18, v22, s2
	v_add3_u32 v19, v19, v21, s2
	v_perm_b32 v21, v19, v18, s3
	v_cmp_gt_u32_e32 vcc, 14, v0
	ds_write2st64_b64 v26, v[24:25], v[20:21] offset0:2 offset1:3
	s_and_saveexec_b64 s[2:3], vcc
	s_cbranch_execz .LBB875_401
; %bb.400:
	v_add_co_u32_e32 v20, vcc, s25, v49
	v_addc_co_u32_e64 v21, s[14:15], 0, 0, vcc
	v_mov_b32_e32 v18, s12
	v_mov_b32_e32 v19, 0
	v_mad_u64_u32 v[20:21], s[14:15], s6, v18, v[20:21]
	v_mov_b32_e32 v18, s24
	s_load_dwordx4 s[8:11], s[4:5], 0x58
	s_mul_i32 s7, s7, s12
	v_mad_u64_u32 v[18:19], s[14:15], v20, s44, v[18:19]
	v_add_u32_e32 v21, s7, v21
	v_mov_b32_e32 v20, v19
	v_mad_u64_u32 v[20:21], s[14:15], v21, s44, v[20:21]
	v_mov_b32_e32 v19, v20
	v_lshlrev_b64 v[18:19], 2, v[18:19]
	s_waitcnt lgkmcnt(0)
	v_mov_b32_e32 v21, s11
	v_add_co_u32_e32 v20, vcc, s10, v18
	v_addc_co_u32_e32 v21, vcc, v21, v19, vcc
	global_store_dword v[20:21], v32, off
	v_mov_b32_e32 v20, s9
	v_add_co_u32_e32 v18, vcc, s8, v18
	v_addc_co_u32_e32 v19, vcc, v20, v19, vcc
	global_store_dword v[18:19], v33, off
.LBB875_401:
	s_or_b64 exec, exec, s[2:3]
	v_mov_b32_e32 v19, 0
	s_waitcnt vmcnt(3)
	v_cmp_ne_u16_sdwa s[8:9], v14, v19 src0_sel:BYTE_0 src1_sel:DWORD
	v_mov_b32_e32 v20, 0
	s_waitcnt lgkmcnt(0)
	s_barrier
	s_and_saveexec_b64 s[2:3], s[8:9]
	s_cbranch_execz .LBB875_407
; %bb.402:
	s_movk_i32 s7, 0x80
	v_cmp_ne_u16_sdwa s[10:11], v14, s7 src0_sel:BYTE_0 src1_sel:DWORD
	v_mov_b32_e32 v20, 0xffff8000
	s_and_saveexec_b64 s[8:9], s[10:11]
	s_cbranch_execz .LBB875_406
; %bb.403:
	s_movk_i32 s7, 0x7f
	v_and_b32_e32 v18, 0x7f, v14
	v_cmp_ne_u32_e32 vcc, s7, v18
	v_mov_b32_e32 v20, 0x7f80
	s_and_saveexec_b64 s[10:11], vcc
	s_cbranch_execz .LBB875_405
; %bb.404:
	v_and_b32_e32 v22, 7, v14
	v_ffbh_u32_e32 v20, v22
	v_min_u32_e32 v24, 32, v20
	v_subrev_u32_e32 v20, 28, v24
	v_lshlrev_b64 v[20:21], v20, v[14:15]
	v_lshrrev_b32_e32 v23, 3, v18
	v_sub_u32_e32 v21, 29, v24
	v_and_b32_e32 v20, 7, v20
	v_cmp_gt_u32_e32 vcc, 8, v18
	v_cndmask_b32_e32 v18, v23, v21, vcc
	v_cndmask_b32_e32 v20, v22, v20, vcc
	v_lshlrev_b32_e32 v21, 24, v14
	v_bfrev_b32_e32 v22, 60
	v_lshlrev_b32_e32 v20, 20, v20
	v_and_b32_e32 v21, 0x80000000, v21
	v_lshl_add_u32 v18, v18, 23, v22
	v_or3_b32 v18, v21, v18, v20
	v_lshrrev_b32_e32 v20, 16, v18
.LBB875_405:
	s_or_b64 exec, exec, s[10:11]
.LBB875_406:
	s_or_b64 exec, exec, s[8:9]
.LBB875_407:
	s_or_b64 exec, exec, s[2:3]
	v_lshrrev_b16_e32 v18, 8, v14
	v_cmp_ne_u16_e32 vcc, 0, v18
	s_and_saveexec_b64 s[2:3], vcc
	s_cbranch_execz .LBB875_413
; %bb.408:
	s_movk_i32 s7, 0x80
	v_cmp_ne_u16_e32 vcc, s7, v18
	v_mov_b32_e32 v19, 0xffff8000
	s_and_saveexec_b64 s[8:9], vcc
	s_cbranch_execz .LBB875_412
; %bb.409:
	s_movk_i32 s7, 0x7f
	v_and_b32_e32 v21, 0x7f, v18
	v_cmp_ne_u32_e32 vcc, s7, v21
	v_mov_b32_e32 v19, 0x7f80
	s_and_saveexec_b64 s[10:11], vcc
	s_cbranch_execz .LBB875_411
; %bb.410:
	v_and_b32_e32 v22, 7, v18
	v_ffbh_u32_e32 v19, v22
	v_min_u32_e32 v24, 32, v19
	v_subrev_u32_e32 v19, 28, v24
	v_lshlrev_b64 v[18:19], v19, v[18:19]
	v_lshrrev_b32_e32 v23, 3, v21
	v_sub_u32_e32 v19, 29, v24
	v_and_b32_e32 v18, 7, v18
	v_cmp_gt_u32_e32 vcc, 8, v21
	v_cndmask_b32_e32 v19, v23, v19, vcc
	v_cndmask_b32_e32 v18, v22, v18, vcc
	v_lshlrev_b32_e32 v21, 16, v14
	v_bfrev_b32_e32 v22, 60
	v_lshlrev_b32_e32 v18, 20, v18
	v_and_b32_e32 v21, 0x80000000, v21
	v_lshl_add_u32 v19, v19, 23, v22
	v_or3_b32 v18, v21, v19, v18
	v_lshrrev_b32_e32 v19, 16, v18
.LBB875_411:
	s_or_b64 exec, exec, s[10:11]
.LBB875_412:
	s_or_b64 exec, exec, s[8:9]
.LBB875_413:
	s_or_b64 exec, exec, s[2:3]
	s_movk_i32 s2, 0xff
	v_and_b32_sdwa v23, v14, s2 dst_sel:DWORD dst_unused:UNUSED_PAD src0_sel:WORD_1 src1_sel:DWORD
	v_lshrrev_b32_e32 v18, 16, v14
	v_cmp_ne_u16_e32 vcc, 0, v23
	v_mov_b32_e32 v21, 0
	v_mov_b32_e32 v22, 0
	s_and_saveexec_b64 s[2:3], vcc
	s_cbranch_execz .LBB875_419
; %bb.414:
	s_movk_i32 s7, 0x80
	v_cmp_ne_u16_e32 vcc, s7, v23
	v_mov_b32_e32 v22, 0xffff8000
	s_and_saveexec_b64 s[8:9], vcc
	s_cbranch_execz .LBB875_418
; %bb.415:
	v_bfe_u32 v23, v14, 16, 7
	s_movk_i32 s7, 0x7f
	v_cmp_ne_u32_e32 vcc, s7, v23
	v_mov_b32_e32 v22, 0x7f80
	s_and_saveexec_b64 s[10:11], vcc
	s_cbranch_execz .LBB875_417
; %bb.416:
	v_and_b32_e32 v22, 7, v18
	v_ffbh_u32_e32 v24, v22
	v_min_u32_e32 v28, 32, v24
	v_subrev_u32_e32 v24, 28, v28
	v_lshlrev_b64 v[24:25], v24, v[18:19]
	v_lshrrev_b32_e32 v27, 3, v23
	v_sub_u32_e32 v18, 29, v28
	v_and_b32_e32 v24, 7, v24
	v_cmp_gt_u32_e32 vcc, 8, v23
	v_mov_b32_e32 v23, 24
	v_cndmask_b32_e32 v18, v27, v18, vcc
	v_cndmask_b32_e32 v22, v22, v24, vcc
	v_lshlrev_b32_sdwa v23, v23, v14 dst_sel:DWORD dst_unused:UNUSED_PAD src0_sel:DWORD src1_sel:WORD_1
	v_bfrev_b32_e32 v24, 60
	v_lshlrev_b32_e32 v22, 20, v22
	v_and_b32_e32 v23, 0x80000000, v23
	v_lshl_add_u32 v18, v18, 23, v24
	v_or3_b32 v18, v23, v18, v22
	v_lshrrev_b32_e32 v22, 16, v18
.LBB875_417:
	s_or_b64 exec, exec, s[10:11]
.LBB875_418:
	s_or_b64 exec, exec, s[8:9]
.LBB875_419:
	s_or_b64 exec, exec, s[2:3]
	s_mov_b32 s2, 0xffffff
	v_cmp_lt_u32_e32 vcc, s2, v14
	s_and_saveexec_b64 s[2:3], vcc
	s_cbranch_execz .LBB875_425
; %bb.420:
	v_lshrrev_b32_e32 v18, 24, v14
	s_movk_i32 s7, 0x80
	v_cmp_ne_u32_e32 vcc, s7, v18
	v_mov_b32_e32 v21, 0xffff8000
	s_and_saveexec_b64 s[8:9], vcc
	s_cbranch_execz .LBB875_424
; %bb.421:
	v_bfe_u32 v14, v14, 24, 7
	s_movk_i32 s7, 0x7f
	v_cmp_ne_u32_e32 vcc, s7, v14
	v_mov_b32_e32 v21, 0x7f80
	s_and_saveexec_b64 s[10:11], vcc
	s_cbranch_execz .LBB875_423
; %bb.422:
	v_and_b32_e32 v21, 7, v18
	v_ffbh_u32_e32 v24, v21
	v_min_u32_e32 v27, 32, v24
	v_subrev_u32_e32 v24, 28, v27
	v_lshlrev_b64 v[24:25], v24, v[18:19]
	v_lshrrev_b32_e32 v23, 3, v14
	v_sub_u32_e32 v25, 29, v27
	v_and_b32_e32 v24, 7, v24
	v_cmp_gt_u32_e32 vcc, 8, v14
	v_cndmask_b32_e32 v14, v23, v25, vcc
	v_cndmask_b32_e32 v21, v21, v24, vcc
	v_lshlrev_b32_e32 v18, 24, v18
	v_bfrev_b32_e32 v23, 60
	v_lshlrev_b32_e32 v21, 20, v21
	v_and_b32_e32 v18, 0x80000000, v18
	v_lshl_add_u32 v14, v14, 23, v23
	v_or3_b32 v14, v18, v14, v21
	v_lshrrev_b32_e32 v21, 16, v14
.LBB875_423:
	s_or_b64 exec, exec, s[10:11]
.LBB875_424:
	s_or_b64 exec, exec, s[8:9]
.LBB875_425:
	s_or_b64 exec, exec, s[2:3]
	v_mov_b32_e32 v18, 0
	v_cmp_ne_u16_sdwa s[8:9], v15, v18 src0_sel:BYTE_0 src1_sel:DWORD
	v_mov_b32_e32 v23, 0
	s_and_saveexec_b64 s[2:3], s[8:9]
	s_cbranch_execz .LBB875_431
; %bb.426:
	s_movk_i32 s7, 0x80
	v_cmp_ne_u16_sdwa s[10:11], v15, s7 src0_sel:BYTE_0 src1_sel:DWORD
	v_mov_b32_e32 v23, 0xffff8000
	s_and_saveexec_b64 s[8:9], s[10:11]
	s_cbranch_execz .LBB875_430
; %bb.427:
	s_movk_i32 s7, 0x7f
	v_and_b32_e32 v14, 0x7f, v15
	v_cmp_ne_u32_e32 vcc, s7, v14
	v_mov_b32_e32 v23, 0x7f80
	s_and_saveexec_b64 s[10:11], vcc
	s_cbranch_execz .LBB875_429
; %bb.428:
	v_and_b32_e32 v23, 7, v15
	v_ffbh_u32_e32 v25, v23
	v_min_u32_e32 v28, 32, v25
	v_mov_b32_e32 v24, v15
	v_subrev_u32_e32 v25, 28, v28
	v_lshlrev_b64 v[24:25], v25, v[24:25]
	v_lshrrev_b32_e32 v27, 3, v14
	v_sub_u32_e32 v25, 29, v28
	v_and_b32_e32 v24, 7, v24
	v_cmp_gt_u32_e32 vcc, 8, v14
	v_cndmask_b32_e32 v14, v27, v25, vcc
	v_cndmask_b32_e32 v23, v23, v24, vcc
	v_lshlrev_b32_e32 v24, 24, v15
	v_bfrev_b32_e32 v25, 60
	v_lshlrev_b32_e32 v23, 20, v23
	v_and_b32_e32 v24, 0x80000000, v24
	v_lshl_add_u32 v14, v14, 23, v25
	v_or3_b32 v14, v24, v14, v23
	v_lshrrev_b32_e32 v23, 16, v14
.LBB875_429:
	s_or_b64 exec, exec, s[10:11]
.LBB875_430:
	s_or_b64 exec, exec, s[8:9]
.LBB875_431:
	s_or_b64 exec, exec, s[2:3]
	v_lshrrev_b16_e32 v14, 8, v15
	v_cmp_ne_u16_e32 vcc, 0, v14
	s_and_saveexec_b64 s[2:3], vcc
	s_cbranch_execz .LBB875_437
; %bb.432:
	s_movk_i32 s7, 0x80
	v_cmp_ne_u16_e32 vcc, s7, v14
	v_mov_b32_e32 v18, 0xffff8000
	s_and_saveexec_b64 s[8:9], vcc
	s_cbranch_execz .LBB875_436
; %bb.433:
	s_movk_i32 s7, 0x7f
	v_and_b32_e32 v24, 0x7f, v14
	v_cmp_ne_u32_e32 vcc, s7, v24
	v_mov_b32_e32 v18, 0x7f80
	s_and_saveexec_b64 s[10:11], vcc
	s_cbranch_execz .LBB875_435
; %bb.434:
	v_and_b32_e32 v18, 7, v14
	v_ffbh_u32_e32 v27, v18
	v_min_u32_e32 v27, 32, v27
	v_subrev_u32_e32 v28, 28, v27
	v_lshlrev_b64 v[28:29], v28, v[14:15]
	v_lshrrev_b32_e32 v25, 3, v24
	v_sub_u32_e32 v14, 29, v27
	v_and_b32_e32 v27, 7, v28
	v_cmp_gt_u32_e32 vcc, 8, v24
	v_cndmask_b32_e32 v14, v25, v14, vcc
	v_cndmask_b32_e32 v18, v18, v27, vcc
	v_lshlrev_b32_e32 v24, 16, v15
	v_bfrev_b32_e32 v25, 60
	v_lshlrev_b32_e32 v18, 20, v18
	v_and_b32_e32 v24, 0x80000000, v24
	v_lshl_add_u32 v14, v14, 23, v25
	v_or3_b32 v14, v24, v14, v18
	v_lshrrev_b32_e32 v18, 16, v14
.LBB875_435:
	s_or_b64 exec, exec, s[10:11]
.LBB875_436:
	s_or_b64 exec, exec, s[8:9]
.LBB875_437:
	s_or_b64 exec, exec, s[2:3]
	s_movk_i32 s2, 0xff
	v_and_b32_sdwa v27, v15, s2 dst_sel:DWORD dst_unused:UNUSED_PAD src0_sel:WORD_1 src1_sel:DWORD
	v_lshrrev_b32_e32 v14, 16, v15
	v_cmp_ne_u16_e32 vcc, 0, v27
	v_mov_b32_e32 v24, 0
	v_mov_b32_e32 v25, 0
	s_and_saveexec_b64 s[2:3], vcc
	s_cbranch_execz .LBB875_443
; %bb.438:
	s_movk_i32 s7, 0x80
	v_cmp_ne_u16_e32 vcc, s7, v27
	v_mov_b32_e32 v25, 0xffff8000
	s_and_saveexec_b64 s[8:9], vcc
	s_cbranch_execz .LBB875_442
; %bb.439:
	v_bfe_u32 v27, v15, 16, 7
	s_movk_i32 s7, 0x7f
	v_cmp_ne_u32_e32 vcc, s7, v27
	v_mov_b32_e32 v25, 0x7f80
	s_and_saveexec_b64 s[10:11], vcc
	s_cbranch_execz .LBB875_441
; %bb.440:
	v_and_b32_e32 v25, 7, v14
	v_ffbh_u32_e32 v28, v25
	v_min_u32_e32 v31, 32, v28
	v_subrev_u32_e32 v28, 28, v31
	v_lshlrev_b64 v[28:29], v28, v[14:15]
	v_lshrrev_b32_e32 v30, 3, v27
	v_sub_u32_e32 v14, 29, v31
	v_and_b32_e32 v28, 7, v28
	v_cmp_gt_u32_e32 vcc, 8, v27
	v_mov_b32_e32 v27, 24
	v_cndmask_b32_e32 v14, v30, v14, vcc
	v_cndmask_b32_e32 v25, v25, v28, vcc
	v_lshlrev_b32_sdwa v27, v27, v15 dst_sel:DWORD dst_unused:UNUSED_PAD src0_sel:DWORD src1_sel:WORD_1
	v_bfrev_b32_e32 v28, 60
	v_lshlrev_b32_e32 v25, 20, v25
	v_and_b32_e32 v27, 0x80000000, v27
	v_lshl_add_u32 v14, v14, 23, v28
	v_or3_b32 v14, v27, v14, v25
	v_lshrrev_b32_e32 v25, 16, v14
.LBB875_441:
	s_or_b64 exec, exec, s[10:11]
.LBB875_442:
	s_or_b64 exec, exec, s[8:9]
.LBB875_443:
	s_or_b64 exec, exec, s[2:3]
	s_mov_b32 s2, 0xffffff
	v_cmp_lt_u32_e32 vcc, s2, v15
	s_and_saveexec_b64 s[2:3], vcc
	s_cbranch_execz .LBB875_449
; %bb.444:
	v_lshrrev_b32_e32 v14, 24, v15
	s_movk_i32 s7, 0x80
	v_cmp_ne_u32_e32 vcc, s7, v14
	v_mov_b32_e32 v24, 0xffff8000
	s_and_saveexec_b64 s[8:9], vcc
	s_cbranch_execz .LBB875_448
; %bb.445:
	v_bfe_u32 v15, v15, 24, 7
	s_movk_i32 s7, 0x7f
	v_cmp_ne_u32_e32 vcc, s7, v15
	v_mov_b32_e32 v24, 0x7f80
	s_and_saveexec_b64 s[10:11], vcc
	s_cbranch_execz .LBB875_447
; %bb.446:
	v_and_b32_e32 v24, 7, v14
	v_ffbh_u32_e32 v28, v24
	v_min_u32_e32 v30, 32, v28
	v_subrev_u32_e32 v28, 28, v30
	v_lshlrev_b64 v[28:29], v28, v[14:15]
	v_lshrrev_b32_e32 v27, 3, v15
	v_sub_u32_e32 v29, 29, v30
	v_and_b32_e32 v28, 7, v28
	v_cmp_gt_u32_e32 vcc, 8, v15
	v_cndmask_b32_e32 v15, v27, v29, vcc
	v_cndmask_b32_e32 v24, v24, v28, vcc
	v_lshlrev_b32_e32 v14, 24, v14
	v_bfrev_b32_e32 v27, 60
	v_lshlrev_b32_e32 v24, 20, v24
	v_and_b32_e32 v14, 0x80000000, v14
	v_lshl_add_u32 v15, v15, 23, v27
	v_or3_b32 v14, v14, v15, v24
	v_lshrrev_b32_e32 v24, 16, v14
.LBB875_447:
	s_or_b64 exec, exec, s[10:11]
.LBB875_448:
	s_or_b64 exec, exec, s[8:9]
.LBB875_449:
	s_or_b64 exec, exec, s[2:3]
	s_mov_b32 s2, 0x5040100
	v_perm_b32 v15, v21, v22, s2
	v_lshl_or_b32 v22, v1, 9, v48
	v_perm_b32 v14, v19, v20, s2
	ds_read_b128 v[28:31], v22
	v_perm_b32 v19, v24, v25, s2
	v_perm_b32 v18, v18, v23, s2
	s_waitcnt lgkmcnt(0)
	v_mfma_f32_16x16x16bf16_1k v[32:35], v[14:15], v[28:29], 0
	v_mov_b32_e32 v15, 0
	v_cmp_ne_u16_sdwa s[8:9], v16, v15 src0_sel:BYTE_0 src1_sel:DWORD
	v_mov_b32_e32 v23, 0
	v_mfma_f32_16x16x16bf16_1k v[18:21], v[18:19], v[30:31], v[32:35]
	s_and_saveexec_b64 s[2:3], s[8:9]
	s_cbranch_execz .LBB875_455
; %bb.450:
	s_movk_i32 s7, 0x80
	v_cmp_ne_u16_sdwa s[10:11], v16, s7 src0_sel:BYTE_0 src1_sel:DWORD
	v_mov_b32_e32 v23, 0xffff8000
	s_and_saveexec_b64 s[8:9], s[10:11]
	s_cbranch_execz .LBB875_454
; %bb.451:
	s_movk_i32 s7, 0x7f
	v_and_b32_e32 v14, 0x7f, v16
	v_cmp_ne_u32_e32 vcc, s7, v14
	v_mov_b32_e32 v23, 0x7f80
	s_and_saveexec_b64 s[10:11], vcc
	s_cbranch_execz .LBB875_453
; %bb.452:
	v_and_b32_e32 v23, 7, v16
	v_ffbh_u32_e32 v24, v23
	v_min_u32_e32 v28, 32, v24
	v_subrev_u32_e32 v24, 28, v28
	v_lshlrev_b64 v[24:25], v24, v[16:17]
	v_lshrrev_b32_e32 v27, 3, v14
	v_sub_u32_e32 v25, 29, v28
	v_and_b32_e32 v24, 7, v24
	v_cmp_gt_u32_e32 vcc, 8, v14
	v_cndmask_b32_e32 v14, v27, v25, vcc
	v_cndmask_b32_e32 v23, v23, v24, vcc
	v_lshlrev_b32_e32 v24, 24, v16
	v_bfrev_b32_e32 v25, 60
	v_lshlrev_b32_e32 v23, 20, v23
	v_and_b32_e32 v24, 0x80000000, v24
	v_lshl_add_u32 v14, v14, 23, v25
	v_or3_b32 v14, v24, v14, v23
	v_lshrrev_b32_e32 v23, 16, v14
.LBB875_453:
	s_or_b64 exec, exec, s[10:11]
.LBB875_454:
	s_or_b64 exec, exec, s[8:9]
.LBB875_455:
	s_or_b64 exec, exec, s[2:3]
	v_lshrrev_b16_e32 v14, 8, v16
	v_cmp_ne_u16_e32 vcc, 0, v14
	s_and_saveexec_b64 s[2:3], vcc
	s_cbranch_execz .LBB875_461
; %bb.456:
	s_movk_i32 s7, 0x80
	v_cmp_ne_u16_e32 vcc, s7, v14
	v_mov_b32_e32 v15, 0xffff8000
	s_and_saveexec_b64 s[8:9], vcc
	s_cbranch_execz .LBB875_460
; %bb.457:
	s_movk_i32 s7, 0x7f
	v_and_b32_e32 v24, 0x7f, v14
	v_cmp_ne_u32_e32 vcc, s7, v24
	v_mov_b32_e32 v15, 0x7f80
	s_and_saveexec_b64 s[10:11], vcc
	s_cbranch_execz .LBB875_459
; %bb.458:
	v_and_b32_e32 v25, 7, v14
	v_ffbh_u32_e32 v15, v25
	v_min_u32_e32 v28, 32, v15
	v_subrev_u32_e32 v15, 28, v28
	v_lshlrev_b64 v[14:15], v15, v[14:15]
	v_lshrrev_b32_e32 v27, 3, v24
	v_sub_u32_e32 v15, 29, v28
	v_and_b32_e32 v14, 7, v14
	v_cmp_gt_u32_e32 vcc, 8, v24
	v_cndmask_b32_e32 v15, v27, v15, vcc
	v_cndmask_b32_e32 v14, v25, v14, vcc
	v_lshlrev_b32_e32 v24, 16, v16
	v_bfrev_b32_e32 v25, 60
	v_lshlrev_b32_e32 v14, 20, v14
	v_and_b32_e32 v24, 0x80000000, v24
	v_lshl_add_u32 v15, v15, 23, v25
	v_or3_b32 v14, v24, v15, v14
	v_lshrrev_b32_e32 v15, 16, v14
.LBB875_459:
	s_or_b64 exec, exec, s[10:11]
.LBB875_460:
	s_or_b64 exec, exec, s[8:9]
.LBB875_461:
	s_or_b64 exec, exec, s[2:3]
	s_movk_i32 s2, 0xff
	v_and_b32_sdwa v27, v16, s2 dst_sel:DWORD dst_unused:UNUSED_PAD src0_sel:WORD_1 src1_sel:DWORD
	v_lshrrev_b32_e32 v14, 16, v16
	v_cmp_ne_u16_e32 vcc, 0, v27
	v_mov_b32_e32 v24, 0
	v_mov_b32_e32 v25, 0
	s_and_saveexec_b64 s[2:3], vcc
	s_cbranch_execz .LBB875_467
; %bb.462:
	s_movk_i32 s7, 0x80
	v_cmp_ne_u16_e32 vcc, s7, v27
	v_mov_b32_e32 v25, 0xffff8000
	s_and_saveexec_b64 s[8:9], vcc
	s_cbranch_execz .LBB875_466
; %bb.463:
	v_bfe_u32 v27, v16, 16, 7
	s_movk_i32 s7, 0x7f
	v_cmp_ne_u32_e32 vcc, s7, v27
	v_mov_b32_e32 v25, 0x7f80
	s_and_saveexec_b64 s[10:11], vcc
	s_cbranch_execz .LBB875_465
; %bb.464:
	v_and_b32_e32 v25, 7, v14
	v_ffbh_u32_e32 v28, v25
	v_min_u32_e32 v31, 32, v28
	v_subrev_u32_e32 v28, 28, v31
	v_lshlrev_b64 v[28:29], v28, v[14:15]
	v_lshrrev_b32_e32 v30, 3, v27
	v_sub_u32_e32 v14, 29, v31
	v_and_b32_e32 v28, 7, v28
	v_cmp_gt_u32_e32 vcc, 8, v27
	v_mov_b32_e32 v27, 24
	v_cndmask_b32_e32 v14, v30, v14, vcc
	v_cndmask_b32_e32 v25, v25, v28, vcc
	v_lshlrev_b32_sdwa v27, v27, v16 dst_sel:DWORD dst_unused:UNUSED_PAD src0_sel:DWORD src1_sel:WORD_1
	v_bfrev_b32_e32 v28, 60
	v_lshlrev_b32_e32 v25, 20, v25
	v_and_b32_e32 v27, 0x80000000, v27
	v_lshl_add_u32 v14, v14, 23, v28
	v_or3_b32 v14, v27, v14, v25
	v_lshrrev_b32_e32 v25, 16, v14
.LBB875_465:
	s_or_b64 exec, exec, s[10:11]
.LBB875_466:
	s_or_b64 exec, exec, s[8:9]
.LBB875_467:
	s_or_b64 exec, exec, s[2:3]
	s_mov_b32 s2, 0xffffff
	v_cmp_lt_u32_e32 vcc, s2, v16
	s_and_saveexec_b64 s[2:3], vcc
	s_cbranch_execz .LBB875_473
; %bb.468:
	v_lshrrev_b32_e32 v14, 24, v16
	s_movk_i32 s7, 0x80
	v_cmp_ne_u32_e32 vcc, s7, v14
	v_mov_b32_e32 v24, 0xffff8000
	s_and_saveexec_b64 s[8:9], vcc
	s_cbranch_execz .LBB875_472
; %bb.469:
	v_bfe_u32 v16, v16, 24, 7
	s_movk_i32 s7, 0x7f
	v_cmp_ne_u32_e32 vcc, s7, v16
	v_mov_b32_e32 v24, 0x7f80
	s_and_saveexec_b64 s[10:11], vcc
	s_cbranch_execz .LBB875_471
; %bb.470:
	v_and_b32_e32 v24, 7, v14
	v_ffbh_u32_e32 v28, v24
	v_min_u32_e32 v30, 32, v28
	v_subrev_u32_e32 v28, 28, v30
	v_lshlrev_b64 v[28:29], v28, v[14:15]
	v_lshrrev_b32_e32 v27, 3, v16
	v_sub_u32_e32 v29, 29, v30
	v_and_b32_e32 v28, 7, v28
	v_cmp_gt_u32_e32 vcc, 8, v16
	v_cndmask_b32_e32 v16, v27, v29, vcc
	v_cndmask_b32_e32 v24, v24, v28, vcc
	v_lshlrev_b32_e32 v14, 24, v14
	v_bfrev_b32_e32 v27, 60
	v_lshlrev_b32_e32 v24, 20, v24
	v_and_b32_e32 v14, 0x80000000, v14
	v_lshl_add_u32 v16, v16, 23, v27
	v_or3_b32 v14, v14, v16, v24
	v_lshrrev_b32_e32 v24, 16, v14
.LBB875_471:
	s_or_b64 exec, exec, s[10:11]
.LBB875_472:
	s_or_b64 exec, exec, s[8:9]
.LBB875_473:
	s_or_b64 exec, exec, s[2:3]
	v_mov_b32_e32 v16, 0
	v_cmp_ne_u16_sdwa s[8:9], v17, v16 src0_sel:BYTE_0 src1_sel:DWORD
	v_mov_b32_e32 v27, 0
	s_and_saveexec_b64 s[2:3], s[8:9]
	s_cbranch_execz .LBB875_479
; %bb.474:
	s_movk_i32 s7, 0x80
	v_cmp_ne_u16_sdwa s[10:11], v17, s7 src0_sel:BYTE_0 src1_sel:DWORD
	v_mov_b32_e32 v27, 0xffff8000
	s_and_saveexec_b64 s[8:9], s[10:11]
	s_cbranch_execz .LBB875_478
; %bb.475:
	s_movk_i32 s7, 0x7f
	v_and_b32_e32 v14, 0x7f, v17
	v_cmp_ne_u32_e32 vcc, s7, v14
	v_mov_b32_e32 v27, 0x7f80
	s_and_saveexec_b64 s[10:11], vcc
	s_cbranch_execz .LBB875_477
; %bb.476:
	v_and_b32_e32 v27, 7, v17
	v_ffbh_u32_e32 v29, v27
	v_min_u32_e32 v31, 32, v29
	v_mov_b32_e32 v28, v17
	v_subrev_u32_e32 v29, 28, v31
	v_lshlrev_b64 v[28:29], v29, v[28:29]
	v_lshrrev_b32_e32 v30, 3, v14
	v_sub_u32_e32 v29, 29, v31
	v_and_b32_e32 v28, 7, v28
	v_cmp_gt_u32_e32 vcc, 8, v14
	v_cndmask_b32_e32 v14, v30, v29, vcc
	v_cndmask_b32_e32 v27, v27, v28, vcc
	v_lshlrev_b32_e32 v28, 24, v17
	v_bfrev_b32_e32 v29, 60
	v_lshlrev_b32_e32 v27, 20, v27
	v_and_b32_e32 v28, 0x80000000, v28
	v_lshl_add_u32 v14, v14, 23, v29
	v_or3_b32 v14, v28, v14, v27
	v_lshrrev_b32_e32 v27, 16, v14
.LBB875_477:
	s_or_b64 exec, exec, s[10:11]
.LBB875_478:
	s_or_b64 exec, exec, s[8:9]
.LBB875_479:
	s_or_b64 exec, exec, s[2:3]
	v_lshrrev_b16_e32 v14, 8, v17
	v_cmp_ne_u16_e32 vcc, 0, v14
	s_and_saveexec_b64 s[2:3], vcc
	s_cbranch_execz .LBB875_485
; %bb.480:
	s_movk_i32 s7, 0x80
	v_cmp_ne_u16_e32 vcc, s7, v14
	v_mov_b32_e32 v16, 0xffff8000
	s_and_saveexec_b64 s[8:9], vcc
	s_cbranch_execz .LBB875_484
; %bb.481:
	s_movk_i32 s7, 0x7f
	v_and_b32_e32 v28, 0x7f, v14
	v_cmp_ne_u32_e32 vcc, s7, v28
	v_mov_b32_e32 v16, 0x7f80
	s_and_saveexec_b64 s[10:11], vcc
	s_cbranch_execz .LBB875_483
; %bb.482:
	v_and_b32_e32 v16, 7, v14
	v_ffbh_u32_e32 v30, v16
	v_min_u32_e32 v32, 32, v30
	v_subrev_u32_e32 v30, 28, v32
	v_lshlrev_b64 v[30:31], v30, v[14:15]
	v_lshrrev_b32_e32 v29, 3, v28
	v_sub_u32_e32 v14, 29, v32
	v_and_b32_e32 v30, 7, v30
	v_cmp_gt_u32_e32 vcc, 8, v28
	v_cndmask_b32_e32 v14, v29, v14, vcc
	v_cndmask_b32_e32 v16, v16, v30, vcc
	v_lshlrev_b32_e32 v28, 16, v17
	v_bfrev_b32_e32 v29, 60
	v_lshlrev_b32_e32 v16, 20, v16
	v_and_b32_e32 v28, 0x80000000, v28
	v_lshl_add_u32 v14, v14, 23, v29
	v_or3_b32 v14, v28, v14, v16
	v_lshrrev_b32_e32 v16, 16, v14
.LBB875_483:
	s_or_b64 exec, exec, s[10:11]
.LBB875_484:
	s_or_b64 exec, exec, s[8:9]
.LBB875_485:
	s_or_b64 exec, exec, s[2:3]
	s_movk_i32 s2, 0xff
	v_and_b32_sdwa v30, v17, s2 dst_sel:DWORD dst_unused:UNUSED_PAD src0_sel:WORD_1 src1_sel:DWORD
	v_lshrrev_b32_e32 v14, 16, v17
	v_cmp_ne_u16_e32 vcc, 0, v30
	v_mov_b32_e32 v28, 0
	v_mov_b32_e32 v29, 0
	s_and_saveexec_b64 s[2:3], vcc
	s_cbranch_execz .LBB875_491
; %bb.486:
	s_movk_i32 s7, 0x80
	v_cmp_ne_u16_e32 vcc, s7, v30
	v_mov_b32_e32 v29, 0xffff8000
	s_and_saveexec_b64 s[8:9], vcc
	s_cbranch_execz .LBB875_490
; %bb.487:
	v_bfe_u32 v30, v17, 16, 7
	s_movk_i32 s7, 0x7f
	v_cmp_ne_u32_e32 vcc, s7, v30
	v_mov_b32_e32 v29, 0x7f80
	s_and_saveexec_b64 s[10:11], vcc
	s_cbranch_execz .LBB875_489
; %bb.488:
	v_and_b32_e32 v29, 7, v14
	v_ffbh_u32_e32 v32, v29
	v_min_u32_e32 v34, 32, v32
	v_subrev_u32_e32 v32, 28, v34
	v_lshlrev_b64 v[32:33], v32, v[14:15]
	v_lshrrev_b32_e32 v31, 3, v30
	v_sub_u32_e32 v14, 29, v34
	v_and_b32_e32 v32, 7, v32
	v_cmp_gt_u32_e32 vcc, 8, v30
	v_mov_b32_e32 v30, 24
	v_cndmask_b32_e32 v14, v31, v14, vcc
	v_cndmask_b32_e32 v29, v29, v32, vcc
	v_lshlrev_b32_sdwa v30, v30, v17 dst_sel:DWORD dst_unused:UNUSED_PAD src0_sel:DWORD src1_sel:WORD_1
	v_bfrev_b32_e32 v31, 60
	v_lshlrev_b32_e32 v29, 20, v29
	v_and_b32_e32 v30, 0x80000000, v30
	v_lshl_add_u32 v14, v14, 23, v31
	v_or3_b32 v14, v30, v14, v29
	v_lshrrev_b32_e32 v29, 16, v14
.LBB875_489:
	s_or_b64 exec, exec, s[10:11]
.LBB875_490:
	s_or_b64 exec, exec, s[8:9]
.LBB875_491:
	s_or_b64 exec, exec, s[2:3]
	s_mov_b32 s2, 0xffffff
	v_cmp_lt_u32_e32 vcc, s2, v17
	s_and_saveexec_b64 s[2:3], vcc
	s_cbranch_execz .LBB875_497
; %bb.492:
	v_lshrrev_b32_e32 v14, 24, v17
	s_movk_i32 s7, 0x80
	v_cmp_ne_u32_e32 vcc, s7, v14
	v_mov_b32_e32 v28, 0xffff8000
	s_and_saveexec_b64 s[8:9], vcc
	s_cbranch_execz .LBB875_496
; %bb.493:
	v_bfe_u32 v17, v17, 24, 7
	s_movk_i32 s7, 0x7f
	v_cmp_ne_u32_e32 vcc, s7, v17
	v_mov_b32_e32 v28, 0x7f80
	s_and_saveexec_b64 s[10:11], vcc
	s_cbranch_execz .LBB875_495
; %bb.494:
	v_and_b32_e32 v28, 7, v14
	v_ffbh_u32_e32 v30, v28
	v_min_u32_e32 v33, 32, v30
	v_subrev_u32_e32 v30, 28, v33
	v_lshlrev_b64 v[30:31], v30, v[14:15]
	v_lshrrev_b32_e32 v32, 3, v17
	v_sub_u32_e32 v31, 29, v33
	v_and_b32_e32 v30, 7, v30
	v_cmp_gt_u32_e32 vcc, 8, v17
	v_cndmask_b32_e32 v17, v32, v31, vcc
	v_cndmask_b32_e32 v28, v28, v30, vcc
	v_lshlrev_b32_e32 v14, 24, v14
	v_bfrev_b32_e32 v30, 60
	v_lshlrev_b32_e32 v28, 20, v28
	v_and_b32_e32 v14, 0x80000000, v14
	v_lshl_add_u32 v17, v17, 23, v30
	v_or3_b32 v14, v14, v17, v28
	v_lshrrev_b32_e32 v28, 16, v14
.LBB875_495:
	s_or_b64 exec, exec, s[10:11]
.LBB875_496:
	s_or_b64 exec, exec, s[8:9]
.LBB875_497:
	s_or_b64 exec, exec, s[2:3]
	s_mov_b32 s2, 0x5040100
	v_perm_b32 v25, v24, v25, s2
	v_perm_b32 v24, v15, v23, s2
	ds_read_b128 v[30:33], v22 offset:16
	v_perm_b32 v15, v28, v29, s2
	v_perm_b32 v14, v16, v27, s2
	s_waitcnt lgkmcnt(0)
	v_mfma_f32_16x16x16bf16_1k v[34:37], v[24:25], v[30:31], v[18:21]
	s_nop 6
	v_mov_b32_e32 v19, 0
	s_waitcnt vmcnt(2)
	v_cmp_ne_u16_sdwa s[8:9], v10, v19 src0_sel:BYTE_0 src1_sel:DWORD
	v_mfma_f32_16x16x16bf16_1k v[14:17], v[14:15], v[32:33], v[34:37]
	v_mov_b32_e32 v20, 0
	s_and_saveexec_b64 s[2:3], s[8:9]
	s_cbranch_execz .LBB875_503
; %bb.498:
	s_movk_i32 s7, 0x80
	v_cmp_ne_u16_sdwa s[10:11], v10, s7 src0_sel:BYTE_0 src1_sel:DWORD
	v_mov_b32_e32 v20, 0xffff8000
	s_and_saveexec_b64 s[8:9], s[10:11]
	s_cbranch_execz .LBB875_502
; %bb.499:
	s_movk_i32 s7, 0x7f
	v_and_b32_e32 v18, 0x7f, v10
	v_cmp_ne_u32_e32 vcc, s7, v18
	v_mov_b32_e32 v20, 0x7f80
	s_and_saveexec_b64 s[10:11], vcc
	s_cbranch_execz .LBB875_501
; %bb.500:
	v_and_b32_e32 v23, 7, v10
	v_ffbh_u32_e32 v20, v23
	v_min_u32_e32 v25, 32, v20
	v_subrev_u32_e32 v20, 28, v25
	v_lshlrev_b64 v[20:21], v20, v[10:11]
	v_lshrrev_b32_e32 v24, 3, v18
	v_sub_u32_e32 v21, 29, v25
	v_and_b32_e32 v20, 7, v20
	v_cmp_gt_u32_e32 vcc, 8, v18
	v_cndmask_b32_e32 v18, v24, v21, vcc
	v_cndmask_b32_e32 v20, v23, v20, vcc
	v_lshlrev_b32_e32 v21, 24, v10
	v_bfrev_b32_e32 v23, 60
	v_lshlrev_b32_e32 v20, 20, v20
	v_and_b32_e32 v21, 0x80000000, v21
	v_lshl_add_u32 v18, v18, 23, v23
	v_or3_b32 v18, v21, v18, v20
	v_lshrrev_b32_e32 v20, 16, v18
.LBB875_501:
	s_or_b64 exec, exec, s[10:11]
.LBB875_502:
	s_or_b64 exec, exec, s[8:9]
.LBB875_503:
	s_or_b64 exec, exec, s[2:3]
	v_lshrrev_b16_e32 v18, 8, v10
	v_cmp_ne_u16_e32 vcc, 0, v18
	s_and_saveexec_b64 s[2:3], vcc
	s_cbranch_execz .LBB875_509
; %bb.504:
	s_movk_i32 s7, 0x80
	v_cmp_ne_u16_e32 vcc, s7, v18
	v_mov_b32_e32 v19, 0xffff8000
	s_and_saveexec_b64 s[8:9], vcc
	s_cbranch_execz .LBB875_508
; %bb.505:
	s_movk_i32 s7, 0x7f
	v_and_b32_e32 v21, 0x7f, v18
	v_cmp_ne_u32_e32 vcc, s7, v21
	v_mov_b32_e32 v19, 0x7f80
	s_and_saveexec_b64 s[10:11], vcc
	s_cbranch_execz .LBB875_507
; %bb.506:
	v_and_b32_e32 v23, 7, v18
	v_ffbh_u32_e32 v19, v23
	v_min_u32_e32 v25, 32, v19
	v_subrev_u32_e32 v19, 28, v25
	v_lshlrev_b64 v[18:19], v19, v[18:19]
	v_lshrrev_b32_e32 v24, 3, v21
	v_sub_u32_e32 v19, 29, v25
	v_and_b32_e32 v18, 7, v18
	v_cmp_gt_u32_e32 vcc, 8, v21
	v_cndmask_b32_e32 v19, v24, v19, vcc
	v_cndmask_b32_e32 v18, v23, v18, vcc
	v_lshlrev_b32_e32 v21, 16, v10
	v_bfrev_b32_e32 v23, 60
	v_lshlrev_b32_e32 v18, 20, v18
	v_and_b32_e32 v21, 0x80000000, v21
	v_lshl_add_u32 v19, v19, 23, v23
	v_or3_b32 v18, v21, v19, v18
	v_lshrrev_b32_e32 v19, 16, v18
.LBB875_507:
	s_or_b64 exec, exec, s[10:11]
.LBB875_508:
	s_or_b64 exec, exec, s[8:9]
.LBB875_509:
	s_or_b64 exec, exec, s[2:3]
	s_movk_i32 s2, 0xff
	v_and_b32_sdwa v24, v10, s2 dst_sel:DWORD dst_unused:UNUSED_PAD src0_sel:WORD_1 src1_sel:DWORD
	v_lshrrev_b32_e32 v18, 16, v10
	v_cmp_ne_u16_e32 vcc, 0, v24
	v_mov_b32_e32 v21, 0
	v_mov_b32_e32 v23, 0
	s_and_saveexec_b64 s[2:3], vcc
	s_cbranch_execz .LBB875_515
; %bb.510:
	s_movk_i32 s7, 0x80
	v_cmp_ne_u16_e32 vcc, s7, v24
	v_mov_b32_e32 v23, 0xffff8000
	s_and_saveexec_b64 s[8:9], vcc
	s_cbranch_execz .LBB875_514
; %bb.511:
	v_bfe_u32 v24, v10, 16, 7
	s_movk_i32 s7, 0x7f
	v_cmp_ne_u32_e32 vcc, s7, v24
	v_mov_b32_e32 v23, 0x7f80
	s_and_saveexec_b64 s[10:11], vcc
	s_cbranch_execz .LBB875_513
; %bb.512:
	v_and_b32_e32 v23, 7, v18
	v_ffbh_u32_e32 v27, v23
	v_min_u32_e32 v27, 32, v27
	v_subrev_u32_e32 v28, 28, v27
	v_lshlrev_b64 v[28:29], v28, v[18:19]
	v_lshrrev_b32_e32 v25, 3, v24
	v_sub_u32_e32 v18, 29, v27
	v_and_b32_e32 v27, 7, v28
	v_cmp_gt_u32_e32 vcc, 8, v24
	v_mov_b32_e32 v24, 24
	v_cndmask_b32_e32 v18, v25, v18, vcc
	v_cndmask_b32_e32 v23, v23, v27, vcc
	v_lshlrev_b32_sdwa v24, v24, v10 dst_sel:DWORD dst_unused:UNUSED_PAD src0_sel:DWORD src1_sel:WORD_1
	v_bfrev_b32_e32 v25, 60
	v_lshlrev_b32_e32 v23, 20, v23
	v_and_b32_e32 v24, 0x80000000, v24
	v_lshl_add_u32 v18, v18, 23, v25
	v_or3_b32 v18, v24, v18, v23
	v_lshrrev_b32_e32 v23, 16, v18
.LBB875_513:
	s_or_b64 exec, exec, s[10:11]
.LBB875_514:
	s_or_b64 exec, exec, s[8:9]
.LBB875_515:
	s_or_b64 exec, exec, s[2:3]
	s_mov_b32 s2, 0xffffff
	v_cmp_lt_u32_e32 vcc, s2, v10
	s_and_saveexec_b64 s[2:3], vcc
	s_cbranch_execz .LBB875_521
; %bb.516:
	v_lshrrev_b32_e32 v18, 24, v10
	s_movk_i32 s7, 0x80
	v_cmp_ne_u32_e32 vcc, s7, v18
	v_mov_b32_e32 v21, 0xffff8000
	s_and_saveexec_b64 s[8:9], vcc
	s_cbranch_execz .LBB875_520
; %bb.517:
	v_bfe_u32 v10, v10, 24, 7
	s_movk_i32 s7, 0x7f
	v_cmp_ne_u32_e32 vcc, s7, v10
	v_mov_b32_e32 v21, 0x7f80
	s_and_saveexec_b64 s[10:11], vcc
	s_cbranch_execz .LBB875_519
; %bb.518:
	v_and_b32_e32 v21, 7, v18
	v_ffbh_u32_e32 v24, v21
	v_min_u32_e32 v28, 32, v24
	v_subrev_u32_e32 v24, 28, v28
	v_lshlrev_b64 v[24:25], v24, v[18:19]
	v_lshrrev_b32_e32 v27, 3, v10
	v_sub_u32_e32 v25, 29, v28
	v_and_b32_e32 v24, 7, v24
	v_cmp_gt_u32_e32 vcc, 8, v10
	v_cndmask_b32_e32 v10, v27, v25, vcc
	v_cndmask_b32_e32 v21, v21, v24, vcc
	v_lshlrev_b32_e32 v18, 24, v18
	v_bfrev_b32_e32 v24, 60
	v_lshlrev_b32_e32 v21, 20, v21
	v_and_b32_e32 v18, 0x80000000, v18
	v_lshl_add_u32 v10, v10, 23, v24
	v_or3_b32 v10, v18, v10, v21
	v_lshrrev_b32_e32 v21, 16, v10
.LBB875_519:
	s_or_b64 exec, exec, s[10:11]
.LBB875_520:
	s_or_b64 exec, exec, s[8:9]
.LBB875_521:
	s_or_b64 exec, exec, s[2:3]
	v_mov_b32_e32 v18, 0
	v_cmp_ne_u16_sdwa s[8:9], v11, v18 src0_sel:BYTE_0 src1_sel:DWORD
	v_mov_b32_e32 v24, 0
	s_and_saveexec_b64 s[2:3], s[8:9]
	s_cbranch_execz .LBB875_527
; %bb.522:
	s_movk_i32 s7, 0x80
	v_cmp_ne_u16_sdwa s[10:11], v11, s7 src0_sel:BYTE_0 src1_sel:DWORD
	v_mov_b32_e32 v24, 0xffff8000
	s_and_saveexec_b64 s[8:9], s[10:11]
	s_cbranch_execz .LBB875_526
; %bb.523:
	s_movk_i32 s7, 0x7f
	v_and_b32_e32 v10, 0x7f, v11
	v_cmp_ne_u32_e32 vcc, s7, v10
	v_mov_b32_e32 v24, 0x7f80
	s_and_saveexec_b64 s[10:11], vcc
	s_cbranch_execz .LBB875_525
; %bb.524:
	v_and_b32_e32 v27, 7, v11
	v_ffbh_u32_e32 v25, v27
	v_min_u32_e32 v29, 32, v25
	v_mov_b32_e32 v24, v11
	v_subrev_u32_e32 v25, 28, v29
	v_lshlrev_b64 v[24:25], v25, v[24:25]
	v_lshrrev_b32_e32 v28, 3, v10
	v_sub_u32_e32 v25, 29, v29
	v_and_b32_e32 v24, 7, v24
	v_cmp_gt_u32_e32 vcc, 8, v10
	v_cndmask_b32_e32 v10, v28, v25, vcc
	v_cndmask_b32_e32 v24, v27, v24, vcc
	v_lshlrev_b32_e32 v25, 24, v11
	v_bfrev_b32_e32 v27, 60
	v_lshlrev_b32_e32 v24, 20, v24
	v_and_b32_e32 v25, 0x80000000, v25
	v_lshl_add_u32 v10, v10, 23, v27
	v_or3_b32 v10, v25, v10, v24
	v_lshrrev_b32_e32 v24, 16, v10
.LBB875_525:
	s_or_b64 exec, exec, s[10:11]
.LBB875_526:
	s_or_b64 exec, exec, s[8:9]
.LBB875_527:
	s_or_b64 exec, exec, s[2:3]
	v_lshrrev_b16_e32 v10, 8, v11
	v_cmp_ne_u16_e32 vcc, 0, v10
	s_and_saveexec_b64 s[2:3], vcc
	s_cbranch_execz .LBB875_533
; %bb.528:
	s_movk_i32 s7, 0x80
	v_cmp_ne_u16_e32 vcc, s7, v10
	v_mov_b32_e32 v18, 0xffff8000
	s_and_saveexec_b64 s[8:9], vcc
	s_cbranch_execz .LBB875_532
; %bb.529:
	s_movk_i32 s7, 0x7f
	v_and_b32_e32 v25, 0x7f, v10
	v_cmp_ne_u32_e32 vcc, s7, v25
	v_mov_b32_e32 v18, 0x7f80
	s_and_saveexec_b64 s[10:11], vcc
	s_cbranch_execz .LBB875_531
; %bb.530:
	v_and_b32_e32 v18, 7, v10
	v_ffbh_u32_e32 v28, v18
	v_min_u32_e32 v30, 32, v28
	v_subrev_u32_e32 v28, 28, v30
	v_lshlrev_b64 v[28:29], v28, v[10:11]
	v_lshrrev_b32_e32 v27, 3, v25
	v_sub_u32_e32 v10, 29, v30
	v_and_b32_e32 v28, 7, v28
	v_cmp_gt_u32_e32 vcc, 8, v25
	v_cndmask_b32_e32 v10, v27, v10, vcc
	v_cndmask_b32_e32 v18, v18, v28, vcc
	v_lshlrev_b32_e32 v25, 16, v11
	v_bfrev_b32_e32 v27, 60
	v_lshlrev_b32_e32 v18, 20, v18
	v_and_b32_e32 v25, 0x80000000, v25
	v_lshl_add_u32 v10, v10, 23, v27
	v_or3_b32 v10, v25, v10, v18
	v_lshrrev_b32_e32 v18, 16, v10
.LBB875_531:
	s_or_b64 exec, exec, s[10:11]
.LBB875_532:
	s_or_b64 exec, exec, s[8:9]
.LBB875_533:
	s_or_b64 exec, exec, s[2:3]
	s_movk_i32 s2, 0xff
	v_and_b32_sdwa v28, v11, s2 dst_sel:DWORD dst_unused:UNUSED_PAD src0_sel:WORD_1 src1_sel:DWORD
	v_lshrrev_b32_e32 v10, 16, v11
	v_cmp_ne_u16_e32 vcc, 0, v28
	v_mov_b32_e32 v25, 0
	v_mov_b32_e32 v27, 0
	s_and_saveexec_b64 s[2:3], vcc
	s_cbranch_execz .LBB875_539
; %bb.534:
	s_movk_i32 s7, 0x80
	v_cmp_ne_u16_e32 vcc, s7, v28
	v_mov_b32_e32 v27, 0xffff8000
	s_and_saveexec_b64 s[8:9], vcc
	s_cbranch_execz .LBB875_538
; %bb.535:
	v_bfe_u32 v28, v11, 16, 7
	s_movk_i32 s7, 0x7f
	v_cmp_ne_u32_e32 vcc, s7, v28
	v_mov_b32_e32 v27, 0x7f80
	s_and_saveexec_b64 s[10:11], vcc
	s_cbranch_execz .LBB875_537
; %bb.536:
	v_and_b32_e32 v27, 7, v10
	v_ffbh_u32_e32 v30, v27
	v_min_u32_e32 v32, 32, v30
	v_subrev_u32_e32 v30, 28, v32
	v_lshlrev_b64 v[30:31], v30, v[10:11]
	v_lshrrev_b32_e32 v29, 3, v28
	v_sub_u32_e32 v10, 29, v32
	v_and_b32_e32 v30, 7, v30
	v_cmp_gt_u32_e32 vcc, 8, v28
	v_mov_b32_e32 v28, 24
	v_cndmask_b32_e32 v10, v29, v10, vcc
	v_cndmask_b32_e32 v27, v27, v30, vcc
	v_lshlrev_b32_sdwa v28, v28, v11 dst_sel:DWORD dst_unused:UNUSED_PAD src0_sel:DWORD src1_sel:WORD_1
	v_bfrev_b32_e32 v29, 60
	v_lshlrev_b32_e32 v27, 20, v27
	v_and_b32_e32 v28, 0x80000000, v28
	v_lshl_add_u32 v10, v10, 23, v29
	v_or3_b32 v10, v28, v10, v27
	v_lshrrev_b32_e32 v27, 16, v10
.LBB875_537:
	s_or_b64 exec, exec, s[10:11]
.LBB875_538:
	s_or_b64 exec, exec, s[8:9]
.LBB875_539:
	s_or_b64 exec, exec, s[2:3]
	s_mov_b32 s2, 0xffffff
	v_cmp_lt_u32_e32 vcc, s2, v11
	s_and_saveexec_b64 s[2:3], vcc
	s_cbranch_execz .LBB875_545
; %bb.540:
	v_lshrrev_b32_e32 v10, 24, v11
	s_movk_i32 s7, 0x80
	v_cmp_ne_u32_e32 vcc, s7, v10
	v_mov_b32_e32 v25, 0xffff8000
	s_and_saveexec_b64 s[8:9], vcc
	s_cbranch_execz .LBB875_544
; %bb.541:
	v_bfe_u32 v11, v11, 24, 7
	s_movk_i32 s7, 0x7f
	v_cmp_ne_u32_e32 vcc, s7, v11
	v_mov_b32_e32 v25, 0x7f80
	s_and_saveexec_b64 s[10:11], vcc
	s_cbranch_execz .LBB875_543
; %bb.542:
	v_and_b32_e32 v25, 7, v10
	v_ffbh_u32_e32 v28, v25
	v_min_u32_e32 v31, 32, v28
	v_subrev_u32_e32 v28, 28, v31
	v_lshlrev_b64 v[28:29], v28, v[10:11]
	v_lshrrev_b32_e32 v30, 3, v11
	v_sub_u32_e32 v29, 29, v31
	v_and_b32_e32 v28, 7, v28
	v_cmp_gt_u32_e32 vcc, 8, v11
	v_cndmask_b32_e32 v11, v30, v29, vcc
	v_cndmask_b32_e32 v25, v25, v28, vcc
	v_lshlrev_b32_e32 v10, 24, v10
	v_bfrev_b32_e32 v28, 60
	v_lshlrev_b32_e32 v25, 20, v25
	v_and_b32_e32 v10, 0x80000000, v10
	v_lshl_add_u32 v11, v11, 23, v28
	v_or3_b32 v10, v10, v11, v25
	v_lshrrev_b32_e32 v25, 16, v10
.LBB875_543:
	s_or_b64 exec, exec, s[10:11]
.LBB875_544:
	s_or_b64 exec, exec, s[8:9]
.LBB875_545:
	s_or_b64 exec, exec, s[2:3]
	s_mov_b32 s2, 0x5040100
	v_perm_b32 v11, v21, v23, s2
	v_perm_b32 v10, v19, v20, s2
	ds_read_b128 v[28:31], v22 offset:2048
	v_perm_b32 v21, v25, v27, s2
	v_perm_b32 v20, v18, v24, s2
	s_waitcnt lgkmcnt(0)
	v_mfma_f32_16x16x16bf16_1k v[14:17], v[10:11], v[28:29], v[14:17]
	v_mov_b32_e32 v11, 0
	v_cmp_ne_u16_sdwa s[8:9], v12, v11 src0_sel:BYTE_0 src1_sel:DWORD
	v_mov_b32_e32 v18, 0
	v_mfma_f32_16x16x16bf16_1k v[14:17], v[20:21], v[30:31], v[14:17]
	s_and_saveexec_b64 s[2:3], s[8:9]
	s_cbranch_execz .LBB875_551
; %bb.546:
	s_movk_i32 s7, 0x80
	v_cmp_ne_u16_sdwa s[10:11], v12, s7 src0_sel:BYTE_0 src1_sel:DWORD
	v_mov_b32_e32 v18, 0xffff8000
	s_and_saveexec_b64 s[8:9], s[10:11]
	s_cbranch_execz .LBB875_550
; %bb.547:
	s_movk_i32 s7, 0x7f
	v_and_b32_e32 v10, 0x7f, v12
	v_cmp_ne_u32_e32 vcc, s7, v10
	v_mov_b32_e32 v18, 0x7f80
	s_and_saveexec_b64 s[10:11], vcc
	s_cbranch_execz .LBB875_549
; %bb.548:
	v_and_b32_e32 v20, 7, v12
	v_ffbh_u32_e32 v18, v20
	v_min_u32_e32 v23, 32, v18
	v_subrev_u32_e32 v18, 28, v23
	v_lshlrev_b64 v[18:19], v18, v[12:13]
	v_lshrrev_b32_e32 v21, 3, v10
	v_sub_u32_e32 v19, 29, v23
	v_and_b32_e32 v18, 7, v18
	v_cmp_gt_u32_e32 vcc, 8, v10
	v_cndmask_b32_e32 v10, v21, v19, vcc
	v_cndmask_b32_e32 v18, v20, v18, vcc
	v_lshlrev_b32_e32 v19, 24, v12
	v_bfrev_b32_e32 v20, 60
	v_lshlrev_b32_e32 v18, 20, v18
	v_and_b32_e32 v19, 0x80000000, v19
	v_lshl_add_u32 v10, v10, 23, v20
	v_or3_b32 v10, v19, v10, v18
	v_lshrrev_b32_e32 v18, 16, v10
.LBB875_549:
	s_or_b64 exec, exec, s[10:11]
.LBB875_550:
	s_or_b64 exec, exec, s[8:9]
.LBB875_551:
	s_or_b64 exec, exec, s[2:3]
	v_lshrrev_b16_e32 v10, 8, v12
	v_cmp_ne_u16_e32 vcc, 0, v10
	s_and_saveexec_b64 s[2:3], vcc
	s_cbranch_execz .LBB875_557
; %bb.552:
	s_movk_i32 s7, 0x80
	v_cmp_ne_u16_e32 vcc, s7, v10
	v_mov_b32_e32 v11, 0xffff8000
	s_and_saveexec_b64 s[8:9], vcc
	s_cbranch_execz .LBB875_556
; %bb.553:
	s_movk_i32 s7, 0x7f
	v_and_b32_e32 v19, 0x7f, v10
	v_cmp_ne_u32_e32 vcc, s7, v19
	v_mov_b32_e32 v11, 0x7f80
	s_and_saveexec_b64 s[10:11], vcc
	s_cbranch_execz .LBB875_555
; %bb.554:
	v_and_b32_e32 v20, 7, v10
	v_ffbh_u32_e32 v11, v20
	v_min_u32_e32 v23, 32, v11
	v_subrev_u32_e32 v11, 28, v23
	v_lshlrev_b64 v[10:11], v11, v[10:11]
	v_lshrrev_b32_e32 v21, 3, v19
	v_sub_u32_e32 v11, 29, v23
	v_and_b32_e32 v10, 7, v10
	v_cmp_gt_u32_e32 vcc, 8, v19
	v_cndmask_b32_e32 v11, v21, v11, vcc
	v_cndmask_b32_e32 v10, v20, v10, vcc
	v_lshlrev_b32_e32 v19, 16, v12
	v_bfrev_b32_e32 v20, 60
	v_lshlrev_b32_e32 v10, 20, v10
	v_and_b32_e32 v19, 0x80000000, v19
	v_lshl_add_u32 v11, v11, 23, v20
	v_or3_b32 v10, v19, v11, v10
	v_lshrrev_b32_e32 v11, 16, v10
.LBB875_555:
	s_or_b64 exec, exec, s[10:11]
.LBB875_556:
	s_or_b64 exec, exec, s[8:9]
.LBB875_557:
	s_or_b64 exec, exec, s[2:3]
	s_movk_i32 s2, 0xff
	v_and_b32_sdwa v21, v12, s2 dst_sel:DWORD dst_unused:UNUSED_PAD src0_sel:WORD_1 src1_sel:DWORD
	v_lshrrev_b32_e32 v10, 16, v12
	v_cmp_ne_u16_e32 vcc, 0, v21
	v_mov_b32_e32 v19, 0
	v_mov_b32_e32 v20, 0
	s_and_saveexec_b64 s[2:3], vcc
	s_cbranch_execz .LBB875_563
; %bb.558:
	s_movk_i32 s7, 0x80
	v_cmp_ne_u16_e32 vcc, s7, v21
	v_mov_b32_e32 v20, 0xffff8000
	s_and_saveexec_b64 s[8:9], vcc
	s_cbranch_execz .LBB875_562
; %bb.559:
	v_bfe_u32 v21, v12, 16, 7
	s_movk_i32 s7, 0x7f
	v_cmp_ne_u32_e32 vcc, s7, v21
	v_mov_b32_e32 v20, 0x7f80
	s_and_saveexec_b64 s[10:11], vcc
	s_cbranch_execz .LBB875_561
; %bb.560:
	v_and_b32_e32 v20, 7, v10
	v_ffbh_u32_e32 v24, v20
	v_min_u32_e32 v27, 32, v24
	v_subrev_u32_e32 v24, 28, v27
	v_lshlrev_b64 v[24:25], v24, v[10:11]
	v_lshrrev_b32_e32 v23, 3, v21
	v_sub_u32_e32 v10, 29, v27
	v_and_b32_e32 v24, 7, v24
	v_cmp_gt_u32_e32 vcc, 8, v21
	v_mov_b32_e32 v21, 24
	v_cndmask_b32_e32 v10, v23, v10, vcc
	v_cndmask_b32_e32 v20, v20, v24, vcc
	v_lshlrev_b32_sdwa v21, v21, v12 dst_sel:DWORD dst_unused:UNUSED_PAD src0_sel:DWORD src1_sel:WORD_1
	v_bfrev_b32_e32 v23, 60
	v_lshlrev_b32_e32 v20, 20, v20
	v_and_b32_e32 v21, 0x80000000, v21
	v_lshl_add_u32 v10, v10, 23, v23
	v_or3_b32 v10, v21, v10, v20
	v_lshrrev_b32_e32 v20, 16, v10
.LBB875_561:
	s_or_b64 exec, exec, s[10:11]
.LBB875_562:
	s_or_b64 exec, exec, s[8:9]
.LBB875_563:
	s_or_b64 exec, exec, s[2:3]
	s_mov_b32 s2, 0xffffff
	v_cmp_lt_u32_e32 vcc, s2, v12
	s_and_saveexec_b64 s[2:3], vcc
	s_cbranch_execz .LBB875_569
; %bb.564:
	v_lshrrev_b32_e32 v10, 24, v12
	s_movk_i32 s7, 0x80
	v_cmp_ne_u32_e32 vcc, s7, v10
	v_mov_b32_e32 v19, 0xffff8000
	s_and_saveexec_b64 s[8:9], vcc
	s_cbranch_execz .LBB875_568
; %bb.565:
	v_bfe_u32 v12, v12, 24, 7
	s_movk_i32 s7, 0x7f
	v_cmp_ne_u32_e32 vcc, s7, v12
	v_mov_b32_e32 v19, 0x7f80
	s_and_saveexec_b64 s[10:11], vcc
	s_cbranch_execz .LBB875_567
; %bb.566:
	v_and_b32_e32 v19, 7, v10
	v_ffbh_u32_e32 v23, v19
	v_min_u32_e32 v23, 32, v23
	v_subrev_u32_e32 v24, 28, v23
	v_lshlrev_b64 v[24:25], v24, v[10:11]
	v_lshrrev_b32_e32 v21, 3, v12
	v_sub_u32_e32 v23, 29, v23
	v_and_b32_e32 v24, 7, v24
	v_cmp_gt_u32_e32 vcc, 8, v12
	v_cndmask_b32_e32 v12, v21, v23, vcc
	v_cndmask_b32_e32 v19, v19, v24, vcc
	v_lshlrev_b32_e32 v10, 24, v10
	v_bfrev_b32_e32 v21, 60
	v_lshlrev_b32_e32 v19, 20, v19
	v_and_b32_e32 v10, 0x80000000, v10
	v_lshl_add_u32 v12, v12, 23, v21
	v_or3_b32 v10, v10, v12, v19
	v_lshrrev_b32_e32 v19, 16, v10
.LBB875_567:
	s_or_b64 exec, exec, s[10:11]
.LBB875_568:
	s_or_b64 exec, exec, s[8:9]
.LBB875_569:
	s_or_b64 exec, exec, s[2:3]
	v_mov_b32_e32 v12, 0
	v_cmp_ne_u16_sdwa s[8:9], v13, v12 src0_sel:BYTE_0 src1_sel:DWORD
	v_mov_b32_e32 v21, 0
	s_and_saveexec_b64 s[2:3], s[8:9]
	s_cbranch_execz .LBB875_575
; %bb.570:
	s_movk_i32 s7, 0x80
	v_cmp_ne_u16_sdwa s[10:11], v13, s7 src0_sel:BYTE_0 src1_sel:DWORD
	v_mov_b32_e32 v21, 0xffff8000
	s_and_saveexec_b64 s[8:9], s[10:11]
	s_cbranch_execz .LBB875_574
; %bb.571:
	s_movk_i32 s7, 0x7f
	v_and_b32_e32 v10, 0x7f, v13
	v_cmp_ne_u32_e32 vcc, s7, v10
	v_mov_b32_e32 v21, 0x7f80
	s_and_saveexec_b64 s[10:11], vcc
	s_cbranch_execz .LBB875_573
; %bb.572:
	v_and_b32_e32 v21, 7, v13
	v_ffbh_u32_e32 v25, v21
	v_min_u32_e32 v27, 32, v25
	v_mov_b32_e32 v24, v13
	v_subrev_u32_e32 v25, 28, v27
	v_lshlrev_b64 v[24:25], v25, v[24:25]
	v_lshrrev_b32_e32 v23, 3, v10
	v_sub_u32_e32 v25, 29, v27
	v_and_b32_e32 v24, 7, v24
	v_cmp_gt_u32_e32 vcc, 8, v10
	v_cndmask_b32_e32 v10, v23, v25, vcc
	v_cndmask_b32_e32 v21, v21, v24, vcc
	v_lshlrev_b32_e32 v23, 24, v13
	v_bfrev_b32_e32 v24, 60
	v_lshlrev_b32_e32 v21, 20, v21
	v_and_b32_e32 v23, 0x80000000, v23
	v_lshl_add_u32 v10, v10, 23, v24
	v_or3_b32 v10, v23, v10, v21
	v_lshrrev_b32_e32 v21, 16, v10
.LBB875_573:
	s_or_b64 exec, exec, s[10:11]
.LBB875_574:
	s_or_b64 exec, exec, s[8:9]
.LBB875_575:
	s_or_b64 exec, exec, s[2:3]
	v_lshrrev_b16_e32 v10, 8, v13
	v_cmp_ne_u16_e32 vcc, 0, v10
	s_and_saveexec_b64 s[2:3], vcc
	s_cbranch_execz .LBB875_581
; %bb.576:
	s_movk_i32 s7, 0x80
	v_cmp_ne_u16_e32 vcc, s7, v10
	v_mov_b32_e32 v12, 0xffff8000
	s_and_saveexec_b64 s[8:9], vcc
	s_cbranch_execz .LBB875_580
; %bb.577:
	s_movk_i32 s7, 0x7f
	v_and_b32_e32 v23, 0x7f, v10
	v_cmp_ne_u32_e32 vcc, s7, v23
	v_mov_b32_e32 v12, 0x7f80
	s_and_saveexec_b64 s[10:11], vcc
	s_cbranch_execz .LBB875_579
; %bb.578:
	v_and_b32_e32 v12, 7, v10
	v_ffbh_u32_e32 v24, v12
	v_min_u32_e32 v28, 32, v24
	v_subrev_u32_e32 v24, 28, v28
	v_lshlrev_b64 v[24:25], v24, v[10:11]
	v_lshrrev_b32_e32 v27, 3, v23
	v_sub_u32_e32 v10, 29, v28
	v_and_b32_e32 v24, 7, v24
	v_cmp_gt_u32_e32 vcc, 8, v23
	v_cndmask_b32_e32 v10, v27, v10, vcc
	v_cndmask_b32_e32 v12, v12, v24, vcc
	v_lshlrev_b32_e32 v23, 16, v13
	v_bfrev_b32_e32 v24, 60
	v_lshlrev_b32_e32 v12, 20, v12
	v_and_b32_e32 v23, 0x80000000, v23
	v_lshl_add_u32 v10, v10, 23, v24
	v_or3_b32 v10, v23, v10, v12
	v_lshrrev_b32_e32 v12, 16, v10
.LBB875_579:
	s_or_b64 exec, exec, s[10:11]
.LBB875_580:
	s_or_b64 exec, exec, s[8:9]
.LBB875_581:
	s_or_b64 exec, exec, s[2:3]
	s_movk_i32 s2, 0xff
	v_and_b32_sdwa v25, v13, s2 dst_sel:DWORD dst_unused:UNUSED_PAD src0_sel:WORD_1 src1_sel:DWORD
	v_lshrrev_b32_e32 v10, 16, v13
	v_cmp_ne_u16_e32 vcc, 0, v25
	v_mov_b32_e32 v23, 0
	v_mov_b32_e32 v24, 0
	s_and_saveexec_b64 s[2:3], vcc
	s_cbranch_execz .LBB875_587
; %bb.582:
	s_movk_i32 s7, 0x80
	v_cmp_ne_u16_e32 vcc, s7, v25
	v_mov_b32_e32 v24, 0xffff8000
	s_and_saveexec_b64 s[8:9], vcc
	s_cbranch_execz .LBB875_586
; %bb.583:
	v_bfe_u32 v25, v13, 16, 7
	s_movk_i32 s7, 0x7f
	v_cmp_ne_u32_e32 vcc, s7, v25
	v_mov_b32_e32 v24, 0x7f80
	s_and_saveexec_b64 s[10:11], vcc
	s_cbranch_execz .LBB875_585
; %bb.584:
	v_and_b32_e32 v24, 7, v10
	v_ffbh_u32_e32 v28, v24
	v_min_u32_e32 v30, 32, v28
	v_subrev_u32_e32 v28, 28, v30
	v_lshlrev_b64 v[28:29], v28, v[10:11]
	v_lshrrev_b32_e32 v27, 3, v25
	v_sub_u32_e32 v10, 29, v30
	v_and_b32_e32 v28, 7, v28
	v_cmp_gt_u32_e32 vcc, 8, v25
	v_mov_b32_e32 v25, 24
	v_cndmask_b32_e32 v10, v27, v10, vcc
	v_cndmask_b32_e32 v24, v24, v28, vcc
	v_lshlrev_b32_sdwa v25, v25, v13 dst_sel:DWORD dst_unused:UNUSED_PAD src0_sel:DWORD src1_sel:WORD_1
	v_bfrev_b32_e32 v27, 60
	v_lshlrev_b32_e32 v24, 20, v24
	v_and_b32_e32 v25, 0x80000000, v25
	v_lshl_add_u32 v10, v10, 23, v27
	v_or3_b32 v10, v25, v10, v24
	v_lshrrev_b32_e32 v24, 16, v10
.LBB875_585:
	s_or_b64 exec, exec, s[10:11]
.LBB875_586:
	s_or_b64 exec, exec, s[8:9]
.LBB875_587:
	s_or_b64 exec, exec, s[2:3]
	s_mov_b32 s2, 0xffffff
	v_cmp_lt_u32_e32 vcc, s2, v13
	s_and_saveexec_b64 s[2:3], vcc
	s_cbranch_execz .LBB875_593
; %bb.588:
	v_lshrrev_b32_e32 v10, 24, v13
	s_movk_i32 s7, 0x80
	v_cmp_ne_u32_e32 vcc, s7, v10
	v_mov_b32_e32 v23, 0xffff8000
	s_and_saveexec_b64 s[8:9], vcc
	s_cbranch_execz .LBB875_592
; %bb.589:
	v_bfe_u32 v13, v13, 24, 7
	s_movk_i32 s7, 0x7f
	v_cmp_ne_u32_e32 vcc, s7, v13
	v_mov_b32_e32 v23, 0x7f80
	s_and_saveexec_b64 s[10:11], vcc
	s_cbranch_execz .LBB875_591
; %bb.590:
	v_and_b32_e32 v23, 7, v10
	v_ffbh_u32_e32 v27, v23
	v_min_u32_e32 v27, 32, v27
	v_subrev_u32_e32 v28, 28, v27
	v_lshlrev_b64 v[28:29], v28, v[10:11]
	v_lshrrev_b32_e32 v25, 3, v13
	v_sub_u32_e32 v27, 29, v27
	v_and_b32_e32 v28, 7, v28
	v_cmp_gt_u32_e32 vcc, 8, v13
	v_cndmask_b32_e32 v13, v25, v27, vcc
	v_cndmask_b32_e32 v23, v23, v28, vcc
	v_lshlrev_b32_e32 v10, 24, v10
	v_bfrev_b32_e32 v25, 60
	v_lshlrev_b32_e32 v23, 20, v23
	v_and_b32_e32 v10, 0x80000000, v10
	v_lshl_add_u32 v13, v13, 23, v25
	v_or3_b32 v10, v10, v13, v23
	v_lshrrev_b32_e32 v23, 16, v10
.LBB875_591:
	s_or_b64 exec, exec, s[10:11]
.LBB875_592:
	s_or_b64 exec, exec, s[8:9]
.LBB875_593:
	s_or_b64 exec, exec, s[2:3]
	s_mov_b32 s2, 0x5040100
	v_perm_b32 v19, v19, v20, s2
	v_perm_b32 v18, v11, v18, s2
	ds_read_b128 v[28:31], v22 offset:2064
	v_perm_b32 v11, v23, v24, s2
	v_perm_b32 v10, v12, v21, s2
	s_waitcnt lgkmcnt(0)
	v_mfma_f32_16x16x16bf16_1k v[32:35], v[18:19], v[28:29], v[14:17]
	s_nop 6
	v_mov_b32_e32 v15, 0
	s_waitcnt vmcnt(1)
	v_cmp_ne_u16_sdwa s[8:9], v6, v15 src0_sel:BYTE_0 src1_sel:DWORD
	v_mfma_f32_16x16x16bf16_1k v[10:13], v[10:11], v[30:31], v[32:35]
	v_mov_b32_e32 v16, 0
	s_and_saveexec_b64 s[2:3], s[8:9]
	s_cbranch_execz .LBB875_599
; %bb.594:
	s_movk_i32 s7, 0x80
	v_cmp_ne_u16_sdwa s[10:11], v6, s7 src0_sel:BYTE_0 src1_sel:DWORD
	v_mov_b32_e32 v16, 0xffff8000
	s_and_saveexec_b64 s[8:9], s[10:11]
	s_cbranch_execz .LBB875_598
; %bb.595:
	s_movk_i32 s7, 0x7f
	v_and_b32_e32 v14, 0x7f, v6
	v_cmp_ne_u32_e32 vcc, s7, v14
	v_mov_b32_e32 v16, 0x7f80
	s_and_saveexec_b64 s[10:11], vcc
	s_cbranch_execz .LBB875_597
; %bb.596:
	v_and_b32_e32 v18, 7, v6
	v_ffbh_u32_e32 v16, v18
	v_min_u32_e32 v20, 32, v16
	v_subrev_u32_e32 v16, 28, v20
	v_lshlrev_b64 v[16:17], v16, v[6:7]
	v_lshrrev_b32_e32 v19, 3, v14
	v_sub_u32_e32 v17, 29, v20
	v_and_b32_e32 v16, 7, v16
	v_cmp_gt_u32_e32 vcc, 8, v14
	v_cndmask_b32_e32 v14, v19, v17, vcc
	v_cndmask_b32_e32 v16, v18, v16, vcc
	v_lshlrev_b32_e32 v17, 24, v6
	v_bfrev_b32_e32 v18, 60
	v_lshlrev_b32_e32 v16, 20, v16
	v_and_b32_e32 v17, 0x80000000, v17
	v_lshl_add_u32 v14, v14, 23, v18
	v_or3_b32 v14, v17, v14, v16
	v_lshrrev_b32_e32 v16, 16, v14
.LBB875_597:
	s_or_b64 exec, exec, s[10:11]
.LBB875_598:
	s_or_b64 exec, exec, s[8:9]
.LBB875_599:
	s_or_b64 exec, exec, s[2:3]
	v_lshrrev_b16_e32 v14, 8, v6
	v_cmp_ne_u16_e32 vcc, 0, v14
	s_and_saveexec_b64 s[2:3], vcc
	s_cbranch_execz .LBB875_605
; %bb.600:
	s_movk_i32 s7, 0x80
	v_cmp_ne_u16_e32 vcc, s7, v14
	v_mov_b32_e32 v15, 0xffff8000
	s_and_saveexec_b64 s[8:9], vcc
	s_cbranch_execz .LBB875_604
; %bb.601:
	s_movk_i32 s7, 0x7f
	v_and_b32_e32 v17, 0x7f, v14
	v_cmp_ne_u32_e32 vcc, s7, v17
	v_mov_b32_e32 v15, 0x7f80
	s_and_saveexec_b64 s[10:11], vcc
	s_cbranch_execz .LBB875_603
; %bb.602:
	v_and_b32_e32 v18, 7, v14
	v_ffbh_u32_e32 v15, v18
	v_min_u32_e32 v20, 32, v15
	v_subrev_u32_e32 v15, 28, v20
	v_lshlrev_b64 v[14:15], v15, v[14:15]
	v_lshrrev_b32_e32 v19, 3, v17
	v_sub_u32_e32 v15, 29, v20
	v_and_b32_e32 v14, 7, v14
	v_cmp_gt_u32_e32 vcc, 8, v17
	v_cndmask_b32_e32 v15, v19, v15, vcc
	v_cndmask_b32_e32 v14, v18, v14, vcc
	v_lshlrev_b32_e32 v17, 16, v6
	v_bfrev_b32_e32 v18, 60
	v_lshlrev_b32_e32 v14, 20, v14
	v_and_b32_e32 v17, 0x80000000, v17
	v_lshl_add_u32 v15, v15, 23, v18
	v_or3_b32 v14, v17, v15, v14
	v_lshrrev_b32_e32 v15, 16, v14
.LBB875_603:
	s_or_b64 exec, exec, s[10:11]
.LBB875_604:
	s_or_b64 exec, exec, s[8:9]
.LBB875_605:
	s_or_b64 exec, exec, s[2:3]
	s_movk_i32 s2, 0xff
	v_and_b32_sdwa v19, v6, s2 dst_sel:DWORD dst_unused:UNUSED_PAD src0_sel:WORD_1 src1_sel:DWORD
	v_lshrrev_b32_e32 v14, 16, v6
	v_cmp_ne_u16_e32 vcc, 0, v19
	v_mov_b32_e32 v17, 0
	v_mov_b32_e32 v18, 0
	s_and_saveexec_b64 s[2:3], vcc
	s_cbranch_execz .LBB875_611
; %bb.606:
	s_movk_i32 s7, 0x80
	v_cmp_ne_u16_e32 vcc, s7, v19
	v_mov_b32_e32 v18, 0xffff8000
	s_and_saveexec_b64 s[8:9], vcc
	s_cbranch_execz .LBB875_610
; %bb.607:
	v_bfe_u32 v19, v6, 16, 7
	s_movk_i32 s7, 0x7f
	v_cmp_ne_u32_e32 vcc, s7, v19
	v_mov_b32_e32 v18, 0x7f80
	s_and_saveexec_b64 s[10:11], vcc
	s_cbranch_execz .LBB875_609
; %bb.608:
	v_and_b32_e32 v18, 7, v14
	v_ffbh_u32_e32 v20, v18
	v_min_u32_e32 v24, 32, v20
	v_subrev_u32_e32 v20, 28, v24
	v_lshlrev_b64 v[20:21], v20, v[14:15]
	v_lshrrev_b32_e32 v23, 3, v19
	v_sub_u32_e32 v14, 29, v24
	v_and_b32_e32 v20, 7, v20
	v_cmp_gt_u32_e32 vcc, 8, v19
	v_mov_b32_e32 v19, 24
	v_cndmask_b32_e32 v14, v23, v14, vcc
	v_cndmask_b32_e32 v18, v18, v20, vcc
	v_lshlrev_b32_sdwa v19, v19, v6 dst_sel:DWORD dst_unused:UNUSED_PAD src0_sel:DWORD src1_sel:WORD_1
	v_bfrev_b32_e32 v20, 60
	v_lshlrev_b32_e32 v18, 20, v18
	v_and_b32_e32 v19, 0x80000000, v19
	v_lshl_add_u32 v14, v14, 23, v20
	v_or3_b32 v14, v19, v14, v18
	v_lshrrev_b32_e32 v18, 16, v14
.LBB875_609:
	s_or_b64 exec, exec, s[10:11]
.LBB875_610:
	s_or_b64 exec, exec, s[8:9]
.LBB875_611:
	s_or_b64 exec, exec, s[2:3]
	s_mov_b32 s2, 0xffffff
	v_cmp_lt_u32_e32 vcc, s2, v6
	s_and_saveexec_b64 s[2:3], vcc
	s_cbranch_execz .LBB875_617
; %bb.612:
	v_lshrrev_b32_e32 v14, 24, v6
	s_movk_i32 s7, 0x80
	v_cmp_ne_u32_e32 vcc, s7, v14
	v_mov_b32_e32 v17, 0xffff8000
	s_and_saveexec_b64 s[8:9], vcc
	s_cbranch_execz .LBB875_616
; %bb.613:
	v_bfe_u32 v6, v6, 24, 7
	s_movk_i32 s7, 0x7f
	v_cmp_ne_u32_e32 vcc, s7, v6
	v_mov_b32_e32 v17, 0x7f80
	s_and_saveexec_b64 s[10:11], vcc
	s_cbranch_execz .LBB875_615
; %bb.614:
	v_and_b32_e32 v17, 7, v14
	v_ffbh_u32_e32 v20, v17
	v_min_u32_e32 v23, 32, v20
	v_subrev_u32_e32 v20, 28, v23
	v_lshlrev_b64 v[20:21], v20, v[14:15]
	v_lshrrev_b32_e32 v19, 3, v6
	v_sub_u32_e32 v21, 29, v23
	v_and_b32_e32 v20, 7, v20
	v_cmp_gt_u32_e32 vcc, 8, v6
	v_cndmask_b32_e32 v6, v19, v21, vcc
	v_cndmask_b32_e32 v17, v17, v20, vcc
	v_lshlrev_b32_e32 v14, 24, v14
	v_bfrev_b32_e32 v19, 60
	v_lshlrev_b32_e32 v17, 20, v17
	v_and_b32_e32 v14, 0x80000000, v14
	v_lshl_add_u32 v6, v6, 23, v19
	v_or3_b32 v6, v14, v6, v17
	v_lshrrev_b32_e32 v17, 16, v6
.LBB875_615:
	s_or_b64 exec, exec, s[10:11]
.LBB875_616:
	s_or_b64 exec, exec, s[8:9]
.LBB875_617:
	s_or_b64 exec, exec, s[2:3]
	v_mov_b32_e32 v14, 0
	v_cmp_ne_u16_sdwa s[8:9], v7, v14 src0_sel:BYTE_0 src1_sel:DWORD
	v_mov_b32_e32 v19, 0
	s_and_saveexec_b64 s[2:3], s[8:9]
	s_cbranch_execz .LBB875_623
; %bb.618:
	s_movk_i32 s7, 0x80
	v_cmp_ne_u16_sdwa s[10:11], v7, s7 src0_sel:BYTE_0 src1_sel:DWORD
	v_mov_b32_e32 v19, 0xffff8000
	s_and_saveexec_b64 s[8:9], s[10:11]
	s_cbranch_execz .LBB875_622
; %bb.619:
	s_movk_i32 s7, 0x7f
	v_and_b32_e32 v6, 0x7f, v7
	v_cmp_ne_u32_e32 vcc, s7, v6
	v_mov_b32_e32 v19, 0x7f80
	s_and_saveexec_b64 s[10:11], vcc
	s_cbranch_execz .LBB875_621
; %bb.620:
	v_and_b32_e32 v19, 7, v7
	v_ffbh_u32_e32 v21, v19
	v_min_u32_e32 v24, 32, v21
	v_mov_b32_e32 v20, v7
	v_subrev_u32_e32 v21, 28, v24
	v_lshlrev_b64 v[20:21], v21, v[20:21]
	v_lshrrev_b32_e32 v23, 3, v6
	v_sub_u32_e32 v21, 29, v24
	v_and_b32_e32 v20, 7, v20
	v_cmp_gt_u32_e32 vcc, 8, v6
	v_cndmask_b32_e32 v6, v23, v21, vcc
	v_cndmask_b32_e32 v19, v19, v20, vcc
	v_lshlrev_b32_e32 v20, 24, v7
	v_bfrev_b32_e32 v21, 60
	v_lshlrev_b32_e32 v19, 20, v19
	v_and_b32_e32 v20, 0x80000000, v20
	v_lshl_add_u32 v6, v6, 23, v21
	v_or3_b32 v6, v20, v6, v19
	v_lshrrev_b32_e32 v19, 16, v6
.LBB875_621:
	s_or_b64 exec, exec, s[10:11]
.LBB875_622:
	s_or_b64 exec, exec, s[8:9]
.LBB875_623:
	s_or_b64 exec, exec, s[2:3]
	v_lshrrev_b16_e32 v6, 8, v7
	v_cmp_ne_u16_e32 vcc, 0, v6
	s_and_saveexec_b64 s[2:3], vcc
	s_cbranch_execz .LBB875_629
; %bb.624:
	s_movk_i32 s7, 0x80
	v_cmp_ne_u16_e32 vcc, s7, v6
	v_mov_b32_e32 v14, 0xffff8000
	s_and_saveexec_b64 s[8:9], vcc
	s_cbranch_execz .LBB875_628
; %bb.625:
	s_movk_i32 s7, 0x7f
	v_and_b32_e32 v20, 0x7f, v6
	v_cmp_ne_u32_e32 vcc, s7, v20
	v_mov_b32_e32 v14, 0x7f80
	s_and_saveexec_b64 s[10:11], vcc
	s_cbranch_execz .LBB875_627
; %bb.626:
	v_and_b32_e32 v14, 7, v6
	v_ffbh_u32_e32 v23, v14
	v_min_u32_e32 v23, 32, v23
	v_subrev_u32_e32 v24, 28, v23
	v_lshlrev_b64 v[24:25], v24, v[6:7]
	v_lshrrev_b32_e32 v21, 3, v20
	v_sub_u32_e32 v6, 29, v23
	v_and_b32_e32 v23, 7, v24
	v_cmp_gt_u32_e32 vcc, 8, v20
	v_cndmask_b32_e32 v6, v21, v6, vcc
	v_cndmask_b32_e32 v14, v14, v23, vcc
	v_lshlrev_b32_e32 v20, 16, v7
	v_bfrev_b32_e32 v21, 60
	v_lshlrev_b32_e32 v14, 20, v14
	v_and_b32_e32 v20, 0x80000000, v20
	v_lshl_add_u32 v6, v6, 23, v21
	v_or3_b32 v6, v20, v6, v14
	v_lshrrev_b32_e32 v14, 16, v6
.LBB875_627:
	s_or_b64 exec, exec, s[10:11]
.LBB875_628:
	s_or_b64 exec, exec, s[8:9]
.LBB875_629:
	s_or_b64 exec, exec, s[2:3]
	s_movk_i32 s2, 0xff
	v_and_b32_sdwa v23, v7, s2 dst_sel:DWORD dst_unused:UNUSED_PAD src0_sel:WORD_1 src1_sel:DWORD
	v_lshrrev_b32_e32 v6, 16, v7
	v_cmp_ne_u16_e32 vcc, 0, v23
	v_mov_b32_e32 v20, 0
	v_mov_b32_e32 v21, 0
	s_and_saveexec_b64 s[2:3], vcc
	s_cbranch_execz .LBB875_635
; %bb.630:
	s_movk_i32 s7, 0x80
	v_cmp_ne_u16_e32 vcc, s7, v23
	v_mov_b32_e32 v21, 0xffff8000
	s_and_saveexec_b64 s[8:9], vcc
	s_cbranch_execz .LBB875_634
; %bb.631:
	v_bfe_u32 v23, v7, 16, 7
	s_movk_i32 s7, 0x7f
	v_cmp_ne_u32_e32 vcc, s7, v23
	v_mov_b32_e32 v21, 0x7f80
	s_and_saveexec_b64 s[10:11], vcc
	s_cbranch_execz .LBB875_633
; %bb.632:
	v_and_b32_e32 v21, 7, v6
	v_ffbh_u32_e32 v24, v21
	v_min_u32_e32 v28, 32, v24
	v_subrev_u32_e32 v24, 28, v28
	v_lshlrev_b64 v[24:25], v24, v[6:7]
	v_lshrrev_b32_e32 v27, 3, v23
	v_sub_u32_e32 v6, 29, v28
	v_and_b32_e32 v24, 7, v24
	v_cmp_gt_u32_e32 vcc, 8, v23
	v_mov_b32_e32 v23, 24
	v_cndmask_b32_e32 v6, v27, v6, vcc
	v_cndmask_b32_e32 v21, v21, v24, vcc
	v_lshlrev_b32_sdwa v23, v23, v7 dst_sel:DWORD dst_unused:UNUSED_PAD src0_sel:DWORD src1_sel:WORD_1
	v_bfrev_b32_e32 v24, 60
	v_lshlrev_b32_e32 v21, 20, v21
	v_and_b32_e32 v23, 0x80000000, v23
	v_lshl_add_u32 v6, v6, 23, v24
	v_or3_b32 v6, v23, v6, v21
	v_lshrrev_b32_e32 v21, 16, v6
.LBB875_633:
	s_or_b64 exec, exec, s[10:11]
.LBB875_634:
	s_or_b64 exec, exec, s[8:9]
.LBB875_635:
	s_or_b64 exec, exec, s[2:3]
	s_mov_b32 s2, 0xffffff
	v_cmp_lt_u32_e32 vcc, s2, v7
	s_and_saveexec_b64 s[2:3], vcc
	s_cbranch_execz .LBB875_641
; %bb.636:
	v_lshrrev_b32_e32 v6, 24, v7
	s_movk_i32 s7, 0x80
	v_cmp_ne_u32_e32 vcc, s7, v6
	v_mov_b32_e32 v20, 0xffff8000
	s_and_saveexec_b64 s[8:9], vcc
	s_cbranch_execz .LBB875_640
; %bb.637:
	v_bfe_u32 v7, v7, 24, 7
	s_movk_i32 s7, 0x7f
	v_cmp_ne_u32_e32 vcc, s7, v7
	v_mov_b32_e32 v20, 0x7f80
	s_and_saveexec_b64 s[10:11], vcc
	s_cbranch_execz .LBB875_639
; %bb.638:
	v_and_b32_e32 v20, 7, v6
	v_ffbh_u32_e32 v24, v20
	v_min_u32_e32 v27, 32, v24
	v_subrev_u32_e32 v24, 28, v27
	v_lshlrev_b64 v[24:25], v24, v[6:7]
	v_lshrrev_b32_e32 v23, 3, v7
	v_sub_u32_e32 v25, 29, v27
	v_and_b32_e32 v24, 7, v24
	v_cmp_gt_u32_e32 vcc, 8, v7
	v_cndmask_b32_e32 v7, v23, v25, vcc
	v_cndmask_b32_e32 v20, v20, v24, vcc
	v_lshlrev_b32_e32 v6, 24, v6
	v_bfrev_b32_e32 v23, 60
	v_lshlrev_b32_e32 v20, 20, v20
	v_and_b32_e32 v6, 0x80000000, v6
	v_lshl_add_u32 v7, v7, 23, v23
	v_or3_b32 v6, v6, v7, v20
	v_lshrrev_b32_e32 v20, 16, v6
.LBB875_639:
	s_or_b64 exec, exec, s[10:11]
.LBB875_640:
	s_or_b64 exec, exec, s[8:9]
.LBB875_641:
	s_or_b64 exec, exec, s[2:3]
	s_mov_b32 s2, 0x5040100
	v_perm_b32 v7, v17, v18, s2
	v_perm_b32 v6, v15, v16, s2
	ds_read_b128 v[28:31], v22 offset:4096
	v_perm_b32 v17, v20, v21, s2
	v_perm_b32 v16, v14, v19, s2
	s_waitcnt lgkmcnt(0)
	v_mfma_f32_16x16x16bf16_1k v[10:13], v[6:7], v[28:29], v[10:13]
	v_mov_b32_e32 v7, 0
	v_cmp_ne_u16_sdwa s[8:9], v8, v7 src0_sel:BYTE_0 src1_sel:DWORD
	v_mov_b32_e32 v14, 0
	v_mfma_f32_16x16x16bf16_1k v[10:13], v[16:17], v[30:31], v[10:13]
	s_and_saveexec_b64 s[2:3], s[8:9]
	s_cbranch_execz .LBB875_647
; %bb.642:
	s_movk_i32 s7, 0x80
	v_cmp_ne_u16_sdwa s[10:11], v8, s7 src0_sel:BYTE_0 src1_sel:DWORD
	v_mov_b32_e32 v14, 0xffff8000
	s_and_saveexec_b64 s[8:9], s[10:11]
	s_cbranch_execz .LBB875_646
; %bb.643:
	s_movk_i32 s7, 0x7f
	v_and_b32_e32 v6, 0x7f, v8
	v_cmp_ne_u32_e32 vcc, s7, v6
	v_mov_b32_e32 v14, 0x7f80
	s_and_saveexec_b64 s[10:11], vcc
	s_cbranch_execz .LBB875_645
; %bb.644:
	v_and_b32_e32 v16, 7, v8
	v_ffbh_u32_e32 v14, v16
	v_min_u32_e32 v18, 32, v14
	v_subrev_u32_e32 v14, 28, v18
	v_lshlrev_b64 v[14:15], v14, v[8:9]
	v_lshrrev_b32_e32 v17, 3, v6
	v_sub_u32_e32 v15, 29, v18
	v_and_b32_e32 v14, 7, v14
	v_cmp_gt_u32_e32 vcc, 8, v6
	v_cndmask_b32_e32 v6, v17, v15, vcc
	v_cndmask_b32_e32 v14, v16, v14, vcc
	v_lshlrev_b32_e32 v15, 24, v8
	v_bfrev_b32_e32 v16, 60
	v_lshlrev_b32_e32 v14, 20, v14
	v_and_b32_e32 v15, 0x80000000, v15
	v_lshl_add_u32 v6, v6, 23, v16
	v_or3_b32 v6, v15, v6, v14
	v_lshrrev_b32_e32 v14, 16, v6
.LBB875_645:
	s_or_b64 exec, exec, s[10:11]
.LBB875_646:
	s_or_b64 exec, exec, s[8:9]
.LBB875_647:
	s_or_b64 exec, exec, s[2:3]
	v_lshrrev_b16_e32 v6, 8, v8
	v_cmp_ne_u16_e32 vcc, 0, v6
	s_and_saveexec_b64 s[2:3], vcc
	s_cbranch_execz .LBB875_653
; %bb.648:
	s_movk_i32 s7, 0x80
	v_cmp_ne_u16_e32 vcc, s7, v6
	v_mov_b32_e32 v7, 0xffff8000
	s_and_saveexec_b64 s[8:9], vcc
	s_cbranch_execz .LBB875_652
; %bb.649:
	s_movk_i32 s7, 0x7f
	v_and_b32_e32 v15, 0x7f, v6
	v_cmp_ne_u32_e32 vcc, s7, v15
	v_mov_b32_e32 v7, 0x7f80
	s_and_saveexec_b64 s[10:11], vcc
	s_cbranch_execz .LBB875_651
; %bb.650:
	v_and_b32_e32 v16, 7, v6
	v_ffbh_u32_e32 v7, v16
	v_min_u32_e32 v18, 32, v7
	v_subrev_u32_e32 v7, 28, v18
	v_lshlrev_b64 v[6:7], v7, v[6:7]
	v_lshrrev_b32_e32 v17, 3, v15
	v_sub_u32_e32 v7, 29, v18
	v_and_b32_e32 v6, 7, v6
	v_cmp_gt_u32_e32 vcc, 8, v15
	v_cndmask_b32_e32 v7, v17, v7, vcc
	v_cndmask_b32_e32 v6, v16, v6, vcc
	v_lshlrev_b32_e32 v15, 16, v8
	v_bfrev_b32_e32 v16, 60
	v_lshlrev_b32_e32 v6, 20, v6
	v_and_b32_e32 v15, 0x80000000, v15
	v_lshl_add_u32 v7, v7, 23, v16
	v_or3_b32 v6, v15, v7, v6
	v_lshrrev_b32_e32 v7, 16, v6
.LBB875_651:
	s_or_b64 exec, exec, s[10:11]
.LBB875_652:
	s_or_b64 exec, exec, s[8:9]
.LBB875_653:
	s_or_b64 exec, exec, s[2:3]
	s_movk_i32 s2, 0xff
	v_and_b32_sdwa v17, v8, s2 dst_sel:DWORD dst_unused:UNUSED_PAD src0_sel:WORD_1 src1_sel:DWORD
	v_lshrrev_b32_e32 v6, 16, v8
	v_cmp_ne_u16_e32 vcc, 0, v17
	v_mov_b32_e32 v15, 0
	v_mov_b32_e32 v16, 0
	s_and_saveexec_b64 s[2:3], vcc
	s_cbranch_execz .LBB875_659
; %bb.654:
	s_movk_i32 s7, 0x80
	v_cmp_ne_u16_e32 vcc, s7, v17
	v_mov_b32_e32 v16, 0xffff8000
	s_and_saveexec_b64 s[8:9], vcc
	s_cbranch_execz .LBB875_658
; %bb.655:
	v_bfe_u32 v17, v8, 16, 7
	s_movk_i32 s7, 0x7f
	v_cmp_ne_u32_e32 vcc, s7, v17
	v_mov_b32_e32 v16, 0x7f80
	s_and_saveexec_b64 s[10:11], vcc
	s_cbranch_execz .LBB875_657
; %bb.656:
	v_and_b32_e32 v16, 7, v6
	v_ffbh_u32_e32 v18, v16
	v_min_u32_e32 v21, 32, v18
	v_subrev_u32_e32 v18, 28, v21
	v_lshlrev_b64 v[18:19], v18, v[6:7]
	v_lshrrev_b32_e32 v20, 3, v17
	v_sub_u32_e32 v6, 29, v21
	v_and_b32_e32 v18, 7, v18
	v_cmp_gt_u32_e32 vcc, 8, v17
	v_mov_b32_e32 v17, 24
	v_cndmask_b32_e32 v6, v20, v6, vcc
	v_cndmask_b32_e32 v16, v16, v18, vcc
	v_lshlrev_b32_sdwa v17, v17, v8 dst_sel:DWORD dst_unused:UNUSED_PAD src0_sel:DWORD src1_sel:WORD_1
	v_bfrev_b32_e32 v18, 60
	v_lshlrev_b32_e32 v16, 20, v16
	v_and_b32_e32 v17, 0x80000000, v17
	v_lshl_add_u32 v6, v6, 23, v18
	v_or3_b32 v6, v17, v6, v16
	v_lshrrev_b32_e32 v16, 16, v6
.LBB875_657:
	s_or_b64 exec, exec, s[10:11]
.LBB875_658:
	s_or_b64 exec, exec, s[8:9]
.LBB875_659:
	s_or_b64 exec, exec, s[2:3]
	s_mov_b32 s2, 0xffffff
	v_cmp_lt_u32_e32 vcc, s2, v8
	s_and_saveexec_b64 s[2:3], vcc
	s_cbranch_execz .LBB875_665
; %bb.660:
	v_lshrrev_b32_e32 v6, 24, v8
	s_movk_i32 s7, 0x80
	v_cmp_ne_u32_e32 vcc, s7, v6
	v_mov_b32_e32 v15, 0xffff8000
	s_and_saveexec_b64 s[8:9], vcc
	s_cbranch_execz .LBB875_664
; %bb.661:
	v_bfe_u32 v8, v8, 24, 7
	s_movk_i32 s7, 0x7f
	v_cmp_ne_u32_e32 vcc, s7, v8
	v_mov_b32_e32 v15, 0x7f80
	s_and_saveexec_b64 s[10:11], vcc
	s_cbranch_execz .LBB875_663
; %bb.662:
	v_and_b32_e32 v15, 7, v6
	v_ffbh_u32_e32 v18, v15
	v_min_u32_e32 v20, 32, v18
	v_subrev_u32_e32 v18, 28, v20
	v_lshlrev_b64 v[18:19], v18, v[6:7]
	v_lshrrev_b32_e32 v17, 3, v8
	v_sub_u32_e32 v19, 29, v20
	v_and_b32_e32 v18, 7, v18
	v_cmp_gt_u32_e32 vcc, 8, v8
	v_cndmask_b32_e32 v8, v17, v19, vcc
	v_cndmask_b32_e32 v15, v15, v18, vcc
	v_lshlrev_b32_e32 v6, 24, v6
	v_bfrev_b32_e32 v17, 60
	v_lshlrev_b32_e32 v15, 20, v15
	v_and_b32_e32 v6, 0x80000000, v6
	v_lshl_add_u32 v8, v8, 23, v17
	v_or3_b32 v6, v6, v8, v15
	v_lshrrev_b32_e32 v15, 16, v6
.LBB875_663:
	s_or_b64 exec, exec, s[10:11]
.LBB875_664:
	s_or_b64 exec, exec, s[8:9]
.LBB875_665:
	s_or_b64 exec, exec, s[2:3]
	v_mov_b32_e32 v8, 0
	v_cmp_ne_u16_sdwa s[8:9], v9, v8 src0_sel:BYTE_0 src1_sel:DWORD
	v_mov_b32_e32 v17, 0
	s_and_saveexec_b64 s[2:3], s[8:9]
	s_cbranch_execz .LBB875_671
; %bb.666:
	s_movk_i32 s7, 0x80
	v_cmp_ne_u16_sdwa s[10:11], v9, s7 src0_sel:BYTE_0 src1_sel:DWORD
	v_mov_b32_e32 v17, 0xffff8000
	s_and_saveexec_b64 s[8:9], s[10:11]
	s_cbranch_execz .LBB875_670
; %bb.667:
	s_movk_i32 s7, 0x7f
	v_and_b32_e32 v6, 0x7f, v9
	v_cmp_ne_u32_e32 vcc, s7, v6
	v_mov_b32_e32 v17, 0x7f80
	s_and_saveexec_b64 s[10:11], vcc
	s_cbranch_execz .LBB875_669
; %bb.668:
	v_and_b32_e32 v17, 7, v9
	v_ffbh_u32_e32 v19, v17
	v_min_u32_e32 v21, 32, v19
	v_mov_b32_e32 v18, v9
	v_subrev_u32_e32 v19, 28, v21
	v_lshlrev_b64 v[18:19], v19, v[18:19]
	v_lshrrev_b32_e32 v20, 3, v6
	v_sub_u32_e32 v19, 29, v21
	v_and_b32_e32 v18, 7, v18
	v_cmp_gt_u32_e32 vcc, 8, v6
	v_cndmask_b32_e32 v6, v20, v19, vcc
	v_cndmask_b32_e32 v17, v17, v18, vcc
	v_lshlrev_b32_e32 v18, 24, v9
	v_bfrev_b32_e32 v19, 60
	v_lshlrev_b32_e32 v17, 20, v17
	v_and_b32_e32 v18, 0x80000000, v18
	v_lshl_add_u32 v6, v6, 23, v19
	v_or3_b32 v6, v18, v6, v17
	v_lshrrev_b32_e32 v17, 16, v6
.LBB875_669:
	s_or_b64 exec, exec, s[10:11]
.LBB875_670:
	s_or_b64 exec, exec, s[8:9]
.LBB875_671:
	s_or_b64 exec, exec, s[2:3]
	v_lshrrev_b16_e32 v6, 8, v9
	v_cmp_ne_u16_e32 vcc, 0, v6
	s_and_saveexec_b64 s[2:3], vcc
	s_cbranch_execz .LBB875_677
; %bb.672:
	s_movk_i32 s7, 0x80
	v_cmp_ne_u16_e32 vcc, s7, v6
	v_mov_b32_e32 v8, 0xffff8000
	s_and_saveexec_b64 s[8:9], vcc
	s_cbranch_execz .LBB875_676
; %bb.673:
	s_movk_i32 s7, 0x7f
	v_and_b32_e32 v18, 0x7f, v6
	v_cmp_ne_u32_e32 vcc, s7, v18
	v_mov_b32_e32 v8, 0x7f80
	s_and_saveexec_b64 s[10:11], vcc
	s_cbranch_execz .LBB875_675
; %bb.674:
	v_and_b32_e32 v8, 7, v6
	v_ffbh_u32_e32 v20, v8
	v_min_u32_e32 v23, 32, v20
	v_subrev_u32_e32 v20, 28, v23
	v_lshlrev_b64 v[20:21], v20, v[6:7]
	v_lshrrev_b32_e32 v19, 3, v18
	v_sub_u32_e32 v6, 29, v23
	v_and_b32_e32 v20, 7, v20
	v_cmp_gt_u32_e32 vcc, 8, v18
	v_cndmask_b32_e32 v6, v19, v6, vcc
	v_cndmask_b32_e32 v8, v8, v20, vcc
	v_lshlrev_b32_e32 v18, 16, v9
	v_bfrev_b32_e32 v19, 60
	v_lshlrev_b32_e32 v8, 20, v8
	v_and_b32_e32 v18, 0x80000000, v18
	v_lshl_add_u32 v6, v6, 23, v19
	v_or3_b32 v6, v18, v6, v8
	v_lshrrev_b32_e32 v8, 16, v6
.LBB875_675:
	s_or_b64 exec, exec, s[10:11]
.LBB875_676:
	s_or_b64 exec, exec, s[8:9]
.LBB875_677:
	s_or_b64 exec, exec, s[2:3]
	s_movk_i32 s2, 0xff
	v_and_b32_sdwa v20, v9, s2 dst_sel:DWORD dst_unused:UNUSED_PAD src0_sel:WORD_1 src1_sel:DWORD
	v_lshrrev_b32_e32 v6, 16, v9
	v_cmp_ne_u16_e32 vcc, 0, v20
	v_mov_b32_e32 v18, 0
	v_mov_b32_e32 v19, 0
	s_and_saveexec_b64 s[2:3], vcc
	s_cbranch_execz .LBB875_683
; %bb.678:
	s_movk_i32 s7, 0x80
	v_cmp_ne_u16_e32 vcc, s7, v20
	v_mov_b32_e32 v19, 0xffff8000
	s_and_saveexec_b64 s[8:9], vcc
	s_cbranch_execz .LBB875_682
; %bb.679:
	v_bfe_u32 v20, v9, 16, 7
	s_movk_i32 s7, 0x7f
	v_cmp_ne_u32_e32 vcc, s7, v20
	v_mov_b32_e32 v19, 0x7f80
	s_and_saveexec_b64 s[10:11], vcc
	s_cbranch_execz .LBB875_681
; %bb.680:
	v_and_b32_e32 v19, 7, v6
	v_ffbh_u32_e32 v23, v19
	v_min_u32_e32 v23, 32, v23
	v_subrev_u32_e32 v24, 28, v23
	v_lshlrev_b64 v[24:25], v24, v[6:7]
	v_lshrrev_b32_e32 v21, 3, v20
	v_sub_u32_e32 v6, 29, v23
	v_and_b32_e32 v23, 7, v24
	v_cmp_gt_u32_e32 vcc, 8, v20
	v_mov_b32_e32 v20, 24
	v_cndmask_b32_e32 v6, v21, v6, vcc
	v_cndmask_b32_e32 v19, v19, v23, vcc
	v_lshlrev_b32_sdwa v20, v20, v9 dst_sel:DWORD dst_unused:UNUSED_PAD src0_sel:DWORD src1_sel:WORD_1
	v_bfrev_b32_e32 v21, 60
	v_lshlrev_b32_e32 v19, 20, v19
	v_and_b32_e32 v20, 0x80000000, v20
	v_lshl_add_u32 v6, v6, 23, v21
	v_or3_b32 v6, v20, v6, v19
	v_lshrrev_b32_e32 v19, 16, v6
.LBB875_681:
	s_or_b64 exec, exec, s[10:11]
.LBB875_682:
	s_or_b64 exec, exec, s[8:9]
.LBB875_683:
	s_or_b64 exec, exec, s[2:3]
	s_mov_b32 s2, 0xffffff
	v_cmp_lt_u32_e32 vcc, s2, v9
	s_and_saveexec_b64 s[2:3], vcc
	s_cbranch_execz .LBB875_689
; %bb.684:
	v_lshrrev_b32_e32 v6, 24, v9
	s_movk_i32 s7, 0x80
	v_cmp_ne_u32_e32 vcc, s7, v6
	v_mov_b32_e32 v18, 0xffff8000
	s_and_saveexec_b64 s[8:9], vcc
	s_cbranch_execz .LBB875_688
; %bb.685:
	v_bfe_u32 v9, v9, 24, 7
	s_movk_i32 s7, 0x7f
	v_cmp_ne_u32_e32 vcc, s7, v9
	v_mov_b32_e32 v18, 0x7f80
	s_and_saveexec_b64 s[10:11], vcc
	s_cbranch_execz .LBB875_687
; %bb.686:
	v_and_b32_e32 v18, 7, v6
	v_ffbh_u32_e32 v20, v18
	v_min_u32_e32 v24, 32, v20
	v_subrev_u32_e32 v20, 28, v24
	v_lshlrev_b64 v[20:21], v20, v[6:7]
	v_lshrrev_b32_e32 v23, 3, v9
	v_sub_u32_e32 v21, 29, v24
	v_and_b32_e32 v20, 7, v20
	v_cmp_gt_u32_e32 vcc, 8, v9
	v_cndmask_b32_e32 v9, v23, v21, vcc
	v_cndmask_b32_e32 v18, v18, v20, vcc
	v_lshlrev_b32_e32 v6, 24, v6
	v_bfrev_b32_e32 v20, 60
	v_lshlrev_b32_e32 v18, 20, v18
	v_and_b32_e32 v6, 0x80000000, v6
	v_lshl_add_u32 v9, v9, 23, v20
	v_or3_b32 v6, v6, v9, v18
	v_lshrrev_b32_e32 v18, 16, v6
.LBB875_687:
	s_or_b64 exec, exec, s[10:11]
.LBB875_688:
	s_or_b64 exec, exec, s[8:9]
.LBB875_689:
	s_or_b64 exec, exec, s[2:3]
	s_mov_b32 s2, 0x5040100
	v_perm_b32 v15, v15, v16, s2
	v_perm_b32 v14, v7, v14, s2
	ds_read_b128 v[28:31], v22 offset:4112
	v_perm_b32 v7, v18, v19, s2
	v_perm_b32 v6, v8, v17, s2
	s_waitcnt lgkmcnt(0)
	v_mfma_f32_16x16x16bf16_1k v[32:35], v[14:15], v[28:29], v[10:13]
	s_nop 6
	v_mov_b32_e32 v11, 0
	s_waitcnt vmcnt(0)
	v_cmp_ne_u16_sdwa s[8:9], v2, v11 src0_sel:BYTE_0 src1_sel:DWORD
	v_mfma_f32_16x16x16bf16_1k v[6:9], v[6:7], v[30:31], v[32:35]
	v_mov_b32_e32 v12, 0
	s_and_saveexec_b64 s[2:3], s[8:9]
	s_cbranch_execz .LBB875_695
; %bb.690:
	s_movk_i32 s7, 0x80
	v_cmp_ne_u16_sdwa s[10:11], v2, s7 src0_sel:BYTE_0 src1_sel:DWORD
	v_mov_b32_e32 v12, 0xffff8000
	s_and_saveexec_b64 s[8:9], s[10:11]
	s_cbranch_execz .LBB875_694
; %bb.691:
	s_movk_i32 s7, 0x7f
	v_and_b32_e32 v10, 0x7f, v2
	v_cmp_ne_u32_e32 vcc, s7, v10
	v_mov_b32_e32 v12, 0x7f80
	s_and_saveexec_b64 s[10:11], vcc
	s_cbranch_execz .LBB875_693
; %bb.692:
	v_and_b32_e32 v14, 7, v2
	v_ffbh_u32_e32 v12, v14
	v_min_u32_e32 v16, 32, v12
	v_subrev_u32_e32 v12, 28, v16
	v_lshlrev_b64 v[12:13], v12, v[2:3]
	v_lshrrev_b32_e32 v15, 3, v10
	v_sub_u32_e32 v13, 29, v16
	v_and_b32_e32 v12, 7, v12
	v_cmp_gt_u32_e32 vcc, 8, v10
	v_cndmask_b32_e32 v10, v15, v13, vcc
	v_cndmask_b32_e32 v12, v14, v12, vcc
	v_lshlrev_b32_e32 v13, 24, v2
	v_bfrev_b32_e32 v14, 60
	v_lshlrev_b32_e32 v12, 20, v12
	v_and_b32_e32 v13, 0x80000000, v13
	v_lshl_add_u32 v10, v10, 23, v14
	v_or3_b32 v10, v13, v10, v12
	v_lshrrev_b32_e32 v12, 16, v10
.LBB875_693:
	s_or_b64 exec, exec, s[10:11]
.LBB875_694:
	s_or_b64 exec, exec, s[8:9]
.LBB875_695:
	s_or_b64 exec, exec, s[2:3]
	v_lshrrev_b16_e32 v10, 8, v2
	v_cmp_ne_u16_e32 vcc, 0, v10
	s_and_saveexec_b64 s[2:3], vcc
	s_cbranch_execz .LBB875_701
; %bb.696:
	s_movk_i32 s7, 0x80
	v_cmp_ne_u16_e32 vcc, s7, v10
	v_mov_b32_e32 v11, 0xffff8000
	s_and_saveexec_b64 s[8:9], vcc
	s_cbranch_execz .LBB875_700
; %bb.697:
	s_movk_i32 s7, 0x7f
	v_and_b32_e32 v13, 0x7f, v10
	v_cmp_ne_u32_e32 vcc, s7, v13
	v_mov_b32_e32 v11, 0x7f80
	s_and_saveexec_b64 s[10:11], vcc
	s_cbranch_execz .LBB875_699
; %bb.698:
	v_and_b32_e32 v14, 7, v10
	v_ffbh_u32_e32 v11, v14
	v_min_u32_e32 v16, 32, v11
	v_subrev_u32_e32 v11, 28, v16
	v_lshlrev_b64 v[10:11], v11, v[10:11]
	v_lshrrev_b32_e32 v15, 3, v13
	v_sub_u32_e32 v11, 29, v16
	v_and_b32_e32 v10, 7, v10
	v_cmp_gt_u32_e32 vcc, 8, v13
	v_cndmask_b32_e32 v11, v15, v11, vcc
	v_cndmask_b32_e32 v10, v14, v10, vcc
	v_lshlrev_b32_e32 v13, 16, v2
	v_bfrev_b32_e32 v14, 60
	v_lshlrev_b32_e32 v10, 20, v10
	v_and_b32_e32 v13, 0x80000000, v13
	v_lshl_add_u32 v11, v11, 23, v14
	v_or3_b32 v10, v13, v11, v10
	v_lshrrev_b32_e32 v11, 16, v10
.LBB875_699:
	s_or_b64 exec, exec, s[10:11]
.LBB875_700:
	s_or_b64 exec, exec, s[8:9]
.LBB875_701:
	s_or_b64 exec, exec, s[2:3]
	s_movk_i32 s2, 0xff
	v_and_b32_sdwa v15, v2, s2 dst_sel:DWORD dst_unused:UNUSED_PAD src0_sel:WORD_1 src1_sel:DWORD
	v_lshrrev_b32_e32 v10, 16, v2
	v_cmp_ne_u16_e32 vcc, 0, v15
	v_mov_b32_e32 v13, 0
	v_mov_b32_e32 v14, 0
	s_and_saveexec_b64 s[2:3], vcc
	s_cbranch_execz .LBB875_707
; %bb.702:
	s_movk_i32 s7, 0x80
	v_cmp_ne_u16_e32 vcc, s7, v15
	v_mov_b32_e32 v14, 0xffff8000
	s_and_saveexec_b64 s[8:9], vcc
	s_cbranch_execz .LBB875_706
; %bb.703:
	v_bfe_u32 v15, v2, 16, 7
	s_movk_i32 s7, 0x7f
	v_cmp_ne_u32_e32 vcc, s7, v15
	v_mov_b32_e32 v14, 0x7f80
	s_and_saveexec_b64 s[10:11], vcc
	s_cbranch_execz .LBB875_705
; %bb.704:
	v_and_b32_e32 v14, 7, v10
	v_ffbh_u32_e32 v16, v14
	v_min_u32_e32 v19, 32, v16
	v_subrev_u32_e32 v16, 28, v19
	v_lshlrev_b64 v[16:17], v16, v[10:11]
	v_lshrrev_b32_e32 v18, 3, v15
	v_sub_u32_e32 v10, 29, v19
	v_and_b32_e32 v16, 7, v16
	v_cmp_gt_u32_e32 vcc, 8, v15
	v_mov_b32_e32 v15, 24
	v_cndmask_b32_e32 v10, v18, v10, vcc
	v_cndmask_b32_e32 v14, v14, v16, vcc
	v_lshlrev_b32_sdwa v15, v15, v2 dst_sel:DWORD dst_unused:UNUSED_PAD src0_sel:DWORD src1_sel:WORD_1
	v_bfrev_b32_e32 v16, 60
	v_lshlrev_b32_e32 v14, 20, v14
	v_and_b32_e32 v15, 0x80000000, v15
	v_lshl_add_u32 v10, v10, 23, v16
	v_or3_b32 v10, v15, v10, v14
	v_lshrrev_b32_e32 v14, 16, v10
.LBB875_705:
	s_or_b64 exec, exec, s[10:11]
.LBB875_706:
	s_or_b64 exec, exec, s[8:9]
.LBB875_707:
	s_or_b64 exec, exec, s[2:3]
	s_mov_b32 s2, 0xffffff
	v_cmp_lt_u32_e32 vcc, s2, v2
	s_and_saveexec_b64 s[2:3], vcc
	s_cbranch_execz .LBB875_713
; %bb.708:
	v_lshrrev_b32_e32 v10, 24, v2
	s_movk_i32 s7, 0x80
	v_cmp_ne_u32_e32 vcc, s7, v10
	v_mov_b32_e32 v13, 0xffff8000
	s_and_saveexec_b64 s[8:9], vcc
	s_cbranch_execz .LBB875_712
; %bb.709:
	v_bfe_u32 v2, v2, 24, 7
	s_movk_i32 s7, 0x7f
	v_cmp_ne_u32_e32 vcc, s7, v2
	v_mov_b32_e32 v13, 0x7f80
	s_and_saveexec_b64 s[10:11], vcc
	s_cbranch_execz .LBB875_711
; %bb.710:
	v_and_b32_e32 v13, 7, v10
	v_ffbh_u32_e32 v16, v13
	v_min_u32_e32 v18, 32, v16
	v_subrev_u32_e32 v16, 28, v18
	v_lshlrev_b64 v[16:17], v16, v[10:11]
	v_lshrrev_b32_e32 v15, 3, v2
	v_sub_u32_e32 v17, 29, v18
	v_and_b32_e32 v16, 7, v16
	v_cmp_gt_u32_e32 vcc, 8, v2
	v_cndmask_b32_e32 v2, v15, v17, vcc
	v_cndmask_b32_e32 v13, v13, v16, vcc
	v_lshlrev_b32_e32 v10, 24, v10
	v_bfrev_b32_e32 v15, 60
	v_lshlrev_b32_e32 v13, 20, v13
	v_and_b32_e32 v10, 0x80000000, v10
	v_lshl_add_u32 v2, v2, 23, v15
	v_or3_b32 v2, v10, v2, v13
	v_lshrrev_b32_e32 v13, 16, v2
.LBB875_711:
	s_or_b64 exec, exec, s[10:11]
.LBB875_712:
	s_or_b64 exec, exec, s[8:9]
.LBB875_713:
	s_or_b64 exec, exec, s[2:3]
	v_mov_b32_e32 v10, 0
	v_cmp_ne_u16_sdwa s[8:9], v3, v10 src0_sel:BYTE_0 src1_sel:DWORD
	v_mov_b32_e32 v15, 0
	s_and_saveexec_b64 s[2:3], s[8:9]
	s_cbranch_execz .LBB875_719
; %bb.714:
	s_movk_i32 s7, 0x80
	v_cmp_ne_u16_sdwa s[10:11], v3, s7 src0_sel:BYTE_0 src1_sel:DWORD
	v_mov_b32_e32 v15, 0xffff8000
	s_and_saveexec_b64 s[8:9], s[10:11]
	s_cbranch_execz .LBB875_718
; %bb.715:
	s_movk_i32 s7, 0x7f
	v_and_b32_e32 v2, 0x7f, v3
	v_cmp_ne_u32_e32 vcc, s7, v2
	v_mov_b32_e32 v15, 0x7f80
	s_and_saveexec_b64 s[10:11], vcc
	s_cbranch_execz .LBB875_717
; %bb.716:
	v_and_b32_e32 v15, 7, v3
	v_ffbh_u32_e32 v17, v15
	v_min_u32_e32 v19, 32, v17
	v_mov_b32_e32 v16, v3
	v_subrev_u32_e32 v17, 28, v19
	v_lshlrev_b64 v[16:17], v17, v[16:17]
	v_lshrrev_b32_e32 v18, 3, v2
	v_sub_u32_e32 v17, 29, v19
	v_and_b32_e32 v16, 7, v16
	v_cmp_gt_u32_e32 vcc, 8, v2
	v_cndmask_b32_e32 v2, v18, v17, vcc
	v_cndmask_b32_e32 v15, v15, v16, vcc
	v_lshlrev_b32_e32 v16, 24, v3
	v_bfrev_b32_e32 v17, 60
	v_lshlrev_b32_e32 v15, 20, v15
	v_and_b32_e32 v16, 0x80000000, v16
	v_lshl_add_u32 v2, v2, 23, v17
	v_or3_b32 v2, v16, v2, v15
	v_lshrrev_b32_e32 v15, 16, v2
.LBB875_717:
	s_or_b64 exec, exec, s[10:11]
.LBB875_718:
	s_or_b64 exec, exec, s[8:9]
.LBB875_719:
	s_or_b64 exec, exec, s[2:3]
	v_lshrrev_b16_e32 v2, 8, v3
	v_cmp_ne_u16_e32 vcc, 0, v2
	s_and_saveexec_b64 s[2:3], vcc
	s_cbranch_execz .LBB875_725
; %bb.720:
	s_movk_i32 s7, 0x80
	v_cmp_ne_u16_e32 vcc, s7, v2
	v_mov_b32_e32 v10, 0xffff8000
	s_and_saveexec_b64 s[8:9], vcc
	s_cbranch_execz .LBB875_724
; %bb.721:
	s_movk_i32 s7, 0x7f
	v_and_b32_e32 v16, 0x7f, v2
	v_cmp_ne_u32_e32 vcc, s7, v16
	v_mov_b32_e32 v10, 0x7f80
	s_and_saveexec_b64 s[10:11], vcc
	s_cbranch_execz .LBB875_723
; %bb.722:
	v_and_b32_e32 v10, 7, v2
	v_ffbh_u32_e32 v18, v10
	v_min_u32_e32 v20, 32, v18
	v_subrev_u32_e32 v18, 28, v20
	v_lshlrev_b64 v[18:19], v18, v[2:3]
	v_lshrrev_b32_e32 v17, 3, v16
	v_sub_u32_e32 v2, 29, v20
	v_and_b32_e32 v18, 7, v18
	v_cmp_gt_u32_e32 vcc, 8, v16
	v_cndmask_b32_e32 v2, v17, v2, vcc
	v_cndmask_b32_e32 v10, v10, v18, vcc
	v_lshlrev_b32_e32 v16, 16, v3
	v_bfrev_b32_e32 v17, 60
	v_lshlrev_b32_e32 v10, 20, v10
	v_and_b32_e32 v16, 0x80000000, v16
	v_lshl_add_u32 v2, v2, 23, v17
	v_or3_b32 v2, v16, v2, v10
	v_lshrrev_b32_e32 v10, 16, v2
.LBB875_723:
	s_or_b64 exec, exec, s[10:11]
.LBB875_724:
	s_or_b64 exec, exec, s[8:9]
.LBB875_725:
	s_or_b64 exec, exec, s[2:3]
	s_movk_i32 s2, 0xff
	v_and_b32_sdwa v18, v3, s2 dst_sel:DWORD dst_unused:UNUSED_PAD src0_sel:WORD_1 src1_sel:DWORD
	v_lshrrev_b32_e32 v2, 16, v3
	v_cmp_ne_u16_e32 vcc, 0, v18
	v_mov_b32_e32 v16, 0
	v_mov_b32_e32 v17, 0
	s_and_saveexec_b64 s[2:3], vcc
	s_cbranch_execz .LBB875_731
; %bb.726:
	s_movk_i32 s7, 0x80
	v_cmp_ne_u16_e32 vcc, s7, v18
	v_mov_b32_e32 v17, 0xffff8000
	s_and_saveexec_b64 s[8:9], vcc
	s_cbranch_execz .LBB875_730
; %bb.727:
	v_bfe_u32 v18, v3, 16, 7
	s_movk_i32 s7, 0x7f
	v_cmp_ne_u32_e32 vcc, s7, v18
	v_mov_b32_e32 v17, 0x7f80
	s_and_saveexec_b64 s[10:11], vcc
	s_cbranch_execz .LBB875_729
; %bb.728:
	v_and_b32_e32 v17, 7, v2
	v_ffbh_u32_e32 v20, v17
	v_min_u32_e32 v23, 32, v20
	v_subrev_u32_e32 v20, 28, v23
	v_lshlrev_b64 v[20:21], v20, v[2:3]
	v_lshrrev_b32_e32 v19, 3, v18
	v_sub_u32_e32 v2, 29, v23
	v_and_b32_e32 v20, 7, v20
	v_cmp_gt_u32_e32 vcc, 8, v18
	v_mov_b32_e32 v18, 24
	v_cndmask_b32_e32 v2, v19, v2, vcc
	v_cndmask_b32_e32 v17, v17, v20, vcc
	v_lshlrev_b32_sdwa v18, v18, v3 dst_sel:DWORD dst_unused:UNUSED_PAD src0_sel:DWORD src1_sel:WORD_1
	v_bfrev_b32_e32 v19, 60
	v_lshlrev_b32_e32 v17, 20, v17
	v_and_b32_e32 v18, 0x80000000, v18
	v_lshl_add_u32 v2, v2, 23, v19
	v_or3_b32 v2, v18, v2, v17
	v_lshrrev_b32_e32 v17, 16, v2
.LBB875_729:
	s_or_b64 exec, exec, s[10:11]
.LBB875_730:
	s_or_b64 exec, exec, s[8:9]
.LBB875_731:
	s_or_b64 exec, exec, s[2:3]
	s_mov_b32 s2, 0xffffff
	v_cmp_lt_u32_e32 vcc, s2, v3
	s_and_saveexec_b64 s[2:3], vcc
	s_cbranch_execz .LBB875_737
; %bb.732:
	v_lshrrev_b32_e32 v2, 24, v3
	s_movk_i32 s7, 0x80
	v_cmp_ne_u32_e32 vcc, s7, v2
	v_mov_b32_e32 v16, 0xffff8000
	s_and_saveexec_b64 s[8:9], vcc
	s_cbranch_execz .LBB875_736
; %bb.733:
	v_bfe_u32 v3, v3, 24, 7
	s_movk_i32 s7, 0x7f
	v_cmp_ne_u32_e32 vcc, s7, v3
	v_mov_b32_e32 v16, 0x7f80
	s_and_saveexec_b64 s[10:11], vcc
	s_cbranch_execz .LBB875_735
; %bb.734:
	v_and_b32_e32 v16, 7, v2
	v_ffbh_u32_e32 v18, v16
	v_min_u32_e32 v21, 32, v18
	v_subrev_u32_e32 v18, 28, v21
	v_lshlrev_b64 v[18:19], v18, v[2:3]
	v_lshrrev_b32_e32 v20, 3, v3
	v_sub_u32_e32 v19, 29, v21
	v_and_b32_e32 v18, 7, v18
	v_cmp_gt_u32_e32 vcc, 8, v3
	v_cndmask_b32_e32 v3, v20, v19, vcc
	v_cndmask_b32_e32 v16, v16, v18, vcc
	v_lshlrev_b32_e32 v2, 24, v2
	v_bfrev_b32_e32 v18, 60
	v_lshlrev_b32_e32 v16, 20, v16
	v_and_b32_e32 v2, 0x80000000, v2
	v_lshl_add_u32 v3, v3, 23, v18
	v_or3_b32 v2, v2, v3, v16
	v_lshrrev_b32_e32 v16, 16, v2
.LBB875_735:
	s_or_b64 exec, exec, s[10:11]
.LBB875_736:
	s_or_b64 exec, exec, s[8:9]
.LBB875_737:
	s_or_b64 exec, exec, s[2:3]
	s_mov_b32 s2, 0x5040100
	v_perm_b32 v3, v13, v14, s2
	v_perm_b32 v2, v11, v12, s2
	ds_read_b128 v[18:21], v22 offset:6144
	v_perm_b32 v13, v16, v17, s2
	v_perm_b32 v12, v10, v15, s2
	s_waitcnt lgkmcnt(0)
	v_mfma_f32_16x16x16bf16_1k v[6:9], v[2:3], v[18:19], v[6:9]
	v_mov_b32_e32 v3, 0
	v_cmp_ne_u16_sdwa s[8:9], v4, v3 src0_sel:BYTE_0 src1_sel:DWORD
	v_mov_b32_e32 v10, 0
	v_mfma_f32_16x16x16bf16_1k v[6:9], v[12:13], v[20:21], v[6:9]
	s_and_saveexec_b64 s[2:3], s[8:9]
	s_cbranch_execz .LBB875_743
; %bb.738:
	s_movk_i32 s7, 0x80
	v_cmp_ne_u16_sdwa s[10:11], v4, s7 src0_sel:BYTE_0 src1_sel:DWORD
	v_mov_b32_e32 v10, 0xffff8000
	s_and_saveexec_b64 s[8:9], s[10:11]
	s_cbranch_execz .LBB875_742
; %bb.739:
	s_movk_i32 s7, 0x7f
	v_and_b32_e32 v2, 0x7f, v4
	v_cmp_ne_u32_e32 vcc, s7, v2
	v_mov_b32_e32 v10, 0x7f80
	s_and_saveexec_b64 s[10:11], vcc
	s_cbranch_execz .LBB875_741
; %bb.740:
	v_and_b32_e32 v12, 7, v4
	v_ffbh_u32_e32 v10, v12
	v_min_u32_e32 v14, 32, v10
	v_subrev_u32_e32 v10, 28, v14
	v_lshlrev_b64 v[10:11], v10, v[4:5]
	v_lshrrev_b32_e32 v13, 3, v2
	v_sub_u32_e32 v11, 29, v14
	v_and_b32_e32 v10, 7, v10
	v_cmp_gt_u32_e32 vcc, 8, v2
	v_cndmask_b32_e32 v2, v13, v11, vcc
	v_cndmask_b32_e32 v10, v12, v10, vcc
	v_lshlrev_b32_e32 v11, 24, v4
	v_bfrev_b32_e32 v12, 60
	v_lshlrev_b32_e32 v10, 20, v10
	v_and_b32_e32 v11, 0x80000000, v11
	v_lshl_add_u32 v2, v2, 23, v12
	v_or3_b32 v2, v11, v2, v10
	v_lshrrev_b32_e32 v10, 16, v2
.LBB875_741:
	s_or_b64 exec, exec, s[10:11]
.LBB875_742:
	s_or_b64 exec, exec, s[8:9]
.LBB875_743:
	s_or_b64 exec, exec, s[2:3]
	v_lshrrev_b16_e32 v2, 8, v4
	v_cmp_ne_u16_e32 vcc, 0, v2
	s_and_saveexec_b64 s[2:3], vcc
	s_cbranch_execz .LBB875_749
; %bb.744:
	s_movk_i32 s7, 0x80
	v_cmp_ne_u16_e32 vcc, s7, v2
	v_mov_b32_e32 v3, 0xffff8000
	s_and_saveexec_b64 s[8:9], vcc
	s_cbranch_execz .LBB875_748
; %bb.745:
	s_movk_i32 s7, 0x7f
	v_and_b32_e32 v11, 0x7f, v2
	v_cmp_ne_u32_e32 vcc, s7, v11
	v_mov_b32_e32 v3, 0x7f80
	s_and_saveexec_b64 s[10:11], vcc
	s_cbranch_execz .LBB875_747
; %bb.746:
	v_and_b32_e32 v12, 7, v2
	v_ffbh_u32_e32 v3, v12
	v_min_u32_e32 v14, 32, v3
	v_subrev_u32_e32 v3, 28, v14
	v_lshlrev_b64 v[2:3], v3, v[2:3]
	v_lshrrev_b32_e32 v13, 3, v11
	v_sub_u32_e32 v3, 29, v14
	v_and_b32_e32 v2, 7, v2
	v_cmp_gt_u32_e32 vcc, 8, v11
	v_cndmask_b32_e32 v3, v13, v3, vcc
	v_cndmask_b32_e32 v2, v12, v2, vcc
	v_lshlrev_b32_e32 v11, 16, v4
	v_bfrev_b32_e32 v12, 60
	v_lshlrev_b32_e32 v2, 20, v2
	v_and_b32_e32 v11, 0x80000000, v11
	v_lshl_add_u32 v3, v3, 23, v12
	v_or3_b32 v2, v11, v3, v2
	v_lshrrev_b32_e32 v3, 16, v2
.LBB875_747:
	s_or_b64 exec, exec, s[10:11]
.LBB875_748:
	s_or_b64 exec, exec, s[8:9]
.LBB875_749:
	s_or_b64 exec, exec, s[2:3]
	s_movk_i32 s2, 0xff
	v_and_b32_sdwa v13, v4, s2 dst_sel:DWORD dst_unused:UNUSED_PAD src0_sel:WORD_1 src1_sel:DWORD
	v_lshrrev_b32_e32 v2, 16, v4
	v_cmp_ne_u16_e32 vcc, 0, v13
	v_mov_b32_e32 v11, 0
	v_mov_b32_e32 v12, 0
	s_and_saveexec_b64 s[2:3], vcc
	s_cbranch_execz .LBB875_755
; %bb.750:
	s_movk_i32 s7, 0x80
	v_cmp_ne_u16_e32 vcc, s7, v13
	v_mov_b32_e32 v12, 0xffff8000
	s_and_saveexec_b64 s[8:9], vcc
	s_cbranch_execz .LBB875_754
; %bb.751:
	v_bfe_u32 v13, v4, 16, 7
	s_movk_i32 s7, 0x7f
	v_cmp_ne_u32_e32 vcc, s7, v13
	v_mov_b32_e32 v12, 0x7f80
	s_and_saveexec_b64 s[10:11], vcc
	s_cbranch_execz .LBB875_753
; %bb.752:
	v_and_b32_e32 v12, 7, v2
	v_ffbh_u32_e32 v14, v12
	v_min_u32_e32 v17, 32, v14
	v_subrev_u32_e32 v14, 28, v17
	v_lshlrev_b64 v[14:15], v14, v[2:3]
	v_lshrrev_b32_e32 v16, 3, v13
	v_sub_u32_e32 v2, 29, v17
	v_and_b32_e32 v14, 7, v14
	v_cmp_gt_u32_e32 vcc, 8, v13
	v_mov_b32_e32 v13, 24
	v_cndmask_b32_e32 v2, v16, v2, vcc
	v_cndmask_b32_e32 v12, v12, v14, vcc
	v_lshlrev_b32_sdwa v13, v13, v4 dst_sel:DWORD dst_unused:UNUSED_PAD src0_sel:DWORD src1_sel:WORD_1
	v_bfrev_b32_e32 v14, 60
	v_lshlrev_b32_e32 v12, 20, v12
	v_and_b32_e32 v13, 0x80000000, v13
	v_lshl_add_u32 v2, v2, 23, v14
	v_or3_b32 v2, v13, v2, v12
	v_lshrrev_b32_e32 v12, 16, v2
.LBB875_753:
	s_or_b64 exec, exec, s[10:11]
.LBB875_754:
	s_or_b64 exec, exec, s[8:9]
.LBB875_755:
	s_or_b64 exec, exec, s[2:3]
	s_mov_b32 s2, 0xffffff
	v_cmp_lt_u32_e32 vcc, s2, v4
	s_and_saveexec_b64 s[2:3], vcc
	s_cbranch_execz .LBB875_761
; %bb.756:
	v_lshrrev_b32_e32 v2, 24, v4
	s_movk_i32 s7, 0x80
	v_cmp_ne_u32_e32 vcc, s7, v2
	v_mov_b32_e32 v11, 0xffff8000
	s_and_saveexec_b64 s[8:9], vcc
	s_cbranch_execz .LBB875_760
; %bb.757:
	v_bfe_u32 v4, v4, 24, 7
	s_movk_i32 s7, 0x7f
	v_cmp_ne_u32_e32 vcc, s7, v4
	v_mov_b32_e32 v11, 0x7f80
	s_and_saveexec_b64 s[10:11], vcc
	s_cbranch_execz .LBB875_759
; %bb.758:
	v_and_b32_e32 v11, 7, v2
	v_ffbh_u32_e32 v14, v11
	v_min_u32_e32 v16, 32, v14
	v_subrev_u32_e32 v14, 28, v16
	v_lshlrev_b64 v[14:15], v14, v[2:3]
	v_lshrrev_b32_e32 v13, 3, v4
	v_sub_u32_e32 v15, 29, v16
	v_and_b32_e32 v14, 7, v14
	v_cmp_gt_u32_e32 vcc, 8, v4
	v_cndmask_b32_e32 v4, v13, v15, vcc
	v_cndmask_b32_e32 v11, v11, v14, vcc
	v_lshlrev_b32_e32 v2, 24, v2
	v_bfrev_b32_e32 v13, 60
	v_lshlrev_b32_e32 v11, 20, v11
	v_and_b32_e32 v2, 0x80000000, v2
	v_lshl_add_u32 v4, v4, 23, v13
	v_or3_b32 v2, v2, v4, v11
	v_lshrrev_b32_e32 v11, 16, v2
.LBB875_759:
	s_or_b64 exec, exec, s[10:11]
.LBB875_760:
	s_or_b64 exec, exec, s[8:9]
.LBB875_761:
	s_or_b64 exec, exec, s[2:3]
	v_mov_b32_e32 v4, 0
	v_cmp_ne_u16_sdwa s[8:9], v5, v4 src0_sel:BYTE_0 src1_sel:DWORD
	v_mov_b32_e32 v13, 0
	s_and_saveexec_b64 s[2:3], s[8:9]
	s_cbranch_execz .LBB875_767
; %bb.762:
	s_movk_i32 s7, 0x80
	v_cmp_ne_u16_sdwa s[10:11], v5, s7 src0_sel:BYTE_0 src1_sel:DWORD
	v_mov_b32_e32 v13, 0xffff8000
	s_and_saveexec_b64 s[8:9], s[10:11]
	s_cbranch_execz .LBB875_766
; %bb.763:
	s_movk_i32 s7, 0x7f
	v_and_b32_e32 v2, 0x7f, v5
	v_cmp_ne_u32_e32 vcc, s7, v2
	v_mov_b32_e32 v13, 0x7f80
	s_and_saveexec_b64 s[10:11], vcc
	s_cbranch_execz .LBB875_765
; %bb.764:
	v_and_b32_e32 v13, 7, v5
	v_ffbh_u32_e32 v15, v13
	v_min_u32_e32 v17, 32, v15
	v_mov_b32_e32 v14, v5
	v_subrev_u32_e32 v15, 28, v17
	v_lshlrev_b64 v[14:15], v15, v[14:15]
	v_lshrrev_b32_e32 v16, 3, v2
	v_sub_u32_e32 v15, 29, v17
	v_and_b32_e32 v14, 7, v14
	v_cmp_gt_u32_e32 vcc, 8, v2
	v_cndmask_b32_e32 v2, v16, v15, vcc
	v_cndmask_b32_e32 v13, v13, v14, vcc
	v_lshlrev_b32_e32 v14, 24, v5
	v_bfrev_b32_e32 v15, 60
	v_lshlrev_b32_e32 v13, 20, v13
	v_and_b32_e32 v14, 0x80000000, v14
	v_lshl_add_u32 v2, v2, 23, v15
	v_or3_b32 v2, v14, v2, v13
	v_lshrrev_b32_e32 v13, 16, v2
.LBB875_765:
	s_or_b64 exec, exec, s[10:11]
.LBB875_766:
	s_or_b64 exec, exec, s[8:9]
.LBB875_767:
	s_or_b64 exec, exec, s[2:3]
	v_lshrrev_b16_e32 v2, 8, v5
	v_cmp_ne_u16_e32 vcc, 0, v2
	s_and_saveexec_b64 s[2:3], vcc
	s_cbranch_execz .LBB875_773
; %bb.768:
	s_movk_i32 s7, 0x80
	v_cmp_ne_u16_e32 vcc, s7, v2
	v_mov_b32_e32 v4, 0xffff8000
	s_and_saveexec_b64 s[8:9], vcc
	s_cbranch_execz .LBB875_772
; %bb.769:
	s_movk_i32 s7, 0x7f
	v_and_b32_e32 v14, 0x7f, v2
	v_cmp_ne_u32_e32 vcc, s7, v14
	v_mov_b32_e32 v4, 0x7f80
	s_and_saveexec_b64 s[10:11], vcc
	s_cbranch_execz .LBB875_771
; %bb.770:
	v_and_b32_e32 v4, 7, v2
	v_ffbh_u32_e32 v16, v4
	v_min_u32_e32 v18, 32, v16
	v_subrev_u32_e32 v16, 28, v18
	v_lshlrev_b64 v[16:17], v16, v[2:3]
	v_lshrrev_b32_e32 v15, 3, v14
	v_sub_u32_e32 v2, 29, v18
	v_and_b32_e32 v16, 7, v16
	v_cmp_gt_u32_e32 vcc, 8, v14
	v_cndmask_b32_e32 v2, v15, v2, vcc
	v_cndmask_b32_e32 v4, v4, v16, vcc
	v_lshlrev_b32_e32 v14, 16, v5
	v_bfrev_b32_e32 v15, 60
	v_lshlrev_b32_e32 v4, 20, v4
	v_and_b32_e32 v14, 0x80000000, v14
	v_lshl_add_u32 v2, v2, 23, v15
	v_or3_b32 v2, v14, v2, v4
	v_lshrrev_b32_e32 v4, 16, v2
.LBB875_771:
	s_or_b64 exec, exec, s[10:11]
.LBB875_772:
	s_or_b64 exec, exec, s[8:9]
.LBB875_773:
	s_or_b64 exec, exec, s[2:3]
	s_movk_i32 s2, 0xff
	v_and_b32_sdwa v16, v5, s2 dst_sel:DWORD dst_unused:UNUSED_PAD src0_sel:WORD_1 src1_sel:DWORD
	v_lshrrev_b32_e32 v2, 16, v5
	v_cmp_ne_u16_e32 vcc, 0, v16
	v_mov_b32_e32 v14, 0
	v_mov_b32_e32 v15, 0
	s_and_saveexec_b64 s[2:3], vcc
	s_cbranch_execz .LBB875_779
; %bb.774:
	s_movk_i32 s7, 0x80
	v_cmp_ne_u16_e32 vcc, s7, v16
	v_mov_b32_e32 v15, 0xffff8000
	s_and_saveexec_b64 s[8:9], vcc
	s_cbranch_execz .LBB875_778
; %bb.775:
	v_bfe_u32 v16, v5, 16, 7
	s_movk_i32 s7, 0x7f
	v_cmp_ne_u32_e32 vcc, s7, v16
	v_mov_b32_e32 v15, 0x7f80
	s_and_saveexec_b64 s[10:11], vcc
	s_cbranch_execz .LBB875_777
; %bb.776:
	v_and_b32_e32 v15, 7, v2
	v_ffbh_u32_e32 v18, v15
	v_min_u32_e32 v20, 32, v18
	v_subrev_u32_e32 v18, 28, v20
	v_lshlrev_b64 v[18:19], v18, v[2:3]
	v_lshrrev_b32_e32 v17, 3, v16
	v_sub_u32_e32 v2, 29, v20
	v_and_b32_e32 v18, 7, v18
	v_cmp_gt_u32_e32 vcc, 8, v16
	v_mov_b32_e32 v16, 24
	v_cndmask_b32_e32 v2, v17, v2, vcc
	v_cndmask_b32_e32 v15, v15, v18, vcc
	v_lshlrev_b32_sdwa v16, v16, v5 dst_sel:DWORD dst_unused:UNUSED_PAD src0_sel:DWORD src1_sel:WORD_1
	v_bfrev_b32_e32 v17, 60
	v_lshlrev_b32_e32 v15, 20, v15
	v_and_b32_e32 v16, 0x80000000, v16
	v_lshl_add_u32 v2, v2, 23, v17
	v_or3_b32 v2, v16, v2, v15
	v_lshrrev_b32_e32 v15, 16, v2
.LBB875_777:
	s_or_b64 exec, exec, s[10:11]
.LBB875_778:
	s_or_b64 exec, exec, s[8:9]
.LBB875_779:
	s_or_b64 exec, exec, s[2:3]
	s_mov_b32 s2, 0xffffff
	v_cmp_lt_u32_e32 vcc, s2, v5
	s_and_saveexec_b64 s[2:3], vcc
	s_cbranch_execz .LBB875_785
; %bb.780:
	v_lshrrev_b32_e32 v2, 24, v5
	s_movk_i32 s7, 0x80
	v_cmp_ne_u32_e32 vcc, s7, v2
	v_mov_b32_e32 v14, 0xffff8000
	s_and_saveexec_b64 s[8:9], vcc
	s_cbranch_execz .LBB875_784
; %bb.781:
	v_bfe_u32 v5, v5, 24, 7
	s_movk_i32 s7, 0x7f
	v_cmp_ne_u32_e32 vcc, s7, v5
	v_mov_b32_e32 v14, 0x7f80
	s_and_saveexec_b64 s[10:11], vcc
	s_cbranch_execz .LBB875_783
; %bb.782:
	v_and_b32_e32 v14, 7, v2
	v_ffbh_u32_e32 v16, v14
	v_min_u32_e32 v19, 32, v16
	v_subrev_u32_e32 v16, 28, v19
	v_lshlrev_b64 v[16:17], v16, v[2:3]
	v_lshrrev_b32_e32 v18, 3, v5
	v_sub_u32_e32 v17, 29, v19
	v_and_b32_e32 v16, 7, v16
	v_cmp_gt_u32_e32 vcc, 8, v5
	v_cndmask_b32_e32 v5, v18, v17, vcc
	v_cndmask_b32_e32 v14, v14, v16, vcc
	v_lshlrev_b32_e32 v2, 24, v2
	v_bfrev_b32_e32 v16, 60
	v_lshlrev_b32_e32 v14, 20, v14
	v_and_b32_e32 v2, 0x80000000, v2
	v_lshl_add_u32 v5, v5, 23, v16
	v_or3_b32 v2, v2, v5, v14
	v_lshrrev_b32_e32 v14, 16, v2
.LBB875_783:
	s_or_b64 exec, exec, s[10:11]
.LBB875_784:
	s_or_b64 exec, exec, s[8:9]
.LBB875_785:
	s_or_b64 exec, exec, s[2:3]
	s_mov_b32 s3, 0x5040100
	v_perm_b32 v11, v11, v12, s3
	ds_read_b128 v[16:19], v22 offset:6160
	v_perm_b32 v10, v3, v10, s3
	v_perm_b32 v3, v14, v15, s3
	;; [unrolled: 1-line block ×3, first 2 shown]
	s_waitcnt lgkmcnt(0)
	v_mfma_f32_16x16x16bf16_1k v[6:9], v[10:11], v[16:17], v[6:9]
	s_load_dword s2, s[42:43], 0x0
	s_mov_b32 s3, 0x7060302
	s_movk_i32 s7, 0x7fff
	v_cmp_gt_u32_e32 vcc, 64, v0
	s_and_b64 s[0:1], vcc, s[0:1]
	s_waitcnt lgkmcnt(0)
	s_barrier
	v_mfma_f32_16x16x16bf16_1k v[2:5], v[2:3], v[18:19], v[6:9]
	s_nop 7
	s_nop 2
	v_pk_mul_f32 v[4:5], v[4:5], s[2:3] op_sel_hi:[1,0]
	v_pk_mul_f32 v[2:3], v[2:3], s[2:3] op_sel_hi:[1,0]
	v_bfe_u32 v6, v3, 16, 1
	v_bfe_u32 v7, v2, 16, 1
	;; [unrolled: 1-line block ×4, first 2 shown]
	v_add3_u32 v2, v2, v7, s7
	v_add3_u32 v3, v3, v6, s7
	;; [unrolled: 1-line block ×4, first 2 shown]
	v_perm_b32 v2, v3, v2, s3
	v_perm_b32 v3, v5, v4, s3
	ds_write_b64 v26, v[2:3]
	s_waitcnt lgkmcnt(0)
	s_barrier
	s_and_saveexec_b64 s[2:3], s[0:1]
	s_cbranch_execz .LBB875_788
; %bb.786:
	s_load_dwordx2 s[2:3], s[4:5], 0x68
	s_lshl_b32 s0, s44, 6
	s_mul_i32 s1, s12, s6
	s_mul_hi_u32 s7, s1, s0
	s_mul_i32 s6, s1, s0
	s_lshl_b64 s[6:7], s[6:7], 1
	s_waitcnt lgkmcnt(0)
	s_add_u32 s1, s2, s6
	v_lshlrev_b32_e32 v0, 10, v0
	s_mov_b32 s5, 0
	s_addc_u32 s6, s3, s7
	s_lshl_b32 s4, s24, 6
	v_and_b32_e32 v0, 0x1800, v0
	v_lshlrev_b32_e32 v2, 5, v1
	v_and_b32_e32 v3, 16, v47
	s_lshl_b64 s[2:3], s[4:5], 1
	v_or3_b32 v0, v0, v2, v3
	s_add_u32 s1, s1, s2
	ds_read_b128 v[6:9], v0 offset:256
	v_or_b32_e32 v2, 12, v1
	s_addc_u32 s2, s6, s3
	ds_read_b128 v[10:13], v0 offset:128
	ds_read_b128 v[14:17], v0
	v_add_u32_e32 v1, s25, v1
	v_mov_b32_e32 v4, s2
	v_add_co_u32_e32 v3, vcc, s1, v46
	v_mad_u64_u32 v[18:19], s[2:3], v1, s0, 0
	v_addc_co_u32_e32 v4, vcc, 0, v4, vcc
	v_lshlrev_b64 v[18:19], 1, v[18:19]
	v_add_co_u32_e32 v18, vcc, v3, v18
	v_addc_co_u32_e32 v19, vcc, v4, v19, vcc
	v_add_u32_e32 v5, 4, v1
	s_waitcnt lgkmcnt(0)
	global_store_dwordx4 v[18:19], v[14:17], off
	v_add_u32_e32 v1, 8, v1
	v_mad_u64_u32 v[14:15], s[2:3], v5, s0, 0
	v_lshlrev_b64 v[14:15], 1, v[14:15]
	v_add_co_u32_e32 v14, vcc, v3, v14
	v_addc_co_u32_e32 v15, vcc, v4, v15, vcc
	global_store_dwordx4 v[14:15], v[10:13], off
	s_nop 0
	v_mad_u64_u32 v[10:11], s[2:3], v1, s0, 0
	v_lshlrev_b64 v[10:11], 1, v[10:11]
	v_add_co_u32_e32 v10, vcc, v3, v10
	v_addc_co_u32_e32 v11, vcc, v4, v11, vcc
	v_cmp_gt_u32_e32 vcc, 14, v2
	global_store_dwordx4 v[10:11], v[6:9], off
	s_and_b64 exec, exec, vcc
	s_cbranch_execz .LBB875_788
; %bb.787:
	ds_read_b128 v[6:9], v0 offset:384
	v_add_u32_e32 v0, s25, v2
	v_mad_u64_u32 v[0:1], s[0:1], v0, s0, 0
	v_lshlrev_b64 v[0:1], 1, v[0:1]
	v_add_co_u32_e32 v0, vcc, v3, v0
	v_addc_co_u32_e32 v1, vcc, v4, v1, vcc
	s_waitcnt lgkmcnt(0)
	global_store_dwordx4 v[0:1], v[6:9], off
.LBB875_788:
	s_endpgm
	.section	.rodata,"a",@progbits
	.p2align	6, 0x0
	.amdhsa_kernel _Z39paged_attention_ll4mi_QKV_mfma16_kernelI14__hip_bfloat16hLN4vllm18Fp8KVCacheDataTypeE1ES0_Li32ELi64ELi256ELb1ELi14EL8MFMAType0EEvPKT_PKT0_S9_ifPKiSB_SB_iPKfiiiPfSE_PS4_PT2_iSD_SD_
		.amdhsa_group_segment_fixed_size 8192
		.amdhsa_private_segment_fixed_size 0
		.amdhsa_kernarg_size 400
		.amdhsa_user_sgpr_count 6
		.amdhsa_user_sgpr_private_segment_buffer 1
		.amdhsa_user_sgpr_dispatch_ptr 0
		.amdhsa_user_sgpr_queue_ptr 0
		.amdhsa_user_sgpr_kernarg_segment_ptr 1
		.amdhsa_user_sgpr_dispatch_id 0
		.amdhsa_user_sgpr_flat_scratch_init 0
		.amdhsa_user_sgpr_kernarg_preload_length 0
		.amdhsa_user_sgpr_kernarg_preload_offset 0
		.amdhsa_user_sgpr_private_segment_size 0
		.amdhsa_uses_dynamic_stack 0
		.amdhsa_system_sgpr_private_segment_wavefront_offset 0
		.amdhsa_system_sgpr_workgroup_id_x 1
		.amdhsa_system_sgpr_workgroup_id_y 1
		.amdhsa_system_sgpr_workgroup_id_z 1
		.amdhsa_system_sgpr_workgroup_info 0
		.amdhsa_system_vgpr_workitem_id 0
		.amdhsa_next_free_vgpr 63
		.amdhsa_next_free_sgpr 47
		.amdhsa_accum_offset 64
		.amdhsa_reserve_vcc 1
		.amdhsa_reserve_flat_scratch 0
		.amdhsa_float_round_mode_32 0
		.amdhsa_float_round_mode_16_64 0
		.amdhsa_float_denorm_mode_32 3
		.amdhsa_float_denorm_mode_16_64 3
		.amdhsa_dx10_clamp 1
		.amdhsa_ieee_mode 1
		.amdhsa_fp16_overflow 0
		.amdhsa_tg_split 0
		.amdhsa_exception_fp_ieee_invalid_op 0
		.amdhsa_exception_fp_denorm_src 0
		.amdhsa_exception_fp_ieee_div_zero 0
		.amdhsa_exception_fp_ieee_overflow 0
		.amdhsa_exception_fp_ieee_underflow 0
		.amdhsa_exception_fp_ieee_inexact 0
		.amdhsa_exception_int_div_zero 0
	.end_amdhsa_kernel
	.section	.text._Z39paged_attention_ll4mi_QKV_mfma16_kernelI14__hip_bfloat16hLN4vllm18Fp8KVCacheDataTypeE1ES0_Li32ELi64ELi256ELb1ELi14EL8MFMAType0EEvPKT_PKT0_S9_ifPKiSB_SB_iPKfiiiPfSE_PS4_PT2_iSD_SD_,"axG",@progbits,_Z39paged_attention_ll4mi_QKV_mfma16_kernelI14__hip_bfloat16hLN4vllm18Fp8KVCacheDataTypeE1ES0_Li32ELi64ELi256ELb1ELi14EL8MFMAType0EEvPKT_PKT0_S9_ifPKiSB_SB_iPKfiiiPfSE_PS4_PT2_iSD_SD_,comdat
.Lfunc_end875:
	.size	_Z39paged_attention_ll4mi_QKV_mfma16_kernelI14__hip_bfloat16hLN4vllm18Fp8KVCacheDataTypeE1ES0_Li32ELi64ELi256ELb1ELi14EL8MFMAType0EEvPKT_PKT0_S9_ifPKiSB_SB_iPKfiiiPfSE_PS4_PT2_iSD_SD_, .Lfunc_end875-_Z39paged_attention_ll4mi_QKV_mfma16_kernelI14__hip_bfloat16hLN4vllm18Fp8KVCacheDataTypeE1ES0_Li32ELi64ELi256ELb1ELi14EL8MFMAType0EEvPKT_PKT0_S9_ifPKiSB_SB_iPKfiiiPfSE_PS4_PT2_iSD_SD_
                                        ; -- End function
	.section	.AMDGPU.csdata,"",@progbits
; Kernel info:
; codeLenInByte = 28792
; NumSgprs: 51
; NumVgprs: 63
; NumAgprs: 0
; TotalNumVgprs: 63
; ScratchSize: 0
; MemoryBound: 0
; FloatMode: 240
; IeeeMode: 1
; LDSByteSize: 8192 bytes/workgroup (compile time only)
; SGPRBlocks: 6
; VGPRBlocks: 7
; NumSGPRsForWavesPerEU: 51
; NumVGPRsForWavesPerEU: 63
; AccumOffset: 64
; Occupancy: 8
; WaveLimiterHint : 1
; COMPUTE_PGM_RSRC2:SCRATCH_EN: 0
; COMPUTE_PGM_RSRC2:USER_SGPR: 6
; COMPUTE_PGM_RSRC2:TRAP_HANDLER: 0
; COMPUTE_PGM_RSRC2:TGID_X_EN: 1
; COMPUTE_PGM_RSRC2:TGID_Y_EN: 1
; COMPUTE_PGM_RSRC2:TGID_Z_EN: 1
; COMPUTE_PGM_RSRC2:TIDIG_COMP_CNT: 0
; COMPUTE_PGM_RSRC3_GFX90A:ACCUM_OFFSET: 15
; COMPUTE_PGM_RSRC3_GFX90A:TG_SPLIT: 0
	.section	.text._Z39paged_attention_ll4mi_QKV_mfma16_kernelI14__hip_bfloat16hLN4vllm18Fp8KVCacheDataTypeE1ES0_Li32ELi64ELi256ELb1ELi15EL8MFMAType0EEvPKT_PKT0_S9_ifPKiSB_SB_iPKfiiiPfSE_PS4_PT2_iSD_SD_,"axG",@progbits,_Z39paged_attention_ll4mi_QKV_mfma16_kernelI14__hip_bfloat16hLN4vllm18Fp8KVCacheDataTypeE1ES0_Li32ELi64ELi256ELb1ELi15EL8MFMAType0EEvPKT_PKT0_S9_ifPKiSB_SB_iPKfiiiPfSE_PS4_PT2_iSD_SD_,comdat
	.protected	_Z39paged_attention_ll4mi_QKV_mfma16_kernelI14__hip_bfloat16hLN4vllm18Fp8KVCacheDataTypeE1ES0_Li32ELi64ELi256ELb1ELi15EL8MFMAType0EEvPKT_PKT0_S9_ifPKiSB_SB_iPKfiiiPfSE_PS4_PT2_iSD_SD_ ; -- Begin function _Z39paged_attention_ll4mi_QKV_mfma16_kernelI14__hip_bfloat16hLN4vllm18Fp8KVCacheDataTypeE1ES0_Li32ELi64ELi256ELb1ELi15EL8MFMAType0EEvPKT_PKT0_S9_ifPKiSB_SB_iPKfiiiPfSE_PS4_PT2_iSD_SD_
	.globl	_Z39paged_attention_ll4mi_QKV_mfma16_kernelI14__hip_bfloat16hLN4vllm18Fp8KVCacheDataTypeE1ES0_Li32ELi64ELi256ELb1ELi15EL8MFMAType0EEvPKT_PKT0_S9_ifPKiSB_SB_iPKfiiiPfSE_PS4_PT2_iSD_SD_
	.p2align	8
	.type	_Z39paged_attention_ll4mi_QKV_mfma16_kernelI14__hip_bfloat16hLN4vllm18Fp8KVCacheDataTypeE1ES0_Li32ELi64ELi256ELb1ELi15EL8MFMAType0EEvPKT_PKT0_S9_ifPKiSB_SB_iPKfiiiPfSE_PS4_PT2_iSD_SD_,@function
_Z39paged_attention_ll4mi_QKV_mfma16_kernelI14__hip_bfloat16hLN4vllm18Fp8KVCacheDataTypeE1ES0_Li32ELi64ELi256ELb1ELi15EL8MFMAType0EEvPKT_PKT0_S9_ifPKiSB_SB_iPKfiiiPfSE_PS4_PT2_iSD_SD_: ; @_Z39paged_attention_ll4mi_QKV_mfma16_kernelI14__hip_bfloat16hLN4vllm18Fp8KVCacheDataTypeE1ES0_Li32ELi64ELi256ELb1ELi15EL8MFMAType0EEvPKT_PKT0_S9_ifPKiSB_SB_iPKfiiiPfSE_PS4_PT2_iSD_SD_
; %bb.0:
	s_load_dwordx2 s[0:1], s[4:5], 0x30
	s_mov_b32 s24, s7
	s_mov_b64 s[10:11], 0
	s_waitcnt lgkmcnt(0)
	s_cmp_lg_u64 s[0:1], 0
	s_cselect_b64 s[2:3], -1, 0
	s_and_b64 vcc, exec, s[2:3]
	s_cbranch_vccz .LBB876_7
; %bb.1:
	s_add_i32 s12, s6, 1
	s_mov_b32 s13, 0
	s_lshl_b64 s[14:15], s[12:13], 2
	s_add_u32 s14, s0, s14
	s_mov_b32 s7, s13
	s_addc_u32 s15, s1, s15
	s_lshl_b64 s[12:13], s[6:7], 2
	s_add_u32 s12, s0, s12
	s_addc_u32 s13, s1, s13
	s_load_dword s9, s[14:15], 0x0
	s_load_dword s16, s[12:13], 0x0
	s_waitcnt lgkmcnt(0)
	s_sub_i32 s9, s9, s16
	s_cmp_eq_u32 s9, 1
	s_cselect_b64 s[12:13], -1, 0
	s_andn2_b64 vcc, exec, s[10:11]
	s_cbranch_vccnz .LBB876_3
.LBB876_2:
	s_mov_b32 s7, 0
	s_mov_b64 s[12:13], -1
.LBB876_3:
	s_andn2_b64 vcc, exec, s[12:13]
	s_cbranch_vccnz .LBB876_788
; %bb.4:
	s_load_dwordx2 s[12:13], s[4:5], 0x28
	s_lshl_b64 s[10:11], s[6:7], 2
	s_waitcnt lgkmcnt(0)
	s_add_u32 s12, s12, s10
	s_addc_u32 s13, s13, s11
	s_load_dword s33, s[12:13], 0x0
	s_lshl_b32 s18, s24, 8
	s_waitcnt lgkmcnt(0)
	s_cmp_ge_i32 s18, s33
	s_cbranch_scc1 .LBB876_788
; %bb.5:
	s_add_i32 s14, s33, 31
	s_load_dwordx2 s[12:13], s[4:5], 0x20
	s_load_dword s9, s[4:5], 0x38
	s_ashr_i32 s15, s14, 31
	v_and_b32_e32 v1, 0xcf, v0
	s_lshr_b32 s15, s15, 27
	v_add_u32_e32 v1, s18, v1
	s_add_i32 s14, s14, s15
	v_ashrrev_i32_e32 v2, 31, v1
	s_ashr_i32 s21, s14, 5
	v_lshrrev_b32_e32 v4, 27, v2
	s_add_i32 s21, s21, -1
	v_add_u32_e32 v2, v1, v4
	s_waitcnt lgkmcnt(0)
	s_mul_i32 s14, s6, s9
	s_mov_b32 s15, 0
	v_ashrrev_i32_e32 v2, 5, v2
	v_mov_b32_e32 v5, s21
	v_cmp_gt_i32_e32 vcc, s33, v1
	s_lshl_b64 s[14:15], s[14:15], 2
	v_cndmask_b32_e32 v2, v5, v2, vcc
	s_add_u32 s19, s12, s14
	v_ashrrev_i32_e32 v3, 31, v2
	s_addc_u32 s20, s13, s15
	v_lshlrev_b64 v[2:3], 2, v[2:3]
	v_mov_b32_e32 v7, s20
	v_add_co_u32_e32 v6, vcc, s19, v2
	v_or_b32_e32 v2, 16, v1
	v_addc_co_u32_e32 v7, vcc, v7, v3, vcc
	v_add_u32_e32 v3, v2, v4
	v_ashrrev_i32_e32 v3, 5, v3
	v_cmp_gt_i32_e32 vcc, s33, v2
	v_cndmask_b32_e32 v2, v5, v3, vcc
	v_ashrrev_i32_e32 v3, 31, v2
	v_lshlrev_b64 v[2:3], 2, v[2:3]
	v_mov_b32_e32 v9, s20
	v_add_co_u32_e32 v8, vcc, s19, v2
	v_or_b32_e32 v2, 32, v1
	v_addc_co_u32_e32 v9, vcc, v9, v3, vcc
	v_add_u32_e32 v3, v2, v4
	v_ashrrev_i32_e32 v3, 5, v3
	v_cmp_gt_i32_e32 vcc, s33, v2
	v_cndmask_b32_e32 v2, v5, v3, vcc
	v_ashrrev_i32_e32 v3, 31, v2
	;; [unrolled: 10-line block ×3, first 2 shown]
	v_lshlrev_b64 v[2:3], 2, v[2:3]
	v_mov_b32_e32 v1, s20
	v_add_co_u32_e32 v12, vcc, s19, v2
	v_addc_co_u32_e32 v13, vcc, v1, v3, vcc
	global_load_dword v5, v[6:7], off
	global_load_dword v4, v[8:9], off
	;; [unrolled: 1-line block ×4, first 2 shown]
	s_load_dwordx2 s[16:17], s[4:5], 0x8
	s_andn2_b64 vcc, exec, s[2:3]
	s_cbranch_vccnz .LBB876_8
; %bb.6:
	s_add_u32 s0, s0, s10
	s_addc_u32 s1, s1, s11
	s_load_dword s9, s[0:1], 0x0
	s_branch .LBB876_9
.LBB876_7:
	s_mov_b64 s[12:13], 0
	s_branch .LBB876_2
.LBB876_8:
	s_mov_b32 s9, s6
.LBB876_9:
	s_load_dwordx2 s[2:3], s[4:5], 0x10
	s_load_dwordx4 s[12:15], s[4:5], 0x48
	v_lshrrev_b32_e32 v50, 6, v0
	v_bfe_u32 v1, v0, 4, 2
	v_lshl_or_b32 v6, v50, 2, v1
	v_and_b32_e32 v49, 15, v0
	v_lshlrev_b32_e32 v7, 3, v49
	v_cmp_gt_u32_e32 vcc, 15, v6
	v_cmp_gt_u32_e64 s[0:1], 8, v49
	s_mul_i32 s25, s8, 15
	s_and_b64 s[22:23], s[0:1], vcc
	v_lshlrev_b32_e32 v46, 1, v7
	v_lshlrev_b32_e32 v47, 4, v0
	s_and_saveexec_b64 s[10:11], s[22:23]
	s_cbranch_execz .LBB876_11
; %bb.10:
	s_load_dwordx2 s[22:23], s[4:5], 0x0
	s_waitcnt lgkmcnt(0)
	s_ashr_i32 s15, s12, 31
	s_mul_hi_u32 s26, s9, s12
	s_mul_i32 s15, s9, s15
	s_add_i32 s27, s26, s15
	s_mul_i32 s26, s9, s12
	s_lshl_b64 s[26:27], s[26:27], 1
	v_add_lshl_u32 v8, v6, s25, 6
	s_add_u32 s9, s22, s26
	v_ashrrev_i32_e32 v9, 31, v8
	s_addc_u32 s12, s23, s27
	v_lshlrev_b64 v[8:9], 1, v[8:9]
	v_mov_b32_e32 v7, s12
	v_add_co_u32_e32 v8, vcc, s9, v8
	v_addc_co_u32_e32 v7, vcc, v7, v9, vcc
	v_add_co_u32_e32 v8, vcc, v8, v46
	v_addc_co_u32_e32 v9, vcc, 0, v7, vcc
	global_load_dwordx4 v[8:11], v[8:9], off
	v_lshlrev_b32_e32 v12, 8, v49
	v_lshlrev_b32_e32 v6, 5, v6
	v_and_b32_e32 v7, 16, v47
	v_and_b32_e32 v12, 0xe00, v12
	v_or3_b32 v6, v12, v6, v7
	s_waitcnt vmcnt(0)
	ds_write_b128 v6, v[8:11]
.LBB876_11:
	s_or_b64 exec, exec, s[10:11]
	s_waitcnt lgkmcnt(0)
	s_mul_i32 s10, s8, s14
	s_add_u32 s8, s16, s10
	s_addc_u32 s9, s17, 0
	v_pk_mov_b32 v[8:9], s[8:9], s[8:9] op_sel:[0,1]
	s_waitcnt vmcnt(3)
	v_mad_i64_i32 v[10:11], s[8:9], v5, s13, v[8:9]
	v_lshlrev_b32_e32 v12, 4, v49
	v_and_b32_e32 v6, 48, v0
	v_add_co_u32_e32 v5, vcc, v10, v12
	v_lshlrev_b32_e32 v7, 5, v6
	v_addc_co_u32_e32 v11, vcc, 0, v11, vcc
	v_add_co_u32_e32 v10, vcc, v5, v7
	v_addc_co_u32_e32 v11, vcc, 0, v11, vcc
	s_waitcnt vmcnt(2)
	v_mad_i64_i32 v[4:5], s[8:9], v4, s13, v[8:9]
	v_or_b32_e32 v13, 0x100, v12
	v_add_co_u32_e32 v4, vcc, v4, v13
	v_addc_co_u32_e32 v5, vcc, 0, v5, vcc
	v_add_co_u32_e32 v4, vcc, v4, v7
	v_addc_co_u32_e32 v5, vcc, 0, v5, vcc
	s_barrier
	global_load_dwordx4 v[34:37], v[10:11], off
	global_load_dwordx4 v[38:41], v[4:5], off
	s_waitcnt vmcnt(3)
	v_mad_i64_i32 v[4:5], s[8:9], v3, s13, v[8:9]
	v_add_co_u32_e32 v3, vcc, v4, v12
	v_addc_co_u32_e32 v5, vcc, 0, v5, vcc
	v_add_co_u32_e32 v4, vcc, v3, v7
	v_addc_co_u32_e32 v5, vcc, 0, v5, vcc
	s_waitcnt vmcnt(2)
	v_mad_i64_i32 v[2:3], s[8:9], v2, s13, v[8:9]
	v_add_co_u32_e32 v2, vcc, v2, v13
	v_addc_co_u32_e32 v3, vcc, 0, v3, vcc
	v_add_co_u32_e32 v2, vcc, v2, v7
	v_addc_co_u32_e32 v3, vcc, 0, v3, vcc
	global_load_dwordx4 v[30:33], v[4:5], off
	global_load_dwordx4 v[22:25], v[2:3], off
	v_cmp_ne_u32_e32 vcc, 15, v49
	v_cndmask_b32_e32 v2, 0, v49, vcc
	v_lshlrev_b32_e32 v2, 5, v2
	v_lshl_or_b32 v2, v1, 9, v2
	ds_read_b128 v[26:29], v2
	ds_read_b128 v[18:21], v2 offset:16
	v_mov_b32_e32 v43, 0
	v_mov_b32_e32 v51, 0
	s_and_saveexec_b64 s[8:9], vcc
	s_cbranch_execz .LBB876_13
; %bb.12:
	s_load_dwordx2 s[14:15], s[4:5], 0x40
	v_add_u32_e32 v2, s25, v49
	v_ashrrev_i32_e32 v3, 31, v2
	v_lshlrev_b64 v[2:3], 2, v[2:3]
	s_waitcnt lgkmcnt(0)
	v_mov_b32_e32 v4, s15
	v_add_co_u32_e32 v2, vcc, s14, v2
	v_addc_co_u32_e32 v3, vcc, v4, v3, vcc
	global_load_dword v51, v[2:3], off
.LBB876_13:
	s_or_b64 exec, exec, s[8:9]
	s_ashr_i32 s8, s18, 31
	v_or_b32_e32 v8, s18, v6
	s_lshr_b32 s8, s8, 27
	v_add_u32_e32 v2, s8, v8
	v_ashrrev_i32_e32 v2, 5, v2
	v_mov_b32_e32 v9, s21
	v_cmp_gt_i32_e32 vcc, s33, v8
	v_cndmask_b32_e32 v2, v9, v2, vcc
	v_ashrrev_i32_e32 v3, 31, v2
	v_lshlrev_b64 v[2:3], 2, v[2:3]
	v_mov_b32_e32 v4, s20
	v_add_co_u32_e32 v2, vcc, s19, v2
	v_addc_co_u32_e32 v3, vcc, v4, v3, vcc
	v_or_b32_e32 v4, 64, v8
	v_add_u32_e32 v5, s8, v4
	v_ashrrev_i32_e32 v5, 5, v5
	v_cmp_gt_i32_e32 vcc, s33, v4
	v_cndmask_b32_e32 v4, v9, v5, vcc
	v_ashrrev_i32_e32 v5, 31, v4
	v_lshlrev_b64 v[4:5], 2, v[4:5]
	v_mov_b32_e32 v6, s20
	v_add_co_u32_e32 v4, vcc, s19, v4
	v_addc_co_u32_e32 v5, vcc, v6, v5, vcc
	v_or_b32_e32 v6, 0x80, v8
	v_add_u32_e32 v7, s8, v6
	v_ashrrev_i32_e32 v7, 5, v7
	v_cmp_gt_i32_e32 vcc, s33, v6
	v_cndmask_b32_e32 v6, v9, v7, vcc
	v_ashrrev_i32_e32 v7, 31, v6
	v_lshlrev_b64 v[6:7], 2, v[6:7]
	v_mov_b32_e32 v10, s20
	v_add_co_u32_e32 v6, vcc, s19, v6
	v_addc_co_u32_e32 v7, vcc, v10, v7, vcc
	global_load_dword v10, v[2:3], off
	global_load_dword v11, v[4:5], off
	;; [unrolled: 1-line block ×3, first 2 shown]
	v_or_b32_e32 v2, 0xc0, v8
	v_add_u32_e32 v3, s8, v2
	v_ashrrev_i32_e32 v3, 5, v3
	v_cmp_gt_i32_e32 vcc, s33, v2
	v_cndmask_b32_e32 v2, v9, v3, vcc
	v_ashrrev_i32_e32 v3, 31, v2
	v_lshlrev_b64 v[2:3], 2, v[2:3]
	v_mov_b32_e32 v4, s20
	v_add_co_u32_e32 v2, vcc, s19, v2
	v_addc_co_u32_e32 v3, vcc, v4, v3, vcc
	global_load_dword v13, v[2:3], off
	s_add_u32 s2, s2, s10
	v_and_b32_e32 v2, 16, v0
	s_addc_u32 s3, s3, 0
	v_lshlrev_b32_e32 v48, 5, v49
	v_mov_b32_e32 v4, s3
	v_add_co_u32_e32 v2, vcc, s2, v2
	v_lshl_or_b32 v3, v50, 9, v48
	v_addc_co_u32_e32 v4, vcc, 0, v4, vcc
	v_add_co_u32_e32 v2, vcc, v2, v3
	v_addc_co_u32_e32 v3, vcc, 0, v4, vcc
	s_movk_i32 s8, 0x80
	s_waitcnt vmcnt(7)
	v_cmp_ne_u16_sdwa s[10:11], v34, v43 src0_sel:BYTE_0 src1_sel:DWORD
	s_waitcnt vmcnt(3)
	v_mad_i64_i32 v[4:5], s[2:3], v10, s13, v[2:3]
	s_waitcnt vmcnt(2)
	v_mad_i64_i32 v[6:7], s[2:3], v11, s13, v[2:3]
	;; [unrolled: 2-line block ×4, first 2 shown]
	global_load_dwordx4 v[14:17], v[4:5], off
	global_load_dwordx4 v[10:13], v[6:7], off
	s_nop 0
	global_load_dwordx4 v[6:9], v[8:9], off
	s_nop 0
	global_load_dwordx4 v[2:5], v[2:3], off
	s_load_dwordx4 s[40:43], s[4:5], 0x80
	s_load_dwordx2 s[44:45], s[4:5], 0x94
	s_waitcnt lgkmcnt(0)
	s_load_dword s12, s[40:41], 0x0
	s_and_saveexec_b64 s[2:3], s[10:11]
	s_cbranch_execz .LBB876_19
; %bb.14:
	v_cmp_ne_u16_sdwa s[10:11], v34, s8 src0_sel:BYTE_0 src1_sel:DWORD
	v_mov_b32_e32 v43, 0xffff8000
	s_and_saveexec_b64 s[8:9], s[10:11]
	s_cbranch_execz .LBB876_18
; %bb.15:
	s_movk_i32 s10, 0x7f
	v_and_b32_e32 v42, 0x7f, v34
	v_cmp_ne_u32_e32 vcc, s10, v42
	v_mov_b32_e32 v43, 0x7f80
	s_and_saveexec_b64 s[10:11], vcc
	s_cbranch_execz .LBB876_17
; %bb.16:
	v_and_b32_e32 v43, 7, v34
	v_ffbh_u32_e32 v44, v43
	v_min_u32_e32 v53, 32, v44
	v_subrev_u32_e32 v44, 28, v53
	v_lshlrev_b64 v[44:45], v44, v[34:35]
	v_lshrrev_b32_e32 v52, 3, v42
	v_sub_u32_e32 v45, 29, v53
	v_and_b32_e32 v44, 7, v44
	v_cmp_gt_u32_e32 vcc, 8, v42
	v_cndmask_b32_e32 v42, v52, v45, vcc
	v_cndmask_b32_e32 v43, v43, v44, vcc
	v_lshlrev_b32_e32 v44, 24, v34
	v_bfrev_b32_e32 v45, 60
	v_lshlrev_b32_e32 v43, 20, v43
	v_and_b32_e32 v44, 0x80000000, v44
	v_lshl_add_u32 v42, v42, 23, v45
	v_or3_b32 v42, v44, v42, v43
	v_lshrrev_b32_e32 v43, 16, v42
.LBB876_17:
	s_or_b64 exec, exec, s[10:11]
.LBB876_18:
	s_or_b64 exec, exec, s[8:9]
.LBB876_19:
	s_or_b64 exec, exec, s[2:3]
	v_lshrrev_b16_e32 v42, 8, v34
	v_cmp_ne_u16_e32 vcc, 0, v42
	v_mov_b32_e32 v45, 0
	v_mov_b32_e32 v44, 0
	s_and_saveexec_b64 s[2:3], vcc
	s_cbranch_execz .LBB876_25
; %bb.20:
	s_movk_i32 s8, 0x80
	v_cmp_ne_u16_e32 vcc, s8, v42
	v_mov_b32_e32 v44, 0xffff8000
	s_and_saveexec_b64 s[8:9], vcc
	s_cbranch_execz .LBB876_24
; %bb.21:
	s_movk_i32 s10, 0x7f
	v_and_b32_e32 v52, 0x7f, v42
	v_cmp_ne_u32_e32 vcc, s10, v52
	v_mov_b32_e32 v44, 0x7f80
	s_and_saveexec_b64 s[10:11], vcc
	s_cbranch_execz .LBB876_23
; %bb.22:
	v_and_b32_e32 v44, 7, v42
	v_ffbh_u32_e32 v54, v44
	v_min_u32_e32 v56, 32, v54
	v_subrev_u32_e32 v54, 28, v56
	v_lshlrev_b64 v[54:55], v54, v[42:43]
	v_lshrrev_b32_e32 v53, 3, v52
	v_sub_u32_e32 v42, 29, v56
	v_and_b32_e32 v54, 7, v54
	v_cmp_gt_u32_e32 vcc, 8, v52
	v_cndmask_b32_e32 v42, v53, v42, vcc
	v_cndmask_b32_e32 v44, v44, v54, vcc
	v_lshlrev_b32_e32 v52, 16, v34
	v_bfrev_b32_e32 v53, 60
	v_lshlrev_b32_e32 v44, 20, v44
	v_and_b32_e32 v52, 0x80000000, v52
	v_lshl_add_u32 v42, v42, 23, v53
	v_or3_b32 v42, v52, v42, v44
	v_lshrrev_b32_e32 v44, 16, v42
.LBB876_23:
	s_or_b64 exec, exec, s[10:11]
.LBB876_24:
	s_or_b64 exec, exec, s[8:9]
.LBB876_25:
	s_or_b64 exec, exec, s[2:3]
	s_movk_i32 s2, 0xff
	v_and_b32_sdwa v52, v34, s2 dst_sel:DWORD dst_unused:UNUSED_PAD src0_sel:WORD_1 src1_sel:DWORD
	v_lshrrev_b32_e32 v42, 16, v34
	v_cmp_ne_u16_e32 vcc, 0, v52
	s_and_saveexec_b64 s[2:3], vcc
	s_cbranch_execz .LBB876_31
; %bb.26:
	s_movk_i32 s8, 0x80
	v_cmp_ne_u16_e32 vcc, s8, v52
	v_mov_b32_e32 v45, 0xffff8000
	s_and_saveexec_b64 s[8:9], vcc
	s_cbranch_execz .LBB876_30
; %bb.27:
	v_bfe_u32 v52, v34, 16, 7
	s_movk_i32 s10, 0x7f
	v_cmp_ne_u32_e32 vcc, s10, v52
	v_mov_b32_e32 v45, 0x7f80
	s_and_saveexec_b64 s[10:11], vcc
	s_cbranch_execz .LBB876_29
; %bb.28:
	v_and_b32_e32 v45, 7, v42
	v_ffbh_u32_e32 v54, v45
	v_min_u32_e32 v56, 32, v54
	v_subrev_u32_e32 v54, 28, v56
	v_lshlrev_b64 v[54:55], v54, v[42:43]
	v_lshrrev_b32_e32 v53, 3, v52
	v_sub_u32_e32 v42, 29, v56
	v_and_b32_e32 v54, 7, v54
	v_cmp_gt_u32_e32 vcc, 8, v52
	v_mov_b32_e32 v52, 24
	v_cndmask_b32_e32 v42, v53, v42, vcc
	v_cndmask_b32_e32 v45, v45, v54, vcc
	v_lshlrev_b32_sdwa v52, v52, v34 dst_sel:DWORD dst_unused:UNUSED_PAD src0_sel:DWORD src1_sel:WORD_1
	v_bfrev_b32_e32 v53, 60
	v_lshlrev_b32_e32 v45, 20, v45
	v_and_b32_e32 v52, 0x80000000, v52
	v_lshl_add_u32 v42, v42, 23, v53
	v_or3_b32 v42, v52, v42, v45
	v_lshrrev_b32_e32 v45, 16, v42
.LBB876_29:
	s_or_b64 exec, exec, s[10:11]
.LBB876_30:
	s_or_b64 exec, exec, s[8:9]
.LBB876_31:
	s_or_b64 exec, exec, s[2:3]
	s_mov_b32 s2, 0xffffff
	v_cmp_lt_u32_e32 vcc, s2, v34
	v_mov_b32_e32 v53, 0
	v_mov_b32_e32 v54, 0
	s_and_saveexec_b64 s[2:3], vcc
	s_cbranch_execz .LBB876_37
; %bb.32:
	v_lshrrev_b32_e32 v42, 24, v34
	s_movk_i32 s8, 0x80
	v_cmp_ne_u32_e32 vcc, s8, v42
	v_mov_b32_e32 v54, 0xffff8000
	s_and_saveexec_b64 s[8:9], vcc
	s_cbranch_execz .LBB876_36
; %bb.33:
	v_bfe_u32 v34, v34, 24, 7
	s_movk_i32 s10, 0x7f
	v_cmp_ne_u32_e32 vcc, s10, v34
	v_mov_b32_e32 v54, 0x7f80
	s_and_saveexec_b64 s[10:11], vcc
	s_cbranch_execz .LBB876_35
; %bb.34:
	v_and_b32_e32 v52, 7, v42
	v_ffbh_u32_e32 v54, v52
	v_min_u32_e32 v57, 32, v54
	v_subrev_u32_e32 v54, 28, v57
	v_lshlrev_b64 v[54:55], v54, v[42:43]
	v_lshrrev_b32_e32 v56, 3, v34
	v_sub_u32_e32 v55, 29, v57
	v_and_b32_e32 v54, 7, v54
	v_cmp_gt_u32_e32 vcc, 8, v34
	v_cndmask_b32_e32 v34, v56, v55, vcc
	v_cndmask_b32_e32 v52, v52, v54, vcc
	v_lshlrev_b32_e32 v42, 24, v42
	v_bfrev_b32_e32 v54, 60
	v_lshlrev_b32_e32 v52, 20, v52
	v_and_b32_e32 v42, 0x80000000, v42
	v_lshl_add_u32 v34, v34, 23, v54
	v_or3_b32 v34, v42, v34, v52
	v_lshrrev_b32_e32 v54, 16, v34
.LBB876_35:
	s_or_b64 exec, exec, s[10:11]
.LBB876_36:
	s_or_b64 exec, exec, s[8:9]
.LBB876_37:
	s_or_b64 exec, exec, s[2:3]
	v_cmp_ne_u16_sdwa s[8:9], v35, v53 src0_sel:BYTE_0 src1_sel:DWORD
	s_and_saveexec_b64 s[2:3], s[8:9]
	s_cbranch_execz .LBB876_43
; %bb.38:
	s_movk_i32 s8, 0x80
	v_cmp_ne_u16_sdwa s[10:11], v35, s8 src0_sel:BYTE_0 src1_sel:DWORD
	v_mov_b32_e32 v53, 0xffff8000
	s_and_saveexec_b64 s[8:9], s[10:11]
	s_cbranch_execz .LBB876_42
; %bb.39:
	s_movk_i32 s10, 0x7f
	v_and_b32_e32 v34, 0x7f, v35
	v_cmp_ne_u32_e32 vcc, s10, v34
	v_mov_b32_e32 v53, 0x7f80
	s_and_saveexec_b64 s[10:11], vcc
	s_cbranch_execz .LBB876_41
; %bb.40:
	v_and_b32_e32 v55, 7, v35
	v_ffbh_u32_e32 v52, v55
	v_min_u32_e32 v57, 32, v52
	v_mov_b32_e32 v42, v35
	v_subrev_u32_e32 v52, 28, v57
	v_lshlrev_b64 v[52:53], v52, v[42:43]
	v_lshrrev_b32_e32 v56, 3, v34
	v_sub_u32_e32 v42, 29, v57
	v_and_b32_e32 v52, 7, v52
	v_cmp_gt_u32_e32 vcc, 8, v34
	v_cndmask_b32_e32 v34, v56, v42, vcc
	v_cndmask_b32_e32 v42, v55, v52, vcc
	v_lshlrev_b32_e32 v52, 24, v35
	v_bfrev_b32_e32 v53, 60
	v_lshlrev_b32_e32 v42, 20, v42
	v_and_b32_e32 v52, 0x80000000, v52
	v_lshl_add_u32 v34, v34, 23, v53
	v_or3_b32 v34, v52, v34, v42
	v_lshrrev_b32_e32 v53, 16, v34
.LBB876_41:
	s_or_b64 exec, exec, s[10:11]
.LBB876_42:
	s_or_b64 exec, exec, s[8:9]
.LBB876_43:
	s_or_b64 exec, exec, s[2:3]
	v_lshrrev_b16_e32 v34, 8, v35
	v_cmp_ne_u16_e32 vcc, 0, v34
	v_mov_b32_e32 v55, 0
	v_mov_b32_e32 v42, 0
	s_and_saveexec_b64 s[2:3], vcc
	s_cbranch_execz .LBB876_49
; %bb.44:
	s_movk_i32 s8, 0x80
	v_cmp_ne_u16_e32 vcc, s8, v34
	v_mov_b32_e32 v42, 0xffff8000
	s_and_saveexec_b64 s[8:9], vcc
	s_cbranch_execz .LBB876_48
; %bb.45:
	s_movk_i32 s10, 0x7f
	v_and_b32_e32 v52, 0x7f, v34
	v_cmp_ne_u32_e32 vcc, s10, v52
	v_mov_b32_e32 v42, 0x7f80
	s_and_saveexec_b64 s[10:11], vcc
	s_cbranch_execz .LBB876_47
; %bb.46:
	v_and_b32_e32 v42, 7, v34
	v_ffbh_u32_e32 v56, v42
	v_min_u32_e32 v59, 32, v56
	v_subrev_u32_e32 v56, 28, v59
	v_lshlrev_b64 v[56:57], v56, v[34:35]
	v_lshrrev_b32_e32 v58, 3, v52
	v_sub_u32_e32 v34, 29, v59
	v_and_b32_e32 v56, 7, v56
	v_cmp_gt_u32_e32 vcc, 8, v52
	v_cndmask_b32_e32 v34, v58, v34, vcc
	v_cndmask_b32_e32 v42, v42, v56, vcc
	v_lshlrev_b32_e32 v52, 16, v35
	v_bfrev_b32_e32 v56, 60
	v_lshlrev_b32_e32 v42, 20, v42
	v_and_b32_e32 v52, 0x80000000, v52
	v_lshl_add_u32 v34, v34, 23, v56
	v_or3_b32 v34, v52, v34, v42
	v_lshrrev_b32_e32 v42, 16, v34
.LBB876_47:
	s_or_b64 exec, exec, s[10:11]
.LBB876_48:
	s_or_b64 exec, exec, s[8:9]
.LBB876_49:
	s_or_b64 exec, exec, s[2:3]
	s_movk_i32 s2, 0xff
	v_and_b32_sdwa v52, v35, s2 dst_sel:DWORD dst_unused:UNUSED_PAD src0_sel:WORD_1 src1_sel:DWORD
	v_lshrrev_b32_e32 v34, 16, v35
	v_cmp_ne_u16_e32 vcc, 0, v52
	s_and_saveexec_b64 s[2:3], vcc
	s_cbranch_execz .LBB876_55
; %bb.50:
	s_movk_i32 s8, 0x80
	v_cmp_ne_u16_e32 vcc, s8, v52
	v_mov_b32_e32 v55, 0xffff8000
	s_and_saveexec_b64 s[8:9], vcc
	s_cbranch_execz .LBB876_54
; %bb.51:
	v_bfe_u32 v52, v35, 16, 7
	s_movk_i32 s10, 0x7f
	v_cmp_ne_u32_e32 vcc, s10, v52
	v_mov_b32_e32 v55, 0x7f80
	s_and_saveexec_b64 s[10:11], vcc
	s_cbranch_execz .LBB876_53
; %bb.52:
	v_and_b32_e32 v55, 7, v34
	v_ffbh_u32_e32 v56, v55
	v_min_u32_e32 v59, 32, v56
	v_subrev_u32_e32 v56, 28, v59
	v_lshlrev_b64 v[56:57], v56, v[34:35]
	v_and_b32_e32 v56, 7, v56
	v_cmp_gt_u32_e32 vcc, 8, v52
	v_lshrrev_b32_e32 v58, 3, v52
	v_sub_u32_e32 v34, 29, v59
	v_cndmask_b32_e32 v52, v55, v56, vcc
	v_mov_b32_e32 v55, 24
	v_cndmask_b32_e32 v34, v58, v34, vcc
	v_lshlrev_b32_sdwa v55, v55, v35 dst_sel:DWORD dst_unused:UNUSED_PAD src0_sel:DWORD src1_sel:WORD_1
	v_bfrev_b32_e32 v56, 60
	v_lshlrev_b32_e32 v52, 20, v52
	v_and_b32_e32 v55, 0x80000000, v55
	v_lshl_add_u32 v34, v34, 23, v56
	v_or3_b32 v34, v55, v34, v52
	v_lshrrev_b32_e32 v55, 16, v34
.LBB876_53:
	s_or_b64 exec, exec, s[10:11]
.LBB876_54:
	s_or_b64 exec, exec, s[8:9]
.LBB876_55:
	s_or_b64 exec, exec, s[2:3]
	s_mov_b32 s2, 0xffffff
	v_cmp_lt_u32_e32 vcc, s2, v35
	v_mov_b32_e32 v52, 0
	v_mov_b32_e32 v56, 0
	s_and_saveexec_b64 s[2:3], vcc
	s_cbranch_execz .LBB876_61
; %bb.56:
	v_lshrrev_b32_e32 v34, 24, v35
	s_movk_i32 s8, 0x80
	v_cmp_ne_u32_e32 vcc, s8, v34
	v_mov_b32_e32 v56, 0xffff8000
	s_and_saveexec_b64 s[8:9], vcc
	s_cbranch_execz .LBB876_60
; %bb.57:
	v_bfe_u32 v35, v35, 24, 7
	s_movk_i32 s10, 0x7f
	v_cmp_ne_u32_e32 vcc, s10, v35
	v_mov_b32_e32 v56, 0x7f80
	s_and_saveexec_b64 s[10:11], vcc
	s_cbranch_execz .LBB876_59
; %bb.58:
	v_and_b32_e32 v58, 7, v34
	v_ffbh_u32_e32 v56, v58
	v_min_u32_e32 v60, 32, v56
	v_subrev_u32_e32 v56, 28, v60
	v_lshlrev_b64 v[56:57], v56, v[34:35]
	v_lshrrev_b32_e32 v59, 3, v35
	v_sub_u32_e32 v57, 29, v60
	v_and_b32_e32 v56, 7, v56
	v_cmp_gt_u32_e32 vcc, 8, v35
	v_cndmask_b32_e32 v35, v59, v57, vcc
	v_cndmask_b32_e32 v56, v58, v56, vcc
	v_lshlrev_b32_e32 v34, 24, v34
	v_bfrev_b32_e32 v57, 60
	v_lshlrev_b32_e32 v56, 20, v56
	v_and_b32_e32 v34, 0x80000000, v34
	v_lshl_add_u32 v35, v35, 23, v57
	v_or3_b32 v34, v34, v35, v56
	v_lshrrev_b32_e32 v56, 16, v34
.LBB876_59:
	s_or_b64 exec, exec, s[10:11]
.LBB876_60:
	s_or_b64 exec, exec, s[8:9]
.LBB876_61:
	s_or_b64 exec, exec, s[2:3]
	s_mov_b32 s2, 0x5040100
	v_perm_b32 v35, v54, v45, s2
	v_perm_b32 v34, v44, v43, s2
	v_cmp_ne_u16_sdwa s[8:9], v36, v52 src0_sel:BYTE_0 src1_sel:DWORD
	s_nop 0
	v_mfma_f32_16x16x16bf16_1k v[58:61], v[34:35], v[26:27], 0
	v_perm_b32 v35, v56, v55, s2
	v_perm_b32 v34, v42, v53, s2
	s_nop 1
	v_mfma_f32_16x16x16bf16_1k v[42:45], v[34:35], v[28:29], v[58:61]
	s_and_saveexec_b64 s[2:3], s[8:9]
	s_cbranch_execz .LBB876_67
; %bb.62:
	s_movk_i32 s8, 0x80
	v_cmp_ne_u16_sdwa s[10:11], v36, s8 src0_sel:BYTE_0 src1_sel:DWORD
	v_mov_b32_e32 v52, 0xffff8000
	s_and_saveexec_b64 s[8:9], s[10:11]
	s_cbranch_execz .LBB876_66
; %bb.63:
	s_movk_i32 s10, 0x7f
	v_and_b32_e32 v34, 0x7f, v36
	v_cmp_ne_u32_e32 vcc, s10, v34
	v_mov_b32_e32 v52, 0x7f80
	s_and_saveexec_b64 s[10:11], vcc
	s_cbranch_execz .LBB876_65
; %bb.64:
	v_and_b32_e32 v35, 7, v36
	v_ffbh_u32_e32 v52, v35
	v_min_u32_e32 v55, 32, v52
	v_subrev_u32_e32 v52, 28, v55
	v_lshlrev_b64 v[52:53], v52, v[36:37]
	v_lshrrev_b32_e32 v54, 3, v34
	v_sub_u32_e32 v53, 29, v55
	v_and_b32_e32 v52, 7, v52
	v_cmp_gt_u32_e32 vcc, 8, v34
	v_cndmask_b32_e32 v34, v54, v53, vcc
	v_cndmask_b32_e32 v35, v35, v52, vcc
	v_lshlrev_b32_e32 v52, 24, v36
	v_bfrev_b32_e32 v53, 60
	v_lshlrev_b32_e32 v35, 20, v35
	v_and_b32_e32 v52, 0x80000000, v52
	v_lshl_add_u32 v34, v34, 23, v53
	v_or3_b32 v34, v52, v34, v35
	v_lshrrev_b32_e32 v52, 16, v34
.LBB876_65:
	s_or_b64 exec, exec, s[10:11]
.LBB876_66:
	s_or_b64 exec, exec, s[8:9]
.LBB876_67:
	s_or_b64 exec, exec, s[2:3]
	v_lshrrev_b16_e32 v34, 8, v36
	v_cmp_ne_u16_e32 vcc, 0, v34
	v_mov_b32_e32 v54, 0
	v_mov_b32_e32 v35, 0
	s_and_saveexec_b64 s[2:3], vcc
	s_cbranch_execz .LBB876_73
; %bb.68:
	s_movk_i32 s8, 0x80
	v_cmp_ne_u16_e32 vcc, s8, v34
	v_mov_b32_e32 v35, 0xffff8000
	s_and_saveexec_b64 s[8:9], vcc
	s_cbranch_execz .LBB876_72
; %bb.69:
	s_movk_i32 s10, 0x7f
	v_and_b32_e32 v53, 0x7f, v34
	v_cmp_ne_u32_e32 vcc, s10, v53
	v_mov_b32_e32 v35, 0x7f80
	s_and_saveexec_b64 s[10:11], vcc
	s_cbranch_execz .LBB876_71
; %bb.70:
	v_and_b32_e32 v55, 7, v34
	v_ffbh_u32_e32 v35, v55
	v_min_u32_e32 v57, 32, v35
	v_subrev_u32_e32 v35, 28, v57
	v_lshlrev_b64 v[34:35], v35, v[34:35]
	v_lshrrev_b32_e32 v56, 3, v53
	v_sub_u32_e32 v35, 29, v57
	v_and_b32_e32 v34, 7, v34
	v_cmp_gt_u32_e32 vcc, 8, v53
	v_cndmask_b32_e32 v35, v56, v35, vcc
	v_cndmask_b32_e32 v34, v55, v34, vcc
	v_lshlrev_b32_e32 v53, 16, v36
	v_bfrev_b32_e32 v55, 60
	v_lshlrev_b32_e32 v34, 20, v34
	v_and_b32_e32 v53, 0x80000000, v53
	v_lshl_add_u32 v35, v35, 23, v55
	v_or3_b32 v34, v53, v35, v34
	v_lshrrev_b32_e32 v35, 16, v34
.LBB876_71:
	s_or_b64 exec, exec, s[10:11]
.LBB876_72:
	s_or_b64 exec, exec, s[8:9]
.LBB876_73:
	s_or_b64 exec, exec, s[2:3]
	s_movk_i32 s2, 0xff
	v_and_b32_sdwa v53, v36, s2 dst_sel:DWORD dst_unused:UNUSED_PAD src0_sel:WORD_1 src1_sel:DWORD
	v_lshrrev_b32_e32 v34, 16, v36
	v_cmp_ne_u16_e32 vcc, 0, v53
	s_and_saveexec_b64 s[2:3], vcc
	s_cbranch_execz .LBB876_79
; %bb.74:
	s_movk_i32 s8, 0x80
	v_cmp_ne_u16_e32 vcc, s8, v53
	v_mov_b32_e32 v54, 0xffff8000
	s_and_saveexec_b64 s[8:9], vcc
	s_cbranch_execz .LBB876_78
; %bb.75:
	v_bfe_u32 v53, v36, 16, 7
	s_movk_i32 s10, 0x7f
	v_cmp_ne_u32_e32 vcc, s10, v53
	v_mov_b32_e32 v54, 0x7f80
	s_and_saveexec_b64 s[10:11], vcc
	s_cbranch_execz .LBB876_77
; %bb.76:
	v_and_b32_e32 v56, 7, v34
	v_ffbh_u32_e32 v54, v56
	v_min_u32_e32 v58, 32, v54
	v_subrev_u32_e32 v54, 28, v58
	v_lshlrev_b64 v[54:55], v54, v[34:35]
	v_and_b32_e32 v54, 7, v54
	v_cmp_gt_u32_e32 vcc, 8, v53
	v_lshrrev_b32_e32 v57, 3, v53
	v_sub_u32_e32 v34, 29, v58
	v_cndmask_b32_e32 v53, v56, v54, vcc
	v_mov_b32_e32 v54, 24
	v_cndmask_b32_e32 v34, v57, v34, vcc
	v_lshlrev_b32_sdwa v54, v54, v36 dst_sel:DWORD dst_unused:UNUSED_PAD src0_sel:DWORD src1_sel:WORD_1
	v_bfrev_b32_e32 v55, 60
	v_lshlrev_b32_e32 v53, 20, v53
	v_and_b32_e32 v54, 0x80000000, v54
	v_lshl_add_u32 v34, v34, 23, v55
	v_or3_b32 v34, v54, v34, v53
	v_lshrrev_b32_e32 v54, 16, v34
.LBB876_77:
	s_or_b64 exec, exec, s[10:11]
.LBB876_78:
	s_or_b64 exec, exec, s[8:9]
.LBB876_79:
	s_or_b64 exec, exec, s[2:3]
	s_mov_b32 s2, 0xffffff
	v_cmp_lt_u32_e32 vcc, s2, v36
	v_mov_b32_e32 v55, 0
	v_mov_b32_e32 v56, 0
	s_and_saveexec_b64 s[2:3], vcc
	s_cbranch_execz .LBB876_85
; %bb.80:
	v_lshrrev_b32_e32 v34, 24, v36
	s_movk_i32 s8, 0x80
	v_cmp_ne_u32_e32 vcc, s8, v34
	v_mov_b32_e32 v56, 0xffff8000
	s_and_saveexec_b64 s[8:9], vcc
	s_cbranch_execz .LBB876_84
; %bb.81:
	v_bfe_u32 v36, v36, 24, 7
	s_movk_i32 s10, 0x7f
	v_cmp_ne_u32_e32 vcc, s10, v36
	v_mov_b32_e32 v56, 0x7f80
	s_and_saveexec_b64 s[10:11], vcc
	s_cbranch_execz .LBB876_83
; %bb.82:
	v_and_b32_e32 v53, 7, v34
	v_ffbh_u32_e32 v56, v53
	v_min_u32_e32 v59, 32, v56
	v_subrev_u32_e32 v56, 28, v59
	v_lshlrev_b64 v[56:57], v56, v[34:35]
	v_lshrrev_b32_e32 v58, 3, v36
	v_sub_u32_e32 v57, 29, v59
	v_and_b32_e32 v56, 7, v56
	v_cmp_gt_u32_e32 vcc, 8, v36
	v_cndmask_b32_e32 v36, v58, v57, vcc
	v_cndmask_b32_e32 v53, v53, v56, vcc
	v_lshlrev_b32_e32 v34, 24, v34
	v_bfrev_b32_e32 v56, 60
	v_lshlrev_b32_e32 v53, 20, v53
	v_and_b32_e32 v34, 0x80000000, v34
	v_lshl_add_u32 v36, v36, 23, v56
	v_or3_b32 v34, v34, v36, v53
	v_lshrrev_b32_e32 v56, 16, v34
.LBB876_83:
	s_or_b64 exec, exec, s[10:11]
.LBB876_84:
	s_or_b64 exec, exec, s[8:9]
.LBB876_85:
	s_or_b64 exec, exec, s[2:3]
	v_cmp_ne_u16_sdwa s[8:9], v37, v55 src0_sel:BYTE_0 src1_sel:DWORD
	s_and_saveexec_b64 s[2:3], s[8:9]
	s_cbranch_execz .LBB876_91
; %bb.86:
	s_movk_i32 s8, 0x80
	v_cmp_ne_u16_sdwa s[10:11], v37, s8 src0_sel:BYTE_0 src1_sel:DWORD
	v_mov_b32_e32 v55, 0xffff8000
	s_and_saveexec_b64 s[8:9], s[10:11]
	s_cbranch_execz .LBB876_90
; %bb.87:
	s_movk_i32 s10, 0x7f
	v_and_b32_e32 v34, 0x7f, v37
	v_cmp_ne_u32_e32 vcc, s10, v34
	v_mov_b32_e32 v55, 0x7f80
	s_and_saveexec_b64 s[10:11], vcc
	s_cbranch_execz .LBB876_89
; %bb.88:
	v_and_b32_e32 v53, 7, v37
	v_ffbh_u32_e32 v57, v53
	v_min_u32_e32 v57, 32, v57
	v_mov_b32_e32 v36, v37
	v_subrev_u32_e32 v58, 28, v57
	v_lshlrev_b64 v[58:59], v58, v[36:37]
	v_lshrrev_b32_e32 v55, 3, v34
	v_sub_u32_e32 v36, 29, v57
	v_and_b32_e32 v57, 7, v58
	v_cmp_gt_u32_e32 vcc, 8, v34
	v_cndmask_b32_e32 v34, v55, v36, vcc
	v_cndmask_b32_e32 v36, v53, v57, vcc
	v_lshlrev_b32_e32 v53, 24, v37
	v_bfrev_b32_e32 v55, 60
	v_lshlrev_b32_e32 v36, 20, v36
	v_and_b32_e32 v53, 0x80000000, v53
	v_lshl_add_u32 v34, v34, 23, v55
	v_or3_b32 v34, v53, v34, v36
	v_lshrrev_b32_e32 v55, 16, v34
.LBB876_89:
	s_or_b64 exec, exec, s[10:11]
.LBB876_90:
	s_or_b64 exec, exec, s[8:9]
.LBB876_91:
	s_or_b64 exec, exec, s[2:3]
	v_lshrrev_b16_e32 v34, 8, v37
	v_cmp_ne_u16_e32 vcc, 0, v34
	v_mov_b32_e32 v57, 0
	v_mov_b32_e32 v36, 0
	s_and_saveexec_b64 s[2:3], vcc
	s_cbranch_execz .LBB876_97
; %bb.92:
	s_movk_i32 s8, 0x80
	v_cmp_ne_u16_e32 vcc, s8, v34
	v_mov_b32_e32 v36, 0xffff8000
	s_and_saveexec_b64 s[8:9], vcc
	s_cbranch_execz .LBB876_96
; %bb.93:
	s_movk_i32 s10, 0x7f
	v_and_b32_e32 v53, 0x7f, v34
	v_cmp_ne_u32_e32 vcc, s10, v53
	v_mov_b32_e32 v36, 0x7f80
	s_and_saveexec_b64 s[10:11], vcc
	s_cbranch_execz .LBB876_95
; %bb.94:
	v_and_b32_e32 v36, 7, v34
	v_ffbh_u32_e32 v58, v36
	v_min_u32_e32 v61, 32, v58
	v_subrev_u32_e32 v58, 28, v61
	v_lshlrev_b64 v[58:59], v58, v[34:35]
	v_lshrrev_b32_e32 v60, 3, v53
	v_sub_u32_e32 v34, 29, v61
	v_and_b32_e32 v58, 7, v58
	v_cmp_gt_u32_e32 vcc, 8, v53
	v_cndmask_b32_e32 v34, v60, v34, vcc
	v_cndmask_b32_e32 v36, v36, v58, vcc
	v_lshlrev_b32_e32 v53, 16, v37
	v_bfrev_b32_e32 v58, 60
	v_lshlrev_b32_e32 v36, 20, v36
	v_and_b32_e32 v53, 0x80000000, v53
	v_lshl_add_u32 v34, v34, 23, v58
	v_or3_b32 v34, v53, v34, v36
	v_lshrrev_b32_e32 v36, 16, v34
.LBB876_95:
	s_or_b64 exec, exec, s[10:11]
.LBB876_96:
	s_or_b64 exec, exec, s[8:9]
.LBB876_97:
	s_or_b64 exec, exec, s[2:3]
	s_movk_i32 s2, 0xff
	v_and_b32_sdwa v53, v37, s2 dst_sel:DWORD dst_unused:UNUSED_PAD src0_sel:WORD_1 src1_sel:DWORD
	v_lshrrev_b32_e32 v34, 16, v37
	v_cmp_ne_u16_e32 vcc, 0, v53
	s_and_saveexec_b64 s[2:3], vcc
	s_cbranch_execz .LBB876_103
; %bb.98:
	s_movk_i32 s8, 0x80
	v_cmp_ne_u16_e32 vcc, s8, v53
	v_mov_b32_e32 v57, 0xffff8000
	s_and_saveexec_b64 s[8:9], vcc
	s_cbranch_execz .LBB876_102
; %bb.99:
	v_bfe_u32 v53, v37, 16, 7
	s_movk_i32 s10, 0x7f
	v_cmp_ne_u32_e32 vcc, s10, v53
	v_mov_b32_e32 v57, 0x7f80
	s_and_saveexec_b64 s[10:11], vcc
	s_cbranch_execz .LBB876_101
; %bb.100:
	v_and_b32_e32 v57, 7, v34
	v_ffbh_u32_e32 v58, v57
	v_min_u32_e32 v61, 32, v58
	v_subrev_u32_e32 v58, 28, v61
	v_lshlrev_b64 v[58:59], v58, v[34:35]
	v_and_b32_e32 v58, 7, v58
	v_cmp_gt_u32_e32 vcc, 8, v53
	v_lshrrev_b32_e32 v60, 3, v53
	v_sub_u32_e32 v34, 29, v61
	v_cndmask_b32_e32 v53, v57, v58, vcc
	v_mov_b32_e32 v57, 24
	v_cndmask_b32_e32 v34, v60, v34, vcc
	v_lshlrev_b32_sdwa v57, v57, v37 dst_sel:DWORD dst_unused:UNUSED_PAD src0_sel:DWORD src1_sel:WORD_1
	v_bfrev_b32_e32 v58, 60
	v_lshlrev_b32_e32 v53, 20, v53
	v_and_b32_e32 v57, 0x80000000, v57
	v_lshl_add_u32 v34, v34, 23, v58
	v_or3_b32 v34, v57, v34, v53
	v_lshrrev_b32_e32 v57, 16, v34
.LBB876_101:
	s_or_b64 exec, exec, s[10:11]
.LBB876_102:
	s_or_b64 exec, exec, s[8:9]
.LBB876_103:
	s_or_b64 exec, exec, s[2:3]
	s_mov_b32 s2, 0xffffff
	v_cmp_lt_u32_e32 vcc, s2, v37
	v_mov_b32_e32 v53, 0
	v_mov_b32_e32 v58, 0
	s_and_saveexec_b64 s[2:3], vcc
	s_cbranch_execz .LBB876_109
; %bb.104:
	v_lshrrev_b32_e32 v34, 24, v37
	s_movk_i32 s8, 0x80
	v_cmp_ne_u32_e32 vcc, s8, v34
	v_mov_b32_e32 v58, 0xffff8000
	s_and_saveexec_b64 s[8:9], vcc
	s_cbranch_execz .LBB876_108
; %bb.105:
	v_bfe_u32 v37, v37, 24, 7
	s_movk_i32 s10, 0x7f
	v_cmp_ne_u32_e32 vcc, s10, v37
	v_mov_b32_e32 v58, 0x7f80
	s_and_saveexec_b64 s[10:11], vcc
	s_cbranch_execz .LBB876_107
; %bb.106:
	v_and_b32_e32 v60, 7, v34
	v_ffbh_u32_e32 v58, v60
	v_min_u32_e32 v62, 32, v58
	v_subrev_u32_e32 v58, 28, v62
	v_lshlrev_b64 v[58:59], v58, v[34:35]
	v_lshrrev_b32_e32 v61, 3, v37
	v_sub_u32_e32 v59, 29, v62
	v_and_b32_e32 v58, 7, v58
	v_cmp_gt_u32_e32 vcc, 8, v37
	v_cndmask_b32_e32 v37, v61, v59, vcc
	v_cndmask_b32_e32 v58, v60, v58, vcc
	v_lshlrev_b32_e32 v34, 24, v34
	v_bfrev_b32_e32 v59, 60
	v_lshlrev_b32_e32 v58, 20, v58
	v_and_b32_e32 v34, 0x80000000, v34
	v_lshl_add_u32 v37, v37, 23, v59
	v_or3_b32 v34, v34, v37, v58
	v_lshrrev_b32_e32 v58, 16, v34
.LBB876_107:
	s_or_b64 exec, exec, s[10:11]
.LBB876_108:
	s_or_b64 exec, exec, s[8:9]
.LBB876_109:
	s_or_b64 exec, exec, s[2:3]
	s_mov_b32 s2, 0x5040100
	v_perm_b32 v61, v56, v54, s2
	v_perm_b32 v60, v35, v52, s2
	;; [unrolled: 1-line block ×4, first 2 shown]
	v_cmp_ne_u16_sdwa s[8:9], v38, v53 src0_sel:BYTE_0 src1_sel:DWORD
	v_mfma_f32_16x16x16bf16_1k v[42:45], v[60:61], v[18:19], v[42:45]
	v_mfma_f32_16x16x16bf16_1k v[34:37], v[34:35], v[20:21], v[42:45]
	s_and_saveexec_b64 s[2:3], s[8:9]
	s_cbranch_execz .LBB876_115
; %bb.110:
	s_movk_i32 s8, 0x80
	v_cmp_ne_u16_sdwa s[10:11], v38, s8 src0_sel:BYTE_0 src1_sel:DWORD
	v_mov_b32_e32 v53, 0xffff8000
	s_and_saveexec_b64 s[8:9], s[10:11]
	s_cbranch_execz .LBB876_114
; %bb.111:
	s_movk_i32 s10, 0x7f
	s_nop 1
	v_and_b32_e32 v42, 0x7f, v38
	v_cmp_ne_u32_e32 vcc, s10, v42
	v_mov_b32_e32 v53, 0x7f80
	s_and_saveexec_b64 s[10:11], vcc
	s_cbranch_execz .LBB876_113
; %bb.112:
	v_and_b32_e32 v43, 7, v38
	v_ffbh_u32_e32 v44, v43
	v_min_u32_e32 v53, 32, v44
	v_subrev_u32_e32 v44, 28, v53
	v_lshlrev_b64 v[44:45], v44, v[38:39]
	v_lshrrev_b32_e32 v52, 3, v42
	v_sub_u32_e32 v45, 29, v53
	v_and_b32_e32 v44, 7, v44
	v_cmp_gt_u32_e32 vcc, 8, v42
	v_cndmask_b32_e32 v42, v52, v45, vcc
	v_cndmask_b32_e32 v43, v43, v44, vcc
	v_lshlrev_b32_e32 v44, 24, v38
	v_bfrev_b32_e32 v45, 60
	v_lshlrev_b32_e32 v43, 20, v43
	v_and_b32_e32 v44, 0x80000000, v44
	v_lshl_add_u32 v42, v42, 23, v45
	v_or3_b32 v42, v44, v42, v43
	v_lshrrev_b32_e32 v53, 16, v42
.LBB876_113:
	s_or_b64 exec, exec, s[10:11]
.LBB876_114:
	s_or_b64 exec, exec, s[8:9]
.LBB876_115:
	s_or_b64 exec, exec, s[2:3]
	s_nop 6
	v_lshrrev_b16_e32 v42, 8, v38
	v_cmp_ne_u16_e32 vcc, 0, v42
	v_mov_b32_e32 v44, 0
	v_mov_b32_e32 v43, 0
	s_and_saveexec_b64 s[2:3], vcc
	s_cbranch_execz .LBB876_121
; %bb.116:
	s_movk_i32 s8, 0x80
	v_cmp_ne_u16_e32 vcc, s8, v42
	v_mov_b32_e32 v43, 0xffff8000
	s_and_saveexec_b64 s[8:9], vcc
	s_cbranch_execz .LBB876_120
; %bb.117:
	s_movk_i32 s10, 0x7f
	v_and_b32_e32 v45, 0x7f, v42
	v_cmp_ne_u32_e32 vcc, s10, v45
	v_mov_b32_e32 v43, 0x7f80
	s_and_saveexec_b64 s[10:11], vcc
	s_cbranch_execz .LBB876_119
; %bb.118:
	v_and_b32_e32 v52, 7, v42
	v_ffbh_u32_e32 v43, v52
	v_min_u32_e32 v55, 32, v43
	v_subrev_u32_e32 v43, 28, v55
	v_lshlrev_b64 v[42:43], v43, v[42:43]
	v_lshrrev_b32_e32 v54, 3, v45
	v_sub_u32_e32 v43, 29, v55
	v_and_b32_e32 v42, 7, v42
	v_cmp_gt_u32_e32 vcc, 8, v45
	v_cndmask_b32_e32 v43, v54, v43, vcc
	v_cndmask_b32_e32 v42, v52, v42, vcc
	v_lshlrev_b32_e32 v45, 16, v38
	v_bfrev_b32_e32 v52, 60
	v_lshlrev_b32_e32 v42, 20, v42
	v_and_b32_e32 v45, 0x80000000, v45
	v_lshl_add_u32 v43, v43, 23, v52
	v_or3_b32 v42, v45, v43, v42
	v_lshrrev_b32_e32 v43, 16, v42
.LBB876_119:
	s_or_b64 exec, exec, s[10:11]
.LBB876_120:
	s_or_b64 exec, exec, s[8:9]
.LBB876_121:
	s_or_b64 exec, exec, s[2:3]
	s_movk_i32 s2, 0xff
	v_and_b32_sdwa v45, v38, s2 dst_sel:DWORD dst_unused:UNUSED_PAD src0_sel:WORD_1 src1_sel:DWORD
	v_lshrrev_b32_e32 v42, 16, v38
	v_cmp_ne_u16_e32 vcc, 0, v45
	s_and_saveexec_b64 s[2:3], vcc
	s_cbranch_execz .LBB876_127
; %bb.122:
	s_movk_i32 s8, 0x80
	v_cmp_ne_u16_e32 vcc, s8, v45
	v_mov_b32_e32 v44, 0xffff8000
	s_and_saveexec_b64 s[8:9], vcc
	s_cbranch_execz .LBB876_126
; %bb.123:
	v_bfe_u32 v45, v38, 16, 7
	s_movk_i32 s10, 0x7f
	v_cmp_ne_u32_e32 vcc, s10, v45
	v_mov_b32_e32 v44, 0x7f80
	s_and_saveexec_b64 s[10:11], vcc
	s_cbranch_execz .LBB876_125
; %bb.124:
	v_and_b32_e32 v44, 7, v42
	v_ffbh_u32_e32 v54, v44
	v_min_u32_e32 v56, 32, v54
	v_subrev_u32_e32 v54, 28, v56
	v_lshlrev_b64 v[54:55], v54, v[42:43]
	v_lshrrev_b32_e32 v52, 3, v45
	v_sub_u32_e32 v42, 29, v56
	v_and_b32_e32 v54, 7, v54
	v_cmp_gt_u32_e32 vcc, 8, v45
	v_mov_b32_e32 v45, 24
	v_cndmask_b32_e32 v42, v52, v42, vcc
	v_cndmask_b32_e32 v44, v44, v54, vcc
	v_lshlrev_b32_sdwa v45, v45, v38 dst_sel:DWORD dst_unused:UNUSED_PAD src0_sel:DWORD src1_sel:WORD_1
	v_bfrev_b32_e32 v52, 60
	v_lshlrev_b32_e32 v44, 20, v44
	v_and_b32_e32 v45, 0x80000000, v45
	v_lshl_add_u32 v42, v42, 23, v52
	v_or3_b32 v42, v45, v42, v44
	v_lshrrev_b32_e32 v44, 16, v42
.LBB876_125:
	s_or_b64 exec, exec, s[10:11]
.LBB876_126:
	s_or_b64 exec, exec, s[8:9]
.LBB876_127:
	s_or_b64 exec, exec, s[2:3]
	s_mov_b32 s2, 0xffffff
	v_cmp_lt_u32_e32 vcc, s2, v38
	v_mov_b32_e32 v45, 0
	v_mov_b32_e32 v54, 0
	s_and_saveexec_b64 s[2:3], vcc
	s_cbranch_execz .LBB876_133
; %bb.128:
	v_lshrrev_b32_e32 v42, 24, v38
	s_movk_i32 s8, 0x80
	v_cmp_ne_u32_e32 vcc, s8, v42
	v_mov_b32_e32 v54, 0xffff8000
	s_and_saveexec_b64 s[8:9], vcc
	s_cbranch_execz .LBB876_132
; %bb.129:
	v_bfe_u32 v38, v38, 24, 7
	s_movk_i32 s10, 0x7f
	v_cmp_ne_u32_e32 vcc, s10, v38
	v_mov_b32_e32 v54, 0x7f80
	s_and_saveexec_b64 s[10:11], vcc
	s_cbranch_execz .LBB876_131
; %bb.130:
	v_and_b32_e32 v52, 7, v42
	v_ffbh_u32_e32 v54, v52
	v_min_u32_e32 v57, 32, v54
	v_subrev_u32_e32 v54, 28, v57
	v_lshlrev_b64 v[54:55], v54, v[42:43]
	v_lshrrev_b32_e32 v56, 3, v38
	v_sub_u32_e32 v55, 29, v57
	v_and_b32_e32 v54, 7, v54
	v_cmp_gt_u32_e32 vcc, 8, v38
	v_cndmask_b32_e32 v38, v56, v55, vcc
	v_cndmask_b32_e32 v52, v52, v54, vcc
	v_lshlrev_b32_e32 v42, 24, v42
	v_bfrev_b32_e32 v54, 60
	v_lshlrev_b32_e32 v52, 20, v52
	v_and_b32_e32 v42, 0x80000000, v42
	v_lshl_add_u32 v38, v38, 23, v54
	v_or3_b32 v38, v42, v38, v52
	v_lshrrev_b32_e32 v54, 16, v38
.LBB876_131:
	s_or_b64 exec, exec, s[10:11]
.LBB876_132:
	s_or_b64 exec, exec, s[8:9]
.LBB876_133:
	s_or_b64 exec, exec, s[2:3]
	v_cmp_ne_u16_sdwa s[8:9], v39, v45 src0_sel:BYTE_0 src1_sel:DWORD
	s_and_saveexec_b64 s[2:3], s[8:9]
	s_cbranch_execz .LBB876_139
; %bb.134:
	s_movk_i32 s8, 0x80
	v_cmp_ne_u16_sdwa s[10:11], v39, s8 src0_sel:BYTE_0 src1_sel:DWORD
	v_mov_b32_e32 v45, 0xffff8000
	s_and_saveexec_b64 s[8:9], s[10:11]
	s_cbranch_execz .LBB876_138
; %bb.135:
	s_movk_i32 s10, 0x7f
	v_and_b32_e32 v38, 0x7f, v39
	v_cmp_ne_u32_e32 vcc, s10, v38
	v_mov_b32_e32 v45, 0x7f80
	s_and_saveexec_b64 s[10:11], vcc
	s_cbranch_execz .LBB876_137
; %bb.136:
	v_and_b32_e32 v45, 7, v39
	v_ffbh_u32_e32 v55, v45
	v_min_u32_e32 v55, 32, v55
	v_mov_b32_e32 v42, v39
	v_subrev_u32_e32 v56, 28, v55
	v_lshlrev_b64 v[56:57], v56, v[42:43]
	v_lshrrev_b32_e32 v52, 3, v38
	v_sub_u32_e32 v42, 29, v55
	v_and_b32_e32 v55, 7, v56
	v_cmp_gt_u32_e32 vcc, 8, v38
	v_cndmask_b32_e32 v38, v52, v42, vcc
	v_cndmask_b32_e32 v42, v45, v55, vcc
	v_lshlrev_b32_e32 v45, 24, v39
	v_bfrev_b32_e32 v52, 60
	v_lshlrev_b32_e32 v42, 20, v42
	v_and_b32_e32 v45, 0x80000000, v45
	v_lshl_add_u32 v38, v38, 23, v52
	v_or3_b32 v38, v45, v38, v42
	v_lshrrev_b32_e32 v45, 16, v38
.LBB876_137:
	s_or_b64 exec, exec, s[10:11]
.LBB876_138:
	s_or_b64 exec, exec, s[8:9]
.LBB876_139:
	s_or_b64 exec, exec, s[2:3]
	v_lshrrev_b16_e32 v38, 8, v39
	v_cmp_ne_u16_e32 vcc, 0, v38
	v_mov_b32_e32 v55, 0
	v_mov_b32_e32 v42, 0
	s_and_saveexec_b64 s[2:3], vcc
	s_cbranch_execz .LBB876_145
; %bb.140:
	s_movk_i32 s8, 0x80
	v_cmp_ne_u16_e32 vcc, s8, v38
	v_mov_b32_e32 v42, 0xffff8000
	s_and_saveexec_b64 s[8:9], vcc
	s_cbranch_execz .LBB876_144
; %bb.141:
	s_movk_i32 s10, 0x7f
	v_and_b32_e32 v52, 0x7f, v38
	v_cmp_ne_u32_e32 vcc, s10, v52
	v_mov_b32_e32 v42, 0x7f80
	s_and_saveexec_b64 s[10:11], vcc
	s_cbranch_execz .LBB876_143
; %bb.142:
	v_and_b32_e32 v42, 7, v38
	v_ffbh_u32_e32 v56, v42
	v_min_u32_e32 v59, 32, v56
	v_subrev_u32_e32 v56, 28, v59
	v_lshlrev_b64 v[56:57], v56, v[38:39]
	v_lshrrev_b32_e32 v58, 3, v52
	v_sub_u32_e32 v38, 29, v59
	v_and_b32_e32 v56, 7, v56
	v_cmp_gt_u32_e32 vcc, 8, v52
	v_cndmask_b32_e32 v38, v58, v38, vcc
	v_cndmask_b32_e32 v42, v42, v56, vcc
	v_lshlrev_b32_e32 v52, 16, v39
	v_bfrev_b32_e32 v56, 60
	v_lshlrev_b32_e32 v42, 20, v42
	v_and_b32_e32 v52, 0x80000000, v52
	v_lshl_add_u32 v38, v38, 23, v56
	v_or3_b32 v38, v52, v38, v42
	v_lshrrev_b32_e32 v42, 16, v38
.LBB876_143:
	s_or_b64 exec, exec, s[10:11]
.LBB876_144:
	s_or_b64 exec, exec, s[8:9]
.LBB876_145:
	s_or_b64 exec, exec, s[2:3]
	s_movk_i32 s2, 0xff
	v_and_b32_sdwa v52, v39, s2 dst_sel:DWORD dst_unused:UNUSED_PAD src0_sel:WORD_1 src1_sel:DWORD
	v_lshrrev_b32_e32 v38, 16, v39
	v_cmp_ne_u16_e32 vcc, 0, v52
	s_and_saveexec_b64 s[2:3], vcc
	s_cbranch_execz .LBB876_151
; %bb.146:
	s_movk_i32 s8, 0x80
	v_cmp_ne_u16_e32 vcc, s8, v52
	v_mov_b32_e32 v55, 0xffff8000
	s_and_saveexec_b64 s[8:9], vcc
	s_cbranch_execz .LBB876_150
; %bb.147:
	v_bfe_u32 v52, v39, 16, 7
	s_movk_i32 s10, 0x7f
	v_cmp_ne_u32_e32 vcc, s10, v52
	v_mov_b32_e32 v55, 0x7f80
	s_and_saveexec_b64 s[10:11], vcc
	s_cbranch_execz .LBB876_149
; %bb.148:
	v_and_b32_e32 v55, 7, v38
	v_ffbh_u32_e32 v56, v55
	v_min_u32_e32 v59, 32, v56
	v_subrev_u32_e32 v56, 28, v59
	v_lshlrev_b64 v[56:57], v56, v[38:39]
	v_and_b32_e32 v56, 7, v56
	v_cmp_gt_u32_e32 vcc, 8, v52
	v_lshrrev_b32_e32 v58, 3, v52
	v_sub_u32_e32 v38, 29, v59
	v_cndmask_b32_e32 v52, v55, v56, vcc
	v_mov_b32_e32 v55, 24
	v_cndmask_b32_e32 v38, v58, v38, vcc
	v_lshlrev_b32_sdwa v55, v55, v39 dst_sel:DWORD dst_unused:UNUSED_PAD src0_sel:DWORD src1_sel:WORD_1
	v_bfrev_b32_e32 v56, 60
	v_lshlrev_b32_e32 v52, 20, v52
	v_and_b32_e32 v55, 0x80000000, v55
	v_lshl_add_u32 v38, v38, 23, v56
	v_or3_b32 v38, v55, v38, v52
	v_lshrrev_b32_e32 v55, 16, v38
.LBB876_149:
	s_or_b64 exec, exec, s[10:11]
.LBB876_150:
	s_or_b64 exec, exec, s[8:9]
.LBB876_151:
	s_or_b64 exec, exec, s[2:3]
	s_mov_b32 s2, 0xffffff
	v_cmp_lt_u32_e32 vcc, s2, v39
	v_mov_b32_e32 v52, 0
	v_mov_b32_e32 v56, 0
	s_and_saveexec_b64 s[2:3], vcc
	s_cbranch_execz .LBB876_157
; %bb.152:
	v_lshrrev_b32_e32 v38, 24, v39
	s_movk_i32 s8, 0x80
	v_cmp_ne_u32_e32 vcc, s8, v38
	v_mov_b32_e32 v56, 0xffff8000
	s_and_saveexec_b64 s[8:9], vcc
	s_cbranch_execz .LBB876_156
; %bb.153:
	v_bfe_u32 v39, v39, 24, 7
	s_movk_i32 s10, 0x7f
	v_cmp_ne_u32_e32 vcc, s10, v39
	v_mov_b32_e32 v56, 0x7f80
	s_and_saveexec_b64 s[10:11], vcc
	s_cbranch_execz .LBB876_155
; %bb.154:
	v_and_b32_e32 v58, 7, v38
	v_ffbh_u32_e32 v56, v58
	v_min_u32_e32 v60, 32, v56
	v_subrev_u32_e32 v56, 28, v60
	v_lshlrev_b64 v[56:57], v56, v[38:39]
	v_lshrrev_b32_e32 v59, 3, v39
	v_sub_u32_e32 v57, 29, v60
	v_and_b32_e32 v56, 7, v56
	v_cmp_gt_u32_e32 vcc, 8, v39
	v_cndmask_b32_e32 v39, v59, v57, vcc
	v_cndmask_b32_e32 v56, v58, v56, vcc
	v_lshlrev_b32_e32 v38, 24, v38
	v_bfrev_b32_e32 v57, 60
	v_lshlrev_b32_e32 v56, 20, v56
	v_and_b32_e32 v38, 0x80000000, v38
	v_lshl_add_u32 v39, v39, 23, v57
	v_or3_b32 v38, v38, v39, v56
	v_lshrrev_b32_e32 v56, 16, v38
.LBB876_155:
	s_or_b64 exec, exec, s[10:11]
.LBB876_156:
	s_or_b64 exec, exec, s[8:9]
.LBB876_157:
	s_or_b64 exec, exec, s[2:3]
	s_mov_b32 s2, 0x5040100
	v_perm_b32 v39, v54, v44, s2
	v_perm_b32 v38, v43, v53, s2
	v_cmp_ne_u16_sdwa s[8:9], v40, v52 src0_sel:BYTE_0 src1_sel:DWORD
	s_nop 0
	v_mfma_f32_16x16x16bf16_1k v[58:61], v[38:39], v[26:27], 0
	v_perm_b32 v39, v56, v55, s2
	v_perm_b32 v38, v42, v45, s2
	s_nop 1
	v_mfma_f32_16x16x16bf16_1k v[42:45], v[38:39], v[28:29], v[58:61]
	s_and_saveexec_b64 s[2:3], s[8:9]
	s_cbranch_execz .LBB876_163
; %bb.158:
	s_movk_i32 s8, 0x80
	v_cmp_ne_u16_sdwa s[10:11], v40, s8 src0_sel:BYTE_0 src1_sel:DWORD
	v_mov_b32_e32 v52, 0xffff8000
	s_and_saveexec_b64 s[8:9], s[10:11]
	s_cbranch_execz .LBB876_162
; %bb.159:
	s_movk_i32 s10, 0x7f
	v_and_b32_e32 v38, 0x7f, v40
	v_cmp_ne_u32_e32 vcc, s10, v38
	v_mov_b32_e32 v52, 0x7f80
	s_and_saveexec_b64 s[10:11], vcc
	s_cbranch_execz .LBB876_161
; %bb.160:
	v_and_b32_e32 v39, 7, v40
	v_ffbh_u32_e32 v52, v39
	v_min_u32_e32 v55, 32, v52
	v_subrev_u32_e32 v52, 28, v55
	v_lshlrev_b64 v[52:53], v52, v[40:41]
	v_lshrrev_b32_e32 v54, 3, v38
	v_sub_u32_e32 v53, 29, v55
	v_and_b32_e32 v52, 7, v52
	v_cmp_gt_u32_e32 vcc, 8, v38
	v_cndmask_b32_e32 v38, v54, v53, vcc
	v_cndmask_b32_e32 v39, v39, v52, vcc
	v_lshlrev_b32_e32 v52, 24, v40
	v_bfrev_b32_e32 v53, 60
	v_lshlrev_b32_e32 v39, 20, v39
	v_and_b32_e32 v52, 0x80000000, v52
	v_lshl_add_u32 v38, v38, 23, v53
	v_or3_b32 v38, v52, v38, v39
	v_lshrrev_b32_e32 v52, 16, v38
.LBB876_161:
	s_or_b64 exec, exec, s[10:11]
.LBB876_162:
	s_or_b64 exec, exec, s[8:9]
.LBB876_163:
	s_or_b64 exec, exec, s[2:3]
	v_lshrrev_b16_e32 v38, 8, v40
	v_cmp_ne_u16_e32 vcc, 0, v38
	v_mov_b32_e32 v54, 0
	v_mov_b32_e32 v39, 0
	s_and_saveexec_b64 s[2:3], vcc
	s_cbranch_execz .LBB876_169
; %bb.164:
	s_movk_i32 s8, 0x80
	v_cmp_ne_u16_e32 vcc, s8, v38
	v_mov_b32_e32 v39, 0xffff8000
	s_and_saveexec_b64 s[8:9], vcc
	s_cbranch_execz .LBB876_168
; %bb.165:
	s_movk_i32 s10, 0x7f
	v_and_b32_e32 v53, 0x7f, v38
	v_cmp_ne_u32_e32 vcc, s10, v53
	v_mov_b32_e32 v39, 0x7f80
	s_and_saveexec_b64 s[10:11], vcc
	s_cbranch_execz .LBB876_167
; %bb.166:
	v_and_b32_e32 v55, 7, v38
	v_ffbh_u32_e32 v39, v55
	v_min_u32_e32 v57, 32, v39
	v_subrev_u32_e32 v39, 28, v57
	v_lshlrev_b64 v[38:39], v39, v[38:39]
	v_lshrrev_b32_e32 v56, 3, v53
	v_sub_u32_e32 v39, 29, v57
	v_and_b32_e32 v38, 7, v38
	v_cmp_gt_u32_e32 vcc, 8, v53
	v_cndmask_b32_e32 v39, v56, v39, vcc
	v_cndmask_b32_e32 v38, v55, v38, vcc
	v_lshlrev_b32_e32 v53, 16, v40
	v_bfrev_b32_e32 v55, 60
	v_lshlrev_b32_e32 v38, 20, v38
	v_and_b32_e32 v53, 0x80000000, v53
	v_lshl_add_u32 v39, v39, 23, v55
	v_or3_b32 v38, v53, v39, v38
	v_lshrrev_b32_e32 v39, 16, v38
.LBB876_167:
	s_or_b64 exec, exec, s[10:11]
.LBB876_168:
	s_or_b64 exec, exec, s[8:9]
.LBB876_169:
	s_or_b64 exec, exec, s[2:3]
	s_movk_i32 s2, 0xff
	v_and_b32_sdwa v53, v40, s2 dst_sel:DWORD dst_unused:UNUSED_PAD src0_sel:WORD_1 src1_sel:DWORD
	v_lshrrev_b32_e32 v38, 16, v40
	v_cmp_ne_u16_e32 vcc, 0, v53
	s_and_saveexec_b64 s[2:3], vcc
	s_cbranch_execz .LBB876_175
; %bb.170:
	s_movk_i32 s8, 0x80
	v_cmp_ne_u16_e32 vcc, s8, v53
	v_mov_b32_e32 v54, 0xffff8000
	s_and_saveexec_b64 s[8:9], vcc
	s_cbranch_execz .LBB876_174
; %bb.171:
	v_bfe_u32 v53, v40, 16, 7
	s_movk_i32 s10, 0x7f
	v_cmp_ne_u32_e32 vcc, s10, v53
	v_mov_b32_e32 v54, 0x7f80
	s_and_saveexec_b64 s[10:11], vcc
	s_cbranch_execz .LBB876_173
; %bb.172:
	v_and_b32_e32 v56, 7, v38
	v_ffbh_u32_e32 v54, v56
	v_min_u32_e32 v58, 32, v54
	v_subrev_u32_e32 v54, 28, v58
	v_lshlrev_b64 v[54:55], v54, v[38:39]
	v_and_b32_e32 v54, 7, v54
	v_cmp_gt_u32_e32 vcc, 8, v53
	v_lshrrev_b32_e32 v57, 3, v53
	v_sub_u32_e32 v38, 29, v58
	v_cndmask_b32_e32 v53, v56, v54, vcc
	v_mov_b32_e32 v54, 24
	v_cndmask_b32_e32 v38, v57, v38, vcc
	v_lshlrev_b32_sdwa v54, v54, v40 dst_sel:DWORD dst_unused:UNUSED_PAD src0_sel:DWORD src1_sel:WORD_1
	v_bfrev_b32_e32 v55, 60
	v_lshlrev_b32_e32 v53, 20, v53
	v_and_b32_e32 v54, 0x80000000, v54
	v_lshl_add_u32 v38, v38, 23, v55
	v_or3_b32 v38, v54, v38, v53
	v_lshrrev_b32_e32 v54, 16, v38
.LBB876_173:
	s_or_b64 exec, exec, s[10:11]
.LBB876_174:
	s_or_b64 exec, exec, s[8:9]
.LBB876_175:
	s_or_b64 exec, exec, s[2:3]
	s_mov_b32 s2, 0xffffff
	v_cmp_lt_u32_e32 vcc, s2, v40
	v_mov_b32_e32 v55, 0
	v_mov_b32_e32 v56, 0
	s_and_saveexec_b64 s[2:3], vcc
	s_cbranch_execz .LBB876_181
; %bb.176:
	v_lshrrev_b32_e32 v38, 24, v40
	s_movk_i32 s8, 0x80
	v_cmp_ne_u32_e32 vcc, s8, v38
	v_mov_b32_e32 v56, 0xffff8000
	s_and_saveexec_b64 s[8:9], vcc
	s_cbranch_execz .LBB876_180
; %bb.177:
	v_bfe_u32 v40, v40, 24, 7
	s_movk_i32 s10, 0x7f
	v_cmp_ne_u32_e32 vcc, s10, v40
	v_mov_b32_e32 v56, 0x7f80
	s_and_saveexec_b64 s[10:11], vcc
	s_cbranch_execz .LBB876_179
; %bb.178:
	v_and_b32_e32 v53, 7, v38
	v_ffbh_u32_e32 v56, v53
	v_min_u32_e32 v59, 32, v56
	v_subrev_u32_e32 v56, 28, v59
	v_lshlrev_b64 v[56:57], v56, v[38:39]
	v_lshrrev_b32_e32 v58, 3, v40
	v_sub_u32_e32 v57, 29, v59
	v_and_b32_e32 v56, 7, v56
	v_cmp_gt_u32_e32 vcc, 8, v40
	v_cndmask_b32_e32 v40, v58, v57, vcc
	v_cndmask_b32_e32 v53, v53, v56, vcc
	v_lshlrev_b32_e32 v38, 24, v38
	v_bfrev_b32_e32 v56, 60
	v_lshlrev_b32_e32 v53, 20, v53
	v_and_b32_e32 v38, 0x80000000, v38
	v_lshl_add_u32 v40, v40, 23, v56
	v_or3_b32 v38, v38, v40, v53
	v_lshrrev_b32_e32 v56, 16, v38
.LBB876_179:
	s_or_b64 exec, exec, s[10:11]
.LBB876_180:
	s_or_b64 exec, exec, s[8:9]
.LBB876_181:
	s_or_b64 exec, exec, s[2:3]
	v_cmp_ne_u16_sdwa s[8:9], v41, v55 src0_sel:BYTE_0 src1_sel:DWORD
	s_and_saveexec_b64 s[2:3], s[8:9]
	s_cbranch_execz .LBB876_187
; %bb.182:
	s_movk_i32 s8, 0x80
	v_cmp_ne_u16_sdwa s[10:11], v41, s8 src0_sel:BYTE_0 src1_sel:DWORD
	v_mov_b32_e32 v55, 0xffff8000
	s_and_saveexec_b64 s[8:9], s[10:11]
	s_cbranch_execz .LBB876_186
; %bb.183:
	s_movk_i32 s10, 0x7f
	v_and_b32_e32 v38, 0x7f, v41
	v_cmp_ne_u32_e32 vcc, s10, v38
	v_mov_b32_e32 v55, 0x7f80
	s_and_saveexec_b64 s[10:11], vcc
	s_cbranch_execz .LBB876_185
; %bb.184:
	v_and_b32_e32 v53, 7, v41
	v_ffbh_u32_e32 v57, v53
	v_min_u32_e32 v57, 32, v57
	v_mov_b32_e32 v40, v41
	v_subrev_u32_e32 v58, 28, v57
	v_lshlrev_b64 v[58:59], v58, v[40:41]
	v_lshrrev_b32_e32 v55, 3, v38
	v_sub_u32_e32 v40, 29, v57
	v_and_b32_e32 v57, 7, v58
	v_cmp_gt_u32_e32 vcc, 8, v38
	v_cndmask_b32_e32 v38, v55, v40, vcc
	v_cndmask_b32_e32 v40, v53, v57, vcc
	v_lshlrev_b32_e32 v53, 24, v41
	v_bfrev_b32_e32 v55, 60
	v_lshlrev_b32_e32 v40, 20, v40
	v_and_b32_e32 v53, 0x80000000, v53
	v_lshl_add_u32 v38, v38, 23, v55
	v_or3_b32 v38, v53, v38, v40
	v_lshrrev_b32_e32 v55, 16, v38
.LBB876_185:
	s_or_b64 exec, exec, s[10:11]
.LBB876_186:
	s_or_b64 exec, exec, s[8:9]
.LBB876_187:
	s_or_b64 exec, exec, s[2:3]
	v_lshrrev_b16_e32 v38, 8, v41
	v_cmp_ne_u16_e32 vcc, 0, v38
	v_mov_b32_e32 v57, 0
	v_mov_b32_e32 v40, 0
	s_and_saveexec_b64 s[2:3], vcc
	s_cbranch_execz .LBB876_193
; %bb.188:
	s_movk_i32 s8, 0x80
	v_cmp_ne_u16_e32 vcc, s8, v38
	v_mov_b32_e32 v40, 0xffff8000
	s_and_saveexec_b64 s[8:9], vcc
	s_cbranch_execz .LBB876_192
; %bb.189:
	s_movk_i32 s10, 0x7f
	v_and_b32_e32 v53, 0x7f, v38
	v_cmp_ne_u32_e32 vcc, s10, v53
	v_mov_b32_e32 v40, 0x7f80
	s_and_saveexec_b64 s[10:11], vcc
	s_cbranch_execz .LBB876_191
; %bb.190:
	v_and_b32_e32 v40, 7, v38
	v_ffbh_u32_e32 v58, v40
	v_min_u32_e32 v61, 32, v58
	v_subrev_u32_e32 v58, 28, v61
	v_lshlrev_b64 v[58:59], v58, v[38:39]
	v_lshrrev_b32_e32 v60, 3, v53
	v_sub_u32_e32 v38, 29, v61
	v_and_b32_e32 v58, 7, v58
	v_cmp_gt_u32_e32 vcc, 8, v53
	v_cndmask_b32_e32 v38, v60, v38, vcc
	v_cndmask_b32_e32 v40, v40, v58, vcc
	v_lshlrev_b32_e32 v53, 16, v41
	v_bfrev_b32_e32 v58, 60
	v_lshlrev_b32_e32 v40, 20, v40
	v_and_b32_e32 v53, 0x80000000, v53
	v_lshl_add_u32 v38, v38, 23, v58
	v_or3_b32 v38, v53, v38, v40
	v_lshrrev_b32_e32 v40, 16, v38
.LBB876_191:
	s_or_b64 exec, exec, s[10:11]
.LBB876_192:
	s_or_b64 exec, exec, s[8:9]
.LBB876_193:
	s_or_b64 exec, exec, s[2:3]
	s_movk_i32 s2, 0xff
	v_and_b32_sdwa v53, v41, s2 dst_sel:DWORD dst_unused:UNUSED_PAD src0_sel:WORD_1 src1_sel:DWORD
	v_lshrrev_b32_e32 v38, 16, v41
	v_cmp_ne_u16_e32 vcc, 0, v53
	s_and_saveexec_b64 s[2:3], vcc
	s_cbranch_execz .LBB876_199
; %bb.194:
	s_movk_i32 s8, 0x80
	v_cmp_ne_u16_e32 vcc, s8, v53
	v_mov_b32_e32 v57, 0xffff8000
	s_and_saveexec_b64 s[8:9], vcc
	s_cbranch_execz .LBB876_198
; %bb.195:
	v_bfe_u32 v53, v41, 16, 7
	s_movk_i32 s10, 0x7f
	v_cmp_ne_u32_e32 vcc, s10, v53
	v_mov_b32_e32 v57, 0x7f80
	s_and_saveexec_b64 s[10:11], vcc
	s_cbranch_execz .LBB876_197
; %bb.196:
	v_and_b32_e32 v57, 7, v38
	v_ffbh_u32_e32 v58, v57
	v_min_u32_e32 v61, 32, v58
	v_subrev_u32_e32 v58, 28, v61
	v_lshlrev_b64 v[58:59], v58, v[38:39]
	v_and_b32_e32 v58, 7, v58
	v_cmp_gt_u32_e32 vcc, 8, v53
	v_lshrrev_b32_e32 v60, 3, v53
	v_sub_u32_e32 v38, 29, v61
	v_cndmask_b32_e32 v53, v57, v58, vcc
	v_mov_b32_e32 v57, 24
	v_cndmask_b32_e32 v38, v60, v38, vcc
	v_lshlrev_b32_sdwa v57, v57, v41 dst_sel:DWORD dst_unused:UNUSED_PAD src0_sel:DWORD src1_sel:WORD_1
	v_bfrev_b32_e32 v58, 60
	v_lshlrev_b32_e32 v53, 20, v53
	v_and_b32_e32 v57, 0x80000000, v57
	v_lshl_add_u32 v38, v38, 23, v58
	v_or3_b32 v38, v57, v38, v53
	v_lshrrev_b32_e32 v57, 16, v38
.LBB876_197:
	s_or_b64 exec, exec, s[10:11]
.LBB876_198:
	s_or_b64 exec, exec, s[8:9]
.LBB876_199:
	s_or_b64 exec, exec, s[2:3]
	s_mov_b32 s2, 0xffffff
	v_cmp_lt_u32_e32 vcc, s2, v41
	v_mov_b32_e32 v53, 0
	v_mov_b32_e32 v58, 0
	s_and_saveexec_b64 s[2:3], vcc
	s_cbranch_execz .LBB876_205
; %bb.200:
	v_lshrrev_b32_e32 v38, 24, v41
	s_movk_i32 s8, 0x80
	v_cmp_ne_u32_e32 vcc, s8, v38
	v_mov_b32_e32 v58, 0xffff8000
	s_and_saveexec_b64 s[8:9], vcc
	s_cbranch_execz .LBB876_204
; %bb.201:
	v_bfe_u32 v41, v41, 24, 7
	s_movk_i32 s10, 0x7f
	v_cmp_ne_u32_e32 vcc, s10, v41
	v_mov_b32_e32 v58, 0x7f80
	s_and_saveexec_b64 s[10:11], vcc
	s_cbranch_execz .LBB876_203
; %bb.202:
	v_and_b32_e32 v60, 7, v38
	v_ffbh_u32_e32 v58, v60
	v_min_u32_e32 v62, 32, v58
	v_subrev_u32_e32 v58, 28, v62
	v_lshlrev_b64 v[58:59], v58, v[38:39]
	v_lshrrev_b32_e32 v61, 3, v41
	v_sub_u32_e32 v59, 29, v62
	v_and_b32_e32 v58, 7, v58
	v_cmp_gt_u32_e32 vcc, 8, v41
	v_cndmask_b32_e32 v41, v61, v59, vcc
	v_cndmask_b32_e32 v58, v60, v58, vcc
	v_lshlrev_b32_e32 v38, 24, v38
	v_bfrev_b32_e32 v59, 60
	v_lshlrev_b32_e32 v58, 20, v58
	v_and_b32_e32 v38, 0x80000000, v38
	v_lshl_add_u32 v41, v41, 23, v59
	v_or3_b32 v38, v38, v41, v58
	v_lshrrev_b32_e32 v58, 16, v38
.LBB876_203:
	s_or_b64 exec, exec, s[10:11]
.LBB876_204:
	s_or_b64 exec, exec, s[8:9]
.LBB876_205:
	s_or_b64 exec, exec, s[2:3]
	s_mov_b32 s2, 0x5040100
	v_perm_b32 v61, v56, v54, s2
	v_perm_b32 v60, v39, v52, s2
	;; [unrolled: 1-line block ×4, first 2 shown]
	v_cmp_ne_u16_sdwa s[8:9], v30, v53 src0_sel:BYTE_0 src1_sel:DWORD
	v_mfma_f32_16x16x16bf16_1k v[42:45], v[60:61], v[18:19], v[42:45]
	v_mfma_f32_16x16x16bf16_1k v[38:41], v[38:39], v[20:21], v[42:45]
	s_and_saveexec_b64 s[2:3], s[8:9]
	s_cbranch_execz .LBB876_211
; %bb.206:
	s_movk_i32 s8, 0x80
	v_cmp_ne_u16_sdwa s[10:11], v30, s8 src0_sel:BYTE_0 src1_sel:DWORD
	v_mov_b32_e32 v53, 0xffff8000
	s_and_saveexec_b64 s[8:9], s[10:11]
	s_cbranch_execz .LBB876_210
; %bb.207:
	s_movk_i32 s10, 0x7f
	s_nop 1
	v_and_b32_e32 v42, 0x7f, v30
	v_cmp_ne_u32_e32 vcc, s10, v42
	v_mov_b32_e32 v53, 0x7f80
	s_and_saveexec_b64 s[10:11], vcc
	s_cbranch_execz .LBB876_209
; %bb.208:
	v_and_b32_e32 v43, 7, v30
	v_ffbh_u32_e32 v44, v43
	v_min_u32_e32 v53, 32, v44
	v_subrev_u32_e32 v44, 28, v53
	v_lshlrev_b64 v[44:45], v44, v[30:31]
	v_lshrrev_b32_e32 v52, 3, v42
	v_sub_u32_e32 v45, 29, v53
	v_and_b32_e32 v44, 7, v44
	v_cmp_gt_u32_e32 vcc, 8, v42
	v_cndmask_b32_e32 v42, v52, v45, vcc
	v_cndmask_b32_e32 v43, v43, v44, vcc
	v_lshlrev_b32_e32 v44, 24, v30
	v_bfrev_b32_e32 v45, 60
	v_lshlrev_b32_e32 v43, 20, v43
	v_and_b32_e32 v44, 0x80000000, v44
	v_lshl_add_u32 v42, v42, 23, v45
	v_or3_b32 v42, v44, v42, v43
	v_lshrrev_b32_e32 v53, 16, v42
.LBB876_209:
	s_or_b64 exec, exec, s[10:11]
.LBB876_210:
	s_or_b64 exec, exec, s[8:9]
.LBB876_211:
	s_or_b64 exec, exec, s[2:3]
	s_nop 6
	v_lshrrev_b16_e32 v42, 8, v30
	v_cmp_ne_u16_e32 vcc, 0, v42
	v_mov_b32_e32 v44, 0
	v_mov_b32_e32 v43, 0
	s_and_saveexec_b64 s[2:3], vcc
	s_cbranch_execz .LBB876_217
; %bb.212:
	s_movk_i32 s8, 0x80
	v_cmp_ne_u16_e32 vcc, s8, v42
	v_mov_b32_e32 v43, 0xffff8000
	s_and_saveexec_b64 s[8:9], vcc
	s_cbranch_execz .LBB876_216
; %bb.213:
	s_movk_i32 s10, 0x7f
	v_and_b32_e32 v45, 0x7f, v42
	v_cmp_ne_u32_e32 vcc, s10, v45
	v_mov_b32_e32 v43, 0x7f80
	s_and_saveexec_b64 s[10:11], vcc
	s_cbranch_execz .LBB876_215
; %bb.214:
	v_and_b32_e32 v52, 7, v42
	v_ffbh_u32_e32 v43, v52
	v_min_u32_e32 v55, 32, v43
	v_subrev_u32_e32 v43, 28, v55
	v_lshlrev_b64 v[42:43], v43, v[42:43]
	v_lshrrev_b32_e32 v54, 3, v45
	v_sub_u32_e32 v43, 29, v55
	v_and_b32_e32 v42, 7, v42
	v_cmp_gt_u32_e32 vcc, 8, v45
	v_cndmask_b32_e32 v43, v54, v43, vcc
	v_cndmask_b32_e32 v42, v52, v42, vcc
	v_lshlrev_b32_e32 v45, 16, v30
	v_bfrev_b32_e32 v52, 60
	v_lshlrev_b32_e32 v42, 20, v42
	v_and_b32_e32 v45, 0x80000000, v45
	v_lshl_add_u32 v43, v43, 23, v52
	v_or3_b32 v42, v45, v43, v42
	v_lshrrev_b32_e32 v43, 16, v42
.LBB876_215:
	s_or_b64 exec, exec, s[10:11]
.LBB876_216:
	s_or_b64 exec, exec, s[8:9]
.LBB876_217:
	s_or_b64 exec, exec, s[2:3]
	s_movk_i32 s2, 0xff
	v_and_b32_sdwa v45, v30, s2 dst_sel:DWORD dst_unused:UNUSED_PAD src0_sel:WORD_1 src1_sel:DWORD
	v_lshrrev_b32_e32 v42, 16, v30
	v_cmp_ne_u16_e32 vcc, 0, v45
	s_and_saveexec_b64 s[2:3], vcc
	s_cbranch_execz .LBB876_223
; %bb.218:
	s_movk_i32 s8, 0x80
	v_cmp_ne_u16_e32 vcc, s8, v45
	v_mov_b32_e32 v44, 0xffff8000
	s_and_saveexec_b64 s[8:9], vcc
	s_cbranch_execz .LBB876_222
; %bb.219:
	v_bfe_u32 v45, v30, 16, 7
	s_movk_i32 s10, 0x7f
	v_cmp_ne_u32_e32 vcc, s10, v45
	v_mov_b32_e32 v44, 0x7f80
	s_and_saveexec_b64 s[10:11], vcc
	s_cbranch_execz .LBB876_221
; %bb.220:
	v_and_b32_e32 v44, 7, v42
	v_ffbh_u32_e32 v54, v44
	v_min_u32_e32 v56, 32, v54
	v_subrev_u32_e32 v54, 28, v56
	v_lshlrev_b64 v[54:55], v54, v[42:43]
	v_lshrrev_b32_e32 v52, 3, v45
	v_sub_u32_e32 v42, 29, v56
	v_and_b32_e32 v54, 7, v54
	v_cmp_gt_u32_e32 vcc, 8, v45
	v_mov_b32_e32 v45, 24
	v_cndmask_b32_e32 v42, v52, v42, vcc
	v_cndmask_b32_e32 v44, v44, v54, vcc
	v_lshlrev_b32_sdwa v45, v45, v30 dst_sel:DWORD dst_unused:UNUSED_PAD src0_sel:DWORD src1_sel:WORD_1
	v_bfrev_b32_e32 v52, 60
	v_lshlrev_b32_e32 v44, 20, v44
	v_and_b32_e32 v45, 0x80000000, v45
	v_lshl_add_u32 v42, v42, 23, v52
	v_or3_b32 v42, v45, v42, v44
	v_lshrrev_b32_e32 v44, 16, v42
.LBB876_221:
	s_or_b64 exec, exec, s[10:11]
.LBB876_222:
	s_or_b64 exec, exec, s[8:9]
.LBB876_223:
	s_or_b64 exec, exec, s[2:3]
	s_mov_b32 s2, 0xffffff
	v_cmp_lt_u32_e32 vcc, s2, v30
	v_mov_b32_e32 v45, 0
	v_mov_b32_e32 v54, 0
	s_and_saveexec_b64 s[2:3], vcc
	s_cbranch_execz .LBB876_229
; %bb.224:
	v_lshrrev_b32_e32 v42, 24, v30
	s_movk_i32 s8, 0x80
	v_cmp_ne_u32_e32 vcc, s8, v42
	v_mov_b32_e32 v54, 0xffff8000
	s_and_saveexec_b64 s[8:9], vcc
	s_cbranch_execz .LBB876_228
; %bb.225:
	v_bfe_u32 v30, v30, 24, 7
	s_movk_i32 s10, 0x7f
	v_cmp_ne_u32_e32 vcc, s10, v30
	v_mov_b32_e32 v54, 0x7f80
	s_and_saveexec_b64 s[10:11], vcc
	s_cbranch_execz .LBB876_227
; %bb.226:
	v_and_b32_e32 v52, 7, v42
	v_ffbh_u32_e32 v54, v52
	v_min_u32_e32 v57, 32, v54
	v_subrev_u32_e32 v54, 28, v57
	v_lshlrev_b64 v[54:55], v54, v[42:43]
	v_lshrrev_b32_e32 v56, 3, v30
	v_sub_u32_e32 v55, 29, v57
	v_and_b32_e32 v54, 7, v54
	v_cmp_gt_u32_e32 vcc, 8, v30
	v_cndmask_b32_e32 v30, v56, v55, vcc
	v_cndmask_b32_e32 v52, v52, v54, vcc
	v_lshlrev_b32_e32 v42, 24, v42
	v_bfrev_b32_e32 v54, 60
	v_lshlrev_b32_e32 v52, 20, v52
	v_and_b32_e32 v42, 0x80000000, v42
	v_lshl_add_u32 v30, v30, 23, v54
	v_or3_b32 v30, v42, v30, v52
	v_lshrrev_b32_e32 v54, 16, v30
.LBB876_227:
	s_or_b64 exec, exec, s[10:11]
.LBB876_228:
	s_or_b64 exec, exec, s[8:9]
.LBB876_229:
	s_or_b64 exec, exec, s[2:3]
	v_cmp_ne_u16_sdwa s[8:9], v31, v45 src0_sel:BYTE_0 src1_sel:DWORD
	s_and_saveexec_b64 s[2:3], s[8:9]
	s_cbranch_execz .LBB876_235
; %bb.230:
	s_movk_i32 s8, 0x80
	v_cmp_ne_u16_sdwa s[10:11], v31, s8 src0_sel:BYTE_0 src1_sel:DWORD
	v_mov_b32_e32 v45, 0xffff8000
	s_and_saveexec_b64 s[8:9], s[10:11]
	s_cbranch_execz .LBB876_234
; %bb.231:
	s_movk_i32 s10, 0x7f
	v_and_b32_e32 v30, 0x7f, v31
	v_cmp_ne_u32_e32 vcc, s10, v30
	v_mov_b32_e32 v45, 0x7f80
	s_and_saveexec_b64 s[10:11], vcc
	s_cbranch_execz .LBB876_233
; %bb.232:
	v_and_b32_e32 v45, 7, v31
	v_ffbh_u32_e32 v55, v45
	v_min_u32_e32 v55, 32, v55
	v_mov_b32_e32 v42, v31
	v_subrev_u32_e32 v56, 28, v55
	v_lshlrev_b64 v[56:57], v56, v[42:43]
	v_lshrrev_b32_e32 v52, 3, v30
	v_sub_u32_e32 v42, 29, v55
	v_and_b32_e32 v55, 7, v56
	v_cmp_gt_u32_e32 vcc, 8, v30
	v_cndmask_b32_e32 v30, v52, v42, vcc
	v_cndmask_b32_e32 v42, v45, v55, vcc
	v_lshlrev_b32_e32 v45, 24, v31
	v_bfrev_b32_e32 v52, 60
	v_lshlrev_b32_e32 v42, 20, v42
	v_and_b32_e32 v45, 0x80000000, v45
	v_lshl_add_u32 v30, v30, 23, v52
	v_or3_b32 v30, v45, v30, v42
	v_lshrrev_b32_e32 v45, 16, v30
.LBB876_233:
	s_or_b64 exec, exec, s[10:11]
.LBB876_234:
	s_or_b64 exec, exec, s[8:9]
.LBB876_235:
	s_or_b64 exec, exec, s[2:3]
	v_lshrrev_b16_e32 v30, 8, v31
	v_cmp_ne_u16_e32 vcc, 0, v30
	v_mov_b32_e32 v55, 0
	v_mov_b32_e32 v42, 0
	s_and_saveexec_b64 s[2:3], vcc
	s_cbranch_execz .LBB876_241
; %bb.236:
	s_movk_i32 s8, 0x80
	v_cmp_ne_u16_e32 vcc, s8, v30
	v_mov_b32_e32 v42, 0xffff8000
	s_and_saveexec_b64 s[8:9], vcc
	s_cbranch_execz .LBB876_240
; %bb.237:
	s_movk_i32 s10, 0x7f
	v_and_b32_e32 v52, 0x7f, v30
	v_cmp_ne_u32_e32 vcc, s10, v52
	v_mov_b32_e32 v42, 0x7f80
	s_and_saveexec_b64 s[10:11], vcc
	s_cbranch_execz .LBB876_239
; %bb.238:
	v_and_b32_e32 v42, 7, v30
	v_ffbh_u32_e32 v56, v42
	v_min_u32_e32 v59, 32, v56
	v_subrev_u32_e32 v56, 28, v59
	v_lshlrev_b64 v[56:57], v56, v[30:31]
	v_lshrrev_b32_e32 v58, 3, v52
	v_sub_u32_e32 v30, 29, v59
	v_and_b32_e32 v56, 7, v56
	v_cmp_gt_u32_e32 vcc, 8, v52
	v_cndmask_b32_e32 v30, v58, v30, vcc
	v_cndmask_b32_e32 v42, v42, v56, vcc
	v_lshlrev_b32_e32 v52, 16, v31
	v_bfrev_b32_e32 v56, 60
	v_lshlrev_b32_e32 v42, 20, v42
	v_and_b32_e32 v52, 0x80000000, v52
	v_lshl_add_u32 v30, v30, 23, v56
	v_or3_b32 v30, v52, v30, v42
	v_lshrrev_b32_e32 v42, 16, v30
.LBB876_239:
	s_or_b64 exec, exec, s[10:11]
.LBB876_240:
	s_or_b64 exec, exec, s[8:9]
.LBB876_241:
	s_or_b64 exec, exec, s[2:3]
	s_movk_i32 s2, 0xff
	v_and_b32_sdwa v52, v31, s2 dst_sel:DWORD dst_unused:UNUSED_PAD src0_sel:WORD_1 src1_sel:DWORD
	v_lshrrev_b32_e32 v30, 16, v31
	v_cmp_ne_u16_e32 vcc, 0, v52
	s_and_saveexec_b64 s[2:3], vcc
	s_cbranch_execz .LBB876_247
; %bb.242:
	s_movk_i32 s8, 0x80
	v_cmp_ne_u16_e32 vcc, s8, v52
	v_mov_b32_e32 v55, 0xffff8000
	s_and_saveexec_b64 s[8:9], vcc
	s_cbranch_execz .LBB876_246
; %bb.243:
	v_bfe_u32 v52, v31, 16, 7
	s_movk_i32 s10, 0x7f
	v_cmp_ne_u32_e32 vcc, s10, v52
	v_mov_b32_e32 v55, 0x7f80
	s_and_saveexec_b64 s[10:11], vcc
	s_cbranch_execz .LBB876_245
; %bb.244:
	v_and_b32_e32 v55, 7, v30
	v_ffbh_u32_e32 v56, v55
	v_min_u32_e32 v59, 32, v56
	v_subrev_u32_e32 v56, 28, v59
	v_lshlrev_b64 v[56:57], v56, v[30:31]
	v_and_b32_e32 v56, 7, v56
	v_cmp_gt_u32_e32 vcc, 8, v52
	v_lshrrev_b32_e32 v58, 3, v52
	v_sub_u32_e32 v30, 29, v59
	v_cndmask_b32_e32 v52, v55, v56, vcc
	v_mov_b32_e32 v55, 24
	v_cndmask_b32_e32 v30, v58, v30, vcc
	v_lshlrev_b32_sdwa v55, v55, v31 dst_sel:DWORD dst_unused:UNUSED_PAD src0_sel:DWORD src1_sel:WORD_1
	v_bfrev_b32_e32 v56, 60
	v_lshlrev_b32_e32 v52, 20, v52
	v_and_b32_e32 v55, 0x80000000, v55
	v_lshl_add_u32 v30, v30, 23, v56
	v_or3_b32 v30, v55, v30, v52
	v_lshrrev_b32_e32 v55, 16, v30
.LBB876_245:
	s_or_b64 exec, exec, s[10:11]
.LBB876_246:
	s_or_b64 exec, exec, s[8:9]
.LBB876_247:
	s_or_b64 exec, exec, s[2:3]
	s_mov_b32 s2, 0xffffff
	v_cmp_lt_u32_e32 vcc, s2, v31
	v_mov_b32_e32 v52, 0
	v_mov_b32_e32 v56, 0
	s_and_saveexec_b64 s[2:3], vcc
	s_cbranch_execz .LBB876_253
; %bb.248:
	v_lshrrev_b32_e32 v30, 24, v31
	s_movk_i32 s8, 0x80
	v_cmp_ne_u32_e32 vcc, s8, v30
	v_mov_b32_e32 v56, 0xffff8000
	s_and_saveexec_b64 s[8:9], vcc
	s_cbranch_execz .LBB876_252
; %bb.249:
	v_bfe_u32 v31, v31, 24, 7
	s_movk_i32 s10, 0x7f
	v_cmp_ne_u32_e32 vcc, s10, v31
	v_mov_b32_e32 v56, 0x7f80
	s_and_saveexec_b64 s[10:11], vcc
	s_cbranch_execz .LBB876_251
; %bb.250:
	v_and_b32_e32 v58, 7, v30
	v_ffbh_u32_e32 v56, v58
	v_min_u32_e32 v60, 32, v56
	v_subrev_u32_e32 v56, 28, v60
	v_lshlrev_b64 v[56:57], v56, v[30:31]
	v_lshrrev_b32_e32 v59, 3, v31
	v_sub_u32_e32 v57, 29, v60
	v_and_b32_e32 v56, 7, v56
	v_cmp_gt_u32_e32 vcc, 8, v31
	v_cndmask_b32_e32 v31, v59, v57, vcc
	v_cndmask_b32_e32 v56, v58, v56, vcc
	v_lshlrev_b32_e32 v30, 24, v30
	v_bfrev_b32_e32 v57, 60
	v_lshlrev_b32_e32 v56, 20, v56
	v_and_b32_e32 v30, 0x80000000, v30
	v_lshl_add_u32 v31, v31, 23, v57
	v_or3_b32 v30, v30, v31, v56
	v_lshrrev_b32_e32 v56, 16, v30
.LBB876_251:
	s_or_b64 exec, exec, s[10:11]
.LBB876_252:
	s_or_b64 exec, exec, s[8:9]
.LBB876_253:
	s_or_b64 exec, exec, s[2:3]
	s_mov_b32 s2, 0x5040100
	v_perm_b32 v31, v54, v44, s2
	v_perm_b32 v30, v43, v53, s2
	v_cmp_ne_u16_sdwa s[8:9], v32, v52 src0_sel:BYTE_0 src1_sel:DWORD
	s_nop 0
	v_mfma_f32_16x16x16bf16_1k v[58:61], v[30:31], v[26:27], 0
	v_perm_b32 v31, v56, v55, s2
	v_perm_b32 v30, v42, v45, s2
	s_nop 1
	v_mfma_f32_16x16x16bf16_1k v[42:45], v[30:31], v[28:29], v[58:61]
	s_and_saveexec_b64 s[2:3], s[8:9]
	s_cbranch_execz .LBB876_259
; %bb.254:
	s_movk_i32 s8, 0x80
	v_cmp_ne_u16_sdwa s[10:11], v32, s8 src0_sel:BYTE_0 src1_sel:DWORD
	v_mov_b32_e32 v52, 0xffff8000
	s_and_saveexec_b64 s[8:9], s[10:11]
	s_cbranch_execz .LBB876_258
; %bb.255:
	s_movk_i32 s10, 0x7f
	v_and_b32_e32 v30, 0x7f, v32
	v_cmp_ne_u32_e32 vcc, s10, v30
	v_mov_b32_e32 v52, 0x7f80
	s_and_saveexec_b64 s[10:11], vcc
	s_cbranch_execz .LBB876_257
; %bb.256:
	v_and_b32_e32 v31, 7, v32
	v_ffbh_u32_e32 v52, v31
	v_min_u32_e32 v55, 32, v52
	v_subrev_u32_e32 v52, 28, v55
	v_lshlrev_b64 v[52:53], v52, v[32:33]
	v_lshrrev_b32_e32 v54, 3, v30
	v_sub_u32_e32 v53, 29, v55
	v_and_b32_e32 v52, 7, v52
	v_cmp_gt_u32_e32 vcc, 8, v30
	v_cndmask_b32_e32 v30, v54, v53, vcc
	v_cndmask_b32_e32 v31, v31, v52, vcc
	v_lshlrev_b32_e32 v52, 24, v32
	v_bfrev_b32_e32 v53, 60
	v_lshlrev_b32_e32 v31, 20, v31
	v_and_b32_e32 v52, 0x80000000, v52
	v_lshl_add_u32 v30, v30, 23, v53
	v_or3_b32 v30, v52, v30, v31
	v_lshrrev_b32_e32 v52, 16, v30
.LBB876_257:
	s_or_b64 exec, exec, s[10:11]
.LBB876_258:
	s_or_b64 exec, exec, s[8:9]
.LBB876_259:
	s_or_b64 exec, exec, s[2:3]
	v_lshrrev_b16_e32 v30, 8, v32
	v_cmp_ne_u16_e32 vcc, 0, v30
	v_mov_b32_e32 v54, 0
	v_mov_b32_e32 v31, 0
	s_and_saveexec_b64 s[2:3], vcc
	s_cbranch_execz .LBB876_265
; %bb.260:
	s_movk_i32 s8, 0x80
	v_cmp_ne_u16_e32 vcc, s8, v30
	v_mov_b32_e32 v31, 0xffff8000
	s_and_saveexec_b64 s[8:9], vcc
	s_cbranch_execz .LBB876_264
; %bb.261:
	s_movk_i32 s10, 0x7f
	v_and_b32_e32 v53, 0x7f, v30
	v_cmp_ne_u32_e32 vcc, s10, v53
	v_mov_b32_e32 v31, 0x7f80
	s_and_saveexec_b64 s[10:11], vcc
	s_cbranch_execz .LBB876_263
; %bb.262:
	v_and_b32_e32 v55, 7, v30
	v_ffbh_u32_e32 v31, v55
	v_min_u32_e32 v57, 32, v31
	v_subrev_u32_e32 v31, 28, v57
	v_lshlrev_b64 v[30:31], v31, v[30:31]
	v_lshrrev_b32_e32 v56, 3, v53
	v_sub_u32_e32 v31, 29, v57
	v_and_b32_e32 v30, 7, v30
	v_cmp_gt_u32_e32 vcc, 8, v53
	v_cndmask_b32_e32 v31, v56, v31, vcc
	v_cndmask_b32_e32 v30, v55, v30, vcc
	v_lshlrev_b32_e32 v53, 16, v32
	v_bfrev_b32_e32 v55, 60
	v_lshlrev_b32_e32 v30, 20, v30
	v_and_b32_e32 v53, 0x80000000, v53
	v_lshl_add_u32 v31, v31, 23, v55
	v_or3_b32 v30, v53, v31, v30
	v_lshrrev_b32_e32 v31, 16, v30
.LBB876_263:
	s_or_b64 exec, exec, s[10:11]
.LBB876_264:
	s_or_b64 exec, exec, s[8:9]
.LBB876_265:
	s_or_b64 exec, exec, s[2:3]
	s_movk_i32 s2, 0xff
	v_and_b32_sdwa v53, v32, s2 dst_sel:DWORD dst_unused:UNUSED_PAD src0_sel:WORD_1 src1_sel:DWORD
	v_lshrrev_b32_e32 v30, 16, v32
	v_cmp_ne_u16_e32 vcc, 0, v53
	s_and_saveexec_b64 s[2:3], vcc
	s_cbranch_execz .LBB876_271
; %bb.266:
	s_movk_i32 s8, 0x80
	v_cmp_ne_u16_e32 vcc, s8, v53
	v_mov_b32_e32 v54, 0xffff8000
	s_and_saveexec_b64 s[8:9], vcc
	s_cbranch_execz .LBB876_270
; %bb.267:
	v_bfe_u32 v53, v32, 16, 7
	s_movk_i32 s10, 0x7f
	v_cmp_ne_u32_e32 vcc, s10, v53
	v_mov_b32_e32 v54, 0x7f80
	s_and_saveexec_b64 s[10:11], vcc
	s_cbranch_execz .LBB876_269
; %bb.268:
	v_and_b32_e32 v56, 7, v30
	v_ffbh_u32_e32 v54, v56
	v_min_u32_e32 v58, 32, v54
	v_subrev_u32_e32 v54, 28, v58
	v_lshlrev_b64 v[54:55], v54, v[30:31]
	v_and_b32_e32 v54, 7, v54
	v_cmp_gt_u32_e32 vcc, 8, v53
	v_lshrrev_b32_e32 v57, 3, v53
	v_sub_u32_e32 v30, 29, v58
	v_cndmask_b32_e32 v53, v56, v54, vcc
	v_mov_b32_e32 v54, 24
	v_cndmask_b32_e32 v30, v57, v30, vcc
	v_lshlrev_b32_sdwa v54, v54, v32 dst_sel:DWORD dst_unused:UNUSED_PAD src0_sel:DWORD src1_sel:WORD_1
	v_bfrev_b32_e32 v55, 60
	v_lshlrev_b32_e32 v53, 20, v53
	v_and_b32_e32 v54, 0x80000000, v54
	v_lshl_add_u32 v30, v30, 23, v55
	v_or3_b32 v30, v54, v30, v53
	v_lshrrev_b32_e32 v54, 16, v30
.LBB876_269:
	s_or_b64 exec, exec, s[10:11]
.LBB876_270:
	s_or_b64 exec, exec, s[8:9]
.LBB876_271:
	s_or_b64 exec, exec, s[2:3]
	s_mov_b32 s2, 0xffffff
	v_cmp_lt_u32_e32 vcc, s2, v32
	v_mov_b32_e32 v55, 0
	v_mov_b32_e32 v56, 0
	s_and_saveexec_b64 s[2:3], vcc
	s_cbranch_execz .LBB876_277
; %bb.272:
	v_lshrrev_b32_e32 v30, 24, v32
	s_movk_i32 s8, 0x80
	v_cmp_ne_u32_e32 vcc, s8, v30
	v_mov_b32_e32 v56, 0xffff8000
	s_and_saveexec_b64 s[8:9], vcc
	s_cbranch_execz .LBB876_276
; %bb.273:
	v_bfe_u32 v32, v32, 24, 7
	s_movk_i32 s10, 0x7f
	v_cmp_ne_u32_e32 vcc, s10, v32
	v_mov_b32_e32 v56, 0x7f80
	s_and_saveexec_b64 s[10:11], vcc
	s_cbranch_execz .LBB876_275
; %bb.274:
	v_and_b32_e32 v53, 7, v30
	v_ffbh_u32_e32 v56, v53
	v_min_u32_e32 v59, 32, v56
	v_subrev_u32_e32 v56, 28, v59
	v_lshlrev_b64 v[56:57], v56, v[30:31]
	v_lshrrev_b32_e32 v58, 3, v32
	v_sub_u32_e32 v57, 29, v59
	v_and_b32_e32 v56, 7, v56
	v_cmp_gt_u32_e32 vcc, 8, v32
	v_cndmask_b32_e32 v32, v58, v57, vcc
	v_cndmask_b32_e32 v53, v53, v56, vcc
	v_lshlrev_b32_e32 v30, 24, v30
	v_bfrev_b32_e32 v56, 60
	v_lshlrev_b32_e32 v53, 20, v53
	v_and_b32_e32 v30, 0x80000000, v30
	v_lshl_add_u32 v32, v32, 23, v56
	v_or3_b32 v30, v30, v32, v53
	v_lshrrev_b32_e32 v56, 16, v30
.LBB876_275:
	s_or_b64 exec, exec, s[10:11]
.LBB876_276:
	s_or_b64 exec, exec, s[8:9]
.LBB876_277:
	s_or_b64 exec, exec, s[2:3]
	v_cmp_ne_u16_sdwa s[8:9], v33, v55 src0_sel:BYTE_0 src1_sel:DWORD
	s_and_saveexec_b64 s[2:3], s[8:9]
	s_cbranch_execz .LBB876_283
; %bb.278:
	s_movk_i32 s8, 0x80
	v_cmp_ne_u16_sdwa s[10:11], v33, s8 src0_sel:BYTE_0 src1_sel:DWORD
	v_mov_b32_e32 v55, 0xffff8000
	s_and_saveexec_b64 s[8:9], s[10:11]
	s_cbranch_execz .LBB876_282
; %bb.279:
	s_movk_i32 s10, 0x7f
	v_and_b32_e32 v30, 0x7f, v33
	v_cmp_ne_u32_e32 vcc, s10, v30
	v_mov_b32_e32 v55, 0x7f80
	s_and_saveexec_b64 s[10:11], vcc
	s_cbranch_execz .LBB876_281
; %bb.280:
	v_and_b32_e32 v53, 7, v33
	v_ffbh_u32_e32 v57, v53
	v_min_u32_e32 v57, 32, v57
	v_mov_b32_e32 v32, v33
	v_subrev_u32_e32 v58, 28, v57
	v_lshlrev_b64 v[58:59], v58, v[32:33]
	v_lshrrev_b32_e32 v55, 3, v30
	v_sub_u32_e32 v32, 29, v57
	v_and_b32_e32 v57, 7, v58
	v_cmp_gt_u32_e32 vcc, 8, v30
	v_cndmask_b32_e32 v30, v55, v32, vcc
	v_cndmask_b32_e32 v32, v53, v57, vcc
	v_lshlrev_b32_e32 v53, 24, v33
	v_bfrev_b32_e32 v55, 60
	v_lshlrev_b32_e32 v32, 20, v32
	v_and_b32_e32 v53, 0x80000000, v53
	v_lshl_add_u32 v30, v30, 23, v55
	v_or3_b32 v30, v53, v30, v32
	v_lshrrev_b32_e32 v55, 16, v30
.LBB876_281:
	s_or_b64 exec, exec, s[10:11]
.LBB876_282:
	s_or_b64 exec, exec, s[8:9]
.LBB876_283:
	s_or_b64 exec, exec, s[2:3]
	v_lshrrev_b16_e32 v30, 8, v33
	v_cmp_ne_u16_e32 vcc, 0, v30
	v_mov_b32_e32 v57, 0
	v_mov_b32_e32 v32, 0
	s_and_saveexec_b64 s[2:3], vcc
	s_cbranch_execz .LBB876_289
; %bb.284:
	s_movk_i32 s8, 0x80
	v_cmp_ne_u16_e32 vcc, s8, v30
	v_mov_b32_e32 v32, 0xffff8000
	s_and_saveexec_b64 s[8:9], vcc
	s_cbranch_execz .LBB876_288
; %bb.285:
	s_movk_i32 s10, 0x7f
	v_and_b32_e32 v53, 0x7f, v30
	v_cmp_ne_u32_e32 vcc, s10, v53
	v_mov_b32_e32 v32, 0x7f80
	s_and_saveexec_b64 s[10:11], vcc
	s_cbranch_execz .LBB876_287
; %bb.286:
	v_and_b32_e32 v32, 7, v30
	v_ffbh_u32_e32 v58, v32
	v_min_u32_e32 v61, 32, v58
	v_subrev_u32_e32 v58, 28, v61
	v_lshlrev_b64 v[58:59], v58, v[30:31]
	v_lshrrev_b32_e32 v60, 3, v53
	v_sub_u32_e32 v30, 29, v61
	v_and_b32_e32 v58, 7, v58
	v_cmp_gt_u32_e32 vcc, 8, v53
	v_cndmask_b32_e32 v30, v60, v30, vcc
	v_cndmask_b32_e32 v32, v32, v58, vcc
	v_lshlrev_b32_e32 v53, 16, v33
	v_bfrev_b32_e32 v58, 60
	v_lshlrev_b32_e32 v32, 20, v32
	v_and_b32_e32 v53, 0x80000000, v53
	v_lshl_add_u32 v30, v30, 23, v58
	v_or3_b32 v30, v53, v30, v32
	v_lshrrev_b32_e32 v32, 16, v30
.LBB876_287:
	s_or_b64 exec, exec, s[10:11]
.LBB876_288:
	s_or_b64 exec, exec, s[8:9]
.LBB876_289:
	s_or_b64 exec, exec, s[2:3]
	s_movk_i32 s2, 0xff
	v_and_b32_sdwa v53, v33, s2 dst_sel:DWORD dst_unused:UNUSED_PAD src0_sel:WORD_1 src1_sel:DWORD
	v_lshrrev_b32_e32 v30, 16, v33
	v_cmp_ne_u16_e32 vcc, 0, v53
	s_and_saveexec_b64 s[2:3], vcc
	s_cbranch_execz .LBB876_295
; %bb.290:
	s_movk_i32 s8, 0x80
	v_cmp_ne_u16_e32 vcc, s8, v53
	v_mov_b32_e32 v57, 0xffff8000
	s_and_saveexec_b64 s[8:9], vcc
	s_cbranch_execz .LBB876_294
; %bb.291:
	v_bfe_u32 v53, v33, 16, 7
	s_movk_i32 s10, 0x7f
	v_cmp_ne_u32_e32 vcc, s10, v53
	v_mov_b32_e32 v57, 0x7f80
	s_and_saveexec_b64 s[10:11], vcc
	s_cbranch_execz .LBB876_293
; %bb.292:
	v_and_b32_e32 v57, 7, v30
	v_ffbh_u32_e32 v58, v57
	v_min_u32_e32 v61, 32, v58
	v_subrev_u32_e32 v58, 28, v61
	v_lshlrev_b64 v[58:59], v58, v[30:31]
	v_and_b32_e32 v58, 7, v58
	v_cmp_gt_u32_e32 vcc, 8, v53
	v_lshrrev_b32_e32 v60, 3, v53
	v_sub_u32_e32 v30, 29, v61
	v_cndmask_b32_e32 v53, v57, v58, vcc
	v_mov_b32_e32 v57, 24
	v_cndmask_b32_e32 v30, v60, v30, vcc
	v_lshlrev_b32_sdwa v57, v57, v33 dst_sel:DWORD dst_unused:UNUSED_PAD src0_sel:DWORD src1_sel:WORD_1
	v_bfrev_b32_e32 v58, 60
	v_lshlrev_b32_e32 v53, 20, v53
	v_and_b32_e32 v57, 0x80000000, v57
	v_lshl_add_u32 v30, v30, 23, v58
	v_or3_b32 v30, v57, v30, v53
	v_lshrrev_b32_e32 v57, 16, v30
.LBB876_293:
	s_or_b64 exec, exec, s[10:11]
.LBB876_294:
	s_or_b64 exec, exec, s[8:9]
.LBB876_295:
	s_or_b64 exec, exec, s[2:3]
	s_mov_b32 s2, 0xffffff
	v_cmp_lt_u32_e32 vcc, s2, v33
	v_mov_b32_e32 v53, 0
	v_mov_b32_e32 v58, 0
	s_and_saveexec_b64 s[2:3], vcc
	s_cbranch_execz .LBB876_301
; %bb.296:
	v_lshrrev_b32_e32 v30, 24, v33
	s_movk_i32 s8, 0x80
	v_cmp_ne_u32_e32 vcc, s8, v30
	v_mov_b32_e32 v58, 0xffff8000
	s_and_saveexec_b64 s[8:9], vcc
	s_cbranch_execz .LBB876_300
; %bb.297:
	v_bfe_u32 v33, v33, 24, 7
	s_movk_i32 s10, 0x7f
	v_cmp_ne_u32_e32 vcc, s10, v33
	v_mov_b32_e32 v58, 0x7f80
	s_and_saveexec_b64 s[10:11], vcc
	s_cbranch_execz .LBB876_299
; %bb.298:
	v_and_b32_e32 v60, 7, v30
	v_ffbh_u32_e32 v58, v60
	v_min_u32_e32 v62, 32, v58
	v_subrev_u32_e32 v58, 28, v62
	v_lshlrev_b64 v[58:59], v58, v[30:31]
	v_lshrrev_b32_e32 v61, 3, v33
	v_sub_u32_e32 v59, 29, v62
	v_and_b32_e32 v58, 7, v58
	v_cmp_gt_u32_e32 vcc, 8, v33
	v_cndmask_b32_e32 v33, v61, v59, vcc
	v_cndmask_b32_e32 v58, v60, v58, vcc
	v_lshlrev_b32_e32 v30, 24, v30
	v_bfrev_b32_e32 v59, 60
	v_lshlrev_b32_e32 v58, 20, v58
	v_and_b32_e32 v30, 0x80000000, v30
	v_lshl_add_u32 v33, v33, 23, v59
	v_or3_b32 v30, v30, v33, v58
	v_lshrrev_b32_e32 v58, 16, v30
.LBB876_299:
	s_or_b64 exec, exec, s[10:11]
.LBB876_300:
	s_or_b64 exec, exec, s[8:9]
.LBB876_301:
	s_or_b64 exec, exec, s[2:3]
	s_mov_b32 s2, 0x5040100
	v_perm_b32 v61, v56, v54, s2
	v_perm_b32 v60, v31, v52, s2
	;; [unrolled: 1-line block ×4, first 2 shown]
	v_cmp_ne_u16_sdwa s[8:9], v22, v53 src0_sel:BYTE_0 src1_sel:DWORD
	v_mfma_f32_16x16x16bf16_1k v[42:45], v[60:61], v[18:19], v[42:45]
	v_mfma_f32_16x16x16bf16_1k v[30:33], v[30:31], v[20:21], v[42:45]
	s_and_saveexec_b64 s[2:3], s[8:9]
	s_cbranch_execz .LBB876_307
; %bb.302:
	s_movk_i32 s8, 0x80
	v_cmp_ne_u16_sdwa s[10:11], v22, s8 src0_sel:BYTE_0 src1_sel:DWORD
	v_mov_b32_e32 v53, 0xffff8000
	s_and_saveexec_b64 s[8:9], s[10:11]
	s_cbranch_execz .LBB876_306
; %bb.303:
	s_movk_i32 s10, 0x7f
	s_nop 1
	v_and_b32_e32 v42, 0x7f, v22
	v_cmp_ne_u32_e32 vcc, s10, v42
	v_mov_b32_e32 v53, 0x7f80
	s_and_saveexec_b64 s[10:11], vcc
	s_cbranch_execz .LBB876_305
; %bb.304:
	v_and_b32_e32 v43, 7, v22
	v_ffbh_u32_e32 v44, v43
	v_min_u32_e32 v53, 32, v44
	v_subrev_u32_e32 v44, 28, v53
	v_lshlrev_b64 v[44:45], v44, v[22:23]
	v_lshrrev_b32_e32 v52, 3, v42
	v_sub_u32_e32 v45, 29, v53
	v_and_b32_e32 v44, 7, v44
	v_cmp_gt_u32_e32 vcc, 8, v42
	v_cndmask_b32_e32 v42, v52, v45, vcc
	v_cndmask_b32_e32 v43, v43, v44, vcc
	v_lshlrev_b32_e32 v44, 24, v22
	v_bfrev_b32_e32 v45, 60
	v_lshlrev_b32_e32 v43, 20, v43
	v_and_b32_e32 v44, 0x80000000, v44
	v_lshl_add_u32 v42, v42, 23, v45
	v_or3_b32 v42, v44, v42, v43
	v_lshrrev_b32_e32 v53, 16, v42
.LBB876_305:
	s_or_b64 exec, exec, s[10:11]
.LBB876_306:
	s_or_b64 exec, exec, s[8:9]
.LBB876_307:
	s_or_b64 exec, exec, s[2:3]
	s_nop 6
	v_lshrrev_b16_e32 v42, 8, v22
	v_cmp_ne_u16_e32 vcc, 0, v42
	v_mov_b32_e32 v44, 0
	v_mov_b32_e32 v43, 0
	s_and_saveexec_b64 s[2:3], vcc
	s_cbranch_execz .LBB876_313
; %bb.308:
	s_movk_i32 s8, 0x80
	v_cmp_ne_u16_e32 vcc, s8, v42
	v_mov_b32_e32 v43, 0xffff8000
	s_and_saveexec_b64 s[8:9], vcc
	s_cbranch_execz .LBB876_312
; %bb.309:
	s_movk_i32 s10, 0x7f
	v_and_b32_e32 v45, 0x7f, v42
	v_cmp_ne_u32_e32 vcc, s10, v45
	v_mov_b32_e32 v43, 0x7f80
	s_and_saveexec_b64 s[10:11], vcc
	s_cbranch_execz .LBB876_311
; %bb.310:
	v_and_b32_e32 v52, 7, v42
	v_ffbh_u32_e32 v43, v52
	v_min_u32_e32 v55, 32, v43
	v_subrev_u32_e32 v43, 28, v55
	v_lshlrev_b64 v[42:43], v43, v[42:43]
	v_lshrrev_b32_e32 v54, 3, v45
	v_sub_u32_e32 v43, 29, v55
	v_and_b32_e32 v42, 7, v42
	v_cmp_gt_u32_e32 vcc, 8, v45
	v_cndmask_b32_e32 v43, v54, v43, vcc
	v_cndmask_b32_e32 v42, v52, v42, vcc
	v_lshlrev_b32_e32 v45, 16, v22
	v_bfrev_b32_e32 v52, 60
	v_lshlrev_b32_e32 v42, 20, v42
	v_and_b32_e32 v45, 0x80000000, v45
	v_lshl_add_u32 v43, v43, 23, v52
	v_or3_b32 v42, v45, v43, v42
	v_lshrrev_b32_e32 v43, 16, v42
.LBB876_311:
	s_or_b64 exec, exec, s[10:11]
.LBB876_312:
	s_or_b64 exec, exec, s[8:9]
.LBB876_313:
	s_or_b64 exec, exec, s[2:3]
	s_movk_i32 s2, 0xff
	v_and_b32_sdwa v45, v22, s2 dst_sel:DWORD dst_unused:UNUSED_PAD src0_sel:WORD_1 src1_sel:DWORD
	v_lshrrev_b32_e32 v42, 16, v22
	v_cmp_ne_u16_e32 vcc, 0, v45
	s_and_saveexec_b64 s[2:3], vcc
	s_cbranch_execz .LBB876_319
; %bb.314:
	s_movk_i32 s8, 0x80
	v_cmp_ne_u16_e32 vcc, s8, v45
	v_mov_b32_e32 v44, 0xffff8000
	s_and_saveexec_b64 s[8:9], vcc
	s_cbranch_execz .LBB876_318
; %bb.315:
	v_bfe_u32 v45, v22, 16, 7
	s_movk_i32 s10, 0x7f
	v_cmp_ne_u32_e32 vcc, s10, v45
	v_mov_b32_e32 v44, 0x7f80
	s_and_saveexec_b64 s[10:11], vcc
	s_cbranch_execz .LBB876_317
; %bb.316:
	v_and_b32_e32 v44, 7, v42
	v_ffbh_u32_e32 v54, v44
	v_min_u32_e32 v56, 32, v54
	v_subrev_u32_e32 v54, 28, v56
	v_lshlrev_b64 v[54:55], v54, v[42:43]
	v_lshrrev_b32_e32 v52, 3, v45
	v_sub_u32_e32 v42, 29, v56
	v_and_b32_e32 v54, 7, v54
	v_cmp_gt_u32_e32 vcc, 8, v45
	v_mov_b32_e32 v45, 24
	v_cndmask_b32_e32 v42, v52, v42, vcc
	v_cndmask_b32_e32 v44, v44, v54, vcc
	v_lshlrev_b32_sdwa v45, v45, v22 dst_sel:DWORD dst_unused:UNUSED_PAD src0_sel:DWORD src1_sel:WORD_1
	v_bfrev_b32_e32 v52, 60
	v_lshlrev_b32_e32 v44, 20, v44
	v_and_b32_e32 v45, 0x80000000, v45
	v_lshl_add_u32 v42, v42, 23, v52
	v_or3_b32 v42, v45, v42, v44
	v_lshrrev_b32_e32 v44, 16, v42
.LBB876_317:
	s_or_b64 exec, exec, s[10:11]
.LBB876_318:
	s_or_b64 exec, exec, s[8:9]
.LBB876_319:
	s_or_b64 exec, exec, s[2:3]
	s_mov_b32 s2, 0xffffff
	v_cmp_lt_u32_e32 vcc, s2, v22
	v_mov_b32_e32 v45, 0
	v_mov_b32_e32 v52, 0
	s_and_saveexec_b64 s[2:3], vcc
	s_cbranch_execz .LBB876_325
; %bb.320:
	v_lshrrev_b32_e32 v42, 24, v22
	s_movk_i32 s8, 0x80
	v_cmp_ne_u32_e32 vcc, s8, v42
	v_mov_b32_e32 v52, 0xffff8000
	s_and_saveexec_b64 s[8:9], vcc
	s_cbranch_execz .LBB876_324
; %bb.321:
	v_bfe_u32 v22, v22, 24, 7
	s_movk_i32 s10, 0x7f
	v_cmp_ne_u32_e32 vcc, s10, v22
	v_mov_b32_e32 v52, 0x7f80
	s_and_saveexec_b64 s[10:11], vcc
	s_cbranch_execz .LBB876_323
; %bb.322:
	v_and_b32_e32 v52, 7, v42
	v_ffbh_u32_e32 v54, v52
	v_min_u32_e32 v57, 32, v54
	v_subrev_u32_e32 v54, 28, v57
	v_lshlrev_b64 v[54:55], v54, v[42:43]
	v_lshrrev_b32_e32 v56, 3, v22
	v_sub_u32_e32 v55, 29, v57
	v_and_b32_e32 v54, 7, v54
	v_cmp_gt_u32_e32 vcc, 8, v22
	v_cndmask_b32_e32 v22, v56, v55, vcc
	v_cndmask_b32_e32 v52, v52, v54, vcc
	v_lshlrev_b32_e32 v42, 24, v42
	v_bfrev_b32_e32 v54, 60
	v_lshlrev_b32_e32 v52, 20, v52
	v_and_b32_e32 v42, 0x80000000, v42
	v_lshl_add_u32 v22, v22, 23, v54
	v_or3_b32 v22, v42, v22, v52
	v_lshrrev_b32_e32 v52, 16, v22
.LBB876_323:
	s_or_b64 exec, exec, s[10:11]
.LBB876_324:
	s_or_b64 exec, exec, s[8:9]
.LBB876_325:
	s_or_b64 exec, exec, s[2:3]
	v_cmp_ne_u16_sdwa s[8:9], v23, v45 src0_sel:BYTE_0 src1_sel:DWORD
	s_and_saveexec_b64 s[2:3], s[8:9]
	s_cbranch_execz .LBB876_331
; %bb.326:
	s_movk_i32 s8, 0x80
	v_cmp_ne_u16_sdwa s[10:11], v23, s8 src0_sel:BYTE_0 src1_sel:DWORD
	v_mov_b32_e32 v45, 0xffff8000
	s_and_saveexec_b64 s[8:9], s[10:11]
	s_cbranch_execz .LBB876_330
; %bb.327:
	s_movk_i32 s10, 0x7f
	v_and_b32_e32 v22, 0x7f, v23
	v_cmp_ne_u32_e32 vcc, s10, v22
	v_mov_b32_e32 v45, 0x7f80
	s_and_saveexec_b64 s[10:11], vcc
	s_cbranch_execz .LBB876_329
; %bb.328:
	v_and_b32_e32 v45, 7, v23
	v_ffbh_u32_e32 v54, v45
	v_min_u32_e32 v57, 32, v54
	v_mov_b32_e32 v42, v23
	v_subrev_u32_e32 v54, 28, v57
	v_lshlrev_b64 v[54:55], v54, v[42:43]
	v_lshrrev_b32_e32 v56, 3, v22
	v_sub_u32_e32 v42, 29, v57
	v_and_b32_e32 v54, 7, v54
	v_cmp_gt_u32_e32 vcc, 8, v22
	v_cndmask_b32_e32 v22, v56, v42, vcc
	v_cndmask_b32_e32 v42, v45, v54, vcc
	v_lshlrev_b32_e32 v45, 24, v23
	v_bfrev_b32_e32 v54, 60
	v_lshlrev_b32_e32 v42, 20, v42
	v_and_b32_e32 v45, 0x80000000, v45
	v_lshl_add_u32 v22, v22, 23, v54
	v_or3_b32 v22, v45, v22, v42
	v_lshrrev_b32_e32 v45, 16, v22
.LBB876_329:
	s_or_b64 exec, exec, s[10:11]
.LBB876_330:
	s_or_b64 exec, exec, s[8:9]
.LBB876_331:
	s_or_b64 exec, exec, s[2:3]
	v_lshrrev_b16_e32 v22, 8, v23
	v_cmp_ne_u16_e32 vcc, 0, v22
	v_mov_b32_e32 v55, 0
	v_mov_b32_e32 v54, 0
	s_and_saveexec_b64 s[2:3], vcc
	s_cbranch_execz .LBB876_337
; %bb.332:
	s_movk_i32 s8, 0x80
	v_cmp_ne_u16_e32 vcc, s8, v22
	v_mov_b32_e32 v54, 0xffff8000
	s_and_saveexec_b64 s[8:9], vcc
	s_cbranch_execz .LBB876_336
; %bb.333:
	s_movk_i32 s10, 0x7f
	v_and_b32_e32 v42, 0x7f, v22
	v_cmp_ne_u32_e32 vcc, s10, v42
	v_mov_b32_e32 v54, 0x7f80
	s_and_saveexec_b64 s[10:11], vcc
	s_cbranch_execz .LBB876_335
; %bb.334:
	v_and_b32_e32 v54, 7, v22
	v_ffbh_u32_e32 v56, v54
	v_min_u32_e32 v59, 32, v56
	v_subrev_u32_e32 v56, 28, v59
	v_lshlrev_b64 v[56:57], v56, v[22:23]
	v_lshrrev_b32_e32 v58, 3, v42
	v_sub_u32_e32 v22, 29, v59
	v_and_b32_e32 v56, 7, v56
	v_cmp_gt_u32_e32 vcc, 8, v42
	v_cndmask_b32_e32 v22, v58, v22, vcc
	v_cndmask_b32_e32 v42, v54, v56, vcc
	v_lshlrev_b32_e32 v54, 16, v23
	v_bfrev_b32_e32 v56, 60
	v_lshlrev_b32_e32 v42, 20, v42
	v_and_b32_e32 v54, 0x80000000, v54
	v_lshl_add_u32 v22, v22, 23, v56
	v_or3_b32 v22, v54, v22, v42
	v_lshrrev_b32_e32 v54, 16, v22
.LBB876_335:
	s_or_b64 exec, exec, s[10:11]
.LBB876_336:
	s_or_b64 exec, exec, s[8:9]
.LBB876_337:
	s_or_b64 exec, exec, s[2:3]
	s_movk_i32 s2, 0xff
	v_and_b32_sdwa v42, v23, s2 dst_sel:DWORD dst_unused:UNUSED_PAD src0_sel:WORD_1 src1_sel:DWORD
	v_lshrrev_b32_e32 v22, 16, v23
	v_cmp_ne_u16_e32 vcc, 0, v42
	s_and_saveexec_b64 s[2:3], vcc
	s_cbranch_execz .LBB876_343
; %bb.338:
	s_movk_i32 s8, 0x80
	v_cmp_ne_u16_e32 vcc, s8, v42
	v_mov_b32_e32 v55, 0xffff8000
	s_and_saveexec_b64 s[8:9], vcc
	s_cbranch_execz .LBB876_342
; %bb.339:
	v_bfe_u32 v42, v23, 16, 7
	s_movk_i32 s10, 0x7f
	v_cmp_ne_u32_e32 vcc, s10, v42
	v_mov_b32_e32 v55, 0x7f80
	s_and_saveexec_b64 s[10:11], vcc
	s_cbranch_execz .LBB876_341
; %bb.340:
	v_and_b32_e32 v55, 7, v22
	v_ffbh_u32_e32 v56, v55
	v_min_u32_e32 v59, 32, v56
	v_subrev_u32_e32 v56, 28, v59
	v_lshlrev_b64 v[56:57], v56, v[22:23]
	v_and_b32_e32 v56, 7, v56
	v_cmp_gt_u32_e32 vcc, 8, v42
	v_lshrrev_b32_e32 v58, 3, v42
	v_sub_u32_e32 v22, 29, v59
	v_cndmask_b32_e32 v42, v55, v56, vcc
	v_mov_b32_e32 v55, 24
	v_cndmask_b32_e32 v22, v58, v22, vcc
	v_lshlrev_b32_sdwa v55, v55, v23 dst_sel:DWORD dst_unused:UNUSED_PAD src0_sel:DWORD src1_sel:WORD_1
	v_bfrev_b32_e32 v56, 60
	v_lshlrev_b32_e32 v42, 20, v42
	v_and_b32_e32 v55, 0x80000000, v55
	v_lshl_add_u32 v22, v22, 23, v56
	v_or3_b32 v22, v55, v22, v42
	v_lshrrev_b32_e32 v55, 16, v22
.LBB876_341:
	s_or_b64 exec, exec, s[10:11]
.LBB876_342:
	s_or_b64 exec, exec, s[8:9]
.LBB876_343:
	s_or_b64 exec, exec, s[2:3]
	s_mov_b32 s2, 0xffffff
	v_cmp_lt_u32_e32 vcc, s2, v23
	v_mov_b32_e32 v42, 0
	v_mov_b32_e32 v56, 0
	s_and_saveexec_b64 s[2:3], vcc
	s_cbranch_execz .LBB876_349
; %bb.344:
	v_lshrrev_b32_e32 v22, 24, v23
	s_movk_i32 s8, 0x80
	v_cmp_ne_u32_e32 vcc, s8, v22
	v_mov_b32_e32 v56, 0xffff8000
	s_and_saveexec_b64 s[8:9], vcc
	s_cbranch_execz .LBB876_348
; %bb.345:
	v_bfe_u32 v23, v23, 24, 7
	s_movk_i32 s10, 0x7f
	v_cmp_ne_u32_e32 vcc, s10, v23
	v_mov_b32_e32 v56, 0x7f80
	s_and_saveexec_b64 s[10:11], vcc
	s_cbranch_execz .LBB876_347
; %bb.346:
	v_and_b32_e32 v58, 7, v22
	v_ffbh_u32_e32 v56, v58
	v_min_u32_e32 v60, 32, v56
	v_subrev_u32_e32 v56, 28, v60
	v_lshlrev_b64 v[56:57], v56, v[22:23]
	v_lshrrev_b32_e32 v59, 3, v23
	v_sub_u32_e32 v57, 29, v60
	v_and_b32_e32 v56, 7, v56
	v_cmp_gt_u32_e32 vcc, 8, v23
	v_cndmask_b32_e32 v23, v59, v57, vcc
	v_cndmask_b32_e32 v56, v58, v56, vcc
	v_lshlrev_b32_e32 v22, 24, v22
	v_bfrev_b32_e32 v57, 60
	v_lshlrev_b32_e32 v56, 20, v56
	v_and_b32_e32 v22, 0x80000000, v22
	v_lshl_add_u32 v23, v23, 23, v57
	v_or3_b32 v22, v22, v23, v56
	v_lshrrev_b32_e32 v56, 16, v22
.LBB876_347:
	s_or_b64 exec, exec, s[10:11]
.LBB876_348:
	s_or_b64 exec, exec, s[8:9]
.LBB876_349:
	s_or_b64 exec, exec, s[2:3]
	s_mov_b32 s2, 0x5040100
	v_perm_b32 v23, v52, v44, s2
	v_perm_b32 v22, v43, v53, s2
	v_cmp_ne_u16_sdwa s[8:9], v24, v42 src0_sel:BYTE_0 src1_sel:DWORD
	s_nop 0
	v_mfma_f32_16x16x16bf16_1k v[58:61], v[22:23], v[26:27], 0
	v_perm_b32 v23, v56, v55, s2
	v_perm_b32 v22, v54, v45, s2
	s_nop 1
	v_mfma_f32_16x16x16bf16_1k v[26:29], v[22:23], v[28:29], v[58:61]
	s_and_saveexec_b64 s[2:3], s[8:9]
	s_cbranch_execz .LBB876_355
; %bb.350:
	s_movk_i32 s8, 0x80
	v_cmp_ne_u16_sdwa s[10:11], v24, s8 src0_sel:BYTE_0 src1_sel:DWORD
	v_mov_b32_e32 v42, 0xffff8000
	s_and_saveexec_b64 s[8:9], s[10:11]
	s_cbranch_execz .LBB876_354
; %bb.351:
	s_movk_i32 s10, 0x7f
	v_and_b32_e32 v22, 0x7f, v24
	v_cmp_ne_u32_e32 vcc, s10, v22
	v_mov_b32_e32 v42, 0x7f80
	s_and_saveexec_b64 s[10:11], vcc
	s_cbranch_execz .LBB876_353
; %bb.352:
	v_and_b32_e32 v23, 7, v24
	v_ffbh_u32_e32 v42, v23
	v_min_u32_e32 v45, 32, v42
	v_subrev_u32_e32 v42, 28, v45
	v_lshlrev_b64 v[42:43], v42, v[24:25]
	v_lshrrev_b32_e32 v44, 3, v22
	v_sub_u32_e32 v43, 29, v45
	v_and_b32_e32 v42, 7, v42
	v_cmp_gt_u32_e32 vcc, 8, v22
	v_cndmask_b32_e32 v22, v44, v43, vcc
	v_cndmask_b32_e32 v23, v23, v42, vcc
	v_lshlrev_b32_e32 v42, 24, v24
	v_bfrev_b32_e32 v43, 60
	v_lshlrev_b32_e32 v23, 20, v23
	v_and_b32_e32 v42, 0x80000000, v42
	v_lshl_add_u32 v22, v22, 23, v43
	v_or3_b32 v22, v42, v22, v23
	v_lshrrev_b32_e32 v42, 16, v22
.LBB876_353:
	s_or_b64 exec, exec, s[10:11]
.LBB876_354:
	s_or_b64 exec, exec, s[8:9]
.LBB876_355:
	s_or_b64 exec, exec, s[2:3]
	v_lshrrev_b16_e32 v22, 8, v24
	v_cmp_ne_u16_e32 vcc, 0, v22
	v_mov_b32_e32 v43, 0
	v_mov_b32_e32 v23, 0
	s_and_saveexec_b64 s[2:3], vcc
	s_cbranch_execz .LBB876_361
; %bb.356:
	s_movk_i32 s8, 0x80
	v_cmp_ne_u16_e32 vcc, s8, v22
	v_mov_b32_e32 v23, 0xffff8000
	s_and_saveexec_b64 s[8:9], vcc
	s_cbranch_execz .LBB876_360
; %bb.357:
	s_movk_i32 s10, 0x7f
	v_and_b32_e32 v44, 0x7f, v22
	v_cmp_ne_u32_e32 vcc, s10, v44
	v_mov_b32_e32 v23, 0x7f80
	s_and_saveexec_b64 s[10:11], vcc
	s_cbranch_execz .LBB876_359
; %bb.358:
	v_and_b32_e32 v45, 7, v22
	v_ffbh_u32_e32 v23, v45
	v_min_u32_e32 v53, 32, v23
	v_subrev_u32_e32 v23, 28, v53
	v_lshlrev_b64 v[22:23], v23, v[22:23]
	v_lshrrev_b32_e32 v52, 3, v44
	v_sub_u32_e32 v23, 29, v53
	v_and_b32_e32 v22, 7, v22
	v_cmp_gt_u32_e32 vcc, 8, v44
	v_cndmask_b32_e32 v23, v52, v23, vcc
	v_cndmask_b32_e32 v22, v45, v22, vcc
	v_lshlrev_b32_e32 v44, 16, v24
	v_bfrev_b32_e32 v45, 60
	v_lshlrev_b32_e32 v22, 20, v22
	v_and_b32_e32 v44, 0x80000000, v44
	v_lshl_add_u32 v23, v23, 23, v45
	v_or3_b32 v22, v44, v23, v22
	v_lshrrev_b32_e32 v23, 16, v22
.LBB876_359:
	s_or_b64 exec, exec, s[10:11]
.LBB876_360:
	s_or_b64 exec, exec, s[8:9]
.LBB876_361:
	s_or_b64 exec, exec, s[2:3]
	s_movk_i32 s2, 0xff
	v_and_b32_sdwa v44, v24, s2 dst_sel:DWORD dst_unused:UNUSED_PAD src0_sel:WORD_1 src1_sel:DWORD
	v_lshrrev_b32_e32 v22, 16, v24
	v_cmp_ne_u16_e32 vcc, 0, v44
	s_and_saveexec_b64 s[2:3], vcc
	s_cbranch_execz .LBB876_367
; %bb.362:
	s_movk_i32 s8, 0x80
	v_cmp_ne_u16_e32 vcc, s8, v44
	v_mov_b32_e32 v43, 0xffff8000
	s_and_saveexec_b64 s[8:9], vcc
	s_cbranch_execz .LBB876_366
; %bb.363:
	v_bfe_u32 v44, v24, 16, 7
	s_movk_i32 s10, 0x7f
	v_cmp_ne_u32_e32 vcc, s10, v44
	v_mov_b32_e32 v43, 0x7f80
	s_and_saveexec_b64 s[10:11], vcc
	s_cbranch_execz .LBB876_365
; %bb.364:
	v_and_b32_e32 v43, 7, v22
	v_ffbh_u32_e32 v52, v43
	v_min_u32_e32 v54, 32, v52
	v_subrev_u32_e32 v52, 28, v54
	v_lshlrev_b64 v[52:53], v52, v[22:23]
	v_lshrrev_b32_e32 v45, 3, v44
	v_sub_u32_e32 v22, 29, v54
	v_and_b32_e32 v52, 7, v52
	v_cmp_gt_u32_e32 vcc, 8, v44
	v_mov_b32_e32 v44, 24
	v_cndmask_b32_e32 v22, v45, v22, vcc
	v_cndmask_b32_e32 v43, v43, v52, vcc
	v_lshlrev_b32_sdwa v44, v44, v24 dst_sel:DWORD dst_unused:UNUSED_PAD src0_sel:DWORD src1_sel:WORD_1
	v_bfrev_b32_e32 v45, 60
	v_lshlrev_b32_e32 v43, 20, v43
	v_and_b32_e32 v44, 0x80000000, v44
	v_lshl_add_u32 v22, v22, 23, v45
	v_or3_b32 v22, v44, v22, v43
	v_lshrrev_b32_e32 v43, 16, v22
.LBB876_365:
	s_or_b64 exec, exec, s[10:11]
.LBB876_366:
	s_or_b64 exec, exec, s[8:9]
.LBB876_367:
	s_or_b64 exec, exec, s[2:3]
	s_mov_b32 s2, 0xffffff
	v_cmp_lt_u32_e32 vcc, s2, v24
	v_mov_b32_e32 v45, 0
	v_mov_b32_e32 v52, 0
	s_and_saveexec_b64 s[2:3], vcc
	s_cbranch_execz .LBB876_373
; %bb.368:
	v_lshrrev_b32_e32 v22, 24, v24
	s_movk_i32 s8, 0x80
	v_cmp_ne_u32_e32 vcc, s8, v22
	v_mov_b32_e32 v52, 0xffff8000
	s_and_saveexec_b64 s[8:9], vcc
	s_cbranch_execz .LBB876_372
; %bb.369:
	v_bfe_u32 v24, v24, 24, 7
	s_movk_i32 s10, 0x7f
	v_cmp_ne_u32_e32 vcc, s10, v24
	v_mov_b32_e32 v52, 0x7f80
	s_and_saveexec_b64 s[10:11], vcc
	s_cbranch_execz .LBB876_371
; %bb.370:
	v_and_b32_e32 v44, 7, v22
	v_ffbh_u32_e32 v52, v44
	v_min_u32_e32 v55, 32, v52
	v_subrev_u32_e32 v52, 28, v55
	v_lshlrev_b64 v[52:53], v52, v[22:23]
	v_lshrrev_b32_e32 v54, 3, v24
	v_sub_u32_e32 v53, 29, v55
	v_and_b32_e32 v52, 7, v52
	v_cmp_gt_u32_e32 vcc, 8, v24
	v_cndmask_b32_e32 v24, v54, v53, vcc
	v_cndmask_b32_e32 v44, v44, v52, vcc
	v_lshlrev_b32_e32 v22, 24, v22
	v_bfrev_b32_e32 v52, 60
	v_lshlrev_b32_e32 v44, 20, v44
	v_and_b32_e32 v22, 0x80000000, v22
	v_lshl_add_u32 v24, v24, 23, v52
	v_or3_b32 v22, v22, v24, v44
	v_lshrrev_b32_e32 v52, 16, v22
.LBB876_371:
	s_or_b64 exec, exec, s[10:11]
.LBB876_372:
	s_or_b64 exec, exec, s[8:9]
.LBB876_373:
	s_or_b64 exec, exec, s[2:3]
	v_cmp_ne_u16_sdwa s[8:9], v25, v45 src0_sel:BYTE_0 src1_sel:DWORD
	s_and_saveexec_b64 s[2:3], s[8:9]
	s_cbranch_execz .LBB876_379
; %bb.374:
	s_movk_i32 s8, 0x80
	v_cmp_ne_u16_sdwa s[10:11], v25, s8 src0_sel:BYTE_0 src1_sel:DWORD
	v_mov_b32_e32 v45, 0xffff8000
	s_and_saveexec_b64 s[8:9], s[10:11]
	s_cbranch_execz .LBB876_378
; %bb.375:
	s_movk_i32 s10, 0x7f
	v_and_b32_e32 v22, 0x7f, v25
	v_cmp_ne_u32_e32 vcc, s10, v22
	v_mov_b32_e32 v45, 0x7f80
	s_and_saveexec_b64 s[10:11], vcc
	s_cbranch_execz .LBB876_377
; %bb.376:
	v_and_b32_e32 v53, 7, v25
	v_ffbh_u32_e32 v44, v53
	v_min_u32_e32 v55, 32, v44
	v_mov_b32_e32 v24, v25
	v_subrev_u32_e32 v44, 28, v55
	v_lshlrev_b64 v[44:45], v44, v[24:25]
	v_lshrrev_b32_e32 v54, 3, v22
	v_sub_u32_e32 v24, 29, v55
	v_and_b32_e32 v44, 7, v44
	v_cmp_gt_u32_e32 vcc, 8, v22
	v_cndmask_b32_e32 v22, v54, v24, vcc
	v_cndmask_b32_e32 v24, v53, v44, vcc
	v_lshlrev_b32_e32 v44, 24, v25
	v_bfrev_b32_e32 v45, 60
	v_lshlrev_b32_e32 v24, 20, v24
	v_and_b32_e32 v44, 0x80000000, v44
	v_lshl_add_u32 v22, v22, 23, v45
	v_or3_b32 v22, v44, v22, v24
	v_lshrrev_b32_e32 v45, 16, v22
.LBB876_377:
	s_or_b64 exec, exec, s[10:11]
.LBB876_378:
	s_or_b64 exec, exec, s[8:9]
.LBB876_379:
	s_or_b64 exec, exec, s[2:3]
	v_lshrrev_b16_e32 v22, 8, v25
	v_cmp_ne_u16_e32 vcc, 0, v22
	v_mov_b32_e32 v54, 0
	v_mov_b32_e32 v53, 0
	s_and_saveexec_b64 s[2:3], vcc
	s_cbranch_execz .LBB876_385
; %bb.380:
	s_movk_i32 s8, 0x80
	v_cmp_ne_u16_e32 vcc, s8, v22
	v_mov_b32_e32 v53, 0xffff8000
	s_and_saveexec_b64 s[8:9], vcc
	s_cbranch_execz .LBB876_384
; %bb.381:
	s_movk_i32 s10, 0x7f
	v_and_b32_e32 v24, 0x7f, v22
	v_cmp_ne_u32_e32 vcc, s10, v24
	v_mov_b32_e32 v53, 0x7f80
	s_and_saveexec_b64 s[10:11], vcc
	s_cbranch_execz .LBB876_383
; %bb.382:
	v_and_b32_e32 v44, 7, v22
	v_ffbh_u32_e32 v55, v44
	v_min_u32_e32 v55, 32, v55
	v_subrev_u32_e32 v56, 28, v55
	v_lshlrev_b64 v[56:57], v56, v[22:23]
	v_lshrrev_b32_e32 v53, 3, v24
	v_sub_u32_e32 v22, 29, v55
	v_and_b32_e32 v55, 7, v56
	v_cmp_gt_u32_e32 vcc, 8, v24
	v_cndmask_b32_e32 v22, v53, v22, vcc
	v_cndmask_b32_e32 v24, v44, v55, vcc
	v_lshlrev_b32_e32 v44, 16, v25
	v_bfrev_b32_e32 v53, 60
	v_lshlrev_b32_e32 v24, 20, v24
	v_and_b32_e32 v44, 0x80000000, v44
	v_lshl_add_u32 v22, v22, 23, v53
	v_or3_b32 v22, v44, v22, v24
	v_lshrrev_b32_e32 v53, 16, v22
.LBB876_383:
	s_or_b64 exec, exec, s[10:11]
.LBB876_384:
	s_or_b64 exec, exec, s[8:9]
.LBB876_385:
	s_or_b64 exec, exec, s[2:3]
	s_movk_i32 s2, 0xff
	v_and_b32_sdwa v24, v25, s2 dst_sel:DWORD dst_unused:UNUSED_PAD src0_sel:WORD_1 src1_sel:DWORD
	v_lshrrev_b32_e32 v22, 16, v25
	v_cmp_ne_u16_e32 vcc, 0, v24
	s_and_saveexec_b64 s[2:3], vcc
	s_cbranch_execz .LBB876_391
; %bb.386:
	s_movk_i32 s8, 0x80
	v_cmp_ne_u16_e32 vcc, s8, v24
	v_mov_b32_e32 v54, 0xffff8000
	s_and_saveexec_b64 s[8:9], vcc
	s_cbranch_execz .LBB876_390
; %bb.387:
	v_bfe_u32 v24, v25, 16, 7
	s_movk_i32 s10, 0x7f
	v_cmp_ne_u32_e32 vcc, s10, v24
	v_mov_b32_e32 v54, 0x7f80
	s_and_saveexec_b64 s[10:11], vcc
	s_cbranch_execz .LBB876_389
; %bb.388:
	v_and_b32_e32 v44, 7, v22
	v_ffbh_u32_e32 v54, v44
	v_min_u32_e32 v57, 32, v54
	v_subrev_u32_e32 v54, 28, v57
	v_lshlrev_b64 v[54:55], v54, v[22:23]
	v_and_b32_e32 v54, 7, v54
	v_cmp_gt_u32_e32 vcc, 8, v24
	v_lshrrev_b32_e32 v56, 3, v24
	v_sub_u32_e32 v22, 29, v57
	v_cndmask_b32_e32 v24, v44, v54, vcc
	v_mov_b32_e32 v44, 24
	v_cndmask_b32_e32 v22, v56, v22, vcc
	v_lshlrev_b32_sdwa v44, v44, v25 dst_sel:DWORD dst_unused:UNUSED_PAD src0_sel:DWORD src1_sel:WORD_1
	v_bfrev_b32_e32 v54, 60
	v_lshlrev_b32_e32 v24, 20, v24
	v_and_b32_e32 v44, 0x80000000, v44
	v_lshl_add_u32 v22, v22, 23, v54
	v_or3_b32 v22, v44, v22, v24
	v_lshrrev_b32_e32 v54, 16, v22
.LBB876_389:
	s_or_b64 exec, exec, s[10:11]
.LBB876_390:
	s_or_b64 exec, exec, s[8:9]
.LBB876_391:
	s_or_b64 exec, exec, s[2:3]
	s_mov_b32 s2, 0xffffff
	v_and_b32_e32 v44, 63, v0
	v_cmp_lt_u32_e32 vcc, s2, v25
	v_mov_b32_e32 v55, 0
	s_and_saveexec_b64 s[2:3], vcc
	s_cbranch_execz .LBB876_397
; %bb.392:
	v_lshrrev_b32_e32 v22, 24, v25
	s_movk_i32 s8, 0x80
	v_cmp_ne_u32_e32 vcc, s8, v22
	v_mov_b32_e32 v55, 0xffff8000
	s_and_saveexec_b64 s[8:9], vcc
	s_cbranch_execz .LBB876_396
; %bb.393:
	v_bfe_u32 v24, v25, 24, 7
	s_movk_i32 s10, 0x7f
	v_cmp_ne_u32_e32 vcc, s10, v24
	v_mov_b32_e32 v55, 0x7f80
	s_and_saveexec_b64 s[10:11], vcc
	s_cbranch_execz .LBB876_395
; %bb.394:
	v_and_b32_e32 v25, 7, v22
	v_ffbh_u32_e32 v56, v25
	v_min_u32_e32 v58, 32, v56
	v_subrev_u32_e32 v56, 28, v58
	v_lshlrev_b64 v[56:57], v56, v[22:23]
	v_lshrrev_b32_e32 v55, 3, v24
	v_sub_u32_e32 v57, 29, v58
	v_and_b32_e32 v56, 7, v56
	v_cmp_gt_u32_e32 vcc, 8, v24
	v_cndmask_b32_e32 v24, v55, v57, vcc
	v_cndmask_b32_e32 v25, v25, v56, vcc
	v_lshlrev_b32_e32 v22, 24, v22
	v_bfrev_b32_e32 v55, 60
	v_lshlrev_b32_e32 v25, 20, v25
	v_and_b32_e32 v22, 0x80000000, v22
	v_lshl_add_u32 v24, v24, 23, v55
	v_or3_b32 v22, v22, v24, v25
	v_lshrrev_b32_e32 v55, 16, v22
.LBB876_395:
	s_or_b64 exec, exec, s[10:11]
.LBB876_396:
	s_or_b64 exec, exec, s[8:9]
.LBB876_397:
	s_or_b64 exec, exec, s[2:3]
	s_mov_b32 s3, 0x5040100
	v_perm_b32 v43, v52, v43, s3
	v_perm_b32 v42, v23, v42, s3
	s_load_dword s2, s[4:5], 0x1c
	s_mov_b32 s46, 0xff7fffff
	s_waitcnt lgkmcnt(0)
	v_mfma_f32_16x16x16bf16_1k v[26:29], v[42:43], v[18:19], v[26:29]
	v_perm_b32 v19, v55, v54, s3
	v_perm_b32 v18, v53, v45, s3
	v_mov_b32_e32 v22, s2
	v_mul_f32_e32 v52, s12, v22
	v_pk_mul_f32 v[22:23], v[52:53], v[32:33] op_sel_hi:[0,1]
	v_pk_mul_f32 v[32:33], v[52:53], v[38:39] op_sel_hi:[0,1]
	v_and_b32_e32 v38, 0xc0, v0
	v_mfma_f32_16x16x16bf16_1k v[26:29], v[18:19], v[20:21], v[26:29]
	v_add_u32_e32 v38, s18, v38
	v_lshl_or_b32 v38, v1, 2, v38
	v_or_b32_e32 v39, 1, v38
	v_pk_mul_f32 v[24:25], v[52:53], v[30:31] op_sel_hi:[0,1]
	v_pk_mul_f32 v[30:31], v[52:53], v[40:41] op_sel_hi:[0,1]
	v_subrev_u32_e32 v40, s33, v39
	v_pk_mul_f32 v[34:35], v[52:53], v[34:35] op_sel_hi:[0,1]
	s_nop 3
	v_pk_mul_f32 v[20:21], v[52:53], v[26:27] op_sel_hi:[0,1]
	v_add_u32_e32 v27, 1, v40
	v_pk_mul_f32 v[18:19], v[52:53], v[28:29] op_sel_hi:[0,1]
	v_cvt_f32_i32_e32 v27, v27
	v_add_u32_e32 v29, 3, v40
	v_cvt_f32_i32_e32 v29, v29
	v_cvt_f32_i32_e32 v26, v40
	v_pk_mul_f32 v[36:37], v[52:53], v[36:37] op_sel_hi:[0,1]
	v_fmac_f32_e32 v35, v51, v27
	v_add_u32_e32 v27, 16, v40
	v_fmac_f32_e32 v37, v51, v29
	v_cvt_f32_i32_e32 v27, v27
	v_add_u32_e32 v29, 17, v40
	v_fma_f32 v26, v51, v26, v34
	v_cvt_f32_i32_e32 v29, v29
	v_add_u32_e32 v34, 18, v40
	v_cvt_f32_i32_e32 v34, v34
	v_fma_f32 v41, v51, v27, v32
	v_add_u32_e32 v27, 32, v40
	v_fmac_f32_e32 v33, v51, v29
	v_cvt_f32_i32_e32 v27, v27
	v_add_u32_e32 v29, 33, v40
	v_add_u32_e32 v32, 34, v40
	v_fma_f32 v30, v51, v34, v30
	v_cvt_f32_i32_e32 v29, v29
	v_cvt_f32_i32_e32 v32, v32
	v_add_u32_e32 v34, 35, v40
	v_cvt_f32_i32_e32 v34, v34
	v_fma_f32 v24, v51, v27, v24
	v_add_u32_e32 v27, 48, v40
	v_fmac_f32_e32 v25, v51, v29
	v_fma_f32 v22, v51, v32, v22
	v_cvt_f32_i32_e32 v27, v27
	v_add_u32_e32 v29, 49, v40
	v_add_u32_e32 v32, 50, v40
	v_fmac_f32_e32 v23, v51, v34
	v_cvt_f32_i32_e32 v29, v29
	v_cvt_f32_i32_e32 v32, v32
	v_add_u32_e32 v34, 51, v40
	v_add_u32_e32 v28, 2, v40
	v_cvt_f32_i32_e32 v34, v34
	v_cvt_f32_i32_e32 v28, v28
	v_fma_f32 v20, v51, v27, v20
	v_mov_b32_e32 v27, 0xff7fffff
	v_cmp_gt_i32_e64 s[26:27], s33, v38
	v_cmp_gt_i32_e64 s[28:29], s33, v39
	v_fmac_f32_e32 v21, v51, v29
	v_fma_f32 v18, v51, v32, v18
	v_cndmask_b32_e64 v29, v27, v26, s[26:27]
	v_cndmask_b32_e64 v32, v27, v35, s[28:29]
	v_fmac_f32_e32 v19, v51, v34
	v_max3_f32 v29, v29, s46, v32
	v_or_b32_e32 v32, 2, v38
	v_or_b32_e32 v34, 3, v38
	v_fma_f32 v28, v51, v28, v36
	v_cmp_gt_i32_e64 s[30:31], s33, v32
	v_cmp_gt_i32_e64 s[34:35], s33, v34
	v_add_u32_e32 v36, 19, v40
	v_cndmask_b32_e64 v32, v27, v28, s[30:31]
	v_cndmask_b32_e64 v34, v27, v37, s[34:35]
	v_cvt_f32_i32_e32 v36, v36
	v_max3_f32 v29, v29, v32, v34
	v_or_b32_e32 v32, 16, v38
	v_or_b32_e32 v34, 17, v38
	v_cmp_gt_i32_e64 s[36:37], s33, v32
	v_cmp_gt_i32_e64 s[38:39], s33, v34
	v_cndmask_b32_e64 v32, v27, v41, s[36:37]
	v_cndmask_b32_e64 v34, v27, v33, s[38:39]
	v_max3_f32 v29, v29, v32, v34
	v_or_b32_e32 v32, 18, v38
	v_or_b32_e32 v34, 19, v38
	v_fmac_f32_e32 v31, v51, v36
	v_cmp_gt_i32_e64 s[20:21], s33, v32
	v_cmp_gt_i32_e64 s[22:23], s33, v34
	v_cndmask_b32_e64 v32, v27, v30, s[20:21]
	v_cndmask_b32_e64 v34, v27, v31, s[22:23]
	v_max3_f32 v29, v29, v32, v34
	v_or_b32_e32 v32, 32, v38
	v_or_b32_e32 v34, 33, v38
	v_cmp_gt_i32_e64 s[16:17], s33, v32
	v_cmp_gt_i32_e64 s[18:19], s33, v34
	v_cndmask_b32_e64 v32, v27, v24, s[16:17]
	v_cndmask_b32_e64 v34, v27, v25, s[18:19]
	v_max3_f32 v29, v29, v32, v34
	v_or_b32_e32 v32, 34, v38
	v_or_b32_e32 v34, 35, v38
	;; [unrolled: 7-line block ×4, first 2 shown]
	v_cmp_gt_i32_e32 vcc, s33, v32
	v_cmp_gt_i32_e64 s[2:3], s33, v34
	v_cndmask_b32_e32 v32, v27, v18, vcc
	v_cndmask_b32_e64 v27, v27, v19, s[2:3]
	v_max3_f32 v27, v29, v32, v27
	v_mbcnt_lo_u32_b32 v29, -1, 0
	v_mbcnt_hi_u32_b32 v29, -1, v29
	v_and_b32_e32 v32, 64, v29
	v_add_u32_e32 v32, 64, v32
	v_xor_b32_e32 v34, 32, v29
	v_cmp_lt_i32_e64 s[40:41], v34, v32
	v_cndmask_b32_e64 v34, v29, v34, s[40:41]
	v_lshlrev_b32_e32 v36, 2, v34
	ds_bpermute_b32 v34, v36, v27
	s_barrier
	s_waitcnt lgkmcnt(0)
	v_max_f32_e32 v34, v34, v34
	v_max_f32_e32 v27, v27, v34
	v_xor_b32_e32 v34, 16, v29
	v_cmp_lt_i32_e64 s[40:41], v34, v32
	v_cndmask_b32_e64 v29, v29, v34, s[40:41]
	v_lshlrev_b32_e32 v38, 2, v29
	ds_bpermute_b32 v29, v38, v27
	s_waitcnt lgkmcnt(0)
	v_max_f32_e32 v29, v29, v29
	v_max_f32_e32 v32, v27, v29
	v_sub_f32_e32 v26, v26, v32
	v_mul_f32_e32 v26, 0x3fb8aa3b, v26
	v_sub_f32_e32 v27, v35, v32
	v_exp_f32_e32 v26, v26
	v_mul_f32_e32 v27, 0x3fb8aa3b, v27
	v_sub_f32_e32 v28, v28, v32
	v_exp_f32_e32 v27, v27
	v_mul_f32_e32 v28, 0x3fb8aa3b, v28
	v_exp_f32_e32 v28, v28
	v_cndmask_b32_e64 v26, 0, v26, s[26:27]
	v_sub_f32_e32 v34, v37, v32
	v_add_f32_e32 v29, 0, v26
	v_cndmask_b32_e64 v27, 0, v27, s[28:29]
	v_mul_f32_e32 v34, 0x3fb8aa3b, v34
	v_exp_f32_e32 v35, v34
	v_add_f32_e32 v29, v29, v27
	v_cndmask_b32_e64 v34, 0, v28, s[30:31]
	v_add_f32_e32 v28, v29, v34
	v_sub_f32_e32 v29, v41, v32
	v_mul_f32_e32 v29, 0x3fb8aa3b, v29
	v_sub_f32_e32 v33, v33, v32
	v_exp_f32_e32 v29, v29
	v_mul_f32_e32 v33, 0x3fb8aa3b, v33
	v_sub_f32_e32 v30, v30, v32
	v_exp_f32_e32 v33, v33
	;; [unrolled: 3-line block ×3, first 2 shown]
	v_mul_f32_e32 v31, 0x3fb8aa3b, v31
	v_sub_f32_e32 v24, v24, v32
	v_cndmask_b32_e64 v35, 0, v35, s[34:35]
	v_exp_f32_e32 v31, v31
	v_mul_f32_e32 v24, 0x3fb8aa3b, v24
	v_sub_f32_e32 v25, v25, v32
	v_add_f32_e32 v37, v28, v35
	v_cndmask_b32_e64 v28, 0, v29, s[36:37]
	v_exp_f32_e32 v24, v24
	v_mul_f32_e32 v25, 0x3fb8aa3b, v25
	v_sub_f32_e32 v22, v22, v32
	v_add_f32_e32 v37, v37, v28
	;; [unrolled: 5-line block ×7, first 2 shown]
	v_cndmask_b32_e64 v22, 0, v22, s[12:13]
	v_exp_f32_e32 v18, v18
	v_mul_f32_e32 v19, 0x3fb8aa3b, v19
	v_add_f32_e32 v33, v33, v22
	v_cndmask_b32_e64 v23, 0, v23, s[14:15]
	v_exp_f32_e32 v19, v19
	v_add_f32_e32 v33, v33, v23
	v_cndmask_b32_e64 v20, 0, v20, s[8:9]
	v_add_f32_e32 v33, v33, v20
	v_cndmask_b32_e64 v21, 0, v21, s[10:11]
	v_add_f32_e32 v33, v33, v21
	v_cndmask_b32_e32 v18, 0, v18, vcc
	v_add_f32_e32 v33, v33, v18
	v_cndmask_b32_e64 v19, 0, v19, s[2:3]
	v_add_f32_e32 v33, v33, v19
	ds_bpermute_b32 v36, v36, v33
	v_cmp_gt_u32_e32 vcc, 16, v44
	s_waitcnt lgkmcnt(0)
	v_add_f32_e32 v36, v33, v36
	ds_bpermute_b32 v37, v38, v36
	v_lshlrev_b32_e32 v33, 2, v49
	s_and_saveexec_b64 s[2:3], vcc
	s_cbranch_execz .LBB876_399
; %bb.398:
	s_waitcnt lgkmcnt(0)
	v_add_f32_e32 v36, v36, v37
	v_lshl_or_b32 v37, v50, 6, v33
	ds_write2st64_b32 v37, v32, v36 offset1:1
.LBB876_399:
	s_or_b64 exec, exec, s[2:3]
	s_waitcnt lgkmcnt(0)
	s_barrier
	ds_read2_b32 v[36:37], v33 offset1:16
	ds_read2_b32 v[38:39], v33 offset0:32 offset1:48
	ds_read2_b32 v[40:41], v33 offset0:64 offset1:80
	s_mul_i32 s12, s45, 15
	s_waitcnt lgkmcnt(2)
	v_max3_f32 v32, v36, s46, v37
	s_waitcnt lgkmcnt(1)
	v_max3_f32 v32, v32, v38, v39
	v_sub_f32_e32 v36, v36, v32
	v_mul_f32_e32 v36, 0x3fb8aa3b, v36
	v_exp_f32_e32 v42, v36
	v_sub_f32_e32 v36, v37, v32
	v_mul_f32_e32 v36, 0x3fb8aa3b, v36
	v_exp_f32_e32 v43, v36
	;; [unrolled: 3-line block ×3, first 2 shown]
	ds_read2_b32 v[36:37], v33 offset0:96 offset1:112
	v_sub_f32_e32 v33, v39, v32
	v_mul_f32_e32 v33, 0x3fb8aa3b, v33
	v_exp_f32_e32 v39, v33
	s_waitcnt lgkmcnt(1)
	v_fma_f32 v33, v42, v40, 0
	v_fmac_f32_e32 v33, v43, v41
	s_waitcnt lgkmcnt(0)
	v_fmac_f32_e32 v33, v38, v36
	v_fmac_f32_e32 v33, v39, v37
	v_add_f32_e32 v36, 0x358637bd, v33
	v_div_scale_f32 v37, s[2:3], v36, v36, 1.0
	v_rcp_f32_e32 v40, v37
	s_movk_i32 s2, 0x7fff
	s_mov_b32 s3, 0x7060302
	v_fma_f32 v41, -v37, v40, 1.0
	v_fmac_f32_e32 v40, v41, v40
	v_div_scale_f32 v41, vcc, 1.0, v36, 1.0
	v_mul_f32_e32 v44, v41, v40
	v_fma_f32 v45, -v37, v44, v41
	v_fmac_f32_e32 v44, v45, v40
	v_fma_f32 v37, -v37, v44, v41
	v_div_fmas_f32 v37, v37, v40, v44
	v_cmp_eq_u32_e32 vcc, 1, v50
	v_div_fixup_f32 v36, v37, v36, 1.0
	v_cndmask_b32_e32 v37, v42, v43, vcc
	v_cmp_eq_u32_e32 vcc, 2, v50
	v_cndmask_b32_e32 v37, v37, v38, vcc
	v_cmp_eq_u32_e32 vcc, 3, v50
	v_cndmask_b32_e32 v37, v37, v39, vcc
	v_mul_f32_e32 v36, v37, v36
	v_pk_mul_f32 v[26:27], v[36:37], v[26:27] op_sel_hi:[0,1]
	v_pk_mul_f32 v[34:35], v[36:37], v[34:35] op_sel_hi:[0,1]
	v_bfe_u32 v37, v27, 16, 1
	v_bfe_u32 v38, v26, 16, 1
	v_add3_u32 v26, v26, v38, s2
	v_add3_u32 v27, v27, v37, s2
	v_perm_b32 v38, v27, v26, s3
	v_bfe_u32 v26, v35, 16, 1
	v_bfe_u32 v27, v34, 16, 1
	v_add3_u32 v27, v34, v27, s2
	v_add3_u32 v26, v35, v26, s2
	v_perm_b32 v39, v26, v27, s3
	v_lshlrev_b32_e32 v26, 3, v1
	v_lshlrev_b32_e32 v27, 11, v50
	v_pk_mul_f32 v[28:29], v[36:37], v[28:29] op_sel_hi:[0,1]
	v_or3_b32 v26, v27, v48, v26
	v_bfe_u32 v27, v29, 16, 1
	v_bfe_u32 v34, v28, 16, 1
	v_pk_mul_f32 v[30:31], v[36:37], v[30:31] op_sel_hi:[0,1]
	v_add3_u32 v28, v28, v34, s2
	v_add3_u32 v27, v29, v27, s2
	v_perm_b32 v28, v27, v28, s3
	v_bfe_u32 v27, v31, 16, 1
	v_bfe_u32 v29, v30, 16, 1
	v_add3_u32 v29, v30, v29, s2
	v_add3_u32 v27, v31, v27, s2
	v_perm_b32 v29, v27, v29, s3
	v_pk_mul_f32 v[24:25], v[36:37], v[24:25] op_sel_hi:[0,1]
	s_barrier
	ds_write2st64_b64 v26, v[38:39], v[28:29] offset1:1
	v_bfe_u32 v27, v25, 16, 1
	v_bfe_u32 v28, v24, 16, 1
	v_pk_mul_f32 v[22:23], v[36:37], v[22:23] op_sel_hi:[0,1]
	v_add3_u32 v24, v24, v28, s2
	v_add3_u32 v25, v25, v27, s2
	v_perm_b32 v24, v25, v24, s3
	v_bfe_u32 v25, v23, 16, 1
	v_bfe_u32 v27, v22, 16, 1
	v_add3_u32 v22, v22, v27, s2
	v_add3_u32 v23, v23, v25, s2
	v_pk_mul_f32 v[20:21], v[36:37], v[20:21] op_sel_hi:[0,1]
	v_perm_b32 v25, v23, v22, s3
	v_bfe_u32 v22, v21, 16, 1
	v_bfe_u32 v23, v20, 16, 1
	v_pk_mul_f32 v[18:19], v[36:37], v[18:19] op_sel_hi:[0,1]
	v_add3_u32 v20, v20, v23, s2
	v_add3_u32 v21, v21, v22, s2
	v_perm_b32 v20, v21, v20, s3
	v_bfe_u32 v21, v19, 16, 1
	v_bfe_u32 v22, v18, 16, 1
	v_add3_u32 v18, v18, v22, s2
	v_add3_u32 v19, v19, v21, s2
	v_perm_b32 v21, v19, v18, s3
	v_cmp_gt_u32_e32 vcc, 15, v0
	ds_write2st64_b64 v26, v[24:25], v[20:21] offset0:2 offset1:3
	s_and_saveexec_b64 s[2:3], vcc
	s_cbranch_execz .LBB876_401
; %bb.400:
	v_add_co_u32_e32 v20, vcc, s25, v49
	v_addc_co_u32_e64 v21, s[14:15], 0, 0, vcc
	v_mov_b32_e32 v18, s12
	v_mov_b32_e32 v19, 0
	v_mad_u64_u32 v[20:21], s[14:15], s6, v18, v[20:21]
	v_mov_b32_e32 v18, s24
	s_load_dwordx4 s[8:11], s[4:5], 0x58
	s_mul_i32 s7, s7, s12
	v_mad_u64_u32 v[18:19], s[14:15], v20, s44, v[18:19]
	v_add_u32_e32 v21, s7, v21
	v_mov_b32_e32 v20, v19
	v_mad_u64_u32 v[20:21], s[14:15], v21, s44, v[20:21]
	v_mov_b32_e32 v19, v20
	v_lshlrev_b64 v[18:19], 2, v[18:19]
	s_waitcnt lgkmcnt(0)
	v_mov_b32_e32 v21, s11
	v_add_co_u32_e32 v20, vcc, s10, v18
	v_addc_co_u32_e32 v21, vcc, v21, v19, vcc
	global_store_dword v[20:21], v32, off
	v_mov_b32_e32 v20, s9
	v_add_co_u32_e32 v18, vcc, s8, v18
	v_addc_co_u32_e32 v19, vcc, v20, v19, vcc
	global_store_dword v[18:19], v33, off
.LBB876_401:
	s_or_b64 exec, exec, s[2:3]
	v_mov_b32_e32 v19, 0
	s_waitcnt vmcnt(3)
	v_cmp_ne_u16_sdwa s[8:9], v14, v19 src0_sel:BYTE_0 src1_sel:DWORD
	v_mov_b32_e32 v20, 0
	s_waitcnt lgkmcnt(0)
	s_barrier
	s_and_saveexec_b64 s[2:3], s[8:9]
	s_cbranch_execz .LBB876_407
; %bb.402:
	s_movk_i32 s7, 0x80
	v_cmp_ne_u16_sdwa s[10:11], v14, s7 src0_sel:BYTE_0 src1_sel:DWORD
	v_mov_b32_e32 v20, 0xffff8000
	s_and_saveexec_b64 s[8:9], s[10:11]
	s_cbranch_execz .LBB876_406
; %bb.403:
	s_movk_i32 s7, 0x7f
	v_and_b32_e32 v18, 0x7f, v14
	v_cmp_ne_u32_e32 vcc, s7, v18
	v_mov_b32_e32 v20, 0x7f80
	s_and_saveexec_b64 s[10:11], vcc
	s_cbranch_execz .LBB876_405
; %bb.404:
	v_and_b32_e32 v22, 7, v14
	v_ffbh_u32_e32 v20, v22
	v_min_u32_e32 v24, 32, v20
	v_subrev_u32_e32 v20, 28, v24
	v_lshlrev_b64 v[20:21], v20, v[14:15]
	v_lshrrev_b32_e32 v23, 3, v18
	v_sub_u32_e32 v21, 29, v24
	v_and_b32_e32 v20, 7, v20
	v_cmp_gt_u32_e32 vcc, 8, v18
	v_cndmask_b32_e32 v18, v23, v21, vcc
	v_cndmask_b32_e32 v20, v22, v20, vcc
	v_lshlrev_b32_e32 v21, 24, v14
	v_bfrev_b32_e32 v22, 60
	v_lshlrev_b32_e32 v20, 20, v20
	v_and_b32_e32 v21, 0x80000000, v21
	v_lshl_add_u32 v18, v18, 23, v22
	v_or3_b32 v18, v21, v18, v20
	v_lshrrev_b32_e32 v20, 16, v18
.LBB876_405:
	s_or_b64 exec, exec, s[10:11]
.LBB876_406:
	s_or_b64 exec, exec, s[8:9]
.LBB876_407:
	s_or_b64 exec, exec, s[2:3]
	v_lshrrev_b16_e32 v18, 8, v14
	v_cmp_ne_u16_e32 vcc, 0, v18
	s_and_saveexec_b64 s[2:3], vcc
	s_cbranch_execz .LBB876_413
; %bb.408:
	s_movk_i32 s7, 0x80
	v_cmp_ne_u16_e32 vcc, s7, v18
	v_mov_b32_e32 v19, 0xffff8000
	s_and_saveexec_b64 s[8:9], vcc
	s_cbranch_execz .LBB876_412
; %bb.409:
	s_movk_i32 s7, 0x7f
	v_and_b32_e32 v21, 0x7f, v18
	v_cmp_ne_u32_e32 vcc, s7, v21
	v_mov_b32_e32 v19, 0x7f80
	s_and_saveexec_b64 s[10:11], vcc
	s_cbranch_execz .LBB876_411
; %bb.410:
	v_and_b32_e32 v22, 7, v18
	v_ffbh_u32_e32 v19, v22
	v_min_u32_e32 v24, 32, v19
	v_subrev_u32_e32 v19, 28, v24
	v_lshlrev_b64 v[18:19], v19, v[18:19]
	v_lshrrev_b32_e32 v23, 3, v21
	v_sub_u32_e32 v19, 29, v24
	v_and_b32_e32 v18, 7, v18
	v_cmp_gt_u32_e32 vcc, 8, v21
	v_cndmask_b32_e32 v19, v23, v19, vcc
	v_cndmask_b32_e32 v18, v22, v18, vcc
	v_lshlrev_b32_e32 v21, 16, v14
	v_bfrev_b32_e32 v22, 60
	v_lshlrev_b32_e32 v18, 20, v18
	v_and_b32_e32 v21, 0x80000000, v21
	v_lshl_add_u32 v19, v19, 23, v22
	v_or3_b32 v18, v21, v19, v18
	v_lshrrev_b32_e32 v19, 16, v18
.LBB876_411:
	s_or_b64 exec, exec, s[10:11]
.LBB876_412:
	s_or_b64 exec, exec, s[8:9]
.LBB876_413:
	s_or_b64 exec, exec, s[2:3]
	s_movk_i32 s2, 0xff
	v_and_b32_sdwa v23, v14, s2 dst_sel:DWORD dst_unused:UNUSED_PAD src0_sel:WORD_1 src1_sel:DWORD
	v_lshrrev_b32_e32 v18, 16, v14
	v_cmp_ne_u16_e32 vcc, 0, v23
	v_mov_b32_e32 v21, 0
	v_mov_b32_e32 v22, 0
	s_and_saveexec_b64 s[2:3], vcc
	s_cbranch_execz .LBB876_419
; %bb.414:
	s_movk_i32 s7, 0x80
	v_cmp_ne_u16_e32 vcc, s7, v23
	v_mov_b32_e32 v22, 0xffff8000
	s_and_saveexec_b64 s[8:9], vcc
	s_cbranch_execz .LBB876_418
; %bb.415:
	v_bfe_u32 v23, v14, 16, 7
	s_movk_i32 s7, 0x7f
	v_cmp_ne_u32_e32 vcc, s7, v23
	v_mov_b32_e32 v22, 0x7f80
	s_and_saveexec_b64 s[10:11], vcc
	s_cbranch_execz .LBB876_417
; %bb.416:
	v_and_b32_e32 v22, 7, v18
	v_ffbh_u32_e32 v24, v22
	v_min_u32_e32 v28, 32, v24
	v_subrev_u32_e32 v24, 28, v28
	v_lshlrev_b64 v[24:25], v24, v[18:19]
	v_lshrrev_b32_e32 v27, 3, v23
	v_sub_u32_e32 v18, 29, v28
	v_and_b32_e32 v24, 7, v24
	v_cmp_gt_u32_e32 vcc, 8, v23
	v_mov_b32_e32 v23, 24
	v_cndmask_b32_e32 v18, v27, v18, vcc
	v_cndmask_b32_e32 v22, v22, v24, vcc
	v_lshlrev_b32_sdwa v23, v23, v14 dst_sel:DWORD dst_unused:UNUSED_PAD src0_sel:DWORD src1_sel:WORD_1
	v_bfrev_b32_e32 v24, 60
	v_lshlrev_b32_e32 v22, 20, v22
	v_and_b32_e32 v23, 0x80000000, v23
	v_lshl_add_u32 v18, v18, 23, v24
	v_or3_b32 v18, v23, v18, v22
	v_lshrrev_b32_e32 v22, 16, v18
.LBB876_417:
	s_or_b64 exec, exec, s[10:11]
.LBB876_418:
	s_or_b64 exec, exec, s[8:9]
.LBB876_419:
	s_or_b64 exec, exec, s[2:3]
	s_mov_b32 s2, 0xffffff
	v_cmp_lt_u32_e32 vcc, s2, v14
	s_and_saveexec_b64 s[2:3], vcc
	s_cbranch_execz .LBB876_425
; %bb.420:
	v_lshrrev_b32_e32 v18, 24, v14
	s_movk_i32 s7, 0x80
	v_cmp_ne_u32_e32 vcc, s7, v18
	v_mov_b32_e32 v21, 0xffff8000
	s_and_saveexec_b64 s[8:9], vcc
	s_cbranch_execz .LBB876_424
; %bb.421:
	v_bfe_u32 v14, v14, 24, 7
	s_movk_i32 s7, 0x7f
	v_cmp_ne_u32_e32 vcc, s7, v14
	v_mov_b32_e32 v21, 0x7f80
	s_and_saveexec_b64 s[10:11], vcc
	s_cbranch_execz .LBB876_423
; %bb.422:
	v_and_b32_e32 v21, 7, v18
	v_ffbh_u32_e32 v24, v21
	v_min_u32_e32 v27, 32, v24
	v_subrev_u32_e32 v24, 28, v27
	v_lshlrev_b64 v[24:25], v24, v[18:19]
	v_lshrrev_b32_e32 v23, 3, v14
	v_sub_u32_e32 v25, 29, v27
	v_and_b32_e32 v24, 7, v24
	v_cmp_gt_u32_e32 vcc, 8, v14
	v_cndmask_b32_e32 v14, v23, v25, vcc
	v_cndmask_b32_e32 v21, v21, v24, vcc
	v_lshlrev_b32_e32 v18, 24, v18
	v_bfrev_b32_e32 v23, 60
	v_lshlrev_b32_e32 v21, 20, v21
	v_and_b32_e32 v18, 0x80000000, v18
	v_lshl_add_u32 v14, v14, 23, v23
	v_or3_b32 v14, v18, v14, v21
	v_lshrrev_b32_e32 v21, 16, v14
.LBB876_423:
	s_or_b64 exec, exec, s[10:11]
.LBB876_424:
	s_or_b64 exec, exec, s[8:9]
.LBB876_425:
	s_or_b64 exec, exec, s[2:3]
	v_mov_b32_e32 v18, 0
	v_cmp_ne_u16_sdwa s[8:9], v15, v18 src0_sel:BYTE_0 src1_sel:DWORD
	v_mov_b32_e32 v23, 0
	s_and_saveexec_b64 s[2:3], s[8:9]
	s_cbranch_execz .LBB876_431
; %bb.426:
	s_movk_i32 s7, 0x80
	v_cmp_ne_u16_sdwa s[10:11], v15, s7 src0_sel:BYTE_0 src1_sel:DWORD
	v_mov_b32_e32 v23, 0xffff8000
	s_and_saveexec_b64 s[8:9], s[10:11]
	s_cbranch_execz .LBB876_430
; %bb.427:
	s_movk_i32 s7, 0x7f
	v_and_b32_e32 v14, 0x7f, v15
	v_cmp_ne_u32_e32 vcc, s7, v14
	v_mov_b32_e32 v23, 0x7f80
	s_and_saveexec_b64 s[10:11], vcc
	s_cbranch_execz .LBB876_429
; %bb.428:
	v_and_b32_e32 v23, 7, v15
	v_ffbh_u32_e32 v25, v23
	v_min_u32_e32 v28, 32, v25
	v_mov_b32_e32 v24, v15
	v_subrev_u32_e32 v25, 28, v28
	v_lshlrev_b64 v[24:25], v25, v[24:25]
	v_lshrrev_b32_e32 v27, 3, v14
	v_sub_u32_e32 v25, 29, v28
	v_and_b32_e32 v24, 7, v24
	v_cmp_gt_u32_e32 vcc, 8, v14
	v_cndmask_b32_e32 v14, v27, v25, vcc
	v_cndmask_b32_e32 v23, v23, v24, vcc
	v_lshlrev_b32_e32 v24, 24, v15
	v_bfrev_b32_e32 v25, 60
	v_lshlrev_b32_e32 v23, 20, v23
	v_and_b32_e32 v24, 0x80000000, v24
	v_lshl_add_u32 v14, v14, 23, v25
	v_or3_b32 v14, v24, v14, v23
	v_lshrrev_b32_e32 v23, 16, v14
.LBB876_429:
	s_or_b64 exec, exec, s[10:11]
.LBB876_430:
	s_or_b64 exec, exec, s[8:9]
.LBB876_431:
	s_or_b64 exec, exec, s[2:3]
	v_lshrrev_b16_e32 v14, 8, v15
	v_cmp_ne_u16_e32 vcc, 0, v14
	s_and_saveexec_b64 s[2:3], vcc
	s_cbranch_execz .LBB876_437
; %bb.432:
	s_movk_i32 s7, 0x80
	v_cmp_ne_u16_e32 vcc, s7, v14
	v_mov_b32_e32 v18, 0xffff8000
	s_and_saveexec_b64 s[8:9], vcc
	s_cbranch_execz .LBB876_436
; %bb.433:
	s_movk_i32 s7, 0x7f
	v_and_b32_e32 v24, 0x7f, v14
	v_cmp_ne_u32_e32 vcc, s7, v24
	v_mov_b32_e32 v18, 0x7f80
	s_and_saveexec_b64 s[10:11], vcc
	s_cbranch_execz .LBB876_435
; %bb.434:
	v_and_b32_e32 v18, 7, v14
	v_ffbh_u32_e32 v27, v18
	v_min_u32_e32 v27, 32, v27
	v_subrev_u32_e32 v28, 28, v27
	v_lshlrev_b64 v[28:29], v28, v[14:15]
	v_lshrrev_b32_e32 v25, 3, v24
	v_sub_u32_e32 v14, 29, v27
	v_and_b32_e32 v27, 7, v28
	v_cmp_gt_u32_e32 vcc, 8, v24
	v_cndmask_b32_e32 v14, v25, v14, vcc
	v_cndmask_b32_e32 v18, v18, v27, vcc
	v_lshlrev_b32_e32 v24, 16, v15
	v_bfrev_b32_e32 v25, 60
	v_lshlrev_b32_e32 v18, 20, v18
	v_and_b32_e32 v24, 0x80000000, v24
	v_lshl_add_u32 v14, v14, 23, v25
	v_or3_b32 v14, v24, v14, v18
	v_lshrrev_b32_e32 v18, 16, v14
.LBB876_435:
	s_or_b64 exec, exec, s[10:11]
.LBB876_436:
	s_or_b64 exec, exec, s[8:9]
.LBB876_437:
	s_or_b64 exec, exec, s[2:3]
	s_movk_i32 s2, 0xff
	v_and_b32_sdwa v27, v15, s2 dst_sel:DWORD dst_unused:UNUSED_PAD src0_sel:WORD_1 src1_sel:DWORD
	v_lshrrev_b32_e32 v14, 16, v15
	v_cmp_ne_u16_e32 vcc, 0, v27
	v_mov_b32_e32 v24, 0
	v_mov_b32_e32 v25, 0
	s_and_saveexec_b64 s[2:3], vcc
	s_cbranch_execz .LBB876_443
; %bb.438:
	s_movk_i32 s7, 0x80
	v_cmp_ne_u16_e32 vcc, s7, v27
	v_mov_b32_e32 v25, 0xffff8000
	s_and_saveexec_b64 s[8:9], vcc
	s_cbranch_execz .LBB876_442
; %bb.439:
	v_bfe_u32 v27, v15, 16, 7
	s_movk_i32 s7, 0x7f
	v_cmp_ne_u32_e32 vcc, s7, v27
	v_mov_b32_e32 v25, 0x7f80
	s_and_saveexec_b64 s[10:11], vcc
	s_cbranch_execz .LBB876_441
; %bb.440:
	v_and_b32_e32 v25, 7, v14
	v_ffbh_u32_e32 v28, v25
	v_min_u32_e32 v31, 32, v28
	v_subrev_u32_e32 v28, 28, v31
	v_lshlrev_b64 v[28:29], v28, v[14:15]
	v_lshrrev_b32_e32 v30, 3, v27
	v_sub_u32_e32 v14, 29, v31
	v_and_b32_e32 v28, 7, v28
	v_cmp_gt_u32_e32 vcc, 8, v27
	v_mov_b32_e32 v27, 24
	v_cndmask_b32_e32 v14, v30, v14, vcc
	v_cndmask_b32_e32 v25, v25, v28, vcc
	v_lshlrev_b32_sdwa v27, v27, v15 dst_sel:DWORD dst_unused:UNUSED_PAD src0_sel:DWORD src1_sel:WORD_1
	v_bfrev_b32_e32 v28, 60
	v_lshlrev_b32_e32 v25, 20, v25
	v_and_b32_e32 v27, 0x80000000, v27
	v_lshl_add_u32 v14, v14, 23, v28
	v_or3_b32 v14, v27, v14, v25
	v_lshrrev_b32_e32 v25, 16, v14
.LBB876_441:
	s_or_b64 exec, exec, s[10:11]
.LBB876_442:
	s_or_b64 exec, exec, s[8:9]
.LBB876_443:
	s_or_b64 exec, exec, s[2:3]
	s_mov_b32 s2, 0xffffff
	v_cmp_lt_u32_e32 vcc, s2, v15
	s_and_saveexec_b64 s[2:3], vcc
	s_cbranch_execz .LBB876_449
; %bb.444:
	v_lshrrev_b32_e32 v14, 24, v15
	s_movk_i32 s7, 0x80
	v_cmp_ne_u32_e32 vcc, s7, v14
	v_mov_b32_e32 v24, 0xffff8000
	s_and_saveexec_b64 s[8:9], vcc
	s_cbranch_execz .LBB876_448
; %bb.445:
	v_bfe_u32 v15, v15, 24, 7
	s_movk_i32 s7, 0x7f
	v_cmp_ne_u32_e32 vcc, s7, v15
	v_mov_b32_e32 v24, 0x7f80
	s_and_saveexec_b64 s[10:11], vcc
	s_cbranch_execz .LBB876_447
; %bb.446:
	v_and_b32_e32 v24, 7, v14
	v_ffbh_u32_e32 v28, v24
	v_min_u32_e32 v30, 32, v28
	v_subrev_u32_e32 v28, 28, v30
	v_lshlrev_b64 v[28:29], v28, v[14:15]
	v_lshrrev_b32_e32 v27, 3, v15
	v_sub_u32_e32 v29, 29, v30
	v_and_b32_e32 v28, 7, v28
	v_cmp_gt_u32_e32 vcc, 8, v15
	v_cndmask_b32_e32 v15, v27, v29, vcc
	v_cndmask_b32_e32 v24, v24, v28, vcc
	v_lshlrev_b32_e32 v14, 24, v14
	v_bfrev_b32_e32 v27, 60
	v_lshlrev_b32_e32 v24, 20, v24
	v_and_b32_e32 v14, 0x80000000, v14
	v_lshl_add_u32 v15, v15, 23, v27
	v_or3_b32 v14, v14, v15, v24
	v_lshrrev_b32_e32 v24, 16, v14
.LBB876_447:
	s_or_b64 exec, exec, s[10:11]
.LBB876_448:
	s_or_b64 exec, exec, s[8:9]
.LBB876_449:
	s_or_b64 exec, exec, s[2:3]
	s_mov_b32 s2, 0x5040100
	v_perm_b32 v15, v21, v22, s2
	v_lshl_or_b32 v22, v1, 9, v48
	v_perm_b32 v14, v19, v20, s2
	ds_read_b128 v[28:31], v22
	v_perm_b32 v19, v24, v25, s2
	v_perm_b32 v18, v18, v23, s2
	s_waitcnt lgkmcnt(0)
	v_mfma_f32_16x16x16bf16_1k v[32:35], v[14:15], v[28:29], 0
	v_mov_b32_e32 v15, 0
	v_cmp_ne_u16_sdwa s[8:9], v16, v15 src0_sel:BYTE_0 src1_sel:DWORD
	v_mov_b32_e32 v23, 0
	v_mfma_f32_16x16x16bf16_1k v[18:21], v[18:19], v[30:31], v[32:35]
	s_and_saveexec_b64 s[2:3], s[8:9]
	s_cbranch_execz .LBB876_455
; %bb.450:
	s_movk_i32 s7, 0x80
	v_cmp_ne_u16_sdwa s[10:11], v16, s7 src0_sel:BYTE_0 src1_sel:DWORD
	v_mov_b32_e32 v23, 0xffff8000
	s_and_saveexec_b64 s[8:9], s[10:11]
	s_cbranch_execz .LBB876_454
; %bb.451:
	s_movk_i32 s7, 0x7f
	v_and_b32_e32 v14, 0x7f, v16
	v_cmp_ne_u32_e32 vcc, s7, v14
	v_mov_b32_e32 v23, 0x7f80
	s_and_saveexec_b64 s[10:11], vcc
	s_cbranch_execz .LBB876_453
; %bb.452:
	v_and_b32_e32 v23, 7, v16
	v_ffbh_u32_e32 v24, v23
	v_min_u32_e32 v28, 32, v24
	v_subrev_u32_e32 v24, 28, v28
	v_lshlrev_b64 v[24:25], v24, v[16:17]
	v_lshrrev_b32_e32 v27, 3, v14
	v_sub_u32_e32 v25, 29, v28
	v_and_b32_e32 v24, 7, v24
	v_cmp_gt_u32_e32 vcc, 8, v14
	v_cndmask_b32_e32 v14, v27, v25, vcc
	v_cndmask_b32_e32 v23, v23, v24, vcc
	v_lshlrev_b32_e32 v24, 24, v16
	v_bfrev_b32_e32 v25, 60
	v_lshlrev_b32_e32 v23, 20, v23
	v_and_b32_e32 v24, 0x80000000, v24
	v_lshl_add_u32 v14, v14, 23, v25
	v_or3_b32 v14, v24, v14, v23
	v_lshrrev_b32_e32 v23, 16, v14
.LBB876_453:
	s_or_b64 exec, exec, s[10:11]
.LBB876_454:
	s_or_b64 exec, exec, s[8:9]
.LBB876_455:
	s_or_b64 exec, exec, s[2:3]
	v_lshrrev_b16_e32 v14, 8, v16
	v_cmp_ne_u16_e32 vcc, 0, v14
	s_and_saveexec_b64 s[2:3], vcc
	s_cbranch_execz .LBB876_461
; %bb.456:
	s_movk_i32 s7, 0x80
	v_cmp_ne_u16_e32 vcc, s7, v14
	v_mov_b32_e32 v15, 0xffff8000
	s_and_saveexec_b64 s[8:9], vcc
	s_cbranch_execz .LBB876_460
; %bb.457:
	s_movk_i32 s7, 0x7f
	v_and_b32_e32 v24, 0x7f, v14
	v_cmp_ne_u32_e32 vcc, s7, v24
	v_mov_b32_e32 v15, 0x7f80
	s_and_saveexec_b64 s[10:11], vcc
	s_cbranch_execz .LBB876_459
; %bb.458:
	v_and_b32_e32 v25, 7, v14
	v_ffbh_u32_e32 v15, v25
	v_min_u32_e32 v28, 32, v15
	v_subrev_u32_e32 v15, 28, v28
	v_lshlrev_b64 v[14:15], v15, v[14:15]
	v_lshrrev_b32_e32 v27, 3, v24
	v_sub_u32_e32 v15, 29, v28
	v_and_b32_e32 v14, 7, v14
	v_cmp_gt_u32_e32 vcc, 8, v24
	v_cndmask_b32_e32 v15, v27, v15, vcc
	v_cndmask_b32_e32 v14, v25, v14, vcc
	v_lshlrev_b32_e32 v24, 16, v16
	v_bfrev_b32_e32 v25, 60
	v_lshlrev_b32_e32 v14, 20, v14
	v_and_b32_e32 v24, 0x80000000, v24
	v_lshl_add_u32 v15, v15, 23, v25
	v_or3_b32 v14, v24, v15, v14
	v_lshrrev_b32_e32 v15, 16, v14
.LBB876_459:
	s_or_b64 exec, exec, s[10:11]
.LBB876_460:
	s_or_b64 exec, exec, s[8:9]
.LBB876_461:
	s_or_b64 exec, exec, s[2:3]
	s_movk_i32 s2, 0xff
	v_and_b32_sdwa v27, v16, s2 dst_sel:DWORD dst_unused:UNUSED_PAD src0_sel:WORD_1 src1_sel:DWORD
	v_lshrrev_b32_e32 v14, 16, v16
	v_cmp_ne_u16_e32 vcc, 0, v27
	v_mov_b32_e32 v24, 0
	v_mov_b32_e32 v25, 0
	s_and_saveexec_b64 s[2:3], vcc
	s_cbranch_execz .LBB876_467
; %bb.462:
	s_movk_i32 s7, 0x80
	v_cmp_ne_u16_e32 vcc, s7, v27
	v_mov_b32_e32 v25, 0xffff8000
	s_and_saveexec_b64 s[8:9], vcc
	s_cbranch_execz .LBB876_466
; %bb.463:
	v_bfe_u32 v27, v16, 16, 7
	s_movk_i32 s7, 0x7f
	v_cmp_ne_u32_e32 vcc, s7, v27
	v_mov_b32_e32 v25, 0x7f80
	s_and_saveexec_b64 s[10:11], vcc
	s_cbranch_execz .LBB876_465
; %bb.464:
	v_and_b32_e32 v25, 7, v14
	v_ffbh_u32_e32 v28, v25
	v_min_u32_e32 v31, 32, v28
	v_subrev_u32_e32 v28, 28, v31
	v_lshlrev_b64 v[28:29], v28, v[14:15]
	v_lshrrev_b32_e32 v30, 3, v27
	v_sub_u32_e32 v14, 29, v31
	v_and_b32_e32 v28, 7, v28
	v_cmp_gt_u32_e32 vcc, 8, v27
	v_mov_b32_e32 v27, 24
	v_cndmask_b32_e32 v14, v30, v14, vcc
	v_cndmask_b32_e32 v25, v25, v28, vcc
	v_lshlrev_b32_sdwa v27, v27, v16 dst_sel:DWORD dst_unused:UNUSED_PAD src0_sel:DWORD src1_sel:WORD_1
	v_bfrev_b32_e32 v28, 60
	v_lshlrev_b32_e32 v25, 20, v25
	v_and_b32_e32 v27, 0x80000000, v27
	v_lshl_add_u32 v14, v14, 23, v28
	v_or3_b32 v14, v27, v14, v25
	v_lshrrev_b32_e32 v25, 16, v14
.LBB876_465:
	s_or_b64 exec, exec, s[10:11]
.LBB876_466:
	s_or_b64 exec, exec, s[8:9]
.LBB876_467:
	s_or_b64 exec, exec, s[2:3]
	s_mov_b32 s2, 0xffffff
	v_cmp_lt_u32_e32 vcc, s2, v16
	s_and_saveexec_b64 s[2:3], vcc
	s_cbranch_execz .LBB876_473
; %bb.468:
	v_lshrrev_b32_e32 v14, 24, v16
	s_movk_i32 s7, 0x80
	v_cmp_ne_u32_e32 vcc, s7, v14
	v_mov_b32_e32 v24, 0xffff8000
	s_and_saveexec_b64 s[8:9], vcc
	s_cbranch_execz .LBB876_472
; %bb.469:
	v_bfe_u32 v16, v16, 24, 7
	s_movk_i32 s7, 0x7f
	v_cmp_ne_u32_e32 vcc, s7, v16
	v_mov_b32_e32 v24, 0x7f80
	s_and_saveexec_b64 s[10:11], vcc
	s_cbranch_execz .LBB876_471
; %bb.470:
	v_and_b32_e32 v24, 7, v14
	v_ffbh_u32_e32 v28, v24
	v_min_u32_e32 v30, 32, v28
	v_subrev_u32_e32 v28, 28, v30
	v_lshlrev_b64 v[28:29], v28, v[14:15]
	v_lshrrev_b32_e32 v27, 3, v16
	v_sub_u32_e32 v29, 29, v30
	v_and_b32_e32 v28, 7, v28
	v_cmp_gt_u32_e32 vcc, 8, v16
	v_cndmask_b32_e32 v16, v27, v29, vcc
	v_cndmask_b32_e32 v24, v24, v28, vcc
	v_lshlrev_b32_e32 v14, 24, v14
	v_bfrev_b32_e32 v27, 60
	v_lshlrev_b32_e32 v24, 20, v24
	v_and_b32_e32 v14, 0x80000000, v14
	v_lshl_add_u32 v16, v16, 23, v27
	v_or3_b32 v14, v14, v16, v24
	v_lshrrev_b32_e32 v24, 16, v14
.LBB876_471:
	s_or_b64 exec, exec, s[10:11]
.LBB876_472:
	s_or_b64 exec, exec, s[8:9]
.LBB876_473:
	s_or_b64 exec, exec, s[2:3]
	v_mov_b32_e32 v16, 0
	v_cmp_ne_u16_sdwa s[8:9], v17, v16 src0_sel:BYTE_0 src1_sel:DWORD
	v_mov_b32_e32 v27, 0
	s_and_saveexec_b64 s[2:3], s[8:9]
	s_cbranch_execz .LBB876_479
; %bb.474:
	s_movk_i32 s7, 0x80
	v_cmp_ne_u16_sdwa s[10:11], v17, s7 src0_sel:BYTE_0 src1_sel:DWORD
	v_mov_b32_e32 v27, 0xffff8000
	s_and_saveexec_b64 s[8:9], s[10:11]
	s_cbranch_execz .LBB876_478
; %bb.475:
	s_movk_i32 s7, 0x7f
	v_and_b32_e32 v14, 0x7f, v17
	v_cmp_ne_u32_e32 vcc, s7, v14
	v_mov_b32_e32 v27, 0x7f80
	s_and_saveexec_b64 s[10:11], vcc
	s_cbranch_execz .LBB876_477
; %bb.476:
	v_and_b32_e32 v27, 7, v17
	v_ffbh_u32_e32 v29, v27
	v_min_u32_e32 v31, 32, v29
	v_mov_b32_e32 v28, v17
	v_subrev_u32_e32 v29, 28, v31
	v_lshlrev_b64 v[28:29], v29, v[28:29]
	v_lshrrev_b32_e32 v30, 3, v14
	v_sub_u32_e32 v29, 29, v31
	v_and_b32_e32 v28, 7, v28
	v_cmp_gt_u32_e32 vcc, 8, v14
	v_cndmask_b32_e32 v14, v30, v29, vcc
	v_cndmask_b32_e32 v27, v27, v28, vcc
	v_lshlrev_b32_e32 v28, 24, v17
	v_bfrev_b32_e32 v29, 60
	v_lshlrev_b32_e32 v27, 20, v27
	v_and_b32_e32 v28, 0x80000000, v28
	v_lshl_add_u32 v14, v14, 23, v29
	v_or3_b32 v14, v28, v14, v27
	v_lshrrev_b32_e32 v27, 16, v14
.LBB876_477:
	s_or_b64 exec, exec, s[10:11]
.LBB876_478:
	s_or_b64 exec, exec, s[8:9]
.LBB876_479:
	s_or_b64 exec, exec, s[2:3]
	v_lshrrev_b16_e32 v14, 8, v17
	v_cmp_ne_u16_e32 vcc, 0, v14
	s_and_saveexec_b64 s[2:3], vcc
	s_cbranch_execz .LBB876_485
; %bb.480:
	s_movk_i32 s7, 0x80
	v_cmp_ne_u16_e32 vcc, s7, v14
	v_mov_b32_e32 v16, 0xffff8000
	s_and_saveexec_b64 s[8:9], vcc
	s_cbranch_execz .LBB876_484
; %bb.481:
	s_movk_i32 s7, 0x7f
	v_and_b32_e32 v28, 0x7f, v14
	v_cmp_ne_u32_e32 vcc, s7, v28
	v_mov_b32_e32 v16, 0x7f80
	s_and_saveexec_b64 s[10:11], vcc
	s_cbranch_execz .LBB876_483
; %bb.482:
	v_and_b32_e32 v16, 7, v14
	v_ffbh_u32_e32 v30, v16
	v_min_u32_e32 v32, 32, v30
	v_subrev_u32_e32 v30, 28, v32
	v_lshlrev_b64 v[30:31], v30, v[14:15]
	v_lshrrev_b32_e32 v29, 3, v28
	v_sub_u32_e32 v14, 29, v32
	v_and_b32_e32 v30, 7, v30
	v_cmp_gt_u32_e32 vcc, 8, v28
	v_cndmask_b32_e32 v14, v29, v14, vcc
	v_cndmask_b32_e32 v16, v16, v30, vcc
	v_lshlrev_b32_e32 v28, 16, v17
	v_bfrev_b32_e32 v29, 60
	v_lshlrev_b32_e32 v16, 20, v16
	v_and_b32_e32 v28, 0x80000000, v28
	v_lshl_add_u32 v14, v14, 23, v29
	v_or3_b32 v14, v28, v14, v16
	v_lshrrev_b32_e32 v16, 16, v14
.LBB876_483:
	s_or_b64 exec, exec, s[10:11]
.LBB876_484:
	s_or_b64 exec, exec, s[8:9]
.LBB876_485:
	s_or_b64 exec, exec, s[2:3]
	s_movk_i32 s2, 0xff
	v_and_b32_sdwa v30, v17, s2 dst_sel:DWORD dst_unused:UNUSED_PAD src0_sel:WORD_1 src1_sel:DWORD
	v_lshrrev_b32_e32 v14, 16, v17
	v_cmp_ne_u16_e32 vcc, 0, v30
	v_mov_b32_e32 v28, 0
	v_mov_b32_e32 v29, 0
	s_and_saveexec_b64 s[2:3], vcc
	s_cbranch_execz .LBB876_491
; %bb.486:
	s_movk_i32 s7, 0x80
	v_cmp_ne_u16_e32 vcc, s7, v30
	v_mov_b32_e32 v29, 0xffff8000
	s_and_saveexec_b64 s[8:9], vcc
	s_cbranch_execz .LBB876_490
; %bb.487:
	v_bfe_u32 v30, v17, 16, 7
	s_movk_i32 s7, 0x7f
	v_cmp_ne_u32_e32 vcc, s7, v30
	v_mov_b32_e32 v29, 0x7f80
	s_and_saveexec_b64 s[10:11], vcc
	s_cbranch_execz .LBB876_489
; %bb.488:
	v_and_b32_e32 v29, 7, v14
	v_ffbh_u32_e32 v32, v29
	v_min_u32_e32 v34, 32, v32
	v_subrev_u32_e32 v32, 28, v34
	v_lshlrev_b64 v[32:33], v32, v[14:15]
	v_lshrrev_b32_e32 v31, 3, v30
	v_sub_u32_e32 v14, 29, v34
	v_and_b32_e32 v32, 7, v32
	v_cmp_gt_u32_e32 vcc, 8, v30
	v_mov_b32_e32 v30, 24
	v_cndmask_b32_e32 v14, v31, v14, vcc
	v_cndmask_b32_e32 v29, v29, v32, vcc
	v_lshlrev_b32_sdwa v30, v30, v17 dst_sel:DWORD dst_unused:UNUSED_PAD src0_sel:DWORD src1_sel:WORD_1
	v_bfrev_b32_e32 v31, 60
	v_lshlrev_b32_e32 v29, 20, v29
	v_and_b32_e32 v30, 0x80000000, v30
	v_lshl_add_u32 v14, v14, 23, v31
	v_or3_b32 v14, v30, v14, v29
	v_lshrrev_b32_e32 v29, 16, v14
.LBB876_489:
	s_or_b64 exec, exec, s[10:11]
.LBB876_490:
	s_or_b64 exec, exec, s[8:9]
.LBB876_491:
	s_or_b64 exec, exec, s[2:3]
	s_mov_b32 s2, 0xffffff
	v_cmp_lt_u32_e32 vcc, s2, v17
	s_and_saveexec_b64 s[2:3], vcc
	s_cbranch_execz .LBB876_497
; %bb.492:
	v_lshrrev_b32_e32 v14, 24, v17
	s_movk_i32 s7, 0x80
	v_cmp_ne_u32_e32 vcc, s7, v14
	v_mov_b32_e32 v28, 0xffff8000
	s_and_saveexec_b64 s[8:9], vcc
	s_cbranch_execz .LBB876_496
; %bb.493:
	v_bfe_u32 v17, v17, 24, 7
	s_movk_i32 s7, 0x7f
	v_cmp_ne_u32_e32 vcc, s7, v17
	v_mov_b32_e32 v28, 0x7f80
	s_and_saveexec_b64 s[10:11], vcc
	s_cbranch_execz .LBB876_495
; %bb.494:
	v_and_b32_e32 v28, 7, v14
	v_ffbh_u32_e32 v30, v28
	v_min_u32_e32 v33, 32, v30
	v_subrev_u32_e32 v30, 28, v33
	v_lshlrev_b64 v[30:31], v30, v[14:15]
	v_lshrrev_b32_e32 v32, 3, v17
	v_sub_u32_e32 v31, 29, v33
	v_and_b32_e32 v30, 7, v30
	v_cmp_gt_u32_e32 vcc, 8, v17
	v_cndmask_b32_e32 v17, v32, v31, vcc
	v_cndmask_b32_e32 v28, v28, v30, vcc
	v_lshlrev_b32_e32 v14, 24, v14
	v_bfrev_b32_e32 v30, 60
	v_lshlrev_b32_e32 v28, 20, v28
	v_and_b32_e32 v14, 0x80000000, v14
	v_lshl_add_u32 v17, v17, 23, v30
	v_or3_b32 v14, v14, v17, v28
	v_lshrrev_b32_e32 v28, 16, v14
.LBB876_495:
	s_or_b64 exec, exec, s[10:11]
.LBB876_496:
	s_or_b64 exec, exec, s[8:9]
.LBB876_497:
	s_or_b64 exec, exec, s[2:3]
	s_mov_b32 s2, 0x5040100
	v_perm_b32 v25, v24, v25, s2
	v_perm_b32 v24, v15, v23, s2
	ds_read_b128 v[30:33], v22 offset:16
	v_perm_b32 v15, v28, v29, s2
	v_perm_b32 v14, v16, v27, s2
	s_waitcnt lgkmcnt(0)
	v_mfma_f32_16x16x16bf16_1k v[34:37], v[24:25], v[30:31], v[18:21]
	s_nop 6
	v_mov_b32_e32 v19, 0
	s_waitcnt vmcnt(2)
	v_cmp_ne_u16_sdwa s[8:9], v10, v19 src0_sel:BYTE_0 src1_sel:DWORD
	v_mfma_f32_16x16x16bf16_1k v[14:17], v[14:15], v[32:33], v[34:37]
	v_mov_b32_e32 v20, 0
	s_and_saveexec_b64 s[2:3], s[8:9]
	s_cbranch_execz .LBB876_503
; %bb.498:
	s_movk_i32 s7, 0x80
	v_cmp_ne_u16_sdwa s[10:11], v10, s7 src0_sel:BYTE_0 src1_sel:DWORD
	v_mov_b32_e32 v20, 0xffff8000
	s_and_saveexec_b64 s[8:9], s[10:11]
	s_cbranch_execz .LBB876_502
; %bb.499:
	s_movk_i32 s7, 0x7f
	v_and_b32_e32 v18, 0x7f, v10
	v_cmp_ne_u32_e32 vcc, s7, v18
	v_mov_b32_e32 v20, 0x7f80
	s_and_saveexec_b64 s[10:11], vcc
	s_cbranch_execz .LBB876_501
; %bb.500:
	v_and_b32_e32 v23, 7, v10
	v_ffbh_u32_e32 v20, v23
	v_min_u32_e32 v25, 32, v20
	v_subrev_u32_e32 v20, 28, v25
	v_lshlrev_b64 v[20:21], v20, v[10:11]
	v_lshrrev_b32_e32 v24, 3, v18
	v_sub_u32_e32 v21, 29, v25
	v_and_b32_e32 v20, 7, v20
	v_cmp_gt_u32_e32 vcc, 8, v18
	v_cndmask_b32_e32 v18, v24, v21, vcc
	v_cndmask_b32_e32 v20, v23, v20, vcc
	v_lshlrev_b32_e32 v21, 24, v10
	v_bfrev_b32_e32 v23, 60
	v_lshlrev_b32_e32 v20, 20, v20
	v_and_b32_e32 v21, 0x80000000, v21
	v_lshl_add_u32 v18, v18, 23, v23
	v_or3_b32 v18, v21, v18, v20
	v_lshrrev_b32_e32 v20, 16, v18
.LBB876_501:
	s_or_b64 exec, exec, s[10:11]
.LBB876_502:
	s_or_b64 exec, exec, s[8:9]
.LBB876_503:
	s_or_b64 exec, exec, s[2:3]
	v_lshrrev_b16_e32 v18, 8, v10
	v_cmp_ne_u16_e32 vcc, 0, v18
	s_and_saveexec_b64 s[2:3], vcc
	s_cbranch_execz .LBB876_509
; %bb.504:
	s_movk_i32 s7, 0x80
	v_cmp_ne_u16_e32 vcc, s7, v18
	v_mov_b32_e32 v19, 0xffff8000
	s_and_saveexec_b64 s[8:9], vcc
	s_cbranch_execz .LBB876_508
; %bb.505:
	s_movk_i32 s7, 0x7f
	v_and_b32_e32 v21, 0x7f, v18
	v_cmp_ne_u32_e32 vcc, s7, v21
	v_mov_b32_e32 v19, 0x7f80
	s_and_saveexec_b64 s[10:11], vcc
	s_cbranch_execz .LBB876_507
; %bb.506:
	v_and_b32_e32 v23, 7, v18
	v_ffbh_u32_e32 v19, v23
	v_min_u32_e32 v25, 32, v19
	v_subrev_u32_e32 v19, 28, v25
	v_lshlrev_b64 v[18:19], v19, v[18:19]
	v_lshrrev_b32_e32 v24, 3, v21
	v_sub_u32_e32 v19, 29, v25
	v_and_b32_e32 v18, 7, v18
	v_cmp_gt_u32_e32 vcc, 8, v21
	v_cndmask_b32_e32 v19, v24, v19, vcc
	v_cndmask_b32_e32 v18, v23, v18, vcc
	v_lshlrev_b32_e32 v21, 16, v10
	v_bfrev_b32_e32 v23, 60
	v_lshlrev_b32_e32 v18, 20, v18
	v_and_b32_e32 v21, 0x80000000, v21
	v_lshl_add_u32 v19, v19, 23, v23
	v_or3_b32 v18, v21, v19, v18
	v_lshrrev_b32_e32 v19, 16, v18
.LBB876_507:
	s_or_b64 exec, exec, s[10:11]
.LBB876_508:
	s_or_b64 exec, exec, s[8:9]
.LBB876_509:
	s_or_b64 exec, exec, s[2:3]
	s_movk_i32 s2, 0xff
	v_and_b32_sdwa v24, v10, s2 dst_sel:DWORD dst_unused:UNUSED_PAD src0_sel:WORD_1 src1_sel:DWORD
	v_lshrrev_b32_e32 v18, 16, v10
	v_cmp_ne_u16_e32 vcc, 0, v24
	v_mov_b32_e32 v21, 0
	v_mov_b32_e32 v23, 0
	s_and_saveexec_b64 s[2:3], vcc
	s_cbranch_execz .LBB876_515
; %bb.510:
	s_movk_i32 s7, 0x80
	v_cmp_ne_u16_e32 vcc, s7, v24
	v_mov_b32_e32 v23, 0xffff8000
	s_and_saveexec_b64 s[8:9], vcc
	s_cbranch_execz .LBB876_514
; %bb.511:
	v_bfe_u32 v24, v10, 16, 7
	s_movk_i32 s7, 0x7f
	v_cmp_ne_u32_e32 vcc, s7, v24
	v_mov_b32_e32 v23, 0x7f80
	s_and_saveexec_b64 s[10:11], vcc
	s_cbranch_execz .LBB876_513
; %bb.512:
	v_and_b32_e32 v23, 7, v18
	v_ffbh_u32_e32 v27, v23
	v_min_u32_e32 v27, 32, v27
	v_subrev_u32_e32 v28, 28, v27
	v_lshlrev_b64 v[28:29], v28, v[18:19]
	v_lshrrev_b32_e32 v25, 3, v24
	v_sub_u32_e32 v18, 29, v27
	v_and_b32_e32 v27, 7, v28
	v_cmp_gt_u32_e32 vcc, 8, v24
	v_mov_b32_e32 v24, 24
	v_cndmask_b32_e32 v18, v25, v18, vcc
	v_cndmask_b32_e32 v23, v23, v27, vcc
	v_lshlrev_b32_sdwa v24, v24, v10 dst_sel:DWORD dst_unused:UNUSED_PAD src0_sel:DWORD src1_sel:WORD_1
	v_bfrev_b32_e32 v25, 60
	v_lshlrev_b32_e32 v23, 20, v23
	v_and_b32_e32 v24, 0x80000000, v24
	v_lshl_add_u32 v18, v18, 23, v25
	v_or3_b32 v18, v24, v18, v23
	v_lshrrev_b32_e32 v23, 16, v18
.LBB876_513:
	s_or_b64 exec, exec, s[10:11]
.LBB876_514:
	s_or_b64 exec, exec, s[8:9]
.LBB876_515:
	s_or_b64 exec, exec, s[2:3]
	s_mov_b32 s2, 0xffffff
	v_cmp_lt_u32_e32 vcc, s2, v10
	s_and_saveexec_b64 s[2:3], vcc
	s_cbranch_execz .LBB876_521
; %bb.516:
	v_lshrrev_b32_e32 v18, 24, v10
	s_movk_i32 s7, 0x80
	v_cmp_ne_u32_e32 vcc, s7, v18
	v_mov_b32_e32 v21, 0xffff8000
	s_and_saveexec_b64 s[8:9], vcc
	s_cbranch_execz .LBB876_520
; %bb.517:
	v_bfe_u32 v10, v10, 24, 7
	s_movk_i32 s7, 0x7f
	v_cmp_ne_u32_e32 vcc, s7, v10
	v_mov_b32_e32 v21, 0x7f80
	s_and_saveexec_b64 s[10:11], vcc
	s_cbranch_execz .LBB876_519
; %bb.518:
	v_and_b32_e32 v21, 7, v18
	v_ffbh_u32_e32 v24, v21
	v_min_u32_e32 v28, 32, v24
	v_subrev_u32_e32 v24, 28, v28
	v_lshlrev_b64 v[24:25], v24, v[18:19]
	v_lshrrev_b32_e32 v27, 3, v10
	v_sub_u32_e32 v25, 29, v28
	v_and_b32_e32 v24, 7, v24
	v_cmp_gt_u32_e32 vcc, 8, v10
	v_cndmask_b32_e32 v10, v27, v25, vcc
	v_cndmask_b32_e32 v21, v21, v24, vcc
	v_lshlrev_b32_e32 v18, 24, v18
	v_bfrev_b32_e32 v24, 60
	v_lshlrev_b32_e32 v21, 20, v21
	v_and_b32_e32 v18, 0x80000000, v18
	v_lshl_add_u32 v10, v10, 23, v24
	v_or3_b32 v10, v18, v10, v21
	v_lshrrev_b32_e32 v21, 16, v10
.LBB876_519:
	s_or_b64 exec, exec, s[10:11]
.LBB876_520:
	s_or_b64 exec, exec, s[8:9]
.LBB876_521:
	s_or_b64 exec, exec, s[2:3]
	v_mov_b32_e32 v18, 0
	v_cmp_ne_u16_sdwa s[8:9], v11, v18 src0_sel:BYTE_0 src1_sel:DWORD
	v_mov_b32_e32 v24, 0
	s_and_saveexec_b64 s[2:3], s[8:9]
	s_cbranch_execz .LBB876_527
; %bb.522:
	s_movk_i32 s7, 0x80
	v_cmp_ne_u16_sdwa s[10:11], v11, s7 src0_sel:BYTE_0 src1_sel:DWORD
	v_mov_b32_e32 v24, 0xffff8000
	s_and_saveexec_b64 s[8:9], s[10:11]
	s_cbranch_execz .LBB876_526
; %bb.523:
	s_movk_i32 s7, 0x7f
	v_and_b32_e32 v10, 0x7f, v11
	v_cmp_ne_u32_e32 vcc, s7, v10
	v_mov_b32_e32 v24, 0x7f80
	s_and_saveexec_b64 s[10:11], vcc
	s_cbranch_execz .LBB876_525
; %bb.524:
	v_and_b32_e32 v27, 7, v11
	v_ffbh_u32_e32 v25, v27
	v_min_u32_e32 v29, 32, v25
	v_mov_b32_e32 v24, v11
	v_subrev_u32_e32 v25, 28, v29
	v_lshlrev_b64 v[24:25], v25, v[24:25]
	v_lshrrev_b32_e32 v28, 3, v10
	v_sub_u32_e32 v25, 29, v29
	v_and_b32_e32 v24, 7, v24
	v_cmp_gt_u32_e32 vcc, 8, v10
	v_cndmask_b32_e32 v10, v28, v25, vcc
	v_cndmask_b32_e32 v24, v27, v24, vcc
	v_lshlrev_b32_e32 v25, 24, v11
	v_bfrev_b32_e32 v27, 60
	v_lshlrev_b32_e32 v24, 20, v24
	v_and_b32_e32 v25, 0x80000000, v25
	v_lshl_add_u32 v10, v10, 23, v27
	v_or3_b32 v10, v25, v10, v24
	v_lshrrev_b32_e32 v24, 16, v10
.LBB876_525:
	s_or_b64 exec, exec, s[10:11]
.LBB876_526:
	s_or_b64 exec, exec, s[8:9]
.LBB876_527:
	s_or_b64 exec, exec, s[2:3]
	v_lshrrev_b16_e32 v10, 8, v11
	v_cmp_ne_u16_e32 vcc, 0, v10
	s_and_saveexec_b64 s[2:3], vcc
	s_cbranch_execz .LBB876_533
; %bb.528:
	s_movk_i32 s7, 0x80
	v_cmp_ne_u16_e32 vcc, s7, v10
	v_mov_b32_e32 v18, 0xffff8000
	s_and_saveexec_b64 s[8:9], vcc
	s_cbranch_execz .LBB876_532
; %bb.529:
	s_movk_i32 s7, 0x7f
	v_and_b32_e32 v25, 0x7f, v10
	v_cmp_ne_u32_e32 vcc, s7, v25
	v_mov_b32_e32 v18, 0x7f80
	s_and_saveexec_b64 s[10:11], vcc
	s_cbranch_execz .LBB876_531
; %bb.530:
	v_and_b32_e32 v18, 7, v10
	v_ffbh_u32_e32 v28, v18
	v_min_u32_e32 v30, 32, v28
	v_subrev_u32_e32 v28, 28, v30
	v_lshlrev_b64 v[28:29], v28, v[10:11]
	v_lshrrev_b32_e32 v27, 3, v25
	v_sub_u32_e32 v10, 29, v30
	v_and_b32_e32 v28, 7, v28
	v_cmp_gt_u32_e32 vcc, 8, v25
	v_cndmask_b32_e32 v10, v27, v10, vcc
	v_cndmask_b32_e32 v18, v18, v28, vcc
	v_lshlrev_b32_e32 v25, 16, v11
	v_bfrev_b32_e32 v27, 60
	v_lshlrev_b32_e32 v18, 20, v18
	v_and_b32_e32 v25, 0x80000000, v25
	v_lshl_add_u32 v10, v10, 23, v27
	v_or3_b32 v10, v25, v10, v18
	v_lshrrev_b32_e32 v18, 16, v10
.LBB876_531:
	s_or_b64 exec, exec, s[10:11]
.LBB876_532:
	s_or_b64 exec, exec, s[8:9]
.LBB876_533:
	s_or_b64 exec, exec, s[2:3]
	s_movk_i32 s2, 0xff
	v_and_b32_sdwa v28, v11, s2 dst_sel:DWORD dst_unused:UNUSED_PAD src0_sel:WORD_1 src1_sel:DWORD
	v_lshrrev_b32_e32 v10, 16, v11
	v_cmp_ne_u16_e32 vcc, 0, v28
	v_mov_b32_e32 v25, 0
	v_mov_b32_e32 v27, 0
	s_and_saveexec_b64 s[2:3], vcc
	s_cbranch_execz .LBB876_539
; %bb.534:
	s_movk_i32 s7, 0x80
	v_cmp_ne_u16_e32 vcc, s7, v28
	v_mov_b32_e32 v27, 0xffff8000
	s_and_saveexec_b64 s[8:9], vcc
	s_cbranch_execz .LBB876_538
; %bb.535:
	v_bfe_u32 v28, v11, 16, 7
	s_movk_i32 s7, 0x7f
	v_cmp_ne_u32_e32 vcc, s7, v28
	v_mov_b32_e32 v27, 0x7f80
	s_and_saveexec_b64 s[10:11], vcc
	s_cbranch_execz .LBB876_537
; %bb.536:
	v_and_b32_e32 v27, 7, v10
	v_ffbh_u32_e32 v30, v27
	v_min_u32_e32 v32, 32, v30
	v_subrev_u32_e32 v30, 28, v32
	v_lshlrev_b64 v[30:31], v30, v[10:11]
	v_lshrrev_b32_e32 v29, 3, v28
	v_sub_u32_e32 v10, 29, v32
	v_and_b32_e32 v30, 7, v30
	v_cmp_gt_u32_e32 vcc, 8, v28
	v_mov_b32_e32 v28, 24
	v_cndmask_b32_e32 v10, v29, v10, vcc
	v_cndmask_b32_e32 v27, v27, v30, vcc
	v_lshlrev_b32_sdwa v28, v28, v11 dst_sel:DWORD dst_unused:UNUSED_PAD src0_sel:DWORD src1_sel:WORD_1
	v_bfrev_b32_e32 v29, 60
	v_lshlrev_b32_e32 v27, 20, v27
	v_and_b32_e32 v28, 0x80000000, v28
	v_lshl_add_u32 v10, v10, 23, v29
	v_or3_b32 v10, v28, v10, v27
	v_lshrrev_b32_e32 v27, 16, v10
.LBB876_537:
	s_or_b64 exec, exec, s[10:11]
.LBB876_538:
	s_or_b64 exec, exec, s[8:9]
.LBB876_539:
	s_or_b64 exec, exec, s[2:3]
	s_mov_b32 s2, 0xffffff
	v_cmp_lt_u32_e32 vcc, s2, v11
	s_and_saveexec_b64 s[2:3], vcc
	s_cbranch_execz .LBB876_545
; %bb.540:
	v_lshrrev_b32_e32 v10, 24, v11
	s_movk_i32 s7, 0x80
	v_cmp_ne_u32_e32 vcc, s7, v10
	v_mov_b32_e32 v25, 0xffff8000
	s_and_saveexec_b64 s[8:9], vcc
	s_cbranch_execz .LBB876_544
; %bb.541:
	v_bfe_u32 v11, v11, 24, 7
	s_movk_i32 s7, 0x7f
	v_cmp_ne_u32_e32 vcc, s7, v11
	v_mov_b32_e32 v25, 0x7f80
	s_and_saveexec_b64 s[10:11], vcc
	s_cbranch_execz .LBB876_543
; %bb.542:
	v_and_b32_e32 v25, 7, v10
	v_ffbh_u32_e32 v28, v25
	v_min_u32_e32 v31, 32, v28
	v_subrev_u32_e32 v28, 28, v31
	v_lshlrev_b64 v[28:29], v28, v[10:11]
	v_lshrrev_b32_e32 v30, 3, v11
	v_sub_u32_e32 v29, 29, v31
	v_and_b32_e32 v28, 7, v28
	v_cmp_gt_u32_e32 vcc, 8, v11
	v_cndmask_b32_e32 v11, v30, v29, vcc
	v_cndmask_b32_e32 v25, v25, v28, vcc
	v_lshlrev_b32_e32 v10, 24, v10
	v_bfrev_b32_e32 v28, 60
	v_lshlrev_b32_e32 v25, 20, v25
	v_and_b32_e32 v10, 0x80000000, v10
	v_lshl_add_u32 v11, v11, 23, v28
	v_or3_b32 v10, v10, v11, v25
	v_lshrrev_b32_e32 v25, 16, v10
.LBB876_543:
	s_or_b64 exec, exec, s[10:11]
.LBB876_544:
	s_or_b64 exec, exec, s[8:9]
.LBB876_545:
	s_or_b64 exec, exec, s[2:3]
	s_mov_b32 s2, 0x5040100
	v_perm_b32 v11, v21, v23, s2
	v_perm_b32 v10, v19, v20, s2
	ds_read_b128 v[28:31], v22 offset:2048
	v_perm_b32 v21, v25, v27, s2
	v_perm_b32 v20, v18, v24, s2
	s_waitcnt lgkmcnt(0)
	v_mfma_f32_16x16x16bf16_1k v[14:17], v[10:11], v[28:29], v[14:17]
	v_mov_b32_e32 v11, 0
	v_cmp_ne_u16_sdwa s[8:9], v12, v11 src0_sel:BYTE_0 src1_sel:DWORD
	v_mov_b32_e32 v18, 0
	v_mfma_f32_16x16x16bf16_1k v[14:17], v[20:21], v[30:31], v[14:17]
	s_and_saveexec_b64 s[2:3], s[8:9]
	s_cbranch_execz .LBB876_551
; %bb.546:
	s_movk_i32 s7, 0x80
	v_cmp_ne_u16_sdwa s[10:11], v12, s7 src0_sel:BYTE_0 src1_sel:DWORD
	v_mov_b32_e32 v18, 0xffff8000
	s_and_saveexec_b64 s[8:9], s[10:11]
	s_cbranch_execz .LBB876_550
; %bb.547:
	s_movk_i32 s7, 0x7f
	v_and_b32_e32 v10, 0x7f, v12
	v_cmp_ne_u32_e32 vcc, s7, v10
	v_mov_b32_e32 v18, 0x7f80
	s_and_saveexec_b64 s[10:11], vcc
	s_cbranch_execz .LBB876_549
; %bb.548:
	v_and_b32_e32 v20, 7, v12
	v_ffbh_u32_e32 v18, v20
	v_min_u32_e32 v23, 32, v18
	v_subrev_u32_e32 v18, 28, v23
	v_lshlrev_b64 v[18:19], v18, v[12:13]
	v_lshrrev_b32_e32 v21, 3, v10
	v_sub_u32_e32 v19, 29, v23
	v_and_b32_e32 v18, 7, v18
	v_cmp_gt_u32_e32 vcc, 8, v10
	v_cndmask_b32_e32 v10, v21, v19, vcc
	v_cndmask_b32_e32 v18, v20, v18, vcc
	v_lshlrev_b32_e32 v19, 24, v12
	v_bfrev_b32_e32 v20, 60
	v_lshlrev_b32_e32 v18, 20, v18
	v_and_b32_e32 v19, 0x80000000, v19
	v_lshl_add_u32 v10, v10, 23, v20
	v_or3_b32 v10, v19, v10, v18
	v_lshrrev_b32_e32 v18, 16, v10
.LBB876_549:
	s_or_b64 exec, exec, s[10:11]
.LBB876_550:
	s_or_b64 exec, exec, s[8:9]
.LBB876_551:
	s_or_b64 exec, exec, s[2:3]
	v_lshrrev_b16_e32 v10, 8, v12
	v_cmp_ne_u16_e32 vcc, 0, v10
	s_and_saveexec_b64 s[2:3], vcc
	s_cbranch_execz .LBB876_557
; %bb.552:
	s_movk_i32 s7, 0x80
	v_cmp_ne_u16_e32 vcc, s7, v10
	v_mov_b32_e32 v11, 0xffff8000
	s_and_saveexec_b64 s[8:9], vcc
	s_cbranch_execz .LBB876_556
; %bb.553:
	s_movk_i32 s7, 0x7f
	v_and_b32_e32 v19, 0x7f, v10
	v_cmp_ne_u32_e32 vcc, s7, v19
	v_mov_b32_e32 v11, 0x7f80
	s_and_saveexec_b64 s[10:11], vcc
	s_cbranch_execz .LBB876_555
; %bb.554:
	v_and_b32_e32 v20, 7, v10
	v_ffbh_u32_e32 v11, v20
	v_min_u32_e32 v23, 32, v11
	v_subrev_u32_e32 v11, 28, v23
	v_lshlrev_b64 v[10:11], v11, v[10:11]
	v_lshrrev_b32_e32 v21, 3, v19
	v_sub_u32_e32 v11, 29, v23
	v_and_b32_e32 v10, 7, v10
	v_cmp_gt_u32_e32 vcc, 8, v19
	v_cndmask_b32_e32 v11, v21, v11, vcc
	v_cndmask_b32_e32 v10, v20, v10, vcc
	v_lshlrev_b32_e32 v19, 16, v12
	v_bfrev_b32_e32 v20, 60
	v_lshlrev_b32_e32 v10, 20, v10
	v_and_b32_e32 v19, 0x80000000, v19
	v_lshl_add_u32 v11, v11, 23, v20
	v_or3_b32 v10, v19, v11, v10
	v_lshrrev_b32_e32 v11, 16, v10
.LBB876_555:
	s_or_b64 exec, exec, s[10:11]
.LBB876_556:
	s_or_b64 exec, exec, s[8:9]
.LBB876_557:
	s_or_b64 exec, exec, s[2:3]
	s_movk_i32 s2, 0xff
	v_and_b32_sdwa v21, v12, s2 dst_sel:DWORD dst_unused:UNUSED_PAD src0_sel:WORD_1 src1_sel:DWORD
	v_lshrrev_b32_e32 v10, 16, v12
	v_cmp_ne_u16_e32 vcc, 0, v21
	v_mov_b32_e32 v19, 0
	v_mov_b32_e32 v20, 0
	s_and_saveexec_b64 s[2:3], vcc
	s_cbranch_execz .LBB876_563
; %bb.558:
	s_movk_i32 s7, 0x80
	v_cmp_ne_u16_e32 vcc, s7, v21
	v_mov_b32_e32 v20, 0xffff8000
	s_and_saveexec_b64 s[8:9], vcc
	s_cbranch_execz .LBB876_562
; %bb.559:
	v_bfe_u32 v21, v12, 16, 7
	s_movk_i32 s7, 0x7f
	v_cmp_ne_u32_e32 vcc, s7, v21
	v_mov_b32_e32 v20, 0x7f80
	s_and_saveexec_b64 s[10:11], vcc
	s_cbranch_execz .LBB876_561
; %bb.560:
	v_and_b32_e32 v20, 7, v10
	v_ffbh_u32_e32 v24, v20
	v_min_u32_e32 v27, 32, v24
	v_subrev_u32_e32 v24, 28, v27
	v_lshlrev_b64 v[24:25], v24, v[10:11]
	v_lshrrev_b32_e32 v23, 3, v21
	v_sub_u32_e32 v10, 29, v27
	v_and_b32_e32 v24, 7, v24
	v_cmp_gt_u32_e32 vcc, 8, v21
	v_mov_b32_e32 v21, 24
	v_cndmask_b32_e32 v10, v23, v10, vcc
	v_cndmask_b32_e32 v20, v20, v24, vcc
	v_lshlrev_b32_sdwa v21, v21, v12 dst_sel:DWORD dst_unused:UNUSED_PAD src0_sel:DWORD src1_sel:WORD_1
	v_bfrev_b32_e32 v23, 60
	v_lshlrev_b32_e32 v20, 20, v20
	v_and_b32_e32 v21, 0x80000000, v21
	v_lshl_add_u32 v10, v10, 23, v23
	v_or3_b32 v10, v21, v10, v20
	v_lshrrev_b32_e32 v20, 16, v10
.LBB876_561:
	s_or_b64 exec, exec, s[10:11]
.LBB876_562:
	s_or_b64 exec, exec, s[8:9]
.LBB876_563:
	s_or_b64 exec, exec, s[2:3]
	s_mov_b32 s2, 0xffffff
	v_cmp_lt_u32_e32 vcc, s2, v12
	s_and_saveexec_b64 s[2:3], vcc
	s_cbranch_execz .LBB876_569
; %bb.564:
	v_lshrrev_b32_e32 v10, 24, v12
	s_movk_i32 s7, 0x80
	v_cmp_ne_u32_e32 vcc, s7, v10
	v_mov_b32_e32 v19, 0xffff8000
	s_and_saveexec_b64 s[8:9], vcc
	s_cbranch_execz .LBB876_568
; %bb.565:
	v_bfe_u32 v12, v12, 24, 7
	s_movk_i32 s7, 0x7f
	v_cmp_ne_u32_e32 vcc, s7, v12
	v_mov_b32_e32 v19, 0x7f80
	s_and_saveexec_b64 s[10:11], vcc
	s_cbranch_execz .LBB876_567
; %bb.566:
	v_and_b32_e32 v19, 7, v10
	v_ffbh_u32_e32 v23, v19
	v_min_u32_e32 v23, 32, v23
	v_subrev_u32_e32 v24, 28, v23
	v_lshlrev_b64 v[24:25], v24, v[10:11]
	v_lshrrev_b32_e32 v21, 3, v12
	v_sub_u32_e32 v23, 29, v23
	v_and_b32_e32 v24, 7, v24
	v_cmp_gt_u32_e32 vcc, 8, v12
	v_cndmask_b32_e32 v12, v21, v23, vcc
	v_cndmask_b32_e32 v19, v19, v24, vcc
	v_lshlrev_b32_e32 v10, 24, v10
	v_bfrev_b32_e32 v21, 60
	v_lshlrev_b32_e32 v19, 20, v19
	v_and_b32_e32 v10, 0x80000000, v10
	v_lshl_add_u32 v12, v12, 23, v21
	v_or3_b32 v10, v10, v12, v19
	v_lshrrev_b32_e32 v19, 16, v10
.LBB876_567:
	s_or_b64 exec, exec, s[10:11]
.LBB876_568:
	s_or_b64 exec, exec, s[8:9]
.LBB876_569:
	s_or_b64 exec, exec, s[2:3]
	v_mov_b32_e32 v12, 0
	v_cmp_ne_u16_sdwa s[8:9], v13, v12 src0_sel:BYTE_0 src1_sel:DWORD
	v_mov_b32_e32 v21, 0
	s_and_saveexec_b64 s[2:3], s[8:9]
	s_cbranch_execz .LBB876_575
; %bb.570:
	s_movk_i32 s7, 0x80
	v_cmp_ne_u16_sdwa s[10:11], v13, s7 src0_sel:BYTE_0 src1_sel:DWORD
	v_mov_b32_e32 v21, 0xffff8000
	s_and_saveexec_b64 s[8:9], s[10:11]
	s_cbranch_execz .LBB876_574
; %bb.571:
	s_movk_i32 s7, 0x7f
	v_and_b32_e32 v10, 0x7f, v13
	v_cmp_ne_u32_e32 vcc, s7, v10
	v_mov_b32_e32 v21, 0x7f80
	s_and_saveexec_b64 s[10:11], vcc
	s_cbranch_execz .LBB876_573
; %bb.572:
	v_and_b32_e32 v21, 7, v13
	v_ffbh_u32_e32 v25, v21
	v_min_u32_e32 v27, 32, v25
	v_mov_b32_e32 v24, v13
	v_subrev_u32_e32 v25, 28, v27
	v_lshlrev_b64 v[24:25], v25, v[24:25]
	v_lshrrev_b32_e32 v23, 3, v10
	v_sub_u32_e32 v25, 29, v27
	v_and_b32_e32 v24, 7, v24
	v_cmp_gt_u32_e32 vcc, 8, v10
	v_cndmask_b32_e32 v10, v23, v25, vcc
	v_cndmask_b32_e32 v21, v21, v24, vcc
	v_lshlrev_b32_e32 v23, 24, v13
	v_bfrev_b32_e32 v24, 60
	v_lshlrev_b32_e32 v21, 20, v21
	v_and_b32_e32 v23, 0x80000000, v23
	v_lshl_add_u32 v10, v10, 23, v24
	v_or3_b32 v10, v23, v10, v21
	v_lshrrev_b32_e32 v21, 16, v10
.LBB876_573:
	s_or_b64 exec, exec, s[10:11]
.LBB876_574:
	s_or_b64 exec, exec, s[8:9]
.LBB876_575:
	s_or_b64 exec, exec, s[2:3]
	v_lshrrev_b16_e32 v10, 8, v13
	v_cmp_ne_u16_e32 vcc, 0, v10
	s_and_saveexec_b64 s[2:3], vcc
	s_cbranch_execz .LBB876_581
; %bb.576:
	s_movk_i32 s7, 0x80
	v_cmp_ne_u16_e32 vcc, s7, v10
	v_mov_b32_e32 v12, 0xffff8000
	s_and_saveexec_b64 s[8:9], vcc
	s_cbranch_execz .LBB876_580
; %bb.577:
	s_movk_i32 s7, 0x7f
	v_and_b32_e32 v23, 0x7f, v10
	v_cmp_ne_u32_e32 vcc, s7, v23
	v_mov_b32_e32 v12, 0x7f80
	s_and_saveexec_b64 s[10:11], vcc
	s_cbranch_execz .LBB876_579
; %bb.578:
	v_and_b32_e32 v12, 7, v10
	v_ffbh_u32_e32 v24, v12
	v_min_u32_e32 v28, 32, v24
	v_subrev_u32_e32 v24, 28, v28
	v_lshlrev_b64 v[24:25], v24, v[10:11]
	v_lshrrev_b32_e32 v27, 3, v23
	v_sub_u32_e32 v10, 29, v28
	v_and_b32_e32 v24, 7, v24
	v_cmp_gt_u32_e32 vcc, 8, v23
	v_cndmask_b32_e32 v10, v27, v10, vcc
	v_cndmask_b32_e32 v12, v12, v24, vcc
	v_lshlrev_b32_e32 v23, 16, v13
	v_bfrev_b32_e32 v24, 60
	v_lshlrev_b32_e32 v12, 20, v12
	v_and_b32_e32 v23, 0x80000000, v23
	v_lshl_add_u32 v10, v10, 23, v24
	v_or3_b32 v10, v23, v10, v12
	v_lshrrev_b32_e32 v12, 16, v10
.LBB876_579:
	s_or_b64 exec, exec, s[10:11]
.LBB876_580:
	s_or_b64 exec, exec, s[8:9]
.LBB876_581:
	s_or_b64 exec, exec, s[2:3]
	s_movk_i32 s2, 0xff
	v_and_b32_sdwa v25, v13, s2 dst_sel:DWORD dst_unused:UNUSED_PAD src0_sel:WORD_1 src1_sel:DWORD
	v_lshrrev_b32_e32 v10, 16, v13
	v_cmp_ne_u16_e32 vcc, 0, v25
	v_mov_b32_e32 v23, 0
	v_mov_b32_e32 v24, 0
	s_and_saveexec_b64 s[2:3], vcc
	s_cbranch_execz .LBB876_587
; %bb.582:
	s_movk_i32 s7, 0x80
	v_cmp_ne_u16_e32 vcc, s7, v25
	v_mov_b32_e32 v24, 0xffff8000
	s_and_saveexec_b64 s[8:9], vcc
	s_cbranch_execz .LBB876_586
; %bb.583:
	v_bfe_u32 v25, v13, 16, 7
	s_movk_i32 s7, 0x7f
	v_cmp_ne_u32_e32 vcc, s7, v25
	v_mov_b32_e32 v24, 0x7f80
	s_and_saveexec_b64 s[10:11], vcc
	s_cbranch_execz .LBB876_585
; %bb.584:
	v_and_b32_e32 v24, 7, v10
	v_ffbh_u32_e32 v28, v24
	v_min_u32_e32 v30, 32, v28
	v_subrev_u32_e32 v28, 28, v30
	v_lshlrev_b64 v[28:29], v28, v[10:11]
	v_lshrrev_b32_e32 v27, 3, v25
	v_sub_u32_e32 v10, 29, v30
	v_and_b32_e32 v28, 7, v28
	v_cmp_gt_u32_e32 vcc, 8, v25
	v_mov_b32_e32 v25, 24
	v_cndmask_b32_e32 v10, v27, v10, vcc
	v_cndmask_b32_e32 v24, v24, v28, vcc
	v_lshlrev_b32_sdwa v25, v25, v13 dst_sel:DWORD dst_unused:UNUSED_PAD src0_sel:DWORD src1_sel:WORD_1
	v_bfrev_b32_e32 v27, 60
	v_lshlrev_b32_e32 v24, 20, v24
	v_and_b32_e32 v25, 0x80000000, v25
	v_lshl_add_u32 v10, v10, 23, v27
	v_or3_b32 v10, v25, v10, v24
	v_lshrrev_b32_e32 v24, 16, v10
.LBB876_585:
	s_or_b64 exec, exec, s[10:11]
.LBB876_586:
	s_or_b64 exec, exec, s[8:9]
.LBB876_587:
	s_or_b64 exec, exec, s[2:3]
	s_mov_b32 s2, 0xffffff
	v_cmp_lt_u32_e32 vcc, s2, v13
	s_and_saveexec_b64 s[2:3], vcc
	s_cbranch_execz .LBB876_593
; %bb.588:
	v_lshrrev_b32_e32 v10, 24, v13
	s_movk_i32 s7, 0x80
	v_cmp_ne_u32_e32 vcc, s7, v10
	v_mov_b32_e32 v23, 0xffff8000
	s_and_saveexec_b64 s[8:9], vcc
	s_cbranch_execz .LBB876_592
; %bb.589:
	v_bfe_u32 v13, v13, 24, 7
	s_movk_i32 s7, 0x7f
	v_cmp_ne_u32_e32 vcc, s7, v13
	v_mov_b32_e32 v23, 0x7f80
	s_and_saveexec_b64 s[10:11], vcc
	s_cbranch_execz .LBB876_591
; %bb.590:
	v_and_b32_e32 v23, 7, v10
	v_ffbh_u32_e32 v27, v23
	v_min_u32_e32 v27, 32, v27
	v_subrev_u32_e32 v28, 28, v27
	v_lshlrev_b64 v[28:29], v28, v[10:11]
	v_lshrrev_b32_e32 v25, 3, v13
	v_sub_u32_e32 v27, 29, v27
	v_and_b32_e32 v28, 7, v28
	v_cmp_gt_u32_e32 vcc, 8, v13
	v_cndmask_b32_e32 v13, v25, v27, vcc
	v_cndmask_b32_e32 v23, v23, v28, vcc
	v_lshlrev_b32_e32 v10, 24, v10
	v_bfrev_b32_e32 v25, 60
	v_lshlrev_b32_e32 v23, 20, v23
	v_and_b32_e32 v10, 0x80000000, v10
	v_lshl_add_u32 v13, v13, 23, v25
	v_or3_b32 v10, v10, v13, v23
	v_lshrrev_b32_e32 v23, 16, v10
.LBB876_591:
	s_or_b64 exec, exec, s[10:11]
.LBB876_592:
	s_or_b64 exec, exec, s[8:9]
.LBB876_593:
	s_or_b64 exec, exec, s[2:3]
	s_mov_b32 s2, 0x5040100
	v_perm_b32 v19, v19, v20, s2
	v_perm_b32 v18, v11, v18, s2
	ds_read_b128 v[28:31], v22 offset:2064
	v_perm_b32 v11, v23, v24, s2
	v_perm_b32 v10, v12, v21, s2
	s_waitcnt lgkmcnt(0)
	v_mfma_f32_16x16x16bf16_1k v[32:35], v[18:19], v[28:29], v[14:17]
	s_nop 6
	v_mov_b32_e32 v15, 0
	s_waitcnt vmcnt(1)
	v_cmp_ne_u16_sdwa s[8:9], v6, v15 src0_sel:BYTE_0 src1_sel:DWORD
	v_mfma_f32_16x16x16bf16_1k v[10:13], v[10:11], v[30:31], v[32:35]
	v_mov_b32_e32 v16, 0
	s_and_saveexec_b64 s[2:3], s[8:9]
	s_cbranch_execz .LBB876_599
; %bb.594:
	s_movk_i32 s7, 0x80
	v_cmp_ne_u16_sdwa s[10:11], v6, s7 src0_sel:BYTE_0 src1_sel:DWORD
	v_mov_b32_e32 v16, 0xffff8000
	s_and_saveexec_b64 s[8:9], s[10:11]
	s_cbranch_execz .LBB876_598
; %bb.595:
	s_movk_i32 s7, 0x7f
	v_and_b32_e32 v14, 0x7f, v6
	v_cmp_ne_u32_e32 vcc, s7, v14
	v_mov_b32_e32 v16, 0x7f80
	s_and_saveexec_b64 s[10:11], vcc
	s_cbranch_execz .LBB876_597
; %bb.596:
	v_and_b32_e32 v18, 7, v6
	v_ffbh_u32_e32 v16, v18
	v_min_u32_e32 v20, 32, v16
	v_subrev_u32_e32 v16, 28, v20
	v_lshlrev_b64 v[16:17], v16, v[6:7]
	v_lshrrev_b32_e32 v19, 3, v14
	v_sub_u32_e32 v17, 29, v20
	v_and_b32_e32 v16, 7, v16
	v_cmp_gt_u32_e32 vcc, 8, v14
	v_cndmask_b32_e32 v14, v19, v17, vcc
	v_cndmask_b32_e32 v16, v18, v16, vcc
	v_lshlrev_b32_e32 v17, 24, v6
	v_bfrev_b32_e32 v18, 60
	v_lshlrev_b32_e32 v16, 20, v16
	v_and_b32_e32 v17, 0x80000000, v17
	v_lshl_add_u32 v14, v14, 23, v18
	v_or3_b32 v14, v17, v14, v16
	v_lshrrev_b32_e32 v16, 16, v14
.LBB876_597:
	s_or_b64 exec, exec, s[10:11]
.LBB876_598:
	s_or_b64 exec, exec, s[8:9]
.LBB876_599:
	s_or_b64 exec, exec, s[2:3]
	v_lshrrev_b16_e32 v14, 8, v6
	v_cmp_ne_u16_e32 vcc, 0, v14
	s_and_saveexec_b64 s[2:3], vcc
	s_cbranch_execz .LBB876_605
; %bb.600:
	s_movk_i32 s7, 0x80
	v_cmp_ne_u16_e32 vcc, s7, v14
	v_mov_b32_e32 v15, 0xffff8000
	s_and_saveexec_b64 s[8:9], vcc
	s_cbranch_execz .LBB876_604
; %bb.601:
	s_movk_i32 s7, 0x7f
	v_and_b32_e32 v17, 0x7f, v14
	v_cmp_ne_u32_e32 vcc, s7, v17
	v_mov_b32_e32 v15, 0x7f80
	s_and_saveexec_b64 s[10:11], vcc
	s_cbranch_execz .LBB876_603
; %bb.602:
	v_and_b32_e32 v18, 7, v14
	v_ffbh_u32_e32 v15, v18
	v_min_u32_e32 v20, 32, v15
	v_subrev_u32_e32 v15, 28, v20
	v_lshlrev_b64 v[14:15], v15, v[14:15]
	v_lshrrev_b32_e32 v19, 3, v17
	v_sub_u32_e32 v15, 29, v20
	v_and_b32_e32 v14, 7, v14
	v_cmp_gt_u32_e32 vcc, 8, v17
	v_cndmask_b32_e32 v15, v19, v15, vcc
	v_cndmask_b32_e32 v14, v18, v14, vcc
	v_lshlrev_b32_e32 v17, 16, v6
	v_bfrev_b32_e32 v18, 60
	v_lshlrev_b32_e32 v14, 20, v14
	v_and_b32_e32 v17, 0x80000000, v17
	v_lshl_add_u32 v15, v15, 23, v18
	v_or3_b32 v14, v17, v15, v14
	v_lshrrev_b32_e32 v15, 16, v14
.LBB876_603:
	s_or_b64 exec, exec, s[10:11]
.LBB876_604:
	s_or_b64 exec, exec, s[8:9]
.LBB876_605:
	s_or_b64 exec, exec, s[2:3]
	s_movk_i32 s2, 0xff
	v_and_b32_sdwa v19, v6, s2 dst_sel:DWORD dst_unused:UNUSED_PAD src0_sel:WORD_1 src1_sel:DWORD
	v_lshrrev_b32_e32 v14, 16, v6
	v_cmp_ne_u16_e32 vcc, 0, v19
	v_mov_b32_e32 v17, 0
	v_mov_b32_e32 v18, 0
	s_and_saveexec_b64 s[2:3], vcc
	s_cbranch_execz .LBB876_611
; %bb.606:
	s_movk_i32 s7, 0x80
	v_cmp_ne_u16_e32 vcc, s7, v19
	v_mov_b32_e32 v18, 0xffff8000
	s_and_saveexec_b64 s[8:9], vcc
	s_cbranch_execz .LBB876_610
; %bb.607:
	v_bfe_u32 v19, v6, 16, 7
	s_movk_i32 s7, 0x7f
	v_cmp_ne_u32_e32 vcc, s7, v19
	v_mov_b32_e32 v18, 0x7f80
	s_and_saveexec_b64 s[10:11], vcc
	s_cbranch_execz .LBB876_609
; %bb.608:
	v_and_b32_e32 v18, 7, v14
	v_ffbh_u32_e32 v20, v18
	v_min_u32_e32 v24, 32, v20
	v_subrev_u32_e32 v20, 28, v24
	v_lshlrev_b64 v[20:21], v20, v[14:15]
	v_lshrrev_b32_e32 v23, 3, v19
	v_sub_u32_e32 v14, 29, v24
	v_and_b32_e32 v20, 7, v20
	v_cmp_gt_u32_e32 vcc, 8, v19
	v_mov_b32_e32 v19, 24
	v_cndmask_b32_e32 v14, v23, v14, vcc
	v_cndmask_b32_e32 v18, v18, v20, vcc
	v_lshlrev_b32_sdwa v19, v19, v6 dst_sel:DWORD dst_unused:UNUSED_PAD src0_sel:DWORD src1_sel:WORD_1
	v_bfrev_b32_e32 v20, 60
	v_lshlrev_b32_e32 v18, 20, v18
	v_and_b32_e32 v19, 0x80000000, v19
	v_lshl_add_u32 v14, v14, 23, v20
	v_or3_b32 v14, v19, v14, v18
	v_lshrrev_b32_e32 v18, 16, v14
.LBB876_609:
	s_or_b64 exec, exec, s[10:11]
.LBB876_610:
	s_or_b64 exec, exec, s[8:9]
.LBB876_611:
	s_or_b64 exec, exec, s[2:3]
	s_mov_b32 s2, 0xffffff
	v_cmp_lt_u32_e32 vcc, s2, v6
	s_and_saveexec_b64 s[2:3], vcc
	s_cbranch_execz .LBB876_617
; %bb.612:
	v_lshrrev_b32_e32 v14, 24, v6
	s_movk_i32 s7, 0x80
	v_cmp_ne_u32_e32 vcc, s7, v14
	v_mov_b32_e32 v17, 0xffff8000
	s_and_saveexec_b64 s[8:9], vcc
	s_cbranch_execz .LBB876_616
; %bb.613:
	v_bfe_u32 v6, v6, 24, 7
	s_movk_i32 s7, 0x7f
	v_cmp_ne_u32_e32 vcc, s7, v6
	v_mov_b32_e32 v17, 0x7f80
	s_and_saveexec_b64 s[10:11], vcc
	s_cbranch_execz .LBB876_615
; %bb.614:
	v_and_b32_e32 v17, 7, v14
	v_ffbh_u32_e32 v20, v17
	v_min_u32_e32 v23, 32, v20
	v_subrev_u32_e32 v20, 28, v23
	v_lshlrev_b64 v[20:21], v20, v[14:15]
	v_lshrrev_b32_e32 v19, 3, v6
	v_sub_u32_e32 v21, 29, v23
	v_and_b32_e32 v20, 7, v20
	v_cmp_gt_u32_e32 vcc, 8, v6
	v_cndmask_b32_e32 v6, v19, v21, vcc
	v_cndmask_b32_e32 v17, v17, v20, vcc
	v_lshlrev_b32_e32 v14, 24, v14
	v_bfrev_b32_e32 v19, 60
	v_lshlrev_b32_e32 v17, 20, v17
	v_and_b32_e32 v14, 0x80000000, v14
	v_lshl_add_u32 v6, v6, 23, v19
	v_or3_b32 v6, v14, v6, v17
	v_lshrrev_b32_e32 v17, 16, v6
.LBB876_615:
	s_or_b64 exec, exec, s[10:11]
.LBB876_616:
	s_or_b64 exec, exec, s[8:9]
.LBB876_617:
	s_or_b64 exec, exec, s[2:3]
	v_mov_b32_e32 v14, 0
	v_cmp_ne_u16_sdwa s[8:9], v7, v14 src0_sel:BYTE_0 src1_sel:DWORD
	v_mov_b32_e32 v19, 0
	s_and_saveexec_b64 s[2:3], s[8:9]
	s_cbranch_execz .LBB876_623
; %bb.618:
	s_movk_i32 s7, 0x80
	v_cmp_ne_u16_sdwa s[10:11], v7, s7 src0_sel:BYTE_0 src1_sel:DWORD
	v_mov_b32_e32 v19, 0xffff8000
	s_and_saveexec_b64 s[8:9], s[10:11]
	s_cbranch_execz .LBB876_622
; %bb.619:
	s_movk_i32 s7, 0x7f
	v_and_b32_e32 v6, 0x7f, v7
	v_cmp_ne_u32_e32 vcc, s7, v6
	v_mov_b32_e32 v19, 0x7f80
	s_and_saveexec_b64 s[10:11], vcc
	s_cbranch_execz .LBB876_621
; %bb.620:
	v_and_b32_e32 v19, 7, v7
	v_ffbh_u32_e32 v21, v19
	v_min_u32_e32 v24, 32, v21
	v_mov_b32_e32 v20, v7
	v_subrev_u32_e32 v21, 28, v24
	v_lshlrev_b64 v[20:21], v21, v[20:21]
	v_lshrrev_b32_e32 v23, 3, v6
	v_sub_u32_e32 v21, 29, v24
	v_and_b32_e32 v20, 7, v20
	v_cmp_gt_u32_e32 vcc, 8, v6
	v_cndmask_b32_e32 v6, v23, v21, vcc
	v_cndmask_b32_e32 v19, v19, v20, vcc
	v_lshlrev_b32_e32 v20, 24, v7
	v_bfrev_b32_e32 v21, 60
	v_lshlrev_b32_e32 v19, 20, v19
	v_and_b32_e32 v20, 0x80000000, v20
	v_lshl_add_u32 v6, v6, 23, v21
	v_or3_b32 v6, v20, v6, v19
	v_lshrrev_b32_e32 v19, 16, v6
.LBB876_621:
	s_or_b64 exec, exec, s[10:11]
.LBB876_622:
	s_or_b64 exec, exec, s[8:9]
.LBB876_623:
	s_or_b64 exec, exec, s[2:3]
	v_lshrrev_b16_e32 v6, 8, v7
	v_cmp_ne_u16_e32 vcc, 0, v6
	s_and_saveexec_b64 s[2:3], vcc
	s_cbranch_execz .LBB876_629
; %bb.624:
	s_movk_i32 s7, 0x80
	v_cmp_ne_u16_e32 vcc, s7, v6
	v_mov_b32_e32 v14, 0xffff8000
	s_and_saveexec_b64 s[8:9], vcc
	s_cbranch_execz .LBB876_628
; %bb.625:
	s_movk_i32 s7, 0x7f
	v_and_b32_e32 v20, 0x7f, v6
	v_cmp_ne_u32_e32 vcc, s7, v20
	v_mov_b32_e32 v14, 0x7f80
	s_and_saveexec_b64 s[10:11], vcc
	s_cbranch_execz .LBB876_627
; %bb.626:
	v_and_b32_e32 v14, 7, v6
	v_ffbh_u32_e32 v23, v14
	v_min_u32_e32 v23, 32, v23
	v_subrev_u32_e32 v24, 28, v23
	v_lshlrev_b64 v[24:25], v24, v[6:7]
	v_lshrrev_b32_e32 v21, 3, v20
	v_sub_u32_e32 v6, 29, v23
	v_and_b32_e32 v23, 7, v24
	v_cmp_gt_u32_e32 vcc, 8, v20
	v_cndmask_b32_e32 v6, v21, v6, vcc
	v_cndmask_b32_e32 v14, v14, v23, vcc
	v_lshlrev_b32_e32 v20, 16, v7
	v_bfrev_b32_e32 v21, 60
	v_lshlrev_b32_e32 v14, 20, v14
	v_and_b32_e32 v20, 0x80000000, v20
	v_lshl_add_u32 v6, v6, 23, v21
	v_or3_b32 v6, v20, v6, v14
	v_lshrrev_b32_e32 v14, 16, v6
.LBB876_627:
	s_or_b64 exec, exec, s[10:11]
.LBB876_628:
	s_or_b64 exec, exec, s[8:9]
.LBB876_629:
	s_or_b64 exec, exec, s[2:3]
	s_movk_i32 s2, 0xff
	v_and_b32_sdwa v23, v7, s2 dst_sel:DWORD dst_unused:UNUSED_PAD src0_sel:WORD_1 src1_sel:DWORD
	v_lshrrev_b32_e32 v6, 16, v7
	v_cmp_ne_u16_e32 vcc, 0, v23
	v_mov_b32_e32 v20, 0
	v_mov_b32_e32 v21, 0
	s_and_saveexec_b64 s[2:3], vcc
	s_cbranch_execz .LBB876_635
; %bb.630:
	s_movk_i32 s7, 0x80
	v_cmp_ne_u16_e32 vcc, s7, v23
	v_mov_b32_e32 v21, 0xffff8000
	s_and_saveexec_b64 s[8:9], vcc
	s_cbranch_execz .LBB876_634
; %bb.631:
	v_bfe_u32 v23, v7, 16, 7
	s_movk_i32 s7, 0x7f
	v_cmp_ne_u32_e32 vcc, s7, v23
	v_mov_b32_e32 v21, 0x7f80
	s_and_saveexec_b64 s[10:11], vcc
	s_cbranch_execz .LBB876_633
; %bb.632:
	v_and_b32_e32 v21, 7, v6
	v_ffbh_u32_e32 v24, v21
	v_min_u32_e32 v28, 32, v24
	v_subrev_u32_e32 v24, 28, v28
	v_lshlrev_b64 v[24:25], v24, v[6:7]
	v_lshrrev_b32_e32 v27, 3, v23
	v_sub_u32_e32 v6, 29, v28
	v_and_b32_e32 v24, 7, v24
	v_cmp_gt_u32_e32 vcc, 8, v23
	v_mov_b32_e32 v23, 24
	v_cndmask_b32_e32 v6, v27, v6, vcc
	v_cndmask_b32_e32 v21, v21, v24, vcc
	v_lshlrev_b32_sdwa v23, v23, v7 dst_sel:DWORD dst_unused:UNUSED_PAD src0_sel:DWORD src1_sel:WORD_1
	v_bfrev_b32_e32 v24, 60
	v_lshlrev_b32_e32 v21, 20, v21
	v_and_b32_e32 v23, 0x80000000, v23
	v_lshl_add_u32 v6, v6, 23, v24
	v_or3_b32 v6, v23, v6, v21
	v_lshrrev_b32_e32 v21, 16, v6
.LBB876_633:
	s_or_b64 exec, exec, s[10:11]
.LBB876_634:
	s_or_b64 exec, exec, s[8:9]
.LBB876_635:
	s_or_b64 exec, exec, s[2:3]
	s_mov_b32 s2, 0xffffff
	v_cmp_lt_u32_e32 vcc, s2, v7
	s_and_saveexec_b64 s[2:3], vcc
	s_cbranch_execz .LBB876_641
; %bb.636:
	v_lshrrev_b32_e32 v6, 24, v7
	s_movk_i32 s7, 0x80
	v_cmp_ne_u32_e32 vcc, s7, v6
	v_mov_b32_e32 v20, 0xffff8000
	s_and_saveexec_b64 s[8:9], vcc
	s_cbranch_execz .LBB876_640
; %bb.637:
	v_bfe_u32 v7, v7, 24, 7
	s_movk_i32 s7, 0x7f
	v_cmp_ne_u32_e32 vcc, s7, v7
	v_mov_b32_e32 v20, 0x7f80
	s_and_saveexec_b64 s[10:11], vcc
	s_cbranch_execz .LBB876_639
; %bb.638:
	v_and_b32_e32 v20, 7, v6
	v_ffbh_u32_e32 v24, v20
	v_min_u32_e32 v27, 32, v24
	v_subrev_u32_e32 v24, 28, v27
	v_lshlrev_b64 v[24:25], v24, v[6:7]
	v_lshrrev_b32_e32 v23, 3, v7
	v_sub_u32_e32 v25, 29, v27
	v_and_b32_e32 v24, 7, v24
	v_cmp_gt_u32_e32 vcc, 8, v7
	v_cndmask_b32_e32 v7, v23, v25, vcc
	v_cndmask_b32_e32 v20, v20, v24, vcc
	v_lshlrev_b32_e32 v6, 24, v6
	v_bfrev_b32_e32 v23, 60
	v_lshlrev_b32_e32 v20, 20, v20
	v_and_b32_e32 v6, 0x80000000, v6
	v_lshl_add_u32 v7, v7, 23, v23
	v_or3_b32 v6, v6, v7, v20
	v_lshrrev_b32_e32 v20, 16, v6
.LBB876_639:
	s_or_b64 exec, exec, s[10:11]
.LBB876_640:
	s_or_b64 exec, exec, s[8:9]
.LBB876_641:
	s_or_b64 exec, exec, s[2:3]
	s_mov_b32 s2, 0x5040100
	v_perm_b32 v7, v17, v18, s2
	v_perm_b32 v6, v15, v16, s2
	ds_read_b128 v[28:31], v22 offset:4096
	v_perm_b32 v17, v20, v21, s2
	v_perm_b32 v16, v14, v19, s2
	s_waitcnt lgkmcnt(0)
	v_mfma_f32_16x16x16bf16_1k v[10:13], v[6:7], v[28:29], v[10:13]
	v_mov_b32_e32 v7, 0
	v_cmp_ne_u16_sdwa s[8:9], v8, v7 src0_sel:BYTE_0 src1_sel:DWORD
	v_mov_b32_e32 v14, 0
	v_mfma_f32_16x16x16bf16_1k v[10:13], v[16:17], v[30:31], v[10:13]
	s_and_saveexec_b64 s[2:3], s[8:9]
	s_cbranch_execz .LBB876_647
; %bb.642:
	s_movk_i32 s7, 0x80
	v_cmp_ne_u16_sdwa s[10:11], v8, s7 src0_sel:BYTE_0 src1_sel:DWORD
	v_mov_b32_e32 v14, 0xffff8000
	s_and_saveexec_b64 s[8:9], s[10:11]
	s_cbranch_execz .LBB876_646
; %bb.643:
	s_movk_i32 s7, 0x7f
	v_and_b32_e32 v6, 0x7f, v8
	v_cmp_ne_u32_e32 vcc, s7, v6
	v_mov_b32_e32 v14, 0x7f80
	s_and_saveexec_b64 s[10:11], vcc
	s_cbranch_execz .LBB876_645
; %bb.644:
	v_and_b32_e32 v16, 7, v8
	v_ffbh_u32_e32 v14, v16
	v_min_u32_e32 v18, 32, v14
	v_subrev_u32_e32 v14, 28, v18
	v_lshlrev_b64 v[14:15], v14, v[8:9]
	v_lshrrev_b32_e32 v17, 3, v6
	v_sub_u32_e32 v15, 29, v18
	v_and_b32_e32 v14, 7, v14
	v_cmp_gt_u32_e32 vcc, 8, v6
	v_cndmask_b32_e32 v6, v17, v15, vcc
	v_cndmask_b32_e32 v14, v16, v14, vcc
	v_lshlrev_b32_e32 v15, 24, v8
	v_bfrev_b32_e32 v16, 60
	v_lshlrev_b32_e32 v14, 20, v14
	v_and_b32_e32 v15, 0x80000000, v15
	v_lshl_add_u32 v6, v6, 23, v16
	v_or3_b32 v6, v15, v6, v14
	v_lshrrev_b32_e32 v14, 16, v6
.LBB876_645:
	s_or_b64 exec, exec, s[10:11]
.LBB876_646:
	s_or_b64 exec, exec, s[8:9]
.LBB876_647:
	s_or_b64 exec, exec, s[2:3]
	v_lshrrev_b16_e32 v6, 8, v8
	v_cmp_ne_u16_e32 vcc, 0, v6
	s_and_saveexec_b64 s[2:3], vcc
	s_cbranch_execz .LBB876_653
; %bb.648:
	s_movk_i32 s7, 0x80
	v_cmp_ne_u16_e32 vcc, s7, v6
	v_mov_b32_e32 v7, 0xffff8000
	s_and_saveexec_b64 s[8:9], vcc
	s_cbranch_execz .LBB876_652
; %bb.649:
	s_movk_i32 s7, 0x7f
	v_and_b32_e32 v15, 0x7f, v6
	v_cmp_ne_u32_e32 vcc, s7, v15
	v_mov_b32_e32 v7, 0x7f80
	s_and_saveexec_b64 s[10:11], vcc
	s_cbranch_execz .LBB876_651
; %bb.650:
	v_and_b32_e32 v16, 7, v6
	v_ffbh_u32_e32 v7, v16
	v_min_u32_e32 v18, 32, v7
	v_subrev_u32_e32 v7, 28, v18
	v_lshlrev_b64 v[6:7], v7, v[6:7]
	v_lshrrev_b32_e32 v17, 3, v15
	v_sub_u32_e32 v7, 29, v18
	v_and_b32_e32 v6, 7, v6
	v_cmp_gt_u32_e32 vcc, 8, v15
	v_cndmask_b32_e32 v7, v17, v7, vcc
	v_cndmask_b32_e32 v6, v16, v6, vcc
	v_lshlrev_b32_e32 v15, 16, v8
	v_bfrev_b32_e32 v16, 60
	v_lshlrev_b32_e32 v6, 20, v6
	v_and_b32_e32 v15, 0x80000000, v15
	v_lshl_add_u32 v7, v7, 23, v16
	v_or3_b32 v6, v15, v7, v6
	v_lshrrev_b32_e32 v7, 16, v6
.LBB876_651:
	s_or_b64 exec, exec, s[10:11]
.LBB876_652:
	s_or_b64 exec, exec, s[8:9]
.LBB876_653:
	s_or_b64 exec, exec, s[2:3]
	s_movk_i32 s2, 0xff
	v_and_b32_sdwa v17, v8, s2 dst_sel:DWORD dst_unused:UNUSED_PAD src0_sel:WORD_1 src1_sel:DWORD
	v_lshrrev_b32_e32 v6, 16, v8
	v_cmp_ne_u16_e32 vcc, 0, v17
	v_mov_b32_e32 v15, 0
	v_mov_b32_e32 v16, 0
	s_and_saveexec_b64 s[2:3], vcc
	s_cbranch_execz .LBB876_659
; %bb.654:
	s_movk_i32 s7, 0x80
	v_cmp_ne_u16_e32 vcc, s7, v17
	v_mov_b32_e32 v16, 0xffff8000
	s_and_saveexec_b64 s[8:9], vcc
	s_cbranch_execz .LBB876_658
; %bb.655:
	v_bfe_u32 v17, v8, 16, 7
	s_movk_i32 s7, 0x7f
	v_cmp_ne_u32_e32 vcc, s7, v17
	v_mov_b32_e32 v16, 0x7f80
	s_and_saveexec_b64 s[10:11], vcc
	s_cbranch_execz .LBB876_657
; %bb.656:
	v_and_b32_e32 v16, 7, v6
	v_ffbh_u32_e32 v18, v16
	v_min_u32_e32 v21, 32, v18
	v_subrev_u32_e32 v18, 28, v21
	v_lshlrev_b64 v[18:19], v18, v[6:7]
	v_lshrrev_b32_e32 v20, 3, v17
	v_sub_u32_e32 v6, 29, v21
	v_and_b32_e32 v18, 7, v18
	v_cmp_gt_u32_e32 vcc, 8, v17
	v_mov_b32_e32 v17, 24
	v_cndmask_b32_e32 v6, v20, v6, vcc
	v_cndmask_b32_e32 v16, v16, v18, vcc
	v_lshlrev_b32_sdwa v17, v17, v8 dst_sel:DWORD dst_unused:UNUSED_PAD src0_sel:DWORD src1_sel:WORD_1
	v_bfrev_b32_e32 v18, 60
	v_lshlrev_b32_e32 v16, 20, v16
	v_and_b32_e32 v17, 0x80000000, v17
	v_lshl_add_u32 v6, v6, 23, v18
	v_or3_b32 v6, v17, v6, v16
	v_lshrrev_b32_e32 v16, 16, v6
.LBB876_657:
	s_or_b64 exec, exec, s[10:11]
.LBB876_658:
	s_or_b64 exec, exec, s[8:9]
.LBB876_659:
	s_or_b64 exec, exec, s[2:3]
	s_mov_b32 s2, 0xffffff
	v_cmp_lt_u32_e32 vcc, s2, v8
	s_and_saveexec_b64 s[2:3], vcc
	s_cbranch_execz .LBB876_665
; %bb.660:
	v_lshrrev_b32_e32 v6, 24, v8
	s_movk_i32 s7, 0x80
	v_cmp_ne_u32_e32 vcc, s7, v6
	v_mov_b32_e32 v15, 0xffff8000
	s_and_saveexec_b64 s[8:9], vcc
	s_cbranch_execz .LBB876_664
; %bb.661:
	v_bfe_u32 v8, v8, 24, 7
	s_movk_i32 s7, 0x7f
	v_cmp_ne_u32_e32 vcc, s7, v8
	v_mov_b32_e32 v15, 0x7f80
	s_and_saveexec_b64 s[10:11], vcc
	s_cbranch_execz .LBB876_663
; %bb.662:
	v_and_b32_e32 v15, 7, v6
	v_ffbh_u32_e32 v18, v15
	v_min_u32_e32 v20, 32, v18
	v_subrev_u32_e32 v18, 28, v20
	v_lshlrev_b64 v[18:19], v18, v[6:7]
	v_lshrrev_b32_e32 v17, 3, v8
	v_sub_u32_e32 v19, 29, v20
	v_and_b32_e32 v18, 7, v18
	v_cmp_gt_u32_e32 vcc, 8, v8
	v_cndmask_b32_e32 v8, v17, v19, vcc
	v_cndmask_b32_e32 v15, v15, v18, vcc
	v_lshlrev_b32_e32 v6, 24, v6
	v_bfrev_b32_e32 v17, 60
	v_lshlrev_b32_e32 v15, 20, v15
	v_and_b32_e32 v6, 0x80000000, v6
	v_lshl_add_u32 v8, v8, 23, v17
	v_or3_b32 v6, v6, v8, v15
	v_lshrrev_b32_e32 v15, 16, v6
.LBB876_663:
	s_or_b64 exec, exec, s[10:11]
.LBB876_664:
	s_or_b64 exec, exec, s[8:9]
.LBB876_665:
	s_or_b64 exec, exec, s[2:3]
	v_mov_b32_e32 v8, 0
	v_cmp_ne_u16_sdwa s[8:9], v9, v8 src0_sel:BYTE_0 src1_sel:DWORD
	v_mov_b32_e32 v17, 0
	s_and_saveexec_b64 s[2:3], s[8:9]
	s_cbranch_execz .LBB876_671
; %bb.666:
	s_movk_i32 s7, 0x80
	v_cmp_ne_u16_sdwa s[10:11], v9, s7 src0_sel:BYTE_0 src1_sel:DWORD
	v_mov_b32_e32 v17, 0xffff8000
	s_and_saveexec_b64 s[8:9], s[10:11]
	s_cbranch_execz .LBB876_670
; %bb.667:
	s_movk_i32 s7, 0x7f
	v_and_b32_e32 v6, 0x7f, v9
	v_cmp_ne_u32_e32 vcc, s7, v6
	v_mov_b32_e32 v17, 0x7f80
	s_and_saveexec_b64 s[10:11], vcc
	s_cbranch_execz .LBB876_669
; %bb.668:
	v_and_b32_e32 v17, 7, v9
	v_ffbh_u32_e32 v19, v17
	v_min_u32_e32 v21, 32, v19
	v_mov_b32_e32 v18, v9
	v_subrev_u32_e32 v19, 28, v21
	v_lshlrev_b64 v[18:19], v19, v[18:19]
	v_lshrrev_b32_e32 v20, 3, v6
	v_sub_u32_e32 v19, 29, v21
	v_and_b32_e32 v18, 7, v18
	v_cmp_gt_u32_e32 vcc, 8, v6
	v_cndmask_b32_e32 v6, v20, v19, vcc
	v_cndmask_b32_e32 v17, v17, v18, vcc
	v_lshlrev_b32_e32 v18, 24, v9
	v_bfrev_b32_e32 v19, 60
	v_lshlrev_b32_e32 v17, 20, v17
	v_and_b32_e32 v18, 0x80000000, v18
	v_lshl_add_u32 v6, v6, 23, v19
	v_or3_b32 v6, v18, v6, v17
	v_lshrrev_b32_e32 v17, 16, v6
.LBB876_669:
	s_or_b64 exec, exec, s[10:11]
.LBB876_670:
	s_or_b64 exec, exec, s[8:9]
.LBB876_671:
	s_or_b64 exec, exec, s[2:3]
	v_lshrrev_b16_e32 v6, 8, v9
	v_cmp_ne_u16_e32 vcc, 0, v6
	s_and_saveexec_b64 s[2:3], vcc
	s_cbranch_execz .LBB876_677
; %bb.672:
	s_movk_i32 s7, 0x80
	v_cmp_ne_u16_e32 vcc, s7, v6
	v_mov_b32_e32 v8, 0xffff8000
	s_and_saveexec_b64 s[8:9], vcc
	s_cbranch_execz .LBB876_676
; %bb.673:
	s_movk_i32 s7, 0x7f
	v_and_b32_e32 v18, 0x7f, v6
	v_cmp_ne_u32_e32 vcc, s7, v18
	v_mov_b32_e32 v8, 0x7f80
	s_and_saveexec_b64 s[10:11], vcc
	s_cbranch_execz .LBB876_675
; %bb.674:
	v_and_b32_e32 v8, 7, v6
	v_ffbh_u32_e32 v20, v8
	v_min_u32_e32 v23, 32, v20
	v_subrev_u32_e32 v20, 28, v23
	v_lshlrev_b64 v[20:21], v20, v[6:7]
	v_lshrrev_b32_e32 v19, 3, v18
	v_sub_u32_e32 v6, 29, v23
	v_and_b32_e32 v20, 7, v20
	v_cmp_gt_u32_e32 vcc, 8, v18
	v_cndmask_b32_e32 v6, v19, v6, vcc
	v_cndmask_b32_e32 v8, v8, v20, vcc
	v_lshlrev_b32_e32 v18, 16, v9
	v_bfrev_b32_e32 v19, 60
	v_lshlrev_b32_e32 v8, 20, v8
	v_and_b32_e32 v18, 0x80000000, v18
	v_lshl_add_u32 v6, v6, 23, v19
	v_or3_b32 v6, v18, v6, v8
	v_lshrrev_b32_e32 v8, 16, v6
.LBB876_675:
	s_or_b64 exec, exec, s[10:11]
.LBB876_676:
	s_or_b64 exec, exec, s[8:9]
.LBB876_677:
	s_or_b64 exec, exec, s[2:3]
	s_movk_i32 s2, 0xff
	v_and_b32_sdwa v20, v9, s2 dst_sel:DWORD dst_unused:UNUSED_PAD src0_sel:WORD_1 src1_sel:DWORD
	v_lshrrev_b32_e32 v6, 16, v9
	v_cmp_ne_u16_e32 vcc, 0, v20
	v_mov_b32_e32 v18, 0
	v_mov_b32_e32 v19, 0
	s_and_saveexec_b64 s[2:3], vcc
	s_cbranch_execz .LBB876_683
; %bb.678:
	s_movk_i32 s7, 0x80
	v_cmp_ne_u16_e32 vcc, s7, v20
	v_mov_b32_e32 v19, 0xffff8000
	s_and_saveexec_b64 s[8:9], vcc
	s_cbranch_execz .LBB876_682
; %bb.679:
	v_bfe_u32 v20, v9, 16, 7
	s_movk_i32 s7, 0x7f
	v_cmp_ne_u32_e32 vcc, s7, v20
	v_mov_b32_e32 v19, 0x7f80
	s_and_saveexec_b64 s[10:11], vcc
	s_cbranch_execz .LBB876_681
; %bb.680:
	v_and_b32_e32 v19, 7, v6
	v_ffbh_u32_e32 v23, v19
	v_min_u32_e32 v23, 32, v23
	v_subrev_u32_e32 v24, 28, v23
	v_lshlrev_b64 v[24:25], v24, v[6:7]
	v_lshrrev_b32_e32 v21, 3, v20
	v_sub_u32_e32 v6, 29, v23
	v_and_b32_e32 v23, 7, v24
	v_cmp_gt_u32_e32 vcc, 8, v20
	v_mov_b32_e32 v20, 24
	v_cndmask_b32_e32 v6, v21, v6, vcc
	v_cndmask_b32_e32 v19, v19, v23, vcc
	v_lshlrev_b32_sdwa v20, v20, v9 dst_sel:DWORD dst_unused:UNUSED_PAD src0_sel:DWORD src1_sel:WORD_1
	v_bfrev_b32_e32 v21, 60
	v_lshlrev_b32_e32 v19, 20, v19
	v_and_b32_e32 v20, 0x80000000, v20
	v_lshl_add_u32 v6, v6, 23, v21
	v_or3_b32 v6, v20, v6, v19
	v_lshrrev_b32_e32 v19, 16, v6
.LBB876_681:
	s_or_b64 exec, exec, s[10:11]
.LBB876_682:
	s_or_b64 exec, exec, s[8:9]
.LBB876_683:
	s_or_b64 exec, exec, s[2:3]
	s_mov_b32 s2, 0xffffff
	v_cmp_lt_u32_e32 vcc, s2, v9
	s_and_saveexec_b64 s[2:3], vcc
	s_cbranch_execz .LBB876_689
; %bb.684:
	v_lshrrev_b32_e32 v6, 24, v9
	s_movk_i32 s7, 0x80
	v_cmp_ne_u32_e32 vcc, s7, v6
	v_mov_b32_e32 v18, 0xffff8000
	s_and_saveexec_b64 s[8:9], vcc
	s_cbranch_execz .LBB876_688
; %bb.685:
	v_bfe_u32 v9, v9, 24, 7
	s_movk_i32 s7, 0x7f
	v_cmp_ne_u32_e32 vcc, s7, v9
	v_mov_b32_e32 v18, 0x7f80
	s_and_saveexec_b64 s[10:11], vcc
	s_cbranch_execz .LBB876_687
; %bb.686:
	v_and_b32_e32 v18, 7, v6
	v_ffbh_u32_e32 v20, v18
	v_min_u32_e32 v24, 32, v20
	v_subrev_u32_e32 v20, 28, v24
	v_lshlrev_b64 v[20:21], v20, v[6:7]
	v_lshrrev_b32_e32 v23, 3, v9
	v_sub_u32_e32 v21, 29, v24
	v_and_b32_e32 v20, 7, v20
	v_cmp_gt_u32_e32 vcc, 8, v9
	v_cndmask_b32_e32 v9, v23, v21, vcc
	v_cndmask_b32_e32 v18, v18, v20, vcc
	v_lshlrev_b32_e32 v6, 24, v6
	v_bfrev_b32_e32 v20, 60
	v_lshlrev_b32_e32 v18, 20, v18
	v_and_b32_e32 v6, 0x80000000, v6
	v_lshl_add_u32 v9, v9, 23, v20
	v_or3_b32 v6, v6, v9, v18
	v_lshrrev_b32_e32 v18, 16, v6
.LBB876_687:
	s_or_b64 exec, exec, s[10:11]
.LBB876_688:
	s_or_b64 exec, exec, s[8:9]
.LBB876_689:
	s_or_b64 exec, exec, s[2:3]
	s_mov_b32 s2, 0x5040100
	v_perm_b32 v15, v15, v16, s2
	v_perm_b32 v14, v7, v14, s2
	ds_read_b128 v[28:31], v22 offset:4112
	v_perm_b32 v7, v18, v19, s2
	v_perm_b32 v6, v8, v17, s2
	s_waitcnt lgkmcnt(0)
	v_mfma_f32_16x16x16bf16_1k v[32:35], v[14:15], v[28:29], v[10:13]
	s_nop 6
	v_mov_b32_e32 v11, 0
	s_waitcnt vmcnt(0)
	v_cmp_ne_u16_sdwa s[8:9], v2, v11 src0_sel:BYTE_0 src1_sel:DWORD
	v_mfma_f32_16x16x16bf16_1k v[6:9], v[6:7], v[30:31], v[32:35]
	v_mov_b32_e32 v12, 0
	s_and_saveexec_b64 s[2:3], s[8:9]
	s_cbranch_execz .LBB876_695
; %bb.690:
	s_movk_i32 s7, 0x80
	v_cmp_ne_u16_sdwa s[10:11], v2, s7 src0_sel:BYTE_0 src1_sel:DWORD
	v_mov_b32_e32 v12, 0xffff8000
	s_and_saveexec_b64 s[8:9], s[10:11]
	s_cbranch_execz .LBB876_694
; %bb.691:
	s_movk_i32 s7, 0x7f
	v_and_b32_e32 v10, 0x7f, v2
	v_cmp_ne_u32_e32 vcc, s7, v10
	v_mov_b32_e32 v12, 0x7f80
	s_and_saveexec_b64 s[10:11], vcc
	s_cbranch_execz .LBB876_693
; %bb.692:
	v_and_b32_e32 v14, 7, v2
	v_ffbh_u32_e32 v12, v14
	v_min_u32_e32 v16, 32, v12
	v_subrev_u32_e32 v12, 28, v16
	v_lshlrev_b64 v[12:13], v12, v[2:3]
	v_lshrrev_b32_e32 v15, 3, v10
	v_sub_u32_e32 v13, 29, v16
	v_and_b32_e32 v12, 7, v12
	v_cmp_gt_u32_e32 vcc, 8, v10
	v_cndmask_b32_e32 v10, v15, v13, vcc
	v_cndmask_b32_e32 v12, v14, v12, vcc
	v_lshlrev_b32_e32 v13, 24, v2
	v_bfrev_b32_e32 v14, 60
	v_lshlrev_b32_e32 v12, 20, v12
	v_and_b32_e32 v13, 0x80000000, v13
	v_lshl_add_u32 v10, v10, 23, v14
	v_or3_b32 v10, v13, v10, v12
	v_lshrrev_b32_e32 v12, 16, v10
.LBB876_693:
	s_or_b64 exec, exec, s[10:11]
.LBB876_694:
	s_or_b64 exec, exec, s[8:9]
.LBB876_695:
	s_or_b64 exec, exec, s[2:3]
	v_lshrrev_b16_e32 v10, 8, v2
	v_cmp_ne_u16_e32 vcc, 0, v10
	s_and_saveexec_b64 s[2:3], vcc
	s_cbranch_execz .LBB876_701
; %bb.696:
	s_movk_i32 s7, 0x80
	v_cmp_ne_u16_e32 vcc, s7, v10
	v_mov_b32_e32 v11, 0xffff8000
	s_and_saveexec_b64 s[8:9], vcc
	s_cbranch_execz .LBB876_700
; %bb.697:
	s_movk_i32 s7, 0x7f
	v_and_b32_e32 v13, 0x7f, v10
	v_cmp_ne_u32_e32 vcc, s7, v13
	v_mov_b32_e32 v11, 0x7f80
	s_and_saveexec_b64 s[10:11], vcc
	s_cbranch_execz .LBB876_699
; %bb.698:
	v_and_b32_e32 v14, 7, v10
	v_ffbh_u32_e32 v11, v14
	v_min_u32_e32 v16, 32, v11
	v_subrev_u32_e32 v11, 28, v16
	v_lshlrev_b64 v[10:11], v11, v[10:11]
	v_lshrrev_b32_e32 v15, 3, v13
	v_sub_u32_e32 v11, 29, v16
	v_and_b32_e32 v10, 7, v10
	v_cmp_gt_u32_e32 vcc, 8, v13
	v_cndmask_b32_e32 v11, v15, v11, vcc
	v_cndmask_b32_e32 v10, v14, v10, vcc
	v_lshlrev_b32_e32 v13, 16, v2
	v_bfrev_b32_e32 v14, 60
	v_lshlrev_b32_e32 v10, 20, v10
	v_and_b32_e32 v13, 0x80000000, v13
	v_lshl_add_u32 v11, v11, 23, v14
	v_or3_b32 v10, v13, v11, v10
	v_lshrrev_b32_e32 v11, 16, v10
.LBB876_699:
	s_or_b64 exec, exec, s[10:11]
.LBB876_700:
	s_or_b64 exec, exec, s[8:9]
.LBB876_701:
	s_or_b64 exec, exec, s[2:3]
	s_movk_i32 s2, 0xff
	v_and_b32_sdwa v15, v2, s2 dst_sel:DWORD dst_unused:UNUSED_PAD src0_sel:WORD_1 src1_sel:DWORD
	v_lshrrev_b32_e32 v10, 16, v2
	v_cmp_ne_u16_e32 vcc, 0, v15
	v_mov_b32_e32 v13, 0
	v_mov_b32_e32 v14, 0
	s_and_saveexec_b64 s[2:3], vcc
	s_cbranch_execz .LBB876_707
; %bb.702:
	s_movk_i32 s7, 0x80
	v_cmp_ne_u16_e32 vcc, s7, v15
	v_mov_b32_e32 v14, 0xffff8000
	s_and_saveexec_b64 s[8:9], vcc
	s_cbranch_execz .LBB876_706
; %bb.703:
	v_bfe_u32 v15, v2, 16, 7
	s_movk_i32 s7, 0x7f
	v_cmp_ne_u32_e32 vcc, s7, v15
	v_mov_b32_e32 v14, 0x7f80
	s_and_saveexec_b64 s[10:11], vcc
	s_cbranch_execz .LBB876_705
; %bb.704:
	v_and_b32_e32 v14, 7, v10
	v_ffbh_u32_e32 v16, v14
	v_min_u32_e32 v19, 32, v16
	v_subrev_u32_e32 v16, 28, v19
	v_lshlrev_b64 v[16:17], v16, v[10:11]
	v_lshrrev_b32_e32 v18, 3, v15
	v_sub_u32_e32 v10, 29, v19
	v_and_b32_e32 v16, 7, v16
	v_cmp_gt_u32_e32 vcc, 8, v15
	v_mov_b32_e32 v15, 24
	v_cndmask_b32_e32 v10, v18, v10, vcc
	v_cndmask_b32_e32 v14, v14, v16, vcc
	v_lshlrev_b32_sdwa v15, v15, v2 dst_sel:DWORD dst_unused:UNUSED_PAD src0_sel:DWORD src1_sel:WORD_1
	v_bfrev_b32_e32 v16, 60
	v_lshlrev_b32_e32 v14, 20, v14
	v_and_b32_e32 v15, 0x80000000, v15
	v_lshl_add_u32 v10, v10, 23, v16
	v_or3_b32 v10, v15, v10, v14
	v_lshrrev_b32_e32 v14, 16, v10
.LBB876_705:
	s_or_b64 exec, exec, s[10:11]
.LBB876_706:
	s_or_b64 exec, exec, s[8:9]
.LBB876_707:
	s_or_b64 exec, exec, s[2:3]
	s_mov_b32 s2, 0xffffff
	v_cmp_lt_u32_e32 vcc, s2, v2
	s_and_saveexec_b64 s[2:3], vcc
	s_cbranch_execz .LBB876_713
; %bb.708:
	v_lshrrev_b32_e32 v10, 24, v2
	s_movk_i32 s7, 0x80
	v_cmp_ne_u32_e32 vcc, s7, v10
	v_mov_b32_e32 v13, 0xffff8000
	s_and_saveexec_b64 s[8:9], vcc
	s_cbranch_execz .LBB876_712
; %bb.709:
	v_bfe_u32 v2, v2, 24, 7
	s_movk_i32 s7, 0x7f
	v_cmp_ne_u32_e32 vcc, s7, v2
	v_mov_b32_e32 v13, 0x7f80
	s_and_saveexec_b64 s[10:11], vcc
	s_cbranch_execz .LBB876_711
; %bb.710:
	v_and_b32_e32 v13, 7, v10
	v_ffbh_u32_e32 v16, v13
	v_min_u32_e32 v18, 32, v16
	v_subrev_u32_e32 v16, 28, v18
	v_lshlrev_b64 v[16:17], v16, v[10:11]
	v_lshrrev_b32_e32 v15, 3, v2
	v_sub_u32_e32 v17, 29, v18
	v_and_b32_e32 v16, 7, v16
	v_cmp_gt_u32_e32 vcc, 8, v2
	v_cndmask_b32_e32 v2, v15, v17, vcc
	v_cndmask_b32_e32 v13, v13, v16, vcc
	v_lshlrev_b32_e32 v10, 24, v10
	v_bfrev_b32_e32 v15, 60
	v_lshlrev_b32_e32 v13, 20, v13
	v_and_b32_e32 v10, 0x80000000, v10
	v_lshl_add_u32 v2, v2, 23, v15
	v_or3_b32 v2, v10, v2, v13
	v_lshrrev_b32_e32 v13, 16, v2
.LBB876_711:
	s_or_b64 exec, exec, s[10:11]
.LBB876_712:
	s_or_b64 exec, exec, s[8:9]
.LBB876_713:
	s_or_b64 exec, exec, s[2:3]
	v_mov_b32_e32 v10, 0
	v_cmp_ne_u16_sdwa s[8:9], v3, v10 src0_sel:BYTE_0 src1_sel:DWORD
	v_mov_b32_e32 v15, 0
	s_and_saveexec_b64 s[2:3], s[8:9]
	s_cbranch_execz .LBB876_719
; %bb.714:
	s_movk_i32 s7, 0x80
	v_cmp_ne_u16_sdwa s[10:11], v3, s7 src0_sel:BYTE_0 src1_sel:DWORD
	v_mov_b32_e32 v15, 0xffff8000
	s_and_saveexec_b64 s[8:9], s[10:11]
	s_cbranch_execz .LBB876_718
; %bb.715:
	s_movk_i32 s7, 0x7f
	v_and_b32_e32 v2, 0x7f, v3
	v_cmp_ne_u32_e32 vcc, s7, v2
	v_mov_b32_e32 v15, 0x7f80
	s_and_saveexec_b64 s[10:11], vcc
	s_cbranch_execz .LBB876_717
; %bb.716:
	v_and_b32_e32 v15, 7, v3
	v_ffbh_u32_e32 v17, v15
	v_min_u32_e32 v19, 32, v17
	v_mov_b32_e32 v16, v3
	v_subrev_u32_e32 v17, 28, v19
	v_lshlrev_b64 v[16:17], v17, v[16:17]
	v_lshrrev_b32_e32 v18, 3, v2
	v_sub_u32_e32 v17, 29, v19
	v_and_b32_e32 v16, 7, v16
	v_cmp_gt_u32_e32 vcc, 8, v2
	v_cndmask_b32_e32 v2, v18, v17, vcc
	v_cndmask_b32_e32 v15, v15, v16, vcc
	v_lshlrev_b32_e32 v16, 24, v3
	v_bfrev_b32_e32 v17, 60
	v_lshlrev_b32_e32 v15, 20, v15
	v_and_b32_e32 v16, 0x80000000, v16
	v_lshl_add_u32 v2, v2, 23, v17
	v_or3_b32 v2, v16, v2, v15
	v_lshrrev_b32_e32 v15, 16, v2
.LBB876_717:
	s_or_b64 exec, exec, s[10:11]
.LBB876_718:
	s_or_b64 exec, exec, s[8:9]
.LBB876_719:
	s_or_b64 exec, exec, s[2:3]
	v_lshrrev_b16_e32 v2, 8, v3
	v_cmp_ne_u16_e32 vcc, 0, v2
	s_and_saveexec_b64 s[2:3], vcc
	s_cbranch_execz .LBB876_725
; %bb.720:
	s_movk_i32 s7, 0x80
	v_cmp_ne_u16_e32 vcc, s7, v2
	v_mov_b32_e32 v10, 0xffff8000
	s_and_saveexec_b64 s[8:9], vcc
	s_cbranch_execz .LBB876_724
; %bb.721:
	s_movk_i32 s7, 0x7f
	v_and_b32_e32 v16, 0x7f, v2
	v_cmp_ne_u32_e32 vcc, s7, v16
	v_mov_b32_e32 v10, 0x7f80
	s_and_saveexec_b64 s[10:11], vcc
	s_cbranch_execz .LBB876_723
; %bb.722:
	v_and_b32_e32 v10, 7, v2
	v_ffbh_u32_e32 v18, v10
	v_min_u32_e32 v20, 32, v18
	v_subrev_u32_e32 v18, 28, v20
	v_lshlrev_b64 v[18:19], v18, v[2:3]
	v_lshrrev_b32_e32 v17, 3, v16
	v_sub_u32_e32 v2, 29, v20
	v_and_b32_e32 v18, 7, v18
	v_cmp_gt_u32_e32 vcc, 8, v16
	v_cndmask_b32_e32 v2, v17, v2, vcc
	v_cndmask_b32_e32 v10, v10, v18, vcc
	v_lshlrev_b32_e32 v16, 16, v3
	v_bfrev_b32_e32 v17, 60
	v_lshlrev_b32_e32 v10, 20, v10
	v_and_b32_e32 v16, 0x80000000, v16
	v_lshl_add_u32 v2, v2, 23, v17
	v_or3_b32 v2, v16, v2, v10
	v_lshrrev_b32_e32 v10, 16, v2
.LBB876_723:
	s_or_b64 exec, exec, s[10:11]
.LBB876_724:
	s_or_b64 exec, exec, s[8:9]
.LBB876_725:
	s_or_b64 exec, exec, s[2:3]
	s_movk_i32 s2, 0xff
	v_and_b32_sdwa v18, v3, s2 dst_sel:DWORD dst_unused:UNUSED_PAD src0_sel:WORD_1 src1_sel:DWORD
	v_lshrrev_b32_e32 v2, 16, v3
	v_cmp_ne_u16_e32 vcc, 0, v18
	v_mov_b32_e32 v16, 0
	v_mov_b32_e32 v17, 0
	s_and_saveexec_b64 s[2:3], vcc
	s_cbranch_execz .LBB876_731
; %bb.726:
	s_movk_i32 s7, 0x80
	v_cmp_ne_u16_e32 vcc, s7, v18
	v_mov_b32_e32 v17, 0xffff8000
	s_and_saveexec_b64 s[8:9], vcc
	s_cbranch_execz .LBB876_730
; %bb.727:
	v_bfe_u32 v18, v3, 16, 7
	s_movk_i32 s7, 0x7f
	v_cmp_ne_u32_e32 vcc, s7, v18
	v_mov_b32_e32 v17, 0x7f80
	s_and_saveexec_b64 s[10:11], vcc
	s_cbranch_execz .LBB876_729
; %bb.728:
	v_and_b32_e32 v17, 7, v2
	v_ffbh_u32_e32 v20, v17
	v_min_u32_e32 v23, 32, v20
	v_subrev_u32_e32 v20, 28, v23
	v_lshlrev_b64 v[20:21], v20, v[2:3]
	v_lshrrev_b32_e32 v19, 3, v18
	v_sub_u32_e32 v2, 29, v23
	v_and_b32_e32 v20, 7, v20
	v_cmp_gt_u32_e32 vcc, 8, v18
	v_mov_b32_e32 v18, 24
	v_cndmask_b32_e32 v2, v19, v2, vcc
	v_cndmask_b32_e32 v17, v17, v20, vcc
	v_lshlrev_b32_sdwa v18, v18, v3 dst_sel:DWORD dst_unused:UNUSED_PAD src0_sel:DWORD src1_sel:WORD_1
	v_bfrev_b32_e32 v19, 60
	v_lshlrev_b32_e32 v17, 20, v17
	v_and_b32_e32 v18, 0x80000000, v18
	v_lshl_add_u32 v2, v2, 23, v19
	v_or3_b32 v2, v18, v2, v17
	v_lshrrev_b32_e32 v17, 16, v2
.LBB876_729:
	s_or_b64 exec, exec, s[10:11]
.LBB876_730:
	s_or_b64 exec, exec, s[8:9]
.LBB876_731:
	s_or_b64 exec, exec, s[2:3]
	s_mov_b32 s2, 0xffffff
	v_cmp_lt_u32_e32 vcc, s2, v3
	s_and_saveexec_b64 s[2:3], vcc
	s_cbranch_execz .LBB876_737
; %bb.732:
	v_lshrrev_b32_e32 v2, 24, v3
	s_movk_i32 s7, 0x80
	v_cmp_ne_u32_e32 vcc, s7, v2
	v_mov_b32_e32 v16, 0xffff8000
	s_and_saveexec_b64 s[8:9], vcc
	s_cbranch_execz .LBB876_736
; %bb.733:
	v_bfe_u32 v3, v3, 24, 7
	s_movk_i32 s7, 0x7f
	v_cmp_ne_u32_e32 vcc, s7, v3
	v_mov_b32_e32 v16, 0x7f80
	s_and_saveexec_b64 s[10:11], vcc
	s_cbranch_execz .LBB876_735
; %bb.734:
	v_and_b32_e32 v16, 7, v2
	v_ffbh_u32_e32 v18, v16
	v_min_u32_e32 v21, 32, v18
	v_subrev_u32_e32 v18, 28, v21
	v_lshlrev_b64 v[18:19], v18, v[2:3]
	v_lshrrev_b32_e32 v20, 3, v3
	v_sub_u32_e32 v19, 29, v21
	v_and_b32_e32 v18, 7, v18
	v_cmp_gt_u32_e32 vcc, 8, v3
	v_cndmask_b32_e32 v3, v20, v19, vcc
	v_cndmask_b32_e32 v16, v16, v18, vcc
	v_lshlrev_b32_e32 v2, 24, v2
	v_bfrev_b32_e32 v18, 60
	v_lshlrev_b32_e32 v16, 20, v16
	v_and_b32_e32 v2, 0x80000000, v2
	v_lshl_add_u32 v3, v3, 23, v18
	v_or3_b32 v2, v2, v3, v16
	v_lshrrev_b32_e32 v16, 16, v2
.LBB876_735:
	s_or_b64 exec, exec, s[10:11]
.LBB876_736:
	s_or_b64 exec, exec, s[8:9]
.LBB876_737:
	s_or_b64 exec, exec, s[2:3]
	s_mov_b32 s2, 0x5040100
	v_perm_b32 v3, v13, v14, s2
	v_perm_b32 v2, v11, v12, s2
	ds_read_b128 v[18:21], v22 offset:6144
	v_perm_b32 v13, v16, v17, s2
	v_perm_b32 v12, v10, v15, s2
	s_waitcnt lgkmcnt(0)
	v_mfma_f32_16x16x16bf16_1k v[6:9], v[2:3], v[18:19], v[6:9]
	v_mov_b32_e32 v3, 0
	v_cmp_ne_u16_sdwa s[8:9], v4, v3 src0_sel:BYTE_0 src1_sel:DWORD
	v_mov_b32_e32 v10, 0
	v_mfma_f32_16x16x16bf16_1k v[6:9], v[12:13], v[20:21], v[6:9]
	s_and_saveexec_b64 s[2:3], s[8:9]
	s_cbranch_execz .LBB876_743
; %bb.738:
	s_movk_i32 s7, 0x80
	v_cmp_ne_u16_sdwa s[10:11], v4, s7 src0_sel:BYTE_0 src1_sel:DWORD
	v_mov_b32_e32 v10, 0xffff8000
	s_and_saveexec_b64 s[8:9], s[10:11]
	s_cbranch_execz .LBB876_742
; %bb.739:
	s_movk_i32 s7, 0x7f
	v_and_b32_e32 v2, 0x7f, v4
	v_cmp_ne_u32_e32 vcc, s7, v2
	v_mov_b32_e32 v10, 0x7f80
	s_and_saveexec_b64 s[10:11], vcc
	s_cbranch_execz .LBB876_741
; %bb.740:
	v_and_b32_e32 v12, 7, v4
	v_ffbh_u32_e32 v10, v12
	v_min_u32_e32 v14, 32, v10
	v_subrev_u32_e32 v10, 28, v14
	v_lshlrev_b64 v[10:11], v10, v[4:5]
	v_lshrrev_b32_e32 v13, 3, v2
	v_sub_u32_e32 v11, 29, v14
	v_and_b32_e32 v10, 7, v10
	v_cmp_gt_u32_e32 vcc, 8, v2
	v_cndmask_b32_e32 v2, v13, v11, vcc
	v_cndmask_b32_e32 v10, v12, v10, vcc
	v_lshlrev_b32_e32 v11, 24, v4
	v_bfrev_b32_e32 v12, 60
	v_lshlrev_b32_e32 v10, 20, v10
	v_and_b32_e32 v11, 0x80000000, v11
	v_lshl_add_u32 v2, v2, 23, v12
	v_or3_b32 v2, v11, v2, v10
	v_lshrrev_b32_e32 v10, 16, v2
.LBB876_741:
	s_or_b64 exec, exec, s[10:11]
.LBB876_742:
	s_or_b64 exec, exec, s[8:9]
.LBB876_743:
	s_or_b64 exec, exec, s[2:3]
	v_lshrrev_b16_e32 v2, 8, v4
	v_cmp_ne_u16_e32 vcc, 0, v2
	s_and_saveexec_b64 s[2:3], vcc
	s_cbranch_execz .LBB876_749
; %bb.744:
	s_movk_i32 s7, 0x80
	v_cmp_ne_u16_e32 vcc, s7, v2
	v_mov_b32_e32 v3, 0xffff8000
	s_and_saveexec_b64 s[8:9], vcc
	s_cbranch_execz .LBB876_748
; %bb.745:
	s_movk_i32 s7, 0x7f
	v_and_b32_e32 v11, 0x7f, v2
	v_cmp_ne_u32_e32 vcc, s7, v11
	v_mov_b32_e32 v3, 0x7f80
	s_and_saveexec_b64 s[10:11], vcc
	s_cbranch_execz .LBB876_747
; %bb.746:
	v_and_b32_e32 v12, 7, v2
	v_ffbh_u32_e32 v3, v12
	v_min_u32_e32 v14, 32, v3
	v_subrev_u32_e32 v3, 28, v14
	v_lshlrev_b64 v[2:3], v3, v[2:3]
	v_lshrrev_b32_e32 v13, 3, v11
	v_sub_u32_e32 v3, 29, v14
	v_and_b32_e32 v2, 7, v2
	v_cmp_gt_u32_e32 vcc, 8, v11
	v_cndmask_b32_e32 v3, v13, v3, vcc
	v_cndmask_b32_e32 v2, v12, v2, vcc
	v_lshlrev_b32_e32 v11, 16, v4
	v_bfrev_b32_e32 v12, 60
	v_lshlrev_b32_e32 v2, 20, v2
	v_and_b32_e32 v11, 0x80000000, v11
	v_lshl_add_u32 v3, v3, 23, v12
	v_or3_b32 v2, v11, v3, v2
	v_lshrrev_b32_e32 v3, 16, v2
.LBB876_747:
	s_or_b64 exec, exec, s[10:11]
.LBB876_748:
	s_or_b64 exec, exec, s[8:9]
.LBB876_749:
	s_or_b64 exec, exec, s[2:3]
	s_movk_i32 s2, 0xff
	v_and_b32_sdwa v13, v4, s2 dst_sel:DWORD dst_unused:UNUSED_PAD src0_sel:WORD_1 src1_sel:DWORD
	v_lshrrev_b32_e32 v2, 16, v4
	v_cmp_ne_u16_e32 vcc, 0, v13
	v_mov_b32_e32 v11, 0
	v_mov_b32_e32 v12, 0
	s_and_saveexec_b64 s[2:3], vcc
	s_cbranch_execz .LBB876_755
; %bb.750:
	s_movk_i32 s7, 0x80
	v_cmp_ne_u16_e32 vcc, s7, v13
	v_mov_b32_e32 v12, 0xffff8000
	s_and_saveexec_b64 s[8:9], vcc
	s_cbranch_execz .LBB876_754
; %bb.751:
	v_bfe_u32 v13, v4, 16, 7
	s_movk_i32 s7, 0x7f
	v_cmp_ne_u32_e32 vcc, s7, v13
	v_mov_b32_e32 v12, 0x7f80
	s_and_saveexec_b64 s[10:11], vcc
	s_cbranch_execz .LBB876_753
; %bb.752:
	v_and_b32_e32 v12, 7, v2
	v_ffbh_u32_e32 v14, v12
	v_min_u32_e32 v17, 32, v14
	v_subrev_u32_e32 v14, 28, v17
	v_lshlrev_b64 v[14:15], v14, v[2:3]
	v_lshrrev_b32_e32 v16, 3, v13
	v_sub_u32_e32 v2, 29, v17
	v_and_b32_e32 v14, 7, v14
	v_cmp_gt_u32_e32 vcc, 8, v13
	v_mov_b32_e32 v13, 24
	v_cndmask_b32_e32 v2, v16, v2, vcc
	v_cndmask_b32_e32 v12, v12, v14, vcc
	v_lshlrev_b32_sdwa v13, v13, v4 dst_sel:DWORD dst_unused:UNUSED_PAD src0_sel:DWORD src1_sel:WORD_1
	v_bfrev_b32_e32 v14, 60
	v_lshlrev_b32_e32 v12, 20, v12
	v_and_b32_e32 v13, 0x80000000, v13
	v_lshl_add_u32 v2, v2, 23, v14
	v_or3_b32 v2, v13, v2, v12
	v_lshrrev_b32_e32 v12, 16, v2
.LBB876_753:
	s_or_b64 exec, exec, s[10:11]
.LBB876_754:
	s_or_b64 exec, exec, s[8:9]
.LBB876_755:
	s_or_b64 exec, exec, s[2:3]
	s_mov_b32 s2, 0xffffff
	v_cmp_lt_u32_e32 vcc, s2, v4
	s_and_saveexec_b64 s[2:3], vcc
	s_cbranch_execz .LBB876_761
; %bb.756:
	v_lshrrev_b32_e32 v2, 24, v4
	s_movk_i32 s7, 0x80
	v_cmp_ne_u32_e32 vcc, s7, v2
	v_mov_b32_e32 v11, 0xffff8000
	s_and_saveexec_b64 s[8:9], vcc
	s_cbranch_execz .LBB876_760
; %bb.757:
	v_bfe_u32 v4, v4, 24, 7
	s_movk_i32 s7, 0x7f
	v_cmp_ne_u32_e32 vcc, s7, v4
	v_mov_b32_e32 v11, 0x7f80
	s_and_saveexec_b64 s[10:11], vcc
	s_cbranch_execz .LBB876_759
; %bb.758:
	v_and_b32_e32 v11, 7, v2
	v_ffbh_u32_e32 v14, v11
	v_min_u32_e32 v16, 32, v14
	v_subrev_u32_e32 v14, 28, v16
	v_lshlrev_b64 v[14:15], v14, v[2:3]
	v_lshrrev_b32_e32 v13, 3, v4
	v_sub_u32_e32 v15, 29, v16
	v_and_b32_e32 v14, 7, v14
	v_cmp_gt_u32_e32 vcc, 8, v4
	v_cndmask_b32_e32 v4, v13, v15, vcc
	v_cndmask_b32_e32 v11, v11, v14, vcc
	v_lshlrev_b32_e32 v2, 24, v2
	v_bfrev_b32_e32 v13, 60
	v_lshlrev_b32_e32 v11, 20, v11
	v_and_b32_e32 v2, 0x80000000, v2
	v_lshl_add_u32 v4, v4, 23, v13
	v_or3_b32 v2, v2, v4, v11
	v_lshrrev_b32_e32 v11, 16, v2
.LBB876_759:
	s_or_b64 exec, exec, s[10:11]
.LBB876_760:
	s_or_b64 exec, exec, s[8:9]
.LBB876_761:
	s_or_b64 exec, exec, s[2:3]
	v_mov_b32_e32 v4, 0
	v_cmp_ne_u16_sdwa s[8:9], v5, v4 src0_sel:BYTE_0 src1_sel:DWORD
	v_mov_b32_e32 v13, 0
	s_and_saveexec_b64 s[2:3], s[8:9]
	s_cbranch_execz .LBB876_767
; %bb.762:
	s_movk_i32 s7, 0x80
	v_cmp_ne_u16_sdwa s[10:11], v5, s7 src0_sel:BYTE_0 src1_sel:DWORD
	v_mov_b32_e32 v13, 0xffff8000
	s_and_saveexec_b64 s[8:9], s[10:11]
	s_cbranch_execz .LBB876_766
; %bb.763:
	s_movk_i32 s7, 0x7f
	v_and_b32_e32 v2, 0x7f, v5
	v_cmp_ne_u32_e32 vcc, s7, v2
	v_mov_b32_e32 v13, 0x7f80
	s_and_saveexec_b64 s[10:11], vcc
	s_cbranch_execz .LBB876_765
; %bb.764:
	v_and_b32_e32 v13, 7, v5
	v_ffbh_u32_e32 v15, v13
	v_min_u32_e32 v17, 32, v15
	v_mov_b32_e32 v14, v5
	v_subrev_u32_e32 v15, 28, v17
	v_lshlrev_b64 v[14:15], v15, v[14:15]
	v_lshrrev_b32_e32 v16, 3, v2
	v_sub_u32_e32 v15, 29, v17
	v_and_b32_e32 v14, 7, v14
	v_cmp_gt_u32_e32 vcc, 8, v2
	v_cndmask_b32_e32 v2, v16, v15, vcc
	v_cndmask_b32_e32 v13, v13, v14, vcc
	v_lshlrev_b32_e32 v14, 24, v5
	v_bfrev_b32_e32 v15, 60
	v_lshlrev_b32_e32 v13, 20, v13
	v_and_b32_e32 v14, 0x80000000, v14
	v_lshl_add_u32 v2, v2, 23, v15
	v_or3_b32 v2, v14, v2, v13
	v_lshrrev_b32_e32 v13, 16, v2
.LBB876_765:
	s_or_b64 exec, exec, s[10:11]
.LBB876_766:
	s_or_b64 exec, exec, s[8:9]
.LBB876_767:
	s_or_b64 exec, exec, s[2:3]
	v_lshrrev_b16_e32 v2, 8, v5
	v_cmp_ne_u16_e32 vcc, 0, v2
	s_and_saveexec_b64 s[2:3], vcc
	s_cbranch_execz .LBB876_773
; %bb.768:
	s_movk_i32 s7, 0x80
	v_cmp_ne_u16_e32 vcc, s7, v2
	v_mov_b32_e32 v4, 0xffff8000
	s_and_saveexec_b64 s[8:9], vcc
	s_cbranch_execz .LBB876_772
; %bb.769:
	s_movk_i32 s7, 0x7f
	v_and_b32_e32 v14, 0x7f, v2
	v_cmp_ne_u32_e32 vcc, s7, v14
	v_mov_b32_e32 v4, 0x7f80
	s_and_saveexec_b64 s[10:11], vcc
	s_cbranch_execz .LBB876_771
; %bb.770:
	v_and_b32_e32 v4, 7, v2
	v_ffbh_u32_e32 v16, v4
	v_min_u32_e32 v18, 32, v16
	v_subrev_u32_e32 v16, 28, v18
	v_lshlrev_b64 v[16:17], v16, v[2:3]
	v_lshrrev_b32_e32 v15, 3, v14
	v_sub_u32_e32 v2, 29, v18
	v_and_b32_e32 v16, 7, v16
	v_cmp_gt_u32_e32 vcc, 8, v14
	v_cndmask_b32_e32 v2, v15, v2, vcc
	v_cndmask_b32_e32 v4, v4, v16, vcc
	v_lshlrev_b32_e32 v14, 16, v5
	v_bfrev_b32_e32 v15, 60
	v_lshlrev_b32_e32 v4, 20, v4
	v_and_b32_e32 v14, 0x80000000, v14
	v_lshl_add_u32 v2, v2, 23, v15
	v_or3_b32 v2, v14, v2, v4
	v_lshrrev_b32_e32 v4, 16, v2
.LBB876_771:
	s_or_b64 exec, exec, s[10:11]
.LBB876_772:
	s_or_b64 exec, exec, s[8:9]
.LBB876_773:
	s_or_b64 exec, exec, s[2:3]
	s_movk_i32 s2, 0xff
	v_and_b32_sdwa v16, v5, s2 dst_sel:DWORD dst_unused:UNUSED_PAD src0_sel:WORD_1 src1_sel:DWORD
	v_lshrrev_b32_e32 v2, 16, v5
	v_cmp_ne_u16_e32 vcc, 0, v16
	v_mov_b32_e32 v14, 0
	v_mov_b32_e32 v15, 0
	s_and_saveexec_b64 s[2:3], vcc
	s_cbranch_execz .LBB876_779
; %bb.774:
	s_movk_i32 s7, 0x80
	v_cmp_ne_u16_e32 vcc, s7, v16
	v_mov_b32_e32 v15, 0xffff8000
	s_and_saveexec_b64 s[8:9], vcc
	s_cbranch_execz .LBB876_778
; %bb.775:
	v_bfe_u32 v16, v5, 16, 7
	s_movk_i32 s7, 0x7f
	v_cmp_ne_u32_e32 vcc, s7, v16
	v_mov_b32_e32 v15, 0x7f80
	s_and_saveexec_b64 s[10:11], vcc
	s_cbranch_execz .LBB876_777
; %bb.776:
	v_and_b32_e32 v15, 7, v2
	v_ffbh_u32_e32 v18, v15
	v_min_u32_e32 v20, 32, v18
	v_subrev_u32_e32 v18, 28, v20
	v_lshlrev_b64 v[18:19], v18, v[2:3]
	v_lshrrev_b32_e32 v17, 3, v16
	v_sub_u32_e32 v2, 29, v20
	v_and_b32_e32 v18, 7, v18
	v_cmp_gt_u32_e32 vcc, 8, v16
	v_mov_b32_e32 v16, 24
	v_cndmask_b32_e32 v2, v17, v2, vcc
	v_cndmask_b32_e32 v15, v15, v18, vcc
	v_lshlrev_b32_sdwa v16, v16, v5 dst_sel:DWORD dst_unused:UNUSED_PAD src0_sel:DWORD src1_sel:WORD_1
	v_bfrev_b32_e32 v17, 60
	v_lshlrev_b32_e32 v15, 20, v15
	v_and_b32_e32 v16, 0x80000000, v16
	v_lshl_add_u32 v2, v2, 23, v17
	v_or3_b32 v2, v16, v2, v15
	v_lshrrev_b32_e32 v15, 16, v2
.LBB876_777:
	s_or_b64 exec, exec, s[10:11]
.LBB876_778:
	s_or_b64 exec, exec, s[8:9]
.LBB876_779:
	s_or_b64 exec, exec, s[2:3]
	s_mov_b32 s2, 0xffffff
	v_cmp_lt_u32_e32 vcc, s2, v5
	s_and_saveexec_b64 s[2:3], vcc
	s_cbranch_execz .LBB876_785
; %bb.780:
	v_lshrrev_b32_e32 v2, 24, v5
	s_movk_i32 s7, 0x80
	v_cmp_ne_u32_e32 vcc, s7, v2
	v_mov_b32_e32 v14, 0xffff8000
	s_and_saveexec_b64 s[8:9], vcc
	s_cbranch_execz .LBB876_784
; %bb.781:
	v_bfe_u32 v5, v5, 24, 7
	s_movk_i32 s7, 0x7f
	v_cmp_ne_u32_e32 vcc, s7, v5
	v_mov_b32_e32 v14, 0x7f80
	s_and_saveexec_b64 s[10:11], vcc
	s_cbranch_execz .LBB876_783
; %bb.782:
	v_and_b32_e32 v14, 7, v2
	v_ffbh_u32_e32 v16, v14
	v_min_u32_e32 v19, 32, v16
	v_subrev_u32_e32 v16, 28, v19
	v_lshlrev_b64 v[16:17], v16, v[2:3]
	v_lshrrev_b32_e32 v18, 3, v5
	v_sub_u32_e32 v17, 29, v19
	v_and_b32_e32 v16, 7, v16
	v_cmp_gt_u32_e32 vcc, 8, v5
	v_cndmask_b32_e32 v5, v18, v17, vcc
	v_cndmask_b32_e32 v14, v14, v16, vcc
	v_lshlrev_b32_e32 v2, 24, v2
	v_bfrev_b32_e32 v16, 60
	v_lshlrev_b32_e32 v14, 20, v14
	v_and_b32_e32 v2, 0x80000000, v2
	v_lshl_add_u32 v5, v5, 23, v16
	v_or3_b32 v2, v2, v5, v14
	v_lshrrev_b32_e32 v14, 16, v2
.LBB876_783:
	s_or_b64 exec, exec, s[10:11]
.LBB876_784:
	s_or_b64 exec, exec, s[8:9]
.LBB876_785:
	s_or_b64 exec, exec, s[2:3]
	s_mov_b32 s3, 0x5040100
	v_perm_b32 v11, v11, v12, s3
	ds_read_b128 v[16:19], v22 offset:6160
	v_perm_b32 v10, v3, v10, s3
	v_perm_b32 v3, v14, v15, s3
	v_perm_b32 v2, v4, v13, s3
	s_waitcnt lgkmcnt(0)
	v_mfma_f32_16x16x16bf16_1k v[6:9], v[10:11], v[16:17], v[6:9]
	s_load_dword s2, s[42:43], 0x0
	s_mov_b32 s3, 0x7060302
	s_movk_i32 s7, 0x7fff
	v_cmp_gt_u32_e32 vcc, 64, v0
	s_and_b64 s[0:1], vcc, s[0:1]
	s_waitcnt lgkmcnt(0)
	s_barrier
	v_mfma_f32_16x16x16bf16_1k v[2:5], v[2:3], v[18:19], v[6:9]
	s_nop 7
	s_nop 2
	v_pk_mul_f32 v[4:5], v[4:5], s[2:3] op_sel_hi:[1,0]
	v_pk_mul_f32 v[2:3], v[2:3], s[2:3] op_sel_hi:[1,0]
	v_bfe_u32 v6, v3, 16, 1
	v_bfe_u32 v7, v2, 16, 1
	;; [unrolled: 1-line block ×4, first 2 shown]
	v_add3_u32 v2, v2, v7, s7
	v_add3_u32 v3, v3, v6, s7
	;; [unrolled: 1-line block ×4, first 2 shown]
	v_perm_b32 v2, v3, v2, s3
	v_perm_b32 v3, v5, v4, s3
	ds_write_b64 v26, v[2:3]
	s_waitcnt lgkmcnt(0)
	s_barrier
	s_and_saveexec_b64 s[2:3], s[0:1]
	s_cbranch_execz .LBB876_788
; %bb.786:
	s_load_dwordx2 s[2:3], s[4:5], 0x68
	s_lshl_b32 s0, s44, 6
	s_mul_i32 s1, s12, s6
	s_mul_hi_u32 s7, s1, s0
	s_mul_i32 s6, s1, s0
	s_lshl_b64 s[6:7], s[6:7], 1
	s_waitcnt lgkmcnt(0)
	s_add_u32 s1, s2, s6
	v_lshlrev_b32_e32 v0, 10, v0
	s_mov_b32 s5, 0
	s_addc_u32 s6, s3, s7
	s_lshl_b32 s4, s24, 6
	v_and_b32_e32 v0, 0x1800, v0
	v_lshlrev_b32_e32 v2, 5, v1
	v_and_b32_e32 v3, 16, v47
	s_lshl_b64 s[2:3], s[4:5], 1
	v_or3_b32 v0, v0, v2, v3
	s_add_u32 s1, s1, s2
	ds_read_b128 v[4:7], v0 offset:256
	s_addc_u32 s2, s6, s3
	ds_read_b128 v[8:11], v0 offset:128
	ds_read_b128 v[12:15], v0
	v_add_u32_e32 v18, s25, v1
	v_mov_b32_e32 v3, s2
	v_add_co_u32_e32 v2, vcc, s1, v46
	v_mad_u64_u32 v[16:17], s[2:3], v18, s0, 0
	v_addc_co_u32_e32 v3, vcc, 0, v3, vcc
	v_lshlrev_b64 v[16:17], 1, v[16:17]
	v_add_co_u32_e32 v16, vcc, v2, v16
	v_addc_co_u32_e32 v17, vcc, v3, v17, vcc
	s_waitcnt lgkmcnt(0)
	global_store_dwordx4 v[16:17], v[12:15], off
	s_nop 0
	v_add_u32_e32 v12, 4, v18
	v_mad_u64_u32 v[12:13], s[2:3], v12, s0, 0
	v_lshlrev_b64 v[12:13], 1, v[12:13]
	v_add_co_u32_e32 v12, vcc, v2, v12
	v_addc_co_u32_e32 v13, vcc, v3, v13, vcc
	global_store_dwordx4 v[12:13], v[8:11], off
	s_nop 0
	v_add_u32_e32 v8, 8, v18
	v_mad_u64_u32 v[8:9], s[2:3], v8, s0, 0
	v_lshlrev_b64 v[8:9], 1, v[8:9]
	v_add_co_u32_e32 v8, vcc, v2, v8
	v_addc_co_u32_e32 v9, vcc, v3, v9, vcc
	v_cmp_ne_u32_e32 vcc, 3, v1
	global_store_dwordx4 v[8:9], v[4:7], off
	s_and_b64 exec, exec, vcc
	s_cbranch_execz .LBB876_788
; %bb.787:
	ds_read_b128 v[4:7], v0 offset:384
	v_add3_u32 v0, s25, v1, 12
	v_mad_u64_u32 v[0:1], s[0:1], v0, s0, 0
	v_lshlrev_b64 v[0:1], 1, v[0:1]
	v_add_co_u32_e32 v0, vcc, v2, v0
	v_addc_co_u32_e32 v1, vcc, v3, v1, vcc
	s_waitcnt lgkmcnt(0)
	global_store_dwordx4 v[0:1], v[4:7], off
.LBB876_788:
	s_endpgm
	.section	.rodata,"a",@progbits
	.p2align	6, 0x0
	.amdhsa_kernel _Z39paged_attention_ll4mi_QKV_mfma16_kernelI14__hip_bfloat16hLN4vllm18Fp8KVCacheDataTypeE1ES0_Li32ELi64ELi256ELb1ELi15EL8MFMAType0EEvPKT_PKT0_S9_ifPKiSB_SB_iPKfiiiPfSE_PS4_PT2_iSD_SD_
		.amdhsa_group_segment_fixed_size 8192
		.amdhsa_private_segment_fixed_size 0
		.amdhsa_kernarg_size 400
		.amdhsa_user_sgpr_count 6
		.amdhsa_user_sgpr_private_segment_buffer 1
		.amdhsa_user_sgpr_dispatch_ptr 0
		.amdhsa_user_sgpr_queue_ptr 0
		.amdhsa_user_sgpr_kernarg_segment_ptr 1
		.amdhsa_user_sgpr_dispatch_id 0
		.amdhsa_user_sgpr_flat_scratch_init 0
		.amdhsa_user_sgpr_kernarg_preload_length 0
		.amdhsa_user_sgpr_kernarg_preload_offset 0
		.amdhsa_user_sgpr_private_segment_size 0
		.amdhsa_uses_dynamic_stack 0
		.amdhsa_system_sgpr_private_segment_wavefront_offset 0
		.amdhsa_system_sgpr_workgroup_id_x 1
		.amdhsa_system_sgpr_workgroup_id_y 1
		.amdhsa_system_sgpr_workgroup_id_z 1
		.amdhsa_system_sgpr_workgroup_info 0
		.amdhsa_system_vgpr_workitem_id 0
		.amdhsa_next_free_vgpr 63
		.amdhsa_next_free_sgpr 47
		.amdhsa_accum_offset 64
		.amdhsa_reserve_vcc 1
		.amdhsa_reserve_flat_scratch 0
		.amdhsa_float_round_mode_32 0
		.amdhsa_float_round_mode_16_64 0
		.amdhsa_float_denorm_mode_32 3
		.amdhsa_float_denorm_mode_16_64 3
		.amdhsa_dx10_clamp 1
		.amdhsa_ieee_mode 1
		.amdhsa_fp16_overflow 0
		.amdhsa_tg_split 0
		.amdhsa_exception_fp_ieee_invalid_op 0
		.amdhsa_exception_fp_denorm_src 0
		.amdhsa_exception_fp_ieee_div_zero 0
		.amdhsa_exception_fp_ieee_overflow 0
		.amdhsa_exception_fp_ieee_underflow 0
		.amdhsa_exception_fp_ieee_inexact 0
		.amdhsa_exception_int_div_zero 0
	.end_amdhsa_kernel
	.section	.text._Z39paged_attention_ll4mi_QKV_mfma16_kernelI14__hip_bfloat16hLN4vllm18Fp8KVCacheDataTypeE1ES0_Li32ELi64ELi256ELb1ELi15EL8MFMAType0EEvPKT_PKT0_S9_ifPKiSB_SB_iPKfiiiPfSE_PS4_PT2_iSD_SD_,"axG",@progbits,_Z39paged_attention_ll4mi_QKV_mfma16_kernelI14__hip_bfloat16hLN4vllm18Fp8KVCacheDataTypeE1ES0_Li32ELi64ELi256ELb1ELi15EL8MFMAType0EEvPKT_PKT0_S9_ifPKiSB_SB_iPKfiiiPfSE_PS4_PT2_iSD_SD_,comdat
.Lfunc_end876:
	.size	_Z39paged_attention_ll4mi_QKV_mfma16_kernelI14__hip_bfloat16hLN4vllm18Fp8KVCacheDataTypeE1ES0_Li32ELi64ELi256ELb1ELi15EL8MFMAType0EEvPKT_PKT0_S9_ifPKiSB_SB_iPKfiiiPfSE_PS4_PT2_iSD_SD_, .Lfunc_end876-_Z39paged_attention_ll4mi_QKV_mfma16_kernelI14__hip_bfloat16hLN4vllm18Fp8KVCacheDataTypeE1ES0_Li32ELi64ELi256ELb1ELi15EL8MFMAType0EEvPKT_PKT0_S9_ifPKiSB_SB_iPKfiiiPfSE_PS4_PT2_iSD_SD_
                                        ; -- End function
	.section	.AMDGPU.csdata,"",@progbits
; Kernel info:
; codeLenInByte = 28792
; NumSgprs: 51
; NumVgprs: 63
; NumAgprs: 0
; TotalNumVgprs: 63
; ScratchSize: 0
; MemoryBound: 0
; FloatMode: 240
; IeeeMode: 1
; LDSByteSize: 8192 bytes/workgroup (compile time only)
; SGPRBlocks: 6
; VGPRBlocks: 7
; NumSGPRsForWavesPerEU: 51
; NumVGPRsForWavesPerEU: 63
; AccumOffset: 64
; Occupancy: 8
; WaveLimiterHint : 1
; COMPUTE_PGM_RSRC2:SCRATCH_EN: 0
; COMPUTE_PGM_RSRC2:USER_SGPR: 6
; COMPUTE_PGM_RSRC2:TRAP_HANDLER: 0
; COMPUTE_PGM_RSRC2:TGID_X_EN: 1
; COMPUTE_PGM_RSRC2:TGID_Y_EN: 1
; COMPUTE_PGM_RSRC2:TGID_Z_EN: 1
; COMPUTE_PGM_RSRC2:TIDIG_COMP_CNT: 0
; COMPUTE_PGM_RSRC3_GFX90A:ACCUM_OFFSET: 15
; COMPUTE_PGM_RSRC3_GFX90A:TG_SPLIT: 0
	.section	.text._Z39paged_attention_ll4mi_QKV_mfma16_kernelI14__hip_bfloat16hLN4vllm18Fp8KVCacheDataTypeE1ES0_Li32ELi64ELi256ELb1ELi16EL8MFMAType0EEvPKT_PKT0_S9_ifPKiSB_SB_iPKfiiiPfSE_PS4_PT2_iSD_SD_,"axG",@progbits,_Z39paged_attention_ll4mi_QKV_mfma16_kernelI14__hip_bfloat16hLN4vllm18Fp8KVCacheDataTypeE1ES0_Li32ELi64ELi256ELb1ELi16EL8MFMAType0EEvPKT_PKT0_S9_ifPKiSB_SB_iPKfiiiPfSE_PS4_PT2_iSD_SD_,comdat
	.protected	_Z39paged_attention_ll4mi_QKV_mfma16_kernelI14__hip_bfloat16hLN4vllm18Fp8KVCacheDataTypeE1ES0_Li32ELi64ELi256ELb1ELi16EL8MFMAType0EEvPKT_PKT0_S9_ifPKiSB_SB_iPKfiiiPfSE_PS4_PT2_iSD_SD_ ; -- Begin function _Z39paged_attention_ll4mi_QKV_mfma16_kernelI14__hip_bfloat16hLN4vllm18Fp8KVCacheDataTypeE1ES0_Li32ELi64ELi256ELb1ELi16EL8MFMAType0EEvPKT_PKT0_S9_ifPKiSB_SB_iPKfiiiPfSE_PS4_PT2_iSD_SD_
	.globl	_Z39paged_attention_ll4mi_QKV_mfma16_kernelI14__hip_bfloat16hLN4vllm18Fp8KVCacheDataTypeE1ES0_Li32ELi64ELi256ELb1ELi16EL8MFMAType0EEvPKT_PKT0_S9_ifPKiSB_SB_iPKfiiiPfSE_PS4_PT2_iSD_SD_
	.p2align	8
	.type	_Z39paged_attention_ll4mi_QKV_mfma16_kernelI14__hip_bfloat16hLN4vllm18Fp8KVCacheDataTypeE1ES0_Li32ELi64ELi256ELb1ELi16EL8MFMAType0EEvPKT_PKT0_S9_ifPKiSB_SB_iPKfiiiPfSE_PS4_PT2_iSD_SD_,@function
_Z39paged_attention_ll4mi_QKV_mfma16_kernelI14__hip_bfloat16hLN4vllm18Fp8KVCacheDataTypeE1ES0_Li32ELi64ELi256ELb1ELi16EL8MFMAType0EEvPKT_PKT0_S9_ifPKiSB_SB_iPKfiiiPfSE_PS4_PT2_iSD_SD_: ; @_Z39paged_attention_ll4mi_QKV_mfma16_kernelI14__hip_bfloat16hLN4vllm18Fp8KVCacheDataTypeE1ES0_Li32ELi64ELi256ELb1ELi16EL8MFMAType0EEvPKT_PKT0_S9_ifPKiSB_SB_iPKfiiiPfSE_PS4_PT2_iSD_SD_
; %bb.0:
	s_load_dwordx2 s[0:1], s[4:5], 0x30
	s_mov_b32 s24, s7
	s_mov_b64 s[2:3], 0
	s_waitcnt lgkmcnt(0)
	s_cmp_lg_u64 s[0:1], 0
	s_cselect_b64 s[10:11], -1, 0
	s_and_b64 vcc, exec, s[10:11]
	s_cbranch_vccz .LBB877_7
; %bb.1:
	s_add_i32 s12, s6, 1
	s_mov_b32 s13, 0
	s_lshl_b64 s[14:15], s[12:13], 2
	s_add_u32 s14, s0, s14
	s_mov_b32 s7, s13
	s_addc_u32 s15, s1, s15
	s_lshl_b64 s[12:13], s[6:7], 2
	s_add_u32 s12, s0, s12
	s_addc_u32 s13, s1, s13
	s_load_dword s9, s[14:15], 0x0
	s_load_dword s16, s[12:13], 0x0
	s_waitcnt lgkmcnt(0)
	s_sub_i32 s9, s9, s16
	s_cmp_eq_u32 s9, 1
	s_cselect_b64 s[12:13], -1, 0
	s_andn2_b64 vcc, exec, s[2:3]
	s_cbranch_vccnz .LBB877_3
.LBB877_2:
	s_mov_b32 s7, 0
	s_mov_b64 s[12:13], -1
.LBB877_3:
	s_andn2_b64 vcc, exec, s[12:13]
	s_cbranch_vccnz .LBB877_785
; %bb.4:
	s_load_dwordx2 s[2:3], s[4:5], 0x28
	s_lshl_b64 s[16:17], s[6:7], 2
	s_waitcnt lgkmcnt(0)
	s_add_u32 s2, s2, s16
	s_addc_u32 s3, s3, s17
	s_load_dword s33, s[2:3], 0x0
	s_lshl_b32 s20, s24, 8
	s_waitcnt lgkmcnt(0)
	s_cmp_ge_i32 s20, s33
	s_cbranch_scc1 .LBB877_785
; %bb.5:
	s_add_i32 s12, s33, 31
	s_load_dwordx2 s[2:3], s[4:5], 0x20
	s_load_dword s9, s[4:5], 0x38
	s_ashr_i32 s13, s12, 31
	v_and_b32_e32 v1, 0xcf, v0
	s_lshr_b32 s13, s13, 27
	v_add_u32_e32 v1, s20, v1
	s_add_i32 s12, s12, s13
	v_ashrrev_i32_e32 v2, 31, v1
	s_ashr_i32 s23, s12, 5
	v_lshrrev_b32_e32 v4, 27, v2
	s_add_i32 s23, s23, -1
	v_add_u32_e32 v2, v1, v4
	s_waitcnt lgkmcnt(0)
	s_mul_i32 s12, s6, s9
	s_mov_b32 s13, 0
	v_ashrrev_i32_e32 v2, 5, v2
	v_mov_b32_e32 v5, s23
	v_cmp_gt_i32_e32 vcc, s33, v1
	s_lshl_b64 s[12:13], s[12:13], 2
	v_cndmask_b32_e32 v2, v5, v2, vcc
	s_add_u32 s21, s2, s12
	v_ashrrev_i32_e32 v3, 31, v2
	s_addc_u32 s22, s3, s13
	v_lshlrev_b64 v[2:3], 2, v[2:3]
	v_mov_b32_e32 v7, s22
	v_add_co_u32_e32 v6, vcc, s21, v2
	v_or_b32_e32 v2, 16, v1
	v_addc_co_u32_e32 v7, vcc, v7, v3, vcc
	v_add_u32_e32 v3, v2, v4
	v_ashrrev_i32_e32 v3, 5, v3
	v_cmp_gt_i32_e32 vcc, s33, v2
	v_cndmask_b32_e32 v2, v5, v3, vcc
	v_ashrrev_i32_e32 v3, 31, v2
	v_lshlrev_b64 v[2:3], 2, v[2:3]
	v_mov_b32_e32 v9, s22
	v_add_co_u32_e32 v8, vcc, s21, v2
	v_or_b32_e32 v2, 32, v1
	v_addc_co_u32_e32 v9, vcc, v9, v3, vcc
	v_add_u32_e32 v3, v2, v4
	v_ashrrev_i32_e32 v3, 5, v3
	v_cmp_gt_i32_e32 vcc, s33, v2
	v_cndmask_b32_e32 v2, v5, v3, vcc
	v_ashrrev_i32_e32 v3, 31, v2
	;; [unrolled: 10-line block ×3, first 2 shown]
	v_lshlrev_b64 v[2:3], 2, v[2:3]
	v_mov_b32_e32 v1, s22
	v_add_co_u32_e32 v12, vcc, s21, v2
	v_addc_co_u32_e32 v13, vcc, v1, v3, vcc
	global_load_dword v5, v[6:7], off
	global_load_dword v4, v[8:9], off
	;; [unrolled: 1-line block ×4, first 2 shown]
	s_load_dwordx2 s[2:3], s[4:5], 0x40
	s_load_dwordx4 s[12:15], s[4:5], 0x8
	s_andn2_b64 vcc, exec, s[10:11]
	s_cbranch_vccnz .LBB877_8
; %bb.6:
	s_add_u32 s0, s0, s16
	s_addc_u32 s1, s1, s17
	s_load_dword s9, s[0:1], 0x0
	s_branch .LBB877_9
.LBB877_7:
	s_mov_b64 s[12:13], 0
	s_branch .LBB877_2
.LBB877_8:
	s_mov_b32 s9, s6
.LBB877_9:
	s_load_dwordx4 s[16:19], s[4:5], 0x48
	v_and_b32_e32 v53, 15, v0
	s_movk_i32 s0, 0x100
	v_lshlrev_b32_e32 v6, 3, v53
	v_cmp_gt_u32_e32 vcc, s0, v0
	v_cmp_gt_u32_e64 s[0:1], 8, v53
	v_lshrrev_b32_e32 v51, 6, v0
	v_bfe_u32 v1, v0, 4, 2
	s_lshl_b32 s25, s8, 4
	s_and_b64 s[26:27], vcc, s[0:1]
	v_lshlrev_b32_e32 v48, 1, v6
	v_lshlrev_b32_e32 v49, 4, v0
	s_and_saveexec_b64 s[10:11], s[26:27]
	s_cbranch_execz .LBB877_11
; %bb.10:
	s_load_dwordx2 s[26:27], s[4:5], 0x0
	s_waitcnt lgkmcnt(0)
	s_ashr_i32 s19, s16, 31
	s_mul_hi_u32 s28, s9, s16
	s_mul_i32 s19, s9, s19
	v_lshl_or_b32 v10, v51, 2, v1
	s_add_i32 s29, s28, s19
	s_mul_i32 s28, s9, s16
	s_lshl_b64 s[28:29], s[28:29], 1
	v_add_lshl_u32 v6, v10, s25, 6
	s_add_u32 s9, s26, s28
	v_ashrrev_i32_e32 v7, 31, v6
	s_addc_u32 s16, s27, s29
	v_lshlrev_b64 v[6:7], 1, v[6:7]
	v_mov_b32_e32 v8, s16
	v_add_co_u32_e32 v6, vcc, s9, v6
	v_addc_co_u32_e32 v7, vcc, v8, v7, vcc
	v_add_co_u32_e32 v6, vcc, v6, v48
	v_addc_co_u32_e32 v7, vcc, 0, v7, vcc
	global_load_dwordx4 v[6:9], v[6:7], off
	v_lshlrev_b32_e32 v12, 8, v53
	v_lshlrev_b32_e32 v10, 5, v10
	v_and_b32_e32 v11, 16, v49
	v_and_b32_e32 v12, 0xe00, v12
	v_or3_b32 v10, v12, v10, v11
	s_waitcnt vmcnt(0)
	ds_write_b128 v10, v[6:9]
.LBB877_11:
	s_or_b64 exec, exec, s[10:11]
	s_waitcnt lgkmcnt(0)
	s_mul_i32 s10, s8, s18
	s_add_u32 s8, s12, s10
	s_addc_u32 s9, s13, 0
	v_and_b32_e32 v12, 48, v0
	s_ashr_i32 s11, s20, 31
	v_or_b32_e32 v13, s20, v12
	s_lshr_b32 s11, s11, 27
	v_add_u32_e32 v6, s11, v13
	v_ashrrev_i32_e32 v6, 5, v6
	v_mov_b32_e32 v14, s23
	v_cmp_gt_i32_e32 vcc, s33, v13
	v_cndmask_b32_e32 v6, v14, v6, vcc
	v_ashrrev_i32_e32 v7, 31, v6
	v_lshlrev_b64 v[6:7], 2, v[6:7]
	v_mov_b32_e32 v8, s22
	v_add_co_u32_e32 v6, vcc, s21, v6
	v_addc_co_u32_e32 v7, vcc, v8, v7, vcc
	v_or_b32_e32 v8, 64, v13
	v_add_u32_e32 v9, s11, v8
	v_ashrrev_i32_e32 v9, 5, v9
	v_cmp_gt_i32_e32 vcc, s33, v8
	v_cndmask_b32_e32 v8, v14, v9, vcc
	v_ashrrev_i32_e32 v9, 31, v8
	v_lshlrev_b64 v[8:9], 2, v[8:9]
	v_mov_b32_e32 v10, s22
	v_add_co_u32_e32 v8, vcc, s21, v8
	v_addc_co_u32_e32 v9, vcc, v10, v9, vcc
	v_or_b32_e32 v10, 0x80, v13
	v_add_u32_e32 v11, s11, v10
	v_ashrrev_i32_e32 v11, 5, v11
	v_cmp_gt_i32_e32 vcc, s33, v10
	v_cndmask_b32_e32 v10, v14, v11, vcc
	v_ashrrev_i32_e32 v11, 31, v10
	v_lshlrev_b64 v[10:11], 2, v[10:11]
	v_mov_b32_e32 v15, s22
	v_add_co_u32_e32 v10, vcc, s21, v10
	s_load_dwordx2 s[44:45], s[4:5], 0x94
	s_load_dwordx4 s[40:43], s[4:5], 0x80
	s_waitcnt lgkmcnt(0)
	s_barrier
	v_addc_co_u32_e32 v11, vcc, v15, v11, vcc
	global_load_dword v15, v[6:7], off
	global_load_dword v16, v[8:9], off
	;; [unrolled: 1-line block ×3, first 2 shown]
	v_or_b32_e32 v6, 0xc0, v13
	v_add_u32_e32 v7, s11, v6
	v_ashrrev_i32_e32 v7, 5, v7
	v_cmp_gt_i32_e32 vcc, s33, v6
	v_cndmask_b32_e32 v6, v14, v7, vcc
	v_ashrrev_i32_e32 v7, 31, v6
	v_lshlrev_b64 v[6:7], 2, v[6:7]
	v_mov_b32_e32 v8, s22
	v_add_co_u32_e32 v6, vcc, s21, v6
	v_addc_co_u32_e32 v7, vcc, v8, v7, vcc
	global_load_dword v20, v[6:7], off
	v_pk_mov_b32 v[6:7], s[8:9], s[8:9] op_sel:[0,1]
	s_waitcnt vmcnt(7)
	v_mad_i64_i32 v[8:9], s[8:9], v5, s17, v[6:7]
	v_lshlrev_b32_e32 v11, 4, v53
	v_add_co_u32_e32 v5, vcc, v8, v11
	v_lshlrev_b32_e32 v10, 5, v12
	v_addc_co_u32_e32 v9, vcc, 0, v9, vcc
	v_add_co_u32_e32 v8, vcc, v5, v10
	v_addc_co_u32_e32 v9, vcc, 0, v9, vcc
	s_waitcnt vmcnt(6)
	v_mad_i64_i32 v[4:5], s[8:9], v4, s17, v[6:7]
	v_or_b32_e32 v12, 0x100, v11
	v_add_co_u32_e32 v4, vcc, v4, v12
	v_addc_co_u32_e32 v5, vcc, 0, v5, vcc
	v_add_co_u32_e32 v4, vcc, v4, v10
	v_addc_co_u32_e32 v5, vcc, 0, v5, vcc
	global_load_dwordx4 v[30:33], v[8:9], off
	global_load_dwordx4 v[38:41], v[4:5], off
	s_waitcnt vmcnt(7)
	v_mad_i64_i32 v[4:5], s[8:9], v3, s17, v[6:7]
	v_add_co_u32_e32 v3, vcc, v4, v11
	v_addc_co_u32_e32 v5, vcc, 0, v5, vcc
	v_add_co_u32_e32 v4, vcc, v3, v10
	v_addc_co_u32_e32 v5, vcc, 0, v5, vcc
	s_waitcnt vmcnt(6)
	v_mad_i64_i32 v[2:3], s[8:9], v2, s17, v[6:7]
	v_add_co_u32_e32 v2, vcc, v2, v12
	v_addc_co_u32_e32 v3, vcc, 0, v3, vcc
	v_add_co_u32_e32 v2, vcc, v2, v10
	v_or_b32_e32 v46, s25, v53
	v_addc_co_u32_e32 v3, vcc, 0, v3, vcc
	v_ashrrev_i32_e32 v47, 31, v46
	global_load_dwordx4 v[34:37], v[4:5], off
	global_load_dwordx4 v[22:25], v[2:3], off
	v_lshlrev_b64 v[2:3], 2, v[46:47]
	v_mov_b32_e32 v4, s3
	v_add_co_u32_e32 v2, vcc, s2, v2
	v_addc_co_u32_e32 v3, vcc, v4, v3, vcc
	s_add_u32 s2, s14, s10
	global_load_dword v47, v[2:3], off
	s_addc_u32 s3, s15, 0
	v_and_b32_e32 v2, 16, v0
	v_lshlrev_b32_e32 v52, 5, v53
	v_mov_b32_e32 v3, s3
	v_add_co_u32_e32 v2, vcc, s2, v2
	v_addc_co_u32_e32 v3, vcc, 0, v3, vcc
	v_lshl_or_b32 v4, v51, 9, v52
	v_add_co_u32_e32 v2, vcc, v2, v4
	v_addc_co_u32_e32 v3, vcc, 0, v3, vcc
	s_waitcnt vmcnt(8)
	v_mad_i64_i32 v[4:5], s[2:3], v15, s17, v[2:3]
	s_waitcnt vmcnt(7)
	v_mad_i64_i32 v[6:7], s[2:3], v16, s17, v[2:3]
	;; [unrolled: 2-line block ×3, first 2 shown]
	global_load_dwordx4 v[14:17], v[4:5], off
	global_load_dwordx4 v[10:13], v[6:7], off
	v_lshl_or_b32 v50, v1, 9, v52
	v_mov_b32_e32 v44, 0
	v_mov_b32_e32 v43, 0
	s_waitcnt vmcnt(7)
	v_mad_i64_i32 v[20:21], s[2:3], v20, s17, v[2:3]
	global_load_dwordx4 v[6:9], v[18:19], off
	global_load_dwordx4 v[2:5], v[20:21], off
	ds_read_b128 v[26:29], v50
	ds_read_b128 v[18:21], v50 offset:16
	s_load_dword s12, s[40:41], 0x0
	s_movk_i32 s8, 0x80
	s_waitcnt vmcnt(8)
	v_cmp_ne_u16_sdwa s[10:11], v30, v44 src0_sel:BYTE_0 src1_sel:DWORD
	s_and_saveexec_b64 s[2:3], s[10:11]
	s_cbranch_execz .LBB877_17
; %bb.12:
	v_cmp_ne_u16_sdwa s[10:11], v30, s8 src0_sel:BYTE_0 src1_sel:DWORD
	v_mov_b32_e32 v43, 0xffff8000
	s_and_saveexec_b64 s[8:9], s[10:11]
	s_cbranch_execz .LBB877_16
; %bb.13:
	s_movk_i32 s10, 0x7f
	v_and_b32_e32 v42, 0x7f, v30
	v_cmp_ne_u32_e32 vcc, s10, v42
	v_mov_b32_e32 v43, 0x7f80
	s_and_saveexec_b64 s[10:11], vcc
	s_cbranch_execz .LBB877_15
; %bb.14:
	v_and_b32_e32 v43, 7, v30
	v_ffbh_u32_e32 v54, v43
	v_min_u32_e32 v56, 32, v54
	v_subrev_u32_e32 v54, 28, v56
	v_lshlrev_b64 v[54:55], v54, v[30:31]
	v_lshrrev_b32_e32 v45, 3, v42
	v_sub_u32_e32 v55, 29, v56
	v_and_b32_e32 v54, 7, v54
	v_cmp_gt_u32_e32 vcc, 8, v42
	v_cndmask_b32_e32 v42, v45, v55, vcc
	v_cndmask_b32_e32 v43, v43, v54, vcc
	v_lshlrev_b32_e32 v45, 24, v30
	v_bfrev_b32_e32 v54, 60
	v_lshlrev_b32_e32 v43, 20, v43
	v_and_b32_e32 v45, 0x80000000, v45
	v_lshl_add_u32 v42, v42, 23, v54
	v_or3_b32 v42, v45, v42, v43
	v_lshrrev_b32_e32 v43, 16, v42
.LBB877_15:
	s_or_b64 exec, exec, s[10:11]
.LBB877_16:
	s_or_b64 exec, exec, s[8:9]
.LBB877_17:
	s_or_b64 exec, exec, s[2:3]
	v_lshrrev_b16_e32 v42, 8, v30
	v_cmp_ne_u16_e32 vcc, 0, v42
	s_and_saveexec_b64 s[2:3], vcc
	s_cbranch_execz .LBB877_23
; %bb.18:
	s_movk_i32 s8, 0x80
	v_cmp_ne_u16_e32 vcc, s8, v42
	v_mov_b32_e32 v44, 0xffff8000
	s_and_saveexec_b64 s[8:9], vcc
	s_cbranch_execz .LBB877_22
; %bb.19:
	s_movk_i32 s10, 0x7f
	v_and_b32_e32 v45, 0x7f, v42
	v_cmp_ne_u32_e32 vcc, s10, v45
	v_mov_b32_e32 v44, 0x7f80
	s_and_saveexec_b64 s[10:11], vcc
	s_cbranch_execz .LBB877_21
; %bb.20:
	v_and_b32_e32 v44, 7, v42
	v_ffbh_u32_e32 v54, v44
	v_min_u32_e32 v57, 32, v54
	v_subrev_u32_e32 v54, 28, v57
	v_lshlrev_b64 v[54:55], v54, v[42:43]
	v_lshrrev_b32_e32 v56, 3, v45
	v_sub_u32_e32 v42, 29, v57
	v_and_b32_e32 v54, 7, v54
	v_cmp_gt_u32_e32 vcc, 8, v45
	v_cndmask_b32_e32 v42, v56, v42, vcc
	v_cndmask_b32_e32 v44, v44, v54, vcc
	v_lshlrev_b32_e32 v45, 16, v30
	v_bfrev_b32_e32 v54, 60
	v_lshlrev_b32_e32 v44, 20, v44
	v_and_b32_e32 v45, 0x80000000, v45
	v_lshl_add_u32 v42, v42, 23, v54
	v_or3_b32 v42, v45, v42, v44
	v_lshrrev_b32_e32 v44, 16, v42
.LBB877_21:
	s_or_b64 exec, exec, s[10:11]
.LBB877_22:
	s_or_b64 exec, exec, s[8:9]
.LBB877_23:
	s_or_b64 exec, exec, s[2:3]
	s_movk_i32 s2, 0xff
	v_and_b32_sdwa v55, v30, s2 dst_sel:DWORD dst_unused:UNUSED_PAD src0_sel:WORD_1 src1_sel:DWORD
	v_lshrrev_b32_e32 v42, 16, v30
	v_cmp_ne_u16_e32 vcc, 0, v55
	v_mov_b32_e32 v45, 0
	v_mov_b32_e32 v54, 0
	s_and_saveexec_b64 s[2:3], vcc
	s_cbranch_execz .LBB877_29
; %bb.24:
	s_movk_i32 s8, 0x80
	v_cmp_ne_u16_e32 vcc, s8, v55
	v_mov_b32_e32 v54, 0xffff8000
	s_and_saveexec_b64 s[8:9], vcc
	s_cbranch_execz .LBB877_28
; %bb.25:
	v_bfe_u32 v55, v30, 16, 7
	s_movk_i32 s10, 0x7f
	v_cmp_ne_u32_e32 vcc, s10, v55
	v_mov_b32_e32 v54, 0x7f80
	s_and_saveexec_b64 s[10:11], vcc
	s_cbranch_execz .LBB877_27
; %bb.26:
	v_and_b32_e32 v54, 7, v42
	v_ffbh_u32_e32 v56, v54
	v_min_u32_e32 v59, 32, v56
	v_subrev_u32_e32 v56, 28, v59
	v_lshlrev_b64 v[56:57], v56, v[42:43]
	v_lshrrev_b32_e32 v58, 3, v55
	v_sub_u32_e32 v42, 29, v59
	v_and_b32_e32 v56, 7, v56
	v_cmp_gt_u32_e32 vcc, 8, v55
	v_mov_b32_e32 v55, 24
	v_cndmask_b32_e32 v42, v58, v42, vcc
	v_cndmask_b32_e32 v54, v54, v56, vcc
	v_lshlrev_b32_sdwa v55, v55, v30 dst_sel:DWORD dst_unused:UNUSED_PAD src0_sel:DWORD src1_sel:WORD_1
	v_bfrev_b32_e32 v56, 60
	v_lshlrev_b32_e32 v54, 20, v54
	v_and_b32_e32 v55, 0x80000000, v55
	v_lshl_add_u32 v42, v42, 23, v56
	v_or3_b32 v42, v55, v42, v54
	v_lshrrev_b32_e32 v54, 16, v42
.LBB877_27:
	s_or_b64 exec, exec, s[10:11]
.LBB877_28:
	s_or_b64 exec, exec, s[8:9]
.LBB877_29:
	s_or_b64 exec, exec, s[2:3]
	s_mov_b32 s2, 0xffffff
	v_cmp_lt_u32_e32 vcc, s2, v30
	s_and_saveexec_b64 s[2:3], vcc
	s_cbranch_execz .LBB877_35
; %bb.30:
	v_lshrrev_b32_e32 v42, 24, v30
	s_movk_i32 s8, 0x80
	v_cmp_ne_u32_e32 vcc, s8, v42
	v_mov_b32_e32 v45, 0xffff8000
	s_and_saveexec_b64 s[8:9], vcc
	s_cbranch_execz .LBB877_34
; %bb.31:
	v_bfe_u32 v30, v30, 24, 7
	s_movk_i32 s10, 0x7f
	v_cmp_ne_u32_e32 vcc, s10, v30
	v_mov_b32_e32 v45, 0x7f80
	s_and_saveexec_b64 s[10:11], vcc
	s_cbranch_execz .LBB877_33
; %bb.32:
	v_and_b32_e32 v45, 7, v42
	v_ffbh_u32_e32 v56, v45
	v_min_u32_e32 v58, 32, v56
	v_subrev_u32_e32 v56, 28, v58
	v_lshlrev_b64 v[56:57], v56, v[42:43]
	v_lshrrev_b32_e32 v55, 3, v30
	v_sub_u32_e32 v57, 29, v58
	v_and_b32_e32 v56, 7, v56
	v_cmp_gt_u32_e32 vcc, 8, v30
	v_cndmask_b32_e32 v30, v55, v57, vcc
	v_cndmask_b32_e32 v45, v45, v56, vcc
	v_lshlrev_b32_e32 v42, 24, v42
	v_bfrev_b32_e32 v55, 60
	v_lshlrev_b32_e32 v45, 20, v45
	v_and_b32_e32 v42, 0x80000000, v42
	v_lshl_add_u32 v30, v30, 23, v55
	v_or3_b32 v30, v42, v30, v45
	v_lshrrev_b32_e32 v45, 16, v30
.LBB877_33:
	s_or_b64 exec, exec, s[10:11]
.LBB877_34:
	s_or_b64 exec, exec, s[8:9]
.LBB877_35:
	s_or_b64 exec, exec, s[2:3]
	v_mov_b32_e32 v42, 0
	v_cmp_ne_u16_sdwa s[8:9], v31, v42 src0_sel:BYTE_0 src1_sel:DWORD
	v_mov_b32_e32 v55, 0
	s_and_saveexec_b64 s[2:3], s[8:9]
	s_cbranch_execz .LBB877_41
; %bb.36:
	s_movk_i32 s8, 0x80
	v_cmp_ne_u16_sdwa s[10:11], v31, s8 src0_sel:BYTE_0 src1_sel:DWORD
	v_mov_b32_e32 v55, 0xffff8000
	s_and_saveexec_b64 s[8:9], s[10:11]
	s_cbranch_execz .LBB877_40
; %bb.37:
	s_movk_i32 s10, 0x7f
	v_and_b32_e32 v30, 0x7f, v31
	v_cmp_ne_u32_e32 vcc, s10, v30
	v_mov_b32_e32 v55, 0x7f80
	s_and_saveexec_b64 s[10:11], vcc
	s_cbranch_execz .LBB877_39
; %bb.38:
	v_and_b32_e32 v55, 7, v31
	v_ffbh_u32_e32 v57, v55
	v_min_u32_e32 v59, 32, v57
	v_mov_b32_e32 v56, v31
	v_subrev_u32_e32 v57, 28, v59
	v_lshlrev_b64 v[56:57], v57, v[56:57]
	v_lshrrev_b32_e32 v58, 3, v30
	v_sub_u32_e32 v57, 29, v59
	v_and_b32_e32 v56, 7, v56
	v_cmp_gt_u32_e32 vcc, 8, v30
	v_cndmask_b32_e32 v30, v58, v57, vcc
	v_cndmask_b32_e32 v55, v55, v56, vcc
	v_lshlrev_b32_e32 v56, 24, v31
	v_bfrev_b32_e32 v57, 60
	v_lshlrev_b32_e32 v55, 20, v55
	v_and_b32_e32 v56, 0x80000000, v56
	v_lshl_add_u32 v30, v30, 23, v57
	v_or3_b32 v30, v56, v30, v55
	v_lshrrev_b32_e32 v55, 16, v30
.LBB877_39:
	s_or_b64 exec, exec, s[10:11]
.LBB877_40:
	s_or_b64 exec, exec, s[8:9]
.LBB877_41:
	s_or_b64 exec, exec, s[2:3]
	v_lshrrev_b16_e32 v30, 8, v31
	v_cmp_ne_u16_e32 vcc, 0, v30
	s_and_saveexec_b64 s[2:3], vcc
	s_cbranch_execz .LBB877_47
; %bb.42:
	s_movk_i32 s8, 0x80
	v_cmp_ne_u16_e32 vcc, s8, v30
	v_mov_b32_e32 v42, 0xffff8000
	s_and_saveexec_b64 s[8:9], vcc
	s_cbranch_execz .LBB877_46
; %bb.43:
	s_movk_i32 s10, 0x7f
	v_and_b32_e32 v56, 0x7f, v30
	v_cmp_ne_u32_e32 vcc, s10, v56
	v_mov_b32_e32 v42, 0x7f80
	s_and_saveexec_b64 s[10:11], vcc
	s_cbranch_execz .LBB877_45
; %bb.44:
	v_and_b32_e32 v42, 7, v30
	v_ffbh_u32_e32 v58, v42
	v_min_u32_e32 v60, 32, v58
	v_subrev_u32_e32 v58, 28, v60
	v_lshlrev_b64 v[58:59], v58, v[30:31]
	v_lshrrev_b32_e32 v57, 3, v56
	v_sub_u32_e32 v30, 29, v60
	v_and_b32_e32 v58, 7, v58
	v_cmp_gt_u32_e32 vcc, 8, v56
	v_cndmask_b32_e32 v30, v57, v30, vcc
	v_cndmask_b32_e32 v42, v42, v58, vcc
	v_lshlrev_b32_e32 v56, 16, v31
	v_bfrev_b32_e32 v57, 60
	v_lshlrev_b32_e32 v42, 20, v42
	v_and_b32_e32 v56, 0x80000000, v56
	v_lshl_add_u32 v30, v30, 23, v57
	v_or3_b32 v30, v56, v30, v42
	v_lshrrev_b32_e32 v42, 16, v30
.LBB877_45:
	s_or_b64 exec, exec, s[10:11]
.LBB877_46:
	s_or_b64 exec, exec, s[8:9]
.LBB877_47:
	s_or_b64 exec, exec, s[2:3]
	s_movk_i32 s2, 0xff
	v_and_b32_sdwa v58, v31, s2 dst_sel:DWORD dst_unused:UNUSED_PAD src0_sel:WORD_1 src1_sel:DWORD
	v_lshrrev_b32_e32 v30, 16, v31
	v_cmp_ne_u16_e32 vcc, 0, v58
	v_mov_b32_e32 v56, 0
	v_mov_b32_e32 v57, 0
	s_and_saveexec_b64 s[2:3], vcc
	s_cbranch_execz .LBB877_53
; %bb.48:
	s_movk_i32 s8, 0x80
	v_cmp_ne_u16_e32 vcc, s8, v58
	v_mov_b32_e32 v57, 0xffff8000
	s_and_saveexec_b64 s[8:9], vcc
	s_cbranch_execz .LBB877_52
; %bb.49:
	v_bfe_u32 v58, v31, 16, 7
	s_movk_i32 s10, 0x7f
	v_cmp_ne_u32_e32 vcc, s10, v58
	v_mov_b32_e32 v57, 0x7f80
	s_and_saveexec_b64 s[10:11], vcc
	s_cbranch_execz .LBB877_51
; %bb.50:
	v_and_b32_e32 v57, 7, v30
	v_ffbh_u32_e32 v60, v57
	v_min_u32_e32 v62, 32, v60
	v_subrev_u32_e32 v60, 28, v62
	v_lshlrev_b64 v[60:61], v60, v[30:31]
	v_lshrrev_b32_e32 v59, 3, v58
	v_sub_u32_e32 v30, 29, v62
	v_and_b32_e32 v60, 7, v60
	v_cmp_gt_u32_e32 vcc, 8, v58
	v_mov_b32_e32 v58, 24
	v_cndmask_b32_e32 v30, v59, v30, vcc
	v_cndmask_b32_e32 v57, v57, v60, vcc
	v_lshlrev_b32_sdwa v58, v58, v31 dst_sel:DWORD dst_unused:UNUSED_PAD src0_sel:DWORD src1_sel:WORD_1
	v_bfrev_b32_e32 v59, 60
	v_lshlrev_b32_e32 v57, 20, v57
	v_and_b32_e32 v58, 0x80000000, v58
	v_lshl_add_u32 v30, v30, 23, v59
	v_or3_b32 v30, v58, v30, v57
	v_lshrrev_b32_e32 v57, 16, v30
.LBB877_51:
	s_or_b64 exec, exec, s[10:11]
.LBB877_52:
	s_or_b64 exec, exec, s[8:9]
.LBB877_53:
	s_or_b64 exec, exec, s[2:3]
	s_mov_b32 s2, 0xffffff
	v_cmp_lt_u32_e32 vcc, s2, v31
	s_and_saveexec_b64 s[2:3], vcc
	s_cbranch_execz .LBB877_59
; %bb.54:
	v_lshrrev_b32_e32 v30, 24, v31
	s_movk_i32 s8, 0x80
	v_cmp_ne_u32_e32 vcc, s8, v30
	v_mov_b32_e32 v56, 0xffff8000
	s_and_saveexec_b64 s[8:9], vcc
	s_cbranch_execz .LBB877_58
; %bb.55:
	v_bfe_u32 v31, v31, 24, 7
	s_movk_i32 s10, 0x7f
	v_cmp_ne_u32_e32 vcc, s10, v31
	v_mov_b32_e32 v56, 0x7f80
	s_and_saveexec_b64 s[10:11], vcc
	s_cbranch_execz .LBB877_57
; %bb.56:
	v_and_b32_e32 v56, 7, v30
	v_ffbh_u32_e32 v58, v56
	v_min_u32_e32 v61, 32, v58
	v_subrev_u32_e32 v58, 28, v61
	v_lshlrev_b64 v[58:59], v58, v[30:31]
	v_lshrrev_b32_e32 v60, 3, v31
	v_sub_u32_e32 v59, 29, v61
	v_and_b32_e32 v58, 7, v58
	v_cmp_gt_u32_e32 vcc, 8, v31
	v_cndmask_b32_e32 v31, v60, v59, vcc
	v_cndmask_b32_e32 v56, v56, v58, vcc
	v_lshlrev_b32_e32 v30, 24, v30
	v_bfrev_b32_e32 v58, 60
	v_lshlrev_b32_e32 v56, 20, v56
	v_and_b32_e32 v30, 0x80000000, v30
	v_lshl_add_u32 v31, v31, 23, v58
	v_or3_b32 v30, v30, v31, v56
	v_lshrrev_b32_e32 v56, 16, v30
.LBB877_57:
	s_or_b64 exec, exec, s[10:11]
.LBB877_58:
	s_or_b64 exec, exec, s[8:9]
.LBB877_59:
	s_or_b64 exec, exec, s[2:3]
	s_mov_b32 s2, 0x5040100
	v_perm_b32 v31, v45, v54, s2
	v_perm_b32 v30, v44, v43, s2
	;; [unrolled: 1-line block ×4, first 2 shown]
	v_mov_b32_e32 v54, 0
	s_waitcnt lgkmcnt(0)
	v_mfma_f32_16x16x16bf16_1k v[58:61], v[30:31], v[26:27], 0
	v_mov_b32_e32 v31, 0
	v_cmp_ne_u16_sdwa s[8:9], v32, v31 src0_sel:BYTE_0 src1_sel:DWORD
	v_mfma_f32_16x16x16bf16_1k v[42:45], v[42:43], v[28:29], v[58:61]
	s_and_saveexec_b64 s[2:3], s[8:9]
	s_cbranch_execz .LBB877_65
; %bb.60:
	s_movk_i32 s8, 0x80
	v_cmp_ne_u16_sdwa s[10:11], v32, s8 src0_sel:BYTE_0 src1_sel:DWORD
	v_mov_b32_e32 v54, 0xffff8000
	s_and_saveexec_b64 s[8:9], s[10:11]
	s_cbranch_execz .LBB877_64
; %bb.61:
	s_movk_i32 s10, 0x7f
	v_and_b32_e32 v30, 0x7f, v32
	v_cmp_ne_u32_e32 vcc, s10, v30
	v_mov_b32_e32 v54, 0x7f80
	s_and_saveexec_b64 s[10:11], vcc
	s_cbranch_execz .LBB877_63
; %bb.62:
	v_and_b32_e32 v56, 7, v32
	v_ffbh_u32_e32 v54, v56
	v_min_u32_e32 v58, 32, v54
	v_subrev_u32_e32 v54, 28, v58
	v_lshlrev_b64 v[54:55], v54, v[32:33]
	v_lshrrev_b32_e32 v57, 3, v30
	v_sub_u32_e32 v55, 29, v58
	v_and_b32_e32 v54, 7, v54
	v_cmp_gt_u32_e32 vcc, 8, v30
	v_cndmask_b32_e32 v30, v57, v55, vcc
	v_cndmask_b32_e32 v54, v56, v54, vcc
	v_lshlrev_b32_e32 v55, 24, v32
	v_bfrev_b32_e32 v56, 60
	v_lshlrev_b32_e32 v54, 20, v54
	v_and_b32_e32 v55, 0x80000000, v55
	v_lshl_add_u32 v30, v30, 23, v56
	v_or3_b32 v30, v55, v30, v54
	v_lshrrev_b32_e32 v54, 16, v30
.LBB877_63:
	s_or_b64 exec, exec, s[10:11]
.LBB877_64:
	s_or_b64 exec, exec, s[8:9]
.LBB877_65:
	s_or_b64 exec, exec, s[2:3]
	v_lshrrev_b16_e32 v30, 8, v32
	v_cmp_ne_u16_e32 vcc, 0, v30
	s_and_saveexec_b64 s[2:3], vcc
	s_cbranch_execz .LBB877_71
; %bb.66:
	s_movk_i32 s8, 0x80
	v_cmp_ne_u16_e32 vcc, s8, v30
	v_mov_b32_e32 v31, 0xffff8000
	s_and_saveexec_b64 s[8:9], vcc
	s_cbranch_execz .LBB877_70
; %bb.67:
	s_movk_i32 s10, 0x7f
	v_and_b32_e32 v55, 0x7f, v30
	v_cmp_ne_u32_e32 vcc, s10, v55
	v_mov_b32_e32 v31, 0x7f80
	s_and_saveexec_b64 s[10:11], vcc
	s_cbranch_execz .LBB877_69
; %bb.68:
	v_and_b32_e32 v56, 7, v30
	v_ffbh_u32_e32 v31, v56
	v_min_u32_e32 v58, 32, v31
	v_subrev_u32_e32 v31, 28, v58
	v_lshlrev_b64 v[30:31], v31, v[30:31]
	v_lshrrev_b32_e32 v57, 3, v55
	v_sub_u32_e32 v31, 29, v58
	v_and_b32_e32 v30, 7, v30
	v_cmp_gt_u32_e32 vcc, 8, v55
	v_cndmask_b32_e32 v31, v57, v31, vcc
	v_cndmask_b32_e32 v30, v56, v30, vcc
	v_lshlrev_b32_e32 v55, 16, v32
	v_bfrev_b32_e32 v56, 60
	v_lshlrev_b32_e32 v30, 20, v30
	v_and_b32_e32 v55, 0x80000000, v55
	v_lshl_add_u32 v31, v31, 23, v56
	v_or3_b32 v30, v55, v31, v30
	v_lshrrev_b32_e32 v31, 16, v30
.LBB877_69:
	s_or_b64 exec, exec, s[10:11]
.LBB877_70:
	s_or_b64 exec, exec, s[8:9]
.LBB877_71:
	s_or_b64 exec, exec, s[2:3]
	s_movk_i32 s2, 0xff
	v_and_b32_sdwa v57, v32, s2 dst_sel:DWORD dst_unused:UNUSED_PAD src0_sel:WORD_1 src1_sel:DWORD
	v_lshrrev_b32_e32 v30, 16, v32
	v_cmp_ne_u16_e32 vcc, 0, v57
	v_mov_b32_e32 v55, 0
	v_mov_b32_e32 v56, 0
	s_and_saveexec_b64 s[2:3], vcc
	s_cbranch_execz .LBB877_77
; %bb.72:
	s_movk_i32 s8, 0x80
	v_cmp_ne_u16_e32 vcc, s8, v57
	v_mov_b32_e32 v56, 0xffff8000
	s_and_saveexec_b64 s[8:9], vcc
	s_cbranch_execz .LBB877_76
; %bb.73:
	v_bfe_u32 v57, v32, 16, 7
	s_movk_i32 s10, 0x7f
	v_cmp_ne_u32_e32 vcc, s10, v57
	v_mov_b32_e32 v56, 0x7f80
	s_and_saveexec_b64 s[10:11], vcc
	s_cbranch_execz .LBB877_75
; %bb.74:
	v_and_b32_e32 v56, 7, v30
	v_ffbh_u32_e32 v58, v56
	v_min_u32_e32 v61, 32, v58
	v_subrev_u32_e32 v58, 28, v61
	v_lshlrev_b64 v[58:59], v58, v[30:31]
	v_lshrrev_b32_e32 v60, 3, v57
	v_sub_u32_e32 v30, 29, v61
	v_and_b32_e32 v58, 7, v58
	v_cmp_gt_u32_e32 vcc, 8, v57
	v_mov_b32_e32 v57, 24
	v_cndmask_b32_e32 v30, v60, v30, vcc
	v_cndmask_b32_e32 v56, v56, v58, vcc
	v_lshlrev_b32_sdwa v57, v57, v32 dst_sel:DWORD dst_unused:UNUSED_PAD src0_sel:DWORD src1_sel:WORD_1
	v_bfrev_b32_e32 v58, 60
	v_lshlrev_b32_e32 v56, 20, v56
	v_and_b32_e32 v57, 0x80000000, v57
	v_lshl_add_u32 v30, v30, 23, v58
	v_or3_b32 v30, v57, v30, v56
	v_lshrrev_b32_e32 v56, 16, v30
.LBB877_75:
	s_or_b64 exec, exec, s[10:11]
.LBB877_76:
	s_or_b64 exec, exec, s[8:9]
.LBB877_77:
	s_or_b64 exec, exec, s[2:3]
	s_mov_b32 s2, 0xffffff
	v_cmp_lt_u32_e32 vcc, s2, v32
	s_and_saveexec_b64 s[2:3], vcc
	s_cbranch_execz .LBB877_83
; %bb.78:
	v_lshrrev_b32_e32 v30, 24, v32
	s_movk_i32 s8, 0x80
	v_cmp_ne_u32_e32 vcc, s8, v30
	v_mov_b32_e32 v55, 0xffff8000
	s_and_saveexec_b64 s[8:9], vcc
	s_cbranch_execz .LBB877_82
; %bb.79:
	v_bfe_u32 v32, v32, 24, 7
	s_movk_i32 s10, 0x7f
	v_cmp_ne_u32_e32 vcc, s10, v32
	v_mov_b32_e32 v55, 0x7f80
	s_and_saveexec_b64 s[10:11], vcc
	s_cbranch_execz .LBB877_81
; %bb.80:
	v_and_b32_e32 v55, 7, v30
	v_ffbh_u32_e32 v58, v55
	v_min_u32_e32 v60, 32, v58
	v_subrev_u32_e32 v58, 28, v60
	v_lshlrev_b64 v[58:59], v58, v[30:31]
	v_lshrrev_b32_e32 v57, 3, v32
	v_sub_u32_e32 v59, 29, v60
	v_and_b32_e32 v58, 7, v58
	v_cmp_gt_u32_e32 vcc, 8, v32
	v_cndmask_b32_e32 v32, v57, v59, vcc
	v_cndmask_b32_e32 v55, v55, v58, vcc
	v_lshlrev_b32_e32 v30, 24, v30
	v_bfrev_b32_e32 v57, 60
	v_lshlrev_b32_e32 v55, 20, v55
	v_and_b32_e32 v30, 0x80000000, v30
	v_lshl_add_u32 v32, v32, 23, v57
	v_or3_b32 v30, v30, v32, v55
	v_lshrrev_b32_e32 v55, 16, v30
.LBB877_81:
	s_or_b64 exec, exec, s[10:11]
.LBB877_82:
	s_or_b64 exec, exec, s[8:9]
.LBB877_83:
	s_or_b64 exec, exec, s[2:3]
	v_mov_b32_e32 v32, 0
	v_cmp_ne_u16_sdwa s[8:9], v33, v32 src0_sel:BYTE_0 src1_sel:DWORD
	v_mov_b32_e32 v57, 0
	s_and_saveexec_b64 s[2:3], s[8:9]
	s_cbranch_execz .LBB877_89
; %bb.84:
	s_movk_i32 s8, 0x80
	v_cmp_ne_u16_sdwa s[10:11], v33, s8 src0_sel:BYTE_0 src1_sel:DWORD
	v_mov_b32_e32 v57, 0xffff8000
	s_and_saveexec_b64 s[8:9], s[10:11]
	s_cbranch_execz .LBB877_88
; %bb.85:
	s_movk_i32 s10, 0x7f
	v_and_b32_e32 v30, 0x7f, v33
	v_cmp_ne_u32_e32 vcc, s10, v30
	v_mov_b32_e32 v57, 0x7f80
	s_and_saveexec_b64 s[10:11], vcc
	s_cbranch_execz .LBB877_87
; %bb.86:
	v_and_b32_e32 v57, 7, v33
	v_ffbh_u32_e32 v59, v57
	v_min_u32_e32 v61, 32, v59
	v_mov_b32_e32 v58, v33
	v_subrev_u32_e32 v59, 28, v61
	v_lshlrev_b64 v[58:59], v59, v[58:59]
	v_lshrrev_b32_e32 v60, 3, v30
	v_sub_u32_e32 v59, 29, v61
	v_and_b32_e32 v58, 7, v58
	v_cmp_gt_u32_e32 vcc, 8, v30
	v_cndmask_b32_e32 v30, v60, v59, vcc
	v_cndmask_b32_e32 v57, v57, v58, vcc
	v_lshlrev_b32_e32 v58, 24, v33
	v_bfrev_b32_e32 v59, 60
	v_lshlrev_b32_e32 v57, 20, v57
	v_and_b32_e32 v58, 0x80000000, v58
	v_lshl_add_u32 v30, v30, 23, v59
	v_or3_b32 v30, v58, v30, v57
	v_lshrrev_b32_e32 v57, 16, v30
.LBB877_87:
	s_or_b64 exec, exec, s[10:11]
.LBB877_88:
	s_or_b64 exec, exec, s[8:9]
.LBB877_89:
	s_or_b64 exec, exec, s[2:3]
	v_lshrrev_b16_e32 v30, 8, v33
	v_cmp_ne_u16_e32 vcc, 0, v30
	s_and_saveexec_b64 s[2:3], vcc
	s_cbranch_execz .LBB877_95
; %bb.90:
	s_movk_i32 s8, 0x80
	v_cmp_ne_u16_e32 vcc, s8, v30
	v_mov_b32_e32 v32, 0xffff8000
	s_and_saveexec_b64 s[8:9], vcc
	s_cbranch_execz .LBB877_94
; %bb.91:
	s_movk_i32 s10, 0x7f
	v_and_b32_e32 v58, 0x7f, v30
	v_cmp_ne_u32_e32 vcc, s10, v58
	v_mov_b32_e32 v32, 0x7f80
	s_and_saveexec_b64 s[10:11], vcc
	s_cbranch_execz .LBB877_93
; %bb.92:
	v_and_b32_e32 v32, 7, v30
	v_ffbh_u32_e32 v60, v32
	v_min_u32_e32 v62, 32, v60
	v_subrev_u32_e32 v60, 28, v62
	v_lshlrev_b64 v[60:61], v60, v[30:31]
	v_lshrrev_b32_e32 v59, 3, v58
	v_sub_u32_e32 v30, 29, v62
	v_and_b32_e32 v60, 7, v60
	v_cmp_gt_u32_e32 vcc, 8, v58
	v_cndmask_b32_e32 v30, v59, v30, vcc
	v_cndmask_b32_e32 v32, v32, v60, vcc
	v_lshlrev_b32_e32 v58, 16, v33
	v_bfrev_b32_e32 v59, 60
	v_lshlrev_b32_e32 v32, 20, v32
	v_and_b32_e32 v58, 0x80000000, v58
	v_lshl_add_u32 v30, v30, 23, v59
	v_or3_b32 v30, v58, v30, v32
	v_lshrrev_b32_e32 v32, 16, v30
.LBB877_93:
	s_or_b64 exec, exec, s[10:11]
.LBB877_94:
	s_or_b64 exec, exec, s[8:9]
.LBB877_95:
	s_or_b64 exec, exec, s[2:3]
	s_movk_i32 s2, 0xff
	v_and_b32_sdwa v60, v33, s2 dst_sel:DWORD dst_unused:UNUSED_PAD src0_sel:WORD_1 src1_sel:DWORD
	v_lshrrev_b32_e32 v30, 16, v33
	v_cmp_ne_u16_e32 vcc, 0, v60
	v_mov_b32_e32 v58, 0
	v_mov_b32_e32 v59, 0
	s_and_saveexec_b64 s[2:3], vcc
	s_cbranch_execz .LBB877_101
; %bb.96:
	s_movk_i32 s8, 0x80
	v_cmp_ne_u16_e32 vcc, s8, v60
	v_mov_b32_e32 v59, 0xffff8000
	s_and_saveexec_b64 s[8:9], vcc
	s_cbranch_execz .LBB877_100
; %bb.97:
	v_bfe_u32 v60, v33, 16, 7
	s_movk_i32 s10, 0x7f
	v_cmp_ne_u32_e32 vcc, s10, v60
	v_mov_b32_e32 v59, 0x7f80
	s_and_saveexec_b64 s[10:11], vcc
	s_cbranch_execz .LBB877_99
; %bb.98:
	v_and_b32_e32 v59, 7, v30
	v_ffbh_u32_e32 v62, v59
	v_min_u32_e32 v64, 32, v62
	v_subrev_u32_e32 v62, 28, v64
	v_lshlrev_b64 v[62:63], v62, v[30:31]
	v_lshrrev_b32_e32 v61, 3, v60
	v_sub_u32_e32 v30, 29, v64
	v_and_b32_e32 v62, 7, v62
	v_cmp_gt_u32_e32 vcc, 8, v60
	v_mov_b32_e32 v60, 24
	v_cndmask_b32_e32 v30, v61, v30, vcc
	v_cndmask_b32_e32 v59, v59, v62, vcc
	v_lshlrev_b32_sdwa v60, v60, v33 dst_sel:DWORD dst_unused:UNUSED_PAD src0_sel:DWORD src1_sel:WORD_1
	v_bfrev_b32_e32 v61, 60
	v_lshlrev_b32_e32 v59, 20, v59
	v_and_b32_e32 v60, 0x80000000, v60
	v_lshl_add_u32 v30, v30, 23, v61
	v_or3_b32 v30, v60, v30, v59
	v_lshrrev_b32_e32 v59, 16, v30
.LBB877_99:
	s_or_b64 exec, exec, s[10:11]
.LBB877_100:
	s_or_b64 exec, exec, s[8:9]
.LBB877_101:
	s_or_b64 exec, exec, s[2:3]
	s_mov_b32 s2, 0xffffff
	v_cmp_lt_u32_e32 vcc, s2, v33
	s_and_saveexec_b64 s[2:3], vcc
	s_cbranch_execz .LBB877_107
; %bb.102:
	v_lshrrev_b32_e32 v30, 24, v33
	s_movk_i32 s8, 0x80
	v_cmp_ne_u32_e32 vcc, s8, v30
	v_mov_b32_e32 v58, 0xffff8000
	s_and_saveexec_b64 s[8:9], vcc
	s_cbranch_execz .LBB877_106
; %bb.103:
	v_bfe_u32 v33, v33, 24, 7
	s_movk_i32 s10, 0x7f
	v_cmp_ne_u32_e32 vcc, s10, v33
	v_mov_b32_e32 v58, 0x7f80
	s_and_saveexec_b64 s[10:11], vcc
	s_cbranch_execz .LBB877_105
; %bb.104:
	v_and_b32_e32 v58, 7, v30
	v_ffbh_u32_e32 v60, v58
	v_min_u32_e32 v63, 32, v60
	v_subrev_u32_e32 v60, 28, v63
	v_lshlrev_b64 v[60:61], v60, v[30:31]
	v_lshrrev_b32_e32 v62, 3, v33
	v_sub_u32_e32 v61, 29, v63
	v_and_b32_e32 v60, 7, v60
	v_cmp_gt_u32_e32 vcc, 8, v33
	v_cndmask_b32_e32 v33, v62, v61, vcc
	v_cndmask_b32_e32 v58, v58, v60, vcc
	v_lshlrev_b32_e32 v30, 24, v30
	v_bfrev_b32_e32 v60, 60
	v_lshlrev_b32_e32 v58, 20, v58
	v_and_b32_e32 v30, 0x80000000, v30
	v_lshl_add_u32 v33, v33, 23, v60
	v_or3_b32 v30, v30, v33, v58
	v_lshrrev_b32_e32 v58, 16, v30
.LBB877_105:
	s_or_b64 exec, exec, s[10:11]
.LBB877_106:
	s_or_b64 exec, exec, s[8:9]
.LBB877_107:
	s_or_b64 exec, exec, s[2:3]
	s_mov_b32 s2, 0x5040100
	v_perm_b32 v55, v55, v56, s2
	v_perm_b32 v54, v31, v54, s2
	v_perm_b32 v31, v58, v59, s2
	v_perm_b32 v30, v32, v57, s2
	v_mfma_f32_16x16x16bf16_1k v[60:63], v[54:55], v[18:19], v[42:45]
	s_nop 6
	v_mov_b32_e32 v43, 0
	s_waitcnt vmcnt(7)
	v_cmp_ne_u16_sdwa s[8:9], v38, v43 src0_sel:BYTE_0 src1_sel:DWORD
	v_mfma_f32_16x16x16bf16_1k v[30:33], v[30:31], v[20:21], v[60:63]
	v_mov_b32_e32 v44, 0
	s_and_saveexec_b64 s[2:3], s[8:9]
	s_cbranch_execz .LBB877_113
; %bb.108:
	s_movk_i32 s8, 0x80
	v_cmp_ne_u16_sdwa s[10:11], v38, s8 src0_sel:BYTE_0 src1_sel:DWORD
	v_mov_b32_e32 v44, 0xffff8000
	s_and_saveexec_b64 s[8:9], s[10:11]
	s_cbranch_execz .LBB877_112
; %bb.109:
	s_movk_i32 s10, 0x7f
	v_and_b32_e32 v42, 0x7f, v38
	v_cmp_ne_u32_e32 vcc, s10, v42
	v_mov_b32_e32 v44, 0x7f80
	s_and_saveexec_b64 s[10:11], vcc
	s_cbranch_execz .LBB877_111
; %bb.110:
	v_and_b32_e32 v54, 7, v38
	v_ffbh_u32_e32 v44, v54
	v_min_u32_e32 v56, 32, v44
	v_subrev_u32_e32 v44, 28, v56
	v_lshlrev_b64 v[44:45], v44, v[38:39]
	v_lshrrev_b32_e32 v55, 3, v42
	v_sub_u32_e32 v45, 29, v56
	v_and_b32_e32 v44, 7, v44
	v_cmp_gt_u32_e32 vcc, 8, v42
	v_cndmask_b32_e32 v42, v55, v45, vcc
	v_cndmask_b32_e32 v44, v54, v44, vcc
	v_lshlrev_b32_e32 v45, 24, v38
	v_bfrev_b32_e32 v54, 60
	v_lshlrev_b32_e32 v44, 20, v44
	v_and_b32_e32 v45, 0x80000000, v45
	v_lshl_add_u32 v42, v42, 23, v54
	v_or3_b32 v42, v45, v42, v44
	v_lshrrev_b32_e32 v44, 16, v42
.LBB877_111:
	s_or_b64 exec, exec, s[10:11]
.LBB877_112:
	s_or_b64 exec, exec, s[8:9]
.LBB877_113:
	s_or_b64 exec, exec, s[2:3]
	v_lshrrev_b16_e32 v42, 8, v38
	v_cmp_ne_u16_e32 vcc, 0, v42
	s_and_saveexec_b64 s[2:3], vcc
	s_cbranch_execz .LBB877_119
; %bb.114:
	s_movk_i32 s8, 0x80
	v_cmp_ne_u16_e32 vcc, s8, v42
	v_mov_b32_e32 v43, 0xffff8000
	s_and_saveexec_b64 s[8:9], vcc
	s_cbranch_execz .LBB877_118
; %bb.115:
	s_movk_i32 s10, 0x7f
	v_and_b32_e32 v45, 0x7f, v42
	v_cmp_ne_u32_e32 vcc, s10, v45
	v_mov_b32_e32 v43, 0x7f80
	s_and_saveexec_b64 s[10:11], vcc
	s_cbranch_execz .LBB877_117
; %bb.116:
	v_and_b32_e32 v54, 7, v42
	v_ffbh_u32_e32 v43, v54
	v_min_u32_e32 v56, 32, v43
	v_subrev_u32_e32 v43, 28, v56
	v_lshlrev_b64 v[42:43], v43, v[42:43]
	v_lshrrev_b32_e32 v55, 3, v45
	v_sub_u32_e32 v43, 29, v56
	v_and_b32_e32 v42, 7, v42
	v_cmp_gt_u32_e32 vcc, 8, v45
	v_cndmask_b32_e32 v43, v55, v43, vcc
	v_cndmask_b32_e32 v42, v54, v42, vcc
	v_lshlrev_b32_e32 v45, 16, v38
	v_bfrev_b32_e32 v54, 60
	v_lshlrev_b32_e32 v42, 20, v42
	v_and_b32_e32 v45, 0x80000000, v45
	v_lshl_add_u32 v43, v43, 23, v54
	v_or3_b32 v42, v45, v43, v42
	v_lshrrev_b32_e32 v43, 16, v42
.LBB877_117:
	s_or_b64 exec, exec, s[10:11]
.LBB877_118:
	s_or_b64 exec, exec, s[8:9]
.LBB877_119:
	s_or_b64 exec, exec, s[2:3]
	s_movk_i32 s2, 0xff
	v_and_b32_sdwa v55, v38, s2 dst_sel:DWORD dst_unused:UNUSED_PAD src0_sel:WORD_1 src1_sel:DWORD
	v_lshrrev_b32_e32 v42, 16, v38
	v_cmp_ne_u16_e32 vcc, 0, v55
	v_mov_b32_e32 v45, 0
	v_mov_b32_e32 v54, 0
	s_and_saveexec_b64 s[2:3], vcc
	s_cbranch_execz .LBB877_125
; %bb.120:
	s_movk_i32 s8, 0x80
	v_cmp_ne_u16_e32 vcc, s8, v55
	v_mov_b32_e32 v54, 0xffff8000
	s_and_saveexec_b64 s[8:9], vcc
	s_cbranch_execz .LBB877_124
; %bb.121:
	v_bfe_u32 v55, v38, 16, 7
	s_movk_i32 s10, 0x7f
	v_cmp_ne_u32_e32 vcc, s10, v55
	v_mov_b32_e32 v54, 0x7f80
	s_and_saveexec_b64 s[10:11], vcc
	s_cbranch_execz .LBB877_123
; %bb.122:
	v_and_b32_e32 v54, 7, v42
	v_ffbh_u32_e32 v56, v54
	v_min_u32_e32 v59, 32, v56
	v_subrev_u32_e32 v56, 28, v59
	v_lshlrev_b64 v[56:57], v56, v[42:43]
	v_lshrrev_b32_e32 v58, 3, v55
	v_sub_u32_e32 v42, 29, v59
	v_and_b32_e32 v56, 7, v56
	v_cmp_gt_u32_e32 vcc, 8, v55
	v_mov_b32_e32 v55, 24
	v_cndmask_b32_e32 v42, v58, v42, vcc
	v_cndmask_b32_e32 v54, v54, v56, vcc
	v_lshlrev_b32_sdwa v55, v55, v38 dst_sel:DWORD dst_unused:UNUSED_PAD src0_sel:DWORD src1_sel:WORD_1
	v_bfrev_b32_e32 v56, 60
	v_lshlrev_b32_e32 v54, 20, v54
	v_and_b32_e32 v55, 0x80000000, v55
	v_lshl_add_u32 v42, v42, 23, v56
	v_or3_b32 v42, v55, v42, v54
	v_lshrrev_b32_e32 v54, 16, v42
.LBB877_123:
	s_or_b64 exec, exec, s[10:11]
.LBB877_124:
	s_or_b64 exec, exec, s[8:9]
.LBB877_125:
	s_or_b64 exec, exec, s[2:3]
	s_mov_b32 s2, 0xffffff
	v_cmp_lt_u32_e32 vcc, s2, v38
	s_and_saveexec_b64 s[2:3], vcc
	s_cbranch_execz .LBB877_131
; %bb.126:
	v_lshrrev_b32_e32 v42, 24, v38
	s_movk_i32 s8, 0x80
	v_cmp_ne_u32_e32 vcc, s8, v42
	v_mov_b32_e32 v45, 0xffff8000
	s_and_saveexec_b64 s[8:9], vcc
	s_cbranch_execz .LBB877_130
; %bb.127:
	v_bfe_u32 v38, v38, 24, 7
	s_movk_i32 s10, 0x7f
	v_cmp_ne_u32_e32 vcc, s10, v38
	v_mov_b32_e32 v45, 0x7f80
	s_and_saveexec_b64 s[10:11], vcc
	s_cbranch_execz .LBB877_129
; %bb.128:
	v_and_b32_e32 v45, 7, v42
	v_ffbh_u32_e32 v56, v45
	v_min_u32_e32 v58, 32, v56
	v_subrev_u32_e32 v56, 28, v58
	v_lshlrev_b64 v[56:57], v56, v[42:43]
	v_lshrrev_b32_e32 v55, 3, v38
	v_sub_u32_e32 v57, 29, v58
	v_and_b32_e32 v56, 7, v56
	v_cmp_gt_u32_e32 vcc, 8, v38
	v_cndmask_b32_e32 v38, v55, v57, vcc
	v_cndmask_b32_e32 v45, v45, v56, vcc
	v_lshlrev_b32_e32 v42, 24, v42
	v_bfrev_b32_e32 v55, 60
	v_lshlrev_b32_e32 v45, 20, v45
	v_and_b32_e32 v42, 0x80000000, v42
	v_lshl_add_u32 v38, v38, 23, v55
	v_or3_b32 v38, v42, v38, v45
	v_lshrrev_b32_e32 v45, 16, v38
.LBB877_129:
	s_or_b64 exec, exec, s[10:11]
.LBB877_130:
	s_or_b64 exec, exec, s[8:9]
.LBB877_131:
	s_or_b64 exec, exec, s[2:3]
	v_mov_b32_e32 v42, 0
	v_cmp_ne_u16_sdwa s[8:9], v39, v42 src0_sel:BYTE_0 src1_sel:DWORD
	v_mov_b32_e32 v55, 0
	s_and_saveexec_b64 s[2:3], s[8:9]
	s_cbranch_execz .LBB877_137
; %bb.132:
	s_movk_i32 s8, 0x80
	v_cmp_ne_u16_sdwa s[10:11], v39, s8 src0_sel:BYTE_0 src1_sel:DWORD
	v_mov_b32_e32 v55, 0xffff8000
	s_and_saveexec_b64 s[8:9], s[10:11]
	s_cbranch_execz .LBB877_136
; %bb.133:
	s_movk_i32 s10, 0x7f
	v_and_b32_e32 v38, 0x7f, v39
	v_cmp_ne_u32_e32 vcc, s10, v38
	v_mov_b32_e32 v55, 0x7f80
	s_and_saveexec_b64 s[10:11], vcc
	s_cbranch_execz .LBB877_135
; %bb.134:
	v_and_b32_e32 v55, 7, v39
	v_ffbh_u32_e32 v57, v55
	v_min_u32_e32 v59, 32, v57
	v_mov_b32_e32 v56, v39
	v_subrev_u32_e32 v57, 28, v59
	v_lshlrev_b64 v[56:57], v57, v[56:57]
	v_lshrrev_b32_e32 v58, 3, v38
	v_sub_u32_e32 v57, 29, v59
	v_and_b32_e32 v56, 7, v56
	v_cmp_gt_u32_e32 vcc, 8, v38
	v_cndmask_b32_e32 v38, v58, v57, vcc
	v_cndmask_b32_e32 v55, v55, v56, vcc
	v_lshlrev_b32_e32 v56, 24, v39
	v_bfrev_b32_e32 v57, 60
	v_lshlrev_b32_e32 v55, 20, v55
	v_and_b32_e32 v56, 0x80000000, v56
	v_lshl_add_u32 v38, v38, 23, v57
	v_or3_b32 v38, v56, v38, v55
	v_lshrrev_b32_e32 v55, 16, v38
.LBB877_135:
	s_or_b64 exec, exec, s[10:11]
.LBB877_136:
	s_or_b64 exec, exec, s[8:9]
.LBB877_137:
	s_or_b64 exec, exec, s[2:3]
	v_lshrrev_b16_e32 v38, 8, v39
	v_cmp_ne_u16_e32 vcc, 0, v38
	s_and_saveexec_b64 s[2:3], vcc
	s_cbranch_execz .LBB877_143
; %bb.138:
	s_movk_i32 s8, 0x80
	v_cmp_ne_u16_e32 vcc, s8, v38
	v_mov_b32_e32 v42, 0xffff8000
	s_and_saveexec_b64 s[8:9], vcc
	s_cbranch_execz .LBB877_142
; %bb.139:
	s_movk_i32 s10, 0x7f
	v_and_b32_e32 v56, 0x7f, v38
	v_cmp_ne_u32_e32 vcc, s10, v56
	v_mov_b32_e32 v42, 0x7f80
	s_and_saveexec_b64 s[10:11], vcc
	s_cbranch_execz .LBB877_141
; %bb.140:
	v_and_b32_e32 v42, 7, v38
	v_ffbh_u32_e32 v58, v42
	v_min_u32_e32 v60, 32, v58
	v_subrev_u32_e32 v58, 28, v60
	v_lshlrev_b64 v[58:59], v58, v[38:39]
	v_lshrrev_b32_e32 v57, 3, v56
	v_sub_u32_e32 v38, 29, v60
	v_and_b32_e32 v58, 7, v58
	v_cmp_gt_u32_e32 vcc, 8, v56
	v_cndmask_b32_e32 v38, v57, v38, vcc
	v_cndmask_b32_e32 v42, v42, v58, vcc
	v_lshlrev_b32_e32 v56, 16, v39
	v_bfrev_b32_e32 v57, 60
	v_lshlrev_b32_e32 v42, 20, v42
	v_and_b32_e32 v56, 0x80000000, v56
	v_lshl_add_u32 v38, v38, 23, v57
	v_or3_b32 v38, v56, v38, v42
	v_lshrrev_b32_e32 v42, 16, v38
.LBB877_141:
	s_or_b64 exec, exec, s[10:11]
.LBB877_142:
	s_or_b64 exec, exec, s[8:9]
.LBB877_143:
	s_or_b64 exec, exec, s[2:3]
	s_movk_i32 s2, 0xff
	v_and_b32_sdwa v58, v39, s2 dst_sel:DWORD dst_unused:UNUSED_PAD src0_sel:WORD_1 src1_sel:DWORD
	v_lshrrev_b32_e32 v38, 16, v39
	v_cmp_ne_u16_e32 vcc, 0, v58
	v_mov_b32_e32 v56, 0
	v_mov_b32_e32 v57, 0
	s_and_saveexec_b64 s[2:3], vcc
	s_cbranch_execz .LBB877_149
; %bb.144:
	s_movk_i32 s8, 0x80
	v_cmp_ne_u16_e32 vcc, s8, v58
	v_mov_b32_e32 v57, 0xffff8000
	s_and_saveexec_b64 s[8:9], vcc
	s_cbranch_execz .LBB877_148
; %bb.145:
	v_bfe_u32 v58, v39, 16, 7
	s_movk_i32 s10, 0x7f
	v_cmp_ne_u32_e32 vcc, s10, v58
	v_mov_b32_e32 v57, 0x7f80
	s_and_saveexec_b64 s[10:11], vcc
	s_cbranch_execz .LBB877_147
; %bb.146:
	v_and_b32_e32 v57, 7, v38
	v_ffbh_u32_e32 v60, v57
	v_min_u32_e32 v62, 32, v60
	v_subrev_u32_e32 v60, 28, v62
	v_lshlrev_b64 v[60:61], v60, v[38:39]
	v_lshrrev_b32_e32 v59, 3, v58
	v_sub_u32_e32 v38, 29, v62
	v_and_b32_e32 v60, 7, v60
	v_cmp_gt_u32_e32 vcc, 8, v58
	v_mov_b32_e32 v58, 24
	v_cndmask_b32_e32 v38, v59, v38, vcc
	v_cndmask_b32_e32 v57, v57, v60, vcc
	v_lshlrev_b32_sdwa v58, v58, v39 dst_sel:DWORD dst_unused:UNUSED_PAD src0_sel:DWORD src1_sel:WORD_1
	v_bfrev_b32_e32 v59, 60
	v_lshlrev_b32_e32 v57, 20, v57
	v_and_b32_e32 v58, 0x80000000, v58
	v_lshl_add_u32 v38, v38, 23, v59
	v_or3_b32 v38, v58, v38, v57
	v_lshrrev_b32_e32 v57, 16, v38
.LBB877_147:
	s_or_b64 exec, exec, s[10:11]
.LBB877_148:
	s_or_b64 exec, exec, s[8:9]
.LBB877_149:
	s_or_b64 exec, exec, s[2:3]
	s_mov_b32 s2, 0xffffff
	v_cmp_lt_u32_e32 vcc, s2, v39
	s_and_saveexec_b64 s[2:3], vcc
	s_cbranch_execz .LBB877_155
; %bb.150:
	v_lshrrev_b32_e32 v38, 24, v39
	s_movk_i32 s8, 0x80
	v_cmp_ne_u32_e32 vcc, s8, v38
	v_mov_b32_e32 v56, 0xffff8000
	s_and_saveexec_b64 s[8:9], vcc
	s_cbranch_execz .LBB877_154
; %bb.151:
	v_bfe_u32 v39, v39, 24, 7
	s_movk_i32 s10, 0x7f
	v_cmp_ne_u32_e32 vcc, s10, v39
	v_mov_b32_e32 v56, 0x7f80
	s_and_saveexec_b64 s[10:11], vcc
	s_cbranch_execz .LBB877_153
; %bb.152:
	v_and_b32_e32 v56, 7, v38
	v_ffbh_u32_e32 v58, v56
	v_min_u32_e32 v61, 32, v58
	v_subrev_u32_e32 v58, 28, v61
	v_lshlrev_b64 v[58:59], v58, v[38:39]
	v_lshrrev_b32_e32 v60, 3, v39
	v_sub_u32_e32 v59, 29, v61
	v_and_b32_e32 v58, 7, v58
	v_cmp_gt_u32_e32 vcc, 8, v39
	v_cndmask_b32_e32 v39, v60, v59, vcc
	v_cndmask_b32_e32 v56, v56, v58, vcc
	v_lshlrev_b32_e32 v38, 24, v38
	v_bfrev_b32_e32 v58, 60
	v_lshlrev_b32_e32 v56, 20, v56
	v_and_b32_e32 v38, 0x80000000, v38
	v_lshl_add_u32 v39, v39, 23, v58
	v_or3_b32 v38, v38, v39, v56
	v_lshrrev_b32_e32 v56, 16, v38
.LBB877_153:
	s_or_b64 exec, exec, s[10:11]
.LBB877_154:
	s_or_b64 exec, exec, s[8:9]
.LBB877_155:
	s_or_b64 exec, exec, s[2:3]
	s_mov_b32 s2, 0x5040100
	v_perm_b32 v39, v45, v54, s2
	v_perm_b32 v38, v43, v44, s2
	;; [unrolled: 1-line block ×4, first 2 shown]
	v_mov_b32_e32 v54, 0
	v_mfma_f32_16x16x16bf16_1k v[58:61], v[38:39], v[26:27], 0
	v_mov_b32_e32 v39, 0
	v_cmp_ne_u16_sdwa s[8:9], v40, v39 src0_sel:BYTE_0 src1_sel:DWORD
	v_mfma_f32_16x16x16bf16_1k v[42:45], v[42:43], v[28:29], v[58:61]
	s_and_saveexec_b64 s[2:3], s[8:9]
	s_cbranch_execz .LBB877_161
; %bb.156:
	s_movk_i32 s8, 0x80
	v_cmp_ne_u16_sdwa s[10:11], v40, s8 src0_sel:BYTE_0 src1_sel:DWORD
	v_mov_b32_e32 v54, 0xffff8000
	s_and_saveexec_b64 s[8:9], s[10:11]
	s_cbranch_execz .LBB877_160
; %bb.157:
	s_movk_i32 s10, 0x7f
	v_and_b32_e32 v38, 0x7f, v40
	v_cmp_ne_u32_e32 vcc, s10, v38
	v_mov_b32_e32 v54, 0x7f80
	s_and_saveexec_b64 s[10:11], vcc
	s_cbranch_execz .LBB877_159
; %bb.158:
	v_and_b32_e32 v56, 7, v40
	v_ffbh_u32_e32 v54, v56
	v_min_u32_e32 v58, 32, v54
	v_subrev_u32_e32 v54, 28, v58
	v_lshlrev_b64 v[54:55], v54, v[40:41]
	v_lshrrev_b32_e32 v57, 3, v38
	v_sub_u32_e32 v55, 29, v58
	v_and_b32_e32 v54, 7, v54
	v_cmp_gt_u32_e32 vcc, 8, v38
	v_cndmask_b32_e32 v38, v57, v55, vcc
	v_cndmask_b32_e32 v54, v56, v54, vcc
	v_lshlrev_b32_e32 v55, 24, v40
	v_bfrev_b32_e32 v56, 60
	v_lshlrev_b32_e32 v54, 20, v54
	v_and_b32_e32 v55, 0x80000000, v55
	v_lshl_add_u32 v38, v38, 23, v56
	v_or3_b32 v38, v55, v38, v54
	v_lshrrev_b32_e32 v54, 16, v38
.LBB877_159:
	s_or_b64 exec, exec, s[10:11]
.LBB877_160:
	s_or_b64 exec, exec, s[8:9]
.LBB877_161:
	s_or_b64 exec, exec, s[2:3]
	v_lshrrev_b16_e32 v38, 8, v40
	v_cmp_ne_u16_e32 vcc, 0, v38
	s_and_saveexec_b64 s[2:3], vcc
	s_cbranch_execz .LBB877_167
; %bb.162:
	s_movk_i32 s8, 0x80
	v_cmp_ne_u16_e32 vcc, s8, v38
	v_mov_b32_e32 v39, 0xffff8000
	s_and_saveexec_b64 s[8:9], vcc
	s_cbranch_execz .LBB877_166
; %bb.163:
	s_movk_i32 s10, 0x7f
	v_and_b32_e32 v55, 0x7f, v38
	v_cmp_ne_u32_e32 vcc, s10, v55
	v_mov_b32_e32 v39, 0x7f80
	s_and_saveexec_b64 s[10:11], vcc
	s_cbranch_execz .LBB877_165
; %bb.164:
	v_and_b32_e32 v56, 7, v38
	v_ffbh_u32_e32 v39, v56
	v_min_u32_e32 v58, 32, v39
	v_subrev_u32_e32 v39, 28, v58
	v_lshlrev_b64 v[38:39], v39, v[38:39]
	v_lshrrev_b32_e32 v57, 3, v55
	v_sub_u32_e32 v39, 29, v58
	v_and_b32_e32 v38, 7, v38
	v_cmp_gt_u32_e32 vcc, 8, v55
	v_cndmask_b32_e32 v39, v57, v39, vcc
	v_cndmask_b32_e32 v38, v56, v38, vcc
	v_lshlrev_b32_e32 v55, 16, v40
	v_bfrev_b32_e32 v56, 60
	v_lshlrev_b32_e32 v38, 20, v38
	v_and_b32_e32 v55, 0x80000000, v55
	v_lshl_add_u32 v39, v39, 23, v56
	v_or3_b32 v38, v55, v39, v38
	v_lshrrev_b32_e32 v39, 16, v38
.LBB877_165:
	s_or_b64 exec, exec, s[10:11]
.LBB877_166:
	s_or_b64 exec, exec, s[8:9]
.LBB877_167:
	s_or_b64 exec, exec, s[2:3]
	s_movk_i32 s2, 0xff
	v_and_b32_sdwa v57, v40, s2 dst_sel:DWORD dst_unused:UNUSED_PAD src0_sel:WORD_1 src1_sel:DWORD
	v_lshrrev_b32_e32 v38, 16, v40
	v_cmp_ne_u16_e32 vcc, 0, v57
	v_mov_b32_e32 v55, 0
	v_mov_b32_e32 v56, 0
	s_and_saveexec_b64 s[2:3], vcc
	s_cbranch_execz .LBB877_173
; %bb.168:
	s_movk_i32 s8, 0x80
	v_cmp_ne_u16_e32 vcc, s8, v57
	v_mov_b32_e32 v56, 0xffff8000
	s_and_saveexec_b64 s[8:9], vcc
	s_cbranch_execz .LBB877_172
; %bb.169:
	v_bfe_u32 v57, v40, 16, 7
	s_movk_i32 s10, 0x7f
	v_cmp_ne_u32_e32 vcc, s10, v57
	v_mov_b32_e32 v56, 0x7f80
	s_and_saveexec_b64 s[10:11], vcc
	s_cbranch_execz .LBB877_171
; %bb.170:
	v_and_b32_e32 v56, 7, v38
	v_ffbh_u32_e32 v58, v56
	v_min_u32_e32 v61, 32, v58
	v_subrev_u32_e32 v58, 28, v61
	v_lshlrev_b64 v[58:59], v58, v[38:39]
	v_lshrrev_b32_e32 v60, 3, v57
	v_sub_u32_e32 v38, 29, v61
	v_and_b32_e32 v58, 7, v58
	v_cmp_gt_u32_e32 vcc, 8, v57
	v_mov_b32_e32 v57, 24
	v_cndmask_b32_e32 v38, v60, v38, vcc
	v_cndmask_b32_e32 v56, v56, v58, vcc
	v_lshlrev_b32_sdwa v57, v57, v40 dst_sel:DWORD dst_unused:UNUSED_PAD src0_sel:DWORD src1_sel:WORD_1
	v_bfrev_b32_e32 v58, 60
	v_lshlrev_b32_e32 v56, 20, v56
	v_and_b32_e32 v57, 0x80000000, v57
	v_lshl_add_u32 v38, v38, 23, v58
	v_or3_b32 v38, v57, v38, v56
	v_lshrrev_b32_e32 v56, 16, v38
.LBB877_171:
	s_or_b64 exec, exec, s[10:11]
.LBB877_172:
	s_or_b64 exec, exec, s[8:9]
.LBB877_173:
	s_or_b64 exec, exec, s[2:3]
	s_mov_b32 s2, 0xffffff
	v_cmp_lt_u32_e32 vcc, s2, v40
	s_and_saveexec_b64 s[2:3], vcc
	s_cbranch_execz .LBB877_179
; %bb.174:
	v_lshrrev_b32_e32 v38, 24, v40
	s_movk_i32 s8, 0x80
	v_cmp_ne_u32_e32 vcc, s8, v38
	v_mov_b32_e32 v55, 0xffff8000
	s_and_saveexec_b64 s[8:9], vcc
	s_cbranch_execz .LBB877_178
; %bb.175:
	v_bfe_u32 v40, v40, 24, 7
	s_movk_i32 s10, 0x7f
	v_cmp_ne_u32_e32 vcc, s10, v40
	v_mov_b32_e32 v55, 0x7f80
	s_and_saveexec_b64 s[10:11], vcc
	s_cbranch_execz .LBB877_177
; %bb.176:
	v_and_b32_e32 v55, 7, v38
	v_ffbh_u32_e32 v58, v55
	v_min_u32_e32 v60, 32, v58
	v_subrev_u32_e32 v58, 28, v60
	v_lshlrev_b64 v[58:59], v58, v[38:39]
	v_lshrrev_b32_e32 v57, 3, v40
	v_sub_u32_e32 v59, 29, v60
	v_and_b32_e32 v58, 7, v58
	v_cmp_gt_u32_e32 vcc, 8, v40
	v_cndmask_b32_e32 v40, v57, v59, vcc
	v_cndmask_b32_e32 v55, v55, v58, vcc
	v_lshlrev_b32_e32 v38, 24, v38
	v_bfrev_b32_e32 v57, 60
	v_lshlrev_b32_e32 v55, 20, v55
	v_and_b32_e32 v38, 0x80000000, v38
	v_lshl_add_u32 v40, v40, 23, v57
	v_or3_b32 v38, v38, v40, v55
	v_lshrrev_b32_e32 v55, 16, v38
.LBB877_177:
	s_or_b64 exec, exec, s[10:11]
.LBB877_178:
	s_or_b64 exec, exec, s[8:9]
.LBB877_179:
	s_or_b64 exec, exec, s[2:3]
	v_mov_b32_e32 v40, 0
	v_cmp_ne_u16_sdwa s[8:9], v41, v40 src0_sel:BYTE_0 src1_sel:DWORD
	v_mov_b32_e32 v57, 0
	s_and_saveexec_b64 s[2:3], s[8:9]
	s_cbranch_execz .LBB877_185
; %bb.180:
	s_movk_i32 s8, 0x80
	v_cmp_ne_u16_sdwa s[10:11], v41, s8 src0_sel:BYTE_0 src1_sel:DWORD
	v_mov_b32_e32 v57, 0xffff8000
	s_and_saveexec_b64 s[8:9], s[10:11]
	s_cbranch_execz .LBB877_184
; %bb.181:
	s_movk_i32 s10, 0x7f
	v_and_b32_e32 v38, 0x7f, v41
	v_cmp_ne_u32_e32 vcc, s10, v38
	v_mov_b32_e32 v57, 0x7f80
	s_and_saveexec_b64 s[10:11], vcc
	s_cbranch_execz .LBB877_183
; %bb.182:
	v_and_b32_e32 v57, 7, v41
	v_ffbh_u32_e32 v59, v57
	v_min_u32_e32 v61, 32, v59
	v_mov_b32_e32 v58, v41
	v_subrev_u32_e32 v59, 28, v61
	v_lshlrev_b64 v[58:59], v59, v[58:59]
	v_lshrrev_b32_e32 v60, 3, v38
	v_sub_u32_e32 v59, 29, v61
	v_and_b32_e32 v58, 7, v58
	v_cmp_gt_u32_e32 vcc, 8, v38
	v_cndmask_b32_e32 v38, v60, v59, vcc
	v_cndmask_b32_e32 v57, v57, v58, vcc
	v_lshlrev_b32_e32 v58, 24, v41
	v_bfrev_b32_e32 v59, 60
	v_lshlrev_b32_e32 v57, 20, v57
	v_and_b32_e32 v58, 0x80000000, v58
	v_lshl_add_u32 v38, v38, 23, v59
	v_or3_b32 v38, v58, v38, v57
	v_lshrrev_b32_e32 v57, 16, v38
.LBB877_183:
	s_or_b64 exec, exec, s[10:11]
.LBB877_184:
	s_or_b64 exec, exec, s[8:9]
.LBB877_185:
	s_or_b64 exec, exec, s[2:3]
	v_lshrrev_b16_e32 v38, 8, v41
	v_cmp_ne_u16_e32 vcc, 0, v38
	s_and_saveexec_b64 s[2:3], vcc
	s_cbranch_execz .LBB877_191
; %bb.186:
	s_movk_i32 s8, 0x80
	v_cmp_ne_u16_e32 vcc, s8, v38
	v_mov_b32_e32 v40, 0xffff8000
	s_and_saveexec_b64 s[8:9], vcc
	s_cbranch_execz .LBB877_190
; %bb.187:
	s_movk_i32 s10, 0x7f
	v_and_b32_e32 v58, 0x7f, v38
	v_cmp_ne_u32_e32 vcc, s10, v58
	v_mov_b32_e32 v40, 0x7f80
	s_and_saveexec_b64 s[10:11], vcc
	s_cbranch_execz .LBB877_189
; %bb.188:
	v_and_b32_e32 v40, 7, v38
	v_ffbh_u32_e32 v60, v40
	v_min_u32_e32 v62, 32, v60
	v_subrev_u32_e32 v60, 28, v62
	v_lshlrev_b64 v[60:61], v60, v[38:39]
	v_lshrrev_b32_e32 v59, 3, v58
	v_sub_u32_e32 v38, 29, v62
	v_and_b32_e32 v60, 7, v60
	v_cmp_gt_u32_e32 vcc, 8, v58
	v_cndmask_b32_e32 v38, v59, v38, vcc
	v_cndmask_b32_e32 v40, v40, v60, vcc
	v_lshlrev_b32_e32 v58, 16, v41
	v_bfrev_b32_e32 v59, 60
	v_lshlrev_b32_e32 v40, 20, v40
	v_and_b32_e32 v58, 0x80000000, v58
	v_lshl_add_u32 v38, v38, 23, v59
	v_or3_b32 v38, v58, v38, v40
	v_lshrrev_b32_e32 v40, 16, v38
.LBB877_189:
	s_or_b64 exec, exec, s[10:11]
.LBB877_190:
	s_or_b64 exec, exec, s[8:9]
.LBB877_191:
	s_or_b64 exec, exec, s[2:3]
	s_movk_i32 s2, 0xff
	v_and_b32_sdwa v60, v41, s2 dst_sel:DWORD dst_unused:UNUSED_PAD src0_sel:WORD_1 src1_sel:DWORD
	v_lshrrev_b32_e32 v38, 16, v41
	v_cmp_ne_u16_e32 vcc, 0, v60
	v_mov_b32_e32 v58, 0
	v_mov_b32_e32 v59, 0
	s_and_saveexec_b64 s[2:3], vcc
	s_cbranch_execz .LBB877_197
; %bb.192:
	s_movk_i32 s8, 0x80
	v_cmp_ne_u16_e32 vcc, s8, v60
	v_mov_b32_e32 v59, 0xffff8000
	s_and_saveexec_b64 s[8:9], vcc
	s_cbranch_execz .LBB877_196
; %bb.193:
	v_bfe_u32 v60, v41, 16, 7
	s_movk_i32 s10, 0x7f
	v_cmp_ne_u32_e32 vcc, s10, v60
	v_mov_b32_e32 v59, 0x7f80
	s_and_saveexec_b64 s[10:11], vcc
	s_cbranch_execz .LBB877_195
; %bb.194:
	v_and_b32_e32 v59, 7, v38
	v_ffbh_u32_e32 v62, v59
	v_min_u32_e32 v64, 32, v62
	v_subrev_u32_e32 v62, 28, v64
	v_lshlrev_b64 v[62:63], v62, v[38:39]
	v_lshrrev_b32_e32 v61, 3, v60
	v_sub_u32_e32 v38, 29, v64
	v_and_b32_e32 v62, 7, v62
	v_cmp_gt_u32_e32 vcc, 8, v60
	v_mov_b32_e32 v60, 24
	v_cndmask_b32_e32 v38, v61, v38, vcc
	v_cndmask_b32_e32 v59, v59, v62, vcc
	v_lshlrev_b32_sdwa v60, v60, v41 dst_sel:DWORD dst_unused:UNUSED_PAD src0_sel:DWORD src1_sel:WORD_1
	v_bfrev_b32_e32 v61, 60
	v_lshlrev_b32_e32 v59, 20, v59
	v_and_b32_e32 v60, 0x80000000, v60
	v_lshl_add_u32 v38, v38, 23, v61
	v_or3_b32 v38, v60, v38, v59
	v_lshrrev_b32_e32 v59, 16, v38
.LBB877_195:
	s_or_b64 exec, exec, s[10:11]
.LBB877_196:
	s_or_b64 exec, exec, s[8:9]
.LBB877_197:
	s_or_b64 exec, exec, s[2:3]
	s_mov_b32 s2, 0xffffff
	v_cmp_lt_u32_e32 vcc, s2, v41
	s_and_saveexec_b64 s[2:3], vcc
	s_cbranch_execz .LBB877_203
; %bb.198:
	v_lshrrev_b32_e32 v38, 24, v41
	s_movk_i32 s8, 0x80
	v_cmp_ne_u32_e32 vcc, s8, v38
	v_mov_b32_e32 v58, 0xffff8000
	s_and_saveexec_b64 s[8:9], vcc
	s_cbranch_execz .LBB877_202
; %bb.199:
	v_bfe_u32 v41, v41, 24, 7
	s_movk_i32 s10, 0x7f
	v_cmp_ne_u32_e32 vcc, s10, v41
	v_mov_b32_e32 v58, 0x7f80
	s_and_saveexec_b64 s[10:11], vcc
	s_cbranch_execz .LBB877_201
; %bb.200:
	v_and_b32_e32 v58, 7, v38
	v_ffbh_u32_e32 v60, v58
	v_min_u32_e32 v63, 32, v60
	v_subrev_u32_e32 v60, 28, v63
	v_lshlrev_b64 v[60:61], v60, v[38:39]
	v_lshrrev_b32_e32 v62, 3, v41
	v_sub_u32_e32 v61, 29, v63
	v_and_b32_e32 v60, 7, v60
	v_cmp_gt_u32_e32 vcc, 8, v41
	v_cndmask_b32_e32 v41, v62, v61, vcc
	v_cndmask_b32_e32 v58, v58, v60, vcc
	v_lshlrev_b32_e32 v38, 24, v38
	v_bfrev_b32_e32 v60, 60
	v_lshlrev_b32_e32 v58, 20, v58
	v_and_b32_e32 v38, 0x80000000, v38
	v_lshl_add_u32 v41, v41, 23, v60
	v_or3_b32 v38, v38, v41, v58
	v_lshrrev_b32_e32 v58, 16, v38
.LBB877_201:
	s_or_b64 exec, exec, s[10:11]
.LBB877_202:
	s_or_b64 exec, exec, s[8:9]
.LBB877_203:
	s_or_b64 exec, exec, s[2:3]
	s_mov_b32 s2, 0x5040100
	v_perm_b32 v55, v55, v56, s2
	v_perm_b32 v54, v39, v54, s2
	;; [unrolled: 1-line block ×4, first 2 shown]
	v_mfma_f32_16x16x16bf16_1k v[60:63], v[54:55], v[18:19], v[42:45]
	s_nop 6
	v_mov_b32_e32 v43, 0
	s_waitcnt vmcnt(6)
	v_cmp_ne_u16_sdwa s[8:9], v34, v43 src0_sel:BYTE_0 src1_sel:DWORD
	v_mfma_f32_16x16x16bf16_1k v[38:41], v[38:39], v[20:21], v[60:63]
	v_mov_b32_e32 v44, 0
	s_and_saveexec_b64 s[2:3], s[8:9]
	s_cbranch_execz .LBB877_209
; %bb.204:
	s_movk_i32 s8, 0x80
	v_cmp_ne_u16_sdwa s[10:11], v34, s8 src0_sel:BYTE_0 src1_sel:DWORD
	v_mov_b32_e32 v44, 0xffff8000
	s_and_saveexec_b64 s[8:9], s[10:11]
	s_cbranch_execz .LBB877_208
; %bb.205:
	s_movk_i32 s10, 0x7f
	v_and_b32_e32 v42, 0x7f, v34
	v_cmp_ne_u32_e32 vcc, s10, v42
	v_mov_b32_e32 v44, 0x7f80
	s_and_saveexec_b64 s[10:11], vcc
	s_cbranch_execz .LBB877_207
; %bb.206:
	v_and_b32_e32 v54, 7, v34
	v_ffbh_u32_e32 v44, v54
	v_min_u32_e32 v56, 32, v44
	v_subrev_u32_e32 v44, 28, v56
	v_lshlrev_b64 v[44:45], v44, v[34:35]
	v_lshrrev_b32_e32 v55, 3, v42
	v_sub_u32_e32 v45, 29, v56
	v_and_b32_e32 v44, 7, v44
	v_cmp_gt_u32_e32 vcc, 8, v42
	v_cndmask_b32_e32 v42, v55, v45, vcc
	v_cndmask_b32_e32 v44, v54, v44, vcc
	v_lshlrev_b32_e32 v45, 24, v34
	v_bfrev_b32_e32 v54, 60
	v_lshlrev_b32_e32 v44, 20, v44
	v_and_b32_e32 v45, 0x80000000, v45
	v_lshl_add_u32 v42, v42, 23, v54
	v_or3_b32 v42, v45, v42, v44
	v_lshrrev_b32_e32 v44, 16, v42
.LBB877_207:
	s_or_b64 exec, exec, s[10:11]
.LBB877_208:
	s_or_b64 exec, exec, s[8:9]
.LBB877_209:
	s_or_b64 exec, exec, s[2:3]
	v_lshrrev_b16_e32 v42, 8, v34
	v_cmp_ne_u16_e32 vcc, 0, v42
	s_and_saveexec_b64 s[2:3], vcc
	s_cbranch_execz .LBB877_215
; %bb.210:
	s_movk_i32 s8, 0x80
	v_cmp_ne_u16_e32 vcc, s8, v42
	v_mov_b32_e32 v43, 0xffff8000
	s_and_saveexec_b64 s[8:9], vcc
	s_cbranch_execz .LBB877_214
; %bb.211:
	s_movk_i32 s10, 0x7f
	v_and_b32_e32 v45, 0x7f, v42
	v_cmp_ne_u32_e32 vcc, s10, v45
	v_mov_b32_e32 v43, 0x7f80
	s_and_saveexec_b64 s[10:11], vcc
	s_cbranch_execz .LBB877_213
; %bb.212:
	v_and_b32_e32 v54, 7, v42
	v_ffbh_u32_e32 v43, v54
	v_min_u32_e32 v56, 32, v43
	v_subrev_u32_e32 v43, 28, v56
	v_lshlrev_b64 v[42:43], v43, v[42:43]
	v_lshrrev_b32_e32 v55, 3, v45
	v_sub_u32_e32 v43, 29, v56
	v_and_b32_e32 v42, 7, v42
	v_cmp_gt_u32_e32 vcc, 8, v45
	v_cndmask_b32_e32 v43, v55, v43, vcc
	v_cndmask_b32_e32 v42, v54, v42, vcc
	v_lshlrev_b32_e32 v45, 16, v34
	v_bfrev_b32_e32 v54, 60
	v_lshlrev_b32_e32 v42, 20, v42
	v_and_b32_e32 v45, 0x80000000, v45
	v_lshl_add_u32 v43, v43, 23, v54
	v_or3_b32 v42, v45, v43, v42
	v_lshrrev_b32_e32 v43, 16, v42
.LBB877_213:
	s_or_b64 exec, exec, s[10:11]
.LBB877_214:
	s_or_b64 exec, exec, s[8:9]
.LBB877_215:
	s_or_b64 exec, exec, s[2:3]
	s_movk_i32 s2, 0xff
	v_and_b32_sdwa v55, v34, s2 dst_sel:DWORD dst_unused:UNUSED_PAD src0_sel:WORD_1 src1_sel:DWORD
	v_lshrrev_b32_e32 v42, 16, v34
	v_cmp_ne_u16_e32 vcc, 0, v55
	v_mov_b32_e32 v45, 0
	v_mov_b32_e32 v54, 0
	s_and_saveexec_b64 s[2:3], vcc
	s_cbranch_execz .LBB877_221
; %bb.216:
	s_movk_i32 s8, 0x80
	v_cmp_ne_u16_e32 vcc, s8, v55
	v_mov_b32_e32 v54, 0xffff8000
	s_and_saveexec_b64 s[8:9], vcc
	s_cbranch_execz .LBB877_220
; %bb.217:
	v_bfe_u32 v55, v34, 16, 7
	s_movk_i32 s10, 0x7f
	v_cmp_ne_u32_e32 vcc, s10, v55
	v_mov_b32_e32 v54, 0x7f80
	s_and_saveexec_b64 s[10:11], vcc
	s_cbranch_execz .LBB877_219
; %bb.218:
	v_and_b32_e32 v54, 7, v42
	v_ffbh_u32_e32 v56, v54
	v_min_u32_e32 v59, 32, v56
	v_subrev_u32_e32 v56, 28, v59
	v_lshlrev_b64 v[56:57], v56, v[42:43]
	v_lshrrev_b32_e32 v58, 3, v55
	v_sub_u32_e32 v42, 29, v59
	v_and_b32_e32 v56, 7, v56
	v_cmp_gt_u32_e32 vcc, 8, v55
	v_mov_b32_e32 v55, 24
	v_cndmask_b32_e32 v42, v58, v42, vcc
	v_cndmask_b32_e32 v54, v54, v56, vcc
	v_lshlrev_b32_sdwa v55, v55, v34 dst_sel:DWORD dst_unused:UNUSED_PAD src0_sel:DWORD src1_sel:WORD_1
	v_bfrev_b32_e32 v56, 60
	v_lshlrev_b32_e32 v54, 20, v54
	v_and_b32_e32 v55, 0x80000000, v55
	v_lshl_add_u32 v42, v42, 23, v56
	v_or3_b32 v42, v55, v42, v54
	v_lshrrev_b32_e32 v54, 16, v42
.LBB877_219:
	s_or_b64 exec, exec, s[10:11]
.LBB877_220:
	s_or_b64 exec, exec, s[8:9]
.LBB877_221:
	s_or_b64 exec, exec, s[2:3]
	s_mov_b32 s2, 0xffffff
	v_cmp_lt_u32_e32 vcc, s2, v34
	s_and_saveexec_b64 s[2:3], vcc
	s_cbranch_execz .LBB877_227
; %bb.222:
	v_lshrrev_b32_e32 v42, 24, v34
	s_movk_i32 s8, 0x80
	v_cmp_ne_u32_e32 vcc, s8, v42
	v_mov_b32_e32 v45, 0xffff8000
	s_and_saveexec_b64 s[8:9], vcc
	s_cbranch_execz .LBB877_226
; %bb.223:
	v_bfe_u32 v34, v34, 24, 7
	s_movk_i32 s10, 0x7f
	v_cmp_ne_u32_e32 vcc, s10, v34
	v_mov_b32_e32 v45, 0x7f80
	s_and_saveexec_b64 s[10:11], vcc
	s_cbranch_execz .LBB877_225
; %bb.224:
	v_and_b32_e32 v45, 7, v42
	v_ffbh_u32_e32 v56, v45
	v_min_u32_e32 v58, 32, v56
	v_subrev_u32_e32 v56, 28, v58
	v_lshlrev_b64 v[56:57], v56, v[42:43]
	v_lshrrev_b32_e32 v55, 3, v34
	v_sub_u32_e32 v57, 29, v58
	v_and_b32_e32 v56, 7, v56
	v_cmp_gt_u32_e32 vcc, 8, v34
	v_cndmask_b32_e32 v34, v55, v57, vcc
	v_cndmask_b32_e32 v45, v45, v56, vcc
	v_lshlrev_b32_e32 v42, 24, v42
	v_bfrev_b32_e32 v55, 60
	v_lshlrev_b32_e32 v45, 20, v45
	v_and_b32_e32 v42, 0x80000000, v42
	v_lshl_add_u32 v34, v34, 23, v55
	v_or3_b32 v34, v42, v34, v45
	v_lshrrev_b32_e32 v45, 16, v34
.LBB877_225:
	s_or_b64 exec, exec, s[10:11]
.LBB877_226:
	s_or_b64 exec, exec, s[8:9]
.LBB877_227:
	s_or_b64 exec, exec, s[2:3]
	v_mov_b32_e32 v42, 0
	v_cmp_ne_u16_sdwa s[8:9], v35, v42 src0_sel:BYTE_0 src1_sel:DWORD
	v_mov_b32_e32 v55, 0
	s_and_saveexec_b64 s[2:3], s[8:9]
	s_cbranch_execz .LBB877_233
; %bb.228:
	s_movk_i32 s8, 0x80
	v_cmp_ne_u16_sdwa s[10:11], v35, s8 src0_sel:BYTE_0 src1_sel:DWORD
	v_mov_b32_e32 v55, 0xffff8000
	s_and_saveexec_b64 s[8:9], s[10:11]
	s_cbranch_execz .LBB877_232
; %bb.229:
	s_movk_i32 s10, 0x7f
	v_and_b32_e32 v34, 0x7f, v35
	v_cmp_ne_u32_e32 vcc, s10, v34
	v_mov_b32_e32 v55, 0x7f80
	s_and_saveexec_b64 s[10:11], vcc
	s_cbranch_execz .LBB877_231
; %bb.230:
	v_and_b32_e32 v55, 7, v35
	v_ffbh_u32_e32 v57, v55
	v_min_u32_e32 v59, 32, v57
	v_mov_b32_e32 v56, v35
	v_subrev_u32_e32 v57, 28, v59
	v_lshlrev_b64 v[56:57], v57, v[56:57]
	v_lshrrev_b32_e32 v58, 3, v34
	v_sub_u32_e32 v57, 29, v59
	v_and_b32_e32 v56, 7, v56
	v_cmp_gt_u32_e32 vcc, 8, v34
	v_cndmask_b32_e32 v34, v58, v57, vcc
	v_cndmask_b32_e32 v55, v55, v56, vcc
	v_lshlrev_b32_e32 v56, 24, v35
	v_bfrev_b32_e32 v57, 60
	v_lshlrev_b32_e32 v55, 20, v55
	v_and_b32_e32 v56, 0x80000000, v56
	v_lshl_add_u32 v34, v34, 23, v57
	v_or3_b32 v34, v56, v34, v55
	v_lshrrev_b32_e32 v55, 16, v34
.LBB877_231:
	s_or_b64 exec, exec, s[10:11]
.LBB877_232:
	s_or_b64 exec, exec, s[8:9]
.LBB877_233:
	s_or_b64 exec, exec, s[2:3]
	v_lshrrev_b16_e32 v34, 8, v35
	v_cmp_ne_u16_e32 vcc, 0, v34
	s_and_saveexec_b64 s[2:3], vcc
	s_cbranch_execz .LBB877_239
; %bb.234:
	s_movk_i32 s8, 0x80
	v_cmp_ne_u16_e32 vcc, s8, v34
	v_mov_b32_e32 v42, 0xffff8000
	s_and_saveexec_b64 s[8:9], vcc
	s_cbranch_execz .LBB877_238
; %bb.235:
	s_movk_i32 s10, 0x7f
	v_and_b32_e32 v56, 0x7f, v34
	v_cmp_ne_u32_e32 vcc, s10, v56
	v_mov_b32_e32 v42, 0x7f80
	s_and_saveexec_b64 s[10:11], vcc
	s_cbranch_execz .LBB877_237
; %bb.236:
	v_and_b32_e32 v42, 7, v34
	v_ffbh_u32_e32 v58, v42
	v_min_u32_e32 v60, 32, v58
	v_subrev_u32_e32 v58, 28, v60
	v_lshlrev_b64 v[58:59], v58, v[34:35]
	v_lshrrev_b32_e32 v57, 3, v56
	v_sub_u32_e32 v34, 29, v60
	v_and_b32_e32 v58, 7, v58
	v_cmp_gt_u32_e32 vcc, 8, v56
	v_cndmask_b32_e32 v34, v57, v34, vcc
	v_cndmask_b32_e32 v42, v42, v58, vcc
	v_lshlrev_b32_e32 v56, 16, v35
	v_bfrev_b32_e32 v57, 60
	v_lshlrev_b32_e32 v42, 20, v42
	v_and_b32_e32 v56, 0x80000000, v56
	v_lshl_add_u32 v34, v34, 23, v57
	v_or3_b32 v34, v56, v34, v42
	v_lshrrev_b32_e32 v42, 16, v34
.LBB877_237:
	s_or_b64 exec, exec, s[10:11]
.LBB877_238:
	s_or_b64 exec, exec, s[8:9]
.LBB877_239:
	s_or_b64 exec, exec, s[2:3]
	s_movk_i32 s2, 0xff
	v_and_b32_sdwa v58, v35, s2 dst_sel:DWORD dst_unused:UNUSED_PAD src0_sel:WORD_1 src1_sel:DWORD
	v_lshrrev_b32_e32 v34, 16, v35
	v_cmp_ne_u16_e32 vcc, 0, v58
	v_mov_b32_e32 v56, 0
	v_mov_b32_e32 v57, 0
	s_and_saveexec_b64 s[2:3], vcc
	s_cbranch_execz .LBB877_245
; %bb.240:
	s_movk_i32 s8, 0x80
	v_cmp_ne_u16_e32 vcc, s8, v58
	v_mov_b32_e32 v57, 0xffff8000
	s_and_saveexec_b64 s[8:9], vcc
	s_cbranch_execz .LBB877_244
; %bb.241:
	v_bfe_u32 v58, v35, 16, 7
	s_movk_i32 s10, 0x7f
	v_cmp_ne_u32_e32 vcc, s10, v58
	v_mov_b32_e32 v57, 0x7f80
	s_and_saveexec_b64 s[10:11], vcc
	s_cbranch_execz .LBB877_243
; %bb.242:
	v_and_b32_e32 v57, 7, v34
	v_ffbh_u32_e32 v60, v57
	v_min_u32_e32 v62, 32, v60
	v_subrev_u32_e32 v60, 28, v62
	v_lshlrev_b64 v[60:61], v60, v[34:35]
	v_lshrrev_b32_e32 v59, 3, v58
	v_sub_u32_e32 v34, 29, v62
	v_and_b32_e32 v60, 7, v60
	v_cmp_gt_u32_e32 vcc, 8, v58
	v_mov_b32_e32 v58, 24
	v_cndmask_b32_e32 v34, v59, v34, vcc
	v_cndmask_b32_e32 v57, v57, v60, vcc
	v_lshlrev_b32_sdwa v58, v58, v35 dst_sel:DWORD dst_unused:UNUSED_PAD src0_sel:DWORD src1_sel:WORD_1
	v_bfrev_b32_e32 v59, 60
	v_lshlrev_b32_e32 v57, 20, v57
	v_and_b32_e32 v58, 0x80000000, v58
	v_lshl_add_u32 v34, v34, 23, v59
	v_or3_b32 v34, v58, v34, v57
	v_lshrrev_b32_e32 v57, 16, v34
.LBB877_243:
	s_or_b64 exec, exec, s[10:11]
.LBB877_244:
	s_or_b64 exec, exec, s[8:9]
.LBB877_245:
	s_or_b64 exec, exec, s[2:3]
	s_mov_b32 s2, 0xffffff
	v_cmp_lt_u32_e32 vcc, s2, v35
	s_and_saveexec_b64 s[2:3], vcc
	s_cbranch_execz .LBB877_251
; %bb.246:
	v_lshrrev_b32_e32 v34, 24, v35
	s_movk_i32 s8, 0x80
	v_cmp_ne_u32_e32 vcc, s8, v34
	v_mov_b32_e32 v56, 0xffff8000
	s_and_saveexec_b64 s[8:9], vcc
	s_cbranch_execz .LBB877_250
; %bb.247:
	v_bfe_u32 v35, v35, 24, 7
	s_movk_i32 s10, 0x7f
	v_cmp_ne_u32_e32 vcc, s10, v35
	v_mov_b32_e32 v56, 0x7f80
	s_and_saveexec_b64 s[10:11], vcc
	s_cbranch_execz .LBB877_249
; %bb.248:
	v_and_b32_e32 v56, 7, v34
	v_ffbh_u32_e32 v58, v56
	v_min_u32_e32 v61, 32, v58
	v_subrev_u32_e32 v58, 28, v61
	v_lshlrev_b64 v[58:59], v58, v[34:35]
	v_lshrrev_b32_e32 v60, 3, v35
	v_sub_u32_e32 v59, 29, v61
	v_and_b32_e32 v58, 7, v58
	v_cmp_gt_u32_e32 vcc, 8, v35
	v_cndmask_b32_e32 v35, v60, v59, vcc
	v_cndmask_b32_e32 v56, v56, v58, vcc
	v_lshlrev_b32_e32 v34, 24, v34
	v_bfrev_b32_e32 v58, 60
	v_lshlrev_b32_e32 v56, 20, v56
	v_and_b32_e32 v34, 0x80000000, v34
	v_lshl_add_u32 v35, v35, 23, v58
	v_or3_b32 v34, v34, v35, v56
	v_lshrrev_b32_e32 v56, 16, v34
.LBB877_249:
	s_or_b64 exec, exec, s[10:11]
.LBB877_250:
	s_or_b64 exec, exec, s[8:9]
.LBB877_251:
	s_or_b64 exec, exec, s[2:3]
	s_mov_b32 s2, 0x5040100
	v_perm_b32 v35, v45, v54, s2
	v_perm_b32 v34, v43, v44, s2
	;; [unrolled: 1-line block ×4, first 2 shown]
	v_mov_b32_e32 v54, 0
	v_mfma_f32_16x16x16bf16_1k v[58:61], v[34:35], v[26:27], 0
	v_mov_b32_e32 v35, 0
	v_cmp_ne_u16_sdwa s[8:9], v36, v35 src0_sel:BYTE_0 src1_sel:DWORD
	v_mfma_f32_16x16x16bf16_1k v[42:45], v[42:43], v[28:29], v[58:61]
	s_and_saveexec_b64 s[2:3], s[8:9]
	s_cbranch_execz .LBB877_257
; %bb.252:
	s_movk_i32 s8, 0x80
	v_cmp_ne_u16_sdwa s[10:11], v36, s8 src0_sel:BYTE_0 src1_sel:DWORD
	v_mov_b32_e32 v54, 0xffff8000
	s_and_saveexec_b64 s[8:9], s[10:11]
	s_cbranch_execz .LBB877_256
; %bb.253:
	s_movk_i32 s10, 0x7f
	v_and_b32_e32 v34, 0x7f, v36
	v_cmp_ne_u32_e32 vcc, s10, v34
	v_mov_b32_e32 v54, 0x7f80
	s_and_saveexec_b64 s[10:11], vcc
	s_cbranch_execz .LBB877_255
; %bb.254:
	v_and_b32_e32 v56, 7, v36
	v_ffbh_u32_e32 v54, v56
	v_min_u32_e32 v58, 32, v54
	v_subrev_u32_e32 v54, 28, v58
	v_lshlrev_b64 v[54:55], v54, v[36:37]
	v_lshrrev_b32_e32 v57, 3, v34
	v_sub_u32_e32 v55, 29, v58
	v_and_b32_e32 v54, 7, v54
	v_cmp_gt_u32_e32 vcc, 8, v34
	v_cndmask_b32_e32 v34, v57, v55, vcc
	v_cndmask_b32_e32 v54, v56, v54, vcc
	v_lshlrev_b32_e32 v55, 24, v36
	v_bfrev_b32_e32 v56, 60
	v_lshlrev_b32_e32 v54, 20, v54
	v_and_b32_e32 v55, 0x80000000, v55
	v_lshl_add_u32 v34, v34, 23, v56
	v_or3_b32 v34, v55, v34, v54
	v_lshrrev_b32_e32 v54, 16, v34
.LBB877_255:
	s_or_b64 exec, exec, s[10:11]
.LBB877_256:
	s_or_b64 exec, exec, s[8:9]
.LBB877_257:
	s_or_b64 exec, exec, s[2:3]
	v_lshrrev_b16_e32 v34, 8, v36
	v_cmp_ne_u16_e32 vcc, 0, v34
	s_and_saveexec_b64 s[2:3], vcc
	s_cbranch_execz .LBB877_263
; %bb.258:
	s_movk_i32 s8, 0x80
	v_cmp_ne_u16_e32 vcc, s8, v34
	v_mov_b32_e32 v35, 0xffff8000
	s_and_saveexec_b64 s[8:9], vcc
	s_cbranch_execz .LBB877_262
; %bb.259:
	s_movk_i32 s10, 0x7f
	v_and_b32_e32 v55, 0x7f, v34
	v_cmp_ne_u32_e32 vcc, s10, v55
	v_mov_b32_e32 v35, 0x7f80
	s_and_saveexec_b64 s[10:11], vcc
	s_cbranch_execz .LBB877_261
; %bb.260:
	v_and_b32_e32 v56, 7, v34
	v_ffbh_u32_e32 v35, v56
	v_min_u32_e32 v58, 32, v35
	v_subrev_u32_e32 v35, 28, v58
	v_lshlrev_b64 v[34:35], v35, v[34:35]
	v_lshrrev_b32_e32 v57, 3, v55
	v_sub_u32_e32 v35, 29, v58
	v_and_b32_e32 v34, 7, v34
	v_cmp_gt_u32_e32 vcc, 8, v55
	v_cndmask_b32_e32 v35, v57, v35, vcc
	v_cndmask_b32_e32 v34, v56, v34, vcc
	v_lshlrev_b32_e32 v55, 16, v36
	v_bfrev_b32_e32 v56, 60
	v_lshlrev_b32_e32 v34, 20, v34
	v_and_b32_e32 v55, 0x80000000, v55
	v_lshl_add_u32 v35, v35, 23, v56
	v_or3_b32 v34, v55, v35, v34
	v_lshrrev_b32_e32 v35, 16, v34
.LBB877_261:
	s_or_b64 exec, exec, s[10:11]
.LBB877_262:
	s_or_b64 exec, exec, s[8:9]
.LBB877_263:
	s_or_b64 exec, exec, s[2:3]
	s_movk_i32 s2, 0xff
	v_and_b32_sdwa v57, v36, s2 dst_sel:DWORD dst_unused:UNUSED_PAD src0_sel:WORD_1 src1_sel:DWORD
	v_lshrrev_b32_e32 v34, 16, v36
	v_cmp_ne_u16_e32 vcc, 0, v57
	v_mov_b32_e32 v55, 0
	v_mov_b32_e32 v56, 0
	s_and_saveexec_b64 s[2:3], vcc
	s_cbranch_execz .LBB877_269
; %bb.264:
	s_movk_i32 s8, 0x80
	v_cmp_ne_u16_e32 vcc, s8, v57
	v_mov_b32_e32 v56, 0xffff8000
	s_and_saveexec_b64 s[8:9], vcc
	s_cbranch_execz .LBB877_268
; %bb.265:
	v_bfe_u32 v57, v36, 16, 7
	s_movk_i32 s10, 0x7f
	v_cmp_ne_u32_e32 vcc, s10, v57
	v_mov_b32_e32 v56, 0x7f80
	s_and_saveexec_b64 s[10:11], vcc
	s_cbranch_execz .LBB877_267
; %bb.266:
	v_and_b32_e32 v56, 7, v34
	v_ffbh_u32_e32 v58, v56
	v_min_u32_e32 v61, 32, v58
	v_subrev_u32_e32 v58, 28, v61
	v_lshlrev_b64 v[58:59], v58, v[34:35]
	v_lshrrev_b32_e32 v60, 3, v57
	v_sub_u32_e32 v34, 29, v61
	v_and_b32_e32 v58, 7, v58
	v_cmp_gt_u32_e32 vcc, 8, v57
	v_mov_b32_e32 v57, 24
	v_cndmask_b32_e32 v34, v60, v34, vcc
	v_cndmask_b32_e32 v56, v56, v58, vcc
	v_lshlrev_b32_sdwa v57, v57, v36 dst_sel:DWORD dst_unused:UNUSED_PAD src0_sel:DWORD src1_sel:WORD_1
	v_bfrev_b32_e32 v58, 60
	v_lshlrev_b32_e32 v56, 20, v56
	v_and_b32_e32 v57, 0x80000000, v57
	v_lshl_add_u32 v34, v34, 23, v58
	v_or3_b32 v34, v57, v34, v56
	v_lshrrev_b32_e32 v56, 16, v34
.LBB877_267:
	s_or_b64 exec, exec, s[10:11]
.LBB877_268:
	s_or_b64 exec, exec, s[8:9]
.LBB877_269:
	s_or_b64 exec, exec, s[2:3]
	s_mov_b32 s2, 0xffffff
	v_cmp_lt_u32_e32 vcc, s2, v36
	s_and_saveexec_b64 s[2:3], vcc
	s_cbranch_execz .LBB877_275
; %bb.270:
	v_lshrrev_b32_e32 v34, 24, v36
	s_movk_i32 s8, 0x80
	v_cmp_ne_u32_e32 vcc, s8, v34
	v_mov_b32_e32 v55, 0xffff8000
	s_and_saveexec_b64 s[8:9], vcc
	s_cbranch_execz .LBB877_274
; %bb.271:
	v_bfe_u32 v36, v36, 24, 7
	s_movk_i32 s10, 0x7f
	v_cmp_ne_u32_e32 vcc, s10, v36
	v_mov_b32_e32 v55, 0x7f80
	s_and_saveexec_b64 s[10:11], vcc
	s_cbranch_execz .LBB877_273
; %bb.272:
	v_and_b32_e32 v55, 7, v34
	v_ffbh_u32_e32 v58, v55
	v_min_u32_e32 v60, 32, v58
	v_subrev_u32_e32 v58, 28, v60
	v_lshlrev_b64 v[58:59], v58, v[34:35]
	v_lshrrev_b32_e32 v57, 3, v36
	v_sub_u32_e32 v59, 29, v60
	v_and_b32_e32 v58, 7, v58
	v_cmp_gt_u32_e32 vcc, 8, v36
	v_cndmask_b32_e32 v36, v57, v59, vcc
	v_cndmask_b32_e32 v55, v55, v58, vcc
	v_lshlrev_b32_e32 v34, 24, v34
	v_bfrev_b32_e32 v57, 60
	v_lshlrev_b32_e32 v55, 20, v55
	v_and_b32_e32 v34, 0x80000000, v34
	v_lshl_add_u32 v36, v36, 23, v57
	v_or3_b32 v34, v34, v36, v55
	v_lshrrev_b32_e32 v55, 16, v34
.LBB877_273:
	s_or_b64 exec, exec, s[10:11]
.LBB877_274:
	s_or_b64 exec, exec, s[8:9]
.LBB877_275:
	s_or_b64 exec, exec, s[2:3]
	v_mov_b32_e32 v36, 0
	v_cmp_ne_u16_sdwa s[8:9], v37, v36 src0_sel:BYTE_0 src1_sel:DWORD
	v_mov_b32_e32 v57, 0
	s_and_saveexec_b64 s[2:3], s[8:9]
	s_cbranch_execz .LBB877_281
; %bb.276:
	s_movk_i32 s8, 0x80
	v_cmp_ne_u16_sdwa s[10:11], v37, s8 src0_sel:BYTE_0 src1_sel:DWORD
	v_mov_b32_e32 v57, 0xffff8000
	s_and_saveexec_b64 s[8:9], s[10:11]
	s_cbranch_execz .LBB877_280
; %bb.277:
	s_movk_i32 s10, 0x7f
	v_and_b32_e32 v34, 0x7f, v37
	v_cmp_ne_u32_e32 vcc, s10, v34
	v_mov_b32_e32 v57, 0x7f80
	s_and_saveexec_b64 s[10:11], vcc
	s_cbranch_execz .LBB877_279
; %bb.278:
	v_and_b32_e32 v57, 7, v37
	v_ffbh_u32_e32 v59, v57
	v_min_u32_e32 v61, 32, v59
	v_mov_b32_e32 v58, v37
	v_subrev_u32_e32 v59, 28, v61
	v_lshlrev_b64 v[58:59], v59, v[58:59]
	v_lshrrev_b32_e32 v60, 3, v34
	v_sub_u32_e32 v59, 29, v61
	v_and_b32_e32 v58, 7, v58
	v_cmp_gt_u32_e32 vcc, 8, v34
	v_cndmask_b32_e32 v34, v60, v59, vcc
	v_cndmask_b32_e32 v57, v57, v58, vcc
	v_lshlrev_b32_e32 v58, 24, v37
	v_bfrev_b32_e32 v59, 60
	v_lshlrev_b32_e32 v57, 20, v57
	v_and_b32_e32 v58, 0x80000000, v58
	v_lshl_add_u32 v34, v34, 23, v59
	v_or3_b32 v34, v58, v34, v57
	v_lshrrev_b32_e32 v57, 16, v34
.LBB877_279:
	s_or_b64 exec, exec, s[10:11]
.LBB877_280:
	s_or_b64 exec, exec, s[8:9]
.LBB877_281:
	s_or_b64 exec, exec, s[2:3]
	v_lshrrev_b16_e32 v34, 8, v37
	v_cmp_ne_u16_e32 vcc, 0, v34
	s_and_saveexec_b64 s[2:3], vcc
	s_cbranch_execz .LBB877_287
; %bb.282:
	s_movk_i32 s8, 0x80
	v_cmp_ne_u16_e32 vcc, s8, v34
	v_mov_b32_e32 v36, 0xffff8000
	s_and_saveexec_b64 s[8:9], vcc
	s_cbranch_execz .LBB877_286
; %bb.283:
	s_movk_i32 s10, 0x7f
	v_and_b32_e32 v58, 0x7f, v34
	v_cmp_ne_u32_e32 vcc, s10, v58
	v_mov_b32_e32 v36, 0x7f80
	s_and_saveexec_b64 s[10:11], vcc
	s_cbranch_execz .LBB877_285
; %bb.284:
	v_and_b32_e32 v36, 7, v34
	v_ffbh_u32_e32 v60, v36
	v_min_u32_e32 v62, 32, v60
	v_subrev_u32_e32 v60, 28, v62
	v_lshlrev_b64 v[60:61], v60, v[34:35]
	v_lshrrev_b32_e32 v59, 3, v58
	v_sub_u32_e32 v34, 29, v62
	v_and_b32_e32 v60, 7, v60
	v_cmp_gt_u32_e32 vcc, 8, v58
	v_cndmask_b32_e32 v34, v59, v34, vcc
	v_cndmask_b32_e32 v36, v36, v60, vcc
	v_lshlrev_b32_e32 v58, 16, v37
	v_bfrev_b32_e32 v59, 60
	v_lshlrev_b32_e32 v36, 20, v36
	v_and_b32_e32 v58, 0x80000000, v58
	v_lshl_add_u32 v34, v34, 23, v59
	v_or3_b32 v34, v58, v34, v36
	v_lshrrev_b32_e32 v36, 16, v34
.LBB877_285:
	s_or_b64 exec, exec, s[10:11]
.LBB877_286:
	s_or_b64 exec, exec, s[8:9]
.LBB877_287:
	s_or_b64 exec, exec, s[2:3]
	s_movk_i32 s2, 0xff
	v_and_b32_sdwa v60, v37, s2 dst_sel:DWORD dst_unused:UNUSED_PAD src0_sel:WORD_1 src1_sel:DWORD
	v_lshrrev_b32_e32 v34, 16, v37
	v_cmp_ne_u16_e32 vcc, 0, v60
	v_mov_b32_e32 v58, 0
	v_mov_b32_e32 v59, 0
	s_and_saveexec_b64 s[2:3], vcc
	s_cbranch_execz .LBB877_293
; %bb.288:
	s_movk_i32 s8, 0x80
	v_cmp_ne_u16_e32 vcc, s8, v60
	v_mov_b32_e32 v59, 0xffff8000
	s_and_saveexec_b64 s[8:9], vcc
	s_cbranch_execz .LBB877_292
; %bb.289:
	v_bfe_u32 v60, v37, 16, 7
	s_movk_i32 s10, 0x7f
	v_cmp_ne_u32_e32 vcc, s10, v60
	v_mov_b32_e32 v59, 0x7f80
	s_and_saveexec_b64 s[10:11], vcc
	s_cbranch_execz .LBB877_291
; %bb.290:
	v_and_b32_e32 v59, 7, v34
	v_ffbh_u32_e32 v62, v59
	v_min_u32_e32 v64, 32, v62
	v_subrev_u32_e32 v62, 28, v64
	v_lshlrev_b64 v[62:63], v62, v[34:35]
	v_lshrrev_b32_e32 v61, 3, v60
	v_sub_u32_e32 v34, 29, v64
	v_and_b32_e32 v62, 7, v62
	v_cmp_gt_u32_e32 vcc, 8, v60
	v_mov_b32_e32 v60, 24
	v_cndmask_b32_e32 v34, v61, v34, vcc
	v_cndmask_b32_e32 v59, v59, v62, vcc
	v_lshlrev_b32_sdwa v60, v60, v37 dst_sel:DWORD dst_unused:UNUSED_PAD src0_sel:DWORD src1_sel:WORD_1
	v_bfrev_b32_e32 v61, 60
	v_lshlrev_b32_e32 v59, 20, v59
	v_and_b32_e32 v60, 0x80000000, v60
	v_lshl_add_u32 v34, v34, 23, v61
	v_or3_b32 v34, v60, v34, v59
	v_lshrrev_b32_e32 v59, 16, v34
.LBB877_291:
	s_or_b64 exec, exec, s[10:11]
.LBB877_292:
	s_or_b64 exec, exec, s[8:9]
.LBB877_293:
	s_or_b64 exec, exec, s[2:3]
	s_mov_b32 s2, 0xffffff
	v_cmp_lt_u32_e32 vcc, s2, v37
	s_and_saveexec_b64 s[2:3], vcc
	s_cbranch_execz .LBB877_299
; %bb.294:
	v_lshrrev_b32_e32 v34, 24, v37
	s_movk_i32 s8, 0x80
	v_cmp_ne_u32_e32 vcc, s8, v34
	v_mov_b32_e32 v58, 0xffff8000
	s_and_saveexec_b64 s[8:9], vcc
	s_cbranch_execz .LBB877_298
; %bb.295:
	v_bfe_u32 v37, v37, 24, 7
	s_movk_i32 s10, 0x7f
	v_cmp_ne_u32_e32 vcc, s10, v37
	v_mov_b32_e32 v58, 0x7f80
	s_and_saveexec_b64 s[10:11], vcc
	s_cbranch_execz .LBB877_297
; %bb.296:
	v_and_b32_e32 v58, 7, v34
	v_ffbh_u32_e32 v60, v58
	v_min_u32_e32 v63, 32, v60
	v_subrev_u32_e32 v60, 28, v63
	v_lshlrev_b64 v[60:61], v60, v[34:35]
	v_lshrrev_b32_e32 v62, 3, v37
	v_sub_u32_e32 v61, 29, v63
	v_and_b32_e32 v60, 7, v60
	v_cmp_gt_u32_e32 vcc, 8, v37
	v_cndmask_b32_e32 v37, v62, v61, vcc
	v_cndmask_b32_e32 v58, v58, v60, vcc
	v_lshlrev_b32_e32 v34, 24, v34
	v_bfrev_b32_e32 v60, 60
	v_lshlrev_b32_e32 v58, 20, v58
	v_and_b32_e32 v34, 0x80000000, v34
	v_lshl_add_u32 v37, v37, 23, v60
	v_or3_b32 v34, v34, v37, v58
	v_lshrrev_b32_e32 v58, 16, v34
.LBB877_297:
	s_or_b64 exec, exec, s[10:11]
.LBB877_298:
	s_or_b64 exec, exec, s[8:9]
.LBB877_299:
	s_or_b64 exec, exec, s[2:3]
	s_mov_b32 s2, 0x5040100
	v_perm_b32 v55, v55, v56, s2
	v_perm_b32 v54, v35, v54, s2
	;; [unrolled: 1-line block ×4, first 2 shown]
	v_mfma_f32_16x16x16bf16_1k v[60:63], v[54:55], v[18:19], v[42:45]
	s_nop 6
	v_mov_b32_e32 v43, 0
	s_waitcnt vmcnt(5)
	v_cmp_ne_u16_sdwa s[8:9], v22, v43 src0_sel:BYTE_0 src1_sel:DWORD
	v_mfma_f32_16x16x16bf16_1k v[34:37], v[34:35], v[20:21], v[60:63]
	v_mov_b32_e32 v44, 0
	s_and_saveexec_b64 s[2:3], s[8:9]
	s_cbranch_execz .LBB877_305
; %bb.300:
	s_movk_i32 s8, 0x80
	v_cmp_ne_u16_sdwa s[10:11], v22, s8 src0_sel:BYTE_0 src1_sel:DWORD
	v_mov_b32_e32 v44, 0xffff8000
	s_and_saveexec_b64 s[8:9], s[10:11]
	s_cbranch_execz .LBB877_304
; %bb.301:
	s_movk_i32 s10, 0x7f
	v_and_b32_e32 v42, 0x7f, v22
	v_cmp_ne_u32_e32 vcc, s10, v42
	v_mov_b32_e32 v44, 0x7f80
	s_and_saveexec_b64 s[10:11], vcc
	s_cbranch_execz .LBB877_303
; %bb.302:
	v_and_b32_e32 v54, 7, v22
	v_ffbh_u32_e32 v44, v54
	v_min_u32_e32 v56, 32, v44
	v_subrev_u32_e32 v44, 28, v56
	v_lshlrev_b64 v[44:45], v44, v[22:23]
	v_lshrrev_b32_e32 v55, 3, v42
	v_sub_u32_e32 v45, 29, v56
	v_and_b32_e32 v44, 7, v44
	v_cmp_gt_u32_e32 vcc, 8, v42
	v_cndmask_b32_e32 v42, v55, v45, vcc
	v_cndmask_b32_e32 v44, v54, v44, vcc
	v_lshlrev_b32_e32 v45, 24, v22
	v_bfrev_b32_e32 v54, 60
	v_lshlrev_b32_e32 v44, 20, v44
	v_and_b32_e32 v45, 0x80000000, v45
	v_lshl_add_u32 v42, v42, 23, v54
	v_or3_b32 v42, v45, v42, v44
	v_lshrrev_b32_e32 v44, 16, v42
.LBB877_303:
	s_or_b64 exec, exec, s[10:11]
.LBB877_304:
	s_or_b64 exec, exec, s[8:9]
.LBB877_305:
	s_or_b64 exec, exec, s[2:3]
	v_lshrrev_b16_e32 v42, 8, v22
	v_cmp_ne_u16_e32 vcc, 0, v42
	s_and_saveexec_b64 s[2:3], vcc
	s_cbranch_execz .LBB877_311
; %bb.306:
	s_movk_i32 s8, 0x80
	v_cmp_ne_u16_e32 vcc, s8, v42
	v_mov_b32_e32 v43, 0xffff8000
	s_and_saveexec_b64 s[8:9], vcc
	s_cbranch_execz .LBB877_310
; %bb.307:
	s_movk_i32 s10, 0x7f
	v_and_b32_e32 v45, 0x7f, v42
	v_cmp_ne_u32_e32 vcc, s10, v45
	v_mov_b32_e32 v43, 0x7f80
	s_and_saveexec_b64 s[10:11], vcc
	s_cbranch_execz .LBB877_309
; %bb.308:
	v_and_b32_e32 v54, 7, v42
	v_ffbh_u32_e32 v43, v54
	v_min_u32_e32 v56, 32, v43
	v_subrev_u32_e32 v43, 28, v56
	v_lshlrev_b64 v[42:43], v43, v[42:43]
	v_lshrrev_b32_e32 v55, 3, v45
	v_sub_u32_e32 v43, 29, v56
	v_and_b32_e32 v42, 7, v42
	v_cmp_gt_u32_e32 vcc, 8, v45
	v_cndmask_b32_e32 v43, v55, v43, vcc
	v_cndmask_b32_e32 v42, v54, v42, vcc
	v_lshlrev_b32_e32 v45, 16, v22
	v_bfrev_b32_e32 v54, 60
	v_lshlrev_b32_e32 v42, 20, v42
	v_and_b32_e32 v45, 0x80000000, v45
	v_lshl_add_u32 v43, v43, 23, v54
	v_or3_b32 v42, v45, v43, v42
	v_lshrrev_b32_e32 v43, 16, v42
.LBB877_309:
	s_or_b64 exec, exec, s[10:11]
.LBB877_310:
	s_or_b64 exec, exec, s[8:9]
.LBB877_311:
	s_or_b64 exec, exec, s[2:3]
	s_movk_i32 s2, 0xff
	v_and_b32_sdwa v55, v22, s2 dst_sel:DWORD dst_unused:UNUSED_PAD src0_sel:WORD_1 src1_sel:DWORD
	v_lshrrev_b32_e32 v42, 16, v22
	v_cmp_ne_u16_e32 vcc, 0, v55
	v_mov_b32_e32 v45, 0
	v_mov_b32_e32 v54, 0
	s_and_saveexec_b64 s[2:3], vcc
	s_cbranch_execz .LBB877_317
; %bb.312:
	s_movk_i32 s8, 0x80
	v_cmp_ne_u16_e32 vcc, s8, v55
	v_mov_b32_e32 v54, 0xffff8000
	s_and_saveexec_b64 s[8:9], vcc
	s_cbranch_execz .LBB877_316
; %bb.313:
	v_bfe_u32 v55, v22, 16, 7
	s_movk_i32 s10, 0x7f
	v_cmp_ne_u32_e32 vcc, s10, v55
	v_mov_b32_e32 v54, 0x7f80
	s_and_saveexec_b64 s[10:11], vcc
	s_cbranch_execz .LBB877_315
; %bb.314:
	v_and_b32_e32 v54, 7, v42
	v_ffbh_u32_e32 v56, v54
	v_min_u32_e32 v59, 32, v56
	v_subrev_u32_e32 v56, 28, v59
	v_lshlrev_b64 v[56:57], v56, v[42:43]
	v_lshrrev_b32_e32 v58, 3, v55
	v_sub_u32_e32 v42, 29, v59
	v_and_b32_e32 v56, 7, v56
	v_cmp_gt_u32_e32 vcc, 8, v55
	v_mov_b32_e32 v55, 24
	v_cndmask_b32_e32 v42, v58, v42, vcc
	v_cndmask_b32_e32 v54, v54, v56, vcc
	v_lshlrev_b32_sdwa v55, v55, v22 dst_sel:DWORD dst_unused:UNUSED_PAD src0_sel:DWORD src1_sel:WORD_1
	v_bfrev_b32_e32 v56, 60
	v_lshlrev_b32_e32 v54, 20, v54
	v_and_b32_e32 v55, 0x80000000, v55
	v_lshl_add_u32 v42, v42, 23, v56
	v_or3_b32 v42, v55, v42, v54
	v_lshrrev_b32_e32 v54, 16, v42
.LBB877_315:
	s_or_b64 exec, exec, s[10:11]
.LBB877_316:
	s_or_b64 exec, exec, s[8:9]
.LBB877_317:
	s_or_b64 exec, exec, s[2:3]
	s_mov_b32 s2, 0xffffff
	v_cmp_lt_u32_e32 vcc, s2, v22
	s_and_saveexec_b64 s[2:3], vcc
	s_cbranch_execz .LBB877_323
; %bb.318:
	v_lshrrev_b32_e32 v42, 24, v22
	s_movk_i32 s8, 0x80
	v_cmp_ne_u32_e32 vcc, s8, v42
	v_mov_b32_e32 v45, 0xffff8000
	s_and_saveexec_b64 s[8:9], vcc
	s_cbranch_execz .LBB877_322
; %bb.319:
	v_bfe_u32 v22, v22, 24, 7
	s_movk_i32 s10, 0x7f
	v_cmp_ne_u32_e32 vcc, s10, v22
	v_mov_b32_e32 v45, 0x7f80
	s_and_saveexec_b64 s[10:11], vcc
	s_cbranch_execz .LBB877_321
; %bb.320:
	v_and_b32_e32 v45, 7, v42
	v_ffbh_u32_e32 v56, v45
	v_min_u32_e32 v58, 32, v56
	v_subrev_u32_e32 v56, 28, v58
	v_lshlrev_b64 v[56:57], v56, v[42:43]
	v_lshrrev_b32_e32 v55, 3, v22
	v_sub_u32_e32 v57, 29, v58
	v_and_b32_e32 v56, 7, v56
	v_cmp_gt_u32_e32 vcc, 8, v22
	v_cndmask_b32_e32 v22, v55, v57, vcc
	v_cndmask_b32_e32 v45, v45, v56, vcc
	v_lshlrev_b32_e32 v42, 24, v42
	v_bfrev_b32_e32 v55, 60
	v_lshlrev_b32_e32 v45, 20, v45
	v_and_b32_e32 v42, 0x80000000, v42
	v_lshl_add_u32 v22, v22, 23, v55
	v_or3_b32 v22, v42, v22, v45
	v_lshrrev_b32_e32 v45, 16, v22
.LBB877_321:
	s_or_b64 exec, exec, s[10:11]
.LBB877_322:
	s_or_b64 exec, exec, s[8:9]
.LBB877_323:
	s_or_b64 exec, exec, s[2:3]
	v_mov_b32_e32 v42, 0
	v_cmp_ne_u16_sdwa s[8:9], v23, v42 src0_sel:BYTE_0 src1_sel:DWORD
	v_mov_b32_e32 v55, 0
	s_and_saveexec_b64 s[2:3], s[8:9]
	s_cbranch_execz .LBB877_329
; %bb.324:
	s_movk_i32 s8, 0x80
	v_cmp_ne_u16_sdwa s[10:11], v23, s8 src0_sel:BYTE_0 src1_sel:DWORD
	v_mov_b32_e32 v55, 0xffff8000
	s_and_saveexec_b64 s[8:9], s[10:11]
	s_cbranch_execz .LBB877_328
; %bb.325:
	s_movk_i32 s10, 0x7f
	v_and_b32_e32 v22, 0x7f, v23
	v_cmp_ne_u32_e32 vcc, s10, v22
	v_mov_b32_e32 v55, 0x7f80
	s_and_saveexec_b64 s[10:11], vcc
	s_cbranch_execz .LBB877_327
; %bb.326:
	v_and_b32_e32 v55, 7, v23
	v_ffbh_u32_e32 v57, v55
	v_min_u32_e32 v59, 32, v57
	v_mov_b32_e32 v56, v23
	v_subrev_u32_e32 v57, 28, v59
	v_lshlrev_b64 v[56:57], v57, v[56:57]
	v_lshrrev_b32_e32 v58, 3, v22
	v_sub_u32_e32 v57, 29, v59
	v_and_b32_e32 v56, 7, v56
	v_cmp_gt_u32_e32 vcc, 8, v22
	v_cndmask_b32_e32 v22, v58, v57, vcc
	v_cndmask_b32_e32 v55, v55, v56, vcc
	v_lshlrev_b32_e32 v56, 24, v23
	v_bfrev_b32_e32 v57, 60
	v_lshlrev_b32_e32 v55, 20, v55
	v_and_b32_e32 v56, 0x80000000, v56
	v_lshl_add_u32 v22, v22, 23, v57
	v_or3_b32 v22, v56, v22, v55
	v_lshrrev_b32_e32 v55, 16, v22
.LBB877_327:
	s_or_b64 exec, exec, s[10:11]
.LBB877_328:
	s_or_b64 exec, exec, s[8:9]
.LBB877_329:
	s_or_b64 exec, exec, s[2:3]
	v_lshrrev_b16_e32 v22, 8, v23
	v_cmp_ne_u16_e32 vcc, 0, v22
	s_and_saveexec_b64 s[2:3], vcc
	s_cbranch_execz .LBB877_335
; %bb.330:
	s_movk_i32 s8, 0x80
	v_cmp_ne_u16_e32 vcc, s8, v22
	v_mov_b32_e32 v42, 0xffff8000
	s_and_saveexec_b64 s[8:9], vcc
	s_cbranch_execz .LBB877_334
; %bb.331:
	s_movk_i32 s10, 0x7f
	v_and_b32_e32 v56, 0x7f, v22
	v_cmp_ne_u32_e32 vcc, s10, v56
	v_mov_b32_e32 v42, 0x7f80
	s_and_saveexec_b64 s[10:11], vcc
	s_cbranch_execz .LBB877_333
; %bb.332:
	v_and_b32_e32 v42, 7, v22
	v_ffbh_u32_e32 v58, v42
	v_min_u32_e32 v60, 32, v58
	v_subrev_u32_e32 v58, 28, v60
	v_lshlrev_b64 v[58:59], v58, v[22:23]
	v_lshrrev_b32_e32 v57, 3, v56
	v_sub_u32_e32 v22, 29, v60
	v_and_b32_e32 v58, 7, v58
	v_cmp_gt_u32_e32 vcc, 8, v56
	v_cndmask_b32_e32 v22, v57, v22, vcc
	v_cndmask_b32_e32 v42, v42, v58, vcc
	v_lshlrev_b32_e32 v56, 16, v23
	v_bfrev_b32_e32 v57, 60
	v_lshlrev_b32_e32 v42, 20, v42
	v_and_b32_e32 v56, 0x80000000, v56
	v_lshl_add_u32 v22, v22, 23, v57
	v_or3_b32 v22, v56, v22, v42
	v_lshrrev_b32_e32 v42, 16, v22
.LBB877_333:
	s_or_b64 exec, exec, s[10:11]
.LBB877_334:
	s_or_b64 exec, exec, s[8:9]
.LBB877_335:
	s_or_b64 exec, exec, s[2:3]
	s_movk_i32 s2, 0xff
	v_and_b32_sdwa v58, v23, s2 dst_sel:DWORD dst_unused:UNUSED_PAD src0_sel:WORD_1 src1_sel:DWORD
	v_lshrrev_b32_e32 v22, 16, v23
	v_cmp_ne_u16_e32 vcc, 0, v58
	v_mov_b32_e32 v56, 0
	v_mov_b32_e32 v57, 0
	s_and_saveexec_b64 s[2:3], vcc
	s_cbranch_execz .LBB877_341
; %bb.336:
	s_movk_i32 s8, 0x80
	v_cmp_ne_u16_e32 vcc, s8, v58
	v_mov_b32_e32 v57, 0xffff8000
	s_and_saveexec_b64 s[8:9], vcc
	s_cbranch_execz .LBB877_340
; %bb.337:
	v_bfe_u32 v58, v23, 16, 7
	s_movk_i32 s10, 0x7f
	v_cmp_ne_u32_e32 vcc, s10, v58
	v_mov_b32_e32 v57, 0x7f80
	s_and_saveexec_b64 s[10:11], vcc
	s_cbranch_execz .LBB877_339
; %bb.338:
	v_and_b32_e32 v57, 7, v22
	v_ffbh_u32_e32 v60, v57
	v_min_u32_e32 v62, 32, v60
	v_subrev_u32_e32 v60, 28, v62
	v_lshlrev_b64 v[60:61], v60, v[22:23]
	v_lshrrev_b32_e32 v59, 3, v58
	v_sub_u32_e32 v22, 29, v62
	v_and_b32_e32 v60, 7, v60
	v_cmp_gt_u32_e32 vcc, 8, v58
	v_mov_b32_e32 v58, 24
	v_cndmask_b32_e32 v22, v59, v22, vcc
	v_cndmask_b32_e32 v57, v57, v60, vcc
	v_lshlrev_b32_sdwa v58, v58, v23 dst_sel:DWORD dst_unused:UNUSED_PAD src0_sel:DWORD src1_sel:WORD_1
	v_bfrev_b32_e32 v59, 60
	v_lshlrev_b32_e32 v57, 20, v57
	v_and_b32_e32 v58, 0x80000000, v58
	v_lshl_add_u32 v22, v22, 23, v59
	v_or3_b32 v22, v58, v22, v57
	v_lshrrev_b32_e32 v57, 16, v22
.LBB877_339:
	s_or_b64 exec, exec, s[10:11]
.LBB877_340:
	s_or_b64 exec, exec, s[8:9]
.LBB877_341:
	s_or_b64 exec, exec, s[2:3]
	s_mov_b32 s2, 0xffffff
	v_cmp_lt_u32_e32 vcc, s2, v23
	s_and_saveexec_b64 s[2:3], vcc
	s_cbranch_execz .LBB877_347
; %bb.342:
	v_lshrrev_b32_e32 v22, 24, v23
	s_movk_i32 s8, 0x80
	v_cmp_ne_u32_e32 vcc, s8, v22
	v_mov_b32_e32 v56, 0xffff8000
	s_and_saveexec_b64 s[8:9], vcc
	s_cbranch_execz .LBB877_346
; %bb.343:
	v_bfe_u32 v23, v23, 24, 7
	s_movk_i32 s10, 0x7f
	v_cmp_ne_u32_e32 vcc, s10, v23
	v_mov_b32_e32 v56, 0x7f80
	s_and_saveexec_b64 s[10:11], vcc
	s_cbranch_execz .LBB877_345
; %bb.344:
	v_and_b32_e32 v56, 7, v22
	v_ffbh_u32_e32 v58, v56
	v_min_u32_e32 v61, 32, v58
	v_subrev_u32_e32 v58, 28, v61
	v_lshlrev_b64 v[58:59], v58, v[22:23]
	v_lshrrev_b32_e32 v60, 3, v23
	v_sub_u32_e32 v59, 29, v61
	v_and_b32_e32 v58, 7, v58
	v_cmp_gt_u32_e32 vcc, 8, v23
	v_cndmask_b32_e32 v23, v60, v59, vcc
	v_cndmask_b32_e32 v56, v56, v58, vcc
	v_lshlrev_b32_e32 v22, 24, v22
	v_bfrev_b32_e32 v58, 60
	v_lshlrev_b32_e32 v56, 20, v56
	v_and_b32_e32 v22, 0x80000000, v22
	v_lshl_add_u32 v23, v23, 23, v58
	v_or3_b32 v22, v22, v23, v56
	v_lshrrev_b32_e32 v56, 16, v22
.LBB877_345:
	s_or_b64 exec, exec, s[10:11]
.LBB877_346:
	s_or_b64 exec, exec, s[8:9]
.LBB877_347:
	s_or_b64 exec, exec, s[2:3]
	s_mov_b32 s2, 0x5040100
	v_perm_b32 v23, v45, v54, s2
	v_perm_b32 v22, v43, v44, s2
	s_nop 1
	v_mfma_f32_16x16x16bf16_1k v[58:61], v[22:23], v[26:27], 0
	v_perm_b32 v27, v56, v57, s2
	v_perm_b32 v26, v42, v55, s2
	v_mov_b32_e32 v23, 0
	v_cmp_ne_u16_sdwa s[8:9], v24, v23 src0_sel:BYTE_0 src1_sel:DWORD
	v_mov_b32_e32 v42, 0
	v_mfma_f32_16x16x16bf16_1k v[26:29], v[26:27], v[28:29], v[58:61]
	s_and_saveexec_b64 s[2:3], s[8:9]
	s_cbranch_execz .LBB877_353
; %bb.348:
	s_movk_i32 s8, 0x80
	v_cmp_ne_u16_sdwa s[10:11], v24, s8 src0_sel:BYTE_0 src1_sel:DWORD
	v_mov_b32_e32 v42, 0xffff8000
	s_and_saveexec_b64 s[8:9], s[10:11]
	s_cbranch_execz .LBB877_352
; %bb.349:
	s_movk_i32 s10, 0x7f
	v_and_b32_e32 v22, 0x7f, v24
	v_cmp_ne_u32_e32 vcc, s10, v22
	v_mov_b32_e32 v42, 0x7f80
	s_and_saveexec_b64 s[10:11], vcc
	s_cbranch_execz .LBB877_351
; %bb.350:
	v_and_b32_e32 v44, 7, v24
	v_ffbh_u32_e32 v42, v44
	v_min_u32_e32 v54, 32, v42
	v_subrev_u32_e32 v42, 28, v54
	v_lshlrev_b64 v[42:43], v42, v[24:25]
	v_lshrrev_b32_e32 v45, 3, v22
	v_sub_u32_e32 v43, 29, v54
	v_and_b32_e32 v42, 7, v42
	v_cmp_gt_u32_e32 vcc, 8, v22
	v_cndmask_b32_e32 v22, v45, v43, vcc
	v_cndmask_b32_e32 v42, v44, v42, vcc
	v_lshlrev_b32_e32 v43, 24, v24
	v_bfrev_b32_e32 v44, 60
	v_lshlrev_b32_e32 v42, 20, v42
	v_and_b32_e32 v43, 0x80000000, v43
	v_lshl_add_u32 v22, v22, 23, v44
	v_or3_b32 v22, v43, v22, v42
	v_lshrrev_b32_e32 v42, 16, v22
.LBB877_351:
	s_or_b64 exec, exec, s[10:11]
.LBB877_352:
	s_or_b64 exec, exec, s[8:9]
.LBB877_353:
	s_or_b64 exec, exec, s[2:3]
	v_lshrrev_b16_e32 v22, 8, v24
	v_cmp_ne_u16_e32 vcc, 0, v22
	s_and_saveexec_b64 s[2:3], vcc
	s_cbranch_execz .LBB877_359
; %bb.354:
	s_movk_i32 s8, 0x80
	v_cmp_ne_u16_e32 vcc, s8, v22
	v_mov_b32_e32 v23, 0xffff8000
	s_and_saveexec_b64 s[8:9], vcc
	s_cbranch_execz .LBB877_358
; %bb.355:
	s_movk_i32 s10, 0x7f
	v_and_b32_e32 v43, 0x7f, v22
	v_cmp_ne_u32_e32 vcc, s10, v43
	v_mov_b32_e32 v23, 0x7f80
	s_and_saveexec_b64 s[10:11], vcc
	s_cbranch_execz .LBB877_357
; %bb.356:
	v_and_b32_e32 v44, 7, v22
	v_ffbh_u32_e32 v23, v44
	v_min_u32_e32 v54, 32, v23
	v_subrev_u32_e32 v23, 28, v54
	v_lshlrev_b64 v[22:23], v23, v[22:23]
	v_lshrrev_b32_e32 v45, 3, v43
	v_sub_u32_e32 v23, 29, v54
	v_and_b32_e32 v22, 7, v22
	v_cmp_gt_u32_e32 vcc, 8, v43
	v_cndmask_b32_e32 v23, v45, v23, vcc
	v_cndmask_b32_e32 v22, v44, v22, vcc
	v_lshlrev_b32_e32 v43, 16, v24
	v_bfrev_b32_e32 v44, 60
	v_lshlrev_b32_e32 v22, 20, v22
	v_and_b32_e32 v43, 0x80000000, v43
	v_lshl_add_u32 v23, v23, 23, v44
	v_or3_b32 v22, v43, v23, v22
	v_lshrrev_b32_e32 v23, 16, v22
.LBB877_357:
	s_or_b64 exec, exec, s[10:11]
.LBB877_358:
	s_or_b64 exec, exec, s[8:9]
.LBB877_359:
	s_or_b64 exec, exec, s[2:3]
	s_movk_i32 s2, 0xff
	v_and_b32_sdwa v45, v24, s2 dst_sel:DWORD dst_unused:UNUSED_PAD src0_sel:WORD_1 src1_sel:DWORD
	v_lshrrev_b32_e32 v22, 16, v24
	v_cmp_ne_u16_e32 vcc, 0, v45
	v_mov_b32_e32 v43, 0
	v_mov_b32_e32 v44, 0
	s_and_saveexec_b64 s[2:3], vcc
	s_cbranch_execz .LBB877_365
; %bb.360:
	s_movk_i32 s8, 0x80
	v_cmp_ne_u16_e32 vcc, s8, v45
	v_mov_b32_e32 v44, 0xffff8000
	s_and_saveexec_b64 s[8:9], vcc
	s_cbranch_execz .LBB877_364
; %bb.361:
	v_bfe_u32 v45, v24, 16, 7
	s_movk_i32 s10, 0x7f
	v_cmp_ne_u32_e32 vcc, s10, v45
	v_mov_b32_e32 v44, 0x7f80
	s_and_saveexec_b64 s[10:11], vcc
	s_cbranch_execz .LBB877_363
; %bb.362:
	v_and_b32_e32 v44, 7, v22
	v_ffbh_u32_e32 v54, v44
	v_min_u32_e32 v57, 32, v54
	v_subrev_u32_e32 v54, 28, v57
	v_lshlrev_b64 v[54:55], v54, v[22:23]
	v_lshrrev_b32_e32 v56, 3, v45
	v_sub_u32_e32 v22, 29, v57
	v_and_b32_e32 v54, 7, v54
	v_cmp_gt_u32_e32 vcc, 8, v45
	v_mov_b32_e32 v45, 24
	v_cndmask_b32_e32 v22, v56, v22, vcc
	v_cndmask_b32_e32 v44, v44, v54, vcc
	v_lshlrev_b32_sdwa v45, v45, v24 dst_sel:DWORD dst_unused:UNUSED_PAD src0_sel:DWORD src1_sel:WORD_1
	v_bfrev_b32_e32 v54, 60
	v_lshlrev_b32_e32 v44, 20, v44
	v_and_b32_e32 v45, 0x80000000, v45
	v_lshl_add_u32 v22, v22, 23, v54
	v_or3_b32 v22, v45, v22, v44
	v_lshrrev_b32_e32 v44, 16, v22
.LBB877_363:
	s_or_b64 exec, exec, s[10:11]
.LBB877_364:
	s_or_b64 exec, exec, s[8:9]
.LBB877_365:
	s_or_b64 exec, exec, s[2:3]
	s_mov_b32 s2, 0xffffff
	v_cmp_lt_u32_e32 vcc, s2, v24
	s_and_saveexec_b64 s[2:3], vcc
	s_cbranch_execz .LBB877_371
; %bb.366:
	v_lshrrev_b32_e32 v22, 24, v24
	s_movk_i32 s8, 0x80
	v_cmp_ne_u32_e32 vcc, s8, v22
	v_mov_b32_e32 v43, 0xffff8000
	s_and_saveexec_b64 s[8:9], vcc
	s_cbranch_execz .LBB877_370
; %bb.367:
	v_bfe_u32 v24, v24, 24, 7
	s_movk_i32 s10, 0x7f
	v_cmp_ne_u32_e32 vcc, s10, v24
	v_mov_b32_e32 v43, 0x7f80
	s_and_saveexec_b64 s[10:11], vcc
	s_cbranch_execz .LBB877_369
; %bb.368:
	v_and_b32_e32 v43, 7, v22
	v_ffbh_u32_e32 v54, v43
	v_min_u32_e32 v56, 32, v54
	v_subrev_u32_e32 v54, 28, v56
	v_lshlrev_b64 v[54:55], v54, v[22:23]
	v_lshrrev_b32_e32 v45, 3, v24
	v_sub_u32_e32 v55, 29, v56
	v_and_b32_e32 v54, 7, v54
	v_cmp_gt_u32_e32 vcc, 8, v24
	v_cndmask_b32_e32 v24, v45, v55, vcc
	v_cndmask_b32_e32 v43, v43, v54, vcc
	v_lshlrev_b32_e32 v22, 24, v22
	v_bfrev_b32_e32 v45, 60
	v_lshlrev_b32_e32 v43, 20, v43
	v_and_b32_e32 v22, 0x80000000, v22
	v_lshl_add_u32 v24, v24, 23, v45
	v_or3_b32 v22, v22, v24, v43
	v_lshrrev_b32_e32 v43, 16, v22
.LBB877_369:
	s_or_b64 exec, exec, s[10:11]
.LBB877_370:
	s_or_b64 exec, exec, s[8:9]
.LBB877_371:
	s_or_b64 exec, exec, s[2:3]
	v_mov_b32_e32 v54, 0
	v_cmp_ne_u16_sdwa s[8:9], v25, v54 src0_sel:BYTE_0 src1_sel:DWORD
	v_mov_b32_e32 v55, 0
	s_and_saveexec_b64 s[2:3], s[8:9]
	s_cbranch_execz .LBB877_377
; %bb.372:
	s_movk_i32 s8, 0x80
	v_cmp_ne_u16_sdwa s[10:11], v25, s8 src0_sel:BYTE_0 src1_sel:DWORD
	v_mov_b32_e32 v55, 0xffff8000
	s_and_saveexec_b64 s[8:9], s[10:11]
	s_cbranch_execz .LBB877_376
; %bb.373:
	s_movk_i32 s10, 0x7f
	v_and_b32_e32 v22, 0x7f, v25
	v_cmp_ne_u32_e32 vcc, s10, v22
	v_mov_b32_e32 v55, 0x7f80
	s_and_saveexec_b64 s[10:11], vcc
	s_cbranch_execz .LBB877_375
; %bb.374:
	v_and_b32_e32 v45, 7, v25
	v_ffbh_u32_e32 v56, v45
	v_min_u32_e32 v58, 32, v56
	v_mov_b32_e32 v24, v25
	v_subrev_u32_e32 v56, 28, v58
	v_lshlrev_b64 v[56:57], v56, v[24:25]
	v_lshrrev_b32_e32 v55, 3, v22
	v_sub_u32_e32 v24, 29, v58
	v_and_b32_e32 v56, 7, v56
	v_cmp_gt_u32_e32 vcc, 8, v22
	v_cndmask_b32_e32 v22, v55, v24, vcc
	v_cndmask_b32_e32 v24, v45, v56, vcc
	v_lshlrev_b32_e32 v45, 24, v25
	v_bfrev_b32_e32 v55, 60
	v_lshlrev_b32_e32 v24, 20, v24
	v_and_b32_e32 v45, 0x80000000, v45
	v_lshl_add_u32 v22, v22, 23, v55
	v_or3_b32 v22, v45, v22, v24
	v_lshrrev_b32_e32 v55, 16, v22
.LBB877_375:
	s_or_b64 exec, exec, s[10:11]
.LBB877_376:
	s_or_b64 exec, exec, s[8:9]
.LBB877_377:
	s_or_b64 exec, exec, s[2:3]
	v_lshrrev_b16_e32 v22, 8, v25
	v_cmp_ne_u16_e32 vcc, 0, v22
	s_and_saveexec_b64 s[2:3], vcc
	s_cbranch_execz .LBB877_383
; %bb.378:
	s_movk_i32 s8, 0x80
	v_cmp_ne_u16_e32 vcc, s8, v22
	v_mov_b32_e32 v54, 0xffff8000
	s_and_saveexec_b64 s[8:9], vcc
	s_cbranch_execz .LBB877_382
; %bb.379:
	s_movk_i32 s10, 0x7f
	v_and_b32_e32 v24, 0x7f, v22
	v_cmp_ne_u32_e32 vcc, s10, v24
	v_mov_b32_e32 v54, 0x7f80
	s_and_saveexec_b64 s[10:11], vcc
	s_cbranch_execz .LBB877_381
; %bb.380:
	v_and_b32_e32 v45, 7, v22
	v_ffbh_u32_e32 v56, v45
	v_min_u32_e32 v58, 32, v56
	v_subrev_u32_e32 v56, 28, v58
	v_lshlrev_b64 v[56:57], v56, v[22:23]
	v_lshrrev_b32_e32 v54, 3, v24
	v_sub_u32_e32 v22, 29, v58
	v_and_b32_e32 v56, 7, v56
	v_cmp_gt_u32_e32 vcc, 8, v24
	v_cndmask_b32_e32 v22, v54, v22, vcc
	v_cndmask_b32_e32 v24, v45, v56, vcc
	v_lshlrev_b32_e32 v45, 16, v25
	v_bfrev_b32_e32 v54, 60
	v_lshlrev_b32_e32 v24, 20, v24
	v_and_b32_e32 v45, 0x80000000, v45
	v_lshl_add_u32 v22, v22, 23, v54
	v_or3_b32 v22, v45, v22, v24
	v_lshrrev_b32_e32 v54, 16, v22
.LBB877_381:
	s_or_b64 exec, exec, s[10:11]
.LBB877_382:
	s_or_b64 exec, exec, s[8:9]
.LBB877_383:
	s_or_b64 exec, exec, s[2:3]
	s_movk_i32 s2, 0xff
	v_and_b32_sdwa v24, v25, s2 dst_sel:DWORD dst_unused:UNUSED_PAD src0_sel:WORD_1 src1_sel:DWORD
	v_lshrrev_b32_e32 v22, 16, v25
	v_cmp_ne_u16_e32 vcc, 0, v24
	v_mov_b32_e32 v56, 0
	v_mov_b32_e32 v57, 0
	s_and_saveexec_b64 s[2:3], vcc
	s_cbranch_execz .LBB877_389
; %bb.384:
	s_movk_i32 s8, 0x80
	v_cmp_ne_u16_e32 vcc, s8, v24
	v_mov_b32_e32 v57, 0xffff8000
	s_and_saveexec_b64 s[8:9], vcc
	s_cbranch_execz .LBB877_388
; %bb.385:
	v_bfe_u32 v24, v25, 16, 7
	s_movk_i32 s10, 0x7f
	v_cmp_ne_u32_e32 vcc, s10, v24
	v_mov_b32_e32 v57, 0x7f80
	s_and_saveexec_b64 s[10:11], vcc
	s_cbranch_execz .LBB877_387
; %bb.386:
	v_and_b32_e32 v45, 7, v22
	v_ffbh_u32_e32 v58, v45
	v_min_u32_e32 v60, 32, v58
	v_subrev_u32_e32 v58, 28, v60
	v_lshlrev_b64 v[58:59], v58, v[22:23]
	v_and_b32_e32 v58, 7, v58
	v_cmp_gt_u32_e32 vcc, 8, v24
	v_lshrrev_b32_e32 v57, 3, v24
	v_sub_u32_e32 v22, 29, v60
	v_cndmask_b32_e32 v24, v45, v58, vcc
	v_mov_b32_e32 v45, 24
	v_cndmask_b32_e32 v22, v57, v22, vcc
	v_lshlrev_b32_sdwa v45, v45, v25 dst_sel:DWORD dst_unused:UNUSED_PAD src0_sel:DWORD src1_sel:WORD_1
	v_bfrev_b32_e32 v57, 60
	v_lshlrev_b32_e32 v24, 20, v24
	v_and_b32_e32 v45, 0x80000000, v45
	v_lshl_add_u32 v22, v22, 23, v57
	v_or3_b32 v22, v45, v22, v24
	v_lshrrev_b32_e32 v57, 16, v22
.LBB877_387:
	s_or_b64 exec, exec, s[10:11]
.LBB877_388:
	s_or_b64 exec, exec, s[8:9]
.LBB877_389:
	s_or_b64 exec, exec, s[2:3]
	s_mov_b32 s2, 0xffffff
	v_and_b32_e32 v45, 63, v0
	v_cmp_lt_u32_e32 vcc, s2, v25
	s_and_saveexec_b64 s[2:3], vcc
	s_cbranch_execz .LBB877_395
; %bb.390:
	v_lshrrev_b32_e32 v22, 24, v25
	s_movk_i32 s8, 0x80
	v_cmp_ne_u32_e32 vcc, s8, v22
	v_mov_b32_e32 v56, 0xffff8000
	s_and_saveexec_b64 s[8:9], vcc
	s_cbranch_execz .LBB877_394
; %bb.391:
	v_bfe_u32 v24, v25, 24, 7
	s_movk_i32 s10, 0x7f
	v_cmp_ne_u32_e32 vcc, s10, v24
	v_mov_b32_e32 v56, 0x7f80
	s_and_saveexec_b64 s[10:11], vcc
	s_cbranch_execz .LBB877_393
; %bb.392:
	v_and_b32_e32 v25, 7, v22
	v_ffbh_u32_e32 v58, v25
	v_min_u32_e32 v60, 32, v58
	v_subrev_u32_e32 v58, 28, v60
	v_lshlrev_b64 v[58:59], v58, v[22:23]
	v_lshrrev_b32_e32 v56, 3, v24
	v_sub_u32_e32 v59, 29, v60
	v_and_b32_e32 v58, 7, v58
	v_cmp_gt_u32_e32 vcc, 8, v24
	v_cndmask_b32_e32 v24, v56, v59, vcc
	v_cndmask_b32_e32 v25, v25, v58, vcc
	v_lshlrev_b32_e32 v22, 24, v22
	v_bfrev_b32_e32 v56, 60
	v_lshlrev_b32_e32 v25, 20, v25
	v_and_b32_e32 v22, 0x80000000, v22
	v_lshl_add_u32 v24, v24, 23, v56
	v_or3_b32 v22, v22, v24, v25
	v_lshrrev_b32_e32 v56, 16, v22
.LBB877_393:
	s_or_b64 exec, exec, s[10:11]
.LBB877_394:
	s_or_b64 exec, exec, s[8:9]
.LBB877_395:
	s_or_b64 exec, exec, s[2:3]
	s_mov_b32 s3, 0x5040100
	v_perm_b32 v43, v43, v44, s3
	v_perm_b32 v42, v23, v42, s3
	s_load_dword s2, s[4:5], 0x1c
	s_mov_b32 s46, 0xff7fffff
	s_waitcnt lgkmcnt(0)
	v_mfma_f32_16x16x16bf16_1k v[26:29], v[42:43], v[18:19], v[26:29]
	v_perm_b32 v19, v56, v57, s3
	v_perm_b32 v18, v54, v55, s3
	v_mov_b32_e32 v22, s2
	v_mul_f32_e32 v44, s12, v22
	v_pk_mul_f32 v[22:23], v[44:45], v[36:37] op_sel_hi:[0,1]
	v_pk_mul_f32 v[36:37], v[44:45], v[38:39] op_sel_hi:[0,1]
	v_and_b32_e32 v38, 0xc0, v0
	v_mfma_f32_16x16x16bf16_1k v[26:29], v[18:19], v[20:21], v[26:29]
	v_add_u32_e32 v38, s20, v38
	v_lshl_or_b32 v38, v1, 2, v38
	v_or_b32_e32 v39, 1, v38
	v_pk_mul_f32 v[24:25], v[44:45], v[34:35] op_sel_hi:[0,1]
	v_pk_mul_f32 v[34:35], v[44:45], v[40:41] op_sel_hi:[0,1]
	v_subrev_u32_e32 v40, s33, v39
	v_pk_mul_f32 v[30:31], v[44:45], v[30:31] op_sel_hi:[0,1]
	s_nop 3
	v_pk_mul_f32 v[20:21], v[44:45], v[26:27] op_sel_hi:[0,1]
	v_add_u32_e32 v27, 1, v40
	v_pk_mul_f32 v[18:19], v[44:45], v[28:29] op_sel_hi:[0,1]
	v_cvt_f32_i32_e32 v27, v27
	v_add_u32_e32 v29, 3, v40
	v_cvt_f32_i32_e32 v26, v40
	v_add_u32_e32 v28, 2, v40
	v_cvt_f32_i32_e32 v29, v29
	v_cvt_f32_i32_e32 v28, v28
	v_pk_mul_f32 v[32:33], v[44:45], v[32:33] op_sel_hi:[0,1]
	s_waitcnt vmcnt(4)
	v_fmac_f32_e32 v31, v47, v27
	v_add_u32_e32 v27, 16, v40
	v_fma_f32 v26, v47, v26, v30
	v_fmac_f32_e32 v33, v47, v29
	v_cvt_f32_i32_e32 v27, v27
	v_add_u32_e32 v29, 17, v40
	v_add_u32_e32 v30, 18, v40
	v_fma_f32 v28, v47, v28, v32
	v_cvt_f32_i32_e32 v29, v29
	v_cvt_f32_i32_e32 v30, v30
	v_add_u32_e32 v32, 19, v40
	v_cvt_f32_i32_e32 v32, v32
	v_fma_f32 v36, v47, v27, v36
	v_add_u32_e32 v27, 32, v40
	v_fmac_f32_e32 v37, v47, v29
	v_fma_f32 v41, v47, v30, v34
	v_cvt_f32_i32_e32 v27, v27
	v_add_u32_e32 v29, 33, v40
	v_add_u32_e32 v30, 34, v40
	v_fmac_f32_e32 v35, v47, v32
	v_cvt_f32_i32_e32 v29, v29
	v_cvt_f32_i32_e32 v30, v30
	v_add_u32_e32 v32, 35, v40
	v_cvt_f32_i32_e32 v32, v32
	v_fma_f32 v24, v47, v27, v24
	v_add_u32_e32 v27, 48, v40
	v_fmac_f32_e32 v25, v47, v29
	v_fma_f32 v22, v47, v30, v22
	v_cvt_f32_i32_e32 v27, v27
	v_add_u32_e32 v29, 49, v40
	v_add_u32_e32 v30, 50, v40
	v_fmac_f32_e32 v23, v47, v32
	v_cvt_f32_i32_e32 v29, v29
	v_cvt_f32_i32_e32 v30, v30
	v_add_u32_e32 v32, 51, v40
	v_cvt_f32_i32_e32 v32, v32
	v_fma_f32 v20, v47, v27, v20
	v_mov_b32_e32 v27, 0xff7fffff
	v_cmp_gt_i32_e64 s[26:27], s33, v38
	v_cmp_gt_i32_e64 s[28:29], s33, v39
	v_fmac_f32_e32 v21, v47, v29
	v_fma_f32 v18, v47, v30, v18
	v_cndmask_b32_e64 v29, v27, v26, s[26:27]
	v_cndmask_b32_e64 v30, v27, v31, s[28:29]
	v_fmac_f32_e32 v19, v47, v32
	v_max3_f32 v29, v29, s46, v30
	v_or_b32_e32 v30, 2, v38
	v_or_b32_e32 v32, 3, v38
	v_cmp_gt_i32_e64 s[30:31], s33, v30
	v_cmp_gt_i32_e64 s[34:35], s33, v32
	v_cndmask_b32_e64 v30, v27, v28, s[30:31]
	v_cndmask_b32_e64 v32, v27, v33, s[34:35]
	v_max3_f32 v29, v29, v30, v32
	v_or_b32_e32 v30, 16, v38
	v_or_b32_e32 v32, 17, v38
	v_cmp_gt_i32_e64 s[36:37], s33, v30
	v_cmp_gt_i32_e64 s[38:39], s33, v32
	v_cndmask_b32_e64 v30, v27, v36, s[36:37]
	v_cndmask_b32_e64 v32, v27, v37, s[38:39]
	v_max3_f32 v29, v29, v30, v32
	v_or_b32_e32 v30, 18, v38
	v_or_b32_e32 v32, 19, v38
	v_cmp_gt_i32_e64 s[20:21], s33, v30
	v_cmp_gt_i32_e64 s[22:23], s33, v32
	v_cndmask_b32_e64 v30, v27, v41, s[20:21]
	v_cndmask_b32_e64 v32, v27, v35, s[22:23]
	v_max3_f32 v29, v29, v30, v32
	v_or_b32_e32 v30, 32, v38
	v_or_b32_e32 v32, 33, v38
	v_cmp_gt_i32_e64 s[16:17], s33, v30
	v_cmp_gt_i32_e64 s[18:19], s33, v32
	v_cndmask_b32_e64 v30, v27, v24, s[16:17]
	v_cndmask_b32_e64 v32, v27, v25, s[18:19]
	v_max3_f32 v29, v29, v30, v32
	v_or_b32_e32 v30, 34, v38
	v_or_b32_e32 v32, 35, v38
	v_cmp_gt_i32_e64 s[12:13], s33, v30
	v_cmp_gt_i32_e64 s[14:15], s33, v32
	v_cndmask_b32_e64 v30, v27, v22, s[12:13]
	v_cndmask_b32_e64 v32, v27, v23, s[14:15]
	v_max3_f32 v29, v29, v30, v32
	v_or_b32_e32 v30, 48, v38
	v_or_b32_e32 v32, 49, v38
	v_cmp_gt_i32_e64 s[8:9], s33, v30
	v_cmp_gt_i32_e64 s[10:11], s33, v32
	v_cndmask_b32_e64 v30, v27, v20, s[8:9]
	v_cndmask_b32_e64 v32, v27, v21, s[10:11]
	v_max3_f32 v29, v29, v30, v32
	v_or_b32_e32 v30, 50, v38
	v_or_b32_e32 v32, 51, v38
	v_cmp_gt_i32_e32 vcc, s33, v30
	v_cmp_gt_i32_e64 s[2:3], s33, v32
	v_cndmask_b32_e32 v30, v27, v18, vcc
	v_cndmask_b32_e64 v27, v27, v19, s[2:3]
	v_max3_f32 v27, v29, v30, v27
	v_mbcnt_lo_u32_b32 v29, -1, 0
	v_mbcnt_hi_u32_b32 v29, -1, v29
	v_and_b32_e32 v30, 64, v29
	v_add_u32_e32 v30, 64, v30
	v_xor_b32_e32 v32, 32, v29
	v_cmp_lt_i32_e64 s[40:41], v32, v30
	v_cndmask_b32_e64 v32, v29, v32, s[40:41]
	v_lshlrev_b32_e32 v38, 2, v32
	ds_bpermute_b32 v32, v38, v27
	s_barrier
	s_waitcnt lgkmcnt(0)
	v_max_f32_e32 v32, v32, v32
	v_max_f32_e32 v27, v27, v32
	v_xor_b32_e32 v32, 16, v29
	v_cmp_lt_i32_e64 s[40:41], v32, v30
	v_cndmask_b32_e64 v29, v29, v32, s[40:41]
	v_lshlrev_b32_e32 v39, 2, v29
	ds_bpermute_b32 v29, v39, v27
	s_waitcnt lgkmcnt(0)
	v_max_f32_e32 v29, v29, v29
	v_max_f32_e32 v34, v27, v29
	v_sub_f32_e32 v26, v26, v34
	v_mul_f32_e32 v26, 0x3fb8aa3b, v26
	v_sub_f32_e32 v27, v31, v34
	v_exp_f32_e32 v26, v26
	v_mul_f32_e32 v27, 0x3fb8aa3b, v27
	v_sub_f32_e32 v28, v28, v34
	v_exp_f32_e32 v27, v27
	v_mul_f32_e32 v28, 0x3fb8aa3b, v28
	v_exp_f32_e32 v28, v28
	v_cndmask_b32_e64 v26, 0, v26, s[26:27]
	v_sub_f32_e32 v30, v33, v34
	v_add_f32_e32 v29, 0, v26
	v_cndmask_b32_e64 v27, 0, v27, s[28:29]
	v_mul_f32_e32 v30, 0x3fb8aa3b, v30
	v_exp_f32_e32 v31, v30
	v_add_f32_e32 v29, v29, v27
	v_cndmask_b32_e64 v30, 0, v28, s[30:31]
	v_add_f32_e32 v28, v29, v30
	v_sub_f32_e32 v29, v36, v34
	v_sub_f32_e32 v32, v37, v34
	v_mul_f32_e32 v29, 0x3fb8aa3b, v29
	v_mul_f32_e32 v32, 0x3fb8aa3b, v32
	v_exp_f32_e32 v29, v29
	v_exp_f32_e32 v32, v32
	v_cndmask_b32_e64 v31, 0, v31, s[34:35]
	v_add_f32_e32 v33, v28, v31
	v_cndmask_b32_e64 v28, 0, v29, s[36:37]
	v_cndmask_b32_e64 v29, 0, v32, s[38:39]
	v_sub_f32_e32 v32, v41, v34
	v_mul_f32_e32 v32, 0x3fb8aa3b, v32
	v_sub_f32_e32 v35, v35, v34
	v_exp_f32_e32 v32, v32
	v_mul_f32_e32 v35, 0x3fb8aa3b, v35
	v_sub_f32_e32 v24, v24, v34
	v_exp_f32_e32 v35, v35
	;; [unrolled: 3-line block ×3, first 2 shown]
	v_mul_f32_e32 v25, 0x3fb8aa3b, v25
	v_sub_f32_e32 v22, v22, v34
	v_add_f32_e32 v33, v33, v28
	v_exp_f32_e32 v25, v25
	v_mul_f32_e32 v22, 0x3fb8aa3b, v22
	v_sub_f32_e32 v23, v23, v34
	v_add_f32_e32 v33, v33, v29
	v_cndmask_b32_e64 v32, 0, v32, s[20:21]
	v_exp_f32_e32 v22, v22
	v_mul_f32_e32 v23, 0x3fb8aa3b, v23
	v_sub_f32_e32 v20, v20, v34
	v_add_f32_e32 v36, v33, v32
	v_cndmask_b32_e64 v33, 0, v35, s[22:23]
	;; [unrolled: 5-line block ×5, first 2 shown]
	v_exp_f32_e32 v18, v18
	v_mul_f32_e32 v19, 0x3fb8aa3b, v19
	v_add_f32_e32 v35, v35, v22
	v_cndmask_b32_e64 v23, 0, v23, s[14:15]
	v_exp_f32_e32 v19, v19
	v_add_f32_e32 v35, v35, v23
	v_cndmask_b32_e64 v20, 0, v20, s[8:9]
	v_add_f32_e32 v35, v35, v20
	v_cndmask_b32_e64 v21, 0, v21, s[10:11]
	v_add_f32_e32 v35, v35, v21
	v_cndmask_b32_e32 v18, 0, v18, vcc
	v_add_f32_e32 v35, v35, v18
	v_cndmask_b32_e64 v19, 0, v19, s[2:3]
	v_add_f32_e32 v35, v35, v19
	ds_bpermute_b32 v36, v38, v35
	v_cmp_gt_u32_e32 vcc, 16, v45
	s_waitcnt lgkmcnt(0)
	v_add_f32_e32 v36, v35, v36
	ds_bpermute_b32 v37, v39, v36
	v_lshlrev_b32_e32 v35, 2, v53
	s_and_saveexec_b64 s[2:3], vcc
	s_cbranch_execz .LBB877_397
; %bb.396:
	s_waitcnt lgkmcnt(0)
	v_add_f32_e32 v36, v36, v37
	v_lshl_or_b32 v37, v51, 6, v35
	ds_write2st64_b32 v37, v34, v36 offset1:1
.LBB877_397:
	s_or_b64 exec, exec, s[2:3]
	s_waitcnt lgkmcnt(0)
	s_barrier
	ds_read2_b32 v[36:37], v35 offset1:16
	ds_read2_b32 v[38:39], v35 offset0:32 offset1:48
	ds_read2_b32 v[40:41], v35 offset0:64 offset1:80
	s_lshl_b32 s12, s45, 4
	s_waitcnt lgkmcnt(2)
	v_max3_f32 v34, v36, s46, v37
	s_waitcnt lgkmcnt(1)
	v_max3_f32 v34, v34, v38, v39
	v_sub_f32_e32 v36, v36, v34
	v_mul_f32_e32 v36, 0x3fb8aa3b, v36
	v_exp_f32_e32 v42, v36
	v_sub_f32_e32 v36, v37, v34
	v_mul_f32_e32 v36, 0x3fb8aa3b, v36
	v_exp_f32_e32 v43, v36
	;; [unrolled: 3-line block ×3, first 2 shown]
	ds_read2_b32 v[36:37], v35 offset0:96 offset1:112
	v_sub_f32_e32 v35, v39, v34
	v_mul_f32_e32 v35, 0x3fb8aa3b, v35
	v_exp_f32_e32 v39, v35
	s_waitcnt lgkmcnt(1)
	v_fma_f32 v35, v42, v40, 0
	v_fmac_f32_e32 v35, v43, v41
	s_waitcnt lgkmcnt(0)
	v_fmac_f32_e32 v35, v38, v36
	v_fmac_f32_e32 v35, v39, v37
	v_add_f32_e32 v36, 0x358637bd, v35
	v_div_scale_f32 v37, s[2:3], v36, v36, 1.0
	v_rcp_f32_e32 v40, v37
	s_movk_i32 s2, 0x7fff
	s_mov_b32 s3, 0x7060302
	v_fma_f32 v41, -v37, v40, 1.0
	v_fmac_f32_e32 v40, v41, v40
	v_div_scale_f32 v41, vcc, 1.0, v36, 1.0
	v_mul_f32_e32 v44, v41, v40
	v_fma_f32 v45, -v37, v44, v41
	v_fmac_f32_e32 v44, v45, v40
	v_fma_f32 v37, -v37, v44, v41
	v_div_fmas_f32 v37, v37, v40, v44
	v_cmp_eq_u32_e32 vcc, 1, v51
	v_div_fixup_f32 v36, v37, v36, 1.0
	v_cndmask_b32_e32 v37, v42, v43, vcc
	v_cmp_eq_u32_e32 vcc, 2, v51
	v_cndmask_b32_e32 v37, v37, v38, vcc
	v_cmp_eq_u32_e32 vcc, 3, v51
	v_cndmask_b32_e32 v37, v37, v39, vcc
	v_mul_f32_e32 v36, v37, v36
	v_pk_mul_f32 v[26:27], v[36:37], v[26:27] op_sel_hi:[0,1]
	v_pk_mul_f32 v[30:31], v[36:37], v[30:31] op_sel_hi:[0,1]
	v_bfe_u32 v37, v27, 16, 1
	v_bfe_u32 v38, v26, 16, 1
	v_add3_u32 v26, v26, v38, s2
	v_add3_u32 v27, v27, v37, s2
	v_perm_b32 v38, v27, v26, s3
	v_bfe_u32 v26, v31, 16, 1
	v_bfe_u32 v27, v30, 16, 1
	v_add3_u32 v27, v30, v27, s2
	v_add3_u32 v26, v31, v26, s2
	v_perm_b32 v39, v26, v27, s3
	v_lshlrev_b32_e32 v26, 3, v1
	v_lshlrev_b32_e32 v27, 11, v51
	v_pk_mul_f32 v[28:29], v[36:37], v[28:29] op_sel_hi:[0,1]
	v_or3_b32 v26, v27, v52, v26
	v_pk_mul_f32 v[30:31], v[36:37], v[32:33] op_sel_hi:[0,1]
	v_bfe_u32 v27, v29, 16, 1
	v_bfe_u32 v32, v28, 16, 1
	v_add3_u32 v28, v28, v32, s2
	v_add3_u32 v27, v29, v27, s2
	v_perm_b32 v28, v27, v28, s3
	v_bfe_u32 v27, v31, 16, 1
	v_bfe_u32 v29, v30, 16, 1
	v_add3_u32 v29, v30, v29, s2
	v_add3_u32 v27, v31, v27, s2
	v_perm_b32 v29, v27, v29, s3
	v_pk_mul_f32 v[24:25], v[36:37], v[24:25] op_sel_hi:[0,1]
	s_barrier
	ds_write2st64_b64 v26, v[38:39], v[28:29] offset1:1
	v_bfe_u32 v27, v25, 16, 1
	v_bfe_u32 v28, v24, 16, 1
	v_pk_mul_f32 v[22:23], v[36:37], v[22:23] op_sel_hi:[0,1]
	v_add3_u32 v24, v24, v28, s2
	v_add3_u32 v25, v25, v27, s2
	v_perm_b32 v24, v25, v24, s3
	v_bfe_u32 v25, v23, 16, 1
	v_bfe_u32 v27, v22, 16, 1
	v_add3_u32 v22, v22, v27, s2
	v_add3_u32 v23, v23, v25, s2
	v_pk_mul_f32 v[20:21], v[36:37], v[20:21] op_sel_hi:[0,1]
	v_perm_b32 v25, v23, v22, s3
	v_bfe_u32 v22, v21, 16, 1
	v_bfe_u32 v23, v20, 16, 1
	v_pk_mul_f32 v[18:19], v[36:37], v[18:19] op_sel_hi:[0,1]
	v_add3_u32 v20, v20, v23, s2
	v_add3_u32 v21, v21, v22, s2
	v_perm_b32 v20, v21, v20, s3
	v_bfe_u32 v21, v19, 16, 1
	v_bfe_u32 v22, v18, 16, 1
	v_add3_u32 v18, v18, v22, s2
	v_add3_u32 v19, v19, v21, s2
	v_perm_b32 v21, v19, v18, s3
	v_cmp_gt_u32_e32 vcc, 16, v0
	ds_write2st64_b64 v26, v[24:25], v[20:21] offset0:2 offset1:3
	s_and_saveexec_b64 s[2:3], vcc
	s_cbranch_execz .LBB877_399
; %bb.398:
	v_mov_b32_e32 v47, 0
	v_mov_b32_e32 v18, s12
	s_mul_i32 s7, s7, s12
	v_mad_u64_u32 v[18:19], s[14:15], s6, v18, v[46:47]
	v_mov_b32_e32 v46, s24
	s_load_dwordx4 s[8:11], s[4:5], 0x58
	v_add_u32_e32 v21, s7, v19
	v_mad_u64_u32 v[18:19], s[14:15], v18, s44, v[46:47]
	v_mov_b32_e32 v20, v19
	v_mad_u64_u32 v[20:21], s[14:15], v21, s44, v[20:21]
	v_mov_b32_e32 v19, v20
	v_lshlrev_b64 v[18:19], 2, v[18:19]
	s_waitcnt lgkmcnt(0)
	v_mov_b32_e32 v21, s11
	v_add_co_u32_e32 v20, vcc, s10, v18
	v_addc_co_u32_e32 v21, vcc, v21, v19, vcc
	global_store_dword v[20:21], v34, off
	v_mov_b32_e32 v20, s9
	v_add_co_u32_e32 v18, vcc, s8, v18
	v_addc_co_u32_e32 v19, vcc, v20, v19, vcc
	global_store_dword v[18:19], v35, off
.LBB877_399:
	s_or_b64 exec, exec, s[2:3]
	v_mov_b32_e32 v19, 0
	s_waitcnt vmcnt(3)
	v_cmp_ne_u16_sdwa s[8:9], v14, v19 src0_sel:BYTE_0 src1_sel:DWORD
	v_mov_b32_e32 v20, 0
	s_waitcnt lgkmcnt(0)
	s_barrier
	s_and_saveexec_b64 s[2:3], s[8:9]
	s_cbranch_execz .LBB877_405
; %bb.400:
	s_movk_i32 s7, 0x80
	v_cmp_ne_u16_sdwa s[10:11], v14, s7 src0_sel:BYTE_0 src1_sel:DWORD
	v_mov_b32_e32 v20, 0xffff8000
	s_and_saveexec_b64 s[8:9], s[10:11]
	s_cbranch_execz .LBB877_404
; %bb.401:
	s_movk_i32 s7, 0x7f
	v_and_b32_e32 v18, 0x7f, v14
	v_cmp_ne_u32_e32 vcc, s7, v18
	v_mov_b32_e32 v20, 0x7f80
	s_and_saveexec_b64 s[10:11], vcc
	s_cbranch_execz .LBB877_403
; %bb.402:
	v_and_b32_e32 v22, 7, v14
	v_ffbh_u32_e32 v20, v22
	v_min_u32_e32 v24, 32, v20
	v_subrev_u32_e32 v20, 28, v24
	v_lshlrev_b64 v[20:21], v20, v[14:15]
	v_lshrrev_b32_e32 v23, 3, v18
	v_sub_u32_e32 v21, 29, v24
	v_and_b32_e32 v20, 7, v20
	v_cmp_gt_u32_e32 vcc, 8, v18
	v_cndmask_b32_e32 v18, v23, v21, vcc
	v_cndmask_b32_e32 v20, v22, v20, vcc
	v_lshlrev_b32_e32 v21, 24, v14
	v_bfrev_b32_e32 v22, 60
	v_lshlrev_b32_e32 v20, 20, v20
	v_and_b32_e32 v21, 0x80000000, v21
	v_lshl_add_u32 v18, v18, 23, v22
	v_or3_b32 v18, v21, v18, v20
	v_lshrrev_b32_e32 v20, 16, v18
.LBB877_403:
	s_or_b64 exec, exec, s[10:11]
.LBB877_404:
	s_or_b64 exec, exec, s[8:9]
.LBB877_405:
	s_or_b64 exec, exec, s[2:3]
	v_lshrrev_b16_e32 v18, 8, v14
	v_cmp_ne_u16_e32 vcc, 0, v18
	s_and_saveexec_b64 s[2:3], vcc
	s_cbranch_execz .LBB877_411
; %bb.406:
	s_movk_i32 s7, 0x80
	v_cmp_ne_u16_e32 vcc, s7, v18
	v_mov_b32_e32 v19, 0xffff8000
	s_and_saveexec_b64 s[8:9], vcc
	s_cbranch_execz .LBB877_410
; %bb.407:
	s_movk_i32 s7, 0x7f
	v_and_b32_e32 v21, 0x7f, v18
	v_cmp_ne_u32_e32 vcc, s7, v21
	v_mov_b32_e32 v19, 0x7f80
	s_and_saveexec_b64 s[10:11], vcc
	s_cbranch_execz .LBB877_409
; %bb.408:
	v_and_b32_e32 v22, 7, v18
	v_ffbh_u32_e32 v19, v22
	v_min_u32_e32 v24, 32, v19
	v_subrev_u32_e32 v19, 28, v24
	v_lshlrev_b64 v[18:19], v19, v[18:19]
	v_lshrrev_b32_e32 v23, 3, v21
	v_sub_u32_e32 v19, 29, v24
	v_and_b32_e32 v18, 7, v18
	v_cmp_gt_u32_e32 vcc, 8, v21
	v_cndmask_b32_e32 v19, v23, v19, vcc
	v_cndmask_b32_e32 v18, v22, v18, vcc
	v_lshlrev_b32_e32 v21, 16, v14
	v_bfrev_b32_e32 v22, 60
	v_lshlrev_b32_e32 v18, 20, v18
	v_and_b32_e32 v21, 0x80000000, v21
	v_lshl_add_u32 v19, v19, 23, v22
	v_or3_b32 v18, v21, v19, v18
	v_lshrrev_b32_e32 v19, 16, v18
.LBB877_409:
	s_or_b64 exec, exec, s[10:11]
.LBB877_410:
	s_or_b64 exec, exec, s[8:9]
.LBB877_411:
	s_or_b64 exec, exec, s[2:3]
	s_movk_i32 s2, 0xff
	v_and_b32_sdwa v23, v14, s2 dst_sel:DWORD dst_unused:UNUSED_PAD src0_sel:WORD_1 src1_sel:DWORD
	v_lshrrev_b32_e32 v18, 16, v14
	v_cmp_ne_u16_e32 vcc, 0, v23
	v_mov_b32_e32 v21, 0
	v_mov_b32_e32 v22, 0
	s_and_saveexec_b64 s[2:3], vcc
	s_cbranch_execz .LBB877_417
; %bb.412:
	s_movk_i32 s7, 0x80
	v_cmp_ne_u16_e32 vcc, s7, v23
	v_mov_b32_e32 v22, 0xffff8000
	s_and_saveexec_b64 s[8:9], vcc
	s_cbranch_execz .LBB877_416
; %bb.413:
	v_bfe_u32 v23, v14, 16, 7
	s_movk_i32 s7, 0x7f
	v_cmp_ne_u32_e32 vcc, s7, v23
	v_mov_b32_e32 v22, 0x7f80
	s_and_saveexec_b64 s[10:11], vcc
	s_cbranch_execz .LBB877_415
; %bb.414:
	v_and_b32_e32 v22, 7, v18
	v_ffbh_u32_e32 v24, v22
	v_min_u32_e32 v28, 32, v24
	v_subrev_u32_e32 v24, 28, v28
	v_lshlrev_b64 v[24:25], v24, v[18:19]
	v_lshrrev_b32_e32 v27, 3, v23
	v_sub_u32_e32 v18, 29, v28
	v_and_b32_e32 v24, 7, v24
	v_cmp_gt_u32_e32 vcc, 8, v23
	v_mov_b32_e32 v23, 24
	v_cndmask_b32_e32 v18, v27, v18, vcc
	v_cndmask_b32_e32 v22, v22, v24, vcc
	v_lshlrev_b32_sdwa v23, v23, v14 dst_sel:DWORD dst_unused:UNUSED_PAD src0_sel:DWORD src1_sel:WORD_1
	v_bfrev_b32_e32 v24, 60
	v_lshlrev_b32_e32 v22, 20, v22
	v_and_b32_e32 v23, 0x80000000, v23
	v_lshl_add_u32 v18, v18, 23, v24
	v_or3_b32 v18, v23, v18, v22
	v_lshrrev_b32_e32 v22, 16, v18
.LBB877_415:
	s_or_b64 exec, exec, s[10:11]
.LBB877_416:
	s_or_b64 exec, exec, s[8:9]
.LBB877_417:
	s_or_b64 exec, exec, s[2:3]
	s_mov_b32 s2, 0xffffff
	v_cmp_lt_u32_e32 vcc, s2, v14
	s_and_saveexec_b64 s[2:3], vcc
	s_cbranch_execz .LBB877_423
; %bb.418:
	v_lshrrev_b32_e32 v18, 24, v14
	s_movk_i32 s7, 0x80
	v_cmp_ne_u32_e32 vcc, s7, v18
	v_mov_b32_e32 v21, 0xffff8000
	s_and_saveexec_b64 s[8:9], vcc
	s_cbranch_execz .LBB877_422
; %bb.419:
	v_bfe_u32 v14, v14, 24, 7
	s_movk_i32 s7, 0x7f
	v_cmp_ne_u32_e32 vcc, s7, v14
	v_mov_b32_e32 v21, 0x7f80
	s_and_saveexec_b64 s[10:11], vcc
	s_cbranch_execz .LBB877_421
; %bb.420:
	v_and_b32_e32 v21, 7, v18
	v_ffbh_u32_e32 v24, v21
	v_min_u32_e32 v27, 32, v24
	v_subrev_u32_e32 v24, 28, v27
	v_lshlrev_b64 v[24:25], v24, v[18:19]
	v_lshrrev_b32_e32 v23, 3, v14
	v_sub_u32_e32 v25, 29, v27
	v_and_b32_e32 v24, 7, v24
	v_cmp_gt_u32_e32 vcc, 8, v14
	v_cndmask_b32_e32 v14, v23, v25, vcc
	v_cndmask_b32_e32 v21, v21, v24, vcc
	v_lshlrev_b32_e32 v18, 24, v18
	v_bfrev_b32_e32 v23, 60
	v_lshlrev_b32_e32 v21, 20, v21
	v_and_b32_e32 v18, 0x80000000, v18
	v_lshl_add_u32 v14, v14, 23, v23
	v_or3_b32 v14, v18, v14, v21
	v_lshrrev_b32_e32 v21, 16, v14
.LBB877_421:
	s_or_b64 exec, exec, s[10:11]
.LBB877_422:
	s_or_b64 exec, exec, s[8:9]
.LBB877_423:
	s_or_b64 exec, exec, s[2:3]
	v_mov_b32_e32 v18, 0
	v_cmp_ne_u16_sdwa s[8:9], v15, v18 src0_sel:BYTE_0 src1_sel:DWORD
	v_mov_b32_e32 v23, 0
	s_and_saveexec_b64 s[2:3], s[8:9]
	s_cbranch_execz .LBB877_429
; %bb.424:
	s_movk_i32 s7, 0x80
	v_cmp_ne_u16_sdwa s[10:11], v15, s7 src0_sel:BYTE_0 src1_sel:DWORD
	v_mov_b32_e32 v23, 0xffff8000
	s_and_saveexec_b64 s[8:9], s[10:11]
	s_cbranch_execz .LBB877_428
; %bb.425:
	s_movk_i32 s7, 0x7f
	v_and_b32_e32 v14, 0x7f, v15
	v_cmp_ne_u32_e32 vcc, s7, v14
	v_mov_b32_e32 v23, 0x7f80
	s_and_saveexec_b64 s[10:11], vcc
	s_cbranch_execz .LBB877_427
; %bb.426:
	v_and_b32_e32 v23, 7, v15
	v_ffbh_u32_e32 v25, v23
	v_min_u32_e32 v28, 32, v25
	v_mov_b32_e32 v24, v15
	v_subrev_u32_e32 v25, 28, v28
	v_lshlrev_b64 v[24:25], v25, v[24:25]
	v_lshrrev_b32_e32 v27, 3, v14
	v_sub_u32_e32 v25, 29, v28
	v_and_b32_e32 v24, 7, v24
	v_cmp_gt_u32_e32 vcc, 8, v14
	v_cndmask_b32_e32 v14, v27, v25, vcc
	v_cndmask_b32_e32 v23, v23, v24, vcc
	v_lshlrev_b32_e32 v24, 24, v15
	v_bfrev_b32_e32 v25, 60
	v_lshlrev_b32_e32 v23, 20, v23
	v_and_b32_e32 v24, 0x80000000, v24
	v_lshl_add_u32 v14, v14, 23, v25
	v_or3_b32 v14, v24, v14, v23
	v_lshrrev_b32_e32 v23, 16, v14
.LBB877_427:
	s_or_b64 exec, exec, s[10:11]
.LBB877_428:
	s_or_b64 exec, exec, s[8:9]
.LBB877_429:
	s_or_b64 exec, exec, s[2:3]
	v_lshrrev_b16_e32 v14, 8, v15
	v_cmp_ne_u16_e32 vcc, 0, v14
	s_and_saveexec_b64 s[2:3], vcc
	s_cbranch_execz .LBB877_435
; %bb.430:
	s_movk_i32 s7, 0x80
	v_cmp_ne_u16_e32 vcc, s7, v14
	v_mov_b32_e32 v18, 0xffff8000
	s_and_saveexec_b64 s[8:9], vcc
	s_cbranch_execz .LBB877_434
; %bb.431:
	s_movk_i32 s7, 0x7f
	v_and_b32_e32 v24, 0x7f, v14
	v_cmp_ne_u32_e32 vcc, s7, v24
	v_mov_b32_e32 v18, 0x7f80
	s_and_saveexec_b64 s[10:11], vcc
	s_cbranch_execz .LBB877_433
; %bb.432:
	v_and_b32_e32 v18, 7, v14
	v_ffbh_u32_e32 v27, v18
	v_min_u32_e32 v27, 32, v27
	v_subrev_u32_e32 v28, 28, v27
	v_lshlrev_b64 v[28:29], v28, v[14:15]
	v_lshrrev_b32_e32 v25, 3, v24
	v_sub_u32_e32 v14, 29, v27
	v_and_b32_e32 v27, 7, v28
	v_cmp_gt_u32_e32 vcc, 8, v24
	v_cndmask_b32_e32 v14, v25, v14, vcc
	v_cndmask_b32_e32 v18, v18, v27, vcc
	v_lshlrev_b32_e32 v24, 16, v15
	v_bfrev_b32_e32 v25, 60
	v_lshlrev_b32_e32 v18, 20, v18
	v_and_b32_e32 v24, 0x80000000, v24
	v_lshl_add_u32 v14, v14, 23, v25
	v_or3_b32 v14, v24, v14, v18
	v_lshrrev_b32_e32 v18, 16, v14
.LBB877_433:
	s_or_b64 exec, exec, s[10:11]
.LBB877_434:
	s_or_b64 exec, exec, s[8:9]
.LBB877_435:
	s_or_b64 exec, exec, s[2:3]
	s_movk_i32 s2, 0xff
	v_and_b32_sdwa v27, v15, s2 dst_sel:DWORD dst_unused:UNUSED_PAD src0_sel:WORD_1 src1_sel:DWORD
	v_lshrrev_b32_e32 v14, 16, v15
	v_cmp_ne_u16_e32 vcc, 0, v27
	v_mov_b32_e32 v24, 0
	v_mov_b32_e32 v25, 0
	s_and_saveexec_b64 s[2:3], vcc
	s_cbranch_execz .LBB877_441
; %bb.436:
	s_movk_i32 s7, 0x80
	v_cmp_ne_u16_e32 vcc, s7, v27
	v_mov_b32_e32 v25, 0xffff8000
	s_and_saveexec_b64 s[8:9], vcc
	s_cbranch_execz .LBB877_440
; %bb.437:
	v_bfe_u32 v27, v15, 16, 7
	s_movk_i32 s7, 0x7f
	v_cmp_ne_u32_e32 vcc, s7, v27
	v_mov_b32_e32 v25, 0x7f80
	s_and_saveexec_b64 s[10:11], vcc
	s_cbranch_execz .LBB877_439
; %bb.438:
	v_and_b32_e32 v25, 7, v14
	v_ffbh_u32_e32 v28, v25
	v_min_u32_e32 v31, 32, v28
	v_subrev_u32_e32 v28, 28, v31
	v_lshlrev_b64 v[28:29], v28, v[14:15]
	v_lshrrev_b32_e32 v30, 3, v27
	v_sub_u32_e32 v14, 29, v31
	v_and_b32_e32 v28, 7, v28
	v_cmp_gt_u32_e32 vcc, 8, v27
	v_mov_b32_e32 v27, 24
	v_cndmask_b32_e32 v14, v30, v14, vcc
	v_cndmask_b32_e32 v25, v25, v28, vcc
	v_lshlrev_b32_sdwa v27, v27, v15 dst_sel:DWORD dst_unused:UNUSED_PAD src0_sel:DWORD src1_sel:WORD_1
	v_bfrev_b32_e32 v28, 60
	v_lshlrev_b32_e32 v25, 20, v25
	v_and_b32_e32 v27, 0x80000000, v27
	v_lshl_add_u32 v14, v14, 23, v28
	v_or3_b32 v14, v27, v14, v25
	v_lshrrev_b32_e32 v25, 16, v14
.LBB877_439:
	s_or_b64 exec, exec, s[10:11]
.LBB877_440:
	s_or_b64 exec, exec, s[8:9]
.LBB877_441:
	s_or_b64 exec, exec, s[2:3]
	s_mov_b32 s2, 0xffffff
	v_cmp_lt_u32_e32 vcc, s2, v15
	s_and_saveexec_b64 s[2:3], vcc
	s_cbranch_execz .LBB877_447
; %bb.442:
	v_lshrrev_b32_e32 v14, 24, v15
	s_movk_i32 s7, 0x80
	v_cmp_ne_u32_e32 vcc, s7, v14
	v_mov_b32_e32 v24, 0xffff8000
	s_and_saveexec_b64 s[8:9], vcc
	s_cbranch_execz .LBB877_446
; %bb.443:
	v_bfe_u32 v15, v15, 24, 7
	s_movk_i32 s7, 0x7f
	v_cmp_ne_u32_e32 vcc, s7, v15
	v_mov_b32_e32 v24, 0x7f80
	s_and_saveexec_b64 s[10:11], vcc
	s_cbranch_execz .LBB877_445
; %bb.444:
	v_and_b32_e32 v24, 7, v14
	v_ffbh_u32_e32 v28, v24
	v_min_u32_e32 v30, 32, v28
	v_subrev_u32_e32 v28, 28, v30
	v_lshlrev_b64 v[28:29], v28, v[14:15]
	v_lshrrev_b32_e32 v27, 3, v15
	v_sub_u32_e32 v29, 29, v30
	v_and_b32_e32 v28, 7, v28
	v_cmp_gt_u32_e32 vcc, 8, v15
	v_cndmask_b32_e32 v15, v27, v29, vcc
	v_cndmask_b32_e32 v24, v24, v28, vcc
	v_lshlrev_b32_e32 v14, 24, v14
	v_bfrev_b32_e32 v27, 60
	v_lshlrev_b32_e32 v24, 20, v24
	v_and_b32_e32 v14, 0x80000000, v14
	v_lshl_add_u32 v15, v15, 23, v27
	v_or3_b32 v14, v14, v15, v24
	v_lshrrev_b32_e32 v24, 16, v14
.LBB877_445:
	s_or_b64 exec, exec, s[10:11]
.LBB877_446:
	s_or_b64 exec, exec, s[8:9]
.LBB877_447:
	s_or_b64 exec, exec, s[2:3]
	s_mov_b32 s2, 0x5040100
	v_perm_b32 v15, v21, v22, s2
	v_perm_b32 v14, v19, v20, s2
	ds_read_b128 v[28:31], v50
	v_perm_b32 v19, v24, v25, s2
	v_perm_b32 v18, v18, v23, s2
	s_waitcnt lgkmcnt(0)
	v_mfma_f32_16x16x16bf16_1k v[32:35], v[14:15], v[28:29], 0
	v_mov_b32_e32 v15, 0
	v_cmp_ne_u16_sdwa s[8:9], v16, v15 src0_sel:BYTE_0 src1_sel:DWORD
	v_mov_b32_e32 v22, 0
	v_mfma_f32_16x16x16bf16_1k v[18:21], v[18:19], v[30:31], v[32:35]
	s_and_saveexec_b64 s[2:3], s[8:9]
	s_cbranch_execz .LBB877_453
; %bb.448:
	s_movk_i32 s7, 0x80
	v_cmp_ne_u16_sdwa s[10:11], v16, s7 src0_sel:BYTE_0 src1_sel:DWORD
	v_mov_b32_e32 v22, 0xffff8000
	s_and_saveexec_b64 s[8:9], s[10:11]
	s_cbranch_execz .LBB877_452
; %bb.449:
	s_movk_i32 s7, 0x7f
	v_and_b32_e32 v14, 0x7f, v16
	v_cmp_ne_u32_e32 vcc, s7, v14
	v_mov_b32_e32 v22, 0x7f80
	s_and_saveexec_b64 s[10:11], vcc
	s_cbranch_execz .LBB877_451
; %bb.450:
	v_and_b32_e32 v24, 7, v16
	v_ffbh_u32_e32 v22, v24
	v_min_u32_e32 v27, 32, v22
	v_subrev_u32_e32 v22, 28, v27
	v_lshlrev_b64 v[22:23], v22, v[16:17]
	v_lshrrev_b32_e32 v25, 3, v14
	v_sub_u32_e32 v23, 29, v27
	v_and_b32_e32 v22, 7, v22
	v_cmp_gt_u32_e32 vcc, 8, v14
	v_cndmask_b32_e32 v14, v25, v23, vcc
	v_cndmask_b32_e32 v22, v24, v22, vcc
	v_lshlrev_b32_e32 v23, 24, v16
	v_bfrev_b32_e32 v24, 60
	v_lshlrev_b32_e32 v22, 20, v22
	v_and_b32_e32 v23, 0x80000000, v23
	v_lshl_add_u32 v14, v14, 23, v24
	v_or3_b32 v14, v23, v14, v22
	v_lshrrev_b32_e32 v22, 16, v14
.LBB877_451:
	s_or_b64 exec, exec, s[10:11]
.LBB877_452:
	s_or_b64 exec, exec, s[8:9]
.LBB877_453:
	s_or_b64 exec, exec, s[2:3]
	v_lshrrev_b16_e32 v14, 8, v16
	v_cmp_ne_u16_e32 vcc, 0, v14
	s_and_saveexec_b64 s[2:3], vcc
	s_cbranch_execz .LBB877_459
; %bb.454:
	s_movk_i32 s7, 0x80
	v_cmp_ne_u16_e32 vcc, s7, v14
	v_mov_b32_e32 v15, 0xffff8000
	s_and_saveexec_b64 s[8:9], vcc
	s_cbranch_execz .LBB877_458
; %bb.455:
	s_movk_i32 s7, 0x7f
	v_and_b32_e32 v23, 0x7f, v14
	v_cmp_ne_u32_e32 vcc, s7, v23
	v_mov_b32_e32 v15, 0x7f80
	s_and_saveexec_b64 s[10:11], vcc
	s_cbranch_execz .LBB877_457
; %bb.456:
	v_and_b32_e32 v24, 7, v14
	v_ffbh_u32_e32 v15, v24
	v_min_u32_e32 v27, 32, v15
	v_subrev_u32_e32 v15, 28, v27
	v_lshlrev_b64 v[14:15], v15, v[14:15]
	v_lshrrev_b32_e32 v25, 3, v23
	v_sub_u32_e32 v15, 29, v27
	v_and_b32_e32 v14, 7, v14
	v_cmp_gt_u32_e32 vcc, 8, v23
	v_cndmask_b32_e32 v15, v25, v15, vcc
	v_cndmask_b32_e32 v14, v24, v14, vcc
	v_lshlrev_b32_e32 v23, 16, v16
	v_bfrev_b32_e32 v24, 60
	v_lshlrev_b32_e32 v14, 20, v14
	v_and_b32_e32 v23, 0x80000000, v23
	v_lshl_add_u32 v15, v15, 23, v24
	v_or3_b32 v14, v23, v15, v14
	v_lshrrev_b32_e32 v15, 16, v14
.LBB877_457:
	s_or_b64 exec, exec, s[10:11]
.LBB877_458:
	s_or_b64 exec, exec, s[8:9]
.LBB877_459:
	s_or_b64 exec, exec, s[2:3]
	s_movk_i32 s2, 0xff
	v_and_b32_sdwa v25, v16, s2 dst_sel:DWORD dst_unused:UNUSED_PAD src0_sel:WORD_1 src1_sel:DWORD
	v_lshrrev_b32_e32 v14, 16, v16
	v_cmp_ne_u16_e32 vcc, 0, v25
	v_mov_b32_e32 v23, 0
	v_mov_b32_e32 v24, 0
	s_and_saveexec_b64 s[2:3], vcc
	s_cbranch_execz .LBB877_465
; %bb.460:
	s_movk_i32 s7, 0x80
	v_cmp_ne_u16_e32 vcc, s7, v25
	v_mov_b32_e32 v24, 0xffff8000
	s_and_saveexec_b64 s[8:9], vcc
	s_cbranch_execz .LBB877_464
; %bb.461:
	v_bfe_u32 v25, v16, 16, 7
	s_movk_i32 s7, 0x7f
	v_cmp_ne_u32_e32 vcc, s7, v25
	v_mov_b32_e32 v24, 0x7f80
	s_and_saveexec_b64 s[10:11], vcc
	s_cbranch_execz .LBB877_463
; %bb.462:
	v_and_b32_e32 v24, 7, v14
	v_ffbh_u32_e32 v28, v24
	v_min_u32_e32 v30, 32, v28
	v_subrev_u32_e32 v28, 28, v30
	v_lshlrev_b64 v[28:29], v28, v[14:15]
	v_lshrrev_b32_e32 v27, 3, v25
	v_sub_u32_e32 v14, 29, v30
	v_and_b32_e32 v28, 7, v28
	v_cmp_gt_u32_e32 vcc, 8, v25
	v_mov_b32_e32 v25, 24
	v_cndmask_b32_e32 v14, v27, v14, vcc
	v_cndmask_b32_e32 v24, v24, v28, vcc
	v_lshlrev_b32_sdwa v25, v25, v16 dst_sel:DWORD dst_unused:UNUSED_PAD src0_sel:DWORD src1_sel:WORD_1
	v_bfrev_b32_e32 v27, 60
	v_lshlrev_b32_e32 v24, 20, v24
	v_and_b32_e32 v25, 0x80000000, v25
	v_lshl_add_u32 v14, v14, 23, v27
	v_or3_b32 v14, v25, v14, v24
	v_lshrrev_b32_e32 v24, 16, v14
.LBB877_463:
	s_or_b64 exec, exec, s[10:11]
.LBB877_464:
	s_or_b64 exec, exec, s[8:9]
.LBB877_465:
	s_or_b64 exec, exec, s[2:3]
	s_mov_b32 s2, 0xffffff
	v_cmp_lt_u32_e32 vcc, s2, v16
	s_and_saveexec_b64 s[2:3], vcc
	s_cbranch_execz .LBB877_471
; %bb.466:
	v_lshrrev_b32_e32 v14, 24, v16
	s_movk_i32 s7, 0x80
	v_cmp_ne_u32_e32 vcc, s7, v14
	v_mov_b32_e32 v23, 0xffff8000
	s_and_saveexec_b64 s[8:9], vcc
	s_cbranch_execz .LBB877_470
; %bb.467:
	v_bfe_u32 v16, v16, 24, 7
	s_movk_i32 s7, 0x7f
	v_cmp_ne_u32_e32 vcc, s7, v16
	v_mov_b32_e32 v23, 0x7f80
	s_and_saveexec_b64 s[10:11], vcc
	s_cbranch_execz .LBB877_469
; %bb.468:
	v_and_b32_e32 v23, 7, v14
	v_ffbh_u32_e32 v27, v23
	v_min_u32_e32 v27, 32, v27
	v_subrev_u32_e32 v28, 28, v27
	v_lshlrev_b64 v[28:29], v28, v[14:15]
	v_lshrrev_b32_e32 v25, 3, v16
	v_sub_u32_e32 v27, 29, v27
	v_and_b32_e32 v28, 7, v28
	v_cmp_gt_u32_e32 vcc, 8, v16
	v_cndmask_b32_e32 v16, v25, v27, vcc
	v_cndmask_b32_e32 v23, v23, v28, vcc
	v_lshlrev_b32_e32 v14, 24, v14
	v_bfrev_b32_e32 v25, 60
	v_lshlrev_b32_e32 v23, 20, v23
	v_and_b32_e32 v14, 0x80000000, v14
	v_lshl_add_u32 v16, v16, 23, v25
	v_or3_b32 v14, v14, v16, v23
	v_lshrrev_b32_e32 v23, 16, v14
.LBB877_469:
	s_or_b64 exec, exec, s[10:11]
.LBB877_470:
	s_or_b64 exec, exec, s[8:9]
.LBB877_471:
	s_or_b64 exec, exec, s[2:3]
	v_mov_b32_e32 v16, 0
	v_cmp_ne_u16_sdwa s[8:9], v17, v16 src0_sel:BYTE_0 src1_sel:DWORD
	v_mov_b32_e32 v25, 0
	s_and_saveexec_b64 s[2:3], s[8:9]
	s_cbranch_execz .LBB877_477
; %bb.472:
	s_movk_i32 s7, 0x80
	v_cmp_ne_u16_sdwa s[10:11], v17, s7 src0_sel:BYTE_0 src1_sel:DWORD
	v_mov_b32_e32 v25, 0xffff8000
	s_and_saveexec_b64 s[8:9], s[10:11]
	s_cbranch_execz .LBB877_476
; %bb.473:
	s_movk_i32 s7, 0x7f
	v_and_b32_e32 v14, 0x7f, v17
	v_cmp_ne_u32_e32 vcc, s7, v14
	v_mov_b32_e32 v25, 0x7f80
	s_and_saveexec_b64 s[10:11], vcc
	s_cbranch_execz .LBB877_475
; %bb.474:
	v_and_b32_e32 v25, 7, v17
	v_ffbh_u32_e32 v29, v25
	v_min_u32_e32 v30, 32, v29
	v_mov_b32_e32 v28, v17
	v_subrev_u32_e32 v29, 28, v30
	v_lshlrev_b64 v[28:29], v29, v[28:29]
	v_lshrrev_b32_e32 v27, 3, v14
	v_sub_u32_e32 v29, 29, v30
	v_and_b32_e32 v28, 7, v28
	v_cmp_gt_u32_e32 vcc, 8, v14
	v_cndmask_b32_e32 v14, v27, v29, vcc
	v_cndmask_b32_e32 v25, v25, v28, vcc
	v_lshlrev_b32_e32 v27, 24, v17
	v_bfrev_b32_e32 v28, 60
	v_lshlrev_b32_e32 v25, 20, v25
	v_and_b32_e32 v27, 0x80000000, v27
	v_lshl_add_u32 v14, v14, 23, v28
	v_or3_b32 v14, v27, v14, v25
	v_lshrrev_b32_e32 v25, 16, v14
.LBB877_475:
	s_or_b64 exec, exec, s[10:11]
.LBB877_476:
	s_or_b64 exec, exec, s[8:9]
.LBB877_477:
	s_or_b64 exec, exec, s[2:3]
	v_lshrrev_b16_e32 v14, 8, v17
	v_cmp_ne_u16_e32 vcc, 0, v14
	s_and_saveexec_b64 s[2:3], vcc
	s_cbranch_execz .LBB877_483
; %bb.478:
	s_movk_i32 s7, 0x80
	v_cmp_ne_u16_e32 vcc, s7, v14
	v_mov_b32_e32 v16, 0xffff8000
	s_and_saveexec_b64 s[8:9], vcc
	s_cbranch_execz .LBB877_482
; %bb.479:
	s_movk_i32 s7, 0x7f
	v_and_b32_e32 v27, 0x7f, v14
	v_cmp_ne_u32_e32 vcc, s7, v27
	v_mov_b32_e32 v16, 0x7f80
	s_and_saveexec_b64 s[10:11], vcc
	s_cbranch_execz .LBB877_481
; %bb.480:
	v_and_b32_e32 v16, 7, v14
	v_ffbh_u32_e32 v28, v16
	v_min_u32_e32 v31, 32, v28
	v_subrev_u32_e32 v28, 28, v31
	v_lshlrev_b64 v[28:29], v28, v[14:15]
	v_lshrrev_b32_e32 v30, 3, v27
	v_sub_u32_e32 v14, 29, v31
	v_and_b32_e32 v28, 7, v28
	v_cmp_gt_u32_e32 vcc, 8, v27
	v_cndmask_b32_e32 v14, v30, v14, vcc
	v_cndmask_b32_e32 v16, v16, v28, vcc
	v_lshlrev_b32_e32 v27, 16, v17
	v_bfrev_b32_e32 v28, 60
	v_lshlrev_b32_e32 v16, 20, v16
	v_and_b32_e32 v27, 0x80000000, v27
	v_lshl_add_u32 v14, v14, 23, v28
	v_or3_b32 v14, v27, v14, v16
	v_lshrrev_b32_e32 v16, 16, v14
.LBB877_481:
	s_or_b64 exec, exec, s[10:11]
.LBB877_482:
	s_or_b64 exec, exec, s[8:9]
.LBB877_483:
	s_or_b64 exec, exec, s[2:3]
	s_movk_i32 s2, 0xff
	v_and_b32_sdwa v29, v17, s2 dst_sel:DWORD dst_unused:UNUSED_PAD src0_sel:WORD_1 src1_sel:DWORD
	v_lshrrev_b32_e32 v14, 16, v17
	v_cmp_ne_u16_e32 vcc, 0, v29
	v_mov_b32_e32 v27, 0
	v_mov_b32_e32 v28, 0
	s_and_saveexec_b64 s[2:3], vcc
	s_cbranch_execz .LBB877_489
; %bb.484:
	s_movk_i32 s7, 0x80
	v_cmp_ne_u16_e32 vcc, s7, v29
	v_mov_b32_e32 v28, 0xffff8000
	s_and_saveexec_b64 s[8:9], vcc
	s_cbranch_execz .LBB877_488
; %bb.485:
	v_bfe_u32 v29, v17, 16, 7
	s_movk_i32 s7, 0x7f
	v_cmp_ne_u32_e32 vcc, s7, v29
	v_mov_b32_e32 v28, 0x7f80
	s_and_saveexec_b64 s[10:11], vcc
	s_cbranch_execz .LBB877_487
; %bb.486:
	v_and_b32_e32 v28, 7, v14
	v_ffbh_u32_e32 v30, v28
	v_min_u32_e32 v33, 32, v30
	v_subrev_u32_e32 v30, 28, v33
	v_lshlrev_b64 v[30:31], v30, v[14:15]
	v_lshrrev_b32_e32 v32, 3, v29
	v_sub_u32_e32 v14, 29, v33
	v_and_b32_e32 v30, 7, v30
	v_cmp_gt_u32_e32 vcc, 8, v29
	v_mov_b32_e32 v29, 24
	v_cndmask_b32_e32 v14, v32, v14, vcc
	v_cndmask_b32_e32 v28, v28, v30, vcc
	v_lshlrev_b32_sdwa v29, v29, v17 dst_sel:DWORD dst_unused:UNUSED_PAD src0_sel:DWORD src1_sel:WORD_1
	v_bfrev_b32_e32 v30, 60
	v_lshlrev_b32_e32 v28, 20, v28
	v_and_b32_e32 v29, 0x80000000, v29
	v_lshl_add_u32 v14, v14, 23, v30
	v_or3_b32 v14, v29, v14, v28
	v_lshrrev_b32_e32 v28, 16, v14
.LBB877_487:
	s_or_b64 exec, exec, s[10:11]
.LBB877_488:
	s_or_b64 exec, exec, s[8:9]
.LBB877_489:
	s_or_b64 exec, exec, s[2:3]
	s_mov_b32 s2, 0xffffff
	v_cmp_lt_u32_e32 vcc, s2, v17
	s_and_saveexec_b64 s[2:3], vcc
	s_cbranch_execz .LBB877_495
; %bb.490:
	v_lshrrev_b32_e32 v14, 24, v17
	s_movk_i32 s7, 0x80
	v_cmp_ne_u32_e32 vcc, s7, v14
	v_mov_b32_e32 v27, 0xffff8000
	s_and_saveexec_b64 s[8:9], vcc
	s_cbranch_execz .LBB877_494
; %bb.491:
	v_bfe_u32 v17, v17, 24, 7
	s_movk_i32 s7, 0x7f
	v_cmp_ne_u32_e32 vcc, s7, v17
	v_mov_b32_e32 v27, 0x7f80
	s_and_saveexec_b64 s[10:11], vcc
	s_cbranch_execz .LBB877_493
; %bb.492:
	v_and_b32_e32 v27, 7, v14
	v_ffbh_u32_e32 v30, v27
	v_min_u32_e32 v32, 32, v30
	v_subrev_u32_e32 v30, 28, v32
	v_lshlrev_b64 v[30:31], v30, v[14:15]
	v_lshrrev_b32_e32 v29, 3, v17
	v_sub_u32_e32 v31, 29, v32
	v_and_b32_e32 v30, 7, v30
	v_cmp_gt_u32_e32 vcc, 8, v17
	v_cndmask_b32_e32 v17, v29, v31, vcc
	v_cndmask_b32_e32 v27, v27, v30, vcc
	v_lshlrev_b32_e32 v14, 24, v14
	v_bfrev_b32_e32 v29, 60
	v_lshlrev_b32_e32 v27, 20, v27
	v_and_b32_e32 v14, 0x80000000, v14
	v_lshl_add_u32 v17, v17, 23, v29
	v_or3_b32 v14, v14, v17, v27
	v_lshrrev_b32_e32 v27, 16, v14
.LBB877_493:
	s_or_b64 exec, exec, s[10:11]
.LBB877_494:
	s_or_b64 exec, exec, s[8:9]
.LBB877_495:
	s_or_b64 exec, exec, s[2:3]
	s_mov_b32 s2, 0x5040100
	v_perm_b32 v23, v23, v24, s2
	v_perm_b32 v22, v15, v22, s2
	ds_read_b128 v[30:33], v50 offset:16
	v_perm_b32 v15, v27, v28, s2
	v_perm_b32 v14, v16, v25, s2
	s_waitcnt lgkmcnt(0)
	v_mfma_f32_16x16x16bf16_1k v[34:37], v[22:23], v[30:31], v[18:21]
	s_nop 6
	v_mov_b32_e32 v19, 0
	s_waitcnt vmcnt(2)
	v_cmp_ne_u16_sdwa s[8:9], v10, v19 src0_sel:BYTE_0 src1_sel:DWORD
	v_mfma_f32_16x16x16bf16_1k v[14:17], v[14:15], v[32:33], v[34:37]
	v_mov_b32_e32 v20, 0
	s_and_saveexec_b64 s[2:3], s[8:9]
	s_cbranch_execz .LBB877_501
; %bb.496:
	s_movk_i32 s7, 0x80
	v_cmp_ne_u16_sdwa s[10:11], v10, s7 src0_sel:BYTE_0 src1_sel:DWORD
	v_mov_b32_e32 v20, 0xffff8000
	s_and_saveexec_b64 s[8:9], s[10:11]
	s_cbranch_execz .LBB877_500
; %bb.497:
	s_movk_i32 s7, 0x7f
	v_and_b32_e32 v18, 0x7f, v10
	v_cmp_ne_u32_e32 vcc, s7, v18
	v_mov_b32_e32 v20, 0x7f80
	s_and_saveexec_b64 s[10:11], vcc
	s_cbranch_execz .LBB877_499
; %bb.498:
	v_and_b32_e32 v22, 7, v10
	v_ffbh_u32_e32 v20, v22
	v_min_u32_e32 v24, 32, v20
	v_subrev_u32_e32 v20, 28, v24
	v_lshlrev_b64 v[20:21], v20, v[10:11]
	v_lshrrev_b32_e32 v23, 3, v18
	v_sub_u32_e32 v21, 29, v24
	v_and_b32_e32 v20, 7, v20
	v_cmp_gt_u32_e32 vcc, 8, v18
	v_cndmask_b32_e32 v18, v23, v21, vcc
	v_cndmask_b32_e32 v20, v22, v20, vcc
	v_lshlrev_b32_e32 v21, 24, v10
	v_bfrev_b32_e32 v22, 60
	v_lshlrev_b32_e32 v20, 20, v20
	v_and_b32_e32 v21, 0x80000000, v21
	v_lshl_add_u32 v18, v18, 23, v22
	v_or3_b32 v18, v21, v18, v20
	v_lshrrev_b32_e32 v20, 16, v18
.LBB877_499:
	s_or_b64 exec, exec, s[10:11]
.LBB877_500:
	s_or_b64 exec, exec, s[8:9]
.LBB877_501:
	s_or_b64 exec, exec, s[2:3]
	v_lshrrev_b16_e32 v18, 8, v10
	v_cmp_ne_u16_e32 vcc, 0, v18
	s_and_saveexec_b64 s[2:3], vcc
	s_cbranch_execz .LBB877_507
; %bb.502:
	s_movk_i32 s7, 0x80
	v_cmp_ne_u16_e32 vcc, s7, v18
	v_mov_b32_e32 v19, 0xffff8000
	s_and_saveexec_b64 s[8:9], vcc
	s_cbranch_execz .LBB877_506
; %bb.503:
	s_movk_i32 s7, 0x7f
	v_and_b32_e32 v21, 0x7f, v18
	v_cmp_ne_u32_e32 vcc, s7, v21
	v_mov_b32_e32 v19, 0x7f80
	s_and_saveexec_b64 s[10:11], vcc
	s_cbranch_execz .LBB877_505
; %bb.504:
	v_and_b32_e32 v22, 7, v18
	v_ffbh_u32_e32 v19, v22
	v_min_u32_e32 v24, 32, v19
	v_subrev_u32_e32 v19, 28, v24
	v_lshlrev_b64 v[18:19], v19, v[18:19]
	v_lshrrev_b32_e32 v23, 3, v21
	v_sub_u32_e32 v19, 29, v24
	v_and_b32_e32 v18, 7, v18
	v_cmp_gt_u32_e32 vcc, 8, v21
	v_cndmask_b32_e32 v19, v23, v19, vcc
	v_cndmask_b32_e32 v18, v22, v18, vcc
	v_lshlrev_b32_e32 v21, 16, v10
	v_bfrev_b32_e32 v22, 60
	v_lshlrev_b32_e32 v18, 20, v18
	v_and_b32_e32 v21, 0x80000000, v21
	v_lshl_add_u32 v19, v19, 23, v22
	v_or3_b32 v18, v21, v19, v18
	v_lshrrev_b32_e32 v19, 16, v18
.LBB877_505:
	s_or_b64 exec, exec, s[10:11]
.LBB877_506:
	s_or_b64 exec, exec, s[8:9]
.LBB877_507:
	s_or_b64 exec, exec, s[2:3]
	s_movk_i32 s2, 0xff
	v_and_b32_sdwa v23, v10, s2 dst_sel:DWORD dst_unused:UNUSED_PAD src0_sel:WORD_1 src1_sel:DWORD
	v_lshrrev_b32_e32 v18, 16, v10
	v_cmp_ne_u16_e32 vcc, 0, v23
	v_mov_b32_e32 v21, 0
	v_mov_b32_e32 v22, 0
	s_and_saveexec_b64 s[2:3], vcc
	s_cbranch_execz .LBB877_513
; %bb.508:
	s_movk_i32 s7, 0x80
	v_cmp_ne_u16_e32 vcc, s7, v23
	v_mov_b32_e32 v22, 0xffff8000
	s_and_saveexec_b64 s[8:9], vcc
	s_cbranch_execz .LBB877_512
; %bb.509:
	v_bfe_u32 v23, v10, 16, 7
	s_movk_i32 s7, 0x7f
	v_cmp_ne_u32_e32 vcc, s7, v23
	v_mov_b32_e32 v22, 0x7f80
	s_and_saveexec_b64 s[10:11], vcc
	s_cbranch_execz .LBB877_511
; %bb.510:
	v_and_b32_e32 v22, 7, v18
	v_ffbh_u32_e32 v24, v22
	v_min_u32_e32 v28, 32, v24
	v_subrev_u32_e32 v24, 28, v28
	v_lshlrev_b64 v[24:25], v24, v[18:19]
	v_lshrrev_b32_e32 v27, 3, v23
	v_sub_u32_e32 v18, 29, v28
	v_and_b32_e32 v24, 7, v24
	v_cmp_gt_u32_e32 vcc, 8, v23
	v_mov_b32_e32 v23, 24
	v_cndmask_b32_e32 v18, v27, v18, vcc
	v_cndmask_b32_e32 v22, v22, v24, vcc
	v_lshlrev_b32_sdwa v23, v23, v10 dst_sel:DWORD dst_unused:UNUSED_PAD src0_sel:DWORD src1_sel:WORD_1
	v_bfrev_b32_e32 v24, 60
	v_lshlrev_b32_e32 v22, 20, v22
	v_and_b32_e32 v23, 0x80000000, v23
	v_lshl_add_u32 v18, v18, 23, v24
	v_or3_b32 v18, v23, v18, v22
	v_lshrrev_b32_e32 v22, 16, v18
.LBB877_511:
	s_or_b64 exec, exec, s[10:11]
.LBB877_512:
	s_or_b64 exec, exec, s[8:9]
.LBB877_513:
	s_or_b64 exec, exec, s[2:3]
	s_mov_b32 s2, 0xffffff
	v_cmp_lt_u32_e32 vcc, s2, v10
	s_and_saveexec_b64 s[2:3], vcc
	s_cbranch_execz .LBB877_519
; %bb.514:
	v_lshrrev_b32_e32 v18, 24, v10
	s_movk_i32 s7, 0x80
	v_cmp_ne_u32_e32 vcc, s7, v18
	v_mov_b32_e32 v21, 0xffff8000
	s_and_saveexec_b64 s[8:9], vcc
	s_cbranch_execz .LBB877_518
; %bb.515:
	v_bfe_u32 v10, v10, 24, 7
	s_movk_i32 s7, 0x7f
	v_cmp_ne_u32_e32 vcc, s7, v10
	v_mov_b32_e32 v21, 0x7f80
	s_and_saveexec_b64 s[10:11], vcc
	s_cbranch_execz .LBB877_517
; %bb.516:
	v_and_b32_e32 v21, 7, v18
	v_ffbh_u32_e32 v24, v21
	v_min_u32_e32 v27, 32, v24
	v_subrev_u32_e32 v24, 28, v27
	v_lshlrev_b64 v[24:25], v24, v[18:19]
	v_lshrrev_b32_e32 v23, 3, v10
	v_sub_u32_e32 v25, 29, v27
	v_and_b32_e32 v24, 7, v24
	v_cmp_gt_u32_e32 vcc, 8, v10
	v_cndmask_b32_e32 v10, v23, v25, vcc
	v_cndmask_b32_e32 v21, v21, v24, vcc
	v_lshlrev_b32_e32 v18, 24, v18
	v_bfrev_b32_e32 v23, 60
	v_lshlrev_b32_e32 v21, 20, v21
	v_and_b32_e32 v18, 0x80000000, v18
	v_lshl_add_u32 v10, v10, 23, v23
	v_or3_b32 v10, v18, v10, v21
	v_lshrrev_b32_e32 v21, 16, v10
.LBB877_517:
	s_or_b64 exec, exec, s[10:11]
.LBB877_518:
	s_or_b64 exec, exec, s[8:9]
.LBB877_519:
	s_or_b64 exec, exec, s[2:3]
	v_mov_b32_e32 v18, 0
	v_cmp_ne_u16_sdwa s[8:9], v11, v18 src0_sel:BYTE_0 src1_sel:DWORD
	v_mov_b32_e32 v23, 0
	s_and_saveexec_b64 s[2:3], s[8:9]
	s_cbranch_execz .LBB877_525
; %bb.520:
	s_movk_i32 s7, 0x80
	v_cmp_ne_u16_sdwa s[10:11], v11, s7 src0_sel:BYTE_0 src1_sel:DWORD
	v_mov_b32_e32 v23, 0xffff8000
	s_and_saveexec_b64 s[8:9], s[10:11]
	s_cbranch_execz .LBB877_524
; %bb.521:
	s_movk_i32 s7, 0x7f
	v_and_b32_e32 v10, 0x7f, v11
	v_cmp_ne_u32_e32 vcc, s7, v10
	v_mov_b32_e32 v23, 0x7f80
	s_and_saveexec_b64 s[10:11], vcc
	s_cbranch_execz .LBB877_523
; %bb.522:
	v_and_b32_e32 v23, 7, v11
	v_ffbh_u32_e32 v25, v23
	v_min_u32_e32 v28, 32, v25
	v_mov_b32_e32 v24, v11
	v_subrev_u32_e32 v25, 28, v28
	v_lshlrev_b64 v[24:25], v25, v[24:25]
	v_lshrrev_b32_e32 v27, 3, v10
	v_sub_u32_e32 v25, 29, v28
	v_and_b32_e32 v24, 7, v24
	v_cmp_gt_u32_e32 vcc, 8, v10
	v_cndmask_b32_e32 v10, v27, v25, vcc
	v_cndmask_b32_e32 v23, v23, v24, vcc
	v_lshlrev_b32_e32 v24, 24, v11
	v_bfrev_b32_e32 v25, 60
	v_lshlrev_b32_e32 v23, 20, v23
	v_and_b32_e32 v24, 0x80000000, v24
	v_lshl_add_u32 v10, v10, 23, v25
	v_or3_b32 v10, v24, v10, v23
	v_lshrrev_b32_e32 v23, 16, v10
.LBB877_523:
	s_or_b64 exec, exec, s[10:11]
.LBB877_524:
	s_or_b64 exec, exec, s[8:9]
.LBB877_525:
	s_or_b64 exec, exec, s[2:3]
	v_lshrrev_b16_e32 v10, 8, v11
	v_cmp_ne_u16_e32 vcc, 0, v10
	s_and_saveexec_b64 s[2:3], vcc
	s_cbranch_execz .LBB877_531
; %bb.526:
	s_movk_i32 s7, 0x80
	v_cmp_ne_u16_e32 vcc, s7, v10
	v_mov_b32_e32 v18, 0xffff8000
	s_and_saveexec_b64 s[8:9], vcc
	s_cbranch_execz .LBB877_530
; %bb.527:
	s_movk_i32 s7, 0x7f
	v_and_b32_e32 v24, 0x7f, v10
	v_cmp_ne_u32_e32 vcc, s7, v24
	v_mov_b32_e32 v18, 0x7f80
	s_and_saveexec_b64 s[10:11], vcc
	s_cbranch_execz .LBB877_529
; %bb.528:
	v_and_b32_e32 v18, 7, v10
	v_ffbh_u32_e32 v27, v18
	v_min_u32_e32 v27, 32, v27
	v_subrev_u32_e32 v28, 28, v27
	v_lshlrev_b64 v[28:29], v28, v[10:11]
	v_lshrrev_b32_e32 v25, 3, v24
	v_sub_u32_e32 v10, 29, v27
	v_and_b32_e32 v27, 7, v28
	v_cmp_gt_u32_e32 vcc, 8, v24
	v_cndmask_b32_e32 v10, v25, v10, vcc
	v_cndmask_b32_e32 v18, v18, v27, vcc
	v_lshlrev_b32_e32 v24, 16, v11
	v_bfrev_b32_e32 v25, 60
	v_lshlrev_b32_e32 v18, 20, v18
	v_and_b32_e32 v24, 0x80000000, v24
	v_lshl_add_u32 v10, v10, 23, v25
	v_or3_b32 v10, v24, v10, v18
	v_lshrrev_b32_e32 v18, 16, v10
.LBB877_529:
	s_or_b64 exec, exec, s[10:11]
.LBB877_530:
	s_or_b64 exec, exec, s[8:9]
.LBB877_531:
	s_or_b64 exec, exec, s[2:3]
	s_movk_i32 s2, 0xff
	v_and_b32_sdwa v27, v11, s2 dst_sel:DWORD dst_unused:UNUSED_PAD src0_sel:WORD_1 src1_sel:DWORD
	v_lshrrev_b32_e32 v10, 16, v11
	v_cmp_ne_u16_e32 vcc, 0, v27
	v_mov_b32_e32 v24, 0
	v_mov_b32_e32 v25, 0
	s_and_saveexec_b64 s[2:3], vcc
	s_cbranch_execz .LBB877_537
; %bb.532:
	s_movk_i32 s7, 0x80
	v_cmp_ne_u16_e32 vcc, s7, v27
	v_mov_b32_e32 v25, 0xffff8000
	s_and_saveexec_b64 s[8:9], vcc
	s_cbranch_execz .LBB877_536
; %bb.533:
	v_bfe_u32 v27, v11, 16, 7
	s_movk_i32 s7, 0x7f
	v_cmp_ne_u32_e32 vcc, s7, v27
	v_mov_b32_e32 v25, 0x7f80
	s_and_saveexec_b64 s[10:11], vcc
	s_cbranch_execz .LBB877_535
; %bb.534:
	v_and_b32_e32 v25, 7, v10
	v_ffbh_u32_e32 v28, v25
	v_min_u32_e32 v31, 32, v28
	v_subrev_u32_e32 v28, 28, v31
	v_lshlrev_b64 v[28:29], v28, v[10:11]
	v_lshrrev_b32_e32 v30, 3, v27
	v_sub_u32_e32 v10, 29, v31
	v_and_b32_e32 v28, 7, v28
	v_cmp_gt_u32_e32 vcc, 8, v27
	v_mov_b32_e32 v27, 24
	v_cndmask_b32_e32 v10, v30, v10, vcc
	v_cndmask_b32_e32 v25, v25, v28, vcc
	v_lshlrev_b32_sdwa v27, v27, v11 dst_sel:DWORD dst_unused:UNUSED_PAD src0_sel:DWORD src1_sel:WORD_1
	v_bfrev_b32_e32 v28, 60
	v_lshlrev_b32_e32 v25, 20, v25
	v_and_b32_e32 v27, 0x80000000, v27
	v_lshl_add_u32 v10, v10, 23, v28
	v_or3_b32 v10, v27, v10, v25
	v_lshrrev_b32_e32 v25, 16, v10
.LBB877_535:
	s_or_b64 exec, exec, s[10:11]
.LBB877_536:
	s_or_b64 exec, exec, s[8:9]
.LBB877_537:
	s_or_b64 exec, exec, s[2:3]
	s_mov_b32 s2, 0xffffff
	v_cmp_lt_u32_e32 vcc, s2, v11
	s_and_saveexec_b64 s[2:3], vcc
	s_cbranch_execz .LBB877_543
; %bb.538:
	v_lshrrev_b32_e32 v10, 24, v11
	s_movk_i32 s7, 0x80
	v_cmp_ne_u32_e32 vcc, s7, v10
	v_mov_b32_e32 v24, 0xffff8000
	s_and_saveexec_b64 s[8:9], vcc
	s_cbranch_execz .LBB877_542
; %bb.539:
	v_bfe_u32 v11, v11, 24, 7
	s_movk_i32 s7, 0x7f
	v_cmp_ne_u32_e32 vcc, s7, v11
	v_mov_b32_e32 v24, 0x7f80
	s_and_saveexec_b64 s[10:11], vcc
	s_cbranch_execz .LBB877_541
; %bb.540:
	v_and_b32_e32 v24, 7, v10
	v_ffbh_u32_e32 v28, v24
	v_min_u32_e32 v30, 32, v28
	v_subrev_u32_e32 v28, 28, v30
	v_lshlrev_b64 v[28:29], v28, v[10:11]
	v_lshrrev_b32_e32 v27, 3, v11
	v_sub_u32_e32 v29, 29, v30
	v_and_b32_e32 v28, 7, v28
	v_cmp_gt_u32_e32 vcc, 8, v11
	v_cndmask_b32_e32 v11, v27, v29, vcc
	v_cndmask_b32_e32 v24, v24, v28, vcc
	v_lshlrev_b32_e32 v10, 24, v10
	v_bfrev_b32_e32 v27, 60
	v_lshlrev_b32_e32 v24, 20, v24
	v_and_b32_e32 v10, 0x80000000, v10
	v_lshl_add_u32 v11, v11, 23, v27
	v_or3_b32 v10, v10, v11, v24
	v_lshrrev_b32_e32 v24, 16, v10
.LBB877_541:
	s_or_b64 exec, exec, s[10:11]
.LBB877_542:
	s_or_b64 exec, exec, s[8:9]
.LBB877_543:
	s_or_b64 exec, exec, s[2:3]
	s_mov_b32 s2, 0x5040100
	v_perm_b32 v11, v21, v22, s2
	v_perm_b32 v10, v19, v20, s2
	ds_read_b128 v[28:31], v50 offset:2048
	v_perm_b32 v21, v24, v25, s2
	v_perm_b32 v20, v18, v23, s2
	s_waitcnt lgkmcnt(0)
	v_mfma_f32_16x16x16bf16_1k v[14:17], v[10:11], v[28:29], v[14:17]
	v_mov_b32_e32 v11, 0
	v_cmp_ne_u16_sdwa s[8:9], v12, v11 src0_sel:BYTE_0 src1_sel:DWORD
	v_mov_b32_e32 v18, 0
	v_mfma_f32_16x16x16bf16_1k v[14:17], v[20:21], v[30:31], v[14:17]
	s_and_saveexec_b64 s[2:3], s[8:9]
	s_cbranch_execz .LBB877_549
; %bb.544:
	s_movk_i32 s7, 0x80
	v_cmp_ne_u16_sdwa s[10:11], v12, s7 src0_sel:BYTE_0 src1_sel:DWORD
	v_mov_b32_e32 v18, 0xffff8000
	s_and_saveexec_b64 s[8:9], s[10:11]
	s_cbranch_execz .LBB877_548
; %bb.545:
	s_movk_i32 s7, 0x7f
	v_and_b32_e32 v10, 0x7f, v12
	v_cmp_ne_u32_e32 vcc, s7, v10
	v_mov_b32_e32 v18, 0x7f80
	s_and_saveexec_b64 s[10:11], vcc
	s_cbranch_execz .LBB877_547
; %bb.546:
	v_and_b32_e32 v20, 7, v12
	v_ffbh_u32_e32 v18, v20
	v_min_u32_e32 v22, 32, v18
	v_subrev_u32_e32 v18, 28, v22
	v_lshlrev_b64 v[18:19], v18, v[12:13]
	v_lshrrev_b32_e32 v21, 3, v10
	v_sub_u32_e32 v19, 29, v22
	v_and_b32_e32 v18, 7, v18
	v_cmp_gt_u32_e32 vcc, 8, v10
	v_cndmask_b32_e32 v10, v21, v19, vcc
	v_cndmask_b32_e32 v18, v20, v18, vcc
	v_lshlrev_b32_e32 v19, 24, v12
	v_bfrev_b32_e32 v20, 60
	v_lshlrev_b32_e32 v18, 20, v18
	v_and_b32_e32 v19, 0x80000000, v19
	v_lshl_add_u32 v10, v10, 23, v20
	v_or3_b32 v10, v19, v10, v18
	v_lshrrev_b32_e32 v18, 16, v10
.LBB877_547:
	s_or_b64 exec, exec, s[10:11]
.LBB877_548:
	s_or_b64 exec, exec, s[8:9]
.LBB877_549:
	s_or_b64 exec, exec, s[2:3]
	v_lshrrev_b16_e32 v10, 8, v12
	v_cmp_ne_u16_e32 vcc, 0, v10
	s_and_saveexec_b64 s[2:3], vcc
	s_cbranch_execz .LBB877_555
; %bb.550:
	s_movk_i32 s7, 0x80
	v_cmp_ne_u16_e32 vcc, s7, v10
	v_mov_b32_e32 v11, 0xffff8000
	s_and_saveexec_b64 s[8:9], vcc
	s_cbranch_execz .LBB877_554
; %bb.551:
	s_movk_i32 s7, 0x7f
	v_and_b32_e32 v19, 0x7f, v10
	v_cmp_ne_u32_e32 vcc, s7, v19
	v_mov_b32_e32 v11, 0x7f80
	s_and_saveexec_b64 s[10:11], vcc
	s_cbranch_execz .LBB877_553
; %bb.552:
	v_and_b32_e32 v20, 7, v10
	v_ffbh_u32_e32 v11, v20
	v_min_u32_e32 v22, 32, v11
	v_subrev_u32_e32 v11, 28, v22
	v_lshlrev_b64 v[10:11], v11, v[10:11]
	v_lshrrev_b32_e32 v21, 3, v19
	v_sub_u32_e32 v11, 29, v22
	v_and_b32_e32 v10, 7, v10
	v_cmp_gt_u32_e32 vcc, 8, v19
	v_cndmask_b32_e32 v11, v21, v11, vcc
	v_cndmask_b32_e32 v10, v20, v10, vcc
	v_lshlrev_b32_e32 v19, 16, v12
	v_bfrev_b32_e32 v20, 60
	v_lshlrev_b32_e32 v10, 20, v10
	v_and_b32_e32 v19, 0x80000000, v19
	v_lshl_add_u32 v11, v11, 23, v20
	v_or3_b32 v10, v19, v11, v10
	v_lshrrev_b32_e32 v11, 16, v10
.LBB877_553:
	s_or_b64 exec, exec, s[10:11]
.LBB877_554:
	s_or_b64 exec, exec, s[8:9]
.LBB877_555:
	s_or_b64 exec, exec, s[2:3]
	s_movk_i32 s2, 0xff
	v_and_b32_sdwa v21, v12, s2 dst_sel:DWORD dst_unused:UNUSED_PAD src0_sel:WORD_1 src1_sel:DWORD
	v_lshrrev_b32_e32 v10, 16, v12
	v_cmp_ne_u16_e32 vcc, 0, v21
	v_mov_b32_e32 v19, 0
	v_mov_b32_e32 v20, 0
	s_and_saveexec_b64 s[2:3], vcc
	s_cbranch_execz .LBB877_561
; %bb.556:
	s_movk_i32 s7, 0x80
	v_cmp_ne_u16_e32 vcc, s7, v21
	v_mov_b32_e32 v20, 0xffff8000
	s_and_saveexec_b64 s[8:9], vcc
	s_cbranch_execz .LBB877_560
; %bb.557:
	v_bfe_u32 v21, v12, 16, 7
	s_movk_i32 s7, 0x7f
	v_cmp_ne_u32_e32 vcc, s7, v21
	v_mov_b32_e32 v20, 0x7f80
	s_and_saveexec_b64 s[10:11], vcc
	s_cbranch_execz .LBB877_559
; %bb.558:
	v_and_b32_e32 v20, 7, v10
	v_ffbh_u32_e32 v22, v20
	v_min_u32_e32 v25, 32, v22
	v_subrev_u32_e32 v22, 28, v25
	v_lshlrev_b64 v[22:23], v22, v[10:11]
	v_lshrrev_b32_e32 v24, 3, v21
	v_sub_u32_e32 v10, 29, v25
	v_and_b32_e32 v22, 7, v22
	v_cmp_gt_u32_e32 vcc, 8, v21
	v_mov_b32_e32 v21, 24
	v_cndmask_b32_e32 v10, v24, v10, vcc
	v_cndmask_b32_e32 v20, v20, v22, vcc
	v_lshlrev_b32_sdwa v21, v21, v12 dst_sel:DWORD dst_unused:UNUSED_PAD src0_sel:DWORD src1_sel:WORD_1
	v_bfrev_b32_e32 v22, 60
	v_lshlrev_b32_e32 v20, 20, v20
	v_and_b32_e32 v21, 0x80000000, v21
	v_lshl_add_u32 v10, v10, 23, v22
	v_or3_b32 v10, v21, v10, v20
	v_lshrrev_b32_e32 v20, 16, v10
.LBB877_559:
	s_or_b64 exec, exec, s[10:11]
.LBB877_560:
	s_or_b64 exec, exec, s[8:9]
.LBB877_561:
	s_or_b64 exec, exec, s[2:3]
	s_mov_b32 s2, 0xffffff
	v_cmp_lt_u32_e32 vcc, s2, v12
	s_and_saveexec_b64 s[2:3], vcc
	s_cbranch_execz .LBB877_567
; %bb.562:
	v_lshrrev_b32_e32 v10, 24, v12
	s_movk_i32 s7, 0x80
	v_cmp_ne_u32_e32 vcc, s7, v10
	v_mov_b32_e32 v19, 0xffff8000
	s_and_saveexec_b64 s[8:9], vcc
	s_cbranch_execz .LBB877_566
; %bb.563:
	v_bfe_u32 v12, v12, 24, 7
	s_movk_i32 s7, 0x7f
	v_cmp_ne_u32_e32 vcc, s7, v12
	v_mov_b32_e32 v19, 0x7f80
	s_and_saveexec_b64 s[10:11], vcc
	s_cbranch_execz .LBB877_565
; %bb.564:
	v_and_b32_e32 v19, 7, v10
	v_ffbh_u32_e32 v22, v19
	v_min_u32_e32 v24, 32, v22
	v_subrev_u32_e32 v22, 28, v24
	v_lshlrev_b64 v[22:23], v22, v[10:11]
	v_lshrrev_b32_e32 v21, 3, v12
	v_sub_u32_e32 v23, 29, v24
	v_and_b32_e32 v22, 7, v22
	v_cmp_gt_u32_e32 vcc, 8, v12
	v_cndmask_b32_e32 v12, v21, v23, vcc
	v_cndmask_b32_e32 v19, v19, v22, vcc
	v_lshlrev_b32_e32 v10, 24, v10
	v_bfrev_b32_e32 v21, 60
	v_lshlrev_b32_e32 v19, 20, v19
	v_and_b32_e32 v10, 0x80000000, v10
	v_lshl_add_u32 v12, v12, 23, v21
	v_or3_b32 v10, v10, v12, v19
	v_lshrrev_b32_e32 v19, 16, v10
.LBB877_565:
	s_or_b64 exec, exec, s[10:11]
.LBB877_566:
	s_or_b64 exec, exec, s[8:9]
.LBB877_567:
	s_or_b64 exec, exec, s[2:3]
	v_mov_b32_e32 v12, 0
	v_cmp_ne_u16_sdwa s[8:9], v13, v12 src0_sel:BYTE_0 src1_sel:DWORD
	v_mov_b32_e32 v21, 0
	s_and_saveexec_b64 s[2:3], s[8:9]
	s_cbranch_execz .LBB877_573
; %bb.568:
	s_movk_i32 s7, 0x80
	v_cmp_ne_u16_sdwa s[10:11], v13, s7 src0_sel:BYTE_0 src1_sel:DWORD
	v_mov_b32_e32 v21, 0xffff8000
	s_and_saveexec_b64 s[8:9], s[10:11]
	s_cbranch_execz .LBB877_572
; %bb.569:
	s_movk_i32 s7, 0x7f
	v_and_b32_e32 v10, 0x7f, v13
	v_cmp_ne_u32_e32 vcc, s7, v10
	v_mov_b32_e32 v21, 0x7f80
	s_and_saveexec_b64 s[10:11], vcc
	s_cbranch_execz .LBB877_571
; %bb.570:
	v_and_b32_e32 v21, 7, v13
	v_ffbh_u32_e32 v23, v21
	v_min_u32_e32 v25, 32, v23
	v_mov_b32_e32 v22, v13
	v_subrev_u32_e32 v23, 28, v25
	v_lshlrev_b64 v[22:23], v23, v[22:23]
	v_lshrrev_b32_e32 v24, 3, v10
	v_sub_u32_e32 v23, 29, v25
	v_and_b32_e32 v22, 7, v22
	v_cmp_gt_u32_e32 vcc, 8, v10
	v_cndmask_b32_e32 v10, v24, v23, vcc
	v_cndmask_b32_e32 v21, v21, v22, vcc
	v_lshlrev_b32_e32 v22, 24, v13
	v_bfrev_b32_e32 v23, 60
	v_lshlrev_b32_e32 v21, 20, v21
	v_and_b32_e32 v22, 0x80000000, v22
	v_lshl_add_u32 v10, v10, 23, v23
	v_or3_b32 v10, v22, v10, v21
	v_lshrrev_b32_e32 v21, 16, v10
.LBB877_571:
	s_or_b64 exec, exec, s[10:11]
.LBB877_572:
	s_or_b64 exec, exec, s[8:9]
.LBB877_573:
	s_or_b64 exec, exec, s[2:3]
	v_lshrrev_b16_e32 v10, 8, v13
	v_cmp_ne_u16_e32 vcc, 0, v10
	s_and_saveexec_b64 s[2:3], vcc
	s_cbranch_execz .LBB877_579
; %bb.574:
	s_movk_i32 s7, 0x80
	v_cmp_ne_u16_e32 vcc, s7, v10
	v_mov_b32_e32 v12, 0xffff8000
	s_and_saveexec_b64 s[8:9], vcc
	s_cbranch_execz .LBB877_578
; %bb.575:
	s_movk_i32 s7, 0x7f
	v_and_b32_e32 v22, 0x7f, v10
	v_cmp_ne_u32_e32 vcc, s7, v22
	v_mov_b32_e32 v12, 0x7f80
	s_and_saveexec_b64 s[10:11], vcc
	s_cbranch_execz .LBB877_577
; %bb.576:
	v_and_b32_e32 v12, 7, v10
	v_ffbh_u32_e32 v24, v12
	v_min_u32_e32 v27, 32, v24
	v_subrev_u32_e32 v24, 28, v27
	v_lshlrev_b64 v[24:25], v24, v[10:11]
	v_lshrrev_b32_e32 v23, 3, v22
	v_sub_u32_e32 v10, 29, v27
	v_and_b32_e32 v24, 7, v24
	v_cmp_gt_u32_e32 vcc, 8, v22
	v_cndmask_b32_e32 v10, v23, v10, vcc
	v_cndmask_b32_e32 v12, v12, v24, vcc
	v_lshlrev_b32_e32 v22, 16, v13
	v_bfrev_b32_e32 v23, 60
	v_lshlrev_b32_e32 v12, 20, v12
	v_and_b32_e32 v22, 0x80000000, v22
	v_lshl_add_u32 v10, v10, 23, v23
	v_or3_b32 v10, v22, v10, v12
	v_lshrrev_b32_e32 v12, 16, v10
.LBB877_577:
	s_or_b64 exec, exec, s[10:11]
.LBB877_578:
	s_or_b64 exec, exec, s[8:9]
.LBB877_579:
	s_or_b64 exec, exec, s[2:3]
	s_movk_i32 s2, 0xff
	v_and_b32_sdwa v24, v13, s2 dst_sel:DWORD dst_unused:UNUSED_PAD src0_sel:WORD_1 src1_sel:DWORD
	v_lshrrev_b32_e32 v10, 16, v13
	v_cmp_ne_u16_e32 vcc, 0, v24
	v_mov_b32_e32 v22, 0
	v_mov_b32_e32 v23, 0
	s_and_saveexec_b64 s[2:3], vcc
	s_cbranch_execz .LBB877_585
; %bb.580:
	s_movk_i32 s7, 0x80
	v_cmp_ne_u16_e32 vcc, s7, v24
	v_mov_b32_e32 v23, 0xffff8000
	s_and_saveexec_b64 s[8:9], vcc
	s_cbranch_execz .LBB877_584
; %bb.581:
	v_bfe_u32 v24, v13, 16, 7
	s_movk_i32 s7, 0x7f
	v_cmp_ne_u32_e32 vcc, s7, v24
	v_mov_b32_e32 v23, 0x7f80
	s_and_saveexec_b64 s[10:11], vcc
	s_cbranch_execz .LBB877_583
; %bb.582:
	v_and_b32_e32 v23, 7, v10
	v_ffbh_u32_e32 v27, v23
	v_min_u32_e32 v27, 32, v27
	v_subrev_u32_e32 v28, 28, v27
	v_lshlrev_b64 v[28:29], v28, v[10:11]
	v_lshrrev_b32_e32 v25, 3, v24
	v_sub_u32_e32 v10, 29, v27
	v_and_b32_e32 v27, 7, v28
	v_cmp_gt_u32_e32 vcc, 8, v24
	v_mov_b32_e32 v24, 24
	v_cndmask_b32_e32 v10, v25, v10, vcc
	v_cndmask_b32_e32 v23, v23, v27, vcc
	v_lshlrev_b32_sdwa v24, v24, v13 dst_sel:DWORD dst_unused:UNUSED_PAD src0_sel:DWORD src1_sel:WORD_1
	v_bfrev_b32_e32 v25, 60
	v_lshlrev_b32_e32 v23, 20, v23
	v_and_b32_e32 v24, 0x80000000, v24
	v_lshl_add_u32 v10, v10, 23, v25
	v_or3_b32 v10, v24, v10, v23
	v_lshrrev_b32_e32 v23, 16, v10
.LBB877_583:
	s_or_b64 exec, exec, s[10:11]
.LBB877_584:
	s_or_b64 exec, exec, s[8:9]
.LBB877_585:
	s_or_b64 exec, exec, s[2:3]
	s_mov_b32 s2, 0xffffff
	v_cmp_lt_u32_e32 vcc, s2, v13
	s_and_saveexec_b64 s[2:3], vcc
	s_cbranch_execz .LBB877_591
; %bb.586:
	v_lshrrev_b32_e32 v10, 24, v13
	s_movk_i32 s7, 0x80
	v_cmp_ne_u32_e32 vcc, s7, v10
	v_mov_b32_e32 v22, 0xffff8000
	s_and_saveexec_b64 s[8:9], vcc
	s_cbranch_execz .LBB877_590
; %bb.587:
	v_bfe_u32 v13, v13, 24, 7
	s_movk_i32 s7, 0x7f
	v_cmp_ne_u32_e32 vcc, s7, v13
	v_mov_b32_e32 v22, 0x7f80
	s_and_saveexec_b64 s[10:11], vcc
	s_cbranch_execz .LBB877_589
; %bb.588:
	v_and_b32_e32 v22, 7, v10
	v_ffbh_u32_e32 v24, v22
	v_min_u32_e32 v28, 32, v24
	v_subrev_u32_e32 v24, 28, v28
	v_lshlrev_b64 v[24:25], v24, v[10:11]
	v_lshrrev_b32_e32 v27, 3, v13
	v_sub_u32_e32 v25, 29, v28
	v_and_b32_e32 v24, 7, v24
	v_cmp_gt_u32_e32 vcc, 8, v13
	v_cndmask_b32_e32 v13, v27, v25, vcc
	v_cndmask_b32_e32 v22, v22, v24, vcc
	v_lshlrev_b32_e32 v10, 24, v10
	v_bfrev_b32_e32 v24, 60
	v_lshlrev_b32_e32 v22, 20, v22
	v_and_b32_e32 v10, 0x80000000, v10
	v_lshl_add_u32 v13, v13, 23, v24
	v_or3_b32 v10, v10, v13, v22
	v_lshrrev_b32_e32 v22, 16, v10
.LBB877_589:
	s_or_b64 exec, exec, s[10:11]
.LBB877_590:
	s_or_b64 exec, exec, s[8:9]
.LBB877_591:
	s_or_b64 exec, exec, s[2:3]
	s_mov_b32 s2, 0x5040100
	v_perm_b32 v19, v19, v20, s2
	v_perm_b32 v18, v11, v18, s2
	ds_read_b128 v[28:31], v50 offset:2064
	v_perm_b32 v11, v22, v23, s2
	v_perm_b32 v10, v12, v21, s2
	s_waitcnt lgkmcnt(0)
	v_mfma_f32_16x16x16bf16_1k v[32:35], v[18:19], v[28:29], v[14:17]
	s_nop 6
	v_mov_b32_e32 v15, 0
	s_waitcnt vmcnt(1)
	v_cmp_ne_u16_sdwa s[8:9], v6, v15 src0_sel:BYTE_0 src1_sel:DWORD
	v_mfma_f32_16x16x16bf16_1k v[10:13], v[10:11], v[30:31], v[32:35]
	v_mov_b32_e32 v16, 0
	s_and_saveexec_b64 s[2:3], s[8:9]
	s_cbranch_execz .LBB877_597
; %bb.592:
	s_movk_i32 s7, 0x80
	v_cmp_ne_u16_sdwa s[10:11], v6, s7 src0_sel:BYTE_0 src1_sel:DWORD
	v_mov_b32_e32 v16, 0xffff8000
	s_and_saveexec_b64 s[8:9], s[10:11]
	s_cbranch_execz .LBB877_596
; %bb.593:
	s_movk_i32 s7, 0x7f
	v_and_b32_e32 v14, 0x7f, v6
	v_cmp_ne_u32_e32 vcc, s7, v14
	v_mov_b32_e32 v16, 0x7f80
	s_and_saveexec_b64 s[10:11], vcc
	s_cbranch_execz .LBB877_595
; %bb.594:
	v_and_b32_e32 v18, 7, v6
	v_ffbh_u32_e32 v16, v18
	v_min_u32_e32 v20, 32, v16
	v_subrev_u32_e32 v16, 28, v20
	v_lshlrev_b64 v[16:17], v16, v[6:7]
	v_lshrrev_b32_e32 v19, 3, v14
	v_sub_u32_e32 v17, 29, v20
	v_and_b32_e32 v16, 7, v16
	v_cmp_gt_u32_e32 vcc, 8, v14
	v_cndmask_b32_e32 v14, v19, v17, vcc
	v_cndmask_b32_e32 v16, v18, v16, vcc
	v_lshlrev_b32_e32 v17, 24, v6
	v_bfrev_b32_e32 v18, 60
	v_lshlrev_b32_e32 v16, 20, v16
	v_and_b32_e32 v17, 0x80000000, v17
	v_lshl_add_u32 v14, v14, 23, v18
	v_or3_b32 v14, v17, v14, v16
	v_lshrrev_b32_e32 v16, 16, v14
.LBB877_595:
	s_or_b64 exec, exec, s[10:11]
.LBB877_596:
	s_or_b64 exec, exec, s[8:9]
.LBB877_597:
	s_or_b64 exec, exec, s[2:3]
	v_lshrrev_b16_e32 v14, 8, v6
	v_cmp_ne_u16_e32 vcc, 0, v14
	s_and_saveexec_b64 s[2:3], vcc
	s_cbranch_execz .LBB877_603
; %bb.598:
	s_movk_i32 s7, 0x80
	v_cmp_ne_u16_e32 vcc, s7, v14
	v_mov_b32_e32 v15, 0xffff8000
	s_and_saveexec_b64 s[8:9], vcc
	s_cbranch_execz .LBB877_602
; %bb.599:
	s_movk_i32 s7, 0x7f
	v_and_b32_e32 v17, 0x7f, v14
	v_cmp_ne_u32_e32 vcc, s7, v17
	v_mov_b32_e32 v15, 0x7f80
	s_and_saveexec_b64 s[10:11], vcc
	s_cbranch_execz .LBB877_601
; %bb.600:
	v_and_b32_e32 v18, 7, v14
	v_ffbh_u32_e32 v15, v18
	v_min_u32_e32 v20, 32, v15
	v_subrev_u32_e32 v15, 28, v20
	v_lshlrev_b64 v[14:15], v15, v[14:15]
	v_lshrrev_b32_e32 v19, 3, v17
	v_sub_u32_e32 v15, 29, v20
	v_and_b32_e32 v14, 7, v14
	v_cmp_gt_u32_e32 vcc, 8, v17
	v_cndmask_b32_e32 v15, v19, v15, vcc
	v_cndmask_b32_e32 v14, v18, v14, vcc
	v_lshlrev_b32_e32 v17, 16, v6
	v_bfrev_b32_e32 v18, 60
	v_lshlrev_b32_e32 v14, 20, v14
	v_and_b32_e32 v17, 0x80000000, v17
	v_lshl_add_u32 v15, v15, 23, v18
	v_or3_b32 v14, v17, v15, v14
	v_lshrrev_b32_e32 v15, 16, v14
.LBB877_601:
	s_or_b64 exec, exec, s[10:11]
.LBB877_602:
	s_or_b64 exec, exec, s[8:9]
.LBB877_603:
	s_or_b64 exec, exec, s[2:3]
	s_movk_i32 s2, 0xff
	v_and_b32_sdwa v19, v6, s2 dst_sel:DWORD dst_unused:UNUSED_PAD src0_sel:WORD_1 src1_sel:DWORD
	v_lshrrev_b32_e32 v14, 16, v6
	v_cmp_ne_u16_e32 vcc, 0, v19
	v_mov_b32_e32 v17, 0
	v_mov_b32_e32 v18, 0
	s_and_saveexec_b64 s[2:3], vcc
	s_cbranch_execz .LBB877_609
; %bb.604:
	s_movk_i32 s7, 0x80
	v_cmp_ne_u16_e32 vcc, s7, v19
	v_mov_b32_e32 v18, 0xffff8000
	s_and_saveexec_b64 s[8:9], vcc
	s_cbranch_execz .LBB877_608
; %bb.605:
	v_bfe_u32 v19, v6, 16, 7
	s_movk_i32 s7, 0x7f
	v_cmp_ne_u32_e32 vcc, s7, v19
	v_mov_b32_e32 v18, 0x7f80
	s_and_saveexec_b64 s[10:11], vcc
	s_cbranch_execz .LBB877_607
; %bb.606:
	v_and_b32_e32 v18, 7, v14
	v_ffbh_u32_e32 v20, v18
	v_min_u32_e32 v23, 32, v20
	v_subrev_u32_e32 v20, 28, v23
	v_lshlrev_b64 v[20:21], v20, v[14:15]
	v_lshrrev_b32_e32 v22, 3, v19
	v_sub_u32_e32 v14, 29, v23
	v_and_b32_e32 v20, 7, v20
	v_cmp_gt_u32_e32 vcc, 8, v19
	v_mov_b32_e32 v19, 24
	v_cndmask_b32_e32 v14, v22, v14, vcc
	v_cndmask_b32_e32 v18, v18, v20, vcc
	v_lshlrev_b32_sdwa v19, v19, v6 dst_sel:DWORD dst_unused:UNUSED_PAD src0_sel:DWORD src1_sel:WORD_1
	v_bfrev_b32_e32 v20, 60
	v_lshlrev_b32_e32 v18, 20, v18
	v_and_b32_e32 v19, 0x80000000, v19
	v_lshl_add_u32 v14, v14, 23, v20
	v_or3_b32 v14, v19, v14, v18
	v_lshrrev_b32_e32 v18, 16, v14
.LBB877_607:
	s_or_b64 exec, exec, s[10:11]
.LBB877_608:
	s_or_b64 exec, exec, s[8:9]
.LBB877_609:
	s_or_b64 exec, exec, s[2:3]
	s_mov_b32 s2, 0xffffff
	v_cmp_lt_u32_e32 vcc, s2, v6
	s_and_saveexec_b64 s[2:3], vcc
	s_cbranch_execz .LBB877_615
; %bb.610:
	v_lshrrev_b32_e32 v14, 24, v6
	s_movk_i32 s7, 0x80
	v_cmp_ne_u32_e32 vcc, s7, v14
	v_mov_b32_e32 v17, 0xffff8000
	s_and_saveexec_b64 s[8:9], vcc
	s_cbranch_execz .LBB877_614
; %bb.611:
	v_bfe_u32 v6, v6, 24, 7
	s_movk_i32 s7, 0x7f
	v_cmp_ne_u32_e32 vcc, s7, v6
	v_mov_b32_e32 v17, 0x7f80
	s_and_saveexec_b64 s[10:11], vcc
	s_cbranch_execz .LBB877_613
; %bb.612:
	v_and_b32_e32 v17, 7, v14
	v_ffbh_u32_e32 v20, v17
	v_min_u32_e32 v22, 32, v20
	v_subrev_u32_e32 v20, 28, v22
	v_lshlrev_b64 v[20:21], v20, v[14:15]
	v_lshrrev_b32_e32 v19, 3, v6
	v_sub_u32_e32 v21, 29, v22
	v_and_b32_e32 v20, 7, v20
	v_cmp_gt_u32_e32 vcc, 8, v6
	v_cndmask_b32_e32 v6, v19, v21, vcc
	v_cndmask_b32_e32 v17, v17, v20, vcc
	v_lshlrev_b32_e32 v14, 24, v14
	v_bfrev_b32_e32 v19, 60
	v_lshlrev_b32_e32 v17, 20, v17
	v_and_b32_e32 v14, 0x80000000, v14
	v_lshl_add_u32 v6, v6, 23, v19
	v_or3_b32 v6, v14, v6, v17
	v_lshrrev_b32_e32 v17, 16, v6
.LBB877_613:
	s_or_b64 exec, exec, s[10:11]
.LBB877_614:
	s_or_b64 exec, exec, s[8:9]
.LBB877_615:
	s_or_b64 exec, exec, s[2:3]
	v_mov_b32_e32 v14, 0
	v_cmp_ne_u16_sdwa s[8:9], v7, v14 src0_sel:BYTE_0 src1_sel:DWORD
	v_mov_b32_e32 v19, 0
	s_and_saveexec_b64 s[2:3], s[8:9]
	s_cbranch_execz .LBB877_621
; %bb.616:
	s_movk_i32 s7, 0x80
	v_cmp_ne_u16_sdwa s[10:11], v7, s7 src0_sel:BYTE_0 src1_sel:DWORD
	v_mov_b32_e32 v19, 0xffff8000
	s_and_saveexec_b64 s[8:9], s[10:11]
	s_cbranch_execz .LBB877_620
; %bb.617:
	s_movk_i32 s7, 0x7f
	v_and_b32_e32 v6, 0x7f, v7
	v_cmp_ne_u32_e32 vcc, s7, v6
	v_mov_b32_e32 v19, 0x7f80
	s_and_saveexec_b64 s[10:11], vcc
	s_cbranch_execz .LBB877_619
; %bb.618:
	v_and_b32_e32 v19, 7, v7
	v_ffbh_u32_e32 v21, v19
	v_min_u32_e32 v23, 32, v21
	v_mov_b32_e32 v20, v7
	v_subrev_u32_e32 v21, 28, v23
	v_lshlrev_b64 v[20:21], v21, v[20:21]
	v_lshrrev_b32_e32 v22, 3, v6
	v_sub_u32_e32 v21, 29, v23
	v_and_b32_e32 v20, 7, v20
	v_cmp_gt_u32_e32 vcc, 8, v6
	v_cndmask_b32_e32 v6, v22, v21, vcc
	v_cndmask_b32_e32 v19, v19, v20, vcc
	v_lshlrev_b32_e32 v20, 24, v7
	v_bfrev_b32_e32 v21, 60
	v_lshlrev_b32_e32 v19, 20, v19
	v_and_b32_e32 v20, 0x80000000, v20
	v_lshl_add_u32 v6, v6, 23, v21
	v_or3_b32 v6, v20, v6, v19
	v_lshrrev_b32_e32 v19, 16, v6
.LBB877_619:
	s_or_b64 exec, exec, s[10:11]
.LBB877_620:
	s_or_b64 exec, exec, s[8:9]
.LBB877_621:
	s_or_b64 exec, exec, s[2:3]
	v_lshrrev_b16_e32 v6, 8, v7
	v_cmp_ne_u16_e32 vcc, 0, v6
	s_and_saveexec_b64 s[2:3], vcc
	s_cbranch_execz .LBB877_627
; %bb.622:
	s_movk_i32 s7, 0x80
	v_cmp_ne_u16_e32 vcc, s7, v6
	v_mov_b32_e32 v14, 0xffff8000
	s_and_saveexec_b64 s[8:9], vcc
	s_cbranch_execz .LBB877_626
; %bb.623:
	s_movk_i32 s7, 0x7f
	v_and_b32_e32 v20, 0x7f, v6
	v_cmp_ne_u32_e32 vcc, s7, v20
	v_mov_b32_e32 v14, 0x7f80
	s_and_saveexec_b64 s[10:11], vcc
	s_cbranch_execz .LBB877_625
; %bb.624:
	v_and_b32_e32 v14, 7, v6
	v_ffbh_u32_e32 v22, v14
	v_min_u32_e32 v24, 32, v22
	v_subrev_u32_e32 v22, 28, v24
	v_lshlrev_b64 v[22:23], v22, v[6:7]
	v_lshrrev_b32_e32 v21, 3, v20
	v_sub_u32_e32 v6, 29, v24
	v_and_b32_e32 v22, 7, v22
	v_cmp_gt_u32_e32 vcc, 8, v20
	v_cndmask_b32_e32 v6, v21, v6, vcc
	v_cndmask_b32_e32 v14, v14, v22, vcc
	v_lshlrev_b32_e32 v20, 16, v7
	v_bfrev_b32_e32 v21, 60
	v_lshlrev_b32_e32 v14, 20, v14
	v_and_b32_e32 v20, 0x80000000, v20
	v_lshl_add_u32 v6, v6, 23, v21
	v_or3_b32 v6, v20, v6, v14
	v_lshrrev_b32_e32 v14, 16, v6
.LBB877_625:
	s_or_b64 exec, exec, s[10:11]
.LBB877_626:
	s_or_b64 exec, exec, s[8:9]
.LBB877_627:
	s_or_b64 exec, exec, s[2:3]
	s_movk_i32 s2, 0xff
	v_and_b32_sdwa v22, v7, s2 dst_sel:DWORD dst_unused:UNUSED_PAD src0_sel:WORD_1 src1_sel:DWORD
	v_lshrrev_b32_e32 v6, 16, v7
	v_cmp_ne_u16_e32 vcc, 0, v22
	v_mov_b32_e32 v20, 0
	v_mov_b32_e32 v21, 0
	s_and_saveexec_b64 s[2:3], vcc
	s_cbranch_execz .LBB877_633
; %bb.628:
	s_movk_i32 s7, 0x80
	v_cmp_ne_u16_e32 vcc, s7, v22
	v_mov_b32_e32 v21, 0xffff8000
	s_and_saveexec_b64 s[8:9], vcc
	s_cbranch_execz .LBB877_632
; %bb.629:
	v_bfe_u32 v22, v7, 16, 7
	s_movk_i32 s7, 0x7f
	v_cmp_ne_u32_e32 vcc, s7, v22
	v_mov_b32_e32 v21, 0x7f80
	s_and_saveexec_b64 s[10:11], vcc
	s_cbranch_execz .LBB877_631
; %bb.630:
	v_and_b32_e32 v21, 7, v6
	v_ffbh_u32_e32 v24, v21
	v_min_u32_e32 v27, 32, v24
	v_subrev_u32_e32 v24, 28, v27
	v_lshlrev_b64 v[24:25], v24, v[6:7]
	v_lshrrev_b32_e32 v23, 3, v22
	v_sub_u32_e32 v6, 29, v27
	v_and_b32_e32 v24, 7, v24
	v_cmp_gt_u32_e32 vcc, 8, v22
	v_mov_b32_e32 v22, 24
	v_cndmask_b32_e32 v6, v23, v6, vcc
	v_cndmask_b32_e32 v21, v21, v24, vcc
	v_lshlrev_b32_sdwa v22, v22, v7 dst_sel:DWORD dst_unused:UNUSED_PAD src0_sel:DWORD src1_sel:WORD_1
	v_bfrev_b32_e32 v23, 60
	v_lshlrev_b32_e32 v21, 20, v21
	v_and_b32_e32 v22, 0x80000000, v22
	v_lshl_add_u32 v6, v6, 23, v23
	v_or3_b32 v6, v22, v6, v21
	v_lshrrev_b32_e32 v21, 16, v6
.LBB877_631:
	s_or_b64 exec, exec, s[10:11]
.LBB877_632:
	s_or_b64 exec, exec, s[8:9]
.LBB877_633:
	s_or_b64 exec, exec, s[2:3]
	s_mov_b32 s2, 0xffffff
	v_cmp_lt_u32_e32 vcc, s2, v7
	s_and_saveexec_b64 s[2:3], vcc
	s_cbranch_execz .LBB877_639
; %bb.634:
	v_lshrrev_b32_e32 v6, 24, v7
	s_movk_i32 s7, 0x80
	v_cmp_ne_u32_e32 vcc, s7, v6
	v_mov_b32_e32 v20, 0xffff8000
	s_and_saveexec_b64 s[8:9], vcc
	s_cbranch_execz .LBB877_638
; %bb.635:
	v_bfe_u32 v7, v7, 24, 7
	s_movk_i32 s7, 0x7f
	v_cmp_ne_u32_e32 vcc, s7, v7
	v_mov_b32_e32 v20, 0x7f80
	s_and_saveexec_b64 s[10:11], vcc
	s_cbranch_execz .LBB877_637
; %bb.636:
	v_and_b32_e32 v20, 7, v6
	v_ffbh_u32_e32 v22, v20
	v_min_u32_e32 v25, 32, v22
	v_subrev_u32_e32 v22, 28, v25
	v_lshlrev_b64 v[22:23], v22, v[6:7]
	v_lshrrev_b32_e32 v24, 3, v7
	v_sub_u32_e32 v23, 29, v25
	v_and_b32_e32 v22, 7, v22
	v_cmp_gt_u32_e32 vcc, 8, v7
	v_cndmask_b32_e32 v7, v24, v23, vcc
	v_cndmask_b32_e32 v20, v20, v22, vcc
	v_lshlrev_b32_e32 v6, 24, v6
	v_bfrev_b32_e32 v22, 60
	v_lshlrev_b32_e32 v20, 20, v20
	v_and_b32_e32 v6, 0x80000000, v6
	v_lshl_add_u32 v7, v7, 23, v22
	v_or3_b32 v6, v6, v7, v20
	v_lshrrev_b32_e32 v20, 16, v6
.LBB877_637:
	s_or_b64 exec, exec, s[10:11]
.LBB877_638:
	s_or_b64 exec, exec, s[8:9]
.LBB877_639:
	s_or_b64 exec, exec, s[2:3]
	s_mov_b32 s2, 0x5040100
	v_perm_b32 v7, v17, v18, s2
	v_perm_b32 v6, v15, v16, s2
	ds_read_b128 v[22:25], v50 offset:4096
	v_perm_b32 v17, v20, v21, s2
	v_perm_b32 v16, v14, v19, s2
	s_waitcnt lgkmcnt(0)
	v_mfma_f32_16x16x16bf16_1k v[10:13], v[6:7], v[22:23], v[10:13]
	v_mov_b32_e32 v7, 0
	v_cmp_ne_u16_sdwa s[8:9], v8, v7 src0_sel:BYTE_0 src1_sel:DWORD
	v_mov_b32_e32 v14, 0
	v_mfma_f32_16x16x16bf16_1k v[10:13], v[16:17], v[24:25], v[10:13]
	s_and_saveexec_b64 s[2:3], s[8:9]
	s_cbranch_execz .LBB877_645
; %bb.640:
	s_movk_i32 s7, 0x80
	v_cmp_ne_u16_sdwa s[10:11], v8, s7 src0_sel:BYTE_0 src1_sel:DWORD
	v_mov_b32_e32 v14, 0xffff8000
	s_and_saveexec_b64 s[8:9], s[10:11]
	s_cbranch_execz .LBB877_644
; %bb.641:
	s_movk_i32 s7, 0x7f
	v_and_b32_e32 v6, 0x7f, v8
	v_cmp_ne_u32_e32 vcc, s7, v6
	v_mov_b32_e32 v14, 0x7f80
	s_and_saveexec_b64 s[10:11], vcc
	s_cbranch_execz .LBB877_643
; %bb.642:
	v_and_b32_e32 v16, 7, v8
	v_ffbh_u32_e32 v14, v16
	v_min_u32_e32 v18, 32, v14
	v_subrev_u32_e32 v14, 28, v18
	v_lshlrev_b64 v[14:15], v14, v[8:9]
	v_lshrrev_b32_e32 v17, 3, v6
	v_sub_u32_e32 v15, 29, v18
	v_and_b32_e32 v14, 7, v14
	v_cmp_gt_u32_e32 vcc, 8, v6
	v_cndmask_b32_e32 v6, v17, v15, vcc
	v_cndmask_b32_e32 v14, v16, v14, vcc
	v_lshlrev_b32_e32 v15, 24, v8
	v_bfrev_b32_e32 v16, 60
	v_lshlrev_b32_e32 v14, 20, v14
	v_and_b32_e32 v15, 0x80000000, v15
	v_lshl_add_u32 v6, v6, 23, v16
	v_or3_b32 v6, v15, v6, v14
	v_lshrrev_b32_e32 v14, 16, v6
.LBB877_643:
	s_or_b64 exec, exec, s[10:11]
.LBB877_644:
	s_or_b64 exec, exec, s[8:9]
.LBB877_645:
	s_or_b64 exec, exec, s[2:3]
	v_lshrrev_b16_e32 v6, 8, v8
	v_cmp_ne_u16_e32 vcc, 0, v6
	s_and_saveexec_b64 s[2:3], vcc
	s_cbranch_execz .LBB877_651
; %bb.646:
	s_movk_i32 s7, 0x80
	v_cmp_ne_u16_e32 vcc, s7, v6
	v_mov_b32_e32 v7, 0xffff8000
	s_and_saveexec_b64 s[8:9], vcc
	s_cbranch_execz .LBB877_650
; %bb.647:
	s_movk_i32 s7, 0x7f
	v_and_b32_e32 v15, 0x7f, v6
	v_cmp_ne_u32_e32 vcc, s7, v15
	v_mov_b32_e32 v7, 0x7f80
	s_and_saveexec_b64 s[10:11], vcc
	s_cbranch_execz .LBB877_649
; %bb.648:
	v_and_b32_e32 v16, 7, v6
	v_ffbh_u32_e32 v7, v16
	v_min_u32_e32 v18, 32, v7
	v_subrev_u32_e32 v7, 28, v18
	v_lshlrev_b64 v[6:7], v7, v[6:7]
	v_lshrrev_b32_e32 v17, 3, v15
	v_sub_u32_e32 v7, 29, v18
	v_and_b32_e32 v6, 7, v6
	v_cmp_gt_u32_e32 vcc, 8, v15
	v_cndmask_b32_e32 v7, v17, v7, vcc
	v_cndmask_b32_e32 v6, v16, v6, vcc
	v_lshlrev_b32_e32 v15, 16, v8
	v_bfrev_b32_e32 v16, 60
	v_lshlrev_b32_e32 v6, 20, v6
	v_and_b32_e32 v15, 0x80000000, v15
	v_lshl_add_u32 v7, v7, 23, v16
	v_or3_b32 v6, v15, v7, v6
	v_lshrrev_b32_e32 v7, 16, v6
.LBB877_649:
	s_or_b64 exec, exec, s[10:11]
.LBB877_650:
	s_or_b64 exec, exec, s[8:9]
.LBB877_651:
	s_or_b64 exec, exec, s[2:3]
	s_movk_i32 s2, 0xff
	v_and_b32_sdwa v17, v8, s2 dst_sel:DWORD dst_unused:UNUSED_PAD src0_sel:WORD_1 src1_sel:DWORD
	v_lshrrev_b32_e32 v6, 16, v8
	v_cmp_ne_u16_e32 vcc, 0, v17
	v_mov_b32_e32 v15, 0
	v_mov_b32_e32 v16, 0
	s_and_saveexec_b64 s[2:3], vcc
	s_cbranch_execz .LBB877_657
; %bb.652:
	s_movk_i32 s7, 0x80
	v_cmp_ne_u16_e32 vcc, s7, v17
	v_mov_b32_e32 v16, 0xffff8000
	s_and_saveexec_b64 s[8:9], vcc
	s_cbranch_execz .LBB877_656
; %bb.653:
	v_bfe_u32 v17, v8, 16, 7
	s_movk_i32 s7, 0x7f
	v_cmp_ne_u32_e32 vcc, s7, v17
	v_mov_b32_e32 v16, 0x7f80
	s_and_saveexec_b64 s[10:11], vcc
	s_cbranch_execz .LBB877_655
; %bb.654:
	v_and_b32_e32 v16, 7, v6
	v_ffbh_u32_e32 v18, v16
	v_min_u32_e32 v21, 32, v18
	v_subrev_u32_e32 v18, 28, v21
	v_lshlrev_b64 v[18:19], v18, v[6:7]
	v_lshrrev_b32_e32 v20, 3, v17
	v_sub_u32_e32 v6, 29, v21
	v_and_b32_e32 v18, 7, v18
	v_cmp_gt_u32_e32 vcc, 8, v17
	v_mov_b32_e32 v17, 24
	v_cndmask_b32_e32 v6, v20, v6, vcc
	v_cndmask_b32_e32 v16, v16, v18, vcc
	v_lshlrev_b32_sdwa v17, v17, v8 dst_sel:DWORD dst_unused:UNUSED_PAD src0_sel:DWORD src1_sel:WORD_1
	v_bfrev_b32_e32 v18, 60
	v_lshlrev_b32_e32 v16, 20, v16
	v_and_b32_e32 v17, 0x80000000, v17
	v_lshl_add_u32 v6, v6, 23, v18
	v_or3_b32 v6, v17, v6, v16
	v_lshrrev_b32_e32 v16, 16, v6
.LBB877_655:
	s_or_b64 exec, exec, s[10:11]
.LBB877_656:
	s_or_b64 exec, exec, s[8:9]
.LBB877_657:
	s_or_b64 exec, exec, s[2:3]
	s_mov_b32 s2, 0xffffff
	v_cmp_lt_u32_e32 vcc, s2, v8
	s_and_saveexec_b64 s[2:3], vcc
	s_cbranch_execz .LBB877_663
; %bb.658:
	v_lshrrev_b32_e32 v6, 24, v8
	s_movk_i32 s7, 0x80
	v_cmp_ne_u32_e32 vcc, s7, v6
	v_mov_b32_e32 v15, 0xffff8000
	s_and_saveexec_b64 s[8:9], vcc
	s_cbranch_execz .LBB877_662
; %bb.659:
	v_bfe_u32 v8, v8, 24, 7
	s_movk_i32 s7, 0x7f
	v_cmp_ne_u32_e32 vcc, s7, v8
	v_mov_b32_e32 v15, 0x7f80
	s_and_saveexec_b64 s[10:11], vcc
	s_cbranch_execz .LBB877_661
; %bb.660:
	v_and_b32_e32 v15, 7, v6
	v_ffbh_u32_e32 v18, v15
	v_min_u32_e32 v20, 32, v18
	v_subrev_u32_e32 v18, 28, v20
	v_lshlrev_b64 v[18:19], v18, v[6:7]
	v_lshrrev_b32_e32 v17, 3, v8
	v_sub_u32_e32 v19, 29, v20
	v_and_b32_e32 v18, 7, v18
	v_cmp_gt_u32_e32 vcc, 8, v8
	v_cndmask_b32_e32 v8, v17, v19, vcc
	v_cndmask_b32_e32 v15, v15, v18, vcc
	v_lshlrev_b32_e32 v6, 24, v6
	v_bfrev_b32_e32 v17, 60
	v_lshlrev_b32_e32 v15, 20, v15
	v_and_b32_e32 v6, 0x80000000, v6
	v_lshl_add_u32 v8, v8, 23, v17
	v_or3_b32 v6, v6, v8, v15
	v_lshrrev_b32_e32 v15, 16, v6
.LBB877_661:
	s_or_b64 exec, exec, s[10:11]
.LBB877_662:
	s_or_b64 exec, exec, s[8:9]
.LBB877_663:
	s_or_b64 exec, exec, s[2:3]
	v_mov_b32_e32 v8, 0
	v_cmp_ne_u16_sdwa s[8:9], v9, v8 src0_sel:BYTE_0 src1_sel:DWORD
	v_mov_b32_e32 v17, 0
	s_and_saveexec_b64 s[2:3], s[8:9]
	s_cbranch_execz .LBB877_669
; %bb.664:
	s_movk_i32 s7, 0x80
	v_cmp_ne_u16_sdwa s[10:11], v9, s7 src0_sel:BYTE_0 src1_sel:DWORD
	v_mov_b32_e32 v17, 0xffff8000
	s_and_saveexec_b64 s[8:9], s[10:11]
	s_cbranch_execz .LBB877_668
; %bb.665:
	s_movk_i32 s7, 0x7f
	v_and_b32_e32 v6, 0x7f, v9
	v_cmp_ne_u32_e32 vcc, s7, v6
	v_mov_b32_e32 v17, 0x7f80
	s_and_saveexec_b64 s[10:11], vcc
	s_cbranch_execz .LBB877_667
; %bb.666:
	v_and_b32_e32 v17, 7, v9
	v_ffbh_u32_e32 v19, v17
	v_min_u32_e32 v21, 32, v19
	v_mov_b32_e32 v18, v9
	v_subrev_u32_e32 v19, 28, v21
	v_lshlrev_b64 v[18:19], v19, v[18:19]
	v_lshrrev_b32_e32 v20, 3, v6
	v_sub_u32_e32 v19, 29, v21
	v_and_b32_e32 v18, 7, v18
	v_cmp_gt_u32_e32 vcc, 8, v6
	v_cndmask_b32_e32 v6, v20, v19, vcc
	v_cndmask_b32_e32 v17, v17, v18, vcc
	v_lshlrev_b32_e32 v18, 24, v9
	v_bfrev_b32_e32 v19, 60
	v_lshlrev_b32_e32 v17, 20, v17
	v_and_b32_e32 v18, 0x80000000, v18
	v_lshl_add_u32 v6, v6, 23, v19
	v_or3_b32 v6, v18, v6, v17
	v_lshrrev_b32_e32 v17, 16, v6
.LBB877_667:
	s_or_b64 exec, exec, s[10:11]
.LBB877_668:
	s_or_b64 exec, exec, s[8:9]
.LBB877_669:
	s_or_b64 exec, exec, s[2:3]
	v_lshrrev_b16_e32 v6, 8, v9
	v_cmp_ne_u16_e32 vcc, 0, v6
	s_and_saveexec_b64 s[2:3], vcc
	s_cbranch_execz .LBB877_675
; %bb.670:
	s_movk_i32 s7, 0x80
	v_cmp_ne_u16_e32 vcc, s7, v6
	v_mov_b32_e32 v8, 0xffff8000
	s_and_saveexec_b64 s[8:9], vcc
	s_cbranch_execz .LBB877_674
; %bb.671:
	s_movk_i32 s7, 0x7f
	v_and_b32_e32 v18, 0x7f, v6
	v_cmp_ne_u32_e32 vcc, s7, v18
	v_mov_b32_e32 v8, 0x7f80
	s_and_saveexec_b64 s[10:11], vcc
	s_cbranch_execz .LBB877_673
; %bb.672:
	v_and_b32_e32 v8, 7, v6
	v_ffbh_u32_e32 v20, v8
	v_min_u32_e32 v22, 32, v20
	v_subrev_u32_e32 v20, 28, v22
	v_lshlrev_b64 v[20:21], v20, v[6:7]
	v_lshrrev_b32_e32 v19, 3, v18
	v_sub_u32_e32 v6, 29, v22
	v_and_b32_e32 v20, 7, v20
	v_cmp_gt_u32_e32 vcc, 8, v18
	v_cndmask_b32_e32 v6, v19, v6, vcc
	v_cndmask_b32_e32 v8, v8, v20, vcc
	v_lshlrev_b32_e32 v18, 16, v9
	v_bfrev_b32_e32 v19, 60
	v_lshlrev_b32_e32 v8, 20, v8
	v_and_b32_e32 v18, 0x80000000, v18
	v_lshl_add_u32 v6, v6, 23, v19
	v_or3_b32 v6, v18, v6, v8
	v_lshrrev_b32_e32 v8, 16, v6
.LBB877_673:
	s_or_b64 exec, exec, s[10:11]
.LBB877_674:
	s_or_b64 exec, exec, s[8:9]
.LBB877_675:
	s_or_b64 exec, exec, s[2:3]
	s_movk_i32 s2, 0xff
	v_and_b32_sdwa v20, v9, s2 dst_sel:DWORD dst_unused:UNUSED_PAD src0_sel:WORD_1 src1_sel:DWORD
	v_lshrrev_b32_e32 v6, 16, v9
	v_cmp_ne_u16_e32 vcc, 0, v20
	v_mov_b32_e32 v18, 0
	v_mov_b32_e32 v19, 0
	s_and_saveexec_b64 s[2:3], vcc
	s_cbranch_execz .LBB877_681
; %bb.676:
	s_movk_i32 s7, 0x80
	v_cmp_ne_u16_e32 vcc, s7, v20
	v_mov_b32_e32 v19, 0xffff8000
	s_and_saveexec_b64 s[8:9], vcc
	s_cbranch_execz .LBB877_680
; %bb.677:
	v_bfe_u32 v20, v9, 16, 7
	s_movk_i32 s7, 0x7f
	v_cmp_ne_u32_e32 vcc, s7, v20
	v_mov_b32_e32 v19, 0x7f80
	s_and_saveexec_b64 s[10:11], vcc
	s_cbranch_execz .LBB877_679
; %bb.678:
	v_and_b32_e32 v19, 7, v6
	v_ffbh_u32_e32 v22, v19
	v_min_u32_e32 v24, 32, v22
	v_subrev_u32_e32 v22, 28, v24
	v_lshlrev_b64 v[22:23], v22, v[6:7]
	v_lshrrev_b32_e32 v21, 3, v20
	v_sub_u32_e32 v6, 29, v24
	v_and_b32_e32 v22, 7, v22
	v_cmp_gt_u32_e32 vcc, 8, v20
	v_mov_b32_e32 v20, 24
	v_cndmask_b32_e32 v6, v21, v6, vcc
	v_cndmask_b32_e32 v19, v19, v22, vcc
	v_lshlrev_b32_sdwa v20, v20, v9 dst_sel:DWORD dst_unused:UNUSED_PAD src0_sel:DWORD src1_sel:WORD_1
	v_bfrev_b32_e32 v21, 60
	v_lshlrev_b32_e32 v19, 20, v19
	v_and_b32_e32 v20, 0x80000000, v20
	v_lshl_add_u32 v6, v6, 23, v21
	v_or3_b32 v6, v20, v6, v19
	v_lshrrev_b32_e32 v19, 16, v6
.LBB877_679:
	s_or_b64 exec, exec, s[10:11]
.LBB877_680:
	s_or_b64 exec, exec, s[8:9]
.LBB877_681:
	s_or_b64 exec, exec, s[2:3]
	s_mov_b32 s2, 0xffffff
	v_cmp_lt_u32_e32 vcc, s2, v9
	s_and_saveexec_b64 s[2:3], vcc
	s_cbranch_execz .LBB877_687
; %bb.682:
	v_lshrrev_b32_e32 v6, 24, v9
	s_movk_i32 s7, 0x80
	v_cmp_ne_u32_e32 vcc, s7, v6
	v_mov_b32_e32 v18, 0xffff8000
	s_and_saveexec_b64 s[8:9], vcc
	s_cbranch_execz .LBB877_686
; %bb.683:
	v_bfe_u32 v9, v9, 24, 7
	s_movk_i32 s7, 0x7f
	v_cmp_ne_u32_e32 vcc, s7, v9
	v_mov_b32_e32 v18, 0x7f80
	s_and_saveexec_b64 s[10:11], vcc
	s_cbranch_execz .LBB877_685
; %bb.684:
	v_and_b32_e32 v18, 7, v6
	v_ffbh_u32_e32 v20, v18
	v_min_u32_e32 v23, 32, v20
	v_subrev_u32_e32 v20, 28, v23
	v_lshlrev_b64 v[20:21], v20, v[6:7]
	v_lshrrev_b32_e32 v22, 3, v9
	v_sub_u32_e32 v21, 29, v23
	v_and_b32_e32 v20, 7, v20
	v_cmp_gt_u32_e32 vcc, 8, v9
	v_cndmask_b32_e32 v9, v22, v21, vcc
	v_cndmask_b32_e32 v18, v18, v20, vcc
	v_lshlrev_b32_e32 v6, 24, v6
	v_bfrev_b32_e32 v20, 60
	v_lshlrev_b32_e32 v18, 20, v18
	v_and_b32_e32 v6, 0x80000000, v6
	v_lshl_add_u32 v9, v9, 23, v20
	v_or3_b32 v6, v6, v9, v18
	v_lshrrev_b32_e32 v18, 16, v6
.LBB877_685:
	s_or_b64 exec, exec, s[10:11]
.LBB877_686:
	s_or_b64 exec, exec, s[8:9]
.LBB877_687:
	s_or_b64 exec, exec, s[2:3]
	s_mov_b32 s2, 0x5040100
	v_perm_b32 v15, v15, v16, s2
	v_perm_b32 v14, v7, v14, s2
	ds_read_b128 v[20:23], v50 offset:4112
	v_perm_b32 v7, v18, v19, s2
	v_perm_b32 v6, v8, v17, s2
	s_waitcnt lgkmcnt(0)
	v_mfma_f32_16x16x16bf16_1k v[28:31], v[14:15], v[20:21], v[10:13]
	s_nop 6
	v_mov_b32_e32 v11, 0
	s_waitcnt vmcnt(0)
	v_cmp_ne_u16_sdwa s[8:9], v2, v11 src0_sel:BYTE_0 src1_sel:DWORD
	v_mfma_f32_16x16x16bf16_1k v[6:9], v[6:7], v[22:23], v[28:31]
	v_mov_b32_e32 v12, 0
	s_and_saveexec_b64 s[2:3], s[8:9]
	s_cbranch_execz .LBB877_693
; %bb.688:
	s_movk_i32 s7, 0x80
	v_cmp_ne_u16_sdwa s[10:11], v2, s7 src0_sel:BYTE_0 src1_sel:DWORD
	v_mov_b32_e32 v12, 0xffff8000
	s_and_saveexec_b64 s[8:9], s[10:11]
	s_cbranch_execz .LBB877_692
; %bb.689:
	s_movk_i32 s7, 0x7f
	v_and_b32_e32 v10, 0x7f, v2
	v_cmp_ne_u32_e32 vcc, s7, v10
	v_mov_b32_e32 v12, 0x7f80
	s_and_saveexec_b64 s[10:11], vcc
	s_cbranch_execz .LBB877_691
; %bb.690:
	v_and_b32_e32 v14, 7, v2
	v_ffbh_u32_e32 v12, v14
	v_min_u32_e32 v16, 32, v12
	v_subrev_u32_e32 v12, 28, v16
	v_lshlrev_b64 v[12:13], v12, v[2:3]
	v_lshrrev_b32_e32 v15, 3, v10
	v_sub_u32_e32 v13, 29, v16
	v_and_b32_e32 v12, 7, v12
	v_cmp_gt_u32_e32 vcc, 8, v10
	v_cndmask_b32_e32 v10, v15, v13, vcc
	v_cndmask_b32_e32 v12, v14, v12, vcc
	v_lshlrev_b32_e32 v13, 24, v2
	v_bfrev_b32_e32 v14, 60
	v_lshlrev_b32_e32 v12, 20, v12
	v_and_b32_e32 v13, 0x80000000, v13
	v_lshl_add_u32 v10, v10, 23, v14
	v_or3_b32 v10, v13, v10, v12
	v_lshrrev_b32_e32 v12, 16, v10
.LBB877_691:
	s_or_b64 exec, exec, s[10:11]
.LBB877_692:
	s_or_b64 exec, exec, s[8:9]
.LBB877_693:
	s_or_b64 exec, exec, s[2:3]
	v_lshrrev_b16_e32 v10, 8, v2
	v_cmp_ne_u16_e32 vcc, 0, v10
	s_and_saveexec_b64 s[2:3], vcc
	s_cbranch_execz .LBB877_699
; %bb.694:
	s_movk_i32 s7, 0x80
	v_cmp_ne_u16_e32 vcc, s7, v10
	v_mov_b32_e32 v11, 0xffff8000
	s_and_saveexec_b64 s[8:9], vcc
	s_cbranch_execz .LBB877_698
; %bb.695:
	s_movk_i32 s7, 0x7f
	v_and_b32_e32 v13, 0x7f, v10
	v_cmp_ne_u32_e32 vcc, s7, v13
	v_mov_b32_e32 v11, 0x7f80
	s_and_saveexec_b64 s[10:11], vcc
	s_cbranch_execz .LBB877_697
; %bb.696:
	v_and_b32_e32 v14, 7, v10
	v_ffbh_u32_e32 v11, v14
	v_min_u32_e32 v16, 32, v11
	v_subrev_u32_e32 v11, 28, v16
	v_lshlrev_b64 v[10:11], v11, v[10:11]
	v_lshrrev_b32_e32 v15, 3, v13
	v_sub_u32_e32 v11, 29, v16
	v_and_b32_e32 v10, 7, v10
	v_cmp_gt_u32_e32 vcc, 8, v13
	v_cndmask_b32_e32 v11, v15, v11, vcc
	v_cndmask_b32_e32 v10, v14, v10, vcc
	v_lshlrev_b32_e32 v13, 16, v2
	v_bfrev_b32_e32 v14, 60
	v_lshlrev_b32_e32 v10, 20, v10
	v_and_b32_e32 v13, 0x80000000, v13
	v_lshl_add_u32 v11, v11, 23, v14
	v_or3_b32 v10, v13, v11, v10
	v_lshrrev_b32_e32 v11, 16, v10
.LBB877_697:
	s_or_b64 exec, exec, s[10:11]
.LBB877_698:
	s_or_b64 exec, exec, s[8:9]
.LBB877_699:
	s_or_b64 exec, exec, s[2:3]
	s_movk_i32 s2, 0xff
	v_and_b32_sdwa v15, v2, s2 dst_sel:DWORD dst_unused:UNUSED_PAD src0_sel:WORD_1 src1_sel:DWORD
	v_lshrrev_b32_e32 v10, 16, v2
	v_cmp_ne_u16_e32 vcc, 0, v15
	v_mov_b32_e32 v13, 0
	v_mov_b32_e32 v14, 0
	s_and_saveexec_b64 s[2:3], vcc
	s_cbranch_execz .LBB877_705
; %bb.700:
	s_movk_i32 s7, 0x80
	v_cmp_ne_u16_e32 vcc, s7, v15
	v_mov_b32_e32 v14, 0xffff8000
	s_and_saveexec_b64 s[8:9], vcc
	s_cbranch_execz .LBB877_704
; %bb.701:
	v_bfe_u32 v15, v2, 16, 7
	s_movk_i32 s7, 0x7f
	v_cmp_ne_u32_e32 vcc, s7, v15
	v_mov_b32_e32 v14, 0x7f80
	s_and_saveexec_b64 s[10:11], vcc
	s_cbranch_execz .LBB877_703
; %bb.702:
	v_and_b32_e32 v14, 7, v10
	v_ffbh_u32_e32 v16, v14
	v_min_u32_e32 v19, 32, v16
	v_subrev_u32_e32 v16, 28, v19
	v_lshlrev_b64 v[16:17], v16, v[10:11]
	v_lshrrev_b32_e32 v18, 3, v15
	v_sub_u32_e32 v10, 29, v19
	v_and_b32_e32 v16, 7, v16
	v_cmp_gt_u32_e32 vcc, 8, v15
	v_mov_b32_e32 v15, 24
	v_cndmask_b32_e32 v10, v18, v10, vcc
	v_cndmask_b32_e32 v14, v14, v16, vcc
	v_lshlrev_b32_sdwa v15, v15, v2 dst_sel:DWORD dst_unused:UNUSED_PAD src0_sel:DWORD src1_sel:WORD_1
	v_bfrev_b32_e32 v16, 60
	v_lshlrev_b32_e32 v14, 20, v14
	v_and_b32_e32 v15, 0x80000000, v15
	v_lshl_add_u32 v10, v10, 23, v16
	v_or3_b32 v10, v15, v10, v14
	v_lshrrev_b32_e32 v14, 16, v10
.LBB877_703:
	s_or_b64 exec, exec, s[10:11]
.LBB877_704:
	s_or_b64 exec, exec, s[8:9]
.LBB877_705:
	s_or_b64 exec, exec, s[2:3]
	s_mov_b32 s2, 0xffffff
	v_cmp_lt_u32_e32 vcc, s2, v2
	s_and_saveexec_b64 s[2:3], vcc
	s_cbranch_execz .LBB877_711
; %bb.706:
	v_lshrrev_b32_e32 v10, 24, v2
	s_movk_i32 s7, 0x80
	v_cmp_ne_u32_e32 vcc, s7, v10
	v_mov_b32_e32 v13, 0xffff8000
	s_and_saveexec_b64 s[8:9], vcc
	s_cbranch_execz .LBB877_710
; %bb.707:
	v_bfe_u32 v2, v2, 24, 7
	s_movk_i32 s7, 0x7f
	v_cmp_ne_u32_e32 vcc, s7, v2
	v_mov_b32_e32 v13, 0x7f80
	s_and_saveexec_b64 s[10:11], vcc
	s_cbranch_execz .LBB877_709
; %bb.708:
	v_and_b32_e32 v13, 7, v10
	v_ffbh_u32_e32 v16, v13
	v_min_u32_e32 v18, 32, v16
	v_subrev_u32_e32 v16, 28, v18
	v_lshlrev_b64 v[16:17], v16, v[10:11]
	v_lshrrev_b32_e32 v15, 3, v2
	v_sub_u32_e32 v17, 29, v18
	v_and_b32_e32 v16, 7, v16
	v_cmp_gt_u32_e32 vcc, 8, v2
	v_cndmask_b32_e32 v2, v15, v17, vcc
	v_cndmask_b32_e32 v13, v13, v16, vcc
	v_lshlrev_b32_e32 v10, 24, v10
	v_bfrev_b32_e32 v15, 60
	v_lshlrev_b32_e32 v13, 20, v13
	v_and_b32_e32 v10, 0x80000000, v10
	v_lshl_add_u32 v2, v2, 23, v15
	v_or3_b32 v2, v10, v2, v13
	v_lshrrev_b32_e32 v13, 16, v2
.LBB877_709:
	s_or_b64 exec, exec, s[10:11]
.LBB877_710:
	s_or_b64 exec, exec, s[8:9]
.LBB877_711:
	s_or_b64 exec, exec, s[2:3]
	v_mov_b32_e32 v10, 0
	v_cmp_ne_u16_sdwa s[8:9], v3, v10 src0_sel:BYTE_0 src1_sel:DWORD
	v_mov_b32_e32 v15, 0
	s_and_saveexec_b64 s[2:3], s[8:9]
	s_cbranch_execz .LBB877_717
; %bb.712:
	s_movk_i32 s7, 0x80
	v_cmp_ne_u16_sdwa s[10:11], v3, s7 src0_sel:BYTE_0 src1_sel:DWORD
	v_mov_b32_e32 v15, 0xffff8000
	s_and_saveexec_b64 s[8:9], s[10:11]
	s_cbranch_execz .LBB877_716
; %bb.713:
	s_movk_i32 s7, 0x7f
	v_and_b32_e32 v2, 0x7f, v3
	v_cmp_ne_u32_e32 vcc, s7, v2
	v_mov_b32_e32 v15, 0x7f80
	s_and_saveexec_b64 s[10:11], vcc
	s_cbranch_execz .LBB877_715
; %bb.714:
	v_and_b32_e32 v15, 7, v3
	v_ffbh_u32_e32 v17, v15
	v_min_u32_e32 v19, 32, v17
	v_mov_b32_e32 v16, v3
	v_subrev_u32_e32 v17, 28, v19
	v_lshlrev_b64 v[16:17], v17, v[16:17]
	v_lshrrev_b32_e32 v18, 3, v2
	v_sub_u32_e32 v17, 29, v19
	v_and_b32_e32 v16, 7, v16
	v_cmp_gt_u32_e32 vcc, 8, v2
	v_cndmask_b32_e32 v2, v18, v17, vcc
	v_cndmask_b32_e32 v15, v15, v16, vcc
	v_lshlrev_b32_e32 v16, 24, v3
	v_bfrev_b32_e32 v17, 60
	v_lshlrev_b32_e32 v15, 20, v15
	v_and_b32_e32 v16, 0x80000000, v16
	v_lshl_add_u32 v2, v2, 23, v17
	v_or3_b32 v2, v16, v2, v15
	v_lshrrev_b32_e32 v15, 16, v2
.LBB877_715:
	s_or_b64 exec, exec, s[10:11]
.LBB877_716:
	s_or_b64 exec, exec, s[8:9]
.LBB877_717:
	s_or_b64 exec, exec, s[2:3]
	v_lshrrev_b16_e32 v2, 8, v3
	v_cmp_ne_u16_e32 vcc, 0, v2
	s_and_saveexec_b64 s[2:3], vcc
	s_cbranch_execz .LBB877_723
; %bb.718:
	s_movk_i32 s7, 0x80
	v_cmp_ne_u16_e32 vcc, s7, v2
	v_mov_b32_e32 v10, 0xffff8000
	s_and_saveexec_b64 s[8:9], vcc
	s_cbranch_execz .LBB877_722
; %bb.719:
	s_movk_i32 s7, 0x7f
	v_and_b32_e32 v16, 0x7f, v2
	v_cmp_ne_u32_e32 vcc, s7, v16
	v_mov_b32_e32 v10, 0x7f80
	s_and_saveexec_b64 s[10:11], vcc
	s_cbranch_execz .LBB877_721
; %bb.720:
	v_and_b32_e32 v10, 7, v2
	v_ffbh_u32_e32 v18, v10
	v_min_u32_e32 v20, 32, v18
	v_subrev_u32_e32 v18, 28, v20
	v_lshlrev_b64 v[18:19], v18, v[2:3]
	v_lshrrev_b32_e32 v17, 3, v16
	v_sub_u32_e32 v2, 29, v20
	v_and_b32_e32 v18, 7, v18
	v_cmp_gt_u32_e32 vcc, 8, v16
	v_cndmask_b32_e32 v2, v17, v2, vcc
	v_cndmask_b32_e32 v10, v10, v18, vcc
	v_lshlrev_b32_e32 v16, 16, v3
	v_bfrev_b32_e32 v17, 60
	v_lshlrev_b32_e32 v10, 20, v10
	v_and_b32_e32 v16, 0x80000000, v16
	v_lshl_add_u32 v2, v2, 23, v17
	v_or3_b32 v2, v16, v2, v10
	v_lshrrev_b32_e32 v10, 16, v2
.LBB877_721:
	s_or_b64 exec, exec, s[10:11]
.LBB877_722:
	s_or_b64 exec, exec, s[8:9]
.LBB877_723:
	s_or_b64 exec, exec, s[2:3]
	s_movk_i32 s2, 0xff
	v_and_b32_sdwa v18, v3, s2 dst_sel:DWORD dst_unused:UNUSED_PAD src0_sel:WORD_1 src1_sel:DWORD
	v_lshrrev_b32_e32 v2, 16, v3
	v_cmp_ne_u16_e32 vcc, 0, v18
	v_mov_b32_e32 v16, 0
	v_mov_b32_e32 v17, 0
	s_and_saveexec_b64 s[2:3], vcc
	s_cbranch_execz .LBB877_729
; %bb.724:
	s_movk_i32 s7, 0x80
	v_cmp_ne_u16_e32 vcc, s7, v18
	v_mov_b32_e32 v17, 0xffff8000
	s_and_saveexec_b64 s[8:9], vcc
	s_cbranch_execz .LBB877_728
; %bb.725:
	v_bfe_u32 v18, v3, 16, 7
	s_movk_i32 s7, 0x7f
	v_cmp_ne_u32_e32 vcc, s7, v18
	v_mov_b32_e32 v17, 0x7f80
	s_and_saveexec_b64 s[10:11], vcc
	s_cbranch_execz .LBB877_727
; %bb.726:
	v_and_b32_e32 v17, 7, v2
	v_ffbh_u32_e32 v20, v17
	v_min_u32_e32 v22, 32, v20
	v_subrev_u32_e32 v20, 28, v22
	v_lshlrev_b64 v[20:21], v20, v[2:3]
	v_lshrrev_b32_e32 v19, 3, v18
	v_sub_u32_e32 v2, 29, v22
	v_and_b32_e32 v20, 7, v20
	v_cmp_gt_u32_e32 vcc, 8, v18
	v_mov_b32_e32 v18, 24
	v_cndmask_b32_e32 v2, v19, v2, vcc
	v_cndmask_b32_e32 v17, v17, v20, vcc
	v_lshlrev_b32_sdwa v18, v18, v3 dst_sel:DWORD dst_unused:UNUSED_PAD src0_sel:DWORD src1_sel:WORD_1
	v_bfrev_b32_e32 v19, 60
	v_lshlrev_b32_e32 v17, 20, v17
	v_and_b32_e32 v18, 0x80000000, v18
	v_lshl_add_u32 v2, v2, 23, v19
	v_or3_b32 v2, v18, v2, v17
	v_lshrrev_b32_e32 v17, 16, v2
.LBB877_727:
	s_or_b64 exec, exec, s[10:11]
.LBB877_728:
	s_or_b64 exec, exec, s[8:9]
.LBB877_729:
	s_or_b64 exec, exec, s[2:3]
	s_mov_b32 s2, 0xffffff
	v_cmp_lt_u32_e32 vcc, s2, v3
	s_and_saveexec_b64 s[2:3], vcc
	s_cbranch_execz .LBB877_735
; %bb.730:
	v_lshrrev_b32_e32 v2, 24, v3
	s_movk_i32 s7, 0x80
	v_cmp_ne_u32_e32 vcc, s7, v2
	v_mov_b32_e32 v16, 0xffff8000
	s_and_saveexec_b64 s[8:9], vcc
	s_cbranch_execz .LBB877_734
; %bb.731:
	v_bfe_u32 v3, v3, 24, 7
	s_movk_i32 s7, 0x7f
	v_cmp_ne_u32_e32 vcc, s7, v3
	v_mov_b32_e32 v16, 0x7f80
	s_and_saveexec_b64 s[10:11], vcc
	s_cbranch_execz .LBB877_733
; %bb.732:
	v_and_b32_e32 v16, 7, v2
	v_ffbh_u32_e32 v18, v16
	v_min_u32_e32 v21, 32, v18
	v_subrev_u32_e32 v18, 28, v21
	v_lshlrev_b64 v[18:19], v18, v[2:3]
	v_lshrrev_b32_e32 v20, 3, v3
	v_sub_u32_e32 v19, 29, v21
	v_and_b32_e32 v18, 7, v18
	v_cmp_gt_u32_e32 vcc, 8, v3
	v_cndmask_b32_e32 v3, v20, v19, vcc
	v_cndmask_b32_e32 v16, v16, v18, vcc
	v_lshlrev_b32_e32 v2, 24, v2
	v_bfrev_b32_e32 v18, 60
	v_lshlrev_b32_e32 v16, 20, v16
	v_and_b32_e32 v2, 0x80000000, v2
	v_lshl_add_u32 v3, v3, 23, v18
	v_or3_b32 v2, v2, v3, v16
	v_lshrrev_b32_e32 v16, 16, v2
.LBB877_733:
	s_or_b64 exec, exec, s[10:11]
.LBB877_734:
	s_or_b64 exec, exec, s[8:9]
.LBB877_735:
	s_or_b64 exec, exec, s[2:3]
	s_mov_b32 s2, 0x5040100
	v_perm_b32 v3, v13, v14, s2
	v_perm_b32 v2, v11, v12, s2
	ds_read_b128 v[18:21], v50 offset:6144
	v_perm_b32 v13, v16, v17, s2
	v_perm_b32 v12, v10, v15, s2
	s_waitcnt lgkmcnt(0)
	v_mfma_f32_16x16x16bf16_1k v[6:9], v[2:3], v[18:19], v[6:9]
	v_mov_b32_e32 v3, 0
	v_cmp_ne_u16_sdwa s[8:9], v4, v3 src0_sel:BYTE_0 src1_sel:DWORD
	v_mov_b32_e32 v10, 0
	v_mfma_f32_16x16x16bf16_1k v[6:9], v[12:13], v[20:21], v[6:9]
	s_and_saveexec_b64 s[2:3], s[8:9]
	s_cbranch_execz .LBB877_741
; %bb.736:
	s_movk_i32 s7, 0x80
	v_cmp_ne_u16_sdwa s[10:11], v4, s7 src0_sel:BYTE_0 src1_sel:DWORD
	v_mov_b32_e32 v10, 0xffff8000
	s_and_saveexec_b64 s[8:9], s[10:11]
	s_cbranch_execz .LBB877_740
; %bb.737:
	s_movk_i32 s7, 0x7f
	v_and_b32_e32 v2, 0x7f, v4
	v_cmp_ne_u32_e32 vcc, s7, v2
	v_mov_b32_e32 v10, 0x7f80
	s_and_saveexec_b64 s[10:11], vcc
	s_cbranch_execz .LBB877_739
; %bb.738:
	v_and_b32_e32 v12, 7, v4
	v_ffbh_u32_e32 v10, v12
	v_min_u32_e32 v14, 32, v10
	v_subrev_u32_e32 v10, 28, v14
	v_lshlrev_b64 v[10:11], v10, v[4:5]
	v_lshrrev_b32_e32 v13, 3, v2
	v_sub_u32_e32 v11, 29, v14
	v_and_b32_e32 v10, 7, v10
	v_cmp_gt_u32_e32 vcc, 8, v2
	v_cndmask_b32_e32 v2, v13, v11, vcc
	v_cndmask_b32_e32 v10, v12, v10, vcc
	v_lshlrev_b32_e32 v11, 24, v4
	v_bfrev_b32_e32 v12, 60
	v_lshlrev_b32_e32 v10, 20, v10
	v_and_b32_e32 v11, 0x80000000, v11
	v_lshl_add_u32 v2, v2, 23, v12
	v_or3_b32 v2, v11, v2, v10
	v_lshrrev_b32_e32 v10, 16, v2
.LBB877_739:
	s_or_b64 exec, exec, s[10:11]
.LBB877_740:
	s_or_b64 exec, exec, s[8:9]
.LBB877_741:
	s_or_b64 exec, exec, s[2:3]
	v_lshrrev_b16_e32 v2, 8, v4
	v_cmp_ne_u16_e32 vcc, 0, v2
	s_and_saveexec_b64 s[2:3], vcc
	s_cbranch_execz .LBB877_747
; %bb.742:
	s_movk_i32 s7, 0x80
	v_cmp_ne_u16_e32 vcc, s7, v2
	v_mov_b32_e32 v3, 0xffff8000
	s_and_saveexec_b64 s[8:9], vcc
	s_cbranch_execz .LBB877_746
; %bb.743:
	s_movk_i32 s7, 0x7f
	v_and_b32_e32 v11, 0x7f, v2
	v_cmp_ne_u32_e32 vcc, s7, v11
	v_mov_b32_e32 v3, 0x7f80
	s_and_saveexec_b64 s[10:11], vcc
	s_cbranch_execz .LBB877_745
; %bb.744:
	v_and_b32_e32 v12, 7, v2
	v_ffbh_u32_e32 v3, v12
	v_min_u32_e32 v14, 32, v3
	v_subrev_u32_e32 v3, 28, v14
	v_lshlrev_b64 v[2:3], v3, v[2:3]
	v_lshrrev_b32_e32 v13, 3, v11
	v_sub_u32_e32 v3, 29, v14
	v_and_b32_e32 v2, 7, v2
	v_cmp_gt_u32_e32 vcc, 8, v11
	v_cndmask_b32_e32 v3, v13, v3, vcc
	v_cndmask_b32_e32 v2, v12, v2, vcc
	v_lshlrev_b32_e32 v11, 16, v4
	v_bfrev_b32_e32 v12, 60
	v_lshlrev_b32_e32 v2, 20, v2
	v_and_b32_e32 v11, 0x80000000, v11
	v_lshl_add_u32 v3, v3, 23, v12
	v_or3_b32 v2, v11, v3, v2
	v_lshrrev_b32_e32 v3, 16, v2
.LBB877_745:
	s_or_b64 exec, exec, s[10:11]
.LBB877_746:
	s_or_b64 exec, exec, s[8:9]
.LBB877_747:
	s_or_b64 exec, exec, s[2:3]
	s_movk_i32 s2, 0xff
	v_and_b32_sdwa v13, v4, s2 dst_sel:DWORD dst_unused:UNUSED_PAD src0_sel:WORD_1 src1_sel:DWORD
	v_lshrrev_b32_e32 v2, 16, v4
	v_cmp_ne_u16_e32 vcc, 0, v13
	v_mov_b32_e32 v11, 0
	v_mov_b32_e32 v12, 0
	s_and_saveexec_b64 s[2:3], vcc
	s_cbranch_execz .LBB877_753
; %bb.748:
	s_movk_i32 s7, 0x80
	v_cmp_ne_u16_e32 vcc, s7, v13
	v_mov_b32_e32 v12, 0xffff8000
	s_and_saveexec_b64 s[8:9], vcc
	s_cbranch_execz .LBB877_752
; %bb.749:
	v_bfe_u32 v13, v4, 16, 7
	s_movk_i32 s7, 0x7f
	v_cmp_ne_u32_e32 vcc, s7, v13
	v_mov_b32_e32 v12, 0x7f80
	s_and_saveexec_b64 s[10:11], vcc
	s_cbranch_execz .LBB877_751
; %bb.750:
	v_and_b32_e32 v12, 7, v2
	v_ffbh_u32_e32 v14, v12
	v_min_u32_e32 v17, 32, v14
	v_subrev_u32_e32 v14, 28, v17
	v_lshlrev_b64 v[14:15], v14, v[2:3]
	v_lshrrev_b32_e32 v16, 3, v13
	v_sub_u32_e32 v2, 29, v17
	v_and_b32_e32 v14, 7, v14
	v_cmp_gt_u32_e32 vcc, 8, v13
	v_mov_b32_e32 v13, 24
	v_cndmask_b32_e32 v2, v16, v2, vcc
	v_cndmask_b32_e32 v12, v12, v14, vcc
	v_lshlrev_b32_sdwa v13, v13, v4 dst_sel:DWORD dst_unused:UNUSED_PAD src0_sel:DWORD src1_sel:WORD_1
	v_bfrev_b32_e32 v14, 60
	v_lshlrev_b32_e32 v12, 20, v12
	v_and_b32_e32 v13, 0x80000000, v13
	v_lshl_add_u32 v2, v2, 23, v14
	v_or3_b32 v2, v13, v2, v12
	v_lshrrev_b32_e32 v12, 16, v2
.LBB877_751:
	s_or_b64 exec, exec, s[10:11]
.LBB877_752:
	s_or_b64 exec, exec, s[8:9]
.LBB877_753:
	s_or_b64 exec, exec, s[2:3]
	s_mov_b32 s2, 0xffffff
	v_cmp_lt_u32_e32 vcc, s2, v4
	s_and_saveexec_b64 s[2:3], vcc
	s_cbranch_execz .LBB877_759
; %bb.754:
	v_lshrrev_b32_e32 v2, 24, v4
	s_movk_i32 s7, 0x80
	v_cmp_ne_u32_e32 vcc, s7, v2
	v_mov_b32_e32 v11, 0xffff8000
	s_and_saveexec_b64 s[8:9], vcc
	s_cbranch_execz .LBB877_758
; %bb.755:
	v_bfe_u32 v4, v4, 24, 7
	s_movk_i32 s7, 0x7f
	v_cmp_ne_u32_e32 vcc, s7, v4
	v_mov_b32_e32 v11, 0x7f80
	s_and_saveexec_b64 s[10:11], vcc
	s_cbranch_execz .LBB877_757
; %bb.756:
	v_and_b32_e32 v11, 7, v2
	v_ffbh_u32_e32 v14, v11
	v_min_u32_e32 v16, 32, v14
	v_subrev_u32_e32 v14, 28, v16
	v_lshlrev_b64 v[14:15], v14, v[2:3]
	v_lshrrev_b32_e32 v13, 3, v4
	v_sub_u32_e32 v15, 29, v16
	v_and_b32_e32 v14, 7, v14
	v_cmp_gt_u32_e32 vcc, 8, v4
	v_cndmask_b32_e32 v4, v13, v15, vcc
	v_cndmask_b32_e32 v11, v11, v14, vcc
	v_lshlrev_b32_e32 v2, 24, v2
	v_bfrev_b32_e32 v13, 60
	v_lshlrev_b32_e32 v11, 20, v11
	v_and_b32_e32 v2, 0x80000000, v2
	v_lshl_add_u32 v4, v4, 23, v13
	v_or3_b32 v2, v2, v4, v11
	v_lshrrev_b32_e32 v11, 16, v2
.LBB877_757:
	s_or_b64 exec, exec, s[10:11]
.LBB877_758:
	s_or_b64 exec, exec, s[8:9]
.LBB877_759:
	s_or_b64 exec, exec, s[2:3]
	v_mov_b32_e32 v4, 0
	v_cmp_ne_u16_sdwa s[8:9], v5, v4 src0_sel:BYTE_0 src1_sel:DWORD
	v_mov_b32_e32 v13, 0
	s_and_saveexec_b64 s[2:3], s[8:9]
	s_cbranch_execz .LBB877_765
; %bb.760:
	s_movk_i32 s7, 0x80
	v_cmp_ne_u16_sdwa s[10:11], v5, s7 src0_sel:BYTE_0 src1_sel:DWORD
	v_mov_b32_e32 v13, 0xffff8000
	s_and_saveexec_b64 s[8:9], s[10:11]
	s_cbranch_execz .LBB877_764
; %bb.761:
	s_movk_i32 s7, 0x7f
	v_and_b32_e32 v2, 0x7f, v5
	v_cmp_ne_u32_e32 vcc, s7, v2
	v_mov_b32_e32 v13, 0x7f80
	s_and_saveexec_b64 s[10:11], vcc
	s_cbranch_execz .LBB877_763
; %bb.762:
	v_and_b32_e32 v13, 7, v5
	v_ffbh_u32_e32 v15, v13
	v_min_u32_e32 v17, 32, v15
	v_mov_b32_e32 v14, v5
	v_subrev_u32_e32 v15, 28, v17
	v_lshlrev_b64 v[14:15], v15, v[14:15]
	v_lshrrev_b32_e32 v16, 3, v2
	v_sub_u32_e32 v15, 29, v17
	v_and_b32_e32 v14, 7, v14
	v_cmp_gt_u32_e32 vcc, 8, v2
	v_cndmask_b32_e32 v2, v16, v15, vcc
	v_cndmask_b32_e32 v13, v13, v14, vcc
	v_lshlrev_b32_e32 v14, 24, v5
	v_bfrev_b32_e32 v15, 60
	v_lshlrev_b32_e32 v13, 20, v13
	v_and_b32_e32 v14, 0x80000000, v14
	v_lshl_add_u32 v2, v2, 23, v15
	v_or3_b32 v2, v14, v2, v13
	v_lshrrev_b32_e32 v13, 16, v2
.LBB877_763:
	s_or_b64 exec, exec, s[10:11]
.LBB877_764:
	s_or_b64 exec, exec, s[8:9]
.LBB877_765:
	s_or_b64 exec, exec, s[2:3]
	v_lshrrev_b16_e32 v2, 8, v5
	v_cmp_ne_u16_e32 vcc, 0, v2
	s_and_saveexec_b64 s[2:3], vcc
	s_cbranch_execz .LBB877_771
; %bb.766:
	s_movk_i32 s7, 0x80
	v_cmp_ne_u16_e32 vcc, s7, v2
	v_mov_b32_e32 v4, 0xffff8000
	s_and_saveexec_b64 s[8:9], vcc
	s_cbranch_execz .LBB877_770
; %bb.767:
	s_movk_i32 s7, 0x7f
	v_and_b32_e32 v14, 0x7f, v2
	v_cmp_ne_u32_e32 vcc, s7, v14
	v_mov_b32_e32 v4, 0x7f80
	s_and_saveexec_b64 s[10:11], vcc
	s_cbranch_execz .LBB877_769
; %bb.768:
	v_and_b32_e32 v4, 7, v2
	v_ffbh_u32_e32 v16, v4
	v_min_u32_e32 v18, 32, v16
	v_subrev_u32_e32 v16, 28, v18
	v_lshlrev_b64 v[16:17], v16, v[2:3]
	v_lshrrev_b32_e32 v15, 3, v14
	v_sub_u32_e32 v2, 29, v18
	v_and_b32_e32 v16, 7, v16
	v_cmp_gt_u32_e32 vcc, 8, v14
	v_cndmask_b32_e32 v2, v15, v2, vcc
	v_cndmask_b32_e32 v4, v4, v16, vcc
	v_lshlrev_b32_e32 v14, 16, v5
	v_bfrev_b32_e32 v15, 60
	v_lshlrev_b32_e32 v4, 20, v4
	v_and_b32_e32 v14, 0x80000000, v14
	v_lshl_add_u32 v2, v2, 23, v15
	v_or3_b32 v2, v14, v2, v4
	v_lshrrev_b32_e32 v4, 16, v2
.LBB877_769:
	s_or_b64 exec, exec, s[10:11]
.LBB877_770:
	s_or_b64 exec, exec, s[8:9]
.LBB877_771:
	s_or_b64 exec, exec, s[2:3]
	s_movk_i32 s2, 0xff
	v_and_b32_sdwa v16, v5, s2 dst_sel:DWORD dst_unused:UNUSED_PAD src0_sel:WORD_1 src1_sel:DWORD
	v_lshrrev_b32_e32 v2, 16, v5
	v_cmp_ne_u16_e32 vcc, 0, v16
	v_mov_b32_e32 v14, 0
	v_mov_b32_e32 v15, 0
	s_and_saveexec_b64 s[2:3], vcc
	s_cbranch_execz .LBB877_777
; %bb.772:
	s_movk_i32 s7, 0x80
	v_cmp_ne_u16_e32 vcc, s7, v16
	v_mov_b32_e32 v15, 0xffff8000
	s_and_saveexec_b64 s[8:9], vcc
	s_cbranch_execz .LBB877_776
; %bb.773:
	v_bfe_u32 v16, v5, 16, 7
	s_movk_i32 s7, 0x7f
	v_cmp_ne_u32_e32 vcc, s7, v16
	v_mov_b32_e32 v15, 0x7f80
	s_and_saveexec_b64 s[10:11], vcc
	s_cbranch_execz .LBB877_775
; %bb.774:
	v_and_b32_e32 v15, 7, v2
	v_ffbh_u32_e32 v18, v15
	v_min_u32_e32 v20, 32, v18
	v_subrev_u32_e32 v18, 28, v20
	v_lshlrev_b64 v[18:19], v18, v[2:3]
	v_lshrrev_b32_e32 v17, 3, v16
	v_sub_u32_e32 v2, 29, v20
	v_and_b32_e32 v18, 7, v18
	v_cmp_gt_u32_e32 vcc, 8, v16
	v_mov_b32_e32 v16, 24
	v_cndmask_b32_e32 v2, v17, v2, vcc
	v_cndmask_b32_e32 v15, v15, v18, vcc
	v_lshlrev_b32_sdwa v16, v16, v5 dst_sel:DWORD dst_unused:UNUSED_PAD src0_sel:DWORD src1_sel:WORD_1
	v_bfrev_b32_e32 v17, 60
	v_lshlrev_b32_e32 v15, 20, v15
	v_and_b32_e32 v16, 0x80000000, v16
	v_lshl_add_u32 v2, v2, 23, v17
	v_or3_b32 v2, v16, v2, v15
	v_lshrrev_b32_e32 v15, 16, v2
.LBB877_775:
	s_or_b64 exec, exec, s[10:11]
.LBB877_776:
	s_or_b64 exec, exec, s[8:9]
.LBB877_777:
	s_or_b64 exec, exec, s[2:3]
	s_mov_b32 s2, 0xffffff
	v_cmp_lt_u32_e32 vcc, s2, v5
	s_and_saveexec_b64 s[2:3], vcc
	s_cbranch_execz .LBB877_783
; %bb.778:
	v_lshrrev_b32_e32 v2, 24, v5
	s_movk_i32 s7, 0x80
	v_cmp_ne_u32_e32 vcc, s7, v2
	v_mov_b32_e32 v14, 0xffff8000
	s_and_saveexec_b64 s[8:9], vcc
	s_cbranch_execz .LBB877_782
; %bb.779:
	v_bfe_u32 v5, v5, 24, 7
	s_movk_i32 s7, 0x7f
	v_cmp_ne_u32_e32 vcc, s7, v5
	v_mov_b32_e32 v14, 0x7f80
	s_and_saveexec_b64 s[10:11], vcc
	s_cbranch_execz .LBB877_781
; %bb.780:
	v_and_b32_e32 v14, 7, v2
	v_ffbh_u32_e32 v16, v14
	v_min_u32_e32 v19, 32, v16
	v_subrev_u32_e32 v16, 28, v19
	v_lshlrev_b64 v[16:17], v16, v[2:3]
	v_lshrrev_b32_e32 v18, 3, v5
	v_sub_u32_e32 v17, 29, v19
	v_and_b32_e32 v16, 7, v16
	v_cmp_gt_u32_e32 vcc, 8, v5
	v_cndmask_b32_e32 v5, v18, v17, vcc
	v_cndmask_b32_e32 v14, v14, v16, vcc
	v_lshlrev_b32_e32 v2, 24, v2
	v_bfrev_b32_e32 v16, 60
	v_lshlrev_b32_e32 v14, 20, v14
	v_and_b32_e32 v2, 0x80000000, v2
	v_lshl_add_u32 v5, v5, 23, v16
	v_or3_b32 v2, v2, v5, v14
	v_lshrrev_b32_e32 v14, 16, v2
.LBB877_781:
	s_or_b64 exec, exec, s[10:11]
.LBB877_782:
	s_or_b64 exec, exec, s[8:9]
.LBB877_783:
	s_or_b64 exec, exec, s[2:3]
	s_mov_b32 s3, 0x5040100
	v_perm_b32 v11, v11, v12, s3
	ds_read_b128 v[16:19], v50 offset:6160
	v_perm_b32 v10, v3, v10, s3
	v_perm_b32 v3, v14, v15, s3
	;; [unrolled: 1-line block ×3, first 2 shown]
	s_waitcnt lgkmcnt(0)
	v_mfma_f32_16x16x16bf16_1k v[6:9], v[10:11], v[16:17], v[6:9]
	s_load_dword s2, s[42:43], 0x0
	s_mov_b32 s3, 0x7060302
	s_movk_i32 s7, 0x7fff
	v_cmp_gt_u32_e32 vcc, 64, v0
	s_and_b64 s[0:1], vcc, s[0:1]
	s_waitcnt lgkmcnt(0)
	s_barrier
	v_mfma_f32_16x16x16bf16_1k v[2:5], v[2:3], v[18:19], v[6:9]
	s_nop 7
	s_nop 2
	v_pk_mul_f32 v[4:5], v[4:5], s[2:3] op_sel_hi:[1,0]
	v_pk_mul_f32 v[2:3], v[2:3], s[2:3] op_sel_hi:[1,0]
	v_bfe_u32 v6, v3, 16, 1
	v_bfe_u32 v7, v2, 16, 1
	;; [unrolled: 1-line block ×4, first 2 shown]
	v_add3_u32 v2, v2, v7, s7
	v_add3_u32 v3, v3, v6, s7
	;; [unrolled: 1-line block ×4, first 2 shown]
	v_perm_b32 v2, v3, v2, s3
	v_perm_b32 v3, v5, v4, s3
	ds_write_b64 v26, v[2:3]
	s_waitcnt lgkmcnt(0)
	s_barrier
	s_and_saveexec_b64 s[2:3], s[0:1]
	s_cbranch_execz .LBB877_785
; %bb.784:
	s_load_dwordx2 s[0:1], s[4:5], 0x68
	s_lshl_b32 s4, s44, 6
	s_mul_i32 s2, s12, s6
	s_mul_hi_u32 s3, s2, s4
	s_mul_i32 s2, s2, s4
	s_lshl_b64 s[2:3], s[2:3], 1
	s_waitcnt lgkmcnt(0)
	s_add_u32 s2, s0, s2
	s_addc_u32 s3, s1, s3
	s_lshl_b32 s0, s24, 6
	s_mov_b32 s1, 0
	v_lshlrev_b32_e32 v0, 10, v0
	s_lshl_b64 s[0:1], s[0:1], 1
	v_and_b32_e32 v0, 0x1800, v0
	v_lshlrev_b32_e32 v2, 5, v1
	v_and_b32_e32 v3, 16, v49
	s_add_u32 s0, s2, s0
	v_or3_b32 v0, v0, v2, v3
	s_addc_u32 s1, s3, s1
	ds_read_b128 v[2:5], v0
	ds_read_b128 v[6:9], v0 offset:128
	ds_read_b128 v[10:13], v0 offset:256
	ds_read_b128 v[14:17], v0 offset:384
	v_mov_b32_e32 v0, s1
	v_add_co_u32_e32 v18, vcc, s0, v48
	v_or_b32_e32 v20, s25, v1
	v_addc_co_u32_e32 v19, vcc, 0, v0, vcc
	v_mad_u64_u32 v[0:1], s[0:1], v20, s4, 0
	v_lshlrev_b64 v[0:1], 1, v[0:1]
	v_add_co_u32_e32 v0, vcc, v18, v0
	v_addc_co_u32_e32 v1, vcc, v19, v1, vcc
	s_waitcnt lgkmcnt(3)
	global_store_dwordx4 v[0:1], v[2:5], off
	v_or_b32_e32 v0, 4, v20
	v_mad_u64_u32 v[0:1], s[0:1], v0, s4, 0
	v_lshlrev_b64 v[0:1], 1, v[0:1]
	v_add_co_u32_e32 v0, vcc, v18, v0
	v_addc_co_u32_e32 v1, vcc, v19, v1, vcc
	s_waitcnt lgkmcnt(2)
	global_store_dwordx4 v[0:1], v[6:9], off
	v_or_b32_e32 v0, 8, v20
	;; [unrolled: 7-line block ×3, first 2 shown]
	v_mad_u64_u32 v[0:1], s[0:1], v0, s4, 0
	v_lshlrev_b64 v[0:1], 1, v[0:1]
	v_add_co_u32_e32 v0, vcc, v18, v0
	v_addc_co_u32_e32 v1, vcc, v19, v1, vcc
	s_waitcnt lgkmcnt(0)
	global_store_dwordx4 v[0:1], v[14:17], off
.LBB877_785:
	s_endpgm
	.section	.rodata,"a",@progbits
	.p2align	6, 0x0
	.amdhsa_kernel _Z39paged_attention_ll4mi_QKV_mfma16_kernelI14__hip_bfloat16hLN4vllm18Fp8KVCacheDataTypeE1ES0_Li32ELi64ELi256ELb1ELi16EL8MFMAType0EEvPKT_PKT0_S9_ifPKiSB_SB_iPKfiiiPfSE_PS4_PT2_iSD_SD_
		.amdhsa_group_segment_fixed_size 8192
		.amdhsa_private_segment_fixed_size 0
		.amdhsa_kernarg_size 400
		.amdhsa_user_sgpr_count 6
		.amdhsa_user_sgpr_private_segment_buffer 1
		.amdhsa_user_sgpr_dispatch_ptr 0
		.amdhsa_user_sgpr_queue_ptr 0
		.amdhsa_user_sgpr_kernarg_segment_ptr 1
		.amdhsa_user_sgpr_dispatch_id 0
		.amdhsa_user_sgpr_flat_scratch_init 0
		.amdhsa_user_sgpr_kernarg_preload_length 0
		.amdhsa_user_sgpr_kernarg_preload_offset 0
		.amdhsa_user_sgpr_private_segment_size 0
		.amdhsa_uses_dynamic_stack 0
		.amdhsa_system_sgpr_private_segment_wavefront_offset 0
		.amdhsa_system_sgpr_workgroup_id_x 1
		.amdhsa_system_sgpr_workgroup_id_y 1
		.amdhsa_system_sgpr_workgroup_id_z 1
		.amdhsa_system_sgpr_workgroup_info 0
		.amdhsa_system_vgpr_workitem_id 0
		.amdhsa_next_free_vgpr 65
		.amdhsa_next_free_sgpr 47
		.amdhsa_accum_offset 68
		.amdhsa_reserve_vcc 1
		.amdhsa_reserve_flat_scratch 0
		.amdhsa_float_round_mode_32 0
		.amdhsa_float_round_mode_16_64 0
		.amdhsa_float_denorm_mode_32 3
		.amdhsa_float_denorm_mode_16_64 3
		.amdhsa_dx10_clamp 1
		.amdhsa_ieee_mode 1
		.amdhsa_fp16_overflow 0
		.amdhsa_tg_split 0
		.amdhsa_exception_fp_ieee_invalid_op 0
		.amdhsa_exception_fp_denorm_src 0
		.amdhsa_exception_fp_ieee_div_zero 0
		.amdhsa_exception_fp_ieee_overflow 0
		.amdhsa_exception_fp_ieee_underflow 0
		.amdhsa_exception_fp_ieee_inexact 0
		.amdhsa_exception_int_div_zero 0
	.end_amdhsa_kernel
	.section	.text._Z39paged_attention_ll4mi_QKV_mfma16_kernelI14__hip_bfloat16hLN4vllm18Fp8KVCacheDataTypeE1ES0_Li32ELi64ELi256ELb1ELi16EL8MFMAType0EEvPKT_PKT0_S9_ifPKiSB_SB_iPKfiiiPfSE_PS4_PT2_iSD_SD_,"axG",@progbits,_Z39paged_attention_ll4mi_QKV_mfma16_kernelI14__hip_bfloat16hLN4vllm18Fp8KVCacheDataTypeE1ES0_Li32ELi64ELi256ELb1ELi16EL8MFMAType0EEvPKT_PKT0_S9_ifPKiSB_SB_iPKfiiiPfSE_PS4_PT2_iSD_SD_,comdat
.Lfunc_end877:
	.size	_Z39paged_attention_ll4mi_QKV_mfma16_kernelI14__hip_bfloat16hLN4vllm18Fp8KVCacheDataTypeE1ES0_Li32ELi64ELi256ELb1ELi16EL8MFMAType0EEvPKT_PKT0_S9_ifPKiSB_SB_iPKfiiiPfSE_PS4_PT2_iSD_SD_, .Lfunc_end877-_Z39paged_attention_ll4mi_QKV_mfma16_kernelI14__hip_bfloat16hLN4vllm18Fp8KVCacheDataTypeE1ES0_Li32ELi64ELi256ELb1ELi16EL8MFMAType0EEvPKT_PKT0_S9_ifPKiSB_SB_iPKfiiiPfSE_PS4_PT2_iSD_SD_
                                        ; -- End function
	.section	.AMDGPU.csdata,"",@progbits
; Kernel info:
; codeLenInByte = 28692
; NumSgprs: 51
; NumVgprs: 65
; NumAgprs: 0
; TotalNumVgprs: 65
; ScratchSize: 0
; MemoryBound: 0
; FloatMode: 240
; IeeeMode: 1
; LDSByteSize: 8192 bytes/workgroup (compile time only)
; SGPRBlocks: 6
; VGPRBlocks: 8
; NumSGPRsForWavesPerEU: 51
; NumVGPRsForWavesPerEU: 65
; AccumOffset: 68
; Occupancy: 7
; WaveLimiterHint : 1
; COMPUTE_PGM_RSRC2:SCRATCH_EN: 0
; COMPUTE_PGM_RSRC2:USER_SGPR: 6
; COMPUTE_PGM_RSRC2:TRAP_HANDLER: 0
; COMPUTE_PGM_RSRC2:TGID_X_EN: 1
; COMPUTE_PGM_RSRC2:TGID_Y_EN: 1
; COMPUTE_PGM_RSRC2:TGID_Z_EN: 1
; COMPUTE_PGM_RSRC2:TIDIG_COMP_CNT: 0
; COMPUTE_PGM_RSRC3_GFX90A:ACCUM_OFFSET: 16
; COMPUTE_PGM_RSRC3_GFX90A:TG_SPLIT: 0
	.section	.text._Z39paged_attention_ll4mi_QKV_mfma16_kernelI14__hip_bfloat16hLN4vllm18Fp8KVCacheDataTypeE1ES0_Li32ELi64ELi256ELb1ELi1EL8MFMAType0EEvPKT_PKT0_S9_ifPKiSB_SB_iPKfiiiPfSE_PS4_PT2_iSD_SD_,"axG",@progbits,_Z39paged_attention_ll4mi_QKV_mfma16_kernelI14__hip_bfloat16hLN4vllm18Fp8KVCacheDataTypeE1ES0_Li32ELi64ELi256ELb1ELi1EL8MFMAType0EEvPKT_PKT0_S9_ifPKiSB_SB_iPKfiiiPfSE_PS4_PT2_iSD_SD_,comdat
	.protected	_Z39paged_attention_ll4mi_QKV_mfma16_kernelI14__hip_bfloat16hLN4vllm18Fp8KVCacheDataTypeE1ES0_Li32ELi64ELi256ELb1ELi1EL8MFMAType0EEvPKT_PKT0_S9_ifPKiSB_SB_iPKfiiiPfSE_PS4_PT2_iSD_SD_ ; -- Begin function _Z39paged_attention_ll4mi_QKV_mfma16_kernelI14__hip_bfloat16hLN4vllm18Fp8KVCacheDataTypeE1ES0_Li32ELi64ELi256ELb1ELi1EL8MFMAType0EEvPKT_PKT0_S9_ifPKiSB_SB_iPKfiiiPfSE_PS4_PT2_iSD_SD_
	.globl	_Z39paged_attention_ll4mi_QKV_mfma16_kernelI14__hip_bfloat16hLN4vllm18Fp8KVCacheDataTypeE1ES0_Li32ELi64ELi256ELb1ELi1EL8MFMAType0EEvPKT_PKT0_S9_ifPKiSB_SB_iPKfiiiPfSE_PS4_PT2_iSD_SD_
	.p2align	8
	.type	_Z39paged_attention_ll4mi_QKV_mfma16_kernelI14__hip_bfloat16hLN4vllm18Fp8KVCacheDataTypeE1ES0_Li32ELi64ELi256ELb1ELi1EL8MFMAType0EEvPKT_PKT0_S9_ifPKiSB_SB_iPKfiiiPfSE_PS4_PT2_iSD_SD_,@function
_Z39paged_attention_ll4mi_QKV_mfma16_kernelI14__hip_bfloat16hLN4vllm18Fp8KVCacheDataTypeE1ES0_Li32ELi64ELi256ELb1ELi1EL8MFMAType0EEvPKT_PKT0_S9_ifPKiSB_SB_iPKfiiiPfSE_PS4_PT2_iSD_SD_: ; @_Z39paged_attention_ll4mi_QKV_mfma16_kernelI14__hip_bfloat16hLN4vllm18Fp8KVCacheDataTypeE1ES0_Li32ELi64ELi256ELb1ELi1EL8MFMAType0EEvPKT_PKT0_S9_ifPKiSB_SB_iPKfiiiPfSE_PS4_PT2_iSD_SD_
; %bb.0:
	s_load_dwordx2 s[0:1], s[4:5], 0x30
	s_mov_b32 s26, s7
	s_mov_b64 s[10:11], 0
	s_waitcnt lgkmcnt(0)
	s_cmp_lg_u64 s[0:1], 0
	s_cselect_b64 s[2:3], -1, 0
	s_and_b64 vcc, exec, s[2:3]
	s_cbranch_vccz .LBB878_7
; %bb.1:
	s_add_i32 s12, s6, 1
	s_mov_b32 s13, 0
	s_lshl_b64 s[14:15], s[12:13], 2
	s_add_u32 s14, s0, s14
	s_mov_b32 s7, s13
	s_addc_u32 s15, s1, s15
	s_lshl_b64 s[12:13], s[6:7], 2
	s_add_u32 s12, s0, s12
	s_addc_u32 s13, s1, s13
	s_load_dword s9, s[14:15], 0x0
	s_load_dword s16, s[12:13], 0x0
	s_waitcnt lgkmcnt(0)
	s_sub_i32 s9, s9, s16
	s_cmp_eq_u32 s9, 1
	s_cselect_b64 s[12:13], -1, 0
	s_andn2_b64 vcc, exec, s[10:11]
	s_cbranch_vccnz .LBB878_3
.LBB878_2:
	s_mov_b32 s7, 0
	s_mov_b64 s[12:13], -1
.LBB878_3:
	s_andn2_b64 vcc, exec, s[12:13]
	s_cbranch_vccnz .LBB878_787
; %bb.4:
	s_load_dwordx2 s[12:13], s[4:5], 0x28
	s_lshl_b64 s[10:11], s[6:7], 2
	s_waitcnt lgkmcnt(0)
	s_add_u32 s12, s12, s10
	s_addc_u32 s13, s13, s11
	s_load_dword s27, s[12:13], 0x0
	s_lshl_b32 s18, s26, 8
	s_waitcnt lgkmcnt(0)
	s_cmp_ge_i32 s18, s27
	s_cbranch_scc1 .LBB878_787
; %bb.5:
	s_add_i32 s14, s27, 31
	s_load_dwordx2 s[12:13], s[4:5], 0x20
	s_load_dword s9, s[4:5], 0x38
	s_ashr_i32 s15, s14, 31
	v_and_b32_e32 v1, 0xcf, v0
	s_lshr_b32 s15, s15, 27
	v_add_u32_e32 v1, s18, v1
	s_add_i32 s14, s14, s15
	v_ashrrev_i32_e32 v2, 31, v1
	s_ashr_i32 s21, s14, 5
	v_lshrrev_b32_e32 v4, 27, v2
	s_add_i32 s21, s21, -1
	v_add_u32_e32 v2, v1, v4
	s_waitcnt lgkmcnt(0)
	s_mul_i32 s14, s6, s9
	s_mov_b32 s15, 0
	v_ashrrev_i32_e32 v2, 5, v2
	v_mov_b32_e32 v5, s21
	v_cmp_gt_i32_e32 vcc, s27, v1
	s_lshl_b64 s[14:15], s[14:15], 2
	v_cndmask_b32_e32 v2, v5, v2, vcc
	s_add_u32 s19, s12, s14
	v_ashrrev_i32_e32 v3, 31, v2
	s_addc_u32 s20, s13, s15
	v_lshlrev_b64 v[2:3], 2, v[2:3]
	v_mov_b32_e32 v7, s20
	v_add_co_u32_e32 v6, vcc, s19, v2
	v_or_b32_e32 v2, 16, v1
	v_addc_co_u32_e32 v7, vcc, v7, v3, vcc
	v_add_u32_e32 v3, v2, v4
	v_ashrrev_i32_e32 v3, 5, v3
	v_cmp_gt_i32_e32 vcc, s27, v2
	v_cndmask_b32_e32 v2, v5, v3, vcc
	v_ashrrev_i32_e32 v3, 31, v2
	v_lshlrev_b64 v[2:3], 2, v[2:3]
	v_mov_b32_e32 v9, s20
	v_add_co_u32_e32 v8, vcc, s19, v2
	v_or_b32_e32 v2, 32, v1
	v_addc_co_u32_e32 v9, vcc, v9, v3, vcc
	v_add_u32_e32 v3, v2, v4
	v_ashrrev_i32_e32 v3, 5, v3
	v_cmp_gt_i32_e32 vcc, s27, v2
	v_cndmask_b32_e32 v2, v5, v3, vcc
	v_ashrrev_i32_e32 v3, 31, v2
	;; [unrolled: 10-line block ×3, first 2 shown]
	v_lshlrev_b64 v[2:3], 2, v[2:3]
	v_mov_b32_e32 v1, s20
	v_add_co_u32_e32 v12, vcc, s19, v2
	v_addc_co_u32_e32 v13, vcc, v1, v3, vcc
	global_load_dword v5, v[6:7], off
	global_load_dword v4, v[8:9], off
	;; [unrolled: 1-line block ×4, first 2 shown]
	s_load_dwordx2 s[16:17], s[4:5], 0x8
	s_andn2_b64 vcc, exec, s[2:3]
	s_cbranch_vccnz .LBB878_8
; %bb.6:
	s_add_u32 s0, s0, s10
	s_addc_u32 s1, s1, s11
	s_load_dword s9, s[0:1], 0x0
	s_branch .LBB878_9
.LBB878_7:
	s_mov_b64 s[12:13], 0
	s_branch .LBB878_2
.LBB878_8:
	s_mov_b32 s9, s6
.LBB878_9:
	s_load_dwordx2 s[2:3], s[4:5], 0x10
	s_load_dwordx4 s[12:15], s[4:5], 0x48
	v_lshrrev_b32_e32 v49, 6, v0
	v_bfe_u32 v46, v0, 4, 2
	v_lshl_or_b32 v1, v49, 2, v46
	v_and_b32_e32 v50, 15, v0
	v_lshlrev_b32_e32 v6, 3, v50
	v_cmp_eq_u32_e32 vcc, 0, v1
	v_cmp_gt_u32_e64 s[0:1], 8, v50
	s_and_b64 s[22:23], s[0:1], vcc
	v_lshlrev_b32_e32 v1, 1, v6
	v_lshlrev_b32_e32 v47, 4, v0
	s_and_saveexec_b64 s[10:11], s[22:23]
	s_cbranch_execz .LBB878_11
; %bb.10:
	s_load_dwordx2 s[22:23], s[4:5], 0x0
	s_waitcnt lgkmcnt(0)
	s_ashr_i32 s15, s12, 31
	s_mul_hi_u32 s24, s9, s12
	s_mul_i32 s15, s9, s15
	s_add_i32 s25, s24, s15
	s_mul_i32 s24, s9, s12
	s_lshl_b64 s[24:25], s[24:25], 1
	s_add_u32 s9, s22, s24
	s_addc_u32 s12, s23, s25
	s_lshl_b32 s22, s8, 6
	s_ashr_i32 s23, s22, 31
	s_lshl_b64 s[22:23], s[22:23], 1
	s_add_u32 s22, s9, s22
	s_addc_u32 s23, s12, s23
	global_load_dwordx4 v[6:9], v1, s[22:23]
	v_lshlrev_b32_e32 v10, 8, v50
	v_and_b32_e32 v11, 16, v47
	s_movk_i32 s9, 0xe00
	v_and_or_b32 v10, v10, s9, v11
	s_waitcnt vmcnt(0)
	ds_write_b128 v10, v[6:9]
.LBB878_11:
	s_or_b64 exec, exec, s[10:11]
	s_waitcnt lgkmcnt(0)
	s_mul_i32 s12, s8, s14
	s_add_u32 s10, s16, s12
	s_addc_u32 s11, s17, 0
	v_pk_mov_b32 v[8:9], s[10:11], s[10:11] op_sel:[0,1]
	s_waitcnt vmcnt(3)
	v_mad_i64_i32 v[10:11], s[10:11], v5, s13, v[8:9]
	v_lshlrev_b32_e32 v12, 4, v50
	v_and_b32_e32 v6, 48, v0
	v_add_co_u32_e32 v5, vcc, v10, v12
	v_lshlrev_b32_e32 v7, 5, v6
	v_addc_co_u32_e32 v11, vcc, 0, v11, vcc
	v_add_co_u32_e32 v10, vcc, v5, v7
	v_addc_co_u32_e32 v11, vcc, 0, v11, vcc
	s_waitcnt vmcnt(2)
	v_mad_i64_i32 v[4:5], s[10:11], v4, s13, v[8:9]
	v_or_b32_e32 v13, 0x100, v12
	v_add_co_u32_e32 v4, vcc, v4, v13
	v_addc_co_u32_e32 v5, vcc, 0, v5, vcc
	v_add_co_u32_e32 v4, vcc, v4, v7
	v_addc_co_u32_e32 v5, vcc, 0, v5, vcc
	s_barrier
	global_load_dwordx4 v[34:37], v[10:11], off
	global_load_dwordx4 v[38:41], v[4:5], off
	s_waitcnt vmcnt(3)
	v_mad_i64_i32 v[4:5], s[10:11], v3, s13, v[8:9]
	v_add_co_u32_e32 v3, vcc, v4, v12
	v_addc_co_u32_e32 v5, vcc, 0, v5, vcc
	v_add_co_u32_e32 v4, vcc, v3, v7
	v_addc_co_u32_e32 v5, vcc, 0, v5, vcc
	s_waitcnt vmcnt(2)
	v_mad_i64_i32 v[2:3], s[10:11], v2, s13, v[8:9]
	v_add_co_u32_e32 v2, vcc, v2, v13
	v_addc_co_u32_e32 v3, vcc, 0, v3, vcc
	v_add_co_u32_e32 v2, vcc, v2, v7
	v_addc_co_u32_e32 v3, vcc, 0, v3, vcc
	global_load_dwordx4 v[30:33], v[4:5], off
	global_load_dwordx4 v[22:25], v[2:3], off
	v_lshlrev_b32_e32 v2, 9, v46
	ds_read_b128 v[26:29], v2
	ds_read_b128 v[18:21], v2 offset:16
	v_cmp_eq_u32_e32 vcc, 0, v50
	v_mov_b32_e32 v43, 0
	v_mov_b32_e32 v51, 0
	s_and_saveexec_b64 s[10:11], vcc
	s_cbranch_execz .LBB878_13
; %bb.12:
	s_load_dwordx2 s[14:15], s[4:5], 0x40
	s_ashr_i32 s9, s8, 31
	s_lshl_b64 s[16:17], s[8:9], 2
	s_waitcnt lgkmcnt(0)
	s_add_u32 s14, s14, s16
	s_addc_u32 s15, s15, s17
	s_load_dword s9, s[14:15], 0x0
	s_waitcnt lgkmcnt(0)
	v_mov_b32_e32 v51, s9
.LBB878_13:
	s_or_b64 exec, exec, s[10:11]
	s_ashr_i32 s9, s18, 31
	v_or_b32_e32 v8, s18, v6
	s_lshr_b32 s9, s9, 27
	v_add_u32_e32 v2, s9, v8
	v_ashrrev_i32_e32 v2, 5, v2
	v_mov_b32_e32 v9, s21
	v_cmp_gt_i32_e32 vcc, s27, v8
	v_cndmask_b32_e32 v2, v9, v2, vcc
	v_ashrrev_i32_e32 v3, 31, v2
	v_lshlrev_b64 v[2:3], 2, v[2:3]
	v_mov_b32_e32 v4, s20
	v_add_co_u32_e32 v2, vcc, s19, v2
	v_addc_co_u32_e32 v3, vcc, v4, v3, vcc
	v_or_b32_e32 v4, 64, v8
	v_add_u32_e32 v5, s9, v4
	v_ashrrev_i32_e32 v5, 5, v5
	v_cmp_gt_i32_e32 vcc, s27, v4
	v_cndmask_b32_e32 v4, v9, v5, vcc
	v_ashrrev_i32_e32 v5, 31, v4
	v_lshlrev_b64 v[4:5], 2, v[4:5]
	v_mov_b32_e32 v6, s20
	v_add_co_u32_e32 v4, vcc, s19, v4
	v_addc_co_u32_e32 v5, vcc, v6, v5, vcc
	v_or_b32_e32 v6, 0x80, v8
	v_add_u32_e32 v7, s9, v6
	v_ashrrev_i32_e32 v7, 5, v7
	v_cmp_gt_i32_e32 vcc, s27, v6
	v_cndmask_b32_e32 v6, v9, v7, vcc
	v_ashrrev_i32_e32 v7, 31, v6
	v_lshlrev_b64 v[6:7], 2, v[6:7]
	v_mov_b32_e32 v10, s20
	v_add_co_u32_e32 v6, vcc, s19, v6
	v_addc_co_u32_e32 v7, vcc, v10, v7, vcc
	global_load_dword v10, v[2:3], off
	global_load_dword v11, v[4:5], off
	;; [unrolled: 1-line block ×3, first 2 shown]
	v_or_b32_e32 v2, 0xc0, v8
	v_add_u32_e32 v3, s9, v2
	v_ashrrev_i32_e32 v3, 5, v3
	v_cmp_gt_i32_e32 vcc, s27, v2
	v_cndmask_b32_e32 v2, v9, v3, vcc
	v_ashrrev_i32_e32 v3, 31, v2
	v_lshlrev_b64 v[2:3], 2, v[2:3]
	v_mov_b32_e32 v4, s20
	v_add_co_u32_e32 v2, vcc, s19, v2
	v_addc_co_u32_e32 v3, vcc, v4, v3, vcc
	global_load_dword v13, v[2:3], off
	s_add_u32 s2, s2, s12
	v_and_b32_e32 v2, 16, v0
	s_addc_u32 s3, s3, 0
	v_lshlrev_b32_e32 v48, 5, v50
	v_mov_b32_e32 v4, s3
	v_add_co_u32_e32 v2, vcc, s2, v2
	v_lshl_or_b32 v3, v49, 9, v48
	v_addc_co_u32_e32 v4, vcc, 0, v4, vcc
	v_add_co_u32_e32 v2, vcc, v2, v3
	v_addc_co_u32_e32 v3, vcc, 0, v4, vcc
	s_movk_i32 s10, 0x80
	s_waitcnt vmcnt(3)
	v_mad_i64_i32 v[4:5], s[2:3], v10, s13, v[2:3]
	s_waitcnt vmcnt(2)
	v_mad_i64_i32 v[6:7], s[2:3], v11, s13, v[2:3]
	;; [unrolled: 2-line block ×4, first 2 shown]
	global_load_dwordx4 v[14:17], v[4:5], off
	global_load_dwordx4 v[10:13], v[6:7], off
	s_nop 0
	global_load_dwordx4 v[6:9], v[8:9], off
	s_nop 0
	global_load_dwordx4 v[2:5], v[2:3], off
	s_load_dwordx4 s[44:47], s[4:5], 0x80
	s_load_dwordx2 s[48:49], s[4:5], 0x94
	v_cmp_ne_u16_sdwa s[12:13], v34, v43 src0_sel:BYTE_0 src1_sel:DWORD
	s_waitcnt lgkmcnt(0)
	s_load_dword s9, s[44:45], 0x0
	s_and_saveexec_b64 s[2:3], s[12:13]
	s_cbranch_execz .LBB878_19
; %bb.14:
	v_cmp_ne_u16_sdwa s[12:13], v34, s10 src0_sel:BYTE_0 src1_sel:DWORD
	v_mov_b32_e32 v43, 0xffff8000
	s_and_saveexec_b64 s[10:11], s[12:13]
	s_cbranch_execz .LBB878_18
; %bb.15:
	s_movk_i32 s12, 0x7f
	v_and_b32_e32 v42, 0x7f, v34
	v_cmp_ne_u32_e32 vcc, s12, v42
	v_mov_b32_e32 v43, 0x7f80
	s_and_saveexec_b64 s[12:13], vcc
	s_cbranch_execz .LBB878_17
; %bb.16:
	v_and_b32_e32 v43, 7, v34
	v_ffbh_u32_e32 v44, v43
	v_min_u32_e32 v53, 32, v44
	v_subrev_u32_e32 v44, 28, v53
	v_lshlrev_b64 v[44:45], v44, v[34:35]
	v_lshrrev_b32_e32 v52, 3, v42
	v_sub_u32_e32 v45, 29, v53
	v_and_b32_e32 v44, 7, v44
	v_cmp_gt_u32_e32 vcc, 8, v42
	v_cndmask_b32_e32 v42, v52, v45, vcc
	v_cndmask_b32_e32 v43, v43, v44, vcc
	v_lshlrev_b32_e32 v44, 24, v34
	v_bfrev_b32_e32 v45, 60
	v_lshlrev_b32_e32 v43, 20, v43
	v_and_b32_e32 v44, 0x80000000, v44
	v_lshl_add_u32 v42, v42, 23, v45
	v_or3_b32 v42, v44, v42, v43
	v_lshrrev_b32_e32 v43, 16, v42
.LBB878_17:
	s_or_b64 exec, exec, s[12:13]
.LBB878_18:
	s_or_b64 exec, exec, s[10:11]
.LBB878_19:
	s_or_b64 exec, exec, s[2:3]
	v_lshrrev_b16_e32 v42, 8, v34
	v_cmp_ne_u16_e32 vcc, 0, v42
	v_mov_b32_e32 v45, 0
	v_mov_b32_e32 v44, 0
	s_and_saveexec_b64 s[2:3], vcc
	s_cbranch_execz .LBB878_25
; %bb.20:
	s_movk_i32 s10, 0x80
	v_cmp_ne_u16_e32 vcc, s10, v42
	v_mov_b32_e32 v44, 0xffff8000
	s_and_saveexec_b64 s[10:11], vcc
	s_cbranch_execz .LBB878_24
; %bb.21:
	s_movk_i32 s12, 0x7f
	v_and_b32_e32 v52, 0x7f, v42
	v_cmp_ne_u32_e32 vcc, s12, v52
	v_mov_b32_e32 v44, 0x7f80
	s_and_saveexec_b64 s[12:13], vcc
	s_cbranch_execz .LBB878_23
; %bb.22:
	v_and_b32_e32 v44, 7, v42
	v_ffbh_u32_e32 v54, v44
	v_min_u32_e32 v56, 32, v54
	v_subrev_u32_e32 v54, 28, v56
	v_lshlrev_b64 v[54:55], v54, v[42:43]
	v_lshrrev_b32_e32 v53, 3, v52
	v_sub_u32_e32 v42, 29, v56
	v_and_b32_e32 v54, 7, v54
	v_cmp_gt_u32_e32 vcc, 8, v52
	v_cndmask_b32_e32 v42, v53, v42, vcc
	v_cndmask_b32_e32 v44, v44, v54, vcc
	v_lshlrev_b32_e32 v52, 16, v34
	v_bfrev_b32_e32 v53, 60
	v_lshlrev_b32_e32 v44, 20, v44
	v_and_b32_e32 v52, 0x80000000, v52
	v_lshl_add_u32 v42, v42, 23, v53
	v_or3_b32 v42, v52, v42, v44
	v_lshrrev_b32_e32 v44, 16, v42
.LBB878_23:
	s_or_b64 exec, exec, s[12:13]
.LBB878_24:
	s_or_b64 exec, exec, s[10:11]
.LBB878_25:
	s_or_b64 exec, exec, s[2:3]
	s_movk_i32 s2, 0xff
	v_and_b32_sdwa v52, v34, s2 dst_sel:DWORD dst_unused:UNUSED_PAD src0_sel:WORD_1 src1_sel:DWORD
	v_lshrrev_b32_e32 v42, 16, v34
	v_cmp_ne_u16_e32 vcc, 0, v52
	s_and_saveexec_b64 s[2:3], vcc
	s_cbranch_execz .LBB878_31
; %bb.26:
	s_movk_i32 s10, 0x80
	v_cmp_ne_u16_e32 vcc, s10, v52
	v_mov_b32_e32 v45, 0xffff8000
	s_and_saveexec_b64 s[10:11], vcc
	s_cbranch_execz .LBB878_30
; %bb.27:
	v_bfe_u32 v52, v34, 16, 7
	s_movk_i32 s12, 0x7f
	v_cmp_ne_u32_e32 vcc, s12, v52
	v_mov_b32_e32 v45, 0x7f80
	s_and_saveexec_b64 s[12:13], vcc
	s_cbranch_execz .LBB878_29
; %bb.28:
	v_and_b32_e32 v45, 7, v42
	v_ffbh_u32_e32 v54, v45
	v_min_u32_e32 v56, 32, v54
	v_subrev_u32_e32 v54, 28, v56
	v_lshlrev_b64 v[54:55], v54, v[42:43]
	v_lshrrev_b32_e32 v53, 3, v52
	v_sub_u32_e32 v42, 29, v56
	v_and_b32_e32 v54, 7, v54
	v_cmp_gt_u32_e32 vcc, 8, v52
	v_mov_b32_e32 v52, 24
	v_cndmask_b32_e32 v42, v53, v42, vcc
	v_cndmask_b32_e32 v45, v45, v54, vcc
	v_lshlrev_b32_sdwa v52, v52, v34 dst_sel:DWORD dst_unused:UNUSED_PAD src0_sel:DWORD src1_sel:WORD_1
	v_bfrev_b32_e32 v53, 60
	v_lshlrev_b32_e32 v45, 20, v45
	v_and_b32_e32 v52, 0x80000000, v52
	v_lshl_add_u32 v42, v42, 23, v53
	v_or3_b32 v42, v52, v42, v45
	v_lshrrev_b32_e32 v45, 16, v42
.LBB878_29:
	s_or_b64 exec, exec, s[12:13]
.LBB878_30:
	s_or_b64 exec, exec, s[10:11]
.LBB878_31:
	s_or_b64 exec, exec, s[2:3]
	s_mov_b32 s2, 0xffffff
	v_cmp_lt_u32_e32 vcc, s2, v34
	v_mov_b32_e32 v53, 0
	v_mov_b32_e32 v54, 0
	s_and_saveexec_b64 s[2:3], vcc
	s_cbranch_execz .LBB878_37
; %bb.32:
	v_lshrrev_b32_e32 v42, 24, v34
	s_movk_i32 s10, 0x80
	v_cmp_ne_u32_e32 vcc, s10, v42
	v_mov_b32_e32 v54, 0xffff8000
	s_and_saveexec_b64 s[10:11], vcc
	s_cbranch_execz .LBB878_36
; %bb.33:
	v_bfe_u32 v34, v34, 24, 7
	s_movk_i32 s12, 0x7f
	v_cmp_ne_u32_e32 vcc, s12, v34
	v_mov_b32_e32 v54, 0x7f80
	s_and_saveexec_b64 s[12:13], vcc
	s_cbranch_execz .LBB878_35
; %bb.34:
	v_and_b32_e32 v52, 7, v42
	v_ffbh_u32_e32 v54, v52
	v_min_u32_e32 v57, 32, v54
	v_subrev_u32_e32 v54, 28, v57
	v_lshlrev_b64 v[54:55], v54, v[42:43]
	v_lshrrev_b32_e32 v56, 3, v34
	v_sub_u32_e32 v55, 29, v57
	v_and_b32_e32 v54, 7, v54
	v_cmp_gt_u32_e32 vcc, 8, v34
	v_cndmask_b32_e32 v34, v56, v55, vcc
	v_cndmask_b32_e32 v52, v52, v54, vcc
	v_lshlrev_b32_e32 v42, 24, v42
	v_bfrev_b32_e32 v54, 60
	v_lshlrev_b32_e32 v52, 20, v52
	v_and_b32_e32 v42, 0x80000000, v42
	v_lshl_add_u32 v34, v34, 23, v54
	v_or3_b32 v34, v42, v34, v52
	v_lshrrev_b32_e32 v54, 16, v34
.LBB878_35:
	s_or_b64 exec, exec, s[12:13]
.LBB878_36:
	s_or_b64 exec, exec, s[10:11]
.LBB878_37:
	s_or_b64 exec, exec, s[2:3]
	v_cmp_ne_u16_sdwa s[10:11], v35, v53 src0_sel:BYTE_0 src1_sel:DWORD
	s_and_saveexec_b64 s[2:3], s[10:11]
	s_cbranch_execz .LBB878_43
; %bb.38:
	s_movk_i32 s10, 0x80
	v_cmp_ne_u16_sdwa s[12:13], v35, s10 src0_sel:BYTE_0 src1_sel:DWORD
	v_mov_b32_e32 v53, 0xffff8000
	s_and_saveexec_b64 s[10:11], s[12:13]
	s_cbranch_execz .LBB878_42
; %bb.39:
	s_movk_i32 s12, 0x7f
	v_and_b32_e32 v34, 0x7f, v35
	v_cmp_ne_u32_e32 vcc, s12, v34
	v_mov_b32_e32 v53, 0x7f80
	s_and_saveexec_b64 s[12:13], vcc
	s_cbranch_execz .LBB878_41
; %bb.40:
	v_and_b32_e32 v55, 7, v35
	v_ffbh_u32_e32 v52, v55
	v_min_u32_e32 v57, 32, v52
	v_mov_b32_e32 v42, v35
	v_subrev_u32_e32 v52, 28, v57
	v_lshlrev_b64 v[52:53], v52, v[42:43]
	v_lshrrev_b32_e32 v56, 3, v34
	v_sub_u32_e32 v42, 29, v57
	v_and_b32_e32 v52, 7, v52
	v_cmp_gt_u32_e32 vcc, 8, v34
	v_cndmask_b32_e32 v34, v56, v42, vcc
	v_cndmask_b32_e32 v42, v55, v52, vcc
	v_lshlrev_b32_e32 v52, 24, v35
	v_bfrev_b32_e32 v53, 60
	v_lshlrev_b32_e32 v42, 20, v42
	v_and_b32_e32 v52, 0x80000000, v52
	v_lshl_add_u32 v34, v34, 23, v53
	v_or3_b32 v34, v52, v34, v42
	v_lshrrev_b32_e32 v53, 16, v34
.LBB878_41:
	s_or_b64 exec, exec, s[12:13]
.LBB878_42:
	s_or_b64 exec, exec, s[10:11]
.LBB878_43:
	s_or_b64 exec, exec, s[2:3]
	v_lshrrev_b16_e32 v34, 8, v35
	v_cmp_ne_u16_e32 vcc, 0, v34
	v_mov_b32_e32 v55, 0
	v_mov_b32_e32 v42, 0
	s_and_saveexec_b64 s[2:3], vcc
	s_cbranch_execz .LBB878_49
; %bb.44:
	s_movk_i32 s10, 0x80
	v_cmp_ne_u16_e32 vcc, s10, v34
	v_mov_b32_e32 v42, 0xffff8000
	s_and_saveexec_b64 s[10:11], vcc
	s_cbranch_execz .LBB878_48
; %bb.45:
	s_movk_i32 s12, 0x7f
	v_and_b32_e32 v52, 0x7f, v34
	v_cmp_ne_u32_e32 vcc, s12, v52
	v_mov_b32_e32 v42, 0x7f80
	s_and_saveexec_b64 s[12:13], vcc
	s_cbranch_execz .LBB878_47
; %bb.46:
	v_and_b32_e32 v42, 7, v34
	v_ffbh_u32_e32 v56, v42
	v_min_u32_e32 v59, 32, v56
	v_subrev_u32_e32 v56, 28, v59
	v_lshlrev_b64 v[56:57], v56, v[34:35]
	v_lshrrev_b32_e32 v58, 3, v52
	v_sub_u32_e32 v34, 29, v59
	v_and_b32_e32 v56, 7, v56
	v_cmp_gt_u32_e32 vcc, 8, v52
	v_cndmask_b32_e32 v34, v58, v34, vcc
	v_cndmask_b32_e32 v42, v42, v56, vcc
	v_lshlrev_b32_e32 v52, 16, v35
	v_bfrev_b32_e32 v56, 60
	v_lshlrev_b32_e32 v42, 20, v42
	v_and_b32_e32 v52, 0x80000000, v52
	v_lshl_add_u32 v34, v34, 23, v56
	v_or3_b32 v34, v52, v34, v42
	v_lshrrev_b32_e32 v42, 16, v34
.LBB878_47:
	s_or_b64 exec, exec, s[12:13]
.LBB878_48:
	s_or_b64 exec, exec, s[10:11]
.LBB878_49:
	s_or_b64 exec, exec, s[2:3]
	s_movk_i32 s2, 0xff
	v_and_b32_sdwa v52, v35, s2 dst_sel:DWORD dst_unused:UNUSED_PAD src0_sel:WORD_1 src1_sel:DWORD
	v_lshrrev_b32_e32 v34, 16, v35
	v_cmp_ne_u16_e32 vcc, 0, v52
	s_and_saveexec_b64 s[2:3], vcc
	s_cbranch_execz .LBB878_55
; %bb.50:
	s_movk_i32 s10, 0x80
	v_cmp_ne_u16_e32 vcc, s10, v52
	v_mov_b32_e32 v55, 0xffff8000
	s_and_saveexec_b64 s[10:11], vcc
	s_cbranch_execz .LBB878_54
; %bb.51:
	v_bfe_u32 v52, v35, 16, 7
	s_movk_i32 s12, 0x7f
	v_cmp_ne_u32_e32 vcc, s12, v52
	v_mov_b32_e32 v55, 0x7f80
	s_and_saveexec_b64 s[12:13], vcc
	s_cbranch_execz .LBB878_53
; %bb.52:
	v_and_b32_e32 v55, 7, v34
	v_ffbh_u32_e32 v56, v55
	v_min_u32_e32 v59, 32, v56
	v_subrev_u32_e32 v56, 28, v59
	v_lshlrev_b64 v[56:57], v56, v[34:35]
	v_and_b32_e32 v56, 7, v56
	v_cmp_gt_u32_e32 vcc, 8, v52
	v_lshrrev_b32_e32 v58, 3, v52
	v_sub_u32_e32 v34, 29, v59
	v_cndmask_b32_e32 v52, v55, v56, vcc
	v_mov_b32_e32 v55, 24
	v_cndmask_b32_e32 v34, v58, v34, vcc
	v_lshlrev_b32_sdwa v55, v55, v35 dst_sel:DWORD dst_unused:UNUSED_PAD src0_sel:DWORD src1_sel:WORD_1
	v_bfrev_b32_e32 v56, 60
	v_lshlrev_b32_e32 v52, 20, v52
	v_and_b32_e32 v55, 0x80000000, v55
	v_lshl_add_u32 v34, v34, 23, v56
	v_or3_b32 v34, v55, v34, v52
	v_lshrrev_b32_e32 v55, 16, v34
.LBB878_53:
	s_or_b64 exec, exec, s[12:13]
.LBB878_54:
	s_or_b64 exec, exec, s[10:11]
.LBB878_55:
	s_or_b64 exec, exec, s[2:3]
	s_mov_b32 s2, 0xffffff
	v_cmp_lt_u32_e32 vcc, s2, v35
	v_mov_b32_e32 v52, 0
	v_mov_b32_e32 v56, 0
	s_and_saveexec_b64 s[2:3], vcc
	s_cbranch_execz .LBB878_61
; %bb.56:
	v_lshrrev_b32_e32 v34, 24, v35
	s_movk_i32 s10, 0x80
	v_cmp_ne_u32_e32 vcc, s10, v34
	v_mov_b32_e32 v56, 0xffff8000
	s_and_saveexec_b64 s[10:11], vcc
	s_cbranch_execz .LBB878_60
; %bb.57:
	v_bfe_u32 v35, v35, 24, 7
	s_movk_i32 s12, 0x7f
	v_cmp_ne_u32_e32 vcc, s12, v35
	v_mov_b32_e32 v56, 0x7f80
	s_and_saveexec_b64 s[12:13], vcc
	s_cbranch_execz .LBB878_59
; %bb.58:
	v_and_b32_e32 v58, 7, v34
	v_ffbh_u32_e32 v56, v58
	v_min_u32_e32 v60, 32, v56
	v_subrev_u32_e32 v56, 28, v60
	v_lshlrev_b64 v[56:57], v56, v[34:35]
	v_lshrrev_b32_e32 v59, 3, v35
	v_sub_u32_e32 v57, 29, v60
	v_and_b32_e32 v56, 7, v56
	v_cmp_gt_u32_e32 vcc, 8, v35
	v_cndmask_b32_e32 v35, v59, v57, vcc
	v_cndmask_b32_e32 v56, v58, v56, vcc
	v_lshlrev_b32_e32 v34, 24, v34
	v_bfrev_b32_e32 v57, 60
	v_lshlrev_b32_e32 v56, 20, v56
	v_and_b32_e32 v34, 0x80000000, v34
	v_lshl_add_u32 v35, v35, 23, v57
	v_or3_b32 v34, v34, v35, v56
	v_lshrrev_b32_e32 v56, 16, v34
.LBB878_59:
	s_or_b64 exec, exec, s[12:13]
.LBB878_60:
	s_or_b64 exec, exec, s[10:11]
.LBB878_61:
	s_or_b64 exec, exec, s[2:3]
	s_mov_b32 s2, 0x5040100
	v_perm_b32 v35, v54, v45, s2
	v_perm_b32 v34, v44, v43, s2
	v_cmp_ne_u16_sdwa s[10:11], v36, v52 src0_sel:BYTE_0 src1_sel:DWORD
	s_nop 0
	v_mfma_f32_16x16x16bf16_1k v[58:61], v[34:35], v[26:27], 0
	v_perm_b32 v35, v56, v55, s2
	v_perm_b32 v34, v42, v53, s2
	s_nop 1
	v_mfma_f32_16x16x16bf16_1k v[42:45], v[34:35], v[28:29], v[58:61]
	s_and_saveexec_b64 s[2:3], s[10:11]
	s_cbranch_execz .LBB878_67
; %bb.62:
	s_movk_i32 s10, 0x80
	v_cmp_ne_u16_sdwa s[12:13], v36, s10 src0_sel:BYTE_0 src1_sel:DWORD
	v_mov_b32_e32 v52, 0xffff8000
	s_and_saveexec_b64 s[10:11], s[12:13]
	s_cbranch_execz .LBB878_66
; %bb.63:
	s_movk_i32 s12, 0x7f
	v_and_b32_e32 v34, 0x7f, v36
	v_cmp_ne_u32_e32 vcc, s12, v34
	v_mov_b32_e32 v52, 0x7f80
	s_and_saveexec_b64 s[12:13], vcc
	s_cbranch_execz .LBB878_65
; %bb.64:
	v_and_b32_e32 v35, 7, v36
	v_ffbh_u32_e32 v52, v35
	v_min_u32_e32 v55, 32, v52
	v_subrev_u32_e32 v52, 28, v55
	v_lshlrev_b64 v[52:53], v52, v[36:37]
	v_lshrrev_b32_e32 v54, 3, v34
	v_sub_u32_e32 v53, 29, v55
	v_and_b32_e32 v52, 7, v52
	v_cmp_gt_u32_e32 vcc, 8, v34
	v_cndmask_b32_e32 v34, v54, v53, vcc
	v_cndmask_b32_e32 v35, v35, v52, vcc
	v_lshlrev_b32_e32 v52, 24, v36
	v_bfrev_b32_e32 v53, 60
	v_lshlrev_b32_e32 v35, 20, v35
	v_and_b32_e32 v52, 0x80000000, v52
	v_lshl_add_u32 v34, v34, 23, v53
	v_or3_b32 v34, v52, v34, v35
	v_lshrrev_b32_e32 v52, 16, v34
.LBB878_65:
	s_or_b64 exec, exec, s[12:13]
.LBB878_66:
	s_or_b64 exec, exec, s[10:11]
.LBB878_67:
	s_or_b64 exec, exec, s[2:3]
	v_lshrrev_b16_e32 v34, 8, v36
	v_cmp_ne_u16_e32 vcc, 0, v34
	v_mov_b32_e32 v54, 0
	v_mov_b32_e32 v35, 0
	s_and_saveexec_b64 s[2:3], vcc
	s_cbranch_execz .LBB878_73
; %bb.68:
	s_movk_i32 s10, 0x80
	v_cmp_ne_u16_e32 vcc, s10, v34
	v_mov_b32_e32 v35, 0xffff8000
	s_and_saveexec_b64 s[10:11], vcc
	s_cbranch_execz .LBB878_72
; %bb.69:
	s_movk_i32 s12, 0x7f
	v_and_b32_e32 v53, 0x7f, v34
	v_cmp_ne_u32_e32 vcc, s12, v53
	v_mov_b32_e32 v35, 0x7f80
	s_and_saveexec_b64 s[12:13], vcc
	s_cbranch_execz .LBB878_71
; %bb.70:
	v_and_b32_e32 v55, 7, v34
	v_ffbh_u32_e32 v35, v55
	v_min_u32_e32 v57, 32, v35
	v_subrev_u32_e32 v35, 28, v57
	v_lshlrev_b64 v[34:35], v35, v[34:35]
	v_lshrrev_b32_e32 v56, 3, v53
	v_sub_u32_e32 v35, 29, v57
	v_and_b32_e32 v34, 7, v34
	v_cmp_gt_u32_e32 vcc, 8, v53
	v_cndmask_b32_e32 v35, v56, v35, vcc
	v_cndmask_b32_e32 v34, v55, v34, vcc
	v_lshlrev_b32_e32 v53, 16, v36
	v_bfrev_b32_e32 v55, 60
	v_lshlrev_b32_e32 v34, 20, v34
	v_and_b32_e32 v53, 0x80000000, v53
	v_lshl_add_u32 v35, v35, 23, v55
	v_or3_b32 v34, v53, v35, v34
	v_lshrrev_b32_e32 v35, 16, v34
.LBB878_71:
	s_or_b64 exec, exec, s[12:13]
.LBB878_72:
	s_or_b64 exec, exec, s[10:11]
.LBB878_73:
	s_or_b64 exec, exec, s[2:3]
	s_movk_i32 s2, 0xff
	v_and_b32_sdwa v53, v36, s2 dst_sel:DWORD dst_unused:UNUSED_PAD src0_sel:WORD_1 src1_sel:DWORD
	v_lshrrev_b32_e32 v34, 16, v36
	v_cmp_ne_u16_e32 vcc, 0, v53
	s_and_saveexec_b64 s[2:3], vcc
	s_cbranch_execz .LBB878_79
; %bb.74:
	s_movk_i32 s10, 0x80
	v_cmp_ne_u16_e32 vcc, s10, v53
	v_mov_b32_e32 v54, 0xffff8000
	s_and_saveexec_b64 s[10:11], vcc
	s_cbranch_execz .LBB878_78
; %bb.75:
	v_bfe_u32 v53, v36, 16, 7
	s_movk_i32 s12, 0x7f
	v_cmp_ne_u32_e32 vcc, s12, v53
	v_mov_b32_e32 v54, 0x7f80
	s_and_saveexec_b64 s[12:13], vcc
	s_cbranch_execz .LBB878_77
; %bb.76:
	v_and_b32_e32 v56, 7, v34
	v_ffbh_u32_e32 v54, v56
	v_min_u32_e32 v58, 32, v54
	v_subrev_u32_e32 v54, 28, v58
	v_lshlrev_b64 v[54:55], v54, v[34:35]
	v_and_b32_e32 v54, 7, v54
	v_cmp_gt_u32_e32 vcc, 8, v53
	v_lshrrev_b32_e32 v57, 3, v53
	v_sub_u32_e32 v34, 29, v58
	v_cndmask_b32_e32 v53, v56, v54, vcc
	v_mov_b32_e32 v54, 24
	v_cndmask_b32_e32 v34, v57, v34, vcc
	v_lshlrev_b32_sdwa v54, v54, v36 dst_sel:DWORD dst_unused:UNUSED_PAD src0_sel:DWORD src1_sel:WORD_1
	v_bfrev_b32_e32 v55, 60
	v_lshlrev_b32_e32 v53, 20, v53
	v_and_b32_e32 v54, 0x80000000, v54
	v_lshl_add_u32 v34, v34, 23, v55
	v_or3_b32 v34, v54, v34, v53
	v_lshrrev_b32_e32 v54, 16, v34
.LBB878_77:
	s_or_b64 exec, exec, s[12:13]
.LBB878_78:
	s_or_b64 exec, exec, s[10:11]
.LBB878_79:
	s_or_b64 exec, exec, s[2:3]
	s_mov_b32 s2, 0xffffff
	v_cmp_lt_u32_e32 vcc, s2, v36
	v_mov_b32_e32 v55, 0
	v_mov_b32_e32 v56, 0
	s_and_saveexec_b64 s[2:3], vcc
	s_cbranch_execz .LBB878_85
; %bb.80:
	v_lshrrev_b32_e32 v34, 24, v36
	s_movk_i32 s10, 0x80
	v_cmp_ne_u32_e32 vcc, s10, v34
	v_mov_b32_e32 v56, 0xffff8000
	s_and_saveexec_b64 s[10:11], vcc
	s_cbranch_execz .LBB878_84
; %bb.81:
	v_bfe_u32 v36, v36, 24, 7
	s_movk_i32 s12, 0x7f
	v_cmp_ne_u32_e32 vcc, s12, v36
	v_mov_b32_e32 v56, 0x7f80
	s_and_saveexec_b64 s[12:13], vcc
	s_cbranch_execz .LBB878_83
; %bb.82:
	v_and_b32_e32 v53, 7, v34
	v_ffbh_u32_e32 v56, v53
	v_min_u32_e32 v59, 32, v56
	v_subrev_u32_e32 v56, 28, v59
	v_lshlrev_b64 v[56:57], v56, v[34:35]
	v_lshrrev_b32_e32 v58, 3, v36
	v_sub_u32_e32 v57, 29, v59
	v_and_b32_e32 v56, 7, v56
	v_cmp_gt_u32_e32 vcc, 8, v36
	v_cndmask_b32_e32 v36, v58, v57, vcc
	v_cndmask_b32_e32 v53, v53, v56, vcc
	v_lshlrev_b32_e32 v34, 24, v34
	v_bfrev_b32_e32 v56, 60
	v_lshlrev_b32_e32 v53, 20, v53
	v_and_b32_e32 v34, 0x80000000, v34
	v_lshl_add_u32 v36, v36, 23, v56
	v_or3_b32 v34, v34, v36, v53
	v_lshrrev_b32_e32 v56, 16, v34
.LBB878_83:
	s_or_b64 exec, exec, s[12:13]
.LBB878_84:
	s_or_b64 exec, exec, s[10:11]
.LBB878_85:
	s_or_b64 exec, exec, s[2:3]
	v_cmp_ne_u16_sdwa s[10:11], v37, v55 src0_sel:BYTE_0 src1_sel:DWORD
	s_and_saveexec_b64 s[2:3], s[10:11]
	s_cbranch_execz .LBB878_91
; %bb.86:
	s_movk_i32 s10, 0x80
	v_cmp_ne_u16_sdwa s[12:13], v37, s10 src0_sel:BYTE_0 src1_sel:DWORD
	v_mov_b32_e32 v55, 0xffff8000
	s_and_saveexec_b64 s[10:11], s[12:13]
	s_cbranch_execz .LBB878_90
; %bb.87:
	s_movk_i32 s12, 0x7f
	v_and_b32_e32 v34, 0x7f, v37
	v_cmp_ne_u32_e32 vcc, s12, v34
	v_mov_b32_e32 v55, 0x7f80
	s_and_saveexec_b64 s[12:13], vcc
	s_cbranch_execz .LBB878_89
; %bb.88:
	v_and_b32_e32 v53, 7, v37
	v_ffbh_u32_e32 v57, v53
	v_min_u32_e32 v57, 32, v57
	v_mov_b32_e32 v36, v37
	v_subrev_u32_e32 v58, 28, v57
	v_lshlrev_b64 v[58:59], v58, v[36:37]
	v_lshrrev_b32_e32 v55, 3, v34
	v_sub_u32_e32 v36, 29, v57
	v_and_b32_e32 v57, 7, v58
	v_cmp_gt_u32_e32 vcc, 8, v34
	v_cndmask_b32_e32 v34, v55, v36, vcc
	v_cndmask_b32_e32 v36, v53, v57, vcc
	v_lshlrev_b32_e32 v53, 24, v37
	v_bfrev_b32_e32 v55, 60
	v_lshlrev_b32_e32 v36, 20, v36
	v_and_b32_e32 v53, 0x80000000, v53
	v_lshl_add_u32 v34, v34, 23, v55
	v_or3_b32 v34, v53, v34, v36
	v_lshrrev_b32_e32 v55, 16, v34
.LBB878_89:
	s_or_b64 exec, exec, s[12:13]
.LBB878_90:
	s_or_b64 exec, exec, s[10:11]
.LBB878_91:
	s_or_b64 exec, exec, s[2:3]
	v_lshrrev_b16_e32 v34, 8, v37
	v_cmp_ne_u16_e32 vcc, 0, v34
	v_mov_b32_e32 v57, 0
	v_mov_b32_e32 v36, 0
	s_and_saveexec_b64 s[2:3], vcc
	s_cbranch_execz .LBB878_97
; %bb.92:
	s_movk_i32 s10, 0x80
	v_cmp_ne_u16_e32 vcc, s10, v34
	v_mov_b32_e32 v36, 0xffff8000
	s_and_saveexec_b64 s[10:11], vcc
	s_cbranch_execz .LBB878_96
; %bb.93:
	s_movk_i32 s12, 0x7f
	v_and_b32_e32 v53, 0x7f, v34
	v_cmp_ne_u32_e32 vcc, s12, v53
	v_mov_b32_e32 v36, 0x7f80
	s_and_saveexec_b64 s[12:13], vcc
	s_cbranch_execz .LBB878_95
; %bb.94:
	v_and_b32_e32 v36, 7, v34
	v_ffbh_u32_e32 v58, v36
	v_min_u32_e32 v61, 32, v58
	v_subrev_u32_e32 v58, 28, v61
	v_lshlrev_b64 v[58:59], v58, v[34:35]
	v_lshrrev_b32_e32 v60, 3, v53
	v_sub_u32_e32 v34, 29, v61
	v_and_b32_e32 v58, 7, v58
	v_cmp_gt_u32_e32 vcc, 8, v53
	v_cndmask_b32_e32 v34, v60, v34, vcc
	v_cndmask_b32_e32 v36, v36, v58, vcc
	v_lshlrev_b32_e32 v53, 16, v37
	v_bfrev_b32_e32 v58, 60
	v_lshlrev_b32_e32 v36, 20, v36
	v_and_b32_e32 v53, 0x80000000, v53
	v_lshl_add_u32 v34, v34, 23, v58
	v_or3_b32 v34, v53, v34, v36
	v_lshrrev_b32_e32 v36, 16, v34
.LBB878_95:
	s_or_b64 exec, exec, s[12:13]
.LBB878_96:
	s_or_b64 exec, exec, s[10:11]
.LBB878_97:
	s_or_b64 exec, exec, s[2:3]
	s_movk_i32 s2, 0xff
	v_and_b32_sdwa v53, v37, s2 dst_sel:DWORD dst_unused:UNUSED_PAD src0_sel:WORD_1 src1_sel:DWORD
	v_lshrrev_b32_e32 v34, 16, v37
	v_cmp_ne_u16_e32 vcc, 0, v53
	s_and_saveexec_b64 s[2:3], vcc
	s_cbranch_execz .LBB878_103
; %bb.98:
	s_movk_i32 s10, 0x80
	v_cmp_ne_u16_e32 vcc, s10, v53
	v_mov_b32_e32 v57, 0xffff8000
	s_and_saveexec_b64 s[10:11], vcc
	s_cbranch_execz .LBB878_102
; %bb.99:
	v_bfe_u32 v53, v37, 16, 7
	s_movk_i32 s12, 0x7f
	v_cmp_ne_u32_e32 vcc, s12, v53
	v_mov_b32_e32 v57, 0x7f80
	s_and_saveexec_b64 s[12:13], vcc
	s_cbranch_execz .LBB878_101
; %bb.100:
	v_and_b32_e32 v57, 7, v34
	v_ffbh_u32_e32 v58, v57
	v_min_u32_e32 v61, 32, v58
	v_subrev_u32_e32 v58, 28, v61
	v_lshlrev_b64 v[58:59], v58, v[34:35]
	v_and_b32_e32 v58, 7, v58
	v_cmp_gt_u32_e32 vcc, 8, v53
	v_lshrrev_b32_e32 v60, 3, v53
	v_sub_u32_e32 v34, 29, v61
	v_cndmask_b32_e32 v53, v57, v58, vcc
	v_mov_b32_e32 v57, 24
	v_cndmask_b32_e32 v34, v60, v34, vcc
	v_lshlrev_b32_sdwa v57, v57, v37 dst_sel:DWORD dst_unused:UNUSED_PAD src0_sel:DWORD src1_sel:WORD_1
	v_bfrev_b32_e32 v58, 60
	v_lshlrev_b32_e32 v53, 20, v53
	v_and_b32_e32 v57, 0x80000000, v57
	v_lshl_add_u32 v34, v34, 23, v58
	v_or3_b32 v34, v57, v34, v53
	v_lshrrev_b32_e32 v57, 16, v34
.LBB878_101:
	s_or_b64 exec, exec, s[12:13]
.LBB878_102:
	s_or_b64 exec, exec, s[10:11]
.LBB878_103:
	s_or_b64 exec, exec, s[2:3]
	s_mov_b32 s2, 0xffffff
	v_cmp_lt_u32_e32 vcc, s2, v37
	v_mov_b32_e32 v53, 0
	v_mov_b32_e32 v58, 0
	s_and_saveexec_b64 s[2:3], vcc
	s_cbranch_execz .LBB878_109
; %bb.104:
	v_lshrrev_b32_e32 v34, 24, v37
	s_movk_i32 s10, 0x80
	v_cmp_ne_u32_e32 vcc, s10, v34
	v_mov_b32_e32 v58, 0xffff8000
	s_and_saveexec_b64 s[10:11], vcc
	s_cbranch_execz .LBB878_108
; %bb.105:
	v_bfe_u32 v37, v37, 24, 7
	s_movk_i32 s12, 0x7f
	v_cmp_ne_u32_e32 vcc, s12, v37
	v_mov_b32_e32 v58, 0x7f80
	s_and_saveexec_b64 s[12:13], vcc
	s_cbranch_execz .LBB878_107
; %bb.106:
	v_and_b32_e32 v60, 7, v34
	v_ffbh_u32_e32 v58, v60
	v_min_u32_e32 v62, 32, v58
	v_subrev_u32_e32 v58, 28, v62
	v_lshlrev_b64 v[58:59], v58, v[34:35]
	v_lshrrev_b32_e32 v61, 3, v37
	v_sub_u32_e32 v59, 29, v62
	v_and_b32_e32 v58, 7, v58
	v_cmp_gt_u32_e32 vcc, 8, v37
	v_cndmask_b32_e32 v37, v61, v59, vcc
	v_cndmask_b32_e32 v58, v60, v58, vcc
	v_lshlrev_b32_e32 v34, 24, v34
	v_bfrev_b32_e32 v59, 60
	v_lshlrev_b32_e32 v58, 20, v58
	v_and_b32_e32 v34, 0x80000000, v34
	v_lshl_add_u32 v37, v37, 23, v59
	v_or3_b32 v34, v34, v37, v58
	v_lshrrev_b32_e32 v58, 16, v34
.LBB878_107:
	s_or_b64 exec, exec, s[12:13]
.LBB878_108:
	s_or_b64 exec, exec, s[10:11]
.LBB878_109:
	s_or_b64 exec, exec, s[2:3]
	s_mov_b32 s2, 0x5040100
	v_perm_b32 v61, v56, v54, s2
	v_perm_b32 v60, v35, v52, s2
	v_perm_b32 v35, v58, v57, s2
	v_perm_b32 v34, v36, v55, s2
	v_cmp_ne_u16_sdwa s[10:11], v38, v53 src0_sel:BYTE_0 src1_sel:DWORD
	v_mfma_f32_16x16x16bf16_1k v[42:45], v[60:61], v[18:19], v[42:45]
	v_mfma_f32_16x16x16bf16_1k v[34:37], v[34:35], v[20:21], v[42:45]
	s_and_saveexec_b64 s[2:3], s[10:11]
	s_cbranch_execz .LBB878_115
; %bb.110:
	s_movk_i32 s10, 0x80
	v_cmp_ne_u16_sdwa s[12:13], v38, s10 src0_sel:BYTE_0 src1_sel:DWORD
	v_mov_b32_e32 v53, 0xffff8000
	s_and_saveexec_b64 s[10:11], s[12:13]
	s_cbranch_execz .LBB878_114
; %bb.111:
	s_movk_i32 s12, 0x7f
	s_nop 1
	v_and_b32_e32 v42, 0x7f, v38
	v_cmp_ne_u32_e32 vcc, s12, v42
	v_mov_b32_e32 v53, 0x7f80
	s_and_saveexec_b64 s[12:13], vcc
	s_cbranch_execz .LBB878_113
; %bb.112:
	v_and_b32_e32 v43, 7, v38
	v_ffbh_u32_e32 v44, v43
	v_min_u32_e32 v53, 32, v44
	v_subrev_u32_e32 v44, 28, v53
	v_lshlrev_b64 v[44:45], v44, v[38:39]
	v_lshrrev_b32_e32 v52, 3, v42
	v_sub_u32_e32 v45, 29, v53
	v_and_b32_e32 v44, 7, v44
	v_cmp_gt_u32_e32 vcc, 8, v42
	v_cndmask_b32_e32 v42, v52, v45, vcc
	v_cndmask_b32_e32 v43, v43, v44, vcc
	v_lshlrev_b32_e32 v44, 24, v38
	v_bfrev_b32_e32 v45, 60
	v_lshlrev_b32_e32 v43, 20, v43
	v_and_b32_e32 v44, 0x80000000, v44
	v_lshl_add_u32 v42, v42, 23, v45
	v_or3_b32 v42, v44, v42, v43
	v_lshrrev_b32_e32 v53, 16, v42
.LBB878_113:
	s_or_b64 exec, exec, s[12:13]
.LBB878_114:
	s_or_b64 exec, exec, s[10:11]
.LBB878_115:
	s_or_b64 exec, exec, s[2:3]
	s_nop 6
	v_lshrrev_b16_e32 v42, 8, v38
	v_cmp_ne_u16_e32 vcc, 0, v42
	v_mov_b32_e32 v44, 0
	v_mov_b32_e32 v43, 0
	s_and_saveexec_b64 s[2:3], vcc
	s_cbranch_execz .LBB878_121
; %bb.116:
	s_movk_i32 s10, 0x80
	v_cmp_ne_u16_e32 vcc, s10, v42
	v_mov_b32_e32 v43, 0xffff8000
	s_and_saveexec_b64 s[10:11], vcc
	s_cbranch_execz .LBB878_120
; %bb.117:
	s_movk_i32 s12, 0x7f
	v_and_b32_e32 v45, 0x7f, v42
	v_cmp_ne_u32_e32 vcc, s12, v45
	v_mov_b32_e32 v43, 0x7f80
	s_and_saveexec_b64 s[12:13], vcc
	s_cbranch_execz .LBB878_119
; %bb.118:
	v_and_b32_e32 v52, 7, v42
	v_ffbh_u32_e32 v43, v52
	v_min_u32_e32 v55, 32, v43
	v_subrev_u32_e32 v43, 28, v55
	v_lshlrev_b64 v[42:43], v43, v[42:43]
	v_lshrrev_b32_e32 v54, 3, v45
	v_sub_u32_e32 v43, 29, v55
	v_and_b32_e32 v42, 7, v42
	v_cmp_gt_u32_e32 vcc, 8, v45
	v_cndmask_b32_e32 v43, v54, v43, vcc
	v_cndmask_b32_e32 v42, v52, v42, vcc
	v_lshlrev_b32_e32 v45, 16, v38
	v_bfrev_b32_e32 v52, 60
	v_lshlrev_b32_e32 v42, 20, v42
	v_and_b32_e32 v45, 0x80000000, v45
	v_lshl_add_u32 v43, v43, 23, v52
	v_or3_b32 v42, v45, v43, v42
	v_lshrrev_b32_e32 v43, 16, v42
.LBB878_119:
	s_or_b64 exec, exec, s[12:13]
.LBB878_120:
	s_or_b64 exec, exec, s[10:11]
.LBB878_121:
	s_or_b64 exec, exec, s[2:3]
	s_movk_i32 s2, 0xff
	v_and_b32_sdwa v45, v38, s2 dst_sel:DWORD dst_unused:UNUSED_PAD src0_sel:WORD_1 src1_sel:DWORD
	v_lshrrev_b32_e32 v42, 16, v38
	v_cmp_ne_u16_e32 vcc, 0, v45
	s_and_saveexec_b64 s[2:3], vcc
	s_cbranch_execz .LBB878_127
; %bb.122:
	s_movk_i32 s10, 0x80
	v_cmp_ne_u16_e32 vcc, s10, v45
	v_mov_b32_e32 v44, 0xffff8000
	s_and_saveexec_b64 s[10:11], vcc
	s_cbranch_execz .LBB878_126
; %bb.123:
	v_bfe_u32 v45, v38, 16, 7
	s_movk_i32 s12, 0x7f
	v_cmp_ne_u32_e32 vcc, s12, v45
	v_mov_b32_e32 v44, 0x7f80
	s_and_saveexec_b64 s[12:13], vcc
	s_cbranch_execz .LBB878_125
; %bb.124:
	v_and_b32_e32 v44, 7, v42
	v_ffbh_u32_e32 v54, v44
	v_min_u32_e32 v56, 32, v54
	v_subrev_u32_e32 v54, 28, v56
	v_lshlrev_b64 v[54:55], v54, v[42:43]
	v_lshrrev_b32_e32 v52, 3, v45
	v_sub_u32_e32 v42, 29, v56
	v_and_b32_e32 v54, 7, v54
	v_cmp_gt_u32_e32 vcc, 8, v45
	v_mov_b32_e32 v45, 24
	v_cndmask_b32_e32 v42, v52, v42, vcc
	v_cndmask_b32_e32 v44, v44, v54, vcc
	v_lshlrev_b32_sdwa v45, v45, v38 dst_sel:DWORD dst_unused:UNUSED_PAD src0_sel:DWORD src1_sel:WORD_1
	v_bfrev_b32_e32 v52, 60
	v_lshlrev_b32_e32 v44, 20, v44
	v_and_b32_e32 v45, 0x80000000, v45
	v_lshl_add_u32 v42, v42, 23, v52
	v_or3_b32 v42, v45, v42, v44
	v_lshrrev_b32_e32 v44, 16, v42
.LBB878_125:
	s_or_b64 exec, exec, s[12:13]
.LBB878_126:
	s_or_b64 exec, exec, s[10:11]
.LBB878_127:
	s_or_b64 exec, exec, s[2:3]
	s_mov_b32 s2, 0xffffff
	v_cmp_lt_u32_e32 vcc, s2, v38
	v_mov_b32_e32 v45, 0
	v_mov_b32_e32 v54, 0
	s_and_saveexec_b64 s[2:3], vcc
	s_cbranch_execz .LBB878_133
; %bb.128:
	v_lshrrev_b32_e32 v42, 24, v38
	s_movk_i32 s10, 0x80
	v_cmp_ne_u32_e32 vcc, s10, v42
	v_mov_b32_e32 v54, 0xffff8000
	s_and_saveexec_b64 s[10:11], vcc
	s_cbranch_execz .LBB878_132
; %bb.129:
	v_bfe_u32 v38, v38, 24, 7
	s_movk_i32 s12, 0x7f
	v_cmp_ne_u32_e32 vcc, s12, v38
	v_mov_b32_e32 v54, 0x7f80
	s_and_saveexec_b64 s[12:13], vcc
	s_cbranch_execz .LBB878_131
; %bb.130:
	v_and_b32_e32 v52, 7, v42
	v_ffbh_u32_e32 v54, v52
	v_min_u32_e32 v57, 32, v54
	v_subrev_u32_e32 v54, 28, v57
	v_lshlrev_b64 v[54:55], v54, v[42:43]
	v_lshrrev_b32_e32 v56, 3, v38
	v_sub_u32_e32 v55, 29, v57
	v_and_b32_e32 v54, 7, v54
	v_cmp_gt_u32_e32 vcc, 8, v38
	v_cndmask_b32_e32 v38, v56, v55, vcc
	v_cndmask_b32_e32 v52, v52, v54, vcc
	v_lshlrev_b32_e32 v42, 24, v42
	v_bfrev_b32_e32 v54, 60
	v_lshlrev_b32_e32 v52, 20, v52
	v_and_b32_e32 v42, 0x80000000, v42
	v_lshl_add_u32 v38, v38, 23, v54
	v_or3_b32 v38, v42, v38, v52
	v_lshrrev_b32_e32 v54, 16, v38
.LBB878_131:
	s_or_b64 exec, exec, s[12:13]
.LBB878_132:
	s_or_b64 exec, exec, s[10:11]
.LBB878_133:
	s_or_b64 exec, exec, s[2:3]
	v_cmp_ne_u16_sdwa s[10:11], v39, v45 src0_sel:BYTE_0 src1_sel:DWORD
	s_and_saveexec_b64 s[2:3], s[10:11]
	s_cbranch_execz .LBB878_139
; %bb.134:
	s_movk_i32 s10, 0x80
	v_cmp_ne_u16_sdwa s[12:13], v39, s10 src0_sel:BYTE_0 src1_sel:DWORD
	v_mov_b32_e32 v45, 0xffff8000
	s_and_saveexec_b64 s[10:11], s[12:13]
	s_cbranch_execz .LBB878_138
; %bb.135:
	s_movk_i32 s12, 0x7f
	v_and_b32_e32 v38, 0x7f, v39
	v_cmp_ne_u32_e32 vcc, s12, v38
	v_mov_b32_e32 v45, 0x7f80
	s_and_saveexec_b64 s[12:13], vcc
	s_cbranch_execz .LBB878_137
; %bb.136:
	v_and_b32_e32 v45, 7, v39
	v_ffbh_u32_e32 v55, v45
	v_min_u32_e32 v55, 32, v55
	v_mov_b32_e32 v42, v39
	v_subrev_u32_e32 v56, 28, v55
	v_lshlrev_b64 v[56:57], v56, v[42:43]
	v_lshrrev_b32_e32 v52, 3, v38
	v_sub_u32_e32 v42, 29, v55
	v_and_b32_e32 v55, 7, v56
	v_cmp_gt_u32_e32 vcc, 8, v38
	v_cndmask_b32_e32 v38, v52, v42, vcc
	v_cndmask_b32_e32 v42, v45, v55, vcc
	v_lshlrev_b32_e32 v45, 24, v39
	v_bfrev_b32_e32 v52, 60
	v_lshlrev_b32_e32 v42, 20, v42
	v_and_b32_e32 v45, 0x80000000, v45
	v_lshl_add_u32 v38, v38, 23, v52
	v_or3_b32 v38, v45, v38, v42
	v_lshrrev_b32_e32 v45, 16, v38
.LBB878_137:
	s_or_b64 exec, exec, s[12:13]
.LBB878_138:
	s_or_b64 exec, exec, s[10:11]
.LBB878_139:
	s_or_b64 exec, exec, s[2:3]
	v_lshrrev_b16_e32 v38, 8, v39
	v_cmp_ne_u16_e32 vcc, 0, v38
	v_mov_b32_e32 v55, 0
	v_mov_b32_e32 v42, 0
	s_and_saveexec_b64 s[2:3], vcc
	s_cbranch_execz .LBB878_145
; %bb.140:
	s_movk_i32 s10, 0x80
	v_cmp_ne_u16_e32 vcc, s10, v38
	v_mov_b32_e32 v42, 0xffff8000
	s_and_saveexec_b64 s[10:11], vcc
	s_cbranch_execz .LBB878_144
; %bb.141:
	s_movk_i32 s12, 0x7f
	v_and_b32_e32 v52, 0x7f, v38
	v_cmp_ne_u32_e32 vcc, s12, v52
	v_mov_b32_e32 v42, 0x7f80
	s_and_saveexec_b64 s[12:13], vcc
	s_cbranch_execz .LBB878_143
; %bb.142:
	v_and_b32_e32 v42, 7, v38
	v_ffbh_u32_e32 v56, v42
	v_min_u32_e32 v59, 32, v56
	v_subrev_u32_e32 v56, 28, v59
	v_lshlrev_b64 v[56:57], v56, v[38:39]
	v_lshrrev_b32_e32 v58, 3, v52
	v_sub_u32_e32 v38, 29, v59
	v_and_b32_e32 v56, 7, v56
	v_cmp_gt_u32_e32 vcc, 8, v52
	v_cndmask_b32_e32 v38, v58, v38, vcc
	v_cndmask_b32_e32 v42, v42, v56, vcc
	v_lshlrev_b32_e32 v52, 16, v39
	v_bfrev_b32_e32 v56, 60
	v_lshlrev_b32_e32 v42, 20, v42
	v_and_b32_e32 v52, 0x80000000, v52
	v_lshl_add_u32 v38, v38, 23, v56
	v_or3_b32 v38, v52, v38, v42
	v_lshrrev_b32_e32 v42, 16, v38
.LBB878_143:
	s_or_b64 exec, exec, s[12:13]
.LBB878_144:
	s_or_b64 exec, exec, s[10:11]
.LBB878_145:
	s_or_b64 exec, exec, s[2:3]
	s_movk_i32 s2, 0xff
	v_and_b32_sdwa v52, v39, s2 dst_sel:DWORD dst_unused:UNUSED_PAD src0_sel:WORD_1 src1_sel:DWORD
	v_lshrrev_b32_e32 v38, 16, v39
	v_cmp_ne_u16_e32 vcc, 0, v52
	s_and_saveexec_b64 s[2:3], vcc
	s_cbranch_execz .LBB878_151
; %bb.146:
	s_movk_i32 s10, 0x80
	v_cmp_ne_u16_e32 vcc, s10, v52
	v_mov_b32_e32 v55, 0xffff8000
	s_and_saveexec_b64 s[10:11], vcc
	s_cbranch_execz .LBB878_150
; %bb.147:
	v_bfe_u32 v52, v39, 16, 7
	s_movk_i32 s12, 0x7f
	v_cmp_ne_u32_e32 vcc, s12, v52
	v_mov_b32_e32 v55, 0x7f80
	s_and_saveexec_b64 s[12:13], vcc
	s_cbranch_execz .LBB878_149
; %bb.148:
	v_and_b32_e32 v55, 7, v38
	v_ffbh_u32_e32 v56, v55
	v_min_u32_e32 v59, 32, v56
	v_subrev_u32_e32 v56, 28, v59
	v_lshlrev_b64 v[56:57], v56, v[38:39]
	v_and_b32_e32 v56, 7, v56
	v_cmp_gt_u32_e32 vcc, 8, v52
	v_lshrrev_b32_e32 v58, 3, v52
	v_sub_u32_e32 v38, 29, v59
	v_cndmask_b32_e32 v52, v55, v56, vcc
	v_mov_b32_e32 v55, 24
	v_cndmask_b32_e32 v38, v58, v38, vcc
	v_lshlrev_b32_sdwa v55, v55, v39 dst_sel:DWORD dst_unused:UNUSED_PAD src0_sel:DWORD src1_sel:WORD_1
	v_bfrev_b32_e32 v56, 60
	v_lshlrev_b32_e32 v52, 20, v52
	v_and_b32_e32 v55, 0x80000000, v55
	v_lshl_add_u32 v38, v38, 23, v56
	v_or3_b32 v38, v55, v38, v52
	v_lshrrev_b32_e32 v55, 16, v38
.LBB878_149:
	s_or_b64 exec, exec, s[12:13]
.LBB878_150:
	s_or_b64 exec, exec, s[10:11]
.LBB878_151:
	s_or_b64 exec, exec, s[2:3]
	s_mov_b32 s2, 0xffffff
	v_cmp_lt_u32_e32 vcc, s2, v39
	v_mov_b32_e32 v52, 0
	v_mov_b32_e32 v56, 0
	s_and_saveexec_b64 s[2:3], vcc
	s_cbranch_execz .LBB878_157
; %bb.152:
	v_lshrrev_b32_e32 v38, 24, v39
	s_movk_i32 s10, 0x80
	v_cmp_ne_u32_e32 vcc, s10, v38
	v_mov_b32_e32 v56, 0xffff8000
	s_and_saveexec_b64 s[10:11], vcc
	s_cbranch_execz .LBB878_156
; %bb.153:
	v_bfe_u32 v39, v39, 24, 7
	s_movk_i32 s12, 0x7f
	v_cmp_ne_u32_e32 vcc, s12, v39
	v_mov_b32_e32 v56, 0x7f80
	s_and_saveexec_b64 s[12:13], vcc
	s_cbranch_execz .LBB878_155
; %bb.154:
	v_and_b32_e32 v58, 7, v38
	v_ffbh_u32_e32 v56, v58
	v_min_u32_e32 v60, 32, v56
	v_subrev_u32_e32 v56, 28, v60
	v_lshlrev_b64 v[56:57], v56, v[38:39]
	v_lshrrev_b32_e32 v59, 3, v39
	v_sub_u32_e32 v57, 29, v60
	v_and_b32_e32 v56, 7, v56
	v_cmp_gt_u32_e32 vcc, 8, v39
	v_cndmask_b32_e32 v39, v59, v57, vcc
	v_cndmask_b32_e32 v56, v58, v56, vcc
	v_lshlrev_b32_e32 v38, 24, v38
	v_bfrev_b32_e32 v57, 60
	v_lshlrev_b32_e32 v56, 20, v56
	v_and_b32_e32 v38, 0x80000000, v38
	v_lshl_add_u32 v39, v39, 23, v57
	v_or3_b32 v38, v38, v39, v56
	v_lshrrev_b32_e32 v56, 16, v38
.LBB878_155:
	s_or_b64 exec, exec, s[12:13]
.LBB878_156:
	s_or_b64 exec, exec, s[10:11]
.LBB878_157:
	s_or_b64 exec, exec, s[2:3]
	s_mov_b32 s2, 0x5040100
	v_perm_b32 v39, v54, v44, s2
	v_perm_b32 v38, v43, v53, s2
	v_cmp_ne_u16_sdwa s[10:11], v40, v52 src0_sel:BYTE_0 src1_sel:DWORD
	s_nop 0
	v_mfma_f32_16x16x16bf16_1k v[58:61], v[38:39], v[26:27], 0
	v_perm_b32 v39, v56, v55, s2
	v_perm_b32 v38, v42, v45, s2
	s_nop 1
	v_mfma_f32_16x16x16bf16_1k v[42:45], v[38:39], v[28:29], v[58:61]
	s_and_saveexec_b64 s[2:3], s[10:11]
	s_cbranch_execz .LBB878_163
; %bb.158:
	s_movk_i32 s10, 0x80
	v_cmp_ne_u16_sdwa s[12:13], v40, s10 src0_sel:BYTE_0 src1_sel:DWORD
	v_mov_b32_e32 v52, 0xffff8000
	s_and_saveexec_b64 s[10:11], s[12:13]
	s_cbranch_execz .LBB878_162
; %bb.159:
	s_movk_i32 s12, 0x7f
	v_and_b32_e32 v38, 0x7f, v40
	v_cmp_ne_u32_e32 vcc, s12, v38
	v_mov_b32_e32 v52, 0x7f80
	s_and_saveexec_b64 s[12:13], vcc
	s_cbranch_execz .LBB878_161
; %bb.160:
	v_and_b32_e32 v39, 7, v40
	v_ffbh_u32_e32 v52, v39
	v_min_u32_e32 v55, 32, v52
	v_subrev_u32_e32 v52, 28, v55
	v_lshlrev_b64 v[52:53], v52, v[40:41]
	v_lshrrev_b32_e32 v54, 3, v38
	v_sub_u32_e32 v53, 29, v55
	v_and_b32_e32 v52, 7, v52
	v_cmp_gt_u32_e32 vcc, 8, v38
	v_cndmask_b32_e32 v38, v54, v53, vcc
	v_cndmask_b32_e32 v39, v39, v52, vcc
	v_lshlrev_b32_e32 v52, 24, v40
	v_bfrev_b32_e32 v53, 60
	v_lshlrev_b32_e32 v39, 20, v39
	v_and_b32_e32 v52, 0x80000000, v52
	v_lshl_add_u32 v38, v38, 23, v53
	v_or3_b32 v38, v52, v38, v39
	v_lshrrev_b32_e32 v52, 16, v38
.LBB878_161:
	s_or_b64 exec, exec, s[12:13]
.LBB878_162:
	s_or_b64 exec, exec, s[10:11]
.LBB878_163:
	s_or_b64 exec, exec, s[2:3]
	v_lshrrev_b16_e32 v38, 8, v40
	v_cmp_ne_u16_e32 vcc, 0, v38
	v_mov_b32_e32 v54, 0
	v_mov_b32_e32 v39, 0
	s_and_saveexec_b64 s[2:3], vcc
	s_cbranch_execz .LBB878_169
; %bb.164:
	s_movk_i32 s10, 0x80
	v_cmp_ne_u16_e32 vcc, s10, v38
	v_mov_b32_e32 v39, 0xffff8000
	s_and_saveexec_b64 s[10:11], vcc
	s_cbranch_execz .LBB878_168
; %bb.165:
	s_movk_i32 s12, 0x7f
	v_and_b32_e32 v53, 0x7f, v38
	v_cmp_ne_u32_e32 vcc, s12, v53
	v_mov_b32_e32 v39, 0x7f80
	s_and_saveexec_b64 s[12:13], vcc
	s_cbranch_execz .LBB878_167
; %bb.166:
	v_and_b32_e32 v55, 7, v38
	v_ffbh_u32_e32 v39, v55
	v_min_u32_e32 v57, 32, v39
	v_subrev_u32_e32 v39, 28, v57
	v_lshlrev_b64 v[38:39], v39, v[38:39]
	v_lshrrev_b32_e32 v56, 3, v53
	v_sub_u32_e32 v39, 29, v57
	v_and_b32_e32 v38, 7, v38
	v_cmp_gt_u32_e32 vcc, 8, v53
	v_cndmask_b32_e32 v39, v56, v39, vcc
	v_cndmask_b32_e32 v38, v55, v38, vcc
	v_lshlrev_b32_e32 v53, 16, v40
	v_bfrev_b32_e32 v55, 60
	v_lshlrev_b32_e32 v38, 20, v38
	v_and_b32_e32 v53, 0x80000000, v53
	v_lshl_add_u32 v39, v39, 23, v55
	v_or3_b32 v38, v53, v39, v38
	v_lshrrev_b32_e32 v39, 16, v38
.LBB878_167:
	s_or_b64 exec, exec, s[12:13]
.LBB878_168:
	s_or_b64 exec, exec, s[10:11]
.LBB878_169:
	s_or_b64 exec, exec, s[2:3]
	s_movk_i32 s2, 0xff
	v_and_b32_sdwa v53, v40, s2 dst_sel:DWORD dst_unused:UNUSED_PAD src0_sel:WORD_1 src1_sel:DWORD
	v_lshrrev_b32_e32 v38, 16, v40
	v_cmp_ne_u16_e32 vcc, 0, v53
	s_and_saveexec_b64 s[2:3], vcc
	s_cbranch_execz .LBB878_175
; %bb.170:
	s_movk_i32 s10, 0x80
	v_cmp_ne_u16_e32 vcc, s10, v53
	v_mov_b32_e32 v54, 0xffff8000
	s_and_saveexec_b64 s[10:11], vcc
	s_cbranch_execz .LBB878_174
; %bb.171:
	v_bfe_u32 v53, v40, 16, 7
	s_movk_i32 s12, 0x7f
	v_cmp_ne_u32_e32 vcc, s12, v53
	v_mov_b32_e32 v54, 0x7f80
	s_and_saveexec_b64 s[12:13], vcc
	s_cbranch_execz .LBB878_173
; %bb.172:
	v_and_b32_e32 v56, 7, v38
	v_ffbh_u32_e32 v54, v56
	v_min_u32_e32 v58, 32, v54
	v_subrev_u32_e32 v54, 28, v58
	v_lshlrev_b64 v[54:55], v54, v[38:39]
	v_and_b32_e32 v54, 7, v54
	v_cmp_gt_u32_e32 vcc, 8, v53
	v_lshrrev_b32_e32 v57, 3, v53
	v_sub_u32_e32 v38, 29, v58
	v_cndmask_b32_e32 v53, v56, v54, vcc
	v_mov_b32_e32 v54, 24
	v_cndmask_b32_e32 v38, v57, v38, vcc
	v_lshlrev_b32_sdwa v54, v54, v40 dst_sel:DWORD dst_unused:UNUSED_PAD src0_sel:DWORD src1_sel:WORD_1
	v_bfrev_b32_e32 v55, 60
	v_lshlrev_b32_e32 v53, 20, v53
	v_and_b32_e32 v54, 0x80000000, v54
	v_lshl_add_u32 v38, v38, 23, v55
	v_or3_b32 v38, v54, v38, v53
	v_lshrrev_b32_e32 v54, 16, v38
.LBB878_173:
	s_or_b64 exec, exec, s[12:13]
.LBB878_174:
	s_or_b64 exec, exec, s[10:11]
.LBB878_175:
	s_or_b64 exec, exec, s[2:3]
	s_mov_b32 s2, 0xffffff
	v_cmp_lt_u32_e32 vcc, s2, v40
	v_mov_b32_e32 v55, 0
	v_mov_b32_e32 v56, 0
	s_and_saveexec_b64 s[2:3], vcc
	s_cbranch_execz .LBB878_181
; %bb.176:
	v_lshrrev_b32_e32 v38, 24, v40
	s_movk_i32 s10, 0x80
	v_cmp_ne_u32_e32 vcc, s10, v38
	v_mov_b32_e32 v56, 0xffff8000
	s_and_saveexec_b64 s[10:11], vcc
	s_cbranch_execz .LBB878_180
; %bb.177:
	v_bfe_u32 v40, v40, 24, 7
	s_movk_i32 s12, 0x7f
	v_cmp_ne_u32_e32 vcc, s12, v40
	v_mov_b32_e32 v56, 0x7f80
	s_and_saveexec_b64 s[12:13], vcc
	s_cbranch_execz .LBB878_179
; %bb.178:
	v_and_b32_e32 v53, 7, v38
	v_ffbh_u32_e32 v56, v53
	v_min_u32_e32 v59, 32, v56
	v_subrev_u32_e32 v56, 28, v59
	v_lshlrev_b64 v[56:57], v56, v[38:39]
	v_lshrrev_b32_e32 v58, 3, v40
	v_sub_u32_e32 v57, 29, v59
	v_and_b32_e32 v56, 7, v56
	v_cmp_gt_u32_e32 vcc, 8, v40
	v_cndmask_b32_e32 v40, v58, v57, vcc
	v_cndmask_b32_e32 v53, v53, v56, vcc
	v_lshlrev_b32_e32 v38, 24, v38
	v_bfrev_b32_e32 v56, 60
	v_lshlrev_b32_e32 v53, 20, v53
	v_and_b32_e32 v38, 0x80000000, v38
	v_lshl_add_u32 v40, v40, 23, v56
	v_or3_b32 v38, v38, v40, v53
	v_lshrrev_b32_e32 v56, 16, v38
.LBB878_179:
	s_or_b64 exec, exec, s[12:13]
.LBB878_180:
	s_or_b64 exec, exec, s[10:11]
.LBB878_181:
	s_or_b64 exec, exec, s[2:3]
	v_cmp_ne_u16_sdwa s[10:11], v41, v55 src0_sel:BYTE_0 src1_sel:DWORD
	s_and_saveexec_b64 s[2:3], s[10:11]
	s_cbranch_execz .LBB878_187
; %bb.182:
	s_movk_i32 s10, 0x80
	v_cmp_ne_u16_sdwa s[12:13], v41, s10 src0_sel:BYTE_0 src1_sel:DWORD
	v_mov_b32_e32 v55, 0xffff8000
	s_and_saveexec_b64 s[10:11], s[12:13]
	s_cbranch_execz .LBB878_186
; %bb.183:
	s_movk_i32 s12, 0x7f
	v_and_b32_e32 v38, 0x7f, v41
	v_cmp_ne_u32_e32 vcc, s12, v38
	v_mov_b32_e32 v55, 0x7f80
	s_and_saveexec_b64 s[12:13], vcc
	s_cbranch_execz .LBB878_185
; %bb.184:
	v_and_b32_e32 v53, 7, v41
	v_ffbh_u32_e32 v57, v53
	v_min_u32_e32 v57, 32, v57
	v_mov_b32_e32 v40, v41
	v_subrev_u32_e32 v58, 28, v57
	v_lshlrev_b64 v[58:59], v58, v[40:41]
	v_lshrrev_b32_e32 v55, 3, v38
	v_sub_u32_e32 v40, 29, v57
	v_and_b32_e32 v57, 7, v58
	v_cmp_gt_u32_e32 vcc, 8, v38
	v_cndmask_b32_e32 v38, v55, v40, vcc
	v_cndmask_b32_e32 v40, v53, v57, vcc
	v_lshlrev_b32_e32 v53, 24, v41
	v_bfrev_b32_e32 v55, 60
	v_lshlrev_b32_e32 v40, 20, v40
	v_and_b32_e32 v53, 0x80000000, v53
	v_lshl_add_u32 v38, v38, 23, v55
	v_or3_b32 v38, v53, v38, v40
	v_lshrrev_b32_e32 v55, 16, v38
.LBB878_185:
	s_or_b64 exec, exec, s[12:13]
.LBB878_186:
	s_or_b64 exec, exec, s[10:11]
.LBB878_187:
	s_or_b64 exec, exec, s[2:3]
	v_lshrrev_b16_e32 v38, 8, v41
	v_cmp_ne_u16_e32 vcc, 0, v38
	v_mov_b32_e32 v57, 0
	v_mov_b32_e32 v40, 0
	s_and_saveexec_b64 s[2:3], vcc
	s_cbranch_execz .LBB878_193
; %bb.188:
	s_movk_i32 s10, 0x80
	v_cmp_ne_u16_e32 vcc, s10, v38
	v_mov_b32_e32 v40, 0xffff8000
	s_and_saveexec_b64 s[10:11], vcc
	s_cbranch_execz .LBB878_192
; %bb.189:
	s_movk_i32 s12, 0x7f
	v_and_b32_e32 v53, 0x7f, v38
	v_cmp_ne_u32_e32 vcc, s12, v53
	v_mov_b32_e32 v40, 0x7f80
	s_and_saveexec_b64 s[12:13], vcc
	s_cbranch_execz .LBB878_191
; %bb.190:
	v_and_b32_e32 v40, 7, v38
	v_ffbh_u32_e32 v58, v40
	v_min_u32_e32 v61, 32, v58
	v_subrev_u32_e32 v58, 28, v61
	v_lshlrev_b64 v[58:59], v58, v[38:39]
	v_lshrrev_b32_e32 v60, 3, v53
	v_sub_u32_e32 v38, 29, v61
	v_and_b32_e32 v58, 7, v58
	v_cmp_gt_u32_e32 vcc, 8, v53
	v_cndmask_b32_e32 v38, v60, v38, vcc
	v_cndmask_b32_e32 v40, v40, v58, vcc
	v_lshlrev_b32_e32 v53, 16, v41
	v_bfrev_b32_e32 v58, 60
	v_lshlrev_b32_e32 v40, 20, v40
	v_and_b32_e32 v53, 0x80000000, v53
	v_lshl_add_u32 v38, v38, 23, v58
	v_or3_b32 v38, v53, v38, v40
	v_lshrrev_b32_e32 v40, 16, v38
.LBB878_191:
	s_or_b64 exec, exec, s[12:13]
.LBB878_192:
	s_or_b64 exec, exec, s[10:11]
.LBB878_193:
	s_or_b64 exec, exec, s[2:3]
	s_movk_i32 s2, 0xff
	v_and_b32_sdwa v53, v41, s2 dst_sel:DWORD dst_unused:UNUSED_PAD src0_sel:WORD_1 src1_sel:DWORD
	v_lshrrev_b32_e32 v38, 16, v41
	v_cmp_ne_u16_e32 vcc, 0, v53
	s_and_saveexec_b64 s[2:3], vcc
	s_cbranch_execz .LBB878_199
; %bb.194:
	s_movk_i32 s10, 0x80
	v_cmp_ne_u16_e32 vcc, s10, v53
	v_mov_b32_e32 v57, 0xffff8000
	s_and_saveexec_b64 s[10:11], vcc
	s_cbranch_execz .LBB878_198
; %bb.195:
	v_bfe_u32 v53, v41, 16, 7
	s_movk_i32 s12, 0x7f
	v_cmp_ne_u32_e32 vcc, s12, v53
	v_mov_b32_e32 v57, 0x7f80
	s_and_saveexec_b64 s[12:13], vcc
	s_cbranch_execz .LBB878_197
; %bb.196:
	v_and_b32_e32 v57, 7, v38
	v_ffbh_u32_e32 v58, v57
	v_min_u32_e32 v61, 32, v58
	v_subrev_u32_e32 v58, 28, v61
	v_lshlrev_b64 v[58:59], v58, v[38:39]
	v_and_b32_e32 v58, 7, v58
	v_cmp_gt_u32_e32 vcc, 8, v53
	v_lshrrev_b32_e32 v60, 3, v53
	v_sub_u32_e32 v38, 29, v61
	v_cndmask_b32_e32 v53, v57, v58, vcc
	v_mov_b32_e32 v57, 24
	v_cndmask_b32_e32 v38, v60, v38, vcc
	v_lshlrev_b32_sdwa v57, v57, v41 dst_sel:DWORD dst_unused:UNUSED_PAD src0_sel:DWORD src1_sel:WORD_1
	v_bfrev_b32_e32 v58, 60
	v_lshlrev_b32_e32 v53, 20, v53
	v_and_b32_e32 v57, 0x80000000, v57
	v_lshl_add_u32 v38, v38, 23, v58
	v_or3_b32 v38, v57, v38, v53
	v_lshrrev_b32_e32 v57, 16, v38
.LBB878_197:
	s_or_b64 exec, exec, s[12:13]
.LBB878_198:
	s_or_b64 exec, exec, s[10:11]
.LBB878_199:
	s_or_b64 exec, exec, s[2:3]
	s_mov_b32 s2, 0xffffff
	v_cmp_lt_u32_e32 vcc, s2, v41
	v_mov_b32_e32 v53, 0
	v_mov_b32_e32 v58, 0
	s_and_saveexec_b64 s[2:3], vcc
	s_cbranch_execz .LBB878_205
; %bb.200:
	v_lshrrev_b32_e32 v38, 24, v41
	s_movk_i32 s10, 0x80
	v_cmp_ne_u32_e32 vcc, s10, v38
	v_mov_b32_e32 v58, 0xffff8000
	s_and_saveexec_b64 s[10:11], vcc
	s_cbranch_execz .LBB878_204
; %bb.201:
	v_bfe_u32 v41, v41, 24, 7
	s_movk_i32 s12, 0x7f
	v_cmp_ne_u32_e32 vcc, s12, v41
	v_mov_b32_e32 v58, 0x7f80
	s_and_saveexec_b64 s[12:13], vcc
	s_cbranch_execz .LBB878_203
; %bb.202:
	v_and_b32_e32 v60, 7, v38
	v_ffbh_u32_e32 v58, v60
	v_min_u32_e32 v62, 32, v58
	v_subrev_u32_e32 v58, 28, v62
	v_lshlrev_b64 v[58:59], v58, v[38:39]
	v_lshrrev_b32_e32 v61, 3, v41
	v_sub_u32_e32 v59, 29, v62
	v_and_b32_e32 v58, 7, v58
	v_cmp_gt_u32_e32 vcc, 8, v41
	v_cndmask_b32_e32 v41, v61, v59, vcc
	v_cndmask_b32_e32 v58, v60, v58, vcc
	v_lshlrev_b32_e32 v38, 24, v38
	v_bfrev_b32_e32 v59, 60
	v_lshlrev_b32_e32 v58, 20, v58
	v_and_b32_e32 v38, 0x80000000, v38
	v_lshl_add_u32 v41, v41, 23, v59
	v_or3_b32 v38, v38, v41, v58
	v_lshrrev_b32_e32 v58, 16, v38
.LBB878_203:
	s_or_b64 exec, exec, s[12:13]
.LBB878_204:
	s_or_b64 exec, exec, s[10:11]
.LBB878_205:
	s_or_b64 exec, exec, s[2:3]
	s_mov_b32 s2, 0x5040100
	v_perm_b32 v61, v56, v54, s2
	v_perm_b32 v60, v39, v52, s2
	;; [unrolled: 1-line block ×4, first 2 shown]
	v_cmp_ne_u16_sdwa s[10:11], v30, v53 src0_sel:BYTE_0 src1_sel:DWORD
	v_mfma_f32_16x16x16bf16_1k v[42:45], v[60:61], v[18:19], v[42:45]
	v_mfma_f32_16x16x16bf16_1k v[38:41], v[38:39], v[20:21], v[42:45]
	s_and_saveexec_b64 s[2:3], s[10:11]
	s_cbranch_execz .LBB878_211
; %bb.206:
	s_movk_i32 s10, 0x80
	v_cmp_ne_u16_sdwa s[12:13], v30, s10 src0_sel:BYTE_0 src1_sel:DWORD
	v_mov_b32_e32 v53, 0xffff8000
	s_and_saveexec_b64 s[10:11], s[12:13]
	s_cbranch_execz .LBB878_210
; %bb.207:
	s_movk_i32 s12, 0x7f
	s_nop 1
	v_and_b32_e32 v42, 0x7f, v30
	v_cmp_ne_u32_e32 vcc, s12, v42
	v_mov_b32_e32 v53, 0x7f80
	s_and_saveexec_b64 s[12:13], vcc
	s_cbranch_execz .LBB878_209
; %bb.208:
	v_and_b32_e32 v43, 7, v30
	v_ffbh_u32_e32 v44, v43
	v_min_u32_e32 v53, 32, v44
	v_subrev_u32_e32 v44, 28, v53
	v_lshlrev_b64 v[44:45], v44, v[30:31]
	v_lshrrev_b32_e32 v52, 3, v42
	v_sub_u32_e32 v45, 29, v53
	v_and_b32_e32 v44, 7, v44
	v_cmp_gt_u32_e32 vcc, 8, v42
	v_cndmask_b32_e32 v42, v52, v45, vcc
	v_cndmask_b32_e32 v43, v43, v44, vcc
	v_lshlrev_b32_e32 v44, 24, v30
	v_bfrev_b32_e32 v45, 60
	v_lshlrev_b32_e32 v43, 20, v43
	v_and_b32_e32 v44, 0x80000000, v44
	v_lshl_add_u32 v42, v42, 23, v45
	v_or3_b32 v42, v44, v42, v43
	v_lshrrev_b32_e32 v53, 16, v42
.LBB878_209:
	s_or_b64 exec, exec, s[12:13]
.LBB878_210:
	s_or_b64 exec, exec, s[10:11]
.LBB878_211:
	s_or_b64 exec, exec, s[2:3]
	s_nop 6
	v_lshrrev_b16_e32 v42, 8, v30
	v_cmp_ne_u16_e32 vcc, 0, v42
	v_mov_b32_e32 v44, 0
	v_mov_b32_e32 v43, 0
	s_and_saveexec_b64 s[2:3], vcc
	s_cbranch_execz .LBB878_217
; %bb.212:
	s_movk_i32 s10, 0x80
	v_cmp_ne_u16_e32 vcc, s10, v42
	v_mov_b32_e32 v43, 0xffff8000
	s_and_saveexec_b64 s[10:11], vcc
	s_cbranch_execz .LBB878_216
; %bb.213:
	s_movk_i32 s12, 0x7f
	v_and_b32_e32 v45, 0x7f, v42
	v_cmp_ne_u32_e32 vcc, s12, v45
	v_mov_b32_e32 v43, 0x7f80
	s_and_saveexec_b64 s[12:13], vcc
	s_cbranch_execz .LBB878_215
; %bb.214:
	v_and_b32_e32 v52, 7, v42
	v_ffbh_u32_e32 v43, v52
	v_min_u32_e32 v55, 32, v43
	v_subrev_u32_e32 v43, 28, v55
	v_lshlrev_b64 v[42:43], v43, v[42:43]
	v_lshrrev_b32_e32 v54, 3, v45
	v_sub_u32_e32 v43, 29, v55
	v_and_b32_e32 v42, 7, v42
	v_cmp_gt_u32_e32 vcc, 8, v45
	v_cndmask_b32_e32 v43, v54, v43, vcc
	v_cndmask_b32_e32 v42, v52, v42, vcc
	v_lshlrev_b32_e32 v45, 16, v30
	v_bfrev_b32_e32 v52, 60
	v_lshlrev_b32_e32 v42, 20, v42
	v_and_b32_e32 v45, 0x80000000, v45
	v_lshl_add_u32 v43, v43, 23, v52
	v_or3_b32 v42, v45, v43, v42
	v_lshrrev_b32_e32 v43, 16, v42
.LBB878_215:
	s_or_b64 exec, exec, s[12:13]
.LBB878_216:
	s_or_b64 exec, exec, s[10:11]
.LBB878_217:
	s_or_b64 exec, exec, s[2:3]
	s_movk_i32 s2, 0xff
	v_and_b32_sdwa v45, v30, s2 dst_sel:DWORD dst_unused:UNUSED_PAD src0_sel:WORD_1 src1_sel:DWORD
	v_lshrrev_b32_e32 v42, 16, v30
	v_cmp_ne_u16_e32 vcc, 0, v45
	s_and_saveexec_b64 s[2:3], vcc
	s_cbranch_execz .LBB878_223
; %bb.218:
	s_movk_i32 s10, 0x80
	v_cmp_ne_u16_e32 vcc, s10, v45
	v_mov_b32_e32 v44, 0xffff8000
	s_and_saveexec_b64 s[10:11], vcc
	s_cbranch_execz .LBB878_222
; %bb.219:
	v_bfe_u32 v45, v30, 16, 7
	s_movk_i32 s12, 0x7f
	v_cmp_ne_u32_e32 vcc, s12, v45
	v_mov_b32_e32 v44, 0x7f80
	s_and_saveexec_b64 s[12:13], vcc
	s_cbranch_execz .LBB878_221
; %bb.220:
	v_and_b32_e32 v44, 7, v42
	v_ffbh_u32_e32 v54, v44
	v_min_u32_e32 v56, 32, v54
	v_subrev_u32_e32 v54, 28, v56
	v_lshlrev_b64 v[54:55], v54, v[42:43]
	v_lshrrev_b32_e32 v52, 3, v45
	v_sub_u32_e32 v42, 29, v56
	v_and_b32_e32 v54, 7, v54
	v_cmp_gt_u32_e32 vcc, 8, v45
	v_mov_b32_e32 v45, 24
	v_cndmask_b32_e32 v42, v52, v42, vcc
	v_cndmask_b32_e32 v44, v44, v54, vcc
	v_lshlrev_b32_sdwa v45, v45, v30 dst_sel:DWORD dst_unused:UNUSED_PAD src0_sel:DWORD src1_sel:WORD_1
	v_bfrev_b32_e32 v52, 60
	v_lshlrev_b32_e32 v44, 20, v44
	v_and_b32_e32 v45, 0x80000000, v45
	v_lshl_add_u32 v42, v42, 23, v52
	v_or3_b32 v42, v45, v42, v44
	v_lshrrev_b32_e32 v44, 16, v42
.LBB878_221:
	s_or_b64 exec, exec, s[12:13]
.LBB878_222:
	s_or_b64 exec, exec, s[10:11]
.LBB878_223:
	s_or_b64 exec, exec, s[2:3]
	s_mov_b32 s2, 0xffffff
	v_cmp_lt_u32_e32 vcc, s2, v30
	v_mov_b32_e32 v45, 0
	v_mov_b32_e32 v54, 0
	s_and_saveexec_b64 s[2:3], vcc
	s_cbranch_execz .LBB878_229
; %bb.224:
	v_lshrrev_b32_e32 v42, 24, v30
	s_movk_i32 s10, 0x80
	v_cmp_ne_u32_e32 vcc, s10, v42
	v_mov_b32_e32 v54, 0xffff8000
	s_and_saveexec_b64 s[10:11], vcc
	s_cbranch_execz .LBB878_228
; %bb.225:
	v_bfe_u32 v30, v30, 24, 7
	s_movk_i32 s12, 0x7f
	v_cmp_ne_u32_e32 vcc, s12, v30
	v_mov_b32_e32 v54, 0x7f80
	s_and_saveexec_b64 s[12:13], vcc
	s_cbranch_execz .LBB878_227
; %bb.226:
	v_and_b32_e32 v52, 7, v42
	v_ffbh_u32_e32 v54, v52
	v_min_u32_e32 v57, 32, v54
	v_subrev_u32_e32 v54, 28, v57
	v_lshlrev_b64 v[54:55], v54, v[42:43]
	v_lshrrev_b32_e32 v56, 3, v30
	v_sub_u32_e32 v55, 29, v57
	v_and_b32_e32 v54, 7, v54
	v_cmp_gt_u32_e32 vcc, 8, v30
	v_cndmask_b32_e32 v30, v56, v55, vcc
	v_cndmask_b32_e32 v52, v52, v54, vcc
	v_lshlrev_b32_e32 v42, 24, v42
	v_bfrev_b32_e32 v54, 60
	v_lshlrev_b32_e32 v52, 20, v52
	v_and_b32_e32 v42, 0x80000000, v42
	v_lshl_add_u32 v30, v30, 23, v54
	v_or3_b32 v30, v42, v30, v52
	v_lshrrev_b32_e32 v54, 16, v30
.LBB878_227:
	s_or_b64 exec, exec, s[12:13]
.LBB878_228:
	s_or_b64 exec, exec, s[10:11]
.LBB878_229:
	s_or_b64 exec, exec, s[2:3]
	v_cmp_ne_u16_sdwa s[10:11], v31, v45 src0_sel:BYTE_0 src1_sel:DWORD
	s_and_saveexec_b64 s[2:3], s[10:11]
	s_cbranch_execz .LBB878_235
; %bb.230:
	s_movk_i32 s10, 0x80
	v_cmp_ne_u16_sdwa s[12:13], v31, s10 src0_sel:BYTE_0 src1_sel:DWORD
	v_mov_b32_e32 v45, 0xffff8000
	s_and_saveexec_b64 s[10:11], s[12:13]
	s_cbranch_execz .LBB878_234
; %bb.231:
	s_movk_i32 s12, 0x7f
	v_and_b32_e32 v30, 0x7f, v31
	v_cmp_ne_u32_e32 vcc, s12, v30
	v_mov_b32_e32 v45, 0x7f80
	s_and_saveexec_b64 s[12:13], vcc
	s_cbranch_execz .LBB878_233
; %bb.232:
	v_and_b32_e32 v45, 7, v31
	v_ffbh_u32_e32 v55, v45
	v_min_u32_e32 v55, 32, v55
	v_mov_b32_e32 v42, v31
	v_subrev_u32_e32 v56, 28, v55
	v_lshlrev_b64 v[56:57], v56, v[42:43]
	v_lshrrev_b32_e32 v52, 3, v30
	v_sub_u32_e32 v42, 29, v55
	v_and_b32_e32 v55, 7, v56
	v_cmp_gt_u32_e32 vcc, 8, v30
	v_cndmask_b32_e32 v30, v52, v42, vcc
	v_cndmask_b32_e32 v42, v45, v55, vcc
	v_lshlrev_b32_e32 v45, 24, v31
	v_bfrev_b32_e32 v52, 60
	v_lshlrev_b32_e32 v42, 20, v42
	v_and_b32_e32 v45, 0x80000000, v45
	v_lshl_add_u32 v30, v30, 23, v52
	v_or3_b32 v30, v45, v30, v42
	v_lshrrev_b32_e32 v45, 16, v30
.LBB878_233:
	s_or_b64 exec, exec, s[12:13]
.LBB878_234:
	s_or_b64 exec, exec, s[10:11]
.LBB878_235:
	s_or_b64 exec, exec, s[2:3]
	v_lshrrev_b16_e32 v30, 8, v31
	v_cmp_ne_u16_e32 vcc, 0, v30
	v_mov_b32_e32 v55, 0
	v_mov_b32_e32 v42, 0
	s_and_saveexec_b64 s[2:3], vcc
	s_cbranch_execz .LBB878_241
; %bb.236:
	s_movk_i32 s10, 0x80
	v_cmp_ne_u16_e32 vcc, s10, v30
	v_mov_b32_e32 v42, 0xffff8000
	s_and_saveexec_b64 s[10:11], vcc
	s_cbranch_execz .LBB878_240
; %bb.237:
	s_movk_i32 s12, 0x7f
	v_and_b32_e32 v52, 0x7f, v30
	v_cmp_ne_u32_e32 vcc, s12, v52
	v_mov_b32_e32 v42, 0x7f80
	s_and_saveexec_b64 s[12:13], vcc
	s_cbranch_execz .LBB878_239
; %bb.238:
	v_and_b32_e32 v42, 7, v30
	v_ffbh_u32_e32 v56, v42
	v_min_u32_e32 v59, 32, v56
	v_subrev_u32_e32 v56, 28, v59
	v_lshlrev_b64 v[56:57], v56, v[30:31]
	v_lshrrev_b32_e32 v58, 3, v52
	v_sub_u32_e32 v30, 29, v59
	v_and_b32_e32 v56, 7, v56
	v_cmp_gt_u32_e32 vcc, 8, v52
	v_cndmask_b32_e32 v30, v58, v30, vcc
	v_cndmask_b32_e32 v42, v42, v56, vcc
	v_lshlrev_b32_e32 v52, 16, v31
	v_bfrev_b32_e32 v56, 60
	v_lshlrev_b32_e32 v42, 20, v42
	v_and_b32_e32 v52, 0x80000000, v52
	v_lshl_add_u32 v30, v30, 23, v56
	v_or3_b32 v30, v52, v30, v42
	v_lshrrev_b32_e32 v42, 16, v30
.LBB878_239:
	s_or_b64 exec, exec, s[12:13]
.LBB878_240:
	s_or_b64 exec, exec, s[10:11]
.LBB878_241:
	s_or_b64 exec, exec, s[2:3]
	s_movk_i32 s2, 0xff
	v_and_b32_sdwa v52, v31, s2 dst_sel:DWORD dst_unused:UNUSED_PAD src0_sel:WORD_1 src1_sel:DWORD
	v_lshrrev_b32_e32 v30, 16, v31
	v_cmp_ne_u16_e32 vcc, 0, v52
	s_and_saveexec_b64 s[2:3], vcc
	s_cbranch_execz .LBB878_247
; %bb.242:
	s_movk_i32 s10, 0x80
	v_cmp_ne_u16_e32 vcc, s10, v52
	v_mov_b32_e32 v55, 0xffff8000
	s_and_saveexec_b64 s[10:11], vcc
	s_cbranch_execz .LBB878_246
; %bb.243:
	v_bfe_u32 v52, v31, 16, 7
	s_movk_i32 s12, 0x7f
	v_cmp_ne_u32_e32 vcc, s12, v52
	v_mov_b32_e32 v55, 0x7f80
	s_and_saveexec_b64 s[12:13], vcc
	s_cbranch_execz .LBB878_245
; %bb.244:
	v_and_b32_e32 v55, 7, v30
	v_ffbh_u32_e32 v56, v55
	v_min_u32_e32 v59, 32, v56
	v_subrev_u32_e32 v56, 28, v59
	v_lshlrev_b64 v[56:57], v56, v[30:31]
	v_and_b32_e32 v56, 7, v56
	v_cmp_gt_u32_e32 vcc, 8, v52
	v_lshrrev_b32_e32 v58, 3, v52
	v_sub_u32_e32 v30, 29, v59
	v_cndmask_b32_e32 v52, v55, v56, vcc
	v_mov_b32_e32 v55, 24
	v_cndmask_b32_e32 v30, v58, v30, vcc
	v_lshlrev_b32_sdwa v55, v55, v31 dst_sel:DWORD dst_unused:UNUSED_PAD src0_sel:DWORD src1_sel:WORD_1
	v_bfrev_b32_e32 v56, 60
	v_lshlrev_b32_e32 v52, 20, v52
	v_and_b32_e32 v55, 0x80000000, v55
	v_lshl_add_u32 v30, v30, 23, v56
	v_or3_b32 v30, v55, v30, v52
	v_lshrrev_b32_e32 v55, 16, v30
.LBB878_245:
	s_or_b64 exec, exec, s[12:13]
.LBB878_246:
	s_or_b64 exec, exec, s[10:11]
.LBB878_247:
	s_or_b64 exec, exec, s[2:3]
	s_mov_b32 s2, 0xffffff
	v_cmp_lt_u32_e32 vcc, s2, v31
	v_mov_b32_e32 v52, 0
	v_mov_b32_e32 v56, 0
	s_and_saveexec_b64 s[2:3], vcc
	s_cbranch_execz .LBB878_253
; %bb.248:
	v_lshrrev_b32_e32 v30, 24, v31
	s_movk_i32 s10, 0x80
	v_cmp_ne_u32_e32 vcc, s10, v30
	v_mov_b32_e32 v56, 0xffff8000
	s_and_saveexec_b64 s[10:11], vcc
	s_cbranch_execz .LBB878_252
; %bb.249:
	v_bfe_u32 v31, v31, 24, 7
	s_movk_i32 s12, 0x7f
	v_cmp_ne_u32_e32 vcc, s12, v31
	v_mov_b32_e32 v56, 0x7f80
	s_and_saveexec_b64 s[12:13], vcc
	s_cbranch_execz .LBB878_251
; %bb.250:
	v_and_b32_e32 v58, 7, v30
	v_ffbh_u32_e32 v56, v58
	v_min_u32_e32 v60, 32, v56
	v_subrev_u32_e32 v56, 28, v60
	v_lshlrev_b64 v[56:57], v56, v[30:31]
	v_lshrrev_b32_e32 v59, 3, v31
	v_sub_u32_e32 v57, 29, v60
	v_and_b32_e32 v56, 7, v56
	v_cmp_gt_u32_e32 vcc, 8, v31
	v_cndmask_b32_e32 v31, v59, v57, vcc
	v_cndmask_b32_e32 v56, v58, v56, vcc
	v_lshlrev_b32_e32 v30, 24, v30
	v_bfrev_b32_e32 v57, 60
	v_lshlrev_b32_e32 v56, 20, v56
	v_and_b32_e32 v30, 0x80000000, v30
	v_lshl_add_u32 v31, v31, 23, v57
	v_or3_b32 v30, v30, v31, v56
	v_lshrrev_b32_e32 v56, 16, v30
.LBB878_251:
	s_or_b64 exec, exec, s[12:13]
.LBB878_252:
	s_or_b64 exec, exec, s[10:11]
.LBB878_253:
	s_or_b64 exec, exec, s[2:3]
	s_mov_b32 s2, 0x5040100
	v_perm_b32 v31, v54, v44, s2
	v_perm_b32 v30, v43, v53, s2
	v_cmp_ne_u16_sdwa s[10:11], v32, v52 src0_sel:BYTE_0 src1_sel:DWORD
	s_nop 0
	v_mfma_f32_16x16x16bf16_1k v[58:61], v[30:31], v[26:27], 0
	v_perm_b32 v31, v56, v55, s2
	v_perm_b32 v30, v42, v45, s2
	s_nop 1
	v_mfma_f32_16x16x16bf16_1k v[42:45], v[30:31], v[28:29], v[58:61]
	s_and_saveexec_b64 s[2:3], s[10:11]
	s_cbranch_execz .LBB878_259
; %bb.254:
	s_movk_i32 s10, 0x80
	v_cmp_ne_u16_sdwa s[12:13], v32, s10 src0_sel:BYTE_0 src1_sel:DWORD
	v_mov_b32_e32 v52, 0xffff8000
	s_and_saveexec_b64 s[10:11], s[12:13]
	s_cbranch_execz .LBB878_258
; %bb.255:
	s_movk_i32 s12, 0x7f
	v_and_b32_e32 v30, 0x7f, v32
	v_cmp_ne_u32_e32 vcc, s12, v30
	v_mov_b32_e32 v52, 0x7f80
	s_and_saveexec_b64 s[12:13], vcc
	s_cbranch_execz .LBB878_257
; %bb.256:
	v_and_b32_e32 v31, 7, v32
	v_ffbh_u32_e32 v52, v31
	v_min_u32_e32 v55, 32, v52
	v_subrev_u32_e32 v52, 28, v55
	v_lshlrev_b64 v[52:53], v52, v[32:33]
	v_lshrrev_b32_e32 v54, 3, v30
	v_sub_u32_e32 v53, 29, v55
	v_and_b32_e32 v52, 7, v52
	v_cmp_gt_u32_e32 vcc, 8, v30
	v_cndmask_b32_e32 v30, v54, v53, vcc
	v_cndmask_b32_e32 v31, v31, v52, vcc
	v_lshlrev_b32_e32 v52, 24, v32
	v_bfrev_b32_e32 v53, 60
	v_lshlrev_b32_e32 v31, 20, v31
	v_and_b32_e32 v52, 0x80000000, v52
	v_lshl_add_u32 v30, v30, 23, v53
	v_or3_b32 v30, v52, v30, v31
	v_lshrrev_b32_e32 v52, 16, v30
.LBB878_257:
	s_or_b64 exec, exec, s[12:13]
.LBB878_258:
	s_or_b64 exec, exec, s[10:11]
.LBB878_259:
	s_or_b64 exec, exec, s[2:3]
	v_lshrrev_b16_e32 v30, 8, v32
	v_cmp_ne_u16_e32 vcc, 0, v30
	v_mov_b32_e32 v54, 0
	v_mov_b32_e32 v31, 0
	s_and_saveexec_b64 s[2:3], vcc
	s_cbranch_execz .LBB878_265
; %bb.260:
	s_movk_i32 s10, 0x80
	v_cmp_ne_u16_e32 vcc, s10, v30
	v_mov_b32_e32 v31, 0xffff8000
	s_and_saveexec_b64 s[10:11], vcc
	s_cbranch_execz .LBB878_264
; %bb.261:
	s_movk_i32 s12, 0x7f
	v_and_b32_e32 v53, 0x7f, v30
	v_cmp_ne_u32_e32 vcc, s12, v53
	v_mov_b32_e32 v31, 0x7f80
	s_and_saveexec_b64 s[12:13], vcc
	s_cbranch_execz .LBB878_263
; %bb.262:
	v_and_b32_e32 v55, 7, v30
	v_ffbh_u32_e32 v31, v55
	v_min_u32_e32 v57, 32, v31
	v_subrev_u32_e32 v31, 28, v57
	v_lshlrev_b64 v[30:31], v31, v[30:31]
	v_lshrrev_b32_e32 v56, 3, v53
	v_sub_u32_e32 v31, 29, v57
	v_and_b32_e32 v30, 7, v30
	v_cmp_gt_u32_e32 vcc, 8, v53
	v_cndmask_b32_e32 v31, v56, v31, vcc
	v_cndmask_b32_e32 v30, v55, v30, vcc
	v_lshlrev_b32_e32 v53, 16, v32
	v_bfrev_b32_e32 v55, 60
	v_lshlrev_b32_e32 v30, 20, v30
	v_and_b32_e32 v53, 0x80000000, v53
	v_lshl_add_u32 v31, v31, 23, v55
	v_or3_b32 v30, v53, v31, v30
	v_lshrrev_b32_e32 v31, 16, v30
.LBB878_263:
	s_or_b64 exec, exec, s[12:13]
.LBB878_264:
	s_or_b64 exec, exec, s[10:11]
.LBB878_265:
	s_or_b64 exec, exec, s[2:3]
	s_movk_i32 s2, 0xff
	v_and_b32_sdwa v53, v32, s2 dst_sel:DWORD dst_unused:UNUSED_PAD src0_sel:WORD_1 src1_sel:DWORD
	v_lshrrev_b32_e32 v30, 16, v32
	v_cmp_ne_u16_e32 vcc, 0, v53
	s_and_saveexec_b64 s[2:3], vcc
	s_cbranch_execz .LBB878_271
; %bb.266:
	s_movk_i32 s10, 0x80
	v_cmp_ne_u16_e32 vcc, s10, v53
	v_mov_b32_e32 v54, 0xffff8000
	s_and_saveexec_b64 s[10:11], vcc
	s_cbranch_execz .LBB878_270
; %bb.267:
	v_bfe_u32 v53, v32, 16, 7
	s_movk_i32 s12, 0x7f
	v_cmp_ne_u32_e32 vcc, s12, v53
	v_mov_b32_e32 v54, 0x7f80
	s_and_saveexec_b64 s[12:13], vcc
	s_cbranch_execz .LBB878_269
; %bb.268:
	v_and_b32_e32 v56, 7, v30
	v_ffbh_u32_e32 v54, v56
	v_min_u32_e32 v58, 32, v54
	v_subrev_u32_e32 v54, 28, v58
	v_lshlrev_b64 v[54:55], v54, v[30:31]
	v_and_b32_e32 v54, 7, v54
	v_cmp_gt_u32_e32 vcc, 8, v53
	v_lshrrev_b32_e32 v57, 3, v53
	v_sub_u32_e32 v30, 29, v58
	v_cndmask_b32_e32 v53, v56, v54, vcc
	v_mov_b32_e32 v54, 24
	v_cndmask_b32_e32 v30, v57, v30, vcc
	v_lshlrev_b32_sdwa v54, v54, v32 dst_sel:DWORD dst_unused:UNUSED_PAD src0_sel:DWORD src1_sel:WORD_1
	v_bfrev_b32_e32 v55, 60
	v_lshlrev_b32_e32 v53, 20, v53
	v_and_b32_e32 v54, 0x80000000, v54
	v_lshl_add_u32 v30, v30, 23, v55
	v_or3_b32 v30, v54, v30, v53
	v_lshrrev_b32_e32 v54, 16, v30
.LBB878_269:
	s_or_b64 exec, exec, s[12:13]
.LBB878_270:
	s_or_b64 exec, exec, s[10:11]
.LBB878_271:
	s_or_b64 exec, exec, s[2:3]
	s_mov_b32 s2, 0xffffff
	v_cmp_lt_u32_e32 vcc, s2, v32
	v_mov_b32_e32 v55, 0
	v_mov_b32_e32 v56, 0
	s_and_saveexec_b64 s[2:3], vcc
	s_cbranch_execz .LBB878_277
; %bb.272:
	v_lshrrev_b32_e32 v30, 24, v32
	s_movk_i32 s10, 0x80
	v_cmp_ne_u32_e32 vcc, s10, v30
	v_mov_b32_e32 v56, 0xffff8000
	s_and_saveexec_b64 s[10:11], vcc
	s_cbranch_execz .LBB878_276
; %bb.273:
	v_bfe_u32 v32, v32, 24, 7
	s_movk_i32 s12, 0x7f
	v_cmp_ne_u32_e32 vcc, s12, v32
	v_mov_b32_e32 v56, 0x7f80
	s_and_saveexec_b64 s[12:13], vcc
	s_cbranch_execz .LBB878_275
; %bb.274:
	v_and_b32_e32 v53, 7, v30
	v_ffbh_u32_e32 v56, v53
	v_min_u32_e32 v59, 32, v56
	v_subrev_u32_e32 v56, 28, v59
	v_lshlrev_b64 v[56:57], v56, v[30:31]
	v_lshrrev_b32_e32 v58, 3, v32
	v_sub_u32_e32 v57, 29, v59
	v_and_b32_e32 v56, 7, v56
	v_cmp_gt_u32_e32 vcc, 8, v32
	v_cndmask_b32_e32 v32, v58, v57, vcc
	v_cndmask_b32_e32 v53, v53, v56, vcc
	v_lshlrev_b32_e32 v30, 24, v30
	v_bfrev_b32_e32 v56, 60
	v_lshlrev_b32_e32 v53, 20, v53
	v_and_b32_e32 v30, 0x80000000, v30
	v_lshl_add_u32 v32, v32, 23, v56
	v_or3_b32 v30, v30, v32, v53
	v_lshrrev_b32_e32 v56, 16, v30
.LBB878_275:
	s_or_b64 exec, exec, s[12:13]
.LBB878_276:
	s_or_b64 exec, exec, s[10:11]
.LBB878_277:
	s_or_b64 exec, exec, s[2:3]
	v_cmp_ne_u16_sdwa s[10:11], v33, v55 src0_sel:BYTE_0 src1_sel:DWORD
	s_and_saveexec_b64 s[2:3], s[10:11]
	s_cbranch_execz .LBB878_283
; %bb.278:
	s_movk_i32 s10, 0x80
	v_cmp_ne_u16_sdwa s[12:13], v33, s10 src0_sel:BYTE_0 src1_sel:DWORD
	v_mov_b32_e32 v55, 0xffff8000
	s_and_saveexec_b64 s[10:11], s[12:13]
	s_cbranch_execz .LBB878_282
; %bb.279:
	s_movk_i32 s12, 0x7f
	v_and_b32_e32 v30, 0x7f, v33
	v_cmp_ne_u32_e32 vcc, s12, v30
	v_mov_b32_e32 v55, 0x7f80
	s_and_saveexec_b64 s[12:13], vcc
	s_cbranch_execz .LBB878_281
; %bb.280:
	v_and_b32_e32 v53, 7, v33
	v_ffbh_u32_e32 v57, v53
	v_min_u32_e32 v57, 32, v57
	v_mov_b32_e32 v32, v33
	v_subrev_u32_e32 v58, 28, v57
	v_lshlrev_b64 v[58:59], v58, v[32:33]
	v_lshrrev_b32_e32 v55, 3, v30
	v_sub_u32_e32 v32, 29, v57
	v_and_b32_e32 v57, 7, v58
	v_cmp_gt_u32_e32 vcc, 8, v30
	v_cndmask_b32_e32 v30, v55, v32, vcc
	v_cndmask_b32_e32 v32, v53, v57, vcc
	v_lshlrev_b32_e32 v53, 24, v33
	v_bfrev_b32_e32 v55, 60
	v_lshlrev_b32_e32 v32, 20, v32
	v_and_b32_e32 v53, 0x80000000, v53
	v_lshl_add_u32 v30, v30, 23, v55
	v_or3_b32 v30, v53, v30, v32
	v_lshrrev_b32_e32 v55, 16, v30
.LBB878_281:
	s_or_b64 exec, exec, s[12:13]
.LBB878_282:
	s_or_b64 exec, exec, s[10:11]
.LBB878_283:
	s_or_b64 exec, exec, s[2:3]
	v_lshrrev_b16_e32 v30, 8, v33
	v_cmp_ne_u16_e32 vcc, 0, v30
	v_mov_b32_e32 v57, 0
	v_mov_b32_e32 v32, 0
	s_and_saveexec_b64 s[2:3], vcc
	s_cbranch_execz .LBB878_289
; %bb.284:
	s_movk_i32 s10, 0x80
	v_cmp_ne_u16_e32 vcc, s10, v30
	v_mov_b32_e32 v32, 0xffff8000
	s_and_saveexec_b64 s[10:11], vcc
	s_cbranch_execz .LBB878_288
; %bb.285:
	s_movk_i32 s12, 0x7f
	v_and_b32_e32 v53, 0x7f, v30
	v_cmp_ne_u32_e32 vcc, s12, v53
	v_mov_b32_e32 v32, 0x7f80
	s_and_saveexec_b64 s[12:13], vcc
	s_cbranch_execz .LBB878_287
; %bb.286:
	v_and_b32_e32 v32, 7, v30
	v_ffbh_u32_e32 v58, v32
	v_min_u32_e32 v61, 32, v58
	v_subrev_u32_e32 v58, 28, v61
	v_lshlrev_b64 v[58:59], v58, v[30:31]
	v_lshrrev_b32_e32 v60, 3, v53
	v_sub_u32_e32 v30, 29, v61
	v_and_b32_e32 v58, 7, v58
	v_cmp_gt_u32_e32 vcc, 8, v53
	v_cndmask_b32_e32 v30, v60, v30, vcc
	v_cndmask_b32_e32 v32, v32, v58, vcc
	v_lshlrev_b32_e32 v53, 16, v33
	v_bfrev_b32_e32 v58, 60
	v_lshlrev_b32_e32 v32, 20, v32
	v_and_b32_e32 v53, 0x80000000, v53
	v_lshl_add_u32 v30, v30, 23, v58
	v_or3_b32 v30, v53, v30, v32
	v_lshrrev_b32_e32 v32, 16, v30
.LBB878_287:
	s_or_b64 exec, exec, s[12:13]
.LBB878_288:
	s_or_b64 exec, exec, s[10:11]
.LBB878_289:
	s_or_b64 exec, exec, s[2:3]
	s_movk_i32 s2, 0xff
	v_and_b32_sdwa v53, v33, s2 dst_sel:DWORD dst_unused:UNUSED_PAD src0_sel:WORD_1 src1_sel:DWORD
	v_lshrrev_b32_e32 v30, 16, v33
	v_cmp_ne_u16_e32 vcc, 0, v53
	s_and_saveexec_b64 s[2:3], vcc
	s_cbranch_execz .LBB878_295
; %bb.290:
	s_movk_i32 s10, 0x80
	v_cmp_ne_u16_e32 vcc, s10, v53
	v_mov_b32_e32 v57, 0xffff8000
	s_and_saveexec_b64 s[10:11], vcc
	s_cbranch_execz .LBB878_294
; %bb.291:
	v_bfe_u32 v53, v33, 16, 7
	s_movk_i32 s12, 0x7f
	v_cmp_ne_u32_e32 vcc, s12, v53
	v_mov_b32_e32 v57, 0x7f80
	s_and_saveexec_b64 s[12:13], vcc
	s_cbranch_execz .LBB878_293
; %bb.292:
	v_and_b32_e32 v57, 7, v30
	v_ffbh_u32_e32 v58, v57
	v_min_u32_e32 v61, 32, v58
	v_subrev_u32_e32 v58, 28, v61
	v_lshlrev_b64 v[58:59], v58, v[30:31]
	v_and_b32_e32 v58, 7, v58
	v_cmp_gt_u32_e32 vcc, 8, v53
	v_lshrrev_b32_e32 v60, 3, v53
	v_sub_u32_e32 v30, 29, v61
	v_cndmask_b32_e32 v53, v57, v58, vcc
	v_mov_b32_e32 v57, 24
	v_cndmask_b32_e32 v30, v60, v30, vcc
	v_lshlrev_b32_sdwa v57, v57, v33 dst_sel:DWORD dst_unused:UNUSED_PAD src0_sel:DWORD src1_sel:WORD_1
	v_bfrev_b32_e32 v58, 60
	v_lshlrev_b32_e32 v53, 20, v53
	v_and_b32_e32 v57, 0x80000000, v57
	v_lshl_add_u32 v30, v30, 23, v58
	v_or3_b32 v30, v57, v30, v53
	v_lshrrev_b32_e32 v57, 16, v30
.LBB878_293:
	s_or_b64 exec, exec, s[12:13]
.LBB878_294:
	s_or_b64 exec, exec, s[10:11]
.LBB878_295:
	s_or_b64 exec, exec, s[2:3]
	s_mov_b32 s2, 0xffffff
	v_cmp_lt_u32_e32 vcc, s2, v33
	v_mov_b32_e32 v53, 0
	v_mov_b32_e32 v58, 0
	s_and_saveexec_b64 s[2:3], vcc
	s_cbranch_execz .LBB878_301
; %bb.296:
	v_lshrrev_b32_e32 v30, 24, v33
	s_movk_i32 s10, 0x80
	v_cmp_ne_u32_e32 vcc, s10, v30
	v_mov_b32_e32 v58, 0xffff8000
	s_and_saveexec_b64 s[10:11], vcc
	s_cbranch_execz .LBB878_300
; %bb.297:
	v_bfe_u32 v33, v33, 24, 7
	s_movk_i32 s12, 0x7f
	v_cmp_ne_u32_e32 vcc, s12, v33
	v_mov_b32_e32 v58, 0x7f80
	s_and_saveexec_b64 s[12:13], vcc
	s_cbranch_execz .LBB878_299
; %bb.298:
	v_and_b32_e32 v60, 7, v30
	v_ffbh_u32_e32 v58, v60
	v_min_u32_e32 v62, 32, v58
	v_subrev_u32_e32 v58, 28, v62
	v_lshlrev_b64 v[58:59], v58, v[30:31]
	v_lshrrev_b32_e32 v61, 3, v33
	v_sub_u32_e32 v59, 29, v62
	v_and_b32_e32 v58, 7, v58
	v_cmp_gt_u32_e32 vcc, 8, v33
	v_cndmask_b32_e32 v33, v61, v59, vcc
	v_cndmask_b32_e32 v58, v60, v58, vcc
	v_lshlrev_b32_e32 v30, 24, v30
	v_bfrev_b32_e32 v59, 60
	v_lshlrev_b32_e32 v58, 20, v58
	v_and_b32_e32 v30, 0x80000000, v30
	v_lshl_add_u32 v33, v33, 23, v59
	v_or3_b32 v30, v30, v33, v58
	v_lshrrev_b32_e32 v58, 16, v30
.LBB878_299:
	s_or_b64 exec, exec, s[12:13]
.LBB878_300:
	s_or_b64 exec, exec, s[10:11]
.LBB878_301:
	s_or_b64 exec, exec, s[2:3]
	s_mov_b32 s2, 0x5040100
	v_perm_b32 v61, v56, v54, s2
	v_perm_b32 v60, v31, v52, s2
	;; [unrolled: 1-line block ×4, first 2 shown]
	v_cmp_ne_u16_sdwa s[10:11], v22, v53 src0_sel:BYTE_0 src1_sel:DWORD
	v_mfma_f32_16x16x16bf16_1k v[42:45], v[60:61], v[18:19], v[42:45]
	v_mfma_f32_16x16x16bf16_1k v[30:33], v[30:31], v[20:21], v[42:45]
	s_and_saveexec_b64 s[2:3], s[10:11]
	s_cbranch_execz .LBB878_307
; %bb.302:
	s_movk_i32 s10, 0x80
	v_cmp_ne_u16_sdwa s[12:13], v22, s10 src0_sel:BYTE_0 src1_sel:DWORD
	v_mov_b32_e32 v53, 0xffff8000
	s_and_saveexec_b64 s[10:11], s[12:13]
	s_cbranch_execz .LBB878_306
; %bb.303:
	s_movk_i32 s12, 0x7f
	s_nop 1
	v_and_b32_e32 v42, 0x7f, v22
	v_cmp_ne_u32_e32 vcc, s12, v42
	v_mov_b32_e32 v53, 0x7f80
	s_and_saveexec_b64 s[12:13], vcc
	s_cbranch_execz .LBB878_305
; %bb.304:
	v_and_b32_e32 v43, 7, v22
	v_ffbh_u32_e32 v44, v43
	v_min_u32_e32 v53, 32, v44
	v_subrev_u32_e32 v44, 28, v53
	v_lshlrev_b64 v[44:45], v44, v[22:23]
	v_lshrrev_b32_e32 v52, 3, v42
	v_sub_u32_e32 v45, 29, v53
	v_and_b32_e32 v44, 7, v44
	v_cmp_gt_u32_e32 vcc, 8, v42
	v_cndmask_b32_e32 v42, v52, v45, vcc
	v_cndmask_b32_e32 v43, v43, v44, vcc
	v_lshlrev_b32_e32 v44, 24, v22
	v_bfrev_b32_e32 v45, 60
	v_lshlrev_b32_e32 v43, 20, v43
	v_and_b32_e32 v44, 0x80000000, v44
	v_lshl_add_u32 v42, v42, 23, v45
	v_or3_b32 v42, v44, v42, v43
	v_lshrrev_b32_e32 v53, 16, v42
.LBB878_305:
	s_or_b64 exec, exec, s[12:13]
.LBB878_306:
	s_or_b64 exec, exec, s[10:11]
.LBB878_307:
	s_or_b64 exec, exec, s[2:3]
	s_nop 6
	v_lshrrev_b16_e32 v42, 8, v22
	v_cmp_ne_u16_e32 vcc, 0, v42
	v_mov_b32_e32 v44, 0
	v_mov_b32_e32 v43, 0
	s_and_saveexec_b64 s[2:3], vcc
	s_cbranch_execz .LBB878_313
; %bb.308:
	s_movk_i32 s10, 0x80
	v_cmp_ne_u16_e32 vcc, s10, v42
	v_mov_b32_e32 v43, 0xffff8000
	s_and_saveexec_b64 s[10:11], vcc
	s_cbranch_execz .LBB878_312
; %bb.309:
	s_movk_i32 s12, 0x7f
	v_and_b32_e32 v45, 0x7f, v42
	v_cmp_ne_u32_e32 vcc, s12, v45
	v_mov_b32_e32 v43, 0x7f80
	s_and_saveexec_b64 s[12:13], vcc
	s_cbranch_execz .LBB878_311
; %bb.310:
	v_and_b32_e32 v52, 7, v42
	v_ffbh_u32_e32 v43, v52
	v_min_u32_e32 v55, 32, v43
	v_subrev_u32_e32 v43, 28, v55
	v_lshlrev_b64 v[42:43], v43, v[42:43]
	v_lshrrev_b32_e32 v54, 3, v45
	v_sub_u32_e32 v43, 29, v55
	v_and_b32_e32 v42, 7, v42
	v_cmp_gt_u32_e32 vcc, 8, v45
	v_cndmask_b32_e32 v43, v54, v43, vcc
	v_cndmask_b32_e32 v42, v52, v42, vcc
	v_lshlrev_b32_e32 v45, 16, v22
	v_bfrev_b32_e32 v52, 60
	v_lshlrev_b32_e32 v42, 20, v42
	v_and_b32_e32 v45, 0x80000000, v45
	v_lshl_add_u32 v43, v43, 23, v52
	v_or3_b32 v42, v45, v43, v42
	v_lshrrev_b32_e32 v43, 16, v42
.LBB878_311:
	s_or_b64 exec, exec, s[12:13]
.LBB878_312:
	s_or_b64 exec, exec, s[10:11]
.LBB878_313:
	s_or_b64 exec, exec, s[2:3]
	s_movk_i32 s2, 0xff
	v_and_b32_sdwa v45, v22, s2 dst_sel:DWORD dst_unused:UNUSED_PAD src0_sel:WORD_1 src1_sel:DWORD
	v_lshrrev_b32_e32 v42, 16, v22
	v_cmp_ne_u16_e32 vcc, 0, v45
	s_and_saveexec_b64 s[2:3], vcc
	s_cbranch_execz .LBB878_319
; %bb.314:
	s_movk_i32 s10, 0x80
	v_cmp_ne_u16_e32 vcc, s10, v45
	v_mov_b32_e32 v44, 0xffff8000
	s_and_saveexec_b64 s[10:11], vcc
	s_cbranch_execz .LBB878_318
; %bb.315:
	v_bfe_u32 v45, v22, 16, 7
	s_movk_i32 s12, 0x7f
	v_cmp_ne_u32_e32 vcc, s12, v45
	v_mov_b32_e32 v44, 0x7f80
	s_and_saveexec_b64 s[12:13], vcc
	s_cbranch_execz .LBB878_317
; %bb.316:
	v_and_b32_e32 v44, 7, v42
	v_ffbh_u32_e32 v54, v44
	v_min_u32_e32 v56, 32, v54
	v_subrev_u32_e32 v54, 28, v56
	v_lshlrev_b64 v[54:55], v54, v[42:43]
	v_lshrrev_b32_e32 v52, 3, v45
	v_sub_u32_e32 v42, 29, v56
	v_and_b32_e32 v54, 7, v54
	v_cmp_gt_u32_e32 vcc, 8, v45
	v_mov_b32_e32 v45, 24
	v_cndmask_b32_e32 v42, v52, v42, vcc
	v_cndmask_b32_e32 v44, v44, v54, vcc
	v_lshlrev_b32_sdwa v45, v45, v22 dst_sel:DWORD dst_unused:UNUSED_PAD src0_sel:DWORD src1_sel:WORD_1
	v_bfrev_b32_e32 v52, 60
	v_lshlrev_b32_e32 v44, 20, v44
	v_and_b32_e32 v45, 0x80000000, v45
	v_lshl_add_u32 v42, v42, 23, v52
	v_or3_b32 v42, v45, v42, v44
	v_lshrrev_b32_e32 v44, 16, v42
.LBB878_317:
	s_or_b64 exec, exec, s[12:13]
.LBB878_318:
	s_or_b64 exec, exec, s[10:11]
.LBB878_319:
	s_or_b64 exec, exec, s[2:3]
	s_mov_b32 s2, 0xffffff
	v_cmp_lt_u32_e32 vcc, s2, v22
	v_mov_b32_e32 v45, 0
	v_mov_b32_e32 v52, 0
	s_and_saveexec_b64 s[2:3], vcc
	s_cbranch_execz .LBB878_325
; %bb.320:
	v_lshrrev_b32_e32 v42, 24, v22
	s_movk_i32 s10, 0x80
	v_cmp_ne_u32_e32 vcc, s10, v42
	v_mov_b32_e32 v52, 0xffff8000
	s_and_saveexec_b64 s[10:11], vcc
	s_cbranch_execz .LBB878_324
; %bb.321:
	v_bfe_u32 v22, v22, 24, 7
	s_movk_i32 s12, 0x7f
	v_cmp_ne_u32_e32 vcc, s12, v22
	v_mov_b32_e32 v52, 0x7f80
	s_and_saveexec_b64 s[12:13], vcc
	s_cbranch_execz .LBB878_323
; %bb.322:
	v_and_b32_e32 v52, 7, v42
	v_ffbh_u32_e32 v54, v52
	v_min_u32_e32 v57, 32, v54
	v_subrev_u32_e32 v54, 28, v57
	v_lshlrev_b64 v[54:55], v54, v[42:43]
	v_lshrrev_b32_e32 v56, 3, v22
	v_sub_u32_e32 v55, 29, v57
	v_and_b32_e32 v54, 7, v54
	v_cmp_gt_u32_e32 vcc, 8, v22
	v_cndmask_b32_e32 v22, v56, v55, vcc
	v_cndmask_b32_e32 v52, v52, v54, vcc
	v_lshlrev_b32_e32 v42, 24, v42
	v_bfrev_b32_e32 v54, 60
	v_lshlrev_b32_e32 v52, 20, v52
	v_and_b32_e32 v42, 0x80000000, v42
	v_lshl_add_u32 v22, v22, 23, v54
	v_or3_b32 v22, v42, v22, v52
	v_lshrrev_b32_e32 v52, 16, v22
.LBB878_323:
	s_or_b64 exec, exec, s[12:13]
.LBB878_324:
	s_or_b64 exec, exec, s[10:11]
.LBB878_325:
	s_or_b64 exec, exec, s[2:3]
	v_cmp_ne_u16_sdwa s[10:11], v23, v45 src0_sel:BYTE_0 src1_sel:DWORD
	s_and_saveexec_b64 s[2:3], s[10:11]
	s_cbranch_execz .LBB878_331
; %bb.326:
	s_movk_i32 s10, 0x80
	v_cmp_ne_u16_sdwa s[12:13], v23, s10 src0_sel:BYTE_0 src1_sel:DWORD
	v_mov_b32_e32 v45, 0xffff8000
	s_and_saveexec_b64 s[10:11], s[12:13]
	s_cbranch_execz .LBB878_330
; %bb.327:
	s_movk_i32 s12, 0x7f
	v_and_b32_e32 v22, 0x7f, v23
	v_cmp_ne_u32_e32 vcc, s12, v22
	v_mov_b32_e32 v45, 0x7f80
	s_and_saveexec_b64 s[12:13], vcc
	s_cbranch_execz .LBB878_329
; %bb.328:
	v_and_b32_e32 v45, 7, v23
	v_ffbh_u32_e32 v54, v45
	v_min_u32_e32 v57, 32, v54
	v_mov_b32_e32 v42, v23
	v_subrev_u32_e32 v54, 28, v57
	v_lshlrev_b64 v[54:55], v54, v[42:43]
	v_lshrrev_b32_e32 v56, 3, v22
	v_sub_u32_e32 v42, 29, v57
	v_and_b32_e32 v54, 7, v54
	v_cmp_gt_u32_e32 vcc, 8, v22
	v_cndmask_b32_e32 v22, v56, v42, vcc
	v_cndmask_b32_e32 v42, v45, v54, vcc
	v_lshlrev_b32_e32 v45, 24, v23
	v_bfrev_b32_e32 v54, 60
	v_lshlrev_b32_e32 v42, 20, v42
	v_and_b32_e32 v45, 0x80000000, v45
	v_lshl_add_u32 v22, v22, 23, v54
	v_or3_b32 v22, v45, v22, v42
	v_lshrrev_b32_e32 v45, 16, v22
.LBB878_329:
	s_or_b64 exec, exec, s[12:13]
.LBB878_330:
	s_or_b64 exec, exec, s[10:11]
.LBB878_331:
	s_or_b64 exec, exec, s[2:3]
	v_lshrrev_b16_e32 v22, 8, v23
	v_cmp_ne_u16_e32 vcc, 0, v22
	v_mov_b32_e32 v55, 0
	v_mov_b32_e32 v54, 0
	s_and_saveexec_b64 s[2:3], vcc
	s_cbranch_execz .LBB878_337
; %bb.332:
	s_movk_i32 s10, 0x80
	v_cmp_ne_u16_e32 vcc, s10, v22
	v_mov_b32_e32 v54, 0xffff8000
	s_and_saveexec_b64 s[10:11], vcc
	s_cbranch_execz .LBB878_336
; %bb.333:
	s_movk_i32 s12, 0x7f
	v_and_b32_e32 v42, 0x7f, v22
	v_cmp_ne_u32_e32 vcc, s12, v42
	v_mov_b32_e32 v54, 0x7f80
	s_and_saveexec_b64 s[12:13], vcc
	s_cbranch_execz .LBB878_335
; %bb.334:
	v_and_b32_e32 v54, 7, v22
	v_ffbh_u32_e32 v56, v54
	v_min_u32_e32 v59, 32, v56
	v_subrev_u32_e32 v56, 28, v59
	v_lshlrev_b64 v[56:57], v56, v[22:23]
	v_lshrrev_b32_e32 v58, 3, v42
	v_sub_u32_e32 v22, 29, v59
	v_and_b32_e32 v56, 7, v56
	v_cmp_gt_u32_e32 vcc, 8, v42
	v_cndmask_b32_e32 v22, v58, v22, vcc
	v_cndmask_b32_e32 v42, v54, v56, vcc
	v_lshlrev_b32_e32 v54, 16, v23
	v_bfrev_b32_e32 v56, 60
	v_lshlrev_b32_e32 v42, 20, v42
	v_and_b32_e32 v54, 0x80000000, v54
	v_lshl_add_u32 v22, v22, 23, v56
	v_or3_b32 v22, v54, v22, v42
	v_lshrrev_b32_e32 v54, 16, v22
.LBB878_335:
	s_or_b64 exec, exec, s[12:13]
.LBB878_336:
	s_or_b64 exec, exec, s[10:11]
.LBB878_337:
	s_or_b64 exec, exec, s[2:3]
	s_movk_i32 s2, 0xff
	v_and_b32_sdwa v42, v23, s2 dst_sel:DWORD dst_unused:UNUSED_PAD src0_sel:WORD_1 src1_sel:DWORD
	v_lshrrev_b32_e32 v22, 16, v23
	v_cmp_ne_u16_e32 vcc, 0, v42
	s_and_saveexec_b64 s[2:3], vcc
	s_cbranch_execz .LBB878_343
; %bb.338:
	s_movk_i32 s10, 0x80
	v_cmp_ne_u16_e32 vcc, s10, v42
	v_mov_b32_e32 v55, 0xffff8000
	s_and_saveexec_b64 s[10:11], vcc
	s_cbranch_execz .LBB878_342
; %bb.339:
	v_bfe_u32 v42, v23, 16, 7
	s_movk_i32 s12, 0x7f
	v_cmp_ne_u32_e32 vcc, s12, v42
	v_mov_b32_e32 v55, 0x7f80
	s_and_saveexec_b64 s[12:13], vcc
	s_cbranch_execz .LBB878_341
; %bb.340:
	v_and_b32_e32 v55, 7, v22
	v_ffbh_u32_e32 v56, v55
	v_min_u32_e32 v59, 32, v56
	v_subrev_u32_e32 v56, 28, v59
	v_lshlrev_b64 v[56:57], v56, v[22:23]
	v_and_b32_e32 v56, 7, v56
	v_cmp_gt_u32_e32 vcc, 8, v42
	v_lshrrev_b32_e32 v58, 3, v42
	v_sub_u32_e32 v22, 29, v59
	v_cndmask_b32_e32 v42, v55, v56, vcc
	v_mov_b32_e32 v55, 24
	v_cndmask_b32_e32 v22, v58, v22, vcc
	v_lshlrev_b32_sdwa v55, v55, v23 dst_sel:DWORD dst_unused:UNUSED_PAD src0_sel:DWORD src1_sel:WORD_1
	v_bfrev_b32_e32 v56, 60
	v_lshlrev_b32_e32 v42, 20, v42
	v_and_b32_e32 v55, 0x80000000, v55
	v_lshl_add_u32 v22, v22, 23, v56
	v_or3_b32 v22, v55, v22, v42
	v_lshrrev_b32_e32 v55, 16, v22
.LBB878_341:
	s_or_b64 exec, exec, s[12:13]
.LBB878_342:
	s_or_b64 exec, exec, s[10:11]
.LBB878_343:
	s_or_b64 exec, exec, s[2:3]
	s_mov_b32 s2, 0xffffff
	v_cmp_lt_u32_e32 vcc, s2, v23
	v_mov_b32_e32 v42, 0
	v_mov_b32_e32 v56, 0
	s_and_saveexec_b64 s[2:3], vcc
	s_cbranch_execz .LBB878_349
; %bb.344:
	v_lshrrev_b32_e32 v22, 24, v23
	s_movk_i32 s10, 0x80
	v_cmp_ne_u32_e32 vcc, s10, v22
	v_mov_b32_e32 v56, 0xffff8000
	s_and_saveexec_b64 s[10:11], vcc
	s_cbranch_execz .LBB878_348
; %bb.345:
	v_bfe_u32 v23, v23, 24, 7
	s_movk_i32 s12, 0x7f
	v_cmp_ne_u32_e32 vcc, s12, v23
	v_mov_b32_e32 v56, 0x7f80
	s_and_saveexec_b64 s[12:13], vcc
	s_cbranch_execz .LBB878_347
; %bb.346:
	v_and_b32_e32 v58, 7, v22
	v_ffbh_u32_e32 v56, v58
	v_min_u32_e32 v60, 32, v56
	v_subrev_u32_e32 v56, 28, v60
	v_lshlrev_b64 v[56:57], v56, v[22:23]
	v_lshrrev_b32_e32 v59, 3, v23
	v_sub_u32_e32 v57, 29, v60
	v_and_b32_e32 v56, 7, v56
	v_cmp_gt_u32_e32 vcc, 8, v23
	v_cndmask_b32_e32 v23, v59, v57, vcc
	v_cndmask_b32_e32 v56, v58, v56, vcc
	v_lshlrev_b32_e32 v22, 24, v22
	v_bfrev_b32_e32 v57, 60
	v_lshlrev_b32_e32 v56, 20, v56
	v_and_b32_e32 v22, 0x80000000, v22
	v_lshl_add_u32 v23, v23, 23, v57
	v_or3_b32 v22, v22, v23, v56
	v_lshrrev_b32_e32 v56, 16, v22
.LBB878_347:
	s_or_b64 exec, exec, s[12:13]
.LBB878_348:
	s_or_b64 exec, exec, s[10:11]
.LBB878_349:
	s_or_b64 exec, exec, s[2:3]
	s_mov_b32 s2, 0x5040100
	v_perm_b32 v23, v52, v44, s2
	v_perm_b32 v22, v43, v53, s2
	v_cmp_ne_u16_sdwa s[10:11], v24, v42 src0_sel:BYTE_0 src1_sel:DWORD
	s_nop 0
	v_mfma_f32_16x16x16bf16_1k v[58:61], v[22:23], v[26:27], 0
	v_perm_b32 v23, v56, v55, s2
	v_perm_b32 v22, v54, v45, s2
	s_nop 1
	v_mfma_f32_16x16x16bf16_1k v[26:29], v[22:23], v[28:29], v[58:61]
	s_and_saveexec_b64 s[2:3], s[10:11]
	s_cbranch_execz .LBB878_355
; %bb.350:
	s_movk_i32 s10, 0x80
	v_cmp_ne_u16_sdwa s[12:13], v24, s10 src0_sel:BYTE_0 src1_sel:DWORD
	v_mov_b32_e32 v42, 0xffff8000
	s_and_saveexec_b64 s[10:11], s[12:13]
	s_cbranch_execz .LBB878_354
; %bb.351:
	s_movk_i32 s12, 0x7f
	v_and_b32_e32 v22, 0x7f, v24
	v_cmp_ne_u32_e32 vcc, s12, v22
	v_mov_b32_e32 v42, 0x7f80
	s_and_saveexec_b64 s[12:13], vcc
	s_cbranch_execz .LBB878_353
; %bb.352:
	v_and_b32_e32 v23, 7, v24
	v_ffbh_u32_e32 v42, v23
	v_min_u32_e32 v45, 32, v42
	v_subrev_u32_e32 v42, 28, v45
	v_lshlrev_b64 v[42:43], v42, v[24:25]
	v_lshrrev_b32_e32 v44, 3, v22
	v_sub_u32_e32 v43, 29, v45
	v_and_b32_e32 v42, 7, v42
	v_cmp_gt_u32_e32 vcc, 8, v22
	v_cndmask_b32_e32 v22, v44, v43, vcc
	v_cndmask_b32_e32 v23, v23, v42, vcc
	v_lshlrev_b32_e32 v42, 24, v24
	v_bfrev_b32_e32 v43, 60
	v_lshlrev_b32_e32 v23, 20, v23
	v_and_b32_e32 v42, 0x80000000, v42
	v_lshl_add_u32 v22, v22, 23, v43
	v_or3_b32 v22, v42, v22, v23
	v_lshrrev_b32_e32 v42, 16, v22
.LBB878_353:
	s_or_b64 exec, exec, s[12:13]
.LBB878_354:
	s_or_b64 exec, exec, s[10:11]
.LBB878_355:
	s_or_b64 exec, exec, s[2:3]
	v_lshrrev_b16_e32 v22, 8, v24
	v_cmp_ne_u16_e32 vcc, 0, v22
	v_mov_b32_e32 v43, 0
	v_mov_b32_e32 v23, 0
	s_and_saveexec_b64 s[2:3], vcc
	s_cbranch_execz .LBB878_361
; %bb.356:
	s_movk_i32 s10, 0x80
	v_cmp_ne_u16_e32 vcc, s10, v22
	v_mov_b32_e32 v23, 0xffff8000
	s_and_saveexec_b64 s[10:11], vcc
	s_cbranch_execz .LBB878_360
; %bb.357:
	s_movk_i32 s12, 0x7f
	v_and_b32_e32 v44, 0x7f, v22
	v_cmp_ne_u32_e32 vcc, s12, v44
	v_mov_b32_e32 v23, 0x7f80
	s_and_saveexec_b64 s[12:13], vcc
	s_cbranch_execz .LBB878_359
; %bb.358:
	v_and_b32_e32 v45, 7, v22
	v_ffbh_u32_e32 v23, v45
	v_min_u32_e32 v53, 32, v23
	v_subrev_u32_e32 v23, 28, v53
	v_lshlrev_b64 v[22:23], v23, v[22:23]
	v_lshrrev_b32_e32 v52, 3, v44
	v_sub_u32_e32 v23, 29, v53
	v_and_b32_e32 v22, 7, v22
	v_cmp_gt_u32_e32 vcc, 8, v44
	v_cndmask_b32_e32 v23, v52, v23, vcc
	v_cndmask_b32_e32 v22, v45, v22, vcc
	v_lshlrev_b32_e32 v44, 16, v24
	v_bfrev_b32_e32 v45, 60
	v_lshlrev_b32_e32 v22, 20, v22
	v_and_b32_e32 v44, 0x80000000, v44
	v_lshl_add_u32 v23, v23, 23, v45
	v_or3_b32 v22, v44, v23, v22
	v_lshrrev_b32_e32 v23, 16, v22
.LBB878_359:
	s_or_b64 exec, exec, s[12:13]
.LBB878_360:
	s_or_b64 exec, exec, s[10:11]
.LBB878_361:
	s_or_b64 exec, exec, s[2:3]
	s_movk_i32 s2, 0xff
	v_and_b32_sdwa v44, v24, s2 dst_sel:DWORD dst_unused:UNUSED_PAD src0_sel:WORD_1 src1_sel:DWORD
	v_lshrrev_b32_e32 v22, 16, v24
	v_cmp_ne_u16_e32 vcc, 0, v44
	s_and_saveexec_b64 s[2:3], vcc
	s_cbranch_execz .LBB878_367
; %bb.362:
	s_movk_i32 s10, 0x80
	v_cmp_ne_u16_e32 vcc, s10, v44
	v_mov_b32_e32 v43, 0xffff8000
	s_and_saveexec_b64 s[10:11], vcc
	s_cbranch_execz .LBB878_366
; %bb.363:
	v_bfe_u32 v44, v24, 16, 7
	s_movk_i32 s12, 0x7f
	v_cmp_ne_u32_e32 vcc, s12, v44
	v_mov_b32_e32 v43, 0x7f80
	s_and_saveexec_b64 s[12:13], vcc
	s_cbranch_execz .LBB878_365
; %bb.364:
	v_and_b32_e32 v43, 7, v22
	v_ffbh_u32_e32 v52, v43
	v_min_u32_e32 v54, 32, v52
	v_subrev_u32_e32 v52, 28, v54
	v_lshlrev_b64 v[52:53], v52, v[22:23]
	v_lshrrev_b32_e32 v45, 3, v44
	v_sub_u32_e32 v22, 29, v54
	v_and_b32_e32 v52, 7, v52
	v_cmp_gt_u32_e32 vcc, 8, v44
	v_mov_b32_e32 v44, 24
	v_cndmask_b32_e32 v22, v45, v22, vcc
	v_cndmask_b32_e32 v43, v43, v52, vcc
	v_lshlrev_b32_sdwa v44, v44, v24 dst_sel:DWORD dst_unused:UNUSED_PAD src0_sel:DWORD src1_sel:WORD_1
	v_bfrev_b32_e32 v45, 60
	v_lshlrev_b32_e32 v43, 20, v43
	v_and_b32_e32 v44, 0x80000000, v44
	v_lshl_add_u32 v22, v22, 23, v45
	v_or3_b32 v22, v44, v22, v43
	v_lshrrev_b32_e32 v43, 16, v22
.LBB878_365:
	s_or_b64 exec, exec, s[12:13]
.LBB878_366:
	s_or_b64 exec, exec, s[10:11]
.LBB878_367:
	s_or_b64 exec, exec, s[2:3]
	s_mov_b32 s2, 0xffffff
	v_cmp_lt_u32_e32 vcc, s2, v24
	v_mov_b32_e32 v45, 0
	v_mov_b32_e32 v52, 0
	s_and_saveexec_b64 s[2:3], vcc
	s_cbranch_execz .LBB878_373
; %bb.368:
	v_lshrrev_b32_e32 v22, 24, v24
	s_movk_i32 s10, 0x80
	v_cmp_ne_u32_e32 vcc, s10, v22
	v_mov_b32_e32 v52, 0xffff8000
	s_and_saveexec_b64 s[10:11], vcc
	s_cbranch_execz .LBB878_372
; %bb.369:
	v_bfe_u32 v24, v24, 24, 7
	s_movk_i32 s12, 0x7f
	v_cmp_ne_u32_e32 vcc, s12, v24
	v_mov_b32_e32 v52, 0x7f80
	s_and_saveexec_b64 s[12:13], vcc
	s_cbranch_execz .LBB878_371
; %bb.370:
	v_and_b32_e32 v44, 7, v22
	v_ffbh_u32_e32 v52, v44
	v_min_u32_e32 v55, 32, v52
	v_subrev_u32_e32 v52, 28, v55
	v_lshlrev_b64 v[52:53], v52, v[22:23]
	v_lshrrev_b32_e32 v54, 3, v24
	v_sub_u32_e32 v53, 29, v55
	v_and_b32_e32 v52, 7, v52
	v_cmp_gt_u32_e32 vcc, 8, v24
	v_cndmask_b32_e32 v24, v54, v53, vcc
	v_cndmask_b32_e32 v44, v44, v52, vcc
	v_lshlrev_b32_e32 v22, 24, v22
	v_bfrev_b32_e32 v52, 60
	v_lshlrev_b32_e32 v44, 20, v44
	v_and_b32_e32 v22, 0x80000000, v22
	v_lshl_add_u32 v24, v24, 23, v52
	v_or3_b32 v22, v22, v24, v44
	v_lshrrev_b32_e32 v52, 16, v22
.LBB878_371:
	s_or_b64 exec, exec, s[12:13]
.LBB878_372:
	s_or_b64 exec, exec, s[10:11]
.LBB878_373:
	s_or_b64 exec, exec, s[2:3]
	v_cmp_ne_u16_sdwa s[10:11], v25, v45 src0_sel:BYTE_0 src1_sel:DWORD
	s_and_saveexec_b64 s[2:3], s[10:11]
	s_cbranch_execz .LBB878_379
; %bb.374:
	s_movk_i32 s10, 0x80
	v_cmp_ne_u16_sdwa s[12:13], v25, s10 src0_sel:BYTE_0 src1_sel:DWORD
	v_mov_b32_e32 v45, 0xffff8000
	s_and_saveexec_b64 s[10:11], s[12:13]
	s_cbranch_execz .LBB878_378
; %bb.375:
	s_movk_i32 s12, 0x7f
	v_and_b32_e32 v22, 0x7f, v25
	v_cmp_ne_u32_e32 vcc, s12, v22
	v_mov_b32_e32 v45, 0x7f80
	s_and_saveexec_b64 s[12:13], vcc
	s_cbranch_execz .LBB878_377
; %bb.376:
	v_and_b32_e32 v53, 7, v25
	v_ffbh_u32_e32 v44, v53
	v_min_u32_e32 v55, 32, v44
	v_mov_b32_e32 v24, v25
	v_subrev_u32_e32 v44, 28, v55
	v_lshlrev_b64 v[44:45], v44, v[24:25]
	v_lshrrev_b32_e32 v54, 3, v22
	v_sub_u32_e32 v24, 29, v55
	v_and_b32_e32 v44, 7, v44
	v_cmp_gt_u32_e32 vcc, 8, v22
	v_cndmask_b32_e32 v22, v54, v24, vcc
	v_cndmask_b32_e32 v24, v53, v44, vcc
	v_lshlrev_b32_e32 v44, 24, v25
	v_bfrev_b32_e32 v45, 60
	v_lshlrev_b32_e32 v24, 20, v24
	v_and_b32_e32 v44, 0x80000000, v44
	v_lshl_add_u32 v22, v22, 23, v45
	v_or3_b32 v22, v44, v22, v24
	v_lshrrev_b32_e32 v45, 16, v22
.LBB878_377:
	s_or_b64 exec, exec, s[12:13]
.LBB878_378:
	s_or_b64 exec, exec, s[10:11]
.LBB878_379:
	s_or_b64 exec, exec, s[2:3]
	v_lshrrev_b16_e32 v22, 8, v25
	v_cmp_ne_u16_e32 vcc, 0, v22
	v_mov_b32_e32 v54, 0
	v_mov_b32_e32 v53, 0
	s_and_saveexec_b64 s[2:3], vcc
	s_cbranch_execz .LBB878_385
; %bb.380:
	s_movk_i32 s10, 0x80
	v_cmp_ne_u16_e32 vcc, s10, v22
	v_mov_b32_e32 v53, 0xffff8000
	s_and_saveexec_b64 s[10:11], vcc
	s_cbranch_execz .LBB878_384
; %bb.381:
	s_movk_i32 s12, 0x7f
	v_and_b32_e32 v24, 0x7f, v22
	v_cmp_ne_u32_e32 vcc, s12, v24
	v_mov_b32_e32 v53, 0x7f80
	s_and_saveexec_b64 s[12:13], vcc
	s_cbranch_execz .LBB878_383
; %bb.382:
	v_and_b32_e32 v44, 7, v22
	v_ffbh_u32_e32 v55, v44
	v_min_u32_e32 v55, 32, v55
	v_subrev_u32_e32 v56, 28, v55
	v_lshlrev_b64 v[56:57], v56, v[22:23]
	v_lshrrev_b32_e32 v53, 3, v24
	v_sub_u32_e32 v22, 29, v55
	v_and_b32_e32 v55, 7, v56
	v_cmp_gt_u32_e32 vcc, 8, v24
	v_cndmask_b32_e32 v22, v53, v22, vcc
	v_cndmask_b32_e32 v24, v44, v55, vcc
	v_lshlrev_b32_e32 v44, 16, v25
	v_bfrev_b32_e32 v53, 60
	v_lshlrev_b32_e32 v24, 20, v24
	v_and_b32_e32 v44, 0x80000000, v44
	v_lshl_add_u32 v22, v22, 23, v53
	v_or3_b32 v22, v44, v22, v24
	v_lshrrev_b32_e32 v53, 16, v22
.LBB878_383:
	s_or_b64 exec, exec, s[12:13]
.LBB878_384:
	s_or_b64 exec, exec, s[10:11]
.LBB878_385:
	s_or_b64 exec, exec, s[2:3]
	s_movk_i32 s2, 0xff
	v_and_b32_sdwa v24, v25, s2 dst_sel:DWORD dst_unused:UNUSED_PAD src0_sel:WORD_1 src1_sel:DWORD
	v_lshrrev_b32_e32 v22, 16, v25
	v_cmp_ne_u16_e32 vcc, 0, v24
	s_and_saveexec_b64 s[2:3], vcc
	s_cbranch_execz .LBB878_391
; %bb.386:
	s_movk_i32 s10, 0x80
	v_cmp_ne_u16_e32 vcc, s10, v24
	v_mov_b32_e32 v54, 0xffff8000
	s_and_saveexec_b64 s[10:11], vcc
	s_cbranch_execz .LBB878_390
; %bb.387:
	v_bfe_u32 v24, v25, 16, 7
	s_movk_i32 s12, 0x7f
	v_cmp_ne_u32_e32 vcc, s12, v24
	v_mov_b32_e32 v54, 0x7f80
	s_and_saveexec_b64 s[12:13], vcc
	s_cbranch_execz .LBB878_389
; %bb.388:
	v_and_b32_e32 v44, 7, v22
	v_ffbh_u32_e32 v54, v44
	v_min_u32_e32 v57, 32, v54
	v_subrev_u32_e32 v54, 28, v57
	v_lshlrev_b64 v[54:55], v54, v[22:23]
	v_and_b32_e32 v54, 7, v54
	v_cmp_gt_u32_e32 vcc, 8, v24
	v_lshrrev_b32_e32 v56, 3, v24
	v_sub_u32_e32 v22, 29, v57
	v_cndmask_b32_e32 v24, v44, v54, vcc
	v_mov_b32_e32 v44, 24
	v_cndmask_b32_e32 v22, v56, v22, vcc
	v_lshlrev_b32_sdwa v44, v44, v25 dst_sel:DWORD dst_unused:UNUSED_PAD src0_sel:DWORD src1_sel:WORD_1
	v_bfrev_b32_e32 v54, 60
	v_lshlrev_b32_e32 v24, 20, v24
	v_and_b32_e32 v44, 0x80000000, v44
	v_lshl_add_u32 v22, v22, 23, v54
	v_or3_b32 v22, v44, v22, v24
	v_lshrrev_b32_e32 v54, 16, v22
.LBB878_389:
	s_or_b64 exec, exec, s[12:13]
.LBB878_390:
	s_or_b64 exec, exec, s[10:11]
.LBB878_391:
	s_or_b64 exec, exec, s[2:3]
	s_mov_b32 s2, 0xffffff
	v_and_b32_e32 v44, 63, v0
	v_cmp_lt_u32_e32 vcc, s2, v25
	v_mov_b32_e32 v55, 0
	s_and_saveexec_b64 s[2:3], vcc
	s_cbranch_execz .LBB878_397
; %bb.392:
	v_lshrrev_b32_e32 v22, 24, v25
	s_movk_i32 s10, 0x80
	v_cmp_ne_u32_e32 vcc, s10, v22
	v_mov_b32_e32 v55, 0xffff8000
	s_and_saveexec_b64 s[10:11], vcc
	s_cbranch_execz .LBB878_396
; %bb.393:
	v_bfe_u32 v24, v25, 24, 7
	s_movk_i32 s12, 0x7f
	v_cmp_ne_u32_e32 vcc, s12, v24
	v_mov_b32_e32 v55, 0x7f80
	s_and_saveexec_b64 s[12:13], vcc
	s_cbranch_execz .LBB878_395
; %bb.394:
	v_and_b32_e32 v25, 7, v22
	v_ffbh_u32_e32 v56, v25
	v_min_u32_e32 v58, 32, v56
	v_subrev_u32_e32 v56, 28, v58
	v_lshlrev_b64 v[56:57], v56, v[22:23]
	v_lshrrev_b32_e32 v55, 3, v24
	v_sub_u32_e32 v57, 29, v58
	v_and_b32_e32 v56, 7, v56
	v_cmp_gt_u32_e32 vcc, 8, v24
	v_cndmask_b32_e32 v24, v55, v57, vcc
	v_cndmask_b32_e32 v25, v25, v56, vcc
	v_lshlrev_b32_e32 v22, 24, v22
	v_bfrev_b32_e32 v55, 60
	v_lshlrev_b32_e32 v25, 20, v25
	v_and_b32_e32 v22, 0x80000000, v22
	v_lshl_add_u32 v24, v24, 23, v55
	v_or3_b32 v22, v22, v24, v25
	v_lshrrev_b32_e32 v55, 16, v22
.LBB878_395:
	s_or_b64 exec, exec, s[12:13]
.LBB878_396:
	s_or_b64 exec, exec, s[10:11]
.LBB878_397:
	s_or_b64 exec, exec, s[2:3]
	s_mov_b32 s3, 0x5040100
	v_perm_b32 v43, v52, v43, s3
	v_perm_b32 v42, v23, v42, s3
	s_load_dword s2, s[4:5], 0x1c
	s_waitcnt lgkmcnt(0)
	s_barrier
	v_mfma_f32_16x16x16bf16_1k v[26:29], v[42:43], v[18:19], v[26:29]
	v_perm_b32 v19, v55, v54, s3
	v_perm_b32 v18, v53, v45, s3
	v_mov_b32_e32 v22, s2
	v_mul_f32_e32 v52, s9, v22
	v_pk_mul_f32 v[22:23], v[52:53], v[32:33] op_sel_hi:[0,1]
	v_pk_mul_f32 v[32:33], v[52:53], v[38:39] op_sel_hi:[0,1]
	v_and_b32_e32 v38, 0xc0, v0
	v_mfma_f32_16x16x16bf16_1k v[26:29], v[18:19], v[20:21], v[26:29]
	v_add_u32_e32 v38, s18, v38
	v_lshl_or_b32 v38, v46, 2, v38
	v_or_b32_e32 v39, 1, v38
	v_pk_mul_f32 v[24:25], v[52:53], v[30:31] op_sel_hi:[0,1]
	v_pk_mul_f32 v[30:31], v[52:53], v[40:41] op_sel_hi:[0,1]
	v_subrev_u32_e32 v40, s27, v39
	v_pk_mul_f32 v[34:35], v[52:53], v[34:35] op_sel_hi:[0,1]
	s_nop 3
	v_pk_mul_f32 v[20:21], v[52:53], v[26:27] op_sel_hi:[0,1]
	v_add_u32_e32 v27, 1, v40
	v_pk_mul_f32 v[18:19], v[52:53], v[28:29] op_sel_hi:[0,1]
	v_cvt_f32_i32_e32 v27, v27
	v_add_u32_e32 v29, 3, v40
	v_cvt_f32_i32_e32 v29, v29
	v_cvt_f32_i32_e32 v26, v40
	v_pk_mul_f32 v[36:37], v[52:53], v[36:37] op_sel_hi:[0,1]
	v_fmac_f32_e32 v35, v51, v27
	v_add_u32_e32 v27, 16, v40
	v_fmac_f32_e32 v37, v51, v29
	v_cvt_f32_i32_e32 v27, v27
	v_add_u32_e32 v29, 17, v40
	v_fma_f32 v26, v51, v26, v34
	v_cvt_f32_i32_e32 v29, v29
	v_add_u32_e32 v34, 18, v40
	v_cvt_f32_i32_e32 v34, v34
	v_fma_f32 v41, v51, v27, v32
	v_add_u32_e32 v27, 32, v40
	v_fmac_f32_e32 v33, v51, v29
	v_cvt_f32_i32_e32 v27, v27
	v_add_u32_e32 v29, 33, v40
	v_add_u32_e32 v32, 34, v40
	v_fma_f32 v30, v51, v34, v30
	v_cvt_f32_i32_e32 v29, v29
	v_cvt_f32_i32_e32 v32, v32
	v_add_u32_e32 v34, 35, v40
	v_cvt_f32_i32_e32 v34, v34
	v_fma_f32 v24, v51, v27, v24
	v_add_u32_e32 v27, 48, v40
	v_fmac_f32_e32 v25, v51, v29
	v_fma_f32 v22, v51, v32, v22
	v_cvt_f32_i32_e32 v27, v27
	v_add_u32_e32 v29, 49, v40
	v_add_u32_e32 v32, 50, v40
	v_fmac_f32_e32 v23, v51, v34
	v_cvt_f32_i32_e32 v29, v29
	v_cvt_f32_i32_e32 v32, v32
	v_add_u32_e32 v34, 51, v40
	v_add_u32_e32 v28, 2, v40
	v_cvt_f32_i32_e32 v34, v34
	v_cvt_f32_i32_e32 v28, v28
	v_fma_f32 v20, v51, v27, v20
	v_mov_b32_e32 v27, 0xff7fffff
	v_cmp_gt_i32_e64 s[28:29], s27, v38
	v_cmp_gt_i32_e64 s[30:31], s27, v39
	v_fmac_f32_e32 v21, v51, v29
	v_fma_f32 v18, v51, v32, v18
	s_mov_b32 s9, 0xff7fffff
	v_cndmask_b32_e64 v29, v27, v26, s[28:29]
	v_cndmask_b32_e64 v32, v27, v35, s[30:31]
	v_fmac_f32_e32 v19, v51, v34
	v_max3_f32 v29, v29, s9, v32
	v_or_b32_e32 v32, 2, v38
	v_or_b32_e32 v34, 3, v38
	v_fma_f32 v28, v51, v28, v36
	v_cmp_gt_i32_e64 s[34:35], s27, v32
	v_cmp_gt_i32_e64 s[36:37], s27, v34
	v_add_u32_e32 v36, 19, v40
	v_cndmask_b32_e64 v32, v27, v28, s[34:35]
	v_cndmask_b32_e64 v34, v27, v37, s[36:37]
	v_cvt_f32_i32_e32 v36, v36
	v_max3_f32 v29, v29, v32, v34
	v_or_b32_e32 v32, 16, v38
	v_or_b32_e32 v34, 17, v38
	v_cmp_gt_i32_e64 s[38:39], s27, v32
	v_cmp_gt_i32_e64 s[40:41], s27, v34
	v_cndmask_b32_e64 v32, v27, v41, s[38:39]
	v_cndmask_b32_e64 v34, v27, v33, s[40:41]
	v_max3_f32 v29, v29, v32, v34
	v_or_b32_e32 v32, 18, v38
	v_or_b32_e32 v34, 19, v38
	v_fmac_f32_e32 v31, v51, v36
	v_cmp_gt_i32_e64 s[22:23], s27, v32
	v_cmp_gt_i32_e64 s[24:25], s27, v34
	v_cndmask_b32_e64 v32, v27, v30, s[22:23]
	v_cndmask_b32_e64 v34, v27, v31, s[24:25]
	v_max3_f32 v29, v29, v32, v34
	v_or_b32_e32 v32, 32, v38
	v_or_b32_e32 v34, 33, v38
	v_cmp_gt_i32_e64 s[18:19], s27, v32
	v_cmp_gt_i32_e64 s[20:21], s27, v34
	v_cndmask_b32_e64 v32, v27, v24, s[18:19]
	v_cndmask_b32_e64 v34, v27, v25, s[20:21]
	v_max3_f32 v29, v29, v32, v34
	v_or_b32_e32 v32, 34, v38
	v_or_b32_e32 v34, 35, v38
	;; [unrolled: 7-line block ×4, first 2 shown]
	v_cmp_gt_i32_e32 vcc, s27, v32
	v_cmp_gt_i32_e64 s[2:3], s27, v34
	v_cndmask_b32_e32 v32, v27, v18, vcc
	v_cndmask_b32_e64 v27, v27, v19, s[2:3]
	v_max3_f32 v27, v29, v32, v27
	v_mbcnt_lo_u32_b32 v29, -1, 0
	v_mbcnt_hi_u32_b32 v29, -1, v29
	v_and_b32_e32 v32, 64, v29
	v_add_u32_e32 v32, 64, v32
	v_xor_b32_e32 v34, 32, v29
	v_cmp_lt_i32_e64 s[42:43], v34, v32
	v_cndmask_b32_e64 v34, v29, v34, s[42:43]
	v_lshlrev_b32_e32 v36, 2, v34
	ds_bpermute_b32 v34, v36, v27
	s_waitcnt lgkmcnt(0)
	v_max_f32_e32 v34, v34, v34
	v_max_f32_e32 v27, v27, v34
	v_xor_b32_e32 v34, 16, v29
	v_cmp_lt_i32_e64 s[42:43], v34, v32
	v_cndmask_b32_e64 v29, v29, v34, s[42:43]
	v_lshlrev_b32_e32 v38, 2, v29
	ds_bpermute_b32 v29, v38, v27
	s_waitcnt lgkmcnt(0)
	v_max_f32_e32 v29, v29, v29
	v_max_f32_e32 v32, v27, v29
	v_sub_f32_e32 v26, v26, v32
	v_mul_f32_e32 v26, 0x3fb8aa3b, v26
	v_sub_f32_e32 v27, v35, v32
	v_exp_f32_e32 v26, v26
	v_mul_f32_e32 v27, 0x3fb8aa3b, v27
	v_sub_f32_e32 v28, v28, v32
	v_exp_f32_e32 v27, v27
	v_mul_f32_e32 v28, 0x3fb8aa3b, v28
	v_exp_f32_e32 v28, v28
	v_cndmask_b32_e64 v26, 0, v26, s[28:29]
	v_sub_f32_e32 v34, v37, v32
	v_add_f32_e32 v29, 0, v26
	v_cndmask_b32_e64 v27, 0, v27, s[30:31]
	v_mul_f32_e32 v34, 0x3fb8aa3b, v34
	v_exp_f32_e32 v35, v34
	v_add_f32_e32 v29, v29, v27
	v_cndmask_b32_e64 v34, 0, v28, s[34:35]
	v_add_f32_e32 v28, v29, v34
	v_sub_f32_e32 v29, v41, v32
	v_mul_f32_e32 v29, 0x3fb8aa3b, v29
	v_sub_f32_e32 v33, v33, v32
	v_exp_f32_e32 v29, v29
	v_mul_f32_e32 v33, 0x3fb8aa3b, v33
	v_sub_f32_e32 v30, v30, v32
	v_exp_f32_e32 v33, v33
	;; [unrolled: 3-line block ×3, first 2 shown]
	v_mul_f32_e32 v31, 0x3fb8aa3b, v31
	v_sub_f32_e32 v24, v24, v32
	v_cndmask_b32_e64 v35, 0, v35, s[36:37]
	v_exp_f32_e32 v31, v31
	v_mul_f32_e32 v24, 0x3fb8aa3b, v24
	v_sub_f32_e32 v25, v25, v32
	v_add_f32_e32 v37, v28, v35
	v_cndmask_b32_e64 v28, 0, v29, s[38:39]
	v_exp_f32_e32 v24, v24
	v_mul_f32_e32 v25, 0x3fb8aa3b, v25
	v_sub_f32_e32 v22, v22, v32
	v_add_f32_e32 v37, v37, v28
	;; [unrolled: 5-line block ×7, first 2 shown]
	v_cndmask_b32_e64 v22, 0, v22, s[14:15]
	v_exp_f32_e32 v18, v18
	v_mul_f32_e32 v19, 0x3fb8aa3b, v19
	v_add_f32_e32 v33, v33, v22
	v_cndmask_b32_e64 v23, 0, v23, s[16:17]
	v_exp_f32_e32 v19, v19
	v_add_f32_e32 v33, v33, v23
	v_cndmask_b32_e64 v20, 0, v20, s[10:11]
	v_add_f32_e32 v33, v33, v20
	v_cndmask_b32_e64 v21, 0, v21, s[12:13]
	v_add_f32_e32 v33, v33, v21
	v_cndmask_b32_e32 v18, 0, v18, vcc
	v_add_f32_e32 v33, v33, v18
	v_cndmask_b32_e64 v19, 0, v19, s[2:3]
	v_add_f32_e32 v33, v33, v19
	ds_bpermute_b32 v36, v36, v33
	v_cmp_gt_u32_e64 s[2:3], 16, v44
	s_waitcnt lgkmcnt(0)
	v_add_f32_e32 v33, v33, v36
	ds_bpermute_b32 v37, v38, v33
	v_lshlrev_b32_e32 v36, 2, v50
	s_and_saveexec_b64 s[10:11], s[2:3]
	s_cbranch_execz .LBB878_399
; %bb.398:
	s_waitcnt lgkmcnt(0)
	v_add_f32_e32 v33, v33, v37
	v_lshl_or_b32 v37, v49, 6, v36
	ds_write2st64_b32 v37, v32, v33 offset1:1
.LBB878_399:
	s_or_b64 exec, exec, s[10:11]
	s_waitcnt lgkmcnt(0)
	s_barrier
	ds_read2_b32 v[38:39], v36 offset1:16
	ds_read2_b32 v[40:41], v36 offset0:32 offset1:48
	ds_read2_b32 v[42:43], v36 offset0:64 offset1:80
	s_waitcnt lgkmcnt(2)
	v_max3_f32 v32, v38, s9, v39
	s_waitcnt lgkmcnt(1)
	v_max3_f32 v33, v32, v40, v41
	v_sub_f32_e32 v32, v38, v33
	v_mul_f32_e32 v32, 0x3fb8aa3b, v32
	v_exp_f32_e32 v37, v32
	v_sub_f32_e32 v32, v39, v33
	v_mul_f32_e32 v32, 0x3fb8aa3b, v32
	v_exp_f32_e32 v44, v32
	;; [unrolled: 3-line block ×3, first 2 shown]
	ds_read2_b32 v[38:39], v36 offset0:96 offset1:112
	v_sub_f32_e32 v32, v41, v33
	v_mul_f32_e32 v32, 0x3fb8aa3b, v32
	v_exp_f32_e32 v41, v32
	s_waitcnt lgkmcnt(1)
	v_fma_f32 v36, v37, v42, 0
	v_fmac_f32_e32 v36, v44, v43
	s_waitcnt lgkmcnt(0)
	v_fmac_f32_e32 v36, v40, v38
	v_fmac_f32_e32 v36, v41, v39
	v_add_f32_e32 v38, 0x358637bd, v36
	v_div_scale_f32 v39, s[10:11], v38, v38, 1.0
	v_rcp_f32_e32 v42, v39
	s_movk_i32 s9, 0x7fff
	s_mov_b32 s10, 0x7060302
	v_fma_f32 v43, -v39, v42, 1.0
	v_fmac_f32_e32 v42, v43, v42
	v_div_scale_f32 v43, vcc, 1.0, v38, 1.0
	v_mul_f32_e32 v45, v43, v42
	v_fma_f32 v50, -v39, v45, v43
	v_fmac_f32_e32 v45, v50, v42
	v_fma_f32 v39, -v39, v45, v43
	v_div_fmas_f32 v39, v39, v42, v45
	v_cmp_eq_u32_e32 vcc, 1, v49
	v_cndmask_b32_e32 v37, v37, v44, vcc
	v_cmp_eq_u32_e32 vcc, 2, v49
	v_cndmask_b32_e32 v37, v37, v40, vcc
	v_cmp_eq_u32_e32 vcc, 3, v49
	v_div_fixup_f32 v38, v39, v38, 1.0
	v_cndmask_b32_e32 v37, v37, v41, vcc
	v_mul_f32_e32 v38, v37, v38
	v_pk_mul_f32 v[26:27], v[38:39], v[26:27] op_sel_hi:[0,1]
	v_pk_mul_f32 v[34:35], v[38:39], v[34:35] op_sel_hi:[0,1]
	v_bfe_u32 v37, v27, 16, 1
	v_bfe_u32 v39, v26, 16, 1
	v_add3_u32 v26, v26, v39, s9
	v_add3_u32 v27, v27, v37, s9
	v_perm_b32 v40, v27, v26, s10
	v_bfe_u32 v26, v35, 16, 1
	v_bfe_u32 v27, v34, 16, 1
	v_add3_u32 v27, v34, v27, s9
	v_add3_u32 v26, v35, v26, s9
	v_perm_b32 v41, v26, v27, s10
	v_lshlrev_b32_e32 v26, 3, v46
	v_lshlrev_b32_e32 v27, 11, v49
	v_pk_mul_f32 v[28:29], v[38:39], v[28:29] op_sel_hi:[0,1]
	v_or3_b32 v26, v27, v48, v26
	v_bfe_u32 v27, v29, 16, 1
	v_bfe_u32 v34, v28, 16, 1
	v_pk_mul_f32 v[30:31], v[38:39], v[30:31] op_sel_hi:[0,1]
	v_add3_u32 v28, v28, v34, s9
	v_add3_u32 v27, v29, v27, s9
	v_perm_b32 v28, v27, v28, s10
	v_bfe_u32 v27, v31, 16, 1
	v_bfe_u32 v29, v30, 16, 1
	v_add3_u32 v29, v30, v29, s9
	v_add3_u32 v27, v31, v27, s9
	v_perm_b32 v29, v27, v29, s10
	v_pk_mul_f32 v[24:25], v[38:39], v[24:25] op_sel_hi:[0,1]
	s_barrier
	ds_write2st64_b64 v26, v[40:41], v[28:29] offset1:1
	v_bfe_u32 v27, v25, 16, 1
	v_bfe_u32 v28, v24, 16, 1
	v_pk_mul_f32 v[22:23], v[38:39], v[22:23] op_sel_hi:[0,1]
	v_add3_u32 v24, v24, v28, s9
	v_add3_u32 v25, v25, v27, s9
	v_perm_b32 v24, v25, v24, s10
	v_bfe_u32 v25, v23, 16, 1
	v_bfe_u32 v27, v22, 16, 1
	v_add3_u32 v22, v22, v27, s9
	v_add3_u32 v23, v23, v25, s9
	v_pk_mul_f32 v[20:21], v[38:39], v[20:21] op_sel_hi:[0,1]
	v_perm_b32 v25, v23, v22, s10
	v_bfe_u32 v22, v21, 16, 1
	v_bfe_u32 v23, v20, 16, 1
	v_pk_mul_f32 v[18:19], v[38:39], v[18:19] op_sel_hi:[0,1]
	v_add3_u32 v20, v20, v23, s9
	v_add3_u32 v21, v21, v22, s9
	v_perm_b32 v20, v21, v20, s10
	v_bfe_u32 v21, v19, 16, 1
	v_bfe_u32 v22, v18, 16, 1
	v_add3_u32 v18, v18, v22, s9
	v_add3_u32 v19, v19, v21, s9
	v_mov_b32_e32 v32, 0
	v_perm_b32 v21, v19, v18, s10
	v_cmp_eq_u32_e32 vcc, 0, v0
	ds_write2st64_b64 v26, v[24:25], v[20:21] offset0:2 offset1:3
	s_and_saveexec_b64 s[10:11], vcc
	s_cbranch_execz .LBB878_401
; %bb.400:
	s_mul_i32 s7, s7, s49
	s_mul_hi_u32 s9, s6, s49
	s_add_i32 s9, s9, s7
	s_mul_i32 s7, s6, s49
	s_add_u32 s7, s7, s8
	s_addc_u32 s9, s9, 0
	s_load_dwordx4 s[12:15], s[4:5], 0x58
	s_mul_i32 s9, s9, s48
	s_mul_hi_u32 s16, s7, s48
	s_add_i32 s9, s16, s9
	s_mul_i32 s7, s7, s48
	s_add_u32 s16, s7, s26
	s_addc_u32 s17, s9, 0
	s_lshl_b64 s[16:17], s[16:17], 2
	s_waitcnt lgkmcnt(0)
	s_add_u32 s14, s14, s16
	s_addc_u32 s15, s15, s17
	s_add_u32 s12, s12, s16
	s_addc_u32 s13, s13, s17
	global_store_dword v32, v33, s[14:15]
	global_store_dword v32, v36, s[12:13]
.LBB878_401:
	s_or_b64 exec, exec, s[10:11]
	s_waitcnt vmcnt(3)
	v_cmp_ne_u16_sdwa s[12:13], v14, v32 src0_sel:BYTE_0 src1_sel:DWORD
	s_waitcnt lgkmcnt(0)
	s_barrier
	s_and_saveexec_b64 s[10:11], s[12:13]
	s_cbranch_execz .LBB878_407
; %bb.402:
	s_movk_i32 s7, 0x80
	v_cmp_ne_u16_sdwa s[14:15], v14, s7 src0_sel:BYTE_0 src1_sel:DWORD
	v_mov_b32_e32 v32, 0xffff8000
	s_and_saveexec_b64 s[12:13], s[14:15]
	s_cbranch_execz .LBB878_406
; %bb.403:
	s_movk_i32 s7, 0x7f
	v_and_b32_e32 v18, 0x7f, v14
	v_cmp_ne_u32_e32 vcc, s7, v18
	v_mov_b32_e32 v32, 0x7f80
	s_and_saveexec_b64 s[14:15], vcc
	s_cbranch_execz .LBB878_405
; %bb.404:
	v_and_b32_e32 v19, 7, v14
	v_ffbh_u32_e32 v20, v19
	v_min_u32_e32 v23, 32, v20
	v_subrev_u32_e32 v20, 28, v23
	v_lshlrev_b64 v[20:21], v20, v[14:15]
	v_lshrrev_b32_e32 v22, 3, v18
	v_sub_u32_e32 v21, 29, v23
	v_and_b32_e32 v20, 7, v20
	v_cmp_gt_u32_e32 vcc, 8, v18
	v_cndmask_b32_e32 v18, v22, v21, vcc
	v_cndmask_b32_e32 v19, v19, v20, vcc
	v_lshlrev_b32_e32 v20, 24, v14
	v_bfrev_b32_e32 v21, 60
	v_lshlrev_b32_e32 v19, 20, v19
	v_and_b32_e32 v20, 0x80000000, v20
	v_lshl_add_u32 v18, v18, 23, v21
	v_or3_b32 v18, v20, v18, v19
	v_lshrrev_b32_e32 v32, 16, v18
.LBB878_405:
	s_or_b64 exec, exec, s[14:15]
.LBB878_406:
	s_or_b64 exec, exec, s[12:13]
.LBB878_407:
	s_or_b64 exec, exec, s[10:11]
	v_lshrrev_b16_e32 v18, 8, v14
	v_cmp_ne_u16_e32 vcc, 0, v18
	v_mov_b32_e32 v20, 0
	v_mov_b32_e32 v19, 0
	s_and_saveexec_b64 s[10:11], vcc
	s_cbranch_execz .LBB878_413
; %bb.408:
	s_movk_i32 s7, 0x80
	v_cmp_ne_u16_e32 vcc, s7, v18
	v_mov_b32_e32 v19, 0xffff8000
	s_and_saveexec_b64 s[12:13], vcc
	s_cbranch_execz .LBB878_412
; %bb.409:
	s_movk_i32 s7, 0x7f
	v_and_b32_e32 v21, 0x7f, v18
	v_cmp_ne_u32_e32 vcc, s7, v21
	v_mov_b32_e32 v19, 0x7f80
	s_and_saveexec_b64 s[14:15], vcc
	s_cbranch_execz .LBB878_411
; %bb.410:
	v_and_b32_e32 v22, 7, v18
	v_ffbh_u32_e32 v19, v22
	v_min_u32_e32 v24, 32, v19
	v_subrev_u32_e32 v19, 28, v24
	v_lshlrev_b64 v[18:19], v19, v[18:19]
	v_lshrrev_b32_e32 v23, 3, v21
	v_sub_u32_e32 v19, 29, v24
	v_and_b32_e32 v18, 7, v18
	v_cmp_gt_u32_e32 vcc, 8, v21
	v_cndmask_b32_e32 v19, v23, v19, vcc
	v_cndmask_b32_e32 v18, v22, v18, vcc
	v_lshlrev_b32_e32 v21, 16, v14
	v_bfrev_b32_e32 v22, 60
	v_lshlrev_b32_e32 v18, 20, v18
	v_and_b32_e32 v21, 0x80000000, v21
	v_lshl_add_u32 v19, v19, 23, v22
	v_or3_b32 v18, v21, v19, v18
	v_lshrrev_b32_e32 v19, 16, v18
.LBB878_411:
	s_or_b64 exec, exec, s[14:15]
.LBB878_412:
	s_or_b64 exec, exec, s[12:13]
.LBB878_413:
	s_or_b64 exec, exec, s[10:11]
	s_movk_i32 s7, 0xff
	v_and_b32_sdwa v21, v14, s7 dst_sel:DWORD dst_unused:UNUSED_PAD src0_sel:WORD_1 src1_sel:DWORD
	v_lshrrev_b32_e32 v18, 16, v14
	v_cmp_ne_u16_e32 vcc, 0, v21
	s_and_saveexec_b64 s[10:11], vcc
	s_cbranch_execz .LBB878_419
; %bb.414:
	s_movk_i32 s7, 0x80
	v_cmp_ne_u16_e32 vcc, s7, v21
	v_mov_b32_e32 v20, 0xffff8000
	s_and_saveexec_b64 s[12:13], vcc
	s_cbranch_execz .LBB878_418
; %bb.415:
	v_bfe_u32 v21, v14, 16, 7
	s_movk_i32 s7, 0x7f
	v_cmp_ne_u32_e32 vcc, s7, v21
	v_mov_b32_e32 v20, 0x7f80
	s_and_saveexec_b64 s[14:15], vcc
	s_cbranch_execz .LBB878_417
; %bb.416:
	v_and_b32_e32 v20, 7, v18
	v_ffbh_u32_e32 v22, v20
	v_min_u32_e32 v25, 32, v22
	v_subrev_u32_e32 v22, 28, v25
	v_lshlrev_b64 v[22:23], v22, v[18:19]
	v_lshrrev_b32_e32 v24, 3, v21
	v_sub_u32_e32 v18, 29, v25
	v_and_b32_e32 v22, 7, v22
	v_cmp_gt_u32_e32 vcc, 8, v21
	v_mov_b32_e32 v21, 24
	v_cndmask_b32_e32 v18, v24, v18, vcc
	v_cndmask_b32_e32 v20, v20, v22, vcc
	v_lshlrev_b32_sdwa v21, v21, v14 dst_sel:DWORD dst_unused:UNUSED_PAD src0_sel:DWORD src1_sel:WORD_1
	v_bfrev_b32_e32 v22, 60
	v_lshlrev_b32_e32 v20, 20, v20
	v_and_b32_e32 v21, 0x80000000, v21
	v_lshl_add_u32 v18, v18, 23, v22
	v_or3_b32 v18, v21, v18, v20
	v_lshrrev_b32_e32 v20, 16, v18
.LBB878_417:
	s_or_b64 exec, exec, s[14:15]
.LBB878_418:
	s_or_b64 exec, exec, s[12:13]
.LBB878_419:
	s_or_b64 exec, exec, s[10:11]
	s_mov_b32 s7, 0xffffff
	v_cmp_lt_u32_e32 vcc, s7, v14
	v_mov_b32_e32 v21, 0
	v_mov_b32_e32 v22, 0
	s_and_saveexec_b64 s[10:11], vcc
	s_cbranch_execz .LBB878_425
; %bb.420:
	v_lshrrev_b32_e32 v18, 24, v14
	s_movk_i32 s7, 0x80
	v_cmp_ne_u32_e32 vcc, s7, v18
	v_mov_b32_e32 v22, 0xffff8000
	s_and_saveexec_b64 s[12:13], vcc
	s_cbranch_execz .LBB878_424
; %bb.421:
	v_bfe_u32 v14, v14, 24, 7
	s_movk_i32 s7, 0x7f
	v_cmp_ne_u32_e32 vcc, s7, v14
	v_mov_b32_e32 v22, 0x7f80
	s_and_saveexec_b64 s[14:15], vcc
	s_cbranch_execz .LBB878_423
; %bb.422:
	v_and_b32_e32 v24, 7, v18
	v_ffbh_u32_e32 v22, v24
	v_min_u32_e32 v27, 32, v22
	v_subrev_u32_e32 v22, 28, v27
	v_lshlrev_b64 v[22:23], v22, v[18:19]
	v_lshrrev_b32_e32 v25, 3, v14
	v_sub_u32_e32 v23, 29, v27
	v_and_b32_e32 v22, 7, v22
	v_cmp_gt_u32_e32 vcc, 8, v14
	v_cndmask_b32_e32 v14, v25, v23, vcc
	v_cndmask_b32_e32 v22, v24, v22, vcc
	v_lshlrev_b32_e32 v18, 24, v18
	v_bfrev_b32_e32 v23, 60
	v_lshlrev_b32_e32 v22, 20, v22
	v_and_b32_e32 v18, 0x80000000, v18
	v_lshl_add_u32 v14, v14, 23, v23
	v_or3_b32 v14, v18, v14, v22
	v_lshrrev_b32_e32 v22, 16, v14
.LBB878_423:
	s_or_b64 exec, exec, s[14:15]
.LBB878_424:
	s_or_b64 exec, exec, s[12:13]
.LBB878_425:
	s_or_b64 exec, exec, s[10:11]
	v_cmp_ne_u16_sdwa s[12:13], v15, v21 src0_sel:BYTE_0 src1_sel:DWORD
	s_and_saveexec_b64 s[10:11], s[12:13]
	s_cbranch_execz .LBB878_431
; %bb.426:
	s_movk_i32 s7, 0x80
	v_cmp_ne_u16_sdwa s[14:15], v15, s7 src0_sel:BYTE_0 src1_sel:DWORD
	v_mov_b32_e32 v21, 0xffff8000
	s_and_saveexec_b64 s[12:13], s[14:15]
	s_cbranch_execz .LBB878_430
; %bb.427:
	s_movk_i32 s7, 0x7f
	v_and_b32_e32 v14, 0x7f, v15
	v_cmp_ne_u32_e32 vcc, s7, v14
	v_mov_b32_e32 v21, 0x7f80
	s_and_saveexec_b64 s[14:15], vcc
	s_cbranch_execz .LBB878_429
; %bb.428:
	v_and_b32_e32 v21, 7, v15
	v_ffbh_u32_e32 v24, v21
	v_min_u32_e32 v27, 32, v24
	v_mov_b32_e32 v18, v15
	v_subrev_u32_e32 v24, 28, v27
	v_lshlrev_b64 v[24:25], v24, v[18:19]
	v_lshrrev_b32_e32 v23, 3, v14
	v_sub_u32_e32 v18, 29, v27
	v_and_b32_e32 v24, 7, v24
	v_cmp_gt_u32_e32 vcc, 8, v14
	v_cndmask_b32_e32 v14, v23, v18, vcc
	v_cndmask_b32_e32 v18, v21, v24, vcc
	v_lshlrev_b32_e32 v21, 24, v15
	v_bfrev_b32_e32 v23, 60
	v_lshlrev_b32_e32 v18, 20, v18
	v_and_b32_e32 v21, 0x80000000, v21
	v_lshl_add_u32 v14, v14, 23, v23
	v_or3_b32 v14, v21, v14, v18
	v_lshrrev_b32_e32 v21, 16, v14
.LBB878_429:
	s_or_b64 exec, exec, s[14:15]
.LBB878_430:
	s_or_b64 exec, exec, s[12:13]
.LBB878_431:
	s_or_b64 exec, exec, s[10:11]
	v_lshrrev_b16_e32 v14, 8, v15
	v_cmp_ne_u16_e32 vcc, 0, v14
	v_mov_b32_e32 v24, 0
	v_mov_b32_e32 v18, 0
	s_and_saveexec_b64 s[10:11], vcc
	s_cbranch_execz .LBB878_437
; %bb.432:
	s_movk_i32 s7, 0x80
	v_cmp_ne_u16_e32 vcc, s7, v14
	v_mov_b32_e32 v18, 0xffff8000
	s_and_saveexec_b64 s[12:13], vcc
	s_cbranch_execz .LBB878_436
; %bb.433:
	s_movk_i32 s7, 0x7f
	v_and_b32_e32 v23, 0x7f, v14
	v_cmp_ne_u32_e32 vcc, s7, v23
	v_mov_b32_e32 v18, 0x7f80
	s_and_saveexec_b64 s[14:15], vcc
	s_cbranch_execz .LBB878_435
; %bb.434:
	v_and_b32_e32 v18, 7, v14
	v_ffbh_u32_e32 v27, v18
	v_min_u32_e32 v27, 32, v27
	v_subrev_u32_e32 v28, 28, v27
	v_lshlrev_b64 v[28:29], v28, v[14:15]
	v_lshrrev_b32_e32 v25, 3, v23
	v_sub_u32_e32 v14, 29, v27
	v_and_b32_e32 v27, 7, v28
	v_cmp_gt_u32_e32 vcc, 8, v23
	v_cndmask_b32_e32 v14, v25, v14, vcc
	v_cndmask_b32_e32 v18, v18, v27, vcc
	v_lshlrev_b32_e32 v23, 16, v15
	v_bfrev_b32_e32 v25, 60
	v_lshlrev_b32_e32 v18, 20, v18
	v_and_b32_e32 v23, 0x80000000, v23
	v_lshl_add_u32 v14, v14, 23, v25
	v_or3_b32 v14, v23, v14, v18
	v_lshrrev_b32_e32 v18, 16, v14
.LBB878_435:
	s_or_b64 exec, exec, s[14:15]
.LBB878_436:
	s_or_b64 exec, exec, s[12:13]
.LBB878_437:
	s_or_b64 exec, exec, s[10:11]
	s_movk_i32 s7, 0xff
	v_and_b32_sdwa v23, v15, s7 dst_sel:DWORD dst_unused:UNUSED_PAD src0_sel:WORD_1 src1_sel:DWORD
	v_lshrrev_b32_e32 v14, 16, v15
	v_cmp_ne_u16_e32 vcc, 0, v23
	s_and_saveexec_b64 s[10:11], vcc
	s_cbranch_execz .LBB878_443
; %bb.438:
	s_movk_i32 s7, 0x80
	v_cmp_ne_u16_e32 vcc, s7, v23
	v_mov_b32_e32 v24, 0xffff8000
	s_and_saveexec_b64 s[12:13], vcc
	s_cbranch_execz .LBB878_442
; %bb.439:
	v_bfe_u32 v23, v15, 16, 7
	s_movk_i32 s7, 0x7f
	v_cmp_ne_u32_e32 vcc, s7, v23
	v_mov_b32_e32 v24, 0x7f80
	s_and_saveexec_b64 s[14:15], vcc
	s_cbranch_execz .LBB878_441
; %bb.440:
	v_and_b32_e32 v27, 7, v14
	v_ffbh_u32_e32 v24, v27
	v_min_u32_e32 v29, 32, v24
	v_subrev_u32_e32 v24, 28, v29
	v_lshlrev_b64 v[24:25], v24, v[14:15]
	v_and_b32_e32 v24, 7, v24
	v_cmp_gt_u32_e32 vcc, 8, v23
	v_lshrrev_b32_e32 v28, 3, v23
	v_sub_u32_e32 v14, 29, v29
	v_cndmask_b32_e32 v23, v27, v24, vcc
	v_mov_b32_e32 v24, 24
	v_cndmask_b32_e32 v14, v28, v14, vcc
	v_lshlrev_b32_sdwa v24, v24, v15 dst_sel:DWORD dst_unused:UNUSED_PAD src0_sel:DWORD src1_sel:WORD_1
	v_bfrev_b32_e32 v25, 60
	v_lshlrev_b32_e32 v23, 20, v23
	v_and_b32_e32 v24, 0x80000000, v24
	v_lshl_add_u32 v14, v14, 23, v25
	v_or3_b32 v14, v24, v14, v23
	v_lshrrev_b32_e32 v24, 16, v14
.LBB878_441:
	s_or_b64 exec, exec, s[14:15]
.LBB878_442:
	s_or_b64 exec, exec, s[12:13]
.LBB878_443:
	s_or_b64 exec, exec, s[10:11]
	s_mov_b32 s7, 0xffffff
	v_cmp_lt_u32_e32 vcc, s7, v15
	v_mov_b32_e32 v23, 0
	v_mov_b32_e32 v25, 0
	s_and_saveexec_b64 s[10:11], vcc
	s_cbranch_execz .LBB878_449
; %bb.444:
	v_lshrrev_b32_e32 v14, 24, v15
	s_movk_i32 s7, 0x80
	v_cmp_ne_u32_e32 vcc, s7, v14
	v_mov_b32_e32 v25, 0xffff8000
	s_and_saveexec_b64 s[12:13], vcc
	s_cbranch_execz .LBB878_448
; %bb.445:
	v_bfe_u32 v15, v15, 24, 7
	s_movk_i32 s7, 0x7f
	v_cmp_ne_u32_e32 vcc, s7, v15
	v_mov_b32_e32 v25, 0x7f80
	s_and_saveexec_b64 s[14:15], vcc
	s_cbranch_execz .LBB878_447
; %bb.446:
	v_and_b32_e32 v25, 7, v14
	v_ffbh_u32_e32 v28, v25
	v_min_u32_e32 v30, 32, v28
	v_subrev_u32_e32 v28, 28, v30
	v_lshlrev_b64 v[28:29], v28, v[14:15]
	v_lshrrev_b32_e32 v27, 3, v15
	v_sub_u32_e32 v29, 29, v30
	v_and_b32_e32 v28, 7, v28
	v_cmp_gt_u32_e32 vcc, 8, v15
	v_cndmask_b32_e32 v15, v27, v29, vcc
	v_cndmask_b32_e32 v25, v25, v28, vcc
	v_lshlrev_b32_e32 v14, 24, v14
	v_bfrev_b32_e32 v27, 60
	v_lshlrev_b32_e32 v25, 20, v25
	v_and_b32_e32 v14, 0x80000000, v14
	v_lshl_add_u32 v15, v15, 23, v27
	v_or3_b32 v14, v14, v15, v25
	v_lshrrev_b32_e32 v25, 16, v14
.LBB878_447:
	s_or_b64 exec, exec, s[14:15]
.LBB878_448:
	s_or_b64 exec, exec, s[12:13]
.LBB878_449:
	s_or_b64 exec, exec, s[10:11]
	s_mov_b32 s7, 0x5040100
	v_perm_b32 v15, v22, v20, s7
	v_lshl_or_b32 v22, v46, 9, v48
	v_perm_b32 v14, v19, v32, s7
	ds_read_b128 v[28:31], v22
	v_cmp_ne_u16_sdwa s[12:13], v16, v23 src0_sel:BYTE_0 src1_sel:DWORD
	s_waitcnt lgkmcnt(0)
	v_mfma_f32_16x16x16bf16_1k v[32:35], v[14:15], v[28:29], 0
	v_perm_b32 v15, v25, v24, s7
	v_perm_b32 v14, v18, v21, s7
	s_nop 1
	v_mfma_f32_16x16x16bf16_1k v[18:21], v[14:15], v[30:31], v[32:35]
	s_and_saveexec_b64 s[10:11], s[12:13]
	s_cbranch_execz .LBB878_455
; %bb.450:
	s_movk_i32 s7, 0x80
	v_cmp_ne_u16_sdwa s[14:15], v16, s7 src0_sel:BYTE_0 src1_sel:DWORD
	v_mov_b32_e32 v23, 0xffff8000
	s_and_saveexec_b64 s[12:13], s[14:15]
	s_cbranch_execz .LBB878_454
; %bb.451:
	s_movk_i32 s7, 0x7f
	v_and_b32_e32 v14, 0x7f, v16
	v_cmp_ne_u32_e32 vcc, s7, v14
	v_mov_b32_e32 v23, 0x7f80
	s_and_saveexec_b64 s[14:15], vcc
	s_cbranch_execz .LBB878_453
; %bb.452:
	v_and_b32_e32 v15, 7, v16
	v_ffbh_u32_e32 v24, v15
	v_min_u32_e32 v27, 32, v24
	v_subrev_u32_e32 v24, 28, v27
	v_lshlrev_b64 v[24:25], v24, v[16:17]
	v_lshrrev_b32_e32 v23, 3, v14
	v_sub_u32_e32 v25, 29, v27
	v_and_b32_e32 v24, 7, v24
	v_cmp_gt_u32_e32 vcc, 8, v14
	v_cndmask_b32_e32 v14, v23, v25, vcc
	v_cndmask_b32_e32 v15, v15, v24, vcc
	v_lshlrev_b32_e32 v23, 24, v16
	v_bfrev_b32_e32 v24, 60
	v_lshlrev_b32_e32 v15, 20, v15
	v_and_b32_e32 v23, 0x80000000, v23
	v_lshl_add_u32 v14, v14, 23, v24
	v_or3_b32 v14, v23, v14, v15
	v_lshrrev_b32_e32 v23, 16, v14
.LBB878_453:
	s_or_b64 exec, exec, s[14:15]
.LBB878_454:
	s_or_b64 exec, exec, s[12:13]
.LBB878_455:
	s_or_b64 exec, exec, s[10:11]
	v_lshrrev_b16_e32 v14, 8, v16
	v_cmp_ne_u16_e32 vcc, 0, v14
	v_mov_b32_e32 v25, 0
	v_mov_b32_e32 v15, 0
	s_and_saveexec_b64 s[10:11], vcc
	s_cbranch_execz .LBB878_461
; %bb.456:
	s_movk_i32 s7, 0x80
	v_cmp_ne_u16_e32 vcc, s7, v14
	v_mov_b32_e32 v15, 0xffff8000
	s_and_saveexec_b64 s[12:13], vcc
	s_cbranch_execz .LBB878_460
; %bb.457:
	s_movk_i32 s7, 0x7f
	v_and_b32_e32 v24, 0x7f, v14
	v_cmp_ne_u32_e32 vcc, s7, v24
	v_mov_b32_e32 v15, 0x7f80
	s_and_saveexec_b64 s[14:15], vcc
	s_cbranch_execz .LBB878_459
; %bb.458:
	v_and_b32_e32 v27, 7, v14
	v_ffbh_u32_e32 v15, v27
	v_min_u32_e32 v29, 32, v15
	v_subrev_u32_e32 v15, 28, v29
	v_lshlrev_b64 v[14:15], v15, v[14:15]
	v_lshrrev_b32_e32 v28, 3, v24
	v_sub_u32_e32 v15, 29, v29
	v_and_b32_e32 v14, 7, v14
	v_cmp_gt_u32_e32 vcc, 8, v24
	v_cndmask_b32_e32 v15, v28, v15, vcc
	v_cndmask_b32_e32 v14, v27, v14, vcc
	v_lshlrev_b32_e32 v24, 16, v16
	v_bfrev_b32_e32 v27, 60
	v_lshlrev_b32_e32 v14, 20, v14
	v_and_b32_e32 v24, 0x80000000, v24
	v_lshl_add_u32 v15, v15, 23, v27
	v_or3_b32 v14, v24, v15, v14
	v_lshrrev_b32_e32 v15, 16, v14
.LBB878_459:
	s_or_b64 exec, exec, s[14:15]
.LBB878_460:
	s_or_b64 exec, exec, s[12:13]
.LBB878_461:
	s_or_b64 exec, exec, s[10:11]
	s_movk_i32 s7, 0xff
	v_and_b32_sdwa v24, v16, s7 dst_sel:DWORD dst_unused:UNUSED_PAD src0_sel:WORD_1 src1_sel:DWORD
	v_lshrrev_b32_e32 v14, 16, v16
	v_cmp_ne_u16_e32 vcc, 0, v24
	s_and_saveexec_b64 s[10:11], vcc
	s_cbranch_execz .LBB878_467
; %bb.462:
	s_movk_i32 s7, 0x80
	v_cmp_ne_u16_e32 vcc, s7, v24
	v_mov_b32_e32 v25, 0xffff8000
	s_and_saveexec_b64 s[12:13], vcc
	s_cbranch_execz .LBB878_466
; %bb.463:
	v_bfe_u32 v24, v16, 16, 7
	s_movk_i32 s7, 0x7f
	v_cmp_ne_u32_e32 vcc, s7, v24
	v_mov_b32_e32 v25, 0x7f80
	s_and_saveexec_b64 s[14:15], vcc
	s_cbranch_execz .LBB878_465
; %bb.464:
	v_and_b32_e32 v25, 7, v14
	v_ffbh_u32_e32 v28, v25
	v_min_u32_e32 v30, 32, v28
	v_subrev_u32_e32 v28, 28, v30
	v_lshlrev_b64 v[28:29], v28, v[14:15]
	v_and_b32_e32 v28, 7, v28
	v_cmp_gt_u32_e32 vcc, 8, v24
	v_lshrrev_b32_e32 v27, 3, v24
	v_sub_u32_e32 v14, 29, v30
	v_cndmask_b32_e32 v24, v25, v28, vcc
	v_mov_b32_e32 v25, 24
	v_cndmask_b32_e32 v14, v27, v14, vcc
	v_lshlrev_b32_sdwa v25, v25, v16 dst_sel:DWORD dst_unused:UNUSED_PAD src0_sel:DWORD src1_sel:WORD_1
	v_bfrev_b32_e32 v27, 60
	v_lshlrev_b32_e32 v24, 20, v24
	v_and_b32_e32 v25, 0x80000000, v25
	v_lshl_add_u32 v14, v14, 23, v27
	v_or3_b32 v14, v25, v14, v24
	v_lshrrev_b32_e32 v25, 16, v14
.LBB878_465:
	s_or_b64 exec, exec, s[14:15]
.LBB878_466:
	s_or_b64 exec, exec, s[12:13]
.LBB878_467:
	s_or_b64 exec, exec, s[10:11]
	s_mov_b32 s7, 0xffffff
	v_cmp_lt_u32_e32 vcc, s7, v16
	v_mov_b32_e32 v27, 0
	v_mov_b32_e32 v28, 0
	s_and_saveexec_b64 s[10:11], vcc
	s_cbranch_execz .LBB878_473
; %bb.468:
	v_lshrrev_b32_e32 v14, 24, v16
	s_movk_i32 s7, 0x80
	v_cmp_ne_u32_e32 vcc, s7, v14
	v_mov_b32_e32 v28, 0xffff8000
	s_and_saveexec_b64 s[12:13], vcc
	s_cbranch_execz .LBB878_472
; %bb.469:
	v_bfe_u32 v16, v16, 24, 7
	s_movk_i32 s7, 0x7f
	v_cmp_ne_u32_e32 vcc, s7, v16
	v_mov_b32_e32 v28, 0x7f80
	s_and_saveexec_b64 s[14:15], vcc
	s_cbranch_execz .LBB878_471
; %bb.470:
	v_and_b32_e32 v24, 7, v14
	v_ffbh_u32_e32 v28, v24
	v_min_u32_e32 v31, 32, v28
	v_subrev_u32_e32 v28, 28, v31
	v_lshlrev_b64 v[28:29], v28, v[14:15]
	v_lshrrev_b32_e32 v30, 3, v16
	v_sub_u32_e32 v29, 29, v31
	v_and_b32_e32 v28, 7, v28
	v_cmp_gt_u32_e32 vcc, 8, v16
	v_cndmask_b32_e32 v16, v30, v29, vcc
	v_cndmask_b32_e32 v24, v24, v28, vcc
	v_lshlrev_b32_e32 v14, 24, v14
	v_bfrev_b32_e32 v28, 60
	v_lshlrev_b32_e32 v24, 20, v24
	v_and_b32_e32 v14, 0x80000000, v14
	v_lshl_add_u32 v16, v16, 23, v28
	v_or3_b32 v14, v14, v16, v24
	v_lshrrev_b32_e32 v28, 16, v14
.LBB878_471:
	s_or_b64 exec, exec, s[14:15]
.LBB878_472:
	s_or_b64 exec, exec, s[12:13]
.LBB878_473:
	s_or_b64 exec, exec, s[10:11]
	v_cmp_ne_u16_sdwa s[12:13], v17, v27 src0_sel:BYTE_0 src1_sel:DWORD
	s_and_saveexec_b64 s[10:11], s[12:13]
	s_cbranch_execz .LBB878_479
; %bb.474:
	s_movk_i32 s7, 0x80
	v_cmp_ne_u16_sdwa s[14:15], v17, s7 src0_sel:BYTE_0 src1_sel:DWORD
	v_mov_b32_e32 v27, 0xffff8000
	s_and_saveexec_b64 s[12:13], s[14:15]
	s_cbranch_execz .LBB878_478
; %bb.475:
	s_movk_i32 s7, 0x7f
	v_and_b32_e32 v14, 0x7f, v17
	v_cmp_ne_u32_e32 vcc, s7, v14
	v_mov_b32_e32 v27, 0x7f80
	s_and_saveexec_b64 s[14:15], vcc
	s_cbranch_execz .LBB878_477
; %bb.476:
	v_and_b32_e32 v24, 7, v17
	v_ffbh_u32_e32 v29, v24
	v_min_u32_e32 v29, 32, v29
	v_mov_b32_e32 v16, v17
	v_subrev_u32_e32 v30, 28, v29
	v_lshlrev_b64 v[30:31], v30, v[16:17]
	v_lshrrev_b32_e32 v27, 3, v14
	v_sub_u32_e32 v16, 29, v29
	v_and_b32_e32 v29, 7, v30
	v_cmp_gt_u32_e32 vcc, 8, v14
	v_cndmask_b32_e32 v14, v27, v16, vcc
	v_cndmask_b32_e32 v16, v24, v29, vcc
	v_lshlrev_b32_e32 v24, 24, v17
	v_bfrev_b32_e32 v27, 60
	v_lshlrev_b32_e32 v16, 20, v16
	v_and_b32_e32 v24, 0x80000000, v24
	v_lshl_add_u32 v14, v14, 23, v27
	v_or3_b32 v14, v24, v14, v16
	v_lshrrev_b32_e32 v27, 16, v14
.LBB878_477:
	s_or_b64 exec, exec, s[14:15]
.LBB878_478:
	s_or_b64 exec, exec, s[12:13]
.LBB878_479:
	s_or_b64 exec, exec, s[10:11]
	v_lshrrev_b16_e32 v14, 8, v17
	v_cmp_ne_u16_e32 vcc, 0, v14
	v_mov_b32_e32 v29, 0
	v_mov_b32_e32 v16, 0
	s_and_saveexec_b64 s[10:11], vcc
	s_cbranch_execz .LBB878_485
; %bb.480:
	s_movk_i32 s7, 0x80
	v_cmp_ne_u16_e32 vcc, s7, v14
	v_mov_b32_e32 v16, 0xffff8000
	s_and_saveexec_b64 s[12:13], vcc
	s_cbranch_execz .LBB878_484
; %bb.481:
	s_movk_i32 s7, 0x7f
	v_and_b32_e32 v24, 0x7f, v14
	v_cmp_ne_u32_e32 vcc, s7, v24
	v_mov_b32_e32 v16, 0x7f80
	s_and_saveexec_b64 s[14:15], vcc
	s_cbranch_execz .LBB878_483
; %bb.482:
	v_and_b32_e32 v16, 7, v14
	v_ffbh_u32_e32 v30, v16
	v_min_u32_e32 v33, 32, v30
	v_subrev_u32_e32 v30, 28, v33
	v_lshlrev_b64 v[30:31], v30, v[14:15]
	v_lshrrev_b32_e32 v32, 3, v24
	v_sub_u32_e32 v14, 29, v33
	v_and_b32_e32 v30, 7, v30
	v_cmp_gt_u32_e32 vcc, 8, v24
	v_cndmask_b32_e32 v14, v32, v14, vcc
	v_cndmask_b32_e32 v16, v16, v30, vcc
	v_lshlrev_b32_e32 v24, 16, v17
	v_bfrev_b32_e32 v30, 60
	v_lshlrev_b32_e32 v16, 20, v16
	v_and_b32_e32 v24, 0x80000000, v24
	v_lshl_add_u32 v14, v14, 23, v30
	v_or3_b32 v14, v24, v14, v16
	v_lshrrev_b32_e32 v16, 16, v14
.LBB878_483:
	s_or_b64 exec, exec, s[14:15]
.LBB878_484:
	s_or_b64 exec, exec, s[12:13]
.LBB878_485:
	s_or_b64 exec, exec, s[10:11]
	s_movk_i32 s7, 0xff
	v_and_b32_sdwa v24, v17, s7 dst_sel:DWORD dst_unused:UNUSED_PAD src0_sel:WORD_1 src1_sel:DWORD
	v_lshrrev_b32_e32 v14, 16, v17
	v_cmp_ne_u16_e32 vcc, 0, v24
	s_and_saveexec_b64 s[10:11], vcc
	s_cbranch_execz .LBB878_491
; %bb.486:
	s_movk_i32 s7, 0x80
	v_cmp_ne_u16_e32 vcc, s7, v24
	v_mov_b32_e32 v29, 0xffff8000
	s_and_saveexec_b64 s[12:13], vcc
	s_cbranch_execz .LBB878_490
; %bb.487:
	v_bfe_u32 v24, v17, 16, 7
	s_movk_i32 s7, 0x7f
	v_cmp_ne_u32_e32 vcc, s7, v24
	v_mov_b32_e32 v29, 0x7f80
	s_and_saveexec_b64 s[14:15], vcc
	s_cbranch_execz .LBB878_489
; %bb.488:
	v_and_b32_e32 v29, 7, v14
	v_ffbh_u32_e32 v30, v29
	v_min_u32_e32 v33, 32, v30
	v_subrev_u32_e32 v30, 28, v33
	v_lshlrev_b64 v[30:31], v30, v[14:15]
	v_and_b32_e32 v30, 7, v30
	v_cmp_gt_u32_e32 vcc, 8, v24
	v_lshrrev_b32_e32 v32, 3, v24
	v_sub_u32_e32 v14, 29, v33
	v_cndmask_b32_e32 v24, v29, v30, vcc
	v_mov_b32_e32 v29, 24
	v_cndmask_b32_e32 v14, v32, v14, vcc
	v_lshlrev_b32_sdwa v29, v29, v17 dst_sel:DWORD dst_unused:UNUSED_PAD src0_sel:DWORD src1_sel:WORD_1
	v_bfrev_b32_e32 v30, 60
	v_lshlrev_b32_e32 v24, 20, v24
	v_and_b32_e32 v29, 0x80000000, v29
	v_lshl_add_u32 v14, v14, 23, v30
	v_or3_b32 v14, v29, v14, v24
	v_lshrrev_b32_e32 v29, 16, v14
.LBB878_489:
	s_or_b64 exec, exec, s[14:15]
.LBB878_490:
	s_or_b64 exec, exec, s[12:13]
.LBB878_491:
	s_or_b64 exec, exec, s[10:11]
	s_mov_b32 s7, 0xffffff
	v_cmp_lt_u32_e32 vcc, s7, v17
	v_mov_b32_e32 v24, 0
	v_mov_b32_e32 v30, 0
	s_and_saveexec_b64 s[10:11], vcc
	s_cbranch_execz .LBB878_497
; %bb.492:
	v_lshrrev_b32_e32 v14, 24, v17
	s_movk_i32 s7, 0x80
	v_cmp_ne_u32_e32 vcc, s7, v14
	v_mov_b32_e32 v30, 0xffff8000
	s_and_saveexec_b64 s[12:13], vcc
	s_cbranch_execz .LBB878_496
; %bb.493:
	v_bfe_u32 v17, v17, 24, 7
	s_movk_i32 s7, 0x7f
	v_cmp_ne_u32_e32 vcc, s7, v17
	v_mov_b32_e32 v30, 0x7f80
	s_and_saveexec_b64 s[14:15], vcc
	s_cbranch_execz .LBB878_495
; %bb.494:
	v_and_b32_e32 v32, 7, v14
	v_ffbh_u32_e32 v30, v32
	v_min_u32_e32 v34, 32, v30
	v_subrev_u32_e32 v30, 28, v34
	v_lshlrev_b64 v[30:31], v30, v[14:15]
	v_lshrrev_b32_e32 v33, 3, v17
	v_sub_u32_e32 v31, 29, v34
	v_and_b32_e32 v30, 7, v30
	v_cmp_gt_u32_e32 vcc, 8, v17
	v_cndmask_b32_e32 v17, v33, v31, vcc
	v_cndmask_b32_e32 v30, v32, v30, vcc
	v_lshlrev_b32_e32 v14, 24, v14
	v_bfrev_b32_e32 v31, 60
	v_lshlrev_b32_e32 v30, 20, v30
	v_and_b32_e32 v14, 0x80000000, v14
	v_lshl_add_u32 v17, v17, 23, v31
	v_or3_b32 v14, v14, v17, v30
	v_lshrrev_b32_e32 v30, 16, v14
.LBB878_495:
	s_or_b64 exec, exec, s[14:15]
.LBB878_496:
	s_or_b64 exec, exec, s[12:13]
.LBB878_497:
	s_or_b64 exec, exec, s[10:11]
	s_mov_b32 s7, 0x5040100
	v_perm_b32 v37, v28, v25, s7
	v_perm_b32 v36, v15, v23, s7
	ds_read_b128 v[32:35], v22 offset:16
	v_perm_b32 v15, v30, v29, s7
	v_perm_b32 v14, v16, v27, s7
	s_waitcnt lgkmcnt(0)
	v_mfma_f32_16x16x16bf16_1k v[18:21], v[36:37], v[32:33], v[18:21]
	s_waitcnt vmcnt(2)
	v_cmp_ne_u16_sdwa s[12:13], v10, v24 src0_sel:BYTE_0 src1_sel:DWORD
	v_mfma_f32_16x16x16bf16_1k v[14:17], v[14:15], v[34:35], v[18:21]
	s_and_saveexec_b64 s[10:11], s[12:13]
	s_cbranch_execz .LBB878_503
; %bb.498:
	s_movk_i32 s7, 0x80
	v_cmp_ne_u16_sdwa s[14:15], v10, s7 src0_sel:BYTE_0 src1_sel:DWORD
	v_mov_b32_e32 v24, 0xffff8000
	s_and_saveexec_b64 s[12:13], s[14:15]
	s_cbranch_execz .LBB878_502
; %bb.499:
	s_movk_i32 s7, 0x7f
	v_and_b32_e32 v18, 0x7f, v10
	v_cmp_ne_u32_e32 vcc, s7, v18
	v_mov_b32_e32 v24, 0x7f80
	s_and_saveexec_b64 s[14:15], vcc
	s_cbranch_execz .LBB878_501
; %bb.500:
	v_and_b32_e32 v19, 7, v10
	v_ffbh_u32_e32 v20, v19
	v_min_u32_e32 v24, 32, v20
	v_subrev_u32_e32 v20, 28, v24
	v_lshlrev_b64 v[20:21], v20, v[10:11]
	v_lshrrev_b32_e32 v23, 3, v18
	v_sub_u32_e32 v21, 29, v24
	v_and_b32_e32 v20, 7, v20
	v_cmp_gt_u32_e32 vcc, 8, v18
	v_cndmask_b32_e32 v18, v23, v21, vcc
	v_cndmask_b32_e32 v19, v19, v20, vcc
	v_lshlrev_b32_e32 v20, 24, v10
	v_bfrev_b32_e32 v21, 60
	v_lshlrev_b32_e32 v19, 20, v19
	v_and_b32_e32 v20, 0x80000000, v20
	v_lshl_add_u32 v18, v18, 23, v21
	v_or3_b32 v18, v20, v18, v19
	v_lshrrev_b32_e32 v24, 16, v18
.LBB878_501:
	s_or_b64 exec, exec, s[14:15]
.LBB878_502:
	s_or_b64 exec, exec, s[12:13]
.LBB878_503:
	s_or_b64 exec, exec, s[10:11]
	s_nop 4
	v_lshrrev_b16_e32 v18, 8, v10
	v_cmp_ne_u16_e32 vcc, 0, v18
	v_mov_b32_e32 v20, 0
	v_mov_b32_e32 v19, 0
	s_and_saveexec_b64 s[10:11], vcc
	s_cbranch_execz .LBB878_509
; %bb.504:
	s_movk_i32 s7, 0x80
	v_cmp_ne_u16_e32 vcc, s7, v18
	v_mov_b32_e32 v19, 0xffff8000
	s_and_saveexec_b64 s[12:13], vcc
	s_cbranch_execz .LBB878_508
; %bb.505:
	s_movk_i32 s7, 0x7f
	v_and_b32_e32 v21, 0x7f, v18
	v_cmp_ne_u32_e32 vcc, s7, v21
	v_mov_b32_e32 v19, 0x7f80
	s_and_saveexec_b64 s[14:15], vcc
	s_cbranch_execz .LBB878_507
; %bb.506:
	v_and_b32_e32 v23, 7, v18
	v_ffbh_u32_e32 v19, v23
	v_min_u32_e32 v27, 32, v19
	v_subrev_u32_e32 v19, 28, v27
	v_lshlrev_b64 v[18:19], v19, v[18:19]
	v_lshrrev_b32_e32 v25, 3, v21
	v_sub_u32_e32 v19, 29, v27
	v_and_b32_e32 v18, 7, v18
	v_cmp_gt_u32_e32 vcc, 8, v21
	v_cndmask_b32_e32 v19, v25, v19, vcc
	v_cndmask_b32_e32 v18, v23, v18, vcc
	v_lshlrev_b32_e32 v21, 16, v10
	v_bfrev_b32_e32 v23, 60
	v_lshlrev_b32_e32 v18, 20, v18
	v_and_b32_e32 v21, 0x80000000, v21
	v_lshl_add_u32 v19, v19, 23, v23
	v_or3_b32 v18, v21, v19, v18
	v_lshrrev_b32_e32 v19, 16, v18
.LBB878_507:
	s_or_b64 exec, exec, s[14:15]
.LBB878_508:
	s_or_b64 exec, exec, s[12:13]
.LBB878_509:
	s_or_b64 exec, exec, s[10:11]
	s_movk_i32 s7, 0xff
	v_and_b32_sdwa v21, v10, s7 dst_sel:DWORD dst_unused:UNUSED_PAD src0_sel:WORD_1 src1_sel:DWORD
	v_lshrrev_b32_e32 v18, 16, v10
	v_cmp_ne_u16_e32 vcc, 0, v21
	s_and_saveexec_b64 s[10:11], vcc
	s_cbranch_execz .LBB878_515
; %bb.510:
	s_movk_i32 s7, 0x80
	v_cmp_ne_u16_e32 vcc, s7, v21
	v_mov_b32_e32 v20, 0xffff8000
	s_and_saveexec_b64 s[12:13], vcc
	s_cbranch_execz .LBB878_514
; %bb.511:
	v_bfe_u32 v21, v10, 16, 7
	s_movk_i32 s7, 0x7f
	v_cmp_ne_u32_e32 vcc, s7, v21
	v_mov_b32_e32 v20, 0x7f80
	s_and_saveexec_b64 s[14:15], vcc
	s_cbranch_execz .LBB878_513
; %bb.512:
	v_and_b32_e32 v20, 7, v18
	v_ffbh_u32_e32 v25, v20
	v_min_u32_e32 v25, 32, v25
	v_subrev_u32_e32 v27, 28, v25
	v_lshlrev_b64 v[28:29], v27, v[18:19]
	v_lshrrev_b32_e32 v23, 3, v21
	v_sub_u32_e32 v18, 29, v25
	v_and_b32_e32 v25, 7, v28
	v_cmp_gt_u32_e32 vcc, 8, v21
	v_mov_b32_e32 v21, 24
	v_cndmask_b32_e32 v18, v23, v18, vcc
	v_cndmask_b32_e32 v20, v20, v25, vcc
	v_lshlrev_b32_sdwa v21, v21, v10 dst_sel:DWORD dst_unused:UNUSED_PAD src0_sel:DWORD src1_sel:WORD_1
	v_bfrev_b32_e32 v23, 60
	v_lshlrev_b32_e32 v20, 20, v20
	v_and_b32_e32 v21, 0x80000000, v21
	v_lshl_add_u32 v18, v18, 23, v23
	v_or3_b32 v18, v21, v18, v20
	v_lshrrev_b32_e32 v20, 16, v18
.LBB878_513:
	s_or_b64 exec, exec, s[14:15]
.LBB878_514:
	s_or_b64 exec, exec, s[12:13]
.LBB878_515:
	s_or_b64 exec, exec, s[10:11]
	s_mov_b32 s7, 0xffffff
	v_cmp_lt_u32_e32 vcc, s7, v10
	v_mov_b32_e32 v21, 0
	v_mov_b32_e32 v23, 0
	s_and_saveexec_b64 s[10:11], vcc
	s_cbranch_execz .LBB878_521
; %bb.516:
	v_lshrrev_b32_e32 v18, 24, v10
	s_movk_i32 s7, 0x80
	v_cmp_ne_u32_e32 vcc, s7, v18
	v_mov_b32_e32 v23, 0xffff8000
	s_and_saveexec_b64 s[12:13], vcc
	s_cbranch_execz .LBB878_520
; %bb.517:
	v_bfe_u32 v10, v10, 24, 7
	s_movk_i32 s7, 0x7f
	v_cmp_ne_u32_e32 vcc, s7, v10
	v_mov_b32_e32 v23, 0x7f80
	s_and_saveexec_b64 s[14:15], vcc
	s_cbranch_execz .LBB878_519
; %bb.518:
	v_and_b32_e32 v23, 7, v18
	v_ffbh_u32_e32 v27, v23
	v_min_u32_e32 v27, 32, v27
	v_subrev_u32_e32 v28, 28, v27
	v_lshlrev_b64 v[28:29], v28, v[18:19]
	v_lshrrev_b32_e32 v25, 3, v10
	v_sub_u32_e32 v27, 29, v27
	v_and_b32_e32 v28, 7, v28
	v_cmp_gt_u32_e32 vcc, 8, v10
	v_cndmask_b32_e32 v10, v25, v27, vcc
	v_cndmask_b32_e32 v23, v23, v28, vcc
	v_lshlrev_b32_e32 v18, 24, v18
	v_bfrev_b32_e32 v25, 60
	v_lshlrev_b32_e32 v23, 20, v23
	v_and_b32_e32 v18, 0x80000000, v18
	v_lshl_add_u32 v10, v10, 23, v25
	v_or3_b32 v10, v18, v10, v23
	v_lshrrev_b32_e32 v23, 16, v10
.LBB878_519:
	s_or_b64 exec, exec, s[14:15]
.LBB878_520:
	s_or_b64 exec, exec, s[12:13]
.LBB878_521:
	s_or_b64 exec, exec, s[10:11]
	v_cmp_ne_u16_sdwa s[12:13], v11, v21 src0_sel:BYTE_0 src1_sel:DWORD
	s_and_saveexec_b64 s[10:11], s[12:13]
	s_cbranch_execz .LBB878_527
; %bb.522:
	s_movk_i32 s7, 0x80
	v_cmp_ne_u16_sdwa s[14:15], v11, s7 src0_sel:BYTE_0 src1_sel:DWORD
	v_mov_b32_e32 v21, 0xffff8000
	s_and_saveexec_b64 s[12:13], s[14:15]
	s_cbranch_execz .LBB878_526
; %bb.523:
	s_movk_i32 s7, 0x7f
	v_and_b32_e32 v10, 0x7f, v11
	v_cmp_ne_u32_e32 vcc, s7, v10
	v_mov_b32_e32 v21, 0x7f80
	s_and_saveexec_b64 s[14:15], vcc
	s_cbranch_execz .LBB878_525
; %bb.524:
	v_and_b32_e32 v21, 7, v11
	v_ffbh_u32_e32 v27, v21
	v_min_u32_e32 v27, 32, v27
	v_mov_b32_e32 v18, v11
	v_subrev_u32_e32 v28, 28, v27
	v_lshlrev_b64 v[28:29], v28, v[18:19]
	v_lshrrev_b32_e32 v25, 3, v10
	v_sub_u32_e32 v18, 29, v27
	v_and_b32_e32 v27, 7, v28
	v_cmp_gt_u32_e32 vcc, 8, v10
	v_cndmask_b32_e32 v10, v25, v18, vcc
	v_cndmask_b32_e32 v18, v21, v27, vcc
	v_lshlrev_b32_e32 v21, 24, v11
	v_bfrev_b32_e32 v25, 60
	v_lshlrev_b32_e32 v18, 20, v18
	v_and_b32_e32 v21, 0x80000000, v21
	v_lshl_add_u32 v10, v10, 23, v25
	v_or3_b32 v10, v21, v10, v18
	v_lshrrev_b32_e32 v21, 16, v10
.LBB878_525:
	s_or_b64 exec, exec, s[14:15]
.LBB878_526:
	s_or_b64 exec, exec, s[12:13]
.LBB878_527:
	s_or_b64 exec, exec, s[10:11]
	v_lshrrev_b16_e32 v10, 8, v11
	v_cmp_ne_u16_e32 vcc, 0, v10
	v_mov_b32_e32 v27, 0
	v_mov_b32_e32 v25, 0
	s_and_saveexec_b64 s[10:11], vcc
	s_cbranch_execz .LBB878_533
; %bb.528:
	s_movk_i32 s7, 0x80
	v_cmp_ne_u16_e32 vcc, s7, v10
	v_mov_b32_e32 v25, 0xffff8000
	s_and_saveexec_b64 s[12:13], vcc
	s_cbranch_execz .LBB878_532
; %bb.529:
	s_movk_i32 s7, 0x7f
	v_and_b32_e32 v18, 0x7f, v10
	v_cmp_ne_u32_e32 vcc, s7, v18
	v_mov_b32_e32 v25, 0x7f80
	s_and_saveexec_b64 s[14:15], vcc
	s_cbranch_execz .LBB878_531
; %bb.530:
	v_and_b32_e32 v25, 7, v10
	v_ffbh_u32_e32 v28, v25
	v_min_u32_e32 v31, 32, v28
	v_subrev_u32_e32 v28, 28, v31
	v_lshlrev_b64 v[28:29], v28, v[10:11]
	v_lshrrev_b32_e32 v30, 3, v18
	v_sub_u32_e32 v10, 29, v31
	v_and_b32_e32 v28, 7, v28
	v_cmp_gt_u32_e32 vcc, 8, v18
	v_cndmask_b32_e32 v10, v30, v10, vcc
	v_cndmask_b32_e32 v18, v25, v28, vcc
	v_lshlrev_b32_e32 v25, 16, v11
	v_bfrev_b32_e32 v28, 60
	v_lshlrev_b32_e32 v18, 20, v18
	v_and_b32_e32 v25, 0x80000000, v25
	v_lshl_add_u32 v10, v10, 23, v28
	v_or3_b32 v10, v25, v10, v18
	v_lshrrev_b32_e32 v25, 16, v10
.LBB878_531:
	s_or_b64 exec, exec, s[14:15]
.LBB878_532:
	s_or_b64 exec, exec, s[12:13]
.LBB878_533:
	s_or_b64 exec, exec, s[10:11]
	s_movk_i32 s7, 0xff
	v_and_b32_sdwa v18, v11, s7 dst_sel:DWORD dst_unused:UNUSED_PAD src0_sel:WORD_1 src1_sel:DWORD
	v_lshrrev_b32_e32 v10, 16, v11
	v_cmp_ne_u16_e32 vcc, 0, v18
	s_and_saveexec_b64 s[10:11], vcc
	s_cbranch_execz .LBB878_539
; %bb.534:
	s_movk_i32 s7, 0x80
	v_cmp_ne_u16_e32 vcc, s7, v18
	v_mov_b32_e32 v27, 0xffff8000
	s_and_saveexec_b64 s[12:13], vcc
	s_cbranch_execz .LBB878_538
; %bb.535:
	v_bfe_u32 v18, v11, 16, 7
	s_movk_i32 s7, 0x7f
	v_cmp_ne_u32_e32 vcc, s7, v18
	v_mov_b32_e32 v27, 0x7f80
	s_and_saveexec_b64 s[14:15], vcc
	s_cbranch_execz .LBB878_537
; %bb.536:
	v_and_b32_e32 v27, 7, v10
	v_ffbh_u32_e32 v28, v27
	v_min_u32_e32 v31, 32, v28
	v_subrev_u32_e32 v28, 28, v31
	v_lshlrev_b64 v[28:29], v28, v[10:11]
	v_and_b32_e32 v28, 7, v28
	v_cmp_gt_u32_e32 vcc, 8, v18
	v_lshrrev_b32_e32 v30, 3, v18
	v_sub_u32_e32 v10, 29, v31
	v_cndmask_b32_e32 v18, v27, v28, vcc
	v_mov_b32_e32 v27, 24
	v_cndmask_b32_e32 v10, v30, v10, vcc
	v_lshlrev_b32_sdwa v27, v27, v11 dst_sel:DWORD dst_unused:UNUSED_PAD src0_sel:DWORD src1_sel:WORD_1
	v_bfrev_b32_e32 v28, 60
	v_lshlrev_b32_e32 v18, 20, v18
	v_and_b32_e32 v27, 0x80000000, v27
	v_lshl_add_u32 v10, v10, 23, v28
	v_or3_b32 v10, v27, v10, v18
	v_lshrrev_b32_e32 v27, 16, v10
.LBB878_537:
	s_or_b64 exec, exec, s[14:15]
.LBB878_538:
	s_or_b64 exec, exec, s[12:13]
.LBB878_539:
	s_or_b64 exec, exec, s[10:11]
	s_mov_b32 s7, 0xffffff
	v_cmp_lt_u32_e32 vcc, s7, v11
	v_mov_b32_e32 v18, 0
	v_mov_b32_e32 v28, 0
	s_and_saveexec_b64 s[10:11], vcc
	s_cbranch_execz .LBB878_545
; %bb.540:
	v_lshrrev_b32_e32 v10, 24, v11
	s_movk_i32 s7, 0x80
	v_cmp_ne_u32_e32 vcc, s7, v10
	v_mov_b32_e32 v28, 0xffff8000
	s_and_saveexec_b64 s[12:13], vcc
	s_cbranch_execz .LBB878_544
; %bb.541:
	v_bfe_u32 v11, v11, 24, 7
	s_movk_i32 s7, 0x7f
	v_cmp_ne_u32_e32 vcc, s7, v11
	v_mov_b32_e32 v28, 0x7f80
	s_and_saveexec_b64 s[14:15], vcc
	s_cbranch_execz .LBB878_543
; %bb.542:
	v_and_b32_e32 v30, 7, v10
	v_ffbh_u32_e32 v28, v30
	v_min_u32_e32 v32, 32, v28
	v_subrev_u32_e32 v28, 28, v32
	v_lshlrev_b64 v[28:29], v28, v[10:11]
	v_lshrrev_b32_e32 v31, 3, v11
	v_sub_u32_e32 v29, 29, v32
	v_and_b32_e32 v28, 7, v28
	v_cmp_gt_u32_e32 vcc, 8, v11
	v_cndmask_b32_e32 v11, v31, v29, vcc
	v_cndmask_b32_e32 v28, v30, v28, vcc
	v_lshlrev_b32_e32 v10, 24, v10
	v_bfrev_b32_e32 v29, 60
	v_lshlrev_b32_e32 v28, 20, v28
	v_and_b32_e32 v10, 0x80000000, v10
	v_lshl_add_u32 v11, v11, 23, v29
	v_or3_b32 v10, v10, v11, v28
	v_lshrrev_b32_e32 v28, 16, v10
.LBB878_543:
	s_or_b64 exec, exec, s[14:15]
.LBB878_544:
	s_or_b64 exec, exec, s[12:13]
.LBB878_545:
	s_or_b64 exec, exec, s[10:11]
	s_mov_b32 s7, 0x5040100
	v_perm_b32 v11, v23, v20, s7
	v_perm_b32 v10, v19, v24, s7
	ds_read_b128 v[30:33], v22 offset:2048
	v_cmp_ne_u16_sdwa s[12:13], v12, v18 src0_sel:BYTE_0 src1_sel:DWORD
	s_waitcnt lgkmcnt(0)
	v_mfma_f32_16x16x16bf16_1k v[14:17], v[10:11], v[30:31], v[14:17]
	v_perm_b32 v11, v28, v27, s7
	v_perm_b32 v10, v25, v21, s7
	s_nop 1
	v_mfma_f32_16x16x16bf16_1k v[14:17], v[10:11], v[32:33], v[14:17]
	s_and_saveexec_b64 s[10:11], s[12:13]
	s_cbranch_execz .LBB878_551
; %bb.546:
	s_movk_i32 s7, 0x80
	v_cmp_ne_u16_sdwa s[14:15], v12, s7 src0_sel:BYTE_0 src1_sel:DWORD
	v_mov_b32_e32 v18, 0xffff8000
	s_and_saveexec_b64 s[12:13], s[14:15]
	s_cbranch_execz .LBB878_550
; %bb.547:
	s_movk_i32 s7, 0x7f
	v_and_b32_e32 v10, 0x7f, v12
	v_cmp_ne_u32_e32 vcc, s7, v10
	v_mov_b32_e32 v18, 0x7f80
	s_and_saveexec_b64 s[14:15], vcc
	s_cbranch_execz .LBB878_549
; %bb.548:
	v_and_b32_e32 v11, 7, v12
	v_ffbh_u32_e32 v18, v11
	v_min_u32_e32 v21, 32, v18
	v_subrev_u32_e32 v18, 28, v21
	v_lshlrev_b64 v[18:19], v18, v[12:13]
	v_lshrrev_b32_e32 v20, 3, v10
	v_sub_u32_e32 v19, 29, v21
	v_and_b32_e32 v18, 7, v18
	v_cmp_gt_u32_e32 vcc, 8, v10
	v_cndmask_b32_e32 v10, v20, v19, vcc
	v_cndmask_b32_e32 v11, v11, v18, vcc
	v_lshlrev_b32_e32 v18, 24, v12
	v_bfrev_b32_e32 v19, 60
	v_lshlrev_b32_e32 v11, 20, v11
	v_and_b32_e32 v18, 0x80000000, v18
	v_lshl_add_u32 v10, v10, 23, v19
	v_or3_b32 v10, v18, v10, v11
	v_lshrrev_b32_e32 v18, 16, v10
.LBB878_549:
	s_or_b64 exec, exec, s[14:15]
.LBB878_550:
	s_or_b64 exec, exec, s[12:13]
.LBB878_551:
	s_or_b64 exec, exec, s[10:11]
	v_lshrrev_b16_e32 v10, 8, v12
	v_cmp_ne_u16_e32 vcc, 0, v10
	v_mov_b32_e32 v20, 0
	v_mov_b32_e32 v11, 0
	s_and_saveexec_b64 s[10:11], vcc
	s_cbranch_execz .LBB878_557
; %bb.552:
	s_movk_i32 s7, 0x80
	v_cmp_ne_u16_e32 vcc, s7, v10
	v_mov_b32_e32 v11, 0xffff8000
	s_and_saveexec_b64 s[12:13], vcc
	s_cbranch_execz .LBB878_556
; %bb.553:
	s_movk_i32 s7, 0x7f
	v_and_b32_e32 v19, 0x7f, v10
	v_cmp_ne_u32_e32 vcc, s7, v19
	v_mov_b32_e32 v11, 0x7f80
	s_and_saveexec_b64 s[14:15], vcc
	s_cbranch_execz .LBB878_555
; %bb.554:
	v_and_b32_e32 v21, 7, v10
	v_ffbh_u32_e32 v11, v21
	v_min_u32_e32 v24, 32, v11
	v_subrev_u32_e32 v11, 28, v24
	v_lshlrev_b64 v[10:11], v11, v[10:11]
	v_lshrrev_b32_e32 v23, 3, v19
	v_sub_u32_e32 v11, 29, v24
	v_and_b32_e32 v10, 7, v10
	v_cmp_gt_u32_e32 vcc, 8, v19
	v_cndmask_b32_e32 v11, v23, v11, vcc
	v_cndmask_b32_e32 v10, v21, v10, vcc
	v_lshlrev_b32_e32 v19, 16, v12
	v_bfrev_b32_e32 v21, 60
	v_lshlrev_b32_e32 v10, 20, v10
	v_and_b32_e32 v19, 0x80000000, v19
	v_lshl_add_u32 v11, v11, 23, v21
	v_or3_b32 v10, v19, v11, v10
	v_lshrrev_b32_e32 v11, 16, v10
.LBB878_555:
	s_or_b64 exec, exec, s[14:15]
.LBB878_556:
	s_or_b64 exec, exec, s[12:13]
.LBB878_557:
	s_or_b64 exec, exec, s[10:11]
	s_movk_i32 s7, 0xff
	v_and_b32_sdwa v19, v12, s7 dst_sel:DWORD dst_unused:UNUSED_PAD src0_sel:WORD_1 src1_sel:DWORD
	v_lshrrev_b32_e32 v10, 16, v12
	v_cmp_ne_u16_e32 vcc, 0, v19
	s_and_saveexec_b64 s[10:11], vcc
	s_cbranch_execz .LBB878_563
; %bb.558:
	s_movk_i32 s7, 0x80
	v_cmp_ne_u16_e32 vcc, s7, v19
	v_mov_b32_e32 v20, 0xffff8000
	s_and_saveexec_b64 s[12:13], vcc
	s_cbranch_execz .LBB878_562
; %bb.559:
	v_bfe_u32 v19, v12, 16, 7
	s_movk_i32 s7, 0x7f
	v_cmp_ne_u32_e32 vcc, s7, v19
	v_mov_b32_e32 v20, 0x7f80
	s_and_saveexec_b64 s[14:15], vcc
	s_cbranch_execz .LBB878_561
; %bb.560:
	v_and_b32_e32 v23, 7, v10
	v_ffbh_u32_e32 v20, v23
	v_min_u32_e32 v25, 32, v20
	v_subrev_u32_e32 v20, 28, v25
	v_lshlrev_b64 v[20:21], v20, v[10:11]
	v_and_b32_e32 v20, 7, v20
	v_cmp_gt_u32_e32 vcc, 8, v19
	v_lshrrev_b32_e32 v24, 3, v19
	v_sub_u32_e32 v10, 29, v25
	v_cndmask_b32_e32 v19, v23, v20, vcc
	v_mov_b32_e32 v20, 24
	v_cndmask_b32_e32 v10, v24, v10, vcc
	v_lshlrev_b32_sdwa v20, v20, v12 dst_sel:DWORD dst_unused:UNUSED_PAD src0_sel:DWORD src1_sel:WORD_1
	v_bfrev_b32_e32 v21, 60
	v_lshlrev_b32_e32 v19, 20, v19
	v_and_b32_e32 v20, 0x80000000, v20
	v_lshl_add_u32 v10, v10, 23, v21
	v_or3_b32 v10, v20, v10, v19
	v_lshrrev_b32_e32 v20, 16, v10
.LBB878_561:
	s_or_b64 exec, exec, s[14:15]
.LBB878_562:
	s_or_b64 exec, exec, s[12:13]
.LBB878_563:
	s_or_b64 exec, exec, s[10:11]
	s_mov_b32 s7, 0xffffff
	v_cmp_lt_u32_e32 vcc, s7, v12
	v_mov_b32_e32 v21, 0
	v_mov_b32_e32 v23, 0
	s_and_saveexec_b64 s[10:11], vcc
	s_cbranch_execz .LBB878_569
; %bb.564:
	v_lshrrev_b32_e32 v10, 24, v12
	s_movk_i32 s7, 0x80
	v_cmp_ne_u32_e32 vcc, s7, v10
	v_mov_b32_e32 v23, 0xffff8000
	s_and_saveexec_b64 s[12:13], vcc
	s_cbranch_execz .LBB878_568
; %bb.565:
	v_bfe_u32 v12, v12, 24, 7
	s_movk_i32 s7, 0x7f
	v_cmp_ne_u32_e32 vcc, s7, v12
	v_mov_b32_e32 v23, 0x7f80
	s_and_saveexec_b64 s[14:15], vcc
	s_cbranch_execz .LBB878_567
; %bb.566:
	v_and_b32_e32 v19, 7, v10
	v_ffbh_u32_e32 v24, v19
	v_min_u32_e32 v27, 32, v24
	v_subrev_u32_e32 v24, 28, v27
	v_lshlrev_b64 v[24:25], v24, v[10:11]
	v_lshrrev_b32_e32 v23, 3, v12
	v_sub_u32_e32 v25, 29, v27
	v_and_b32_e32 v24, 7, v24
	v_cmp_gt_u32_e32 vcc, 8, v12
	v_cndmask_b32_e32 v12, v23, v25, vcc
	v_cndmask_b32_e32 v19, v19, v24, vcc
	v_lshlrev_b32_e32 v10, 24, v10
	v_bfrev_b32_e32 v23, 60
	v_lshlrev_b32_e32 v19, 20, v19
	v_and_b32_e32 v10, 0x80000000, v10
	v_lshl_add_u32 v12, v12, 23, v23
	v_or3_b32 v10, v10, v12, v19
	v_lshrrev_b32_e32 v23, 16, v10
.LBB878_567:
	s_or_b64 exec, exec, s[14:15]
.LBB878_568:
	s_or_b64 exec, exec, s[12:13]
.LBB878_569:
	s_or_b64 exec, exec, s[10:11]
	v_cmp_ne_u16_sdwa s[12:13], v13, v21 src0_sel:BYTE_0 src1_sel:DWORD
	s_and_saveexec_b64 s[10:11], s[12:13]
	s_cbranch_execz .LBB878_575
; %bb.570:
	s_movk_i32 s7, 0x80
	v_cmp_ne_u16_sdwa s[14:15], v13, s7 src0_sel:BYTE_0 src1_sel:DWORD
	v_mov_b32_e32 v21, 0xffff8000
	s_and_saveexec_b64 s[12:13], s[14:15]
	s_cbranch_execz .LBB878_574
; %bb.571:
	s_movk_i32 s7, 0x7f
	v_and_b32_e32 v10, 0x7f, v13
	v_cmp_ne_u32_e32 vcc, s7, v10
	v_mov_b32_e32 v21, 0x7f80
	s_and_saveexec_b64 s[14:15], vcc
	s_cbranch_execz .LBB878_573
; %bb.572:
	v_and_b32_e32 v19, 7, v13
	v_ffbh_u32_e32 v24, v19
	v_min_u32_e32 v27, 32, v24
	v_mov_b32_e32 v12, v13
	v_subrev_u32_e32 v24, 28, v27
	v_lshlrev_b64 v[24:25], v24, v[12:13]
	v_lshrrev_b32_e32 v21, 3, v10
	v_sub_u32_e32 v12, 29, v27
	v_and_b32_e32 v24, 7, v24
	v_cmp_gt_u32_e32 vcc, 8, v10
	v_cndmask_b32_e32 v10, v21, v12, vcc
	v_cndmask_b32_e32 v12, v19, v24, vcc
	v_lshlrev_b32_e32 v19, 24, v13
	v_bfrev_b32_e32 v21, 60
	v_lshlrev_b32_e32 v12, 20, v12
	v_and_b32_e32 v19, 0x80000000, v19
	v_lshl_add_u32 v10, v10, 23, v21
	v_or3_b32 v10, v19, v10, v12
	v_lshrrev_b32_e32 v21, 16, v10
.LBB878_573:
	s_or_b64 exec, exec, s[14:15]
.LBB878_574:
	s_or_b64 exec, exec, s[12:13]
.LBB878_575:
	s_or_b64 exec, exec, s[10:11]
	v_lshrrev_b16_e32 v10, 8, v13
	v_cmp_ne_u16_e32 vcc, 0, v10
	v_mov_b32_e32 v24, 0
	v_mov_b32_e32 v12, 0
	s_and_saveexec_b64 s[10:11], vcc
	s_cbranch_execz .LBB878_581
; %bb.576:
	s_movk_i32 s7, 0x80
	v_cmp_ne_u16_e32 vcc, s7, v10
	v_mov_b32_e32 v12, 0xffff8000
	s_and_saveexec_b64 s[12:13], vcc
	s_cbranch_execz .LBB878_580
; %bb.577:
	s_movk_i32 s7, 0x7f
	v_and_b32_e32 v19, 0x7f, v10
	v_cmp_ne_u32_e32 vcc, s7, v19
	v_mov_b32_e32 v12, 0x7f80
	s_and_saveexec_b64 s[14:15], vcc
	s_cbranch_execz .LBB878_579
; %bb.578:
	v_and_b32_e32 v12, 7, v10
	v_ffbh_u32_e32 v27, v12
	v_min_u32_e32 v27, 32, v27
	v_subrev_u32_e32 v28, 28, v27
	v_lshlrev_b64 v[28:29], v28, v[10:11]
	v_lshrrev_b32_e32 v25, 3, v19
	v_sub_u32_e32 v10, 29, v27
	v_and_b32_e32 v27, 7, v28
	v_cmp_gt_u32_e32 vcc, 8, v19
	v_cndmask_b32_e32 v10, v25, v10, vcc
	v_cndmask_b32_e32 v12, v12, v27, vcc
	v_lshlrev_b32_e32 v19, 16, v13
	v_bfrev_b32_e32 v25, 60
	v_lshlrev_b32_e32 v12, 20, v12
	v_and_b32_e32 v19, 0x80000000, v19
	v_lshl_add_u32 v10, v10, 23, v25
	v_or3_b32 v10, v19, v10, v12
	v_lshrrev_b32_e32 v12, 16, v10
.LBB878_579:
	s_or_b64 exec, exec, s[14:15]
.LBB878_580:
	s_or_b64 exec, exec, s[12:13]
.LBB878_581:
	s_or_b64 exec, exec, s[10:11]
	s_movk_i32 s7, 0xff
	v_and_b32_sdwa v19, v13, s7 dst_sel:DWORD dst_unused:UNUSED_PAD src0_sel:WORD_1 src1_sel:DWORD
	v_lshrrev_b32_e32 v10, 16, v13
	v_cmp_ne_u16_e32 vcc, 0, v19
	s_and_saveexec_b64 s[10:11], vcc
	s_cbranch_execz .LBB878_587
; %bb.582:
	s_movk_i32 s7, 0x80
	v_cmp_ne_u16_e32 vcc, s7, v19
	v_mov_b32_e32 v24, 0xffff8000
	s_and_saveexec_b64 s[12:13], vcc
	s_cbranch_execz .LBB878_586
; %bb.583:
	v_bfe_u32 v19, v13, 16, 7
	s_movk_i32 s7, 0x7f
	v_cmp_ne_u32_e32 vcc, s7, v19
	v_mov_b32_e32 v24, 0x7f80
	s_and_saveexec_b64 s[14:15], vcc
	s_cbranch_execz .LBB878_585
; %bb.584:
	v_and_b32_e32 v27, 7, v10
	v_ffbh_u32_e32 v24, v27
	v_min_u32_e32 v29, 32, v24
	v_subrev_u32_e32 v24, 28, v29
	v_lshlrev_b64 v[24:25], v24, v[10:11]
	v_and_b32_e32 v24, 7, v24
	v_cmp_gt_u32_e32 vcc, 8, v19
	v_lshrrev_b32_e32 v28, 3, v19
	v_sub_u32_e32 v10, 29, v29
	v_cndmask_b32_e32 v19, v27, v24, vcc
	v_mov_b32_e32 v24, 24
	v_cndmask_b32_e32 v10, v28, v10, vcc
	v_lshlrev_b32_sdwa v24, v24, v13 dst_sel:DWORD dst_unused:UNUSED_PAD src0_sel:DWORD src1_sel:WORD_1
	v_bfrev_b32_e32 v25, 60
	v_lshlrev_b32_e32 v19, 20, v19
	v_and_b32_e32 v24, 0x80000000, v24
	v_lshl_add_u32 v10, v10, 23, v25
	v_or3_b32 v10, v24, v10, v19
	v_lshrrev_b32_e32 v24, 16, v10
.LBB878_585:
	s_or_b64 exec, exec, s[14:15]
.LBB878_586:
	s_or_b64 exec, exec, s[12:13]
.LBB878_587:
	s_or_b64 exec, exec, s[10:11]
	s_mov_b32 s7, 0xffffff
	v_cmp_lt_u32_e32 vcc, s7, v13
	v_mov_b32_e32 v19, 0
	v_mov_b32_e32 v25, 0
	s_and_saveexec_b64 s[10:11], vcc
	s_cbranch_execz .LBB878_593
; %bb.588:
	v_lshrrev_b32_e32 v10, 24, v13
	s_movk_i32 s7, 0x80
	v_cmp_ne_u32_e32 vcc, s7, v10
	v_mov_b32_e32 v25, 0xffff8000
	s_and_saveexec_b64 s[12:13], vcc
	s_cbranch_execz .LBB878_592
; %bb.589:
	v_bfe_u32 v13, v13, 24, 7
	s_movk_i32 s7, 0x7f
	v_cmp_ne_u32_e32 vcc, s7, v13
	v_mov_b32_e32 v25, 0x7f80
	s_and_saveexec_b64 s[14:15], vcc
	s_cbranch_execz .LBB878_591
; %bb.590:
	v_and_b32_e32 v25, 7, v10
	v_ffbh_u32_e32 v28, v25
	v_min_u32_e32 v30, 32, v28
	v_subrev_u32_e32 v28, 28, v30
	v_lshlrev_b64 v[28:29], v28, v[10:11]
	v_lshrrev_b32_e32 v27, 3, v13
	v_sub_u32_e32 v29, 29, v30
	v_and_b32_e32 v28, 7, v28
	v_cmp_gt_u32_e32 vcc, 8, v13
	v_cndmask_b32_e32 v13, v27, v29, vcc
	v_cndmask_b32_e32 v25, v25, v28, vcc
	v_lshlrev_b32_e32 v10, 24, v10
	v_bfrev_b32_e32 v27, 60
	v_lshlrev_b32_e32 v25, 20, v25
	v_and_b32_e32 v10, 0x80000000, v10
	v_lshl_add_u32 v13, v13, 23, v27
	v_or3_b32 v10, v10, v13, v25
	v_lshrrev_b32_e32 v25, 16, v10
.LBB878_591:
	s_or_b64 exec, exec, s[14:15]
.LBB878_592:
	s_or_b64 exec, exec, s[12:13]
.LBB878_593:
	s_or_b64 exec, exec, s[10:11]
	s_mov_b32 s7, 0x5040100
	v_perm_b32 v33, v23, v20, s7
	v_perm_b32 v32, v11, v18, s7
	ds_read_b128 v[28:31], v22 offset:2064
	v_perm_b32 v11, v25, v24, s7
	v_perm_b32 v10, v12, v21, s7
	s_waitcnt lgkmcnt(0)
	v_mfma_f32_16x16x16bf16_1k v[14:17], v[32:33], v[28:29], v[14:17]
	s_waitcnt vmcnt(1)
	v_cmp_ne_u16_sdwa s[12:13], v6, v19 src0_sel:BYTE_0 src1_sel:DWORD
	v_mfma_f32_16x16x16bf16_1k v[10:13], v[10:11], v[30:31], v[14:17]
	s_and_saveexec_b64 s[10:11], s[12:13]
	s_cbranch_execz .LBB878_599
; %bb.594:
	s_movk_i32 s7, 0x80
	v_cmp_ne_u16_sdwa s[14:15], v6, s7 src0_sel:BYTE_0 src1_sel:DWORD
	v_mov_b32_e32 v19, 0xffff8000
	s_and_saveexec_b64 s[12:13], s[14:15]
	s_cbranch_execz .LBB878_598
; %bb.595:
	s_movk_i32 s7, 0x7f
	v_and_b32_e32 v14, 0x7f, v6
	v_cmp_ne_u32_e32 vcc, s7, v14
	v_mov_b32_e32 v19, 0x7f80
	s_and_saveexec_b64 s[14:15], vcc
	s_cbranch_execz .LBB878_597
; %bb.596:
	v_and_b32_e32 v15, 7, v6
	v_ffbh_u32_e32 v16, v15
	v_min_u32_e32 v19, 32, v16
	v_subrev_u32_e32 v16, 28, v19
	v_lshlrev_b64 v[16:17], v16, v[6:7]
	v_lshrrev_b32_e32 v18, 3, v14
	v_sub_u32_e32 v17, 29, v19
	v_and_b32_e32 v16, 7, v16
	v_cmp_gt_u32_e32 vcc, 8, v14
	v_cndmask_b32_e32 v14, v18, v17, vcc
	v_cndmask_b32_e32 v15, v15, v16, vcc
	v_lshlrev_b32_e32 v16, 24, v6
	v_bfrev_b32_e32 v17, 60
	v_lshlrev_b32_e32 v15, 20, v15
	v_and_b32_e32 v16, 0x80000000, v16
	v_lshl_add_u32 v14, v14, 23, v17
	v_or3_b32 v14, v16, v14, v15
	v_lshrrev_b32_e32 v19, 16, v14
.LBB878_597:
	s_or_b64 exec, exec, s[14:15]
.LBB878_598:
	s_or_b64 exec, exec, s[12:13]
.LBB878_599:
	s_or_b64 exec, exec, s[10:11]
	s_nop 4
	v_lshrrev_b16_e32 v14, 8, v6
	v_cmp_ne_u16_e32 vcc, 0, v14
	v_mov_b32_e32 v16, 0
	v_mov_b32_e32 v15, 0
	s_and_saveexec_b64 s[10:11], vcc
	s_cbranch_execz .LBB878_605
; %bb.600:
	s_movk_i32 s7, 0x80
	v_cmp_ne_u16_e32 vcc, s7, v14
	v_mov_b32_e32 v15, 0xffff8000
	s_and_saveexec_b64 s[12:13], vcc
	s_cbranch_execz .LBB878_604
; %bb.601:
	s_movk_i32 s7, 0x7f
	v_and_b32_e32 v17, 0x7f, v14
	v_cmp_ne_u32_e32 vcc, s7, v17
	v_mov_b32_e32 v15, 0x7f80
	s_and_saveexec_b64 s[14:15], vcc
	s_cbranch_execz .LBB878_603
; %bb.602:
	v_and_b32_e32 v18, 7, v14
	v_ffbh_u32_e32 v15, v18
	v_min_u32_e32 v21, 32, v15
	v_subrev_u32_e32 v15, 28, v21
	v_lshlrev_b64 v[14:15], v15, v[14:15]
	v_lshrrev_b32_e32 v20, 3, v17
	v_sub_u32_e32 v15, 29, v21
	v_and_b32_e32 v14, 7, v14
	v_cmp_gt_u32_e32 vcc, 8, v17
	v_cndmask_b32_e32 v15, v20, v15, vcc
	v_cndmask_b32_e32 v14, v18, v14, vcc
	v_lshlrev_b32_e32 v17, 16, v6
	v_bfrev_b32_e32 v18, 60
	v_lshlrev_b32_e32 v14, 20, v14
	v_and_b32_e32 v17, 0x80000000, v17
	v_lshl_add_u32 v15, v15, 23, v18
	v_or3_b32 v14, v17, v15, v14
	v_lshrrev_b32_e32 v15, 16, v14
.LBB878_603:
	s_or_b64 exec, exec, s[14:15]
.LBB878_604:
	s_or_b64 exec, exec, s[12:13]
.LBB878_605:
	s_or_b64 exec, exec, s[10:11]
	s_movk_i32 s7, 0xff
	v_and_b32_sdwa v17, v6, s7 dst_sel:DWORD dst_unused:UNUSED_PAD src0_sel:WORD_1 src1_sel:DWORD
	v_lshrrev_b32_e32 v14, 16, v6
	v_cmp_ne_u16_e32 vcc, 0, v17
	s_and_saveexec_b64 s[10:11], vcc
	s_cbranch_execz .LBB878_611
; %bb.606:
	s_movk_i32 s7, 0x80
	v_cmp_ne_u16_e32 vcc, s7, v17
	v_mov_b32_e32 v16, 0xffff8000
	s_and_saveexec_b64 s[12:13], vcc
	s_cbranch_execz .LBB878_610
; %bb.607:
	v_bfe_u32 v17, v6, 16, 7
	s_movk_i32 s7, 0x7f
	v_cmp_ne_u32_e32 vcc, s7, v17
	v_mov_b32_e32 v16, 0x7f80
	s_and_saveexec_b64 s[14:15], vcc
	s_cbranch_execz .LBB878_609
; %bb.608:
	v_and_b32_e32 v16, 7, v14
	v_ffbh_u32_e32 v20, v16
	v_min_u32_e32 v23, 32, v20
	v_subrev_u32_e32 v20, 28, v23
	v_lshlrev_b64 v[20:21], v20, v[14:15]
	v_lshrrev_b32_e32 v18, 3, v17
	v_sub_u32_e32 v14, 29, v23
	v_and_b32_e32 v20, 7, v20
	v_cmp_gt_u32_e32 vcc, 8, v17
	v_mov_b32_e32 v17, 24
	v_cndmask_b32_e32 v14, v18, v14, vcc
	v_cndmask_b32_e32 v16, v16, v20, vcc
	v_lshlrev_b32_sdwa v17, v17, v6 dst_sel:DWORD dst_unused:UNUSED_PAD src0_sel:DWORD src1_sel:WORD_1
	v_bfrev_b32_e32 v18, 60
	v_lshlrev_b32_e32 v16, 20, v16
	v_and_b32_e32 v17, 0x80000000, v17
	v_lshl_add_u32 v14, v14, 23, v18
	v_or3_b32 v14, v17, v14, v16
	v_lshrrev_b32_e32 v16, 16, v14
.LBB878_609:
	s_or_b64 exec, exec, s[14:15]
.LBB878_610:
	s_or_b64 exec, exec, s[12:13]
.LBB878_611:
	s_or_b64 exec, exec, s[10:11]
	s_mov_b32 s7, 0xffffff
	v_cmp_lt_u32_e32 vcc, s7, v6
	v_mov_b32_e32 v17, 0
	v_mov_b32_e32 v18, 0
	s_and_saveexec_b64 s[10:11], vcc
	s_cbranch_execz .LBB878_617
; %bb.612:
	v_lshrrev_b32_e32 v14, 24, v6
	s_movk_i32 s7, 0x80
	v_cmp_ne_u32_e32 vcc, s7, v14
	v_mov_b32_e32 v18, 0xffff8000
	s_and_saveexec_b64 s[12:13], vcc
	s_cbranch_execz .LBB878_616
; %bb.613:
	v_bfe_u32 v6, v6, 24, 7
	s_movk_i32 s7, 0x7f
	v_cmp_ne_u32_e32 vcc, s7, v6
	v_mov_b32_e32 v18, 0x7f80
	s_and_saveexec_b64 s[14:15], vcc
	s_cbranch_execz .LBB878_615
; %bb.614:
	v_and_b32_e32 v18, 7, v14
	v_ffbh_u32_e32 v20, v18
	v_min_u32_e32 v24, 32, v20
	v_subrev_u32_e32 v20, 28, v24
	v_lshlrev_b64 v[20:21], v20, v[14:15]
	v_lshrrev_b32_e32 v23, 3, v6
	v_sub_u32_e32 v21, 29, v24
	v_and_b32_e32 v20, 7, v20
	v_cmp_gt_u32_e32 vcc, 8, v6
	v_cndmask_b32_e32 v6, v23, v21, vcc
	v_cndmask_b32_e32 v18, v18, v20, vcc
	v_lshlrev_b32_e32 v14, 24, v14
	v_bfrev_b32_e32 v20, 60
	v_lshlrev_b32_e32 v18, 20, v18
	v_and_b32_e32 v14, 0x80000000, v14
	v_lshl_add_u32 v6, v6, 23, v20
	v_or3_b32 v6, v14, v6, v18
	v_lshrrev_b32_e32 v18, 16, v6
.LBB878_615:
	s_or_b64 exec, exec, s[14:15]
.LBB878_616:
	s_or_b64 exec, exec, s[12:13]
.LBB878_617:
	s_or_b64 exec, exec, s[10:11]
	v_cmp_ne_u16_sdwa s[12:13], v7, v17 src0_sel:BYTE_0 src1_sel:DWORD
	s_and_saveexec_b64 s[10:11], s[12:13]
	s_cbranch_execz .LBB878_623
; %bb.618:
	s_movk_i32 s7, 0x80
	v_cmp_ne_u16_sdwa s[14:15], v7, s7 src0_sel:BYTE_0 src1_sel:DWORD
	v_mov_b32_e32 v17, 0xffff8000
	s_and_saveexec_b64 s[12:13], s[14:15]
	s_cbranch_execz .LBB878_622
; %bb.619:
	s_movk_i32 s7, 0x7f
	v_and_b32_e32 v6, 0x7f, v7
	v_cmp_ne_u32_e32 vcc, s7, v6
	v_mov_b32_e32 v17, 0x7f80
	s_and_saveexec_b64 s[14:15], vcc
	s_cbranch_execz .LBB878_621
; %bb.620:
	v_and_b32_e32 v17, 7, v7
	v_ffbh_u32_e32 v20, v17
	v_min_u32_e32 v24, 32, v20
	v_mov_b32_e32 v14, v7
	v_subrev_u32_e32 v20, 28, v24
	v_lshlrev_b64 v[20:21], v20, v[14:15]
	v_lshrrev_b32_e32 v23, 3, v6
	v_sub_u32_e32 v14, 29, v24
	v_and_b32_e32 v20, 7, v20
	v_cmp_gt_u32_e32 vcc, 8, v6
	v_cndmask_b32_e32 v6, v23, v14, vcc
	v_cndmask_b32_e32 v14, v17, v20, vcc
	v_lshlrev_b32_e32 v17, 24, v7
	v_bfrev_b32_e32 v20, 60
	v_lshlrev_b32_e32 v14, 20, v14
	v_and_b32_e32 v17, 0x80000000, v17
	v_lshl_add_u32 v6, v6, 23, v20
	v_or3_b32 v6, v17, v6, v14
	v_lshrrev_b32_e32 v17, 16, v6
.LBB878_621:
	s_or_b64 exec, exec, s[14:15]
.LBB878_622:
	s_or_b64 exec, exec, s[12:13]
.LBB878_623:
	s_or_b64 exec, exec, s[10:11]
	v_lshrrev_b16_e32 v6, 8, v7
	v_cmp_ne_u16_e32 vcc, 0, v6
	v_mov_b32_e32 v21, 0
	v_mov_b32_e32 v20, 0
	s_and_saveexec_b64 s[10:11], vcc
	s_cbranch_execz .LBB878_629
; %bb.624:
	s_movk_i32 s7, 0x80
	v_cmp_ne_u16_e32 vcc, s7, v6
	v_mov_b32_e32 v20, 0xffff8000
	s_and_saveexec_b64 s[12:13], vcc
	s_cbranch_execz .LBB878_628
; %bb.625:
	s_movk_i32 s7, 0x7f
	v_and_b32_e32 v14, 0x7f, v6
	v_cmp_ne_u32_e32 vcc, s7, v14
	v_mov_b32_e32 v20, 0x7f80
	s_and_saveexec_b64 s[14:15], vcc
	s_cbranch_execz .LBB878_627
; %bb.626:
	v_and_b32_e32 v20, 7, v6
	v_ffbh_u32_e32 v24, v20
	v_min_u32_e32 v27, 32, v24
	v_subrev_u32_e32 v24, 28, v27
	v_lshlrev_b64 v[24:25], v24, v[6:7]
	v_lshrrev_b32_e32 v23, 3, v14
	v_sub_u32_e32 v6, 29, v27
	v_and_b32_e32 v24, 7, v24
	v_cmp_gt_u32_e32 vcc, 8, v14
	v_cndmask_b32_e32 v6, v23, v6, vcc
	v_cndmask_b32_e32 v14, v20, v24, vcc
	v_lshlrev_b32_e32 v20, 16, v7
	v_bfrev_b32_e32 v23, 60
	v_lshlrev_b32_e32 v14, 20, v14
	v_and_b32_e32 v20, 0x80000000, v20
	v_lshl_add_u32 v6, v6, 23, v23
	v_or3_b32 v6, v20, v6, v14
	v_lshrrev_b32_e32 v20, 16, v6
.LBB878_627:
	s_or_b64 exec, exec, s[14:15]
.LBB878_628:
	s_or_b64 exec, exec, s[12:13]
.LBB878_629:
	s_or_b64 exec, exec, s[10:11]
	s_movk_i32 s7, 0xff
	v_and_b32_sdwa v14, v7, s7 dst_sel:DWORD dst_unused:UNUSED_PAD src0_sel:WORD_1 src1_sel:DWORD
	v_lshrrev_b32_e32 v6, 16, v7
	v_cmp_ne_u16_e32 vcc, 0, v14
	s_and_saveexec_b64 s[10:11], vcc
	s_cbranch_execz .LBB878_635
; %bb.630:
	s_movk_i32 s7, 0x80
	v_cmp_ne_u16_e32 vcc, s7, v14
	v_mov_b32_e32 v21, 0xffff8000
	s_and_saveexec_b64 s[12:13], vcc
	s_cbranch_execz .LBB878_634
; %bb.631:
	v_bfe_u32 v14, v7, 16, 7
	s_movk_i32 s7, 0x7f
	v_cmp_ne_u32_e32 vcc, s7, v14
	v_mov_b32_e32 v21, 0x7f80
	s_and_saveexec_b64 s[14:15], vcc
	s_cbranch_execz .LBB878_633
; %bb.632:
	v_and_b32_e32 v21, 7, v6
	v_ffbh_u32_e32 v24, v21
	v_min_u32_e32 v27, 32, v24
	v_subrev_u32_e32 v24, 28, v27
	v_lshlrev_b64 v[24:25], v24, v[6:7]
	v_and_b32_e32 v24, 7, v24
	v_cmp_gt_u32_e32 vcc, 8, v14
	v_lshrrev_b32_e32 v23, 3, v14
	v_sub_u32_e32 v6, 29, v27
	v_cndmask_b32_e32 v14, v21, v24, vcc
	v_mov_b32_e32 v21, 24
	v_cndmask_b32_e32 v6, v23, v6, vcc
	v_lshlrev_b32_sdwa v21, v21, v7 dst_sel:DWORD dst_unused:UNUSED_PAD src0_sel:DWORD src1_sel:WORD_1
	v_bfrev_b32_e32 v23, 60
	v_lshlrev_b32_e32 v14, 20, v14
	v_and_b32_e32 v21, 0x80000000, v21
	v_lshl_add_u32 v6, v6, 23, v23
	v_or3_b32 v6, v21, v6, v14
	v_lshrrev_b32_e32 v21, 16, v6
.LBB878_633:
	s_or_b64 exec, exec, s[14:15]
.LBB878_634:
	s_or_b64 exec, exec, s[12:13]
.LBB878_635:
	s_or_b64 exec, exec, s[10:11]
	s_mov_b32 s7, 0xffffff
	v_cmp_lt_u32_e32 vcc, s7, v7
	v_mov_b32_e32 v14, 0
	v_mov_b32_e32 v23, 0
	s_and_saveexec_b64 s[10:11], vcc
	s_cbranch_execz .LBB878_641
; %bb.636:
	v_lshrrev_b32_e32 v6, 24, v7
	s_movk_i32 s7, 0x80
	v_cmp_ne_u32_e32 vcc, s7, v6
	v_mov_b32_e32 v23, 0xffff8000
	s_and_saveexec_b64 s[12:13], vcc
	s_cbranch_execz .LBB878_640
; %bb.637:
	v_bfe_u32 v7, v7, 24, 7
	s_movk_i32 s7, 0x7f
	v_cmp_ne_u32_e32 vcc, s7, v7
	v_mov_b32_e32 v23, 0x7f80
	s_and_saveexec_b64 s[14:15], vcc
	s_cbranch_execz .LBB878_639
; %bb.638:
	v_and_b32_e32 v23, 7, v6
	v_ffbh_u32_e32 v24, v23
	v_min_u32_e32 v28, 32, v24
	v_subrev_u32_e32 v24, 28, v28
	v_lshlrev_b64 v[24:25], v24, v[6:7]
	v_lshrrev_b32_e32 v27, 3, v7
	v_sub_u32_e32 v25, 29, v28
	v_and_b32_e32 v24, 7, v24
	v_cmp_gt_u32_e32 vcc, 8, v7
	v_cndmask_b32_e32 v7, v27, v25, vcc
	v_cndmask_b32_e32 v23, v23, v24, vcc
	v_lshlrev_b32_e32 v6, 24, v6
	v_bfrev_b32_e32 v24, 60
	v_lshlrev_b32_e32 v23, 20, v23
	v_and_b32_e32 v6, 0x80000000, v6
	v_lshl_add_u32 v7, v7, 23, v24
	v_or3_b32 v6, v6, v7, v23
	v_lshrrev_b32_e32 v23, 16, v6
.LBB878_639:
	s_or_b64 exec, exec, s[14:15]
.LBB878_640:
	s_or_b64 exec, exec, s[12:13]
.LBB878_641:
	s_or_b64 exec, exec, s[10:11]
	s_mov_b32 s7, 0x5040100
	v_perm_b32 v7, v18, v16, s7
	v_perm_b32 v6, v15, v19, s7
	ds_read_b128 v[28:31], v22 offset:4096
	v_cmp_ne_u16_sdwa s[12:13], v8, v14 src0_sel:BYTE_0 src1_sel:DWORD
	s_waitcnt lgkmcnt(0)
	v_mfma_f32_16x16x16bf16_1k v[10:13], v[6:7], v[28:29], v[10:13]
	v_perm_b32 v7, v23, v21, s7
	v_perm_b32 v6, v20, v17, s7
	s_nop 1
	v_mfma_f32_16x16x16bf16_1k v[10:13], v[6:7], v[30:31], v[10:13]
	s_and_saveexec_b64 s[10:11], s[12:13]
	s_cbranch_execz .LBB878_647
; %bb.642:
	s_movk_i32 s7, 0x80
	v_cmp_ne_u16_sdwa s[14:15], v8, s7 src0_sel:BYTE_0 src1_sel:DWORD
	v_mov_b32_e32 v14, 0xffff8000
	s_and_saveexec_b64 s[12:13], s[14:15]
	s_cbranch_execz .LBB878_646
; %bb.643:
	s_movk_i32 s7, 0x7f
	v_and_b32_e32 v6, 0x7f, v8
	v_cmp_ne_u32_e32 vcc, s7, v6
	v_mov_b32_e32 v14, 0x7f80
	s_and_saveexec_b64 s[14:15], vcc
	s_cbranch_execz .LBB878_645
; %bb.644:
	v_and_b32_e32 v7, 7, v8
	v_ffbh_u32_e32 v14, v7
	v_min_u32_e32 v17, 32, v14
	v_subrev_u32_e32 v14, 28, v17
	v_lshlrev_b64 v[14:15], v14, v[8:9]
	v_lshrrev_b32_e32 v16, 3, v6
	v_sub_u32_e32 v15, 29, v17
	v_and_b32_e32 v14, 7, v14
	v_cmp_gt_u32_e32 vcc, 8, v6
	v_cndmask_b32_e32 v6, v16, v15, vcc
	v_cndmask_b32_e32 v7, v7, v14, vcc
	v_lshlrev_b32_e32 v14, 24, v8
	v_bfrev_b32_e32 v15, 60
	v_lshlrev_b32_e32 v7, 20, v7
	v_and_b32_e32 v14, 0x80000000, v14
	v_lshl_add_u32 v6, v6, 23, v15
	v_or3_b32 v6, v14, v6, v7
	v_lshrrev_b32_e32 v14, 16, v6
.LBB878_645:
	s_or_b64 exec, exec, s[14:15]
.LBB878_646:
	s_or_b64 exec, exec, s[12:13]
.LBB878_647:
	s_or_b64 exec, exec, s[10:11]
	v_lshrrev_b16_e32 v6, 8, v8
	v_cmp_ne_u16_e32 vcc, 0, v6
	v_mov_b32_e32 v16, 0
	v_mov_b32_e32 v7, 0
	s_and_saveexec_b64 s[10:11], vcc
	s_cbranch_execz .LBB878_653
; %bb.648:
	s_movk_i32 s7, 0x80
	v_cmp_ne_u16_e32 vcc, s7, v6
	v_mov_b32_e32 v7, 0xffff8000
	s_and_saveexec_b64 s[12:13], vcc
	s_cbranch_execz .LBB878_652
; %bb.649:
	s_movk_i32 s7, 0x7f
	v_and_b32_e32 v15, 0x7f, v6
	v_cmp_ne_u32_e32 vcc, s7, v15
	v_mov_b32_e32 v7, 0x7f80
	s_and_saveexec_b64 s[14:15], vcc
	s_cbranch_execz .LBB878_651
; %bb.650:
	v_and_b32_e32 v17, 7, v6
	v_ffbh_u32_e32 v7, v17
	v_min_u32_e32 v19, 32, v7
	v_subrev_u32_e32 v7, 28, v19
	v_lshlrev_b64 v[6:7], v7, v[6:7]
	v_lshrrev_b32_e32 v18, 3, v15
	v_sub_u32_e32 v7, 29, v19
	v_and_b32_e32 v6, 7, v6
	v_cmp_gt_u32_e32 vcc, 8, v15
	v_cndmask_b32_e32 v7, v18, v7, vcc
	v_cndmask_b32_e32 v6, v17, v6, vcc
	v_lshlrev_b32_e32 v15, 16, v8
	v_bfrev_b32_e32 v17, 60
	v_lshlrev_b32_e32 v6, 20, v6
	v_and_b32_e32 v15, 0x80000000, v15
	v_lshl_add_u32 v7, v7, 23, v17
	v_or3_b32 v6, v15, v7, v6
	v_lshrrev_b32_e32 v7, 16, v6
.LBB878_651:
	s_or_b64 exec, exec, s[14:15]
.LBB878_652:
	s_or_b64 exec, exec, s[12:13]
.LBB878_653:
	s_or_b64 exec, exec, s[10:11]
	s_movk_i32 s7, 0xff
	v_and_b32_sdwa v15, v8, s7 dst_sel:DWORD dst_unused:UNUSED_PAD src0_sel:WORD_1 src1_sel:DWORD
	v_lshrrev_b32_e32 v6, 16, v8
	v_cmp_ne_u16_e32 vcc, 0, v15
	s_and_saveexec_b64 s[10:11], vcc
	s_cbranch_execz .LBB878_659
; %bb.654:
	s_movk_i32 s7, 0x80
	v_cmp_ne_u16_e32 vcc, s7, v15
	v_mov_b32_e32 v16, 0xffff8000
	s_and_saveexec_b64 s[12:13], vcc
	s_cbranch_execz .LBB878_658
; %bb.655:
	v_bfe_u32 v15, v8, 16, 7
	s_movk_i32 s7, 0x7f
	v_cmp_ne_u32_e32 vcc, s7, v15
	v_mov_b32_e32 v16, 0x7f80
	s_and_saveexec_b64 s[14:15], vcc
	s_cbranch_execz .LBB878_657
; %bb.656:
	v_and_b32_e32 v18, 7, v6
	v_ffbh_u32_e32 v16, v18
	v_min_u32_e32 v20, 32, v16
	v_subrev_u32_e32 v16, 28, v20
	v_lshlrev_b64 v[16:17], v16, v[6:7]
	v_and_b32_e32 v16, 7, v16
	v_cmp_gt_u32_e32 vcc, 8, v15
	v_lshrrev_b32_e32 v19, 3, v15
	v_sub_u32_e32 v6, 29, v20
	v_cndmask_b32_e32 v15, v18, v16, vcc
	v_mov_b32_e32 v16, 24
	v_cndmask_b32_e32 v6, v19, v6, vcc
	v_lshlrev_b32_sdwa v16, v16, v8 dst_sel:DWORD dst_unused:UNUSED_PAD src0_sel:DWORD src1_sel:WORD_1
	v_bfrev_b32_e32 v17, 60
	v_lshlrev_b32_e32 v15, 20, v15
	v_and_b32_e32 v16, 0x80000000, v16
	v_lshl_add_u32 v6, v6, 23, v17
	v_or3_b32 v6, v16, v6, v15
	v_lshrrev_b32_e32 v16, 16, v6
.LBB878_657:
	s_or_b64 exec, exec, s[14:15]
.LBB878_658:
	s_or_b64 exec, exec, s[12:13]
.LBB878_659:
	s_or_b64 exec, exec, s[10:11]
	s_mov_b32 s7, 0xffffff
	v_cmp_lt_u32_e32 vcc, s7, v8
	v_mov_b32_e32 v17, 0
	v_mov_b32_e32 v18, 0
	s_and_saveexec_b64 s[10:11], vcc
	s_cbranch_execz .LBB878_665
; %bb.660:
	v_lshrrev_b32_e32 v6, 24, v8
	s_movk_i32 s7, 0x80
	v_cmp_ne_u32_e32 vcc, s7, v6
	v_mov_b32_e32 v18, 0xffff8000
	s_and_saveexec_b64 s[12:13], vcc
	s_cbranch_execz .LBB878_664
; %bb.661:
	v_bfe_u32 v8, v8, 24, 7
	s_movk_i32 s7, 0x7f
	v_cmp_ne_u32_e32 vcc, s7, v8
	v_mov_b32_e32 v18, 0x7f80
	s_and_saveexec_b64 s[14:15], vcc
	s_cbranch_execz .LBB878_663
; %bb.662:
	v_and_b32_e32 v15, 7, v6
	v_ffbh_u32_e32 v18, v15
	v_min_u32_e32 v21, 32, v18
	v_subrev_u32_e32 v18, 28, v21
	v_lshlrev_b64 v[18:19], v18, v[6:7]
	v_lshrrev_b32_e32 v20, 3, v8
	v_sub_u32_e32 v19, 29, v21
	v_and_b32_e32 v18, 7, v18
	v_cmp_gt_u32_e32 vcc, 8, v8
	v_cndmask_b32_e32 v8, v20, v19, vcc
	v_cndmask_b32_e32 v15, v15, v18, vcc
	v_lshlrev_b32_e32 v6, 24, v6
	v_bfrev_b32_e32 v18, 60
	v_lshlrev_b32_e32 v15, 20, v15
	v_and_b32_e32 v6, 0x80000000, v6
	v_lshl_add_u32 v8, v8, 23, v18
	v_or3_b32 v6, v6, v8, v15
	v_lshrrev_b32_e32 v18, 16, v6
.LBB878_663:
	s_or_b64 exec, exec, s[14:15]
.LBB878_664:
	s_or_b64 exec, exec, s[12:13]
.LBB878_665:
	s_or_b64 exec, exec, s[10:11]
	v_cmp_ne_u16_sdwa s[12:13], v9, v17 src0_sel:BYTE_0 src1_sel:DWORD
	s_and_saveexec_b64 s[10:11], s[12:13]
	s_cbranch_execz .LBB878_671
; %bb.666:
	s_movk_i32 s7, 0x80
	v_cmp_ne_u16_sdwa s[14:15], v9, s7 src0_sel:BYTE_0 src1_sel:DWORD
	v_mov_b32_e32 v17, 0xffff8000
	s_and_saveexec_b64 s[12:13], s[14:15]
	s_cbranch_execz .LBB878_670
; %bb.667:
	s_movk_i32 s7, 0x7f
	v_and_b32_e32 v6, 0x7f, v9
	v_cmp_ne_u32_e32 vcc, s7, v6
	v_mov_b32_e32 v17, 0x7f80
	s_and_saveexec_b64 s[14:15], vcc
	s_cbranch_execz .LBB878_669
; %bb.668:
	v_and_b32_e32 v15, 7, v9
	v_ffbh_u32_e32 v19, v15
	v_min_u32_e32 v19, 32, v19
	v_mov_b32_e32 v8, v9
	v_subrev_u32_e32 v20, 28, v19
	v_lshlrev_b64 v[20:21], v20, v[8:9]
	v_lshrrev_b32_e32 v17, 3, v6
	v_sub_u32_e32 v8, 29, v19
	v_and_b32_e32 v19, 7, v20
	v_cmp_gt_u32_e32 vcc, 8, v6
	v_cndmask_b32_e32 v6, v17, v8, vcc
	v_cndmask_b32_e32 v8, v15, v19, vcc
	v_lshlrev_b32_e32 v15, 24, v9
	v_bfrev_b32_e32 v17, 60
	v_lshlrev_b32_e32 v8, 20, v8
	v_and_b32_e32 v15, 0x80000000, v15
	v_lshl_add_u32 v6, v6, 23, v17
	v_or3_b32 v6, v15, v6, v8
	v_lshrrev_b32_e32 v17, 16, v6
.LBB878_669:
	s_or_b64 exec, exec, s[14:15]
.LBB878_670:
	s_or_b64 exec, exec, s[12:13]
.LBB878_671:
	s_or_b64 exec, exec, s[10:11]
	v_lshrrev_b16_e32 v6, 8, v9
	v_cmp_ne_u16_e32 vcc, 0, v6
	v_mov_b32_e32 v19, 0
	v_mov_b32_e32 v8, 0
	s_and_saveexec_b64 s[10:11], vcc
	s_cbranch_execz .LBB878_677
; %bb.672:
	s_movk_i32 s7, 0x80
	v_cmp_ne_u16_e32 vcc, s7, v6
	v_mov_b32_e32 v8, 0xffff8000
	s_and_saveexec_b64 s[12:13], vcc
	s_cbranch_execz .LBB878_676
; %bb.673:
	s_movk_i32 s7, 0x7f
	v_and_b32_e32 v15, 0x7f, v6
	v_cmp_ne_u32_e32 vcc, s7, v15
	v_mov_b32_e32 v8, 0x7f80
	s_and_saveexec_b64 s[14:15], vcc
	s_cbranch_execz .LBB878_675
; %bb.674:
	v_and_b32_e32 v8, 7, v6
	v_ffbh_u32_e32 v20, v8
	v_min_u32_e32 v24, 32, v20
	v_subrev_u32_e32 v20, 28, v24
	v_lshlrev_b64 v[20:21], v20, v[6:7]
	v_lshrrev_b32_e32 v23, 3, v15
	v_sub_u32_e32 v6, 29, v24
	v_and_b32_e32 v20, 7, v20
	v_cmp_gt_u32_e32 vcc, 8, v15
	v_cndmask_b32_e32 v6, v23, v6, vcc
	v_cndmask_b32_e32 v8, v8, v20, vcc
	v_lshlrev_b32_e32 v15, 16, v9
	v_bfrev_b32_e32 v20, 60
	v_lshlrev_b32_e32 v8, 20, v8
	v_and_b32_e32 v15, 0x80000000, v15
	v_lshl_add_u32 v6, v6, 23, v20
	v_or3_b32 v6, v15, v6, v8
	v_lshrrev_b32_e32 v8, 16, v6
.LBB878_675:
	s_or_b64 exec, exec, s[14:15]
.LBB878_676:
	s_or_b64 exec, exec, s[12:13]
.LBB878_677:
	s_or_b64 exec, exec, s[10:11]
	s_movk_i32 s7, 0xff
	v_and_b32_sdwa v15, v9, s7 dst_sel:DWORD dst_unused:UNUSED_PAD src0_sel:WORD_1 src1_sel:DWORD
	v_lshrrev_b32_e32 v6, 16, v9
	v_cmp_ne_u16_e32 vcc, 0, v15
	s_and_saveexec_b64 s[10:11], vcc
	s_cbranch_execz .LBB878_683
; %bb.678:
	s_movk_i32 s7, 0x80
	v_cmp_ne_u16_e32 vcc, s7, v15
	v_mov_b32_e32 v19, 0xffff8000
	s_and_saveexec_b64 s[12:13], vcc
	s_cbranch_execz .LBB878_682
; %bb.679:
	v_bfe_u32 v15, v9, 16, 7
	s_movk_i32 s7, 0x7f
	v_cmp_ne_u32_e32 vcc, s7, v15
	v_mov_b32_e32 v19, 0x7f80
	s_and_saveexec_b64 s[14:15], vcc
	s_cbranch_execz .LBB878_681
; %bb.680:
	v_and_b32_e32 v19, 7, v6
	v_ffbh_u32_e32 v20, v19
	v_min_u32_e32 v24, 32, v20
	v_subrev_u32_e32 v20, 28, v24
	v_lshlrev_b64 v[20:21], v20, v[6:7]
	v_and_b32_e32 v20, 7, v20
	v_cmp_gt_u32_e32 vcc, 8, v15
	v_lshrrev_b32_e32 v23, 3, v15
	v_sub_u32_e32 v6, 29, v24
	v_cndmask_b32_e32 v15, v19, v20, vcc
	v_mov_b32_e32 v19, 24
	v_cndmask_b32_e32 v6, v23, v6, vcc
	v_lshlrev_b32_sdwa v19, v19, v9 dst_sel:DWORD dst_unused:UNUSED_PAD src0_sel:DWORD src1_sel:WORD_1
	v_bfrev_b32_e32 v20, 60
	v_lshlrev_b32_e32 v15, 20, v15
	v_and_b32_e32 v19, 0x80000000, v19
	v_lshl_add_u32 v6, v6, 23, v20
	v_or3_b32 v6, v19, v6, v15
	v_lshrrev_b32_e32 v19, 16, v6
.LBB878_681:
	s_or_b64 exec, exec, s[14:15]
.LBB878_682:
	s_or_b64 exec, exec, s[12:13]
.LBB878_683:
	s_or_b64 exec, exec, s[10:11]
	s_mov_b32 s7, 0xffffff
	v_cmp_lt_u32_e32 vcc, s7, v9
	v_mov_b32_e32 v15, 0
	v_mov_b32_e32 v20, 0
	s_and_saveexec_b64 s[10:11], vcc
	s_cbranch_execz .LBB878_689
; %bb.684:
	v_lshrrev_b32_e32 v6, 24, v9
	s_movk_i32 s7, 0x80
	v_cmp_ne_u32_e32 vcc, s7, v6
	v_mov_b32_e32 v20, 0xffff8000
	s_and_saveexec_b64 s[12:13], vcc
	s_cbranch_execz .LBB878_688
; %bb.685:
	v_bfe_u32 v9, v9, 24, 7
	s_movk_i32 s7, 0x7f
	v_cmp_ne_u32_e32 vcc, s7, v9
	v_mov_b32_e32 v20, 0x7f80
	s_and_saveexec_b64 s[14:15], vcc
	s_cbranch_execz .LBB878_687
; %bb.686:
	v_and_b32_e32 v23, 7, v6
	v_ffbh_u32_e32 v20, v23
	v_min_u32_e32 v25, 32, v20
	v_subrev_u32_e32 v20, 28, v25
	v_lshlrev_b64 v[20:21], v20, v[6:7]
	v_lshrrev_b32_e32 v24, 3, v9
	v_sub_u32_e32 v21, 29, v25
	v_and_b32_e32 v20, 7, v20
	v_cmp_gt_u32_e32 vcc, 8, v9
	v_cndmask_b32_e32 v9, v24, v21, vcc
	v_cndmask_b32_e32 v20, v23, v20, vcc
	v_lshlrev_b32_e32 v6, 24, v6
	v_bfrev_b32_e32 v21, 60
	v_lshlrev_b32_e32 v20, 20, v20
	v_and_b32_e32 v6, 0x80000000, v6
	v_lshl_add_u32 v9, v9, 23, v21
	v_or3_b32 v6, v6, v9, v20
	v_lshrrev_b32_e32 v20, 16, v6
.LBB878_687:
	s_or_b64 exec, exec, s[14:15]
.LBB878_688:
	s_or_b64 exec, exec, s[12:13]
.LBB878_689:
	s_or_b64 exec, exec, s[10:11]
	s_mov_b32 s7, 0x5040100
	v_perm_b32 v25, v18, v16, s7
	v_perm_b32 v24, v7, v14, s7
	ds_read_b128 v[28:31], v22 offset:4112
	v_perm_b32 v7, v20, v19, s7
	v_perm_b32 v6, v8, v17, s7
	s_waitcnt lgkmcnt(0)
	v_mfma_f32_16x16x16bf16_1k v[10:13], v[24:25], v[28:29], v[10:13]
	s_waitcnt vmcnt(0)
	v_cmp_ne_u16_sdwa s[12:13], v2, v15 src0_sel:BYTE_0 src1_sel:DWORD
	v_mfma_f32_16x16x16bf16_1k v[6:9], v[6:7], v[30:31], v[10:13]
	s_and_saveexec_b64 s[10:11], s[12:13]
	s_cbranch_execz .LBB878_695
; %bb.690:
	s_movk_i32 s7, 0x80
	v_cmp_ne_u16_sdwa s[14:15], v2, s7 src0_sel:BYTE_0 src1_sel:DWORD
	v_mov_b32_e32 v15, 0xffff8000
	s_and_saveexec_b64 s[12:13], s[14:15]
	s_cbranch_execz .LBB878_694
; %bb.691:
	s_movk_i32 s7, 0x7f
	v_and_b32_e32 v10, 0x7f, v2
	v_cmp_ne_u32_e32 vcc, s7, v10
	v_mov_b32_e32 v15, 0x7f80
	s_and_saveexec_b64 s[14:15], vcc
	s_cbranch_execz .LBB878_693
; %bb.692:
	v_and_b32_e32 v11, 7, v2
	v_ffbh_u32_e32 v12, v11
	v_min_u32_e32 v15, 32, v12
	v_subrev_u32_e32 v12, 28, v15
	v_lshlrev_b64 v[12:13], v12, v[2:3]
	v_lshrrev_b32_e32 v14, 3, v10
	v_sub_u32_e32 v13, 29, v15
	v_and_b32_e32 v12, 7, v12
	v_cmp_gt_u32_e32 vcc, 8, v10
	v_cndmask_b32_e32 v10, v14, v13, vcc
	v_cndmask_b32_e32 v11, v11, v12, vcc
	v_lshlrev_b32_e32 v12, 24, v2
	v_bfrev_b32_e32 v13, 60
	v_lshlrev_b32_e32 v11, 20, v11
	v_and_b32_e32 v12, 0x80000000, v12
	v_lshl_add_u32 v10, v10, 23, v13
	v_or3_b32 v10, v12, v10, v11
	v_lshrrev_b32_e32 v15, 16, v10
.LBB878_693:
	s_or_b64 exec, exec, s[14:15]
.LBB878_694:
	s_or_b64 exec, exec, s[12:13]
.LBB878_695:
	s_or_b64 exec, exec, s[10:11]
	s_nop 4
	v_lshrrev_b16_e32 v10, 8, v2
	v_cmp_ne_u16_e32 vcc, 0, v10
	v_mov_b32_e32 v12, 0
	v_mov_b32_e32 v11, 0
	s_and_saveexec_b64 s[10:11], vcc
	s_cbranch_execz .LBB878_701
; %bb.696:
	s_movk_i32 s7, 0x80
	v_cmp_ne_u16_e32 vcc, s7, v10
	v_mov_b32_e32 v11, 0xffff8000
	s_and_saveexec_b64 s[12:13], vcc
	s_cbranch_execz .LBB878_700
; %bb.697:
	s_movk_i32 s7, 0x7f
	v_and_b32_e32 v13, 0x7f, v10
	v_cmp_ne_u32_e32 vcc, s7, v13
	v_mov_b32_e32 v11, 0x7f80
	s_and_saveexec_b64 s[14:15], vcc
	s_cbranch_execz .LBB878_699
; %bb.698:
	v_and_b32_e32 v14, 7, v10
	v_ffbh_u32_e32 v11, v14
	v_min_u32_e32 v17, 32, v11
	v_subrev_u32_e32 v11, 28, v17
	v_lshlrev_b64 v[10:11], v11, v[10:11]
	v_lshrrev_b32_e32 v16, 3, v13
	v_sub_u32_e32 v11, 29, v17
	v_and_b32_e32 v10, 7, v10
	v_cmp_gt_u32_e32 vcc, 8, v13
	v_cndmask_b32_e32 v11, v16, v11, vcc
	v_cndmask_b32_e32 v10, v14, v10, vcc
	v_lshlrev_b32_e32 v13, 16, v2
	v_bfrev_b32_e32 v14, 60
	v_lshlrev_b32_e32 v10, 20, v10
	v_and_b32_e32 v13, 0x80000000, v13
	v_lshl_add_u32 v11, v11, 23, v14
	v_or3_b32 v10, v13, v11, v10
	v_lshrrev_b32_e32 v11, 16, v10
.LBB878_699:
	s_or_b64 exec, exec, s[14:15]
.LBB878_700:
	s_or_b64 exec, exec, s[12:13]
.LBB878_701:
	s_or_b64 exec, exec, s[10:11]
	s_movk_i32 s7, 0xff
	v_and_b32_sdwa v13, v2, s7 dst_sel:DWORD dst_unused:UNUSED_PAD src0_sel:WORD_1 src1_sel:DWORD
	v_lshrrev_b32_e32 v10, 16, v2
	v_cmp_ne_u16_e32 vcc, 0, v13
	s_and_saveexec_b64 s[10:11], vcc
	s_cbranch_execz .LBB878_707
; %bb.702:
	s_movk_i32 s7, 0x80
	v_cmp_ne_u16_e32 vcc, s7, v13
	v_mov_b32_e32 v12, 0xffff8000
	s_and_saveexec_b64 s[12:13], vcc
	s_cbranch_execz .LBB878_706
; %bb.703:
	v_bfe_u32 v13, v2, 16, 7
	s_movk_i32 s7, 0x7f
	v_cmp_ne_u32_e32 vcc, s7, v13
	v_mov_b32_e32 v12, 0x7f80
	s_and_saveexec_b64 s[14:15], vcc
	s_cbranch_execz .LBB878_705
; %bb.704:
	v_and_b32_e32 v12, 7, v10
	v_ffbh_u32_e32 v16, v12
	v_min_u32_e32 v18, 32, v16
	v_subrev_u32_e32 v16, 28, v18
	v_lshlrev_b64 v[16:17], v16, v[10:11]
	v_lshrrev_b32_e32 v14, 3, v13
	v_sub_u32_e32 v10, 29, v18
	v_and_b32_e32 v16, 7, v16
	v_cmp_gt_u32_e32 vcc, 8, v13
	v_mov_b32_e32 v13, 24
	v_cndmask_b32_e32 v10, v14, v10, vcc
	v_cndmask_b32_e32 v12, v12, v16, vcc
	v_lshlrev_b32_sdwa v13, v13, v2 dst_sel:DWORD dst_unused:UNUSED_PAD src0_sel:DWORD src1_sel:WORD_1
	v_bfrev_b32_e32 v14, 60
	v_lshlrev_b32_e32 v12, 20, v12
	v_and_b32_e32 v13, 0x80000000, v13
	v_lshl_add_u32 v10, v10, 23, v14
	v_or3_b32 v10, v13, v10, v12
	v_lshrrev_b32_e32 v12, 16, v10
.LBB878_705:
	s_or_b64 exec, exec, s[14:15]
.LBB878_706:
	s_or_b64 exec, exec, s[12:13]
.LBB878_707:
	s_or_b64 exec, exec, s[10:11]
	s_mov_b32 s7, 0xffffff
	v_cmp_lt_u32_e32 vcc, s7, v2
	v_mov_b32_e32 v13, 0
	v_mov_b32_e32 v14, 0
	s_and_saveexec_b64 s[10:11], vcc
	s_cbranch_execz .LBB878_713
; %bb.708:
	v_lshrrev_b32_e32 v10, 24, v2
	s_movk_i32 s7, 0x80
	v_cmp_ne_u32_e32 vcc, s7, v10
	v_mov_b32_e32 v14, 0xffff8000
	s_and_saveexec_b64 s[12:13], vcc
	s_cbranch_execz .LBB878_712
; %bb.709:
	v_bfe_u32 v2, v2, 24, 7
	s_movk_i32 s7, 0x7f
	v_cmp_ne_u32_e32 vcc, s7, v2
	v_mov_b32_e32 v14, 0x7f80
	s_and_saveexec_b64 s[14:15], vcc
	s_cbranch_execz .LBB878_711
; %bb.710:
	v_and_b32_e32 v14, 7, v10
	v_ffbh_u32_e32 v16, v14
	v_min_u32_e32 v19, 32, v16
	v_subrev_u32_e32 v16, 28, v19
	v_lshlrev_b64 v[16:17], v16, v[10:11]
	v_lshrrev_b32_e32 v18, 3, v2
	v_sub_u32_e32 v17, 29, v19
	v_and_b32_e32 v16, 7, v16
	v_cmp_gt_u32_e32 vcc, 8, v2
	v_cndmask_b32_e32 v2, v18, v17, vcc
	v_cndmask_b32_e32 v14, v14, v16, vcc
	v_lshlrev_b32_e32 v10, 24, v10
	v_bfrev_b32_e32 v16, 60
	v_lshlrev_b32_e32 v14, 20, v14
	v_and_b32_e32 v10, 0x80000000, v10
	v_lshl_add_u32 v2, v2, 23, v16
	v_or3_b32 v2, v10, v2, v14
	v_lshrrev_b32_e32 v14, 16, v2
.LBB878_711:
	s_or_b64 exec, exec, s[14:15]
.LBB878_712:
	s_or_b64 exec, exec, s[12:13]
.LBB878_713:
	s_or_b64 exec, exec, s[10:11]
	v_cmp_ne_u16_sdwa s[12:13], v3, v13 src0_sel:BYTE_0 src1_sel:DWORD
	s_and_saveexec_b64 s[10:11], s[12:13]
	s_cbranch_execz .LBB878_719
; %bb.714:
	s_movk_i32 s7, 0x80
	v_cmp_ne_u16_sdwa s[14:15], v3, s7 src0_sel:BYTE_0 src1_sel:DWORD
	v_mov_b32_e32 v13, 0xffff8000
	s_and_saveexec_b64 s[12:13], s[14:15]
	s_cbranch_execz .LBB878_718
; %bb.715:
	s_movk_i32 s7, 0x7f
	v_and_b32_e32 v2, 0x7f, v3
	v_cmp_ne_u32_e32 vcc, s7, v2
	v_mov_b32_e32 v13, 0x7f80
	s_and_saveexec_b64 s[14:15], vcc
	s_cbranch_execz .LBB878_717
; %bb.716:
	v_and_b32_e32 v13, 7, v3
	v_ffbh_u32_e32 v16, v13
	v_min_u32_e32 v19, 32, v16
	v_mov_b32_e32 v10, v3
	v_subrev_u32_e32 v16, 28, v19
	v_lshlrev_b64 v[16:17], v16, v[10:11]
	v_lshrrev_b32_e32 v18, 3, v2
	v_sub_u32_e32 v10, 29, v19
	v_and_b32_e32 v16, 7, v16
	v_cmp_gt_u32_e32 vcc, 8, v2
	v_cndmask_b32_e32 v2, v18, v10, vcc
	v_cndmask_b32_e32 v10, v13, v16, vcc
	v_lshlrev_b32_e32 v13, 24, v3
	v_bfrev_b32_e32 v16, 60
	v_lshlrev_b32_e32 v10, 20, v10
	v_and_b32_e32 v13, 0x80000000, v13
	v_lshl_add_u32 v2, v2, 23, v16
	v_or3_b32 v2, v13, v2, v10
	v_lshrrev_b32_e32 v13, 16, v2
.LBB878_717:
	s_or_b64 exec, exec, s[14:15]
.LBB878_718:
	s_or_b64 exec, exec, s[12:13]
.LBB878_719:
	s_or_b64 exec, exec, s[10:11]
	v_lshrrev_b16_e32 v2, 8, v3
	v_cmp_ne_u16_e32 vcc, 0, v2
	v_mov_b32_e32 v17, 0
	v_mov_b32_e32 v16, 0
	s_and_saveexec_b64 s[10:11], vcc
	s_cbranch_execz .LBB878_725
; %bb.720:
	s_movk_i32 s7, 0x80
	v_cmp_ne_u16_e32 vcc, s7, v2
	v_mov_b32_e32 v16, 0xffff8000
	s_and_saveexec_b64 s[12:13], vcc
	s_cbranch_execz .LBB878_724
; %bb.721:
	s_movk_i32 s7, 0x7f
	v_and_b32_e32 v10, 0x7f, v2
	v_cmp_ne_u32_e32 vcc, s7, v10
	v_mov_b32_e32 v16, 0x7f80
	s_and_saveexec_b64 s[14:15], vcc
	s_cbranch_execz .LBB878_723
; %bb.722:
	v_and_b32_e32 v16, 7, v2
	v_ffbh_u32_e32 v18, v16
	v_min_u32_e32 v21, 32, v18
	v_subrev_u32_e32 v18, 28, v21
	v_lshlrev_b64 v[18:19], v18, v[2:3]
	v_lshrrev_b32_e32 v20, 3, v10
	v_sub_u32_e32 v2, 29, v21
	v_and_b32_e32 v18, 7, v18
	v_cmp_gt_u32_e32 vcc, 8, v10
	v_cndmask_b32_e32 v2, v20, v2, vcc
	v_cndmask_b32_e32 v10, v16, v18, vcc
	v_lshlrev_b32_e32 v16, 16, v3
	v_bfrev_b32_e32 v18, 60
	v_lshlrev_b32_e32 v10, 20, v10
	v_and_b32_e32 v16, 0x80000000, v16
	v_lshl_add_u32 v2, v2, 23, v18
	v_or3_b32 v2, v16, v2, v10
	v_lshrrev_b32_e32 v16, 16, v2
.LBB878_723:
	s_or_b64 exec, exec, s[14:15]
.LBB878_724:
	s_or_b64 exec, exec, s[12:13]
.LBB878_725:
	s_or_b64 exec, exec, s[10:11]
	s_movk_i32 s7, 0xff
	v_and_b32_sdwa v10, v3, s7 dst_sel:DWORD dst_unused:UNUSED_PAD src0_sel:WORD_1 src1_sel:DWORD
	v_lshrrev_b32_e32 v2, 16, v3
	v_cmp_ne_u16_e32 vcc, 0, v10
	s_and_saveexec_b64 s[10:11], vcc
	s_cbranch_execz .LBB878_731
; %bb.726:
	s_movk_i32 s7, 0x80
	v_cmp_ne_u16_e32 vcc, s7, v10
	v_mov_b32_e32 v17, 0xffff8000
	s_and_saveexec_b64 s[12:13], vcc
	s_cbranch_execz .LBB878_730
; %bb.727:
	v_bfe_u32 v10, v3, 16, 7
	s_movk_i32 s7, 0x7f
	v_cmp_ne_u32_e32 vcc, s7, v10
	v_mov_b32_e32 v17, 0x7f80
	s_and_saveexec_b64 s[14:15], vcc
	s_cbranch_execz .LBB878_729
; %bb.728:
	v_and_b32_e32 v17, 7, v2
	v_ffbh_u32_e32 v18, v17
	v_min_u32_e32 v21, 32, v18
	v_subrev_u32_e32 v18, 28, v21
	v_lshlrev_b64 v[18:19], v18, v[2:3]
	v_and_b32_e32 v18, 7, v18
	v_cmp_gt_u32_e32 vcc, 8, v10
	v_lshrrev_b32_e32 v20, 3, v10
	v_sub_u32_e32 v2, 29, v21
	v_cndmask_b32_e32 v10, v17, v18, vcc
	v_mov_b32_e32 v17, 24
	v_cndmask_b32_e32 v2, v20, v2, vcc
	v_lshlrev_b32_sdwa v17, v17, v3 dst_sel:DWORD dst_unused:UNUSED_PAD src0_sel:DWORD src1_sel:WORD_1
	v_bfrev_b32_e32 v18, 60
	v_lshlrev_b32_e32 v10, 20, v10
	v_and_b32_e32 v17, 0x80000000, v17
	v_lshl_add_u32 v2, v2, 23, v18
	v_or3_b32 v2, v17, v2, v10
	v_lshrrev_b32_e32 v17, 16, v2
.LBB878_729:
	s_or_b64 exec, exec, s[14:15]
.LBB878_730:
	s_or_b64 exec, exec, s[12:13]
.LBB878_731:
	s_or_b64 exec, exec, s[10:11]
	s_mov_b32 s7, 0xffffff
	v_cmp_lt_u32_e32 vcc, s7, v3
	v_mov_b32_e32 v10, 0
	v_mov_b32_e32 v18, 0
	s_and_saveexec_b64 s[10:11], vcc
	s_cbranch_execz .LBB878_737
; %bb.732:
	v_lshrrev_b32_e32 v2, 24, v3
	s_movk_i32 s7, 0x80
	v_cmp_ne_u32_e32 vcc, s7, v2
	v_mov_b32_e32 v18, 0xffff8000
	s_and_saveexec_b64 s[12:13], vcc
	s_cbranch_execz .LBB878_736
; %bb.733:
	v_bfe_u32 v3, v3, 24, 7
	s_movk_i32 s7, 0x7f
	v_cmp_ne_u32_e32 vcc, s7, v3
	v_mov_b32_e32 v18, 0x7f80
	s_and_saveexec_b64 s[14:15], vcc
	s_cbranch_execz .LBB878_735
; %bb.734:
	v_and_b32_e32 v20, 7, v2
	v_ffbh_u32_e32 v18, v20
	v_min_u32_e32 v23, 32, v18
	v_subrev_u32_e32 v18, 28, v23
	v_lshlrev_b64 v[18:19], v18, v[2:3]
	v_lshrrev_b32_e32 v21, 3, v3
	v_sub_u32_e32 v19, 29, v23
	v_and_b32_e32 v18, 7, v18
	v_cmp_gt_u32_e32 vcc, 8, v3
	v_cndmask_b32_e32 v3, v21, v19, vcc
	v_cndmask_b32_e32 v18, v20, v18, vcc
	v_lshlrev_b32_e32 v2, 24, v2
	v_bfrev_b32_e32 v19, 60
	v_lshlrev_b32_e32 v18, 20, v18
	v_and_b32_e32 v2, 0x80000000, v2
	v_lshl_add_u32 v3, v3, 23, v19
	v_or3_b32 v2, v2, v3, v18
	v_lshrrev_b32_e32 v18, 16, v2
.LBB878_735:
	s_or_b64 exec, exec, s[14:15]
.LBB878_736:
	s_or_b64 exec, exec, s[12:13]
.LBB878_737:
	s_or_b64 exec, exec, s[10:11]
	s_mov_b32 s7, 0x5040100
	v_perm_b32 v3, v14, v12, s7
	v_perm_b32 v2, v11, v15, s7
	ds_read_b128 v[28:31], v22 offset:6144
	v_cmp_ne_u16_sdwa s[12:13], v4, v10 src0_sel:BYTE_0 src1_sel:DWORD
	s_waitcnt lgkmcnt(0)
	v_mfma_f32_16x16x16bf16_1k v[6:9], v[2:3], v[28:29], v[6:9]
	v_perm_b32 v3, v18, v17, s7
	v_perm_b32 v2, v16, v13, s7
	s_nop 1
	v_mfma_f32_16x16x16bf16_1k v[6:9], v[2:3], v[30:31], v[6:9]
	s_and_saveexec_b64 s[10:11], s[12:13]
	s_cbranch_execz .LBB878_743
; %bb.738:
	s_movk_i32 s7, 0x80
	v_cmp_ne_u16_sdwa s[14:15], v4, s7 src0_sel:BYTE_0 src1_sel:DWORD
	v_mov_b32_e32 v10, 0xffff8000
	s_and_saveexec_b64 s[12:13], s[14:15]
	s_cbranch_execz .LBB878_742
; %bb.739:
	s_movk_i32 s7, 0x7f
	v_and_b32_e32 v2, 0x7f, v4
	v_cmp_ne_u32_e32 vcc, s7, v2
	v_mov_b32_e32 v10, 0x7f80
	s_and_saveexec_b64 s[14:15], vcc
	s_cbranch_execz .LBB878_741
; %bb.740:
	v_and_b32_e32 v3, 7, v4
	v_ffbh_u32_e32 v10, v3
	v_min_u32_e32 v13, 32, v10
	v_subrev_u32_e32 v10, 28, v13
	v_lshlrev_b64 v[10:11], v10, v[4:5]
	v_lshrrev_b32_e32 v12, 3, v2
	v_sub_u32_e32 v11, 29, v13
	v_and_b32_e32 v10, 7, v10
	v_cmp_gt_u32_e32 vcc, 8, v2
	v_cndmask_b32_e32 v2, v12, v11, vcc
	v_cndmask_b32_e32 v3, v3, v10, vcc
	v_lshlrev_b32_e32 v10, 24, v4
	v_bfrev_b32_e32 v11, 60
	v_lshlrev_b32_e32 v3, 20, v3
	v_and_b32_e32 v10, 0x80000000, v10
	v_lshl_add_u32 v2, v2, 23, v11
	v_or3_b32 v2, v10, v2, v3
	v_lshrrev_b32_e32 v10, 16, v2
.LBB878_741:
	s_or_b64 exec, exec, s[14:15]
.LBB878_742:
	s_or_b64 exec, exec, s[12:13]
.LBB878_743:
	s_or_b64 exec, exec, s[10:11]
	v_lshrrev_b16_e32 v2, 8, v4
	v_cmp_ne_u16_e32 vcc, 0, v2
	v_mov_b32_e32 v11, 0
	v_mov_b32_e32 v3, 0
	s_and_saveexec_b64 s[10:11], vcc
	s_cbranch_execz .LBB878_749
; %bb.744:
	s_movk_i32 s7, 0x80
	v_cmp_ne_u16_e32 vcc, s7, v2
	v_mov_b32_e32 v3, 0xffff8000
	s_and_saveexec_b64 s[12:13], vcc
	s_cbranch_execz .LBB878_748
; %bb.745:
	s_movk_i32 s7, 0x7f
	v_and_b32_e32 v12, 0x7f, v2
	v_cmp_ne_u32_e32 vcc, s7, v12
	v_mov_b32_e32 v3, 0x7f80
	s_and_saveexec_b64 s[14:15], vcc
	s_cbranch_execz .LBB878_747
; %bb.746:
	v_and_b32_e32 v13, 7, v2
	v_ffbh_u32_e32 v3, v13
	v_min_u32_e32 v15, 32, v3
	v_subrev_u32_e32 v3, 28, v15
	v_lshlrev_b64 v[2:3], v3, v[2:3]
	v_lshrrev_b32_e32 v14, 3, v12
	v_sub_u32_e32 v3, 29, v15
	v_and_b32_e32 v2, 7, v2
	v_cmp_gt_u32_e32 vcc, 8, v12
	v_cndmask_b32_e32 v3, v14, v3, vcc
	v_cndmask_b32_e32 v2, v13, v2, vcc
	v_lshlrev_b32_e32 v12, 16, v4
	v_bfrev_b32_e32 v13, 60
	v_lshlrev_b32_e32 v2, 20, v2
	v_and_b32_e32 v12, 0x80000000, v12
	v_lshl_add_u32 v3, v3, 23, v13
	v_or3_b32 v2, v12, v3, v2
	v_lshrrev_b32_e32 v3, 16, v2
.LBB878_747:
	s_or_b64 exec, exec, s[14:15]
.LBB878_748:
	s_or_b64 exec, exec, s[12:13]
.LBB878_749:
	s_or_b64 exec, exec, s[10:11]
	s_movk_i32 s7, 0xff
	v_and_b32_sdwa v12, v4, s7 dst_sel:DWORD dst_unused:UNUSED_PAD src0_sel:WORD_1 src1_sel:DWORD
	v_lshrrev_b32_e32 v2, 16, v4
	v_cmp_ne_u16_e32 vcc, 0, v12
	s_and_saveexec_b64 s[10:11], vcc
	s_cbranch_execz .LBB878_755
; %bb.750:
	s_movk_i32 s7, 0x80
	v_cmp_ne_u16_e32 vcc, s7, v12
	v_mov_b32_e32 v11, 0xffff8000
	s_and_saveexec_b64 s[12:13], vcc
	s_cbranch_execz .LBB878_754
; %bb.751:
	v_bfe_u32 v12, v4, 16, 7
	s_movk_i32 s7, 0x7f
	v_cmp_ne_u32_e32 vcc, s7, v12
	v_mov_b32_e32 v11, 0x7f80
	s_and_saveexec_b64 s[14:15], vcc
	s_cbranch_execz .LBB878_753
; %bb.752:
	v_and_b32_e32 v11, 7, v2
	v_ffbh_u32_e32 v14, v11
	v_min_u32_e32 v16, 32, v14
	v_subrev_u32_e32 v14, 28, v16
	v_lshlrev_b64 v[14:15], v14, v[2:3]
	v_lshrrev_b32_e32 v13, 3, v12
	v_sub_u32_e32 v2, 29, v16
	v_and_b32_e32 v14, 7, v14
	v_cmp_gt_u32_e32 vcc, 8, v12
	v_mov_b32_e32 v12, 24
	v_cndmask_b32_e32 v2, v13, v2, vcc
	v_cndmask_b32_e32 v11, v11, v14, vcc
	v_lshlrev_b32_sdwa v12, v12, v4 dst_sel:DWORD dst_unused:UNUSED_PAD src0_sel:DWORD src1_sel:WORD_1
	v_bfrev_b32_e32 v13, 60
	v_lshlrev_b32_e32 v11, 20, v11
	v_and_b32_e32 v12, 0x80000000, v12
	v_lshl_add_u32 v2, v2, 23, v13
	v_or3_b32 v2, v12, v2, v11
	v_lshrrev_b32_e32 v11, 16, v2
.LBB878_753:
	s_or_b64 exec, exec, s[14:15]
.LBB878_754:
	s_or_b64 exec, exec, s[12:13]
.LBB878_755:
	s_or_b64 exec, exec, s[10:11]
	s_mov_b32 s7, 0xffffff
	v_cmp_lt_u32_e32 vcc, s7, v4
	v_mov_b32_e32 v12, 0
	v_mov_b32_e32 v13, 0
	s_and_saveexec_b64 s[10:11], vcc
	s_cbranch_execz .LBB878_761
; %bb.756:
	v_lshrrev_b32_e32 v2, 24, v4
	s_movk_i32 s7, 0x80
	v_cmp_ne_u32_e32 vcc, s7, v2
	v_mov_b32_e32 v13, 0xffff8000
	s_and_saveexec_b64 s[12:13], vcc
	s_cbranch_execz .LBB878_760
; %bb.757:
	v_bfe_u32 v4, v4, 24, 7
	s_movk_i32 s7, 0x7f
	v_cmp_ne_u32_e32 vcc, s7, v4
	v_mov_b32_e32 v13, 0x7f80
	s_and_saveexec_b64 s[14:15], vcc
	s_cbranch_execz .LBB878_759
; %bb.758:
	v_and_b32_e32 v13, 7, v2
	v_ffbh_u32_e32 v14, v13
	v_min_u32_e32 v17, 32, v14
	v_subrev_u32_e32 v14, 28, v17
	v_lshlrev_b64 v[14:15], v14, v[2:3]
	v_lshrrev_b32_e32 v16, 3, v4
	v_sub_u32_e32 v15, 29, v17
	v_and_b32_e32 v14, 7, v14
	v_cmp_gt_u32_e32 vcc, 8, v4
	v_cndmask_b32_e32 v4, v16, v15, vcc
	v_cndmask_b32_e32 v13, v13, v14, vcc
	v_lshlrev_b32_e32 v2, 24, v2
	v_bfrev_b32_e32 v14, 60
	v_lshlrev_b32_e32 v13, 20, v13
	v_and_b32_e32 v2, 0x80000000, v2
	v_lshl_add_u32 v4, v4, 23, v14
	v_or3_b32 v2, v2, v4, v13
	v_lshrrev_b32_e32 v13, 16, v2
.LBB878_759:
	s_or_b64 exec, exec, s[14:15]
.LBB878_760:
	s_or_b64 exec, exec, s[12:13]
.LBB878_761:
	s_or_b64 exec, exec, s[10:11]
	v_cmp_ne_u16_sdwa s[12:13], v5, v12 src0_sel:BYTE_0 src1_sel:DWORD
	s_and_saveexec_b64 s[10:11], s[12:13]
	s_cbranch_execz .LBB878_767
; %bb.762:
	s_movk_i32 s7, 0x80
	v_cmp_ne_u16_sdwa s[14:15], v5, s7 src0_sel:BYTE_0 src1_sel:DWORD
	v_mov_b32_e32 v12, 0xffff8000
	s_and_saveexec_b64 s[12:13], s[14:15]
	s_cbranch_execz .LBB878_766
; %bb.763:
	s_movk_i32 s7, 0x7f
	v_and_b32_e32 v2, 0x7f, v5
	v_cmp_ne_u32_e32 vcc, s7, v2
	v_mov_b32_e32 v12, 0x7f80
	s_and_saveexec_b64 s[14:15], vcc
	s_cbranch_execz .LBB878_765
; %bb.764:
	v_and_b32_e32 v12, 7, v5
	v_ffbh_u32_e32 v14, v12
	v_min_u32_e32 v17, 32, v14
	v_mov_b32_e32 v4, v5
	v_subrev_u32_e32 v14, 28, v17
	v_lshlrev_b64 v[14:15], v14, v[4:5]
	v_lshrrev_b32_e32 v16, 3, v2
	v_sub_u32_e32 v4, 29, v17
	v_and_b32_e32 v14, 7, v14
	v_cmp_gt_u32_e32 vcc, 8, v2
	v_cndmask_b32_e32 v2, v16, v4, vcc
	v_cndmask_b32_e32 v4, v12, v14, vcc
	v_lshlrev_b32_e32 v12, 24, v5
	v_bfrev_b32_e32 v14, 60
	v_lshlrev_b32_e32 v4, 20, v4
	v_and_b32_e32 v12, 0x80000000, v12
	v_lshl_add_u32 v2, v2, 23, v14
	v_or3_b32 v2, v12, v2, v4
	v_lshrrev_b32_e32 v12, 16, v2
.LBB878_765:
	s_or_b64 exec, exec, s[14:15]
.LBB878_766:
	s_or_b64 exec, exec, s[12:13]
.LBB878_767:
	s_or_b64 exec, exec, s[10:11]
	v_lshrrev_b16_e32 v2, 8, v5
	v_cmp_ne_u16_e32 vcc, 0, v2
	v_mov_b32_e32 v14, 0
	v_mov_b32_e32 v4, 0
	s_and_saveexec_b64 s[10:11], vcc
	s_cbranch_execz .LBB878_773
; %bb.768:
	s_movk_i32 s7, 0x80
	v_cmp_ne_u16_e32 vcc, s7, v2
	v_mov_b32_e32 v4, 0xffff8000
	s_and_saveexec_b64 s[12:13], vcc
	s_cbranch_execz .LBB878_772
; %bb.769:
	s_movk_i32 s7, 0x7f
	v_and_b32_e32 v15, 0x7f, v2
	v_cmp_ne_u32_e32 vcc, s7, v15
	v_mov_b32_e32 v4, 0x7f80
	s_and_saveexec_b64 s[14:15], vcc
	s_cbranch_execz .LBB878_771
; %bb.770:
	v_and_b32_e32 v4, 7, v2
	v_ffbh_u32_e32 v16, v4
	v_min_u32_e32 v19, 32, v16
	v_subrev_u32_e32 v16, 28, v19
	v_lshlrev_b64 v[16:17], v16, v[2:3]
	v_lshrrev_b32_e32 v18, 3, v15
	v_sub_u32_e32 v2, 29, v19
	v_and_b32_e32 v16, 7, v16
	v_cmp_gt_u32_e32 vcc, 8, v15
	v_cndmask_b32_e32 v2, v18, v2, vcc
	v_cndmask_b32_e32 v4, v4, v16, vcc
	v_lshlrev_b32_e32 v15, 16, v5
	v_bfrev_b32_e32 v16, 60
	v_lshlrev_b32_e32 v4, 20, v4
	v_and_b32_e32 v15, 0x80000000, v15
	v_lshl_add_u32 v2, v2, 23, v16
	v_or3_b32 v2, v15, v2, v4
	v_lshrrev_b32_e32 v4, 16, v2
.LBB878_771:
	s_or_b64 exec, exec, s[14:15]
.LBB878_772:
	s_or_b64 exec, exec, s[12:13]
.LBB878_773:
	s_or_b64 exec, exec, s[10:11]
	s_movk_i32 s7, 0xff
	v_and_b32_sdwa v15, v5, s7 dst_sel:DWORD dst_unused:UNUSED_PAD src0_sel:WORD_1 src1_sel:DWORD
	v_lshrrev_b32_e32 v2, 16, v5
	v_cmp_ne_u16_e32 vcc, 0, v15
	s_and_saveexec_b64 s[10:11], vcc
	s_cbranch_execz .LBB878_779
; %bb.774:
	s_movk_i32 s7, 0x80
	v_cmp_ne_u16_e32 vcc, s7, v15
	v_mov_b32_e32 v14, 0xffff8000
	s_and_saveexec_b64 s[12:13], vcc
	s_cbranch_execz .LBB878_778
; %bb.775:
	v_bfe_u32 v15, v5, 16, 7
	s_movk_i32 s7, 0x7f
	v_cmp_ne_u32_e32 vcc, s7, v15
	v_mov_b32_e32 v14, 0x7f80
	s_and_saveexec_b64 s[14:15], vcc
	s_cbranch_execz .LBB878_777
; %bb.776:
	v_and_b32_e32 v14, 7, v2
	v_ffbh_u32_e32 v16, v14
	v_min_u32_e32 v19, 32, v16
	v_subrev_u32_e32 v16, 28, v19
	v_lshlrev_b64 v[16:17], v16, v[2:3]
	v_lshrrev_b32_e32 v18, 3, v15
	v_sub_u32_e32 v2, 29, v19
	v_and_b32_e32 v16, 7, v16
	v_cmp_gt_u32_e32 vcc, 8, v15
	v_mov_b32_e32 v15, 24
	v_cndmask_b32_e32 v2, v18, v2, vcc
	v_cndmask_b32_e32 v14, v14, v16, vcc
	v_lshlrev_b32_sdwa v15, v15, v5 dst_sel:DWORD dst_unused:UNUSED_PAD src0_sel:DWORD src1_sel:WORD_1
	v_bfrev_b32_e32 v16, 60
	v_lshlrev_b32_e32 v14, 20, v14
	v_and_b32_e32 v15, 0x80000000, v15
	v_lshl_add_u32 v2, v2, 23, v16
	v_or3_b32 v2, v15, v2, v14
	v_lshrrev_b32_e32 v14, 16, v2
.LBB878_777:
	s_or_b64 exec, exec, s[14:15]
.LBB878_778:
	s_or_b64 exec, exec, s[12:13]
.LBB878_779:
	s_or_b64 exec, exec, s[10:11]
	s_mov_b32 s7, 0xffffff
	v_cmp_lt_u32_e32 vcc, s7, v5
	v_mov_b32_e32 v15, 0
	s_and_saveexec_b64 s[10:11], vcc
	s_cbranch_execz .LBB878_785
; %bb.780:
	v_lshrrev_b32_e32 v2, 24, v5
	s_movk_i32 s7, 0x80
	v_cmp_ne_u32_e32 vcc, s7, v2
	v_mov_b32_e32 v15, 0xffff8000
	s_and_saveexec_b64 s[12:13], vcc
	s_cbranch_execz .LBB878_784
; %bb.781:
	v_bfe_u32 v5, v5, 24, 7
	s_movk_i32 s7, 0x7f
	v_cmp_ne_u32_e32 vcc, s7, v5
	v_mov_b32_e32 v15, 0x7f80
	s_and_saveexec_b64 s[14:15], vcc
	s_cbranch_execz .LBB878_783
; %bb.782:
	v_and_b32_e32 v15, 7, v2
	v_ffbh_u32_e32 v16, v15
	v_min_u32_e32 v19, 32, v16
	v_subrev_u32_e32 v16, 28, v19
	v_lshlrev_b64 v[16:17], v16, v[2:3]
	v_lshrrev_b32_e32 v18, 3, v5
	v_sub_u32_e32 v17, 29, v19
	v_and_b32_e32 v16, 7, v16
	v_cmp_gt_u32_e32 vcc, 8, v5
	v_cndmask_b32_e32 v5, v18, v17, vcc
	v_cndmask_b32_e32 v15, v15, v16, vcc
	v_lshlrev_b32_e32 v2, 24, v2
	v_bfrev_b32_e32 v16, 60
	v_lshlrev_b32_e32 v15, 20, v15
	v_and_b32_e32 v2, 0x80000000, v2
	v_lshl_add_u32 v5, v5, 23, v16
	v_or3_b32 v2, v2, v5, v15
	v_lshrrev_b32_e32 v15, 16, v2
.LBB878_783:
	s_or_b64 exec, exec, s[14:15]
.LBB878_784:
	s_or_b64 exec, exec, s[12:13]
.LBB878_785:
	s_or_b64 exec, exec, s[10:11]
	s_mov_b32 s7, 0x5040100
	v_perm_b32 v11, v13, v11, s7
	ds_read_b128 v[16:19], v22 offset:6160
	v_perm_b32 v10, v3, v10, s7
	v_perm_b32 v3, v15, v14, s7
	;; [unrolled: 1-line block ×3, first 2 shown]
	s_waitcnt lgkmcnt(0)
	v_mfma_f32_16x16x16bf16_1k v[6:9], v[10:11], v[16:17], v[6:9]
	s_load_dword s10, s[46:47], 0x0
	s_movk_i32 s9, 0x7fff
	v_cmp_gt_u32_e32 vcc, 64, v0
	s_mov_b32 s7, 0x7060302
	s_and_b64 s[0:1], s[0:1], vcc
	s_and_b64 s[0:1], s[0:1], s[2:3]
	s_waitcnt lgkmcnt(0)
	v_mfma_f32_16x16x16bf16_1k v[2:5], v[2:3], v[18:19], v[6:9]
	s_barrier
	s_nop 7
	s_nop 1
	v_pk_mul_f32 v[4:5], v[4:5], s[10:11] op_sel_hi:[1,0]
	v_pk_mul_f32 v[2:3], v[2:3], s[10:11] op_sel_hi:[1,0]
	v_bfe_u32 v6, v3, 16, 1
	v_bfe_u32 v7, v2, 16, 1
	;; [unrolled: 1-line block ×4, first 2 shown]
	v_add3_u32 v2, v2, v7, s9
	v_add3_u32 v3, v3, v6, s9
	;; [unrolled: 1-line block ×4, first 2 shown]
	v_perm_b32 v2, v3, v2, s7
	v_perm_b32 v3, v5, v4, s7
	ds_write_b64 v26, v[2:3]
	s_waitcnt lgkmcnt(0)
	s_barrier
	s_and_saveexec_b64 s[2:3], s[0:1]
	s_cbranch_execz .LBB878_787
; %bb.786:
	s_load_dwordx2 s[0:1], s[4:5], 0x68
	s_mul_i32 s2, s49, s6
	s_lshl_b32 s4, s48, 6
	s_mul_hi_u32 s3, s2, s4
	s_mul_i32 s2, s2, s4
	s_lshl_b64 s[2:3], s[2:3], 1
	v_lshlrev_b32_e32 v0, 10, v0
	s_waitcnt lgkmcnt(0)
	s_add_u32 s2, s0, s2
	v_and_b32_e32 v0, 0x1800, v0
	v_lshlrev_b32_e32 v2, 5, v46
	v_and_b32_e32 v3, 16, v47
	s_addc_u32 s3, s1, s3
	s_lshl_b32 s0, s26, 6
	s_mov_b32 s1, 0
	v_or3_b32 v0, v0, v2, v3
	s_lshl_b64 s[0:1], s[0:1], 1
	ds_read_b128 v[2:5], v0
	s_add_u32 s2, s2, s0
	s_addc_u32 s3, s3, s1
	s_mul_hi_u32 s1, s4, s8
	s_mul_i32 s0, s4, s8
	s_lshl_b64 s[0:1], s[0:1], 1
	s_add_u32 s0, s2, s0
	s_addc_u32 s1, s3, s1
	s_waitcnt lgkmcnt(0)
	global_store_dwordx4 v1, v[2:5], s[0:1]
.LBB878_787:
	s_endpgm
	.section	.rodata,"a",@progbits
	.p2align	6, 0x0
	.amdhsa_kernel _Z39paged_attention_ll4mi_QKV_mfma16_kernelI14__hip_bfloat16hLN4vllm18Fp8KVCacheDataTypeE1ES0_Li32ELi64ELi256ELb1ELi1EL8MFMAType0EEvPKT_PKT0_S9_ifPKiSB_SB_iPKfiiiPfSE_PS4_PT2_iSD_SD_
		.amdhsa_group_segment_fixed_size 8192
		.amdhsa_private_segment_fixed_size 0
		.amdhsa_kernarg_size 400
		.amdhsa_user_sgpr_count 6
		.amdhsa_user_sgpr_private_segment_buffer 1
		.amdhsa_user_sgpr_dispatch_ptr 0
		.amdhsa_user_sgpr_queue_ptr 0
		.amdhsa_user_sgpr_kernarg_segment_ptr 1
		.amdhsa_user_sgpr_dispatch_id 0
		.amdhsa_user_sgpr_flat_scratch_init 0
		.amdhsa_user_sgpr_kernarg_preload_length 0
		.amdhsa_user_sgpr_kernarg_preload_offset 0
		.amdhsa_user_sgpr_private_segment_size 0
		.amdhsa_uses_dynamic_stack 0
		.amdhsa_system_sgpr_private_segment_wavefront_offset 0
		.amdhsa_system_sgpr_workgroup_id_x 1
		.amdhsa_system_sgpr_workgroup_id_y 1
		.amdhsa_system_sgpr_workgroup_id_z 1
		.amdhsa_system_sgpr_workgroup_info 0
		.amdhsa_system_vgpr_workitem_id 0
		.amdhsa_next_free_vgpr 63
		.amdhsa_next_free_sgpr 50
		.amdhsa_accum_offset 64
		.amdhsa_reserve_vcc 1
		.amdhsa_reserve_flat_scratch 0
		.amdhsa_float_round_mode_32 0
		.amdhsa_float_round_mode_16_64 0
		.amdhsa_float_denorm_mode_32 3
		.amdhsa_float_denorm_mode_16_64 3
		.amdhsa_dx10_clamp 1
		.amdhsa_ieee_mode 1
		.amdhsa_fp16_overflow 0
		.amdhsa_tg_split 0
		.amdhsa_exception_fp_ieee_invalid_op 0
		.amdhsa_exception_fp_denorm_src 0
		.amdhsa_exception_fp_ieee_div_zero 0
		.amdhsa_exception_fp_ieee_overflow 0
		.amdhsa_exception_fp_ieee_underflow 0
		.amdhsa_exception_fp_ieee_inexact 0
		.amdhsa_exception_int_div_zero 0
	.end_amdhsa_kernel
	.section	.text._Z39paged_attention_ll4mi_QKV_mfma16_kernelI14__hip_bfloat16hLN4vllm18Fp8KVCacheDataTypeE1ES0_Li32ELi64ELi256ELb1ELi1EL8MFMAType0EEvPKT_PKT0_S9_ifPKiSB_SB_iPKfiiiPfSE_PS4_PT2_iSD_SD_,"axG",@progbits,_Z39paged_attention_ll4mi_QKV_mfma16_kernelI14__hip_bfloat16hLN4vllm18Fp8KVCacheDataTypeE1ES0_Li32ELi64ELi256ELb1ELi1EL8MFMAType0EEvPKT_PKT0_S9_ifPKiSB_SB_iPKfiiiPfSE_PS4_PT2_iSD_SD_,comdat
.Lfunc_end878:
	.size	_Z39paged_attention_ll4mi_QKV_mfma16_kernelI14__hip_bfloat16hLN4vllm18Fp8KVCacheDataTypeE1ES0_Li32ELi64ELi256ELb1ELi1EL8MFMAType0EEvPKT_PKT0_S9_ifPKiSB_SB_iPKfiiiPfSE_PS4_PT2_iSD_SD_, .Lfunc_end878-_Z39paged_attention_ll4mi_QKV_mfma16_kernelI14__hip_bfloat16hLN4vllm18Fp8KVCacheDataTypeE1ES0_Li32ELi64ELi256ELb1ELi1EL8MFMAType0EEvPKT_PKT0_S9_ifPKiSB_SB_iPKfiiiPfSE_PS4_PT2_iSD_SD_
                                        ; -- End function
	.section	.AMDGPU.csdata,"",@progbits
; Kernel info:
; codeLenInByte = 28552
; NumSgprs: 54
; NumVgprs: 63
; NumAgprs: 0
; TotalNumVgprs: 63
; ScratchSize: 0
; MemoryBound: 0
; FloatMode: 240
; IeeeMode: 1
; LDSByteSize: 8192 bytes/workgroup (compile time only)
; SGPRBlocks: 6
; VGPRBlocks: 7
; NumSGPRsForWavesPerEU: 54
; NumVGPRsForWavesPerEU: 63
; AccumOffset: 64
; Occupancy: 8
; WaveLimiterHint : 1
; COMPUTE_PGM_RSRC2:SCRATCH_EN: 0
; COMPUTE_PGM_RSRC2:USER_SGPR: 6
; COMPUTE_PGM_RSRC2:TRAP_HANDLER: 0
; COMPUTE_PGM_RSRC2:TGID_X_EN: 1
; COMPUTE_PGM_RSRC2:TGID_Y_EN: 1
; COMPUTE_PGM_RSRC2:TGID_Z_EN: 1
; COMPUTE_PGM_RSRC2:TIDIG_COMP_CNT: 0
; COMPUTE_PGM_RSRC3_GFX90A:ACCUM_OFFSET: 15
; COMPUTE_PGM_RSRC3_GFX90A:TG_SPLIT: 0
	.section	.text._Z39paged_attention_ll4mi_QKV_mfma16_kernelI14__hip_bfloat16hLN4vllm18Fp8KVCacheDataTypeE1ES0_Li32ELi64ELi256ELb1ELi2EL8MFMAType0EEvPKT_PKT0_S9_ifPKiSB_SB_iPKfiiiPfSE_PS4_PT2_iSD_SD_,"axG",@progbits,_Z39paged_attention_ll4mi_QKV_mfma16_kernelI14__hip_bfloat16hLN4vllm18Fp8KVCacheDataTypeE1ES0_Li32ELi64ELi256ELb1ELi2EL8MFMAType0EEvPKT_PKT0_S9_ifPKiSB_SB_iPKfiiiPfSE_PS4_PT2_iSD_SD_,comdat
	.protected	_Z39paged_attention_ll4mi_QKV_mfma16_kernelI14__hip_bfloat16hLN4vllm18Fp8KVCacheDataTypeE1ES0_Li32ELi64ELi256ELb1ELi2EL8MFMAType0EEvPKT_PKT0_S9_ifPKiSB_SB_iPKfiiiPfSE_PS4_PT2_iSD_SD_ ; -- Begin function _Z39paged_attention_ll4mi_QKV_mfma16_kernelI14__hip_bfloat16hLN4vllm18Fp8KVCacheDataTypeE1ES0_Li32ELi64ELi256ELb1ELi2EL8MFMAType0EEvPKT_PKT0_S9_ifPKiSB_SB_iPKfiiiPfSE_PS4_PT2_iSD_SD_
	.globl	_Z39paged_attention_ll4mi_QKV_mfma16_kernelI14__hip_bfloat16hLN4vllm18Fp8KVCacheDataTypeE1ES0_Li32ELi64ELi256ELb1ELi2EL8MFMAType0EEvPKT_PKT0_S9_ifPKiSB_SB_iPKfiiiPfSE_PS4_PT2_iSD_SD_
	.p2align	8
	.type	_Z39paged_attention_ll4mi_QKV_mfma16_kernelI14__hip_bfloat16hLN4vllm18Fp8KVCacheDataTypeE1ES0_Li32ELi64ELi256ELb1ELi2EL8MFMAType0EEvPKT_PKT0_S9_ifPKiSB_SB_iPKfiiiPfSE_PS4_PT2_iSD_SD_,@function
_Z39paged_attention_ll4mi_QKV_mfma16_kernelI14__hip_bfloat16hLN4vllm18Fp8KVCacheDataTypeE1ES0_Li32ELi64ELi256ELb1ELi2EL8MFMAType0EEvPKT_PKT0_S9_ifPKiSB_SB_iPKfiiiPfSE_PS4_PT2_iSD_SD_: ; @_Z39paged_attention_ll4mi_QKV_mfma16_kernelI14__hip_bfloat16hLN4vllm18Fp8KVCacheDataTypeE1ES0_Li32ELi64ELi256ELb1ELi2EL8MFMAType0EEvPKT_PKT0_S9_ifPKiSB_SB_iPKfiiiPfSE_PS4_PT2_iSD_SD_
; %bb.0:
	s_load_dwordx2 s[0:1], s[4:5], 0x30
	s_mov_b32 s24, s7
	s_mov_b64 s[10:11], 0
	s_waitcnt lgkmcnt(0)
	s_cmp_lg_u64 s[0:1], 0
	s_cselect_b64 s[2:3], -1, 0
	s_and_b64 vcc, exec, s[2:3]
	s_cbranch_vccz .LBB879_7
; %bb.1:
	s_add_i32 s12, s6, 1
	s_mov_b32 s13, 0
	s_lshl_b64 s[14:15], s[12:13], 2
	s_add_u32 s14, s0, s14
	s_mov_b32 s7, s13
	s_addc_u32 s15, s1, s15
	s_lshl_b64 s[12:13], s[6:7], 2
	s_add_u32 s12, s0, s12
	s_addc_u32 s13, s1, s13
	s_load_dword s9, s[14:15], 0x0
	s_load_dword s16, s[12:13], 0x0
	s_waitcnt lgkmcnt(0)
	s_sub_i32 s9, s9, s16
	s_cmp_eq_u32 s9, 1
	s_cselect_b64 s[12:13], -1, 0
	s_andn2_b64 vcc, exec, s[10:11]
	s_cbranch_vccnz .LBB879_3
.LBB879_2:
	s_mov_b32 s7, 0
	s_mov_b64 s[12:13], -1
.LBB879_3:
	s_andn2_b64 vcc, exec, s[12:13]
	s_cbranch_vccnz .LBB879_787
; %bb.4:
	s_load_dwordx2 s[12:13], s[4:5], 0x28
	s_lshl_b64 s[10:11], s[6:7], 2
	s_waitcnt lgkmcnt(0)
	s_add_u32 s12, s12, s10
	s_addc_u32 s13, s13, s11
	s_load_dword s33, s[12:13], 0x0
	s_lshl_b32 s18, s24, 8
	s_waitcnt lgkmcnt(0)
	s_cmp_ge_i32 s18, s33
	s_cbranch_scc1 .LBB879_787
; %bb.5:
	s_add_i32 s14, s33, 31
	s_load_dwordx2 s[12:13], s[4:5], 0x20
	s_load_dword s9, s[4:5], 0x38
	s_ashr_i32 s15, s14, 31
	v_and_b32_e32 v1, 0xcf, v0
	s_lshr_b32 s15, s15, 27
	v_add_u32_e32 v1, s18, v1
	s_add_i32 s14, s14, s15
	v_ashrrev_i32_e32 v2, 31, v1
	s_ashr_i32 s21, s14, 5
	v_lshrrev_b32_e32 v4, 27, v2
	s_add_i32 s21, s21, -1
	v_add_u32_e32 v2, v1, v4
	s_waitcnt lgkmcnt(0)
	s_mul_i32 s14, s6, s9
	s_mov_b32 s15, 0
	v_ashrrev_i32_e32 v2, 5, v2
	v_mov_b32_e32 v5, s21
	v_cmp_gt_i32_e32 vcc, s33, v1
	s_lshl_b64 s[14:15], s[14:15], 2
	v_cndmask_b32_e32 v2, v5, v2, vcc
	s_add_u32 s19, s12, s14
	v_ashrrev_i32_e32 v3, 31, v2
	s_addc_u32 s20, s13, s15
	v_lshlrev_b64 v[2:3], 2, v[2:3]
	v_mov_b32_e32 v7, s20
	v_add_co_u32_e32 v6, vcc, s19, v2
	v_or_b32_e32 v2, 16, v1
	v_addc_co_u32_e32 v7, vcc, v7, v3, vcc
	v_add_u32_e32 v3, v2, v4
	v_ashrrev_i32_e32 v3, 5, v3
	v_cmp_gt_i32_e32 vcc, s33, v2
	v_cndmask_b32_e32 v2, v5, v3, vcc
	v_ashrrev_i32_e32 v3, 31, v2
	v_lshlrev_b64 v[2:3], 2, v[2:3]
	v_mov_b32_e32 v9, s20
	v_add_co_u32_e32 v8, vcc, s19, v2
	v_or_b32_e32 v2, 32, v1
	v_addc_co_u32_e32 v9, vcc, v9, v3, vcc
	v_add_u32_e32 v3, v2, v4
	v_ashrrev_i32_e32 v3, 5, v3
	v_cmp_gt_i32_e32 vcc, s33, v2
	v_cndmask_b32_e32 v2, v5, v3, vcc
	v_ashrrev_i32_e32 v3, 31, v2
	;; [unrolled: 10-line block ×3, first 2 shown]
	v_lshlrev_b64 v[2:3], 2, v[2:3]
	v_mov_b32_e32 v1, s20
	v_add_co_u32_e32 v12, vcc, s19, v2
	v_addc_co_u32_e32 v13, vcc, v1, v3, vcc
	global_load_dword v5, v[6:7], off
	global_load_dword v4, v[8:9], off
	;; [unrolled: 1-line block ×4, first 2 shown]
	s_load_dwordx2 s[16:17], s[4:5], 0x8
	s_andn2_b64 vcc, exec, s[2:3]
	s_cbranch_vccnz .LBB879_8
; %bb.6:
	s_add_u32 s0, s0, s10
	s_addc_u32 s1, s1, s11
	s_load_dword s9, s[0:1], 0x0
	s_branch .LBB879_9
.LBB879_7:
	s_mov_b64 s[12:13], 0
	s_branch .LBB879_2
.LBB879_8:
	s_mov_b32 s9, s6
.LBB879_9:
	s_load_dwordx2 s[2:3], s[4:5], 0x10
	s_load_dwordx4 s[12:15], s[4:5], 0x48
	v_lshrrev_b32_e32 v49, 6, v0
	v_bfe_u32 v1, v0, 4, 2
	v_lshl_or_b32 v6, v49, 2, v1
	v_and_b32_e32 v50, 15, v0
	v_lshlrev_b32_e32 v7, 3, v50
	v_cmp_gt_u32_e32 vcc, 2, v6
	v_cmp_gt_u32_e64 s[0:1], 8, v50
	s_lshl_b32 s25, s8, 1
	s_and_b64 s[22:23], s[0:1], vcc
	v_lshlrev_b32_e32 v46, 1, v7
	v_lshlrev_b32_e32 v47, 4, v0
	s_and_saveexec_b64 s[10:11], s[22:23]
	s_cbranch_execz .LBB879_11
; %bb.10:
	s_load_dwordx2 s[22:23], s[4:5], 0x0
	s_waitcnt lgkmcnt(0)
	s_ashr_i32 s15, s12, 31
	s_mul_hi_u32 s26, s9, s12
	s_mul_i32 s15, s9, s15
	s_add_i32 s27, s26, s15
	s_mul_i32 s26, s9, s12
	s_lshl_b64 s[26:27], s[26:27], 1
	v_add_lshl_u32 v8, v1, s25, 6
	s_add_u32 s9, s22, s26
	v_ashrrev_i32_e32 v9, 31, v8
	s_addc_u32 s12, s23, s27
	v_lshlrev_b64 v[8:9], 1, v[8:9]
	v_mov_b32_e32 v7, s12
	v_add_co_u32_e32 v8, vcc, s9, v8
	v_addc_co_u32_e32 v7, vcc, v7, v9, vcc
	v_add_co_u32_e32 v8, vcc, v8, v46
	v_addc_co_u32_e32 v9, vcc, 0, v7, vcc
	global_load_dwordx4 v[8:11], v[8:9], off
	v_lshlrev_b32_e32 v12, 8, v50
	v_lshlrev_b32_e32 v6, 5, v6
	v_and_b32_e32 v7, 16, v47
	v_and_b32_e32 v12, 0xe00, v12
	v_or3_b32 v6, v12, v6, v7
	s_waitcnt vmcnt(0)
	ds_write_b128 v6, v[8:11]
.LBB879_11:
	s_or_b64 exec, exec, s[10:11]
	s_waitcnt lgkmcnt(0)
	s_mul_i32 s10, s8, s14
	s_add_u32 s8, s16, s10
	s_addc_u32 s9, s17, 0
	v_pk_mov_b32 v[8:9], s[8:9], s[8:9] op_sel:[0,1]
	s_waitcnt vmcnt(3)
	v_mad_i64_i32 v[10:11], s[8:9], v5, s13, v[8:9]
	v_lshlrev_b32_e32 v12, 4, v50
	v_and_b32_e32 v6, 48, v0
	v_add_co_u32_e32 v5, vcc, v10, v12
	v_lshlrev_b32_e32 v7, 5, v6
	v_addc_co_u32_e32 v11, vcc, 0, v11, vcc
	v_add_co_u32_e32 v10, vcc, v5, v7
	v_addc_co_u32_e32 v11, vcc, 0, v11, vcc
	s_waitcnt vmcnt(2)
	v_mad_i64_i32 v[4:5], s[8:9], v4, s13, v[8:9]
	v_or_b32_e32 v13, 0x100, v12
	v_add_co_u32_e32 v4, vcc, v4, v13
	v_addc_co_u32_e32 v5, vcc, 0, v5, vcc
	v_add_co_u32_e32 v4, vcc, v4, v7
	v_addc_co_u32_e32 v5, vcc, 0, v5, vcc
	s_barrier
	global_load_dwordx4 v[34:37], v[10:11], off
	global_load_dwordx4 v[38:41], v[4:5], off
	s_waitcnt vmcnt(3)
	v_mad_i64_i32 v[4:5], s[8:9], v3, s13, v[8:9]
	v_add_co_u32_e32 v3, vcc, v4, v12
	v_addc_co_u32_e32 v5, vcc, 0, v5, vcc
	v_add_co_u32_e32 v4, vcc, v3, v7
	v_addc_co_u32_e32 v5, vcc, 0, v5, vcc
	s_waitcnt vmcnt(2)
	v_mad_i64_i32 v[2:3], s[8:9], v2, s13, v[8:9]
	v_add_co_u32_e32 v2, vcc, v2, v13
	v_addc_co_u32_e32 v3, vcc, 0, v3, vcc
	v_add_co_u32_e32 v2, vcc, v2, v7
	v_addc_co_u32_e32 v3, vcc, 0, v3, vcc
	global_load_dwordx4 v[30:33], v[4:5], off
	global_load_dwordx4 v[22:25], v[2:3], off
	v_and_b32_e32 v2, 1, v0
	v_lshlrev_b32_e32 v2, 5, v2
	v_lshl_or_b32 v2, v1, 9, v2
	ds_read_b128 v[26:29], v2
	ds_read_b128 v[18:21], v2 offset:16
	v_cmp_gt_u32_e32 vcc, 2, v50
	v_mov_b32_e32 v43, 0
	v_mov_b32_e32 v51, 0
	s_and_saveexec_b64 s[8:9], vcc
	s_cbranch_execz .LBB879_13
; %bb.12:
	s_load_dwordx2 s[14:15], s[4:5], 0x40
	v_or_b32_e32 v2, s25, v50
	v_ashrrev_i32_e32 v3, 31, v2
	v_lshlrev_b64 v[2:3], 2, v[2:3]
	s_waitcnt lgkmcnt(0)
	v_mov_b32_e32 v4, s15
	v_add_co_u32_e32 v2, vcc, s14, v2
	v_addc_co_u32_e32 v3, vcc, v4, v3, vcc
	global_load_dword v51, v[2:3], off
.LBB879_13:
	s_or_b64 exec, exec, s[8:9]
	s_ashr_i32 s8, s18, 31
	v_or_b32_e32 v8, s18, v6
	s_lshr_b32 s8, s8, 27
	v_add_u32_e32 v2, s8, v8
	v_ashrrev_i32_e32 v2, 5, v2
	v_mov_b32_e32 v9, s21
	v_cmp_gt_i32_e32 vcc, s33, v8
	v_cndmask_b32_e32 v2, v9, v2, vcc
	v_ashrrev_i32_e32 v3, 31, v2
	v_lshlrev_b64 v[2:3], 2, v[2:3]
	v_mov_b32_e32 v4, s20
	v_add_co_u32_e32 v2, vcc, s19, v2
	v_addc_co_u32_e32 v3, vcc, v4, v3, vcc
	v_or_b32_e32 v4, 64, v8
	v_add_u32_e32 v5, s8, v4
	v_ashrrev_i32_e32 v5, 5, v5
	v_cmp_gt_i32_e32 vcc, s33, v4
	v_cndmask_b32_e32 v4, v9, v5, vcc
	v_ashrrev_i32_e32 v5, 31, v4
	v_lshlrev_b64 v[4:5], 2, v[4:5]
	v_mov_b32_e32 v6, s20
	v_add_co_u32_e32 v4, vcc, s19, v4
	v_addc_co_u32_e32 v5, vcc, v6, v5, vcc
	v_or_b32_e32 v6, 0x80, v8
	v_add_u32_e32 v7, s8, v6
	v_ashrrev_i32_e32 v7, 5, v7
	v_cmp_gt_i32_e32 vcc, s33, v6
	v_cndmask_b32_e32 v6, v9, v7, vcc
	v_ashrrev_i32_e32 v7, 31, v6
	v_lshlrev_b64 v[6:7], 2, v[6:7]
	v_mov_b32_e32 v10, s20
	v_add_co_u32_e32 v6, vcc, s19, v6
	v_addc_co_u32_e32 v7, vcc, v10, v7, vcc
	global_load_dword v10, v[2:3], off
	global_load_dword v11, v[4:5], off
	;; [unrolled: 1-line block ×3, first 2 shown]
	v_or_b32_e32 v2, 0xc0, v8
	v_add_u32_e32 v3, s8, v2
	v_ashrrev_i32_e32 v3, 5, v3
	v_cmp_gt_i32_e32 vcc, s33, v2
	v_cndmask_b32_e32 v2, v9, v3, vcc
	v_ashrrev_i32_e32 v3, 31, v2
	v_lshlrev_b64 v[2:3], 2, v[2:3]
	v_mov_b32_e32 v4, s20
	v_add_co_u32_e32 v2, vcc, s19, v2
	v_addc_co_u32_e32 v3, vcc, v4, v3, vcc
	global_load_dword v13, v[2:3], off
	s_add_u32 s2, s2, s10
	v_and_b32_e32 v2, 16, v0
	s_addc_u32 s3, s3, 0
	v_lshlrev_b32_e32 v48, 5, v50
	v_mov_b32_e32 v4, s3
	v_add_co_u32_e32 v2, vcc, s2, v2
	v_lshl_or_b32 v3, v49, 9, v48
	v_addc_co_u32_e32 v4, vcc, 0, v4, vcc
	v_add_co_u32_e32 v2, vcc, v2, v3
	v_addc_co_u32_e32 v3, vcc, 0, v4, vcc
	s_movk_i32 s8, 0x80
	s_waitcnt vmcnt(7)
	v_cmp_ne_u16_sdwa s[10:11], v34, v43 src0_sel:BYTE_0 src1_sel:DWORD
	s_waitcnt vmcnt(3)
	v_mad_i64_i32 v[4:5], s[2:3], v10, s13, v[2:3]
	s_waitcnt vmcnt(2)
	v_mad_i64_i32 v[6:7], s[2:3], v11, s13, v[2:3]
	;; [unrolled: 2-line block ×4, first 2 shown]
	global_load_dwordx4 v[14:17], v[4:5], off
	global_load_dwordx4 v[10:13], v[6:7], off
	s_nop 0
	global_load_dwordx4 v[6:9], v[8:9], off
	s_nop 0
	global_load_dwordx4 v[2:5], v[2:3], off
	s_load_dwordx4 s[40:43], s[4:5], 0x80
	s_load_dwordx2 s[44:45], s[4:5], 0x94
	s_waitcnt lgkmcnt(0)
	s_load_dword s12, s[40:41], 0x0
	s_and_saveexec_b64 s[2:3], s[10:11]
	s_cbranch_execz .LBB879_19
; %bb.14:
	v_cmp_ne_u16_sdwa s[10:11], v34, s8 src0_sel:BYTE_0 src1_sel:DWORD
	v_mov_b32_e32 v43, 0xffff8000
	s_and_saveexec_b64 s[8:9], s[10:11]
	s_cbranch_execz .LBB879_18
; %bb.15:
	s_movk_i32 s10, 0x7f
	v_and_b32_e32 v42, 0x7f, v34
	v_cmp_ne_u32_e32 vcc, s10, v42
	v_mov_b32_e32 v43, 0x7f80
	s_and_saveexec_b64 s[10:11], vcc
	s_cbranch_execz .LBB879_17
; %bb.16:
	v_and_b32_e32 v43, 7, v34
	v_ffbh_u32_e32 v44, v43
	v_min_u32_e32 v53, 32, v44
	v_subrev_u32_e32 v44, 28, v53
	v_lshlrev_b64 v[44:45], v44, v[34:35]
	v_lshrrev_b32_e32 v52, 3, v42
	v_sub_u32_e32 v45, 29, v53
	v_and_b32_e32 v44, 7, v44
	v_cmp_gt_u32_e32 vcc, 8, v42
	v_cndmask_b32_e32 v42, v52, v45, vcc
	v_cndmask_b32_e32 v43, v43, v44, vcc
	v_lshlrev_b32_e32 v44, 24, v34
	v_bfrev_b32_e32 v45, 60
	v_lshlrev_b32_e32 v43, 20, v43
	v_and_b32_e32 v44, 0x80000000, v44
	v_lshl_add_u32 v42, v42, 23, v45
	v_or3_b32 v42, v44, v42, v43
	v_lshrrev_b32_e32 v43, 16, v42
.LBB879_17:
	s_or_b64 exec, exec, s[10:11]
.LBB879_18:
	s_or_b64 exec, exec, s[8:9]
.LBB879_19:
	s_or_b64 exec, exec, s[2:3]
	v_lshrrev_b16_e32 v42, 8, v34
	v_cmp_ne_u16_e32 vcc, 0, v42
	v_mov_b32_e32 v45, 0
	v_mov_b32_e32 v44, 0
	s_and_saveexec_b64 s[2:3], vcc
	s_cbranch_execz .LBB879_25
; %bb.20:
	s_movk_i32 s8, 0x80
	v_cmp_ne_u16_e32 vcc, s8, v42
	v_mov_b32_e32 v44, 0xffff8000
	s_and_saveexec_b64 s[8:9], vcc
	s_cbranch_execz .LBB879_24
; %bb.21:
	s_movk_i32 s10, 0x7f
	v_and_b32_e32 v52, 0x7f, v42
	v_cmp_ne_u32_e32 vcc, s10, v52
	v_mov_b32_e32 v44, 0x7f80
	s_and_saveexec_b64 s[10:11], vcc
	s_cbranch_execz .LBB879_23
; %bb.22:
	v_and_b32_e32 v44, 7, v42
	v_ffbh_u32_e32 v54, v44
	v_min_u32_e32 v56, 32, v54
	v_subrev_u32_e32 v54, 28, v56
	v_lshlrev_b64 v[54:55], v54, v[42:43]
	v_lshrrev_b32_e32 v53, 3, v52
	v_sub_u32_e32 v42, 29, v56
	v_and_b32_e32 v54, 7, v54
	v_cmp_gt_u32_e32 vcc, 8, v52
	v_cndmask_b32_e32 v42, v53, v42, vcc
	v_cndmask_b32_e32 v44, v44, v54, vcc
	v_lshlrev_b32_e32 v52, 16, v34
	v_bfrev_b32_e32 v53, 60
	v_lshlrev_b32_e32 v44, 20, v44
	v_and_b32_e32 v52, 0x80000000, v52
	v_lshl_add_u32 v42, v42, 23, v53
	v_or3_b32 v42, v52, v42, v44
	v_lshrrev_b32_e32 v44, 16, v42
.LBB879_23:
	s_or_b64 exec, exec, s[10:11]
.LBB879_24:
	s_or_b64 exec, exec, s[8:9]
.LBB879_25:
	s_or_b64 exec, exec, s[2:3]
	s_movk_i32 s2, 0xff
	v_and_b32_sdwa v52, v34, s2 dst_sel:DWORD dst_unused:UNUSED_PAD src0_sel:WORD_1 src1_sel:DWORD
	v_lshrrev_b32_e32 v42, 16, v34
	v_cmp_ne_u16_e32 vcc, 0, v52
	s_and_saveexec_b64 s[2:3], vcc
	s_cbranch_execz .LBB879_31
; %bb.26:
	s_movk_i32 s8, 0x80
	v_cmp_ne_u16_e32 vcc, s8, v52
	v_mov_b32_e32 v45, 0xffff8000
	s_and_saveexec_b64 s[8:9], vcc
	s_cbranch_execz .LBB879_30
; %bb.27:
	v_bfe_u32 v52, v34, 16, 7
	s_movk_i32 s10, 0x7f
	v_cmp_ne_u32_e32 vcc, s10, v52
	v_mov_b32_e32 v45, 0x7f80
	s_and_saveexec_b64 s[10:11], vcc
	s_cbranch_execz .LBB879_29
; %bb.28:
	v_and_b32_e32 v45, 7, v42
	v_ffbh_u32_e32 v54, v45
	v_min_u32_e32 v56, 32, v54
	v_subrev_u32_e32 v54, 28, v56
	v_lshlrev_b64 v[54:55], v54, v[42:43]
	v_lshrrev_b32_e32 v53, 3, v52
	v_sub_u32_e32 v42, 29, v56
	v_and_b32_e32 v54, 7, v54
	v_cmp_gt_u32_e32 vcc, 8, v52
	v_mov_b32_e32 v52, 24
	v_cndmask_b32_e32 v42, v53, v42, vcc
	v_cndmask_b32_e32 v45, v45, v54, vcc
	v_lshlrev_b32_sdwa v52, v52, v34 dst_sel:DWORD dst_unused:UNUSED_PAD src0_sel:DWORD src1_sel:WORD_1
	v_bfrev_b32_e32 v53, 60
	v_lshlrev_b32_e32 v45, 20, v45
	v_and_b32_e32 v52, 0x80000000, v52
	v_lshl_add_u32 v42, v42, 23, v53
	v_or3_b32 v42, v52, v42, v45
	v_lshrrev_b32_e32 v45, 16, v42
.LBB879_29:
	s_or_b64 exec, exec, s[10:11]
.LBB879_30:
	s_or_b64 exec, exec, s[8:9]
.LBB879_31:
	s_or_b64 exec, exec, s[2:3]
	s_mov_b32 s2, 0xffffff
	v_cmp_lt_u32_e32 vcc, s2, v34
	v_mov_b32_e32 v53, 0
	v_mov_b32_e32 v54, 0
	s_and_saveexec_b64 s[2:3], vcc
	s_cbranch_execz .LBB879_37
; %bb.32:
	v_lshrrev_b32_e32 v42, 24, v34
	s_movk_i32 s8, 0x80
	v_cmp_ne_u32_e32 vcc, s8, v42
	v_mov_b32_e32 v54, 0xffff8000
	s_and_saveexec_b64 s[8:9], vcc
	s_cbranch_execz .LBB879_36
; %bb.33:
	v_bfe_u32 v34, v34, 24, 7
	s_movk_i32 s10, 0x7f
	v_cmp_ne_u32_e32 vcc, s10, v34
	v_mov_b32_e32 v54, 0x7f80
	s_and_saveexec_b64 s[10:11], vcc
	s_cbranch_execz .LBB879_35
; %bb.34:
	v_and_b32_e32 v52, 7, v42
	v_ffbh_u32_e32 v54, v52
	v_min_u32_e32 v57, 32, v54
	v_subrev_u32_e32 v54, 28, v57
	v_lshlrev_b64 v[54:55], v54, v[42:43]
	v_lshrrev_b32_e32 v56, 3, v34
	v_sub_u32_e32 v55, 29, v57
	v_and_b32_e32 v54, 7, v54
	v_cmp_gt_u32_e32 vcc, 8, v34
	v_cndmask_b32_e32 v34, v56, v55, vcc
	v_cndmask_b32_e32 v52, v52, v54, vcc
	v_lshlrev_b32_e32 v42, 24, v42
	v_bfrev_b32_e32 v54, 60
	v_lshlrev_b32_e32 v52, 20, v52
	v_and_b32_e32 v42, 0x80000000, v42
	v_lshl_add_u32 v34, v34, 23, v54
	v_or3_b32 v34, v42, v34, v52
	v_lshrrev_b32_e32 v54, 16, v34
.LBB879_35:
	s_or_b64 exec, exec, s[10:11]
.LBB879_36:
	s_or_b64 exec, exec, s[8:9]
.LBB879_37:
	s_or_b64 exec, exec, s[2:3]
	v_cmp_ne_u16_sdwa s[8:9], v35, v53 src0_sel:BYTE_0 src1_sel:DWORD
	s_and_saveexec_b64 s[2:3], s[8:9]
	s_cbranch_execz .LBB879_43
; %bb.38:
	s_movk_i32 s8, 0x80
	v_cmp_ne_u16_sdwa s[10:11], v35, s8 src0_sel:BYTE_0 src1_sel:DWORD
	v_mov_b32_e32 v53, 0xffff8000
	s_and_saveexec_b64 s[8:9], s[10:11]
	s_cbranch_execz .LBB879_42
; %bb.39:
	s_movk_i32 s10, 0x7f
	v_and_b32_e32 v34, 0x7f, v35
	v_cmp_ne_u32_e32 vcc, s10, v34
	v_mov_b32_e32 v53, 0x7f80
	s_and_saveexec_b64 s[10:11], vcc
	s_cbranch_execz .LBB879_41
; %bb.40:
	v_and_b32_e32 v55, 7, v35
	v_ffbh_u32_e32 v52, v55
	v_min_u32_e32 v57, 32, v52
	v_mov_b32_e32 v42, v35
	v_subrev_u32_e32 v52, 28, v57
	v_lshlrev_b64 v[52:53], v52, v[42:43]
	v_lshrrev_b32_e32 v56, 3, v34
	v_sub_u32_e32 v42, 29, v57
	v_and_b32_e32 v52, 7, v52
	v_cmp_gt_u32_e32 vcc, 8, v34
	v_cndmask_b32_e32 v34, v56, v42, vcc
	v_cndmask_b32_e32 v42, v55, v52, vcc
	v_lshlrev_b32_e32 v52, 24, v35
	v_bfrev_b32_e32 v53, 60
	v_lshlrev_b32_e32 v42, 20, v42
	v_and_b32_e32 v52, 0x80000000, v52
	v_lshl_add_u32 v34, v34, 23, v53
	v_or3_b32 v34, v52, v34, v42
	v_lshrrev_b32_e32 v53, 16, v34
.LBB879_41:
	s_or_b64 exec, exec, s[10:11]
.LBB879_42:
	s_or_b64 exec, exec, s[8:9]
.LBB879_43:
	s_or_b64 exec, exec, s[2:3]
	v_lshrrev_b16_e32 v34, 8, v35
	v_cmp_ne_u16_e32 vcc, 0, v34
	v_mov_b32_e32 v55, 0
	v_mov_b32_e32 v42, 0
	s_and_saveexec_b64 s[2:3], vcc
	s_cbranch_execz .LBB879_49
; %bb.44:
	s_movk_i32 s8, 0x80
	v_cmp_ne_u16_e32 vcc, s8, v34
	v_mov_b32_e32 v42, 0xffff8000
	s_and_saveexec_b64 s[8:9], vcc
	s_cbranch_execz .LBB879_48
; %bb.45:
	s_movk_i32 s10, 0x7f
	v_and_b32_e32 v52, 0x7f, v34
	v_cmp_ne_u32_e32 vcc, s10, v52
	v_mov_b32_e32 v42, 0x7f80
	s_and_saveexec_b64 s[10:11], vcc
	s_cbranch_execz .LBB879_47
; %bb.46:
	v_and_b32_e32 v42, 7, v34
	v_ffbh_u32_e32 v56, v42
	v_min_u32_e32 v59, 32, v56
	v_subrev_u32_e32 v56, 28, v59
	v_lshlrev_b64 v[56:57], v56, v[34:35]
	v_lshrrev_b32_e32 v58, 3, v52
	v_sub_u32_e32 v34, 29, v59
	v_and_b32_e32 v56, 7, v56
	v_cmp_gt_u32_e32 vcc, 8, v52
	v_cndmask_b32_e32 v34, v58, v34, vcc
	v_cndmask_b32_e32 v42, v42, v56, vcc
	v_lshlrev_b32_e32 v52, 16, v35
	v_bfrev_b32_e32 v56, 60
	v_lshlrev_b32_e32 v42, 20, v42
	v_and_b32_e32 v52, 0x80000000, v52
	v_lshl_add_u32 v34, v34, 23, v56
	v_or3_b32 v34, v52, v34, v42
	v_lshrrev_b32_e32 v42, 16, v34
.LBB879_47:
	s_or_b64 exec, exec, s[10:11]
.LBB879_48:
	s_or_b64 exec, exec, s[8:9]
.LBB879_49:
	s_or_b64 exec, exec, s[2:3]
	s_movk_i32 s2, 0xff
	v_and_b32_sdwa v52, v35, s2 dst_sel:DWORD dst_unused:UNUSED_PAD src0_sel:WORD_1 src1_sel:DWORD
	v_lshrrev_b32_e32 v34, 16, v35
	v_cmp_ne_u16_e32 vcc, 0, v52
	s_and_saveexec_b64 s[2:3], vcc
	s_cbranch_execz .LBB879_55
; %bb.50:
	s_movk_i32 s8, 0x80
	v_cmp_ne_u16_e32 vcc, s8, v52
	v_mov_b32_e32 v55, 0xffff8000
	s_and_saveexec_b64 s[8:9], vcc
	s_cbranch_execz .LBB879_54
; %bb.51:
	v_bfe_u32 v52, v35, 16, 7
	s_movk_i32 s10, 0x7f
	v_cmp_ne_u32_e32 vcc, s10, v52
	v_mov_b32_e32 v55, 0x7f80
	s_and_saveexec_b64 s[10:11], vcc
	s_cbranch_execz .LBB879_53
; %bb.52:
	v_and_b32_e32 v55, 7, v34
	v_ffbh_u32_e32 v56, v55
	v_min_u32_e32 v59, 32, v56
	v_subrev_u32_e32 v56, 28, v59
	v_lshlrev_b64 v[56:57], v56, v[34:35]
	v_and_b32_e32 v56, 7, v56
	v_cmp_gt_u32_e32 vcc, 8, v52
	v_lshrrev_b32_e32 v58, 3, v52
	v_sub_u32_e32 v34, 29, v59
	v_cndmask_b32_e32 v52, v55, v56, vcc
	v_mov_b32_e32 v55, 24
	v_cndmask_b32_e32 v34, v58, v34, vcc
	v_lshlrev_b32_sdwa v55, v55, v35 dst_sel:DWORD dst_unused:UNUSED_PAD src0_sel:DWORD src1_sel:WORD_1
	v_bfrev_b32_e32 v56, 60
	v_lshlrev_b32_e32 v52, 20, v52
	v_and_b32_e32 v55, 0x80000000, v55
	v_lshl_add_u32 v34, v34, 23, v56
	v_or3_b32 v34, v55, v34, v52
	v_lshrrev_b32_e32 v55, 16, v34
.LBB879_53:
	s_or_b64 exec, exec, s[10:11]
.LBB879_54:
	s_or_b64 exec, exec, s[8:9]
.LBB879_55:
	s_or_b64 exec, exec, s[2:3]
	s_mov_b32 s2, 0xffffff
	v_cmp_lt_u32_e32 vcc, s2, v35
	v_mov_b32_e32 v52, 0
	v_mov_b32_e32 v56, 0
	s_and_saveexec_b64 s[2:3], vcc
	s_cbranch_execz .LBB879_61
; %bb.56:
	v_lshrrev_b32_e32 v34, 24, v35
	s_movk_i32 s8, 0x80
	v_cmp_ne_u32_e32 vcc, s8, v34
	v_mov_b32_e32 v56, 0xffff8000
	s_and_saveexec_b64 s[8:9], vcc
	s_cbranch_execz .LBB879_60
; %bb.57:
	v_bfe_u32 v35, v35, 24, 7
	s_movk_i32 s10, 0x7f
	v_cmp_ne_u32_e32 vcc, s10, v35
	v_mov_b32_e32 v56, 0x7f80
	s_and_saveexec_b64 s[10:11], vcc
	s_cbranch_execz .LBB879_59
; %bb.58:
	v_and_b32_e32 v58, 7, v34
	v_ffbh_u32_e32 v56, v58
	v_min_u32_e32 v60, 32, v56
	v_subrev_u32_e32 v56, 28, v60
	v_lshlrev_b64 v[56:57], v56, v[34:35]
	v_lshrrev_b32_e32 v59, 3, v35
	v_sub_u32_e32 v57, 29, v60
	v_and_b32_e32 v56, 7, v56
	v_cmp_gt_u32_e32 vcc, 8, v35
	v_cndmask_b32_e32 v35, v59, v57, vcc
	v_cndmask_b32_e32 v56, v58, v56, vcc
	v_lshlrev_b32_e32 v34, 24, v34
	v_bfrev_b32_e32 v57, 60
	v_lshlrev_b32_e32 v56, 20, v56
	v_and_b32_e32 v34, 0x80000000, v34
	v_lshl_add_u32 v35, v35, 23, v57
	v_or3_b32 v34, v34, v35, v56
	v_lshrrev_b32_e32 v56, 16, v34
.LBB879_59:
	s_or_b64 exec, exec, s[10:11]
.LBB879_60:
	s_or_b64 exec, exec, s[8:9]
.LBB879_61:
	s_or_b64 exec, exec, s[2:3]
	s_mov_b32 s2, 0x5040100
	v_perm_b32 v35, v54, v45, s2
	v_perm_b32 v34, v44, v43, s2
	v_cmp_ne_u16_sdwa s[8:9], v36, v52 src0_sel:BYTE_0 src1_sel:DWORD
	s_nop 0
	v_mfma_f32_16x16x16bf16_1k v[58:61], v[34:35], v[26:27], 0
	v_perm_b32 v35, v56, v55, s2
	v_perm_b32 v34, v42, v53, s2
	s_nop 1
	v_mfma_f32_16x16x16bf16_1k v[42:45], v[34:35], v[28:29], v[58:61]
	s_and_saveexec_b64 s[2:3], s[8:9]
	s_cbranch_execz .LBB879_67
; %bb.62:
	s_movk_i32 s8, 0x80
	v_cmp_ne_u16_sdwa s[10:11], v36, s8 src0_sel:BYTE_0 src1_sel:DWORD
	v_mov_b32_e32 v52, 0xffff8000
	s_and_saveexec_b64 s[8:9], s[10:11]
	s_cbranch_execz .LBB879_66
; %bb.63:
	s_movk_i32 s10, 0x7f
	v_and_b32_e32 v34, 0x7f, v36
	v_cmp_ne_u32_e32 vcc, s10, v34
	v_mov_b32_e32 v52, 0x7f80
	s_and_saveexec_b64 s[10:11], vcc
	s_cbranch_execz .LBB879_65
; %bb.64:
	v_and_b32_e32 v35, 7, v36
	v_ffbh_u32_e32 v52, v35
	v_min_u32_e32 v55, 32, v52
	v_subrev_u32_e32 v52, 28, v55
	v_lshlrev_b64 v[52:53], v52, v[36:37]
	v_lshrrev_b32_e32 v54, 3, v34
	v_sub_u32_e32 v53, 29, v55
	v_and_b32_e32 v52, 7, v52
	v_cmp_gt_u32_e32 vcc, 8, v34
	v_cndmask_b32_e32 v34, v54, v53, vcc
	v_cndmask_b32_e32 v35, v35, v52, vcc
	v_lshlrev_b32_e32 v52, 24, v36
	v_bfrev_b32_e32 v53, 60
	v_lshlrev_b32_e32 v35, 20, v35
	v_and_b32_e32 v52, 0x80000000, v52
	v_lshl_add_u32 v34, v34, 23, v53
	v_or3_b32 v34, v52, v34, v35
	v_lshrrev_b32_e32 v52, 16, v34
.LBB879_65:
	s_or_b64 exec, exec, s[10:11]
.LBB879_66:
	s_or_b64 exec, exec, s[8:9]
.LBB879_67:
	s_or_b64 exec, exec, s[2:3]
	v_lshrrev_b16_e32 v34, 8, v36
	v_cmp_ne_u16_e32 vcc, 0, v34
	v_mov_b32_e32 v54, 0
	v_mov_b32_e32 v35, 0
	s_and_saveexec_b64 s[2:3], vcc
	s_cbranch_execz .LBB879_73
; %bb.68:
	s_movk_i32 s8, 0x80
	v_cmp_ne_u16_e32 vcc, s8, v34
	v_mov_b32_e32 v35, 0xffff8000
	s_and_saveexec_b64 s[8:9], vcc
	s_cbranch_execz .LBB879_72
; %bb.69:
	s_movk_i32 s10, 0x7f
	v_and_b32_e32 v53, 0x7f, v34
	v_cmp_ne_u32_e32 vcc, s10, v53
	v_mov_b32_e32 v35, 0x7f80
	s_and_saveexec_b64 s[10:11], vcc
	s_cbranch_execz .LBB879_71
; %bb.70:
	v_and_b32_e32 v55, 7, v34
	v_ffbh_u32_e32 v35, v55
	v_min_u32_e32 v57, 32, v35
	v_subrev_u32_e32 v35, 28, v57
	v_lshlrev_b64 v[34:35], v35, v[34:35]
	v_lshrrev_b32_e32 v56, 3, v53
	v_sub_u32_e32 v35, 29, v57
	v_and_b32_e32 v34, 7, v34
	v_cmp_gt_u32_e32 vcc, 8, v53
	v_cndmask_b32_e32 v35, v56, v35, vcc
	v_cndmask_b32_e32 v34, v55, v34, vcc
	v_lshlrev_b32_e32 v53, 16, v36
	v_bfrev_b32_e32 v55, 60
	v_lshlrev_b32_e32 v34, 20, v34
	v_and_b32_e32 v53, 0x80000000, v53
	v_lshl_add_u32 v35, v35, 23, v55
	v_or3_b32 v34, v53, v35, v34
	v_lshrrev_b32_e32 v35, 16, v34
.LBB879_71:
	s_or_b64 exec, exec, s[10:11]
.LBB879_72:
	s_or_b64 exec, exec, s[8:9]
.LBB879_73:
	s_or_b64 exec, exec, s[2:3]
	s_movk_i32 s2, 0xff
	v_and_b32_sdwa v53, v36, s2 dst_sel:DWORD dst_unused:UNUSED_PAD src0_sel:WORD_1 src1_sel:DWORD
	v_lshrrev_b32_e32 v34, 16, v36
	v_cmp_ne_u16_e32 vcc, 0, v53
	s_and_saveexec_b64 s[2:3], vcc
	s_cbranch_execz .LBB879_79
; %bb.74:
	s_movk_i32 s8, 0x80
	v_cmp_ne_u16_e32 vcc, s8, v53
	v_mov_b32_e32 v54, 0xffff8000
	s_and_saveexec_b64 s[8:9], vcc
	s_cbranch_execz .LBB879_78
; %bb.75:
	v_bfe_u32 v53, v36, 16, 7
	s_movk_i32 s10, 0x7f
	v_cmp_ne_u32_e32 vcc, s10, v53
	v_mov_b32_e32 v54, 0x7f80
	s_and_saveexec_b64 s[10:11], vcc
	s_cbranch_execz .LBB879_77
; %bb.76:
	v_and_b32_e32 v56, 7, v34
	v_ffbh_u32_e32 v54, v56
	v_min_u32_e32 v58, 32, v54
	v_subrev_u32_e32 v54, 28, v58
	v_lshlrev_b64 v[54:55], v54, v[34:35]
	v_and_b32_e32 v54, 7, v54
	v_cmp_gt_u32_e32 vcc, 8, v53
	v_lshrrev_b32_e32 v57, 3, v53
	v_sub_u32_e32 v34, 29, v58
	v_cndmask_b32_e32 v53, v56, v54, vcc
	v_mov_b32_e32 v54, 24
	v_cndmask_b32_e32 v34, v57, v34, vcc
	v_lshlrev_b32_sdwa v54, v54, v36 dst_sel:DWORD dst_unused:UNUSED_PAD src0_sel:DWORD src1_sel:WORD_1
	v_bfrev_b32_e32 v55, 60
	v_lshlrev_b32_e32 v53, 20, v53
	v_and_b32_e32 v54, 0x80000000, v54
	v_lshl_add_u32 v34, v34, 23, v55
	v_or3_b32 v34, v54, v34, v53
	v_lshrrev_b32_e32 v54, 16, v34
.LBB879_77:
	s_or_b64 exec, exec, s[10:11]
.LBB879_78:
	s_or_b64 exec, exec, s[8:9]
.LBB879_79:
	s_or_b64 exec, exec, s[2:3]
	s_mov_b32 s2, 0xffffff
	v_cmp_lt_u32_e32 vcc, s2, v36
	v_mov_b32_e32 v55, 0
	v_mov_b32_e32 v56, 0
	s_and_saveexec_b64 s[2:3], vcc
	s_cbranch_execz .LBB879_85
; %bb.80:
	v_lshrrev_b32_e32 v34, 24, v36
	s_movk_i32 s8, 0x80
	v_cmp_ne_u32_e32 vcc, s8, v34
	v_mov_b32_e32 v56, 0xffff8000
	s_and_saveexec_b64 s[8:9], vcc
	s_cbranch_execz .LBB879_84
; %bb.81:
	v_bfe_u32 v36, v36, 24, 7
	s_movk_i32 s10, 0x7f
	v_cmp_ne_u32_e32 vcc, s10, v36
	v_mov_b32_e32 v56, 0x7f80
	s_and_saveexec_b64 s[10:11], vcc
	s_cbranch_execz .LBB879_83
; %bb.82:
	v_and_b32_e32 v53, 7, v34
	v_ffbh_u32_e32 v56, v53
	v_min_u32_e32 v59, 32, v56
	v_subrev_u32_e32 v56, 28, v59
	v_lshlrev_b64 v[56:57], v56, v[34:35]
	v_lshrrev_b32_e32 v58, 3, v36
	v_sub_u32_e32 v57, 29, v59
	v_and_b32_e32 v56, 7, v56
	v_cmp_gt_u32_e32 vcc, 8, v36
	v_cndmask_b32_e32 v36, v58, v57, vcc
	v_cndmask_b32_e32 v53, v53, v56, vcc
	v_lshlrev_b32_e32 v34, 24, v34
	v_bfrev_b32_e32 v56, 60
	v_lshlrev_b32_e32 v53, 20, v53
	v_and_b32_e32 v34, 0x80000000, v34
	v_lshl_add_u32 v36, v36, 23, v56
	v_or3_b32 v34, v34, v36, v53
	v_lshrrev_b32_e32 v56, 16, v34
.LBB879_83:
	s_or_b64 exec, exec, s[10:11]
.LBB879_84:
	s_or_b64 exec, exec, s[8:9]
.LBB879_85:
	s_or_b64 exec, exec, s[2:3]
	v_cmp_ne_u16_sdwa s[8:9], v37, v55 src0_sel:BYTE_0 src1_sel:DWORD
	s_and_saveexec_b64 s[2:3], s[8:9]
	s_cbranch_execz .LBB879_91
; %bb.86:
	s_movk_i32 s8, 0x80
	v_cmp_ne_u16_sdwa s[10:11], v37, s8 src0_sel:BYTE_0 src1_sel:DWORD
	v_mov_b32_e32 v55, 0xffff8000
	s_and_saveexec_b64 s[8:9], s[10:11]
	s_cbranch_execz .LBB879_90
; %bb.87:
	s_movk_i32 s10, 0x7f
	v_and_b32_e32 v34, 0x7f, v37
	v_cmp_ne_u32_e32 vcc, s10, v34
	v_mov_b32_e32 v55, 0x7f80
	s_and_saveexec_b64 s[10:11], vcc
	s_cbranch_execz .LBB879_89
; %bb.88:
	v_and_b32_e32 v53, 7, v37
	v_ffbh_u32_e32 v57, v53
	v_min_u32_e32 v57, 32, v57
	v_mov_b32_e32 v36, v37
	v_subrev_u32_e32 v58, 28, v57
	v_lshlrev_b64 v[58:59], v58, v[36:37]
	v_lshrrev_b32_e32 v55, 3, v34
	v_sub_u32_e32 v36, 29, v57
	v_and_b32_e32 v57, 7, v58
	v_cmp_gt_u32_e32 vcc, 8, v34
	v_cndmask_b32_e32 v34, v55, v36, vcc
	v_cndmask_b32_e32 v36, v53, v57, vcc
	v_lshlrev_b32_e32 v53, 24, v37
	v_bfrev_b32_e32 v55, 60
	v_lshlrev_b32_e32 v36, 20, v36
	v_and_b32_e32 v53, 0x80000000, v53
	v_lshl_add_u32 v34, v34, 23, v55
	v_or3_b32 v34, v53, v34, v36
	v_lshrrev_b32_e32 v55, 16, v34
.LBB879_89:
	s_or_b64 exec, exec, s[10:11]
.LBB879_90:
	s_or_b64 exec, exec, s[8:9]
.LBB879_91:
	s_or_b64 exec, exec, s[2:3]
	v_lshrrev_b16_e32 v34, 8, v37
	v_cmp_ne_u16_e32 vcc, 0, v34
	v_mov_b32_e32 v57, 0
	v_mov_b32_e32 v36, 0
	s_and_saveexec_b64 s[2:3], vcc
	s_cbranch_execz .LBB879_97
; %bb.92:
	s_movk_i32 s8, 0x80
	v_cmp_ne_u16_e32 vcc, s8, v34
	v_mov_b32_e32 v36, 0xffff8000
	s_and_saveexec_b64 s[8:9], vcc
	s_cbranch_execz .LBB879_96
; %bb.93:
	s_movk_i32 s10, 0x7f
	v_and_b32_e32 v53, 0x7f, v34
	v_cmp_ne_u32_e32 vcc, s10, v53
	v_mov_b32_e32 v36, 0x7f80
	s_and_saveexec_b64 s[10:11], vcc
	s_cbranch_execz .LBB879_95
; %bb.94:
	v_and_b32_e32 v36, 7, v34
	v_ffbh_u32_e32 v58, v36
	v_min_u32_e32 v61, 32, v58
	v_subrev_u32_e32 v58, 28, v61
	v_lshlrev_b64 v[58:59], v58, v[34:35]
	v_lshrrev_b32_e32 v60, 3, v53
	v_sub_u32_e32 v34, 29, v61
	v_and_b32_e32 v58, 7, v58
	v_cmp_gt_u32_e32 vcc, 8, v53
	v_cndmask_b32_e32 v34, v60, v34, vcc
	v_cndmask_b32_e32 v36, v36, v58, vcc
	v_lshlrev_b32_e32 v53, 16, v37
	v_bfrev_b32_e32 v58, 60
	v_lshlrev_b32_e32 v36, 20, v36
	v_and_b32_e32 v53, 0x80000000, v53
	v_lshl_add_u32 v34, v34, 23, v58
	v_or3_b32 v34, v53, v34, v36
	v_lshrrev_b32_e32 v36, 16, v34
.LBB879_95:
	s_or_b64 exec, exec, s[10:11]
.LBB879_96:
	s_or_b64 exec, exec, s[8:9]
.LBB879_97:
	s_or_b64 exec, exec, s[2:3]
	s_movk_i32 s2, 0xff
	v_and_b32_sdwa v53, v37, s2 dst_sel:DWORD dst_unused:UNUSED_PAD src0_sel:WORD_1 src1_sel:DWORD
	v_lshrrev_b32_e32 v34, 16, v37
	v_cmp_ne_u16_e32 vcc, 0, v53
	s_and_saveexec_b64 s[2:3], vcc
	s_cbranch_execz .LBB879_103
; %bb.98:
	s_movk_i32 s8, 0x80
	v_cmp_ne_u16_e32 vcc, s8, v53
	v_mov_b32_e32 v57, 0xffff8000
	s_and_saveexec_b64 s[8:9], vcc
	s_cbranch_execz .LBB879_102
; %bb.99:
	v_bfe_u32 v53, v37, 16, 7
	s_movk_i32 s10, 0x7f
	v_cmp_ne_u32_e32 vcc, s10, v53
	v_mov_b32_e32 v57, 0x7f80
	s_and_saveexec_b64 s[10:11], vcc
	s_cbranch_execz .LBB879_101
; %bb.100:
	v_and_b32_e32 v57, 7, v34
	v_ffbh_u32_e32 v58, v57
	v_min_u32_e32 v61, 32, v58
	v_subrev_u32_e32 v58, 28, v61
	v_lshlrev_b64 v[58:59], v58, v[34:35]
	v_and_b32_e32 v58, 7, v58
	v_cmp_gt_u32_e32 vcc, 8, v53
	v_lshrrev_b32_e32 v60, 3, v53
	v_sub_u32_e32 v34, 29, v61
	v_cndmask_b32_e32 v53, v57, v58, vcc
	v_mov_b32_e32 v57, 24
	v_cndmask_b32_e32 v34, v60, v34, vcc
	v_lshlrev_b32_sdwa v57, v57, v37 dst_sel:DWORD dst_unused:UNUSED_PAD src0_sel:DWORD src1_sel:WORD_1
	v_bfrev_b32_e32 v58, 60
	v_lshlrev_b32_e32 v53, 20, v53
	v_and_b32_e32 v57, 0x80000000, v57
	v_lshl_add_u32 v34, v34, 23, v58
	v_or3_b32 v34, v57, v34, v53
	v_lshrrev_b32_e32 v57, 16, v34
.LBB879_101:
	s_or_b64 exec, exec, s[10:11]
.LBB879_102:
	s_or_b64 exec, exec, s[8:9]
.LBB879_103:
	s_or_b64 exec, exec, s[2:3]
	s_mov_b32 s2, 0xffffff
	v_cmp_lt_u32_e32 vcc, s2, v37
	v_mov_b32_e32 v53, 0
	v_mov_b32_e32 v58, 0
	s_and_saveexec_b64 s[2:3], vcc
	s_cbranch_execz .LBB879_109
; %bb.104:
	v_lshrrev_b32_e32 v34, 24, v37
	s_movk_i32 s8, 0x80
	v_cmp_ne_u32_e32 vcc, s8, v34
	v_mov_b32_e32 v58, 0xffff8000
	s_and_saveexec_b64 s[8:9], vcc
	s_cbranch_execz .LBB879_108
; %bb.105:
	v_bfe_u32 v37, v37, 24, 7
	s_movk_i32 s10, 0x7f
	v_cmp_ne_u32_e32 vcc, s10, v37
	v_mov_b32_e32 v58, 0x7f80
	s_and_saveexec_b64 s[10:11], vcc
	s_cbranch_execz .LBB879_107
; %bb.106:
	v_and_b32_e32 v60, 7, v34
	v_ffbh_u32_e32 v58, v60
	v_min_u32_e32 v62, 32, v58
	v_subrev_u32_e32 v58, 28, v62
	v_lshlrev_b64 v[58:59], v58, v[34:35]
	v_lshrrev_b32_e32 v61, 3, v37
	v_sub_u32_e32 v59, 29, v62
	v_and_b32_e32 v58, 7, v58
	v_cmp_gt_u32_e32 vcc, 8, v37
	v_cndmask_b32_e32 v37, v61, v59, vcc
	v_cndmask_b32_e32 v58, v60, v58, vcc
	v_lshlrev_b32_e32 v34, 24, v34
	v_bfrev_b32_e32 v59, 60
	v_lshlrev_b32_e32 v58, 20, v58
	v_and_b32_e32 v34, 0x80000000, v34
	v_lshl_add_u32 v37, v37, 23, v59
	v_or3_b32 v34, v34, v37, v58
	v_lshrrev_b32_e32 v58, 16, v34
.LBB879_107:
	s_or_b64 exec, exec, s[10:11]
.LBB879_108:
	s_or_b64 exec, exec, s[8:9]
.LBB879_109:
	s_or_b64 exec, exec, s[2:3]
	s_mov_b32 s2, 0x5040100
	v_perm_b32 v61, v56, v54, s2
	v_perm_b32 v60, v35, v52, s2
	;; [unrolled: 1-line block ×4, first 2 shown]
	v_cmp_ne_u16_sdwa s[8:9], v38, v53 src0_sel:BYTE_0 src1_sel:DWORD
	v_mfma_f32_16x16x16bf16_1k v[42:45], v[60:61], v[18:19], v[42:45]
	v_mfma_f32_16x16x16bf16_1k v[34:37], v[34:35], v[20:21], v[42:45]
	s_and_saveexec_b64 s[2:3], s[8:9]
	s_cbranch_execz .LBB879_115
; %bb.110:
	s_movk_i32 s8, 0x80
	v_cmp_ne_u16_sdwa s[10:11], v38, s8 src0_sel:BYTE_0 src1_sel:DWORD
	v_mov_b32_e32 v53, 0xffff8000
	s_and_saveexec_b64 s[8:9], s[10:11]
	s_cbranch_execz .LBB879_114
; %bb.111:
	s_movk_i32 s10, 0x7f
	s_nop 1
	v_and_b32_e32 v42, 0x7f, v38
	v_cmp_ne_u32_e32 vcc, s10, v42
	v_mov_b32_e32 v53, 0x7f80
	s_and_saveexec_b64 s[10:11], vcc
	s_cbranch_execz .LBB879_113
; %bb.112:
	v_and_b32_e32 v43, 7, v38
	v_ffbh_u32_e32 v44, v43
	v_min_u32_e32 v53, 32, v44
	v_subrev_u32_e32 v44, 28, v53
	v_lshlrev_b64 v[44:45], v44, v[38:39]
	v_lshrrev_b32_e32 v52, 3, v42
	v_sub_u32_e32 v45, 29, v53
	v_and_b32_e32 v44, 7, v44
	v_cmp_gt_u32_e32 vcc, 8, v42
	v_cndmask_b32_e32 v42, v52, v45, vcc
	v_cndmask_b32_e32 v43, v43, v44, vcc
	v_lshlrev_b32_e32 v44, 24, v38
	v_bfrev_b32_e32 v45, 60
	v_lshlrev_b32_e32 v43, 20, v43
	v_and_b32_e32 v44, 0x80000000, v44
	v_lshl_add_u32 v42, v42, 23, v45
	v_or3_b32 v42, v44, v42, v43
	v_lshrrev_b32_e32 v53, 16, v42
.LBB879_113:
	s_or_b64 exec, exec, s[10:11]
.LBB879_114:
	s_or_b64 exec, exec, s[8:9]
.LBB879_115:
	s_or_b64 exec, exec, s[2:3]
	s_nop 6
	v_lshrrev_b16_e32 v42, 8, v38
	v_cmp_ne_u16_e32 vcc, 0, v42
	v_mov_b32_e32 v44, 0
	v_mov_b32_e32 v43, 0
	s_and_saveexec_b64 s[2:3], vcc
	s_cbranch_execz .LBB879_121
; %bb.116:
	s_movk_i32 s8, 0x80
	v_cmp_ne_u16_e32 vcc, s8, v42
	v_mov_b32_e32 v43, 0xffff8000
	s_and_saveexec_b64 s[8:9], vcc
	s_cbranch_execz .LBB879_120
; %bb.117:
	s_movk_i32 s10, 0x7f
	v_and_b32_e32 v45, 0x7f, v42
	v_cmp_ne_u32_e32 vcc, s10, v45
	v_mov_b32_e32 v43, 0x7f80
	s_and_saveexec_b64 s[10:11], vcc
	s_cbranch_execz .LBB879_119
; %bb.118:
	v_and_b32_e32 v52, 7, v42
	v_ffbh_u32_e32 v43, v52
	v_min_u32_e32 v55, 32, v43
	v_subrev_u32_e32 v43, 28, v55
	v_lshlrev_b64 v[42:43], v43, v[42:43]
	v_lshrrev_b32_e32 v54, 3, v45
	v_sub_u32_e32 v43, 29, v55
	v_and_b32_e32 v42, 7, v42
	v_cmp_gt_u32_e32 vcc, 8, v45
	v_cndmask_b32_e32 v43, v54, v43, vcc
	v_cndmask_b32_e32 v42, v52, v42, vcc
	v_lshlrev_b32_e32 v45, 16, v38
	v_bfrev_b32_e32 v52, 60
	v_lshlrev_b32_e32 v42, 20, v42
	v_and_b32_e32 v45, 0x80000000, v45
	v_lshl_add_u32 v43, v43, 23, v52
	v_or3_b32 v42, v45, v43, v42
	v_lshrrev_b32_e32 v43, 16, v42
.LBB879_119:
	s_or_b64 exec, exec, s[10:11]
.LBB879_120:
	s_or_b64 exec, exec, s[8:9]
.LBB879_121:
	s_or_b64 exec, exec, s[2:3]
	s_movk_i32 s2, 0xff
	v_and_b32_sdwa v45, v38, s2 dst_sel:DWORD dst_unused:UNUSED_PAD src0_sel:WORD_1 src1_sel:DWORD
	v_lshrrev_b32_e32 v42, 16, v38
	v_cmp_ne_u16_e32 vcc, 0, v45
	s_and_saveexec_b64 s[2:3], vcc
	s_cbranch_execz .LBB879_127
; %bb.122:
	s_movk_i32 s8, 0x80
	v_cmp_ne_u16_e32 vcc, s8, v45
	v_mov_b32_e32 v44, 0xffff8000
	s_and_saveexec_b64 s[8:9], vcc
	s_cbranch_execz .LBB879_126
; %bb.123:
	v_bfe_u32 v45, v38, 16, 7
	s_movk_i32 s10, 0x7f
	v_cmp_ne_u32_e32 vcc, s10, v45
	v_mov_b32_e32 v44, 0x7f80
	s_and_saveexec_b64 s[10:11], vcc
	s_cbranch_execz .LBB879_125
; %bb.124:
	v_and_b32_e32 v44, 7, v42
	v_ffbh_u32_e32 v54, v44
	v_min_u32_e32 v56, 32, v54
	v_subrev_u32_e32 v54, 28, v56
	v_lshlrev_b64 v[54:55], v54, v[42:43]
	v_lshrrev_b32_e32 v52, 3, v45
	v_sub_u32_e32 v42, 29, v56
	v_and_b32_e32 v54, 7, v54
	v_cmp_gt_u32_e32 vcc, 8, v45
	v_mov_b32_e32 v45, 24
	v_cndmask_b32_e32 v42, v52, v42, vcc
	v_cndmask_b32_e32 v44, v44, v54, vcc
	v_lshlrev_b32_sdwa v45, v45, v38 dst_sel:DWORD dst_unused:UNUSED_PAD src0_sel:DWORD src1_sel:WORD_1
	v_bfrev_b32_e32 v52, 60
	v_lshlrev_b32_e32 v44, 20, v44
	v_and_b32_e32 v45, 0x80000000, v45
	v_lshl_add_u32 v42, v42, 23, v52
	v_or3_b32 v42, v45, v42, v44
	v_lshrrev_b32_e32 v44, 16, v42
.LBB879_125:
	s_or_b64 exec, exec, s[10:11]
.LBB879_126:
	s_or_b64 exec, exec, s[8:9]
.LBB879_127:
	s_or_b64 exec, exec, s[2:3]
	s_mov_b32 s2, 0xffffff
	v_cmp_lt_u32_e32 vcc, s2, v38
	v_mov_b32_e32 v45, 0
	v_mov_b32_e32 v54, 0
	s_and_saveexec_b64 s[2:3], vcc
	s_cbranch_execz .LBB879_133
; %bb.128:
	v_lshrrev_b32_e32 v42, 24, v38
	s_movk_i32 s8, 0x80
	v_cmp_ne_u32_e32 vcc, s8, v42
	v_mov_b32_e32 v54, 0xffff8000
	s_and_saveexec_b64 s[8:9], vcc
	s_cbranch_execz .LBB879_132
; %bb.129:
	v_bfe_u32 v38, v38, 24, 7
	s_movk_i32 s10, 0x7f
	v_cmp_ne_u32_e32 vcc, s10, v38
	v_mov_b32_e32 v54, 0x7f80
	s_and_saveexec_b64 s[10:11], vcc
	s_cbranch_execz .LBB879_131
; %bb.130:
	v_and_b32_e32 v52, 7, v42
	v_ffbh_u32_e32 v54, v52
	v_min_u32_e32 v57, 32, v54
	v_subrev_u32_e32 v54, 28, v57
	v_lshlrev_b64 v[54:55], v54, v[42:43]
	v_lshrrev_b32_e32 v56, 3, v38
	v_sub_u32_e32 v55, 29, v57
	v_and_b32_e32 v54, 7, v54
	v_cmp_gt_u32_e32 vcc, 8, v38
	v_cndmask_b32_e32 v38, v56, v55, vcc
	v_cndmask_b32_e32 v52, v52, v54, vcc
	v_lshlrev_b32_e32 v42, 24, v42
	v_bfrev_b32_e32 v54, 60
	v_lshlrev_b32_e32 v52, 20, v52
	v_and_b32_e32 v42, 0x80000000, v42
	v_lshl_add_u32 v38, v38, 23, v54
	v_or3_b32 v38, v42, v38, v52
	v_lshrrev_b32_e32 v54, 16, v38
.LBB879_131:
	s_or_b64 exec, exec, s[10:11]
.LBB879_132:
	s_or_b64 exec, exec, s[8:9]
.LBB879_133:
	s_or_b64 exec, exec, s[2:3]
	v_cmp_ne_u16_sdwa s[8:9], v39, v45 src0_sel:BYTE_0 src1_sel:DWORD
	s_and_saveexec_b64 s[2:3], s[8:9]
	s_cbranch_execz .LBB879_139
; %bb.134:
	s_movk_i32 s8, 0x80
	v_cmp_ne_u16_sdwa s[10:11], v39, s8 src0_sel:BYTE_0 src1_sel:DWORD
	v_mov_b32_e32 v45, 0xffff8000
	s_and_saveexec_b64 s[8:9], s[10:11]
	s_cbranch_execz .LBB879_138
; %bb.135:
	s_movk_i32 s10, 0x7f
	v_and_b32_e32 v38, 0x7f, v39
	v_cmp_ne_u32_e32 vcc, s10, v38
	v_mov_b32_e32 v45, 0x7f80
	s_and_saveexec_b64 s[10:11], vcc
	s_cbranch_execz .LBB879_137
; %bb.136:
	v_and_b32_e32 v45, 7, v39
	v_ffbh_u32_e32 v55, v45
	v_min_u32_e32 v55, 32, v55
	v_mov_b32_e32 v42, v39
	v_subrev_u32_e32 v56, 28, v55
	v_lshlrev_b64 v[56:57], v56, v[42:43]
	v_lshrrev_b32_e32 v52, 3, v38
	v_sub_u32_e32 v42, 29, v55
	v_and_b32_e32 v55, 7, v56
	v_cmp_gt_u32_e32 vcc, 8, v38
	v_cndmask_b32_e32 v38, v52, v42, vcc
	v_cndmask_b32_e32 v42, v45, v55, vcc
	v_lshlrev_b32_e32 v45, 24, v39
	v_bfrev_b32_e32 v52, 60
	v_lshlrev_b32_e32 v42, 20, v42
	v_and_b32_e32 v45, 0x80000000, v45
	v_lshl_add_u32 v38, v38, 23, v52
	v_or3_b32 v38, v45, v38, v42
	v_lshrrev_b32_e32 v45, 16, v38
.LBB879_137:
	s_or_b64 exec, exec, s[10:11]
.LBB879_138:
	s_or_b64 exec, exec, s[8:9]
.LBB879_139:
	s_or_b64 exec, exec, s[2:3]
	v_lshrrev_b16_e32 v38, 8, v39
	v_cmp_ne_u16_e32 vcc, 0, v38
	v_mov_b32_e32 v55, 0
	v_mov_b32_e32 v42, 0
	s_and_saveexec_b64 s[2:3], vcc
	s_cbranch_execz .LBB879_145
; %bb.140:
	s_movk_i32 s8, 0x80
	v_cmp_ne_u16_e32 vcc, s8, v38
	v_mov_b32_e32 v42, 0xffff8000
	s_and_saveexec_b64 s[8:9], vcc
	s_cbranch_execz .LBB879_144
; %bb.141:
	s_movk_i32 s10, 0x7f
	v_and_b32_e32 v52, 0x7f, v38
	v_cmp_ne_u32_e32 vcc, s10, v52
	v_mov_b32_e32 v42, 0x7f80
	s_and_saveexec_b64 s[10:11], vcc
	s_cbranch_execz .LBB879_143
; %bb.142:
	v_and_b32_e32 v42, 7, v38
	v_ffbh_u32_e32 v56, v42
	v_min_u32_e32 v59, 32, v56
	v_subrev_u32_e32 v56, 28, v59
	v_lshlrev_b64 v[56:57], v56, v[38:39]
	v_lshrrev_b32_e32 v58, 3, v52
	v_sub_u32_e32 v38, 29, v59
	v_and_b32_e32 v56, 7, v56
	v_cmp_gt_u32_e32 vcc, 8, v52
	v_cndmask_b32_e32 v38, v58, v38, vcc
	v_cndmask_b32_e32 v42, v42, v56, vcc
	v_lshlrev_b32_e32 v52, 16, v39
	v_bfrev_b32_e32 v56, 60
	v_lshlrev_b32_e32 v42, 20, v42
	v_and_b32_e32 v52, 0x80000000, v52
	v_lshl_add_u32 v38, v38, 23, v56
	v_or3_b32 v38, v52, v38, v42
	v_lshrrev_b32_e32 v42, 16, v38
.LBB879_143:
	s_or_b64 exec, exec, s[10:11]
.LBB879_144:
	s_or_b64 exec, exec, s[8:9]
.LBB879_145:
	s_or_b64 exec, exec, s[2:3]
	s_movk_i32 s2, 0xff
	v_and_b32_sdwa v52, v39, s2 dst_sel:DWORD dst_unused:UNUSED_PAD src0_sel:WORD_1 src1_sel:DWORD
	v_lshrrev_b32_e32 v38, 16, v39
	v_cmp_ne_u16_e32 vcc, 0, v52
	s_and_saveexec_b64 s[2:3], vcc
	s_cbranch_execz .LBB879_151
; %bb.146:
	s_movk_i32 s8, 0x80
	v_cmp_ne_u16_e32 vcc, s8, v52
	v_mov_b32_e32 v55, 0xffff8000
	s_and_saveexec_b64 s[8:9], vcc
	s_cbranch_execz .LBB879_150
; %bb.147:
	v_bfe_u32 v52, v39, 16, 7
	s_movk_i32 s10, 0x7f
	v_cmp_ne_u32_e32 vcc, s10, v52
	v_mov_b32_e32 v55, 0x7f80
	s_and_saveexec_b64 s[10:11], vcc
	s_cbranch_execz .LBB879_149
; %bb.148:
	v_and_b32_e32 v55, 7, v38
	v_ffbh_u32_e32 v56, v55
	v_min_u32_e32 v59, 32, v56
	v_subrev_u32_e32 v56, 28, v59
	v_lshlrev_b64 v[56:57], v56, v[38:39]
	v_and_b32_e32 v56, 7, v56
	v_cmp_gt_u32_e32 vcc, 8, v52
	v_lshrrev_b32_e32 v58, 3, v52
	v_sub_u32_e32 v38, 29, v59
	v_cndmask_b32_e32 v52, v55, v56, vcc
	v_mov_b32_e32 v55, 24
	v_cndmask_b32_e32 v38, v58, v38, vcc
	v_lshlrev_b32_sdwa v55, v55, v39 dst_sel:DWORD dst_unused:UNUSED_PAD src0_sel:DWORD src1_sel:WORD_1
	v_bfrev_b32_e32 v56, 60
	v_lshlrev_b32_e32 v52, 20, v52
	v_and_b32_e32 v55, 0x80000000, v55
	v_lshl_add_u32 v38, v38, 23, v56
	v_or3_b32 v38, v55, v38, v52
	v_lshrrev_b32_e32 v55, 16, v38
.LBB879_149:
	s_or_b64 exec, exec, s[10:11]
.LBB879_150:
	s_or_b64 exec, exec, s[8:9]
.LBB879_151:
	s_or_b64 exec, exec, s[2:3]
	s_mov_b32 s2, 0xffffff
	v_cmp_lt_u32_e32 vcc, s2, v39
	v_mov_b32_e32 v52, 0
	v_mov_b32_e32 v56, 0
	s_and_saveexec_b64 s[2:3], vcc
	s_cbranch_execz .LBB879_157
; %bb.152:
	v_lshrrev_b32_e32 v38, 24, v39
	s_movk_i32 s8, 0x80
	v_cmp_ne_u32_e32 vcc, s8, v38
	v_mov_b32_e32 v56, 0xffff8000
	s_and_saveexec_b64 s[8:9], vcc
	s_cbranch_execz .LBB879_156
; %bb.153:
	v_bfe_u32 v39, v39, 24, 7
	s_movk_i32 s10, 0x7f
	v_cmp_ne_u32_e32 vcc, s10, v39
	v_mov_b32_e32 v56, 0x7f80
	s_and_saveexec_b64 s[10:11], vcc
	s_cbranch_execz .LBB879_155
; %bb.154:
	v_and_b32_e32 v58, 7, v38
	v_ffbh_u32_e32 v56, v58
	v_min_u32_e32 v60, 32, v56
	v_subrev_u32_e32 v56, 28, v60
	v_lshlrev_b64 v[56:57], v56, v[38:39]
	v_lshrrev_b32_e32 v59, 3, v39
	v_sub_u32_e32 v57, 29, v60
	v_and_b32_e32 v56, 7, v56
	v_cmp_gt_u32_e32 vcc, 8, v39
	v_cndmask_b32_e32 v39, v59, v57, vcc
	v_cndmask_b32_e32 v56, v58, v56, vcc
	v_lshlrev_b32_e32 v38, 24, v38
	v_bfrev_b32_e32 v57, 60
	v_lshlrev_b32_e32 v56, 20, v56
	v_and_b32_e32 v38, 0x80000000, v38
	v_lshl_add_u32 v39, v39, 23, v57
	v_or3_b32 v38, v38, v39, v56
	v_lshrrev_b32_e32 v56, 16, v38
.LBB879_155:
	s_or_b64 exec, exec, s[10:11]
.LBB879_156:
	s_or_b64 exec, exec, s[8:9]
.LBB879_157:
	s_or_b64 exec, exec, s[2:3]
	s_mov_b32 s2, 0x5040100
	v_perm_b32 v39, v54, v44, s2
	v_perm_b32 v38, v43, v53, s2
	v_cmp_ne_u16_sdwa s[8:9], v40, v52 src0_sel:BYTE_0 src1_sel:DWORD
	s_nop 0
	v_mfma_f32_16x16x16bf16_1k v[58:61], v[38:39], v[26:27], 0
	v_perm_b32 v39, v56, v55, s2
	v_perm_b32 v38, v42, v45, s2
	s_nop 1
	v_mfma_f32_16x16x16bf16_1k v[42:45], v[38:39], v[28:29], v[58:61]
	s_and_saveexec_b64 s[2:3], s[8:9]
	s_cbranch_execz .LBB879_163
; %bb.158:
	s_movk_i32 s8, 0x80
	v_cmp_ne_u16_sdwa s[10:11], v40, s8 src0_sel:BYTE_0 src1_sel:DWORD
	v_mov_b32_e32 v52, 0xffff8000
	s_and_saveexec_b64 s[8:9], s[10:11]
	s_cbranch_execz .LBB879_162
; %bb.159:
	s_movk_i32 s10, 0x7f
	v_and_b32_e32 v38, 0x7f, v40
	v_cmp_ne_u32_e32 vcc, s10, v38
	v_mov_b32_e32 v52, 0x7f80
	s_and_saveexec_b64 s[10:11], vcc
	s_cbranch_execz .LBB879_161
; %bb.160:
	v_and_b32_e32 v39, 7, v40
	v_ffbh_u32_e32 v52, v39
	v_min_u32_e32 v55, 32, v52
	v_subrev_u32_e32 v52, 28, v55
	v_lshlrev_b64 v[52:53], v52, v[40:41]
	v_lshrrev_b32_e32 v54, 3, v38
	v_sub_u32_e32 v53, 29, v55
	v_and_b32_e32 v52, 7, v52
	v_cmp_gt_u32_e32 vcc, 8, v38
	v_cndmask_b32_e32 v38, v54, v53, vcc
	v_cndmask_b32_e32 v39, v39, v52, vcc
	v_lshlrev_b32_e32 v52, 24, v40
	v_bfrev_b32_e32 v53, 60
	v_lshlrev_b32_e32 v39, 20, v39
	v_and_b32_e32 v52, 0x80000000, v52
	v_lshl_add_u32 v38, v38, 23, v53
	v_or3_b32 v38, v52, v38, v39
	v_lshrrev_b32_e32 v52, 16, v38
.LBB879_161:
	s_or_b64 exec, exec, s[10:11]
.LBB879_162:
	s_or_b64 exec, exec, s[8:9]
.LBB879_163:
	s_or_b64 exec, exec, s[2:3]
	v_lshrrev_b16_e32 v38, 8, v40
	v_cmp_ne_u16_e32 vcc, 0, v38
	v_mov_b32_e32 v54, 0
	v_mov_b32_e32 v39, 0
	s_and_saveexec_b64 s[2:3], vcc
	s_cbranch_execz .LBB879_169
; %bb.164:
	s_movk_i32 s8, 0x80
	v_cmp_ne_u16_e32 vcc, s8, v38
	v_mov_b32_e32 v39, 0xffff8000
	s_and_saveexec_b64 s[8:9], vcc
	s_cbranch_execz .LBB879_168
; %bb.165:
	s_movk_i32 s10, 0x7f
	v_and_b32_e32 v53, 0x7f, v38
	v_cmp_ne_u32_e32 vcc, s10, v53
	v_mov_b32_e32 v39, 0x7f80
	s_and_saveexec_b64 s[10:11], vcc
	s_cbranch_execz .LBB879_167
; %bb.166:
	v_and_b32_e32 v55, 7, v38
	v_ffbh_u32_e32 v39, v55
	v_min_u32_e32 v57, 32, v39
	v_subrev_u32_e32 v39, 28, v57
	v_lshlrev_b64 v[38:39], v39, v[38:39]
	v_lshrrev_b32_e32 v56, 3, v53
	v_sub_u32_e32 v39, 29, v57
	v_and_b32_e32 v38, 7, v38
	v_cmp_gt_u32_e32 vcc, 8, v53
	v_cndmask_b32_e32 v39, v56, v39, vcc
	v_cndmask_b32_e32 v38, v55, v38, vcc
	v_lshlrev_b32_e32 v53, 16, v40
	v_bfrev_b32_e32 v55, 60
	v_lshlrev_b32_e32 v38, 20, v38
	v_and_b32_e32 v53, 0x80000000, v53
	v_lshl_add_u32 v39, v39, 23, v55
	v_or3_b32 v38, v53, v39, v38
	v_lshrrev_b32_e32 v39, 16, v38
.LBB879_167:
	s_or_b64 exec, exec, s[10:11]
.LBB879_168:
	s_or_b64 exec, exec, s[8:9]
.LBB879_169:
	s_or_b64 exec, exec, s[2:3]
	s_movk_i32 s2, 0xff
	v_and_b32_sdwa v53, v40, s2 dst_sel:DWORD dst_unused:UNUSED_PAD src0_sel:WORD_1 src1_sel:DWORD
	v_lshrrev_b32_e32 v38, 16, v40
	v_cmp_ne_u16_e32 vcc, 0, v53
	s_and_saveexec_b64 s[2:3], vcc
	s_cbranch_execz .LBB879_175
; %bb.170:
	s_movk_i32 s8, 0x80
	v_cmp_ne_u16_e32 vcc, s8, v53
	v_mov_b32_e32 v54, 0xffff8000
	s_and_saveexec_b64 s[8:9], vcc
	s_cbranch_execz .LBB879_174
; %bb.171:
	v_bfe_u32 v53, v40, 16, 7
	s_movk_i32 s10, 0x7f
	v_cmp_ne_u32_e32 vcc, s10, v53
	v_mov_b32_e32 v54, 0x7f80
	s_and_saveexec_b64 s[10:11], vcc
	s_cbranch_execz .LBB879_173
; %bb.172:
	v_and_b32_e32 v56, 7, v38
	v_ffbh_u32_e32 v54, v56
	v_min_u32_e32 v58, 32, v54
	v_subrev_u32_e32 v54, 28, v58
	v_lshlrev_b64 v[54:55], v54, v[38:39]
	v_and_b32_e32 v54, 7, v54
	v_cmp_gt_u32_e32 vcc, 8, v53
	v_lshrrev_b32_e32 v57, 3, v53
	v_sub_u32_e32 v38, 29, v58
	v_cndmask_b32_e32 v53, v56, v54, vcc
	v_mov_b32_e32 v54, 24
	v_cndmask_b32_e32 v38, v57, v38, vcc
	v_lshlrev_b32_sdwa v54, v54, v40 dst_sel:DWORD dst_unused:UNUSED_PAD src0_sel:DWORD src1_sel:WORD_1
	v_bfrev_b32_e32 v55, 60
	v_lshlrev_b32_e32 v53, 20, v53
	v_and_b32_e32 v54, 0x80000000, v54
	v_lshl_add_u32 v38, v38, 23, v55
	v_or3_b32 v38, v54, v38, v53
	v_lshrrev_b32_e32 v54, 16, v38
.LBB879_173:
	s_or_b64 exec, exec, s[10:11]
.LBB879_174:
	s_or_b64 exec, exec, s[8:9]
.LBB879_175:
	s_or_b64 exec, exec, s[2:3]
	s_mov_b32 s2, 0xffffff
	v_cmp_lt_u32_e32 vcc, s2, v40
	v_mov_b32_e32 v55, 0
	v_mov_b32_e32 v56, 0
	s_and_saveexec_b64 s[2:3], vcc
	s_cbranch_execz .LBB879_181
; %bb.176:
	v_lshrrev_b32_e32 v38, 24, v40
	s_movk_i32 s8, 0x80
	v_cmp_ne_u32_e32 vcc, s8, v38
	v_mov_b32_e32 v56, 0xffff8000
	s_and_saveexec_b64 s[8:9], vcc
	s_cbranch_execz .LBB879_180
; %bb.177:
	v_bfe_u32 v40, v40, 24, 7
	s_movk_i32 s10, 0x7f
	v_cmp_ne_u32_e32 vcc, s10, v40
	v_mov_b32_e32 v56, 0x7f80
	s_and_saveexec_b64 s[10:11], vcc
	s_cbranch_execz .LBB879_179
; %bb.178:
	v_and_b32_e32 v53, 7, v38
	v_ffbh_u32_e32 v56, v53
	v_min_u32_e32 v59, 32, v56
	v_subrev_u32_e32 v56, 28, v59
	v_lshlrev_b64 v[56:57], v56, v[38:39]
	v_lshrrev_b32_e32 v58, 3, v40
	v_sub_u32_e32 v57, 29, v59
	v_and_b32_e32 v56, 7, v56
	v_cmp_gt_u32_e32 vcc, 8, v40
	v_cndmask_b32_e32 v40, v58, v57, vcc
	v_cndmask_b32_e32 v53, v53, v56, vcc
	v_lshlrev_b32_e32 v38, 24, v38
	v_bfrev_b32_e32 v56, 60
	v_lshlrev_b32_e32 v53, 20, v53
	v_and_b32_e32 v38, 0x80000000, v38
	v_lshl_add_u32 v40, v40, 23, v56
	v_or3_b32 v38, v38, v40, v53
	v_lshrrev_b32_e32 v56, 16, v38
.LBB879_179:
	s_or_b64 exec, exec, s[10:11]
.LBB879_180:
	s_or_b64 exec, exec, s[8:9]
.LBB879_181:
	s_or_b64 exec, exec, s[2:3]
	v_cmp_ne_u16_sdwa s[8:9], v41, v55 src0_sel:BYTE_0 src1_sel:DWORD
	s_and_saveexec_b64 s[2:3], s[8:9]
	s_cbranch_execz .LBB879_187
; %bb.182:
	s_movk_i32 s8, 0x80
	v_cmp_ne_u16_sdwa s[10:11], v41, s8 src0_sel:BYTE_0 src1_sel:DWORD
	v_mov_b32_e32 v55, 0xffff8000
	s_and_saveexec_b64 s[8:9], s[10:11]
	s_cbranch_execz .LBB879_186
; %bb.183:
	s_movk_i32 s10, 0x7f
	v_and_b32_e32 v38, 0x7f, v41
	v_cmp_ne_u32_e32 vcc, s10, v38
	v_mov_b32_e32 v55, 0x7f80
	s_and_saveexec_b64 s[10:11], vcc
	s_cbranch_execz .LBB879_185
; %bb.184:
	v_and_b32_e32 v53, 7, v41
	v_ffbh_u32_e32 v57, v53
	v_min_u32_e32 v57, 32, v57
	v_mov_b32_e32 v40, v41
	v_subrev_u32_e32 v58, 28, v57
	v_lshlrev_b64 v[58:59], v58, v[40:41]
	v_lshrrev_b32_e32 v55, 3, v38
	v_sub_u32_e32 v40, 29, v57
	v_and_b32_e32 v57, 7, v58
	v_cmp_gt_u32_e32 vcc, 8, v38
	v_cndmask_b32_e32 v38, v55, v40, vcc
	v_cndmask_b32_e32 v40, v53, v57, vcc
	v_lshlrev_b32_e32 v53, 24, v41
	v_bfrev_b32_e32 v55, 60
	v_lshlrev_b32_e32 v40, 20, v40
	v_and_b32_e32 v53, 0x80000000, v53
	v_lshl_add_u32 v38, v38, 23, v55
	v_or3_b32 v38, v53, v38, v40
	v_lshrrev_b32_e32 v55, 16, v38
.LBB879_185:
	s_or_b64 exec, exec, s[10:11]
.LBB879_186:
	s_or_b64 exec, exec, s[8:9]
.LBB879_187:
	s_or_b64 exec, exec, s[2:3]
	v_lshrrev_b16_e32 v38, 8, v41
	v_cmp_ne_u16_e32 vcc, 0, v38
	v_mov_b32_e32 v57, 0
	v_mov_b32_e32 v40, 0
	s_and_saveexec_b64 s[2:3], vcc
	s_cbranch_execz .LBB879_193
; %bb.188:
	s_movk_i32 s8, 0x80
	v_cmp_ne_u16_e32 vcc, s8, v38
	v_mov_b32_e32 v40, 0xffff8000
	s_and_saveexec_b64 s[8:9], vcc
	s_cbranch_execz .LBB879_192
; %bb.189:
	s_movk_i32 s10, 0x7f
	v_and_b32_e32 v53, 0x7f, v38
	v_cmp_ne_u32_e32 vcc, s10, v53
	v_mov_b32_e32 v40, 0x7f80
	s_and_saveexec_b64 s[10:11], vcc
	s_cbranch_execz .LBB879_191
; %bb.190:
	v_and_b32_e32 v40, 7, v38
	v_ffbh_u32_e32 v58, v40
	v_min_u32_e32 v61, 32, v58
	v_subrev_u32_e32 v58, 28, v61
	v_lshlrev_b64 v[58:59], v58, v[38:39]
	v_lshrrev_b32_e32 v60, 3, v53
	v_sub_u32_e32 v38, 29, v61
	v_and_b32_e32 v58, 7, v58
	v_cmp_gt_u32_e32 vcc, 8, v53
	v_cndmask_b32_e32 v38, v60, v38, vcc
	v_cndmask_b32_e32 v40, v40, v58, vcc
	v_lshlrev_b32_e32 v53, 16, v41
	v_bfrev_b32_e32 v58, 60
	v_lshlrev_b32_e32 v40, 20, v40
	v_and_b32_e32 v53, 0x80000000, v53
	v_lshl_add_u32 v38, v38, 23, v58
	v_or3_b32 v38, v53, v38, v40
	v_lshrrev_b32_e32 v40, 16, v38
.LBB879_191:
	s_or_b64 exec, exec, s[10:11]
.LBB879_192:
	s_or_b64 exec, exec, s[8:9]
.LBB879_193:
	s_or_b64 exec, exec, s[2:3]
	s_movk_i32 s2, 0xff
	v_and_b32_sdwa v53, v41, s2 dst_sel:DWORD dst_unused:UNUSED_PAD src0_sel:WORD_1 src1_sel:DWORD
	v_lshrrev_b32_e32 v38, 16, v41
	v_cmp_ne_u16_e32 vcc, 0, v53
	s_and_saveexec_b64 s[2:3], vcc
	s_cbranch_execz .LBB879_199
; %bb.194:
	s_movk_i32 s8, 0x80
	v_cmp_ne_u16_e32 vcc, s8, v53
	v_mov_b32_e32 v57, 0xffff8000
	s_and_saveexec_b64 s[8:9], vcc
	s_cbranch_execz .LBB879_198
; %bb.195:
	v_bfe_u32 v53, v41, 16, 7
	s_movk_i32 s10, 0x7f
	v_cmp_ne_u32_e32 vcc, s10, v53
	v_mov_b32_e32 v57, 0x7f80
	s_and_saveexec_b64 s[10:11], vcc
	s_cbranch_execz .LBB879_197
; %bb.196:
	v_and_b32_e32 v57, 7, v38
	v_ffbh_u32_e32 v58, v57
	v_min_u32_e32 v61, 32, v58
	v_subrev_u32_e32 v58, 28, v61
	v_lshlrev_b64 v[58:59], v58, v[38:39]
	v_and_b32_e32 v58, 7, v58
	v_cmp_gt_u32_e32 vcc, 8, v53
	v_lshrrev_b32_e32 v60, 3, v53
	v_sub_u32_e32 v38, 29, v61
	v_cndmask_b32_e32 v53, v57, v58, vcc
	v_mov_b32_e32 v57, 24
	v_cndmask_b32_e32 v38, v60, v38, vcc
	v_lshlrev_b32_sdwa v57, v57, v41 dst_sel:DWORD dst_unused:UNUSED_PAD src0_sel:DWORD src1_sel:WORD_1
	v_bfrev_b32_e32 v58, 60
	v_lshlrev_b32_e32 v53, 20, v53
	v_and_b32_e32 v57, 0x80000000, v57
	v_lshl_add_u32 v38, v38, 23, v58
	v_or3_b32 v38, v57, v38, v53
	v_lshrrev_b32_e32 v57, 16, v38
.LBB879_197:
	s_or_b64 exec, exec, s[10:11]
.LBB879_198:
	s_or_b64 exec, exec, s[8:9]
.LBB879_199:
	s_or_b64 exec, exec, s[2:3]
	s_mov_b32 s2, 0xffffff
	v_cmp_lt_u32_e32 vcc, s2, v41
	v_mov_b32_e32 v53, 0
	v_mov_b32_e32 v58, 0
	s_and_saveexec_b64 s[2:3], vcc
	s_cbranch_execz .LBB879_205
; %bb.200:
	v_lshrrev_b32_e32 v38, 24, v41
	s_movk_i32 s8, 0x80
	v_cmp_ne_u32_e32 vcc, s8, v38
	v_mov_b32_e32 v58, 0xffff8000
	s_and_saveexec_b64 s[8:9], vcc
	s_cbranch_execz .LBB879_204
; %bb.201:
	v_bfe_u32 v41, v41, 24, 7
	s_movk_i32 s10, 0x7f
	v_cmp_ne_u32_e32 vcc, s10, v41
	v_mov_b32_e32 v58, 0x7f80
	s_and_saveexec_b64 s[10:11], vcc
	s_cbranch_execz .LBB879_203
; %bb.202:
	v_and_b32_e32 v60, 7, v38
	v_ffbh_u32_e32 v58, v60
	v_min_u32_e32 v62, 32, v58
	v_subrev_u32_e32 v58, 28, v62
	v_lshlrev_b64 v[58:59], v58, v[38:39]
	v_lshrrev_b32_e32 v61, 3, v41
	v_sub_u32_e32 v59, 29, v62
	v_and_b32_e32 v58, 7, v58
	v_cmp_gt_u32_e32 vcc, 8, v41
	v_cndmask_b32_e32 v41, v61, v59, vcc
	v_cndmask_b32_e32 v58, v60, v58, vcc
	v_lshlrev_b32_e32 v38, 24, v38
	v_bfrev_b32_e32 v59, 60
	v_lshlrev_b32_e32 v58, 20, v58
	v_and_b32_e32 v38, 0x80000000, v38
	v_lshl_add_u32 v41, v41, 23, v59
	v_or3_b32 v38, v38, v41, v58
	v_lshrrev_b32_e32 v58, 16, v38
.LBB879_203:
	s_or_b64 exec, exec, s[10:11]
.LBB879_204:
	s_or_b64 exec, exec, s[8:9]
.LBB879_205:
	s_or_b64 exec, exec, s[2:3]
	s_mov_b32 s2, 0x5040100
	v_perm_b32 v61, v56, v54, s2
	v_perm_b32 v60, v39, v52, s2
	;; [unrolled: 1-line block ×4, first 2 shown]
	v_cmp_ne_u16_sdwa s[8:9], v30, v53 src0_sel:BYTE_0 src1_sel:DWORD
	v_mfma_f32_16x16x16bf16_1k v[42:45], v[60:61], v[18:19], v[42:45]
	v_mfma_f32_16x16x16bf16_1k v[38:41], v[38:39], v[20:21], v[42:45]
	s_and_saveexec_b64 s[2:3], s[8:9]
	s_cbranch_execz .LBB879_211
; %bb.206:
	s_movk_i32 s8, 0x80
	v_cmp_ne_u16_sdwa s[10:11], v30, s8 src0_sel:BYTE_0 src1_sel:DWORD
	v_mov_b32_e32 v53, 0xffff8000
	s_and_saveexec_b64 s[8:9], s[10:11]
	s_cbranch_execz .LBB879_210
; %bb.207:
	s_movk_i32 s10, 0x7f
	s_nop 1
	v_and_b32_e32 v42, 0x7f, v30
	v_cmp_ne_u32_e32 vcc, s10, v42
	v_mov_b32_e32 v53, 0x7f80
	s_and_saveexec_b64 s[10:11], vcc
	s_cbranch_execz .LBB879_209
; %bb.208:
	v_and_b32_e32 v43, 7, v30
	v_ffbh_u32_e32 v44, v43
	v_min_u32_e32 v53, 32, v44
	v_subrev_u32_e32 v44, 28, v53
	v_lshlrev_b64 v[44:45], v44, v[30:31]
	v_lshrrev_b32_e32 v52, 3, v42
	v_sub_u32_e32 v45, 29, v53
	v_and_b32_e32 v44, 7, v44
	v_cmp_gt_u32_e32 vcc, 8, v42
	v_cndmask_b32_e32 v42, v52, v45, vcc
	v_cndmask_b32_e32 v43, v43, v44, vcc
	v_lshlrev_b32_e32 v44, 24, v30
	v_bfrev_b32_e32 v45, 60
	v_lshlrev_b32_e32 v43, 20, v43
	v_and_b32_e32 v44, 0x80000000, v44
	v_lshl_add_u32 v42, v42, 23, v45
	v_or3_b32 v42, v44, v42, v43
	v_lshrrev_b32_e32 v53, 16, v42
.LBB879_209:
	s_or_b64 exec, exec, s[10:11]
.LBB879_210:
	s_or_b64 exec, exec, s[8:9]
.LBB879_211:
	s_or_b64 exec, exec, s[2:3]
	s_nop 6
	v_lshrrev_b16_e32 v42, 8, v30
	v_cmp_ne_u16_e32 vcc, 0, v42
	v_mov_b32_e32 v44, 0
	v_mov_b32_e32 v43, 0
	s_and_saveexec_b64 s[2:3], vcc
	s_cbranch_execz .LBB879_217
; %bb.212:
	s_movk_i32 s8, 0x80
	v_cmp_ne_u16_e32 vcc, s8, v42
	v_mov_b32_e32 v43, 0xffff8000
	s_and_saveexec_b64 s[8:9], vcc
	s_cbranch_execz .LBB879_216
; %bb.213:
	s_movk_i32 s10, 0x7f
	v_and_b32_e32 v45, 0x7f, v42
	v_cmp_ne_u32_e32 vcc, s10, v45
	v_mov_b32_e32 v43, 0x7f80
	s_and_saveexec_b64 s[10:11], vcc
	s_cbranch_execz .LBB879_215
; %bb.214:
	v_and_b32_e32 v52, 7, v42
	v_ffbh_u32_e32 v43, v52
	v_min_u32_e32 v55, 32, v43
	v_subrev_u32_e32 v43, 28, v55
	v_lshlrev_b64 v[42:43], v43, v[42:43]
	v_lshrrev_b32_e32 v54, 3, v45
	v_sub_u32_e32 v43, 29, v55
	v_and_b32_e32 v42, 7, v42
	v_cmp_gt_u32_e32 vcc, 8, v45
	v_cndmask_b32_e32 v43, v54, v43, vcc
	v_cndmask_b32_e32 v42, v52, v42, vcc
	v_lshlrev_b32_e32 v45, 16, v30
	v_bfrev_b32_e32 v52, 60
	v_lshlrev_b32_e32 v42, 20, v42
	v_and_b32_e32 v45, 0x80000000, v45
	v_lshl_add_u32 v43, v43, 23, v52
	v_or3_b32 v42, v45, v43, v42
	v_lshrrev_b32_e32 v43, 16, v42
.LBB879_215:
	s_or_b64 exec, exec, s[10:11]
.LBB879_216:
	s_or_b64 exec, exec, s[8:9]
.LBB879_217:
	s_or_b64 exec, exec, s[2:3]
	s_movk_i32 s2, 0xff
	v_and_b32_sdwa v45, v30, s2 dst_sel:DWORD dst_unused:UNUSED_PAD src0_sel:WORD_1 src1_sel:DWORD
	v_lshrrev_b32_e32 v42, 16, v30
	v_cmp_ne_u16_e32 vcc, 0, v45
	s_and_saveexec_b64 s[2:3], vcc
	s_cbranch_execz .LBB879_223
; %bb.218:
	s_movk_i32 s8, 0x80
	v_cmp_ne_u16_e32 vcc, s8, v45
	v_mov_b32_e32 v44, 0xffff8000
	s_and_saveexec_b64 s[8:9], vcc
	s_cbranch_execz .LBB879_222
; %bb.219:
	v_bfe_u32 v45, v30, 16, 7
	s_movk_i32 s10, 0x7f
	v_cmp_ne_u32_e32 vcc, s10, v45
	v_mov_b32_e32 v44, 0x7f80
	s_and_saveexec_b64 s[10:11], vcc
	s_cbranch_execz .LBB879_221
; %bb.220:
	v_and_b32_e32 v44, 7, v42
	v_ffbh_u32_e32 v54, v44
	v_min_u32_e32 v56, 32, v54
	v_subrev_u32_e32 v54, 28, v56
	v_lshlrev_b64 v[54:55], v54, v[42:43]
	v_lshrrev_b32_e32 v52, 3, v45
	v_sub_u32_e32 v42, 29, v56
	v_and_b32_e32 v54, 7, v54
	v_cmp_gt_u32_e32 vcc, 8, v45
	v_mov_b32_e32 v45, 24
	v_cndmask_b32_e32 v42, v52, v42, vcc
	v_cndmask_b32_e32 v44, v44, v54, vcc
	v_lshlrev_b32_sdwa v45, v45, v30 dst_sel:DWORD dst_unused:UNUSED_PAD src0_sel:DWORD src1_sel:WORD_1
	v_bfrev_b32_e32 v52, 60
	v_lshlrev_b32_e32 v44, 20, v44
	v_and_b32_e32 v45, 0x80000000, v45
	v_lshl_add_u32 v42, v42, 23, v52
	v_or3_b32 v42, v45, v42, v44
	v_lshrrev_b32_e32 v44, 16, v42
.LBB879_221:
	s_or_b64 exec, exec, s[10:11]
.LBB879_222:
	s_or_b64 exec, exec, s[8:9]
.LBB879_223:
	s_or_b64 exec, exec, s[2:3]
	s_mov_b32 s2, 0xffffff
	v_cmp_lt_u32_e32 vcc, s2, v30
	v_mov_b32_e32 v45, 0
	v_mov_b32_e32 v54, 0
	s_and_saveexec_b64 s[2:3], vcc
	s_cbranch_execz .LBB879_229
; %bb.224:
	v_lshrrev_b32_e32 v42, 24, v30
	s_movk_i32 s8, 0x80
	v_cmp_ne_u32_e32 vcc, s8, v42
	v_mov_b32_e32 v54, 0xffff8000
	s_and_saveexec_b64 s[8:9], vcc
	s_cbranch_execz .LBB879_228
; %bb.225:
	v_bfe_u32 v30, v30, 24, 7
	s_movk_i32 s10, 0x7f
	v_cmp_ne_u32_e32 vcc, s10, v30
	v_mov_b32_e32 v54, 0x7f80
	s_and_saveexec_b64 s[10:11], vcc
	s_cbranch_execz .LBB879_227
; %bb.226:
	v_and_b32_e32 v52, 7, v42
	v_ffbh_u32_e32 v54, v52
	v_min_u32_e32 v57, 32, v54
	v_subrev_u32_e32 v54, 28, v57
	v_lshlrev_b64 v[54:55], v54, v[42:43]
	v_lshrrev_b32_e32 v56, 3, v30
	v_sub_u32_e32 v55, 29, v57
	v_and_b32_e32 v54, 7, v54
	v_cmp_gt_u32_e32 vcc, 8, v30
	v_cndmask_b32_e32 v30, v56, v55, vcc
	v_cndmask_b32_e32 v52, v52, v54, vcc
	v_lshlrev_b32_e32 v42, 24, v42
	v_bfrev_b32_e32 v54, 60
	v_lshlrev_b32_e32 v52, 20, v52
	v_and_b32_e32 v42, 0x80000000, v42
	v_lshl_add_u32 v30, v30, 23, v54
	v_or3_b32 v30, v42, v30, v52
	v_lshrrev_b32_e32 v54, 16, v30
.LBB879_227:
	s_or_b64 exec, exec, s[10:11]
.LBB879_228:
	s_or_b64 exec, exec, s[8:9]
.LBB879_229:
	s_or_b64 exec, exec, s[2:3]
	v_cmp_ne_u16_sdwa s[8:9], v31, v45 src0_sel:BYTE_0 src1_sel:DWORD
	s_and_saveexec_b64 s[2:3], s[8:9]
	s_cbranch_execz .LBB879_235
; %bb.230:
	s_movk_i32 s8, 0x80
	v_cmp_ne_u16_sdwa s[10:11], v31, s8 src0_sel:BYTE_0 src1_sel:DWORD
	v_mov_b32_e32 v45, 0xffff8000
	s_and_saveexec_b64 s[8:9], s[10:11]
	s_cbranch_execz .LBB879_234
; %bb.231:
	s_movk_i32 s10, 0x7f
	v_and_b32_e32 v30, 0x7f, v31
	v_cmp_ne_u32_e32 vcc, s10, v30
	v_mov_b32_e32 v45, 0x7f80
	s_and_saveexec_b64 s[10:11], vcc
	s_cbranch_execz .LBB879_233
; %bb.232:
	v_and_b32_e32 v45, 7, v31
	v_ffbh_u32_e32 v55, v45
	v_min_u32_e32 v55, 32, v55
	v_mov_b32_e32 v42, v31
	v_subrev_u32_e32 v56, 28, v55
	v_lshlrev_b64 v[56:57], v56, v[42:43]
	v_lshrrev_b32_e32 v52, 3, v30
	v_sub_u32_e32 v42, 29, v55
	v_and_b32_e32 v55, 7, v56
	v_cmp_gt_u32_e32 vcc, 8, v30
	v_cndmask_b32_e32 v30, v52, v42, vcc
	v_cndmask_b32_e32 v42, v45, v55, vcc
	v_lshlrev_b32_e32 v45, 24, v31
	v_bfrev_b32_e32 v52, 60
	v_lshlrev_b32_e32 v42, 20, v42
	v_and_b32_e32 v45, 0x80000000, v45
	v_lshl_add_u32 v30, v30, 23, v52
	v_or3_b32 v30, v45, v30, v42
	v_lshrrev_b32_e32 v45, 16, v30
.LBB879_233:
	s_or_b64 exec, exec, s[10:11]
.LBB879_234:
	s_or_b64 exec, exec, s[8:9]
.LBB879_235:
	s_or_b64 exec, exec, s[2:3]
	v_lshrrev_b16_e32 v30, 8, v31
	v_cmp_ne_u16_e32 vcc, 0, v30
	v_mov_b32_e32 v55, 0
	v_mov_b32_e32 v42, 0
	s_and_saveexec_b64 s[2:3], vcc
	s_cbranch_execz .LBB879_241
; %bb.236:
	s_movk_i32 s8, 0x80
	v_cmp_ne_u16_e32 vcc, s8, v30
	v_mov_b32_e32 v42, 0xffff8000
	s_and_saveexec_b64 s[8:9], vcc
	s_cbranch_execz .LBB879_240
; %bb.237:
	s_movk_i32 s10, 0x7f
	v_and_b32_e32 v52, 0x7f, v30
	v_cmp_ne_u32_e32 vcc, s10, v52
	v_mov_b32_e32 v42, 0x7f80
	s_and_saveexec_b64 s[10:11], vcc
	s_cbranch_execz .LBB879_239
; %bb.238:
	v_and_b32_e32 v42, 7, v30
	v_ffbh_u32_e32 v56, v42
	v_min_u32_e32 v59, 32, v56
	v_subrev_u32_e32 v56, 28, v59
	v_lshlrev_b64 v[56:57], v56, v[30:31]
	v_lshrrev_b32_e32 v58, 3, v52
	v_sub_u32_e32 v30, 29, v59
	v_and_b32_e32 v56, 7, v56
	v_cmp_gt_u32_e32 vcc, 8, v52
	v_cndmask_b32_e32 v30, v58, v30, vcc
	v_cndmask_b32_e32 v42, v42, v56, vcc
	v_lshlrev_b32_e32 v52, 16, v31
	v_bfrev_b32_e32 v56, 60
	v_lshlrev_b32_e32 v42, 20, v42
	v_and_b32_e32 v52, 0x80000000, v52
	v_lshl_add_u32 v30, v30, 23, v56
	v_or3_b32 v30, v52, v30, v42
	v_lshrrev_b32_e32 v42, 16, v30
.LBB879_239:
	s_or_b64 exec, exec, s[10:11]
.LBB879_240:
	s_or_b64 exec, exec, s[8:9]
.LBB879_241:
	s_or_b64 exec, exec, s[2:3]
	s_movk_i32 s2, 0xff
	v_and_b32_sdwa v52, v31, s2 dst_sel:DWORD dst_unused:UNUSED_PAD src0_sel:WORD_1 src1_sel:DWORD
	v_lshrrev_b32_e32 v30, 16, v31
	v_cmp_ne_u16_e32 vcc, 0, v52
	s_and_saveexec_b64 s[2:3], vcc
	s_cbranch_execz .LBB879_247
; %bb.242:
	s_movk_i32 s8, 0x80
	v_cmp_ne_u16_e32 vcc, s8, v52
	v_mov_b32_e32 v55, 0xffff8000
	s_and_saveexec_b64 s[8:9], vcc
	s_cbranch_execz .LBB879_246
; %bb.243:
	v_bfe_u32 v52, v31, 16, 7
	s_movk_i32 s10, 0x7f
	v_cmp_ne_u32_e32 vcc, s10, v52
	v_mov_b32_e32 v55, 0x7f80
	s_and_saveexec_b64 s[10:11], vcc
	s_cbranch_execz .LBB879_245
; %bb.244:
	v_and_b32_e32 v55, 7, v30
	v_ffbh_u32_e32 v56, v55
	v_min_u32_e32 v59, 32, v56
	v_subrev_u32_e32 v56, 28, v59
	v_lshlrev_b64 v[56:57], v56, v[30:31]
	v_and_b32_e32 v56, 7, v56
	v_cmp_gt_u32_e32 vcc, 8, v52
	v_lshrrev_b32_e32 v58, 3, v52
	v_sub_u32_e32 v30, 29, v59
	v_cndmask_b32_e32 v52, v55, v56, vcc
	v_mov_b32_e32 v55, 24
	v_cndmask_b32_e32 v30, v58, v30, vcc
	v_lshlrev_b32_sdwa v55, v55, v31 dst_sel:DWORD dst_unused:UNUSED_PAD src0_sel:DWORD src1_sel:WORD_1
	v_bfrev_b32_e32 v56, 60
	v_lshlrev_b32_e32 v52, 20, v52
	v_and_b32_e32 v55, 0x80000000, v55
	v_lshl_add_u32 v30, v30, 23, v56
	v_or3_b32 v30, v55, v30, v52
	v_lshrrev_b32_e32 v55, 16, v30
.LBB879_245:
	s_or_b64 exec, exec, s[10:11]
.LBB879_246:
	s_or_b64 exec, exec, s[8:9]
.LBB879_247:
	s_or_b64 exec, exec, s[2:3]
	s_mov_b32 s2, 0xffffff
	v_cmp_lt_u32_e32 vcc, s2, v31
	v_mov_b32_e32 v52, 0
	v_mov_b32_e32 v56, 0
	s_and_saveexec_b64 s[2:3], vcc
	s_cbranch_execz .LBB879_253
; %bb.248:
	v_lshrrev_b32_e32 v30, 24, v31
	s_movk_i32 s8, 0x80
	v_cmp_ne_u32_e32 vcc, s8, v30
	v_mov_b32_e32 v56, 0xffff8000
	s_and_saveexec_b64 s[8:9], vcc
	s_cbranch_execz .LBB879_252
; %bb.249:
	v_bfe_u32 v31, v31, 24, 7
	s_movk_i32 s10, 0x7f
	v_cmp_ne_u32_e32 vcc, s10, v31
	v_mov_b32_e32 v56, 0x7f80
	s_and_saveexec_b64 s[10:11], vcc
	s_cbranch_execz .LBB879_251
; %bb.250:
	v_and_b32_e32 v58, 7, v30
	v_ffbh_u32_e32 v56, v58
	v_min_u32_e32 v60, 32, v56
	v_subrev_u32_e32 v56, 28, v60
	v_lshlrev_b64 v[56:57], v56, v[30:31]
	v_lshrrev_b32_e32 v59, 3, v31
	v_sub_u32_e32 v57, 29, v60
	v_and_b32_e32 v56, 7, v56
	v_cmp_gt_u32_e32 vcc, 8, v31
	v_cndmask_b32_e32 v31, v59, v57, vcc
	v_cndmask_b32_e32 v56, v58, v56, vcc
	v_lshlrev_b32_e32 v30, 24, v30
	v_bfrev_b32_e32 v57, 60
	v_lshlrev_b32_e32 v56, 20, v56
	v_and_b32_e32 v30, 0x80000000, v30
	v_lshl_add_u32 v31, v31, 23, v57
	v_or3_b32 v30, v30, v31, v56
	v_lshrrev_b32_e32 v56, 16, v30
.LBB879_251:
	s_or_b64 exec, exec, s[10:11]
.LBB879_252:
	s_or_b64 exec, exec, s[8:9]
.LBB879_253:
	s_or_b64 exec, exec, s[2:3]
	s_mov_b32 s2, 0x5040100
	v_perm_b32 v31, v54, v44, s2
	v_perm_b32 v30, v43, v53, s2
	v_cmp_ne_u16_sdwa s[8:9], v32, v52 src0_sel:BYTE_0 src1_sel:DWORD
	s_nop 0
	v_mfma_f32_16x16x16bf16_1k v[58:61], v[30:31], v[26:27], 0
	v_perm_b32 v31, v56, v55, s2
	v_perm_b32 v30, v42, v45, s2
	s_nop 1
	v_mfma_f32_16x16x16bf16_1k v[42:45], v[30:31], v[28:29], v[58:61]
	s_and_saveexec_b64 s[2:3], s[8:9]
	s_cbranch_execz .LBB879_259
; %bb.254:
	s_movk_i32 s8, 0x80
	v_cmp_ne_u16_sdwa s[10:11], v32, s8 src0_sel:BYTE_0 src1_sel:DWORD
	v_mov_b32_e32 v52, 0xffff8000
	s_and_saveexec_b64 s[8:9], s[10:11]
	s_cbranch_execz .LBB879_258
; %bb.255:
	s_movk_i32 s10, 0x7f
	v_and_b32_e32 v30, 0x7f, v32
	v_cmp_ne_u32_e32 vcc, s10, v30
	v_mov_b32_e32 v52, 0x7f80
	s_and_saveexec_b64 s[10:11], vcc
	s_cbranch_execz .LBB879_257
; %bb.256:
	v_and_b32_e32 v31, 7, v32
	v_ffbh_u32_e32 v52, v31
	v_min_u32_e32 v55, 32, v52
	v_subrev_u32_e32 v52, 28, v55
	v_lshlrev_b64 v[52:53], v52, v[32:33]
	v_lshrrev_b32_e32 v54, 3, v30
	v_sub_u32_e32 v53, 29, v55
	v_and_b32_e32 v52, 7, v52
	v_cmp_gt_u32_e32 vcc, 8, v30
	v_cndmask_b32_e32 v30, v54, v53, vcc
	v_cndmask_b32_e32 v31, v31, v52, vcc
	v_lshlrev_b32_e32 v52, 24, v32
	v_bfrev_b32_e32 v53, 60
	v_lshlrev_b32_e32 v31, 20, v31
	v_and_b32_e32 v52, 0x80000000, v52
	v_lshl_add_u32 v30, v30, 23, v53
	v_or3_b32 v30, v52, v30, v31
	v_lshrrev_b32_e32 v52, 16, v30
.LBB879_257:
	s_or_b64 exec, exec, s[10:11]
.LBB879_258:
	s_or_b64 exec, exec, s[8:9]
.LBB879_259:
	s_or_b64 exec, exec, s[2:3]
	v_lshrrev_b16_e32 v30, 8, v32
	v_cmp_ne_u16_e32 vcc, 0, v30
	v_mov_b32_e32 v54, 0
	v_mov_b32_e32 v31, 0
	s_and_saveexec_b64 s[2:3], vcc
	s_cbranch_execz .LBB879_265
; %bb.260:
	s_movk_i32 s8, 0x80
	v_cmp_ne_u16_e32 vcc, s8, v30
	v_mov_b32_e32 v31, 0xffff8000
	s_and_saveexec_b64 s[8:9], vcc
	s_cbranch_execz .LBB879_264
; %bb.261:
	s_movk_i32 s10, 0x7f
	v_and_b32_e32 v53, 0x7f, v30
	v_cmp_ne_u32_e32 vcc, s10, v53
	v_mov_b32_e32 v31, 0x7f80
	s_and_saveexec_b64 s[10:11], vcc
	s_cbranch_execz .LBB879_263
; %bb.262:
	v_and_b32_e32 v55, 7, v30
	v_ffbh_u32_e32 v31, v55
	v_min_u32_e32 v57, 32, v31
	v_subrev_u32_e32 v31, 28, v57
	v_lshlrev_b64 v[30:31], v31, v[30:31]
	v_lshrrev_b32_e32 v56, 3, v53
	v_sub_u32_e32 v31, 29, v57
	v_and_b32_e32 v30, 7, v30
	v_cmp_gt_u32_e32 vcc, 8, v53
	v_cndmask_b32_e32 v31, v56, v31, vcc
	v_cndmask_b32_e32 v30, v55, v30, vcc
	v_lshlrev_b32_e32 v53, 16, v32
	v_bfrev_b32_e32 v55, 60
	v_lshlrev_b32_e32 v30, 20, v30
	v_and_b32_e32 v53, 0x80000000, v53
	v_lshl_add_u32 v31, v31, 23, v55
	v_or3_b32 v30, v53, v31, v30
	v_lshrrev_b32_e32 v31, 16, v30
.LBB879_263:
	s_or_b64 exec, exec, s[10:11]
.LBB879_264:
	s_or_b64 exec, exec, s[8:9]
.LBB879_265:
	s_or_b64 exec, exec, s[2:3]
	s_movk_i32 s2, 0xff
	v_and_b32_sdwa v53, v32, s2 dst_sel:DWORD dst_unused:UNUSED_PAD src0_sel:WORD_1 src1_sel:DWORD
	v_lshrrev_b32_e32 v30, 16, v32
	v_cmp_ne_u16_e32 vcc, 0, v53
	s_and_saveexec_b64 s[2:3], vcc
	s_cbranch_execz .LBB879_271
; %bb.266:
	s_movk_i32 s8, 0x80
	v_cmp_ne_u16_e32 vcc, s8, v53
	v_mov_b32_e32 v54, 0xffff8000
	s_and_saveexec_b64 s[8:9], vcc
	s_cbranch_execz .LBB879_270
; %bb.267:
	v_bfe_u32 v53, v32, 16, 7
	s_movk_i32 s10, 0x7f
	v_cmp_ne_u32_e32 vcc, s10, v53
	v_mov_b32_e32 v54, 0x7f80
	s_and_saveexec_b64 s[10:11], vcc
	s_cbranch_execz .LBB879_269
; %bb.268:
	v_and_b32_e32 v56, 7, v30
	v_ffbh_u32_e32 v54, v56
	v_min_u32_e32 v58, 32, v54
	v_subrev_u32_e32 v54, 28, v58
	v_lshlrev_b64 v[54:55], v54, v[30:31]
	v_and_b32_e32 v54, 7, v54
	v_cmp_gt_u32_e32 vcc, 8, v53
	v_lshrrev_b32_e32 v57, 3, v53
	v_sub_u32_e32 v30, 29, v58
	v_cndmask_b32_e32 v53, v56, v54, vcc
	v_mov_b32_e32 v54, 24
	v_cndmask_b32_e32 v30, v57, v30, vcc
	v_lshlrev_b32_sdwa v54, v54, v32 dst_sel:DWORD dst_unused:UNUSED_PAD src0_sel:DWORD src1_sel:WORD_1
	v_bfrev_b32_e32 v55, 60
	v_lshlrev_b32_e32 v53, 20, v53
	v_and_b32_e32 v54, 0x80000000, v54
	v_lshl_add_u32 v30, v30, 23, v55
	v_or3_b32 v30, v54, v30, v53
	v_lshrrev_b32_e32 v54, 16, v30
.LBB879_269:
	s_or_b64 exec, exec, s[10:11]
.LBB879_270:
	s_or_b64 exec, exec, s[8:9]
.LBB879_271:
	s_or_b64 exec, exec, s[2:3]
	s_mov_b32 s2, 0xffffff
	v_cmp_lt_u32_e32 vcc, s2, v32
	v_mov_b32_e32 v55, 0
	v_mov_b32_e32 v56, 0
	s_and_saveexec_b64 s[2:3], vcc
	s_cbranch_execz .LBB879_277
; %bb.272:
	v_lshrrev_b32_e32 v30, 24, v32
	s_movk_i32 s8, 0x80
	v_cmp_ne_u32_e32 vcc, s8, v30
	v_mov_b32_e32 v56, 0xffff8000
	s_and_saveexec_b64 s[8:9], vcc
	s_cbranch_execz .LBB879_276
; %bb.273:
	v_bfe_u32 v32, v32, 24, 7
	s_movk_i32 s10, 0x7f
	v_cmp_ne_u32_e32 vcc, s10, v32
	v_mov_b32_e32 v56, 0x7f80
	s_and_saveexec_b64 s[10:11], vcc
	s_cbranch_execz .LBB879_275
; %bb.274:
	v_and_b32_e32 v53, 7, v30
	v_ffbh_u32_e32 v56, v53
	v_min_u32_e32 v59, 32, v56
	v_subrev_u32_e32 v56, 28, v59
	v_lshlrev_b64 v[56:57], v56, v[30:31]
	v_lshrrev_b32_e32 v58, 3, v32
	v_sub_u32_e32 v57, 29, v59
	v_and_b32_e32 v56, 7, v56
	v_cmp_gt_u32_e32 vcc, 8, v32
	v_cndmask_b32_e32 v32, v58, v57, vcc
	v_cndmask_b32_e32 v53, v53, v56, vcc
	v_lshlrev_b32_e32 v30, 24, v30
	v_bfrev_b32_e32 v56, 60
	v_lshlrev_b32_e32 v53, 20, v53
	v_and_b32_e32 v30, 0x80000000, v30
	v_lshl_add_u32 v32, v32, 23, v56
	v_or3_b32 v30, v30, v32, v53
	v_lshrrev_b32_e32 v56, 16, v30
.LBB879_275:
	s_or_b64 exec, exec, s[10:11]
.LBB879_276:
	s_or_b64 exec, exec, s[8:9]
.LBB879_277:
	s_or_b64 exec, exec, s[2:3]
	v_cmp_ne_u16_sdwa s[8:9], v33, v55 src0_sel:BYTE_0 src1_sel:DWORD
	s_and_saveexec_b64 s[2:3], s[8:9]
	s_cbranch_execz .LBB879_283
; %bb.278:
	s_movk_i32 s8, 0x80
	v_cmp_ne_u16_sdwa s[10:11], v33, s8 src0_sel:BYTE_0 src1_sel:DWORD
	v_mov_b32_e32 v55, 0xffff8000
	s_and_saveexec_b64 s[8:9], s[10:11]
	s_cbranch_execz .LBB879_282
; %bb.279:
	s_movk_i32 s10, 0x7f
	v_and_b32_e32 v30, 0x7f, v33
	v_cmp_ne_u32_e32 vcc, s10, v30
	v_mov_b32_e32 v55, 0x7f80
	s_and_saveexec_b64 s[10:11], vcc
	s_cbranch_execz .LBB879_281
; %bb.280:
	v_and_b32_e32 v53, 7, v33
	v_ffbh_u32_e32 v57, v53
	v_min_u32_e32 v57, 32, v57
	v_mov_b32_e32 v32, v33
	v_subrev_u32_e32 v58, 28, v57
	v_lshlrev_b64 v[58:59], v58, v[32:33]
	v_lshrrev_b32_e32 v55, 3, v30
	v_sub_u32_e32 v32, 29, v57
	v_and_b32_e32 v57, 7, v58
	v_cmp_gt_u32_e32 vcc, 8, v30
	v_cndmask_b32_e32 v30, v55, v32, vcc
	v_cndmask_b32_e32 v32, v53, v57, vcc
	v_lshlrev_b32_e32 v53, 24, v33
	v_bfrev_b32_e32 v55, 60
	v_lshlrev_b32_e32 v32, 20, v32
	v_and_b32_e32 v53, 0x80000000, v53
	v_lshl_add_u32 v30, v30, 23, v55
	v_or3_b32 v30, v53, v30, v32
	v_lshrrev_b32_e32 v55, 16, v30
.LBB879_281:
	s_or_b64 exec, exec, s[10:11]
.LBB879_282:
	s_or_b64 exec, exec, s[8:9]
.LBB879_283:
	s_or_b64 exec, exec, s[2:3]
	v_lshrrev_b16_e32 v30, 8, v33
	v_cmp_ne_u16_e32 vcc, 0, v30
	v_mov_b32_e32 v57, 0
	v_mov_b32_e32 v32, 0
	s_and_saveexec_b64 s[2:3], vcc
	s_cbranch_execz .LBB879_289
; %bb.284:
	s_movk_i32 s8, 0x80
	v_cmp_ne_u16_e32 vcc, s8, v30
	v_mov_b32_e32 v32, 0xffff8000
	s_and_saveexec_b64 s[8:9], vcc
	s_cbranch_execz .LBB879_288
; %bb.285:
	s_movk_i32 s10, 0x7f
	v_and_b32_e32 v53, 0x7f, v30
	v_cmp_ne_u32_e32 vcc, s10, v53
	v_mov_b32_e32 v32, 0x7f80
	s_and_saveexec_b64 s[10:11], vcc
	s_cbranch_execz .LBB879_287
; %bb.286:
	v_and_b32_e32 v32, 7, v30
	v_ffbh_u32_e32 v58, v32
	v_min_u32_e32 v61, 32, v58
	v_subrev_u32_e32 v58, 28, v61
	v_lshlrev_b64 v[58:59], v58, v[30:31]
	v_lshrrev_b32_e32 v60, 3, v53
	v_sub_u32_e32 v30, 29, v61
	v_and_b32_e32 v58, 7, v58
	v_cmp_gt_u32_e32 vcc, 8, v53
	v_cndmask_b32_e32 v30, v60, v30, vcc
	v_cndmask_b32_e32 v32, v32, v58, vcc
	v_lshlrev_b32_e32 v53, 16, v33
	v_bfrev_b32_e32 v58, 60
	v_lshlrev_b32_e32 v32, 20, v32
	v_and_b32_e32 v53, 0x80000000, v53
	v_lshl_add_u32 v30, v30, 23, v58
	v_or3_b32 v30, v53, v30, v32
	v_lshrrev_b32_e32 v32, 16, v30
.LBB879_287:
	s_or_b64 exec, exec, s[10:11]
.LBB879_288:
	s_or_b64 exec, exec, s[8:9]
.LBB879_289:
	s_or_b64 exec, exec, s[2:3]
	s_movk_i32 s2, 0xff
	v_and_b32_sdwa v53, v33, s2 dst_sel:DWORD dst_unused:UNUSED_PAD src0_sel:WORD_1 src1_sel:DWORD
	v_lshrrev_b32_e32 v30, 16, v33
	v_cmp_ne_u16_e32 vcc, 0, v53
	s_and_saveexec_b64 s[2:3], vcc
	s_cbranch_execz .LBB879_295
; %bb.290:
	s_movk_i32 s8, 0x80
	v_cmp_ne_u16_e32 vcc, s8, v53
	v_mov_b32_e32 v57, 0xffff8000
	s_and_saveexec_b64 s[8:9], vcc
	s_cbranch_execz .LBB879_294
; %bb.291:
	v_bfe_u32 v53, v33, 16, 7
	s_movk_i32 s10, 0x7f
	v_cmp_ne_u32_e32 vcc, s10, v53
	v_mov_b32_e32 v57, 0x7f80
	s_and_saveexec_b64 s[10:11], vcc
	s_cbranch_execz .LBB879_293
; %bb.292:
	v_and_b32_e32 v57, 7, v30
	v_ffbh_u32_e32 v58, v57
	v_min_u32_e32 v61, 32, v58
	v_subrev_u32_e32 v58, 28, v61
	v_lshlrev_b64 v[58:59], v58, v[30:31]
	v_and_b32_e32 v58, 7, v58
	v_cmp_gt_u32_e32 vcc, 8, v53
	v_lshrrev_b32_e32 v60, 3, v53
	v_sub_u32_e32 v30, 29, v61
	v_cndmask_b32_e32 v53, v57, v58, vcc
	v_mov_b32_e32 v57, 24
	v_cndmask_b32_e32 v30, v60, v30, vcc
	v_lshlrev_b32_sdwa v57, v57, v33 dst_sel:DWORD dst_unused:UNUSED_PAD src0_sel:DWORD src1_sel:WORD_1
	v_bfrev_b32_e32 v58, 60
	v_lshlrev_b32_e32 v53, 20, v53
	v_and_b32_e32 v57, 0x80000000, v57
	v_lshl_add_u32 v30, v30, 23, v58
	v_or3_b32 v30, v57, v30, v53
	v_lshrrev_b32_e32 v57, 16, v30
.LBB879_293:
	s_or_b64 exec, exec, s[10:11]
.LBB879_294:
	s_or_b64 exec, exec, s[8:9]
.LBB879_295:
	s_or_b64 exec, exec, s[2:3]
	s_mov_b32 s2, 0xffffff
	v_cmp_lt_u32_e32 vcc, s2, v33
	v_mov_b32_e32 v53, 0
	v_mov_b32_e32 v58, 0
	s_and_saveexec_b64 s[2:3], vcc
	s_cbranch_execz .LBB879_301
; %bb.296:
	v_lshrrev_b32_e32 v30, 24, v33
	s_movk_i32 s8, 0x80
	v_cmp_ne_u32_e32 vcc, s8, v30
	v_mov_b32_e32 v58, 0xffff8000
	s_and_saveexec_b64 s[8:9], vcc
	s_cbranch_execz .LBB879_300
; %bb.297:
	v_bfe_u32 v33, v33, 24, 7
	s_movk_i32 s10, 0x7f
	v_cmp_ne_u32_e32 vcc, s10, v33
	v_mov_b32_e32 v58, 0x7f80
	s_and_saveexec_b64 s[10:11], vcc
	s_cbranch_execz .LBB879_299
; %bb.298:
	v_and_b32_e32 v60, 7, v30
	v_ffbh_u32_e32 v58, v60
	v_min_u32_e32 v62, 32, v58
	v_subrev_u32_e32 v58, 28, v62
	v_lshlrev_b64 v[58:59], v58, v[30:31]
	v_lshrrev_b32_e32 v61, 3, v33
	v_sub_u32_e32 v59, 29, v62
	v_and_b32_e32 v58, 7, v58
	v_cmp_gt_u32_e32 vcc, 8, v33
	v_cndmask_b32_e32 v33, v61, v59, vcc
	v_cndmask_b32_e32 v58, v60, v58, vcc
	v_lshlrev_b32_e32 v30, 24, v30
	v_bfrev_b32_e32 v59, 60
	v_lshlrev_b32_e32 v58, 20, v58
	v_and_b32_e32 v30, 0x80000000, v30
	v_lshl_add_u32 v33, v33, 23, v59
	v_or3_b32 v30, v30, v33, v58
	v_lshrrev_b32_e32 v58, 16, v30
.LBB879_299:
	s_or_b64 exec, exec, s[10:11]
.LBB879_300:
	s_or_b64 exec, exec, s[8:9]
.LBB879_301:
	s_or_b64 exec, exec, s[2:3]
	s_mov_b32 s2, 0x5040100
	v_perm_b32 v61, v56, v54, s2
	v_perm_b32 v60, v31, v52, s2
	;; [unrolled: 1-line block ×4, first 2 shown]
	v_cmp_ne_u16_sdwa s[8:9], v22, v53 src0_sel:BYTE_0 src1_sel:DWORD
	v_mfma_f32_16x16x16bf16_1k v[42:45], v[60:61], v[18:19], v[42:45]
	v_mfma_f32_16x16x16bf16_1k v[30:33], v[30:31], v[20:21], v[42:45]
	s_and_saveexec_b64 s[2:3], s[8:9]
	s_cbranch_execz .LBB879_307
; %bb.302:
	s_movk_i32 s8, 0x80
	v_cmp_ne_u16_sdwa s[10:11], v22, s8 src0_sel:BYTE_0 src1_sel:DWORD
	v_mov_b32_e32 v53, 0xffff8000
	s_and_saveexec_b64 s[8:9], s[10:11]
	s_cbranch_execz .LBB879_306
; %bb.303:
	s_movk_i32 s10, 0x7f
	s_nop 1
	v_and_b32_e32 v42, 0x7f, v22
	v_cmp_ne_u32_e32 vcc, s10, v42
	v_mov_b32_e32 v53, 0x7f80
	s_and_saveexec_b64 s[10:11], vcc
	s_cbranch_execz .LBB879_305
; %bb.304:
	v_and_b32_e32 v43, 7, v22
	v_ffbh_u32_e32 v44, v43
	v_min_u32_e32 v53, 32, v44
	v_subrev_u32_e32 v44, 28, v53
	v_lshlrev_b64 v[44:45], v44, v[22:23]
	v_lshrrev_b32_e32 v52, 3, v42
	v_sub_u32_e32 v45, 29, v53
	v_and_b32_e32 v44, 7, v44
	v_cmp_gt_u32_e32 vcc, 8, v42
	v_cndmask_b32_e32 v42, v52, v45, vcc
	v_cndmask_b32_e32 v43, v43, v44, vcc
	v_lshlrev_b32_e32 v44, 24, v22
	v_bfrev_b32_e32 v45, 60
	v_lshlrev_b32_e32 v43, 20, v43
	v_and_b32_e32 v44, 0x80000000, v44
	v_lshl_add_u32 v42, v42, 23, v45
	v_or3_b32 v42, v44, v42, v43
	v_lshrrev_b32_e32 v53, 16, v42
.LBB879_305:
	s_or_b64 exec, exec, s[10:11]
.LBB879_306:
	s_or_b64 exec, exec, s[8:9]
.LBB879_307:
	s_or_b64 exec, exec, s[2:3]
	s_nop 6
	v_lshrrev_b16_e32 v42, 8, v22
	v_cmp_ne_u16_e32 vcc, 0, v42
	v_mov_b32_e32 v45, 0
	v_mov_b32_e32 v44, 0
	s_and_saveexec_b64 s[2:3], vcc
	s_cbranch_execz .LBB879_313
; %bb.308:
	s_movk_i32 s8, 0x80
	v_cmp_ne_u16_e32 vcc, s8, v42
	v_mov_b32_e32 v44, 0xffff8000
	s_and_saveexec_b64 s[8:9], vcc
	s_cbranch_execz .LBB879_312
; %bb.309:
	s_movk_i32 s10, 0x7f
	v_and_b32_e32 v43, 0x7f, v42
	v_cmp_ne_u32_e32 vcc, s10, v43
	v_mov_b32_e32 v44, 0x7f80
	s_and_saveexec_b64 s[10:11], vcc
	s_cbranch_execz .LBB879_311
; %bb.310:
	v_and_b32_e32 v44, 7, v42
	v_ffbh_u32_e32 v54, v44
	v_min_u32_e32 v56, 32, v54
	v_subrev_u32_e32 v54, 28, v56
	v_lshlrev_b64 v[54:55], v54, v[42:43]
	v_lshrrev_b32_e32 v52, 3, v43
	v_sub_u32_e32 v42, 29, v56
	v_and_b32_e32 v54, 7, v54
	v_cmp_gt_u32_e32 vcc, 8, v43
	v_cndmask_b32_e32 v42, v52, v42, vcc
	v_cndmask_b32_e32 v43, v44, v54, vcc
	v_lshlrev_b32_e32 v44, 16, v22
	v_bfrev_b32_e32 v52, 60
	v_lshlrev_b32_e32 v43, 20, v43
	v_and_b32_e32 v44, 0x80000000, v44
	v_lshl_add_u32 v42, v42, 23, v52
	v_or3_b32 v42, v44, v42, v43
	v_lshrrev_b32_e32 v44, 16, v42
.LBB879_311:
	s_or_b64 exec, exec, s[10:11]
.LBB879_312:
	s_or_b64 exec, exec, s[8:9]
.LBB879_313:
	s_or_b64 exec, exec, s[2:3]
	s_movk_i32 s2, 0xff
	v_and_b32_sdwa v43, v22, s2 dst_sel:DWORD dst_unused:UNUSED_PAD src0_sel:WORD_1 src1_sel:DWORD
	v_lshrrev_b32_e32 v42, 16, v22
	v_cmp_ne_u16_e32 vcc, 0, v43
	s_and_saveexec_b64 s[2:3], vcc
	s_cbranch_execz .LBB879_319
; %bb.314:
	s_movk_i32 s8, 0x80
	v_cmp_ne_u16_e32 vcc, s8, v43
	v_mov_b32_e32 v45, 0xffff8000
	s_and_saveexec_b64 s[8:9], vcc
	s_cbranch_execz .LBB879_318
; %bb.315:
	v_bfe_u32 v43, v22, 16, 7
	s_movk_i32 s10, 0x7f
	v_cmp_ne_u32_e32 vcc, s10, v43
	v_mov_b32_e32 v45, 0x7f80
	s_and_saveexec_b64 s[10:11], vcc
	s_cbranch_execz .LBB879_317
; %bb.316:
	v_and_b32_e32 v45, 7, v42
	v_ffbh_u32_e32 v54, v45
	v_min_u32_e32 v56, 32, v54
	v_subrev_u32_e32 v54, 28, v56
	v_lshlrev_b64 v[54:55], v54, v[42:43]
	v_and_b32_e32 v54, 7, v54
	v_cmp_gt_u32_e32 vcc, 8, v43
	v_lshrrev_b32_e32 v52, 3, v43
	v_sub_u32_e32 v42, 29, v56
	v_cndmask_b32_e32 v43, v45, v54, vcc
	v_mov_b32_e32 v45, 24
	v_cndmask_b32_e32 v42, v52, v42, vcc
	v_lshlrev_b32_sdwa v45, v45, v22 dst_sel:DWORD dst_unused:UNUSED_PAD src0_sel:DWORD src1_sel:WORD_1
	v_bfrev_b32_e32 v52, 60
	v_lshlrev_b32_e32 v43, 20, v43
	v_and_b32_e32 v45, 0x80000000, v45
	v_lshl_add_u32 v42, v42, 23, v52
	v_or3_b32 v42, v45, v42, v43
	v_lshrrev_b32_e32 v45, 16, v42
.LBB879_317:
	s_or_b64 exec, exec, s[10:11]
.LBB879_318:
	s_or_b64 exec, exec, s[8:9]
.LBB879_319:
	s_or_b64 exec, exec, s[2:3]
	s_mov_b32 s2, 0xffffff
	v_cmp_lt_u32_e32 vcc, s2, v22
	v_mov_b32_e32 v52, 0
	v_mov_b32_e32 v54, 0
	s_and_saveexec_b64 s[2:3], vcc
	s_cbranch_execz .LBB879_325
; %bb.320:
	v_lshrrev_b32_e32 v42, 24, v22
	s_movk_i32 s8, 0x80
	v_cmp_ne_u32_e32 vcc, s8, v42
	v_mov_b32_e32 v54, 0xffff8000
	s_and_saveexec_b64 s[8:9], vcc
	s_cbranch_execz .LBB879_324
; %bb.321:
	v_bfe_u32 v22, v22, 24, 7
	s_movk_i32 s10, 0x7f
	v_cmp_ne_u32_e32 vcc, s10, v22
	v_mov_b32_e32 v54, 0x7f80
	s_and_saveexec_b64 s[10:11], vcc
	s_cbranch_execz .LBB879_323
; %bb.322:
	v_and_b32_e32 v43, 7, v42
	v_ffbh_u32_e32 v54, v43
	v_min_u32_e32 v57, 32, v54
	v_subrev_u32_e32 v54, 28, v57
	v_lshlrev_b64 v[54:55], v54, v[42:43]
	v_lshrrev_b32_e32 v56, 3, v22
	v_sub_u32_e32 v55, 29, v57
	v_and_b32_e32 v54, 7, v54
	v_cmp_gt_u32_e32 vcc, 8, v22
	v_cndmask_b32_e32 v22, v56, v55, vcc
	v_cndmask_b32_e32 v43, v43, v54, vcc
	v_lshlrev_b32_e32 v42, 24, v42
	v_bfrev_b32_e32 v54, 60
	v_lshlrev_b32_e32 v43, 20, v43
	v_and_b32_e32 v42, 0x80000000, v42
	v_lshl_add_u32 v22, v22, 23, v54
	v_or3_b32 v22, v42, v22, v43
	v_lshrrev_b32_e32 v54, 16, v22
.LBB879_323:
	s_or_b64 exec, exec, s[10:11]
.LBB879_324:
	s_or_b64 exec, exec, s[8:9]
.LBB879_325:
	s_or_b64 exec, exec, s[2:3]
	v_cmp_ne_u16_sdwa s[8:9], v23, v52 src0_sel:BYTE_0 src1_sel:DWORD
	s_and_saveexec_b64 s[2:3], s[8:9]
	s_cbranch_execz .LBB879_331
; %bb.326:
	s_movk_i32 s8, 0x80
	v_cmp_ne_u16_sdwa s[10:11], v23, s8 src0_sel:BYTE_0 src1_sel:DWORD
	v_mov_b32_e32 v52, 0xffff8000
	s_and_saveexec_b64 s[8:9], s[10:11]
	s_cbranch_execz .LBB879_330
; %bb.327:
	s_movk_i32 s10, 0x7f
	v_and_b32_e32 v22, 0x7f, v23
	v_cmp_ne_u32_e32 vcc, s10, v22
	v_mov_b32_e32 v52, 0x7f80
	s_and_saveexec_b64 s[10:11], vcc
	s_cbranch_execz .LBB879_329
; %bb.328:
	v_and_b32_e32 v52, 7, v23
	v_ffbh_u32_e32 v43, v52
	v_min_u32_e32 v56, 32, v43
	v_mov_b32_e32 v42, v23
	v_subrev_u32_e32 v43, 28, v56
	v_lshlrev_b64 v[42:43], v43, v[42:43]
	v_lshrrev_b32_e32 v55, 3, v22
	v_sub_u32_e32 v43, 29, v56
	v_and_b32_e32 v42, 7, v42
	v_cmp_gt_u32_e32 vcc, 8, v22
	v_cndmask_b32_e32 v22, v55, v43, vcc
	v_cndmask_b32_e32 v42, v52, v42, vcc
	v_lshlrev_b32_e32 v43, 24, v23
	v_bfrev_b32_e32 v52, 60
	v_lshlrev_b32_e32 v42, 20, v42
	v_and_b32_e32 v43, 0x80000000, v43
	v_lshl_add_u32 v22, v22, 23, v52
	v_or3_b32 v22, v43, v22, v42
	v_lshrrev_b32_e32 v52, 16, v22
.LBB879_329:
	s_or_b64 exec, exec, s[10:11]
.LBB879_330:
	s_or_b64 exec, exec, s[8:9]
.LBB879_331:
	s_or_b64 exec, exec, s[2:3]
	v_lshrrev_b16_e32 v22, 8, v23
	v_cmp_ne_u16_e32 vcc, 0, v22
	v_mov_b32_e32 v55, 0
	v_mov_b32_e32 v42, 0
	s_and_saveexec_b64 s[2:3], vcc
	s_cbranch_execz .LBB879_337
; %bb.332:
	s_movk_i32 s8, 0x80
	v_cmp_ne_u16_e32 vcc, s8, v22
	v_mov_b32_e32 v42, 0xffff8000
	s_and_saveexec_b64 s[8:9], vcc
	s_cbranch_execz .LBB879_336
; %bb.333:
	s_movk_i32 s10, 0x7f
	v_and_b32_e32 v43, 0x7f, v22
	v_cmp_ne_u32_e32 vcc, s10, v43
	v_mov_b32_e32 v42, 0x7f80
	s_and_saveexec_b64 s[10:11], vcc
	s_cbranch_execz .LBB879_335
; %bb.334:
	v_and_b32_e32 v42, 7, v22
	v_ffbh_u32_e32 v56, v42
	v_min_u32_e32 v59, 32, v56
	v_subrev_u32_e32 v56, 28, v59
	v_lshlrev_b64 v[56:57], v56, v[22:23]
	v_lshrrev_b32_e32 v58, 3, v43
	v_sub_u32_e32 v22, 29, v59
	v_and_b32_e32 v56, 7, v56
	v_cmp_gt_u32_e32 vcc, 8, v43
	v_cndmask_b32_e32 v22, v58, v22, vcc
	v_cndmask_b32_e32 v42, v42, v56, vcc
	v_lshlrev_b32_e32 v43, 16, v23
	v_bfrev_b32_e32 v56, 60
	v_lshlrev_b32_e32 v42, 20, v42
	v_and_b32_e32 v43, 0x80000000, v43
	v_lshl_add_u32 v22, v22, 23, v56
	v_or3_b32 v22, v43, v22, v42
	v_lshrrev_b32_e32 v42, 16, v22
.LBB879_335:
	s_or_b64 exec, exec, s[10:11]
.LBB879_336:
	s_or_b64 exec, exec, s[8:9]
.LBB879_337:
	s_or_b64 exec, exec, s[2:3]
	s_movk_i32 s2, 0xff
	v_and_b32_sdwa v43, v23, s2 dst_sel:DWORD dst_unused:UNUSED_PAD src0_sel:WORD_1 src1_sel:DWORD
	v_lshrrev_b32_e32 v22, 16, v23
	v_cmp_ne_u16_e32 vcc, 0, v43
	s_and_saveexec_b64 s[2:3], vcc
	s_cbranch_execz .LBB879_343
; %bb.338:
	s_movk_i32 s8, 0x80
	v_cmp_ne_u16_e32 vcc, s8, v43
	v_mov_b32_e32 v55, 0xffff8000
	s_and_saveexec_b64 s[8:9], vcc
	s_cbranch_execz .LBB879_342
; %bb.339:
	v_bfe_u32 v43, v23, 16, 7
	s_movk_i32 s10, 0x7f
	v_cmp_ne_u32_e32 vcc, s10, v43
	v_mov_b32_e32 v55, 0x7f80
	s_and_saveexec_b64 s[10:11], vcc
	s_cbranch_execz .LBB879_341
; %bb.340:
	v_and_b32_e32 v55, 7, v22
	v_ffbh_u32_e32 v56, v55
	v_min_u32_e32 v59, 32, v56
	v_subrev_u32_e32 v56, 28, v59
	v_lshlrev_b64 v[56:57], v56, v[22:23]
	v_and_b32_e32 v56, 7, v56
	v_cmp_gt_u32_e32 vcc, 8, v43
	v_lshrrev_b32_e32 v58, 3, v43
	v_sub_u32_e32 v22, 29, v59
	v_cndmask_b32_e32 v43, v55, v56, vcc
	v_mov_b32_e32 v55, 24
	v_cndmask_b32_e32 v22, v58, v22, vcc
	v_lshlrev_b32_sdwa v55, v55, v23 dst_sel:DWORD dst_unused:UNUSED_PAD src0_sel:DWORD src1_sel:WORD_1
	v_bfrev_b32_e32 v56, 60
	v_lshlrev_b32_e32 v43, 20, v43
	v_and_b32_e32 v55, 0x80000000, v55
	v_lshl_add_u32 v22, v22, 23, v56
	v_or3_b32 v22, v55, v22, v43
	v_lshrrev_b32_e32 v55, 16, v22
.LBB879_341:
	s_or_b64 exec, exec, s[10:11]
.LBB879_342:
	s_or_b64 exec, exec, s[8:9]
.LBB879_343:
	s_or_b64 exec, exec, s[2:3]
	s_mov_b32 s2, 0xffffff
	v_cmp_lt_u32_e32 vcc, s2, v23
	v_mov_b32_e32 v43, 0
	v_mov_b32_e32 v56, 0
	s_and_saveexec_b64 s[2:3], vcc
	s_cbranch_execz .LBB879_349
; %bb.344:
	v_lshrrev_b32_e32 v22, 24, v23
	s_movk_i32 s8, 0x80
	v_cmp_ne_u32_e32 vcc, s8, v22
	v_mov_b32_e32 v56, 0xffff8000
	s_and_saveexec_b64 s[8:9], vcc
	s_cbranch_execz .LBB879_348
; %bb.345:
	v_bfe_u32 v23, v23, 24, 7
	s_movk_i32 s10, 0x7f
	v_cmp_ne_u32_e32 vcc, s10, v23
	v_mov_b32_e32 v56, 0x7f80
	s_and_saveexec_b64 s[10:11], vcc
	s_cbranch_execz .LBB879_347
; %bb.346:
	v_and_b32_e32 v58, 7, v22
	v_ffbh_u32_e32 v56, v58
	v_min_u32_e32 v60, 32, v56
	v_subrev_u32_e32 v56, 28, v60
	v_lshlrev_b64 v[56:57], v56, v[22:23]
	v_lshrrev_b32_e32 v59, 3, v23
	v_sub_u32_e32 v57, 29, v60
	v_and_b32_e32 v56, 7, v56
	v_cmp_gt_u32_e32 vcc, 8, v23
	v_cndmask_b32_e32 v23, v59, v57, vcc
	v_cndmask_b32_e32 v56, v58, v56, vcc
	v_lshlrev_b32_e32 v22, 24, v22
	v_bfrev_b32_e32 v57, 60
	v_lshlrev_b32_e32 v56, 20, v56
	v_and_b32_e32 v22, 0x80000000, v22
	v_lshl_add_u32 v23, v23, 23, v57
	v_or3_b32 v22, v22, v23, v56
	v_lshrrev_b32_e32 v56, 16, v22
.LBB879_347:
	s_or_b64 exec, exec, s[10:11]
.LBB879_348:
	s_or_b64 exec, exec, s[8:9]
.LBB879_349:
	s_or_b64 exec, exec, s[2:3]
	s_mov_b32 s2, 0x5040100
	v_perm_b32 v23, v54, v45, s2
	v_perm_b32 v22, v44, v53, s2
	v_cmp_ne_u16_sdwa s[8:9], v24, v43 src0_sel:BYTE_0 src1_sel:DWORD
	s_nop 0
	v_mfma_f32_16x16x16bf16_1k v[58:61], v[22:23], v[26:27], 0
	v_perm_b32 v23, v56, v55, s2
	v_perm_b32 v22, v42, v52, s2
	s_nop 1
	v_mfma_f32_16x16x16bf16_1k v[26:29], v[22:23], v[28:29], v[58:61]
	s_and_saveexec_b64 s[2:3], s[8:9]
	s_cbranch_execz .LBB879_355
; %bb.350:
	s_movk_i32 s8, 0x80
	v_cmp_ne_u16_sdwa s[10:11], v24, s8 src0_sel:BYTE_0 src1_sel:DWORD
	v_mov_b32_e32 v43, 0xffff8000
	s_and_saveexec_b64 s[8:9], s[10:11]
	s_cbranch_execz .LBB879_354
; %bb.351:
	s_movk_i32 s10, 0x7f
	v_and_b32_e32 v22, 0x7f, v24
	v_cmp_ne_u32_e32 vcc, s10, v22
	v_mov_b32_e32 v43, 0x7f80
	s_and_saveexec_b64 s[10:11], vcc
	s_cbranch_execz .LBB879_353
; %bb.352:
	v_and_b32_e32 v23, 7, v24
	v_ffbh_u32_e32 v42, v23
	v_min_u32_e32 v45, 32, v42
	v_subrev_u32_e32 v42, 28, v45
	v_lshlrev_b64 v[42:43], v42, v[24:25]
	v_lshrrev_b32_e32 v44, 3, v22
	v_sub_u32_e32 v43, 29, v45
	v_and_b32_e32 v42, 7, v42
	v_cmp_gt_u32_e32 vcc, 8, v22
	v_cndmask_b32_e32 v22, v44, v43, vcc
	v_cndmask_b32_e32 v23, v23, v42, vcc
	v_lshlrev_b32_e32 v42, 24, v24
	v_bfrev_b32_e32 v43, 60
	v_lshlrev_b32_e32 v23, 20, v23
	v_and_b32_e32 v42, 0x80000000, v42
	v_lshl_add_u32 v22, v22, 23, v43
	v_or3_b32 v22, v42, v22, v23
	v_lshrrev_b32_e32 v43, 16, v22
.LBB879_353:
	s_or_b64 exec, exec, s[10:11]
.LBB879_354:
	s_or_b64 exec, exec, s[8:9]
.LBB879_355:
	s_or_b64 exec, exec, s[2:3]
	v_lshrrev_b16_e32 v22, 8, v24
	v_cmp_ne_u16_e32 vcc, 0, v22
	v_mov_b32_e32 v44, 0
	v_mov_b32_e32 v23, 0
	s_and_saveexec_b64 s[2:3], vcc
	s_cbranch_execz .LBB879_361
; %bb.356:
	s_movk_i32 s8, 0x80
	v_cmp_ne_u16_e32 vcc, s8, v22
	v_mov_b32_e32 v23, 0xffff8000
	s_and_saveexec_b64 s[8:9], vcc
	s_cbranch_execz .LBB879_360
; %bb.357:
	s_movk_i32 s10, 0x7f
	v_and_b32_e32 v42, 0x7f, v22
	v_cmp_ne_u32_e32 vcc, s10, v42
	v_mov_b32_e32 v23, 0x7f80
	s_and_saveexec_b64 s[10:11], vcc
	s_cbranch_execz .LBB879_359
; %bb.358:
	v_and_b32_e32 v45, 7, v22
	v_ffbh_u32_e32 v23, v45
	v_min_u32_e32 v53, 32, v23
	v_subrev_u32_e32 v23, 28, v53
	v_lshlrev_b64 v[22:23], v23, v[22:23]
	v_lshrrev_b32_e32 v52, 3, v42
	v_sub_u32_e32 v23, 29, v53
	v_and_b32_e32 v22, 7, v22
	v_cmp_gt_u32_e32 vcc, 8, v42
	v_cndmask_b32_e32 v23, v52, v23, vcc
	v_cndmask_b32_e32 v22, v45, v22, vcc
	v_lshlrev_b32_e32 v42, 16, v24
	v_bfrev_b32_e32 v45, 60
	v_lshlrev_b32_e32 v22, 20, v22
	v_and_b32_e32 v42, 0x80000000, v42
	v_lshl_add_u32 v23, v23, 23, v45
	v_or3_b32 v22, v42, v23, v22
	v_lshrrev_b32_e32 v23, 16, v22
.LBB879_359:
	s_or_b64 exec, exec, s[10:11]
.LBB879_360:
	s_or_b64 exec, exec, s[8:9]
.LBB879_361:
	s_or_b64 exec, exec, s[2:3]
	s_movk_i32 s2, 0xff
	v_and_b32_sdwa v42, v24, s2 dst_sel:DWORD dst_unused:UNUSED_PAD src0_sel:WORD_1 src1_sel:DWORD
	v_lshrrev_b32_e32 v22, 16, v24
	v_cmp_ne_u16_e32 vcc, 0, v42
	s_and_saveexec_b64 s[2:3], vcc
	s_cbranch_execz .LBB879_367
; %bb.362:
	s_movk_i32 s8, 0x80
	v_cmp_ne_u16_e32 vcc, s8, v42
	v_mov_b32_e32 v44, 0xffff8000
	s_and_saveexec_b64 s[8:9], vcc
	s_cbranch_execz .LBB879_366
; %bb.363:
	v_bfe_u32 v42, v24, 16, 7
	s_movk_i32 s10, 0x7f
	v_cmp_ne_u32_e32 vcc, s10, v42
	v_mov_b32_e32 v44, 0x7f80
	s_and_saveexec_b64 s[10:11], vcc
	s_cbranch_execz .LBB879_365
; %bb.364:
	v_and_b32_e32 v52, 7, v22
	v_ffbh_u32_e32 v44, v52
	v_min_u32_e32 v54, 32, v44
	v_subrev_u32_e32 v44, 28, v54
	v_lshlrev_b64 v[44:45], v44, v[22:23]
	v_and_b32_e32 v44, 7, v44
	v_cmp_gt_u32_e32 vcc, 8, v42
	v_lshrrev_b32_e32 v53, 3, v42
	v_sub_u32_e32 v22, 29, v54
	v_cndmask_b32_e32 v42, v52, v44, vcc
	v_mov_b32_e32 v44, 24
	v_cndmask_b32_e32 v22, v53, v22, vcc
	v_lshlrev_b32_sdwa v44, v44, v24 dst_sel:DWORD dst_unused:UNUSED_PAD src0_sel:DWORD src1_sel:WORD_1
	v_bfrev_b32_e32 v45, 60
	v_lshlrev_b32_e32 v42, 20, v42
	v_and_b32_e32 v44, 0x80000000, v44
	v_lshl_add_u32 v22, v22, 23, v45
	v_or3_b32 v22, v44, v22, v42
	v_lshrrev_b32_e32 v44, 16, v22
.LBB879_365:
	s_or_b64 exec, exec, s[10:11]
.LBB879_366:
	s_or_b64 exec, exec, s[8:9]
.LBB879_367:
	s_or_b64 exec, exec, s[2:3]
	s_mov_b32 s2, 0xffffff
	v_cmp_lt_u32_e32 vcc, s2, v24
	v_mov_b32_e32 v45, 0
	v_mov_b32_e32 v52, 0
	s_and_saveexec_b64 s[2:3], vcc
	s_cbranch_execz .LBB879_373
; %bb.368:
	v_lshrrev_b32_e32 v22, 24, v24
	s_movk_i32 s8, 0x80
	v_cmp_ne_u32_e32 vcc, s8, v22
	v_mov_b32_e32 v52, 0xffff8000
	s_and_saveexec_b64 s[8:9], vcc
	s_cbranch_execz .LBB879_372
; %bb.369:
	v_bfe_u32 v24, v24, 24, 7
	s_movk_i32 s10, 0x7f
	v_cmp_ne_u32_e32 vcc, s10, v24
	v_mov_b32_e32 v52, 0x7f80
	s_and_saveexec_b64 s[10:11], vcc
	s_cbranch_execz .LBB879_371
; %bb.370:
	v_and_b32_e32 v42, 7, v22
	v_ffbh_u32_e32 v52, v42
	v_min_u32_e32 v55, 32, v52
	v_subrev_u32_e32 v52, 28, v55
	v_lshlrev_b64 v[52:53], v52, v[22:23]
	v_lshrrev_b32_e32 v54, 3, v24
	v_sub_u32_e32 v53, 29, v55
	v_and_b32_e32 v52, 7, v52
	v_cmp_gt_u32_e32 vcc, 8, v24
	v_cndmask_b32_e32 v24, v54, v53, vcc
	v_cndmask_b32_e32 v42, v42, v52, vcc
	v_lshlrev_b32_e32 v22, 24, v22
	v_bfrev_b32_e32 v52, 60
	v_lshlrev_b32_e32 v42, 20, v42
	v_and_b32_e32 v22, 0x80000000, v22
	v_lshl_add_u32 v24, v24, 23, v52
	v_or3_b32 v22, v22, v24, v42
	v_lshrrev_b32_e32 v52, 16, v22
.LBB879_371:
	s_or_b64 exec, exec, s[10:11]
.LBB879_372:
	s_or_b64 exec, exec, s[8:9]
.LBB879_373:
	s_or_b64 exec, exec, s[2:3]
	v_cmp_ne_u16_sdwa s[8:9], v25, v45 src0_sel:BYTE_0 src1_sel:DWORD
	s_and_saveexec_b64 s[2:3], s[8:9]
	s_cbranch_execz .LBB879_379
; %bb.374:
	s_movk_i32 s8, 0x80
	v_cmp_ne_u16_sdwa s[10:11], v25, s8 src0_sel:BYTE_0 src1_sel:DWORD
	v_mov_b32_e32 v45, 0xffff8000
	s_and_saveexec_b64 s[8:9], s[10:11]
	s_cbranch_execz .LBB879_378
; %bb.375:
	s_movk_i32 s10, 0x7f
	v_and_b32_e32 v22, 0x7f, v25
	v_cmp_ne_u32_e32 vcc, s10, v22
	v_mov_b32_e32 v45, 0x7f80
	s_and_saveexec_b64 s[10:11], vcc
	s_cbranch_execz .LBB879_377
; %bb.376:
	v_and_b32_e32 v42, 7, v25
	v_ffbh_u32_e32 v53, v42
	v_min_u32_e32 v53, 32, v53
	v_mov_b32_e32 v24, v25
	v_subrev_u32_e32 v54, 28, v53
	v_lshlrev_b64 v[54:55], v54, v[24:25]
	v_lshrrev_b32_e32 v45, 3, v22
	v_sub_u32_e32 v24, 29, v53
	v_and_b32_e32 v53, 7, v54
	v_cmp_gt_u32_e32 vcc, 8, v22
	v_cndmask_b32_e32 v22, v45, v24, vcc
	v_cndmask_b32_e32 v24, v42, v53, vcc
	v_lshlrev_b32_e32 v42, 24, v25
	v_bfrev_b32_e32 v45, 60
	v_lshlrev_b32_e32 v24, 20, v24
	v_and_b32_e32 v42, 0x80000000, v42
	v_lshl_add_u32 v22, v22, 23, v45
	v_or3_b32 v22, v42, v22, v24
	v_lshrrev_b32_e32 v45, 16, v22
.LBB879_377:
	s_or_b64 exec, exec, s[10:11]
.LBB879_378:
	s_or_b64 exec, exec, s[8:9]
.LBB879_379:
	s_or_b64 exec, exec, s[2:3]
	v_lshrrev_b16_e32 v22, 8, v25
	v_cmp_ne_u16_e32 vcc, 0, v22
	v_mov_b32_e32 v54, 0
	v_mov_b32_e32 v53, 0
	s_and_saveexec_b64 s[2:3], vcc
	s_cbranch_execz .LBB879_385
; %bb.380:
	s_movk_i32 s8, 0x80
	v_cmp_ne_u16_e32 vcc, s8, v22
	v_mov_b32_e32 v53, 0xffff8000
	s_and_saveexec_b64 s[8:9], vcc
	s_cbranch_execz .LBB879_384
; %bb.381:
	s_movk_i32 s10, 0x7f
	v_and_b32_e32 v24, 0x7f, v22
	v_cmp_ne_u32_e32 vcc, s10, v24
	v_mov_b32_e32 v53, 0x7f80
	s_and_saveexec_b64 s[10:11], vcc
	s_cbranch_execz .LBB879_383
; %bb.382:
	v_and_b32_e32 v42, 7, v22
	v_ffbh_u32_e32 v55, v42
	v_min_u32_e32 v55, 32, v55
	v_subrev_u32_e32 v56, 28, v55
	v_lshlrev_b64 v[56:57], v56, v[22:23]
	v_lshrrev_b32_e32 v53, 3, v24
	v_sub_u32_e32 v22, 29, v55
	v_and_b32_e32 v55, 7, v56
	v_cmp_gt_u32_e32 vcc, 8, v24
	v_cndmask_b32_e32 v22, v53, v22, vcc
	v_cndmask_b32_e32 v24, v42, v55, vcc
	v_lshlrev_b32_e32 v42, 16, v25
	v_bfrev_b32_e32 v53, 60
	v_lshlrev_b32_e32 v24, 20, v24
	v_and_b32_e32 v42, 0x80000000, v42
	v_lshl_add_u32 v22, v22, 23, v53
	v_or3_b32 v22, v42, v22, v24
	v_lshrrev_b32_e32 v53, 16, v22
.LBB879_383:
	s_or_b64 exec, exec, s[10:11]
.LBB879_384:
	s_or_b64 exec, exec, s[8:9]
.LBB879_385:
	s_or_b64 exec, exec, s[2:3]
	s_movk_i32 s2, 0xff
	v_and_b32_sdwa v24, v25, s2 dst_sel:DWORD dst_unused:UNUSED_PAD src0_sel:WORD_1 src1_sel:DWORD
	v_lshrrev_b32_e32 v22, 16, v25
	v_cmp_ne_u16_e32 vcc, 0, v24
	s_and_saveexec_b64 s[2:3], vcc
	s_cbranch_execz .LBB879_391
; %bb.386:
	s_movk_i32 s8, 0x80
	v_cmp_ne_u16_e32 vcc, s8, v24
	v_mov_b32_e32 v54, 0xffff8000
	s_and_saveexec_b64 s[8:9], vcc
	s_cbranch_execz .LBB879_390
; %bb.387:
	v_bfe_u32 v24, v25, 16, 7
	s_movk_i32 s10, 0x7f
	v_cmp_ne_u32_e32 vcc, s10, v24
	v_mov_b32_e32 v54, 0x7f80
	s_and_saveexec_b64 s[10:11], vcc
	s_cbranch_execz .LBB879_389
; %bb.388:
	v_and_b32_e32 v42, 7, v22
	v_ffbh_u32_e32 v54, v42
	v_min_u32_e32 v57, 32, v54
	v_subrev_u32_e32 v54, 28, v57
	v_lshlrev_b64 v[54:55], v54, v[22:23]
	v_and_b32_e32 v54, 7, v54
	v_cmp_gt_u32_e32 vcc, 8, v24
	v_lshrrev_b32_e32 v56, 3, v24
	v_sub_u32_e32 v22, 29, v57
	v_cndmask_b32_e32 v24, v42, v54, vcc
	v_mov_b32_e32 v42, 24
	v_cndmask_b32_e32 v22, v56, v22, vcc
	v_lshlrev_b32_sdwa v42, v42, v25 dst_sel:DWORD dst_unused:UNUSED_PAD src0_sel:DWORD src1_sel:WORD_1
	v_bfrev_b32_e32 v54, 60
	v_lshlrev_b32_e32 v24, 20, v24
	v_and_b32_e32 v42, 0x80000000, v42
	v_lshl_add_u32 v22, v22, 23, v54
	v_or3_b32 v22, v42, v22, v24
	v_lshrrev_b32_e32 v54, 16, v22
.LBB879_389:
	s_or_b64 exec, exec, s[10:11]
.LBB879_390:
	s_or_b64 exec, exec, s[8:9]
.LBB879_391:
	s_or_b64 exec, exec, s[2:3]
	s_mov_b32 s2, 0xffffff
	v_and_b32_e32 v42, 63, v0
	v_cmp_lt_u32_e32 vcc, s2, v25
	v_mov_b32_e32 v55, 0
	s_and_saveexec_b64 s[2:3], vcc
	s_cbranch_execz .LBB879_397
; %bb.392:
	v_lshrrev_b32_e32 v22, 24, v25
	s_movk_i32 s8, 0x80
	v_cmp_ne_u32_e32 vcc, s8, v22
	v_mov_b32_e32 v55, 0xffff8000
	s_and_saveexec_b64 s[8:9], vcc
	s_cbranch_execz .LBB879_396
; %bb.393:
	v_bfe_u32 v24, v25, 24, 7
	s_movk_i32 s10, 0x7f
	v_cmp_ne_u32_e32 vcc, s10, v24
	v_mov_b32_e32 v55, 0x7f80
	s_and_saveexec_b64 s[10:11], vcc
	s_cbranch_execz .LBB879_395
; %bb.394:
	v_and_b32_e32 v25, 7, v22
	v_ffbh_u32_e32 v56, v25
	v_min_u32_e32 v58, 32, v56
	v_subrev_u32_e32 v56, 28, v58
	v_lshlrev_b64 v[56:57], v56, v[22:23]
	v_lshrrev_b32_e32 v55, 3, v24
	v_sub_u32_e32 v57, 29, v58
	v_and_b32_e32 v56, 7, v56
	v_cmp_gt_u32_e32 vcc, 8, v24
	v_cndmask_b32_e32 v24, v55, v57, vcc
	v_cndmask_b32_e32 v25, v25, v56, vcc
	v_lshlrev_b32_e32 v22, 24, v22
	v_bfrev_b32_e32 v55, 60
	v_lshlrev_b32_e32 v25, 20, v25
	v_and_b32_e32 v22, 0x80000000, v22
	v_lshl_add_u32 v24, v24, 23, v55
	v_or3_b32 v22, v22, v24, v25
	v_lshrrev_b32_e32 v55, 16, v22
.LBB879_395:
	s_or_b64 exec, exec, s[10:11]
.LBB879_396:
	s_or_b64 exec, exec, s[8:9]
.LBB879_397:
	s_or_b64 exec, exec, s[2:3]
	s_mov_b32 s3, 0x5040100
	v_perm_b32 v57, v52, v44, s3
	v_perm_b32 v56, v23, v43, s3
	s_load_dword s2, s[4:5], 0x1c
	s_mov_b32 s46, 0xff7fffff
	s_waitcnt lgkmcnt(0)
	v_mfma_f32_16x16x16bf16_1k v[26:29], v[56:57], v[18:19], v[26:29]
	v_perm_b32 v19, v55, v54, s3
	v_perm_b32 v18, v53, v45, s3
	v_mov_b32_e32 v22, s2
	v_mul_f32_e32 v44, s12, v22
	v_pk_mul_f32 v[22:23], v[44:45], v[32:33] op_sel_hi:[0,1]
	v_pk_mul_f32 v[32:33], v[44:45], v[38:39] op_sel_hi:[0,1]
	v_and_b32_e32 v38, 0xc0, v0
	v_mfma_f32_16x16x16bf16_1k v[26:29], v[18:19], v[20:21], v[26:29]
	v_add_u32_e32 v38, s18, v38
	v_lshl_or_b32 v38, v1, 2, v38
	v_or_b32_e32 v39, 1, v38
	v_pk_mul_f32 v[24:25], v[44:45], v[30:31] op_sel_hi:[0,1]
	v_pk_mul_f32 v[30:31], v[44:45], v[40:41] op_sel_hi:[0,1]
	v_subrev_u32_e32 v40, s33, v39
	v_pk_mul_f32 v[34:35], v[44:45], v[34:35] op_sel_hi:[0,1]
	s_nop 3
	v_pk_mul_f32 v[20:21], v[44:45], v[26:27] op_sel_hi:[0,1]
	v_add_u32_e32 v27, 1, v40
	v_pk_mul_f32 v[18:19], v[44:45], v[28:29] op_sel_hi:[0,1]
	v_cvt_f32_i32_e32 v27, v27
	v_add_u32_e32 v29, 3, v40
	v_cvt_f32_i32_e32 v29, v29
	v_cvt_f32_i32_e32 v26, v40
	v_pk_mul_f32 v[36:37], v[44:45], v[36:37] op_sel_hi:[0,1]
	v_fmac_f32_e32 v35, v51, v27
	v_add_u32_e32 v27, 16, v40
	v_fmac_f32_e32 v37, v51, v29
	v_cvt_f32_i32_e32 v27, v27
	v_add_u32_e32 v29, 17, v40
	v_fma_f32 v26, v51, v26, v34
	v_cvt_f32_i32_e32 v29, v29
	v_add_u32_e32 v34, 18, v40
	v_cvt_f32_i32_e32 v34, v34
	v_fma_f32 v41, v51, v27, v32
	v_add_u32_e32 v27, 32, v40
	v_fmac_f32_e32 v33, v51, v29
	v_cvt_f32_i32_e32 v27, v27
	v_add_u32_e32 v29, 33, v40
	v_add_u32_e32 v32, 34, v40
	v_fma_f32 v30, v51, v34, v30
	v_cvt_f32_i32_e32 v29, v29
	v_cvt_f32_i32_e32 v32, v32
	v_add_u32_e32 v34, 35, v40
	v_cvt_f32_i32_e32 v34, v34
	v_fma_f32 v24, v51, v27, v24
	v_add_u32_e32 v27, 48, v40
	v_fmac_f32_e32 v25, v51, v29
	v_fma_f32 v22, v51, v32, v22
	v_cvt_f32_i32_e32 v27, v27
	v_add_u32_e32 v29, 49, v40
	v_add_u32_e32 v32, 50, v40
	v_fmac_f32_e32 v23, v51, v34
	v_cvt_f32_i32_e32 v29, v29
	v_cvt_f32_i32_e32 v32, v32
	v_add_u32_e32 v34, 51, v40
	v_add_u32_e32 v28, 2, v40
	v_cvt_f32_i32_e32 v34, v34
	v_cvt_f32_i32_e32 v28, v28
	v_fma_f32 v20, v51, v27, v20
	v_mov_b32_e32 v27, 0xff7fffff
	v_cmp_gt_i32_e64 s[26:27], s33, v38
	v_cmp_gt_i32_e64 s[28:29], s33, v39
	v_fmac_f32_e32 v21, v51, v29
	v_fma_f32 v18, v51, v32, v18
	v_cndmask_b32_e64 v29, v27, v26, s[26:27]
	v_cndmask_b32_e64 v32, v27, v35, s[28:29]
	v_fmac_f32_e32 v19, v51, v34
	v_max3_f32 v29, v29, s46, v32
	v_or_b32_e32 v32, 2, v38
	v_or_b32_e32 v34, 3, v38
	v_fma_f32 v28, v51, v28, v36
	v_cmp_gt_i32_e64 s[30:31], s33, v32
	v_cmp_gt_i32_e64 s[34:35], s33, v34
	v_add_u32_e32 v36, 19, v40
	v_cndmask_b32_e64 v32, v27, v28, s[30:31]
	v_cndmask_b32_e64 v34, v27, v37, s[34:35]
	v_cvt_f32_i32_e32 v36, v36
	v_max3_f32 v29, v29, v32, v34
	v_or_b32_e32 v32, 16, v38
	v_or_b32_e32 v34, 17, v38
	v_cmp_gt_i32_e64 s[36:37], s33, v32
	v_cmp_gt_i32_e64 s[38:39], s33, v34
	v_cndmask_b32_e64 v32, v27, v41, s[36:37]
	v_cndmask_b32_e64 v34, v27, v33, s[38:39]
	v_max3_f32 v29, v29, v32, v34
	v_or_b32_e32 v32, 18, v38
	v_or_b32_e32 v34, 19, v38
	v_fmac_f32_e32 v31, v51, v36
	v_cmp_gt_i32_e64 s[20:21], s33, v32
	v_cmp_gt_i32_e64 s[22:23], s33, v34
	v_cndmask_b32_e64 v32, v27, v30, s[20:21]
	v_cndmask_b32_e64 v34, v27, v31, s[22:23]
	v_max3_f32 v29, v29, v32, v34
	v_or_b32_e32 v32, 32, v38
	v_or_b32_e32 v34, 33, v38
	v_cmp_gt_i32_e64 s[16:17], s33, v32
	v_cmp_gt_i32_e64 s[18:19], s33, v34
	v_cndmask_b32_e64 v32, v27, v24, s[16:17]
	v_cndmask_b32_e64 v34, v27, v25, s[18:19]
	v_max3_f32 v29, v29, v32, v34
	v_or_b32_e32 v32, 34, v38
	v_or_b32_e32 v34, 35, v38
	;; [unrolled: 7-line block ×4, first 2 shown]
	v_cmp_gt_i32_e32 vcc, s33, v32
	v_cmp_gt_i32_e64 s[2:3], s33, v34
	v_cndmask_b32_e32 v32, v27, v18, vcc
	v_cndmask_b32_e64 v27, v27, v19, s[2:3]
	v_max3_f32 v27, v29, v32, v27
	v_mbcnt_lo_u32_b32 v29, -1, 0
	v_mbcnt_hi_u32_b32 v29, -1, v29
	v_and_b32_e32 v32, 64, v29
	v_add_u32_e32 v32, 64, v32
	v_xor_b32_e32 v34, 32, v29
	v_cmp_lt_i32_e64 s[40:41], v34, v32
	v_cndmask_b32_e64 v34, v29, v34, s[40:41]
	v_lshlrev_b32_e32 v36, 2, v34
	ds_bpermute_b32 v34, v36, v27
	s_barrier
	s_waitcnt lgkmcnt(0)
	v_max_f32_e32 v34, v34, v34
	v_max_f32_e32 v27, v27, v34
	v_xor_b32_e32 v34, 16, v29
	v_cmp_lt_i32_e64 s[40:41], v34, v32
	v_cndmask_b32_e64 v29, v29, v34, s[40:41]
	v_lshlrev_b32_e32 v38, 2, v29
	ds_bpermute_b32 v29, v38, v27
	s_waitcnt lgkmcnt(0)
	v_max_f32_e32 v29, v29, v29
	v_max_f32_e32 v32, v27, v29
	v_sub_f32_e32 v26, v26, v32
	v_mul_f32_e32 v26, 0x3fb8aa3b, v26
	v_sub_f32_e32 v27, v35, v32
	v_exp_f32_e32 v26, v26
	v_mul_f32_e32 v27, 0x3fb8aa3b, v27
	v_sub_f32_e32 v28, v28, v32
	v_exp_f32_e32 v27, v27
	v_mul_f32_e32 v28, 0x3fb8aa3b, v28
	v_exp_f32_e32 v28, v28
	v_cndmask_b32_e64 v26, 0, v26, s[26:27]
	v_sub_f32_e32 v34, v37, v32
	v_add_f32_e32 v29, 0, v26
	v_cndmask_b32_e64 v27, 0, v27, s[28:29]
	v_mul_f32_e32 v34, 0x3fb8aa3b, v34
	v_exp_f32_e32 v35, v34
	v_add_f32_e32 v29, v29, v27
	v_cndmask_b32_e64 v34, 0, v28, s[30:31]
	v_add_f32_e32 v28, v29, v34
	v_sub_f32_e32 v29, v41, v32
	v_mul_f32_e32 v29, 0x3fb8aa3b, v29
	v_sub_f32_e32 v33, v33, v32
	v_exp_f32_e32 v29, v29
	v_mul_f32_e32 v33, 0x3fb8aa3b, v33
	v_sub_f32_e32 v30, v30, v32
	v_exp_f32_e32 v33, v33
	;; [unrolled: 3-line block ×3, first 2 shown]
	v_mul_f32_e32 v31, 0x3fb8aa3b, v31
	v_sub_f32_e32 v24, v24, v32
	v_cndmask_b32_e64 v35, 0, v35, s[34:35]
	v_exp_f32_e32 v31, v31
	v_mul_f32_e32 v24, 0x3fb8aa3b, v24
	v_sub_f32_e32 v25, v25, v32
	v_add_f32_e32 v37, v28, v35
	v_cndmask_b32_e64 v28, 0, v29, s[36:37]
	v_exp_f32_e32 v24, v24
	v_mul_f32_e32 v25, 0x3fb8aa3b, v25
	v_sub_f32_e32 v22, v22, v32
	v_add_f32_e32 v37, v37, v28
	;; [unrolled: 5-line block ×7, first 2 shown]
	v_cndmask_b32_e64 v22, 0, v22, s[12:13]
	v_exp_f32_e32 v18, v18
	v_mul_f32_e32 v19, 0x3fb8aa3b, v19
	v_add_f32_e32 v33, v33, v22
	v_cndmask_b32_e64 v23, 0, v23, s[14:15]
	v_exp_f32_e32 v19, v19
	v_add_f32_e32 v33, v33, v23
	v_cndmask_b32_e64 v20, 0, v20, s[8:9]
	v_add_f32_e32 v33, v33, v20
	v_cndmask_b32_e64 v21, 0, v21, s[10:11]
	v_add_f32_e32 v33, v33, v21
	v_cndmask_b32_e32 v18, 0, v18, vcc
	v_add_f32_e32 v33, v33, v18
	v_cndmask_b32_e64 v19, 0, v19, s[2:3]
	v_add_f32_e32 v33, v33, v19
	ds_bpermute_b32 v36, v36, v33
	v_cmp_gt_u32_e32 vcc, 16, v42
	s_waitcnt lgkmcnt(0)
	v_add_f32_e32 v36, v33, v36
	ds_bpermute_b32 v37, v38, v36
	v_lshlrev_b32_e32 v33, 2, v50
	s_and_saveexec_b64 s[2:3], vcc
	s_cbranch_execz .LBB879_399
; %bb.398:
	s_waitcnt lgkmcnt(0)
	v_add_f32_e32 v36, v36, v37
	v_lshl_or_b32 v37, v49, 6, v33
	ds_write2st64_b32 v37, v32, v36 offset1:1
.LBB879_399:
	s_or_b64 exec, exec, s[2:3]
	s_waitcnt lgkmcnt(0)
	s_barrier
	ds_read2_b32 v[36:37], v33 offset1:16
	ds_read2_b32 v[38:39], v33 offset0:32 offset1:48
	ds_read2_b32 v[40:41], v33 offset0:64 offset1:80
	s_lshl_b32 s12, s45, 1
	s_waitcnt lgkmcnt(2)
	v_max3_f32 v32, v36, s46, v37
	s_waitcnt lgkmcnt(1)
	v_max3_f32 v32, v32, v38, v39
	v_sub_f32_e32 v36, v36, v32
	v_mul_f32_e32 v36, 0x3fb8aa3b, v36
	v_exp_f32_e32 v43, v36
	v_sub_f32_e32 v36, v37, v32
	v_mul_f32_e32 v36, 0x3fb8aa3b, v36
	v_exp_f32_e32 v44, v36
	;; [unrolled: 3-line block ×3, first 2 shown]
	ds_read2_b32 v[36:37], v33 offset0:96 offset1:112
	v_sub_f32_e32 v33, v39, v32
	v_mul_f32_e32 v33, 0x3fb8aa3b, v33
	v_exp_f32_e32 v39, v33
	s_waitcnt lgkmcnt(1)
	v_fma_f32 v33, v43, v40, 0
	v_fmac_f32_e32 v33, v44, v41
	s_waitcnt lgkmcnt(0)
	v_fmac_f32_e32 v33, v38, v36
	v_fmac_f32_e32 v33, v39, v37
	v_add_f32_e32 v36, 0x358637bd, v33
	v_div_scale_f32 v37, s[2:3], v36, v36, 1.0
	v_rcp_f32_e32 v40, v37
	s_movk_i32 s2, 0x7fff
	s_mov_b32 s3, 0x7060302
	v_fma_f32 v41, -v37, v40, 1.0
	v_fmac_f32_e32 v40, v41, v40
	v_div_scale_f32 v41, vcc, 1.0, v36, 1.0
	v_mul_f32_e32 v45, v41, v40
	v_fma_f32 v50, -v37, v45, v41
	v_fmac_f32_e32 v45, v50, v40
	v_fma_f32 v37, -v37, v45, v41
	v_div_fmas_f32 v37, v37, v40, v45
	v_cmp_eq_u32_e32 vcc, 1, v49
	v_div_fixup_f32 v36, v37, v36, 1.0
	v_cndmask_b32_e32 v37, v43, v44, vcc
	v_cmp_eq_u32_e32 vcc, 2, v49
	v_cndmask_b32_e32 v37, v37, v38, vcc
	v_cmp_eq_u32_e32 vcc, 3, v49
	v_cndmask_b32_e32 v37, v37, v39, vcc
	v_mul_f32_e32 v36, v37, v36
	v_pk_mul_f32 v[26:27], v[36:37], v[26:27] op_sel_hi:[0,1]
	v_pk_mul_f32 v[34:35], v[36:37], v[34:35] op_sel_hi:[0,1]
	v_bfe_u32 v37, v27, 16, 1
	v_bfe_u32 v38, v26, 16, 1
	v_add3_u32 v26, v26, v38, s2
	v_add3_u32 v27, v27, v37, s2
	v_perm_b32 v38, v27, v26, s3
	v_bfe_u32 v26, v35, 16, 1
	v_bfe_u32 v27, v34, 16, 1
	v_add3_u32 v27, v34, v27, s2
	v_add3_u32 v26, v35, v26, s2
	v_perm_b32 v39, v26, v27, s3
	v_lshlrev_b32_e32 v26, 3, v1
	v_lshlrev_b32_e32 v27, 11, v49
	v_pk_mul_f32 v[28:29], v[36:37], v[28:29] op_sel_hi:[0,1]
	v_or3_b32 v26, v27, v48, v26
	v_bfe_u32 v27, v29, 16, 1
	v_bfe_u32 v34, v28, 16, 1
	v_pk_mul_f32 v[30:31], v[36:37], v[30:31] op_sel_hi:[0,1]
	v_add3_u32 v28, v28, v34, s2
	v_add3_u32 v27, v29, v27, s2
	v_perm_b32 v28, v27, v28, s3
	v_bfe_u32 v27, v31, 16, 1
	v_bfe_u32 v29, v30, 16, 1
	v_add3_u32 v29, v30, v29, s2
	v_add3_u32 v27, v31, v27, s2
	v_perm_b32 v29, v27, v29, s3
	v_pk_mul_f32 v[24:25], v[36:37], v[24:25] op_sel_hi:[0,1]
	s_barrier
	ds_write2st64_b64 v26, v[38:39], v[28:29] offset1:1
	v_bfe_u32 v27, v25, 16, 1
	v_bfe_u32 v28, v24, 16, 1
	v_pk_mul_f32 v[22:23], v[36:37], v[22:23] op_sel_hi:[0,1]
	v_add3_u32 v24, v24, v28, s2
	v_add3_u32 v25, v25, v27, s2
	v_perm_b32 v24, v25, v24, s3
	v_bfe_u32 v25, v23, 16, 1
	v_bfe_u32 v27, v22, 16, 1
	v_add3_u32 v22, v22, v27, s2
	v_add3_u32 v23, v23, v25, s2
	v_pk_mul_f32 v[20:21], v[36:37], v[20:21] op_sel_hi:[0,1]
	v_perm_b32 v25, v23, v22, s3
	v_bfe_u32 v22, v21, 16, 1
	v_bfe_u32 v23, v20, 16, 1
	v_pk_mul_f32 v[18:19], v[36:37], v[18:19] op_sel_hi:[0,1]
	v_add3_u32 v20, v20, v23, s2
	v_add3_u32 v21, v21, v22, s2
	v_perm_b32 v20, v21, v20, s3
	v_bfe_u32 v21, v19, 16, 1
	v_bfe_u32 v22, v18, 16, 1
	v_add3_u32 v18, v18, v22, s2
	v_add3_u32 v19, v19, v21, s2
	v_perm_b32 v21, v19, v18, s3
	v_cmp_gt_u32_e32 vcc, 2, v0
	ds_write2st64_b64 v26, v[24:25], v[20:21] offset0:2 offset1:3
	s_and_saveexec_b64 s[2:3], vcc
	s_cbranch_execz .LBB879_401
; %bb.400:
	v_or_b32_e32 v18, s25, v0
	v_mov_b32_e32 v19, 0
	v_mov_b32_e32 v20, s12
	v_mad_u64_u32 v[20:21], s[14:15], s6, v20, v[18:19]
	v_mov_b32_e32 v18, s24
	s_load_dwordx4 s[8:11], s[4:5], 0x58
	s_mul_i32 s7, s7, s12
	v_mad_u64_u32 v[18:19], s[14:15], v20, s44, v[18:19]
	v_add_u32_e32 v21, s7, v21
	v_mov_b32_e32 v20, v19
	v_mad_u64_u32 v[20:21], s[14:15], v21, s44, v[20:21]
	v_mov_b32_e32 v19, v20
	v_lshlrev_b64 v[18:19], 2, v[18:19]
	s_waitcnt lgkmcnt(0)
	v_mov_b32_e32 v21, s11
	v_add_co_u32_e32 v20, vcc, s10, v18
	v_addc_co_u32_e32 v21, vcc, v21, v19, vcc
	global_store_dword v[20:21], v32, off
	v_mov_b32_e32 v20, s9
	v_add_co_u32_e32 v18, vcc, s8, v18
	v_addc_co_u32_e32 v19, vcc, v20, v19, vcc
	global_store_dword v[18:19], v33, off
.LBB879_401:
	s_or_b64 exec, exec, s[2:3]
	v_mov_b32_e32 v19, 0
	s_waitcnt vmcnt(3)
	v_cmp_ne_u16_sdwa s[8:9], v14, v19 src0_sel:BYTE_0 src1_sel:DWORD
	v_mov_b32_e32 v20, 0
	s_waitcnt lgkmcnt(0)
	s_barrier
	s_and_saveexec_b64 s[2:3], s[8:9]
	s_cbranch_execz .LBB879_407
; %bb.402:
	s_movk_i32 s7, 0x80
	v_cmp_ne_u16_sdwa s[10:11], v14, s7 src0_sel:BYTE_0 src1_sel:DWORD
	v_mov_b32_e32 v20, 0xffff8000
	s_and_saveexec_b64 s[8:9], s[10:11]
	s_cbranch_execz .LBB879_406
; %bb.403:
	s_movk_i32 s7, 0x7f
	v_and_b32_e32 v18, 0x7f, v14
	v_cmp_ne_u32_e32 vcc, s7, v18
	v_mov_b32_e32 v20, 0x7f80
	s_and_saveexec_b64 s[10:11], vcc
	s_cbranch_execz .LBB879_405
; %bb.404:
	v_and_b32_e32 v22, 7, v14
	v_ffbh_u32_e32 v20, v22
	v_min_u32_e32 v24, 32, v20
	v_subrev_u32_e32 v20, 28, v24
	v_lshlrev_b64 v[20:21], v20, v[14:15]
	v_lshrrev_b32_e32 v23, 3, v18
	v_sub_u32_e32 v21, 29, v24
	v_and_b32_e32 v20, 7, v20
	v_cmp_gt_u32_e32 vcc, 8, v18
	v_cndmask_b32_e32 v18, v23, v21, vcc
	v_cndmask_b32_e32 v20, v22, v20, vcc
	v_lshlrev_b32_e32 v21, 24, v14
	v_bfrev_b32_e32 v22, 60
	v_lshlrev_b32_e32 v20, 20, v20
	v_and_b32_e32 v21, 0x80000000, v21
	v_lshl_add_u32 v18, v18, 23, v22
	v_or3_b32 v18, v21, v18, v20
	v_lshrrev_b32_e32 v20, 16, v18
.LBB879_405:
	s_or_b64 exec, exec, s[10:11]
.LBB879_406:
	s_or_b64 exec, exec, s[8:9]
.LBB879_407:
	s_or_b64 exec, exec, s[2:3]
	v_lshrrev_b16_e32 v18, 8, v14
	v_cmp_ne_u16_e32 vcc, 0, v18
	s_and_saveexec_b64 s[2:3], vcc
	s_cbranch_execz .LBB879_413
; %bb.408:
	s_movk_i32 s7, 0x80
	v_cmp_ne_u16_e32 vcc, s7, v18
	v_mov_b32_e32 v19, 0xffff8000
	s_and_saveexec_b64 s[8:9], vcc
	s_cbranch_execz .LBB879_412
; %bb.409:
	s_movk_i32 s7, 0x7f
	v_and_b32_e32 v21, 0x7f, v18
	v_cmp_ne_u32_e32 vcc, s7, v21
	v_mov_b32_e32 v19, 0x7f80
	s_and_saveexec_b64 s[10:11], vcc
	s_cbranch_execz .LBB879_411
; %bb.410:
	v_and_b32_e32 v22, 7, v18
	v_ffbh_u32_e32 v19, v22
	v_min_u32_e32 v24, 32, v19
	v_subrev_u32_e32 v19, 28, v24
	v_lshlrev_b64 v[18:19], v19, v[18:19]
	v_lshrrev_b32_e32 v23, 3, v21
	v_sub_u32_e32 v19, 29, v24
	v_and_b32_e32 v18, 7, v18
	v_cmp_gt_u32_e32 vcc, 8, v21
	v_cndmask_b32_e32 v19, v23, v19, vcc
	v_cndmask_b32_e32 v18, v22, v18, vcc
	v_lshlrev_b32_e32 v21, 16, v14
	v_bfrev_b32_e32 v22, 60
	v_lshlrev_b32_e32 v18, 20, v18
	v_and_b32_e32 v21, 0x80000000, v21
	v_lshl_add_u32 v19, v19, 23, v22
	v_or3_b32 v18, v21, v19, v18
	v_lshrrev_b32_e32 v19, 16, v18
.LBB879_411:
	s_or_b64 exec, exec, s[10:11]
.LBB879_412:
	s_or_b64 exec, exec, s[8:9]
.LBB879_413:
	s_or_b64 exec, exec, s[2:3]
	s_movk_i32 s2, 0xff
	v_and_b32_sdwa v23, v14, s2 dst_sel:DWORD dst_unused:UNUSED_PAD src0_sel:WORD_1 src1_sel:DWORD
	v_lshrrev_b32_e32 v18, 16, v14
	v_cmp_ne_u16_e32 vcc, 0, v23
	v_mov_b32_e32 v21, 0
	v_mov_b32_e32 v22, 0
	s_and_saveexec_b64 s[2:3], vcc
	s_cbranch_execz .LBB879_419
; %bb.414:
	s_movk_i32 s7, 0x80
	v_cmp_ne_u16_e32 vcc, s7, v23
	v_mov_b32_e32 v22, 0xffff8000
	s_and_saveexec_b64 s[8:9], vcc
	s_cbranch_execz .LBB879_418
; %bb.415:
	v_bfe_u32 v23, v14, 16, 7
	s_movk_i32 s7, 0x7f
	v_cmp_ne_u32_e32 vcc, s7, v23
	v_mov_b32_e32 v22, 0x7f80
	s_and_saveexec_b64 s[10:11], vcc
	s_cbranch_execz .LBB879_417
; %bb.416:
	v_and_b32_e32 v22, 7, v18
	v_ffbh_u32_e32 v24, v22
	v_min_u32_e32 v28, 32, v24
	v_subrev_u32_e32 v24, 28, v28
	v_lshlrev_b64 v[24:25], v24, v[18:19]
	v_lshrrev_b32_e32 v27, 3, v23
	v_sub_u32_e32 v18, 29, v28
	v_and_b32_e32 v24, 7, v24
	v_cmp_gt_u32_e32 vcc, 8, v23
	v_mov_b32_e32 v23, 24
	v_cndmask_b32_e32 v18, v27, v18, vcc
	v_cndmask_b32_e32 v22, v22, v24, vcc
	v_lshlrev_b32_sdwa v23, v23, v14 dst_sel:DWORD dst_unused:UNUSED_PAD src0_sel:DWORD src1_sel:WORD_1
	v_bfrev_b32_e32 v24, 60
	v_lshlrev_b32_e32 v22, 20, v22
	v_and_b32_e32 v23, 0x80000000, v23
	v_lshl_add_u32 v18, v18, 23, v24
	v_or3_b32 v18, v23, v18, v22
	v_lshrrev_b32_e32 v22, 16, v18
.LBB879_417:
	s_or_b64 exec, exec, s[10:11]
.LBB879_418:
	s_or_b64 exec, exec, s[8:9]
.LBB879_419:
	s_or_b64 exec, exec, s[2:3]
	s_mov_b32 s2, 0xffffff
	v_cmp_lt_u32_e32 vcc, s2, v14
	s_and_saveexec_b64 s[2:3], vcc
	s_cbranch_execz .LBB879_425
; %bb.420:
	v_lshrrev_b32_e32 v18, 24, v14
	s_movk_i32 s7, 0x80
	v_cmp_ne_u32_e32 vcc, s7, v18
	v_mov_b32_e32 v21, 0xffff8000
	s_and_saveexec_b64 s[8:9], vcc
	s_cbranch_execz .LBB879_424
; %bb.421:
	v_bfe_u32 v14, v14, 24, 7
	s_movk_i32 s7, 0x7f
	v_cmp_ne_u32_e32 vcc, s7, v14
	v_mov_b32_e32 v21, 0x7f80
	s_and_saveexec_b64 s[10:11], vcc
	s_cbranch_execz .LBB879_423
; %bb.422:
	v_and_b32_e32 v21, 7, v18
	v_ffbh_u32_e32 v24, v21
	v_min_u32_e32 v27, 32, v24
	v_subrev_u32_e32 v24, 28, v27
	v_lshlrev_b64 v[24:25], v24, v[18:19]
	v_lshrrev_b32_e32 v23, 3, v14
	v_sub_u32_e32 v25, 29, v27
	v_and_b32_e32 v24, 7, v24
	v_cmp_gt_u32_e32 vcc, 8, v14
	v_cndmask_b32_e32 v14, v23, v25, vcc
	v_cndmask_b32_e32 v21, v21, v24, vcc
	v_lshlrev_b32_e32 v18, 24, v18
	v_bfrev_b32_e32 v23, 60
	v_lshlrev_b32_e32 v21, 20, v21
	v_and_b32_e32 v18, 0x80000000, v18
	v_lshl_add_u32 v14, v14, 23, v23
	v_or3_b32 v14, v18, v14, v21
	v_lshrrev_b32_e32 v21, 16, v14
.LBB879_423:
	s_or_b64 exec, exec, s[10:11]
.LBB879_424:
	s_or_b64 exec, exec, s[8:9]
.LBB879_425:
	s_or_b64 exec, exec, s[2:3]
	v_mov_b32_e32 v18, 0
	v_cmp_ne_u16_sdwa s[8:9], v15, v18 src0_sel:BYTE_0 src1_sel:DWORD
	v_mov_b32_e32 v23, 0
	s_and_saveexec_b64 s[2:3], s[8:9]
	s_cbranch_execz .LBB879_431
; %bb.426:
	s_movk_i32 s7, 0x80
	v_cmp_ne_u16_sdwa s[10:11], v15, s7 src0_sel:BYTE_0 src1_sel:DWORD
	v_mov_b32_e32 v23, 0xffff8000
	s_and_saveexec_b64 s[8:9], s[10:11]
	s_cbranch_execz .LBB879_430
; %bb.427:
	s_movk_i32 s7, 0x7f
	v_and_b32_e32 v14, 0x7f, v15
	v_cmp_ne_u32_e32 vcc, s7, v14
	v_mov_b32_e32 v23, 0x7f80
	s_and_saveexec_b64 s[10:11], vcc
	s_cbranch_execz .LBB879_429
; %bb.428:
	v_and_b32_e32 v23, 7, v15
	v_ffbh_u32_e32 v25, v23
	v_min_u32_e32 v28, 32, v25
	v_mov_b32_e32 v24, v15
	v_subrev_u32_e32 v25, 28, v28
	v_lshlrev_b64 v[24:25], v25, v[24:25]
	v_lshrrev_b32_e32 v27, 3, v14
	v_sub_u32_e32 v25, 29, v28
	v_and_b32_e32 v24, 7, v24
	v_cmp_gt_u32_e32 vcc, 8, v14
	v_cndmask_b32_e32 v14, v27, v25, vcc
	v_cndmask_b32_e32 v23, v23, v24, vcc
	v_lshlrev_b32_e32 v24, 24, v15
	v_bfrev_b32_e32 v25, 60
	v_lshlrev_b32_e32 v23, 20, v23
	v_and_b32_e32 v24, 0x80000000, v24
	v_lshl_add_u32 v14, v14, 23, v25
	v_or3_b32 v14, v24, v14, v23
	v_lshrrev_b32_e32 v23, 16, v14
.LBB879_429:
	s_or_b64 exec, exec, s[10:11]
.LBB879_430:
	s_or_b64 exec, exec, s[8:9]
.LBB879_431:
	s_or_b64 exec, exec, s[2:3]
	v_lshrrev_b16_e32 v14, 8, v15
	v_cmp_ne_u16_e32 vcc, 0, v14
	s_and_saveexec_b64 s[2:3], vcc
	s_cbranch_execz .LBB879_437
; %bb.432:
	s_movk_i32 s7, 0x80
	v_cmp_ne_u16_e32 vcc, s7, v14
	v_mov_b32_e32 v18, 0xffff8000
	s_and_saveexec_b64 s[8:9], vcc
	s_cbranch_execz .LBB879_436
; %bb.433:
	s_movk_i32 s7, 0x7f
	v_and_b32_e32 v24, 0x7f, v14
	v_cmp_ne_u32_e32 vcc, s7, v24
	v_mov_b32_e32 v18, 0x7f80
	s_and_saveexec_b64 s[10:11], vcc
	s_cbranch_execz .LBB879_435
; %bb.434:
	v_and_b32_e32 v18, 7, v14
	v_ffbh_u32_e32 v27, v18
	v_min_u32_e32 v27, 32, v27
	v_subrev_u32_e32 v28, 28, v27
	v_lshlrev_b64 v[28:29], v28, v[14:15]
	v_lshrrev_b32_e32 v25, 3, v24
	v_sub_u32_e32 v14, 29, v27
	v_and_b32_e32 v27, 7, v28
	v_cmp_gt_u32_e32 vcc, 8, v24
	v_cndmask_b32_e32 v14, v25, v14, vcc
	v_cndmask_b32_e32 v18, v18, v27, vcc
	v_lshlrev_b32_e32 v24, 16, v15
	v_bfrev_b32_e32 v25, 60
	v_lshlrev_b32_e32 v18, 20, v18
	v_and_b32_e32 v24, 0x80000000, v24
	v_lshl_add_u32 v14, v14, 23, v25
	v_or3_b32 v14, v24, v14, v18
	v_lshrrev_b32_e32 v18, 16, v14
.LBB879_435:
	s_or_b64 exec, exec, s[10:11]
.LBB879_436:
	s_or_b64 exec, exec, s[8:9]
.LBB879_437:
	s_or_b64 exec, exec, s[2:3]
	s_movk_i32 s2, 0xff
	v_and_b32_sdwa v27, v15, s2 dst_sel:DWORD dst_unused:UNUSED_PAD src0_sel:WORD_1 src1_sel:DWORD
	v_lshrrev_b32_e32 v14, 16, v15
	v_cmp_ne_u16_e32 vcc, 0, v27
	v_mov_b32_e32 v24, 0
	v_mov_b32_e32 v25, 0
	s_and_saveexec_b64 s[2:3], vcc
	s_cbranch_execz .LBB879_443
; %bb.438:
	s_movk_i32 s7, 0x80
	v_cmp_ne_u16_e32 vcc, s7, v27
	v_mov_b32_e32 v25, 0xffff8000
	s_and_saveexec_b64 s[8:9], vcc
	s_cbranch_execz .LBB879_442
; %bb.439:
	v_bfe_u32 v27, v15, 16, 7
	s_movk_i32 s7, 0x7f
	v_cmp_ne_u32_e32 vcc, s7, v27
	v_mov_b32_e32 v25, 0x7f80
	s_and_saveexec_b64 s[10:11], vcc
	s_cbranch_execz .LBB879_441
; %bb.440:
	v_and_b32_e32 v25, 7, v14
	v_ffbh_u32_e32 v28, v25
	v_min_u32_e32 v31, 32, v28
	v_subrev_u32_e32 v28, 28, v31
	v_lshlrev_b64 v[28:29], v28, v[14:15]
	v_lshrrev_b32_e32 v30, 3, v27
	v_sub_u32_e32 v14, 29, v31
	v_and_b32_e32 v28, 7, v28
	v_cmp_gt_u32_e32 vcc, 8, v27
	v_mov_b32_e32 v27, 24
	v_cndmask_b32_e32 v14, v30, v14, vcc
	v_cndmask_b32_e32 v25, v25, v28, vcc
	v_lshlrev_b32_sdwa v27, v27, v15 dst_sel:DWORD dst_unused:UNUSED_PAD src0_sel:DWORD src1_sel:WORD_1
	v_bfrev_b32_e32 v28, 60
	v_lshlrev_b32_e32 v25, 20, v25
	v_and_b32_e32 v27, 0x80000000, v27
	v_lshl_add_u32 v14, v14, 23, v28
	v_or3_b32 v14, v27, v14, v25
	v_lshrrev_b32_e32 v25, 16, v14
.LBB879_441:
	s_or_b64 exec, exec, s[10:11]
.LBB879_442:
	s_or_b64 exec, exec, s[8:9]
.LBB879_443:
	s_or_b64 exec, exec, s[2:3]
	s_mov_b32 s2, 0xffffff
	v_cmp_lt_u32_e32 vcc, s2, v15
	s_and_saveexec_b64 s[2:3], vcc
	s_cbranch_execz .LBB879_449
; %bb.444:
	v_lshrrev_b32_e32 v14, 24, v15
	s_movk_i32 s7, 0x80
	v_cmp_ne_u32_e32 vcc, s7, v14
	v_mov_b32_e32 v24, 0xffff8000
	s_and_saveexec_b64 s[8:9], vcc
	s_cbranch_execz .LBB879_448
; %bb.445:
	v_bfe_u32 v15, v15, 24, 7
	s_movk_i32 s7, 0x7f
	v_cmp_ne_u32_e32 vcc, s7, v15
	v_mov_b32_e32 v24, 0x7f80
	s_and_saveexec_b64 s[10:11], vcc
	s_cbranch_execz .LBB879_447
; %bb.446:
	v_and_b32_e32 v24, 7, v14
	v_ffbh_u32_e32 v28, v24
	v_min_u32_e32 v30, 32, v28
	v_subrev_u32_e32 v28, 28, v30
	v_lshlrev_b64 v[28:29], v28, v[14:15]
	v_lshrrev_b32_e32 v27, 3, v15
	v_sub_u32_e32 v29, 29, v30
	v_and_b32_e32 v28, 7, v28
	v_cmp_gt_u32_e32 vcc, 8, v15
	v_cndmask_b32_e32 v15, v27, v29, vcc
	v_cndmask_b32_e32 v24, v24, v28, vcc
	v_lshlrev_b32_e32 v14, 24, v14
	v_bfrev_b32_e32 v27, 60
	v_lshlrev_b32_e32 v24, 20, v24
	v_and_b32_e32 v14, 0x80000000, v14
	v_lshl_add_u32 v15, v15, 23, v27
	v_or3_b32 v14, v14, v15, v24
	v_lshrrev_b32_e32 v24, 16, v14
.LBB879_447:
	s_or_b64 exec, exec, s[10:11]
.LBB879_448:
	s_or_b64 exec, exec, s[8:9]
.LBB879_449:
	s_or_b64 exec, exec, s[2:3]
	s_mov_b32 s2, 0x5040100
	v_perm_b32 v15, v21, v22, s2
	v_lshl_or_b32 v22, v1, 9, v48
	v_perm_b32 v14, v19, v20, s2
	ds_read_b128 v[28:31], v22
	v_perm_b32 v19, v24, v25, s2
	v_perm_b32 v18, v18, v23, s2
	s_waitcnt lgkmcnt(0)
	v_mfma_f32_16x16x16bf16_1k v[32:35], v[14:15], v[28:29], 0
	v_mov_b32_e32 v15, 0
	v_cmp_ne_u16_sdwa s[8:9], v16, v15 src0_sel:BYTE_0 src1_sel:DWORD
	v_mov_b32_e32 v23, 0
	v_mfma_f32_16x16x16bf16_1k v[18:21], v[18:19], v[30:31], v[32:35]
	s_and_saveexec_b64 s[2:3], s[8:9]
	s_cbranch_execz .LBB879_455
; %bb.450:
	s_movk_i32 s7, 0x80
	v_cmp_ne_u16_sdwa s[10:11], v16, s7 src0_sel:BYTE_0 src1_sel:DWORD
	v_mov_b32_e32 v23, 0xffff8000
	s_and_saveexec_b64 s[8:9], s[10:11]
	s_cbranch_execz .LBB879_454
; %bb.451:
	s_movk_i32 s7, 0x7f
	v_and_b32_e32 v14, 0x7f, v16
	v_cmp_ne_u32_e32 vcc, s7, v14
	v_mov_b32_e32 v23, 0x7f80
	s_and_saveexec_b64 s[10:11], vcc
	s_cbranch_execz .LBB879_453
; %bb.452:
	v_and_b32_e32 v23, 7, v16
	v_ffbh_u32_e32 v24, v23
	v_min_u32_e32 v28, 32, v24
	v_subrev_u32_e32 v24, 28, v28
	v_lshlrev_b64 v[24:25], v24, v[16:17]
	v_lshrrev_b32_e32 v27, 3, v14
	v_sub_u32_e32 v25, 29, v28
	v_and_b32_e32 v24, 7, v24
	v_cmp_gt_u32_e32 vcc, 8, v14
	v_cndmask_b32_e32 v14, v27, v25, vcc
	v_cndmask_b32_e32 v23, v23, v24, vcc
	v_lshlrev_b32_e32 v24, 24, v16
	v_bfrev_b32_e32 v25, 60
	v_lshlrev_b32_e32 v23, 20, v23
	v_and_b32_e32 v24, 0x80000000, v24
	v_lshl_add_u32 v14, v14, 23, v25
	v_or3_b32 v14, v24, v14, v23
	v_lshrrev_b32_e32 v23, 16, v14
.LBB879_453:
	s_or_b64 exec, exec, s[10:11]
.LBB879_454:
	s_or_b64 exec, exec, s[8:9]
.LBB879_455:
	s_or_b64 exec, exec, s[2:3]
	v_lshrrev_b16_e32 v14, 8, v16
	v_cmp_ne_u16_e32 vcc, 0, v14
	s_and_saveexec_b64 s[2:3], vcc
	s_cbranch_execz .LBB879_461
; %bb.456:
	s_movk_i32 s7, 0x80
	v_cmp_ne_u16_e32 vcc, s7, v14
	v_mov_b32_e32 v15, 0xffff8000
	s_and_saveexec_b64 s[8:9], vcc
	s_cbranch_execz .LBB879_460
; %bb.457:
	s_movk_i32 s7, 0x7f
	v_and_b32_e32 v24, 0x7f, v14
	v_cmp_ne_u32_e32 vcc, s7, v24
	v_mov_b32_e32 v15, 0x7f80
	s_and_saveexec_b64 s[10:11], vcc
	s_cbranch_execz .LBB879_459
; %bb.458:
	v_and_b32_e32 v25, 7, v14
	v_ffbh_u32_e32 v15, v25
	v_min_u32_e32 v28, 32, v15
	v_subrev_u32_e32 v15, 28, v28
	v_lshlrev_b64 v[14:15], v15, v[14:15]
	v_lshrrev_b32_e32 v27, 3, v24
	v_sub_u32_e32 v15, 29, v28
	v_and_b32_e32 v14, 7, v14
	v_cmp_gt_u32_e32 vcc, 8, v24
	v_cndmask_b32_e32 v15, v27, v15, vcc
	v_cndmask_b32_e32 v14, v25, v14, vcc
	v_lshlrev_b32_e32 v24, 16, v16
	v_bfrev_b32_e32 v25, 60
	v_lshlrev_b32_e32 v14, 20, v14
	v_and_b32_e32 v24, 0x80000000, v24
	v_lshl_add_u32 v15, v15, 23, v25
	v_or3_b32 v14, v24, v15, v14
	v_lshrrev_b32_e32 v15, 16, v14
.LBB879_459:
	s_or_b64 exec, exec, s[10:11]
.LBB879_460:
	s_or_b64 exec, exec, s[8:9]
.LBB879_461:
	s_or_b64 exec, exec, s[2:3]
	s_movk_i32 s2, 0xff
	v_and_b32_sdwa v27, v16, s2 dst_sel:DWORD dst_unused:UNUSED_PAD src0_sel:WORD_1 src1_sel:DWORD
	v_lshrrev_b32_e32 v14, 16, v16
	v_cmp_ne_u16_e32 vcc, 0, v27
	v_mov_b32_e32 v24, 0
	v_mov_b32_e32 v25, 0
	s_and_saveexec_b64 s[2:3], vcc
	s_cbranch_execz .LBB879_467
; %bb.462:
	s_movk_i32 s7, 0x80
	v_cmp_ne_u16_e32 vcc, s7, v27
	v_mov_b32_e32 v25, 0xffff8000
	s_and_saveexec_b64 s[8:9], vcc
	s_cbranch_execz .LBB879_466
; %bb.463:
	v_bfe_u32 v27, v16, 16, 7
	s_movk_i32 s7, 0x7f
	v_cmp_ne_u32_e32 vcc, s7, v27
	v_mov_b32_e32 v25, 0x7f80
	s_and_saveexec_b64 s[10:11], vcc
	s_cbranch_execz .LBB879_465
; %bb.464:
	v_and_b32_e32 v25, 7, v14
	v_ffbh_u32_e32 v28, v25
	v_min_u32_e32 v31, 32, v28
	v_subrev_u32_e32 v28, 28, v31
	v_lshlrev_b64 v[28:29], v28, v[14:15]
	v_lshrrev_b32_e32 v30, 3, v27
	v_sub_u32_e32 v14, 29, v31
	v_and_b32_e32 v28, 7, v28
	v_cmp_gt_u32_e32 vcc, 8, v27
	v_mov_b32_e32 v27, 24
	v_cndmask_b32_e32 v14, v30, v14, vcc
	v_cndmask_b32_e32 v25, v25, v28, vcc
	v_lshlrev_b32_sdwa v27, v27, v16 dst_sel:DWORD dst_unused:UNUSED_PAD src0_sel:DWORD src1_sel:WORD_1
	v_bfrev_b32_e32 v28, 60
	v_lshlrev_b32_e32 v25, 20, v25
	v_and_b32_e32 v27, 0x80000000, v27
	v_lshl_add_u32 v14, v14, 23, v28
	v_or3_b32 v14, v27, v14, v25
	v_lshrrev_b32_e32 v25, 16, v14
.LBB879_465:
	s_or_b64 exec, exec, s[10:11]
.LBB879_466:
	s_or_b64 exec, exec, s[8:9]
.LBB879_467:
	s_or_b64 exec, exec, s[2:3]
	s_mov_b32 s2, 0xffffff
	v_cmp_lt_u32_e32 vcc, s2, v16
	s_and_saveexec_b64 s[2:3], vcc
	s_cbranch_execz .LBB879_473
; %bb.468:
	v_lshrrev_b32_e32 v14, 24, v16
	s_movk_i32 s7, 0x80
	v_cmp_ne_u32_e32 vcc, s7, v14
	v_mov_b32_e32 v24, 0xffff8000
	s_and_saveexec_b64 s[8:9], vcc
	s_cbranch_execz .LBB879_472
; %bb.469:
	v_bfe_u32 v16, v16, 24, 7
	s_movk_i32 s7, 0x7f
	v_cmp_ne_u32_e32 vcc, s7, v16
	v_mov_b32_e32 v24, 0x7f80
	s_and_saveexec_b64 s[10:11], vcc
	s_cbranch_execz .LBB879_471
; %bb.470:
	v_and_b32_e32 v24, 7, v14
	v_ffbh_u32_e32 v28, v24
	v_min_u32_e32 v30, 32, v28
	v_subrev_u32_e32 v28, 28, v30
	v_lshlrev_b64 v[28:29], v28, v[14:15]
	v_lshrrev_b32_e32 v27, 3, v16
	v_sub_u32_e32 v29, 29, v30
	v_and_b32_e32 v28, 7, v28
	v_cmp_gt_u32_e32 vcc, 8, v16
	v_cndmask_b32_e32 v16, v27, v29, vcc
	v_cndmask_b32_e32 v24, v24, v28, vcc
	v_lshlrev_b32_e32 v14, 24, v14
	v_bfrev_b32_e32 v27, 60
	v_lshlrev_b32_e32 v24, 20, v24
	v_and_b32_e32 v14, 0x80000000, v14
	v_lshl_add_u32 v16, v16, 23, v27
	v_or3_b32 v14, v14, v16, v24
	v_lshrrev_b32_e32 v24, 16, v14
.LBB879_471:
	s_or_b64 exec, exec, s[10:11]
.LBB879_472:
	s_or_b64 exec, exec, s[8:9]
.LBB879_473:
	s_or_b64 exec, exec, s[2:3]
	v_mov_b32_e32 v16, 0
	v_cmp_ne_u16_sdwa s[8:9], v17, v16 src0_sel:BYTE_0 src1_sel:DWORD
	v_mov_b32_e32 v27, 0
	s_and_saveexec_b64 s[2:3], s[8:9]
	s_cbranch_execz .LBB879_479
; %bb.474:
	s_movk_i32 s7, 0x80
	v_cmp_ne_u16_sdwa s[10:11], v17, s7 src0_sel:BYTE_0 src1_sel:DWORD
	v_mov_b32_e32 v27, 0xffff8000
	s_and_saveexec_b64 s[8:9], s[10:11]
	s_cbranch_execz .LBB879_478
; %bb.475:
	s_movk_i32 s7, 0x7f
	v_and_b32_e32 v14, 0x7f, v17
	v_cmp_ne_u32_e32 vcc, s7, v14
	v_mov_b32_e32 v27, 0x7f80
	s_and_saveexec_b64 s[10:11], vcc
	s_cbranch_execz .LBB879_477
; %bb.476:
	v_and_b32_e32 v27, 7, v17
	v_ffbh_u32_e32 v29, v27
	v_min_u32_e32 v31, 32, v29
	v_mov_b32_e32 v28, v17
	v_subrev_u32_e32 v29, 28, v31
	v_lshlrev_b64 v[28:29], v29, v[28:29]
	v_lshrrev_b32_e32 v30, 3, v14
	v_sub_u32_e32 v29, 29, v31
	v_and_b32_e32 v28, 7, v28
	v_cmp_gt_u32_e32 vcc, 8, v14
	v_cndmask_b32_e32 v14, v30, v29, vcc
	v_cndmask_b32_e32 v27, v27, v28, vcc
	v_lshlrev_b32_e32 v28, 24, v17
	v_bfrev_b32_e32 v29, 60
	v_lshlrev_b32_e32 v27, 20, v27
	v_and_b32_e32 v28, 0x80000000, v28
	v_lshl_add_u32 v14, v14, 23, v29
	v_or3_b32 v14, v28, v14, v27
	v_lshrrev_b32_e32 v27, 16, v14
.LBB879_477:
	s_or_b64 exec, exec, s[10:11]
.LBB879_478:
	s_or_b64 exec, exec, s[8:9]
.LBB879_479:
	s_or_b64 exec, exec, s[2:3]
	v_lshrrev_b16_e32 v14, 8, v17
	v_cmp_ne_u16_e32 vcc, 0, v14
	s_and_saveexec_b64 s[2:3], vcc
	s_cbranch_execz .LBB879_485
; %bb.480:
	s_movk_i32 s7, 0x80
	v_cmp_ne_u16_e32 vcc, s7, v14
	v_mov_b32_e32 v16, 0xffff8000
	s_and_saveexec_b64 s[8:9], vcc
	s_cbranch_execz .LBB879_484
; %bb.481:
	s_movk_i32 s7, 0x7f
	v_and_b32_e32 v28, 0x7f, v14
	v_cmp_ne_u32_e32 vcc, s7, v28
	v_mov_b32_e32 v16, 0x7f80
	s_and_saveexec_b64 s[10:11], vcc
	s_cbranch_execz .LBB879_483
; %bb.482:
	v_and_b32_e32 v16, 7, v14
	v_ffbh_u32_e32 v30, v16
	v_min_u32_e32 v32, 32, v30
	v_subrev_u32_e32 v30, 28, v32
	v_lshlrev_b64 v[30:31], v30, v[14:15]
	v_lshrrev_b32_e32 v29, 3, v28
	v_sub_u32_e32 v14, 29, v32
	v_and_b32_e32 v30, 7, v30
	v_cmp_gt_u32_e32 vcc, 8, v28
	v_cndmask_b32_e32 v14, v29, v14, vcc
	v_cndmask_b32_e32 v16, v16, v30, vcc
	v_lshlrev_b32_e32 v28, 16, v17
	v_bfrev_b32_e32 v29, 60
	v_lshlrev_b32_e32 v16, 20, v16
	v_and_b32_e32 v28, 0x80000000, v28
	v_lshl_add_u32 v14, v14, 23, v29
	v_or3_b32 v14, v28, v14, v16
	v_lshrrev_b32_e32 v16, 16, v14
.LBB879_483:
	s_or_b64 exec, exec, s[10:11]
.LBB879_484:
	s_or_b64 exec, exec, s[8:9]
.LBB879_485:
	s_or_b64 exec, exec, s[2:3]
	s_movk_i32 s2, 0xff
	v_and_b32_sdwa v30, v17, s2 dst_sel:DWORD dst_unused:UNUSED_PAD src0_sel:WORD_1 src1_sel:DWORD
	v_lshrrev_b32_e32 v14, 16, v17
	v_cmp_ne_u16_e32 vcc, 0, v30
	v_mov_b32_e32 v28, 0
	v_mov_b32_e32 v29, 0
	s_and_saveexec_b64 s[2:3], vcc
	s_cbranch_execz .LBB879_491
; %bb.486:
	s_movk_i32 s7, 0x80
	v_cmp_ne_u16_e32 vcc, s7, v30
	v_mov_b32_e32 v29, 0xffff8000
	s_and_saveexec_b64 s[8:9], vcc
	s_cbranch_execz .LBB879_490
; %bb.487:
	v_bfe_u32 v30, v17, 16, 7
	s_movk_i32 s7, 0x7f
	v_cmp_ne_u32_e32 vcc, s7, v30
	v_mov_b32_e32 v29, 0x7f80
	s_and_saveexec_b64 s[10:11], vcc
	s_cbranch_execz .LBB879_489
; %bb.488:
	v_and_b32_e32 v29, 7, v14
	v_ffbh_u32_e32 v32, v29
	v_min_u32_e32 v34, 32, v32
	v_subrev_u32_e32 v32, 28, v34
	v_lshlrev_b64 v[32:33], v32, v[14:15]
	v_lshrrev_b32_e32 v31, 3, v30
	v_sub_u32_e32 v14, 29, v34
	v_and_b32_e32 v32, 7, v32
	v_cmp_gt_u32_e32 vcc, 8, v30
	v_mov_b32_e32 v30, 24
	v_cndmask_b32_e32 v14, v31, v14, vcc
	v_cndmask_b32_e32 v29, v29, v32, vcc
	v_lshlrev_b32_sdwa v30, v30, v17 dst_sel:DWORD dst_unused:UNUSED_PAD src0_sel:DWORD src1_sel:WORD_1
	v_bfrev_b32_e32 v31, 60
	v_lshlrev_b32_e32 v29, 20, v29
	v_and_b32_e32 v30, 0x80000000, v30
	v_lshl_add_u32 v14, v14, 23, v31
	v_or3_b32 v14, v30, v14, v29
	v_lshrrev_b32_e32 v29, 16, v14
.LBB879_489:
	s_or_b64 exec, exec, s[10:11]
.LBB879_490:
	s_or_b64 exec, exec, s[8:9]
.LBB879_491:
	s_or_b64 exec, exec, s[2:3]
	s_mov_b32 s2, 0xffffff
	v_cmp_lt_u32_e32 vcc, s2, v17
	s_and_saveexec_b64 s[2:3], vcc
	s_cbranch_execz .LBB879_497
; %bb.492:
	v_lshrrev_b32_e32 v14, 24, v17
	s_movk_i32 s7, 0x80
	v_cmp_ne_u32_e32 vcc, s7, v14
	v_mov_b32_e32 v28, 0xffff8000
	s_and_saveexec_b64 s[8:9], vcc
	s_cbranch_execz .LBB879_496
; %bb.493:
	v_bfe_u32 v17, v17, 24, 7
	s_movk_i32 s7, 0x7f
	v_cmp_ne_u32_e32 vcc, s7, v17
	v_mov_b32_e32 v28, 0x7f80
	s_and_saveexec_b64 s[10:11], vcc
	s_cbranch_execz .LBB879_495
; %bb.494:
	v_and_b32_e32 v28, 7, v14
	v_ffbh_u32_e32 v30, v28
	v_min_u32_e32 v33, 32, v30
	v_subrev_u32_e32 v30, 28, v33
	v_lshlrev_b64 v[30:31], v30, v[14:15]
	v_lshrrev_b32_e32 v32, 3, v17
	v_sub_u32_e32 v31, 29, v33
	v_and_b32_e32 v30, 7, v30
	v_cmp_gt_u32_e32 vcc, 8, v17
	v_cndmask_b32_e32 v17, v32, v31, vcc
	v_cndmask_b32_e32 v28, v28, v30, vcc
	v_lshlrev_b32_e32 v14, 24, v14
	v_bfrev_b32_e32 v30, 60
	v_lshlrev_b32_e32 v28, 20, v28
	v_and_b32_e32 v14, 0x80000000, v14
	v_lshl_add_u32 v17, v17, 23, v30
	v_or3_b32 v14, v14, v17, v28
	v_lshrrev_b32_e32 v28, 16, v14
.LBB879_495:
	s_or_b64 exec, exec, s[10:11]
.LBB879_496:
	s_or_b64 exec, exec, s[8:9]
.LBB879_497:
	s_or_b64 exec, exec, s[2:3]
	s_mov_b32 s2, 0x5040100
	v_perm_b32 v25, v24, v25, s2
	v_perm_b32 v24, v15, v23, s2
	ds_read_b128 v[30:33], v22 offset:16
	v_perm_b32 v15, v28, v29, s2
	v_perm_b32 v14, v16, v27, s2
	s_waitcnt lgkmcnt(0)
	v_mfma_f32_16x16x16bf16_1k v[34:37], v[24:25], v[30:31], v[18:21]
	s_nop 6
	v_mov_b32_e32 v19, 0
	s_waitcnt vmcnt(2)
	v_cmp_ne_u16_sdwa s[8:9], v10, v19 src0_sel:BYTE_0 src1_sel:DWORD
	v_mfma_f32_16x16x16bf16_1k v[14:17], v[14:15], v[32:33], v[34:37]
	v_mov_b32_e32 v20, 0
	s_and_saveexec_b64 s[2:3], s[8:9]
	s_cbranch_execz .LBB879_503
; %bb.498:
	s_movk_i32 s7, 0x80
	v_cmp_ne_u16_sdwa s[10:11], v10, s7 src0_sel:BYTE_0 src1_sel:DWORD
	v_mov_b32_e32 v20, 0xffff8000
	s_and_saveexec_b64 s[8:9], s[10:11]
	s_cbranch_execz .LBB879_502
; %bb.499:
	s_movk_i32 s7, 0x7f
	v_and_b32_e32 v18, 0x7f, v10
	v_cmp_ne_u32_e32 vcc, s7, v18
	v_mov_b32_e32 v20, 0x7f80
	s_and_saveexec_b64 s[10:11], vcc
	s_cbranch_execz .LBB879_501
; %bb.500:
	v_and_b32_e32 v23, 7, v10
	v_ffbh_u32_e32 v20, v23
	v_min_u32_e32 v25, 32, v20
	v_subrev_u32_e32 v20, 28, v25
	v_lshlrev_b64 v[20:21], v20, v[10:11]
	v_lshrrev_b32_e32 v24, 3, v18
	v_sub_u32_e32 v21, 29, v25
	v_and_b32_e32 v20, 7, v20
	v_cmp_gt_u32_e32 vcc, 8, v18
	v_cndmask_b32_e32 v18, v24, v21, vcc
	v_cndmask_b32_e32 v20, v23, v20, vcc
	v_lshlrev_b32_e32 v21, 24, v10
	v_bfrev_b32_e32 v23, 60
	v_lshlrev_b32_e32 v20, 20, v20
	v_and_b32_e32 v21, 0x80000000, v21
	v_lshl_add_u32 v18, v18, 23, v23
	v_or3_b32 v18, v21, v18, v20
	v_lshrrev_b32_e32 v20, 16, v18
.LBB879_501:
	s_or_b64 exec, exec, s[10:11]
.LBB879_502:
	s_or_b64 exec, exec, s[8:9]
.LBB879_503:
	s_or_b64 exec, exec, s[2:3]
	v_lshrrev_b16_e32 v18, 8, v10
	v_cmp_ne_u16_e32 vcc, 0, v18
	s_and_saveexec_b64 s[2:3], vcc
	s_cbranch_execz .LBB879_509
; %bb.504:
	s_movk_i32 s7, 0x80
	v_cmp_ne_u16_e32 vcc, s7, v18
	v_mov_b32_e32 v19, 0xffff8000
	s_and_saveexec_b64 s[8:9], vcc
	s_cbranch_execz .LBB879_508
; %bb.505:
	s_movk_i32 s7, 0x7f
	v_and_b32_e32 v21, 0x7f, v18
	v_cmp_ne_u32_e32 vcc, s7, v21
	v_mov_b32_e32 v19, 0x7f80
	s_and_saveexec_b64 s[10:11], vcc
	s_cbranch_execz .LBB879_507
; %bb.506:
	v_and_b32_e32 v23, 7, v18
	v_ffbh_u32_e32 v19, v23
	v_min_u32_e32 v25, 32, v19
	v_subrev_u32_e32 v19, 28, v25
	v_lshlrev_b64 v[18:19], v19, v[18:19]
	v_lshrrev_b32_e32 v24, 3, v21
	v_sub_u32_e32 v19, 29, v25
	v_and_b32_e32 v18, 7, v18
	v_cmp_gt_u32_e32 vcc, 8, v21
	v_cndmask_b32_e32 v19, v24, v19, vcc
	v_cndmask_b32_e32 v18, v23, v18, vcc
	v_lshlrev_b32_e32 v21, 16, v10
	v_bfrev_b32_e32 v23, 60
	v_lshlrev_b32_e32 v18, 20, v18
	v_and_b32_e32 v21, 0x80000000, v21
	v_lshl_add_u32 v19, v19, 23, v23
	v_or3_b32 v18, v21, v19, v18
	v_lshrrev_b32_e32 v19, 16, v18
.LBB879_507:
	s_or_b64 exec, exec, s[10:11]
.LBB879_508:
	s_or_b64 exec, exec, s[8:9]
.LBB879_509:
	s_or_b64 exec, exec, s[2:3]
	s_movk_i32 s2, 0xff
	v_and_b32_sdwa v24, v10, s2 dst_sel:DWORD dst_unused:UNUSED_PAD src0_sel:WORD_1 src1_sel:DWORD
	v_lshrrev_b32_e32 v18, 16, v10
	v_cmp_ne_u16_e32 vcc, 0, v24
	v_mov_b32_e32 v21, 0
	v_mov_b32_e32 v23, 0
	s_and_saveexec_b64 s[2:3], vcc
	s_cbranch_execz .LBB879_515
; %bb.510:
	s_movk_i32 s7, 0x80
	v_cmp_ne_u16_e32 vcc, s7, v24
	v_mov_b32_e32 v23, 0xffff8000
	s_and_saveexec_b64 s[8:9], vcc
	s_cbranch_execz .LBB879_514
; %bb.511:
	v_bfe_u32 v24, v10, 16, 7
	s_movk_i32 s7, 0x7f
	v_cmp_ne_u32_e32 vcc, s7, v24
	v_mov_b32_e32 v23, 0x7f80
	s_and_saveexec_b64 s[10:11], vcc
	s_cbranch_execz .LBB879_513
; %bb.512:
	v_and_b32_e32 v23, 7, v18
	v_ffbh_u32_e32 v27, v23
	v_min_u32_e32 v27, 32, v27
	v_subrev_u32_e32 v28, 28, v27
	v_lshlrev_b64 v[28:29], v28, v[18:19]
	v_lshrrev_b32_e32 v25, 3, v24
	v_sub_u32_e32 v18, 29, v27
	v_and_b32_e32 v27, 7, v28
	v_cmp_gt_u32_e32 vcc, 8, v24
	v_mov_b32_e32 v24, 24
	v_cndmask_b32_e32 v18, v25, v18, vcc
	v_cndmask_b32_e32 v23, v23, v27, vcc
	v_lshlrev_b32_sdwa v24, v24, v10 dst_sel:DWORD dst_unused:UNUSED_PAD src0_sel:DWORD src1_sel:WORD_1
	v_bfrev_b32_e32 v25, 60
	v_lshlrev_b32_e32 v23, 20, v23
	v_and_b32_e32 v24, 0x80000000, v24
	v_lshl_add_u32 v18, v18, 23, v25
	v_or3_b32 v18, v24, v18, v23
	v_lshrrev_b32_e32 v23, 16, v18
.LBB879_513:
	s_or_b64 exec, exec, s[10:11]
.LBB879_514:
	s_or_b64 exec, exec, s[8:9]
.LBB879_515:
	s_or_b64 exec, exec, s[2:3]
	s_mov_b32 s2, 0xffffff
	v_cmp_lt_u32_e32 vcc, s2, v10
	s_and_saveexec_b64 s[2:3], vcc
	s_cbranch_execz .LBB879_521
; %bb.516:
	v_lshrrev_b32_e32 v18, 24, v10
	s_movk_i32 s7, 0x80
	v_cmp_ne_u32_e32 vcc, s7, v18
	v_mov_b32_e32 v21, 0xffff8000
	s_and_saveexec_b64 s[8:9], vcc
	s_cbranch_execz .LBB879_520
; %bb.517:
	v_bfe_u32 v10, v10, 24, 7
	s_movk_i32 s7, 0x7f
	v_cmp_ne_u32_e32 vcc, s7, v10
	v_mov_b32_e32 v21, 0x7f80
	s_and_saveexec_b64 s[10:11], vcc
	s_cbranch_execz .LBB879_519
; %bb.518:
	v_and_b32_e32 v21, 7, v18
	v_ffbh_u32_e32 v24, v21
	v_min_u32_e32 v28, 32, v24
	v_subrev_u32_e32 v24, 28, v28
	v_lshlrev_b64 v[24:25], v24, v[18:19]
	v_lshrrev_b32_e32 v27, 3, v10
	v_sub_u32_e32 v25, 29, v28
	v_and_b32_e32 v24, 7, v24
	v_cmp_gt_u32_e32 vcc, 8, v10
	v_cndmask_b32_e32 v10, v27, v25, vcc
	v_cndmask_b32_e32 v21, v21, v24, vcc
	v_lshlrev_b32_e32 v18, 24, v18
	v_bfrev_b32_e32 v24, 60
	v_lshlrev_b32_e32 v21, 20, v21
	v_and_b32_e32 v18, 0x80000000, v18
	v_lshl_add_u32 v10, v10, 23, v24
	v_or3_b32 v10, v18, v10, v21
	v_lshrrev_b32_e32 v21, 16, v10
.LBB879_519:
	s_or_b64 exec, exec, s[10:11]
.LBB879_520:
	s_or_b64 exec, exec, s[8:9]
.LBB879_521:
	s_or_b64 exec, exec, s[2:3]
	v_mov_b32_e32 v18, 0
	v_cmp_ne_u16_sdwa s[8:9], v11, v18 src0_sel:BYTE_0 src1_sel:DWORD
	v_mov_b32_e32 v24, 0
	s_and_saveexec_b64 s[2:3], s[8:9]
	s_cbranch_execz .LBB879_527
; %bb.522:
	s_movk_i32 s7, 0x80
	v_cmp_ne_u16_sdwa s[10:11], v11, s7 src0_sel:BYTE_0 src1_sel:DWORD
	v_mov_b32_e32 v24, 0xffff8000
	s_and_saveexec_b64 s[8:9], s[10:11]
	s_cbranch_execz .LBB879_526
; %bb.523:
	s_movk_i32 s7, 0x7f
	v_and_b32_e32 v10, 0x7f, v11
	v_cmp_ne_u32_e32 vcc, s7, v10
	v_mov_b32_e32 v24, 0x7f80
	s_and_saveexec_b64 s[10:11], vcc
	s_cbranch_execz .LBB879_525
; %bb.524:
	v_and_b32_e32 v27, 7, v11
	v_ffbh_u32_e32 v25, v27
	v_min_u32_e32 v29, 32, v25
	v_mov_b32_e32 v24, v11
	v_subrev_u32_e32 v25, 28, v29
	v_lshlrev_b64 v[24:25], v25, v[24:25]
	v_lshrrev_b32_e32 v28, 3, v10
	v_sub_u32_e32 v25, 29, v29
	v_and_b32_e32 v24, 7, v24
	v_cmp_gt_u32_e32 vcc, 8, v10
	v_cndmask_b32_e32 v10, v28, v25, vcc
	v_cndmask_b32_e32 v24, v27, v24, vcc
	v_lshlrev_b32_e32 v25, 24, v11
	v_bfrev_b32_e32 v27, 60
	v_lshlrev_b32_e32 v24, 20, v24
	v_and_b32_e32 v25, 0x80000000, v25
	v_lshl_add_u32 v10, v10, 23, v27
	v_or3_b32 v10, v25, v10, v24
	v_lshrrev_b32_e32 v24, 16, v10
.LBB879_525:
	s_or_b64 exec, exec, s[10:11]
.LBB879_526:
	s_or_b64 exec, exec, s[8:9]
.LBB879_527:
	s_or_b64 exec, exec, s[2:3]
	v_lshrrev_b16_e32 v10, 8, v11
	v_cmp_ne_u16_e32 vcc, 0, v10
	s_and_saveexec_b64 s[2:3], vcc
	s_cbranch_execz .LBB879_533
; %bb.528:
	s_movk_i32 s7, 0x80
	v_cmp_ne_u16_e32 vcc, s7, v10
	v_mov_b32_e32 v18, 0xffff8000
	s_and_saveexec_b64 s[8:9], vcc
	s_cbranch_execz .LBB879_532
; %bb.529:
	s_movk_i32 s7, 0x7f
	v_and_b32_e32 v25, 0x7f, v10
	v_cmp_ne_u32_e32 vcc, s7, v25
	v_mov_b32_e32 v18, 0x7f80
	s_and_saveexec_b64 s[10:11], vcc
	s_cbranch_execz .LBB879_531
; %bb.530:
	v_and_b32_e32 v18, 7, v10
	v_ffbh_u32_e32 v28, v18
	v_min_u32_e32 v30, 32, v28
	v_subrev_u32_e32 v28, 28, v30
	v_lshlrev_b64 v[28:29], v28, v[10:11]
	v_lshrrev_b32_e32 v27, 3, v25
	v_sub_u32_e32 v10, 29, v30
	v_and_b32_e32 v28, 7, v28
	v_cmp_gt_u32_e32 vcc, 8, v25
	v_cndmask_b32_e32 v10, v27, v10, vcc
	v_cndmask_b32_e32 v18, v18, v28, vcc
	v_lshlrev_b32_e32 v25, 16, v11
	v_bfrev_b32_e32 v27, 60
	v_lshlrev_b32_e32 v18, 20, v18
	v_and_b32_e32 v25, 0x80000000, v25
	v_lshl_add_u32 v10, v10, 23, v27
	v_or3_b32 v10, v25, v10, v18
	v_lshrrev_b32_e32 v18, 16, v10
.LBB879_531:
	s_or_b64 exec, exec, s[10:11]
.LBB879_532:
	s_or_b64 exec, exec, s[8:9]
.LBB879_533:
	s_or_b64 exec, exec, s[2:3]
	s_movk_i32 s2, 0xff
	v_and_b32_sdwa v28, v11, s2 dst_sel:DWORD dst_unused:UNUSED_PAD src0_sel:WORD_1 src1_sel:DWORD
	v_lshrrev_b32_e32 v10, 16, v11
	v_cmp_ne_u16_e32 vcc, 0, v28
	v_mov_b32_e32 v25, 0
	v_mov_b32_e32 v27, 0
	s_and_saveexec_b64 s[2:3], vcc
	s_cbranch_execz .LBB879_539
; %bb.534:
	s_movk_i32 s7, 0x80
	v_cmp_ne_u16_e32 vcc, s7, v28
	v_mov_b32_e32 v27, 0xffff8000
	s_and_saveexec_b64 s[8:9], vcc
	s_cbranch_execz .LBB879_538
; %bb.535:
	v_bfe_u32 v28, v11, 16, 7
	s_movk_i32 s7, 0x7f
	v_cmp_ne_u32_e32 vcc, s7, v28
	v_mov_b32_e32 v27, 0x7f80
	s_and_saveexec_b64 s[10:11], vcc
	s_cbranch_execz .LBB879_537
; %bb.536:
	v_and_b32_e32 v27, 7, v10
	v_ffbh_u32_e32 v30, v27
	v_min_u32_e32 v32, 32, v30
	v_subrev_u32_e32 v30, 28, v32
	v_lshlrev_b64 v[30:31], v30, v[10:11]
	v_lshrrev_b32_e32 v29, 3, v28
	v_sub_u32_e32 v10, 29, v32
	v_and_b32_e32 v30, 7, v30
	v_cmp_gt_u32_e32 vcc, 8, v28
	v_mov_b32_e32 v28, 24
	v_cndmask_b32_e32 v10, v29, v10, vcc
	v_cndmask_b32_e32 v27, v27, v30, vcc
	v_lshlrev_b32_sdwa v28, v28, v11 dst_sel:DWORD dst_unused:UNUSED_PAD src0_sel:DWORD src1_sel:WORD_1
	v_bfrev_b32_e32 v29, 60
	v_lshlrev_b32_e32 v27, 20, v27
	v_and_b32_e32 v28, 0x80000000, v28
	v_lshl_add_u32 v10, v10, 23, v29
	v_or3_b32 v10, v28, v10, v27
	v_lshrrev_b32_e32 v27, 16, v10
.LBB879_537:
	s_or_b64 exec, exec, s[10:11]
.LBB879_538:
	s_or_b64 exec, exec, s[8:9]
.LBB879_539:
	s_or_b64 exec, exec, s[2:3]
	s_mov_b32 s2, 0xffffff
	v_cmp_lt_u32_e32 vcc, s2, v11
	s_and_saveexec_b64 s[2:3], vcc
	s_cbranch_execz .LBB879_545
; %bb.540:
	v_lshrrev_b32_e32 v10, 24, v11
	s_movk_i32 s7, 0x80
	v_cmp_ne_u32_e32 vcc, s7, v10
	v_mov_b32_e32 v25, 0xffff8000
	s_and_saveexec_b64 s[8:9], vcc
	s_cbranch_execz .LBB879_544
; %bb.541:
	v_bfe_u32 v11, v11, 24, 7
	s_movk_i32 s7, 0x7f
	v_cmp_ne_u32_e32 vcc, s7, v11
	v_mov_b32_e32 v25, 0x7f80
	s_and_saveexec_b64 s[10:11], vcc
	s_cbranch_execz .LBB879_543
; %bb.542:
	v_and_b32_e32 v25, 7, v10
	v_ffbh_u32_e32 v28, v25
	v_min_u32_e32 v31, 32, v28
	v_subrev_u32_e32 v28, 28, v31
	v_lshlrev_b64 v[28:29], v28, v[10:11]
	v_lshrrev_b32_e32 v30, 3, v11
	v_sub_u32_e32 v29, 29, v31
	v_and_b32_e32 v28, 7, v28
	v_cmp_gt_u32_e32 vcc, 8, v11
	v_cndmask_b32_e32 v11, v30, v29, vcc
	v_cndmask_b32_e32 v25, v25, v28, vcc
	v_lshlrev_b32_e32 v10, 24, v10
	v_bfrev_b32_e32 v28, 60
	v_lshlrev_b32_e32 v25, 20, v25
	v_and_b32_e32 v10, 0x80000000, v10
	v_lshl_add_u32 v11, v11, 23, v28
	v_or3_b32 v10, v10, v11, v25
	v_lshrrev_b32_e32 v25, 16, v10
.LBB879_543:
	s_or_b64 exec, exec, s[10:11]
.LBB879_544:
	s_or_b64 exec, exec, s[8:9]
.LBB879_545:
	s_or_b64 exec, exec, s[2:3]
	s_mov_b32 s2, 0x5040100
	v_perm_b32 v11, v21, v23, s2
	v_perm_b32 v10, v19, v20, s2
	ds_read_b128 v[28:31], v22 offset:2048
	v_perm_b32 v21, v25, v27, s2
	v_perm_b32 v20, v18, v24, s2
	s_waitcnt lgkmcnt(0)
	v_mfma_f32_16x16x16bf16_1k v[14:17], v[10:11], v[28:29], v[14:17]
	v_mov_b32_e32 v11, 0
	v_cmp_ne_u16_sdwa s[8:9], v12, v11 src0_sel:BYTE_0 src1_sel:DWORD
	v_mov_b32_e32 v18, 0
	v_mfma_f32_16x16x16bf16_1k v[14:17], v[20:21], v[30:31], v[14:17]
	s_and_saveexec_b64 s[2:3], s[8:9]
	s_cbranch_execz .LBB879_551
; %bb.546:
	s_movk_i32 s7, 0x80
	v_cmp_ne_u16_sdwa s[10:11], v12, s7 src0_sel:BYTE_0 src1_sel:DWORD
	v_mov_b32_e32 v18, 0xffff8000
	s_and_saveexec_b64 s[8:9], s[10:11]
	s_cbranch_execz .LBB879_550
; %bb.547:
	s_movk_i32 s7, 0x7f
	v_and_b32_e32 v10, 0x7f, v12
	v_cmp_ne_u32_e32 vcc, s7, v10
	v_mov_b32_e32 v18, 0x7f80
	s_and_saveexec_b64 s[10:11], vcc
	s_cbranch_execz .LBB879_549
; %bb.548:
	v_and_b32_e32 v20, 7, v12
	v_ffbh_u32_e32 v18, v20
	v_min_u32_e32 v23, 32, v18
	v_subrev_u32_e32 v18, 28, v23
	v_lshlrev_b64 v[18:19], v18, v[12:13]
	v_lshrrev_b32_e32 v21, 3, v10
	v_sub_u32_e32 v19, 29, v23
	v_and_b32_e32 v18, 7, v18
	v_cmp_gt_u32_e32 vcc, 8, v10
	v_cndmask_b32_e32 v10, v21, v19, vcc
	v_cndmask_b32_e32 v18, v20, v18, vcc
	v_lshlrev_b32_e32 v19, 24, v12
	v_bfrev_b32_e32 v20, 60
	v_lshlrev_b32_e32 v18, 20, v18
	v_and_b32_e32 v19, 0x80000000, v19
	v_lshl_add_u32 v10, v10, 23, v20
	v_or3_b32 v10, v19, v10, v18
	v_lshrrev_b32_e32 v18, 16, v10
.LBB879_549:
	s_or_b64 exec, exec, s[10:11]
.LBB879_550:
	s_or_b64 exec, exec, s[8:9]
.LBB879_551:
	s_or_b64 exec, exec, s[2:3]
	v_lshrrev_b16_e32 v10, 8, v12
	v_cmp_ne_u16_e32 vcc, 0, v10
	s_and_saveexec_b64 s[2:3], vcc
	s_cbranch_execz .LBB879_557
; %bb.552:
	s_movk_i32 s7, 0x80
	v_cmp_ne_u16_e32 vcc, s7, v10
	v_mov_b32_e32 v11, 0xffff8000
	s_and_saveexec_b64 s[8:9], vcc
	s_cbranch_execz .LBB879_556
; %bb.553:
	s_movk_i32 s7, 0x7f
	v_and_b32_e32 v19, 0x7f, v10
	v_cmp_ne_u32_e32 vcc, s7, v19
	v_mov_b32_e32 v11, 0x7f80
	s_and_saveexec_b64 s[10:11], vcc
	s_cbranch_execz .LBB879_555
; %bb.554:
	v_and_b32_e32 v20, 7, v10
	v_ffbh_u32_e32 v11, v20
	v_min_u32_e32 v23, 32, v11
	v_subrev_u32_e32 v11, 28, v23
	v_lshlrev_b64 v[10:11], v11, v[10:11]
	v_lshrrev_b32_e32 v21, 3, v19
	v_sub_u32_e32 v11, 29, v23
	v_and_b32_e32 v10, 7, v10
	v_cmp_gt_u32_e32 vcc, 8, v19
	v_cndmask_b32_e32 v11, v21, v11, vcc
	v_cndmask_b32_e32 v10, v20, v10, vcc
	v_lshlrev_b32_e32 v19, 16, v12
	v_bfrev_b32_e32 v20, 60
	v_lshlrev_b32_e32 v10, 20, v10
	v_and_b32_e32 v19, 0x80000000, v19
	v_lshl_add_u32 v11, v11, 23, v20
	v_or3_b32 v10, v19, v11, v10
	v_lshrrev_b32_e32 v11, 16, v10
.LBB879_555:
	s_or_b64 exec, exec, s[10:11]
.LBB879_556:
	s_or_b64 exec, exec, s[8:9]
.LBB879_557:
	s_or_b64 exec, exec, s[2:3]
	s_movk_i32 s2, 0xff
	v_and_b32_sdwa v21, v12, s2 dst_sel:DWORD dst_unused:UNUSED_PAD src0_sel:WORD_1 src1_sel:DWORD
	v_lshrrev_b32_e32 v10, 16, v12
	v_cmp_ne_u16_e32 vcc, 0, v21
	v_mov_b32_e32 v19, 0
	v_mov_b32_e32 v20, 0
	s_and_saveexec_b64 s[2:3], vcc
	s_cbranch_execz .LBB879_563
; %bb.558:
	s_movk_i32 s7, 0x80
	v_cmp_ne_u16_e32 vcc, s7, v21
	v_mov_b32_e32 v20, 0xffff8000
	s_and_saveexec_b64 s[8:9], vcc
	s_cbranch_execz .LBB879_562
; %bb.559:
	v_bfe_u32 v21, v12, 16, 7
	s_movk_i32 s7, 0x7f
	v_cmp_ne_u32_e32 vcc, s7, v21
	v_mov_b32_e32 v20, 0x7f80
	s_and_saveexec_b64 s[10:11], vcc
	s_cbranch_execz .LBB879_561
; %bb.560:
	v_and_b32_e32 v20, 7, v10
	v_ffbh_u32_e32 v24, v20
	v_min_u32_e32 v27, 32, v24
	v_subrev_u32_e32 v24, 28, v27
	v_lshlrev_b64 v[24:25], v24, v[10:11]
	v_lshrrev_b32_e32 v23, 3, v21
	v_sub_u32_e32 v10, 29, v27
	v_and_b32_e32 v24, 7, v24
	v_cmp_gt_u32_e32 vcc, 8, v21
	v_mov_b32_e32 v21, 24
	v_cndmask_b32_e32 v10, v23, v10, vcc
	v_cndmask_b32_e32 v20, v20, v24, vcc
	v_lshlrev_b32_sdwa v21, v21, v12 dst_sel:DWORD dst_unused:UNUSED_PAD src0_sel:DWORD src1_sel:WORD_1
	v_bfrev_b32_e32 v23, 60
	v_lshlrev_b32_e32 v20, 20, v20
	v_and_b32_e32 v21, 0x80000000, v21
	v_lshl_add_u32 v10, v10, 23, v23
	v_or3_b32 v10, v21, v10, v20
	v_lshrrev_b32_e32 v20, 16, v10
.LBB879_561:
	s_or_b64 exec, exec, s[10:11]
.LBB879_562:
	s_or_b64 exec, exec, s[8:9]
.LBB879_563:
	s_or_b64 exec, exec, s[2:3]
	s_mov_b32 s2, 0xffffff
	v_cmp_lt_u32_e32 vcc, s2, v12
	s_and_saveexec_b64 s[2:3], vcc
	s_cbranch_execz .LBB879_569
; %bb.564:
	v_lshrrev_b32_e32 v10, 24, v12
	s_movk_i32 s7, 0x80
	v_cmp_ne_u32_e32 vcc, s7, v10
	v_mov_b32_e32 v19, 0xffff8000
	s_and_saveexec_b64 s[8:9], vcc
	s_cbranch_execz .LBB879_568
; %bb.565:
	v_bfe_u32 v12, v12, 24, 7
	s_movk_i32 s7, 0x7f
	v_cmp_ne_u32_e32 vcc, s7, v12
	v_mov_b32_e32 v19, 0x7f80
	s_and_saveexec_b64 s[10:11], vcc
	s_cbranch_execz .LBB879_567
; %bb.566:
	v_and_b32_e32 v19, 7, v10
	v_ffbh_u32_e32 v23, v19
	v_min_u32_e32 v23, 32, v23
	v_subrev_u32_e32 v24, 28, v23
	v_lshlrev_b64 v[24:25], v24, v[10:11]
	v_lshrrev_b32_e32 v21, 3, v12
	v_sub_u32_e32 v23, 29, v23
	v_and_b32_e32 v24, 7, v24
	v_cmp_gt_u32_e32 vcc, 8, v12
	v_cndmask_b32_e32 v12, v21, v23, vcc
	v_cndmask_b32_e32 v19, v19, v24, vcc
	v_lshlrev_b32_e32 v10, 24, v10
	v_bfrev_b32_e32 v21, 60
	v_lshlrev_b32_e32 v19, 20, v19
	v_and_b32_e32 v10, 0x80000000, v10
	v_lshl_add_u32 v12, v12, 23, v21
	v_or3_b32 v10, v10, v12, v19
	v_lshrrev_b32_e32 v19, 16, v10
.LBB879_567:
	s_or_b64 exec, exec, s[10:11]
.LBB879_568:
	s_or_b64 exec, exec, s[8:9]
.LBB879_569:
	s_or_b64 exec, exec, s[2:3]
	v_mov_b32_e32 v12, 0
	v_cmp_ne_u16_sdwa s[8:9], v13, v12 src0_sel:BYTE_0 src1_sel:DWORD
	v_mov_b32_e32 v21, 0
	s_and_saveexec_b64 s[2:3], s[8:9]
	s_cbranch_execz .LBB879_575
; %bb.570:
	s_movk_i32 s7, 0x80
	v_cmp_ne_u16_sdwa s[10:11], v13, s7 src0_sel:BYTE_0 src1_sel:DWORD
	v_mov_b32_e32 v21, 0xffff8000
	s_and_saveexec_b64 s[8:9], s[10:11]
	s_cbranch_execz .LBB879_574
; %bb.571:
	s_movk_i32 s7, 0x7f
	v_and_b32_e32 v10, 0x7f, v13
	v_cmp_ne_u32_e32 vcc, s7, v10
	v_mov_b32_e32 v21, 0x7f80
	s_and_saveexec_b64 s[10:11], vcc
	s_cbranch_execz .LBB879_573
; %bb.572:
	v_and_b32_e32 v21, 7, v13
	v_ffbh_u32_e32 v25, v21
	v_min_u32_e32 v27, 32, v25
	v_mov_b32_e32 v24, v13
	v_subrev_u32_e32 v25, 28, v27
	v_lshlrev_b64 v[24:25], v25, v[24:25]
	v_lshrrev_b32_e32 v23, 3, v10
	v_sub_u32_e32 v25, 29, v27
	v_and_b32_e32 v24, 7, v24
	v_cmp_gt_u32_e32 vcc, 8, v10
	v_cndmask_b32_e32 v10, v23, v25, vcc
	v_cndmask_b32_e32 v21, v21, v24, vcc
	v_lshlrev_b32_e32 v23, 24, v13
	v_bfrev_b32_e32 v24, 60
	v_lshlrev_b32_e32 v21, 20, v21
	v_and_b32_e32 v23, 0x80000000, v23
	v_lshl_add_u32 v10, v10, 23, v24
	v_or3_b32 v10, v23, v10, v21
	v_lshrrev_b32_e32 v21, 16, v10
.LBB879_573:
	s_or_b64 exec, exec, s[10:11]
.LBB879_574:
	s_or_b64 exec, exec, s[8:9]
.LBB879_575:
	s_or_b64 exec, exec, s[2:3]
	v_lshrrev_b16_e32 v10, 8, v13
	v_cmp_ne_u16_e32 vcc, 0, v10
	s_and_saveexec_b64 s[2:3], vcc
	s_cbranch_execz .LBB879_581
; %bb.576:
	s_movk_i32 s7, 0x80
	v_cmp_ne_u16_e32 vcc, s7, v10
	v_mov_b32_e32 v12, 0xffff8000
	s_and_saveexec_b64 s[8:9], vcc
	s_cbranch_execz .LBB879_580
; %bb.577:
	s_movk_i32 s7, 0x7f
	v_and_b32_e32 v23, 0x7f, v10
	v_cmp_ne_u32_e32 vcc, s7, v23
	v_mov_b32_e32 v12, 0x7f80
	s_and_saveexec_b64 s[10:11], vcc
	s_cbranch_execz .LBB879_579
; %bb.578:
	v_and_b32_e32 v12, 7, v10
	v_ffbh_u32_e32 v24, v12
	v_min_u32_e32 v28, 32, v24
	v_subrev_u32_e32 v24, 28, v28
	v_lshlrev_b64 v[24:25], v24, v[10:11]
	v_lshrrev_b32_e32 v27, 3, v23
	v_sub_u32_e32 v10, 29, v28
	v_and_b32_e32 v24, 7, v24
	v_cmp_gt_u32_e32 vcc, 8, v23
	v_cndmask_b32_e32 v10, v27, v10, vcc
	v_cndmask_b32_e32 v12, v12, v24, vcc
	v_lshlrev_b32_e32 v23, 16, v13
	v_bfrev_b32_e32 v24, 60
	v_lshlrev_b32_e32 v12, 20, v12
	v_and_b32_e32 v23, 0x80000000, v23
	v_lshl_add_u32 v10, v10, 23, v24
	v_or3_b32 v10, v23, v10, v12
	v_lshrrev_b32_e32 v12, 16, v10
.LBB879_579:
	s_or_b64 exec, exec, s[10:11]
.LBB879_580:
	s_or_b64 exec, exec, s[8:9]
.LBB879_581:
	s_or_b64 exec, exec, s[2:3]
	s_movk_i32 s2, 0xff
	v_and_b32_sdwa v25, v13, s2 dst_sel:DWORD dst_unused:UNUSED_PAD src0_sel:WORD_1 src1_sel:DWORD
	v_lshrrev_b32_e32 v10, 16, v13
	v_cmp_ne_u16_e32 vcc, 0, v25
	v_mov_b32_e32 v23, 0
	v_mov_b32_e32 v24, 0
	s_and_saveexec_b64 s[2:3], vcc
	s_cbranch_execz .LBB879_587
; %bb.582:
	s_movk_i32 s7, 0x80
	v_cmp_ne_u16_e32 vcc, s7, v25
	v_mov_b32_e32 v24, 0xffff8000
	s_and_saveexec_b64 s[8:9], vcc
	s_cbranch_execz .LBB879_586
; %bb.583:
	v_bfe_u32 v25, v13, 16, 7
	s_movk_i32 s7, 0x7f
	v_cmp_ne_u32_e32 vcc, s7, v25
	v_mov_b32_e32 v24, 0x7f80
	s_and_saveexec_b64 s[10:11], vcc
	s_cbranch_execz .LBB879_585
; %bb.584:
	v_and_b32_e32 v24, 7, v10
	v_ffbh_u32_e32 v28, v24
	v_min_u32_e32 v30, 32, v28
	v_subrev_u32_e32 v28, 28, v30
	v_lshlrev_b64 v[28:29], v28, v[10:11]
	v_lshrrev_b32_e32 v27, 3, v25
	v_sub_u32_e32 v10, 29, v30
	v_and_b32_e32 v28, 7, v28
	v_cmp_gt_u32_e32 vcc, 8, v25
	v_mov_b32_e32 v25, 24
	v_cndmask_b32_e32 v10, v27, v10, vcc
	v_cndmask_b32_e32 v24, v24, v28, vcc
	v_lshlrev_b32_sdwa v25, v25, v13 dst_sel:DWORD dst_unused:UNUSED_PAD src0_sel:DWORD src1_sel:WORD_1
	v_bfrev_b32_e32 v27, 60
	v_lshlrev_b32_e32 v24, 20, v24
	v_and_b32_e32 v25, 0x80000000, v25
	v_lshl_add_u32 v10, v10, 23, v27
	v_or3_b32 v10, v25, v10, v24
	v_lshrrev_b32_e32 v24, 16, v10
.LBB879_585:
	s_or_b64 exec, exec, s[10:11]
.LBB879_586:
	s_or_b64 exec, exec, s[8:9]
.LBB879_587:
	s_or_b64 exec, exec, s[2:3]
	s_mov_b32 s2, 0xffffff
	v_cmp_lt_u32_e32 vcc, s2, v13
	s_and_saveexec_b64 s[2:3], vcc
	s_cbranch_execz .LBB879_593
; %bb.588:
	v_lshrrev_b32_e32 v10, 24, v13
	s_movk_i32 s7, 0x80
	v_cmp_ne_u32_e32 vcc, s7, v10
	v_mov_b32_e32 v23, 0xffff8000
	s_and_saveexec_b64 s[8:9], vcc
	s_cbranch_execz .LBB879_592
; %bb.589:
	v_bfe_u32 v13, v13, 24, 7
	s_movk_i32 s7, 0x7f
	v_cmp_ne_u32_e32 vcc, s7, v13
	v_mov_b32_e32 v23, 0x7f80
	s_and_saveexec_b64 s[10:11], vcc
	s_cbranch_execz .LBB879_591
; %bb.590:
	v_and_b32_e32 v23, 7, v10
	v_ffbh_u32_e32 v27, v23
	v_min_u32_e32 v27, 32, v27
	v_subrev_u32_e32 v28, 28, v27
	v_lshlrev_b64 v[28:29], v28, v[10:11]
	v_lshrrev_b32_e32 v25, 3, v13
	v_sub_u32_e32 v27, 29, v27
	v_and_b32_e32 v28, 7, v28
	v_cmp_gt_u32_e32 vcc, 8, v13
	v_cndmask_b32_e32 v13, v25, v27, vcc
	v_cndmask_b32_e32 v23, v23, v28, vcc
	v_lshlrev_b32_e32 v10, 24, v10
	v_bfrev_b32_e32 v25, 60
	v_lshlrev_b32_e32 v23, 20, v23
	v_and_b32_e32 v10, 0x80000000, v10
	v_lshl_add_u32 v13, v13, 23, v25
	v_or3_b32 v10, v10, v13, v23
	v_lshrrev_b32_e32 v23, 16, v10
.LBB879_591:
	s_or_b64 exec, exec, s[10:11]
.LBB879_592:
	s_or_b64 exec, exec, s[8:9]
.LBB879_593:
	s_or_b64 exec, exec, s[2:3]
	s_mov_b32 s2, 0x5040100
	v_perm_b32 v19, v19, v20, s2
	v_perm_b32 v18, v11, v18, s2
	ds_read_b128 v[28:31], v22 offset:2064
	v_perm_b32 v11, v23, v24, s2
	v_perm_b32 v10, v12, v21, s2
	s_waitcnt lgkmcnt(0)
	v_mfma_f32_16x16x16bf16_1k v[32:35], v[18:19], v[28:29], v[14:17]
	s_nop 6
	v_mov_b32_e32 v15, 0
	s_waitcnt vmcnt(1)
	v_cmp_ne_u16_sdwa s[8:9], v6, v15 src0_sel:BYTE_0 src1_sel:DWORD
	v_mfma_f32_16x16x16bf16_1k v[10:13], v[10:11], v[30:31], v[32:35]
	v_mov_b32_e32 v16, 0
	s_and_saveexec_b64 s[2:3], s[8:9]
	s_cbranch_execz .LBB879_599
; %bb.594:
	s_movk_i32 s7, 0x80
	v_cmp_ne_u16_sdwa s[10:11], v6, s7 src0_sel:BYTE_0 src1_sel:DWORD
	v_mov_b32_e32 v16, 0xffff8000
	s_and_saveexec_b64 s[8:9], s[10:11]
	s_cbranch_execz .LBB879_598
; %bb.595:
	s_movk_i32 s7, 0x7f
	v_and_b32_e32 v14, 0x7f, v6
	v_cmp_ne_u32_e32 vcc, s7, v14
	v_mov_b32_e32 v16, 0x7f80
	s_and_saveexec_b64 s[10:11], vcc
	s_cbranch_execz .LBB879_597
; %bb.596:
	v_and_b32_e32 v18, 7, v6
	v_ffbh_u32_e32 v16, v18
	v_min_u32_e32 v20, 32, v16
	v_subrev_u32_e32 v16, 28, v20
	v_lshlrev_b64 v[16:17], v16, v[6:7]
	v_lshrrev_b32_e32 v19, 3, v14
	v_sub_u32_e32 v17, 29, v20
	v_and_b32_e32 v16, 7, v16
	v_cmp_gt_u32_e32 vcc, 8, v14
	v_cndmask_b32_e32 v14, v19, v17, vcc
	v_cndmask_b32_e32 v16, v18, v16, vcc
	v_lshlrev_b32_e32 v17, 24, v6
	v_bfrev_b32_e32 v18, 60
	v_lshlrev_b32_e32 v16, 20, v16
	v_and_b32_e32 v17, 0x80000000, v17
	v_lshl_add_u32 v14, v14, 23, v18
	v_or3_b32 v14, v17, v14, v16
	v_lshrrev_b32_e32 v16, 16, v14
.LBB879_597:
	s_or_b64 exec, exec, s[10:11]
.LBB879_598:
	s_or_b64 exec, exec, s[8:9]
.LBB879_599:
	s_or_b64 exec, exec, s[2:3]
	v_lshrrev_b16_e32 v14, 8, v6
	v_cmp_ne_u16_e32 vcc, 0, v14
	s_and_saveexec_b64 s[2:3], vcc
	s_cbranch_execz .LBB879_605
; %bb.600:
	s_movk_i32 s7, 0x80
	v_cmp_ne_u16_e32 vcc, s7, v14
	v_mov_b32_e32 v15, 0xffff8000
	s_and_saveexec_b64 s[8:9], vcc
	s_cbranch_execz .LBB879_604
; %bb.601:
	s_movk_i32 s7, 0x7f
	v_and_b32_e32 v17, 0x7f, v14
	v_cmp_ne_u32_e32 vcc, s7, v17
	v_mov_b32_e32 v15, 0x7f80
	s_and_saveexec_b64 s[10:11], vcc
	s_cbranch_execz .LBB879_603
; %bb.602:
	v_and_b32_e32 v18, 7, v14
	v_ffbh_u32_e32 v15, v18
	v_min_u32_e32 v20, 32, v15
	v_subrev_u32_e32 v15, 28, v20
	v_lshlrev_b64 v[14:15], v15, v[14:15]
	v_lshrrev_b32_e32 v19, 3, v17
	v_sub_u32_e32 v15, 29, v20
	v_and_b32_e32 v14, 7, v14
	v_cmp_gt_u32_e32 vcc, 8, v17
	v_cndmask_b32_e32 v15, v19, v15, vcc
	v_cndmask_b32_e32 v14, v18, v14, vcc
	v_lshlrev_b32_e32 v17, 16, v6
	v_bfrev_b32_e32 v18, 60
	v_lshlrev_b32_e32 v14, 20, v14
	v_and_b32_e32 v17, 0x80000000, v17
	v_lshl_add_u32 v15, v15, 23, v18
	v_or3_b32 v14, v17, v15, v14
	v_lshrrev_b32_e32 v15, 16, v14
.LBB879_603:
	s_or_b64 exec, exec, s[10:11]
.LBB879_604:
	s_or_b64 exec, exec, s[8:9]
.LBB879_605:
	s_or_b64 exec, exec, s[2:3]
	s_movk_i32 s2, 0xff
	v_and_b32_sdwa v19, v6, s2 dst_sel:DWORD dst_unused:UNUSED_PAD src0_sel:WORD_1 src1_sel:DWORD
	v_lshrrev_b32_e32 v14, 16, v6
	v_cmp_ne_u16_e32 vcc, 0, v19
	v_mov_b32_e32 v17, 0
	v_mov_b32_e32 v18, 0
	s_and_saveexec_b64 s[2:3], vcc
	s_cbranch_execz .LBB879_611
; %bb.606:
	s_movk_i32 s7, 0x80
	v_cmp_ne_u16_e32 vcc, s7, v19
	v_mov_b32_e32 v18, 0xffff8000
	s_and_saveexec_b64 s[8:9], vcc
	s_cbranch_execz .LBB879_610
; %bb.607:
	v_bfe_u32 v19, v6, 16, 7
	s_movk_i32 s7, 0x7f
	v_cmp_ne_u32_e32 vcc, s7, v19
	v_mov_b32_e32 v18, 0x7f80
	s_and_saveexec_b64 s[10:11], vcc
	s_cbranch_execz .LBB879_609
; %bb.608:
	v_and_b32_e32 v18, 7, v14
	v_ffbh_u32_e32 v20, v18
	v_min_u32_e32 v24, 32, v20
	v_subrev_u32_e32 v20, 28, v24
	v_lshlrev_b64 v[20:21], v20, v[14:15]
	v_lshrrev_b32_e32 v23, 3, v19
	v_sub_u32_e32 v14, 29, v24
	v_and_b32_e32 v20, 7, v20
	v_cmp_gt_u32_e32 vcc, 8, v19
	v_mov_b32_e32 v19, 24
	v_cndmask_b32_e32 v14, v23, v14, vcc
	v_cndmask_b32_e32 v18, v18, v20, vcc
	v_lshlrev_b32_sdwa v19, v19, v6 dst_sel:DWORD dst_unused:UNUSED_PAD src0_sel:DWORD src1_sel:WORD_1
	v_bfrev_b32_e32 v20, 60
	v_lshlrev_b32_e32 v18, 20, v18
	v_and_b32_e32 v19, 0x80000000, v19
	v_lshl_add_u32 v14, v14, 23, v20
	v_or3_b32 v14, v19, v14, v18
	v_lshrrev_b32_e32 v18, 16, v14
.LBB879_609:
	s_or_b64 exec, exec, s[10:11]
.LBB879_610:
	s_or_b64 exec, exec, s[8:9]
.LBB879_611:
	s_or_b64 exec, exec, s[2:3]
	s_mov_b32 s2, 0xffffff
	v_cmp_lt_u32_e32 vcc, s2, v6
	s_and_saveexec_b64 s[2:3], vcc
	s_cbranch_execz .LBB879_617
; %bb.612:
	v_lshrrev_b32_e32 v14, 24, v6
	s_movk_i32 s7, 0x80
	v_cmp_ne_u32_e32 vcc, s7, v14
	v_mov_b32_e32 v17, 0xffff8000
	s_and_saveexec_b64 s[8:9], vcc
	s_cbranch_execz .LBB879_616
; %bb.613:
	v_bfe_u32 v6, v6, 24, 7
	s_movk_i32 s7, 0x7f
	v_cmp_ne_u32_e32 vcc, s7, v6
	v_mov_b32_e32 v17, 0x7f80
	s_and_saveexec_b64 s[10:11], vcc
	s_cbranch_execz .LBB879_615
; %bb.614:
	v_and_b32_e32 v17, 7, v14
	v_ffbh_u32_e32 v20, v17
	v_min_u32_e32 v23, 32, v20
	v_subrev_u32_e32 v20, 28, v23
	v_lshlrev_b64 v[20:21], v20, v[14:15]
	v_lshrrev_b32_e32 v19, 3, v6
	v_sub_u32_e32 v21, 29, v23
	v_and_b32_e32 v20, 7, v20
	v_cmp_gt_u32_e32 vcc, 8, v6
	v_cndmask_b32_e32 v6, v19, v21, vcc
	v_cndmask_b32_e32 v17, v17, v20, vcc
	v_lshlrev_b32_e32 v14, 24, v14
	v_bfrev_b32_e32 v19, 60
	v_lshlrev_b32_e32 v17, 20, v17
	v_and_b32_e32 v14, 0x80000000, v14
	v_lshl_add_u32 v6, v6, 23, v19
	v_or3_b32 v6, v14, v6, v17
	v_lshrrev_b32_e32 v17, 16, v6
.LBB879_615:
	s_or_b64 exec, exec, s[10:11]
.LBB879_616:
	s_or_b64 exec, exec, s[8:9]
.LBB879_617:
	s_or_b64 exec, exec, s[2:3]
	v_mov_b32_e32 v14, 0
	v_cmp_ne_u16_sdwa s[8:9], v7, v14 src0_sel:BYTE_0 src1_sel:DWORD
	v_mov_b32_e32 v19, 0
	s_and_saveexec_b64 s[2:3], s[8:9]
	s_cbranch_execz .LBB879_623
; %bb.618:
	s_movk_i32 s7, 0x80
	v_cmp_ne_u16_sdwa s[10:11], v7, s7 src0_sel:BYTE_0 src1_sel:DWORD
	v_mov_b32_e32 v19, 0xffff8000
	s_and_saveexec_b64 s[8:9], s[10:11]
	s_cbranch_execz .LBB879_622
; %bb.619:
	s_movk_i32 s7, 0x7f
	v_and_b32_e32 v6, 0x7f, v7
	v_cmp_ne_u32_e32 vcc, s7, v6
	v_mov_b32_e32 v19, 0x7f80
	s_and_saveexec_b64 s[10:11], vcc
	s_cbranch_execz .LBB879_621
; %bb.620:
	v_and_b32_e32 v19, 7, v7
	v_ffbh_u32_e32 v21, v19
	v_min_u32_e32 v24, 32, v21
	v_mov_b32_e32 v20, v7
	v_subrev_u32_e32 v21, 28, v24
	v_lshlrev_b64 v[20:21], v21, v[20:21]
	v_lshrrev_b32_e32 v23, 3, v6
	v_sub_u32_e32 v21, 29, v24
	v_and_b32_e32 v20, 7, v20
	v_cmp_gt_u32_e32 vcc, 8, v6
	v_cndmask_b32_e32 v6, v23, v21, vcc
	v_cndmask_b32_e32 v19, v19, v20, vcc
	v_lshlrev_b32_e32 v20, 24, v7
	v_bfrev_b32_e32 v21, 60
	v_lshlrev_b32_e32 v19, 20, v19
	v_and_b32_e32 v20, 0x80000000, v20
	v_lshl_add_u32 v6, v6, 23, v21
	v_or3_b32 v6, v20, v6, v19
	v_lshrrev_b32_e32 v19, 16, v6
.LBB879_621:
	s_or_b64 exec, exec, s[10:11]
.LBB879_622:
	s_or_b64 exec, exec, s[8:9]
.LBB879_623:
	s_or_b64 exec, exec, s[2:3]
	v_lshrrev_b16_e32 v6, 8, v7
	v_cmp_ne_u16_e32 vcc, 0, v6
	s_and_saveexec_b64 s[2:3], vcc
	s_cbranch_execz .LBB879_629
; %bb.624:
	s_movk_i32 s7, 0x80
	v_cmp_ne_u16_e32 vcc, s7, v6
	v_mov_b32_e32 v14, 0xffff8000
	s_and_saveexec_b64 s[8:9], vcc
	s_cbranch_execz .LBB879_628
; %bb.625:
	s_movk_i32 s7, 0x7f
	v_and_b32_e32 v20, 0x7f, v6
	v_cmp_ne_u32_e32 vcc, s7, v20
	v_mov_b32_e32 v14, 0x7f80
	s_and_saveexec_b64 s[10:11], vcc
	s_cbranch_execz .LBB879_627
; %bb.626:
	v_and_b32_e32 v14, 7, v6
	v_ffbh_u32_e32 v23, v14
	v_min_u32_e32 v23, 32, v23
	v_subrev_u32_e32 v24, 28, v23
	v_lshlrev_b64 v[24:25], v24, v[6:7]
	v_lshrrev_b32_e32 v21, 3, v20
	v_sub_u32_e32 v6, 29, v23
	v_and_b32_e32 v23, 7, v24
	v_cmp_gt_u32_e32 vcc, 8, v20
	v_cndmask_b32_e32 v6, v21, v6, vcc
	v_cndmask_b32_e32 v14, v14, v23, vcc
	v_lshlrev_b32_e32 v20, 16, v7
	v_bfrev_b32_e32 v21, 60
	v_lshlrev_b32_e32 v14, 20, v14
	v_and_b32_e32 v20, 0x80000000, v20
	v_lshl_add_u32 v6, v6, 23, v21
	v_or3_b32 v6, v20, v6, v14
	v_lshrrev_b32_e32 v14, 16, v6
.LBB879_627:
	s_or_b64 exec, exec, s[10:11]
.LBB879_628:
	s_or_b64 exec, exec, s[8:9]
.LBB879_629:
	s_or_b64 exec, exec, s[2:3]
	s_movk_i32 s2, 0xff
	v_and_b32_sdwa v23, v7, s2 dst_sel:DWORD dst_unused:UNUSED_PAD src0_sel:WORD_1 src1_sel:DWORD
	v_lshrrev_b32_e32 v6, 16, v7
	v_cmp_ne_u16_e32 vcc, 0, v23
	v_mov_b32_e32 v20, 0
	v_mov_b32_e32 v21, 0
	s_and_saveexec_b64 s[2:3], vcc
	s_cbranch_execz .LBB879_635
; %bb.630:
	s_movk_i32 s7, 0x80
	v_cmp_ne_u16_e32 vcc, s7, v23
	v_mov_b32_e32 v21, 0xffff8000
	s_and_saveexec_b64 s[8:9], vcc
	s_cbranch_execz .LBB879_634
; %bb.631:
	v_bfe_u32 v23, v7, 16, 7
	s_movk_i32 s7, 0x7f
	v_cmp_ne_u32_e32 vcc, s7, v23
	v_mov_b32_e32 v21, 0x7f80
	s_and_saveexec_b64 s[10:11], vcc
	s_cbranch_execz .LBB879_633
; %bb.632:
	v_and_b32_e32 v21, 7, v6
	v_ffbh_u32_e32 v24, v21
	v_min_u32_e32 v28, 32, v24
	v_subrev_u32_e32 v24, 28, v28
	v_lshlrev_b64 v[24:25], v24, v[6:7]
	v_lshrrev_b32_e32 v27, 3, v23
	v_sub_u32_e32 v6, 29, v28
	v_and_b32_e32 v24, 7, v24
	v_cmp_gt_u32_e32 vcc, 8, v23
	v_mov_b32_e32 v23, 24
	v_cndmask_b32_e32 v6, v27, v6, vcc
	v_cndmask_b32_e32 v21, v21, v24, vcc
	v_lshlrev_b32_sdwa v23, v23, v7 dst_sel:DWORD dst_unused:UNUSED_PAD src0_sel:DWORD src1_sel:WORD_1
	v_bfrev_b32_e32 v24, 60
	v_lshlrev_b32_e32 v21, 20, v21
	v_and_b32_e32 v23, 0x80000000, v23
	v_lshl_add_u32 v6, v6, 23, v24
	v_or3_b32 v6, v23, v6, v21
	v_lshrrev_b32_e32 v21, 16, v6
.LBB879_633:
	s_or_b64 exec, exec, s[10:11]
.LBB879_634:
	s_or_b64 exec, exec, s[8:9]
.LBB879_635:
	s_or_b64 exec, exec, s[2:3]
	s_mov_b32 s2, 0xffffff
	v_cmp_lt_u32_e32 vcc, s2, v7
	s_and_saveexec_b64 s[2:3], vcc
	s_cbranch_execz .LBB879_641
; %bb.636:
	v_lshrrev_b32_e32 v6, 24, v7
	s_movk_i32 s7, 0x80
	v_cmp_ne_u32_e32 vcc, s7, v6
	v_mov_b32_e32 v20, 0xffff8000
	s_and_saveexec_b64 s[8:9], vcc
	s_cbranch_execz .LBB879_640
; %bb.637:
	v_bfe_u32 v7, v7, 24, 7
	s_movk_i32 s7, 0x7f
	v_cmp_ne_u32_e32 vcc, s7, v7
	v_mov_b32_e32 v20, 0x7f80
	s_and_saveexec_b64 s[10:11], vcc
	s_cbranch_execz .LBB879_639
; %bb.638:
	v_and_b32_e32 v20, 7, v6
	v_ffbh_u32_e32 v24, v20
	v_min_u32_e32 v27, 32, v24
	v_subrev_u32_e32 v24, 28, v27
	v_lshlrev_b64 v[24:25], v24, v[6:7]
	v_lshrrev_b32_e32 v23, 3, v7
	v_sub_u32_e32 v25, 29, v27
	v_and_b32_e32 v24, 7, v24
	v_cmp_gt_u32_e32 vcc, 8, v7
	v_cndmask_b32_e32 v7, v23, v25, vcc
	v_cndmask_b32_e32 v20, v20, v24, vcc
	v_lshlrev_b32_e32 v6, 24, v6
	v_bfrev_b32_e32 v23, 60
	v_lshlrev_b32_e32 v20, 20, v20
	v_and_b32_e32 v6, 0x80000000, v6
	v_lshl_add_u32 v7, v7, 23, v23
	v_or3_b32 v6, v6, v7, v20
	v_lshrrev_b32_e32 v20, 16, v6
.LBB879_639:
	s_or_b64 exec, exec, s[10:11]
.LBB879_640:
	s_or_b64 exec, exec, s[8:9]
.LBB879_641:
	s_or_b64 exec, exec, s[2:3]
	s_mov_b32 s2, 0x5040100
	v_perm_b32 v7, v17, v18, s2
	v_perm_b32 v6, v15, v16, s2
	ds_read_b128 v[28:31], v22 offset:4096
	v_perm_b32 v17, v20, v21, s2
	v_perm_b32 v16, v14, v19, s2
	s_waitcnt lgkmcnt(0)
	v_mfma_f32_16x16x16bf16_1k v[10:13], v[6:7], v[28:29], v[10:13]
	v_mov_b32_e32 v7, 0
	v_cmp_ne_u16_sdwa s[8:9], v8, v7 src0_sel:BYTE_0 src1_sel:DWORD
	v_mov_b32_e32 v14, 0
	v_mfma_f32_16x16x16bf16_1k v[10:13], v[16:17], v[30:31], v[10:13]
	s_and_saveexec_b64 s[2:3], s[8:9]
	s_cbranch_execz .LBB879_647
; %bb.642:
	s_movk_i32 s7, 0x80
	v_cmp_ne_u16_sdwa s[10:11], v8, s7 src0_sel:BYTE_0 src1_sel:DWORD
	v_mov_b32_e32 v14, 0xffff8000
	s_and_saveexec_b64 s[8:9], s[10:11]
	s_cbranch_execz .LBB879_646
; %bb.643:
	s_movk_i32 s7, 0x7f
	v_and_b32_e32 v6, 0x7f, v8
	v_cmp_ne_u32_e32 vcc, s7, v6
	v_mov_b32_e32 v14, 0x7f80
	s_and_saveexec_b64 s[10:11], vcc
	s_cbranch_execz .LBB879_645
; %bb.644:
	v_and_b32_e32 v16, 7, v8
	v_ffbh_u32_e32 v14, v16
	v_min_u32_e32 v18, 32, v14
	v_subrev_u32_e32 v14, 28, v18
	v_lshlrev_b64 v[14:15], v14, v[8:9]
	v_lshrrev_b32_e32 v17, 3, v6
	v_sub_u32_e32 v15, 29, v18
	v_and_b32_e32 v14, 7, v14
	v_cmp_gt_u32_e32 vcc, 8, v6
	v_cndmask_b32_e32 v6, v17, v15, vcc
	v_cndmask_b32_e32 v14, v16, v14, vcc
	v_lshlrev_b32_e32 v15, 24, v8
	v_bfrev_b32_e32 v16, 60
	v_lshlrev_b32_e32 v14, 20, v14
	v_and_b32_e32 v15, 0x80000000, v15
	v_lshl_add_u32 v6, v6, 23, v16
	v_or3_b32 v6, v15, v6, v14
	v_lshrrev_b32_e32 v14, 16, v6
.LBB879_645:
	s_or_b64 exec, exec, s[10:11]
.LBB879_646:
	s_or_b64 exec, exec, s[8:9]
.LBB879_647:
	s_or_b64 exec, exec, s[2:3]
	v_lshrrev_b16_e32 v6, 8, v8
	v_cmp_ne_u16_e32 vcc, 0, v6
	s_and_saveexec_b64 s[2:3], vcc
	s_cbranch_execz .LBB879_653
; %bb.648:
	s_movk_i32 s7, 0x80
	v_cmp_ne_u16_e32 vcc, s7, v6
	v_mov_b32_e32 v7, 0xffff8000
	s_and_saveexec_b64 s[8:9], vcc
	s_cbranch_execz .LBB879_652
; %bb.649:
	s_movk_i32 s7, 0x7f
	v_and_b32_e32 v15, 0x7f, v6
	v_cmp_ne_u32_e32 vcc, s7, v15
	v_mov_b32_e32 v7, 0x7f80
	s_and_saveexec_b64 s[10:11], vcc
	s_cbranch_execz .LBB879_651
; %bb.650:
	v_and_b32_e32 v16, 7, v6
	v_ffbh_u32_e32 v7, v16
	v_min_u32_e32 v18, 32, v7
	v_subrev_u32_e32 v7, 28, v18
	v_lshlrev_b64 v[6:7], v7, v[6:7]
	v_lshrrev_b32_e32 v17, 3, v15
	v_sub_u32_e32 v7, 29, v18
	v_and_b32_e32 v6, 7, v6
	v_cmp_gt_u32_e32 vcc, 8, v15
	v_cndmask_b32_e32 v7, v17, v7, vcc
	v_cndmask_b32_e32 v6, v16, v6, vcc
	v_lshlrev_b32_e32 v15, 16, v8
	v_bfrev_b32_e32 v16, 60
	v_lshlrev_b32_e32 v6, 20, v6
	v_and_b32_e32 v15, 0x80000000, v15
	v_lshl_add_u32 v7, v7, 23, v16
	v_or3_b32 v6, v15, v7, v6
	v_lshrrev_b32_e32 v7, 16, v6
.LBB879_651:
	s_or_b64 exec, exec, s[10:11]
.LBB879_652:
	s_or_b64 exec, exec, s[8:9]
.LBB879_653:
	s_or_b64 exec, exec, s[2:3]
	s_movk_i32 s2, 0xff
	v_and_b32_sdwa v17, v8, s2 dst_sel:DWORD dst_unused:UNUSED_PAD src0_sel:WORD_1 src1_sel:DWORD
	v_lshrrev_b32_e32 v6, 16, v8
	v_cmp_ne_u16_e32 vcc, 0, v17
	v_mov_b32_e32 v15, 0
	v_mov_b32_e32 v16, 0
	s_and_saveexec_b64 s[2:3], vcc
	s_cbranch_execz .LBB879_659
; %bb.654:
	s_movk_i32 s7, 0x80
	v_cmp_ne_u16_e32 vcc, s7, v17
	v_mov_b32_e32 v16, 0xffff8000
	s_and_saveexec_b64 s[8:9], vcc
	s_cbranch_execz .LBB879_658
; %bb.655:
	v_bfe_u32 v17, v8, 16, 7
	s_movk_i32 s7, 0x7f
	v_cmp_ne_u32_e32 vcc, s7, v17
	v_mov_b32_e32 v16, 0x7f80
	s_and_saveexec_b64 s[10:11], vcc
	s_cbranch_execz .LBB879_657
; %bb.656:
	v_and_b32_e32 v16, 7, v6
	v_ffbh_u32_e32 v18, v16
	v_min_u32_e32 v21, 32, v18
	v_subrev_u32_e32 v18, 28, v21
	v_lshlrev_b64 v[18:19], v18, v[6:7]
	v_lshrrev_b32_e32 v20, 3, v17
	v_sub_u32_e32 v6, 29, v21
	v_and_b32_e32 v18, 7, v18
	v_cmp_gt_u32_e32 vcc, 8, v17
	v_mov_b32_e32 v17, 24
	v_cndmask_b32_e32 v6, v20, v6, vcc
	v_cndmask_b32_e32 v16, v16, v18, vcc
	v_lshlrev_b32_sdwa v17, v17, v8 dst_sel:DWORD dst_unused:UNUSED_PAD src0_sel:DWORD src1_sel:WORD_1
	v_bfrev_b32_e32 v18, 60
	v_lshlrev_b32_e32 v16, 20, v16
	v_and_b32_e32 v17, 0x80000000, v17
	v_lshl_add_u32 v6, v6, 23, v18
	v_or3_b32 v6, v17, v6, v16
	v_lshrrev_b32_e32 v16, 16, v6
.LBB879_657:
	s_or_b64 exec, exec, s[10:11]
.LBB879_658:
	s_or_b64 exec, exec, s[8:9]
.LBB879_659:
	s_or_b64 exec, exec, s[2:3]
	s_mov_b32 s2, 0xffffff
	v_cmp_lt_u32_e32 vcc, s2, v8
	s_and_saveexec_b64 s[2:3], vcc
	s_cbranch_execz .LBB879_665
; %bb.660:
	v_lshrrev_b32_e32 v6, 24, v8
	s_movk_i32 s7, 0x80
	v_cmp_ne_u32_e32 vcc, s7, v6
	v_mov_b32_e32 v15, 0xffff8000
	s_and_saveexec_b64 s[8:9], vcc
	s_cbranch_execz .LBB879_664
; %bb.661:
	v_bfe_u32 v8, v8, 24, 7
	s_movk_i32 s7, 0x7f
	v_cmp_ne_u32_e32 vcc, s7, v8
	v_mov_b32_e32 v15, 0x7f80
	s_and_saveexec_b64 s[10:11], vcc
	s_cbranch_execz .LBB879_663
; %bb.662:
	v_and_b32_e32 v15, 7, v6
	v_ffbh_u32_e32 v18, v15
	v_min_u32_e32 v20, 32, v18
	v_subrev_u32_e32 v18, 28, v20
	v_lshlrev_b64 v[18:19], v18, v[6:7]
	v_lshrrev_b32_e32 v17, 3, v8
	v_sub_u32_e32 v19, 29, v20
	v_and_b32_e32 v18, 7, v18
	v_cmp_gt_u32_e32 vcc, 8, v8
	v_cndmask_b32_e32 v8, v17, v19, vcc
	v_cndmask_b32_e32 v15, v15, v18, vcc
	v_lshlrev_b32_e32 v6, 24, v6
	v_bfrev_b32_e32 v17, 60
	v_lshlrev_b32_e32 v15, 20, v15
	v_and_b32_e32 v6, 0x80000000, v6
	v_lshl_add_u32 v8, v8, 23, v17
	v_or3_b32 v6, v6, v8, v15
	v_lshrrev_b32_e32 v15, 16, v6
.LBB879_663:
	s_or_b64 exec, exec, s[10:11]
.LBB879_664:
	s_or_b64 exec, exec, s[8:9]
.LBB879_665:
	s_or_b64 exec, exec, s[2:3]
	v_mov_b32_e32 v8, 0
	v_cmp_ne_u16_sdwa s[8:9], v9, v8 src0_sel:BYTE_0 src1_sel:DWORD
	v_mov_b32_e32 v17, 0
	s_and_saveexec_b64 s[2:3], s[8:9]
	s_cbranch_execz .LBB879_671
; %bb.666:
	s_movk_i32 s7, 0x80
	v_cmp_ne_u16_sdwa s[10:11], v9, s7 src0_sel:BYTE_0 src1_sel:DWORD
	v_mov_b32_e32 v17, 0xffff8000
	s_and_saveexec_b64 s[8:9], s[10:11]
	s_cbranch_execz .LBB879_670
; %bb.667:
	s_movk_i32 s7, 0x7f
	v_and_b32_e32 v6, 0x7f, v9
	v_cmp_ne_u32_e32 vcc, s7, v6
	v_mov_b32_e32 v17, 0x7f80
	s_and_saveexec_b64 s[10:11], vcc
	s_cbranch_execz .LBB879_669
; %bb.668:
	v_and_b32_e32 v17, 7, v9
	v_ffbh_u32_e32 v19, v17
	v_min_u32_e32 v21, 32, v19
	v_mov_b32_e32 v18, v9
	v_subrev_u32_e32 v19, 28, v21
	v_lshlrev_b64 v[18:19], v19, v[18:19]
	v_lshrrev_b32_e32 v20, 3, v6
	v_sub_u32_e32 v19, 29, v21
	v_and_b32_e32 v18, 7, v18
	v_cmp_gt_u32_e32 vcc, 8, v6
	v_cndmask_b32_e32 v6, v20, v19, vcc
	v_cndmask_b32_e32 v17, v17, v18, vcc
	v_lshlrev_b32_e32 v18, 24, v9
	v_bfrev_b32_e32 v19, 60
	v_lshlrev_b32_e32 v17, 20, v17
	v_and_b32_e32 v18, 0x80000000, v18
	v_lshl_add_u32 v6, v6, 23, v19
	v_or3_b32 v6, v18, v6, v17
	v_lshrrev_b32_e32 v17, 16, v6
.LBB879_669:
	s_or_b64 exec, exec, s[10:11]
.LBB879_670:
	s_or_b64 exec, exec, s[8:9]
.LBB879_671:
	s_or_b64 exec, exec, s[2:3]
	v_lshrrev_b16_e32 v6, 8, v9
	v_cmp_ne_u16_e32 vcc, 0, v6
	s_and_saveexec_b64 s[2:3], vcc
	s_cbranch_execz .LBB879_677
; %bb.672:
	s_movk_i32 s7, 0x80
	v_cmp_ne_u16_e32 vcc, s7, v6
	v_mov_b32_e32 v8, 0xffff8000
	s_and_saveexec_b64 s[8:9], vcc
	s_cbranch_execz .LBB879_676
; %bb.673:
	s_movk_i32 s7, 0x7f
	v_and_b32_e32 v18, 0x7f, v6
	v_cmp_ne_u32_e32 vcc, s7, v18
	v_mov_b32_e32 v8, 0x7f80
	s_and_saveexec_b64 s[10:11], vcc
	s_cbranch_execz .LBB879_675
; %bb.674:
	v_and_b32_e32 v8, 7, v6
	v_ffbh_u32_e32 v20, v8
	v_min_u32_e32 v23, 32, v20
	v_subrev_u32_e32 v20, 28, v23
	v_lshlrev_b64 v[20:21], v20, v[6:7]
	v_lshrrev_b32_e32 v19, 3, v18
	v_sub_u32_e32 v6, 29, v23
	v_and_b32_e32 v20, 7, v20
	v_cmp_gt_u32_e32 vcc, 8, v18
	v_cndmask_b32_e32 v6, v19, v6, vcc
	v_cndmask_b32_e32 v8, v8, v20, vcc
	v_lshlrev_b32_e32 v18, 16, v9
	v_bfrev_b32_e32 v19, 60
	v_lshlrev_b32_e32 v8, 20, v8
	v_and_b32_e32 v18, 0x80000000, v18
	v_lshl_add_u32 v6, v6, 23, v19
	v_or3_b32 v6, v18, v6, v8
	v_lshrrev_b32_e32 v8, 16, v6
.LBB879_675:
	s_or_b64 exec, exec, s[10:11]
.LBB879_676:
	s_or_b64 exec, exec, s[8:9]
.LBB879_677:
	s_or_b64 exec, exec, s[2:3]
	s_movk_i32 s2, 0xff
	v_and_b32_sdwa v20, v9, s2 dst_sel:DWORD dst_unused:UNUSED_PAD src0_sel:WORD_1 src1_sel:DWORD
	v_lshrrev_b32_e32 v6, 16, v9
	v_cmp_ne_u16_e32 vcc, 0, v20
	v_mov_b32_e32 v18, 0
	v_mov_b32_e32 v19, 0
	s_and_saveexec_b64 s[2:3], vcc
	s_cbranch_execz .LBB879_683
; %bb.678:
	s_movk_i32 s7, 0x80
	v_cmp_ne_u16_e32 vcc, s7, v20
	v_mov_b32_e32 v19, 0xffff8000
	s_and_saveexec_b64 s[8:9], vcc
	s_cbranch_execz .LBB879_682
; %bb.679:
	v_bfe_u32 v20, v9, 16, 7
	s_movk_i32 s7, 0x7f
	v_cmp_ne_u32_e32 vcc, s7, v20
	v_mov_b32_e32 v19, 0x7f80
	s_and_saveexec_b64 s[10:11], vcc
	s_cbranch_execz .LBB879_681
; %bb.680:
	v_and_b32_e32 v19, 7, v6
	v_ffbh_u32_e32 v23, v19
	v_min_u32_e32 v23, 32, v23
	v_subrev_u32_e32 v24, 28, v23
	v_lshlrev_b64 v[24:25], v24, v[6:7]
	v_lshrrev_b32_e32 v21, 3, v20
	v_sub_u32_e32 v6, 29, v23
	v_and_b32_e32 v23, 7, v24
	v_cmp_gt_u32_e32 vcc, 8, v20
	v_mov_b32_e32 v20, 24
	v_cndmask_b32_e32 v6, v21, v6, vcc
	v_cndmask_b32_e32 v19, v19, v23, vcc
	v_lshlrev_b32_sdwa v20, v20, v9 dst_sel:DWORD dst_unused:UNUSED_PAD src0_sel:DWORD src1_sel:WORD_1
	v_bfrev_b32_e32 v21, 60
	v_lshlrev_b32_e32 v19, 20, v19
	v_and_b32_e32 v20, 0x80000000, v20
	v_lshl_add_u32 v6, v6, 23, v21
	v_or3_b32 v6, v20, v6, v19
	v_lshrrev_b32_e32 v19, 16, v6
.LBB879_681:
	s_or_b64 exec, exec, s[10:11]
.LBB879_682:
	s_or_b64 exec, exec, s[8:9]
.LBB879_683:
	s_or_b64 exec, exec, s[2:3]
	s_mov_b32 s2, 0xffffff
	v_cmp_lt_u32_e32 vcc, s2, v9
	s_and_saveexec_b64 s[2:3], vcc
	s_cbranch_execz .LBB879_689
; %bb.684:
	v_lshrrev_b32_e32 v6, 24, v9
	s_movk_i32 s7, 0x80
	v_cmp_ne_u32_e32 vcc, s7, v6
	v_mov_b32_e32 v18, 0xffff8000
	s_and_saveexec_b64 s[8:9], vcc
	s_cbranch_execz .LBB879_688
; %bb.685:
	v_bfe_u32 v9, v9, 24, 7
	s_movk_i32 s7, 0x7f
	v_cmp_ne_u32_e32 vcc, s7, v9
	v_mov_b32_e32 v18, 0x7f80
	s_and_saveexec_b64 s[10:11], vcc
	s_cbranch_execz .LBB879_687
; %bb.686:
	v_and_b32_e32 v18, 7, v6
	v_ffbh_u32_e32 v20, v18
	v_min_u32_e32 v24, 32, v20
	v_subrev_u32_e32 v20, 28, v24
	v_lshlrev_b64 v[20:21], v20, v[6:7]
	v_lshrrev_b32_e32 v23, 3, v9
	v_sub_u32_e32 v21, 29, v24
	v_and_b32_e32 v20, 7, v20
	v_cmp_gt_u32_e32 vcc, 8, v9
	v_cndmask_b32_e32 v9, v23, v21, vcc
	v_cndmask_b32_e32 v18, v18, v20, vcc
	v_lshlrev_b32_e32 v6, 24, v6
	v_bfrev_b32_e32 v20, 60
	v_lshlrev_b32_e32 v18, 20, v18
	v_and_b32_e32 v6, 0x80000000, v6
	v_lshl_add_u32 v9, v9, 23, v20
	v_or3_b32 v6, v6, v9, v18
	v_lshrrev_b32_e32 v18, 16, v6
.LBB879_687:
	s_or_b64 exec, exec, s[10:11]
.LBB879_688:
	s_or_b64 exec, exec, s[8:9]
.LBB879_689:
	s_or_b64 exec, exec, s[2:3]
	s_mov_b32 s2, 0x5040100
	v_perm_b32 v15, v15, v16, s2
	v_perm_b32 v14, v7, v14, s2
	ds_read_b128 v[28:31], v22 offset:4112
	v_perm_b32 v7, v18, v19, s2
	v_perm_b32 v6, v8, v17, s2
	s_waitcnt lgkmcnt(0)
	v_mfma_f32_16x16x16bf16_1k v[32:35], v[14:15], v[28:29], v[10:13]
	s_nop 6
	v_mov_b32_e32 v11, 0
	s_waitcnt vmcnt(0)
	v_cmp_ne_u16_sdwa s[8:9], v2, v11 src0_sel:BYTE_0 src1_sel:DWORD
	v_mfma_f32_16x16x16bf16_1k v[6:9], v[6:7], v[30:31], v[32:35]
	v_mov_b32_e32 v12, 0
	s_and_saveexec_b64 s[2:3], s[8:9]
	s_cbranch_execz .LBB879_695
; %bb.690:
	s_movk_i32 s7, 0x80
	v_cmp_ne_u16_sdwa s[10:11], v2, s7 src0_sel:BYTE_0 src1_sel:DWORD
	v_mov_b32_e32 v12, 0xffff8000
	s_and_saveexec_b64 s[8:9], s[10:11]
	s_cbranch_execz .LBB879_694
; %bb.691:
	s_movk_i32 s7, 0x7f
	v_and_b32_e32 v10, 0x7f, v2
	v_cmp_ne_u32_e32 vcc, s7, v10
	v_mov_b32_e32 v12, 0x7f80
	s_and_saveexec_b64 s[10:11], vcc
	s_cbranch_execz .LBB879_693
; %bb.692:
	v_and_b32_e32 v14, 7, v2
	v_ffbh_u32_e32 v12, v14
	v_min_u32_e32 v16, 32, v12
	v_subrev_u32_e32 v12, 28, v16
	v_lshlrev_b64 v[12:13], v12, v[2:3]
	v_lshrrev_b32_e32 v15, 3, v10
	v_sub_u32_e32 v13, 29, v16
	v_and_b32_e32 v12, 7, v12
	v_cmp_gt_u32_e32 vcc, 8, v10
	v_cndmask_b32_e32 v10, v15, v13, vcc
	v_cndmask_b32_e32 v12, v14, v12, vcc
	v_lshlrev_b32_e32 v13, 24, v2
	v_bfrev_b32_e32 v14, 60
	v_lshlrev_b32_e32 v12, 20, v12
	v_and_b32_e32 v13, 0x80000000, v13
	v_lshl_add_u32 v10, v10, 23, v14
	v_or3_b32 v10, v13, v10, v12
	v_lshrrev_b32_e32 v12, 16, v10
.LBB879_693:
	s_or_b64 exec, exec, s[10:11]
.LBB879_694:
	s_or_b64 exec, exec, s[8:9]
.LBB879_695:
	s_or_b64 exec, exec, s[2:3]
	v_lshrrev_b16_e32 v10, 8, v2
	v_cmp_ne_u16_e32 vcc, 0, v10
	s_and_saveexec_b64 s[2:3], vcc
	s_cbranch_execz .LBB879_701
; %bb.696:
	s_movk_i32 s7, 0x80
	v_cmp_ne_u16_e32 vcc, s7, v10
	v_mov_b32_e32 v11, 0xffff8000
	s_and_saveexec_b64 s[8:9], vcc
	s_cbranch_execz .LBB879_700
; %bb.697:
	s_movk_i32 s7, 0x7f
	v_and_b32_e32 v13, 0x7f, v10
	v_cmp_ne_u32_e32 vcc, s7, v13
	v_mov_b32_e32 v11, 0x7f80
	s_and_saveexec_b64 s[10:11], vcc
	s_cbranch_execz .LBB879_699
; %bb.698:
	v_and_b32_e32 v14, 7, v10
	v_ffbh_u32_e32 v11, v14
	v_min_u32_e32 v16, 32, v11
	v_subrev_u32_e32 v11, 28, v16
	v_lshlrev_b64 v[10:11], v11, v[10:11]
	v_lshrrev_b32_e32 v15, 3, v13
	v_sub_u32_e32 v11, 29, v16
	v_and_b32_e32 v10, 7, v10
	v_cmp_gt_u32_e32 vcc, 8, v13
	v_cndmask_b32_e32 v11, v15, v11, vcc
	v_cndmask_b32_e32 v10, v14, v10, vcc
	v_lshlrev_b32_e32 v13, 16, v2
	v_bfrev_b32_e32 v14, 60
	v_lshlrev_b32_e32 v10, 20, v10
	v_and_b32_e32 v13, 0x80000000, v13
	v_lshl_add_u32 v11, v11, 23, v14
	v_or3_b32 v10, v13, v11, v10
	v_lshrrev_b32_e32 v11, 16, v10
.LBB879_699:
	s_or_b64 exec, exec, s[10:11]
.LBB879_700:
	s_or_b64 exec, exec, s[8:9]
.LBB879_701:
	s_or_b64 exec, exec, s[2:3]
	s_movk_i32 s2, 0xff
	v_and_b32_sdwa v15, v2, s2 dst_sel:DWORD dst_unused:UNUSED_PAD src0_sel:WORD_1 src1_sel:DWORD
	v_lshrrev_b32_e32 v10, 16, v2
	v_cmp_ne_u16_e32 vcc, 0, v15
	v_mov_b32_e32 v13, 0
	v_mov_b32_e32 v14, 0
	s_and_saveexec_b64 s[2:3], vcc
	s_cbranch_execz .LBB879_707
; %bb.702:
	s_movk_i32 s7, 0x80
	v_cmp_ne_u16_e32 vcc, s7, v15
	v_mov_b32_e32 v14, 0xffff8000
	s_and_saveexec_b64 s[8:9], vcc
	s_cbranch_execz .LBB879_706
; %bb.703:
	v_bfe_u32 v15, v2, 16, 7
	s_movk_i32 s7, 0x7f
	v_cmp_ne_u32_e32 vcc, s7, v15
	v_mov_b32_e32 v14, 0x7f80
	s_and_saveexec_b64 s[10:11], vcc
	s_cbranch_execz .LBB879_705
; %bb.704:
	v_and_b32_e32 v14, 7, v10
	v_ffbh_u32_e32 v16, v14
	v_min_u32_e32 v19, 32, v16
	v_subrev_u32_e32 v16, 28, v19
	v_lshlrev_b64 v[16:17], v16, v[10:11]
	v_lshrrev_b32_e32 v18, 3, v15
	v_sub_u32_e32 v10, 29, v19
	v_and_b32_e32 v16, 7, v16
	v_cmp_gt_u32_e32 vcc, 8, v15
	v_mov_b32_e32 v15, 24
	v_cndmask_b32_e32 v10, v18, v10, vcc
	v_cndmask_b32_e32 v14, v14, v16, vcc
	v_lshlrev_b32_sdwa v15, v15, v2 dst_sel:DWORD dst_unused:UNUSED_PAD src0_sel:DWORD src1_sel:WORD_1
	v_bfrev_b32_e32 v16, 60
	v_lshlrev_b32_e32 v14, 20, v14
	v_and_b32_e32 v15, 0x80000000, v15
	v_lshl_add_u32 v10, v10, 23, v16
	v_or3_b32 v10, v15, v10, v14
	v_lshrrev_b32_e32 v14, 16, v10
.LBB879_705:
	s_or_b64 exec, exec, s[10:11]
.LBB879_706:
	s_or_b64 exec, exec, s[8:9]
.LBB879_707:
	s_or_b64 exec, exec, s[2:3]
	s_mov_b32 s2, 0xffffff
	v_cmp_lt_u32_e32 vcc, s2, v2
	s_and_saveexec_b64 s[2:3], vcc
	s_cbranch_execz .LBB879_713
; %bb.708:
	v_lshrrev_b32_e32 v10, 24, v2
	s_movk_i32 s7, 0x80
	v_cmp_ne_u32_e32 vcc, s7, v10
	v_mov_b32_e32 v13, 0xffff8000
	s_and_saveexec_b64 s[8:9], vcc
	s_cbranch_execz .LBB879_712
; %bb.709:
	v_bfe_u32 v2, v2, 24, 7
	s_movk_i32 s7, 0x7f
	v_cmp_ne_u32_e32 vcc, s7, v2
	v_mov_b32_e32 v13, 0x7f80
	s_and_saveexec_b64 s[10:11], vcc
	s_cbranch_execz .LBB879_711
; %bb.710:
	v_and_b32_e32 v13, 7, v10
	v_ffbh_u32_e32 v16, v13
	v_min_u32_e32 v18, 32, v16
	v_subrev_u32_e32 v16, 28, v18
	v_lshlrev_b64 v[16:17], v16, v[10:11]
	v_lshrrev_b32_e32 v15, 3, v2
	v_sub_u32_e32 v17, 29, v18
	v_and_b32_e32 v16, 7, v16
	v_cmp_gt_u32_e32 vcc, 8, v2
	v_cndmask_b32_e32 v2, v15, v17, vcc
	v_cndmask_b32_e32 v13, v13, v16, vcc
	v_lshlrev_b32_e32 v10, 24, v10
	v_bfrev_b32_e32 v15, 60
	v_lshlrev_b32_e32 v13, 20, v13
	v_and_b32_e32 v10, 0x80000000, v10
	v_lshl_add_u32 v2, v2, 23, v15
	v_or3_b32 v2, v10, v2, v13
	v_lshrrev_b32_e32 v13, 16, v2
.LBB879_711:
	s_or_b64 exec, exec, s[10:11]
.LBB879_712:
	s_or_b64 exec, exec, s[8:9]
.LBB879_713:
	s_or_b64 exec, exec, s[2:3]
	v_mov_b32_e32 v10, 0
	v_cmp_ne_u16_sdwa s[8:9], v3, v10 src0_sel:BYTE_0 src1_sel:DWORD
	v_mov_b32_e32 v15, 0
	s_and_saveexec_b64 s[2:3], s[8:9]
	s_cbranch_execz .LBB879_719
; %bb.714:
	s_movk_i32 s7, 0x80
	v_cmp_ne_u16_sdwa s[10:11], v3, s7 src0_sel:BYTE_0 src1_sel:DWORD
	v_mov_b32_e32 v15, 0xffff8000
	s_and_saveexec_b64 s[8:9], s[10:11]
	s_cbranch_execz .LBB879_718
; %bb.715:
	s_movk_i32 s7, 0x7f
	v_and_b32_e32 v2, 0x7f, v3
	v_cmp_ne_u32_e32 vcc, s7, v2
	v_mov_b32_e32 v15, 0x7f80
	s_and_saveexec_b64 s[10:11], vcc
	s_cbranch_execz .LBB879_717
; %bb.716:
	v_and_b32_e32 v15, 7, v3
	v_ffbh_u32_e32 v17, v15
	v_min_u32_e32 v19, 32, v17
	v_mov_b32_e32 v16, v3
	v_subrev_u32_e32 v17, 28, v19
	v_lshlrev_b64 v[16:17], v17, v[16:17]
	v_lshrrev_b32_e32 v18, 3, v2
	v_sub_u32_e32 v17, 29, v19
	v_and_b32_e32 v16, 7, v16
	v_cmp_gt_u32_e32 vcc, 8, v2
	v_cndmask_b32_e32 v2, v18, v17, vcc
	v_cndmask_b32_e32 v15, v15, v16, vcc
	v_lshlrev_b32_e32 v16, 24, v3
	v_bfrev_b32_e32 v17, 60
	v_lshlrev_b32_e32 v15, 20, v15
	v_and_b32_e32 v16, 0x80000000, v16
	v_lshl_add_u32 v2, v2, 23, v17
	v_or3_b32 v2, v16, v2, v15
	v_lshrrev_b32_e32 v15, 16, v2
.LBB879_717:
	s_or_b64 exec, exec, s[10:11]
.LBB879_718:
	s_or_b64 exec, exec, s[8:9]
.LBB879_719:
	s_or_b64 exec, exec, s[2:3]
	v_lshrrev_b16_e32 v2, 8, v3
	v_cmp_ne_u16_e32 vcc, 0, v2
	s_and_saveexec_b64 s[2:3], vcc
	s_cbranch_execz .LBB879_725
; %bb.720:
	s_movk_i32 s7, 0x80
	v_cmp_ne_u16_e32 vcc, s7, v2
	v_mov_b32_e32 v10, 0xffff8000
	s_and_saveexec_b64 s[8:9], vcc
	s_cbranch_execz .LBB879_724
; %bb.721:
	s_movk_i32 s7, 0x7f
	v_and_b32_e32 v16, 0x7f, v2
	v_cmp_ne_u32_e32 vcc, s7, v16
	v_mov_b32_e32 v10, 0x7f80
	s_and_saveexec_b64 s[10:11], vcc
	s_cbranch_execz .LBB879_723
; %bb.722:
	v_and_b32_e32 v10, 7, v2
	v_ffbh_u32_e32 v18, v10
	v_min_u32_e32 v20, 32, v18
	v_subrev_u32_e32 v18, 28, v20
	v_lshlrev_b64 v[18:19], v18, v[2:3]
	v_lshrrev_b32_e32 v17, 3, v16
	v_sub_u32_e32 v2, 29, v20
	v_and_b32_e32 v18, 7, v18
	v_cmp_gt_u32_e32 vcc, 8, v16
	v_cndmask_b32_e32 v2, v17, v2, vcc
	v_cndmask_b32_e32 v10, v10, v18, vcc
	v_lshlrev_b32_e32 v16, 16, v3
	v_bfrev_b32_e32 v17, 60
	v_lshlrev_b32_e32 v10, 20, v10
	v_and_b32_e32 v16, 0x80000000, v16
	v_lshl_add_u32 v2, v2, 23, v17
	v_or3_b32 v2, v16, v2, v10
	v_lshrrev_b32_e32 v10, 16, v2
.LBB879_723:
	s_or_b64 exec, exec, s[10:11]
.LBB879_724:
	s_or_b64 exec, exec, s[8:9]
.LBB879_725:
	s_or_b64 exec, exec, s[2:3]
	s_movk_i32 s2, 0xff
	v_and_b32_sdwa v18, v3, s2 dst_sel:DWORD dst_unused:UNUSED_PAD src0_sel:WORD_1 src1_sel:DWORD
	v_lshrrev_b32_e32 v2, 16, v3
	v_cmp_ne_u16_e32 vcc, 0, v18
	v_mov_b32_e32 v16, 0
	v_mov_b32_e32 v17, 0
	s_and_saveexec_b64 s[2:3], vcc
	s_cbranch_execz .LBB879_731
; %bb.726:
	s_movk_i32 s7, 0x80
	v_cmp_ne_u16_e32 vcc, s7, v18
	v_mov_b32_e32 v17, 0xffff8000
	s_and_saveexec_b64 s[8:9], vcc
	s_cbranch_execz .LBB879_730
; %bb.727:
	v_bfe_u32 v18, v3, 16, 7
	s_movk_i32 s7, 0x7f
	v_cmp_ne_u32_e32 vcc, s7, v18
	v_mov_b32_e32 v17, 0x7f80
	s_and_saveexec_b64 s[10:11], vcc
	s_cbranch_execz .LBB879_729
; %bb.728:
	v_and_b32_e32 v17, 7, v2
	v_ffbh_u32_e32 v20, v17
	v_min_u32_e32 v23, 32, v20
	v_subrev_u32_e32 v20, 28, v23
	v_lshlrev_b64 v[20:21], v20, v[2:3]
	v_lshrrev_b32_e32 v19, 3, v18
	v_sub_u32_e32 v2, 29, v23
	v_and_b32_e32 v20, 7, v20
	v_cmp_gt_u32_e32 vcc, 8, v18
	v_mov_b32_e32 v18, 24
	v_cndmask_b32_e32 v2, v19, v2, vcc
	v_cndmask_b32_e32 v17, v17, v20, vcc
	v_lshlrev_b32_sdwa v18, v18, v3 dst_sel:DWORD dst_unused:UNUSED_PAD src0_sel:DWORD src1_sel:WORD_1
	v_bfrev_b32_e32 v19, 60
	v_lshlrev_b32_e32 v17, 20, v17
	v_and_b32_e32 v18, 0x80000000, v18
	v_lshl_add_u32 v2, v2, 23, v19
	v_or3_b32 v2, v18, v2, v17
	v_lshrrev_b32_e32 v17, 16, v2
.LBB879_729:
	s_or_b64 exec, exec, s[10:11]
.LBB879_730:
	s_or_b64 exec, exec, s[8:9]
.LBB879_731:
	s_or_b64 exec, exec, s[2:3]
	s_mov_b32 s2, 0xffffff
	v_cmp_lt_u32_e32 vcc, s2, v3
	s_and_saveexec_b64 s[2:3], vcc
	s_cbranch_execz .LBB879_737
; %bb.732:
	v_lshrrev_b32_e32 v2, 24, v3
	s_movk_i32 s7, 0x80
	v_cmp_ne_u32_e32 vcc, s7, v2
	v_mov_b32_e32 v16, 0xffff8000
	s_and_saveexec_b64 s[8:9], vcc
	s_cbranch_execz .LBB879_736
; %bb.733:
	v_bfe_u32 v3, v3, 24, 7
	s_movk_i32 s7, 0x7f
	v_cmp_ne_u32_e32 vcc, s7, v3
	v_mov_b32_e32 v16, 0x7f80
	s_and_saveexec_b64 s[10:11], vcc
	s_cbranch_execz .LBB879_735
; %bb.734:
	v_and_b32_e32 v16, 7, v2
	v_ffbh_u32_e32 v18, v16
	v_min_u32_e32 v21, 32, v18
	v_subrev_u32_e32 v18, 28, v21
	v_lshlrev_b64 v[18:19], v18, v[2:3]
	v_lshrrev_b32_e32 v20, 3, v3
	v_sub_u32_e32 v19, 29, v21
	v_and_b32_e32 v18, 7, v18
	v_cmp_gt_u32_e32 vcc, 8, v3
	v_cndmask_b32_e32 v3, v20, v19, vcc
	v_cndmask_b32_e32 v16, v16, v18, vcc
	v_lshlrev_b32_e32 v2, 24, v2
	v_bfrev_b32_e32 v18, 60
	v_lshlrev_b32_e32 v16, 20, v16
	v_and_b32_e32 v2, 0x80000000, v2
	v_lshl_add_u32 v3, v3, 23, v18
	v_or3_b32 v2, v2, v3, v16
	v_lshrrev_b32_e32 v16, 16, v2
.LBB879_735:
	s_or_b64 exec, exec, s[10:11]
.LBB879_736:
	s_or_b64 exec, exec, s[8:9]
.LBB879_737:
	s_or_b64 exec, exec, s[2:3]
	s_mov_b32 s2, 0x5040100
	v_perm_b32 v3, v13, v14, s2
	v_perm_b32 v2, v11, v12, s2
	ds_read_b128 v[18:21], v22 offset:6144
	v_perm_b32 v13, v16, v17, s2
	v_perm_b32 v12, v10, v15, s2
	s_waitcnt lgkmcnt(0)
	v_mfma_f32_16x16x16bf16_1k v[6:9], v[2:3], v[18:19], v[6:9]
	v_mov_b32_e32 v3, 0
	v_cmp_ne_u16_sdwa s[8:9], v4, v3 src0_sel:BYTE_0 src1_sel:DWORD
	v_mov_b32_e32 v10, 0
	v_mfma_f32_16x16x16bf16_1k v[6:9], v[12:13], v[20:21], v[6:9]
	s_and_saveexec_b64 s[2:3], s[8:9]
	s_cbranch_execz .LBB879_743
; %bb.738:
	s_movk_i32 s7, 0x80
	v_cmp_ne_u16_sdwa s[10:11], v4, s7 src0_sel:BYTE_0 src1_sel:DWORD
	v_mov_b32_e32 v10, 0xffff8000
	s_and_saveexec_b64 s[8:9], s[10:11]
	s_cbranch_execz .LBB879_742
; %bb.739:
	s_movk_i32 s7, 0x7f
	v_and_b32_e32 v2, 0x7f, v4
	v_cmp_ne_u32_e32 vcc, s7, v2
	v_mov_b32_e32 v10, 0x7f80
	s_and_saveexec_b64 s[10:11], vcc
	s_cbranch_execz .LBB879_741
; %bb.740:
	v_and_b32_e32 v12, 7, v4
	v_ffbh_u32_e32 v10, v12
	v_min_u32_e32 v14, 32, v10
	v_subrev_u32_e32 v10, 28, v14
	v_lshlrev_b64 v[10:11], v10, v[4:5]
	v_lshrrev_b32_e32 v13, 3, v2
	v_sub_u32_e32 v11, 29, v14
	v_and_b32_e32 v10, 7, v10
	v_cmp_gt_u32_e32 vcc, 8, v2
	v_cndmask_b32_e32 v2, v13, v11, vcc
	v_cndmask_b32_e32 v10, v12, v10, vcc
	v_lshlrev_b32_e32 v11, 24, v4
	v_bfrev_b32_e32 v12, 60
	v_lshlrev_b32_e32 v10, 20, v10
	v_and_b32_e32 v11, 0x80000000, v11
	v_lshl_add_u32 v2, v2, 23, v12
	v_or3_b32 v2, v11, v2, v10
	v_lshrrev_b32_e32 v10, 16, v2
.LBB879_741:
	s_or_b64 exec, exec, s[10:11]
.LBB879_742:
	s_or_b64 exec, exec, s[8:9]
.LBB879_743:
	s_or_b64 exec, exec, s[2:3]
	v_lshrrev_b16_e32 v2, 8, v4
	v_cmp_ne_u16_e32 vcc, 0, v2
	s_and_saveexec_b64 s[2:3], vcc
	s_cbranch_execz .LBB879_749
; %bb.744:
	s_movk_i32 s7, 0x80
	v_cmp_ne_u16_e32 vcc, s7, v2
	v_mov_b32_e32 v3, 0xffff8000
	s_and_saveexec_b64 s[8:9], vcc
	s_cbranch_execz .LBB879_748
; %bb.745:
	s_movk_i32 s7, 0x7f
	v_and_b32_e32 v11, 0x7f, v2
	v_cmp_ne_u32_e32 vcc, s7, v11
	v_mov_b32_e32 v3, 0x7f80
	s_and_saveexec_b64 s[10:11], vcc
	s_cbranch_execz .LBB879_747
; %bb.746:
	v_and_b32_e32 v12, 7, v2
	v_ffbh_u32_e32 v3, v12
	v_min_u32_e32 v14, 32, v3
	v_subrev_u32_e32 v3, 28, v14
	v_lshlrev_b64 v[2:3], v3, v[2:3]
	v_lshrrev_b32_e32 v13, 3, v11
	v_sub_u32_e32 v3, 29, v14
	v_and_b32_e32 v2, 7, v2
	v_cmp_gt_u32_e32 vcc, 8, v11
	v_cndmask_b32_e32 v3, v13, v3, vcc
	v_cndmask_b32_e32 v2, v12, v2, vcc
	v_lshlrev_b32_e32 v11, 16, v4
	v_bfrev_b32_e32 v12, 60
	v_lshlrev_b32_e32 v2, 20, v2
	v_and_b32_e32 v11, 0x80000000, v11
	v_lshl_add_u32 v3, v3, 23, v12
	v_or3_b32 v2, v11, v3, v2
	v_lshrrev_b32_e32 v3, 16, v2
.LBB879_747:
	s_or_b64 exec, exec, s[10:11]
.LBB879_748:
	s_or_b64 exec, exec, s[8:9]
.LBB879_749:
	s_or_b64 exec, exec, s[2:3]
	s_movk_i32 s2, 0xff
	v_and_b32_sdwa v13, v4, s2 dst_sel:DWORD dst_unused:UNUSED_PAD src0_sel:WORD_1 src1_sel:DWORD
	v_lshrrev_b32_e32 v2, 16, v4
	v_cmp_ne_u16_e32 vcc, 0, v13
	v_mov_b32_e32 v11, 0
	v_mov_b32_e32 v12, 0
	s_and_saveexec_b64 s[2:3], vcc
	s_cbranch_execz .LBB879_755
; %bb.750:
	s_movk_i32 s7, 0x80
	v_cmp_ne_u16_e32 vcc, s7, v13
	v_mov_b32_e32 v12, 0xffff8000
	s_and_saveexec_b64 s[8:9], vcc
	s_cbranch_execz .LBB879_754
; %bb.751:
	v_bfe_u32 v13, v4, 16, 7
	s_movk_i32 s7, 0x7f
	v_cmp_ne_u32_e32 vcc, s7, v13
	v_mov_b32_e32 v12, 0x7f80
	s_and_saveexec_b64 s[10:11], vcc
	s_cbranch_execz .LBB879_753
; %bb.752:
	v_and_b32_e32 v12, 7, v2
	v_ffbh_u32_e32 v14, v12
	v_min_u32_e32 v17, 32, v14
	v_subrev_u32_e32 v14, 28, v17
	v_lshlrev_b64 v[14:15], v14, v[2:3]
	v_lshrrev_b32_e32 v16, 3, v13
	v_sub_u32_e32 v2, 29, v17
	v_and_b32_e32 v14, 7, v14
	v_cmp_gt_u32_e32 vcc, 8, v13
	v_mov_b32_e32 v13, 24
	v_cndmask_b32_e32 v2, v16, v2, vcc
	v_cndmask_b32_e32 v12, v12, v14, vcc
	v_lshlrev_b32_sdwa v13, v13, v4 dst_sel:DWORD dst_unused:UNUSED_PAD src0_sel:DWORD src1_sel:WORD_1
	v_bfrev_b32_e32 v14, 60
	v_lshlrev_b32_e32 v12, 20, v12
	v_and_b32_e32 v13, 0x80000000, v13
	v_lshl_add_u32 v2, v2, 23, v14
	v_or3_b32 v2, v13, v2, v12
	v_lshrrev_b32_e32 v12, 16, v2
.LBB879_753:
	s_or_b64 exec, exec, s[10:11]
.LBB879_754:
	s_or_b64 exec, exec, s[8:9]
.LBB879_755:
	s_or_b64 exec, exec, s[2:3]
	s_mov_b32 s2, 0xffffff
	v_cmp_lt_u32_e32 vcc, s2, v4
	s_and_saveexec_b64 s[2:3], vcc
	s_cbranch_execz .LBB879_761
; %bb.756:
	v_lshrrev_b32_e32 v2, 24, v4
	s_movk_i32 s7, 0x80
	v_cmp_ne_u32_e32 vcc, s7, v2
	v_mov_b32_e32 v11, 0xffff8000
	s_and_saveexec_b64 s[8:9], vcc
	s_cbranch_execz .LBB879_760
; %bb.757:
	v_bfe_u32 v4, v4, 24, 7
	s_movk_i32 s7, 0x7f
	v_cmp_ne_u32_e32 vcc, s7, v4
	v_mov_b32_e32 v11, 0x7f80
	s_and_saveexec_b64 s[10:11], vcc
	s_cbranch_execz .LBB879_759
; %bb.758:
	v_and_b32_e32 v11, 7, v2
	v_ffbh_u32_e32 v14, v11
	v_min_u32_e32 v16, 32, v14
	v_subrev_u32_e32 v14, 28, v16
	v_lshlrev_b64 v[14:15], v14, v[2:3]
	v_lshrrev_b32_e32 v13, 3, v4
	v_sub_u32_e32 v15, 29, v16
	v_and_b32_e32 v14, 7, v14
	v_cmp_gt_u32_e32 vcc, 8, v4
	v_cndmask_b32_e32 v4, v13, v15, vcc
	v_cndmask_b32_e32 v11, v11, v14, vcc
	v_lshlrev_b32_e32 v2, 24, v2
	v_bfrev_b32_e32 v13, 60
	v_lshlrev_b32_e32 v11, 20, v11
	v_and_b32_e32 v2, 0x80000000, v2
	v_lshl_add_u32 v4, v4, 23, v13
	v_or3_b32 v2, v2, v4, v11
	v_lshrrev_b32_e32 v11, 16, v2
.LBB879_759:
	s_or_b64 exec, exec, s[10:11]
.LBB879_760:
	s_or_b64 exec, exec, s[8:9]
.LBB879_761:
	s_or_b64 exec, exec, s[2:3]
	v_mov_b32_e32 v4, 0
	v_cmp_ne_u16_sdwa s[8:9], v5, v4 src0_sel:BYTE_0 src1_sel:DWORD
	v_mov_b32_e32 v13, 0
	s_and_saveexec_b64 s[2:3], s[8:9]
	s_cbranch_execz .LBB879_767
; %bb.762:
	s_movk_i32 s7, 0x80
	v_cmp_ne_u16_sdwa s[10:11], v5, s7 src0_sel:BYTE_0 src1_sel:DWORD
	v_mov_b32_e32 v13, 0xffff8000
	s_and_saveexec_b64 s[8:9], s[10:11]
	s_cbranch_execz .LBB879_766
; %bb.763:
	s_movk_i32 s7, 0x7f
	v_and_b32_e32 v2, 0x7f, v5
	v_cmp_ne_u32_e32 vcc, s7, v2
	v_mov_b32_e32 v13, 0x7f80
	s_and_saveexec_b64 s[10:11], vcc
	s_cbranch_execz .LBB879_765
; %bb.764:
	v_and_b32_e32 v13, 7, v5
	v_ffbh_u32_e32 v15, v13
	v_min_u32_e32 v17, 32, v15
	v_mov_b32_e32 v14, v5
	v_subrev_u32_e32 v15, 28, v17
	v_lshlrev_b64 v[14:15], v15, v[14:15]
	v_lshrrev_b32_e32 v16, 3, v2
	v_sub_u32_e32 v15, 29, v17
	v_and_b32_e32 v14, 7, v14
	v_cmp_gt_u32_e32 vcc, 8, v2
	v_cndmask_b32_e32 v2, v16, v15, vcc
	v_cndmask_b32_e32 v13, v13, v14, vcc
	v_lshlrev_b32_e32 v14, 24, v5
	v_bfrev_b32_e32 v15, 60
	v_lshlrev_b32_e32 v13, 20, v13
	v_and_b32_e32 v14, 0x80000000, v14
	v_lshl_add_u32 v2, v2, 23, v15
	v_or3_b32 v2, v14, v2, v13
	v_lshrrev_b32_e32 v13, 16, v2
.LBB879_765:
	s_or_b64 exec, exec, s[10:11]
.LBB879_766:
	s_or_b64 exec, exec, s[8:9]
.LBB879_767:
	s_or_b64 exec, exec, s[2:3]
	v_lshrrev_b16_e32 v2, 8, v5
	v_cmp_ne_u16_e32 vcc, 0, v2
	s_and_saveexec_b64 s[2:3], vcc
	s_cbranch_execz .LBB879_773
; %bb.768:
	s_movk_i32 s7, 0x80
	v_cmp_ne_u16_e32 vcc, s7, v2
	v_mov_b32_e32 v4, 0xffff8000
	s_and_saveexec_b64 s[8:9], vcc
	s_cbranch_execz .LBB879_772
; %bb.769:
	s_movk_i32 s7, 0x7f
	v_and_b32_e32 v14, 0x7f, v2
	v_cmp_ne_u32_e32 vcc, s7, v14
	v_mov_b32_e32 v4, 0x7f80
	s_and_saveexec_b64 s[10:11], vcc
	s_cbranch_execz .LBB879_771
; %bb.770:
	v_and_b32_e32 v4, 7, v2
	v_ffbh_u32_e32 v16, v4
	v_min_u32_e32 v18, 32, v16
	v_subrev_u32_e32 v16, 28, v18
	v_lshlrev_b64 v[16:17], v16, v[2:3]
	v_lshrrev_b32_e32 v15, 3, v14
	v_sub_u32_e32 v2, 29, v18
	v_and_b32_e32 v16, 7, v16
	v_cmp_gt_u32_e32 vcc, 8, v14
	v_cndmask_b32_e32 v2, v15, v2, vcc
	v_cndmask_b32_e32 v4, v4, v16, vcc
	v_lshlrev_b32_e32 v14, 16, v5
	v_bfrev_b32_e32 v15, 60
	v_lshlrev_b32_e32 v4, 20, v4
	v_and_b32_e32 v14, 0x80000000, v14
	v_lshl_add_u32 v2, v2, 23, v15
	v_or3_b32 v2, v14, v2, v4
	v_lshrrev_b32_e32 v4, 16, v2
.LBB879_771:
	s_or_b64 exec, exec, s[10:11]
.LBB879_772:
	s_or_b64 exec, exec, s[8:9]
.LBB879_773:
	s_or_b64 exec, exec, s[2:3]
	s_movk_i32 s2, 0xff
	v_and_b32_sdwa v16, v5, s2 dst_sel:DWORD dst_unused:UNUSED_PAD src0_sel:WORD_1 src1_sel:DWORD
	v_lshrrev_b32_e32 v2, 16, v5
	v_cmp_ne_u16_e32 vcc, 0, v16
	v_mov_b32_e32 v14, 0
	v_mov_b32_e32 v15, 0
	s_and_saveexec_b64 s[2:3], vcc
	s_cbranch_execz .LBB879_779
; %bb.774:
	s_movk_i32 s7, 0x80
	v_cmp_ne_u16_e32 vcc, s7, v16
	v_mov_b32_e32 v15, 0xffff8000
	s_and_saveexec_b64 s[8:9], vcc
	s_cbranch_execz .LBB879_778
; %bb.775:
	v_bfe_u32 v16, v5, 16, 7
	s_movk_i32 s7, 0x7f
	v_cmp_ne_u32_e32 vcc, s7, v16
	v_mov_b32_e32 v15, 0x7f80
	s_and_saveexec_b64 s[10:11], vcc
	s_cbranch_execz .LBB879_777
; %bb.776:
	v_and_b32_e32 v15, 7, v2
	v_ffbh_u32_e32 v18, v15
	v_min_u32_e32 v20, 32, v18
	v_subrev_u32_e32 v18, 28, v20
	v_lshlrev_b64 v[18:19], v18, v[2:3]
	v_lshrrev_b32_e32 v17, 3, v16
	v_sub_u32_e32 v2, 29, v20
	v_and_b32_e32 v18, 7, v18
	v_cmp_gt_u32_e32 vcc, 8, v16
	v_mov_b32_e32 v16, 24
	v_cndmask_b32_e32 v2, v17, v2, vcc
	v_cndmask_b32_e32 v15, v15, v18, vcc
	v_lshlrev_b32_sdwa v16, v16, v5 dst_sel:DWORD dst_unused:UNUSED_PAD src0_sel:DWORD src1_sel:WORD_1
	v_bfrev_b32_e32 v17, 60
	v_lshlrev_b32_e32 v15, 20, v15
	v_and_b32_e32 v16, 0x80000000, v16
	v_lshl_add_u32 v2, v2, 23, v17
	v_or3_b32 v2, v16, v2, v15
	v_lshrrev_b32_e32 v15, 16, v2
.LBB879_777:
	s_or_b64 exec, exec, s[10:11]
.LBB879_778:
	s_or_b64 exec, exec, s[8:9]
.LBB879_779:
	s_or_b64 exec, exec, s[2:3]
	s_mov_b32 s2, 0xffffff
	v_cmp_lt_u32_e32 vcc, s2, v5
	s_and_saveexec_b64 s[2:3], vcc
	s_cbranch_execz .LBB879_785
; %bb.780:
	v_lshrrev_b32_e32 v2, 24, v5
	s_movk_i32 s7, 0x80
	v_cmp_ne_u32_e32 vcc, s7, v2
	v_mov_b32_e32 v14, 0xffff8000
	s_and_saveexec_b64 s[8:9], vcc
	s_cbranch_execz .LBB879_784
; %bb.781:
	v_bfe_u32 v5, v5, 24, 7
	s_movk_i32 s7, 0x7f
	v_cmp_ne_u32_e32 vcc, s7, v5
	v_mov_b32_e32 v14, 0x7f80
	s_and_saveexec_b64 s[10:11], vcc
	s_cbranch_execz .LBB879_783
; %bb.782:
	v_and_b32_e32 v14, 7, v2
	v_ffbh_u32_e32 v16, v14
	v_min_u32_e32 v19, 32, v16
	v_subrev_u32_e32 v16, 28, v19
	v_lshlrev_b64 v[16:17], v16, v[2:3]
	v_lshrrev_b32_e32 v18, 3, v5
	v_sub_u32_e32 v17, 29, v19
	v_and_b32_e32 v16, 7, v16
	v_cmp_gt_u32_e32 vcc, 8, v5
	v_cndmask_b32_e32 v5, v18, v17, vcc
	v_cndmask_b32_e32 v14, v14, v16, vcc
	v_lshlrev_b32_e32 v2, 24, v2
	v_bfrev_b32_e32 v16, 60
	v_lshlrev_b32_e32 v14, 20, v14
	v_and_b32_e32 v2, 0x80000000, v2
	v_lshl_add_u32 v5, v5, 23, v16
	v_or3_b32 v2, v2, v5, v14
	v_lshrrev_b32_e32 v14, 16, v2
.LBB879_783:
	s_or_b64 exec, exec, s[10:11]
.LBB879_784:
	s_or_b64 exec, exec, s[8:9]
.LBB879_785:
	s_or_b64 exec, exec, s[2:3]
	s_mov_b32 s3, 0x5040100
	v_perm_b32 v11, v11, v12, s3
	ds_read_b128 v[16:19], v22 offset:6160
	v_perm_b32 v10, v3, v10, s3
	v_perm_b32 v3, v14, v15, s3
	;; [unrolled: 1-line block ×3, first 2 shown]
	s_waitcnt lgkmcnt(0)
	v_mfma_f32_16x16x16bf16_1k v[6:9], v[10:11], v[16:17], v[6:9]
	s_load_dword s2, s[42:43], 0x0
	s_mov_b32 s3, 0x7060302
	s_movk_i32 s7, 0x7fff
	v_cmp_gt_u32_e32 vcc, 64, v0
	s_waitcnt lgkmcnt(0)
	s_barrier
	v_mfma_f32_16x16x16bf16_1k v[2:5], v[2:3], v[18:19], v[6:9]
	s_nop 7
	s_nop 2
	v_pk_mul_f32 v[4:5], v[4:5], s[2:3] op_sel_hi:[1,0]
	v_pk_mul_f32 v[2:3], v[2:3], s[2:3] op_sel_hi:[1,0]
	v_bfe_u32 v6, v3, 16, 1
	v_bfe_u32 v7, v2, 16, 1
	;; [unrolled: 1-line block ×4, first 2 shown]
	v_add3_u32 v2, v2, v7, s7
	v_add3_u32 v3, v3, v6, s7
	;; [unrolled: 1-line block ×4, first 2 shown]
	v_perm_b32 v2, v3, v2, s3
	v_perm_b32 v3, v5, v4, s3
	v_cmp_gt_u32_e64 s[2:3], 32, v42
	s_and_b64 s[2:3], s[2:3], vcc
	s_and_b64 s[0:1], s[2:3], s[0:1]
	ds_write_b64 v26, v[2:3]
	s_waitcnt lgkmcnt(0)
	s_barrier
	s_and_saveexec_b64 s[2:3], s[0:1]
	s_cbranch_execz .LBB879_787
; %bb.786:
	s_load_dwordx2 s[0:1], s[4:5], 0x68
	s_mul_i32 s2, s12, s6
	s_lshl_b32 s4, s44, 6
	s_mul_hi_u32 s3, s2, s4
	s_mul_i32 s2, s2, s4
	s_lshl_b64 s[2:3], s[2:3], 1
	v_lshlrev_b32_e32 v0, 10, v0
	s_waitcnt lgkmcnt(0)
	s_add_u32 s2, s0, s2
	v_and_b32_e32 v0, 0x1800, v0
	v_lshlrev_b32_e32 v2, 5, v1
	v_and_b32_e32 v3, 16, v47
	s_addc_u32 s3, s1, s3
	s_lshl_b32 s0, s24, 6
	s_mov_b32 s1, 0
	v_or3_b32 v0, v0, v2, v3
	s_lshl_b64 s[0:1], s[0:1], 1
	ds_read_b128 v[2:5], v0
	s_add_u32 s2, s2, s0
	v_or_b32_e32 v0, s25, v1
	s_addc_u32 s3, s3, s1
	v_mad_u64_u32 v[0:1], s[0:1], s4, v0, 0
	v_lshlrev_b64 v[0:1], 1, v[0:1]
	v_mov_b32_e32 v6, s3
	v_add_co_u32_e32 v0, vcc, s2, v0
	v_addc_co_u32_e32 v1, vcc, v6, v1, vcc
	v_add_co_u32_e32 v0, vcc, v0, v46
	v_addc_co_u32_e32 v1, vcc, 0, v1, vcc
	s_waitcnt lgkmcnt(0)
	global_store_dwordx4 v[0:1], v[2:5], off
.LBB879_787:
	s_endpgm
	.section	.rodata,"a",@progbits
	.p2align	6, 0x0
	.amdhsa_kernel _Z39paged_attention_ll4mi_QKV_mfma16_kernelI14__hip_bfloat16hLN4vllm18Fp8KVCacheDataTypeE1ES0_Li32ELi64ELi256ELb1ELi2EL8MFMAType0EEvPKT_PKT0_S9_ifPKiSB_SB_iPKfiiiPfSE_PS4_PT2_iSD_SD_
		.amdhsa_group_segment_fixed_size 8192
		.amdhsa_private_segment_fixed_size 0
		.amdhsa_kernarg_size 400
		.amdhsa_user_sgpr_count 6
		.amdhsa_user_sgpr_private_segment_buffer 1
		.amdhsa_user_sgpr_dispatch_ptr 0
		.amdhsa_user_sgpr_queue_ptr 0
		.amdhsa_user_sgpr_kernarg_segment_ptr 1
		.amdhsa_user_sgpr_dispatch_id 0
		.amdhsa_user_sgpr_flat_scratch_init 0
		.amdhsa_user_sgpr_kernarg_preload_length 0
		.amdhsa_user_sgpr_kernarg_preload_offset 0
		.amdhsa_user_sgpr_private_segment_size 0
		.amdhsa_uses_dynamic_stack 0
		.amdhsa_system_sgpr_private_segment_wavefront_offset 0
		.amdhsa_system_sgpr_workgroup_id_x 1
		.amdhsa_system_sgpr_workgroup_id_y 1
		.amdhsa_system_sgpr_workgroup_id_z 1
		.amdhsa_system_sgpr_workgroup_info 0
		.amdhsa_system_vgpr_workitem_id 0
		.amdhsa_next_free_vgpr 63
		.amdhsa_next_free_sgpr 47
		.amdhsa_accum_offset 64
		.amdhsa_reserve_vcc 1
		.amdhsa_reserve_flat_scratch 0
		.amdhsa_float_round_mode_32 0
		.amdhsa_float_round_mode_16_64 0
		.amdhsa_float_denorm_mode_32 3
		.amdhsa_float_denorm_mode_16_64 3
		.amdhsa_dx10_clamp 1
		.amdhsa_ieee_mode 1
		.amdhsa_fp16_overflow 0
		.amdhsa_tg_split 0
		.amdhsa_exception_fp_ieee_invalid_op 0
		.amdhsa_exception_fp_denorm_src 0
		.amdhsa_exception_fp_ieee_div_zero 0
		.amdhsa_exception_fp_ieee_overflow 0
		.amdhsa_exception_fp_ieee_underflow 0
		.amdhsa_exception_fp_ieee_inexact 0
		.amdhsa_exception_int_div_zero 0
	.end_amdhsa_kernel
	.section	.text._Z39paged_attention_ll4mi_QKV_mfma16_kernelI14__hip_bfloat16hLN4vllm18Fp8KVCacheDataTypeE1ES0_Li32ELi64ELi256ELb1ELi2EL8MFMAType0EEvPKT_PKT0_S9_ifPKiSB_SB_iPKfiiiPfSE_PS4_PT2_iSD_SD_,"axG",@progbits,_Z39paged_attention_ll4mi_QKV_mfma16_kernelI14__hip_bfloat16hLN4vllm18Fp8KVCacheDataTypeE1ES0_Li32ELi64ELi256ELb1ELi2EL8MFMAType0EEvPKT_PKT0_S9_ifPKiSB_SB_iPKfiiiPfSE_PS4_PT2_iSD_SD_,comdat
.Lfunc_end879:
	.size	_Z39paged_attention_ll4mi_QKV_mfma16_kernelI14__hip_bfloat16hLN4vllm18Fp8KVCacheDataTypeE1ES0_Li32ELi64ELi256ELb1ELi2EL8MFMAType0EEvPKT_PKT0_S9_ifPKiSB_SB_iPKfiiiPfSE_PS4_PT2_iSD_SD_, .Lfunc_end879-_Z39paged_attention_ll4mi_QKV_mfma16_kernelI14__hip_bfloat16hLN4vllm18Fp8KVCacheDataTypeE1ES0_Li32ELi64ELi256ELb1ELi2EL8MFMAType0EEvPKT_PKT0_S9_ifPKiSB_SB_iPKfiiiPfSE_PS4_PT2_iSD_SD_
                                        ; -- End function
	.section	.AMDGPU.csdata,"",@progbits
; Kernel info:
; codeLenInByte = 28636
; NumSgprs: 51
; NumVgprs: 63
; NumAgprs: 0
; TotalNumVgprs: 63
; ScratchSize: 0
; MemoryBound: 0
; FloatMode: 240
; IeeeMode: 1
; LDSByteSize: 8192 bytes/workgroup (compile time only)
; SGPRBlocks: 6
; VGPRBlocks: 7
; NumSGPRsForWavesPerEU: 51
; NumVGPRsForWavesPerEU: 63
; AccumOffset: 64
; Occupancy: 8
; WaveLimiterHint : 1
; COMPUTE_PGM_RSRC2:SCRATCH_EN: 0
; COMPUTE_PGM_RSRC2:USER_SGPR: 6
; COMPUTE_PGM_RSRC2:TRAP_HANDLER: 0
; COMPUTE_PGM_RSRC2:TGID_X_EN: 1
; COMPUTE_PGM_RSRC2:TGID_Y_EN: 1
; COMPUTE_PGM_RSRC2:TGID_Z_EN: 1
; COMPUTE_PGM_RSRC2:TIDIG_COMP_CNT: 0
; COMPUTE_PGM_RSRC3_GFX90A:ACCUM_OFFSET: 15
; COMPUTE_PGM_RSRC3_GFX90A:TG_SPLIT: 0
	.section	.text._Z39paged_attention_ll4mi_QKV_mfma16_kernelI14__hip_bfloat16hLN4vllm18Fp8KVCacheDataTypeE1ES0_Li32ELi64ELi256ELb1ELi3EL8MFMAType0EEvPKT_PKT0_S9_ifPKiSB_SB_iPKfiiiPfSE_PS4_PT2_iSD_SD_,"axG",@progbits,_Z39paged_attention_ll4mi_QKV_mfma16_kernelI14__hip_bfloat16hLN4vllm18Fp8KVCacheDataTypeE1ES0_Li32ELi64ELi256ELb1ELi3EL8MFMAType0EEvPKT_PKT0_S9_ifPKiSB_SB_iPKfiiiPfSE_PS4_PT2_iSD_SD_,comdat
	.protected	_Z39paged_attention_ll4mi_QKV_mfma16_kernelI14__hip_bfloat16hLN4vllm18Fp8KVCacheDataTypeE1ES0_Li32ELi64ELi256ELb1ELi3EL8MFMAType0EEvPKT_PKT0_S9_ifPKiSB_SB_iPKfiiiPfSE_PS4_PT2_iSD_SD_ ; -- Begin function _Z39paged_attention_ll4mi_QKV_mfma16_kernelI14__hip_bfloat16hLN4vllm18Fp8KVCacheDataTypeE1ES0_Li32ELi64ELi256ELb1ELi3EL8MFMAType0EEvPKT_PKT0_S9_ifPKiSB_SB_iPKfiiiPfSE_PS4_PT2_iSD_SD_
	.globl	_Z39paged_attention_ll4mi_QKV_mfma16_kernelI14__hip_bfloat16hLN4vllm18Fp8KVCacheDataTypeE1ES0_Li32ELi64ELi256ELb1ELi3EL8MFMAType0EEvPKT_PKT0_S9_ifPKiSB_SB_iPKfiiiPfSE_PS4_PT2_iSD_SD_
	.p2align	8
	.type	_Z39paged_attention_ll4mi_QKV_mfma16_kernelI14__hip_bfloat16hLN4vllm18Fp8KVCacheDataTypeE1ES0_Li32ELi64ELi256ELb1ELi3EL8MFMAType0EEvPKT_PKT0_S9_ifPKiSB_SB_iPKfiiiPfSE_PS4_PT2_iSD_SD_,@function
_Z39paged_attention_ll4mi_QKV_mfma16_kernelI14__hip_bfloat16hLN4vllm18Fp8KVCacheDataTypeE1ES0_Li32ELi64ELi256ELb1ELi3EL8MFMAType0EEvPKT_PKT0_S9_ifPKiSB_SB_iPKfiiiPfSE_PS4_PT2_iSD_SD_: ; @_Z39paged_attention_ll4mi_QKV_mfma16_kernelI14__hip_bfloat16hLN4vllm18Fp8KVCacheDataTypeE1ES0_Li32ELi64ELi256ELb1ELi3EL8MFMAType0EEvPKT_PKT0_S9_ifPKiSB_SB_iPKfiiiPfSE_PS4_PT2_iSD_SD_
; %bb.0:
	s_load_dwordx2 s[0:1], s[4:5], 0x30
	s_mov_b32 s24, s7
	s_mov_b64 s[10:11], 0
	s_waitcnt lgkmcnt(0)
	s_cmp_lg_u64 s[0:1], 0
	s_cselect_b64 s[2:3], -1, 0
	s_and_b64 vcc, exec, s[2:3]
	s_cbranch_vccz .LBB880_7
; %bb.1:
	s_add_i32 s12, s6, 1
	s_mov_b32 s13, 0
	s_lshl_b64 s[14:15], s[12:13], 2
	s_add_u32 s14, s0, s14
	s_mov_b32 s7, s13
	s_addc_u32 s15, s1, s15
	s_lshl_b64 s[12:13], s[6:7], 2
	s_add_u32 s12, s0, s12
	s_addc_u32 s13, s1, s13
	s_load_dword s9, s[14:15], 0x0
	s_load_dword s16, s[12:13], 0x0
	s_waitcnt lgkmcnt(0)
	s_sub_i32 s9, s9, s16
	s_cmp_eq_u32 s9, 1
	s_cselect_b64 s[12:13], -1, 0
	s_andn2_b64 vcc, exec, s[10:11]
	s_cbranch_vccnz .LBB880_3
.LBB880_2:
	s_mov_b32 s7, 0
	s_mov_b64 s[12:13], -1
.LBB880_3:
	s_andn2_b64 vcc, exec, s[12:13]
	s_cbranch_vccnz .LBB880_787
; %bb.4:
	s_load_dwordx2 s[12:13], s[4:5], 0x28
	s_lshl_b64 s[10:11], s[6:7], 2
	s_waitcnt lgkmcnt(0)
	s_add_u32 s12, s12, s10
	s_addc_u32 s13, s13, s11
	s_load_dword s33, s[12:13], 0x0
	s_lshl_b32 s18, s24, 8
	s_waitcnt lgkmcnt(0)
	s_cmp_ge_i32 s18, s33
	s_cbranch_scc1 .LBB880_787
; %bb.5:
	s_add_i32 s14, s33, 31
	s_load_dwordx2 s[12:13], s[4:5], 0x20
	s_load_dword s9, s[4:5], 0x38
	s_ashr_i32 s15, s14, 31
	v_and_b32_e32 v1, 0xcf, v0
	s_lshr_b32 s15, s15, 27
	v_add_u32_e32 v1, s18, v1
	s_add_i32 s14, s14, s15
	v_ashrrev_i32_e32 v2, 31, v1
	s_ashr_i32 s21, s14, 5
	v_lshrrev_b32_e32 v4, 27, v2
	s_add_i32 s21, s21, -1
	v_add_u32_e32 v2, v1, v4
	s_waitcnt lgkmcnt(0)
	s_mul_i32 s14, s6, s9
	s_mov_b32 s15, 0
	v_ashrrev_i32_e32 v2, 5, v2
	v_mov_b32_e32 v5, s21
	v_cmp_gt_i32_e32 vcc, s33, v1
	s_lshl_b64 s[14:15], s[14:15], 2
	v_cndmask_b32_e32 v2, v5, v2, vcc
	s_add_u32 s19, s12, s14
	v_ashrrev_i32_e32 v3, 31, v2
	s_addc_u32 s20, s13, s15
	v_lshlrev_b64 v[2:3], 2, v[2:3]
	v_mov_b32_e32 v7, s20
	v_add_co_u32_e32 v6, vcc, s19, v2
	v_or_b32_e32 v2, 16, v1
	v_addc_co_u32_e32 v7, vcc, v7, v3, vcc
	v_add_u32_e32 v3, v2, v4
	v_ashrrev_i32_e32 v3, 5, v3
	v_cmp_gt_i32_e32 vcc, s33, v2
	v_cndmask_b32_e32 v2, v5, v3, vcc
	v_ashrrev_i32_e32 v3, 31, v2
	v_lshlrev_b64 v[2:3], 2, v[2:3]
	v_mov_b32_e32 v9, s20
	v_add_co_u32_e32 v8, vcc, s19, v2
	v_or_b32_e32 v2, 32, v1
	v_addc_co_u32_e32 v9, vcc, v9, v3, vcc
	v_add_u32_e32 v3, v2, v4
	v_ashrrev_i32_e32 v3, 5, v3
	v_cmp_gt_i32_e32 vcc, s33, v2
	v_cndmask_b32_e32 v2, v5, v3, vcc
	v_ashrrev_i32_e32 v3, 31, v2
	;; [unrolled: 10-line block ×3, first 2 shown]
	v_lshlrev_b64 v[2:3], 2, v[2:3]
	v_mov_b32_e32 v1, s20
	v_add_co_u32_e32 v12, vcc, s19, v2
	v_addc_co_u32_e32 v13, vcc, v1, v3, vcc
	global_load_dword v5, v[6:7], off
	global_load_dword v4, v[8:9], off
	;; [unrolled: 1-line block ×4, first 2 shown]
	s_load_dwordx2 s[16:17], s[4:5], 0x8
	s_andn2_b64 vcc, exec, s[2:3]
	s_cbranch_vccnz .LBB880_8
; %bb.6:
	s_add_u32 s0, s0, s10
	s_addc_u32 s1, s1, s11
	s_load_dword s9, s[0:1], 0x0
	s_branch .LBB880_9
.LBB880_7:
	s_mov_b64 s[12:13], 0
	s_branch .LBB880_2
.LBB880_8:
	s_mov_b32 s9, s6
.LBB880_9:
	s_load_dwordx2 s[2:3], s[4:5], 0x10
	s_load_dwordx4 s[12:15], s[4:5], 0x48
	v_lshrrev_b32_e32 v51, 6, v0
	v_bfe_u32 v47, v0, 4, 2
	v_lshl_or_b32 v6, v51, 2, v47
	v_and_b32_e32 v50, 15, v0
	s_mul_i32 s25, s8, 3
	v_lshlrev_b32_e32 v7, 3, v50
	v_cmp_gt_u32_e32 vcc, 3, v6
	v_cmp_gt_u32_e64 s[0:1], 8, v50
	v_add_u32_e32 v1, s25, v47
	s_and_b64 s[22:23], s[0:1], vcc
	v_lshlrev_b32_e32 v46, 1, v7
	v_lshlrev_b32_e32 v48, 4, v0
	s_and_saveexec_b64 s[10:11], s[22:23]
	s_cbranch_execz .LBB880_11
; %bb.10:
	s_load_dwordx2 s[22:23], s[4:5], 0x0
	s_waitcnt lgkmcnt(0)
	s_ashr_i32 s15, s12, 31
	s_mul_hi_u32 s26, s9, s12
	s_mul_i32 s15, s9, s15
	s_add_i32 s27, s26, s15
	s_mul_i32 s26, s9, s12
	s_lshl_b64 s[26:27], s[26:27], 1
	v_lshlrev_b32_e32 v8, 6, v1
	s_add_u32 s9, s22, s26
	v_ashrrev_i32_e32 v9, 31, v8
	s_addc_u32 s12, s23, s27
	v_lshlrev_b64 v[8:9], 1, v[8:9]
	v_mov_b32_e32 v7, s12
	v_add_co_u32_e32 v8, vcc, s9, v8
	v_addc_co_u32_e32 v7, vcc, v7, v9, vcc
	v_add_co_u32_e32 v8, vcc, v8, v46
	v_addc_co_u32_e32 v9, vcc, 0, v7, vcc
	global_load_dwordx4 v[8:11], v[8:9], off
	v_lshlrev_b32_e32 v12, 8, v50
	v_lshlrev_b32_e32 v6, 5, v6
	v_and_b32_e32 v7, 16, v48
	v_and_b32_e32 v12, 0xe00, v12
	v_or3_b32 v6, v12, v6, v7
	s_waitcnt vmcnt(0)
	ds_write_b128 v6, v[8:11]
.LBB880_11:
	s_or_b64 exec, exec, s[10:11]
	s_waitcnt lgkmcnt(0)
	s_mul_i32 s10, s8, s14
	s_add_u32 s8, s16, s10
	s_addc_u32 s9, s17, 0
	v_pk_mov_b32 v[8:9], s[8:9], s[8:9] op_sel:[0,1]
	s_waitcnt vmcnt(3)
	v_mad_i64_i32 v[10:11], s[8:9], v5, s13, v[8:9]
	v_lshlrev_b32_e32 v12, 4, v50
	v_and_b32_e32 v6, 48, v0
	v_add_co_u32_e32 v5, vcc, v10, v12
	v_lshlrev_b32_e32 v7, 5, v6
	v_addc_co_u32_e32 v11, vcc, 0, v11, vcc
	v_add_co_u32_e32 v10, vcc, v5, v7
	v_addc_co_u32_e32 v11, vcc, 0, v11, vcc
	s_waitcnt vmcnt(2)
	v_mad_i64_i32 v[4:5], s[8:9], v4, s13, v[8:9]
	v_or_b32_e32 v13, 0x100, v12
	v_add_co_u32_e32 v4, vcc, v4, v13
	v_addc_co_u32_e32 v5, vcc, 0, v5, vcc
	v_add_co_u32_e32 v4, vcc, v4, v7
	v_addc_co_u32_e32 v5, vcc, 0, v5, vcc
	s_barrier
	global_load_dwordx4 v[34:37], v[10:11], off
	global_load_dwordx4 v[38:41], v[4:5], off
	s_waitcnt vmcnt(3)
	v_mad_i64_i32 v[4:5], s[8:9], v3, s13, v[8:9]
	v_add_co_u32_e32 v3, vcc, v4, v12
	v_addc_co_u32_e32 v5, vcc, 0, v5, vcc
	v_add_co_u32_e32 v4, vcc, v3, v7
	v_addc_co_u32_e32 v5, vcc, 0, v5, vcc
	s_waitcnt vmcnt(2)
	v_mad_i64_i32 v[2:3], s[8:9], v2, s13, v[8:9]
	v_add_co_u32_e32 v2, vcc, v2, v13
	v_addc_co_u32_e32 v3, vcc, 0, v3, vcc
	v_add_co_u32_e32 v2, vcc, v2, v7
	v_addc_co_u32_e32 v3, vcc, 0, v3, vcc
	global_load_dwordx4 v[30:33], v[4:5], off
	global_load_dwordx4 v[22:25], v[2:3], off
	v_mul_lo_u16_e32 v2, 0x56, v50
	v_mov_b32_e32 v3, 3
	v_mul_lo_u16_sdwa v2, v2, v3 dst_sel:DWORD dst_unused:UNUSED_PAD src0_sel:BYTE_1 src1_sel:DWORD
	v_sub_u16_e32 v2, v50, v2
	v_mov_b32_e32 v3, 5
	v_lshlrev_b32_sdwa v2, v3, v2 dst_sel:DWORD dst_unused:UNUSED_PAD src0_sel:DWORD src1_sel:BYTE_0
	v_lshl_add_u32 v2, v47, 9, v2
	ds_read_b128 v[26:29], v2
	ds_read_b128 v[18:21], v2 offset:16
	v_cmp_gt_u32_e32 vcc, 3, v50
	v_mov_b32_e32 v43, 0
	v_mov_b32_e32 v52, 0
	s_and_saveexec_b64 s[8:9], vcc
	s_cbranch_execz .LBB880_13
; %bb.12:
	s_load_dwordx2 s[14:15], s[4:5], 0x40
	v_add_u32_e32 v2, s25, v50
	v_ashrrev_i32_e32 v3, 31, v2
	v_lshlrev_b64 v[2:3], 2, v[2:3]
	s_waitcnt lgkmcnt(0)
	v_mov_b32_e32 v4, s15
	v_add_co_u32_e32 v2, vcc, s14, v2
	v_addc_co_u32_e32 v3, vcc, v4, v3, vcc
	global_load_dword v52, v[2:3], off
.LBB880_13:
	s_or_b64 exec, exec, s[8:9]
	s_ashr_i32 s8, s18, 31
	v_or_b32_e32 v8, s18, v6
	s_lshr_b32 s8, s8, 27
	v_add_u32_e32 v2, s8, v8
	v_ashrrev_i32_e32 v2, 5, v2
	v_mov_b32_e32 v9, s21
	v_cmp_gt_i32_e32 vcc, s33, v8
	v_cndmask_b32_e32 v2, v9, v2, vcc
	v_ashrrev_i32_e32 v3, 31, v2
	v_lshlrev_b64 v[2:3], 2, v[2:3]
	v_mov_b32_e32 v4, s20
	v_add_co_u32_e32 v2, vcc, s19, v2
	v_addc_co_u32_e32 v3, vcc, v4, v3, vcc
	v_or_b32_e32 v4, 64, v8
	v_add_u32_e32 v5, s8, v4
	v_ashrrev_i32_e32 v5, 5, v5
	v_cmp_gt_i32_e32 vcc, s33, v4
	v_cndmask_b32_e32 v4, v9, v5, vcc
	v_ashrrev_i32_e32 v5, 31, v4
	v_lshlrev_b64 v[4:5], 2, v[4:5]
	v_mov_b32_e32 v6, s20
	v_add_co_u32_e32 v4, vcc, s19, v4
	v_addc_co_u32_e32 v5, vcc, v6, v5, vcc
	v_or_b32_e32 v6, 0x80, v8
	v_add_u32_e32 v7, s8, v6
	v_ashrrev_i32_e32 v7, 5, v7
	v_cmp_gt_i32_e32 vcc, s33, v6
	v_cndmask_b32_e32 v6, v9, v7, vcc
	v_ashrrev_i32_e32 v7, 31, v6
	v_lshlrev_b64 v[6:7], 2, v[6:7]
	v_mov_b32_e32 v10, s20
	v_add_co_u32_e32 v6, vcc, s19, v6
	v_addc_co_u32_e32 v7, vcc, v10, v7, vcc
	global_load_dword v10, v[2:3], off
	global_load_dword v11, v[4:5], off
	;; [unrolled: 1-line block ×3, first 2 shown]
	v_or_b32_e32 v2, 0xc0, v8
	v_add_u32_e32 v3, s8, v2
	v_ashrrev_i32_e32 v3, 5, v3
	v_cmp_gt_i32_e32 vcc, s33, v2
	v_cndmask_b32_e32 v2, v9, v3, vcc
	v_ashrrev_i32_e32 v3, 31, v2
	v_lshlrev_b64 v[2:3], 2, v[2:3]
	v_mov_b32_e32 v4, s20
	v_add_co_u32_e32 v2, vcc, s19, v2
	v_addc_co_u32_e32 v3, vcc, v4, v3, vcc
	global_load_dword v13, v[2:3], off
	s_add_u32 s2, s2, s10
	v_and_b32_e32 v2, 16, v0
	s_addc_u32 s3, s3, 0
	v_lshlrev_b32_e32 v49, 5, v50
	v_mov_b32_e32 v4, s3
	v_add_co_u32_e32 v2, vcc, s2, v2
	v_lshl_or_b32 v3, v51, 9, v49
	v_addc_co_u32_e32 v4, vcc, 0, v4, vcc
	v_add_co_u32_e32 v2, vcc, v2, v3
	v_addc_co_u32_e32 v3, vcc, 0, v4, vcc
	s_movk_i32 s8, 0x80
	s_waitcnt vmcnt(7)
	v_cmp_ne_u16_sdwa s[10:11], v34, v43 src0_sel:BYTE_0 src1_sel:DWORD
	s_waitcnt vmcnt(3)
	v_mad_i64_i32 v[4:5], s[2:3], v10, s13, v[2:3]
	s_waitcnt vmcnt(2)
	v_mad_i64_i32 v[6:7], s[2:3], v11, s13, v[2:3]
	;; [unrolled: 2-line block ×4, first 2 shown]
	global_load_dwordx4 v[14:17], v[4:5], off
	global_load_dwordx4 v[10:13], v[6:7], off
	s_nop 0
	global_load_dwordx4 v[6:9], v[8:9], off
	s_nop 0
	global_load_dwordx4 v[2:5], v[2:3], off
	s_load_dwordx4 s[40:43], s[4:5], 0x80
	s_load_dwordx2 s[44:45], s[4:5], 0x94
	s_waitcnt lgkmcnt(0)
	s_load_dword s12, s[40:41], 0x0
	s_and_saveexec_b64 s[2:3], s[10:11]
	s_cbranch_execz .LBB880_19
; %bb.14:
	v_cmp_ne_u16_sdwa s[10:11], v34, s8 src0_sel:BYTE_0 src1_sel:DWORD
	v_mov_b32_e32 v43, 0xffff8000
	s_and_saveexec_b64 s[8:9], s[10:11]
	s_cbranch_execz .LBB880_18
; %bb.15:
	s_movk_i32 s10, 0x7f
	v_and_b32_e32 v42, 0x7f, v34
	v_cmp_ne_u32_e32 vcc, s10, v42
	v_mov_b32_e32 v43, 0x7f80
	s_and_saveexec_b64 s[10:11], vcc
	s_cbranch_execz .LBB880_17
; %bb.16:
	v_and_b32_e32 v43, 7, v34
	v_ffbh_u32_e32 v44, v43
	v_min_u32_e32 v54, 32, v44
	v_subrev_u32_e32 v44, 28, v54
	v_lshlrev_b64 v[44:45], v44, v[34:35]
	v_lshrrev_b32_e32 v53, 3, v42
	v_sub_u32_e32 v45, 29, v54
	v_and_b32_e32 v44, 7, v44
	v_cmp_gt_u32_e32 vcc, 8, v42
	v_cndmask_b32_e32 v42, v53, v45, vcc
	v_cndmask_b32_e32 v43, v43, v44, vcc
	v_lshlrev_b32_e32 v44, 24, v34
	v_bfrev_b32_e32 v45, 60
	v_lshlrev_b32_e32 v43, 20, v43
	v_and_b32_e32 v44, 0x80000000, v44
	v_lshl_add_u32 v42, v42, 23, v45
	v_or3_b32 v42, v44, v42, v43
	v_lshrrev_b32_e32 v43, 16, v42
.LBB880_17:
	s_or_b64 exec, exec, s[10:11]
.LBB880_18:
	s_or_b64 exec, exec, s[8:9]
.LBB880_19:
	s_or_b64 exec, exec, s[2:3]
	v_lshrrev_b16_e32 v42, 8, v34
	v_cmp_ne_u16_e32 vcc, 0, v42
	v_mov_b32_e32 v45, 0
	v_mov_b32_e32 v44, 0
	s_and_saveexec_b64 s[2:3], vcc
	s_cbranch_execz .LBB880_25
; %bb.20:
	s_movk_i32 s8, 0x80
	v_cmp_ne_u16_e32 vcc, s8, v42
	v_mov_b32_e32 v44, 0xffff8000
	s_and_saveexec_b64 s[8:9], vcc
	s_cbranch_execz .LBB880_24
; %bb.21:
	s_movk_i32 s10, 0x7f
	v_and_b32_e32 v53, 0x7f, v42
	v_cmp_ne_u32_e32 vcc, s10, v53
	v_mov_b32_e32 v44, 0x7f80
	s_and_saveexec_b64 s[10:11], vcc
	s_cbranch_execz .LBB880_23
; %bb.22:
	v_and_b32_e32 v44, 7, v42
	v_ffbh_u32_e32 v54, v44
	v_min_u32_e32 v57, 32, v54
	v_subrev_u32_e32 v54, 28, v57
	v_lshlrev_b64 v[54:55], v54, v[42:43]
	v_lshrrev_b32_e32 v56, 3, v53
	v_sub_u32_e32 v42, 29, v57
	v_and_b32_e32 v54, 7, v54
	v_cmp_gt_u32_e32 vcc, 8, v53
	v_cndmask_b32_e32 v42, v56, v42, vcc
	v_cndmask_b32_e32 v44, v44, v54, vcc
	v_lshlrev_b32_e32 v53, 16, v34
	v_bfrev_b32_e32 v54, 60
	v_lshlrev_b32_e32 v44, 20, v44
	v_and_b32_e32 v53, 0x80000000, v53
	v_lshl_add_u32 v42, v42, 23, v54
	v_or3_b32 v42, v53, v42, v44
	v_lshrrev_b32_e32 v44, 16, v42
.LBB880_23:
	s_or_b64 exec, exec, s[10:11]
.LBB880_24:
	s_or_b64 exec, exec, s[8:9]
.LBB880_25:
	s_or_b64 exec, exec, s[2:3]
	s_movk_i32 s2, 0xff
	v_and_b32_sdwa v53, v34, s2 dst_sel:DWORD dst_unused:UNUSED_PAD src0_sel:WORD_1 src1_sel:DWORD
	v_lshrrev_b32_e32 v42, 16, v34
	v_cmp_ne_u16_e32 vcc, 0, v53
	s_and_saveexec_b64 s[2:3], vcc
	s_cbranch_execz .LBB880_31
; %bb.26:
	s_movk_i32 s8, 0x80
	v_cmp_ne_u16_e32 vcc, s8, v53
	v_mov_b32_e32 v45, 0xffff8000
	s_and_saveexec_b64 s[8:9], vcc
	s_cbranch_execz .LBB880_30
; %bb.27:
	v_bfe_u32 v53, v34, 16, 7
	s_movk_i32 s10, 0x7f
	v_cmp_ne_u32_e32 vcc, s10, v53
	v_mov_b32_e32 v45, 0x7f80
	s_and_saveexec_b64 s[10:11], vcc
	s_cbranch_execz .LBB880_29
; %bb.28:
	v_and_b32_e32 v45, 7, v42
	v_ffbh_u32_e32 v54, v45
	v_min_u32_e32 v57, 32, v54
	v_subrev_u32_e32 v54, 28, v57
	v_lshlrev_b64 v[54:55], v54, v[42:43]
	v_lshrrev_b32_e32 v56, 3, v53
	v_sub_u32_e32 v42, 29, v57
	v_and_b32_e32 v54, 7, v54
	v_cmp_gt_u32_e32 vcc, 8, v53
	v_mov_b32_e32 v53, 24
	v_cndmask_b32_e32 v42, v56, v42, vcc
	v_cndmask_b32_e32 v45, v45, v54, vcc
	v_lshlrev_b32_sdwa v53, v53, v34 dst_sel:DWORD dst_unused:UNUSED_PAD src0_sel:DWORD src1_sel:WORD_1
	v_bfrev_b32_e32 v54, 60
	v_lshlrev_b32_e32 v45, 20, v45
	v_and_b32_e32 v53, 0x80000000, v53
	v_lshl_add_u32 v42, v42, 23, v54
	v_or3_b32 v42, v53, v42, v45
	v_lshrrev_b32_e32 v45, 16, v42
.LBB880_29:
	s_or_b64 exec, exec, s[10:11]
.LBB880_30:
	s_or_b64 exec, exec, s[8:9]
.LBB880_31:
	s_or_b64 exec, exec, s[2:3]
	s_mov_b32 s2, 0xffffff
	v_cmp_lt_u32_e32 vcc, s2, v34
	v_mov_b32_e32 v54, 0
	v_mov_b32_e32 v55, 0
	s_and_saveexec_b64 s[2:3], vcc
	s_cbranch_execz .LBB880_37
; %bb.32:
	v_lshrrev_b32_e32 v42, 24, v34
	s_movk_i32 s8, 0x80
	v_cmp_ne_u32_e32 vcc, s8, v42
	v_mov_b32_e32 v55, 0xffff8000
	s_and_saveexec_b64 s[8:9], vcc
	s_cbranch_execz .LBB880_36
; %bb.33:
	v_bfe_u32 v34, v34, 24, 7
	s_movk_i32 s10, 0x7f
	v_cmp_ne_u32_e32 vcc, s10, v34
	v_mov_b32_e32 v55, 0x7f80
	s_and_saveexec_b64 s[10:11], vcc
	s_cbranch_execz .LBB880_35
; %bb.34:
	v_and_b32_e32 v53, 7, v42
	v_ffbh_u32_e32 v56, v53
	v_min_u32_e32 v58, 32, v56
	v_subrev_u32_e32 v56, 28, v58
	v_lshlrev_b64 v[56:57], v56, v[42:43]
	v_lshrrev_b32_e32 v55, 3, v34
	v_sub_u32_e32 v57, 29, v58
	v_and_b32_e32 v56, 7, v56
	v_cmp_gt_u32_e32 vcc, 8, v34
	v_cndmask_b32_e32 v34, v55, v57, vcc
	v_cndmask_b32_e32 v53, v53, v56, vcc
	v_lshlrev_b32_e32 v42, 24, v42
	v_bfrev_b32_e32 v55, 60
	v_lshlrev_b32_e32 v53, 20, v53
	v_and_b32_e32 v42, 0x80000000, v42
	v_lshl_add_u32 v34, v34, 23, v55
	v_or3_b32 v34, v42, v34, v53
	v_lshrrev_b32_e32 v55, 16, v34
.LBB880_35:
	s_or_b64 exec, exec, s[10:11]
.LBB880_36:
	s_or_b64 exec, exec, s[8:9]
.LBB880_37:
	s_or_b64 exec, exec, s[2:3]
	v_cmp_ne_u16_sdwa s[8:9], v35, v54 src0_sel:BYTE_0 src1_sel:DWORD
	s_and_saveexec_b64 s[2:3], s[8:9]
	s_cbranch_execz .LBB880_43
; %bb.38:
	s_movk_i32 s8, 0x80
	v_cmp_ne_u16_sdwa s[10:11], v35, s8 src0_sel:BYTE_0 src1_sel:DWORD
	v_mov_b32_e32 v54, 0xffff8000
	s_and_saveexec_b64 s[8:9], s[10:11]
	s_cbranch_execz .LBB880_42
; %bb.39:
	s_movk_i32 s10, 0x7f
	v_and_b32_e32 v34, 0x7f, v35
	v_cmp_ne_u32_e32 vcc, s10, v34
	v_mov_b32_e32 v54, 0x7f80
	s_and_saveexec_b64 s[10:11], vcc
	s_cbranch_execz .LBB880_41
; %bb.40:
	v_and_b32_e32 v53, 7, v35
	v_ffbh_u32_e32 v56, v53
	v_min_u32_e32 v58, 32, v56
	v_mov_b32_e32 v42, v35
	v_subrev_u32_e32 v56, 28, v58
	v_lshlrev_b64 v[56:57], v56, v[42:43]
	v_lshrrev_b32_e32 v54, 3, v34
	v_sub_u32_e32 v42, 29, v58
	v_and_b32_e32 v56, 7, v56
	v_cmp_gt_u32_e32 vcc, 8, v34
	v_cndmask_b32_e32 v34, v54, v42, vcc
	v_cndmask_b32_e32 v42, v53, v56, vcc
	v_lshlrev_b32_e32 v53, 24, v35
	v_bfrev_b32_e32 v54, 60
	v_lshlrev_b32_e32 v42, 20, v42
	v_and_b32_e32 v53, 0x80000000, v53
	v_lshl_add_u32 v34, v34, 23, v54
	v_or3_b32 v34, v53, v34, v42
	v_lshrrev_b32_e32 v54, 16, v34
.LBB880_41:
	s_or_b64 exec, exec, s[10:11]
.LBB880_42:
	s_or_b64 exec, exec, s[8:9]
.LBB880_43:
	s_or_b64 exec, exec, s[2:3]
	v_lshrrev_b16_e32 v34, 8, v35
	v_cmp_ne_u16_e32 vcc, 0, v34
	v_mov_b32_e32 v56, 0
	v_mov_b32_e32 v42, 0
	s_and_saveexec_b64 s[2:3], vcc
	s_cbranch_execz .LBB880_49
; %bb.44:
	s_movk_i32 s8, 0x80
	v_cmp_ne_u16_e32 vcc, s8, v34
	v_mov_b32_e32 v42, 0xffff8000
	s_and_saveexec_b64 s[8:9], vcc
	s_cbranch_execz .LBB880_48
; %bb.45:
	s_movk_i32 s10, 0x7f
	v_and_b32_e32 v53, 0x7f, v34
	v_cmp_ne_u32_e32 vcc, s10, v53
	v_mov_b32_e32 v42, 0x7f80
	s_and_saveexec_b64 s[10:11], vcc
	s_cbranch_execz .LBB880_47
; %bb.46:
	v_and_b32_e32 v42, 7, v34
	v_ffbh_u32_e32 v58, v42
	v_min_u32_e32 v60, 32, v58
	v_subrev_u32_e32 v58, 28, v60
	v_lshlrev_b64 v[58:59], v58, v[34:35]
	v_lshrrev_b32_e32 v57, 3, v53
	v_sub_u32_e32 v34, 29, v60
	v_and_b32_e32 v58, 7, v58
	v_cmp_gt_u32_e32 vcc, 8, v53
	v_cndmask_b32_e32 v34, v57, v34, vcc
	v_cndmask_b32_e32 v42, v42, v58, vcc
	v_lshlrev_b32_e32 v53, 16, v35
	v_bfrev_b32_e32 v57, 60
	v_lshlrev_b32_e32 v42, 20, v42
	v_and_b32_e32 v53, 0x80000000, v53
	v_lshl_add_u32 v34, v34, 23, v57
	v_or3_b32 v34, v53, v34, v42
	v_lshrrev_b32_e32 v42, 16, v34
.LBB880_47:
	s_or_b64 exec, exec, s[10:11]
.LBB880_48:
	s_or_b64 exec, exec, s[8:9]
.LBB880_49:
	s_or_b64 exec, exec, s[2:3]
	s_movk_i32 s2, 0xff
	v_and_b32_sdwa v53, v35, s2 dst_sel:DWORD dst_unused:UNUSED_PAD src0_sel:WORD_1 src1_sel:DWORD
	v_lshrrev_b32_e32 v34, 16, v35
	v_cmp_ne_u16_e32 vcc, 0, v53
	s_and_saveexec_b64 s[2:3], vcc
	s_cbranch_execz .LBB880_55
; %bb.50:
	s_movk_i32 s8, 0x80
	v_cmp_ne_u16_e32 vcc, s8, v53
	v_mov_b32_e32 v56, 0xffff8000
	s_and_saveexec_b64 s[8:9], vcc
	s_cbranch_execz .LBB880_54
; %bb.51:
	v_bfe_u32 v53, v35, 16, 7
	s_movk_i32 s10, 0x7f
	v_cmp_ne_u32_e32 vcc, s10, v53
	v_mov_b32_e32 v56, 0x7f80
	s_and_saveexec_b64 s[10:11], vcc
	s_cbranch_execz .LBB880_53
; %bb.52:
	v_and_b32_e32 v58, 7, v34
	v_ffbh_u32_e32 v56, v58
	v_min_u32_e32 v60, 32, v56
	v_subrev_u32_e32 v56, 28, v60
	v_lshlrev_b64 v[56:57], v56, v[34:35]
	v_and_b32_e32 v56, 7, v56
	v_cmp_gt_u32_e32 vcc, 8, v53
	v_lshrrev_b32_e32 v59, 3, v53
	v_sub_u32_e32 v34, 29, v60
	v_cndmask_b32_e32 v53, v58, v56, vcc
	v_mov_b32_e32 v56, 24
	v_cndmask_b32_e32 v34, v59, v34, vcc
	v_lshlrev_b32_sdwa v56, v56, v35 dst_sel:DWORD dst_unused:UNUSED_PAD src0_sel:DWORD src1_sel:WORD_1
	v_bfrev_b32_e32 v57, 60
	v_lshlrev_b32_e32 v53, 20, v53
	v_and_b32_e32 v56, 0x80000000, v56
	v_lshl_add_u32 v34, v34, 23, v57
	v_or3_b32 v34, v56, v34, v53
	v_lshrrev_b32_e32 v56, 16, v34
.LBB880_53:
	s_or_b64 exec, exec, s[10:11]
.LBB880_54:
	s_or_b64 exec, exec, s[8:9]
.LBB880_55:
	s_or_b64 exec, exec, s[2:3]
	s_mov_b32 s2, 0xffffff
	v_cmp_lt_u32_e32 vcc, s2, v35
	v_mov_b32_e32 v53, 0
	v_mov_b32_e32 v57, 0
	s_and_saveexec_b64 s[2:3], vcc
	s_cbranch_execz .LBB880_61
; %bb.56:
	v_lshrrev_b32_e32 v34, 24, v35
	s_movk_i32 s8, 0x80
	v_cmp_ne_u32_e32 vcc, s8, v34
	v_mov_b32_e32 v57, 0xffff8000
	s_and_saveexec_b64 s[8:9], vcc
	s_cbranch_execz .LBB880_60
; %bb.57:
	v_bfe_u32 v35, v35, 24, 7
	s_movk_i32 s10, 0x7f
	v_cmp_ne_u32_e32 vcc, s10, v35
	v_mov_b32_e32 v57, 0x7f80
	s_and_saveexec_b64 s[10:11], vcc
	s_cbranch_execz .LBB880_59
; %bb.58:
	v_and_b32_e32 v57, 7, v34
	v_ffbh_u32_e32 v58, v57
	v_min_u32_e32 v61, 32, v58
	v_subrev_u32_e32 v58, 28, v61
	v_lshlrev_b64 v[58:59], v58, v[34:35]
	v_lshrrev_b32_e32 v60, 3, v35
	v_sub_u32_e32 v59, 29, v61
	v_and_b32_e32 v58, 7, v58
	v_cmp_gt_u32_e32 vcc, 8, v35
	v_cndmask_b32_e32 v35, v60, v59, vcc
	v_cndmask_b32_e32 v57, v57, v58, vcc
	v_lshlrev_b32_e32 v34, 24, v34
	v_bfrev_b32_e32 v58, 60
	v_lshlrev_b32_e32 v57, 20, v57
	v_and_b32_e32 v34, 0x80000000, v34
	v_lshl_add_u32 v35, v35, 23, v58
	v_or3_b32 v34, v34, v35, v57
	v_lshrrev_b32_e32 v57, 16, v34
.LBB880_59:
	s_or_b64 exec, exec, s[10:11]
.LBB880_60:
	s_or_b64 exec, exec, s[8:9]
.LBB880_61:
	s_or_b64 exec, exec, s[2:3]
	s_mov_b32 s2, 0x5040100
	v_perm_b32 v35, v55, v45, s2
	v_perm_b32 v34, v44, v43, s2
	v_cmp_ne_u16_sdwa s[8:9], v36, v53 src0_sel:BYTE_0 src1_sel:DWORD
	s_nop 0
	v_mfma_f32_16x16x16bf16_1k v[58:61], v[34:35], v[26:27], 0
	v_perm_b32 v35, v57, v56, s2
	v_perm_b32 v34, v42, v54, s2
	s_nop 1
	v_mfma_f32_16x16x16bf16_1k v[42:45], v[34:35], v[28:29], v[58:61]
	s_and_saveexec_b64 s[2:3], s[8:9]
	s_cbranch_execz .LBB880_67
; %bb.62:
	s_movk_i32 s8, 0x80
	v_cmp_ne_u16_sdwa s[10:11], v36, s8 src0_sel:BYTE_0 src1_sel:DWORD
	v_mov_b32_e32 v53, 0xffff8000
	s_and_saveexec_b64 s[8:9], s[10:11]
	s_cbranch_execz .LBB880_66
; %bb.63:
	s_movk_i32 s10, 0x7f
	v_and_b32_e32 v34, 0x7f, v36
	v_cmp_ne_u32_e32 vcc, s10, v34
	v_mov_b32_e32 v53, 0x7f80
	s_and_saveexec_b64 s[10:11], vcc
	s_cbranch_execz .LBB880_65
; %bb.64:
	v_and_b32_e32 v35, 7, v36
	v_ffbh_u32_e32 v54, v35
	v_min_u32_e32 v56, 32, v54
	v_subrev_u32_e32 v54, 28, v56
	v_lshlrev_b64 v[54:55], v54, v[36:37]
	v_lshrrev_b32_e32 v53, 3, v34
	v_sub_u32_e32 v55, 29, v56
	v_and_b32_e32 v54, 7, v54
	v_cmp_gt_u32_e32 vcc, 8, v34
	v_cndmask_b32_e32 v34, v53, v55, vcc
	v_cndmask_b32_e32 v35, v35, v54, vcc
	v_lshlrev_b32_e32 v53, 24, v36
	v_bfrev_b32_e32 v54, 60
	v_lshlrev_b32_e32 v35, 20, v35
	v_and_b32_e32 v53, 0x80000000, v53
	v_lshl_add_u32 v34, v34, 23, v54
	v_or3_b32 v34, v53, v34, v35
	v_lshrrev_b32_e32 v53, 16, v34
.LBB880_65:
	s_or_b64 exec, exec, s[10:11]
.LBB880_66:
	s_or_b64 exec, exec, s[8:9]
.LBB880_67:
	s_or_b64 exec, exec, s[2:3]
	v_lshrrev_b16_e32 v34, 8, v36
	v_cmp_ne_u16_e32 vcc, 0, v34
	v_mov_b32_e32 v55, 0
	v_mov_b32_e32 v35, 0
	s_and_saveexec_b64 s[2:3], vcc
	s_cbranch_execz .LBB880_73
; %bb.68:
	s_movk_i32 s8, 0x80
	v_cmp_ne_u16_e32 vcc, s8, v34
	v_mov_b32_e32 v35, 0xffff8000
	s_and_saveexec_b64 s[8:9], vcc
	s_cbranch_execz .LBB880_72
; %bb.69:
	s_movk_i32 s10, 0x7f
	v_and_b32_e32 v54, 0x7f, v34
	v_cmp_ne_u32_e32 vcc, s10, v54
	v_mov_b32_e32 v35, 0x7f80
	s_and_saveexec_b64 s[10:11], vcc
	s_cbranch_execz .LBB880_71
; %bb.70:
	v_and_b32_e32 v56, 7, v34
	v_ffbh_u32_e32 v35, v56
	v_min_u32_e32 v58, 32, v35
	v_subrev_u32_e32 v35, 28, v58
	v_lshlrev_b64 v[34:35], v35, v[34:35]
	v_lshrrev_b32_e32 v57, 3, v54
	v_sub_u32_e32 v35, 29, v58
	v_and_b32_e32 v34, 7, v34
	v_cmp_gt_u32_e32 vcc, 8, v54
	v_cndmask_b32_e32 v35, v57, v35, vcc
	v_cndmask_b32_e32 v34, v56, v34, vcc
	v_lshlrev_b32_e32 v54, 16, v36
	v_bfrev_b32_e32 v56, 60
	v_lshlrev_b32_e32 v34, 20, v34
	v_and_b32_e32 v54, 0x80000000, v54
	v_lshl_add_u32 v35, v35, 23, v56
	v_or3_b32 v34, v54, v35, v34
	v_lshrrev_b32_e32 v35, 16, v34
.LBB880_71:
	s_or_b64 exec, exec, s[10:11]
.LBB880_72:
	s_or_b64 exec, exec, s[8:9]
.LBB880_73:
	s_or_b64 exec, exec, s[2:3]
	s_movk_i32 s2, 0xff
	v_and_b32_sdwa v54, v36, s2 dst_sel:DWORD dst_unused:UNUSED_PAD src0_sel:WORD_1 src1_sel:DWORD
	v_lshrrev_b32_e32 v34, 16, v36
	v_cmp_ne_u16_e32 vcc, 0, v54
	s_and_saveexec_b64 s[2:3], vcc
	s_cbranch_execz .LBB880_79
; %bb.74:
	s_movk_i32 s8, 0x80
	v_cmp_ne_u16_e32 vcc, s8, v54
	v_mov_b32_e32 v55, 0xffff8000
	s_and_saveexec_b64 s[8:9], vcc
	s_cbranch_execz .LBB880_78
; %bb.75:
	v_bfe_u32 v54, v36, 16, 7
	s_movk_i32 s10, 0x7f
	v_cmp_ne_u32_e32 vcc, s10, v54
	v_mov_b32_e32 v55, 0x7f80
	s_and_saveexec_b64 s[10:11], vcc
	s_cbranch_execz .LBB880_77
; %bb.76:
	v_and_b32_e32 v55, 7, v34
	v_ffbh_u32_e32 v56, v55
	v_min_u32_e32 v59, 32, v56
	v_subrev_u32_e32 v56, 28, v59
	v_lshlrev_b64 v[56:57], v56, v[34:35]
	v_and_b32_e32 v56, 7, v56
	v_cmp_gt_u32_e32 vcc, 8, v54
	v_lshrrev_b32_e32 v58, 3, v54
	v_sub_u32_e32 v34, 29, v59
	v_cndmask_b32_e32 v54, v55, v56, vcc
	v_mov_b32_e32 v55, 24
	v_cndmask_b32_e32 v34, v58, v34, vcc
	v_lshlrev_b32_sdwa v55, v55, v36 dst_sel:DWORD dst_unused:UNUSED_PAD src0_sel:DWORD src1_sel:WORD_1
	v_bfrev_b32_e32 v56, 60
	v_lshlrev_b32_e32 v54, 20, v54
	v_and_b32_e32 v55, 0x80000000, v55
	v_lshl_add_u32 v34, v34, 23, v56
	v_or3_b32 v34, v55, v34, v54
	v_lshrrev_b32_e32 v55, 16, v34
.LBB880_77:
	s_or_b64 exec, exec, s[10:11]
.LBB880_78:
	s_or_b64 exec, exec, s[8:9]
.LBB880_79:
	s_or_b64 exec, exec, s[2:3]
	s_mov_b32 s2, 0xffffff
	v_cmp_lt_u32_e32 vcc, s2, v36
	v_mov_b32_e32 v56, 0
	v_mov_b32_e32 v57, 0
	s_and_saveexec_b64 s[2:3], vcc
	s_cbranch_execz .LBB880_85
; %bb.80:
	v_lshrrev_b32_e32 v34, 24, v36
	s_movk_i32 s8, 0x80
	v_cmp_ne_u32_e32 vcc, s8, v34
	v_mov_b32_e32 v57, 0xffff8000
	s_and_saveexec_b64 s[8:9], vcc
	s_cbranch_execz .LBB880_84
; %bb.81:
	v_bfe_u32 v36, v36, 24, 7
	s_movk_i32 s10, 0x7f
	v_cmp_ne_u32_e32 vcc, s10, v36
	v_mov_b32_e32 v57, 0x7f80
	s_and_saveexec_b64 s[10:11], vcc
	s_cbranch_execz .LBB880_83
; %bb.82:
	v_and_b32_e32 v54, 7, v34
	v_ffbh_u32_e32 v58, v54
	v_min_u32_e32 v60, 32, v58
	v_subrev_u32_e32 v58, 28, v60
	v_lshlrev_b64 v[58:59], v58, v[34:35]
	v_lshrrev_b32_e32 v57, 3, v36
	v_sub_u32_e32 v59, 29, v60
	v_and_b32_e32 v58, 7, v58
	v_cmp_gt_u32_e32 vcc, 8, v36
	v_cndmask_b32_e32 v36, v57, v59, vcc
	v_cndmask_b32_e32 v54, v54, v58, vcc
	v_lshlrev_b32_e32 v34, 24, v34
	v_bfrev_b32_e32 v57, 60
	v_lshlrev_b32_e32 v54, 20, v54
	v_and_b32_e32 v34, 0x80000000, v34
	v_lshl_add_u32 v36, v36, 23, v57
	v_or3_b32 v34, v34, v36, v54
	v_lshrrev_b32_e32 v57, 16, v34
.LBB880_83:
	s_or_b64 exec, exec, s[10:11]
.LBB880_84:
	s_or_b64 exec, exec, s[8:9]
.LBB880_85:
	s_or_b64 exec, exec, s[2:3]
	v_cmp_ne_u16_sdwa s[8:9], v37, v56 src0_sel:BYTE_0 src1_sel:DWORD
	s_and_saveexec_b64 s[2:3], s[8:9]
	s_cbranch_execz .LBB880_91
; %bb.86:
	s_movk_i32 s8, 0x80
	v_cmp_ne_u16_sdwa s[10:11], v37, s8 src0_sel:BYTE_0 src1_sel:DWORD
	v_mov_b32_e32 v56, 0xffff8000
	s_and_saveexec_b64 s[8:9], s[10:11]
	s_cbranch_execz .LBB880_90
; %bb.87:
	s_movk_i32 s10, 0x7f
	v_and_b32_e32 v34, 0x7f, v37
	v_cmp_ne_u32_e32 vcc, s10, v34
	v_mov_b32_e32 v56, 0x7f80
	s_and_saveexec_b64 s[10:11], vcc
	s_cbranch_execz .LBB880_89
; %bb.88:
	v_and_b32_e32 v54, 7, v37
	v_ffbh_u32_e32 v58, v54
	v_min_u32_e32 v60, 32, v58
	v_mov_b32_e32 v36, v37
	v_subrev_u32_e32 v58, 28, v60
	v_lshlrev_b64 v[58:59], v58, v[36:37]
	v_lshrrev_b32_e32 v56, 3, v34
	v_sub_u32_e32 v36, 29, v60
	v_and_b32_e32 v58, 7, v58
	v_cmp_gt_u32_e32 vcc, 8, v34
	v_cndmask_b32_e32 v34, v56, v36, vcc
	v_cndmask_b32_e32 v36, v54, v58, vcc
	v_lshlrev_b32_e32 v54, 24, v37
	v_bfrev_b32_e32 v56, 60
	v_lshlrev_b32_e32 v36, 20, v36
	v_and_b32_e32 v54, 0x80000000, v54
	v_lshl_add_u32 v34, v34, 23, v56
	v_or3_b32 v34, v54, v34, v36
	v_lshrrev_b32_e32 v56, 16, v34
.LBB880_89:
	s_or_b64 exec, exec, s[10:11]
.LBB880_90:
	s_or_b64 exec, exec, s[8:9]
.LBB880_91:
	s_or_b64 exec, exec, s[2:3]
	v_lshrrev_b16_e32 v34, 8, v37
	v_cmp_ne_u16_e32 vcc, 0, v34
	v_mov_b32_e32 v58, 0
	v_mov_b32_e32 v36, 0
	s_and_saveexec_b64 s[2:3], vcc
	s_cbranch_execz .LBB880_97
; %bb.92:
	s_movk_i32 s8, 0x80
	v_cmp_ne_u16_e32 vcc, s8, v34
	v_mov_b32_e32 v36, 0xffff8000
	s_and_saveexec_b64 s[8:9], vcc
	s_cbranch_execz .LBB880_96
; %bb.93:
	s_movk_i32 s10, 0x7f
	v_and_b32_e32 v54, 0x7f, v34
	v_cmp_ne_u32_e32 vcc, s10, v54
	v_mov_b32_e32 v36, 0x7f80
	s_and_saveexec_b64 s[10:11], vcc
	s_cbranch_execz .LBB880_95
; %bb.94:
	v_and_b32_e32 v36, 7, v34
	v_ffbh_u32_e32 v60, v36
	v_min_u32_e32 v62, 32, v60
	v_subrev_u32_e32 v60, 28, v62
	v_lshlrev_b64 v[60:61], v60, v[34:35]
	v_lshrrev_b32_e32 v59, 3, v54
	v_sub_u32_e32 v34, 29, v62
	v_and_b32_e32 v60, 7, v60
	v_cmp_gt_u32_e32 vcc, 8, v54
	v_cndmask_b32_e32 v34, v59, v34, vcc
	v_cndmask_b32_e32 v36, v36, v60, vcc
	v_lshlrev_b32_e32 v54, 16, v37
	v_bfrev_b32_e32 v59, 60
	v_lshlrev_b32_e32 v36, 20, v36
	v_and_b32_e32 v54, 0x80000000, v54
	v_lshl_add_u32 v34, v34, 23, v59
	v_or3_b32 v34, v54, v34, v36
	v_lshrrev_b32_e32 v36, 16, v34
.LBB880_95:
	s_or_b64 exec, exec, s[10:11]
.LBB880_96:
	s_or_b64 exec, exec, s[8:9]
.LBB880_97:
	s_or_b64 exec, exec, s[2:3]
	s_movk_i32 s2, 0xff
	v_and_b32_sdwa v54, v37, s2 dst_sel:DWORD dst_unused:UNUSED_PAD src0_sel:WORD_1 src1_sel:DWORD
	v_lshrrev_b32_e32 v34, 16, v37
	v_cmp_ne_u16_e32 vcc, 0, v54
	s_and_saveexec_b64 s[2:3], vcc
	s_cbranch_execz .LBB880_103
; %bb.98:
	s_movk_i32 s8, 0x80
	v_cmp_ne_u16_e32 vcc, s8, v54
	v_mov_b32_e32 v58, 0xffff8000
	s_and_saveexec_b64 s[8:9], vcc
	s_cbranch_execz .LBB880_102
; %bb.99:
	v_bfe_u32 v54, v37, 16, 7
	s_movk_i32 s10, 0x7f
	v_cmp_ne_u32_e32 vcc, s10, v54
	v_mov_b32_e32 v58, 0x7f80
	s_and_saveexec_b64 s[10:11], vcc
	s_cbranch_execz .LBB880_101
; %bb.100:
	v_and_b32_e32 v60, 7, v34
	v_ffbh_u32_e32 v58, v60
	v_min_u32_e32 v62, 32, v58
	v_subrev_u32_e32 v58, 28, v62
	v_lshlrev_b64 v[58:59], v58, v[34:35]
	v_and_b32_e32 v58, 7, v58
	v_cmp_gt_u32_e32 vcc, 8, v54
	v_lshrrev_b32_e32 v61, 3, v54
	v_sub_u32_e32 v34, 29, v62
	v_cndmask_b32_e32 v54, v60, v58, vcc
	v_mov_b32_e32 v58, 24
	v_cndmask_b32_e32 v34, v61, v34, vcc
	v_lshlrev_b32_sdwa v58, v58, v37 dst_sel:DWORD dst_unused:UNUSED_PAD src0_sel:DWORD src1_sel:WORD_1
	v_bfrev_b32_e32 v59, 60
	v_lshlrev_b32_e32 v54, 20, v54
	v_and_b32_e32 v58, 0x80000000, v58
	v_lshl_add_u32 v34, v34, 23, v59
	v_or3_b32 v34, v58, v34, v54
	v_lshrrev_b32_e32 v58, 16, v34
.LBB880_101:
	s_or_b64 exec, exec, s[10:11]
.LBB880_102:
	s_or_b64 exec, exec, s[8:9]
.LBB880_103:
	s_or_b64 exec, exec, s[2:3]
	s_mov_b32 s2, 0xffffff
	v_cmp_lt_u32_e32 vcc, s2, v37
	v_mov_b32_e32 v54, 0
	v_mov_b32_e32 v59, 0
	s_and_saveexec_b64 s[2:3], vcc
	s_cbranch_execz .LBB880_109
; %bb.104:
	v_lshrrev_b32_e32 v34, 24, v37
	s_movk_i32 s8, 0x80
	v_cmp_ne_u32_e32 vcc, s8, v34
	v_mov_b32_e32 v59, 0xffff8000
	s_and_saveexec_b64 s[8:9], vcc
	s_cbranch_execz .LBB880_108
; %bb.105:
	v_bfe_u32 v37, v37, 24, 7
	s_movk_i32 s10, 0x7f
	v_cmp_ne_u32_e32 vcc, s10, v37
	v_mov_b32_e32 v59, 0x7f80
	s_and_saveexec_b64 s[10:11], vcc
	s_cbranch_execz .LBB880_107
; %bb.106:
	v_and_b32_e32 v59, 7, v34
	v_ffbh_u32_e32 v60, v59
	v_min_u32_e32 v63, 32, v60
	v_subrev_u32_e32 v60, 28, v63
	v_lshlrev_b64 v[60:61], v60, v[34:35]
	v_lshrrev_b32_e32 v62, 3, v37
	v_sub_u32_e32 v61, 29, v63
	v_and_b32_e32 v60, 7, v60
	v_cmp_gt_u32_e32 vcc, 8, v37
	v_cndmask_b32_e32 v37, v62, v61, vcc
	v_cndmask_b32_e32 v59, v59, v60, vcc
	v_lshlrev_b32_e32 v34, 24, v34
	v_bfrev_b32_e32 v60, 60
	v_lshlrev_b32_e32 v59, 20, v59
	v_and_b32_e32 v34, 0x80000000, v34
	v_lshl_add_u32 v37, v37, 23, v60
	v_or3_b32 v34, v34, v37, v59
	v_lshrrev_b32_e32 v59, 16, v34
.LBB880_107:
	s_or_b64 exec, exec, s[10:11]
.LBB880_108:
	s_or_b64 exec, exec, s[8:9]
.LBB880_109:
	s_or_b64 exec, exec, s[2:3]
	s_mov_b32 s2, 0x5040100
	v_perm_b32 v61, v57, v55, s2
	v_perm_b32 v60, v35, v53, s2
	;; [unrolled: 1-line block ×4, first 2 shown]
	v_cmp_ne_u16_sdwa s[8:9], v38, v54 src0_sel:BYTE_0 src1_sel:DWORD
	v_mfma_f32_16x16x16bf16_1k v[42:45], v[60:61], v[18:19], v[42:45]
	v_mfma_f32_16x16x16bf16_1k v[34:37], v[34:35], v[20:21], v[42:45]
	s_and_saveexec_b64 s[2:3], s[8:9]
	s_cbranch_execz .LBB880_115
; %bb.110:
	s_movk_i32 s8, 0x80
	v_cmp_ne_u16_sdwa s[10:11], v38, s8 src0_sel:BYTE_0 src1_sel:DWORD
	v_mov_b32_e32 v54, 0xffff8000
	s_and_saveexec_b64 s[8:9], s[10:11]
	s_cbranch_execz .LBB880_114
; %bb.111:
	s_movk_i32 s10, 0x7f
	s_nop 1
	v_and_b32_e32 v42, 0x7f, v38
	v_cmp_ne_u32_e32 vcc, s10, v42
	v_mov_b32_e32 v54, 0x7f80
	s_and_saveexec_b64 s[10:11], vcc
	s_cbranch_execz .LBB880_113
; %bb.112:
	v_and_b32_e32 v43, 7, v38
	v_ffbh_u32_e32 v44, v43
	v_min_u32_e32 v54, 32, v44
	v_subrev_u32_e32 v44, 28, v54
	v_lshlrev_b64 v[44:45], v44, v[38:39]
	v_lshrrev_b32_e32 v53, 3, v42
	v_sub_u32_e32 v45, 29, v54
	v_and_b32_e32 v44, 7, v44
	v_cmp_gt_u32_e32 vcc, 8, v42
	v_cndmask_b32_e32 v42, v53, v45, vcc
	v_cndmask_b32_e32 v43, v43, v44, vcc
	v_lshlrev_b32_e32 v44, 24, v38
	v_bfrev_b32_e32 v45, 60
	v_lshlrev_b32_e32 v43, 20, v43
	v_and_b32_e32 v44, 0x80000000, v44
	v_lshl_add_u32 v42, v42, 23, v45
	v_or3_b32 v42, v44, v42, v43
	v_lshrrev_b32_e32 v54, 16, v42
.LBB880_113:
	s_or_b64 exec, exec, s[10:11]
.LBB880_114:
	s_or_b64 exec, exec, s[8:9]
.LBB880_115:
	s_or_b64 exec, exec, s[2:3]
	s_nop 6
	v_lshrrev_b16_e32 v42, 8, v38
	v_cmp_ne_u16_e32 vcc, 0, v42
	v_mov_b32_e32 v44, 0
	v_mov_b32_e32 v43, 0
	s_and_saveexec_b64 s[2:3], vcc
	s_cbranch_execz .LBB880_121
; %bb.116:
	s_movk_i32 s8, 0x80
	v_cmp_ne_u16_e32 vcc, s8, v42
	v_mov_b32_e32 v43, 0xffff8000
	s_and_saveexec_b64 s[8:9], vcc
	s_cbranch_execz .LBB880_120
; %bb.117:
	s_movk_i32 s10, 0x7f
	v_and_b32_e32 v45, 0x7f, v42
	v_cmp_ne_u32_e32 vcc, s10, v45
	v_mov_b32_e32 v43, 0x7f80
	s_and_saveexec_b64 s[10:11], vcc
	s_cbranch_execz .LBB880_119
; %bb.118:
	v_and_b32_e32 v53, 7, v42
	v_ffbh_u32_e32 v43, v53
	v_min_u32_e32 v56, 32, v43
	v_subrev_u32_e32 v43, 28, v56
	v_lshlrev_b64 v[42:43], v43, v[42:43]
	v_lshrrev_b32_e32 v55, 3, v45
	v_sub_u32_e32 v43, 29, v56
	v_and_b32_e32 v42, 7, v42
	v_cmp_gt_u32_e32 vcc, 8, v45
	v_cndmask_b32_e32 v43, v55, v43, vcc
	v_cndmask_b32_e32 v42, v53, v42, vcc
	v_lshlrev_b32_e32 v45, 16, v38
	v_bfrev_b32_e32 v53, 60
	v_lshlrev_b32_e32 v42, 20, v42
	v_and_b32_e32 v45, 0x80000000, v45
	v_lshl_add_u32 v43, v43, 23, v53
	v_or3_b32 v42, v45, v43, v42
	v_lshrrev_b32_e32 v43, 16, v42
.LBB880_119:
	s_or_b64 exec, exec, s[10:11]
.LBB880_120:
	s_or_b64 exec, exec, s[8:9]
.LBB880_121:
	s_or_b64 exec, exec, s[2:3]
	s_movk_i32 s2, 0xff
	v_and_b32_sdwa v45, v38, s2 dst_sel:DWORD dst_unused:UNUSED_PAD src0_sel:WORD_1 src1_sel:DWORD
	v_lshrrev_b32_e32 v42, 16, v38
	v_cmp_ne_u16_e32 vcc, 0, v45
	s_and_saveexec_b64 s[2:3], vcc
	s_cbranch_execz .LBB880_127
; %bb.122:
	s_movk_i32 s8, 0x80
	v_cmp_ne_u16_e32 vcc, s8, v45
	v_mov_b32_e32 v44, 0xffff8000
	s_and_saveexec_b64 s[8:9], vcc
	s_cbranch_execz .LBB880_126
; %bb.123:
	v_bfe_u32 v45, v38, 16, 7
	s_movk_i32 s10, 0x7f
	v_cmp_ne_u32_e32 vcc, s10, v45
	v_mov_b32_e32 v44, 0x7f80
	s_and_saveexec_b64 s[10:11], vcc
	s_cbranch_execz .LBB880_125
; %bb.124:
	v_and_b32_e32 v44, 7, v42
	v_ffbh_u32_e32 v55, v44
	v_min_u32_e32 v55, 32, v55
	v_subrev_u32_e32 v56, 28, v55
	v_lshlrev_b64 v[56:57], v56, v[42:43]
	v_lshrrev_b32_e32 v53, 3, v45
	v_sub_u32_e32 v42, 29, v55
	v_and_b32_e32 v55, 7, v56
	v_cmp_gt_u32_e32 vcc, 8, v45
	v_mov_b32_e32 v45, 24
	v_cndmask_b32_e32 v42, v53, v42, vcc
	v_cndmask_b32_e32 v44, v44, v55, vcc
	v_lshlrev_b32_sdwa v45, v45, v38 dst_sel:DWORD dst_unused:UNUSED_PAD src0_sel:DWORD src1_sel:WORD_1
	v_bfrev_b32_e32 v53, 60
	v_lshlrev_b32_e32 v44, 20, v44
	v_and_b32_e32 v45, 0x80000000, v45
	v_lshl_add_u32 v42, v42, 23, v53
	v_or3_b32 v42, v45, v42, v44
	v_lshrrev_b32_e32 v44, 16, v42
.LBB880_125:
	s_or_b64 exec, exec, s[10:11]
.LBB880_126:
	s_or_b64 exec, exec, s[8:9]
.LBB880_127:
	s_or_b64 exec, exec, s[2:3]
	s_mov_b32 s2, 0xffffff
	v_cmp_lt_u32_e32 vcc, s2, v38
	v_mov_b32_e32 v45, 0
	v_mov_b32_e32 v55, 0
	s_and_saveexec_b64 s[2:3], vcc
	s_cbranch_execz .LBB880_133
; %bb.128:
	v_lshrrev_b32_e32 v42, 24, v38
	s_movk_i32 s8, 0x80
	v_cmp_ne_u32_e32 vcc, s8, v42
	v_mov_b32_e32 v55, 0xffff8000
	s_and_saveexec_b64 s[8:9], vcc
	s_cbranch_execz .LBB880_132
; %bb.129:
	v_bfe_u32 v38, v38, 24, 7
	s_movk_i32 s10, 0x7f
	v_cmp_ne_u32_e32 vcc, s10, v38
	v_mov_b32_e32 v55, 0x7f80
	s_and_saveexec_b64 s[10:11], vcc
	s_cbranch_execz .LBB880_131
; %bb.130:
	v_and_b32_e32 v53, 7, v42
	v_ffbh_u32_e32 v56, v53
	v_min_u32_e32 v58, 32, v56
	v_subrev_u32_e32 v56, 28, v58
	v_lshlrev_b64 v[56:57], v56, v[42:43]
	v_lshrrev_b32_e32 v55, 3, v38
	v_sub_u32_e32 v57, 29, v58
	v_and_b32_e32 v56, 7, v56
	v_cmp_gt_u32_e32 vcc, 8, v38
	v_cndmask_b32_e32 v38, v55, v57, vcc
	v_cndmask_b32_e32 v53, v53, v56, vcc
	v_lshlrev_b32_e32 v42, 24, v42
	v_bfrev_b32_e32 v55, 60
	v_lshlrev_b32_e32 v53, 20, v53
	v_and_b32_e32 v42, 0x80000000, v42
	v_lshl_add_u32 v38, v38, 23, v55
	v_or3_b32 v38, v42, v38, v53
	v_lshrrev_b32_e32 v55, 16, v38
.LBB880_131:
	s_or_b64 exec, exec, s[10:11]
.LBB880_132:
	s_or_b64 exec, exec, s[8:9]
.LBB880_133:
	s_or_b64 exec, exec, s[2:3]
	v_cmp_ne_u16_sdwa s[8:9], v39, v45 src0_sel:BYTE_0 src1_sel:DWORD
	s_and_saveexec_b64 s[2:3], s[8:9]
	s_cbranch_execz .LBB880_139
; %bb.134:
	s_movk_i32 s8, 0x80
	v_cmp_ne_u16_sdwa s[10:11], v39, s8 src0_sel:BYTE_0 src1_sel:DWORD
	v_mov_b32_e32 v45, 0xffff8000
	s_and_saveexec_b64 s[8:9], s[10:11]
	s_cbranch_execz .LBB880_138
; %bb.135:
	s_movk_i32 s10, 0x7f
	v_and_b32_e32 v38, 0x7f, v39
	v_cmp_ne_u32_e32 vcc, s10, v38
	v_mov_b32_e32 v45, 0x7f80
	s_and_saveexec_b64 s[10:11], vcc
	s_cbranch_execz .LBB880_137
; %bb.136:
	v_and_b32_e32 v45, 7, v39
	v_ffbh_u32_e32 v56, v45
	v_min_u32_e32 v58, 32, v56
	v_mov_b32_e32 v42, v39
	v_subrev_u32_e32 v56, 28, v58
	v_lshlrev_b64 v[56:57], v56, v[42:43]
	v_lshrrev_b32_e32 v53, 3, v38
	v_sub_u32_e32 v42, 29, v58
	v_and_b32_e32 v56, 7, v56
	v_cmp_gt_u32_e32 vcc, 8, v38
	v_cndmask_b32_e32 v38, v53, v42, vcc
	v_cndmask_b32_e32 v42, v45, v56, vcc
	v_lshlrev_b32_e32 v45, 24, v39
	v_bfrev_b32_e32 v53, 60
	v_lshlrev_b32_e32 v42, 20, v42
	v_and_b32_e32 v45, 0x80000000, v45
	v_lshl_add_u32 v38, v38, 23, v53
	v_or3_b32 v38, v45, v38, v42
	v_lshrrev_b32_e32 v45, 16, v38
.LBB880_137:
	s_or_b64 exec, exec, s[10:11]
.LBB880_138:
	s_or_b64 exec, exec, s[8:9]
.LBB880_139:
	s_or_b64 exec, exec, s[2:3]
	v_lshrrev_b16_e32 v38, 8, v39
	v_cmp_ne_u16_e32 vcc, 0, v38
	v_mov_b32_e32 v56, 0
	v_mov_b32_e32 v42, 0
	s_and_saveexec_b64 s[2:3], vcc
	s_cbranch_execz .LBB880_145
; %bb.140:
	s_movk_i32 s8, 0x80
	v_cmp_ne_u16_e32 vcc, s8, v38
	v_mov_b32_e32 v42, 0xffff8000
	s_and_saveexec_b64 s[8:9], vcc
	s_cbranch_execz .LBB880_144
; %bb.141:
	s_movk_i32 s10, 0x7f
	v_and_b32_e32 v53, 0x7f, v38
	v_cmp_ne_u32_e32 vcc, s10, v53
	v_mov_b32_e32 v42, 0x7f80
	s_and_saveexec_b64 s[10:11], vcc
	s_cbranch_execz .LBB880_143
; %bb.142:
	v_and_b32_e32 v42, 7, v38
	v_ffbh_u32_e32 v58, v42
	v_min_u32_e32 v60, 32, v58
	v_subrev_u32_e32 v58, 28, v60
	v_lshlrev_b64 v[58:59], v58, v[38:39]
	v_lshrrev_b32_e32 v57, 3, v53
	v_sub_u32_e32 v38, 29, v60
	v_and_b32_e32 v58, 7, v58
	v_cmp_gt_u32_e32 vcc, 8, v53
	v_cndmask_b32_e32 v38, v57, v38, vcc
	v_cndmask_b32_e32 v42, v42, v58, vcc
	v_lshlrev_b32_e32 v53, 16, v39
	v_bfrev_b32_e32 v57, 60
	v_lshlrev_b32_e32 v42, 20, v42
	v_and_b32_e32 v53, 0x80000000, v53
	v_lshl_add_u32 v38, v38, 23, v57
	v_or3_b32 v38, v53, v38, v42
	v_lshrrev_b32_e32 v42, 16, v38
.LBB880_143:
	s_or_b64 exec, exec, s[10:11]
.LBB880_144:
	s_or_b64 exec, exec, s[8:9]
.LBB880_145:
	s_or_b64 exec, exec, s[2:3]
	s_movk_i32 s2, 0xff
	v_and_b32_sdwa v53, v39, s2 dst_sel:DWORD dst_unused:UNUSED_PAD src0_sel:WORD_1 src1_sel:DWORD
	v_lshrrev_b32_e32 v38, 16, v39
	v_cmp_ne_u16_e32 vcc, 0, v53
	s_and_saveexec_b64 s[2:3], vcc
	s_cbranch_execz .LBB880_151
; %bb.146:
	s_movk_i32 s8, 0x80
	v_cmp_ne_u16_e32 vcc, s8, v53
	v_mov_b32_e32 v56, 0xffff8000
	s_and_saveexec_b64 s[8:9], vcc
	s_cbranch_execz .LBB880_150
; %bb.147:
	v_bfe_u32 v53, v39, 16, 7
	s_movk_i32 s10, 0x7f
	v_cmp_ne_u32_e32 vcc, s10, v53
	v_mov_b32_e32 v56, 0x7f80
	s_and_saveexec_b64 s[10:11], vcc
	s_cbranch_execz .LBB880_149
; %bb.148:
	v_and_b32_e32 v58, 7, v38
	v_ffbh_u32_e32 v56, v58
	v_min_u32_e32 v60, 32, v56
	v_subrev_u32_e32 v56, 28, v60
	v_lshlrev_b64 v[56:57], v56, v[38:39]
	v_and_b32_e32 v56, 7, v56
	v_cmp_gt_u32_e32 vcc, 8, v53
	v_lshrrev_b32_e32 v59, 3, v53
	v_sub_u32_e32 v38, 29, v60
	v_cndmask_b32_e32 v53, v58, v56, vcc
	v_mov_b32_e32 v56, 24
	v_cndmask_b32_e32 v38, v59, v38, vcc
	v_lshlrev_b32_sdwa v56, v56, v39 dst_sel:DWORD dst_unused:UNUSED_PAD src0_sel:DWORD src1_sel:WORD_1
	v_bfrev_b32_e32 v57, 60
	v_lshlrev_b32_e32 v53, 20, v53
	v_and_b32_e32 v56, 0x80000000, v56
	v_lshl_add_u32 v38, v38, 23, v57
	v_or3_b32 v38, v56, v38, v53
	v_lshrrev_b32_e32 v56, 16, v38
.LBB880_149:
	s_or_b64 exec, exec, s[10:11]
.LBB880_150:
	s_or_b64 exec, exec, s[8:9]
.LBB880_151:
	s_or_b64 exec, exec, s[2:3]
	s_mov_b32 s2, 0xffffff
	v_cmp_lt_u32_e32 vcc, s2, v39
	v_mov_b32_e32 v53, 0
	v_mov_b32_e32 v57, 0
	s_and_saveexec_b64 s[2:3], vcc
	s_cbranch_execz .LBB880_157
; %bb.152:
	v_lshrrev_b32_e32 v38, 24, v39
	s_movk_i32 s8, 0x80
	v_cmp_ne_u32_e32 vcc, s8, v38
	v_mov_b32_e32 v57, 0xffff8000
	s_and_saveexec_b64 s[8:9], vcc
	s_cbranch_execz .LBB880_156
; %bb.153:
	v_bfe_u32 v39, v39, 24, 7
	s_movk_i32 s10, 0x7f
	v_cmp_ne_u32_e32 vcc, s10, v39
	v_mov_b32_e32 v57, 0x7f80
	s_and_saveexec_b64 s[10:11], vcc
	s_cbranch_execz .LBB880_155
; %bb.154:
	v_and_b32_e32 v57, 7, v38
	v_ffbh_u32_e32 v58, v57
	v_min_u32_e32 v61, 32, v58
	v_subrev_u32_e32 v58, 28, v61
	v_lshlrev_b64 v[58:59], v58, v[38:39]
	v_lshrrev_b32_e32 v60, 3, v39
	v_sub_u32_e32 v59, 29, v61
	v_and_b32_e32 v58, 7, v58
	v_cmp_gt_u32_e32 vcc, 8, v39
	v_cndmask_b32_e32 v39, v60, v59, vcc
	v_cndmask_b32_e32 v57, v57, v58, vcc
	v_lshlrev_b32_e32 v38, 24, v38
	v_bfrev_b32_e32 v58, 60
	v_lshlrev_b32_e32 v57, 20, v57
	v_and_b32_e32 v38, 0x80000000, v38
	v_lshl_add_u32 v39, v39, 23, v58
	v_or3_b32 v38, v38, v39, v57
	v_lshrrev_b32_e32 v57, 16, v38
.LBB880_155:
	s_or_b64 exec, exec, s[10:11]
.LBB880_156:
	s_or_b64 exec, exec, s[8:9]
.LBB880_157:
	s_or_b64 exec, exec, s[2:3]
	s_mov_b32 s2, 0x5040100
	v_perm_b32 v39, v55, v44, s2
	v_perm_b32 v38, v43, v54, s2
	v_cmp_ne_u16_sdwa s[8:9], v40, v53 src0_sel:BYTE_0 src1_sel:DWORD
	s_nop 0
	v_mfma_f32_16x16x16bf16_1k v[58:61], v[38:39], v[26:27], 0
	v_perm_b32 v39, v57, v56, s2
	v_perm_b32 v38, v42, v45, s2
	s_nop 1
	v_mfma_f32_16x16x16bf16_1k v[42:45], v[38:39], v[28:29], v[58:61]
	s_and_saveexec_b64 s[2:3], s[8:9]
	s_cbranch_execz .LBB880_163
; %bb.158:
	s_movk_i32 s8, 0x80
	v_cmp_ne_u16_sdwa s[10:11], v40, s8 src0_sel:BYTE_0 src1_sel:DWORD
	v_mov_b32_e32 v53, 0xffff8000
	s_and_saveexec_b64 s[8:9], s[10:11]
	s_cbranch_execz .LBB880_162
; %bb.159:
	s_movk_i32 s10, 0x7f
	v_and_b32_e32 v38, 0x7f, v40
	v_cmp_ne_u32_e32 vcc, s10, v38
	v_mov_b32_e32 v53, 0x7f80
	s_and_saveexec_b64 s[10:11], vcc
	s_cbranch_execz .LBB880_161
; %bb.160:
	v_and_b32_e32 v39, 7, v40
	v_ffbh_u32_e32 v54, v39
	v_min_u32_e32 v56, 32, v54
	v_subrev_u32_e32 v54, 28, v56
	v_lshlrev_b64 v[54:55], v54, v[40:41]
	v_lshrrev_b32_e32 v53, 3, v38
	v_sub_u32_e32 v55, 29, v56
	v_and_b32_e32 v54, 7, v54
	v_cmp_gt_u32_e32 vcc, 8, v38
	v_cndmask_b32_e32 v38, v53, v55, vcc
	v_cndmask_b32_e32 v39, v39, v54, vcc
	v_lshlrev_b32_e32 v53, 24, v40
	v_bfrev_b32_e32 v54, 60
	v_lshlrev_b32_e32 v39, 20, v39
	v_and_b32_e32 v53, 0x80000000, v53
	v_lshl_add_u32 v38, v38, 23, v54
	v_or3_b32 v38, v53, v38, v39
	v_lshrrev_b32_e32 v53, 16, v38
.LBB880_161:
	s_or_b64 exec, exec, s[10:11]
.LBB880_162:
	s_or_b64 exec, exec, s[8:9]
.LBB880_163:
	s_or_b64 exec, exec, s[2:3]
	v_lshrrev_b16_e32 v38, 8, v40
	v_cmp_ne_u16_e32 vcc, 0, v38
	v_mov_b32_e32 v55, 0
	v_mov_b32_e32 v39, 0
	s_and_saveexec_b64 s[2:3], vcc
	s_cbranch_execz .LBB880_169
; %bb.164:
	s_movk_i32 s8, 0x80
	v_cmp_ne_u16_e32 vcc, s8, v38
	v_mov_b32_e32 v39, 0xffff8000
	s_and_saveexec_b64 s[8:9], vcc
	s_cbranch_execz .LBB880_168
; %bb.165:
	s_movk_i32 s10, 0x7f
	v_and_b32_e32 v54, 0x7f, v38
	v_cmp_ne_u32_e32 vcc, s10, v54
	v_mov_b32_e32 v39, 0x7f80
	s_and_saveexec_b64 s[10:11], vcc
	s_cbranch_execz .LBB880_167
; %bb.166:
	v_and_b32_e32 v56, 7, v38
	v_ffbh_u32_e32 v39, v56
	v_min_u32_e32 v58, 32, v39
	v_subrev_u32_e32 v39, 28, v58
	v_lshlrev_b64 v[38:39], v39, v[38:39]
	v_lshrrev_b32_e32 v57, 3, v54
	v_sub_u32_e32 v39, 29, v58
	v_and_b32_e32 v38, 7, v38
	v_cmp_gt_u32_e32 vcc, 8, v54
	v_cndmask_b32_e32 v39, v57, v39, vcc
	v_cndmask_b32_e32 v38, v56, v38, vcc
	v_lshlrev_b32_e32 v54, 16, v40
	v_bfrev_b32_e32 v56, 60
	v_lshlrev_b32_e32 v38, 20, v38
	v_and_b32_e32 v54, 0x80000000, v54
	v_lshl_add_u32 v39, v39, 23, v56
	v_or3_b32 v38, v54, v39, v38
	v_lshrrev_b32_e32 v39, 16, v38
.LBB880_167:
	s_or_b64 exec, exec, s[10:11]
.LBB880_168:
	s_or_b64 exec, exec, s[8:9]
.LBB880_169:
	s_or_b64 exec, exec, s[2:3]
	s_movk_i32 s2, 0xff
	v_and_b32_sdwa v54, v40, s2 dst_sel:DWORD dst_unused:UNUSED_PAD src0_sel:WORD_1 src1_sel:DWORD
	v_lshrrev_b32_e32 v38, 16, v40
	v_cmp_ne_u16_e32 vcc, 0, v54
	s_and_saveexec_b64 s[2:3], vcc
	s_cbranch_execz .LBB880_175
; %bb.170:
	s_movk_i32 s8, 0x80
	v_cmp_ne_u16_e32 vcc, s8, v54
	v_mov_b32_e32 v55, 0xffff8000
	s_and_saveexec_b64 s[8:9], vcc
	s_cbranch_execz .LBB880_174
; %bb.171:
	v_bfe_u32 v54, v40, 16, 7
	s_movk_i32 s10, 0x7f
	v_cmp_ne_u32_e32 vcc, s10, v54
	v_mov_b32_e32 v55, 0x7f80
	s_and_saveexec_b64 s[10:11], vcc
	s_cbranch_execz .LBB880_173
; %bb.172:
	v_and_b32_e32 v55, 7, v38
	v_ffbh_u32_e32 v56, v55
	v_min_u32_e32 v59, 32, v56
	v_subrev_u32_e32 v56, 28, v59
	v_lshlrev_b64 v[56:57], v56, v[38:39]
	v_and_b32_e32 v56, 7, v56
	v_cmp_gt_u32_e32 vcc, 8, v54
	v_lshrrev_b32_e32 v58, 3, v54
	v_sub_u32_e32 v38, 29, v59
	v_cndmask_b32_e32 v54, v55, v56, vcc
	v_mov_b32_e32 v55, 24
	v_cndmask_b32_e32 v38, v58, v38, vcc
	v_lshlrev_b32_sdwa v55, v55, v40 dst_sel:DWORD dst_unused:UNUSED_PAD src0_sel:DWORD src1_sel:WORD_1
	v_bfrev_b32_e32 v56, 60
	v_lshlrev_b32_e32 v54, 20, v54
	v_and_b32_e32 v55, 0x80000000, v55
	v_lshl_add_u32 v38, v38, 23, v56
	v_or3_b32 v38, v55, v38, v54
	v_lshrrev_b32_e32 v55, 16, v38
.LBB880_173:
	s_or_b64 exec, exec, s[10:11]
.LBB880_174:
	s_or_b64 exec, exec, s[8:9]
.LBB880_175:
	s_or_b64 exec, exec, s[2:3]
	s_mov_b32 s2, 0xffffff
	v_cmp_lt_u32_e32 vcc, s2, v40
	v_mov_b32_e32 v56, 0
	v_mov_b32_e32 v57, 0
	s_and_saveexec_b64 s[2:3], vcc
	s_cbranch_execz .LBB880_181
; %bb.176:
	v_lshrrev_b32_e32 v38, 24, v40
	s_movk_i32 s8, 0x80
	v_cmp_ne_u32_e32 vcc, s8, v38
	v_mov_b32_e32 v57, 0xffff8000
	s_and_saveexec_b64 s[8:9], vcc
	s_cbranch_execz .LBB880_180
; %bb.177:
	v_bfe_u32 v40, v40, 24, 7
	s_movk_i32 s10, 0x7f
	v_cmp_ne_u32_e32 vcc, s10, v40
	v_mov_b32_e32 v57, 0x7f80
	s_and_saveexec_b64 s[10:11], vcc
	s_cbranch_execz .LBB880_179
; %bb.178:
	v_and_b32_e32 v54, 7, v38
	v_ffbh_u32_e32 v58, v54
	v_min_u32_e32 v60, 32, v58
	v_subrev_u32_e32 v58, 28, v60
	v_lshlrev_b64 v[58:59], v58, v[38:39]
	v_lshrrev_b32_e32 v57, 3, v40
	v_sub_u32_e32 v59, 29, v60
	v_and_b32_e32 v58, 7, v58
	v_cmp_gt_u32_e32 vcc, 8, v40
	v_cndmask_b32_e32 v40, v57, v59, vcc
	v_cndmask_b32_e32 v54, v54, v58, vcc
	v_lshlrev_b32_e32 v38, 24, v38
	v_bfrev_b32_e32 v57, 60
	v_lshlrev_b32_e32 v54, 20, v54
	v_and_b32_e32 v38, 0x80000000, v38
	v_lshl_add_u32 v40, v40, 23, v57
	v_or3_b32 v38, v38, v40, v54
	v_lshrrev_b32_e32 v57, 16, v38
.LBB880_179:
	s_or_b64 exec, exec, s[10:11]
.LBB880_180:
	s_or_b64 exec, exec, s[8:9]
.LBB880_181:
	s_or_b64 exec, exec, s[2:3]
	v_cmp_ne_u16_sdwa s[8:9], v41, v56 src0_sel:BYTE_0 src1_sel:DWORD
	s_and_saveexec_b64 s[2:3], s[8:9]
	s_cbranch_execz .LBB880_187
; %bb.182:
	s_movk_i32 s8, 0x80
	v_cmp_ne_u16_sdwa s[10:11], v41, s8 src0_sel:BYTE_0 src1_sel:DWORD
	v_mov_b32_e32 v56, 0xffff8000
	s_and_saveexec_b64 s[8:9], s[10:11]
	s_cbranch_execz .LBB880_186
; %bb.183:
	s_movk_i32 s10, 0x7f
	v_and_b32_e32 v38, 0x7f, v41
	v_cmp_ne_u32_e32 vcc, s10, v38
	v_mov_b32_e32 v56, 0x7f80
	s_and_saveexec_b64 s[10:11], vcc
	s_cbranch_execz .LBB880_185
; %bb.184:
	v_and_b32_e32 v54, 7, v41
	v_ffbh_u32_e32 v58, v54
	v_min_u32_e32 v60, 32, v58
	v_mov_b32_e32 v40, v41
	v_subrev_u32_e32 v58, 28, v60
	v_lshlrev_b64 v[58:59], v58, v[40:41]
	v_lshrrev_b32_e32 v56, 3, v38
	v_sub_u32_e32 v40, 29, v60
	v_and_b32_e32 v58, 7, v58
	v_cmp_gt_u32_e32 vcc, 8, v38
	v_cndmask_b32_e32 v38, v56, v40, vcc
	v_cndmask_b32_e32 v40, v54, v58, vcc
	v_lshlrev_b32_e32 v54, 24, v41
	v_bfrev_b32_e32 v56, 60
	v_lshlrev_b32_e32 v40, 20, v40
	v_and_b32_e32 v54, 0x80000000, v54
	v_lshl_add_u32 v38, v38, 23, v56
	v_or3_b32 v38, v54, v38, v40
	v_lshrrev_b32_e32 v56, 16, v38
.LBB880_185:
	s_or_b64 exec, exec, s[10:11]
.LBB880_186:
	s_or_b64 exec, exec, s[8:9]
.LBB880_187:
	s_or_b64 exec, exec, s[2:3]
	v_lshrrev_b16_e32 v38, 8, v41
	v_cmp_ne_u16_e32 vcc, 0, v38
	v_mov_b32_e32 v58, 0
	v_mov_b32_e32 v40, 0
	s_and_saveexec_b64 s[2:3], vcc
	s_cbranch_execz .LBB880_193
; %bb.188:
	s_movk_i32 s8, 0x80
	v_cmp_ne_u16_e32 vcc, s8, v38
	v_mov_b32_e32 v40, 0xffff8000
	s_and_saveexec_b64 s[8:9], vcc
	s_cbranch_execz .LBB880_192
; %bb.189:
	s_movk_i32 s10, 0x7f
	v_and_b32_e32 v54, 0x7f, v38
	v_cmp_ne_u32_e32 vcc, s10, v54
	v_mov_b32_e32 v40, 0x7f80
	s_and_saveexec_b64 s[10:11], vcc
	s_cbranch_execz .LBB880_191
; %bb.190:
	v_and_b32_e32 v40, 7, v38
	v_ffbh_u32_e32 v60, v40
	v_min_u32_e32 v62, 32, v60
	v_subrev_u32_e32 v60, 28, v62
	v_lshlrev_b64 v[60:61], v60, v[38:39]
	v_lshrrev_b32_e32 v59, 3, v54
	v_sub_u32_e32 v38, 29, v62
	v_and_b32_e32 v60, 7, v60
	v_cmp_gt_u32_e32 vcc, 8, v54
	v_cndmask_b32_e32 v38, v59, v38, vcc
	v_cndmask_b32_e32 v40, v40, v60, vcc
	v_lshlrev_b32_e32 v54, 16, v41
	v_bfrev_b32_e32 v59, 60
	v_lshlrev_b32_e32 v40, 20, v40
	v_and_b32_e32 v54, 0x80000000, v54
	v_lshl_add_u32 v38, v38, 23, v59
	v_or3_b32 v38, v54, v38, v40
	v_lshrrev_b32_e32 v40, 16, v38
.LBB880_191:
	s_or_b64 exec, exec, s[10:11]
.LBB880_192:
	s_or_b64 exec, exec, s[8:9]
.LBB880_193:
	s_or_b64 exec, exec, s[2:3]
	s_movk_i32 s2, 0xff
	v_and_b32_sdwa v54, v41, s2 dst_sel:DWORD dst_unused:UNUSED_PAD src0_sel:WORD_1 src1_sel:DWORD
	v_lshrrev_b32_e32 v38, 16, v41
	v_cmp_ne_u16_e32 vcc, 0, v54
	s_and_saveexec_b64 s[2:3], vcc
	s_cbranch_execz .LBB880_199
; %bb.194:
	s_movk_i32 s8, 0x80
	v_cmp_ne_u16_e32 vcc, s8, v54
	v_mov_b32_e32 v58, 0xffff8000
	s_and_saveexec_b64 s[8:9], vcc
	s_cbranch_execz .LBB880_198
; %bb.195:
	v_bfe_u32 v54, v41, 16, 7
	s_movk_i32 s10, 0x7f
	v_cmp_ne_u32_e32 vcc, s10, v54
	v_mov_b32_e32 v58, 0x7f80
	s_and_saveexec_b64 s[10:11], vcc
	s_cbranch_execz .LBB880_197
; %bb.196:
	v_and_b32_e32 v60, 7, v38
	v_ffbh_u32_e32 v58, v60
	v_min_u32_e32 v62, 32, v58
	v_subrev_u32_e32 v58, 28, v62
	v_lshlrev_b64 v[58:59], v58, v[38:39]
	v_and_b32_e32 v58, 7, v58
	v_cmp_gt_u32_e32 vcc, 8, v54
	v_lshrrev_b32_e32 v61, 3, v54
	v_sub_u32_e32 v38, 29, v62
	v_cndmask_b32_e32 v54, v60, v58, vcc
	v_mov_b32_e32 v58, 24
	v_cndmask_b32_e32 v38, v61, v38, vcc
	v_lshlrev_b32_sdwa v58, v58, v41 dst_sel:DWORD dst_unused:UNUSED_PAD src0_sel:DWORD src1_sel:WORD_1
	v_bfrev_b32_e32 v59, 60
	v_lshlrev_b32_e32 v54, 20, v54
	v_and_b32_e32 v58, 0x80000000, v58
	v_lshl_add_u32 v38, v38, 23, v59
	v_or3_b32 v38, v58, v38, v54
	v_lshrrev_b32_e32 v58, 16, v38
.LBB880_197:
	s_or_b64 exec, exec, s[10:11]
.LBB880_198:
	s_or_b64 exec, exec, s[8:9]
.LBB880_199:
	s_or_b64 exec, exec, s[2:3]
	s_mov_b32 s2, 0xffffff
	v_cmp_lt_u32_e32 vcc, s2, v41
	v_mov_b32_e32 v54, 0
	v_mov_b32_e32 v59, 0
	s_and_saveexec_b64 s[2:3], vcc
	s_cbranch_execz .LBB880_205
; %bb.200:
	v_lshrrev_b32_e32 v38, 24, v41
	s_movk_i32 s8, 0x80
	v_cmp_ne_u32_e32 vcc, s8, v38
	v_mov_b32_e32 v59, 0xffff8000
	s_and_saveexec_b64 s[8:9], vcc
	s_cbranch_execz .LBB880_204
; %bb.201:
	v_bfe_u32 v41, v41, 24, 7
	s_movk_i32 s10, 0x7f
	v_cmp_ne_u32_e32 vcc, s10, v41
	v_mov_b32_e32 v59, 0x7f80
	s_and_saveexec_b64 s[10:11], vcc
	s_cbranch_execz .LBB880_203
; %bb.202:
	v_and_b32_e32 v59, 7, v38
	v_ffbh_u32_e32 v60, v59
	v_min_u32_e32 v63, 32, v60
	v_subrev_u32_e32 v60, 28, v63
	v_lshlrev_b64 v[60:61], v60, v[38:39]
	v_lshrrev_b32_e32 v62, 3, v41
	v_sub_u32_e32 v61, 29, v63
	v_and_b32_e32 v60, 7, v60
	v_cmp_gt_u32_e32 vcc, 8, v41
	v_cndmask_b32_e32 v41, v62, v61, vcc
	v_cndmask_b32_e32 v59, v59, v60, vcc
	v_lshlrev_b32_e32 v38, 24, v38
	v_bfrev_b32_e32 v60, 60
	v_lshlrev_b32_e32 v59, 20, v59
	v_and_b32_e32 v38, 0x80000000, v38
	v_lshl_add_u32 v41, v41, 23, v60
	v_or3_b32 v38, v38, v41, v59
	v_lshrrev_b32_e32 v59, 16, v38
.LBB880_203:
	s_or_b64 exec, exec, s[10:11]
.LBB880_204:
	s_or_b64 exec, exec, s[8:9]
.LBB880_205:
	s_or_b64 exec, exec, s[2:3]
	s_mov_b32 s2, 0x5040100
	v_perm_b32 v61, v57, v55, s2
	v_perm_b32 v60, v39, v53, s2
	;; [unrolled: 1-line block ×4, first 2 shown]
	v_cmp_ne_u16_sdwa s[8:9], v30, v54 src0_sel:BYTE_0 src1_sel:DWORD
	v_mfma_f32_16x16x16bf16_1k v[42:45], v[60:61], v[18:19], v[42:45]
	v_mfma_f32_16x16x16bf16_1k v[38:41], v[38:39], v[20:21], v[42:45]
	s_and_saveexec_b64 s[2:3], s[8:9]
	s_cbranch_execz .LBB880_211
; %bb.206:
	s_movk_i32 s8, 0x80
	v_cmp_ne_u16_sdwa s[10:11], v30, s8 src0_sel:BYTE_0 src1_sel:DWORD
	v_mov_b32_e32 v54, 0xffff8000
	s_and_saveexec_b64 s[8:9], s[10:11]
	s_cbranch_execz .LBB880_210
; %bb.207:
	s_movk_i32 s10, 0x7f
	s_nop 1
	v_and_b32_e32 v42, 0x7f, v30
	v_cmp_ne_u32_e32 vcc, s10, v42
	v_mov_b32_e32 v54, 0x7f80
	s_and_saveexec_b64 s[10:11], vcc
	s_cbranch_execz .LBB880_209
; %bb.208:
	v_and_b32_e32 v43, 7, v30
	v_ffbh_u32_e32 v44, v43
	v_min_u32_e32 v54, 32, v44
	v_subrev_u32_e32 v44, 28, v54
	v_lshlrev_b64 v[44:45], v44, v[30:31]
	v_lshrrev_b32_e32 v53, 3, v42
	v_sub_u32_e32 v45, 29, v54
	v_and_b32_e32 v44, 7, v44
	v_cmp_gt_u32_e32 vcc, 8, v42
	v_cndmask_b32_e32 v42, v53, v45, vcc
	v_cndmask_b32_e32 v43, v43, v44, vcc
	v_lshlrev_b32_e32 v44, 24, v30
	v_bfrev_b32_e32 v45, 60
	v_lshlrev_b32_e32 v43, 20, v43
	v_and_b32_e32 v44, 0x80000000, v44
	v_lshl_add_u32 v42, v42, 23, v45
	v_or3_b32 v42, v44, v42, v43
	v_lshrrev_b32_e32 v54, 16, v42
.LBB880_209:
	s_or_b64 exec, exec, s[10:11]
.LBB880_210:
	s_or_b64 exec, exec, s[8:9]
.LBB880_211:
	s_or_b64 exec, exec, s[2:3]
	s_nop 6
	v_lshrrev_b16_e32 v42, 8, v30
	v_cmp_ne_u16_e32 vcc, 0, v42
	v_mov_b32_e32 v44, 0
	v_mov_b32_e32 v43, 0
	s_and_saveexec_b64 s[2:3], vcc
	s_cbranch_execz .LBB880_217
; %bb.212:
	s_movk_i32 s8, 0x80
	v_cmp_ne_u16_e32 vcc, s8, v42
	v_mov_b32_e32 v43, 0xffff8000
	s_and_saveexec_b64 s[8:9], vcc
	s_cbranch_execz .LBB880_216
; %bb.213:
	s_movk_i32 s10, 0x7f
	v_and_b32_e32 v45, 0x7f, v42
	v_cmp_ne_u32_e32 vcc, s10, v45
	v_mov_b32_e32 v43, 0x7f80
	s_and_saveexec_b64 s[10:11], vcc
	s_cbranch_execz .LBB880_215
; %bb.214:
	v_and_b32_e32 v53, 7, v42
	v_ffbh_u32_e32 v43, v53
	v_min_u32_e32 v56, 32, v43
	v_subrev_u32_e32 v43, 28, v56
	v_lshlrev_b64 v[42:43], v43, v[42:43]
	v_lshrrev_b32_e32 v55, 3, v45
	v_sub_u32_e32 v43, 29, v56
	v_and_b32_e32 v42, 7, v42
	v_cmp_gt_u32_e32 vcc, 8, v45
	v_cndmask_b32_e32 v43, v55, v43, vcc
	v_cndmask_b32_e32 v42, v53, v42, vcc
	v_lshlrev_b32_e32 v45, 16, v30
	v_bfrev_b32_e32 v53, 60
	v_lshlrev_b32_e32 v42, 20, v42
	v_and_b32_e32 v45, 0x80000000, v45
	v_lshl_add_u32 v43, v43, 23, v53
	v_or3_b32 v42, v45, v43, v42
	v_lshrrev_b32_e32 v43, 16, v42
.LBB880_215:
	s_or_b64 exec, exec, s[10:11]
.LBB880_216:
	s_or_b64 exec, exec, s[8:9]
.LBB880_217:
	s_or_b64 exec, exec, s[2:3]
	s_movk_i32 s2, 0xff
	v_and_b32_sdwa v45, v30, s2 dst_sel:DWORD dst_unused:UNUSED_PAD src0_sel:WORD_1 src1_sel:DWORD
	v_lshrrev_b32_e32 v42, 16, v30
	v_cmp_ne_u16_e32 vcc, 0, v45
	s_and_saveexec_b64 s[2:3], vcc
	s_cbranch_execz .LBB880_223
; %bb.218:
	s_movk_i32 s8, 0x80
	v_cmp_ne_u16_e32 vcc, s8, v45
	v_mov_b32_e32 v44, 0xffff8000
	s_and_saveexec_b64 s[8:9], vcc
	s_cbranch_execz .LBB880_222
; %bb.219:
	v_bfe_u32 v45, v30, 16, 7
	s_movk_i32 s10, 0x7f
	v_cmp_ne_u32_e32 vcc, s10, v45
	v_mov_b32_e32 v44, 0x7f80
	s_and_saveexec_b64 s[10:11], vcc
	s_cbranch_execz .LBB880_221
; %bb.220:
	v_and_b32_e32 v44, 7, v42
	v_ffbh_u32_e32 v55, v44
	v_min_u32_e32 v55, 32, v55
	v_subrev_u32_e32 v56, 28, v55
	v_lshlrev_b64 v[56:57], v56, v[42:43]
	v_lshrrev_b32_e32 v53, 3, v45
	v_sub_u32_e32 v42, 29, v55
	v_and_b32_e32 v55, 7, v56
	v_cmp_gt_u32_e32 vcc, 8, v45
	v_mov_b32_e32 v45, 24
	v_cndmask_b32_e32 v42, v53, v42, vcc
	v_cndmask_b32_e32 v44, v44, v55, vcc
	v_lshlrev_b32_sdwa v45, v45, v30 dst_sel:DWORD dst_unused:UNUSED_PAD src0_sel:DWORD src1_sel:WORD_1
	v_bfrev_b32_e32 v53, 60
	v_lshlrev_b32_e32 v44, 20, v44
	v_and_b32_e32 v45, 0x80000000, v45
	v_lshl_add_u32 v42, v42, 23, v53
	v_or3_b32 v42, v45, v42, v44
	v_lshrrev_b32_e32 v44, 16, v42
.LBB880_221:
	s_or_b64 exec, exec, s[10:11]
.LBB880_222:
	s_or_b64 exec, exec, s[8:9]
.LBB880_223:
	s_or_b64 exec, exec, s[2:3]
	s_mov_b32 s2, 0xffffff
	v_cmp_lt_u32_e32 vcc, s2, v30
	v_mov_b32_e32 v45, 0
	v_mov_b32_e32 v55, 0
	s_and_saveexec_b64 s[2:3], vcc
	s_cbranch_execz .LBB880_229
; %bb.224:
	v_lshrrev_b32_e32 v42, 24, v30
	s_movk_i32 s8, 0x80
	v_cmp_ne_u32_e32 vcc, s8, v42
	v_mov_b32_e32 v55, 0xffff8000
	s_and_saveexec_b64 s[8:9], vcc
	s_cbranch_execz .LBB880_228
; %bb.225:
	v_bfe_u32 v30, v30, 24, 7
	s_movk_i32 s10, 0x7f
	v_cmp_ne_u32_e32 vcc, s10, v30
	v_mov_b32_e32 v55, 0x7f80
	s_and_saveexec_b64 s[10:11], vcc
	s_cbranch_execz .LBB880_227
; %bb.226:
	v_and_b32_e32 v53, 7, v42
	v_ffbh_u32_e32 v56, v53
	v_min_u32_e32 v58, 32, v56
	v_subrev_u32_e32 v56, 28, v58
	v_lshlrev_b64 v[56:57], v56, v[42:43]
	v_lshrrev_b32_e32 v55, 3, v30
	v_sub_u32_e32 v57, 29, v58
	v_and_b32_e32 v56, 7, v56
	v_cmp_gt_u32_e32 vcc, 8, v30
	v_cndmask_b32_e32 v30, v55, v57, vcc
	v_cndmask_b32_e32 v53, v53, v56, vcc
	v_lshlrev_b32_e32 v42, 24, v42
	v_bfrev_b32_e32 v55, 60
	v_lshlrev_b32_e32 v53, 20, v53
	v_and_b32_e32 v42, 0x80000000, v42
	v_lshl_add_u32 v30, v30, 23, v55
	v_or3_b32 v30, v42, v30, v53
	v_lshrrev_b32_e32 v55, 16, v30
.LBB880_227:
	s_or_b64 exec, exec, s[10:11]
.LBB880_228:
	s_or_b64 exec, exec, s[8:9]
.LBB880_229:
	s_or_b64 exec, exec, s[2:3]
	v_cmp_ne_u16_sdwa s[8:9], v31, v45 src0_sel:BYTE_0 src1_sel:DWORD
	s_and_saveexec_b64 s[2:3], s[8:9]
	s_cbranch_execz .LBB880_235
; %bb.230:
	s_movk_i32 s8, 0x80
	v_cmp_ne_u16_sdwa s[10:11], v31, s8 src0_sel:BYTE_0 src1_sel:DWORD
	v_mov_b32_e32 v45, 0xffff8000
	s_and_saveexec_b64 s[8:9], s[10:11]
	s_cbranch_execz .LBB880_234
; %bb.231:
	s_movk_i32 s10, 0x7f
	v_and_b32_e32 v30, 0x7f, v31
	v_cmp_ne_u32_e32 vcc, s10, v30
	v_mov_b32_e32 v45, 0x7f80
	s_and_saveexec_b64 s[10:11], vcc
	s_cbranch_execz .LBB880_233
; %bb.232:
	v_and_b32_e32 v45, 7, v31
	v_ffbh_u32_e32 v56, v45
	v_min_u32_e32 v58, 32, v56
	v_mov_b32_e32 v42, v31
	v_subrev_u32_e32 v56, 28, v58
	v_lshlrev_b64 v[56:57], v56, v[42:43]
	v_lshrrev_b32_e32 v53, 3, v30
	v_sub_u32_e32 v42, 29, v58
	v_and_b32_e32 v56, 7, v56
	v_cmp_gt_u32_e32 vcc, 8, v30
	v_cndmask_b32_e32 v30, v53, v42, vcc
	v_cndmask_b32_e32 v42, v45, v56, vcc
	v_lshlrev_b32_e32 v45, 24, v31
	v_bfrev_b32_e32 v53, 60
	v_lshlrev_b32_e32 v42, 20, v42
	v_and_b32_e32 v45, 0x80000000, v45
	v_lshl_add_u32 v30, v30, 23, v53
	v_or3_b32 v30, v45, v30, v42
	v_lshrrev_b32_e32 v45, 16, v30
.LBB880_233:
	s_or_b64 exec, exec, s[10:11]
.LBB880_234:
	s_or_b64 exec, exec, s[8:9]
.LBB880_235:
	s_or_b64 exec, exec, s[2:3]
	v_lshrrev_b16_e32 v30, 8, v31
	v_cmp_ne_u16_e32 vcc, 0, v30
	v_mov_b32_e32 v56, 0
	v_mov_b32_e32 v42, 0
	s_and_saveexec_b64 s[2:3], vcc
	s_cbranch_execz .LBB880_241
; %bb.236:
	s_movk_i32 s8, 0x80
	v_cmp_ne_u16_e32 vcc, s8, v30
	v_mov_b32_e32 v42, 0xffff8000
	s_and_saveexec_b64 s[8:9], vcc
	s_cbranch_execz .LBB880_240
; %bb.237:
	s_movk_i32 s10, 0x7f
	v_and_b32_e32 v53, 0x7f, v30
	v_cmp_ne_u32_e32 vcc, s10, v53
	v_mov_b32_e32 v42, 0x7f80
	s_and_saveexec_b64 s[10:11], vcc
	s_cbranch_execz .LBB880_239
; %bb.238:
	v_and_b32_e32 v42, 7, v30
	v_ffbh_u32_e32 v58, v42
	v_min_u32_e32 v60, 32, v58
	v_subrev_u32_e32 v58, 28, v60
	v_lshlrev_b64 v[58:59], v58, v[30:31]
	v_lshrrev_b32_e32 v57, 3, v53
	v_sub_u32_e32 v30, 29, v60
	v_and_b32_e32 v58, 7, v58
	v_cmp_gt_u32_e32 vcc, 8, v53
	v_cndmask_b32_e32 v30, v57, v30, vcc
	v_cndmask_b32_e32 v42, v42, v58, vcc
	v_lshlrev_b32_e32 v53, 16, v31
	v_bfrev_b32_e32 v57, 60
	v_lshlrev_b32_e32 v42, 20, v42
	v_and_b32_e32 v53, 0x80000000, v53
	v_lshl_add_u32 v30, v30, 23, v57
	v_or3_b32 v30, v53, v30, v42
	v_lshrrev_b32_e32 v42, 16, v30
.LBB880_239:
	s_or_b64 exec, exec, s[10:11]
.LBB880_240:
	s_or_b64 exec, exec, s[8:9]
.LBB880_241:
	s_or_b64 exec, exec, s[2:3]
	s_movk_i32 s2, 0xff
	v_and_b32_sdwa v53, v31, s2 dst_sel:DWORD dst_unused:UNUSED_PAD src0_sel:WORD_1 src1_sel:DWORD
	v_lshrrev_b32_e32 v30, 16, v31
	v_cmp_ne_u16_e32 vcc, 0, v53
	s_and_saveexec_b64 s[2:3], vcc
	s_cbranch_execz .LBB880_247
; %bb.242:
	s_movk_i32 s8, 0x80
	v_cmp_ne_u16_e32 vcc, s8, v53
	v_mov_b32_e32 v56, 0xffff8000
	s_and_saveexec_b64 s[8:9], vcc
	s_cbranch_execz .LBB880_246
; %bb.243:
	v_bfe_u32 v53, v31, 16, 7
	s_movk_i32 s10, 0x7f
	v_cmp_ne_u32_e32 vcc, s10, v53
	v_mov_b32_e32 v56, 0x7f80
	s_and_saveexec_b64 s[10:11], vcc
	s_cbranch_execz .LBB880_245
; %bb.244:
	v_and_b32_e32 v58, 7, v30
	v_ffbh_u32_e32 v56, v58
	v_min_u32_e32 v60, 32, v56
	v_subrev_u32_e32 v56, 28, v60
	v_lshlrev_b64 v[56:57], v56, v[30:31]
	v_and_b32_e32 v56, 7, v56
	v_cmp_gt_u32_e32 vcc, 8, v53
	v_lshrrev_b32_e32 v59, 3, v53
	v_sub_u32_e32 v30, 29, v60
	v_cndmask_b32_e32 v53, v58, v56, vcc
	v_mov_b32_e32 v56, 24
	v_cndmask_b32_e32 v30, v59, v30, vcc
	v_lshlrev_b32_sdwa v56, v56, v31 dst_sel:DWORD dst_unused:UNUSED_PAD src0_sel:DWORD src1_sel:WORD_1
	v_bfrev_b32_e32 v57, 60
	v_lshlrev_b32_e32 v53, 20, v53
	v_and_b32_e32 v56, 0x80000000, v56
	v_lshl_add_u32 v30, v30, 23, v57
	v_or3_b32 v30, v56, v30, v53
	v_lshrrev_b32_e32 v56, 16, v30
.LBB880_245:
	s_or_b64 exec, exec, s[10:11]
.LBB880_246:
	s_or_b64 exec, exec, s[8:9]
.LBB880_247:
	s_or_b64 exec, exec, s[2:3]
	s_mov_b32 s2, 0xffffff
	v_cmp_lt_u32_e32 vcc, s2, v31
	v_mov_b32_e32 v53, 0
	v_mov_b32_e32 v57, 0
	s_and_saveexec_b64 s[2:3], vcc
	s_cbranch_execz .LBB880_253
; %bb.248:
	v_lshrrev_b32_e32 v30, 24, v31
	s_movk_i32 s8, 0x80
	v_cmp_ne_u32_e32 vcc, s8, v30
	v_mov_b32_e32 v57, 0xffff8000
	s_and_saveexec_b64 s[8:9], vcc
	s_cbranch_execz .LBB880_252
; %bb.249:
	v_bfe_u32 v31, v31, 24, 7
	s_movk_i32 s10, 0x7f
	v_cmp_ne_u32_e32 vcc, s10, v31
	v_mov_b32_e32 v57, 0x7f80
	s_and_saveexec_b64 s[10:11], vcc
	s_cbranch_execz .LBB880_251
; %bb.250:
	v_and_b32_e32 v57, 7, v30
	v_ffbh_u32_e32 v58, v57
	v_min_u32_e32 v61, 32, v58
	v_subrev_u32_e32 v58, 28, v61
	v_lshlrev_b64 v[58:59], v58, v[30:31]
	v_lshrrev_b32_e32 v60, 3, v31
	v_sub_u32_e32 v59, 29, v61
	v_and_b32_e32 v58, 7, v58
	v_cmp_gt_u32_e32 vcc, 8, v31
	v_cndmask_b32_e32 v31, v60, v59, vcc
	v_cndmask_b32_e32 v57, v57, v58, vcc
	v_lshlrev_b32_e32 v30, 24, v30
	v_bfrev_b32_e32 v58, 60
	v_lshlrev_b32_e32 v57, 20, v57
	v_and_b32_e32 v30, 0x80000000, v30
	v_lshl_add_u32 v31, v31, 23, v58
	v_or3_b32 v30, v30, v31, v57
	v_lshrrev_b32_e32 v57, 16, v30
.LBB880_251:
	s_or_b64 exec, exec, s[10:11]
.LBB880_252:
	s_or_b64 exec, exec, s[8:9]
.LBB880_253:
	s_or_b64 exec, exec, s[2:3]
	s_mov_b32 s2, 0x5040100
	v_perm_b32 v31, v55, v44, s2
	v_perm_b32 v30, v43, v54, s2
	v_cmp_ne_u16_sdwa s[8:9], v32, v53 src0_sel:BYTE_0 src1_sel:DWORD
	s_nop 0
	v_mfma_f32_16x16x16bf16_1k v[58:61], v[30:31], v[26:27], 0
	v_perm_b32 v31, v57, v56, s2
	v_perm_b32 v30, v42, v45, s2
	s_nop 1
	v_mfma_f32_16x16x16bf16_1k v[42:45], v[30:31], v[28:29], v[58:61]
	s_and_saveexec_b64 s[2:3], s[8:9]
	s_cbranch_execz .LBB880_259
; %bb.254:
	s_movk_i32 s8, 0x80
	v_cmp_ne_u16_sdwa s[10:11], v32, s8 src0_sel:BYTE_0 src1_sel:DWORD
	v_mov_b32_e32 v53, 0xffff8000
	s_and_saveexec_b64 s[8:9], s[10:11]
	s_cbranch_execz .LBB880_258
; %bb.255:
	s_movk_i32 s10, 0x7f
	v_and_b32_e32 v30, 0x7f, v32
	v_cmp_ne_u32_e32 vcc, s10, v30
	v_mov_b32_e32 v53, 0x7f80
	s_and_saveexec_b64 s[10:11], vcc
	s_cbranch_execz .LBB880_257
; %bb.256:
	v_and_b32_e32 v31, 7, v32
	v_ffbh_u32_e32 v54, v31
	v_min_u32_e32 v56, 32, v54
	v_subrev_u32_e32 v54, 28, v56
	v_lshlrev_b64 v[54:55], v54, v[32:33]
	v_lshrrev_b32_e32 v53, 3, v30
	v_sub_u32_e32 v55, 29, v56
	v_and_b32_e32 v54, 7, v54
	v_cmp_gt_u32_e32 vcc, 8, v30
	v_cndmask_b32_e32 v30, v53, v55, vcc
	v_cndmask_b32_e32 v31, v31, v54, vcc
	v_lshlrev_b32_e32 v53, 24, v32
	v_bfrev_b32_e32 v54, 60
	v_lshlrev_b32_e32 v31, 20, v31
	v_and_b32_e32 v53, 0x80000000, v53
	v_lshl_add_u32 v30, v30, 23, v54
	v_or3_b32 v30, v53, v30, v31
	v_lshrrev_b32_e32 v53, 16, v30
.LBB880_257:
	s_or_b64 exec, exec, s[10:11]
.LBB880_258:
	s_or_b64 exec, exec, s[8:9]
.LBB880_259:
	s_or_b64 exec, exec, s[2:3]
	v_lshrrev_b16_e32 v30, 8, v32
	v_cmp_ne_u16_e32 vcc, 0, v30
	v_mov_b32_e32 v55, 0
	v_mov_b32_e32 v31, 0
	s_and_saveexec_b64 s[2:3], vcc
	s_cbranch_execz .LBB880_265
; %bb.260:
	s_movk_i32 s8, 0x80
	v_cmp_ne_u16_e32 vcc, s8, v30
	v_mov_b32_e32 v31, 0xffff8000
	s_and_saveexec_b64 s[8:9], vcc
	s_cbranch_execz .LBB880_264
; %bb.261:
	s_movk_i32 s10, 0x7f
	v_and_b32_e32 v54, 0x7f, v30
	v_cmp_ne_u32_e32 vcc, s10, v54
	v_mov_b32_e32 v31, 0x7f80
	s_and_saveexec_b64 s[10:11], vcc
	s_cbranch_execz .LBB880_263
; %bb.262:
	v_and_b32_e32 v56, 7, v30
	v_ffbh_u32_e32 v31, v56
	v_min_u32_e32 v58, 32, v31
	v_subrev_u32_e32 v31, 28, v58
	v_lshlrev_b64 v[30:31], v31, v[30:31]
	v_lshrrev_b32_e32 v57, 3, v54
	v_sub_u32_e32 v31, 29, v58
	v_and_b32_e32 v30, 7, v30
	v_cmp_gt_u32_e32 vcc, 8, v54
	v_cndmask_b32_e32 v31, v57, v31, vcc
	v_cndmask_b32_e32 v30, v56, v30, vcc
	v_lshlrev_b32_e32 v54, 16, v32
	v_bfrev_b32_e32 v56, 60
	v_lshlrev_b32_e32 v30, 20, v30
	v_and_b32_e32 v54, 0x80000000, v54
	v_lshl_add_u32 v31, v31, 23, v56
	v_or3_b32 v30, v54, v31, v30
	v_lshrrev_b32_e32 v31, 16, v30
.LBB880_263:
	s_or_b64 exec, exec, s[10:11]
.LBB880_264:
	s_or_b64 exec, exec, s[8:9]
.LBB880_265:
	s_or_b64 exec, exec, s[2:3]
	s_movk_i32 s2, 0xff
	v_and_b32_sdwa v54, v32, s2 dst_sel:DWORD dst_unused:UNUSED_PAD src0_sel:WORD_1 src1_sel:DWORD
	v_lshrrev_b32_e32 v30, 16, v32
	v_cmp_ne_u16_e32 vcc, 0, v54
	s_and_saveexec_b64 s[2:3], vcc
	s_cbranch_execz .LBB880_271
; %bb.266:
	s_movk_i32 s8, 0x80
	v_cmp_ne_u16_e32 vcc, s8, v54
	v_mov_b32_e32 v55, 0xffff8000
	s_and_saveexec_b64 s[8:9], vcc
	s_cbranch_execz .LBB880_270
; %bb.267:
	v_bfe_u32 v54, v32, 16, 7
	s_movk_i32 s10, 0x7f
	v_cmp_ne_u32_e32 vcc, s10, v54
	v_mov_b32_e32 v55, 0x7f80
	s_and_saveexec_b64 s[10:11], vcc
	s_cbranch_execz .LBB880_269
; %bb.268:
	v_and_b32_e32 v55, 7, v30
	v_ffbh_u32_e32 v56, v55
	v_min_u32_e32 v59, 32, v56
	v_subrev_u32_e32 v56, 28, v59
	v_lshlrev_b64 v[56:57], v56, v[30:31]
	v_and_b32_e32 v56, 7, v56
	v_cmp_gt_u32_e32 vcc, 8, v54
	v_lshrrev_b32_e32 v58, 3, v54
	v_sub_u32_e32 v30, 29, v59
	v_cndmask_b32_e32 v54, v55, v56, vcc
	v_mov_b32_e32 v55, 24
	v_cndmask_b32_e32 v30, v58, v30, vcc
	v_lshlrev_b32_sdwa v55, v55, v32 dst_sel:DWORD dst_unused:UNUSED_PAD src0_sel:DWORD src1_sel:WORD_1
	v_bfrev_b32_e32 v56, 60
	v_lshlrev_b32_e32 v54, 20, v54
	v_and_b32_e32 v55, 0x80000000, v55
	v_lshl_add_u32 v30, v30, 23, v56
	v_or3_b32 v30, v55, v30, v54
	v_lshrrev_b32_e32 v55, 16, v30
.LBB880_269:
	s_or_b64 exec, exec, s[10:11]
.LBB880_270:
	s_or_b64 exec, exec, s[8:9]
.LBB880_271:
	s_or_b64 exec, exec, s[2:3]
	s_mov_b32 s2, 0xffffff
	v_cmp_lt_u32_e32 vcc, s2, v32
	v_mov_b32_e32 v56, 0
	v_mov_b32_e32 v57, 0
	s_and_saveexec_b64 s[2:3], vcc
	s_cbranch_execz .LBB880_277
; %bb.272:
	v_lshrrev_b32_e32 v30, 24, v32
	s_movk_i32 s8, 0x80
	v_cmp_ne_u32_e32 vcc, s8, v30
	v_mov_b32_e32 v57, 0xffff8000
	s_and_saveexec_b64 s[8:9], vcc
	s_cbranch_execz .LBB880_276
; %bb.273:
	v_bfe_u32 v32, v32, 24, 7
	s_movk_i32 s10, 0x7f
	v_cmp_ne_u32_e32 vcc, s10, v32
	v_mov_b32_e32 v57, 0x7f80
	s_and_saveexec_b64 s[10:11], vcc
	s_cbranch_execz .LBB880_275
; %bb.274:
	v_and_b32_e32 v54, 7, v30
	v_ffbh_u32_e32 v58, v54
	v_min_u32_e32 v60, 32, v58
	v_subrev_u32_e32 v58, 28, v60
	v_lshlrev_b64 v[58:59], v58, v[30:31]
	v_lshrrev_b32_e32 v57, 3, v32
	v_sub_u32_e32 v59, 29, v60
	v_and_b32_e32 v58, 7, v58
	v_cmp_gt_u32_e32 vcc, 8, v32
	v_cndmask_b32_e32 v32, v57, v59, vcc
	v_cndmask_b32_e32 v54, v54, v58, vcc
	v_lshlrev_b32_e32 v30, 24, v30
	v_bfrev_b32_e32 v57, 60
	v_lshlrev_b32_e32 v54, 20, v54
	v_and_b32_e32 v30, 0x80000000, v30
	v_lshl_add_u32 v32, v32, 23, v57
	v_or3_b32 v30, v30, v32, v54
	v_lshrrev_b32_e32 v57, 16, v30
.LBB880_275:
	s_or_b64 exec, exec, s[10:11]
.LBB880_276:
	s_or_b64 exec, exec, s[8:9]
.LBB880_277:
	s_or_b64 exec, exec, s[2:3]
	v_cmp_ne_u16_sdwa s[8:9], v33, v56 src0_sel:BYTE_0 src1_sel:DWORD
	s_and_saveexec_b64 s[2:3], s[8:9]
	s_cbranch_execz .LBB880_283
; %bb.278:
	s_movk_i32 s8, 0x80
	v_cmp_ne_u16_sdwa s[10:11], v33, s8 src0_sel:BYTE_0 src1_sel:DWORD
	v_mov_b32_e32 v56, 0xffff8000
	s_and_saveexec_b64 s[8:9], s[10:11]
	s_cbranch_execz .LBB880_282
; %bb.279:
	s_movk_i32 s10, 0x7f
	v_and_b32_e32 v30, 0x7f, v33
	v_cmp_ne_u32_e32 vcc, s10, v30
	v_mov_b32_e32 v56, 0x7f80
	s_and_saveexec_b64 s[10:11], vcc
	s_cbranch_execz .LBB880_281
; %bb.280:
	v_and_b32_e32 v54, 7, v33
	v_ffbh_u32_e32 v58, v54
	v_min_u32_e32 v60, 32, v58
	v_mov_b32_e32 v32, v33
	v_subrev_u32_e32 v58, 28, v60
	v_lshlrev_b64 v[58:59], v58, v[32:33]
	v_lshrrev_b32_e32 v56, 3, v30
	v_sub_u32_e32 v32, 29, v60
	v_and_b32_e32 v58, 7, v58
	v_cmp_gt_u32_e32 vcc, 8, v30
	v_cndmask_b32_e32 v30, v56, v32, vcc
	v_cndmask_b32_e32 v32, v54, v58, vcc
	v_lshlrev_b32_e32 v54, 24, v33
	v_bfrev_b32_e32 v56, 60
	v_lshlrev_b32_e32 v32, 20, v32
	v_and_b32_e32 v54, 0x80000000, v54
	v_lshl_add_u32 v30, v30, 23, v56
	v_or3_b32 v30, v54, v30, v32
	v_lshrrev_b32_e32 v56, 16, v30
.LBB880_281:
	s_or_b64 exec, exec, s[10:11]
.LBB880_282:
	s_or_b64 exec, exec, s[8:9]
.LBB880_283:
	s_or_b64 exec, exec, s[2:3]
	v_lshrrev_b16_e32 v30, 8, v33
	v_cmp_ne_u16_e32 vcc, 0, v30
	v_mov_b32_e32 v58, 0
	v_mov_b32_e32 v32, 0
	s_and_saveexec_b64 s[2:3], vcc
	s_cbranch_execz .LBB880_289
; %bb.284:
	s_movk_i32 s8, 0x80
	v_cmp_ne_u16_e32 vcc, s8, v30
	v_mov_b32_e32 v32, 0xffff8000
	s_and_saveexec_b64 s[8:9], vcc
	s_cbranch_execz .LBB880_288
; %bb.285:
	s_movk_i32 s10, 0x7f
	v_and_b32_e32 v54, 0x7f, v30
	v_cmp_ne_u32_e32 vcc, s10, v54
	v_mov_b32_e32 v32, 0x7f80
	s_and_saveexec_b64 s[10:11], vcc
	s_cbranch_execz .LBB880_287
; %bb.286:
	v_and_b32_e32 v32, 7, v30
	v_ffbh_u32_e32 v60, v32
	v_min_u32_e32 v62, 32, v60
	v_subrev_u32_e32 v60, 28, v62
	v_lshlrev_b64 v[60:61], v60, v[30:31]
	v_lshrrev_b32_e32 v59, 3, v54
	v_sub_u32_e32 v30, 29, v62
	v_and_b32_e32 v60, 7, v60
	v_cmp_gt_u32_e32 vcc, 8, v54
	v_cndmask_b32_e32 v30, v59, v30, vcc
	v_cndmask_b32_e32 v32, v32, v60, vcc
	v_lshlrev_b32_e32 v54, 16, v33
	v_bfrev_b32_e32 v59, 60
	v_lshlrev_b32_e32 v32, 20, v32
	v_and_b32_e32 v54, 0x80000000, v54
	v_lshl_add_u32 v30, v30, 23, v59
	v_or3_b32 v30, v54, v30, v32
	v_lshrrev_b32_e32 v32, 16, v30
.LBB880_287:
	s_or_b64 exec, exec, s[10:11]
.LBB880_288:
	s_or_b64 exec, exec, s[8:9]
.LBB880_289:
	s_or_b64 exec, exec, s[2:3]
	s_movk_i32 s2, 0xff
	v_and_b32_sdwa v54, v33, s2 dst_sel:DWORD dst_unused:UNUSED_PAD src0_sel:WORD_1 src1_sel:DWORD
	v_lshrrev_b32_e32 v30, 16, v33
	v_cmp_ne_u16_e32 vcc, 0, v54
	s_and_saveexec_b64 s[2:3], vcc
	s_cbranch_execz .LBB880_295
; %bb.290:
	s_movk_i32 s8, 0x80
	v_cmp_ne_u16_e32 vcc, s8, v54
	v_mov_b32_e32 v58, 0xffff8000
	s_and_saveexec_b64 s[8:9], vcc
	s_cbranch_execz .LBB880_294
; %bb.291:
	v_bfe_u32 v54, v33, 16, 7
	s_movk_i32 s10, 0x7f
	v_cmp_ne_u32_e32 vcc, s10, v54
	v_mov_b32_e32 v58, 0x7f80
	s_and_saveexec_b64 s[10:11], vcc
	s_cbranch_execz .LBB880_293
; %bb.292:
	v_and_b32_e32 v60, 7, v30
	v_ffbh_u32_e32 v58, v60
	v_min_u32_e32 v62, 32, v58
	v_subrev_u32_e32 v58, 28, v62
	v_lshlrev_b64 v[58:59], v58, v[30:31]
	v_and_b32_e32 v58, 7, v58
	v_cmp_gt_u32_e32 vcc, 8, v54
	v_lshrrev_b32_e32 v61, 3, v54
	v_sub_u32_e32 v30, 29, v62
	v_cndmask_b32_e32 v54, v60, v58, vcc
	v_mov_b32_e32 v58, 24
	v_cndmask_b32_e32 v30, v61, v30, vcc
	v_lshlrev_b32_sdwa v58, v58, v33 dst_sel:DWORD dst_unused:UNUSED_PAD src0_sel:DWORD src1_sel:WORD_1
	v_bfrev_b32_e32 v59, 60
	v_lshlrev_b32_e32 v54, 20, v54
	v_and_b32_e32 v58, 0x80000000, v58
	v_lshl_add_u32 v30, v30, 23, v59
	v_or3_b32 v30, v58, v30, v54
	v_lshrrev_b32_e32 v58, 16, v30
.LBB880_293:
	s_or_b64 exec, exec, s[10:11]
.LBB880_294:
	s_or_b64 exec, exec, s[8:9]
.LBB880_295:
	s_or_b64 exec, exec, s[2:3]
	s_mov_b32 s2, 0xffffff
	v_cmp_lt_u32_e32 vcc, s2, v33
	v_mov_b32_e32 v54, 0
	v_mov_b32_e32 v59, 0
	s_and_saveexec_b64 s[2:3], vcc
	s_cbranch_execz .LBB880_301
; %bb.296:
	v_lshrrev_b32_e32 v30, 24, v33
	s_movk_i32 s8, 0x80
	v_cmp_ne_u32_e32 vcc, s8, v30
	v_mov_b32_e32 v59, 0xffff8000
	s_and_saveexec_b64 s[8:9], vcc
	s_cbranch_execz .LBB880_300
; %bb.297:
	v_bfe_u32 v33, v33, 24, 7
	s_movk_i32 s10, 0x7f
	v_cmp_ne_u32_e32 vcc, s10, v33
	v_mov_b32_e32 v59, 0x7f80
	s_and_saveexec_b64 s[10:11], vcc
	s_cbranch_execz .LBB880_299
; %bb.298:
	v_and_b32_e32 v59, 7, v30
	v_ffbh_u32_e32 v60, v59
	v_min_u32_e32 v63, 32, v60
	v_subrev_u32_e32 v60, 28, v63
	v_lshlrev_b64 v[60:61], v60, v[30:31]
	v_lshrrev_b32_e32 v62, 3, v33
	v_sub_u32_e32 v61, 29, v63
	v_and_b32_e32 v60, 7, v60
	v_cmp_gt_u32_e32 vcc, 8, v33
	v_cndmask_b32_e32 v33, v62, v61, vcc
	v_cndmask_b32_e32 v59, v59, v60, vcc
	v_lshlrev_b32_e32 v30, 24, v30
	v_bfrev_b32_e32 v60, 60
	v_lshlrev_b32_e32 v59, 20, v59
	v_and_b32_e32 v30, 0x80000000, v30
	v_lshl_add_u32 v33, v33, 23, v60
	v_or3_b32 v30, v30, v33, v59
	v_lshrrev_b32_e32 v59, 16, v30
.LBB880_299:
	s_or_b64 exec, exec, s[10:11]
.LBB880_300:
	s_or_b64 exec, exec, s[8:9]
.LBB880_301:
	s_or_b64 exec, exec, s[2:3]
	s_mov_b32 s2, 0x5040100
	v_perm_b32 v61, v57, v55, s2
	v_perm_b32 v60, v31, v53, s2
	;; [unrolled: 1-line block ×4, first 2 shown]
	v_cmp_ne_u16_sdwa s[8:9], v22, v54 src0_sel:BYTE_0 src1_sel:DWORD
	v_mfma_f32_16x16x16bf16_1k v[42:45], v[60:61], v[18:19], v[42:45]
	v_mfma_f32_16x16x16bf16_1k v[30:33], v[30:31], v[20:21], v[42:45]
	s_and_saveexec_b64 s[2:3], s[8:9]
	s_cbranch_execz .LBB880_307
; %bb.302:
	s_movk_i32 s8, 0x80
	v_cmp_ne_u16_sdwa s[10:11], v22, s8 src0_sel:BYTE_0 src1_sel:DWORD
	v_mov_b32_e32 v54, 0xffff8000
	s_and_saveexec_b64 s[8:9], s[10:11]
	s_cbranch_execz .LBB880_306
; %bb.303:
	s_movk_i32 s10, 0x7f
	s_nop 1
	v_and_b32_e32 v42, 0x7f, v22
	v_cmp_ne_u32_e32 vcc, s10, v42
	v_mov_b32_e32 v54, 0x7f80
	s_and_saveexec_b64 s[10:11], vcc
	s_cbranch_execz .LBB880_305
; %bb.304:
	v_and_b32_e32 v43, 7, v22
	v_ffbh_u32_e32 v44, v43
	v_min_u32_e32 v54, 32, v44
	v_subrev_u32_e32 v44, 28, v54
	v_lshlrev_b64 v[44:45], v44, v[22:23]
	v_lshrrev_b32_e32 v53, 3, v42
	v_sub_u32_e32 v45, 29, v54
	v_and_b32_e32 v44, 7, v44
	v_cmp_gt_u32_e32 vcc, 8, v42
	v_cndmask_b32_e32 v42, v53, v45, vcc
	v_cndmask_b32_e32 v43, v43, v44, vcc
	v_lshlrev_b32_e32 v44, 24, v22
	v_bfrev_b32_e32 v45, 60
	v_lshlrev_b32_e32 v43, 20, v43
	v_and_b32_e32 v44, 0x80000000, v44
	v_lshl_add_u32 v42, v42, 23, v45
	v_or3_b32 v42, v44, v42, v43
	v_lshrrev_b32_e32 v54, 16, v42
.LBB880_305:
	s_or_b64 exec, exec, s[10:11]
.LBB880_306:
	s_or_b64 exec, exec, s[8:9]
.LBB880_307:
	s_or_b64 exec, exec, s[2:3]
	s_nop 6
	v_lshrrev_b16_e32 v42, 8, v22
	v_cmp_ne_u16_e32 vcc, 0, v42
	v_mov_b32_e32 v44, 0
	v_mov_b32_e32 v43, 0
	s_and_saveexec_b64 s[2:3], vcc
	s_cbranch_execz .LBB880_313
; %bb.308:
	s_movk_i32 s8, 0x80
	v_cmp_ne_u16_e32 vcc, s8, v42
	v_mov_b32_e32 v43, 0xffff8000
	s_and_saveexec_b64 s[8:9], vcc
	s_cbranch_execz .LBB880_312
; %bb.309:
	s_movk_i32 s10, 0x7f
	v_and_b32_e32 v45, 0x7f, v42
	v_cmp_ne_u32_e32 vcc, s10, v45
	v_mov_b32_e32 v43, 0x7f80
	s_and_saveexec_b64 s[10:11], vcc
	s_cbranch_execz .LBB880_311
; %bb.310:
	v_and_b32_e32 v53, 7, v42
	v_ffbh_u32_e32 v43, v53
	v_min_u32_e32 v56, 32, v43
	v_subrev_u32_e32 v43, 28, v56
	v_lshlrev_b64 v[42:43], v43, v[42:43]
	v_lshrrev_b32_e32 v55, 3, v45
	v_sub_u32_e32 v43, 29, v56
	v_and_b32_e32 v42, 7, v42
	v_cmp_gt_u32_e32 vcc, 8, v45
	v_cndmask_b32_e32 v43, v55, v43, vcc
	v_cndmask_b32_e32 v42, v53, v42, vcc
	v_lshlrev_b32_e32 v45, 16, v22
	v_bfrev_b32_e32 v53, 60
	v_lshlrev_b32_e32 v42, 20, v42
	v_and_b32_e32 v45, 0x80000000, v45
	v_lshl_add_u32 v43, v43, 23, v53
	v_or3_b32 v42, v45, v43, v42
	v_lshrrev_b32_e32 v43, 16, v42
.LBB880_311:
	s_or_b64 exec, exec, s[10:11]
.LBB880_312:
	s_or_b64 exec, exec, s[8:9]
.LBB880_313:
	s_or_b64 exec, exec, s[2:3]
	s_movk_i32 s2, 0xff
	v_and_b32_sdwa v45, v22, s2 dst_sel:DWORD dst_unused:UNUSED_PAD src0_sel:WORD_1 src1_sel:DWORD
	v_lshrrev_b32_e32 v42, 16, v22
	v_cmp_ne_u16_e32 vcc, 0, v45
	s_and_saveexec_b64 s[2:3], vcc
	s_cbranch_execz .LBB880_319
; %bb.314:
	s_movk_i32 s8, 0x80
	v_cmp_ne_u16_e32 vcc, s8, v45
	v_mov_b32_e32 v44, 0xffff8000
	s_and_saveexec_b64 s[8:9], vcc
	s_cbranch_execz .LBB880_318
; %bb.315:
	v_bfe_u32 v45, v22, 16, 7
	s_movk_i32 s10, 0x7f
	v_cmp_ne_u32_e32 vcc, s10, v45
	v_mov_b32_e32 v44, 0x7f80
	s_and_saveexec_b64 s[10:11], vcc
	s_cbranch_execz .LBB880_317
; %bb.316:
	v_and_b32_e32 v44, 7, v42
	v_ffbh_u32_e32 v55, v44
	v_min_u32_e32 v55, 32, v55
	v_subrev_u32_e32 v56, 28, v55
	v_lshlrev_b64 v[56:57], v56, v[42:43]
	v_lshrrev_b32_e32 v53, 3, v45
	v_sub_u32_e32 v42, 29, v55
	v_and_b32_e32 v55, 7, v56
	v_cmp_gt_u32_e32 vcc, 8, v45
	v_mov_b32_e32 v45, 24
	v_cndmask_b32_e32 v42, v53, v42, vcc
	v_cndmask_b32_e32 v44, v44, v55, vcc
	v_lshlrev_b32_sdwa v45, v45, v22 dst_sel:DWORD dst_unused:UNUSED_PAD src0_sel:DWORD src1_sel:WORD_1
	v_bfrev_b32_e32 v53, 60
	v_lshlrev_b32_e32 v44, 20, v44
	v_and_b32_e32 v45, 0x80000000, v45
	v_lshl_add_u32 v42, v42, 23, v53
	v_or3_b32 v42, v45, v42, v44
	v_lshrrev_b32_e32 v44, 16, v42
.LBB880_317:
	s_or_b64 exec, exec, s[10:11]
.LBB880_318:
	s_or_b64 exec, exec, s[8:9]
.LBB880_319:
	s_or_b64 exec, exec, s[2:3]
	s_mov_b32 s2, 0xffffff
	v_cmp_lt_u32_e32 vcc, s2, v22
	v_mov_b32_e32 v45, 0
	v_mov_b32_e32 v53, 0
	s_and_saveexec_b64 s[2:3], vcc
	s_cbranch_execz .LBB880_325
; %bb.320:
	v_lshrrev_b32_e32 v42, 24, v22
	s_movk_i32 s8, 0x80
	v_cmp_ne_u32_e32 vcc, s8, v42
	v_mov_b32_e32 v53, 0xffff8000
	s_and_saveexec_b64 s[8:9], vcc
	s_cbranch_execz .LBB880_324
; %bb.321:
	v_bfe_u32 v22, v22, 24, 7
	s_movk_i32 s10, 0x7f
	v_cmp_ne_u32_e32 vcc, s10, v22
	v_mov_b32_e32 v53, 0x7f80
	s_and_saveexec_b64 s[10:11], vcc
	s_cbranch_execz .LBB880_323
; %bb.322:
	v_and_b32_e32 v53, 7, v42
	v_ffbh_u32_e32 v56, v53
	v_min_u32_e32 v58, 32, v56
	v_subrev_u32_e32 v56, 28, v58
	v_lshlrev_b64 v[56:57], v56, v[42:43]
	v_lshrrev_b32_e32 v55, 3, v22
	v_sub_u32_e32 v57, 29, v58
	v_and_b32_e32 v56, 7, v56
	v_cmp_gt_u32_e32 vcc, 8, v22
	v_cndmask_b32_e32 v22, v55, v57, vcc
	v_cndmask_b32_e32 v53, v53, v56, vcc
	v_lshlrev_b32_e32 v42, 24, v42
	v_bfrev_b32_e32 v55, 60
	v_lshlrev_b32_e32 v53, 20, v53
	v_and_b32_e32 v42, 0x80000000, v42
	v_lshl_add_u32 v22, v22, 23, v55
	v_or3_b32 v22, v42, v22, v53
	v_lshrrev_b32_e32 v53, 16, v22
.LBB880_323:
	s_or_b64 exec, exec, s[10:11]
.LBB880_324:
	s_or_b64 exec, exec, s[8:9]
.LBB880_325:
	s_or_b64 exec, exec, s[2:3]
	v_cmp_ne_u16_sdwa s[8:9], v23, v45 src0_sel:BYTE_0 src1_sel:DWORD
	s_and_saveexec_b64 s[2:3], s[8:9]
	s_cbranch_execz .LBB880_331
; %bb.326:
	s_movk_i32 s8, 0x80
	v_cmp_ne_u16_sdwa s[10:11], v23, s8 src0_sel:BYTE_0 src1_sel:DWORD
	v_mov_b32_e32 v45, 0xffff8000
	s_and_saveexec_b64 s[8:9], s[10:11]
	s_cbranch_execz .LBB880_330
; %bb.327:
	s_movk_i32 s10, 0x7f
	v_and_b32_e32 v22, 0x7f, v23
	v_cmp_ne_u32_e32 vcc, s10, v22
	v_mov_b32_e32 v45, 0x7f80
	s_and_saveexec_b64 s[10:11], vcc
	s_cbranch_execz .LBB880_329
; %bb.328:
	v_and_b32_e32 v45, 7, v23
	v_ffbh_u32_e32 v56, v45
	v_min_u32_e32 v58, 32, v56
	v_mov_b32_e32 v42, v23
	v_subrev_u32_e32 v56, 28, v58
	v_lshlrev_b64 v[56:57], v56, v[42:43]
	v_lshrrev_b32_e32 v55, 3, v22
	v_sub_u32_e32 v42, 29, v58
	v_and_b32_e32 v56, 7, v56
	v_cmp_gt_u32_e32 vcc, 8, v22
	v_cndmask_b32_e32 v22, v55, v42, vcc
	v_cndmask_b32_e32 v42, v45, v56, vcc
	v_lshlrev_b32_e32 v45, 24, v23
	v_bfrev_b32_e32 v55, 60
	v_lshlrev_b32_e32 v42, 20, v42
	v_and_b32_e32 v45, 0x80000000, v45
	v_lshl_add_u32 v22, v22, 23, v55
	v_or3_b32 v22, v45, v22, v42
	v_lshrrev_b32_e32 v45, 16, v22
.LBB880_329:
	s_or_b64 exec, exec, s[10:11]
.LBB880_330:
	s_or_b64 exec, exec, s[8:9]
.LBB880_331:
	s_or_b64 exec, exec, s[2:3]
	v_lshrrev_b16_e32 v22, 8, v23
	v_cmp_ne_u16_e32 vcc, 0, v22
	v_mov_b32_e32 v56, 0
	v_mov_b32_e32 v55, 0
	s_and_saveexec_b64 s[2:3], vcc
	s_cbranch_execz .LBB880_337
; %bb.332:
	s_movk_i32 s8, 0x80
	v_cmp_ne_u16_e32 vcc, s8, v22
	v_mov_b32_e32 v55, 0xffff8000
	s_and_saveexec_b64 s[8:9], vcc
	s_cbranch_execz .LBB880_336
; %bb.333:
	s_movk_i32 s10, 0x7f
	v_and_b32_e32 v42, 0x7f, v22
	v_cmp_ne_u32_e32 vcc, s10, v42
	v_mov_b32_e32 v55, 0x7f80
	s_and_saveexec_b64 s[10:11], vcc
	s_cbranch_execz .LBB880_335
; %bb.334:
	v_and_b32_e32 v55, 7, v22
	v_ffbh_u32_e32 v58, v55
	v_min_u32_e32 v60, 32, v58
	v_subrev_u32_e32 v58, 28, v60
	v_lshlrev_b64 v[58:59], v58, v[22:23]
	v_lshrrev_b32_e32 v57, 3, v42
	v_sub_u32_e32 v22, 29, v60
	v_and_b32_e32 v58, 7, v58
	v_cmp_gt_u32_e32 vcc, 8, v42
	v_cndmask_b32_e32 v22, v57, v22, vcc
	v_cndmask_b32_e32 v42, v55, v58, vcc
	v_lshlrev_b32_e32 v55, 16, v23
	v_bfrev_b32_e32 v57, 60
	v_lshlrev_b32_e32 v42, 20, v42
	v_and_b32_e32 v55, 0x80000000, v55
	v_lshl_add_u32 v22, v22, 23, v57
	v_or3_b32 v22, v55, v22, v42
	v_lshrrev_b32_e32 v55, 16, v22
.LBB880_335:
	s_or_b64 exec, exec, s[10:11]
.LBB880_336:
	s_or_b64 exec, exec, s[8:9]
.LBB880_337:
	s_or_b64 exec, exec, s[2:3]
	s_movk_i32 s2, 0xff
	v_and_b32_sdwa v42, v23, s2 dst_sel:DWORD dst_unused:UNUSED_PAD src0_sel:WORD_1 src1_sel:DWORD
	v_lshrrev_b32_e32 v22, 16, v23
	v_cmp_ne_u16_e32 vcc, 0, v42
	s_and_saveexec_b64 s[2:3], vcc
	s_cbranch_execz .LBB880_343
; %bb.338:
	s_movk_i32 s8, 0x80
	v_cmp_ne_u16_e32 vcc, s8, v42
	v_mov_b32_e32 v56, 0xffff8000
	s_and_saveexec_b64 s[8:9], vcc
	s_cbranch_execz .LBB880_342
; %bb.339:
	v_bfe_u32 v42, v23, 16, 7
	s_movk_i32 s10, 0x7f
	v_cmp_ne_u32_e32 vcc, s10, v42
	v_mov_b32_e32 v56, 0x7f80
	s_and_saveexec_b64 s[10:11], vcc
	s_cbranch_execz .LBB880_341
; %bb.340:
	v_and_b32_e32 v58, 7, v22
	v_ffbh_u32_e32 v56, v58
	v_min_u32_e32 v60, 32, v56
	v_subrev_u32_e32 v56, 28, v60
	v_lshlrev_b64 v[56:57], v56, v[22:23]
	v_and_b32_e32 v56, 7, v56
	v_cmp_gt_u32_e32 vcc, 8, v42
	v_lshrrev_b32_e32 v59, 3, v42
	v_sub_u32_e32 v22, 29, v60
	v_cndmask_b32_e32 v42, v58, v56, vcc
	v_mov_b32_e32 v56, 24
	v_cndmask_b32_e32 v22, v59, v22, vcc
	v_lshlrev_b32_sdwa v56, v56, v23 dst_sel:DWORD dst_unused:UNUSED_PAD src0_sel:DWORD src1_sel:WORD_1
	v_bfrev_b32_e32 v57, 60
	v_lshlrev_b32_e32 v42, 20, v42
	v_and_b32_e32 v56, 0x80000000, v56
	v_lshl_add_u32 v22, v22, 23, v57
	v_or3_b32 v22, v56, v22, v42
	v_lshrrev_b32_e32 v56, 16, v22
.LBB880_341:
	s_or_b64 exec, exec, s[10:11]
.LBB880_342:
	s_or_b64 exec, exec, s[8:9]
.LBB880_343:
	s_or_b64 exec, exec, s[2:3]
	s_mov_b32 s2, 0xffffff
	v_cmp_lt_u32_e32 vcc, s2, v23
	v_mov_b32_e32 v42, 0
	v_mov_b32_e32 v57, 0
	s_and_saveexec_b64 s[2:3], vcc
	s_cbranch_execz .LBB880_349
; %bb.344:
	v_lshrrev_b32_e32 v22, 24, v23
	s_movk_i32 s8, 0x80
	v_cmp_ne_u32_e32 vcc, s8, v22
	v_mov_b32_e32 v57, 0xffff8000
	s_and_saveexec_b64 s[8:9], vcc
	s_cbranch_execz .LBB880_348
; %bb.345:
	v_bfe_u32 v23, v23, 24, 7
	s_movk_i32 s10, 0x7f
	v_cmp_ne_u32_e32 vcc, s10, v23
	v_mov_b32_e32 v57, 0x7f80
	s_and_saveexec_b64 s[10:11], vcc
	s_cbranch_execz .LBB880_347
; %bb.346:
	v_and_b32_e32 v57, 7, v22
	v_ffbh_u32_e32 v58, v57
	v_min_u32_e32 v61, 32, v58
	v_subrev_u32_e32 v58, 28, v61
	v_lshlrev_b64 v[58:59], v58, v[22:23]
	v_lshrrev_b32_e32 v60, 3, v23
	v_sub_u32_e32 v59, 29, v61
	v_and_b32_e32 v58, 7, v58
	v_cmp_gt_u32_e32 vcc, 8, v23
	v_cndmask_b32_e32 v23, v60, v59, vcc
	v_cndmask_b32_e32 v57, v57, v58, vcc
	v_lshlrev_b32_e32 v22, 24, v22
	v_bfrev_b32_e32 v58, 60
	v_lshlrev_b32_e32 v57, 20, v57
	v_and_b32_e32 v22, 0x80000000, v22
	v_lshl_add_u32 v23, v23, 23, v58
	v_or3_b32 v22, v22, v23, v57
	v_lshrrev_b32_e32 v57, 16, v22
.LBB880_347:
	s_or_b64 exec, exec, s[10:11]
.LBB880_348:
	s_or_b64 exec, exec, s[8:9]
.LBB880_349:
	s_or_b64 exec, exec, s[2:3]
	s_mov_b32 s2, 0x5040100
	v_perm_b32 v23, v53, v44, s2
	v_perm_b32 v22, v43, v54, s2
	v_cmp_ne_u16_sdwa s[8:9], v24, v42 src0_sel:BYTE_0 src1_sel:DWORD
	s_nop 0
	v_mfma_f32_16x16x16bf16_1k v[58:61], v[22:23], v[26:27], 0
	v_perm_b32 v23, v57, v56, s2
	v_perm_b32 v22, v55, v45, s2
	s_nop 1
	v_mfma_f32_16x16x16bf16_1k v[26:29], v[22:23], v[28:29], v[58:61]
	s_and_saveexec_b64 s[2:3], s[8:9]
	s_cbranch_execz .LBB880_355
; %bb.350:
	s_movk_i32 s8, 0x80
	v_cmp_ne_u16_sdwa s[10:11], v24, s8 src0_sel:BYTE_0 src1_sel:DWORD
	v_mov_b32_e32 v42, 0xffff8000
	s_and_saveexec_b64 s[8:9], s[10:11]
	s_cbranch_execz .LBB880_354
; %bb.351:
	s_movk_i32 s10, 0x7f
	v_and_b32_e32 v22, 0x7f, v24
	v_cmp_ne_u32_e32 vcc, s10, v22
	v_mov_b32_e32 v42, 0x7f80
	s_and_saveexec_b64 s[10:11], vcc
	s_cbranch_execz .LBB880_353
; %bb.352:
	v_and_b32_e32 v23, 7, v24
	v_ffbh_u32_e32 v42, v23
	v_min_u32_e32 v45, 32, v42
	v_subrev_u32_e32 v42, 28, v45
	v_lshlrev_b64 v[42:43], v42, v[24:25]
	v_lshrrev_b32_e32 v44, 3, v22
	v_sub_u32_e32 v43, 29, v45
	v_and_b32_e32 v42, 7, v42
	v_cmp_gt_u32_e32 vcc, 8, v22
	v_cndmask_b32_e32 v22, v44, v43, vcc
	v_cndmask_b32_e32 v23, v23, v42, vcc
	v_lshlrev_b32_e32 v42, 24, v24
	v_bfrev_b32_e32 v43, 60
	v_lshlrev_b32_e32 v23, 20, v23
	v_and_b32_e32 v42, 0x80000000, v42
	v_lshl_add_u32 v22, v22, 23, v43
	v_or3_b32 v22, v42, v22, v23
	v_lshrrev_b32_e32 v42, 16, v22
.LBB880_353:
	s_or_b64 exec, exec, s[10:11]
.LBB880_354:
	s_or_b64 exec, exec, s[8:9]
.LBB880_355:
	s_or_b64 exec, exec, s[2:3]
	v_lshrrev_b16_e32 v22, 8, v24
	v_cmp_ne_u16_e32 vcc, 0, v22
	v_mov_b32_e32 v43, 0
	v_mov_b32_e32 v23, 0
	s_and_saveexec_b64 s[2:3], vcc
	s_cbranch_execz .LBB880_361
; %bb.356:
	s_movk_i32 s8, 0x80
	v_cmp_ne_u16_e32 vcc, s8, v22
	v_mov_b32_e32 v23, 0xffff8000
	s_and_saveexec_b64 s[8:9], vcc
	s_cbranch_execz .LBB880_360
; %bb.357:
	s_movk_i32 s10, 0x7f
	v_and_b32_e32 v44, 0x7f, v22
	v_cmp_ne_u32_e32 vcc, s10, v44
	v_mov_b32_e32 v23, 0x7f80
	s_and_saveexec_b64 s[10:11], vcc
	s_cbranch_execz .LBB880_359
; %bb.358:
	v_and_b32_e32 v45, 7, v22
	v_ffbh_u32_e32 v23, v45
	v_min_u32_e32 v54, 32, v23
	v_subrev_u32_e32 v23, 28, v54
	v_lshlrev_b64 v[22:23], v23, v[22:23]
	v_lshrrev_b32_e32 v53, 3, v44
	v_sub_u32_e32 v23, 29, v54
	v_and_b32_e32 v22, 7, v22
	v_cmp_gt_u32_e32 vcc, 8, v44
	v_cndmask_b32_e32 v23, v53, v23, vcc
	v_cndmask_b32_e32 v22, v45, v22, vcc
	v_lshlrev_b32_e32 v44, 16, v24
	v_bfrev_b32_e32 v45, 60
	v_lshlrev_b32_e32 v22, 20, v22
	v_and_b32_e32 v44, 0x80000000, v44
	v_lshl_add_u32 v23, v23, 23, v45
	v_or3_b32 v22, v44, v23, v22
	v_lshrrev_b32_e32 v23, 16, v22
.LBB880_359:
	s_or_b64 exec, exec, s[10:11]
.LBB880_360:
	s_or_b64 exec, exec, s[8:9]
.LBB880_361:
	s_or_b64 exec, exec, s[2:3]
	s_movk_i32 s2, 0xff
	v_and_b32_sdwa v44, v24, s2 dst_sel:DWORD dst_unused:UNUSED_PAD src0_sel:WORD_1 src1_sel:DWORD
	v_lshrrev_b32_e32 v22, 16, v24
	v_cmp_ne_u16_e32 vcc, 0, v44
	s_and_saveexec_b64 s[2:3], vcc
	s_cbranch_execz .LBB880_367
; %bb.362:
	s_movk_i32 s8, 0x80
	v_cmp_ne_u16_e32 vcc, s8, v44
	v_mov_b32_e32 v43, 0xffff8000
	s_and_saveexec_b64 s[8:9], vcc
	s_cbranch_execz .LBB880_366
; %bb.363:
	v_bfe_u32 v44, v24, 16, 7
	s_movk_i32 s10, 0x7f
	v_cmp_ne_u32_e32 vcc, s10, v44
	v_mov_b32_e32 v43, 0x7f80
	s_and_saveexec_b64 s[10:11], vcc
	s_cbranch_execz .LBB880_365
; %bb.364:
	v_and_b32_e32 v43, 7, v22
	v_ffbh_u32_e32 v53, v43
	v_min_u32_e32 v53, 32, v53
	v_subrev_u32_e32 v54, 28, v53
	v_lshlrev_b64 v[54:55], v54, v[22:23]
	v_lshrrev_b32_e32 v45, 3, v44
	v_sub_u32_e32 v22, 29, v53
	v_and_b32_e32 v53, 7, v54
	v_cmp_gt_u32_e32 vcc, 8, v44
	v_mov_b32_e32 v44, 24
	v_cndmask_b32_e32 v22, v45, v22, vcc
	v_cndmask_b32_e32 v43, v43, v53, vcc
	v_lshlrev_b32_sdwa v44, v44, v24 dst_sel:DWORD dst_unused:UNUSED_PAD src0_sel:DWORD src1_sel:WORD_1
	v_bfrev_b32_e32 v45, 60
	v_lshlrev_b32_e32 v43, 20, v43
	v_and_b32_e32 v44, 0x80000000, v44
	v_lshl_add_u32 v22, v22, 23, v45
	v_or3_b32 v22, v44, v22, v43
	v_lshrrev_b32_e32 v43, 16, v22
.LBB880_365:
	s_or_b64 exec, exec, s[10:11]
.LBB880_366:
	s_or_b64 exec, exec, s[8:9]
.LBB880_367:
	s_or_b64 exec, exec, s[2:3]
	s_mov_b32 s2, 0xffffff
	v_cmp_lt_u32_e32 vcc, s2, v24
	v_mov_b32_e32 v45, 0
	v_mov_b32_e32 v53, 0
	s_and_saveexec_b64 s[2:3], vcc
	s_cbranch_execz .LBB880_373
; %bb.368:
	v_lshrrev_b32_e32 v22, 24, v24
	s_movk_i32 s8, 0x80
	v_cmp_ne_u32_e32 vcc, s8, v22
	v_mov_b32_e32 v53, 0xffff8000
	s_and_saveexec_b64 s[8:9], vcc
	s_cbranch_execz .LBB880_372
; %bb.369:
	v_bfe_u32 v24, v24, 24, 7
	s_movk_i32 s10, 0x7f
	v_cmp_ne_u32_e32 vcc, s10, v24
	v_mov_b32_e32 v53, 0x7f80
	s_and_saveexec_b64 s[10:11], vcc
	s_cbranch_execz .LBB880_371
; %bb.370:
	v_and_b32_e32 v44, 7, v22
	v_ffbh_u32_e32 v54, v44
	v_min_u32_e32 v56, 32, v54
	v_subrev_u32_e32 v54, 28, v56
	v_lshlrev_b64 v[54:55], v54, v[22:23]
	v_lshrrev_b32_e32 v53, 3, v24
	v_sub_u32_e32 v55, 29, v56
	v_and_b32_e32 v54, 7, v54
	v_cmp_gt_u32_e32 vcc, 8, v24
	v_cndmask_b32_e32 v24, v53, v55, vcc
	v_cndmask_b32_e32 v44, v44, v54, vcc
	v_lshlrev_b32_e32 v22, 24, v22
	v_bfrev_b32_e32 v53, 60
	v_lshlrev_b32_e32 v44, 20, v44
	v_and_b32_e32 v22, 0x80000000, v22
	v_lshl_add_u32 v24, v24, 23, v53
	v_or3_b32 v22, v22, v24, v44
	v_lshrrev_b32_e32 v53, 16, v22
.LBB880_371:
	s_or_b64 exec, exec, s[10:11]
.LBB880_372:
	s_or_b64 exec, exec, s[8:9]
.LBB880_373:
	s_or_b64 exec, exec, s[2:3]
	v_cmp_ne_u16_sdwa s[8:9], v25, v45 src0_sel:BYTE_0 src1_sel:DWORD
	s_and_saveexec_b64 s[2:3], s[8:9]
	s_cbranch_execz .LBB880_379
; %bb.374:
	s_movk_i32 s8, 0x80
	v_cmp_ne_u16_sdwa s[10:11], v25, s8 src0_sel:BYTE_0 src1_sel:DWORD
	v_mov_b32_e32 v45, 0xffff8000
	s_and_saveexec_b64 s[8:9], s[10:11]
	s_cbranch_execz .LBB880_378
; %bb.375:
	s_movk_i32 s10, 0x7f
	v_and_b32_e32 v22, 0x7f, v25
	v_cmp_ne_u32_e32 vcc, s10, v22
	v_mov_b32_e32 v45, 0x7f80
	s_and_saveexec_b64 s[10:11], vcc
	s_cbranch_execz .LBB880_377
; %bb.376:
	v_and_b32_e32 v54, 7, v25
	v_ffbh_u32_e32 v44, v54
	v_min_u32_e32 v56, 32, v44
	v_mov_b32_e32 v24, v25
	v_subrev_u32_e32 v44, 28, v56
	v_lshlrev_b64 v[44:45], v44, v[24:25]
	v_lshrrev_b32_e32 v55, 3, v22
	v_sub_u32_e32 v24, 29, v56
	v_and_b32_e32 v44, 7, v44
	v_cmp_gt_u32_e32 vcc, 8, v22
	v_cndmask_b32_e32 v22, v55, v24, vcc
	v_cndmask_b32_e32 v24, v54, v44, vcc
	v_lshlrev_b32_e32 v44, 24, v25
	v_bfrev_b32_e32 v45, 60
	v_lshlrev_b32_e32 v24, 20, v24
	v_and_b32_e32 v44, 0x80000000, v44
	v_lshl_add_u32 v22, v22, 23, v45
	v_or3_b32 v22, v44, v22, v24
	v_lshrrev_b32_e32 v45, 16, v22
.LBB880_377:
	s_or_b64 exec, exec, s[10:11]
.LBB880_378:
	s_or_b64 exec, exec, s[8:9]
.LBB880_379:
	s_or_b64 exec, exec, s[2:3]
	v_lshrrev_b16_e32 v22, 8, v25
	v_cmp_ne_u16_e32 vcc, 0, v22
	v_mov_b32_e32 v55, 0
	v_mov_b32_e32 v54, 0
	s_and_saveexec_b64 s[2:3], vcc
	s_cbranch_execz .LBB880_385
; %bb.380:
	s_movk_i32 s8, 0x80
	v_cmp_ne_u16_e32 vcc, s8, v22
	v_mov_b32_e32 v54, 0xffff8000
	s_and_saveexec_b64 s[8:9], vcc
	s_cbranch_execz .LBB880_384
; %bb.381:
	s_movk_i32 s10, 0x7f
	v_and_b32_e32 v24, 0x7f, v22
	v_cmp_ne_u32_e32 vcc, s10, v24
	v_mov_b32_e32 v54, 0x7f80
	s_and_saveexec_b64 s[10:11], vcc
	s_cbranch_execz .LBB880_383
; %bb.382:
	v_and_b32_e32 v44, 7, v22
	v_ffbh_u32_e32 v56, v44
	v_min_u32_e32 v58, 32, v56
	v_subrev_u32_e32 v56, 28, v58
	v_lshlrev_b64 v[56:57], v56, v[22:23]
	v_lshrrev_b32_e32 v54, 3, v24
	v_sub_u32_e32 v22, 29, v58
	v_and_b32_e32 v56, 7, v56
	v_cmp_gt_u32_e32 vcc, 8, v24
	v_cndmask_b32_e32 v22, v54, v22, vcc
	v_cndmask_b32_e32 v24, v44, v56, vcc
	v_lshlrev_b32_e32 v44, 16, v25
	v_bfrev_b32_e32 v54, 60
	v_lshlrev_b32_e32 v24, 20, v24
	v_and_b32_e32 v44, 0x80000000, v44
	v_lshl_add_u32 v22, v22, 23, v54
	v_or3_b32 v22, v44, v22, v24
	v_lshrrev_b32_e32 v54, 16, v22
.LBB880_383:
	s_or_b64 exec, exec, s[10:11]
.LBB880_384:
	s_or_b64 exec, exec, s[8:9]
.LBB880_385:
	s_or_b64 exec, exec, s[2:3]
	s_movk_i32 s2, 0xff
	v_and_b32_sdwa v24, v25, s2 dst_sel:DWORD dst_unused:UNUSED_PAD src0_sel:WORD_1 src1_sel:DWORD
	v_lshrrev_b32_e32 v22, 16, v25
	v_cmp_ne_u16_e32 vcc, 0, v24
	s_and_saveexec_b64 s[2:3], vcc
	s_cbranch_execz .LBB880_391
; %bb.386:
	s_movk_i32 s8, 0x80
	v_cmp_ne_u16_e32 vcc, s8, v24
	v_mov_b32_e32 v55, 0xffff8000
	s_and_saveexec_b64 s[8:9], vcc
	s_cbranch_execz .LBB880_390
; %bb.387:
	v_bfe_u32 v24, v25, 16, 7
	s_movk_i32 s10, 0x7f
	v_cmp_ne_u32_e32 vcc, s10, v24
	v_mov_b32_e32 v55, 0x7f80
	s_and_saveexec_b64 s[10:11], vcc
	s_cbranch_execz .LBB880_389
; %bb.388:
	v_and_b32_e32 v44, 7, v22
	v_ffbh_u32_e32 v56, v44
	v_min_u32_e32 v58, 32, v56
	v_subrev_u32_e32 v56, 28, v58
	v_lshlrev_b64 v[56:57], v56, v[22:23]
	v_and_b32_e32 v56, 7, v56
	v_cmp_gt_u32_e32 vcc, 8, v24
	v_lshrrev_b32_e32 v55, 3, v24
	v_sub_u32_e32 v22, 29, v58
	v_cndmask_b32_e32 v24, v44, v56, vcc
	v_mov_b32_e32 v44, 24
	v_cndmask_b32_e32 v22, v55, v22, vcc
	v_lshlrev_b32_sdwa v44, v44, v25 dst_sel:DWORD dst_unused:UNUSED_PAD src0_sel:DWORD src1_sel:WORD_1
	v_bfrev_b32_e32 v55, 60
	v_lshlrev_b32_e32 v24, 20, v24
	v_and_b32_e32 v44, 0x80000000, v44
	v_lshl_add_u32 v22, v22, 23, v55
	v_or3_b32 v22, v44, v22, v24
	v_lshrrev_b32_e32 v55, 16, v22
.LBB880_389:
	s_or_b64 exec, exec, s[10:11]
.LBB880_390:
	s_or_b64 exec, exec, s[8:9]
.LBB880_391:
	s_or_b64 exec, exec, s[2:3]
	s_mov_b32 s2, 0xffffff
	v_and_b32_e32 v44, 63, v0
	v_cmp_lt_u32_e32 vcc, s2, v25
	v_mov_b32_e32 v56, 0
	s_and_saveexec_b64 s[2:3], vcc
	s_cbranch_execz .LBB880_397
; %bb.392:
	v_lshrrev_b32_e32 v22, 24, v25
	s_movk_i32 s8, 0x80
	v_cmp_ne_u32_e32 vcc, s8, v22
	v_mov_b32_e32 v56, 0xffff8000
	s_and_saveexec_b64 s[8:9], vcc
	s_cbranch_execz .LBB880_396
; %bb.393:
	v_bfe_u32 v24, v25, 24, 7
	s_movk_i32 s10, 0x7f
	v_cmp_ne_u32_e32 vcc, s10, v24
	v_mov_b32_e32 v56, 0x7f80
	s_and_saveexec_b64 s[10:11], vcc
	s_cbranch_execz .LBB880_395
; %bb.394:
	v_and_b32_e32 v25, 7, v22
	v_ffbh_u32_e32 v56, v25
	v_min_u32_e32 v59, 32, v56
	v_subrev_u32_e32 v56, 28, v59
	v_lshlrev_b64 v[56:57], v56, v[22:23]
	v_lshrrev_b32_e32 v58, 3, v24
	v_sub_u32_e32 v57, 29, v59
	v_and_b32_e32 v56, 7, v56
	v_cmp_gt_u32_e32 vcc, 8, v24
	v_cndmask_b32_e32 v24, v58, v57, vcc
	v_cndmask_b32_e32 v25, v25, v56, vcc
	v_lshlrev_b32_e32 v22, 24, v22
	v_bfrev_b32_e32 v56, 60
	v_lshlrev_b32_e32 v25, 20, v25
	v_and_b32_e32 v22, 0x80000000, v22
	v_lshl_add_u32 v24, v24, 23, v56
	v_or3_b32 v22, v22, v24, v25
	v_lshrrev_b32_e32 v56, 16, v22
.LBB880_395:
	s_or_b64 exec, exec, s[10:11]
.LBB880_396:
	s_or_b64 exec, exec, s[8:9]
.LBB880_397:
	s_or_b64 exec, exec, s[2:3]
	s_mov_b32 s3, 0x5040100
	v_perm_b32 v43, v53, v43, s3
	v_perm_b32 v42, v23, v42, s3
	s_load_dword s2, s[4:5], 0x1c
	s_mov_b32 s46, 0xff7fffff
	s_waitcnt lgkmcnt(0)
	v_mfma_f32_16x16x16bf16_1k v[26:29], v[42:43], v[18:19], v[26:29]
	v_perm_b32 v19, v56, v55, s3
	v_perm_b32 v18, v54, v45, s3
	v_mov_b32_e32 v22, s2
	v_mul_f32_e32 v58, s12, v22
	v_pk_mul_f32 v[22:23], v[58:59], v[32:33] op_sel_hi:[0,1]
	v_pk_mul_f32 v[32:33], v[58:59], v[38:39] op_sel_hi:[0,1]
	v_and_b32_e32 v38, 0xc0, v0
	v_mfma_f32_16x16x16bf16_1k v[26:29], v[18:19], v[20:21], v[26:29]
	v_add_u32_e32 v38, s18, v38
	v_lshl_or_b32 v38, v47, 2, v38
	v_or_b32_e32 v39, 1, v38
	v_pk_mul_f32 v[24:25], v[58:59], v[30:31] op_sel_hi:[0,1]
	v_pk_mul_f32 v[30:31], v[58:59], v[40:41] op_sel_hi:[0,1]
	v_subrev_u32_e32 v40, s33, v39
	v_pk_mul_f32 v[34:35], v[58:59], v[34:35] op_sel_hi:[0,1]
	s_nop 3
	v_pk_mul_f32 v[20:21], v[58:59], v[26:27] op_sel_hi:[0,1]
	v_add_u32_e32 v27, 1, v40
	v_pk_mul_f32 v[18:19], v[58:59], v[28:29] op_sel_hi:[0,1]
	v_cvt_f32_i32_e32 v27, v27
	v_add_u32_e32 v29, 3, v40
	v_cvt_f32_i32_e32 v29, v29
	v_cvt_f32_i32_e32 v26, v40
	v_pk_mul_f32 v[36:37], v[58:59], v[36:37] op_sel_hi:[0,1]
	v_fmac_f32_e32 v35, v52, v27
	v_add_u32_e32 v27, 16, v40
	v_fmac_f32_e32 v37, v52, v29
	v_cvt_f32_i32_e32 v27, v27
	v_add_u32_e32 v29, 17, v40
	v_fma_f32 v26, v52, v26, v34
	v_cvt_f32_i32_e32 v29, v29
	v_add_u32_e32 v34, 18, v40
	v_cvt_f32_i32_e32 v34, v34
	v_fma_f32 v41, v52, v27, v32
	v_add_u32_e32 v27, 32, v40
	v_fmac_f32_e32 v33, v52, v29
	v_cvt_f32_i32_e32 v27, v27
	v_add_u32_e32 v29, 33, v40
	v_add_u32_e32 v32, 34, v40
	v_fma_f32 v30, v52, v34, v30
	v_cvt_f32_i32_e32 v29, v29
	v_cvt_f32_i32_e32 v32, v32
	v_add_u32_e32 v34, 35, v40
	v_cvt_f32_i32_e32 v34, v34
	v_fma_f32 v24, v52, v27, v24
	v_add_u32_e32 v27, 48, v40
	v_fmac_f32_e32 v25, v52, v29
	v_fma_f32 v22, v52, v32, v22
	v_cvt_f32_i32_e32 v27, v27
	v_add_u32_e32 v29, 49, v40
	v_add_u32_e32 v32, 50, v40
	v_fmac_f32_e32 v23, v52, v34
	v_cvt_f32_i32_e32 v29, v29
	v_cvt_f32_i32_e32 v32, v32
	v_add_u32_e32 v34, 51, v40
	v_add_u32_e32 v28, 2, v40
	v_cvt_f32_i32_e32 v34, v34
	v_cvt_f32_i32_e32 v28, v28
	v_fma_f32 v20, v52, v27, v20
	v_mov_b32_e32 v27, 0xff7fffff
	v_cmp_gt_i32_e64 s[26:27], s33, v38
	v_cmp_gt_i32_e64 s[28:29], s33, v39
	v_fmac_f32_e32 v21, v52, v29
	v_fma_f32 v18, v52, v32, v18
	v_cndmask_b32_e64 v29, v27, v26, s[26:27]
	v_cndmask_b32_e64 v32, v27, v35, s[28:29]
	v_fmac_f32_e32 v19, v52, v34
	v_max3_f32 v29, v29, s46, v32
	v_or_b32_e32 v32, 2, v38
	v_or_b32_e32 v34, 3, v38
	v_fma_f32 v28, v52, v28, v36
	v_cmp_gt_i32_e64 s[30:31], s33, v32
	v_cmp_gt_i32_e64 s[34:35], s33, v34
	v_add_u32_e32 v36, 19, v40
	v_cndmask_b32_e64 v32, v27, v28, s[30:31]
	v_cndmask_b32_e64 v34, v27, v37, s[34:35]
	v_cvt_f32_i32_e32 v36, v36
	v_max3_f32 v29, v29, v32, v34
	v_or_b32_e32 v32, 16, v38
	v_or_b32_e32 v34, 17, v38
	v_cmp_gt_i32_e64 s[36:37], s33, v32
	v_cmp_gt_i32_e64 s[38:39], s33, v34
	v_cndmask_b32_e64 v32, v27, v41, s[36:37]
	v_cndmask_b32_e64 v34, v27, v33, s[38:39]
	v_max3_f32 v29, v29, v32, v34
	v_or_b32_e32 v32, 18, v38
	v_or_b32_e32 v34, 19, v38
	v_fmac_f32_e32 v31, v52, v36
	v_cmp_gt_i32_e64 s[20:21], s33, v32
	v_cmp_gt_i32_e64 s[22:23], s33, v34
	v_cndmask_b32_e64 v32, v27, v30, s[20:21]
	v_cndmask_b32_e64 v34, v27, v31, s[22:23]
	v_max3_f32 v29, v29, v32, v34
	v_or_b32_e32 v32, 32, v38
	v_or_b32_e32 v34, 33, v38
	v_cmp_gt_i32_e64 s[16:17], s33, v32
	v_cmp_gt_i32_e64 s[18:19], s33, v34
	v_cndmask_b32_e64 v32, v27, v24, s[16:17]
	v_cndmask_b32_e64 v34, v27, v25, s[18:19]
	v_max3_f32 v29, v29, v32, v34
	v_or_b32_e32 v32, 34, v38
	v_or_b32_e32 v34, 35, v38
	;; [unrolled: 7-line block ×4, first 2 shown]
	v_cmp_gt_i32_e32 vcc, s33, v32
	v_cmp_gt_i32_e64 s[2:3], s33, v34
	v_cndmask_b32_e32 v32, v27, v18, vcc
	v_cndmask_b32_e64 v27, v27, v19, s[2:3]
	v_max3_f32 v27, v29, v32, v27
	v_mbcnt_lo_u32_b32 v29, -1, 0
	v_mbcnt_hi_u32_b32 v29, -1, v29
	v_and_b32_e32 v32, 64, v29
	v_add_u32_e32 v32, 64, v32
	v_xor_b32_e32 v34, 32, v29
	v_cmp_lt_i32_e64 s[40:41], v34, v32
	v_cndmask_b32_e64 v34, v29, v34, s[40:41]
	v_lshlrev_b32_e32 v36, 2, v34
	ds_bpermute_b32 v34, v36, v27
	s_barrier
	s_waitcnt lgkmcnt(0)
	v_max_f32_e32 v34, v34, v34
	v_max_f32_e32 v27, v27, v34
	v_xor_b32_e32 v34, 16, v29
	v_cmp_lt_i32_e64 s[40:41], v34, v32
	v_cndmask_b32_e64 v29, v29, v34, s[40:41]
	v_lshlrev_b32_e32 v38, 2, v29
	ds_bpermute_b32 v29, v38, v27
	s_waitcnt lgkmcnt(0)
	v_max_f32_e32 v29, v29, v29
	v_max_f32_e32 v32, v27, v29
	v_sub_f32_e32 v26, v26, v32
	v_mul_f32_e32 v26, 0x3fb8aa3b, v26
	v_sub_f32_e32 v27, v35, v32
	v_exp_f32_e32 v26, v26
	v_mul_f32_e32 v27, 0x3fb8aa3b, v27
	v_sub_f32_e32 v28, v28, v32
	v_exp_f32_e32 v27, v27
	v_mul_f32_e32 v28, 0x3fb8aa3b, v28
	v_exp_f32_e32 v28, v28
	v_cndmask_b32_e64 v26, 0, v26, s[26:27]
	v_sub_f32_e32 v34, v37, v32
	v_add_f32_e32 v29, 0, v26
	v_cndmask_b32_e64 v27, 0, v27, s[28:29]
	v_mul_f32_e32 v34, 0x3fb8aa3b, v34
	v_exp_f32_e32 v35, v34
	v_add_f32_e32 v29, v29, v27
	v_cndmask_b32_e64 v34, 0, v28, s[30:31]
	v_add_f32_e32 v28, v29, v34
	v_sub_f32_e32 v29, v41, v32
	v_mul_f32_e32 v29, 0x3fb8aa3b, v29
	v_sub_f32_e32 v33, v33, v32
	v_exp_f32_e32 v29, v29
	v_mul_f32_e32 v33, 0x3fb8aa3b, v33
	v_sub_f32_e32 v30, v30, v32
	v_exp_f32_e32 v33, v33
	;; [unrolled: 3-line block ×3, first 2 shown]
	v_mul_f32_e32 v31, 0x3fb8aa3b, v31
	v_sub_f32_e32 v24, v24, v32
	v_cndmask_b32_e64 v35, 0, v35, s[34:35]
	v_exp_f32_e32 v31, v31
	v_mul_f32_e32 v24, 0x3fb8aa3b, v24
	v_sub_f32_e32 v25, v25, v32
	v_add_f32_e32 v37, v28, v35
	v_cndmask_b32_e64 v28, 0, v29, s[36:37]
	v_exp_f32_e32 v24, v24
	v_mul_f32_e32 v25, 0x3fb8aa3b, v25
	v_sub_f32_e32 v22, v22, v32
	v_add_f32_e32 v37, v37, v28
	;; [unrolled: 5-line block ×7, first 2 shown]
	v_cndmask_b32_e64 v22, 0, v22, s[12:13]
	v_exp_f32_e32 v18, v18
	v_mul_f32_e32 v19, 0x3fb8aa3b, v19
	v_add_f32_e32 v33, v33, v22
	v_cndmask_b32_e64 v23, 0, v23, s[14:15]
	v_exp_f32_e32 v19, v19
	v_add_f32_e32 v33, v33, v23
	v_cndmask_b32_e64 v20, 0, v20, s[8:9]
	v_add_f32_e32 v33, v33, v20
	v_cndmask_b32_e64 v21, 0, v21, s[10:11]
	v_add_f32_e32 v33, v33, v21
	v_cndmask_b32_e32 v18, 0, v18, vcc
	v_add_f32_e32 v33, v33, v18
	v_cndmask_b32_e64 v19, 0, v19, s[2:3]
	v_add_f32_e32 v33, v33, v19
	ds_bpermute_b32 v36, v36, v33
	v_cmp_gt_u32_e32 vcc, 16, v44
	s_waitcnt lgkmcnt(0)
	v_add_f32_e32 v36, v33, v36
	ds_bpermute_b32 v37, v38, v36
	v_lshlrev_b32_e32 v33, 2, v50
	s_and_saveexec_b64 s[2:3], vcc
	s_cbranch_execz .LBB880_399
; %bb.398:
	s_waitcnt lgkmcnt(0)
	v_add_f32_e32 v36, v36, v37
	v_lshl_or_b32 v37, v51, 6, v33
	ds_write2st64_b32 v37, v32, v36 offset1:1
.LBB880_399:
	s_or_b64 exec, exec, s[2:3]
	s_waitcnt lgkmcnt(0)
	s_barrier
	ds_read2_b32 v[36:37], v33 offset1:16
	ds_read2_b32 v[38:39], v33 offset0:32 offset1:48
	ds_read2_b32 v[40:41], v33 offset0:64 offset1:80
	s_mul_i32 s12, s45, 3
	s_waitcnt lgkmcnt(2)
	v_max3_f32 v32, v36, s46, v37
	s_waitcnt lgkmcnt(1)
	v_max3_f32 v32, v32, v38, v39
	v_sub_f32_e32 v36, v36, v32
	v_mul_f32_e32 v36, 0x3fb8aa3b, v36
	v_exp_f32_e32 v42, v36
	v_sub_f32_e32 v36, v37, v32
	v_mul_f32_e32 v36, 0x3fb8aa3b, v36
	v_exp_f32_e32 v43, v36
	;; [unrolled: 3-line block ×3, first 2 shown]
	ds_read2_b32 v[36:37], v33 offset0:96 offset1:112
	v_sub_f32_e32 v33, v39, v32
	v_mul_f32_e32 v33, 0x3fb8aa3b, v33
	v_exp_f32_e32 v39, v33
	s_waitcnt lgkmcnt(1)
	v_fma_f32 v33, v42, v40, 0
	v_fmac_f32_e32 v33, v43, v41
	s_waitcnt lgkmcnt(0)
	v_fmac_f32_e32 v33, v38, v36
	v_fmac_f32_e32 v33, v39, v37
	v_add_f32_e32 v36, 0x358637bd, v33
	v_div_scale_f32 v37, s[2:3], v36, v36, 1.0
	v_rcp_f32_e32 v40, v37
	s_movk_i32 s2, 0x7fff
	s_mov_b32 s3, 0x7060302
	v_fma_f32 v41, -v37, v40, 1.0
	v_fmac_f32_e32 v40, v41, v40
	v_div_scale_f32 v41, vcc, 1.0, v36, 1.0
	v_mul_f32_e32 v44, v41, v40
	v_fma_f32 v45, -v37, v44, v41
	v_fmac_f32_e32 v44, v45, v40
	v_fma_f32 v37, -v37, v44, v41
	v_div_fmas_f32 v37, v37, v40, v44
	v_cmp_eq_u32_e32 vcc, 1, v51
	v_div_fixup_f32 v36, v37, v36, 1.0
	v_cndmask_b32_e32 v37, v42, v43, vcc
	v_cmp_eq_u32_e32 vcc, 2, v51
	v_cndmask_b32_e32 v37, v37, v38, vcc
	v_cmp_eq_u32_e32 vcc, 3, v51
	v_cndmask_b32_e32 v37, v37, v39, vcc
	v_mul_f32_e32 v36, v37, v36
	v_pk_mul_f32 v[26:27], v[36:37], v[26:27] op_sel_hi:[0,1]
	v_pk_mul_f32 v[34:35], v[36:37], v[34:35] op_sel_hi:[0,1]
	v_bfe_u32 v37, v27, 16, 1
	v_bfe_u32 v38, v26, 16, 1
	v_add3_u32 v26, v26, v38, s2
	v_add3_u32 v27, v27, v37, s2
	v_perm_b32 v38, v27, v26, s3
	v_bfe_u32 v26, v35, 16, 1
	v_bfe_u32 v27, v34, 16, 1
	v_add3_u32 v27, v34, v27, s2
	v_add3_u32 v26, v35, v26, s2
	v_perm_b32 v39, v26, v27, s3
	v_lshlrev_b32_e32 v26, 3, v47
	v_lshlrev_b32_e32 v27, 11, v51
	v_pk_mul_f32 v[28:29], v[36:37], v[28:29] op_sel_hi:[0,1]
	v_or3_b32 v26, v27, v49, v26
	v_bfe_u32 v27, v29, 16, 1
	v_bfe_u32 v34, v28, 16, 1
	v_pk_mul_f32 v[30:31], v[36:37], v[30:31] op_sel_hi:[0,1]
	v_add3_u32 v28, v28, v34, s2
	v_add3_u32 v27, v29, v27, s2
	v_perm_b32 v28, v27, v28, s3
	v_bfe_u32 v27, v31, 16, 1
	v_bfe_u32 v29, v30, 16, 1
	v_add3_u32 v29, v30, v29, s2
	v_add3_u32 v27, v31, v27, s2
	v_perm_b32 v29, v27, v29, s3
	v_pk_mul_f32 v[24:25], v[36:37], v[24:25] op_sel_hi:[0,1]
	s_barrier
	ds_write2st64_b64 v26, v[38:39], v[28:29] offset1:1
	v_bfe_u32 v27, v25, 16, 1
	v_bfe_u32 v28, v24, 16, 1
	v_pk_mul_f32 v[22:23], v[36:37], v[22:23] op_sel_hi:[0,1]
	v_add3_u32 v24, v24, v28, s2
	v_add3_u32 v25, v25, v27, s2
	v_perm_b32 v24, v25, v24, s3
	v_bfe_u32 v25, v23, 16, 1
	v_bfe_u32 v27, v22, 16, 1
	v_add3_u32 v22, v22, v27, s2
	v_add3_u32 v23, v23, v25, s2
	v_pk_mul_f32 v[20:21], v[36:37], v[20:21] op_sel_hi:[0,1]
	v_perm_b32 v25, v23, v22, s3
	v_bfe_u32 v22, v21, 16, 1
	v_bfe_u32 v23, v20, 16, 1
	v_pk_mul_f32 v[18:19], v[36:37], v[18:19] op_sel_hi:[0,1]
	v_add3_u32 v20, v20, v23, s2
	v_add3_u32 v21, v21, v22, s2
	v_perm_b32 v20, v21, v20, s3
	v_bfe_u32 v21, v19, 16, 1
	v_bfe_u32 v22, v18, 16, 1
	v_add3_u32 v18, v18, v22, s2
	v_add3_u32 v19, v19, v21, s2
	v_perm_b32 v21, v19, v18, s3
	v_cmp_gt_u32_e32 vcc, 3, v0
	ds_write2st64_b64 v26, v[24:25], v[20:21] offset0:2 offset1:3
	s_and_saveexec_b64 s[2:3], vcc
	s_cbranch_execz .LBB880_401
; %bb.400:
	v_add_co_u32_e32 v20, vcc, s25, v50
	v_addc_co_u32_e64 v21, s[14:15], 0, 0, vcc
	v_mov_b32_e32 v18, s12
	v_mov_b32_e32 v19, 0
	v_mad_u64_u32 v[20:21], s[14:15], s6, v18, v[20:21]
	v_mov_b32_e32 v18, s24
	s_load_dwordx4 s[8:11], s[4:5], 0x58
	s_mul_i32 s7, s7, s12
	v_mad_u64_u32 v[18:19], s[14:15], v20, s44, v[18:19]
	v_add_u32_e32 v21, s7, v21
	v_mov_b32_e32 v20, v19
	v_mad_u64_u32 v[20:21], s[14:15], v21, s44, v[20:21]
	v_mov_b32_e32 v19, v20
	v_lshlrev_b64 v[18:19], 2, v[18:19]
	s_waitcnt lgkmcnt(0)
	v_mov_b32_e32 v21, s11
	v_add_co_u32_e32 v20, vcc, s10, v18
	v_addc_co_u32_e32 v21, vcc, v21, v19, vcc
	global_store_dword v[20:21], v32, off
	v_mov_b32_e32 v20, s9
	v_add_co_u32_e32 v18, vcc, s8, v18
	v_addc_co_u32_e32 v19, vcc, v20, v19, vcc
	global_store_dword v[18:19], v33, off
.LBB880_401:
	s_or_b64 exec, exec, s[2:3]
	v_mov_b32_e32 v19, 0
	s_waitcnt vmcnt(3)
	v_cmp_ne_u16_sdwa s[8:9], v14, v19 src0_sel:BYTE_0 src1_sel:DWORD
	v_mov_b32_e32 v20, 0
	s_waitcnt lgkmcnt(0)
	s_barrier
	s_and_saveexec_b64 s[2:3], s[8:9]
	s_cbranch_execz .LBB880_407
; %bb.402:
	s_movk_i32 s7, 0x80
	v_cmp_ne_u16_sdwa s[10:11], v14, s7 src0_sel:BYTE_0 src1_sel:DWORD
	v_mov_b32_e32 v20, 0xffff8000
	s_and_saveexec_b64 s[8:9], s[10:11]
	s_cbranch_execz .LBB880_406
; %bb.403:
	s_movk_i32 s7, 0x7f
	v_and_b32_e32 v18, 0x7f, v14
	v_cmp_ne_u32_e32 vcc, s7, v18
	v_mov_b32_e32 v20, 0x7f80
	s_and_saveexec_b64 s[10:11], vcc
	s_cbranch_execz .LBB880_405
; %bb.404:
	v_and_b32_e32 v22, 7, v14
	v_ffbh_u32_e32 v20, v22
	v_min_u32_e32 v24, 32, v20
	v_subrev_u32_e32 v20, 28, v24
	v_lshlrev_b64 v[20:21], v20, v[14:15]
	v_lshrrev_b32_e32 v23, 3, v18
	v_sub_u32_e32 v21, 29, v24
	v_and_b32_e32 v20, 7, v20
	v_cmp_gt_u32_e32 vcc, 8, v18
	v_cndmask_b32_e32 v18, v23, v21, vcc
	v_cndmask_b32_e32 v20, v22, v20, vcc
	v_lshlrev_b32_e32 v21, 24, v14
	v_bfrev_b32_e32 v22, 60
	v_lshlrev_b32_e32 v20, 20, v20
	v_and_b32_e32 v21, 0x80000000, v21
	v_lshl_add_u32 v18, v18, 23, v22
	v_or3_b32 v18, v21, v18, v20
	v_lshrrev_b32_e32 v20, 16, v18
.LBB880_405:
	s_or_b64 exec, exec, s[10:11]
.LBB880_406:
	s_or_b64 exec, exec, s[8:9]
.LBB880_407:
	s_or_b64 exec, exec, s[2:3]
	v_lshrrev_b16_e32 v18, 8, v14
	v_cmp_ne_u16_e32 vcc, 0, v18
	s_and_saveexec_b64 s[2:3], vcc
	s_cbranch_execz .LBB880_413
; %bb.408:
	s_movk_i32 s7, 0x80
	v_cmp_ne_u16_e32 vcc, s7, v18
	v_mov_b32_e32 v19, 0xffff8000
	s_and_saveexec_b64 s[8:9], vcc
	s_cbranch_execz .LBB880_412
; %bb.409:
	s_movk_i32 s7, 0x7f
	v_and_b32_e32 v21, 0x7f, v18
	v_cmp_ne_u32_e32 vcc, s7, v21
	v_mov_b32_e32 v19, 0x7f80
	s_and_saveexec_b64 s[10:11], vcc
	s_cbranch_execz .LBB880_411
; %bb.410:
	v_and_b32_e32 v22, 7, v18
	v_ffbh_u32_e32 v19, v22
	v_min_u32_e32 v24, 32, v19
	v_subrev_u32_e32 v19, 28, v24
	v_lshlrev_b64 v[18:19], v19, v[18:19]
	v_lshrrev_b32_e32 v23, 3, v21
	v_sub_u32_e32 v19, 29, v24
	v_and_b32_e32 v18, 7, v18
	v_cmp_gt_u32_e32 vcc, 8, v21
	v_cndmask_b32_e32 v19, v23, v19, vcc
	v_cndmask_b32_e32 v18, v22, v18, vcc
	v_lshlrev_b32_e32 v21, 16, v14
	v_bfrev_b32_e32 v22, 60
	v_lshlrev_b32_e32 v18, 20, v18
	v_and_b32_e32 v21, 0x80000000, v21
	v_lshl_add_u32 v19, v19, 23, v22
	v_or3_b32 v18, v21, v19, v18
	v_lshrrev_b32_e32 v19, 16, v18
.LBB880_411:
	s_or_b64 exec, exec, s[10:11]
.LBB880_412:
	s_or_b64 exec, exec, s[8:9]
.LBB880_413:
	s_or_b64 exec, exec, s[2:3]
	s_movk_i32 s2, 0xff
	v_and_b32_sdwa v23, v14, s2 dst_sel:DWORD dst_unused:UNUSED_PAD src0_sel:WORD_1 src1_sel:DWORD
	v_lshrrev_b32_e32 v18, 16, v14
	v_cmp_ne_u16_e32 vcc, 0, v23
	v_mov_b32_e32 v21, 0
	v_mov_b32_e32 v22, 0
	s_and_saveexec_b64 s[2:3], vcc
	s_cbranch_execz .LBB880_419
; %bb.414:
	s_movk_i32 s7, 0x80
	v_cmp_ne_u16_e32 vcc, s7, v23
	v_mov_b32_e32 v22, 0xffff8000
	s_and_saveexec_b64 s[8:9], vcc
	s_cbranch_execz .LBB880_418
; %bb.415:
	v_bfe_u32 v23, v14, 16, 7
	s_movk_i32 s7, 0x7f
	v_cmp_ne_u32_e32 vcc, s7, v23
	v_mov_b32_e32 v22, 0x7f80
	s_and_saveexec_b64 s[10:11], vcc
	s_cbranch_execz .LBB880_417
; %bb.416:
	v_and_b32_e32 v22, 7, v18
	v_ffbh_u32_e32 v24, v22
	v_min_u32_e32 v28, 32, v24
	v_subrev_u32_e32 v24, 28, v28
	v_lshlrev_b64 v[24:25], v24, v[18:19]
	v_lshrrev_b32_e32 v27, 3, v23
	v_sub_u32_e32 v18, 29, v28
	v_and_b32_e32 v24, 7, v24
	v_cmp_gt_u32_e32 vcc, 8, v23
	v_mov_b32_e32 v23, 24
	v_cndmask_b32_e32 v18, v27, v18, vcc
	v_cndmask_b32_e32 v22, v22, v24, vcc
	v_lshlrev_b32_sdwa v23, v23, v14 dst_sel:DWORD dst_unused:UNUSED_PAD src0_sel:DWORD src1_sel:WORD_1
	v_bfrev_b32_e32 v24, 60
	v_lshlrev_b32_e32 v22, 20, v22
	v_and_b32_e32 v23, 0x80000000, v23
	v_lshl_add_u32 v18, v18, 23, v24
	v_or3_b32 v18, v23, v18, v22
	v_lshrrev_b32_e32 v22, 16, v18
.LBB880_417:
	s_or_b64 exec, exec, s[10:11]
.LBB880_418:
	s_or_b64 exec, exec, s[8:9]
.LBB880_419:
	s_or_b64 exec, exec, s[2:3]
	s_mov_b32 s2, 0xffffff
	v_cmp_lt_u32_e32 vcc, s2, v14
	s_and_saveexec_b64 s[2:3], vcc
	s_cbranch_execz .LBB880_425
; %bb.420:
	v_lshrrev_b32_e32 v18, 24, v14
	s_movk_i32 s7, 0x80
	v_cmp_ne_u32_e32 vcc, s7, v18
	v_mov_b32_e32 v21, 0xffff8000
	s_and_saveexec_b64 s[8:9], vcc
	s_cbranch_execz .LBB880_424
; %bb.421:
	v_bfe_u32 v14, v14, 24, 7
	s_movk_i32 s7, 0x7f
	v_cmp_ne_u32_e32 vcc, s7, v14
	v_mov_b32_e32 v21, 0x7f80
	s_and_saveexec_b64 s[10:11], vcc
	s_cbranch_execz .LBB880_423
; %bb.422:
	v_and_b32_e32 v21, 7, v18
	v_ffbh_u32_e32 v24, v21
	v_min_u32_e32 v27, 32, v24
	v_subrev_u32_e32 v24, 28, v27
	v_lshlrev_b64 v[24:25], v24, v[18:19]
	v_lshrrev_b32_e32 v23, 3, v14
	v_sub_u32_e32 v25, 29, v27
	v_and_b32_e32 v24, 7, v24
	v_cmp_gt_u32_e32 vcc, 8, v14
	v_cndmask_b32_e32 v14, v23, v25, vcc
	v_cndmask_b32_e32 v21, v21, v24, vcc
	v_lshlrev_b32_e32 v18, 24, v18
	v_bfrev_b32_e32 v23, 60
	v_lshlrev_b32_e32 v21, 20, v21
	v_and_b32_e32 v18, 0x80000000, v18
	v_lshl_add_u32 v14, v14, 23, v23
	v_or3_b32 v14, v18, v14, v21
	v_lshrrev_b32_e32 v21, 16, v14
.LBB880_423:
	s_or_b64 exec, exec, s[10:11]
.LBB880_424:
	s_or_b64 exec, exec, s[8:9]
.LBB880_425:
	s_or_b64 exec, exec, s[2:3]
	v_mov_b32_e32 v18, 0
	v_cmp_ne_u16_sdwa s[8:9], v15, v18 src0_sel:BYTE_0 src1_sel:DWORD
	v_mov_b32_e32 v23, 0
	s_and_saveexec_b64 s[2:3], s[8:9]
	s_cbranch_execz .LBB880_431
; %bb.426:
	s_movk_i32 s7, 0x80
	v_cmp_ne_u16_sdwa s[10:11], v15, s7 src0_sel:BYTE_0 src1_sel:DWORD
	v_mov_b32_e32 v23, 0xffff8000
	s_and_saveexec_b64 s[8:9], s[10:11]
	s_cbranch_execz .LBB880_430
; %bb.427:
	s_movk_i32 s7, 0x7f
	v_and_b32_e32 v14, 0x7f, v15
	v_cmp_ne_u32_e32 vcc, s7, v14
	v_mov_b32_e32 v23, 0x7f80
	s_and_saveexec_b64 s[10:11], vcc
	s_cbranch_execz .LBB880_429
; %bb.428:
	v_and_b32_e32 v23, 7, v15
	v_ffbh_u32_e32 v25, v23
	v_min_u32_e32 v28, 32, v25
	v_mov_b32_e32 v24, v15
	v_subrev_u32_e32 v25, 28, v28
	v_lshlrev_b64 v[24:25], v25, v[24:25]
	v_lshrrev_b32_e32 v27, 3, v14
	v_sub_u32_e32 v25, 29, v28
	v_and_b32_e32 v24, 7, v24
	v_cmp_gt_u32_e32 vcc, 8, v14
	v_cndmask_b32_e32 v14, v27, v25, vcc
	v_cndmask_b32_e32 v23, v23, v24, vcc
	v_lshlrev_b32_e32 v24, 24, v15
	v_bfrev_b32_e32 v25, 60
	v_lshlrev_b32_e32 v23, 20, v23
	v_and_b32_e32 v24, 0x80000000, v24
	v_lshl_add_u32 v14, v14, 23, v25
	v_or3_b32 v14, v24, v14, v23
	v_lshrrev_b32_e32 v23, 16, v14
.LBB880_429:
	s_or_b64 exec, exec, s[10:11]
.LBB880_430:
	s_or_b64 exec, exec, s[8:9]
.LBB880_431:
	s_or_b64 exec, exec, s[2:3]
	v_lshrrev_b16_e32 v14, 8, v15
	v_cmp_ne_u16_e32 vcc, 0, v14
	s_and_saveexec_b64 s[2:3], vcc
	s_cbranch_execz .LBB880_437
; %bb.432:
	s_movk_i32 s7, 0x80
	v_cmp_ne_u16_e32 vcc, s7, v14
	v_mov_b32_e32 v18, 0xffff8000
	s_and_saveexec_b64 s[8:9], vcc
	s_cbranch_execz .LBB880_436
; %bb.433:
	s_movk_i32 s7, 0x7f
	v_and_b32_e32 v24, 0x7f, v14
	v_cmp_ne_u32_e32 vcc, s7, v24
	v_mov_b32_e32 v18, 0x7f80
	s_and_saveexec_b64 s[10:11], vcc
	s_cbranch_execz .LBB880_435
; %bb.434:
	v_and_b32_e32 v18, 7, v14
	v_ffbh_u32_e32 v27, v18
	v_min_u32_e32 v27, 32, v27
	v_subrev_u32_e32 v28, 28, v27
	v_lshlrev_b64 v[28:29], v28, v[14:15]
	v_lshrrev_b32_e32 v25, 3, v24
	v_sub_u32_e32 v14, 29, v27
	v_and_b32_e32 v27, 7, v28
	v_cmp_gt_u32_e32 vcc, 8, v24
	v_cndmask_b32_e32 v14, v25, v14, vcc
	v_cndmask_b32_e32 v18, v18, v27, vcc
	v_lshlrev_b32_e32 v24, 16, v15
	v_bfrev_b32_e32 v25, 60
	v_lshlrev_b32_e32 v18, 20, v18
	v_and_b32_e32 v24, 0x80000000, v24
	v_lshl_add_u32 v14, v14, 23, v25
	v_or3_b32 v14, v24, v14, v18
	v_lshrrev_b32_e32 v18, 16, v14
.LBB880_435:
	s_or_b64 exec, exec, s[10:11]
.LBB880_436:
	s_or_b64 exec, exec, s[8:9]
.LBB880_437:
	s_or_b64 exec, exec, s[2:3]
	s_movk_i32 s2, 0xff
	v_and_b32_sdwa v27, v15, s2 dst_sel:DWORD dst_unused:UNUSED_PAD src0_sel:WORD_1 src1_sel:DWORD
	v_lshrrev_b32_e32 v14, 16, v15
	v_cmp_ne_u16_e32 vcc, 0, v27
	v_mov_b32_e32 v24, 0
	v_mov_b32_e32 v25, 0
	s_and_saveexec_b64 s[2:3], vcc
	s_cbranch_execz .LBB880_443
; %bb.438:
	s_movk_i32 s7, 0x80
	v_cmp_ne_u16_e32 vcc, s7, v27
	v_mov_b32_e32 v25, 0xffff8000
	s_and_saveexec_b64 s[8:9], vcc
	s_cbranch_execz .LBB880_442
; %bb.439:
	v_bfe_u32 v27, v15, 16, 7
	s_movk_i32 s7, 0x7f
	v_cmp_ne_u32_e32 vcc, s7, v27
	v_mov_b32_e32 v25, 0x7f80
	s_and_saveexec_b64 s[10:11], vcc
	s_cbranch_execz .LBB880_441
; %bb.440:
	v_and_b32_e32 v25, 7, v14
	v_ffbh_u32_e32 v28, v25
	v_min_u32_e32 v31, 32, v28
	v_subrev_u32_e32 v28, 28, v31
	v_lshlrev_b64 v[28:29], v28, v[14:15]
	v_lshrrev_b32_e32 v30, 3, v27
	v_sub_u32_e32 v14, 29, v31
	v_and_b32_e32 v28, 7, v28
	v_cmp_gt_u32_e32 vcc, 8, v27
	v_mov_b32_e32 v27, 24
	v_cndmask_b32_e32 v14, v30, v14, vcc
	v_cndmask_b32_e32 v25, v25, v28, vcc
	v_lshlrev_b32_sdwa v27, v27, v15 dst_sel:DWORD dst_unused:UNUSED_PAD src0_sel:DWORD src1_sel:WORD_1
	v_bfrev_b32_e32 v28, 60
	v_lshlrev_b32_e32 v25, 20, v25
	v_and_b32_e32 v27, 0x80000000, v27
	v_lshl_add_u32 v14, v14, 23, v28
	v_or3_b32 v14, v27, v14, v25
	v_lshrrev_b32_e32 v25, 16, v14
.LBB880_441:
	s_or_b64 exec, exec, s[10:11]
.LBB880_442:
	s_or_b64 exec, exec, s[8:9]
.LBB880_443:
	s_or_b64 exec, exec, s[2:3]
	s_mov_b32 s2, 0xffffff
	v_cmp_lt_u32_e32 vcc, s2, v15
	s_and_saveexec_b64 s[2:3], vcc
	s_cbranch_execz .LBB880_449
; %bb.444:
	v_lshrrev_b32_e32 v14, 24, v15
	s_movk_i32 s7, 0x80
	v_cmp_ne_u32_e32 vcc, s7, v14
	v_mov_b32_e32 v24, 0xffff8000
	s_and_saveexec_b64 s[8:9], vcc
	s_cbranch_execz .LBB880_448
; %bb.445:
	v_bfe_u32 v15, v15, 24, 7
	s_movk_i32 s7, 0x7f
	v_cmp_ne_u32_e32 vcc, s7, v15
	v_mov_b32_e32 v24, 0x7f80
	s_and_saveexec_b64 s[10:11], vcc
	s_cbranch_execz .LBB880_447
; %bb.446:
	v_and_b32_e32 v24, 7, v14
	v_ffbh_u32_e32 v28, v24
	v_min_u32_e32 v30, 32, v28
	v_subrev_u32_e32 v28, 28, v30
	v_lshlrev_b64 v[28:29], v28, v[14:15]
	v_lshrrev_b32_e32 v27, 3, v15
	v_sub_u32_e32 v29, 29, v30
	v_and_b32_e32 v28, 7, v28
	v_cmp_gt_u32_e32 vcc, 8, v15
	v_cndmask_b32_e32 v15, v27, v29, vcc
	v_cndmask_b32_e32 v24, v24, v28, vcc
	v_lshlrev_b32_e32 v14, 24, v14
	v_bfrev_b32_e32 v27, 60
	v_lshlrev_b32_e32 v24, 20, v24
	v_and_b32_e32 v14, 0x80000000, v14
	v_lshl_add_u32 v15, v15, 23, v27
	v_or3_b32 v14, v14, v15, v24
	v_lshrrev_b32_e32 v24, 16, v14
.LBB880_447:
	s_or_b64 exec, exec, s[10:11]
.LBB880_448:
	s_or_b64 exec, exec, s[8:9]
.LBB880_449:
	s_or_b64 exec, exec, s[2:3]
	s_mov_b32 s2, 0x5040100
	v_perm_b32 v15, v21, v22, s2
	v_lshl_or_b32 v22, v47, 9, v49
	v_perm_b32 v14, v19, v20, s2
	ds_read_b128 v[28:31], v22
	v_perm_b32 v19, v24, v25, s2
	v_perm_b32 v18, v18, v23, s2
	s_waitcnt lgkmcnt(0)
	v_mfma_f32_16x16x16bf16_1k v[32:35], v[14:15], v[28:29], 0
	v_mov_b32_e32 v15, 0
	v_cmp_ne_u16_sdwa s[8:9], v16, v15 src0_sel:BYTE_0 src1_sel:DWORD
	v_mov_b32_e32 v23, 0
	v_mfma_f32_16x16x16bf16_1k v[18:21], v[18:19], v[30:31], v[32:35]
	s_and_saveexec_b64 s[2:3], s[8:9]
	s_cbranch_execz .LBB880_455
; %bb.450:
	s_movk_i32 s7, 0x80
	v_cmp_ne_u16_sdwa s[10:11], v16, s7 src0_sel:BYTE_0 src1_sel:DWORD
	v_mov_b32_e32 v23, 0xffff8000
	s_and_saveexec_b64 s[8:9], s[10:11]
	s_cbranch_execz .LBB880_454
; %bb.451:
	s_movk_i32 s7, 0x7f
	v_and_b32_e32 v14, 0x7f, v16
	v_cmp_ne_u32_e32 vcc, s7, v14
	v_mov_b32_e32 v23, 0x7f80
	s_and_saveexec_b64 s[10:11], vcc
	s_cbranch_execz .LBB880_453
; %bb.452:
	v_and_b32_e32 v23, 7, v16
	v_ffbh_u32_e32 v24, v23
	v_min_u32_e32 v28, 32, v24
	v_subrev_u32_e32 v24, 28, v28
	v_lshlrev_b64 v[24:25], v24, v[16:17]
	v_lshrrev_b32_e32 v27, 3, v14
	v_sub_u32_e32 v25, 29, v28
	v_and_b32_e32 v24, 7, v24
	v_cmp_gt_u32_e32 vcc, 8, v14
	v_cndmask_b32_e32 v14, v27, v25, vcc
	v_cndmask_b32_e32 v23, v23, v24, vcc
	v_lshlrev_b32_e32 v24, 24, v16
	v_bfrev_b32_e32 v25, 60
	v_lshlrev_b32_e32 v23, 20, v23
	v_and_b32_e32 v24, 0x80000000, v24
	v_lshl_add_u32 v14, v14, 23, v25
	v_or3_b32 v14, v24, v14, v23
	v_lshrrev_b32_e32 v23, 16, v14
.LBB880_453:
	s_or_b64 exec, exec, s[10:11]
.LBB880_454:
	s_or_b64 exec, exec, s[8:9]
.LBB880_455:
	s_or_b64 exec, exec, s[2:3]
	v_lshrrev_b16_e32 v14, 8, v16
	v_cmp_ne_u16_e32 vcc, 0, v14
	s_and_saveexec_b64 s[2:3], vcc
	s_cbranch_execz .LBB880_461
; %bb.456:
	s_movk_i32 s7, 0x80
	v_cmp_ne_u16_e32 vcc, s7, v14
	v_mov_b32_e32 v15, 0xffff8000
	s_and_saveexec_b64 s[8:9], vcc
	s_cbranch_execz .LBB880_460
; %bb.457:
	s_movk_i32 s7, 0x7f
	v_and_b32_e32 v24, 0x7f, v14
	v_cmp_ne_u32_e32 vcc, s7, v24
	v_mov_b32_e32 v15, 0x7f80
	s_and_saveexec_b64 s[10:11], vcc
	s_cbranch_execz .LBB880_459
; %bb.458:
	v_and_b32_e32 v25, 7, v14
	v_ffbh_u32_e32 v15, v25
	v_min_u32_e32 v28, 32, v15
	v_subrev_u32_e32 v15, 28, v28
	v_lshlrev_b64 v[14:15], v15, v[14:15]
	v_lshrrev_b32_e32 v27, 3, v24
	v_sub_u32_e32 v15, 29, v28
	v_and_b32_e32 v14, 7, v14
	v_cmp_gt_u32_e32 vcc, 8, v24
	v_cndmask_b32_e32 v15, v27, v15, vcc
	v_cndmask_b32_e32 v14, v25, v14, vcc
	v_lshlrev_b32_e32 v24, 16, v16
	v_bfrev_b32_e32 v25, 60
	v_lshlrev_b32_e32 v14, 20, v14
	v_and_b32_e32 v24, 0x80000000, v24
	v_lshl_add_u32 v15, v15, 23, v25
	v_or3_b32 v14, v24, v15, v14
	v_lshrrev_b32_e32 v15, 16, v14
.LBB880_459:
	s_or_b64 exec, exec, s[10:11]
.LBB880_460:
	s_or_b64 exec, exec, s[8:9]
.LBB880_461:
	s_or_b64 exec, exec, s[2:3]
	s_movk_i32 s2, 0xff
	v_and_b32_sdwa v27, v16, s2 dst_sel:DWORD dst_unused:UNUSED_PAD src0_sel:WORD_1 src1_sel:DWORD
	v_lshrrev_b32_e32 v14, 16, v16
	v_cmp_ne_u16_e32 vcc, 0, v27
	v_mov_b32_e32 v24, 0
	v_mov_b32_e32 v25, 0
	s_and_saveexec_b64 s[2:3], vcc
	s_cbranch_execz .LBB880_467
; %bb.462:
	s_movk_i32 s7, 0x80
	v_cmp_ne_u16_e32 vcc, s7, v27
	v_mov_b32_e32 v25, 0xffff8000
	s_and_saveexec_b64 s[8:9], vcc
	s_cbranch_execz .LBB880_466
; %bb.463:
	v_bfe_u32 v27, v16, 16, 7
	s_movk_i32 s7, 0x7f
	v_cmp_ne_u32_e32 vcc, s7, v27
	v_mov_b32_e32 v25, 0x7f80
	s_and_saveexec_b64 s[10:11], vcc
	s_cbranch_execz .LBB880_465
; %bb.464:
	v_and_b32_e32 v25, 7, v14
	v_ffbh_u32_e32 v28, v25
	v_min_u32_e32 v31, 32, v28
	v_subrev_u32_e32 v28, 28, v31
	v_lshlrev_b64 v[28:29], v28, v[14:15]
	v_lshrrev_b32_e32 v30, 3, v27
	v_sub_u32_e32 v14, 29, v31
	v_and_b32_e32 v28, 7, v28
	v_cmp_gt_u32_e32 vcc, 8, v27
	v_mov_b32_e32 v27, 24
	v_cndmask_b32_e32 v14, v30, v14, vcc
	v_cndmask_b32_e32 v25, v25, v28, vcc
	v_lshlrev_b32_sdwa v27, v27, v16 dst_sel:DWORD dst_unused:UNUSED_PAD src0_sel:DWORD src1_sel:WORD_1
	v_bfrev_b32_e32 v28, 60
	v_lshlrev_b32_e32 v25, 20, v25
	v_and_b32_e32 v27, 0x80000000, v27
	v_lshl_add_u32 v14, v14, 23, v28
	v_or3_b32 v14, v27, v14, v25
	v_lshrrev_b32_e32 v25, 16, v14
.LBB880_465:
	s_or_b64 exec, exec, s[10:11]
.LBB880_466:
	s_or_b64 exec, exec, s[8:9]
.LBB880_467:
	s_or_b64 exec, exec, s[2:3]
	s_mov_b32 s2, 0xffffff
	v_cmp_lt_u32_e32 vcc, s2, v16
	s_and_saveexec_b64 s[2:3], vcc
	s_cbranch_execz .LBB880_473
; %bb.468:
	v_lshrrev_b32_e32 v14, 24, v16
	s_movk_i32 s7, 0x80
	v_cmp_ne_u32_e32 vcc, s7, v14
	v_mov_b32_e32 v24, 0xffff8000
	s_and_saveexec_b64 s[8:9], vcc
	s_cbranch_execz .LBB880_472
; %bb.469:
	v_bfe_u32 v16, v16, 24, 7
	s_movk_i32 s7, 0x7f
	v_cmp_ne_u32_e32 vcc, s7, v16
	v_mov_b32_e32 v24, 0x7f80
	s_and_saveexec_b64 s[10:11], vcc
	s_cbranch_execz .LBB880_471
; %bb.470:
	v_and_b32_e32 v24, 7, v14
	v_ffbh_u32_e32 v28, v24
	v_min_u32_e32 v30, 32, v28
	v_subrev_u32_e32 v28, 28, v30
	v_lshlrev_b64 v[28:29], v28, v[14:15]
	v_lshrrev_b32_e32 v27, 3, v16
	v_sub_u32_e32 v29, 29, v30
	v_and_b32_e32 v28, 7, v28
	v_cmp_gt_u32_e32 vcc, 8, v16
	v_cndmask_b32_e32 v16, v27, v29, vcc
	v_cndmask_b32_e32 v24, v24, v28, vcc
	v_lshlrev_b32_e32 v14, 24, v14
	v_bfrev_b32_e32 v27, 60
	v_lshlrev_b32_e32 v24, 20, v24
	v_and_b32_e32 v14, 0x80000000, v14
	v_lshl_add_u32 v16, v16, 23, v27
	v_or3_b32 v14, v14, v16, v24
	v_lshrrev_b32_e32 v24, 16, v14
.LBB880_471:
	s_or_b64 exec, exec, s[10:11]
.LBB880_472:
	s_or_b64 exec, exec, s[8:9]
.LBB880_473:
	s_or_b64 exec, exec, s[2:3]
	v_mov_b32_e32 v16, 0
	v_cmp_ne_u16_sdwa s[8:9], v17, v16 src0_sel:BYTE_0 src1_sel:DWORD
	v_mov_b32_e32 v27, 0
	s_and_saveexec_b64 s[2:3], s[8:9]
	s_cbranch_execz .LBB880_479
; %bb.474:
	s_movk_i32 s7, 0x80
	v_cmp_ne_u16_sdwa s[10:11], v17, s7 src0_sel:BYTE_0 src1_sel:DWORD
	v_mov_b32_e32 v27, 0xffff8000
	s_and_saveexec_b64 s[8:9], s[10:11]
	s_cbranch_execz .LBB880_478
; %bb.475:
	s_movk_i32 s7, 0x7f
	v_and_b32_e32 v14, 0x7f, v17
	v_cmp_ne_u32_e32 vcc, s7, v14
	v_mov_b32_e32 v27, 0x7f80
	s_and_saveexec_b64 s[10:11], vcc
	s_cbranch_execz .LBB880_477
; %bb.476:
	v_and_b32_e32 v27, 7, v17
	v_ffbh_u32_e32 v29, v27
	v_min_u32_e32 v31, 32, v29
	v_mov_b32_e32 v28, v17
	v_subrev_u32_e32 v29, 28, v31
	v_lshlrev_b64 v[28:29], v29, v[28:29]
	v_lshrrev_b32_e32 v30, 3, v14
	v_sub_u32_e32 v29, 29, v31
	v_and_b32_e32 v28, 7, v28
	v_cmp_gt_u32_e32 vcc, 8, v14
	v_cndmask_b32_e32 v14, v30, v29, vcc
	v_cndmask_b32_e32 v27, v27, v28, vcc
	v_lshlrev_b32_e32 v28, 24, v17
	v_bfrev_b32_e32 v29, 60
	v_lshlrev_b32_e32 v27, 20, v27
	v_and_b32_e32 v28, 0x80000000, v28
	v_lshl_add_u32 v14, v14, 23, v29
	v_or3_b32 v14, v28, v14, v27
	v_lshrrev_b32_e32 v27, 16, v14
.LBB880_477:
	s_or_b64 exec, exec, s[10:11]
.LBB880_478:
	s_or_b64 exec, exec, s[8:9]
.LBB880_479:
	s_or_b64 exec, exec, s[2:3]
	v_lshrrev_b16_e32 v14, 8, v17
	v_cmp_ne_u16_e32 vcc, 0, v14
	s_and_saveexec_b64 s[2:3], vcc
	s_cbranch_execz .LBB880_485
; %bb.480:
	s_movk_i32 s7, 0x80
	v_cmp_ne_u16_e32 vcc, s7, v14
	v_mov_b32_e32 v16, 0xffff8000
	s_and_saveexec_b64 s[8:9], vcc
	s_cbranch_execz .LBB880_484
; %bb.481:
	s_movk_i32 s7, 0x7f
	v_and_b32_e32 v28, 0x7f, v14
	v_cmp_ne_u32_e32 vcc, s7, v28
	v_mov_b32_e32 v16, 0x7f80
	s_and_saveexec_b64 s[10:11], vcc
	s_cbranch_execz .LBB880_483
; %bb.482:
	v_and_b32_e32 v16, 7, v14
	v_ffbh_u32_e32 v30, v16
	v_min_u32_e32 v32, 32, v30
	v_subrev_u32_e32 v30, 28, v32
	v_lshlrev_b64 v[30:31], v30, v[14:15]
	v_lshrrev_b32_e32 v29, 3, v28
	v_sub_u32_e32 v14, 29, v32
	v_and_b32_e32 v30, 7, v30
	v_cmp_gt_u32_e32 vcc, 8, v28
	v_cndmask_b32_e32 v14, v29, v14, vcc
	v_cndmask_b32_e32 v16, v16, v30, vcc
	v_lshlrev_b32_e32 v28, 16, v17
	v_bfrev_b32_e32 v29, 60
	v_lshlrev_b32_e32 v16, 20, v16
	v_and_b32_e32 v28, 0x80000000, v28
	v_lshl_add_u32 v14, v14, 23, v29
	v_or3_b32 v14, v28, v14, v16
	v_lshrrev_b32_e32 v16, 16, v14
.LBB880_483:
	s_or_b64 exec, exec, s[10:11]
.LBB880_484:
	s_or_b64 exec, exec, s[8:9]
.LBB880_485:
	s_or_b64 exec, exec, s[2:3]
	s_movk_i32 s2, 0xff
	v_and_b32_sdwa v30, v17, s2 dst_sel:DWORD dst_unused:UNUSED_PAD src0_sel:WORD_1 src1_sel:DWORD
	v_lshrrev_b32_e32 v14, 16, v17
	v_cmp_ne_u16_e32 vcc, 0, v30
	v_mov_b32_e32 v28, 0
	v_mov_b32_e32 v29, 0
	s_and_saveexec_b64 s[2:3], vcc
	s_cbranch_execz .LBB880_491
; %bb.486:
	s_movk_i32 s7, 0x80
	v_cmp_ne_u16_e32 vcc, s7, v30
	v_mov_b32_e32 v29, 0xffff8000
	s_and_saveexec_b64 s[8:9], vcc
	s_cbranch_execz .LBB880_490
; %bb.487:
	v_bfe_u32 v30, v17, 16, 7
	s_movk_i32 s7, 0x7f
	v_cmp_ne_u32_e32 vcc, s7, v30
	v_mov_b32_e32 v29, 0x7f80
	s_and_saveexec_b64 s[10:11], vcc
	s_cbranch_execz .LBB880_489
; %bb.488:
	v_and_b32_e32 v29, 7, v14
	v_ffbh_u32_e32 v32, v29
	v_min_u32_e32 v34, 32, v32
	v_subrev_u32_e32 v32, 28, v34
	v_lshlrev_b64 v[32:33], v32, v[14:15]
	v_lshrrev_b32_e32 v31, 3, v30
	v_sub_u32_e32 v14, 29, v34
	v_and_b32_e32 v32, 7, v32
	v_cmp_gt_u32_e32 vcc, 8, v30
	v_mov_b32_e32 v30, 24
	v_cndmask_b32_e32 v14, v31, v14, vcc
	v_cndmask_b32_e32 v29, v29, v32, vcc
	v_lshlrev_b32_sdwa v30, v30, v17 dst_sel:DWORD dst_unused:UNUSED_PAD src0_sel:DWORD src1_sel:WORD_1
	v_bfrev_b32_e32 v31, 60
	v_lshlrev_b32_e32 v29, 20, v29
	v_and_b32_e32 v30, 0x80000000, v30
	v_lshl_add_u32 v14, v14, 23, v31
	v_or3_b32 v14, v30, v14, v29
	v_lshrrev_b32_e32 v29, 16, v14
.LBB880_489:
	s_or_b64 exec, exec, s[10:11]
.LBB880_490:
	s_or_b64 exec, exec, s[8:9]
.LBB880_491:
	s_or_b64 exec, exec, s[2:3]
	s_mov_b32 s2, 0xffffff
	v_cmp_lt_u32_e32 vcc, s2, v17
	s_and_saveexec_b64 s[2:3], vcc
	s_cbranch_execz .LBB880_497
; %bb.492:
	v_lshrrev_b32_e32 v14, 24, v17
	s_movk_i32 s7, 0x80
	v_cmp_ne_u32_e32 vcc, s7, v14
	v_mov_b32_e32 v28, 0xffff8000
	s_and_saveexec_b64 s[8:9], vcc
	s_cbranch_execz .LBB880_496
; %bb.493:
	v_bfe_u32 v17, v17, 24, 7
	s_movk_i32 s7, 0x7f
	v_cmp_ne_u32_e32 vcc, s7, v17
	v_mov_b32_e32 v28, 0x7f80
	s_and_saveexec_b64 s[10:11], vcc
	s_cbranch_execz .LBB880_495
; %bb.494:
	v_and_b32_e32 v28, 7, v14
	v_ffbh_u32_e32 v30, v28
	v_min_u32_e32 v33, 32, v30
	v_subrev_u32_e32 v30, 28, v33
	v_lshlrev_b64 v[30:31], v30, v[14:15]
	v_lshrrev_b32_e32 v32, 3, v17
	v_sub_u32_e32 v31, 29, v33
	v_and_b32_e32 v30, 7, v30
	v_cmp_gt_u32_e32 vcc, 8, v17
	v_cndmask_b32_e32 v17, v32, v31, vcc
	v_cndmask_b32_e32 v28, v28, v30, vcc
	v_lshlrev_b32_e32 v14, 24, v14
	v_bfrev_b32_e32 v30, 60
	v_lshlrev_b32_e32 v28, 20, v28
	v_and_b32_e32 v14, 0x80000000, v14
	v_lshl_add_u32 v17, v17, 23, v30
	v_or3_b32 v14, v14, v17, v28
	v_lshrrev_b32_e32 v28, 16, v14
.LBB880_495:
	s_or_b64 exec, exec, s[10:11]
.LBB880_496:
	s_or_b64 exec, exec, s[8:9]
.LBB880_497:
	s_or_b64 exec, exec, s[2:3]
	s_mov_b32 s2, 0x5040100
	v_perm_b32 v25, v24, v25, s2
	v_perm_b32 v24, v15, v23, s2
	ds_read_b128 v[30:33], v22 offset:16
	v_perm_b32 v15, v28, v29, s2
	v_perm_b32 v14, v16, v27, s2
	s_waitcnt lgkmcnt(0)
	v_mfma_f32_16x16x16bf16_1k v[34:37], v[24:25], v[30:31], v[18:21]
	s_nop 6
	v_mov_b32_e32 v19, 0
	s_waitcnt vmcnt(2)
	v_cmp_ne_u16_sdwa s[8:9], v10, v19 src0_sel:BYTE_0 src1_sel:DWORD
	v_mfma_f32_16x16x16bf16_1k v[14:17], v[14:15], v[32:33], v[34:37]
	v_mov_b32_e32 v20, 0
	s_and_saveexec_b64 s[2:3], s[8:9]
	s_cbranch_execz .LBB880_503
; %bb.498:
	s_movk_i32 s7, 0x80
	v_cmp_ne_u16_sdwa s[10:11], v10, s7 src0_sel:BYTE_0 src1_sel:DWORD
	v_mov_b32_e32 v20, 0xffff8000
	s_and_saveexec_b64 s[8:9], s[10:11]
	s_cbranch_execz .LBB880_502
; %bb.499:
	s_movk_i32 s7, 0x7f
	v_and_b32_e32 v18, 0x7f, v10
	v_cmp_ne_u32_e32 vcc, s7, v18
	v_mov_b32_e32 v20, 0x7f80
	s_and_saveexec_b64 s[10:11], vcc
	s_cbranch_execz .LBB880_501
; %bb.500:
	v_and_b32_e32 v23, 7, v10
	v_ffbh_u32_e32 v20, v23
	v_min_u32_e32 v25, 32, v20
	v_subrev_u32_e32 v20, 28, v25
	v_lshlrev_b64 v[20:21], v20, v[10:11]
	v_lshrrev_b32_e32 v24, 3, v18
	v_sub_u32_e32 v21, 29, v25
	v_and_b32_e32 v20, 7, v20
	v_cmp_gt_u32_e32 vcc, 8, v18
	v_cndmask_b32_e32 v18, v24, v21, vcc
	v_cndmask_b32_e32 v20, v23, v20, vcc
	v_lshlrev_b32_e32 v21, 24, v10
	v_bfrev_b32_e32 v23, 60
	v_lshlrev_b32_e32 v20, 20, v20
	v_and_b32_e32 v21, 0x80000000, v21
	v_lshl_add_u32 v18, v18, 23, v23
	v_or3_b32 v18, v21, v18, v20
	v_lshrrev_b32_e32 v20, 16, v18
.LBB880_501:
	s_or_b64 exec, exec, s[10:11]
.LBB880_502:
	s_or_b64 exec, exec, s[8:9]
.LBB880_503:
	s_or_b64 exec, exec, s[2:3]
	v_lshrrev_b16_e32 v18, 8, v10
	v_cmp_ne_u16_e32 vcc, 0, v18
	s_and_saveexec_b64 s[2:3], vcc
	s_cbranch_execz .LBB880_509
; %bb.504:
	s_movk_i32 s7, 0x80
	v_cmp_ne_u16_e32 vcc, s7, v18
	v_mov_b32_e32 v19, 0xffff8000
	s_and_saveexec_b64 s[8:9], vcc
	s_cbranch_execz .LBB880_508
; %bb.505:
	s_movk_i32 s7, 0x7f
	v_and_b32_e32 v21, 0x7f, v18
	v_cmp_ne_u32_e32 vcc, s7, v21
	v_mov_b32_e32 v19, 0x7f80
	s_and_saveexec_b64 s[10:11], vcc
	s_cbranch_execz .LBB880_507
; %bb.506:
	v_and_b32_e32 v23, 7, v18
	v_ffbh_u32_e32 v19, v23
	v_min_u32_e32 v25, 32, v19
	v_subrev_u32_e32 v19, 28, v25
	v_lshlrev_b64 v[18:19], v19, v[18:19]
	v_lshrrev_b32_e32 v24, 3, v21
	v_sub_u32_e32 v19, 29, v25
	v_and_b32_e32 v18, 7, v18
	v_cmp_gt_u32_e32 vcc, 8, v21
	v_cndmask_b32_e32 v19, v24, v19, vcc
	v_cndmask_b32_e32 v18, v23, v18, vcc
	v_lshlrev_b32_e32 v21, 16, v10
	v_bfrev_b32_e32 v23, 60
	v_lshlrev_b32_e32 v18, 20, v18
	v_and_b32_e32 v21, 0x80000000, v21
	v_lshl_add_u32 v19, v19, 23, v23
	v_or3_b32 v18, v21, v19, v18
	v_lshrrev_b32_e32 v19, 16, v18
.LBB880_507:
	s_or_b64 exec, exec, s[10:11]
.LBB880_508:
	s_or_b64 exec, exec, s[8:9]
.LBB880_509:
	s_or_b64 exec, exec, s[2:3]
	s_movk_i32 s2, 0xff
	v_and_b32_sdwa v24, v10, s2 dst_sel:DWORD dst_unused:UNUSED_PAD src0_sel:WORD_1 src1_sel:DWORD
	v_lshrrev_b32_e32 v18, 16, v10
	v_cmp_ne_u16_e32 vcc, 0, v24
	v_mov_b32_e32 v21, 0
	v_mov_b32_e32 v23, 0
	s_and_saveexec_b64 s[2:3], vcc
	s_cbranch_execz .LBB880_515
; %bb.510:
	s_movk_i32 s7, 0x80
	v_cmp_ne_u16_e32 vcc, s7, v24
	v_mov_b32_e32 v23, 0xffff8000
	s_and_saveexec_b64 s[8:9], vcc
	s_cbranch_execz .LBB880_514
; %bb.511:
	v_bfe_u32 v24, v10, 16, 7
	s_movk_i32 s7, 0x7f
	v_cmp_ne_u32_e32 vcc, s7, v24
	v_mov_b32_e32 v23, 0x7f80
	s_and_saveexec_b64 s[10:11], vcc
	s_cbranch_execz .LBB880_513
; %bb.512:
	v_and_b32_e32 v23, 7, v18
	v_ffbh_u32_e32 v27, v23
	v_min_u32_e32 v27, 32, v27
	v_subrev_u32_e32 v28, 28, v27
	v_lshlrev_b64 v[28:29], v28, v[18:19]
	v_lshrrev_b32_e32 v25, 3, v24
	v_sub_u32_e32 v18, 29, v27
	v_and_b32_e32 v27, 7, v28
	v_cmp_gt_u32_e32 vcc, 8, v24
	v_mov_b32_e32 v24, 24
	v_cndmask_b32_e32 v18, v25, v18, vcc
	v_cndmask_b32_e32 v23, v23, v27, vcc
	v_lshlrev_b32_sdwa v24, v24, v10 dst_sel:DWORD dst_unused:UNUSED_PAD src0_sel:DWORD src1_sel:WORD_1
	v_bfrev_b32_e32 v25, 60
	v_lshlrev_b32_e32 v23, 20, v23
	v_and_b32_e32 v24, 0x80000000, v24
	v_lshl_add_u32 v18, v18, 23, v25
	v_or3_b32 v18, v24, v18, v23
	v_lshrrev_b32_e32 v23, 16, v18
.LBB880_513:
	s_or_b64 exec, exec, s[10:11]
.LBB880_514:
	s_or_b64 exec, exec, s[8:9]
.LBB880_515:
	s_or_b64 exec, exec, s[2:3]
	s_mov_b32 s2, 0xffffff
	v_cmp_lt_u32_e32 vcc, s2, v10
	s_and_saveexec_b64 s[2:3], vcc
	s_cbranch_execz .LBB880_521
; %bb.516:
	v_lshrrev_b32_e32 v18, 24, v10
	s_movk_i32 s7, 0x80
	v_cmp_ne_u32_e32 vcc, s7, v18
	v_mov_b32_e32 v21, 0xffff8000
	s_and_saveexec_b64 s[8:9], vcc
	s_cbranch_execz .LBB880_520
; %bb.517:
	v_bfe_u32 v10, v10, 24, 7
	s_movk_i32 s7, 0x7f
	v_cmp_ne_u32_e32 vcc, s7, v10
	v_mov_b32_e32 v21, 0x7f80
	s_and_saveexec_b64 s[10:11], vcc
	s_cbranch_execz .LBB880_519
; %bb.518:
	v_and_b32_e32 v21, 7, v18
	v_ffbh_u32_e32 v24, v21
	v_min_u32_e32 v28, 32, v24
	v_subrev_u32_e32 v24, 28, v28
	v_lshlrev_b64 v[24:25], v24, v[18:19]
	v_lshrrev_b32_e32 v27, 3, v10
	v_sub_u32_e32 v25, 29, v28
	v_and_b32_e32 v24, 7, v24
	v_cmp_gt_u32_e32 vcc, 8, v10
	v_cndmask_b32_e32 v10, v27, v25, vcc
	v_cndmask_b32_e32 v21, v21, v24, vcc
	v_lshlrev_b32_e32 v18, 24, v18
	v_bfrev_b32_e32 v24, 60
	v_lshlrev_b32_e32 v21, 20, v21
	v_and_b32_e32 v18, 0x80000000, v18
	v_lshl_add_u32 v10, v10, 23, v24
	v_or3_b32 v10, v18, v10, v21
	v_lshrrev_b32_e32 v21, 16, v10
.LBB880_519:
	s_or_b64 exec, exec, s[10:11]
.LBB880_520:
	s_or_b64 exec, exec, s[8:9]
.LBB880_521:
	s_or_b64 exec, exec, s[2:3]
	v_mov_b32_e32 v18, 0
	v_cmp_ne_u16_sdwa s[8:9], v11, v18 src0_sel:BYTE_0 src1_sel:DWORD
	v_mov_b32_e32 v24, 0
	s_and_saveexec_b64 s[2:3], s[8:9]
	s_cbranch_execz .LBB880_527
; %bb.522:
	s_movk_i32 s7, 0x80
	v_cmp_ne_u16_sdwa s[10:11], v11, s7 src0_sel:BYTE_0 src1_sel:DWORD
	v_mov_b32_e32 v24, 0xffff8000
	s_and_saveexec_b64 s[8:9], s[10:11]
	s_cbranch_execz .LBB880_526
; %bb.523:
	s_movk_i32 s7, 0x7f
	v_and_b32_e32 v10, 0x7f, v11
	v_cmp_ne_u32_e32 vcc, s7, v10
	v_mov_b32_e32 v24, 0x7f80
	s_and_saveexec_b64 s[10:11], vcc
	s_cbranch_execz .LBB880_525
; %bb.524:
	v_and_b32_e32 v27, 7, v11
	v_ffbh_u32_e32 v25, v27
	v_min_u32_e32 v29, 32, v25
	v_mov_b32_e32 v24, v11
	v_subrev_u32_e32 v25, 28, v29
	v_lshlrev_b64 v[24:25], v25, v[24:25]
	v_lshrrev_b32_e32 v28, 3, v10
	v_sub_u32_e32 v25, 29, v29
	v_and_b32_e32 v24, 7, v24
	v_cmp_gt_u32_e32 vcc, 8, v10
	v_cndmask_b32_e32 v10, v28, v25, vcc
	v_cndmask_b32_e32 v24, v27, v24, vcc
	v_lshlrev_b32_e32 v25, 24, v11
	v_bfrev_b32_e32 v27, 60
	v_lshlrev_b32_e32 v24, 20, v24
	v_and_b32_e32 v25, 0x80000000, v25
	v_lshl_add_u32 v10, v10, 23, v27
	v_or3_b32 v10, v25, v10, v24
	v_lshrrev_b32_e32 v24, 16, v10
.LBB880_525:
	s_or_b64 exec, exec, s[10:11]
.LBB880_526:
	s_or_b64 exec, exec, s[8:9]
.LBB880_527:
	s_or_b64 exec, exec, s[2:3]
	v_lshrrev_b16_e32 v10, 8, v11
	v_cmp_ne_u16_e32 vcc, 0, v10
	s_and_saveexec_b64 s[2:3], vcc
	s_cbranch_execz .LBB880_533
; %bb.528:
	s_movk_i32 s7, 0x80
	v_cmp_ne_u16_e32 vcc, s7, v10
	v_mov_b32_e32 v18, 0xffff8000
	s_and_saveexec_b64 s[8:9], vcc
	s_cbranch_execz .LBB880_532
; %bb.529:
	s_movk_i32 s7, 0x7f
	v_and_b32_e32 v25, 0x7f, v10
	v_cmp_ne_u32_e32 vcc, s7, v25
	v_mov_b32_e32 v18, 0x7f80
	s_and_saveexec_b64 s[10:11], vcc
	s_cbranch_execz .LBB880_531
; %bb.530:
	v_and_b32_e32 v18, 7, v10
	v_ffbh_u32_e32 v28, v18
	v_min_u32_e32 v30, 32, v28
	v_subrev_u32_e32 v28, 28, v30
	v_lshlrev_b64 v[28:29], v28, v[10:11]
	v_lshrrev_b32_e32 v27, 3, v25
	v_sub_u32_e32 v10, 29, v30
	v_and_b32_e32 v28, 7, v28
	v_cmp_gt_u32_e32 vcc, 8, v25
	v_cndmask_b32_e32 v10, v27, v10, vcc
	v_cndmask_b32_e32 v18, v18, v28, vcc
	v_lshlrev_b32_e32 v25, 16, v11
	v_bfrev_b32_e32 v27, 60
	v_lshlrev_b32_e32 v18, 20, v18
	v_and_b32_e32 v25, 0x80000000, v25
	v_lshl_add_u32 v10, v10, 23, v27
	v_or3_b32 v10, v25, v10, v18
	v_lshrrev_b32_e32 v18, 16, v10
.LBB880_531:
	s_or_b64 exec, exec, s[10:11]
.LBB880_532:
	s_or_b64 exec, exec, s[8:9]
.LBB880_533:
	s_or_b64 exec, exec, s[2:3]
	s_movk_i32 s2, 0xff
	v_and_b32_sdwa v28, v11, s2 dst_sel:DWORD dst_unused:UNUSED_PAD src0_sel:WORD_1 src1_sel:DWORD
	v_lshrrev_b32_e32 v10, 16, v11
	v_cmp_ne_u16_e32 vcc, 0, v28
	v_mov_b32_e32 v25, 0
	v_mov_b32_e32 v27, 0
	s_and_saveexec_b64 s[2:3], vcc
	s_cbranch_execz .LBB880_539
; %bb.534:
	s_movk_i32 s7, 0x80
	v_cmp_ne_u16_e32 vcc, s7, v28
	v_mov_b32_e32 v27, 0xffff8000
	s_and_saveexec_b64 s[8:9], vcc
	s_cbranch_execz .LBB880_538
; %bb.535:
	v_bfe_u32 v28, v11, 16, 7
	s_movk_i32 s7, 0x7f
	v_cmp_ne_u32_e32 vcc, s7, v28
	v_mov_b32_e32 v27, 0x7f80
	s_and_saveexec_b64 s[10:11], vcc
	s_cbranch_execz .LBB880_537
; %bb.536:
	v_and_b32_e32 v27, 7, v10
	v_ffbh_u32_e32 v30, v27
	v_min_u32_e32 v32, 32, v30
	v_subrev_u32_e32 v30, 28, v32
	v_lshlrev_b64 v[30:31], v30, v[10:11]
	v_lshrrev_b32_e32 v29, 3, v28
	v_sub_u32_e32 v10, 29, v32
	v_and_b32_e32 v30, 7, v30
	v_cmp_gt_u32_e32 vcc, 8, v28
	v_mov_b32_e32 v28, 24
	v_cndmask_b32_e32 v10, v29, v10, vcc
	v_cndmask_b32_e32 v27, v27, v30, vcc
	v_lshlrev_b32_sdwa v28, v28, v11 dst_sel:DWORD dst_unused:UNUSED_PAD src0_sel:DWORD src1_sel:WORD_1
	v_bfrev_b32_e32 v29, 60
	v_lshlrev_b32_e32 v27, 20, v27
	v_and_b32_e32 v28, 0x80000000, v28
	v_lshl_add_u32 v10, v10, 23, v29
	v_or3_b32 v10, v28, v10, v27
	v_lshrrev_b32_e32 v27, 16, v10
.LBB880_537:
	s_or_b64 exec, exec, s[10:11]
.LBB880_538:
	s_or_b64 exec, exec, s[8:9]
.LBB880_539:
	s_or_b64 exec, exec, s[2:3]
	s_mov_b32 s2, 0xffffff
	v_cmp_lt_u32_e32 vcc, s2, v11
	s_and_saveexec_b64 s[2:3], vcc
	s_cbranch_execz .LBB880_545
; %bb.540:
	v_lshrrev_b32_e32 v10, 24, v11
	s_movk_i32 s7, 0x80
	v_cmp_ne_u32_e32 vcc, s7, v10
	v_mov_b32_e32 v25, 0xffff8000
	s_and_saveexec_b64 s[8:9], vcc
	s_cbranch_execz .LBB880_544
; %bb.541:
	v_bfe_u32 v11, v11, 24, 7
	s_movk_i32 s7, 0x7f
	v_cmp_ne_u32_e32 vcc, s7, v11
	v_mov_b32_e32 v25, 0x7f80
	s_and_saveexec_b64 s[10:11], vcc
	s_cbranch_execz .LBB880_543
; %bb.542:
	v_and_b32_e32 v25, 7, v10
	v_ffbh_u32_e32 v28, v25
	v_min_u32_e32 v31, 32, v28
	v_subrev_u32_e32 v28, 28, v31
	v_lshlrev_b64 v[28:29], v28, v[10:11]
	v_lshrrev_b32_e32 v30, 3, v11
	v_sub_u32_e32 v29, 29, v31
	v_and_b32_e32 v28, 7, v28
	v_cmp_gt_u32_e32 vcc, 8, v11
	v_cndmask_b32_e32 v11, v30, v29, vcc
	v_cndmask_b32_e32 v25, v25, v28, vcc
	v_lshlrev_b32_e32 v10, 24, v10
	v_bfrev_b32_e32 v28, 60
	v_lshlrev_b32_e32 v25, 20, v25
	v_and_b32_e32 v10, 0x80000000, v10
	v_lshl_add_u32 v11, v11, 23, v28
	v_or3_b32 v10, v10, v11, v25
	v_lshrrev_b32_e32 v25, 16, v10
.LBB880_543:
	s_or_b64 exec, exec, s[10:11]
.LBB880_544:
	s_or_b64 exec, exec, s[8:9]
.LBB880_545:
	s_or_b64 exec, exec, s[2:3]
	s_mov_b32 s2, 0x5040100
	v_perm_b32 v11, v21, v23, s2
	v_perm_b32 v10, v19, v20, s2
	ds_read_b128 v[28:31], v22 offset:2048
	v_perm_b32 v21, v25, v27, s2
	v_perm_b32 v20, v18, v24, s2
	s_waitcnt lgkmcnt(0)
	v_mfma_f32_16x16x16bf16_1k v[14:17], v[10:11], v[28:29], v[14:17]
	v_mov_b32_e32 v11, 0
	v_cmp_ne_u16_sdwa s[8:9], v12, v11 src0_sel:BYTE_0 src1_sel:DWORD
	v_mov_b32_e32 v18, 0
	v_mfma_f32_16x16x16bf16_1k v[14:17], v[20:21], v[30:31], v[14:17]
	s_and_saveexec_b64 s[2:3], s[8:9]
	s_cbranch_execz .LBB880_551
; %bb.546:
	s_movk_i32 s7, 0x80
	v_cmp_ne_u16_sdwa s[10:11], v12, s7 src0_sel:BYTE_0 src1_sel:DWORD
	v_mov_b32_e32 v18, 0xffff8000
	s_and_saveexec_b64 s[8:9], s[10:11]
	s_cbranch_execz .LBB880_550
; %bb.547:
	s_movk_i32 s7, 0x7f
	v_and_b32_e32 v10, 0x7f, v12
	v_cmp_ne_u32_e32 vcc, s7, v10
	v_mov_b32_e32 v18, 0x7f80
	s_and_saveexec_b64 s[10:11], vcc
	s_cbranch_execz .LBB880_549
; %bb.548:
	v_and_b32_e32 v20, 7, v12
	v_ffbh_u32_e32 v18, v20
	v_min_u32_e32 v23, 32, v18
	v_subrev_u32_e32 v18, 28, v23
	v_lshlrev_b64 v[18:19], v18, v[12:13]
	v_lshrrev_b32_e32 v21, 3, v10
	v_sub_u32_e32 v19, 29, v23
	v_and_b32_e32 v18, 7, v18
	v_cmp_gt_u32_e32 vcc, 8, v10
	v_cndmask_b32_e32 v10, v21, v19, vcc
	v_cndmask_b32_e32 v18, v20, v18, vcc
	v_lshlrev_b32_e32 v19, 24, v12
	v_bfrev_b32_e32 v20, 60
	v_lshlrev_b32_e32 v18, 20, v18
	v_and_b32_e32 v19, 0x80000000, v19
	v_lshl_add_u32 v10, v10, 23, v20
	v_or3_b32 v10, v19, v10, v18
	v_lshrrev_b32_e32 v18, 16, v10
.LBB880_549:
	s_or_b64 exec, exec, s[10:11]
.LBB880_550:
	s_or_b64 exec, exec, s[8:9]
.LBB880_551:
	s_or_b64 exec, exec, s[2:3]
	v_lshrrev_b16_e32 v10, 8, v12
	v_cmp_ne_u16_e32 vcc, 0, v10
	s_and_saveexec_b64 s[2:3], vcc
	s_cbranch_execz .LBB880_557
; %bb.552:
	s_movk_i32 s7, 0x80
	v_cmp_ne_u16_e32 vcc, s7, v10
	v_mov_b32_e32 v11, 0xffff8000
	s_and_saveexec_b64 s[8:9], vcc
	s_cbranch_execz .LBB880_556
; %bb.553:
	s_movk_i32 s7, 0x7f
	v_and_b32_e32 v19, 0x7f, v10
	v_cmp_ne_u32_e32 vcc, s7, v19
	v_mov_b32_e32 v11, 0x7f80
	s_and_saveexec_b64 s[10:11], vcc
	s_cbranch_execz .LBB880_555
; %bb.554:
	v_and_b32_e32 v20, 7, v10
	v_ffbh_u32_e32 v11, v20
	v_min_u32_e32 v23, 32, v11
	v_subrev_u32_e32 v11, 28, v23
	v_lshlrev_b64 v[10:11], v11, v[10:11]
	v_lshrrev_b32_e32 v21, 3, v19
	v_sub_u32_e32 v11, 29, v23
	v_and_b32_e32 v10, 7, v10
	v_cmp_gt_u32_e32 vcc, 8, v19
	v_cndmask_b32_e32 v11, v21, v11, vcc
	v_cndmask_b32_e32 v10, v20, v10, vcc
	v_lshlrev_b32_e32 v19, 16, v12
	v_bfrev_b32_e32 v20, 60
	v_lshlrev_b32_e32 v10, 20, v10
	v_and_b32_e32 v19, 0x80000000, v19
	v_lshl_add_u32 v11, v11, 23, v20
	v_or3_b32 v10, v19, v11, v10
	v_lshrrev_b32_e32 v11, 16, v10
.LBB880_555:
	s_or_b64 exec, exec, s[10:11]
.LBB880_556:
	s_or_b64 exec, exec, s[8:9]
.LBB880_557:
	s_or_b64 exec, exec, s[2:3]
	s_movk_i32 s2, 0xff
	v_and_b32_sdwa v21, v12, s2 dst_sel:DWORD dst_unused:UNUSED_PAD src0_sel:WORD_1 src1_sel:DWORD
	v_lshrrev_b32_e32 v10, 16, v12
	v_cmp_ne_u16_e32 vcc, 0, v21
	v_mov_b32_e32 v19, 0
	v_mov_b32_e32 v20, 0
	s_and_saveexec_b64 s[2:3], vcc
	s_cbranch_execz .LBB880_563
; %bb.558:
	s_movk_i32 s7, 0x80
	v_cmp_ne_u16_e32 vcc, s7, v21
	v_mov_b32_e32 v20, 0xffff8000
	s_and_saveexec_b64 s[8:9], vcc
	s_cbranch_execz .LBB880_562
; %bb.559:
	v_bfe_u32 v21, v12, 16, 7
	s_movk_i32 s7, 0x7f
	v_cmp_ne_u32_e32 vcc, s7, v21
	v_mov_b32_e32 v20, 0x7f80
	s_and_saveexec_b64 s[10:11], vcc
	s_cbranch_execz .LBB880_561
; %bb.560:
	v_and_b32_e32 v20, 7, v10
	v_ffbh_u32_e32 v24, v20
	v_min_u32_e32 v27, 32, v24
	v_subrev_u32_e32 v24, 28, v27
	v_lshlrev_b64 v[24:25], v24, v[10:11]
	v_lshrrev_b32_e32 v23, 3, v21
	v_sub_u32_e32 v10, 29, v27
	v_and_b32_e32 v24, 7, v24
	v_cmp_gt_u32_e32 vcc, 8, v21
	v_mov_b32_e32 v21, 24
	v_cndmask_b32_e32 v10, v23, v10, vcc
	v_cndmask_b32_e32 v20, v20, v24, vcc
	v_lshlrev_b32_sdwa v21, v21, v12 dst_sel:DWORD dst_unused:UNUSED_PAD src0_sel:DWORD src1_sel:WORD_1
	v_bfrev_b32_e32 v23, 60
	v_lshlrev_b32_e32 v20, 20, v20
	v_and_b32_e32 v21, 0x80000000, v21
	v_lshl_add_u32 v10, v10, 23, v23
	v_or3_b32 v10, v21, v10, v20
	v_lshrrev_b32_e32 v20, 16, v10
.LBB880_561:
	s_or_b64 exec, exec, s[10:11]
.LBB880_562:
	s_or_b64 exec, exec, s[8:9]
.LBB880_563:
	s_or_b64 exec, exec, s[2:3]
	s_mov_b32 s2, 0xffffff
	v_cmp_lt_u32_e32 vcc, s2, v12
	s_and_saveexec_b64 s[2:3], vcc
	s_cbranch_execz .LBB880_569
; %bb.564:
	v_lshrrev_b32_e32 v10, 24, v12
	s_movk_i32 s7, 0x80
	v_cmp_ne_u32_e32 vcc, s7, v10
	v_mov_b32_e32 v19, 0xffff8000
	s_and_saveexec_b64 s[8:9], vcc
	s_cbranch_execz .LBB880_568
; %bb.565:
	v_bfe_u32 v12, v12, 24, 7
	s_movk_i32 s7, 0x7f
	v_cmp_ne_u32_e32 vcc, s7, v12
	v_mov_b32_e32 v19, 0x7f80
	s_and_saveexec_b64 s[10:11], vcc
	s_cbranch_execz .LBB880_567
; %bb.566:
	v_and_b32_e32 v19, 7, v10
	v_ffbh_u32_e32 v23, v19
	v_min_u32_e32 v23, 32, v23
	v_subrev_u32_e32 v24, 28, v23
	v_lshlrev_b64 v[24:25], v24, v[10:11]
	v_lshrrev_b32_e32 v21, 3, v12
	v_sub_u32_e32 v23, 29, v23
	v_and_b32_e32 v24, 7, v24
	v_cmp_gt_u32_e32 vcc, 8, v12
	v_cndmask_b32_e32 v12, v21, v23, vcc
	v_cndmask_b32_e32 v19, v19, v24, vcc
	v_lshlrev_b32_e32 v10, 24, v10
	v_bfrev_b32_e32 v21, 60
	v_lshlrev_b32_e32 v19, 20, v19
	v_and_b32_e32 v10, 0x80000000, v10
	v_lshl_add_u32 v12, v12, 23, v21
	v_or3_b32 v10, v10, v12, v19
	v_lshrrev_b32_e32 v19, 16, v10
.LBB880_567:
	s_or_b64 exec, exec, s[10:11]
.LBB880_568:
	s_or_b64 exec, exec, s[8:9]
.LBB880_569:
	s_or_b64 exec, exec, s[2:3]
	v_mov_b32_e32 v12, 0
	v_cmp_ne_u16_sdwa s[8:9], v13, v12 src0_sel:BYTE_0 src1_sel:DWORD
	v_mov_b32_e32 v21, 0
	s_and_saveexec_b64 s[2:3], s[8:9]
	s_cbranch_execz .LBB880_575
; %bb.570:
	s_movk_i32 s7, 0x80
	v_cmp_ne_u16_sdwa s[10:11], v13, s7 src0_sel:BYTE_0 src1_sel:DWORD
	v_mov_b32_e32 v21, 0xffff8000
	s_and_saveexec_b64 s[8:9], s[10:11]
	s_cbranch_execz .LBB880_574
; %bb.571:
	s_movk_i32 s7, 0x7f
	v_and_b32_e32 v10, 0x7f, v13
	v_cmp_ne_u32_e32 vcc, s7, v10
	v_mov_b32_e32 v21, 0x7f80
	s_and_saveexec_b64 s[10:11], vcc
	s_cbranch_execz .LBB880_573
; %bb.572:
	v_and_b32_e32 v21, 7, v13
	v_ffbh_u32_e32 v25, v21
	v_min_u32_e32 v27, 32, v25
	v_mov_b32_e32 v24, v13
	v_subrev_u32_e32 v25, 28, v27
	v_lshlrev_b64 v[24:25], v25, v[24:25]
	v_lshrrev_b32_e32 v23, 3, v10
	v_sub_u32_e32 v25, 29, v27
	v_and_b32_e32 v24, 7, v24
	v_cmp_gt_u32_e32 vcc, 8, v10
	v_cndmask_b32_e32 v10, v23, v25, vcc
	v_cndmask_b32_e32 v21, v21, v24, vcc
	v_lshlrev_b32_e32 v23, 24, v13
	v_bfrev_b32_e32 v24, 60
	v_lshlrev_b32_e32 v21, 20, v21
	v_and_b32_e32 v23, 0x80000000, v23
	v_lshl_add_u32 v10, v10, 23, v24
	v_or3_b32 v10, v23, v10, v21
	v_lshrrev_b32_e32 v21, 16, v10
.LBB880_573:
	s_or_b64 exec, exec, s[10:11]
.LBB880_574:
	s_or_b64 exec, exec, s[8:9]
.LBB880_575:
	s_or_b64 exec, exec, s[2:3]
	v_lshrrev_b16_e32 v10, 8, v13
	v_cmp_ne_u16_e32 vcc, 0, v10
	s_and_saveexec_b64 s[2:3], vcc
	s_cbranch_execz .LBB880_581
; %bb.576:
	s_movk_i32 s7, 0x80
	v_cmp_ne_u16_e32 vcc, s7, v10
	v_mov_b32_e32 v12, 0xffff8000
	s_and_saveexec_b64 s[8:9], vcc
	s_cbranch_execz .LBB880_580
; %bb.577:
	s_movk_i32 s7, 0x7f
	v_and_b32_e32 v23, 0x7f, v10
	v_cmp_ne_u32_e32 vcc, s7, v23
	v_mov_b32_e32 v12, 0x7f80
	s_and_saveexec_b64 s[10:11], vcc
	s_cbranch_execz .LBB880_579
; %bb.578:
	v_and_b32_e32 v12, 7, v10
	v_ffbh_u32_e32 v24, v12
	v_min_u32_e32 v28, 32, v24
	v_subrev_u32_e32 v24, 28, v28
	v_lshlrev_b64 v[24:25], v24, v[10:11]
	v_lshrrev_b32_e32 v27, 3, v23
	v_sub_u32_e32 v10, 29, v28
	v_and_b32_e32 v24, 7, v24
	v_cmp_gt_u32_e32 vcc, 8, v23
	v_cndmask_b32_e32 v10, v27, v10, vcc
	v_cndmask_b32_e32 v12, v12, v24, vcc
	v_lshlrev_b32_e32 v23, 16, v13
	v_bfrev_b32_e32 v24, 60
	v_lshlrev_b32_e32 v12, 20, v12
	v_and_b32_e32 v23, 0x80000000, v23
	v_lshl_add_u32 v10, v10, 23, v24
	v_or3_b32 v10, v23, v10, v12
	v_lshrrev_b32_e32 v12, 16, v10
.LBB880_579:
	s_or_b64 exec, exec, s[10:11]
.LBB880_580:
	s_or_b64 exec, exec, s[8:9]
.LBB880_581:
	s_or_b64 exec, exec, s[2:3]
	s_movk_i32 s2, 0xff
	v_and_b32_sdwa v25, v13, s2 dst_sel:DWORD dst_unused:UNUSED_PAD src0_sel:WORD_1 src1_sel:DWORD
	v_lshrrev_b32_e32 v10, 16, v13
	v_cmp_ne_u16_e32 vcc, 0, v25
	v_mov_b32_e32 v23, 0
	v_mov_b32_e32 v24, 0
	s_and_saveexec_b64 s[2:3], vcc
	s_cbranch_execz .LBB880_587
; %bb.582:
	s_movk_i32 s7, 0x80
	v_cmp_ne_u16_e32 vcc, s7, v25
	v_mov_b32_e32 v24, 0xffff8000
	s_and_saveexec_b64 s[8:9], vcc
	s_cbranch_execz .LBB880_586
; %bb.583:
	v_bfe_u32 v25, v13, 16, 7
	s_movk_i32 s7, 0x7f
	v_cmp_ne_u32_e32 vcc, s7, v25
	v_mov_b32_e32 v24, 0x7f80
	s_and_saveexec_b64 s[10:11], vcc
	s_cbranch_execz .LBB880_585
; %bb.584:
	v_and_b32_e32 v24, 7, v10
	v_ffbh_u32_e32 v28, v24
	v_min_u32_e32 v30, 32, v28
	v_subrev_u32_e32 v28, 28, v30
	v_lshlrev_b64 v[28:29], v28, v[10:11]
	v_lshrrev_b32_e32 v27, 3, v25
	v_sub_u32_e32 v10, 29, v30
	v_and_b32_e32 v28, 7, v28
	v_cmp_gt_u32_e32 vcc, 8, v25
	v_mov_b32_e32 v25, 24
	v_cndmask_b32_e32 v10, v27, v10, vcc
	v_cndmask_b32_e32 v24, v24, v28, vcc
	v_lshlrev_b32_sdwa v25, v25, v13 dst_sel:DWORD dst_unused:UNUSED_PAD src0_sel:DWORD src1_sel:WORD_1
	v_bfrev_b32_e32 v27, 60
	v_lshlrev_b32_e32 v24, 20, v24
	v_and_b32_e32 v25, 0x80000000, v25
	v_lshl_add_u32 v10, v10, 23, v27
	v_or3_b32 v10, v25, v10, v24
	v_lshrrev_b32_e32 v24, 16, v10
.LBB880_585:
	s_or_b64 exec, exec, s[10:11]
.LBB880_586:
	s_or_b64 exec, exec, s[8:9]
.LBB880_587:
	s_or_b64 exec, exec, s[2:3]
	s_mov_b32 s2, 0xffffff
	v_cmp_lt_u32_e32 vcc, s2, v13
	s_and_saveexec_b64 s[2:3], vcc
	s_cbranch_execz .LBB880_593
; %bb.588:
	v_lshrrev_b32_e32 v10, 24, v13
	s_movk_i32 s7, 0x80
	v_cmp_ne_u32_e32 vcc, s7, v10
	v_mov_b32_e32 v23, 0xffff8000
	s_and_saveexec_b64 s[8:9], vcc
	s_cbranch_execz .LBB880_592
; %bb.589:
	v_bfe_u32 v13, v13, 24, 7
	s_movk_i32 s7, 0x7f
	v_cmp_ne_u32_e32 vcc, s7, v13
	v_mov_b32_e32 v23, 0x7f80
	s_and_saveexec_b64 s[10:11], vcc
	s_cbranch_execz .LBB880_591
; %bb.590:
	v_and_b32_e32 v23, 7, v10
	v_ffbh_u32_e32 v27, v23
	v_min_u32_e32 v27, 32, v27
	v_subrev_u32_e32 v28, 28, v27
	v_lshlrev_b64 v[28:29], v28, v[10:11]
	v_lshrrev_b32_e32 v25, 3, v13
	v_sub_u32_e32 v27, 29, v27
	v_and_b32_e32 v28, 7, v28
	v_cmp_gt_u32_e32 vcc, 8, v13
	v_cndmask_b32_e32 v13, v25, v27, vcc
	v_cndmask_b32_e32 v23, v23, v28, vcc
	v_lshlrev_b32_e32 v10, 24, v10
	v_bfrev_b32_e32 v25, 60
	v_lshlrev_b32_e32 v23, 20, v23
	v_and_b32_e32 v10, 0x80000000, v10
	v_lshl_add_u32 v13, v13, 23, v25
	v_or3_b32 v10, v10, v13, v23
	v_lshrrev_b32_e32 v23, 16, v10
.LBB880_591:
	s_or_b64 exec, exec, s[10:11]
.LBB880_592:
	s_or_b64 exec, exec, s[8:9]
.LBB880_593:
	s_or_b64 exec, exec, s[2:3]
	s_mov_b32 s2, 0x5040100
	v_perm_b32 v19, v19, v20, s2
	v_perm_b32 v18, v11, v18, s2
	ds_read_b128 v[28:31], v22 offset:2064
	v_perm_b32 v11, v23, v24, s2
	v_perm_b32 v10, v12, v21, s2
	s_waitcnt lgkmcnt(0)
	v_mfma_f32_16x16x16bf16_1k v[32:35], v[18:19], v[28:29], v[14:17]
	s_nop 6
	v_mov_b32_e32 v15, 0
	s_waitcnt vmcnt(1)
	v_cmp_ne_u16_sdwa s[8:9], v6, v15 src0_sel:BYTE_0 src1_sel:DWORD
	v_mfma_f32_16x16x16bf16_1k v[10:13], v[10:11], v[30:31], v[32:35]
	v_mov_b32_e32 v16, 0
	s_and_saveexec_b64 s[2:3], s[8:9]
	s_cbranch_execz .LBB880_599
; %bb.594:
	s_movk_i32 s7, 0x80
	v_cmp_ne_u16_sdwa s[10:11], v6, s7 src0_sel:BYTE_0 src1_sel:DWORD
	v_mov_b32_e32 v16, 0xffff8000
	s_and_saveexec_b64 s[8:9], s[10:11]
	s_cbranch_execz .LBB880_598
; %bb.595:
	s_movk_i32 s7, 0x7f
	v_and_b32_e32 v14, 0x7f, v6
	v_cmp_ne_u32_e32 vcc, s7, v14
	v_mov_b32_e32 v16, 0x7f80
	s_and_saveexec_b64 s[10:11], vcc
	s_cbranch_execz .LBB880_597
; %bb.596:
	v_and_b32_e32 v18, 7, v6
	v_ffbh_u32_e32 v16, v18
	v_min_u32_e32 v20, 32, v16
	v_subrev_u32_e32 v16, 28, v20
	v_lshlrev_b64 v[16:17], v16, v[6:7]
	v_lshrrev_b32_e32 v19, 3, v14
	v_sub_u32_e32 v17, 29, v20
	v_and_b32_e32 v16, 7, v16
	v_cmp_gt_u32_e32 vcc, 8, v14
	v_cndmask_b32_e32 v14, v19, v17, vcc
	v_cndmask_b32_e32 v16, v18, v16, vcc
	v_lshlrev_b32_e32 v17, 24, v6
	v_bfrev_b32_e32 v18, 60
	v_lshlrev_b32_e32 v16, 20, v16
	v_and_b32_e32 v17, 0x80000000, v17
	v_lshl_add_u32 v14, v14, 23, v18
	v_or3_b32 v14, v17, v14, v16
	v_lshrrev_b32_e32 v16, 16, v14
.LBB880_597:
	s_or_b64 exec, exec, s[10:11]
.LBB880_598:
	s_or_b64 exec, exec, s[8:9]
.LBB880_599:
	s_or_b64 exec, exec, s[2:3]
	v_lshrrev_b16_e32 v14, 8, v6
	v_cmp_ne_u16_e32 vcc, 0, v14
	s_and_saveexec_b64 s[2:3], vcc
	s_cbranch_execz .LBB880_605
; %bb.600:
	s_movk_i32 s7, 0x80
	v_cmp_ne_u16_e32 vcc, s7, v14
	v_mov_b32_e32 v15, 0xffff8000
	s_and_saveexec_b64 s[8:9], vcc
	s_cbranch_execz .LBB880_604
; %bb.601:
	s_movk_i32 s7, 0x7f
	v_and_b32_e32 v17, 0x7f, v14
	v_cmp_ne_u32_e32 vcc, s7, v17
	v_mov_b32_e32 v15, 0x7f80
	s_and_saveexec_b64 s[10:11], vcc
	s_cbranch_execz .LBB880_603
; %bb.602:
	v_and_b32_e32 v18, 7, v14
	v_ffbh_u32_e32 v15, v18
	v_min_u32_e32 v20, 32, v15
	v_subrev_u32_e32 v15, 28, v20
	v_lshlrev_b64 v[14:15], v15, v[14:15]
	v_lshrrev_b32_e32 v19, 3, v17
	v_sub_u32_e32 v15, 29, v20
	v_and_b32_e32 v14, 7, v14
	v_cmp_gt_u32_e32 vcc, 8, v17
	v_cndmask_b32_e32 v15, v19, v15, vcc
	v_cndmask_b32_e32 v14, v18, v14, vcc
	v_lshlrev_b32_e32 v17, 16, v6
	v_bfrev_b32_e32 v18, 60
	v_lshlrev_b32_e32 v14, 20, v14
	v_and_b32_e32 v17, 0x80000000, v17
	v_lshl_add_u32 v15, v15, 23, v18
	v_or3_b32 v14, v17, v15, v14
	v_lshrrev_b32_e32 v15, 16, v14
.LBB880_603:
	s_or_b64 exec, exec, s[10:11]
.LBB880_604:
	s_or_b64 exec, exec, s[8:9]
.LBB880_605:
	s_or_b64 exec, exec, s[2:3]
	s_movk_i32 s2, 0xff
	v_and_b32_sdwa v19, v6, s2 dst_sel:DWORD dst_unused:UNUSED_PAD src0_sel:WORD_1 src1_sel:DWORD
	v_lshrrev_b32_e32 v14, 16, v6
	v_cmp_ne_u16_e32 vcc, 0, v19
	v_mov_b32_e32 v17, 0
	v_mov_b32_e32 v18, 0
	s_and_saveexec_b64 s[2:3], vcc
	s_cbranch_execz .LBB880_611
; %bb.606:
	s_movk_i32 s7, 0x80
	v_cmp_ne_u16_e32 vcc, s7, v19
	v_mov_b32_e32 v18, 0xffff8000
	s_and_saveexec_b64 s[8:9], vcc
	s_cbranch_execz .LBB880_610
; %bb.607:
	v_bfe_u32 v19, v6, 16, 7
	s_movk_i32 s7, 0x7f
	v_cmp_ne_u32_e32 vcc, s7, v19
	v_mov_b32_e32 v18, 0x7f80
	s_and_saveexec_b64 s[10:11], vcc
	s_cbranch_execz .LBB880_609
; %bb.608:
	v_and_b32_e32 v18, 7, v14
	v_ffbh_u32_e32 v20, v18
	v_min_u32_e32 v24, 32, v20
	v_subrev_u32_e32 v20, 28, v24
	v_lshlrev_b64 v[20:21], v20, v[14:15]
	v_lshrrev_b32_e32 v23, 3, v19
	v_sub_u32_e32 v14, 29, v24
	v_and_b32_e32 v20, 7, v20
	v_cmp_gt_u32_e32 vcc, 8, v19
	v_mov_b32_e32 v19, 24
	v_cndmask_b32_e32 v14, v23, v14, vcc
	v_cndmask_b32_e32 v18, v18, v20, vcc
	v_lshlrev_b32_sdwa v19, v19, v6 dst_sel:DWORD dst_unused:UNUSED_PAD src0_sel:DWORD src1_sel:WORD_1
	v_bfrev_b32_e32 v20, 60
	v_lshlrev_b32_e32 v18, 20, v18
	v_and_b32_e32 v19, 0x80000000, v19
	v_lshl_add_u32 v14, v14, 23, v20
	v_or3_b32 v14, v19, v14, v18
	v_lshrrev_b32_e32 v18, 16, v14
.LBB880_609:
	s_or_b64 exec, exec, s[10:11]
.LBB880_610:
	s_or_b64 exec, exec, s[8:9]
.LBB880_611:
	s_or_b64 exec, exec, s[2:3]
	s_mov_b32 s2, 0xffffff
	v_cmp_lt_u32_e32 vcc, s2, v6
	s_and_saveexec_b64 s[2:3], vcc
	s_cbranch_execz .LBB880_617
; %bb.612:
	v_lshrrev_b32_e32 v14, 24, v6
	s_movk_i32 s7, 0x80
	v_cmp_ne_u32_e32 vcc, s7, v14
	v_mov_b32_e32 v17, 0xffff8000
	s_and_saveexec_b64 s[8:9], vcc
	s_cbranch_execz .LBB880_616
; %bb.613:
	v_bfe_u32 v6, v6, 24, 7
	s_movk_i32 s7, 0x7f
	v_cmp_ne_u32_e32 vcc, s7, v6
	v_mov_b32_e32 v17, 0x7f80
	s_and_saveexec_b64 s[10:11], vcc
	s_cbranch_execz .LBB880_615
; %bb.614:
	v_and_b32_e32 v17, 7, v14
	v_ffbh_u32_e32 v20, v17
	v_min_u32_e32 v23, 32, v20
	v_subrev_u32_e32 v20, 28, v23
	v_lshlrev_b64 v[20:21], v20, v[14:15]
	v_lshrrev_b32_e32 v19, 3, v6
	v_sub_u32_e32 v21, 29, v23
	v_and_b32_e32 v20, 7, v20
	v_cmp_gt_u32_e32 vcc, 8, v6
	v_cndmask_b32_e32 v6, v19, v21, vcc
	v_cndmask_b32_e32 v17, v17, v20, vcc
	v_lshlrev_b32_e32 v14, 24, v14
	v_bfrev_b32_e32 v19, 60
	v_lshlrev_b32_e32 v17, 20, v17
	v_and_b32_e32 v14, 0x80000000, v14
	v_lshl_add_u32 v6, v6, 23, v19
	v_or3_b32 v6, v14, v6, v17
	v_lshrrev_b32_e32 v17, 16, v6
.LBB880_615:
	s_or_b64 exec, exec, s[10:11]
.LBB880_616:
	s_or_b64 exec, exec, s[8:9]
.LBB880_617:
	s_or_b64 exec, exec, s[2:3]
	v_mov_b32_e32 v14, 0
	v_cmp_ne_u16_sdwa s[8:9], v7, v14 src0_sel:BYTE_0 src1_sel:DWORD
	v_mov_b32_e32 v19, 0
	s_and_saveexec_b64 s[2:3], s[8:9]
	s_cbranch_execz .LBB880_623
; %bb.618:
	s_movk_i32 s7, 0x80
	v_cmp_ne_u16_sdwa s[10:11], v7, s7 src0_sel:BYTE_0 src1_sel:DWORD
	v_mov_b32_e32 v19, 0xffff8000
	s_and_saveexec_b64 s[8:9], s[10:11]
	s_cbranch_execz .LBB880_622
; %bb.619:
	s_movk_i32 s7, 0x7f
	v_and_b32_e32 v6, 0x7f, v7
	v_cmp_ne_u32_e32 vcc, s7, v6
	v_mov_b32_e32 v19, 0x7f80
	s_and_saveexec_b64 s[10:11], vcc
	s_cbranch_execz .LBB880_621
; %bb.620:
	v_and_b32_e32 v19, 7, v7
	v_ffbh_u32_e32 v21, v19
	v_min_u32_e32 v24, 32, v21
	v_mov_b32_e32 v20, v7
	v_subrev_u32_e32 v21, 28, v24
	v_lshlrev_b64 v[20:21], v21, v[20:21]
	v_lshrrev_b32_e32 v23, 3, v6
	v_sub_u32_e32 v21, 29, v24
	v_and_b32_e32 v20, 7, v20
	v_cmp_gt_u32_e32 vcc, 8, v6
	v_cndmask_b32_e32 v6, v23, v21, vcc
	v_cndmask_b32_e32 v19, v19, v20, vcc
	v_lshlrev_b32_e32 v20, 24, v7
	v_bfrev_b32_e32 v21, 60
	v_lshlrev_b32_e32 v19, 20, v19
	v_and_b32_e32 v20, 0x80000000, v20
	v_lshl_add_u32 v6, v6, 23, v21
	v_or3_b32 v6, v20, v6, v19
	v_lshrrev_b32_e32 v19, 16, v6
.LBB880_621:
	s_or_b64 exec, exec, s[10:11]
.LBB880_622:
	s_or_b64 exec, exec, s[8:9]
.LBB880_623:
	s_or_b64 exec, exec, s[2:3]
	v_lshrrev_b16_e32 v6, 8, v7
	v_cmp_ne_u16_e32 vcc, 0, v6
	s_and_saveexec_b64 s[2:3], vcc
	s_cbranch_execz .LBB880_629
; %bb.624:
	s_movk_i32 s7, 0x80
	v_cmp_ne_u16_e32 vcc, s7, v6
	v_mov_b32_e32 v14, 0xffff8000
	s_and_saveexec_b64 s[8:9], vcc
	s_cbranch_execz .LBB880_628
; %bb.625:
	s_movk_i32 s7, 0x7f
	v_and_b32_e32 v20, 0x7f, v6
	v_cmp_ne_u32_e32 vcc, s7, v20
	v_mov_b32_e32 v14, 0x7f80
	s_and_saveexec_b64 s[10:11], vcc
	s_cbranch_execz .LBB880_627
; %bb.626:
	v_and_b32_e32 v14, 7, v6
	v_ffbh_u32_e32 v23, v14
	v_min_u32_e32 v23, 32, v23
	v_subrev_u32_e32 v24, 28, v23
	v_lshlrev_b64 v[24:25], v24, v[6:7]
	v_lshrrev_b32_e32 v21, 3, v20
	v_sub_u32_e32 v6, 29, v23
	v_and_b32_e32 v23, 7, v24
	v_cmp_gt_u32_e32 vcc, 8, v20
	v_cndmask_b32_e32 v6, v21, v6, vcc
	v_cndmask_b32_e32 v14, v14, v23, vcc
	v_lshlrev_b32_e32 v20, 16, v7
	v_bfrev_b32_e32 v21, 60
	v_lshlrev_b32_e32 v14, 20, v14
	v_and_b32_e32 v20, 0x80000000, v20
	v_lshl_add_u32 v6, v6, 23, v21
	v_or3_b32 v6, v20, v6, v14
	v_lshrrev_b32_e32 v14, 16, v6
.LBB880_627:
	s_or_b64 exec, exec, s[10:11]
.LBB880_628:
	s_or_b64 exec, exec, s[8:9]
.LBB880_629:
	s_or_b64 exec, exec, s[2:3]
	s_movk_i32 s2, 0xff
	v_and_b32_sdwa v23, v7, s2 dst_sel:DWORD dst_unused:UNUSED_PAD src0_sel:WORD_1 src1_sel:DWORD
	v_lshrrev_b32_e32 v6, 16, v7
	v_cmp_ne_u16_e32 vcc, 0, v23
	v_mov_b32_e32 v20, 0
	v_mov_b32_e32 v21, 0
	s_and_saveexec_b64 s[2:3], vcc
	s_cbranch_execz .LBB880_635
; %bb.630:
	s_movk_i32 s7, 0x80
	v_cmp_ne_u16_e32 vcc, s7, v23
	v_mov_b32_e32 v21, 0xffff8000
	s_and_saveexec_b64 s[8:9], vcc
	s_cbranch_execz .LBB880_634
; %bb.631:
	v_bfe_u32 v23, v7, 16, 7
	s_movk_i32 s7, 0x7f
	v_cmp_ne_u32_e32 vcc, s7, v23
	v_mov_b32_e32 v21, 0x7f80
	s_and_saveexec_b64 s[10:11], vcc
	s_cbranch_execz .LBB880_633
; %bb.632:
	v_and_b32_e32 v21, 7, v6
	v_ffbh_u32_e32 v24, v21
	v_min_u32_e32 v28, 32, v24
	v_subrev_u32_e32 v24, 28, v28
	v_lshlrev_b64 v[24:25], v24, v[6:7]
	v_lshrrev_b32_e32 v27, 3, v23
	v_sub_u32_e32 v6, 29, v28
	v_and_b32_e32 v24, 7, v24
	v_cmp_gt_u32_e32 vcc, 8, v23
	v_mov_b32_e32 v23, 24
	v_cndmask_b32_e32 v6, v27, v6, vcc
	v_cndmask_b32_e32 v21, v21, v24, vcc
	v_lshlrev_b32_sdwa v23, v23, v7 dst_sel:DWORD dst_unused:UNUSED_PAD src0_sel:DWORD src1_sel:WORD_1
	v_bfrev_b32_e32 v24, 60
	v_lshlrev_b32_e32 v21, 20, v21
	v_and_b32_e32 v23, 0x80000000, v23
	v_lshl_add_u32 v6, v6, 23, v24
	v_or3_b32 v6, v23, v6, v21
	v_lshrrev_b32_e32 v21, 16, v6
.LBB880_633:
	s_or_b64 exec, exec, s[10:11]
.LBB880_634:
	s_or_b64 exec, exec, s[8:9]
.LBB880_635:
	s_or_b64 exec, exec, s[2:3]
	s_mov_b32 s2, 0xffffff
	v_cmp_lt_u32_e32 vcc, s2, v7
	s_and_saveexec_b64 s[2:3], vcc
	s_cbranch_execz .LBB880_641
; %bb.636:
	v_lshrrev_b32_e32 v6, 24, v7
	s_movk_i32 s7, 0x80
	v_cmp_ne_u32_e32 vcc, s7, v6
	v_mov_b32_e32 v20, 0xffff8000
	s_and_saveexec_b64 s[8:9], vcc
	s_cbranch_execz .LBB880_640
; %bb.637:
	v_bfe_u32 v7, v7, 24, 7
	s_movk_i32 s7, 0x7f
	v_cmp_ne_u32_e32 vcc, s7, v7
	v_mov_b32_e32 v20, 0x7f80
	s_and_saveexec_b64 s[10:11], vcc
	s_cbranch_execz .LBB880_639
; %bb.638:
	v_and_b32_e32 v20, 7, v6
	v_ffbh_u32_e32 v24, v20
	v_min_u32_e32 v27, 32, v24
	v_subrev_u32_e32 v24, 28, v27
	v_lshlrev_b64 v[24:25], v24, v[6:7]
	v_lshrrev_b32_e32 v23, 3, v7
	v_sub_u32_e32 v25, 29, v27
	v_and_b32_e32 v24, 7, v24
	v_cmp_gt_u32_e32 vcc, 8, v7
	v_cndmask_b32_e32 v7, v23, v25, vcc
	v_cndmask_b32_e32 v20, v20, v24, vcc
	v_lshlrev_b32_e32 v6, 24, v6
	v_bfrev_b32_e32 v23, 60
	v_lshlrev_b32_e32 v20, 20, v20
	v_and_b32_e32 v6, 0x80000000, v6
	v_lshl_add_u32 v7, v7, 23, v23
	v_or3_b32 v6, v6, v7, v20
	v_lshrrev_b32_e32 v20, 16, v6
.LBB880_639:
	s_or_b64 exec, exec, s[10:11]
.LBB880_640:
	s_or_b64 exec, exec, s[8:9]
.LBB880_641:
	s_or_b64 exec, exec, s[2:3]
	s_mov_b32 s2, 0x5040100
	v_perm_b32 v7, v17, v18, s2
	v_perm_b32 v6, v15, v16, s2
	ds_read_b128 v[28:31], v22 offset:4096
	v_perm_b32 v17, v20, v21, s2
	v_perm_b32 v16, v14, v19, s2
	s_waitcnt lgkmcnt(0)
	v_mfma_f32_16x16x16bf16_1k v[10:13], v[6:7], v[28:29], v[10:13]
	v_mov_b32_e32 v7, 0
	v_cmp_ne_u16_sdwa s[8:9], v8, v7 src0_sel:BYTE_0 src1_sel:DWORD
	v_mov_b32_e32 v14, 0
	v_mfma_f32_16x16x16bf16_1k v[10:13], v[16:17], v[30:31], v[10:13]
	s_and_saveexec_b64 s[2:3], s[8:9]
	s_cbranch_execz .LBB880_647
; %bb.642:
	s_movk_i32 s7, 0x80
	v_cmp_ne_u16_sdwa s[10:11], v8, s7 src0_sel:BYTE_0 src1_sel:DWORD
	v_mov_b32_e32 v14, 0xffff8000
	s_and_saveexec_b64 s[8:9], s[10:11]
	s_cbranch_execz .LBB880_646
; %bb.643:
	s_movk_i32 s7, 0x7f
	v_and_b32_e32 v6, 0x7f, v8
	v_cmp_ne_u32_e32 vcc, s7, v6
	v_mov_b32_e32 v14, 0x7f80
	s_and_saveexec_b64 s[10:11], vcc
	s_cbranch_execz .LBB880_645
; %bb.644:
	v_and_b32_e32 v16, 7, v8
	v_ffbh_u32_e32 v14, v16
	v_min_u32_e32 v18, 32, v14
	v_subrev_u32_e32 v14, 28, v18
	v_lshlrev_b64 v[14:15], v14, v[8:9]
	v_lshrrev_b32_e32 v17, 3, v6
	v_sub_u32_e32 v15, 29, v18
	v_and_b32_e32 v14, 7, v14
	v_cmp_gt_u32_e32 vcc, 8, v6
	v_cndmask_b32_e32 v6, v17, v15, vcc
	v_cndmask_b32_e32 v14, v16, v14, vcc
	v_lshlrev_b32_e32 v15, 24, v8
	v_bfrev_b32_e32 v16, 60
	v_lshlrev_b32_e32 v14, 20, v14
	v_and_b32_e32 v15, 0x80000000, v15
	v_lshl_add_u32 v6, v6, 23, v16
	v_or3_b32 v6, v15, v6, v14
	v_lshrrev_b32_e32 v14, 16, v6
.LBB880_645:
	s_or_b64 exec, exec, s[10:11]
.LBB880_646:
	s_or_b64 exec, exec, s[8:9]
.LBB880_647:
	s_or_b64 exec, exec, s[2:3]
	v_lshrrev_b16_e32 v6, 8, v8
	v_cmp_ne_u16_e32 vcc, 0, v6
	s_and_saveexec_b64 s[2:3], vcc
	s_cbranch_execz .LBB880_653
; %bb.648:
	s_movk_i32 s7, 0x80
	v_cmp_ne_u16_e32 vcc, s7, v6
	v_mov_b32_e32 v7, 0xffff8000
	s_and_saveexec_b64 s[8:9], vcc
	s_cbranch_execz .LBB880_652
; %bb.649:
	s_movk_i32 s7, 0x7f
	v_and_b32_e32 v15, 0x7f, v6
	v_cmp_ne_u32_e32 vcc, s7, v15
	v_mov_b32_e32 v7, 0x7f80
	s_and_saveexec_b64 s[10:11], vcc
	s_cbranch_execz .LBB880_651
; %bb.650:
	v_and_b32_e32 v16, 7, v6
	v_ffbh_u32_e32 v7, v16
	v_min_u32_e32 v18, 32, v7
	v_subrev_u32_e32 v7, 28, v18
	v_lshlrev_b64 v[6:7], v7, v[6:7]
	v_lshrrev_b32_e32 v17, 3, v15
	v_sub_u32_e32 v7, 29, v18
	v_and_b32_e32 v6, 7, v6
	v_cmp_gt_u32_e32 vcc, 8, v15
	v_cndmask_b32_e32 v7, v17, v7, vcc
	v_cndmask_b32_e32 v6, v16, v6, vcc
	v_lshlrev_b32_e32 v15, 16, v8
	v_bfrev_b32_e32 v16, 60
	v_lshlrev_b32_e32 v6, 20, v6
	v_and_b32_e32 v15, 0x80000000, v15
	v_lshl_add_u32 v7, v7, 23, v16
	v_or3_b32 v6, v15, v7, v6
	v_lshrrev_b32_e32 v7, 16, v6
.LBB880_651:
	s_or_b64 exec, exec, s[10:11]
.LBB880_652:
	s_or_b64 exec, exec, s[8:9]
.LBB880_653:
	s_or_b64 exec, exec, s[2:3]
	s_movk_i32 s2, 0xff
	v_and_b32_sdwa v17, v8, s2 dst_sel:DWORD dst_unused:UNUSED_PAD src0_sel:WORD_1 src1_sel:DWORD
	v_lshrrev_b32_e32 v6, 16, v8
	v_cmp_ne_u16_e32 vcc, 0, v17
	v_mov_b32_e32 v15, 0
	v_mov_b32_e32 v16, 0
	s_and_saveexec_b64 s[2:3], vcc
	s_cbranch_execz .LBB880_659
; %bb.654:
	s_movk_i32 s7, 0x80
	v_cmp_ne_u16_e32 vcc, s7, v17
	v_mov_b32_e32 v16, 0xffff8000
	s_and_saveexec_b64 s[8:9], vcc
	s_cbranch_execz .LBB880_658
; %bb.655:
	v_bfe_u32 v17, v8, 16, 7
	s_movk_i32 s7, 0x7f
	v_cmp_ne_u32_e32 vcc, s7, v17
	v_mov_b32_e32 v16, 0x7f80
	s_and_saveexec_b64 s[10:11], vcc
	s_cbranch_execz .LBB880_657
; %bb.656:
	v_and_b32_e32 v16, 7, v6
	v_ffbh_u32_e32 v18, v16
	v_min_u32_e32 v21, 32, v18
	v_subrev_u32_e32 v18, 28, v21
	v_lshlrev_b64 v[18:19], v18, v[6:7]
	v_lshrrev_b32_e32 v20, 3, v17
	v_sub_u32_e32 v6, 29, v21
	v_and_b32_e32 v18, 7, v18
	v_cmp_gt_u32_e32 vcc, 8, v17
	v_mov_b32_e32 v17, 24
	v_cndmask_b32_e32 v6, v20, v6, vcc
	v_cndmask_b32_e32 v16, v16, v18, vcc
	v_lshlrev_b32_sdwa v17, v17, v8 dst_sel:DWORD dst_unused:UNUSED_PAD src0_sel:DWORD src1_sel:WORD_1
	v_bfrev_b32_e32 v18, 60
	v_lshlrev_b32_e32 v16, 20, v16
	v_and_b32_e32 v17, 0x80000000, v17
	v_lshl_add_u32 v6, v6, 23, v18
	v_or3_b32 v6, v17, v6, v16
	v_lshrrev_b32_e32 v16, 16, v6
.LBB880_657:
	s_or_b64 exec, exec, s[10:11]
.LBB880_658:
	s_or_b64 exec, exec, s[8:9]
.LBB880_659:
	s_or_b64 exec, exec, s[2:3]
	s_mov_b32 s2, 0xffffff
	v_cmp_lt_u32_e32 vcc, s2, v8
	s_and_saveexec_b64 s[2:3], vcc
	s_cbranch_execz .LBB880_665
; %bb.660:
	v_lshrrev_b32_e32 v6, 24, v8
	s_movk_i32 s7, 0x80
	v_cmp_ne_u32_e32 vcc, s7, v6
	v_mov_b32_e32 v15, 0xffff8000
	s_and_saveexec_b64 s[8:9], vcc
	s_cbranch_execz .LBB880_664
; %bb.661:
	v_bfe_u32 v8, v8, 24, 7
	s_movk_i32 s7, 0x7f
	v_cmp_ne_u32_e32 vcc, s7, v8
	v_mov_b32_e32 v15, 0x7f80
	s_and_saveexec_b64 s[10:11], vcc
	s_cbranch_execz .LBB880_663
; %bb.662:
	v_and_b32_e32 v15, 7, v6
	v_ffbh_u32_e32 v18, v15
	v_min_u32_e32 v20, 32, v18
	v_subrev_u32_e32 v18, 28, v20
	v_lshlrev_b64 v[18:19], v18, v[6:7]
	v_lshrrev_b32_e32 v17, 3, v8
	v_sub_u32_e32 v19, 29, v20
	v_and_b32_e32 v18, 7, v18
	v_cmp_gt_u32_e32 vcc, 8, v8
	v_cndmask_b32_e32 v8, v17, v19, vcc
	v_cndmask_b32_e32 v15, v15, v18, vcc
	v_lshlrev_b32_e32 v6, 24, v6
	v_bfrev_b32_e32 v17, 60
	v_lshlrev_b32_e32 v15, 20, v15
	v_and_b32_e32 v6, 0x80000000, v6
	v_lshl_add_u32 v8, v8, 23, v17
	v_or3_b32 v6, v6, v8, v15
	v_lshrrev_b32_e32 v15, 16, v6
.LBB880_663:
	s_or_b64 exec, exec, s[10:11]
.LBB880_664:
	s_or_b64 exec, exec, s[8:9]
.LBB880_665:
	s_or_b64 exec, exec, s[2:3]
	v_mov_b32_e32 v8, 0
	v_cmp_ne_u16_sdwa s[8:9], v9, v8 src0_sel:BYTE_0 src1_sel:DWORD
	v_mov_b32_e32 v17, 0
	s_and_saveexec_b64 s[2:3], s[8:9]
	s_cbranch_execz .LBB880_671
; %bb.666:
	s_movk_i32 s7, 0x80
	v_cmp_ne_u16_sdwa s[10:11], v9, s7 src0_sel:BYTE_0 src1_sel:DWORD
	v_mov_b32_e32 v17, 0xffff8000
	s_and_saveexec_b64 s[8:9], s[10:11]
	s_cbranch_execz .LBB880_670
; %bb.667:
	s_movk_i32 s7, 0x7f
	v_and_b32_e32 v6, 0x7f, v9
	v_cmp_ne_u32_e32 vcc, s7, v6
	v_mov_b32_e32 v17, 0x7f80
	s_and_saveexec_b64 s[10:11], vcc
	s_cbranch_execz .LBB880_669
; %bb.668:
	v_and_b32_e32 v17, 7, v9
	v_ffbh_u32_e32 v19, v17
	v_min_u32_e32 v21, 32, v19
	v_mov_b32_e32 v18, v9
	v_subrev_u32_e32 v19, 28, v21
	v_lshlrev_b64 v[18:19], v19, v[18:19]
	v_lshrrev_b32_e32 v20, 3, v6
	v_sub_u32_e32 v19, 29, v21
	v_and_b32_e32 v18, 7, v18
	v_cmp_gt_u32_e32 vcc, 8, v6
	v_cndmask_b32_e32 v6, v20, v19, vcc
	v_cndmask_b32_e32 v17, v17, v18, vcc
	v_lshlrev_b32_e32 v18, 24, v9
	v_bfrev_b32_e32 v19, 60
	v_lshlrev_b32_e32 v17, 20, v17
	v_and_b32_e32 v18, 0x80000000, v18
	v_lshl_add_u32 v6, v6, 23, v19
	v_or3_b32 v6, v18, v6, v17
	v_lshrrev_b32_e32 v17, 16, v6
.LBB880_669:
	s_or_b64 exec, exec, s[10:11]
.LBB880_670:
	s_or_b64 exec, exec, s[8:9]
.LBB880_671:
	s_or_b64 exec, exec, s[2:3]
	v_lshrrev_b16_e32 v6, 8, v9
	v_cmp_ne_u16_e32 vcc, 0, v6
	s_and_saveexec_b64 s[2:3], vcc
	s_cbranch_execz .LBB880_677
; %bb.672:
	s_movk_i32 s7, 0x80
	v_cmp_ne_u16_e32 vcc, s7, v6
	v_mov_b32_e32 v8, 0xffff8000
	s_and_saveexec_b64 s[8:9], vcc
	s_cbranch_execz .LBB880_676
; %bb.673:
	s_movk_i32 s7, 0x7f
	v_and_b32_e32 v18, 0x7f, v6
	v_cmp_ne_u32_e32 vcc, s7, v18
	v_mov_b32_e32 v8, 0x7f80
	s_and_saveexec_b64 s[10:11], vcc
	s_cbranch_execz .LBB880_675
; %bb.674:
	v_and_b32_e32 v8, 7, v6
	v_ffbh_u32_e32 v20, v8
	v_min_u32_e32 v23, 32, v20
	v_subrev_u32_e32 v20, 28, v23
	v_lshlrev_b64 v[20:21], v20, v[6:7]
	v_lshrrev_b32_e32 v19, 3, v18
	v_sub_u32_e32 v6, 29, v23
	v_and_b32_e32 v20, 7, v20
	v_cmp_gt_u32_e32 vcc, 8, v18
	v_cndmask_b32_e32 v6, v19, v6, vcc
	v_cndmask_b32_e32 v8, v8, v20, vcc
	v_lshlrev_b32_e32 v18, 16, v9
	v_bfrev_b32_e32 v19, 60
	v_lshlrev_b32_e32 v8, 20, v8
	v_and_b32_e32 v18, 0x80000000, v18
	v_lshl_add_u32 v6, v6, 23, v19
	v_or3_b32 v6, v18, v6, v8
	v_lshrrev_b32_e32 v8, 16, v6
.LBB880_675:
	s_or_b64 exec, exec, s[10:11]
.LBB880_676:
	s_or_b64 exec, exec, s[8:9]
.LBB880_677:
	s_or_b64 exec, exec, s[2:3]
	s_movk_i32 s2, 0xff
	v_and_b32_sdwa v20, v9, s2 dst_sel:DWORD dst_unused:UNUSED_PAD src0_sel:WORD_1 src1_sel:DWORD
	v_lshrrev_b32_e32 v6, 16, v9
	v_cmp_ne_u16_e32 vcc, 0, v20
	v_mov_b32_e32 v18, 0
	v_mov_b32_e32 v19, 0
	s_and_saveexec_b64 s[2:3], vcc
	s_cbranch_execz .LBB880_683
; %bb.678:
	s_movk_i32 s7, 0x80
	v_cmp_ne_u16_e32 vcc, s7, v20
	v_mov_b32_e32 v19, 0xffff8000
	s_and_saveexec_b64 s[8:9], vcc
	s_cbranch_execz .LBB880_682
; %bb.679:
	v_bfe_u32 v20, v9, 16, 7
	s_movk_i32 s7, 0x7f
	v_cmp_ne_u32_e32 vcc, s7, v20
	v_mov_b32_e32 v19, 0x7f80
	s_and_saveexec_b64 s[10:11], vcc
	s_cbranch_execz .LBB880_681
; %bb.680:
	v_and_b32_e32 v19, 7, v6
	v_ffbh_u32_e32 v23, v19
	v_min_u32_e32 v23, 32, v23
	v_subrev_u32_e32 v24, 28, v23
	v_lshlrev_b64 v[24:25], v24, v[6:7]
	v_lshrrev_b32_e32 v21, 3, v20
	v_sub_u32_e32 v6, 29, v23
	v_and_b32_e32 v23, 7, v24
	v_cmp_gt_u32_e32 vcc, 8, v20
	v_mov_b32_e32 v20, 24
	v_cndmask_b32_e32 v6, v21, v6, vcc
	v_cndmask_b32_e32 v19, v19, v23, vcc
	v_lshlrev_b32_sdwa v20, v20, v9 dst_sel:DWORD dst_unused:UNUSED_PAD src0_sel:DWORD src1_sel:WORD_1
	v_bfrev_b32_e32 v21, 60
	v_lshlrev_b32_e32 v19, 20, v19
	v_and_b32_e32 v20, 0x80000000, v20
	v_lshl_add_u32 v6, v6, 23, v21
	v_or3_b32 v6, v20, v6, v19
	v_lshrrev_b32_e32 v19, 16, v6
.LBB880_681:
	s_or_b64 exec, exec, s[10:11]
.LBB880_682:
	s_or_b64 exec, exec, s[8:9]
.LBB880_683:
	s_or_b64 exec, exec, s[2:3]
	s_mov_b32 s2, 0xffffff
	v_cmp_lt_u32_e32 vcc, s2, v9
	s_and_saveexec_b64 s[2:3], vcc
	s_cbranch_execz .LBB880_689
; %bb.684:
	v_lshrrev_b32_e32 v6, 24, v9
	s_movk_i32 s7, 0x80
	v_cmp_ne_u32_e32 vcc, s7, v6
	v_mov_b32_e32 v18, 0xffff8000
	s_and_saveexec_b64 s[8:9], vcc
	s_cbranch_execz .LBB880_688
; %bb.685:
	v_bfe_u32 v9, v9, 24, 7
	s_movk_i32 s7, 0x7f
	v_cmp_ne_u32_e32 vcc, s7, v9
	v_mov_b32_e32 v18, 0x7f80
	s_and_saveexec_b64 s[10:11], vcc
	s_cbranch_execz .LBB880_687
; %bb.686:
	v_and_b32_e32 v18, 7, v6
	v_ffbh_u32_e32 v20, v18
	v_min_u32_e32 v24, 32, v20
	v_subrev_u32_e32 v20, 28, v24
	v_lshlrev_b64 v[20:21], v20, v[6:7]
	v_lshrrev_b32_e32 v23, 3, v9
	v_sub_u32_e32 v21, 29, v24
	v_and_b32_e32 v20, 7, v20
	v_cmp_gt_u32_e32 vcc, 8, v9
	v_cndmask_b32_e32 v9, v23, v21, vcc
	v_cndmask_b32_e32 v18, v18, v20, vcc
	v_lshlrev_b32_e32 v6, 24, v6
	v_bfrev_b32_e32 v20, 60
	v_lshlrev_b32_e32 v18, 20, v18
	v_and_b32_e32 v6, 0x80000000, v6
	v_lshl_add_u32 v9, v9, 23, v20
	v_or3_b32 v6, v6, v9, v18
	v_lshrrev_b32_e32 v18, 16, v6
.LBB880_687:
	s_or_b64 exec, exec, s[10:11]
.LBB880_688:
	s_or_b64 exec, exec, s[8:9]
.LBB880_689:
	s_or_b64 exec, exec, s[2:3]
	s_mov_b32 s2, 0x5040100
	v_perm_b32 v15, v15, v16, s2
	v_perm_b32 v14, v7, v14, s2
	ds_read_b128 v[28:31], v22 offset:4112
	v_perm_b32 v7, v18, v19, s2
	v_perm_b32 v6, v8, v17, s2
	s_waitcnt lgkmcnt(0)
	v_mfma_f32_16x16x16bf16_1k v[32:35], v[14:15], v[28:29], v[10:13]
	s_nop 6
	v_mov_b32_e32 v11, 0
	s_waitcnt vmcnt(0)
	v_cmp_ne_u16_sdwa s[8:9], v2, v11 src0_sel:BYTE_0 src1_sel:DWORD
	v_mfma_f32_16x16x16bf16_1k v[6:9], v[6:7], v[30:31], v[32:35]
	v_mov_b32_e32 v12, 0
	s_and_saveexec_b64 s[2:3], s[8:9]
	s_cbranch_execz .LBB880_695
; %bb.690:
	s_movk_i32 s7, 0x80
	v_cmp_ne_u16_sdwa s[10:11], v2, s7 src0_sel:BYTE_0 src1_sel:DWORD
	v_mov_b32_e32 v12, 0xffff8000
	s_and_saveexec_b64 s[8:9], s[10:11]
	s_cbranch_execz .LBB880_694
; %bb.691:
	s_movk_i32 s7, 0x7f
	v_and_b32_e32 v10, 0x7f, v2
	v_cmp_ne_u32_e32 vcc, s7, v10
	v_mov_b32_e32 v12, 0x7f80
	s_and_saveexec_b64 s[10:11], vcc
	s_cbranch_execz .LBB880_693
; %bb.692:
	v_and_b32_e32 v14, 7, v2
	v_ffbh_u32_e32 v12, v14
	v_min_u32_e32 v16, 32, v12
	v_subrev_u32_e32 v12, 28, v16
	v_lshlrev_b64 v[12:13], v12, v[2:3]
	v_lshrrev_b32_e32 v15, 3, v10
	v_sub_u32_e32 v13, 29, v16
	v_and_b32_e32 v12, 7, v12
	v_cmp_gt_u32_e32 vcc, 8, v10
	v_cndmask_b32_e32 v10, v15, v13, vcc
	v_cndmask_b32_e32 v12, v14, v12, vcc
	v_lshlrev_b32_e32 v13, 24, v2
	v_bfrev_b32_e32 v14, 60
	v_lshlrev_b32_e32 v12, 20, v12
	v_and_b32_e32 v13, 0x80000000, v13
	v_lshl_add_u32 v10, v10, 23, v14
	v_or3_b32 v10, v13, v10, v12
	v_lshrrev_b32_e32 v12, 16, v10
.LBB880_693:
	s_or_b64 exec, exec, s[10:11]
.LBB880_694:
	s_or_b64 exec, exec, s[8:9]
.LBB880_695:
	s_or_b64 exec, exec, s[2:3]
	v_lshrrev_b16_e32 v10, 8, v2
	v_cmp_ne_u16_e32 vcc, 0, v10
	s_and_saveexec_b64 s[2:3], vcc
	s_cbranch_execz .LBB880_701
; %bb.696:
	s_movk_i32 s7, 0x80
	v_cmp_ne_u16_e32 vcc, s7, v10
	v_mov_b32_e32 v11, 0xffff8000
	s_and_saveexec_b64 s[8:9], vcc
	s_cbranch_execz .LBB880_700
; %bb.697:
	s_movk_i32 s7, 0x7f
	v_and_b32_e32 v13, 0x7f, v10
	v_cmp_ne_u32_e32 vcc, s7, v13
	v_mov_b32_e32 v11, 0x7f80
	s_and_saveexec_b64 s[10:11], vcc
	s_cbranch_execz .LBB880_699
; %bb.698:
	v_and_b32_e32 v14, 7, v10
	v_ffbh_u32_e32 v11, v14
	v_min_u32_e32 v16, 32, v11
	v_subrev_u32_e32 v11, 28, v16
	v_lshlrev_b64 v[10:11], v11, v[10:11]
	v_lshrrev_b32_e32 v15, 3, v13
	v_sub_u32_e32 v11, 29, v16
	v_and_b32_e32 v10, 7, v10
	v_cmp_gt_u32_e32 vcc, 8, v13
	v_cndmask_b32_e32 v11, v15, v11, vcc
	v_cndmask_b32_e32 v10, v14, v10, vcc
	v_lshlrev_b32_e32 v13, 16, v2
	v_bfrev_b32_e32 v14, 60
	v_lshlrev_b32_e32 v10, 20, v10
	v_and_b32_e32 v13, 0x80000000, v13
	v_lshl_add_u32 v11, v11, 23, v14
	v_or3_b32 v10, v13, v11, v10
	v_lshrrev_b32_e32 v11, 16, v10
.LBB880_699:
	s_or_b64 exec, exec, s[10:11]
.LBB880_700:
	s_or_b64 exec, exec, s[8:9]
.LBB880_701:
	s_or_b64 exec, exec, s[2:3]
	s_movk_i32 s2, 0xff
	v_and_b32_sdwa v15, v2, s2 dst_sel:DWORD dst_unused:UNUSED_PAD src0_sel:WORD_1 src1_sel:DWORD
	v_lshrrev_b32_e32 v10, 16, v2
	v_cmp_ne_u16_e32 vcc, 0, v15
	v_mov_b32_e32 v13, 0
	v_mov_b32_e32 v14, 0
	s_and_saveexec_b64 s[2:3], vcc
	s_cbranch_execz .LBB880_707
; %bb.702:
	s_movk_i32 s7, 0x80
	v_cmp_ne_u16_e32 vcc, s7, v15
	v_mov_b32_e32 v14, 0xffff8000
	s_and_saveexec_b64 s[8:9], vcc
	s_cbranch_execz .LBB880_706
; %bb.703:
	v_bfe_u32 v15, v2, 16, 7
	s_movk_i32 s7, 0x7f
	v_cmp_ne_u32_e32 vcc, s7, v15
	v_mov_b32_e32 v14, 0x7f80
	s_and_saveexec_b64 s[10:11], vcc
	s_cbranch_execz .LBB880_705
; %bb.704:
	v_and_b32_e32 v14, 7, v10
	v_ffbh_u32_e32 v16, v14
	v_min_u32_e32 v19, 32, v16
	v_subrev_u32_e32 v16, 28, v19
	v_lshlrev_b64 v[16:17], v16, v[10:11]
	v_lshrrev_b32_e32 v18, 3, v15
	v_sub_u32_e32 v10, 29, v19
	v_and_b32_e32 v16, 7, v16
	v_cmp_gt_u32_e32 vcc, 8, v15
	v_mov_b32_e32 v15, 24
	v_cndmask_b32_e32 v10, v18, v10, vcc
	v_cndmask_b32_e32 v14, v14, v16, vcc
	v_lshlrev_b32_sdwa v15, v15, v2 dst_sel:DWORD dst_unused:UNUSED_PAD src0_sel:DWORD src1_sel:WORD_1
	v_bfrev_b32_e32 v16, 60
	v_lshlrev_b32_e32 v14, 20, v14
	v_and_b32_e32 v15, 0x80000000, v15
	v_lshl_add_u32 v10, v10, 23, v16
	v_or3_b32 v10, v15, v10, v14
	v_lshrrev_b32_e32 v14, 16, v10
.LBB880_705:
	s_or_b64 exec, exec, s[10:11]
.LBB880_706:
	s_or_b64 exec, exec, s[8:9]
.LBB880_707:
	s_or_b64 exec, exec, s[2:3]
	s_mov_b32 s2, 0xffffff
	v_cmp_lt_u32_e32 vcc, s2, v2
	s_and_saveexec_b64 s[2:3], vcc
	s_cbranch_execz .LBB880_713
; %bb.708:
	v_lshrrev_b32_e32 v10, 24, v2
	s_movk_i32 s7, 0x80
	v_cmp_ne_u32_e32 vcc, s7, v10
	v_mov_b32_e32 v13, 0xffff8000
	s_and_saveexec_b64 s[8:9], vcc
	s_cbranch_execz .LBB880_712
; %bb.709:
	v_bfe_u32 v2, v2, 24, 7
	s_movk_i32 s7, 0x7f
	v_cmp_ne_u32_e32 vcc, s7, v2
	v_mov_b32_e32 v13, 0x7f80
	s_and_saveexec_b64 s[10:11], vcc
	s_cbranch_execz .LBB880_711
; %bb.710:
	v_and_b32_e32 v13, 7, v10
	v_ffbh_u32_e32 v16, v13
	v_min_u32_e32 v18, 32, v16
	v_subrev_u32_e32 v16, 28, v18
	v_lshlrev_b64 v[16:17], v16, v[10:11]
	v_lshrrev_b32_e32 v15, 3, v2
	v_sub_u32_e32 v17, 29, v18
	v_and_b32_e32 v16, 7, v16
	v_cmp_gt_u32_e32 vcc, 8, v2
	v_cndmask_b32_e32 v2, v15, v17, vcc
	v_cndmask_b32_e32 v13, v13, v16, vcc
	v_lshlrev_b32_e32 v10, 24, v10
	v_bfrev_b32_e32 v15, 60
	v_lshlrev_b32_e32 v13, 20, v13
	v_and_b32_e32 v10, 0x80000000, v10
	v_lshl_add_u32 v2, v2, 23, v15
	v_or3_b32 v2, v10, v2, v13
	v_lshrrev_b32_e32 v13, 16, v2
.LBB880_711:
	s_or_b64 exec, exec, s[10:11]
.LBB880_712:
	s_or_b64 exec, exec, s[8:9]
.LBB880_713:
	s_or_b64 exec, exec, s[2:3]
	v_mov_b32_e32 v10, 0
	v_cmp_ne_u16_sdwa s[8:9], v3, v10 src0_sel:BYTE_0 src1_sel:DWORD
	v_mov_b32_e32 v15, 0
	s_and_saveexec_b64 s[2:3], s[8:9]
	s_cbranch_execz .LBB880_719
; %bb.714:
	s_movk_i32 s7, 0x80
	v_cmp_ne_u16_sdwa s[10:11], v3, s7 src0_sel:BYTE_0 src1_sel:DWORD
	v_mov_b32_e32 v15, 0xffff8000
	s_and_saveexec_b64 s[8:9], s[10:11]
	s_cbranch_execz .LBB880_718
; %bb.715:
	s_movk_i32 s7, 0x7f
	v_and_b32_e32 v2, 0x7f, v3
	v_cmp_ne_u32_e32 vcc, s7, v2
	v_mov_b32_e32 v15, 0x7f80
	s_and_saveexec_b64 s[10:11], vcc
	s_cbranch_execz .LBB880_717
; %bb.716:
	v_and_b32_e32 v15, 7, v3
	v_ffbh_u32_e32 v17, v15
	v_min_u32_e32 v19, 32, v17
	v_mov_b32_e32 v16, v3
	v_subrev_u32_e32 v17, 28, v19
	v_lshlrev_b64 v[16:17], v17, v[16:17]
	v_lshrrev_b32_e32 v18, 3, v2
	v_sub_u32_e32 v17, 29, v19
	v_and_b32_e32 v16, 7, v16
	v_cmp_gt_u32_e32 vcc, 8, v2
	v_cndmask_b32_e32 v2, v18, v17, vcc
	v_cndmask_b32_e32 v15, v15, v16, vcc
	v_lshlrev_b32_e32 v16, 24, v3
	v_bfrev_b32_e32 v17, 60
	v_lshlrev_b32_e32 v15, 20, v15
	v_and_b32_e32 v16, 0x80000000, v16
	v_lshl_add_u32 v2, v2, 23, v17
	v_or3_b32 v2, v16, v2, v15
	v_lshrrev_b32_e32 v15, 16, v2
.LBB880_717:
	s_or_b64 exec, exec, s[10:11]
.LBB880_718:
	s_or_b64 exec, exec, s[8:9]
.LBB880_719:
	s_or_b64 exec, exec, s[2:3]
	v_lshrrev_b16_e32 v2, 8, v3
	v_cmp_ne_u16_e32 vcc, 0, v2
	s_and_saveexec_b64 s[2:3], vcc
	s_cbranch_execz .LBB880_725
; %bb.720:
	s_movk_i32 s7, 0x80
	v_cmp_ne_u16_e32 vcc, s7, v2
	v_mov_b32_e32 v10, 0xffff8000
	s_and_saveexec_b64 s[8:9], vcc
	s_cbranch_execz .LBB880_724
; %bb.721:
	s_movk_i32 s7, 0x7f
	v_and_b32_e32 v16, 0x7f, v2
	v_cmp_ne_u32_e32 vcc, s7, v16
	v_mov_b32_e32 v10, 0x7f80
	s_and_saveexec_b64 s[10:11], vcc
	s_cbranch_execz .LBB880_723
; %bb.722:
	v_and_b32_e32 v10, 7, v2
	v_ffbh_u32_e32 v18, v10
	v_min_u32_e32 v20, 32, v18
	v_subrev_u32_e32 v18, 28, v20
	v_lshlrev_b64 v[18:19], v18, v[2:3]
	v_lshrrev_b32_e32 v17, 3, v16
	v_sub_u32_e32 v2, 29, v20
	v_and_b32_e32 v18, 7, v18
	v_cmp_gt_u32_e32 vcc, 8, v16
	v_cndmask_b32_e32 v2, v17, v2, vcc
	v_cndmask_b32_e32 v10, v10, v18, vcc
	v_lshlrev_b32_e32 v16, 16, v3
	v_bfrev_b32_e32 v17, 60
	v_lshlrev_b32_e32 v10, 20, v10
	v_and_b32_e32 v16, 0x80000000, v16
	v_lshl_add_u32 v2, v2, 23, v17
	v_or3_b32 v2, v16, v2, v10
	v_lshrrev_b32_e32 v10, 16, v2
.LBB880_723:
	s_or_b64 exec, exec, s[10:11]
.LBB880_724:
	s_or_b64 exec, exec, s[8:9]
.LBB880_725:
	s_or_b64 exec, exec, s[2:3]
	s_movk_i32 s2, 0xff
	v_and_b32_sdwa v18, v3, s2 dst_sel:DWORD dst_unused:UNUSED_PAD src0_sel:WORD_1 src1_sel:DWORD
	v_lshrrev_b32_e32 v2, 16, v3
	v_cmp_ne_u16_e32 vcc, 0, v18
	v_mov_b32_e32 v16, 0
	v_mov_b32_e32 v17, 0
	s_and_saveexec_b64 s[2:3], vcc
	s_cbranch_execz .LBB880_731
; %bb.726:
	s_movk_i32 s7, 0x80
	v_cmp_ne_u16_e32 vcc, s7, v18
	v_mov_b32_e32 v17, 0xffff8000
	s_and_saveexec_b64 s[8:9], vcc
	s_cbranch_execz .LBB880_730
; %bb.727:
	v_bfe_u32 v18, v3, 16, 7
	s_movk_i32 s7, 0x7f
	v_cmp_ne_u32_e32 vcc, s7, v18
	v_mov_b32_e32 v17, 0x7f80
	s_and_saveexec_b64 s[10:11], vcc
	s_cbranch_execz .LBB880_729
; %bb.728:
	v_and_b32_e32 v17, 7, v2
	v_ffbh_u32_e32 v20, v17
	v_min_u32_e32 v23, 32, v20
	v_subrev_u32_e32 v20, 28, v23
	v_lshlrev_b64 v[20:21], v20, v[2:3]
	v_lshrrev_b32_e32 v19, 3, v18
	v_sub_u32_e32 v2, 29, v23
	v_and_b32_e32 v20, 7, v20
	v_cmp_gt_u32_e32 vcc, 8, v18
	v_mov_b32_e32 v18, 24
	v_cndmask_b32_e32 v2, v19, v2, vcc
	v_cndmask_b32_e32 v17, v17, v20, vcc
	v_lshlrev_b32_sdwa v18, v18, v3 dst_sel:DWORD dst_unused:UNUSED_PAD src0_sel:DWORD src1_sel:WORD_1
	v_bfrev_b32_e32 v19, 60
	v_lshlrev_b32_e32 v17, 20, v17
	v_and_b32_e32 v18, 0x80000000, v18
	v_lshl_add_u32 v2, v2, 23, v19
	v_or3_b32 v2, v18, v2, v17
	v_lshrrev_b32_e32 v17, 16, v2
.LBB880_729:
	s_or_b64 exec, exec, s[10:11]
.LBB880_730:
	s_or_b64 exec, exec, s[8:9]
.LBB880_731:
	s_or_b64 exec, exec, s[2:3]
	s_mov_b32 s2, 0xffffff
	v_cmp_lt_u32_e32 vcc, s2, v3
	s_and_saveexec_b64 s[2:3], vcc
	s_cbranch_execz .LBB880_737
; %bb.732:
	v_lshrrev_b32_e32 v2, 24, v3
	s_movk_i32 s7, 0x80
	v_cmp_ne_u32_e32 vcc, s7, v2
	v_mov_b32_e32 v16, 0xffff8000
	s_and_saveexec_b64 s[8:9], vcc
	s_cbranch_execz .LBB880_736
; %bb.733:
	v_bfe_u32 v3, v3, 24, 7
	s_movk_i32 s7, 0x7f
	v_cmp_ne_u32_e32 vcc, s7, v3
	v_mov_b32_e32 v16, 0x7f80
	s_and_saveexec_b64 s[10:11], vcc
	s_cbranch_execz .LBB880_735
; %bb.734:
	v_and_b32_e32 v16, 7, v2
	v_ffbh_u32_e32 v18, v16
	v_min_u32_e32 v21, 32, v18
	v_subrev_u32_e32 v18, 28, v21
	v_lshlrev_b64 v[18:19], v18, v[2:3]
	v_lshrrev_b32_e32 v20, 3, v3
	v_sub_u32_e32 v19, 29, v21
	v_and_b32_e32 v18, 7, v18
	v_cmp_gt_u32_e32 vcc, 8, v3
	v_cndmask_b32_e32 v3, v20, v19, vcc
	v_cndmask_b32_e32 v16, v16, v18, vcc
	v_lshlrev_b32_e32 v2, 24, v2
	v_bfrev_b32_e32 v18, 60
	v_lshlrev_b32_e32 v16, 20, v16
	v_and_b32_e32 v2, 0x80000000, v2
	v_lshl_add_u32 v3, v3, 23, v18
	v_or3_b32 v2, v2, v3, v16
	v_lshrrev_b32_e32 v16, 16, v2
.LBB880_735:
	s_or_b64 exec, exec, s[10:11]
.LBB880_736:
	s_or_b64 exec, exec, s[8:9]
.LBB880_737:
	s_or_b64 exec, exec, s[2:3]
	s_mov_b32 s2, 0x5040100
	v_perm_b32 v3, v13, v14, s2
	v_perm_b32 v2, v11, v12, s2
	ds_read_b128 v[18:21], v22 offset:6144
	v_perm_b32 v13, v16, v17, s2
	v_perm_b32 v12, v10, v15, s2
	s_waitcnt lgkmcnt(0)
	v_mfma_f32_16x16x16bf16_1k v[6:9], v[2:3], v[18:19], v[6:9]
	v_mov_b32_e32 v3, 0
	v_cmp_ne_u16_sdwa s[8:9], v4, v3 src0_sel:BYTE_0 src1_sel:DWORD
	v_mov_b32_e32 v10, 0
	v_mfma_f32_16x16x16bf16_1k v[6:9], v[12:13], v[20:21], v[6:9]
	s_and_saveexec_b64 s[2:3], s[8:9]
	s_cbranch_execz .LBB880_743
; %bb.738:
	s_movk_i32 s7, 0x80
	v_cmp_ne_u16_sdwa s[10:11], v4, s7 src0_sel:BYTE_0 src1_sel:DWORD
	v_mov_b32_e32 v10, 0xffff8000
	s_and_saveexec_b64 s[8:9], s[10:11]
	s_cbranch_execz .LBB880_742
; %bb.739:
	s_movk_i32 s7, 0x7f
	v_and_b32_e32 v2, 0x7f, v4
	v_cmp_ne_u32_e32 vcc, s7, v2
	v_mov_b32_e32 v10, 0x7f80
	s_and_saveexec_b64 s[10:11], vcc
	s_cbranch_execz .LBB880_741
; %bb.740:
	v_and_b32_e32 v12, 7, v4
	v_ffbh_u32_e32 v10, v12
	v_min_u32_e32 v14, 32, v10
	v_subrev_u32_e32 v10, 28, v14
	v_lshlrev_b64 v[10:11], v10, v[4:5]
	v_lshrrev_b32_e32 v13, 3, v2
	v_sub_u32_e32 v11, 29, v14
	v_and_b32_e32 v10, 7, v10
	v_cmp_gt_u32_e32 vcc, 8, v2
	v_cndmask_b32_e32 v2, v13, v11, vcc
	v_cndmask_b32_e32 v10, v12, v10, vcc
	v_lshlrev_b32_e32 v11, 24, v4
	v_bfrev_b32_e32 v12, 60
	v_lshlrev_b32_e32 v10, 20, v10
	v_and_b32_e32 v11, 0x80000000, v11
	v_lshl_add_u32 v2, v2, 23, v12
	v_or3_b32 v2, v11, v2, v10
	v_lshrrev_b32_e32 v10, 16, v2
.LBB880_741:
	s_or_b64 exec, exec, s[10:11]
.LBB880_742:
	s_or_b64 exec, exec, s[8:9]
.LBB880_743:
	s_or_b64 exec, exec, s[2:3]
	v_lshrrev_b16_e32 v2, 8, v4
	v_cmp_ne_u16_e32 vcc, 0, v2
	s_and_saveexec_b64 s[2:3], vcc
	s_cbranch_execz .LBB880_749
; %bb.744:
	s_movk_i32 s7, 0x80
	v_cmp_ne_u16_e32 vcc, s7, v2
	v_mov_b32_e32 v3, 0xffff8000
	s_and_saveexec_b64 s[8:9], vcc
	s_cbranch_execz .LBB880_748
; %bb.745:
	s_movk_i32 s7, 0x7f
	v_and_b32_e32 v11, 0x7f, v2
	v_cmp_ne_u32_e32 vcc, s7, v11
	v_mov_b32_e32 v3, 0x7f80
	s_and_saveexec_b64 s[10:11], vcc
	s_cbranch_execz .LBB880_747
; %bb.746:
	v_and_b32_e32 v12, 7, v2
	v_ffbh_u32_e32 v3, v12
	v_min_u32_e32 v14, 32, v3
	v_subrev_u32_e32 v3, 28, v14
	v_lshlrev_b64 v[2:3], v3, v[2:3]
	v_lshrrev_b32_e32 v13, 3, v11
	v_sub_u32_e32 v3, 29, v14
	v_and_b32_e32 v2, 7, v2
	v_cmp_gt_u32_e32 vcc, 8, v11
	v_cndmask_b32_e32 v3, v13, v3, vcc
	v_cndmask_b32_e32 v2, v12, v2, vcc
	v_lshlrev_b32_e32 v11, 16, v4
	v_bfrev_b32_e32 v12, 60
	v_lshlrev_b32_e32 v2, 20, v2
	v_and_b32_e32 v11, 0x80000000, v11
	v_lshl_add_u32 v3, v3, 23, v12
	v_or3_b32 v2, v11, v3, v2
	v_lshrrev_b32_e32 v3, 16, v2
.LBB880_747:
	s_or_b64 exec, exec, s[10:11]
.LBB880_748:
	s_or_b64 exec, exec, s[8:9]
.LBB880_749:
	s_or_b64 exec, exec, s[2:3]
	s_movk_i32 s2, 0xff
	v_and_b32_sdwa v13, v4, s2 dst_sel:DWORD dst_unused:UNUSED_PAD src0_sel:WORD_1 src1_sel:DWORD
	v_lshrrev_b32_e32 v2, 16, v4
	v_cmp_ne_u16_e32 vcc, 0, v13
	v_mov_b32_e32 v11, 0
	v_mov_b32_e32 v12, 0
	s_and_saveexec_b64 s[2:3], vcc
	s_cbranch_execz .LBB880_755
; %bb.750:
	s_movk_i32 s7, 0x80
	v_cmp_ne_u16_e32 vcc, s7, v13
	v_mov_b32_e32 v12, 0xffff8000
	s_and_saveexec_b64 s[8:9], vcc
	s_cbranch_execz .LBB880_754
; %bb.751:
	v_bfe_u32 v13, v4, 16, 7
	s_movk_i32 s7, 0x7f
	v_cmp_ne_u32_e32 vcc, s7, v13
	v_mov_b32_e32 v12, 0x7f80
	s_and_saveexec_b64 s[10:11], vcc
	s_cbranch_execz .LBB880_753
; %bb.752:
	v_and_b32_e32 v12, 7, v2
	v_ffbh_u32_e32 v14, v12
	v_min_u32_e32 v17, 32, v14
	v_subrev_u32_e32 v14, 28, v17
	v_lshlrev_b64 v[14:15], v14, v[2:3]
	v_lshrrev_b32_e32 v16, 3, v13
	v_sub_u32_e32 v2, 29, v17
	v_and_b32_e32 v14, 7, v14
	v_cmp_gt_u32_e32 vcc, 8, v13
	v_mov_b32_e32 v13, 24
	v_cndmask_b32_e32 v2, v16, v2, vcc
	v_cndmask_b32_e32 v12, v12, v14, vcc
	v_lshlrev_b32_sdwa v13, v13, v4 dst_sel:DWORD dst_unused:UNUSED_PAD src0_sel:DWORD src1_sel:WORD_1
	v_bfrev_b32_e32 v14, 60
	v_lshlrev_b32_e32 v12, 20, v12
	v_and_b32_e32 v13, 0x80000000, v13
	v_lshl_add_u32 v2, v2, 23, v14
	v_or3_b32 v2, v13, v2, v12
	v_lshrrev_b32_e32 v12, 16, v2
.LBB880_753:
	s_or_b64 exec, exec, s[10:11]
.LBB880_754:
	s_or_b64 exec, exec, s[8:9]
.LBB880_755:
	s_or_b64 exec, exec, s[2:3]
	s_mov_b32 s2, 0xffffff
	v_cmp_lt_u32_e32 vcc, s2, v4
	s_and_saveexec_b64 s[2:3], vcc
	s_cbranch_execz .LBB880_761
; %bb.756:
	v_lshrrev_b32_e32 v2, 24, v4
	s_movk_i32 s7, 0x80
	v_cmp_ne_u32_e32 vcc, s7, v2
	v_mov_b32_e32 v11, 0xffff8000
	s_and_saveexec_b64 s[8:9], vcc
	s_cbranch_execz .LBB880_760
; %bb.757:
	v_bfe_u32 v4, v4, 24, 7
	s_movk_i32 s7, 0x7f
	v_cmp_ne_u32_e32 vcc, s7, v4
	v_mov_b32_e32 v11, 0x7f80
	s_and_saveexec_b64 s[10:11], vcc
	s_cbranch_execz .LBB880_759
; %bb.758:
	v_and_b32_e32 v11, 7, v2
	v_ffbh_u32_e32 v14, v11
	v_min_u32_e32 v16, 32, v14
	v_subrev_u32_e32 v14, 28, v16
	v_lshlrev_b64 v[14:15], v14, v[2:3]
	v_lshrrev_b32_e32 v13, 3, v4
	v_sub_u32_e32 v15, 29, v16
	v_and_b32_e32 v14, 7, v14
	v_cmp_gt_u32_e32 vcc, 8, v4
	v_cndmask_b32_e32 v4, v13, v15, vcc
	v_cndmask_b32_e32 v11, v11, v14, vcc
	v_lshlrev_b32_e32 v2, 24, v2
	v_bfrev_b32_e32 v13, 60
	v_lshlrev_b32_e32 v11, 20, v11
	v_and_b32_e32 v2, 0x80000000, v2
	v_lshl_add_u32 v4, v4, 23, v13
	v_or3_b32 v2, v2, v4, v11
	v_lshrrev_b32_e32 v11, 16, v2
.LBB880_759:
	s_or_b64 exec, exec, s[10:11]
.LBB880_760:
	s_or_b64 exec, exec, s[8:9]
.LBB880_761:
	s_or_b64 exec, exec, s[2:3]
	v_mov_b32_e32 v4, 0
	v_cmp_ne_u16_sdwa s[8:9], v5, v4 src0_sel:BYTE_0 src1_sel:DWORD
	v_mov_b32_e32 v13, 0
	s_and_saveexec_b64 s[2:3], s[8:9]
	s_cbranch_execz .LBB880_767
; %bb.762:
	s_movk_i32 s7, 0x80
	v_cmp_ne_u16_sdwa s[10:11], v5, s7 src0_sel:BYTE_0 src1_sel:DWORD
	v_mov_b32_e32 v13, 0xffff8000
	s_and_saveexec_b64 s[8:9], s[10:11]
	s_cbranch_execz .LBB880_766
; %bb.763:
	s_movk_i32 s7, 0x7f
	v_and_b32_e32 v2, 0x7f, v5
	v_cmp_ne_u32_e32 vcc, s7, v2
	v_mov_b32_e32 v13, 0x7f80
	s_and_saveexec_b64 s[10:11], vcc
	s_cbranch_execz .LBB880_765
; %bb.764:
	v_and_b32_e32 v13, 7, v5
	v_ffbh_u32_e32 v15, v13
	v_min_u32_e32 v17, 32, v15
	v_mov_b32_e32 v14, v5
	v_subrev_u32_e32 v15, 28, v17
	v_lshlrev_b64 v[14:15], v15, v[14:15]
	v_lshrrev_b32_e32 v16, 3, v2
	v_sub_u32_e32 v15, 29, v17
	v_and_b32_e32 v14, 7, v14
	v_cmp_gt_u32_e32 vcc, 8, v2
	v_cndmask_b32_e32 v2, v16, v15, vcc
	v_cndmask_b32_e32 v13, v13, v14, vcc
	v_lshlrev_b32_e32 v14, 24, v5
	v_bfrev_b32_e32 v15, 60
	v_lshlrev_b32_e32 v13, 20, v13
	v_and_b32_e32 v14, 0x80000000, v14
	v_lshl_add_u32 v2, v2, 23, v15
	v_or3_b32 v2, v14, v2, v13
	v_lshrrev_b32_e32 v13, 16, v2
.LBB880_765:
	s_or_b64 exec, exec, s[10:11]
.LBB880_766:
	s_or_b64 exec, exec, s[8:9]
.LBB880_767:
	s_or_b64 exec, exec, s[2:3]
	v_lshrrev_b16_e32 v2, 8, v5
	v_cmp_ne_u16_e32 vcc, 0, v2
	s_and_saveexec_b64 s[2:3], vcc
	s_cbranch_execz .LBB880_773
; %bb.768:
	s_movk_i32 s7, 0x80
	v_cmp_ne_u16_e32 vcc, s7, v2
	v_mov_b32_e32 v4, 0xffff8000
	s_and_saveexec_b64 s[8:9], vcc
	s_cbranch_execz .LBB880_772
; %bb.769:
	s_movk_i32 s7, 0x7f
	v_and_b32_e32 v14, 0x7f, v2
	v_cmp_ne_u32_e32 vcc, s7, v14
	v_mov_b32_e32 v4, 0x7f80
	s_and_saveexec_b64 s[10:11], vcc
	s_cbranch_execz .LBB880_771
; %bb.770:
	v_and_b32_e32 v4, 7, v2
	v_ffbh_u32_e32 v16, v4
	v_min_u32_e32 v18, 32, v16
	v_subrev_u32_e32 v16, 28, v18
	v_lshlrev_b64 v[16:17], v16, v[2:3]
	v_lshrrev_b32_e32 v15, 3, v14
	v_sub_u32_e32 v2, 29, v18
	v_and_b32_e32 v16, 7, v16
	v_cmp_gt_u32_e32 vcc, 8, v14
	v_cndmask_b32_e32 v2, v15, v2, vcc
	v_cndmask_b32_e32 v4, v4, v16, vcc
	v_lshlrev_b32_e32 v14, 16, v5
	v_bfrev_b32_e32 v15, 60
	v_lshlrev_b32_e32 v4, 20, v4
	v_and_b32_e32 v14, 0x80000000, v14
	v_lshl_add_u32 v2, v2, 23, v15
	v_or3_b32 v2, v14, v2, v4
	v_lshrrev_b32_e32 v4, 16, v2
.LBB880_771:
	s_or_b64 exec, exec, s[10:11]
.LBB880_772:
	s_or_b64 exec, exec, s[8:9]
.LBB880_773:
	s_or_b64 exec, exec, s[2:3]
	s_movk_i32 s2, 0xff
	v_and_b32_sdwa v16, v5, s2 dst_sel:DWORD dst_unused:UNUSED_PAD src0_sel:WORD_1 src1_sel:DWORD
	v_lshrrev_b32_e32 v2, 16, v5
	v_cmp_ne_u16_e32 vcc, 0, v16
	v_mov_b32_e32 v14, 0
	v_mov_b32_e32 v15, 0
	s_and_saveexec_b64 s[2:3], vcc
	s_cbranch_execz .LBB880_779
; %bb.774:
	s_movk_i32 s7, 0x80
	v_cmp_ne_u16_e32 vcc, s7, v16
	v_mov_b32_e32 v15, 0xffff8000
	s_and_saveexec_b64 s[8:9], vcc
	s_cbranch_execz .LBB880_778
; %bb.775:
	v_bfe_u32 v16, v5, 16, 7
	s_movk_i32 s7, 0x7f
	v_cmp_ne_u32_e32 vcc, s7, v16
	v_mov_b32_e32 v15, 0x7f80
	s_and_saveexec_b64 s[10:11], vcc
	s_cbranch_execz .LBB880_777
; %bb.776:
	v_and_b32_e32 v15, 7, v2
	v_ffbh_u32_e32 v18, v15
	v_min_u32_e32 v20, 32, v18
	v_subrev_u32_e32 v18, 28, v20
	v_lshlrev_b64 v[18:19], v18, v[2:3]
	v_lshrrev_b32_e32 v17, 3, v16
	v_sub_u32_e32 v2, 29, v20
	v_and_b32_e32 v18, 7, v18
	v_cmp_gt_u32_e32 vcc, 8, v16
	v_mov_b32_e32 v16, 24
	v_cndmask_b32_e32 v2, v17, v2, vcc
	v_cndmask_b32_e32 v15, v15, v18, vcc
	v_lshlrev_b32_sdwa v16, v16, v5 dst_sel:DWORD dst_unused:UNUSED_PAD src0_sel:DWORD src1_sel:WORD_1
	v_bfrev_b32_e32 v17, 60
	v_lshlrev_b32_e32 v15, 20, v15
	v_and_b32_e32 v16, 0x80000000, v16
	v_lshl_add_u32 v2, v2, 23, v17
	v_or3_b32 v2, v16, v2, v15
	v_lshrrev_b32_e32 v15, 16, v2
.LBB880_777:
	s_or_b64 exec, exec, s[10:11]
.LBB880_778:
	s_or_b64 exec, exec, s[8:9]
.LBB880_779:
	s_or_b64 exec, exec, s[2:3]
	s_mov_b32 s2, 0xffffff
	v_cmp_lt_u32_e32 vcc, s2, v5
	s_and_saveexec_b64 s[2:3], vcc
	s_cbranch_execz .LBB880_785
; %bb.780:
	v_lshrrev_b32_e32 v2, 24, v5
	s_movk_i32 s7, 0x80
	v_cmp_ne_u32_e32 vcc, s7, v2
	v_mov_b32_e32 v14, 0xffff8000
	s_and_saveexec_b64 s[8:9], vcc
	s_cbranch_execz .LBB880_784
; %bb.781:
	v_bfe_u32 v5, v5, 24, 7
	s_movk_i32 s7, 0x7f
	v_cmp_ne_u32_e32 vcc, s7, v5
	v_mov_b32_e32 v14, 0x7f80
	s_and_saveexec_b64 s[10:11], vcc
	s_cbranch_execz .LBB880_783
; %bb.782:
	v_and_b32_e32 v14, 7, v2
	v_ffbh_u32_e32 v16, v14
	v_min_u32_e32 v19, 32, v16
	v_subrev_u32_e32 v16, 28, v19
	v_lshlrev_b64 v[16:17], v16, v[2:3]
	v_lshrrev_b32_e32 v18, 3, v5
	v_sub_u32_e32 v17, 29, v19
	v_and_b32_e32 v16, 7, v16
	v_cmp_gt_u32_e32 vcc, 8, v5
	v_cndmask_b32_e32 v5, v18, v17, vcc
	v_cndmask_b32_e32 v14, v14, v16, vcc
	v_lshlrev_b32_e32 v2, 24, v2
	v_bfrev_b32_e32 v16, 60
	v_lshlrev_b32_e32 v14, 20, v14
	v_and_b32_e32 v2, 0x80000000, v2
	v_lshl_add_u32 v5, v5, 23, v16
	v_or3_b32 v2, v2, v5, v14
	v_lshrrev_b32_e32 v14, 16, v2
.LBB880_783:
	s_or_b64 exec, exec, s[10:11]
.LBB880_784:
	s_or_b64 exec, exec, s[8:9]
.LBB880_785:
	s_or_b64 exec, exec, s[2:3]
	s_mov_b32 s3, 0x5040100
	v_perm_b32 v11, v11, v12, s3
	ds_read_b128 v[16:19], v22 offset:6160
	v_perm_b32 v10, v3, v10, s3
	v_perm_b32 v3, v14, v15, s3
	;; [unrolled: 1-line block ×3, first 2 shown]
	s_waitcnt lgkmcnt(0)
	v_mfma_f32_16x16x16bf16_1k v[6:9], v[10:11], v[16:17], v[6:9]
	s_load_dword s2, s[42:43], 0x0
	s_mov_b32 s3, 0x7060302
	s_movk_i32 s7, 0x7fff
	v_cmp_gt_u32_e32 vcc, 64, v0
	s_waitcnt lgkmcnt(0)
	s_barrier
	v_mfma_f32_16x16x16bf16_1k v[2:5], v[2:3], v[18:19], v[6:9]
	s_nop 7
	s_nop 2
	v_pk_mul_f32 v[4:5], v[4:5], s[2:3] op_sel_hi:[1,0]
	v_pk_mul_f32 v[2:3], v[2:3], s[2:3] op_sel_hi:[1,0]
	v_bfe_u32 v6, v3, 16, 1
	v_bfe_u32 v7, v2, 16, 1
	;; [unrolled: 1-line block ×4, first 2 shown]
	v_add3_u32 v2, v2, v7, s7
	v_add3_u32 v3, v3, v6, s7
	;; [unrolled: 1-line block ×4, first 2 shown]
	v_perm_b32 v2, v3, v2, s3
	v_perm_b32 v3, v5, v4, s3
	v_cmp_ne_u32_e64 s[2:3], 3, v47
	s_and_b64 s[2:3], s[2:3], vcc
	s_and_b64 s[0:1], s[2:3], s[0:1]
	ds_write_b64 v26, v[2:3]
	s_waitcnt lgkmcnt(0)
	s_barrier
	s_and_saveexec_b64 s[2:3], s[0:1]
	s_cbranch_execz .LBB880_787
; %bb.786:
	s_load_dwordx2 s[0:1], s[4:5], 0x68
	s_mul_i32 s2, s12, s6
	s_lshl_b32 s4, s44, 6
	s_mul_hi_u32 s3, s2, s4
	s_mul_i32 s2, s2, s4
	s_lshl_b64 s[2:3], s[2:3], 1
	s_waitcnt lgkmcnt(0)
	s_add_u32 s2, s0, s2
	v_lshlrev_b32_e32 v0, 10, v0
	s_addc_u32 s3, s1, s3
	s_lshl_b32 s0, s24, 6
	s_mov_b32 s1, 0
	v_and_b32_e32 v0, 0x1800, v0
	v_lshlrev_b32_e32 v2, 5, v47
	v_and_b32_e32 v3, 16, v48
	s_lshl_b64 s[0:1], s[0:1], 1
	v_or3_b32 v0, v0, v2, v3
	s_add_u32 s2, s2, s0
	ds_read_b128 v[2:5], v0
	s_addc_u32 s3, s3, s1
	v_mad_u64_u32 v[0:1], s[0:1], s4, v1, 0
	v_lshlrev_b64 v[0:1], 1, v[0:1]
	v_mov_b32_e32 v6, s3
	v_add_co_u32_e32 v0, vcc, s2, v0
	v_addc_co_u32_e32 v1, vcc, v6, v1, vcc
	v_add_co_u32_e32 v0, vcc, v0, v46
	v_addc_co_u32_e32 v1, vcc, 0, v1, vcc
	s_waitcnt lgkmcnt(0)
	global_store_dwordx4 v[0:1], v[2:5], off
.LBB880_787:
	s_endpgm
	.section	.rodata,"a",@progbits
	.p2align	6, 0x0
	.amdhsa_kernel _Z39paged_attention_ll4mi_QKV_mfma16_kernelI14__hip_bfloat16hLN4vllm18Fp8KVCacheDataTypeE1ES0_Li32ELi64ELi256ELb1ELi3EL8MFMAType0EEvPKT_PKT0_S9_ifPKiSB_SB_iPKfiiiPfSE_PS4_PT2_iSD_SD_
		.amdhsa_group_segment_fixed_size 8192
		.amdhsa_private_segment_fixed_size 0
		.amdhsa_kernarg_size 400
		.amdhsa_user_sgpr_count 6
		.amdhsa_user_sgpr_private_segment_buffer 1
		.amdhsa_user_sgpr_dispatch_ptr 0
		.amdhsa_user_sgpr_queue_ptr 0
		.amdhsa_user_sgpr_kernarg_segment_ptr 1
		.amdhsa_user_sgpr_dispatch_id 0
		.amdhsa_user_sgpr_flat_scratch_init 0
		.amdhsa_user_sgpr_kernarg_preload_length 0
		.amdhsa_user_sgpr_kernarg_preload_offset 0
		.amdhsa_user_sgpr_private_segment_size 0
		.amdhsa_uses_dynamic_stack 0
		.amdhsa_system_sgpr_private_segment_wavefront_offset 0
		.amdhsa_system_sgpr_workgroup_id_x 1
		.amdhsa_system_sgpr_workgroup_id_y 1
		.amdhsa_system_sgpr_workgroup_id_z 1
		.amdhsa_system_sgpr_workgroup_info 0
		.amdhsa_system_vgpr_workitem_id 0
		.amdhsa_next_free_vgpr 64
		.amdhsa_next_free_sgpr 47
		.amdhsa_accum_offset 64
		.amdhsa_reserve_vcc 1
		.amdhsa_reserve_flat_scratch 0
		.amdhsa_float_round_mode_32 0
		.amdhsa_float_round_mode_16_64 0
		.amdhsa_float_denorm_mode_32 3
		.amdhsa_float_denorm_mode_16_64 3
		.amdhsa_dx10_clamp 1
		.amdhsa_ieee_mode 1
		.amdhsa_fp16_overflow 0
		.amdhsa_tg_split 0
		.amdhsa_exception_fp_ieee_invalid_op 0
		.amdhsa_exception_fp_denorm_src 0
		.amdhsa_exception_fp_ieee_div_zero 0
		.amdhsa_exception_fp_ieee_overflow 0
		.amdhsa_exception_fp_ieee_underflow 0
		.amdhsa_exception_fp_ieee_inexact 0
		.amdhsa_exception_int_div_zero 0
	.end_amdhsa_kernel
	.section	.text._Z39paged_attention_ll4mi_QKV_mfma16_kernelI14__hip_bfloat16hLN4vllm18Fp8KVCacheDataTypeE1ES0_Li32ELi64ELi256ELb1ELi3EL8MFMAType0EEvPKT_PKT0_S9_ifPKiSB_SB_iPKfiiiPfSE_PS4_PT2_iSD_SD_,"axG",@progbits,_Z39paged_attention_ll4mi_QKV_mfma16_kernelI14__hip_bfloat16hLN4vllm18Fp8KVCacheDataTypeE1ES0_Li32ELi64ELi256ELb1ELi3EL8MFMAType0EEvPKT_PKT0_S9_ifPKiSB_SB_iPKfiiiPfSE_PS4_PT2_iSD_SD_,comdat
.Lfunc_end880:
	.size	_Z39paged_attention_ll4mi_QKV_mfma16_kernelI14__hip_bfloat16hLN4vllm18Fp8KVCacheDataTypeE1ES0_Li32ELi64ELi256ELb1ELi3EL8MFMAType0EEvPKT_PKT0_S9_ifPKiSB_SB_iPKfiiiPfSE_PS4_PT2_iSD_SD_, .Lfunc_end880-_Z39paged_attention_ll4mi_QKV_mfma16_kernelI14__hip_bfloat16hLN4vllm18Fp8KVCacheDataTypeE1ES0_Li32ELi64ELi256ELb1ELi3EL8MFMAType0EEvPKT_PKT0_S9_ifPKiSB_SB_iPKfiiiPfSE_PS4_PT2_iSD_SD_
                                        ; -- End function
	.section	.AMDGPU.csdata,"",@progbits
; Kernel info:
; codeLenInByte = 28668
; NumSgprs: 51
; NumVgprs: 64
; NumAgprs: 0
; TotalNumVgprs: 64
; ScratchSize: 0
; MemoryBound: 0
; FloatMode: 240
; IeeeMode: 1
; LDSByteSize: 8192 bytes/workgroup (compile time only)
; SGPRBlocks: 6
; VGPRBlocks: 7
; NumSGPRsForWavesPerEU: 51
; NumVGPRsForWavesPerEU: 64
; AccumOffset: 64
; Occupancy: 8
; WaveLimiterHint : 1
; COMPUTE_PGM_RSRC2:SCRATCH_EN: 0
; COMPUTE_PGM_RSRC2:USER_SGPR: 6
; COMPUTE_PGM_RSRC2:TRAP_HANDLER: 0
; COMPUTE_PGM_RSRC2:TGID_X_EN: 1
; COMPUTE_PGM_RSRC2:TGID_Y_EN: 1
; COMPUTE_PGM_RSRC2:TGID_Z_EN: 1
; COMPUTE_PGM_RSRC2:TIDIG_COMP_CNT: 0
; COMPUTE_PGM_RSRC3_GFX90A:ACCUM_OFFSET: 15
; COMPUTE_PGM_RSRC3_GFX90A:TG_SPLIT: 0
	.section	.text._Z39paged_attention_ll4mi_QKV_mfma16_kernelI14__hip_bfloat16hLN4vllm18Fp8KVCacheDataTypeE1ES0_Li32ELi64ELi256ELb1ELi4EL8MFMAType0EEvPKT_PKT0_S9_ifPKiSB_SB_iPKfiiiPfSE_PS4_PT2_iSD_SD_,"axG",@progbits,_Z39paged_attention_ll4mi_QKV_mfma16_kernelI14__hip_bfloat16hLN4vllm18Fp8KVCacheDataTypeE1ES0_Li32ELi64ELi256ELb1ELi4EL8MFMAType0EEvPKT_PKT0_S9_ifPKiSB_SB_iPKfiiiPfSE_PS4_PT2_iSD_SD_,comdat
	.protected	_Z39paged_attention_ll4mi_QKV_mfma16_kernelI14__hip_bfloat16hLN4vllm18Fp8KVCacheDataTypeE1ES0_Li32ELi64ELi256ELb1ELi4EL8MFMAType0EEvPKT_PKT0_S9_ifPKiSB_SB_iPKfiiiPfSE_PS4_PT2_iSD_SD_ ; -- Begin function _Z39paged_attention_ll4mi_QKV_mfma16_kernelI14__hip_bfloat16hLN4vllm18Fp8KVCacheDataTypeE1ES0_Li32ELi64ELi256ELb1ELi4EL8MFMAType0EEvPKT_PKT0_S9_ifPKiSB_SB_iPKfiiiPfSE_PS4_PT2_iSD_SD_
	.globl	_Z39paged_attention_ll4mi_QKV_mfma16_kernelI14__hip_bfloat16hLN4vllm18Fp8KVCacheDataTypeE1ES0_Li32ELi64ELi256ELb1ELi4EL8MFMAType0EEvPKT_PKT0_S9_ifPKiSB_SB_iPKfiiiPfSE_PS4_PT2_iSD_SD_
	.p2align	8
	.type	_Z39paged_attention_ll4mi_QKV_mfma16_kernelI14__hip_bfloat16hLN4vllm18Fp8KVCacheDataTypeE1ES0_Li32ELi64ELi256ELb1ELi4EL8MFMAType0EEvPKT_PKT0_S9_ifPKiSB_SB_iPKfiiiPfSE_PS4_PT2_iSD_SD_,@function
_Z39paged_attention_ll4mi_QKV_mfma16_kernelI14__hip_bfloat16hLN4vllm18Fp8KVCacheDataTypeE1ES0_Li32ELi64ELi256ELb1ELi4EL8MFMAType0EEvPKT_PKT0_S9_ifPKiSB_SB_iPKfiiiPfSE_PS4_PT2_iSD_SD_: ; @_Z39paged_attention_ll4mi_QKV_mfma16_kernelI14__hip_bfloat16hLN4vllm18Fp8KVCacheDataTypeE1ES0_Li32ELi64ELi256ELb1ELi4EL8MFMAType0EEvPKT_PKT0_S9_ifPKiSB_SB_iPKfiiiPfSE_PS4_PT2_iSD_SD_
; %bb.0:
	s_load_dwordx2 s[0:1], s[4:5], 0x30
	s_mov_b32 s22, s7
	s_mov_b64 s[10:11], 0
	s_waitcnt lgkmcnt(0)
	s_cmp_lg_u64 s[0:1], 0
	s_cselect_b64 s[2:3], -1, 0
	s_and_b64 vcc, exec, s[2:3]
	s_cbranch_vccz .LBB881_7
; %bb.1:
	s_add_i32 s12, s6, 1
	s_mov_b32 s13, 0
	s_lshl_b64 s[14:15], s[12:13], 2
	s_add_u32 s14, s0, s14
	s_mov_b32 s7, s13
	s_addc_u32 s15, s1, s15
	s_lshl_b64 s[12:13], s[6:7], 2
	s_add_u32 s12, s0, s12
	s_addc_u32 s13, s1, s13
	s_load_dword s9, s[14:15], 0x0
	s_load_dword s16, s[12:13], 0x0
	s_waitcnt lgkmcnt(0)
	s_sub_i32 s9, s9, s16
	s_cmp_eq_u32 s9, 1
	s_cselect_b64 s[12:13], -1, 0
	s_andn2_b64 vcc, exec, s[10:11]
	s_cbranch_vccnz .LBB881_3
.LBB881_2:
	s_mov_b32 s7, 0
	s_mov_b64 s[12:13], -1
.LBB881_3:
	s_andn2_b64 vcc, exec, s[12:13]
	s_cbranch_vccnz .LBB881_787
; %bb.4:
	s_load_dwordx2 s[12:13], s[4:5], 0x28
	s_lshl_b64 s[10:11], s[6:7], 2
	s_waitcnt lgkmcnt(0)
	s_add_u32 s12, s12, s10
	s_addc_u32 s13, s13, s11
	s_load_dword s33, s[12:13], 0x0
	s_lshl_b32 s18, s22, 8
	s_waitcnt lgkmcnt(0)
	s_cmp_ge_i32 s18, s33
	s_cbranch_scc1 .LBB881_787
; %bb.5:
	s_add_i32 s14, s33, 31
	s_load_dwordx2 s[12:13], s[4:5], 0x20
	s_load_dword s9, s[4:5], 0x38
	s_ashr_i32 s15, s14, 31
	v_and_b32_e32 v1, 0xcf, v0
	s_lshr_b32 s15, s15, 27
	v_add_u32_e32 v1, s18, v1
	s_add_i32 s14, s14, s15
	v_ashrrev_i32_e32 v2, 31, v1
	s_ashr_i32 s20, s14, 5
	v_lshrrev_b32_e32 v4, 27, v2
	s_add_i32 s20, s20, -1
	v_add_u32_e32 v2, v1, v4
	s_waitcnt lgkmcnt(0)
	s_mul_i32 s14, s6, s9
	s_mov_b32 s15, 0
	v_ashrrev_i32_e32 v2, 5, v2
	v_mov_b32_e32 v5, s20
	v_cmp_gt_i32_e32 vcc, s33, v1
	s_lshl_b64 s[14:15], s[14:15], 2
	v_cndmask_b32_e32 v2, v5, v2, vcc
	s_add_u32 s9, s12, s14
	v_ashrrev_i32_e32 v3, 31, v2
	s_addc_u32 s19, s13, s15
	v_lshlrev_b64 v[2:3], 2, v[2:3]
	v_mov_b32_e32 v7, s19
	v_add_co_u32_e32 v6, vcc, s9, v2
	v_or_b32_e32 v2, 16, v1
	v_addc_co_u32_e32 v7, vcc, v7, v3, vcc
	v_add_u32_e32 v3, v2, v4
	v_ashrrev_i32_e32 v3, 5, v3
	v_cmp_gt_i32_e32 vcc, s33, v2
	v_cndmask_b32_e32 v2, v5, v3, vcc
	v_ashrrev_i32_e32 v3, 31, v2
	v_lshlrev_b64 v[2:3], 2, v[2:3]
	v_mov_b32_e32 v9, s19
	v_add_co_u32_e32 v8, vcc, s9, v2
	v_or_b32_e32 v2, 32, v1
	v_addc_co_u32_e32 v9, vcc, v9, v3, vcc
	v_add_u32_e32 v3, v2, v4
	v_ashrrev_i32_e32 v3, 5, v3
	v_cmp_gt_i32_e32 vcc, s33, v2
	v_cndmask_b32_e32 v2, v5, v3, vcc
	v_ashrrev_i32_e32 v3, 31, v2
	;; [unrolled: 10-line block ×3, first 2 shown]
	v_lshlrev_b64 v[2:3], 2, v[2:3]
	v_mov_b32_e32 v1, s19
	v_add_co_u32_e32 v12, vcc, s9, v2
	v_addc_co_u32_e32 v13, vcc, v1, v3, vcc
	global_load_dword v5, v[6:7], off
	global_load_dword v4, v[8:9], off
	;; [unrolled: 1-line block ×4, first 2 shown]
	s_load_dwordx2 s[16:17], s[4:5], 0x8
	s_andn2_b64 vcc, exec, s[2:3]
	s_cbranch_vccnz .LBB881_8
; %bb.6:
	s_add_u32 s0, s0, s10
	s_addc_u32 s1, s1, s11
	s_load_dword s10, s[0:1], 0x0
	s_branch .LBB881_9
.LBB881_7:
	s_mov_b64 s[12:13], 0
	s_branch .LBB881_2
.LBB881_8:
	s_mov_b32 s10, s6
.LBB881_9:
	s_load_dwordx2 s[2:3], s[4:5], 0x10
	s_load_dwordx4 s[12:15], s[4:5], 0x48
	v_and_b32_e32 v52, 15, v0
	v_bfe_u32 v49, v0, 4, 2
	s_lshl_b32 s23, s8, 2
	v_lshlrev_b32_e32 v6, 3, v52
	v_cmp_gt_u32_e32 vcc, 64, v0
	v_cmp_gt_u32_e64 s[0:1], 8, v52
	v_lshrrev_b32_e32 v51, 6, v0
	v_or_b32_e32 v1, s23, v49
	s_and_b64 s[44:45], vcc, s[0:1]
	v_lshlrev_b32_e32 v46, 1, v6
	v_lshlrev_b32_e32 v47, 5, v49
	;; [unrolled: 1-line block ×3, first 2 shown]
	s_and_saveexec_b64 s[0:1], s[44:45]
	s_cbranch_execz .LBB881_11
; %bb.10:
	s_load_dwordx2 s[24:25], s[4:5], 0x0
	s_waitcnt lgkmcnt(0)
	s_ashr_i32 s11, s12, 31
	s_mul_hi_u32 s15, s10, s12
	s_mul_i32 s11, s10, s11
	s_add_i32 s11, s15, s11
	s_mul_i32 s10, s10, s12
	s_lshl_b64 s[10:11], s[10:11], 1
	v_lshlrev_b32_e32 v6, 6, v1
	s_add_u32 s10, s24, s10
	v_ashrrev_i32_e32 v7, 31, v6
	s_addc_u32 s11, s25, s11
	v_lshlrev_b64 v[6:7], 1, v[6:7]
	v_mov_b32_e32 v8, s11
	v_add_co_u32_e32 v6, vcc, s10, v6
	v_addc_co_u32_e32 v7, vcc, v8, v7, vcc
	v_add_co_u32_e32 v6, vcc, v6, v46
	v_addc_co_u32_e32 v7, vcc, 0, v7, vcc
	global_load_dwordx4 v[6:9], v[6:7], off
	v_lshlrev_b32_e32 v12, 8, v52
	v_lshl_or_b32 v10, v51, 7, v47
	v_and_b32_e32 v11, 16, v48
	v_and_b32_e32 v12, 0xe00, v12
	v_or3_b32 v10, v12, v10, v11
	s_waitcnt vmcnt(0)
	ds_write_b128 v10, v[6:9]
.LBB881_11:
	s_or_b64 exec, exec, s[0:1]
	s_waitcnt lgkmcnt(0)
	s_mul_i32 s8, s8, s14
	s_add_u32 s0, s16, s8
	s_addc_u32 s1, s17, 0
	v_pk_mov_b32 v[8:9], s[0:1], s[0:1] op_sel:[0,1]
	s_waitcnt vmcnt(3)
	v_mad_i64_i32 v[10:11], s[0:1], v5, s13, v[8:9]
	v_lshlrev_b32_e32 v12, 4, v52
	v_and_b32_e32 v6, 48, v0
	v_add_co_u32_e32 v5, vcc, v10, v12
	v_lshlrev_b32_e32 v7, 5, v6
	v_addc_co_u32_e32 v11, vcc, 0, v11, vcc
	v_add_co_u32_e32 v10, vcc, v5, v7
	v_addc_co_u32_e32 v11, vcc, 0, v11, vcc
	s_waitcnt vmcnt(2)
	v_mad_i64_i32 v[4:5], s[0:1], v4, s13, v[8:9]
	v_or_b32_e32 v13, 0x100, v12
	v_add_co_u32_e32 v4, vcc, v4, v13
	v_addc_co_u32_e32 v5, vcc, 0, v5, vcc
	v_add_co_u32_e32 v4, vcc, v4, v7
	v_addc_co_u32_e32 v5, vcc, 0, v5, vcc
	s_barrier
	global_load_dwordx4 v[34:37], v[10:11], off
	global_load_dwordx4 v[38:41], v[4:5], off
	s_waitcnt vmcnt(3)
	v_mad_i64_i32 v[4:5], s[0:1], v3, s13, v[8:9]
	v_add_co_u32_e32 v3, vcc, v4, v12
	v_addc_co_u32_e32 v5, vcc, 0, v5, vcc
	v_add_co_u32_e32 v4, vcc, v3, v7
	v_addc_co_u32_e32 v5, vcc, 0, v5, vcc
	s_waitcnt vmcnt(2)
	v_mad_i64_i32 v[2:3], s[0:1], v2, s13, v[8:9]
	v_add_co_u32_e32 v2, vcc, v2, v13
	v_addc_co_u32_e32 v3, vcc, 0, v3, vcc
	v_add_co_u32_e32 v2, vcc, v2, v7
	v_addc_co_u32_e32 v3, vcc, 0, v3, vcc
	global_load_dwordx4 v[30:33], v[4:5], off
	global_load_dwordx4 v[22:25], v[2:3], off
	v_and_b32_e32 v2, 3, v0
	v_lshlrev_b32_e32 v2, 5, v2
	v_lshl_or_b32 v2, v49, 9, v2
	ds_read_b128 v[26:29], v2
	ds_read_b128 v[18:21], v2 offset:16
	v_cmp_gt_u32_e32 vcc, 4, v52
	v_mov_b32_e32 v43, 0
	v_mov_b32_e32 v53, 0
	s_and_saveexec_b64 s[0:1], vcc
	s_cbranch_execz .LBB881_13
; %bb.12:
	s_load_dwordx2 s[10:11], s[4:5], 0x40
	v_or_b32_e32 v2, s23, v52
	v_ashrrev_i32_e32 v3, 31, v2
	v_lshlrev_b64 v[2:3], 2, v[2:3]
	s_waitcnt lgkmcnt(0)
	v_mov_b32_e32 v4, s11
	v_add_co_u32_e32 v2, vcc, s10, v2
	v_addc_co_u32_e32 v3, vcc, v4, v3, vcc
	global_load_dword v53, v[2:3], off
.LBB881_13:
	s_or_b64 exec, exec, s[0:1]
	s_ashr_i32 s0, s18, 31
	v_or_b32_e32 v8, s18, v6
	s_lshr_b32 s0, s0, 27
	v_add_u32_e32 v2, s0, v8
	v_ashrrev_i32_e32 v2, 5, v2
	v_mov_b32_e32 v9, s20
	v_cmp_gt_i32_e32 vcc, s33, v8
	v_cndmask_b32_e32 v2, v9, v2, vcc
	v_ashrrev_i32_e32 v3, 31, v2
	v_lshlrev_b64 v[2:3], 2, v[2:3]
	v_mov_b32_e32 v4, s19
	v_add_co_u32_e32 v2, vcc, s9, v2
	v_addc_co_u32_e32 v3, vcc, v4, v3, vcc
	v_or_b32_e32 v4, 64, v8
	v_add_u32_e32 v5, s0, v4
	v_ashrrev_i32_e32 v5, 5, v5
	v_cmp_gt_i32_e32 vcc, s33, v4
	v_cndmask_b32_e32 v4, v9, v5, vcc
	v_ashrrev_i32_e32 v5, 31, v4
	v_lshlrev_b64 v[4:5], 2, v[4:5]
	v_mov_b32_e32 v6, s19
	v_add_co_u32_e32 v4, vcc, s9, v4
	v_addc_co_u32_e32 v5, vcc, v6, v5, vcc
	v_or_b32_e32 v6, 0x80, v8
	v_add_u32_e32 v7, s0, v6
	v_ashrrev_i32_e32 v7, 5, v7
	v_cmp_gt_i32_e32 vcc, s33, v6
	v_cndmask_b32_e32 v6, v9, v7, vcc
	v_ashrrev_i32_e32 v7, 31, v6
	v_lshlrev_b64 v[6:7], 2, v[6:7]
	v_mov_b32_e32 v10, s19
	v_add_co_u32_e32 v6, vcc, s9, v6
	v_addc_co_u32_e32 v7, vcc, v10, v7, vcc
	global_load_dword v10, v[2:3], off
	global_load_dword v11, v[4:5], off
	;; [unrolled: 1-line block ×3, first 2 shown]
	v_or_b32_e32 v2, 0xc0, v8
	v_add_u32_e32 v3, s0, v2
	v_ashrrev_i32_e32 v3, 5, v3
	v_cmp_gt_i32_e32 vcc, s33, v2
	v_cndmask_b32_e32 v2, v9, v3, vcc
	v_ashrrev_i32_e32 v3, 31, v2
	v_lshlrev_b64 v[2:3], 2, v[2:3]
	v_mov_b32_e32 v4, s19
	v_add_co_u32_e32 v2, vcc, s9, v2
	v_addc_co_u32_e32 v3, vcc, v4, v3, vcc
	global_load_dword v13, v[2:3], off
	s_add_u32 s0, s2, s8
	v_and_b32_e32 v2, 16, v0
	s_addc_u32 s1, s3, 0
	v_lshlrev_b32_e32 v50, 5, v52
	v_mov_b32_e32 v4, s1
	v_add_co_u32_e32 v2, vcc, s0, v2
	v_lshl_or_b32 v3, v51, 9, v50
	v_addc_co_u32_e32 v4, vcc, 0, v4, vcc
	v_add_co_u32_e32 v2, vcc, v2, v3
	v_addc_co_u32_e32 v3, vcc, 0, v4, vcc
	s_movk_i32 s2, 0x80
	s_waitcnt vmcnt(7)
	v_cmp_ne_u16_sdwa s[8:9], v34, v43 src0_sel:BYTE_0 src1_sel:DWORD
	s_waitcnt vmcnt(3)
	v_mad_i64_i32 v[4:5], s[0:1], v10, s13, v[2:3]
	s_waitcnt vmcnt(2)
	v_mad_i64_i32 v[6:7], s[0:1], v11, s13, v[2:3]
	;; [unrolled: 2-line block ×4, first 2 shown]
	global_load_dwordx4 v[14:17], v[4:5], off
	global_load_dwordx4 v[10:13], v[6:7], off
	s_nop 0
	global_load_dwordx4 v[6:9], v[8:9], off
	s_nop 0
	global_load_dwordx4 v[2:5], v[2:3], off
	s_load_dwordx4 s[40:43], s[4:5], 0x80
	s_load_dwordx2 s[46:47], s[4:5], 0x94
	s_waitcnt lgkmcnt(0)
	s_load_dword s10, s[40:41], 0x0
	s_and_saveexec_b64 s[0:1], s[8:9]
	s_cbranch_execz .LBB881_19
; %bb.14:
	v_cmp_ne_u16_sdwa s[8:9], v34, s2 src0_sel:BYTE_0 src1_sel:DWORD
	v_mov_b32_e32 v43, 0xffff8000
	s_and_saveexec_b64 s[2:3], s[8:9]
	s_cbranch_execz .LBB881_18
; %bb.15:
	s_movk_i32 s8, 0x7f
	v_and_b32_e32 v42, 0x7f, v34
	v_cmp_ne_u32_e32 vcc, s8, v42
	v_mov_b32_e32 v43, 0x7f80
	s_and_saveexec_b64 s[8:9], vcc
	s_cbranch_execz .LBB881_17
; %bb.16:
	v_and_b32_e32 v43, 7, v34
	v_ffbh_u32_e32 v44, v43
	v_min_u32_e32 v55, 32, v44
	v_subrev_u32_e32 v44, 28, v55
	v_lshlrev_b64 v[44:45], v44, v[34:35]
	v_lshrrev_b32_e32 v54, 3, v42
	v_sub_u32_e32 v45, 29, v55
	v_and_b32_e32 v44, 7, v44
	v_cmp_gt_u32_e32 vcc, 8, v42
	v_cndmask_b32_e32 v42, v54, v45, vcc
	v_cndmask_b32_e32 v43, v43, v44, vcc
	v_lshlrev_b32_e32 v44, 24, v34
	v_bfrev_b32_e32 v45, 60
	v_lshlrev_b32_e32 v43, 20, v43
	v_and_b32_e32 v44, 0x80000000, v44
	v_lshl_add_u32 v42, v42, 23, v45
	v_or3_b32 v42, v44, v42, v43
	v_lshrrev_b32_e32 v43, 16, v42
.LBB881_17:
	s_or_b64 exec, exec, s[8:9]
.LBB881_18:
	s_or_b64 exec, exec, s[2:3]
.LBB881_19:
	s_or_b64 exec, exec, s[0:1]
	v_lshrrev_b16_e32 v42, 8, v34
	v_cmp_ne_u16_e32 vcc, 0, v42
	v_mov_b32_e32 v45, 0
	v_mov_b32_e32 v44, 0
	s_and_saveexec_b64 s[0:1], vcc
	s_cbranch_execz .LBB881_25
; %bb.20:
	s_movk_i32 s2, 0x80
	v_cmp_ne_u16_e32 vcc, s2, v42
	v_mov_b32_e32 v44, 0xffff8000
	s_and_saveexec_b64 s[2:3], vcc
	s_cbranch_execz .LBB881_24
; %bb.21:
	s_movk_i32 s8, 0x7f
	v_and_b32_e32 v54, 0x7f, v42
	v_cmp_ne_u32_e32 vcc, s8, v54
	v_mov_b32_e32 v44, 0x7f80
	s_and_saveexec_b64 s[8:9], vcc
	s_cbranch_execz .LBB881_23
; %bb.22:
	v_and_b32_e32 v44, 7, v42
	v_ffbh_u32_e32 v56, v44
	v_min_u32_e32 v58, 32, v56
	v_subrev_u32_e32 v56, 28, v58
	v_lshlrev_b64 v[56:57], v56, v[42:43]
	v_lshrrev_b32_e32 v55, 3, v54
	v_sub_u32_e32 v42, 29, v58
	v_and_b32_e32 v56, 7, v56
	v_cmp_gt_u32_e32 vcc, 8, v54
	v_cndmask_b32_e32 v42, v55, v42, vcc
	v_cndmask_b32_e32 v44, v44, v56, vcc
	v_lshlrev_b32_e32 v54, 16, v34
	v_bfrev_b32_e32 v55, 60
	v_lshlrev_b32_e32 v44, 20, v44
	v_and_b32_e32 v54, 0x80000000, v54
	v_lshl_add_u32 v42, v42, 23, v55
	v_or3_b32 v42, v54, v42, v44
	v_lshrrev_b32_e32 v44, 16, v42
.LBB881_23:
	s_or_b64 exec, exec, s[8:9]
.LBB881_24:
	s_or_b64 exec, exec, s[2:3]
.LBB881_25:
	s_or_b64 exec, exec, s[0:1]
	s_movk_i32 s0, 0xff
	v_and_b32_sdwa v54, v34, s0 dst_sel:DWORD dst_unused:UNUSED_PAD src0_sel:WORD_1 src1_sel:DWORD
	v_lshrrev_b32_e32 v42, 16, v34
	v_cmp_ne_u16_e32 vcc, 0, v54
	s_and_saveexec_b64 s[0:1], vcc
	s_cbranch_execz .LBB881_31
; %bb.26:
	s_movk_i32 s2, 0x80
	v_cmp_ne_u16_e32 vcc, s2, v54
	v_mov_b32_e32 v45, 0xffff8000
	s_and_saveexec_b64 s[2:3], vcc
	s_cbranch_execz .LBB881_30
; %bb.27:
	v_bfe_u32 v54, v34, 16, 7
	s_movk_i32 s8, 0x7f
	v_cmp_ne_u32_e32 vcc, s8, v54
	v_mov_b32_e32 v45, 0x7f80
	s_and_saveexec_b64 s[8:9], vcc
	s_cbranch_execz .LBB881_29
; %bb.28:
	v_and_b32_e32 v45, 7, v42
	v_ffbh_u32_e32 v56, v45
	v_min_u32_e32 v58, 32, v56
	v_subrev_u32_e32 v56, 28, v58
	v_lshlrev_b64 v[56:57], v56, v[42:43]
	v_lshrrev_b32_e32 v55, 3, v54
	v_sub_u32_e32 v42, 29, v58
	v_and_b32_e32 v56, 7, v56
	v_cmp_gt_u32_e32 vcc, 8, v54
	v_mov_b32_e32 v54, 24
	v_cndmask_b32_e32 v42, v55, v42, vcc
	v_cndmask_b32_e32 v45, v45, v56, vcc
	v_lshlrev_b32_sdwa v54, v54, v34 dst_sel:DWORD dst_unused:UNUSED_PAD src0_sel:DWORD src1_sel:WORD_1
	v_bfrev_b32_e32 v55, 60
	v_lshlrev_b32_e32 v45, 20, v45
	v_and_b32_e32 v54, 0x80000000, v54
	v_lshl_add_u32 v42, v42, 23, v55
	v_or3_b32 v42, v54, v42, v45
	v_lshrrev_b32_e32 v45, 16, v42
.LBB881_29:
	s_or_b64 exec, exec, s[8:9]
.LBB881_30:
	s_or_b64 exec, exec, s[2:3]
.LBB881_31:
	s_or_b64 exec, exec, s[0:1]
	s_mov_b32 s0, 0xffffff
	v_cmp_lt_u32_e32 vcc, s0, v34
	v_mov_b32_e32 v55, 0
	v_mov_b32_e32 v56, 0
	s_and_saveexec_b64 s[0:1], vcc
	s_cbranch_execz .LBB881_37
; %bb.32:
	v_lshrrev_b32_e32 v42, 24, v34
	s_movk_i32 s2, 0x80
	v_cmp_ne_u32_e32 vcc, s2, v42
	v_mov_b32_e32 v56, 0xffff8000
	s_and_saveexec_b64 s[2:3], vcc
	s_cbranch_execz .LBB881_36
; %bb.33:
	v_bfe_u32 v34, v34, 24, 7
	s_movk_i32 s8, 0x7f
	v_cmp_ne_u32_e32 vcc, s8, v34
	v_mov_b32_e32 v56, 0x7f80
	s_and_saveexec_b64 s[8:9], vcc
	s_cbranch_execz .LBB881_35
; %bb.34:
	v_and_b32_e32 v54, 7, v42
	v_ffbh_u32_e32 v56, v54
	v_min_u32_e32 v59, 32, v56
	v_subrev_u32_e32 v56, 28, v59
	v_lshlrev_b64 v[56:57], v56, v[42:43]
	v_lshrrev_b32_e32 v58, 3, v34
	v_sub_u32_e32 v57, 29, v59
	v_and_b32_e32 v56, 7, v56
	v_cmp_gt_u32_e32 vcc, 8, v34
	v_cndmask_b32_e32 v34, v58, v57, vcc
	v_cndmask_b32_e32 v54, v54, v56, vcc
	v_lshlrev_b32_e32 v42, 24, v42
	v_bfrev_b32_e32 v56, 60
	v_lshlrev_b32_e32 v54, 20, v54
	v_and_b32_e32 v42, 0x80000000, v42
	v_lshl_add_u32 v34, v34, 23, v56
	v_or3_b32 v34, v42, v34, v54
	v_lshrrev_b32_e32 v56, 16, v34
.LBB881_35:
	s_or_b64 exec, exec, s[8:9]
.LBB881_36:
	s_or_b64 exec, exec, s[2:3]
.LBB881_37:
	s_or_b64 exec, exec, s[0:1]
	v_cmp_ne_u16_sdwa s[2:3], v35, v55 src0_sel:BYTE_0 src1_sel:DWORD
	s_and_saveexec_b64 s[0:1], s[2:3]
	s_cbranch_execz .LBB881_43
; %bb.38:
	s_movk_i32 s2, 0x80
	v_cmp_ne_u16_sdwa s[8:9], v35, s2 src0_sel:BYTE_0 src1_sel:DWORD
	v_mov_b32_e32 v55, 0xffff8000
	s_and_saveexec_b64 s[2:3], s[8:9]
	s_cbranch_execz .LBB881_42
; %bb.39:
	s_movk_i32 s8, 0x7f
	v_and_b32_e32 v34, 0x7f, v35
	v_cmp_ne_u32_e32 vcc, s8, v34
	v_mov_b32_e32 v55, 0x7f80
	s_and_saveexec_b64 s[8:9], vcc
	s_cbranch_execz .LBB881_41
; %bb.40:
	v_and_b32_e32 v57, 7, v35
	v_ffbh_u32_e32 v54, v57
	v_min_u32_e32 v59, 32, v54
	v_mov_b32_e32 v42, v35
	v_subrev_u32_e32 v54, 28, v59
	v_lshlrev_b64 v[54:55], v54, v[42:43]
	v_lshrrev_b32_e32 v58, 3, v34
	v_sub_u32_e32 v42, 29, v59
	v_and_b32_e32 v54, 7, v54
	v_cmp_gt_u32_e32 vcc, 8, v34
	v_cndmask_b32_e32 v34, v58, v42, vcc
	v_cndmask_b32_e32 v42, v57, v54, vcc
	v_lshlrev_b32_e32 v54, 24, v35
	v_bfrev_b32_e32 v55, 60
	v_lshlrev_b32_e32 v42, 20, v42
	v_and_b32_e32 v54, 0x80000000, v54
	v_lshl_add_u32 v34, v34, 23, v55
	v_or3_b32 v34, v54, v34, v42
	v_lshrrev_b32_e32 v55, 16, v34
.LBB881_41:
	s_or_b64 exec, exec, s[8:9]
.LBB881_42:
	s_or_b64 exec, exec, s[2:3]
.LBB881_43:
	s_or_b64 exec, exec, s[0:1]
	v_lshrrev_b16_e32 v34, 8, v35
	v_cmp_ne_u16_e32 vcc, 0, v34
	v_mov_b32_e32 v57, 0
	v_mov_b32_e32 v42, 0
	s_and_saveexec_b64 s[0:1], vcc
	s_cbranch_execz .LBB881_49
; %bb.44:
	s_movk_i32 s2, 0x80
	v_cmp_ne_u16_e32 vcc, s2, v34
	v_mov_b32_e32 v42, 0xffff8000
	s_and_saveexec_b64 s[2:3], vcc
	s_cbranch_execz .LBB881_48
; %bb.45:
	s_movk_i32 s8, 0x7f
	v_and_b32_e32 v54, 0x7f, v34
	v_cmp_ne_u32_e32 vcc, s8, v54
	v_mov_b32_e32 v42, 0x7f80
	s_and_saveexec_b64 s[8:9], vcc
	s_cbranch_execz .LBB881_47
; %bb.46:
	v_and_b32_e32 v42, 7, v34
	v_ffbh_u32_e32 v58, v42
	v_min_u32_e32 v61, 32, v58
	v_subrev_u32_e32 v58, 28, v61
	v_lshlrev_b64 v[58:59], v58, v[34:35]
	v_lshrrev_b32_e32 v60, 3, v54
	v_sub_u32_e32 v34, 29, v61
	v_and_b32_e32 v58, 7, v58
	v_cmp_gt_u32_e32 vcc, 8, v54
	v_cndmask_b32_e32 v34, v60, v34, vcc
	v_cndmask_b32_e32 v42, v42, v58, vcc
	v_lshlrev_b32_e32 v54, 16, v35
	v_bfrev_b32_e32 v58, 60
	v_lshlrev_b32_e32 v42, 20, v42
	v_and_b32_e32 v54, 0x80000000, v54
	v_lshl_add_u32 v34, v34, 23, v58
	v_or3_b32 v34, v54, v34, v42
	v_lshrrev_b32_e32 v42, 16, v34
.LBB881_47:
	s_or_b64 exec, exec, s[8:9]
.LBB881_48:
	s_or_b64 exec, exec, s[2:3]
.LBB881_49:
	s_or_b64 exec, exec, s[0:1]
	s_movk_i32 s0, 0xff
	v_and_b32_sdwa v54, v35, s0 dst_sel:DWORD dst_unused:UNUSED_PAD src0_sel:WORD_1 src1_sel:DWORD
	v_lshrrev_b32_e32 v34, 16, v35
	v_cmp_ne_u16_e32 vcc, 0, v54
	s_and_saveexec_b64 s[0:1], vcc
	s_cbranch_execz .LBB881_55
; %bb.50:
	s_movk_i32 s2, 0x80
	v_cmp_ne_u16_e32 vcc, s2, v54
	v_mov_b32_e32 v57, 0xffff8000
	s_and_saveexec_b64 s[2:3], vcc
	s_cbranch_execz .LBB881_54
; %bb.51:
	v_bfe_u32 v54, v35, 16, 7
	s_movk_i32 s8, 0x7f
	v_cmp_ne_u32_e32 vcc, s8, v54
	v_mov_b32_e32 v57, 0x7f80
	s_and_saveexec_b64 s[8:9], vcc
	s_cbranch_execz .LBB881_53
; %bb.52:
	v_and_b32_e32 v57, 7, v34
	v_ffbh_u32_e32 v58, v57
	v_min_u32_e32 v61, 32, v58
	v_subrev_u32_e32 v58, 28, v61
	v_lshlrev_b64 v[58:59], v58, v[34:35]
	v_and_b32_e32 v58, 7, v58
	v_cmp_gt_u32_e32 vcc, 8, v54
	v_lshrrev_b32_e32 v60, 3, v54
	v_sub_u32_e32 v34, 29, v61
	v_cndmask_b32_e32 v54, v57, v58, vcc
	v_mov_b32_e32 v57, 24
	v_cndmask_b32_e32 v34, v60, v34, vcc
	v_lshlrev_b32_sdwa v57, v57, v35 dst_sel:DWORD dst_unused:UNUSED_PAD src0_sel:DWORD src1_sel:WORD_1
	v_bfrev_b32_e32 v58, 60
	v_lshlrev_b32_e32 v54, 20, v54
	v_and_b32_e32 v57, 0x80000000, v57
	v_lshl_add_u32 v34, v34, 23, v58
	v_or3_b32 v34, v57, v34, v54
	v_lshrrev_b32_e32 v57, 16, v34
.LBB881_53:
	s_or_b64 exec, exec, s[8:9]
.LBB881_54:
	s_or_b64 exec, exec, s[2:3]
.LBB881_55:
	s_or_b64 exec, exec, s[0:1]
	s_mov_b32 s0, 0xffffff
	v_cmp_lt_u32_e32 vcc, s0, v35
	v_mov_b32_e32 v54, 0
	v_mov_b32_e32 v58, 0
	s_and_saveexec_b64 s[0:1], vcc
	s_cbranch_execz .LBB881_61
; %bb.56:
	v_lshrrev_b32_e32 v34, 24, v35
	s_movk_i32 s2, 0x80
	v_cmp_ne_u32_e32 vcc, s2, v34
	v_mov_b32_e32 v58, 0xffff8000
	s_and_saveexec_b64 s[2:3], vcc
	s_cbranch_execz .LBB881_60
; %bb.57:
	v_bfe_u32 v35, v35, 24, 7
	s_movk_i32 s8, 0x7f
	v_cmp_ne_u32_e32 vcc, s8, v35
	v_mov_b32_e32 v58, 0x7f80
	s_and_saveexec_b64 s[8:9], vcc
	s_cbranch_execz .LBB881_59
; %bb.58:
	v_and_b32_e32 v60, 7, v34
	v_ffbh_u32_e32 v58, v60
	v_min_u32_e32 v62, 32, v58
	v_subrev_u32_e32 v58, 28, v62
	v_lshlrev_b64 v[58:59], v58, v[34:35]
	v_lshrrev_b32_e32 v61, 3, v35
	v_sub_u32_e32 v59, 29, v62
	v_and_b32_e32 v58, 7, v58
	v_cmp_gt_u32_e32 vcc, 8, v35
	v_cndmask_b32_e32 v35, v61, v59, vcc
	v_cndmask_b32_e32 v58, v60, v58, vcc
	v_lshlrev_b32_e32 v34, 24, v34
	v_bfrev_b32_e32 v59, 60
	v_lshlrev_b32_e32 v58, 20, v58
	v_and_b32_e32 v34, 0x80000000, v34
	v_lshl_add_u32 v35, v35, 23, v59
	v_or3_b32 v34, v34, v35, v58
	v_lshrrev_b32_e32 v58, 16, v34
.LBB881_59:
	s_or_b64 exec, exec, s[8:9]
.LBB881_60:
	s_or_b64 exec, exec, s[2:3]
.LBB881_61:
	s_or_b64 exec, exec, s[0:1]
	s_mov_b32 s0, 0x5040100
	v_perm_b32 v35, v56, v45, s0
	v_perm_b32 v34, v44, v43, s0
	v_cmp_ne_u16_sdwa s[2:3], v36, v54 src0_sel:BYTE_0 src1_sel:DWORD
	s_nop 0
	v_mfma_f32_16x16x16bf16_1k v[60:63], v[34:35], v[26:27], 0
	v_perm_b32 v35, v58, v57, s0
	v_perm_b32 v34, v42, v55, s0
	s_nop 1
	v_mfma_f32_16x16x16bf16_1k v[42:45], v[34:35], v[28:29], v[60:63]
	s_and_saveexec_b64 s[0:1], s[2:3]
	s_cbranch_execz .LBB881_67
; %bb.62:
	s_movk_i32 s2, 0x80
	v_cmp_ne_u16_sdwa s[8:9], v36, s2 src0_sel:BYTE_0 src1_sel:DWORD
	v_mov_b32_e32 v54, 0xffff8000
	s_and_saveexec_b64 s[2:3], s[8:9]
	s_cbranch_execz .LBB881_66
; %bb.63:
	s_movk_i32 s8, 0x7f
	v_and_b32_e32 v34, 0x7f, v36
	v_cmp_ne_u32_e32 vcc, s8, v34
	v_mov_b32_e32 v54, 0x7f80
	s_and_saveexec_b64 s[8:9], vcc
	s_cbranch_execz .LBB881_65
; %bb.64:
	v_and_b32_e32 v35, 7, v36
	v_ffbh_u32_e32 v54, v35
	v_min_u32_e32 v57, 32, v54
	v_subrev_u32_e32 v54, 28, v57
	v_lshlrev_b64 v[54:55], v54, v[36:37]
	v_lshrrev_b32_e32 v56, 3, v34
	v_sub_u32_e32 v55, 29, v57
	v_and_b32_e32 v54, 7, v54
	v_cmp_gt_u32_e32 vcc, 8, v34
	v_cndmask_b32_e32 v34, v56, v55, vcc
	v_cndmask_b32_e32 v35, v35, v54, vcc
	v_lshlrev_b32_e32 v54, 24, v36
	v_bfrev_b32_e32 v55, 60
	v_lshlrev_b32_e32 v35, 20, v35
	v_and_b32_e32 v54, 0x80000000, v54
	v_lshl_add_u32 v34, v34, 23, v55
	v_or3_b32 v34, v54, v34, v35
	v_lshrrev_b32_e32 v54, 16, v34
.LBB881_65:
	s_or_b64 exec, exec, s[8:9]
.LBB881_66:
	s_or_b64 exec, exec, s[2:3]
.LBB881_67:
	s_or_b64 exec, exec, s[0:1]
	v_lshrrev_b16_e32 v34, 8, v36
	v_cmp_ne_u16_e32 vcc, 0, v34
	v_mov_b32_e32 v56, 0
	v_mov_b32_e32 v35, 0
	s_and_saveexec_b64 s[0:1], vcc
	s_cbranch_execz .LBB881_73
; %bb.68:
	s_movk_i32 s2, 0x80
	v_cmp_ne_u16_e32 vcc, s2, v34
	v_mov_b32_e32 v35, 0xffff8000
	s_and_saveexec_b64 s[2:3], vcc
	s_cbranch_execz .LBB881_72
; %bb.69:
	s_movk_i32 s8, 0x7f
	v_and_b32_e32 v55, 0x7f, v34
	v_cmp_ne_u32_e32 vcc, s8, v55
	v_mov_b32_e32 v35, 0x7f80
	s_and_saveexec_b64 s[8:9], vcc
	s_cbranch_execz .LBB881_71
; %bb.70:
	v_and_b32_e32 v57, 7, v34
	v_ffbh_u32_e32 v35, v57
	v_min_u32_e32 v59, 32, v35
	v_subrev_u32_e32 v35, 28, v59
	v_lshlrev_b64 v[34:35], v35, v[34:35]
	v_lshrrev_b32_e32 v58, 3, v55
	v_sub_u32_e32 v35, 29, v59
	v_and_b32_e32 v34, 7, v34
	v_cmp_gt_u32_e32 vcc, 8, v55
	v_cndmask_b32_e32 v35, v58, v35, vcc
	v_cndmask_b32_e32 v34, v57, v34, vcc
	v_lshlrev_b32_e32 v55, 16, v36
	v_bfrev_b32_e32 v57, 60
	v_lshlrev_b32_e32 v34, 20, v34
	v_and_b32_e32 v55, 0x80000000, v55
	v_lshl_add_u32 v35, v35, 23, v57
	v_or3_b32 v34, v55, v35, v34
	v_lshrrev_b32_e32 v35, 16, v34
.LBB881_71:
	s_or_b64 exec, exec, s[8:9]
.LBB881_72:
	s_or_b64 exec, exec, s[2:3]
.LBB881_73:
	s_or_b64 exec, exec, s[0:1]
	s_movk_i32 s0, 0xff
	v_and_b32_sdwa v55, v36, s0 dst_sel:DWORD dst_unused:UNUSED_PAD src0_sel:WORD_1 src1_sel:DWORD
	v_lshrrev_b32_e32 v34, 16, v36
	v_cmp_ne_u16_e32 vcc, 0, v55
	s_and_saveexec_b64 s[0:1], vcc
	s_cbranch_execz .LBB881_79
; %bb.74:
	s_movk_i32 s2, 0x80
	v_cmp_ne_u16_e32 vcc, s2, v55
	v_mov_b32_e32 v56, 0xffff8000
	s_and_saveexec_b64 s[2:3], vcc
	s_cbranch_execz .LBB881_78
; %bb.75:
	v_bfe_u32 v55, v36, 16, 7
	s_movk_i32 s8, 0x7f
	v_cmp_ne_u32_e32 vcc, s8, v55
	v_mov_b32_e32 v56, 0x7f80
	s_and_saveexec_b64 s[8:9], vcc
	s_cbranch_execz .LBB881_77
; %bb.76:
	v_and_b32_e32 v58, 7, v34
	v_ffbh_u32_e32 v56, v58
	v_min_u32_e32 v60, 32, v56
	v_subrev_u32_e32 v56, 28, v60
	v_lshlrev_b64 v[56:57], v56, v[34:35]
	v_and_b32_e32 v56, 7, v56
	v_cmp_gt_u32_e32 vcc, 8, v55
	v_lshrrev_b32_e32 v59, 3, v55
	v_sub_u32_e32 v34, 29, v60
	v_cndmask_b32_e32 v55, v58, v56, vcc
	v_mov_b32_e32 v56, 24
	v_cndmask_b32_e32 v34, v59, v34, vcc
	v_lshlrev_b32_sdwa v56, v56, v36 dst_sel:DWORD dst_unused:UNUSED_PAD src0_sel:DWORD src1_sel:WORD_1
	v_bfrev_b32_e32 v57, 60
	v_lshlrev_b32_e32 v55, 20, v55
	v_and_b32_e32 v56, 0x80000000, v56
	v_lshl_add_u32 v34, v34, 23, v57
	v_or3_b32 v34, v56, v34, v55
	v_lshrrev_b32_e32 v56, 16, v34
.LBB881_77:
	s_or_b64 exec, exec, s[8:9]
.LBB881_78:
	s_or_b64 exec, exec, s[2:3]
.LBB881_79:
	s_or_b64 exec, exec, s[0:1]
	s_mov_b32 s0, 0xffffff
	v_cmp_lt_u32_e32 vcc, s0, v36
	v_mov_b32_e32 v57, 0
	v_mov_b32_e32 v58, 0
	s_and_saveexec_b64 s[0:1], vcc
	s_cbranch_execz .LBB881_85
; %bb.80:
	v_lshrrev_b32_e32 v34, 24, v36
	s_movk_i32 s2, 0x80
	v_cmp_ne_u32_e32 vcc, s2, v34
	v_mov_b32_e32 v58, 0xffff8000
	s_and_saveexec_b64 s[2:3], vcc
	s_cbranch_execz .LBB881_84
; %bb.81:
	v_bfe_u32 v36, v36, 24, 7
	s_movk_i32 s8, 0x7f
	v_cmp_ne_u32_e32 vcc, s8, v36
	v_mov_b32_e32 v58, 0x7f80
	s_and_saveexec_b64 s[8:9], vcc
	s_cbranch_execz .LBB881_83
; %bb.82:
	v_and_b32_e32 v55, 7, v34
	v_ffbh_u32_e32 v58, v55
	v_min_u32_e32 v61, 32, v58
	v_subrev_u32_e32 v58, 28, v61
	v_lshlrev_b64 v[58:59], v58, v[34:35]
	v_lshrrev_b32_e32 v60, 3, v36
	v_sub_u32_e32 v59, 29, v61
	v_and_b32_e32 v58, 7, v58
	v_cmp_gt_u32_e32 vcc, 8, v36
	v_cndmask_b32_e32 v36, v60, v59, vcc
	v_cndmask_b32_e32 v55, v55, v58, vcc
	v_lshlrev_b32_e32 v34, 24, v34
	v_bfrev_b32_e32 v58, 60
	v_lshlrev_b32_e32 v55, 20, v55
	v_and_b32_e32 v34, 0x80000000, v34
	v_lshl_add_u32 v36, v36, 23, v58
	v_or3_b32 v34, v34, v36, v55
	v_lshrrev_b32_e32 v58, 16, v34
.LBB881_83:
	s_or_b64 exec, exec, s[8:9]
.LBB881_84:
	s_or_b64 exec, exec, s[2:3]
.LBB881_85:
	s_or_b64 exec, exec, s[0:1]
	v_cmp_ne_u16_sdwa s[2:3], v37, v57 src0_sel:BYTE_0 src1_sel:DWORD
	s_and_saveexec_b64 s[0:1], s[2:3]
	s_cbranch_execz .LBB881_91
; %bb.86:
	s_movk_i32 s2, 0x80
	v_cmp_ne_u16_sdwa s[8:9], v37, s2 src0_sel:BYTE_0 src1_sel:DWORD
	v_mov_b32_e32 v57, 0xffff8000
	s_and_saveexec_b64 s[2:3], s[8:9]
	s_cbranch_execz .LBB881_90
; %bb.87:
	s_movk_i32 s8, 0x7f
	v_and_b32_e32 v34, 0x7f, v37
	v_cmp_ne_u32_e32 vcc, s8, v34
	v_mov_b32_e32 v57, 0x7f80
	s_and_saveexec_b64 s[8:9], vcc
	s_cbranch_execz .LBB881_89
; %bb.88:
	v_and_b32_e32 v55, 7, v37
	v_ffbh_u32_e32 v59, v55
	v_min_u32_e32 v59, 32, v59
	v_mov_b32_e32 v36, v37
	v_subrev_u32_e32 v60, 28, v59
	v_lshlrev_b64 v[60:61], v60, v[36:37]
	v_lshrrev_b32_e32 v57, 3, v34
	v_sub_u32_e32 v36, 29, v59
	v_and_b32_e32 v59, 7, v60
	v_cmp_gt_u32_e32 vcc, 8, v34
	v_cndmask_b32_e32 v34, v57, v36, vcc
	v_cndmask_b32_e32 v36, v55, v59, vcc
	v_lshlrev_b32_e32 v55, 24, v37
	v_bfrev_b32_e32 v57, 60
	v_lshlrev_b32_e32 v36, 20, v36
	v_and_b32_e32 v55, 0x80000000, v55
	v_lshl_add_u32 v34, v34, 23, v57
	v_or3_b32 v34, v55, v34, v36
	v_lshrrev_b32_e32 v57, 16, v34
.LBB881_89:
	s_or_b64 exec, exec, s[8:9]
.LBB881_90:
	s_or_b64 exec, exec, s[2:3]
.LBB881_91:
	s_or_b64 exec, exec, s[0:1]
	v_lshrrev_b16_e32 v34, 8, v37
	v_cmp_ne_u16_e32 vcc, 0, v34
	v_mov_b32_e32 v59, 0
	v_mov_b32_e32 v36, 0
	s_and_saveexec_b64 s[0:1], vcc
	s_cbranch_execz .LBB881_97
; %bb.92:
	s_movk_i32 s2, 0x80
	v_cmp_ne_u16_e32 vcc, s2, v34
	v_mov_b32_e32 v36, 0xffff8000
	s_and_saveexec_b64 s[2:3], vcc
	s_cbranch_execz .LBB881_96
; %bb.93:
	s_movk_i32 s8, 0x7f
	v_and_b32_e32 v55, 0x7f, v34
	v_cmp_ne_u32_e32 vcc, s8, v55
	v_mov_b32_e32 v36, 0x7f80
	s_and_saveexec_b64 s[8:9], vcc
	s_cbranch_execz .LBB881_95
; %bb.94:
	v_and_b32_e32 v36, 7, v34
	v_ffbh_u32_e32 v60, v36
	v_min_u32_e32 v63, 32, v60
	v_subrev_u32_e32 v60, 28, v63
	v_lshlrev_b64 v[60:61], v60, v[34:35]
	v_lshrrev_b32_e32 v62, 3, v55
	v_sub_u32_e32 v34, 29, v63
	v_and_b32_e32 v60, 7, v60
	v_cmp_gt_u32_e32 vcc, 8, v55
	v_cndmask_b32_e32 v34, v62, v34, vcc
	v_cndmask_b32_e32 v36, v36, v60, vcc
	v_lshlrev_b32_e32 v55, 16, v37
	v_bfrev_b32_e32 v60, 60
	v_lshlrev_b32_e32 v36, 20, v36
	v_and_b32_e32 v55, 0x80000000, v55
	v_lshl_add_u32 v34, v34, 23, v60
	v_or3_b32 v34, v55, v34, v36
	v_lshrrev_b32_e32 v36, 16, v34
.LBB881_95:
	s_or_b64 exec, exec, s[8:9]
.LBB881_96:
	s_or_b64 exec, exec, s[2:3]
.LBB881_97:
	s_or_b64 exec, exec, s[0:1]
	s_movk_i32 s0, 0xff
	v_and_b32_sdwa v55, v37, s0 dst_sel:DWORD dst_unused:UNUSED_PAD src0_sel:WORD_1 src1_sel:DWORD
	v_lshrrev_b32_e32 v34, 16, v37
	v_cmp_ne_u16_e32 vcc, 0, v55
	s_and_saveexec_b64 s[0:1], vcc
	s_cbranch_execz .LBB881_103
; %bb.98:
	s_movk_i32 s2, 0x80
	v_cmp_ne_u16_e32 vcc, s2, v55
	v_mov_b32_e32 v59, 0xffff8000
	s_and_saveexec_b64 s[2:3], vcc
	s_cbranch_execz .LBB881_102
; %bb.99:
	v_bfe_u32 v55, v37, 16, 7
	s_movk_i32 s8, 0x7f
	v_cmp_ne_u32_e32 vcc, s8, v55
	v_mov_b32_e32 v59, 0x7f80
	s_and_saveexec_b64 s[8:9], vcc
	s_cbranch_execz .LBB881_101
; %bb.100:
	v_and_b32_e32 v59, 7, v34
	v_ffbh_u32_e32 v60, v59
	v_min_u32_e32 v63, 32, v60
	v_subrev_u32_e32 v60, 28, v63
	v_lshlrev_b64 v[60:61], v60, v[34:35]
	v_and_b32_e32 v60, 7, v60
	v_cmp_gt_u32_e32 vcc, 8, v55
	v_lshrrev_b32_e32 v62, 3, v55
	v_sub_u32_e32 v34, 29, v63
	v_cndmask_b32_e32 v55, v59, v60, vcc
	v_mov_b32_e32 v59, 24
	v_cndmask_b32_e32 v34, v62, v34, vcc
	v_lshlrev_b32_sdwa v59, v59, v37 dst_sel:DWORD dst_unused:UNUSED_PAD src0_sel:DWORD src1_sel:WORD_1
	v_bfrev_b32_e32 v60, 60
	v_lshlrev_b32_e32 v55, 20, v55
	v_and_b32_e32 v59, 0x80000000, v59
	v_lshl_add_u32 v34, v34, 23, v60
	v_or3_b32 v34, v59, v34, v55
	v_lshrrev_b32_e32 v59, 16, v34
.LBB881_101:
	s_or_b64 exec, exec, s[8:9]
.LBB881_102:
	s_or_b64 exec, exec, s[2:3]
.LBB881_103:
	s_or_b64 exec, exec, s[0:1]
	s_mov_b32 s0, 0xffffff
	v_cmp_lt_u32_e32 vcc, s0, v37
	v_mov_b32_e32 v55, 0
	v_mov_b32_e32 v60, 0
	s_and_saveexec_b64 s[0:1], vcc
	s_cbranch_execz .LBB881_109
; %bb.104:
	v_lshrrev_b32_e32 v34, 24, v37
	s_movk_i32 s2, 0x80
	v_cmp_ne_u32_e32 vcc, s2, v34
	v_mov_b32_e32 v60, 0xffff8000
	s_and_saveexec_b64 s[2:3], vcc
	s_cbranch_execz .LBB881_108
; %bb.105:
	v_bfe_u32 v37, v37, 24, 7
	s_movk_i32 s8, 0x7f
	v_cmp_ne_u32_e32 vcc, s8, v37
	v_mov_b32_e32 v60, 0x7f80
	s_and_saveexec_b64 s[8:9], vcc
	s_cbranch_execz .LBB881_107
; %bb.106:
	v_and_b32_e32 v62, 7, v34
	v_ffbh_u32_e32 v60, v62
	v_min_u32_e32 v64, 32, v60
	v_subrev_u32_e32 v60, 28, v64
	v_lshlrev_b64 v[60:61], v60, v[34:35]
	v_lshrrev_b32_e32 v63, 3, v37
	v_sub_u32_e32 v61, 29, v64
	v_and_b32_e32 v60, 7, v60
	v_cmp_gt_u32_e32 vcc, 8, v37
	v_cndmask_b32_e32 v37, v63, v61, vcc
	v_cndmask_b32_e32 v60, v62, v60, vcc
	v_lshlrev_b32_e32 v34, 24, v34
	v_bfrev_b32_e32 v61, 60
	v_lshlrev_b32_e32 v60, 20, v60
	v_and_b32_e32 v34, 0x80000000, v34
	v_lshl_add_u32 v37, v37, 23, v61
	v_or3_b32 v34, v34, v37, v60
	v_lshrrev_b32_e32 v60, 16, v34
.LBB881_107:
	s_or_b64 exec, exec, s[8:9]
.LBB881_108:
	s_or_b64 exec, exec, s[2:3]
.LBB881_109:
	s_or_b64 exec, exec, s[0:1]
	s_mov_b32 s0, 0x5040100
	v_perm_b32 v63, v58, v56, s0
	v_perm_b32 v62, v35, v54, s0
	;; [unrolled: 1-line block ×4, first 2 shown]
	v_cmp_ne_u16_sdwa s[2:3], v38, v55 src0_sel:BYTE_0 src1_sel:DWORD
	v_mfma_f32_16x16x16bf16_1k v[42:45], v[62:63], v[18:19], v[42:45]
	v_mfma_f32_16x16x16bf16_1k v[34:37], v[34:35], v[20:21], v[42:45]
	s_and_saveexec_b64 s[0:1], s[2:3]
	s_cbranch_execz .LBB881_115
; %bb.110:
	s_movk_i32 s2, 0x80
	v_cmp_ne_u16_sdwa s[8:9], v38, s2 src0_sel:BYTE_0 src1_sel:DWORD
	v_mov_b32_e32 v55, 0xffff8000
	s_and_saveexec_b64 s[2:3], s[8:9]
	s_cbranch_execz .LBB881_114
; %bb.111:
	s_movk_i32 s8, 0x7f
	s_nop 1
	v_and_b32_e32 v42, 0x7f, v38
	v_cmp_ne_u32_e32 vcc, s8, v42
	v_mov_b32_e32 v55, 0x7f80
	s_and_saveexec_b64 s[8:9], vcc
	s_cbranch_execz .LBB881_113
; %bb.112:
	v_and_b32_e32 v43, 7, v38
	v_ffbh_u32_e32 v44, v43
	v_min_u32_e32 v55, 32, v44
	v_subrev_u32_e32 v44, 28, v55
	v_lshlrev_b64 v[44:45], v44, v[38:39]
	v_lshrrev_b32_e32 v54, 3, v42
	v_sub_u32_e32 v45, 29, v55
	v_and_b32_e32 v44, 7, v44
	v_cmp_gt_u32_e32 vcc, 8, v42
	v_cndmask_b32_e32 v42, v54, v45, vcc
	v_cndmask_b32_e32 v43, v43, v44, vcc
	v_lshlrev_b32_e32 v44, 24, v38
	v_bfrev_b32_e32 v45, 60
	v_lshlrev_b32_e32 v43, 20, v43
	v_and_b32_e32 v44, 0x80000000, v44
	v_lshl_add_u32 v42, v42, 23, v45
	v_or3_b32 v42, v44, v42, v43
	v_lshrrev_b32_e32 v55, 16, v42
.LBB881_113:
	s_or_b64 exec, exec, s[8:9]
.LBB881_114:
	s_or_b64 exec, exec, s[2:3]
.LBB881_115:
	s_or_b64 exec, exec, s[0:1]
	s_nop 6
	v_lshrrev_b16_e32 v42, 8, v38
	v_cmp_ne_u16_e32 vcc, 0, v42
	v_mov_b32_e32 v44, 0
	v_mov_b32_e32 v43, 0
	s_and_saveexec_b64 s[0:1], vcc
	s_cbranch_execz .LBB881_121
; %bb.116:
	s_movk_i32 s2, 0x80
	v_cmp_ne_u16_e32 vcc, s2, v42
	v_mov_b32_e32 v43, 0xffff8000
	s_and_saveexec_b64 s[2:3], vcc
	s_cbranch_execz .LBB881_120
; %bb.117:
	s_movk_i32 s8, 0x7f
	v_and_b32_e32 v45, 0x7f, v42
	v_cmp_ne_u32_e32 vcc, s8, v45
	v_mov_b32_e32 v43, 0x7f80
	s_and_saveexec_b64 s[8:9], vcc
	s_cbranch_execz .LBB881_119
; %bb.118:
	v_and_b32_e32 v54, 7, v42
	v_ffbh_u32_e32 v43, v54
	v_min_u32_e32 v57, 32, v43
	v_subrev_u32_e32 v43, 28, v57
	v_lshlrev_b64 v[42:43], v43, v[42:43]
	v_lshrrev_b32_e32 v56, 3, v45
	v_sub_u32_e32 v43, 29, v57
	v_and_b32_e32 v42, 7, v42
	v_cmp_gt_u32_e32 vcc, 8, v45
	v_cndmask_b32_e32 v43, v56, v43, vcc
	v_cndmask_b32_e32 v42, v54, v42, vcc
	v_lshlrev_b32_e32 v45, 16, v38
	v_bfrev_b32_e32 v54, 60
	v_lshlrev_b32_e32 v42, 20, v42
	v_and_b32_e32 v45, 0x80000000, v45
	v_lshl_add_u32 v43, v43, 23, v54
	v_or3_b32 v42, v45, v43, v42
	v_lshrrev_b32_e32 v43, 16, v42
.LBB881_119:
	s_or_b64 exec, exec, s[8:9]
.LBB881_120:
	s_or_b64 exec, exec, s[2:3]
.LBB881_121:
	s_or_b64 exec, exec, s[0:1]
	s_movk_i32 s0, 0xff
	v_and_b32_sdwa v45, v38, s0 dst_sel:DWORD dst_unused:UNUSED_PAD src0_sel:WORD_1 src1_sel:DWORD
	v_lshrrev_b32_e32 v42, 16, v38
	v_cmp_ne_u16_e32 vcc, 0, v45
	s_and_saveexec_b64 s[0:1], vcc
	s_cbranch_execz .LBB881_127
; %bb.122:
	s_movk_i32 s2, 0x80
	v_cmp_ne_u16_e32 vcc, s2, v45
	v_mov_b32_e32 v44, 0xffff8000
	s_and_saveexec_b64 s[2:3], vcc
	s_cbranch_execz .LBB881_126
; %bb.123:
	v_bfe_u32 v45, v38, 16, 7
	s_movk_i32 s8, 0x7f
	v_cmp_ne_u32_e32 vcc, s8, v45
	v_mov_b32_e32 v44, 0x7f80
	s_and_saveexec_b64 s[8:9], vcc
	s_cbranch_execz .LBB881_125
; %bb.124:
	v_and_b32_e32 v44, 7, v42
	v_ffbh_u32_e32 v56, v44
	v_min_u32_e32 v58, 32, v56
	v_subrev_u32_e32 v56, 28, v58
	v_lshlrev_b64 v[56:57], v56, v[42:43]
	v_lshrrev_b32_e32 v54, 3, v45
	v_sub_u32_e32 v42, 29, v58
	v_and_b32_e32 v56, 7, v56
	v_cmp_gt_u32_e32 vcc, 8, v45
	v_mov_b32_e32 v45, 24
	v_cndmask_b32_e32 v42, v54, v42, vcc
	v_cndmask_b32_e32 v44, v44, v56, vcc
	v_lshlrev_b32_sdwa v45, v45, v38 dst_sel:DWORD dst_unused:UNUSED_PAD src0_sel:DWORD src1_sel:WORD_1
	v_bfrev_b32_e32 v54, 60
	v_lshlrev_b32_e32 v44, 20, v44
	v_and_b32_e32 v45, 0x80000000, v45
	v_lshl_add_u32 v42, v42, 23, v54
	v_or3_b32 v42, v45, v42, v44
	v_lshrrev_b32_e32 v44, 16, v42
.LBB881_125:
	s_or_b64 exec, exec, s[8:9]
.LBB881_126:
	s_or_b64 exec, exec, s[2:3]
.LBB881_127:
	s_or_b64 exec, exec, s[0:1]
	s_mov_b32 s0, 0xffffff
	v_cmp_lt_u32_e32 vcc, s0, v38
	v_mov_b32_e32 v45, 0
	v_mov_b32_e32 v56, 0
	s_and_saveexec_b64 s[0:1], vcc
	s_cbranch_execz .LBB881_133
; %bb.128:
	v_lshrrev_b32_e32 v42, 24, v38
	s_movk_i32 s2, 0x80
	v_cmp_ne_u32_e32 vcc, s2, v42
	v_mov_b32_e32 v56, 0xffff8000
	s_and_saveexec_b64 s[2:3], vcc
	s_cbranch_execz .LBB881_132
; %bb.129:
	v_bfe_u32 v38, v38, 24, 7
	s_movk_i32 s8, 0x7f
	v_cmp_ne_u32_e32 vcc, s8, v38
	v_mov_b32_e32 v56, 0x7f80
	s_and_saveexec_b64 s[8:9], vcc
	s_cbranch_execz .LBB881_131
; %bb.130:
	v_and_b32_e32 v54, 7, v42
	v_ffbh_u32_e32 v56, v54
	v_min_u32_e32 v59, 32, v56
	v_subrev_u32_e32 v56, 28, v59
	v_lshlrev_b64 v[56:57], v56, v[42:43]
	v_lshrrev_b32_e32 v58, 3, v38
	v_sub_u32_e32 v57, 29, v59
	v_and_b32_e32 v56, 7, v56
	v_cmp_gt_u32_e32 vcc, 8, v38
	v_cndmask_b32_e32 v38, v58, v57, vcc
	v_cndmask_b32_e32 v54, v54, v56, vcc
	v_lshlrev_b32_e32 v42, 24, v42
	v_bfrev_b32_e32 v56, 60
	v_lshlrev_b32_e32 v54, 20, v54
	v_and_b32_e32 v42, 0x80000000, v42
	v_lshl_add_u32 v38, v38, 23, v56
	v_or3_b32 v38, v42, v38, v54
	v_lshrrev_b32_e32 v56, 16, v38
.LBB881_131:
	s_or_b64 exec, exec, s[8:9]
.LBB881_132:
	s_or_b64 exec, exec, s[2:3]
.LBB881_133:
	s_or_b64 exec, exec, s[0:1]
	v_cmp_ne_u16_sdwa s[2:3], v39, v45 src0_sel:BYTE_0 src1_sel:DWORD
	s_and_saveexec_b64 s[0:1], s[2:3]
	s_cbranch_execz .LBB881_139
; %bb.134:
	s_movk_i32 s2, 0x80
	v_cmp_ne_u16_sdwa s[8:9], v39, s2 src0_sel:BYTE_0 src1_sel:DWORD
	v_mov_b32_e32 v45, 0xffff8000
	s_and_saveexec_b64 s[2:3], s[8:9]
	s_cbranch_execz .LBB881_138
; %bb.135:
	s_movk_i32 s8, 0x7f
	v_and_b32_e32 v38, 0x7f, v39
	v_cmp_ne_u32_e32 vcc, s8, v38
	v_mov_b32_e32 v45, 0x7f80
	s_and_saveexec_b64 s[8:9], vcc
	s_cbranch_execz .LBB881_137
; %bb.136:
	v_and_b32_e32 v45, 7, v39
	v_ffbh_u32_e32 v57, v45
	v_min_u32_e32 v57, 32, v57
	v_mov_b32_e32 v42, v39
	v_subrev_u32_e32 v58, 28, v57
	v_lshlrev_b64 v[58:59], v58, v[42:43]
	v_lshrrev_b32_e32 v54, 3, v38
	v_sub_u32_e32 v42, 29, v57
	v_and_b32_e32 v57, 7, v58
	v_cmp_gt_u32_e32 vcc, 8, v38
	v_cndmask_b32_e32 v38, v54, v42, vcc
	v_cndmask_b32_e32 v42, v45, v57, vcc
	v_lshlrev_b32_e32 v45, 24, v39
	v_bfrev_b32_e32 v54, 60
	v_lshlrev_b32_e32 v42, 20, v42
	v_and_b32_e32 v45, 0x80000000, v45
	v_lshl_add_u32 v38, v38, 23, v54
	v_or3_b32 v38, v45, v38, v42
	v_lshrrev_b32_e32 v45, 16, v38
.LBB881_137:
	s_or_b64 exec, exec, s[8:9]
.LBB881_138:
	s_or_b64 exec, exec, s[2:3]
.LBB881_139:
	s_or_b64 exec, exec, s[0:1]
	v_lshrrev_b16_e32 v38, 8, v39
	v_cmp_ne_u16_e32 vcc, 0, v38
	v_mov_b32_e32 v57, 0
	v_mov_b32_e32 v42, 0
	s_and_saveexec_b64 s[0:1], vcc
	s_cbranch_execz .LBB881_145
; %bb.140:
	s_movk_i32 s2, 0x80
	v_cmp_ne_u16_e32 vcc, s2, v38
	v_mov_b32_e32 v42, 0xffff8000
	s_and_saveexec_b64 s[2:3], vcc
	s_cbranch_execz .LBB881_144
; %bb.141:
	s_movk_i32 s8, 0x7f
	v_and_b32_e32 v54, 0x7f, v38
	v_cmp_ne_u32_e32 vcc, s8, v54
	v_mov_b32_e32 v42, 0x7f80
	s_and_saveexec_b64 s[8:9], vcc
	s_cbranch_execz .LBB881_143
; %bb.142:
	v_and_b32_e32 v42, 7, v38
	v_ffbh_u32_e32 v58, v42
	v_min_u32_e32 v61, 32, v58
	v_subrev_u32_e32 v58, 28, v61
	v_lshlrev_b64 v[58:59], v58, v[38:39]
	v_lshrrev_b32_e32 v60, 3, v54
	v_sub_u32_e32 v38, 29, v61
	v_and_b32_e32 v58, 7, v58
	v_cmp_gt_u32_e32 vcc, 8, v54
	v_cndmask_b32_e32 v38, v60, v38, vcc
	v_cndmask_b32_e32 v42, v42, v58, vcc
	v_lshlrev_b32_e32 v54, 16, v39
	v_bfrev_b32_e32 v58, 60
	v_lshlrev_b32_e32 v42, 20, v42
	v_and_b32_e32 v54, 0x80000000, v54
	v_lshl_add_u32 v38, v38, 23, v58
	v_or3_b32 v38, v54, v38, v42
	v_lshrrev_b32_e32 v42, 16, v38
.LBB881_143:
	s_or_b64 exec, exec, s[8:9]
.LBB881_144:
	s_or_b64 exec, exec, s[2:3]
.LBB881_145:
	s_or_b64 exec, exec, s[0:1]
	s_movk_i32 s0, 0xff
	v_and_b32_sdwa v54, v39, s0 dst_sel:DWORD dst_unused:UNUSED_PAD src0_sel:WORD_1 src1_sel:DWORD
	v_lshrrev_b32_e32 v38, 16, v39
	v_cmp_ne_u16_e32 vcc, 0, v54
	s_and_saveexec_b64 s[0:1], vcc
	s_cbranch_execz .LBB881_151
; %bb.146:
	s_movk_i32 s2, 0x80
	v_cmp_ne_u16_e32 vcc, s2, v54
	v_mov_b32_e32 v57, 0xffff8000
	s_and_saveexec_b64 s[2:3], vcc
	s_cbranch_execz .LBB881_150
; %bb.147:
	v_bfe_u32 v54, v39, 16, 7
	s_movk_i32 s8, 0x7f
	v_cmp_ne_u32_e32 vcc, s8, v54
	v_mov_b32_e32 v57, 0x7f80
	s_and_saveexec_b64 s[8:9], vcc
	s_cbranch_execz .LBB881_149
; %bb.148:
	v_and_b32_e32 v57, 7, v38
	v_ffbh_u32_e32 v58, v57
	v_min_u32_e32 v61, 32, v58
	v_subrev_u32_e32 v58, 28, v61
	v_lshlrev_b64 v[58:59], v58, v[38:39]
	v_and_b32_e32 v58, 7, v58
	v_cmp_gt_u32_e32 vcc, 8, v54
	v_lshrrev_b32_e32 v60, 3, v54
	v_sub_u32_e32 v38, 29, v61
	v_cndmask_b32_e32 v54, v57, v58, vcc
	v_mov_b32_e32 v57, 24
	v_cndmask_b32_e32 v38, v60, v38, vcc
	v_lshlrev_b32_sdwa v57, v57, v39 dst_sel:DWORD dst_unused:UNUSED_PAD src0_sel:DWORD src1_sel:WORD_1
	v_bfrev_b32_e32 v58, 60
	v_lshlrev_b32_e32 v54, 20, v54
	v_and_b32_e32 v57, 0x80000000, v57
	v_lshl_add_u32 v38, v38, 23, v58
	v_or3_b32 v38, v57, v38, v54
	v_lshrrev_b32_e32 v57, 16, v38
.LBB881_149:
	s_or_b64 exec, exec, s[8:9]
.LBB881_150:
	s_or_b64 exec, exec, s[2:3]
.LBB881_151:
	s_or_b64 exec, exec, s[0:1]
	s_mov_b32 s0, 0xffffff
	v_cmp_lt_u32_e32 vcc, s0, v39
	v_mov_b32_e32 v54, 0
	v_mov_b32_e32 v58, 0
	s_and_saveexec_b64 s[0:1], vcc
	s_cbranch_execz .LBB881_157
; %bb.152:
	v_lshrrev_b32_e32 v38, 24, v39
	s_movk_i32 s2, 0x80
	v_cmp_ne_u32_e32 vcc, s2, v38
	v_mov_b32_e32 v58, 0xffff8000
	s_and_saveexec_b64 s[2:3], vcc
	s_cbranch_execz .LBB881_156
; %bb.153:
	v_bfe_u32 v39, v39, 24, 7
	s_movk_i32 s8, 0x7f
	v_cmp_ne_u32_e32 vcc, s8, v39
	v_mov_b32_e32 v58, 0x7f80
	s_and_saveexec_b64 s[8:9], vcc
	s_cbranch_execz .LBB881_155
; %bb.154:
	v_and_b32_e32 v60, 7, v38
	v_ffbh_u32_e32 v58, v60
	v_min_u32_e32 v62, 32, v58
	v_subrev_u32_e32 v58, 28, v62
	v_lshlrev_b64 v[58:59], v58, v[38:39]
	v_lshrrev_b32_e32 v61, 3, v39
	v_sub_u32_e32 v59, 29, v62
	v_and_b32_e32 v58, 7, v58
	v_cmp_gt_u32_e32 vcc, 8, v39
	v_cndmask_b32_e32 v39, v61, v59, vcc
	v_cndmask_b32_e32 v58, v60, v58, vcc
	v_lshlrev_b32_e32 v38, 24, v38
	v_bfrev_b32_e32 v59, 60
	v_lshlrev_b32_e32 v58, 20, v58
	v_and_b32_e32 v38, 0x80000000, v38
	v_lshl_add_u32 v39, v39, 23, v59
	v_or3_b32 v38, v38, v39, v58
	v_lshrrev_b32_e32 v58, 16, v38
.LBB881_155:
	s_or_b64 exec, exec, s[8:9]
.LBB881_156:
	s_or_b64 exec, exec, s[2:3]
.LBB881_157:
	s_or_b64 exec, exec, s[0:1]
	s_mov_b32 s0, 0x5040100
	v_perm_b32 v39, v56, v44, s0
	v_perm_b32 v38, v43, v55, s0
	v_cmp_ne_u16_sdwa s[2:3], v40, v54 src0_sel:BYTE_0 src1_sel:DWORD
	s_nop 0
	v_mfma_f32_16x16x16bf16_1k v[60:63], v[38:39], v[26:27], 0
	v_perm_b32 v39, v58, v57, s0
	v_perm_b32 v38, v42, v45, s0
	s_nop 1
	v_mfma_f32_16x16x16bf16_1k v[42:45], v[38:39], v[28:29], v[60:63]
	s_and_saveexec_b64 s[0:1], s[2:3]
	s_cbranch_execz .LBB881_163
; %bb.158:
	s_movk_i32 s2, 0x80
	v_cmp_ne_u16_sdwa s[8:9], v40, s2 src0_sel:BYTE_0 src1_sel:DWORD
	v_mov_b32_e32 v54, 0xffff8000
	s_and_saveexec_b64 s[2:3], s[8:9]
	s_cbranch_execz .LBB881_162
; %bb.159:
	s_movk_i32 s8, 0x7f
	v_and_b32_e32 v38, 0x7f, v40
	v_cmp_ne_u32_e32 vcc, s8, v38
	v_mov_b32_e32 v54, 0x7f80
	s_and_saveexec_b64 s[8:9], vcc
	s_cbranch_execz .LBB881_161
; %bb.160:
	v_and_b32_e32 v39, 7, v40
	v_ffbh_u32_e32 v54, v39
	v_min_u32_e32 v57, 32, v54
	v_subrev_u32_e32 v54, 28, v57
	v_lshlrev_b64 v[54:55], v54, v[40:41]
	v_lshrrev_b32_e32 v56, 3, v38
	v_sub_u32_e32 v55, 29, v57
	v_and_b32_e32 v54, 7, v54
	v_cmp_gt_u32_e32 vcc, 8, v38
	v_cndmask_b32_e32 v38, v56, v55, vcc
	v_cndmask_b32_e32 v39, v39, v54, vcc
	v_lshlrev_b32_e32 v54, 24, v40
	v_bfrev_b32_e32 v55, 60
	v_lshlrev_b32_e32 v39, 20, v39
	v_and_b32_e32 v54, 0x80000000, v54
	v_lshl_add_u32 v38, v38, 23, v55
	v_or3_b32 v38, v54, v38, v39
	v_lshrrev_b32_e32 v54, 16, v38
.LBB881_161:
	s_or_b64 exec, exec, s[8:9]
.LBB881_162:
	s_or_b64 exec, exec, s[2:3]
.LBB881_163:
	s_or_b64 exec, exec, s[0:1]
	v_lshrrev_b16_e32 v38, 8, v40
	v_cmp_ne_u16_e32 vcc, 0, v38
	v_mov_b32_e32 v56, 0
	v_mov_b32_e32 v39, 0
	s_and_saveexec_b64 s[0:1], vcc
	s_cbranch_execz .LBB881_169
; %bb.164:
	s_movk_i32 s2, 0x80
	v_cmp_ne_u16_e32 vcc, s2, v38
	v_mov_b32_e32 v39, 0xffff8000
	s_and_saveexec_b64 s[2:3], vcc
	s_cbranch_execz .LBB881_168
; %bb.165:
	s_movk_i32 s8, 0x7f
	v_and_b32_e32 v55, 0x7f, v38
	v_cmp_ne_u32_e32 vcc, s8, v55
	v_mov_b32_e32 v39, 0x7f80
	s_and_saveexec_b64 s[8:9], vcc
	s_cbranch_execz .LBB881_167
; %bb.166:
	v_and_b32_e32 v57, 7, v38
	v_ffbh_u32_e32 v39, v57
	v_min_u32_e32 v59, 32, v39
	v_subrev_u32_e32 v39, 28, v59
	v_lshlrev_b64 v[38:39], v39, v[38:39]
	v_lshrrev_b32_e32 v58, 3, v55
	v_sub_u32_e32 v39, 29, v59
	v_and_b32_e32 v38, 7, v38
	v_cmp_gt_u32_e32 vcc, 8, v55
	v_cndmask_b32_e32 v39, v58, v39, vcc
	v_cndmask_b32_e32 v38, v57, v38, vcc
	v_lshlrev_b32_e32 v55, 16, v40
	v_bfrev_b32_e32 v57, 60
	v_lshlrev_b32_e32 v38, 20, v38
	v_and_b32_e32 v55, 0x80000000, v55
	v_lshl_add_u32 v39, v39, 23, v57
	v_or3_b32 v38, v55, v39, v38
	v_lshrrev_b32_e32 v39, 16, v38
.LBB881_167:
	s_or_b64 exec, exec, s[8:9]
.LBB881_168:
	s_or_b64 exec, exec, s[2:3]
.LBB881_169:
	s_or_b64 exec, exec, s[0:1]
	s_movk_i32 s0, 0xff
	v_and_b32_sdwa v55, v40, s0 dst_sel:DWORD dst_unused:UNUSED_PAD src0_sel:WORD_1 src1_sel:DWORD
	v_lshrrev_b32_e32 v38, 16, v40
	v_cmp_ne_u16_e32 vcc, 0, v55
	s_and_saveexec_b64 s[0:1], vcc
	s_cbranch_execz .LBB881_175
; %bb.170:
	s_movk_i32 s2, 0x80
	v_cmp_ne_u16_e32 vcc, s2, v55
	v_mov_b32_e32 v56, 0xffff8000
	s_and_saveexec_b64 s[2:3], vcc
	s_cbranch_execz .LBB881_174
; %bb.171:
	v_bfe_u32 v55, v40, 16, 7
	s_movk_i32 s8, 0x7f
	v_cmp_ne_u32_e32 vcc, s8, v55
	v_mov_b32_e32 v56, 0x7f80
	s_and_saveexec_b64 s[8:9], vcc
	s_cbranch_execz .LBB881_173
; %bb.172:
	v_and_b32_e32 v58, 7, v38
	v_ffbh_u32_e32 v56, v58
	v_min_u32_e32 v60, 32, v56
	v_subrev_u32_e32 v56, 28, v60
	v_lshlrev_b64 v[56:57], v56, v[38:39]
	v_and_b32_e32 v56, 7, v56
	v_cmp_gt_u32_e32 vcc, 8, v55
	v_lshrrev_b32_e32 v59, 3, v55
	v_sub_u32_e32 v38, 29, v60
	v_cndmask_b32_e32 v55, v58, v56, vcc
	v_mov_b32_e32 v56, 24
	v_cndmask_b32_e32 v38, v59, v38, vcc
	v_lshlrev_b32_sdwa v56, v56, v40 dst_sel:DWORD dst_unused:UNUSED_PAD src0_sel:DWORD src1_sel:WORD_1
	v_bfrev_b32_e32 v57, 60
	v_lshlrev_b32_e32 v55, 20, v55
	v_and_b32_e32 v56, 0x80000000, v56
	v_lshl_add_u32 v38, v38, 23, v57
	v_or3_b32 v38, v56, v38, v55
	v_lshrrev_b32_e32 v56, 16, v38
.LBB881_173:
	s_or_b64 exec, exec, s[8:9]
.LBB881_174:
	s_or_b64 exec, exec, s[2:3]
.LBB881_175:
	s_or_b64 exec, exec, s[0:1]
	s_mov_b32 s0, 0xffffff
	v_cmp_lt_u32_e32 vcc, s0, v40
	v_mov_b32_e32 v57, 0
	v_mov_b32_e32 v58, 0
	s_and_saveexec_b64 s[0:1], vcc
	s_cbranch_execz .LBB881_181
; %bb.176:
	v_lshrrev_b32_e32 v38, 24, v40
	s_movk_i32 s2, 0x80
	v_cmp_ne_u32_e32 vcc, s2, v38
	v_mov_b32_e32 v58, 0xffff8000
	s_and_saveexec_b64 s[2:3], vcc
	s_cbranch_execz .LBB881_180
; %bb.177:
	v_bfe_u32 v40, v40, 24, 7
	s_movk_i32 s8, 0x7f
	v_cmp_ne_u32_e32 vcc, s8, v40
	v_mov_b32_e32 v58, 0x7f80
	s_and_saveexec_b64 s[8:9], vcc
	s_cbranch_execz .LBB881_179
; %bb.178:
	v_and_b32_e32 v55, 7, v38
	v_ffbh_u32_e32 v58, v55
	v_min_u32_e32 v61, 32, v58
	v_subrev_u32_e32 v58, 28, v61
	v_lshlrev_b64 v[58:59], v58, v[38:39]
	v_lshrrev_b32_e32 v60, 3, v40
	v_sub_u32_e32 v59, 29, v61
	v_and_b32_e32 v58, 7, v58
	v_cmp_gt_u32_e32 vcc, 8, v40
	v_cndmask_b32_e32 v40, v60, v59, vcc
	v_cndmask_b32_e32 v55, v55, v58, vcc
	v_lshlrev_b32_e32 v38, 24, v38
	v_bfrev_b32_e32 v58, 60
	v_lshlrev_b32_e32 v55, 20, v55
	v_and_b32_e32 v38, 0x80000000, v38
	v_lshl_add_u32 v40, v40, 23, v58
	v_or3_b32 v38, v38, v40, v55
	v_lshrrev_b32_e32 v58, 16, v38
.LBB881_179:
	s_or_b64 exec, exec, s[8:9]
.LBB881_180:
	s_or_b64 exec, exec, s[2:3]
.LBB881_181:
	s_or_b64 exec, exec, s[0:1]
	v_cmp_ne_u16_sdwa s[2:3], v41, v57 src0_sel:BYTE_0 src1_sel:DWORD
	s_and_saveexec_b64 s[0:1], s[2:3]
	s_cbranch_execz .LBB881_187
; %bb.182:
	s_movk_i32 s2, 0x80
	v_cmp_ne_u16_sdwa s[8:9], v41, s2 src0_sel:BYTE_0 src1_sel:DWORD
	v_mov_b32_e32 v57, 0xffff8000
	s_and_saveexec_b64 s[2:3], s[8:9]
	s_cbranch_execz .LBB881_186
; %bb.183:
	s_movk_i32 s8, 0x7f
	v_and_b32_e32 v38, 0x7f, v41
	v_cmp_ne_u32_e32 vcc, s8, v38
	v_mov_b32_e32 v57, 0x7f80
	s_and_saveexec_b64 s[8:9], vcc
	s_cbranch_execz .LBB881_185
; %bb.184:
	v_and_b32_e32 v55, 7, v41
	v_ffbh_u32_e32 v59, v55
	v_min_u32_e32 v59, 32, v59
	v_mov_b32_e32 v40, v41
	v_subrev_u32_e32 v60, 28, v59
	v_lshlrev_b64 v[60:61], v60, v[40:41]
	v_lshrrev_b32_e32 v57, 3, v38
	v_sub_u32_e32 v40, 29, v59
	v_and_b32_e32 v59, 7, v60
	v_cmp_gt_u32_e32 vcc, 8, v38
	v_cndmask_b32_e32 v38, v57, v40, vcc
	v_cndmask_b32_e32 v40, v55, v59, vcc
	v_lshlrev_b32_e32 v55, 24, v41
	v_bfrev_b32_e32 v57, 60
	v_lshlrev_b32_e32 v40, 20, v40
	v_and_b32_e32 v55, 0x80000000, v55
	v_lshl_add_u32 v38, v38, 23, v57
	v_or3_b32 v38, v55, v38, v40
	v_lshrrev_b32_e32 v57, 16, v38
.LBB881_185:
	s_or_b64 exec, exec, s[8:9]
.LBB881_186:
	s_or_b64 exec, exec, s[2:3]
.LBB881_187:
	s_or_b64 exec, exec, s[0:1]
	v_lshrrev_b16_e32 v38, 8, v41
	v_cmp_ne_u16_e32 vcc, 0, v38
	v_mov_b32_e32 v59, 0
	v_mov_b32_e32 v40, 0
	s_and_saveexec_b64 s[0:1], vcc
	s_cbranch_execz .LBB881_193
; %bb.188:
	s_movk_i32 s2, 0x80
	v_cmp_ne_u16_e32 vcc, s2, v38
	v_mov_b32_e32 v40, 0xffff8000
	s_and_saveexec_b64 s[2:3], vcc
	s_cbranch_execz .LBB881_192
; %bb.189:
	s_movk_i32 s8, 0x7f
	v_and_b32_e32 v55, 0x7f, v38
	v_cmp_ne_u32_e32 vcc, s8, v55
	v_mov_b32_e32 v40, 0x7f80
	s_and_saveexec_b64 s[8:9], vcc
	s_cbranch_execz .LBB881_191
; %bb.190:
	v_and_b32_e32 v40, 7, v38
	v_ffbh_u32_e32 v60, v40
	v_min_u32_e32 v63, 32, v60
	v_subrev_u32_e32 v60, 28, v63
	v_lshlrev_b64 v[60:61], v60, v[38:39]
	v_lshrrev_b32_e32 v62, 3, v55
	v_sub_u32_e32 v38, 29, v63
	v_and_b32_e32 v60, 7, v60
	v_cmp_gt_u32_e32 vcc, 8, v55
	v_cndmask_b32_e32 v38, v62, v38, vcc
	v_cndmask_b32_e32 v40, v40, v60, vcc
	v_lshlrev_b32_e32 v55, 16, v41
	v_bfrev_b32_e32 v60, 60
	v_lshlrev_b32_e32 v40, 20, v40
	v_and_b32_e32 v55, 0x80000000, v55
	v_lshl_add_u32 v38, v38, 23, v60
	v_or3_b32 v38, v55, v38, v40
	v_lshrrev_b32_e32 v40, 16, v38
.LBB881_191:
	s_or_b64 exec, exec, s[8:9]
.LBB881_192:
	s_or_b64 exec, exec, s[2:3]
.LBB881_193:
	s_or_b64 exec, exec, s[0:1]
	s_movk_i32 s0, 0xff
	v_and_b32_sdwa v55, v41, s0 dst_sel:DWORD dst_unused:UNUSED_PAD src0_sel:WORD_1 src1_sel:DWORD
	v_lshrrev_b32_e32 v38, 16, v41
	v_cmp_ne_u16_e32 vcc, 0, v55
	s_and_saveexec_b64 s[0:1], vcc
	s_cbranch_execz .LBB881_199
; %bb.194:
	s_movk_i32 s2, 0x80
	v_cmp_ne_u16_e32 vcc, s2, v55
	v_mov_b32_e32 v59, 0xffff8000
	s_and_saveexec_b64 s[2:3], vcc
	s_cbranch_execz .LBB881_198
; %bb.195:
	v_bfe_u32 v55, v41, 16, 7
	s_movk_i32 s8, 0x7f
	v_cmp_ne_u32_e32 vcc, s8, v55
	v_mov_b32_e32 v59, 0x7f80
	s_and_saveexec_b64 s[8:9], vcc
	s_cbranch_execz .LBB881_197
; %bb.196:
	v_and_b32_e32 v59, 7, v38
	v_ffbh_u32_e32 v60, v59
	v_min_u32_e32 v63, 32, v60
	v_subrev_u32_e32 v60, 28, v63
	v_lshlrev_b64 v[60:61], v60, v[38:39]
	v_and_b32_e32 v60, 7, v60
	v_cmp_gt_u32_e32 vcc, 8, v55
	v_lshrrev_b32_e32 v62, 3, v55
	v_sub_u32_e32 v38, 29, v63
	v_cndmask_b32_e32 v55, v59, v60, vcc
	v_mov_b32_e32 v59, 24
	v_cndmask_b32_e32 v38, v62, v38, vcc
	v_lshlrev_b32_sdwa v59, v59, v41 dst_sel:DWORD dst_unused:UNUSED_PAD src0_sel:DWORD src1_sel:WORD_1
	v_bfrev_b32_e32 v60, 60
	v_lshlrev_b32_e32 v55, 20, v55
	v_and_b32_e32 v59, 0x80000000, v59
	v_lshl_add_u32 v38, v38, 23, v60
	v_or3_b32 v38, v59, v38, v55
	v_lshrrev_b32_e32 v59, 16, v38
.LBB881_197:
	s_or_b64 exec, exec, s[8:9]
.LBB881_198:
	s_or_b64 exec, exec, s[2:3]
.LBB881_199:
	s_or_b64 exec, exec, s[0:1]
	s_mov_b32 s0, 0xffffff
	v_cmp_lt_u32_e32 vcc, s0, v41
	v_mov_b32_e32 v55, 0
	v_mov_b32_e32 v60, 0
	s_and_saveexec_b64 s[0:1], vcc
	s_cbranch_execz .LBB881_205
; %bb.200:
	v_lshrrev_b32_e32 v38, 24, v41
	s_movk_i32 s2, 0x80
	v_cmp_ne_u32_e32 vcc, s2, v38
	v_mov_b32_e32 v60, 0xffff8000
	s_and_saveexec_b64 s[2:3], vcc
	s_cbranch_execz .LBB881_204
; %bb.201:
	v_bfe_u32 v41, v41, 24, 7
	s_movk_i32 s8, 0x7f
	v_cmp_ne_u32_e32 vcc, s8, v41
	v_mov_b32_e32 v60, 0x7f80
	s_and_saveexec_b64 s[8:9], vcc
	s_cbranch_execz .LBB881_203
; %bb.202:
	v_and_b32_e32 v62, 7, v38
	v_ffbh_u32_e32 v60, v62
	v_min_u32_e32 v64, 32, v60
	v_subrev_u32_e32 v60, 28, v64
	v_lshlrev_b64 v[60:61], v60, v[38:39]
	v_lshrrev_b32_e32 v63, 3, v41
	v_sub_u32_e32 v61, 29, v64
	v_and_b32_e32 v60, 7, v60
	v_cmp_gt_u32_e32 vcc, 8, v41
	v_cndmask_b32_e32 v41, v63, v61, vcc
	v_cndmask_b32_e32 v60, v62, v60, vcc
	v_lshlrev_b32_e32 v38, 24, v38
	v_bfrev_b32_e32 v61, 60
	v_lshlrev_b32_e32 v60, 20, v60
	v_and_b32_e32 v38, 0x80000000, v38
	v_lshl_add_u32 v41, v41, 23, v61
	v_or3_b32 v38, v38, v41, v60
	v_lshrrev_b32_e32 v60, 16, v38
.LBB881_203:
	s_or_b64 exec, exec, s[8:9]
.LBB881_204:
	s_or_b64 exec, exec, s[2:3]
.LBB881_205:
	s_or_b64 exec, exec, s[0:1]
	s_mov_b32 s0, 0x5040100
	v_perm_b32 v63, v58, v56, s0
	v_perm_b32 v62, v39, v54, s0
	;; [unrolled: 1-line block ×4, first 2 shown]
	v_cmp_ne_u16_sdwa s[2:3], v30, v55 src0_sel:BYTE_0 src1_sel:DWORD
	v_mfma_f32_16x16x16bf16_1k v[42:45], v[62:63], v[18:19], v[42:45]
	v_mfma_f32_16x16x16bf16_1k v[38:41], v[38:39], v[20:21], v[42:45]
	s_and_saveexec_b64 s[0:1], s[2:3]
	s_cbranch_execz .LBB881_211
; %bb.206:
	s_movk_i32 s2, 0x80
	v_cmp_ne_u16_sdwa s[8:9], v30, s2 src0_sel:BYTE_0 src1_sel:DWORD
	v_mov_b32_e32 v55, 0xffff8000
	s_and_saveexec_b64 s[2:3], s[8:9]
	s_cbranch_execz .LBB881_210
; %bb.207:
	s_movk_i32 s8, 0x7f
	s_nop 1
	v_and_b32_e32 v42, 0x7f, v30
	v_cmp_ne_u32_e32 vcc, s8, v42
	v_mov_b32_e32 v55, 0x7f80
	s_and_saveexec_b64 s[8:9], vcc
	s_cbranch_execz .LBB881_209
; %bb.208:
	v_and_b32_e32 v43, 7, v30
	v_ffbh_u32_e32 v44, v43
	v_min_u32_e32 v55, 32, v44
	v_subrev_u32_e32 v44, 28, v55
	v_lshlrev_b64 v[44:45], v44, v[30:31]
	v_lshrrev_b32_e32 v54, 3, v42
	v_sub_u32_e32 v45, 29, v55
	v_and_b32_e32 v44, 7, v44
	v_cmp_gt_u32_e32 vcc, 8, v42
	v_cndmask_b32_e32 v42, v54, v45, vcc
	v_cndmask_b32_e32 v43, v43, v44, vcc
	v_lshlrev_b32_e32 v44, 24, v30
	v_bfrev_b32_e32 v45, 60
	v_lshlrev_b32_e32 v43, 20, v43
	v_and_b32_e32 v44, 0x80000000, v44
	v_lshl_add_u32 v42, v42, 23, v45
	v_or3_b32 v42, v44, v42, v43
	v_lshrrev_b32_e32 v55, 16, v42
.LBB881_209:
	s_or_b64 exec, exec, s[8:9]
.LBB881_210:
	s_or_b64 exec, exec, s[2:3]
.LBB881_211:
	s_or_b64 exec, exec, s[0:1]
	s_nop 6
	v_lshrrev_b16_e32 v42, 8, v30
	v_cmp_ne_u16_e32 vcc, 0, v42
	v_mov_b32_e32 v44, 0
	v_mov_b32_e32 v43, 0
	s_and_saveexec_b64 s[0:1], vcc
	s_cbranch_execz .LBB881_217
; %bb.212:
	s_movk_i32 s2, 0x80
	v_cmp_ne_u16_e32 vcc, s2, v42
	v_mov_b32_e32 v43, 0xffff8000
	s_and_saveexec_b64 s[2:3], vcc
	s_cbranch_execz .LBB881_216
; %bb.213:
	s_movk_i32 s8, 0x7f
	v_and_b32_e32 v45, 0x7f, v42
	v_cmp_ne_u32_e32 vcc, s8, v45
	v_mov_b32_e32 v43, 0x7f80
	s_and_saveexec_b64 s[8:9], vcc
	s_cbranch_execz .LBB881_215
; %bb.214:
	v_and_b32_e32 v54, 7, v42
	v_ffbh_u32_e32 v43, v54
	v_min_u32_e32 v57, 32, v43
	v_subrev_u32_e32 v43, 28, v57
	v_lshlrev_b64 v[42:43], v43, v[42:43]
	v_lshrrev_b32_e32 v56, 3, v45
	v_sub_u32_e32 v43, 29, v57
	v_and_b32_e32 v42, 7, v42
	v_cmp_gt_u32_e32 vcc, 8, v45
	v_cndmask_b32_e32 v43, v56, v43, vcc
	v_cndmask_b32_e32 v42, v54, v42, vcc
	v_lshlrev_b32_e32 v45, 16, v30
	v_bfrev_b32_e32 v54, 60
	v_lshlrev_b32_e32 v42, 20, v42
	v_and_b32_e32 v45, 0x80000000, v45
	v_lshl_add_u32 v43, v43, 23, v54
	v_or3_b32 v42, v45, v43, v42
	v_lshrrev_b32_e32 v43, 16, v42
.LBB881_215:
	s_or_b64 exec, exec, s[8:9]
.LBB881_216:
	s_or_b64 exec, exec, s[2:3]
.LBB881_217:
	s_or_b64 exec, exec, s[0:1]
	s_movk_i32 s0, 0xff
	v_and_b32_sdwa v45, v30, s0 dst_sel:DWORD dst_unused:UNUSED_PAD src0_sel:WORD_1 src1_sel:DWORD
	v_lshrrev_b32_e32 v42, 16, v30
	v_cmp_ne_u16_e32 vcc, 0, v45
	s_and_saveexec_b64 s[0:1], vcc
	s_cbranch_execz .LBB881_223
; %bb.218:
	s_movk_i32 s2, 0x80
	v_cmp_ne_u16_e32 vcc, s2, v45
	v_mov_b32_e32 v44, 0xffff8000
	s_and_saveexec_b64 s[2:3], vcc
	s_cbranch_execz .LBB881_222
; %bb.219:
	v_bfe_u32 v45, v30, 16, 7
	s_movk_i32 s8, 0x7f
	v_cmp_ne_u32_e32 vcc, s8, v45
	v_mov_b32_e32 v44, 0x7f80
	s_and_saveexec_b64 s[8:9], vcc
	s_cbranch_execz .LBB881_221
; %bb.220:
	v_and_b32_e32 v44, 7, v42
	v_ffbh_u32_e32 v56, v44
	v_min_u32_e32 v58, 32, v56
	v_subrev_u32_e32 v56, 28, v58
	v_lshlrev_b64 v[56:57], v56, v[42:43]
	v_lshrrev_b32_e32 v54, 3, v45
	v_sub_u32_e32 v42, 29, v58
	v_and_b32_e32 v56, 7, v56
	v_cmp_gt_u32_e32 vcc, 8, v45
	v_mov_b32_e32 v45, 24
	v_cndmask_b32_e32 v42, v54, v42, vcc
	v_cndmask_b32_e32 v44, v44, v56, vcc
	v_lshlrev_b32_sdwa v45, v45, v30 dst_sel:DWORD dst_unused:UNUSED_PAD src0_sel:DWORD src1_sel:WORD_1
	v_bfrev_b32_e32 v54, 60
	v_lshlrev_b32_e32 v44, 20, v44
	v_and_b32_e32 v45, 0x80000000, v45
	v_lshl_add_u32 v42, v42, 23, v54
	v_or3_b32 v42, v45, v42, v44
	v_lshrrev_b32_e32 v44, 16, v42
.LBB881_221:
	s_or_b64 exec, exec, s[8:9]
.LBB881_222:
	s_or_b64 exec, exec, s[2:3]
.LBB881_223:
	s_or_b64 exec, exec, s[0:1]
	s_mov_b32 s0, 0xffffff
	v_cmp_lt_u32_e32 vcc, s0, v30
	v_mov_b32_e32 v45, 0
	v_mov_b32_e32 v56, 0
	s_and_saveexec_b64 s[0:1], vcc
	s_cbranch_execz .LBB881_229
; %bb.224:
	v_lshrrev_b32_e32 v42, 24, v30
	s_movk_i32 s2, 0x80
	v_cmp_ne_u32_e32 vcc, s2, v42
	v_mov_b32_e32 v56, 0xffff8000
	s_and_saveexec_b64 s[2:3], vcc
	s_cbranch_execz .LBB881_228
; %bb.225:
	v_bfe_u32 v30, v30, 24, 7
	s_movk_i32 s8, 0x7f
	v_cmp_ne_u32_e32 vcc, s8, v30
	v_mov_b32_e32 v56, 0x7f80
	s_and_saveexec_b64 s[8:9], vcc
	s_cbranch_execz .LBB881_227
; %bb.226:
	v_and_b32_e32 v54, 7, v42
	v_ffbh_u32_e32 v56, v54
	v_min_u32_e32 v59, 32, v56
	v_subrev_u32_e32 v56, 28, v59
	v_lshlrev_b64 v[56:57], v56, v[42:43]
	v_lshrrev_b32_e32 v58, 3, v30
	v_sub_u32_e32 v57, 29, v59
	v_and_b32_e32 v56, 7, v56
	v_cmp_gt_u32_e32 vcc, 8, v30
	v_cndmask_b32_e32 v30, v58, v57, vcc
	v_cndmask_b32_e32 v54, v54, v56, vcc
	v_lshlrev_b32_e32 v42, 24, v42
	v_bfrev_b32_e32 v56, 60
	v_lshlrev_b32_e32 v54, 20, v54
	v_and_b32_e32 v42, 0x80000000, v42
	v_lshl_add_u32 v30, v30, 23, v56
	v_or3_b32 v30, v42, v30, v54
	v_lshrrev_b32_e32 v56, 16, v30
.LBB881_227:
	s_or_b64 exec, exec, s[8:9]
.LBB881_228:
	s_or_b64 exec, exec, s[2:3]
.LBB881_229:
	s_or_b64 exec, exec, s[0:1]
	v_cmp_ne_u16_sdwa s[2:3], v31, v45 src0_sel:BYTE_0 src1_sel:DWORD
	s_and_saveexec_b64 s[0:1], s[2:3]
	s_cbranch_execz .LBB881_235
; %bb.230:
	s_movk_i32 s2, 0x80
	v_cmp_ne_u16_sdwa s[8:9], v31, s2 src0_sel:BYTE_0 src1_sel:DWORD
	v_mov_b32_e32 v45, 0xffff8000
	s_and_saveexec_b64 s[2:3], s[8:9]
	s_cbranch_execz .LBB881_234
; %bb.231:
	s_movk_i32 s8, 0x7f
	v_and_b32_e32 v30, 0x7f, v31
	v_cmp_ne_u32_e32 vcc, s8, v30
	v_mov_b32_e32 v45, 0x7f80
	s_and_saveexec_b64 s[8:9], vcc
	s_cbranch_execz .LBB881_233
; %bb.232:
	v_and_b32_e32 v45, 7, v31
	v_ffbh_u32_e32 v57, v45
	v_min_u32_e32 v57, 32, v57
	v_mov_b32_e32 v42, v31
	v_subrev_u32_e32 v58, 28, v57
	v_lshlrev_b64 v[58:59], v58, v[42:43]
	v_lshrrev_b32_e32 v54, 3, v30
	v_sub_u32_e32 v42, 29, v57
	v_and_b32_e32 v57, 7, v58
	v_cmp_gt_u32_e32 vcc, 8, v30
	v_cndmask_b32_e32 v30, v54, v42, vcc
	v_cndmask_b32_e32 v42, v45, v57, vcc
	v_lshlrev_b32_e32 v45, 24, v31
	v_bfrev_b32_e32 v54, 60
	v_lshlrev_b32_e32 v42, 20, v42
	v_and_b32_e32 v45, 0x80000000, v45
	v_lshl_add_u32 v30, v30, 23, v54
	v_or3_b32 v30, v45, v30, v42
	v_lshrrev_b32_e32 v45, 16, v30
.LBB881_233:
	s_or_b64 exec, exec, s[8:9]
.LBB881_234:
	s_or_b64 exec, exec, s[2:3]
.LBB881_235:
	s_or_b64 exec, exec, s[0:1]
	v_lshrrev_b16_e32 v30, 8, v31
	v_cmp_ne_u16_e32 vcc, 0, v30
	v_mov_b32_e32 v57, 0
	v_mov_b32_e32 v42, 0
	s_and_saveexec_b64 s[0:1], vcc
	s_cbranch_execz .LBB881_241
; %bb.236:
	s_movk_i32 s2, 0x80
	v_cmp_ne_u16_e32 vcc, s2, v30
	v_mov_b32_e32 v42, 0xffff8000
	s_and_saveexec_b64 s[2:3], vcc
	s_cbranch_execz .LBB881_240
; %bb.237:
	s_movk_i32 s8, 0x7f
	v_and_b32_e32 v54, 0x7f, v30
	v_cmp_ne_u32_e32 vcc, s8, v54
	v_mov_b32_e32 v42, 0x7f80
	s_and_saveexec_b64 s[8:9], vcc
	s_cbranch_execz .LBB881_239
; %bb.238:
	v_and_b32_e32 v42, 7, v30
	v_ffbh_u32_e32 v58, v42
	v_min_u32_e32 v61, 32, v58
	v_subrev_u32_e32 v58, 28, v61
	v_lshlrev_b64 v[58:59], v58, v[30:31]
	v_lshrrev_b32_e32 v60, 3, v54
	v_sub_u32_e32 v30, 29, v61
	v_and_b32_e32 v58, 7, v58
	v_cmp_gt_u32_e32 vcc, 8, v54
	v_cndmask_b32_e32 v30, v60, v30, vcc
	v_cndmask_b32_e32 v42, v42, v58, vcc
	v_lshlrev_b32_e32 v54, 16, v31
	v_bfrev_b32_e32 v58, 60
	v_lshlrev_b32_e32 v42, 20, v42
	v_and_b32_e32 v54, 0x80000000, v54
	v_lshl_add_u32 v30, v30, 23, v58
	v_or3_b32 v30, v54, v30, v42
	v_lshrrev_b32_e32 v42, 16, v30
.LBB881_239:
	s_or_b64 exec, exec, s[8:9]
.LBB881_240:
	s_or_b64 exec, exec, s[2:3]
.LBB881_241:
	s_or_b64 exec, exec, s[0:1]
	s_movk_i32 s0, 0xff
	v_and_b32_sdwa v54, v31, s0 dst_sel:DWORD dst_unused:UNUSED_PAD src0_sel:WORD_1 src1_sel:DWORD
	v_lshrrev_b32_e32 v30, 16, v31
	v_cmp_ne_u16_e32 vcc, 0, v54
	s_and_saveexec_b64 s[0:1], vcc
	s_cbranch_execz .LBB881_247
; %bb.242:
	s_movk_i32 s2, 0x80
	v_cmp_ne_u16_e32 vcc, s2, v54
	v_mov_b32_e32 v57, 0xffff8000
	s_and_saveexec_b64 s[2:3], vcc
	s_cbranch_execz .LBB881_246
; %bb.243:
	v_bfe_u32 v54, v31, 16, 7
	s_movk_i32 s8, 0x7f
	v_cmp_ne_u32_e32 vcc, s8, v54
	v_mov_b32_e32 v57, 0x7f80
	s_and_saveexec_b64 s[8:9], vcc
	s_cbranch_execz .LBB881_245
; %bb.244:
	v_and_b32_e32 v57, 7, v30
	v_ffbh_u32_e32 v58, v57
	v_min_u32_e32 v61, 32, v58
	v_subrev_u32_e32 v58, 28, v61
	v_lshlrev_b64 v[58:59], v58, v[30:31]
	v_and_b32_e32 v58, 7, v58
	v_cmp_gt_u32_e32 vcc, 8, v54
	v_lshrrev_b32_e32 v60, 3, v54
	v_sub_u32_e32 v30, 29, v61
	v_cndmask_b32_e32 v54, v57, v58, vcc
	v_mov_b32_e32 v57, 24
	v_cndmask_b32_e32 v30, v60, v30, vcc
	v_lshlrev_b32_sdwa v57, v57, v31 dst_sel:DWORD dst_unused:UNUSED_PAD src0_sel:DWORD src1_sel:WORD_1
	v_bfrev_b32_e32 v58, 60
	v_lshlrev_b32_e32 v54, 20, v54
	v_and_b32_e32 v57, 0x80000000, v57
	v_lshl_add_u32 v30, v30, 23, v58
	v_or3_b32 v30, v57, v30, v54
	v_lshrrev_b32_e32 v57, 16, v30
.LBB881_245:
	s_or_b64 exec, exec, s[8:9]
.LBB881_246:
	s_or_b64 exec, exec, s[2:3]
.LBB881_247:
	s_or_b64 exec, exec, s[0:1]
	s_mov_b32 s0, 0xffffff
	v_cmp_lt_u32_e32 vcc, s0, v31
	v_mov_b32_e32 v54, 0
	v_mov_b32_e32 v58, 0
	s_and_saveexec_b64 s[0:1], vcc
	s_cbranch_execz .LBB881_253
; %bb.248:
	v_lshrrev_b32_e32 v30, 24, v31
	s_movk_i32 s2, 0x80
	v_cmp_ne_u32_e32 vcc, s2, v30
	v_mov_b32_e32 v58, 0xffff8000
	s_and_saveexec_b64 s[2:3], vcc
	s_cbranch_execz .LBB881_252
; %bb.249:
	v_bfe_u32 v31, v31, 24, 7
	s_movk_i32 s8, 0x7f
	v_cmp_ne_u32_e32 vcc, s8, v31
	v_mov_b32_e32 v58, 0x7f80
	s_and_saveexec_b64 s[8:9], vcc
	s_cbranch_execz .LBB881_251
; %bb.250:
	v_and_b32_e32 v60, 7, v30
	v_ffbh_u32_e32 v58, v60
	v_min_u32_e32 v62, 32, v58
	v_subrev_u32_e32 v58, 28, v62
	v_lshlrev_b64 v[58:59], v58, v[30:31]
	v_lshrrev_b32_e32 v61, 3, v31
	v_sub_u32_e32 v59, 29, v62
	v_and_b32_e32 v58, 7, v58
	v_cmp_gt_u32_e32 vcc, 8, v31
	v_cndmask_b32_e32 v31, v61, v59, vcc
	v_cndmask_b32_e32 v58, v60, v58, vcc
	v_lshlrev_b32_e32 v30, 24, v30
	v_bfrev_b32_e32 v59, 60
	v_lshlrev_b32_e32 v58, 20, v58
	v_and_b32_e32 v30, 0x80000000, v30
	v_lshl_add_u32 v31, v31, 23, v59
	v_or3_b32 v30, v30, v31, v58
	v_lshrrev_b32_e32 v58, 16, v30
.LBB881_251:
	s_or_b64 exec, exec, s[8:9]
.LBB881_252:
	s_or_b64 exec, exec, s[2:3]
.LBB881_253:
	s_or_b64 exec, exec, s[0:1]
	s_mov_b32 s0, 0x5040100
	v_perm_b32 v31, v56, v44, s0
	v_perm_b32 v30, v43, v55, s0
	v_cmp_ne_u16_sdwa s[2:3], v32, v54 src0_sel:BYTE_0 src1_sel:DWORD
	s_nop 0
	v_mfma_f32_16x16x16bf16_1k v[60:63], v[30:31], v[26:27], 0
	v_perm_b32 v31, v58, v57, s0
	v_perm_b32 v30, v42, v45, s0
	s_nop 1
	v_mfma_f32_16x16x16bf16_1k v[42:45], v[30:31], v[28:29], v[60:63]
	s_and_saveexec_b64 s[0:1], s[2:3]
	s_cbranch_execz .LBB881_259
; %bb.254:
	s_movk_i32 s2, 0x80
	v_cmp_ne_u16_sdwa s[8:9], v32, s2 src0_sel:BYTE_0 src1_sel:DWORD
	v_mov_b32_e32 v54, 0xffff8000
	s_and_saveexec_b64 s[2:3], s[8:9]
	s_cbranch_execz .LBB881_258
; %bb.255:
	s_movk_i32 s8, 0x7f
	v_and_b32_e32 v30, 0x7f, v32
	v_cmp_ne_u32_e32 vcc, s8, v30
	v_mov_b32_e32 v54, 0x7f80
	s_and_saveexec_b64 s[8:9], vcc
	s_cbranch_execz .LBB881_257
; %bb.256:
	v_and_b32_e32 v31, 7, v32
	v_ffbh_u32_e32 v54, v31
	v_min_u32_e32 v57, 32, v54
	v_subrev_u32_e32 v54, 28, v57
	v_lshlrev_b64 v[54:55], v54, v[32:33]
	v_lshrrev_b32_e32 v56, 3, v30
	v_sub_u32_e32 v55, 29, v57
	v_and_b32_e32 v54, 7, v54
	v_cmp_gt_u32_e32 vcc, 8, v30
	v_cndmask_b32_e32 v30, v56, v55, vcc
	v_cndmask_b32_e32 v31, v31, v54, vcc
	v_lshlrev_b32_e32 v54, 24, v32
	v_bfrev_b32_e32 v55, 60
	v_lshlrev_b32_e32 v31, 20, v31
	v_and_b32_e32 v54, 0x80000000, v54
	v_lshl_add_u32 v30, v30, 23, v55
	v_or3_b32 v30, v54, v30, v31
	v_lshrrev_b32_e32 v54, 16, v30
.LBB881_257:
	s_or_b64 exec, exec, s[8:9]
.LBB881_258:
	s_or_b64 exec, exec, s[2:3]
.LBB881_259:
	s_or_b64 exec, exec, s[0:1]
	v_lshrrev_b16_e32 v30, 8, v32
	v_cmp_ne_u16_e32 vcc, 0, v30
	v_mov_b32_e32 v56, 0
	v_mov_b32_e32 v31, 0
	s_and_saveexec_b64 s[0:1], vcc
	s_cbranch_execz .LBB881_265
; %bb.260:
	s_movk_i32 s2, 0x80
	v_cmp_ne_u16_e32 vcc, s2, v30
	v_mov_b32_e32 v31, 0xffff8000
	s_and_saveexec_b64 s[2:3], vcc
	s_cbranch_execz .LBB881_264
; %bb.261:
	s_movk_i32 s8, 0x7f
	v_and_b32_e32 v55, 0x7f, v30
	v_cmp_ne_u32_e32 vcc, s8, v55
	v_mov_b32_e32 v31, 0x7f80
	s_and_saveexec_b64 s[8:9], vcc
	s_cbranch_execz .LBB881_263
; %bb.262:
	v_and_b32_e32 v57, 7, v30
	v_ffbh_u32_e32 v31, v57
	v_min_u32_e32 v59, 32, v31
	v_subrev_u32_e32 v31, 28, v59
	v_lshlrev_b64 v[30:31], v31, v[30:31]
	v_lshrrev_b32_e32 v58, 3, v55
	v_sub_u32_e32 v31, 29, v59
	v_and_b32_e32 v30, 7, v30
	v_cmp_gt_u32_e32 vcc, 8, v55
	v_cndmask_b32_e32 v31, v58, v31, vcc
	v_cndmask_b32_e32 v30, v57, v30, vcc
	v_lshlrev_b32_e32 v55, 16, v32
	v_bfrev_b32_e32 v57, 60
	v_lshlrev_b32_e32 v30, 20, v30
	v_and_b32_e32 v55, 0x80000000, v55
	v_lshl_add_u32 v31, v31, 23, v57
	v_or3_b32 v30, v55, v31, v30
	v_lshrrev_b32_e32 v31, 16, v30
.LBB881_263:
	s_or_b64 exec, exec, s[8:9]
.LBB881_264:
	s_or_b64 exec, exec, s[2:3]
.LBB881_265:
	s_or_b64 exec, exec, s[0:1]
	s_movk_i32 s0, 0xff
	v_and_b32_sdwa v55, v32, s0 dst_sel:DWORD dst_unused:UNUSED_PAD src0_sel:WORD_1 src1_sel:DWORD
	v_lshrrev_b32_e32 v30, 16, v32
	v_cmp_ne_u16_e32 vcc, 0, v55
	s_and_saveexec_b64 s[0:1], vcc
	s_cbranch_execz .LBB881_271
; %bb.266:
	s_movk_i32 s2, 0x80
	v_cmp_ne_u16_e32 vcc, s2, v55
	v_mov_b32_e32 v56, 0xffff8000
	s_and_saveexec_b64 s[2:3], vcc
	s_cbranch_execz .LBB881_270
; %bb.267:
	v_bfe_u32 v55, v32, 16, 7
	s_movk_i32 s8, 0x7f
	v_cmp_ne_u32_e32 vcc, s8, v55
	v_mov_b32_e32 v56, 0x7f80
	s_and_saveexec_b64 s[8:9], vcc
	s_cbranch_execz .LBB881_269
; %bb.268:
	v_and_b32_e32 v58, 7, v30
	v_ffbh_u32_e32 v56, v58
	v_min_u32_e32 v60, 32, v56
	v_subrev_u32_e32 v56, 28, v60
	v_lshlrev_b64 v[56:57], v56, v[30:31]
	v_and_b32_e32 v56, 7, v56
	v_cmp_gt_u32_e32 vcc, 8, v55
	v_lshrrev_b32_e32 v59, 3, v55
	v_sub_u32_e32 v30, 29, v60
	v_cndmask_b32_e32 v55, v58, v56, vcc
	v_mov_b32_e32 v56, 24
	v_cndmask_b32_e32 v30, v59, v30, vcc
	v_lshlrev_b32_sdwa v56, v56, v32 dst_sel:DWORD dst_unused:UNUSED_PAD src0_sel:DWORD src1_sel:WORD_1
	v_bfrev_b32_e32 v57, 60
	v_lshlrev_b32_e32 v55, 20, v55
	v_and_b32_e32 v56, 0x80000000, v56
	v_lshl_add_u32 v30, v30, 23, v57
	v_or3_b32 v30, v56, v30, v55
	v_lshrrev_b32_e32 v56, 16, v30
.LBB881_269:
	s_or_b64 exec, exec, s[8:9]
.LBB881_270:
	s_or_b64 exec, exec, s[2:3]
.LBB881_271:
	s_or_b64 exec, exec, s[0:1]
	s_mov_b32 s0, 0xffffff
	v_cmp_lt_u32_e32 vcc, s0, v32
	v_mov_b32_e32 v57, 0
	v_mov_b32_e32 v58, 0
	s_and_saveexec_b64 s[0:1], vcc
	s_cbranch_execz .LBB881_277
; %bb.272:
	v_lshrrev_b32_e32 v30, 24, v32
	s_movk_i32 s2, 0x80
	v_cmp_ne_u32_e32 vcc, s2, v30
	v_mov_b32_e32 v58, 0xffff8000
	s_and_saveexec_b64 s[2:3], vcc
	s_cbranch_execz .LBB881_276
; %bb.273:
	v_bfe_u32 v32, v32, 24, 7
	s_movk_i32 s8, 0x7f
	v_cmp_ne_u32_e32 vcc, s8, v32
	v_mov_b32_e32 v58, 0x7f80
	s_and_saveexec_b64 s[8:9], vcc
	s_cbranch_execz .LBB881_275
; %bb.274:
	v_and_b32_e32 v55, 7, v30
	v_ffbh_u32_e32 v58, v55
	v_min_u32_e32 v61, 32, v58
	v_subrev_u32_e32 v58, 28, v61
	v_lshlrev_b64 v[58:59], v58, v[30:31]
	v_lshrrev_b32_e32 v60, 3, v32
	v_sub_u32_e32 v59, 29, v61
	v_and_b32_e32 v58, 7, v58
	v_cmp_gt_u32_e32 vcc, 8, v32
	v_cndmask_b32_e32 v32, v60, v59, vcc
	v_cndmask_b32_e32 v55, v55, v58, vcc
	v_lshlrev_b32_e32 v30, 24, v30
	v_bfrev_b32_e32 v58, 60
	v_lshlrev_b32_e32 v55, 20, v55
	v_and_b32_e32 v30, 0x80000000, v30
	v_lshl_add_u32 v32, v32, 23, v58
	v_or3_b32 v30, v30, v32, v55
	v_lshrrev_b32_e32 v58, 16, v30
.LBB881_275:
	s_or_b64 exec, exec, s[8:9]
.LBB881_276:
	s_or_b64 exec, exec, s[2:3]
.LBB881_277:
	s_or_b64 exec, exec, s[0:1]
	v_cmp_ne_u16_sdwa s[2:3], v33, v57 src0_sel:BYTE_0 src1_sel:DWORD
	s_and_saveexec_b64 s[0:1], s[2:3]
	s_cbranch_execz .LBB881_283
; %bb.278:
	s_movk_i32 s2, 0x80
	v_cmp_ne_u16_sdwa s[8:9], v33, s2 src0_sel:BYTE_0 src1_sel:DWORD
	v_mov_b32_e32 v57, 0xffff8000
	s_and_saveexec_b64 s[2:3], s[8:9]
	s_cbranch_execz .LBB881_282
; %bb.279:
	s_movk_i32 s8, 0x7f
	v_and_b32_e32 v30, 0x7f, v33
	v_cmp_ne_u32_e32 vcc, s8, v30
	v_mov_b32_e32 v57, 0x7f80
	s_and_saveexec_b64 s[8:9], vcc
	s_cbranch_execz .LBB881_281
; %bb.280:
	v_and_b32_e32 v55, 7, v33
	v_ffbh_u32_e32 v59, v55
	v_min_u32_e32 v59, 32, v59
	v_mov_b32_e32 v32, v33
	v_subrev_u32_e32 v60, 28, v59
	v_lshlrev_b64 v[60:61], v60, v[32:33]
	v_lshrrev_b32_e32 v57, 3, v30
	v_sub_u32_e32 v32, 29, v59
	v_and_b32_e32 v59, 7, v60
	v_cmp_gt_u32_e32 vcc, 8, v30
	v_cndmask_b32_e32 v30, v57, v32, vcc
	v_cndmask_b32_e32 v32, v55, v59, vcc
	v_lshlrev_b32_e32 v55, 24, v33
	v_bfrev_b32_e32 v57, 60
	v_lshlrev_b32_e32 v32, 20, v32
	v_and_b32_e32 v55, 0x80000000, v55
	v_lshl_add_u32 v30, v30, 23, v57
	v_or3_b32 v30, v55, v30, v32
	v_lshrrev_b32_e32 v57, 16, v30
.LBB881_281:
	s_or_b64 exec, exec, s[8:9]
.LBB881_282:
	s_or_b64 exec, exec, s[2:3]
.LBB881_283:
	s_or_b64 exec, exec, s[0:1]
	v_lshrrev_b16_e32 v30, 8, v33
	v_cmp_ne_u16_e32 vcc, 0, v30
	v_mov_b32_e32 v59, 0
	v_mov_b32_e32 v32, 0
	s_and_saveexec_b64 s[0:1], vcc
	s_cbranch_execz .LBB881_289
; %bb.284:
	s_movk_i32 s2, 0x80
	v_cmp_ne_u16_e32 vcc, s2, v30
	v_mov_b32_e32 v32, 0xffff8000
	s_and_saveexec_b64 s[2:3], vcc
	s_cbranch_execz .LBB881_288
; %bb.285:
	s_movk_i32 s8, 0x7f
	v_and_b32_e32 v55, 0x7f, v30
	v_cmp_ne_u32_e32 vcc, s8, v55
	v_mov_b32_e32 v32, 0x7f80
	s_and_saveexec_b64 s[8:9], vcc
	s_cbranch_execz .LBB881_287
; %bb.286:
	v_and_b32_e32 v32, 7, v30
	v_ffbh_u32_e32 v60, v32
	v_min_u32_e32 v63, 32, v60
	v_subrev_u32_e32 v60, 28, v63
	v_lshlrev_b64 v[60:61], v60, v[30:31]
	v_lshrrev_b32_e32 v62, 3, v55
	v_sub_u32_e32 v30, 29, v63
	v_and_b32_e32 v60, 7, v60
	v_cmp_gt_u32_e32 vcc, 8, v55
	v_cndmask_b32_e32 v30, v62, v30, vcc
	v_cndmask_b32_e32 v32, v32, v60, vcc
	v_lshlrev_b32_e32 v55, 16, v33
	v_bfrev_b32_e32 v60, 60
	v_lshlrev_b32_e32 v32, 20, v32
	v_and_b32_e32 v55, 0x80000000, v55
	v_lshl_add_u32 v30, v30, 23, v60
	v_or3_b32 v30, v55, v30, v32
	v_lshrrev_b32_e32 v32, 16, v30
.LBB881_287:
	s_or_b64 exec, exec, s[8:9]
.LBB881_288:
	s_or_b64 exec, exec, s[2:3]
.LBB881_289:
	s_or_b64 exec, exec, s[0:1]
	s_movk_i32 s0, 0xff
	v_and_b32_sdwa v55, v33, s0 dst_sel:DWORD dst_unused:UNUSED_PAD src0_sel:WORD_1 src1_sel:DWORD
	v_lshrrev_b32_e32 v30, 16, v33
	v_cmp_ne_u16_e32 vcc, 0, v55
	s_and_saveexec_b64 s[0:1], vcc
	s_cbranch_execz .LBB881_295
; %bb.290:
	s_movk_i32 s2, 0x80
	v_cmp_ne_u16_e32 vcc, s2, v55
	v_mov_b32_e32 v59, 0xffff8000
	s_and_saveexec_b64 s[2:3], vcc
	s_cbranch_execz .LBB881_294
; %bb.291:
	v_bfe_u32 v55, v33, 16, 7
	s_movk_i32 s8, 0x7f
	v_cmp_ne_u32_e32 vcc, s8, v55
	v_mov_b32_e32 v59, 0x7f80
	s_and_saveexec_b64 s[8:9], vcc
	s_cbranch_execz .LBB881_293
; %bb.292:
	v_and_b32_e32 v59, 7, v30
	v_ffbh_u32_e32 v60, v59
	v_min_u32_e32 v63, 32, v60
	v_subrev_u32_e32 v60, 28, v63
	v_lshlrev_b64 v[60:61], v60, v[30:31]
	v_and_b32_e32 v60, 7, v60
	v_cmp_gt_u32_e32 vcc, 8, v55
	v_lshrrev_b32_e32 v62, 3, v55
	v_sub_u32_e32 v30, 29, v63
	v_cndmask_b32_e32 v55, v59, v60, vcc
	v_mov_b32_e32 v59, 24
	v_cndmask_b32_e32 v30, v62, v30, vcc
	v_lshlrev_b32_sdwa v59, v59, v33 dst_sel:DWORD dst_unused:UNUSED_PAD src0_sel:DWORD src1_sel:WORD_1
	v_bfrev_b32_e32 v60, 60
	v_lshlrev_b32_e32 v55, 20, v55
	v_and_b32_e32 v59, 0x80000000, v59
	v_lshl_add_u32 v30, v30, 23, v60
	v_or3_b32 v30, v59, v30, v55
	v_lshrrev_b32_e32 v59, 16, v30
.LBB881_293:
	s_or_b64 exec, exec, s[8:9]
.LBB881_294:
	s_or_b64 exec, exec, s[2:3]
.LBB881_295:
	s_or_b64 exec, exec, s[0:1]
	s_mov_b32 s0, 0xffffff
	v_cmp_lt_u32_e32 vcc, s0, v33
	v_mov_b32_e32 v55, 0
	v_mov_b32_e32 v60, 0
	s_and_saveexec_b64 s[0:1], vcc
	s_cbranch_execz .LBB881_301
; %bb.296:
	v_lshrrev_b32_e32 v30, 24, v33
	s_movk_i32 s2, 0x80
	v_cmp_ne_u32_e32 vcc, s2, v30
	v_mov_b32_e32 v60, 0xffff8000
	s_and_saveexec_b64 s[2:3], vcc
	s_cbranch_execz .LBB881_300
; %bb.297:
	v_bfe_u32 v33, v33, 24, 7
	s_movk_i32 s8, 0x7f
	v_cmp_ne_u32_e32 vcc, s8, v33
	v_mov_b32_e32 v60, 0x7f80
	s_and_saveexec_b64 s[8:9], vcc
	s_cbranch_execz .LBB881_299
; %bb.298:
	v_and_b32_e32 v62, 7, v30
	v_ffbh_u32_e32 v60, v62
	v_min_u32_e32 v64, 32, v60
	v_subrev_u32_e32 v60, 28, v64
	v_lshlrev_b64 v[60:61], v60, v[30:31]
	v_lshrrev_b32_e32 v63, 3, v33
	v_sub_u32_e32 v61, 29, v64
	v_and_b32_e32 v60, 7, v60
	v_cmp_gt_u32_e32 vcc, 8, v33
	v_cndmask_b32_e32 v33, v63, v61, vcc
	v_cndmask_b32_e32 v60, v62, v60, vcc
	v_lshlrev_b32_e32 v30, 24, v30
	v_bfrev_b32_e32 v61, 60
	v_lshlrev_b32_e32 v60, 20, v60
	v_and_b32_e32 v30, 0x80000000, v30
	v_lshl_add_u32 v33, v33, 23, v61
	v_or3_b32 v30, v30, v33, v60
	v_lshrrev_b32_e32 v60, 16, v30
.LBB881_299:
	s_or_b64 exec, exec, s[8:9]
.LBB881_300:
	s_or_b64 exec, exec, s[2:3]
.LBB881_301:
	s_or_b64 exec, exec, s[0:1]
	s_mov_b32 s0, 0x5040100
	v_perm_b32 v63, v58, v56, s0
	v_perm_b32 v62, v31, v54, s0
	;; [unrolled: 1-line block ×4, first 2 shown]
	v_cmp_ne_u16_sdwa s[2:3], v22, v55 src0_sel:BYTE_0 src1_sel:DWORD
	v_mfma_f32_16x16x16bf16_1k v[42:45], v[62:63], v[18:19], v[42:45]
	v_mfma_f32_16x16x16bf16_1k v[30:33], v[30:31], v[20:21], v[42:45]
	s_and_saveexec_b64 s[0:1], s[2:3]
	s_cbranch_execz .LBB881_307
; %bb.302:
	s_movk_i32 s2, 0x80
	v_cmp_ne_u16_sdwa s[8:9], v22, s2 src0_sel:BYTE_0 src1_sel:DWORD
	v_mov_b32_e32 v55, 0xffff8000
	s_and_saveexec_b64 s[2:3], s[8:9]
	s_cbranch_execz .LBB881_306
; %bb.303:
	s_movk_i32 s8, 0x7f
	s_nop 1
	v_and_b32_e32 v42, 0x7f, v22
	v_cmp_ne_u32_e32 vcc, s8, v42
	v_mov_b32_e32 v55, 0x7f80
	s_and_saveexec_b64 s[8:9], vcc
	s_cbranch_execz .LBB881_305
; %bb.304:
	v_and_b32_e32 v43, 7, v22
	v_ffbh_u32_e32 v44, v43
	v_min_u32_e32 v55, 32, v44
	v_subrev_u32_e32 v44, 28, v55
	v_lshlrev_b64 v[44:45], v44, v[22:23]
	v_lshrrev_b32_e32 v54, 3, v42
	v_sub_u32_e32 v45, 29, v55
	v_and_b32_e32 v44, 7, v44
	v_cmp_gt_u32_e32 vcc, 8, v42
	v_cndmask_b32_e32 v42, v54, v45, vcc
	v_cndmask_b32_e32 v43, v43, v44, vcc
	v_lshlrev_b32_e32 v44, 24, v22
	v_bfrev_b32_e32 v45, 60
	v_lshlrev_b32_e32 v43, 20, v43
	v_and_b32_e32 v44, 0x80000000, v44
	v_lshl_add_u32 v42, v42, 23, v45
	v_or3_b32 v42, v44, v42, v43
	v_lshrrev_b32_e32 v55, 16, v42
.LBB881_305:
	s_or_b64 exec, exec, s[8:9]
.LBB881_306:
	s_or_b64 exec, exec, s[2:3]
.LBB881_307:
	s_or_b64 exec, exec, s[0:1]
	s_nop 6
	v_lshrrev_b16_e32 v42, 8, v22
	v_cmp_ne_u16_e32 vcc, 0, v42
	v_mov_b32_e32 v44, 0
	v_mov_b32_e32 v43, 0
	s_and_saveexec_b64 s[0:1], vcc
	s_cbranch_execz .LBB881_313
; %bb.308:
	s_movk_i32 s2, 0x80
	v_cmp_ne_u16_e32 vcc, s2, v42
	v_mov_b32_e32 v43, 0xffff8000
	s_and_saveexec_b64 s[2:3], vcc
	s_cbranch_execz .LBB881_312
; %bb.309:
	s_movk_i32 s8, 0x7f
	v_and_b32_e32 v45, 0x7f, v42
	v_cmp_ne_u32_e32 vcc, s8, v45
	v_mov_b32_e32 v43, 0x7f80
	s_and_saveexec_b64 s[8:9], vcc
	s_cbranch_execz .LBB881_311
; %bb.310:
	v_and_b32_e32 v54, 7, v42
	v_ffbh_u32_e32 v43, v54
	v_min_u32_e32 v57, 32, v43
	v_subrev_u32_e32 v43, 28, v57
	v_lshlrev_b64 v[42:43], v43, v[42:43]
	v_lshrrev_b32_e32 v56, 3, v45
	v_sub_u32_e32 v43, 29, v57
	v_and_b32_e32 v42, 7, v42
	v_cmp_gt_u32_e32 vcc, 8, v45
	v_cndmask_b32_e32 v43, v56, v43, vcc
	v_cndmask_b32_e32 v42, v54, v42, vcc
	v_lshlrev_b32_e32 v45, 16, v22
	v_bfrev_b32_e32 v54, 60
	v_lshlrev_b32_e32 v42, 20, v42
	v_and_b32_e32 v45, 0x80000000, v45
	v_lshl_add_u32 v43, v43, 23, v54
	v_or3_b32 v42, v45, v43, v42
	v_lshrrev_b32_e32 v43, 16, v42
.LBB881_311:
	s_or_b64 exec, exec, s[8:9]
.LBB881_312:
	s_or_b64 exec, exec, s[2:3]
.LBB881_313:
	s_or_b64 exec, exec, s[0:1]
	s_movk_i32 s0, 0xff
	v_and_b32_sdwa v45, v22, s0 dst_sel:DWORD dst_unused:UNUSED_PAD src0_sel:WORD_1 src1_sel:DWORD
	v_lshrrev_b32_e32 v42, 16, v22
	v_cmp_ne_u16_e32 vcc, 0, v45
	s_and_saveexec_b64 s[0:1], vcc
	s_cbranch_execz .LBB881_319
; %bb.314:
	s_movk_i32 s2, 0x80
	v_cmp_ne_u16_e32 vcc, s2, v45
	v_mov_b32_e32 v44, 0xffff8000
	s_and_saveexec_b64 s[2:3], vcc
	s_cbranch_execz .LBB881_318
; %bb.315:
	v_bfe_u32 v45, v22, 16, 7
	s_movk_i32 s8, 0x7f
	v_cmp_ne_u32_e32 vcc, s8, v45
	v_mov_b32_e32 v44, 0x7f80
	s_and_saveexec_b64 s[8:9], vcc
	s_cbranch_execz .LBB881_317
; %bb.316:
	v_and_b32_e32 v44, 7, v42
	v_ffbh_u32_e32 v56, v44
	v_min_u32_e32 v58, 32, v56
	v_subrev_u32_e32 v56, 28, v58
	v_lshlrev_b64 v[56:57], v56, v[42:43]
	v_lshrrev_b32_e32 v54, 3, v45
	v_sub_u32_e32 v42, 29, v58
	v_and_b32_e32 v56, 7, v56
	v_cmp_gt_u32_e32 vcc, 8, v45
	v_mov_b32_e32 v45, 24
	v_cndmask_b32_e32 v42, v54, v42, vcc
	v_cndmask_b32_e32 v44, v44, v56, vcc
	v_lshlrev_b32_sdwa v45, v45, v22 dst_sel:DWORD dst_unused:UNUSED_PAD src0_sel:DWORD src1_sel:WORD_1
	v_bfrev_b32_e32 v54, 60
	v_lshlrev_b32_e32 v44, 20, v44
	v_and_b32_e32 v45, 0x80000000, v45
	v_lshl_add_u32 v42, v42, 23, v54
	v_or3_b32 v42, v45, v42, v44
	v_lshrrev_b32_e32 v44, 16, v42
.LBB881_317:
	s_or_b64 exec, exec, s[8:9]
.LBB881_318:
	s_or_b64 exec, exec, s[2:3]
.LBB881_319:
	s_or_b64 exec, exec, s[0:1]
	s_mov_b32 s0, 0xffffff
	v_cmp_lt_u32_e32 vcc, s0, v22
	v_mov_b32_e32 v45, 0
	v_mov_b32_e32 v54, 0
	s_and_saveexec_b64 s[0:1], vcc
	s_cbranch_execz .LBB881_325
; %bb.320:
	v_lshrrev_b32_e32 v42, 24, v22
	s_movk_i32 s2, 0x80
	v_cmp_ne_u32_e32 vcc, s2, v42
	v_mov_b32_e32 v54, 0xffff8000
	s_and_saveexec_b64 s[2:3], vcc
	s_cbranch_execz .LBB881_324
; %bb.321:
	v_bfe_u32 v22, v22, 24, 7
	s_movk_i32 s8, 0x7f
	v_cmp_ne_u32_e32 vcc, s8, v22
	v_mov_b32_e32 v54, 0x7f80
	s_and_saveexec_b64 s[8:9], vcc
	s_cbranch_execz .LBB881_323
; %bb.322:
	v_and_b32_e32 v54, 7, v42
	v_ffbh_u32_e32 v56, v54
	v_min_u32_e32 v59, 32, v56
	v_subrev_u32_e32 v56, 28, v59
	v_lshlrev_b64 v[56:57], v56, v[42:43]
	v_lshrrev_b32_e32 v58, 3, v22
	v_sub_u32_e32 v57, 29, v59
	v_and_b32_e32 v56, 7, v56
	v_cmp_gt_u32_e32 vcc, 8, v22
	v_cndmask_b32_e32 v22, v58, v57, vcc
	v_cndmask_b32_e32 v54, v54, v56, vcc
	v_lshlrev_b32_e32 v42, 24, v42
	v_bfrev_b32_e32 v56, 60
	v_lshlrev_b32_e32 v54, 20, v54
	v_and_b32_e32 v42, 0x80000000, v42
	v_lshl_add_u32 v22, v22, 23, v56
	v_or3_b32 v22, v42, v22, v54
	v_lshrrev_b32_e32 v54, 16, v22
.LBB881_323:
	s_or_b64 exec, exec, s[8:9]
.LBB881_324:
	s_or_b64 exec, exec, s[2:3]
.LBB881_325:
	s_or_b64 exec, exec, s[0:1]
	v_cmp_ne_u16_sdwa s[2:3], v23, v45 src0_sel:BYTE_0 src1_sel:DWORD
	s_and_saveexec_b64 s[0:1], s[2:3]
	s_cbranch_execz .LBB881_331
; %bb.326:
	s_movk_i32 s2, 0x80
	v_cmp_ne_u16_sdwa s[8:9], v23, s2 src0_sel:BYTE_0 src1_sel:DWORD
	v_mov_b32_e32 v45, 0xffff8000
	s_and_saveexec_b64 s[2:3], s[8:9]
	s_cbranch_execz .LBB881_330
; %bb.327:
	s_movk_i32 s8, 0x7f
	v_and_b32_e32 v22, 0x7f, v23
	v_cmp_ne_u32_e32 vcc, s8, v22
	v_mov_b32_e32 v45, 0x7f80
	s_and_saveexec_b64 s[8:9], vcc
	s_cbranch_execz .LBB881_329
; %bb.328:
	v_and_b32_e32 v45, 7, v23
	v_ffbh_u32_e32 v56, v45
	v_min_u32_e32 v59, 32, v56
	v_mov_b32_e32 v42, v23
	v_subrev_u32_e32 v56, 28, v59
	v_lshlrev_b64 v[56:57], v56, v[42:43]
	v_lshrrev_b32_e32 v58, 3, v22
	v_sub_u32_e32 v42, 29, v59
	v_and_b32_e32 v56, 7, v56
	v_cmp_gt_u32_e32 vcc, 8, v22
	v_cndmask_b32_e32 v22, v58, v42, vcc
	v_cndmask_b32_e32 v42, v45, v56, vcc
	v_lshlrev_b32_e32 v45, 24, v23
	v_bfrev_b32_e32 v56, 60
	v_lshlrev_b32_e32 v42, 20, v42
	v_and_b32_e32 v45, 0x80000000, v45
	v_lshl_add_u32 v22, v22, 23, v56
	v_or3_b32 v22, v45, v22, v42
	v_lshrrev_b32_e32 v45, 16, v22
.LBB881_329:
	s_or_b64 exec, exec, s[8:9]
.LBB881_330:
	s_or_b64 exec, exec, s[2:3]
.LBB881_331:
	s_or_b64 exec, exec, s[0:1]
	v_lshrrev_b16_e32 v22, 8, v23
	v_cmp_ne_u16_e32 vcc, 0, v22
	v_mov_b32_e32 v57, 0
	v_mov_b32_e32 v56, 0
	s_and_saveexec_b64 s[0:1], vcc
	s_cbranch_execz .LBB881_337
; %bb.332:
	s_movk_i32 s2, 0x80
	v_cmp_ne_u16_e32 vcc, s2, v22
	v_mov_b32_e32 v56, 0xffff8000
	s_and_saveexec_b64 s[2:3], vcc
	s_cbranch_execz .LBB881_336
; %bb.333:
	s_movk_i32 s8, 0x7f
	v_and_b32_e32 v42, 0x7f, v22
	v_cmp_ne_u32_e32 vcc, s8, v42
	v_mov_b32_e32 v56, 0x7f80
	s_and_saveexec_b64 s[8:9], vcc
	s_cbranch_execz .LBB881_335
; %bb.334:
	v_and_b32_e32 v56, 7, v22
	v_ffbh_u32_e32 v58, v56
	v_min_u32_e32 v61, 32, v58
	v_subrev_u32_e32 v58, 28, v61
	v_lshlrev_b64 v[58:59], v58, v[22:23]
	v_lshrrev_b32_e32 v60, 3, v42
	v_sub_u32_e32 v22, 29, v61
	v_and_b32_e32 v58, 7, v58
	v_cmp_gt_u32_e32 vcc, 8, v42
	v_cndmask_b32_e32 v22, v60, v22, vcc
	v_cndmask_b32_e32 v42, v56, v58, vcc
	v_lshlrev_b32_e32 v56, 16, v23
	v_bfrev_b32_e32 v58, 60
	v_lshlrev_b32_e32 v42, 20, v42
	v_and_b32_e32 v56, 0x80000000, v56
	v_lshl_add_u32 v22, v22, 23, v58
	v_or3_b32 v22, v56, v22, v42
	v_lshrrev_b32_e32 v56, 16, v22
.LBB881_335:
	s_or_b64 exec, exec, s[8:9]
.LBB881_336:
	s_or_b64 exec, exec, s[2:3]
.LBB881_337:
	s_or_b64 exec, exec, s[0:1]
	s_movk_i32 s0, 0xff
	v_and_b32_sdwa v42, v23, s0 dst_sel:DWORD dst_unused:UNUSED_PAD src0_sel:WORD_1 src1_sel:DWORD
	v_lshrrev_b32_e32 v22, 16, v23
	v_cmp_ne_u16_e32 vcc, 0, v42
	s_and_saveexec_b64 s[0:1], vcc
	s_cbranch_execz .LBB881_343
; %bb.338:
	s_movk_i32 s2, 0x80
	v_cmp_ne_u16_e32 vcc, s2, v42
	v_mov_b32_e32 v57, 0xffff8000
	s_and_saveexec_b64 s[2:3], vcc
	s_cbranch_execz .LBB881_342
; %bb.339:
	v_bfe_u32 v42, v23, 16, 7
	s_movk_i32 s8, 0x7f
	v_cmp_ne_u32_e32 vcc, s8, v42
	v_mov_b32_e32 v57, 0x7f80
	s_and_saveexec_b64 s[8:9], vcc
	s_cbranch_execz .LBB881_341
; %bb.340:
	v_and_b32_e32 v57, 7, v22
	v_ffbh_u32_e32 v58, v57
	v_min_u32_e32 v61, 32, v58
	v_subrev_u32_e32 v58, 28, v61
	v_lshlrev_b64 v[58:59], v58, v[22:23]
	v_and_b32_e32 v58, 7, v58
	v_cmp_gt_u32_e32 vcc, 8, v42
	v_lshrrev_b32_e32 v60, 3, v42
	v_sub_u32_e32 v22, 29, v61
	v_cndmask_b32_e32 v42, v57, v58, vcc
	v_mov_b32_e32 v57, 24
	v_cndmask_b32_e32 v22, v60, v22, vcc
	v_lshlrev_b32_sdwa v57, v57, v23 dst_sel:DWORD dst_unused:UNUSED_PAD src0_sel:DWORD src1_sel:WORD_1
	v_bfrev_b32_e32 v58, 60
	v_lshlrev_b32_e32 v42, 20, v42
	v_and_b32_e32 v57, 0x80000000, v57
	v_lshl_add_u32 v22, v22, 23, v58
	v_or3_b32 v22, v57, v22, v42
	v_lshrrev_b32_e32 v57, 16, v22
.LBB881_341:
	s_or_b64 exec, exec, s[8:9]
.LBB881_342:
	s_or_b64 exec, exec, s[2:3]
.LBB881_343:
	s_or_b64 exec, exec, s[0:1]
	s_mov_b32 s0, 0xffffff
	v_cmp_lt_u32_e32 vcc, s0, v23
	v_mov_b32_e32 v42, 0
	v_mov_b32_e32 v58, 0
	s_and_saveexec_b64 s[0:1], vcc
	s_cbranch_execz .LBB881_349
; %bb.344:
	v_lshrrev_b32_e32 v22, 24, v23
	s_movk_i32 s2, 0x80
	v_cmp_ne_u32_e32 vcc, s2, v22
	v_mov_b32_e32 v58, 0xffff8000
	s_and_saveexec_b64 s[2:3], vcc
	s_cbranch_execz .LBB881_348
; %bb.345:
	v_bfe_u32 v23, v23, 24, 7
	s_movk_i32 s8, 0x7f
	v_cmp_ne_u32_e32 vcc, s8, v23
	v_mov_b32_e32 v58, 0x7f80
	s_and_saveexec_b64 s[8:9], vcc
	s_cbranch_execz .LBB881_347
; %bb.346:
	v_and_b32_e32 v60, 7, v22
	v_ffbh_u32_e32 v58, v60
	v_min_u32_e32 v62, 32, v58
	v_subrev_u32_e32 v58, 28, v62
	v_lshlrev_b64 v[58:59], v58, v[22:23]
	v_lshrrev_b32_e32 v61, 3, v23
	v_sub_u32_e32 v59, 29, v62
	v_and_b32_e32 v58, 7, v58
	v_cmp_gt_u32_e32 vcc, 8, v23
	v_cndmask_b32_e32 v23, v61, v59, vcc
	v_cndmask_b32_e32 v58, v60, v58, vcc
	v_lshlrev_b32_e32 v22, 24, v22
	v_bfrev_b32_e32 v59, 60
	v_lshlrev_b32_e32 v58, 20, v58
	v_and_b32_e32 v22, 0x80000000, v22
	v_lshl_add_u32 v23, v23, 23, v59
	v_or3_b32 v22, v22, v23, v58
	v_lshrrev_b32_e32 v58, 16, v22
.LBB881_347:
	s_or_b64 exec, exec, s[8:9]
.LBB881_348:
	s_or_b64 exec, exec, s[2:3]
.LBB881_349:
	s_or_b64 exec, exec, s[0:1]
	s_mov_b32 s0, 0x5040100
	v_perm_b32 v23, v54, v44, s0
	v_perm_b32 v22, v43, v55, s0
	v_cmp_ne_u16_sdwa s[2:3], v24, v42 src0_sel:BYTE_0 src1_sel:DWORD
	s_nop 0
	v_mfma_f32_16x16x16bf16_1k v[60:63], v[22:23], v[26:27], 0
	v_perm_b32 v23, v58, v57, s0
	v_perm_b32 v22, v56, v45, s0
	s_nop 1
	v_mfma_f32_16x16x16bf16_1k v[26:29], v[22:23], v[28:29], v[60:63]
	s_and_saveexec_b64 s[0:1], s[2:3]
	s_cbranch_execz .LBB881_355
; %bb.350:
	s_movk_i32 s2, 0x80
	v_cmp_ne_u16_sdwa s[8:9], v24, s2 src0_sel:BYTE_0 src1_sel:DWORD
	v_mov_b32_e32 v42, 0xffff8000
	s_and_saveexec_b64 s[2:3], s[8:9]
	s_cbranch_execz .LBB881_354
; %bb.351:
	s_movk_i32 s8, 0x7f
	v_and_b32_e32 v22, 0x7f, v24
	v_cmp_ne_u32_e32 vcc, s8, v22
	v_mov_b32_e32 v42, 0x7f80
	s_and_saveexec_b64 s[8:9], vcc
	s_cbranch_execz .LBB881_353
; %bb.352:
	v_and_b32_e32 v23, 7, v24
	v_ffbh_u32_e32 v42, v23
	v_min_u32_e32 v45, 32, v42
	v_subrev_u32_e32 v42, 28, v45
	v_lshlrev_b64 v[42:43], v42, v[24:25]
	v_lshrrev_b32_e32 v44, 3, v22
	v_sub_u32_e32 v43, 29, v45
	v_and_b32_e32 v42, 7, v42
	v_cmp_gt_u32_e32 vcc, 8, v22
	v_cndmask_b32_e32 v22, v44, v43, vcc
	v_cndmask_b32_e32 v23, v23, v42, vcc
	v_lshlrev_b32_e32 v42, 24, v24
	v_bfrev_b32_e32 v43, 60
	v_lshlrev_b32_e32 v23, 20, v23
	v_and_b32_e32 v42, 0x80000000, v42
	v_lshl_add_u32 v22, v22, 23, v43
	v_or3_b32 v22, v42, v22, v23
	v_lshrrev_b32_e32 v42, 16, v22
.LBB881_353:
	s_or_b64 exec, exec, s[8:9]
.LBB881_354:
	s_or_b64 exec, exec, s[2:3]
.LBB881_355:
	s_or_b64 exec, exec, s[0:1]
	v_lshrrev_b16_e32 v22, 8, v24
	v_cmp_ne_u16_e32 vcc, 0, v22
	v_mov_b32_e32 v43, 0
	v_mov_b32_e32 v23, 0
	s_and_saveexec_b64 s[0:1], vcc
	s_cbranch_execz .LBB881_361
; %bb.356:
	s_movk_i32 s2, 0x80
	v_cmp_ne_u16_e32 vcc, s2, v22
	v_mov_b32_e32 v23, 0xffff8000
	s_and_saveexec_b64 s[2:3], vcc
	s_cbranch_execz .LBB881_360
; %bb.357:
	s_movk_i32 s8, 0x7f
	v_and_b32_e32 v44, 0x7f, v22
	v_cmp_ne_u32_e32 vcc, s8, v44
	v_mov_b32_e32 v23, 0x7f80
	s_and_saveexec_b64 s[8:9], vcc
	s_cbranch_execz .LBB881_359
; %bb.358:
	v_and_b32_e32 v45, 7, v22
	v_ffbh_u32_e32 v23, v45
	v_min_u32_e32 v55, 32, v23
	v_subrev_u32_e32 v23, 28, v55
	v_lshlrev_b64 v[22:23], v23, v[22:23]
	v_lshrrev_b32_e32 v54, 3, v44
	v_sub_u32_e32 v23, 29, v55
	v_and_b32_e32 v22, 7, v22
	v_cmp_gt_u32_e32 vcc, 8, v44
	v_cndmask_b32_e32 v23, v54, v23, vcc
	v_cndmask_b32_e32 v22, v45, v22, vcc
	v_lshlrev_b32_e32 v44, 16, v24
	v_bfrev_b32_e32 v45, 60
	v_lshlrev_b32_e32 v22, 20, v22
	v_and_b32_e32 v44, 0x80000000, v44
	v_lshl_add_u32 v23, v23, 23, v45
	v_or3_b32 v22, v44, v23, v22
	v_lshrrev_b32_e32 v23, 16, v22
.LBB881_359:
	s_or_b64 exec, exec, s[8:9]
.LBB881_360:
	s_or_b64 exec, exec, s[2:3]
.LBB881_361:
	s_or_b64 exec, exec, s[0:1]
	s_movk_i32 s0, 0xff
	v_and_b32_sdwa v44, v24, s0 dst_sel:DWORD dst_unused:UNUSED_PAD src0_sel:WORD_1 src1_sel:DWORD
	v_lshrrev_b32_e32 v22, 16, v24
	v_cmp_ne_u16_e32 vcc, 0, v44
	s_and_saveexec_b64 s[0:1], vcc
	s_cbranch_execz .LBB881_367
; %bb.362:
	s_movk_i32 s2, 0x80
	v_cmp_ne_u16_e32 vcc, s2, v44
	v_mov_b32_e32 v43, 0xffff8000
	s_and_saveexec_b64 s[2:3], vcc
	s_cbranch_execz .LBB881_366
; %bb.363:
	v_bfe_u32 v44, v24, 16, 7
	s_movk_i32 s8, 0x7f
	v_cmp_ne_u32_e32 vcc, s8, v44
	v_mov_b32_e32 v43, 0x7f80
	s_and_saveexec_b64 s[8:9], vcc
	s_cbranch_execz .LBB881_365
; %bb.364:
	v_and_b32_e32 v43, 7, v22
	v_ffbh_u32_e32 v54, v43
	v_min_u32_e32 v56, 32, v54
	v_subrev_u32_e32 v54, 28, v56
	v_lshlrev_b64 v[54:55], v54, v[22:23]
	v_lshrrev_b32_e32 v45, 3, v44
	v_sub_u32_e32 v22, 29, v56
	v_and_b32_e32 v54, 7, v54
	v_cmp_gt_u32_e32 vcc, 8, v44
	v_mov_b32_e32 v44, 24
	v_cndmask_b32_e32 v22, v45, v22, vcc
	v_cndmask_b32_e32 v43, v43, v54, vcc
	v_lshlrev_b32_sdwa v44, v44, v24 dst_sel:DWORD dst_unused:UNUSED_PAD src0_sel:DWORD src1_sel:WORD_1
	v_bfrev_b32_e32 v45, 60
	v_lshlrev_b32_e32 v43, 20, v43
	v_and_b32_e32 v44, 0x80000000, v44
	v_lshl_add_u32 v22, v22, 23, v45
	v_or3_b32 v22, v44, v22, v43
	v_lshrrev_b32_e32 v43, 16, v22
.LBB881_365:
	s_or_b64 exec, exec, s[8:9]
.LBB881_366:
	s_or_b64 exec, exec, s[2:3]
.LBB881_367:
	s_or_b64 exec, exec, s[0:1]
	s_mov_b32 s0, 0xffffff
	v_cmp_lt_u32_e32 vcc, s0, v24
	v_mov_b32_e32 v45, 0
	v_mov_b32_e32 v54, 0
	s_and_saveexec_b64 s[0:1], vcc
	s_cbranch_execz .LBB881_373
; %bb.368:
	v_lshrrev_b32_e32 v22, 24, v24
	s_movk_i32 s2, 0x80
	v_cmp_ne_u32_e32 vcc, s2, v22
	v_mov_b32_e32 v54, 0xffff8000
	s_and_saveexec_b64 s[2:3], vcc
	s_cbranch_execz .LBB881_372
; %bb.369:
	v_bfe_u32 v24, v24, 24, 7
	s_movk_i32 s8, 0x7f
	v_cmp_ne_u32_e32 vcc, s8, v24
	v_mov_b32_e32 v54, 0x7f80
	s_and_saveexec_b64 s[8:9], vcc
	s_cbranch_execz .LBB881_371
; %bb.370:
	v_and_b32_e32 v44, 7, v22
	v_ffbh_u32_e32 v54, v44
	v_min_u32_e32 v57, 32, v54
	v_subrev_u32_e32 v54, 28, v57
	v_lshlrev_b64 v[54:55], v54, v[22:23]
	v_lshrrev_b32_e32 v56, 3, v24
	v_sub_u32_e32 v55, 29, v57
	v_and_b32_e32 v54, 7, v54
	v_cmp_gt_u32_e32 vcc, 8, v24
	v_cndmask_b32_e32 v24, v56, v55, vcc
	v_cndmask_b32_e32 v44, v44, v54, vcc
	v_lshlrev_b32_e32 v22, 24, v22
	v_bfrev_b32_e32 v54, 60
	v_lshlrev_b32_e32 v44, 20, v44
	v_and_b32_e32 v22, 0x80000000, v22
	v_lshl_add_u32 v24, v24, 23, v54
	v_or3_b32 v22, v22, v24, v44
	v_lshrrev_b32_e32 v54, 16, v22
.LBB881_371:
	s_or_b64 exec, exec, s[8:9]
.LBB881_372:
	s_or_b64 exec, exec, s[2:3]
.LBB881_373:
	s_or_b64 exec, exec, s[0:1]
	v_cmp_ne_u16_sdwa s[2:3], v25, v45 src0_sel:BYTE_0 src1_sel:DWORD
	s_and_saveexec_b64 s[0:1], s[2:3]
	s_cbranch_execz .LBB881_379
; %bb.374:
	s_movk_i32 s2, 0x80
	v_cmp_ne_u16_sdwa s[8:9], v25, s2 src0_sel:BYTE_0 src1_sel:DWORD
	v_mov_b32_e32 v45, 0xffff8000
	s_and_saveexec_b64 s[2:3], s[8:9]
	s_cbranch_execz .LBB881_378
; %bb.375:
	s_movk_i32 s8, 0x7f
	v_and_b32_e32 v22, 0x7f, v25
	v_cmp_ne_u32_e32 vcc, s8, v22
	v_mov_b32_e32 v45, 0x7f80
	s_and_saveexec_b64 s[8:9], vcc
	s_cbranch_execz .LBB881_377
; %bb.376:
	v_and_b32_e32 v55, 7, v25
	v_ffbh_u32_e32 v44, v55
	v_min_u32_e32 v57, 32, v44
	v_mov_b32_e32 v24, v25
	v_subrev_u32_e32 v44, 28, v57
	v_lshlrev_b64 v[44:45], v44, v[24:25]
	v_lshrrev_b32_e32 v56, 3, v22
	v_sub_u32_e32 v24, 29, v57
	v_and_b32_e32 v44, 7, v44
	v_cmp_gt_u32_e32 vcc, 8, v22
	v_cndmask_b32_e32 v22, v56, v24, vcc
	v_cndmask_b32_e32 v24, v55, v44, vcc
	v_lshlrev_b32_e32 v44, 24, v25
	v_bfrev_b32_e32 v45, 60
	v_lshlrev_b32_e32 v24, 20, v24
	v_and_b32_e32 v44, 0x80000000, v44
	v_lshl_add_u32 v22, v22, 23, v45
	v_or3_b32 v22, v44, v22, v24
	v_lshrrev_b32_e32 v45, 16, v22
.LBB881_377:
	s_or_b64 exec, exec, s[8:9]
.LBB881_378:
	s_or_b64 exec, exec, s[2:3]
.LBB881_379:
	s_or_b64 exec, exec, s[0:1]
	v_lshrrev_b16_e32 v22, 8, v25
	v_cmp_ne_u16_e32 vcc, 0, v22
	v_mov_b32_e32 v56, 0
	v_mov_b32_e32 v55, 0
	s_and_saveexec_b64 s[0:1], vcc
	s_cbranch_execz .LBB881_385
; %bb.380:
	s_movk_i32 s2, 0x80
	v_cmp_ne_u16_e32 vcc, s2, v22
	v_mov_b32_e32 v55, 0xffff8000
	s_and_saveexec_b64 s[2:3], vcc
	s_cbranch_execz .LBB881_384
; %bb.381:
	s_movk_i32 s8, 0x7f
	v_and_b32_e32 v24, 0x7f, v22
	v_cmp_ne_u32_e32 vcc, s8, v24
	v_mov_b32_e32 v55, 0x7f80
	s_and_saveexec_b64 s[8:9], vcc
	s_cbranch_execz .LBB881_383
; %bb.382:
	v_and_b32_e32 v44, 7, v22
	v_ffbh_u32_e32 v57, v44
	v_min_u32_e32 v57, 32, v57
	v_subrev_u32_e32 v58, 28, v57
	v_lshlrev_b64 v[58:59], v58, v[22:23]
	v_lshrrev_b32_e32 v55, 3, v24
	v_sub_u32_e32 v22, 29, v57
	v_and_b32_e32 v57, 7, v58
	v_cmp_gt_u32_e32 vcc, 8, v24
	v_cndmask_b32_e32 v22, v55, v22, vcc
	v_cndmask_b32_e32 v24, v44, v57, vcc
	v_lshlrev_b32_e32 v44, 16, v25
	v_bfrev_b32_e32 v55, 60
	v_lshlrev_b32_e32 v24, 20, v24
	v_and_b32_e32 v44, 0x80000000, v44
	v_lshl_add_u32 v22, v22, 23, v55
	v_or3_b32 v22, v44, v22, v24
	v_lshrrev_b32_e32 v55, 16, v22
.LBB881_383:
	s_or_b64 exec, exec, s[8:9]
.LBB881_384:
	s_or_b64 exec, exec, s[2:3]
.LBB881_385:
	s_or_b64 exec, exec, s[0:1]
	s_movk_i32 s0, 0xff
	v_and_b32_sdwa v24, v25, s0 dst_sel:DWORD dst_unused:UNUSED_PAD src0_sel:WORD_1 src1_sel:DWORD
	v_lshrrev_b32_e32 v22, 16, v25
	v_cmp_ne_u16_e32 vcc, 0, v24
	s_and_saveexec_b64 s[0:1], vcc
	s_cbranch_execz .LBB881_391
; %bb.386:
	s_movk_i32 s2, 0x80
	v_cmp_ne_u16_e32 vcc, s2, v24
	v_mov_b32_e32 v56, 0xffff8000
	s_and_saveexec_b64 s[2:3], vcc
	s_cbranch_execz .LBB881_390
; %bb.387:
	v_bfe_u32 v24, v25, 16, 7
	s_movk_i32 s8, 0x7f
	v_cmp_ne_u32_e32 vcc, s8, v24
	v_mov_b32_e32 v56, 0x7f80
	s_and_saveexec_b64 s[8:9], vcc
	s_cbranch_execz .LBB881_389
; %bb.388:
	v_and_b32_e32 v44, 7, v22
	v_ffbh_u32_e32 v56, v44
	v_min_u32_e32 v59, 32, v56
	v_subrev_u32_e32 v56, 28, v59
	v_lshlrev_b64 v[56:57], v56, v[22:23]
	v_and_b32_e32 v56, 7, v56
	v_cmp_gt_u32_e32 vcc, 8, v24
	v_lshrrev_b32_e32 v58, 3, v24
	v_sub_u32_e32 v22, 29, v59
	v_cndmask_b32_e32 v24, v44, v56, vcc
	v_mov_b32_e32 v44, 24
	v_cndmask_b32_e32 v22, v58, v22, vcc
	v_lshlrev_b32_sdwa v44, v44, v25 dst_sel:DWORD dst_unused:UNUSED_PAD src0_sel:DWORD src1_sel:WORD_1
	v_bfrev_b32_e32 v56, 60
	v_lshlrev_b32_e32 v24, 20, v24
	v_and_b32_e32 v44, 0x80000000, v44
	v_lshl_add_u32 v22, v22, 23, v56
	v_or3_b32 v22, v44, v22, v24
	v_lshrrev_b32_e32 v56, 16, v22
.LBB881_389:
	s_or_b64 exec, exec, s[8:9]
.LBB881_390:
	s_or_b64 exec, exec, s[2:3]
.LBB881_391:
	s_or_b64 exec, exec, s[0:1]
	s_mov_b32 s0, 0xffffff
	v_and_b32_e32 v44, 63, v0
	v_cmp_lt_u32_e32 vcc, s0, v25
	v_mov_b32_e32 v57, 0
	s_and_saveexec_b64 s[0:1], vcc
	s_cbranch_execz .LBB881_397
; %bb.392:
	v_lshrrev_b32_e32 v22, 24, v25
	s_movk_i32 s2, 0x80
	v_cmp_ne_u32_e32 vcc, s2, v22
	v_mov_b32_e32 v57, 0xffff8000
	s_and_saveexec_b64 s[2:3], vcc
	s_cbranch_execz .LBB881_396
; %bb.393:
	v_bfe_u32 v24, v25, 24, 7
	s_movk_i32 s8, 0x7f
	v_cmp_ne_u32_e32 vcc, s8, v24
	v_mov_b32_e32 v57, 0x7f80
	s_and_saveexec_b64 s[8:9], vcc
	s_cbranch_execz .LBB881_395
; %bb.394:
	v_and_b32_e32 v25, 7, v22
	v_ffbh_u32_e32 v58, v25
	v_min_u32_e32 v60, 32, v58
	v_subrev_u32_e32 v58, 28, v60
	v_lshlrev_b64 v[58:59], v58, v[22:23]
	v_lshrrev_b32_e32 v57, 3, v24
	v_sub_u32_e32 v59, 29, v60
	v_and_b32_e32 v58, 7, v58
	v_cmp_gt_u32_e32 vcc, 8, v24
	v_cndmask_b32_e32 v24, v57, v59, vcc
	v_cndmask_b32_e32 v25, v25, v58, vcc
	v_lshlrev_b32_e32 v22, 24, v22
	v_bfrev_b32_e32 v57, 60
	v_lshlrev_b32_e32 v25, 20, v25
	v_and_b32_e32 v22, 0x80000000, v22
	v_lshl_add_u32 v24, v24, 23, v57
	v_or3_b32 v22, v22, v24, v25
	v_lshrrev_b32_e32 v57, 16, v22
.LBB881_395:
	s_or_b64 exec, exec, s[8:9]
.LBB881_396:
	s_or_b64 exec, exec, s[2:3]
.LBB881_397:
	s_or_b64 exec, exec, s[0:1]
	s_mov_b32 s1, 0x5040100
	v_perm_b32 v43, v54, v43, s1
	v_perm_b32 v42, v23, v42, s1
	s_load_dword s0, s[4:5], 0x1c
	s_mov_b32 s40, 0xff7fffff
	s_waitcnt lgkmcnt(0)
	v_mfma_f32_16x16x16bf16_1k v[26:29], v[42:43], v[18:19], v[26:29]
	v_perm_b32 v19, v57, v56, s1
	v_perm_b32 v18, v55, v45, s1
	v_mov_b32_e32 v22, s0
	v_mul_f32_e32 v54, s10, v22
	v_pk_mul_f32 v[22:23], v[54:55], v[32:33] op_sel_hi:[0,1]
	v_pk_mul_f32 v[32:33], v[54:55], v[38:39] op_sel_hi:[0,1]
	v_and_b32_e32 v38, 0xc0, v0
	v_mfma_f32_16x16x16bf16_1k v[26:29], v[18:19], v[20:21], v[26:29]
	v_add_u32_e32 v38, s18, v38
	v_lshl_or_b32 v38, v49, 2, v38
	v_or_b32_e32 v39, 1, v38
	v_pk_mul_f32 v[24:25], v[54:55], v[30:31] op_sel_hi:[0,1]
	v_pk_mul_f32 v[30:31], v[54:55], v[40:41] op_sel_hi:[0,1]
	v_subrev_u32_e32 v40, s33, v39
	v_pk_mul_f32 v[34:35], v[54:55], v[34:35] op_sel_hi:[0,1]
	s_nop 3
	v_pk_mul_f32 v[20:21], v[54:55], v[26:27] op_sel_hi:[0,1]
	v_add_u32_e32 v27, 1, v40
	v_pk_mul_f32 v[18:19], v[54:55], v[28:29] op_sel_hi:[0,1]
	v_cvt_f32_i32_e32 v27, v27
	v_add_u32_e32 v29, 3, v40
	v_cvt_f32_i32_e32 v29, v29
	v_cvt_f32_i32_e32 v26, v40
	v_pk_mul_f32 v[36:37], v[54:55], v[36:37] op_sel_hi:[0,1]
	v_fmac_f32_e32 v35, v53, v27
	v_add_u32_e32 v27, 16, v40
	v_fmac_f32_e32 v37, v53, v29
	v_cvt_f32_i32_e32 v27, v27
	v_add_u32_e32 v29, 17, v40
	v_fma_f32 v26, v53, v26, v34
	v_cvt_f32_i32_e32 v29, v29
	v_add_u32_e32 v34, 18, v40
	v_cvt_f32_i32_e32 v34, v34
	v_fma_f32 v41, v53, v27, v32
	v_add_u32_e32 v27, 32, v40
	v_fmac_f32_e32 v33, v53, v29
	v_cvt_f32_i32_e32 v27, v27
	v_add_u32_e32 v29, 33, v40
	v_add_u32_e32 v32, 34, v40
	v_fma_f32 v30, v53, v34, v30
	v_cvt_f32_i32_e32 v29, v29
	v_cvt_f32_i32_e32 v32, v32
	v_add_u32_e32 v34, 35, v40
	v_cvt_f32_i32_e32 v34, v34
	v_fma_f32 v24, v53, v27, v24
	v_add_u32_e32 v27, 48, v40
	v_fmac_f32_e32 v25, v53, v29
	v_fma_f32 v22, v53, v32, v22
	v_cvt_f32_i32_e32 v27, v27
	v_add_u32_e32 v29, 49, v40
	v_add_u32_e32 v32, 50, v40
	v_fmac_f32_e32 v23, v53, v34
	v_cvt_f32_i32_e32 v29, v29
	v_cvt_f32_i32_e32 v32, v32
	v_add_u32_e32 v34, 51, v40
	v_add_u32_e32 v28, 2, v40
	v_cvt_f32_i32_e32 v34, v34
	v_cvt_f32_i32_e32 v28, v28
	v_fma_f32 v20, v53, v27, v20
	v_mov_b32_e32 v27, 0xff7fffff
	v_cmp_gt_i32_e64 s[24:25], s33, v38
	v_cmp_gt_i32_e64 s[26:27], s33, v39
	v_fmac_f32_e32 v21, v53, v29
	v_fma_f32 v18, v53, v32, v18
	v_cndmask_b32_e64 v29, v27, v26, s[24:25]
	v_cndmask_b32_e64 v32, v27, v35, s[26:27]
	v_fmac_f32_e32 v19, v53, v34
	v_max3_f32 v29, v29, s40, v32
	v_or_b32_e32 v32, 2, v38
	v_or_b32_e32 v34, 3, v38
	v_fma_f32 v28, v53, v28, v36
	v_cmp_gt_i32_e64 s[28:29], s33, v32
	v_cmp_gt_i32_e64 s[30:31], s33, v34
	v_add_u32_e32 v36, 19, v40
	v_cndmask_b32_e64 v32, v27, v28, s[28:29]
	v_cndmask_b32_e64 v34, v27, v37, s[30:31]
	v_cvt_f32_i32_e32 v36, v36
	v_max3_f32 v29, v29, v32, v34
	v_or_b32_e32 v32, 16, v38
	v_or_b32_e32 v34, 17, v38
	v_cmp_gt_i32_e64 s[34:35], s33, v32
	v_cmp_gt_i32_e64 s[36:37], s33, v34
	v_cndmask_b32_e64 v32, v27, v41, s[34:35]
	v_cndmask_b32_e64 v34, v27, v33, s[36:37]
	v_max3_f32 v29, v29, v32, v34
	v_or_b32_e32 v32, 18, v38
	v_or_b32_e32 v34, 19, v38
	v_fmac_f32_e32 v31, v53, v36
	v_cmp_gt_i32_e64 s[18:19], s33, v32
	v_cmp_gt_i32_e64 s[20:21], s33, v34
	v_cndmask_b32_e64 v32, v27, v30, s[18:19]
	v_cndmask_b32_e64 v34, v27, v31, s[20:21]
	v_max3_f32 v29, v29, v32, v34
	v_or_b32_e32 v32, 32, v38
	v_or_b32_e32 v34, 33, v38
	v_cmp_gt_i32_e64 s[14:15], s33, v32
	v_cmp_gt_i32_e64 s[16:17], s33, v34
	v_cndmask_b32_e64 v32, v27, v24, s[14:15]
	v_cndmask_b32_e64 v34, v27, v25, s[16:17]
	v_max3_f32 v29, v29, v32, v34
	v_or_b32_e32 v32, 34, v38
	v_or_b32_e32 v34, 35, v38
	;; [unrolled: 7-line block ×4, first 2 shown]
	v_cmp_gt_i32_e32 vcc, s33, v32
	v_cmp_gt_i32_e64 s[0:1], s33, v34
	v_cndmask_b32_e32 v32, v27, v18, vcc
	v_cndmask_b32_e64 v27, v27, v19, s[0:1]
	v_max3_f32 v27, v29, v32, v27
	v_mbcnt_lo_u32_b32 v29, -1, 0
	v_mbcnt_hi_u32_b32 v29, -1, v29
	v_and_b32_e32 v32, 64, v29
	v_add_u32_e32 v32, 64, v32
	v_xor_b32_e32 v34, 32, v29
	v_cmp_lt_i32_e64 s[38:39], v34, v32
	v_cndmask_b32_e64 v34, v29, v34, s[38:39]
	v_lshlrev_b32_e32 v36, 2, v34
	ds_bpermute_b32 v34, v36, v27
	s_barrier
	s_waitcnt lgkmcnt(0)
	v_max_f32_e32 v34, v34, v34
	v_max_f32_e32 v27, v27, v34
	v_xor_b32_e32 v34, 16, v29
	v_cmp_lt_i32_e64 s[38:39], v34, v32
	v_cndmask_b32_e64 v29, v29, v34, s[38:39]
	v_lshlrev_b32_e32 v38, 2, v29
	ds_bpermute_b32 v29, v38, v27
	s_waitcnt lgkmcnt(0)
	v_max_f32_e32 v29, v29, v29
	v_max_f32_e32 v32, v27, v29
	v_sub_f32_e32 v26, v26, v32
	v_mul_f32_e32 v26, 0x3fb8aa3b, v26
	v_sub_f32_e32 v27, v35, v32
	v_exp_f32_e32 v26, v26
	v_mul_f32_e32 v27, 0x3fb8aa3b, v27
	v_sub_f32_e32 v28, v28, v32
	v_exp_f32_e32 v27, v27
	v_mul_f32_e32 v28, 0x3fb8aa3b, v28
	v_exp_f32_e32 v28, v28
	v_cndmask_b32_e64 v26, 0, v26, s[24:25]
	v_sub_f32_e32 v34, v37, v32
	v_add_f32_e32 v29, 0, v26
	v_cndmask_b32_e64 v27, 0, v27, s[26:27]
	v_mul_f32_e32 v34, 0x3fb8aa3b, v34
	v_exp_f32_e32 v35, v34
	v_add_f32_e32 v29, v29, v27
	v_cndmask_b32_e64 v34, 0, v28, s[28:29]
	v_add_f32_e32 v28, v29, v34
	v_sub_f32_e32 v29, v41, v32
	v_mul_f32_e32 v29, 0x3fb8aa3b, v29
	v_sub_f32_e32 v33, v33, v32
	v_exp_f32_e32 v29, v29
	v_mul_f32_e32 v33, 0x3fb8aa3b, v33
	v_sub_f32_e32 v30, v30, v32
	v_exp_f32_e32 v33, v33
	;; [unrolled: 3-line block ×3, first 2 shown]
	v_mul_f32_e32 v31, 0x3fb8aa3b, v31
	v_sub_f32_e32 v24, v24, v32
	v_cndmask_b32_e64 v35, 0, v35, s[30:31]
	v_exp_f32_e32 v31, v31
	v_mul_f32_e32 v24, 0x3fb8aa3b, v24
	v_sub_f32_e32 v25, v25, v32
	v_add_f32_e32 v37, v28, v35
	v_cndmask_b32_e64 v28, 0, v29, s[34:35]
	v_exp_f32_e32 v24, v24
	v_mul_f32_e32 v25, 0x3fb8aa3b, v25
	v_sub_f32_e32 v22, v22, v32
	v_add_f32_e32 v37, v37, v28
	v_cndmask_b32_e64 v29, 0, v33, s[36:37]
	v_exp_f32_e32 v25, v25
	v_mul_f32_e32 v22, 0x3fb8aa3b, v22
	v_sub_f32_e32 v23, v23, v32
	v_add_f32_e32 v33, v37, v29
	v_cndmask_b32_e64 v30, 0, v30, s[18:19]
	v_exp_f32_e32 v22, v22
	v_mul_f32_e32 v23, 0x3fb8aa3b, v23
	v_sub_f32_e32 v20, v20, v32
	v_add_f32_e32 v33, v33, v30
	v_cndmask_b32_e64 v31, 0, v31, s[20:21]
	v_exp_f32_e32 v23, v23
	v_mul_f32_e32 v20, 0x3fb8aa3b, v20
	v_sub_f32_e32 v21, v21, v32
	v_add_f32_e32 v33, v33, v31
	v_cndmask_b32_e64 v24, 0, v24, s[14:15]
	v_exp_f32_e32 v20, v20
	v_mul_f32_e32 v21, 0x3fb8aa3b, v21
	v_sub_f32_e32 v18, v18, v32
	v_add_f32_e32 v33, v33, v24
	v_cndmask_b32_e64 v25, 0, v25, s[16:17]
	v_exp_f32_e32 v21, v21
	v_mul_f32_e32 v18, 0x3fb8aa3b, v18
	v_sub_f32_e32 v19, v19, v32
	v_add_f32_e32 v33, v33, v25
	v_cndmask_b32_e64 v22, 0, v22, s[10:11]
	v_exp_f32_e32 v18, v18
	v_mul_f32_e32 v19, 0x3fb8aa3b, v19
	v_add_f32_e32 v33, v33, v22
	v_cndmask_b32_e64 v23, 0, v23, s[12:13]
	v_exp_f32_e32 v19, v19
	v_add_f32_e32 v33, v33, v23
	v_cndmask_b32_e64 v20, 0, v20, s[2:3]
	v_add_f32_e32 v33, v33, v20
	v_cndmask_b32_e64 v21, 0, v21, s[8:9]
	v_add_f32_e32 v33, v33, v21
	v_cndmask_b32_e32 v18, 0, v18, vcc
	v_add_f32_e32 v33, v33, v18
	v_cndmask_b32_e64 v19, 0, v19, s[0:1]
	v_add_f32_e32 v33, v33, v19
	ds_bpermute_b32 v36, v36, v33
	v_cmp_gt_u32_e32 vcc, 16, v44
	s_waitcnt lgkmcnt(0)
	v_add_f32_e32 v36, v33, v36
	ds_bpermute_b32 v37, v38, v36
	v_lshlrev_b32_e32 v33, 2, v52
	s_and_saveexec_b64 s[0:1], vcc
	s_cbranch_execz .LBB881_399
; %bb.398:
	s_waitcnt lgkmcnt(0)
	v_add_f32_e32 v36, v36, v37
	v_lshl_or_b32 v37, v51, 6, v33
	ds_write2st64_b32 v37, v32, v36 offset1:1
.LBB881_399:
	s_or_b64 exec, exec, s[0:1]
	s_waitcnt lgkmcnt(0)
	s_barrier
	ds_read2_b32 v[36:37], v33 offset1:16
	ds_read2_b32 v[38:39], v33 offset0:32 offset1:48
	ds_read2_b32 v[40:41], v33 offset0:64 offset1:80
	s_lshl_b32 s10, s47, 2
	s_waitcnt lgkmcnt(2)
	v_max3_f32 v32, v36, s40, v37
	s_waitcnt lgkmcnt(1)
	v_max3_f32 v32, v32, v38, v39
	v_sub_f32_e32 v36, v36, v32
	v_mul_f32_e32 v36, 0x3fb8aa3b, v36
	v_exp_f32_e32 v42, v36
	v_sub_f32_e32 v36, v37, v32
	v_mul_f32_e32 v36, 0x3fb8aa3b, v36
	v_exp_f32_e32 v43, v36
	;; [unrolled: 3-line block ×3, first 2 shown]
	ds_read2_b32 v[36:37], v33 offset0:96 offset1:112
	v_sub_f32_e32 v33, v39, v32
	v_mul_f32_e32 v33, 0x3fb8aa3b, v33
	v_exp_f32_e32 v39, v33
	s_waitcnt lgkmcnt(1)
	v_fma_f32 v33, v42, v40, 0
	v_fmac_f32_e32 v33, v43, v41
	s_waitcnt lgkmcnt(0)
	v_fmac_f32_e32 v33, v38, v36
	v_fmac_f32_e32 v33, v39, v37
	v_add_f32_e32 v36, 0x358637bd, v33
	v_div_scale_f32 v37, s[0:1], v36, v36, 1.0
	v_rcp_f32_e32 v40, v37
	s_movk_i32 s0, 0x7fff
	s_mov_b32 s1, 0x7060302
	v_fma_f32 v41, -v37, v40, 1.0
	v_fmac_f32_e32 v40, v41, v40
	v_div_scale_f32 v41, vcc, 1.0, v36, 1.0
	v_mul_f32_e32 v44, v41, v40
	v_fma_f32 v45, -v37, v44, v41
	v_fmac_f32_e32 v44, v45, v40
	v_fma_f32 v37, -v37, v44, v41
	v_div_fmas_f32 v37, v37, v40, v44
	v_cmp_eq_u32_e32 vcc, 1, v51
	v_div_fixup_f32 v36, v37, v36, 1.0
	v_cndmask_b32_e32 v37, v42, v43, vcc
	v_cmp_eq_u32_e32 vcc, 2, v51
	v_cndmask_b32_e32 v37, v37, v38, vcc
	v_cmp_eq_u32_e32 vcc, 3, v51
	v_cndmask_b32_e32 v37, v37, v39, vcc
	v_mul_f32_e32 v36, v37, v36
	v_pk_mul_f32 v[26:27], v[36:37], v[26:27] op_sel_hi:[0,1]
	v_pk_mul_f32 v[34:35], v[36:37], v[34:35] op_sel_hi:[0,1]
	v_bfe_u32 v37, v27, 16, 1
	v_bfe_u32 v38, v26, 16, 1
	v_add3_u32 v26, v26, v38, s0
	v_add3_u32 v27, v27, v37, s0
	v_perm_b32 v38, v27, v26, s1
	v_bfe_u32 v26, v35, 16, 1
	v_bfe_u32 v27, v34, 16, 1
	v_add3_u32 v27, v34, v27, s0
	v_add3_u32 v26, v35, v26, s0
	v_perm_b32 v39, v26, v27, s1
	v_lshlrev_b32_e32 v26, 3, v49
	v_lshlrev_b32_e32 v27, 11, v51
	v_pk_mul_f32 v[28:29], v[36:37], v[28:29] op_sel_hi:[0,1]
	v_or3_b32 v26, v27, v50, v26
	v_bfe_u32 v27, v29, 16, 1
	v_bfe_u32 v34, v28, 16, 1
	v_pk_mul_f32 v[30:31], v[36:37], v[30:31] op_sel_hi:[0,1]
	v_add3_u32 v28, v28, v34, s0
	v_add3_u32 v27, v29, v27, s0
	v_perm_b32 v28, v27, v28, s1
	v_bfe_u32 v27, v31, 16, 1
	v_bfe_u32 v29, v30, 16, 1
	v_add3_u32 v29, v30, v29, s0
	v_add3_u32 v27, v31, v27, s0
	v_perm_b32 v29, v27, v29, s1
	v_pk_mul_f32 v[24:25], v[36:37], v[24:25] op_sel_hi:[0,1]
	s_barrier
	ds_write2st64_b64 v26, v[38:39], v[28:29] offset1:1
	v_bfe_u32 v27, v25, 16, 1
	v_bfe_u32 v28, v24, 16, 1
	v_pk_mul_f32 v[22:23], v[36:37], v[22:23] op_sel_hi:[0,1]
	v_add3_u32 v24, v24, v28, s0
	v_add3_u32 v25, v25, v27, s0
	v_perm_b32 v24, v25, v24, s1
	v_bfe_u32 v25, v23, 16, 1
	v_bfe_u32 v27, v22, 16, 1
	v_add3_u32 v22, v22, v27, s0
	v_add3_u32 v23, v23, v25, s0
	v_pk_mul_f32 v[20:21], v[36:37], v[20:21] op_sel_hi:[0,1]
	v_perm_b32 v25, v23, v22, s1
	v_bfe_u32 v22, v21, 16, 1
	v_bfe_u32 v23, v20, 16, 1
	v_pk_mul_f32 v[18:19], v[36:37], v[18:19] op_sel_hi:[0,1]
	v_add3_u32 v20, v20, v23, s0
	v_add3_u32 v21, v21, v22, s0
	v_perm_b32 v20, v21, v20, s1
	v_bfe_u32 v21, v19, 16, 1
	v_bfe_u32 v22, v18, 16, 1
	v_add3_u32 v18, v18, v22, s0
	v_add3_u32 v19, v19, v21, s0
	v_perm_b32 v21, v19, v18, s1
	v_cmp_gt_u32_e32 vcc, 4, v0
	ds_write2st64_b64 v26, v[24:25], v[20:21] offset0:2 offset1:3
	s_and_saveexec_b64 s[0:1], vcc
	s_cbranch_execz .LBB881_401
; %bb.400:
	v_or_b32_e32 v18, s23, v0
	v_mov_b32_e32 v19, 0
	v_mov_b32_e32 v20, s10
	v_mad_u64_u32 v[20:21], s[2:3], s6, v20, v[18:19]
	v_mov_b32_e32 v18, s22
	s_load_dwordx4 s[12:15], s[4:5], 0x58
	s_mul_i32 s7, s7, s10
	v_mad_u64_u32 v[18:19], s[2:3], v20, s46, v[18:19]
	v_add_u32_e32 v21, s7, v21
	v_mov_b32_e32 v20, v19
	v_mad_u64_u32 v[20:21], s[2:3], v21, s46, v[20:21]
	v_mov_b32_e32 v19, v20
	v_lshlrev_b64 v[18:19], 2, v[18:19]
	s_waitcnt lgkmcnt(0)
	v_mov_b32_e32 v21, s15
	v_add_co_u32_e32 v20, vcc, s14, v18
	v_addc_co_u32_e32 v21, vcc, v21, v19, vcc
	global_store_dword v[20:21], v32, off
	v_mov_b32_e32 v20, s13
	v_add_co_u32_e32 v18, vcc, s12, v18
	v_addc_co_u32_e32 v19, vcc, v20, v19, vcc
	global_store_dword v[18:19], v33, off
.LBB881_401:
	s_or_b64 exec, exec, s[0:1]
	v_mov_b32_e32 v19, 0
	s_waitcnt vmcnt(3)
	v_cmp_ne_u16_sdwa s[2:3], v14, v19 src0_sel:BYTE_0 src1_sel:DWORD
	v_mov_b32_e32 v20, 0
	s_waitcnt lgkmcnt(0)
	s_barrier
	s_and_saveexec_b64 s[0:1], s[2:3]
	s_cbranch_execz .LBB881_407
; %bb.402:
	s_movk_i32 s2, 0x80
	v_cmp_ne_u16_sdwa s[8:9], v14, s2 src0_sel:BYTE_0 src1_sel:DWORD
	v_mov_b32_e32 v20, 0xffff8000
	s_and_saveexec_b64 s[2:3], s[8:9]
	s_cbranch_execz .LBB881_406
; %bb.403:
	s_movk_i32 s7, 0x7f
	v_and_b32_e32 v18, 0x7f, v14
	v_cmp_ne_u32_e32 vcc, s7, v18
	v_mov_b32_e32 v20, 0x7f80
	s_and_saveexec_b64 s[8:9], vcc
	s_cbranch_execz .LBB881_405
; %bb.404:
	v_and_b32_e32 v22, 7, v14
	v_ffbh_u32_e32 v20, v22
	v_min_u32_e32 v24, 32, v20
	v_subrev_u32_e32 v20, 28, v24
	v_lshlrev_b64 v[20:21], v20, v[14:15]
	v_lshrrev_b32_e32 v23, 3, v18
	v_sub_u32_e32 v21, 29, v24
	v_and_b32_e32 v20, 7, v20
	v_cmp_gt_u32_e32 vcc, 8, v18
	v_cndmask_b32_e32 v18, v23, v21, vcc
	v_cndmask_b32_e32 v20, v22, v20, vcc
	v_lshlrev_b32_e32 v21, 24, v14
	v_bfrev_b32_e32 v22, 60
	v_lshlrev_b32_e32 v20, 20, v20
	v_and_b32_e32 v21, 0x80000000, v21
	v_lshl_add_u32 v18, v18, 23, v22
	v_or3_b32 v18, v21, v18, v20
	v_lshrrev_b32_e32 v20, 16, v18
.LBB881_405:
	s_or_b64 exec, exec, s[8:9]
.LBB881_406:
	s_or_b64 exec, exec, s[2:3]
.LBB881_407:
	s_or_b64 exec, exec, s[0:1]
	v_lshrrev_b16_e32 v18, 8, v14
	v_cmp_ne_u16_e32 vcc, 0, v18
	s_and_saveexec_b64 s[0:1], vcc
	s_cbranch_execz .LBB881_413
; %bb.408:
	s_movk_i32 s2, 0x80
	v_cmp_ne_u16_e32 vcc, s2, v18
	v_mov_b32_e32 v19, 0xffff8000
	s_and_saveexec_b64 s[2:3], vcc
	s_cbranch_execz .LBB881_412
; %bb.409:
	s_movk_i32 s7, 0x7f
	v_and_b32_e32 v21, 0x7f, v18
	v_cmp_ne_u32_e32 vcc, s7, v21
	v_mov_b32_e32 v19, 0x7f80
	s_and_saveexec_b64 s[8:9], vcc
	s_cbranch_execz .LBB881_411
; %bb.410:
	v_and_b32_e32 v22, 7, v18
	v_ffbh_u32_e32 v19, v22
	v_min_u32_e32 v24, 32, v19
	v_subrev_u32_e32 v19, 28, v24
	v_lshlrev_b64 v[18:19], v19, v[18:19]
	v_lshrrev_b32_e32 v23, 3, v21
	v_sub_u32_e32 v19, 29, v24
	v_and_b32_e32 v18, 7, v18
	v_cmp_gt_u32_e32 vcc, 8, v21
	v_cndmask_b32_e32 v19, v23, v19, vcc
	v_cndmask_b32_e32 v18, v22, v18, vcc
	v_lshlrev_b32_e32 v21, 16, v14
	v_bfrev_b32_e32 v22, 60
	v_lshlrev_b32_e32 v18, 20, v18
	v_and_b32_e32 v21, 0x80000000, v21
	v_lshl_add_u32 v19, v19, 23, v22
	v_or3_b32 v18, v21, v19, v18
	v_lshrrev_b32_e32 v19, 16, v18
.LBB881_411:
	s_or_b64 exec, exec, s[8:9]
.LBB881_412:
	s_or_b64 exec, exec, s[2:3]
.LBB881_413:
	s_or_b64 exec, exec, s[0:1]
	s_movk_i32 s0, 0xff
	v_and_b32_sdwa v23, v14, s0 dst_sel:DWORD dst_unused:UNUSED_PAD src0_sel:WORD_1 src1_sel:DWORD
	v_lshrrev_b32_e32 v18, 16, v14
	v_cmp_ne_u16_e32 vcc, 0, v23
	v_mov_b32_e32 v21, 0
	v_mov_b32_e32 v22, 0
	s_and_saveexec_b64 s[0:1], vcc
	s_cbranch_execz .LBB881_419
; %bb.414:
	s_movk_i32 s2, 0x80
	v_cmp_ne_u16_e32 vcc, s2, v23
	v_mov_b32_e32 v22, 0xffff8000
	s_and_saveexec_b64 s[2:3], vcc
	s_cbranch_execz .LBB881_418
; %bb.415:
	v_bfe_u32 v23, v14, 16, 7
	s_movk_i32 s7, 0x7f
	v_cmp_ne_u32_e32 vcc, s7, v23
	v_mov_b32_e32 v22, 0x7f80
	s_and_saveexec_b64 s[8:9], vcc
	s_cbranch_execz .LBB881_417
; %bb.416:
	v_and_b32_e32 v22, 7, v18
	v_ffbh_u32_e32 v24, v22
	v_min_u32_e32 v28, 32, v24
	v_subrev_u32_e32 v24, 28, v28
	v_lshlrev_b64 v[24:25], v24, v[18:19]
	v_lshrrev_b32_e32 v27, 3, v23
	v_sub_u32_e32 v18, 29, v28
	v_and_b32_e32 v24, 7, v24
	v_cmp_gt_u32_e32 vcc, 8, v23
	v_mov_b32_e32 v23, 24
	v_cndmask_b32_e32 v18, v27, v18, vcc
	v_cndmask_b32_e32 v22, v22, v24, vcc
	v_lshlrev_b32_sdwa v23, v23, v14 dst_sel:DWORD dst_unused:UNUSED_PAD src0_sel:DWORD src1_sel:WORD_1
	v_bfrev_b32_e32 v24, 60
	v_lshlrev_b32_e32 v22, 20, v22
	v_and_b32_e32 v23, 0x80000000, v23
	v_lshl_add_u32 v18, v18, 23, v24
	v_or3_b32 v18, v23, v18, v22
	v_lshrrev_b32_e32 v22, 16, v18
.LBB881_417:
	s_or_b64 exec, exec, s[8:9]
.LBB881_418:
	s_or_b64 exec, exec, s[2:3]
.LBB881_419:
	s_or_b64 exec, exec, s[0:1]
	s_mov_b32 s0, 0xffffff
	v_cmp_lt_u32_e32 vcc, s0, v14
	s_and_saveexec_b64 s[0:1], vcc
	s_cbranch_execz .LBB881_425
; %bb.420:
	v_lshrrev_b32_e32 v18, 24, v14
	s_movk_i32 s2, 0x80
	v_cmp_ne_u32_e32 vcc, s2, v18
	v_mov_b32_e32 v21, 0xffff8000
	s_and_saveexec_b64 s[2:3], vcc
	s_cbranch_execz .LBB881_424
; %bb.421:
	v_bfe_u32 v14, v14, 24, 7
	s_movk_i32 s7, 0x7f
	v_cmp_ne_u32_e32 vcc, s7, v14
	v_mov_b32_e32 v21, 0x7f80
	s_and_saveexec_b64 s[8:9], vcc
	s_cbranch_execz .LBB881_423
; %bb.422:
	v_and_b32_e32 v21, 7, v18
	v_ffbh_u32_e32 v24, v21
	v_min_u32_e32 v27, 32, v24
	v_subrev_u32_e32 v24, 28, v27
	v_lshlrev_b64 v[24:25], v24, v[18:19]
	v_lshrrev_b32_e32 v23, 3, v14
	v_sub_u32_e32 v25, 29, v27
	v_and_b32_e32 v24, 7, v24
	v_cmp_gt_u32_e32 vcc, 8, v14
	v_cndmask_b32_e32 v14, v23, v25, vcc
	v_cndmask_b32_e32 v21, v21, v24, vcc
	v_lshlrev_b32_e32 v18, 24, v18
	v_bfrev_b32_e32 v23, 60
	v_lshlrev_b32_e32 v21, 20, v21
	v_and_b32_e32 v18, 0x80000000, v18
	v_lshl_add_u32 v14, v14, 23, v23
	v_or3_b32 v14, v18, v14, v21
	v_lshrrev_b32_e32 v21, 16, v14
.LBB881_423:
	s_or_b64 exec, exec, s[8:9]
.LBB881_424:
	s_or_b64 exec, exec, s[2:3]
.LBB881_425:
	s_or_b64 exec, exec, s[0:1]
	v_mov_b32_e32 v18, 0
	v_cmp_ne_u16_sdwa s[2:3], v15, v18 src0_sel:BYTE_0 src1_sel:DWORD
	v_mov_b32_e32 v23, 0
	s_and_saveexec_b64 s[0:1], s[2:3]
	s_cbranch_execz .LBB881_431
; %bb.426:
	s_movk_i32 s2, 0x80
	v_cmp_ne_u16_sdwa s[8:9], v15, s2 src0_sel:BYTE_0 src1_sel:DWORD
	v_mov_b32_e32 v23, 0xffff8000
	s_and_saveexec_b64 s[2:3], s[8:9]
	s_cbranch_execz .LBB881_430
; %bb.427:
	s_movk_i32 s7, 0x7f
	v_and_b32_e32 v14, 0x7f, v15
	v_cmp_ne_u32_e32 vcc, s7, v14
	v_mov_b32_e32 v23, 0x7f80
	s_and_saveexec_b64 s[8:9], vcc
	s_cbranch_execz .LBB881_429
; %bb.428:
	v_and_b32_e32 v23, 7, v15
	v_ffbh_u32_e32 v25, v23
	v_min_u32_e32 v28, 32, v25
	v_mov_b32_e32 v24, v15
	v_subrev_u32_e32 v25, 28, v28
	v_lshlrev_b64 v[24:25], v25, v[24:25]
	v_lshrrev_b32_e32 v27, 3, v14
	v_sub_u32_e32 v25, 29, v28
	v_and_b32_e32 v24, 7, v24
	v_cmp_gt_u32_e32 vcc, 8, v14
	v_cndmask_b32_e32 v14, v27, v25, vcc
	v_cndmask_b32_e32 v23, v23, v24, vcc
	v_lshlrev_b32_e32 v24, 24, v15
	v_bfrev_b32_e32 v25, 60
	v_lshlrev_b32_e32 v23, 20, v23
	v_and_b32_e32 v24, 0x80000000, v24
	v_lshl_add_u32 v14, v14, 23, v25
	v_or3_b32 v14, v24, v14, v23
	v_lshrrev_b32_e32 v23, 16, v14
.LBB881_429:
	s_or_b64 exec, exec, s[8:9]
.LBB881_430:
	s_or_b64 exec, exec, s[2:3]
.LBB881_431:
	s_or_b64 exec, exec, s[0:1]
	v_lshrrev_b16_e32 v14, 8, v15
	v_cmp_ne_u16_e32 vcc, 0, v14
	s_and_saveexec_b64 s[0:1], vcc
	s_cbranch_execz .LBB881_437
; %bb.432:
	s_movk_i32 s2, 0x80
	v_cmp_ne_u16_e32 vcc, s2, v14
	v_mov_b32_e32 v18, 0xffff8000
	s_and_saveexec_b64 s[2:3], vcc
	s_cbranch_execz .LBB881_436
; %bb.433:
	s_movk_i32 s7, 0x7f
	v_and_b32_e32 v24, 0x7f, v14
	v_cmp_ne_u32_e32 vcc, s7, v24
	v_mov_b32_e32 v18, 0x7f80
	s_and_saveexec_b64 s[8:9], vcc
	s_cbranch_execz .LBB881_435
; %bb.434:
	v_and_b32_e32 v18, 7, v14
	v_ffbh_u32_e32 v27, v18
	v_min_u32_e32 v27, 32, v27
	v_subrev_u32_e32 v28, 28, v27
	v_lshlrev_b64 v[28:29], v28, v[14:15]
	v_lshrrev_b32_e32 v25, 3, v24
	v_sub_u32_e32 v14, 29, v27
	v_and_b32_e32 v27, 7, v28
	v_cmp_gt_u32_e32 vcc, 8, v24
	v_cndmask_b32_e32 v14, v25, v14, vcc
	v_cndmask_b32_e32 v18, v18, v27, vcc
	v_lshlrev_b32_e32 v24, 16, v15
	v_bfrev_b32_e32 v25, 60
	v_lshlrev_b32_e32 v18, 20, v18
	v_and_b32_e32 v24, 0x80000000, v24
	v_lshl_add_u32 v14, v14, 23, v25
	v_or3_b32 v14, v24, v14, v18
	v_lshrrev_b32_e32 v18, 16, v14
.LBB881_435:
	s_or_b64 exec, exec, s[8:9]
.LBB881_436:
	s_or_b64 exec, exec, s[2:3]
.LBB881_437:
	s_or_b64 exec, exec, s[0:1]
	s_movk_i32 s0, 0xff
	v_and_b32_sdwa v27, v15, s0 dst_sel:DWORD dst_unused:UNUSED_PAD src0_sel:WORD_1 src1_sel:DWORD
	v_lshrrev_b32_e32 v14, 16, v15
	v_cmp_ne_u16_e32 vcc, 0, v27
	v_mov_b32_e32 v24, 0
	v_mov_b32_e32 v25, 0
	s_and_saveexec_b64 s[0:1], vcc
	s_cbranch_execz .LBB881_443
; %bb.438:
	s_movk_i32 s2, 0x80
	v_cmp_ne_u16_e32 vcc, s2, v27
	v_mov_b32_e32 v25, 0xffff8000
	s_and_saveexec_b64 s[2:3], vcc
	s_cbranch_execz .LBB881_442
; %bb.439:
	v_bfe_u32 v27, v15, 16, 7
	s_movk_i32 s7, 0x7f
	v_cmp_ne_u32_e32 vcc, s7, v27
	v_mov_b32_e32 v25, 0x7f80
	s_and_saveexec_b64 s[8:9], vcc
	s_cbranch_execz .LBB881_441
; %bb.440:
	v_and_b32_e32 v25, 7, v14
	v_ffbh_u32_e32 v28, v25
	v_min_u32_e32 v31, 32, v28
	v_subrev_u32_e32 v28, 28, v31
	v_lshlrev_b64 v[28:29], v28, v[14:15]
	v_lshrrev_b32_e32 v30, 3, v27
	v_sub_u32_e32 v14, 29, v31
	v_and_b32_e32 v28, 7, v28
	v_cmp_gt_u32_e32 vcc, 8, v27
	v_mov_b32_e32 v27, 24
	v_cndmask_b32_e32 v14, v30, v14, vcc
	v_cndmask_b32_e32 v25, v25, v28, vcc
	v_lshlrev_b32_sdwa v27, v27, v15 dst_sel:DWORD dst_unused:UNUSED_PAD src0_sel:DWORD src1_sel:WORD_1
	v_bfrev_b32_e32 v28, 60
	v_lshlrev_b32_e32 v25, 20, v25
	v_and_b32_e32 v27, 0x80000000, v27
	v_lshl_add_u32 v14, v14, 23, v28
	v_or3_b32 v14, v27, v14, v25
	v_lshrrev_b32_e32 v25, 16, v14
.LBB881_441:
	s_or_b64 exec, exec, s[8:9]
.LBB881_442:
	s_or_b64 exec, exec, s[2:3]
.LBB881_443:
	s_or_b64 exec, exec, s[0:1]
	s_mov_b32 s0, 0xffffff
	v_cmp_lt_u32_e32 vcc, s0, v15
	s_and_saveexec_b64 s[0:1], vcc
	s_cbranch_execz .LBB881_449
; %bb.444:
	v_lshrrev_b32_e32 v14, 24, v15
	s_movk_i32 s2, 0x80
	v_cmp_ne_u32_e32 vcc, s2, v14
	v_mov_b32_e32 v24, 0xffff8000
	s_and_saveexec_b64 s[2:3], vcc
	s_cbranch_execz .LBB881_448
; %bb.445:
	v_bfe_u32 v15, v15, 24, 7
	s_movk_i32 s7, 0x7f
	v_cmp_ne_u32_e32 vcc, s7, v15
	v_mov_b32_e32 v24, 0x7f80
	s_and_saveexec_b64 s[8:9], vcc
	s_cbranch_execz .LBB881_447
; %bb.446:
	v_and_b32_e32 v24, 7, v14
	v_ffbh_u32_e32 v28, v24
	v_min_u32_e32 v30, 32, v28
	v_subrev_u32_e32 v28, 28, v30
	v_lshlrev_b64 v[28:29], v28, v[14:15]
	v_lshrrev_b32_e32 v27, 3, v15
	v_sub_u32_e32 v29, 29, v30
	v_and_b32_e32 v28, 7, v28
	v_cmp_gt_u32_e32 vcc, 8, v15
	v_cndmask_b32_e32 v15, v27, v29, vcc
	v_cndmask_b32_e32 v24, v24, v28, vcc
	v_lshlrev_b32_e32 v14, 24, v14
	v_bfrev_b32_e32 v27, 60
	v_lshlrev_b32_e32 v24, 20, v24
	v_and_b32_e32 v14, 0x80000000, v14
	v_lshl_add_u32 v15, v15, 23, v27
	v_or3_b32 v14, v14, v15, v24
	v_lshrrev_b32_e32 v24, 16, v14
.LBB881_447:
	s_or_b64 exec, exec, s[8:9]
.LBB881_448:
	s_or_b64 exec, exec, s[2:3]
.LBB881_449:
	s_or_b64 exec, exec, s[0:1]
	s_mov_b32 s0, 0x5040100
	v_perm_b32 v15, v21, v22, s0
	v_lshl_or_b32 v22, v49, 9, v50
	v_perm_b32 v14, v19, v20, s0
	ds_read_b128 v[28:31], v22
	v_perm_b32 v19, v24, v25, s0
	v_perm_b32 v18, v18, v23, s0
	s_waitcnt lgkmcnt(0)
	v_mfma_f32_16x16x16bf16_1k v[32:35], v[14:15], v[28:29], 0
	v_mov_b32_e32 v15, 0
	v_cmp_ne_u16_sdwa s[2:3], v16, v15 src0_sel:BYTE_0 src1_sel:DWORD
	v_mov_b32_e32 v23, 0
	v_mfma_f32_16x16x16bf16_1k v[18:21], v[18:19], v[30:31], v[32:35]
	s_and_saveexec_b64 s[0:1], s[2:3]
	s_cbranch_execz .LBB881_455
; %bb.450:
	s_movk_i32 s2, 0x80
	v_cmp_ne_u16_sdwa s[8:9], v16, s2 src0_sel:BYTE_0 src1_sel:DWORD
	v_mov_b32_e32 v23, 0xffff8000
	s_and_saveexec_b64 s[2:3], s[8:9]
	s_cbranch_execz .LBB881_454
; %bb.451:
	s_movk_i32 s7, 0x7f
	v_and_b32_e32 v14, 0x7f, v16
	v_cmp_ne_u32_e32 vcc, s7, v14
	v_mov_b32_e32 v23, 0x7f80
	s_and_saveexec_b64 s[8:9], vcc
	s_cbranch_execz .LBB881_453
; %bb.452:
	v_and_b32_e32 v23, 7, v16
	v_ffbh_u32_e32 v24, v23
	v_min_u32_e32 v28, 32, v24
	v_subrev_u32_e32 v24, 28, v28
	v_lshlrev_b64 v[24:25], v24, v[16:17]
	v_lshrrev_b32_e32 v27, 3, v14
	v_sub_u32_e32 v25, 29, v28
	v_and_b32_e32 v24, 7, v24
	v_cmp_gt_u32_e32 vcc, 8, v14
	v_cndmask_b32_e32 v14, v27, v25, vcc
	v_cndmask_b32_e32 v23, v23, v24, vcc
	v_lshlrev_b32_e32 v24, 24, v16
	v_bfrev_b32_e32 v25, 60
	v_lshlrev_b32_e32 v23, 20, v23
	v_and_b32_e32 v24, 0x80000000, v24
	v_lshl_add_u32 v14, v14, 23, v25
	v_or3_b32 v14, v24, v14, v23
	v_lshrrev_b32_e32 v23, 16, v14
.LBB881_453:
	s_or_b64 exec, exec, s[8:9]
.LBB881_454:
	s_or_b64 exec, exec, s[2:3]
.LBB881_455:
	s_or_b64 exec, exec, s[0:1]
	v_lshrrev_b16_e32 v14, 8, v16
	v_cmp_ne_u16_e32 vcc, 0, v14
	s_and_saveexec_b64 s[0:1], vcc
	s_cbranch_execz .LBB881_461
; %bb.456:
	s_movk_i32 s2, 0x80
	v_cmp_ne_u16_e32 vcc, s2, v14
	v_mov_b32_e32 v15, 0xffff8000
	s_and_saveexec_b64 s[2:3], vcc
	s_cbranch_execz .LBB881_460
; %bb.457:
	s_movk_i32 s7, 0x7f
	v_and_b32_e32 v24, 0x7f, v14
	v_cmp_ne_u32_e32 vcc, s7, v24
	v_mov_b32_e32 v15, 0x7f80
	s_and_saveexec_b64 s[8:9], vcc
	s_cbranch_execz .LBB881_459
; %bb.458:
	v_and_b32_e32 v25, 7, v14
	v_ffbh_u32_e32 v15, v25
	v_min_u32_e32 v28, 32, v15
	v_subrev_u32_e32 v15, 28, v28
	v_lshlrev_b64 v[14:15], v15, v[14:15]
	v_lshrrev_b32_e32 v27, 3, v24
	v_sub_u32_e32 v15, 29, v28
	v_and_b32_e32 v14, 7, v14
	v_cmp_gt_u32_e32 vcc, 8, v24
	v_cndmask_b32_e32 v15, v27, v15, vcc
	v_cndmask_b32_e32 v14, v25, v14, vcc
	v_lshlrev_b32_e32 v24, 16, v16
	v_bfrev_b32_e32 v25, 60
	v_lshlrev_b32_e32 v14, 20, v14
	v_and_b32_e32 v24, 0x80000000, v24
	v_lshl_add_u32 v15, v15, 23, v25
	v_or3_b32 v14, v24, v15, v14
	v_lshrrev_b32_e32 v15, 16, v14
.LBB881_459:
	s_or_b64 exec, exec, s[8:9]
.LBB881_460:
	s_or_b64 exec, exec, s[2:3]
.LBB881_461:
	s_or_b64 exec, exec, s[0:1]
	s_movk_i32 s0, 0xff
	v_and_b32_sdwa v27, v16, s0 dst_sel:DWORD dst_unused:UNUSED_PAD src0_sel:WORD_1 src1_sel:DWORD
	v_lshrrev_b32_e32 v14, 16, v16
	v_cmp_ne_u16_e32 vcc, 0, v27
	v_mov_b32_e32 v24, 0
	v_mov_b32_e32 v25, 0
	s_and_saveexec_b64 s[0:1], vcc
	s_cbranch_execz .LBB881_467
; %bb.462:
	s_movk_i32 s2, 0x80
	v_cmp_ne_u16_e32 vcc, s2, v27
	v_mov_b32_e32 v25, 0xffff8000
	s_and_saveexec_b64 s[2:3], vcc
	s_cbranch_execz .LBB881_466
; %bb.463:
	v_bfe_u32 v27, v16, 16, 7
	s_movk_i32 s7, 0x7f
	v_cmp_ne_u32_e32 vcc, s7, v27
	v_mov_b32_e32 v25, 0x7f80
	s_and_saveexec_b64 s[8:9], vcc
	s_cbranch_execz .LBB881_465
; %bb.464:
	v_and_b32_e32 v25, 7, v14
	v_ffbh_u32_e32 v28, v25
	v_min_u32_e32 v31, 32, v28
	v_subrev_u32_e32 v28, 28, v31
	v_lshlrev_b64 v[28:29], v28, v[14:15]
	v_lshrrev_b32_e32 v30, 3, v27
	v_sub_u32_e32 v14, 29, v31
	v_and_b32_e32 v28, 7, v28
	v_cmp_gt_u32_e32 vcc, 8, v27
	v_mov_b32_e32 v27, 24
	v_cndmask_b32_e32 v14, v30, v14, vcc
	v_cndmask_b32_e32 v25, v25, v28, vcc
	v_lshlrev_b32_sdwa v27, v27, v16 dst_sel:DWORD dst_unused:UNUSED_PAD src0_sel:DWORD src1_sel:WORD_1
	v_bfrev_b32_e32 v28, 60
	v_lshlrev_b32_e32 v25, 20, v25
	v_and_b32_e32 v27, 0x80000000, v27
	v_lshl_add_u32 v14, v14, 23, v28
	v_or3_b32 v14, v27, v14, v25
	v_lshrrev_b32_e32 v25, 16, v14
.LBB881_465:
	s_or_b64 exec, exec, s[8:9]
.LBB881_466:
	s_or_b64 exec, exec, s[2:3]
.LBB881_467:
	s_or_b64 exec, exec, s[0:1]
	s_mov_b32 s0, 0xffffff
	v_cmp_lt_u32_e32 vcc, s0, v16
	s_and_saveexec_b64 s[0:1], vcc
	s_cbranch_execz .LBB881_473
; %bb.468:
	v_lshrrev_b32_e32 v14, 24, v16
	s_movk_i32 s2, 0x80
	v_cmp_ne_u32_e32 vcc, s2, v14
	v_mov_b32_e32 v24, 0xffff8000
	s_and_saveexec_b64 s[2:3], vcc
	s_cbranch_execz .LBB881_472
; %bb.469:
	v_bfe_u32 v16, v16, 24, 7
	s_movk_i32 s7, 0x7f
	v_cmp_ne_u32_e32 vcc, s7, v16
	v_mov_b32_e32 v24, 0x7f80
	s_and_saveexec_b64 s[8:9], vcc
	s_cbranch_execz .LBB881_471
; %bb.470:
	v_and_b32_e32 v24, 7, v14
	v_ffbh_u32_e32 v28, v24
	v_min_u32_e32 v30, 32, v28
	v_subrev_u32_e32 v28, 28, v30
	v_lshlrev_b64 v[28:29], v28, v[14:15]
	v_lshrrev_b32_e32 v27, 3, v16
	v_sub_u32_e32 v29, 29, v30
	v_and_b32_e32 v28, 7, v28
	v_cmp_gt_u32_e32 vcc, 8, v16
	v_cndmask_b32_e32 v16, v27, v29, vcc
	v_cndmask_b32_e32 v24, v24, v28, vcc
	v_lshlrev_b32_e32 v14, 24, v14
	v_bfrev_b32_e32 v27, 60
	v_lshlrev_b32_e32 v24, 20, v24
	v_and_b32_e32 v14, 0x80000000, v14
	v_lshl_add_u32 v16, v16, 23, v27
	v_or3_b32 v14, v14, v16, v24
	v_lshrrev_b32_e32 v24, 16, v14
.LBB881_471:
	s_or_b64 exec, exec, s[8:9]
.LBB881_472:
	s_or_b64 exec, exec, s[2:3]
.LBB881_473:
	s_or_b64 exec, exec, s[0:1]
	v_mov_b32_e32 v16, 0
	v_cmp_ne_u16_sdwa s[2:3], v17, v16 src0_sel:BYTE_0 src1_sel:DWORD
	v_mov_b32_e32 v27, 0
	s_and_saveexec_b64 s[0:1], s[2:3]
	s_cbranch_execz .LBB881_479
; %bb.474:
	s_movk_i32 s2, 0x80
	v_cmp_ne_u16_sdwa s[8:9], v17, s2 src0_sel:BYTE_0 src1_sel:DWORD
	v_mov_b32_e32 v27, 0xffff8000
	s_and_saveexec_b64 s[2:3], s[8:9]
	s_cbranch_execz .LBB881_478
; %bb.475:
	s_movk_i32 s7, 0x7f
	v_and_b32_e32 v14, 0x7f, v17
	v_cmp_ne_u32_e32 vcc, s7, v14
	v_mov_b32_e32 v27, 0x7f80
	s_and_saveexec_b64 s[8:9], vcc
	s_cbranch_execz .LBB881_477
; %bb.476:
	v_and_b32_e32 v27, 7, v17
	v_ffbh_u32_e32 v29, v27
	v_min_u32_e32 v31, 32, v29
	v_mov_b32_e32 v28, v17
	v_subrev_u32_e32 v29, 28, v31
	v_lshlrev_b64 v[28:29], v29, v[28:29]
	v_lshrrev_b32_e32 v30, 3, v14
	v_sub_u32_e32 v29, 29, v31
	v_and_b32_e32 v28, 7, v28
	v_cmp_gt_u32_e32 vcc, 8, v14
	v_cndmask_b32_e32 v14, v30, v29, vcc
	v_cndmask_b32_e32 v27, v27, v28, vcc
	v_lshlrev_b32_e32 v28, 24, v17
	v_bfrev_b32_e32 v29, 60
	v_lshlrev_b32_e32 v27, 20, v27
	v_and_b32_e32 v28, 0x80000000, v28
	v_lshl_add_u32 v14, v14, 23, v29
	v_or3_b32 v14, v28, v14, v27
	v_lshrrev_b32_e32 v27, 16, v14
.LBB881_477:
	s_or_b64 exec, exec, s[8:9]
.LBB881_478:
	s_or_b64 exec, exec, s[2:3]
.LBB881_479:
	s_or_b64 exec, exec, s[0:1]
	v_lshrrev_b16_e32 v14, 8, v17
	v_cmp_ne_u16_e32 vcc, 0, v14
	s_and_saveexec_b64 s[0:1], vcc
	s_cbranch_execz .LBB881_485
; %bb.480:
	s_movk_i32 s2, 0x80
	v_cmp_ne_u16_e32 vcc, s2, v14
	v_mov_b32_e32 v16, 0xffff8000
	s_and_saveexec_b64 s[2:3], vcc
	s_cbranch_execz .LBB881_484
; %bb.481:
	s_movk_i32 s7, 0x7f
	v_and_b32_e32 v28, 0x7f, v14
	v_cmp_ne_u32_e32 vcc, s7, v28
	v_mov_b32_e32 v16, 0x7f80
	s_and_saveexec_b64 s[8:9], vcc
	s_cbranch_execz .LBB881_483
; %bb.482:
	v_and_b32_e32 v16, 7, v14
	v_ffbh_u32_e32 v30, v16
	v_min_u32_e32 v32, 32, v30
	v_subrev_u32_e32 v30, 28, v32
	v_lshlrev_b64 v[30:31], v30, v[14:15]
	v_lshrrev_b32_e32 v29, 3, v28
	v_sub_u32_e32 v14, 29, v32
	v_and_b32_e32 v30, 7, v30
	v_cmp_gt_u32_e32 vcc, 8, v28
	v_cndmask_b32_e32 v14, v29, v14, vcc
	v_cndmask_b32_e32 v16, v16, v30, vcc
	v_lshlrev_b32_e32 v28, 16, v17
	v_bfrev_b32_e32 v29, 60
	v_lshlrev_b32_e32 v16, 20, v16
	v_and_b32_e32 v28, 0x80000000, v28
	v_lshl_add_u32 v14, v14, 23, v29
	v_or3_b32 v14, v28, v14, v16
	v_lshrrev_b32_e32 v16, 16, v14
.LBB881_483:
	s_or_b64 exec, exec, s[8:9]
.LBB881_484:
	s_or_b64 exec, exec, s[2:3]
.LBB881_485:
	s_or_b64 exec, exec, s[0:1]
	s_movk_i32 s0, 0xff
	v_and_b32_sdwa v30, v17, s0 dst_sel:DWORD dst_unused:UNUSED_PAD src0_sel:WORD_1 src1_sel:DWORD
	v_lshrrev_b32_e32 v14, 16, v17
	v_cmp_ne_u16_e32 vcc, 0, v30
	v_mov_b32_e32 v28, 0
	v_mov_b32_e32 v29, 0
	s_and_saveexec_b64 s[0:1], vcc
	s_cbranch_execz .LBB881_491
; %bb.486:
	s_movk_i32 s2, 0x80
	v_cmp_ne_u16_e32 vcc, s2, v30
	v_mov_b32_e32 v29, 0xffff8000
	s_and_saveexec_b64 s[2:3], vcc
	s_cbranch_execz .LBB881_490
; %bb.487:
	v_bfe_u32 v30, v17, 16, 7
	s_movk_i32 s7, 0x7f
	v_cmp_ne_u32_e32 vcc, s7, v30
	v_mov_b32_e32 v29, 0x7f80
	s_and_saveexec_b64 s[8:9], vcc
	s_cbranch_execz .LBB881_489
; %bb.488:
	v_and_b32_e32 v29, 7, v14
	v_ffbh_u32_e32 v32, v29
	v_min_u32_e32 v34, 32, v32
	v_subrev_u32_e32 v32, 28, v34
	v_lshlrev_b64 v[32:33], v32, v[14:15]
	v_lshrrev_b32_e32 v31, 3, v30
	v_sub_u32_e32 v14, 29, v34
	v_and_b32_e32 v32, 7, v32
	v_cmp_gt_u32_e32 vcc, 8, v30
	v_mov_b32_e32 v30, 24
	v_cndmask_b32_e32 v14, v31, v14, vcc
	v_cndmask_b32_e32 v29, v29, v32, vcc
	v_lshlrev_b32_sdwa v30, v30, v17 dst_sel:DWORD dst_unused:UNUSED_PAD src0_sel:DWORD src1_sel:WORD_1
	v_bfrev_b32_e32 v31, 60
	v_lshlrev_b32_e32 v29, 20, v29
	v_and_b32_e32 v30, 0x80000000, v30
	v_lshl_add_u32 v14, v14, 23, v31
	v_or3_b32 v14, v30, v14, v29
	v_lshrrev_b32_e32 v29, 16, v14
.LBB881_489:
	s_or_b64 exec, exec, s[8:9]
.LBB881_490:
	s_or_b64 exec, exec, s[2:3]
.LBB881_491:
	s_or_b64 exec, exec, s[0:1]
	s_mov_b32 s0, 0xffffff
	v_cmp_lt_u32_e32 vcc, s0, v17
	s_and_saveexec_b64 s[0:1], vcc
	s_cbranch_execz .LBB881_497
; %bb.492:
	v_lshrrev_b32_e32 v14, 24, v17
	s_movk_i32 s2, 0x80
	v_cmp_ne_u32_e32 vcc, s2, v14
	v_mov_b32_e32 v28, 0xffff8000
	s_and_saveexec_b64 s[2:3], vcc
	s_cbranch_execz .LBB881_496
; %bb.493:
	v_bfe_u32 v17, v17, 24, 7
	s_movk_i32 s7, 0x7f
	v_cmp_ne_u32_e32 vcc, s7, v17
	v_mov_b32_e32 v28, 0x7f80
	s_and_saveexec_b64 s[8:9], vcc
	s_cbranch_execz .LBB881_495
; %bb.494:
	v_and_b32_e32 v28, 7, v14
	v_ffbh_u32_e32 v30, v28
	v_min_u32_e32 v33, 32, v30
	v_subrev_u32_e32 v30, 28, v33
	v_lshlrev_b64 v[30:31], v30, v[14:15]
	v_lshrrev_b32_e32 v32, 3, v17
	v_sub_u32_e32 v31, 29, v33
	v_and_b32_e32 v30, 7, v30
	v_cmp_gt_u32_e32 vcc, 8, v17
	v_cndmask_b32_e32 v17, v32, v31, vcc
	v_cndmask_b32_e32 v28, v28, v30, vcc
	v_lshlrev_b32_e32 v14, 24, v14
	v_bfrev_b32_e32 v30, 60
	v_lshlrev_b32_e32 v28, 20, v28
	v_and_b32_e32 v14, 0x80000000, v14
	v_lshl_add_u32 v17, v17, 23, v30
	v_or3_b32 v14, v14, v17, v28
	v_lshrrev_b32_e32 v28, 16, v14
.LBB881_495:
	s_or_b64 exec, exec, s[8:9]
.LBB881_496:
	s_or_b64 exec, exec, s[2:3]
.LBB881_497:
	s_or_b64 exec, exec, s[0:1]
	s_mov_b32 s0, 0x5040100
	v_perm_b32 v25, v24, v25, s0
	v_perm_b32 v24, v15, v23, s0
	ds_read_b128 v[30:33], v22 offset:16
	v_perm_b32 v15, v28, v29, s0
	v_perm_b32 v14, v16, v27, s0
	s_waitcnt lgkmcnt(0)
	v_mfma_f32_16x16x16bf16_1k v[34:37], v[24:25], v[30:31], v[18:21]
	s_nop 6
	v_mov_b32_e32 v19, 0
	s_waitcnt vmcnt(2)
	v_cmp_ne_u16_sdwa s[2:3], v10, v19 src0_sel:BYTE_0 src1_sel:DWORD
	v_mfma_f32_16x16x16bf16_1k v[14:17], v[14:15], v[32:33], v[34:37]
	v_mov_b32_e32 v20, 0
	s_and_saveexec_b64 s[0:1], s[2:3]
	s_cbranch_execz .LBB881_503
; %bb.498:
	s_movk_i32 s2, 0x80
	v_cmp_ne_u16_sdwa s[8:9], v10, s2 src0_sel:BYTE_0 src1_sel:DWORD
	v_mov_b32_e32 v20, 0xffff8000
	s_and_saveexec_b64 s[2:3], s[8:9]
	s_cbranch_execz .LBB881_502
; %bb.499:
	s_movk_i32 s7, 0x7f
	v_and_b32_e32 v18, 0x7f, v10
	v_cmp_ne_u32_e32 vcc, s7, v18
	v_mov_b32_e32 v20, 0x7f80
	s_and_saveexec_b64 s[8:9], vcc
	s_cbranch_execz .LBB881_501
; %bb.500:
	v_and_b32_e32 v23, 7, v10
	v_ffbh_u32_e32 v20, v23
	v_min_u32_e32 v25, 32, v20
	v_subrev_u32_e32 v20, 28, v25
	v_lshlrev_b64 v[20:21], v20, v[10:11]
	v_lshrrev_b32_e32 v24, 3, v18
	v_sub_u32_e32 v21, 29, v25
	v_and_b32_e32 v20, 7, v20
	v_cmp_gt_u32_e32 vcc, 8, v18
	v_cndmask_b32_e32 v18, v24, v21, vcc
	v_cndmask_b32_e32 v20, v23, v20, vcc
	v_lshlrev_b32_e32 v21, 24, v10
	v_bfrev_b32_e32 v23, 60
	v_lshlrev_b32_e32 v20, 20, v20
	v_and_b32_e32 v21, 0x80000000, v21
	v_lshl_add_u32 v18, v18, 23, v23
	v_or3_b32 v18, v21, v18, v20
	v_lshrrev_b32_e32 v20, 16, v18
.LBB881_501:
	s_or_b64 exec, exec, s[8:9]
.LBB881_502:
	s_or_b64 exec, exec, s[2:3]
.LBB881_503:
	s_or_b64 exec, exec, s[0:1]
	v_lshrrev_b16_e32 v18, 8, v10
	v_cmp_ne_u16_e32 vcc, 0, v18
	s_and_saveexec_b64 s[0:1], vcc
	s_cbranch_execz .LBB881_509
; %bb.504:
	s_movk_i32 s2, 0x80
	v_cmp_ne_u16_e32 vcc, s2, v18
	v_mov_b32_e32 v19, 0xffff8000
	s_and_saveexec_b64 s[2:3], vcc
	s_cbranch_execz .LBB881_508
; %bb.505:
	s_movk_i32 s7, 0x7f
	v_and_b32_e32 v21, 0x7f, v18
	v_cmp_ne_u32_e32 vcc, s7, v21
	v_mov_b32_e32 v19, 0x7f80
	s_and_saveexec_b64 s[8:9], vcc
	s_cbranch_execz .LBB881_507
; %bb.506:
	v_and_b32_e32 v23, 7, v18
	v_ffbh_u32_e32 v19, v23
	v_min_u32_e32 v25, 32, v19
	v_subrev_u32_e32 v19, 28, v25
	v_lshlrev_b64 v[18:19], v19, v[18:19]
	v_lshrrev_b32_e32 v24, 3, v21
	v_sub_u32_e32 v19, 29, v25
	v_and_b32_e32 v18, 7, v18
	v_cmp_gt_u32_e32 vcc, 8, v21
	v_cndmask_b32_e32 v19, v24, v19, vcc
	v_cndmask_b32_e32 v18, v23, v18, vcc
	v_lshlrev_b32_e32 v21, 16, v10
	v_bfrev_b32_e32 v23, 60
	v_lshlrev_b32_e32 v18, 20, v18
	v_and_b32_e32 v21, 0x80000000, v21
	v_lshl_add_u32 v19, v19, 23, v23
	v_or3_b32 v18, v21, v19, v18
	v_lshrrev_b32_e32 v19, 16, v18
.LBB881_507:
	s_or_b64 exec, exec, s[8:9]
.LBB881_508:
	s_or_b64 exec, exec, s[2:3]
.LBB881_509:
	s_or_b64 exec, exec, s[0:1]
	s_movk_i32 s0, 0xff
	v_and_b32_sdwa v24, v10, s0 dst_sel:DWORD dst_unused:UNUSED_PAD src0_sel:WORD_1 src1_sel:DWORD
	v_lshrrev_b32_e32 v18, 16, v10
	v_cmp_ne_u16_e32 vcc, 0, v24
	v_mov_b32_e32 v21, 0
	v_mov_b32_e32 v23, 0
	s_and_saveexec_b64 s[0:1], vcc
	s_cbranch_execz .LBB881_515
; %bb.510:
	s_movk_i32 s2, 0x80
	v_cmp_ne_u16_e32 vcc, s2, v24
	v_mov_b32_e32 v23, 0xffff8000
	s_and_saveexec_b64 s[2:3], vcc
	s_cbranch_execz .LBB881_514
; %bb.511:
	v_bfe_u32 v24, v10, 16, 7
	s_movk_i32 s7, 0x7f
	v_cmp_ne_u32_e32 vcc, s7, v24
	v_mov_b32_e32 v23, 0x7f80
	s_and_saveexec_b64 s[8:9], vcc
	s_cbranch_execz .LBB881_513
; %bb.512:
	v_and_b32_e32 v23, 7, v18
	v_ffbh_u32_e32 v27, v23
	v_min_u32_e32 v27, 32, v27
	v_subrev_u32_e32 v28, 28, v27
	v_lshlrev_b64 v[28:29], v28, v[18:19]
	v_lshrrev_b32_e32 v25, 3, v24
	v_sub_u32_e32 v18, 29, v27
	v_and_b32_e32 v27, 7, v28
	v_cmp_gt_u32_e32 vcc, 8, v24
	v_mov_b32_e32 v24, 24
	v_cndmask_b32_e32 v18, v25, v18, vcc
	v_cndmask_b32_e32 v23, v23, v27, vcc
	v_lshlrev_b32_sdwa v24, v24, v10 dst_sel:DWORD dst_unused:UNUSED_PAD src0_sel:DWORD src1_sel:WORD_1
	v_bfrev_b32_e32 v25, 60
	v_lshlrev_b32_e32 v23, 20, v23
	v_and_b32_e32 v24, 0x80000000, v24
	v_lshl_add_u32 v18, v18, 23, v25
	v_or3_b32 v18, v24, v18, v23
	v_lshrrev_b32_e32 v23, 16, v18
.LBB881_513:
	s_or_b64 exec, exec, s[8:9]
.LBB881_514:
	s_or_b64 exec, exec, s[2:3]
.LBB881_515:
	s_or_b64 exec, exec, s[0:1]
	s_mov_b32 s0, 0xffffff
	v_cmp_lt_u32_e32 vcc, s0, v10
	s_and_saveexec_b64 s[0:1], vcc
	s_cbranch_execz .LBB881_521
; %bb.516:
	v_lshrrev_b32_e32 v18, 24, v10
	s_movk_i32 s2, 0x80
	v_cmp_ne_u32_e32 vcc, s2, v18
	v_mov_b32_e32 v21, 0xffff8000
	s_and_saveexec_b64 s[2:3], vcc
	s_cbranch_execz .LBB881_520
; %bb.517:
	v_bfe_u32 v10, v10, 24, 7
	s_movk_i32 s7, 0x7f
	v_cmp_ne_u32_e32 vcc, s7, v10
	v_mov_b32_e32 v21, 0x7f80
	s_and_saveexec_b64 s[8:9], vcc
	s_cbranch_execz .LBB881_519
; %bb.518:
	v_and_b32_e32 v21, 7, v18
	v_ffbh_u32_e32 v24, v21
	v_min_u32_e32 v28, 32, v24
	v_subrev_u32_e32 v24, 28, v28
	v_lshlrev_b64 v[24:25], v24, v[18:19]
	v_lshrrev_b32_e32 v27, 3, v10
	v_sub_u32_e32 v25, 29, v28
	v_and_b32_e32 v24, 7, v24
	v_cmp_gt_u32_e32 vcc, 8, v10
	v_cndmask_b32_e32 v10, v27, v25, vcc
	v_cndmask_b32_e32 v21, v21, v24, vcc
	v_lshlrev_b32_e32 v18, 24, v18
	v_bfrev_b32_e32 v24, 60
	v_lshlrev_b32_e32 v21, 20, v21
	v_and_b32_e32 v18, 0x80000000, v18
	v_lshl_add_u32 v10, v10, 23, v24
	v_or3_b32 v10, v18, v10, v21
	v_lshrrev_b32_e32 v21, 16, v10
.LBB881_519:
	s_or_b64 exec, exec, s[8:9]
.LBB881_520:
	s_or_b64 exec, exec, s[2:3]
.LBB881_521:
	s_or_b64 exec, exec, s[0:1]
	v_mov_b32_e32 v18, 0
	v_cmp_ne_u16_sdwa s[2:3], v11, v18 src0_sel:BYTE_0 src1_sel:DWORD
	v_mov_b32_e32 v24, 0
	s_and_saveexec_b64 s[0:1], s[2:3]
	s_cbranch_execz .LBB881_527
; %bb.522:
	s_movk_i32 s2, 0x80
	v_cmp_ne_u16_sdwa s[8:9], v11, s2 src0_sel:BYTE_0 src1_sel:DWORD
	v_mov_b32_e32 v24, 0xffff8000
	s_and_saveexec_b64 s[2:3], s[8:9]
	s_cbranch_execz .LBB881_526
; %bb.523:
	s_movk_i32 s7, 0x7f
	v_and_b32_e32 v10, 0x7f, v11
	v_cmp_ne_u32_e32 vcc, s7, v10
	v_mov_b32_e32 v24, 0x7f80
	s_and_saveexec_b64 s[8:9], vcc
	s_cbranch_execz .LBB881_525
; %bb.524:
	v_and_b32_e32 v27, 7, v11
	v_ffbh_u32_e32 v25, v27
	v_min_u32_e32 v29, 32, v25
	v_mov_b32_e32 v24, v11
	v_subrev_u32_e32 v25, 28, v29
	v_lshlrev_b64 v[24:25], v25, v[24:25]
	v_lshrrev_b32_e32 v28, 3, v10
	v_sub_u32_e32 v25, 29, v29
	v_and_b32_e32 v24, 7, v24
	v_cmp_gt_u32_e32 vcc, 8, v10
	v_cndmask_b32_e32 v10, v28, v25, vcc
	v_cndmask_b32_e32 v24, v27, v24, vcc
	v_lshlrev_b32_e32 v25, 24, v11
	v_bfrev_b32_e32 v27, 60
	v_lshlrev_b32_e32 v24, 20, v24
	v_and_b32_e32 v25, 0x80000000, v25
	v_lshl_add_u32 v10, v10, 23, v27
	v_or3_b32 v10, v25, v10, v24
	v_lshrrev_b32_e32 v24, 16, v10
.LBB881_525:
	s_or_b64 exec, exec, s[8:9]
.LBB881_526:
	s_or_b64 exec, exec, s[2:3]
.LBB881_527:
	s_or_b64 exec, exec, s[0:1]
	v_lshrrev_b16_e32 v10, 8, v11
	v_cmp_ne_u16_e32 vcc, 0, v10
	s_and_saveexec_b64 s[0:1], vcc
	s_cbranch_execz .LBB881_533
; %bb.528:
	s_movk_i32 s2, 0x80
	v_cmp_ne_u16_e32 vcc, s2, v10
	v_mov_b32_e32 v18, 0xffff8000
	s_and_saveexec_b64 s[2:3], vcc
	s_cbranch_execz .LBB881_532
; %bb.529:
	s_movk_i32 s7, 0x7f
	v_and_b32_e32 v25, 0x7f, v10
	v_cmp_ne_u32_e32 vcc, s7, v25
	v_mov_b32_e32 v18, 0x7f80
	s_and_saveexec_b64 s[8:9], vcc
	s_cbranch_execz .LBB881_531
; %bb.530:
	v_and_b32_e32 v18, 7, v10
	v_ffbh_u32_e32 v28, v18
	v_min_u32_e32 v30, 32, v28
	v_subrev_u32_e32 v28, 28, v30
	v_lshlrev_b64 v[28:29], v28, v[10:11]
	v_lshrrev_b32_e32 v27, 3, v25
	v_sub_u32_e32 v10, 29, v30
	v_and_b32_e32 v28, 7, v28
	v_cmp_gt_u32_e32 vcc, 8, v25
	v_cndmask_b32_e32 v10, v27, v10, vcc
	v_cndmask_b32_e32 v18, v18, v28, vcc
	v_lshlrev_b32_e32 v25, 16, v11
	v_bfrev_b32_e32 v27, 60
	v_lshlrev_b32_e32 v18, 20, v18
	v_and_b32_e32 v25, 0x80000000, v25
	v_lshl_add_u32 v10, v10, 23, v27
	v_or3_b32 v10, v25, v10, v18
	v_lshrrev_b32_e32 v18, 16, v10
.LBB881_531:
	s_or_b64 exec, exec, s[8:9]
.LBB881_532:
	s_or_b64 exec, exec, s[2:3]
.LBB881_533:
	s_or_b64 exec, exec, s[0:1]
	s_movk_i32 s0, 0xff
	v_and_b32_sdwa v28, v11, s0 dst_sel:DWORD dst_unused:UNUSED_PAD src0_sel:WORD_1 src1_sel:DWORD
	v_lshrrev_b32_e32 v10, 16, v11
	v_cmp_ne_u16_e32 vcc, 0, v28
	v_mov_b32_e32 v25, 0
	v_mov_b32_e32 v27, 0
	s_and_saveexec_b64 s[0:1], vcc
	s_cbranch_execz .LBB881_539
; %bb.534:
	s_movk_i32 s2, 0x80
	v_cmp_ne_u16_e32 vcc, s2, v28
	v_mov_b32_e32 v27, 0xffff8000
	s_and_saveexec_b64 s[2:3], vcc
	s_cbranch_execz .LBB881_538
; %bb.535:
	v_bfe_u32 v28, v11, 16, 7
	s_movk_i32 s7, 0x7f
	v_cmp_ne_u32_e32 vcc, s7, v28
	v_mov_b32_e32 v27, 0x7f80
	s_and_saveexec_b64 s[8:9], vcc
	s_cbranch_execz .LBB881_537
; %bb.536:
	v_and_b32_e32 v27, 7, v10
	v_ffbh_u32_e32 v30, v27
	v_min_u32_e32 v32, 32, v30
	v_subrev_u32_e32 v30, 28, v32
	v_lshlrev_b64 v[30:31], v30, v[10:11]
	v_lshrrev_b32_e32 v29, 3, v28
	v_sub_u32_e32 v10, 29, v32
	v_and_b32_e32 v30, 7, v30
	v_cmp_gt_u32_e32 vcc, 8, v28
	v_mov_b32_e32 v28, 24
	v_cndmask_b32_e32 v10, v29, v10, vcc
	v_cndmask_b32_e32 v27, v27, v30, vcc
	v_lshlrev_b32_sdwa v28, v28, v11 dst_sel:DWORD dst_unused:UNUSED_PAD src0_sel:DWORD src1_sel:WORD_1
	v_bfrev_b32_e32 v29, 60
	v_lshlrev_b32_e32 v27, 20, v27
	v_and_b32_e32 v28, 0x80000000, v28
	v_lshl_add_u32 v10, v10, 23, v29
	v_or3_b32 v10, v28, v10, v27
	v_lshrrev_b32_e32 v27, 16, v10
.LBB881_537:
	s_or_b64 exec, exec, s[8:9]
.LBB881_538:
	s_or_b64 exec, exec, s[2:3]
.LBB881_539:
	s_or_b64 exec, exec, s[0:1]
	s_mov_b32 s0, 0xffffff
	v_cmp_lt_u32_e32 vcc, s0, v11
	s_and_saveexec_b64 s[0:1], vcc
	s_cbranch_execz .LBB881_545
; %bb.540:
	v_lshrrev_b32_e32 v10, 24, v11
	s_movk_i32 s2, 0x80
	v_cmp_ne_u32_e32 vcc, s2, v10
	v_mov_b32_e32 v25, 0xffff8000
	s_and_saveexec_b64 s[2:3], vcc
	s_cbranch_execz .LBB881_544
; %bb.541:
	v_bfe_u32 v11, v11, 24, 7
	s_movk_i32 s7, 0x7f
	v_cmp_ne_u32_e32 vcc, s7, v11
	v_mov_b32_e32 v25, 0x7f80
	s_and_saveexec_b64 s[8:9], vcc
	s_cbranch_execz .LBB881_543
; %bb.542:
	v_and_b32_e32 v25, 7, v10
	v_ffbh_u32_e32 v28, v25
	v_min_u32_e32 v31, 32, v28
	v_subrev_u32_e32 v28, 28, v31
	v_lshlrev_b64 v[28:29], v28, v[10:11]
	v_lshrrev_b32_e32 v30, 3, v11
	v_sub_u32_e32 v29, 29, v31
	v_and_b32_e32 v28, 7, v28
	v_cmp_gt_u32_e32 vcc, 8, v11
	v_cndmask_b32_e32 v11, v30, v29, vcc
	v_cndmask_b32_e32 v25, v25, v28, vcc
	v_lshlrev_b32_e32 v10, 24, v10
	v_bfrev_b32_e32 v28, 60
	v_lshlrev_b32_e32 v25, 20, v25
	v_and_b32_e32 v10, 0x80000000, v10
	v_lshl_add_u32 v11, v11, 23, v28
	v_or3_b32 v10, v10, v11, v25
	v_lshrrev_b32_e32 v25, 16, v10
.LBB881_543:
	s_or_b64 exec, exec, s[8:9]
.LBB881_544:
	s_or_b64 exec, exec, s[2:3]
.LBB881_545:
	s_or_b64 exec, exec, s[0:1]
	s_mov_b32 s0, 0x5040100
	v_perm_b32 v11, v21, v23, s0
	v_perm_b32 v10, v19, v20, s0
	ds_read_b128 v[28:31], v22 offset:2048
	v_perm_b32 v21, v25, v27, s0
	v_perm_b32 v20, v18, v24, s0
	s_waitcnt lgkmcnt(0)
	v_mfma_f32_16x16x16bf16_1k v[14:17], v[10:11], v[28:29], v[14:17]
	v_mov_b32_e32 v11, 0
	v_cmp_ne_u16_sdwa s[2:3], v12, v11 src0_sel:BYTE_0 src1_sel:DWORD
	v_mov_b32_e32 v18, 0
	v_mfma_f32_16x16x16bf16_1k v[14:17], v[20:21], v[30:31], v[14:17]
	s_and_saveexec_b64 s[0:1], s[2:3]
	s_cbranch_execz .LBB881_551
; %bb.546:
	s_movk_i32 s2, 0x80
	v_cmp_ne_u16_sdwa s[8:9], v12, s2 src0_sel:BYTE_0 src1_sel:DWORD
	v_mov_b32_e32 v18, 0xffff8000
	s_and_saveexec_b64 s[2:3], s[8:9]
	s_cbranch_execz .LBB881_550
; %bb.547:
	s_movk_i32 s7, 0x7f
	v_and_b32_e32 v10, 0x7f, v12
	v_cmp_ne_u32_e32 vcc, s7, v10
	v_mov_b32_e32 v18, 0x7f80
	s_and_saveexec_b64 s[8:9], vcc
	s_cbranch_execz .LBB881_549
; %bb.548:
	v_and_b32_e32 v20, 7, v12
	v_ffbh_u32_e32 v18, v20
	v_min_u32_e32 v23, 32, v18
	v_subrev_u32_e32 v18, 28, v23
	v_lshlrev_b64 v[18:19], v18, v[12:13]
	v_lshrrev_b32_e32 v21, 3, v10
	v_sub_u32_e32 v19, 29, v23
	v_and_b32_e32 v18, 7, v18
	v_cmp_gt_u32_e32 vcc, 8, v10
	v_cndmask_b32_e32 v10, v21, v19, vcc
	v_cndmask_b32_e32 v18, v20, v18, vcc
	v_lshlrev_b32_e32 v19, 24, v12
	v_bfrev_b32_e32 v20, 60
	v_lshlrev_b32_e32 v18, 20, v18
	v_and_b32_e32 v19, 0x80000000, v19
	v_lshl_add_u32 v10, v10, 23, v20
	v_or3_b32 v10, v19, v10, v18
	v_lshrrev_b32_e32 v18, 16, v10
.LBB881_549:
	s_or_b64 exec, exec, s[8:9]
.LBB881_550:
	s_or_b64 exec, exec, s[2:3]
.LBB881_551:
	s_or_b64 exec, exec, s[0:1]
	v_lshrrev_b16_e32 v10, 8, v12
	v_cmp_ne_u16_e32 vcc, 0, v10
	s_and_saveexec_b64 s[0:1], vcc
	s_cbranch_execz .LBB881_557
; %bb.552:
	s_movk_i32 s2, 0x80
	v_cmp_ne_u16_e32 vcc, s2, v10
	v_mov_b32_e32 v11, 0xffff8000
	s_and_saveexec_b64 s[2:3], vcc
	s_cbranch_execz .LBB881_556
; %bb.553:
	s_movk_i32 s7, 0x7f
	v_and_b32_e32 v19, 0x7f, v10
	v_cmp_ne_u32_e32 vcc, s7, v19
	v_mov_b32_e32 v11, 0x7f80
	s_and_saveexec_b64 s[8:9], vcc
	s_cbranch_execz .LBB881_555
; %bb.554:
	v_and_b32_e32 v20, 7, v10
	v_ffbh_u32_e32 v11, v20
	v_min_u32_e32 v23, 32, v11
	v_subrev_u32_e32 v11, 28, v23
	v_lshlrev_b64 v[10:11], v11, v[10:11]
	v_lshrrev_b32_e32 v21, 3, v19
	v_sub_u32_e32 v11, 29, v23
	v_and_b32_e32 v10, 7, v10
	v_cmp_gt_u32_e32 vcc, 8, v19
	v_cndmask_b32_e32 v11, v21, v11, vcc
	v_cndmask_b32_e32 v10, v20, v10, vcc
	v_lshlrev_b32_e32 v19, 16, v12
	v_bfrev_b32_e32 v20, 60
	v_lshlrev_b32_e32 v10, 20, v10
	v_and_b32_e32 v19, 0x80000000, v19
	v_lshl_add_u32 v11, v11, 23, v20
	v_or3_b32 v10, v19, v11, v10
	v_lshrrev_b32_e32 v11, 16, v10
.LBB881_555:
	s_or_b64 exec, exec, s[8:9]
.LBB881_556:
	s_or_b64 exec, exec, s[2:3]
.LBB881_557:
	s_or_b64 exec, exec, s[0:1]
	s_movk_i32 s0, 0xff
	v_and_b32_sdwa v21, v12, s0 dst_sel:DWORD dst_unused:UNUSED_PAD src0_sel:WORD_1 src1_sel:DWORD
	v_lshrrev_b32_e32 v10, 16, v12
	v_cmp_ne_u16_e32 vcc, 0, v21
	v_mov_b32_e32 v19, 0
	v_mov_b32_e32 v20, 0
	s_and_saveexec_b64 s[0:1], vcc
	s_cbranch_execz .LBB881_563
; %bb.558:
	s_movk_i32 s2, 0x80
	v_cmp_ne_u16_e32 vcc, s2, v21
	v_mov_b32_e32 v20, 0xffff8000
	s_and_saveexec_b64 s[2:3], vcc
	s_cbranch_execz .LBB881_562
; %bb.559:
	v_bfe_u32 v21, v12, 16, 7
	s_movk_i32 s7, 0x7f
	v_cmp_ne_u32_e32 vcc, s7, v21
	v_mov_b32_e32 v20, 0x7f80
	s_and_saveexec_b64 s[8:9], vcc
	s_cbranch_execz .LBB881_561
; %bb.560:
	v_and_b32_e32 v20, 7, v10
	v_ffbh_u32_e32 v24, v20
	v_min_u32_e32 v27, 32, v24
	v_subrev_u32_e32 v24, 28, v27
	v_lshlrev_b64 v[24:25], v24, v[10:11]
	v_lshrrev_b32_e32 v23, 3, v21
	v_sub_u32_e32 v10, 29, v27
	v_and_b32_e32 v24, 7, v24
	v_cmp_gt_u32_e32 vcc, 8, v21
	v_mov_b32_e32 v21, 24
	v_cndmask_b32_e32 v10, v23, v10, vcc
	v_cndmask_b32_e32 v20, v20, v24, vcc
	v_lshlrev_b32_sdwa v21, v21, v12 dst_sel:DWORD dst_unused:UNUSED_PAD src0_sel:DWORD src1_sel:WORD_1
	v_bfrev_b32_e32 v23, 60
	v_lshlrev_b32_e32 v20, 20, v20
	v_and_b32_e32 v21, 0x80000000, v21
	v_lshl_add_u32 v10, v10, 23, v23
	v_or3_b32 v10, v21, v10, v20
	v_lshrrev_b32_e32 v20, 16, v10
.LBB881_561:
	s_or_b64 exec, exec, s[8:9]
.LBB881_562:
	s_or_b64 exec, exec, s[2:3]
.LBB881_563:
	s_or_b64 exec, exec, s[0:1]
	s_mov_b32 s0, 0xffffff
	v_cmp_lt_u32_e32 vcc, s0, v12
	s_and_saveexec_b64 s[0:1], vcc
	s_cbranch_execz .LBB881_569
; %bb.564:
	v_lshrrev_b32_e32 v10, 24, v12
	s_movk_i32 s2, 0x80
	v_cmp_ne_u32_e32 vcc, s2, v10
	v_mov_b32_e32 v19, 0xffff8000
	s_and_saveexec_b64 s[2:3], vcc
	s_cbranch_execz .LBB881_568
; %bb.565:
	v_bfe_u32 v12, v12, 24, 7
	s_movk_i32 s7, 0x7f
	v_cmp_ne_u32_e32 vcc, s7, v12
	v_mov_b32_e32 v19, 0x7f80
	s_and_saveexec_b64 s[8:9], vcc
	s_cbranch_execz .LBB881_567
; %bb.566:
	v_and_b32_e32 v19, 7, v10
	v_ffbh_u32_e32 v23, v19
	v_min_u32_e32 v23, 32, v23
	v_subrev_u32_e32 v24, 28, v23
	v_lshlrev_b64 v[24:25], v24, v[10:11]
	v_lshrrev_b32_e32 v21, 3, v12
	v_sub_u32_e32 v23, 29, v23
	v_and_b32_e32 v24, 7, v24
	v_cmp_gt_u32_e32 vcc, 8, v12
	v_cndmask_b32_e32 v12, v21, v23, vcc
	v_cndmask_b32_e32 v19, v19, v24, vcc
	v_lshlrev_b32_e32 v10, 24, v10
	v_bfrev_b32_e32 v21, 60
	v_lshlrev_b32_e32 v19, 20, v19
	v_and_b32_e32 v10, 0x80000000, v10
	v_lshl_add_u32 v12, v12, 23, v21
	v_or3_b32 v10, v10, v12, v19
	v_lshrrev_b32_e32 v19, 16, v10
.LBB881_567:
	s_or_b64 exec, exec, s[8:9]
.LBB881_568:
	s_or_b64 exec, exec, s[2:3]
.LBB881_569:
	s_or_b64 exec, exec, s[0:1]
	v_mov_b32_e32 v12, 0
	v_cmp_ne_u16_sdwa s[2:3], v13, v12 src0_sel:BYTE_0 src1_sel:DWORD
	v_mov_b32_e32 v21, 0
	s_and_saveexec_b64 s[0:1], s[2:3]
	s_cbranch_execz .LBB881_575
; %bb.570:
	s_movk_i32 s2, 0x80
	v_cmp_ne_u16_sdwa s[8:9], v13, s2 src0_sel:BYTE_0 src1_sel:DWORD
	v_mov_b32_e32 v21, 0xffff8000
	s_and_saveexec_b64 s[2:3], s[8:9]
	s_cbranch_execz .LBB881_574
; %bb.571:
	s_movk_i32 s7, 0x7f
	v_and_b32_e32 v10, 0x7f, v13
	v_cmp_ne_u32_e32 vcc, s7, v10
	v_mov_b32_e32 v21, 0x7f80
	s_and_saveexec_b64 s[8:9], vcc
	s_cbranch_execz .LBB881_573
; %bb.572:
	v_and_b32_e32 v21, 7, v13
	v_ffbh_u32_e32 v25, v21
	v_min_u32_e32 v27, 32, v25
	v_mov_b32_e32 v24, v13
	v_subrev_u32_e32 v25, 28, v27
	v_lshlrev_b64 v[24:25], v25, v[24:25]
	v_lshrrev_b32_e32 v23, 3, v10
	v_sub_u32_e32 v25, 29, v27
	v_and_b32_e32 v24, 7, v24
	v_cmp_gt_u32_e32 vcc, 8, v10
	v_cndmask_b32_e32 v10, v23, v25, vcc
	v_cndmask_b32_e32 v21, v21, v24, vcc
	v_lshlrev_b32_e32 v23, 24, v13
	v_bfrev_b32_e32 v24, 60
	v_lshlrev_b32_e32 v21, 20, v21
	v_and_b32_e32 v23, 0x80000000, v23
	v_lshl_add_u32 v10, v10, 23, v24
	v_or3_b32 v10, v23, v10, v21
	v_lshrrev_b32_e32 v21, 16, v10
.LBB881_573:
	s_or_b64 exec, exec, s[8:9]
.LBB881_574:
	s_or_b64 exec, exec, s[2:3]
.LBB881_575:
	s_or_b64 exec, exec, s[0:1]
	v_lshrrev_b16_e32 v10, 8, v13
	v_cmp_ne_u16_e32 vcc, 0, v10
	s_and_saveexec_b64 s[0:1], vcc
	s_cbranch_execz .LBB881_581
; %bb.576:
	s_movk_i32 s2, 0x80
	v_cmp_ne_u16_e32 vcc, s2, v10
	v_mov_b32_e32 v12, 0xffff8000
	s_and_saveexec_b64 s[2:3], vcc
	s_cbranch_execz .LBB881_580
; %bb.577:
	s_movk_i32 s7, 0x7f
	v_and_b32_e32 v23, 0x7f, v10
	v_cmp_ne_u32_e32 vcc, s7, v23
	v_mov_b32_e32 v12, 0x7f80
	s_and_saveexec_b64 s[8:9], vcc
	s_cbranch_execz .LBB881_579
; %bb.578:
	v_and_b32_e32 v12, 7, v10
	v_ffbh_u32_e32 v24, v12
	v_min_u32_e32 v28, 32, v24
	v_subrev_u32_e32 v24, 28, v28
	v_lshlrev_b64 v[24:25], v24, v[10:11]
	v_lshrrev_b32_e32 v27, 3, v23
	v_sub_u32_e32 v10, 29, v28
	v_and_b32_e32 v24, 7, v24
	v_cmp_gt_u32_e32 vcc, 8, v23
	v_cndmask_b32_e32 v10, v27, v10, vcc
	v_cndmask_b32_e32 v12, v12, v24, vcc
	v_lshlrev_b32_e32 v23, 16, v13
	v_bfrev_b32_e32 v24, 60
	v_lshlrev_b32_e32 v12, 20, v12
	v_and_b32_e32 v23, 0x80000000, v23
	v_lshl_add_u32 v10, v10, 23, v24
	v_or3_b32 v10, v23, v10, v12
	v_lshrrev_b32_e32 v12, 16, v10
.LBB881_579:
	s_or_b64 exec, exec, s[8:9]
.LBB881_580:
	s_or_b64 exec, exec, s[2:3]
.LBB881_581:
	s_or_b64 exec, exec, s[0:1]
	s_movk_i32 s0, 0xff
	v_and_b32_sdwa v25, v13, s0 dst_sel:DWORD dst_unused:UNUSED_PAD src0_sel:WORD_1 src1_sel:DWORD
	v_lshrrev_b32_e32 v10, 16, v13
	v_cmp_ne_u16_e32 vcc, 0, v25
	v_mov_b32_e32 v23, 0
	v_mov_b32_e32 v24, 0
	s_and_saveexec_b64 s[0:1], vcc
	s_cbranch_execz .LBB881_587
; %bb.582:
	s_movk_i32 s2, 0x80
	v_cmp_ne_u16_e32 vcc, s2, v25
	v_mov_b32_e32 v24, 0xffff8000
	s_and_saveexec_b64 s[2:3], vcc
	s_cbranch_execz .LBB881_586
; %bb.583:
	v_bfe_u32 v25, v13, 16, 7
	s_movk_i32 s7, 0x7f
	v_cmp_ne_u32_e32 vcc, s7, v25
	v_mov_b32_e32 v24, 0x7f80
	s_and_saveexec_b64 s[8:9], vcc
	s_cbranch_execz .LBB881_585
; %bb.584:
	v_and_b32_e32 v24, 7, v10
	v_ffbh_u32_e32 v28, v24
	v_min_u32_e32 v30, 32, v28
	v_subrev_u32_e32 v28, 28, v30
	v_lshlrev_b64 v[28:29], v28, v[10:11]
	v_lshrrev_b32_e32 v27, 3, v25
	v_sub_u32_e32 v10, 29, v30
	v_and_b32_e32 v28, 7, v28
	v_cmp_gt_u32_e32 vcc, 8, v25
	v_mov_b32_e32 v25, 24
	v_cndmask_b32_e32 v10, v27, v10, vcc
	v_cndmask_b32_e32 v24, v24, v28, vcc
	v_lshlrev_b32_sdwa v25, v25, v13 dst_sel:DWORD dst_unused:UNUSED_PAD src0_sel:DWORD src1_sel:WORD_1
	v_bfrev_b32_e32 v27, 60
	v_lshlrev_b32_e32 v24, 20, v24
	v_and_b32_e32 v25, 0x80000000, v25
	v_lshl_add_u32 v10, v10, 23, v27
	v_or3_b32 v10, v25, v10, v24
	v_lshrrev_b32_e32 v24, 16, v10
.LBB881_585:
	s_or_b64 exec, exec, s[8:9]
.LBB881_586:
	s_or_b64 exec, exec, s[2:3]
.LBB881_587:
	s_or_b64 exec, exec, s[0:1]
	s_mov_b32 s0, 0xffffff
	v_cmp_lt_u32_e32 vcc, s0, v13
	s_and_saveexec_b64 s[0:1], vcc
	s_cbranch_execz .LBB881_593
; %bb.588:
	v_lshrrev_b32_e32 v10, 24, v13
	s_movk_i32 s2, 0x80
	v_cmp_ne_u32_e32 vcc, s2, v10
	v_mov_b32_e32 v23, 0xffff8000
	s_and_saveexec_b64 s[2:3], vcc
	s_cbranch_execz .LBB881_592
; %bb.589:
	v_bfe_u32 v13, v13, 24, 7
	s_movk_i32 s7, 0x7f
	v_cmp_ne_u32_e32 vcc, s7, v13
	v_mov_b32_e32 v23, 0x7f80
	s_and_saveexec_b64 s[8:9], vcc
	s_cbranch_execz .LBB881_591
; %bb.590:
	v_and_b32_e32 v23, 7, v10
	v_ffbh_u32_e32 v27, v23
	v_min_u32_e32 v27, 32, v27
	v_subrev_u32_e32 v28, 28, v27
	v_lshlrev_b64 v[28:29], v28, v[10:11]
	v_lshrrev_b32_e32 v25, 3, v13
	v_sub_u32_e32 v27, 29, v27
	v_and_b32_e32 v28, 7, v28
	v_cmp_gt_u32_e32 vcc, 8, v13
	v_cndmask_b32_e32 v13, v25, v27, vcc
	v_cndmask_b32_e32 v23, v23, v28, vcc
	v_lshlrev_b32_e32 v10, 24, v10
	v_bfrev_b32_e32 v25, 60
	v_lshlrev_b32_e32 v23, 20, v23
	v_and_b32_e32 v10, 0x80000000, v10
	v_lshl_add_u32 v13, v13, 23, v25
	v_or3_b32 v10, v10, v13, v23
	v_lshrrev_b32_e32 v23, 16, v10
.LBB881_591:
	s_or_b64 exec, exec, s[8:9]
.LBB881_592:
	s_or_b64 exec, exec, s[2:3]
.LBB881_593:
	s_or_b64 exec, exec, s[0:1]
	s_mov_b32 s0, 0x5040100
	v_perm_b32 v19, v19, v20, s0
	v_perm_b32 v18, v11, v18, s0
	ds_read_b128 v[28:31], v22 offset:2064
	v_perm_b32 v11, v23, v24, s0
	v_perm_b32 v10, v12, v21, s0
	s_waitcnt lgkmcnt(0)
	v_mfma_f32_16x16x16bf16_1k v[32:35], v[18:19], v[28:29], v[14:17]
	s_nop 6
	v_mov_b32_e32 v15, 0
	s_waitcnt vmcnt(1)
	v_cmp_ne_u16_sdwa s[2:3], v6, v15 src0_sel:BYTE_0 src1_sel:DWORD
	v_mfma_f32_16x16x16bf16_1k v[10:13], v[10:11], v[30:31], v[32:35]
	v_mov_b32_e32 v16, 0
	s_and_saveexec_b64 s[0:1], s[2:3]
	s_cbranch_execz .LBB881_599
; %bb.594:
	s_movk_i32 s2, 0x80
	v_cmp_ne_u16_sdwa s[8:9], v6, s2 src0_sel:BYTE_0 src1_sel:DWORD
	v_mov_b32_e32 v16, 0xffff8000
	s_and_saveexec_b64 s[2:3], s[8:9]
	s_cbranch_execz .LBB881_598
; %bb.595:
	s_movk_i32 s7, 0x7f
	v_and_b32_e32 v14, 0x7f, v6
	v_cmp_ne_u32_e32 vcc, s7, v14
	v_mov_b32_e32 v16, 0x7f80
	s_and_saveexec_b64 s[8:9], vcc
	s_cbranch_execz .LBB881_597
; %bb.596:
	v_and_b32_e32 v18, 7, v6
	v_ffbh_u32_e32 v16, v18
	v_min_u32_e32 v20, 32, v16
	v_subrev_u32_e32 v16, 28, v20
	v_lshlrev_b64 v[16:17], v16, v[6:7]
	v_lshrrev_b32_e32 v19, 3, v14
	v_sub_u32_e32 v17, 29, v20
	v_and_b32_e32 v16, 7, v16
	v_cmp_gt_u32_e32 vcc, 8, v14
	v_cndmask_b32_e32 v14, v19, v17, vcc
	v_cndmask_b32_e32 v16, v18, v16, vcc
	v_lshlrev_b32_e32 v17, 24, v6
	v_bfrev_b32_e32 v18, 60
	v_lshlrev_b32_e32 v16, 20, v16
	v_and_b32_e32 v17, 0x80000000, v17
	v_lshl_add_u32 v14, v14, 23, v18
	v_or3_b32 v14, v17, v14, v16
	v_lshrrev_b32_e32 v16, 16, v14
.LBB881_597:
	s_or_b64 exec, exec, s[8:9]
.LBB881_598:
	s_or_b64 exec, exec, s[2:3]
.LBB881_599:
	s_or_b64 exec, exec, s[0:1]
	v_lshrrev_b16_e32 v14, 8, v6
	v_cmp_ne_u16_e32 vcc, 0, v14
	s_and_saveexec_b64 s[0:1], vcc
	s_cbranch_execz .LBB881_605
; %bb.600:
	s_movk_i32 s2, 0x80
	v_cmp_ne_u16_e32 vcc, s2, v14
	v_mov_b32_e32 v15, 0xffff8000
	s_and_saveexec_b64 s[2:3], vcc
	s_cbranch_execz .LBB881_604
; %bb.601:
	s_movk_i32 s7, 0x7f
	v_and_b32_e32 v17, 0x7f, v14
	v_cmp_ne_u32_e32 vcc, s7, v17
	v_mov_b32_e32 v15, 0x7f80
	s_and_saveexec_b64 s[8:9], vcc
	s_cbranch_execz .LBB881_603
; %bb.602:
	v_and_b32_e32 v18, 7, v14
	v_ffbh_u32_e32 v15, v18
	v_min_u32_e32 v20, 32, v15
	v_subrev_u32_e32 v15, 28, v20
	v_lshlrev_b64 v[14:15], v15, v[14:15]
	v_lshrrev_b32_e32 v19, 3, v17
	v_sub_u32_e32 v15, 29, v20
	v_and_b32_e32 v14, 7, v14
	v_cmp_gt_u32_e32 vcc, 8, v17
	v_cndmask_b32_e32 v15, v19, v15, vcc
	v_cndmask_b32_e32 v14, v18, v14, vcc
	v_lshlrev_b32_e32 v17, 16, v6
	v_bfrev_b32_e32 v18, 60
	v_lshlrev_b32_e32 v14, 20, v14
	v_and_b32_e32 v17, 0x80000000, v17
	v_lshl_add_u32 v15, v15, 23, v18
	v_or3_b32 v14, v17, v15, v14
	v_lshrrev_b32_e32 v15, 16, v14
.LBB881_603:
	s_or_b64 exec, exec, s[8:9]
.LBB881_604:
	s_or_b64 exec, exec, s[2:3]
.LBB881_605:
	s_or_b64 exec, exec, s[0:1]
	s_movk_i32 s0, 0xff
	v_and_b32_sdwa v19, v6, s0 dst_sel:DWORD dst_unused:UNUSED_PAD src0_sel:WORD_1 src1_sel:DWORD
	v_lshrrev_b32_e32 v14, 16, v6
	v_cmp_ne_u16_e32 vcc, 0, v19
	v_mov_b32_e32 v17, 0
	v_mov_b32_e32 v18, 0
	s_and_saveexec_b64 s[0:1], vcc
	s_cbranch_execz .LBB881_611
; %bb.606:
	s_movk_i32 s2, 0x80
	v_cmp_ne_u16_e32 vcc, s2, v19
	v_mov_b32_e32 v18, 0xffff8000
	s_and_saveexec_b64 s[2:3], vcc
	s_cbranch_execz .LBB881_610
; %bb.607:
	v_bfe_u32 v19, v6, 16, 7
	s_movk_i32 s7, 0x7f
	v_cmp_ne_u32_e32 vcc, s7, v19
	v_mov_b32_e32 v18, 0x7f80
	s_and_saveexec_b64 s[8:9], vcc
	s_cbranch_execz .LBB881_609
; %bb.608:
	v_and_b32_e32 v18, 7, v14
	v_ffbh_u32_e32 v20, v18
	v_min_u32_e32 v24, 32, v20
	v_subrev_u32_e32 v20, 28, v24
	v_lshlrev_b64 v[20:21], v20, v[14:15]
	v_lshrrev_b32_e32 v23, 3, v19
	v_sub_u32_e32 v14, 29, v24
	v_and_b32_e32 v20, 7, v20
	v_cmp_gt_u32_e32 vcc, 8, v19
	v_mov_b32_e32 v19, 24
	v_cndmask_b32_e32 v14, v23, v14, vcc
	v_cndmask_b32_e32 v18, v18, v20, vcc
	v_lshlrev_b32_sdwa v19, v19, v6 dst_sel:DWORD dst_unused:UNUSED_PAD src0_sel:DWORD src1_sel:WORD_1
	v_bfrev_b32_e32 v20, 60
	v_lshlrev_b32_e32 v18, 20, v18
	v_and_b32_e32 v19, 0x80000000, v19
	v_lshl_add_u32 v14, v14, 23, v20
	v_or3_b32 v14, v19, v14, v18
	v_lshrrev_b32_e32 v18, 16, v14
.LBB881_609:
	s_or_b64 exec, exec, s[8:9]
.LBB881_610:
	s_or_b64 exec, exec, s[2:3]
.LBB881_611:
	s_or_b64 exec, exec, s[0:1]
	s_mov_b32 s0, 0xffffff
	v_cmp_lt_u32_e32 vcc, s0, v6
	s_and_saveexec_b64 s[0:1], vcc
	s_cbranch_execz .LBB881_617
; %bb.612:
	v_lshrrev_b32_e32 v14, 24, v6
	s_movk_i32 s2, 0x80
	v_cmp_ne_u32_e32 vcc, s2, v14
	v_mov_b32_e32 v17, 0xffff8000
	s_and_saveexec_b64 s[2:3], vcc
	s_cbranch_execz .LBB881_616
; %bb.613:
	v_bfe_u32 v6, v6, 24, 7
	s_movk_i32 s7, 0x7f
	v_cmp_ne_u32_e32 vcc, s7, v6
	v_mov_b32_e32 v17, 0x7f80
	s_and_saveexec_b64 s[8:9], vcc
	s_cbranch_execz .LBB881_615
; %bb.614:
	v_and_b32_e32 v17, 7, v14
	v_ffbh_u32_e32 v20, v17
	v_min_u32_e32 v23, 32, v20
	v_subrev_u32_e32 v20, 28, v23
	v_lshlrev_b64 v[20:21], v20, v[14:15]
	v_lshrrev_b32_e32 v19, 3, v6
	v_sub_u32_e32 v21, 29, v23
	v_and_b32_e32 v20, 7, v20
	v_cmp_gt_u32_e32 vcc, 8, v6
	v_cndmask_b32_e32 v6, v19, v21, vcc
	v_cndmask_b32_e32 v17, v17, v20, vcc
	v_lshlrev_b32_e32 v14, 24, v14
	v_bfrev_b32_e32 v19, 60
	v_lshlrev_b32_e32 v17, 20, v17
	v_and_b32_e32 v14, 0x80000000, v14
	v_lshl_add_u32 v6, v6, 23, v19
	v_or3_b32 v6, v14, v6, v17
	v_lshrrev_b32_e32 v17, 16, v6
.LBB881_615:
	s_or_b64 exec, exec, s[8:9]
.LBB881_616:
	s_or_b64 exec, exec, s[2:3]
.LBB881_617:
	s_or_b64 exec, exec, s[0:1]
	v_mov_b32_e32 v14, 0
	v_cmp_ne_u16_sdwa s[2:3], v7, v14 src0_sel:BYTE_0 src1_sel:DWORD
	v_mov_b32_e32 v19, 0
	s_and_saveexec_b64 s[0:1], s[2:3]
	s_cbranch_execz .LBB881_623
; %bb.618:
	s_movk_i32 s2, 0x80
	v_cmp_ne_u16_sdwa s[8:9], v7, s2 src0_sel:BYTE_0 src1_sel:DWORD
	v_mov_b32_e32 v19, 0xffff8000
	s_and_saveexec_b64 s[2:3], s[8:9]
	s_cbranch_execz .LBB881_622
; %bb.619:
	s_movk_i32 s7, 0x7f
	v_and_b32_e32 v6, 0x7f, v7
	v_cmp_ne_u32_e32 vcc, s7, v6
	v_mov_b32_e32 v19, 0x7f80
	s_and_saveexec_b64 s[8:9], vcc
	s_cbranch_execz .LBB881_621
; %bb.620:
	v_and_b32_e32 v19, 7, v7
	v_ffbh_u32_e32 v21, v19
	v_min_u32_e32 v24, 32, v21
	v_mov_b32_e32 v20, v7
	v_subrev_u32_e32 v21, 28, v24
	v_lshlrev_b64 v[20:21], v21, v[20:21]
	v_lshrrev_b32_e32 v23, 3, v6
	v_sub_u32_e32 v21, 29, v24
	v_and_b32_e32 v20, 7, v20
	v_cmp_gt_u32_e32 vcc, 8, v6
	v_cndmask_b32_e32 v6, v23, v21, vcc
	v_cndmask_b32_e32 v19, v19, v20, vcc
	v_lshlrev_b32_e32 v20, 24, v7
	v_bfrev_b32_e32 v21, 60
	v_lshlrev_b32_e32 v19, 20, v19
	v_and_b32_e32 v20, 0x80000000, v20
	v_lshl_add_u32 v6, v6, 23, v21
	v_or3_b32 v6, v20, v6, v19
	v_lshrrev_b32_e32 v19, 16, v6
.LBB881_621:
	s_or_b64 exec, exec, s[8:9]
.LBB881_622:
	s_or_b64 exec, exec, s[2:3]
.LBB881_623:
	s_or_b64 exec, exec, s[0:1]
	v_lshrrev_b16_e32 v6, 8, v7
	v_cmp_ne_u16_e32 vcc, 0, v6
	s_and_saveexec_b64 s[0:1], vcc
	s_cbranch_execz .LBB881_629
; %bb.624:
	s_movk_i32 s2, 0x80
	v_cmp_ne_u16_e32 vcc, s2, v6
	v_mov_b32_e32 v14, 0xffff8000
	s_and_saveexec_b64 s[2:3], vcc
	s_cbranch_execz .LBB881_628
; %bb.625:
	s_movk_i32 s7, 0x7f
	v_and_b32_e32 v20, 0x7f, v6
	v_cmp_ne_u32_e32 vcc, s7, v20
	v_mov_b32_e32 v14, 0x7f80
	s_and_saveexec_b64 s[8:9], vcc
	s_cbranch_execz .LBB881_627
; %bb.626:
	v_and_b32_e32 v14, 7, v6
	v_ffbh_u32_e32 v23, v14
	v_min_u32_e32 v23, 32, v23
	v_subrev_u32_e32 v24, 28, v23
	v_lshlrev_b64 v[24:25], v24, v[6:7]
	v_lshrrev_b32_e32 v21, 3, v20
	v_sub_u32_e32 v6, 29, v23
	v_and_b32_e32 v23, 7, v24
	v_cmp_gt_u32_e32 vcc, 8, v20
	v_cndmask_b32_e32 v6, v21, v6, vcc
	v_cndmask_b32_e32 v14, v14, v23, vcc
	v_lshlrev_b32_e32 v20, 16, v7
	v_bfrev_b32_e32 v21, 60
	v_lshlrev_b32_e32 v14, 20, v14
	v_and_b32_e32 v20, 0x80000000, v20
	v_lshl_add_u32 v6, v6, 23, v21
	v_or3_b32 v6, v20, v6, v14
	v_lshrrev_b32_e32 v14, 16, v6
.LBB881_627:
	s_or_b64 exec, exec, s[8:9]
.LBB881_628:
	s_or_b64 exec, exec, s[2:3]
.LBB881_629:
	s_or_b64 exec, exec, s[0:1]
	s_movk_i32 s0, 0xff
	v_and_b32_sdwa v23, v7, s0 dst_sel:DWORD dst_unused:UNUSED_PAD src0_sel:WORD_1 src1_sel:DWORD
	v_lshrrev_b32_e32 v6, 16, v7
	v_cmp_ne_u16_e32 vcc, 0, v23
	v_mov_b32_e32 v20, 0
	v_mov_b32_e32 v21, 0
	s_and_saveexec_b64 s[0:1], vcc
	s_cbranch_execz .LBB881_635
; %bb.630:
	s_movk_i32 s2, 0x80
	v_cmp_ne_u16_e32 vcc, s2, v23
	v_mov_b32_e32 v21, 0xffff8000
	s_and_saveexec_b64 s[2:3], vcc
	s_cbranch_execz .LBB881_634
; %bb.631:
	v_bfe_u32 v23, v7, 16, 7
	s_movk_i32 s7, 0x7f
	v_cmp_ne_u32_e32 vcc, s7, v23
	v_mov_b32_e32 v21, 0x7f80
	s_and_saveexec_b64 s[8:9], vcc
	s_cbranch_execz .LBB881_633
; %bb.632:
	v_and_b32_e32 v21, 7, v6
	v_ffbh_u32_e32 v24, v21
	v_min_u32_e32 v28, 32, v24
	v_subrev_u32_e32 v24, 28, v28
	v_lshlrev_b64 v[24:25], v24, v[6:7]
	v_lshrrev_b32_e32 v27, 3, v23
	v_sub_u32_e32 v6, 29, v28
	v_and_b32_e32 v24, 7, v24
	v_cmp_gt_u32_e32 vcc, 8, v23
	v_mov_b32_e32 v23, 24
	v_cndmask_b32_e32 v6, v27, v6, vcc
	v_cndmask_b32_e32 v21, v21, v24, vcc
	v_lshlrev_b32_sdwa v23, v23, v7 dst_sel:DWORD dst_unused:UNUSED_PAD src0_sel:DWORD src1_sel:WORD_1
	v_bfrev_b32_e32 v24, 60
	v_lshlrev_b32_e32 v21, 20, v21
	v_and_b32_e32 v23, 0x80000000, v23
	v_lshl_add_u32 v6, v6, 23, v24
	v_or3_b32 v6, v23, v6, v21
	v_lshrrev_b32_e32 v21, 16, v6
.LBB881_633:
	s_or_b64 exec, exec, s[8:9]
.LBB881_634:
	s_or_b64 exec, exec, s[2:3]
.LBB881_635:
	s_or_b64 exec, exec, s[0:1]
	s_mov_b32 s0, 0xffffff
	v_cmp_lt_u32_e32 vcc, s0, v7
	s_and_saveexec_b64 s[0:1], vcc
	s_cbranch_execz .LBB881_641
; %bb.636:
	v_lshrrev_b32_e32 v6, 24, v7
	s_movk_i32 s2, 0x80
	v_cmp_ne_u32_e32 vcc, s2, v6
	v_mov_b32_e32 v20, 0xffff8000
	s_and_saveexec_b64 s[2:3], vcc
	s_cbranch_execz .LBB881_640
; %bb.637:
	v_bfe_u32 v7, v7, 24, 7
	s_movk_i32 s7, 0x7f
	v_cmp_ne_u32_e32 vcc, s7, v7
	v_mov_b32_e32 v20, 0x7f80
	s_and_saveexec_b64 s[8:9], vcc
	s_cbranch_execz .LBB881_639
; %bb.638:
	v_and_b32_e32 v20, 7, v6
	v_ffbh_u32_e32 v24, v20
	v_min_u32_e32 v27, 32, v24
	v_subrev_u32_e32 v24, 28, v27
	v_lshlrev_b64 v[24:25], v24, v[6:7]
	v_lshrrev_b32_e32 v23, 3, v7
	v_sub_u32_e32 v25, 29, v27
	v_and_b32_e32 v24, 7, v24
	v_cmp_gt_u32_e32 vcc, 8, v7
	v_cndmask_b32_e32 v7, v23, v25, vcc
	v_cndmask_b32_e32 v20, v20, v24, vcc
	v_lshlrev_b32_e32 v6, 24, v6
	v_bfrev_b32_e32 v23, 60
	v_lshlrev_b32_e32 v20, 20, v20
	v_and_b32_e32 v6, 0x80000000, v6
	v_lshl_add_u32 v7, v7, 23, v23
	v_or3_b32 v6, v6, v7, v20
	v_lshrrev_b32_e32 v20, 16, v6
.LBB881_639:
	s_or_b64 exec, exec, s[8:9]
.LBB881_640:
	s_or_b64 exec, exec, s[2:3]
.LBB881_641:
	s_or_b64 exec, exec, s[0:1]
	s_mov_b32 s0, 0x5040100
	v_perm_b32 v7, v17, v18, s0
	v_perm_b32 v6, v15, v16, s0
	ds_read_b128 v[28:31], v22 offset:4096
	v_perm_b32 v17, v20, v21, s0
	v_perm_b32 v16, v14, v19, s0
	s_waitcnt lgkmcnt(0)
	v_mfma_f32_16x16x16bf16_1k v[10:13], v[6:7], v[28:29], v[10:13]
	v_mov_b32_e32 v7, 0
	v_cmp_ne_u16_sdwa s[2:3], v8, v7 src0_sel:BYTE_0 src1_sel:DWORD
	v_mov_b32_e32 v14, 0
	v_mfma_f32_16x16x16bf16_1k v[10:13], v[16:17], v[30:31], v[10:13]
	s_and_saveexec_b64 s[0:1], s[2:3]
	s_cbranch_execz .LBB881_647
; %bb.642:
	s_movk_i32 s2, 0x80
	v_cmp_ne_u16_sdwa s[8:9], v8, s2 src0_sel:BYTE_0 src1_sel:DWORD
	v_mov_b32_e32 v14, 0xffff8000
	s_and_saveexec_b64 s[2:3], s[8:9]
	s_cbranch_execz .LBB881_646
; %bb.643:
	s_movk_i32 s7, 0x7f
	v_and_b32_e32 v6, 0x7f, v8
	v_cmp_ne_u32_e32 vcc, s7, v6
	v_mov_b32_e32 v14, 0x7f80
	s_and_saveexec_b64 s[8:9], vcc
	s_cbranch_execz .LBB881_645
; %bb.644:
	v_and_b32_e32 v16, 7, v8
	v_ffbh_u32_e32 v14, v16
	v_min_u32_e32 v18, 32, v14
	v_subrev_u32_e32 v14, 28, v18
	v_lshlrev_b64 v[14:15], v14, v[8:9]
	v_lshrrev_b32_e32 v17, 3, v6
	v_sub_u32_e32 v15, 29, v18
	v_and_b32_e32 v14, 7, v14
	v_cmp_gt_u32_e32 vcc, 8, v6
	v_cndmask_b32_e32 v6, v17, v15, vcc
	v_cndmask_b32_e32 v14, v16, v14, vcc
	v_lshlrev_b32_e32 v15, 24, v8
	v_bfrev_b32_e32 v16, 60
	v_lshlrev_b32_e32 v14, 20, v14
	v_and_b32_e32 v15, 0x80000000, v15
	v_lshl_add_u32 v6, v6, 23, v16
	v_or3_b32 v6, v15, v6, v14
	v_lshrrev_b32_e32 v14, 16, v6
.LBB881_645:
	s_or_b64 exec, exec, s[8:9]
.LBB881_646:
	s_or_b64 exec, exec, s[2:3]
.LBB881_647:
	s_or_b64 exec, exec, s[0:1]
	v_lshrrev_b16_e32 v6, 8, v8
	v_cmp_ne_u16_e32 vcc, 0, v6
	s_and_saveexec_b64 s[0:1], vcc
	s_cbranch_execz .LBB881_653
; %bb.648:
	s_movk_i32 s2, 0x80
	v_cmp_ne_u16_e32 vcc, s2, v6
	v_mov_b32_e32 v7, 0xffff8000
	s_and_saveexec_b64 s[2:3], vcc
	s_cbranch_execz .LBB881_652
; %bb.649:
	s_movk_i32 s7, 0x7f
	v_and_b32_e32 v15, 0x7f, v6
	v_cmp_ne_u32_e32 vcc, s7, v15
	v_mov_b32_e32 v7, 0x7f80
	s_and_saveexec_b64 s[8:9], vcc
	s_cbranch_execz .LBB881_651
; %bb.650:
	v_and_b32_e32 v16, 7, v6
	v_ffbh_u32_e32 v7, v16
	v_min_u32_e32 v18, 32, v7
	v_subrev_u32_e32 v7, 28, v18
	v_lshlrev_b64 v[6:7], v7, v[6:7]
	v_lshrrev_b32_e32 v17, 3, v15
	v_sub_u32_e32 v7, 29, v18
	v_and_b32_e32 v6, 7, v6
	v_cmp_gt_u32_e32 vcc, 8, v15
	v_cndmask_b32_e32 v7, v17, v7, vcc
	v_cndmask_b32_e32 v6, v16, v6, vcc
	v_lshlrev_b32_e32 v15, 16, v8
	v_bfrev_b32_e32 v16, 60
	v_lshlrev_b32_e32 v6, 20, v6
	v_and_b32_e32 v15, 0x80000000, v15
	v_lshl_add_u32 v7, v7, 23, v16
	v_or3_b32 v6, v15, v7, v6
	v_lshrrev_b32_e32 v7, 16, v6
.LBB881_651:
	s_or_b64 exec, exec, s[8:9]
.LBB881_652:
	s_or_b64 exec, exec, s[2:3]
.LBB881_653:
	s_or_b64 exec, exec, s[0:1]
	s_movk_i32 s0, 0xff
	v_and_b32_sdwa v17, v8, s0 dst_sel:DWORD dst_unused:UNUSED_PAD src0_sel:WORD_1 src1_sel:DWORD
	v_lshrrev_b32_e32 v6, 16, v8
	v_cmp_ne_u16_e32 vcc, 0, v17
	v_mov_b32_e32 v15, 0
	v_mov_b32_e32 v16, 0
	s_and_saveexec_b64 s[0:1], vcc
	s_cbranch_execz .LBB881_659
; %bb.654:
	s_movk_i32 s2, 0x80
	v_cmp_ne_u16_e32 vcc, s2, v17
	v_mov_b32_e32 v16, 0xffff8000
	s_and_saveexec_b64 s[2:3], vcc
	s_cbranch_execz .LBB881_658
; %bb.655:
	v_bfe_u32 v17, v8, 16, 7
	s_movk_i32 s7, 0x7f
	v_cmp_ne_u32_e32 vcc, s7, v17
	v_mov_b32_e32 v16, 0x7f80
	s_and_saveexec_b64 s[8:9], vcc
	s_cbranch_execz .LBB881_657
; %bb.656:
	v_and_b32_e32 v16, 7, v6
	v_ffbh_u32_e32 v18, v16
	v_min_u32_e32 v21, 32, v18
	v_subrev_u32_e32 v18, 28, v21
	v_lshlrev_b64 v[18:19], v18, v[6:7]
	v_lshrrev_b32_e32 v20, 3, v17
	v_sub_u32_e32 v6, 29, v21
	v_and_b32_e32 v18, 7, v18
	v_cmp_gt_u32_e32 vcc, 8, v17
	v_mov_b32_e32 v17, 24
	v_cndmask_b32_e32 v6, v20, v6, vcc
	v_cndmask_b32_e32 v16, v16, v18, vcc
	v_lshlrev_b32_sdwa v17, v17, v8 dst_sel:DWORD dst_unused:UNUSED_PAD src0_sel:DWORD src1_sel:WORD_1
	v_bfrev_b32_e32 v18, 60
	v_lshlrev_b32_e32 v16, 20, v16
	v_and_b32_e32 v17, 0x80000000, v17
	v_lshl_add_u32 v6, v6, 23, v18
	v_or3_b32 v6, v17, v6, v16
	v_lshrrev_b32_e32 v16, 16, v6
.LBB881_657:
	s_or_b64 exec, exec, s[8:9]
.LBB881_658:
	s_or_b64 exec, exec, s[2:3]
.LBB881_659:
	s_or_b64 exec, exec, s[0:1]
	s_mov_b32 s0, 0xffffff
	v_cmp_lt_u32_e32 vcc, s0, v8
	s_and_saveexec_b64 s[0:1], vcc
	s_cbranch_execz .LBB881_665
; %bb.660:
	v_lshrrev_b32_e32 v6, 24, v8
	s_movk_i32 s2, 0x80
	v_cmp_ne_u32_e32 vcc, s2, v6
	v_mov_b32_e32 v15, 0xffff8000
	s_and_saveexec_b64 s[2:3], vcc
	s_cbranch_execz .LBB881_664
; %bb.661:
	v_bfe_u32 v8, v8, 24, 7
	s_movk_i32 s7, 0x7f
	v_cmp_ne_u32_e32 vcc, s7, v8
	v_mov_b32_e32 v15, 0x7f80
	s_and_saveexec_b64 s[8:9], vcc
	s_cbranch_execz .LBB881_663
; %bb.662:
	v_and_b32_e32 v15, 7, v6
	v_ffbh_u32_e32 v18, v15
	v_min_u32_e32 v20, 32, v18
	v_subrev_u32_e32 v18, 28, v20
	v_lshlrev_b64 v[18:19], v18, v[6:7]
	v_lshrrev_b32_e32 v17, 3, v8
	v_sub_u32_e32 v19, 29, v20
	v_and_b32_e32 v18, 7, v18
	v_cmp_gt_u32_e32 vcc, 8, v8
	v_cndmask_b32_e32 v8, v17, v19, vcc
	v_cndmask_b32_e32 v15, v15, v18, vcc
	v_lshlrev_b32_e32 v6, 24, v6
	v_bfrev_b32_e32 v17, 60
	v_lshlrev_b32_e32 v15, 20, v15
	v_and_b32_e32 v6, 0x80000000, v6
	v_lshl_add_u32 v8, v8, 23, v17
	v_or3_b32 v6, v6, v8, v15
	v_lshrrev_b32_e32 v15, 16, v6
.LBB881_663:
	s_or_b64 exec, exec, s[8:9]
.LBB881_664:
	s_or_b64 exec, exec, s[2:3]
.LBB881_665:
	s_or_b64 exec, exec, s[0:1]
	v_mov_b32_e32 v8, 0
	v_cmp_ne_u16_sdwa s[2:3], v9, v8 src0_sel:BYTE_0 src1_sel:DWORD
	v_mov_b32_e32 v17, 0
	s_and_saveexec_b64 s[0:1], s[2:3]
	s_cbranch_execz .LBB881_671
; %bb.666:
	s_movk_i32 s2, 0x80
	v_cmp_ne_u16_sdwa s[8:9], v9, s2 src0_sel:BYTE_0 src1_sel:DWORD
	v_mov_b32_e32 v17, 0xffff8000
	s_and_saveexec_b64 s[2:3], s[8:9]
	s_cbranch_execz .LBB881_670
; %bb.667:
	s_movk_i32 s7, 0x7f
	v_and_b32_e32 v6, 0x7f, v9
	v_cmp_ne_u32_e32 vcc, s7, v6
	v_mov_b32_e32 v17, 0x7f80
	s_and_saveexec_b64 s[8:9], vcc
	s_cbranch_execz .LBB881_669
; %bb.668:
	v_and_b32_e32 v17, 7, v9
	v_ffbh_u32_e32 v19, v17
	v_min_u32_e32 v21, 32, v19
	v_mov_b32_e32 v18, v9
	v_subrev_u32_e32 v19, 28, v21
	v_lshlrev_b64 v[18:19], v19, v[18:19]
	v_lshrrev_b32_e32 v20, 3, v6
	v_sub_u32_e32 v19, 29, v21
	v_and_b32_e32 v18, 7, v18
	v_cmp_gt_u32_e32 vcc, 8, v6
	v_cndmask_b32_e32 v6, v20, v19, vcc
	v_cndmask_b32_e32 v17, v17, v18, vcc
	v_lshlrev_b32_e32 v18, 24, v9
	v_bfrev_b32_e32 v19, 60
	v_lshlrev_b32_e32 v17, 20, v17
	v_and_b32_e32 v18, 0x80000000, v18
	v_lshl_add_u32 v6, v6, 23, v19
	v_or3_b32 v6, v18, v6, v17
	v_lshrrev_b32_e32 v17, 16, v6
.LBB881_669:
	s_or_b64 exec, exec, s[8:9]
.LBB881_670:
	s_or_b64 exec, exec, s[2:3]
.LBB881_671:
	s_or_b64 exec, exec, s[0:1]
	v_lshrrev_b16_e32 v6, 8, v9
	v_cmp_ne_u16_e32 vcc, 0, v6
	s_and_saveexec_b64 s[0:1], vcc
	s_cbranch_execz .LBB881_677
; %bb.672:
	s_movk_i32 s2, 0x80
	v_cmp_ne_u16_e32 vcc, s2, v6
	v_mov_b32_e32 v8, 0xffff8000
	s_and_saveexec_b64 s[2:3], vcc
	s_cbranch_execz .LBB881_676
; %bb.673:
	s_movk_i32 s7, 0x7f
	v_and_b32_e32 v18, 0x7f, v6
	v_cmp_ne_u32_e32 vcc, s7, v18
	v_mov_b32_e32 v8, 0x7f80
	s_and_saveexec_b64 s[8:9], vcc
	s_cbranch_execz .LBB881_675
; %bb.674:
	v_and_b32_e32 v8, 7, v6
	v_ffbh_u32_e32 v20, v8
	v_min_u32_e32 v23, 32, v20
	v_subrev_u32_e32 v20, 28, v23
	v_lshlrev_b64 v[20:21], v20, v[6:7]
	v_lshrrev_b32_e32 v19, 3, v18
	v_sub_u32_e32 v6, 29, v23
	v_and_b32_e32 v20, 7, v20
	v_cmp_gt_u32_e32 vcc, 8, v18
	v_cndmask_b32_e32 v6, v19, v6, vcc
	v_cndmask_b32_e32 v8, v8, v20, vcc
	v_lshlrev_b32_e32 v18, 16, v9
	v_bfrev_b32_e32 v19, 60
	v_lshlrev_b32_e32 v8, 20, v8
	v_and_b32_e32 v18, 0x80000000, v18
	v_lshl_add_u32 v6, v6, 23, v19
	v_or3_b32 v6, v18, v6, v8
	v_lshrrev_b32_e32 v8, 16, v6
.LBB881_675:
	s_or_b64 exec, exec, s[8:9]
.LBB881_676:
	s_or_b64 exec, exec, s[2:3]
.LBB881_677:
	s_or_b64 exec, exec, s[0:1]
	s_movk_i32 s0, 0xff
	v_and_b32_sdwa v20, v9, s0 dst_sel:DWORD dst_unused:UNUSED_PAD src0_sel:WORD_1 src1_sel:DWORD
	v_lshrrev_b32_e32 v6, 16, v9
	v_cmp_ne_u16_e32 vcc, 0, v20
	v_mov_b32_e32 v18, 0
	v_mov_b32_e32 v19, 0
	s_and_saveexec_b64 s[0:1], vcc
	s_cbranch_execz .LBB881_683
; %bb.678:
	s_movk_i32 s2, 0x80
	v_cmp_ne_u16_e32 vcc, s2, v20
	v_mov_b32_e32 v19, 0xffff8000
	s_and_saveexec_b64 s[2:3], vcc
	s_cbranch_execz .LBB881_682
; %bb.679:
	v_bfe_u32 v20, v9, 16, 7
	s_movk_i32 s7, 0x7f
	v_cmp_ne_u32_e32 vcc, s7, v20
	v_mov_b32_e32 v19, 0x7f80
	s_and_saveexec_b64 s[8:9], vcc
	s_cbranch_execz .LBB881_681
; %bb.680:
	v_and_b32_e32 v19, 7, v6
	v_ffbh_u32_e32 v23, v19
	v_min_u32_e32 v23, 32, v23
	v_subrev_u32_e32 v24, 28, v23
	v_lshlrev_b64 v[24:25], v24, v[6:7]
	v_lshrrev_b32_e32 v21, 3, v20
	v_sub_u32_e32 v6, 29, v23
	v_and_b32_e32 v23, 7, v24
	v_cmp_gt_u32_e32 vcc, 8, v20
	v_mov_b32_e32 v20, 24
	v_cndmask_b32_e32 v6, v21, v6, vcc
	v_cndmask_b32_e32 v19, v19, v23, vcc
	v_lshlrev_b32_sdwa v20, v20, v9 dst_sel:DWORD dst_unused:UNUSED_PAD src0_sel:DWORD src1_sel:WORD_1
	v_bfrev_b32_e32 v21, 60
	v_lshlrev_b32_e32 v19, 20, v19
	v_and_b32_e32 v20, 0x80000000, v20
	v_lshl_add_u32 v6, v6, 23, v21
	v_or3_b32 v6, v20, v6, v19
	v_lshrrev_b32_e32 v19, 16, v6
.LBB881_681:
	s_or_b64 exec, exec, s[8:9]
.LBB881_682:
	s_or_b64 exec, exec, s[2:3]
.LBB881_683:
	s_or_b64 exec, exec, s[0:1]
	s_mov_b32 s0, 0xffffff
	v_cmp_lt_u32_e32 vcc, s0, v9
	s_and_saveexec_b64 s[0:1], vcc
	s_cbranch_execz .LBB881_689
; %bb.684:
	v_lshrrev_b32_e32 v6, 24, v9
	s_movk_i32 s2, 0x80
	v_cmp_ne_u32_e32 vcc, s2, v6
	v_mov_b32_e32 v18, 0xffff8000
	s_and_saveexec_b64 s[2:3], vcc
	s_cbranch_execz .LBB881_688
; %bb.685:
	v_bfe_u32 v9, v9, 24, 7
	s_movk_i32 s7, 0x7f
	v_cmp_ne_u32_e32 vcc, s7, v9
	v_mov_b32_e32 v18, 0x7f80
	s_and_saveexec_b64 s[8:9], vcc
	s_cbranch_execz .LBB881_687
; %bb.686:
	v_and_b32_e32 v18, 7, v6
	v_ffbh_u32_e32 v20, v18
	v_min_u32_e32 v24, 32, v20
	v_subrev_u32_e32 v20, 28, v24
	v_lshlrev_b64 v[20:21], v20, v[6:7]
	v_lshrrev_b32_e32 v23, 3, v9
	v_sub_u32_e32 v21, 29, v24
	v_and_b32_e32 v20, 7, v20
	v_cmp_gt_u32_e32 vcc, 8, v9
	v_cndmask_b32_e32 v9, v23, v21, vcc
	v_cndmask_b32_e32 v18, v18, v20, vcc
	v_lshlrev_b32_e32 v6, 24, v6
	v_bfrev_b32_e32 v20, 60
	v_lshlrev_b32_e32 v18, 20, v18
	v_and_b32_e32 v6, 0x80000000, v6
	v_lshl_add_u32 v9, v9, 23, v20
	v_or3_b32 v6, v6, v9, v18
	v_lshrrev_b32_e32 v18, 16, v6
.LBB881_687:
	s_or_b64 exec, exec, s[8:9]
.LBB881_688:
	s_or_b64 exec, exec, s[2:3]
.LBB881_689:
	s_or_b64 exec, exec, s[0:1]
	s_mov_b32 s0, 0x5040100
	v_perm_b32 v15, v15, v16, s0
	v_perm_b32 v14, v7, v14, s0
	ds_read_b128 v[28:31], v22 offset:4112
	v_perm_b32 v7, v18, v19, s0
	v_perm_b32 v6, v8, v17, s0
	s_waitcnt lgkmcnt(0)
	v_mfma_f32_16x16x16bf16_1k v[32:35], v[14:15], v[28:29], v[10:13]
	s_nop 6
	v_mov_b32_e32 v11, 0
	s_waitcnt vmcnt(0)
	v_cmp_ne_u16_sdwa s[2:3], v2, v11 src0_sel:BYTE_0 src1_sel:DWORD
	v_mfma_f32_16x16x16bf16_1k v[6:9], v[6:7], v[30:31], v[32:35]
	v_mov_b32_e32 v12, 0
	s_and_saveexec_b64 s[0:1], s[2:3]
	s_cbranch_execz .LBB881_695
; %bb.690:
	s_movk_i32 s2, 0x80
	v_cmp_ne_u16_sdwa s[8:9], v2, s2 src0_sel:BYTE_0 src1_sel:DWORD
	v_mov_b32_e32 v12, 0xffff8000
	s_and_saveexec_b64 s[2:3], s[8:9]
	s_cbranch_execz .LBB881_694
; %bb.691:
	s_movk_i32 s7, 0x7f
	v_and_b32_e32 v10, 0x7f, v2
	v_cmp_ne_u32_e32 vcc, s7, v10
	v_mov_b32_e32 v12, 0x7f80
	s_and_saveexec_b64 s[8:9], vcc
	s_cbranch_execz .LBB881_693
; %bb.692:
	v_and_b32_e32 v14, 7, v2
	v_ffbh_u32_e32 v12, v14
	v_min_u32_e32 v16, 32, v12
	v_subrev_u32_e32 v12, 28, v16
	v_lshlrev_b64 v[12:13], v12, v[2:3]
	v_lshrrev_b32_e32 v15, 3, v10
	v_sub_u32_e32 v13, 29, v16
	v_and_b32_e32 v12, 7, v12
	v_cmp_gt_u32_e32 vcc, 8, v10
	v_cndmask_b32_e32 v10, v15, v13, vcc
	v_cndmask_b32_e32 v12, v14, v12, vcc
	v_lshlrev_b32_e32 v13, 24, v2
	v_bfrev_b32_e32 v14, 60
	v_lshlrev_b32_e32 v12, 20, v12
	v_and_b32_e32 v13, 0x80000000, v13
	v_lshl_add_u32 v10, v10, 23, v14
	v_or3_b32 v10, v13, v10, v12
	v_lshrrev_b32_e32 v12, 16, v10
.LBB881_693:
	s_or_b64 exec, exec, s[8:9]
.LBB881_694:
	s_or_b64 exec, exec, s[2:3]
.LBB881_695:
	s_or_b64 exec, exec, s[0:1]
	v_lshrrev_b16_e32 v10, 8, v2
	v_cmp_ne_u16_e32 vcc, 0, v10
	s_and_saveexec_b64 s[0:1], vcc
	s_cbranch_execz .LBB881_701
; %bb.696:
	s_movk_i32 s2, 0x80
	v_cmp_ne_u16_e32 vcc, s2, v10
	v_mov_b32_e32 v11, 0xffff8000
	s_and_saveexec_b64 s[2:3], vcc
	s_cbranch_execz .LBB881_700
; %bb.697:
	s_movk_i32 s7, 0x7f
	v_and_b32_e32 v13, 0x7f, v10
	v_cmp_ne_u32_e32 vcc, s7, v13
	v_mov_b32_e32 v11, 0x7f80
	s_and_saveexec_b64 s[8:9], vcc
	s_cbranch_execz .LBB881_699
; %bb.698:
	v_and_b32_e32 v14, 7, v10
	v_ffbh_u32_e32 v11, v14
	v_min_u32_e32 v16, 32, v11
	v_subrev_u32_e32 v11, 28, v16
	v_lshlrev_b64 v[10:11], v11, v[10:11]
	v_lshrrev_b32_e32 v15, 3, v13
	v_sub_u32_e32 v11, 29, v16
	v_and_b32_e32 v10, 7, v10
	v_cmp_gt_u32_e32 vcc, 8, v13
	v_cndmask_b32_e32 v11, v15, v11, vcc
	v_cndmask_b32_e32 v10, v14, v10, vcc
	v_lshlrev_b32_e32 v13, 16, v2
	v_bfrev_b32_e32 v14, 60
	v_lshlrev_b32_e32 v10, 20, v10
	v_and_b32_e32 v13, 0x80000000, v13
	v_lshl_add_u32 v11, v11, 23, v14
	v_or3_b32 v10, v13, v11, v10
	v_lshrrev_b32_e32 v11, 16, v10
.LBB881_699:
	s_or_b64 exec, exec, s[8:9]
.LBB881_700:
	s_or_b64 exec, exec, s[2:3]
.LBB881_701:
	s_or_b64 exec, exec, s[0:1]
	s_movk_i32 s0, 0xff
	v_and_b32_sdwa v15, v2, s0 dst_sel:DWORD dst_unused:UNUSED_PAD src0_sel:WORD_1 src1_sel:DWORD
	v_lshrrev_b32_e32 v10, 16, v2
	v_cmp_ne_u16_e32 vcc, 0, v15
	v_mov_b32_e32 v13, 0
	v_mov_b32_e32 v14, 0
	s_and_saveexec_b64 s[0:1], vcc
	s_cbranch_execz .LBB881_707
; %bb.702:
	s_movk_i32 s2, 0x80
	v_cmp_ne_u16_e32 vcc, s2, v15
	v_mov_b32_e32 v14, 0xffff8000
	s_and_saveexec_b64 s[2:3], vcc
	s_cbranch_execz .LBB881_706
; %bb.703:
	v_bfe_u32 v15, v2, 16, 7
	s_movk_i32 s7, 0x7f
	v_cmp_ne_u32_e32 vcc, s7, v15
	v_mov_b32_e32 v14, 0x7f80
	s_and_saveexec_b64 s[8:9], vcc
	s_cbranch_execz .LBB881_705
; %bb.704:
	v_and_b32_e32 v14, 7, v10
	v_ffbh_u32_e32 v16, v14
	v_min_u32_e32 v19, 32, v16
	v_subrev_u32_e32 v16, 28, v19
	v_lshlrev_b64 v[16:17], v16, v[10:11]
	v_lshrrev_b32_e32 v18, 3, v15
	v_sub_u32_e32 v10, 29, v19
	v_and_b32_e32 v16, 7, v16
	v_cmp_gt_u32_e32 vcc, 8, v15
	v_mov_b32_e32 v15, 24
	v_cndmask_b32_e32 v10, v18, v10, vcc
	v_cndmask_b32_e32 v14, v14, v16, vcc
	v_lshlrev_b32_sdwa v15, v15, v2 dst_sel:DWORD dst_unused:UNUSED_PAD src0_sel:DWORD src1_sel:WORD_1
	v_bfrev_b32_e32 v16, 60
	v_lshlrev_b32_e32 v14, 20, v14
	v_and_b32_e32 v15, 0x80000000, v15
	v_lshl_add_u32 v10, v10, 23, v16
	v_or3_b32 v10, v15, v10, v14
	v_lshrrev_b32_e32 v14, 16, v10
.LBB881_705:
	s_or_b64 exec, exec, s[8:9]
.LBB881_706:
	s_or_b64 exec, exec, s[2:3]
.LBB881_707:
	s_or_b64 exec, exec, s[0:1]
	s_mov_b32 s0, 0xffffff
	v_cmp_lt_u32_e32 vcc, s0, v2
	s_and_saveexec_b64 s[0:1], vcc
	s_cbranch_execz .LBB881_713
; %bb.708:
	v_lshrrev_b32_e32 v10, 24, v2
	s_movk_i32 s2, 0x80
	v_cmp_ne_u32_e32 vcc, s2, v10
	v_mov_b32_e32 v13, 0xffff8000
	s_and_saveexec_b64 s[2:3], vcc
	s_cbranch_execz .LBB881_712
; %bb.709:
	v_bfe_u32 v2, v2, 24, 7
	s_movk_i32 s7, 0x7f
	v_cmp_ne_u32_e32 vcc, s7, v2
	v_mov_b32_e32 v13, 0x7f80
	s_and_saveexec_b64 s[8:9], vcc
	s_cbranch_execz .LBB881_711
; %bb.710:
	v_and_b32_e32 v13, 7, v10
	v_ffbh_u32_e32 v16, v13
	v_min_u32_e32 v18, 32, v16
	v_subrev_u32_e32 v16, 28, v18
	v_lshlrev_b64 v[16:17], v16, v[10:11]
	v_lshrrev_b32_e32 v15, 3, v2
	v_sub_u32_e32 v17, 29, v18
	v_and_b32_e32 v16, 7, v16
	v_cmp_gt_u32_e32 vcc, 8, v2
	v_cndmask_b32_e32 v2, v15, v17, vcc
	v_cndmask_b32_e32 v13, v13, v16, vcc
	v_lshlrev_b32_e32 v10, 24, v10
	v_bfrev_b32_e32 v15, 60
	v_lshlrev_b32_e32 v13, 20, v13
	v_and_b32_e32 v10, 0x80000000, v10
	v_lshl_add_u32 v2, v2, 23, v15
	v_or3_b32 v2, v10, v2, v13
	v_lshrrev_b32_e32 v13, 16, v2
.LBB881_711:
	s_or_b64 exec, exec, s[8:9]
.LBB881_712:
	s_or_b64 exec, exec, s[2:3]
.LBB881_713:
	s_or_b64 exec, exec, s[0:1]
	v_mov_b32_e32 v10, 0
	v_cmp_ne_u16_sdwa s[2:3], v3, v10 src0_sel:BYTE_0 src1_sel:DWORD
	v_mov_b32_e32 v15, 0
	s_and_saveexec_b64 s[0:1], s[2:3]
	s_cbranch_execz .LBB881_719
; %bb.714:
	s_movk_i32 s2, 0x80
	v_cmp_ne_u16_sdwa s[8:9], v3, s2 src0_sel:BYTE_0 src1_sel:DWORD
	v_mov_b32_e32 v15, 0xffff8000
	s_and_saveexec_b64 s[2:3], s[8:9]
	s_cbranch_execz .LBB881_718
; %bb.715:
	s_movk_i32 s7, 0x7f
	v_and_b32_e32 v2, 0x7f, v3
	v_cmp_ne_u32_e32 vcc, s7, v2
	v_mov_b32_e32 v15, 0x7f80
	s_and_saveexec_b64 s[8:9], vcc
	s_cbranch_execz .LBB881_717
; %bb.716:
	v_and_b32_e32 v15, 7, v3
	v_ffbh_u32_e32 v17, v15
	v_min_u32_e32 v19, 32, v17
	v_mov_b32_e32 v16, v3
	v_subrev_u32_e32 v17, 28, v19
	v_lshlrev_b64 v[16:17], v17, v[16:17]
	v_lshrrev_b32_e32 v18, 3, v2
	v_sub_u32_e32 v17, 29, v19
	v_and_b32_e32 v16, 7, v16
	v_cmp_gt_u32_e32 vcc, 8, v2
	v_cndmask_b32_e32 v2, v18, v17, vcc
	v_cndmask_b32_e32 v15, v15, v16, vcc
	v_lshlrev_b32_e32 v16, 24, v3
	v_bfrev_b32_e32 v17, 60
	v_lshlrev_b32_e32 v15, 20, v15
	v_and_b32_e32 v16, 0x80000000, v16
	v_lshl_add_u32 v2, v2, 23, v17
	v_or3_b32 v2, v16, v2, v15
	v_lshrrev_b32_e32 v15, 16, v2
.LBB881_717:
	s_or_b64 exec, exec, s[8:9]
.LBB881_718:
	s_or_b64 exec, exec, s[2:3]
.LBB881_719:
	s_or_b64 exec, exec, s[0:1]
	v_lshrrev_b16_e32 v2, 8, v3
	v_cmp_ne_u16_e32 vcc, 0, v2
	s_and_saveexec_b64 s[0:1], vcc
	s_cbranch_execz .LBB881_725
; %bb.720:
	s_movk_i32 s2, 0x80
	v_cmp_ne_u16_e32 vcc, s2, v2
	v_mov_b32_e32 v10, 0xffff8000
	s_and_saveexec_b64 s[2:3], vcc
	s_cbranch_execz .LBB881_724
; %bb.721:
	s_movk_i32 s7, 0x7f
	v_and_b32_e32 v16, 0x7f, v2
	v_cmp_ne_u32_e32 vcc, s7, v16
	v_mov_b32_e32 v10, 0x7f80
	s_and_saveexec_b64 s[8:9], vcc
	s_cbranch_execz .LBB881_723
; %bb.722:
	v_and_b32_e32 v10, 7, v2
	v_ffbh_u32_e32 v18, v10
	v_min_u32_e32 v20, 32, v18
	v_subrev_u32_e32 v18, 28, v20
	v_lshlrev_b64 v[18:19], v18, v[2:3]
	v_lshrrev_b32_e32 v17, 3, v16
	v_sub_u32_e32 v2, 29, v20
	v_and_b32_e32 v18, 7, v18
	v_cmp_gt_u32_e32 vcc, 8, v16
	v_cndmask_b32_e32 v2, v17, v2, vcc
	v_cndmask_b32_e32 v10, v10, v18, vcc
	v_lshlrev_b32_e32 v16, 16, v3
	v_bfrev_b32_e32 v17, 60
	v_lshlrev_b32_e32 v10, 20, v10
	v_and_b32_e32 v16, 0x80000000, v16
	v_lshl_add_u32 v2, v2, 23, v17
	v_or3_b32 v2, v16, v2, v10
	v_lshrrev_b32_e32 v10, 16, v2
.LBB881_723:
	s_or_b64 exec, exec, s[8:9]
.LBB881_724:
	s_or_b64 exec, exec, s[2:3]
.LBB881_725:
	s_or_b64 exec, exec, s[0:1]
	s_movk_i32 s0, 0xff
	v_and_b32_sdwa v18, v3, s0 dst_sel:DWORD dst_unused:UNUSED_PAD src0_sel:WORD_1 src1_sel:DWORD
	v_lshrrev_b32_e32 v2, 16, v3
	v_cmp_ne_u16_e32 vcc, 0, v18
	v_mov_b32_e32 v16, 0
	v_mov_b32_e32 v17, 0
	s_and_saveexec_b64 s[0:1], vcc
	s_cbranch_execz .LBB881_731
; %bb.726:
	s_movk_i32 s2, 0x80
	v_cmp_ne_u16_e32 vcc, s2, v18
	v_mov_b32_e32 v17, 0xffff8000
	s_and_saveexec_b64 s[2:3], vcc
	s_cbranch_execz .LBB881_730
; %bb.727:
	v_bfe_u32 v18, v3, 16, 7
	s_movk_i32 s7, 0x7f
	v_cmp_ne_u32_e32 vcc, s7, v18
	v_mov_b32_e32 v17, 0x7f80
	s_and_saveexec_b64 s[8:9], vcc
	s_cbranch_execz .LBB881_729
; %bb.728:
	v_and_b32_e32 v17, 7, v2
	v_ffbh_u32_e32 v20, v17
	v_min_u32_e32 v23, 32, v20
	v_subrev_u32_e32 v20, 28, v23
	v_lshlrev_b64 v[20:21], v20, v[2:3]
	v_lshrrev_b32_e32 v19, 3, v18
	v_sub_u32_e32 v2, 29, v23
	v_and_b32_e32 v20, 7, v20
	v_cmp_gt_u32_e32 vcc, 8, v18
	v_mov_b32_e32 v18, 24
	v_cndmask_b32_e32 v2, v19, v2, vcc
	v_cndmask_b32_e32 v17, v17, v20, vcc
	v_lshlrev_b32_sdwa v18, v18, v3 dst_sel:DWORD dst_unused:UNUSED_PAD src0_sel:DWORD src1_sel:WORD_1
	v_bfrev_b32_e32 v19, 60
	v_lshlrev_b32_e32 v17, 20, v17
	v_and_b32_e32 v18, 0x80000000, v18
	v_lshl_add_u32 v2, v2, 23, v19
	v_or3_b32 v2, v18, v2, v17
	v_lshrrev_b32_e32 v17, 16, v2
.LBB881_729:
	s_or_b64 exec, exec, s[8:9]
.LBB881_730:
	s_or_b64 exec, exec, s[2:3]
.LBB881_731:
	s_or_b64 exec, exec, s[0:1]
	s_mov_b32 s0, 0xffffff
	v_cmp_lt_u32_e32 vcc, s0, v3
	s_and_saveexec_b64 s[0:1], vcc
	s_cbranch_execz .LBB881_737
; %bb.732:
	v_lshrrev_b32_e32 v2, 24, v3
	s_movk_i32 s2, 0x80
	v_cmp_ne_u32_e32 vcc, s2, v2
	v_mov_b32_e32 v16, 0xffff8000
	s_and_saveexec_b64 s[2:3], vcc
	s_cbranch_execz .LBB881_736
; %bb.733:
	v_bfe_u32 v3, v3, 24, 7
	s_movk_i32 s7, 0x7f
	v_cmp_ne_u32_e32 vcc, s7, v3
	v_mov_b32_e32 v16, 0x7f80
	s_and_saveexec_b64 s[8:9], vcc
	s_cbranch_execz .LBB881_735
; %bb.734:
	v_and_b32_e32 v16, 7, v2
	v_ffbh_u32_e32 v18, v16
	v_min_u32_e32 v21, 32, v18
	v_subrev_u32_e32 v18, 28, v21
	v_lshlrev_b64 v[18:19], v18, v[2:3]
	v_lshrrev_b32_e32 v20, 3, v3
	v_sub_u32_e32 v19, 29, v21
	v_and_b32_e32 v18, 7, v18
	v_cmp_gt_u32_e32 vcc, 8, v3
	v_cndmask_b32_e32 v3, v20, v19, vcc
	v_cndmask_b32_e32 v16, v16, v18, vcc
	v_lshlrev_b32_e32 v2, 24, v2
	v_bfrev_b32_e32 v18, 60
	v_lshlrev_b32_e32 v16, 20, v16
	v_and_b32_e32 v2, 0x80000000, v2
	v_lshl_add_u32 v3, v3, 23, v18
	v_or3_b32 v2, v2, v3, v16
	v_lshrrev_b32_e32 v16, 16, v2
.LBB881_735:
	s_or_b64 exec, exec, s[8:9]
.LBB881_736:
	s_or_b64 exec, exec, s[2:3]
.LBB881_737:
	s_or_b64 exec, exec, s[0:1]
	s_mov_b32 s0, 0x5040100
	v_perm_b32 v3, v13, v14, s0
	v_perm_b32 v2, v11, v12, s0
	ds_read_b128 v[18:21], v22 offset:6144
	v_perm_b32 v13, v16, v17, s0
	v_perm_b32 v12, v10, v15, s0
	s_waitcnt lgkmcnt(0)
	v_mfma_f32_16x16x16bf16_1k v[6:9], v[2:3], v[18:19], v[6:9]
	v_mov_b32_e32 v3, 0
	v_cmp_ne_u16_sdwa s[2:3], v4, v3 src0_sel:BYTE_0 src1_sel:DWORD
	v_mov_b32_e32 v10, 0
	v_mfma_f32_16x16x16bf16_1k v[6:9], v[12:13], v[20:21], v[6:9]
	s_and_saveexec_b64 s[0:1], s[2:3]
	s_cbranch_execz .LBB881_743
; %bb.738:
	s_movk_i32 s2, 0x80
	v_cmp_ne_u16_sdwa s[8:9], v4, s2 src0_sel:BYTE_0 src1_sel:DWORD
	v_mov_b32_e32 v10, 0xffff8000
	s_and_saveexec_b64 s[2:3], s[8:9]
	s_cbranch_execz .LBB881_742
; %bb.739:
	s_movk_i32 s7, 0x7f
	v_and_b32_e32 v2, 0x7f, v4
	v_cmp_ne_u32_e32 vcc, s7, v2
	v_mov_b32_e32 v10, 0x7f80
	s_and_saveexec_b64 s[8:9], vcc
	s_cbranch_execz .LBB881_741
; %bb.740:
	v_and_b32_e32 v12, 7, v4
	v_ffbh_u32_e32 v10, v12
	v_min_u32_e32 v14, 32, v10
	v_subrev_u32_e32 v10, 28, v14
	v_lshlrev_b64 v[10:11], v10, v[4:5]
	v_lshrrev_b32_e32 v13, 3, v2
	v_sub_u32_e32 v11, 29, v14
	v_and_b32_e32 v10, 7, v10
	v_cmp_gt_u32_e32 vcc, 8, v2
	v_cndmask_b32_e32 v2, v13, v11, vcc
	v_cndmask_b32_e32 v10, v12, v10, vcc
	v_lshlrev_b32_e32 v11, 24, v4
	v_bfrev_b32_e32 v12, 60
	v_lshlrev_b32_e32 v10, 20, v10
	v_and_b32_e32 v11, 0x80000000, v11
	v_lshl_add_u32 v2, v2, 23, v12
	v_or3_b32 v2, v11, v2, v10
	v_lshrrev_b32_e32 v10, 16, v2
.LBB881_741:
	s_or_b64 exec, exec, s[8:9]
.LBB881_742:
	s_or_b64 exec, exec, s[2:3]
.LBB881_743:
	s_or_b64 exec, exec, s[0:1]
	v_lshrrev_b16_e32 v2, 8, v4
	v_cmp_ne_u16_e32 vcc, 0, v2
	s_and_saveexec_b64 s[0:1], vcc
	s_cbranch_execz .LBB881_749
; %bb.744:
	s_movk_i32 s2, 0x80
	v_cmp_ne_u16_e32 vcc, s2, v2
	v_mov_b32_e32 v3, 0xffff8000
	s_and_saveexec_b64 s[2:3], vcc
	s_cbranch_execz .LBB881_748
; %bb.745:
	s_movk_i32 s7, 0x7f
	v_and_b32_e32 v11, 0x7f, v2
	v_cmp_ne_u32_e32 vcc, s7, v11
	v_mov_b32_e32 v3, 0x7f80
	s_and_saveexec_b64 s[8:9], vcc
	s_cbranch_execz .LBB881_747
; %bb.746:
	v_and_b32_e32 v12, 7, v2
	v_ffbh_u32_e32 v3, v12
	v_min_u32_e32 v14, 32, v3
	v_subrev_u32_e32 v3, 28, v14
	v_lshlrev_b64 v[2:3], v3, v[2:3]
	v_lshrrev_b32_e32 v13, 3, v11
	v_sub_u32_e32 v3, 29, v14
	v_and_b32_e32 v2, 7, v2
	v_cmp_gt_u32_e32 vcc, 8, v11
	v_cndmask_b32_e32 v3, v13, v3, vcc
	v_cndmask_b32_e32 v2, v12, v2, vcc
	v_lshlrev_b32_e32 v11, 16, v4
	v_bfrev_b32_e32 v12, 60
	v_lshlrev_b32_e32 v2, 20, v2
	v_and_b32_e32 v11, 0x80000000, v11
	v_lshl_add_u32 v3, v3, 23, v12
	v_or3_b32 v2, v11, v3, v2
	v_lshrrev_b32_e32 v3, 16, v2
.LBB881_747:
	s_or_b64 exec, exec, s[8:9]
.LBB881_748:
	s_or_b64 exec, exec, s[2:3]
.LBB881_749:
	s_or_b64 exec, exec, s[0:1]
	s_movk_i32 s0, 0xff
	v_and_b32_sdwa v13, v4, s0 dst_sel:DWORD dst_unused:UNUSED_PAD src0_sel:WORD_1 src1_sel:DWORD
	v_lshrrev_b32_e32 v2, 16, v4
	v_cmp_ne_u16_e32 vcc, 0, v13
	v_mov_b32_e32 v11, 0
	v_mov_b32_e32 v12, 0
	s_and_saveexec_b64 s[0:1], vcc
	s_cbranch_execz .LBB881_755
; %bb.750:
	s_movk_i32 s2, 0x80
	v_cmp_ne_u16_e32 vcc, s2, v13
	v_mov_b32_e32 v12, 0xffff8000
	s_and_saveexec_b64 s[2:3], vcc
	s_cbranch_execz .LBB881_754
; %bb.751:
	v_bfe_u32 v13, v4, 16, 7
	s_movk_i32 s7, 0x7f
	v_cmp_ne_u32_e32 vcc, s7, v13
	v_mov_b32_e32 v12, 0x7f80
	s_and_saveexec_b64 s[8:9], vcc
	s_cbranch_execz .LBB881_753
; %bb.752:
	v_and_b32_e32 v12, 7, v2
	v_ffbh_u32_e32 v14, v12
	v_min_u32_e32 v17, 32, v14
	v_subrev_u32_e32 v14, 28, v17
	v_lshlrev_b64 v[14:15], v14, v[2:3]
	v_lshrrev_b32_e32 v16, 3, v13
	v_sub_u32_e32 v2, 29, v17
	v_and_b32_e32 v14, 7, v14
	v_cmp_gt_u32_e32 vcc, 8, v13
	v_mov_b32_e32 v13, 24
	v_cndmask_b32_e32 v2, v16, v2, vcc
	v_cndmask_b32_e32 v12, v12, v14, vcc
	v_lshlrev_b32_sdwa v13, v13, v4 dst_sel:DWORD dst_unused:UNUSED_PAD src0_sel:DWORD src1_sel:WORD_1
	v_bfrev_b32_e32 v14, 60
	v_lshlrev_b32_e32 v12, 20, v12
	v_and_b32_e32 v13, 0x80000000, v13
	v_lshl_add_u32 v2, v2, 23, v14
	v_or3_b32 v2, v13, v2, v12
	v_lshrrev_b32_e32 v12, 16, v2
.LBB881_753:
	s_or_b64 exec, exec, s[8:9]
.LBB881_754:
	s_or_b64 exec, exec, s[2:3]
.LBB881_755:
	s_or_b64 exec, exec, s[0:1]
	s_mov_b32 s0, 0xffffff
	v_cmp_lt_u32_e32 vcc, s0, v4
	s_and_saveexec_b64 s[0:1], vcc
	s_cbranch_execz .LBB881_761
; %bb.756:
	v_lshrrev_b32_e32 v2, 24, v4
	s_movk_i32 s2, 0x80
	v_cmp_ne_u32_e32 vcc, s2, v2
	v_mov_b32_e32 v11, 0xffff8000
	s_and_saveexec_b64 s[2:3], vcc
	s_cbranch_execz .LBB881_760
; %bb.757:
	v_bfe_u32 v4, v4, 24, 7
	s_movk_i32 s7, 0x7f
	v_cmp_ne_u32_e32 vcc, s7, v4
	v_mov_b32_e32 v11, 0x7f80
	s_and_saveexec_b64 s[8:9], vcc
	s_cbranch_execz .LBB881_759
; %bb.758:
	v_and_b32_e32 v11, 7, v2
	v_ffbh_u32_e32 v14, v11
	v_min_u32_e32 v16, 32, v14
	v_subrev_u32_e32 v14, 28, v16
	v_lshlrev_b64 v[14:15], v14, v[2:3]
	v_lshrrev_b32_e32 v13, 3, v4
	v_sub_u32_e32 v15, 29, v16
	v_and_b32_e32 v14, 7, v14
	v_cmp_gt_u32_e32 vcc, 8, v4
	v_cndmask_b32_e32 v4, v13, v15, vcc
	v_cndmask_b32_e32 v11, v11, v14, vcc
	v_lshlrev_b32_e32 v2, 24, v2
	v_bfrev_b32_e32 v13, 60
	v_lshlrev_b32_e32 v11, 20, v11
	v_and_b32_e32 v2, 0x80000000, v2
	v_lshl_add_u32 v4, v4, 23, v13
	v_or3_b32 v2, v2, v4, v11
	v_lshrrev_b32_e32 v11, 16, v2
.LBB881_759:
	s_or_b64 exec, exec, s[8:9]
.LBB881_760:
	s_or_b64 exec, exec, s[2:3]
.LBB881_761:
	s_or_b64 exec, exec, s[0:1]
	v_mov_b32_e32 v4, 0
	v_cmp_ne_u16_sdwa s[2:3], v5, v4 src0_sel:BYTE_0 src1_sel:DWORD
	v_mov_b32_e32 v13, 0
	s_and_saveexec_b64 s[0:1], s[2:3]
	s_cbranch_execz .LBB881_767
; %bb.762:
	s_movk_i32 s2, 0x80
	v_cmp_ne_u16_sdwa s[8:9], v5, s2 src0_sel:BYTE_0 src1_sel:DWORD
	v_mov_b32_e32 v13, 0xffff8000
	s_and_saveexec_b64 s[2:3], s[8:9]
	s_cbranch_execz .LBB881_766
; %bb.763:
	s_movk_i32 s7, 0x7f
	v_and_b32_e32 v2, 0x7f, v5
	v_cmp_ne_u32_e32 vcc, s7, v2
	v_mov_b32_e32 v13, 0x7f80
	s_and_saveexec_b64 s[8:9], vcc
	s_cbranch_execz .LBB881_765
; %bb.764:
	v_and_b32_e32 v13, 7, v5
	v_ffbh_u32_e32 v15, v13
	v_min_u32_e32 v17, 32, v15
	v_mov_b32_e32 v14, v5
	v_subrev_u32_e32 v15, 28, v17
	v_lshlrev_b64 v[14:15], v15, v[14:15]
	v_lshrrev_b32_e32 v16, 3, v2
	v_sub_u32_e32 v15, 29, v17
	v_and_b32_e32 v14, 7, v14
	v_cmp_gt_u32_e32 vcc, 8, v2
	v_cndmask_b32_e32 v2, v16, v15, vcc
	v_cndmask_b32_e32 v13, v13, v14, vcc
	v_lshlrev_b32_e32 v14, 24, v5
	v_bfrev_b32_e32 v15, 60
	v_lshlrev_b32_e32 v13, 20, v13
	v_and_b32_e32 v14, 0x80000000, v14
	v_lshl_add_u32 v2, v2, 23, v15
	v_or3_b32 v2, v14, v2, v13
	v_lshrrev_b32_e32 v13, 16, v2
.LBB881_765:
	s_or_b64 exec, exec, s[8:9]
.LBB881_766:
	s_or_b64 exec, exec, s[2:3]
.LBB881_767:
	s_or_b64 exec, exec, s[0:1]
	v_lshrrev_b16_e32 v2, 8, v5
	v_cmp_ne_u16_e32 vcc, 0, v2
	s_and_saveexec_b64 s[0:1], vcc
	s_cbranch_execz .LBB881_773
; %bb.768:
	s_movk_i32 s2, 0x80
	v_cmp_ne_u16_e32 vcc, s2, v2
	v_mov_b32_e32 v4, 0xffff8000
	s_and_saveexec_b64 s[2:3], vcc
	s_cbranch_execz .LBB881_772
; %bb.769:
	s_movk_i32 s7, 0x7f
	v_and_b32_e32 v14, 0x7f, v2
	v_cmp_ne_u32_e32 vcc, s7, v14
	v_mov_b32_e32 v4, 0x7f80
	s_and_saveexec_b64 s[8:9], vcc
	s_cbranch_execz .LBB881_771
; %bb.770:
	v_and_b32_e32 v4, 7, v2
	v_ffbh_u32_e32 v16, v4
	v_min_u32_e32 v18, 32, v16
	v_subrev_u32_e32 v16, 28, v18
	v_lshlrev_b64 v[16:17], v16, v[2:3]
	v_lshrrev_b32_e32 v15, 3, v14
	v_sub_u32_e32 v2, 29, v18
	v_and_b32_e32 v16, 7, v16
	v_cmp_gt_u32_e32 vcc, 8, v14
	v_cndmask_b32_e32 v2, v15, v2, vcc
	v_cndmask_b32_e32 v4, v4, v16, vcc
	v_lshlrev_b32_e32 v14, 16, v5
	v_bfrev_b32_e32 v15, 60
	v_lshlrev_b32_e32 v4, 20, v4
	v_and_b32_e32 v14, 0x80000000, v14
	v_lshl_add_u32 v2, v2, 23, v15
	v_or3_b32 v2, v14, v2, v4
	v_lshrrev_b32_e32 v4, 16, v2
.LBB881_771:
	s_or_b64 exec, exec, s[8:9]
.LBB881_772:
	s_or_b64 exec, exec, s[2:3]
.LBB881_773:
	s_or_b64 exec, exec, s[0:1]
	s_movk_i32 s0, 0xff
	v_and_b32_sdwa v16, v5, s0 dst_sel:DWORD dst_unused:UNUSED_PAD src0_sel:WORD_1 src1_sel:DWORD
	v_lshrrev_b32_e32 v2, 16, v5
	v_cmp_ne_u16_e32 vcc, 0, v16
	v_mov_b32_e32 v14, 0
	v_mov_b32_e32 v15, 0
	s_and_saveexec_b64 s[0:1], vcc
	s_cbranch_execz .LBB881_779
; %bb.774:
	s_movk_i32 s2, 0x80
	v_cmp_ne_u16_e32 vcc, s2, v16
	v_mov_b32_e32 v15, 0xffff8000
	s_and_saveexec_b64 s[2:3], vcc
	s_cbranch_execz .LBB881_778
; %bb.775:
	v_bfe_u32 v16, v5, 16, 7
	s_movk_i32 s7, 0x7f
	v_cmp_ne_u32_e32 vcc, s7, v16
	v_mov_b32_e32 v15, 0x7f80
	s_and_saveexec_b64 s[8:9], vcc
	s_cbranch_execz .LBB881_777
; %bb.776:
	v_and_b32_e32 v15, 7, v2
	v_ffbh_u32_e32 v18, v15
	v_min_u32_e32 v20, 32, v18
	v_subrev_u32_e32 v18, 28, v20
	v_lshlrev_b64 v[18:19], v18, v[2:3]
	v_lshrrev_b32_e32 v17, 3, v16
	v_sub_u32_e32 v2, 29, v20
	v_and_b32_e32 v18, 7, v18
	v_cmp_gt_u32_e32 vcc, 8, v16
	v_mov_b32_e32 v16, 24
	v_cndmask_b32_e32 v2, v17, v2, vcc
	v_cndmask_b32_e32 v15, v15, v18, vcc
	v_lshlrev_b32_sdwa v16, v16, v5 dst_sel:DWORD dst_unused:UNUSED_PAD src0_sel:DWORD src1_sel:WORD_1
	v_bfrev_b32_e32 v17, 60
	v_lshlrev_b32_e32 v15, 20, v15
	v_and_b32_e32 v16, 0x80000000, v16
	v_lshl_add_u32 v2, v2, 23, v17
	v_or3_b32 v2, v16, v2, v15
	v_lshrrev_b32_e32 v15, 16, v2
.LBB881_777:
	s_or_b64 exec, exec, s[8:9]
.LBB881_778:
	s_or_b64 exec, exec, s[2:3]
.LBB881_779:
	s_or_b64 exec, exec, s[0:1]
	s_mov_b32 s0, 0xffffff
	v_cmp_lt_u32_e32 vcc, s0, v5
	s_and_saveexec_b64 s[0:1], vcc
	s_cbranch_execz .LBB881_785
; %bb.780:
	v_lshrrev_b32_e32 v2, 24, v5
	s_movk_i32 s2, 0x80
	v_cmp_ne_u32_e32 vcc, s2, v2
	v_mov_b32_e32 v14, 0xffff8000
	s_and_saveexec_b64 s[2:3], vcc
	s_cbranch_execz .LBB881_784
; %bb.781:
	v_bfe_u32 v5, v5, 24, 7
	s_movk_i32 s7, 0x7f
	v_cmp_ne_u32_e32 vcc, s7, v5
	v_mov_b32_e32 v14, 0x7f80
	s_and_saveexec_b64 s[8:9], vcc
	s_cbranch_execz .LBB881_783
; %bb.782:
	v_and_b32_e32 v14, 7, v2
	v_ffbh_u32_e32 v16, v14
	v_min_u32_e32 v19, 32, v16
	v_subrev_u32_e32 v16, 28, v19
	v_lshlrev_b64 v[16:17], v16, v[2:3]
	v_lshrrev_b32_e32 v18, 3, v5
	v_sub_u32_e32 v17, 29, v19
	v_and_b32_e32 v16, 7, v16
	v_cmp_gt_u32_e32 vcc, 8, v5
	v_cndmask_b32_e32 v5, v18, v17, vcc
	v_cndmask_b32_e32 v14, v14, v16, vcc
	v_lshlrev_b32_e32 v2, 24, v2
	v_bfrev_b32_e32 v16, 60
	v_lshlrev_b32_e32 v14, 20, v14
	v_and_b32_e32 v2, 0x80000000, v2
	v_lshl_add_u32 v5, v5, 23, v16
	v_or3_b32 v2, v2, v5, v14
	v_lshrrev_b32_e32 v14, 16, v2
.LBB881_783:
	s_or_b64 exec, exec, s[8:9]
.LBB881_784:
	s_or_b64 exec, exec, s[2:3]
.LBB881_785:
	s_or_b64 exec, exec, s[0:1]
	s_mov_b32 s1, 0x5040100
	v_perm_b32 v11, v11, v12, s1
	ds_read_b128 v[16:19], v22 offset:6160
	v_perm_b32 v10, v3, v10, s1
	v_perm_b32 v3, v14, v15, s1
	;; [unrolled: 1-line block ×3, first 2 shown]
	s_waitcnt lgkmcnt(0)
	v_mfma_f32_16x16x16bf16_1k v[6:9], v[10:11], v[16:17], v[6:9]
	s_load_dword s0, s[42:43], 0x0
	s_mov_b32 s1, 0x7060302
	s_movk_i32 s2, 0x7fff
	s_waitcnt lgkmcnt(0)
	s_barrier
	v_mfma_f32_16x16x16bf16_1k v[2:5], v[2:3], v[18:19], v[6:9]
	s_nop 7
	s_nop 2
	v_pk_mul_f32 v[4:5], v[4:5], s[0:1] op_sel_hi:[1,0]
	v_pk_mul_f32 v[2:3], v[2:3], s[0:1] op_sel_hi:[1,0]
	v_bfe_u32 v6, v3, 16, 1
	v_bfe_u32 v7, v2, 16, 1
	;; [unrolled: 1-line block ×4, first 2 shown]
	v_add3_u32 v2, v2, v7, s2
	v_add3_u32 v3, v3, v6, s2
	;; [unrolled: 1-line block ×4, first 2 shown]
	v_perm_b32 v2, v3, v2, s1
	v_perm_b32 v3, v5, v4, s1
	ds_write_b64 v26, v[2:3]
	s_waitcnt lgkmcnt(0)
	s_barrier
	s_and_saveexec_b64 s[0:1], s[44:45]
	s_cbranch_execz .LBB881_787
; %bb.786:
	s_load_dwordx2 s[0:1], s[4:5], 0x68
	s_lshl_b32 s4, s46, 6
	s_mul_i32 s2, s10, s6
	s_mul_hi_u32 s3, s2, s4
	s_mul_i32 s2, s2, s4
	s_lshl_b64 s[2:3], s[2:3], 1
	s_waitcnt lgkmcnt(0)
	s_add_u32 s2, s0, s2
	v_lshlrev_b32_e32 v0, 10, v0
	s_addc_u32 s3, s1, s3
	s_lshl_b32 s0, s22, 6
	s_mov_b32 s1, 0
	v_and_b32_e32 v0, 0x1800, v0
	v_and_b32_e32 v2, 16, v48
	s_lshl_b64 s[0:1], s[0:1], 1
	v_or3_b32 v0, v0, v47, v2
	s_add_u32 s2, s2, s0
	ds_read_b128 v[2:5], v0
	s_addc_u32 s3, s3, s1
	v_mad_u64_u32 v[0:1], s[0:1], s4, v1, 0
	v_lshlrev_b64 v[0:1], 1, v[0:1]
	v_mov_b32_e32 v6, s3
	v_add_co_u32_e32 v0, vcc, s2, v0
	v_addc_co_u32_e32 v1, vcc, v6, v1, vcc
	v_add_co_u32_e32 v0, vcc, v0, v46
	v_addc_co_u32_e32 v1, vcc, 0, v1, vcc
	s_waitcnt lgkmcnt(0)
	global_store_dwordx4 v[0:1], v[2:5], off
.LBB881_787:
	s_endpgm
	.section	.rodata,"a",@progbits
	.p2align	6, 0x0
	.amdhsa_kernel _Z39paged_attention_ll4mi_QKV_mfma16_kernelI14__hip_bfloat16hLN4vllm18Fp8KVCacheDataTypeE1ES0_Li32ELi64ELi256ELb1ELi4EL8MFMAType0EEvPKT_PKT0_S9_ifPKiSB_SB_iPKfiiiPfSE_PS4_PT2_iSD_SD_
		.amdhsa_group_segment_fixed_size 8192
		.amdhsa_private_segment_fixed_size 0
		.amdhsa_kernarg_size 400
		.amdhsa_user_sgpr_count 6
		.amdhsa_user_sgpr_private_segment_buffer 1
		.amdhsa_user_sgpr_dispatch_ptr 0
		.amdhsa_user_sgpr_queue_ptr 0
		.amdhsa_user_sgpr_kernarg_segment_ptr 1
		.amdhsa_user_sgpr_dispatch_id 0
		.amdhsa_user_sgpr_flat_scratch_init 0
		.amdhsa_user_sgpr_kernarg_preload_length 0
		.amdhsa_user_sgpr_kernarg_preload_offset 0
		.amdhsa_user_sgpr_private_segment_size 0
		.amdhsa_uses_dynamic_stack 0
		.amdhsa_system_sgpr_private_segment_wavefront_offset 0
		.amdhsa_system_sgpr_workgroup_id_x 1
		.amdhsa_system_sgpr_workgroup_id_y 1
		.amdhsa_system_sgpr_workgroup_id_z 1
		.amdhsa_system_sgpr_workgroup_info 0
		.amdhsa_system_vgpr_workitem_id 0
		.amdhsa_next_free_vgpr 65
		.amdhsa_next_free_sgpr 48
		.amdhsa_accum_offset 68
		.amdhsa_reserve_vcc 1
		.amdhsa_reserve_flat_scratch 0
		.amdhsa_float_round_mode_32 0
		.amdhsa_float_round_mode_16_64 0
		.amdhsa_float_denorm_mode_32 3
		.amdhsa_float_denorm_mode_16_64 3
		.amdhsa_dx10_clamp 1
		.amdhsa_ieee_mode 1
		.amdhsa_fp16_overflow 0
		.amdhsa_tg_split 0
		.amdhsa_exception_fp_ieee_invalid_op 0
		.amdhsa_exception_fp_denorm_src 0
		.amdhsa_exception_fp_ieee_div_zero 0
		.amdhsa_exception_fp_ieee_overflow 0
		.amdhsa_exception_fp_ieee_underflow 0
		.amdhsa_exception_fp_ieee_inexact 0
		.amdhsa_exception_int_div_zero 0
	.end_amdhsa_kernel
	.section	.text._Z39paged_attention_ll4mi_QKV_mfma16_kernelI14__hip_bfloat16hLN4vllm18Fp8KVCacheDataTypeE1ES0_Li32ELi64ELi256ELb1ELi4EL8MFMAType0EEvPKT_PKT0_S9_ifPKiSB_SB_iPKfiiiPfSE_PS4_PT2_iSD_SD_,"axG",@progbits,_Z39paged_attention_ll4mi_QKV_mfma16_kernelI14__hip_bfloat16hLN4vllm18Fp8KVCacheDataTypeE1ES0_Li32ELi64ELi256ELb1ELi4EL8MFMAType0EEvPKT_PKT0_S9_ifPKiSB_SB_iPKfiiiPfSE_PS4_PT2_iSD_SD_,comdat
.Lfunc_end881:
	.size	_Z39paged_attention_ll4mi_QKV_mfma16_kernelI14__hip_bfloat16hLN4vllm18Fp8KVCacheDataTypeE1ES0_Li32ELi64ELi256ELb1ELi4EL8MFMAType0EEvPKT_PKT0_S9_ifPKiSB_SB_iPKfiiiPfSE_PS4_PT2_iSD_SD_, .Lfunc_end881-_Z39paged_attention_ll4mi_QKV_mfma16_kernelI14__hip_bfloat16hLN4vllm18Fp8KVCacheDataTypeE1ES0_Li32ELi64ELi256ELb1ELi4EL8MFMAType0EEvPKT_PKT0_S9_ifPKiSB_SB_iPKfiiiPfSE_PS4_PT2_iSD_SD_
                                        ; -- End function
	.section	.AMDGPU.csdata,"",@progbits
; Kernel info:
; codeLenInByte = 28608
; NumSgprs: 52
; NumVgprs: 65
; NumAgprs: 0
; TotalNumVgprs: 65
; ScratchSize: 0
; MemoryBound: 0
; FloatMode: 240
; IeeeMode: 1
; LDSByteSize: 8192 bytes/workgroup (compile time only)
; SGPRBlocks: 6
; VGPRBlocks: 8
; NumSGPRsForWavesPerEU: 52
; NumVGPRsForWavesPerEU: 65
; AccumOffset: 68
; Occupancy: 7
; WaveLimiterHint : 1
; COMPUTE_PGM_RSRC2:SCRATCH_EN: 0
; COMPUTE_PGM_RSRC2:USER_SGPR: 6
; COMPUTE_PGM_RSRC2:TRAP_HANDLER: 0
; COMPUTE_PGM_RSRC2:TGID_X_EN: 1
; COMPUTE_PGM_RSRC2:TGID_Y_EN: 1
; COMPUTE_PGM_RSRC2:TGID_Z_EN: 1
; COMPUTE_PGM_RSRC2:TIDIG_COMP_CNT: 0
; COMPUTE_PGM_RSRC3_GFX90A:ACCUM_OFFSET: 16
; COMPUTE_PGM_RSRC3_GFX90A:TG_SPLIT: 0
	.section	.text._Z39paged_attention_ll4mi_QKV_mfma16_kernelI14__hip_bfloat16hLN4vllm18Fp8KVCacheDataTypeE1ES0_Li32ELi64ELi256ELb0ELi5EL8MFMAType0EEvPKT_PKT0_S9_ifPKiSB_SB_iPKfiiiPfSE_PS4_PT2_iSD_SD_,"axG",@progbits,_Z39paged_attention_ll4mi_QKV_mfma16_kernelI14__hip_bfloat16hLN4vllm18Fp8KVCacheDataTypeE1ES0_Li32ELi64ELi256ELb0ELi5EL8MFMAType0EEvPKT_PKT0_S9_ifPKiSB_SB_iPKfiiiPfSE_PS4_PT2_iSD_SD_,comdat
	.protected	_Z39paged_attention_ll4mi_QKV_mfma16_kernelI14__hip_bfloat16hLN4vllm18Fp8KVCacheDataTypeE1ES0_Li32ELi64ELi256ELb0ELi5EL8MFMAType0EEvPKT_PKT0_S9_ifPKiSB_SB_iPKfiiiPfSE_PS4_PT2_iSD_SD_ ; -- Begin function _Z39paged_attention_ll4mi_QKV_mfma16_kernelI14__hip_bfloat16hLN4vllm18Fp8KVCacheDataTypeE1ES0_Li32ELi64ELi256ELb0ELi5EL8MFMAType0EEvPKT_PKT0_S9_ifPKiSB_SB_iPKfiiiPfSE_PS4_PT2_iSD_SD_
	.globl	_Z39paged_attention_ll4mi_QKV_mfma16_kernelI14__hip_bfloat16hLN4vllm18Fp8KVCacheDataTypeE1ES0_Li32ELi64ELi256ELb0ELi5EL8MFMAType0EEvPKT_PKT0_S9_ifPKiSB_SB_iPKfiiiPfSE_PS4_PT2_iSD_SD_
	.p2align	8
	.type	_Z39paged_attention_ll4mi_QKV_mfma16_kernelI14__hip_bfloat16hLN4vllm18Fp8KVCacheDataTypeE1ES0_Li32ELi64ELi256ELb0ELi5EL8MFMAType0EEvPKT_PKT0_S9_ifPKiSB_SB_iPKfiiiPfSE_PS4_PT2_iSD_SD_,@function
_Z39paged_attention_ll4mi_QKV_mfma16_kernelI14__hip_bfloat16hLN4vllm18Fp8KVCacheDataTypeE1ES0_Li32ELi64ELi256ELb0ELi5EL8MFMAType0EEvPKT_PKT0_S9_ifPKiSB_SB_iPKfiiiPfSE_PS4_PT2_iSD_SD_: ; @_Z39paged_attention_ll4mi_QKV_mfma16_kernelI14__hip_bfloat16hLN4vllm18Fp8KVCacheDataTypeE1ES0_Li32ELi64ELi256ELb0ELi5EL8MFMAType0EEvPKT_PKT0_S9_ifPKiSB_SB_iPKfiiiPfSE_PS4_PT2_iSD_SD_
; %bb.0:
	s_load_dwordx2 s[0:1], s[4:5], 0x30
	s_mov_b32 s24, s7
	s_mov_b64 s[10:11], 0
	s_waitcnt lgkmcnt(0)
	s_cmp_lg_u64 s[0:1], 0
	s_cselect_b64 s[2:3], -1, 0
	s_and_b64 vcc, exec, s[2:3]
	s_cbranch_vccz .LBB882_7
; %bb.1:
	s_add_i32 s12, s6, 1
	s_mov_b32 s13, 0
	s_lshl_b64 s[14:15], s[12:13], 2
	s_add_u32 s14, s0, s14
	s_mov_b32 s7, s13
	s_addc_u32 s15, s1, s15
	s_lshl_b64 s[12:13], s[6:7], 2
	s_add_u32 s12, s0, s12
	s_addc_u32 s13, s1, s13
	s_load_dword s9, s[14:15], 0x0
	s_load_dword s16, s[12:13], 0x0
	s_waitcnt lgkmcnt(0)
	s_sub_i32 s9, s9, s16
	s_cmp_eq_u32 s9, 1
	s_cselect_b64 s[12:13], -1, 0
	s_andn2_b64 vcc, exec, s[10:11]
	s_cbranch_vccnz .LBB882_3
.LBB882_2:
	s_mov_b32 s7, 0
	s_mov_b64 s[12:13], -1
.LBB882_3:
	s_andn2_b64 vcc, exec, s[12:13]
	s_cbranch_vccnz .LBB882_786
; %bb.4:
	s_load_dwordx2 s[12:13], s[4:5], 0x28
	s_lshl_b64 s[10:11], s[6:7], 2
	s_waitcnt lgkmcnt(0)
	s_add_u32 s12, s12, s10
	s_addc_u32 s13, s13, s11
	s_load_dword s33, s[12:13], 0x0
	s_lshl_b32 s20, s24, 8
	s_waitcnt lgkmcnt(0)
	s_cmp_ge_i32 s20, s33
	s_cbranch_scc1 .LBB882_786
; %bb.5:
	s_add_i32 s14, s33, 31
	s_load_dwordx2 s[12:13], s[4:5], 0x20
	s_load_dword s9, s[4:5], 0x38
	s_ashr_i32 s15, s14, 31
	v_and_b32_e32 v1, 0xcf, v0
	s_lshr_b32 s15, s15, 27
	v_add_u32_e32 v1, s20, v1
	s_add_i32 s14, s14, s15
	v_ashrrev_i32_e32 v2, 31, v1
	s_ashr_i32 s22, s14, 5
	v_lshrrev_b32_e32 v4, 27, v2
	s_add_i32 s22, s22, -1
	v_add_u32_e32 v2, v1, v4
	s_waitcnt lgkmcnt(0)
	s_mul_i32 s14, s6, s9
	s_mov_b32 s15, 0
	v_ashrrev_i32_e32 v2, 5, v2
	v_mov_b32_e32 v5, s22
	v_cmp_gt_i32_e32 vcc, s33, v1
	s_lshl_b64 s[14:15], s[14:15], 2
	v_cndmask_b32_e32 v2, v5, v2, vcc
	s_add_u32 s9, s12, s14
	v_ashrrev_i32_e32 v3, 31, v2
	s_addc_u32 s21, s13, s15
	v_lshlrev_b64 v[2:3], 2, v[2:3]
	v_mov_b32_e32 v7, s21
	v_add_co_u32_e32 v6, vcc, s9, v2
	v_or_b32_e32 v2, 16, v1
	v_addc_co_u32_e32 v7, vcc, v7, v3, vcc
	v_add_u32_e32 v3, v2, v4
	v_ashrrev_i32_e32 v3, 5, v3
	v_cmp_gt_i32_e32 vcc, s33, v2
	v_cndmask_b32_e32 v2, v5, v3, vcc
	v_ashrrev_i32_e32 v3, 31, v2
	v_lshlrev_b64 v[2:3], 2, v[2:3]
	v_mov_b32_e32 v9, s21
	v_add_co_u32_e32 v8, vcc, s9, v2
	v_or_b32_e32 v2, 32, v1
	v_addc_co_u32_e32 v9, vcc, v9, v3, vcc
	v_add_u32_e32 v3, v2, v4
	v_ashrrev_i32_e32 v3, 5, v3
	v_cmp_gt_i32_e32 vcc, s33, v2
	v_cndmask_b32_e32 v2, v5, v3, vcc
	v_ashrrev_i32_e32 v3, 31, v2
	;; [unrolled: 10-line block ×3, first 2 shown]
	v_lshlrev_b64 v[2:3], 2, v[2:3]
	v_mov_b32_e32 v1, s21
	v_add_co_u32_e32 v12, vcc, s9, v2
	v_addc_co_u32_e32 v13, vcc, v1, v3, vcc
	global_load_dword v5, v[6:7], off
	global_load_dword v4, v[8:9], off
	;; [unrolled: 1-line block ×4, first 2 shown]
	s_load_dwordx4 s[12:15], s[4:5], 0x8
	s_andn2_b64 vcc, exec, s[2:3]
	s_cbranch_vccnz .LBB882_8
; %bb.6:
	s_add_u32 s0, s0, s10
	s_addc_u32 s1, s1, s11
	s_load_dword s10, s[0:1], 0x0
	s_branch .LBB882_9
.LBB882_7:
	s_mov_b64 s[12:13], 0
	s_branch .LBB882_2
.LBB882_8:
	s_mov_b32 s10, s6
.LBB882_9:
	s_load_dwordx4 s[16:19], s[4:5], 0x48
	v_lshrrev_b32_e32 v50, 6, v0
	v_bfe_u32 v1, v0, 4, 2
	v_lshl_or_b32 v6, v50, 2, v1
	v_and_b32_e32 v49, 15, v0
	v_lshlrev_b32_e32 v7, 3, v49
	v_cmp_gt_u32_e32 vcc, 5, v6
	v_cmp_gt_u32_e64 s[0:1], 8, v49
	s_mul_i32 s25, s8, 5
	s_and_b64 s[26:27], s[0:1], vcc
	v_lshlrev_b32_e32 v46, 1, v7
	v_lshlrev_b32_e32 v47, 4, v0
	s_and_saveexec_b64 s[2:3], s[26:27]
	s_cbranch_execz .LBB882_11
; %bb.10:
	s_load_dwordx2 s[26:27], s[4:5], 0x0
	s_waitcnt lgkmcnt(0)
	s_ashr_i32 s11, s16, 31
	s_mul_hi_u32 s19, s10, s16
	s_mul_i32 s11, s10, s11
	s_add_i32 s11, s19, s11
	s_mul_i32 s10, s10, s16
	s_lshl_b64 s[10:11], s[10:11], 1
	v_add_lshl_u32 v8, v6, s25, 6
	s_add_u32 s10, s26, s10
	v_ashrrev_i32_e32 v9, 31, v8
	s_addc_u32 s11, s27, s11
	v_lshlrev_b64 v[8:9], 1, v[8:9]
	v_mov_b32_e32 v7, s11
	v_add_co_u32_e32 v8, vcc, s10, v8
	v_addc_co_u32_e32 v7, vcc, v7, v9, vcc
	v_add_co_u32_e32 v8, vcc, v8, v46
	v_addc_co_u32_e32 v9, vcc, 0, v7, vcc
	global_load_dwordx4 v[8:11], v[8:9], off
	v_lshlrev_b32_e32 v12, 8, v49
	v_lshlrev_b32_e32 v6, 5, v6
	v_and_b32_e32 v7, 16, v47
	v_and_b32_e32 v12, 0xe00, v12
	v_or3_b32 v6, v12, v6, v7
	s_waitcnt vmcnt(0)
	ds_write_b128 v6, v[8:11]
.LBB882_11:
	s_or_b64 exec, exec, s[2:3]
	s_waitcnt lgkmcnt(0)
	s_mul_i32 s8, s8, s18
	s_add_u32 s2, s12, s8
	s_addc_u32 s3, s13, 0
	v_and_b32_e32 v12, 48, v0
	s_ashr_i32 s10, s20, 31
	v_or_b32_e32 v13, s20, v12
	s_lshr_b32 s10, s10, 27
	v_add_u32_e32 v6, s10, v13
	v_ashrrev_i32_e32 v6, 5, v6
	v_mov_b32_e32 v14, s22
	v_cmp_gt_i32_e32 vcc, s33, v13
	v_cndmask_b32_e32 v6, v14, v6, vcc
	v_ashrrev_i32_e32 v7, 31, v6
	v_lshlrev_b64 v[6:7], 2, v[6:7]
	v_mov_b32_e32 v8, s21
	v_add_co_u32_e32 v6, vcc, s9, v6
	v_addc_co_u32_e32 v7, vcc, v8, v7, vcc
	v_or_b32_e32 v8, 64, v13
	v_add_u32_e32 v9, s10, v8
	v_ashrrev_i32_e32 v9, 5, v9
	v_cmp_gt_i32_e32 vcc, s33, v8
	v_cndmask_b32_e32 v8, v14, v9, vcc
	v_ashrrev_i32_e32 v9, 31, v8
	v_lshlrev_b64 v[8:9], 2, v[8:9]
	v_mov_b32_e32 v10, s21
	v_add_co_u32_e32 v8, vcc, s9, v8
	v_addc_co_u32_e32 v9, vcc, v10, v9, vcc
	v_or_b32_e32 v10, 0x80, v13
	v_add_u32_e32 v11, s10, v10
	v_ashrrev_i32_e32 v11, 5, v11
	v_cmp_gt_i32_e32 vcc, s33, v10
	v_cndmask_b32_e32 v10, v14, v11, vcc
	v_ashrrev_i32_e32 v11, 31, v10
	v_lshlrev_b64 v[10:11], 2, v[10:11]
	v_mov_b32_e32 v15, s21
	v_add_co_u32_e32 v10, vcc, s9, v10
	s_load_dwordx2 s[44:45], s[4:5], 0x94
	s_load_dwordx4 s[40:43], s[4:5], 0x80
	s_waitcnt lgkmcnt(0)
	s_barrier
	v_addc_co_u32_e32 v11, vcc, v15, v11, vcc
	global_load_dword v15, v[6:7], off
	global_load_dword v16, v[8:9], off
	;; [unrolled: 1-line block ×3, first 2 shown]
	v_or_b32_e32 v6, 0xc0, v13
	v_add_u32_e32 v7, s10, v6
	v_ashrrev_i32_e32 v7, 5, v7
	v_cmp_gt_i32_e32 vcc, s33, v6
	v_cndmask_b32_e32 v6, v14, v7, vcc
	v_ashrrev_i32_e32 v7, 31, v6
	v_lshlrev_b64 v[6:7], 2, v[6:7]
	v_mov_b32_e32 v8, s21
	v_add_co_u32_e32 v6, vcc, s9, v6
	v_addc_co_u32_e32 v7, vcc, v8, v7, vcc
	global_load_dword v20, v[6:7], off
	v_pk_mov_b32 v[6:7], s[2:3], s[2:3] op_sel:[0,1]
	s_waitcnt vmcnt(7)
	v_mad_i64_i32 v[8:9], s[2:3], v5, s17, v[6:7]
	v_lshlrev_b32_e32 v11, 4, v49
	v_add_co_u32_e32 v5, vcc, v8, v11
	v_lshlrev_b32_e32 v10, 5, v12
	v_addc_co_u32_e32 v9, vcc, 0, v9, vcc
	v_add_co_u32_e32 v8, vcc, v5, v10
	v_addc_co_u32_e32 v9, vcc, 0, v9, vcc
	s_waitcnt vmcnt(6)
	v_mad_i64_i32 v[4:5], s[2:3], v4, s17, v[6:7]
	v_or_b32_e32 v12, 0x100, v11
	v_add_co_u32_e32 v4, vcc, v4, v12
	v_addc_co_u32_e32 v5, vcc, 0, v5, vcc
	v_add_co_u32_e32 v4, vcc, v4, v10
	v_addc_co_u32_e32 v5, vcc, 0, v5, vcc
	global_load_dwordx4 v[30:33], v[8:9], off
	global_load_dwordx4 v[38:41], v[4:5], off
	s_waitcnt vmcnt(7)
	v_mad_i64_i32 v[4:5], s[2:3], v3, s17, v[6:7]
	v_add_co_u32_e32 v3, vcc, v4, v11
	v_addc_co_u32_e32 v5, vcc, 0, v5, vcc
	v_add_co_u32_e32 v4, vcc, v3, v10
	v_addc_co_u32_e32 v5, vcc, 0, v5, vcc
	s_waitcnt vmcnt(6)
	v_mad_i64_i32 v[2:3], s[2:3], v2, s17, v[6:7]
	v_add_co_u32_e32 v2, vcc, v2, v12
	v_addc_co_u32_e32 v3, vcc, 0, v3, vcc
	v_add_co_u32_e32 v2, vcc, v2, v10
	s_add_u32 s2, s14, s8
	v_addc_co_u32_e32 v3, vcc, 0, v3, vcc
	global_load_dwordx4 v[34:37], v[4:5], off
	global_load_dwordx4 v[22:25], v[2:3], off
	s_addc_u32 s3, s15, 0
	v_and_b32_e32 v2, 16, v0
	v_mov_b32_e32 v3, s3
	v_add_co_u32_e32 v2, vcc, s2, v2
	v_lshlrev_b32_e32 v48, 5, v49
	v_addc_co_u32_e32 v3, vcc, 0, v3, vcc
	v_lshl_or_b32 v4, v50, 9, v48
	v_add_co_u32_e32 v2, vcc, v2, v4
	v_addc_co_u32_e32 v3, vcc, 0, v3, vcc
	v_mov_b32_e32 v44, 0
	v_mov_b32_e32 v43, 0
	s_movk_i32 s8, 0x80
	s_waitcnt vmcnt(7)
	v_mad_i64_i32 v[4:5], s[2:3], v15, s17, v[2:3]
	s_waitcnt vmcnt(6)
	v_mad_i64_i32 v[6:7], s[2:3], v16, s17, v[2:3]
	;; [unrolled: 2-line block ×3, first 2 shown]
	global_load_dwordx4 v[14:17], v[4:5], off
	global_load_dwordx4 v[10:13], v[6:7], off
	s_waitcnt vmcnt(6)
	v_mad_i64_i32 v[20:21], s[2:3], v20, s17, v[2:3]
	global_load_dwordx4 v[6:9], v[18:19], off
	global_load_dwordx4 v[2:5], v[20:21], off
	v_mul_lo_u16_e32 v18, 52, v49
	v_mov_b32_e32 v19, 5
	v_mul_lo_u16_sdwa v18, v18, v19 dst_sel:DWORD dst_unused:UNUSED_PAD src0_sel:BYTE_1 src1_sel:DWORD
	v_sub_u16_e32 v18, v49, v18
	v_lshlrev_b32_sdwa v18, v19, v18 dst_sel:DWORD dst_unused:UNUSED_PAD src0_sel:DWORD src1_sel:BYTE_0
	v_lshl_add_u32 v18, v1, 9, v18
	ds_read_b128 v[26:29], v18
	ds_read_b128 v[18:21], v18 offset:16
	s_load_dword s12, s[40:41], 0x0
	s_waitcnt vmcnt(7)
	v_cmp_ne_u16_sdwa s[10:11], v30, v44 src0_sel:BYTE_0 src1_sel:DWORD
	s_and_saveexec_b64 s[2:3], s[10:11]
	s_cbranch_execz .LBB882_17
; %bb.12:
	v_cmp_ne_u16_sdwa s[10:11], v30, s8 src0_sel:BYTE_0 src1_sel:DWORD
	v_mov_b32_e32 v43, 0xffff8000
	s_and_saveexec_b64 s[8:9], s[10:11]
	s_cbranch_execz .LBB882_16
; %bb.13:
	s_movk_i32 s10, 0x7f
	v_and_b32_e32 v42, 0x7f, v30
	v_cmp_ne_u32_e32 vcc, s10, v42
	v_mov_b32_e32 v43, 0x7f80
	s_and_saveexec_b64 s[10:11], vcc
	s_cbranch_execz .LBB882_15
; %bb.14:
	v_and_b32_e32 v43, 7, v30
	v_ffbh_u32_e32 v51, v43
	v_min_u32_e32 v51, 32, v51
	v_subrev_u32_e32 v52, 28, v51
	v_lshlrev_b64 v[52:53], v52, v[30:31]
	v_lshrrev_b32_e32 v45, 3, v42
	v_sub_u32_e32 v51, 29, v51
	v_and_b32_e32 v52, 7, v52
	v_cmp_gt_u32_e32 vcc, 8, v42
	v_cndmask_b32_e32 v42, v45, v51, vcc
	v_cndmask_b32_e32 v43, v43, v52, vcc
	v_lshlrev_b32_e32 v45, 24, v30
	v_bfrev_b32_e32 v51, 60
	v_lshlrev_b32_e32 v43, 20, v43
	v_and_b32_e32 v45, 0x80000000, v45
	v_lshl_add_u32 v42, v42, 23, v51
	v_or3_b32 v42, v45, v42, v43
	v_lshrrev_b32_e32 v43, 16, v42
.LBB882_15:
	s_or_b64 exec, exec, s[10:11]
.LBB882_16:
	s_or_b64 exec, exec, s[8:9]
.LBB882_17:
	s_or_b64 exec, exec, s[2:3]
	v_lshrrev_b16_e32 v42, 8, v30
	v_cmp_ne_u16_e32 vcc, 0, v42
	s_and_saveexec_b64 s[2:3], vcc
	s_cbranch_execz .LBB882_23
; %bb.18:
	s_movk_i32 s8, 0x80
	v_cmp_ne_u16_e32 vcc, s8, v42
	v_mov_b32_e32 v44, 0xffff8000
	s_and_saveexec_b64 s[8:9], vcc
	s_cbranch_execz .LBB882_22
; %bb.19:
	s_movk_i32 s10, 0x7f
	v_and_b32_e32 v45, 0x7f, v42
	v_cmp_ne_u32_e32 vcc, s10, v45
	v_mov_b32_e32 v44, 0x7f80
	s_and_saveexec_b64 s[10:11], vcc
	s_cbranch_execz .LBB882_21
; %bb.20:
	v_and_b32_e32 v44, 7, v42
	v_ffbh_u32_e32 v52, v44
	v_min_u32_e32 v54, 32, v52
	v_subrev_u32_e32 v52, 28, v54
	v_lshlrev_b64 v[52:53], v52, v[42:43]
	v_lshrrev_b32_e32 v51, 3, v45
	v_sub_u32_e32 v42, 29, v54
	v_and_b32_e32 v52, 7, v52
	v_cmp_gt_u32_e32 vcc, 8, v45
	v_cndmask_b32_e32 v42, v51, v42, vcc
	v_cndmask_b32_e32 v44, v44, v52, vcc
	v_lshlrev_b32_e32 v45, 16, v30
	v_bfrev_b32_e32 v51, 60
	v_lshlrev_b32_e32 v44, 20, v44
	v_and_b32_e32 v45, 0x80000000, v45
	v_lshl_add_u32 v42, v42, 23, v51
	v_or3_b32 v42, v45, v42, v44
	v_lshrrev_b32_e32 v44, 16, v42
.LBB882_21:
	s_or_b64 exec, exec, s[10:11]
.LBB882_22:
	s_or_b64 exec, exec, s[8:9]
.LBB882_23:
	s_or_b64 exec, exec, s[2:3]
	s_movk_i32 s2, 0xff
	v_and_b32_sdwa v52, v30, s2 dst_sel:DWORD dst_unused:UNUSED_PAD src0_sel:WORD_1 src1_sel:DWORD
	v_lshrrev_b32_e32 v42, 16, v30
	v_cmp_ne_u16_e32 vcc, 0, v52
	v_mov_b32_e32 v45, 0
	v_mov_b32_e32 v51, 0
	s_and_saveexec_b64 s[2:3], vcc
	s_cbranch_execz .LBB882_29
; %bb.24:
	s_movk_i32 s8, 0x80
	v_cmp_ne_u16_e32 vcc, s8, v52
	v_mov_b32_e32 v51, 0xffff8000
	s_and_saveexec_b64 s[8:9], vcc
	s_cbranch_execz .LBB882_28
; %bb.25:
	v_bfe_u32 v52, v30, 16, 7
	s_movk_i32 s10, 0x7f
	v_cmp_ne_u32_e32 vcc, s10, v52
	v_mov_b32_e32 v51, 0x7f80
	s_and_saveexec_b64 s[10:11], vcc
	s_cbranch_execz .LBB882_27
; %bb.26:
	v_and_b32_e32 v51, 7, v42
	v_ffbh_u32_e32 v54, v51
	v_min_u32_e32 v56, 32, v54
	v_subrev_u32_e32 v54, 28, v56
	v_lshlrev_b64 v[54:55], v54, v[42:43]
	v_lshrrev_b32_e32 v53, 3, v52
	v_sub_u32_e32 v42, 29, v56
	v_and_b32_e32 v54, 7, v54
	v_cmp_gt_u32_e32 vcc, 8, v52
	v_mov_b32_e32 v52, 24
	v_cndmask_b32_e32 v42, v53, v42, vcc
	v_cndmask_b32_e32 v51, v51, v54, vcc
	v_lshlrev_b32_sdwa v52, v52, v30 dst_sel:DWORD dst_unused:UNUSED_PAD src0_sel:DWORD src1_sel:WORD_1
	v_bfrev_b32_e32 v53, 60
	v_lshlrev_b32_e32 v51, 20, v51
	v_and_b32_e32 v52, 0x80000000, v52
	v_lshl_add_u32 v42, v42, 23, v53
	v_or3_b32 v42, v52, v42, v51
	v_lshrrev_b32_e32 v51, 16, v42
.LBB882_27:
	s_or_b64 exec, exec, s[10:11]
.LBB882_28:
	s_or_b64 exec, exec, s[8:9]
.LBB882_29:
	s_or_b64 exec, exec, s[2:3]
	s_mov_b32 s2, 0xffffff
	v_cmp_lt_u32_e32 vcc, s2, v30
	s_and_saveexec_b64 s[2:3], vcc
	s_cbranch_execz .LBB882_35
; %bb.30:
	v_lshrrev_b32_e32 v42, 24, v30
	s_movk_i32 s8, 0x80
	v_cmp_ne_u32_e32 vcc, s8, v42
	v_mov_b32_e32 v45, 0xffff8000
	s_and_saveexec_b64 s[8:9], vcc
	s_cbranch_execz .LBB882_34
; %bb.31:
	v_bfe_u32 v30, v30, 24, 7
	s_movk_i32 s10, 0x7f
	v_cmp_ne_u32_e32 vcc, s10, v30
	v_mov_b32_e32 v45, 0x7f80
	s_and_saveexec_b64 s[10:11], vcc
	s_cbranch_execz .LBB882_33
; %bb.32:
	v_and_b32_e32 v45, 7, v42
	v_ffbh_u32_e32 v52, v45
	v_min_u32_e32 v55, 32, v52
	v_subrev_u32_e32 v52, 28, v55
	v_lshlrev_b64 v[52:53], v52, v[42:43]
	v_lshrrev_b32_e32 v54, 3, v30
	v_sub_u32_e32 v53, 29, v55
	v_and_b32_e32 v52, 7, v52
	v_cmp_gt_u32_e32 vcc, 8, v30
	v_cndmask_b32_e32 v30, v54, v53, vcc
	v_cndmask_b32_e32 v45, v45, v52, vcc
	v_lshlrev_b32_e32 v42, 24, v42
	v_bfrev_b32_e32 v52, 60
	v_lshlrev_b32_e32 v45, 20, v45
	v_and_b32_e32 v42, 0x80000000, v42
	v_lshl_add_u32 v30, v30, 23, v52
	v_or3_b32 v30, v42, v30, v45
	v_lshrrev_b32_e32 v45, 16, v30
.LBB882_33:
	s_or_b64 exec, exec, s[10:11]
.LBB882_34:
	s_or_b64 exec, exec, s[8:9]
.LBB882_35:
	s_or_b64 exec, exec, s[2:3]
	v_mov_b32_e32 v42, 0
	v_cmp_ne_u16_sdwa s[8:9], v31, v42 src0_sel:BYTE_0 src1_sel:DWORD
	v_mov_b32_e32 v52, 0
	s_and_saveexec_b64 s[2:3], s[8:9]
	s_cbranch_execz .LBB882_41
; %bb.36:
	s_movk_i32 s8, 0x80
	v_cmp_ne_u16_sdwa s[10:11], v31, s8 src0_sel:BYTE_0 src1_sel:DWORD
	v_mov_b32_e32 v52, 0xffff8000
	s_and_saveexec_b64 s[8:9], s[10:11]
	s_cbranch_execz .LBB882_40
; %bb.37:
	s_movk_i32 s10, 0x7f
	v_and_b32_e32 v30, 0x7f, v31
	v_cmp_ne_u32_e32 vcc, s10, v30
	v_mov_b32_e32 v52, 0x7f80
	s_and_saveexec_b64 s[10:11], vcc
	s_cbranch_execz .LBB882_39
; %bb.38:
	v_and_b32_e32 v54, 7, v31
	v_ffbh_u32_e32 v53, v54
	v_min_u32_e32 v56, 32, v53
	v_mov_b32_e32 v52, v31
	v_subrev_u32_e32 v53, 28, v56
	v_lshlrev_b64 v[52:53], v53, v[52:53]
	v_lshrrev_b32_e32 v55, 3, v30
	v_sub_u32_e32 v53, 29, v56
	v_and_b32_e32 v52, 7, v52
	v_cmp_gt_u32_e32 vcc, 8, v30
	v_cndmask_b32_e32 v30, v55, v53, vcc
	v_cndmask_b32_e32 v52, v54, v52, vcc
	v_lshlrev_b32_e32 v53, 24, v31
	v_bfrev_b32_e32 v54, 60
	v_lshlrev_b32_e32 v52, 20, v52
	v_and_b32_e32 v53, 0x80000000, v53
	v_lshl_add_u32 v30, v30, 23, v54
	v_or3_b32 v30, v53, v30, v52
	v_lshrrev_b32_e32 v52, 16, v30
.LBB882_39:
	s_or_b64 exec, exec, s[10:11]
.LBB882_40:
	s_or_b64 exec, exec, s[8:9]
.LBB882_41:
	s_or_b64 exec, exec, s[2:3]
	v_lshrrev_b16_e32 v30, 8, v31
	v_cmp_ne_u16_e32 vcc, 0, v30
	s_and_saveexec_b64 s[2:3], vcc
	s_cbranch_execz .LBB882_47
; %bb.42:
	s_movk_i32 s8, 0x80
	v_cmp_ne_u16_e32 vcc, s8, v30
	v_mov_b32_e32 v42, 0xffff8000
	s_and_saveexec_b64 s[8:9], vcc
	s_cbranch_execz .LBB882_46
; %bb.43:
	s_movk_i32 s10, 0x7f
	v_and_b32_e32 v53, 0x7f, v30
	v_cmp_ne_u32_e32 vcc, s10, v53
	v_mov_b32_e32 v42, 0x7f80
	s_and_saveexec_b64 s[10:11], vcc
	s_cbranch_execz .LBB882_45
; %bb.44:
	v_and_b32_e32 v42, 7, v30
	v_ffbh_u32_e32 v54, v42
	v_min_u32_e32 v57, 32, v54
	v_subrev_u32_e32 v54, 28, v57
	v_lshlrev_b64 v[54:55], v54, v[30:31]
	v_lshrrev_b32_e32 v56, 3, v53
	v_sub_u32_e32 v30, 29, v57
	v_and_b32_e32 v54, 7, v54
	v_cmp_gt_u32_e32 vcc, 8, v53
	v_cndmask_b32_e32 v30, v56, v30, vcc
	v_cndmask_b32_e32 v42, v42, v54, vcc
	v_lshlrev_b32_e32 v53, 16, v31
	v_bfrev_b32_e32 v54, 60
	v_lshlrev_b32_e32 v42, 20, v42
	v_and_b32_e32 v53, 0x80000000, v53
	v_lshl_add_u32 v30, v30, 23, v54
	v_or3_b32 v30, v53, v30, v42
	v_lshrrev_b32_e32 v42, 16, v30
.LBB882_45:
	s_or_b64 exec, exec, s[10:11]
.LBB882_46:
	s_or_b64 exec, exec, s[8:9]
.LBB882_47:
	s_or_b64 exec, exec, s[2:3]
	s_movk_i32 s2, 0xff
	v_and_b32_sdwa v55, v31, s2 dst_sel:DWORD dst_unused:UNUSED_PAD src0_sel:WORD_1 src1_sel:DWORD
	v_lshrrev_b32_e32 v30, 16, v31
	v_cmp_ne_u16_e32 vcc, 0, v55
	v_mov_b32_e32 v53, 0
	v_mov_b32_e32 v54, 0
	s_and_saveexec_b64 s[2:3], vcc
	s_cbranch_execz .LBB882_53
; %bb.48:
	s_movk_i32 s8, 0x80
	v_cmp_ne_u16_e32 vcc, s8, v55
	v_mov_b32_e32 v54, 0xffff8000
	s_and_saveexec_b64 s[8:9], vcc
	s_cbranch_execz .LBB882_52
; %bb.49:
	v_bfe_u32 v55, v31, 16, 7
	s_movk_i32 s10, 0x7f
	v_cmp_ne_u32_e32 vcc, s10, v55
	v_mov_b32_e32 v54, 0x7f80
	s_and_saveexec_b64 s[10:11], vcc
	s_cbranch_execz .LBB882_51
; %bb.50:
	v_and_b32_e32 v54, 7, v30
	v_ffbh_u32_e32 v56, v54
	v_min_u32_e32 v59, 32, v56
	v_subrev_u32_e32 v56, 28, v59
	v_lshlrev_b64 v[56:57], v56, v[30:31]
	v_lshrrev_b32_e32 v58, 3, v55
	v_sub_u32_e32 v30, 29, v59
	v_and_b32_e32 v56, 7, v56
	v_cmp_gt_u32_e32 vcc, 8, v55
	v_mov_b32_e32 v55, 24
	v_cndmask_b32_e32 v30, v58, v30, vcc
	v_cndmask_b32_e32 v54, v54, v56, vcc
	v_lshlrev_b32_sdwa v55, v55, v31 dst_sel:DWORD dst_unused:UNUSED_PAD src0_sel:DWORD src1_sel:WORD_1
	v_bfrev_b32_e32 v56, 60
	v_lshlrev_b32_e32 v54, 20, v54
	v_and_b32_e32 v55, 0x80000000, v55
	v_lshl_add_u32 v30, v30, 23, v56
	v_or3_b32 v30, v55, v30, v54
	v_lshrrev_b32_e32 v54, 16, v30
.LBB882_51:
	s_or_b64 exec, exec, s[10:11]
.LBB882_52:
	s_or_b64 exec, exec, s[8:9]
.LBB882_53:
	s_or_b64 exec, exec, s[2:3]
	s_mov_b32 s2, 0xffffff
	v_cmp_lt_u32_e32 vcc, s2, v31
	s_and_saveexec_b64 s[2:3], vcc
	s_cbranch_execz .LBB882_59
; %bb.54:
	v_lshrrev_b32_e32 v30, 24, v31
	s_movk_i32 s8, 0x80
	v_cmp_ne_u32_e32 vcc, s8, v30
	v_mov_b32_e32 v53, 0xffff8000
	s_and_saveexec_b64 s[8:9], vcc
	s_cbranch_execz .LBB882_58
; %bb.55:
	v_bfe_u32 v31, v31, 24, 7
	s_movk_i32 s10, 0x7f
	v_cmp_ne_u32_e32 vcc, s10, v31
	v_mov_b32_e32 v53, 0x7f80
	s_and_saveexec_b64 s[10:11], vcc
	s_cbranch_execz .LBB882_57
; %bb.56:
	v_and_b32_e32 v53, 7, v30
	v_ffbh_u32_e32 v56, v53
	v_min_u32_e32 v58, 32, v56
	v_subrev_u32_e32 v56, 28, v58
	v_lshlrev_b64 v[56:57], v56, v[30:31]
	v_lshrrev_b32_e32 v55, 3, v31
	v_sub_u32_e32 v57, 29, v58
	v_and_b32_e32 v56, 7, v56
	v_cmp_gt_u32_e32 vcc, 8, v31
	v_cndmask_b32_e32 v31, v55, v57, vcc
	v_cndmask_b32_e32 v53, v53, v56, vcc
	v_lshlrev_b32_e32 v30, 24, v30
	v_bfrev_b32_e32 v55, 60
	v_lshlrev_b32_e32 v53, 20, v53
	v_and_b32_e32 v30, 0x80000000, v30
	v_lshl_add_u32 v31, v31, 23, v55
	v_or3_b32 v30, v30, v31, v53
	v_lshrrev_b32_e32 v53, 16, v30
.LBB882_57:
	s_or_b64 exec, exec, s[10:11]
.LBB882_58:
	s_or_b64 exec, exec, s[8:9]
.LBB882_59:
	s_or_b64 exec, exec, s[2:3]
	s_mov_b32 s2, 0x5040100
	v_perm_b32 v31, v45, v51, s2
	v_perm_b32 v30, v44, v43, s2
	;; [unrolled: 1-line block ×4, first 2 shown]
	v_mov_b32_e32 v51, 0
	s_waitcnt lgkmcnt(0)
	v_mfma_f32_16x16x16bf16_1k v[56:59], v[30:31], v[26:27], 0
	v_mov_b32_e32 v31, 0
	v_cmp_ne_u16_sdwa s[8:9], v32, v31 src0_sel:BYTE_0 src1_sel:DWORD
	v_mfma_f32_16x16x16bf16_1k v[42:45], v[42:43], v[28:29], v[56:59]
	s_and_saveexec_b64 s[2:3], s[8:9]
	s_cbranch_execz .LBB882_65
; %bb.60:
	s_movk_i32 s8, 0x80
	v_cmp_ne_u16_sdwa s[10:11], v32, s8 src0_sel:BYTE_0 src1_sel:DWORD
	v_mov_b32_e32 v51, 0xffff8000
	s_and_saveexec_b64 s[8:9], s[10:11]
	s_cbranch_execz .LBB882_64
; %bb.61:
	s_movk_i32 s10, 0x7f
	v_and_b32_e32 v30, 0x7f, v32
	v_cmp_ne_u32_e32 vcc, s10, v30
	v_mov_b32_e32 v51, 0x7f80
	s_and_saveexec_b64 s[10:11], vcc
	s_cbranch_execz .LBB882_63
; %bb.62:
	v_and_b32_e32 v51, 7, v32
	v_ffbh_u32_e32 v52, v51
	v_min_u32_e32 v55, 32, v52
	v_subrev_u32_e32 v52, 28, v55
	v_lshlrev_b64 v[52:53], v52, v[32:33]
	v_lshrrev_b32_e32 v54, 3, v30
	v_sub_u32_e32 v53, 29, v55
	v_and_b32_e32 v52, 7, v52
	v_cmp_gt_u32_e32 vcc, 8, v30
	v_cndmask_b32_e32 v30, v54, v53, vcc
	v_cndmask_b32_e32 v51, v51, v52, vcc
	v_lshlrev_b32_e32 v52, 24, v32
	v_bfrev_b32_e32 v53, 60
	v_lshlrev_b32_e32 v51, 20, v51
	v_and_b32_e32 v52, 0x80000000, v52
	v_lshl_add_u32 v30, v30, 23, v53
	v_or3_b32 v30, v52, v30, v51
	v_lshrrev_b32_e32 v51, 16, v30
.LBB882_63:
	s_or_b64 exec, exec, s[10:11]
.LBB882_64:
	s_or_b64 exec, exec, s[8:9]
.LBB882_65:
	s_or_b64 exec, exec, s[2:3]
	v_lshrrev_b16_e32 v30, 8, v32
	v_cmp_ne_u16_e32 vcc, 0, v30
	s_and_saveexec_b64 s[2:3], vcc
	s_cbranch_execz .LBB882_71
; %bb.66:
	s_movk_i32 s8, 0x80
	v_cmp_ne_u16_e32 vcc, s8, v30
	v_mov_b32_e32 v31, 0xffff8000
	s_and_saveexec_b64 s[8:9], vcc
	s_cbranch_execz .LBB882_70
; %bb.67:
	s_movk_i32 s10, 0x7f
	v_and_b32_e32 v52, 0x7f, v30
	v_cmp_ne_u32_e32 vcc, s10, v52
	v_mov_b32_e32 v31, 0x7f80
	s_and_saveexec_b64 s[10:11], vcc
	s_cbranch_execz .LBB882_69
; %bb.68:
	v_and_b32_e32 v53, 7, v30
	v_ffbh_u32_e32 v31, v53
	v_min_u32_e32 v55, 32, v31
	v_subrev_u32_e32 v31, 28, v55
	v_lshlrev_b64 v[30:31], v31, v[30:31]
	v_lshrrev_b32_e32 v54, 3, v52
	v_sub_u32_e32 v31, 29, v55
	v_and_b32_e32 v30, 7, v30
	v_cmp_gt_u32_e32 vcc, 8, v52
	v_cndmask_b32_e32 v31, v54, v31, vcc
	v_cndmask_b32_e32 v30, v53, v30, vcc
	v_lshlrev_b32_e32 v52, 16, v32
	v_bfrev_b32_e32 v53, 60
	v_lshlrev_b32_e32 v30, 20, v30
	v_and_b32_e32 v52, 0x80000000, v52
	v_lshl_add_u32 v31, v31, 23, v53
	v_or3_b32 v30, v52, v31, v30
	v_lshrrev_b32_e32 v31, 16, v30
.LBB882_69:
	s_or_b64 exec, exec, s[10:11]
.LBB882_70:
	s_or_b64 exec, exec, s[8:9]
.LBB882_71:
	s_or_b64 exec, exec, s[2:3]
	s_movk_i32 s2, 0xff
	v_and_b32_sdwa v54, v32, s2 dst_sel:DWORD dst_unused:UNUSED_PAD src0_sel:WORD_1 src1_sel:DWORD
	v_lshrrev_b32_e32 v30, 16, v32
	v_cmp_ne_u16_e32 vcc, 0, v54
	v_mov_b32_e32 v52, 0
	v_mov_b32_e32 v53, 0
	s_and_saveexec_b64 s[2:3], vcc
	s_cbranch_execz .LBB882_77
; %bb.72:
	s_movk_i32 s8, 0x80
	v_cmp_ne_u16_e32 vcc, s8, v54
	v_mov_b32_e32 v53, 0xffff8000
	s_and_saveexec_b64 s[8:9], vcc
	s_cbranch_execz .LBB882_76
; %bb.73:
	v_bfe_u32 v54, v32, 16, 7
	s_movk_i32 s10, 0x7f
	v_cmp_ne_u32_e32 vcc, s10, v54
	v_mov_b32_e32 v53, 0x7f80
	s_and_saveexec_b64 s[10:11], vcc
	s_cbranch_execz .LBB882_75
; %bb.74:
	v_and_b32_e32 v53, 7, v30
	v_ffbh_u32_e32 v56, v53
	v_min_u32_e32 v58, 32, v56
	v_subrev_u32_e32 v56, 28, v58
	v_lshlrev_b64 v[56:57], v56, v[30:31]
	v_lshrrev_b32_e32 v55, 3, v54
	v_sub_u32_e32 v30, 29, v58
	v_and_b32_e32 v56, 7, v56
	v_cmp_gt_u32_e32 vcc, 8, v54
	v_mov_b32_e32 v54, 24
	v_cndmask_b32_e32 v30, v55, v30, vcc
	v_cndmask_b32_e32 v53, v53, v56, vcc
	v_lshlrev_b32_sdwa v54, v54, v32 dst_sel:DWORD dst_unused:UNUSED_PAD src0_sel:DWORD src1_sel:WORD_1
	v_bfrev_b32_e32 v55, 60
	v_lshlrev_b32_e32 v53, 20, v53
	v_and_b32_e32 v54, 0x80000000, v54
	v_lshl_add_u32 v30, v30, 23, v55
	v_or3_b32 v30, v54, v30, v53
	v_lshrrev_b32_e32 v53, 16, v30
.LBB882_75:
	s_or_b64 exec, exec, s[10:11]
.LBB882_76:
	s_or_b64 exec, exec, s[8:9]
.LBB882_77:
	s_or_b64 exec, exec, s[2:3]
	s_mov_b32 s2, 0xffffff
	v_cmp_lt_u32_e32 vcc, s2, v32
	s_and_saveexec_b64 s[2:3], vcc
	s_cbranch_execz .LBB882_83
; %bb.78:
	v_lshrrev_b32_e32 v30, 24, v32
	s_movk_i32 s8, 0x80
	v_cmp_ne_u32_e32 vcc, s8, v30
	v_mov_b32_e32 v52, 0xffff8000
	s_and_saveexec_b64 s[8:9], vcc
	s_cbranch_execz .LBB882_82
; %bb.79:
	v_bfe_u32 v32, v32, 24, 7
	s_movk_i32 s10, 0x7f
	v_cmp_ne_u32_e32 vcc, s10, v32
	v_mov_b32_e32 v52, 0x7f80
	s_and_saveexec_b64 s[10:11], vcc
	s_cbranch_execz .LBB882_81
; %bb.80:
	v_and_b32_e32 v52, 7, v30
	v_ffbh_u32_e32 v54, v52
	v_min_u32_e32 v57, 32, v54
	v_subrev_u32_e32 v54, 28, v57
	v_lshlrev_b64 v[54:55], v54, v[30:31]
	v_lshrrev_b32_e32 v56, 3, v32
	v_sub_u32_e32 v55, 29, v57
	v_and_b32_e32 v54, 7, v54
	v_cmp_gt_u32_e32 vcc, 8, v32
	v_cndmask_b32_e32 v32, v56, v55, vcc
	v_cndmask_b32_e32 v52, v52, v54, vcc
	v_lshlrev_b32_e32 v30, 24, v30
	v_bfrev_b32_e32 v54, 60
	v_lshlrev_b32_e32 v52, 20, v52
	v_and_b32_e32 v30, 0x80000000, v30
	v_lshl_add_u32 v32, v32, 23, v54
	v_or3_b32 v30, v30, v32, v52
	v_lshrrev_b32_e32 v52, 16, v30
.LBB882_81:
	s_or_b64 exec, exec, s[10:11]
.LBB882_82:
	s_or_b64 exec, exec, s[8:9]
.LBB882_83:
	s_or_b64 exec, exec, s[2:3]
	v_mov_b32_e32 v32, 0
	v_cmp_ne_u16_sdwa s[8:9], v33, v32 src0_sel:BYTE_0 src1_sel:DWORD
	v_mov_b32_e32 v54, 0
	s_and_saveexec_b64 s[2:3], s[8:9]
	s_cbranch_execz .LBB882_89
; %bb.84:
	s_movk_i32 s8, 0x80
	v_cmp_ne_u16_sdwa s[10:11], v33, s8 src0_sel:BYTE_0 src1_sel:DWORD
	v_mov_b32_e32 v54, 0xffff8000
	s_and_saveexec_b64 s[8:9], s[10:11]
	s_cbranch_execz .LBB882_88
; %bb.85:
	s_movk_i32 s10, 0x7f
	v_and_b32_e32 v30, 0x7f, v33
	v_cmp_ne_u32_e32 vcc, s10, v30
	v_mov_b32_e32 v54, 0x7f80
	s_and_saveexec_b64 s[10:11], vcc
	s_cbranch_execz .LBB882_87
; %bb.86:
	v_and_b32_e32 v56, 7, v33
	v_ffbh_u32_e32 v55, v56
	v_min_u32_e32 v58, 32, v55
	v_mov_b32_e32 v54, v33
	v_subrev_u32_e32 v55, 28, v58
	v_lshlrev_b64 v[54:55], v55, v[54:55]
	v_lshrrev_b32_e32 v57, 3, v30
	v_sub_u32_e32 v55, 29, v58
	v_and_b32_e32 v54, 7, v54
	v_cmp_gt_u32_e32 vcc, 8, v30
	v_cndmask_b32_e32 v30, v57, v55, vcc
	v_cndmask_b32_e32 v54, v56, v54, vcc
	v_lshlrev_b32_e32 v55, 24, v33
	v_bfrev_b32_e32 v56, 60
	v_lshlrev_b32_e32 v54, 20, v54
	v_and_b32_e32 v55, 0x80000000, v55
	v_lshl_add_u32 v30, v30, 23, v56
	v_or3_b32 v30, v55, v30, v54
	v_lshrrev_b32_e32 v54, 16, v30
.LBB882_87:
	s_or_b64 exec, exec, s[10:11]
.LBB882_88:
	s_or_b64 exec, exec, s[8:9]
.LBB882_89:
	s_or_b64 exec, exec, s[2:3]
	v_lshrrev_b16_e32 v30, 8, v33
	v_cmp_ne_u16_e32 vcc, 0, v30
	s_and_saveexec_b64 s[2:3], vcc
	s_cbranch_execz .LBB882_95
; %bb.90:
	s_movk_i32 s8, 0x80
	v_cmp_ne_u16_e32 vcc, s8, v30
	v_mov_b32_e32 v32, 0xffff8000
	s_and_saveexec_b64 s[8:9], vcc
	s_cbranch_execz .LBB882_94
; %bb.91:
	s_movk_i32 s10, 0x7f
	v_and_b32_e32 v55, 0x7f, v30
	v_cmp_ne_u32_e32 vcc, s10, v55
	v_mov_b32_e32 v32, 0x7f80
	s_and_saveexec_b64 s[10:11], vcc
	s_cbranch_execz .LBB882_93
; %bb.92:
	v_and_b32_e32 v32, 7, v30
	v_ffbh_u32_e32 v56, v32
	v_min_u32_e32 v59, 32, v56
	v_subrev_u32_e32 v56, 28, v59
	v_lshlrev_b64 v[56:57], v56, v[30:31]
	v_lshrrev_b32_e32 v58, 3, v55
	v_sub_u32_e32 v30, 29, v59
	v_and_b32_e32 v56, 7, v56
	v_cmp_gt_u32_e32 vcc, 8, v55
	v_cndmask_b32_e32 v30, v58, v30, vcc
	v_cndmask_b32_e32 v32, v32, v56, vcc
	v_lshlrev_b32_e32 v55, 16, v33
	v_bfrev_b32_e32 v56, 60
	v_lshlrev_b32_e32 v32, 20, v32
	v_and_b32_e32 v55, 0x80000000, v55
	v_lshl_add_u32 v30, v30, 23, v56
	v_or3_b32 v30, v55, v30, v32
	v_lshrrev_b32_e32 v32, 16, v30
.LBB882_93:
	s_or_b64 exec, exec, s[10:11]
.LBB882_94:
	s_or_b64 exec, exec, s[8:9]
.LBB882_95:
	s_or_b64 exec, exec, s[2:3]
	s_movk_i32 s2, 0xff
	v_and_b32_sdwa v57, v33, s2 dst_sel:DWORD dst_unused:UNUSED_PAD src0_sel:WORD_1 src1_sel:DWORD
	v_lshrrev_b32_e32 v30, 16, v33
	v_cmp_ne_u16_e32 vcc, 0, v57
	v_mov_b32_e32 v55, 0
	v_mov_b32_e32 v56, 0
	s_and_saveexec_b64 s[2:3], vcc
	s_cbranch_execz .LBB882_101
; %bb.96:
	s_movk_i32 s8, 0x80
	v_cmp_ne_u16_e32 vcc, s8, v57
	v_mov_b32_e32 v56, 0xffff8000
	s_and_saveexec_b64 s[8:9], vcc
	s_cbranch_execz .LBB882_100
; %bb.97:
	v_bfe_u32 v57, v33, 16, 7
	s_movk_i32 s10, 0x7f
	v_cmp_ne_u32_e32 vcc, s10, v57
	v_mov_b32_e32 v56, 0x7f80
	s_and_saveexec_b64 s[10:11], vcc
	s_cbranch_execz .LBB882_99
; %bb.98:
	v_and_b32_e32 v56, 7, v30
	v_ffbh_u32_e32 v58, v56
	v_min_u32_e32 v61, 32, v58
	v_subrev_u32_e32 v58, 28, v61
	v_lshlrev_b64 v[58:59], v58, v[30:31]
	v_lshrrev_b32_e32 v60, 3, v57
	v_sub_u32_e32 v30, 29, v61
	v_and_b32_e32 v58, 7, v58
	v_cmp_gt_u32_e32 vcc, 8, v57
	v_mov_b32_e32 v57, 24
	v_cndmask_b32_e32 v30, v60, v30, vcc
	v_cndmask_b32_e32 v56, v56, v58, vcc
	v_lshlrev_b32_sdwa v57, v57, v33 dst_sel:DWORD dst_unused:UNUSED_PAD src0_sel:DWORD src1_sel:WORD_1
	v_bfrev_b32_e32 v58, 60
	v_lshlrev_b32_e32 v56, 20, v56
	v_and_b32_e32 v57, 0x80000000, v57
	v_lshl_add_u32 v30, v30, 23, v58
	v_or3_b32 v30, v57, v30, v56
	v_lshrrev_b32_e32 v56, 16, v30
.LBB882_99:
	s_or_b64 exec, exec, s[10:11]
.LBB882_100:
	s_or_b64 exec, exec, s[8:9]
.LBB882_101:
	s_or_b64 exec, exec, s[2:3]
	s_mov_b32 s2, 0xffffff
	v_cmp_lt_u32_e32 vcc, s2, v33
	s_and_saveexec_b64 s[2:3], vcc
	s_cbranch_execz .LBB882_107
; %bb.102:
	v_lshrrev_b32_e32 v30, 24, v33
	s_movk_i32 s8, 0x80
	v_cmp_ne_u32_e32 vcc, s8, v30
	v_mov_b32_e32 v55, 0xffff8000
	s_and_saveexec_b64 s[8:9], vcc
	s_cbranch_execz .LBB882_106
; %bb.103:
	v_bfe_u32 v33, v33, 24, 7
	s_movk_i32 s10, 0x7f
	v_cmp_ne_u32_e32 vcc, s10, v33
	v_mov_b32_e32 v55, 0x7f80
	s_and_saveexec_b64 s[10:11], vcc
	s_cbranch_execz .LBB882_105
; %bb.104:
	v_and_b32_e32 v55, 7, v30
	v_ffbh_u32_e32 v58, v55
	v_min_u32_e32 v60, 32, v58
	v_subrev_u32_e32 v58, 28, v60
	v_lshlrev_b64 v[58:59], v58, v[30:31]
	v_lshrrev_b32_e32 v57, 3, v33
	v_sub_u32_e32 v59, 29, v60
	v_and_b32_e32 v58, 7, v58
	v_cmp_gt_u32_e32 vcc, 8, v33
	v_cndmask_b32_e32 v33, v57, v59, vcc
	v_cndmask_b32_e32 v55, v55, v58, vcc
	v_lshlrev_b32_e32 v30, 24, v30
	v_bfrev_b32_e32 v57, 60
	v_lshlrev_b32_e32 v55, 20, v55
	v_and_b32_e32 v30, 0x80000000, v30
	v_lshl_add_u32 v33, v33, 23, v57
	v_or3_b32 v30, v30, v33, v55
	v_lshrrev_b32_e32 v55, 16, v30
.LBB882_105:
	s_or_b64 exec, exec, s[10:11]
.LBB882_106:
	s_or_b64 exec, exec, s[8:9]
.LBB882_107:
	s_or_b64 exec, exec, s[2:3]
	s_mov_b32 s2, 0x5040100
	v_perm_b32 v53, v52, v53, s2
	v_perm_b32 v52, v31, v51, s2
	;; [unrolled: 1-line block ×4, first 2 shown]
	v_mfma_f32_16x16x16bf16_1k v[58:61], v[52:53], v[18:19], v[42:45]
	s_nop 6
	v_mov_b32_e32 v43, 0
	s_waitcnt vmcnt(6)
	v_cmp_ne_u16_sdwa s[8:9], v38, v43 src0_sel:BYTE_0 src1_sel:DWORD
	v_mfma_f32_16x16x16bf16_1k v[30:33], v[30:31], v[20:21], v[58:61]
	v_mov_b32_e32 v44, 0
	s_and_saveexec_b64 s[2:3], s[8:9]
	s_cbranch_execz .LBB882_113
; %bb.108:
	s_movk_i32 s8, 0x80
	v_cmp_ne_u16_sdwa s[10:11], v38, s8 src0_sel:BYTE_0 src1_sel:DWORD
	v_mov_b32_e32 v44, 0xffff8000
	s_and_saveexec_b64 s[8:9], s[10:11]
	s_cbranch_execz .LBB882_112
; %bb.109:
	s_movk_i32 s10, 0x7f
	v_and_b32_e32 v42, 0x7f, v38
	v_cmp_ne_u32_e32 vcc, s10, v42
	v_mov_b32_e32 v44, 0x7f80
	s_and_saveexec_b64 s[10:11], vcc
	s_cbranch_execz .LBB882_111
; %bb.110:
	v_and_b32_e32 v51, 7, v38
	v_ffbh_u32_e32 v44, v51
	v_min_u32_e32 v53, 32, v44
	v_subrev_u32_e32 v44, 28, v53
	v_lshlrev_b64 v[44:45], v44, v[38:39]
	v_lshrrev_b32_e32 v52, 3, v42
	v_sub_u32_e32 v45, 29, v53
	v_and_b32_e32 v44, 7, v44
	v_cmp_gt_u32_e32 vcc, 8, v42
	v_cndmask_b32_e32 v42, v52, v45, vcc
	v_cndmask_b32_e32 v44, v51, v44, vcc
	v_lshlrev_b32_e32 v45, 24, v38
	v_bfrev_b32_e32 v51, 60
	v_lshlrev_b32_e32 v44, 20, v44
	v_and_b32_e32 v45, 0x80000000, v45
	v_lshl_add_u32 v42, v42, 23, v51
	v_or3_b32 v42, v45, v42, v44
	v_lshrrev_b32_e32 v44, 16, v42
.LBB882_111:
	s_or_b64 exec, exec, s[10:11]
.LBB882_112:
	s_or_b64 exec, exec, s[8:9]
.LBB882_113:
	s_or_b64 exec, exec, s[2:3]
	v_lshrrev_b16_e32 v42, 8, v38
	v_cmp_ne_u16_e32 vcc, 0, v42
	s_and_saveexec_b64 s[2:3], vcc
	s_cbranch_execz .LBB882_119
; %bb.114:
	s_movk_i32 s8, 0x80
	v_cmp_ne_u16_e32 vcc, s8, v42
	v_mov_b32_e32 v43, 0xffff8000
	s_and_saveexec_b64 s[8:9], vcc
	s_cbranch_execz .LBB882_118
; %bb.115:
	s_movk_i32 s10, 0x7f
	v_and_b32_e32 v45, 0x7f, v42
	v_cmp_ne_u32_e32 vcc, s10, v45
	v_mov_b32_e32 v43, 0x7f80
	s_and_saveexec_b64 s[10:11], vcc
	s_cbranch_execz .LBB882_117
; %bb.116:
	v_and_b32_e32 v51, 7, v42
	v_ffbh_u32_e32 v43, v51
	v_min_u32_e32 v53, 32, v43
	v_subrev_u32_e32 v43, 28, v53
	v_lshlrev_b64 v[42:43], v43, v[42:43]
	v_lshrrev_b32_e32 v52, 3, v45
	v_sub_u32_e32 v43, 29, v53
	v_and_b32_e32 v42, 7, v42
	v_cmp_gt_u32_e32 vcc, 8, v45
	v_cndmask_b32_e32 v43, v52, v43, vcc
	v_cndmask_b32_e32 v42, v51, v42, vcc
	v_lshlrev_b32_e32 v45, 16, v38
	v_bfrev_b32_e32 v51, 60
	v_lshlrev_b32_e32 v42, 20, v42
	v_and_b32_e32 v45, 0x80000000, v45
	v_lshl_add_u32 v43, v43, 23, v51
	v_or3_b32 v42, v45, v43, v42
	v_lshrrev_b32_e32 v43, 16, v42
.LBB882_117:
	s_or_b64 exec, exec, s[10:11]
.LBB882_118:
	s_or_b64 exec, exec, s[8:9]
.LBB882_119:
	s_or_b64 exec, exec, s[2:3]
	s_movk_i32 s2, 0xff
	v_and_b32_sdwa v52, v38, s2 dst_sel:DWORD dst_unused:UNUSED_PAD src0_sel:WORD_1 src1_sel:DWORD
	v_lshrrev_b32_e32 v42, 16, v38
	v_cmp_ne_u16_e32 vcc, 0, v52
	v_mov_b32_e32 v45, 0
	v_mov_b32_e32 v51, 0
	s_and_saveexec_b64 s[2:3], vcc
	s_cbranch_execz .LBB882_125
; %bb.120:
	s_movk_i32 s8, 0x80
	v_cmp_ne_u16_e32 vcc, s8, v52
	v_mov_b32_e32 v51, 0xffff8000
	s_and_saveexec_b64 s[8:9], vcc
	s_cbranch_execz .LBB882_124
; %bb.121:
	v_bfe_u32 v52, v38, 16, 7
	s_movk_i32 s10, 0x7f
	v_cmp_ne_u32_e32 vcc, s10, v52
	v_mov_b32_e32 v51, 0x7f80
	s_and_saveexec_b64 s[10:11], vcc
	s_cbranch_execz .LBB882_123
; %bb.122:
	v_and_b32_e32 v51, 7, v42
	v_ffbh_u32_e32 v54, v51
	v_min_u32_e32 v56, 32, v54
	v_subrev_u32_e32 v54, 28, v56
	v_lshlrev_b64 v[54:55], v54, v[42:43]
	v_lshrrev_b32_e32 v53, 3, v52
	v_sub_u32_e32 v42, 29, v56
	v_and_b32_e32 v54, 7, v54
	v_cmp_gt_u32_e32 vcc, 8, v52
	v_mov_b32_e32 v52, 24
	v_cndmask_b32_e32 v42, v53, v42, vcc
	v_cndmask_b32_e32 v51, v51, v54, vcc
	v_lshlrev_b32_sdwa v52, v52, v38 dst_sel:DWORD dst_unused:UNUSED_PAD src0_sel:DWORD src1_sel:WORD_1
	v_bfrev_b32_e32 v53, 60
	v_lshlrev_b32_e32 v51, 20, v51
	v_and_b32_e32 v52, 0x80000000, v52
	v_lshl_add_u32 v42, v42, 23, v53
	v_or3_b32 v42, v52, v42, v51
	v_lshrrev_b32_e32 v51, 16, v42
.LBB882_123:
	s_or_b64 exec, exec, s[10:11]
.LBB882_124:
	s_or_b64 exec, exec, s[8:9]
.LBB882_125:
	s_or_b64 exec, exec, s[2:3]
	s_mov_b32 s2, 0xffffff
	v_cmp_lt_u32_e32 vcc, s2, v38
	s_and_saveexec_b64 s[2:3], vcc
	s_cbranch_execz .LBB882_131
; %bb.126:
	v_lshrrev_b32_e32 v42, 24, v38
	s_movk_i32 s8, 0x80
	v_cmp_ne_u32_e32 vcc, s8, v42
	v_mov_b32_e32 v45, 0xffff8000
	s_and_saveexec_b64 s[8:9], vcc
	s_cbranch_execz .LBB882_130
; %bb.127:
	v_bfe_u32 v38, v38, 24, 7
	s_movk_i32 s10, 0x7f
	v_cmp_ne_u32_e32 vcc, s10, v38
	v_mov_b32_e32 v45, 0x7f80
	s_and_saveexec_b64 s[10:11], vcc
	s_cbranch_execz .LBB882_129
; %bb.128:
	v_and_b32_e32 v45, 7, v42
	v_ffbh_u32_e32 v52, v45
	v_min_u32_e32 v55, 32, v52
	v_subrev_u32_e32 v52, 28, v55
	v_lshlrev_b64 v[52:53], v52, v[42:43]
	v_lshrrev_b32_e32 v54, 3, v38
	v_sub_u32_e32 v53, 29, v55
	v_and_b32_e32 v52, 7, v52
	v_cmp_gt_u32_e32 vcc, 8, v38
	v_cndmask_b32_e32 v38, v54, v53, vcc
	v_cndmask_b32_e32 v45, v45, v52, vcc
	v_lshlrev_b32_e32 v42, 24, v42
	v_bfrev_b32_e32 v52, 60
	v_lshlrev_b32_e32 v45, 20, v45
	v_and_b32_e32 v42, 0x80000000, v42
	v_lshl_add_u32 v38, v38, 23, v52
	v_or3_b32 v38, v42, v38, v45
	v_lshrrev_b32_e32 v45, 16, v38
.LBB882_129:
	s_or_b64 exec, exec, s[10:11]
.LBB882_130:
	s_or_b64 exec, exec, s[8:9]
.LBB882_131:
	s_or_b64 exec, exec, s[2:3]
	v_mov_b32_e32 v42, 0
	v_cmp_ne_u16_sdwa s[8:9], v39, v42 src0_sel:BYTE_0 src1_sel:DWORD
	v_mov_b32_e32 v52, 0
	s_and_saveexec_b64 s[2:3], s[8:9]
	s_cbranch_execz .LBB882_137
; %bb.132:
	s_movk_i32 s8, 0x80
	v_cmp_ne_u16_sdwa s[10:11], v39, s8 src0_sel:BYTE_0 src1_sel:DWORD
	v_mov_b32_e32 v52, 0xffff8000
	s_and_saveexec_b64 s[8:9], s[10:11]
	s_cbranch_execz .LBB882_136
; %bb.133:
	s_movk_i32 s10, 0x7f
	v_and_b32_e32 v38, 0x7f, v39
	v_cmp_ne_u32_e32 vcc, s10, v38
	v_mov_b32_e32 v52, 0x7f80
	s_and_saveexec_b64 s[10:11], vcc
	s_cbranch_execz .LBB882_135
; %bb.134:
	v_and_b32_e32 v54, 7, v39
	v_ffbh_u32_e32 v53, v54
	v_min_u32_e32 v56, 32, v53
	v_mov_b32_e32 v52, v39
	v_subrev_u32_e32 v53, 28, v56
	v_lshlrev_b64 v[52:53], v53, v[52:53]
	v_lshrrev_b32_e32 v55, 3, v38
	v_sub_u32_e32 v53, 29, v56
	v_and_b32_e32 v52, 7, v52
	v_cmp_gt_u32_e32 vcc, 8, v38
	v_cndmask_b32_e32 v38, v55, v53, vcc
	v_cndmask_b32_e32 v52, v54, v52, vcc
	v_lshlrev_b32_e32 v53, 24, v39
	v_bfrev_b32_e32 v54, 60
	v_lshlrev_b32_e32 v52, 20, v52
	v_and_b32_e32 v53, 0x80000000, v53
	v_lshl_add_u32 v38, v38, 23, v54
	v_or3_b32 v38, v53, v38, v52
	v_lshrrev_b32_e32 v52, 16, v38
.LBB882_135:
	s_or_b64 exec, exec, s[10:11]
.LBB882_136:
	s_or_b64 exec, exec, s[8:9]
.LBB882_137:
	s_or_b64 exec, exec, s[2:3]
	v_lshrrev_b16_e32 v38, 8, v39
	v_cmp_ne_u16_e32 vcc, 0, v38
	s_and_saveexec_b64 s[2:3], vcc
	s_cbranch_execz .LBB882_143
; %bb.138:
	s_movk_i32 s8, 0x80
	v_cmp_ne_u16_e32 vcc, s8, v38
	v_mov_b32_e32 v42, 0xffff8000
	s_and_saveexec_b64 s[8:9], vcc
	s_cbranch_execz .LBB882_142
; %bb.139:
	s_movk_i32 s10, 0x7f
	v_and_b32_e32 v53, 0x7f, v38
	v_cmp_ne_u32_e32 vcc, s10, v53
	v_mov_b32_e32 v42, 0x7f80
	s_and_saveexec_b64 s[10:11], vcc
	s_cbranch_execz .LBB882_141
; %bb.140:
	v_and_b32_e32 v42, 7, v38
	v_ffbh_u32_e32 v54, v42
	v_min_u32_e32 v57, 32, v54
	v_subrev_u32_e32 v54, 28, v57
	v_lshlrev_b64 v[54:55], v54, v[38:39]
	v_lshrrev_b32_e32 v56, 3, v53
	v_sub_u32_e32 v38, 29, v57
	v_and_b32_e32 v54, 7, v54
	v_cmp_gt_u32_e32 vcc, 8, v53
	v_cndmask_b32_e32 v38, v56, v38, vcc
	v_cndmask_b32_e32 v42, v42, v54, vcc
	v_lshlrev_b32_e32 v53, 16, v39
	v_bfrev_b32_e32 v54, 60
	v_lshlrev_b32_e32 v42, 20, v42
	v_and_b32_e32 v53, 0x80000000, v53
	v_lshl_add_u32 v38, v38, 23, v54
	v_or3_b32 v38, v53, v38, v42
	v_lshrrev_b32_e32 v42, 16, v38
.LBB882_141:
	s_or_b64 exec, exec, s[10:11]
.LBB882_142:
	s_or_b64 exec, exec, s[8:9]
.LBB882_143:
	s_or_b64 exec, exec, s[2:3]
	s_movk_i32 s2, 0xff
	v_and_b32_sdwa v55, v39, s2 dst_sel:DWORD dst_unused:UNUSED_PAD src0_sel:WORD_1 src1_sel:DWORD
	v_lshrrev_b32_e32 v38, 16, v39
	v_cmp_ne_u16_e32 vcc, 0, v55
	v_mov_b32_e32 v53, 0
	v_mov_b32_e32 v54, 0
	s_and_saveexec_b64 s[2:3], vcc
	s_cbranch_execz .LBB882_149
; %bb.144:
	s_movk_i32 s8, 0x80
	v_cmp_ne_u16_e32 vcc, s8, v55
	v_mov_b32_e32 v54, 0xffff8000
	s_and_saveexec_b64 s[8:9], vcc
	s_cbranch_execz .LBB882_148
; %bb.145:
	v_bfe_u32 v55, v39, 16, 7
	s_movk_i32 s10, 0x7f
	v_cmp_ne_u32_e32 vcc, s10, v55
	v_mov_b32_e32 v54, 0x7f80
	s_and_saveexec_b64 s[10:11], vcc
	s_cbranch_execz .LBB882_147
; %bb.146:
	v_and_b32_e32 v54, 7, v38
	v_ffbh_u32_e32 v56, v54
	v_min_u32_e32 v59, 32, v56
	v_subrev_u32_e32 v56, 28, v59
	v_lshlrev_b64 v[56:57], v56, v[38:39]
	v_lshrrev_b32_e32 v58, 3, v55
	v_sub_u32_e32 v38, 29, v59
	v_and_b32_e32 v56, 7, v56
	v_cmp_gt_u32_e32 vcc, 8, v55
	v_mov_b32_e32 v55, 24
	v_cndmask_b32_e32 v38, v58, v38, vcc
	v_cndmask_b32_e32 v54, v54, v56, vcc
	v_lshlrev_b32_sdwa v55, v55, v39 dst_sel:DWORD dst_unused:UNUSED_PAD src0_sel:DWORD src1_sel:WORD_1
	v_bfrev_b32_e32 v56, 60
	v_lshlrev_b32_e32 v54, 20, v54
	v_and_b32_e32 v55, 0x80000000, v55
	v_lshl_add_u32 v38, v38, 23, v56
	v_or3_b32 v38, v55, v38, v54
	v_lshrrev_b32_e32 v54, 16, v38
.LBB882_147:
	s_or_b64 exec, exec, s[10:11]
.LBB882_148:
	s_or_b64 exec, exec, s[8:9]
.LBB882_149:
	s_or_b64 exec, exec, s[2:3]
	s_mov_b32 s2, 0xffffff
	v_cmp_lt_u32_e32 vcc, s2, v39
	s_and_saveexec_b64 s[2:3], vcc
	s_cbranch_execz .LBB882_155
; %bb.150:
	v_lshrrev_b32_e32 v38, 24, v39
	s_movk_i32 s8, 0x80
	v_cmp_ne_u32_e32 vcc, s8, v38
	v_mov_b32_e32 v53, 0xffff8000
	s_and_saveexec_b64 s[8:9], vcc
	s_cbranch_execz .LBB882_154
; %bb.151:
	v_bfe_u32 v39, v39, 24, 7
	s_movk_i32 s10, 0x7f
	v_cmp_ne_u32_e32 vcc, s10, v39
	v_mov_b32_e32 v53, 0x7f80
	s_and_saveexec_b64 s[10:11], vcc
	s_cbranch_execz .LBB882_153
; %bb.152:
	v_and_b32_e32 v53, 7, v38
	v_ffbh_u32_e32 v56, v53
	v_min_u32_e32 v58, 32, v56
	v_subrev_u32_e32 v56, 28, v58
	v_lshlrev_b64 v[56:57], v56, v[38:39]
	v_lshrrev_b32_e32 v55, 3, v39
	v_sub_u32_e32 v57, 29, v58
	v_and_b32_e32 v56, 7, v56
	v_cmp_gt_u32_e32 vcc, 8, v39
	v_cndmask_b32_e32 v39, v55, v57, vcc
	v_cndmask_b32_e32 v53, v53, v56, vcc
	v_lshlrev_b32_e32 v38, 24, v38
	v_bfrev_b32_e32 v55, 60
	v_lshlrev_b32_e32 v53, 20, v53
	v_and_b32_e32 v38, 0x80000000, v38
	v_lshl_add_u32 v39, v39, 23, v55
	v_or3_b32 v38, v38, v39, v53
	v_lshrrev_b32_e32 v53, 16, v38
.LBB882_153:
	s_or_b64 exec, exec, s[10:11]
.LBB882_154:
	s_or_b64 exec, exec, s[8:9]
.LBB882_155:
	s_or_b64 exec, exec, s[2:3]
	s_mov_b32 s2, 0x5040100
	v_perm_b32 v39, v45, v51, s2
	v_perm_b32 v38, v43, v44, s2
	;; [unrolled: 1-line block ×4, first 2 shown]
	v_mov_b32_e32 v51, 0
	v_mfma_f32_16x16x16bf16_1k v[56:59], v[38:39], v[26:27], 0
	v_mov_b32_e32 v39, 0
	v_cmp_ne_u16_sdwa s[8:9], v40, v39 src0_sel:BYTE_0 src1_sel:DWORD
	v_mfma_f32_16x16x16bf16_1k v[42:45], v[42:43], v[28:29], v[56:59]
	s_and_saveexec_b64 s[2:3], s[8:9]
	s_cbranch_execz .LBB882_161
; %bb.156:
	s_movk_i32 s8, 0x80
	v_cmp_ne_u16_sdwa s[10:11], v40, s8 src0_sel:BYTE_0 src1_sel:DWORD
	v_mov_b32_e32 v51, 0xffff8000
	s_and_saveexec_b64 s[8:9], s[10:11]
	s_cbranch_execz .LBB882_160
; %bb.157:
	s_movk_i32 s10, 0x7f
	v_and_b32_e32 v38, 0x7f, v40
	v_cmp_ne_u32_e32 vcc, s10, v38
	v_mov_b32_e32 v51, 0x7f80
	s_and_saveexec_b64 s[10:11], vcc
	s_cbranch_execz .LBB882_159
; %bb.158:
	v_and_b32_e32 v51, 7, v40
	v_ffbh_u32_e32 v52, v51
	v_min_u32_e32 v55, 32, v52
	v_subrev_u32_e32 v52, 28, v55
	v_lshlrev_b64 v[52:53], v52, v[40:41]
	v_lshrrev_b32_e32 v54, 3, v38
	v_sub_u32_e32 v53, 29, v55
	v_and_b32_e32 v52, 7, v52
	v_cmp_gt_u32_e32 vcc, 8, v38
	v_cndmask_b32_e32 v38, v54, v53, vcc
	v_cndmask_b32_e32 v51, v51, v52, vcc
	v_lshlrev_b32_e32 v52, 24, v40
	v_bfrev_b32_e32 v53, 60
	v_lshlrev_b32_e32 v51, 20, v51
	v_and_b32_e32 v52, 0x80000000, v52
	v_lshl_add_u32 v38, v38, 23, v53
	v_or3_b32 v38, v52, v38, v51
	v_lshrrev_b32_e32 v51, 16, v38
.LBB882_159:
	s_or_b64 exec, exec, s[10:11]
.LBB882_160:
	s_or_b64 exec, exec, s[8:9]
.LBB882_161:
	s_or_b64 exec, exec, s[2:3]
	v_lshrrev_b16_e32 v38, 8, v40
	v_cmp_ne_u16_e32 vcc, 0, v38
	s_and_saveexec_b64 s[2:3], vcc
	s_cbranch_execz .LBB882_167
; %bb.162:
	s_movk_i32 s8, 0x80
	v_cmp_ne_u16_e32 vcc, s8, v38
	v_mov_b32_e32 v39, 0xffff8000
	s_and_saveexec_b64 s[8:9], vcc
	s_cbranch_execz .LBB882_166
; %bb.163:
	s_movk_i32 s10, 0x7f
	v_and_b32_e32 v52, 0x7f, v38
	v_cmp_ne_u32_e32 vcc, s10, v52
	v_mov_b32_e32 v39, 0x7f80
	s_and_saveexec_b64 s[10:11], vcc
	s_cbranch_execz .LBB882_165
; %bb.164:
	v_and_b32_e32 v53, 7, v38
	v_ffbh_u32_e32 v39, v53
	v_min_u32_e32 v55, 32, v39
	v_subrev_u32_e32 v39, 28, v55
	v_lshlrev_b64 v[38:39], v39, v[38:39]
	v_lshrrev_b32_e32 v54, 3, v52
	v_sub_u32_e32 v39, 29, v55
	v_and_b32_e32 v38, 7, v38
	v_cmp_gt_u32_e32 vcc, 8, v52
	v_cndmask_b32_e32 v39, v54, v39, vcc
	v_cndmask_b32_e32 v38, v53, v38, vcc
	v_lshlrev_b32_e32 v52, 16, v40
	v_bfrev_b32_e32 v53, 60
	v_lshlrev_b32_e32 v38, 20, v38
	v_and_b32_e32 v52, 0x80000000, v52
	v_lshl_add_u32 v39, v39, 23, v53
	v_or3_b32 v38, v52, v39, v38
	v_lshrrev_b32_e32 v39, 16, v38
.LBB882_165:
	s_or_b64 exec, exec, s[10:11]
.LBB882_166:
	s_or_b64 exec, exec, s[8:9]
.LBB882_167:
	s_or_b64 exec, exec, s[2:3]
	s_movk_i32 s2, 0xff
	v_and_b32_sdwa v54, v40, s2 dst_sel:DWORD dst_unused:UNUSED_PAD src0_sel:WORD_1 src1_sel:DWORD
	v_lshrrev_b32_e32 v38, 16, v40
	v_cmp_ne_u16_e32 vcc, 0, v54
	v_mov_b32_e32 v52, 0
	v_mov_b32_e32 v53, 0
	s_and_saveexec_b64 s[2:3], vcc
	s_cbranch_execz .LBB882_173
; %bb.168:
	s_movk_i32 s8, 0x80
	v_cmp_ne_u16_e32 vcc, s8, v54
	v_mov_b32_e32 v53, 0xffff8000
	s_and_saveexec_b64 s[8:9], vcc
	s_cbranch_execz .LBB882_172
; %bb.169:
	v_bfe_u32 v54, v40, 16, 7
	s_movk_i32 s10, 0x7f
	v_cmp_ne_u32_e32 vcc, s10, v54
	v_mov_b32_e32 v53, 0x7f80
	s_and_saveexec_b64 s[10:11], vcc
	s_cbranch_execz .LBB882_171
; %bb.170:
	v_and_b32_e32 v53, 7, v38
	v_ffbh_u32_e32 v56, v53
	v_min_u32_e32 v58, 32, v56
	v_subrev_u32_e32 v56, 28, v58
	v_lshlrev_b64 v[56:57], v56, v[38:39]
	v_lshrrev_b32_e32 v55, 3, v54
	v_sub_u32_e32 v38, 29, v58
	v_and_b32_e32 v56, 7, v56
	v_cmp_gt_u32_e32 vcc, 8, v54
	v_mov_b32_e32 v54, 24
	v_cndmask_b32_e32 v38, v55, v38, vcc
	v_cndmask_b32_e32 v53, v53, v56, vcc
	v_lshlrev_b32_sdwa v54, v54, v40 dst_sel:DWORD dst_unused:UNUSED_PAD src0_sel:DWORD src1_sel:WORD_1
	v_bfrev_b32_e32 v55, 60
	v_lshlrev_b32_e32 v53, 20, v53
	v_and_b32_e32 v54, 0x80000000, v54
	v_lshl_add_u32 v38, v38, 23, v55
	v_or3_b32 v38, v54, v38, v53
	v_lshrrev_b32_e32 v53, 16, v38
.LBB882_171:
	s_or_b64 exec, exec, s[10:11]
.LBB882_172:
	s_or_b64 exec, exec, s[8:9]
.LBB882_173:
	s_or_b64 exec, exec, s[2:3]
	s_mov_b32 s2, 0xffffff
	v_cmp_lt_u32_e32 vcc, s2, v40
	s_and_saveexec_b64 s[2:3], vcc
	s_cbranch_execz .LBB882_179
; %bb.174:
	v_lshrrev_b32_e32 v38, 24, v40
	s_movk_i32 s8, 0x80
	v_cmp_ne_u32_e32 vcc, s8, v38
	v_mov_b32_e32 v52, 0xffff8000
	s_and_saveexec_b64 s[8:9], vcc
	s_cbranch_execz .LBB882_178
; %bb.175:
	v_bfe_u32 v40, v40, 24, 7
	s_movk_i32 s10, 0x7f
	v_cmp_ne_u32_e32 vcc, s10, v40
	v_mov_b32_e32 v52, 0x7f80
	s_and_saveexec_b64 s[10:11], vcc
	s_cbranch_execz .LBB882_177
; %bb.176:
	v_and_b32_e32 v52, 7, v38
	v_ffbh_u32_e32 v54, v52
	v_min_u32_e32 v57, 32, v54
	v_subrev_u32_e32 v54, 28, v57
	v_lshlrev_b64 v[54:55], v54, v[38:39]
	v_lshrrev_b32_e32 v56, 3, v40
	v_sub_u32_e32 v55, 29, v57
	v_and_b32_e32 v54, 7, v54
	v_cmp_gt_u32_e32 vcc, 8, v40
	v_cndmask_b32_e32 v40, v56, v55, vcc
	v_cndmask_b32_e32 v52, v52, v54, vcc
	v_lshlrev_b32_e32 v38, 24, v38
	v_bfrev_b32_e32 v54, 60
	v_lshlrev_b32_e32 v52, 20, v52
	v_and_b32_e32 v38, 0x80000000, v38
	v_lshl_add_u32 v40, v40, 23, v54
	v_or3_b32 v38, v38, v40, v52
	v_lshrrev_b32_e32 v52, 16, v38
.LBB882_177:
	s_or_b64 exec, exec, s[10:11]
.LBB882_178:
	s_or_b64 exec, exec, s[8:9]
.LBB882_179:
	s_or_b64 exec, exec, s[2:3]
	v_mov_b32_e32 v40, 0
	v_cmp_ne_u16_sdwa s[8:9], v41, v40 src0_sel:BYTE_0 src1_sel:DWORD
	v_mov_b32_e32 v54, 0
	s_and_saveexec_b64 s[2:3], s[8:9]
	s_cbranch_execz .LBB882_185
; %bb.180:
	s_movk_i32 s8, 0x80
	v_cmp_ne_u16_sdwa s[10:11], v41, s8 src0_sel:BYTE_0 src1_sel:DWORD
	v_mov_b32_e32 v54, 0xffff8000
	s_and_saveexec_b64 s[8:9], s[10:11]
	s_cbranch_execz .LBB882_184
; %bb.181:
	s_movk_i32 s10, 0x7f
	v_and_b32_e32 v38, 0x7f, v41
	v_cmp_ne_u32_e32 vcc, s10, v38
	v_mov_b32_e32 v54, 0x7f80
	s_and_saveexec_b64 s[10:11], vcc
	s_cbranch_execz .LBB882_183
; %bb.182:
	v_and_b32_e32 v56, 7, v41
	v_ffbh_u32_e32 v55, v56
	v_min_u32_e32 v58, 32, v55
	v_mov_b32_e32 v54, v41
	v_subrev_u32_e32 v55, 28, v58
	v_lshlrev_b64 v[54:55], v55, v[54:55]
	v_lshrrev_b32_e32 v57, 3, v38
	v_sub_u32_e32 v55, 29, v58
	v_and_b32_e32 v54, 7, v54
	v_cmp_gt_u32_e32 vcc, 8, v38
	v_cndmask_b32_e32 v38, v57, v55, vcc
	v_cndmask_b32_e32 v54, v56, v54, vcc
	v_lshlrev_b32_e32 v55, 24, v41
	v_bfrev_b32_e32 v56, 60
	v_lshlrev_b32_e32 v54, 20, v54
	v_and_b32_e32 v55, 0x80000000, v55
	v_lshl_add_u32 v38, v38, 23, v56
	v_or3_b32 v38, v55, v38, v54
	v_lshrrev_b32_e32 v54, 16, v38
.LBB882_183:
	s_or_b64 exec, exec, s[10:11]
.LBB882_184:
	s_or_b64 exec, exec, s[8:9]
.LBB882_185:
	s_or_b64 exec, exec, s[2:3]
	v_lshrrev_b16_e32 v38, 8, v41
	v_cmp_ne_u16_e32 vcc, 0, v38
	s_and_saveexec_b64 s[2:3], vcc
	s_cbranch_execz .LBB882_191
; %bb.186:
	s_movk_i32 s8, 0x80
	v_cmp_ne_u16_e32 vcc, s8, v38
	v_mov_b32_e32 v40, 0xffff8000
	s_and_saveexec_b64 s[8:9], vcc
	s_cbranch_execz .LBB882_190
; %bb.187:
	s_movk_i32 s10, 0x7f
	v_and_b32_e32 v55, 0x7f, v38
	v_cmp_ne_u32_e32 vcc, s10, v55
	v_mov_b32_e32 v40, 0x7f80
	s_and_saveexec_b64 s[10:11], vcc
	s_cbranch_execz .LBB882_189
; %bb.188:
	v_and_b32_e32 v40, 7, v38
	v_ffbh_u32_e32 v56, v40
	v_min_u32_e32 v59, 32, v56
	v_subrev_u32_e32 v56, 28, v59
	v_lshlrev_b64 v[56:57], v56, v[38:39]
	v_lshrrev_b32_e32 v58, 3, v55
	v_sub_u32_e32 v38, 29, v59
	v_and_b32_e32 v56, 7, v56
	v_cmp_gt_u32_e32 vcc, 8, v55
	v_cndmask_b32_e32 v38, v58, v38, vcc
	v_cndmask_b32_e32 v40, v40, v56, vcc
	v_lshlrev_b32_e32 v55, 16, v41
	v_bfrev_b32_e32 v56, 60
	v_lshlrev_b32_e32 v40, 20, v40
	v_and_b32_e32 v55, 0x80000000, v55
	v_lshl_add_u32 v38, v38, 23, v56
	v_or3_b32 v38, v55, v38, v40
	v_lshrrev_b32_e32 v40, 16, v38
.LBB882_189:
	s_or_b64 exec, exec, s[10:11]
.LBB882_190:
	s_or_b64 exec, exec, s[8:9]
.LBB882_191:
	s_or_b64 exec, exec, s[2:3]
	s_movk_i32 s2, 0xff
	v_and_b32_sdwa v57, v41, s2 dst_sel:DWORD dst_unused:UNUSED_PAD src0_sel:WORD_1 src1_sel:DWORD
	v_lshrrev_b32_e32 v38, 16, v41
	v_cmp_ne_u16_e32 vcc, 0, v57
	v_mov_b32_e32 v55, 0
	v_mov_b32_e32 v56, 0
	s_and_saveexec_b64 s[2:3], vcc
	s_cbranch_execz .LBB882_197
; %bb.192:
	s_movk_i32 s8, 0x80
	v_cmp_ne_u16_e32 vcc, s8, v57
	v_mov_b32_e32 v56, 0xffff8000
	s_and_saveexec_b64 s[8:9], vcc
	s_cbranch_execz .LBB882_196
; %bb.193:
	v_bfe_u32 v57, v41, 16, 7
	s_movk_i32 s10, 0x7f
	v_cmp_ne_u32_e32 vcc, s10, v57
	v_mov_b32_e32 v56, 0x7f80
	s_and_saveexec_b64 s[10:11], vcc
	s_cbranch_execz .LBB882_195
; %bb.194:
	v_and_b32_e32 v56, 7, v38
	v_ffbh_u32_e32 v58, v56
	v_min_u32_e32 v61, 32, v58
	v_subrev_u32_e32 v58, 28, v61
	v_lshlrev_b64 v[58:59], v58, v[38:39]
	v_lshrrev_b32_e32 v60, 3, v57
	v_sub_u32_e32 v38, 29, v61
	v_and_b32_e32 v58, 7, v58
	v_cmp_gt_u32_e32 vcc, 8, v57
	v_mov_b32_e32 v57, 24
	v_cndmask_b32_e32 v38, v60, v38, vcc
	v_cndmask_b32_e32 v56, v56, v58, vcc
	v_lshlrev_b32_sdwa v57, v57, v41 dst_sel:DWORD dst_unused:UNUSED_PAD src0_sel:DWORD src1_sel:WORD_1
	v_bfrev_b32_e32 v58, 60
	v_lshlrev_b32_e32 v56, 20, v56
	v_and_b32_e32 v57, 0x80000000, v57
	v_lshl_add_u32 v38, v38, 23, v58
	v_or3_b32 v38, v57, v38, v56
	v_lshrrev_b32_e32 v56, 16, v38
.LBB882_195:
	s_or_b64 exec, exec, s[10:11]
.LBB882_196:
	s_or_b64 exec, exec, s[8:9]
.LBB882_197:
	s_or_b64 exec, exec, s[2:3]
	s_mov_b32 s2, 0xffffff
	v_cmp_lt_u32_e32 vcc, s2, v41
	s_and_saveexec_b64 s[2:3], vcc
	s_cbranch_execz .LBB882_203
; %bb.198:
	v_lshrrev_b32_e32 v38, 24, v41
	s_movk_i32 s8, 0x80
	v_cmp_ne_u32_e32 vcc, s8, v38
	v_mov_b32_e32 v55, 0xffff8000
	s_and_saveexec_b64 s[8:9], vcc
	s_cbranch_execz .LBB882_202
; %bb.199:
	v_bfe_u32 v41, v41, 24, 7
	s_movk_i32 s10, 0x7f
	v_cmp_ne_u32_e32 vcc, s10, v41
	v_mov_b32_e32 v55, 0x7f80
	s_and_saveexec_b64 s[10:11], vcc
	s_cbranch_execz .LBB882_201
; %bb.200:
	v_and_b32_e32 v55, 7, v38
	v_ffbh_u32_e32 v58, v55
	v_min_u32_e32 v60, 32, v58
	v_subrev_u32_e32 v58, 28, v60
	v_lshlrev_b64 v[58:59], v58, v[38:39]
	v_lshrrev_b32_e32 v57, 3, v41
	v_sub_u32_e32 v59, 29, v60
	v_and_b32_e32 v58, 7, v58
	v_cmp_gt_u32_e32 vcc, 8, v41
	v_cndmask_b32_e32 v41, v57, v59, vcc
	v_cndmask_b32_e32 v55, v55, v58, vcc
	v_lshlrev_b32_e32 v38, 24, v38
	v_bfrev_b32_e32 v57, 60
	v_lshlrev_b32_e32 v55, 20, v55
	v_and_b32_e32 v38, 0x80000000, v38
	v_lshl_add_u32 v41, v41, 23, v57
	v_or3_b32 v38, v38, v41, v55
	v_lshrrev_b32_e32 v55, 16, v38
.LBB882_201:
	s_or_b64 exec, exec, s[10:11]
.LBB882_202:
	s_or_b64 exec, exec, s[8:9]
.LBB882_203:
	s_or_b64 exec, exec, s[2:3]
	s_mov_b32 s2, 0x5040100
	v_perm_b32 v53, v52, v53, s2
	v_perm_b32 v52, v39, v51, s2
	;; [unrolled: 1-line block ×4, first 2 shown]
	v_mfma_f32_16x16x16bf16_1k v[58:61], v[52:53], v[18:19], v[42:45]
	s_nop 6
	v_mov_b32_e32 v43, 0
	s_waitcnt vmcnt(5)
	v_cmp_ne_u16_sdwa s[8:9], v34, v43 src0_sel:BYTE_0 src1_sel:DWORD
	v_mfma_f32_16x16x16bf16_1k v[38:41], v[38:39], v[20:21], v[58:61]
	v_mov_b32_e32 v44, 0
	s_and_saveexec_b64 s[2:3], s[8:9]
	s_cbranch_execz .LBB882_209
; %bb.204:
	s_movk_i32 s8, 0x80
	v_cmp_ne_u16_sdwa s[10:11], v34, s8 src0_sel:BYTE_0 src1_sel:DWORD
	v_mov_b32_e32 v44, 0xffff8000
	s_and_saveexec_b64 s[8:9], s[10:11]
	s_cbranch_execz .LBB882_208
; %bb.205:
	s_movk_i32 s10, 0x7f
	v_and_b32_e32 v42, 0x7f, v34
	v_cmp_ne_u32_e32 vcc, s10, v42
	v_mov_b32_e32 v44, 0x7f80
	s_and_saveexec_b64 s[10:11], vcc
	s_cbranch_execz .LBB882_207
; %bb.206:
	v_and_b32_e32 v51, 7, v34
	v_ffbh_u32_e32 v44, v51
	v_min_u32_e32 v53, 32, v44
	v_subrev_u32_e32 v44, 28, v53
	v_lshlrev_b64 v[44:45], v44, v[34:35]
	v_lshrrev_b32_e32 v52, 3, v42
	v_sub_u32_e32 v45, 29, v53
	v_and_b32_e32 v44, 7, v44
	v_cmp_gt_u32_e32 vcc, 8, v42
	v_cndmask_b32_e32 v42, v52, v45, vcc
	v_cndmask_b32_e32 v44, v51, v44, vcc
	v_lshlrev_b32_e32 v45, 24, v34
	v_bfrev_b32_e32 v51, 60
	v_lshlrev_b32_e32 v44, 20, v44
	v_and_b32_e32 v45, 0x80000000, v45
	v_lshl_add_u32 v42, v42, 23, v51
	v_or3_b32 v42, v45, v42, v44
	v_lshrrev_b32_e32 v44, 16, v42
.LBB882_207:
	s_or_b64 exec, exec, s[10:11]
.LBB882_208:
	s_or_b64 exec, exec, s[8:9]
.LBB882_209:
	s_or_b64 exec, exec, s[2:3]
	v_lshrrev_b16_e32 v42, 8, v34
	v_cmp_ne_u16_e32 vcc, 0, v42
	s_and_saveexec_b64 s[2:3], vcc
	s_cbranch_execz .LBB882_215
; %bb.210:
	s_movk_i32 s8, 0x80
	v_cmp_ne_u16_e32 vcc, s8, v42
	v_mov_b32_e32 v43, 0xffff8000
	s_and_saveexec_b64 s[8:9], vcc
	s_cbranch_execz .LBB882_214
; %bb.211:
	s_movk_i32 s10, 0x7f
	v_and_b32_e32 v45, 0x7f, v42
	v_cmp_ne_u32_e32 vcc, s10, v45
	v_mov_b32_e32 v43, 0x7f80
	s_and_saveexec_b64 s[10:11], vcc
	s_cbranch_execz .LBB882_213
; %bb.212:
	v_and_b32_e32 v51, 7, v42
	v_ffbh_u32_e32 v43, v51
	v_min_u32_e32 v53, 32, v43
	v_subrev_u32_e32 v43, 28, v53
	v_lshlrev_b64 v[42:43], v43, v[42:43]
	v_lshrrev_b32_e32 v52, 3, v45
	v_sub_u32_e32 v43, 29, v53
	v_and_b32_e32 v42, 7, v42
	v_cmp_gt_u32_e32 vcc, 8, v45
	v_cndmask_b32_e32 v43, v52, v43, vcc
	v_cndmask_b32_e32 v42, v51, v42, vcc
	v_lshlrev_b32_e32 v45, 16, v34
	v_bfrev_b32_e32 v51, 60
	v_lshlrev_b32_e32 v42, 20, v42
	v_and_b32_e32 v45, 0x80000000, v45
	v_lshl_add_u32 v43, v43, 23, v51
	v_or3_b32 v42, v45, v43, v42
	v_lshrrev_b32_e32 v43, 16, v42
.LBB882_213:
	s_or_b64 exec, exec, s[10:11]
.LBB882_214:
	s_or_b64 exec, exec, s[8:9]
.LBB882_215:
	s_or_b64 exec, exec, s[2:3]
	s_movk_i32 s2, 0xff
	v_and_b32_sdwa v52, v34, s2 dst_sel:DWORD dst_unused:UNUSED_PAD src0_sel:WORD_1 src1_sel:DWORD
	v_lshrrev_b32_e32 v42, 16, v34
	v_cmp_ne_u16_e32 vcc, 0, v52
	v_mov_b32_e32 v45, 0
	v_mov_b32_e32 v51, 0
	s_and_saveexec_b64 s[2:3], vcc
	s_cbranch_execz .LBB882_221
; %bb.216:
	s_movk_i32 s8, 0x80
	v_cmp_ne_u16_e32 vcc, s8, v52
	v_mov_b32_e32 v51, 0xffff8000
	s_and_saveexec_b64 s[8:9], vcc
	s_cbranch_execz .LBB882_220
; %bb.217:
	v_bfe_u32 v52, v34, 16, 7
	s_movk_i32 s10, 0x7f
	v_cmp_ne_u32_e32 vcc, s10, v52
	v_mov_b32_e32 v51, 0x7f80
	s_and_saveexec_b64 s[10:11], vcc
	s_cbranch_execz .LBB882_219
; %bb.218:
	v_and_b32_e32 v51, 7, v42
	v_ffbh_u32_e32 v54, v51
	v_min_u32_e32 v56, 32, v54
	v_subrev_u32_e32 v54, 28, v56
	v_lshlrev_b64 v[54:55], v54, v[42:43]
	v_lshrrev_b32_e32 v53, 3, v52
	v_sub_u32_e32 v42, 29, v56
	v_and_b32_e32 v54, 7, v54
	v_cmp_gt_u32_e32 vcc, 8, v52
	v_mov_b32_e32 v52, 24
	v_cndmask_b32_e32 v42, v53, v42, vcc
	v_cndmask_b32_e32 v51, v51, v54, vcc
	v_lshlrev_b32_sdwa v52, v52, v34 dst_sel:DWORD dst_unused:UNUSED_PAD src0_sel:DWORD src1_sel:WORD_1
	v_bfrev_b32_e32 v53, 60
	v_lshlrev_b32_e32 v51, 20, v51
	v_and_b32_e32 v52, 0x80000000, v52
	v_lshl_add_u32 v42, v42, 23, v53
	v_or3_b32 v42, v52, v42, v51
	v_lshrrev_b32_e32 v51, 16, v42
.LBB882_219:
	s_or_b64 exec, exec, s[10:11]
.LBB882_220:
	s_or_b64 exec, exec, s[8:9]
.LBB882_221:
	s_or_b64 exec, exec, s[2:3]
	s_mov_b32 s2, 0xffffff
	v_cmp_lt_u32_e32 vcc, s2, v34
	s_and_saveexec_b64 s[2:3], vcc
	s_cbranch_execz .LBB882_227
; %bb.222:
	v_lshrrev_b32_e32 v42, 24, v34
	s_movk_i32 s8, 0x80
	v_cmp_ne_u32_e32 vcc, s8, v42
	v_mov_b32_e32 v45, 0xffff8000
	s_and_saveexec_b64 s[8:9], vcc
	s_cbranch_execz .LBB882_226
; %bb.223:
	v_bfe_u32 v34, v34, 24, 7
	s_movk_i32 s10, 0x7f
	v_cmp_ne_u32_e32 vcc, s10, v34
	v_mov_b32_e32 v45, 0x7f80
	s_and_saveexec_b64 s[10:11], vcc
	s_cbranch_execz .LBB882_225
; %bb.224:
	v_and_b32_e32 v45, 7, v42
	v_ffbh_u32_e32 v52, v45
	v_min_u32_e32 v55, 32, v52
	v_subrev_u32_e32 v52, 28, v55
	v_lshlrev_b64 v[52:53], v52, v[42:43]
	v_lshrrev_b32_e32 v54, 3, v34
	v_sub_u32_e32 v53, 29, v55
	v_and_b32_e32 v52, 7, v52
	v_cmp_gt_u32_e32 vcc, 8, v34
	v_cndmask_b32_e32 v34, v54, v53, vcc
	v_cndmask_b32_e32 v45, v45, v52, vcc
	v_lshlrev_b32_e32 v42, 24, v42
	v_bfrev_b32_e32 v52, 60
	v_lshlrev_b32_e32 v45, 20, v45
	v_and_b32_e32 v42, 0x80000000, v42
	v_lshl_add_u32 v34, v34, 23, v52
	v_or3_b32 v34, v42, v34, v45
	v_lshrrev_b32_e32 v45, 16, v34
.LBB882_225:
	s_or_b64 exec, exec, s[10:11]
.LBB882_226:
	s_or_b64 exec, exec, s[8:9]
.LBB882_227:
	s_or_b64 exec, exec, s[2:3]
	v_mov_b32_e32 v42, 0
	v_cmp_ne_u16_sdwa s[8:9], v35, v42 src0_sel:BYTE_0 src1_sel:DWORD
	v_mov_b32_e32 v52, 0
	s_and_saveexec_b64 s[2:3], s[8:9]
	s_cbranch_execz .LBB882_233
; %bb.228:
	s_movk_i32 s8, 0x80
	v_cmp_ne_u16_sdwa s[10:11], v35, s8 src0_sel:BYTE_0 src1_sel:DWORD
	v_mov_b32_e32 v52, 0xffff8000
	s_and_saveexec_b64 s[8:9], s[10:11]
	s_cbranch_execz .LBB882_232
; %bb.229:
	s_movk_i32 s10, 0x7f
	v_and_b32_e32 v34, 0x7f, v35
	v_cmp_ne_u32_e32 vcc, s10, v34
	v_mov_b32_e32 v52, 0x7f80
	s_and_saveexec_b64 s[10:11], vcc
	s_cbranch_execz .LBB882_231
; %bb.230:
	v_and_b32_e32 v54, 7, v35
	v_ffbh_u32_e32 v53, v54
	v_min_u32_e32 v56, 32, v53
	v_mov_b32_e32 v52, v35
	v_subrev_u32_e32 v53, 28, v56
	v_lshlrev_b64 v[52:53], v53, v[52:53]
	v_lshrrev_b32_e32 v55, 3, v34
	v_sub_u32_e32 v53, 29, v56
	v_and_b32_e32 v52, 7, v52
	v_cmp_gt_u32_e32 vcc, 8, v34
	v_cndmask_b32_e32 v34, v55, v53, vcc
	v_cndmask_b32_e32 v52, v54, v52, vcc
	v_lshlrev_b32_e32 v53, 24, v35
	v_bfrev_b32_e32 v54, 60
	v_lshlrev_b32_e32 v52, 20, v52
	v_and_b32_e32 v53, 0x80000000, v53
	v_lshl_add_u32 v34, v34, 23, v54
	v_or3_b32 v34, v53, v34, v52
	v_lshrrev_b32_e32 v52, 16, v34
.LBB882_231:
	s_or_b64 exec, exec, s[10:11]
.LBB882_232:
	s_or_b64 exec, exec, s[8:9]
.LBB882_233:
	s_or_b64 exec, exec, s[2:3]
	v_lshrrev_b16_e32 v34, 8, v35
	v_cmp_ne_u16_e32 vcc, 0, v34
	s_and_saveexec_b64 s[2:3], vcc
	s_cbranch_execz .LBB882_239
; %bb.234:
	s_movk_i32 s8, 0x80
	v_cmp_ne_u16_e32 vcc, s8, v34
	v_mov_b32_e32 v42, 0xffff8000
	s_and_saveexec_b64 s[8:9], vcc
	s_cbranch_execz .LBB882_238
; %bb.235:
	s_movk_i32 s10, 0x7f
	v_and_b32_e32 v53, 0x7f, v34
	v_cmp_ne_u32_e32 vcc, s10, v53
	v_mov_b32_e32 v42, 0x7f80
	s_and_saveexec_b64 s[10:11], vcc
	s_cbranch_execz .LBB882_237
; %bb.236:
	v_and_b32_e32 v42, 7, v34
	v_ffbh_u32_e32 v54, v42
	v_min_u32_e32 v57, 32, v54
	v_subrev_u32_e32 v54, 28, v57
	v_lshlrev_b64 v[54:55], v54, v[34:35]
	v_lshrrev_b32_e32 v56, 3, v53
	v_sub_u32_e32 v34, 29, v57
	v_and_b32_e32 v54, 7, v54
	v_cmp_gt_u32_e32 vcc, 8, v53
	v_cndmask_b32_e32 v34, v56, v34, vcc
	v_cndmask_b32_e32 v42, v42, v54, vcc
	v_lshlrev_b32_e32 v53, 16, v35
	v_bfrev_b32_e32 v54, 60
	v_lshlrev_b32_e32 v42, 20, v42
	v_and_b32_e32 v53, 0x80000000, v53
	v_lshl_add_u32 v34, v34, 23, v54
	v_or3_b32 v34, v53, v34, v42
	v_lshrrev_b32_e32 v42, 16, v34
.LBB882_237:
	s_or_b64 exec, exec, s[10:11]
.LBB882_238:
	s_or_b64 exec, exec, s[8:9]
.LBB882_239:
	s_or_b64 exec, exec, s[2:3]
	s_movk_i32 s2, 0xff
	v_and_b32_sdwa v55, v35, s2 dst_sel:DWORD dst_unused:UNUSED_PAD src0_sel:WORD_1 src1_sel:DWORD
	v_lshrrev_b32_e32 v34, 16, v35
	v_cmp_ne_u16_e32 vcc, 0, v55
	v_mov_b32_e32 v53, 0
	v_mov_b32_e32 v54, 0
	s_and_saveexec_b64 s[2:3], vcc
	s_cbranch_execz .LBB882_245
; %bb.240:
	s_movk_i32 s8, 0x80
	v_cmp_ne_u16_e32 vcc, s8, v55
	v_mov_b32_e32 v54, 0xffff8000
	s_and_saveexec_b64 s[8:9], vcc
	s_cbranch_execz .LBB882_244
; %bb.241:
	v_bfe_u32 v55, v35, 16, 7
	s_movk_i32 s10, 0x7f
	v_cmp_ne_u32_e32 vcc, s10, v55
	v_mov_b32_e32 v54, 0x7f80
	s_and_saveexec_b64 s[10:11], vcc
	s_cbranch_execz .LBB882_243
; %bb.242:
	v_and_b32_e32 v54, 7, v34
	v_ffbh_u32_e32 v56, v54
	v_min_u32_e32 v59, 32, v56
	v_subrev_u32_e32 v56, 28, v59
	v_lshlrev_b64 v[56:57], v56, v[34:35]
	v_lshrrev_b32_e32 v58, 3, v55
	v_sub_u32_e32 v34, 29, v59
	v_and_b32_e32 v56, 7, v56
	v_cmp_gt_u32_e32 vcc, 8, v55
	v_mov_b32_e32 v55, 24
	v_cndmask_b32_e32 v34, v58, v34, vcc
	v_cndmask_b32_e32 v54, v54, v56, vcc
	v_lshlrev_b32_sdwa v55, v55, v35 dst_sel:DWORD dst_unused:UNUSED_PAD src0_sel:DWORD src1_sel:WORD_1
	v_bfrev_b32_e32 v56, 60
	v_lshlrev_b32_e32 v54, 20, v54
	v_and_b32_e32 v55, 0x80000000, v55
	v_lshl_add_u32 v34, v34, 23, v56
	v_or3_b32 v34, v55, v34, v54
	v_lshrrev_b32_e32 v54, 16, v34
.LBB882_243:
	s_or_b64 exec, exec, s[10:11]
.LBB882_244:
	s_or_b64 exec, exec, s[8:9]
.LBB882_245:
	s_or_b64 exec, exec, s[2:3]
	s_mov_b32 s2, 0xffffff
	v_cmp_lt_u32_e32 vcc, s2, v35
	s_and_saveexec_b64 s[2:3], vcc
	s_cbranch_execz .LBB882_251
; %bb.246:
	v_lshrrev_b32_e32 v34, 24, v35
	s_movk_i32 s8, 0x80
	v_cmp_ne_u32_e32 vcc, s8, v34
	v_mov_b32_e32 v53, 0xffff8000
	s_and_saveexec_b64 s[8:9], vcc
	s_cbranch_execz .LBB882_250
; %bb.247:
	v_bfe_u32 v35, v35, 24, 7
	s_movk_i32 s10, 0x7f
	v_cmp_ne_u32_e32 vcc, s10, v35
	v_mov_b32_e32 v53, 0x7f80
	s_and_saveexec_b64 s[10:11], vcc
	s_cbranch_execz .LBB882_249
; %bb.248:
	v_and_b32_e32 v53, 7, v34
	v_ffbh_u32_e32 v56, v53
	v_min_u32_e32 v58, 32, v56
	v_subrev_u32_e32 v56, 28, v58
	v_lshlrev_b64 v[56:57], v56, v[34:35]
	v_lshrrev_b32_e32 v55, 3, v35
	v_sub_u32_e32 v57, 29, v58
	v_and_b32_e32 v56, 7, v56
	v_cmp_gt_u32_e32 vcc, 8, v35
	v_cndmask_b32_e32 v35, v55, v57, vcc
	v_cndmask_b32_e32 v53, v53, v56, vcc
	v_lshlrev_b32_e32 v34, 24, v34
	v_bfrev_b32_e32 v55, 60
	v_lshlrev_b32_e32 v53, 20, v53
	v_and_b32_e32 v34, 0x80000000, v34
	v_lshl_add_u32 v35, v35, 23, v55
	v_or3_b32 v34, v34, v35, v53
	v_lshrrev_b32_e32 v53, 16, v34
.LBB882_249:
	s_or_b64 exec, exec, s[10:11]
.LBB882_250:
	s_or_b64 exec, exec, s[8:9]
.LBB882_251:
	s_or_b64 exec, exec, s[2:3]
	s_mov_b32 s2, 0x5040100
	v_perm_b32 v35, v45, v51, s2
	v_perm_b32 v34, v43, v44, s2
	;; [unrolled: 1-line block ×4, first 2 shown]
	v_mov_b32_e32 v51, 0
	v_mfma_f32_16x16x16bf16_1k v[56:59], v[34:35], v[26:27], 0
	v_mov_b32_e32 v35, 0
	v_cmp_ne_u16_sdwa s[8:9], v36, v35 src0_sel:BYTE_0 src1_sel:DWORD
	v_mfma_f32_16x16x16bf16_1k v[42:45], v[42:43], v[28:29], v[56:59]
	s_and_saveexec_b64 s[2:3], s[8:9]
	s_cbranch_execz .LBB882_257
; %bb.252:
	s_movk_i32 s8, 0x80
	v_cmp_ne_u16_sdwa s[10:11], v36, s8 src0_sel:BYTE_0 src1_sel:DWORD
	v_mov_b32_e32 v51, 0xffff8000
	s_and_saveexec_b64 s[8:9], s[10:11]
	s_cbranch_execz .LBB882_256
; %bb.253:
	s_movk_i32 s10, 0x7f
	v_and_b32_e32 v34, 0x7f, v36
	v_cmp_ne_u32_e32 vcc, s10, v34
	v_mov_b32_e32 v51, 0x7f80
	s_and_saveexec_b64 s[10:11], vcc
	s_cbranch_execz .LBB882_255
; %bb.254:
	v_and_b32_e32 v51, 7, v36
	v_ffbh_u32_e32 v52, v51
	v_min_u32_e32 v55, 32, v52
	v_subrev_u32_e32 v52, 28, v55
	v_lshlrev_b64 v[52:53], v52, v[36:37]
	v_lshrrev_b32_e32 v54, 3, v34
	v_sub_u32_e32 v53, 29, v55
	v_and_b32_e32 v52, 7, v52
	v_cmp_gt_u32_e32 vcc, 8, v34
	v_cndmask_b32_e32 v34, v54, v53, vcc
	v_cndmask_b32_e32 v51, v51, v52, vcc
	v_lshlrev_b32_e32 v52, 24, v36
	v_bfrev_b32_e32 v53, 60
	v_lshlrev_b32_e32 v51, 20, v51
	v_and_b32_e32 v52, 0x80000000, v52
	v_lshl_add_u32 v34, v34, 23, v53
	v_or3_b32 v34, v52, v34, v51
	v_lshrrev_b32_e32 v51, 16, v34
.LBB882_255:
	s_or_b64 exec, exec, s[10:11]
.LBB882_256:
	s_or_b64 exec, exec, s[8:9]
.LBB882_257:
	s_or_b64 exec, exec, s[2:3]
	v_lshrrev_b16_e32 v34, 8, v36
	v_cmp_ne_u16_e32 vcc, 0, v34
	s_and_saveexec_b64 s[2:3], vcc
	s_cbranch_execz .LBB882_263
; %bb.258:
	s_movk_i32 s8, 0x80
	v_cmp_ne_u16_e32 vcc, s8, v34
	v_mov_b32_e32 v35, 0xffff8000
	s_and_saveexec_b64 s[8:9], vcc
	s_cbranch_execz .LBB882_262
; %bb.259:
	s_movk_i32 s10, 0x7f
	v_and_b32_e32 v52, 0x7f, v34
	v_cmp_ne_u32_e32 vcc, s10, v52
	v_mov_b32_e32 v35, 0x7f80
	s_and_saveexec_b64 s[10:11], vcc
	s_cbranch_execz .LBB882_261
; %bb.260:
	v_and_b32_e32 v53, 7, v34
	v_ffbh_u32_e32 v35, v53
	v_min_u32_e32 v55, 32, v35
	v_subrev_u32_e32 v35, 28, v55
	v_lshlrev_b64 v[34:35], v35, v[34:35]
	v_lshrrev_b32_e32 v54, 3, v52
	v_sub_u32_e32 v35, 29, v55
	v_and_b32_e32 v34, 7, v34
	v_cmp_gt_u32_e32 vcc, 8, v52
	v_cndmask_b32_e32 v35, v54, v35, vcc
	v_cndmask_b32_e32 v34, v53, v34, vcc
	v_lshlrev_b32_e32 v52, 16, v36
	v_bfrev_b32_e32 v53, 60
	v_lshlrev_b32_e32 v34, 20, v34
	v_and_b32_e32 v52, 0x80000000, v52
	v_lshl_add_u32 v35, v35, 23, v53
	v_or3_b32 v34, v52, v35, v34
	v_lshrrev_b32_e32 v35, 16, v34
.LBB882_261:
	s_or_b64 exec, exec, s[10:11]
.LBB882_262:
	s_or_b64 exec, exec, s[8:9]
.LBB882_263:
	s_or_b64 exec, exec, s[2:3]
	s_movk_i32 s2, 0xff
	v_and_b32_sdwa v54, v36, s2 dst_sel:DWORD dst_unused:UNUSED_PAD src0_sel:WORD_1 src1_sel:DWORD
	v_lshrrev_b32_e32 v34, 16, v36
	v_cmp_ne_u16_e32 vcc, 0, v54
	v_mov_b32_e32 v52, 0
	v_mov_b32_e32 v53, 0
	s_and_saveexec_b64 s[2:3], vcc
	s_cbranch_execz .LBB882_269
; %bb.264:
	s_movk_i32 s8, 0x80
	v_cmp_ne_u16_e32 vcc, s8, v54
	v_mov_b32_e32 v53, 0xffff8000
	s_and_saveexec_b64 s[8:9], vcc
	s_cbranch_execz .LBB882_268
; %bb.265:
	v_bfe_u32 v54, v36, 16, 7
	s_movk_i32 s10, 0x7f
	v_cmp_ne_u32_e32 vcc, s10, v54
	v_mov_b32_e32 v53, 0x7f80
	s_and_saveexec_b64 s[10:11], vcc
	s_cbranch_execz .LBB882_267
; %bb.266:
	v_and_b32_e32 v53, 7, v34
	v_ffbh_u32_e32 v56, v53
	v_min_u32_e32 v58, 32, v56
	v_subrev_u32_e32 v56, 28, v58
	v_lshlrev_b64 v[56:57], v56, v[34:35]
	v_lshrrev_b32_e32 v55, 3, v54
	v_sub_u32_e32 v34, 29, v58
	v_and_b32_e32 v56, 7, v56
	v_cmp_gt_u32_e32 vcc, 8, v54
	v_mov_b32_e32 v54, 24
	v_cndmask_b32_e32 v34, v55, v34, vcc
	v_cndmask_b32_e32 v53, v53, v56, vcc
	v_lshlrev_b32_sdwa v54, v54, v36 dst_sel:DWORD dst_unused:UNUSED_PAD src0_sel:DWORD src1_sel:WORD_1
	v_bfrev_b32_e32 v55, 60
	v_lshlrev_b32_e32 v53, 20, v53
	v_and_b32_e32 v54, 0x80000000, v54
	v_lshl_add_u32 v34, v34, 23, v55
	v_or3_b32 v34, v54, v34, v53
	v_lshrrev_b32_e32 v53, 16, v34
.LBB882_267:
	s_or_b64 exec, exec, s[10:11]
.LBB882_268:
	s_or_b64 exec, exec, s[8:9]
.LBB882_269:
	s_or_b64 exec, exec, s[2:3]
	s_mov_b32 s2, 0xffffff
	v_cmp_lt_u32_e32 vcc, s2, v36
	s_and_saveexec_b64 s[2:3], vcc
	s_cbranch_execz .LBB882_275
; %bb.270:
	v_lshrrev_b32_e32 v34, 24, v36
	s_movk_i32 s8, 0x80
	v_cmp_ne_u32_e32 vcc, s8, v34
	v_mov_b32_e32 v52, 0xffff8000
	s_and_saveexec_b64 s[8:9], vcc
	s_cbranch_execz .LBB882_274
; %bb.271:
	v_bfe_u32 v36, v36, 24, 7
	s_movk_i32 s10, 0x7f
	v_cmp_ne_u32_e32 vcc, s10, v36
	v_mov_b32_e32 v52, 0x7f80
	s_and_saveexec_b64 s[10:11], vcc
	s_cbranch_execz .LBB882_273
; %bb.272:
	v_and_b32_e32 v52, 7, v34
	v_ffbh_u32_e32 v54, v52
	v_min_u32_e32 v57, 32, v54
	v_subrev_u32_e32 v54, 28, v57
	v_lshlrev_b64 v[54:55], v54, v[34:35]
	v_lshrrev_b32_e32 v56, 3, v36
	v_sub_u32_e32 v55, 29, v57
	v_and_b32_e32 v54, 7, v54
	v_cmp_gt_u32_e32 vcc, 8, v36
	v_cndmask_b32_e32 v36, v56, v55, vcc
	v_cndmask_b32_e32 v52, v52, v54, vcc
	v_lshlrev_b32_e32 v34, 24, v34
	v_bfrev_b32_e32 v54, 60
	v_lshlrev_b32_e32 v52, 20, v52
	v_and_b32_e32 v34, 0x80000000, v34
	v_lshl_add_u32 v36, v36, 23, v54
	v_or3_b32 v34, v34, v36, v52
	v_lshrrev_b32_e32 v52, 16, v34
.LBB882_273:
	s_or_b64 exec, exec, s[10:11]
.LBB882_274:
	s_or_b64 exec, exec, s[8:9]
.LBB882_275:
	s_or_b64 exec, exec, s[2:3]
	v_mov_b32_e32 v36, 0
	v_cmp_ne_u16_sdwa s[8:9], v37, v36 src0_sel:BYTE_0 src1_sel:DWORD
	v_mov_b32_e32 v54, 0
	s_and_saveexec_b64 s[2:3], s[8:9]
	s_cbranch_execz .LBB882_281
; %bb.276:
	s_movk_i32 s8, 0x80
	v_cmp_ne_u16_sdwa s[10:11], v37, s8 src0_sel:BYTE_0 src1_sel:DWORD
	v_mov_b32_e32 v54, 0xffff8000
	s_and_saveexec_b64 s[8:9], s[10:11]
	s_cbranch_execz .LBB882_280
; %bb.277:
	s_movk_i32 s10, 0x7f
	v_and_b32_e32 v34, 0x7f, v37
	v_cmp_ne_u32_e32 vcc, s10, v34
	v_mov_b32_e32 v54, 0x7f80
	s_and_saveexec_b64 s[10:11], vcc
	s_cbranch_execz .LBB882_279
; %bb.278:
	v_and_b32_e32 v56, 7, v37
	v_ffbh_u32_e32 v55, v56
	v_min_u32_e32 v58, 32, v55
	v_mov_b32_e32 v54, v37
	v_subrev_u32_e32 v55, 28, v58
	v_lshlrev_b64 v[54:55], v55, v[54:55]
	v_lshrrev_b32_e32 v57, 3, v34
	v_sub_u32_e32 v55, 29, v58
	v_and_b32_e32 v54, 7, v54
	v_cmp_gt_u32_e32 vcc, 8, v34
	v_cndmask_b32_e32 v34, v57, v55, vcc
	v_cndmask_b32_e32 v54, v56, v54, vcc
	v_lshlrev_b32_e32 v55, 24, v37
	v_bfrev_b32_e32 v56, 60
	v_lshlrev_b32_e32 v54, 20, v54
	v_and_b32_e32 v55, 0x80000000, v55
	v_lshl_add_u32 v34, v34, 23, v56
	v_or3_b32 v34, v55, v34, v54
	v_lshrrev_b32_e32 v54, 16, v34
.LBB882_279:
	s_or_b64 exec, exec, s[10:11]
.LBB882_280:
	s_or_b64 exec, exec, s[8:9]
.LBB882_281:
	s_or_b64 exec, exec, s[2:3]
	v_lshrrev_b16_e32 v34, 8, v37
	v_cmp_ne_u16_e32 vcc, 0, v34
	s_and_saveexec_b64 s[2:3], vcc
	s_cbranch_execz .LBB882_287
; %bb.282:
	s_movk_i32 s8, 0x80
	v_cmp_ne_u16_e32 vcc, s8, v34
	v_mov_b32_e32 v36, 0xffff8000
	s_and_saveexec_b64 s[8:9], vcc
	s_cbranch_execz .LBB882_286
; %bb.283:
	s_movk_i32 s10, 0x7f
	v_and_b32_e32 v55, 0x7f, v34
	v_cmp_ne_u32_e32 vcc, s10, v55
	v_mov_b32_e32 v36, 0x7f80
	s_and_saveexec_b64 s[10:11], vcc
	s_cbranch_execz .LBB882_285
; %bb.284:
	v_and_b32_e32 v36, 7, v34
	v_ffbh_u32_e32 v56, v36
	v_min_u32_e32 v59, 32, v56
	v_subrev_u32_e32 v56, 28, v59
	v_lshlrev_b64 v[56:57], v56, v[34:35]
	v_lshrrev_b32_e32 v58, 3, v55
	v_sub_u32_e32 v34, 29, v59
	v_and_b32_e32 v56, 7, v56
	v_cmp_gt_u32_e32 vcc, 8, v55
	v_cndmask_b32_e32 v34, v58, v34, vcc
	v_cndmask_b32_e32 v36, v36, v56, vcc
	v_lshlrev_b32_e32 v55, 16, v37
	v_bfrev_b32_e32 v56, 60
	v_lshlrev_b32_e32 v36, 20, v36
	v_and_b32_e32 v55, 0x80000000, v55
	v_lshl_add_u32 v34, v34, 23, v56
	v_or3_b32 v34, v55, v34, v36
	v_lshrrev_b32_e32 v36, 16, v34
.LBB882_285:
	s_or_b64 exec, exec, s[10:11]
.LBB882_286:
	s_or_b64 exec, exec, s[8:9]
.LBB882_287:
	s_or_b64 exec, exec, s[2:3]
	s_movk_i32 s2, 0xff
	v_and_b32_sdwa v57, v37, s2 dst_sel:DWORD dst_unused:UNUSED_PAD src0_sel:WORD_1 src1_sel:DWORD
	v_lshrrev_b32_e32 v34, 16, v37
	v_cmp_ne_u16_e32 vcc, 0, v57
	v_mov_b32_e32 v55, 0
	v_mov_b32_e32 v56, 0
	s_and_saveexec_b64 s[2:3], vcc
	s_cbranch_execz .LBB882_293
; %bb.288:
	s_movk_i32 s8, 0x80
	v_cmp_ne_u16_e32 vcc, s8, v57
	v_mov_b32_e32 v56, 0xffff8000
	s_and_saveexec_b64 s[8:9], vcc
	s_cbranch_execz .LBB882_292
; %bb.289:
	v_bfe_u32 v57, v37, 16, 7
	s_movk_i32 s10, 0x7f
	v_cmp_ne_u32_e32 vcc, s10, v57
	v_mov_b32_e32 v56, 0x7f80
	s_and_saveexec_b64 s[10:11], vcc
	s_cbranch_execz .LBB882_291
; %bb.290:
	v_and_b32_e32 v56, 7, v34
	v_ffbh_u32_e32 v58, v56
	v_min_u32_e32 v61, 32, v58
	v_subrev_u32_e32 v58, 28, v61
	v_lshlrev_b64 v[58:59], v58, v[34:35]
	v_lshrrev_b32_e32 v60, 3, v57
	v_sub_u32_e32 v34, 29, v61
	v_and_b32_e32 v58, 7, v58
	v_cmp_gt_u32_e32 vcc, 8, v57
	v_mov_b32_e32 v57, 24
	v_cndmask_b32_e32 v34, v60, v34, vcc
	v_cndmask_b32_e32 v56, v56, v58, vcc
	v_lshlrev_b32_sdwa v57, v57, v37 dst_sel:DWORD dst_unused:UNUSED_PAD src0_sel:DWORD src1_sel:WORD_1
	v_bfrev_b32_e32 v58, 60
	v_lshlrev_b32_e32 v56, 20, v56
	v_and_b32_e32 v57, 0x80000000, v57
	v_lshl_add_u32 v34, v34, 23, v58
	v_or3_b32 v34, v57, v34, v56
	v_lshrrev_b32_e32 v56, 16, v34
.LBB882_291:
	s_or_b64 exec, exec, s[10:11]
.LBB882_292:
	s_or_b64 exec, exec, s[8:9]
.LBB882_293:
	s_or_b64 exec, exec, s[2:3]
	s_mov_b32 s2, 0xffffff
	v_cmp_lt_u32_e32 vcc, s2, v37
	s_and_saveexec_b64 s[2:3], vcc
	s_cbranch_execz .LBB882_299
; %bb.294:
	v_lshrrev_b32_e32 v34, 24, v37
	s_movk_i32 s8, 0x80
	v_cmp_ne_u32_e32 vcc, s8, v34
	v_mov_b32_e32 v55, 0xffff8000
	s_and_saveexec_b64 s[8:9], vcc
	s_cbranch_execz .LBB882_298
; %bb.295:
	v_bfe_u32 v37, v37, 24, 7
	s_movk_i32 s10, 0x7f
	v_cmp_ne_u32_e32 vcc, s10, v37
	v_mov_b32_e32 v55, 0x7f80
	s_and_saveexec_b64 s[10:11], vcc
	s_cbranch_execz .LBB882_297
; %bb.296:
	v_and_b32_e32 v55, 7, v34
	v_ffbh_u32_e32 v58, v55
	v_min_u32_e32 v60, 32, v58
	v_subrev_u32_e32 v58, 28, v60
	v_lshlrev_b64 v[58:59], v58, v[34:35]
	v_lshrrev_b32_e32 v57, 3, v37
	v_sub_u32_e32 v59, 29, v60
	v_and_b32_e32 v58, 7, v58
	v_cmp_gt_u32_e32 vcc, 8, v37
	v_cndmask_b32_e32 v37, v57, v59, vcc
	v_cndmask_b32_e32 v55, v55, v58, vcc
	v_lshlrev_b32_e32 v34, 24, v34
	v_bfrev_b32_e32 v57, 60
	v_lshlrev_b32_e32 v55, 20, v55
	v_and_b32_e32 v34, 0x80000000, v34
	v_lshl_add_u32 v37, v37, 23, v57
	v_or3_b32 v34, v34, v37, v55
	v_lshrrev_b32_e32 v55, 16, v34
.LBB882_297:
	s_or_b64 exec, exec, s[10:11]
.LBB882_298:
	s_or_b64 exec, exec, s[8:9]
.LBB882_299:
	s_or_b64 exec, exec, s[2:3]
	s_mov_b32 s2, 0x5040100
	v_perm_b32 v53, v52, v53, s2
	v_perm_b32 v52, v35, v51, s2
	;; [unrolled: 1-line block ×4, first 2 shown]
	v_mfma_f32_16x16x16bf16_1k v[58:61], v[52:53], v[18:19], v[42:45]
	s_nop 6
	v_mov_b32_e32 v43, 0
	s_waitcnt vmcnt(4)
	v_cmp_ne_u16_sdwa s[8:9], v22, v43 src0_sel:BYTE_0 src1_sel:DWORD
	v_mfma_f32_16x16x16bf16_1k v[34:37], v[34:35], v[20:21], v[58:61]
	v_mov_b32_e32 v44, 0
	s_and_saveexec_b64 s[2:3], s[8:9]
	s_cbranch_execz .LBB882_305
; %bb.300:
	s_movk_i32 s8, 0x80
	v_cmp_ne_u16_sdwa s[10:11], v22, s8 src0_sel:BYTE_0 src1_sel:DWORD
	v_mov_b32_e32 v44, 0xffff8000
	s_and_saveexec_b64 s[8:9], s[10:11]
	s_cbranch_execz .LBB882_304
; %bb.301:
	s_movk_i32 s10, 0x7f
	v_and_b32_e32 v42, 0x7f, v22
	v_cmp_ne_u32_e32 vcc, s10, v42
	v_mov_b32_e32 v44, 0x7f80
	s_and_saveexec_b64 s[10:11], vcc
	s_cbranch_execz .LBB882_303
; %bb.302:
	v_and_b32_e32 v51, 7, v22
	v_ffbh_u32_e32 v44, v51
	v_min_u32_e32 v53, 32, v44
	v_subrev_u32_e32 v44, 28, v53
	v_lshlrev_b64 v[44:45], v44, v[22:23]
	v_lshrrev_b32_e32 v52, 3, v42
	v_sub_u32_e32 v45, 29, v53
	v_and_b32_e32 v44, 7, v44
	v_cmp_gt_u32_e32 vcc, 8, v42
	v_cndmask_b32_e32 v42, v52, v45, vcc
	v_cndmask_b32_e32 v44, v51, v44, vcc
	v_lshlrev_b32_e32 v45, 24, v22
	v_bfrev_b32_e32 v51, 60
	v_lshlrev_b32_e32 v44, 20, v44
	v_and_b32_e32 v45, 0x80000000, v45
	v_lshl_add_u32 v42, v42, 23, v51
	v_or3_b32 v42, v45, v42, v44
	v_lshrrev_b32_e32 v44, 16, v42
.LBB882_303:
	s_or_b64 exec, exec, s[10:11]
.LBB882_304:
	s_or_b64 exec, exec, s[8:9]
.LBB882_305:
	s_or_b64 exec, exec, s[2:3]
	v_lshrrev_b16_e32 v42, 8, v22
	v_cmp_ne_u16_e32 vcc, 0, v42
	s_and_saveexec_b64 s[2:3], vcc
	s_cbranch_execz .LBB882_311
; %bb.306:
	s_movk_i32 s8, 0x80
	v_cmp_ne_u16_e32 vcc, s8, v42
	v_mov_b32_e32 v43, 0xffff8000
	s_and_saveexec_b64 s[8:9], vcc
	s_cbranch_execz .LBB882_310
; %bb.307:
	s_movk_i32 s10, 0x7f
	v_and_b32_e32 v45, 0x7f, v42
	v_cmp_ne_u32_e32 vcc, s10, v45
	v_mov_b32_e32 v43, 0x7f80
	s_and_saveexec_b64 s[10:11], vcc
	s_cbranch_execz .LBB882_309
; %bb.308:
	v_and_b32_e32 v51, 7, v42
	v_ffbh_u32_e32 v43, v51
	v_min_u32_e32 v53, 32, v43
	v_subrev_u32_e32 v43, 28, v53
	v_lshlrev_b64 v[42:43], v43, v[42:43]
	v_lshrrev_b32_e32 v52, 3, v45
	v_sub_u32_e32 v43, 29, v53
	v_and_b32_e32 v42, 7, v42
	v_cmp_gt_u32_e32 vcc, 8, v45
	v_cndmask_b32_e32 v43, v52, v43, vcc
	v_cndmask_b32_e32 v42, v51, v42, vcc
	v_lshlrev_b32_e32 v45, 16, v22
	v_bfrev_b32_e32 v51, 60
	v_lshlrev_b32_e32 v42, 20, v42
	v_and_b32_e32 v45, 0x80000000, v45
	v_lshl_add_u32 v43, v43, 23, v51
	v_or3_b32 v42, v45, v43, v42
	v_lshrrev_b32_e32 v43, 16, v42
.LBB882_309:
	s_or_b64 exec, exec, s[10:11]
.LBB882_310:
	s_or_b64 exec, exec, s[8:9]
.LBB882_311:
	s_or_b64 exec, exec, s[2:3]
	s_movk_i32 s2, 0xff
	v_and_b32_sdwa v52, v22, s2 dst_sel:DWORD dst_unused:UNUSED_PAD src0_sel:WORD_1 src1_sel:DWORD
	v_lshrrev_b32_e32 v42, 16, v22
	v_cmp_ne_u16_e32 vcc, 0, v52
	v_mov_b32_e32 v45, 0
	v_mov_b32_e32 v51, 0
	s_and_saveexec_b64 s[2:3], vcc
	s_cbranch_execz .LBB882_317
; %bb.312:
	s_movk_i32 s8, 0x80
	v_cmp_ne_u16_e32 vcc, s8, v52
	v_mov_b32_e32 v51, 0xffff8000
	s_and_saveexec_b64 s[8:9], vcc
	s_cbranch_execz .LBB882_316
; %bb.313:
	v_bfe_u32 v52, v22, 16, 7
	s_movk_i32 s10, 0x7f
	v_cmp_ne_u32_e32 vcc, s10, v52
	v_mov_b32_e32 v51, 0x7f80
	s_and_saveexec_b64 s[10:11], vcc
	s_cbranch_execz .LBB882_315
; %bb.314:
	v_and_b32_e32 v51, 7, v42
	v_ffbh_u32_e32 v54, v51
	v_min_u32_e32 v56, 32, v54
	v_subrev_u32_e32 v54, 28, v56
	v_lshlrev_b64 v[54:55], v54, v[42:43]
	v_lshrrev_b32_e32 v53, 3, v52
	v_sub_u32_e32 v42, 29, v56
	v_and_b32_e32 v54, 7, v54
	v_cmp_gt_u32_e32 vcc, 8, v52
	v_mov_b32_e32 v52, 24
	v_cndmask_b32_e32 v42, v53, v42, vcc
	v_cndmask_b32_e32 v51, v51, v54, vcc
	v_lshlrev_b32_sdwa v52, v52, v22 dst_sel:DWORD dst_unused:UNUSED_PAD src0_sel:DWORD src1_sel:WORD_1
	v_bfrev_b32_e32 v53, 60
	v_lshlrev_b32_e32 v51, 20, v51
	v_and_b32_e32 v52, 0x80000000, v52
	v_lshl_add_u32 v42, v42, 23, v53
	v_or3_b32 v42, v52, v42, v51
	v_lshrrev_b32_e32 v51, 16, v42
.LBB882_315:
	s_or_b64 exec, exec, s[10:11]
.LBB882_316:
	s_or_b64 exec, exec, s[8:9]
.LBB882_317:
	s_or_b64 exec, exec, s[2:3]
	s_mov_b32 s2, 0xffffff
	v_cmp_lt_u32_e32 vcc, s2, v22
	s_and_saveexec_b64 s[2:3], vcc
	s_cbranch_execz .LBB882_323
; %bb.318:
	v_lshrrev_b32_e32 v42, 24, v22
	s_movk_i32 s8, 0x80
	v_cmp_ne_u32_e32 vcc, s8, v42
	v_mov_b32_e32 v45, 0xffff8000
	s_and_saveexec_b64 s[8:9], vcc
	s_cbranch_execz .LBB882_322
; %bb.319:
	v_bfe_u32 v22, v22, 24, 7
	s_movk_i32 s10, 0x7f
	v_cmp_ne_u32_e32 vcc, s10, v22
	v_mov_b32_e32 v45, 0x7f80
	s_and_saveexec_b64 s[10:11], vcc
	s_cbranch_execz .LBB882_321
; %bb.320:
	v_and_b32_e32 v45, 7, v42
	v_ffbh_u32_e32 v52, v45
	v_min_u32_e32 v55, 32, v52
	v_subrev_u32_e32 v52, 28, v55
	v_lshlrev_b64 v[52:53], v52, v[42:43]
	v_lshrrev_b32_e32 v54, 3, v22
	v_sub_u32_e32 v53, 29, v55
	v_and_b32_e32 v52, 7, v52
	v_cmp_gt_u32_e32 vcc, 8, v22
	v_cndmask_b32_e32 v22, v54, v53, vcc
	v_cndmask_b32_e32 v45, v45, v52, vcc
	v_lshlrev_b32_e32 v42, 24, v42
	v_bfrev_b32_e32 v52, 60
	v_lshlrev_b32_e32 v45, 20, v45
	v_and_b32_e32 v42, 0x80000000, v42
	v_lshl_add_u32 v22, v22, 23, v52
	v_or3_b32 v22, v42, v22, v45
	v_lshrrev_b32_e32 v45, 16, v22
.LBB882_321:
	s_or_b64 exec, exec, s[10:11]
.LBB882_322:
	s_or_b64 exec, exec, s[8:9]
.LBB882_323:
	s_or_b64 exec, exec, s[2:3]
	v_mov_b32_e32 v42, 0
	v_cmp_ne_u16_sdwa s[8:9], v23, v42 src0_sel:BYTE_0 src1_sel:DWORD
	v_mov_b32_e32 v52, 0
	s_and_saveexec_b64 s[2:3], s[8:9]
	s_cbranch_execz .LBB882_329
; %bb.324:
	s_movk_i32 s8, 0x80
	v_cmp_ne_u16_sdwa s[10:11], v23, s8 src0_sel:BYTE_0 src1_sel:DWORD
	v_mov_b32_e32 v52, 0xffff8000
	s_and_saveexec_b64 s[8:9], s[10:11]
	s_cbranch_execz .LBB882_328
; %bb.325:
	s_movk_i32 s10, 0x7f
	v_and_b32_e32 v22, 0x7f, v23
	v_cmp_ne_u32_e32 vcc, s10, v22
	v_mov_b32_e32 v52, 0x7f80
	s_and_saveexec_b64 s[10:11], vcc
	s_cbranch_execz .LBB882_327
; %bb.326:
	v_and_b32_e32 v54, 7, v23
	v_ffbh_u32_e32 v53, v54
	v_min_u32_e32 v56, 32, v53
	v_mov_b32_e32 v52, v23
	v_subrev_u32_e32 v53, 28, v56
	v_lshlrev_b64 v[52:53], v53, v[52:53]
	v_lshrrev_b32_e32 v55, 3, v22
	v_sub_u32_e32 v53, 29, v56
	v_and_b32_e32 v52, 7, v52
	v_cmp_gt_u32_e32 vcc, 8, v22
	v_cndmask_b32_e32 v22, v55, v53, vcc
	v_cndmask_b32_e32 v52, v54, v52, vcc
	v_lshlrev_b32_e32 v53, 24, v23
	v_bfrev_b32_e32 v54, 60
	v_lshlrev_b32_e32 v52, 20, v52
	v_and_b32_e32 v53, 0x80000000, v53
	v_lshl_add_u32 v22, v22, 23, v54
	v_or3_b32 v22, v53, v22, v52
	v_lshrrev_b32_e32 v52, 16, v22
.LBB882_327:
	s_or_b64 exec, exec, s[10:11]
.LBB882_328:
	s_or_b64 exec, exec, s[8:9]
.LBB882_329:
	s_or_b64 exec, exec, s[2:3]
	v_lshrrev_b16_e32 v22, 8, v23
	v_cmp_ne_u16_e32 vcc, 0, v22
	s_and_saveexec_b64 s[2:3], vcc
	s_cbranch_execz .LBB882_335
; %bb.330:
	s_movk_i32 s8, 0x80
	v_cmp_ne_u16_e32 vcc, s8, v22
	v_mov_b32_e32 v42, 0xffff8000
	s_and_saveexec_b64 s[8:9], vcc
	s_cbranch_execz .LBB882_334
; %bb.331:
	s_movk_i32 s10, 0x7f
	v_and_b32_e32 v53, 0x7f, v22
	v_cmp_ne_u32_e32 vcc, s10, v53
	v_mov_b32_e32 v42, 0x7f80
	s_and_saveexec_b64 s[10:11], vcc
	s_cbranch_execz .LBB882_333
; %bb.332:
	v_and_b32_e32 v42, 7, v22
	v_ffbh_u32_e32 v54, v42
	v_min_u32_e32 v57, 32, v54
	v_subrev_u32_e32 v54, 28, v57
	v_lshlrev_b64 v[54:55], v54, v[22:23]
	v_lshrrev_b32_e32 v56, 3, v53
	v_sub_u32_e32 v22, 29, v57
	v_and_b32_e32 v54, 7, v54
	v_cmp_gt_u32_e32 vcc, 8, v53
	v_cndmask_b32_e32 v22, v56, v22, vcc
	v_cndmask_b32_e32 v42, v42, v54, vcc
	v_lshlrev_b32_e32 v53, 16, v23
	v_bfrev_b32_e32 v54, 60
	v_lshlrev_b32_e32 v42, 20, v42
	v_and_b32_e32 v53, 0x80000000, v53
	v_lshl_add_u32 v22, v22, 23, v54
	v_or3_b32 v22, v53, v22, v42
	v_lshrrev_b32_e32 v42, 16, v22
.LBB882_333:
	s_or_b64 exec, exec, s[10:11]
.LBB882_334:
	s_or_b64 exec, exec, s[8:9]
.LBB882_335:
	s_or_b64 exec, exec, s[2:3]
	s_movk_i32 s2, 0xff
	v_and_b32_sdwa v55, v23, s2 dst_sel:DWORD dst_unused:UNUSED_PAD src0_sel:WORD_1 src1_sel:DWORD
	v_lshrrev_b32_e32 v22, 16, v23
	v_cmp_ne_u16_e32 vcc, 0, v55
	v_mov_b32_e32 v53, 0
	v_mov_b32_e32 v54, 0
	s_and_saveexec_b64 s[2:3], vcc
	s_cbranch_execz .LBB882_341
; %bb.336:
	s_movk_i32 s8, 0x80
	v_cmp_ne_u16_e32 vcc, s8, v55
	v_mov_b32_e32 v54, 0xffff8000
	s_and_saveexec_b64 s[8:9], vcc
	s_cbranch_execz .LBB882_340
; %bb.337:
	v_bfe_u32 v55, v23, 16, 7
	s_movk_i32 s10, 0x7f
	v_cmp_ne_u32_e32 vcc, s10, v55
	v_mov_b32_e32 v54, 0x7f80
	s_and_saveexec_b64 s[10:11], vcc
	s_cbranch_execz .LBB882_339
; %bb.338:
	v_and_b32_e32 v54, 7, v22
	v_ffbh_u32_e32 v56, v54
	v_min_u32_e32 v59, 32, v56
	v_subrev_u32_e32 v56, 28, v59
	v_lshlrev_b64 v[56:57], v56, v[22:23]
	v_lshrrev_b32_e32 v58, 3, v55
	v_sub_u32_e32 v22, 29, v59
	v_and_b32_e32 v56, 7, v56
	v_cmp_gt_u32_e32 vcc, 8, v55
	v_mov_b32_e32 v55, 24
	v_cndmask_b32_e32 v22, v58, v22, vcc
	v_cndmask_b32_e32 v54, v54, v56, vcc
	v_lshlrev_b32_sdwa v55, v55, v23 dst_sel:DWORD dst_unused:UNUSED_PAD src0_sel:DWORD src1_sel:WORD_1
	v_bfrev_b32_e32 v56, 60
	v_lshlrev_b32_e32 v54, 20, v54
	v_and_b32_e32 v55, 0x80000000, v55
	v_lshl_add_u32 v22, v22, 23, v56
	v_or3_b32 v22, v55, v22, v54
	v_lshrrev_b32_e32 v54, 16, v22
.LBB882_339:
	s_or_b64 exec, exec, s[10:11]
.LBB882_340:
	s_or_b64 exec, exec, s[8:9]
.LBB882_341:
	s_or_b64 exec, exec, s[2:3]
	s_mov_b32 s2, 0xffffff
	v_cmp_lt_u32_e32 vcc, s2, v23
	s_and_saveexec_b64 s[2:3], vcc
	s_cbranch_execz .LBB882_347
; %bb.342:
	v_lshrrev_b32_e32 v22, 24, v23
	s_movk_i32 s8, 0x80
	v_cmp_ne_u32_e32 vcc, s8, v22
	v_mov_b32_e32 v53, 0xffff8000
	s_and_saveexec_b64 s[8:9], vcc
	s_cbranch_execz .LBB882_346
; %bb.343:
	v_bfe_u32 v23, v23, 24, 7
	s_movk_i32 s10, 0x7f
	v_cmp_ne_u32_e32 vcc, s10, v23
	v_mov_b32_e32 v53, 0x7f80
	s_and_saveexec_b64 s[10:11], vcc
	s_cbranch_execz .LBB882_345
; %bb.344:
	v_and_b32_e32 v53, 7, v22
	v_ffbh_u32_e32 v56, v53
	v_min_u32_e32 v58, 32, v56
	v_subrev_u32_e32 v56, 28, v58
	v_lshlrev_b64 v[56:57], v56, v[22:23]
	v_lshrrev_b32_e32 v55, 3, v23
	v_sub_u32_e32 v57, 29, v58
	v_and_b32_e32 v56, 7, v56
	v_cmp_gt_u32_e32 vcc, 8, v23
	v_cndmask_b32_e32 v23, v55, v57, vcc
	v_cndmask_b32_e32 v53, v53, v56, vcc
	v_lshlrev_b32_e32 v22, 24, v22
	v_bfrev_b32_e32 v55, 60
	v_lshlrev_b32_e32 v53, 20, v53
	v_and_b32_e32 v22, 0x80000000, v22
	v_lshl_add_u32 v23, v23, 23, v55
	v_or3_b32 v22, v22, v23, v53
	v_lshrrev_b32_e32 v53, 16, v22
.LBB882_345:
	s_or_b64 exec, exec, s[10:11]
.LBB882_346:
	s_or_b64 exec, exec, s[8:9]
.LBB882_347:
	s_or_b64 exec, exec, s[2:3]
	s_mov_b32 s2, 0x5040100
	v_perm_b32 v23, v45, v51, s2
	v_perm_b32 v22, v43, v44, s2
	s_nop 1
	v_mfma_f32_16x16x16bf16_1k v[56:59], v[22:23], v[26:27], 0
	v_perm_b32 v27, v53, v54, s2
	v_perm_b32 v26, v42, v52, s2
	v_mov_b32_e32 v23, 0
	v_cmp_ne_u16_sdwa s[8:9], v24, v23 src0_sel:BYTE_0 src1_sel:DWORD
	v_mov_b32_e32 v42, 0
	v_mfma_f32_16x16x16bf16_1k v[26:29], v[26:27], v[28:29], v[56:59]
	s_and_saveexec_b64 s[2:3], s[8:9]
	s_cbranch_execz .LBB882_353
; %bb.348:
	s_movk_i32 s8, 0x80
	v_cmp_ne_u16_sdwa s[10:11], v24, s8 src0_sel:BYTE_0 src1_sel:DWORD
	v_mov_b32_e32 v42, 0xffff8000
	s_and_saveexec_b64 s[8:9], s[10:11]
	s_cbranch_execz .LBB882_352
; %bb.349:
	s_movk_i32 s10, 0x7f
	v_and_b32_e32 v22, 0x7f, v24
	v_cmp_ne_u32_e32 vcc, s10, v22
	v_mov_b32_e32 v42, 0x7f80
	s_and_saveexec_b64 s[10:11], vcc
	s_cbranch_execz .LBB882_351
; %bb.350:
	v_and_b32_e32 v44, 7, v24
	v_ffbh_u32_e32 v42, v44
	v_min_u32_e32 v51, 32, v42
	v_subrev_u32_e32 v42, 28, v51
	v_lshlrev_b64 v[42:43], v42, v[24:25]
	v_lshrrev_b32_e32 v45, 3, v22
	v_sub_u32_e32 v43, 29, v51
	v_and_b32_e32 v42, 7, v42
	v_cmp_gt_u32_e32 vcc, 8, v22
	v_cndmask_b32_e32 v22, v45, v43, vcc
	v_cndmask_b32_e32 v42, v44, v42, vcc
	v_lshlrev_b32_e32 v43, 24, v24
	v_bfrev_b32_e32 v44, 60
	v_lshlrev_b32_e32 v42, 20, v42
	v_and_b32_e32 v43, 0x80000000, v43
	v_lshl_add_u32 v22, v22, 23, v44
	v_or3_b32 v22, v43, v22, v42
	v_lshrrev_b32_e32 v42, 16, v22
.LBB882_351:
	s_or_b64 exec, exec, s[10:11]
.LBB882_352:
	s_or_b64 exec, exec, s[8:9]
.LBB882_353:
	s_or_b64 exec, exec, s[2:3]
	v_lshrrev_b16_e32 v22, 8, v24
	v_cmp_ne_u16_e32 vcc, 0, v22
	s_and_saveexec_b64 s[2:3], vcc
	s_cbranch_execz .LBB882_359
; %bb.354:
	s_movk_i32 s8, 0x80
	v_cmp_ne_u16_e32 vcc, s8, v22
	v_mov_b32_e32 v23, 0xffff8000
	s_and_saveexec_b64 s[8:9], vcc
	s_cbranch_execz .LBB882_358
; %bb.355:
	s_movk_i32 s10, 0x7f
	v_and_b32_e32 v43, 0x7f, v22
	v_cmp_ne_u32_e32 vcc, s10, v43
	v_mov_b32_e32 v23, 0x7f80
	s_and_saveexec_b64 s[10:11], vcc
	s_cbranch_execz .LBB882_357
; %bb.356:
	v_and_b32_e32 v44, 7, v22
	v_ffbh_u32_e32 v23, v44
	v_min_u32_e32 v51, 32, v23
	v_subrev_u32_e32 v23, 28, v51
	v_lshlrev_b64 v[22:23], v23, v[22:23]
	v_lshrrev_b32_e32 v45, 3, v43
	v_sub_u32_e32 v23, 29, v51
	v_and_b32_e32 v22, 7, v22
	v_cmp_gt_u32_e32 vcc, 8, v43
	v_cndmask_b32_e32 v23, v45, v23, vcc
	v_cndmask_b32_e32 v22, v44, v22, vcc
	v_lshlrev_b32_e32 v43, 16, v24
	v_bfrev_b32_e32 v44, 60
	v_lshlrev_b32_e32 v22, 20, v22
	v_and_b32_e32 v43, 0x80000000, v43
	v_lshl_add_u32 v23, v23, 23, v44
	v_or3_b32 v22, v43, v23, v22
	v_lshrrev_b32_e32 v23, 16, v22
.LBB882_357:
	s_or_b64 exec, exec, s[10:11]
.LBB882_358:
	s_or_b64 exec, exec, s[8:9]
.LBB882_359:
	s_or_b64 exec, exec, s[2:3]
	s_movk_i32 s2, 0xff
	v_and_b32_sdwa v45, v24, s2 dst_sel:DWORD dst_unused:UNUSED_PAD src0_sel:WORD_1 src1_sel:DWORD
	v_lshrrev_b32_e32 v22, 16, v24
	v_cmp_ne_u16_e32 vcc, 0, v45
	v_mov_b32_e32 v43, 0
	v_mov_b32_e32 v44, 0
	s_and_saveexec_b64 s[2:3], vcc
	s_cbranch_execz .LBB882_365
; %bb.360:
	s_movk_i32 s8, 0x80
	v_cmp_ne_u16_e32 vcc, s8, v45
	v_mov_b32_e32 v44, 0xffff8000
	s_and_saveexec_b64 s[8:9], vcc
	s_cbranch_execz .LBB882_364
; %bb.361:
	v_bfe_u32 v45, v24, 16, 7
	s_movk_i32 s10, 0x7f
	v_cmp_ne_u32_e32 vcc, s10, v45
	v_mov_b32_e32 v44, 0x7f80
	s_and_saveexec_b64 s[10:11], vcc
	s_cbranch_execz .LBB882_363
; %bb.362:
	v_and_b32_e32 v44, 7, v22
	v_ffbh_u32_e32 v52, v44
	v_min_u32_e32 v54, 32, v52
	v_subrev_u32_e32 v52, 28, v54
	v_lshlrev_b64 v[52:53], v52, v[22:23]
	v_lshrrev_b32_e32 v51, 3, v45
	v_sub_u32_e32 v22, 29, v54
	v_and_b32_e32 v52, 7, v52
	v_cmp_gt_u32_e32 vcc, 8, v45
	v_mov_b32_e32 v45, 24
	v_cndmask_b32_e32 v22, v51, v22, vcc
	v_cndmask_b32_e32 v44, v44, v52, vcc
	v_lshlrev_b32_sdwa v45, v45, v24 dst_sel:DWORD dst_unused:UNUSED_PAD src0_sel:DWORD src1_sel:WORD_1
	v_bfrev_b32_e32 v51, 60
	v_lshlrev_b32_e32 v44, 20, v44
	v_and_b32_e32 v45, 0x80000000, v45
	v_lshl_add_u32 v22, v22, 23, v51
	v_or3_b32 v22, v45, v22, v44
	v_lshrrev_b32_e32 v44, 16, v22
.LBB882_363:
	s_or_b64 exec, exec, s[10:11]
.LBB882_364:
	s_or_b64 exec, exec, s[8:9]
.LBB882_365:
	s_or_b64 exec, exec, s[2:3]
	s_mov_b32 s2, 0xffffff
	v_cmp_lt_u32_e32 vcc, s2, v24
	s_and_saveexec_b64 s[2:3], vcc
	s_cbranch_execz .LBB882_371
; %bb.366:
	v_lshrrev_b32_e32 v22, 24, v24
	s_movk_i32 s8, 0x80
	v_cmp_ne_u32_e32 vcc, s8, v22
	v_mov_b32_e32 v43, 0xffff8000
	s_and_saveexec_b64 s[8:9], vcc
	s_cbranch_execz .LBB882_370
; %bb.367:
	v_bfe_u32 v24, v24, 24, 7
	s_movk_i32 s10, 0x7f
	v_cmp_ne_u32_e32 vcc, s10, v24
	v_mov_b32_e32 v43, 0x7f80
	s_and_saveexec_b64 s[10:11], vcc
	s_cbranch_execz .LBB882_369
; %bb.368:
	v_and_b32_e32 v43, 7, v22
	v_ffbh_u32_e32 v51, v43
	v_min_u32_e32 v51, 32, v51
	v_subrev_u32_e32 v52, 28, v51
	v_lshlrev_b64 v[52:53], v52, v[22:23]
	v_lshrrev_b32_e32 v45, 3, v24
	v_sub_u32_e32 v51, 29, v51
	v_and_b32_e32 v52, 7, v52
	v_cmp_gt_u32_e32 vcc, 8, v24
	v_cndmask_b32_e32 v24, v45, v51, vcc
	v_cndmask_b32_e32 v43, v43, v52, vcc
	v_lshlrev_b32_e32 v22, 24, v22
	v_bfrev_b32_e32 v45, 60
	v_lshlrev_b32_e32 v43, 20, v43
	v_and_b32_e32 v22, 0x80000000, v22
	v_lshl_add_u32 v24, v24, 23, v45
	v_or3_b32 v22, v22, v24, v43
	v_lshrrev_b32_e32 v43, 16, v22
.LBB882_369:
	s_or_b64 exec, exec, s[10:11]
.LBB882_370:
	s_or_b64 exec, exec, s[8:9]
.LBB882_371:
	s_or_b64 exec, exec, s[2:3]
	v_mov_b32_e32 v24, 0
	v_cmp_ne_u16_sdwa s[8:9], v25, v24 src0_sel:BYTE_0 src1_sel:DWORD
	v_mov_b32_e32 v51, 0
	s_and_saveexec_b64 s[2:3], s[8:9]
	s_cbranch_execz .LBB882_377
; %bb.372:
	s_movk_i32 s8, 0x80
	v_cmp_ne_u16_sdwa s[10:11], v25, s8 src0_sel:BYTE_0 src1_sel:DWORD
	v_mov_b32_e32 v51, 0xffff8000
	s_and_saveexec_b64 s[8:9], s[10:11]
	s_cbranch_execz .LBB882_376
; %bb.373:
	s_movk_i32 s10, 0x7f
	v_and_b32_e32 v22, 0x7f, v25
	v_cmp_ne_u32_e32 vcc, s10, v22
	v_mov_b32_e32 v51, 0x7f80
	s_and_saveexec_b64 s[10:11], vcc
	s_cbranch_execz .LBB882_375
; %bb.374:
	v_and_b32_e32 v45, 7, v25
	v_ffbh_u32_e32 v53, v45
	v_min_u32_e32 v54, 32, v53
	v_mov_b32_e32 v52, v25
	v_subrev_u32_e32 v53, 28, v54
	v_lshlrev_b64 v[52:53], v53, v[52:53]
	v_lshrrev_b32_e32 v51, 3, v22
	v_sub_u32_e32 v53, 29, v54
	v_and_b32_e32 v52, 7, v52
	v_cmp_gt_u32_e32 vcc, 8, v22
	v_cndmask_b32_e32 v22, v51, v53, vcc
	v_cndmask_b32_e32 v45, v45, v52, vcc
	v_lshlrev_b32_e32 v51, 24, v25
	v_bfrev_b32_e32 v52, 60
	v_lshlrev_b32_e32 v45, 20, v45
	v_and_b32_e32 v51, 0x80000000, v51
	v_lshl_add_u32 v22, v22, 23, v52
	v_or3_b32 v22, v51, v22, v45
	v_lshrrev_b32_e32 v51, 16, v22
.LBB882_375:
	s_or_b64 exec, exec, s[10:11]
.LBB882_376:
	s_or_b64 exec, exec, s[8:9]
.LBB882_377:
	s_or_b64 exec, exec, s[2:3]
	v_lshrrev_b16_e32 v22, 8, v25
	v_cmp_ne_u16_e32 vcc, 0, v22
	s_and_saveexec_b64 s[2:3], vcc
	s_cbranch_execz .LBB882_383
; %bb.378:
	s_movk_i32 s8, 0x80
	v_cmp_ne_u16_e32 vcc, s8, v22
	v_mov_b32_e32 v24, 0xffff8000
	s_and_saveexec_b64 s[8:9], vcc
	s_cbranch_execz .LBB882_382
; %bb.379:
	s_movk_i32 s10, 0x7f
	v_and_b32_e32 v45, 0x7f, v22
	v_cmp_ne_u32_e32 vcc, s10, v45
	v_mov_b32_e32 v24, 0x7f80
	s_and_saveexec_b64 s[10:11], vcc
	s_cbranch_execz .LBB882_381
; %bb.380:
	v_and_b32_e32 v24, 7, v22
	v_ffbh_u32_e32 v52, v24
	v_min_u32_e32 v55, 32, v52
	v_subrev_u32_e32 v52, 28, v55
	v_lshlrev_b64 v[52:53], v52, v[22:23]
	v_lshrrev_b32_e32 v54, 3, v45
	v_sub_u32_e32 v22, 29, v55
	v_and_b32_e32 v52, 7, v52
	v_cmp_gt_u32_e32 vcc, 8, v45
	v_cndmask_b32_e32 v22, v54, v22, vcc
	v_cndmask_b32_e32 v24, v24, v52, vcc
	v_lshlrev_b32_e32 v45, 16, v25
	v_bfrev_b32_e32 v52, 60
	v_lshlrev_b32_e32 v24, 20, v24
	v_and_b32_e32 v45, 0x80000000, v45
	v_lshl_add_u32 v22, v22, 23, v52
	v_or3_b32 v22, v45, v22, v24
	v_lshrrev_b32_e32 v24, 16, v22
.LBB882_381:
	s_or_b64 exec, exec, s[10:11]
.LBB882_382:
	s_or_b64 exec, exec, s[8:9]
.LBB882_383:
	s_or_b64 exec, exec, s[2:3]
	s_movk_i32 s2, 0xff
	v_and_b32_sdwa v45, v25, s2 dst_sel:DWORD dst_unused:UNUSED_PAD src0_sel:WORD_1 src1_sel:DWORD
	v_lshrrev_b32_e32 v22, 16, v25
	v_cmp_ne_u16_e32 vcc, 0, v45
	v_mov_b32_e32 v52, 0
	v_mov_b32_e32 v53, 0
	s_and_saveexec_b64 s[2:3], vcc
	s_cbranch_execz .LBB882_389
; %bb.384:
	s_movk_i32 s8, 0x80
	v_cmp_ne_u16_e32 vcc, s8, v45
	v_mov_b32_e32 v53, 0xffff8000
	s_and_saveexec_b64 s[8:9], vcc
	s_cbranch_execz .LBB882_388
; %bb.385:
	v_bfe_u32 v45, v25, 16, 7
	s_movk_i32 s10, 0x7f
	v_cmp_ne_u32_e32 vcc, s10, v45
	v_mov_b32_e32 v53, 0x7f80
	s_and_saveexec_b64 s[10:11], vcc
	s_cbranch_execz .LBB882_387
; %bb.386:
	v_and_b32_e32 v53, 7, v22
	v_ffbh_u32_e32 v54, v53
	v_min_u32_e32 v57, 32, v54
	v_subrev_u32_e32 v54, 28, v57
	v_lshlrev_b64 v[54:55], v54, v[22:23]
	v_and_b32_e32 v54, 7, v54
	v_cmp_gt_u32_e32 vcc, 8, v45
	v_lshrrev_b32_e32 v56, 3, v45
	v_sub_u32_e32 v22, 29, v57
	v_cndmask_b32_e32 v45, v53, v54, vcc
	v_mov_b32_e32 v53, 24
	v_cndmask_b32_e32 v22, v56, v22, vcc
	v_lshlrev_b32_sdwa v53, v53, v25 dst_sel:DWORD dst_unused:UNUSED_PAD src0_sel:DWORD src1_sel:WORD_1
	v_bfrev_b32_e32 v54, 60
	v_lshlrev_b32_e32 v45, 20, v45
	v_and_b32_e32 v53, 0x80000000, v53
	v_lshl_add_u32 v22, v22, 23, v54
	v_or3_b32 v22, v53, v22, v45
	v_lshrrev_b32_e32 v53, 16, v22
.LBB882_387:
	s_or_b64 exec, exec, s[10:11]
.LBB882_388:
	s_or_b64 exec, exec, s[8:9]
.LBB882_389:
	s_or_b64 exec, exec, s[2:3]
	s_mov_b32 s2, 0xffffff
	v_and_b32_e32 v45, 63, v0
	v_cmp_lt_u32_e32 vcc, s2, v25
	s_and_saveexec_b64 s[2:3], vcc
	s_cbranch_execz .LBB882_395
; %bb.390:
	v_lshrrev_b32_e32 v22, 24, v25
	s_movk_i32 s8, 0x80
	v_cmp_ne_u32_e32 vcc, s8, v22
	v_mov_b32_e32 v52, 0xffff8000
	s_and_saveexec_b64 s[8:9], vcc
	s_cbranch_execz .LBB882_394
; %bb.391:
	v_bfe_u32 v25, v25, 24, 7
	s_movk_i32 s10, 0x7f
	v_cmp_ne_u32_e32 vcc, s10, v25
	v_mov_b32_e32 v52, 0x7f80
	s_and_saveexec_b64 s[10:11], vcc
	s_cbranch_execz .LBB882_393
; %bb.392:
	v_and_b32_e32 v52, 7, v22
	v_ffbh_u32_e32 v54, v52
	v_min_u32_e32 v57, 32, v54
	v_subrev_u32_e32 v54, 28, v57
	v_lshlrev_b64 v[54:55], v54, v[22:23]
	v_lshrrev_b32_e32 v56, 3, v25
	v_sub_u32_e32 v55, 29, v57
	v_and_b32_e32 v54, 7, v54
	v_cmp_gt_u32_e32 vcc, 8, v25
	v_cndmask_b32_e32 v25, v56, v55, vcc
	v_cndmask_b32_e32 v52, v52, v54, vcc
	v_lshlrev_b32_e32 v22, 24, v22
	v_bfrev_b32_e32 v54, 60
	v_lshlrev_b32_e32 v52, 20, v52
	v_and_b32_e32 v22, 0x80000000, v22
	v_lshl_add_u32 v25, v25, 23, v54
	v_or3_b32 v22, v22, v25, v52
	v_lshrrev_b32_e32 v52, 16, v22
.LBB882_393:
	s_or_b64 exec, exec, s[10:11]
.LBB882_394:
	s_or_b64 exec, exec, s[8:9]
.LBB882_395:
	s_or_b64 exec, exec, s[2:3]
	s_mov_b32 s3, 0x5040100
	v_perm_b32 v43, v43, v44, s3
	v_perm_b32 v42, v23, v42, s3
	s_load_dword s2, s[4:5], 0x1c
	s_mov_b32 s46, 0xff7fffff
	s_waitcnt lgkmcnt(0)
	v_mfma_f32_16x16x16bf16_1k v[26:29], v[42:43], v[18:19], v[26:29]
	v_perm_b32 v19, v52, v53, s3
	v_perm_b32 v18, v24, v51, s3
	v_and_b32_e32 v24, 0xc0, v0
	v_mov_b32_e32 v22, s2
	v_add_u32_e32 v24, s20, v24
	v_mul_f32_e32 v44, s12, v22
	v_lshl_or_b32 v42, v1, 2, v24
	v_mfma_f32_16x16x16bf16_1k v[18:21], v[18:19], v[20:21], v[26:29]
	v_pk_mul_f32 v[22:23], v[44:45], v[36:37] op_sel_hi:[0,1]
	v_pk_mul_f32 v[36:37], v[44:45], v[40:41] op_sel_hi:[0,1]
	v_pk_mul_f32 v[40:41], v[44:45], v[32:33] op_sel_hi:[0,1]
	v_pk_mul_f32 v[30:31], v[44:45], v[30:31] op_sel_hi:[0,1]
	v_mov_b32_e32 v43, 0xff7fffff
	v_cmp_gt_i32_e64 s[26:27], s33, v42
	v_pk_mul_f32 v[38:39], v[44:45], v[38:39] op_sel_hi:[0,1]
	s_nop 3
	v_pk_mul_f32 v[32:33], v[44:45], v[18:19] op_sel_hi:[0,1]
	v_or_b32_e32 v19, 1, v42
	v_cmp_gt_i32_e64 s[28:29], s33, v19
	v_cndmask_b32_e64 v18, v43, v30, s[26:27]
	v_cndmask_b32_e64 v19, v43, v31, s[28:29]
	v_pk_mul_f32 v[24:25], v[44:45], v[20:21] op_sel_hi:[0,1]
	v_max3_f32 v18, v18, s46, v19
	v_or_b32_e32 v19, 2, v42
	v_or_b32_e32 v20, 3, v42
	v_cmp_gt_i32_e64 s[30:31], s33, v19
	v_cmp_gt_i32_e64 s[34:35], s33, v20
	v_cndmask_b32_e64 v19, v43, v40, s[30:31]
	v_cndmask_b32_e64 v20, v43, v41, s[34:35]
	v_max3_f32 v18, v18, v19, v20
	v_or_b32_e32 v19, 16, v42
	v_or_b32_e32 v20, 17, v42
	v_cmp_gt_i32_e64 s[36:37], s33, v19
	v_cmp_gt_i32_e64 s[38:39], s33, v20
	v_cndmask_b32_e64 v19, v43, v38, s[36:37]
	v_cndmask_b32_e64 v20, v43, v39, s[38:39]
	;; [unrolled: 7-line block ×3, first 2 shown]
	v_max3_f32 v18, v18, v19, v20
	v_or_b32_e32 v19, 32, v42
	v_or_b32_e32 v20, 33, v42
	v_pk_mul_f32 v[34:35], v[44:45], v[34:35] op_sel_hi:[0,1]
	v_cmp_gt_i32_e64 s[16:17], s33, v19
	v_cmp_gt_i32_e64 s[18:19], s33, v20
	v_cndmask_b32_e64 v19, v43, v34, s[16:17]
	v_cndmask_b32_e64 v20, v43, v35, s[18:19]
	v_max3_f32 v18, v18, v19, v20
	v_or_b32_e32 v19, 34, v42
	v_or_b32_e32 v20, 35, v42
	v_cmp_gt_i32_e64 s[12:13], s33, v19
	v_cmp_gt_i32_e64 s[14:15], s33, v20
	v_cndmask_b32_e64 v19, v43, v22, s[12:13]
	v_cndmask_b32_e64 v20, v43, v23, s[14:15]
	v_max3_f32 v18, v18, v19, v20
	v_or_b32_e32 v19, 48, v42
	v_or_b32_e32 v20, 49, v42
	;; [unrolled: 7-line block ×3, first 2 shown]
	v_cmp_gt_i32_e32 vcc, s33, v19
	v_cmp_gt_i32_e64 s[2:3], s33, v20
	v_cndmask_b32_e32 v19, v43, v24, vcc
	v_cndmask_b32_e64 v20, v43, v25, s[2:3]
	v_max3_f32 v18, v18, v19, v20
	v_mbcnt_lo_u32_b32 v19, -1, 0
	v_mbcnt_hi_u32_b32 v19, -1, v19
	v_and_b32_e32 v20, 64, v19
	v_add_u32_e32 v20, 64, v20
	v_xor_b32_e32 v21, 32, v19
	v_cmp_lt_i32_e64 s[40:41], v21, v20
	v_cndmask_b32_e64 v21, v19, v21, s[40:41]
	v_lshlrev_b32_e32 v43, 2, v21
	ds_bpermute_b32 v21, v43, v18
	s_barrier
	s_waitcnt lgkmcnt(0)
	v_max_f32_e32 v21, v21, v21
	v_max_f32_e32 v18, v18, v21
	v_xor_b32_e32 v21, 16, v19
	v_cmp_lt_i32_e64 s[40:41], v21, v20
	v_cndmask_b32_e64 v19, v19, v21, s[40:41]
	v_lshlrev_b32_e32 v44, 2, v19
	ds_bpermute_b32 v19, v44, v18
	s_waitcnt lgkmcnt(0)
	v_max_f32_e32 v19, v19, v19
	v_max_f32_e32 v42, v18, v19
	v_sub_f32_e32 v21, v40, v42
	v_sub_f32_e32 v26, v41, v42
	v_mul_f32_e32 v21, 0x3fb8aa3b, v21
	v_mul_f32_e32 v26, 0x3fb8aa3b, v26
	v_sub_f32_e32 v18, v30, v42
	v_exp_f32_e32 v21, v21
	v_exp_f32_e32 v26, v26
	v_mul_f32_e32 v18, 0x3fb8aa3b, v18
	v_sub_f32_e32 v19, v31, v42
	v_exp_f32_e32 v18, v18
	v_mul_f32_e32 v19, 0x3fb8aa3b, v19
	v_exp_f32_e32 v19, v19
	v_cndmask_b32_e64 v28, 0, v21, s[30:31]
	v_cndmask_b32_e64 v29, 0, v26, s[34:35]
	v_sub_f32_e32 v21, v38, v42
	v_sub_f32_e32 v26, v39, v42
	v_mul_f32_e32 v21, 0x3fb8aa3b, v21
	v_mul_f32_e32 v26, 0x3fb8aa3b, v26
	v_cndmask_b32_e64 v18, 0, v18, s[26:27]
	v_exp_f32_e32 v21, v21
	v_exp_f32_e32 v26, v26
	v_add_f32_e32 v20, 0, v18
	v_cndmask_b32_e64 v19, 0, v19, s[28:29]
	v_add_f32_e32 v20, v20, v19
	v_add_f32_e32 v20, v20, v28
	;; [unrolled: 1-line block ×3, first 2 shown]
	v_cndmask_b32_e64 v20, 0, v21, s[36:37]
	v_cndmask_b32_e64 v21, 0, v26, s[38:39]
	v_sub_f32_e32 v26, v36, v42
	v_mul_f32_e32 v26, 0x3fb8aa3b, v26
	v_exp_f32_e32 v26, v26
	v_sub_f32_e32 v30, v37, v42
	v_add_f32_e32 v27, v27, v20
	v_mul_f32_e32 v30, 0x3fb8aa3b, v30
	v_exp_f32_e32 v31, v30
	v_add_f32_e32 v27, v27, v21
	v_cndmask_b32_e64 v30, 0, v26, s[20:21]
	v_add_f32_e32 v26, v27, v30
	v_sub_f32_e32 v27, v34, v42
	v_mul_f32_e32 v27, 0x3fb8aa3b, v27
	v_sub_f32_e32 v34, v35, v42
	v_exp_f32_e32 v27, v27
	v_mul_f32_e32 v34, 0x3fb8aa3b, v34
	v_sub_f32_e32 v22, v22, v42
	v_exp_f32_e32 v34, v34
	;; [unrolled: 3-line block ×3, first 2 shown]
	v_mul_f32_e32 v23, 0x3fb8aa3b, v23
	v_cndmask_b32_e64 v31, 0, v31, s[22:23]
	v_exp_f32_e32 v23, v23
	v_add_f32_e32 v35, v26, v31
	v_cndmask_b32_e64 v26, 0, v27, s[16:17]
	v_add_f32_e32 v35, v35, v26
	v_cndmask_b32_e64 v27, 0, v34, s[18:19]
	;; [unrolled: 2-line block ×4, first 2 shown]
	v_sub_f32_e32 v23, v32, v42
	v_mul_f32_e32 v23, 0x3fb8aa3b, v23
	v_sub_f32_e32 v32, v33, v42
	v_exp_f32_e32 v23, v23
	v_mul_f32_e32 v32, 0x3fb8aa3b, v32
	v_sub_f32_e32 v24, v24, v42
	v_exp_f32_e32 v32, v32
	v_mul_f32_e32 v24, 0x3fb8aa3b, v24
	v_sub_f32_e32 v25, v25, v42
	v_exp_f32_e32 v24, v24
	v_mul_f32_e32 v25, 0x3fb8aa3b, v25
	v_exp_f32_e32 v25, v25
	v_add_f32_e32 v33, v22, v35
	v_cndmask_b32_e64 v22, 0, v23, s[8:9]
	v_add_f32_e32 v33, v33, v22
	v_cndmask_b32_e64 v23, 0, v32, s[10:11]
	v_add_f32_e32 v32, v33, v23
	v_cndmask_b32_e32 v24, 0, v24, vcc
	v_add_f32_e32 v32, v32, v24
	v_cndmask_b32_e64 v25, 0, v25, s[2:3]
	v_add_f32_e32 v32, v32, v25
	ds_bpermute_b32 v33, v43, v32
	v_cmp_gt_u32_e64 s[2:3], 16, v45
	s_waitcnt lgkmcnt(0)
	v_add_f32_e32 v32, v32, v33
	ds_bpermute_b32 v36, v44, v32
	v_lshlrev_b32_e32 v33, 2, v49
	s_and_saveexec_b64 s[8:9], s[2:3]
	s_cbranch_execz .LBB882_397
; %bb.396:
	s_waitcnt lgkmcnt(0)
	v_add_f32_e32 v32, v32, v36
	v_lshl_or_b32 v36, v50, 6, v33
	ds_write2st64_b32 v36, v42, v32 offset1:1
.LBB882_397:
	s_or_b64 exec, exec, s[8:9]
	s_waitcnt lgkmcnt(0)
	s_barrier
	ds_read2_b32 v[36:37], v33 offset1:16
	ds_read2_b32 v[38:39], v33 offset0:32 offset1:48
	ds_read2_b32 v[40:41], v33 offset0:64 offset1:80
	s_mul_i32 s14, s45, 5
	s_waitcnt lgkmcnt(2)
	v_max3_f32 v32, v36, s46, v37
	s_waitcnt lgkmcnt(1)
	v_max3_f32 v32, v32, v38, v39
	v_sub_f32_e32 v36, v36, v32
	v_mul_f32_e32 v36, 0x3fb8aa3b, v36
	v_exp_f32_e32 v42, v36
	v_sub_f32_e32 v36, v37, v32
	v_mul_f32_e32 v36, 0x3fb8aa3b, v36
	v_exp_f32_e32 v43, v36
	;; [unrolled: 3-line block ×3, first 2 shown]
	ds_read2_b32 v[36:37], v33 offset0:96 offset1:112
	v_sub_f32_e32 v33, v39, v32
	v_mul_f32_e32 v33, 0x3fb8aa3b, v33
	v_exp_f32_e32 v39, v33
	s_waitcnt lgkmcnt(1)
	v_fma_f32 v33, v42, v40, 0
	v_fmac_f32_e32 v33, v43, v41
	s_waitcnt lgkmcnt(0)
	v_fmac_f32_e32 v33, v38, v36
	v_fmac_f32_e32 v33, v39, v37
	v_add_f32_e32 v36, 0x358637bd, v33
	v_div_scale_f32 v37, s[8:9], v36, v36, 1.0
	v_rcp_f32_e32 v40, v37
	s_movk_i32 s8, 0x7fff
	s_mov_b32 s9, 0x7060302
	v_fma_f32 v41, -v37, v40, 1.0
	v_fmac_f32_e32 v40, v41, v40
	v_div_scale_f32 v41, vcc, 1.0, v36, 1.0
	v_mul_f32_e32 v44, v41, v40
	v_fma_f32 v45, -v37, v44, v41
	v_fmac_f32_e32 v44, v45, v40
	v_fma_f32 v37, -v37, v44, v41
	v_div_fmas_f32 v37, v37, v40, v44
	v_cmp_eq_u32_e32 vcc, 1, v50
	v_div_fixup_f32 v36, v37, v36, 1.0
	v_cndmask_b32_e32 v37, v42, v43, vcc
	v_cmp_eq_u32_e32 vcc, 2, v50
	v_cndmask_b32_e32 v37, v37, v38, vcc
	v_cmp_eq_u32_e32 vcc, 3, v50
	v_cndmask_b32_e32 v37, v37, v39, vcc
	v_mul_f32_e32 v36, v37, v36
	v_pk_mul_f32 v[18:19], v[36:37], v[18:19] op_sel_hi:[0,1]
	v_pk_mul_f32 v[28:29], v[36:37], v[28:29] op_sel_hi:[0,1]
	v_bfe_u32 v37, v19, 16, 1
	v_bfe_u32 v38, v18, 16, 1
	v_add3_u32 v18, v18, v38, s8
	v_add3_u32 v19, v19, v37, s8
	v_perm_b32 v18, v19, v18, s9
	v_bfe_u32 v19, v29, 16, 1
	v_bfe_u32 v37, v28, 16, 1
	v_add3_u32 v28, v28, v37, s8
	v_add3_u32 v19, v29, v19, s8
	v_perm_b32 v19, v19, v28, s9
	v_lshlrev_b32_e32 v28, 3, v1
	v_lshlrev_b32_e32 v29, 11, v50
	v_pk_mul_f32 v[20:21], v[36:37], v[20:21] op_sel_hi:[0,1]
	v_or3_b32 v28, v29, v48, v28
	v_pk_mul_f32 v[30:31], v[36:37], v[30:31] op_sel_hi:[0,1]
	v_bfe_u32 v29, v21, 16, 1
	v_bfe_u32 v37, v20, 16, 1
	v_add3_u32 v20, v20, v37, s8
	v_add3_u32 v21, v21, v29, s8
	v_perm_b32 v20, v21, v20, s9
	v_bfe_u32 v21, v31, 16, 1
	v_bfe_u32 v29, v30, 16, 1
	v_add3_u32 v29, v30, v29, s8
	v_add3_u32 v21, v31, v21, s8
	v_perm_b32 v21, v21, v29, s9
	s_barrier
	ds_write2st64_b64 v28, v[18:19], v[20:21] offset1:1
	v_pk_mul_f32 v[20:21], v[36:37], v[26:27] op_sel_hi:[0,1]
	v_bfe_u32 v26, v21, 16, 1
	v_bfe_u32 v27, v20, 16, 1
	v_pk_mul_f32 v[18:19], v[36:37], v[34:35] op_sel_hi:[0,1]
	v_add3_u32 v20, v20, v27, s8
	v_add3_u32 v21, v21, v26, s8
	v_perm_b32 v20, v21, v20, s9
	v_bfe_u32 v21, v19, 16, 1
	v_bfe_u32 v26, v18, 16, 1
	v_add3_u32 v18, v18, v26, s8
	v_add3_u32 v19, v19, v21, s8
	v_pk_mul_f32 v[22:23], v[36:37], v[22:23] op_sel_hi:[0,1]
	v_perm_b32 v21, v19, v18, s9
	v_pk_mul_f32 v[18:19], v[36:37], v[24:25] op_sel_hi:[0,1]
	v_bfe_u32 v24, v23, 16, 1
	v_bfe_u32 v25, v22, 16, 1
	v_add3_u32 v22, v22, v25, s8
	v_add3_u32 v23, v23, v24, s8
	v_perm_b32 v22, v23, v22, s9
	v_bfe_u32 v23, v19, 16, 1
	v_bfe_u32 v24, v18, 16, 1
	v_add3_u32 v18, v18, v24, s8
	v_add3_u32 v19, v19, v23, s8
	v_perm_b32 v23, v19, v18, s9
	v_cmp_gt_u32_e32 vcc, 5, v0
	ds_write2st64_b64 v28, v[20:21], v[22:23] offset0:2 offset1:3
	s_and_saveexec_b64 s[8:9], vcc
	s_cbranch_execz .LBB882_399
; %bb.398:
	v_add_co_u32_e32 v20, vcc, s25, v49
	v_addc_co_u32_e64 v21, s[10:11], 0, 0, vcc
	v_mov_b32_e32 v18, s14
	v_mov_b32_e32 v19, 0
	v_mad_u64_u32 v[20:21], s[10:11], s6, v18, v[20:21]
	v_mov_b32_e32 v18, s24
	s_load_dwordx4 s[16:19], s[4:5], 0x58
	s_mul_i32 s7, s7, s14
	v_mad_u64_u32 v[18:19], s[10:11], v20, s44, v[18:19]
	v_add_u32_e32 v21, s7, v21
	v_mov_b32_e32 v20, v19
	v_mad_u64_u32 v[20:21], s[10:11], v21, s44, v[20:21]
	v_mov_b32_e32 v19, v20
	v_lshlrev_b64 v[18:19], 2, v[18:19]
	s_waitcnt lgkmcnt(0)
	v_mov_b32_e32 v21, s19
	v_add_co_u32_e32 v20, vcc, s18, v18
	v_addc_co_u32_e32 v21, vcc, v21, v19, vcc
	global_store_dword v[20:21], v32, off
	v_mov_b32_e32 v20, s17
	v_add_co_u32_e32 v18, vcc, s16, v18
	v_addc_co_u32_e32 v19, vcc, v20, v19, vcc
	global_store_dword v[18:19], v33, off
.LBB882_399:
	s_or_b64 exec, exec, s[8:9]
	v_mov_b32_e32 v19, 0
	s_waitcnt vmcnt(3)
	v_cmp_ne_u16_sdwa s[10:11], v14, v19 src0_sel:BYTE_0 src1_sel:DWORD
	v_mov_b32_e32 v20, 0
	s_waitcnt lgkmcnt(0)
	s_barrier
	s_and_saveexec_b64 s[8:9], s[10:11]
	s_cbranch_execz .LBB882_405
; %bb.400:
	s_movk_i32 s7, 0x80
	v_cmp_ne_u16_sdwa s[12:13], v14, s7 src0_sel:BYTE_0 src1_sel:DWORD
	v_mov_b32_e32 v20, 0xffff8000
	s_and_saveexec_b64 s[10:11], s[12:13]
	s_cbranch_execz .LBB882_404
; %bb.401:
	s_movk_i32 s7, 0x7f
	v_and_b32_e32 v18, 0x7f, v14
	v_cmp_ne_u32_e32 vcc, s7, v18
	v_mov_b32_e32 v20, 0x7f80
	s_and_saveexec_b64 s[12:13], vcc
	s_cbranch_execz .LBB882_403
; %bb.402:
	v_and_b32_e32 v22, 7, v14
	v_ffbh_u32_e32 v20, v22
	v_min_u32_e32 v24, 32, v20
	v_subrev_u32_e32 v20, 28, v24
	v_lshlrev_b64 v[20:21], v20, v[14:15]
	v_lshrrev_b32_e32 v23, 3, v18
	v_sub_u32_e32 v21, 29, v24
	v_and_b32_e32 v20, 7, v20
	v_cmp_gt_u32_e32 vcc, 8, v18
	v_cndmask_b32_e32 v18, v23, v21, vcc
	v_cndmask_b32_e32 v20, v22, v20, vcc
	v_lshlrev_b32_e32 v21, 24, v14
	v_bfrev_b32_e32 v22, 60
	v_lshlrev_b32_e32 v20, 20, v20
	v_and_b32_e32 v21, 0x80000000, v21
	v_lshl_add_u32 v18, v18, 23, v22
	v_or3_b32 v18, v21, v18, v20
	v_lshrrev_b32_e32 v20, 16, v18
.LBB882_403:
	s_or_b64 exec, exec, s[12:13]
.LBB882_404:
	s_or_b64 exec, exec, s[10:11]
.LBB882_405:
	s_or_b64 exec, exec, s[8:9]
	v_lshrrev_b16_e32 v18, 8, v14
	v_cmp_ne_u16_e32 vcc, 0, v18
	s_and_saveexec_b64 s[8:9], vcc
	s_cbranch_execz .LBB882_411
; %bb.406:
	s_movk_i32 s7, 0x80
	v_cmp_ne_u16_e32 vcc, s7, v18
	v_mov_b32_e32 v19, 0xffff8000
	s_and_saveexec_b64 s[10:11], vcc
	s_cbranch_execz .LBB882_410
; %bb.407:
	s_movk_i32 s7, 0x7f
	v_and_b32_e32 v21, 0x7f, v18
	v_cmp_ne_u32_e32 vcc, s7, v21
	v_mov_b32_e32 v19, 0x7f80
	s_and_saveexec_b64 s[12:13], vcc
	s_cbranch_execz .LBB882_409
; %bb.408:
	v_and_b32_e32 v22, 7, v18
	v_ffbh_u32_e32 v19, v22
	v_min_u32_e32 v24, 32, v19
	v_subrev_u32_e32 v19, 28, v24
	v_lshlrev_b64 v[18:19], v19, v[18:19]
	v_lshrrev_b32_e32 v23, 3, v21
	v_sub_u32_e32 v19, 29, v24
	v_and_b32_e32 v18, 7, v18
	v_cmp_gt_u32_e32 vcc, 8, v21
	v_cndmask_b32_e32 v19, v23, v19, vcc
	v_cndmask_b32_e32 v18, v22, v18, vcc
	v_lshlrev_b32_e32 v21, 16, v14
	v_bfrev_b32_e32 v22, 60
	v_lshlrev_b32_e32 v18, 20, v18
	v_and_b32_e32 v21, 0x80000000, v21
	v_lshl_add_u32 v19, v19, 23, v22
	v_or3_b32 v18, v21, v19, v18
	v_lshrrev_b32_e32 v19, 16, v18
.LBB882_409:
	s_or_b64 exec, exec, s[12:13]
.LBB882_410:
	s_or_b64 exec, exec, s[10:11]
.LBB882_411:
	s_or_b64 exec, exec, s[8:9]
	s_movk_i32 s7, 0xff
	v_and_b32_sdwa v23, v14, s7 dst_sel:DWORD dst_unused:UNUSED_PAD src0_sel:WORD_1 src1_sel:DWORD
	v_lshrrev_b32_e32 v18, 16, v14
	v_cmp_ne_u16_e32 vcc, 0, v23
	v_mov_b32_e32 v21, 0
	v_mov_b32_e32 v22, 0
	s_and_saveexec_b64 s[8:9], vcc
	s_cbranch_execz .LBB882_417
; %bb.412:
	s_movk_i32 s7, 0x80
	v_cmp_ne_u16_e32 vcc, s7, v23
	v_mov_b32_e32 v22, 0xffff8000
	s_and_saveexec_b64 s[10:11], vcc
	s_cbranch_execz .LBB882_416
; %bb.413:
	v_bfe_u32 v23, v14, 16, 7
	s_movk_i32 s7, 0x7f
	v_cmp_ne_u32_e32 vcc, s7, v23
	v_mov_b32_e32 v22, 0x7f80
	s_and_saveexec_b64 s[12:13], vcc
	s_cbranch_execz .LBB882_415
; %bb.414:
	v_and_b32_e32 v22, 7, v18
	v_ffbh_u32_e32 v24, v22
	v_min_u32_e32 v27, 32, v24
	v_subrev_u32_e32 v24, 28, v27
	v_lshlrev_b64 v[24:25], v24, v[18:19]
	v_lshrrev_b32_e32 v26, 3, v23
	v_sub_u32_e32 v18, 29, v27
	v_and_b32_e32 v24, 7, v24
	v_cmp_gt_u32_e32 vcc, 8, v23
	v_mov_b32_e32 v23, 24
	v_cndmask_b32_e32 v18, v26, v18, vcc
	v_cndmask_b32_e32 v22, v22, v24, vcc
	v_lshlrev_b32_sdwa v23, v23, v14 dst_sel:DWORD dst_unused:UNUSED_PAD src0_sel:DWORD src1_sel:WORD_1
	v_bfrev_b32_e32 v24, 60
	v_lshlrev_b32_e32 v22, 20, v22
	v_and_b32_e32 v23, 0x80000000, v23
	v_lshl_add_u32 v18, v18, 23, v24
	v_or3_b32 v18, v23, v18, v22
	v_lshrrev_b32_e32 v22, 16, v18
.LBB882_415:
	s_or_b64 exec, exec, s[12:13]
.LBB882_416:
	s_or_b64 exec, exec, s[10:11]
.LBB882_417:
	s_or_b64 exec, exec, s[8:9]
	s_mov_b32 s7, 0xffffff
	v_cmp_lt_u32_e32 vcc, s7, v14
	s_and_saveexec_b64 s[8:9], vcc
	s_cbranch_execz .LBB882_423
; %bb.418:
	v_lshrrev_b32_e32 v18, 24, v14
	s_movk_i32 s7, 0x80
	v_cmp_ne_u32_e32 vcc, s7, v18
	v_mov_b32_e32 v21, 0xffff8000
	s_and_saveexec_b64 s[10:11], vcc
	s_cbranch_execz .LBB882_422
; %bb.419:
	v_bfe_u32 v14, v14, 24, 7
	s_movk_i32 s7, 0x7f
	v_cmp_ne_u32_e32 vcc, s7, v14
	v_mov_b32_e32 v21, 0x7f80
	s_and_saveexec_b64 s[12:13], vcc
	s_cbranch_execz .LBB882_421
; %bb.420:
	v_and_b32_e32 v21, 7, v18
	v_ffbh_u32_e32 v24, v21
	v_min_u32_e32 v26, 32, v24
	v_subrev_u32_e32 v24, 28, v26
	v_lshlrev_b64 v[24:25], v24, v[18:19]
	v_lshrrev_b32_e32 v23, 3, v14
	v_sub_u32_e32 v25, 29, v26
	v_and_b32_e32 v24, 7, v24
	v_cmp_gt_u32_e32 vcc, 8, v14
	v_cndmask_b32_e32 v14, v23, v25, vcc
	v_cndmask_b32_e32 v21, v21, v24, vcc
	v_lshlrev_b32_e32 v18, 24, v18
	v_bfrev_b32_e32 v23, 60
	v_lshlrev_b32_e32 v21, 20, v21
	v_and_b32_e32 v18, 0x80000000, v18
	v_lshl_add_u32 v14, v14, 23, v23
	v_or3_b32 v14, v18, v14, v21
	v_lshrrev_b32_e32 v21, 16, v14
.LBB882_421:
	s_or_b64 exec, exec, s[12:13]
.LBB882_422:
	s_or_b64 exec, exec, s[10:11]
.LBB882_423:
	s_or_b64 exec, exec, s[8:9]
	v_mov_b32_e32 v18, 0
	v_cmp_ne_u16_sdwa s[10:11], v15, v18 src0_sel:BYTE_0 src1_sel:DWORD
	v_mov_b32_e32 v23, 0
	s_and_saveexec_b64 s[8:9], s[10:11]
	s_cbranch_execz .LBB882_429
; %bb.424:
	s_movk_i32 s7, 0x80
	v_cmp_ne_u16_sdwa s[12:13], v15, s7 src0_sel:BYTE_0 src1_sel:DWORD
	v_mov_b32_e32 v23, 0xffff8000
	s_and_saveexec_b64 s[10:11], s[12:13]
	s_cbranch_execz .LBB882_428
; %bb.425:
	s_movk_i32 s7, 0x7f
	v_and_b32_e32 v14, 0x7f, v15
	v_cmp_ne_u32_e32 vcc, s7, v14
	v_mov_b32_e32 v23, 0x7f80
	s_and_saveexec_b64 s[12:13], vcc
	s_cbranch_execz .LBB882_427
; %bb.426:
	v_and_b32_e32 v23, 7, v15
	v_ffbh_u32_e32 v25, v23
	v_min_u32_e32 v27, 32, v25
	v_mov_b32_e32 v24, v15
	v_subrev_u32_e32 v25, 28, v27
	v_lshlrev_b64 v[24:25], v25, v[24:25]
	v_lshrrev_b32_e32 v26, 3, v14
	v_sub_u32_e32 v25, 29, v27
	v_and_b32_e32 v24, 7, v24
	v_cmp_gt_u32_e32 vcc, 8, v14
	v_cndmask_b32_e32 v14, v26, v25, vcc
	v_cndmask_b32_e32 v23, v23, v24, vcc
	v_lshlrev_b32_e32 v24, 24, v15
	v_bfrev_b32_e32 v25, 60
	v_lshlrev_b32_e32 v23, 20, v23
	v_and_b32_e32 v24, 0x80000000, v24
	v_lshl_add_u32 v14, v14, 23, v25
	v_or3_b32 v14, v24, v14, v23
	v_lshrrev_b32_e32 v23, 16, v14
.LBB882_427:
	s_or_b64 exec, exec, s[12:13]
.LBB882_428:
	s_or_b64 exec, exec, s[10:11]
.LBB882_429:
	s_or_b64 exec, exec, s[8:9]
	v_lshrrev_b16_e32 v14, 8, v15
	v_cmp_ne_u16_e32 vcc, 0, v14
	s_and_saveexec_b64 s[8:9], vcc
	s_cbranch_execz .LBB882_435
; %bb.430:
	s_movk_i32 s7, 0x80
	v_cmp_ne_u16_e32 vcc, s7, v14
	v_mov_b32_e32 v18, 0xffff8000
	s_and_saveexec_b64 s[10:11], vcc
	s_cbranch_execz .LBB882_434
; %bb.431:
	s_movk_i32 s7, 0x7f
	v_and_b32_e32 v24, 0x7f, v14
	v_cmp_ne_u32_e32 vcc, s7, v24
	v_mov_b32_e32 v18, 0x7f80
	s_and_saveexec_b64 s[12:13], vcc
	s_cbranch_execz .LBB882_433
; %bb.432:
	v_and_b32_e32 v18, 7, v14
	v_ffbh_u32_e32 v26, v18
	v_min_u32_e32 v29, 32, v26
	v_subrev_u32_e32 v26, 28, v29
	v_lshlrev_b64 v[26:27], v26, v[14:15]
	v_lshrrev_b32_e32 v25, 3, v24
	v_sub_u32_e32 v14, 29, v29
	v_and_b32_e32 v26, 7, v26
	v_cmp_gt_u32_e32 vcc, 8, v24
	v_cndmask_b32_e32 v14, v25, v14, vcc
	v_cndmask_b32_e32 v18, v18, v26, vcc
	v_lshlrev_b32_e32 v24, 16, v15
	v_bfrev_b32_e32 v25, 60
	v_lshlrev_b32_e32 v18, 20, v18
	v_and_b32_e32 v24, 0x80000000, v24
	v_lshl_add_u32 v14, v14, 23, v25
	v_or3_b32 v14, v24, v14, v18
	v_lshrrev_b32_e32 v18, 16, v14
.LBB882_433:
	s_or_b64 exec, exec, s[12:13]
.LBB882_434:
	s_or_b64 exec, exec, s[10:11]
.LBB882_435:
	s_or_b64 exec, exec, s[8:9]
	s_movk_i32 s7, 0xff
	v_and_b32_sdwa v26, v15, s7 dst_sel:DWORD dst_unused:UNUSED_PAD src0_sel:WORD_1 src1_sel:DWORD
	v_lshrrev_b32_e32 v14, 16, v15
	v_cmp_ne_u16_e32 vcc, 0, v26
	v_mov_b32_e32 v24, 0
	v_mov_b32_e32 v25, 0
	s_and_saveexec_b64 s[8:9], vcc
	s_cbranch_execz .LBB882_441
; %bb.436:
	s_movk_i32 s7, 0x80
	v_cmp_ne_u16_e32 vcc, s7, v26
	v_mov_b32_e32 v25, 0xffff8000
	s_and_saveexec_b64 s[10:11], vcc
	s_cbranch_execz .LBB882_440
; %bb.437:
	v_bfe_u32 v26, v15, 16, 7
	s_movk_i32 s7, 0x7f
	v_cmp_ne_u32_e32 vcc, s7, v26
	v_mov_b32_e32 v25, 0x7f80
	s_and_saveexec_b64 s[12:13], vcc
	s_cbranch_execz .LBB882_439
; %bb.438:
	v_and_b32_e32 v25, 7, v14
	v_ffbh_u32_e32 v29, v25
	v_min_u32_e32 v29, 32, v29
	v_subrev_u32_e32 v30, 28, v29
	v_lshlrev_b64 v[30:31], v30, v[14:15]
	v_lshrrev_b32_e32 v27, 3, v26
	v_sub_u32_e32 v14, 29, v29
	v_and_b32_e32 v29, 7, v30
	v_cmp_gt_u32_e32 vcc, 8, v26
	v_mov_b32_e32 v26, 24
	v_cndmask_b32_e32 v14, v27, v14, vcc
	v_cndmask_b32_e32 v25, v25, v29, vcc
	v_lshlrev_b32_sdwa v26, v26, v15 dst_sel:DWORD dst_unused:UNUSED_PAD src0_sel:DWORD src1_sel:WORD_1
	v_bfrev_b32_e32 v27, 60
	v_lshlrev_b32_e32 v25, 20, v25
	v_and_b32_e32 v26, 0x80000000, v26
	v_lshl_add_u32 v14, v14, 23, v27
	v_or3_b32 v14, v26, v14, v25
	v_lshrrev_b32_e32 v25, 16, v14
.LBB882_439:
	s_or_b64 exec, exec, s[12:13]
.LBB882_440:
	s_or_b64 exec, exec, s[10:11]
.LBB882_441:
	s_or_b64 exec, exec, s[8:9]
	s_mov_b32 s7, 0xffffff
	v_cmp_lt_u32_e32 vcc, s7, v15
	s_and_saveexec_b64 s[8:9], vcc
	s_cbranch_execz .LBB882_447
; %bb.442:
	v_lshrrev_b32_e32 v14, 24, v15
	s_movk_i32 s7, 0x80
	v_cmp_ne_u32_e32 vcc, s7, v14
	v_mov_b32_e32 v24, 0xffff8000
	s_and_saveexec_b64 s[10:11], vcc
	s_cbranch_execz .LBB882_446
; %bb.443:
	v_bfe_u32 v15, v15, 24, 7
	s_movk_i32 s7, 0x7f
	v_cmp_ne_u32_e32 vcc, s7, v15
	v_mov_b32_e32 v24, 0x7f80
	s_and_saveexec_b64 s[12:13], vcc
	s_cbranch_execz .LBB882_445
; %bb.444:
	v_and_b32_e32 v24, 7, v14
	v_ffbh_u32_e32 v26, v24
	v_min_u32_e32 v30, 32, v26
	v_subrev_u32_e32 v26, 28, v30
	v_lshlrev_b64 v[26:27], v26, v[14:15]
	v_lshrrev_b32_e32 v29, 3, v15
	v_sub_u32_e32 v27, 29, v30
	v_and_b32_e32 v26, 7, v26
	v_cmp_gt_u32_e32 vcc, 8, v15
	v_cndmask_b32_e32 v15, v29, v27, vcc
	v_cndmask_b32_e32 v24, v24, v26, vcc
	v_lshlrev_b32_e32 v14, 24, v14
	v_bfrev_b32_e32 v26, 60
	v_lshlrev_b32_e32 v24, 20, v24
	v_and_b32_e32 v14, 0x80000000, v14
	v_lshl_add_u32 v15, v15, 23, v26
	v_or3_b32 v14, v14, v15, v24
	v_lshrrev_b32_e32 v24, 16, v14
.LBB882_445:
	s_or_b64 exec, exec, s[12:13]
.LBB882_446:
	s_or_b64 exec, exec, s[10:11]
.LBB882_447:
	s_or_b64 exec, exec, s[8:9]
	s_mov_b32 s7, 0x5040100
	v_perm_b32 v15, v21, v22, s7
	v_lshl_or_b32 v22, v1, 9, v48
	v_perm_b32 v14, v19, v20, s7
	ds_read_b128 v[30:33], v22
	v_perm_b32 v19, v24, v25, s7
	v_perm_b32 v18, v18, v23, s7
	s_waitcnt lgkmcnt(0)
	v_mfma_f32_16x16x16bf16_1k v[34:37], v[14:15], v[30:31], 0
	v_mov_b32_e32 v15, 0
	v_cmp_ne_u16_sdwa s[10:11], v16, v15 src0_sel:BYTE_0 src1_sel:DWORD
	v_mov_b32_e32 v23, 0
	v_mfma_f32_16x16x16bf16_1k v[18:21], v[18:19], v[32:33], v[34:37]
	s_and_saveexec_b64 s[8:9], s[10:11]
	s_cbranch_execz .LBB882_453
; %bb.448:
	s_movk_i32 s7, 0x80
	v_cmp_ne_u16_sdwa s[12:13], v16, s7 src0_sel:BYTE_0 src1_sel:DWORD
	v_mov_b32_e32 v23, 0xffff8000
	s_and_saveexec_b64 s[10:11], s[12:13]
	s_cbranch_execz .LBB882_452
; %bb.449:
	s_movk_i32 s7, 0x7f
	v_and_b32_e32 v14, 0x7f, v16
	v_cmp_ne_u32_e32 vcc, s7, v14
	v_mov_b32_e32 v23, 0x7f80
	s_and_saveexec_b64 s[12:13], vcc
	s_cbranch_execz .LBB882_451
; %bb.450:
	v_and_b32_e32 v23, 7, v16
	v_ffbh_u32_e32 v24, v23
	v_min_u32_e32 v27, 32, v24
	v_subrev_u32_e32 v24, 28, v27
	v_lshlrev_b64 v[24:25], v24, v[16:17]
	v_lshrrev_b32_e32 v26, 3, v14
	v_sub_u32_e32 v25, 29, v27
	v_and_b32_e32 v24, 7, v24
	v_cmp_gt_u32_e32 vcc, 8, v14
	v_cndmask_b32_e32 v14, v26, v25, vcc
	v_cndmask_b32_e32 v23, v23, v24, vcc
	v_lshlrev_b32_e32 v24, 24, v16
	v_bfrev_b32_e32 v25, 60
	v_lshlrev_b32_e32 v23, 20, v23
	v_and_b32_e32 v24, 0x80000000, v24
	v_lshl_add_u32 v14, v14, 23, v25
	v_or3_b32 v14, v24, v14, v23
	v_lshrrev_b32_e32 v23, 16, v14
.LBB882_451:
	s_or_b64 exec, exec, s[12:13]
.LBB882_452:
	s_or_b64 exec, exec, s[10:11]
.LBB882_453:
	s_or_b64 exec, exec, s[8:9]
	v_lshrrev_b16_e32 v14, 8, v16
	v_cmp_ne_u16_e32 vcc, 0, v14
	s_and_saveexec_b64 s[8:9], vcc
	s_cbranch_execz .LBB882_459
; %bb.454:
	s_movk_i32 s7, 0x80
	v_cmp_ne_u16_e32 vcc, s7, v14
	v_mov_b32_e32 v15, 0xffff8000
	s_and_saveexec_b64 s[10:11], vcc
	s_cbranch_execz .LBB882_458
; %bb.455:
	s_movk_i32 s7, 0x7f
	v_and_b32_e32 v24, 0x7f, v14
	v_cmp_ne_u32_e32 vcc, s7, v24
	v_mov_b32_e32 v15, 0x7f80
	s_and_saveexec_b64 s[12:13], vcc
	s_cbranch_execz .LBB882_457
; %bb.456:
	v_and_b32_e32 v25, 7, v14
	v_ffbh_u32_e32 v15, v25
	v_min_u32_e32 v27, 32, v15
	v_subrev_u32_e32 v15, 28, v27
	v_lshlrev_b64 v[14:15], v15, v[14:15]
	v_lshrrev_b32_e32 v26, 3, v24
	v_sub_u32_e32 v15, 29, v27
	v_and_b32_e32 v14, 7, v14
	v_cmp_gt_u32_e32 vcc, 8, v24
	v_cndmask_b32_e32 v15, v26, v15, vcc
	v_cndmask_b32_e32 v14, v25, v14, vcc
	v_lshlrev_b32_e32 v24, 16, v16
	v_bfrev_b32_e32 v25, 60
	v_lshlrev_b32_e32 v14, 20, v14
	v_and_b32_e32 v24, 0x80000000, v24
	v_lshl_add_u32 v15, v15, 23, v25
	v_or3_b32 v14, v24, v15, v14
	v_lshrrev_b32_e32 v15, 16, v14
.LBB882_457:
	s_or_b64 exec, exec, s[12:13]
.LBB882_458:
	s_or_b64 exec, exec, s[10:11]
.LBB882_459:
	s_or_b64 exec, exec, s[8:9]
	s_movk_i32 s7, 0xff
	v_and_b32_sdwa v26, v16, s7 dst_sel:DWORD dst_unused:UNUSED_PAD src0_sel:WORD_1 src1_sel:DWORD
	v_lshrrev_b32_e32 v14, 16, v16
	v_cmp_ne_u16_e32 vcc, 0, v26
	v_mov_b32_e32 v24, 0
	v_mov_b32_e32 v25, 0
	s_and_saveexec_b64 s[8:9], vcc
	s_cbranch_execz .LBB882_465
; %bb.460:
	s_movk_i32 s7, 0x80
	v_cmp_ne_u16_e32 vcc, s7, v26
	v_mov_b32_e32 v25, 0xffff8000
	s_and_saveexec_b64 s[10:11], vcc
	s_cbranch_execz .LBB882_464
; %bb.461:
	v_bfe_u32 v26, v16, 16, 7
	s_movk_i32 s7, 0x7f
	v_cmp_ne_u32_e32 vcc, s7, v26
	v_mov_b32_e32 v25, 0x7f80
	s_and_saveexec_b64 s[12:13], vcc
	s_cbranch_execz .LBB882_463
; %bb.462:
	v_and_b32_e32 v25, 7, v14
	v_ffbh_u32_e32 v29, v25
	v_min_u32_e32 v29, 32, v29
	v_subrev_u32_e32 v30, 28, v29
	v_lshlrev_b64 v[30:31], v30, v[14:15]
	v_lshrrev_b32_e32 v27, 3, v26
	v_sub_u32_e32 v14, 29, v29
	v_and_b32_e32 v29, 7, v30
	v_cmp_gt_u32_e32 vcc, 8, v26
	v_mov_b32_e32 v26, 24
	v_cndmask_b32_e32 v14, v27, v14, vcc
	v_cndmask_b32_e32 v25, v25, v29, vcc
	v_lshlrev_b32_sdwa v26, v26, v16 dst_sel:DWORD dst_unused:UNUSED_PAD src0_sel:DWORD src1_sel:WORD_1
	v_bfrev_b32_e32 v27, 60
	v_lshlrev_b32_e32 v25, 20, v25
	v_and_b32_e32 v26, 0x80000000, v26
	v_lshl_add_u32 v14, v14, 23, v27
	v_or3_b32 v14, v26, v14, v25
	v_lshrrev_b32_e32 v25, 16, v14
.LBB882_463:
	s_or_b64 exec, exec, s[12:13]
.LBB882_464:
	s_or_b64 exec, exec, s[10:11]
.LBB882_465:
	s_or_b64 exec, exec, s[8:9]
	s_mov_b32 s7, 0xffffff
	v_cmp_lt_u32_e32 vcc, s7, v16
	s_and_saveexec_b64 s[8:9], vcc
	s_cbranch_execz .LBB882_471
; %bb.466:
	v_lshrrev_b32_e32 v14, 24, v16
	s_movk_i32 s7, 0x80
	v_cmp_ne_u32_e32 vcc, s7, v14
	v_mov_b32_e32 v24, 0xffff8000
	s_and_saveexec_b64 s[10:11], vcc
	s_cbranch_execz .LBB882_470
; %bb.467:
	v_bfe_u32 v16, v16, 24, 7
	s_movk_i32 s7, 0x7f
	v_cmp_ne_u32_e32 vcc, s7, v16
	v_mov_b32_e32 v24, 0x7f80
	s_and_saveexec_b64 s[12:13], vcc
	s_cbranch_execz .LBB882_469
; %bb.468:
	v_and_b32_e32 v24, 7, v14
	v_ffbh_u32_e32 v26, v24
	v_min_u32_e32 v30, 32, v26
	v_subrev_u32_e32 v26, 28, v30
	v_lshlrev_b64 v[26:27], v26, v[14:15]
	v_lshrrev_b32_e32 v29, 3, v16
	v_sub_u32_e32 v27, 29, v30
	v_and_b32_e32 v26, 7, v26
	v_cmp_gt_u32_e32 vcc, 8, v16
	v_cndmask_b32_e32 v16, v29, v27, vcc
	v_cndmask_b32_e32 v24, v24, v26, vcc
	v_lshlrev_b32_e32 v14, 24, v14
	v_bfrev_b32_e32 v26, 60
	v_lshlrev_b32_e32 v24, 20, v24
	v_and_b32_e32 v14, 0x80000000, v14
	v_lshl_add_u32 v16, v16, 23, v26
	v_or3_b32 v14, v14, v16, v24
	v_lshrrev_b32_e32 v24, 16, v14
.LBB882_469:
	s_or_b64 exec, exec, s[12:13]
.LBB882_470:
	s_or_b64 exec, exec, s[10:11]
.LBB882_471:
	s_or_b64 exec, exec, s[8:9]
	v_mov_b32_e32 v16, 0
	v_cmp_ne_u16_sdwa s[10:11], v17, v16 src0_sel:BYTE_0 src1_sel:DWORD
	v_mov_b32_e32 v26, 0
	s_and_saveexec_b64 s[8:9], s[10:11]
	s_cbranch_execz .LBB882_477
; %bb.472:
	s_movk_i32 s7, 0x80
	v_cmp_ne_u16_sdwa s[12:13], v17, s7 src0_sel:BYTE_0 src1_sel:DWORD
	v_mov_b32_e32 v26, 0xffff8000
	s_and_saveexec_b64 s[10:11], s[12:13]
	s_cbranch_execz .LBB882_476
; %bb.473:
	s_movk_i32 s7, 0x7f
	v_and_b32_e32 v14, 0x7f, v17
	v_cmp_ne_u32_e32 vcc, s7, v14
	v_mov_b32_e32 v26, 0x7f80
	s_and_saveexec_b64 s[12:13], vcc
	s_cbranch_execz .LBB882_475
; %bb.474:
	v_and_b32_e32 v29, 7, v17
	v_ffbh_u32_e32 v27, v29
	v_min_u32_e32 v31, 32, v27
	v_mov_b32_e32 v26, v17
	v_subrev_u32_e32 v27, 28, v31
	v_lshlrev_b64 v[26:27], v27, v[26:27]
	v_lshrrev_b32_e32 v30, 3, v14
	v_sub_u32_e32 v27, 29, v31
	v_and_b32_e32 v26, 7, v26
	v_cmp_gt_u32_e32 vcc, 8, v14
	v_cndmask_b32_e32 v14, v30, v27, vcc
	v_cndmask_b32_e32 v26, v29, v26, vcc
	v_lshlrev_b32_e32 v27, 24, v17
	v_bfrev_b32_e32 v29, 60
	v_lshlrev_b32_e32 v26, 20, v26
	v_and_b32_e32 v27, 0x80000000, v27
	v_lshl_add_u32 v14, v14, 23, v29
	v_or3_b32 v14, v27, v14, v26
	v_lshrrev_b32_e32 v26, 16, v14
.LBB882_475:
	s_or_b64 exec, exec, s[12:13]
.LBB882_476:
	s_or_b64 exec, exec, s[10:11]
.LBB882_477:
	s_or_b64 exec, exec, s[8:9]
	v_lshrrev_b16_e32 v14, 8, v17
	v_cmp_ne_u16_e32 vcc, 0, v14
	s_and_saveexec_b64 s[8:9], vcc
	s_cbranch_execz .LBB882_483
; %bb.478:
	s_movk_i32 s7, 0x80
	v_cmp_ne_u16_e32 vcc, s7, v14
	v_mov_b32_e32 v16, 0xffff8000
	s_and_saveexec_b64 s[10:11], vcc
	s_cbranch_execz .LBB882_482
; %bb.479:
	s_movk_i32 s7, 0x7f
	v_and_b32_e32 v27, 0x7f, v14
	v_cmp_ne_u32_e32 vcc, s7, v27
	v_mov_b32_e32 v16, 0x7f80
	s_and_saveexec_b64 s[12:13], vcc
	s_cbranch_execz .LBB882_481
; %bb.480:
	v_and_b32_e32 v16, 7, v14
	v_ffbh_u32_e32 v30, v16
	v_min_u32_e32 v32, 32, v30
	v_subrev_u32_e32 v30, 28, v32
	v_lshlrev_b64 v[30:31], v30, v[14:15]
	v_lshrrev_b32_e32 v29, 3, v27
	v_sub_u32_e32 v14, 29, v32
	v_and_b32_e32 v30, 7, v30
	v_cmp_gt_u32_e32 vcc, 8, v27
	v_cndmask_b32_e32 v14, v29, v14, vcc
	v_cndmask_b32_e32 v16, v16, v30, vcc
	v_lshlrev_b32_e32 v27, 16, v17
	v_bfrev_b32_e32 v29, 60
	v_lshlrev_b32_e32 v16, 20, v16
	v_and_b32_e32 v27, 0x80000000, v27
	v_lshl_add_u32 v14, v14, 23, v29
	v_or3_b32 v14, v27, v14, v16
	v_lshrrev_b32_e32 v16, 16, v14
.LBB882_481:
	s_or_b64 exec, exec, s[12:13]
.LBB882_482:
	s_or_b64 exec, exec, s[10:11]
.LBB882_483:
	s_or_b64 exec, exec, s[8:9]
	s_movk_i32 s7, 0xff
	v_and_b32_sdwa v30, v17, s7 dst_sel:DWORD dst_unused:UNUSED_PAD src0_sel:WORD_1 src1_sel:DWORD
	v_lshrrev_b32_e32 v14, 16, v17
	v_cmp_ne_u16_e32 vcc, 0, v30
	v_mov_b32_e32 v27, 0
	v_mov_b32_e32 v29, 0
	s_and_saveexec_b64 s[8:9], vcc
	s_cbranch_execz .LBB882_489
; %bb.484:
	s_movk_i32 s7, 0x80
	v_cmp_ne_u16_e32 vcc, s7, v30
	v_mov_b32_e32 v29, 0xffff8000
	s_and_saveexec_b64 s[10:11], vcc
	s_cbranch_execz .LBB882_488
; %bb.485:
	v_bfe_u32 v30, v17, 16, 7
	s_movk_i32 s7, 0x7f
	v_cmp_ne_u32_e32 vcc, s7, v30
	v_mov_b32_e32 v29, 0x7f80
	s_and_saveexec_b64 s[12:13], vcc
	s_cbranch_execz .LBB882_487
; %bb.486:
	v_and_b32_e32 v29, 7, v14
	v_ffbh_u32_e32 v32, v29
	v_min_u32_e32 v34, 32, v32
	v_subrev_u32_e32 v32, 28, v34
	v_lshlrev_b64 v[32:33], v32, v[14:15]
	v_lshrrev_b32_e32 v31, 3, v30
	v_sub_u32_e32 v14, 29, v34
	v_and_b32_e32 v32, 7, v32
	v_cmp_gt_u32_e32 vcc, 8, v30
	v_mov_b32_e32 v30, 24
	v_cndmask_b32_e32 v14, v31, v14, vcc
	v_cndmask_b32_e32 v29, v29, v32, vcc
	v_lshlrev_b32_sdwa v30, v30, v17 dst_sel:DWORD dst_unused:UNUSED_PAD src0_sel:DWORD src1_sel:WORD_1
	v_bfrev_b32_e32 v31, 60
	v_lshlrev_b32_e32 v29, 20, v29
	v_and_b32_e32 v30, 0x80000000, v30
	v_lshl_add_u32 v14, v14, 23, v31
	v_or3_b32 v14, v30, v14, v29
	v_lshrrev_b32_e32 v29, 16, v14
.LBB882_487:
	s_or_b64 exec, exec, s[12:13]
.LBB882_488:
	s_or_b64 exec, exec, s[10:11]
.LBB882_489:
	s_or_b64 exec, exec, s[8:9]
	s_mov_b32 s7, 0xffffff
	v_cmp_lt_u32_e32 vcc, s7, v17
	s_and_saveexec_b64 s[8:9], vcc
	s_cbranch_execz .LBB882_495
; %bb.490:
	v_lshrrev_b32_e32 v14, 24, v17
	s_movk_i32 s7, 0x80
	v_cmp_ne_u32_e32 vcc, s7, v14
	v_mov_b32_e32 v27, 0xffff8000
	s_and_saveexec_b64 s[10:11], vcc
	s_cbranch_execz .LBB882_494
; %bb.491:
	v_bfe_u32 v17, v17, 24, 7
	s_movk_i32 s7, 0x7f
	v_cmp_ne_u32_e32 vcc, s7, v17
	v_mov_b32_e32 v27, 0x7f80
	s_and_saveexec_b64 s[12:13], vcc
	s_cbranch_execz .LBB882_493
; %bb.492:
	v_and_b32_e32 v27, 7, v14
	v_ffbh_u32_e32 v30, v27
	v_min_u32_e32 v33, 32, v30
	v_subrev_u32_e32 v30, 28, v33
	v_lshlrev_b64 v[30:31], v30, v[14:15]
	v_lshrrev_b32_e32 v32, 3, v17
	v_sub_u32_e32 v31, 29, v33
	v_and_b32_e32 v30, 7, v30
	v_cmp_gt_u32_e32 vcc, 8, v17
	v_cndmask_b32_e32 v17, v32, v31, vcc
	v_cndmask_b32_e32 v27, v27, v30, vcc
	v_lshlrev_b32_e32 v14, 24, v14
	v_bfrev_b32_e32 v30, 60
	v_lshlrev_b32_e32 v27, 20, v27
	v_and_b32_e32 v14, 0x80000000, v14
	v_lshl_add_u32 v17, v17, 23, v30
	v_or3_b32 v14, v14, v17, v27
	v_lshrrev_b32_e32 v27, 16, v14
.LBB882_493:
	s_or_b64 exec, exec, s[12:13]
.LBB882_494:
	s_or_b64 exec, exec, s[10:11]
.LBB882_495:
	s_or_b64 exec, exec, s[8:9]
	s_mov_b32 s7, 0x5040100
	v_perm_b32 v25, v24, v25, s7
	v_perm_b32 v24, v15, v23, s7
	ds_read_b128 v[30:33], v22 offset:16
	v_perm_b32 v15, v27, v29, s7
	v_perm_b32 v14, v16, v26, s7
	s_waitcnt lgkmcnt(0)
	v_mfma_f32_16x16x16bf16_1k v[34:37], v[24:25], v[30:31], v[18:21]
	s_nop 6
	v_mov_b32_e32 v19, 0
	s_waitcnt vmcnt(2)
	v_cmp_ne_u16_sdwa s[10:11], v10, v19 src0_sel:BYTE_0 src1_sel:DWORD
	v_mfma_f32_16x16x16bf16_1k v[14:17], v[14:15], v[32:33], v[34:37]
	v_mov_b32_e32 v20, 0
	s_and_saveexec_b64 s[8:9], s[10:11]
	s_cbranch_execz .LBB882_501
; %bb.496:
	s_movk_i32 s7, 0x80
	v_cmp_ne_u16_sdwa s[12:13], v10, s7 src0_sel:BYTE_0 src1_sel:DWORD
	v_mov_b32_e32 v20, 0xffff8000
	s_and_saveexec_b64 s[10:11], s[12:13]
	s_cbranch_execz .LBB882_500
; %bb.497:
	s_movk_i32 s7, 0x7f
	v_and_b32_e32 v18, 0x7f, v10
	v_cmp_ne_u32_e32 vcc, s7, v18
	v_mov_b32_e32 v20, 0x7f80
	s_and_saveexec_b64 s[12:13], vcc
	s_cbranch_execz .LBB882_499
; %bb.498:
	v_and_b32_e32 v23, 7, v10
	v_ffbh_u32_e32 v20, v23
	v_min_u32_e32 v25, 32, v20
	v_subrev_u32_e32 v20, 28, v25
	v_lshlrev_b64 v[20:21], v20, v[10:11]
	v_lshrrev_b32_e32 v24, 3, v18
	v_sub_u32_e32 v21, 29, v25
	v_and_b32_e32 v20, 7, v20
	v_cmp_gt_u32_e32 vcc, 8, v18
	v_cndmask_b32_e32 v18, v24, v21, vcc
	v_cndmask_b32_e32 v20, v23, v20, vcc
	v_lshlrev_b32_e32 v21, 24, v10
	v_bfrev_b32_e32 v23, 60
	v_lshlrev_b32_e32 v20, 20, v20
	v_and_b32_e32 v21, 0x80000000, v21
	v_lshl_add_u32 v18, v18, 23, v23
	v_or3_b32 v18, v21, v18, v20
	v_lshrrev_b32_e32 v20, 16, v18
.LBB882_499:
	s_or_b64 exec, exec, s[12:13]
.LBB882_500:
	s_or_b64 exec, exec, s[10:11]
.LBB882_501:
	s_or_b64 exec, exec, s[8:9]
	v_lshrrev_b16_e32 v18, 8, v10
	v_cmp_ne_u16_e32 vcc, 0, v18
	s_and_saveexec_b64 s[8:9], vcc
	s_cbranch_execz .LBB882_507
; %bb.502:
	s_movk_i32 s7, 0x80
	v_cmp_ne_u16_e32 vcc, s7, v18
	v_mov_b32_e32 v19, 0xffff8000
	s_and_saveexec_b64 s[10:11], vcc
	s_cbranch_execz .LBB882_506
; %bb.503:
	s_movk_i32 s7, 0x7f
	v_and_b32_e32 v21, 0x7f, v18
	v_cmp_ne_u32_e32 vcc, s7, v21
	v_mov_b32_e32 v19, 0x7f80
	s_and_saveexec_b64 s[12:13], vcc
	s_cbranch_execz .LBB882_505
; %bb.504:
	v_and_b32_e32 v23, 7, v18
	v_ffbh_u32_e32 v19, v23
	v_min_u32_e32 v25, 32, v19
	v_subrev_u32_e32 v19, 28, v25
	v_lshlrev_b64 v[18:19], v19, v[18:19]
	v_lshrrev_b32_e32 v24, 3, v21
	v_sub_u32_e32 v19, 29, v25
	v_and_b32_e32 v18, 7, v18
	v_cmp_gt_u32_e32 vcc, 8, v21
	v_cndmask_b32_e32 v19, v24, v19, vcc
	v_cndmask_b32_e32 v18, v23, v18, vcc
	v_lshlrev_b32_e32 v21, 16, v10
	v_bfrev_b32_e32 v23, 60
	v_lshlrev_b32_e32 v18, 20, v18
	v_and_b32_e32 v21, 0x80000000, v21
	v_lshl_add_u32 v19, v19, 23, v23
	v_or3_b32 v18, v21, v19, v18
	v_lshrrev_b32_e32 v19, 16, v18
.LBB882_505:
	s_or_b64 exec, exec, s[12:13]
.LBB882_506:
	s_or_b64 exec, exec, s[10:11]
.LBB882_507:
	s_or_b64 exec, exec, s[8:9]
	s_movk_i32 s7, 0xff
	v_and_b32_sdwa v24, v10, s7 dst_sel:DWORD dst_unused:UNUSED_PAD src0_sel:WORD_1 src1_sel:DWORD
	v_lshrrev_b32_e32 v18, 16, v10
	v_cmp_ne_u16_e32 vcc, 0, v24
	v_mov_b32_e32 v21, 0
	v_mov_b32_e32 v23, 0
	s_and_saveexec_b64 s[8:9], vcc
	s_cbranch_execz .LBB882_513
; %bb.508:
	s_movk_i32 s7, 0x80
	v_cmp_ne_u16_e32 vcc, s7, v24
	v_mov_b32_e32 v23, 0xffff8000
	s_and_saveexec_b64 s[10:11], vcc
	s_cbranch_execz .LBB882_512
; %bb.509:
	v_bfe_u32 v24, v10, 16, 7
	s_movk_i32 s7, 0x7f
	v_cmp_ne_u32_e32 vcc, s7, v24
	v_mov_b32_e32 v23, 0x7f80
	s_and_saveexec_b64 s[12:13], vcc
	s_cbranch_execz .LBB882_511
; %bb.510:
	v_and_b32_e32 v23, 7, v18
	v_ffbh_u32_e32 v26, v23
	v_min_u32_e32 v29, 32, v26
	v_subrev_u32_e32 v26, 28, v29
	v_lshlrev_b64 v[26:27], v26, v[18:19]
	v_lshrrev_b32_e32 v25, 3, v24
	v_sub_u32_e32 v18, 29, v29
	v_and_b32_e32 v26, 7, v26
	v_cmp_gt_u32_e32 vcc, 8, v24
	v_mov_b32_e32 v24, 24
	v_cndmask_b32_e32 v18, v25, v18, vcc
	v_cndmask_b32_e32 v23, v23, v26, vcc
	v_lshlrev_b32_sdwa v24, v24, v10 dst_sel:DWORD dst_unused:UNUSED_PAD src0_sel:DWORD src1_sel:WORD_1
	v_bfrev_b32_e32 v25, 60
	v_lshlrev_b32_e32 v23, 20, v23
	v_and_b32_e32 v24, 0x80000000, v24
	v_lshl_add_u32 v18, v18, 23, v25
	v_or3_b32 v18, v24, v18, v23
	v_lshrrev_b32_e32 v23, 16, v18
.LBB882_511:
	s_or_b64 exec, exec, s[12:13]
.LBB882_512:
	s_or_b64 exec, exec, s[10:11]
.LBB882_513:
	s_or_b64 exec, exec, s[8:9]
	s_mov_b32 s7, 0xffffff
	v_cmp_lt_u32_e32 vcc, s7, v10
	s_and_saveexec_b64 s[8:9], vcc
	s_cbranch_execz .LBB882_519
; %bb.514:
	v_lshrrev_b32_e32 v18, 24, v10
	s_movk_i32 s7, 0x80
	v_cmp_ne_u32_e32 vcc, s7, v18
	v_mov_b32_e32 v21, 0xffff8000
	s_and_saveexec_b64 s[10:11], vcc
	s_cbranch_execz .LBB882_518
; %bb.515:
	v_bfe_u32 v10, v10, 24, 7
	s_movk_i32 s7, 0x7f
	v_cmp_ne_u32_e32 vcc, s7, v10
	v_mov_b32_e32 v21, 0x7f80
	s_and_saveexec_b64 s[12:13], vcc
	s_cbranch_execz .LBB882_517
; %bb.516:
	v_and_b32_e32 v21, 7, v18
	v_ffbh_u32_e32 v24, v21
	v_min_u32_e32 v27, 32, v24
	v_subrev_u32_e32 v24, 28, v27
	v_lshlrev_b64 v[24:25], v24, v[18:19]
	v_lshrrev_b32_e32 v26, 3, v10
	v_sub_u32_e32 v25, 29, v27
	v_and_b32_e32 v24, 7, v24
	v_cmp_gt_u32_e32 vcc, 8, v10
	v_cndmask_b32_e32 v10, v26, v25, vcc
	v_cndmask_b32_e32 v21, v21, v24, vcc
	v_lshlrev_b32_e32 v18, 24, v18
	v_bfrev_b32_e32 v24, 60
	v_lshlrev_b32_e32 v21, 20, v21
	v_and_b32_e32 v18, 0x80000000, v18
	v_lshl_add_u32 v10, v10, 23, v24
	v_or3_b32 v10, v18, v10, v21
	v_lshrrev_b32_e32 v21, 16, v10
.LBB882_517:
	s_or_b64 exec, exec, s[12:13]
.LBB882_518:
	s_or_b64 exec, exec, s[10:11]
.LBB882_519:
	s_or_b64 exec, exec, s[8:9]
	v_mov_b32_e32 v18, 0
	v_cmp_ne_u16_sdwa s[10:11], v11, v18 src0_sel:BYTE_0 src1_sel:DWORD
	v_mov_b32_e32 v24, 0
	s_and_saveexec_b64 s[8:9], s[10:11]
	s_cbranch_execz .LBB882_525
; %bb.520:
	s_movk_i32 s7, 0x80
	v_cmp_ne_u16_sdwa s[12:13], v11, s7 src0_sel:BYTE_0 src1_sel:DWORD
	v_mov_b32_e32 v24, 0xffff8000
	s_and_saveexec_b64 s[10:11], s[12:13]
	s_cbranch_execz .LBB882_524
; %bb.521:
	s_movk_i32 s7, 0x7f
	v_and_b32_e32 v10, 0x7f, v11
	v_cmp_ne_u32_e32 vcc, s7, v10
	v_mov_b32_e32 v24, 0x7f80
	s_and_saveexec_b64 s[12:13], vcc
	s_cbranch_execz .LBB882_523
; %bb.522:
	v_and_b32_e32 v26, 7, v11
	v_ffbh_u32_e32 v25, v26
	v_min_u32_e32 v29, 32, v25
	v_mov_b32_e32 v24, v11
	v_subrev_u32_e32 v25, 28, v29
	v_lshlrev_b64 v[24:25], v25, v[24:25]
	v_lshrrev_b32_e32 v27, 3, v10
	v_sub_u32_e32 v25, 29, v29
	v_and_b32_e32 v24, 7, v24
	v_cmp_gt_u32_e32 vcc, 8, v10
	v_cndmask_b32_e32 v10, v27, v25, vcc
	v_cndmask_b32_e32 v24, v26, v24, vcc
	v_lshlrev_b32_e32 v25, 24, v11
	v_bfrev_b32_e32 v26, 60
	v_lshlrev_b32_e32 v24, 20, v24
	v_and_b32_e32 v25, 0x80000000, v25
	v_lshl_add_u32 v10, v10, 23, v26
	v_or3_b32 v10, v25, v10, v24
	v_lshrrev_b32_e32 v24, 16, v10
.LBB882_523:
	s_or_b64 exec, exec, s[12:13]
.LBB882_524:
	s_or_b64 exec, exec, s[10:11]
.LBB882_525:
	s_or_b64 exec, exec, s[8:9]
	v_lshrrev_b16_e32 v10, 8, v11
	v_cmp_ne_u16_e32 vcc, 0, v10
	s_and_saveexec_b64 s[8:9], vcc
	s_cbranch_execz .LBB882_531
; %bb.526:
	s_movk_i32 s7, 0x80
	v_cmp_ne_u16_e32 vcc, s7, v10
	v_mov_b32_e32 v18, 0xffff8000
	s_and_saveexec_b64 s[10:11], vcc
	s_cbranch_execz .LBB882_530
; %bb.527:
	s_movk_i32 s7, 0x7f
	v_and_b32_e32 v25, 0x7f, v10
	v_cmp_ne_u32_e32 vcc, s7, v25
	v_mov_b32_e32 v18, 0x7f80
	s_and_saveexec_b64 s[12:13], vcc
	s_cbranch_execz .LBB882_529
; %bb.528:
	v_and_b32_e32 v18, 7, v10
	v_ffbh_u32_e32 v26, v18
	v_min_u32_e32 v30, 32, v26
	v_subrev_u32_e32 v26, 28, v30
	v_lshlrev_b64 v[26:27], v26, v[10:11]
	v_lshrrev_b32_e32 v29, 3, v25
	v_sub_u32_e32 v10, 29, v30
	v_and_b32_e32 v26, 7, v26
	v_cmp_gt_u32_e32 vcc, 8, v25
	v_cndmask_b32_e32 v10, v29, v10, vcc
	v_cndmask_b32_e32 v18, v18, v26, vcc
	v_lshlrev_b32_e32 v25, 16, v11
	v_bfrev_b32_e32 v26, 60
	v_lshlrev_b32_e32 v18, 20, v18
	v_and_b32_e32 v25, 0x80000000, v25
	v_lshl_add_u32 v10, v10, 23, v26
	v_or3_b32 v10, v25, v10, v18
	v_lshrrev_b32_e32 v18, 16, v10
.LBB882_529:
	s_or_b64 exec, exec, s[12:13]
.LBB882_530:
	s_or_b64 exec, exec, s[10:11]
.LBB882_531:
	s_or_b64 exec, exec, s[8:9]
	s_movk_i32 s7, 0xff
	v_and_b32_sdwa v27, v11, s7 dst_sel:DWORD dst_unused:UNUSED_PAD src0_sel:WORD_1 src1_sel:DWORD
	v_lshrrev_b32_e32 v10, 16, v11
	v_cmp_ne_u16_e32 vcc, 0, v27
	v_mov_b32_e32 v25, 0
	v_mov_b32_e32 v26, 0
	s_and_saveexec_b64 s[8:9], vcc
	s_cbranch_execz .LBB882_537
; %bb.532:
	s_movk_i32 s7, 0x80
	v_cmp_ne_u16_e32 vcc, s7, v27
	v_mov_b32_e32 v26, 0xffff8000
	s_and_saveexec_b64 s[10:11], vcc
	s_cbranch_execz .LBB882_536
; %bb.533:
	v_bfe_u32 v27, v11, 16, 7
	s_movk_i32 s7, 0x7f
	v_cmp_ne_u32_e32 vcc, s7, v27
	v_mov_b32_e32 v26, 0x7f80
	s_and_saveexec_b64 s[12:13], vcc
	s_cbranch_execz .LBB882_535
; %bb.534:
	v_and_b32_e32 v26, 7, v10
	v_ffbh_u32_e32 v30, v26
	v_min_u32_e32 v32, 32, v30
	v_subrev_u32_e32 v30, 28, v32
	v_lshlrev_b64 v[30:31], v30, v[10:11]
	v_lshrrev_b32_e32 v29, 3, v27
	v_sub_u32_e32 v10, 29, v32
	v_and_b32_e32 v30, 7, v30
	v_cmp_gt_u32_e32 vcc, 8, v27
	v_mov_b32_e32 v27, 24
	v_cndmask_b32_e32 v10, v29, v10, vcc
	v_cndmask_b32_e32 v26, v26, v30, vcc
	v_lshlrev_b32_sdwa v27, v27, v11 dst_sel:DWORD dst_unused:UNUSED_PAD src0_sel:DWORD src1_sel:WORD_1
	v_bfrev_b32_e32 v29, 60
	v_lshlrev_b32_e32 v26, 20, v26
	v_and_b32_e32 v27, 0x80000000, v27
	v_lshl_add_u32 v10, v10, 23, v29
	v_or3_b32 v10, v27, v10, v26
	v_lshrrev_b32_e32 v26, 16, v10
.LBB882_535:
	s_or_b64 exec, exec, s[12:13]
.LBB882_536:
	s_or_b64 exec, exec, s[10:11]
.LBB882_537:
	s_or_b64 exec, exec, s[8:9]
	s_mov_b32 s7, 0xffffff
	v_cmp_lt_u32_e32 vcc, s7, v11
	s_and_saveexec_b64 s[8:9], vcc
	s_cbranch_execz .LBB882_543
; %bb.538:
	v_lshrrev_b32_e32 v10, 24, v11
	s_movk_i32 s7, 0x80
	v_cmp_ne_u32_e32 vcc, s7, v10
	v_mov_b32_e32 v25, 0xffff8000
	s_and_saveexec_b64 s[10:11], vcc
	s_cbranch_execz .LBB882_542
; %bb.539:
	v_bfe_u32 v11, v11, 24, 7
	s_movk_i32 s7, 0x7f
	v_cmp_ne_u32_e32 vcc, s7, v11
	v_mov_b32_e32 v25, 0x7f80
	s_and_saveexec_b64 s[12:13], vcc
	s_cbranch_execz .LBB882_541
; %bb.540:
	v_and_b32_e32 v25, 7, v10
	v_ffbh_u32_e32 v29, v25
	v_min_u32_e32 v29, 32, v29
	v_subrev_u32_e32 v30, 28, v29
	v_lshlrev_b64 v[30:31], v30, v[10:11]
	v_lshrrev_b32_e32 v27, 3, v11
	v_sub_u32_e32 v29, 29, v29
	v_and_b32_e32 v30, 7, v30
	v_cmp_gt_u32_e32 vcc, 8, v11
	v_cndmask_b32_e32 v11, v27, v29, vcc
	v_cndmask_b32_e32 v25, v25, v30, vcc
	v_lshlrev_b32_e32 v10, 24, v10
	v_bfrev_b32_e32 v27, 60
	v_lshlrev_b32_e32 v25, 20, v25
	v_and_b32_e32 v10, 0x80000000, v10
	v_lshl_add_u32 v11, v11, 23, v27
	v_or3_b32 v10, v10, v11, v25
	v_lshrrev_b32_e32 v25, 16, v10
.LBB882_541:
	s_or_b64 exec, exec, s[12:13]
.LBB882_542:
	s_or_b64 exec, exec, s[10:11]
.LBB882_543:
	s_or_b64 exec, exec, s[8:9]
	s_mov_b32 s7, 0x5040100
	v_perm_b32 v11, v21, v23, s7
	v_perm_b32 v10, v19, v20, s7
	ds_read_b128 v[30:33], v22 offset:2048
	v_perm_b32 v21, v25, v26, s7
	v_perm_b32 v20, v18, v24, s7
	s_waitcnt lgkmcnt(0)
	v_mfma_f32_16x16x16bf16_1k v[14:17], v[10:11], v[30:31], v[14:17]
	v_mov_b32_e32 v11, 0
	v_cmp_ne_u16_sdwa s[10:11], v12, v11 src0_sel:BYTE_0 src1_sel:DWORD
	v_mov_b32_e32 v18, 0
	v_mfma_f32_16x16x16bf16_1k v[14:17], v[20:21], v[32:33], v[14:17]
	s_and_saveexec_b64 s[8:9], s[10:11]
	s_cbranch_execz .LBB882_549
; %bb.544:
	s_movk_i32 s7, 0x80
	v_cmp_ne_u16_sdwa s[12:13], v12, s7 src0_sel:BYTE_0 src1_sel:DWORD
	v_mov_b32_e32 v18, 0xffff8000
	s_and_saveexec_b64 s[10:11], s[12:13]
	s_cbranch_execz .LBB882_548
; %bb.545:
	s_movk_i32 s7, 0x7f
	v_and_b32_e32 v10, 0x7f, v12
	v_cmp_ne_u32_e32 vcc, s7, v10
	v_mov_b32_e32 v18, 0x7f80
	s_and_saveexec_b64 s[12:13], vcc
	s_cbranch_execz .LBB882_547
; %bb.546:
	v_and_b32_e32 v20, 7, v12
	v_ffbh_u32_e32 v18, v20
	v_min_u32_e32 v23, 32, v18
	v_subrev_u32_e32 v18, 28, v23
	v_lshlrev_b64 v[18:19], v18, v[12:13]
	v_lshrrev_b32_e32 v21, 3, v10
	v_sub_u32_e32 v19, 29, v23
	v_and_b32_e32 v18, 7, v18
	v_cmp_gt_u32_e32 vcc, 8, v10
	v_cndmask_b32_e32 v10, v21, v19, vcc
	v_cndmask_b32_e32 v18, v20, v18, vcc
	v_lshlrev_b32_e32 v19, 24, v12
	v_bfrev_b32_e32 v20, 60
	v_lshlrev_b32_e32 v18, 20, v18
	v_and_b32_e32 v19, 0x80000000, v19
	v_lshl_add_u32 v10, v10, 23, v20
	v_or3_b32 v10, v19, v10, v18
	v_lshrrev_b32_e32 v18, 16, v10
.LBB882_547:
	s_or_b64 exec, exec, s[12:13]
.LBB882_548:
	s_or_b64 exec, exec, s[10:11]
.LBB882_549:
	s_or_b64 exec, exec, s[8:9]
	v_lshrrev_b16_e32 v10, 8, v12
	v_cmp_ne_u16_e32 vcc, 0, v10
	s_and_saveexec_b64 s[8:9], vcc
	s_cbranch_execz .LBB882_555
; %bb.550:
	s_movk_i32 s7, 0x80
	v_cmp_ne_u16_e32 vcc, s7, v10
	v_mov_b32_e32 v11, 0xffff8000
	s_and_saveexec_b64 s[10:11], vcc
	s_cbranch_execz .LBB882_554
; %bb.551:
	s_movk_i32 s7, 0x7f
	v_and_b32_e32 v19, 0x7f, v10
	v_cmp_ne_u32_e32 vcc, s7, v19
	v_mov_b32_e32 v11, 0x7f80
	s_and_saveexec_b64 s[12:13], vcc
	s_cbranch_execz .LBB882_553
; %bb.552:
	v_and_b32_e32 v20, 7, v10
	v_ffbh_u32_e32 v11, v20
	v_min_u32_e32 v23, 32, v11
	v_subrev_u32_e32 v11, 28, v23
	v_lshlrev_b64 v[10:11], v11, v[10:11]
	v_lshrrev_b32_e32 v21, 3, v19
	v_sub_u32_e32 v11, 29, v23
	v_and_b32_e32 v10, 7, v10
	v_cmp_gt_u32_e32 vcc, 8, v19
	v_cndmask_b32_e32 v11, v21, v11, vcc
	v_cndmask_b32_e32 v10, v20, v10, vcc
	v_lshlrev_b32_e32 v19, 16, v12
	v_bfrev_b32_e32 v20, 60
	v_lshlrev_b32_e32 v10, 20, v10
	v_and_b32_e32 v19, 0x80000000, v19
	v_lshl_add_u32 v11, v11, 23, v20
	v_or3_b32 v10, v19, v11, v10
	v_lshrrev_b32_e32 v11, 16, v10
.LBB882_553:
	s_or_b64 exec, exec, s[12:13]
.LBB882_554:
	s_or_b64 exec, exec, s[10:11]
.LBB882_555:
	s_or_b64 exec, exec, s[8:9]
	s_movk_i32 s7, 0xff
	v_and_b32_sdwa v21, v12, s7 dst_sel:DWORD dst_unused:UNUSED_PAD src0_sel:WORD_1 src1_sel:DWORD
	v_lshrrev_b32_e32 v10, 16, v12
	v_cmp_ne_u16_e32 vcc, 0, v21
	v_mov_b32_e32 v19, 0
	v_mov_b32_e32 v20, 0
	s_and_saveexec_b64 s[8:9], vcc
	s_cbranch_execz .LBB882_561
; %bb.556:
	s_movk_i32 s7, 0x80
	v_cmp_ne_u16_e32 vcc, s7, v21
	v_mov_b32_e32 v20, 0xffff8000
	s_and_saveexec_b64 s[10:11], vcc
	s_cbranch_execz .LBB882_560
; %bb.557:
	v_bfe_u32 v21, v12, 16, 7
	s_movk_i32 s7, 0x7f
	v_cmp_ne_u32_e32 vcc, s7, v21
	v_mov_b32_e32 v20, 0x7f80
	s_and_saveexec_b64 s[12:13], vcc
	s_cbranch_execz .LBB882_559
; %bb.558:
	v_and_b32_e32 v20, 7, v10
	v_ffbh_u32_e32 v24, v20
	v_min_u32_e32 v26, 32, v24
	v_subrev_u32_e32 v24, 28, v26
	v_lshlrev_b64 v[24:25], v24, v[10:11]
	v_lshrrev_b32_e32 v23, 3, v21
	v_sub_u32_e32 v10, 29, v26
	v_and_b32_e32 v24, 7, v24
	v_cmp_gt_u32_e32 vcc, 8, v21
	v_mov_b32_e32 v21, 24
	v_cndmask_b32_e32 v10, v23, v10, vcc
	v_cndmask_b32_e32 v20, v20, v24, vcc
	v_lshlrev_b32_sdwa v21, v21, v12 dst_sel:DWORD dst_unused:UNUSED_PAD src0_sel:DWORD src1_sel:WORD_1
	v_bfrev_b32_e32 v23, 60
	v_lshlrev_b32_e32 v20, 20, v20
	v_and_b32_e32 v21, 0x80000000, v21
	v_lshl_add_u32 v10, v10, 23, v23
	v_or3_b32 v10, v21, v10, v20
	v_lshrrev_b32_e32 v20, 16, v10
.LBB882_559:
	s_or_b64 exec, exec, s[12:13]
.LBB882_560:
	s_or_b64 exec, exec, s[10:11]
.LBB882_561:
	s_or_b64 exec, exec, s[8:9]
	s_mov_b32 s7, 0xffffff
	v_cmp_lt_u32_e32 vcc, s7, v12
	s_and_saveexec_b64 s[8:9], vcc
	s_cbranch_execz .LBB882_567
; %bb.562:
	v_lshrrev_b32_e32 v10, 24, v12
	s_movk_i32 s7, 0x80
	v_cmp_ne_u32_e32 vcc, s7, v10
	v_mov_b32_e32 v19, 0xffff8000
	s_and_saveexec_b64 s[10:11], vcc
	s_cbranch_execz .LBB882_566
; %bb.563:
	v_bfe_u32 v12, v12, 24, 7
	s_movk_i32 s7, 0x7f
	v_cmp_ne_u32_e32 vcc, s7, v12
	v_mov_b32_e32 v19, 0x7f80
	s_and_saveexec_b64 s[12:13], vcc
	s_cbranch_execz .LBB882_565
; %bb.564:
	v_and_b32_e32 v19, 7, v10
	v_ffbh_u32_e32 v23, v19
	v_min_u32_e32 v23, 32, v23
	v_subrev_u32_e32 v24, 28, v23
	v_lshlrev_b64 v[24:25], v24, v[10:11]
	v_lshrrev_b32_e32 v21, 3, v12
	v_sub_u32_e32 v23, 29, v23
	v_and_b32_e32 v24, 7, v24
	v_cmp_gt_u32_e32 vcc, 8, v12
	v_cndmask_b32_e32 v12, v21, v23, vcc
	v_cndmask_b32_e32 v19, v19, v24, vcc
	v_lshlrev_b32_e32 v10, 24, v10
	v_bfrev_b32_e32 v21, 60
	v_lshlrev_b32_e32 v19, 20, v19
	v_and_b32_e32 v10, 0x80000000, v10
	v_lshl_add_u32 v12, v12, 23, v21
	v_or3_b32 v10, v10, v12, v19
	v_lshrrev_b32_e32 v19, 16, v10
.LBB882_565:
	s_or_b64 exec, exec, s[12:13]
.LBB882_566:
	s_or_b64 exec, exec, s[10:11]
.LBB882_567:
	s_or_b64 exec, exec, s[8:9]
	v_mov_b32_e32 v12, 0
	v_cmp_ne_u16_sdwa s[10:11], v13, v12 src0_sel:BYTE_0 src1_sel:DWORD
	v_mov_b32_e32 v21, 0
	s_and_saveexec_b64 s[8:9], s[10:11]
	s_cbranch_execz .LBB882_573
; %bb.568:
	s_movk_i32 s7, 0x80
	v_cmp_ne_u16_sdwa s[12:13], v13, s7 src0_sel:BYTE_0 src1_sel:DWORD
	v_mov_b32_e32 v21, 0xffff8000
	s_and_saveexec_b64 s[10:11], s[12:13]
	s_cbranch_execz .LBB882_572
; %bb.569:
	s_movk_i32 s7, 0x7f
	v_and_b32_e32 v10, 0x7f, v13
	v_cmp_ne_u32_e32 vcc, s7, v10
	v_mov_b32_e32 v21, 0x7f80
	s_and_saveexec_b64 s[12:13], vcc
	s_cbranch_execz .LBB882_571
; %bb.570:
	v_and_b32_e32 v21, 7, v13
	v_ffbh_u32_e32 v25, v21
	v_min_u32_e32 v26, 32, v25
	v_mov_b32_e32 v24, v13
	v_subrev_u32_e32 v25, 28, v26
	v_lshlrev_b64 v[24:25], v25, v[24:25]
	v_lshrrev_b32_e32 v23, 3, v10
	v_sub_u32_e32 v25, 29, v26
	v_and_b32_e32 v24, 7, v24
	v_cmp_gt_u32_e32 vcc, 8, v10
	v_cndmask_b32_e32 v10, v23, v25, vcc
	v_cndmask_b32_e32 v21, v21, v24, vcc
	v_lshlrev_b32_e32 v23, 24, v13
	v_bfrev_b32_e32 v24, 60
	v_lshlrev_b32_e32 v21, 20, v21
	v_and_b32_e32 v23, 0x80000000, v23
	v_lshl_add_u32 v10, v10, 23, v24
	v_or3_b32 v10, v23, v10, v21
	v_lshrrev_b32_e32 v21, 16, v10
.LBB882_571:
	s_or_b64 exec, exec, s[12:13]
.LBB882_572:
	s_or_b64 exec, exec, s[10:11]
.LBB882_573:
	s_or_b64 exec, exec, s[8:9]
	v_lshrrev_b16_e32 v10, 8, v13
	v_cmp_ne_u16_e32 vcc, 0, v10
	s_and_saveexec_b64 s[8:9], vcc
	s_cbranch_execz .LBB882_579
; %bb.574:
	s_movk_i32 s7, 0x80
	v_cmp_ne_u16_e32 vcc, s7, v10
	v_mov_b32_e32 v12, 0xffff8000
	s_and_saveexec_b64 s[10:11], vcc
	s_cbranch_execz .LBB882_578
; %bb.575:
	s_movk_i32 s7, 0x7f
	v_and_b32_e32 v23, 0x7f, v10
	v_cmp_ne_u32_e32 vcc, s7, v23
	v_mov_b32_e32 v12, 0x7f80
	s_and_saveexec_b64 s[12:13], vcc
	s_cbranch_execz .LBB882_577
; %bb.576:
	v_and_b32_e32 v12, 7, v10
	v_ffbh_u32_e32 v24, v12
	v_min_u32_e32 v27, 32, v24
	v_subrev_u32_e32 v24, 28, v27
	v_lshlrev_b64 v[24:25], v24, v[10:11]
	v_lshrrev_b32_e32 v26, 3, v23
	v_sub_u32_e32 v10, 29, v27
	v_and_b32_e32 v24, 7, v24
	v_cmp_gt_u32_e32 vcc, 8, v23
	v_cndmask_b32_e32 v10, v26, v10, vcc
	v_cndmask_b32_e32 v12, v12, v24, vcc
	v_lshlrev_b32_e32 v23, 16, v13
	v_bfrev_b32_e32 v24, 60
	v_lshlrev_b32_e32 v12, 20, v12
	v_and_b32_e32 v23, 0x80000000, v23
	v_lshl_add_u32 v10, v10, 23, v24
	v_or3_b32 v10, v23, v10, v12
	v_lshrrev_b32_e32 v12, 16, v10
.LBB882_577:
	s_or_b64 exec, exec, s[12:13]
.LBB882_578:
	s_or_b64 exec, exec, s[10:11]
.LBB882_579:
	s_or_b64 exec, exec, s[8:9]
	s_movk_i32 s7, 0xff
	v_and_b32_sdwa v25, v13, s7 dst_sel:DWORD dst_unused:UNUSED_PAD src0_sel:WORD_1 src1_sel:DWORD
	v_lshrrev_b32_e32 v10, 16, v13
	v_cmp_ne_u16_e32 vcc, 0, v25
	v_mov_b32_e32 v23, 0
	v_mov_b32_e32 v24, 0
	s_and_saveexec_b64 s[8:9], vcc
	s_cbranch_execz .LBB882_585
; %bb.580:
	s_movk_i32 s7, 0x80
	v_cmp_ne_u16_e32 vcc, s7, v25
	v_mov_b32_e32 v24, 0xffff8000
	s_and_saveexec_b64 s[10:11], vcc
	s_cbranch_execz .LBB882_584
; %bb.581:
	v_bfe_u32 v25, v13, 16, 7
	s_movk_i32 s7, 0x7f
	v_cmp_ne_u32_e32 vcc, s7, v25
	v_mov_b32_e32 v24, 0x7f80
	s_and_saveexec_b64 s[12:13], vcc
	s_cbranch_execz .LBB882_583
; %bb.582:
	v_and_b32_e32 v24, 7, v10
	v_ffbh_u32_e32 v26, v24
	v_min_u32_e32 v30, 32, v26
	v_subrev_u32_e32 v26, 28, v30
	v_lshlrev_b64 v[26:27], v26, v[10:11]
	v_lshrrev_b32_e32 v29, 3, v25
	v_sub_u32_e32 v10, 29, v30
	v_and_b32_e32 v26, 7, v26
	v_cmp_gt_u32_e32 vcc, 8, v25
	v_mov_b32_e32 v25, 24
	v_cndmask_b32_e32 v10, v29, v10, vcc
	v_cndmask_b32_e32 v24, v24, v26, vcc
	v_lshlrev_b32_sdwa v25, v25, v13 dst_sel:DWORD dst_unused:UNUSED_PAD src0_sel:DWORD src1_sel:WORD_1
	v_bfrev_b32_e32 v26, 60
	v_lshlrev_b32_e32 v24, 20, v24
	v_and_b32_e32 v25, 0x80000000, v25
	v_lshl_add_u32 v10, v10, 23, v26
	v_or3_b32 v10, v25, v10, v24
	v_lshrrev_b32_e32 v24, 16, v10
.LBB882_583:
	s_or_b64 exec, exec, s[12:13]
.LBB882_584:
	s_or_b64 exec, exec, s[10:11]
.LBB882_585:
	s_or_b64 exec, exec, s[8:9]
	s_mov_b32 s7, 0xffffff
	v_cmp_lt_u32_e32 vcc, s7, v13
	s_and_saveexec_b64 s[8:9], vcc
	s_cbranch_execz .LBB882_591
; %bb.586:
	v_lshrrev_b32_e32 v10, 24, v13
	s_movk_i32 s7, 0x80
	v_cmp_ne_u32_e32 vcc, s7, v10
	v_mov_b32_e32 v23, 0xffff8000
	s_and_saveexec_b64 s[10:11], vcc
	s_cbranch_execz .LBB882_590
; %bb.587:
	v_bfe_u32 v13, v13, 24, 7
	s_movk_i32 s7, 0x7f
	v_cmp_ne_u32_e32 vcc, s7, v13
	v_mov_b32_e32 v23, 0x7f80
	s_and_saveexec_b64 s[12:13], vcc
	s_cbranch_execz .LBB882_589
; %bb.588:
	v_and_b32_e32 v23, 7, v10
	v_ffbh_u32_e32 v26, v23
	v_min_u32_e32 v29, 32, v26
	v_subrev_u32_e32 v26, 28, v29
	v_lshlrev_b64 v[26:27], v26, v[10:11]
	v_lshrrev_b32_e32 v25, 3, v13
	v_sub_u32_e32 v27, 29, v29
	v_and_b32_e32 v26, 7, v26
	v_cmp_gt_u32_e32 vcc, 8, v13
	v_cndmask_b32_e32 v13, v25, v27, vcc
	v_cndmask_b32_e32 v23, v23, v26, vcc
	v_lshlrev_b32_e32 v10, 24, v10
	v_bfrev_b32_e32 v25, 60
	v_lshlrev_b32_e32 v23, 20, v23
	v_and_b32_e32 v10, 0x80000000, v10
	v_lshl_add_u32 v13, v13, 23, v25
	v_or3_b32 v10, v10, v13, v23
	v_lshrrev_b32_e32 v23, 16, v10
.LBB882_589:
	s_or_b64 exec, exec, s[12:13]
.LBB882_590:
	s_or_b64 exec, exec, s[10:11]
.LBB882_591:
	s_or_b64 exec, exec, s[8:9]
	s_mov_b32 s7, 0x5040100
	v_perm_b32 v19, v19, v20, s7
	v_perm_b32 v18, v11, v18, s7
	ds_read_b128 v[30:33], v22 offset:2064
	v_perm_b32 v11, v23, v24, s7
	v_perm_b32 v10, v12, v21, s7
	s_waitcnt lgkmcnt(0)
	v_mfma_f32_16x16x16bf16_1k v[34:37], v[18:19], v[30:31], v[14:17]
	s_nop 6
	v_mov_b32_e32 v15, 0
	s_waitcnt vmcnt(1)
	v_cmp_ne_u16_sdwa s[10:11], v6, v15 src0_sel:BYTE_0 src1_sel:DWORD
	v_mfma_f32_16x16x16bf16_1k v[10:13], v[10:11], v[32:33], v[34:37]
	v_mov_b32_e32 v16, 0
	s_and_saveexec_b64 s[8:9], s[10:11]
	s_cbranch_execz .LBB882_597
; %bb.592:
	s_movk_i32 s7, 0x80
	v_cmp_ne_u16_sdwa s[12:13], v6, s7 src0_sel:BYTE_0 src1_sel:DWORD
	v_mov_b32_e32 v16, 0xffff8000
	s_and_saveexec_b64 s[10:11], s[12:13]
	s_cbranch_execz .LBB882_596
; %bb.593:
	s_movk_i32 s7, 0x7f
	v_and_b32_e32 v14, 0x7f, v6
	v_cmp_ne_u32_e32 vcc, s7, v14
	v_mov_b32_e32 v16, 0x7f80
	s_and_saveexec_b64 s[12:13], vcc
	s_cbranch_execz .LBB882_595
; %bb.594:
	v_and_b32_e32 v18, 7, v6
	v_ffbh_u32_e32 v16, v18
	v_min_u32_e32 v20, 32, v16
	v_subrev_u32_e32 v16, 28, v20
	v_lshlrev_b64 v[16:17], v16, v[6:7]
	v_lshrrev_b32_e32 v19, 3, v14
	v_sub_u32_e32 v17, 29, v20
	v_and_b32_e32 v16, 7, v16
	v_cmp_gt_u32_e32 vcc, 8, v14
	v_cndmask_b32_e32 v14, v19, v17, vcc
	v_cndmask_b32_e32 v16, v18, v16, vcc
	v_lshlrev_b32_e32 v17, 24, v6
	v_bfrev_b32_e32 v18, 60
	v_lshlrev_b32_e32 v16, 20, v16
	v_and_b32_e32 v17, 0x80000000, v17
	v_lshl_add_u32 v14, v14, 23, v18
	v_or3_b32 v14, v17, v14, v16
	v_lshrrev_b32_e32 v16, 16, v14
.LBB882_595:
	s_or_b64 exec, exec, s[12:13]
.LBB882_596:
	s_or_b64 exec, exec, s[10:11]
.LBB882_597:
	s_or_b64 exec, exec, s[8:9]
	v_lshrrev_b16_e32 v14, 8, v6
	v_cmp_ne_u16_e32 vcc, 0, v14
	s_and_saveexec_b64 s[8:9], vcc
	s_cbranch_execz .LBB882_603
; %bb.598:
	s_movk_i32 s7, 0x80
	v_cmp_ne_u16_e32 vcc, s7, v14
	v_mov_b32_e32 v15, 0xffff8000
	s_and_saveexec_b64 s[10:11], vcc
	s_cbranch_execz .LBB882_602
; %bb.599:
	s_movk_i32 s7, 0x7f
	v_and_b32_e32 v17, 0x7f, v14
	v_cmp_ne_u32_e32 vcc, s7, v17
	v_mov_b32_e32 v15, 0x7f80
	s_and_saveexec_b64 s[12:13], vcc
	s_cbranch_execz .LBB882_601
; %bb.600:
	v_and_b32_e32 v18, 7, v14
	v_ffbh_u32_e32 v15, v18
	v_min_u32_e32 v20, 32, v15
	v_subrev_u32_e32 v15, 28, v20
	v_lshlrev_b64 v[14:15], v15, v[14:15]
	v_lshrrev_b32_e32 v19, 3, v17
	v_sub_u32_e32 v15, 29, v20
	v_and_b32_e32 v14, 7, v14
	v_cmp_gt_u32_e32 vcc, 8, v17
	v_cndmask_b32_e32 v15, v19, v15, vcc
	v_cndmask_b32_e32 v14, v18, v14, vcc
	v_lshlrev_b32_e32 v17, 16, v6
	v_bfrev_b32_e32 v18, 60
	v_lshlrev_b32_e32 v14, 20, v14
	v_and_b32_e32 v17, 0x80000000, v17
	v_lshl_add_u32 v15, v15, 23, v18
	v_or3_b32 v14, v17, v15, v14
	v_lshrrev_b32_e32 v15, 16, v14
.LBB882_601:
	s_or_b64 exec, exec, s[12:13]
.LBB882_602:
	s_or_b64 exec, exec, s[10:11]
.LBB882_603:
	s_or_b64 exec, exec, s[8:9]
	s_movk_i32 s7, 0xff
	v_and_b32_sdwa v19, v6, s7 dst_sel:DWORD dst_unused:UNUSED_PAD src0_sel:WORD_1 src1_sel:DWORD
	v_lshrrev_b32_e32 v14, 16, v6
	v_cmp_ne_u16_e32 vcc, 0, v19
	v_mov_b32_e32 v17, 0
	v_mov_b32_e32 v18, 0
	s_and_saveexec_b64 s[8:9], vcc
	s_cbranch_execz .LBB882_609
; %bb.604:
	s_movk_i32 s7, 0x80
	v_cmp_ne_u16_e32 vcc, s7, v19
	v_mov_b32_e32 v18, 0xffff8000
	s_and_saveexec_b64 s[10:11], vcc
	s_cbranch_execz .LBB882_608
; %bb.605:
	v_bfe_u32 v19, v6, 16, 7
	s_movk_i32 s7, 0x7f
	v_cmp_ne_u32_e32 vcc, s7, v19
	v_mov_b32_e32 v18, 0x7f80
	s_and_saveexec_b64 s[12:13], vcc
	s_cbranch_execz .LBB882_607
; %bb.606:
	v_and_b32_e32 v18, 7, v14
	v_ffbh_u32_e32 v20, v18
	v_min_u32_e32 v24, 32, v20
	v_subrev_u32_e32 v20, 28, v24
	v_lshlrev_b64 v[20:21], v20, v[14:15]
	v_lshrrev_b32_e32 v23, 3, v19
	v_sub_u32_e32 v14, 29, v24
	v_and_b32_e32 v20, 7, v20
	v_cmp_gt_u32_e32 vcc, 8, v19
	v_mov_b32_e32 v19, 24
	v_cndmask_b32_e32 v14, v23, v14, vcc
	v_cndmask_b32_e32 v18, v18, v20, vcc
	v_lshlrev_b32_sdwa v19, v19, v6 dst_sel:DWORD dst_unused:UNUSED_PAD src0_sel:DWORD src1_sel:WORD_1
	v_bfrev_b32_e32 v20, 60
	v_lshlrev_b32_e32 v18, 20, v18
	v_and_b32_e32 v19, 0x80000000, v19
	v_lshl_add_u32 v14, v14, 23, v20
	v_or3_b32 v14, v19, v14, v18
	v_lshrrev_b32_e32 v18, 16, v14
.LBB882_607:
	s_or_b64 exec, exec, s[12:13]
.LBB882_608:
	s_or_b64 exec, exec, s[10:11]
.LBB882_609:
	s_or_b64 exec, exec, s[8:9]
	s_mov_b32 s7, 0xffffff
	v_cmp_lt_u32_e32 vcc, s7, v6
	s_and_saveexec_b64 s[8:9], vcc
	s_cbranch_execz .LBB882_615
; %bb.610:
	v_lshrrev_b32_e32 v14, 24, v6
	s_movk_i32 s7, 0x80
	v_cmp_ne_u32_e32 vcc, s7, v14
	v_mov_b32_e32 v17, 0xffff8000
	s_and_saveexec_b64 s[10:11], vcc
	s_cbranch_execz .LBB882_614
; %bb.611:
	v_bfe_u32 v6, v6, 24, 7
	s_movk_i32 s7, 0x7f
	v_cmp_ne_u32_e32 vcc, s7, v6
	v_mov_b32_e32 v17, 0x7f80
	s_and_saveexec_b64 s[12:13], vcc
	s_cbranch_execz .LBB882_613
; %bb.612:
	v_and_b32_e32 v17, 7, v14
	v_ffbh_u32_e32 v20, v17
	v_min_u32_e32 v23, 32, v20
	v_subrev_u32_e32 v20, 28, v23
	v_lshlrev_b64 v[20:21], v20, v[14:15]
	v_lshrrev_b32_e32 v19, 3, v6
	v_sub_u32_e32 v21, 29, v23
	v_and_b32_e32 v20, 7, v20
	v_cmp_gt_u32_e32 vcc, 8, v6
	v_cndmask_b32_e32 v6, v19, v21, vcc
	v_cndmask_b32_e32 v17, v17, v20, vcc
	v_lshlrev_b32_e32 v14, 24, v14
	v_bfrev_b32_e32 v19, 60
	v_lshlrev_b32_e32 v17, 20, v17
	v_and_b32_e32 v14, 0x80000000, v14
	v_lshl_add_u32 v6, v6, 23, v19
	v_or3_b32 v6, v14, v6, v17
	v_lshrrev_b32_e32 v17, 16, v6
.LBB882_613:
	s_or_b64 exec, exec, s[12:13]
.LBB882_614:
	s_or_b64 exec, exec, s[10:11]
.LBB882_615:
	s_or_b64 exec, exec, s[8:9]
	v_mov_b32_e32 v14, 0
	v_cmp_ne_u16_sdwa s[10:11], v7, v14 src0_sel:BYTE_0 src1_sel:DWORD
	v_mov_b32_e32 v19, 0
	s_and_saveexec_b64 s[8:9], s[10:11]
	s_cbranch_execz .LBB882_621
; %bb.616:
	s_movk_i32 s7, 0x80
	v_cmp_ne_u16_sdwa s[12:13], v7, s7 src0_sel:BYTE_0 src1_sel:DWORD
	v_mov_b32_e32 v19, 0xffff8000
	s_and_saveexec_b64 s[10:11], s[12:13]
	s_cbranch_execz .LBB882_620
; %bb.617:
	s_movk_i32 s7, 0x7f
	v_and_b32_e32 v6, 0x7f, v7
	v_cmp_ne_u32_e32 vcc, s7, v6
	v_mov_b32_e32 v19, 0x7f80
	s_and_saveexec_b64 s[12:13], vcc
	s_cbranch_execz .LBB882_619
; %bb.618:
	v_and_b32_e32 v19, 7, v7
	v_ffbh_u32_e32 v21, v19
	v_min_u32_e32 v24, 32, v21
	v_mov_b32_e32 v20, v7
	v_subrev_u32_e32 v21, 28, v24
	v_lshlrev_b64 v[20:21], v21, v[20:21]
	v_lshrrev_b32_e32 v23, 3, v6
	v_sub_u32_e32 v21, 29, v24
	v_and_b32_e32 v20, 7, v20
	v_cmp_gt_u32_e32 vcc, 8, v6
	v_cndmask_b32_e32 v6, v23, v21, vcc
	v_cndmask_b32_e32 v19, v19, v20, vcc
	v_lshlrev_b32_e32 v20, 24, v7
	v_bfrev_b32_e32 v21, 60
	v_lshlrev_b32_e32 v19, 20, v19
	v_and_b32_e32 v20, 0x80000000, v20
	v_lshl_add_u32 v6, v6, 23, v21
	v_or3_b32 v6, v20, v6, v19
	v_lshrrev_b32_e32 v19, 16, v6
.LBB882_619:
	s_or_b64 exec, exec, s[12:13]
.LBB882_620:
	s_or_b64 exec, exec, s[10:11]
.LBB882_621:
	s_or_b64 exec, exec, s[8:9]
	v_lshrrev_b16_e32 v6, 8, v7
	v_cmp_ne_u16_e32 vcc, 0, v6
	s_and_saveexec_b64 s[8:9], vcc
	s_cbranch_execz .LBB882_627
; %bb.622:
	s_movk_i32 s7, 0x80
	v_cmp_ne_u16_e32 vcc, s7, v6
	v_mov_b32_e32 v14, 0xffff8000
	s_and_saveexec_b64 s[10:11], vcc
	s_cbranch_execz .LBB882_626
; %bb.623:
	s_movk_i32 s7, 0x7f
	v_and_b32_e32 v20, 0x7f, v6
	v_cmp_ne_u32_e32 vcc, s7, v20
	v_mov_b32_e32 v14, 0x7f80
	s_and_saveexec_b64 s[12:13], vcc
	s_cbranch_execz .LBB882_625
; %bb.624:
	v_and_b32_e32 v14, 7, v6
	v_ffbh_u32_e32 v23, v14
	v_min_u32_e32 v23, 32, v23
	v_subrev_u32_e32 v24, 28, v23
	v_lshlrev_b64 v[24:25], v24, v[6:7]
	v_lshrrev_b32_e32 v21, 3, v20
	v_sub_u32_e32 v6, 29, v23
	v_and_b32_e32 v23, 7, v24
	v_cmp_gt_u32_e32 vcc, 8, v20
	v_cndmask_b32_e32 v6, v21, v6, vcc
	v_cndmask_b32_e32 v14, v14, v23, vcc
	v_lshlrev_b32_e32 v20, 16, v7
	v_bfrev_b32_e32 v21, 60
	v_lshlrev_b32_e32 v14, 20, v14
	v_and_b32_e32 v20, 0x80000000, v20
	v_lshl_add_u32 v6, v6, 23, v21
	v_or3_b32 v6, v20, v6, v14
	v_lshrrev_b32_e32 v14, 16, v6
.LBB882_625:
	s_or_b64 exec, exec, s[12:13]
.LBB882_626:
	s_or_b64 exec, exec, s[10:11]
.LBB882_627:
	s_or_b64 exec, exec, s[8:9]
	s_movk_i32 s7, 0xff
	v_and_b32_sdwa v23, v7, s7 dst_sel:DWORD dst_unused:UNUSED_PAD src0_sel:WORD_1 src1_sel:DWORD
	v_lshrrev_b32_e32 v6, 16, v7
	v_cmp_ne_u16_e32 vcc, 0, v23
	v_mov_b32_e32 v20, 0
	v_mov_b32_e32 v21, 0
	s_and_saveexec_b64 s[8:9], vcc
	s_cbranch_execz .LBB882_633
; %bb.628:
	s_movk_i32 s7, 0x80
	v_cmp_ne_u16_e32 vcc, s7, v23
	v_mov_b32_e32 v21, 0xffff8000
	s_and_saveexec_b64 s[10:11], vcc
	s_cbranch_execz .LBB882_632
; %bb.629:
	v_bfe_u32 v23, v7, 16, 7
	s_movk_i32 s7, 0x7f
	v_cmp_ne_u32_e32 vcc, s7, v23
	v_mov_b32_e32 v21, 0x7f80
	s_and_saveexec_b64 s[12:13], vcc
	s_cbranch_execz .LBB882_631
; %bb.630:
	v_and_b32_e32 v21, 7, v6
	v_ffbh_u32_e32 v24, v21
	v_min_u32_e32 v27, 32, v24
	v_subrev_u32_e32 v24, 28, v27
	v_lshlrev_b64 v[24:25], v24, v[6:7]
	v_lshrrev_b32_e32 v26, 3, v23
	v_sub_u32_e32 v6, 29, v27
	v_and_b32_e32 v24, 7, v24
	v_cmp_gt_u32_e32 vcc, 8, v23
	v_mov_b32_e32 v23, 24
	v_cndmask_b32_e32 v6, v26, v6, vcc
	v_cndmask_b32_e32 v21, v21, v24, vcc
	v_lshlrev_b32_sdwa v23, v23, v7 dst_sel:DWORD dst_unused:UNUSED_PAD src0_sel:DWORD src1_sel:WORD_1
	v_bfrev_b32_e32 v24, 60
	v_lshlrev_b32_e32 v21, 20, v21
	v_and_b32_e32 v23, 0x80000000, v23
	v_lshl_add_u32 v6, v6, 23, v24
	v_or3_b32 v6, v23, v6, v21
	v_lshrrev_b32_e32 v21, 16, v6
.LBB882_631:
	s_or_b64 exec, exec, s[12:13]
.LBB882_632:
	s_or_b64 exec, exec, s[10:11]
.LBB882_633:
	s_or_b64 exec, exec, s[8:9]
	s_mov_b32 s7, 0xffffff
	v_cmp_lt_u32_e32 vcc, s7, v7
	s_and_saveexec_b64 s[8:9], vcc
	s_cbranch_execz .LBB882_639
; %bb.634:
	v_lshrrev_b32_e32 v6, 24, v7
	s_movk_i32 s7, 0x80
	v_cmp_ne_u32_e32 vcc, s7, v6
	v_mov_b32_e32 v20, 0xffff8000
	s_and_saveexec_b64 s[10:11], vcc
	s_cbranch_execz .LBB882_638
; %bb.635:
	v_bfe_u32 v7, v7, 24, 7
	s_movk_i32 s7, 0x7f
	v_cmp_ne_u32_e32 vcc, s7, v7
	v_mov_b32_e32 v20, 0x7f80
	s_and_saveexec_b64 s[12:13], vcc
	s_cbranch_execz .LBB882_637
; %bb.636:
	v_and_b32_e32 v20, 7, v6
	v_ffbh_u32_e32 v24, v20
	v_min_u32_e32 v26, 32, v24
	v_subrev_u32_e32 v24, 28, v26
	v_lshlrev_b64 v[24:25], v24, v[6:7]
	v_lshrrev_b32_e32 v23, 3, v7
	v_sub_u32_e32 v25, 29, v26
	v_and_b32_e32 v24, 7, v24
	v_cmp_gt_u32_e32 vcc, 8, v7
	v_cndmask_b32_e32 v7, v23, v25, vcc
	v_cndmask_b32_e32 v20, v20, v24, vcc
	v_lshlrev_b32_e32 v6, 24, v6
	v_bfrev_b32_e32 v23, 60
	v_lshlrev_b32_e32 v20, 20, v20
	v_and_b32_e32 v6, 0x80000000, v6
	v_lshl_add_u32 v7, v7, 23, v23
	v_or3_b32 v6, v6, v7, v20
	v_lshrrev_b32_e32 v20, 16, v6
.LBB882_637:
	s_or_b64 exec, exec, s[12:13]
.LBB882_638:
	s_or_b64 exec, exec, s[10:11]
.LBB882_639:
	s_or_b64 exec, exec, s[8:9]
	s_mov_b32 s7, 0x5040100
	v_perm_b32 v7, v17, v18, s7
	v_perm_b32 v6, v15, v16, s7
	ds_read_b128 v[24:27], v22 offset:4096
	v_perm_b32 v17, v20, v21, s7
	v_perm_b32 v16, v14, v19, s7
	s_waitcnt lgkmcnt(0)
	v_mfma_f32_16x16x16bf16_1k v[10:13], v[6:7], v[24:25], v[10:13]
	v_mov_b32_e32 v7, 0
	v_cmp_ne_u16_sdwa s[10:11], v8, v7 src0_sel:BYTE_0 src1_sel:DWORD
	v_mov_b32_e32 v14, 0
	v_mfma_f32_16x16x16bf16_1k v[10:13], v[16:17], v[26:27], v[10:13]
	s_and_saveexec_b64 s[8:9], s[10:11]
	s_cbranch_execz .LBB882_645
; %bb.640:
	s_movk_i32 s7, 0x80
	v_cmp_ne_u16_sdwa s[12:13], v8, s7 src0_sel:BYTE_0 src1_sel:DWORD
	v_mov_b32_e32 v14, 0xffff8000
	s_and_saveexec_b64 s[10:11], s[12:13]
	s_cbranch_execz .LBB882_644
; %bb.641:
	s_movk_i32 s7, 0x7f
	v_and_b32_e32 v6, 0x7f, v8
	v_cmp_ne_u32_e32 vcc, s7, v6
	v_mov_b32_e32 v14, 0x7f80
	s_and_saveexec_b64 s[12:13], vcc
	s_cbranch_execz .LBB882_643
; %bb.642:
	v_and_b32_e32 v16, 7, v8
	v_ffbh_u32_e32 v14, v16
	v_min_u32_e32 v18, 32, v14
	v_subrev_u32_e32 v14, 28, v18
	v_lshlrev_b64 v[14:15], v14, v[8:9]
	v_lshrrev_b32_e32 v17, 3, v6
	v_sub_u32_e32 v15, 29, v18
	v_and_b32_e32 v14, 7, v14
	v_cmp_gt_u32_e32 vcc, 8, v6
	v_cndmask_b32_e32 v6, v17, v15, vcc
	v_cndmask_b32_e32 v14, v16, v14, vcc
	v_lshlrev_b32_e32 v15, 24, v8
	v_bfrev_b32_e32 v16, 60
	v_lshlrev_b32_e32 v14, 20, v14
	v_and_b32_e32 v15, 0x80000000, v15
	v_lshl_add_u32 v6, v6, 23, v16
	v_or3_b32 v6, v15, v6, v14
	v_lshrrev_b32_e32 v14, 16, v6
.LBB882_643:
	s_or_b64 exec, exec, s[12:13]
.LBB882_644:
	s_or_b64 exec, exec, s[10:11]
.LBB882_645:
	s_or_b64 exec, exec, s[8:9]
	v_lshrrev_b16_e32 v6, 8, v8
	v_cmp_ne_u16_e32 vcc, 0, v6
	s_and_saveexec_b64 s[8:9], vcc
	s_cbranch_execz .LBB882_651
; %bb.646:
	s_movk_i32 s7, 0x80
	v_cmp_ne_u16_e32 vcc, s7, v6
	v_mov_b32_e32 v7, 0xffff8000
	s_and_saveexec_b64 s[10:11], vcc
	s_cbranch_execz .LBB882_650
; %bb.647:
	s_movk_i32 s7, 0x7f
	v_and_b32_e32 v15, 0x7f, v6
	v_cmp_ne_u32_e32 vcc, s7, v15
	v_mov_b32_e32 v7, 0x7f80
	s_and_saveexec_b64 s[12:13], vcc
	s_cbranch_execz .LBB882_649
; %bb.648:
	v_and_b32_e32 v16, 7, v6
	v_ffbh_u32_e32 v7, v16
	v_min_u32_e32 v18, 32, v7
	v_subrev_u32_e32 v7, 28, v18
	v_lshlrev_b64 v[6:7], v7, v[6:7]
	v_lshrrev_b32_e32 v17, 3, v15
	v_sub_u32_e32 v7, 29, v18
	v_and_b32_e32 v6, 7, v6
	v_cmp_gt_u32_e32 vcc, 8, v15
	v_cndmask_b32_e32 v7, v17, v7, vcc
	v_cndmask_b32_e32 v6, v16, v6, vcc
	v_lshlrev_b32_e32 v15, 16, v8
	v_bfrev_b32_e32 v16, 60
	v_lshlrev_b32_e32 v6, 20, v6
	v_and_b32_e32 v15, 0x80000000, v15
	v_lshl_add_u32 v7, v7, 23, v16
	v_or3_b32 v6, v15, v7, v6
	v_lshrrev_b32_e32 v7, 16, v6
.LBB882_649:
	s_or_b64 exec, exec, s[12:13]
.LBB882_650:
	s_or_b64 exec, exec, s[10:11]
.LBB882_651:
	s_or_b64 exec, exec, s[8:9]
	s_movk_i32 s7, 0xff
	v_and_b32_sdwa v17, v8, s7 dst_sel:DWORD dst_unused:UNUSED_PAD src0_sel:WORD_1 src1_sel:DWORD
	v_lshrrev_b32_e32 v6, 16, v8
	v_cmp_ne_u16_e32 vcc, 0, v17
	v_mov_b32_e32 v15, 0
	v_mov_b32_e32 v16, 0
	s_and_saveexec_b64 s[8:9], vcc
	s_cbranch_execz .LBB882_657
; %bb.652:
	s_movk_i32 s7, 0x80
	v_cmp_ne_u16_e32 vcc, s7, v17
	v_mov_b32_e32 v16, 0xffff8000
	s_and_saveexec_b64 s[10:11], vcc
	s_cbranch_execz .LBB882_656
; %bb.653:
	v_bfe_u32 v17, v8, 16, 7
	s_movk_i32 s7, 0x7f
	v_cmp_ne_u32_e32 vcc, s7, v17
	v_mov_b32_e32 v16, 0x7f80
	s_and_saveexec_b64 s[12:13], vcc
	s_cbranch_execz .LBB882_655
; %bb.654:
	v_and_b32_e32 v16, 7, v6
	v_ffbh_u32_e32 v18, v16
	v_min_u32_e32 v21, 32, v18
	v_subrev_u32_e32 v18, 28, v21
	v_lshlrev_b64 v[18:19], v18, v[6:7]
	v_lshrrev_b32_e32 v20, 3, v17
	v_sub_u32_e32 v6, 29, v21
	v_and_b32_e32 v18, 7, v18
	v_cmp_gt_u32_e32 vcc, 8, v17
	v_mov_b32_e32 v17, 24
	v_cndmask_b32_e32 v6, v20, v6, vcc
	v_cndmask_b32_e32 v16, v16, v18, vcc
	v_lshlrev_b32_sdwa v17, v17, v8 dst_sel:DWORD dst_unused:UNUSED_PAD src0_sel:DWORD src1_sel:WORD_1
	v_bfrev_b32_e32 v18, 60
	v_lshlrev_b32_e32 v16, 20, v16
	v_and_b32_e32 v17, 0x80000000, v17
	v_lshl_add_u32 v6, v6, 23, v18
	v_or3_b32 v6, v17, v6, v16
	v_lshrrev_b32_e32 v16, 16, v6
.LBB882_655:
	s_or_b64 exec, exec, s[12:13]
.LBB882_656:
	s_or_b64 exec, exec, s[10:11]
.LBB882_657:
	s_or_b64 exec, exec, s[8:9]
	s_mov_b32 s7, 0xffffff
	v_cmp_lt_u32_e32 vcc, s7, v8
	s_and_saveexec_b64 s[8:9], vcc
	s_cbranch_execz .LBB882_663
; %bb.658:
	v_lshrrev_b32_e32 v6, 24, v8
	s_movk_i32 s7, 0x80
	v_cmp_ne_u32_e32 vcc, s7, v6
	v_mov_b32_e32 v15, 0xffff8000
	s_and_saveexec_b64 s[10:11], vcc
	s_cbranch_execz .LBB882_662
; %bb.659:
	v_bfe_u32 v8, v8, 24, 7
	s_movk_i32 s7, 0x7f
	v_cmp_ne_u32_e32 vcc, s7, v8
	v_mov_b32_e32 v15, 0x7f80
	s_and_saveexec_b64 s[12:13], vcc
	s_cbranch_execz .LBB882_661
; %bb.660:
	v_and_b32_e32 v15, 7, v6
	v_ffbh_u32_e32 v18, v15
	v_min_u32_e32 v20, 32, v18
	v_subrev_u32_e32 v18, 28, v20
	v_lshlrev_b64 v[18:19], v18, v[6:7]
	v_lshrrev_b32_e32 v17, 3, v8
	v_sub_u32_e32 v19, 29, v20
	v_and_b32_e32 v18, 7, v18
	v_cmp_gt_u32_e32 vcc, 8, v8
	v_cndmask_b32_e32 v8, v17, v19, vcc
	v_cndmask_b32_e32 v15, v15, v18, vcc
	v_lshlrev_b32_e32 v6, 24, v6
	v_bfrev_b32_e32 v17, 60
	v_lshlrev_b32_e32 v15, 20, v15
	v_and_b32_e32 v6, 0x80000000, v6
	v_lshl_add_u32 v8, v8, 23, v17
	v_or3_b32 v6, v6, v8, v15
	v_lshrrev_b32_e32 v15, 16, v6
.LBB882_661:
	s_or_b64 exec, exec, s[12:13]
.LBB882_662:
	s_or_b64 exec, exec, s[10:11]
.LBB882_663:
	s_or_b64 exec, exec, s[8:9]
	v_mov_b32_e32 v8, 0
	v_cmp_ne_u16_sdwa s[10:11], v9, v8 src0_sel:BYTE_0 src1_sel:DWORD
	v_mov_b32_e32 v17, 0
	s_and_saveexec_b64 s[8:9], s[10:11]
	s_cbranch_execz .LBB882_669
; %bb.664:
	s_movk_i32 s7, 0x80
	v_cmp_ne_u16_sdwa s[12:13], v9, s7 src0_sel:BYTE_0 src1_sel:DWORD
	v_mov_b32_e32 v17, 0xffff8000
	s_and_saveexec_b64 s[10:11], s[12:13]
	s_cbranch_execz .LBB882_668
; %bb.665:
	s_movk_i32 s7, 0x7f
	v_and_b32_e32 v6, 0x7f, v9
	v_cmp_ne_u32_e32 vcc, s7, v6
	v_mov_b32_e32 v17, 0x7f80
	s_and_saveexec_b64 s[12:13], vcc
	s_cbranch_execz .LBB882_667
; %bb.666:
	v_and_b32_e32 v17, 7, v9
	v_ffbh_u32_e32 v19, v17
	v_min_u32_e32 v21, 32, v19
	v_mov_b32_e32 v18, v9
	v_subrev_u32_e32 v19, 28, v21
	v_lshlrev_b64 v[18:19], v19, v[18:19]
	v_lshrrev_b32_e32 v20, 3, v6
	v_sub_u32_e32 v19, 29, v21
	v_and_b32_e32 v18, 7, v18
	v_cmp_gt_u32_e32 vcc, 8, v6
	v_cndmask_b32_e32 v6, v20, v19, vcc
	v_cndmask_b32_e32 v17, v17, v18, vcc
	v_lshlrev_b32_e32 v18, 24, v9
	v_bfrev_b32_e32 v19, 60
	v_lshlrev_b32_e32 v17, 20, v17
	v_and_b32_e32 v18, 0x80000000, v18
	v_lshl_add_u32 v6, v6, 23, v19
	v_or3_b32 v6, v18, v6, v17
	v_lshrrev_b32_e32 v17, 16, v6
.LBB882_667:
	s_or_b64 exec, exec, s[12:13]
.LBB882_668:
	s_or_b64 exec, exec, s[10:11]
.LBB882_669:
	s_or_b64 exec, exec, s[8:9]
	v_lshrrev_b16_e32 v6, 8, v9
	v_cmp_ne_u16_e32 vcc, 0, v6
	s_and_saveexec_b64 s[8:9], vcc
	s_cbranch_execz .LBB882_675
; %bb.670:
	s_movk_i32 s7, 0x80
	v_cmp_ne_u16_e32 vcc, s7, v6
	v_mov_b32_e32 v8, 0xffff8000
	s_and_saveexec_b64 s[10:11], vcc
	s_cbranch_execz .LBB882_674
; %bb.671:
	s_movk_i32 s7, 0x7f
	v_and_b32_e32 v18, 0x7f, v6
	v_cmp_ne_u32_e32 vcc, s7, v18
	v_mov_b32_e32 v8, 0x7f80
	s_and_saveexec_b64 s[12:13], vcc
	s_cbranch_execz .LBB882_673
; %bb.672:
	v_and_b32_e32 v8, 7, v6
	v_ffbh_u32_e32 v20, v8
	v_min_u32_e32 v23, 32, v20
	v_subrev_u32_e32 v20, 28, v23
	v_lshlrev_b64 v[20:21], v20, v[6:7]
	v_lshrrev_b32_e32 v19, 3, v18
	v_sub_u32_e32 v6, 29, v23
	v_and_b32_e32 v20, 7, v20
	v_cmp_gt_u32_e32 vcc, 8, v18
	v_cndmask_b32_e32 v6, v19, v6, vcc
	v_cndmask_b32_e32 v8, v8, v20, vcc
	v_lshlrev_b32_e32 v18, 16, v9
	v_bfrev_b32_e32 v19, 60
	v_lshlrev_b32_e32 v8, 20, v8
	v_and_b32_e32 v18, 0x80000000, v18
	v_lshl_add_u32 v6, v6, 23, v19
	v_or3_b32 v6, v18, v6, v8
	v_lshrrev_b32_e32 v8, 16, v6
.LBB882_673:
	s_or_b64 exec, exec, s[12:13]
.LBB882_674:
	s_or_b64 exec, exec, s[10:11]
.LBB882_675:
	s_or_b64 exec, exec, s[8:9]
	s_movk_i32 s7, 0xff
	v_and_b32_sdwa v20, v9, s7 dst_sel:DWORD dst_unused:UNUSED_PAD src0_sel:WORD_1 src1_sel:DWORD
	v_lshrrev_b32_e32 v6, 16, v9
	v_cmp_ne_u16_e32 vcc, 0, v20
	v_mov_b32_e32 v18, 0
	v_mov_b32_e32 v19, 0
	s_and_saveexec_b64 s[8:9], vcc
	s_cbranch_execz .LBB882_681
; %bb.676:
	s_movk_i32 s7, 0x80
	v_cmp_ne_u16_e32 vcc, s7, v20
	v_mov_b32_e32 v19, 0xffff8000
	s_and_saveexec_b64 s[10:11], vcc
	s_cbranch_execz .LBB882_680
; %bb.677:
	v_bfe_u32 v20, v9, 16, 7
	s_movk_i32 s7, 0x7f
	v_cmp_ne_u32_e32 vcc, s7, v20
	v_mov_b32_e32 v19, 0x7f80
	s_and_saveexec_b64 s[12:13], vcc
	s_cbranch_execz .LBB882_679
; %bb.678:
	v_and_b32_e32 v19, 7, v6
	v_ffbh_u32_e32 v23, v19
	v_min_u32_e32 v23, 32, v23
	v_subrev_u32_e32 v24, 28, v23
	v_lshlrev_b64 v[24:25], v24, v[6:7]
	v_lshrrev_b32_e32 v21, 3, v20
	v_sub_u32_e32 v6, 29, v23
	v_and_b32_e32 v23, 7, v24
	v_cmp_gt_u32_e32 vcc, 8, v20
	v_mov_b32_e32 v20, 24
	v_cndmask_b32_e32 v6, v21, v6, vcc
	v_cndmask_b32_e32 v19, v19, v23, vcc
	v_lshlrev_b32_sdwa v20, v20, v9 dst_sel:DWORD dst_unused:UNUSED_PAD src0_sel:DWORD src1_sel:WORD_1
	v_bfrev_b32_e32 v21, 60
	v_lshlrev_b32_e32 v19, 20, v19
	v_and_b32_e32 v20, 0x80000000, v20
	v_lshl_add_u32 v6, v6, 23, v21
	v_or3_b32 v6, v20, v6, v19
	v_lshrrev_b32_e32 v19, 16, v6
.LBB882_679:
	s_or_b64 exec, exec, s[12:13]
.LBB882_680:
	s_or_b64 exec, exec, s[10:11]
.LBB882_681:
	s_or_b64 exec, exec, s[8:9]
	s_mov_b32 s7, 0xffffff
	v_cmp_lt_u32_e32 vcc, s7, v9
	s_and_saveexec_b64 s[8:9], vcc
	s_cbranch_execz .LBB882_687
; %bb.682:
	v_lshrrev_b32_e32 v6, 24, v9
	s_movk_i32 s7, 0x80
	v_cmp_ne_u32_e32 vcc, s7, v6
	v_mov_b32_e32 v18, 0xffff8000
	s_and_saveexec_b64 s[10:11], vcc
	s_cbranch_execz .LBB882_686
; %bb.683:
	v_bfe_u32 v9, v9, 24, 7
	s_movk_i32 s7, 0x7f
	v_cmp_ne_u32_e32 vcc, s7, v9
	v_mov_b32_e32 v18, 0x7f80
	s_and_saveexec_b64 s[12:13], vcc
	s_cbranch_execz .LBB882_685
; %bb.684:
	v_and_b32_e32 v18, 7, v6
	v_ffbh_u32_e32 v20, v18
	v_min_u32_e32 v24, 32, v20
	v_subrev_u32_e32 v20, 28, v24
	v_lshlrev_b64 v[20:21], v20, v[6:7]
	v_lshrrev_b32_e32 v23, 3, v9
	v_sub_u32_e32 v21, 29, v24
	v_and_b32_e32 v20, 7, v20
	v_cmp_gt_u32_e32 vcc, 8, v9
	v_cndmask_b32_e32 v9, v23, v21, vcc
	v_cndmask_b32_e32 v18, v18, v20, vcc
	v_lshlrev_b32_e32 v6, 24, v6
	v_bfrev_b32_e32 v20, 60
	v_lshlrev_b32_e32 v18, 20, v18
	v_and_b32_e32 v6, 0x80000000, v6
	v_lshl_add_u32 v9, v9, 23, v20
	v_or3_b32 v6, v6, v9, v18
	v_lshrrev_b32_e32 v18, 16, v6
.LBB882_685:
	s_or_b64 exec, exec, s[12:13]
.LBB882_686:
	s_or_b64 exec, exec, s[10:11]
.LBB882_687:
	s_or_b64 exec, exec, s[8:9]
	s_mov_b32 s7, 0x5040100
	v_perm_b32 v15, v15, v16, s7
	v_perm_b32 v14, v7, v14, s7
	ds_read_b128 v[24:27], v22 offset:4112
	v_perm_b32 v7, v18, v19, s7
	v_perm_b32 v6, v8, v17, s7
	s_waitcnt lgkmcnt(0)
	v_mfma_f32_16x16x16bf16_1k v[30:33], v[14:15], v[24:25], v[10:13]
	s_nop 6
	v_mov_b32_e32 v11, 0
	s_waitcnt vmcnt(0)
	v_cmp_ne_u16_sdwa s[10:11], v2, v11 src0_sel:BYTE_0 src1_sel:DWORD
	v_mfma_f32_16x16x16bf16_1k v[6:9], v[6:7], v[26:27], v[30:33]
	v_mov_b32_e32 v12, 0
	s_and_saveexec_b64 s[8:9], s[10:11]
	s_cbranch_execz .LBB882_693
; %bb.688:
	s_movk_i32 s7, 0x80
	v_cmp_ne_u16_sdwa s[12:13], v2, s7 src0_sel:BYTE_0 src1_sel:DWORD
	v_mov_b32_e32 v12, 0xffff8000
	s_and_saveexec_b64 s[10:11], s[12:13]
	s_cbranch_execz .LBB882_692
; %bb.689:
	s_movk_i32 s7, 0x7f
	v_and_b32_e32 v10, 0x7f, v2
	v_cmp_ne_u32_e32 vcc, s7, v10
	v_mov_b32_e32 v12, 0x7f80
	s_and_saveexec_b64 s[12:13], vcc
	s_cbranch_execz .LBB882_691
; %bb.690:
	v_and_b32_e32 v14, 7, v2
	v_ffbh_u32_e32 v12, v14
	v_min_u32_e32 v16, 32, v12
	v_subrev_u32_e32 v12, 28, v16
	v_lshlrev_b64 v[12:13], v12, v[2:3]
	v_lshrrev_b32_e32 v15, 3, v10
	v_sub_u32_e32 v13, 29, v16
	v_and_b32_e32 v12, 7, v12
	v_cmp_gt_u32_e32 vcc, 8, v10
	v_cndmask_b32_e32 v10, v15, v13, vcc
	v_cndmask_b32_e32 v12, v14, v12, vcc
	v_lshlrev_b32_e32 v13, 24, v2
	v_bfrev_b32_e32 v14, 60
	v_lshlrev_b32_e32 v12, 20, v12
	v_and_b32_e32 v13, 0x80000000, v13
	v_lshl_add_u32 v10, v10, 23, v14
	v_or3_b32 v10, v13, v10, v12
	v_lshrrev_b32_e32 v12, 16, v10
.LBB882_691:
	s_or_b64 exec, exec, s[12:13]
.LBB882_692:
	s_or_b64 exec, exec, s[10:11]
.LBB882_693:
	s_or_b64 exec, exec, s[8:9]
	v_lshrrev_b16_e32 v10, 8, v2
	v_cmp_ne_u16_e32 vcc, 0, v10
	s_and_saveexec_b64 s[8:9], vcc
	s_cbranch_execz .LBB882_699
; %bb.694:
	s_movk_i32 s7, 0x80
	v_cmp_ne_u16_e32 vcc, s7, v10
	v_mov_b32_e32 v11, 0xffff8000
	s_and_saveexec_b64 s[10:11], vcc
	s_cbranch_execz .LBB882_698
; %bb.695:
	s_movk_i32 s7, 0x7f
	v_and_b32_e32 v13, 0x7f, v10
	v_cmp_ne_u32_e32 vcc, s7, v13
	v_mov_b32_e32 v11, 0x7f80
	s_and_saveexec_b64 s[12:13], vcc
	s_cbranch_execz .LBB882_697
; %bb.696:
	v_and_b32_e32 v14, 7, v10
	v_ffbh_u32_e32 v11, v14
	v_min_u32_e32 v16, 32, v11
	v_subrev_u32_e32 v11, 28, v16
	v_lshlrev_b64 v[10:11], v11, v[10:11]
	v_lshrrev_b32_e32 v15, 3, v13
	v_sub_u32_e32 v11, 29, v16
	v_and_b32_e32 v10, 7, v10
	v_cmp_gt_u32_e32 vcc, 8, v13
	v_cndmask_b32_e32 v11, v15, v11, vcc
	v_cndmask_b32_e32 v10, v14, v10, vcc
	v_lshlrev_b32_e32 v13, 16, v2
	v_bfrev_b32_e32 v14, 60
	v_lshlrev_b32_e32 v10, 20, v10
	v_and_b32_e32 v13, 0x80000000, v13
	v_lshl_add_u32 v11, v11, 23, v14
	v_or3_b32 v10, v13, v11, v10
	v_lshrrev_b32_e32 v11, 16, v10
.LBB882_697:
	s_or_b64 exec, exec, s[12:13]
.LBB882_698:
	s_or_b64 exec, exec, s[10:11]
.LBB882_699:
	s_or_b64 exec, exec, s[8:9]
	s_movk_i32 s7, 0xff
	v_and_b32_sdwa v15, v2, s7 dst_sel:DWORD dst_unused:UNUSED_PAD src0_sel:WORD_1 src1_sel:DWORD
	v_lshrrev_b32_e32 v10, 16, v2
	v_cmp_ne_u16_e32 vcc, 0, v15
	v_mov_b32_e32 v13, 0
	v_mov_b32_e32 v14, 0
	s_and_saveexec_b64 s[8:9], vcc
	s_cbranch_execz .LBB882_705
; %bb.700:
	s_movk_i32 s7, 0x80
	v_cmp_ne_u16_e32 vcc, s7, v15
	v_mov_b32_e32 v14, 0xffff8000
	s_and_saveexec_b64 s[10:11], vcc
	s_cbranch_execz .LBB882_704
; %bb.701:
	v_bfe_u32 v15, v2, 16, 7
	s_movk_i32 s7, 0x7f
	v_cmp_ne_u32_e32 vcc, s7, v15
	v_mov_b32_e32 v14, 0x7f80
	s_and_saveexec_b64 s[12:13], vcc
	s_cbranch_execz .LBB882_703
; %bb.702:
	v_and_b32_e32 v14, 7, v10
	v_ffbh_u32_e32 v16, v14
	v_min_u32_e32 v19, 32, v16
	v_subrev_u32_e32 v16, 28, v19
	v_lshlrev_b64 v[16:17], v16, v[10:11]
	v_lshrrev_b32_e32 v18, 3, v15
	v_sub_u32_e32 v10, 29, v19
	v_and_b32_e32 v16, 7, v16
	v_cmp_gt_u32_e32 vcc, 8, v15
	v_mov_b32_e32 v15, 24
	v_cndmask_b32_e32 v10, v18, v10, vcc
	v_cndmask_b32_e32 v14, v14, v16, vcc
	v_lshlrev_b32_sdwa v15, v15, v2 dst_sel:DWORD dst_unused:UNUSED_PAD src0_sel:DWORD src1_sel:WORD_1
	v_bfrev_b32_e32 v16, 60
	v_lshlrev_b32_e32 v14, 20, v14
	v_and_b32_e32 v15, 0x80000000, v15
	v_lshl_add_u32 v10, v10, 23, v16
	v_or3_b32 v10, v15, v10, v14
	v_lshrrev_b32_e32 v14, 16, v10
.LBB882_703:
	s_or_b64 exec, exec, s[12:13]
.LBB882_704:
	s_or_b64 exec, exec, s[10:11]
.LBB882_705:
	s_or_b64 exec, exec, s[8:9]
	s_mov_b32 s7, 0xffffff
	v_cmp_lt_u32_e32 vcc, s7, v2
	s_and_saveexec_b64 s[8:9], vcc
	s_cbranch_execz .LBB882_711
; %bb.706:
	v_lshrrev_b32_e32 v10, 24, v2
	s_movk_i32 s7, 0x80
	v_cmp_ne_u32_e32 vcc, s7, v10
	v_mov_b32_e32 v13, 0xffff8000
	s_and_saveexec_b64 s[10:11], vcc
	s_cbranch_execz .LBB882_710
; %bb.707:
	v_bfe_u32 v2, v2, 24, 7
	s_movk_i32 s7, 0x7f
	v_cmp_ne_u32_e32 vcc, s7, v2
	v_mov_b32_e32 v13, 0x7f80
	s_and_saveexec_b64 s[12:13], vcc
	s_cbranch_execz .LBB882_709
; %bb.708:
	v_and_b32_e32 v13, 7, v10
	v_ffbh_u32_e32 v16, v13
	v_min_u32_e32 v18, 32, v16
	v_subrev_u32_e32 v16, 28, v18
	v_lshlrev_b64 v[16:17], v16, v[10:11]
	v_lshrrev_b32_e32 v15, 3, v2
	v_sub_u32_e32 v17, 29, v18
	v_and_b32_e32 v16, 7, v16
	v_cmp_gt_u32_e32 vcc, 8, v2
	v_cndmask_b32_e32 v2, v15, v17, vcc
	v_cndmask_b32_e32 v13, v13, v16, vcc
	v_lshlrev_b32_e32 v10, 24, v10
	v_bfrev_b32_e32 v15, 60
	v_lshlrev_b32_e32 v13, 20, v13
	v_and_b32_e32 v10, 0x80000000, v10
	v_lshl_add_u32 v2, v2, 23, v15
	v_or3_b32 v2, v10, v2, v13
	v_lshrrev_b32_e32 v13, 16, v2
.LBB882_709:
	s_or_b64 exec, exec, s[12:13]
.LBB882_710:
	s_or_b64 exec, exec, s[10:11]
.LBB882_711:
	s_or_b64 exec, exec, s[8:9]
	v_mov_b32_e32 v10, 0
	v_cmp_ne_u16_sdwa s[10:11], v3, v10 src0_sel:BYTE_0 src1_sel:DWORD
	v_mov_b32_e32 v15, 0
	s_and_saveexec_b64 s[8:9], s[10:11]
	s_cbranch_execz .LBB882_717
; %bb.712:
	s_movk_i32 s7, 0x80
	v_cmp_ne_u16_sdwa s[12:13], v3, s7 src0_sel:BYTE_0 src1_sel:DWORD
	v_mov_b32_e32 v15, 0xffff8000
	s_and_saveexec_b64 s[10:11], s[12:13]
	s_cbranch_execz .LBB882_716
; %bb.713:
	s_movk_i32 s7, 0x7f
	v_and_b32_e32 v2, 0x7f, v3
	v_cmp_ne_u32_e32 vcc, s7, v2
	v_mov_b32_e32 v15, 0x7f80
	s_and_saveexec_b64 s[12:13], vcc
	s_cbranch_execz .LBB882_715
; %bb.714:
	v_and_b32_e32 v15, 7, v3
	v_ffbh_u32_e32 v17, v15
	v_min_u32_e32 v19, 32, v17
	v_mov_b32_e32 v16, v3
	v_subrev_u32_e32 v17, 28, v19
	v_lshlrev_b64 v[16:17], v17, v[16:17]
	v_lshrrev_b32_e32 v18, 3, v2
	v_sub_u32_e32 v17, 29, v19
	v_and_b32_e32 v16, 7, v16
	v_cmp_gt_u32_e32 vcc, 8, v2
	v_cndmask_b32_e32 v2, v18, v17, vcc
	v_cndmask_b32_e32 v15, v15, v16, vcc
	v_lshlrev_b32_e32 v16, 24, v3
	v_bfrev_b32_e32 v17, 60
	v_lshlrev_b32_e32 v15, 20, v15
	v_and_b32_e32 v16, 0x80000000, v16
	v_lshl_add_u32 v2, v2, 23, v17
	v_or3_b32 v2, v16, v2, v15
	v_lshrrev_b32_e32 v15, 16, v2
.LBB882_715:
	s_or_b64 exec, exec, s[12:13]
.LBB882_716:
	s_or_b64 exec, exec, s[10:11]
.LBB882_717:
	s_or_b64 exec, exec, s[8:9]
	v_lshrrev_b16_e32 v2, 8, v3
	v_cmp_ne_u16_e32 vcc, 0, v2
	s_and_saveexec_b64 s[8:9], vcc
	s_cbranch_execz .LBB882_723
; %bb.718:
	s_movk_i32 s7, 0x80
	v_cmp_ne_u16_e32 vcc, s7, v2
	v_mov_b32_e32 v10, 0xffff8000
	s_and_saveexec_b64 s[10:11], vcc
	s_cbranch_execz .LBB882_722
; %bb.719:
	s_movk_i32 s7, 0x7f
	v_and_b32_e32 v16, 0x7f, v2
	v_cmp_ne_u32_e32 vcc, s7, v16
	v_mov_b32_e32 v10, 0x7f80
	s_and_saveexec_b64 s[12:13], vcc
	s_cbranch_execz .LBB882_721
; %bb.720:
	v_and_b32_e32 v10, 7, v2
	v_ffbh_u32_e32 v18, v10
	v_min_u32_e32 v20, 32, v18
	v_subrev_u32_e32 v18, 28, v20
	v_lshlrev_b64 v[18:19], v18, v[2:3]
	v_lshrrev_b32_e32 v17, 3, v16
	v_sub_u32_e32 v2, 29, v20
	v_and_b32_e32 v18, 7, v18
	v_cmp_gt_u32_e32 vcc, 8, v16
	v_cndmask_b32_e32 v2, v17, v2, vcc
	v_cndmask_b32_e32 v10, v10, v18, vcc
	v_lshlrev_b32_e32 v16, 16, v3
	v_bfrev_b32_e32 v17, 60
	v_lshlrev_b32_e32 v10, 20, v10
	v_and_b32_e32 v16, 0x80000000, v16
	v_lshl_add_u32 v2, v2, 23, v17
	v_or3_b32 v2, v16, v2, v10
	v_lshrrev_b32_e32 v10, 16, v2
.LBB882_721:
	s_or_b64 exec, exec, s[12:13]
.LBB882_722:
	s_or_b64 exec, exec, s[10:11]
.LBB882_723:
	s_or_b64 exec, exec, s[8:9]
	s_movk_i32 s7, 0xff
	v_and_b32_sdwa v18, v3, s7 dst_sel:DWORD dst_unused:UNUSED_PAD src0_sel:WORD_1 src1_sel:DWORD
	v_lshrrev_b32_e32 v2, 16, v3
	v_cmp_ne_u16_e32 vcc, 0, v18
	v_mov_b32_e32 v16, 0
	v_mov_b32_e32 v17, 0
	s_and_saveexec_b64 s[8:9], vcc
	s_cbranch_execz .LBB882_729
; %bb.724:
	s_movk_i32 s7, 0x80
	v_cmp_ne_u16_e32 vcc, s7, v18
	v_mov_b32_e32 v17, 0xffff8000
	s_and_saveexec_b64 s[10:11], vcc
	s_cbranch_execz .LBB882_728
; %bb.725:
	v_bfe_u32 v18, v3, 16, 7
	s_movk_i32 s7, 0x7f
	v_cmp_ne_u32_e32 vcc, s7, v18
	v_mov_b32_e32 v17, 0x7f80
	s_and_saveexec_b64 s[12:13], vcc
	s_cbranch_execz .LBB882_727
; %bb.726:
	v_and_b32_e32 v17, 7, v2
	v_ffbh_u32_e32 v20, v17
	v_min_u32_e32 v23, 32, v20
	v_subrev_u32_e32 v20, 28, v23
	v_lshlrev_b64 v[20:21], v20, v[2:3]
	v_lshrrev_b32_e32 v19, 3, v18
	v_sub_u32_e32 v2, 29, v23
	v_and_b32_e32 v20, 7, v20
	v_cmp_gt_u32_e32 vcc, 8, v18
	v_mov_b32_e32 v18, 24
	v_cndmask_b32_e32 v2, v19, v2, vcc
	v_cndmask_b32_e32 v17, v17, v20, vcc
	v_lshlrev_b32_sdwa v18, v18, v3 dst_sel:DWORD dst_unused:UNUSED_PAD src0_sel:DWORD src1_sel:WORD_1
	v_bfrev_b32_e32 v19, 60
	v_lshlrev_b32_e32 v17, 20, v17
	v_and_b32_e32 v18, 0x80000000, v18
	v_lshl_add_u32 v2, v2, 23, v19
	v_or3_b32 v2, v18, v2, v17
	v_lshrrev_b32_e32 v17, 16, v2
.LBB882_727:
	s_or_b64 exec, exec, s[12:13]
.LBB882_728:
	s_or_b64 exec, exec, s[10:11]
.LBB882_729:
	s_or_b64 exec, exec, s[8:9]
	s_mov_b32 s7, 0xffffff
	v_cmp_lt_u32_e32 vcc, s7, v3
	s_and_saveexec_b64 s[8:9], vcc
	s_cbranch_execz .LBB882_735
; %bb.730:
	v_lshrrev_b32_e32 v2, 24, v3
	s_movk_i32 s7, 0x80
	v_cmp_ne_u32_e32 vcc, s7, v2
	v_mov_b32_e32 v16, 0xffff8000
	s_and_saveexec_b64 s[10:11], vcc
	s_cbranch_execz .LBB882_734
; %bb.731:
	v_bfe_u32 v3, v3, 24, 7
	s_movk_i32 s7, 0x7f
	v_cmp_ne_u32_e32 vcc, s7, v3
	v_mov_b32_e32 v16, 0x7f80
	s_and_saveexec_b64 s[12:13], vcc
	s_cbranch_execz .LBB882_733
; %bb.732:
	v_and_b32_e32 v16, 7, v2
	v_ffbh_u32_e32 v18, v16
	v_min_u32_e32 v21, 32, v18
	v_subrev_u32_e32 v18, 28, v21
	v_lshlrev_b64 v[18:19], v18, v[2:3]
	v_lshrrev_b32_e32 v20, 3, v3
	v_sub_u32_e32 v19, 29, v21
	v_and_b32_e32 v18, 7, v18
	v_cmp_gt_u32_e32 vcc, 8, v3
	v_cndmask_b32_e32 v3, v20, v19, vcc
	v_cndmask_b32_e32 v16, v16, v18, vcc
	v_lshlrev_b32_e32 v2, 24, v2
	v_bfrev_b32_e32 v18, 60
	v_lshlrev_b32_e32 v16, 20, v16
	v_and_b32_e32 v2, 0x80000000, v2
	v_lshl_add_u32 v3, v3, 23, v18
	v_or3_b32 v2, v2, v3, v16
	v_lshrrev_b32_e32 v16, 16, v2
.LBB882_733:
	s_or_b64 exec, exec, s[12:13]
.LBB882_734:
	s_or_b64 exec, exec, s[10:11]
.LBB882_735:
	s_or_b64 exec, exec, s[8:9]
	s_mov_b32 s7, 0x5040100
	v_perm_b32 v3, v13, v14, s7
	v_perm_b32 v2, v11, v12, s7
	ds_read_b128 v[18:21], v22 offset:6144
	v_perm_b32 v13, v16, v17, s7
	v_perm_b32 v12, v10, v15, s7
	s_waitcnt lgkmcnt(0)
	v_mfma_f32_16x16x16bf16_1k v[6:9], v[2:3], v[18:19], v[6:9]
	v_mov_b32_e32 v3, 0
	v_cmp_ne_u16_sdwa s[10:11], v4, v3 src0_sel:BYTE_0 src1_sel:DWORD
	v_mov_b32_e32 v10, 0
	v_mfma_f32_16x16x16bf16_1k v[6:9], v[12:13], v[20:21], v[6:9]
	s_and_saveexec_b64 s[8:9], s[10:11]
	s_cbranch_execz .LBB882_741
; %bb.736:
	s_movk_i32 s7, 0x80
	v_cmp_ne_u16_sdwa s[12:13], v4, s7 src0_sel:BYTE_0 src1_sel:DWORD
	v_mov_b32_e32 v10, 0xffff8000
	s_and_saveexec_b64 s[10:11], s[12:13]
	s_cbranch_execz .LBB882_740
; %bb.737:
	s_movk_i32 s7, 0x7f
	v_and_b32_e32 v2, 0x7f, v4
	v_cmp_ne_u32_e32 vcc, s7, v2
	v_mov_b32_e32 v10, 0x7f80
	s_and_saveexec_b64 s[12:13], vcc
	s_cbranch_execz .LBB882_739
; %bb.738:
	v_and_b32_e32 v12, 7, v4
	v_ffbh_u32_e32 v10, v12
	v_min_u32_e32 v14, 32, v10
	v_subrev_u32_e32 v10, 28, v14
	v_lshlrev_b64 v[10:11], v10, v[4:5]
	v_lshrrev_b32_e32 v13, 3, v2
	v_sub_u32_e32 v11, 29, v14
	v_and_b32_e32 v10, 7, v10
	v_cmp_gt_u32_e32 vcc, 8, v2
	v_cndmask_b32_e32 v2, v13, v11, vcc
	v_cndmask_b32_e32 v10, v12, v10, vcc
	v_lshlrev_b32_e32 v11, 24, v4
	v_bfrev_b32_e32 v12, 60
	v_lshlrev_b32_e32 v10, 20, v10
	v_and_b32_e32 v11, 0x80000000, v11
	v_lshl_add_u32 v2, v2, 23, v12
	v_or3_b32 v2, v11, v2, v10
	v_lshrrev_b32_e32 v10, 16, v2
.LBB882_739:
	s_or_b64 exec, exec, s[12:13]
.LBB882_740:
	s_or_b64 exec, exec, s[10:11]
.LBB882_741:
	s_or_b64 exec, exec, s[8:9]
	v_lshrrev_b16_e32 v2, 8, v4
	v_cmp_ne_u16_e32 vcc, 0, v2
	s_and_saveexec_b64 s[8:9], vcc
	s_cbranch_execz .LBB882_747
; %bb.742:
	s_movk_i32 s7, 0x80
	v_cmp_ne_u16_e32 vcc, s7, v2
	v_mov_b32_e32 v3, 0xffff8000
	s_and_saveexec_b64 s[10:11], vcc
	s_cbranch_execz .LBB882_746
; %bb.743:
	s_movk_i32 s7, 0x7f
	v_and_b32_e32 v11, 0x7f, v2
	v_cmp_ne_u32_e32 vcc, s7, v11
	v_mov_b32_e32 v3, 0x7f80
	s_and_saveexec_b64 s[12:13], vcc
	s_cbranch_execz .LBB882_745
; %bb.744:
	v_and_b32_e32 v12, 7, v2
	v_ffbh_u32_e32 v3, v12
	v_min_u32_e32 v14, 32, v3
	v_subrev_u32_e32 v3, 28, v14
	v_lshlrev_b64 v[2:3], v3, v[2:3]
	v_lshrrev_b32_e32 v13, 3, v11
	v_sub_u32_e32 v3, 29, v14
	v_and_b32_e32 v2, 7, v2
	v_cmp_gt_u32_e32 vcc, 8, v11
	v_cndmask_b32_e32 v3, v13, v3, vcc
	v_cndmask_b32_e32 v2, v12, v2, vcc
	v_lshlrev_b32_e32 v11, 16, v4
	v_bfrev_b32_e32 v12, 60
	v_lshlrev_b32_e32 v2, 20, v2
	v_and_b32_e32 v11, 0x80000000, v11
	v_lshl_add_u32 v3, v3, 23, v12
	v_or3_b32 v2, v11, v3, v2
	v_lshrrev_b32_e32 v3, 16, v2
.LBB882_745:
	s_or_b64 exec, exec, s[12:13]
.LBB882_746:
	s_or_b64 exec, exec, s[10:11]
.LBB882_747:
	s_or_b64 exec, exec, s[8:9]
	s_movk_i32 s7, 0xff
	v_and_b32_sdwa v13, v4, s7 dst_sel:DWORD dst_unused:UNUSED_PAD src0_sel:WORD_1 src1_sel:DWORD
	v_lshrrev_b32_e32 v2, 16, v4
	v_cmp_ne_u16_e32 vcc, 0, v13
	v_mov_b32_e32 v11, 0
	v_mov_b32_e32 v12, 0
	s_and_saveexec_b64 s[8:9], vcc
	s_cbranch_execz .LBB882_753
; %bb.748:
	s_movk_i32 s7, 0x80
	v_cmp_ne_u16_e32 vcc, s7, v13
	v_mov_b32_e32 v12, 0xffff8000
	s_and_saveexec_b64 s[10:11], vcc
	s_cbranch_execz .LBB882_752
; %bb.749:
	v_bfe_u32 v13, v4, 16, 7
	s_movk_i32 s7, 0x7f
	v_cmp_ne_u32_e32 vcc, s7, v13
	v_mov_b32_e32 v12, 0x7f80
	s_and_saveexec_b64 s[12:13], vcc
	s_cbranch_execz .LBB882_751
; %bb.750:
	v_and_b32_e32 v12, 7, v2
	v_ffbh_u32_e32 v14, v12
	v_min_u32_e32 v17, 32, v14
	v_subrev_u32_e32 v14, 28, v17
	v_lshlrev_b64 v[14:15], v14, v[2:3]
	v_lshrrev_b32_e32 v16, 3, v13
	v_sub_u32_e32 v2, 29, v17
	v_and_b32_e32 v14, 7, v14
	v_cmp_gt_u32_e32 vcc, 8, v13
	v_mov_b32_e32 v13, 24
	v_cndmask_b32_e32 v2, v16, v2, vcc
	v_cndmask_b32_e32 v12, v12, v14, vcc
	v_lshlrev_b32_sdwa v13, v13, v4 dst_sel:DWORD dst_unused:UNUSED_PAD src0_sel:DWORD src1_sel:WORD_1
	v_bfrev_b32_e32 v14, 60
	v_lshlrev_b32_e32 v12, 20, v12
	v_and_b32_e32 v13, 0x80000000, v13
	v_lshl_add_u32 v2, v2, 23, v14
	v_or3_b32 v2, v13, v2, v12
	v_lshrrev_b32_e32 v12, 16, v2
.LBB882_751:
	s_or_b64 exec, exec, s[12:13]
.LBB882_752:
	s_or_b64 exec, exec, s[10:11]
.LBB882_753:
	s_or_b64 exec, exec, s[8:9]
	s_mov_b32 s7, 0xffffff
	v_cmp_lt_u32_e32 vcc, s7, v4
	s_and_saveexec_b64 s[8:9], vcc
	s_cbranch_execz .LBB882_759
; %bb.754:
	v_lshrrev_b32_e32 v2, 24, v4
	s_movk_i32 s7, 0x80
	v_cmp_ne_u32_e32 vcc, s7, v2
	v_mov_b32_e32 v11, 0xffff8000
	s_and_saveexec_b64 s[10:11], vcc
	s_cbranch_execz .LBB882_758
; %bb.755:
	v_bfe_u32 v4, v4, 24, 7
	s_movk_i32 s7, 0x7f
	v_cmp_ne_u32_e32 vcc, s7, v4
	v_mov_b32_e32 v11, 0x7f80
	s_and_saveexec_b64 s[12:13], vcc
	s_cbranch_execz .LBB882_757
; %bb.756:
	v_and_b32_e32 v11, 7, v2
	v_ffbh_u32_e32 v14, v11
	v_min_u32_e32 v16, 32, v14
	v_subrev_u32_e32 v14, 28, v16
	v_lshlrev_b64 v[14:15], v14, v[2:3]
	v_lshrrev_b32_e32 v13, 3, v4
	v_sub_u32_e32 v15, 29, v16
	v_and_b32_e32 v14, 7, v14
	v_cmp_gt_u32_e32 vcc, 8, v4
	v_cndmask_b32_e32 v4, v13, v15, vcc
	v_cndmask_b32_e32 v11, v11, v14, vcc
	v_lshlrev_b32_e32 v2, 24, v2
	v_bfrev_b32_e32 v13, 60
	v_lshlrev_b32_e32 v11, 20, v11
	v_and_b32_e32 v2, 0x80000000, v2
	v_lshl_add_u32 v4, v4, 23, v13
	v_or3_b32 v2, v2, v4, v11
	v_lshrrev_b32_e32 v11, 16, v2
.LBB882_757:
	s_or_b64 exec, exec, s[12:13]
.LBB882_758:
	s_or_b64 exec, exec, s[10:11]
.LBB882_759:
	s_or_b64 exec, exec, s[8:9]
	v_mov_b32_e32 v4, 0
	v_cmp_ne_u16_sdwa s[10:11], v5, v4 src0_sel:BYTE_0 src1_sel:DWORD
	v_mov_b32_e32 v13, 0
	s_and_saveexec_b64 s[8:9], s[10:11]
	s_cbranch_execz .LBB882_765
; %bb.760:
	s_movk_i32 s7, 0x80
	v_cmp_ne_u16_sdwa s[12:13], v5, s7 src0_sel:BYTE_0 src1_sel:DWORD
	v_mov_b32_e32 v13, 0xffff8000
	s_and_saveexec_b64 s[10:11], s[12:13]
	s_cbranch_execz .LBB882_764
; %bb.761:
	s_movk_i32 s7, 0x7f
	v_and_b32_e32 v2, 0x7f, v5
	v_cmp_ne_u32_e32 vcc, s7, v2
	v_mov_b32_e32 v13, 0x7f80
	s_and_saveexec_b64 s[12:13], vcc
	s_cbranch_execz .LBB882_763
; %bb.762:
	v_and_b32_e32 v13, 7, v5
	v_ffbh_u32_e32 v15, v13
	v_min_u32_e32 v17, 32, v15
	v_mov_b32_e32 v14, v5
	v_subrev_u32_e32 v15, 28, v17
	v_lshlrev_b64 v[14:15], v15, v[14:15]
	v_lshrrev_b32_e32 v16, 3, v2
	v_sub_u32_e32 v15, 29, v17
	v_and_b32_e32 v14, 7, v14
	v_cmp_gt_u32_e32 vcc, 8, v2
	v_cndmask_b32_e32 v2, v16, v15, vcc
	v_cndmask_b32_e32 v13, v13, v14, vcc
	v_lshlrev_b32_e32 v14, 24, v5
	v_bfrev_b32_e32 v15, 60
	v_lshlrev_b32_e32 v13, 20, v13
	v_and_b32_e32 v14, 0x80000000, v14
	v_lshl_add_u32 v2, v2, 23, v15
	v_or3_b32 v2, v14, v2, v13
	v_lshrrev_b32_e32 v13, 16, v2
.LBB882_763:
	s_or_b64 exec, exec, s[12:13]
.LBB882_764:
	s_or_b64 exec, exec, s[10:11]
.LBB882_765:
	s_or_b64 exec, exec, s[8:9]
	v_lshrrev_b16_e32 v2, 8, v5
	v_cmp_ne_u16_e32 vcc, 0, v2
	s_and_saveexec_b64 s[8:9], vcc
	s_cbranch_execz .LBB882_771
; %bb.766:
	s_movk_i32 s7, 0x80
	v_cmp_ne_u16_e32 vcc, s7, v2
	v_mov_b32_e32 v4, 0xffff8000
	s_and_saveexec_b64 s[10:11], vcc
	s_cbranch_execz .LBB882_770
; %bb.767:
	s_movk_i32 s7, 0x7f
	v_and_b32_e32 v14, 0x7f, v2
	v_cmp_ne_u32_e32 vcc, s7, v14
	v_mov_b32_e32 v4, 0x7f80
	s_and_saveexec_b64 s[12:13], vcc
	s_cbranch_execz .LBB882_769
; %bb.768:
	v_and_b32_e32 v4, 7, v2
	v_ffbh_u32_e32 v16, v4
	v_min_u32_e32 v18, 32, v16
	v_subrev_u32_e32 v16, 28, v18
	v_lshlrev_b64 v[16:17], v16, v[2:3]
	v_lshrrev_b32_e32 v15, 3, v14
	v_sub_u32_e32 v2, 29, v18
	v_and_b32_e32 v16, 7, v16
	v_cmp_gt_u32_e32 vcc, 8, v14
	v_cndmask_b32_e32 v2, v15, v2, vcc
	v_cndmask_b32_e32 v4, v4, v16, vcc
	v_lshlrev_b32_e32 v14, 16, v5
	v_bfrev_b32_e32 v15, 60
	v_lshlrev_b32_e32 v4, 20, v4
	v_and_b32_e32 v14, 0x80000000, v14
	v_lshl_add_u32 v2, v2, 23, v15
	v_or3_b32 v2, v14, v2, v4
	v_lshrrev_b32_e32 v4, 16, v2
.LBB882_769:
	s_or_b64 exec, exec, s[12:13]
.LBB882_770:
	s_or_b64 exec, exec, s[10:11]
.LBB882_771:
	s_or_b64 exec, exec, s[8:9]
	s_movk_i32 s7, 0xff
	v_and_b32_sdwa v16, v5, s7 dst_sel:DWORD dst_unused:UNUSED_PAD src0_sel:WORD_1 src1_sel:DWORD
	v_lshrrev_b32_e32 v2, 16, v5
	v_cmp_ne_u16_e32 vcc, 0, v16
	v_mov_b32_e32 v14, 0
	v_mov_b32_e32 v15, 0
	s_and_saveexec_b64 s[8:9], vcc
	s_cbranch_execz .LBB882_777
; %bb.772:
	s_movk_i32 s7, 0x80
	v_cmp_ne_u16_e32 vcc, s7, v16
	v_mov_b32_e32 v15, 0xffff8000
	s_and_saveexec_b64 s[10:11], vcc
	s_cbranch_execz .LBB882_776
; %bb.773:
	v_bfe_u32 v16, v5, 16, 7
	s_movk_i32 s7, 0x7f
	v_cmp_ne_u32_e32 vcc, s7, v16
	v_mov_b32_e32 v15, 0x7f80
	s_and_saveexec_b64 s[12:13], vcc
	s_cbranch_execz .LBB882_775
; %bb.774:
	v_and_b32_e32 v15, 7, v2
	v_ffbh_u32_e32 v18, v15
	v_min_u32_e32 v20, 32, v18
	v_subrev_u32_e32 v18, 28, v20
	v_lshlrev_b64 v[18:19], v18, v[2:3]
	v_lshrrev_b32_e32 v17, 3, v16
	v_sub_u32_e32 v2, 29, v20
	v_and_b32_e32 v18, 7, v18
	v_cmp_gt_u32_e32 vcc, 8, v16
	v_mov_b32_e32 v16, 24
	v_cndmask_b32_e32 v2, v17, v2, vcc
	v_cndmask_b32_e32 v15, v15, v18, vcc
	v_lshlrev_b32_sdwa v16, v16, v5 dst_sel:DWORD dst_unused:UNUSED_PAD src0_sel:DWORD src1_sel:WORD_1
	v_bfrev_b32_e32 v17, 60
	v_lshlrev_b32_e32 v15, 20, v15
	v_and_b32_e32 v16, 0x80000000, v16
	v_lshl_add_u32 v2, v2, 23, v17
	v_or3_b32 v2, v16, v2, v15
	v_lshrrev_b32_e32 v15, 16, v2
.LBB882_775:
	s_or_b64 exec, exec, s[12:13]
.LBB882_776:
	s_or_b64 exec, exec, s[10:11]
.LBB882_777:
	s_or_b64 exec, exec, s[8:9]
	s_mov_b32 s7, 0xffffff
	v_cmp_lt_u32_e32 vcc, s7, v5
	s_and_saveexec_b64 s[8:9], vcc
	s_cbranch_execz .LBB882_783
; %bb.778:
	v_lshrrev_b32_e32 v2, 24, v5
	s_movk_i32 s7, 0x80
	v_cmp_ne_u32_e32 vcc, s7, v2
	v_mov_b32_e32 v14, 0xffff8000
	s_and_saveexec_b64 s[10:11], vcc
	s_cbranch_execz .LBB882_782
; %bb.779:
	v_bfe_u32 v5, v5, 24, 7
	s_movk_i32 s7, 0x7f
	v_cmp_ne_u32_e32 vcc, s7, v5
	v_mov_b32_e32 v14, 0x7f80
	s_and_saveexec_b64 s[12:13], vcc
	s_cbranch_execz .LBB882_781
; %bb.780:
	v_and_b32_e32 v14, 7, v2
	v_ffbh_u32_e32 v16, v14
	v_min_u32_e32 v19, 32, v16
	v_subrev_u32_e32 v16, 28, v19
	v_lshlrev_b64 v[16:17], v16, v[2:3]
	v_lshrrev_b32_e32 v18, 3, v5
	v_sub_u32_e32 v17, 29, v19
	v_and_b32_e32 v16, 7, v16
	v_cmp_gt_u32_e32 vcc, 8, v5
	v_cndmask_b32_e32 v5, v18, v17, vcc
	v_cndmask_b32_e32 v14, v14, v16, vcc
	v_lshlrev_b32_e32 v2, 24, v2
	v_bfrev_b32_e32 v16, 60
	v_lshlrev_b32_e32 v14, 20, v14
	v_and_b32_e32 v2, 0x80000000, v2
	v_lshl_add_u32 v5, v5, 23, v16
	v_or3_b32 v2, v2, v5, v14
	v_lshrrev_b32_e32 v14, 16, v2
.LBB882_781:
	s_or_b64 exec, exec, s[12:13]
.LBB882_782:
	s_or_b64 exec, exec, s[10:11]
.LBB882_783:
	s_or_b64 exec, exec, s[8:9]
	s_mov_b32 s7, 0x5040100
	v_perm_b32 v11, v11, v12, s7
	ds_read_b128 v[16:19], v22 offset:6160
	v_perm_b32 v10, v3, v10, s7
	v_perm_b32 v3, v14, v15, s7
	;; [unrolled: 1-line block ×3, first 2 shown]
	s_waitcnt lgkmcnt(0)
	v_mfma_f32_16x16x16bf16_1k v[6:9], v[10:11], v[16:17], v[6:9]
	s_load_dword s8, s[42:43], 0x0
	s_movk_i32 s9, 0x7fff
	s_mov_b32 s7, 0x7060302
	v_cmp_gt_u32_e32 vcc, 64, v0
	s_and_b64 s[0:1], vcc, s[0:1]
	s_waitcnt lgkmcnt(0)
	s_barrier
	v_mfma_f32_16x16x16bf16_1k v[2:5], v[2:3], v[18:19], v[6:9]
	s_nop 7
	s_nop 2
	v_pk_mul_f32 v[4:5], v[4:5], s[8:9] op_sel_hi:[1,0]
	v_pk_mul_f32 v[2:3], v[2:3], s[8:9] op_sel_hi:[1,0]
	v_bfe_u32 v6, v3, 16, 1
	v_bfe_u32 v7, v2, 16, 1
	v_bfe_u32 v8, v5, 16, 1
	v_bfe_u32 v9, v4, 16, 1
	v_add3_u32 v2, v2, v7, s9
	v_add3_u32 v3, v3, v6, s9
	;; [unrolled: 1-line block ×4, first 2 shown]
	v_perm_b32 v2, v3, v2, s7
	v_perm_b32 v3, v5, v4, s7
	ds_write_b64 v28, v[2:3]
	s_waitcnt lgkmcnt(0)
	s_barrier
	s_and_saveexec_b64 s[8:9], s[0:1]
	s_cbranch_execz .LBB882_786
; %bb.784:
	s_load_dwordx2 s[4:5], s[4:5], 0x68
	s_lshl_b32 s0, s44, 6
	s_mul_i32 s1, s14, s6
	s_mul_hi_u32 s9, s1, s0
	s_mul_i32 s8, s1, s0
	s_lshl_b64 s[8:9], s[8:9], 1
	s_waitcnt lgkmcnt(0)
	s_add_u32 s1, s4, s8
	v_lshlrev_b32_e32 v0, 10, v0
	s_mov_b32 s7, 0
	s_addc_u32 s8, s5, s9
	s_lshl_b32 s6, s24, 6
	v_and_b32_e32 v0, 0x1800, v0
	v_lshlrev_b32_e32 v2, 5, v1
	v_and_b32_e32 v3, 16, v47
	s_lshl_b64 s[4:5], s[6:7], 1
	v_or3_b32 v0, v0, v2, v3
	s_add_u32 s1, s1, s4
	s_addc_u32 s4, s8, s5
	ds_read_b128 v[4:7], v0
	v_add_u32_e32 v8, s25, v1
	v_mov_b32_e32 v3, s4
	v_add_co_u32_e32 v2, vcc, s1, v46
	v_mad_u64_u32 v[8:9], s[4:5], v8, s0, 0
	v_addc_co_u32_e32 v3, vcc, 0, v3, vcc
	v_lshlrev_b64 v[8:9], 1, v[8:9]
	v_add_co_u32_e32 v8, vcc, v2, v8
	v_addc_co_u32_e32 v9, vcc, v3, v9, vcc
	s_waitcnt lgkmcnt(0)
	global_store_dwordx4 v[8:9], v[4:7], off
	s_and_b64 exec, exec, s[2:3]
	s_cbranch_execz .LBB882_786
; %bb.785:
	ds_read_b128 v[4:7], v0 offset:128
	v_add3_u32 v0, s25, v1, 4
	v_mad_u64_u32 v[0:1], s[0:1], v0, s0, 0
	v_lshlrev_b64 v[0:1], 1, v[0:1]
	v_add_co_u32_e32 v0, vcc, v2, v0
	v_addc_co_u32_e32 v1, vcc, v3, v1, vcc
	s_waitcnt lgkmcnt(0)
	global_store_dwordx4 v[0:1], v[4:7], off
.LBB882_786:
	s_endpgm
	.section	.rodata,"a",@progbits
	.p2align	6, 0x0
	.amdhsa_kernel _Z39paged_attention_ll4mi_QKV_mfma16_kernelI14__hip_bfloat16hLN4vllm18Fp8KVCacheDataTypeE1ES0_Li32ELi64ELi256ELb0ELi5EL8MFMAType0EEvPKT_PKT0_S9_ifPKiSB_SB_iPKfiiiPfSE_PS4_PT2_iSD_SD_
		.amdhsa_group_segment_fixed_size 8192
		.amdhsa_private_segment_fixed_size 0
		.amdhsa_kernarg_size 400
		.amdhsa_user_sgpr_count 6
		.amdhsa_user_sgpr_private_segment_buffer 1
		.amdhsa_user_sgpr_dispatch_ptr 0
		.amdhsa_user_sgpr_queue_ptr 0
		.amdhsa_user_sgpr_kernarg_segment_ptr 1
		.amdhsa_user_sgpr_dispatch_id 0
		.amdhsa_user_sgpr_flat_scratch_init 0
		.amdhsa_user_sgpr_kernarg_preload_length 0
		.amdhsa_user_sgpr_kernarg_preload_offset 0
		.amdhsa_user_sgpr_private_segment_size 0
		.amdhsa_uses_dynamic_stack 0
		.amdhsa_system_sgpr_private_segment_wavefront_offset 0
		.amdhsa_system_sgpr_workgroup_id_x 1
		.amdhsa_system_sgpr_workgroup_id_y 1
		.amdhsa_system_sgpr_workgroup_id_z 1
		.amdhsa_system_sgpr_workgroup_info 0
		.amdhsa_system_vgpr_workitem_id 0
		.amdhsa_next_free_vgpr 62
		.amdhsa_next_free_sgpr 47
		.amdhsa_accum_offset 64
		.amdhsa_reserve_vcc 1
		.amdhsa_reserve_flat_scratch 0
		.amdhsa_float_round_mode_32 0
		.amdhsa_float_round_mode_16_64 0
		.amdhsa_float_denorm_mode_32 3
		.amdhsa_float_denorm_mode_16_64 3
		.amdhsa_dx10_clamp 1
		.amdhsa_ieee_mode 1
		.amdhsa_fp16_overflow 0
		.amdhsa_tg_split 0
		.amdhsa_exception_fp_ieee_invalid_op 0
		.amdhsa_exception_fp_denorm_src 0
		.amdhsa_exception_fp_ieee_div_zero 0
		.amdhsa_exception_fp_ieee_overflow 0
		.amdhsa_exception_fp_ieee_underflow 0
		.amdhsa_exception_fp_ieee_inexact 0
		.amdhsa_exception_int_div_zero 0
	.end_amdhsa_kernel
	.section	.text._Z39paged_attention_ll4mi_QKV_mfma16_kernelI14__hip_bfloat16hLN4vllm18Fp8KVCacheDataTypeE1ES0_Li32ELi64ELi256ELb0ELi5EL8MFMAType0EEvPKT_PKT0_S9_ifPKiSB_SB_iPKfiiiPfSE_PS4_PT2_iSD_SD_,"axG",@progbits,_Z39paged_attention_ll4mi_QKV_mfma16_kernelI14__hip_bfloat16hLN4vllm18Fp8KVCacheDataTypeE1ES0_Li32ELi64ELi256ELb0ELi5EL8MFMAType0EEvPKT_PKT0_S9_ifPKiSB_SB_iPKfiiiPfSE_PS4_PT2_iSD_SD_,comdat
.Lfunc_end882:
	.size	_Z39paged_attention_ll4mi_QKV_mfma16_kernelI14__hip_bfloat16hLN4vllm18Fp8KVCacheDataTypeE1ES0_Li32ELi64ELi256ELb0ELi5EL8MFMAType0EEvPKT_PKT0_S9_ifPKiSB_SB_iPKfiiiPfSE_PS4_PT2_iSD_SD_, .Lfunc_end882-_Z39paged_attention_ll4mi_QKV_mfma16_kernelI14__hip_bfloat16hLN4vllm18Fp8KVCacheDataTypeE1ES0_Li32ELi64ELi256ELb0ELi5EL8MFMAType0EEvPKT_PKT0_S9_ifPKiSB_SB_iPKfiiiPfSE_PS4_PT2_iSD_SD_
                                        ; -- End function
	.section	.AMDGPU.csdata,"",@progbits
; Kernel info:
; codeLenInByte = 28384
; NumSgprs: 51
; NumVgprs: 62
; NumAgprs: 0
; TotalNumVgprs: 62
; ScratchSize: 0
; MemoryBound: 0
; FloatMode: 240
; IeeeMode: 1
; LDSByteSize: 8192 bytes/workgroup (compile time only)
; SGPRBlocks: 6
; VGPRBlocks: 7
; NumSGPRsForWavesPerEU: 51
; NumVGPRsForWavesPerEU: 62
; AccumOffset: 64
; Occupancy: 8
; WaveLimiterHint : 1
; COMPUTE_PGM_RSRC2:SCRATCH_EN: 0
; COMPUTE_PGM_RSRC2:USER_SGPR: 6
; COMPUTE_PGM_RSRC2:TRAP_HANDLER: 0
; COMPUTE_PGM_RSRC2:TGID_X_EN: 1
; COMPUTE_PGM_RSRC2:TGID_Y_EN: 1
; COMPUTE_PGM_RSRC2:TGID_Z_EN: 1
; COMPUTE_PGM_RSRC2:TIDIG_COMP_CNT: 0
; COMPUTE_PGM_RSRC3_GFX90A:ACCUM_OFFSET: 15
; COMPUTE_PGM_RSRC3_GFX90A:TG_SPLIT: 0
	.section	.text._Z39paged_attention_ll4mi_QKV_mfma16_kernelI14__hip_bfloat16hLN4vllm18Fp8KVCacheDataTypeE1ES0_Li32ELi64ELi256ELb0ELi6EL8MFMAType0EEvPKT_PKT0_S9_ifPKiSB_SB_iPKfiiiPfSE_PS4_PT2_iSD_SD_,"axG",@progbits,_Z39paged_attention_ll4mi_QKV_mfma16_kernelI14__hip_bfloat16hLN4vllm18Fp8KVCacheDataTypeE1ES0_Li32ELi64ELi256ELb0ELi6EL8MFMAType0EEvPKT_PKT0_S9_ifPKiSB_SB_iPKfiiiPfSE_PS4_PT2_iSD_SD_,comdat
	.protected	_Z39paged_attention_ll4mi_QKV_mfma16_kernelI14__hip_bfloat16hLN4vllm18Fp8KVCacheDataTypeE1ES0_Li32ELi64ELi256ELb0ELi6EL8MFMAType0EEvPKT_PKT0_S9_ifPKiSB_SB_iPKfiiiPfSE_PS4_PT2_iSD_SD_ ; -- Begin function _Z39paged_attention_ll4mi_QKV_mfma16_kernelI14__hip_bfloat16hLN4vllm18Fp8KVCacheDataTypeE1ES0_Li32ELi64ELi256ELb0ELi6EL8MFMAType0EEvPKT_PKT0_S9_ifPKiSB_SB_iPKfiiiPfSE_PS4_PT2_iSD_SD_
	.globl	_Z39paged_attention_ll4mi_QKV_mfma16_kernelI14__hip_bfloat16hLN4vllm18Fp8KVCacheDataTypeE1ES0_Li32ELi64ELi256ELb0ELi6EL8MFMAType0EEvPKT_PKT0_S9_ifPKiSB_SB_iPKfiiiPfSE_PS4_PT2_iSD_SD_
	.p2align	8
	.type	_Z39paged_attention_ll4mi_QKV_mfma16_kernelI14__hip_bfloat16hLN4vllm18Fp8KVCacheDataTypeE1ES0_Li32ELi64ELi256ELb0ELi6EL8MFMAType0EEvPKT_PKT0_S9_ifPKiSB_SB_iPKfiiiPfSE_PS4_PT2_iSD_SD_,@function
_Z39paged_attention_ll4mi_QKV_mfma16_kernelI14__hip_bfloat16hLN4vllm18Fp8KVCacheDataTypeE1ES0_Li32ELi64ELi256ELb0ELi6EL8MFMAType0EEvPKT_PKT0_S9_ifPKiSB_SB_iPKfiiiPfSE_PS4_PT2_iSD_SD_: ; @_Z39paged_attention_ll4mi_QKV_mfma16_kernelI14__hip_bfloat16hLN4vllm18Fp8KVCacheDataTypeE1ES0_Li32ELi64ELi256ELb0ELi6EL8MFMAType0EEvPKT_PKT0_S9_ifPKiSB_SB_iPKfiiiPfSE_PS4_PT2_iSD_SD_
; %bb.0:
	s_load_dwordx2 s[0:1], s[4:5], 0x30
	s_mov_b32 s24, s7
	s_mov_b64 s[10:11], 0
	s_waitcnt lgkmcnt(0)
	s_cmp_lg_u64 s[0:1], 0
	s_cselect_b64 s[2:3], -1, 0
	s_and_b64 vcc, exec, s[2:3]
	s_cbranch_vccz .LBB883_7
; %bb.1:
	s_add_i32 s12, s6, 1
	s_mov_b32 s13, 0
	s_lshl_b64 s[14:15], s[12:13], 2
	s_add_u32 s14, s0, s14
	s_mov_b32 s7, s13
	s_addc_u32 s15, s1, s15
	s_lshl_b64 s[12:13], s[6:7], 2
	s_add_u32 s12, s0, s12
	s_addc_u32 s13, s1, s13
	s_load_dword s9, s[14:15], 0x0
	s_load_dword s16, s[12:13], 0x0
	s_waitcnt lgkmcnt(0)
	s_sub_i32 s9, s9, s16
	s_cmp_eq_u32 s9, 1
	s_cselect_b64 s[12:13], -1, 0
	s_andn2_b64 vcc, exec, s[10:11]
	s_cbranch_vccnz .LBB883_3
.LBB883_2:
	s_mov_b32 s7, 0
	s_mov_b64 s[12:13], -1
.LBB883_3:
	s_andn2_b64 vcc, exec, s[12:13]
	s_cbranch_vccnz .LBB883_786
; %bb.4:
	s_load_dwordx2 s[12:13], s[4:5], 0x28
	s_lshl_b64 s[10:11], s[6:7], 2
	s_waitcnt lgkmcnt(0)
	s_add_u32 s12, s12, s10
	s_addc_u32 s13, s13, s11
	s_load_dword s33, s[12:13], 0x0
	s_lshl_b32 s20, s24, 8
	s_waitcnt lgkmcnt(0)
	s_cmp_ge_i32 s20, s33
	s_cbranch_scc1 .LBB883_786
; %bb.5:
	s_add_i32 s14, s33, 31
	s_load_dwordx2 s[12:13], s[4:5], 0x20
	s_load_dword s9, s[4:5], 0x38
	s_ashr_i32 s15, s14, 31
	v_and_b32_e32 v1, 0xcf, v0
	s_lshr_b32 s15, s15, 27
	v_add_u32_e32 v1, s20, v1
	s_add_i32 s14, s14, s15
	v_ashrrev_i32_e32 v2, 31, v1
	s_ashr_i32 s22, s14, 5
	v_lshrrev_b32_e32 v4, 27, v2
	s_add_i32 s22, s22, -1
	v_add_u32_e32 v2, v1, v4
	s_waitcnt lgkmcnt(0)
	s_mul_i32 s14, s6, s9
	s_mov_b32 s15, 0
	v_ashrrev_i32_e32 v2, 5, v2
	v_mov_b32_e32 v5, s22
	v_cmp_gt_i32_e32 vcc, s33, v1
	s_lshl_b64 s[14:15], s[14:15], 2
	v_cndmask_b32_e32 v2, v5, v2, vcc
	s_add_u32 s9, s12, s14
	v_ashrrev_i32_e32 v3, 31, v2
	s_addc_u32 s21, s13, s15
	v_lshlrev_b64 v[2:3], 2, v[2:3]
	v_mov_b32_e32 v7, s21
	v_add_co_u32_e32 v6, vcc, s9, v2
	v_or_b32_e32 v2, 16, v1
	v_addc_co_u32_e32 v7, vcc, v7, v3, vcc
	v_add_u32_e32 v3, v2, v4
	v_ashrrev_i32_e32 v3, 5, v3
	v_cmp_gt_i32_e32 vcc, s33, v2
	v_cndmask_b32_e32 v2, v5, v3, vcc
	v_ashrrev_i32_e32 v3, 31, v2
	v_lshlrev_b64 v[2:3], 2, v[2:3]
	v_mov_b32_e32 v9, s21
	v_add_co_u32_e32 v8, vcc, s9, v2
	v_or_b32_e32 v2, 32, v1
	v_addc_co_u32_e32 v9, vcc, v9, v3, vcc
	v_add_u32_e32 v3, v2, v4
	v_ashrrev_i32_e32 v3, 5, v3
	v_cmp_gt_i32_e32 vcc, s33, v2
	v_cndmask_b32_e32 v2, v5, v3, vcc
	v_ashrrev_i32_e32 v3, 31, v2
	;; [unrolled: 10-line block ×3, first 2 shown]
	v_lshlrev_b64 v[2:3], 2, v[2:3]
	v_mov_b32_e32 v1, s21
	v_add_co_u32_e32 v12, vcc, s9, v2
	v_addc_co_u32_e32 v13, vcc, v1, v3, vcc
	global_load_dword v5, v[6:7], off
	global_load_dword v4, v[8:9], off
	;; [unrolled: 1-line block ×4, first 2 shown]
	s_load_dwordx4 s[12:15], s[4:5], 0x8
	s_andn2_b64 vcc, exec, s[2:3]
	s_cbranch_vccnz .LBB883_8
; %bb.6:
	s_add_u32 s0, s0, s10
	s_addc_u32 s1, s1, s11
	s_load_dword s10, s[0:1], 0x0
	s_branch .LBB883_9
.LBB883_7:
	s_mov_b64 s[12:13], 0
	s_branch .LBB883_2
.LBB883_8:
	s_mov_b32 s10, s6
.LBB883_9:
	s_load_dwordx4 s[16:19], s[4:5], 0x48
	v_lshrrev_b32_e32 v50, 6, v0
	v_bfe_u32 v1, v0, 4, 2
	v_lshl_or_b32 v6, v50, 2, v1
	v_and_b32_e32 v49, 15, v0
	v_lshlrev_b32_e32 v7, 3, v49
	v_cmp_gt_u32_e32 vcc, 6, v6
	v_cmp_gt_u32_e64 s[0:1], 8, v49
	s_mul_i32 s25, s8, 6
	s_and_b64 s[26:27], s[0:1], vcc
	v_lshlrev_b32_e32 v46, 1, v7
	v_lshlrev_b32_e32 v47, 4, v0
	s_and_saveexec_b64 s[2:3], s[26:27]
	s_cbranch_execz .LBB883_11
; %bb.10:
	s_load_dwordx2 s[26:27], s[4:5], 0x0
	s_waitcnt lgkmcnt(0)
	s_ashr_i32 s11, s16, 31
	s_mul_hi_u32 s19, s10, s16
	s_mul_i32 s11, s10, s11
	s_add_i32 s11, s19, s11
	s_mul_i32 s10, s10, s16
	s_lshl_b64 s[10:11], s[10:11], 1
	v_add_lshl_u32 v8, v6, s25, 6
	s_add_u32 s10, s26, s10
	v_ashrrev_i32_e32 v9, 31, v8
	s_addc_u32 s11, s27, s11
	v_lshlrev_b64 v[8:9], 1, v[8:9]
	v_mov_b32_e32 v7, s11
	v_add_co_u32_e32 v8, vcc, s10, v8
	v_addc_co_u32_e32 v7, vcc, v7, v9, vcc
	v_add_co_u32_e32 v8, vcc, v8, v46
	v_addc_co_u32_e32 v9, vcc, 0, v7, vcc
	global_load_dwordx4 v[8:11], v[8:9], off
	v_lshlrev_b32_e32 v12, 8, v49
	v_lshlrev_b32_e32 v6, 5, v6
	v_and_b32_e32 v7, 16, v47
	v_and_b32_e32 v12, 0xe00, v12
	v_or3_b32 v6, v12, v6, v7
	s_waitcnt vmcnt(0)
	ds_write_b128 v6, v[8:11]
.LBB883_11:
	s_or_b64 exec, exec, s[2:3]
	s_waitcnt lgkmcnt(0)
	s_mul_i32 s8, s8, s18
	s_add_u32 s2, s12, s8
	s_addc_u32 s3, s13, 0
	v_and_b32_e32 v12, 48, v0
	s_ashr_i32 s10, s20, 31
	v_or_b32_e32 v13, s20, v12
	s_lshr_b32 s10, s10, 27
	v_add_u32_e32 v6, s10, v13
	v_ashrrev_i32_e32 v6, 5, v6
	v_mov_b32_e32 v14, s22
	v_cmp_gt_i32_e32 vcc, s33, v13
	v_cndmask_b32_e32 v6, v14, v6, vcc
	v_ashrrev_i32_e32 v7, 31, v6
	v_lshlrev_b64 v[6:7], 2, v[6:7]
	v_mov_b32_e32 v8, s21
	v_add_co_u32_e32 v6, vcc, s9, v6
	v_addc_co_u32_e32 v7, vcc, v8, v7, vcc
	v_or_b32_e32 v8, 64, v13
	v_add_u32_e32 v9, s10, v8
	v_ashrrev_i32_e32 v9, 5, v9
	v_cmp_gt_i32_e32 vcc, s33, v8
	v_cndmask_b32_e32 v8, v14, v9, vcc
	v_ashrrev_i32_e32 v9, 31, v8
	v_lshlrev_b64 v[8:9], 2, v[8:9]
	v_mov_b32_e32 v10, s21
	v_add_co_u32_e32 v8, vcc, s9, v8
	v_addc_co_u32_e32 v9, vcc, v10, v9, vcc
	v_or_b32_e32 v10, 0x80, v13
	v_add_u32_e32 v11, s10, v10
	v_ashrrev_i32_e32 v11, 5, v11
	v_cmp_gt_i32_e32 vcc, s33, v10
	v_cndmask_b32_e32 v10, v14, v11, vcc
	v_ashrrev_i32_e32 v11, 31, v10
	v_lshlrev_b64 v[10:11], 2, v[10:11]
	v_mov_b32_e32 v15, s21
	v_add_co_u32_e32 v10, vcc, s9, v10
	s_load_dwordx2 s[44:45], s[4:5], 0x94
	s_load_dwordx4 s[40:43], s[4:5], 0x80
	s_waitcnt lgkmcnt(0)
	s_barrier
	v_addc_co_u32_e32 v11, vcc, v15, v11, vcc
	global_load_dword v15, v[6:7], off
	global_load_dword v16, v[8:9], off
	global_load_dword v18, v[10:11], off
	v_or_b32_e32 v6, 0xc0, v13
	v_add_u32_e32 v7, s10, v6
	v_ashrrev_i32_e32 v7, 5, v7
	v_cmp_gt_i32_e32 vcc, s33, v6
	v_cndmask_b32_e32 v6, v14, v7, vcc
	v_ashrrev_i32_e32 v7, 31, v6
	v_lshlrev_b64 v[6:7], 2, v[6:7]
	v_mov_b32_e32 v8, s21
	v_add_co_u32_e32 v6, vcc, s9, v6
	v_addc_co_u32_e32 v7, vcc, v8, v7, vcc
	global_load_dword v20, v[6:7], off
	v_pk_mov_b32 v[6:7], s[2:3], s[2:3] op_sel:[0,1]
	s_waitcnt vmcnt(7)
	v_mad_i64_i32 v[8:9], s[2:3], v5, s17, v[6:7]
	v_lshlrev_b32_e32 v11, 4, v49
	v_add_co_u32_e32 v5, vcc, v8, v11
	v_lshlrev_b32_e32 v10, 5, v12
	v_addc_co_u32_e32 v9, vcc, 0, v9, vcc
	v_add_co_u32_e32 v8, vcc, v5, v10
	v_addc_co_u32_e32 v9, vcc, 0, v9, vcc
	s_waitcnt vmcnt(6)
	v_mad_i64_i32 v[4:5], s[2:3], v4, s17, v[6:7]
	v_or_b32_e32 v12, 0x100, v11
	v_add_co_u32_e32 v4, vcc, v4, v12
	v_addc_co_u32_e32 v5, vcc, 0, v5, vcc
	v_add_co_u32_e32 v4, vcc, v4, v10
	v_addc_co_u32_e32 v5, vcc, 0, v5, vcc
	global_load_dwordx4 v[30:33], v[8:9], off
	global_load_dwordx4 v[38:41], v[4:5], off
	s_waitcnt vmcnt(7)
	v_mad_i64_i32 v[4:5], s[2:3], v3, s17, v[6:7]
	v_add_co_u32_e32 v3, vcc, v4, v11
	v_addc_co_u32_e32 v5, vcc, 0, v5, vcc
	v_add_co_u32_e32 v4, vcc, v3, v10
	v_addc_co_u32_e32 v5, vcc, 0, v5, vcc
	s_waitcnt vmcnt(6)
	v_mad_i64_i32 v[2:3], s[2:3], v2, s17, v[6:7]
	v_add_co_u32_e32 v2, vcc, v2, v12
	v_addc_co_u32_e32 v3, vcc, 0, v3, vcc
	v_add_co_u32_e32 v2, vcc, v2, v10
	s_add_u32 s2, s14, s8
	v_addc_co_u32_e32 v3, vcc, 0, v3, vcc
	global_load_dwordx4 v[34:37], v[4:5], off
	global_load_dwordx4 v[22:25], v[2:3], off
	s_addc_u32 s3, s15, 0
	v_and_b32_e32 v2, 16, v0
	v_mov_b32_e32 v3, s3
	v_add_co_u32_e32 v2, vcc, s2, v2
	v_lshlrev_b32_e32 v48, 5, v49
	v_addc_co_u32_e32 v3, vcc, 0, v3, vcc
	v_lshl_or_b32 v4, v50, 9, v48
	v_add_co_u32_e32 v2, vcc, v2, v4
	v_addc_co_u32_e32 v3, vcc, 0, v3, vcc
	v_mov_b32_e32 v44, 0
	v_mov_b32_e32 v43, 0
	s_movk_i32 s8, 0x80
	s_waitcnt vmcnt(7)
	v_mad_i64_i32 v[4:5], s[2:3], v15, s17, v[2:3]
	s_waitcnt vmcnt(6)
	v_mad_i64_i32 v[6:7], s[2:3], v16, s17, v[2:3]
	s_waitcnt vmcnt(5)
	v_mad_i64_i32 v[18:19], s[2:3], v18, s17, v[2:3]
	global_load_dwordx4 v[14:17], v[4:5], off
	global_load_dwordx4 v[10:13], v[6:7], off
	s_waitcnt vmcnt(6)
	v_mad_i64_i32 v[20:21], s[2:3], v20, s17, v[2:3]
	global_load_dwordx4 v[6:9], v[18:19], off
	global_load_dwordx4 v[2:5], v[20:21], off
	v_mul_lo_u16_e32 v18, 43, v49
	v_mov_b32_e32 v19, 6
	v_mul_lo_u16_sdwa v18, v18, v19 dst_sel:DWORD dst_unused:UNUSED_PAD src0_sel:BYTE_1 src1_sel:DWORD
	v_sub_u16_e32 v18, v49, v18
	v_mov_b32_e32 v19, 5
	v_lshlrev_b32_sdwa v18, v19, v18 dst_sel:DWORD dst_unused:UNUSED_PAD src0_sel:DWORD src1_sel:BYTE_0
	v_lshl_add_u32 v18, v1, 9, v18
	ds_read_b128 v[26:29], v18
	ds_read_b128 v[18:21], v18 offset:16
	s_load_dword s12, s[40:41], 0x0
	s_waitcnt vmcnt(7)
	v_cmp_ne_u16_sdwa s[10:11], v30, v44 src0_sel:BYTE_0 src1_sel:DWORD
	s_and_saveexec_b64 s[2:3], s[10:11]
	s_cbranch_execz .LBB883_17
; %bb.12:
	v_cmp_ne_u16_sdwa s[10:11], v30, s8 src0_sel:BYTE_0 src1_sel:DWORD
	v_mov_b32_e32 v43, 0xffff8000
	s_and_saveexec_b64 s[8:9], s[10:11]
	s_cbranch_execz .LBB883_16
; %bb.13:
	s_movk_i32 s10, 0x7f
	v_and_b32_e32 v42, 0x7f, v30
	v_cmp_ne_u32_e32 vcc, s10, v42
	v_mov_b32_e32 v43, 0x7f80
	s_and_saveexec_b64 s[10:11], vcc
	s_cbranch_execz .LBB883_15
; %bb.14:
	v_and_b32_e32 v43, 7, v30
	v_ffbh_u32_e32 v51, v43
	v_min_u32_e32 v51, 32, v51
	v_subrev_u32_e32 v52, 28, v51
	v_lshlrev_b64 v[52:53], v52, v[30:31]
	v_lshrrev_b32_e32 v45, 3, v42
	v_sub_u32_e32 v51, 29, v51
	v_and_b32_e32 v52, 7, v52
	v_cmp_gt_u32_e32 vcc, 8, v42
	v_cndmask_b32_e32 v42, v45, v51, vcc
	v_cndmask_b32_e32 v43, v43, v52, vcc
	v_lshlrev_b32_e32 v45, 24, v30
	v_bfrev_b32_e32 v51, 60
	v_lshlrev_b32_e32 v43, 20, v43
	v_and_b32_e32 v45, 0x80000000, v45
	v_lshl_add_u32 v42, v42, 23, v51
	v_or3_b32 v42, v45, v42, v43
	v_lshrrev_b32_e32 v43, 16, v42
.LBB883_15:
	s_or_b64 exec, exec, s[10:11]
.LBB883_16:
	s_or_b64 exec, exec, s[8:9]
.LBB883_17:
	s_or_b64 exec, exec, s[2:3]
	v_lshrrev_b16_e32 v42, 8, v30
	v_cmp_ne_u16_e32 vcc, 0, v42
	s_and_saveexec_b64 s[2:3], vcc
	s_cbranch_execz .LBB883_23
; %bb.18:
	s_movk_i32 s8, 0x80
	v_cmp_ne_u16_e32 vcc, s8, v42
	v_mov_b32_e32 v44, 0xffff8000
	s_and_saveexec_b64 s[8:9], vcc
	s_cbranch_execz .LBB883_22
; %bb.19:
	s_movk_i32 s10, 0x7f
	v_and_b32_e32 v45, 0x7f, v42
	v_cmp_ne_u32_e32 vcc, s10, v45
	v_mov_b32_e32 v44, 0x7f80
	s_and_saveexec_b64 s[10:11], vcc
	s_cbranch_execz .LBB883_21
; %bb.20:
	v_and_b32_e32 v44, 7, v42
	v_ffbh_u32_e32 v52, v44
	v_min_u32_e32 v54, 32, v52
	v_subrev_u32_e32 v52, 28, v54
	v_lshlrev_b64 v[52:53], v52, v[42:43]
	v_lshrrev_b32_e32 v51, 3, v45
	v_sub_u32_e32 v42, 29, v54
	v_and_b32_e32 v52, 7, v52
	v_cmp_gt_u32_e32 vcc, 8, v45
	v_cndmask_b32_e32 v42, v51, v42, vcc
	v_cndmask_b32_e32 v44, v44, v52, vcc
	v_lshlrev_b32_e32 v45, 16, v30
	v_bfrev_b32_e32 v51, 60
	v_lshlrev_b32_e32 v44, 20, v44
	v_and_b32_e32 v45, 0x80000000, v45
	v_lshl_add_u32 v42, v42, 23, v51
	v_or3_b32 v42, v45, v42, v44
	v_lshrrev_b32_e32 v44, 16, v42
.LBB883_21:
	s_or_b64 exec, exec, s[10:11]
.LBB883_22:
	s_or_b64 exec, exec, s[8:9]
.LBB883_23:
	s_or_b64 exec, exec, s[2:3]
	s_movk_i32 s2, 0xff
	v_and_b32_sdwa v52, v30, s2 dst_sel:DWORD dst_unused:UNUSED_PAD src0_sel:WORD_1 src1_sel:DWORD
	v_lshrrev_b32_e32 v42, 16, v30
	v_cmp_ne_u16_e32 vcc, 0, v52
	v_mov_b32_e32 v45, 0
	v_mov_b32_e32 v51, 0
	s_and_saveexec_b64 s[2:3], vcc
	s_cbranch_execz .LBB883_29
; %bb.24:
	s_movk_i32 s8, 0x80
	v_cmp_ne_u16_e32 vcc, s8, v52
	v_mov_b32_e32 v51, 0xffff8000
	s_and_saveexec_b64 s[8:9], vcc
	s_cbranch_execz .LBB883_28
; %bb.25:
	v_bfe_u32 v52, v30, 16, 7
	s_movk_i32 s10, 0x7f
	v_cmp_ne_u32_e32 vcc, s10, v52
	v_mov_b32_e32 v51, 0x7f80
	s_and_saveexec_b64 s[10:11], vcc
	s_cbranch_execz .LBB883_27
; %bb.26:
	v_and_b32_e32 v51, 7, v42
	v_ffbh_u32_e32 v54, v51
	v_min_u32_e32 v56, 32, v54
	v_subrev_u32_e32 v54, 28, v56
	v_lshlrev_b64 v[54:55], v54, v[42:43]
	v_lshrrev_b32_e32 v53, 3, v52
	v_sub_u32_e32 v42, 29, v56
	v_and_b32_e32 v54, 7, v54
	v_cmp_gt_u32_e32 vcc, 8, v52
	v_mov_b32_e32 v52, 24
	v_cndmask_b32_e32 v42, v53, v42, vcc
	v_cndmask_b32_e32 v51, v51, v54, vcc
	v_lshlrev_b32_sdwa v52, v52, v30 dst_sel:DWORD dst_unused:UNUSED_PAD src0_sel:DWORD src1_sel:WORD_1
	v_bfrev_b32_e32 v53, 60
	v_lshlrev_b32_e32 v51, 20, v51
	v_and_b32_e32 v52, 0x80000000, v52
	v_lshl_add_u32 v42, v42, 23, v53
	v_or3_b32 v42, v52, v42, v51
	v_lshrrev_b32_e32 v51, 16, v42
.LBB883_27:
	s_or_b64 exec, exec, s[10:11]
.LBB883_28:
	s_or_b64 exec, exec, s[8:9]
.LBB883_29:
	s_or_b64 exec, exec, s[2:3]
	s_mov_b32 s2, 0xffffff
	v_cmp_lt_u32_e32 vcc, s2, v30
	s_and_saveexec_b64 s[2:3], vcc
	s_cbranch_execz .LBB883_35
; %bb.30:
	v_lshrrev_b32_e32 v42, 24, v30
	s_movk_i32 s8, 0x80
	v_cmp_ne_u32_e32 vcc, s8, v42
	v_mov_b32_e32 v45, 0xffff8000
	s_and_saveexec_b64 s[8:9], vcc
	s_cbranch_execz .LBB883_34
; %bb.31:
	v_bfe_u32 v30, v30, 24, 7
	s_movk_i32 s10, 0x7f
	v_cmp_ne_u32_e32 vcc, s10, v30
	v_mov_b32_e32 v45, 0x7f80
	s_and_saveexec_b64 s[10:11], vcc
	s_cbranch_execz .LBB883_33
; %bb.32:
	v_and_b32_e32 v45, 7, v42
	v_ffbh_u32_e32 v52, v45
	v_min_u32_e32 v55, 32, v52
	v_subrev_u32_e32 v52, 28, v55
	v_lshlrev_b64 v[52:53], v52, v[42:43]
	v_lshrrev_b32_e32 v54, 3, v30
	v_sub_u32_e32 v53, 29, v55
	v_and_b32_e32 v52, 7, v52
	v_cmp_gt_u32_e32 vcc, 8, v30
	v_cndmask_b32_e32 v30, v54, v53, vcc
	v_cndmask_b32_e32 v45, v45, v52, vcc
	v_lshlrev_b32_e32 v42, 24, v42
	v_bfrev_b32_e32 v52, 60
	v_lshlrev_b32_e32 v45, 20, v45
	v_and_b32_e32 v42, 0x80000000, v42
	v_lshl_add_u32 v30, v30, 23, v52
	v_or3_b32 v30, v42, v30, v45
	v_lshrrev_b32_e32 v45, 16, v30
.LBB883_33:
	s_or_b64 exec, exec, s[10:11]
.LBB883_34:
	s_or_b64 exec, exec, s[8:9]
.LBB883_35:
	s_or_b64 exec, exec, s[2:3]
	v_mov_b32_e32 v42, 0
	v_cmp_ne_u16_sdwa s[8:9], v31, v42 src0_sel:BYTE_0 src1_sel:DWORD
	v_mov_b32_e32 v52, 0
	s_and_saveexec_b64 s[2:3], s[8:9]
	s_cbranch_execz .LBB883_41
; %bb.36:
	s_movk_i32 s8, 0x80
	v_cmp_ne_u16_sdwa s[10:11], v31, s8 src0_sel:BYTE_0 src1_sel:DWORD
	v_mov_b32_e32 v52, 0xffff8000
	s_and_saveexec_b64 s[8:9], s[10:11]
	s_cbranch_execz .LBB883_40
; %bb.37:
	s_movk_i32 s10, 0x7f
	v_and_b32_e32 v30, 0x7f, v31
	v_cmp_ne_u32_e32 vcc, s10, v30
	v_mov_b32_e32 v52, 0x7f80
	s_and_saveexec_b64 s[10:11], vcc
	s_cbranch_execz .LBB883_39
; %bb.38:
	v_and_b32_e32 v54, 7, v31
	v_ffbh_u32_e32 v53, v54
	v_min_u32_e32 v56, 32, v53
	v_mov_b32_e32 v52, v31
	v_subrev_u32_e32 v53, 28, v56
	v_lshlrev_b64 v[52:53], v53, v[52:53]
	v_lshrrev_b32_e32 v55, 3, v30
	v_sub_u32_e32 v53, 29, v56
	v_and_b32_e32 v52, 7, v52
	v_cmp_gt_u32_e32 vcc, 8, v30
	v_cndmask_b32_e32 v30, v55, v53, vcc
	v_cndmask_b32_e32 v52, v54, v52, vcc
	v_lshlrev_b32_e32 v53, 24, v31
	v_bfrev_b32_e32 v54, 60
	v_lshlrev_b32_e32 v52, 20, v52
	v_and_b32_e32 v53, 0x80000000, v53
	v_lshl_add_u32 v30, v30, 23, v54
	v_or3_b32 v30, v53, v30, v52
	v_lshrrev_b32_e32 v52, 16, v30
.LBB883_39:
	s_or_b64 exec, exec, s[10:11]
.LBB883_40:
	s_or_b64 exec, exec, s[8:9]
.LBB883_41:
	s_or_b64 exec, exec, s[2:3]
	v_lshrrev_b16_e32 v30, 8, v31
	v_cmp_ne_u16_e32 vcc, 0, v30
	s_and_saveexec_b64 s[2:3], vcc
	s_cbranch_execz .LBB883_47
; %bb.42:
	s_movk_i32 s8, 0x80
	v_cmp_ne_u16_e32 vcc, s8, v30
	v_mov_b32_e32 v42, 0xffff8000
	s_and_saveexec_b64 s[8:9], vcc
	s_cbranch_execz .LBB883_46
; %bb.43:
	s_movk_i32 s10, 0x7f
	v_and_b32_e32 v53, 0x7f, v30
	v_cmp_ne_u32_e32 vcc, s10, v53
	v_mov_b32_e32 v42, 0x7f80
	s_and_saveexec_b64 s[10:11], vcc
	s_cbranch_execz .LBB883_45
; %bb.44:
	v_and_b32_e32 v42, 7, v30
	v_ffbh_u32_e32 v54, v42
	v_min_u32_e32 v57, 32, v54
	v_subrev_u32_e32 v54, 28, v57
	v_lshlrev_b64 v[54:55], v54, v[30:31]
	v_lshrrev_b32_e32 v56, 3, v53
	v_sub_u32_e32 v30, 29, v57
	v_and_b32_e32 v54, 7, v54
	v_cmp_gt_u32_e32 vcc, 8, v53
	v_cndmask_b32_e32 v30, v56, v30, vcc
	v_cndmask_b32_e32 v42, v42, v54, vcc
	v_lshlrev_b32_e32 v53, 16, v31
	v_bfrev_b32_e32 v54, 60
	v_lshlrev_b32_e32 v42, 20, v42
	v_and_b32_e32 v53, 0x80000000, v53
	v_lshl_add_u32 v30, v30, 23, v54
	v_or3_b32 v30, v53, v30, v42
	v_lshrrev_b32_e32 v42, 16, v30
.LBB883_45:
	s_or_b64 exec, exec, s[10:11]
.LBB883_46:
	s_or_b64 exec, exec, s[8:9]
.LBB883_47:
	s_or_b64 exec, exec, s[2:3]
	s_movk_i32 s2, 0xff
	v_and_b32_sdwa v55, v31, s2 dst_sel:DWORD dst_unused:UNUSED_PAD src0_sel:WORD_1 src1_sel:DWORD
	v_lshrrev_b32_e32 v30, 16, v31
	v_cmp_ne_u16_e32 vcc, 0, v55
	v_mov_b32_e32 v53, 0
	v_mov_b32_e32 v54, 0
	s_and_saveexec_b64 s[2:3], vcc
	s_cbranch_execz .LBB883_53
; %bb.48:
	s_movk_i32 s8, 0x80
	v_cmp_ne_u16_e32 vcc, s8, v55
	v_mov_b32_e32 v54, 0xffff8000
	s_and_saveexec_b64 s[8:9], vcc
	s_cbranch_execz .LBB883_52
; %bb.49:
	v_bfe_u32 v55, v31, 16, 7
	s_movk_i32 s10, 0x7f
	v_cmp_ne_u32_e32 vcc, s10, v55
	v_mov_b32_e32 v54, 0x7f80
	s_and_saveexec_b64 s[10:11], vcc
	s_cbranch_execz .LBB883_51
; %bb.50:
	v_and_b32_e32 v54, 7, v30
	v_ffbh_u32_e32 v56, v54
	v_min_u32_e32 v59, 32, v56
	v_subrev_u32_e32 v56, 28, v59
	v_lshlrev_b64 v[56:57], v56, v[30:31]
	v_lshrrev_b32_e32 v58, 3, v55
	v_sub_u32_e32 v30, 29, v59
	v_and_b32_e32 v56, 7, v56
	v_cmp_gt_u32_e32 vcc, 8, v55
	v_mov_b32_e32 v55, 24
	v_cndmask_b32_e32 v30, v58, v30, vcc
	v_cndmask_b32_e32 v54, v54, v56, vcc
	v_lshlrev_b32_sdwa v55, v55, v31 dst_sel:DWORD dst_unused:UNUSED_PAD src0_sel:DWORD src1_sel:WORD_1
	v_bfrev_b32_e32 v56, 60
	v_lshlrev_b32_e32 v54, 20, v54
	v_and_b32_e32 v55, 0x80000000, v55
	v_lshl_add_u32 v30, v30, 23, v56
	v_or3_b32 v30, v55, v30, v54
	v_lshrrev_b32_e32 v54, 16, v30
.LBB883_51:
	s_or_b64 exec, exec, s[10:11]
.LBB883_52:
	s_or_b64 exec, exec, s[8:9]
.LBB883_53:
	s_or_b64 exec, exec, s[2:3]
	s_mov_b32 s2, 0xffffff
	v_cmp_lt_u32_e32 vcc, s2, v31
	s_and_saveexec_b64 s[2:3], vcc
	s_cbranch_execz .LBB883_59
; %bb.54:
	v_lshrrev_b32_e32 v30, 24, v31
	s_movk_i32 s8, 0x80
	v_cmp_ne_u32_e32 vcc, s8, v30
	v_mov_b32_e32 v53, 0xffff8000
	s_and_saveexec_b64 s[8:9], vcc
	s_cbranch_execz .LBB883_58
; %bb.55:
	v_bfe_u32 v31, v31, 24, 7
	s_movk_i32 s10, 0x7f
	v_cmp_ne_u32_e32 vcc, s10, v31
	v_mov_b32_e32 v53, 0x7f80
	s_and_saveexec_b64 s[10:11], vcc
	s_cbranch_execz .LBB883_57
; %bb.56:
	v_and_b32_e32 v53, 7, v30
	v_ffbh_u32_e32 v56, v53
	v_min_u32_e32 v58, 32, v56
	v_subrev_u32_e32 v56, 28, v58
	v_lshlrev_b64 v[56:57], v56, v[30:31]
	v_lshrrev_b32_e32 v55, 3, v31
	v_sub_u32_e32 v57, 29, v58
	v_and_b32_e32 v56, 7, v56
	v_cmp_gt_u32_e32 vcc, 8, v31
	v_cndmask_b32_e32 v31, v55, v57, vcc
	v_cndmask_b32_e32 v53, v53, v56, vcc
	v_lshlrev_b32_e32 v30, 24, v30
	v_bfrev_b32_e32 v55, 60
	v_lshlrev_b32_e32 v53, 20, v53
	v_and_b32_e32 v30, 0x80000000, v30
	v_lshl_add_u32 v31, v31, 23, v55
	v_or3_b32 v30, v30, v31, v53
	v_lshrrev_b32_e32 v53, 16, v30
.LBB883_57:
	s_or_b64 exec, exec, s[10:11]
.LBB883_58:
	s_or_b64 exec, exec, s[8:9]
.LBB883_59:
	s_or_b64 exec, exec, s[2:3]
	s_mov_b32 s2, 0x5040100
	v_perm_b32 v31, v45, v51, s2
	v_perm_b32 v30, v44, v43, s2
	;; [unrolled: 1-line block ×4, first 2 shown]
	v_mov_b32_e32 v51, 0
	s_waitcnt lgkmcnt(0)
	v_mfma_f32_16x16x16bf16_1k v[56:59], v[30:31], v[26:27], 0
	v_mov_b32_e32 v31, 0
	v_cmp_ne_u16_sdwa s[8:9], v32, v31 src0_sel:BYTE_0 src1_sel:DWORD
	v_mfma_f32_16x16x16bf16_1k v[42:45], v[42:43], v[28:29], v[56:59]
	s_and_saveexec_b64 s[2:3], s[8:9]
	s_cbranch_execz .LBB883_65
; %bb.60:
	s_movk_i32 s8, 0x80
	v_cmp_ne_u16_sdwa s[10:11], v32, s8 src0_sel:BYTE_0 src1_sel:DWORD
	v_mov_b32_e32 v51, 0xffff8000
	s_and_saveexec_b64 s[8:9], s[10:11]
	s_cbranch_execz .LBB883_64
; %bb.61:
	s_movk_i32 s10, 0x7f
	v_and_b32_e32 v30, 0x7f, v32
	v_cmp_ne_u32_e32 vcc, s10, v30
	v_mov_b32_e32 v51, 0x7f80
	s_and_saveexec_b64 s[10:11], vcc
	s_cbranch_execz .LBB883_63
; %bb.62:
	v_and_b32_e32 v51, 7, v32
	v_ffbh_u32_e32 v52, v51
	v_min_u32_e32 v55, 32, v52
	v_subrev_u32_e32 v52, 28, v55
	v_lshlrev_b64 v[52:53], v52, v[32:33]
	v_lshrrev_b32_e32 v54, 3, v30
	v_sub_u32_e32 v53, 29, v55
	v_and_b32_e32 v52, 7, v52
	v_cmp_gt_u32_e32 vcc, 8, v30
	v_cndmask_b32_e32 v30, v54, v53, vcc
	v_cndmask_b32_e32 v51, v51, v52, vcc
	v_lshlrev_b32_e32 v52, 24, v32
	v_bfrev_b32_e32 v53, 60
	v_lshlrev_b32_e32 v51, 20, v51
	v_and_b32_e32 v52, 0x80000000, v52
	v_lshl_add_u32 v30, v30, 23, v53
	v_or3_b32 v30, v52, v30, v51
	v_lshrrev_b32_e32 v51, 16, v30
.LBB883_63:
	s_or_b64 exec, exec, s[10:11]
.LBB883_64:
	s_or_b64 exec, exec, s[8:9]
.LBB883_65:
	s_or_b64 exec, exec, s[2:3]
	v_lshrrev_b16_e32 v30, 8, v32
	v_cmp_ne_u16_e32 vcc, 0, v30
	s_and_saveexec_b64 s[2:3], vcc
	s_cbranch_execz .LBB883_71
; %bb.66:
	s_movk_i32 s8, 0x80
	v_cmp_ne_u16_e32 vcc, s8, v30
	v_mov_b32_e32 v31, 0xffff8000
	s_and_saveexec_b64 s[8:9], vcc
	s_cbranch_execz .LBB883_70
; %bb.67:
	s_movk_i32 s10, 0x7f
	v_and_b32_e32 v52, 0x7f, v30
	v_cmp_ne_u32_e32 vcc, s10, v52
	v_mov_b32_e32 v31, 0x7f80
	s_and_saveexec_b64 s[10:11], vcc
	s_cbranch_execz .LBB883_69
; %bb.68:
	v_and_b32_e32 v53, 7, v30
	v_ffbh_u32_e32 v31, v53
	v_min_u32_e32 v55, 32, v31
	v_subrev_u32_e32 v31, 28, v55
	v_lshlrev_b64 v[30:31], v31, v[30:31]
	v_lshrrev_b32_e32 v54, 3, v52
	v_sub_u32_e32 v31, 29, v55
	v_and_b32_e32 v30, 7, v30
	v_cmp_gt_u32_e32 vcc, 8, v52
	v_cndmask_b32_e32 v31, v54, v31, vcc
	v_cndmask_b32_e32 v30, v53, v30, vcc
	v_lshlrev_b32_e32 v52, 16, v32
	v_bfrev_b32_e32 v53, 60
	v_lshlrev_b32_e32 v30, 20, v30
	v_and_b32_e32 v52, 0x80000000, v52
	v_lshl_add_u32 v31, v31, 23, v53
	v_or3_b32 v30, v52, v31, v30
	v_lshrrev_b32_e32 v31, 16, v30
.LBB883_69:
	s_or_b64 exec, exec, s[10:11]
.LBB883_70:
	s_or_b64 exec, exec, s[8:9]
.LBB883_71:
	s_or_b64 exec, exec, s[2:3]
	s_movk_i32 s2, 0xff
	v_and_b32_sdwa v54, v32, s2 dst_sel:DWORD dst_unused:UNUSED_PAD src0_sel:WORD_1 src1_sel:DWORD
	v_lshrrev_b32_e32 v30, 16, v32
	v_cmp_ne_u16_e32 vcc, 0, v54
	v_mov_b32_e32 v52, 0
	v_mov_b32_e32 v53, 0
	s_and_saveexec_b64 s[2:3], vcc
	s_cbranch_execz .LBB883_77
; %bb.72:
	s_movk_i32 s8, 0x80
	v_cmp_ne_u16_e32 vcc, s8, v54
	v_mov_b32_e32 v53, 0xffff8000
	s_and_saveexec_b64 s[8:9], vcc
	s_cbranch_execz .LBB883_76
; %bb.73:
	v_bfe_u32 v54, v32, 16, 7
	s_movk_i32 s10, 0x7f
	v_cmp_ne_u32_e32 vcc, s10, v54
	v_mov_b32_e32 v53, 0x7f80
	s_and_saveexec_b64 s[10:11], vcc
	s_cbranch_execz .LBB883_75
; %bb.74:
	v_and_b32_e32 v53, 7, v30
	v_ffbh_u32_e32 v56, v53
	v_min_u32_e32 v58, 32, v56
	v_subrev_u32_e32 v56, 28, v58
	v_lshlrev_b64 v[56:57], v56, v[30:31]
	v_lshrrev_b32_e32 v55, 3, v54
	v_sub_u32_e32 v30, 29, v58
	v_and_b32_e32 v56, 7, v56
	v_cmp_gt_u32_e32 vcc, 8, v54
	v_mov_b32_e32 v54, 24
	v_cndmask_b32_e32 v30, v55, v30, vcc
	v_cndmask_b32_e32 v53, v53, v56, vcc
	v_lshlrev_b32_sdwa v54, v54, v32 dst_sel:DWORD dst_unused:UNUSED_PAD src0_sel:DWORD src1_sel:WORD_1
	v_bfrev_b32_e32 v55, 60
	v_lshlrev_b32_e32 v53, 20, v53
	v_and_b32_e32 v54, 0x80000000, v54
	v_lshl_add_u32 v30, v30, 23, v55
	v_or3_b32 v30, v54, v30, v53
	v_lshrrev_b32_e32 v53, 16, v30
.LBB883_75:
	s_or_b64 exec, exec, s[10:11]
.LBB883_76:
	s_or_b64 exec, exec, s[8:9]
.LBB883_77:
	s_or_b64 exec, exec, s[2:3]
	s_mov_b32 s2, 0xffffff
	v_cmp_lt_u32_e32 vcc, s2, v32
	s_and_saveexec_b64 s[2:3], vcc
	s_cbranch_execz .LBB883_83
; %bb.78:
	v_lshrrev_b32_e32 v30, 24, v32
	s_movk_i32 s8, 0x80
	v_cmp_ne_u32_e32 vcc, s8, v30
	v_mov_b32_e32 v52, 0xffff8000
	s_and_saveexec_b64 s[8:9], vcc
	s_cbranch_execz .LBB883_82
; %bb.79:
	v_bfe_u32 v32, v32, 24, 7
	s_movk_i32 s10, 0x7f
	v_cmp_ne_u32_e32 vcc, s10, v32
	v_mov_b32_e32 v52, 0x7f80
	s_and_saveexec_b64 s[10:11], vcc
	s_cbranch_execz .LBB883_81
; %bb.80:
	v_and_b32_e32 v52, 7, v30
	v_ffbh_u32_e32 v54, v52
	v_min_u32_e32 v57, 32, v54
	v_subrev_u32_e32 v54, 28, v57
	v_lshlrev_b64 v[54:55], v54, v[30:31]
	v_lshrrev_b32_e32 v56, 3, v32
	v_sub_u32_e32 v55, 29, v57
	v_and_b32_e32 v54, 7, v54
	v_cmp_gt_u32_e32 vcc, 8, v32
	v_cndmask_b32_e32 v32, v56, v55, vcc
	v_cndmask_b32_e32 v52, v52, v54, vcc
	v_lshlrev_b32_e32 v30, 24, v30
	v_bfrev_b32_e32 v54, 60
	v_lshlrev_b32_e32 v52, 20, v52
	v_and_b32_e32 v30, 0x80000000, v30
	v_lshl_add_u32 v32, v32, 23, v54
	v_or3_b32 v30, v30, v32, v52
	v_lshrrev_b32_e32 v52, 16, v30
.LBB883_81:
	s_or_b64 exec, exec, s[10:11]
.LBB883_82:
	s_or_b64 exec, exec, s[8:9]
.LBB883_83:
	s_or_b64 exec, exec, s[2:3]
	v_mov_b32_e32 v32, 0
	v_cmp_ne_u16_sdwa s[8:9], v33, v32 src0_sel:BYTE_0 src1_sel:DWORD
	v_mov_b32_e32 v54, 0
	s_and_saveexec_b64 s[2:3], s[8:9]
	s_cbranch_execz .LBB883_89
; %bb.84:
	s_movk_i32 s8, 0x80
	v_cmp_ne_u16_sdwa s[10:11], v33, s8 src0_sel:BYTE_0 src1_sel:DWORD
	v_mov_b32_e32 v54, 0xffff8000
	s_and_saveexec_b64 s[8:9], s[10:11]
	s_cbranch_execz .LBB883_88
; %bb.85:
	s_movk_i32 s10, 0x7f
	v_and_b32_e32 v30, 0x7f, v33
	v_cmp_ne_u32_e32 vcc, s10, v30
	v_mov_b32_e32 v54, 0x7f80
	s_and_saveexec_b64 s[10:11], vcc
	s_cbranch_execz .LBB883_87
; %bb.86:
	v_and_b32_e32 v56, 7, v33
	v_ffbh_u32_e32 v55, v56
	v_min_u32_e32 v58, 32, v55
	v_mov_b32_e32 v54, v33
	v_subrev_u32_e32 v55, 28, v58
	v_lshlrev_b64 v[54:55], v55, v[54:55]
	v_lshrrev_b32_e32 v57, 3, v30
	v_sub_u32_e32 v55, 29, v58
	v_and_b32_e32 v54, 7, v54
	v_cmp_gt_u32_e32 vcc, 8, v30
	v_cndmask_b32_e32 v30, v57, v55, vcc
	v_cndmask_b32_e32 v54, v56, v54, vcc
	v_lshlrev_b32_e32 v55, 24, v33
	v_bfrev_b32_e32 v56, 60
	v_lshlrev_b32_e32 v54, 20, v54
	v_and_b32_e32 v55, 0x80000000, v55
	v_lshl_add_u32 v30, v30, 23, v56
	v_or3_b32 v30, v55, v30, v54
	v_lshrrev_b32_e32 v54, 16, v30
.LBB883_87:
	s_or_b64 exec, exec, s[10:11]
.LBB883_88:
	s_or_b64 exec, exec, s[8:9]
.LBB883_89:
	s_or_b64 exec, exec, s[2:3]
	v_lshrrev_b16_e32 v30, 8, v33
	v_cmp_ne_u16_e32 vcc, 0, v30
	s_and_saveexec_b64 s[2:3], vcc
	s_cbranch_execz .LBB883_95
; %bb.90:
	s_movk_i32 s8, 0x80
	v_cmp_ne_u16_e32 vcc, s8, v30
	v_mov_b32_e32 v32, 0xffff8000
	s_and_saveexec_b64 s[8:9], vcc
	s_cbranch_execz .LBB883_94
; %bb.91:
	s_movk_i32 s10, 0x7f
	v_and_b32_e32 v55, 0x7f, v30
	v_cmp_ne_u32_e32 vcc, s10, v55
	v_mov_b32_e32 v32, 0x7f80
	s_and_saveexec_b64 s[10:11], vcc
	s_cbranch_execz .LBB883_93
; %bb.92:
	v_and_b32_e32 v32, 7, v30
	v_ffbh_u32_e32 v56, v32
	v_min_u32_e32 v59, 32, v56
	v_subrev_u32_e32 v56, 28, v59
	v_lshlrev_b64 v[56:57], v56, v[30:31]
	v_lshrrev_b32_e32 v58, 3, v55
	v_sub_u32_e32 v30, 29, v59
	v_and_b32_e32 v56, 7, v56
	v_cmp_gt_u32_e32 vcc, 8, v55
	v_cndmask_b32_e32 v30, v58, v30, vcc
	v_cndmask_b32_e32 v32, v32, v56, vcc
	v_lshlrev_b32_e32 v55, 16, v33
	v_bfrev_b32_e32 v56, 60
	v_lshlrev_b32_e32 v32, 20, v32
	v_and_b32_e32 v55, 0x80000000, v55
	v_lshl_add_u32 v30, v30, 23, v56
	v_or3_b32 v30, v55, v30, v32
	v_lshrrev_b32_e32 v32, 16, v30
.LBB883_93:
	s_or_b64 exec, exec, s[10:11]
.LBB883_94:
	s_or_b64 exec, exec, s[8:9]
.LBB883_95:
	s_or_b64 exec, exec, s[2:3]
	s_movk_i32 s2, 0xff
	v_and_b32_sdwa v57, v33, s2 dst_sel:DWORD dst_unused:UNUSED_PAD src0_sel:WORD_1 src1_sel:DWORD
	v_lshrrev_b32_e32 v30, 16, v33
	v_cmp_ne_u16_e32 vcc, 0, v57
	v_mov_b32_e32 v55, 0
	v_mov_b32_e32 v56, 0
	s_and_saveexec_b64 s[2:3], vcc
	s_cbranch_execz .LBB883_101
; %bb.96:
	s_movk_i32 s8, 0x80
	v_cmp_ne_u16_e32 vcc, s8, v57
	v_mov_b32_e32 v56, 0xffff8000
	s_and_saveexec_b64 s[8:9], vcc
	s_cbranch_execz .LBB883_100
; %bb.97:
	v_bfe_u32 v57, v33, 16, 7
	s_movk_i32 s10, 0x7f
	v_cmp_ne_u32_e32 vcc, s10, v57
	v_mov_b32_e32 v56, 0x7f80
	s_and_saveexec_b64 s[10:11], vcc
	s_cbranch_execz .LBB883_99
; %bb.98:
	v_and_b32_e32 v56, 7, v30
	v_ffbh_u32_e32 v58, v56
	v_min_u32_e32 v61, 32, v58
	v_subrev_u32_e32 v58, 28, v61
	v_lshlrev_b64 v[58:59], v58, v[30:31]
	v_lshrrev_b32_e32 v60, 3, v57
	v_sub_u32_e32 v30, 29, v61
	v_and_b32_e32 v58, 7, v58
	v_cmp_gt_u32_e32 vcc, 8, v57
	v_mov_b32_e32 v57, 24
	v_cndmask_b32_e32 v30, v60, v30, vcc
	v_cndmask_b32_e32 v56, v56, v58, vcc
	v_lshlrev_b32_sdwa v57, v57, v33 dst_sel:DWORD dst_unused:UNUSED_PAD src0_sel:DWORD src1_sel:WORD_1
	v_bfrev_b32_e32 v58, 60
	v_lshlrev_b32_e32 v56, 20, v56
	v_and_b32_e32 v57, 0x80000000, v57
	v_lshl_add_u32 v30, v30, 23, v58
	v_or3_b32 v30, v57, v30, v56
	v_lshrrev_b32_e32 v56, 16, v30
.LBB883_99:
	s_or_b64 exec, exec, s[10:11]
.LBB883_100:
	s_or_b64 exec, exec, s[8:9]
.LBB883_101:
	s_or_b64 exec, exec, s[2:3]
	s_mov_b32 s2, 0xffffff
	v_cmp_lt_u32_e32 vcc, s2, v33
	s_and_saveexec_b64 s[2:3], vcc
	s_cbranch_execz .LBB883_107
; %bb.102:
	v_lshrrev_b32_e32 v30, 24, v33
	s_movk_i32 s8, 0x80
	v_cmp_ne_u32_e32 vcc, s8, v30
	v_mov_b32_e32 v55, 0xffff8000
	s_and_saveexec_b64 s[8:9], vcc
	s_cbranch_execz .LBB883_106
; %bb.103:
	v_bfe_u32 v33, v33, 24, 7
	s_movk_i32 s10, 0x7f
	v_cmp_ne_u32_e32 vcc, s10, v33
	v_mov_b32_e32 v55, 0x7f80
	s_and_saveexec_b64 s[10:11], vcc
	s_cbranch_execz .LBB883_105
; %bb.104:
	v_and_b32_e32 v55, 7, v30
	v_ffbh_u32_e32 v58, v55
	v_min_u32_e32 v60, 32, v58
	v_subrev_u32_e32 v58, 28, v60
	v_lshlrev_b64 v[58:59], v58, v[30:31]
	v_lshrrev_b32_e32 v57, 3, v33
	v_sub_u32_e32 v59, 29, v60
	v_and_b32_e32 v58, 7, v58
	v_cmp_gt_u32_e32 vcc, 8, v33
	v_cndmask_b32_e32 v33, v57, v59, vcc
	v_cndmask_b32_e32 v55, v55, v58, vcc
	v_lshlrev_b32_e32 v30, 24, v30
	v_bfrev_b32_e32 v57, 60
	v_lshlrev_b32_e32 v55, 20, v55
	v_and_b32_e32 v30, 0x80000000, v30
	v_lshl_add_u32 v33, v33, 23, v57
	v_or3_b32 v30, v30, v33, v55
	v_lshrrev_b32_e32 v55, 16, v30
.LBB883_105:
	s_or_b64 exec, exec, s[10:11]
.LBB883_106:
	s_or_b64 exec, exec, s[8:9]
.LBB883_107:
	s_or_b64 exec, exec, s[2:3]
	s_mov_b32 s2, 0x5040100
	v_perm_b32 v53, v52, v53, s2
	v_perm_b32 v52, v31, v51, s2
	;; [unrolled: 1-line block ×4, first 2 shown]
	v_mfma_f32_16x16x16bf16_1k v[58:61], v[52:53], v[18:19], v[42:45]
	s_nop 6
	v_mov_b32_e32 v43, 0
	s_waitcnt vmcnt(6)
	v_cmp_ne_u16_sdwa s[8:9], v38, v43 src0_sel:BYTE_0 src1_sel:DWORD
	v_mfma_f32_16x16x16bf16_1k v[30:33], v[30:31], v[20:21], v[58:61]
	v_mov_b32_e32 v44, 0
	s_and_saveexec_b64 s[2:3], s[8:9]
	s_cbranch_execz .LBB883_113
; %bb.108:
	s_movk_i32 s8, 0x80
	v_cmp_ne_u16_sdwa s[10:11], v38, s8 src0_sel:BYTE_0 src1_sel:DWORD
	v_mov_b32_e32 v44, 0xffff8000
	s_and_saveexec_b64 s[8:9], s[10:11]
	s_cbranch_execz .LBB883_112
; %bb.109:
	s_movk_i32 s10, 0x7f
	v_and_b32_e32 v42, 0x7f, v38
	v_cmp_ne_u32_e32 vcc, s10, v42
	v_mov_b32_e32 v44, 0x7f80
	s_and_saveexec_b64 s[10:11], vcc
	s_cbranch_execz .LBB883_111
; %bb.110:
	v_and_b32_e32 v51, 7, v38
	v_ffbh_u32_e32 v44, v51
	v_min_u32_e32 v53, 32, v44
	v_subrev_u32_e32 v44, 28, v53
	v_lshlrev_b64 v[44:45], v44, v[38:39]
	v_lshrrev_b32_e32 v52, 3, v42
	v_sub_u32_e32 v45, 29, v53
	v_and_b32_e32 v44, 7, v44
	v_cmp_gt_u32_e32 vcc, 8, v42
	v_cndmask_b32_e32 v42, v52, v45, vcc
	v_cndmask_b32_e32 v44, v51, v44, vcc
	v_lshlrev_b32_e32 v45, 24, v38
	v_bfrev_b32_e32 v51, 60
	v_lshlrev_b32_e32 v44, 20, v44
	v_and_b32_e32 v45, 0x80000000, v45
	v_lshl_add_u32 v42, v42, 23, v51
	v_or3_b32 v42, v45, v42, v44
	v_lshrrev_b32_e32 v44, 16, v42
.LBB883_111:
	s_or_b64 exec, exec, s[10:11]
.LBB883_112:
	s_or_b64 exec, exec, s[8:9]
.LBB883_113:
	s_or_b64 exec, exec, s[2:3]
	v_lshrrev_b16_e32 v42, 8, v38
	v_cmp_ne_u16_e32 vcc, 0, v42
	s_and_saveexec_b64 s[2:3], vcc
	s_cbranch_execz .LBB883_119
; %bb.114:
	s_movk_i32 s8, 0x80
	v_cmp_ne_u16_e32 vcc, s8, v42
	v_mov_b32_e32 v43, 0xffff8000
	s_and_saveexec_b64 s[8:9], vcc
	s_cbranch_execz .LBB883_118
; %bb.115:
	s_movk_i32 s10, 0x7f
	v_and_b32_e32 v45, 0x7f, v42
	v_cmp_ne_u32_e32 vcc, s10, v45
	v_mov_b32_e32 v43, 0x7f80
	s_and_saveexec_b64 s[10:11], vcc
	s_cbranch_execz .LBB883_117
; %bb.116:
	v_and_b32_e32 v51, 7, v42
	v_ffbh_u32_e32 v43, v51
	v_min_u32_e32 v53, 32, v43
	v_subrev_u32_e32 v43, 28, v53
	v_lshlrev_b64 v[42:43], v43, v[42:43]
	v_lshrrev_b32_e32 v52, 3, v45
	v_sub_u32_e32 v43, 29, v53
	v_and_b32_e32 v42, 7, v42
	v_cmp_gt_u32_e32 vcc, 8, v45
	v_cndmask_b32_e32 v43, v52, v43, vcc
	v_cndmask_b32_e32 v42, v51, v42, vcc
	v_lshlrev_b32_e32 v45, 16, v38
	v_bfrev_b32_e32 v51, 60
	v_lshlrev_b32_e32 v42, 20, v42
	v_and_b32_e32 v45, 0x80000000, v45
	v_lshl_add_u32 v43, v43, 23, v51
	v_or3_b32 v42, v45, v43, v42
	v_lshrrev_b32_e32 v43, 16, v42
.LBB883_117:
	s_or_b64 exec, exec, s[10:11]
.LBB883_118:
	s_or_b64 exec, exec, s[8:9]
.LBB883_119:
	s_or_b64 exec, exec, s[2:3]
	s_movk_i32 s2, 0xff
	v_and_b32_sdwa v52, v38, s2 dst_sel:DWORD dst_unused:UNUSED_PAD src0_sel:WORD_1 src1_sel:DWORD
	v_lshrrev_b32_e32 v42, 16, v38
	v_cmp_ne_u16_e32 vcc, 0, v52
	v_mov_b32_e32 v45, 0
	v_mov_b32_e32 v51, 0
	s_and_saveexec_b64 s[2:3], vcc
	s_cbranch_execz .LBB883_125
; %bb.120:
	s_movk_i32 s8, 0x80
	v_cmp_ne_u16_e32 vcc, s8, v52
	v_mov_b32_e32 v51, 0xffff8000
	s_and_saveexec_b64 s[8:9], vcc
	s_cbranch_execz .LBB883_124
; %bb.121:
	v_bfe_u32 v52, v38, 16, 7
	s_movk_i32 s10, 0x7f
	v_cmp_ne_u32_e32 vcc, s10, v52
	v_mov_b32_e32 v51, 0x7f80
	s_and_saveexec_b64 s[10:11], vcc
	s_cbranch_execz .LBB883_123
; %bb.122:
	v_and_b32_e32 v51, 7, v42
	v_ffbh_u32_e32 v54, v51
	v_min_u32_e32 v56, 32, v54
	v_subrev_u32_e32 v54, 28, v56
	v_lshlrev_b64 v[54:55], v54, v[42:43]
	v_lshrrev_b32_e32 v53, 3, v52
	v_sub_u32_e32 v42, 29, v56
	v_and_b32_e32 v54, 7, v54
	v_cmp_gt_u32_e32 vcc, 8, v52
	v_mov_b32_e32 v52, 24
	v_cndmask_b32_e32 v42, v53, v42, vcc
	v_cndmask_b32_e32 v51, v51, v54, vcc
	v_lshlrev_b32_sdwa v52, v52, v38 dst_sel:DWORD dst_unused:UNUSED_PAD src0_sel:DWORD src1_sel:WORD_1
	v_bfrev_b32_e32 v53, 60
	v_lshlrev_b32_e32 v51, 20, v51
	v_and_b32_e32 v52, 0x80000000, v52
	v_lshl_add_u32 v42, v42, 23, v53
	v_or3_b32 v42, v52, v42, v51
	v_lshrrev_b32_e32 v51, 16, v42
.LBB883_123:
	s_or_b64 exec, exec, s[10:11]
.LBB883_124:
	s_or_b64 exec, exec, s[8:9]
.LBB883_125:
	s_or_b64 exec, exec, s[2:3]
	s_mov_b32 s2, 0xffffff
	v_cmp_lt_u32_e32 vcc, s2, v38
	s_and_saveexec_b64 s[2:3], vcc
	s_cbranch_execz .LBB883_131
; %bb.126:
	v_lshrrev_b32_e32 v42, 24, v38
	s_movk_i32 s8, 0x80
	v_cmp_ne_u32_e32 vcc, s8, v42
	v_mov_b32_e32 v45, 0xffff8000
	s_and_saveexec_b64 s[8:9], vcc
	s_cbranch_execz .LBB883_130
; %bb.127:
	v_bfe_u32 v38, v38, 24, 7
	s_movk_i32 s10, 0x7f
	v_cmp_ne_u32_e32 vcc, s10, v38
	v_mov_b32_e32 v45, 0x7f80
	s_and_saveexec_b64 s[10:11], vcc
	s_cbranch_execz .LBB883_129
; %bb.128:
	v_and_b32_e32 v45, 7, v42
	v_ffbh_u32_e32 v52, v45
	v_min_u32_e32 v55, 32, v52
	v_subrev_u32_e32 v52, 28, v55
	v_lshlrev_b64 v[52:53], v52, v[42:43]
	v_lshrrev_b32_e32 v54, 3, v38
	v_sub_u32_e32 v53, 29, v55
	v_and_b32_e32 v52, 7, v52
	v_cmp_gt_u32_e32 vcc, 8, v38
	v_cndmask_b32_e32 v38, v54, v53, vcc
	v_cndmask_b32_e32 v45, v45, v52, vcc
	v_lshlrev_b32_e32 v42, 24, v42
	v_bfrev_b32_e32 v52, 60
	v_lshlrev_b32_e32 v45, 20, v45
	v_and_b32_e32 v42, 0x80000000, v42
	v_lshl_add_u32 v38, v38, 23, v52
	v_or3_b32 v38, v42, v38, v45
	v_lshrrev_b32_e32 v45, 16, v38
.LBB883_129:
	s_or_b64 exec, exec, s[10:11]
.LBB883_130:
	s_or_b64 exec, exec, s[8:9]
.LBB883_131:
	s_or_b64 exec, exec, s[2:3]
	v_mov_b32_e32 v42, 0
	v_cmp_ne_u16_sdwa s[8:9], v39, v42 src0_sel:BYTE_0 src1_sel:DWORD
	v_mov_b32_e32 v52, 0
	s_and_saveexec_b64 s[2:3], s[8:9]
	s_cbranch_execz .LBB883_137
; %bb.132:
	s_movk_i32 s8, 0x80
	v_cmp_ne_u16_sdwa s[10:11], v39, s8 src0_sel:BYTE_0 src1_sel:DWORD
	v_mov_b32_e32 v52, 0xffff8000
	s_and_saveexec_b64 s[8:9], s[10:11]
	s_cbranch_execz .LBB883_136
; %bb.133:
	s_movk_i32 s10, 0x7f
	v_and_b32_e32 v38, 0x7f, v39
	v_cmp_ne_u32_e32 vcc, s10, v38
	v_mov_b32_e32 v52, 0x7f80
	s_and_saveexec_b64 s[10:11], vcc
	s_cbranch_execz .LBB883_135
; %bb.134:
	v_and_b32_e32 v54, 7, v39
	v_ffbh_u32_e32 v53, v54
	v_min_u32_e32 v56, 32, v53
	v_mov_b32_e32 v52, v39
	v_subrev_u32_e32 v53, 28, v56
	v_lshlrev_b64 v[52:53], v53, v[52:53]
	v_lshrrev_b32_e32 v55, 3, v38
	v_sub_u32_e32 v53, 29, v56
	v_and_b32_e32 v52, 7, v52
	v_cmp_gt_u32_e32 vcc, 8, v38
	v_cndmask_b32_e32 v38, v55, v53, vcc
	v_cndmask_b32_e32 v52, v54, v52, vcc
	v_lshlrev_b32_e32 v53, 24, v39
	v_bfrev_b32_e32 v54, 60
	v_lshlrev_b32_e32 v52, 20, v52
	v_and_b32_e32 v53, 0x80000000, v53
	v_lshl_add_u32 v38, v38, 23, v54
	v_or3_b32 v38, v53, v38, v52
	v_lshrrev_b32_e32 v52, 16, v38
.LBB883_135:
	s_or_b64 exec, exec, s[10:11]
.LBB883_136:
	s_or_b64 exec, exec, s[8:9]
.LBB883_137:
	s_or_b64 exec, exec, s[2:3]
	v_lshrrev_b16_e32 v38, 8, v39
	v_cmp_ne_u16_e32 vcc, 0, v38
	s_and_saveexec_b64 s[2:3], vcc
	s_cbranch_execz .LBB883_143
; %bb.138:
	s_movk_i32 s8, 0x80
	v_cmp_ne_u16_e32 vcc, s8, v38
	v_mov_b32_e32 v42, 0xffff8000
	s_and_saveexec_b64 s[8:9], vcc
	s_cbranch_execz .LBB883_142
; %bb.139:
	s_movk_i32 s10, 0x7f
	v_and_b32_e32 v53, 0x7f, v38
	v_cmp_ne_u32_e32 vcc, s10, v53
	v_mov_b32_e32 v42, 0x7f80
	s_and_saveexec_b64 s[10:11], vcc
	s_cbranch_execz .LBB883_141
; %bb.140:
	v_and_b32_e32 v42, 7, v38
	v_ffbh_u32_e32 v54, v42
	v_min_u32_e32 v57, 32, v54
	v_subrev_u32_e32 v54, 28, v57
	v_lshlrev_b64 v[54:55], v54, v[38:39]
	v_lshrrev_b32_e32 v56, 3, v53
	v_sub_u32_e32 v38, 29, v57
	v_and_b32_e32 v54, 7, v54
	v_cmp_gt_u32_e32 vcc, 8, v53
	v_cndmask_b32_e32 v38, v56, v38, vcc
	v_cndmask_b32_e32 v42, v42, v54, vcc
	v_lshlrev_b32_e32 v53, 16, v39
	v_bfrev_b32_e32 v54, 60
	v_lshlrev_b32_e32 v42, 20, v42
	v_and_b32_e32 v53, 0x80000000, v53
	v_lshl_add_u32 v38, v38, 23, v54
	v_or3_b32 v38, v53, v38, v42
	v_lshrrev_b32_e32 v42, 16, v38
.LBB883_141:
	s_or_b64 exec, exec, s[10:11]
.LBB883_142:
	s_or_b64 exec, exec, s[8:9]
.LBB883_143:
	s_or_b64 exec, exec, s[2:3]
	s_movk_i32 s2, 0xff
	v_and_b32_sdwa v55, v39, s2 dst_sel:DWORD dst_unused:UNUSED_PAD src0_sel:WORD_1 src1_sel:DWORD
	v_lshrrev_b32_e32 v38, 16, v39
	v_cmp_ne_u16_e32 vcc, 0, v55
	v_mov_b32_e32 v53, 0
	v_mov_b32_e32 v54, 0
	s_and_saveexec_b64 s[2:3], vcc
	s_cbranch_execz .LBB883_149
; %bb.144:
	s_movk_i32 s8, 0x80
	v_cmp_ne_u16_e32 vcc, s8, v55
	v_mov_b32_e32 v54, 0xffff8000
	s_and_saveexec_b64 s[8:9], vcc
	s_cbranch_execz .LBB883_148
; %bb.145:
	v_bfe_u32 v55, v39, 16, 7
	s_movk_i32 s10, 0x7f
	v_cmp_ne_u32_e32 vcc, s10, v55
	v_mov_b32_e32 v54, 0x7f80
	s_and_saveexec_b64 s[10:11], vcc
	s_cbranch_execz .LBB883_147
; %bb.146:
	v_and_b32_e32 v54, 7, v38
	v_ffbh_u32_e32 v56, v54
	v_min_u32_e32 v59, 32, v56
	v_subrev_u32_e32 v56, 28, v59
	v_lshlrev_b64 v[56:57], v56, v[38:39]
	v_lshrrev_b32_e32 v58, 3, v55
	v_sub_u32_e32 v38, 29, v59
	v_and_b32_e32 v56, 7, v56
	v_cmp_gt_u32_e32 vcc, 8, v55
	v_mov_b32_e32 v55, 24
	v_cndmask_b32_e32 v38, v58, v38, vcc
	v_cndmask_b32_e32 v54, v54, v56, vcc
	v_lshlrev_b32_sdwa v55, v55, v39 dst_sel:DWORD dst_unused:UNUSED_PAD src0_sel:DWORD src1_sel:WORD_1
	v_bfrev_b32_e32 v56, 60
	v_lshlrev_b32_e32 v54, 20, v54
	v_and_b32_e32 v55, 0x80000000, v55
	v_lshl_add_u32 v38, v38, 23, v56
	v_or3_b32 v38, v55, v38, v54
	v_lshrrev_b32_e32 v54, 16, v38
.LBB883_147:
	s_or_b64 exec, exec, s[10:11]
.LBB883_148:
	s_or_b64 exec, exec, s[8:9]
.LBB883_149:
	s_or_b64 exec, exec, s[2:3]
	s_mov_b32 s2, 0xffffff
	v_cmp_lt_u32_e32 vcc, s2, v39
	s_and_saveexec_b64 s[2:3], vcc
	s_cbranch_execz .LBB883_155
; %bb.150:
	v_lshrrev_b32_e32 v38, 24, v39
	s_movk_i32 s8, 0x80
	v_cmp_ne_u32_e32 vcc, s8, v38
	v_mov_b32_e32 v53, 0xffff8000
	s_and_saveexec_b64 s[8:9], vcc
	s_cbranch_execz .LBB883_154
; %bb.151:
	v_bfe_u32 v39, v39, 24, 7
	s_movk_i32 s10, 0x7f
	v_cmp_ne_u32_e32 vcc, s10, v39
	v_mov_b32_e32 v53, 0x7f80
	s_and_saveexec_b64 s[10:11], vcc
	s_cbranch_execz .LBB883_153
; %bb.152:
	v_and_b32_e32 v53, 7, v38
	v_ffbh_u32_e32 v56, v53
	v_min_u32_e32 v58, 32, v56
	v_subrev_u32_e32 v56, 28, v58
	v_lshlrev_b64 v[56:57], v56, v[38:39]
	v_lshrrev_b32_e32 v55, 3, v39
	v_sub_u32_e32 v57, 29, v58
	v_and_b32_e32 v56, 7, v56
	v_cmp_gt_u32_e32 vcc, 8, v39
	v_cndmask_b32_e32 v39, v55, v57, vcc
	v_cndmask_b32_e32 v53, v53, v56, vcc
	v_lshlrev_b32_e32 v38, 24, v38
	v_bfrev_b32_e32 v55, 60
	v_lshlrev_b32_e32 v53, 20, v53
	v_and_b32_e32 v38, 0x80000000, v38
	v_lshl_add_u32 v39, v39, 23, v55
	v_or3_b32 v38, v38, v39, v53
	v_lshrrev_b32_e32 v53, 16, v38
.LBB883_153:
	s_or_b64 exec, exec, s[10:11]
.LBB883_154:
	s_or_b64 exec, exec, s[8:9]
.LBB883_155:
	s_or_b64 exec, exec, s[2:3]
	s_mov_b32 s2, 0x5040100
	v_perm_b32 v39, v45, v51, s2
	v_perm_b32 v38, v43, v44, s2
	;; [unrolled: 1-line block ×4, first 2 shown]
	v_mov_b32_e32 v51, 0
	v_mfma_f32_16x16x16bf16_1k v[56:59], v[38:39], v[26:27], 0
	v_mov_b32_e32 v39, 0
	v_cmp_ne_u16_sdwa s[8:9], v40, v39 src0_sel:BYTE_0 src1_sel:DWORD
	v_mfma_f32_16x16x16bf16_1k v[42:45], v[42:43], v[28:29], v[56:59]
	s_and_saveexec_b64 s[2:3], s[8:9]
	s_cbranch_execz .LBB883_161
; %bb.156:
	s_movk_i32 s8, 0x80
	v_cmp_ne_u16_sdwa s[10:11], v40, s8 src0_sel:BYTE_0 src1_sel:DWORD
	v_mov_b32_e32 v51, 0xffff8000
	s_and_saveexec_b64 s[8:9], s[10:11]
	s_cbranch_execz .LBB883_160
; %bb.157:
	s_movk_i32 s10, 0x7f
	v_and_b32_e32 v38, 0x7f, v40
	v_cmp_ne_u32_e32 vcc, s10, v38
	v_mov_b32_e32 v51, 0x7f80
	s_and_saveexec_b64 s[10:11], vcc
	s_cbranch_execz .LBB883_159
; %bb.158:
	v_and_b32_e32 v51, 7, v40
	v_ffbh_u32_e32 v52, v51
	v_min_u32_e32 v55, 32, v52
	v_subrev_u32_e32 v52, 28, v55
	v_lshlrev_b64 v[52:53], v52, v[40:41]
	v_lshrrev_b32_e32 v54, 3, v38
	v_sub_u32_e32 v53, 29, v55
	v_and_b32_e32 v52, 7, v52
	v_cmp_gt_u32_e32 vcc, 8, v38
	v_cndmask_b32_e32 v38, v54, v53, vcc
	v_cndmask_b32_e32 v51, v51, v52, vcc
	v_lshlrev_b32_e32 v52, 24, v40
	v_bfrev_b32_e32 v53, 60
	v_lshlrev_b32_e32 v51, 20, v51
	v_and_b32_e32 v52, 0x80000000, v52
	v_lshl_add_u32 v38, v38, 23, v53
	v_or3_b32 v38, v52, v38, v51
	v_lshrrev_b32_e32 v51, 16, v38
.LBB883_159:
	s_or_b64 exec, exec, s[10:11]
.LBB883_160:
	s_or_b64 exec, exec, s[8:9]
.LBB883_161:
	s_or_b64 exec, exec, s[2:3]
	v_lshrrev_b16_e32 v38, 8, v40
	v_cmp_ne_u16_e32 vcc, 0, v38
	s_and_saveexec_b64 s[2:3], vcc
	s_cbranch_execz .LBB883_167
; %bb.162:
	s_movk_i32 s8, 0x80
	v_cmp_ne_u16_e32 vcc, s8, v38
	v_mov_b32_e32 v39, 0xffff8000
	s_and_saveexec_b64 s[8:9], vcc
	s_cbranch_execz .LBB883_166
; %bb.163:
	s_movk_i32 s10, 0x7f
	v_and_b32_e32 v52, 0x7f, v38
	v_cmp_ne_u32_e32 vcc, s10, v52
	v_mov_b32_e32 v39, 0x7f80
	s_and_saveexec_b64 s[10:11], vcc
	s_cbranch_execz .LBB883_165
; %bb.164:
	v_and_b32_e32 v53, 7, v38
	v_ffbh_u32_e32 v39, v53
	v_min_u32_e32 v55, 32, v39
	v_subrev_u32_e32 v39, 28, v55
	v_lshlrev_b64 v[38:39], v39, v[38:39]
	v_lshrrev_b32_e32 v54, 3, v52
	v_sub_u32_e32 v39, 29, v55
	v_and_b32_e32 v38, 7, v38
	v_cmp_gt_u32_e32 vcc, 8, v52
	v_cndmask_b32_e32 v39, v54, v39, vcc
	v_cndmask_b32_e32 v38, v53, v38, vcc
	v_lshlrev_b32_e32 v52, 16, v40
	v_bfrev_b32_e32 v53, 60
	v_lshlrev_b32_e32 v38, 20, v38
	v_and_b32_e32 v52, 0x80000000, v52
	v_lshl_add_u32 v39, v39, 23, v53
	v_or3_b32 v38, v52, v39, v38
	v_lshrrev_b32_e32 v39, 16, v38
.LBB883_165:
	s_or_b64 exec, exec, s[10:11]
.LBB883_166:
	s_or_b64 exec, exec, s[8:9]
.LBB883_167:
	s_or_b64 exec, exec, s[2:3]
	s_movk_i32 s2, 0xff
	v_and_b32_sdwa v54, v40, s2 dst_sel:DWORD dst_unused:UNUSED_PAD src0_sel:WORD_1 src1_sel:DWORD
	v_lshrrev_b32_e32 v38, 16, v40
	v_cmp_ne_u16_e32 vcc, 0, v54
	v_mov_b32_e32 v52, 0
	v_mov_b32_e32 v53, 0
	s_and_saveexec_b64 s[2:3], vcc
	s_cbranch_execz .LBB883_173
; %bb.168:
	s_movk_i32 s8, 0x80
	v_cmp_ne_u16_e32 vcc, s8, v54
	v_mov_b32_e32 v53, 0xffff8000
	s_and_saveexec_b64 s[8:9], vcc
	s_cbranch_execz .LBB883_172
; %bb.169:
	v_bfe_u32 v54, v40, 16, 7
	s_movk_i32 s10, 0x7f
	v_cmp_ne_u32_e32 vcc, s10, v54
	v_mov_b32_e32 v53, 0x7f80
	s_and_saveexec_b64 s[10:11], vcc
	s_cbranch_execz .LBB883_171
; %bb.170:
	v_and_b32_e32 v53, 7, v38
	v_ffbh_u32_e32 v56, v53
	v_min_u32_e32 v58, 32, v56
	v_subrev_u32_e32 v56, 28, v58
	v_lshlrev_b64 v[56:57], v56, v[38:39]
	v_lshrrev_b32_e32 v55, 3, v54
	v_sub_u32_e32 v38, 29, v58
	v_and_b32_e32 v56, 7, v56
	v_cmp_gt_u32_e32 vcc, 8, v54
	v_mov_b32_e32 v54, 24
	v_cndmask_b32_e32 v38, v55, v38, vcc
	v_cndmask_b32_e32 v53, v53, v56, vcc
	v_lshlrev_b32_sdwa v54, v54, v40 dst_sel:DWORD dst_unused:UNUSED_PAD src0_sel:DWORD src1_sel:WORD_1
	v_bfrev_b32_e32 v55, 60
	v_lshlrev_b32_e32 v53, 20, v53
	v_and_b32_e32 v54, 0x80000000, v54
	v_lshl_add_u32 v38, v38, 23, v55
	v_or3_b32 v38, v54, v38, v53
	v_lshrrev_b32_e32 v53, 16, v38
.LBB883_171:
	s_or_b64 exec, exec, s[10:11]
.LBB883_172:
	s_or_b64 exec, exec, s[8:9]
.LBB883_173:
	s_or_b64 exec, exec, s[2:3]
	s_mov_b32 s2, 0xffffff
	v_cmp_lt_u32_e32 vcc, s2, v40
	s_and_saveexec_b64 s[2:3], vcc
	s_cbranch_execz .LBB883_179
; %bb.174:
	v_lshrrev_b32_e32 v38, 24, v40
	s_movk_i32 s8, 0x80
	v_cmp_ne_u32_e32 vcc, s8, v38
	v_mov_b32_e32 v52, 0xffff8000
	s_and_saveexec_b64 s[8:9], vcc
	s_cbranch_execz .LBB883_178
; %bb.175:
	v_bfe_u32 v40, v40, 24, 7
	s_movk_i32 s10, 0x7f
	v_cmp_ne_u32_e32 vcc, s10, v40
	v_mov_b32_e32 v52, 0x7f80
	s_and_saveexec_b64 s[10:11], vcc
	s_cbranch_execz .LBB883_177
; %bb.176:
	v_and_b32_e32 v52, 7, v38
	v_ffbh_u32_e32 v54, v52
	v_min_u32_e32 v57, 32, v54
	v_subrev_u32_e32 v54, 28, v57
	v_lshlrev_b64 v[54:55], v54, v[38:39]
	v_lshrrev_b32_e32 v56, 3, v40
	v_sub_u32_e32 v55, 29, v57
	v_and_b32_e32 v54, 7, v54
	v_cmp_gt_u32_e32 vcc, 8, v40
	v_cndmask_b32_e32 v40, v56, v55, vcc
	v_cndmask_b32_e32 v52, v52, v54, vcc
	v_lshlrev_b32_e32 v38, 24, v38
	v_bfrev_b32_e32 v54, 60
	v_lshlrev_b32_e32 v52, 20, v52
	v_and_b32_e32 v38, 0x80000000, v38
	v_lshl_add_u32 v40, v40, 23, v54
	v_or3_b32 v38, v38, v40, v52
	v_lshrrev_b32_e32 v52, 16, v38
.LBB883_177:
	s_or_b64 exec, exec, s[10:11]
.LBB883_178:
	s_or_b64 exec, exec, s[8:9]
.LBB883_179:
	s_or_b64 exec, exec, s[2:3]
	v_mov_b32_e32 v40, 0
	v_cmp_ne_u16_sdwa s[8:9], v41, v40 src0_sel:BYTE_0 src1_sel:DWORD
	v_mov_b32_e32 v54, 0
	s_and_saveexec_b64 s[2:3], s[8:9]
	s_cbranch_execz .LBB883_185
; %bb.180:
	s_movk_i32 s8, 0x80
	v_cmp_ne_u16_sdwa s[10:11], v41, s8 src0_sel:BYTE_0 src1_sel:DWORD
	v_mov_b32_e32 v54, 0xffff8000
	s_and_saveexec_b64 s[8:9], s[10:11]
	s_cbranch_execz .LBB883_184
; %bb.181:
	s_movk_i32 s10, 0x7f
	v_and_b32_e32 v38, 0x7f, v41
	v_cmp_ne_u32_e32 vcc, s10, v38
	v_mov_b32_e32 v54, 0x7f80
	s_and_saveexec_b64 s[10:11], vcc
	s_cbranch_execz .LBB883_183
; %bb.182:
	v_and_b32_e32 v56, 7, v41
	v_ffbh_u32_e32 v55, v56
	v_min_u32_e32 v58, 32, v55
	v_mov_b32_e32 v54, v41
	v_subrev_u32_e32 v55, 28, v58
	v_lshlrev_b64 v[54:55], v55, v[54:55]
	v_lshrrev_b32_e32 v57, 3, v38
	v_sub_u32_e32 v55, 29, v58
	v_and_b32_e32 v54, 7, v54
	v_cmp_gt_u32_e32 vcc, 8, v38
	v_cndmask_b32_e32 v38, v57, v55, vcc
	v_cndmask_b32_e32 v54, v56, v54, vcc
	v_lshlrev_b32_e32 v55, 24, v41
	v_bfrev_b32_e32 v56, 60
	v_lshlrev_b32_e32 v54, 20, v54
	v_and_b32_e32 v55, 0x80000000, v55
	v_lshl_add_u32 v38, v38, 23, v56
	v_or3_b32 v38, v55, v38, v54
	v_lshrrev_b32_e32 v54, 16, v38
.LBB883_183:
	s_or_b64 exec, exec, s[10:11]
.LBB883_184:
	s_or_b64 exec, exec, s[8:9]
.LBB883_185:
	s_or_b64 exec, exec, s[2:3]
	v_lshrrev_b16_e32 v38, 8, v41
	v_cmp_ne_u16_e32 vcc, 0, v38
	s_and_saveexec_b64 s[2:3], vcc
	s_cbranch_execz .LBB883_191
; %bb.186:
	s_movk_i32 s8, 0x80
	v_cmp_ne_u16_e32 vcc, s8, v38
	v_mov_b32_e32 v40, 0xffff8000
	s_and_saveexec_b64 s[8:9], vcc
	s_cbranch_execz .LBB883_190
; %bb.187:
	s_movk_i32 s10, 0x7f
	v_and_b32_e32 v55, 0x7f, v38
	v_cmp_ne_u32_e32 vcc, s10, v55
	v_mov_b32_e32 v40, 0x7f80
	s_and_saveexec_b64 s[10:11], vcc
	s_cbranch_execz .LBB883_189
; %bb.188:
	v_and_b32_e32 v40, 7, v38
	v_ffbh_u32_e32 v56, v40
	v_min_u32_e32 v59, 32, v56
	v_subrev_u32_e32 v56, 28, v59
	v_lshlrev_b64 v[56:57], v56, v[38:39]
	v_lshrrev_b32_e32 v58, 3, v55
	v_sub_u32_e32 v38, 29, v59
	v_and_b32_e32 v56, 7, v56
	v_cmp_gt_u32_e32 vcc, 8, v55
	v_cndmask_b32_e32 v38, v58, v38, vcc
	v_cndmask_b32_e32 v40, v40, v56, vcc
	v_lshlrev_b32_e32 v55, 16, v41
	v_bfrev_b32_e32 v56, 60
	v_lshlrev_b32_e32 v40, 20, v40
	v_and_b32_e32 v55, 0x80000000, v55
	v_lshl_add_u32 v38, v38, 23, v56
	v_or3_b32 v38, v55, v38, v40
	v_lshrrev_b32_e32 v40, 16, v38
.LBB883_189:
	s_or_b64 exec, exec, s[10:11]
.LBB883_190:
	s_or_b64 exec, exec, s[8:9]
.LBB883_191:
	s_or_b64 exec, exec, s[2:3]
	s_movk_i32 s2, 0xff
	v_and_b32_sdwa v57, v41, s2 dst_sel:DWORD dst_unused:UNUSED_PAD src0_sel:WORD_1 src1_sel:DWORD
	v_lshrrev_b32_e32 v38, 16, v41
	v_cmp_ne_u16_e32 vcc, 0, v57
	v_mov_b32_e32 v55, 0
	v_mov_b32_e32 v56, 0
	s_and_saveexec_b64 s[2:3], vcc
	s_cbranch_execz .LBB883_197
; %bb.192:
	s_movk_i32 s8, 0x80
	v_cmp_ne_u16_e32 vcc, s8, v57
	v_mov_b32_e32 v56, 0xffff8000
	s_and_saveexec_b64 s[8:9], vcc
	s_cbranch_execz .LBB883_196
; %bb.193:
	v_bfe_u32 v57, v41, 16, 7
	s_movk_i32 s10, 0x7f
	v_cmp_ne_u32_e32 vcc, s10, v57
	v_mov_b32_e32 v56, 0x7f80
	s_and_saveexec_b64 s[10:11], vcc
	s_cbranch_execz .LBB883_195
; %bb.194:
	v_and_b32_e32 v56, 7, v38
	v_ffbh_u32_e32 v58, v56
	v_min_u32_e32 v61, 32, v58
	v_subrev_u32_e32 v58, 28, v61
	v_lshlrev_b64 v[58:59], v58, v[38:39]
	v_lshrrev_b32_e32 v60, 3, v57
	v_sub_u32_e32 v38, 29, v61
	v_and_b32_e32 v58, 7, v58
	v_cmp_gt_u32_e32 vcc, 8, v57
	v_mov_b32_e32 v57, 24
	v_cndmask_b32_e32 v38, v60, v38, vcc
	v_cndmask_b32_e32 v56, v56, v58, vcc
	v_lshlrev_b32_sdwa v57, v57, v41 dst_sel:DWORD dst_unused:UNUSED_PAD src0_sel:DWORD src1_sel:WORD_1
	v_bfrev_b32_e32 v58, 60
	v_lshlrev_b32_e32 v56, 20, v56
	v_and_b32_e32 v57, 0x80000000, v57
	v_lshl_add_u32 v38, v38, 23, v58
	v_or3_b32 v38, v57, v38, v56
	v_lshrrev_b32_e32 v56, 16, v38
.LBB883_195:
	s_or_b64 exec, exec, s[10:11]
.LBB883_196:
	s_or_b64 exec, exec, s[8:9]
.LBB883_197:
	s_or_b64 exec, exec, s[2:3]
	s_mov_b32 s2, 0xffffff
	v_cmp_lt_u32_e32 vcc, s2, v41
	s_and_saveexec_b64 s[2:3], vcc
	s_cbranch_execz .LBB883_203
; %bb.198:
	v_lshrrev_b32_e32 v38, 24, v41
	s_movk_i32 s8, 0x80
	v_cmp_ne_u32_e32 vcc, s8, v38
	v_mov_b32_e32 v55, 0xffff8000
	s_and_saveexec_b64 s[8:9], vcc
	s_cbranch_execz .LBB883_202
; %bb.199:
	v_bfe_u32 v41, v41, 24, 7
	s_movk_i32 s10, 0x7f
	v_cmp_ne_u32_e32 vcc, s10, v41
	v_mov_b32_e32 v55, 0x7f80
	s_and_saveexec_b64 s[10:11], vcc
	s_cbranch_execz .LBB883_201
; %bb.200:
	v_and_b32_e32 v55, 7, v38
	v_ffbh_u32_e32 v58, v55
	v_min_u32_e32 v60, 32, v58
	v_subrev_u32_e32 v58, 28, v60
	v_lshlrev_b64 v[58:59], v58, v[38:39]
	v_lshrrev_b32_e32 v57, 3, v41
	v_sub_u32_e32 v59, 29, v60
	v_and_b32_e32 v58, 7, v58
	v_cmp_gt_u32_e32 vcc, 8, v41
	v_cndmask_b32_e32 v41, v57, v59, vcc
	v_cndmask_b32_e32 v55, v55, v58, vcc
	v_lshlrev_b32_e32 v38, 24, v38
	v_bfrev_b32_e32 v57, 60
	v_lshlrev_b32_e32 v55, 20, v55
	v_and_b32_e32 v38, 0x80000000, v38
	v_lshl_add_u32 v41, v41, 23, v57
	v_or3_b32 v38, v38, v41, v55
	v_lshrrev_b32_e32 v55, 16, v38
.LBB883_201:
	s_or_b64 exec, exec, s[10:11]
.LBB883_202:
	s_or_b64 exec, exec, s[8:9]
.LBB883_203:
	s_or_b64 exec, exec, s[2:3]
	s_mov_b32 s2, 0x5040100
	v_perm_b32 v53, v52, v53, s2
	v_perm_b32 v52, v39, v51, s2
	;; [unrolled: 1-line block ×4, first 2 shown]
	v_mfma_f32_16x16x16bf16_1k v[58:61], v[52:53], v[18:19], v[42:45]
	s_nop 6
	v_mov_b32_e32 v43, 0
	s_waitcnt vmcnt(5)
	v_cmp_ne_u16_sdwa s[8:9], v34, v43 src0_sel:BYTE_0 src1_sel:DWORD
	v_mfma_f32_16x16x16bf16_1k v[38:41], v[38:39], v[20:21], v[58:61]
	v_mov_b32_e32 v44, 0
	s_and_saveexec_b64 s[2:3], s[8:9]
	s_cbranch_execz .LBB883_209
; %bb.204:
	s_movk_i32 s8, 0x80
	v_cmp_ne_u16_sdwa s[10:11], v34, s8 src0_sel:BYTE_0 src1_sel:DWORD
	v_mov_b32_e32 v44, 0xffff8000
	s_and_saveexec_b64 s[8:9], s[10:11]
	s_cbranch_execz .LBB883_208
; %bb.205:
	s_movk_i32 s10, 0x7f
	v_and_b32_e32 v42, 0x7f, v34
	v_cmp_ne_u32_e32 vcc, s10, v42
	v_mov_b32_e32 v44, 0x7f80
	s_and_saveexec_b64 s[10:11], vcc
	s_cbranch_execz .LBB883_207
; %bb.206:
	v_and_b32_e32 v51, 7, v34
	v_ffbh_u32_e32 v44, v51
	v_min_u32_e32 v53, 32, v44
	v_subrev_u32_e32 v44, 28, v53
	v_lshlrev_b64 v[44:45], v44, v[34:35]
	v_lshrrev_b32_e32 v52, 3, v42
	v_sub_u32_e32 v45, 29, v53
	v_and_b32_e32 v44, 7, v44
	v_cmp_gt_u32_e32 vcc, 8, v42
	v_cndmask_b32_e32 v42, v52, v45, vcc
	v_cndmask_b32_e32 v44, v51, v44, vcc
	v_lshlrev_b32_e32 v45, 24, v34
	v_bfrev_b32_e32 v51, 60
	v_lshlrev_b32_e32 v44, 20, v44
	v_and_b32_e32 v45, 0x80000000, v45
	v_lshl_add_u32 v42, v42, 23, v51
	v_or3_b32 v42, v45, v42, v44
	v_lshrrev_b32_e32 v44, 16, v42
.LBB883_207:
	s_or_b64 exec, exec, s[10:11]
.LBB883_208:
	s_or_b64 exec, exec, s[8:9]
.LBB883_209:
	s_or_b64 exec, exec, s[2:3]
	v_lshrrev_b16_e32 v42, 8, v34
	v_cmp_ne_u16_e32 vcc, 0, v42
	s_and_saveexec_b64 s[2:3], vcc
	s_cbranch_execz .LBB883_215
; %bb.210:
	s_movk_i32 s8, 0x80
	v_cmp_ne_u16_e32 vcc, s8, v42
	v_mov_b32_e32 v43, 0xffff8000
	s_and_saveexec_b64 s[8:9], vcc
	s_cbranch_execz .LBB883_214
; %bb.211:
	s_movk_i32 s10, 0x7f
	v_and_b32_e32 v45, 0x7f, v42
	v_cmp_ne_u32_e32 vcc, s10, v45
	v_mov_b32_e32 v43, 0x7f80
	s_and_saveexec_b64 s[10:11], vcc
	s_cbranch_execz .LBB883_213
; %bb.212:
	v_and_b32_e32 v51, 7, v42
	v_ffbh_u32_e32 v43, v51
	v_min_u32_e32 v53, 32, v43
	v_subrev_u32_e32 v43, 28, v53
	v_lshlrev_b64 v[42:43], v43, v[42:43]
	v_lshrrev_b32_e32 v52, 3, v45
	v_sub_u32_e32 v43, 29, v53
	v_and_b32_e32 v42, 7, v42
	v_cmp_gt_u32_e32 vcc, 8, v45
	v_cndmask_b32_e32 v43, v52, v43, vcc
	v_cndmask_b32_e32 v42, v51, v42, vcc
	v_lshlrev_b32_e32 v45, 16, v34
	v_bfrev_b32_e32 v51, 60
	v_lshlrev_b32_e32 v42, 20, v42
	v_and_b32_e32 v45, 0x80000000, v45
	v_lshl_add_u32 v43, v43, 23, v51
	v_or3_b32 v42, v45, v43, v42
	v_lshrrev_b32_e32 v43, 16, v42
.LBB883_213:
	s_or_b64 exec, exec, s[10:11]
.LBB883_214:
	s_or_b64 exec, exec, s[8:9]
.LBB883_215:
	s_or_b64 exec, exec, s[2:3]
	s_movk_i32 s2, 0xff
	v_and_b32_sdwa v52, v34, s2 dst_sel:DWORD dst_unused:UNUSED_PAD src0_sel:WORD_1 src1_sel:DWORD
	v_lshrrev_b32_e32 v42, 16, v34
	v_cmp_ne_u16_e32 vcc, 0, v52
	v_mov_b32_e32 v45, 0
	v_mov_b32_e32 v51, 0
	s_and_saveexec_b64 s[2:3], vcc
	s_cbranch_execz .LBB883_221
; %bb.216:
	s_movk_i32 s8, 0x80
	v_cmp_ne_u16_e32 vcc, s8, v52
	v_mov_b32_e32 v51, 0xffff8000
	s_and_saveexec_b64 s[8:9], vcc
	s_cbranch_execz .LBB883_220
; %bb.217:
	v_bfe_u32 v52, v34, 16, 7
	s_movk_i32 s10, 0x7f
	v_cmp_ne_u32_e32 vcc, s10, v52
	v_mov_b32_e32 v51, 0x7f80
	s_and_saveexec_b64 s[10:11], vcc
	s_cbranch_execz .LBB883_219
; %bb.218:
	v_and_b32_e32 v51, 7, v42
	v_ffbh_u32_e32 v54, v51
	v_min_u32_e32 v56, 32, v54
	v_subrev_u32_e32 v54, 28, v56
	v_lshlrev_b64 v[54:55], v54, v[42:43]
	v_lshrrev_b32_e32 v53, 3, v52
	v_sub_u32_e32 v42, 29, v56
	v_and_b32_e32 v54, 7, v54
	v_cmp_gt_u32_e32 vcc, 8, v52
	v_mov_b32_e32 v52, 24
	v_cndmask_b32_e32 v42, v53, v42, vcc
	v_cndmask_b32_e32 v51, v51, v54, vcc
	v_lshlrev_b32_sdwa v52, v52, v34 dst_sel:DWORD dst_unused:UNUSED_PAD src0_sel:DWORD src1_sel:WORD_1
	v_bfrev_b32_e32 v53, 60
	v_lshlrev_b32_e32 v51, 20, v51
	v_and_b32_e32 v52, 0x80000000, v52
	v_lshl_add_u32 v42, v42, 23, v53
	v_or3_b32 v42, v52, v42, v51
	v_lshrrev_b32_e32 v51, 16, v42
.LBB883_219:
	s_or_b64 exec, exec, s[10:11]
.LBB883_220:
	s_or_b64 exec, exec, s[8:9]
.LBB883_221:
	s_or_b64 exec, exec, s[2:3]
	s_mov_b32 s2, 0xffffff
	v_cmp_lt_u32_e32 vcc, s2, v34
	s_and_saveexec_b64 s[2:3], vcc
	s_cbranch_execz .LBB883_227
; %bb.222:
	v_lshrrev_b32_e32 v42, 24, v34
	s_movk_i32 s8, 0x80
	v_cmp_ne_u32_e32 vcc, s8, v42
	v_mov_b32_e32 v45, 0xffff8000
	s_and_saveexec_b64 s[8:9], vcc
	s_cbranch_execz .LBB883_226
; %bb.223:
	v_bfe_u32 v34, v34, 24, 7
	s_movk_i32 s10, 0x7f
	v_cmp_ne_u32_e32 vcc, s10, v34
	v_mov_b32_e32 v45, 0x7f80
	s_and_saveexec_b64 s[10:11], vcc
	s_cbranch_execz .LBB883_225
; %bb.224:
	v_and_b32_e32 v45, 7, v42
	v_ffbh_u32_e32 v52, v45
	v_min_u32_e32 v55, 32, v52
	v_subrev_u32_e32 v52, 28, v55
	v_lshlrev_b64 v[52:53], v52, v[42:43]
	v_lshrrev_b32_e32 v54, 3, v34
	v_sub_u32_e32 v53, 29, v55
	v_and_b32_e32 v52, 7, v52
	v_cmp_gt_u32_e32 vcc, 8, v34
	v_cndmask_b32_e32 v34, v54, v53, vcc
	v_cndmask_b32_e32 v45, v45, v52, vcc
	v_lshlrev_b32_e32 v42, 24, v42
	v_bfrev_b32_e32 v52, 60
	v_lshlrev_b32_e32 v45, 20, v45
	v_and_b32_e32 v42, 0x80000000, v42
	v_lshl_add_u32 v34, v34, 23, v52
	v_or3_b32 v34, v42, v34, v45
	v_lshrrev_b32_e32 v45, 16, v34
.LBB883_225:
	s_or_b64 exec, exec, s[10:11]
.LBB883_226:
	s_or_b64 exec, exec, s[8:9]
.LBB883_227:
	s_or_b64 exec, exec, s[2:3]
	v_mov_b32_e32 v42, 0
	v_cmp_ne_u16_sdwa s[8:9], v35, v42 src0_sel:BYTE_0 src1_sel:DWORD
	v_mov_b32_e32 v52, 0
	s_and_saveexec_b64 s[2:3], s[8:9]
	s_cbranch_execz .LBB883_233
; %bb.228:
	s_movk_i32 s8, 0x80
	v_cmp_ne_u16_sdwa s[10:11], v35, s8 src0_sel:BYTE_0 src1_sel:DWORD
	v_mov_b32_e32 v52, 0xffff8000
	s_and_saveexec_b64 s[8:9], s[10:11]
	s_cbranch_execz .LBB883_232
; %bb.229:
	s_movk_i32 s10, 0x7f
	v_and_b32_e32 v34, 0x7f, v35
	v_cmp_ne_u32_e32 vcc, s10, v34
	v_mov_b32_e32 v52, 0x7f80
	s_and_saveexec_b64 s[10:11], vcc
	s_cbranch_execz .LBB883_231
; %bb.230:
	v_and_b32_e32 v54, 7, v35
	v_ffbh_u32_e32 v53, v54
	v_min_u32_e32 v56, 32, v53
	v_mov_b32_e32 v52, v35
	v_subrev_u32_e32 v53, 28, v56
	v_lshlrev_b64 v[52:53], v53, v[52:53]
	v_lshrrev_b32_e32 v55, 3, v34
	v_sub_u32_e32 v53, 29, v56
	v_and_b32_e32 v52, 7, v52
	v_cmp_gt_u32_e32 vcc, 8, v34
	v_cndmask_b32_e32 v34, v55, v53, vcc
	v_cndmask_b32_e32 v52, v54, v52, vcc
	v_lshlrev_b32_e32 v53, 24, v35
	v_bfrev_b32_e32 v54, 60
	v_lshlrev_b32_e32 v52, 20, v52
	v_and_b32_e32 v53, 0x80000000, v53
	v_lshl_add_u32 v34, v34, 23, v54
	v_or3_b32 v34, v53, v34, v52
	v_lshrrev_b32_e32 v52, 16, v34
.LBB883_231:
	s_or_b64 exec, exec, s[10:11]
.LBB883_232:
	s_or_b64 exec, exec, s[8:9]
.LBB883_233:
	s_or_b64 exec, exec, s[2:3]
	v_lshrrev_b16_e32 v34, 8, v35
	v_cmp_ne_u16_e32 vcc, 0, v34
	s_and_saveexec_b64 s[2:3], vcc
	s_cbranch_execz .LBB883_239
; %bb.234:
	s_movk_i32 s8, 0x80
	v_cmp_ne_u16_e32 vcc, s8, v34
	v_mov_b32_e32 v42, 0xffff8000
	s_and_saveexec_b64 s[8:9], vcc
	s_cbranch_execz .LBB883_238
; %bb.235:
	s_movk_i32 s10, 0x7f
	v_and_b32_e32 v53, 0x7f, v34
	v_cmp_ne_u32_e32 vcc, s10, v53
	v_mov_b32_e32 v42, 0x7f80
	s_and_saveexec_b64 s[10:11], vcc
	s_cbranch_execz .LBB883_237
; %bb.236:
	v_and_b32_e32 v42, 7, v34
	v_ffbh_u32_e32 v54, v42
	v_min_u32_e32 v57, 32, v54
	v_subrev_u32_e32 v54, 28, v57
	v_lshlrev_b64 v[54:55], v54, v[34:35]
	v_lshrrev_b32_e32 v56, 3, v53
	v_sub_u32_e32 v34, 29, v57
	v_and_b32_e32 v54, 7, v54
	v_cmp_gt_u32_e32 vcc, 8, v53
	v_cndmask_b32_e32 v34, v56, v34, vcc
	v_cndmask_b32_e32 v42, v42, v54, vcc
	v_lshlrev_b32_e32 v53, 16, v35
	v_bfrev_b32_e32 v54, 60
	v_lshlrev_b32_e32 v42, 20, v42
	v_and_b32_e32 v53, 0x80000000, v53
	v_lshl_add_u32 v34, v34, 23, v54
	v_or3_b32 v34, v53, v34, v42
	v_lshrrev_b32_e32 v42, 16, v34
.LBB883_237:
	s_or_b64 exec, exec, s[10:11]
.LBB883_238:
	s_or_b64 exec, exec, s[8:9]
.LBB883_239:
	s_or_b64 exec, exec, s[2:3]
	s_movk_i32 s2, 0xff
	v_and_b32_sdwa v55, v35, s2 dst_sel:DWORD dst_unused:UNUSED_PAD src0_sel:WORD_1 src1_sel:DWORD
	v_lshrrev_b32_e32 v34, 16, v35
	v_cmp_ne_u16_e32 vcc, 0, v55
	v_mov_b32_e32 v53, 0
	v_mov_b32_e32 v54, 0
	s_and_saveexec_b64 s[2:3], vcc
	s_cbranch_execz .LBB883_245
; %bb.240:
	s_movk_i32 s8, 0x80
	v_cmp_ne_u16_e32 vcc, s8, v55
	v_mov_b32_e32 v54, 0xffff8000
	s_and_saveexec_b64 s[8:9], vcc
	s_cbranch_execz .LBB883_244
; %bb.241:
	v_bfe_u32 v55, v35, 16, 7
	s_movk_i32 s10, 0x7f
	v_cmp_ne_u32_e32 vcc, s10, v55
	v_mov_b32_e32 v54, 0x7f80
	s_and_saveexec_b64 s[10:11], vcc
	s_cbranch_execz .LBB883_243
; %bb.242:
	v_and_b32_e32 v54, 7, v34
	v_ffbh_u32_e32 v56, v54
	v_min_u32_e32 v59, 32, v56
	v_subrev_u32_e32 v56, 28, v59
	v_lshlrev_b64 v[56:57], v56, v[34:35]
	v_lshrrev_b32_e32 v58, 3, v55
	v_sub_u32_e32 v34, 29, v59
	v_and_b32_e32 v56, 7, v56
	v_cmp_gt_u32_e32 vcc, 8, v55
	v_mov_b32_e32 v55, 24
	v_cndmask_b32_e32 v34, v58, v34, vcc
	v_cndmask_b32_e32 v54, v54, v56, vcc
	v_lshlrev_b32_sdwa v55, v55, v35 dst_sel:DWORD dst_unused:UNUSED_PAD src0_sel:DWORD src1_sel:WORD_1
	v_bfrev_b32_e32 v56, 60
	v_lshlrev_b32_e32 v54, 20, v54
	v_and_b32_e32 v55, 0x80000000, v55
	v_lshl_add_u32 v34, v34, 23, v56
	v_or3_b32 v34, v55, v34, v54
	v_lshrrev_b32_e32 v54, 16, v34
.LBB883_243:
	s_or_b64 exec, exec, s[10:11]
.LBB883_244:
	s_or_b64 exec, exec, s[8:9]
.LBB883_245:
	s_or_b64 exec, exec, s[2:3]
	s_mov_b32 s2, 0xffffff
	v_cmp_lt_u32_e32 vcc, s2, v35
	s_and_saveexec_b64 s[2:3], vcc
	s_cbranch_execz .LBB883_251
; %bb.246:
	v_lshrrev_b32_e32 v34, 24, v35
	s_movk_i32 s8, 0x80
	v_cmp_ne_u32_e32 vcc, s8, v34
	v_mov_b32_e32 v53, 0xffff8000
	s_and_saveexec_b64 s[8:9], vcc
	s_cbranch_execz .LBB883_250
; %bb.247:
	v_bfe_u32 v35, v35, 24, 7
	s_movk_i32 s10, 0x7f
	v_cmp_ne_u32_e32 vcc, s10, v35
	v_mov_b32_e32 v53, 0x7f80
	s_and_saveexec_b64 s[10:11], vcc
	s_cbranch_execz .LBB883_249
; %bb.248:
	v_and_b32_e32 v53, 7, v34
	v_ffbh_u32_e32 v56, v53
	v_min_u32_e32 v58, 32, v56
	v_subrev_u32_e32 v56, 28, v58
	v_lshlrev_b64 v[56:57], v56, v[34:35]
	v_lshrrev_b32_e32 v55, 3, v35
	v_sub_u32_e32 v57, 29, v58
	v_and_b32_e32 v56, 7, v56
	v_cmp_gt_u32_e32 vcc, 8, v35
	v_cndmask_b32_e32 v35, v55, v57, vcc
	v_cndmask_b32_e32 v53, v53, v56, vcc
	v_lshlrev_b32_e32 v34, 24, v34
	v_bfrev_b32_e32 v55, 60
	v_lshlrev_b32_e32 v53, 20, v53
	v_and_b32_e32 v34, 0x80000000, v34
	v_lshl_add_u32 v35, v35, 23, v55
	v_or3_b32 v34, v34, v35, v53
	v_lshrrev_b32_e32 v53, 16, v34
.LBB883_249:
	s_or_b64 exec, exec, s[10:11]
.LBB883_250:
	s_or_b64 exec, exec, s[8:9]
.LBB883_251:
	s_or_b64 exec, exec, s[2:3]
	s_mov_b32 s2, 0x5040100
	v_perm_b32 v35, v45, v51, s2
	v_perm_b32 v34, v43, v44, s2
	;; [unrolled: 1-line block ×4, first 2 shown]
	v_mov_b32_e32 v51, 0
	v_mfma_f32_16x16x16bf16_1k v[56:59], v[34:35], v[26:27], 0
	v_mov_b32_e32 v35, 0
	v_cmp_ne_u16_sdwa s[8:9], v36, v35 src0_sel:BYTE_0 src1_sel:DWORD
	v_mfma_f32_16x16x16bf16_1k v[42:45], v[42:43], v[28:29], v[56:59]
	s_and_saveexec_b64 s[2:3], s[8:9]
	s_cbranch_execz .LBB883_257
; %bb.252:
	s_movk_i32 s8, 0x80
	v_cmp_ne_u16_sdwa s[10:11], v36, s8 src0_sel:BYTE_0 src1_sel:DWORD
	v_mov_b32_e32 v51, 0xffff8000
	s_and_saveexec_b64 s[8:9], s[10:11]
	s_cbranch_execz .LBB883_256
; %bb.253:
	s_movk_i32 s10, 0x7f
	v_and_b32_e32 v34, 0x7f, v36
	v_cmp_ne_u32_e32 vcc, s10, v34
	v_mov_b32_e32 v51, 0x7f80
	s_and_saveexec_b64 s[10:11], vcc
	s_cbranch_execz .LBB883_255
; %bb.254:
	v_and_b32_e32 v51, 7, v36
	v_ffbh_u32_e32 v52, v51
	v_min_u32_e32 v55, 32, v52
	v_subrev_u32_e32 v52, 28, v55
	v_lshlrev_b64 v[52:53], v52, v[36:37]
	v_lshrrev_b32_e32 v54, 3, v34
	v_sub_u32_e32 v53, 29, v55
	v_and_b32_e32 v52, 7, v52
	v_cmp_gt_u32_e32 vcc, 8, v34
	v_cndmask_b32_e32 v34, v54, v53, vcc
	v_cndmask_b32_e32 v51, v51, v52, vcc
	v_lshlrev_b32_e32 v52, 24, v36
	v_bfrev_b32_e32 v53, 60
	v_lshlrev_b32_e32 v51, 20, v51
	v_and_b32_e32 v52, 0x80000000, v52
	v_lshl_add_u32 v34, v34, 23, v53
	v_or3_b32 v34, v52, v34, v51
	v_lshrrev_b32_e32 v51, 16, v34
.LBB883_255:
	s_or_b64 exec, exec, s[10:11]
.LBB883_256:
	s_or_b64 exec, exec, s[8:9]
.LBB883_257:
	s_or_b64 exec, exec, s[2:3]
	v_lshrrev_b16_e32 v34, 8, v36
	v_cmp_ne_u16_e32 vcc, 0, v34
	s_and_saveexec_b64 s[2:3], vcc
	s_cbranch_execz .LBB883_263
; %bb.258:
	s_movk_i32 s8, 0x80
	v_cmp_ne_u16_e32 vcc, s8, v34
	v_mov_b32_e32 v35, 0xffff8000
	s_and_saveexec_b64 s[8:9], vcc
	s_cbranch_execz .LBB883_262
; %bb.259:
	s_movk_i32 s10, 0x7f
	v_and_b32_e32 v52, 0x7f, v34
	v_cmp_ne_u32_e32 vcc, s10, v52
	v_mov_b32_e32 v35, 0x7f80
	s_and_saveexec_b64 s[10:11], vcc
	s_cbranch_execz .LBB883_261
; %bb.260:
	v_and_b32_e32 v53, 7, v34
	v_ffbh_u32_e32 v35, v53
	v_min_u32_e32 v55, 32, v35
	v_subrev_u32_e32 v35, 28, v55
	v_lshlrev_b64 v[34:35], v35, v[34:35]
	v_lshrrev_b32_e32 v54, 3, v52
	v_sub_u32_e32 v35, 29, v55
	v_and_b32_e32 v34, 7, v34
	v_cmp_gt_u32_e32 vcc, 8, v52
	v_cndmask_b32_e32 v35, v54, v35, vcc
	v_cndmask_b32_e32 v34, v53, v34, vcc
	v_lshlrev_b32_e32 v52, 16, v36
	v_bfrev_b32_e32 v53, 60
	v_lshlrev_b32_e32 v34, 20, v34
	v_and_b32_e32 v52, 0x80000000, v52
	v_lshl_add_u32 v35, v35, 23, v53
	v_or3_b32 v34, v52, v35, v34
	v_lshrrev_b32_e32 v35, 16, v34
.LBB883_261:
	s_or_b64 exec, exec, s[10:11]
.LBB883_262:
	s_or_b64 exec, exec, s[8:9]
.LBB883_263:
	s_or_b64 exec, exec, s[2:3]
	s_movk_i32 s2, 0xff
	v_and_b32_sdwa v54, v36, s2 dst_sel:DWORD dst_unused:UNUSED_PAD src0_sel:WORD_1 src1_sel:DWORD
	v_lshrrev_b32_e32 v34, 16, v36
	v_cmp_ne_u16_e32 vcc, 0, v54
	v_mov_b32_e32 v52, 0
	v_mov_b32_e32 v53, 0
	s_and_saveexec_b64 s[2:3], vcc
	s_cbranch_execz .LBB883_269
; %bb.264:
	s_movk_i32 s8, 0x80
	v_cmp_ne_u16_e32 vcc, s8, v54
	v_mov_b32_e32 v53, 0xffff8000
	s_and_saveexec_b64 s[8:9], vcc
	s_cbranch_execz .LBB883_268
; %bb.265:
	v_bfe_u32 v54, v36, 16, 7
	s_movk_i32 s10, 0x7f
	v_cmp_ne_u32_e32 vcc, s10, v54
	v_mov_b32_e32 v53, 0x7f80
	s_and_saveexec_b64 s[10:11], vcc
	s_cbranch_execz .LBB883_267
; %bb.266:
	v_and_b32_e32 v53, 7, v34
	v_ffbh_u32_e32 v56, v53
	v_min_u32_e32 v58, 32, v56
	v_subrev_u32_e32 v56, 28, v58
	v_lshlrev_b64 v[56:57], v56, v[34:35]
	v_lshrrev_b32_e32 v55, 3, v54
	v_sub_u32_e32 v34, 29, v58
	v_and_b32_e32 v56, 7, v56
	v_cmp_gt_u32_e32 vcc, 8, v54
	v_mov_b32_e32 v54, 24
	v_cndmask_b32_e32 v34, v55, v34, vcc
	v_cndmask_b32_e32 v53, v53, v56, vcc
	v_lshlrev_b32_sdwa v54, v54, v36 dst_sel:DWORD dst_unused:UNUSED_PAD src0_sel:DWORD src1_sel:WORD_1
	v_bfrev_b32_e32 v55, 60
	v_lshlrev_b32_e32 v53, 20, v53
	v_and_b32_e32 v54, 0x80000000, v54
	v_lshl_add_u32 v34, v34, 23, v55
	v_or3_b32 v34, v54, v34, v53
	v_lshrrev_b32_e32 v53, 16, v34
.LBB883_267:
	s_or_b64 exec, exec, s[10:11]
.LBB883_268:
	s_or_b64 exec, exec, s[8:9]
.LBB883_269:
	s_or_b64 exec, exec, s[2:3]
	s_mov_b32 s2, 0xffffff
	v_cmp_lt_u32_e32 vcc, s2, v36
	s_and_saveexec_b64 s[2:3], vcc
	s_cbranch_execz .LBB883_275
; %bb.270:
	v_lshrrev_b32_e32 v34, 24, v36
	s_movk_i32 s8, 0x80
	v_cmp_ne_u32_e32 vcc, s8, v34
	v_mov_b32_e32 v52, 0xffff8000
	s_and_saveexec_b64 s[8:9], vcc
	s_cbranch_execz .LBB883_274
; %bb.271:
	v_bfe_u32 v36, v36, 24, 7
	s_movk_i32 s10, 0x7f
	v_cmp_ne_u32_e32 vcc, s10, v36
	v_mov_b32_e32 v52, 0x7f80
	s_and_saveexec_b64 s[10:11], vcc
	s_cbranch_execz .LBB883_273
; %bb.272:
	v_and_b32_e32 v52, 7, v34
	v_ffbh_u32_e32 v54, v52
	v_min_u32_e32 v57, 32, v54
	v_subrev_u32_e32 v54, 28, v57
	v_lshlrev_b64 v[54:55], v54, v[34:35]
	v_lshrrev_b32_e32 v56, 3, v36
	v_sub_u32_e32 v55, 29, v57
	v_and_b32_e32 v54, 7, v54
	v_cmp_gt_u32_e32 vcc, 8, v36
	v_cndmask_b32_e32 v36, v56, v55, vcc
	v_cndmask_b32_e32 v52, v52, v54, vcc
	v_lshlrev_b32_e32 v34, 24, v34
	v_bfrev_b32_e32 v54, 60
	v_lshlrev_b32_e32 v52, 20, v52
	v_and_b32_e32 v34, 0x80000000, v34
	v_lshl_add_u32 v36, v36, 23, v54
	v_or3_b32 v34, v34, v36, v52
	v_lshrrev_b32_e32 v52, 16, v34
.LBB883_273:
	s_or_b64 exec, exec, s[10:11]
.LBB883_274:
	s_or_b64 exec, exec, s[8:9]
.LBB883_275:
	s_or_b64 exec, exec, s[2:3]
	v_mov_b32_e32 v36, 0
	v_cmp_ne_u16_sdwa s[8:9], v37, v36 src0_sel:BYTE_0 src1_sel:DWORD
	v_mov_b32_e32 v54, 0
	s_and_saveexec_b64 s[2:3], s[8:9]
	s_cbranch_execz .LBB883_281
; %bb.276:
	s_movk_i32 s8, 0x80
	v_cmp_ne_u16_sdwa s[10:11], v37, s8 src0_sel:BYTE_0 src1_sel:DWORD
	v_mov_b32_e32 v54, 0xffff8000
	s_and_saveexec_b64 s[8:9], s[10:11]
	s_cbranch_execz .LBB883_280
; %bb.277:
	s_movk_i32 s10, 0x7f
	v_and_b32_e32 v34, 0x7f, v37
	v_cmp_ne_u32_e32 vcc, s10, v34
	v_mov_b32_e32 v54, 0x7f80
	s_and_saveexec_b64 s[10:11], vcc
	s_cbranch_execz .LBB883_279
; %bb.278:
	v_and_b32_e32 v56, 7, v37
	v_ffbh_u32_e32 v55, v56
	v_min_u32_e32 v58, 32, v55
	v_mov_b32_e32 v54, v37
	v_subrev_u32_e32 v55, 28, v58
	v_lshlrev_b64 v[54:55], v55, v[54:55]
	v_lshrrev_b32_e32 v57, 3, v34
	v_sub_u32_e32 v55, 29, v58
	v_and_b32_e32 v54, 7, v54
	v_cmp_gt_u32_e32 vcc, 8, v34
	v_cndmask_b32_e32 v34, v57, v55, vcc
	v_cndmask_b32_e32 v54, v56, v54, vcc
	v_lshlrev_b32_e32 v55, 24, v37
	v_bfrev_b32_e32 v56, 60
	v_lshlrev_b32_e32 v54, 20, v54
	v_and_b32_e32 v55, 0x80000000, v55
	v_lshl_add_u32 v34, v34, 23, v56
	v_or3_b32 v34, v55, v34, v54
	v_lshrrev_b32_e32 v54, 16, v34
.LBB883_279:
	s_or_b64 exec, exec, s[10:11]
.LBB883_280:
	s_or_b64 exec, exec, s[8:9]
.LBB883_281:
	s_or_b64 exec, exec, s[2:3]
	v_lshrrev_b16_e32 v34, 8, v37
	v_cmp_ne_u16_e32 vcc, 0, v34
	s_and_saveexec_b64 s[2:3], vcc
	s_cbranch_execz .LBB883_287
; %bb.282:
	s_movk_i32 s8, 0x80
	v_cmp_ne_u16_e32 vcc, s8, v34
	v_mov_b32_e32 v36, 0xffff8000
	s_and_saveexec_b64 s[8:9], vcc
	s_cbranch_execz .LBB883_286
; %bb.283:
	s_movk_i32 s10, 0x7f
	v_and_b32_e32 v55, 0x7f, v34
	v_cmp_ne_u32_e32 vcc, s10, v55
	v_mov_b32_e32 v36, 0x7f80
	s_and_saveexec_b64 s[10:11], vcc
	s_cbranch_execz .LBB883_285
; %bb.284:
	v_and_b32_e32 v36, 7, v34
	v_ffbh_u32_e32 v56, v36
	v_min_u32_e32 v59, 32, v56
	v_subrev_u32_e32 v56, 28, v59
	v_lshlrev_b64 v[56:57], v56, v[34:35]
	v_lshrrev_b32_e32 v58, 3, v55
	v_sub_u32_e32 v34, 29, v59
	v_and_b32_e32 v56, 7, v56
	v_cmp_gt_u32_e32 vcc, 8, v55
	v_cndmask_b32_e32 v34, v58, v34, vcc
	v_cndmask_b32_e32 v36, v36, v56, vcc
	v_lshlrev_b32_e32 v55, 16, v37
	v_bfrev_b32_e32 v56, 60
	v_lshlrev_b32_e32 v36, 20, v36
	v_and_b32_e32 v55, 0x80000000, v55
	v_lshl_add_u32 v34, v34, 23, v56
	v_or3_b32 v34, v55, v34, v36
	v_lshrrev_b32_e32 v36, 16, v34
.LBB883_285:
	s_or_b64 exec, exec, s[10:11]
.LBB883_286:
	s_or_b64 exec, exec, s[8:9]
.LBB883_287:
	s_or_b64 exec, exec, s[2:3]
	s_movk_i32 s2, 0xff
	v_and_b32_sdwa v57, v37, s2 dst_sel:DWORD dst_unused:UNUSED_PAD src0_sel:WORD_1 src1_sel:DWORD
	v_lshrrev_b32_e32 v34, 16, v37
	v_cmp_ne_u16_e32 vcc, 0, v57
	v_mov_b32_e32 v55, 0
	v_mov_b32_e32 v56, 0
	s_and_saveexec_b64 s[2:3], vcc
	s_cbranch_execz .LBB883_293
; %bb.288:
	s_movk_i32 s8, 0x80
	v_cmp_ne_u16_e32 vcc, s8, v57
	v_mov_b32_e32 v56, 0xffff8000
	s_and_saveexec_b64 s[8:9], vcc
	s_cbranch_execz .LBB883_292
; %bb.289:
	v_bfe_u32 v57, v37, 16, 7
	s_movk_i32 s10, 0x7f
	v_cmp_ne_u32_e32 vcc, s10, v57
	v_mov_b32_e32 v56, 0x7f80
	s_and_saveexec_b64 s[10:11], vcc
	s_cbranch_execz .LBB883_291
; %bb.290:
	v_and_b32_e32 v56, 7, v34
	v_ffbh_u32_e32 v58, v56
	v_min_u32_e32 v61, 32, v58
	v_subrev_u32_e32 v58, 28, v61
	v_lshlrev_b64 v[58:59], v58, v[34:35]
	v_lshrrev_b32_e32 v60, 3, v57
	v_sub_u32_e32 v34, 29, v61
	v_and_b32_e32 v58, 7, v58
	v_cmp_gt_u32_e32 vcc, 8, v57
	v_mov_b32_e32 v57, 24
	v_cndmask_b32_e32 v34, v60, v34, vcc
	v_cndmask_b32_e32 v56, v56, v58, vcc
	v_lshlrev_b32_sdwa v57, v57, v37 dst_sel:DWORD dst_unused:UNUSED_PAD src0_sel:DWORD src1_sel:WORD_1
	v_bfrev_b32_e32 v58, 60
	v_lshlrev_b32_e32 v56, 20, v56
	v_and_b32_e32 v57, 0x80000000, v57
	v_lshl_add_u32 v34, v34, 23, v58
	v_or3_b32 v34, v57, v34, v56
	v_lshrrev_b32_e32 v56, 16, v34
.LBB883_291:
	s_or_b64 exec, exec, s[10:11]
.LBB883_292:
	s_or_b64 exec, exec, s[8:9]
.LBB883_293:
	s_or_b64 exec, exec, s[2:3]
	s_mov_b32 s2, 0xffffff
	v_cmp_lt_u32_e32 vcc, s2, v37
	s_and_saveexec_b64 s[2:3], vcc
	s_cbranch_execz .LBB883_299
; %bb.294:
	v_lshrrev_b32_e32 v34, 24, v37
	s_movk_i32 s8, 0x80
	v_cmp_ne_u32_e32 vcc, s8, v34
	v_mov_b32_e32 v55, 0xffff8000
	s_and_saveexec_b64 s[8:9], vcc
	s_cbranch_execz .LBB883_298
; %bb.295:
	v_bfe_u32 v37, v37, 24, 7
	s_movk_i32 s10, 0x7f
	v_cmp_ne_u32_e32 vcc, s10, v37
	v_mov_b32_e32 v55, 0x7f80
	s_and_saveexec_b64 s[10:11], vcc
	s_cbranch_execz .LBB883_297
; %bb.296:
	v_and_b32_e32 v55, 7, v34
	v_ffbh_u32_e32 v58, v55
	v_min_u32_e32 v60, 32, v58
	v_subrev_u32_e32 v58, 28, v60
	v_lshlrev_b64 v[58:59], v58, v[34:35]
	v_lshrrev_b32_e32 v57, 3, v37
	v_sub_u32_e32 v59, 29, v60
	v_and_b32_e32 v58, 7, v58
	v_cmp_gt_u32_e32 vcc, 8, v37
	v_cndmask_b32_e32 v37, v57, v59, vcc
	v_cndmask_b32_e32 v55, v55, v58, vcc
	v_lshlrev_b32_e32 v34, 24, v34
	v_bfrev_b32_e32 v57, 60
	v_lshlrev_b32_e32 v55, 20, v55
	v_and_b32_e32 v34, 0x80000000, v34
	v_lshl_add_u32 v37, v37, 23, v57
	v_or3_b32 v34, v34, v37, v55
	v_lshrrev_b32_e32 v55, 16, v34
.LBB883_297:
	s_or_b64 exec, exec, s[10:11]
.LBB883_298:
	s_or_b64 exec, exec, s[8:9]
.LBB883_299:
	s_or_b64 exec, exec, s[2:3]
	s_mov_b32 s2, 0x5040100
	v_perm_b32 v53, v52, v53, s2
	v_perm_b32 v52, v35, v51, s2
	;; [unrolled: 1-line block ×4, first 2 shown]
	v_mfma_f32_16x16x16bf16_1k v[58:61], v[52:53], v[18:19], v[42:45]
	s_nop 6
	v_mov_b32_e32 v43, 0
	s_waitcnt vmcnt(4)
	v_cmp_ne_u16_sdwa s[8:9], v22, v43 src0_sel:BYTE_0 src1_sel:DWORD
	v_mfma_f32_16x16x16bf16_1k v[34:37], v[34:35], v[20:21], v[58:61]
	v_mov_b32_e32 v44, 0
	s_and_saveexec_b64 s[2:3], s[8:9]
	s_cbranch_execz .LBB883_305
; %bb.300:
	s_movk_i32 s8, 0x80
	v_cmp_ne_u16_sdwa s[10:11], v22, s8 src0_sel:BYTE_0 src1_sel:DWORD
	v_mov_b32_e32 v44, 0xffff8000
	s_and_saveexec_b64 s[8:9], s[10:11]
	s_cbranch_execz .LBB883_304
; %bb.301:
	s_movk_i32 s10, 0x7f
	v_and_b32_e32 v42, 0x7f, v22
	v_cmp_ne_u32_e32 vcc, s10, v42
	v_mov_b32_e32 v44, 0x7f80
	s_and_saveexec_b64 s[10:11], vcc
	s_cbranch_execz .LBB883_303
; %bb.302:
	v_and_b32_e32 v51, 7, v22
	v_ffbh_u32_e32 v44, v51
	v_min_u32_e32 v53, 32, v44
	v_subrev_u32_e32 v44, 28, v53
	v_lshlrev_b64 v[44:45], v44, v[22:23]
	v_lshrrev_b32_e32 v52, 3, v42
	v_sub_u32_e32 v45, 29, v53
	v_and_b32_e32 v44, 7, v44
	v_cmp_gt_u32_e32 vcc, 8, v42
	v_cndmask_b32_e32 v42, v52, v45, vcc
	v_cndmask_b32_e32 v44, v51, v44, vcc
	v_lshlrev_b32_e32 v45, 24, v22
	v_bfrev_b32_e32 v51, 60
	v_lshlrev_b32_e32 v44, 20, v44
	v_and_b32_e32 v45, 0x80000000, v45
	v_lshl_add_u32 v42, v42, 23, v51
	v_or3_b32 v42, v45, v42, v44
	v_lshrrev_b32_e32 v44, 16, v42
.LBB883_303:
	s_or_b64 exec, exec, s[10:11]
.LBB883_304:
	s_or_b64 exec, exec, s[8:9]
.LBB883_305:
	s_or_b64 exec, exec, s[2:3]
	v_lshrrev_b16_e32 v42, 8, v22
	v_cmp_ne_u16_e32 vcc, 0, v42
	s_and_saveexec_b64 s[2:3], vcc
	s_cbranch_execz .LBB883_311
; %bb.306:
	s_movk_i32 s8, 0x80
	v_cmp_ne_u16_e32 vcc, s8, v42
	v_mov_b32_e32 v43, 0xffff8000
	s_and_saveexec_b64 s[8:9], vcc
	s_cbranch_execz .LBB883_310
; %bb.307:
	s_movk_i32 s10, 0x7f
	v_and_b32_e32 v45, 0x7f, v42
	v_cmp_ne_u32_e32 vcc, s10, v45
	v_mov_b32_e32 v43, 0x7f80
	s_and_saveexec_b64 s[10:11], vcc
	s_cbranch_execz .LBB883_309
; %bb.308:
	v_and_b32_e32 v51, 7, v42
	v_ffbh_u32_e32 v43, v51
	v_min_u32_e32 v53, 32, v43
	v_subrev_u32_e32 v43, 28, v53
	v_lshlrev_b64 v[42:43], v43, v[42:43]
	v_lshrrev_b32_e32 v52, 3, v45
	v_sub_u32_e32 v43, 29, v53
	v_and_b32_e32 v42, 7, v42
	v_cmp_gt_u32_e32 vcc, 8, v45
	v_cndmask_b32_e32 v43, v52, v43, vcc
	v_cndmask_b32_e32 v42, v51, v42, vcc
	v_lshlrev_b32_e32 v45, 16, v22
	v_bfrev_b32_e32 v51, 60
	v_lshlrev_b32_e32 v42, 20, v42
	v_and_b32_e32 v45, 0x80000000, v45
	v_lshl_add_u32 v43, v43, 23, v51
	v_or3_b32 v42, v45, v43, v42
	v_lshrrev_b32_e32 v43, 16, v42
.LBB883_309:
	s_or_b64 exec, exec, s[10:11]
.LBB883_310:
	s_or_b64 exec, exec, s[8:9]
.LBB883_311:
	s_or_b64 exec, exec, s[2:3]
	s_movk_i32 s2, 0xff
	v_and_b32_sdwa v52, v22, s2 dst_sel:DWORD dst_unused:UNUSED_PAD src0_sel:WORD_1 src1_sel:DWORD
	v_lshrrev_b32_e32 v42, 16, v22
	v_cmp_ne_u16_e32 vcc, 0, v52
	v_mov_b32_e32 v45, 0
	v_mov_b32_e32 v51, 0
	s_and_saveexec_b64 s[2:3], vcc
	s_cbranch_execz .LBB883_317
; %bb.312:
	s_movk_i32 s8, 0x80
	v_cmp_ne_u16_e32 vcc, s8, v52
	v_mov_b32_e32 v51, 0xffff8000
	s_and_saveexec_b64 s[8:9], vcc
	s_cbranch_execz .LBB883_316
; %bb.313:
	v_bfe_u32 v52, v22, 16, 7
	s_movk_i32 s10, 0x7f
	v_cmp_ne_u32_e32 vcc, s10, v52
	v_mov_b32_e32 v51, 0x7f80
	s_and_saveexec_b64 s[10:11], vcc
	s_cbranch_execz .LBB883_315
; %bb.314:
	v_and_b32_e32 v51, 7, v42
	v_ffbh_u32_e32 v54, v51
	v_min_u32_e32 v56, 32, v54
	v_subrev_u32_e32 v54, 28, v56
	v_lshlrev_b64 v[54:55], v54, v[42:43]
	v_lshrrev_b32_e32 v53, 3, v52
	v_sub_u32_e32 v42, 29, v56
	v_and_b32_e32 v54, 7, v54
	v_cmp_gt_u32_e32 vcc, 8, v52
	v_mov_b32_e32 v52, 24
	v_cndmask_b32_e32 v42, v53, v42, vcc
	v_cndmask_b32_e32 v51, v51, v54, vcc
	v_lshlrev_b32_sdwa v52, v52, v22 dst_sel:DWORD dst_unused:UNUSED_PAD src0_sel:DWORD src1_sel:WORD_1
	v_bfrev_b32_e32 v53, 60
	v_lshlrev_b32_e32 v51, 20, v51
	v_and_b32_e32 v52, 0x80000000, v52
	v_lshl_add_u32 v42, v42, 23, v53
	v_or3_b32 v42, v52, v42, v51
	v_lshrrev_b32_e32 v51, 16, v42
.LBB883_315:
	s_or_b64 exec, exec, s[10:11]
.LBB883_316:
	s_or_b64 exec, exec, s[8:9]
.LBB883_317:
	s_or_b64 exec, exec, s[2:3]
	s_mov_b32 s2, 0xffffff
	v_cmp_lt_u32_e32 vcc, s2, v22
	s_and_saveexec_b64 s[2:3], vcc
	s_cbranch_execz .LBB883_323
; %bb.318:
	v_lshrrev_b32_e32 v42, 24, v22
	s_movk_i32 s8, 0x80
	v_cmp_ne_u32_e32 vcc, s8, v42
	v_mov_b32_e32 v45, 0xffff8000
	s_and_saveexec_b64 s[8:9], vcc
	s_cbranch_execz .LBB883_322
; %bb.319:
	v_bfe_u32 v22, v22, 24, 7
	s_movk_i32 s10, 0x7f
	v_cmp_ne_u32_e32 vcc, s10, v22
	v_mov_b32_e32 v45, 0x7f80
	s_and_saveexec_b64 s[10:11], vcc
	s_cbranch_execz .LBB883_321
; %bb.320:
	v_and_b32_e32 v45, 7, v42
	v_ffbh_u32_e32 v52, v45
	v_min_u32_e32 v55, 32, v52
	v_subrev_u32_e32 v52, 28, v55
	v_lshlrev_b64 v[52:53], v52, v[42:43]
	v_lshrrev_b32_e32 v54, 3, v22
	v_sub_u32_e32 v53, 29, v55
	v_and_b32_e32 v52, 7, v52
	v_cmp_gt_u32_e32 vcc, 8, v22
	v_cndmask_b32_e32 v22, v54, v53, vcc
	v_cndmask_b32_e32 v45, v45, v52, vcc
	v_lshlrev_b32_e32 v42, 24, v42
	v_bfrev_b32_e32 v52, 60
	v_lshlrev_b32_e32 v45, 20, v45
	v_and_b32_e32 v42, 0x80000000, v42
	v_lshl_add_u32 v22, v22, 23, v52
	v_or3_b32 v22, v42, v22, v45
	v_lshrrev_b32_e32 v45, 16, v22
.LBB883_321:
	s_or_b64 exec, exec, s[10:11]
.LBB883_322:
	s_or_b64 exec, exec, s[8:9]
.LBB883_323:
	s_or_b64 exec, exec, s[2:3]
	v_mov_b32_e32 v42, 0
	v_cmp_ne_u16_sdwa s[8:9], v23, v42 src0_sel:BYTE_0 src1_sel:DWORD
	v_mov_b32_e32 v52, 0
	s_and_saveexec_b64 s[2:3], s[8:9]
	s_cbranch_execz .LBB883_329
; %bb.324:
	s_movk_i32 s8, 0x80
	v_cmp_ne_u16_sdwa s[10:11], v23, s8 src0_sel:BYTE_0 src1_sel:DWORD
	v_mov_b32_e32 v52, 0xffff8000
	s_and_saveexec_b64 s[8:9], s[10:11]
	s_cbranch_execz .LBB883_328
; %bb.325:
	s_movk_i32 s10, 0x7f
	v_and_b32_e32 v22, 0x7f, v23
	v_cmp_ne_u32_e32 vcc, s10, v22
	v_mov_b32_e32 v52, 0x7f80
	s_and_saveexec_b64 s[10:11], vcc
	s_cbranch_execz .LBB883_327
; %bb.326:
	v_and_b32_e32 v54, 7, v23
	v_ffbh_u32_e32 v53, v54
	v_min_u32_e32 v56, 32, v53
	v_mov_b32_e32 v52, v23
	v_subrev_u32_e32 v53, 28, v56
	v_lshlrev_b64 v[52:53], v53, v[52:53]
	v_lshrrev_b32_e32 v55, 3, v22
	v_sub_u32_e32 v53, 29, v56
	v_and_b32_e32 v52, 7, v52
	v_cmp_gt_u32_e32 vcc, 8, v22
	v_cndmask_b32_e32 v22, v55, v53, vcc
	v_cndmask_b32_e32 v52, v54, v52, vcc
	v_lshlrev_b32_e32 v53, 24, v23
	v_bfrev_b32_e32 v54, 60
	v_lshlrev_b32_e32 v52, 20, v52
	v_and_b32_e32 v53, 0x80000000, v53
	v_lshl_add_u32 v22, v22, 23, v54
	v_or3_b32 v22, v53, v22, v52
	v_lshrrev_b32_e32 v52, 16, v22
.LBB883_327:
	s_or_b64 exec, exec, s[10:11]
.LBB883_328:
	s_or_b64 exec, exec, s[8:9]
.LBB883_329:
	s_or_b64 exec, exec, s[2:3]
	v_lshrrev_b16_e32 v22, 8, v23
	v_cmp_ne_u16_e32 vcc, 0, v22
	s_and_saveexec_b64 s[2:3], vcc
	s_cbranch_execz .LBB883_335
; %bb.330:
	s_movk_i32 s8, 0x80
	v_cmp_ne_u16_e32 vcc, s8, v22
	v_mov_b32_e32 v42, 0xffff8000
	s_and_saveexec_b64 s[8:9], vcc
	s_cbranch_execz .LBB883_334
; %bb.331:
	s_movk_i32 s10, 0x7f
	v_and_b32_e32 v53, 0x7f, v22
	v_cmp_ne_u32_e32 vcc, s10, v53
	v_mov_b32_e32 v42, 0x7f80
	s_and_saveexec_b64 s[10:11], vcc
	s_cbranch_execz .LBB883_333
; %bb.332:
	v_and_b32_e32 v42, 7, v22
	v_ffbh_u32_e32 v54, v42
	v_min_u32_e32 v57, 32, v54
	v_subrev_u32_e32 v54, 28, v57
	v_lshlrev_b64 v[54:55], v54, v[22:23]
	v_lshrrev_b32_e32 v56, 3, v53
	v_sub_u32_e32 v22, 29, v57
	v_and_b32_e32 v54, 7, v54
	v_cmp_gt_u32_e32 vcc, 8, v53
	v_cndmask_b32_e32 v22, v56, v22, vcc
	v_cndmask_b32_e32 v42, v42, v54, vcc
	v_lshlrev_b32_e32 v53, 16, v23
	v_bfrev_b32_e32 v54, 60
	v_lshlrev_b32_e32 v42, 20, v42
	v_and_b32_e32 v53, 0x80000000, v53
	v_lshl_add_u32 v22, v22, 23, v54
	v_or3_b32 v22, v53, v22, v42
	v_lshrrev_b32_e32 v42, 16, v22
.LBB883_333:
	s_or_b64 exec, exec, s[10:11]
.LBB883_334:
	s_or_b64 exec, exec, s[8:9]
.LBB883_335:
	s_or_b64 exec, exec, s[2:3]
	s_movk_i32 s2, 0xff
	v_and_b32_sdwa v55, v23, s2 dst_sel:DWORD dst_unused:UNUSED_PAD src0_sel:WORD_1 src1_sel:DWORD
	v_lshrrev_b32_e32 v22, 16, v23
	v_cmp_ne_u16_e32 vcc, 0, v55
	v_mov_b32_e32 v53, 0
	v_mov_b32_e32 v54, 0
	s_and_saveexec_b64 s[2:3], vcc
	s_cbranch_execz .LBB883_341
; %bb.336:
	s_movk_i32 s8, 0x80
	v_cmp_ne_u16_e32 vcc, s8, v55
	v_mov_b32_e32 v54, 0xffff8000
	s_and_saveexec_b64 s[8:9], vcc
	s_cbranch_execz .LBB883_340
; %bb.337:
	v_bfe_u32 v55, v23, 16, 7
	s_movk_i32 s10, 0x7f
	v_cmp_ne_u32_e32 vcc, s10, v55
	v_mov_b32_e32 v54, 0x7f80
	s_and_saveexec_b64 s[10:11], vcc
	s_cbranch_execz .LBB883_339
; %bb.338:
	v_and_b32_e32 v54, 7, v22
	v_ffbh_u32_e32 v56, v54
	v_min_u32_e32 v59, 32, v56
	v_subrev_u32_e32 v56, 28, v59
	v_lshlrev_b64 v[56:57], v56, v[22:23]
	v_lshrrev_b32_e32 v58, 3, v55
	v_sub_u32_e32 v22, 29, v59
	v_and_b32_e32 v56, 7, v56
	v_cmp_gt_u32_e32 vcc, 8, v55
	v_mov_b32_e32 v55, 24
	v_cndmask_b32_e32 v22, v58, v22, vcc
	v_cndmask_b32_e32 v54, v54, v56, vcc
	v_lshlrev_b32_sdwa v55, v55, v23 dst_sel:DWORD dst_unused:UNUSED_PAD src0_sel:DWORD src1_sel:WORD_1
	v_bfrev_b32_e32 v56, 60
	v_lshlrev_b32_e32 v54, 20, v54
	v_and_b32_e32 v55, 0x80000000, v55
	v_lshl_add_u32 v22, v22, 23, v56
	v_or3_b32 v22, v55, v22, v54
	v_lshrrev_b32_e32 v54, 16, v22
.LBB883_339:
	s_or_b64 exec, exec, s[10:11]
.LBB883_340:
	s_or_b64 exec, exec, s[8:9]
.LBB883_341:
	s_or_b64 exec, exec, s[2:3]
	s_mov_b32 s2, 0xffffff
	v_cmp_lt_u32_e32 vcc, s2, v23
	s_and_saveexec_b64 s[2:3], vcc
	s_cbranch_execz .LBB883_347
; %bb.342:
	v_lshrrev_b32_e32 v22, 24, v23
	s_movk_i32 s8, 0x80
	v_cmp_ne_u32_e32 vcc, s8, v22
	v_mov_b32_e32 v53, 0xffff8000
	s_and_saveexec_b64 s[8:9], vcc
	s_cbranch_execz .LBB883_346
; %bb.343:
	v_bfe_u32 v23, v23, 24, 7
	s_movk_i32 s10, 0x7f
	v_cmp_ne_u32_e32 vcc, s10, v23
	v_mov_b32_e32 v53, 0x7f80
	s_and_saveexec_b64 s[10:11], vcc
	s_cbranch_execz .LBB883_345
; %bb.344:
	v_and_b32_e32 v53, 7, v22
	v_ffbh_u32_e32 v56, v53
	v_min_u32_e32 v58, 32, v56
	v_subrev_u32_e32 v56, 28, v58
	v_lshlrev_b64 v[56:57], v56, v[22:23]
	v_lshrrev_b32_e32 v55, 3, v23
	v_sub_u32_e32 v57, 29, v58
	v_and_b32_e32 v56, 7, v56
	v_cmp_gt_u32_e32 vcc, 8, v23
	v_cndmask_b32_e32 v23, v55, v57, vcc
	v_cndmask_b32_e32 v53, v53, v56, vcc
	v_lshlrev_b32_e32 v22, 24, v22
	v_bfrev_b32_e32 v55, 60
	v_lshlrev_b32_e32 v53, 20, v53
	v_and_b32_e32 v22, 0x80000000, v22
	v_lshl_add_u32 v23, v23, 23, v55
	v_or3_b32 v22, v22, v23, v53
	v_lshrrev_b32_e32 v53, 16, v22
.LBB883_345:
	s_or_b64 exec, exec, s[10:11]
.LBB883_346:
	s_or_b64 exec, exec, s[8:9]
.LBB883_347:
	s_or_b64 exec, exec, s[2:3]
	s_mov_b32 s2, 0x5040100
	v_perm_b32 v23, v45, v51, s2
	v_perm_b32 v22, v43, v44, s2
	s_nop 1
	v_mfma_f32_16x16x16bf16_1k v[56:59], v[22:23], v[26:27], 0
	v_perm_b32 v27, v53, v54, s2
	v_perm_b32 v26, v42, v52, s2
	v_mov_b32_e32 v23, 0
	v_cmp_ne_u16_sdwa s[8:9], v24, v23 src0_sel:BYTE_0 src1_sel:DWORD
	v_mov_b32_e32 v42, 0
	v_mfma_f32_16x16x16bf16_1k v[26:29], v[26:27], v[28:29], v[56:59]
	s_and_saveexec_b64 s[2:3], s[8:9]
	s_cbranch_execz .LBB883_353
; %bb.348:
	s_movk_i32 s8, 0x80
	v_cmp_ne_u16_sdwa s[10:11], v24, s8 src0_sel:BYTE_0 src1_sel:DWORD
	v_mov_b32_e32 v42, 0xffff8000
	s_and_saveexec_b64 s[8:9], s[10:11]
	s_cbranch_execz .LBB883_352
; %bb.349:
	s_movk_i32 s10, 0x7f
	v_and_b32_e32 v22, 0x7f, v24
	v_cmp_ne_u32_e32 vcc, s10, v22
	v_mov_b32_e32 v42, 0x7f80
	s_and_saveexec_b64 s[10:11], vcc
	s_cbranch_execz .LBB883_351
; %bb.350:
	v_and_b32_e32 v44, 7, v24
	v_ffbh_u32_e32 v42, v44
	v_min_u32_e32 v51, 32, v42
	v_subrev_u32_e32 v42, 28, v51
	v_lshlrev_b64 v[42:43], v42, v[24:25]
	v_lshrrev_b32_e32 v45, 3, v22
	v_sub_u32_e32 v43, 29, v51
	v_and_b32_e32 v42, 7, v42
	v_cmp_gt_u32_e32 vcc, 8, v22
	v_cndmask_b32_e32 v22, v45, v43, vcc
	v_cndmask_b32_e32 v42, v44, v42, vcc
	v_lshlrev_b32_e32 v43, 24, v24
	v_bfrev_b32_e32 v44, 60
	v_lshlrev_b32_e32 v42, 20, v42
	v_and_b32_e32 v43, 0x80000000, v43
	v_lshl_add_u32 v22, v22, 23, v44
	v_or3_b32 v22, v43, v22, v42
	v_lshrrev_b32_e32 v42, 16, v22
.LBB883_351:
	s_or_b64 exec, exec, s[10:11]
.LBB883_352:
	s_or_b64 exec, exec, s[8:9]
.LBB883_353:
	s_or_b64 exec, exec, s[2:3]
	v_lshrrev_b16_e32 v22, 8, v24
	v_cmp_ne_u16_e32 vcc, 0, v22
	s_and_saveexec_b64 s[2:3], vcc
	s_cbranch_execz .LBB883_359
; %bb.354:
	s_movk_i32 s8, 0x80
	v_cmp_ne_u16_e32 vcc, s8, v22
	v_mov_b32_e32 v23, 0xffff8000
	s_and_saveexec_b64 s[8:9], vcc
	s_cbranch_execz .LBB883_358
; %bb.355:
	s_movk_i32 s10, 0x7f
	v_and_b32_e32 v43, 0x7f, v22
	v_cmp_ne_u32_e32 vcc, s10, v43
	v_mov_b32_e32 v23, 0x7f80
	s_and_saveexec_b64 s[10:11], vcc
	s_cbranch_execz .LBB883_357
; %bb.356:
	v_and_b32_e32 v44, 7, v22
	v_ffbh_u32_e32 v23, v44
	v_min_u32_e32 v51, 32, v23
	v_subrev_u32_e32 v23, 28, v51
	v_lshlrev_b64 v[22:23], v23, v[22:23]
	v_lshrrev_b32_e32 v45, 3, v43
	v_sub_u32_e32 v23, 29, v51
	v_and_b32_e32 v22, 7, v22
	v_cmp_gt_u32_e32 vcc, 8, v43
	v_cndmask_b32_e32 v23, v45, v23, vcc
	v_cndmask_b32_e32 v22, v44, v22, vcc
	v_lshlrev_b32_e32 v43, 16, v24
	v_bfrev_b32_e32 v44, 60
	v_lshlrev_b32_e32 v22, 20, v22
	v_and_b32_e32 v43, 0x80000000, v43
	v_lshl_add_u32 v23, v23, 23, v44
	v_or3_b32 v22, v43, v23, v22
	v_lshrrev_b32_e32 v23, 16, v22
.LBB883_357:
	s_or_b64 exec, exec, s[10:11]
.LBB883_358:
	s_or_b64 exec, exec, s[8:9]
.LBB883_359:
	s_or_b64 exec, exec, s[2:3]
	s_movk_i32 s2, 0xff
	v_and_b32_sdwa v45, v24, s2 dst_sel:DWORD dst_unused:UNUSED_PAD src0_sel:WORD_1 src1_sel:DWORD
	v_lshrrev_b32_e32 v22, 16, v24
	v_cmp_ne_u16_e32 vcc, 0, v45
	v_mov_b32_e32 v43, 0
	v_mov_b32_e32 v44, 0
	s_and_saveexec_b64 s[2:3], vcc
	s_cbranch_execz .LBB883_365
; %bb.360:
	s_movk_i32 s8, 0x80
	v_cmp_ne_u16_e32 vcc, s8, v45
	v_mov_b32_e32 v44, 0xffff8000
	s_and_saveexec_b64 s[8:9], vcc
	s_cbranch_execz .LBB883_364
; %bb.361:
	v_bfe_u32 v45, v24, 16, 7
	s_movk_i32 s10, 0x7f
	v_cmp_ne_u32_e32 vcc, s10, v45
	v_mov_b32_e32 v44, 0x7f80
	s_and_saveexec_b64 s[10:11], vcc
	s_cbranch_execz .LBB883_363
; %bb.362:
	v_and_b32_e32 v44, 7, v22
	v_ffbh_u32_e32 v52, v44
	v_min_u32_e32 v54, 32, v52
	v_subrev_u32_e32 v52, 28, v54
	v_lshlrev_b64 v[52:53], v52, v[22:23]
	v_lshrrev_b32_e32 v51, 3, v45
	v_sub_u32_e32 v22, 29, v54
	v_and_b32_e32 v52, 7, v52
	v_cmp_gt_u32_e32 vcc, 8, v45
	v_mov_b32_e32 v45, 24
	v_cndmask_b32_e32 v22, v51, v22, vcc
	v_cndmask_b32_e32 v44, v44, v52, vcc
	v_lshlrev_b32_sdwa v45, v45, v24 dst_sel:DWORD dst_unused:UNUSED_PAD src0_sel:DWORD src1_sel:WORD_1
	v_bfrev_b32_e32 v51, 60
	v_lshlrev_b32_e32 v44, 20, v44
	v_and_b32_e32 v45, 0x80000000, v45
	v_lshl_add_u32 v22, v22, 23, v51
	v_or3_b32 v22, v45, v22, v44
	v_lshrrev_b32_e32 v44, 16, v22
.LBB883_363:
	s_or_b64 exec, exec, s[10:11]
.LBB883_364:
	s_or_b64 exec, exec, s[8:9]
.LBB883_365:
	s_or_b64 exec, exec, s[2:3]
	s_mov_b32 s2, 0xffffff
	v_cmp_lt_u32_e32 vcc, s2, v24
	s_and_saveexec_b64 s[2:3], vcc
	s_cbranch_execz .LBB883_371
; %bb.366:
	v_lshrrev_b32_e32 v22, 24, v24
	s_movk_i32 s8, 0x80
	v_cmp_ne_u32_e32 vcc, s8, v22
	v_mov_b32_e32 v43, 0xffff8000
	s_and_saveexec_b64 s[8:9], vcc
	s_cbranch_execz .LBB883_370
; %bb.367:
	v_bfe_u32 v24, v24, 24, 7
	s_movk_i32 s10, 0x7f
	v_cmp_ne_u32_e32 vcc, s10, v24
	v_mov_b32_e32 v43, 0x7f80
	s_and_saveexec_b64 s[10:11], vcc
	s_cbranch_execz .LBB883_369
; %bb.368:
	v_and_b32_e32 v43, 7, v22
	v_ffbh_u32_e32 v51, v43
	v_min_u32_e32 v51, 32, v51
	v_subrev_u32_e32 v52, 28, v51
	v_lshlrev_b64 v[52:53], v52, v[22:23]
	v_lshrrev_b32_e32 v45, 3, v24
	v_sub_u32_e32 v51, 29, v51
	v_and_b32_e32 v52, 7, v52
	v_cmp_gt_u32_e32 vcc, 8, v24
	v_cndmask_b32_e32 v24, v45, v51, vcc
	v_cndmask_b32_e32 v43, v43, v52, vcc
	v_lshlrev_b32_e32 v22, 24, v22
	v_bfrev_b32_e32 v45, 60
	v_lshlrev_b32_e32 v43, 20, v43
	v_and_b32_e32 v22, 0x80000000, v22
	v_lshl_add_u32 v24, v24, 23, v45
	v_or3_b32 v22, v22, v24, v43
	v_lshrrev_b32_e32 v43, 16, v22
.LBB883_369:
	s_or_b64 exec, exec, s[10:11]
.LBB883_370:
	s_or_b64 exec, exec, s[8:9]
.LBB883_371:
	s_or_b64 exec, exec, s[2:3]
	v_mov_b32_e32 v24, 0
	v_cmp_ne_u16_sdwa s[8:9], v25, v24 src0_sel:BYTE_0 src1_sel:DWORD
	v_mov_b32_e32 v51, 0
	s_and_saveexec_b64 s[2:3], s[8:9]
	s_cbranch_execz .LBB883_377
; %bb.372:
	s_movk_i32 s8, 0x80
	v_cmp_ne_u16_sdwa s[10:11], v25, s8 src0_sel:BYTE_0 src1_sel:DWORD
	v_mov_b32_e32 v51, 0xffff8000
	s_and_saveexec_b64 s[8:9], s[10:11]
	s_cbranch_execz .LBB883_376
; %bb.373:
	s_movk_i32 s10, 0x7f
	v_and_b32_e32 v22, 0x7f, v25
	v_cmp_ne_u32_e32 vcc, s10, v22
	v_mov_b32_e32 v51, 0x7f80
	s_and_saveexec_b64 s[10:11], vcc
	s_cbranch_execz .LBB883_375
; %bb.374:
	v_and_b32_e32 v45, 7, v25
	v_ffbh_u32_e32 v53, v45
	v_min_u32_e32 v54, 32, v53
	v_mov_b32_e32 v52, v25
	v_subrev_u32_e32 v53, 28, v54
	v_lshlrev_b64 v[52:53], v53, v[52:53]
	v_lshrrev_b32_e32 v51, 3, v22
	v_sub_u32_e32 v53, 29, v54
	v_and_b32_e32 v52, 7, v52
	v_cmp_gt_u32_e32 vcc, 8, v22
	v_cndmask_b32_e32 v22, v51, v53, vcc
	v_cndmask_b32_e32 v45, v45, v52, vcc
	v_lshlrev_b32_e32 v51, 24, v25
	v_bfrev_b32_e32 v52, 60
	v_lshlrev_b32_e32 v45, 20, v45
	v_and_b32_e32 v51, 0x80000000, v51
	v_lshl_add_u32 v22, v22, 23, v52
	v_or3_b32 v22, v51, v22, v45
	v_lshrrev_b32_e32 v51, 16, v22
.LBB883_375:
	s_or_b64 exec, exec, s[10:11]
.LBB883_376:
	s_or_b64 exec, exec, s[8:9]
.LBB883_377:
	s_or_b64 exec, exec, s[2:3]
	v_lshrrev_b16_e32 v22, 8, v25
	v_cmp_ne_u16_e32 vcc, 0, v22
	s_and_saveexec_b64 s[2:3], vcc
	s_cbranch_execz .LBB883_383
; %bb.378:
	s_movk_i32 s8, 0x80
	v_cmp_ne_u16_e32 vcc, s8, v22
	v_mov_b32_e32 v24, 0xffff8000
	s_and_saveexec_b64 s[8:9], vcc
	s_cbranch_execz .LBB883_382
; %bb.379:
	s_movk_i32 s10, 0x7f
	v_and_b32_e32 v45, 0x7f, v22
	v_cmp_ne_u32_e32 vcc, s10, v45
	v_mov_b32_e32 v24, 0x7f80
	s_and_saveexec_b64 s[10:11], vcc
	s_cbranch_execz .LBB883_381
; %bb.380:
	v_and_b32_e32 v24, 7, v22
	v_ffbh_u32_e32 v52, v24
	v_min_u32_e32 v55, 32, v52
	v_subrev_u32_e32 v52, 28, v55
	v_lshlrev_b64 v[52:53], v52, v[22:23]
	v_lshrrev_b32_e32 v54, 3, v45
	v_sub_u32_e32 v22, 29, v55
	v_and_b32_e32 v52, 7, v52
	v_cmp_gt_u32_e32 vcc, 8, v45
	v_cndmask_b32_e32 v22, v54, v22, vcc
	v_cndmask_b32_e32 v24, v24, v52, vcc
	v_lshlrev_b32_e32 v45, 16, v25
	v_bfrev_b32_e32 v52, 60
	v_lshlrev_b32_e32 v24, 20, v24
	v_and_b32_e32 v45, 0x80000000, v45
	v_lshl_add_u32 v22, v22, 23, v52
	v_or3_b32 v22, v45, v22, v24
	v_lshrrev_b32_e32 v24, 16, v22
.LBB883_381:
	s_or_b64 exec, exec, s[10:11]
.LBB883_382:
	s_or_b64 exec, exec, s[8:9]
.LBB883_383:
	s_or_b64 exec, exec, s[2:3]
	s_movk_i32 s2, 0xff
	v_and_b32_sdwa v45, v25, s2 dst_sel:DWORD dst_unused:UNUSED_PAD src0_sel:WORD_1 src1_sel:DWORD
	v_lshrrev_b32_e32 v22, 16, v25
	v_cmp_ne_u16_e32 vcc, 0, v45
	v_mov_b32_e32 v52, 0
	v_mov_b32_e32 v53, 0
	s_and_saveexec_b64 s[2:3], vcc
	s_cbranch_execz .LBB883_389
; %bb.384:
	s_movk_i32 s8, 0x80
	v_cmp_ne_u16_e32 vcc, s8, v45
	v_mov_b32_e32 v53, 0xffff8000
	s_and_saveexec_b64 s[8:9], vcc
	s_cbranch_execz .LBB883_388
; %bb.385:
	v_bfe_u32 v45, v25, 16, 7
	s_movk_i32 s10, 0x7f
	v_cmp_ne_u32_e32 vcc, s10, v45
	v_mov_b32_e32 v53, 0x7f80
	s_and_saveexec_b64 s[10:11], vcc
	s_cbranch_execz .LBB883_387
; %bb.386:
	v_and_b32_e32 v53, 7, v22
	v_ffbh_u32_e32 v54, v53
	v_min_u32_e32 v57, 32, v54
	v_subrev_u32_e32 v54, 28, v57
	v_lshlrev_b64 v[54:55], v54, v[22:23]
	v_and_b32_e32 v54, 7, v54
	v_cmp_gt_u32_e32 vcc, 8, v45
	v_lshrrev_b32_e32 v56, 3, v45
	v_sub_u32_e32 v22, 29, v57
	v_cndmask_b32_e32 v45, v53, v54, vcc
	v_mov_b32_e32 v53, 24
	v_cndmask_b32_e32 v22, v56, v22, vcc
	v_lshlrev_b32_sdwa v53, v53, v25 dst_sel:DWORD dst_unused:UNUSED_PAD src0_sel:DWORD src1_sel:WORD_1
	v_bfrev_b32_e32 v54, 60
	v_lshlrev_b32_e32 v45, 20, v45
	v_and_b32_e32 v53, 0x80000000, v53
	v_lshl_add_u32 v22, v22, 23, v54
	v_or3_b32 v22, v53, v22, v45
	v_lshrrev_b32_e32 v53, 16, v22
.LBB883_387:
	s_or_b64 exec, exec, s[10:11]
.LBB883_388:
	s_or_b64 exec, exec, s[8:9]
.LBB883_389:
	s_or_b64 exec, exec, s[2:3]
	s_mov_b32 s2, 0xffffff
	v_and_b32_e32 v45, 63, v0
	v_cmp_lt_u32_e32 vcc, s2, v25
	s_and_saveexec_b64 s[2:3], vcc
	s_cbranch_execz .LBB883_395
; %bb.390:
	v_lshrrev_b32_e32 v22, 24, v25
	s_movk_i32 s8, 0x80
	v_cmp_ne_u32_e32 vcc, s8, v22
	v_mov_b32_e32 v52, 0xffff8000
	s_and_saveexec_b64 s[8:9], vcc
	s_cbranch_execz .LBB883_394
; %bb.391:
	v_bfe_u32 v25, v25, 24, 7
	s_movk_i32 s10, 0x7f
	v_cmp_ne_u32_e32 vcc, s10, v25
	v_mov_b32_e32 v52, 0x7f80
	s_and_saveexec_b64 s[10:11], vcc
	s_cbranch_execz .LBB883_393
; %bb.392:
	v_and_b32_e32 v52, 7, v22
	v_ffbh_u32_e32 v54, v52
	v_min_u32_e32 v57, 32, v54
	v_subrev_u32_e32 v54, 28, v57
	v_lshlrev_b64 v[54:55], v54, v[22:23]
	v_lshrrev_b32_e32 v56, 3, v25
	v_sub_u32_e32 v55, 29, v57
	v_and_b32_e32 v54, 7, v54
	v_cmp_gt_u32_e32 vcc, 8, v25
	v_cndmask_b32_e32 v25, v56, v55, vcc
	v_cndmask_b32_e32 v52, v52, v54, vcc
	v_lshlrev_b32_e32 v22, 24, v22
	v_bfrev_b32_e32 v54, 60
	v_lshlrev_b32_e32 v52, 20, v52
	v_and_b32_e32 v22, 0x80000000, v22
	v_lshl_add_u32 v25, v25, 23, v54
	v_or3_b32 v22, v22, v25, v52
	v_lshrrev_b32_e32 v52, 16, v22
.LBB883_393:
	s_or_b64 exec, exec, s[10:11]
.LBB883_394:
	s_or_b64 exec, exec, s[8:9]
.LBB883_395:
	s_or_b64 exec, exec, s[2:3]
	s_mov_b32 s3, 0x5040100
	v_perm_b32 v43, v43, v44, s3
	v_perm_b32 v42, v23, v42, s3
	s_load_dword s2, s[4:5], 0x1c
	s_mov_b32 s46, 0xff7fffff
	s_waitcnt lgkmcnt(0)
	v_mfma_f32_16x16x16bf16_1k v[26:29], v[42:43], v[18:19], v[26:29]
	v_perm_b32 v19, v52, v53, s3
	v_perm_b32 v18, v24, v51, s3
	v_and_b32_e32 v24, 0xc0, v0
	v_mov_b32_e32 v22, s2
	v_add_u32_e32 v24, s20, v24
	v_mul_f32_e32 v44, s12, v22
	v_lshl_or_b32 v42, v1, 2, v24
	v_mfma_f32_16x16x16bf16_1k v[18:21], v[18:19], v[20:21], v[26:29]
	v_pk_mul_f32 v[22:23], v[44:45], v[36:37] op_sel_hi:[0,1]
	v_pk_mul_f32 v[36:37], v[44:45], v[40:41] op_sel_hi:[0,1]
	;; [unrolled: 1-line block ×4, first 2 shown]
	v_mov_b32_e32 v43, 0xff7fffff
	v_cmp_gt_i32_e64 s[26:27], s33, v42
	v_pk_mul_f32 v[38:39], v[44:45], v[38:39] op_sel_hi:[0,1]
	s_nop 3
	v_pk_mul_f32 v[32:33], v[44:45], v[18:19] op_sel_hi:[0,1]
	v_or_b32_e32 v19, 1, v42
	v_cmp_gt_i32_e64 s[28:29], s33, v19
	v_cndmask_b32_e64 v18, v43, v30, s[26:27]
	v_cndmask_b32_e64 v19, v43, v31, s[28:29]
	v_pk_mul_f32 v[24:25], v[44:45], v[20:21] op_sel_hi:[0,1]
	v_max3_f32 v18, v18, s46, v19
	v_or_b32_e32 v19, 2, v42
	v_or_b32_e32 v20, 3, v42
	v_cmp_gt_i32_e64 s[30:31], s33, v19
	v_cmp_gt_i32_e64 s[34:35], s33, v20
	v_cndmask_b32_e64 v19, v43, v40, s[30:31]
	v_cndmask_b32_e64 v20, v43, v41, s[34:35]
	v_max3_f32 v18, v18, v19, v20
	v_or_b32_e32 v19, 16, v42
	v_or_b32_e32 v20, 17, v42
	v_cmp_gt_i32_e64 s[36:37], s33, v19
	v_cmp_gt_i32_e64 s[38:39], s33, v20
	v_cndmask_b32_e64 v19, v43, v38, s[36:37]
	v_cndmask_b32_e64 v20, v43, v39, s[38:39]
	;; [unrolled: 7-line block ×3, first 2 shown]
	v_max3_f32 v18, v18, v19, v20
	v_or_b32_e32 v19, 32, v42
	v_or_b32_e32 v20, 33, v42
	v_pk_mul_f32 v[34:35], v[44:45], v[34:35] op_sel_hi:[0,1]
	v_cmp_gt_i32_e64 s[16:17], s33, v19
	v_cmp_gt_i32_e64 s[18:19], s33, v20
	v_cndmask_b32_e64 v19, v43, v34, s[16:17]
	v_cndmask_b32_e64 v20, v43, v35, s[18:19]
	v_max3_f32 v18, v18, v19, v20
	v_or_b32_e32 v19, 34, v42
	v_or_b32_e32 v20, 35, v42
	v_cmp_gt_i32_e64 s[12:13], s33, v19
	v_cmp_gt_i32_e64 s[14:15], s33, v20
	v_cndmask_b32_e64 v19, v43, v22, s[12:13]
	v_cndmask_b32_e64 v20, v43, v23, s[14:15]
	v_max3_f32 v18, v18, v19, v20
	v_or_b32_e32 v19, 48, v42
	v_or_b32_e32 v20, 49, v42
	;; [unrolled: 7-line block ×3, first 2 shown]
	v_cmp_gt_i32_e32 vcc, s33, v19
	v_cmp_gt_i32_e64 s[2:3], s33, v20
	v_cndmask_b32_e32 v19, v43, v24, vcc
	v_cndmask_b32_e64 v20, v43, v25, s[2:3]
	v_max3_f32 v18, v18, v19, v20
	v_mbcnt_lo_u32_b32 v19, -1, 0
	v_mbcnt_hi_u32_b32 v19, -1, v19
	v_and_b32_e32 v20, 64, v19
	v_add_u32_e32 v20, 64, v20
	v_xor_b32_e32 v21, 32, v19
	v_cmp_lt_i32_e64 s[40:41], v21, v20
	v_cndmask_b32_e64 v21, v19, v21, s[40:41]
	v_lshlrev_b32_e32 v43, 2, v21
	ds_bpermute_b32 v21, v43, v18
	s_barrier
	s_waitcnt lgkmcnt(0)
	v_max_f32_e32 v21, v21, v21
	v_max_f32_e32 v18, v18, v21
	v_xor_b32_e32 v21, 16, v19
	v_cmp_lt_i32_e64 s[40:41], v21, v20
	v_cndmask_b32_e64 v19, v19, v21, s[40:41]
	v_lshlrev_b32_e32 v44, 2, v19
	ds_bpermute_b32 v19, v44, v18
	s_waitcnt lgkmcnt(0)
	v_max_f32_e32 v19, v19, v19
	v_max_f32_e32 v42, v18, v19
	v_sub_f32_e32 v21, v40, v42
	v_sub_f32_e32 v26, v41, v42
	v_mul_f32_e32 v21, 0x3fb8aa3b, v21
	v_mul_f32_e32 v26, 0x3fb8aa3b, v26
	v_sub_f32_e32 v18, v30, v42
	v_exp_f32_e32 v21, v21
	v_exp_f32_e32 v26, v26
	v_mul_f32_e32 v18, 0x3fb8aa3b, v18
	v_sub_f32_e32 v19, v31, v42
	v_exp_f32_e32 v18, v18
	v_mul_f32_e32 v19, 0x3fb8aa3b, v19
	v_exp_f32_e32 v19, v19
	v_cndmask_b32_e64 v28, 0, v21, s[30:31]
	v_cndmask_b32_e64 v29, 0, v26, s[34:35]
	v_sub_f32_e32 v21, v38, v42
	v_sub_f32_e32 v26, v39, v42
	v_mul_f32_e32 v21, 0x3fb8aa3b, v21
	v_mul_f32_e32 v26, 0x3fb8aa3b, v26
	v_cndmask_b32_e64 v18, 0, v18, s[26:27]
	v_exp_f32_e32 v21, v21
	v_exp_f32_e32 v26, v26
	v_add_f32_e32 v20, 0, v18
	v_cndmask_b32_e64 v19, 0, v19, s[28:29]
	v_add_f32_e32 v20, v20, v19
	v_add_f32_e32 v20, v20, v28
	;; [unrolled: 1-line block ×3, first 2 shown]
	v_cndmask_b32_e64 v20, 0, v21, s[36:37]
	v_cndmask_b32_e64 v21, 0, v26, s[38:39]
	v_sub_f32_e32 v26, v36, v42
	v_mul_f32_e32 v26, 0x3fb8aa3b, v26
	v_exp_f32_e32 v26, v26
	v_sub_f32_e32 v30, v37, v42
	v_add_f32_e32 v27, v27, v20
	v_mul_f32_e32 v30, 0x3fb8aa3b, v30
	v_exp_f32_e32 v31, v30
	v_add_f32_e32 v27, v27, v21
	v_cndmask_b32_e64 v30, 0, v26, s[20:21]
	v_add_f32_e32 v26, v27, v30
	v_sub_f32_e32 v27, v34, v42
	v_mul_f32_e32 v27, 0x3fb8aa3b, v27
	v_sub_f32_e32 v34, v35, v42
	v_exp_f32_e32 v27, v27
	v_mul_f32_e32 v34, 0x3fb8aa3b, v34
	v_sub_f32_e32 v22, v22, v42
	v_exp_f32_e32 v34, v34
	;; [unrolled: 3-line block ×3, first 2 shown]
	v_mul_f32_e32 v23, 0x3fb8aa3b, v23
	v_cndmask_b32_e64 v31, 0, v31, s[22:23]
	v_exp_f32_e32 v23, v23
	v_add_f32_e32 v35, v26, v31
	v_cndmask_b32_e64 v26, 0, v27, s[16:17]
	v_add_f32_e32 v35, v35, v26
	v_cndmask_b32_e64 v27, 0, v34, s[18:19]
	;; [unrolled: 2-line block ×4, first 2 shown]
	v_sub_f32_e32 v23, v32, v42
	v_mul_f32_e32 v23, 0x3fb8aa3b, v23
	v_sub_f32_e32 v32, v33, v42
	v_exp_f32_e32 v23, v23
	v_mul_f32_e32 v32, 0x3fb8aa3b, v32
	v_sub_f32_e32 v24, v24, v42
	v_exp_f32_e32 v32, v32
	;; [unrolled: 3-line block ×3, first 2 shown]
	v_mul_f32_e32 v25, 0x3fb8aa3b, v25
	v_exp_f32_e32 v25, v25
	v_add_f32_e32 v33, v22, v35
	v_cndmask_b32_e64 v22, 0, v23, s[8:9]
	v_add_f32_e32 v33, v33, v22
	v_cndmask_b32_e64 v23, 0, v32, s[10:11]
	v_add_f32_e32 v32, v33, v23
	v_cndmask_b32_e32 v24, 0, v24, vcc
	v_add_f32_e32 v32, v32, v24
	v_cndmask_b32_e64 v25, 0, v25, s[2:3]
	v_add_f32_e32 v32, v32, v25
	ds_bpermute_b32 v33, v43, v32
	v_cmp_gt_u32_e32 vcc, 16, v45
	s_waitcnt lgkmcnt(0)
	v_add_f32_e32 v32, v32, v33
	ds_bpermute_b32 v36, v44, v32
	v_lshlrev_b32_e32 v33, 2, v49
	s_and_saveexec_b64 s[2:3], vcc
	s_cbranch_execz .LBB883_397
; %bb.396:
	s_waitcnt lgkmcnt(0)
	v_add_f32_e32 v32, v32, v36
	v_lshl_or_b32 v36, v50, 6, v33
	ds_write2st64_b32 v36, v42, v32 offset1:1
.LBB883_397:
	s_or_b64 exec, exec, s[2:3]
	s_waitcnt lgkmcnt(0)
	s_barrier
	ds_read2_b32 v[36:37], v33 offset1:16
	ds_read2_b32 v[38:39], v33 offset0:32 offset1:48
	ds_read2_b32 v[40:41], v33 offset0:64 offset1:80
	s_mul_i32 s12, s45, 6
	s_waitcnt lgkmcnt(2)
	v_max3_f32 v32, v36, s46, v37
	s_waitcnt lgkmcnt(1)
	v_max3_f32 v32, v32, v38, v39
	v_sub_f32_e32 v36, v36, v32
	v_mul_f32_e32 v36, 0x3fb8aa3b, v36
	v_exp_f32_e32 v42, v36
	v_sub_f32_e32 v36, v37, v32
	v_mul_f32_e32 v36, 0x3fb8aa3b, v36
	v_exp_f32_e32 v43, v36
	;; [unrolled: 3-line block ×3, first 2 shown]
	ds_read2_b32 v[36:37], v33 offset0:96 offset1:112
	v_sub_f32_e32 v33, v39, v32
	v_mul_f32_e32 v33, 0x3fb8aa3b, v33
	v_exp_f32_e32 v39, v33
	s_waitcnt lgkmcnt(1)
	v_fma_f32 v33, v42, v40, 0
	v_fmac_f32_e32 v33, v43, v41
	s_waitcnt lgkmcnt(0)
	v_fmac_f32_e32 v33, v38, v36
	v_fmac_f32_e32 v33, v39, v37
	v_add_f32_e32 v36, 0x358637bd, v33
	v_div_scale_f32 v37, s[2:3], v36, v36, 1.0
	v_rcp_f32_e32 v40, v37
	s_movk_i32 s2, 0x7fff
	s_mov_b32 s3, 0x7060302
	v_fma_f32 v41, -v37, v40, 1.0
	v_fmac_f32_e32 v40, v41, v40
	v_div_scale_f32 v41, vcc, 1.0, v36, 1.0
	v_mul_f32_e32 v44, v41, v40
	v_fma_f32 v45, -v37, v44, v41
	v_fmac_f32_e32 v44, v45, v40
	v_fma_f32 v37, -v37, v44, v41
	v_div_fmas_f32 v37, v37, v40, v44
	v_cmp_eq_u32_e32 vcc, 1, v50
	v_div_fixup_f32 v36, v37, v36, 1.0
	v_cndmask_b32_e32 v37, v42, v43, vcc
	v_cmp_eq_u32_e32 vcc, 2, v50
	v_cndmask_b32_e32 v37, v37, v38, vcc
	v_cmp_eq_u32_e32 vcc, 3, v50
	v_cndmask_b32_e32 v37, v37, v39, vcc
	v_mul_f32_e32 v36, v37, v36
	v_pk_mul_f32 v[18:19], v[36:37], v[18:19] op_sel_hi:[0,1]
	v_pk_mul_f32 v[28:29], v[36:37], v[28:29] op_sel_hi:[0,1]
	v_bfe_u32 v37, v19, 16, 1
	v_bfe_u32 v38, v18, 16, 1
	v_add3_u32 v18, v18, v38, s2
	v_add3_u32 v19, v19, v37, s2
	v_perm_b32 v18, v19, v18, s3
	v_bfe_u32 v19, v29, 16, 1
	v_bfe_u32 v37, v28, 16, 1
	v_add3_u32 v28, v28, v37, s2
	v_add3_u32 v19, v29, v19, s2
	v_perm_b32 v19, v19, v28, s3
	v_lshlrev_b32_e32 v28, 3, v1
	v_lshlrev_b32_e32 v29, 11, v50
	v_pk_mul_f32 v[20:21], v[36:37], v[20:21] op_sel_hi:[0,1]
	v_or3_b32 v28, v29, v48, v28
	v_pk_mul_f32 v[30:31], v[36:37], v[30:31] op_sel_hi:[0,1]
	v_bfe_u32 v29, v21, 16, 1
	v_bfe_u32 v37, v20, 16, 1
	v_add3_u32 v20, v20, v37, s2
	v_add3_u32 v21, v21, v29, s2
	v_perm_b32 v20, v21, v20, s3
	v_bfe_u32 v21, v31, 16, 1
	v_bfe_u32 v29, v30, 16, 1
	v_add3_u32 v29, v30, v29, s2
	v_add3_u32 v21, v31, v21, s2
	v_perm_b32 v21, v21, v29, s3
	s_barrier
	ds_write2st64_b64 v28, v[18:19], v[20:21] offset1:1
	v_pk_mul_f32 v[20:21], v[36:37], v[26:27] op_sel_hi:[0,1]
	v_bfe_u32 v26, v21, 16, 1
	v_bfe_u32 v27, v20, 16, 1
	v_pk_mul_f32 v[18:19], v[36:37], v[34:35] op_sel_hi:[0,1]
	v_add3_u32 v20, v20, v27, s2
	v_add3_u32 v21, v21, v26, s2
	v_perm_b32 v20, v21, v20, s3
	v_bfe_u32 v21, v19, 16, 1
	v_bfe_u32 v26, v18, 16, 1
	v_add3_u32 v18, v18, v26, s2
	v_add3_u32 v19, v19, v21, s2
	v_pk_mul_f32 v[22:23], v[36:37], v[22:23] op_sel_hi:[0,1]
	v_perm_b32 v21, v19, v18, s3
	v_pk_mul_f32 v[18:19], v[36:37], v[24:25] op_sel_hi:[0,1]
	v_bfe_u32 v24, v23, 16, 1
	v_bfe_u32 v25, v22, 16, 1
	v_add3_u32 v22, v22, v25, s2
	v_add3_u32 v23, v23, v24, s2
	v_perm_b32 v22, v23, v22, s3
	v_bfe_u32 v23, v19, 16, 1
	v_bfe_u32 v24, v18, 16, 1
	v_add3_u32 v18, v18, v24, s2
	v_add3_u32 v19, v19, v23, s2
	v_perm_b32 v23, v19, v18, s3
	v_cmp_gt_u32_e32 vcc, 6, v0
	ds_write2st64_b64 v28, v[20:21], v[22:23] offset0:2 offset1:3
	s_and_saveexec_b64 s[2:3], vcc
	s_cbranch_execz .LBB883_399
; %bb.398:
	v_add_co_u32_e32 v20, vcc, s25, v49
	v_addc_co_u32_e64 v21, s[14:15], 0, 0, vcc
	v_mov_b32_e32 v18, s12
	v_mov_b32_e32 v19, 0
	v_mad_u64_u32 v[20:21], s[14:15], s6, v18, v[20:21]
	v_mov_b32_e32 v18, s24
	s_load_dwordx4 s[8:11], s[4:5], 0x58
	s_mul_i32 s7, s7, s12
	v_mad_u64_u32 v[18:19], s[14:15], v20, s44, v[18:19]
	v_add_u32_e32 v21, s7, v21
	v_mov_b32_e32 v20, v19
	v_mad_u64_u32 v[20:21], s[14:15], v21, s44, v[20:21]
	v_mov_b32_e32 v19, v20
	v_lshlrev_b64 v[18:19], 2, v[18:19]
	s_waitcnt lgkmcnt(0)
	v_mov_b32_e32 v21, s11
	v_add_co_u32_e32 v20, vcc, s10, v18
	v_addc_co_u32_e32 v21, vcc, v21, v19, vcc
	global_store_dword v[20:21], v32, off
	v_mov_b32_e32 v20, s9
	v_add_co_u32_e32 v18, vcc, s8, v18
	v_addc_co_u32_e32 v19, vcc, v20, v19, vcc
	global_store_dword v[18:19], v33, off
.LBB883_399:
	s_or_b64 exec, exec, s[2:3]
	v_mov_b32_e32 v19, 0
	s_waitcnt vmcnt(3)
	v_cmp_ne_u16_sdwa s[8:9], v14, v19 src0_sel:BYTE_0 src1_sel:DWORD
	v_mov_b32_e32 v20, 0
	s_waitcnt lgkmcnt(0)
	s_barrier
	s_and_saveexec_b64 s[2:3], s[8:9]
	s_cbranch_execz .LBB883_405
; %bb.400:
	s_movk_i32 s7, 0x80
	v_cmp_ne_u16_sdwa s[10:11], v14, s7 src0_sel:BYTE_0 src1_sel:DWORD
	v_mov_b32_e32 v20, 0xffff8000
	s_and_saveexec_b64 s[8:9], s[10:11]
	s_cbranch_execz .LBB883_404
; %bb.401:
	s_movk_i32 s7, 0x7f
	v_and_b32_e32 v18, 0x7f, v14
	v_cmp_ne_u32_e32 vcc, s7, v18
	v_mov_b32_e32 v20, 0x7f80
	s_and_saveexec_b64 s[10:11], vcc
	s_cbranch_execz .LBB883_403
; %bb.402:
	v_and_b32_e32 v22, 7, v14
	v_ffbh_u32_e32 v20, v22
	v_min_u32_e32 v24, 32, v20
	v_subrev_u32_e32 v20, 28, v24
	v_lshlrev_b64 v[20:21], v20, v[14:15]
	v_lshrrev_b32_e32 v23, 3, v18
	v_sub_u32_e32 v21, 29, v24
	v_and_b32_e32 v20, 7, v20
	v_cmp_gt_u32_e32 vcc, 8, v18
	v_cndmask_b32_e32 v18, v23, v21, vcc
	v_cndmask_b32_e32 v20, v22, v20, vcc
	v_lshlrev_b32_e32 v21, 24, v14
	v_bfrev_b32_e32 v22, 60
	v_lshlrev_b32_e32 v20, 20, v20
	v_and_b32_e32 v21, 0x80000000, v21
	v_lshl_add_u32 v18, v18, 23, v22
	v_or3_b32 v18, v21, v18, v20
	v_lshrrev_b32_e32 v20, 16, v18
.LBB883_403:
	s_or_b64 exec, exec, s[10:11]
.LBB883_404:
	s_or_b64 exec, exec, s[8:9]
.LBB883_405:
	s_or_b64 exec, exec, s[2:3]
	v_lshrrev_b16_e32 v18, 8, v14
	v_cmp_ne_u16_e32 vcc, 0, v18
	s_and_saveexec_b64 s[2:3], vcc
	s_cbranch_execz .LBB883_411
; %bb.406:
	s_movk_i32 s7, 0x80
	v_cmp_ne_u16_e32 vcc, s7, v18
	v_mov_b32_e32 v19, 0xffff8000
	s_and_saveexec_b64 s[8:9], vcc
	s_cbranch_execz .LBB883_410
; %bb.407:
	s_movk_i32 s7, 0x7f
	v_and_b32_e32 v21, 0x7f, v18
	v_cmp_ne_u32_e32 vcc, s7, v21
	v_mov_b32_e32 v19, 0x7f80
	s_and_saveexec_b64 s[10:11], vcc
	s_cbranch_execz .LBB883_409
; %bb.408:
	v_and_b32_e32 v22, 7, v18
	v_ffbh_u32_e32 v19, v22
	v_min_u32_e32 v24, 32, v19
	v_subrev_u32_e32 v19, 28, v24
	v_lshlrev_b64 v[18:19], v19, v[18:19]
	v_lshrrev_b32_e32 v23, 3, v21
	v_sub_u32_e32 v19, 29, v24
	v_and_b32_e32 v18, 7, v18
	v_cmp_gt_u32_e32 vcc, 8, v21
	v_cndmask_b32_e32 v19, v23, v19, vcc
	v_cndmask_b32_e32 v18, v22, v18, vcc
	v_lshlrev_b32_e32 v21, 16, v14
	v_bfrev_b32_e32 v22, 60
	v_lshlrev_b32_e32 v18, 20, v18
	v_and_b32_e32 v21, 0x80000000, v21
	v_lshl_add_u32 v19, v19, 23, v22
	v_or3_b32 v18, v21, v19, v18
	v_lshrrev_b32_e32 v19, 16, v18
.LBB883_409:
	s_or_b64 exec, exec, s[10:11]
.LBB883_410:
	s_or_b64 exec, exec, s[8:9]
.LBB883_411:
	s_or_b64 exec, exec, s[2:3]
	s_movk_i32 s2, 0xff
	v_and_b32_sdwa v23, v14, s2 dst_sel:DWORD dst_unused:UNUSED_PAD src0_sel:WORD_1 src1_sel:DWORD
	v_lshrrev_b32_e32 v18, 16, v14
	v_cmp_ne_u16_e32 vcc, 0, v23
	v_mov_b32_e32 v21, 0
	v_mov_b32_e32 v22, 0
	s_and_saveexec_b64 s[2:3], vcc
	s_cbranch_execz .LBB883_417
; %bb.412:
	s_movk_i32 s7, 0x80
	v_cmp_ne_u16_e32 vcc, s7, v23
	v_mov_b32_e32 v22, 0xffff8000
	s_and_saveexec_b64 s[8:9], vcc
	s_cbranch_execz .LBB883_416
; %bb.413:
	v_bfe_u32 v23, v14, 16, 7
	s_movk_i32 s7, 0x7f
	v_cmp_ne_u32_e32 vcc, s7, v23
	v_mov_b32_e32 v22, 0x7f80
	s_and_saveexec_b64 s[10:11], vcc
	s_cbranch_execz .LBB883_415
; %bb.414:
	v_and_b32_e32 v22, 7, v18
	v_ffbh_u32_e32 v24, v22
	v_min_u32_e32 v27, 32, v24
	v_subrev_u32_e32 v24, 28, v27
	v_lshlrev_b64 v[24:25], v24, v[18:19]
	v_lshrrev_b32_e32 v26, 3, v23
	v_sub_u32_e32 v18, 29, v27
	v_and_b32_e32 v24, 7, v24
	v_cmp_gt_u32_e32 vcc, 8, v23
	v_mov_b32_e32 v23, 24
	v_cndmask_b32_e32 v18, v26, v18, vcc
	v_cndmask_b32_e32 v22, v22, v24, vcc
	v_lshlrev_b32_sdwa v23, v23, v14 dst_sel:DWORD dst_unused:UNUSED_PAD src0_sel:DWORD src1_sel:WORD_1
	v_bfrev_b32_e32 v24, 60
	v_lshlrev_b32_e32 v22, 20, v22
	v_and_b32_e32 v23, 0x80000000, v23
	v_lshl_add_u32 v18, v18, 23, v24
	v_or3_b32 v18, v23, v18, v22
	v_lshrrev_b32_e32 v22, 16, v18
.LBB883_415:
	s_or_b64 exec, exec, s[10:11]
.LBB883_416:
	s_or_b64 exec, exec, s[8:9]
.LBB883_417:
	s_or_b64 exec, exec, s[2:3]
	s_mov_b32 s2, 0xffffff
	v_cmp_lt_u32_e32 vcc, s2, v14
	s_and_saveexec_b64 s[2:3], vcc
	s_cbranch_execz .LBB883_423
; %bb.418:
	v_lshrrev_b32_e32 v18, 24, v14
	s_movk_i32 s7, 0x80
	v_cmp_ne_u32_e32 vcc, s7, v18
	v_mov_b32_e32 v21, 0xffff8000
	s_and_saveexec_b64 s[8:9], vcc
	s_cbranch_execz .LBB883_422
; %bb.419:
	v_bfe_u32 v14, v14, 24, 7
	s_movk_i32 s7, 0x7f
	v_cmp_ne_u32_e32 vcc, s7, v14
	v_mov_b32_e32 v21, 0x7f80
	s_and_saveexec_b64 s[10:11], vcc
	s_cbranch_execz .LBB883_421
; %bb.420:
	v_and_b32_e32 v21, 7, v18
	v_ffbh_u32_e32 v24, v21
	v_min_u32_e32 v26, 32, v24
	v_subrev_u32_e32 v24, 28, v26
	v_lshlrev_b64 v[24:25], v24, v[18:19]
	v_lshrrev_b32_e32 v23, 3, v14
	v_sub_u32_e32 v25, 29, v26
	v_and_b32_e32 v24, 7, v24
	v_cmp_gt_u32_e32 vcc, 8, v14
	v_cndmask_b32_e32 v14, v23, v25, vcc
	v_cndmask_b32_e32 v21, v21, v24, vcc
	v_lshlrev_b32_e32 v18, 24, v18
	v_bfrev_b32_e32 v23, 60
	v_lshlrev_b32_e32 v21, 20, v21
	v_and_b32_e32 v18, 0x80000000, v18
	v_lshl_add_u32 v14, v14, 23, v23
	v_or3_b32 v14, v18, v14, v21
	v_lshrrev_b32_e32 v21, 16, v14
.LBB883_421:
	s_or_b64 exec, exec, s[10:11]
.LBB883_422:
	s_or_b64 exec, exec, s[8:9]
.LBB883_423:
	s_or_b64 exec, exec, s[2:3]
	v_mov_b32_e32 v18, 0
	v_cmp_ne_u16_sdwa s[8:9], v15, v18 src0_sel:BYTE_0 src1_sel:DWORD
	v_mov_b32_e32 v23, 0
	s_and_saveexec_b64 s[2:3], s[8:9]
	s_cbranch_execz .LBB883_429
; %bb.424:
	s_movk_i32 s7, 0x80
	v_cmp_ne_u16_sdwa s[10:11], v15, s7 src0_sel:BYTE_0 src1_sel:DWORD
	v_mov_b32_e32 v23, 0xffff8000
	s_and_saveexec_b64 s[8:9], s[10:11]
	s_cbranch_execz .LBB883_428
; %bb.425:
	s_movk_i32 s7, 0x7f
	v_and_b32_e32 v14, 0x7f, v15
	v_cmp_ne_u32_e32 vcc, s7, v14
	v_mov_b32_e32 v23, 0x7f80
	s_and_saveexec_b64 s[10:11], vcc
	s_cbranch_execz .LBB883_427
; %bb.426:
	v_and_b32_e32 v23, 7, v15
	v_ffbh_u32_e32 v25, v23
	v_min_u32_e32 v27, 32, v25
	v_mov_b32_e32 v24, v15
	v_subrev_u32_e32 v25, 28, v27
	v_lshlrev_b64 v[24:25], v25, v[24:25]
	v_lshrrev_b32_e32 v26, 3, v14
	v_sub_u32_e32 v25, 29, v27
	v_and_b32_e32 v24, 7, v24
	v_cmp_gt_u32_e32 vcc, 8, v14
	v_cndmask_b32_e32 v14, v26, v25, vcc
	v_cndmask_b32_e32 v23, v23, v24, vcc
	v_lshlrev_b32_e32 v24, 24, v15
	v_bfrev_b32_e32 v25, 60
	v_lshlrev_b32_e32 v23, 20, v23
	v_and_b32_e32 v24, 0x80000000, v24
	v_lshl_add_u32 v14, v14, 23, v25
	v_or3_b32 v14, v24, v14, v23
	v_lshrrev_b32_e32 v23, 16, v14
.LBB883_427:
	s_or_b64 exec, exec, s[10:11]
.LBB883_428:
	s_or_b64 exec, exec, s[8:9]
.LBB883_429:
	s_or_b64 exec, exec, s[2:3]
	v_lshrrev_b16_e32 v14, 8, v15
	v_cmp_ne_u16_e32 vcc, 0, v14
	s_and_saveexec_b64 s[2:3], vcc
	s_cbranch_execz .LBB883_435
; %bb.430:
	s_movk_i32 s7, 0x80
	v_cmp_ne_u16_e32 vcc, s7, v14
	v_mov_b32_e32 v18, 0xffff8000
	s_and_saveexec_b64 s[8:9], vcc
	s_cbranch_execz .LBB883_434
; %bb.431:
	s_movk_i32 s7, 0x7f
	v_and_b32_e32 v24, 0x7f, v14
	v_cmp_ne_u32_e32 vcc, s7, v24
	v_mov_b32_e32 v18, 0x7f80
	s_and_saveexec_b64 s[10:11], vcc
	s_cbranch_execz .LBB883_433
; %bb.432:
	v_and_b32_e32 v18, 7, v14
	v_ffbh_u32_e32 v26, v18
	v_min_u32_e32 v29, 32, v26
	v_subrev_u32_e32 v26, 28, v29
	v_lshlrev_b64 v[26:27], v26, v[14:15]
	v_lshrrev_b32_e32 v25, 3, v24
	v_sub_u32_e32 v14, 29, v29
	v_and_b32_e32 v26, 7, v26
	v_cmp_gt_u32_e32 vcc, 8, v24
	v_cndmask_b32_e32 v14, v25, v14, vcc
	v_cndmask_b32_e32 v18, v18, v26, vcc
	v_lshlrev_b32_e32 v24, 16, v15
	v_bfrev_b32_e32 v25, 60
	v_lshlrev_b32_e32 v18, 20, v18
	v_and_b32_e32 v24, 0x80000000, v24
	v_lshl_add_u32 v14, v14, 23, v25
	v_or3_b32 v14, v24, v14, v18
	v_lshrrev_b32_e32 v18, 16, v14
.LBB883_433:
	s_or_b64 exec, exec, s[10:11]
.LBB883_434:
	s_or_b64 exec, exec, s[8:9]
.LBB883_435:
	s_or_b64 exec, exec, s[2:3]
	s_movk_i32 s2, 0xff
	v_and_b32_sdwa v26, v15, s2 dst_sel:DWORD dst_unused:UNUSED_PAD src0_sel:WORD_1 src1_sel:DWORD
	v_lshrrev_b32_e32 v14, 16, v15
	v_cmp_ne_u16_e32 vcc, 0, v26
	v_mov_b32_e32 v24, 0
	v_mov_b32_e32 v25, 0
	s_and_saveexec_b64 s[2:3], vcc
	s_cbranch_execz .LBB883_441
; %bb.436:
	s_movk_i32 s7, 0x80
	v_cmp_ne_u16_e32 vcc, s7, v26
	v_mov_b32_e32 v25, 0xffff8000
	s_and_saveexec_b64 s[8:9], vcc
	s_cbranch_execz .LBB883_440
; %bb.437:
	v_bfe_u32 v26, v15, 16, 7
	s_movk_i32 s7, 0x7f
	v_cmp_ne_u32_e32 vcc, s7, v26
	v_mov_b32_e32 v25, 0x7f80
	s_and_saveexec_b64 s[10:11], vcc
	s_cbranch_execz .LBB883_439
; %bb.438:
	v_and_b32_e32 v25, 7, v14
	v_ffbh_u32_e32 v29, v25
	v_min_u32_e32 v29, 32, v29
	v_subrev_u32_e32 v30, 28, v29
	v_lshlrev_b64 v[30:31], v30, v[14:15]
	v_lshrrev_b32_e32 v27, 3, v26
	v_sub_u32_e32 v14, 29, v29
	v_and_b32_e32 v29, 7, v30
	v_cmp_gt_u32_e32 vcc, 8, v26
	v_mov_b32_e32 v26, 24
	v_cndmask_b32_e32 v14, v27, v14, vcc
	v_cndmask_b32_e32 v25, v25, v29, vcc
	v_lshlrev_b32_sdwa v26, v26, v15 dst_sel:DWORD dst_unused:UNUSED_PAD src0_sel:DWORD src1_sel:WORD_1
	v_bfrev_b32_e32 v27, 60
	v_lshlrev_b32_e32 v25, 20, v25
	v_and_b32_e32 v26, 0x80000000, v26
	v_lshl_add_u32 v14, v14, 23, v27
	v_or3_b32 v14, v26, v14, v25
	v_lshrrev_b32_e32 v25, 16, v14
.LBB883_439:
	s_or_b64 exec, exec, s[10:11]
.LBB883_440:
	s_or_b64 exec, exec, s[8:9]
.LBB883_441:
	s_or_b64 exec, exec, s[2:3]
	s_mov_b32 s2, 0xffffff
	v_cmp_lt_u32_e32 vcc, s2, v15
	s_and_saveexec_b64 s[2:3], vcc
	s_cbranch_execz .LBB883_447
; %bb.442:
	v_lshrrev_b32_e32 v14, 24, v15
	s_movk_i32 s7, 0x80
	v_cmp_ne_u32_e32 vcc, s7, v14
	v_mov_b32_e32 v24, 0xffff8000
	s_and_saveexec_b64 s[8:9], vcc
	s_cbranch_execz .LBB883_446
; %bb.443:
	v_bfe_u32 v15, v15, 24, 7
	s_movk_i32 s7, 0x7f
	v_cmp_ne_u32_e32 vcc, s7, v15
	v_mov_b32_e32 v24, 0x7f80
	s_and_saveexec_b64 s[10:11], vcc
	s_cbranch_execz .LBB883_445
; %bb.444:
	v_and_b32_e32 v24, 7, v14
	v_ffbh_u32_e32 v26, v24
	v_min_u32_e32 v30, 32, v26
	v_subrev_u32_e32 v26, 28, v30
	v_lshlrev_b64 v[26:27], v26, v[14:15]
	v_lshrrev_b32_e32 v29, 3, v15
	v_sub_u32_e32 v27, 29, v30
	v_and_b32_e32 v26, 7, v26
	v_cmp_gt_u32_e32 vcc, 8, v15
	v_cndmask_b32_e32 v15, v29, v27, vcc
	v_cndmask_b32_e32 v24, v24, v26, vcc
	v_lshlrev_b32_e32 v14, 24, v14
	v_bfrev_b32_e32 v26, 60
	v_lshlrev_b32_e32 v24, 20, v24
	v_and_b32_e32 v14, 0x80000000, v14
	v_lshl_add_u32 v15, v15, 23, v26
	v_or3_b32 v14, v14, v15, v24
	v_lshrrev_b32_e32 v24, 16, v14
.LBB883_445:
	s_or_b64 exec, exec, s[10:11]
.LBB883_446:
	s_or_b64 exec, exec, s[8:9]
.LBB883_447:
	s_or_b64 exec, exec, s[2:3]
	s_mov_b32 s2, 0x5040100
	v_perm_b32 v15, v21, v22, s2
	v_lshl_or_b32 v22, v1, 9, v48
	v_perm_b32 v14, v19, v20, s2
	ds_read_b128 v[30:33], v22
	v_perm_b32 v19, v24, v25, s2
	v_perm_b32 v18, v18, v23, s2
	s_waitcnt lgkmcnt(0)
	v_mfma_f32_16x16x16bf16_1k v[34:37], v[14:15], v[30:31], 0
	v_mov_b32_e32 v15, 0
	v_cmp_ne_u16_sdwa s[8:9], v16, v15 src0_sel:BYTE_0 src1_sel:DWORD
	v_mov_b32_e32 v23, 0
	v_mfma_f32_16x16x16bf16_1k v[18:21], v[18:19], v[32:33], v[34:37]
	s_and_saveexec_b64 s[2:3], s[8:9]
	s_cbranch_execz .LBB883_453
; %bb.448:
	s_movk_i32 s7, 0x80
	v_cmp_ne_u16_sdwa s[10:11], v16, s7 src0_sel:BYTE_0 src1_sel:DWORD
	v_mov_b32_e32 v23, 0xffff8000
	s_and_saveexec_b64 s[8:9], s[10:11]
	s_cbranch_execz .LBB883_452
; %bb.449:
	s_movk_i32 s7, 0x7f
	v_and_b32_e32 v14, 0x7f, v16
	v_cmp_ne_u32_e32 vcc, s7, v14
	v_mov_b32_e32 v23, 0x7f80
	s_and_saveexec_b64 s[10:11], vcc
	s_cbranch_execz .LBB883_451
; %bb.450:
	v_and_b32_e32 v23, 7, v16
	v_ffbh_u32_e32 v24, v23
	v_min_u32_e32 v27, 32, v24
	v_subrev_u32_e32 v24, 28, v27
	v_lshlrev_b64 v[24:25], v24, v[16:17]
	v_lshrrev_b32_e32 v26, 3, v14
	v_sub_u32_e32 v25, 29, v27
	v_and_b32_e32 v24, 7, v24
	v_cmp_gt_u32_e32 vcc, 8, v14
	v_cndmask_b32_e32 v14, v26, v25, vcc
	v_cndmask_b32_e32 v23, v23, v24, vcc
	v_lshlrev_b32_e32 v24, 24, v16
	v_bfrev_b32_e32 v25, 60
	v_lshlrev_b32_e32 v23, 20, v23
	v_and_b32_e32 v24, 0x80000000, v24
	v_lshl_add_u32 v14, v14, 23, v25
	v_or3_b32 v14, v24, v14, v23
	v_lshrrev_b32_e32 v23, 16, v14
.LBB883_451:
	s_or_b64 exec, exec, s[10:11]
.LBB883_452:
	s_or_b64 exec, exec, s[8:9]
.LBB883_453:
	s_or_b64 exec, exec, s[2:3]
	v_lshrrev_b16_e32 v14, 8, v16
	v_cmp_ne_u16_e32 vcc, 0, v14
	s_and_saveexec_b64 s[2:3], vcc
	s_cbranch_execz .LBB883_459
; %bb.454:
	s_movk_i32 s7, 0x80
	v_cmp_ne_u16_e32 vcc, s7, v14
	v_mov_b32_e32 v15, 0xffff8000
	s_and_saveexec_b64 s[8:9], vcc
	s_cbranch_execz .LBB883_458
; %bb.455:
	s_movk_i32 s7, 0x7f
	v_and_b32_e32 v24, 0x7f, v14
	v_cmp_ne_u32_e32 vcc, s7, v24
	v_mov_b32_e32 v15, 0x7f80
	s_and_saveexec_b64 s[10:11], vcc
	s_cbranch_execz .LBB883_457
; %bb.456:
	v_and_b32_e32 v25, 7, v14
	v_ffbh_u32_e32 v15, v25
	v_min_u32_e32 v27, 32, v15
	v_subrev_u32_e32 v15, 28, v27
	v_lshlrev_b64 v[14:15], v15, v[14:15]
	v_lshrrev_b32_e32 v26, 3, v24
	v_sub_u32_e32 v15, 29, v27
	v_and_b32_e32 v14, 7, v14
	v_cmp_gt_u32_e32 vcc, 8, v24
	v_cndmask_b32_e32 v15, v26, v15, vcc
	v_cndmask_b32_e32 v14, v25, v14, vcc
	v_lshlrev_b32_e32 v24, 16, v16
	v_bfrev_b32_e32 v25, 60
	v_lshlrev_b32_e32 v14, 20, v14
	v_and_b32_e32 v24, 0x80000000, v24
	v_lshl_add_u32 v15, v15, 23, v25
	v_or3_b32 v14, v24, v15, v14
	v_lshrrev_b32_e32 v15, 16, v14
.LBB883_457:
	s_or_b64 exec, exec, s[10:11]
.LBB883_458:
	s_or_b64 exec, exec, s[8:9]
.LBB883_459:
	s_or_b64 exec, exec, s[2:3]
	s_movk_i32 s2, 0xff
	v_and_b32_sdwa v26, v16, s2 dst_sel:DWORD dst_unused:UNUSED_PAD src0_sel:WORD_1 src1_sel:DWORD
	v_lshrrev_b32_e32 v14, 16, v16
	v_cmp_ne_u16_e32 vcc, 0, v26
	v_mov_b32_e32 v24, 0
	v_mov_b32_e32 v25, 0
	s_and_saveexec_b64 s[2:3], vcc
	s_cbranch_execz .LBB883_465
; %bb.460:
	s_movk_i32 s7, 0x80
	v_cmp_ne_u16_e32 vcc, s7, v26
	v_mov_b32_e32 v25, 0xffff8000
	s_and_saveexec_b64 s[8:9], vcc
	s_cbranch_execz .LBB883_464
; %bb.461:
	v_bfe_u32 v26, v16, 16, 7
	s_movk_i32 s7, 0x7f
	v_cmp_ne_u32_e32 vcc, s7, v26
	v_mov_b32_e32 v25, 0x7f80
	s_and_saveexec_b64 s[10:11], vcc
	s_cbranch_execz .LBB883_463
; %bb.462:
	v_and_b32_e32 v25, 7, v14
	v_ffbh_u32_e32 v29, v25
	v_min_u32_e32 v29, 32, v29
	v_subrev_u32_e32 v30, 28, v29
	v_lshlrev_b64 v[30:31], v30, v[14:15]
	v_lshrrev_b32_e32 v27, 3, v26
	v_sub_u32_e32 v14, 29, v29
	v_and_b32_e32 v29, 7, v30
	v_cmp_gt_u32_e32 vcc, 8, v26
	v_mov_b32_e32 v26, 24
	v_cndmask_b32_e32 v14, v27, v14, vcc
	v_cndmask_b32_e32 v25, v25, v29, vcc
	v_lshlrev_b32_sdwa v26, v26, v16 dst_sel:DWORD dst_unused:UNUSED_PAD src0_sel:DWORD src1_sel:WORD_1
	v_bfrev_b32_e32 v27, 60
	v_lshlrev_b32_e32 v25, 20, v25
	v_and_b32_e32 v26, 0x80000000, v26
	v_lshl_add_u32 v14, v14, 23, v27
	v_or3_b32 v14, v26, v14, v25
	v_lshrrev_b32_e32 v25, 16, v14
.LBB883_463:
	s_or_b64 exec, exec, s[10:11]
.LBB883_464:
	s_or_b64 exec, exec, s[8:9]
.LBB883_465:
	s_or_b64 exec, exec, s[2:3]
	s_mov_b32 s2, 0xffffff
	v_cmp_lt_u32_e32 vcc, s2, v16
	s_and_saveexec_b64 s[2:3], vcc
	s_cbranch_execz .LBB883_471
; %bb.466:
	v_lshrrev_b32_e32 v14, 24, v16
	s_movk_i32 s7, 0x80
	v_cmp_ne_u32_e32 vcc, s7, v14
	v_mov_b32_e32 v24, 0xffff8000
	s_and_saveexec_b64 s[8:9], vcc
	s_cbranch_execz .LBB883_470
; %bb.467:
	v_bfe_u32 v16, v16, 24, 7
	s_movk_i32 s7, 0x7f
	v_cmp_ne_u32_e32 vcc, s7, v16
	v_mov_b32_e32 v24, 0x7f80
	s_and_saveexec_b64 s[10:11], vcc
	s_cbranch_execz .LBB883_469
; %bb.468:
	v_and_b32_e32 v24, 7, v14
	v_ffbh_u32_e32 v26, v24
	v_min_u32_e32 v30, 32, v26
	v_subrev_u32_e32 v26, 28, v30
	v_lshlrev_b64 v[26:27], v26, v[14:15]
	v_lshrrev_b32_e32 v29, 3, v16
	v_sub_u32_e32 v27, 29, v30
	v_and_b32_e32 v26, 7, v26
	v_cmp_gt_u32_e32 vcc, 8, v16
	v_cndmask_b32_e32 v16, v29, v27, vcc
	v_cndmask_b32_e32 v24, v24, v26, vcc
	v_lshlrev_b32_e32 v14, 24, v14
	v_bfrev_b32_e32 v26, 60
	v_lshlrev_b32_e32 v24, 20, v24
	v_and_b32_e32 v14, 0x80000000, v14
	v_lshl_add_u32 v16, v16, 23, v26
	v_or3_b32 v14, v14, v16, v24
	v_lshrrev_b32_e32 v24, 16, v14
.LBB883_469:
	s_or_b64 exec, exec, s[10:11]
.LBB883_470:
	s_or_b64 exec, exec, s[8:9]
.LBB883_471:
	s_or_b64 exec, exec, s[2:3]
	v_mov_b32_e32 v16, 0
	v_cmp_ne_u16_sdwa s[8:9], v17, v16 src0_sel:BYTE_0 src1_sel:DWORD
	v_mov_b32_e32 v26, 0
	s_and_saveexec_b64 s[2:3], s[8:9]
	s_cbranch_execz .LBB883_477
; %bb.472:
	s_movk_i32 s7, 0x80
	v_cmp_ne_u16_sdwa s[10:11], v17, s7 src0_sel:BYTE_0 src1_sel:DWORD
	v_mov_b32_e32 v26, 0xffff8000
	s_and_saveexec_b64 s[8:9], s[10:11]
	s_cbranch_execz .LBB883_476
; %bb.473:
	s_movk_i32 s7, 0x7f
	v_and_b32_e32 v14, 0x7f, v17
	v_cmp_ne_u32_e32 vcc, s7, v14
	v_mov_b32_e32 v26, 0x7f80
	s_and_saveexec_b64 s[10:11], vcc
	s_cbranch_execz .LBB883_475
; %bb.474:
	v_and_b32_e32 v29, 7, v17
	v_ffbh_u32_e32 v27, v29
	v_min_u32_e32 v31, 32, v27
	v_mov_b32_e32 v26, v17
	v_subrev_u32_e32 v27, 28, v31
	v_lshlrev_b64 v[26:27], v27, v[26:27]
	v_lshrrev_b32_e32 v30, 3, v14
	v_sub_u32_e32 v27, 29, v31
	v_and_b32_e32 v26, 7, v26
	v_cmp_gt_u32_e32 vcc, 8, v14
	v_cndmask_b32_e32 v14, v30, v27, vcc
	v_cndmask_b32_e32 v26, v29, v26, vcc
	v_lshlrev_b32_e32 v27, 24, v17
	v_bfrev_b32_e32 v29, 60
	v_lshlrev_b32_e32 v26, 20, v26
	v_and_b32_e32 v27, 0x80000000, v27
	v_lshl_add_u32 v14, v14, 23, v29
	v_or3_b32 v14, v27, v14, v26
	v_lshrrev_b32_e32 v26, 16, v14
.LBB883_475:
	s_or_b64 exec, exec, s[10:11]
.LBB883_476:
	s_or_b64 exec, exec, s[8:9]
.LBB883_477:
	s_or_b64 exec, exec, s[2:3]
	v_lshrrev_b16_e32 v14, 8, v17
	v_cmp_ne_u16_e32 vcc, 0, v14
	s_and_saveexec_b64 s[2:3], vcc
	s_cbranch_execz .LBB883_483
; %bb.478:
	s_movk_i32 s7, 0x80
	v_cmp_ne_u16_e32 vcc, s7, v14
	v_mov_b32_e32 v16, 0xffff8000
	s_and_saveexec_b64 s[8:9], vcc
	s_cbranch_execz .LBB883_482
; %bb.479:
	s_movk_i32 s7, 0x7f
	v_and_b32_e32 v27, 0x7f, v14
	v_cmp_ne_u32_e32 vcc, s7, v27
	v_mov_b32_e32 v16, 0x7f80
	s_and_saveexec_b64 s[10:11], vcc
	s_cbranch_execz .LBB883_481
; %bb.480:
	v_and_b32_e32 v16, 7, v14
	v_ffbh_u32_e32 v30, v16
	v_min_u32_e32 v32, 32, v30
	v_subrev_u32_e32 v30, 28, v32
	v_lshlrev_b64 v[30:31], v30, v[14:15]
	v_lshrrev_b32_e32 v29, 3, v27
	v_sub_u32_e32 v14, 29, v32
	v_and_b32_e32 v30, 7, v30
	v_cmp_gt_u32_e32 vcc, 8, v27
	v_cndmask_b32_e32 v14, v29, v14, vcc
	v_cndmask_b32_e32 v16, v16, v30, vcc
	v_lshlrev_b32_e32 v27, 16, v17
	v_bfrev_b32_e32 v29, 60
	v_lshlrev_b32_e32 v16, 20, v16
	v_and_b32_e32 v27, 0x80000000, v27
	v_lshl_add_u32 v14, v14, 23, v29
	v_or3_b32 v14, v27, v14, v16
	v_lshrrev_b32_e32 v16, 16, v14
.LBB883_481:
	s_or_b64 exec, exec, s[10:11]
.LBB883_482:
	s_or_b64 exec, exec, s[8:9]
.LBB883_483:
	s_or_b64 exec, exec, s[2:3]
	s_movk_i32 s2, 0xff
	v_and_b32_sdwa v30, v17, s2 dst_sel:DWORD dst_unused:UNUSED_PAD src0_sel:WORD_1 src1_sel:DWORD
	v_lshrrev_b32_e32 v14, 16, v17
	v_cmp_ne_u16_e32 vcc, 0, v30
	v_mov_b32_e32 v27, 0
	v_mov_b32_e32 v29, 0
	s_and_saveexec_b64 s[2:3], vcc
	s_cbranch_execz .LBB883_489
; %bb.484:
	s_movk_i32 s7, 0x80
	v_cmp_ne_u16_e32 vcc, s7, v30
	v_mov_b32_e32 v29, 0xffff8000
	s_and_saveexec_b64 s[8:9], vcc
	s_cbranch_execz .LBB883_488
; %bb.485:
	v_bfe_u32 v30, v17, 16, 7
	s_movk_i32 s7, 0x7f
	v_cmp_ne_u32_e32 vcc, s7, v30
	v_mov_b32_e32 v29, 0x7f80
	s_and_saveexec_b64 s[10:11], vcc
	s_cbranch_execz .LBB883_487
; %bb.486:
	v_and_b32_e32 v29, 7, v14
	v_ffbh_u32_e32 v32, v29
	v_min_u32_e32 v34, 32, v32
	v_subrev_u32_e32 v32, 28, v34
	v_lshlrev_b64 v[32:33], v32, v[14:15]
	v_lshrrev_b32_e32 v31, 3, v30
	v_sub_u32_e32 v14, 29, v34
	v_and_b32_e32 v32, 7, v32
	v_cmp_gt_u32_e32 vcc, 8, v30
	v_mov_b32_e32 v30, 24
	v_cndmask_b32_e32 v14, v31, v14, vcc
	v_cndmask_b32_e32 v29, v29, v32, vcc
	v_lshlrev_b32_sdwa v30, v30, v17 dst_sel:DWORD dst_unused:UNUSED_PAD src0_sel:DWORD src1_sel:WORD_1
	v_bfrev_b32_e32 v31, 60
	v_lshlrev_b32_e32 v29, 20, v29
	v_and_b32_e32 v30, 0x80000000, v30
	v_lshl_add_u32 v14, v14, 23, v31
	v_or3_b32 v14, v30, v14, v29
	v_lshrrev_b32_e32 v29, 16, v14
.LBB883_487:
	s_or_b64 exec, exec, s[10:11]
.LBB883_488:
	s_or_b64 exec, exec, s[8:9]
.LBB883_489:
	s_or_b64 exec, exec, s[2:3]
	s_mov_b32 s2, 0xffffff
	v_cmp_lt_u32_e32 vcc, s2, v17
	s_and_saveexec_b64 s[2:3], vcc
	s_cbranch_execz .LBB883_495
; %bb.490:
	v_lshrrev_b32_e32 v14, 24, v17
	s_movk_i32 s7, 0x80
	v_cmp_ne_u32_e32 vcc, s7, v14
	v_mov_b32_e32 v27, 0xffff8000
	s_and_saveexec_b64 s[8:9], vcc
	s_cbranch_execz .LBB883_494
; %bb.491:
	v_bfe_u32 v17, v17, 24, 7
	s_movk_i32 s7, 0x7f
	v_cmp_ne_u32_e32 vcc, s7, v17
	v_mov_b32_e32 v27, 0x7f80
	s_and_saveexec_b64 s[10:11], vcc
	s_cbranch_execz .LBB883_493
; %bb.492:
	v_and_b32_e32 v27, 7, v14
	v_ffbh_u32_e32 v30, v27
	v_min_u32_e32 v33, 32, v30
	v_subrev_u32_e32 v30, 28, v33
	v_lshlrev_b64 v[30:31], v30, v[14:15]
	v_lshrrev_b32_e32 v32, 3, v17
	v_sub_u32_e32 v31, 29, v33
	v_and_b32_e32 v30, 7, v30
	v_cmp_gt_u32_e32 vcc, 8, v17
	v_cndmask_b32_e32 v17, v32, v31, vcc
	v_cndmask_b32_e32 v27, v27, v30, vcc
	v_lshlrev_b32_e32 v14, 24, v14
	v_bfrev_b32_e32 v30, 60
	v_lshlrev_b32_e32 v27, 20, v27
	v_and_b32_e32 v14, 0x80000000, v14
	v_lshl_add_u32 v17, v17, 23, v30
	v_or3_b32 v14, v14, v17, v27
	v_lshrrev_b32_e32 v27, 16, v14
.LBB883_493:
	s_or_b64 exec, exec, s[10:11]
.LBB883_494:
	s_or_b64 exec, exec, s[8:9]
.LBB883_495:
	s_or_b64 exec, exec, s[2:3]
	s_mov_b32 s2, 0x5040100
	v_perm_b32 v25, v24, v25, s2
	v_perm_b32 v24, v15, v23, s2
	ds_read_b128 v[30:33], v22 offset:16
	v_perm_b32 v15, v27, v29, s2
	v_perm_b32 v14, v16, v26, s2
	s_waitcnt lgkmcnt(0)
	v_mfma_f32_16x16x16bf16_1k v[34:37], v[24:25], v[30:31], v[18:21]
	s_nop 6
	v_mov_b32_e32 v19, 0
	s_waitcnt vmcnt(2)
	v_cmp_ne_u16_sdwa s[8:9], v10, v19 src0_sel:BYTE_0 src1_sel:DWORD
	v_mfma_f32_16x16x16bf16_1k v[14:17], v[14:15], v[32:33], v[34:37]
	v_mov_b32_e32 v20, 0
	s_and_saveexec_b64 s[2:3], s[8:9]
	s_cbranch_execz .LBB883_501
; %bb.496:
	s_movk_i32 s7, 0x80
	v_cmp_ne_u16_sdwa s[10:11], v10, s7 src0_sel:BYTE_0 src1_sel:DWORD
	v_mov_b32_e32 v20, 0xffff8000
	s_and_saveexec_b64 s[8:9], s[10:11]
	s_cbranch_execz .LBB883_500
; %bb.497:
	s_movk_i32 s7, 0x7f
	v_and_b32_e32 v18, 0x7f, v10
	v_cmp_ne_u32_e32 vcc, s7, v18
	v_mov_b32_e32 v20, 0x7f80
	s_and_saveexec_b64 s[10:11], vcc
	s_cbranch_execz .LBB883_499
; %bb.498:
	v_and_b32_e32 v23, 7, v10
	v_ffbh_u32_e32 v20, v23
	v_min_u32_e32 v25, 32, v20
	v_subrev_u32_e32 v20, 28, v25
	v_lshlrev_b64 v[20:21], v20, v[10:11]
	v_lshrrev_b32_e32 v24, 3, v18
	v_sub_u32_e32 v21, 29, v25
	v_and_b32_e32 v20, 7, v20
	v_cmp_gt_u32_e32 vcc, 8, v18
	v_cndmask_b32_e32 v18, v24, v21, vcc
	v_cndmask_b32_e32 v20, v23, v20, vcc
	v_lshlrev_b32_e32 v21, 24, v10
	v_bfrev_b32_e32 v23, 60
	v_lshlrev_b32_e32 v20, 20, v20
	v_and_b32_e32 v21, 0x80000000, v21
	v_lshl_add_u32 v18, v18, 23, v23
	v_or3_b32 v18, v21, v18, v20
	v_lshrrev_b32_e32 v20, 16, v18
.LBB883_499:
	s_or_b64 exec, exec, s[10:11]
.LBB883_500:
	s_or_b64 exec, exec, s[8:9]
.LBB883_501:
	s_or_b64 exec, exec, s[2:3]
	v_lshrrev_b16_e32 v18, 8, v10
	v_cmp_ne_u16_e32 vcc, 0, v18
	s_and_saveexec_b64 s[2:3], vcc
	s_cbranch_execz .LBB883_507
; %bb.502:
	s_movk_i32 s7, 0x80
	v_cmp_ne_u16_e32 vcc, s7, v18
	v_mov_b32_e32 v19, 0xffff8000
	s_and_saveexec_b64 s[8:9], vcc
	s_cbranch_execz .LBB883_506
; %bb.503:
	s_movk_i32 s7, 0x7f
	v_and_b32_e32 v21, 0x7f, v18
	v_cmp_ne_u32_e32 vcc, s7, v21
	v_mov_b32_e32 v19, 0x7f80
	s_and_saveexec_b64 s[10:11], vcc
	s_cbranch_execz .LBB883_505
; %bb.504:
	v_and_b32_e32 v23, 7, v18
	v_ffbh_u32_e32 v19, v23
	v_min_u32_e32 v25, 32, v19
	v_subrev_u32_e32 v19, 28, v25
	v_lshlrev_b64 v[18:19], v19, v[18:19]
	v_lshrrev_b32_e32 v24, 3, v21
	v_sub_u32_e32 v19, 29, v25
	v_and_b32_e32 v18, 7, v18
	v_cmp_gt_u32_e32 vcc, 8, v21
	v_cndmask_b32_e32 v19, v24, v19, vcc
	v_cndmask_b32_e32 v18, v23, v18, vcc
	v_lshlrev_b32_e32 v21, 16, v10
	v_bfrev_b32_e32 v23, 60
	v_lshlrev_b32_e32 v18, 20, v18
	v_and_b32_e32 v21, 0x80000000, v21
	v_lshl_add_u32 v19, v19, 23, v23
	v_or3_b32 v18, v21, v19, v18
	v_lshrrev_b32_e32 v19, 16, v18
.LBB883_505:
	s_or_b64 exec, exec, s[10:11]
.LBB883_506:
	s_or_b64 exec, exec, s[8:9]
.LBB883_507:
	s_or_b64 exec, exec, s[2:3]
	s_movk_i32 s2, 0xff
	v_and_b32_sdwa v24, v10, s2 dst_sel:DWORD dst_unused:UNUSED_PAD src0_sel:WORD_1 src1_sel:DWORD
	v_lshrrev_b32_e32 v18, 16, v10
	v_cmp_ne_u16_e32 vcc, 0, v24
	v_mov_b32_e32 v21, 0
	v_mov_b32_e32 v23, 0
	s_and_saveexec_b64 s[2:3], vcc
	s_cbranch_execz .LBB883_513
; %bb.508:
	s_movk_i32 s7, 0x80
	v_cmp_ne_u16_e32 vcc, s7, v24
	v_mov_b32_e32 v23, 0xffff8000
	s_and_saveexec_b64 s[8:9], vcc
	s_cbranch_execz .LBB883_512
; %bb.509:
	v_bfe_u32 v24, v10, 16, 7
	s_movk_i32 s7, 0x7f
	v_cmp_ne_u32_e32 vcc, s7, v24
	v_mov_b32_e32 v23, 0x7f80
	s_and_saveexec_b64 s[10:11], vcc
	s_cbranch_execz .LBB883_511
; %bb.510:
	v_and_b32_e32 v23, 7, v18
	v_ffbh_u32_e32 v26, v23
	v_min_u32_e32 v29, 32, v26
	v_subrev_u32_e32 v26, 28, v29
	v_lshlrev_b64 v[26:27], v26, v[18:19]
	v_lshrrev_b32_e32 v25, 3, v24
	v_sub_u32_e32 v18, 29, v29
	v_and_b32_e32 v26, 7, v26
	v_cmp_gt_u32_e32 vcc, 8, v24
	v_mov_b32_e32 v24, 24
	v_cndmask_b32_e32 v18, v25, v18, vcc
	v_cndmask_b32_e32 v23, v23, v26, vcc
	v_lshlrev_b32_sdwa v24, v24, v10 dst_sel:DWORD dst_unused:UNUSED_PAD src0_sel:DWORD src1_sel:WORD_1
	v_bfrev_b32_e32 v25, 60
	v_lshlrev_b32_e32 v23, 20, v23
	v_and_b32_e32 v24, 0x80000000, v24
	v_lshl_add_u32 v18, v18, 23, v25
	v_or3_b32 v18, v24, v18, v23
	v_lshrrev_b32_e32 v23, 16, v18
.LBB883_511:
	s_or_b64 exec, exec, s[10:11]
.LBB883_512:
	s_or_b64 exec, exec, s[8:9]
.LBB883_513:
	s_or_b64 exec, exec, s[2:3]
	s_mov_b32 s2, 0xffffff
	v_cmp_lt_u32_e32 vcc, s2, v10
	s_and_saveexec_b64 s[2:3], vcc
	s_cbranch_execz .LBB883_519
; %bb.514:
	v_lshrrev_b32_e32 v18, 24, v10
	s_movk_i32 s7, 0x80
	v_cmp_ne_u32_e32 vcc, s7, v18
	v_mov_b32_e32 v21, 0xffff8000
	s_and_saveexec_b64 s[8:9], vcc
	s_cbranch_execz .LBB883_518
; %bb.515:
	v_bfe_u32 v10, v10, 24, 7
	s_movk_i32 s7, 0x7f
	v_cmp_ne_u32_e32 vcc, s7, v10
	v_mov_b32_e32 v21, 0x7f80
	s_and_saveexec_b64 s[10:11], vcc
	s_cbranch_execz .LBB883_517
; %bb.516:
	v_and_b32_e32 v21, 7, v18
	v_ffbh_u32_e32 v24, v21
	v_min_u32_e32 v27, 32, v24
	v_subrev_u32_e32 v24, 28, v27
	v_lshlrev_b64 v[24:25], v24, v[18:19]
	v_lshrrev_b32_e32 v26, 3, v10
	v_sub_u32_e32 v25, 29, v27
	v_and_b32_e32 v24, 7, v24
	v_cmp_gt_u32_e32 vcc, 8, v10
	v_cndmask_b32_e32 v10, v26, v25, vcc
	v_cndmask_b32_e32 v21, v21, v24, vcc
	v_lshlrev_b32_e32 v18, 24, v18
	v_bfrev_b32_e32 v24, 60
	v_lshlrev_b32_e32 v21, 20, v21
	v_and_b32_e32 v18, 0x80000000, v18
	v_lshl_add_u32 v10, v10, 23, v24
	v_or3_b32 v10, v18, v10, v21
	v_lshrrev_b32_e32 v21, 16, v10
.LBB883_517:
	s_or_b64 exec, exec, s[10:11]
.LBB883_518:
	s_or_b64 exec, exec, s[8:9]
.LBB883_519:
	s_or_b64 exec, exec, s[2:3]
	v_mov_b32_e32 v18, 0
	v_cmp_ne_u16_sdwa s[8:9], v11, v18 src0_sel:BYTE_0 src1_sel:DWORD
	v_mov_b32_e32 v24, 0
	s_and_saveexec_b64 s[2:3], s[8:9]
	s_cbranch_execz .LBB883_525
; %bb.520:
	s_movk_i32 s7, 0x80
	v_cmp_ne_u16_sdwa s[10:11], v11, s7 src0_sel:BYTE_0 src1_sel:DWORD
	v_mov_b32_e32 v24, 0xffff8000
	s_and_saveexec_b64 s[8:9], s[10:11]
	s_cbranch_execz .LBB883_524
; %bb.521:
	s_movk_i32 s7, 0x7f
	v_and_b32_e32 v10, 0x7f, v11
	v_cmp_ne_u32_e32 vcc, s7, v10
	v_mov_b32_e32 v24, 0x7f80
	s_and_saveexec_b64 s[10:11], vcc
	s_cbranch_execz .LBB883_523
; %bb.522:
	v_and_b32_e32 v26, 7, v11
	v_ffbh_u32_e32 v25, v26
	v_min_u32_e32 v29, 32, v25
	v_mov_b32_e32 v24, v11
	v_subrev_u32_e32 v25, 28, v29
	v_lshlrev_b64 v[24:25], v25, v[24:25]
	v_lshrrev_b32_e32 v27, 3, v10
	v_sub_u32_e32 v25, 29, v29
	v_and_b32_e32 v24, 7, v24
	v_cmp_gt_u32_e32 vcc, 8, v10
	v_cndmask_b32_e32 v10, v27, v25, vcc
	v_cndmask_b32_e32 v24, v26, v24, vcc
	v_lshlrev_b32_e32 v25, 24, v11
	v_bfrev_b32_e32 v26, 60
	v_lshlrev_b32_e32 v24, 20, v24
	v_and_b32_e32 v25, 0x80000000, v25
	v_lshl_add_u32 v10, v10, 23, v26
	v_or3_b32 v10, v25, v10, v24
	v_lshrrev_b32_e32 v24, 16, v10
.LBB883_523:
	s_or_b64 exec, exec, s[10:11]
.LBB883_524:
	s_or_b64 exec, exec, s[8:9]
.LBB883_525:
	s_or_b64 exec, exec, s[2:3]
	v_lshrrev_b16_e32 v10, 8, v11
	v_cmp_ne_u16_e32 vcc, 0, v10
	s_and_saveexec_b64 s[2:3], vcc
	s_cbranch_execz .LBB883_531
; %bb.526:
	s_movk_i32 s7, 0x80
	v_cmp_ne_u16_e32 vcc, s7, v10
	v_mov_b32_e32 v18, 0xffff8000
	s_and_saveexec_b64 s[8:9], vcc
	s_cbranch_execz .LBB883_530
; %bb.527:
	s_movk_i32 s7, 0x7f
	v_and_b32_e32 v25, 0x7f, v10
	v_cmp_ne_u32_e32 vcc, s7, v25
	v_mov_b32_e32 v18, 0x7f80
	s_and_saveexec_b64 s[10:11], vcc
	s_cbranch_execz .LBB883_529
; %bb.528:
	v_and_b32_e32 v18, 7, v10
	v_ffbh_u32_e32 v26, v18
	v_min_u32_e32 v30, 32, v26
	v_subrev_u32_e32 v26, 28, v30
	v_lshlrev_b64 v[26:27], v26, v[10:11]
	v_lshrrev_b32_e32 v29, 3, v25
	v_sub_u32_e32 v10, 29, v30
	v_and_b32_e32 v26, 7, v26
	v_cmp_gt_u32_e32 vcc, 8, v25
	v_cndmask_b32_e32 v10, v29, v10, vcc
	v_cndmask_b32_e32 v18, v18, v26, vcc
	v_lshlrev_b32_e32 v25, 16, v11
	v_bfrev_b32_e32 v26, 60
	v_lshlrev_b32_e32 v18, 20, v18
	v_and_b32_e32 v25, 0x80000000, v25
	v_lshl_add_u32 v10, v10, 23, v26
	v_or3_b32 v10, v25, v10, v18
	v_lshrrev_b32_e32 v18, 16, v10
.LBB883_529:
	s_or_b64 exec, exec, s[10:11]
.LBB883_530:
	s_or_b64 exec, exec, s[8:9]
.LBB883_531:
	s_or_b64 exec, exec, s[2:3]
	s_movk_i32 s2, 0xff
	v_and_b32_sdwa v27, v11, s2 dst_sel:DWORD dst_unused:UNUSED_PAD src0_sel:WORD_1 src1_sel:DWORD
	v_lshrrev_b32_e32 v10, 16, v11
	v_cmp_ne_u16_e32 vcc, 0, v27
	v_mov_b32_e32 v25, 0
	v_mov_b32_e32 v26, 0
	s_and_saveexec_b64 s[2:3], vcc
	s_cbranch_execz .LBB883_537
; %bb.532:
	s_movk_i32 s7, 0x80
	v_cmp_ne_u16_e32 vcc, s7, v27
	v_mov_b32_e32 v26, 0xffff8000
	s_and_saveexec_b64 s[8:9], vcc
	s_cbranch_execz .LBB883_536
; %bb.533:
	v_bfe_u32 v27, v11, 16, 7
	s_movk_i32 s7, 0x7f
	v_cmp_ne_u32_e32 vcc, s7, v27
	v_mov_b32_e32 v26, 0x7f80
	s_and_saveexec_b64 s[10:11], vcc
	s_cbranch_execz .LBB883_535
; %bb.534:
	v_and_b32_e32 v26, 7, v10
	v_ffbh_u32_e32 v30, v26
	v_min_u32_e32 v32, 32, v30
	v_subrev_u32_e32 v30, 28, v32
	v_lshlrev_b64 v[30:31], v30, v[10:11]
	v_lshrrev_b32_e32 v29, 3, v27
	v_sub_u32_e32 v10, 29, v32
	v_and_b32_e32 v30, 7, v30
	v_cmp_gt_u32_e32 vcc, 8, v27
	v_mov_b32_e32 v27, 24
	v_cndmask_b32_e32 v10, v29, v10, vcc
	v_cndmask_b32_e32 v26, v26, v30, vcc
	v_lshlrev_b32_sdwa v27, v27, v11 dst_sel:DWORD dst_unused:UNUSED_PAD src0_sel:DWORD src1_sel:WORD_1
	v_bfrev_b32_e32 v29, 60
	v_lshlrev_b32_e32 v26, 20, v26
	v_and_b32_e32 v27, 0x80000000, v27
	v_lshl_add_u32 v10, v10, 23, v29
	v_or3_b32 v10, v27, v10, v26
	v_lshrrev_b32_e32 v26, 16, v10
.LBB883_535:
	s_or_b64 exec, exec, s[10:11]
.LBB883_536:
	s_or_b64 exec, exec, s[8:9]
.LBB883_537:
	s_or_b64 exec, exec, s[2:3]
	s_mov_b32 s2, 0xffffff
	v_cmp_lt_u32_e32 vcc, s2, v11
	s_and_saveexec_b64 s[2:3], vcc
	s_cbranch_execz .LBB883_543
; %bb.538:
	v_lshrrev_b32_e32 v10, 24, v11
	s_movk_i32 s7, 0x80
	v_cmp_ne_u32_e32 vcc, s7, v10
	v_mov_b32_e32 v25, 0xffff8000
	s_and_saveexec_b64 s[8:9], vcc
	s_cbranch_execz .LBB883_542
; %bb.539:
	v_bfe_u32 v11, v11, 24, 7
	s_movk_i32 s7, 0x7f
	v_cmp_ne_u32_e32 vcc, s7, v11
	v_mov_b32_e32 v25, 0x7f80
	s_and_saveexec_b64 s[10:11], vcc
	s_cbranch_execz .LBB883_541
; %bb.540:
	v_and_b32_e32 v25, 7, v10
	v_ffbh_u32_e32 v29, v25
	v_min_u32_e32 v29, 32, v29
	v_subrev_u32_e32 v30, 28, v29
	v_lshlrev_b64 v[30:31], v30, v[10:11]
	v_lshrrev_b32_e32 v27, 3, v11
	v_sub_u32_e32 v29, 29, v29
	v_and_b32_e32 v30, 7, v30
	v_cmp_gt_u32_e32 vcc, 8, v11
	v_cndmask_b32_e32 v11, v27, v29, vcc
	v_cndmask_b32_e32 v25, v25, v30, vcc
	v_lshlrev_b32_e32 v10, 24, v10
	v_bfrev_b32_e32 v27, 60
	v_lshlrev_b32_e32 v25, 20, v25
	v_and_b32_e32 v10, 0x80000000, v10
	v_lshl_add_u32 v11, v11, 23, v27
	v_or3_b32 v10, v10, v11, v25
	v_lshrrev_b32_e32 v25, 16, v10
.LBB883_541:
	s_or_b64 exec, exec, s[10:11]
.LBB883_542:
	s_or_b64 exec, exec, s[8:9]
.LBB883_543:
	s_or_b64 exec, exec, s[2:3]
	s_mov_b32 s2, 0x5040100
	v_perm_b32 v11, v21, v23, s2
	v_perm_b32 v10, v19, v20, s2
	ds_read_b128 v[30:33], v22 offset:2048
	v_perm_b32 v21, v25, v26, s2
	v_perm_b32 v20, v18, v24, s2
	s_waitcnt lgkmcnt(0)
	v_mfma_f32_16x16x16bf16_1k v[14:17], v[10:11], v[30:31], v[14:17]
	v_mov_b32_e32 v11, 0
	v_cmp_ne_u16_sdwa s[8:9], v12, v11 src0_sel:BYTE_0 src1_sel:DWORD
	v_mov_b32_e32 v18, 0
	v_mfma_f32_16x16x16bf16_1k v[14:17], v[20:21], v[32:33], v[14:17]
	s_and_saveexec_b64 s[2:3], s[8:9]
	s_cbranch_execz .LBB883_549
; %bb.544:
	s_movk_i32 s7, 0x80
	v_cmp_ne_u16_sdwa s[10:11], v12, s7 src0_sel:BYTE_0 src1_sel:DWORD
	v_mov_b32_e32 v18, 0xffff8000
	s_and_saveexec_b64 s[8:9], s[10:11]
	s_cbranch_execz .LBB883_548
; %bb.545:
	s_movk_i32 s7, 0x7f
	v_and_b32_e32 v10, 0x7f, v12
	v_cmp_ne_u32_e32 vcc, s7, v10
	v_mov_b32_e32 v18, 0x7f80
	s_and_saveexec_b64 s[10:11], vcc
	s_cbranch_execz .LBB883_547
; %bb.546:
	v_and_b32_e32 v20, 7, v12
	v_ffbh_u32_e32 v18, v20
	v_min_u32_e32 v23, 32, v18
	v_subrev_u32_e32 v18, 28, v23
	v_lshlrev_b64 v[18:19], v18, v[12:13]
	v_lshrrev_b32_e32 v21, 3, v10
	v_sub_u32_e32 v19, 29, v23
	v_and_b32_e32 v18, 7, v18
	v_cmp_gt_u32_e32 vcc, 8, v10
	v_cndmask_b32_e32 v10, v21, v19, vcc
	v_cndmask_b32_e32 v18, v20, v18, vcc
	v_lshlrev_b32_e32 v19, 24, v12
	v_bfrev_b32_e32 v20, 60
	v_lshlrev_b32_e32 v18, 20, v18
	v_and_b32_e32 v19, 0x80000000, v19
	v_lshl_add_u32 v10, v10, 23, v20
	v_or3_b32 v10, v19, v10, v18
	v_lshrrev_b32_e32 v18, 16, v10
.LBB883_547:
	s_or_b64 exec, exec, s[10:11]
.LBB883_548:
	s_or_b64 exec, exec, s[8:9]
.LBB883_549:
	s_or_b64 exec, exec, s[2:3]
	v_lshrrev_b16_e32 v10, 8, v12
	v_cmp_ne_u16_e32 vcc, 0, v10
	s_and_saveexec_b64 s[2:3], vcc
	s_cbranch_execz .LBB883_555
; %bb.550:
	s_movk_i32 s7, 0x80
	v_cmp_ne_u16_e32 vcc, s7, v10
	v_mov_b32_e32 v11, 0xffff8000
	s_and_saveexec_b64 s[8:9], vcc
	s_cbranch_execz .LBB883_554
; %bb.551:
	s_movk_i32 s7, 0x7f
	v_and_b32_e32 v19, 0x7f, v10
	v_cmp_ne_u32_e32 vcc, s7, v19
	v_mov_b32_e32 v11, 0x7f80
	s_and_saveexec_b64 s[10:11], vcc
	s_cbranch_execz .LBB883_553
; %bb.552:
	v_and_b32_e32 v20, 7, v10
	v_ffbh_u32_e32 v11, v20
	v_min_u32_e32 v23, 32, v11
	v_subrev_u32_e32 v11, 28, v23
	v_lshlrev_b64 v[10:11], v11, v[10:11]
	v_lshrrev_b32_e32 v21, 3, v19
	v_sub_u32_e32 v11, 29, v23
	v_and_b32_e32 v10, 7, v10
	v_cmp_gt_u32_e32 vcc, 8, v19
	v_cndmask_b32_e32 v11, v21, v11, vcc
	v_cndmask_b32_e32 v10, v20, v10, vcc
	v_lshlrev_b32_e32 v19, 16, v12
	v_bfrev_b32_e32 v20, 60
	v_lshlrev_b32_e32 v10, 20, v10
	v_and_b32_e32 v19, 0x80000000, v19
	v_lshl_add_u32 v11, v11, 23, v20
	v_or3_b32 v10, v19, v11, v10
	v_lshrrev_b32_e32 v11, 16, v10
.LBB883_553:
	s_or_b64 exec, exec, s[10:11]
.LBB883_554:
	s_or_b64 exec, exec, s[8:9]
.LBB883_555:
	s_or_b64 exec, exec, s[2:3]
	s_movk_i32 s2, 0xff
	v_and_b32_sdwa v21, v12, s2 dst_sel:DWORD dst_unused:UNUSED_PAD src0_sel:WORD_1 src1_sel:DWORD
	v_lshrrev_b32_e32 v10, 16, v12
	v_cmp_ne_u16_e32 vcc, 0, v21
	v_mov_b32_e32 v19, 0
	v_mov_b32_e32 v20, 0
	s_and_saveexec_b64 s[2:3], vcc
	s_cbranch_execz .LBB883_561
; %bb.556:
	s_movk_i32 s7, 0x80
	v_cmp_ne_u16_e32 vcc, s7, v21
	v_mov_b32_e32 v20, 0xffff8000
	s_and_saveexec_b64 s[8:9], vcc
	s_cbranch_execz .LBB883_560
; %bb.557:
	v_bfe_u32 v21, v12, 16, 7
	s_movk_i32 s7, 0x7f
	v_cmp_ne_u32_e32 vcc, s7, v21
	v_mov_b32_e32 v20, 0x7f80
	s_and_saveexec_b64 s[10:11], vcc
	s_cbranch_execz .LBB883_559
; %bb.558:
	v_and_b32_e32 v20, 7, v10
	v_ffbh_u32_e32 v24, v20
	v_min_u32_e32 v26, 32, v24
	v_subrev_u32_e32 v24, 28, v26
	v_lshlrev_b64 v[24:25], v24, v[10:11]
	v_lshrrev_b32_e32 v23, 3, v21
	v_sub_u32_e32 v10, 29, v26
	v_and_b32_e32 v24, 7, v24
	v_cmp_gt_u32_e32 vcc, 8, v21
	v_mov_b32_e32 v21, 24
	v_cndmask_b32_e32 v10, v23, v10, vcc
	v_cndmask_b32_e32 v20, v20, v24, vcc
	v_lshlrev_b32_sdwa v21, v21, v12 dst_sel:DWORD dst_unused:UNUSED_PAD src0_sel:DWORD src1_sel:WORD_1
	v_bfrev_b32_e32 v23, 60
	v_lshlrev_b32_e32 v20, 20, v20
	v_and_b32_e32 v21, 0x80000000, v21
	v_lshl_add_u32 v10, v10, 23, v23
	v_or3_b32 v10, v21, v10, v20
	v_lshrrev_b32_e32 v20, 16, v10
.LBB883_559:
	s_or_b64 exec, exec, s[10:11]
.LBB883_560:
	s_or_b64 exec, exec, s[8:9]
.LBB883_561:
	s_or_b64 exec, exec, s[2:3]
	s_mov_b32 s2, 0xffffff
	v_cmp_lt_u32_e32 vcc, s2, v12
	s_and_saveexec_b64 s[2:3], vcc
	s_cbranch_execz .LBB883_567
; %bb.562:
	v_lshrrev_b32_e32 v10, 24, v12
	s_movk_i32 s7, 0x80
	v_cmp_ne_u32_e32 vcc, s7, v10
	v_mov_b32_e32 v19, 0xffff8000
	s_and_saveexec_b64 s[8:9], vcc
	s_cbranch_execz .LBB883_566
; %bb.563:
	v_bfe_u32 v12, v12, 24, 7
	s_movk_i32 s7, 0x7f
	v_cmp_ne_u32_e32 vcc, s7, v12
	v_mov_b32_e32 v19, 0x7f80
	s_and_saveexec_b64 s[10:11], vcc
	s_cbranch_execz .LBB883_565
; %bb.564:
	v_and_b32_e32 v19, 7, v10
	v_ffbh_u32_e32 v23, v19
	v_min_u32_e32 v23, 32, v23
	v_subrev_u32_e32 v24, 28, v23
	v_lshlrev_b64 v[24:25], v24, v[10:11]
	v_lshrrev_b32_e32 v21, 3, v12
	v_sub_u32_e32 v23, 29, v23
	v_and_b32_e32 v24, 7, v24
	v_cmp_gt_u32_e32 vcc, 8, v12
	v_cndmask_b32_e32 v12, v21, v23, vcc
	v_cndmask_b32_e32 v19, v19, v24, vcc
	v_lshlrev_b32_e32 v10, 24, v10
	v_bfrev_b32_e32 v21, 60
	v_lshlrev_b32_e32 v19, 20, v19
	v_and_b32_e32 v10, 0x80000000, v10
	v_lshl_add_u32 v12, v12, 23, v21
	v_or3_b32 v10, v10, v12, v19
	v_lshrrev_b32_e32 v19, 16, v10
.LBB883_565:
	s_or_b64 exec, exec, s[10:11]
.LBB883_566:
	s_or_b64 exec, exec, s[8:9]
.LBB883_567:
	s_or_b64 exec, exec, s[2:3]
	v_mov_b32_e32 v12, 0
	v_cmp_ne_u16_sdwa s[8:9], v13, v12 src0_sel:BYTE_0 src1_sel:DWORD
	v_mov_b32_e32 v21, 0
	s_and_saveexec_b64 s[2:3], s[8:9]
	s_cbranch_execz .LBB883_573
; %bb.568:
	s_movk_i32 s7, 0x80
	v_cmp_ne_u16_sdwa s[10:11], v13, s7 src0_sel:BYTE_0 src1_sel:DWORD
	v_mov_b32_e32 v21, 0xffff8000
	s_and_saveexec_b64 s[8:9], s[10:11]
	s_cbranch_execz .LBB883_572
; %bb.569:
	s_movk_i32 s7, 0x7f
	v_and_b32_e32 v10, 0x7f, v13
	v_cmp_ne_u32_e32 vcc, s7, v10
	v_mov_b32_e32 v21, 0x7f80
	s_and_saveexec_b64 s[10:11], vcc
	s_cbranch_execz .LBB883_571
; %bb.570:
	v_and_b32_e32 v21, 7, v13
	v_ffbh_u32_e32 v25, v21
	v_min_u32_e32 v26, 32, v25
	v_mov_b32_e32 v24, v13
	v_subrev_u32_e32 v25, 28, v26
	v_lshlrev_b64 v[24:25], v25, v[24:25]
	v_lshrrev_b32_e32 v23, 3, v10
	v_sub_u32_e32 v25, 29, v26
	v_and_b32_e32 v24, 7, v24
	v_cmp_gt_u32_e32 vcc, 8, v10
	v_cndmask_b32_e32 v10, v23, v25, vcc
	v_cndmask_b32_e32 v21, v21, v24, vcc
	v_lshlrev_b32_e32 v23, 24, v13
	v_bfrev_b32_e32 v24, 60
	v_lshlrev_b32_e32 v21, 20, v21
	v_and_b32_e32 v23, 0x80000000, v23
	v_lshl_add_u32 v10, v10, 23, v24
	v_or3_b32 v10, v23, v10, v21
	v_lshrrev_b32_e32 v21, 16, v10
.LBB883_571:
	s_or_b64 exec, exec, s[10:11]
.LBB883_572:
	s_or_b64 exec, exec, s[8:9]
.LBB883_573:
	s_or_b64 exec, exec, s[2:3]
	v_lshrrev_b16_e32 v10, 8, v13
	v_cmp_ne_u16_e32 vcc, 0, v10
	s_and_saveexec_b64 s[2:3], vcc
	s_cbranch_execz .LBB883_579
; %bb.574:
	s_movk_i32 s7, 0x80
	v_cmp_ne_u16_e32 vcc, s7, v10
	v_mov_b32_e32 v12, 0xffff8000
	s_and_saveexec_b64 s[8:9], vcc
	s_cbranch_execz .LBB883_578
; %bb.575:
	s_movk_i32 s7, 0x7f
	v_and_b32_e32 v23, 0x7f, v10
	v_cmp_ne_u32_e32 vcc, s7, v23
	v_mov_b32_e32 v12, 0x7f80
	s_and_saveexec_b64 s[10:11], vcc
	s_cbranch_execz .LBB883_577
; %bb.576:
	v_and_b32_e32 v12, 7, v10
	v_ffbh_u32_e32 v24, v12
	v_min_u32_e32 v27, 32, v24
	v_subrev_u32_e32 v24, 28, v27
	v_lshlrev_b64 v[24:25], v24, v[10:11]
	v_lshrrev_b32_e32 v26, 3, v23
	v_sub_u32_e32 v10, 29, v27
	v_and_b32_e32 v24, 7, v24
	v_cmp_gt_u32_e32 vcc, 8, v23
	v_cndmask_b32_e32 v10, v26, v10, vcc
	v_cndmask_b32_e32 v12, v12, v24, vcc
	v_lshlrev_b32_e32 v23, 16, v13
	v_bfrev_b32_e32 v24, 60
	v_lshlrev_b32_e32 v12, 20, v12
	v_and_b32_e32 v23, 0x80000000, v23
	v_lshl_add_u32 v10, v10, 23, v24
	v_or3_b32 v10, v23, v10, v12
	v_lshrrev_b32_e32 v12, 16, v10
.LBB883_577:
	s_or_b64 exec, exec, s[10:11]
.LBB883_578:
	s_or_b64 exec, exec, s[8:9]
.LBB883_579:
	s_or_b64 exec, exec, s[2:3]
	s_movk_i32 s2, 0xff
	v_and_b32_sdwa v25, v13, s2 dst_sel:DWORD dst_unused:UNUSED_PAD src0_sel:WORD_1 src1_sel:DWORD
	v_lshrrev_b32_e32 v10, 16, v13
	v_cmp_ne_u16_e32 vcc, 0, v25
	v_mov_b32_e32 v23, 0
	v_mov_b32_e32 v24, 0
	s_and_saveexec_b64 s[2:3], vcc
	s_cbranch_execz .LBB883_585
; %bb.580:
	s_movk_i32 s7, 0x80
	v_cmp_ne_u16_e32 vcc, s7, v25
	v_mov_b32_e32 v24, 0xffff8000
	s_and_saveexec_b64 s[8:9], vcc
	s_cbranch_execz .LBB883_584
; %bb.581:
	v_bfe_u32 v25, v13, 16, 7
	s_movk_i32 s7, 0x7f
	v_cmp_ne_u32_e32 vcc, s7, v25
	v_mov_b32_e32 v24, 0x7f80
	s_and_saveexec_b64 s[10:11], vcc
	s_cbranch_execz .LBB883_583
; %bb.582:
	v_and_b32_e32 v24, 7, v10
	v_ffbh_u32_e32 v26, v24
	v_min_u32_e32 v30, 32, v26
	v_subrev_u32_e32 v26, 28, v30
	v_lshlrev_b64 v[26:27], v26, v[10:11]
	v_lshrrev_b32_e32 v29, 3, v25
	v_sub_u32_e32 v10, 29, v30
	v_and_b32_e32 v26, 7, v26
	v_cmp_gt_u32_e32 vcc, 8, v25
	v_mov_b32_e32 v25, 24
	v_cndmask_b32_e32 v10, v29, v10, vcc
	v_cndmask_b32_e32 v24, v24, v26, vcc
	v_lshlrev_b32_sdwa v25, v25, v13 dst_sel:DWORD dst_unused:UNUSED_PAD src0_sel:DWORD src1_sel:WORD_1
	v_bfrev_b32_e32 v26, 60
	v_lshlrev_b32_e32 v24, 20, v24
	v_and_b32_e32 v25, 0x80000000, v25
	v_lshl_add_u32 v10, v10, 23, v26
	v_or3_b32 v10, v25, v10, v24
	v_lshrrev_b32_e32 v24, 16, v10
.LBB883_583:
	s_or_b64 exec, exec, s[10:11]
.LBB883_584:
	s_or_b64 exec, exec, s[8:9]
.LBB883_585:
	s_or_b64 exec, exec, s[2:3]
	s_mov_b32 s2, 0xffffff
	v_cmp_lt_u32_e32 vcc, s2, v13
	s_and_saveexec_b64 s[2:3], vcc
	s_cbranch_execz .LBB883_591
; %bb.586:
	v_lshrrev_b32_e32 v10, 24, v13
	s_movk_i32 s7, 0x80
	v_cmp_ne_u32_e32 vcc, s7, v10
	v_mov_b32_e32 v23, 0xffff8000
	s_and_saveexec_b64 s[8:9], vcc
	s_cbranch_execz .LBB883_590
; %bb.587:
	v_bfe_u32 v13, v13, 24, 7
	s_movk_i32 s7, 0x7f
	v_cmp_ne_u32_e32 vcc, s7, v13
	v_mov_b32_e32 v23, 0x7f80
	s_and_saveexec_b64 s[10:11], vcc
	s_cbranch_execz .LBB883_589
; %bb.588:
	v_and_b32_e32 v23, 7, v10
	v_ffbh_u32_e32 v26, v23
	v_min_u32_e32 v29, 32, v26
	v_subrev_u32_e32 v26, 28, v29
	v_lshlrev_b64 v[26:27], v26, v[10:11]
	v_lshrrev_b32_e32 v25, 3, v13
	v_sub_u32_e32 v27, 29, v29
	v_and_b32_e32 v26, 7, v26
	v_cmp_gt_u32_e32 vcc, 8, v13
	v_cndmask_b32_e32 v13, v25, v27, vcc
	v_cndmask_b32_e32 v23, v23, v26, vcc
	v_lshlrev_b32_e32 v10, 24, v10
	v_bfrev_b32_e32 v25, 60
	v_lshlrev_b32_e32 v23, 20, v23
	v_and_b32_e32 v10, 0x80000000, v10
	v_lshl_add_u32 v13, v13, 23, v25
	v_or3_b32 v10, v10, v13, v23
	v_lshrrev_b32_e32 v23, 16, v10
.LBB883_589:
	s_or_b64 exec, exec, s[10:11]
.LBB883_590:
	s_or_b64 exec, exec, s[8:9]
.LBB883_591:
	s_or_b64 exec, exec, s[2:3]
	s_mov_b32 s2, 0x5040100
	v_perm_b32 v19, v19, v20, s2
	v_perm_b32 v18, v11, v18, s2
	ds_read_b128 v[30:33], v22 offset:2064
	v_perm_b32 v11, v23, v24, s2
	v_perm_b32 v10, v12, v21, s2
	s_waitcnt lgkmcnt(0)
	v_mfma_f32_16x16x16bf16_1k v[34:37], v[18:19], v[30:31], v[14:17]
	s_nop 6
	v_mov_b32_e32 v15, 0
	s_waitcnt vmcnt(1)
	v_cmp_ne_u16_sdwa s[8:9], v6, v15 src0_sel:BYTE_0 src1_sel:DWORD
	v_mfma_f32_16x16x16bf16_1k v[10:13], v[10:11], v[32:33], v[34:37]
	v_mov_b32_e32 v16, 0
	s_and_saveexec_b64 s[2:3], s[8:9]
	s_cbranch_execz .LBB883_597
; %bb.592:
	s_movk_i32 s7, 0x80
	v_cmp_ne_u16_sdwa s[10:11], v6, s7 src0_sel:BYTE_0 src1_sel:DWORD
	v_mov_b32_e32 v16, 0xffff8000
	s_and_saveexec_b64 s[8:9], s[10:11]
	s_cbranch_execz .LBB883_596
; %bb.593:
	s_movk_i32 s7, 0x7f
	v_and_b32_e32 v14, 0x7f, v6
	v_cmp_ne_u32_e32 vcc, s7, v14
	v_mov_b32_e32 v16, 0x7f80
	s_and_saveexec_b64 s[10:11], vcc
	s_cbranch_execz .LBB883_595
; %bb.594:
	v_and_b32_e32 v18, 7, v6
	v_ffbh_u32_e32 v16, v18
	v_min_u32_e32 v20, 32, v16
	v_subrev_u32_e32 v16, 28, v20
	v_lshlrev_b64 v[16:17], v16, v[6:7]
	v_lshrrev_b32_e32 v19, 3, v14
	v_sub_u32_e32 v17, 29, v20
	v_and_b32_e32 v16, 7, v16
	v_cmp_gt_u32_e32 vcc, 8, v14
	v_cndmask_b32_e32 v14, v19, v17, vcc
	v_cndmask_b32_e32 v16, v18, v16, vcc
	v_lshlrev_b32_e32 v17, 24, v6
	v_bfrev_b32_e32 v18, 60
	v_lshlrev_b32_e32 v16, 20, v16
	v_and_b32_e32 v17, 0x80000000, v17
	v_lshl_add_u32 v14, v14, 23, v18
	v_or3_b32 v14, v17, v14, v16
	v_lshrrev_b32_e32 v16, 16, v14
.LBB883_595:
	s_or_b64 exec, exec, s[10:11]
.LBB883_596:
	s_or_b64 exec, exec, s[8:9]
.LBB883_597:
	s_or_b64 exec, exec, s[2:3]
	v_lshrrev_b16_e32 v14, 8, v6
	v_cmp_ne_u16_e32 vcc, 0, v14
	s_and_saveexec_b64 s[2:3], vcc
	s_cbranch_execz .LBB883_603
; %bb.598:
	s_movk_i32 s7, 0x80
	v_cmp_ne_u16_e32 vcc, s7, v14
	v_mov_b32_e32 v15, 0xffff8000
	s_and_saveexec_b64 s[8:9], vcc
	s_cbranch_execz .LBB883_602
; %bb.599:
	s_movk_i32 s7, 0x7f
	v_and_b32_e32 v17, 0x7f, v14
	v_cmp_ne_u32_e32 vcc, s7, v17
	v_mov_b32_e32 v15, 0x7f80
	s_and_saveexec_b64 s[10:11], vcc
	s_cbranch_execz .LBB883_601
; %bb.600:
	v_and_b32_e32 v18, 7, v14
	v_ffbh_u32_e32 v15, v18
	v_min_u32_e32 v20, 32, v15
	v_subrev_u32_e32 v15, 28, v20
	v_lshlrev_b64 v[14:15], v15, v[14:15]
	v_lshrrev_b32_e32 v19, 3, v17
	v_sub_u32_e32 v15, 29, v20
	v_and_b32_e32 v14, 7, v14
	v_cmp_gt_u32_e32 vcc, 8, v17
	v_cndmask_b32_e32 v15, v19, v15, vcc
	v_cndmask_b32_e32 v14, v18, v14, vcc
	v_lshlrev_b32_e32 v17, 16, v6
	v_bfrev_b32_e32 v18, 60
	v_lshlrev_b32_e32 v14, 20, v14
	v_and_b32_e32 v17, 0x80000000, v17
	v_lshl_add_u32 v15, v15, 23, v18
	v_or3_b32 v14, v17, v15, v14
	v_lshrrev_b32_e32 v15, 16, v14
.LBB883_601:
	s_or_b64 exec, exec, s[10:11]
.LBB883_602:
	s_or_b64 exec, exec, s[8:9]
.LBB883_603:
	s_or_b64 exec, exec, s[2:3]
	s_movk_i32 s2, 0xff
	v_and_b32_sdwa v19, v6, s2 dst_sel:DWORD dst_unused:UNUSED_PAD src0_sel:WORD_1 src1_sel:DWORD
	v_lshrrev_b32_e32 v14, 16, v6
	v_cmp_ne_u16_e32 vcc, 0, v19
	v_mov_b32_e32 v17, 0
	v_mov_b32_e32 v18, 0
	s_and_saveexec_b64 s[2:3], vcc
	s_cbranch_execz .LBB883_609
; %bb.604:
	s_movk_i32 s7, 0x80
	v_cmp_ne_u16_e32 vcc, s7, v19
	v_mov_b32_e32 v18, 0xffff8000
	s_and_saveexec_b64 s[8:9], vcc
	s_cbranch_execz .LBB883_608
; %bb.605:
	v_bfe_u32 v19, v6, 16, 7
	s_movk_i32 s7, 0x7f
	v_cmp_ne_u32_e32 vcc, s7, v19
	v_mov_b32_e32 v18, 0x7f80
	s_and_saveexec_b64 s[10:11], vcc
	s_cbranch_execz .LBB883_607
; %bb.606:
	v_and_b32_e32 v18, 7, v14
	v_ffbh_u32_e32 v20, v18
	v_min_u32_e32 v24, 32, v20
	v_subrev_u32_e32 v20, 28, v24
	v_lshlrev_b64 v[20:21], v20, v[14:15]
	v_lshrrev_b32_e32 v23, 3, v19
	v_sub_u32_e32 v14, 29, v24
	v_and_b32_e32 v20, 7, v20
	v_cmp_gt_u32_e32 vcc, 8, v19
	v_mov_b32_e32 v19, 24
	v_cndmask_b32_e32 v14, v23, v14, vcc
	v_cndmask_b32_e32 v18, v18, v20, vcc
	v_lshlrev_b32_sdwa v19, v19, v6 dst_sel:DWORD dst_unused:UNUSED_PAD src0_sel:DWORD src1_sel:WORD_1
	v_bfrev_b32_e32 v20, 60
	v_lshlrev_b32_e32 v18, 20, v18
	v_and_b32_e32 v19, 0x80000000, v19
	v_lshl_add_u32 v14, v14, 23, v20
	v_or3_b32 v14, v19, v14, v18
	v_lshrrev_b32_e32 v18, 16, v14
.LBB883_607:
	s_or_b64 exec, exec, s[10:11]
.LBB883_608:
	s_or_b64 exec, exec, s[8:9]
.LBB883_609:
	s_or_b64 exec, exec, s[2:3]
	s_mov_b32 s2, 0xffffff
	v_cmp_lt_u32_e32 vcc, s2, v6
	s_and_saveexec_b64 s[2:3], vcc
	s_cbranch_execz .LBB883_615
; %bb.610:
	v_lshrrev_b32_e32 v14, 24, v6
	s_movk_i32 s7, 0x80
	v_cmp_ne_u32_e32 vcc, s7, v14
	v_mov_b32_e32 v17, 0xffff8000
	s_and_saveexec_b64 s[8:9], vcc
	s_cbranch_execz .LBB883_614
; %bb.611:
	v_bfe_u32 v6, v6, 24, 7
	s_movk_i32 s7, 0x7f
	v_cmp_ne_u32_e32 vcc, s7, v6
	v_mov_b32_e32 v17, 0x7f80
	s_and_saveexec_b64 s[10:11], vcc
	s_cbranch_execz .LBB883_613
; %bb.612:
	v_and_b32_e32 v17, 7, v14
	v_ffbh_u32_e32 v20, v17
	v_min_u32_e32 v23, 32, v20
	v_subrev_u32_e32 v20, 28, v23
	v_lshlrev_b64 v[20:21], v20, v[14:15]
	v_lshrrev_b32_e32 v19, 3, v6
	v_sub_u32_e32 v21, 29, v23
	v_and_b32_e32 v20, 7, v20
	v_cmp_gt_u32_e32 vcc, 8, v6
	v_cndmask_b32_e32 v6, v19, v21, vcc
	v_cndmask_b32_e32 v17, v17, v20, vcc
	v_lshlrev_b32_e32 v14, 24, v14
	v_bfrev_b32_e32 v19, 60
	v_lshlrev_b32_e32 v17, 20, v17
	v_and_b32_e32 v14, 0x80000000, v14
	v_lshl_add_u32 v6, v6, 23, v19
	v_or3_b32 v6, v14, v6, v17
	v_lshrrev_b32_e32 v17, 16, v6
.LBB883_613:
	s_or_b64 exec, exec, s[10:11]
.LBB883_614:
	s_or_b64 exec, exec, s[8:9]
.LBB883_615:
	s_or_b64 exec, exec, s[2:3]
	v_mov_b32_e32 v14, 0
	v_cmp_ne_u16_sdwa s[8:9], v7, v14 src0_sel:BYTE_0 src1_sel:DWORD
	v_mov_b32_e32 v19, 0
	s_and_saveexec_b64 s[2:3], s[8:9]
	s_cbranch_execz .LBB883_621
; %bb.616:
	s_movk_i32 s7, 0x80
	v_cmp_ne_u16_sdwa s[10:11], v7, s7 src0_sel:BYTE_0 src1_sel:DWORD
	v_mov_b32_e32 v19, 0xffff8000
	s_and_saveexec_b64 s[8:9], s[10:11]
	s_cbranch_execz .LBB883_620
; %bb.617:
	s_movk_i32 s7, 0x7f
	v_and_b32_e32 v6, 0x7f, v7
	v_cmp_ne_u32_e32 vcc, s7, v6
	v_mov_b32_e32 v19, 0x7f80
	s_and_saveexec_b64 s[10:11], vcc
	s_cbranch_execz .LBB883_619
; %bb.618:
	v_and_b32_e32 v19, 7, v7
	v_ffbh_u32_e32 v21, v19
	v_min_u32_e32 v24, 32, v21
	v_mov_b32_e32 v20, v7
	v_subrev_u32_e32 v21, 28, v24
	v_lshlrev_b64 v[20:21], v21, v[20:21]
	v_lshrrev_b32_e32 v23, 3, v6
	v_sub_u32_e32 v21, 29, v24
	v_and_b32_e32 v20, 7, v20
	v_cmp_gt_u32_e32 vcc, 8, v6
	v_cndmask_b32_e32 v6, v23, v21, vcc
	v_cndmask_b32_e32 v19, v19, v20, vcc
	v_lshlrev_b32_e32 v20, 24, v7
	v_bfrev_b32_e32 v21, 60
	v_lshlrev_b32_e32 v19, 20, v19
	v_and_b32_e32 v20, 0x80000000, v20
	v_lshl_add_u32 v6, v6, 23, v21
	v_or3_b32 v6, v20, v6, v19
	v_lshrrev_b32_e32 v19, 16, v6
.LBB883_619:
	s_or_b64 exec, exec, s[10:11]
.LBB883_620:
	s_or_b64 exec, exec, s[8:9]
.LBB883_621:
	s_or_b64 exec, exec, s[2:3]
	v_lshrrev_b16_e32 v6, 8, v7
	v_cmp_ne_u16_e32 vcc, 0, v6
	s_and_saveexec_b64 s[2:3], vcc
	s_cbranch_execz .LBB883_627
; %bb.622:
	s_movk_i32 s7, 0x80
	v_cmp_ne_u16_e32 vcc, s7, v6
	v_mov_b32_e32 v14, 0xffff8000
	s_and_saveexec_b64 s[8:9], vcc
	s_cbranch_execz .LBB883_626
; %bb.623:
	s_movk_i32 s7, 0x7f
	v_and_b32_e32 v20, 0x7f, v6
	v_cmp_ne_u32_e32 vcc, s7, v20
	v_mov_b32_e32 v14, 0x7f80
	s_and_saveexec_b64 s[10:11], vcc
	s_cbranch_execz .LBB883_625
; %bb.624:
	v_and_b32_e32 v14, 7, v6
	v_ffbh_u32_e32 v23, v14
	v_min_u32_e32 v23, 32, v23
	v_subrev_u32_e32 v24, 28, v23
	v_lshlrev_b64 v[24:25], v24, v[6:7]
	v_lshrrev_b32_e32 v21, 3, v20
	v_sub_u32_e32 v6, 29, v23
	v_and_b32_e32 v23, 7, v24
	v_cmp_gt_u32_e32 vcc, 8, v20
	v_cndmask_b32_e32 v6, v21, v6, vcc
	v_cndmask_b32_e32 v14, v14, v23, vcc
	v_lshlrev_b32_e32 v20, 16, v7
	v_bfrev_b32_e32 v21, 60
	v_lshlrev_b32_e32 v14, 20, v14
	v_and_b32_e32 v20, 0x80000000, v20
	v_lshl_add_u32 v6, v6, 23, v21
	v_or3_b32 v6, v20, v6, v14
	v_lshrrev_b32_e32 v14, 16, v6
.LBB883_625:
	s_or_b64 exec, exec, s[10:11]
.LBB883_626:
	s_or_b64 exec, exec, s[8:9]
.LBB883_627:
	s_or_b64 exec, exec, s[2:3]
	s_movk_i32 s2, 0xff
	v_and_b32_sdwa v23, v7, s2 dst_sel:DWORD dst_unused:UNUSED_PAD src0_sel:WORD_1 src1_sel:DWORD
	v_lshrrev_b32_e32 v6, 16, v7
	v_cmp_ne_u16_e32 vcc, 0, v23
	v_mov_b32_e32 v20, 0
	v_mov_b32_e32 v21, 0
	s_and_saveexec_b64 s[2:3], vcc
	s_cbranch_execz .LBB883_633
; %bb.628:
	s_movk_i32 s7, 0x80
	v_cmp_ne_u16_e32 vcc, s7, v23
	v_mov_b32_e32 v21, 0xffff8000
	s_and_saveexec_b64 s[8:9], vcc
	s_cbranch_execz .LBB883_632
; %bb.629:
	v_bfe_u32 v23, v7, 16, 7
	s_movk_i32 s7, 0x7f
	v_cmp_ne_u32_e32 vcc, s7, v23
	v_mov_b32_e32 v21, 0x7f80
	s_and_saveexec_b64 s[10:11], vcc
	s_cbranch_execz .LBB883_631
; %bb.630:
	v_and_b32_e32 v21, 7, v6
	v_ffbh_u32_e32 v24, v21
	v_min_u32_e32 v27, 32, v24
	v_subrev_u32_e32 v24, 28, v27
	v_lshlrev_b64 v[24:25], v24, v[6:7]
	v_lshrrev_b32_e32 v26, 3, v23
	v_sub_u32_e32 v6, 29, v27
	v_and_b32_e32 v24, 7, v24
	v_cmp_gt_u32_e32 vcc, 8, v23
	v_mov_b32_e32 v23, 24
	v_cndmask_b32_e32 v6, v26, v6, vcc
	v_cndmask_b32_e32 v21, v21, v24, vcc
	v_lshlrev_b32_sdwa v23, v23, v7 dst_sel:DWORD dst_unused:UNUSED_PAD src0_sel:DWORD src1_sel:WORD_1
	v_bfrev_b32_e32 v24, 60
	v_lshlrev_b32_e32 v21, 20, v21
	v_and_b32_e32 v23, 0x80000000, v23
	v_lshl_add_u32 v6, v6, 23, v24
	v_or3_b32 v6, v23, v6, v21
	v_lshrrev_b32_e32 v21, 16, v6
.LBB883_631:
	s_or_b64 exec, exec, s[10:11]
.LBB883_632:
	s_or_b64 exec, exec, s[8:9]
.LBB883_633:
	s_or_b64 exec, exec, s[2:3]
	s_mov_b32 s2, 0xffffff
	v_cmp_lt_u32_e32 vcc, s2, v7
	s_and_saveexec_b64 s[2:3], vcc
	s_cbranch_execz .LBB883_639
; %bb.634:
	v_lshrrev_b32_e32 v6, 24, v7
	s_movk_i32 s7, 0x80
	v_cmp_ne_u32_e32 vcc, s7, v6
	v_mov_b32_e32 v20, 0xffff8000
	s_and_saveexec_b64 s[8:9], vcc
	s_cbranch_execz .LBB883_638
; %bb.635:
	v_bfe_u32 v7, v7, 24, 7
	s_movk_i32 s7, 0x7f
	v_cmp_ne_u32_e32 vcc, s7, v7
	v_mov_b32_e32 v20, 0x7f80
	s_and_saveexec_b64 s[10:11], vcc
	s_cbranch_execz .LBB883_637
; %bb.636:
	v_and_b32_e32 v20, 7, v6
	v_ffbh_u32_e32 v24, v20
	v_min_u32_e32 v26, 32, v24
	v_subrev_u32_e32 v24, 28, v26
	v_lshlrev_b64 v[24:25], v24, v[6:7]
	v_lshrrev_b32_e32 v23, 3, v7
	v_sub_u32_e32 v25, 29, v26
	v_and_b32_e32 v24, 7, v24
	v_cmp_gt_u32_e32 vcc, 8, v7
	v_cndmask_b32_e32 v7, v23, v25, vcc
	v_cndmask_b32_e32 v20, v20, v24, vcc
	v_lshlrev_b32_e32 v6, 24, v6
	v_bfrev_b32_e32 v23, 60
	v_lshlrev_b32_e32 v20, 20, v20
	v_and_b32_e32 v6, 0x80000000, v6
	v_lshl_add_u32 v7, v7, 23, v23
	v_or3_b32 v6, v6, v7, v20
	v_lshrrev_b32_e32 v20, 16, v6
.LBB883_637:
	s_or_b64 exec, exec, s[10:11]
.LBB883_638:
	s_or_b64 exec, exec, s[8:9]
.LBB883_639:
	s_or_b64 exec, exec, s[2:3]
	s_mov_b32 s2, 0x5040100
	v_perm_b32 v7, v17, v18, s2
	v_perm_b32 v6, v15, v16, s2
	ds_read_b128 v[24:27], v22 offset:4096
	v_perm_b32 v17, v20, v21, s2
	v_perm_b32 v16, v14, v19, s2
	s_waitcnt lgkmcnt(0)
	v_mfma_f32_16x16x16bf16_1k v[10:13], v[6:7], v[24:25], v[10:13]
	v_mov_b32_e32 v7, 0
	v_cmp_ne_u16_sdwa s[8:9], v8, v7 src0_sel:BYTE_0 src1_sel:DWORD
	v_mov_b32_e32 v14, 0
	v_mfma_f32_16x16x16bf16_1k v[10:13], v[16:17], v[26:27], v[10:13]
	s_and_saveexec_b64 s[2:3], s[8:9]
	s_cbranch_execz .LBB883_645
; %bb.640:
	s_movk_i32 s7, 0x80
	v_cmp_ne_u16_sdwa s[10:11], v8, s7 src0_sel:BYTE_0 src1_sel:DWORD
	v_mov_b32_e32 v14, 0xffff8000
	s_and_saveexec_b64 s[8:9], s[10:11]
	s_cbranch_execz .LBB883_644
; %bb.641:
	s_movk_i32 s7, 0x7f
	v_and_b32_e32 v6, 0x7f, v8
	v_cmp_ne_u32_e32 vcc, s7, v6
	v_mov_b32_e32 v14, 0x7f80
	s_and_saveexec_b64 s[10:11], vcc
	s_cbranch_execz .LBB883_643
; %bb.642:
	v_and_b32_e32 v16, 7, v8
	v_ffbh_u32_e32 v14, v16
	v_min_u32_e32 v18, 32, v14
	v_subrev_u32_e32 v14, 28, v18
	v_lshlrev_b64 v[14:15], v14, v[8:9]
	v_lshrrev_b32_e32 v17, 3, v6
	v_sub_u32_e32 v15, 29, v18
	v_and_b32_e32 v14, 7, v14
	v_cmp_gt_u32_e32 vcc, 8, v6
	v_cndmask_b32_e32 v6, v17, v15, vcc
	v_cndmask_b32_e32 v14, v16, v14, vcc
	v_lshlrev_b32_e32 v15, 24, v8
	v_bfrev_b32_e32 v16, 60
	v_lshlrev_b32_e32 v14, 20, v14
	v_and_b32_e32 v15, 0x80000000, v15
	v_lshl_add_u32 v6, v6, 23, v16
	v_or3_b32 v6, v15, v6, v14
	v_lshrrev_b32_e32 v14, 16, v6
.LBB883_643:
	s_or_b64 exec, exec, s[10:11]
.LBB883_644:
	s_or_b64 exec, exec, s[8:9]
.LBB883_645:
	s_or_b64 exec, exec, s[2:3]
	v_lshrrev_b16_e32 v6, 8, v8
	v_cmp_ne_u16_e32 vcc, 0, v6
	s_and_saveexec_b64 s[2:3], vcc
	s_cbranch_execz .LBB883_651
; %bb.646:
	s_movk_i32 s7, 0x80
	v_cmp_ne_u16_e32 vcc, s7, v6
	v_mov_b32_e32 v7, 0xffff8000
	s_and_saveexec_b64 s[8:9], vcc
	s_cbranch_execz .LBB883_650
; %bb.647:
	s_movk_i32 s7, 0x7f
	v_and_b32_e32 v15, 0x7f, v6
	v_cmp_ne_u32_e32 vcc, s7, v15
	v_mov_b32_e32 v7, 0x7f80
	s_and_saveexec_b64 s[10:11], vcc
	s_cbranch_execz .LBB883_649
; %bb.648:
	v_and_b32_e32 v16, 7, v6
	v_ffbh_u32_e32 v7, v16
	v_min_u32_e32 v18, 32, v7
	v_subrev_u32_e32 v7, 28, v18
	v_lshlrev_b64 v[6:7], v7, v[6:7]
	v_lshrrev_b32_e32 v17, 3, v15
	v_sub_u32_e32 v7, 29, v18
	v_and_b32_e32 v6, 7, v6
	v_cmp_gt_u32_e32 vcc, 8, v15
	v_cndmask_b32_e32 v7, v17, v7, vcc
	v_cndmask_b32_e32 v6, v16, v6, vcc
	v_lshlrev_b32_e32 v15, 16, v8
	v_bfrev_b32_e32 v16, 60
	v_lshlrev_b32_e32 v6, 20, v6
	v_and_b32_e32 v15, 0x80000000, v15
	v_lshl_add_u32 v7, v7, 23, v16
	v_or3_b32 v6, v15, v7, v6
	v_lshrrev_b32_e32 v7, 16, v6
.LBB883_649:
	s_or_b64 exec, exec, s[10:11]
.LBB883_650:
	s_or_b64 exec, exec, s[8:9]
.LBB883_651:
	s_or_b64 exec, exec, s[2:3]
	s_movk_i32 s2, 0xff
	v_and_b32_sdwa v17, v8, s2 dst_sel:DWORD dst_unused:UNUSED_PAD src0_sel:WORD_1 src1_sel:DWORD
	v_lshrrev_b32_e32 v6, 16, v8
	v_cmp_ne_u16_e32 vcc, 0, v17
	v_mov_b32_e32 v15, 0
	v_mov_b32_e32 v16, 0
	s_and_saveexec_b64 s[2:3], vcc
	s_cbranch_execz .LBB883_657
; %bb.652:
	s_movk_i32 s7, 0x80
	v_cmp_ne_u16_e32 vcc, s7, v17
	v_mov_b32_e32 v16, 0xffff8000
	s_and_saveexec_b64 s[8:9], vcc
	s_cbranch_execz .LBB883_656
; %bb.653:
	v_bfe_u32 v17, v8, 16, 7
	s_movk_i32 s7, 0x7f
	v_cmp_ne_u32_e32 vcc, s7, v17
	v_mov_b32_e32 v16, 0x7f80
	s_and_saveexec_b64 s[10:11], vcc
	s_cbranch_execz .LBB883_655
; %bb.654:
	v_and_b32_e32 v16, 7, v6
	v_ffbh_u32_e32 v18, v16
	v_min_u32_e32 v21, 32, v18
	v_subrev_u32_e32 v18, 28, v21
	v_lshlrev_b64 v[18:19], v18, v[6:7]
	v_lshrrev_b32_e32 v20, 3, v17
	v_sub_u32_e32 v6, 29, v21
	v_and_b32_e32 v18, 7, v18
	v_cmp_gt_u32_e32 vcc, 8, v17
	v_mov_b32_e32 v17, 24
	v_cndmask_b32_e32 v6, v20, v6, vcc
	v_cndmask_b32_e32 v16, v16, v18, vcc
	v_lshlrev_b32_sdwa v17, v17, v8 dst_sel:DWORD dst_unused:UNUSED_PAD src0_sel:DWORD src1_sel:WORD_1
	v_bfrev_b32_e32 v18, 60
	v_lshlrev_b32_e32 v16, 20, v16
	v_and_b32_e32 v17, 0x80000000, v17
	v_lshl_add_u32 v6, v6, 23, v18
	v_or3_b32 v6, v17, v6, v16
	v_lshrrev_b32_e32 v16, 16, v6
.LBB883_655:
	s_or_b64 exec, exec, s[10:11]
.LBB883_656:
	s_or_b64 exec, exec, s[8:9]
.LBB883_657:
	s_or_b64 exec, exec, s[2:3]
	s_mov_b32 s2, 0xffffff
	v_cmp_lt_u32_e32 vcc, s2, v8
	s_and_saveexec_b64 s[2:3], vcc
	s_cbranch_execz .LBB883_663
; %bb.658:
	v_lshrrev_b32_e32 v6, 24, v8
	s_movk_i32 s7, 0x80
	v_cmp_ne_u32_e32 vcc, s7, v6
	v_mov_b32_e32 v15, 0xffff8000
	s_and_saveexec_b64 s[8:9], vcc
	s_cbranch_execz .LBB883_662
; %bb.659:
	v_bfe_u32 v8, v8, 24, 7
	s_movk_i32 s7, 0x7f
	v_cmp_ne_u32_e32 vcc, s7, v8
	v_mov_b32_e32 v15, 0x7f80
	s_and_saveexec_b64 s[10:11], vcc
	s_cbranch_execz .LBB883_661
; %bb.660:
	v_and_b32_e32 v15, 7, v6
	v_ffbh_u32_e32 v18, v15
	v_min_u32_e32 v20, 32, v18
	v_subrev_u32_e32 v18, 28, v20
	v_lshlrev_b64 v[18:19], v18, v[6:7]
	v_lshrrev_b32_e32 v17, 3, v8
	v_sub_u32_e32 v19, 29, v20
	v_and_b32_e32 v18, 7, v18
	v_cmp_gt_u32_e32 vcc, 8, v8
	v_cndmask_b32_e32 v8, v17, v19, vcc
	v_cndmask_b32_e32 v15, v15, v18, vcc
	v_lshlrev_b32_e32 v6, 24, v6
	v_bfrev_b32_e32 v17, 60
	v_lshlrev_b32_e32 v15, 20, v15
	v_and_b32_e32 v6, 0x80000000, v6
	v_lshl_add_u32 v8, v8, 23, v17
	v_or3_b32 v6, v6, v8, v15
	v_lshrrev_b32_e32 v15, 16, v6
.LBB883_661:
	s_or_b64 exec, exec, s[10:11]
.LBB883_662:
	s_or_b64 exec, exec, s[8:9]
.LBB883_663:
	s_or_b64 exec, exec, s[2:3]
	v_mov_b32_e32 v8, 0
	v_cmp_ne_u16_sdwa s[8:9], v9, v8 src0_sel:BYTE_0 src1_sel:DWORD
	v_mov_b32_e32 v17, 0
	s_and_saveexec_b64 s[2:3], s[8:9]
	s_cbranch_execz .LBB883_669
; %bb.664:
	s_movk_i32 s7, 0x80
	v_cmp_ne_u16_sdwa s[10:11], v9, s7 src0_sel:BYTE_0 src1_sel:DWORD
	v_mov_b32_e32 v17, 0xffff8000
	s_and_saveexec_b64 s[8:9], s[10:11]
	s_cbranch_execz .LBB883_668
; %bb.665:
	s_movk_i32 s7, 0x7f
	v_and_b32_e32 v6, 0x7f, v9
	v_cmp_ne_u32_e32 vcc, s7, v6
	v_mov_b32_e32 v17, 0x7f80
	s_and_saveexec_b64 s[10:11], vcc
	s_cbranch_execz .LBB883_667
; %bb.666:
	v_and_b32_e32 v17, 7, v9
	v_ffbh_u32_e32 v19, v17
	v_min_u32_e32 v21, 32, v19
	v_mov_b32_e32 v18, v9
	v_subrev_u32_e32 v19, 28, v21
	v_lshlrev_b64 v[18:19], v19, v[18:19]
	v_lshrrev_b32_e32 v20, 3, v6
	v_sub_u32_e32 v19, 29, v21
	v_and_b32_e32 v18, 7, v18
	v_cmp_gt_u32_e32 vcc, 8, v6
	v_cndmask_b32_e32 v6, v20, v19, vcc
	v_cndmask_b32_e32 v17, v17, v18, vcc
	v_lshlrev_b32_e32 v18, 24, v9
	v_bfrev_b32_e32 v19, 60
	v_lshlrev_b32_e32 v17, 20, v17
	v_and_b32_e32 v18, 0x80000000, v18
	v_lshl_add_u32 v6, v6, 23, v19
	v_or3_b32 v6, v18, v6, v17
	v_lshrrev_b32_e32 v17, 16, v6
.LBB883_667:
	s_or_b64 exec, exec, s[10:11]
.LBB883_668:
	s_or_b64 exec, exec, s[8:9]
.LBB883_669:
	s_or_b64 exec, exec, s[2:3]
	v_lshrrev_b16_e32 v6, 8, v9
	v_cmp_ne_u16_e32 vcc, 0, v6
	s_and_saveexec_b64 s[2:3], vcc
	s_cbranch_execz .LBB883_675
; %bb.670:
	s_movk_i32 s7, 0x80
	v_cmp_ne_u16_e32 vcc, s7, v6
	v_mov_b32_e32 v8, 0xffff8000
	s_and_saveexec_b64 s[8:9], vcc
	s_cbranch_execz .LBB883_674
; %bb.671:
	s_movk_i32 s7, 0x7f
	v_and_b32_e32 v18, 0x7f, v6
	v_cmp_ne_u32_e32 vcc, s7, v18
	v_mov_b32_e32 v8, 0x7f80
	s_and_saveexec_b64 s[10:11], vcc
	s_cbranch_execz .LBB883_673
; %bb.672:
	v_and_b32_e32 v8, 7, v6
	v_ffbh_u32_e32 v20, v8
	v_min_u32_e32 v23, 32, v20
	v_subrev_u32_e32 v20, 28, v23
	v_lshlrev_b64 v[20:21], v20, v[6:7]
	v_lshrrev_b32_e32 v19, 3, v18
	v_sub_u32_e32 v6, 29, v23
	v_and_b32_e32 v20, 7, v20
	v_cmp_gt_u32_e32 vcc, 8, v18
	v_cndmask_b32_e32 v6, v19, v6, vcc
	v_cndmask_b32_e32 v8, v8, v20, vcc
	v_lshlrev_b32_e32 v18, 16, v9
	v_bfrev_b32_e32 v19, 60
	v_lshlrev_b32_e32 v8, 20, v8
	v_and_b32_e32 v18, 0x80000000, v18
	v_lshl_add_u32 v6, v6, 23, v19
	v_or3_b32 v6, v18, v6, v8
	v_lshrrev_b32_e32 v8, 16, v6
.LBB883_673:
	s_or_b64 exec, exec, s[10:11]
.LBB883_674:
	s_or_b64 exec, exec, s[8:9]
.LBB883_675:
	s_or_b64 exec, exec, s[2:3]
	s_movk_i32 s2, 0xff
	v_and_b32_sdwa v20, v9, s2 dst_sel:DWORD dst_unused:UNUSED_PAD src0_sel:WORD_1 src1_sel:DWORD
	v_lshrrev_b32_e32 v6, 16, v9
	v_cmp_ne_u16_e32 vcc, 0, v20
	v_mov_b32_e32 v18, 0
	v_mov_b32_e32 v19, 0
	s_and_saveexec_b64 s[2:3], vcc
	s_cbranch_execz .LBB883_681
; %bb.676:
	s_movk_i32 s7, 0x80
	v_cmp_ne_u16_e32 vcc, s7, v20
	v_mov_b32_e32 v19, 0xffff8000
	s_and_saveexec_b64 s[8:9], vcc
	s_cbranch_execz .LBB883_680
; %bb.677:
	v_bfe_u32 v20, v9, 16, 7
	s_movk_i32 s7, 0x7f
	v_cmp_ne_u32_e32 vcc, s7, v20
	v_mov_b32_e32 v19, 0x7f80
	s_and_saveexec_b64 s[10:11], vcc
	s_cbranch_execz .LBB883_679
; %bb.678:
	v_and_b32_e32 v19, 7, v6
	v_ffbh_u32_e32 v23, v19
	v_min_u32_e32 v23, 32, v23
	v_subrev_u32_e32 v24, 28, v23
	v_lshlrev_b64 v[24:25], v24, v[6:7]
	v_lshrrev_b32_e32 v21, 3, v20
	v_sub_u32_e32 v6, 29, v23
	v_and_b32_e32 v23, 7, v24
	v_cmp_gt_u32_e32 vcc, 8, v20
	v_mov_b32_e32 v20, 24
	v_cndmask_b32_e32 v6, v21, v6, vcc
	v_cndmask_b32_e32 v19, v19, v23, vcc
	v_lshlrev_b32_sdwa v20, v20, v9 dst_sel:DWORD dst_unused:UNUSED_PAD src0_sel:DWORD src1_sel:WORD_1
	v_bfrev_b32_e32 v21, 60
	v_lshlrev_b32_e32 v19, 20, v19
	v_and_b32_e32 v20, 0x80000000, v20
	v_lshl_add_u32 v6, v6, 23, v21
	v_or3_b32 v6, v20, v6, v19
	v_lshrrev_b32_e32 v19, 16, v6
.LBB883_679:
	s_or_b64 exec, exec, s[10:11]
.LBB883_680:
	s_or_b64 exec, exec, s[8:9]
.LBB883_681:
	s_or_b64 exec, exec, s[2:3]
	s_mov_b32 s2, 0xffffff
	v_cmp_lt_u32_e32 vcc, s2, v9
	s_and_saveexec_b64 s[2:3], vcc
	s_cbranch_execz .LBB883_687
; %bb.682:
	v_lshrrev_b32_e32 v6, 24, v9
	s_movk_i32 s7, 0x80
	v_cmp_ne_u32_e32 vcc, s7, v6
	v_mov_b32_e32 v18, 0xffff8000
	s_and_saveexec_b64 s[8:9], vcc
	s_cbranch_execz .LBB883_686
; %bb.683:
	v_bfe_u32 v9, v9, 24, 7
	s_movk_i32 s7, 0x7f
	v_cmp_ne_u32_e32 vcc, s7, v9
	v_mov_b32_e32 v18, 0x7f80
	s_and_saveexec_b64 s[10:11], vcc
	s_cbranch_execz .LBB883_685
; %bb.684:
	v_and_b32_e32 v18, 7, v6
	v_ffbh_u32_e32 v20, v18
	v_min_u32_e32 v24, 32, v20
	v_subrev_u32_e32 v20, 28, v24
	v_lshlrev_b64 v[20:21], v20, v[6:7]
	v_lshrrev_b32_e32 v23, 3, v9
	v_sub_u32_e32 v21, 29, v24
	v_and_b32_e32 v20, 7, v20
	v_cmp_gt_u32_e32 vcc, 8, v9
	v_cndmask_b32_e32 v9, v23, v21, vcc
	v_cndmask_b32_e32 v18, v18, v20, vcc
	v_lshlrev_b32_e32 v6, 24, v6
	v_bfrev_b32_e32 v20, 60
	v_lshlrev_b32_e32 v18, 20, v18
	v_and_b32_e32 v6, 0x80000000, v6
	v_lshl_add_u32 v9, v9, 23, v20
	v_or3_b32 v6, v6, v9, v18
	v_lshrrev_b32_e32 v18, 16, v6
.LBB883_685:
	s_or_b64 exec, exec, s[10:11]
.LBB883_686:
	s_or_b64 exec, exec, s[8:9]
.LBB883_687:
	s_or_b64 exec, exec, s[2:3]
	s_mov_b32 s2, 0x5040100
	v_perm_b32 v15, v15, v16, s2
	v_perm_b32 v14, v7, v14, s2
	ds_read_b128 v[24:27], v22 offset:4112
	v_perm_b32 v7, v18, v19, s2
	v_perm_b32 v6, v8, v17, s2
	s_waitcnt lgkmcnt(0)
	v_mfma_f32_16x16x16bf16_1k v[30:33], v[14:15], v[24:25], v[10:13]
	s_nop 6
	v_mov_b32_e32 v11, 0
	s_waitcnt vmcnt(0)
	v_cmp_ne_u16_sdwa s[8:9], v2, v11 src0_sel:BYTE_0 src1_sel:DWORD
	v_mfma_f32_16x16x16bf16_1k v[6:9], v[6:7], v[26:27], v[30:33]
	v_mov_b32_e32 v12, 0
	s_and_saveexec_b64 s[2:3], s[8:9]
	s_cbranch_execz .LBB883_693
; %bb.688:
	s_movk_i32 s7, 0x80
	v_cmp_ne_u16_sdwa s[10:11], v2, s7 src0_sel:BYTE_0 src1_sel:DWORD
	v_mov_b32_e32 v12, 0xffff8000
	s_and_saveexec_b64 s[8:9], s[10:11]
	s_cbranch_execz .LBB883_692
; %bb.689:
	s_movk_i32 s7, 0x7f
	v_and_b32_e32 v10, 0x7f, v2
	v_cmp_ne_u32_e32 vcc, s7, v10
	v_mov_b32_e32 v12, 0x7f80
	s_and_saveexec_b64 s[10:11], vcc
	s_cbranch_execz .LBB883_691
; %bb.690:
	v_and_b32_e32 v14, 7, v2
	v_ffbh_u32_e32 v12, v14
	v_min_u32_e32 v16, 32, v12
	v_subrev_u32_e32 v12, 28, v16
	v_lshlrev_b64 v[12:13], v12, v[2:3]
	v_lshrrev_b32_e32 v15, 3, v10
	v_sub_u32_e32 v13, 29, v16
	v_and_b32_e32 v12, 7, v12
	v_cmp_gt_u32_e32 vcc, 8, v10
	v_cndmask_b32_e32 v10, v15, v13, vcc
	v_cndmask_b32_e32 v12, v14, v12, vcc
	v_lshlrev_b32_e32 v13, 24, v2
	v_bfrev_b32_e32 v14, 60
	v_lshlrev_b32_e32 v12, 20, v12
	v_and_b32_e32 v13, 0x80000000, v13
	v_lshl_add_u32 v10, v10, 23, v14
	v_or3_b32 v10, v13, v10, v12
	v_lshrrev_b32_e32 v12, 16, v10
.LBB883_691:
	s_or_b64 exec, exec, s[10:11]
.LBB883_692:
	s_or_b64 exec, exec, s[8:9]
.LBB883_693:
	s_or_b64 exec, exec, s[2:3]
	v_lshrrev_b16_e32 v10, 8, v2
	v_cmp_ne_u16_e32 vcc, 0, v10
	s_and_saveexec_b64 s[2:3], vcc
	s_cbranch_execz .LBB883_699
; %bb.694:
	s_movk_i32 s7, 0x80
	v_cmp_ne_u16_e32 vcc, s7, v10
	v_mov_b32_e32 v11, 0xffff8000
	s_and_saveexec_b64 s[8:9], vcc
	s_cbranch_execz .LBB883_698
; %bb.695:
	s_movk_i32 s7, 0x7f
	v_and_b32_e32 v13, 0x7f, v10
	v_cmp_ne_u32_e32 vcc, s7, v13
	v_mov_b32_e32 v11, 0x7f80
	s_and_saveexec_b64 s[10:11], vcc
	s_cbranch_execz .LBB883_697
; %bb.696:
	v_and_b32_e32 v14, 7, v10
	v_ffbh_u32_e32 v11, v14
	v_min_u32_e32 v16, 32, v11
	v_subrev_u32_e32 v11, 28, v16
	v_lshlrev_b64 v[10:11], v11, v[10:11]
	v_lshrrev_b32_e32 v15, 3, v13
	v_sub_u32_e32 v11, 29, v16
	v_and_b32_e32 v10, 7, v10
	v_cmp_gt_u32_e32 vcc, 8, v13
	v_cndmask_b32_e32 v11, v15, v11, vcc
	v_cndmask_b32_e32 v10, v14, v10, vcc
	v_lshlrev_b32_e32 v13, 16, v2
	v_bfrev_b32_e32 v14, 60
	v_lshlrev_b32_e32 v10, 20, v10
	v_and_b32_e32 v13, 0x80000000, v13
	v_lshl_add_u32 v11, v11, 23, v14
	v_or3_b32 v10, v13, v11, v10
	v_lshrrev_b32_e32 v11, 16, v10
.LBB883_697:
	s_or_b64 exec, exec, s[10:11]
.LBB883_698:
	s_or_b64 exec, exec, s[8:9]
.LBB883_699:
	s_or_b64 exec, exec, s[2:3]
	s_movk_i32 s2, 0xff
	v_and_b32_sdwa v15, v2, s2 dst_sel:DWORD dst_unused:UNUSED_PAD src0_sel:WORD_1 src1_sel:DWORD
	v_lshrrev_b32_e32 v10, 16, v2
	v_cmp_ne_u16_e32 vcc, 0, v15
	v_mov_b32_e32 v13, 0
	v_mov_b32_e32 v14, 0
	s_and_saveexec_b64 s[2:3], vcc
	s_cbranch_execz .LBB883_705
; %bb.700:
	s_movk_i32 s7, 0x80
	v_cmp_ne_u16_e32 vcc, s7, v15
	v_mov_b32_e32 v14, 0xffff8000
	s_and_saveexec_b64 s[8:9], vcc
	s_cbranch_execz .LBB883_704
; %bb.701:
	v_bfe_u32 v15, v2, 16, 7
	s_movk_i32 s7, 0x7f
	v_cmp_ne_u32_e32 vcc, s7, v15
	v_mov_b32_e32 v14, 0x7f80
	s_and_saveexec_b64 s[10:11], vcc
	s_cbranch_execz .LBB883_703
; %bb.702:
	v_and_b32_e32 v14, 7, v10
	v_ffbh_u32_e32 v16, v14
	v_min_u32_e32 v19, 32, v16
	v_subrev_u32_e32 v16, 28, v19
	v_lshlrev_b64 v[16:17], v16, v[10:11]
	v_lshrrev_b32_e32 v18, 3, v15
	v_sub_u32_e32 v10, 29, v19
	v_and_b32_e32 v16, 7, v16
	v_cmp_gt_u32_e32 vcc, 8, v15
	v_mov_b32_e32 v15, 24
	v_cndmask_b32_e32 v10, v18, v10, vcc
	v_cndmask_b32_e32 v14, v14, v16, vcc
	v_lshlrev_b32_sdwa v15, v15, v2 dst_sel:DWORD dst_unused:UNUSED_PAD src0_sel:DWORD src1_sel:WORD_1
	v_bfrev_b32_e32 v16, 60
	v_lshlrev_b32_e32 v14, 20, v14
	v_and_b32_e32 v15, 0x80000000, v15
	v_lshl_add_u32 v10, v10, 23, v16
	v_or3_b32 v10, v15, v10, v14
	v_lshrrev_b32_e32 v14, 16, v10
.LBB883_703:
	s_or_b64 exec, exec, s[10:11]
.LBB883_704:
	s_or_b64 exec, exec, s[8:9]
.LBB883_705:
	s_or_b64 exec, exec, s[2:3]
	s_mov_b32 s2, 0xffffff
	v_cmp_lt_u32_e32 vcc, s2, v2
	s_and_saveexec_b64 s[2:3], vcc
	s_cbranch_execz .LBB883_711
; %bb.706:
	v_lshrrev_b32_e32 v10, 24, v2
	s_movk_i32 s7, 0x80
	v_cmp_ne_u32_e32 vcc, s7, v10
	v_mov_b32_e32 v13, 0xffff8000
	s_and_saveexec_b64 s[8:9], vcc
	s_cbranch_execz .LBB883_710
; %bb.707:
	v_bfe_u32 v2, v2, 24, 7
	s_movk_i32 s7, 0x7f
	v_cmp_ne_u32_e32 vcc, s7, v2
	v_mov_b32_e32 v13, 0x7f80
	s_and_saveexec_b64 s[10:11], vcc
	s_cbranch_execz .LBB883_709
; %bb.708:
	v_and_b32_e32 v13, 7, v10
	v_ffbh_u32_e32 v16, v13
	v_min_u32_e32 v18, 32, v16
	v_subrev_u32_e32 v16, 28, v18
	v_lshlrev_b64 v[16:17], v16, v[10:11]
	v_lshrrev_b32_e32 v15, 3, v2
	v_sub_u32_e32 v17, 29, v18
	v_and_b32_e32 v16, 7, v16
	v_cmp_gt_u32_e32 vcc, 8, v2
	v_cndmask_b32_e32 v2, v15, v17, vcc
	v_cndmask_b32_e32 v13, v13, v16, vcc
	v_lshlrev_b32_e32 v10, 24, v10
	v_bfrev_b32_e32 v15, 60
	v_lshlrev_b32_e32 v13, 20, v13
	v_and_b32_e32 v10, 0x80000000, v10
	v_lshl_add_u32 v2, v2, 23, v15
	v_or3_b32 v2, v10, v2, v13
	v_lshrrev_b32_e32 v13, 16, v2
.LBB883_709:
	s_or_b64 exec, exec, s[10:11]
.LBB883_710:
	s_or_b64 exec, exec, s[8:9]
.LBB883_711:
	s_or_b64 exec, exec, s[2:3]
	v_mov_b32_e32 v10, 0
	v_cmp_ne_u16_sdwa s[8:9], v3, v10 src0_sel:BYTE_0 src1_sel:DWORD
	v_mov_b32_e32 v15, 0
	s_and_saveexec_b64 s[2:3], s[8:9]
	s_cbranch_execz .LBB883_717
; %bb.712:
	s_movk_i32 s7, 0x80
	v_cmp_ne_u16_sdwa s[10:11], v3, s7 src0_sel:BYTE_0 src1_sel:DWORD
	v_mov_b32_e32 v15, 0xffff8000
	s_and_saveexec_b64 s[8:9], s[10:11]
	s_cbranch_execz .LBB883_716
; %bb.713:
	s_movk_i32 s7, 0x7f
	v_and_b32_e32 v2, 0x7f, v3
	v_cmp_ne_u32_e32 vcc, s7, v2
	v_mov_b32_e32 v15, 0x7f80
	s_and_saveexec_b64 s[10:11], vcc
	s_cbranch_execz .LBB883_715
; %bb.714:
	v_and_b32_e32 v15, 7, v3
	v_ffbh_u32_e32 v17, v15
	v_min_u32_e32 v19, 32, v17
	v_mov_b32_e32 v16, v3
	v_subrev_u32_e32 v17, 28, v19
	v_lshlrev_b64 v[16:17], v17, v[16:17]
	v_lshrrev_b32_e32 v18, 3, v2
	v_sub_u32_e32 v17, 29, v19
	v_and_b32_e32 v16, 7, v16
	v_cmp_gt_u32_e32 vcc, 8, v2
	v_cndmask_b32_e32 v2, v18, v17, vcc
	v_cndmask_b32_e32 v15, v15, v16, vcc
	v_lshlrev_b32_e32 v16, 24, v3
	v_bfrev_b32_e32 v17, 60
	v_lshlrev_b32_e32 v15, 20, v15
	v_and_b32_e32 v16, 0x80000000, v16
	v_lshl_add_u32 v2, v2, 23, v17
	v_or3_b32 v2, v16, v2, v15
	v_lshrrev_b32_e32 v15, 16, v2
.LBB883_715:
	s_or_b64 exec, exec, s[10:11]
.LBB883_716:
	s_or_b64 exec, exec, s[8:9]
.LBB883_717:
	s_or_b64 exec, exec, s[2:3]
	v_lshrrev_b16_e32 v2, 8, v3
	v_cmp_ne_u16_e32 vcc, 0, v2
	s_and_saveexec_b64 s[2:3], vcc
	s_cbranch_execz .LBB883_723
; %bb.718:
	s_movk_i32 s7, 0x80
	v_cmp_ne_u16_e32 vcc, s7, v2
	v_mov_b32_e32 v10, 0xffff8000
	s_and_saveexec_b64 s[8:9], vcc
	s_cbranch_execz .LBB883_722
; %bb.719:
	s_movk_i32 s7, 0x7f
	v_and_b32_e32 v16, 0x7f, v2
	v_cmp_ne_u32_e32 vcc, s7, v16
	v_mov_b32_e32 v10, 0x7f80
	s_and_saveexec_b64 s[10:11], vcc
	s_cbranch_execz .LBB883_721
; %bb.720:
	v_and_b32_e32 v10, 7, v2
	v_ffbh_u32_e32 v18, v10
	v_min_u32_e32 v20, 32, v18
	v_subrev_u32_e32 v18, 28, v20
	v_lshlrev_b64 v[18:19], v18, v[2:3]
	v_lshrrev_b32_e32 v17, 3, v16
	v_sub_u32_e32 v2, 29, v20
	v_and_b32_e32 v18, 7, v18
	v_cmp_gt_u32_e32 vcc, 8, v16
	v_cndmask_b32_e32 v2, v17, v2, vcc
	v_cndmask_b32_e32 v10, v10, v18, vcc
	v_lshlrev_b32_e32 v16, 16, v3
	v_bfrev_b32_e32 v17, 60
	v_lshlrev_b32_e32 v10, 20, v10
	v_and_b32_e32 v16, 0x80000000, v16
	v_lshl_add_u32 v2, v2, 23, v17
	v_or3_b32 v2, v16, v2, v10
	v_lshrrev_b32_e32 v10, 16, v2
.LBB883_721:
	s_or_b64 exec, exec, s[10:11]
.LBB883_722:
	s_or_b64 exec, exec, s[8:9]
.LBB883_723:
	s_or_b64 exec, exec, s[2:3]
	s_movk_i32 s2, 0xff
	v_and_b32_sdwa v18, v3, s2 dst_sel:DWORD dst_unused:UNUSED_PAD src0_sel:WORD_1 src1_sel:DWORD
	v_lshrrev_b32_e32 v2, 16, v3
	v_cmp_ne_u16_e32 vcc, 0, v18
	v_mov_b32_e32 v16, 0
	v_mov_b32_e32 v17, 0
	s_and_saveexec_b64 s[2:3], vcc
	s_cbranch_execz .LBB883_729
; %bb.724:
	s_movk_i32 s7, 0x80
	v_cmp_ne_u16_e32 vcc, s7, v18
	v_mov_b32_e32 v17, 0xffff8000
	s_and_saveexec_b64 s[8:9], vcc
	s_cbranch_execz .LBB883_728
; %bb.725:
	v_bfe_u32 v18, v3, 16, 7
	s_movk_i32 s7, 0x7f
	v_cmp_ne_u32_e32 vcc, s7, v18
	v_mov_b32_e32 v17, 0x7f80
	s_and_saveexec_b64 s[10:11], vcc
	s_cbranch_execz .LBB883_727
; %bb.726:
	v_and_b32_e32 v17, 7, v2
	v_ffbh_u32_e32 v20, v17
	v_min_u32_e32 v23, 32, v20
	v_subrev_u32_e32 v20, 28, v23
	v_lshlrev_b64 v[20:21], v20, v[2:3]
	v_lshrrev_b32_e32 v19, 3, v18
	v_sub_u32_e32 v2, 29, v23
	v_and_b32_e32 v20, 7, v20
	v_cmp_gt_u32_e32 vcc, 8, v18
	v_mov_b32_e32 v18, 24
	v_cndmask_b32_e32 v2, v19, v2, vcc
	v_cndmask_b32_e32 v17, v17, v20, vcc
	v_lshlrev_b32_sdwa v18, v18, v3 dst_sel:DWORD dst_unused:UNUSED_PAD src0_sel:DWORD src1_sel:WORD_1
	v_bfrev_b32_e32 v19, 60
	v_lshlrev_b32_e32 v17, 20, v17
	v_and_b32_e32 v18, 0x80000000, v18
	v_lshl_add_u32 v2, v2, 23, v19
	v_or3_b32 v2, v18, v2, v17
	v_lshrrev_b32_e32 v17, 16, v2
.LBB883_727:
	s_or_b64 exec, exec, s[10:11]
.LBB883_728:
	s_or_b64 exec, exec, s[8:9]
.LBB883_729:
	s_or_b64 exec, exec, s[2:3]
	s_mov_b32 s2, 0xffffff
	v_cmp_lt_u32_e32 vcc, s2, v3
	s_and_saveexec_b64 s[2:3], vcc
	s_cbranch_execz .LBB883_735
; %bb.730:
	v_lshrrev_b32_e32 v2, 24, v3
	s_movk_i32 s7, 0x80
	v_cmp_ne_u32_e32 vcc, s7, v2
	v_mov_b32_e32 v16, 0xffff8000
	s_and_saveexec_b64 s[8:9], vcc
	s_cbranch_execz .LBB883_734
; %bb.731:
	v_bfe_u32 v3, v3, 24, 7
	s_movk_i32 s7, 0x7f
	v_cmp_ne_u32_e32 vcc, s7, v3
	v_mov_b32_e32 v16, 0x7f80
	s_and_saveexec_b64 s[10:11], vcc
	s_cbranch_execz .LBB883_733
; %bb.732:
	v_and_b32_e32 v16, 7, v2
	v_ffbh_u32_e32 v18, v16
	v_min_u32_e32 v21, 32, v18
	v_subrev_u32_e32 v18, 28, v21
	v_lshlrev_b64 v[18:19], v18, v[2:3]
	v_lshrrev_b32_e32 v20, 3, v3
	v_sub_u32_e32 v19, 29, v21
	v_and_b32_e32 v18, 7, v18
	v_cmp_gt_u32_e32 vcc, 8, v3
	v_cndmask_b32_e32 v3, v20, v19, vcc
	v_cndmask_b32_e32 v16, v16, v18, vcc
	v_lshlrev_b32_e32 v2, 24, v2
	v_bfrev_b32_e32 v18, 60
	v_lshlrev_b32_e32 v16, 20, v16
	v_and_b32_e32 v2, 0x80000000, v2
	v_lshl_add_u32 v3, v3, 23, v18
	v_or3_b32 v2, v2, v3, v16
	v_lshrrev_b32_e32 v16, 16, v2
.LBB883_733:
	s_or_b64 exec, exec, s[10:11]
.LBB883_734:
	s_or_b64 exec, exec, s[8:9]
.LBB883_735:
	s_or_b64 exec, exec, s[2:3]
	s_mov_b32 s2, 0x5040100
	v_perm_b32 v3, v13, v14, s2
	v_perm_b32 v2, v11, v12, s2
	ds_read_b128 v[18:21], v22 offset:6144
	v_perm_b32 v13, v16, v17, s2
	v_perm_b32 v12, v10, v15, s2
	s_waitcnt lgkmcnt(0)
	v_mfma_f32_16x16x16bf16_1k v[6:9], v[2:3], v[18:19], v[6:9]
	v_mov_b32_e32 v3, 0
	v_cmp_ne_u16_sdwa s[8:9], v4, v3 src0_sel:BYTE_0 src1_sel:DWORD
	v_mov_b32_e32 v10, 0
	v_mfma_f32_16x16x16bf16_1k v[6:9], v[12:13], v[20:21], v[6:9]
	s_and_saveexec_b64 s[2:3], s[8:9]
	s_cbranch_execz .LBB883_741
; %bb.736:
	s_movk_i32 s7, 0x80
	v_cmp_ne_u16_sdwa s[10:11], v4, s7 src0_sel:BYTE_0 src1_sel:DWORD
	v_mov_b32_e32 v10, 0xffff8000
	s_and_saveexec_b64 s[8:9], s[10:11]
	s_cbranch_execz .LBB883_740
; %bb.737:
	s_movk_i32 s7, 0x7f
	v_and_b32_e32 v2, 0x7f, v4
	v_cmp_ne_u32_e32 vcc, s7, v2
	v_mov_b32_e32 v10, 0x7f80
	s_and_saveexec_b64 s[10:11], vcc
	s_cbranch_execz .LBB883_739
; %bb.738:
	v_and_b32_e32 v12, 7, v4
	v_ffbh_u32_e32 v10, v12
	v_min_u32_e32 v14, 32, v10
	v_subrev_u32_e32 v10, 28, v14
	v_lshlrev_b64 v[10:11], v10, v[4:5]
	v_lshrrev_b32_e32 v13, 3, v2
	v_sub_u32_e32 v11, 29, v14
	v_and_b32_e32 v10, 7, v10
	v_cmp_gt_u32_e32 vcc, 8, v2
	v_cndmask_b32_e32 v2, v13, v11, vcc
	v_cndmask_b32_e32 v10, v12, v10, vcc
	v_lshlrev_b32_e32 v11, 24, v4
	v_bfrev_b32_e32 v12, 60
	v_lshlrev_b32_e32 v10, 20, v10
	v_and_b32_e32 v11, 0x80000000, v11
	v_lshl_add_u32 v2, v2, 23, v12
	v_or3_b32 v2, v11, v2, v10
	v_lshrrev_b32_e32 v10, 16, v2
.LBB883_739:
	s_or_b64 exec, exec, s[10:11]
.LBB883_740:
	s_or_b64 exec, exec, s[8:9]
.LBB883_741:
	s_or_b64 exec, exec, s[2:3]
	v_lshrrev_b16_e32 v2, 8, v4
	v_cmp_ne_u16_e32 vcc, 0, v2
	s_and_saveexec_b64 s[2:3], vcc
	s_cbranch_execz .LBB883_747
; %bb.742:
	s_movk_i32 s7, 0x80
	v_cmp_ne_u16_e32 vcc, s7, v2
	v_mov_b32_e32 v3, 0xffff8000
	s_and_saveexec_b64 s[8:9], vcc
	s_cbranch_execz .LBB883_746
; %bb.743:
	s_movk_i32 s7, 0x7f
	v_and_b32_e32 v11, 0x7f, v2
	v_cmp_ne_u32_e32 vcc, s7, v11
	v_mov_b32_e32 v3, 0x7f80
	s_and_saveexec_b64 s[10:11], vcc
	s_cbranch_execz .LBB883_745
; %bb.744:
	v_and_b32_e32 v12, 7, v2
	v_ffbh_u32_e32 v3, v12
	v_min_u32_e32 v14, 32, v3
	v_subrev_u32_e32 v3, 28, v14
	v_lshlrev_b64 v[2:3], v3, v[2:3]
	v_lshrrev_b32_e32 v13, 3, v11
	v_sub_u32_e32 v3, 29, v14
	v_and_b32_e32 v2, 7, v2
	v_cmp_gt_u32_e32 vcc, 8, v11
	v_cndmask_b32_e32 v3, v13, v3, vcc
	v_cndmask_b32_e32 v2, v12, v2, vcc
	v_lshlrev_b32_e32 v11, 16, v4
	v_bfrev_b32_e32 v12, 60
	v_lshlrev_b32_e32 v2, 20, v2
	v_and_b32_e32 v11, 0x80000000, v11
	v_lshl_add_u32 v3, v3, 23, v12
	v_or3_b32 v2, v11, v3, v2
	v_lshrrev_b32_e32 v3, 16, v2
.LBB883_745:
	s_or_b64 exec, exec, s[10:11]
.LBB883_746:
	s_or_b64 exec, exec, s[8:9]
.LBB883_747:
	s_or_b64 exec, exec, s[2:3]
	s_movk_i32 s2, 0xff
	v_and_b32_sdwa v13, v4, s2 dst_sel:DWORD dst_unused:UNUSED_PAD src0_sel:WORD_1 src1_sel:DWORD
	v_lshrrev_b32_e32 v2, 16, v4
	v_cmp_ne_u16_e32 vcc, 0, v13
	v_mov_b32_e32 v11, 0
	v_mov_b32_e32 v12, 0
	s_and_saveexec_b64 s[2:3], vcc
	s_cbranch_execz .LBB883_753
; %bb.748:
	s_movk_i32 s7, 0x80
	v_cmp_ne_u16_e32 vcc, s7, v13
	v_mov_b32_e32 v12, 0xffff8000
	s_and_saveexec_b64 s[8:9], vcc
	s_cbranch_execz .LBB883_752
; %bb.749:
	v_bfe_u32 v13, v4, 16, 7
	s_movk_i32 s7, 0x7f
	v_cmp_ne_u32_e32 vcc, s7, v13
	v_mov_b32_e32 v12, 0x7f80
	s_and_saveexec_b64 s[10:11], vcc
	s_cbranch_execz .LBB883_751
; %bb.750:
	v_and_b32_e32 v12, 7, v2
	v_ffbh_u32_e32 v14, v12
	v_min_u32_e32 v17, 32, v14
	v_subrev_u32_e32 v14, 28, v17
	v_lshlrev_b64 v[14:15], v14, v[2:3]
	v_lshrrev_b32_e32 v16, 3, v13
	v_sub_u32_e32 v2, 29, v17
	v_and_b32_e32 v14, 7, v14
	v_cmp_gt_u32_e32 vcc, 8, v13
	v_mov_b32_e32 v13, 24
	v_cndmask_b32_e32 v2, v16, v2, vcc
	v_cndmask_b32_e32 v12, v12, v14, vcc
	v_lshlrev_b32_sdwa v13, v13, v4 dst_sel:DWORD dst_unused:UNUSED_PAD src0_sel:DWORD src1_sel:WORD_1
	v_bfrev_b32_e32 v14, 60
	v_lshlrev_b32_e32 v12, 20, v12
	v_and_b32_e32 v13, 0x80000000, v13
	v_lshl_add_u32 v2, v2, 23, v14
	v_or3_b32 v2, v13, v2, v12
	v_lshrrev_b32_e32 v12, 16, v2
.LBB883_751:
	s_or_b64 exec, exec, s[10:11]
.LBB883_752:
	s_or_b64 exec, exec, s[8:9]
.LBB883_753:
	s_or_b64 exec, exec, s[2:3]
	s_mov_b32 s2, 0xffffff
	v_cmp_lt_u32_e32 vcc, s2, v4
	s_and_saveexec_b64 s[2:3], vcc
	s_cbranch_execz .LBB883_759
; %bb.754:
	v_lshrrev_b32_e32 v2, 24, v4
	s_movk_i32 s7, 0x80
	v_cmp_ne_u32_e32 vcc, s7, v2
	v_mov_b32_e32 v11, 0xffff8000
	s_and_saveexec_b64 s[8:9], vcc
	s_cbranch_execz .LBB883_758
; %bb.755:
	v_bfe_u32 v4, v4, 24, 7
	s_movk_i32 s7, 0x7f
	v_cmp_ne_u32_e32 vcc, s7, v4
	v_mov_b32_e32 v11, 0x7f80
	s_and_saveexec_b64 s[10:11], vcc
	s_cbranch_execz .LBB883_757
; %bb.756:
	v_and_b32_e32 v11, 7, v2
	v_ffbh_u32_e32 v14, v11
	v_min_u32_e32 v16, 32, v14
	v_subrev_u32_e32 v14, 28, v16
	v_lshlrev_b64 v[14:15], v14, v[2:3]
	v_lshrrev_b32_e32 v13, 3, v4
	v_sub_u32_e32 v15, 29, v16
	v_and_b32_e32 v14, 7, v14
	v_cmp_gt_u32_e32 vcc, 8, v4
	v_cndmask_b32_e32 v4, v13, v15, vcc
	v_cndmask_b32_e32 v11, v11, v14, vcc
	v_lshlrev_b32_e32 v2, 24, v2
	v_bfrev_b32_e32 v13, 60
	v_lshlrev_b32_e32 v11, 20, v11
	v_and_b32_e32 v2, 0x80000000, v2
	v_lshl_add_u32 v4, v4, 23, v13
	v_or3_b32 v2, v2, v4, v11
	v_lshrrev_b32_e32 v11, 16, v2
.LBB883_757:
	s_or_b64 exec, exec, s[10:11]
.LBB883_758:
	s_or_b64 exec, exec, s[8:9]
.LBB883_759:
	s_or_b64 exec, exec, s[2:3]
	v_mov_b32_e32 v4, 0
	v_cmp_ne_u16_sdwa s[8:9], v5, v4 src0_sel:BYTE_0 src1_sel:DWORD
	v_mov_b32_e32 v13, 0
	s_and_saveexec_b64 s[2:3], s[8:9]
	s_cbranch_execz .LBB883_765
; %bb.760:
	s_movk_i32 s7, 0x80
	v_cmp_ne_u16_sdwa s[10:11], v5, s7 src0_sel:BYTE_0 src1_sel:DWORD
	v_mov_b32_e32 v13, 0xffff8000
	s_and_saveexec_b64 s[8:9], s[10:11]
	s_cbranch_execz .LBB883_764
; %bb.761:
	s_movk_i32 s7, 0x7f
	v_and_b32_e32 v2, 0x7f, v5
	v_cmp_ne_u32_e32 vcc, s7, v2
	v_mov_b32_e32 v13, 0x7f80
	s_and_saveexec_b64 s[10:11], vcc
	s_cbranch_execz .LBB883_763
; %bb.762:
	v_and_b32_e32 v13, 7, v5
	v_ffbh_u32_e32 v15, v13
	v_min_u32_e32 v17, 32, v15
	v_mov_b32_e32 v14, v5
	v_subrev_u32_e32 v15, 28, v17
	v_lshlrev_b64 v[14:15], v15, v[14:15]
	v_lshrrev_b32_e32 v16, 3, v2
	v_sub_u32_e32 v15, 29, v17
	v_and_b32_e32 v14, 7, v14
	v_cmp_gt_u32_e32 vcc, 8, v2
	v_cndmask_b32_e32 v2, v16, v15, vcc
	v_cndmask_b32_e32 v13, v13, v14, vcc
	v_lshlrev_b32_e32 v14, 24, v5
	v_bfrev_b32_e32 v15, 60
	v_lshlrev_b32_e32 v13, 20, v13
	v_and_b32_e32 v14, 0x80000000, v14
	v_lshl_add_u32 v2, v2, 23, v15
	v_or3_b32 v2, v14, v2, v13
	v_lshrrev_b32_e32 v13, 16, v2
.LBB883_763:
	s_or_b64 exec, exec, s[10:11]
.LBB883_764:
	s_or_b64 exec, exec, s[8:9]
.LBB883_765:
	s_or_b64 exec, exec, s[2:3]
	v_lshrrev_b16_e32 v2, 8, v5
	v_cmp_ne_u16_e32 vcc, 0, v2
	s_and_saveexec_b64 s[2:3], vcc
	s_cbranch_execz .LBB883_771
; %bb.766:
	s_movk_i32 s7, 0x80
	v_cmp_ne_u16_e32 vcc, s7, v2
	v_mov_b32_e32 v4, 0xffff8000
	s_and_saveexec_b64 s[8:9], vcc
	s_cbranch_execz .LBB883_770
; %bb.767:
	s_movk_i32 s7, 0x7f
	v_and_b32_e32 v14, 0x7f, v2
	v_cmp_ne_u32_e32 vcc, s7, v14
	v_mov_b32_e32 v4, 0x7f80
	s_and_saveexec_b64 s[10:11], vcc
	s_cbranch_execz .LBB883_769
; %bb.768:
	v_and_b32_e32 v4, 7, v2
	v_ffbh_u32_e32 v16, v4
	v_min_u32_e32 v18, 32, v16
	v_subrev_u32_e32 v16, 28, v18
	v_lshlrev_b64 v[16:17], v16, v[2:3]
	v_lshrrev_b32_e32 v15, 3, v14
	v_sub_u32_e32 v2, 29, v18
	v_and_b32_e32 v16, 7, v16
	v_cmp_gt_u32_e32 vcc, 8, v14
	v_cndmask_b32_e32 v2, v15, v2, vcc
	v_cndmask_b32_e32 v4, v4, v16, vcc
	v_lshlrev_b32_e32 v14, 16, v5
	v_bfrev_b32_e32 v15, 60
	v_lshlrev_b32_e32 v4, 20, v4
	v_and_b32_e32 v14, 0x80000000, v14
	v_lshl_add_u32 v2, v2, 23, v15
	v_or3_b32 v2, v14, v2, v4
	v_lshrrev_b32_e32 v4, 16, v2
.LBB883_769:
	s_or_b64 exec, exec, s[10:11]
.LBB883_770:
	s_or_b64 exec, exec, s[8:9]
.LBB883_771:
	s_or_b64 exec, exec, s[2:3]
	s_movk_i32 s2, 0xff
	v_and_b32_sdwa v16, v5, s2 dst_sel:DWORD dst_unused:UNUSED_PAD src0_sel:WORD_1 src1_sel:DWORD
	v_lshrrev_b32_e32 v2, 16, v5
	v_cmp_ne_u16_e32 vcc, 0, v16
	v_mov_b32_e32 v14, 0
	v_mov_b32_e32 v15, 0
	s_and_saveexec_b64 s[2:3], vcc
	s_cbranch_execz .LBB883_777
; %bb.772:
	s_movk_i32 s7, 0x80
	v_cmp_ne_u16_e32 vcc, s7, v16
	v_mov_b32_e32 v15, 0xffff8000
	s_and_saveexec_b64 s[8:9], vcc
	s_cbranch_execz .LBB883_776
; %bb.773:
	v_bfe_u32 v16, v5, 16, 7
	s_movk_i32 s7, 0x7f
	v_cmp_ne_u32_e32 vcc, s7, v16
	v_mov_b32_e32 v15, 0x7f80
	s_and_saveexec_b64 s[10:11], vcc
	s_cbranch_execz .LBB883_775
; %bb.774:
	v_and_b32_e32 v15, 7, v2
	v_ffbh_u32_e32 v18, v15
	v_min_u32_e32 v20, 32, v18
	v_subrev_u32_e32 v18, 28, v20
	v_lshlrev_b64 v[18:19], v18, v[2:3]
	v_lshrrev_b32_e32 v17, 3, v16
	v_sub_u32_e32 v2, 29, v20
	v_and_b32_e32 v18, 7, v18
	v_cmp_gt_u32_e32 vcc, 8, v16
	v_mov_b32_e32 v16, 24
	v_cndmask_b32_e32 v2, v17, v2, vcc
	v_cndmask_b32_e32 v15, v15, v18, vcc
	v_lshlrev_b32_sdwa v16, v16, v5 dst_sel:DWORD dst_unused:UNUSED_PAD src0_sel:DWORD src1_sel:WORD_1
	v_bfrev_b32_e32 v17, 60
	v_lshlrev_b32_e32 v15, 20, v15
	v_and_b32_e32 v16, 0x80000000, v16
	v_lshl_add_u32 v2, v2, 23, v17
	v_or3_b32 v2, v16, v2, v15
	v_lshrrev_b32_e32 v15, 16, v2
.LBB883_775:
	s_or_b64 exec, exec, s[10:11]
.LBB883_776:
	s_or_b64 exec, exec, s[8:9]
.LBB883_777:
	s_or_b64 exec, exec, s[2:3]
	s_mov_b32 s2, 0xffffff
	v_cmp_lt_u32_e32 vcc, s2, v5
	s_and_saveexec_b64 s[2:3], vcc
	s_cbranch_execz .LBB883_783
; %bb.778:
	v_lshrrev_b32_e32 v2, 24, v5
	s_movk_i32 s7, 0x80
	v_cmp_ne_u32_e32 vcc, s7, v2
	v_mov_b32_e32 v14, 0xffff8000
	s_and_saveexec_b64 s[8:9], vcc
	s_cbranch_execz .LBB883_782
; %bb.779:
	v_bfe_u32 v5, v5, 24, 7
	s_movk_i32 s7, 0x7f
	v_cmp_ne_u32_e32 vcc, s7, v5
	v_mov_b32_e32 v14, 0x7f80
	s_and_saveexec_b64 s[10:11], vcc
	s_cbranch_execz .LBB883_781
; %bb.780:
	v_and_b32_e32 v14, 7, v2
	v_ffbh_u32_e32 v16, v14
	v_min_u32_e32 v19, 32, v16
	v_subrev_u32_e32 v16, 28, v19
	v_lshlrev_b64 v[16:17], v16, v[2:3]
	v_lshrrev_b32_e32 v18, 3, v5
	v_sub_u32_e32 v17, 29, v19
	v_and_b32_e32 v16, 7, v16
	v_cmp_gt_u32_e32 vcc, 8, v5
	v_cndmask_b32_e32 v5, v18, v17, vcc
	v_cndmask_b32_e32 v14, v14, v16, vcc
	v_lshlrev_b32_e32 v2, 24, v2
	v_bfrev_b32_e32 v16, 60
	v_lshlrev_b32_e32 v14, 20, v14
	v_and_b32_e32 v2, 0x80000000, v2
	v_lshl_add_u32 v5, v5, 23, v16
	v_or3_b32 v2, v2, v5, v14
	v_lshrrev_b32_e32 v14, 16, v2
.LBB883_781:
	s_or_b64 exec, exec, s[10:11]
.LBB883_782:
	s_or_b64 exec, exec, s[8:9]
.LBB883_783:
	s_or_b64 exec, exec, s[2:3]
	s_mov_b32 s3, 0x5040100
	v_perm_b32 v11, v11, v12, s3
	ds_read_b128 v[16:19], v22 offset:6160
	v_perm_b32 v10, v3, v10, s3
	v_perm_b32 v3, v14, v15, s3
	;; [unrolled: 1-line block ×3, first 2 shown]
	s_waitcnt lgkmcnt(0)
	v_mfma_f32_16x16x16bf16_1k v[6:9], v[10:11], v[16:17], v[6:9]
	s_load_dword s2, s[42:43], 0x0
	s_mov_b32 s3, 0x7060302
	s_movk_i32 s7, 0x7fff
	v_cmp_gt_u32_e32 vcc, 64, v0
	s_and_b64 s[0:1], vcc, s[0:1]
	s_waitcnt lgkmcnt(0)
	s_barrier
	v_mfma_f32_16x16x16bf16_1k v[2:5], v[2:3], v[18:19], v[6:9]
	s_nop 7
	s_nop 2
	v_pk_mul_f32 v[4:5], v[4:5], s[2:3] op_sel_hi:[1,0]
	v_pk_mul_f32 v[2:3], v[2:3], s[2:3] op_sel_hi:[1,0]
	v_bfe_u32 v6, v3, 16, 1
	v_bfe_u32 v7, v2, 16, 1
	;; [unrolled: 1-line block ×4, first 2 shown]
	v_add3_u32 v2, v2, v7, s7
	v_add3_u32 v3, v3, v6, s7
	;; [unrolled: 1-line block ×4, first 2 shown]
	v_perm_b32 v2, v3, v2, s3
	v_perm_b32 v3, v5, v4, s3
	ds_write_b64 v28, v[2:3]
	s_waitcnt lgkmcnt(0)
	s_barrier
	s_and_saveexec_b64 s[2:3], s[0:1]
	s_cbranch_execz .LBB883_786
; %bb.784:
	s_load_dwordx2 s[2:3], s[4:5], 0x68
	s_lshl_b32 s0, s44, 6
	s_mul_i32 s1, s12, s6
	s_mul_hi_u32 s7, s1, s0
	s_mul_i32 s6, s1, s0
	s_lshl_b64 s[6:7], s[6:7], 1
	s_waitcnt lgkmcnt(0)
	s_add_u32 s1, s2, s6
	s_mov_b32 s5, 0
	s_addc_u32 s6, s3, s7
	s_lshl_b32 s4, s24, 6
	v_lshlrev_b32_e32 v0, 10, v0
	s_lshl_b64 s[2:3], s[4:5], 1
	v_and_b32_e32 v2, 0x1800, v0
	v_lshlrev_b32_e32 v3, 5, v1
	v_and_b32_e32 v4, 16, v47
	s_add_u32 s1, s1, s2
	v_or_b32_e32 v0, 4, v1
	v_or3_b32 v2, v2, v3, v4
	s_addc_u32 s2, s6, s3
	v_add_u32_e32 v1, s25, v1
	v_mov_b32_e32 v4, s2
	v_add_co_u32_e32 v3, vcc, s1, v46
	ds_read_b128 v[6:9], v2
	v_mad_u64_u32 v[10:11], s[2:3], v1, s0, 0
	v_addc_co_u32_e32 v4, vcc, 0, v4, vcc
	v_lshlrev_b64 v[10:11], 1, v[10:11]
	v_add_co_u32_e32 v10, vcc, v3, v10
	v_addc_co_u32_e32 v11, vcc, v4, v11, vcc
	v_cmp_gt_u32_e32 vcc, 6, v0
	s_waitcnt lgkmcnt(0)
	global_store_dwordx4 v[10:11], v[6:9], off
	s_and_b64 exec, exec, vcc
	s_cbranch_execz .LBB883_786
; %bb.785:
	ds_read_b128 v[6:9], v2 offset:128
	v_add_u32_e32 v0, s25, v0
	v_mad_u64_u32 v[0:1], s[0:1], v0, s0, 0
	v_lshlrev_b64 v[0:1], 1, v[0:1]
	v_add_co_u32_e32 v0, vcc, v3, v0
	v_addc_co_u32_e32 v1, vcc, v4, v1, vcc
	s_waitcnt lgkmcnt(0)
	global_store_dwordx4 v[0:1], v[6:9], off
.LBB883_786:
	s_endpgm
	.section	.rodata,"a",@progbits
	.p2align	6, 0x0
	.amdhsa_kernel _Z39paged_attention_ll4mi_QKV_mfma16_kernelI14__hip_bfloat16hLN4vllm18Fp8KVCacheDataTypeE1ES0_Li32ELi64ELi256ELb0ELi6EL8MFMAType0EEvPKT_PKT0_S9_ifPKiSB_SB_iPKfiiiPfSE_PS4_PT2_iSD_SD_
		.amdhsa_group_segment_fixed_size 8192
		.amdhsa_private_segment_fixed_size 0
		.amdhsa_kernarg_size 400
		.amdhsa_user_sgpr_count 6
		.amdhsa_user_sgpr_private_segment_buffer 1
		.amdhsa_user_sgpr_dispatch_ptr 0
		.amdhsa_user_sgpr_queue_ptr 0
		.amdhsa_user_sgpr_kernarg_segment_ptr 1
		.amdhsa_user_sgpr_dispatch_id 0
		.amdhsa_user_sgpr_flat_scratch_init 0
		.amdhsa_user_sgpr_kernarg_preload_length 0
		.amdhsa_user_sgpr_kernarg_preload_offset 0
		.amdhsa_user_sgpr_private_segment_size 0
		.amdhsa_uses_dynamic_stack 0
		.amdhsa_system_sgpr_private_segment_wavefront_offset 0
		.amdhsa_system_sgpr_workgroup_id_x 1
		.amdhsa_system_sgpr_workgroup_id_y 1
		.amdhsa_system_sgpr_workgroup_id_z 1
		.amdhsa_system_sgpr_workgroup_info 0
		.amdhsa_system_vgpr_workitem_id 0
		.amdhsa_next_free_vgpr 62
		.amdhsa_next_free_sgpr 47
		.amdhsa_accum_offset 64
		.amdhsa_reserve_vcc 1
		.amdhsa_reserve_flat_scratch 0
		.amdhsa_float_round_mode_32 0
		.amdhsa_float_round_mode_16_64 0
		.amdhsa_float_denorm_mode_32 3
		.amdhsa_float_denorm_mode_16_64 3
		.amdhsa_dx10_clamp 1
		.amdhsa_ieee_mode 1
		.amdhsa_fp16_overflow 0
		.amdhsa_tg_split 0
		.amdhsa_exception_fp_ieee_invalid_op 0
		.amdhsa_exception_fp_denorm_src 0
		.amdhsa_exception_fp_ieee_div_zero 0
		.amdhsa_exception_fp_ieee_overflow 0
		.amdhsa_exception_fp_ieee_underflow 0
		.amdhsa_exception_fp_ieee_inexact 0
		.amdhsa_exception_int_div_zero 0
	.end_amdhsa_kernel
	.section	.text._Z39paged_attention_ll4mi_QKV_mfma16_kernelI14__hip_bfloat16hLN4vllm18Fp8KVCacheDataTypeE1ES0_Li32ELi64ELi256ELb0ELi6EL8MFMAType0EEvPKT_PKT0_S9_ifPKiSB_SB_iPKfiiiPfSE_PS4_PT2_iSD_SD_,"axG",@progbits,_Z39paged_attention_ll4mi_QKV_mfma16_kernelI14__hip_bfloat16hLN4vllm18Fp8KVCacheDataTypeE1ES0_Li32ELi64ELi256ELb0ELi6EL8MFMAType0EEvPKT_PKT0_S9_ifPKiSB_SB_iPKfiiiPfSE_PS4_PT2_iSD_SD_,comdat
.Lfunc_end883:
	.size	_Z39paged_attention_ll4mi_QKV_mfma16_kernelI14__hip_bfloat16hLN4vllm18Fp8KVCacheDataTypeE1ES0_Li32ELi64ELi256ELb0ELi6EL8MFMAType0EEvPKT_PKT0_S9_ifPKiSB_SB_iPKfiiiPfSE_PS4_PT2_iSD_SD_, .Lfunc_end883-_Z39paged_attention_ll4mi_QKV_mfma16_kernelI14__hip_bfloat16hLN4vllm18Fp8KVCacheDataTypeE1ES0_Li32ELi64ELi256ELb0ELi6EL8MFMAType0EEvPKT_PKT0_S9_ifPKiSB_SB_iPKfiiiPfSE_PS4_PT2_iSD_SD_
                                        ; -- End function
	.section	.AMDGPU.csdata,"",@progbits
; Kernel info:
; codeLenInByte = 28388
; NumSgprs: 51
; NumVgprs: 62
; NumAgprs: 0
; TotalNumVgprs: 62
; ScratchSize: 0
; MemoryBound: 0
; FloatMode: 240
; IeeeMode: 1
; LDSByteSize: 8192 bytes/workgroup (compile time only)
; SGPRBlocks: 6
; VGPRBlocks: 7
; NumSGPRsForWavesPerEU: 51
; NumVGPRsForWavesPerEU: 62
; AccumOffset: 64
; Occupancy: 8
; WaveLimiterHint : 1
; COMPUTE_PGM_RSRC2:SCRATCH_EN: 0
; COMPUTE_PGM_RSRC2:USER_SGPR: 6
; COMPUTE_PGM_RSRC2:TRAP_HANDLER: 0
; COMPUTE_PGM_RSRC2:TGID_X_EN: 1
; COMPUTE_PGM_RSRC2:TGID_Y_EN: 1
; COMPUTE_PGM_RSRC2:TGID_Z_EN: 1
; COMPUTE_PGM_RSRC2:TIDIG_COMP_CNT: 0
; COMPUTE_PGM_RSRC3_GFX90A:ACCUM_OFFSET: 15
; COMPUTE_PGM_RSRC3_GFX90A:TG_SPLIT: 0
	.section	.text._Z39paged_attention_ll4mi_QKV_mfma16_kernelI14__hip_bfloat16hLN4vllm18Fp8KVCacheDataTypeE1ES0_Li32ELi64ELi256ELb0ELi7EL8MFMAType0EEvPKT_PKT0_S9_ifPKiSB_SB_iPKfiiiPfSE_PS4_PT2_iSD_SD_,"axG",@progbits,_Z39paged_attention_ll4mi_QKV_mfma16_kernelI14__hip_bfloat16hLN4vllm18Fp8KVCacheDataTypeE1ES0_Li32ELi64ELi256ELb0ELi7EL8MFMAType0EEvPKT_PKT0_S9_ifPKiSB_SB_iPKfiiiPfSE_PS4_PT2_iSD_SD_,comdat
	.protected	_Z39paged_attention_ll4mi_QKV_mfma16_kernelI14__hip_bfloat16hLN4vllm18Fp8KVCacheDataTypeE1ES0_Li32ELi64ELi256ELb0ELi7EL8MFMAType0EEvPKT_PKT0_S9_ifPKiSB_SB_iPKfiiiPfSE_PS4_PT2_iSD_SD_ ; -- Begin function _Z39paged_attention_ll4mi_QKV_mfma16_kernelI14__hip_bfloat16hLN4vllm18Fp8KVCacheDataTypeE1ES0_Li32ELi64ELi256ELb0ELi7EL8MFMAType0EEvPKT_PKT0_S9_ifPKiSB_SB_iPKfiiiPfSE_PS4_PT2_iSD_SD_
	.globl	_Z39paged_attention_ll4mi_QKV_mfma16_kernelI14__hip_bfloat16hLN4vllm18Fp8KVCacheDataTypeE1ES0_Li32ELi64ELi256ELb0ELi7EL8MFMAType0EEvPKT_PKT0_S9_ifPKiSB_SB_iPKfiiiPfSE_PS4_PT2_iSD_SD_
	.p2align	8
	.type	_Z39paged_attention_ll4mi_QKV_mfma16_kernelI14__hip_bfloat16hLN4vllm18Fp8KVCacheDataTypeE1ES0_Li32ELi64ELi256ELb0ELi7EL8MFMAType0EEvPKT_PKT0_S9_ifPKiSB_SB_iPKfiiiPfSE_PS4_PT2_iSD_SD_,@function
_Z39paged_attention_ll4mi_QKV_mfma16_kernelI14__hip_bfloat16hLN4vllm18Fp8KVCacheDataTypeE1ES0_Li32ELi64ELi256ELb0ELi7EL8MFMAType0EEvPKT_PKT0_S9_ifPKiSB_SB_iPKfiiiPfSE_PS4_PT2_iSD_SD_: ; @_Z39paged_attention_ll4mi_QKV_mfma16_kernelI14__hip_bfloat16hLN4vllm18Fp8KVCacheDataTypeE1ES0_Li32ELi64ELi256ELb0ELi7EL8MFMAType0EEvPKT_PKT0_S9_ifPKiSB_SB_iPKfiiiPfSE_PS4_PT2_iSD_SD_
; %bb.0:
	s_load_dwordx2 s[0:1], s[4:5], 0x30
	s_mov_b32 s24, s7
	s_mov_b64 s[10:11], 0
	s_waitcnt lgkmcnt(0)
	s_cmp_lg_u64 s[0:1], 0
	s_cselect_b64 s[2:3], -1, 0
	s_and_b64 vcc, exec, s[2:3]
	s_cbranch_vccz .LBB884_7
; %bb.1:
	s_add_i32 s12, s6, 1
	s_mov_b32 s13, 0
	s_lshl_b64 s[14:15], s[12:13], 2
	s_add_u32 s14, s0, s14
	s_mov_b32 s7, s13
	s_addc_u32 s15, s1, s15
	s_lshl_b64 s[12:13], s[6:7], 2
	s_add_u32 s12, s0, s12
	s_addc_u32 s13, s1, s13
	s_load_dword s9, s[14:15], 0x0
	s_load_dword s16, s[12:13], 0x0
	s_waitcnt lgkmcnt(0)
	s_sub_i32 s9, s9, s16
	s_cmp_eq_u32 s9, 1
	s_cselect_b64 s[12:13], -1, 0
	s_andn2_b64 vcc, exec, s[10:11]
	s_cbranch_vccnz .LBB884_3
.LBB884_2:
	s_mov_b32 s7, 0
	s_mov_b64 s[12:13], -1
.LBB884_3:
	s_andn2_b64 vcc, exec, s[12:13]
	s_cbranch_vccnz .LBB884_786
; %bb.4:
	s_load_dwordx2 s[12:13], s[4:5], 0x28
	s_lshl_b64 s[10:11], s[6:7], 2
	s_waitcnt lgkmcnt(0)
	s_add_u32 s12, s12, s10
	s_addc_u32 s13, s13, s11
	s_load_dword s33, s[12:13], 0x0
	s_lshl_b32 s20, s24, 8
	s_waitcnt lgkmcnt(0)
	s_cmp_ge_i32 s20, s33
	s_cbranch_scc1 .LBB884_786
; %bb.5:
	s_add_i32 s14, s33, 31
	s_load_dwordx2 s[12:13], s[4:5], 0x20
	s_load_dword s9, s[4:5], 0x38
	s_ashr_i32 s15, s14, 31
	v_and_b32_e32 v1, 0xcf, v0
	s_lshr_b32 s15, s15, 27
	v_add_u32_e32 v1, s20, v1
	s_add_i32 s14, s14, s15
	v_ashrrev_i32_e32 v2, 31, v1
	s_ashr_i32 s22, s14, 5
	v_lshrrev_b32_e32 v4, 27, v2
	s_add_i32 s22, s22, -1
	v_add_u32_e32 v2, v1, v4
	s_waitcnt lgkmcnt(0)
	s_mul_i32 s14, s6, s9
	s_mov_b32 s15, 0
	v_ashrrev_i32_e32 v2, 5, v2
	v_mov_b32_e32 v5, s22
	v_cmp_gt_i32_e32 vcc, s33, v1
	s_lshl_b64 s[14:15], s[14:15], 2
	v_cndmask_b32_e32 v2, v5, v2, vcc
	s_add_u32 s9, s12, s14
	v_ashrrev_i32_e32 v3, 31, v2
	s_addc_u32 s21, s13, s15
	v_lshlrev_b64 v[2:3], 2, v[2:3]
	v_mov_b32_e32 v7, s21
	v_add_co_u32_e32 v6, vcc, s9, v2
	v_or_b32_e32 v2, 16, v1
	v_addc_co_u32_e32 v7, vcc, v7, v3, vcc
	v_add_u32_e32 v3, v2, v4
	v_ashrrev_i32_e32 v3, 5, v3
	v_cmp_gt_i32_e32 vcc, s33, v2
	v_cndmask_b32_e32 v2, v5, v3, vcc
	v_ashrrev_i32_e32 v3, 31, v2
	v_lshlrev_b64 v[2:3], 2, v[2:3]
	v_mov_b32_e32 v9, s21
	v_add_co_u32_e32 v8, vcc, s9, v2
	v_or_b32_e32 v2, 32, v1
	v_addc_co_u32_e32 v9, vcc, v9, v3, vcc
	v_add_u32_e32 v3, v2, v4
	v_ashrrev_i32_e32 v3, 5, v3
	v_cmp_gt_i32_e32 vcc, s33, v2
	v_cndmask_b32_e32 v2, v5, v3, vcc
	v_ashrrev_i32_e32 v3, 31, v2
	;; [unrolled: 10-line block ×3, first 2 shown]
	v_lshlrev_b64 v[2:3], 2, v[2:3]
	v_mov_b32_e32 v1, s21
	v_add_co_u32_e32 v12, vcc, s9, v2
	v_addc_co_u32_e32 v13, vcc, v1, v3, vcc
	global_load_dword v5, v[6:7], off
	global_load_dword v4, v[8:9], off
	;; [unrolled: 1-line block ×4, first 2 shown]
	s_load_dwordx4 s[12:15], s[4:5], 0x8
	s_andn2_b64 vcc, exec, s[2:3]
	s_cbranch_vccnz .LBB884_8
; %bb.6:
	s_add_u32 s0, s0, s10
	s_addc_u32 s1, s1, s11
	s_load_dword s10, s[0:1], 0x0
	s_branch .LBB884_9
.LBB884_7:
	s_mov_b64 s[12:13], 0
	s_branch .LBB884_2
.LBB884_8:
	s_mov_b32 s10, s6
.LBB884_9:
	s_load_dwordx4 s[16:19], s[4:5], 0x48
	v_lshrrev_b32_e32 v50, 6, v0
	v_bfe_u32 v1, v0, 4, 2
	v_lshl_or_b32 v6, v50, 2, v1
	v_and_b32_e32 v49, 15, v0
	v_lshlrev_b32_e32 v7, 3, v49
	v_cmp_gt_u32_e32 vcc, 7, v6
	v_cmp_gt_u32_e64 s[0:1], 8, v49
	s_mul_i32 s25, s8, 7
	s_and_b64 s[26:27], s[0:1], vcc
	v_lshlrev_b32_e32 v46, 1, v7
	v_lshlrev_b32_e32 v47, 4, v0
	s_and_saveexec_b64 s[2:3], s[26:27]
	s_cbranch_execz .LBB884_11
; %bb.10:
	s_load_dwordx2 s[26:27], s[4:5], 0x0
	s_waitcnt lgkmcnt(0)
	s_ashr_i32 s11, s16, 31
	s_mul_hi_u32 s19, s10, s16
	s_mul_i32 s11, s10, s11
	s_add_i32 s11, s19, s11
	s_mul_i32 s10, s10, s16
	s_lshl_b64 s[10:11], s[10:11], 1
	v_add_lshl_u32 v8, v6, s25, 6
	s_add_u32 s10, s26, s10
	v_ashrrev_i32_e32 v9, 31, v8
	s_addc_u32 s11, s27, s11
	v_lshlrev_b64 v[8:9], 1, v[8:9]
	v_mov_b32_e32 v7, s11
	v_add_co_u32_e32 v8, vcc, s10, v8
	v_addc_co_u32_e32 v7, vcc, v7, v9, vcc
	v_add_co_u32_e32 v8, vcc, v8, v46
	v_addc_co_u32_e32 v9, vcc, 0, v7, vcc
	global_load_dwordx4 v[8:11], v[8:9], off
	v_lshlrev_b32_e32 v12, 8, v49
	v_lshlrev_b32_e32 v6, 5, v6
	v_and_b32_e32 v7, 16, v47
	v_and_b32_e32 v12, 0xe00, v12
	v_or3_b32 v6, v12, v6, v7
	s_waitcnt vmcnt(0)
	ds_write_b128 v6, v[8:11]
.LBB884_11:
	s_or_b64 exec, exec, s[2:3]
	s_waitcnt lgkmcnt(0)
	s_mul_i32 s8, s8, s18
	s_add_u32 s2, s12, s8
	s_addc_u32 s3, s13, 0
	v_and_b32_e32 v12, 48, v0
	s_ashr_i32 s10, s20, 31
	v_or_b32_e32 v13, s20, v12
	s_lshr_b32 s10, s10, 27
	v_add_u32_e32 v6, s10, v13
	v_ashrrev_i32_e32 v6, 5, v6
	v_mov_b32_e32 v14, s22
	v_cmp_gt_i32_e32 vcc, s33, v13
	v_cndmask_b32_e32 v6, v14, v6, vcc
	v_ashrrev_i32_e32 v7, 31, v6
	v_lshlrev_b64 v[6:7], 2, v[6:7]
	v_mov_b32_e32 v8, s21
	v_add_co_u32_e32 v6, vcc, s9, v6
	v_addc_co_u32_e32 v7, vcc, v8, v7, vcc
	v_or_b32_e32 v8, 64, v13
	v_add_u32_e32 v9, s10, v8
	v_ashrrev_i32_e32 v9, 5, v9
	v_cmp_gt_i32_e32 vcc, s33, v8
	v_cndmask_b32_e32 v8, v14, v9, vcc
	v_ashrrev_i32_e32 v9, 31, v8
	v_lshlrev_b64 v[8:9], 2, v[8:9]
	v_mov_b32_e32 v10, s21
	v_add_co_u32_e32 v8, vcc, s9, v8
	v_addc_co_u32_e32 v9, vcc, v10, v9, vcc
	v_or_b32_e32 v10, 0x80, v13
	v_add_u32_e32 v11, s10, v10
	v_ashrrev_i32_e32 v11, 5, v11
	v_cmp_gt_i32_e32 vcc, s33, v10
	v_cndmask_b32_e32 v10, v14, v11, vcc
	v_ashrrev_i32_e32 v11, 31, v10
	v_lshlrev_b64 v[10:11], 2, v[10:11]
	v_mov_b32_e32 v15, s21
	v_add_co_u32_e32 v10, vcc, s9, v10
	s_load_dwordx2 s[44:45], s[4:5], 0x94
	s_load_dwordx4 s[40:43], s[4:5], 0x80
	s_waitcnt lgkmcnt(0)
	s_barrier
	v_addc_co_u32_e32 v11, vcc, v15, v11, vcc
	global_load_dword v15, v[6:7], off
	global_load_dword v16, v[8:9], off
	;; [unrolled: 1-line block ×3, first 2 shown]
	v_or_b32_e32 v6, 0xc0, v13
	v_add_u32_e32 v7, s10, v6
	v_ashrrev_i32_e32 v7, 5, v7
	v_cmp_gt_i32_e32 vcc, s33, v6
	v_cndmask_b32_e32 v6, v14, v7, vcc
	v_ashrrev_i32_e32 v7, 31, v6
	v_lshlrev_b64 v[6:7], 2, v[6:7]
	v_mov_b32_e32 v8, s21
	v_add_co_u32_e32 v6, vcc, s9, v6
	v_addc_co_u32_e32 v7, vcc, v8, v7, vcc
	global_load_dword v20, v[6:7], off
	v_pk_mov_b32 v[6:7], s[2:3], s[2:3] op_sel:[0,1]
	s_waitcnt vmcnt(7)
	v_mad_i64_i32 v[8:9], s[2:3], v5, s17, v[6:7]
	v_lshlrev_b32_e32 v11, 4, v49
	v_add_co_u32_e32 v5, vcc, v8, v11
	v_lshlrev_b32_e32 v10, 5, v12
	v_addc_co_u32_e32 v9, vcc, 0, v9, vcc
	v_add_co_u32_e32 v8, vcc, v5, v10
	v_addc_co_u32_e32 v9, vcc, 0, v9, vcc
	s_waitcnt vmcnt(6)
	v_mad_i64_i32 v[4:5], s[2:3], v4, s17, v[6:7]
	v_or_b32_e32 v12, 0x100, v11
	v_add_co_u32_e32 v4, vcc, v4, v12
	v_addc_co_u32_e32 v5, vcc, 0, v5, vcc
	v_add_co_u32_e32 v4, vcc, v4, v10
	v_addc_co_u32_e32 v5, vcc, 0, v5, vcc
	global_load_dwordx4 v[30:33], v[8:9], off
	global_load_dwordx4 v[38:41], v[4:5], off
	s_waitcnt vmcnt(7)
	v_mad_i64_i32 v[4:5], s[2:3], v3, s17, v[6:7]
	v_add_co_u32_e32 v3, vcc, v4, v11
	v_addc_co_u32_e32 v5, vcc, 0, v5, vcc
	v_add_co_u32_e32 v4, vcc, v3, v10
	v_addc_co_u32_e32 v5, vcc, 0, v5, vcc
	s_waitcnt vmcnt(6)
	v_mad_i64_i32 v[2:3], s[2:3], v2, s17, v[6:7]
	v_add_co_u32_e32 v2, vcc, v2, v12
	v_addc_co_u32_e32 v3, vcc, 0, v3, vcc
	v_add_co_u32_e32 v2, vcc, v2, v10
	s_add_u32 s2, s14, s8
	v_addc_co_u32_e32 v3, vcc, 0, v3, vcc
	global_load_dwordx4 v[34:37], v[4:5], off
	global_load_dwordx4 v[22:25], v[2:3], off
	s_addc_u32 s3, s15, 0
	v_and_b32_e32 v2, 16, v0
	v_mov_b32_e32 v3, s3
	v_add_co_u32_e32 v2, vcc, s2, v2
	v_lshlrev_b32_e32 v48, 5, v49
	v_addc_co_u32_e32 v3, vcc, 0, v3, vcc
	v_lshl_or_b32 v4, v50, 9, v48
	v_add_co_u32_e32 v2, vcc, v2, v4
	v_addc_co_u32_e32 v3, vcc, 0, v3, vcc
	v_mov_b32_e32 v44, 0
	v_mov_b32_e32 v43, 0
	s_movk_i32 s8, 0x80
	s_waitcnt vmcnt(7)
	v_mad_i64_i32 v[4:5], s[2:3], v15, s17, v[2:3]
	s_waitcnt vmcnt(6)
	v_mad_i64_i32 v[6:7], s[2:3], v16, s17, v[2:3]
	;; [unrolled: 2-line block ×3, first 2 shown]
	global_load_dwordx4 v[14:17], v[4:5], off
	global_load_dwordx4 v[10:13], v[6:7], off
	s_waitcnt vmcnt(6)
	v_mad_i64_i32 v[20:21], s[2:3], v20, s17, v[2:3]
	global_load_dwordx4 v[6:9], v[18:19], off
	global_load_dwordx4 v[2:5], v[20:21], off
	v_mul_lo_u16_e32 v18, 37, v49
	v_mov_b32_e32 v19, 7
	v_mul_lo_u16_sdwa v18, v18, v19 dst_sel:DWORD dst_unused:UNUSED_PAD src0_sel:BYTE_1 src1_sel:DWORD
	v_sub_u16_e32 v18, v49, v18
	v_mov_b32_e32 v19, 5
	v_lshlrev_b32_sdwa v18, v19, v18 dst_sel:DWORD dst_unused:UNUSED_PAD src0_sel:DWORD src1_sel:BYTE_0
	v_lshl_add_u32 v18, v1, 9, v18
	ds_read_b128 v[26:29], v18
	ds_read_b128 v[18:21], v18 offset:16
	s_load_dword s12, s[40:41], 0x0
	s_waitcnt vmcnt(7)
	v_cmp_ne_u16_sdwa s[10:11], v30, v44 src0_sel:BYTE_0 src1_sel:DWORD
	s_and_saveexec_b64 s[2:3], s[10:11]
	s_cbranch_execz .LBB884_17
; %bb.12:
	v_cmp_ne_u16_sdwa s[10:11], v30, s8 src0_sel:BYTE_0 src1_sel:DWORD
	v_mov_b32_e32 v43, 0xffff8000
	s_and_saveexec_b64 s[8:9], s[10:11]
	s_cbranch_execz .LBB884_16
; %bb.13:
	s_movk_i32 s10, 0x7f
	v_and_b32_e32 v42, 0x7f, v30
	v_cmp_ne_u32_e32 vcc, s10, v42
	v_mov_b32_e32 v43, 0x7f80
	s_and_saveexec_b64 s[10:11], vcc
	s_cbranch_execz .LBB884_15
; %bb.14:
	v_and_b32_e32 v43, 7, v30
	v_ffbh_u32_e32 v51, v43
	v_min_u32_e32 v51, 32, v51
	v_subrev_u32_e32 v52, 28, v51
	v_lshlrev_b64 v[52:53], v52, v[30:31]
	v_lshrrev_b32_e32 v45, 3, v42
	v_sub_u32_e32 v51, 29, v51
	v_and_b32_e32 v52, 7, v52
	v_cmp_gt_u32_e32 vcc, 8, v42
	v_cndmask_b32_e32 v42, v45, v51, vcc
	v_cndmask_b32_e32 v43, v43, v52, vcc
	v_lshlrev_b32_e32 v45, 24, v30
	v_bfrev_b32_e32 v51, 60
	v_lshlrev_b32_e32 v43, 20, v43
	v_and_b32_e32 v45, 0x80000000, v45
	v_lshl_add_u32 v42, v42, 23, v51
	v_or3_b32 v42, v45, v42, v43
	v_lshrrev_b32_e32 v43, 16, v42
.LBB884_15:
	s_or_b64 exec, exec, s[10:11]
.LBB884_16:
	s_or_b64 exec, exec, s[8:9]
.LBB884_17:
	s_or_b64 exec, exec, s[2:3]
	v_lshrrev_b16_e32 v42, 8, v30
	v_cmp_ne_u16_e32 vcc, 0, v42
	s_and_saveexec_b64 s[2:3], vcc
	s_cbranch_execz .LBB884_23
; %bb.18:
	s_movk_i32 s8, 0x80
	v_cmp_ne_u16_e32 vcc, s8, v42
	v_mov_b32_e32 v44, 0xffff8000
	s_and_saveexec_b64 s[8:9], vcc
	s_cbranch_execz .LBB884_22
; %bb.19:
	s_movk_i32 s10, 0x7f
	v_and_b32_e32 v45, 0x7f, v42
	v_cmp_ne_u32_e32 vcc, s10, v45
	v_mov_b32_e32 v44, 0x7f80
	s_and_saveexec_b64 s[10:11], vcc
	s_cbranch_execz .LBB884_21
; %bb.20:
	v_and_b32_e32 v44, 7, v42
	v_ffbh_u32_e32 v52, v44
	v_min_u32_e32 v54, 32, v52
	v_subrev_u32_e32 v52, 28, v54
	v_lshlrev_b64 v[52:53], v52, v[42:43]
	v_lshrrev_b32_e32 v51, 3, v45
	v_sub_u32_e32 v42, 29, v54
	v_and_b32_e32 v52, 7, v52
	v_cmp_gt_u32_e32 vcc, 8, v45
	v_cndmask_b32_e32 v42, v51, v42, vcc
	v_cndmask_b32_e32 v44, v44, v52, vcc
	v_lshlrev_b32_e32 v45, 16, v30
	v_bfrev_b32_e32 v51, 60
	v_lshlrev_b32_e32 v44, 20, v44
	v_and_b32_e32 v45, 0x80000000, v45
	v_lshl_add_u32 v42, v42, 23, v51
	v_or3_b32 v42, v45, v42, v44
	v_lshrrev_b32_e32 v44, 16, v42
.LBB884_21:
	s_or_b64 exec, exec, s[10:11]
.LBB884_22:
	s_or_b64 exec, exec, s[8:9]
.LBB884_23:
	s_or_b64 exec, exec, s[2:3]
	s_movk_i32 s2, 0xff
	v_and_b32_sdwa v52, v30, s2 dst_sel:DWORD dst_unused:UNUSED_PAD src0_sel:WORD_1 src1_sel:DWORD
	v_lshrrev_b32_e32 v42, 16, v30
	v_cmp_ne_u16_e32 vcc, 0, v52
	v_mov_b32_e32 v45, 0
	v_mov_b32_e32 v51, 0
	s_and_saveexec_b64 s[2:3], vcc
	s_cbranch_execz .LBB884_29
; %bb.24:
	s_movk_i32 s8, 0x80
	v_cmp_ne_u16_e32 vcc, s8, v52
	v_mov_b32_e32 v51, 0xffff8000
	s_and_saveexec_b64 s[8:9], vcc
	s_cbranch_execz .LBB884_28
; %bb.25:
	v_bfe_u32 v52, v30, 16, 7
	s_movk_i32 s10, 0x7f
	v_cmp_ne_u32_e32 vcc, s10, v52
	v_mov_b32_e32 v51, 0x7f80
	s_and_saveexec_b64 s[10:11], vcc
	s_cbranch_execz .LBB884_27
; %bb.26:
	v_and_b32_e32 v51, 7, v42
	v_ffbh_u32_e32 v54, v51
	v_min_u32_e32 v56, 32, v54
	v_subrev_u32_e32 v54, 28, v56
	v_lshlrev_b64 v[54:55], v54, v[42:43]
	v_lshrrev_b32_e32 v53, 3, v52
	v_sub_u32_e32 v42, 29, v56
	v_and_b32_e32 v54, 7, v54
	v_cmp_gt_u32_e32 vcc, 8, v52
	v_mov_b32_e32 v52, 24
	v_cndmask_b32_e32 v42, v53, v42, vcc
	v_cndmask_b32_e32 v51, v51, v54, vcc
	v_lshlrev_b32_sdwa v52, v52, v30 dst_sel:DWORD dst_unused:UNUSED_PAD src0_sel:DWORD src1_sel:WORD_1
	v_bfrev_b32_e32 v53, 60
	v_lshlrev_b32_e32 v51, 20, v51
	v_and_b32_e32 v52, 0x80000000, v52
	v_lshl_add_u32 v42, v42, 23, v53
	v_or3_b32 v42, v52, v42, v51
	v_lshrrev_b32_e32 v51, 16, v42
.LBB884_27:
	s_or_b64 exec, exec, s[10:11]
.LBB884_28:
	s_or_b64 exec, exec, s[8:9]
.LBB884_29:
	s_or_b64 exec, exec, s[2:3]
	s_mov_b32 s2, 0xffffff
	v_cmp_lt_u32_e32 vcc, s2, v30
	s_and_saveexec_b64 s[2:3], vcc
	s_cbranch_execz .LBB884_35
; %bb.30:
	v_lshrrev_b32_e32 v42, 24, v30
	s_movk_i32 s8, 0x80
	v_cmp_ne_u32_e32 vcc, s8, v42
	v_mov_b32_e32 v45, 0xffff8000
	s_and_saveexec_b64 s[8:9], vcc
	s_cbranch_execz .LBB884_34
; %bb.31:
	v_bfe_u32 v30, v30, 24, 7
	s_movk_i32 s10, 0x7f
	v_cmp_ne_u32_e32 vcc, s10, v30
	v_mov_b32_e32 v45, 0x7f80
	s_and_saveexec_b64 s[10:11], vcc
	s_cbranch_execz .LBB884_33
; %bb.32:
	v_and_b32_e32 v45, 7, v42
	v_ffbh_u32_e32 v52, v45
	v_min_u32_e32 v55, 32, v52
	v_subrev_u32_e32 v52, 28, v55
	v_lshlrev_b64 v[52:53], v52, v[42:43]
	v_lshrrev_b32_e32 v54, 3, v30
	v_sub_u32_e32 v53, 29, v55
	v_and_b32_e32 v52, 7, v52
	v_cmp_gt_u32_e32 vcc, 8, v30
	v_cndmask_b32_e32 v30, v54, v53, vcc
	v_cndmask_b32_e32 v45, v45, v52, vcc
	v_lshlrev_b32_e32 v42, 24, v42
	v_bfrev_b32_e32 v52, 60
	v_lshlrev_b32_e32 v45, 20, v45
	v_and_b32_e32 v42, 0x80000000, v42
	v_lshl_add_u32 v30, v30, 23, v52
	v_or3_b32 v30, v42, v30, v45
	v_lshrrev_b32_e32 v45, 16, v30
.LBB884_33:
	s_or_b64 exec, exec, s[10:11]
.LBB884_34:
	s_or_b64 exec, exec, s[8:9]
.LBB884_35:
	s_or_b64 exec, exec, s[2:3]
	v_mov_b32_e32 v42, 0
	v_cmp_ne_u16_sdwa s[8:9], v31, v42 src0_sel:BYTE_0 src1_sel:DWORD
	v_mov_b32_e32 v52, 0
	s_and_saveexec_b64 s[2:3], s[8:9]
	s_cbranch_execz .LBB884_41
; %bb.36:
	s_movk_i32 s8, 0x80
	v_cmp_ne_u16_sdwa s[10:11], v31, s8 src0_sel:BYTE_0 src1_sel:DWORD
	v_mov_b32_e32 v52, 0xffff8000
	s_and_saveexec_b64 s[8:9], s[10:11]
	s_cbranch_execz .LBB884_40
; %bb.37:
	s_movk_i32 s10, 0x7f
	v_and_b32_e32 v30, 0x7f, v31
	v_cmp_ne_u32_e32 vcc, s10, v30
	v_mov_b32_e32 v52, 0x7f80
	s_and_saveexec_b64 s[10:11], vcc
	s_cbranch_execz .LBB884_39
; %bb.38:
	v_and_b32_e32 v54, 7, v31
	v_ffbh_u32_e32 v53, v54
	v_min_u32_e32 v56, 32, v53
	v_mov_b32_e32 v52, v31
	v_subrev_u32_e32 v53, 28, v56
	v_lshlrev_b64 v[52:53], v53, v[52:53]
	v_lshrrev_b32_e32 v55, 3, v30
	v_sub_u32_e32 v53, 29, v56
	v_and_b32_e32 v52, 7, v52
	v_cmp_gt_u32_e32 vcc, 8, v30
	v_cndmask_b32_e32 v30, v55, v53, vcc
	v_cndmask_b32_e32 v52, v54, v52, vcc
	v_lshlrev_b32_e32 v53, 24, v31
	v_bfrev_b32_e32 v54, 60
	v_lshlrev_b32_e32 v52, 20, v52
	v_and_b32_e32 v53, 0x80000000, v53
	v_lshl_add_u32 v30, v30, 23, v54
	v_or3_b32 v30, v53, v30, v52
	v_lshrrev_b32_e32 v52, 16, v30
.LBB884_39:
	s_or_b64 exec, exec, s[10:11]
.LBB884_40:
	s_or_b64 exec, exec, s[8:9]
.LBB884_41:
	s_or_b64 exec, exec, s[2:3]
	v_lshrrev_b16_e32 v30, 8, v31
	v_cmp_ne_u16_e32 vcc, 0, v30
	s_and_saveexec_b64 s[2:3], vcc
	s_cbranch_execz .LBB884_47
; %bb.42:
	s_movk_i32 s8, 0x80
	v_cmp_ne_u16_e32 vcc, s8, v30
	v_mov_b32_e32 v42, 0xffff8000
	s_and_saveexec_b64 s[8:9], vcc
	s_cbranch_execz .LBB884_46
; %bb.43:
	s_movk_i32 s10, 0x7f
	v_and_b32_e32 v53, 0x7f, v30
	v_cmp_ne_u32_e32 vcc, s10, v53
	v_mov_b32_e32 v42, 0x7f80
	s_and_saveexec_b64 s[10:11], vcc
	s_cbranch_execz .LBB884_45
; %bb.44:
	v_and_b32_e32 v42, 7, v30
	v_ffbh_u32_e32 v54, v42
	v_min_u32_e32 v57, 32, v54
	v_subrev_u32_e32 v54, 28, v57
	v_lshlrev_b64 v[54:55], v54, v[30:31]
	v_lshrrev_b32_e32 v56, 3, v53
	v_sub_u32_e32 v30, 29, v57
	v_and_b32_e32 v54, 7, v54
	v_cmp_gt_u32_e32 vcc, 8, v53
	v_cndmask_b32_e32 v30, v56, v30, vcc
	v_cndmask_b32_e32 v42, v42, v54, vcc
	v_lshlrev_b32_e32 v53, 16, v31
	v_bfrev_b32_e32 v54, 60
	v_lshlrev_b32_e32 v42, 20, v42
	v_and_b32_e32 v53, 0x80000000, v53
	v_lshl_add_u32 v30, v30, 23, v54
	v_or3_b32 v30, v53, v30, v42
	v_lshrrev_b32_e32 v42, 16, v30
.LBB884_45:
	s_or_b64 exec, exec, s[10:11]
.LBB884_46:
	s_or_b64 exec, exec, s[8:9]
.LBB884_47:
	s_or_b64 exec, exec, s[2:3]
	s_movk_i32 s2, 0xff
	v_and_b32_sdwa v55, v31, s2 dst_sel:DWORD dst_unused:UNUSED_PAD src0_sel:WORD_1 src1_sel:DWORD
	v_lshrrev_b32_e32 v30, 16, v31
	v_cmp_ne_u16_e32 vcc, 0, v55
	v_mov_b32_e32 v53, 0
	v_mov_b32_e32 v54, 0
	s_and_saveexec_b64 s[2:3], vcc
	s_cbranch_execz .LBB884_53
; %bb.48:
	s_movk_i32 s8, 0x80
	v_cmp_ne_u16_e32 vcc, s8, v55
	v_mov_b32_e32 v54, 0xffff8000
	s_and_saveexec_b64 s[8:9], vcc
	s_cbranch_execz .LBB884_52
; %bb.49:
	v_bfe_u32 v55, v31, 16, 7
	s_movk_i32 s10, 0x7f
	v_cmp_ne_u32_e32 vcc, s10, v55
	v_mov_b32_e32 v54, 0x7f80
	s_and_saveexec_b64 s[10:11], vcc
	s_cbranch_execz .LBB884_51
; %bb.50:
	v_and_b32_e32 v54, 7, v30
	v_ffbh_u32_e32 v56, v54
	v_min_u32_e32 v59, 32, v56
	v_subrev_u32_e32 v56, 28, v59
	v_lshlrev_b64 v[56:57], v56, v[30:31]
	v_lshrrev_b32_e32 v58, 3, v55
	v_sub_u32_e32 v30, 29, v59
	v_and_b32_e32 v56, 7, v56
	v_cmp_gt_u32_e32 vcc, 8, v55
	v_mov_b32_e32 v55, 24
	v_cndmask_b32_e32 v30, v58, v30, vcc
	v_cndmask_b32_e32 v54, v54, v56, vcc
	v_lshlrev_b32_sdwa v55, v55, v31 dst_sel:DWORD dst_unused:UNUSED_PAD src0_sel:DWORD src1_sel:WORD_1
	v_bfrev_b32_e32 v56, 60
	v_lshlrev_b32_e32 v54, 20, v54
	v_and_b32_e32 v55, 0x80000000, v55
	v_lshl_add_u32 v30, v30, 23, v56
	v_or3_b32 v30, v55, v30, v54
	v_lshrrev_b32_e32 v54, 16, v30
.LBB884_51:
	s_or_b64 exec, exec, s[10:11]
.LBB884_52:
	s_or_b64 exec, exec, s[8:9]
.LBB884_53:
	s_or_b64 exec, exec, s[2:3]
	s_mov_b32 s2, 0xffffff
	v_cmp_lt_u32_e32 vcc, s2, v31
	s_and_saveexec_b64 s[2:3], vcc
	s_cbranch_execz .LBB884_59
; %bb.54:
	v_lshrrev_b32_e32 v30, 24, v31
	s_movk_i32 s8, 0x80
	v_cmp_ne_u32_e32 vcc, s8, v30
	v_mov_b32_e32 v53, 0xffff8000
	s_and_saveexec_b64 s[8:9], vcc
	s_cbranch_execz .LBB884_58
; %bb.55:
	v_bfe_u32 v31, v31, 24, 7
	s_movk_i32 s10, 0x7f
	v_cmp_ne_u32_e32 vcc, s10, v31
	v_mov_b32_e32 v53, 0x7f80
	s_and_saveexec_b64 s[10:11], vcc
	s_cbranch_execz .LBB884_57
; %bb.56:
	v_and_b32_e32 v53, 7, v30
	v_ffbh_u32_e32 v56, v53
	v_min_u32_e32 v58, 32, v56
	v_subrev_u32_e32 v56, 28, v58
	v_lshlrev_b64 v[56:57], v56, v[30:31]
	v_lshrrev_b32_e32 v55, 3, v31
	v_sub_u32_e32 v57, 29, v58
	v_and_b32_e32 v56, 7, v56
	v_cmp_gt_u32_e32 vcc, 8, v31
	v_cndmask_b32_e32 v31, v55, v57, vcc
	v_cndmask_b32_e32 v53, v53, v56, vcc
	v_lshlrev_b32_e32 v30, 24, v30
	v_bfrev_b32_e32 v55, 60
	v_lshlrev_b32_e32 v53, 20, v53
	v_and_b32_e32 v30, 0x80000000, v30
	v_lshl_add_u32 v31, v31, 23, v55
	v_or3_b32 v30, v30, v31, v53
	v_lshrrev_b32_e32 v53, 16, v30
.LBB884_57:
	s_or_b64 exec, exec, s[10:11]
.LBB884_58:
	s_or_b64 exec, exec, s[8:9]
.LBB884_59:
	s_or_b64 exec, exec, s[2:3]
	s_mov_b32 s2, 0x5040100
	v_perm_b32 v31, v45, v51, s2
	v_perm_b32 v30, v44, v43, s2
	;; [unrolled: 1-line block ×4, first 2 shown]
	v_mov_b32_e32 v51, 0
	s_waitcnt lgkmcnt(0)
	v_mfma_f32_16x16x16bf16_1k v[56:59], v[30:31], v[26:27], 0
	v_mov_b32_e32 v31, 0
	v_cmp_ne_u16_sdwa s[8:9], v32, v31 src0_sel:BYTE_0 src1_sel:DWORD
	v_mfma_f32_16x16x16bf16_1k v[42:45], v[42:43], v[28:29], v[56:59]
	s_and_saveexec_b64 s[2:3], s[8:9]
	s_cbranch_execz .LBB884_65
; %bb.60:
	s_movk_i32 s8, 0x80
	v_cmp_ne_u16_sdwa s[10:11], v32, s8 src0_sel:BYTE_0 src1_sel:DWORD
	v_mov_b32_e32 v51, 0xffff8000
	s_and_saveexec_b64 s[8:9], s[10:11]
	s_cbranch_execz .LBB884_64
; %bb.61:
	s_movk_i32 s10, 0x7f
	v_and_b32_e32 v30, 0x7f, v32
	v_cmp_ne_u32_e32 vcc, s10, v30
	v_mov_b32_e32 v51, 0x7f80
	s_and_saveexec_b64 s[10:11], vcc
	s_cbranch_execz .LBB884_63
; %bb.62:
	v_and_b32_e32 v51, 7, v32
	v_ffbh_u32_e32 v52, v51
	v_min_u32_e32 v55, 32, v52
	v_subrev_u32_e32 v52, 28, v55
	v_lshlrev_b64 v[52:53], v52, v[32:33]
	v_lshrrev_b32_e32 v54, 3, v30
	v_sub_u32_e32 v53, 29, v55
	v_and_b32_e32 v52, 7, v52
	v_cmp_gt_u32_e32 vcc, 8, v30
	v_cndmask_b32_e32 v30, v54, v53, vcc
	v_cndmask_b32_e32 v51, v51, v52, vcc
	v_lshlrev_b32_e32 v52, 24, v32
	v_bfrev_b32_e32 v53, 60
	v_lshlrev_b32_e32 v51, 20, v51
	v_and_b32_e32 v52, 0x80000000, v52
	v_lshl_add_u32 v30, v30, 23, v53
	v_or3_b32 v30, v52, v30, v51
	v_lshrrev_b32_e32 v51, 16, v30
.LBB884_63:
	s_or_b64 exec, exec, s[10:11]
.LBB884_64:
	s_or_b64 exec, exec, s[8:9]
.LBB884_65:
	s_or_b64 exec, exec, s[2:3]
	v_lshrrev_b16_e32 v30, 8, v32
	v_cmp_ne_u16_e32 vcc, 0, v30
	s_and_saveexec_b64 s[2:3], vcc
	s_cbranch_execz .LBB884_71
; %bb.66:
	s_movk_i32 s8, 0x80
	v_cmp_ne_u16_e32 vcc, s8, v30
	v_mov_b32_e32 v31, 0xffff8000
	s_and_saveexec_b64 s[8:9], vcc
	s_cbranch_execz .LBB884_70
; %bb.67:
	s_movk_i32 s10, 0x7f
	v_and_b32_e32 v52, 0x7f, v30
	v_cmp_ne_u32_e32 vcc, s10, v52
	v_mov_b32_e32 v31, 0x7f80
	s_and_saveexec_b64 s[10:11], vcc
	s_cbranch_execz .LBB884_69
; %bb.68:
	v_and_b32_e32 v53, 7, v30
	v_ffbh_u32_e32 v31, v53
	v_min_u32_e32 v55, 32, v31
	v_subrev_u32_e32 v31, 28, v55
	v_lshlrev_b64 v[30:31], v31, v[30:31]
	v_lshrrev_b32_e32 v54, 3, v52
	v_sub_u32_e32 v31, 29, v55
	v_and_b32_e32 v30, 7, v30
	v_cmp_gt_u32_e32 vcc, 8, v52
	v_cndmask_b32_e32 v31, v54, v31, vcc
	v_cndmask_b32_e32 v30, v53, v30, vcc
	v_lshlrev_b32_e32 v52, 16, v32
	v_bfrev_b32_e32 v53, 60
	v_lshlrev_b32_e32 v30, 20, v30
	v_and_b32_e32 v52, 0x80000000, v52
	v_lshl_add_u32 v31, v31, 23, v53
	v_or3_b32 v30, v52, v31, v30
	v_lshrrev_b32_e32 v31, 16, v30
.LBB884_69:
	s_or_b64 exec, exec, s[10:11]
.LBB884_70:
	s_or_b64 exec, exec, s[8:9]
.LBB884_71:
	s_or_b64 exec, exec, s[2:3]
	s_movk_i32 s2, 0xff
	v_and_b32_sdwa v54, v32, s2 dst_sel:DWORD dst_unused:UNUSED_PAD src0_sel:WORD_1 src1_sel:DWORD
	v_lshrrev_b32_e32 v30, 16, v32
	v_cmp_ne_u16_e32 vcc, 0, v54
	v_mov_b32_e32 v52, 0
	v_mov_b32_e32 v53, 0
	s_and_saveexec_b64 s[2:3], vcc
	s_cbranch_execz .LBB884_77
; %bb.72:
	s_movk_i32 s8, 0x80
	v_cmp_ne_u16_e32 vcc, s8, v54
	v_mov_b32_e32 v53, 0xffff8000
	s_and_saveexec_b64 s[8:9], vcc
	s_cbranch_execz .LBB884_76
; %bb.73:
	v_bfe_u32 v54, v32, 16, 7
	s_movk_i32 s10, 0x7f
	v_cmp_ne_u32_e32 vcc, s10, v54
	v_mov_b32_e32 v53, 0x7f80
	s_and_saveexec_b64 s[10:11], vcc
	s_cbranch_execz .LBB884_75
; %bb.74:
	v_and_b32_e32 v53, 7, v30
	v_ffbh_u32_e32 v56, v53
	v_min_u32_e32 v58, 32, v56
	v_subrev_u32_e32 v56, 28, v58
	v_lshlrev_b64 v[56:57], v56, v[30:31]
	v_lshrrev_b32_e32 v55, 3, v54
	v_sub_u32_e32 v30, 29, v58
	v_and_b32_e32 v56, 7, v56
	v_cmp_gt_u32_e32 vcc, 8, v54
	v_mov_b32_e32 v54, 24
	v_cndmask_b32_e32 v30, v55, v30, vcc
	v_cndmask_b32_e32 v53, v53, v56, vcc
	v_lshlrev_b32_sdwa v54, v54, v32 dst_sel:DWORD dst_unused:UNUSED_PAD src0_sel:DWORD src1_sel:WORD_1
	v_bfrev_b32_e32 v55, 60
	v_lshlrev_b32_e32 v53, 20, v53
	v_and_b32_e32 v54, 0x80000000, v54
	v_lshl_add_u32 v30, v30, 23, v55
	v_or3_b32 v30, v54, v30, v53
	v_lshrrev_b32_e32 v53, 16, v30
.LBB884_75:
	s_or_b64 exec, exec, s[10:11]
.LBB884_76:
	s_or_b64 exec, exec, s[8:9]
.LBB884_77:
	s_or_b64 exec, exec, s[2:3]
	s_mov_b32 s2, 0xffffff
	v_cmp_lt_u32_e32 vcc, s2, v32
	s_and_saveexec_b64 s[2:3], vcc
	s_cbranch_execz .LBB884_83
; %bb.78:
	v_lshrrev_b32_e32 v30, 24, v32
	s_movk_i32 s8, 0x80
	v_cmp_ne_u32_e32 vcc, s8, v30
	v_mov_b32_e32 v52, 0xffff8000
	s_and_saveexec_b64 s[8:9], vcc
	s_cbranch_execz .LBB884_82
; %bb.79:
	v_bfe_u32 v32, v32, 24, 7
	s_movk_i32 s10, 0x7f
	v_cmp_ne_u32_e32 vcc, s10, v32
	v_mov_b32_e32 v52, 0x7f80
	s_and_saveexec_b64 s[10:11], vcc
	s_cbranch_execz .LBB884_81
; %bb.80:
	v_and_b32_e32 v52, 7, v30
	v_ffbh_u32_e32 v54, v52
	v_min_u32_e32 v57, 32, v54
	v_subrev_u32_e32 v54, 28, v57
	v_lshlrev_b64 v[54:55], v54, v[30:31]
	v_lshrrev_b32_e32 v56, 3, v32
	v_sub_u32_e32 v55, 29, v57
	v_and_b32_e32 v54, 7, v54
	v_cmp_gt_u32_e32 vcc, 8, v32
	v_cndmask_b32_e32 v32, v56, v55, vcc
	v_cndmask_b32_e32 v52, v52, v54, vcc
	v_lshlrev_b32_e32 v30, 24, v30
	v_bfrev_b32_e32 v54, 60
	v_lshlrev_b32_e32 v52, 20, v52
	v_and_b32_e32 v30, 0x80000000, v30
	v_lshl_add_u32 v32, v32, 23, v54
	v_or3_b32 v30, v30, v32, v52
	v_lshrrev_b32_e32 v52, 16, v30
.LBB884_81:
	s_or_b64 exec, exec, s[10:11]
.LBB884_82:
	s_or_b64 exec, exec, s[8:9]
.LBB884_83:
	s_or_b64 exec, exec, s[2:3]
	v_mov_b32_e32 v32, 0
	v_cmp_ne_u16_sdwa s[8:9], v33, v32 src0_sel:BYTE_0 src1_sel:DWORD
	v_mov_b32_e32 v54, 0
	s_and_saveexec_b64 s[2:3], s[8:9]
	s_cbranch_execz .LBB884_89
; %bb.84:
	s_movk_i32 s8, 0x80
	v_cmp_ne_u16_sdwa s[10:11], v33, s8 src0_sel:BYTE_0 src1_sel:DWORD
	v_mov_b32_e32 v54, 0xffff8000
	s_and_saveexec_b64 s[8:9], s[10:11]
	s_cbranch_execz .LBB884_88
; %bb.85:
	s_movk_i32 s10, 0x7f
	v_and_b32_e32 v30, 0x7f, v33
	v_cmp_ne_u32_e32 vcc, s10, v30
	v_mov_b32_e32 v54, 0x7f80
	s_and_saveexec_b64 s[10:11], vcc
	s_cbranch_execz .LBB884_87
; %bb.86:
	v_and_b32_e32 v56, 7, v33
	v_ffbh_u32_e32 v55, v56
	v_min_u32_e32 v58, 32, v55
	v_mov_b32_e32 v54, v33
	v_subrev_u32_e32 v55, 28, v58
	v_lshlrev_b64 v[54:55], v55, v[54:55]
	v_lshrrev_b32_e32 v57, 3, v30
	v_sub_u32_e32 v55, 29, v58
	v_and_b32_e32 v54, 7, v54
	v_cmp_gt_u32_e32 vcc, 8, v30
	v_cndmask_b32_e32 v30, v57, v55, vcc
	v_cndmask_b32_e32 v54, v56, v54, vcc
	v_lshlrev_b32_e32 v55, 24, v33
	v_bfrev_b32_e32 v56, 60
	v_lshlrev_b32_e32 v54, 20, v54
	v_and_b32_e32 v55, 0x80000000, v55
	v_lshl_add_u32 v30, v30, 23, v56
	v_or3_b32 v30, v55, v30, v54
	v_lshrrev_b32_e32 v54, 16, v30
.LBB884_87:
	s_or_b64 exec, exec, s[10:11]
.LBB884_88:
	s_or_b64 exec, exec, s[8:9]
.LBB884_89:
	s_or_b64 exec, exec, s[2:3]
	v_lshrrev_b16_e32 v30, 8, v33
	v_cmp_ne_u16_e32 vcc, 0, v30
	s_and_saveexec_b64 s[2:3], vcc
	s_cbranch_execz .LBB884_95
; %bb.90:
	s_movk_i32 s8, 0x80
	v_cmp_ne_u16_e32 vcc, s8, v30
	v_mov_b32_e32 v32, 0xffff8000
	s_and_saveexec_b64 s[8:9], vcc
	s_cbranch_execz .LBB884_94
; %bb.91:
	s_movk_i32 s10, 0x7f
	v_and_b32_e32 v55, 0x7f, v30
	v_cmp_ne_u32_e32 vcc, s10, v55
	v_mov_b32_e32 v32, 0x7f80
	s_and_saveexec_b64 s[10:11], vcc
	s_cbranch_execz .LBB884_93
; %bb.92:
	v_and_b32_e32 v32, 7, v30
	v_ffbh_u32_e32 v56, v32
	v_min_u32_e32 v59, 32, v56
	v_subrev_u32_e32 v56, 28, v59
	v_lshlrev_b64 v[56:57], v56, v[30:31]
	v_lshrrev_b32_e32 v58, 3, v55
	v_sub_u32_e32 v30, 29, v59
	v_and_b32_e32 v56, 7, v56
	v_cmp_gt_u32_e32 vcc, 8, v55
	v_cndmask_b32_e32 v30, v58, v30, vcc
	v_cndmask_b32_e32 v32, v32, v56, vcc
	v_lshlrev_b32_e32 v55, 16, v33
	v_bfrev_b32_e32 v56, 60
	v_lshlrev_b32_e32 v32, 20, v32
	v_and_b32_e32 v55, 0x80000000, v55
	v_lshl_add_u32 v30, v30, 23, v56
	v_or3_b32 v30, v55, v30, v32
	v_lshrrev_b32_e32 v32, 16, v30
.LBB884_93:
	s_or_b64 exec, exec, s[10:11]
.LBB884_94:
	s_or_b64 exec, exec, s[8:9]
.LBB884_95:
	s_or_b64 exec, exec, s[2:3]
	s_movk_i32 s2, 0xff
	v_and_b32_sdwa v57, v33, s2 dst_sel:DWORD dst_unused:UNUSED_PAD src0_sel:WORD_1 src1_sel:DWORD
	v_lshrrev_b32_e32 v30, 16, v33
	v_cmp_ne_u16_e32 vcc, 0, v57
	v_mov_b32_e32 v55, 0
	v_mov_b32_e32 v56, 0
	s_and_saveexec_b64 s[2:3], vcc
	s_cbranch_execz .LBB884_101
; %bb.96:
	s_movk_i32 s8, 0x80
	v_cmp_ne_u16_e32 vcc, s8, v57
	v_mov_b32_e32 v56, 0xffff8000
	s_and_saveexec_b64 s[8:9], vcc
	s_cbranch_execz .LBB884_100
; %bb.97:
	v_bfe_u32 v57, v33, 16, 7
	s_movk_i32 s10, 0x7f
	v_cmp_ne_u32_e32 vcc, s10, v57
	v_mov_b32_e32 v56, 0x7f80
	s_and_saveexec_b64 s[10:11], vcc
	s_cbranch_execz .LBB884_99
; %bb.98:
	v_and_b32_e32 v56, 7, v30
	v_ffbh_u32_e32 v58, v56
	v_min_u32_e32 v61, 32, v58
	v_subrev_u32_e32 v58, 28, v61
	v_lshlrev_b64 v[58:59], v58, v[30:31]
	v_lshrrev_b32_e32 v60, 3, v57
	v_sub_u32_e32 v30, 29, v61
	v_and_b32_e32 v58, 7, v58
	v_cmp_gt_u32_e32 vcc, 8, v57
	v_mov_b32_e32 v57, 24
	v_cndmask_b32_e32 v30, v60, v30, vcc
	v_cndmask_b32_e32 v56, v56, v58, vcc
	v_lshlrev_b32_sdwa v57, v57, v33 dst_sel:DWORD dst_unused:UNUSED_PAD src0_sel:DWORD src1_sel:WORD_1
	v_bfrev_b32_e32 v58, 60
	v_lshlrev_b32_e32 v56, 20, v56
	v_and_b32_e32 v57, 0x80000000, v57
	v_lshl_add_u32 v30, v30, 23, v58
	v_or3_b32 v30, v57, v30, v56
	v_lshrrev_b32_e32 v56, 16, v30
.LBB884_99:
	s_or_b64 exec, exec, s[10:11]
.LBB884_100:
	s_or_b64 exec, exec, s[8:9]
.LBB884_101:
	s_or_b64 exec, exec, s[2:3]
	s_mov_b32 s2, 0xffffff
	v_cmp_lt_u32_e32 vcc, s2, v33
	s_and_saveexec_b64 s[2:3], vcc
	s_cbranch_execz .LBB884_107
; %bb.102:
	v_lshrrev_b32_e32 v30, 24, v33
	s_movk_i32 s8, 0x80
	v_cmp_ne_u32_e32 vcc, s8, v30
	v_mov_b32_e32 v55, 0xffff8000
	s_and_saveexec_b64 s[8:9], vcc
	s_cbranch_execz .LBB884_106
; %bb.103:
	v_bfe_u32 v33, v33, 24, 7
	s_movk_i32 s10, 0x7f
	v_cmp_ne_u32_e32 vcc, s10, v33
	v_mov_b32_e32 v55, 0x7f80
	s_and_saveexec_b64 s[10:11], vcc
	s_cbranch_execz .LBB884_105
; %bb.104:
	v_and_b32_e32 v55, 7, v30
	v_ffbh_u32_e32 v58, v55
	v_min_u32_e32 v60, 32, v58
	v_subrev_u32_e32 v58, 28, v60
	v_lshlrev_b64 v[58:59], v58, v[30:31]
	v_lshrrev_b32_e32 v57, 3, v33
	v_sub_u32_e32 v59, 29, v60
	v_and_b32_e32 v58, 7, v58
	v_cmp_gt_u32_e32 vcc, 8, v33
	v_cndmask_b32_e32 v33, v57, v59, vcc
	v_cndmask_b32_e32 v55, v55, v58, vcc
	v_lshlrev_b32_e32 v30, 24, v30
	v_bfrev_b32_e32 v57, 60
	v_lshlrev_b32_e32 v55, 20, v55
	v_and_b32_e32 v30, 0x80000000, v30
	v_lshl_add_u32 v33, v33, 23, v57
	v_or3_b32 v30, v30, v33, v55
	v_lshrrev_b32_e32 v55, 16, v30
.LBB884_105:
	s_or_b64 exec, exec, s[10:11]
.LBB884_106:
	s_or_b64 exec, exec, s[8:9]
.LBB884_107:
	s_or_b64 exec, exec, s[2:3]
	s_mov_b32 s2, 0x5040100
	v_perm_b32 v53, v52, v53, s2
	v_perm_b32 v52, v31, v51, s2
	;; [unrolled: 1-line block ×4, first 2 shown]
	v_mfma_f32_16x16x16bf16_1k v[58:61], v[52:53], v[18:19], v[42:45]
	s_nop 6
	v_mov_b32_e32 v43, 0
	s_waitcnt vmcnt(6)
	v_cmp_ne_u16_sdwa s[8:9], v38, v43 src0_sel:BYTE_0 src1_sel:DWORD
	v_mfma_f32_16x16x16bf16_1k v[30:33], v[30:31], v[20:21], v[58:61]
	v_mov_b32_e32 v44, 0
	s_and_saveexec_b64 s[2:3], s[8:9]
	s_cbranch_execz .LBB884_113
; %bb.108:
	s_movk_i32 s8, 0x80
	v_cmp_ne_u16_sdwa s[10:11], v38, s8 src0_sel:BYTE_0 src1_sel:DWORD
	v_mov_b32_e32 v44, 0xffff8000
	s_and_saveexec_b64 s[8:9], s[10:11]
	s_cbranch_execz .LBB884_112
; %bb.109:
	s_movk_i32 s10, 0x7f
	v_and_b32_e32 v42, 0x7f, v38
	v_cmp_ne_u32_e32 vcc, s10, v42
	v_mov_b32_e32 v44, 0x7f80
	s_and_saveexec_b64 s[10:11], vcc
	s_cbranch_execz .LBB884_111
; %bb.110:
	v_and_b32_e32 v51, 7, v38
	v_ffbh_u32_e32 v44, v51
	v_min_u32_e32 v53, 32, v44
	v_subrev_u32_e32 v44, 28, v53
	v_lshlrev_b64 v[44:45], v44, v[38:39]
	v_lshrrev_b32_e32 v52, 3, v42
	v_sub_u32_e32 v45, 29, v53
	v_and_b32_e32 v44, 7, v44
	v_cmp_gt_u32_e32 vcc, 8, v42
	v_cndmask_b32_e32 v42, v52, v45, vcc
	v_cndmask_b32_e32 v44, v51, v44, vcc
	v_lshlrev_b32_e32 v45, 24, v38
	v_bfrev_b32_e32 v51, 60
	v_lshlrev_b32_e32 v44, 20, v44
	v_and_b32_e32 v45, 0x80000000, v45
	v_lshl_add_u32 v42, v42, 23, v51
	v_or3_b32 v42, v45, v42, v44
	v_lshrrev_b32_e32 v44, 16, v42
.LBB884_111:
	s_or_b64 exec, exec, s[10:11]
.LBB884_112:
	s_or_b64 exec, exec, s[8:9]
.LBB884_113:
	s_or_b64 exec, exec, s[2:3]
	v_lshrrev_b16_e32 v42, 8, v38
	v_cmp_ne_u16_e32 vcc, 0, v42
	s_and_saveexec_b64 s[2:3], vcc
	s_cbranch_execz .LBB884_119
; %bb.114:
	s_movk_i32 s8, 0x80
	v_cmp_ne_u16_e32 vcc, s8, v42
	v_mov_b32_e32 v43, 0xffff8000
	s_and_saveexec_b64 s[8:9], vcc
	s_cbranch_execz .LBB884_118
; %bb.115:
	s_movk_i32 s10, 0x7f
	v_and_b32_e32 v45, 0x7f, v42
	v_cmp_ne_u32_e32 vcc, s10, v45
	v_mov_b32_e32 v43, 0x7f80
	s_and_saveexec_b64 s[10:11], vcc
	s_cbranch_execz .LBB884_117
; %bb.116:
	v_and_b32_e32 v51, 7, v42
	v_ffbh_u32_e32 v43, v51
	v_min_u32_e32 v53, 32, v43
	v_subrev_u32_e32 v43, 28, v53
	v_lshlrev_b64 v[42:43], v43, v[42:43]
	v_lshrrev_b32_e32 v52, 3, v45
	v_sub_u32_e32 v43, 29, v53
	v_and_b32_e32 v42, 7, v42
	v_cmp_gt_u32_e32 vcc, 8, v45
	v_cndmask_b32_e32 v43, v52, v43, vcc
	v_cndmask_b32_e32 v42, v51, v42, vcc
	v_lshlrev_b32_e32 v45, 16, v38
	v_bfrev_b32_e32 v51, 60
	v_lshlrev_b32_e32 v42, 20, v42
	v_and_b32_e32 v45, 0x80000000, v45
	v_lshl_add_u32 v43, v43, 23, v51
	v_or3_b32 v42, v45, v43, v42
	v_lshrrev_b32_e32 v43, 16, v42
.LBB884_117:
	s_or_b64 exec, exec, s[10:11]
.LBB884_118:
	s_or_b64 exec, exec, s[8:9]
.LBB884_119:
	s_or_b64 exec, exec, s[2:3]
	s_movk_i32 s2, 0xff
	v_and_b32_sdwa v52, v38, s2 dst_sel:DWORD dst_unused:UNUSED_PAD src0_sel:WORD_1 src1_sel:DWORD
	v_lshrrev_b32_e32 v42, 16, v38
	v_cmp_ne_u16_e32 vcc, 0, v52
	v_mov_b32_e32 v45, 0
	v_mov_b32_e32 v51, 0
	s_and_saveexec_b64 s[2:3], vcc
	s_cbranch_execz .LBB884_125
; %bb.120:
	s_movk_i32 s8, 0x80
	v_cmp_ne_u16_e32 vcc, s8, v52
	v_mov_b32_e32 v51, 0xffff8000
	s_and_saveexec_b64 s[8:9], vcc
	s_cbranch_execz .LBB884_124
; %bb.121:
	v_bfe_u32 v52, v38, 16, 7
	s_movk_i32 s10, 0x7f
	v_cmp_ne_u32_e32 vcc, s10, v52
	v_mov_b32_e32 v51, 0x7f80
	s_and_saveexec_b64 s[10:11], vcc
	s_cbranch_execz .LBB884_123
; %bb.122:
	v_and_b32_e32 v51, 7, v42
	v_ffbh_u32_e32 v54, v51
	v_min_u32_e32 v56, 32, v54
	v_subrev_u32_e32 v54, 28, v56
	v_lshlrev_b64 v[54:55], v54, v[42:43]
	v_lshrrev_b32_e32 v53, 3, v52
	v_sub_u32_e32 v42, 29, v56
	v_and_b32_e32 v54, 7, v54
	v_cmp_gt_u32_e32 vcc, 8, v52
	v_mov_b32_e32 v52, 24
	v_cndmask_b32_e32 v42, v53, v42, vcc
	v_cndmask_b32_e32 v51, v51, v54, vcc
	v_lshlrev_b32_sdwa v52, v52, v38 dst_sel:DWORD dst_unused:UNUSED_PAD src0_sel:DWORD src1_sel:WORD_1
	v_bfrev_b32_e32 v53, 60
	v_lshlrev_b32_e32 v51, 20, v51
	v_and_b32_e32 v52, 0x80000000, v52
	v_lshl_add_u32 v42, v42, 23, v53
	v_or3_b32 v42, v52, v42, v51
	v_lshrrev_b32_e32 v51, 16, v42
.LBB884_123:
	s_or_b64 exec, exec, s[10:11]
.LBB884_124:
	s_or_b64 exec, exec, s[8:9]
.LBB884_125:
	s_or_b64 exec, exec, s[2:3]
	s_mov_b32 s2, 0xffffff
	v_cmp_lt_u32_e32 vcc, s2, v38
	s_and_saveexec_b64 s[2:3], vcc
	s_cbranch_execz .LBB884_131
; %bb.126:
	v_lshrrev_b32_e32 v42, 24, v38
	s_movk_i32 s8, 0x80
	v_cmp_ne_u32_e32 vcc, s8, v42
	v_mov_b32_e32 v45, 0xffff8000
	s_and_saveexec_b64 s[8:9], vcc
	s_cbranch_execz .LBB884_130
; %bb.127:
	v_bfe_u32 v38, v38, 24, 7
	s_movk_i32 s10, 0x7f
	v_cmp_ne_u32_e32 vcc, s10, v38
	v_mov_b32_e32 v45, 0x7f80
	s_and_saveexec_b64 s[10:11], vcc
	s_cbranch_execz .LBB884_129
; %bb.128:
	v_and_b32_e32 v45, 7, v42
	v_ffbh_u32_e32 v52, v45
	v_min_u32_e32 v55, 32, v52
	v_subrev_u32_e32 v52, 28, v55
	v_lshlrev_b64 v[52:53], v52, v[42:43]
	v_lshrrev_b32_e32 v54, 3, v38
	v_sub_u32_e32 v53, 29, v55
	v_and_b32_e32 v52, 7, v52
	v_cmp_gt_u32_e32 vcc, 8, v38
	v_cndmask_b32_e32 v38, v54, v53, vcc
	v_cndmask_b32_e32 v45, v45, v52, vcc
	v_lshlrev_b32_e32 v42, 24, v42
	v_bfrev_b32_e32 v52, 60
	v_lshlrev_b32_e32 v45, 20, v45
	v_and_b32_e32 v42, 0x80000000, v42
	v_lshl_add_u32 v38, v38, 23, v52
	v_or3_b32 v38, v42, v38, v45
	v_lshrrev_b32_e32 v45, 16, v38
.LBB884_129:
	s_or_b64 exec, exec, s[10:11]
.LBB884_130:
	s_or_b64 exec, exec, s[8:9]
.LBB884_131:
	s_or_b64 exec, exec, s[2:3]
	v_mov_b32_e32 v42, 0
	v_cmp_ne_u16_sdwa s[8:9], v39, v42 src0_sel:BYTE_0 src1_sel:DWORD
	v_mov_b32_e32 v52, 0
	s_and_saveexec_b64 s[2:3], s[8:9]
	s_cbranch_execz .LBB884_137
; %bb.132:
	s_movk_i32 s8, 0x80
	v_cmp_ne_u16_sdwa s[10:11], v39, s8 src0_sel:BYTE_0 src1_sel:DWORD
	v_mov_b32_e32 v52, 0xffff8000
	s_and_saveexec_b64 s[8:9], s[10:11]
	s_cbranch_execz .LBB884_136
; %bb.133:
	s_movk_i32 s10, 0x7f
	v_and_b32_e32 v38, 0x7f, v39
	v_cmp_ne_u32_e32 vcc, s10, v38
	v_mov_b32_e32 v52, 0x7f80
	s_and_saveexec_b64 s[10:11], vcc
	s_cbranch_execz .LBB884_135
; %bb.134:
	v_and_b32_e32 v54, 7, v39
	v_ffbh_u32_e32 v53, v54
	v_min_u32_e32 v56, 32, v53
	v_mov_b32_e32 v52, v39
	v_subrev_u32_e32 v53, 28, v56
	v_lshlrev_b64 v[52:53], v53, v[52:53]
	v_lshrrev_b32_e32 v55, 3, v38
	v_sub_u32_e32 v53, 29, v56
	v_and_b32_e32 v52, 7, v52
	v_cmp_gt_u32_e32 vcc, 8, v38
	v_cndmask_b32_e32 v38, v55, v53, vcc
	v_cndmask_b32_e32 v52, v54, v52, vcc
	v_lshlrev_b32_e32 v53, 24, v39
	v_bfrev_b32_e32 v54, 60
	v_lshlrev_b32_e32 v52, 20, v52
	v_and_b32_e32 v53, 0x80000000, v53
	v_lshl_add_u32 v38, v38, 23, v54
	v_or3_b32 v38, v53, v38, v52
	v_lshrrev_b32_e32 v52, 16, v38
.LBB884_135:
	s_or_b64 exec, exec, s[10:11]
.LBB884_136:
	s_or_b64 exec, exec, s[8:9]
.LBB884_137:
	s_or_b64 exec, exec, s[2:3]
	v_lshrrev_b16_e32 v38, 8, v39
	v_cmp_ne_u16_e32 vcc, 0, v38
	s_and_saveexec_b64 s[2:3], vcc
	s_cbranch_execz .LBB884_143
; %bb.138:
	s_movk_i32 s8, 0x80
	v_cmp_ne_u16_e32 vcc, s8, v38
	v_mov_b32_e32 v42, 0xffff8000
	s_and_saveexec_b64 s[8:9], vcc
	s_cbranch_execz .LBB884_142
; %bb.139:
	s_movk_i32 s10, 0x7f
	v_and_b32_e32 v53, 0x7f, v38
	v_cmp_ne_u32_e32 vcc, s10, v53
	v_mov_b32_e32 v42, 0x7f80
	s_and_saveexec_b64 s[10:11], vcc
	s_cbranch_execz .LBB884_141
; %bb.140:
	v_and_b32_e32 v42, 7, v38
	v_ffbh_u32_e32 v54, v42
	v_min_u32_e32 v57, 32, v54
	v_subrev_u32_e32 v54, 28, v57
	v_lshlrev_b64 v[54:55], v54, v[38:39]
	v_lshrrev_b32_e32 v56, 3, v53
	v_sub_u32_e32 v38, 29, v57
	v_and_b32_e32 v54, 7, v54
	v_cmp_gt_u32_e32 vcc, 8, v53
	v_cndmask_b32_e32 v38, v56, v38, vcc
	v_cndmask_b32_e32 v42, v42, v54, vcc
	v_lshlrev_b32_e32 v53, 16, v39
	v_bfrev_b32_e32 v54, 60
	v_lshlrev_b32_e32 v42, 20, v42
	v_and_b32_e32 v53, 0x80000000, v53
	v_lshl_add_u32 v38, v38, 23, v54
	v_or3_b32 v38, v53, v38, v42
	v_lshrrev_b32_e32 v42, 16, v38
.LBB884_141:
	s_or_b64 exec, exec, s[10:11]
.LBB884_142:
	s_or_b64 exec, exec, s[8:9]
.LBB884_143:
	s_or_b64 exec, exec, s[2:3]
	s_movk_i32 s2, 0xff
	v_and_b32_sdwa v55, v39, s2 dst_sel:DWORD dst_unused:UNUSED_PAD src0_sel:WORD_1 src1_sel:DWORD
	v_lshrrev_b32_e32 v38, 16, v39
	v_cmp_ne_u16_e32 vcc, 0, v55
	v_mov_b32_e32 v53, 0
	v_mov_b32_e32 v54, 0
	s_and_saveexec_b64 s[2:3], vcc
	s_cbranch_execz .LBB884_149
; %bb.144:
	s_movk_i32 s8, 0x80
	v_cmp_ne_u16_e32 vcc, s8, v55
	v_mov_b32_e32 v54, 0xffff8000
	s_and_saveexec_b64 s[8:9], vcc
	s_cbranch_execz .LBB884_148
; %bb.145:
	v_bfe_u32 v55, v39, 16, 7
	s_movk_i32 s10, 0x7f
	v_cmp_ne_u32_e32 vcc, s10, v55
	v_mov_b32_e32 v54, 0x7f80
	s_and_saveexec_b64 s[10:11], vcc
	s_cbranch_execz .LBB884_147
; %bb.146:
	v_and_b32_e32 v54, 7, v38
	v_ffbh_u32_e32 v56, v54
	v_min_u32_e32 v59, 32, v56
	v_subrev_u32_e32 v56, 28, v59
	v_lshlrev_b64 v[56:57], v56, v[38:39]
	v_lshrrev_b32_e32 v58, 3, v55
	v_sub_u32_e32 v38, 29, v59
	v_and_b32_e32 v56, 7, v56
	v_cmp_gt_u32_e32 vcc, 8, v55
	v_mov_b32_e32 v55, 24
	v_cndmask_b32_e32 v38, v58, v38, vcc
	v_cndmask_b32_e32 v54, v54, v56, vcc
	v_lshlrev_b32_sdwa v55, v55, v39 dst_sel:DWORD dst_unused:UNUSED_PAD src0_sel:DWORD src1_sel:WORD_1
	v_bfrev_b32_e32 v56, 60
	v_lshlrev_b32_e32 v54, 20, v54
	v_and_b32_e32 v55, 0x80000000, v55
	v_lshl_add_u32 v38, v38, 23, v56
	v_or3_b32 v38, v55, v38, v54
	v_lshrrev_b32_e32 v54, 16, v38
.LBB884_147:
	s_or_b64 exec, exec, s[10:11]
.LBB884_148:
	s_or_b64 exec, exec, s[8:9]
.LBB884_149:
	s_or_b64 exec, exec, s[2:3]
	s_mov_b32 s2, 0xffffff
	v_cmp_lt_u32_e32 vcc, s2, v39
	s_and_saveexec_b64 s[2:3], vcc
	s_cbranch_execz .LBB884_155
; %bb.150:
	v_lshrrev_b32_e32 v38, 24, v39
	s_movk_i32 s8, 0x80
	v_cmp_ne_u32_e32 vcc, s8, v38
	v_mov_b32_e32 v53, 0xffff8000
	s_and_saveexec_b64 s[8:9], vcc
	s_cbranch_execz .LBB884_154
; %bb.151:
	v_bfe_u32 v39, v39, 24, 7
	s_movk_i32 s10, 0x7f
	v_cmp_ne_u32_e32 vcc, s10, v39
	v_mov_b32_e32 v53, 0x7f80
	s_and_saveexec_b64 s[10:11], vcc
	s_cbranch_execz .LBB884_153
; %bb.152:
	v_and_b32_e32 v53, 7, v38
	v_ffbh_u32_e32 v56, v53
	v_min_u32_e32 v58, 32, v56
	v_subrev_u32_e32 v56, 28, v58
	v_lshlrev_b64 v[56:57], v56, v[38:39]
	v_lshrrev_b32_e32 v55, 3, v39
	v_sub_u32_e32 v57, 29, v58
	v_and_b32_e32 v56, 7, v56
	v_cmp_gt_u32_e32 vcc, 8, v39
	v_cndmask_b32_e32 v39, v55, v57, vcc
	v_cndmask_b32_e32 v53, v53, v56, vcc
	v_lshlrev_b32_e32 v38, 24, v38
	v_bfrev_b32_e32 v55, 60
	v_lshlrev_b32_e32 v53, 20, v53
	v_and_b32_e32 v38, 0x80000000, v38
	v_lshl_add_u32 v39, v39, 23, v55
	v_or3_b32 v38, v38, v39, v53
	v_lshrrev_b32_e32 v53, 16, v38
.LBB884_153:
	s_or_b64 exec, exec, s[10:11]
.LBB884_154:
	s_or_b64 exec, exec, s[8:9]
.LBB884_155:
	s_or_b64 exec, exec, s[2:3]
	s_mov_b32 s2, 0x5040100
	v_perm_b32 v39, v45, v51, s2
	v_perm_b32 v38, v43, v44, s2
	;; [unrolled: 1-line block ×4, first 2 shown]
	v_mov_b32_e32 v51, 0
	v_mfma_f32_16x16x16bf16_1k v[56:59], v[38:39], v[26:27], 0
	v_mov_b32_e32 v39, 0
	v_cmp_ne_u16_sdwa s[8:9], v40, v39 src0_sel:BYTE_0 src1_sel:DWORD
	v_mfma_f32_16x16x16bf16_1k v[42:45], v[42:43], v[28:29], v[56:59]
	s_and_saveexec_b64 s[2:3], s[8:9]
	s_cbranch_execz .LBB884_161
; %bb.156:
	s_movk_i32 s8, 0x80
	v_cmp_ne_u16_sdwa s[10:11], v40, s8 src0_sel:BYTE_0 src1_sel:DWORD
	v_mov_b32_e32 v51, 0xffff8000
	s_and_saveexec_b64 s[8:9], s[10:11]
	s_cbranch_execz .LBB884_160
; %bb.157:
	s_movk_i32 s10, 0x7f
	v_and_b32_e32 v38, 0x7f, v40
	v_cmp_ne_u32_e32 vcc, s10, v38
	v_mov_b32_e32 v51, 0x7f80
	s_and_saveexec_b64 s[10:11], vcc
	s_cbranch_execz .LBB884_159
; %bb.158:
	v_and_b32_e32 v51, 7, v40
	v_ffbh_u32_e32 v52, v51
	v_min_u32_e32 v55, 32, v52
	v_subrev_u32_e32 v52, 28, v55
	v_lshlrev_b64 v[52:53], v52, v[40:41]
	v_lshrrev_b32_e32 v54, 3, v38
	v_sub_u32_e32 v53, 29, v55
	v_and_b32_e32 v52, 7, v52
	v_cmp_gt_u32_e32 vcc, 8, v38
	v_cndmask_b32_e32 v38, v54, v53, vcc
	v_cndmask_b32_e32 v51, v51, v52, vcc
	v_lshlrev_b32_e32 v52, 24, v40
	v_bfrev_b32_e32 v53, 60
	v_lshlrev_b32_e32 v51, 20, v51
	v_and_b32_e32 v52, 0x80000000, v52
	v_lshl_add_u32 v38, v38, 23, v53
	v_or3_b32 v38, v52, v38, v51
	v_lshrrev_b32_e32 v51, 16, v38
.LBB884_159:
	s_or_b64 exec, exec, s[10:11]
.LBB884_160:
	s_or_b64 exec, exec, s[8:9]
.LBB884_161:
	s_or_b64 exec, exec, s[2:3]
	v_lshrrev_b16_e32 v38, 8, v40
	v_cmp_ne_u16_e32 vcc, 0, v38
	s_and_saveexec_b64 s[2:3], vcc
	s_cbranch_execz .LBB884_167
; %bb.162:
	s_movk_i32 s8, 0x80
	v_cmp_ne_u16_e32 vcc, s8, v38
	v_mov_b32_e32 v39, 0xffff8000
	s_and_saveexec_b64 s[8:9], vcc
	s_cbranch_execz .LBB884_166
; %bb.163:
	s_movk_i32 s10, 0x7f
	v_and_b32_e32 v52, 0x7f, v38
	v_cmp_ne_u32_e32 vcc, s10, v52
	v_mov_b32_e32 v39, 0x7f80
	s_and_saveexec_b64 s[10:11], vcc
	s_cbranch_execz .LBB884_165
; %bb.164:
	v_and_b32_e32 v53, 7, v38
	v_ffbh_u32_e32 v39, v53
	v_min_u32_e32 v55, 32, v39
	v_subrev_u32_e32 v39, 28, v55
	v_lshlrev_b64 v[38:39], v39, v[38:39]
	v_lshrrev_b32_e32 v54, 3, v52
	v_sub_u32_e32 v39, 29, v55
	v_and_b32_e32 v38, 7, v38
	v_cmp_gt_u32_e32 vcc, 8, v52
	v_cndmask_b32_e32 v39, v54, v39, vcc
	v_cndmask_b32_e32 v38, v53, v38, vcc
	v_lshlrev_b32_e32 v52, 16, v40
	v_bfrev_b32_e32 v53, 60
	v_lshlrev_b32_e32 v38, 20, v38
	v_and_b32_e32 v52, 0x80000000, v52
	v_lshl_add_u32 v39, v39, 23, v53
	v_or3_b32 v38, v52, v39, v38
	v_lshrrev_b32_e32 v39, 16, v38
.LBB884_165:
	s_or_b64 exec, exec, s[10:11]
.LBB884_166:
	s_or_b64 exec, exec, s[8:9]
.LBB884_167:
	s_or_b64 exec, exec, s[2:3]
	s_movk_i32 s2, 0xff
	v_and_b32_sdwa v54, v40, s2 dst_sel:DWORD dst_unused:UNUSED_PAD src0_sel:WORD_1 src1_sel:DWORD
	v_lshrrev_b32_e32 v38, 16, v40
	v_cmp_ne_u16_e32 vcc, 0, v54
	v_mov_b32_e32 v52, 0
	v_mov_b32_e32 v53, 0
	s_and_saveexec_b64 s[2:3], vcc
	s_cbranch_execz .LBB884_173
; %bb.168:
	s_movk_i32 s8, 0x80
	v_cmp_ne_u16_e32 vcc, s8, v54
	v_mov_b32_e32 v53, 0xffff8000
	s_and_saveexec_b64 s[8:9], vcc
	s_cbranch_execz .LBB884_172
; %bb.169:
	v_bfe_u32 v54, v40, 16, 7
	s_movk_i32 s10, 0x7f
	v_cmp_ne_u32_e32 vcc, s10, v54
	v_mov_b32_e32 v53, 0x7f80
	s_and_saveexec_b64 s[10:11], vcc
	s_cbranch_execz .LBB884_171
; %bb.170:
	v_and_b32_e32 v53, 7, v38
	v_ffbh_u32_e32 v56, v53
	v_min_u32_e32 v58, 32, v56
	v_subrev_u32_e32 v56, 28, v58
	v_lshlrev_b64 v[56:57], v56, v[38:39]
	v_lshrrev_b32_e32 v55, 3, v54
	v_sub_u32_e32 v38, 29, v58
	v_and_b32_e32 v56, 7, v56
	v_cmp_gt_u32_e32 vcc, 8, v54
	v_mov_b32_e32 v54, 24
	v_cndmask_b32_e32 v38, v55, v38, vcc
	v_cndmask_b32_e32 v53, v53, v56, vcc
	v_lshlrev_b32_sdwa v54, v54, v40 dst_sel:DWORD dst_unused:UNUSED_PAD src0_sel:DWORD src1_sel:WORD_1
	v_bfrev_b32_e32 v55, 60
	v_lshlrev_b32_e32 v53, 20, v53
	v_and_b32_e32 v54, 0x80000000, v54
	v_lshl_add_u32 v38, v38, 23, v55
	v_or3_b32 v38, v54, v38, v53
	v_lshrrev_b32_e32 v53, 16, v38
.LBB884_171:
	s_or_b64 exec, exec, s[10:11]
.LBB884_172:
	s_or_b64 exec, exec, s[8:9]
.LBB884_173:
	s_or_b64 exec, exec, s[2:3]
	s_mov_b32 s2, 0xffffff
	v_cmp_lt_u32_e32 vcc, s2, v40
	s_and_saveexec_b64 s[2:3], vcc
	s_cbranch_execz .LBB884_179
; %bb.174:
	v_lshrrev_b32_e32 v38, 24, v40
	s_movk_i32 s8, 0x80
	v_cmp_ne_u32_e32 vcc, s8, v38
	v_mov_b32_e32 v52, 0xffff8000
	s_and_saveexec_b64 s[8:9], vcc
	s_cbranch_execz .LBB884_178
; %bb.175:
	v_bfe_u32 v40, v40, 24, 7
	s_movk_i32 s10, 0x7f
	v_cmp_ne_u32_e32 vcc, s10, v40
	v_mov_b32_e32 v52, 0x7f80
	s_and_saveexec_b64 s[10:11], vcc
	s_cbranch_execz .LBB884_177
; %bb.176:
	v_and_b32_e32 v52, 7, v38
	v_ffbh_u32_e32 v54, v52
	v_min_u32_e32 v57, 32, v54
	v_subrev_u32_e32 v54, 28, v57
	v_lshlrev_b64 v[54:55], v54, v[38:39]
	v_lshrrev_b32_e32 v56, 3, v40
	v_sub_u32_e32 v55, 29, v57
	v_and_b32_e32 v54, 7, v54
	v_cmp_gt_u32_e32 vcc, 8, v40
	v_cndmask_b32_e32 v40, v56, v55, vcc
	v_cndmask_b32_e32 v52, v52, v54, vcc
	v_lshlrev_b32_e32 v38, 24, v38
	v_bfrev_b32_e32 v54, 60
	v_lshlrev_b32_e32 v52, 20, v52
	v_and_b32_e32 v38, 0x80000000, v38
	v_lshl_add_u32 v40, v40, 23, v54
	v_or3_b32 v38, v38, v40, v52
	v_lshrrev_b32_e32 v52, 16, v38
.LBB884_177:
	s_or_b64 exec, exec, s[10:11]
.LBB884_178:
	s_or_b64 exec, exec, s[8:9]
.LBB884_179:
	s_or_b64 exec, exec, s[2:3]
	v_mov_b32_e32 v40, 0
	v_cmp_ne_u16_sdwa s[8:9], v41, v40 src0_sel:BYTE_0 src1_sel:DWORD
	v_mov_b32_e32 v54, 0
	s_and_saveexec_b64 s[2:3], s[8:9]
	s_cbranch_execz .LBB884_185
; %bb.180:
	s_movk_i32 s8, 0x80
	v_cmp_ne_u16_sdwa s[10:11], v41, s8 src0_sel:BYTE_0 src1_sel:DWORD
	v_mov_b32_e32 v54, 0xffff8000
	s_and_saveexec_b64 s[8:9], s[10:11]
	s_cbranch_execz .LBB884_184
; %bb.181:
	s_movk_i32 s10, 0x7f
	v_and_b32_e32 v38, 0x7f, v41
	v_cmp_ne_u32_e32 vcc, s10, v38
	v_mov_b32_e32 v54, 0x7f80
	s_and_saveexec_b64 s[10:11], vcc
	s_cbranch_execz .LBB884_183
; %bb.182:
	v_and_b32_e32 v56, 7, v41
	v_ffbh_u32_e32 v55, v56
	v_min_u32_e32 v58, 32, v55
	v_mov_b32_e32 v54, v41
	v_subrev_u32_e32 v55, 28, v58
	v_lshlrev_b64 v[54:55], v55, v[54:55]
	v_lshrrev_b32_e32 v57, 3, v38
	v_sub_u32_e32 v55, 29, v58
	v_and_b32_e32 v54, 7, v54
	v_cmp_gt_u32_e32 vcc, 8, v38
	v_cndmask_b32_e32 v38, v57, v55, vcc
	v_cndmask_b32_e32 v54, v56, v54, vcc
	v_lshlrev_b32_e32 v55, 24, v41
	v_bfrev_b32_e32 v56, 60
	v_lshlrev_b32_e32 v54, 20, v54
	v_and_b32_e32 v55, 0x80000000, v55
	v_lshl_add_u32 v38, v38, 23, v56
	v_or3_b32 v38, v55, v38, v54
	v_lshrrev_b32_e32 v54, 16, v38
.LBB884_183:
	s_or_b64 exec, exec, s[10:11]
.LBB884_184:
	s_or_b64 exec, exec, s[8:9]
.LBB884_185:
	s_or_b64 exec, exec, s[2:3]
	v_lshrrev_b16_e32 v38, 8, v41
	v_cmp_ne_u16_e32 vcc, 0, v38
	s_and_saveexec_b64 s[2:3], vcc
	s_cbranch_execz .LBB884_191
; %bb.186:
	s_movk_i32 s8, 0x80
	v_cmp_ne_u16_e32 vcc, s8, v38
	v_mov_b32_e32 v40, 0xffff8000
	s_and_saveexec_b64 s[8:9], vcc
	s_cbranch_execz .LBB884_190
; %bb.187:
	s_movk_i32 s10, 0x7f
	v_and_b32_e32 v55, 0x7f, v38
	v_cmp_ne_u32_e32 vcc, s10, v55
	v_mov_b32_e32 v40, 0x7f80
	s_and_saveexec_b64 s[10:11], vcc
	s_cbranch_execz .LBB884_189
; %bb.188:
	v_and_b32_e32 v40, 7, v38
	v_ffbh_u32_e32 v56, v40
	v_min_u32_e32 v59, 32, v56
	v_subrev_u32_e32 v56, 28, v59
	v_lshlrev_b64 v[56:57], v56, v[38:39]
	v_lshrrev_b32_e32 v58, 3, v55
	v_sub_u32_e32 v38, 29, v59
	v_and_b32_e32 v56, 7, v56
	v_cmp_gt_u32_e32 vcc, 8, v55
	v_cndmask_b32_e32 v38, v58, v38, vcc
	v_cndmask_b32_e32 v40, v40, v56, vcc
	v_lshlrev_b32_e32 v55, 16, v41
	v_bfrev_b32_e32 v56, 60
	v_lshlrev_b32_e32 v40, 20, v40
	v_and_b32_e32 v55, 0x80000000, v55
	v_lshl_add_u32 v38, v38, 23, v56
	v_or3_b32 v38, v55, v38, v40
	v_lshrrev_b32_e32 v40, 16, v38
.LBB884_189:
	s_or_b64 exec, exec, s[10:11]
.LBB884_190:
	s_or_b64 exec, exec, s[8:9]
.LBB884_191:
	s_or_b64 exec, exec, s[2:3]
	s_movk_i32 s2, 0xff
	v_and_b32_sdwa v57, v41, s2 dst_sel:DWORD dst_unused:UNUSED_PAD src0_sel:WORD_1 src1_sel:DWORD
	v_lshrrev_b32_e32 v38, 16, v41
	v_cmp_ne_u16_e32 vcc, 0, v57
	v_mov_b32_e32 v55, 0
	v_mov_b32_e32 v56, 0
	s_and_saveexec_b64 s[2:3], vcc
	s_cbranch_execz .LBB884_197
; %bb.192:
	s_movk_i32 s8, 0x80
	v_cmp_ne_u16_e32 vcc, s8, v57
	v_mov_b32_e32 v56, 0xffff8000
	s_and_saveexec_b64 s[8:9], vcc
	s_cbranch_execz .LBB884_196
; %bb.193:
	v_bfe_u32 v57, v41, 16, 7
	s_movk_i32 s10, 0x7f
	v_cmp_ne_u32_e32 vcc, s10, v57
	v_mov_b32_e32 v56, 0x7f80
	s_and_saveexec_b64 s[10:11], vcc
	s_cbranch_execz .LBB884_195
; %bb.194:
	v_and_b32_e32 v56, 7, v38
	v_ffbh_u32_e32 v58, v56
	v_min_u32_e32 v61, 32, v58
	v_subrev_u32_e32 v58, 28, v61
	v_lshlrev_b64 v[58:59], v58, v[38:39]
	v_lshrrev_b32_e32 v60, 3, v57
	v_sub_u32_e32 v38, 29, v61
	v_and_b32_e32 v58, 7, v58
	v_cmp_gt_u32_e32 vcc, 8, v57
	v_mov_b32_e32 v57, 24
	v_cndmask_b32_e32 v38, v60, v38, vcc
	v_cndmask_b32_e32 v56, v56, v58, vcc
	v_lshlrev_b32_sdwa v57, v57, v41 dst_sel:DWORD dst_unused:UNUSED_PAD src0_sel:DWORD src1_sel:WORD_1
	v_bfrev_b32_e32 v58, 60
	v_lshlrev_b32_e32 v56, 20, v56
	v_and_b32_e32 v57, 0x80000000, v57
	v_lshl_add_u32 v38, v38, 23, v58
	v_or3_b32 v38, v57, v38, v56
	v_lshrrev_b32_e32 v56, 16, v38
.LBB884_195:
	s_or_b64 exec, exec, s[10:11]
.LBB884_196:
	s_or_b64 exec, exec, s[8:9]
.LBB884_197:
	s_or_b64 exec, exec, s[2:3]
	s_mov_b32 s2, 0xffffff
	v_cmp_lt_u32_e32 vcc, s2, v41
	s_and_saveexec_b64 s[2:3], vcc
	s_cbranch_execz .LBB884_203
; %bb.198:
	v_lshrrev_b32_e32 v38, 24, v41
	s_movk_i32 s8, 0x80
	v_cmp_ne_u32_e32 vcc, s8, v38
	v_mov_b32_e32 v55, 0xffff8000
	s_and_saveexec_b64 s[8:9], vcc
	s_cbranch_execz .LBB884_202
; %bb.199:
	v_bfe_u32 v41, v41, 24, 7
	s_movk_i32 s10, 0x7f
	v_cmp_ne_u32_e32 vcc, s10, v41
	v_mov_b32_e32 v55, 0x7f80
	s_and_saveexec_b64 s[10:11], vcc
	s_cbranch_execz .LBB884_201
; %bb.200:
	v_and_b32_e32 v55, 7, v38
	v_ffbh_u32_e32 v58, v55
	v_min_u32_e32 v60, 32, v58
	v_subrev_u32_e32 v58, 28, v60
	v_lshlrev_b64 v[58:59], v58, v[38:39]
	v_lshrrev_b32_e32 v57, 3, v41
	v_sub_u32_e32 v59, 29, v60
	v_and_b32_e32 v58, 7, v58
	v_cmp_gt_u32_e32 vcc, 8, v41
	v_cndmask_b32_e32 v41, v57, v59, vcc
	v_cndmask_b32_e32 v55, v55, v58, vcc
	v_lshlrev_b32_e32 v38, 24, v38
	v_bfrev_b32_e32 v57, 60
	v_lshlrev_b32_e32 v55, 20, v55
	v_and_b32_e32 v38, 0x80000000, v38
	v_lshl_add_u32 v41, v41, 23, v57
	v_or3_b32 v38, v38, v41, v55
	v_lshrrev_b32_e32 v55, 16, v38
.LBB884_201:
	s_or_b64 exec, exec, s[10:11]
.LBB884_202:
	s_or_b64 exec, exec, s[8:9]
.LBB884_203:
	s_or_b64 exec, exec, s[2:3]
	s_mov_b32 s2, 0x5040100
	v_perm_b32 v53, v52, v53, s2
	v_perm_b32 v52, v39, v51, s2
	;; [unrolled: 1-line block ×4, first 2 shown]
	v_mfma_f32_16x16x16bf16_1k v[58:61], v[52:53], v[18:19], v[42:45]
	s_nop 6
	v_mov_b32_e32 v43, 0
	s_waitcnt vmcnt(5)
	v_cmp_ne_u16_sdwa s[8:9], v34, v43 src0_sel:BYTE_0 src1_sel:DWORD
	v_mfma_f32_16x16x16bf16_1k v[38:41], v[38:39], v[20:21], v[58:61]
	v_mov_b32_e32 v44, 0
	s_and_saveexec_b64 s[2:3], s[8:9]
	s_cbranch_execz .LBB884_209
; %bb.204:
	s_movk_i32 s8, 0x80
	v_cmp_ne_u16_sdwa s[10:11], v34, s8 src0_sel:BYTE_0 src1_sel:DWORD
	v_mov_b32_e32 v44, 0xffff8000
	s_and_saveexec_b64 s[8:9], s[10:11]
	s_cbranch_execz .LBB884_208
; %bb.205:
	s_movk_i32 s10, 0x7f
	v_and_b32_e32 v42, 0x7f, v34
	v_cmp_ne_u32_e32 vcc, s10, v42
	v_mov_b32_e32 v44, 0x7f80
	s_and_saveexec_b64 s[10:11], vcc
	s_cbranch_execz .LBB884_207
; %bb.206:
	v_and_b32_e32 v51, 7, v34
	v_ffbh_u32_e32 v44, v51
	v_min_u32_e32 v53, 32, v44
	v_subrev_u32_e32 v44, 28, v53
	v_lshlrev_b64 v[44:45], v44, v[34:35]
	v_lshrrev_b32_e32 v52, 3, v42
	v_sub_u32_e32 v45, 29, v53
	v_and_b32_e32 v44, 7, v44
	v_cmp_gt_u32_e32 vcc, 8, v42
	v_cndmask_b32_e32 v42, v52, v45, vcc
	v_cndmask_b32_e32 v44, v51, v44, vcc
	v_lshlrev_b32_e32 v45, 24, v34
	v_bfrev_b32_e32 v51, 60
	v_lshlrev_b32_e32 v44, 20, v44
	v_and_b32_e32 v45, 0x80000000, v45
	v_lshl_add_u32 v42, v42, 23, v51
	v_or3_b32 v42, v45, v42, v44
	v_lshrrev_b32_e32 v44, 16, v42
.LBB884_207:
	s_or_b64 exec, exec, s[10:11]
.LBB884_208:
	s_or_b64 exec, exec, s[8:9]
.LBB884_209:
	s_or_b64 exec, exec, s[2:3]
	v_lshrrev_b16_e32 v42, 8, v34
	v_cmp_ne_u16_e32 vcc, 0, v42
	s_and_saveexec_b64 s[2:3], vcc
	s_cbranch_execz .LBB884_215
; %bb.210:
	s_movk_i32 s8, 0x80
	v_cmp_ne_u16_e32 vcc, s8, v42
	v_mov_b32_e32 v43, 0xffff8000
	s_and_saveexec_b64 s[8:9], vcc
	s_cbranch_execz .LBB884_214
; %bb.211:
	s_movk_i32 s10, 0x7f
	v_and_b32_e32 v45, 0x7f, v42
	v_cmp_ne_u32_e32 vcc, s10, v45
	v_mov_b32_e32 v43, 0x7f80
	s_and_saveexec_b64 s[10:11], vcc
	s_cbranch_execz .LBB884_213
; %bb.212:
	v_and_b32_e32 v51, 7, v42
	v_ffbh_u32_e32 v43, v51
	v_min_u32_e32 v53, 32, v43
	v_subrev_u32_e32 v43, 28, v53
	v_lshlrev_b64 v[42:43], v43, v[42:43]
	v_lshrrev_b32_e32 v52, 3, v45
	v_sub_u32_e32 v43, 29, v53
	v_and_b32_e32 v42, 7, v42
	v_cmp_gt_u32_e32 vcc, 8, v45
	v_cndmask_b32_e32 v43, v52, v43, vcc
	v_cndmask_b32_e32 v42, v51, v42, vcc
	v_lshlrev_b32_e32 v45, 16, v34
	v_bfrev_b32_e32 v51, 60
	v_lshlrev_b32_e32 v42, 20, v42
	v_and_b32_e32 v45, 0x80000000, v45
	v_lshl_add_u32 v43, v43, 23, v51
	v_or3_b32 v42, v45, v43, v42
	v_lshrrev_b32_e32 v43, 16, v42
.LBB884_213:
	s_or_b64 exec, exec, s[10:11]
.LBB884_214:
	s_or_b64 exec, exec, s[8:9]
.LBB884_215:
	s_or_b64 exec, exec, s[2:3]
	s_movk_i32 s2, 0xff
	v_and_b32_sdwa v52, v34, s2 dst_sel:DWORD dst_unused:UNUSED_PAD src0_sel:WORD_1 src1_sel:DWORD
	v_lshrrev_b32_e32 v42, 16, v34
	v_cmp_ne_u16_e32 vcc, 0, v52
	v_mov_b32_e32 v45, 0
	v_mov_b32_e32 v51, 0
	s_and_saveexec_b64 s[2:3], vcc
	s_cbranch_execz .LBB884_221
; %bb.216:
	s_movk_i32 s8, 0x80
	v_cmp_ne_u16_e32 vcc, s8, v52
	v_mov_b32_e32 v51, 0xffff8000
	s_and_saveexec_b64 s[8:9], vcc
	s_cbranch_execz .LBB884_220
; %bb.217:
	v_bfe_u32 v52, v34, 16, 7
	s_movk_i32 s10, 0x7f
	v_cmp_ne_u32_e32 vcc, s10, v52
	v_mov_b32_e32 v51, 0x7f80
	s_and_saveexec_b64 s[10:11], vcc
	s_cbranch_execz .LBB884_219
; %bb.218:
	v_and_b32_e32 v51, 7, v42
	v_ffbh_u32_e32 v54, v51
	v_min_u32_e32 v56, 32, v54
	v_subrev_u32_e32 v54, 28, v56
	v_lshlrev_b64 v[54:55], v54, v[42:43]
	v_lshrrev_b32_e32 v53, 3, v52
	v_sub_u32_e32 v42, 29, v56
	v_and_b32_e32 v54, 7, v54
	v_cmp_gt_u32_e32 vcc, 8, v52
	v_mov_b32_e32 v52, 24
	v_cndmask_b32_e32 v42, v53, v42, vcc
	v_cndmask_b32_e32 v51, v51, v54, vcc
	v_lshlrev_b32_sdwa v52, v52, v34 dst_sel:DWORD dst_unused:UNUSED_PAD src0_sel:DWORD src1_sel:WORD_1
	v_bfrev_b32_e32 v53, 60
	v_lshlrev_b32_e32 v51, 20, v51
	v_and_b32_e32 v52, 0x80000000, v52
	v_lshl_add_u32 v42, v42, 23, v53
	v_or3_b32 v42, v52, v42, v51
	v_lshrrev_b32_e32 v51, 16, v42
.LBB884_219:
	s_or_b64 exec, exec, s[10:11]
.LBB884_220:
	s_or_b64 exec, exec, s[8:9]
.LBB884_221:
	s_or_b64 exec, exec, s[2:3]
	s_mov_b32 s2, 0xffffff
	v_cmp_lt_u32_e32 vcc, s2, v34
	s_and_saveexec_b64 s[2:3], vcc
	s_cbranch_execz .LBB884_227
; %bb.222:
	v_lshrrev_b32_e32 v42, 24, v34
	s_movk_i32 s8, 0x80
	v_cmp_ne_u32_e32 vcc, s8, v42
	v_mov_b32_e32 v45, 0xffff8000
	s_and_saveexec_b64 s[8:9], vcc
	s_cbranch_execz .LBB884_226
; %bb.223:
	v_bfe_u32 v34, v34, 24, 7
	s_movk_i32 s10, 0x7f
	v_cmp_ne_u32_e32 vcc, s10, v34
	v_mov_b32_e32 v45, 0x7f80
	s_and_saveexec_b64 s[10:11], vcc
	s_cbranch_execz .LBB884_225
; %bb.224:
	v_and_b32_e32 v45, 7, v42
	v_ffbh_u32_e32 v52, v45
	v_min_u32_e32 v55, 32, v52
	v_subrev_u32_e32 v52, 28, v55
	v_lshlrev_b64 v[52:53], v52, v[42:43]
	v_lshrrev_b32_e32 v54, 3, v34
	v_sub_u32_e32 v53, 29, v55
	v_and_b32_e32 v52, 7, v52
	v_cmp_gt_u32_e32 vcc, 8, v34
	v_cndmask_b32_e32 v34, v54, v53, vcc
	v_cndmask_b32_e32 v45, v45, v52, vcc
	v_lshlrev_b32_e32 v42, 24, v42
	v_bfrev_b32_e32 v52, 60
	v_lshlrev_b32_e32 v45, 20, v45
	v_and_b32_e32 v42, 0x80000000, v42
	v_lshl_add_u32 v34, v34, 23, v52
	v_or3_b32 v34, v42, v34, v45
	v_lshrrev_b32_e32 v45, 16, v34
.LBB884_225:
	s_or_b64 exec, exec, s[10:11]
.LBB884_226:
	s_or_b64 exec, exec, s[8:9]
.LBB884_227:
	s_or_b64 exec, exec, s[2:3]
	v_mov_b32_e32 v42, 0
	v_cmp_ne_u16_sdwa s[8:9], v35, v42 src0_sel:BYTE_0 src1_sel:DWORD
	v_mov_b32_e32 v52, 0
	s_and_saveexec_b64 s[2:3], s[8:9]
	s_cbranch_execz .LBB884_233
; %bb.228:
	s_movk_i32 s8, 0x80
	v_cmp_ne_u16_sdwa s[10:11], v35, s8 src0_sel:BYTE_0 src1_sel:DWORD
	v_mov_b32_e32 v52, 0xffff8000
	s_and_saveexec_b64 s[8:9], s[10:11]
	s_cbranch_execz .LBB884_232
; %bb.229:
	s_movk_i32 s10, 0x7f
	v_and_b32_e32 v34, 0x7f, v35
	v_cmp_ne_u32_e32 vcc, s10, v34
	v_mov_b32_e32 v52, 0x7f80
	s_and_saveexec_b64 s[10:11], vcc
	s_cbranch_execz .LBB884_231
; %bb.230:
	v_and_b32_e32 v54, 7, v35
	v_ffbh_u32_e32 v53, v54
	v_min_u32_e32 v56, 32, v53
	v_mov_b32_e32 v52, v35
	v_subrev_u32_e32 v53, 28, v56
	v_lshlrev_b64 v[52:53], v53, v[52:53]
	v_lshrrev_b32_e32 v55, 3, v34
	v_sub_u32_e32 v53, 29, v56
	v_and_b32_e32 v52, 7, v52
	v_cmp_gt_u32_e32 vcc, 8, v34
	v_cndmask_b32_e32 v34, v55, v53, vcc
	v_cndmask_b32_e32 v52, v54, v52, vcc
	v_lshlrev_b32_e32 v53, 24, v35
	v_bfrev_b32_e32 v54, 60
	v_lshlrev_b32_e32 v52, 20, v52
	v_and_b32_e32 v53, 0x80000000, v53
	v_lshl_add_u32 v34, v34, 23, v54
	v_or3_b32 v34, v53, v34, v52
	v_lshrrev_b32_e32 v52, 16, v34
.LBB884_231:
	s_or_b64 exec, exec, s[10:11]
.LBB884_232:
	s_or_b64 exec, exec, s[8:9]
.LBB884_233:
	s_or_b64 exec, exec, s[2:3]
	v_lshrrev_b16_e32 v34, 8, v35
	v_cmp_ne_u16_e32 vcc, 0, v34
	s_and_saveexec_b64 s[2:3], vcc
	s_cbranch_execz .LBB884_239
; %bb.234:
	s_movk_i32 s8, 0x80
	v_cmp_ne_u16_e32 vcc, s8, v34
	v_mov_b32_e32 v42, 0xffff8000
	s_and_saveexec_b64 s[8:9], vcc
	s_cbranch_execz .LBB884_238
; %bb.235:
	s_movk_i32 s10, 0x7f
	v_and_b32_e32 v53, 0x7f, v34
	v_cmp_ne_u32_e32 vcc, s10, v53
	v_mov_b32_e32 v42, 0x7f80
	s_and_saveexec_b64 s[10:11], vcc
	s_cbranch_execz .LBB884_237
; %bb.236:
	v_and_b32_e32 v42, 7, v34
	v_ffbh_u32_e32 v54, v42
	v_min_u32_e32 v57, 32, v54
	v_subrev_u32_e32 v54, 28, v57
	v_lshlrev_b64 v[54:55], v54, v[34:35]
	v_lshrrev_b32_e32 v56, 3, v53
	v_sub_u32_e32 v34, 29, v57
	v_and_b32_e32 v54, 7, v54
	v_cmp_gt_u32_e32 vcc, 8, v53
	v_cndmask_b32_e32 v34, v56, v34, vcc
	v_cndmask_b32_e32 v42, v42, v54, vcc
	v_lshlrev_b32_e32 v53, 16, v35
	v_bfrev_b32_e32 v54, 60
	v_lshlrev_b32_e32 v42, 20, v42
	v_and_b32_e32 v53, 0x80000000, v53
	v_lshl_add_u32 v34, v34, 23, v54
	v_or3_b32 v34, v53, v34, v42
	v_lshrrev_b32_e32 v42, 16, v34
.LBB884_237:
	s_or_b64 exec, exec, s[10:11]
.LBB884_238:
	s_or_b64 exec, exec, s[8:9]
.LBB884_239:
	s_or_b64 exec, exec, s[2:3]
	s_movk_i32 s2, 0xff
	v_and_b32_sdwa v55, v35, s2 dst_sel:DWORD dst_unused:UNUSED_PAD src0_sel:WORD_1 src1_sel:DWORD
	v_lshrrev_b32_e32 v34, 16, v35
	v_cmp_ne_u16_e32 vcc, 0, v55
	v_mov_b32_e32 v53, 0
	v_mov_b32_e32 v54, 0
	s_and_saveexec_b64 s[2:3], vcc
	s_cbranch_execz .LBB884_245
; %bb.240:
	s_movk_i32 s8, 0x80
	v_cmp_ne_u16_e32 vcc, s8, v55
	v_mov_b32_e32 v54, 0xffff8000
	s_and_saveexec_b64 s[8:9], vcc
	s_cbranch_execz .LBB884_244
; %bb.241:
	v_bfe_u32 v55, v35, 16, 7
	s_movk_i32 s10, 0x7f
	v_cmp_ne_u32_e32 vcc, s10, v55
	v_mov_b32_e32 v54, 0x7f80
	s_and_saveexec_b64 s[10:11], vcc
	s_cbranch_execz .LBB884_243
; %bb.242:
	v_and_b32_e32 v54, 7, v34
	v_ffbh_u32_e32 v56, v54
	v_min_u32_e32 v59, 32, v56
	v_subrev_u32_e32 v56, 28, v59
	v_lshlrev_b64 v[56:57], v56, v[34:35]
	v_lshrrev_b32_e32 v58, 3, v55
	v_sub_u32_e32 v34, 29, v59
	v_and_b32_e32 v56, 7, v56
	v_cmp_gt_u32_e32 vcc, 8, v55
	v_mov_b32_e32 v55, 24
	v_cndmask_b32_e32 v34, v58, v34, vcc
	v_cndmask_b32_e32 v54, v54, v56, vcc
	v_lshlrev_b32_sdwa v55, v55, v35 dst_sel:DWORD dst_unused:UNUSED_PAD src0_sel:DWORD src1_sel:WORD_1
	v_bfrev_b32_e32 v56, 60
	v_lshlrev_b32_e32 v54, 20, v54
	v_and_b32_e32 v55, 0x80000000, v55
	v_lshl_add_u32 v34, v34, 23, v56
	v_or3_b32 v34, v55, v34, v54
	v_lshrrev_b32_e32 v54, 16, v34
.LBB884_243:
	s_or_b64 exec, exec, s[10:11]
.LBB884_244:
	s_or_b64 exec, exec, s[8:9]
.LBB884_245:
	s_or_b64 exec, exec, s[2:3]
	s_mov_b32 s2, 0xffffff
	v_cmp_lt_u32_e32 vcc, s2, v35
	s_and_saveexec_b64 s[2:3], vcc
	s_cbranch_execz .LBB884_251
; %bb.246:
	v_lshrrev_b32_e32 v34, 24, v35
	s_movk_i32 s8, 0x80
	v_cmp_ne_u32_e32 vcc, s8, v34
	v_mov_b32_e32 v53, 0xffff8000
	s_and_saveexec_b64 s[8:9], vcc
	s_cbranch_execz .LBB884_250
; %bb.247:
	v_bfe_u32 v35, v35, 24, 7
	s_movk_i32 s10, 0x7f
	v_cmp_ne_u32_e32 vcc, s10, v35
	v_mov_b32_e32 v53, 0x7f80
	s_and_saveexec_b64 s[10:11], vcc
	s_cbranch_execz .LBB884_249
; %bb.248:
	v_and_b32_e32 v53, 7, v34
	v_ffbh_u32_e32 v56, v53
	v_min_u32_e32 v58, 32, v56
	v_subrev_u32_e32 v56, 28, v58
	v_lshlrev_b64 v[56:57], v56, v[34:35]
	v_lshrrev_b32_e32 v55, 3, v35
	v_sub_u32_e32 v57, 29, v58
	v_and_b32_e32 v56, 7, v56
	v_cmp_gt_u32_e32 vcc, 8, v35
	v_cndmask_b32_e32 v35, v55, v57, vcc
	v_cndmask_b32_e32 v53, v53, v56, vcc
	v_lshlrev_b32_e32 v34, 24, v34
	v_bfrev_b32_e32 v55, 60
	v_lshlrev_b32_e32 v53, 20, v53
	v_and_b32_e32 v34, 0x80000000, v34
	v_lshl_add_u32 v35, v35, 23, v55
	v_or3_b32 v34, v34, v35, v53
	v_lshrrev_b32_e32 v53, 16, v34
.LBB884_249:
	s_or_b64 exec, exec, s[10:11]
.LBB884_250:
	s_or_b64 exec, exec, s[8:9]
.LBB884_251:
	s_or_b64 exec, exec, s[2:3]
	s_mov_b32 s2, 0x5040100
	v_perm_b32 v35, v45, v51, s2
	v_perm_b32 v34, v43, v44, s2
	;; [unrolled: 1-line block ×4, first 2 shown]
	v_mov_b32_e32 v51, 0
	v_mfma_f32_16x16x16bf16_1k v[56:59], v[34:35], v[26:27], 0
	v_mov_b32_e32 v35, 0
	v_cmp_ne_u16_sdwa s[8:9], v36, v35 src0_sel:BYTE_0 src1_sel:DWORD
	v_mfma_f32_16x16x16bf16_1k v[42:45], v[42:43], v[28:29], v[56:59]
	s_and_saveexec_b64 s[2:3], s[8:9]
	s_cbranch_execz .LBB884_257
; %bb.252:
	s_movk_i32 s8, 0x80
	v_cmp_ne_u16_sdwa s[10:11], v36, s8 src0_sel:BYTE_0 src1_sel:DWORD
	v_mov_b32_e32 v51, 0xffff8000
	s_and_saveexec_b64 s[8:9], s[10:11]
	s_cbranch_execz .LBB884_256
; %bb.253:
	s_movk_i32 s10, 0x7f
	v_and_b32_e32 v34, 0x7f, v36
	v_cmp_ne_u32_e32 vcc, s10, v34
	v_mov_b32_e32 v51, 0x7f80
	s_and_saveexec_b64 s[10:11], vcc
	s_cbranch_execz .LBB884_255
; %bb.254:
	v_and_b32_e32 v51, 7, v36
	v_ffbh_u32_e32 v52, v51
	v_min_u32_e32 v55, 32, v52
	v_subrev_u32_e32 v52, 28, v55
	v_lshlrev_b64 v[52:53], v52, v[36:37]
	v_lshrrev_b32_e32 v54, 3, v34
	v_sub_u32_e32 v53, 29, v55
	v_and_b32_e32 v52, 7, v52
	v_cmp_gt_u32_e32 vcc, 8, v34
	v_cndmask_b32_e32 v34, v54, v53, vcc
	v_cndmask_b32_e32 v51, v51, v52, vcc
	v_lshlrev_b32_e32 v52, 24, v36
	v_bfrev_b32_e32 v53, 60
	v_lshlrev_b32_e32 v51, 20, v51
	v_and_b32_e32 v52, 0x80000000, v52
	v_lshl_add_u32 v34, v34, 23, v53
	v_or3_b32 v34, v52, v34, v51
	v_lshrrev_b32_e32 v51, 16, v34
.LBB884_255:
	s_or_b64 exec, exec, s[10:11]
.LBB884_256:
	s_or_b64 exec, exec, s[8:9]
.LBB884_257:
	s_or_b64 exec, exec, s[2:3]
	v_lshrrev_b16_e32 v34, 8, v36
	v_cmp_ne_u16_e32 vcc, 0, v34
	s_and_saveexec_b64 s[2:3], vcc
	s_cbranch_execz .LBB884_263
; %bb.258:
	s_movk_i32 s8, 0x80
	v_cmp_ne_u16_e32 vcc, s8, v34
	v_mov_b32_e32 v35, 0xffff8000
	s_and_saveexec_b64 s[8:9], vcc
	s_cbranch_execz .LBB884_262
; %bb.259:
	s_movk_i32 s10, 0x7f
	v_and_b32_e32 v52, 0x7f, v34
	v_cmp_ne_u32_e32 vcc, s10, v52
	v_mov_b32_e32 v35, 0x7f80
	s_and_saveexec_b64 s[10:11], vcc
	s_cbranch_execz .LBB884_261
; %bb.260:
	v_and_b32_e32 v53, 7, v34
	v_ffbh_u32_e32 v35, v53
	v_min_u32_e32 v55, 32, v35
	v_subrev_u32_e32 v35, 28, v55
	v_lshlrev_b64 v[34:35], v35, v[34:35]
	v_lshrrev_b32_e32 v54, 3, v52
	v_sub_u32_e32 v35, 29, v55
	v_and_b32_e32 v34, 7, v34
	v_cmp_gt_u32_e32 vcc, 8, v52
	v_cndmask_b32_e32 v35, v54, v35, vcc
	v_cndmask_b32_e32 v34, v53, v34, vcc
	v_lshlrev_b32_e32 v52, 16, v36
	v_bfrev_b32_e32 v53, 60
	v_lshlrev_b32_e32 v34, 20, v34
	v_and_b32_e32 v52, 0x80000000, v52
	v_lshl_add_u32 v35, v35, 23, v53
	v_or3_b32 v34, v52, v35, v34
	v_lshrrev_b32_e32 v35, 16, v34
.LBB884_261:
	s_or_b64 exec, exec, s[10:11]
.LBB884_262:
	s_or_b64 exec, exec, s[8:9]
.LBB884_263:
	s_or_b64 exec, exec, s[2:3]
	s_movk_i32 s2, 0xff
	v_and_b32_sdwa v54, v36, s2 dst_sel:DWORD dst_unused:UNUSED_PAD src0_sel:WORD_1 src1_sel:DWORD
	v_lshrrev_b32_e32 v34, 16, v36
	v_cmp_ne_u16_e32 vcc, 0, v54
	v_mov_b32_e32 v52, 0
	v_mov_b32_e32 v53, 0
	s_and_saveexec_b64 s[2:3], vcc
	s_cbranch_execz .LBB884_269
; %bb.264:
	s_movk_i32 s8, 0x80
	v_cmp_ne_u16_e32 vcc, s8, v54
	v_mov_b32_e32 v53, 0xffff8000
	s_and_saveexec_b64 s[8:9], vcc
	s_cbranch_execz .LBB884_268
; %bb.265:
	v_bfe_u32 v54, v36, 16, 7
	s_movk_i32 s10, 0x7f
	v_cmp_ne_u32_e32 vcc, s10, v54
	v_mov_b32_e32 v53, 0x7f80
	s_and_saveexec_b64 s[10:11], vcc
	s_cbranch_execz .LBB884_267
; %bb.266:
	v_and_b32_e32 v53, 7, v34
	v_ffbh_u32_e32 v56, v53
	v_min_u32_e32 v58, 32, v56
	v_subrev_u32_e32 v56, 28, v58
	v_lshlrev_b64 v[56:57], v56, v[34:35]
	v_lshrrev_b32_e32 v55, 3, v54
	v_sub_u32_e32 v34, 29, v58
	v_and_b32_e32 v56, 7, v56
	v_cmp_gt_u32_e32 vcc, 8, v54
	v_mov_b32_e32 v54, 24
	v_cndmask_b32_e32 v34, v55, v34, vcc
	v_cndmask_b32_e32 v53, v53, v56, vcc
	v_lshlrev_b32_sdwa v54, v54, v36 dst_sel:DWORD dst_unused:UNUSED_PAD src0_sel:DWORD src1_sel:WORD_1
	v_bfrev_b32_e32 v55, 60
	v_lshlrev_b32_e32 v53, 20, v53
	v_and_b32_e32 v54, 0x80000000, v54
	v_lshl_add_u32 v34, v34, 23, v55
	v_or3_b32 v34, v54, v34, v53
	v_lshrrev_b32_e32 v53, 16, v34
.LBB884_267:
	s_or_b64 exec, exec, s[10:11]
.LBB884_268:
	s_or_b64 exec, exec, s[8:9]
.LBB884_269:
	s_or_b64 exec, exec, s[2:3]
	s_mov_b32 s2, 0xffffff
	v_cmp_lt_u32_e32 vcc, s2, v36
	s_and_saveexec_b64 s[2:3], vcc
	s_cbranch_execz .LBB884_275
; %bb.270:
	v_lshrrev_b32_e32 v34, 24, v36
	s_movk_i32 s8, 0x80
	v_cmp_ne_u32_e32 vcc, s8, v34
	v_mov_b32_e32 v52, 0xffff8000
	s_and_saveexec_b64 s[8:9], vcc
	s_cbranch_execz .LBB884_274
; %bb.271:
	v_bfe_u32 v36, v36, 24, 7
	s_movk_i32 s10, 0x7f
	v_cmp_ne_u32_e32 vcc, s10, v36
	v_mov_b32_e32 v52, 0x7f80
	s_and_saveexec_b64 s[10:11], vcc
	s_cbranch_execz .LBB884_273
; %bb.272:
	v_and_b32_e32 v52, 7, v34
	v_ffbh_u32_e32 v54, v52
	v_min_u32_e32 v57, 32, v54
	v_subrev_u32_e32 v54, 28, v57
	v_lshlrev_b64 v[54:55], v54, v[34:35]
	v_lshrrev_b32_e32 v56, 3, v36
	v_sub_u32_e32 v55, 29, v57
	v_and_b32_e32 v54, 7, v54
	v_cmp_gt_u32_e32 vcc, 8, v36
	v_cndmask_b32_e32 v36, v56, v55, vcc
	v_cndmask_b32_e32 v52, v52, v54, vcc
	v_lshlrev_b32_e32 v34, 24, v34
	v_bfrev_b32_e32 v54, 60
	v_lshlrev_b32_e32 v52, 20, v52
	v_and_b32_e32 v34, 0x80000000, v34
	v_lshl_add_u32 v36, v36, 23, v54
	v_or3_b32 v34, v34, v36, v52
	v_lshrrev_b32_e32 v52, 16, v34
.LBB884_273:
	s_or_b64 exec, exec, s[10:11]
.LBB884_274:
	s_or_b64 exec, exec, s[8:9]
.LBB884_275:
	s_or_b64 exec, exec, s[2:3]
	v_mov_b32_e32 v36, 0
	v_cmp_ne_u16_sdwa s[8:9], v37, v36 src0_sel:BYTE_0 src1_sel:DWORD
	v_mov_b32_e32 v54, 0
	s_and_saveexec_b64 s[2:3], s[8:9]
	s_cbranch_execz .LBB884_281
; %bb.276:
	s_movk_i32 s8, 0x80
	v_cmp_ne_u16_sdwa s[10:11], v37, s8 src0_sel:BYTE_0 src1_sel:DWORD
	v_mov_b32_e32 v54, 0xffff8000
	s_and_saveexec_b64 s[8:9], s[10:11]
	s_cbranch_execz .LBB884_280
; %bb.277:
	s_movk_i32 s10, 0x7f
	v_and_b32_e32 v34, 0x7f, v37
	v_cmp_ne_u32_e32 vcc, s10, v34
	v_mov_b32_e32 v54, 0x7f80
	s_and_saveexec_b64 s[10:11], vcc
	s_cbranch_execz .LBB884_279
; %bb.278:
	v_and_b32_e32 v56, 7, v37
	v_ffbh_u32_e32 v55, v56
	v_min_u32_e32 v58, 32, v55
	v_mov_b32_e32 v54, v37
	v_subrev_u32_e32 v55, 28, v58
	v_lshlrev_b64 v[54:55], v55, v[54:55]
	v_lshrrev_b32_e32 v57, 3, v34
	v_sub_u32_e32 v55, 29, v58
	v_and_b32_e32 v54, 7, v54
	v_cmp_gt_u32_e32 vcc, 8, v34
	v_cndmask_b32_e32 v34, v57, v55, vcc
	v_cndmask_b32_e32 v54, v56, v54, vcc
	v_lshlrev_b32_e32 v55, 24, v37
	v_bfrev_b32_e32 v56, 60
	v_lshlrev_b32_e32 v54, 20, v54
	v_and_b32_e32 v55, 0x80000000, v55
	v_lshl_add_u32 v34, v34, 23, v56
	v_or3_b32 v34, v55, v34, v54
	v_lshrrev_b32_e32 v54, 16, v34
.LBB884_279:
	s_or_b64 exec, exec, s[10:11]
.LBB884_280:
	s_or_b64 exec, exec, s[8:9]
.LBB884_281:
	s_or_b64 exec, exec, s[2:3]
	v_lshrrev_b16_e32 v34, 8, v37
	v_cmp_ne_u16_e32 vcc, 0, v34
	s_and_saveexec_b64 s[2:3], vcc
	s_cbranch_execz .LBB884_287
; %bb.282:
	s_movk_i32 s8, 0x80
	v_cmp_ne_u16_e32 vcc, s8, v34
	v_mov_b32_e32 v36, 0xffff8000
	s_and_saveexec_b64 s[8:9], vcc
	s_cbranch_execz .LBB884_286
; %bb.283:
	s_movk_i32 s10, 0x7f
	v_and_b32_e32 v55, 0x7f, v34
	v_cmp_ne_u32_e32 vcc, s10, v55
	v_mov_b32_e32 v36, 0x7f80
	s_and_saveexec_b64 s[10:11], vcc
	s_cbranch_execz .LBB884_285
; %bb.284:
	v_and_b32_e32 v36, 7, v34
	v_ffbh_u32_e32 v56, v36
	v_min_u32_e32 v59, 32, v56
	v_subrev_u32_e32 v56, 28, v59
	v_lshlrev_b64 v[56:57], v56, v[34:35]
	v_lshrrev_b32_e32 v58, 3, v55
	v_sub_u32_e32 v34, 29, v59
	v_and_b32_e32 v56, 7, v56
	v_cmp_gt_u32_e32 vcc, 8, v55
	v_cndmask_b32_e32 v34, v58, v34, vcc
	v_cndmask_b32_e32 v36, v36, v56, vcc
	v_lshlrev_b32_e32 v55, 16, v37
	v_bfrev_b32_e32 v56, 60
	v_lshlrev_b32_e32 v36, 20, v36
	v_and_b32_e32 v55, 0x80000000, v55
	v_lshl_add_u32 v34, v34, 23, v56
	v_or3_b32 v34, v55, v34, v36
	v_lshrrev_b32_e32 v36, 16, v34
.LBB884_285:
	s_or_b64 exec, exec, s[10:11]
.LBB884_286:
	s_or_b64 exec, exec, s[8:9]
.LBB884_287:
	s_or_b64 exec, exec, s[2:3]
	s_movk_i32 s2, 0xff
	v_and_b32_sdwa v57, v37, s2 dst_sel:DWORD dst_unused:UNUSED_PAD src0_sel:WORD_1 src1_sel:DWORD
	v_lshrrev_b32_e32 v34, 16, v37
	v_cmp_ne_u16_e32 vcc, 0, v57
	v_mov_b32_e32 v55, 0
	v_mov_b32_e32 v56, 0
	s_and_saveexec_b64 s[2:3], vcc
	s_cbranch_execz .LBB884_293
; %bb.288:
	s_movk_i32 s8, 0x80
	v_cmp_ne_u16_e32 vcc, s8, v57
	v_mov_b32_e32 v56, 0xffff8000
	s_and_saveexec_b64 s[8:9], vcc
	s_cbranch_execz .LBB884_292
; %bb.289:
	v_bfe_u32 v57, v37, 16, 7
	s_movk_i32 s10, 0x7f
	v_cmp_ne_u32_e32 vcc, s10, v57
	v_mov_b32_e32 v56, 0x7f80
	s_and_saveexec_b64 s[10:11], vcc
	s_cbranch_execz .LBB884_291
; %bb.290:
	v_and_b32_e32 v56, 7, v34
	v_ffbh_u32_e32 v58, v56
	v_min_u32_e32 v61, 32, v58
	v_subrev_u32_e32 v58, 28, v61
	v_lshlrev_b64 v[58:59], v58, v[34:35]
	v_lshrrev_b32_e32 v60, 3, v57
	v_sub_u32_e32 v34, 29, v61
	v_and_b32_e32 v58, 7, v58
	v_cmp_gt_u32_e32 vcc, 8, v57
	v_mov_b32_e32 v57, 24
	v_cndmask_b32_e32 v34, v60, v34, vcc
	v_cndmask_b32_e32 v56, v56, v58, vcc
	v_lshlrev_b32_sdwa v57, v57, v37 dst_sel:DWORD dst_unused:UNUSED_PAD src0_sel:DWORD src1_sel:WORD_1
	v_bfrev_b32_e32 v58, 60
	v_lshlrev_b32_e32 v56, 20, v56
	v_and_b32_e32 v57, 0x80000000, v57
	v_lshl_add_u32 v34, v34, 23, v58
	v_or3_b32 v34, v57, v34, v56
	v_lshrrev_b32_e32 v56, 16, v34
.LBB884_291:
	s_or_b64 exec, exec, s[10:11]
.LBB884_292:
	s_or_b64 exec, exec, s[8:9]
.LBB884_293:
	s_or_b64 exec, exec, s[2:3]
	s_mov_b32 s2, 0xffffff
	v_cmp_lt_u32_e32 vcc, s2, v37
	s_and_saveexec_b64 s[2:3], vcc
	s_cbranch_execz .LBB884_299
; %bb.294:
	v_lshrrev_b32_e32 v34, 24, v37
	s_movk_i32 s8, 0x80
	v_cmp_ne_u32_e32 vcc, s8, v34
	v_mov_b32_e32 v55, 0xffff8000
	s_and_saveexec_b64 s[8:9], vcc
	s_cbranch_execz .LBB884_298
; %bb.295:
	v_bfe_u32 v37, v37, 24, 7
	s_movk_i32 s10, 0x7f
	v_cmp_ne_u32_e32 vcc, s10, v37
	v_mov_b32_e32 v55, 0x7f80
	s_and_saveexec_b64 s[10:11], vcc
	s_cbranch_execz .LBB884_297
; %bb.296:
	v_and_b32_e32 v55, 7, v34
	v_ffbh_u32_e32 v58, v55
	v_min_u32_e32 v60, 32, v58
	v_subrev_u32_e32 v58, 28, v60
	v_lshlrev_b64 v[58:59], v58, v[34:35]
	v_lshrrev_b32_e32 v57, 3, v37
	v_sub_u32_e32 v59, 29, v60
	v_and_b32_e32 v58, 7, v58
	v_cmp_gt_u32_e32 vcc, 8, v37
	v_cndmask_b32_e32 v37, v57, v59, vcc
	v_cndmask_b32_e32 v55, v55, v58, vcc
	v_lshlrev_b32_e32 v34, 24, v34
	v_bfrev_b32_e32 v57, 60
	v_lshlrev_b32_e32 v55, 20, v55
	v_and_b32_e32 v34, 0x80000000, v34
	v_lshl_add_u32 v37, v37, 23, v57
	v_or3_b32 v34, v34, v37, v55
	v_lshrrev_b32_e32 v55, 16, v34
.LBB884_297:
	s_or_b64 exec, exec, s[10:11]
.LBB884_298:
	s_or_b64 exec, exec, s[8:9]
.LBB884_299:
	s_or_b64 exec, exec, s[2:3]
	s_mov_b32 s2, 0x5040100
	v_perm_b32 v53, v52, v53, s2
	v_perm_b32 v52, v35, v51, s2
	;; [unrolled: 1-line block ×4, first 2 shown]
	v_mfma_f32_16x16x16bf16_1k v[58:61], v[52:53], v[18:19], v[42:45]
	s_nop 6
	v_mov_b32_e32 v43, 0
	s_waitcnt vmcnt(4)
	v_cmp_ne_u16_sdwa s[8:9], v22, v43 src0_sel:BYTE_0 src1_sel:DWORD
	v_mfma_f32_16x16x16bf16_1k v[34:37], v[34:35], v[20:21], v[58:61]
	v_mov_b32_e32 v44, 0
	s_and_saveexec_b64 s[2:3], s[8:9]
	s_cbranch_execz .LBB884_305
; %bb.300:
	s_movk_i32 s8, 0x80
	v_cmp_ne_u16_sdwa s[10:11], v22, s8 src0_sel:BYTE_0 src1_sel:DWORD
	v_mov_b32_e32 v44, 0xffff8000
	s_and_saveexec_b64 s[8:9], s[10:11]
	s_cbranch_execz .LBB884_304
; %bb.301:
	s_movk_i32 s10, 0x7f
	v_and_b32_e32 v42, 0x7f, v22
	v_cmp_ne_u32_e32 vcc, s10, v42
	v_mov_b32_e32 v44, 0x7f80
	s_and_saveexec_b64 s[10:11], vcc
	s_cbranch_execz .LBB884_303
; %bb.302:
	v_and_b32_e32 v51, 7, v22
	v_ffbh_u32_e32 v44, v51
	v_min_u32_e32 v53, 32, v44
	v_subrev_u32_e32 v44, 28, v53
	v_lshlrev_b64 v[44:45], v44, v[22:23]
	v_lshrrev_b32_e32 v52, 3, v42
	v_sub_u32_e32 v45, 29, v53
	v_and_b32_e32 v44, 7, v44
	v_cmp_gt_u32_e32 vcc, 8, v42
	v_cndmask_b32_e32 v42, v52, v45, vcc
	v_cndmask_b32_e32 v44, v51, v44, vcc
	v_lshlrev_b32_e32 v45, 24, v22
	v_bfrev_b32_e32 v51, 60
	v_lshlrev_b32_e32 v44, 20, v44
	v_and_b32_e32 v45, 0x80000000, v45
	v_lshl_add_u32 v42, v42, 23, v51
	v_or3_b32 v42, v45, v42, v44
	v_lshrrev_b32_e32 v44, 16, v42
.LBB884_303:
	s_or_b64 exec, exec, s[10:11]
.LBB884_304:
	s_or_b64 exec, exec, s[8:9]
.LBB884_305:
	s_or_b64 exec, exec, s[2:3]
	v_lshrrev_b16_e32 v42, 8, v22
	v_cmp_ne_u16_e32 vcc, 0, v42
	s_and_saveexec_b64 s[2:3], vcc
	s_cbranch_execz .LBB884_311
; %bb.306:
	s_movk_i32 s8, 0x80
	v_cmp_ne_u16_e32 vcc, s8, v42
	v_mov_b32_e32 v43, 0xffff8000
	s_and_saveexec_b64 s[8:9], vcc
	s_cbranch_execz .LBB884_310
; %bb.307:
	s_movk_i32 s10, 0x7f
	v_and_b32_e32 v45, 0x7f, v42
	v_cmp_ne_u32_e32 vcc, s10, v45
	v_mov_b32_e32 v43, 0x7f80
	s_and_saveexec_b64 s[10:11], vcc
	s_cbranch_execz .LBB884_309
; %bb.308:
	v_and_b32_e32 v51, 7, v42
	v_ffbh_u32_e32 v43, v51
	v_min_u32_e32 v53, 32, v43
	v_subrev_u32_e32 v43, 28, v53
	v_lshlrev_b64 v[42:43], v43, v[42:43]
	v_lshrrev_b32_e32 v52, 3, v45
	v_sub_u32_e32 v43, 29, v53
	v_and_b32_e32 v42, 7, v42
	v_cmp_gt_u32_e32 vcc, 8, v45
	v_cndmask_b32_e32 v43, v52, v43, vcc
	v_cndmask_b32_e32 v42, v51, v42, vcc
	v_lshlrev_b32_e32 v45, 16, v22
	v_bfrev_b32_e32 v51, 60
	v_lshlrev_b32_e32 v42, 20, v42
	v_and_b32_e32 v45, 0x80000000, v45
	v_lshl_add_u32 v43, v43, 23, v51
	v_or3_b32 v42, v45, v43, v42
	v_lshrrev_b32_e32 v43, 16, v42
.LBB884_309:
	s_or_b64 exec, exec, s[10:11]
.LBB884_310:
	s_or_b64 exec, exec, s[8:9]
.LBB884_311:
	s_or_b64 exec, exec, s[2:3]
	s_movk_i32 s2, 0xff
	v_and_b32_sdwa v52, v22, s2 dst_sel:DWORD dst_unused:UNUSED_PAD src0_sel:WORD_1 src1_sel:DWORD
	v_lshrrev_b32_e32 v42, 16, v22
	v_cmp_ne_u16_e32 vcc, 0, v52
	v_mov_b32_e32 v45, 0
	v_mov_b32_e32 v51, 0
	s_and_saveexec_b64 s[2:3], vcc
	s_cbranch_execz .LBB884_317
; %bb.312:
	s_movk_i32 s8, 0x80
	v_cmp_ne_u16_e32 vcc, s8, v52
	v_mov_b32_e32 v51, 0xffff8000
	s_and_saveexec_b64 s[8:9], vcc
	s_cbranch_execz .LBB884_316
; %bb.313:
	v_bfe_u32 v52, v22, 16, 7
	s_movk_i32 s10, 0x7f
	v_cmp_ne_u32_e32 vcc, s10, v52
	v_mov_b32_e32 v51, 0x7f80
	s_and_saveexec_b64 s[10:11], vcc
	s_cbranch_execz .LBB884_315
; %bb.314:
	v_and_b32_e32 v51, 7, v42
	v_ffbh_u32_e32 v54, v51
	v_min_u32_e32 v56, 32, v54
	v_subrev_u32_e32 v54, 28, v56
	v_lshlrev_b64 v[54:55], v54, v[42:43]
	v_lshrrev_b32_e32 v53, 3, v52
	v_sub_u32_e32 v42, 29, v56
	v_and_b32_e32 v54, 7, v54
	v_cmp_gt_u32_e32 vcc, 8, v52
	v_mov_b32_e32 v52, 24
	v_cndmask_b32_e32 v42, v53, v42, vcc
	v_cndmask_b32_e32 v51, v51, v54, vcc
	v_lshlrev_b32_sdwa v52, v52, v22 dst_sel:DWORD dst_unused:UNUSED_PAD src0_sel:DWORD src1_sel:WORD_1
	v_bfrev_b32_e32 v53, 60
	v_lshlrev_b32_e32 v51, 20, v51
	v_and_b32_e32 v52, 0x80000000, v52
	v_lshl_add_u32 v42, v42, 23, v53
	v_or3_b32 v42, v52, v42, v51
	v_lshrrev_b32_e32 v51, 16, v42
.LBB884_315:
	s_or_b64 exec, exec, s[10:11]
.LBB884_316:
	s_or_b64 exec, exec, s[8:9]
.LBB884_317:
	s_or_b64 exec, exec, s[2:3]
	s_mov_b32 s2, 0xffffff
	v_cmp_lt_u32_e32 vcc, s2, v22
	s_and_saveexec_b64 s[2:3], vcc
	s_cbranch_execz .LBB884_323
; %bb.318:
	v_lshrrev_b32_e32 v42, 24, v22
	s_movk_i32 s8, 0x80
	v_cmp_ne_u32_e32 vcc, s8, v42
	v_mov_b32_e32 v45, 0xffff8000
	s_and_saveexec_b64 s[8:9], vcc
	s_cbranch_execz .LBB884_322
; %bb.319:
	v_bfe_u32 v22, v22, 24, 7
	s_movk_i32 s10, 0x7f
	v_cmp_ne_u32_e32 vcc, s10, v22
	v_mov_b32_e32 v45, 0x7f80
	s_and_saveexec_b64 s[10:11], vcc
	s_cbranch_execz .LBB884_321
; %bb.320:
	v_and_b32_e32 v45, 7, v42
	v_ffbh_u32_e32 v52, v45
	v_min_u32_e32 v55, 32, v52
	v_subrev_u32_e32 v52, 28, v55
	v_lshlrev_b64 v[52:53], v52, v[42:43]
	v_lshrrev_b32_e32 v54, 3, v22
	v_sub_u32_e32 v53, 29, v55
	v_and_b32_e32 v52, 7, v52
	v_cmp_gt_u32_e32 vcc, 8, v22
	v_cndmask_b32_e32 v22, v54, v53, vcc
	v_cndmask_b32_e32 v45, v45, v52, vcc
	v_lshlrev_b32_e32 v42, 24, v42
	v_bfrev_b32_e32 v52, 60
	v_lshlrev_b32_e32 v45, 20, v45
	v_and_b32_e32 v42, 0x80000000, v42
	v_lshl_add_u32 v22, v22, 23, v52
	v_or3_b32 v22, v42, v22, v45
	v_lshrrev_b32_e32 v45, 16, v22
.LBB884_321:
	s_or_b64 exec, exec, s[10:11]
.LBB884_322:
	s_or_b64 exec, exec, s[8:9]
.LBB884_323:
	s_or_b64 exec, exec, s[2:3]
	v_mov_b32_e32 v42, 0
	v_cmp_ne_u16_sdwa s[8:9], v23, v42 src0_sel:BYTE_0 src1_sel:DWORD
	v_mov_b32_e32 v52, 0
	s_and_saveexec_b64 s[2:3], s[8:9]
	s_cbranch_execz .LBB884_329
; %bb.324:
	s_movk_i32 s8, 0x80
	v_cmp_ne_u16_sdwa s[10:11], v23, s8 src0_sel:BYTE_0 src1_sel:DWORD
	v_mov_b32_e32 v52, 0xffff8000
	s_and_saveexec_b64 s[8:9], s[10:11]
	s_cbranch_execz .LBB884_328
; %bb.325:
	s_movk_i32 s10, 0x7f
	v_and_b32_e32 v22, 0x7f, v23
	v_cmp_ne_u32_e32 vcc, s10, v22
	v_mov_b32_e32 v52, 0x7f80
	s_and_saveexec_b64 s[10:11], vcc
	s_cbranch_execz .LBB884_327
; %bb.326:
	v_and_b32_e32 v54, 7, v23
	v_ffbh_u32_e32 v53, v54
	v_min_u32_e32 v56, 32, v53
	v_mov_b32_e32 v52, v23
	v_subrev_u32_e32 v53, 28, v56
	v_lshlrev_b64 v[52:53], v53, v[52:53]
	v_lshrrev_b32_e32 v55, 3, v22
	v_sub_u32_e32 v53, 29, v56
	v_and_b32_e32 v52, 7, v52
	v_cmp_gt_u32_e32 vcc, 8, v22
	v_cndmask_b32_e32 v22, v55, v53, vcc
	v_cndmask_b32_e32 v52, v54, v52, vcc
	v_lshlrev_b32_e32 v53, 24, v23
	v_bfrev_b32_e32 v54, 60
	v_lshlrev_b32_e32 v52, 20, v52
	v_and_b32_e32 v53, 0x80000000, v53
	v_lshl_add_u32 v22, v22, 23, v54
	v_or3_b32 v22, v53, v22, v52
	v_lshrrev_b32_e32 v52, 16, v22
.LBB884_327:
	s_or_b64 exec, exec, s[10:11]
.LBB884_328:
	s_or_b64 exec, exec, s[8:9]
.LBB884_329:
	s_or_b64 exec, exec, s[2:3]
	v_lshrrev_b16_e32 v22, 8, v23
	v_cmp_ne_u16_e32 vcc, 0, v22
	s_and_saveexec_b64 s[2:3], vcc
	s_cbranch_execz .LBB884_335
; %bb.330:
	s_movk_i32 s8, 0x80
	v_cmp_ne_u16_e32 vcc, s8, v22
	v_mov_b32_e32 v42, 0xffff8000
	s_and_saveexec_b64 s[8:9], vcc
	s_cbranch_execz .LBB884_334
; %bb.331:
	s_movk_i32 s10, 0x7f
	v_and_b32_e32 v53, 0x7f, v22
	v_cmp_ne_u32_e32 vcc, s10, v53
	v_mov_b32_e32 v42, 0x7f80
	s_and_saveexec_b64 s[10:11], vcc
	s_cbranch_execz .LBB884_333
; %bb.332:
	v_and_b32_e32 v42, 7, v22
	v_ffbh_u32_e32 v54, v42
	v_min_u32_e32 v57, 32, v54
	v_subrev_u32_e32 v54, 28, v57
	v_lshlrev_b64 v[54:55], v54, v[22:23]
	v_lshrrev_b32_e32 v56, 3, v53
	v_sub_u32_e32 v22, 29, v57
	v_and_b32_e32 v54, 7, v54
	v_cmp_gt_u32_e32 vcc, 8, v53
	v_cndmask_b32_e32 v22, v56, v22, vcc
	v_cndmask_b32_e32 v42, v42, v54, vcc
	v_lshlrev_b32_e32 v53, 16, v23
	v_bfrev_b32_e32 v54, 60
	v_lshlrev_b32_e32 v42, 20, v42
	v_and_b32_e32 v53, 0x80000000, v53
	v_lshl_add_u32 v22, v22, 23, v54
	v_or3_b32 v22, v53, v22, v42
	v_lshrrev_b32_e32 v42, 16, v22
.LBB884_333:
	s_or_b64 exec, exec, s[10:11]
.LBB884_334:
	s_or_b64 exec, exec, s[8:9]
.LBB884_335:
	s_or_b64 exec, exec, s[2:3]
	s_movk_i32 s2, 0xff
	v_and_b32_sdwa v55, v23, s2 dst_sel:DWORD dst_unused:UNUSED_PAD src0_sel:WORD_1 src1_sel:DWORD
	v_lshrrev_b32_e32 v22, 16, v23
	v_cmp_ne_u16_e32 vcc, 0, v55
	v_mov_b32_e32 v53, 0
	v_mov_b32_e32 v54, 0
	s_and_saveexec_b64 s[2:3], vcc
	s_cbranch_execz .LBB884_341
; %bb.336:
	s_movk_i32 s8, 0x80
	v_cmp_ne_u16_e32 vcc, s8, v55
	v_mov_b32_e32 v54, 0xffff8000
	s_and_saveexec_b64 s[8:9], vcc
	s_cbranch_execz .LBB884_340
; %bb.337:
	v_bfe_u32 v55, v23, 16, 7
	s_movk_i32 s10, 0x7f
	v_cmp_ne_u32_e32 vcc, s10, v55
	v_mov_b32_e32 v54, 0x7f80
	s_and_saveexec_b64 s[10:11], vcc
	s_cbranch_execz .LBB884_339
; %bb.338:
	v_and_b32_e32 v54, 7, v22
	v_ffbh_u32_e32 v56, v54
	v_min_u32_e32 v59, 32, v56
	v_subrev_u32_e32 v56, 28, v59
	v_lshlrev_b64 v[56:57], v56, v[22:23]
	v_lshrrev_b32_e32 v58, 3, v55
	v_sub_u32_e32 v22, 29, v59
	v_and_b32_e32 v56, 7, v56
	v_cmp_gt_u32_e32 vcc, 8, v55
	v_mov_b32_e32 v55, 24
	v_cndmask_b32_e32 v22, v58, v22, vcc
	v_cndmask_b32_e32 v54, v54, v56, vcc
	v_lshlrev_b32_sdwa v55, v55, v23 dst_sel:DWORD dst_unused:UNUSED_PAD src0_sel:DWORD src1_sel:WORD_1
	v_bfrev_b32_e32 v56, 60
	v_lshlrev_b32_e32 v54, 20, v54
	v_and_b32_e32 v55, 0x80000000, v55
	v_lshl_add_u32 v22, v22, 23, v56
	v_or3_b32 v22, v55, v22, v54
	v_lshrrev_b32_e32 v54, 16, v22
.LBB884_339:
	s_or_b64 exec, exec, s[10:11]
.LBB884_340:
	s_or_b64 exec, exec, s[8:9]
.LBB884_341:
	s_or_b64 exec, exec, s[2:3]
	s_mov_b32 s2, 0xffffff
	v_cmp_lt_u32_e32 vcc, s2, v23
	s_and_saveexec_b64 s[2:3], vcc
	s_cbranch_execz .LBB884_347
; %bb.342:
	v_lshrrev_b32_e32 v22, 24, v23
	s_movk_i32 s8, 0x80
	v_cmp_ne_u32_e32 vcc, s8, v22
	v_mov_b32_e32 v53, 0xffff8000
	s_and_saveexec_b64 s[8:9], vcc
	s_cbranch_execz .LBB884_346
; %bb.343:
	v_bfe_u32 v23, v23, 24, 7
	s_movk_i32 s10, 0x7f
	v_cmp_ne_u32_e32 vcc, s10, v23
	v_mov_b32_e32 v53, 0x7f80
	s_and_saveexec_b64 s[10:11], vcc
	s_cbranch_execz .LBB884_345
; %bb.344:
	v_and_b32_e32 v53, 7, v22
	v_ffbh_u32_e32 v56, v53
	v_min_u32_e32 v58, 32, v56
	v_subrev_u32_e32 v56, 28, v58
	v_lshlrev_b64 v[56:57], v56, v[22:23]
	v_lshrrev_b32_e32 v55, 3, v23
	v_sub_u32_e32 v57, 29, v58
	v_and_b32_e32 v56, 7, v56
	v_cmp_gt_u32_e32 vcc, 8, v23
	v_cndmask_b32_e32 v23, v55, v57, vcc
	v_cndmask_b32_e32 v53, v53, v56, vcc
	v_lshlrev_b32_e32 v22, 24, v22
	v_bfrev_b32_e32 v55, 60
	v_lshlrev_b32_e32 v53, 20, v53
	v_and_b32_e32 v22, 0x80000000, v22
	v_lshl_add_u32 v23, v23, 23, v55
	v_or3_b32 v22, v22, v23, v53
	v_lshrrev_b32_e32 v53, 16, v22
.LBB884_345:
	s_or_b64 exec, exec, s[10:11]
.LBB884_346:
	s_or_b64 exec, exec, s[8:9]
.LBB884_347:
	s_or_b64 exec, exec, s[2:3]
	s_mov_b32 s2, 0x5040100
	v_perm_b32 v23, v45, v51, s2
	v_perm_b32 v22, v43, v44, s2
	s_nop 1
	v_mfma_f32_16x16x16bf16_1k v[56:59], v[22:23], v[26:27], 0
	v_perm_b32 v27, v53, v54, s2
	v_perm_b32 v26, v42, v52, s2
	v_mov_b32_e32 v23, 0
	v_cmp_ne_u16_sdwa s[8:9], v24, v23 src0_sel:BYTE_0 src1_sel:DWORD
	v_mov_b32_e32 v42, 0
	v_mfma_f32_16x16x16bf16_1k v[26:29], v[26:27], v[28:29], v[56:59]
	s_and_saveexec_b64 s[2:3], s[8:9]
	s_cbranch_execz .LBB884_353
; %bb.348:
	s_movk_i32 s8, 0x80
	v_cmp_ne_u16_sdwa s[10:11], v24, s8 src0_sel:BYTE_0 src1_sel:DWORD
	v_mov_b32_e32 v42, 0xffff8000
	s_and_saveexec_b64 s[8:9], s[10:11]
	s_cbranch_execz .LBB884_352
; %bb.349:
	s_movk_i32 s10, 0x7f
	v_and_b32_e32 v22, 0x7f, v24
	v_cmp_ne_u32_e32 vcc, s10, v22
	v_mov_b32_e32 v42, 0x7f80
	s_and_saveexec_b64 s[10:11], vcc
	s_cbranch_execz .LBB884_351
; %bb.350:
	v_and_b32_e32 v44, 7, v24
	v_ffbh_u32_e32 v42, v44
	v_min_u32_e32 v51, 32, v42
	v_subrev_u32_e32 v42, 28, v51
	v_lshlrev_b64 v[42:43], v42, v[24:25]
	v_lshrrev_b32_e32 v45, 3, v22
	v_sub_u32_e32 v43, 29, v51
	v_and_b32_e32 v42, 7, v42
	v_cmp_gt_u32_e32 vcc, 8, v22
	v_cndmask_b32_e32 v22, v45, v43, vcc
	v_cndmask_b32_e32 v42, v44, v42, vcc
	v_lshlrev_b32_e32 v43, 24, v24
	v_bfrev_b32_e32 v44, 60
	v_lshlrev_b32_e32 v42, 20, v42
	v_and_b32_e32 v43, 0x80000000, v43
	v_lshl_add_u32 v22, v22, 23, v44
	v_or3_b32 v22, v43, v22, v42
	v_lshrrev_b32_e32 v42, 16, v22
.LBB884_351:
	s_or_b64 exec, exec, s[10:11]
.LBB884_352:
	s_or_b64 exec, exec, s[8:9]
.LBB884_353:
	s_or_b64 exec, exec, s[2:3]
	v_lshrrev_b16_e32 v22, 8, v24
	v_cmp_ne_u16_e32 vcc, 0, v22
	s_and_saveexec_b64 s[2:3], vcc
	s_cbranch_execz .LBB884_359
; %bb.354:
	s_movk_i32 s8, 0x80
	v_cmp_ne_u16_e32 vcc, s8, v22
	v_mov_b32_e32 v23, 0xffff8000
	s_and_saveexec_b64 s[8:9], vcc
	s_cbranch_execz .LBB884_358
; %bb.355:
	s_movk_i32 s10, 0x7f
	v_and_b32_e32 v43, 0x7f, v22
	v_cmp_ne_u32_e32 vcc, s10, v43
	v_mov_b32_e32 v23, 0x7f80
	s_and_saveexec_b64 s[10:11], vcc
	s_cbranch_execz .LBB884_357
; %bb.356:
	v_and_b32_e32 v44, 7, v22
	v_ffbh_u32_e32 v23, v44
	v_min_u32_e32 v51, 32, v23
	v_subrev_u32_e32 v23, 28, v51
	v_lshlrev_b64 v[22:23], v23, v[22:23]
	v_lshrrev_b32_e32 v45, 3, v43
	v_sub_u32_e32 v23, 29, v51
	v_and_b32_e32 v22, 7, v22
	v_cmp_gt_u32_e32 vcc, 8, v43
	v_cndmask_b32_e32 v23, v45, v23, vcc
	v_cndmask_b32_e32 v22, v44, v22, vcc
	v_lshlrev_b32_e32 v43, 16, v24
	v_bfrev_b32_e32 v44, 60
	v_lshlrev_b32_e32 v22, 20, v22
	v_and_b32_e32 v43, 0x80000000, v43
	v_lshl_add_u32 v23, v23, 23, v44
	v_or3_b32 v22, v43, v23, v22
	v_lshrrev_b32_e32 v23, 16, v22
.LBB884_357:
	s_or_b64 exec, exec, s[10:11]
.LBB884_358:
	s_or_b64 exec, exec, s[8:9]
.LBB884_359:
	s_or_b64 exec, exec, s[2:3]
	s_movk_i32 s2, 0xff
	v_and_b32_sdwa v45, v24, s2 dst_sel:DWORD dst_unused:UNUSED_PAD src0_sel:WORD_1 src1_sel:DWORD
	v_lshrrev_b32_e32 v22, 16, v24
	v_cmp_ne_u16_e32 vcc, 0, v45
	v_mov_b32_e32 v43, 0
	v_mov_b32_e32 v44, 0
	s_and_saveexec_b64 s[2:3], vcc
	s_cbranch_execz .LBB884_365
; %bb.360:
	s_movk_i32 s8, 0x80
	v_cmp_ne_u16_e32 vcc, s8, v45
	v_mov_b32_e32 v44, 0xffff8000
	s_and_saveexec_b64 s[8:9], vcc
	s_cbranch_execz .LBB884_364
; %bb.361:
	v_bfe_u32 v45, v24, 16, 7
	s_movk_i32 s10, 0x7f
	v_cmp_ne_u32_e32 vcc, s10, v45
	v_mov_b32_e32 v44, 0x7f80
	s_and_saveexec_b64 s[10:11], vcc
	s_cbranch_execz .LBB884_363
; %bb.362:
	v_and_b32_e32 v44, 7, v22
	v_ffbh_u32_e32 v52, v44
	v_min_u32_e32 v54, 32, v52
	v_subrev_u32_e32 v52, 28, v54
	v_lshlrev_b64 v[52:53], v52, v[22:23]
	v_lshrrev_b32_e32 v51, 3, v45
	v_sub_u32_e32 v22, 29, v54
	v_and_b32_e32 v52, 7, v52
	v_cmp_gt_u32_e32 vcc, 8, v45
	v_mov_b32_e32 v45, 24
	v_cndmask_b32_e32 v22, v51, v22, vcc
	v_cndmask_b32_e32 v44, v44, v52, vcc
	v_lshlrev_b32_sdwa v45, v45, v24 dst_sel:DWORD dst_unused:UNUSED_PAD src0_sel:DWORD src1_sel:WORD_1
	v_bfrev_b32_e32 v51, 60
	v_lshlrev_b32_e32 v44, 20, v44
	v_and_b32_e32 v45, 0x80000000, v45
	v_lshl_add_u32 v22, v22, 23, v51
	v_or3_b32 v22, v45, v22, v44
	v_lshrrev_b32_e32 v44, 16, v22
.LBB884_363:
	s_or_b64 exec, exec, s[10:11]
.LBB884_364:
	s_or_b64 exec, exec, s[8:9]
.LBB884_365:
	s_or_b64 exec, exec, s[2:3]
	s_mov_b32 s2, 0xffffff
	v_cmp_lt_u32_e32 vcc, s2, v24
	s_and_saveexec_b64 s[2:3], vcc
	s_cbranch_execz .LBB884_371
; %bb.366:
	v_lshrrev_b32_e32 v22, 24, v24
	s_movk_i32 s8, 0x80
	v_cmp_ne_u32_e32 vcc, s8, v22
	v_mov_b32_e32 v43, 0xffff8000
	s_and_saveexec_b64 s[8:9], vcc
	s_cbranch_execz .LBB884_370
; %bb.367:
	v_bfe_u32 v24, v24, 24, 7
	s_movk_i32 s10, 0x7f
	v_cmp_ne_u32_e32 vcc, s10, v24
	v_mov_b32_e32 v43, 0x7f80
	s_and_saveexec_b64 s[10:11], vcc
	s_cbranch_execz .LBB884_369
; %bb.368:
	v_and_b32_e32 v43, 7, v22
	v_ffbh_u32_e32 v51, v43
	v_min_u32_e32 v51, 32, v51
	v_subrev_u32_e32 v52, 28, v51
	v_lshlrev_b64 v[52:53], v52, v[22:23]
	v_lshrrev_b32_e32 v45, 3, v24
	v_sub_u32_e32 v51, 29, v51
	v_and_b32_e32 v52, 7, v52
	v_cmp_gt_u32_e32 vcc, 8, v24
	v_cndmask_b32_e32 v24, v45, v51, vcc
	v_cndmask_b32_e32 v43, v43, v52, vcc
	v_lshlrev_b32_e32 v22, 24, v22
	v_bfrev_b32_e32 v45, 60
	v_lshlrev_b32_e32 v43, 20, v43
	v_and_b32_e32 v22, 0x80000000, v22
	v_lshl_add_u32 v24, v24, 23, v45
	v_or3_b32 v22, v22, v24, v43
	v_lshrrev_b32_e32 v43, 16, v22
.LBB884_369:
	s_or_b64 exec, exec, s[10:11]
.LBB884_370:
	s_or_b64 exec, exec, s[8:9]
.LBB884_371:
	s_or_b64 exec, exec, s[2:3]
	v_mov_b32_e32 v24, 0
	v_cmp_ne_u16_sdwa s[8:9], v25, v24 src0_sel:BYTE_0 src1_sel:DWORD
	v_mov_b32_e32 v51, 0
	s_and_saveexec_b64 s[2:3], s[8:9]
	s_cbranch_execz .LBB884_377
; %bb.372:
	s_movk_i32 s8, 0x80
	v_cmp_ne_u16_sdwa s[10:11], v25, s8 src0_sel:BYTE_0 src1_sel:DWORD
	v_mov_b32_e32 v51, 0xffff8000
	s_and_saveexec_b64 s[8:9], s[10:11]
	s_cbranch_execz .LBB884_376
; %bb.373:
	s_movk_i32 s10, 0x7f
	v_and_b32_e32 v22, 0x7f, v25
	v_cmp_ne_u32_e32 vcc, s10, v22
	v_mov_b32_e32 v51, 0x7f80
	s_and_saveexec_b64 s[10:11], vcc
	s_cbranch_execz .LBB884_375
; %bb.374:
	v_and_b32_e32 v45, 7, v25
	v_ffbh_u32_e32 v53, v45
	v_min_u32_e32 v54, 32, v53
	v_mov_b32_e32 v52, v25
	v_subrev_u32_e32 v53, 28, v54
	v_lshlrev_b64 v[52:53], v53, v[52:53]
	v_lshrrev_b32_e32 v51, 3, v22
	v_sub_u32_e32 v53, 29, v54
	v_and_b32_e32 v52, 7, v52
	v_cmp_gt_u32_e32 vcc, 8, v22
	v_cndmask_b32_e32 v22, v51, v53, vcc
	v_cndmask_b32_e32 v45, v45, v52, vcc
	v_lshlrev_b32_e32 v51, 24, v25
	v_bfrev_b32_e32 v52, 60
	v_lshlrev_b32_e32 v45, 20, v45
	v_and_b32_e32 v51, 0x80000000, v51
	v_lshl_add_u32 v22, v22, 23, v52
	v_or3_b32 v22, v51, v22, v45
	v_lshrrev_b32_e32 v51, 16, v22
.LBB884_375:
	s_or_b64 exec, exec, s[10:11]
.LBB884_376:
	s_or_b64 exec, exec, s[8:9]
.LBB884_377:
	s_or_b64 exec, exec, s[2:3]
	v_lshrrev_b16_e32 v22, 8, v25
	v_cmp_ne_u16_e32 vcc, 0, v22
	s_and_saveexec_b64 s[2:3], vcc
	s_cbranch_execz .LBB884_383
; %bb.378:
	s_movk_i32 s8, 0x80
	v_cmp_ne_u16_e32 vcc, s8, v22
	v_mov_b32_e32 v24, 0xffff8000
	s_and_saveexec_b64 s[8:9], vcc
	s_cbranch_execz .LBB884_382
; %bb.379:
	s_movk_i32 s10, 0x7f
	v_and_b32_e32 v45, 0x7f, v22
	v_cmp_ne_u32_e32 vcc, s10, v45
	v_mov_b32_e32 v24, 0x7f80
	s_and_saveexec_b64 s[10:11], vcc
	s_cbranch_execz .LBB884_381
; %bb.380:
	v_and_b32_e32 v24, 7, v22
	v_ffbh_u32_e32 v52, v24
	v_min_u32_e32 v55, 32, v52
	v_subrev_u32_e32 v52, 28, v55
	v_lshlrev_b64 v[52:53], v52, v[22:23]
	v_lshrrev_b32_e32 v54, 3, v45
	v_sub_u32_e32 v22, 29, v55
	v_and_b32_e32 v52, 7, v52
	v_cmp_gt_u32_e32 vcc, 8, v45
	v_cndmask_b32_e32 v22, v54, v22, vcc
	v_cndmask_b32_e32 v24, v24, v52, vcc
	v_lshlrev_b32_e32 v45, 16, v25
	v_bfrev_b32_e32 v52, 60
	v_lshlrev_b32_e32 v24, 20, v24
	v_and_b32_e32 v45, 0x80000000, v45
	v_lshl_add_u32 v22, v22, 23, v52
	v_or3_b32 v22, v45, v22, v24
	v_lshrrev_b32_e32 v24, 16, v22
.LBB884_381:
	s_or_b64 exec, exec, s[10:11]
.LBB884_382:
	s_or_b64 exec, exec, s[8:9]
.LBB884_383:
	s_or_b64 exec, exec, s[2:3]
	s_movk_i32 s2, 0xff
	v_and_b32_sdwa v45, v25, s2 dst_sel:DWORD dst_unused:UNUSED_PAD src0_sel:WORD_1 src1_sel:DWORD
	v_lshrrev_b32_e32 v22, 16, v25
	v_cmp_ne_u16_e32 vcc, 0, v45
	v_mov_b32_e32 v52, 0
	v_mov_b32_e32 v53, 0
	s_and_saveexec_b64 s[2:3], vcc
	s_cbranch_execz .LBB884_389
; %bb.384:
	s_movk_i32 s8, 0x80
	v_cmp_ne_u16_e32 vcc, s8, v45
	v_mov_b32_e32 v53, 0xffff8000
	s_and_saveexec_b64 s[8:9], vcc
	s_cbranch_execz .LBB884_388
; %bb.385:
	v_bfe_u32 v45, v25, 16, 7
	s_movk_i32 s10, 0x7f
	v_cmp_ne_u32_e32 vcc, s10, v45
	v_mov_b32_e32 v53, 0x7f80
	s_and_saveexec_b64 s[10:11], vcc
	s_cbranch_execz .LBB884_387
; %bb.386:
	v_and_b32_e32 v53, 7, v22
	v_ffbh_u32_e32 v54, v53
	v_min_u32_e32 v57, 32, v54
	v_subrev_u32_e32 v54, 28, v57
	v_lshlrev_b64 v[54:55], v54, v[22:23]
	v_and_b32_e32 v54, 7, v54
	v_cmp_gt_u32_e32 vcc, 8, v45
	v_lshrrev_b32_e32 v56, 3, v45
	v_sub_u32_e32 v22, 29, v57
	v_cndmask_b32_e32 v45, v53, v54, vcc
	v_mov_b32_e32 v53, 24
	v_cndmask_b32_e32 v22, v56, v22, vcc
	v_lshlrev_b32_sdwa v53, v53, v25 dst_sel:DWORD dst_unused:UNUSED_PAD src0_sel:DWORD src1_sel:WORD_1
	v_bfrev_b32_e32 v54, 60
	v_lshlrev_b32_e32 v45, 20, v45
	v_and_b32_e32 v53, 0x80000000, v53
	v_lshl_add_u32 v22, v22, 23, v54
	v_or3_b32 v22, v53, v22, v45
	v_lshrrev_b32_e32 v53, 16, v22
.LBB884_387:
	s_or_b64 exec, exec, s[10:11]
.LBB884_388:
	s_or_b64 exec, exec, s[8:9]
.LBB884_389:
	s_or_b64 exec, exec, s[2:3]
	s_mov_b32 s2, 0xffffff
	v_and_b32_e32 v45, 63, v0
	v_cmp_lt_u32_e32 vcc, s2, v25
	s_and_saveexec_b64 s[2:3], vcc
	s_cbranch_execz .LBB884_395
; %bb.390:
	v_lshrrev_b32_e32 v22, 24, v25
	s_movk_i32 s8, 0x80
	v_cmp_ne_u32_e32 vcc, s8, v22
	v_mov_b32_e32 v52, 0xffff8000
	s_and_saveexec_b64 s[8:9], vcc
	s_cbranch_execz .LBB884_394
; %bb.391:
	v_bfe_u32 v25, v25, 24, 7
	s_movk_i32 s10, 0x7f
	v_cmp_ne_u32_e32 vcc, s10, v25
	v_mov_b32_e32 v52, 0x7f80
	s_and_saveexec_b64 s[10:11], vcc
	s_cbranch_execz .LBB884_393
; %bb.392:
	v_and_b32_e32 v52, 7, v22
	v_ffbh_u32_e32 v54, v52
	v_min_u32_e32 v57, 32, v54
	v_subrev_u32_e32 v54, 28, v57
	v_lshlrev_b64 v[54:55], v54, v[22:23]
	v_lshrrev_b32_e32 v56, 3, v25
	v_sub_u32_e32 v55, 29, v57
	v_and_b32_e32 v54, 7, v54
	v_cmp_gt_u32_e32 vcc, 8, v25
	v_cndmask_b32_e32 v25, v56, v55, vcc
	v_cndmask_b32_e32 v52, v52, v54, vcc
	v_lshlrev_b32_e32 v22, 24, v22
	v_bfrev_b32_e32 v54, 60
	v_lshlrev_b32_e32 v52, 20, v52
	v_and_b32_e32 v22, 0x80000000, v22
	v_lshl_add_u32 v25, v25, 23, v54
	v_or3_b32 v22, v22, v25, v52
	v_lshrrev_b32_e32 v52, 16, v22
.LBB884_393:
	s_or_b64 exec, exec, s[10:11]
.LBB884_394:
	s_or_b64 exec, exec, s[8:9]
.LBB884_395:
	s_or_b64 exec, exec, s[2:3]
	s_mov_b32 s3, 0x5040100
	v_perm_b32 v43, v43, v44, s3
	v_perm_b32 v42, v23, v42, s3
	s_load_dword s2, s[4:5], 0x1c
	s_mov_b32 s46, 0xff7fffff
	s_waitcnt lgkmcnt(0)
	v_mfma_f32_16x16x16bf16_1k v[26:29], v[42:43], v[18:19], v[26:29]
	v_perm_b32 v19, v52, v53, s3
	v_perm_b32 v18, v24, v51, s3
	v_and_b32_e32 v24, 0xc0, v0
	v_mov_b32_e32 v22, s2
	v_add_u32_e32 v24, s20, v24
	v_mul_f32_e32 v44, s12, v22
	v_lshl_or_b32 v42, v1, 2, v24
	v_mfma_f32_16x16x16bf16_1k v[18:21], v[18:19], v[20:21], v[26:29]
	v_pk_mul_f32 v[22:23], v[44:45], v[36:37] op_sel_hi:[0,1]
	v_pk_mul_f32 v[36:37], v[44:45], v[40:41] op_sel_hi:[0,1]
	;; [unrolled: 1-line block ×4, first 2 shown]
	v_mov_b32_e32 v43, 0xff7fffff
	v_cmp_gt_i32_e64 s[26:27], s33, v42
	v_pk_mul_f32 v[38:39], v[44:45], v[38:39] op_sel_hi:[0,1]
	s_nop 3
	v_pk_mul_f32 v[32:33], v[44:45], v[18:19] op_sel_hi:[0,1]
	v_or_b32_e32 v19, 1, v42
	v_cmp_gt_i32_e64 s[28:29], s33, v19
	v_cndmask_b32_e64 v18, v43, v30, s[26:27]
	v_cndmask_b32_e64 v19, v43, v31, s[28:29]
	v_pk_mul_f32 v[24:25], v[44:45], v[20:21] op_sel_hi:[0,1]
	v_max3_f32 v18, v18, s46, v19
	v_or_b32_e32 v19, 2, v42
	v_or_b32_e32 v20, 3, v42
	v_cmp_gt_i32_e64 s[30:31], s33, v19
	v_cmp_gt_i32_e64 s[34:35], s33, v20
	v_cndmask_b32_e64 v19, v43, v40, s[30:31]
	v_cndmask_b32_e64 v20, v43, v41, s[34:35]
	v_max3_f32 v18, v18, v19, v20
	v_or_b32_e32 v19, 16, v42
	v_or_b32_e32 v20, 17, v42
	v_cmp_gt_i32_e64 s[36:37], s33, v19
	v_cmp_gt_i32_e64 s[38:39], s33, v20
	v_cndmask_b32_e64 v19, v43, v38, s[36:37]
	v_cndmask_b32_e64 v20, v43, v39, s[38:39]
	;; [unrolled: 7-line block ×3, first 2 shown]
	v_max3_f32 v18, v18, v19, v20
	v_or_b32_e32 v19, 32, v42
	v_or_b32_e32 v20, 33, v42
	v_pk_mul_f32 v[34:35], v[44:45], v[34:35] op_sel_hi:[0,1]
	v_cmp_gt_i32_e64 s[16:17], s33, v19
	v_cmp_gt_i32_e64 s[18:19], s33, v20
	v_cndmask_b32_e64 v19, v43, v34, s[16:17]
	v_cndmask_b32_e64 v20, v43, v35, s[18:19]
	v_max3_f32 v18, v18, v19, v20
	v_or_b32_e32 v19, 34, v42
	v_or_b32_e32 v20, 35, v42
	v_cmp_gt_i32_e64 s[12:13], s33, v19
	v_cmp_gt_i32_e64 s[14:15], s33, v20
	v_cndmask_b32_e64 v19, v43, v22, s[12:13]
	v_cndmask_b32_e64 v20, v43, v23, s[14:15]
	v_max3_f32 v18, v18, v19, v20
	v_or_b32_e32 v19, 48, v42
	v_or_b32_e32 v20, 49, v42
	;; [unrolled: 7-line block ×3, first 2 shown]
	v_cmp_gt_i32_e32 vcc, s33, v19
	v_cmp_gt_i32_e64 s[2:3], s33, v20
	v_cndmask_b32_e32 v19, v43, v24, vcc
	v_cndmask_b32_e64 v20, v43, v25, s[2:3]
	v_max3_f32 v18, v18, v19, v20
	v_mbcnt_lo_u32_b32 v19, -1, 0
	v_mbcnt_hi_u32_b32 v19, -1, v19
	v_and_b32_e32 v20, 64, v19
	v_add_u32_e32 v20, 64, v20
	v_xor_b32_e32 v21, 32, v19
	v_cmp_lt_i32_e64 s[40:41], v21, v20
	v_cndmask_b32_e64 v21, v19, v21, s[40:41]
	v_lshlrev_b32_e32 v43, 2, v21
	ds_bpermute_b32 v21, v43, v18
	s_barrier
	s_waitcnt lgkmcnt(0)
	v_max_f32_e32 v21, v21, v21
	v_max_f32_e32 v18, v18, v21
	v_xor_b32_e32 v21, 16, v19
	v_cmp_lt_i32_e64 s[40:41], v21, v20
	v_cndmask_b32_e64 v19, v19, v21, s[40:41]
	v_lshlrev_b32_e32 v44, 2, v19
	ds_bpermute_b32 v19, v44, v18
	s_waitcnt lgkmcnt(0)
	v_max_f32_e32 v19, v19, v19
	v_max_f32_e32 v42, v18, v19
	v_sub_f32_e32 v21, v40, v42
	v_sub_f32_e32 v26, v41, v42
	v_mul_f32_e32 v21, 0x3fb8aa3b, v21
	v_mul_f32_e32 v26, 0x3fb8aa3b, v26
	v_sub_f32_e32 v18, v30, v42
	v_exp_f32_e32 v21, v21
	v_exp_f32_e32 v26, v26
	v_mul_f32_e32 v18, 0x3fb8aa3b, v18
	v_sub_f32_e32 v19, v31, v42
	v_exp_f32_e32 v18, v18
	v_mul_f32_e32 v19, 0x3fb8aa3b, v19
	v_exp_f32_e32 v19, v19
	v_cndmask_b32_e64 v28, 0, v21, s[30:31]
	v_cndmask_b32_e64 v29, 0, v26, s[34:35]
	v_sub_f32_e32 v21, v38, v42
	v_sub_f32_e32 v26, v39, v42
	v_mul_f32_e32 v21, 0x3fb8aa3b, v21
	v_mul_f32_e32 v26, 0x3fb8aa3b, v26
	v_cndmask_b32_e64 v18, 0, v18, s[26:27]
	v_exp_f32_e32 v21, v21
	v_exp_f32_e32 v26, v26
	v_add_f32_e32 v20, 0, v18
	v_cndmask_b32_e64 v19, 0, v19, s[28:29]
	v_add_f32_e32 v20, v20, v19
	v_add_f32_e32 v20, v20, v28
	;; [unrolled: 1-line block ×3, first 2 shown]
	v_cndmask_b32_e64 v20, 0, v21, s[36:37]
	v_cndmask_b32_e64 v21, 0, v26, s[38:39]
	v_sub_f32_e32 v26, v36, v42
	v_mul_f32_e32 v26, 0x3fb8aa3b, v26
	v_exp_f32_e32 v26, v26
	v_sub_f32_e32 v30, v37, v42
	v_add_f32_e32 v27, v27, v20
	v_mul_f32_e32 v30, 0x3fb8aa3b, v30
	v_exp_f32_e32 v31, v30
	v_add_f32_e32 v27, v27, v21
	v_cndmask_b32_e64 v30, 0, v26, s[20:21]
	v_add_f32_e32 v26, v27, v30
	v_sub_f32_e32 v27, v34, v42
	v_mul_f32_e32 v27, 0x3fb8aa3b, v27
	v_sub_f32_e32 v34, v35, v42
	v_exp_f32_e32 v27, v27
	v_mul_f32_e32 v34, 0x3fb8aa3b, v34
	v_sub_f32_e32 v22, v22, v42
	v_exp_f32_e32 v34, v34
	;; [unrolled: 3-line block ×3, first 2 shown]
	v_mul_f32_e32 v23, 0x3fb8aa3b, v23
	v_cndmask_b32_e64 v31, 0, v31, s[22:23]
	v_exp_f32_e32 v23, v23
	v_add_f32_e32 v35, v26, v31
	v_cndmask_b32_e64 v26, 0, v27, s[16:17]
	v_add_f32_e32 v35, v35, v26
	v_cndmask_b32_e64 v27, 0, v34, s[18:19]
	v_add_f32_e32 v35, v35, v27
	v_cndmask_b32_e64 v34, 0, v22, s[12:13]
	v_add_f32_e32 v22, v35, v34
	v_cndmask_b32_e64 v35, 0, v23, s[14:15]
	v_sub_f32_e32 v23, v32, v42
	v_mul_f32_e32 v23, 0x3fb8aa3b, v23
	v_sub_f32_e32 v32, v33, v42
	v_exp_f32_e32 v23, v23
	v_mul_f32_e32 v32, 0x3fb8aa3b, v32
	v_sub_f32_e32 v24, v24, v42
	v_exp_f32_e32 v32, v32
	;; [unrolled: 3-line block ×3, first 2 shown]
	v_mul_f32_e32 v25, 0x3fb8aa3b, v25
	v_exp_f32_e32 v25, v25
	v_add_f32_e32 v33, v22, v35
	v_cndmask_b32_e64 v22, 0, v23, s[8:9]
	v_add_f32_e32 v33, v33, v22
	v_cndmask_b32_e64 v23, 0, v32, s[10:11]
	v_add_f32_e32 v32, v33, v23
	v_cndmask_b32_e32 v24, 0, v24, vcc
	v_add_f32_e32 v32, v32, v24
	v_cndmask_b32_e64 v25, 0, v25, s[2:3]
	v_add_f32_e32 v32, v32, v25
	ds_bpermute_b32 v33, v43, v32
	v_cmp_gt_u32_e32 vcc, 16, v45
	s_waitcnt lgkmcnt(0)
	v_add_f32_e32 v32, v32, v33
	ds_bpermute_b32 v36, v44, v32
	v_lshlrev_b32_e32 v33, 2, v49
	s_and_saveexec_b64 s[2:3], vcc
	s_cbranch_execz .LBB884_397
; %bb.396:
	s_waitcnt lgkmcnt(0)
	v_add_f32_e32 v32, v32, v36
	v_lshl_or_b32 v36, v50, 6, v33
	ds_write2st64_b32 v36, v42, v32 offset1:1
.LBB884_397:
	s_or_b64 exec, exec, s[2:3]
	s_waitcnt lgkmcnt(0)
	s_barrier
	ds_read2_b32 v[36:37], v33 offset1:16
	ds_read2_b32 v[38:39], v33 offset0:32 offset1:48
	ds_read2_b32 v[40:41], v33 offset0:64 offset1:80
	s_mul_i32 s12, s45, 7
	s_waitcnt lgkmcnt(2)
	v_max3_f32 v32, v36, s46, v37
	s_waitcnt lgkmcnt(1)
	v_max3_f32 v32, v32, v38, v39
	v_sub_f32_e32 v36, v36, v32
	v_mul_f32_e32 v36, 0x3fb8aa3b, v36
	v_exp_f32_e32 v42, v36
	v_sub_f32_e32 v36, v37, v32
	v_mul_f32_e32 v36, 0x3fb8aa3b, v36
	v_exp_f32_e32 v43, v36
	;; [unrolled: 3-line block ×3, first 2 shown]
	ds_read2_b32 v[36:37], v33 offset0:96 offset1:112
	v_sub_f32_e32 v33, v39, v32
	v_mul_f32_e32 v33, 0x3fb8aa3b, v33
	v_exp_f32_e32 v39, v33
	s_waitcnt lgkmcnt(1)
	v_fma_f32 v33, v42, v40, 0
	v_fmac_f32_e32 v33, v43, v41
	s_waitcnt lgkmcnt(0)
	v_fmac_f32_e32 v33, v38, v36
	v_fmac_f32_e32 v33, v39, v37
	v_add_f32_e32 v36, 0x358637bd, v33
	v_div_scale_f32 v37, s[2:3], v36, v36, 1.0
	v_rcp_f32_e32 v40, v37
	s_movk_i32 s2, 0x7fff
	s_mov_b32 s3, 0x7060302
	v_fma_f32 v41, -v37, v40, 1.0
	v_fmac_f32_e32 v40, v41, v40
	v_div_scale_f32 v41, vcc, 1.0, v36, 1.0
	v_mul_f32_e32 v44, v41, v40
	v_fma_f32 v45, -v37, v44, v41
	v_fmac_f32_e32 v44, v45, v40
	v_fma_f32 v37, -v37, v44, v41
	v_div_fmas_f32 v37, v37, v40, v44
	v_cmp_eq_u32_e32 vcc, 1, v50
	v_div_fixup_f32 v36, v37, v36, 1.0
	v_cndmask_b32_e32 v37, v42, v43, vcc
	v_cmp_eq_u32_e32 vcc, 2, v50
	v_cndmask_b32_e32 v37, v37, v38, vcc
	v_cmp_eq_u32_e32 vcc, 3, v50
	v_cndmask_b32_e32 v37, v37, v39, vcc
	v_mul_f32_e32 v36, v37, v36
	v_pk_mul_f32 v[18:19], v[36:37], v[18:19] op_sel_hi:[0,1]
	v_pk_mul_f32 v[28:29], v[36:37], v[28:29] op_sel_hi:[0,1]
	v_bfe_u32 v37, v19, 16, 1
	v_bfe_u32 v38, v18, 16, 1
	v_add3_u32 v18, v18, v38, s2
	v_add3_u32 v19, v19, v37, s2
	v_perm_b32 v18, v19, v18, s3
	v_bfe_u32 v19, v29, 16, 1
	v_bfe_u32 v37, v28, 16, 1
	v_add3_u32 v28, v28, v37, s2
	v_add3_u32 v19, v29, v19, s2
	v_perm_b32 v19, v19, v28, s3
	v_lshlrev_b32_e32 v28, 3, v1
	v_lshlrev_b32_e32 v29, 11, v50
	v_pk_mul_f32 v[20:21], v[36:37], v[20:21] op_sel_hi:[0,1]
	v_or3_b32 v28, v29, v48, v28
	v_pk_mul_f32 v[30:31], v[36:37], v[30:31] op_sel_hi:[0,1]
	v_bfe_u32 v29, v21, 16, 1
	v_bfe_u32 v37, v20, 16, 1
	v_add3_u32 v20, v20, v37, s2
	v_add3_u32 v21, v21, v29, s2
	v_perm_b32 v20, v21, v20, s3
	v_bfe_u32 v21, v31, 16, 1
	v_bfe_u32 v29, v30, 16, 1
	v_add3_u32 v29, v30, v29, s2
	v_add3_u32 v21, v31, v21, s2
	v_perm_b32 v21, v21, v29, s3
	s_barrier
	ds_write2st64_b64 v28, v[18:19], v[20:21] offset1:1
	v_pk_mul_f32 v[20:21], v[36:37], v[26:27] op_sel_hi:[0,1]
	v_bfe_u32 v26, v21, 16, 1
	v_bfe_u32 v27, v20, 16, 1
	v_pk_mul_f32 v[18:19], v[36:37], v[34:35] op_sel_hi:[0,1]
	v_add3_u32 v20, v20, v27, s2
	v_add3_u32 v21, v21, v26, s2
	v_perm_b32 v20, v21, v20, s3
	v_bfe_u32 v21, v19, 16, 1
	v_bfe_u32 v26, v18, 16, 1
	v_add3_u32 v18, v18, v26, s2
	v_add3_u32 v19, v19, v21, s2
	v_pk_mul_f32 v[22:23], v[36:37], v[22:23] op_sel_hi:[0,1]
	v_perm_b32 v21, v19, v18, s3
	v_pk_mul_f32 v[18:19], v[36:37], v[24:25] op_sel_hi:[0,1]
	v_bfe_u32 v24, v23, 16, 1
	v_bfe_u32 v25, v22, 16, 1
	v_add3_u32 v22, v22, v25, s2
	v_add3_u32 v23, v23, v24, s2
	v_perm_b32 v22, v23, v22, s3
	v_bfe_u32 v23, v19, 16, 1
	v_bfe_u32 v24, v18, 16, 1
	v_add3_u32 v18, v18, v24, s2
	v_add3_u32 v19, v19, v23, s2
	v_perm_b32 v23, v19, v18, s3
	v_cmp_gt_u32_e32 vcc, 7, v0
	ds_write2st64_b64 v28, v[20:21], v[22:23] offset0:2 offset1:3
	s_and_saveexec_b64 s[2:3], vcc
	s_cbranch_execz .LBB884_399
; %bb.398:
	v_add_co_u32_e32 v20, vcc, s25, v49
	v_addc_co_u32_e64 v21, s[14:15], 0, 0, vcc
	v_mov_b32_e32 v18, s12
	v_mov_b32_e32 v19, 0
	v_mad_u64_u32 v[20:21], s[14:15], s6, v18, v[20:21]
	v_mov_b32_e32 v18, s24
	s_load_dwordx4 s[8:11], s[4:5], 0x58
	s_mul_i32 s7, s7, s12
	v_mad_u64_u32 v[18:19], s[14:15], v20, s44, v[18:19]
	v_add_u32_e32 v21, s7, v21
	v_mov_b32_e32 v20, v19
	v_mad_u64_u32 v[20:21], s[14:15], v21, s44, v[20:21]
	v_mov_b32_e32 v19, v20
	v_lshlrev_b64 v[18:19], 2, v[18:19]
	s_waitcnt lgkmcnt(0)
	v_mov_b32_e32 v21, s11
	v_add_co_u32_e32 v20, vcc, s10, v18
	v_addc_co_u32_e32 v21, vcc, v21, v19, vcc
	global_store_dword v[20:21], v32, off
	v_mov_b32_e32 v20, s9
	v_add_co_u32_e32 v18, vcc, s8, v18
	v_addc_co_u32_e32 v19, vcc, v20, v19, vcc
	global_store_dword v[18:19], v33, off
.LBB884_399:
	s_or_b64 exec, exec, s[2:3]
	v_mov_b32_e32 v19, 0
	s_waitcnt vmcnt(3)
	v_cmp_ne_u16_sdwa s[8:9], v14, v19 src0_sel:BYTE_0 src1_sel:DWORD
	v_mov_b32_e32 v20, 0
	s_waitcnt lgkmcnt(0)
	s_barrier
	s_and_saveexec_b64 s[2:3], s[8:9]
	s_cbranch_execz .LBB884_405
; %bb.400:
	s_movk_i32 s7, 0x80
	v_cmp_ne_u16_sdwa s[10:11], v14, s7 src0_sel:BYTE_0 src1_sel:DWORD
	v_mov_b32_e32 v20, 0xffff8000
	s_and_saveexec_b64 s[8:9], s[10:11]
	s_cbranch_execz .LBB884_404
; %bb.401:
	s_movk_i32 s7, 0x7f
	v_and_b32_e32 v18, 0x7f, v14
	v_cmp_ne_u32_e32 vcc, s7, v18
	v_mov_b32_e32 v20, 0x7f80
	s_and_saveexec_b64 s[10:11], vcc
	s_cbranch_execz .LBB884_403
; %bb.402:
	v_and_b32_e32 v22, 7, v14
	v_ffbh_u32_e32 v20, v22
	v_min_u32_e32 v24, 32, v20
	v_subrev_u32_e32 v20, 28, v24
	v_lshlrev_b64 v[20:21], v20, v[14:15]
	v_lshrrev_b32_e32 v23, 3, v18
	v_sub_u32_e32 v21, 29, v24
	v_and_b32_e32 v20, 7, v20
	v_cmp_gt_u32_e32 vcc, 8, v18
	v_cndmask_b32_e32 v18, v23, v21, vcc
	v_cndmask_b32_e32 v20, v22, v20, vcc
	v_lshlrev_b32_e32 v21, 24, v14
	v_bfrev_b32_e32 v22, 60
	v_lshlrev_b32_e32 v20, 20, v20
	v_and_b32_e32 v21, 0x80000000, v21
	v_lshl_add_u32 v18, v18, 23, v22
	v_or3_b32 v18, v21, v18, v20
	v_lshrrev_b32_e32 v20, 16, v18
.LBB884_403:
	s_or_b64 exec, exec, s[10:11]
.LBB884_404:
	s_or_b64 exec, exec, s[8:9]
.LBB884_405:
	s_or_b64 exec, exec, s[2:3]
	v_lshrrev_b16_e32 v18, 8, v14
	v_cmp_ne_u16_e32 vcc, 0, v18
	s_and_saveexec_b64 s[2:3], vcc
	s_cbranch_execz .LBB884_411
; %bb.406:
	s_movk_i32 s7, 0x80
	v_cmp_ne_u16_e32 vcc, s7, v18
	v_mov_b32_e32 v19, 0xffff8000
	s_and_saveexec_b64 s[8:9], vcc
	s_cbranch_execz .LBB884_410
; %bb.407:
	s_movk_i32 s7, 0x7f
	v_and_b32_e32 v21, 0x7f, v18
	v_cmp_ne_u32_e32 vcc, s7, v21
	v_mov_b32_e32 v19, 0x7f80
	s_and_saveexec_b64 s[10:11], vcc
	s_cbranch_execz .LBB884_409
; %bb.408:
	v_and_b32_e32 v22, 7, v18
	v_ffbh_u32_e32 v19, v22
	v_min_u32_e32 v24, 32, v19
	v_subrev_u32_e32 v19, 28, v24
	v_lshlrev_b64 v[18:19], v19, v[18:19]
	v_lshrrev_b32_e32 v23, 3, v21
	v_sub_u32_e32 v19, 29, v24
	v_and_b32_e32 v18, 7, v18
	v_cmp_gt_u32_e32 vcc, 8, v21
	v_cndmask_b32_e32 v19, v23, v19, vcc
	v_cndmask_b32_e32 v18, v22, v18, vcc
	v_lshlrev_b32_e32 v21, 16, v14
	v_bfrev_b32_e32 v22, 60
	v_lshlrev_b32_e32 v18, 20, v18
	v_and_b32_e32 v21, 0x80000000, v21
	v_lshl_add_u32 v19, v19, 23, v22
	v_or3_b32 v18, v21, v19, v18
	v_lshrrev_b32_e32 v19, 16, v18
.LBB884_409:
	s_or_b64 exec, exec, s[10:11]
.LBB884_410:
	s_or_b64 exec, exec, s[8:9]
.LBB884_411:
	s_or_b64 exec, exec, s[2:3]
	s_movk_i32 s2, 0xff
	v_and_b32_sdwa v23, v14, s2 dst_sel:DWORD dst_unused:UNUSED_PAD src0_sel:WORD_1 src1_sel:DWORD
	v_lshrrev_b32_e32 v18, 16, v14
	v_cmp_ne_u16_e32 vcc, 0, v23
	v_mov_b32_e32 v21, 0
	v_mov_b32_e32 v22, 0
	s_and_saveexec_b64 s[2:3], vcc
	s_cbranch_execz .LBB884_417
; %bb.412:
	s_movk_i32 s7, 0x80
	v_cmp_ne_u16_e32 vcc, s7, v23
	v_mov_b32_e32 v22, 0xffff8000
	s_and_saveexec_b64 s[8:9], vcc
	s_cbranch_execz .LBB884_416
; %bb.413:
	v_bfe_u32 v23, v14, 16, 7
	s_movk_i32 s7, 0x7f
	v_cmp_ne_u32_e32 vcc, s7, v23
	v_mov_b32_e32 v22, 0x7f80
	s_and_saveexec_b64 s[10:11], vcc
	s_cbranch_execz .LBB884_415
; %bb.414:
	v_and_b32_e32 v22, 7, v18
	v_ffbh_u32_e32 v24, v22
	v_min_u32_e32 v27, 32, v24
	v_subrev_u32_e32 v24, 28, v27
	v_lshlrev_b64 v[24:25], v24, v[18:19]
	v_lshrrev_b32_e32 v26, 3, v23
	v_sub_u32_e32 v18, 29, v27
	v_and_b32_e32 v24, 7, v24
	v_cmp_gt_u32_e32 vcc, 8, v23
	v_mov_b32_e32 v23, 24
	v_cndmask_b32_e32 v18, v26, v18, vcc
	v_cndmask_b32_e32 v22, v22, v24, vcc
	v_lshlrev_b32_sdwa v23, v23, v14 dst_sel:DWORD dst_unused:UNUSED_PAD src0_sel:DWORD src1_sel:WORD_1
	v_bfrev_b32_e32 v24, 60
	v_lshlrev_b32_e32 v22, 20, v22
	v_and_b32_e32 v23, 0x80000000, v23
	v_lshl_add_u32 v18, v18, 23, v24
	v_or3_b32 v18, v23, v18, v22
	v_lshrrev_b32_e32 v22, 16, v18
.LBB884_415:
	s_or_b64 exec, exec, s[10:11]
.LBB884_416:
	s_or_b64 exec, exec, s[8:9]
.LBB884_417:
	s_or_b64 exec, exec, s[2:3]
	s_mov_b32 s2, 0xffffff
	v_cmp_lt_u32_e32 vcc, s2, v14
	s_and_saveexec_b64 s[2:3], vcc
	s_cbranch_execz .LBB884_423
; %bb.418:
	v_lshrrev_b32_e32 v18, 24, v14
	s_movk_i32 s7, 0x80
	v_cmp_ne_u32_e32 vcc, s7, v18
	v_mov_b32_e32 v21, 0xffff8000
	s_and_saveexec_b64 s[8:9], vcc
	s_cbranch_execz .LBB884_422
; %bb.419:
	v_bfe_u32 v14, v14, 24, 7
	s_movk_i32 s7, 0x7f
	v_cmp_ne_u32_e32 vcc, s7, v14
	v_mov_b32_e32 v21, 0x7f80
	s_and_saveexec_b64 s[10:11], vcc
	s_cbranch_execz .LBB884_421
; %bb.420:
	v_and_b32_e32 v21, 7, v18
	v_ffbh_u32_e32 v24, v21
	v_min_u32_e32 v26, 32, v24
	v_subrev_u32_e32 v24, 28, v26
	v_lshlrev_b64 v[24:25], v24, v[18:19]
	v_lshrrev_b32_e32 v23, 3, v14
	v_sub_u32_e32 v25, 29, v26
	v_and_b32_e32 v24, 7, v24
	v_cmp_gt_u32_e32 vcc, 8, v14
	v_cndmask_b32_e32 v14, v23, v25, vcc
	v_cndmask_b32_e32 v21, v21, v24, vcc
	v_lshlrev_b32_e32 v18, 24, v18
	v_bfrev_b32_e32 v23, 60
	v_lshlrev_b32_e32 v21, 20, v21
	v_and_b32_e32 v18, 0x80000000, v18
	v_lshl_add_u32 v14, v14, 23, v23
	v_or3_b32 v14, v18, v14, v21
	v_lshrrev_b32_e32 v21, 16, v14
.LBB884_421:
	s_or_b64 exec, exec, s[10:11]
.LBB884_422:
	s_or_b64 exec, exec, s[8:9]
.LBB884_423:
	s_or_b64 exec, exec, s[2:3]
	v_mov_b32_e32 v18, 0
	v_cmp_ne_u16_sdwa s[8:9], v15, v18 src0_sel:BYTE_0 src1_sel:DWORD
	v_mov_b32_e32 v23, 0
	s_and_saveexec_b64 s[2:3], s[8:9]
	s_cbranch_execz .LBB884_429
; %bb.424:
	s_movk_i32 s7, 0x80
	v_cmp_ne_u16_sdwa s[10:11], v15, s7 src0_sel:BYTE_0 src1_sel:DWORD
	v_mov_b32_e32 v23, 0xffff8000
	s_and_saveexec_b64 s[8:9], s[10:11]
	s_cbranch_execz .LBB884_428
; %bb.425:
	s_movk_i32 s7, 0x7f
	v_and_b32_e32 v14, 0x7f, v15
	v_cmp_ne_u32_e32 vcc, s7, v14
	v_mov_b32_e32 v23, 0x7f80
	s_and_saveexec_b64 s[10:11], vcc
	s_cbranch_execz .LBB884_427
; %bb.426:
	v_and_b32_e32 v23, 7, v15
	v_ffbh_u32_e32 v25, v23
	v_min_u32_e32 v27, 32, v25
	v_mov_b32_e32 v24, v15
	v_subrev_u32_e32 v25, 28, v27
	v_lshlrev_b64 v[24:25], v25, v[24:25]
	v_lshrrev_b32_e32 v26, 3, v14
	v_sub_u32_e32 v25, 29, v27
	v_and_b32_e32 v24, 7, v24
	v_cmp_gt_u32_e32 vcc, 8, v14
	v_cndmask_b32_e32 v14, v26, v25, vcc
	v_cndmask_b32_e32 v23, v23, v24, vcc
	v_lshlrev_b32_e32 v24, 24, v15
	v_bfrev_b32_e32 v25, 60
	v_lshlrev_b32_e32 v23, 20, v23
	v_and_b32_e32 v24, 0x80000000, v24
	v_lshl_add_u32 v14, v14, 23, v25
	v_or3_b32 v14, v24, v14, v23
	v_lshrrev_b32_e32 v23, 16, v14
.LBB884_427:
	s_or_b64 exec, exec, s[10:11]
.LBB884_428:
	s_or_b64 exec, exec, s[8:9]
.LBB884_429:
	s_or_b64 exec, exec, s[2:3]
	v_lshrrev_b16_e32 v14, 8, v15
	v_cmp_ne_u16_e32 vcc, 0, v14
	s_and_saveexec_b64 s[2:3], vcc
	s_cbranch_execz .LBB884_435
; %bb.430:
	s_movk_i32 s7, 0x80
	v_cmp_ne_u16_e32 vcc, s7, v14
	v_mov_b32_e32 v18, 0xffff8000
	s_and_saveexec_b64 s[8:9], vcc
	s_cbranch_execz .LBB884_434
; %bb.431:
	s_movk_i32 s7, 0x7f
	v_and_b32_e32 v24, 0x7f, v14
	v_cmp_ne_u32_e32 vcc, s7, v24
	v_mov_b32_e32 v18, 0x7f80
	s_and_saveexec_b64 s[10:11], vcc
	s_cbranch_execz .LBB884_433
; %bb.432:
	v_and_b32_e32 v18, 7, v14
	v_ffbh_u32_e32 v26, v18
	v_min_u32_e32 v29, 32, v26
	v_subrev_u32_e32 v26, 28, v29
	v_lshlrev_b64 v[26:27], v26, v[14:15]
	v_lshrrev_b32_e32 v25, 3, v24
	v_sub_u32_e32 v14, 29, v29
	v_and_b32_e32 v26, 7, v26
	v_cmp_gt_u32_e32 vcc, 8, v24
	v_cndmask_b32_e32 v14, v25, v14, vcc
	v_cndmask_b32_e32 v18, v18, v26, vcc
	v_lshlrev_b32_e32 v24, 16, v15
	v_bfrev_b32_e32 v25, 60
	v_lshlrev_b32_e32 v18, 20, v18
	v_and_b32_e32 v24, 0x80000000, v24
	v_lshl_add_u32 v14, v14, 23, v25
	v_or3_b32 v14, v24, v14, v18
	v_lshrrev_b32_e32 v18, 16, v14
.LBB884_433:
	s_or_b64 exec, exec, s[10:11]
.LBB884_434:
	s_or_b64 exec, exec, s[8:9]
.LBB884_435:
	s_or_b64 exec, exec, s[2:3]
	s_movk_i32 s2, 0xff
	v_and_b32_sdwa v26, v15, s2 dst_sel:DWORD dst_unused:UNUSED_PAD src0_sel:WORD_1 src1_sel:DWORD
	v_lshrrev_b32_e32 v14, 16, v15
	v_cmp_ne_u16_e32 vcc, 0, v26
	v_mov_b32_e32 v24, 0
	v_mov_b32_e32 v25, 0
	s_and_saveexec_b64 s[2:3], vcc
	s_cbranch_execz .LBB884_441
; %bb.436:
	s_movk_i32 s7, 0x80
	v_cmp_ne_u16_e32 vcc, s7, v26
	v_mov_b32_e32 v25, 0xffff8000
	s_and_saveexec_b64 s[8:9], vcc
	s_cbranch_execz .LBB884_440
; %bb.437:
	v_bfe_u32 v26, v15, 16, 7
	s_movk_i32 s7, 0x7f
	v_cmp_ne_u32_e32 vcc, s7, v26
	v_mov_b32_e32 v25, 0x7f80
	s_and_saveexec_b64 s[10:11], vcc
	s_cbranch_execz .LBB884_439
; %bb.438:
	v_and_b32_e32 v25, 7, v14
	v_ffbh_u32_e32 v29, v25
	v_min_u32_e32 v29, 32, v29
	v_subrev_u32_e32 v30, 28, v29
	v_lshlrev_b64 v[30:31], v30, v[14:15]
	v_lshrrev_b32_e32 v27, 3, v26
	v_sub_u32_e32 v14, 29, v29
	v_and_b32_e32 v29, 7, v30
	v_cmp_gt_u32_e32 vcc, 8, v26
	v_mov_b32_e32 v26, 24
	v_cndmask_b32_e32 v14, v27, v14, vcc
	v_cndmask_b32_e32 v25, v25, v29, vcc
	v_lshlrev_b32_sdwa v26, v26, v15 dst_sel:DWORD dst_unused:UNUSED_PAD src0_sel:DWORD src1_sel:WORD_1
	v_bfrev_b32_e32 v27, 60
	v_lshlrev_b32_e32 v25, 20, v25
	v_and_b32_e32 v26, 0x80000000, v26
	v_lshl_add_u32 v14, v14, 23, v27
	v_or3_b32 v14, v26, v14, v25
	v_lshrrev_b32_e32 v25, 16, v14
.LBB884_439:
	s_or_b64 exec, exec, s[10:11]
.LBB884_440:
	s_or_b64 exec, exec, s[8:9]
.LBB884_441:
	s_or_b64 exec, exec, s[2:3]
	s_mov_b32 s2, 0xffffff
	v_cmp_lt_u32_e32 vcc, s2, v15
	s_and_saveexec_b64 s[2:3], vcc
	s_cbranch_execz .LBB884_447
; %bb.442:
	v_lshrrev_b32_e32 v14, 24, v15
	s_movk_i32 s7, 0x80
	v_cmp_ne_u32_e32 vcc, s7, v14
	v_mov_b32_e32 v24, 0xffff8000
	s_and_saveexec_b64 s[8:9], vcc
	s_cbranch_execz .LBB884_446
; %bb.443:
	v_bfe_u32 v15, v15, 24, 7
	s_movk_i32 s7, 0x7f
	v_cmp_ne_u32_e32 vcc, s7, v15
	v_mov_b32_e32 v24, 0x7f80
	s_and_saveexec_b64 s[10:11], vcc
	s_cbranch_execz .LBB884_445
; %bb.444:
	v_and_b32_e32 v24, 7, v14
	v_ffbh_u32_e32 v26, v24
	v_min_u32_e32 v30, 32, v26
	v_subrev_u32_e32 v26, 28, v30
	v_lshlrev_b64 v[26:27], v26, v[14:15]
	v_lshrrev_b32_e32 v29, 3, v15
	v_sub_u32_e32 v27, 29, v30
	v_and_b32_e32 v26, 7, v26
	v_cmp_gt_u32_e32 vcc, 8, v15
	v_cndmask_b32_e32 v15, v29, v27, vcc
	v_cndmask_b32_e32 v24, v24, v26, vcc
	v_lshlrev_b32_e32 v14, 24, v14
	v_bfrev_b32_e32 v26, 60
	v_lshlrev_b32_e32 v24, 20, v24
	v_and_b32_e32 v14, 0x80000000, v14
	v_lshl_add_u32 v15, v15, 23, v26
	v_or3_b32 v14, v14, v15, v24
	v_lshrrev_b32_e32 v24, 16, v14
.LBB884_445:
	s_or_b64 exec, exec, s[10:11]
.LBB884_446:
	s_or_b64 exec, exec, s[8:9]
.LBB884_447:
	s_or_b64 exec, exec, s[2:3]
	s_mov_b32 s2, 0x5040100
	v_perm_b32 v15, v21, v22, s2
	v_lshl_or_b32 v22, v1, 9, v48
	v_perm_b32 v14, v19, v20, s2
	ds_read_b128 v[30:33], v22
	v_perm_b32 v19, v24, v25, s2
	v_perm_b32 v18, v18, v23, s2
	s_waitcnt lgkmcnt(0)
	v_mfma_f32_16x16x16bf16_1k v[34:37], v[14:15], v[30:31], 0
	v_mov_b32_e32 v15, 0
	v_cmp_ne_u16_sdwa s[8:9], v16, v15 src0_sel:BYTE_0 src1_sel:DWORD
	v_mov_b32_e32 v23, 0
	v_mfma_f32_16x16x16bf16_1k v[18:21], v[18:19], v[32:33], v[34:37]
	s_and_saveexec_b64 s[2:3], s[8:9]
	s_cbranch_execz .LBB884_453
; %bb.448:
	s_movk_i32 s7, 0x80
	v_cmp_ne_u16_sdwa s[10:11], v16, s7 src0_sel:BYTE_0 src1_sel:DWORD
	v_mov_b32_e32 v23, 0xffff8000
	s_and_saveexec_b64 s[8:9], s[10:11]
	s_cbranch_execz .LBB884_452
; %bb.449:
	s_movk_i32 s7, 0x7f
	v_and_b32_e32 v14, 0x7f, v16
	v_cmp_ne_u32_e32 vcc, s7, v14
	v_mov_b32_e32 v23, 0x7f80
	s_and_saveexec_b64 s[10:11], vcc
	s_cbranch_execz .LBB884_451
; %bb.450:
	v_and_b32_e32 v23, 7, v16
	v_ffbh_u32_e32 v24, v23
	v_min_u32_e32 v27, 32, v24
	v_subrev_u32_e32 v24, 28, v27
	v_lshlrev_b64 v[24:25], v24, v[16:17]
	v_lshrrev_b32_e32 v26, 3, v14
	v_sub_u32_e32 v25, 29, v27
	v_and_b32_e32 v24, 7, v24
	v_cmp_gt_u32_e32 vcc, 8, v14
	v_cndmask_b32_e32 v14, v26, v25, vcc
	v_cndmask_b32_e32 v23, v23, v24, vcc
	v_lshlrev_b32_e32 v24, 24, v16
	v_bfrev_b32_e32 v25, 60
	v_lshlrev_b32_e32 v23, 20, v23
	v_and_b32_e32 v24, 0x80000000, v24
	v_lshl_add_u32 v14, v14, 23, v25
	v_or3_b32 v14, v24, v14, v23
	v_lshrrev_b32_e32 v23, 16, v14
.LBB884_451:
	s_or_b64 exec, exec, s[10:11]
.LBB884_452:
	s_or_b64 exec, exec, s[8:9]
.LBB884_453:
	s_or_b64 exec, exec, s[2:3]
	v_lshrrev_b16_e32 v14, 8, v16
	v_cmp_ne_u16_e32 vcc, 0, v14
	s_and_saveexec_b64 s[2:3], vcc
	s_cbranch_execz .LBB884_459
; %bb.454:
	s_movk_i32 s7, 0x80
	v_cmp_ne_u16_e32 vcc, s7, v14
	v_mov_b32_e32 v15, 0xffff8000
	s_and_saveexec_b64 s[8:9], vcc
	s_cbranch_execz .LBB884_458
; %bb.455:
	s_movk_i32 s7, 0x7f
	v_and_b32_e32 v24, 0x7f, v14
	v_cmp_ne_u32_e32 vcc, s7, v24
	v_mov_b32_e32 v15, 0x7f80
	s_and_saveexec_b64 s[10:11], vcc
	s_cbranch_execz .LBB884_457
; %bb.456:
	v_and_b32_e32 v25, 7, v14
	v_ffbh_u32_e32 v15, v25
	v_min_u32_e32 v27, 32, v15
	v_subrev_u32_e32 v15, 28, v27
	v_lshlrev_b64 v[14:15], v15, v[14:15]
	v_lshrrev_b32_e32 v26, 3, v24
	v_sub_u32_e32 v15, 29, v27
	v_and_b32_e32 v14, 7, v14
	v_cmp_gt_u32_e32 vcc, 8, v24
	v_cndmask_b32_e32 v15, v26, v15, vcc
	v_cndmask_b32_e32 v14, v25, v14, vcc
	v_lshlrev_b32_e32 v24, 16, v16
	v_bfrev_b32_e32 v25, 60
	v_lshlrev_b32_e32 v14, 20, v14
	v_and_b32_e32 v24, 0x80000000, v24
	v_lshl_add_u32 v15, v15, 23, v25
	v_or3_b32 v14, v24, v15, v14
	v_lshrrev_b32_e32 v15, 16, v14
.LBB884_457:
	s_or_b64 exec, exec, s[10:11]
.LBB884_458:
	s_or_b64 exec, exec, s[8:9]
.LBB884_459:
	s_or_b64 exec, exec, s[2:3]
	s_movk_i32 s2, 0xff
	v_and_b32_sdwa v26, v16, s2 dst_sel:DWORD dst_unused:UNUSED_PAD src0_sel:WORD_1 src1_sel:DWORD
	v_lshrrev_b32_e32 v14, 16, v16
	v_cmp_ne_u16_e32 vcc, 0, v26
	v_mov_b32_e32 v24, 0
	v_mov_b32_e32 v25, 0
	s_and_saveexec_b64 s[2:3], vcc
	s_cbranch_execz .LBB884_465
; %bb.460:
	s_movk_i32 s7, 0x80
	v_cmp_ne_u16_e32 vcc, s7, v26
	v_mov_b32_e32 v25, 0xffff8000
	s_and_saveexec_b64 s[8:9], vcc
	s_cbranch_execz .LBB884_464
; %bb.461:
	v_bfe_u32 v26, v16, 16, 7
	s_movk_i32 s7, 0x7f
	v_cmp_ne_u32_e32 vcc, s7, v26
	v_mov_b32_e32 v25, 0x7f80
	s_and_saveexec_b64 s[10:11], vcc
	s_cbranch_execz .LBB884_463
; %bb.462:
	v_and_b32_e32 v25, 7, v14
	v_ffbh_u32_e32 v29, v25
	v_min_u32_e32 v29, 32, v29
	v_subrev_u32_e32 v30, 28, v29
	v_lshlrev_b64 v[30:31], v30, v[14:15]
	v_lshrrev_b32_e32 v27, 3, v26
	v_sub_u32_e32 v14, 29, v29
	v_and_b32_e32 v29, 7, v30
	v_cmp_gt_u32_e32 vcc, 8, v26
	v_mov_b32_e32 v26, 24
	v_cndmask_b32_e32 v14, v27, v14, vcc
	v_cndmask_b32_e32 v25, v25, v29, vcc
	v_lshlrev_b32_sdwa v26, v26, v16 dst_sel:DWORD dst_unused:UNUSED_PAD src0_sel:DWORD src1_sel:WORD_1
	v_bfrev_b32_e32 v27, 60
	v_lshlrev_b32_e32 v25, 20, v25
	v_and_b32_e32 v26, 0x80000000, v26
	v_lshl_add_u32 v14, v14, 23, v27
	v_or3_b32 v14, v26, v14, v25
	v_lshrrev_b32_e32 v25, 16, v14
.LBB884_463:
	s_or_b64 exec, exec, s[10:11]
.LBB884_464:
	s_or_b64 exec, exec, s[8:9]
.LBB884_465:
	s_or_b64 exec, exec, s[2:3]
	s_mov_b32 s2, 0xffffff
	v_cmp_lt_u32_e32 vcc, s2, v16
	s_and_saveexec_b64 s[2:3], vcc
	s_cbranch_execz .LBB884_471
; %bb.466:
	v_lshrrev_b32_e32 v14, 24, v16
	s_movk_i32 s7, 0x80
	v_cmp_ne_u32_e32 vcc, s7, v14
	v_mov_b32_e32 v24, 0xffff8000
	s_and_saveexec_b64 s[8:9], vcc
	s_cbranch_execz .LBB884_470
; %bb.467:
	v_bfe_u32 v16, v16, 24, 7
	s_movk_i32 s7, 0x7f
	v_cmp_ne_u32_e32 vcc, s7, v16
	v_mov_b32_e32 v24, 0x7f80
	s_and_saveexec_b64 s[10:11], vcc
	s_cbranch_execz .LBB884_469
; %bb.468:
	v_and_b32_e32 v24, 7, v14
	v_ffbh_u32_e32 v26, v24
	v_min_u32_e32 v30, 32, v26
	v_subrev_u32_e32 v26, 28, v30
	v_lshlrev_b64 v[26:27], v26, v[14:15]
	v_lshrrev_b32_e32 v29, 3, v16
	v_sub_u32_e32 v27, 29, v30
	v_and_b32_e32 v26, 7, v26
	v_cmp_gt_u32_e32 vcc, 8, v16
	v_cndmask_b32_e32 v16, v29, v27, vcc
	v_cndmask_b32_e32 v24, v24, v26, vcc
	v_lshlrev_b32_e32 v14, 24, v14
	v_bfrev_b32_e32 v26, 60
	v_lshlrev_b32_e32 v24, 20, v24
	v_and_b32_e32 v14, 0x80000000, v14
	v_lshl_add_u32 v16, v16, 23, v26
	v_or3_b32 v14, v14, v16, v24
	v_lshrrev_b32_e32 v24, 16, v14
.LBB884_469:
	s_or_b64 exec, exec, s[10:11]
.LBB884_470:
	s_or_b64 exec, exec, s[8:9]
.LBB884_471:
	s_or_b64 exec, exec, s[2:3]
	v_mov_b32_e32 v16, 0
	v_cmp_ne_u16_sdwa s[8:9], v17, v16 src0_sel:BYTE_0 src1_sel:DWORD
	v_mov_b32_e32 v26, 0
	s_and_saveexec_b64 s[2:3], s[8:9]
	s_cbranch_execz .LBB884_477
; %bb.472:
	s_movk_i32 s7, 0x80
	v_cmp_ne_u16_sdwa s[10:11], v17, s7 src0_sel:BYTE_0 src1_sel:DWORD
	v_mov_b32_e32 v26, 0xffff8000
	s_and_saveexec_b64 s[8:9], s[10:11]
	s_cbranch_execz .LBB884_476
; %bb.473:
	s_movk_i32 s7, 0x7f
	v_and_b32_e32 v14, 0x7f, v17
	v_cmp_ne_u32_e32 vcc, s7, v14
	v_mov_b32_e32 v26, 0x7f80
	s_and_saveexec_b64 s[10:11], vcc
	s_cbranch_execz .LBB884_475
; %bb.474:
	v_and_b32_e32 v29, 7, v17
	v_ffbh_u32_e32 v27, v29
	v_min_u32_e32 v31, 32, v27
	v_mov_b32_e32 v26, v17
	v_subrev_u32_e32 v27, 28, v31
	v_lshlrev_b64 v[26:27], v27, v[26:27]
	v_lshrrev_b32_e32 v30, 3, v14
	v_sub_u32_e32 v27, 29, v31
	v_and_b32_e32 v26, 7, v26
	v_cmp_gt_u32_e32 vcc, 8, v14
	v_cndmask_b32_e32 v14, v30, v27, vcc
	v_cndmask_b32_e32 v26, v29, v26, vcc
	v_lshlrev_b32_e32 v27, 24, v17
	v_bfrev_b32_e32 v29, 60
	v_lshlrev_b32_e32 v26, 20, v26
	v_and_b32_e32 v27, 0x80000000, v27
	v_lshl_add_u32 v14, v14, 23, v29
	v_or3_b32 v14, v27, v14, v26
	v_lshrrev_b32_e32 v26, 16, v14
.LBB884_475:
	s_or_b64 exec, exec, s[10:11]
.LBB884_476:
	s_or_b64 exec, exec, s[8:9]
.LBB884_477:
	s_or_b64 exec, exec, s[2:3]
	v_lshrrev_b16_e32 v14, 8, v17
	v_cmp_ne_u16_e32 vcc, 0, v14
	s_and_saveexec_b64 s[2:3], vcc
	s_cbranch_execz .LBB884_483
; %bb.478:
	s_movk_i32 s7, 0x80
	v_cmp_ne_u16_e32 vcc, s7, v14
	v_mov_b32_e32 v16, 0xffff8000
	s_and_saveexec_b64 s[8:9], vcc
	s_cbranch_execz .LBB884_482
; %bb.479:
	s_movk_i32 s7, 0x7f
	v_and_b32_e32 v27, 0x7f, v14
	v_cmp_ne_u32_e32 vcc, s7, v27
	v_mov_b32_e32 v16, 0x7f80
	s_and_saveexec_b64 s[10:11], vcc
	s_cbranch_execz .LBB884_481
; %bb.480:
	v_and_b32_e32 v16, 7, v14
	v_ffbh_u32_e32 v30, v16
	v_min_u32_e32 v32, 32, v30
	v_subrev_u32_e32 v30, 28, v32
	v_lshlrev_b64 v[30:31], v30, v[14:15]
	v_lshrrev_b32_e32 v29, 3, v27
	v_sub_u32_e32 v14, 29, v32
	v_and_b32_e32 v30, 7, v30
	v_cmp_gt_u32_e32 vcc, 8, v27
	v_cndmask_b32_e32 v14, v29, v14, vcc
	v_cndmask_b32_e32 v16, v16, v30, vcc
	v_lshlrev_b32_e32 v27, 16, v17
	v_bfrev_b32_e32 v29, 60
	v_lshlrev_b32_e32 v16, 20, v16
	v_and_b32_e32 v27, 0x80000000, v27
	v_lshl_add_u32 v14, v14, 23, v29
	v_or3_b32 v14, v27, v14, v16
	v_lshrrev_b32_e32 v16, 16, v14
.LBB884_481:
	s_or_b64 exec, exec, s[10:11]
.LBB884_482:
	s_or_b64 exec, exec, s[8:9]
.LBB884_483:
	s_or_b64 exec, exec, s[2:3]
	s_movk_i32 s2, 0xff
	v_and_b32_sdwa v30, v17, s2 dst_sel:DWORD dst_unused:UNUSED_PAD src0_sel:WORD_1 src1_sel:DWORD
	v_lshrrev_b32_e32 v14, 16, v17
	v_cmp_ne_u16_e32 vcc, 0, v30
	v_mov_b32_e32 v27, 0
	v_mov_b32_e32 v29, 0
	s_and_saveexec_b64 s[2:3], vcc
	s_cbranch_execz .LBB884_489
; %bb.484:
	s_movk_i32 s7, 0x80
	v_cmp_ne_u16_e32 vcc, s7, v30
	v_mov_b32_e32 v29, 0xffff8000
	s_and_saveexec_b64 s[8:9], vcc
	s_cbranch_execz .LBB884_488
; %bb.485:
	v_bfe_u32 v30, v17, 16, 7
	s_movk_i32 s7, 0x7f
	v_cmp_ne_u32_e32 vcc, s7, v30
	v_mov_b32_e32 v29, 0x7f80
	s_and_saveexec_b64 s[10:11], vcc
	s_cbranch_execz .LBB884_487
; %bb.486:
	v_and_b32_e32 v29, 7, v14
	v_ffbh_u32_e32 v32, v29
	v_min_u32_e32 v34, 32, v32
	v_subrev_u32_e32 v32, 28, v34
	v_lshlrev_b64 v[32:33], v32, v[14:15]
	v_lshrrev_b32_e32 v31, 3, v30
	v_sub_u32_e32 v14, 29, v34
	v_and_b32_e32 v32, 7, v32
	v_cmp_gt_u32_e32 vcc, 8, v30
	v_mov_b32_e32 v30, 24
	v_cndmask_b32_e32 v14, v31, v14, vcc
	v_cndmask_b32_e32 v29, v29, v32, vcc
	v_lshlrev_b32_sdwa v30, v30, v17 dst_sel:DWORD dst_unused:UNUSED_PAD src0_sel:DWORD src1_sel:WORD_1
	v_bfrev_b32_e32 v31, 60
	v_lshlrev_b32_e32 v29, 20, v29
	v_and_b32_e32 v30, 0x80000000, v30
	v_lshl_add_u32 v14, v14, 23, v31
	v_or3_b32 v14, v30, v14, v29
	v_lshrrev_b32_e32 v29, 16, v14
.LBB884_487:
	s_or_b64 exec, exec, s[10:11]
.LBB884_488:
	s_or_b64 exec, exec, s[8:9]
.LBB884_489:
	s_or_b64 exec, exec, s[2:3]
	s_mov_b32 s2, 0xffffff
	v_cmp_lt_u32_e32 vcc, s2, v17
	s_and_saveexec_b64 s[2:3], vcc
	s_cbranch_execz .LBB884_495
; %bb.490:
	v_lshrrev_b32_e32 v14, 24, v17
	s_movk_i32 s7, 0x80
	v_cmp_ne_u32_e32 vcc, s7, v14
	v_mov_b32_e32 v27, 0xffff8000
	s_and_saveexec_b64 s[8:9], vcc
	s_cbranch_execz .LBB884_494
; %bb.491:
	v_bfe_u32 v17, v17, 24, 7
	s_movk_i32 s7, 0x7f
	v_cmp_ne_u32_e32 vcc, s7, v17
	v_mov_b32_e32 v27, 0x7f80
	s_and_saveexec_b64 s[10:11], vcc
	s_cbranch_execz .LBB884_493
; %bb.492:
	v_and_b32_e32 v27, 7, v14
	v_ffbh_u32_e32 v30, v27
	v_min_u32_e32 v33, 32, v30
	v_subrev_u32_e32 v30, 28, v33
	v_lshlrev_b64 v[30:31], v30, v[14:15]
	v_lshrrev_b32_e32 v32, 3, v17
	v_sub_u32_e32 v31, 29, v33
	v_and_b32_e32 v30, 7, v30
	v_cmp_gt_u32_e32 vcc, 8, v17
	v_cndmask_b32_e32 v17, v32, v31, vcc
	v_cndmask_b32_e32 v27, v27, v30, vcc
	v_lshlrev_b32_e32 v14, 24, v14
	v_bfrev_b32_e32 v30, 60
	v_lshlrev_b32_e32 v27, 20, v27
	v_and_b32_e32 v14, 0x80000000, v14
	v_lshl_add_u32 v17, v17, 23, v30
	v_or3_b32 v14, v14, v17, v27
	v_lshrrev_b32_e32 v27, 16, v14
.LBB884_493:
	s_or_b64 exec, exec, s[10:11]
.LBB884_494:
	s_or_b64 exec, exec, s[8:9]
.LBB884_495:
	s_or_b64 exec, exec, s[2:3]
	s_mov_b32 s2, 0x5040100
	v_perm_b32 v25, v24, v25, s2
	v_perm_b32 v24, v15, v23, s2
	ds_read_b128 v[30:33], v22 offset:16
	v_perm_b32 v15, v27, v29, s2
	v_perm_b32 v14, v16, v26, s2
	s_waitcnt lgkmcnt(0)
	v_mfma_f32_16x16x16bf16_1k v[34:37], v[24:25], v[30:31], v[18:21]
	s_nop 6
	v_mov_b32_e32 v19, 0
	s_waitcnt vmcnt(2)
	v_cmp_ne_u16_sdwa s[8:9], v10, v19 src0_sel:BYTE_0 src1_sel:DWORD
	v_mfma_f32_16x16x16bf16_1k v[14:17], v[14:15], v[32:33], v[34:37]
	v_mov_b32_e32 v20, 0
	s_and_saveexec_b64 s[2:3], s[8:9]
	s_cbranch_execz .LBB884_501
; %bb.496:
	s_movk_i32 s7, 0x80
	v_cmp_ne_u16_sdwa s[10:11], v10, s7 src0_sel:BYTE_0 src1_sel:DWORD
	v_mov_b32_e32 v20, 0xffff8000
	s_and_saveexec_b64 s[8:9], s[10:11]
	s_cbranch_execz .LBB884_500
; %bb.497:
	s_movk_i32 s7, 0x7f
	v_and_b32_e32 v18, 0x7f, v10
	v_cmp_ne_u32_e32 vcc, s7, v18
	v_mov_b32_e32 v20, 0x7f80
	s_and_saveexec_b64 s[10:11], vcc
	s_cbranch_execz .LBB884_499
; %bb.498:
	v_and_b32_e32 v23, 7, v10
	v_ffbh_u32_e32 v20, v23
	v_min_u32_e32 v25, 32, v20
	v_subrev_u32_e32 v20, 28, v25
	v_lshlrev_b64 v[20:21], v20, v[10:11]
	v_lshrrev_b32_e32 v24, 3, v18
	v_sub_u32_e32 v21, 29, v25
	v_and_b32_e32 v20, 7, v20
	v_cmp_gt_u32_e32 vcc, 8, v18
	v_cndmask_b32_e32 v18, v24, v21, vcc
	v_cndmask_b32_e32 v20, v23, v20, vcc
	v_lshlrev_b32_e32 v21, 24, v10
	v_bfrev_b32_e32 v23, 60
	v_lshlrev_b32_e32 v20, 20, v20
	v_and_b32_e32 v21, 0x80000000, v21
	v_lshl_add_u32 v18, v18, 23, v23
	v_or3_b32 v18, v21, v18, v20
	v_lshrrev_b32_e32 v20, 16, v18
.LBB884_499:
	s_or_b64 exec, exec, s[10:11]
.LBB884_500:
	s_or_b64 exec, exec, s[8:9]
.LBB884_501:
	s_or_b64 exec, exec, s[2:3]
	v_lshrrev_b16_e32 v18, 8, v10
	v_cmp_ne_u16_e32 vcc, 0, v18
	s_and_saveexec_b64 s[2:3], vcc
	s_cbranch_execz .LBB884_507
; %bb.502:
	s_movk_i32 s7, 0x80
	v_cmp_ne_u16_e32 vcc, s7, v18
	v_mov_b32_e32 v19, 0xffff8000
	s_and_saveexec_b64 s[8:9], vcc
	s_cbranch_execz .LBB884_506
; %bb.503:
	s_movk_i32 s7, 0x7f
	v_and_b32_e32 v21, 0x7f, v18
	v_cmp_ne_u32_e32 vcc, s7, v21
	v_mov_b32_e32 v19, 0x7f80
	s_and_saveexec_b64 s[10:11], vcc
	s_cbranch_execz .LBB884_505
; %bb.504:
	v_and_b32_e32 v23, 7, v18
	v_ffbh_u32_e32 v19, v23
	v_min_u32_e32 v25, 32, v19
	v_subrev_u32_e32 v19, 28, v25
	v_lshlrev_b64 v[18:19], v19, v[18:19]
	v_lshrrev_b32_e32 v24, 3, v21
	v_sub_u32_e32 v19, 29, v25
	v_and_b32_e32 v18, 7, v18
	v_cmp_gt_u32_e32 vcc, 8, v21
	v_cndmask_b32_e32 v19, v24, v19, vcc
	v_cndmask_b32_e32 v18, v23, v18, vcc
	v_lshlrev_b32_e32 v21, 16, v10
	v_bfrev_b32_e32 v23, 60
	v_lshlrev_b32_e32 v18, 20, v18
	v_and_b32_e32 v21, 0x80000000, v21
	v_lshl_add_u32 v19, v19, 23, v23
	v_or3_b32 v18, v21, v19, v18
	v_lshrrev_b32_e32 v19, 16, v18
.LBB884_505:
	s_or_b64 exec, exec, s[10:11]
.LBB884_506:
	s_or_b64 exec, exec, s[8:9]
.LBB884_507:
	s_or_b64 exec, exec, s[2:3]
	s_movk_i32 s2, 0xff
	v_and_b32_sdwa v24, v10, s2 dst_sel:DWORD dst_unused:UNUSED_PAD src0_sel:WORD_1 src1_sel:DWORD
	v_lshrrev_b32_e32 v18, 16, v10
	v_cmp_ne_u16_e32 vcc, 0, v24
	v_mov_b32_e32 v21, 0
	v_mov_b32_e32 v23, 0
	s_and_saveexec_b64 s[2:3], vcc
	s_cbranch_execz .LBB884_513
; %bb.508:
	s_movk_i32 s7, 0x80
	v_cmp_ne_u16_e32 vcc, s7, v24
	v_mov_b32_e32 v23, 0xffff8000
	s_and_saveexec_b64 s[8:9], vcc
	s_cbranch_execz .LBB884_512
; %bb.509:
	v_bfe_u32 v24, v10, 16, 7
	s_movk_i32 s7, 0x7f
	v_cmp_ne_u32_e32 vcc, s7, v24
	v_mov_b32_e32 v23, 0x7f80
	s_and_saveexec_b64 s[10:11], vcc
	s_cbranch_execz .LBB884_511
; %bb.510:
	v_and_b32_e32 v23, 7, v18
	v_ffbh_u32_e32 v26, v23
	v_min_u32_e32 v29, 32, v26
	v_subrev_u32_e32 v26, 28, v29
	v_lshlrev_b64 v[26:27], v26, v[18:19]
	v_lshrrev_b32_e32 v25, 3, v24
	v_sub_u32_e32 v18, 29, v29
	v_and_b32_e32 v26, 7, v26
	v_cmp_gt_u32_e32 vcc, 8, v24
	v_mov_b32_e32 v24, 24
	v_cndmask_b32_e32 v18, v25, v18, vcc
	v_cndmask_b32_e32 v23, v23, v26, vcc
	v_lshlrev_b32_sdwa v24, v24, v10 dst_sel:DWORD dst_unused:UNUSED_PAD src0_sel:DWORD src1_sel:WORD_1
	v_bfrev_b32_e32 v25, 60
	v_lshlrev_b32_e32 v23, 20, v23
	v_and_b32_e32 v24, 0x80000000, v24
	v_lshl_add_u32 v18, v18, 23, v25
	v_or3_b32 v18, v24, v18, v23
	v_lshrrev_b32_e32 v23, 16, v18
.LBB884_511:
	s_or_b64 exec, exec, s[10:11]
.LBB884_512:
	s_or_b64 exec, exec, s[8:9]
.LBB884_513:
	s_or_b64 exec, exec, s[2:3]
	s_mov_b32 s2, 0xffffff
	v_cmp_lt_u32_e32 vcc, s2, v10
	s_and_saveexec_b64 s[2:3], vcc
	s_cbranch_execz .LBB884_519
; %bb.514:
	v_lshrrev_b32_e32 v18, 24, v10
	s_movk_i32 s7, 0x80
	v_cmp_ne_u32_e32 vcc, s7, v18
	v_mov_b32_e32 v21, 0xffff8000
	s_and_saveexec_b64 s[8:9], vcc
	s_cbranch_execz .LBB884_518
; %bb.515:
	v_bfe_u32 v10, v10, 24, 7
	s_movk_i32 s7, 0x7f
	v_cmp_ne_u32_e32 vcc, s7, v10
	v_mov_b32_e32 v21, 0x7f80
	s_and_saveexec_b64 s[10:11], vcc
	s_cbranch_execz .LBB884_517
; %bb.516:
	v_and_b32_e32 v21, 7, v18
	v_ffbh_u32_e32 v24, v21
	v_min_u32_e32 v27, 32, v24
	v_subrev_u32_e32 v24, 28, v27
	v_lshlrev_b64 v[24:25], v24, v[18:19]
	v_lshrrev_b32_e32 v26, 3, v10
	v_sub_u32_e32 v25, 29, v27
	v_and_b32_e32 v24, 7, v24
	v_cmp_gt_u32_e32 vcc, 8, v10
	v_cndmask_b32_e32 v10, v26, v25, vcc
	v_cndmask_b32_e32 v21, v21, v24, vcc
	v_lshlrev_b32_e32 v18, 24, v18
	v_bfrev_b32_e32 v24, 60
	v_lshlrev_b32_e32 v21, 20, v21
	v_and_b32_e32 v18, 0x80000000, v18
	v_lshl_add_u32 v10, v10, 23, v24
	v_or3_b32 v10, v18, v10, v21
	v_lshrrev_b32_e32 v21, 16, v10
.LBB884_517:
	s_or_b64 exec, exec, s[10:11]
.LBB884_518:
	s_or_b64 exec, exec, s[8:9]
.LBB884_519:
	s_or_b64 exec, exec, s[2:3]
	v_mov_b32_e32 v18, 0
	v_cmp_ne_u16_sdwa s[8:9], v11, v18 src0_sel:BYTE_0 src1_sel:DWORD
	v_mov_b32_e32 v24, 0
	s_and_saveexec_b64 s[2:3], s[8:9]
	s_cbranch_execz .LBB884_525
; %bb.520:
	s_movk_i32 s7, 0x80
	v_cmp_ne_u16_sdwa s[10:11], v11, s7 src0_sel:BYTE_0 src1_sel:DWORD
	v_mov_b32_e32 v24, 0xffff8000
	s_and_saveexec_b64 s[8:9], s[10:11]
	s_cbranch_execz .LBB884_524
; %bb.521:
	s_movk_i32 s7, 0x7f
	v_and_b32_e32 v10, 0x7f, v11
	v_cmp_ne_u32_e32 vcc, s7, v10
	v_mov_b32_e32 v24, 0x7f80
	s_and_saveexec_b64 s[10:11], vcc
	s_cbranch_execz .LBB884_523
; %bb.522:
	v_and_b32_e32 v26, 7, v11
	v_ffbh_u32_e32 v25, v26
	v_min_u32_e32 v29, 32, v25
	v_mov_b32_e32 v24, v11
	v_subrev_u32_e32 v25, 28, v29
	v_lshlrev_b64 v[24:25], v25, v[24:25]
	v_lshrrev_b32_e32 v27, 3, v10
	v_sub_u32_e32 v25, 29, v29
	v_and_b32_e32 v24, 7, v24
	v_cmp_gt_u32_e32 vcc, 8, v10
	v_cndmask_b32_e32 v10, v27, v25, vcc
	v_cndmask_b32_e32 v24, v26, v24, vcc
	v_lshlrev_b32_e32 v25, 24, v11
	v_bfrev_b32_e32 v26, 60
	v_lshlrev_b32_e32 v24, 20, v24
	v_and_b32_e32 v25, 0x80000000, v25
	v_lshl_add_u32 v10, v10, 23, v26
	v_or3_b32 v10, v25, v10, v24
	v_lshrrev_b32_e32 v24, 16, v10
.LBB884_523:
	s_or_b64 exec, exec, s[10:11]
.LBB884_524:
	s_or_b64 exec, exec, s[8:9]
.LBB884_525:
	s_or_b64 exec, exec, s[2:3]
	v_lshrrev_b16_e32 v10, 8, v11
	v_cmp_ne_u16_e32 vcc, 0, v10
	s_and_saveexec_b64 s[2:3], vcc
	s_cbranch_execz .LBB884_531
; %bb.526:
	s_movk_i32 s7, 0x80
	v_cmp_ne_u16_e32 vcc, s7, v10
	v_mov_b32_e32 v18, 0xffff8000
	s_and_saveexec_b64 s[8:9], vcc
	s_cbranch_execz .LBB884_530
; %bb.527:
	s_movk_i32 s7, 0x7f
	v_and_b32_e32 v25, 0x7f, v10
	v_cmp_ne_u32_e32 vcc, s7, v25
	v_mov_b32_e32 v18, 0x7f80
	s_and_saveexec_b64 s[10:11], vcc
	s_cbranch_execz .LBB884_529
; %bb.528:
	v_and_b32_e32 v18, 7, v10
	v_ffbh_u32_e32 v26, v18
	v_min_u32_e32 v30, 32, v26
	v_subrev_u32_e32 v26, 28, v30
	v_lshlrev_b64 v[26:27], v26, v[10:11]
	v_lshrrev_b32_e32 v29, 3, v25
	v_sub_u32_e32 v10, 29, v30
	v_and_b32_e32 v26, 7, v26
	v_cmp_gt_u32_e32 vcc, 8, v25
	v_cndmask_b32_e32 v10, v29, v10, vcc
	v_cndmask_b32_e32 v18, v18, v26, vcc
	v_lshlrev_b32_e32 v25, 16, v11
	v_bfrev_b32_e32 v26, 60
	v_lshlrev_b32_e32 v18, 20, v18
	v_and_b32_e32 v25, 0x80000000, v25
	v_lshl_add_u32 v10, v10, 23, v26
	v_or3_b32 v10, v25, v10, v18
	v_lshrrev_b32_e32 v18, 16, v10
.LBB884_529:
	s_or_b64 exec, exec, s[10:11]
.LBB884_530:
	s_or_b64 exec, exec, s[8:9]
.LBB884_531:
	s_or_b64 exec, exec, s[2:3]
	s_movk_i32 s2, 0xff
	v_and_b32_sdwa v27, v11, s2 dst_sel:DWORD dst_unused:UNUSED_PAD src0_sel:WORD_1 src1_sel:DWORD
	v_lshrrev_b32_e32 v10, 16, v11
	v_cmp_ne_u16_e32 vcc, 0, v27
	v_mov_b32_e32 v25, 0
	v_mov_b32_e32 v26, 0
	s_and_saveexec_b64 s[2:3], vcc
	s_cbranch_execz .LBB884_537
; %bb.532:
	s_movk_i32 s7, 0x80
	v_cmp_ne_u16_e32 vcc, s7, v27
	v_mov_b32_e32 v26, 0xffff8000
	s_and_saveexec_b64 s[8:9], vcc
	s_cbranch_execz .LBB884_536
; %bb.533:
	v_bfe_u32 v27, v11, 16, 7
	s_movk_i32 s7, 0x7f
	v_cmp_ne_u32_e32 vcc, s7, v27
	v_mov_b32_e32 v26, 0x7f80
	s_and_saveexec_b64 s[10:11], vcc
	s_cbranch_execz .LBB884_535
; %bb.534:
	v_and_b32_e32 v26, 7, v10
	v_ffbh_u32_e32 v30, v26
	v_min_u32_e32 v32, 32, v30
	v_subrev_u32_e32 v30, 28, v32
	v_lshlrev_b64 v[30:31], v30, v[10:11]
	v_lshrrev_b32_e32 v29, 3, v27
	v_sub_u32_e32 v10, 29, v32
	v_and_b32_e32 v30, 7, v30
	v_cmp_gt_u32_e32 vcc, 8, v27
	v_mov_b32_e32 v27, 24
	v_cndmask_b32_e32 v10, v29, v10, vcc
	v_cndmask_b32_e32 v26, v26, v30, vcc
	v_lshlrev_b32_sdwa v27, v27, v11 dst_sel:DWORD dst_unused:UNUSED_PAD src0_sel:DWORD src1_sel:WORD_1
	v_bfrev_b32_e32 v29, 60
	v_lshlrev_b32_e32 v26, 20, v26
	v_and_b32_e32 v27, 0x80000000, v27
	v_lshl_add_u32 v10, v10, 23, v29
	v_or3_b32 v10, v27, v10, v26
	v_lshrrev_b32_e32 v26, 16, v10
.LBB884_535:
	s_or_b64 exec, exec, s[10:11]
.LBB884_536:
	s_or_b64 exec, exec, s[8:9]
.LBB884_537:
	s_or_b64 exec, exec, s[2:3]
	s_mov_b32 s2, 0xffffff
	v_cmp_lt_u32_e32 vcc, s2, v11
	s_and_saveexec_b64 s[2:3], vcc
	s_cbranch_execz .LBB884_543
; %bb.538:
	v_lshrrev_b32_e32 v10, 24, v11
	s_movk_i32 s7, 0x80
	v_cmp_ne_u32_e32 vcc, s7, v10
	v_mov_b32_e32 v25, 0xffff8000
	s_and_saveexec_b64 s[8:9], vcc
	s_cbranch_execz .LBB884_542
; %bb.539:
	v_bfe_u32 v11, v11, 24, 7
	s_movk_i32 s7, 0x7f
	v_cmp_ne_u32_e32 vcc, s7, v11
	v_mov_b32_e32 v25, 0x7f80
	s_and_saveexec_b64 s[10:11], vcc
	s_cbranch_execz .LBB884_541
; %bb.540:
	v_and_b32_e32 v25, 7, v10
	v_ffbh_u32_e32 v29, v25
	v_min_u32_e32 v29, 32, v29
	v_subrev_u32_e32 v30, 28, v29
	v_lshlrev_b64 v[30:31], v30, v[10:11]
	v_lshrrev_b32_e32 v27, 3, v11
	v_sub_u32_e32 v29, 29, v29
	v_and_b32_e32 v30, 7, v30
	v_cmp_gt_u32_e32 vcc, 8, v11
	v_cndmask_b32_e32 v11, v27, v29, vcc
	v_cndmask_b32_e32 v25, v25, v30, vcc
	v_lshlrev_b32_e32 v10, 24, v10
	v_bfrev_b32_e32 v27, 60
	v_lshlrev_b32_e32 v25, 20, v25
	v_and_b32_e32 v10, 0x80000000, v10
	v_lshl_add_u32 v11, v11, 23, v27
	v_or3_b32 v10, v10, v11, v25
	v_lshrrev_b32_e32 v25, 16, v10
.LBB884_541:
	s_or_b64 exec, exec, s[10:11]
.LBB884_542:
	s_or_b64 exec, exec, s[8:9]
.LBB884_543:
	s_or_b64 exec, exec, s[2:3]
	s_mov_b32 s2, 0x5040100
	v_perm_b32 v11, v21, v23, s2
	v_perm_b32 v10, v19, v20, s2
	ds_read_b128 v[30:33], v22 offset:2048
	v_perm_b32 v21, v25, v26, s2
	v_perm_b32 v20, v18, v24, s2
	s_waitcnt lgkmcnt(0)
	v_mfma_f32_16x16x16bf16_1k v[14:17], v[10:11], v[30:31], v[14:17]
	v_mov_b32_e32 v11, 0
	v_cmp_ne_u16_sdwa s[8:9], v12, v11 src0_sel:BYTE_0 src1_sel:DWORD
	v_mov_b32_e32 v18, 0
	v_mfma_f32_16x16x16bf16_1k v[14:17], v[20:21], v[32:33], v[14:17]
	s_and_saveexec_b64 s[2:3], s[8:9]
	s_cbranch_execz .LBB884_549
; %bb.544:
	s_movk_i32 s7, 0x80
	v_cmp_ne_u16_sdwa s[10:11], v12, s7 src0_sel:BYTE_0 src1_sel:DWORD
	v_mov_b32_e32 v18, 0xffff8000
	s_and_saveexec_b64 s[8:9], s[10:11]
	s_cbranch_execz .LBB884_548
; %bb.545:
	s_movk_i32 s7, 0x7f
	v_and_b32_e32 v10, 0x7f, v12
	v_cmp_ne_u32_e32 vcc, s7, v10
	v_mov_b32_e32 v18, 0x7f80
	s_and_saveexec_b64 s[10:11], vcc
	s_cbranch_execz .LBB884_547
; %bb.546:
	v_and_b32_e32 v20, 7, v12
	v_ffbh_u32_e32 v18, v20
	v_min_u32_e32 v23, 32, v18
	v_subrev_u32_e32 v18, 28, v23
	v_lshlrev_b64 v[18:19], v18, v[12:13]
	v_lshrrev_b32_e32 v21, 3, v10
	v_sub_u32_e32 v19, 29, v23
	v_and_b32_e32 v18, 7, v18
	v_cmp_gt_u32_e32 vcc, 8, v10
	v_cndmask_b32_e32 v10, v21, v19, vcc
	v_cndmask_b32_e32 v18, v20, v18, vcc
	v_lshlrev_b32_e32 v19, 24, v12
	v_bfrev_b32_e32 v20, 60
	v_lshlrev_b32_e32 v18, 20, v18
	v_and_b32_e32 v19, 0x80000000, v19
	v_lshl_add_u32 v10, v10, 23, v20
	v_or3_b32 v10, v19, v10, v18
	v_lshrrev_b32_e32 v18, 16, v10
.LBB884_547:
	s_or_b64 exec, exec, s[10:11]
.LBB884_548:
	s_or_b64 exec, exec, s[8:9]
.LBB884_549:
	s_or_b64 exec, exec, s[2:3]
	v_lshrrev_b16_e32 v10, 8, v12
	v_cmp_ne_u16_e32 vcc, 0, v10
	s_and_saveexec_b64 s[2:3], vcc
	s_cbranch_execz .LBB884_555
; %bb.550:
	s_movk_i32 s7, 0x80
	v_cmp_ne_u16_e32 vcc, s7, v10
	v_mov_b32_e32 v11, 0xffff8000
	s_and_saveexec_b64 s[8:9], vcc
	s_cbranch_execz .LBB884_554
; %bb.551:
	s_movk_i32 s7, 0x7f
	v_and_b32_e32 v19, 0x7f, v10
	v_cmp_ne_u32_e32 vcc, s7, v19
	v_mov_b32_e32 v11, 0x7f80
	s_and_saveexec_b64 s[10:11], vcc
	s_cbranch_execz .LBB884_553
; %bb.552:
	v_and_b32_e32 v20, 7, v10
	v_ffbh_u32_e32 v11, v20
	v_min_u32_e32 v23, 32, v11
	v_subrev_u32_e32 v11, 28, v23
	v_lshlrev_b64 v[10:11], v11, v[10:11]
	v_lshrrev_b32_e32 v21, 3, v19
	v_sub_u32_e32 v11, 29, v23
	v_and_b32_e32 v10, 7, v10
	v_cmp_gt_u32_e32 vcc, 8, v19
	v_cndmask_b32_e32 v11, v21, v11, vcc
	v_cndmask_b32_e32 v10, v20, v10, vcc
	v_lshlrev_b32_e32 v19, 16, v12
	v_bfrev_b32_e32 v20, 60
	v_lshlrev_b32_e32 v10, 20, v10
	v_and_b32_e32 v19, 0x80000000, v19
	v_lshl_add_u32 v11, v11, 23, v20
	v_or3_b32 v10, v19, v11, v10
	v_lshrrev_b32_e32 v11, 16, v10
.LBB884_553:
	s_or_b64 exec, exec, s[10:11]
.LBB884_554:
	s_or_b64 exec, exec, s[8:9]
.LBB884_555:
	s_or_b64 exec, exec, s[2:3]
	s_movk_i32 s2, 0xff
	v_and_b32_sdwa v21, v12, s2 dst_sel:DWORD dst_unused:UNUSED_PAD src0_sel:WORD_1 src1_sel:DWORD
	v_lshrrev_b32_e32 v10, 16, v12
	v_cmp_ne_u16_e32 vcc, 0, v21
	v_mov_b32_e32 v19, 0
	v_mov_b32_e32 v20, 0
	s_and_saveexec_b64 s[2:3], vcc
	s_cbranch_execz .LBB884_561
; %bb.556:
	s_movk_i32 s7, 0x80
	v_cmp_ne_u16_e32 vcc, s7, v21
	v_mov_b32_e32 v20, 0xffff8000
	s_and_saveexec_b64 s[8:9], vcc
	s_cbranch_execz .LBB884_560
; %bb.557:
	v_bfe_u32 v21, v12, 16, 7
	s_movk_i32 s7, 0x7f
	v_cmp_ne_u32_e32 vcc, s7, v21
	v_mov_b32_e32 v20, 0x7f80
	s_and_saveexec_b64 s[10:11], vcc
	s_cbranch_execz .LBB884_559
; %bb.558:
	v_and_b32_e32 v20, 7, v10
	v_ffbh_u32_e32 v24, v20
	v_min_u32_e32 v26, 32, v24
	v_subrev_u32_e32 v24, 28, v26
	v_lshlrev_b64 v[24:25], v24, v[10:11]
	v_lshrrev_b32_e32 v23, 3, v21
	v_sub_u32_e32 v10, 29, v26
	v_and_b32_e32 v24, 7, v24
	v_cmp_gt_u32_e32 vcc, 8, v21
	v_mov_b32_e32 v21, 24
	v_cndmask_b32_e32 v10, v23, v10, vcc
	v_cndmask_b32_e32 v20, v20, v24, vcc
	v_lshlrev_b32_sdwa v21, v21, v12 dst_sel:DWORD dst_unused:UNUSED_PAD src0_sel:DWORD src1_sel:WORD_1
	v_bfrev_b32_e32 v23, 60
	v_lshlrev_b32_e32 v20, 20, v20
	v_and_b32_e32 v21, 0x80000000, v21
	v_lshl_add_u32 v10, v10, 23, v23
	v_or3_b32 v10, v21, v10, v20
	v_lshrrev_b32_e32 v20, 16, v10
.LBB884_559:
	s_or_b64 exec, exec, s[10:11]
.LBB884_560:
	s_or_b64 exec, exec, s[8:9]
.LBB884_561:
	s_or_b64 exec, exec, s[2:3]
	s_mov_b32 s2, 0xffffff
	v_cmp_lt_u32_e32 vcc, s2, v12
	s_and_saveexec_b64 s[2:3], vcc
	s_cbranch_execz .LBB884_567
; %bb.562:
	v_lshrrev_b32_e32 v10, 24, v12
	s_movk_i32 s7, 0x80
	v_cmp_ne_u32_e32 vcc, s7, v10
	v_mov_b32_e32 v19, 0xffff8000
	s_and_saveexec_b64 s[8:9], vcc
	s_cbranch_execz .LBB884_566
; %bb.563:
	v_bfe_u32 v12, v12, 24, 7
	s_movk_i32 s7, 0x7f
	v_cmp_ne_u32_e32 vcc, s7, v12
	v_mov_b32_e32 v19, 0x7f80
	s_and_saveexec_b64 s[10:11], vcc
	s_cbranch_execz .LBB884_565
; %bb.564:
	v_and_b32_e32 v19, 7, v10
	v_ffbh_u32_e32 v23, v19
	v_min_u32_e32 v23, 32, v23
	v_subrev_u32_e32 v24, 28, v23
	v_lshlrev_b64 v[24:25], v24, v[10:11]
	v_lshrrev_b32_e32 v21, 3, v12
	v_sub_u32_e32 v23, 29, v23
	v_and_b32_e32 v24, 7, v24
	v_cmp_gt_u32_e32 vcc, 8, v12
	v_cndmask_b32_e32 v12, v21, v23, vcc
	v_cndmask_b32_e32 v19, v19, v24, vcc
	v_lshlrev_b32_e32 v10, 24, v10
	v_bfrev_b32_e32 v21, 60
	v_lshlrev_b32_e32 v19, 20, v19
	v_and_b32_e32 v10, 0x80000000, v10
	v_lshl_add_u32 v12, v12, 23, v21
	v_or3_b32 v10, v10, v12, v19
	v_lshrrev_b32_e32 v19, 16, v10
.LBB884_565:
	s_or_b64 exec, exec, s[10:11]
.LBB884_566:
	s_or_b64 exec, exec, s[8:9]
.LBB884_567:
	s_or_b64 exec, exec, s[2:3]
	v_mov_b32_e32 v12, 0
	v_cmp_ne_u16_sdwa s[8:9], v13, v12 src0_sel:BYTE_0 src1_sel:DWORD
	v_mov_b32_e32 v21, 0
	s_and_saveexec_b64 s[2:3], s[8:9]
	s_cbranch_execz .LBB884_573
; %bb.568:
	s_movk_i32 s7, 0x80
	v_cmp_ne_u16_sdwa s[10:11], v13, s7 src0_sel:BYTE_0 src1_sel:DWORD
	v_mov_b32_e32 v21, 0xffff8000
	s_and_saveexec_b64 s[8:9], s[10:11]
	s_cbranch_execz .LBB884_572
; %bb.569:
	s_movk_i32 s7, 0x7f
	v_and_b32_e32 v10, 0x7f, v13
	v_cmp_ne_u32_e32 vcc, s7, v10
	v_mov_b32_e32 v21, 0x7f80
	s_and_saveexec_b64 s[10:11], vcc
	s_cbranch_execz .LBB884_571
; %bb.570:
	v_and_b32_e32 v21, 7, v13
	v_ffbh_u32_e32 v25, v21
	v_min_u32_e32 v26, 32, v25
	v_mov_b32_e32 v24, v13
	v_subrev_u32_e32 v25, 28, v26
	v_lshlrev_b64 v[24:25], v25, v[24:25]
	v_lshrrev_b32_e32 v23, 3, v10
	v_sub_u32_e32 v25, 29, v26
	v_and_b32_e32 v24, 7, v24
	v_cmp_gt_u32_e32 vcc, 8, v10
	v_cndmask_b32_e32 v10, v23, v25, vcc
	v_cndmask_b32_e32 v21, v21, v24, vcc
	v_lshlrev_b32_e32 v23, 24, v13
	v_bfrev_b32_e32 v24, 60
	v_lshlrev_b32_e32 v21, 20, v21
	v_and_b32_e32 v23, 0x80000000, v23
	v_lshl_add_u32 v10, v10, 23, v24
	v_or3_b32 v10, v23, v10, v21
	v_lshrrev_b32_e32 v21, 16, v10
.LBB884_571:
	s_or_b64 exec, exec, s[10:11]
.LBB884_572:
	s_or_b64 exec, exec, s[8:9]
.LBB884_573:
	s_or_b64 exec, exec, s[2:3]
	v_lshrrev_b16_e32 v10, 8, v13
	v_cmp_ne_u16_e32 vcc, 0, v10
	s_and_saveexec_b64 s[2:3], vcc
	s_cbranch_execz .LBB884_579
; %bb.574:
	s_movk_i32 s7, 0x80
	v_cmp_ne_u16_e32 vcc, s7, v10
	v_mov_b32_e32 v12, 0xffff8000
	s_and_saveexec_b64 s[8:9], vcc
	s_cbranch_execz .LBB884_578
; %bb.575:
	s_movk_i32 s7, 0x7f
	v_and_b32_e32 v23, 0x7f, v10
	v_cmp_ne_u32_e32 vcc, s7, v23
	v_mov_b32_e32 v12, 0x7f80
	s_and_saveexec_b64 s[10:11], vcc
	s_cbranch_execz .LBB884_577
; %bb.576:
	v_and_b32_e32 v12, 7, v10
	v_ffbh_u32_e32 v24, v12
	v_min_u32_e32 v27, 32, v24
	v_subrev_u32_e32 v24, 28, v27
	v_lshlrev_b64 v[24:25], v24, v[10:11]
	v_lshrrev_b32_e32 v26, 3, v23
	v_sub_u32_e32 v10, 29, v27
	v_and_b32_e32 v24, 7, v24
	v_cmp_gt_u32_e32 vcc, 8, v23
	v_cndmask_b32_e32 v10, v26, v10, vcc
	v_cndmask_b32_e32 v12, v12, v24, vcc
	v_lshlrev_b32_e32 v23, 16, v13
	v_bfrev_b32_e32 v24, 60
	v_lshlrev_b32_e32 v12, 20, v12
	v_and_b32_e32 v23, 0x80000000, v23
	v_lshl_add_u32 v10, v10, 23, v24
	v_or3_b32 v10, v23, v10, v12
	v_lshrrev_b32_e32 v12, 16, v10
.LBB884_577:
	s_or_b64 exec, exec, s[10:11]
.LBB884_578:
	s_or_b64 exec, exec, s[8:9]
.LBB884_579:
	s_or_b64 exec, exec, s[2:3]
	s_movk_i32 s2, 0xff
	v_and_b32_sdwa v25, v13, s2 dst_sel:DWORD dst_unused:UNUSED_PAD src0_sel:WORD_1 src1_sel:DWORD
	v_lshrrev_b32_e32 v10, 16, v13
	v_cmp_ne_u16_e32 vcc, 0, v25
	v_mov_b32_e32 v23, 0
	v_mov_b32_e32 v24, 0
	s_and_saveexec_b64 s[2:3], vcc
	s_cbranch_execz .LBB884_585
; %bb.580:
	s_movk_i32 s7, 0x80
	v_cmp_ne_u16_e32 vcc, s7, v25
	v_mov_b32_e32 v24, 0xffff8000
	s_and_saveexec_b64 s[8:9], vcc
	s_cbranch_execz .LBB884_584
; %bb.581:
	v_bfe_u32 v25, v13, 16, 7
	s_movk_i32 s7, 0x7f
	v_cmp_ne_u32_e32 vcc, s7, v25
	v_mov_b32_e32 v24, 0x7f80
	s_and_saveexec_b64 s[10:11], vcc
	s_cbranch_execz .LBB884_583
; %bb.582:
	v_and_b32_e32 v24, 7, v10
	v_ffbh_u32_e32 v26, v24
	v_min_u32_e32 v30, 32, v26
	v_subrev_u32_e32 v26, 28, v30
	v_lshlrev_b64 v[26:27], v26, v[10:11]
	v_lshrrev_b32_e32 v29, 3, v25
	v_sub_u32_e32 v10, 29, v30
	v_and_b32_e32 v26, 7, v26
	v_cmp_gt_u32_e32 vcc, 8, v25
	v_mov_b32_e32 v25, 24
	v_cndmask_b32_e32 v10, v29, v10, vcc
	v_cndmask_b32_e32 v24, v24, v26, vcc
	v_lshlrev_b32_sdwa v25, v25, v13 dst_sel:DWORD dst_unused:UNUSED_PAD src0_sel:DWORD src1_sel:WORD_1
	v_bfrev_b32_e32 v26, 60
	v_lshlrev_b32_e32 v24, 20, v24
	v_and_b32_e32 v25, 0x80000000, v25
	v_lshl_add_u32 v10, v10, 23, v26
	v_or3_b32 v10, v25, v10, v24
	v_lshrrev_b32_e32 v24, 16, v10
.LBB884_583:
	s_or_b64 exec, exec, s[10:11]
.LBB884_584:
	s_or_b64 exec, exec, s[8:9]
.LBB884_585:
	s_or_b64 exec, exec, s[2:3]
	s_mov_b32 s2, 0xffffff
	v_cmp_lt_u32_e32 vcc, s2, v13
	s_and_saveexec_b64 s[2:3], vcc
	s_cbranch_execz .LBB884_591
; %bb.586:
	v_lshrrev_b32_e32 v10, 24, v13
	s_movk_i32 s7, 0x80
	v_cmp_ne_u32_e32 vcc, s7, v10
	v_mov_b32_e32 v23, 0xffff8000
	s_and_saveexec_b64 s[8:9], vcc
	s_cbranch_execz .LBB884_590
; %bb.587:
	v_bfe_u32 v13, v13, 24, 7
	s_movk_i32 s7, 0x7f
	v_cmp_ne_u32_e32 vcc, s7, v13
	v_mov_b32_e32 v23, 0x7f80
	s_and_saveexec_b64 s[10:11], vcc
	s_cbranch_execz .LBB884_589
; %bb.588:
	v_and_b32_e32 v23, 7, v10
	v_ffbh_u32_e32 v26, v23
	v_min_u32_e32 v29, 32, v26
	v_subrev_u32_e32 v26, 28, v29
	v_lshlrev_b64 v[26:27], v26, v[10:11]
	v_lshrrev_b32_e32 v25, 3, v13
	v_sub_u32_e32 v27, 29, v29
	v_and_b32_e32 v26, 7, v26
	v_cmp_gt_u32_e32 vcc, 8, v13
	v_cndmask_b32_e32 v13, v25, v27, vcc
	v_cndmask_b32_e32 v23, v23, v26, vcc
	v_lshlrev_b32_e32 v10, 24, v10
	v_bfrev_b32_e32 v25, 60
	v_lshlrev_b32_e32 v23, 20, v23
	v_and_b32_e32 v10, 0x80000000, v10
	v_lshl_add_u32 v13, v13, 23, v25
	v_or3_b32 v10, v10, v13, v23
	v_lshrrev_b32_e32 v23, 16, v10
.LBB884_589:
	s_or_b64 exec, exec, s[10:11]
.LBB884_590:
	s_or_b64 exec, exec, s[8:9]
.LBB884_591:
	s_or_b64 exec, exec, s[2:3]
	s_mov_b32 s2, 0x5040100
	v_perm_b32 v19, v19, v20, s2
	v_perm_b32 v18, v11, v18, s2
	ds_read_b128 v[30:33], v22 offset:2064
	v_perm_b32 v11, v23, v24, s2
	v_perm_b32 v10, v12, v21, s2
	s_waitcnt lgkmcnt(0)
	v_mfma_f32_16x16x16bf16_1k v[34:37], v[18:19], v[30:31], v[14:17]
	s_nop 6
	v_mov_b32_e32 v15, 0
	s_waitcnt vmcnt(1)
	v_cmp_ne_u16_sdwa s[8:9], v6, v15 src0_sel:BYTE_0 src1_sel:DWORD
	v_mfma_f32_16x16x16bf16_1k v[10:13], v[10:11], v[32:33], v[34:37]
	v_mov_b32_e32 v16, 0
	s_and_saveexec_b64 s[2:3], s[8:9]
	s_cbranch_execz .LBB884_597
; %bb.592:
	s_movk_i32 s7, 0x80
	v_cmp_ne_u16_sdwa s[10:11], v6, s7 src0_sel:BYTE_0 src1_sel:DWORD
	v_mov_b32_e32 v16, 0xffff8000
	s_and_saveexec_b64 s[8:9], s[10:11]
	s_cbranch_execz .LBB884_596
; %bb.593:
	s_movk_i32 s7, 0x7f
	v_and_b32_e32 v14, 0x7f, v6
	v_cmp_ne_u32_e32 vcc, s7, v14
	v_mov_b32_e32 v16, 0x7f80
	s_and_saveexec_b64 s[10:11], vcc
	s_cbranch_execz .LBB884_595
; %bb.594:
	v_and_b32_e32 v18, 7, v6
	v_ffbh_u32_e32 v16, v18
	v_min_u32_e32 v20, 32, v16
	v_subrev_u32_e32 v16, 28, v20
	v_lshlrev_b64 v[16:17], v16, v[6:7]
	v_lshrrev_b32_e32 v19, 3, v14
	v_sub_u32_e32 v17, 29, v20
	v_and_b32_e32 v16, 7, v16
	v_cmp_gt_u32_e32 vcc, 8, v14
	v_cndmask_b32_e32 v14, v19, v17, vcc
	v_cndmask_b32_e32 v16, v18, v16, vcc
	v_lshlrev_b32_e32 v17, 24, v6
	v_bfrev_b32_e32 v18, 60
	v_lshlrev_b32_e32 v16, 20, v16
	v_and_b32_e32 v17, 0x80000000, v17
	v_lshl_add_u32 v14, v14, 23, v18
	v_or3_b32 v14, v17, v14, v16
	v_lshrrev_b32_e32 v16, 16, v14
.LBB884_595:
	s_or_b64 exec, exec, s[10:11]
.LBB884_596:
	s_or_b64 exec, exec, s[8:9]
.LBB884_597:
	s_or_b64 exec, exec, s[2:3]
	v_lshrrev_b16_e32 v14, 8, v6
	v_cmp_ne_u16_e32 vcc, 0, v14
	s_and_saveexec_b64 s[2:3], vcc
	s_cbranch_execz .LBB884_603
; %bb.598:
	s_movk_i32 s7, 0x80
	v_cmp_ne_u16_e32 vcc, s7, v14
	v_mov_b32_e32 v15, 0xffff8000
	s_and_saveexec_b64 s[8:9], vcc
	s_cbranch_execz .LBB884_602
; %bb.599:
	s_movk_i32 s7, 0x7f
	v_and_b32_e32 v17, 0x7f, v14
	v_cmp_ne_u32_e32 vcc, s7, v17
	v_mov_b32_e32 v15, 0x7f80
	s_and_saveexec_b64 s[10:11], vcc
	s_cbranch_execz .LBB884_601
; %bb.600:
	v_and_b32_e32 v18, 7, v14
	v_ffbh_u32_e32 v15, v18
	v_min_u32_e32 v20, 32, v15
	v_subrev_u32_e32 v15, 28, v20
	v_lshlrev_b64 v[14:15], v15, v[14:15]
	v_lshrrev_b32_e32 v19, 3, v17
	v_sub_u32_e32 v15, 29, v20
	v_and_b32_e32 v14, 7, v14
	v_cmp_gt_u32_e32 vcc, 8, v17
	v_cndmask_b32_e32 v15, v19, v15, vcc
	v_cndmask_b32_e32 v14, v18, v14, vcc
	v_lshlrev_b32_e32 v17, 16, v6
	v_bfrev_b32_e32 v18, 60
	v_lshlrev_b32_e32 v14, 20, v14
	v_and_b32_e32 v17, 0x80000000, v17
	v_lshl_add_u32 v15, v15, 23, v18
	v_or3_b32 v14, v17, v15, v14
	v_lshrrev_b32_e32 v15, 16, v14
.LBB884_601:
	s_or_b64 exec, exec, s[10:11]
.LBB884_602:
	s_or_b64 exec, exec, s[8:9]
.LBB884_603:
	s_or_b64 exec, exec, s[2:3]
	s_movk_i32 s2, 0xff
	v_and_b32_sdwa v19, v6, s2 dst_sel:DWORD dst_unused:UNUSED_PAD src0_sel:WORD_1 src1_sel:DWORD
	v_lshrrev_b32_e32 v14, 16, v6
	v_cmp_ne_u16_e32 vcc, 0, v19
	v_mov_b32_e32 v17, 0
	v_mov_b32_e32 v18, 0
	s_and_saveexec_b64 s[2:3], vcc
	s_cbranch_execz .LBB884_609
; %bb.604:
	s_movk_i32 s7, 0x80
	v_cmp_ne_u16_e32 vcc, s7, v19
	v_mov_b32_e32 v18, 0xffff8000
	s_and_saveexec_b64 s[8:9], vcc
	s_cbranch_execz .LBB884_608
; %bb.605:
	v_bfe_u32 v19, v6, 16, 7
	s_movk_i32 s7, 0x7f
	v_cmp_ne_u32_e32 vcc, s7, v19
	v_mov_b32_e32 v18, 0x7f80
	s_and_saveexec_b64 s[10:11], vcc
	s_cbranch_execz .LBB884_607
; %bb.606:
	v_and_b32_e32 v18, 7, v14
	v_ffbh_u32_e32 v20, v18
	v_min_u32_e32 v24, 32, v20
	v_subrev_u32_e32 v20, 28, v24
	v_lshlrev_b64 v[20:21], v20, v[14:15]
	v_lshrrev_b32_e32 v23, 3, v19
	v_sub_u32_e32 v14, 29, v24
	v_and_b32_e32 v20, 7, v20
	v_cmp_gt_u32_e32 vcc, 8, v19
	v_mov_b32_e32 v19, 24
	v_cndmask_b32_e32 v14, v23, v14, vcc
	v_cndmask_b32_e32 v18, v18, v20, vcc
	v_lshlrev_b32_sdwa v19, v19, v6 dst_sel:DWORD dst_unused:UNUSED_PAD src0_sel:DWORD src1_sel:WORD_1
	v_bfrev_b32_e32 v20, 60
	v_lshlrev_b32_e32 v18, 20, v18
	v_and_b32_e32 v19, 0x80000000, v19
	v_lshl_add_u32 v14, v14, 23, v20
	v_or3_b32 v14, v19, v14, v18
	v_lshrrev_b32_e32 v18, 16, v14
.LBB884_607:
	s_or_b64 exec, exec, s[10:11]
.LBB884_608:
	s_or_b64 exec, exec, s[8:9]
.LBB884_609:
	s_or_b64 exec, exec, s[2:3]
	s_mov_b32 s2, 0xffffff
	v_cmp_lt_u32_e32 vcc, s2, v6
	s_and_saveexec_b64 s[2:3], vcc
	s_cbranch_execz .LBB884_615
; %bb.610:
	v_lshrrev_b32_e32 v14, 24, v6
	s_movk_i32 s7, 0x80
	v_cmp_ne_u32_e32 vcc, s7, v14
	v_mov_b32_e32 v17, 0xffff8000
	s_and_saveexec_b64 s[8:9], vcc
	s_cbranch_execz .LBB884_614
; %bb.611:
	v_bfe_u32 v6, v6, 24, 7
	s_movk_i32 s7, 0x7f
	v_cmp_ne_u32_e32 vcc, s7, v6
	v_mov_b32_e32 v17, 0x7f80
	s_and_saveexec_b64 s[10:11], vcc
	s_cbranch_execz .LBB884_613
; %bb.612:
	v_and_b32_e32 v17, 7, v14
	v_ffbh_u32_e32 v20, v17
	v_min_u32_e32 v23, 32, v20
	v_subrev_u32_e32 v20, 28, v23
	v_lshlrev_b64 v[20:21], v20, v[14:15]
	v_lshrrev_b32_e32 v19, 3, v6
	v_sub_u32_e32 v21, 29, v23
	v_and_b32_e32 v20, 7, v20
	v_cmp_gt_u32_e32 vcc, 8, v6
	v_cndmask_b32_e32 v6, v19, v21, vcc
	v_cndmask_b32_e32 v17, v17, v20, vcc
	v_lshlrev_b32_e32 v14, 24, v14
	v_bfrev_b32_e32 v19, 60
	v_lshlrev_b32_e32 v17, 20, v17
	v_and_b32_e32 v14, 0x80000000, v14
	v_lshl_add_u32 v6, v6, 23, v19
	v_or3_b32 v6, v14, v6, v17
	v_lshrrev_b32_e32 v17, 16, v6
.LBB884_613:
	s_or_b64 exec, exec, s[10:11]
.LBB884_614:
	s_or_b64 exec, exec, s[8:9]
.LBB884_615:
	s_or_b64 exec, exec, s[2:3]
	v_mov_b32_e32 v14, 0
	v_cmp_ne_u16_sdwa s[8:9], v7, v14 src0_sel:BYTE_0 src1_sel:DWORD
	v_mov_b32_e32 v19, 0
	s_and_saveexec_b64 s[2:3], s[8:9]
	s_cbranch_execz .LBB884_621
; %bb.616:
	s_movk_i32 s7, 0x80
	v_cmp_ne_u16_sdwa s[10:11], v7, s7 src0_sel:BYTE_0 src1_sel:DWORD
	v_mov_b32_e32 v19, 0xffff8000
	s_and_saveexec_b64 s[8:9], s[10:11]
	s_cbranch_execz .LBB884_620
; %bb.617:
	s_movk_i32 s7, 0x7f
	v_and_b32_e32 v6, 0x7f, v7
	v_cmp_ne_u32_e32 vcc, s7, v6
	v_mov_b32_e32 v19, 0x7f80
	s_and_saveexec_b64 s[10:11], vcc
	s_cbranch_execz .LBB884_619
; %bb.618:
	v_and_b32_e32 v19, 7, v7
	v_ffbh_u32_e32 v21, v19
	v_min_u32_e32 v24, 32, v21
	v_mov_b32_e32 v20, v7
	v_subrev_u32_e32 v21, 28, v24
	v_lshlrev_b64 v[20:21], v21, v[20:21]
	v_lshrrev_b32_e32 v23, 3, v6
	v_sub_u32_e32 v21, 29, v24
	v_and_b32_e32 v20, 7, v20
	v_cmp_gt_u32_e32 vcc, 8, v6
	v_cndmask_b32_e32 v6, v23, v21, vcc
	v_cndmask_b32_e32 v19, v19, v20, vcc
	v_lshlrev_b32_e32 v20, 24, v7
	v_bfrev_b32_e32 v21, 60
	v_lshlrev_b32_e32 v19, 20, v19
	v_and_b32_e32 v20, 0x80000000, v20
	v_lshl_add_u32 v6, v6, 23, v21
	v_or3_b32 v6, v20, v6, v19
	v_lshrrev_b32_e32 v19, 16, v6
.LBB884_619:
	s_or_b64 exec, exec, s[10:11]
.LBB884_620:
	s_or_b64 exec, exec, s[8:9]
.LBB884_621:
	s_or_b64 exec, exec, s[2:3]
	v_lshrrev_b16_e32 v6, 8, v7
	v_cmp_ne_u16_e32 vcc, 0, v6
	s_and_saveexec_b64 s[2:3], vcc
	s_cbranch_execz .LBB884_627
; %bb.622:
	s_movk_i32 s7, 0x80
	v_cmp_ne_u16_e32 vcc, s7, v6
	v_mov_b32_e32 v14, 0xffff8000
	s_and_saveexec_b64 s[8:9], vcc
	s_cbranch_execz .LBB884_626
; %bb.623:
	s_movk_i32 s7, 0x7f
	v_and_b32_e32 v20, 0x7f, v6
	v_cmp_ne_u32_e32 vcc, s7, v20
	v_mov_b32_e32 v14, 0x7f80
	s_and_saveexec_b64 s[10:11], vcc
	s_cbranch_execz .LBB884_625
; %bb.624:
	v_and_b32_e32 v14, 7, v6
	v_ffbh_u32_e32 v23, v14
	v_min_u32_e32 v23, 32, v23
	v_subrev_u32_e32 v24, 28, v23
	v_lshlrev_b64 v[24:25], v24, v[6:7]
	v_lshrrev_b32_e32 v21, 3, v20
	v_sub_u32_e32 v6, 29, v23
	v_and_b32_e32 v23, 7, v24
	v_cmp_gt_u32_e32 vcc, 8, v20
	v_cndmask_b32_e32 v6, v21, v6, vcc
	v_cndmask_b32_e32 v14, v14, v23, vcc
	v_lshlrev_b32_e32 v20, 16, v7
	v_bfrev_b32_e32 v21, 60
	v_lshlrev_b32_e32 v14, 20, v14
	v_and_b32_e32 v20, 0x80000000, v20
	v_lshl_add_u32 v6, v6, 23, v21
	v_or3_b32 v6, v20, v6, v14
	v_lshrrev_b32_e32 v14, 16, v6
.LBB884_625:
	s_or_b64 exec, exec, s[10:11]
.LBB884_626:
	s_or_b64 exec, exec, s[8:9]
.LBB884_627:
	s_or_b64 exec, exec, s[2:3]
	s_movk_i32 s2, 0xff
	v_and_b32_sdwa v23, v7, s2 dst_sel:DWORD dst_unused:UNUSED_PAD src0_sel:WORD_1 src1_sel:DWORD
	v_lshrrev_b32_e32 v6, 16, v7
	v_cmp_ne_u16_e32 vcc, 0, v23
	v_mov_b32_e32 v20, 0
	v_mov_b32_e32 v21, 0
	s_and_saveexec_b64 s[2:3], vcc
	s_cbranch_execz .LBB884_633
; %bb.628:
	s_movk_i32 s7, 0x80
	v_cmp_ne_u16_e32 vcc, s7, v23
	v_mov_b32_e32 v21, 0xffff8000
	s_and_saveexec_b64 s[8:9], vcc
	s_cbranch_execz .LBB884_632
; %bb.629:
	v_bfe_u32 v23, v7, 16, 7
	s_movk_i32 s7, 0x7f
	v_cmp_ne_u32_e32 vcc, s7, v23
	v_mov_b32_e32 v21, 0x7f80
	s_and_saveexec_b64 s[10:11], vcc
	s_cbranch_execz .LBB884_631
; %bb.630:
	v_and_b32_e32 v21, 7, v6
	v_ffbh_u32_e32 v24, v21
	v_min_u32_e32 v27, 32, v24
	v_subrev_u32_e32 v24, 28, v27
	v_lshlrev_b64 v[24:25], v24, v[6:7]
	v_lshrrev_b32_e32 v26, 3, v23
	v_sub_u32_e32 v6, 29, v27
	v_and_b32_e32 v24, 7, v24
	v_cmp_gt_u32_e32 vcc, 8, v23
	v_mov_b32_e32 v23, 24
	v_cndmask_b32_e32 v6, v26, v6, vcc
	v_cndmask_b32_e32 v21, v21, v24, vcc
	v_lshlrev_b32_sdwa v23, v23, v7 dst_sel:DWORD dst_unused:UNUSED_PAD src0_sel:DWORD src1_sel:WORD_1
	v_bfrev_b32_e32 v24, 60
	v_lshlrev_b32_e32 v21, 20, v21
	v_and_b32_e32 v23, 0x80000000, v23
	v_lshl_add_u32 v6, v6, 23, v24
	v_or3_b32 v6, v23, v6, v21
	v_lshrrev_b32_e32 v21, 16, v6
.LBB884_631:
	s_or_b64 exec, exec, s[10:11]
.LBB884_632:
	s_or_b64 exec, exec, s[8:9]
.LBB884_633:
	s_or_b64 exec, exec, s[2:3]
	s_mov_b32 s2, 0xffffff
	v_cmp_lt_u32_e32 vcc, s2, v7
	s_and_saveexec_b64 s[2:3], vcc
	s_cbranch_execz .LBB884_639
; %bb.634:
	v_lshrrev_b32_e32 v6, 24, v7
	s_movk_i32 s7, 0x80
	v_cmp_ne_u32_e32 vcc, s7, v6
	v_mov_b32_e32 v20, 0xffff8000
	s_and_saveexec_b64 s[8:9], vcc
	s_cbranch_execz .LBB884_638
; %bb.635:
	v_bfe_u32 v7, v7, 24, 7
	s_movk_i32 s7, 0x7f
	v_cmp_ne_u32_e32 vcc, s7, v7
	v_mov_b32_e32 v20, 0x7f80
	s_and_saveexec_b64 s[10:11], vcc
	s_cbranch_execz .LBB884_637
; %bb.636:
	v_and_b32_e32 v20, 7, v6
	v_ffbh_u32_e32 v24, v20
	v_min_u32_e32 v26, 32, v24
	v_subrev_u32_e32 v24, 28, v26
	v_lshlrev_b64 v[24:25], v24, v[6:7]
	v_lshrrev_b32_e32 v23, 3, v7
	v_sub_u32_e32 v25, 29, v26
	v_and_b32_e32 v24, 7, v24
	v_cmp_gt_u32_e32 vcc, 8, v7
	v_cndmask_b32_e32 v7, v23, v25, vcc
	v_cndmask_b32_e32 v20, v20, v24, vcc
	v_lshlrev_b32_e32 v6, 24, v6
	v_bfrev_b32_e32 v23, 60
	v_lshlrev_b32_e32 v20, 20, v20
	v_and_b32_e32 v6, 0x80000000, v6
	v_lshl_add_u32 v7, v7, 23, v23
	v_or3_b32 v6, v6, v7, v20
	v_lshrrev_b32_e32 v20, 16, v6
.LBB884_637:
	s_or_b64 exec, exec, s[10:11]
.LBB884_638:
	s_or_b64 exec, exec, s[8:9]
.LBB884_639:
	s_or_b64 exec, exec, s[2:3]
	s_mov_b32 s2, 0x5040100
	v_perm_b32 v7, v17, v18, s2
	v_perm_b32 v6, v15, v16, s2
	ds_read_b128 v[24:27], v22 offset:4096
	v_perm_b32 v17, v20, v21, s2
	v_perm_b32 v16, v14, v19, s2
	s_waitcnt lgkmcnt(0)
	v_mfma_f32_16x16x16bf16_1k v[10:13], v[6:7], v[24:25], v[10:13]
	v_mov_b32_e32 v7, 0
	v_cmp_ne_u16_sdwa s[8:9], v8, v7 src0_sel:BYTE_0 src1_sel:DWORD
	v_mov_b32_e32 v14, 0
	v_mfma_f32_16x16x16bf16_1k v[10:13], v[16:17], v[26:27], v[10:13]
	s_and_saveexec_b64 s[2:3], s[8:9]
	s_cbranch_execz .LBB884_645
; %bb.640:
	s_movk_i32 s7, 0x80
	v_cmp_ne_u16_sdwa s[10:11], v8, s7 src0_sel:BYTE_0 src1_sel:DWORD
	v_mov_b32_e32 v14, 0xffff8000
	s_and_saveexec_b64 s[8:9], s[10:11]
	s_cbranch_execz .LBB884_644
; %bb.641:
	s_movk_i32 s7, 0x7f
	v_and_b32_e32 v6, 0x7f, v8
	v_cmp_ne_u32_e32 vcc, s7, v6
	v_mov_b32_e32 v14, 0x7f80
	s_and_saveexec_b64 s[10:11], vcc
	s_cbranch_execz .LBB884_643
; %bb.642:
	v_and_b32_e32 v16, 7, v8
	v_ffbh_u32_e32 v14, v16
	v_min_u32_e32 v18, 32, v14
	v_subrev_u32_e32 v14, 28, v18
	v_lshlrev_b64 v[14:15], v14, v[8:9]
	v_lshrrev_b32_e32 v17, 3, v6
	v_sub_u32_e32 v15, 29, v18
	v_and_b32_e32 v14, 7, v14
	v_cmp_gt_u32_e32 vcc, 8, v6
	v_cndmask_b32_e32 v6, v17, v15, vcc
	v_cndmask_b32_e32 v14, v16, v14, vcc
	v_lshlrev_b32_e32 v15, 24, v8
	v_bfrev_b32_e32 v16, 60
	v_lshlrev_b32_e32 v14, 20, v14
	v_and_b32_e32 v15, 0x80000000, v15
	v_lshl_add_u32 v6, v6, 23, v16
	v_or3_b32 v6, v15, v6, v14
	v_lshrrev_b32_e32 v14, 16, v6
.LBB884_643:
	s_or_b64 exec, exec, s[10:11]
.LBB884_644:
	s_or_b64 exec, exec, s[8:9]
.LBB884_645:
	s_or_b64 exec, exec, s[2:3]
	v_lshrrev_b16_e32 v6, 8, v8
	v_cmp_ne_u16_e32 vcc, 0, v6
	s_and_saveexec_b64 s[2:3], vcc
	s_cbranch_execz .LBB884_651
; %bb.646:
	s_movk_i32 s7, 0x80
	v_cmp_ne_u16_e32 vcc, s7, v6
	v_mov_b32_e32 v7, 0xffff8000
	s_and_saveexec_b64 s[8:9], vcc
	s_cbranch_execz .LBB884_650
; %bb.647:
	s_movk_i32 s7, 0x7f
	v_and_b32_e32 v15, 0x7f, v6
	v_cmp_ne_u32_e32 vcc, s7, v15
	v_mov_b32_e32 v7, 0x7f80
	s_and_saveexec_b64 s[10:11], vcc
	s_cbranch_execz .LBB884_649
; %bb.648:
	v_and_b32_e32 v16, 7, v6
	v_ffbh_u32_e32 v7, v16
	v_min_u32_e32 v18, 32, v7
	v_subrev_u32_e32 v7, 28, v18
	v_lshlrev_b64 v[6:7], v7, v[6:7]
	v_lshrrev_b32_e32 v17, 3, v15
	v_sub_u32_e32 v7, 29, v18
	v_and_b32_e32 v6, 7, v6
	v_cmp_gt_u32_e32 vcc, 8, v15
	v_cndmask_b32_e32 v7, v17, v7, vcc
	v_cndmask_b32_e32 v6, v16, v6, vcc
	v_lshlrev_b32_e32 v15, 16, v8
	v_bfrev_b32_e32 v16, 60
	v_lshlrev_b32_e32 v6, 20, v6
	v_and_b32_e32 v15, 0x80000000, v15
	v_lshl_add_u32 v7, v7, 23, v16
	v_or3_b32 v6, v15, v7, v6
	v_lshrrev_b32_e32 v7, 16, v6
.LBB884_649:
	s_or_b64 exec, exec, s[10:11]
.LBB884_650:
	s_or_b64 exec, exec, s[8:9]
.LBB884_651:
	s_or_b64 exec, exec, s[2:3]
	s_movk_i32 s2, 0xff
	v_and_b32_sdwa v17, v8, s2 dst_sel:DWORD dst_unused:UNUSED_PAD src0_sel:WORD_1 src1_sel:DWORD
	v_lshrrev_b32_e32 v6, 16, v8
	v_cmp_ne_u16_e32 vcc, 0, v17
	v_mov_b32_e32 v15, 0
	v_mov_b32_e32 v16, 0
	s_and_saveexec_b64 s[2:3], vcc
	s_cbranch_execz .LBB884_657
; %bb.652:
	s_movk_i32 s7, 0x80
	v_cmp_ne_u16_e32 vcc, s7, v17
	v_mov_b32_e32 v16, 0xffff8000
	s_and_saveexec_b64 s[8:9], vcc
	s_cbranch_execz .LBB884_656
; %bb.653:
	v_bfe_u32 v17, v8, 16, 7
	s_movk_i32 s7, 0x7f
	v_cmp_ne_u32_e32 vcc, s7, v17
	v_mov_b32_e32 v16, 0x7f80
	s_and_saveexec_b64 s[10:11], vcc
	s_cbranch_execz .LBB884_655
; %bb.654:
	v_and_b32_e32 v16, 7, v6
	v_ffbh_u32_e32 v18, v16
	v_min_u32_e32 v21, 32, v18
	v_subrev_u32_e32 v18, 28, v21
	v_lshlrev_b64 v[18:19], v18, v[6:7]
	v_lshrrev_b32_e32 v20, 3, v17
	v_sub_u32_e32 v6, 29, v21
	v_and_b32_e32 v18, 7, v18
	v_cmp_gt_u32_e32 vcc, 8, v17
	v_mov_b32_e32 v17, 24
	v_cndmask_b32_e32 v6, v20, v6, vcc
	v_cndmask_b32_e32 v16, v16, v18, vcc
	v_lshlrev_b32_sdwa v17, v17, v8 dst_sel:DWORD dst_unused:UNUSED_PAD src0_sel:DWORD src1_sel:WORD_1
	v_bfrev_b32_e32 v18, 60
	v_lshlrev_b32_e32 v16, 20, v16
	v_and_b32_e32 v17, 0x80000000, v17
	v_lshl_add_u32 v6, v6, 23, v18
	v_or3_b32 v6, v17, v6, v16
	v_lshrrev_b32_e32 v16, 16, v6
.LBB884_655:
	s_or_b64 exec, exec, s[10:11]
.LBB884_656:
	s_or_b64 exec, exec, s[8:9]
.LBB884_657:
	s_or_b64 exec, exec, s[2:3]
	s_mov_b32 s2, 0xffffff
	v_cmp_lt_u32_e32 vcc, s2, v8
	s_and_saveexec_b64 s[2:3], vcc
	s_cbranch_execz .LBB884_663
; %bb.658:
	v_lshrrev_b32_e32 v6, 24, v8
	s_movk_i32 s7, 0x80
	v_cmp_ne_u32_e32 vcc, s7, v6
	v_mov_b32_e32 v15, 0xffff8000
	s_and_saveexec_b64 s[8:9], vcc
	s_cbranch_execz .LBB884_662
; %bb.659:
	v_bfe_u32 v8, v8, 24, 7
	s_movk_i32 s7, 0x7f
	v_cmp_ne_u32_e32 vcc, s7, v8
	v_mov_b32_e32 v15, 0x7f80
	s_and_saveexec_b64 s[10:11], vcc
	s_cbranch_execz .LBB884_661
; %bb.660:
	v_and_b32_e32 v15, 7, v6
	v_ffbh_u32_e32 v18, v15
	v_min_u32_e32 v20, 32, v18
	v_subrev_u32_e32 v18, 28, v20
	v_lshlrev_b64 v[18:19], v18, v[6:7]
	v_lshrrev_b32_e32 v17, 3, v8
	v_sub_u32_e32 v19, 29, v20
	v_and_b32_e32 v18, 7, v18
	v_cmp_gt_u32_e32 vcc, 8, v8
	v_cndmask_b32_e32 v8, v17, v19, vcc
	v_cndmask_b32_e32 v15, v15, v18, vcc
	v_lshlrev_b32_e32 v6, 24, v6
	v_bfrev_b32_e32 v17, 60
	v_lshlrev_b32_e32 v15, 20, v15
	v_and_b32_e32 v6, 0x80000000, v6
	v_lshl_add_u32 v8, v8, 23, v17
	v_or3_b32 v6, v6, v8, v15
	v_lshrrev_b32_e32 v15, 16, v6
.LBB884_661:
	s_or_b64 exec, exec, s[10:11]
.LBB884_662:
	s_or_b64 exec, exec, s[8:9]
.LBB884_663:
	s_or_b64 exec, exec, s[2:3]
	v_mov_b32_e32 v8, 0
	v_cmp_ne_u16_sdwa s[8:9], v9, v8 src0_sel:BYTE_0 src1_sel:DWORD
	v_mov_b32_e32 v17, 0
	s_and_saveexec_b64 s[2:3], s[8:9]
	s_cbranch_execz .LBB884_669
; %bb.664:
	s_movk_i32 s7, 0x80
	v_cmp_ne_u16_sdwa s[10:11], v9, s7 src0_sel:BYTE_0 src1_sel:DWORD
	v_mov_b32_e32 v17, 0xffff8000
	s_and_saveexec_b64 s[8:9], s[10:11]
	s_cbranch_execz .LBB884_668
; %bb.665:
	s_movk_i32 s7, 0x7f
	v_and_b32_e32 v6, 0x7f, v9
	v_cmp_ne_u32_e32 vcc, s7, v6
	v_mov_b32_e32 v17, 0x7f80
	s_and_saveexec_b64 s[10:11], vcc
	s_cbranch_execz .LBB884_667
; %bb.666:
	v_and_b32_e32 v17, 7, v9
	v_ffbh_u32_e32 v19, v17
	v_min_u32_e32 v21, 32, v19
	v_mov_b32_e32 v18, v9
	v_subrev_u32_e32 v19, 28, v21
	v_lshlrev_b64 v[18:19], v19, v[18:19]
	v_lshrrev_b32_e32 v20, 3, v6
	v_sub_u32_e32 v19, 29, v21
	v_and_b32_e32 v18, 7, v18
	v_cmp_gt_u32_e32 vcc, 8, v6
	v_cndmask_b32_e32 v6, v20, v19, vcc
	v_cndmask_b32_e32 v17, v17, v18, vcc
	v_lshlrev_b32_e32 v18, 24, v9
	v_bfrev_b32_e32 v19, 60
	v_lshlrev_b32_e32 v17, 20, v17
	v_and_b32_e32 v18, 0x80000000, v18
	v_lshl_add_u32 v6, v6, 23, v19
	v_or3_b32 v6, v18, v6, v17
	v_lshrrev_b32_e32 v17, 16, v6
.LBB884_667:
	s_or_b64 exec, exec, s[10:11]
.LBB884_668:
	s_or_b64 exec, exec, s[8:9]
.LBB884_669:
	s_or_b64 exec, exec, s[2:3]
	v_lshrrev_b16_e32 v6, 8, v9
	v_cmp_ne_u16_e32 vcc, 0, v6
	s_and_saveexec_b64 s[2:3], vcc
	s_cbranch_execz .LBB884_675
; %bb.670:
	s_movk_i32 s7, 0x80
	v_cmp_ne_u16_e32 vcc, s7, v6
	v_mov_b32_e32 v8, 0xffff8000
	s_and_saveexec_b64 s[8:9], vcc
	s_cbranch_execz .LBB884_674
; %bb.671:
	s_movk_i32 s7, 0x7f
	v_and_b32_e32 v18, 0x7f, v6
	v_cmp_ne_u32_e32 vcc, s7, v18
	v_mov_b32_e32 v8, 0x7f80
	s_and_saveexec_b64 s[10:11], vcc
	s_cbranch_execz .LBB884_673
; %bb.672:
	v_and_b32_e32 v8, 7, v6
	v_ffbh_u32_e32 v20, v8
	v_min_u32_e32 v23, 32, v20
	v_subrev_u32_e32 v20, 28, v23
	v_lshlrev_b64 v[20:21], v20, v[6:7]
	v_lshrrev_b32_e32 v19, 3, v18
	v_sub_u32_e32 v6, 29, v23
	v_and_b32_e32 v20, 7, v20
	v_cmp_gt_u32_e32 vcc, 8, v18
	v_cndmask_b32_e32 v6, v19, v6, vcc
	v_cndmask_b32_e32 v8, v8, v20, vcc
	v_lshlrev_b32_e32 v18, 16, v9
	v_bfrev_b32_e32 v19, 60
	v_lshlrev_b32_e32 v8, 20, v8
	v_and_b32_e32 v18, 0x80000000, v18
	v_lshl_add_u32 v6, v6, 23, v19
	v_or3_b32 v6, v18, v6, v8
	v_lshrrev_b32_e32 v8, 16, v6
.LBB884_673:
	s_or_b64 exec, exec, s[10:11]
.LBB884_674:
	s_or_b64 exec, exec, s[8:9]
.LBB884_675:
	s_or_b64 exec, exec, s[2:3]
	s_movk_i32 s2, 0xff
	v_and_b32_sdwa v20, v9, s2 dst_sel:DWORD dst_unused:UNUSED_PAD src0_sel:WORD_1 src1_sel:DWORD
	v_lshrrev_b32_e32 v6, 16, v9
	v_cmp_ne_u16_e32 vcc, 0, v20
	v_mov_b32_e32 v18, 0
	v_mov_b32_e32 v19, 0
	s_and_saveexec_b64 s[2:3], vcc
	s_cbranch_execz .LBB884_681
; %bb.676:
	s_movk_i32 s7, 0x80
	v_cmp_ne_u16_e32 vcc, s7, v20
	v_mov_b32_e32 v19, 0xffff8000
	s_and_saveexec_b64 s[8:9], vcc
	s_cbranch_execz .LBB884_680
; %bb.677:
	v_bfe_u32 v20, v9, 16, 7
	s_movk_i32 s7, 0x7f
	v_cmp_ne_u32_e32 vcc, s7, v20
	v_mov_b32_e32 v19, 0x7f80
	s_and_saveexec_b64 s[10:11], vcc
	s_cbranch_execz .LBB884_679
; %bb.678:
	v_and_b32_e32 v19, 7, v6
	v_ffbh_u32_e32 v23, v19
	v_min_u32_e32 v23, 32, v23
	v_subrev_u32_e32 v24, 28, v23
	v_lshlrev_b64 v[24:25], v24, v[6:7]
	v_lshrrev_b32_e32 v21, 3, v20
	v_sub_u32_e32 v6, 29, v23
	v_and_b32_e32 v23, 7, v24
	v_cmp_gt_u32_e32 vcc, 8, v20
	v_mov_b32_e32 v20, 24
	v_cndmask_b32_e32 v6, v21, v6, vcc
	v_cndmask_b32_e32 v19, v19, v23, vcc
	v_lshlrev_b32_sdwa v20, v20, v9 dst_sel:DWORD dst_unused:UNUSED_PAD src0_sel:DWORD src1_sel:WORD_1
	v_bfrev_b32_e32 v21, 60
	v_lshlrev_b32_e32 v19, 20, v19
	v_and_b32_e32 v20, 0x80000000, v20
	v_lshl_add_u32 v6, v6, 23, v21
	v_or3_b32 v6, v20, v6, v19
	v_lshrrev_b32_e32 v19, 16, v6
.LBB884_679:
	s_or_b64 exec, exec, s[10:11]
.LBB884_680:
	s_or_b64 exec, exec, s[8:9]
.LBB884_681:
	s_or_b64 exec, exec, s[2:3]
	s_mov_b32 s2, 0xffffff
	v_cmp_lt_u32_e32 vcc, s2, v9
	s_and_saveexec_b64 s[2:3], vcc
	s_cbranch_execz .LBB884_687
; %bb.682:
	v_lshrrev_b32_e32 v6, 24, v9
	s_movk_i32 s7, 0x80
	v_cmp_ne_u32_e32 vcc, s7, v6
	v_mov_b32_e32 v18, 0xffff8000
	s_and_saveexec_b64 s[8:9], vcc
	s_cbranch_execz .LBB884_686
; %bb.683:
	v_bfe_u32 v9, v9, 24, 7
	s_movk_i32 s7, 0x7f
	v_cmp_ne_u32_e32 vcc, s7, v9
	v_mov_b32_e32 v18, 0x7f80
	s_and_saveexec_b64 s[10:11], vcc
	s_cbranch_execz .LBB884_685
; %bb.684:
	v_and_b32_e32 v18, 7, v6
	v_ffbh_u32_e32 v20, v18
	v_min_u32_e32 v24, 32, v20
	v_subrev_u32_e32 v20, 28, v24
	v_lshlrev_b64 v[20:21], v20, v[6:7]
	v_lshrrev_b32_e32 v23, 3, v9
	v_sub_u32_e32 v21, 29, v24
	v_and_b32_e32 v20, 7, v20
	v_cmp_gt_u32_e32 vcc, 8, v9
	v_cndmask_b32_e32 v9, v23, v21, vcc
	v_cndmask_b32_e32 v18, v18, v20, vcc
	v_lshlrev_b32_e32 v6, 24, v6
	v_bfrev_b32_e32 v20, 60
	v_lshlrev_b32_e32 v18, 20, v18
	v_and_b32_e32 v6, 0x80000000, v6
	v_lshl_add_u32 v9, v9, 23, v20
	v_or3_b32 v6, v6, v9, v18
	v_lshrrev_b32_e32 v18, 16, v6
.LBB884_685:
	s_or_b64 exec, exec, s[10:11]
.LBB884_686:
	s_or_b64 exec, exec, s[8:9]
.LBB884_687:
	s_or_b64 exec, exec, s[2:3]
	s_mov_b32 s2, 0x5040100
	v_perm_b32 v15, v15, v16, s2
	v_perm_b32 v14, v7, v14, s2
	ds_read_b128 v[24:27], v22 offset:4112
	v_perm_b32 v7, v18, v19, s2
	v_perm_b32 v6, v8, v17, s2
	s_waitcnt lgkmcnt(0)
	v_mfma_f32_16x16x16bf16_1k v[30:33], v[14:15], v[24:25], v[10:13]
	s_nop 6
	v_mov_b32_e32 v11, 0
	s_waitcnt vmcnt(0)
	v_cmp_ne_u16_sdwa s[8:9], v2, v11 src0_sel:BYTE_0 src1_sel:DWORD
	v_mfma_f32_16x16x16bf16_1k v[6:9], v[6:7], v[26:27], v[30:33]
	v_mov_b32_e32 v12, 0
	s_and_saveexec_b64 s[2:3], s[8:9]
	s_cbranch_execz .LBB884_693
; %bb.688:
	s_movk_i32 s7, 0x80
	v_cmp_ne_u16_sdwa s[10:11], v2, s7 src0_sel:BYTE_0 src1_sel:DWORD
	v_mov_b32_e32 v12, 0xffff8000
	s_and_saveexec_b64 s[8:9], s[10:11]
	s_cbranch_execz .LBB884_692
; %bb.689:
	s_movk_i32 s7, 0x7f
	v_and_b32_e32 v10, 0x7f, v2
	v_cmp_ne_u32_e32 vcc, s7, v10
	v_mov_b32_e32 v12, 0x7f80
	s_and_saveexec_b64 s[10:11], vcc
	s_cbranch_execz .LBB884_691
; %bb.690:
	v_and_b32_e32 v14, 7, v2
	v_ffbh_u32_e32 v12, v14
	v_min_u32_e32 v16, 32, v12
	v_subrev_u32_e32 v12, 28, v16
	v_lshlrev_b64 v[12:13], v12, v[2:3]
	v_lshrrev_b32_e32 v15, 3, v10
	v_sub_u32_e32 v13, 29, v16
	v_and_b32_e32 v12, 7, v12
	v_cmp_gt_u32_e32 vcc, 8, v10
	v_cndmask_b32_e32 v10, v15, v13, vcc
	v_cndmask_b32_e32 v12, v14, v12, vcc
	v_lshlrev_b32_e32 v13, 24, v2
	v_bfrev_b32_e32 v14, 60
	v_lshlrev_b32_e32 v12, 20, v12
	v_and_b32_e32 v13, 0x80000000, v13
	v_lshl_add_u32 v10, v10, 23, v14
	v_or3_b32 v10, v13, v10, v12
	v_lshrrev_b32_e32 v12, 16, v10
.LBB884_691:
	s_or_b64 exec, exec, s[10:11]
.LBB884_692:
	s_or_b64 exec, exec, s[8:9]
.LBB884_693:
	s_or_b64 exec, exec, s[2:3]
	v_lshrrev_b16_e32 v10, 8, v2
	v_cmp_ne_u16_e32 vcc, 0, v10
	s_and_saveexec_b64 s[2:3], vcc
	s_cbranch_execz .LBB884_699
; %bb.694:
	s_movk_i32 s7, 0x80
	v_cmp_ne_u16_e32 vcc, s7, v10
	v_mov_b32_e32 v11, 0xffff8000
	s_and_saveexec_b64 s[8:9], vcc
	s_cbranch_execz .LBB884_698
; %bb.695:
	s_movk_i32 s7, 0x7f
	v_and_b32_e32 v13, 0x7f, v10
	v_cmp_ne_u32_e32 vcc, s7, v13
	v_mov_b32_e32 v11, 0x7f80
	s_and_saveexec_b64 s[10:11], vcc
	s_cbranch_execz .LBB884_697
; %bb.696:
	v_and_b32_e32 v14, 7, v10
	v_ffbh_u32_e32 v11, v14
	v_min_u32_e32 v16, 32, v11
	v_subrev_u32_e32 v11, 28, v16
	v_lshlrev_b64 v[10:11], v11, v[10:11]
	v_lshrrev_b32_e32 v15, 3, v13
	v_sub_u32_e32 v11, 29, v16
	v_and_b32_e32 v10, 7, v10
	v_cmp_gt_u32_e32 vcc, 8, v13
	v_cndmask_b32_e32 v11, v15, v11, vcc
	v_cndmask_b32_e32 v10, v14, v10, vcc
	v_lshlrev_b32_e32 v13, 16, v2
	v_bfrev_b32_e32 v14, 60
	v_lshlrev_b32_e32 v10, 20, v10
	v_and_b32_e32 v13, 0x80000000, v13
	v_lshl_add_u32 v11, v11, 23, v14
	v_or3_b32 v10, v13, v11, v10
	v_lshrrev_b32_e32 v11, 16, v10
.LBB884_697:
	s_or_b64 exec, exec, s[10:11]
.LBB884_698:
	s_or_b64 exec, exec, s[8:9]
.LBB884_699:
	s_or_b64 exec, exec, s[2:3]
	s_movk_i32 s2, 0xff
	v_and_b32_sdwa v15, v2, s2 dst_sel:DWORD dst_unused:UNUSED_PAD src0_sel:WORD_1 src1_sel:DWORD
	v_lshrrev_b32_e32 v10, 16, v2
	v_cmp_ne_u16_e32 vcc, 0, v15
	v_mov_b32_e32 v13, 0
	v_mov_b32_e32 v14, 0
	s_and_saveexec_b64 s[2:3], vcc
	s_cbranch_execz .LBB884_705
; %bb.700:
	s_movk_i32 s7, 0x80
	v_cmp_ne_u16_e32 vcc, s7, v15
	v_mov_b32_e32 v14, 0xffff8000
	s_and_saveexec_b64 s[8:9], vcc
	s_cbranch_execz .LBB884_704
; %bb.701:
	v_bfe_u32 v15, v2, 16, 7
	s_movk_i32 s7, 0x7f
	v_cmp_ne_u32_e32 vcc, s7, v15
	v_mov_b32_e32 v14, 0x7f80
	s_and_saveexec_b64 s[10:11], vcc
	s_cbranch_execz .LBB884_703
; %bb.702:
	v_and_b32_e32 v14, 7, v10
	v_ffbh_u32_e32 v16, v14
	v_min_u32_e32 v19, 32, v16
	v_subrev_u32_e32 v16, 28, v19
	v_lshlrev_b64 v[16:17], v16, v[10:11]
	v_lshrrev_b32_e32 v18, 3, v15
	v_sub_u32_e32 v10, 29, v19
	v_and_b32_e32 v16, 7, v16
	v_cmp_gt_u32_e32 vcc, 8, v15
	v_mov_b32_e32 v15, 24
	v_cndmask_b32_e32 v10, v18, v10, vcc
	v_cndmask_b32_e32 v14, v14, v16, vcc
	v_lshlrev_b32_sdwa v15, v15, v2 dst_sel:DWORD dst_unused:UNUSED_PAD src0_sel:DWORD src1_sel:WORD_1
	v_bfrev_b32_e32 v16, 60
	v_lshlrev_b32_e32 v14, 20, v14
	v_and_b32_e32 v15, 0x80000000, v15
	v_lshl_add_u32 v10, v10, 23, v16
	v_or3_b32 v10, v15, v10, v14
	v_lshrrev_b32_e32 v14, 16, v10
.LBB884_703:
	s_or_b64 exec, exec, s[10:11]
.LBB884_704:
	s_or_b64 exec, exec, s[8:9]
.LBB884_705:
	s_or_b64 exec, exec, s[2:3]
	s_mov_b32 s2, 0xffffff
	v_cmp_lt_u32_e32 vcc, s2, v2
	s_and_saveexec_b64 s[2:3], vcc
	s_cbranch_execz .LBB884_711
; %bb.706:
	v_lshrrev_b32_e32 v10, 24, v2
	s_movk_i32 s7, 0x80
	v_cmp_ne_u32_e32 vcc, s7, v10
	v_mov_b32_e32 v13, 0xffff8000
	s_and_saveexec_b64 s[8:9], vcc
	s_cbranch_execz .LBB884_710
; %bb.707:
	v_bfe_u32 v2, v2, 24, 7
	s_movk_i32 s7, 0x7f
	v_cmp_ne_u32_e32 vcc, s7, v2
	v_mov_b32_e32 v13, 0x7f80
	s_and_saveexec_b64 s[10:11], vcc
	s_cbranch_execz .LBB884_709
; %bb.708:
	v_and_b32_e32 v13, 7, v10
	v_ffbh_u32_e32 v16, v13
	v_min_u32_e32 v18, 32, v16
	v_subrev_u32_e32 v16, 28, v18
	v_lshlrev_b64 v[16:17], v16, v[10:11]
	v_lshrrev_b32_e32 v15, 3, v2
	v_sub_u32_e32 v17, 29, v18
	v_and_b32_e32 v16, 7, v16
	v_cmp_gt_u32_e32 vcc, 8, v2
	v_cndmask_b32_e32 v2, v15, v17, vcc
	v_cndmask_b32_e32 v13, v13, v16, vcc
	v_lshlrev_b32_e32 v10, 24, v10
	v_bfrev_b32_e32 v15, 60
	v_lshlrev_b32_e32 v13, 20, v13
	v_and_b32_e32 v10, 0x80000000, v10
	v_lshl_add_u32 v2, v2, 23, v15
	v_or3_b32 v2, v10, v2, v13
	v_lshrrev_b32_e32 v13, 16, v2
.LBB884_709:
	s_or_b64 exec, exec, s[10:11]
.LBB884_710:
	s_or_b64 exec, exec, s[8:9]
.LBB884_711:
	s_or_b64 exec, exec, s[2:3]
	v_mov_b32_e32 v10, 0
	v_cmp_ne_u16_sdwa s[8:9], v3, v10 src0_sel:BYTE_0 src1_sel:DWORD
	v_mov_b32_e32 v15, 0
	s_and_saveexec_b64 s[2:3], s[8:9]
	s_cbranch_execz .LBB884_717
; %bb.712:
	s_movk_i32 s7, 0x80
	v_cmp_ne_u16_sdwa s[10:11], v3, s7 src0_sel:BYTE_0 src1_sel:DWORD
	v_mov_b32_e32 v15, 0xffff8000
	s_and_saveexec_b64 s[8:9], s[10:11]
	s_cbranch_execz .LBB884_716
; %bb.713:
	s_movk_i32 s7, 0x7f
	v_and_b32_e32 v2, 0x7f, v3
	v_cmp_ne_u32_e32 vcc, s7, v2
	v_mov_b32_e32 v15, 0x7f80
	s_and_saveexec_b64 s[10:11], vcc
	s_cbranch_execz .LBB884_715
; %bb.714:
	v_and_b32_e32 v15, 7, v3
	v_ffbh_u32_e32 v17, v15
	v_min_u32_e32 v19, 32, v17
	v_mov_b32_e32 v16, v3
	v_subrev_u32_e32 v17, 28, v19
	v_lshlrev_b64 v[16:17], v17, v[16:17]
	v_lshrrev_b32_e32 v18, 3, v2
	v_sub_u32_e32 v17, 29, v19
	v_and_b32_e32 v16, 7, v16
	v_cmp_gt_u32_e32 vcc, 8, v2
	v_cndmask_b32_e32 v2, v18, v17, vcc
	v_cndmask_b32_e32 v15, v15, v16, vcc
	v_lshlrev_b32_e32 v16, 24, v3
	v_bfrev_b32_e32 v17, 60
	v_lshlrev_b32_e32 v15, 20, v15
	v_and_b32_e32 v16, 0x80000000, v16
	v_lshl_add_u32 v2, v2, 23, v17
	v_or3_b32 v2, v16, v2, v15
	v_lshrrev_b32_e32 v15, 16, v2
.LBB884_715:
	s_or_b64 exec, exec, s[10:11]
.LBB884_716:
	s_or_b64 exec, exec, s[8:9]
.LBB884_717:
	s_or_b64 exec, exec, s[2:3]
	v_lshrrev_b16_e32 v2, 8, v3
	v_cmp_ne_u16_e32 vcc, 0, v2
	s_and_saveexec_b64 s[2:3], vcc
	s_cbranch_execz .LBB884_723
; %bb.718:
	s_movk_i32 s7, 0x80
	v_cmp_ne_u16_e32 vcc, s7, v2
	v_mov_b32_e32 v10, 0xffff8000
	s_and_saveexec_b64 s[8:9], vcc
	s_cbranch_execz .LBB884_722
; %bb.719:
	s_movk_i32 s7, 0x7f
	v_and_b32_e32 v16, 0x7f, v2
	v_cmp_ne_u32_e32 vcc, s7, v16
	v_mov_b32_e32 v10, 0x7f80
	s_and_saveexec_b64 s[10:11], vcc
	s_cbranch_execz .LBB884_721
; %bb.720:
	v_and_b32_e32 v10, 7, v2
	v_ffbh_u32_e32 v18, v10
	v_min_u32_e32 v20, 32, v18
	v_subrev_u32_e32 v18, 28, v20
	v_lshlrev_b64 v[18:19], v18, v[2:3]
	v_lshrrev_b32_e32 v17, 3, v16
	v_sub_u32_e32 v2, 29, v20
	v_and_b32_e32 v18, 7, v18
	v_cmp_gt_u32_e32 vcc, 8, v16
	v_cndmask_b32_e32 v2, v17, v2, vcc
	v_cndmask_b32_e32 v10, v10, v18, vcc
	v_lshlrev_b32_e32 v16, 16, v3
	v_bfrev_b32_e32 v17, 60
	v_lshlrev_b32_e32 v10, 20, v10
	v_and_b32_e32 v16, 0x80000000, v16
	v_lshl_add_u32 v2, v2, 23, v17
	v_or3_b32 v2, v16, v2, v10
	v_lshrrev_b32_e32 v10, 16, v2
.LBB884_721:
	s_or_b64 exec, exec, s[10:11]
.LBB884_722:
	s_or_b64 exec, exec, s[8:9]
.LBB884_723:
	s_or_b64 exec, exec, s[2:3]
	s_movk_i32 s2, 0xff
	v_and_b32_sdwa v18, v3, s2 dst_sel:DWORD dst_unused:UNUSED_PAD src0_sel:WORD_1 src1_sel:DWORD
	v_lshrrev_b32_e32 v2, 16, v3
	v_cmp_ne_u16_e32 vcc, 0, v18
	v_mov_b32_e32 v16, 0
	v_mov_b32_e32 v17, 0
	s_and_saveexec_b64 s[2:3], vcc
	s_cbranch_execz .LBB884_729
; %bb.724:
	s_movk_i32 s7, 0x80
	v_cmp_ne_u16_e32 vcc, s7, v18
	v_mov_b32_e32 v17, 0xffff8000
	s_and_saveexec_b64 s[8:9], vcc
	s_cbranch_execz .LBB884_728
; %bb.725:
	v_bfe_u32 v18, v3, 16, 7
	s_movk_i32 s7, 0x7f
	v_cmp_ne_u32_e32 vcc, s7, v18
	v_mov_b32_e32 v17, 0x7f80
	s_and_saveexec_b64 s[10:11], vcc
	s_cbranch_execz .LBB884_727
; %bb.726:
	v_and_b32_e32 v17, 7, v2
	v_ffbh_u32_e32 v20, v17
	v_min_u32_e32 v23, 32, v20
	v_subrev_u32_e32 v20, 28, v23
	v_lshlrev_b64 v[20:21], v20, v[2:3]
	v_lshrrev_b32_e32 v19, 3, v18
	v_sub_u32_e32 v2, 29, v23
	v_and_b32_e32 v20, 7, v20
	v_cmp_gt_u32_e32 vcc, 8, v18
	v_mov_b32_e32 v18, 24
	v_cndmask_b32_e32 v2, v19, v2, vcc
	v_cndmask_b32_e32 v17, v17, v20, vcc
	v_lshlrev_b32_sdwa v18, v18, v3 dst_sel:DWORD dst_unused:UNUSED_PAD src0_sel:DWORD src1_sel:WORD_1
	v_bfrev_b32_e32 v19, 60
	v_lshlrev_b32_e32 v17, 20, v17
	v_and_b32_e32 v18, 0x80000000, v18
	v_lshl_add_u32 v2, v2, 23, v19
	v_or3_b32 v2, v18, v2, v17
	v_lshrrev_b32_e32 v17, 16, v2
.LBB884_727:
	s_or_b64 exec, exec, s[10:11]
.LBB884_728:
	s_or_b64 exec, exec, s[8:9]
.LBB884_729:
	s_or_b64 exec, exec, s[2:3]
	s_mov_b32 s2, 0xffffff
	v_cmp_lt_u32_e32 vcc, s2, v3
	s_and_saveexec_b64 s[2:3], vcc
	s_cbranch_execz .LBB884_735
; %bb.730:
	v_lshrrev_b32_e32 v2, 24, v3
	s_movk_i32 s7, 0x80
	v_cmp_ne_u32_e32 vcc, s7, v2
	v_mov_b32_e32 v16, 0xffff8000
	s_and_saveexec_b64 s[8:9], vcc
	s_cbranch_execz .LBB884_734
; %bb.731:
	v_bfe_u32 v3, v3, 24, 7
	s_movk_i32 s7, 0x7f
	v_cmp_ne_u32_e32 vcc, s7, v3
	v_mov_b32_e32 v16, 0x7f80
	s_and_saveexec_b64 s[10:11], vcc
	s_cbranch_execz .LBB884_733
; %bb.732:
	v_and_b32_e32 v16, 7, v2
	v_ffbh_u32_e32 v18, v16
	v_min_u32_e32 v21, 32, v18
	v_subrev_u32_e32 v18, 28, v21
	v_lshlrev_b64 v[18:19], v18, v[2:3]
	v_lshrrev_b32_e32 v20, 3, v3
	v_sub_u32_e32 v19, 29, v21
	v_and_b32_e32 v18, 7, v18
	v_cmp_gt_u32_e32 vcc, 8, v3
	v_cndmask_b32_e32 v3, v20, v19, vcc
	v_cndmask_b32_e32 v16, v16, v18, vcc
	v_lshlrev_b32_e32 v2, 24, v2
	v_bfrev_b32_e32 v18, 60
	v_lshlrev_b32_e32 v16, 20, v16
	v_and_b32_e32 v2, 0x80000000, v2
	v_lshl_add_u32 v3, v3, 23, v18
	v_or3_b32 v2, v2, v3, v16
	v_lshrrev_b32_e32 v16, 16, v2
.LBB884_733:
	s_or_b64 exec, exec, s[10:11]
.LBB884_734:
	s_or_b64 exec, exec, s[8:9]
.LBB884_735:
	s_or_b64 exec, exec, s[2:3]
	s_mov_b32 s2, 0x5040100
	v_perm_b32 v3, v13, v14, s2
	v_perm_b32 v2, v11, v12, s2
	ds_read_b128 v[18:21], v22 offset:6144
	v_perm_b32 v13, v16, v17, s2
	v_perm_b32 v12, v10, v15, s2
	s_waitcnt lgkmcnt(0)
	v_mfma_f32_16x16x16bf16_1k v[6:9], v[2:3], v[18:19], v[6:9]
	v_mov_b32_e32 v3, 0
	v_cmp_ne_u16_sdwa s[8:9], v4, v3 src0_sel:BYTE_0 src1_sel:DWORD
	v_mov_b32_e32 v10, 0
	v_mfma_f32_16x16x16bf16_1k v[6:9], v[12:13], v[20:21], v[6:9]
	s_and_saveexec_b64 s[2:3], s[8:9]
	s_cbranch_execz .LBB884_741
; %bb.736:
	s_movk_i32 s7, 0x80
	v_cmp_ne_u16_sdwa s[10:11], v4, s7 src0_sel:BYTE_0 src1_sel:DWORD
	v_mov_b32_e32 v10, 0xffff8000
	s_and_saveexec_b64 s[8:9], s[10:11]
	s_cbranch_execz .LBB884_740
; %bb.737:
	s_movk_i32 s7, 0x7f
	v_and_b32_e32 v2, 0x7f, v4
	v_cmp_ne_u32_e32 vcc, s7, v2
	v_mov_b32_e32 v10, 0x7f80
	s_and_saveexec_b64 s[10:11], vcc
	s_cbranch_execz .LBB884_739
; %bb.738:
	v_and_b32_e32 v12, 7, v4
	v_ffbh_u32_e32 v10, v12
	v_min_u32_e32 v14, 32, v10
	v_subrev_u32_e32 v10, 28, v14
	v_lshlrev_b64 v[10:11], v10, v[4:5]
	v_lshrrev_b32_e32 v13, 3, v2
	v_sub_u32_e32 v11, 29, v14
	v_and_b32_e32 v10, 7, v10
	v_cmp_gt_u32_e32 vcc, 8, v2
	v_cndmask_b32_e32 v2, v13, v11, vcc
	v_cndmask_b32_e32 v10, v12, v10, vcc
	v_lshlrev_b32_e32 v11, 24, v4
	v_bfrev_b32_e32 v12, 60
	v_lshlrev_b32_e32 v10, 20, v10
	v_and_b32_e32 v11, 0x80000000, v11
	v_lshl_add_u32 v2, v2, 23, v12
	v_or3_b32 v2, v11, v2, v10
	v_lshrrev_b32_e32 v10, 16, v2
.LBB884_739:
	s_or_b64 exec, exec, s[10:11]
.LBB884_740:
	s_or_b64 exec, exec, s[8:9]
.LBB884_741:
	s_or_b64 exec, exec, s[2:3]
	v_lshrrev_b16_e32 v2, 8, v4
	v_cmp_ne_u16_e32 vcc, 0, v2
	s_and_saveexec_b64 s[2:3], vcc
	s_cbranch_execz .LBB884_747
; %bb.742:
	s_movk_i32 s7, 0x80
	v_cmp_ne_u16_e32 vcc, s7, v2
	v_mov_b32_e32 v3, 0xffff8000
	s_and_saveexec_b64 s[8:9], vcc
	s_cbranch_execz .LBB884_746
; %bb.743:
	s_movk_i32 s7, 0x7f
	v_and_b32_e32 v11, 0x7f, v2
	v_cmp_ne_u32_e32 vcc, s7, v11
	v_mov_b32_e32 v3, 0x7f80
	s_and_saveexec_b64 s[10:11], vcc
	s_cbranch_execz .LBB884_745
; %bb.744:
	v_and_b32_e32 v12, 7, v2
	v_ffbh_u32_e32 v3, v12
	v_min_u32_e32 v14, 32, v3
	v_subrev_u32_e32 v3, 28, v14
	v_lshlrev_b64 v[2:3], v3, v[2:3]
	v_lshrrev_b32_e32 v13, 3, v11
	v_sub_u32_e32 v3, 29, v14
	v_and_b32_e32 v2, 7, v2
	v_cmp_gt_u32_e32 vcc, 8, v11
	v_cndmask_b32_e32 v3, v13, v3, vcc
	v_cndmask_b32_e32 v2, v12, v2, vcc
	v_lshlrev_b32_e32 v11, 16, v4
	v_bfrev_b32_e32 v12, 60
	v_lshlrev_b32_e32 v2, 20, v2
	v_and_b32_e32 v11, 0x80000000, v11
	v_lshl_add_u32 v3, v3, 23, v12
	v_or3_b32 v2, v11, v3, v2
	v_lshrrev_b32_e32 v3, 16, v2
.LBB884_745:
	s_or_b64 exec, exec, s[10:11]
.LBB884_746:
	s_or_b64 exec, exec, s[8:9]
.LBB884_747:
	s_or_b64 exec, exec, s[2:3]
	s_movk_i32 s2, 0xff
	v_and_b32_sdwa v13, v4, s2 dst_sel:DWORD dst_unused:UNUSED_PAD src0_sel:WORD_1 src1_sel:DWORD
	v_lshrrev_b32_e32 v2, 16, v4
	v_cmp_ne_u16_e32 vcc, 0, v13
	v_mov_b32_e32 v11, 0
	v_mov_b32_e32 v12, 0
	s_and_saveexec_b64 s[2:3], vcc
	s_cbranch_execz .LBB884_753
; %bb.748:
	s_movk_i32 s7, 0x80
	v_cmp_ne_u16_e32 vcc, s7, v13
	v_mov_b32_e32 v12, 0xffff8000
	s_and_saveexec_b64 s[8:9], vcc
	s_cbranch_execz .LBB884_752
; %bb.749:
	v_bfe_u32 v13, v4, 16, 7
	s_movk_i32 s7, 0x7f
	v_cmp_ne_u32_e32 vcc, s7, v13
	v_mov_b32_e32 v12, 0x7f80
	s_and_saveexec_b64 s[10:11], vcc
	s_cbranch_execz .LBB884_751
; %bb.750:
	v_and_b32_e32 v12, 7, v2
	v_ffbh_u32_e32 v14, v12
	v_min_u32_e32 v17, 32, v14
	v_subrev_u32_e32 v14, 28, v17
	v_lshlrev_b64 v[14:15], v14, v[2:3]
	v_lshrrev_b32_e32 v16, 3, v13
	v_sub_u32_e32 v2, 29, v17
	v_and_b32_e32 v14, 7, v14
	v_cmp_gt_u32_e32 vcc, 8, v13
	v_mov_b32_e32 v13, 24
	v_cndmask_b32_e32 v2, v16, v2, vcc
	v_cndmask_b32_e32 v12, v12, v14, vcc
	v_lshlrev_b32_sdwa v13, v13, v4 dst_sel:DWORD dst_unused:UNUSED_PAD src0_sel:DWORD src1_sel:WORD_1
	v_bfrev_b32_e32 v14, 60
	v_lshlrev_b32_e32 v12, 20, v12
	v_and_b32_e32 v13, 0x80000000, v13
	v_lshl_add_u32 v2, v2, 23, v14
	v_or3_b32 v2, v13, v2, v12
	v_lshrrev_b32_e32 v12, 16, v2
.LBB884_751:
	s_or_b64 exec, exec, s[10:11]
.LBB884_752:
	s_or_b64 exec, exec, s[8:9]
.LBB884_753:
	s_or_b64 exec, exec, s[2:3]
	s_mov_b32 s2, 0xffffff
	v_cmp_lt_u32_e32 vcc, s2, v4
	s_and_saveexec_b64 s[2:3], vcc
	s_cbranch_execz .LBB884_759
; %bb.754:
	v_lshrrev_b32_e32 v2, 24, v4
	s_movk_i32 s7, 0x80
	v_cmp_ne_u32_e32 vcc, s7, v2
	v_mov_b32_e32 v11, 0xffff8000
	s_and_saveexec_b64 s[8:9], vcc
	s_cbranch_execz .LBB884_758
; %bb.755:
	v_bfe_u32 v4, v4, 24, 7
	s_movk_i32 s7, 0x7f
	v_cmp_ne_u32_e32 vcc, s7, v4
	v_mov_b32_e32 v11, 0x7f80
	s_and_saveexec_b64 s[10:11], vcc
	s_cbranch_execz .LBB884_757
; %bb.756:
	v_and_b32_e32 v11, 7, v2
	v_ffbh_u32_e32 v14, v11
	v_min_u32_e32 v16, 32, v14
	v_subrev_u32_e32 v14, 28, v16
	v_lshlrev_b64 v[14:15], v14, v[2:3]
	v_lshrrev_b32_e32 v13, 3, v4
	v_sub_u32_e32 v15, 29, v16
	v_and_b32_e32 v14, 7, v14
	v_cmp_gt_u32_e32 vcc, 8, v4
	v_cndmask_b32_e32 v4, v13, v15, vcc
	v_cndmask_b32_e32 v11, v11, v14, vcc
	v_lshlrev_b32_e32 v2, 24, v2
	v_bfrev_b32_e32 v13, 60
	v_lshlrev_b32_e32 v11, 20, v11
	v_and_b32_e32 v2, 0x80000000, v2
	v_lshl_add_u32 v4, v4, 23, v13
	v_or3_b32 v2, v2, v4, v11
	v_lshrrev_b32_e32 v11, 16, v2
.LBB884_757:
	s_or_b64 exec, exec, s[10:11]
.LBB884_758:
	s_or_b64 exec, exec, s[8:9]
.LBB884_759:
	s_or_b64 exec, exec, s[2:3]
	v_mov_b32_e32 v4, 0
	v_cmp_ne_u16_sdwa s[8:9], v5, v4 src0_sel:BYTE_0 src1_sel:DWORD
	v_mov_b32_e32 v13, 0
	s_and_saveexec_b64 s[2:3], s[8:9]
	s_cbranch_execz .LBB884_765
; %bb.760:
	s_movk_i32 s7, 0x80
	v_cmp_ne_u16_sdwa s[10:11], v5, s7 src0_sel:BYTE_0 src1_sel:DWORD
	v_mov_b32_e32 v13, 0xffff8000
	s_and_saveexec_b64 s[8:9], s[10:11]
	s_cbranch_execz .LBB884_764
; %bb.761:
	s_movk_i32 s7, 0x7f
	v_and_b32_e32 v2, 0x7f, v5
	v_cmp_ne_u32_e32 vcc, s7, v2
	v_mov_b32_e32 v13, 0x7f80
	s_and_saveexec_b64 s[10:11], vcc
	s_cbranch_execz .LBB884_763
; %bb.762:
	v_and_b32_e32 v13, 7, v5
	v_ffbh_u32_e32 v15, v13
	v_min_u32_e32 v17, 32, v15
	v_mov_b32_e32 v14, v5
	v_subrev_u32_e32 v15, 28, v17
	v_lshlrev_b64 v[14:15], v15, v[14:15]
	v_lshrrev_b32_e32 v16, 3, v2
	v_sub_u32_e32 v15, 29, v17
	v_and_b32_e32 v14, 7, v14
	v_cmp_gt_u32_e32 vcc, 8, v2
	v_cndmask_b32_e32 v2, v16, v15, vcc
	v_cndmask_b32_e32 v13, v13, v14, vcc
	v_lshlrev_b32_e32 v14, 24, v5
	v_bfrev_b32_e32 v15, 60
	v_lshlrev_b32_e32 v13, 20, v13
	v_and_b32_e32 v14, 0x80000000, v14
	v_lshl_add_u32 v2, v2, 23, v15
	v_or3_b32 v2, v14, v2, v13
	v_lshrrev_b32_e32 v13, 16, v2
.LBB884_763:
	s_or_b64 exec, exec, s[10:11]
.LBB884_764:
	s_or_b64 exec, exec, s[8:9]
.LBB884_765:
	s_or_b64 exec, exec, s[2:3]
	v_lshrrev_b16_e32 v2, 8, v5
	v_cmp_ne_u16_e32 vcc, 0, v2
	s_and_saveexec_b64 s[2:3], vcc
	s_cbranch_execz .LBB884_771
; %bb.766:
	s_movk_i32 s7, 0x80
	v_cmp_ne_u16_e32 vcc, s7, v2
	v_mov_b32_e32 v4, 0xffff8000
	s_and_saveexec_b64 s[8:9], vcc
	s_cbranch_execz .LBB884_770
; %bb.767:
	s_movk_i32 s7, 0x7f
	v_and_b32_e32 v14, 0x7f, v2
	v_cmp_ne_u32_e32 vcc, s7, v14
	v_mov_b32_e32 v4, 0x7f80
	s_and_saveexec_b64 s[10:11], vcc
	s_cbranch_execz .LBB884_769
; %bb.768:
	v_and_b32_e32 v4, 7, v2
	v_ffbh_u32_e32 v16, v4
	v_min_u32_e32 v18, 32, v16
	v_subrev_u32_e32 v16, 28, v18
	v_lshlrev_b64 v[16:17], v16, v[2:3]
	v_lshrrev_b32_e32 v15, 3, v14
	v_sub_u32_e32 v2, 29, v18
	v_and_b32_e32 v16, 7, v16
	v_cmp_gt_u32_e32 vcc, 8, v14
	v_cndmask_b32_e32 v2, v15, v2, vcc
	v_cndmask_b32_e32 v4, v4, v16, vcc
	v_lshlrev_b32_e32 v14, 16, v5
	v_bfrev_b32_e32 v15, 60
	v_lshlrev_b32_e32 v4, 20, v4
	v_and_b32_e32 v14, 0x80000000, v14
	v_lshl_add_u32 v2, v2, 23, v15
	v_or3_b32 v2, v14, v2, v4
	v_lshrrev_b32_e32 v4, 16, v2
.LBB884_769:
	s_or_b64 exec, exec, s[10:11]
.LBB884_770:
	s_or_b64 exec, exec, s[8:9]
.LBB884_771:
	s_or_b64 exec, exec, s[2:3]
	s_movk_i32 s2, 0xff
	v_and_b32_sdwa v16, v5, s2 dst_sel:DWORD dst_unused:UNUSED_PAD src0_sel:WORD_1 src1_sel:DWORD
	v_lshrrev_b32_e32 v2, 16, v5
	v_cmp_ne_u16_e32 vcc, 0, v16
	v_mov_b32_e32 v14, 0
	v_mov_b32_e32 v15, 0
	s_and_saveexec_b64 s[2:3], vcc
	s_cbranch_execz .LBB884_777
; %bb.772:
	s_movk_i32 s7, 0x80
	v_cmp_ne_u16_e32 vcc, s7, v16
	v_mov_b32_e32 v15, 0xffff8000
	s_and_saveexec_b64 s[8:9], vcc
	s_cbranch_execz .LBB884_776
; %bb.773:
	v_bfe_u32 v16, v5, 16, 7
	s_movk_i32 s7, 0x7f
	v_cmp_ne_u32_e32 vcc, s7, v16
	v_mov_b32_e32 v15, 0x7f80
	s_and_saveexec_b64 s[10:11], vcc
	s_cbranch_execz .LBB884_775
; %bb.774:
	v_and_b32_e32 v15, 7, v2
	v_ffbh_u32_e32 v18, v15
	v_min_u32_e32 v20, 32, v18
	v_subrev_u32_e32 v18, 28, v20
	v_lshlrev_b64 v[18:19], v18, v[2:3]
	v_lshrrev_b32_e32 v17, 3, v16
	v_sub_u32_e32 v2, 29, v20
	v_and_b32_e32 v18, 7, v18
	v_cmp_gt_u32_e32 vcc, 8, v16
	v_mov_b32_e32 v16, 24
	v_cndmask_b32_e32 v2, v17, v2, vcc
	v_cndmask_b32_e32 v15, v15, v18, vcc
	v_lshlrev_b32_sdwa v16, v16, v5 dst_sel:DWORD dst_unused:UNUSED_PAD src0_sel:DWORD src1_sel:WORD_1
	v_bfrev_b32_e32 v17, 60
	v_lshlrev_b32_e32 v15, 20, v15
	v_and_b32_e32 v16, 0x80000000, v16
	v_lshl_add_u32 v2, v2, 23, v17
	v_or3_b32 v2, v16, v2, v15
	v_lshrrev_b32_e32 v15, 16, v2
.LBB884_775:
	s_or_b64 exec, exec, s[10:11]
.LBB884_776:
	s_or_b64 exec, exec, s[8:9]
.LBB884_777:
	s_or_b64 exec, exec, s[2:3]
	s_mov_b32 s2, 0xffffff
	v_cmp_lt_u32_e32 vcc, s2, v5
	s_and_saveexec_b64 s[2:3], vcc
	s_cbranch_execz .LBB884_783
; %bb.778:
	v_lshrrev_b32_e32 v2, 24, v5
	s_movk_i32 s7, 0x80
	v_cmp_ne_u32_e32 vcc, s7, v2
	v_mov_b32_e32 v14, 0xffff8000
	s_and_saveexec_b64 s[8:9], vcc
	s_cbranch_execz .LBB884_782
; %bb.779:
	v_bfe_u32 v5, v5, 24, 7
	s_movk_i32 s7, 0x7f
	v_cmp_ne_u32_e32 vcc, s7, v5
	v_mov_b32_e32 v14, 0x7f80
	s_and_saveexec_b64 s[10:11], vcc
	s_cbranch_execz .LBB884_781
; %bb.780:
	v_and_b32_e32 v14, 7, v2
	v_ffbh_u32_e32 v16, v14
	v_min_u32_e32 v19, 32, v16
	v_subrev_u32_e32 v16, 28, v19
	v_lshlrev_b64 v[16:17], v16, v[2:3]
	v_lshrrev_b32_e32 v18, 3, v5
	v_sub_u32_e32 v17, 29, v19
	v_and_b32_e32 v16, 7, v16
	v_cmp_gt_u32_e32 vcc, 8, v5
	v_cndmask_b32_e32 v5, v18, v17, vcc
	v_cndmask_b32_e32 v14, v14, v16, vcc
	v_lshlrev_b32_e32 v2, 24, v2
	v_bfrev_b32_e32 v16, 60
	v_lshlrev_b32_e32 v14, 20, v14
	v_and_b32_e32 v2, 0x80000000, v2
	v_lshl_add_u32 v5, v5, 23, v16
	v_or3_b32 v2, v2, v5, v14
	v_lshrrev_b32_e32 v14, 16, v2
.LBB884_781:
	s_or_b64 exec, exec, s[10:11]
.LBB884_782:
	s_or_b64 exec, exec, s[8:9]
.LBB884_783:
	s_or_b64 exec, exec, s[2:3]
	s_mov_b32 s3, 0x5040100
	v_perm_b32 v11, v11, v12, s3
	ds_read_b128 v[16:19], v22 offset:6160
	v_perm_b32 v10, v3, v10, s3
	v_perm_b32 v3, v14, v15, s3
	v_perm_b32 v2, v4, v13, s3
	s_waitcnt lgkmcnt(0)
	v_mfma_f32_16x16x16bf16_1k v[6:9], v[10:11], v[16:17], v[6:9]
	s_load_dword s2, s[42:43], 0x0
	s_mov_b32 s3, 0x7060302
	s_movk_i32 s7, 0x7fff
	v_cmp_gt_u32_e32 vcc, 64, v0
	s_and_b64 s[0:1], vcc, s[0:1]
	s_waitcnt lgkmcnt(0)
	s_barrier
	v_mfma_f32_16x16x16bf16_1k v[2:5], v[2:3], v[18:19], v[6:9]
	s_nop 7
	s_nop 2
	v_pk_mul_f32 v[4:5], v[4:5], s[2:3] op_sel_hi:[1,0]
	v_pk_mul_f32 v[2:3], v[2:3], s[2:3] op_sel_hi:[1,0]
	v_bfe_u32 v6, v3, 16, 1
	v_bfe_u32 v7, v2, 16, 1
	v_bfe_u32 v8, v5, 16, 1
	v_bfe_u32 v9, v4, 16, 1
	v_add3_u32 v2, v2, v7, s7
	v_add3_u32 v3, v3, v6, s7
	v_add3_u32 v4, v4, v9, s7
	v_add3_u32 v5, v5, v8, s7
	v_perm_b32 v2, v3, v2, s3
	v_perm_b32 v3, v5, v4, s3
	ds_write_b64 v28, v[2:3]
	s_waitcnt lgkmcnt(0)
	s_barrier
	s_and_saveexec_b64 s[2:3], s[0:1]
	s_cbranch_execz .LBB884_786
; %bb.784:
	s_load_dwordx2 s[2:3], s[4:5], 0x68
	s_lshl_b32 s0, s44, 6
	s_mul_i32 s1, s12, s6
	s_mul_hi_u32 s7, s1, s0
	s_mul_i32 s6, s1, s0
	s_lshl_b64 s[6:7], s[6:7], 1
	s_waitcnt lgkmcnt(0)
	s_add_u32 s1, s2, s6
	s_mov_b32 s5, 0
	s_addc_u32 s6, s3, s7
	s_lshl_b32 s4, s24, 6
	v_lshlrev_b32_e32 v0, 10, v0
	s_lshl_b64 s[2:3], s[4:5], 1
	v_and_b32_e32 v0, 0x1800, v0
	v_lshlrev_b32_e32 v2, 5, v1
	v_and_b32_e32 v3, 16, v47
	s_add_u32 s1, s1, s2
	v_or3_b32 v0, v0, v2, v3
	s_addc_u32 s2, s6, s3
	v_add_u32_e32 v8, s25, v1
	v_mov_b32_e32 v3, s2
	v_add_co_u32_e32 v2, vcc, s1, v46
	ds_read_b128 v[4:7], v0
	v_mad_u64_u32 v[8:9], s[2:3], v8, s0, 0
	v_addc_co_u32_e32 v3, vcc, 0, v3, vcc
	v_lshlrev_b64 v[8:9], 1, v[8:9]
	v_add_co_u32_e32 v8, vcc, v2, v8
	v_addc_co_u32_e32 v9, vcc, v3, v9, vcc
	v_cmp_ne_u32_e32 vcc, 3, v1
	s_waitcnt lgkmcnt(0)
	global_store_dwordx4 v[8:9], v[4:7], off
	s_and_b64 exec, exec, vcc
	s_cbranch_execz .LBB884_786
; %bb.785:
	ds_read_b128 v[4:7], v0 offset:128
	v_add3_u32 v0, s25, v1, 4
	v_mad_u64_u32 v[0:1], s[0:1], v0, s0, 0
	v_lshlrev_b64 v[0:1], 1, v[0:1]
	v_add_co_u32_e32 v0, vcc, v2, v0
	v_addc_co_u32_e32 v1, vcc, v3, v1, vcc
	s_waitcnt lgkmcnt(0)
	global_store_dwordx4 v[0:1], v[4:7], off
.LBB884_786:
	s_endpgm
	.section	.rodata,"a",@progbits
	.p2align	6, 0x0
	.amdhsa_kernel _Z39paged_attention_ll4mi_QKV_mfma16_kernelI14__hip_bfloat16hLN4vllm18Fp8KVCacheDataTypeE1ES0_Li32ELi64ELi256ELb0ELi7EL8MFMAType0EEvPKT_PKT0_S9_ifPKiSB_SB_iPKfiiiPfSE_PS4_PT2_iSD_SD_
		.amdhsa_group_segment_fixed_size 8192
		.amdhsa_private_segment_fixed_size 0
		.amdhsa_kernarg_size 400
		.amdhsa_user_sgpr_count 6
		.amdhsa_user_sgpr_private_segment_buffer 1
		.amdhsa_user_sgpr_dispatch_ptr 0
		.amdhsa_user_sgpr_queue_ptr 0
		.amdhsa_user_sgpr_kernarg_segment_ptr 1
		.amdhsa_user_sgpr_dispatch_id 0
		.amdhsa_user_sgpr_flat_scratch_init 0
		.amdhsa_user_sgpr_kernarg_preload_length 0
		.amdhsa_user_sgpr_kernarg_preload_offset 0
		.amdhsa_user_sgpr_private_segment_size 0
		.amdhsa_uses_dynamic_stack 0
		.amdhsa_system_sgpr_private_segment_wavefront_offset 0
		.amdhsa_system_sgpr_workgroup_id_x 1
		.amdhsa_system_sgpr_workgroup_id_y 1
		.amdhsa_system_sgpr_workgroup_id_z 1
		.amdhsa_system_sgpr_workgroup_info 0
		.amdhsa_system_vgpr_workitem_id 0
		.amdhsa_next_free_vgpr 62
		.amdhsa_next_free_sgpr 47
		.amdhsa_accum_offset 64
		.amdhsa_reserve_vcc 1
		.amdhsa_reserve_flat_scratch 0
		.amdhsa_float_round_mode_32 0
		.amdhsa_float_round_mode_16_64 0
		.amdhsa_float_denorm_mode_32 3
		.amdhsa_float_denorm_mode_16_64 3
		.amdhsa_dx10_clamp 1
		.amdhsa_ieee_mode 1
		.amdhsa_fp16_overflow 0
		.amdhsa_tg_split 0
		.amdhsa_exception_fp_ieee_invalid_op 0
		.amdhsa_exception_fp_denorm_src 0
		.amdhsa_exception_fp_ieee_div_zero 0
		.amdhsa_exception_fp_ieee_overflow 0
		.amdhsa_exception_fp_ieee_underflow 0
		.amdhsa_exception_fp_ieee_inexact 0
		.amdhsa_exception_int_div_zero 0
	.end_amdhsa_kernel
	.section	.text._Z39paged_attention_ll4mi_QKV_mfma16_kernelI14__hip_bfloat16hLN4vllm18Fp8KVCacheDataTypeE1ES0_Li32ELi64ELi256ELb0ELi7EL8MFMAType0EEvPKT_PKT0_S9_ifPKiSB_SB_iPKfiiiPfSE_PS4_PT2_iSD_SD_,"axG",@progbits,_Z39paged_attention_ll4mi_QKV_mfma16_kernelI14__hip_bfloat16hLN4vllm18Fp8KVCacheDataTypeE1ES0_Li32ELi64ELi256ELb0ELi7EL8MFMAType0EEvPKT_PKT0_S9_ifPKiSB_SB_iPKfiiiPfSE_PS4_PT2_iSD_SD_,comdat
.Lfunc_end884:
	.size	_Z39paged_attention_ll4mi_QKV_mfma16_kernelI14__hip_bfloat16hLN4vllm18Fp8KVCacheDataTypeE1ES0_Li32ELi64ELi256ELb0ELi7EL8MFMAType0EEvPKT_PKT0_S9_ifPKiSB_SB_iPKfiiiPfSE_PS4_PT2_iSD_SD_, .Lfunc_end884-_Z39paged_attention_ll4mi_QKV_mfma16_kernelI14__hip_bfloat16hLN4vllm18Fp8KVCacheDataTypeE1ES0_Li32ELi64ELi256ELb0ELi7EL8MFMAType0EEvPKT_PKT0_S9_ifPKiSB_SB_iPKfiiiPfSE_PS4_PT2_iSD_SD_
                                        ; -- End function
	.section	.AMDGPU.csdata,"",@progbits
; Kernel info:
; codeLenInByte = 28388
; NumSgprs: 51
; NumVgprs: 62
; NumAgprs: 0
; TotalNumVgprs: 62
; ScratchSize: 0
; MemoryBound: 0
; FloatMode: 240
; IeeeMode: 1
; LDSByteSize: 8192 bytes/workgroup (compile time only)
; SGPRBlocks: 6
; VGPRBlocks: 7
; NumSGPRsForWavesPerEU: 51
; NumVGPRsForWavesPerEU: 62
; AccumOffset: 64
; Occupancy: 8
; WaveLimiterHint : 1
; COMPUTE_PGM_RSRC2:SCRATCH_EN: 0
; COMPUTE_PGM_RSRC2:USER_SGPR: 6
; COMPUTE_PGM_RSRC2:TRAP_HANDLER: 0
; COMPUTE_PGM_RSRC2:TGID_X_EN: 1
; COMPUTE_PGM_RSRC2:TGID_Y_EN: 1
; COMPUTE_PGM_RSRC2:TGID_Z_EN: 1
; COMPUTE_PGM_RSRC2:TIDIG_COMP_CNT: 0
; COMPUTE_PGM_RSRC3_GFX90A:ACCUM_OFFSET: 15
; COMPUTE_PGM_RSRC3_GFX90A:TG_SPLIT: 0
	.section	.text._Z39paged_attention_ll4mi_QKV_mfma16_kernelI14__hip_bfloat16hLN4vllm18Fp8KVCacheDataTypeE1ES0_Li32ELi64ELi256ELb0ELi8EL8MFMAType0EEvPKT_PKT0_S9_ifPKiSB_SB_iPKfiiiPfSE_PS4_PT2_iSD_SD_,"axG",@progbits,_Z39paged_attention_ll4mi_QKV_mfma16_kernelI14__hip_bfloat16hLN4vllm18Fp8KVCacheDataTypeE1ES0_Li32ELi64ELi256ELb0ELi8EL8MFMAType0EEvPKT_PKT0_S9_ifPKiSB_SB_iPKfiiiPfSE_PS4_PT2_iSD_SD_,comdat
	.protected	_Z39paged_attention_ll4mi_QKV_mfma16_kernelI14__hip_bfloat16hLN4vllm18Fp8KVCacheDataTypeE1ES0_Li32ELi64ELi256ELb0ELi8EL8MFMAType0EEvPKT_PKT0_S9_ifPKiSB_SB_iPKfiiiPfSE_PS4_PT2_iSD_SD_ ; -- Begin function _Z39paged_attention_ll4mi_QKV_mfma16_kernelI14__hip_bfloat16hLN4vllm18Fp8KVCacheDataTypeE1ES0_Li32ELi64ELi256ELb0ELi8EL8MFMAType0EEvPKT_PKT0_S9_ifPKiSB_SB_iPKfiiiPfSE_PS4_PT2_iSD_SD_
	.globl	_Z39paged_attention_ll4mi_QKV_mfma16_kernelI14__hip_bfloat16hLN4vllm18Fp8KVCacheDataTypeE1ES0_Li32ELi64ELi256ELb0ELi8EL8MFMAType0EEvPKT_PKT0_S9_ifPKiSB_SB_iPKfiiiPfSE_PS4_PT2_iSD_SD_
	.p2align	8
	.type	_Z39paged_attention_ll4mi_QKV_mfma16_kernelI14__hip_bfloat16hLN4vllm18Fp8KVCacheDataTypeE1ES0_Li32ELi64ELi256ELb0ELi8EL8MFMAType0EEvPKT_PKT0_S9_ifPKiSB_SB_iPKfiiiPfSE_PS4_PT2_iSD_SD_,@function
_Z39paged_attention_ll4mi_QKV_mfma16_kernelI14__hip_bfloat16hLN4vllm18Fp8KVCacheDataTypeE1ES0_Li32ELi64ELi256ELb0ELi8EL8MFMAType0EEvPKT_PKT0_S9_ifPKiSB_SB_iPKfiiiPfSE_PS4_PT2_iSD_SD_: ; @_Z39paged_attention_ll4mi_QKV_mfma16_kernelI14__hip_bfloat16hLN4vllm18Fp8KVCacheDataTypeE1ES0_Li32ELi64ELi256ELb0ELi8EL8MFMAType0EEvPKT_PKT0_S9_ifPKiSB_SB_iPKfiiiPfSE_PS4_PT2_iSD_SD_
; %bb.0:
	s_load_dwordx2 s[0:1], s[4:5], 0x30
	s_mov_b32 s24, s7
	s_mov_b64 s[10:11], 0
	s_waitcnt lgkmcnt(0)
	s_cmp_lg_u64 s[0:1], 0
	s_cselect_b64 s[2:3], -1, 0
	s_and_b64 vcc, exec, s[2:3]
	s_cbranch_vccz .LBB885_7
; %bb.1:
	s_add_i32 s12, s6, 1
	s_mov_b32 s13, 0
	s_lshl_b64 s[14:15], s[12:13], 2
	s_add_u32 s14, s0, s14
	s_mov_b32 s7, s13
	s_addc_u32 s15, s1, s15
	s_lshl_b64 s[12:13], s[6:7], 2
	s_add_u32 s12, s0, s12
	s_addc_u32 s13, s1, s13
	s_load_dword s9, s[14:15], 0x0
	s_load_dword s16, s[12:13], 0x0
	s_waitcnt lgkmcnt(0)
	s_sub_i32 s9, s9, s16
	s_cmp_eq_u32 s9, 1
	s_cselect_b64 s[12:13], -1, 0
	s_andn2_b64 vcc, exec, s[10:11]
	s_cbranch_vccnz .LBB885_3
.LBB885_2:
	s_mov_b32 s7, 0
	s_mov_b64 s[12:13], -1
.LBB885_3:
	s_andn2_b64 vcc, exec, s[12:13]
	s_cbranch_vccnz .LBB885_785
; %bb.4:
	s_load_dwordx2 s[12:13], s[4:5], 0x28
	s_lshl_b64 s[10:11], s[6:7], 2
	s_waitcnt lgkmcnt(0)
	s_add_u32 s12, s12, s10
	s_addc_u32 s13, s13, s11
	s_load_dword s33, s[12:13], 0x0
	s_lshl_b32 s20, s24, 8
	s_waitcnt lgkmcnt(0)
	s_cmp_ge_i32 s20, s33
	s_cbranch_scc1 .LBB885_785
; %bb.5:
	s_add_i32 s14, s33, 31
	s_load_dwordx2 s[12:13], s[4:5], 0x20
	s_load_dword s9, s[4:5], 0x38
	s_ashr_i32 s15, s14, 31
	v_and_b32_e32 v1, 0xcf, v0
	s_lshr_b32 s15, s15, 27
	v_add_u32_e32 v1, s20, v1
	s_add_i32 s14, s14, s15
	v_ashrrev_i32_e32 v2, 31, v1
	s_ashr_i32 s22, s14, 5
	v_lshrrev_b32_e32 v4, 27, v2
	s_add_i32 s22, s22, -1
	v_add_u32_e32 v2, v1, v4
	s_waitcnt lgkmcnt(0)
	s_mul_i32 s14, s6, s9
	s_mov_b32 s15, 0
	v_ashrrev_i32_e32 v2, 5, v2
	v_mov_b32_e32 v5, s22
	v_cmp_gt_i32_e32 vcc, s33, v1
	s_lshl_b64 s[14:15], s[14:15], 2
	v_cndmask_b32_e32 v2, v5, v2, vcc
	s_add_u32 s9, s12, s14
	v_ashrrev_i32_e32 v3, 31, v2
	s_addc_u32 s21, s13, s15
	v_lshlrev_b64 v[2:3], 2, v[2:3]
	v_mov_b32_e32 v7, s21
	v_add_co_u32_e32 v6, vcc, s9, v2
	v_or_b32_e32 v2, 16, v1
	v_addc_co_u32_e32 v7, vcc, v7, v3, vcc
	v_add_u32_e32 v3, v2, v4
	v_ashrrev_i32_e32 v3, 5, v3
	v_cmp_gt_i32_e32 vcc, s33, v2
	v_cndmask_b32_e32 v2, v5, v3, vcc
	v_ashrrev_i32_e32 v3, 31, v2
	v_lshlrev_b64 v[2:3], 2, v[2:3]
	v_mov_b32_e32 v9, s21
	v_add_co_u32_e32 v8, vcc, s9, v2
	v_or_b32_e32 v2, 32, v1
	v_addc_co_u32_e32 v9, vcc, v9, v3, vcc
	v_add_u32_e32 v3, v2, v4
	v_ashrrev_i32_e32 v3, 5, v3
	v_cmp_gt_i32_e32 vcc, s33, v2
	v_cndmask_b32_e32 v2, v5, v3, vcc
	v_ashrrev_i32_e32 v3, 31, v2
	;; [unrolled: 10-line block ×3, first 2 shown]
	v_lshlrev_b64 v[2:3], 2, v[2:3]
	v_mov_b32_e32 v1, s21
	v_add_co_u32_e32 v12, vcc, s9, v2
	v_addc_co_u32_e32 v13, vcc, v1, v3, vcc
	global_load_dword v5, v[6:7], off
	global_load_dword v4, v[8:9], off
	;; [unrolled: 1-line block ×4, first 2 shown]
	s_load_dwordx4 s[12:15], s[4:5], 0x8
	s_andn2_b64 vcc, exec, s[2:3]
	s_cbranch_vccnz .LBB885_8
; %bb.6:
	s_add_u32 s0, s0, s10
	s_addc_u32 s1, s1, s11
	s_load_dword s10, s[0:1], 0x0
	s_branch .LBB885_9
.LBB885_7:
	s_mov_b64 s[12:13], 0
	s_branch .LBB885_2
.LBB885_8:
	s_mov_b32 s10, s6
.LBB885_9:
	s_load_dwordx4 s[16:19], s[4:5], 0x48
	v_and_b32_e32 v50, 15, v0
	s_movk_i32 s0, 0x80
	v_lshlrev_b32_e32 v6, 3, v50
	v_cmp_gt_u32_e32 vcc, s0, v0
	v_cmp_gt_u32_e64 s[0:1], 8, v50
	v_lshrrev_b32_e32 v49, 6, v0
	v_bfe_u32 v1, v0, 4, 2
	s_lshl_b32 s25, s8, 3
	s_and_b64 s[26:27], vcc, s[0:1]
	v_lshlrev_b32_e32 v46, 1, v6
	v_lshlrev_b32_e32 v47, 4, v0
	s_and_saveexec_b64 s[2:3], s[26:27]
	s_cbranch_execz .LBB885_11
; %bb.10:
	s_load_dwordx2 s[26:27], s[4:5], 0x0
	s_waitcnt lgkmcnt(0)
	s_ashr_i32 s11, s16, 31
	s_mul_hi_u32 s19, s10, s16
	s_mul_i32 s11, s10, s11
	v_lshl_or_b32 v10, v49, 2, v1
	s_add_i32 s11, s19, s11
	s_mul_i32 s10, s10, s16
	s_lshl_b64 s[10:11], s[10:11], 1
	v_add_lshl_u32 v6, v10, s25, 6
	s_add_u32 s10, s26, s10
	v_ashrrev_i32_e32 v7, 31, v6
	s_addc_u32 s11, s27, s11
	v_lshlrev_b64 v[6:7], 1, v[6:7]
	v_mov_b32_e32 v8, s11
	v_add_co_u32_e32 v6, vcc, s10, v6
	v_addc_co_u32_e32 v7, vcc, v8, v7, vcc
	v_add_co_u32_e32 v6, vcc, v6, v46
	v_addc_co_u32_e32 v7, vcc, 0, v7, vcc
	global_load_dwordx4 v[6:9], v[6:7], off
	v_lshlrev_b32_e32 v12, 8, v50
	v_lshlrev_b32_e32 v10, 5, v10
	v_and_b32_e32 v11, 16, v47
	v_and_b32_e32 v12, 0xe00, v12
	v_or3_b32 v10, v12, v10, v11
	s_waitcnt vmcnt(0)
	ds_write_b128 v10, v[6:9]
.LBB885_11:
	s_or_b64 exec, exec, s[2:3]
	s_waitcnt lgkmcnt(0)
	s_mul_i32 s8, s8, s18
	s_add_u32 s2, s12, s8
	s_addc_u32 s3, s13, 0
	v_and_b32_e32 v12, 48, v0
	s_ashr_i32 s10, s20, 31
	v_or_b32_e32 v13, s20, v12
	s_lshr_b32 s10, s10, 27
	v_add_u32_e32 v6, s10, v13
	v_ashrrev_i32_e32 v6, 5, v6
	v_mov_b32_e32 v14, s22
	v_cmp_gt_i32_e32 vcc, s33, v13
	v_cndmask_b32_e32 v6, v14, v6, vcc
	v_ashrrev_i32_e32 v7, 31, v6
	v_lshlrev_b64 v[6:7], 2, v[6:7]
	v_mov_b32_e32 v8, s21
	v_add_co_u32_e32 v6, vcc, s9, v6
	v_addc_co_u32_e32 v7, vcc, v8, v7, vcc
	v_or_b32_e32 v8, 64, v13
	v_add_u32_e32 v9, s10, v8
	v_ashrrev_i32_e32 v9, 5, v9
	v_cmp_gt_i32_e32 vcc, s33, v8
	v_cndmask_b32_e32 v8, v14, v9, vcc
	v_ashrrev_i32_e32 v9, 31, v8
	v_lshlrev_b64 v[8:9], 2, v[8:9]
	v_mov_b32_e32 v10, s21
	v_add_co_u32_e32 v8, vcc, s9, v8
	v_addc_co_u32_e32 v9, vcc, v10, v9, vcc
	v_or_b32_e32 v10, 0x80, v13
	v_add_u32_e32 v11, s10, v10
	v_ashrrev_i32_e32 v11, 5, v11
	v_cmp_gt_i32_e32 vcc, s33, v10
	v_cndmask_b32_e32 v10, v14, v11, vcc
	v_ashrrev_i32_e32 v11, 31, v10
	v_lshlrev_b64 v[10:11], 2, v[10:11]
	v_mov_b32_e32 v15, s21
	v_add_co_u32_e32 v10, vcc, s9, v10
	s_load_dwordx2 s[44:45], s[4:5], 0x94
	s_load_dwordx4 s[40:43], s[4:5], 0x80
	s_waitcnt lgkmcnt(0)
	s_barrier
	v_addc_co_u32_e32 v11, vcc, v15, v11, vcc
	global_load_dword v15, v[6:7], off
	global_load_dword v16, v[8:9], off
	;; [unrolled: 1-line block ×3, first 2 shown]
	v_or_b32_e32 v6, 0xc0, v13
	v_add_u32_e32 v7, s10, v6
	v_ashrrev_i32_e32 v7, 5, v7
	v_cmp_gt_i32_e32 vcc, s33, v6
	v_cndmask_b32_e32 v6, v14, v7, vcc
	v_ashrrev_i32_e32 v7, 31, v6
	v_lshlrev_b64 v[6:7], 2, v[6:7]
	v_mov_b32_e32 v8, s21
	v_add_co_u32_e32 v6, vcc, s9, v6
	v_addc_co_u32_e32 v7, vcc, v8, v7, vcc
	global_load_dword v20, v[6:7], off
	v_pk_mov_b32 v[6:7], s[2:3], s[2:3] op_sel:[0,1]
	s_waitcnt vmcnt(7)
	v_mad_i64_i32 v[8:9], s[2:3], v5, s17, v[6:7]
	v_lshlrev_b32_e32 v11, 4, v50
	v_add_co_u32_e32 v5, vcc, v8, v11
	v_lshlrev_b32_e32 v10, 5, v12
	v_addc_co_u32_e32 v9, vcc, 0, v9, vcc
	v_add_co_u32_e32 v8, vcc, v5, v10
	v_addc_co_u32_e32 v9, vcc, 0, v9, vcc
	s_waitcnt vmcnt(6)
	v_mad_i64_i32 v[4:5], s[2:3], v4, s17, v[6:7]
	v_or_b32_e32 v12, 0x100, v11
	v_add_co_u32_e32 v4, vcc, v4, v12
	v_addc_co_u32_e32 v5, vcc, 0, v5, vcc
	v_add_co_u32_e32 v4, vcc, v4, v10
	v_addc_co_u32_e32 v5, vcc, 0, v5, vcc
	global_load_dwordx4 v[30:33], v[8:9], off
	global_load_dwordx4 v[38:41], v[4:5], off
	s_waitcnt vmcnt(7)
	v_mad_i64_i32 v[4:5], s[2:3], v3, s17, v[6:7]
	v_add_co_u32_e32 v3, vcc, v4, v11
	v_addc_co_u32_e32 v5, vcc, 0, v5, vcc
	v_add_co_u32_e32 v4, vcc, v3, v10
	v_addc_co_u32_e32 v5, vcc, 0, v5, vcc
	s_waitcnt vmcnt(6)
	v_mad_i64_i32 v[2:3], s[2:3], v2, s17, v[6:7]
	v_add_co_u32_e32 v2, vcc, v2, v12
	v_addc_co_u32_e32 v3, vcc, 0, v3, vcc
	v_add_co_u32_e32 v2, vcc, v2, v10
	s_add_u32 s2, s14, s8
	v_addc_co_u32_e32 v3, vcc, 0, v3, vcc
	global_load_dwordx4 v[34:37], v[4:5], off
	global_load_dwordx4 v[22:25], v[2:3], off
	s_addc_u32 s3, s15, 0
	v_and_b32_e32 v2, 16, v0
	v_mov_b32_e32 v3, s3
	v_add_co_u32_e32 v2, vcc, s2, v2
	v_lshlrev_b32_e32 v48, 5, v50
	v_addc_co_u32_e32 v3, vcc, 0, v3, vcc
	v_lshl_or_b32 v4, v49, 9, v48
	v_add_co_u32_e32 v2, vcc, v2, v4
	v_addc_co_u32_e32 v3, vcc, 0, v3, vcc
	v_mov_b32_e32 v44, 0
	v_mov_b32_e32 v43, 0
	s_waitcnt vmcnt(7)
	v_mad_i64_i32 v[4:5], s[2:3], v15, s17, v[2:3]
	s_waitcnt vmcnt(6)
	v_mad_i64_i32 v[6:7], s[2:3], v16, s17, v[2:3]
	;; [unrolled: 2-line block ×3, first 2 shown]
	global_load_dwordx4 v[14:17], v[4:5], off
	global_load_dwordx4 v[10:13], v[6:7], off
	s_waitcnt vmcnt(6)
	v_mad_i64_i32 v[20:21], s[2:3], v20, s17, v[2:3]
	global_load_dwordx4 v[6:9], v[18:19], off
	global_load_dwordx4 v[2:5], v[20:21], off
	v_and_b32_e32 v18, 7, v0
	v_lshlrev_b32_e32 v18, 5, v18
	v_lshl_or_b32 v18, v1, 9, v18
	ds_read_b128 v[26:29], v18
	ds_read_b128 v[18:21], v18 offset:16
	s_load_dword s12, s[40:41], 0x0
	s_waitcnt vmcnt(7)
	v_cmp_ne_u16_sdwa s[8:9], v30, v44 src0_sel:BYTE_0 src1_sel:DWORD
	s_and_saveexec_b64 s[2:3], s[8:9]
	s_cbranch_execz .LBB885_17
; %bb.12:
	s_movk_i32 s8, 0x80
	v_cmp_ne_u16_sdwa s[10:11], v30, s8 src0_sel:BYTE_0 src1_sel:DWORD
	v_mov_b32_e32 v43, 0xffff8000
	s_and_saveexec_b64 s[8:9], s[10:11]
	s_cbranch_execz .LBB885_16
; %bb.13:
	s_movk_i32 s10, 0x7f
	v_and_b32_e32 v42, 0x7f, v30
	v_cmp_ne_u32_e32 vcc, s10, v42
	v_mov_b32_e32 v43, 0x7f80
	s_and_saveexec_b64 s[10:11], vcc
	s_cbranch_execz .LBB885_15
; %bb.14:
	v_and_b32_e32 v43, 7, v30
	v_ffbh_u32_e32 v51, v43
	v_min_u32_e32 v51, 32, v51
	v_subrev_u32_e32 v52, 28, v51
	v_lshlrev_b64 v[52:53], v52, v[30:31]
	v_lshrrev_b32_e32 v45, 3, v42
	v_sub_u32_e32 v51, 29, v51
	v_and_b32_e32 v52, 7, v52
	v_cmp_gt_u32_e32 vcc, 8, v42
	v_cndmask_b32_e32 v42, v45, v51, vcc
	v_cndmask_b32_e32 v43, v43, v52, vcc
	v_lshlrev_b32_e32 v45, 24, v30
	v_bfrev_b32_e32 v51, 60
	v_lshlrev_b32_e32 v43, 20, v43
	v_and_b32_e32 v45, 0x80000000, v45
	v_lshl_add_u32 v42, v42, 23, v51
	v_or3_b32 v42, v45, v42, v43
	v_lshrrev_b32_e32 v43, 16, v42
.LBB885_15:
	s_or_b64 exec, exec, s[10:11]
.LBB885_16:
	s_or_b64 exec, exec, s[8:9]
.LBB885_17:
	s_or_b64 exec, exec, s[2:3]
	v_lshrrev_b16_e32 v42, 8, v30
	v_cmp_ne_u16_e32 vcc, 0, v42
	s_and_saveexec_b64 s[2:3], vcc
	s_cbranch_execz .LBB885_23
; %bb.18:
	s_movk_i32 s8, 0x80
	v_cmp_ne_u16_e32 vcc, s8, v42
	v_mov_b32_e32 v44, 0xffff8000
	s_and_saveexec_b64 s[8:9], vcc
	s_cbranch_execz .LBB885_22
; %bb.19:
	s_movk_i32 s10, 0x7f
	v_and_b32_e32 v45, 0x7f, v42
	v_cmp_ne_u32_e32 vcc, s10, v45
	v_mov_b32_e32 v44, 0x7f80
	s_and_saveexec_b64 s[10:11], vcc
	s_cbranch_execz .LBB885_21
; %bb.20:
	v_and_b32_e32 v44, 7, v42
	v_ffbh_u32_e32 v52, v44
	v_min_u32_e32 v54, 32, v52
	v_subrev_u32_e32 v52, 28, v54
	v_lshlrev_b64 v[52:53], v52, v[42:43]
	v_lshrrev_b32_e32 v51, 3, v45
	v_sub_u32_e32 v42, 29, v54
	v_and_b32_e32 v52, 7, v52
	v_cmp_gt_u32_e32 vcc, 8, v45
	v_cndmask_b32_e32 v42, v51, v42, vcc
	v_cndmask_b32_e32 v44, v44, v52, vcc
	v_lshlrev_b32_e32 v45, 16, v30
	v_bfrev_b32_e32 v51, 60
	v_lshlrev_b32_e32 v44, 20, v44
	v_and_b32_e32 v45, 0x80000000, v45
	v_lshl_add_u32 v42, v42, 23, v51
	v_or3_b32 v42, v45, v42, v44
	v_lshrrev_b32_e32 v44, 16, v42
.LBB885_21:
	s_or_b64 exec, exec, s[10:11]
.LBB885_22:
	s_or_b64 exec, exec, s[8:9]
.LBB885_23:
	s_or_b64 exec, exec, s[2:3]
	s_movk_i32 s2, 0xff
	v_and_b32_sdwa v52, v30, s2 dst_sel:DWORD dst_unused:UNUSED_PAD src0_sel:WORD_1 src1_sel:DWORD
	v_lshrrev_b32_e32 v42, 16, v30
	v_cmp_ne_u16_e32 vcc, 0, v52
	v_mov_b32_e32 v45, 0
	v_mov_b32_e32 v51, 0
	s_and_saveexec_b64 s[2:3], vcc
	s_cbranch_execz .LBB885_29
; %bb.24:
	s_movk_i32 s8, 0x80
	v_cmp_ne_u16_e32 vcc, s8, v52
	v_mov_b32_e32 v51, 0xffff8000
	s_and_saveexec_b64 s[8:9], vcc
	s_cbranch_execz .LBB885_28
; %bb.25:
	v_bfe_u32 v52, v30, 16, 7
	s_movk_i32 s10, 0x7f
	v_cmp_ne_u32_e32 vcc, s10, v52
	v_mov_b32_e32 v51, 0x7f80
	s_and_saveexec_b64 s[10:11], vcc
	s_cbranch_execz .LBB885_27
; %bb.26:
	v_and_b32_e32 v51, 7, v42
	v_ffbh_u32_e32 v54, v51
	v_min_u32_e32 v56, 32, v54
	v_subrev_u32_e32 v54, 28, v56
	v_lshlrev_b64 v[54:55], v54, v[42:43]
	v_lshrrev_b32_e32 v53, 3, v52
	v_sub_u32_e32 v42, 29, v56
	v_and_b32_e32 v54, 7, v54
	v_cmp_gt_u32_e32 vcc, 8, v52
	v_mov_b32_e32 v52, 24
	v_cndmask_b32_e32 v42, v53, v42, vcc
	v_cndmask_b32_e32 v51, v51, v54, vcc
	v_lshlrev_b32_sdwa v52, v52, v30 dst_sel:DWORD dst_unused:UNUSED_PAD src0_sel:DWORD src1_sel:WORD_1
	v_bfrev_b32_e32 v53, 60
	v_lshlrev_b32_e32 v51, 20, v51
	v_and_b32_e32 v52, 0x80000000, v52
	v_lshl_add_u32 v42, v42, 23, v53
	v_or3_b32 v42, v52, v42, v51
	v_lshrrev_b32_e32 v51, 16, v42
.LBB885_27:
	s_or_b64 exec, exec, s[10:11]
.LBB885_28:
	s_or_b64 exec, exec, s[8:9]
.LBB885_29:
	s_or_b64 exec, exec, s[2:3]
	s_mov_b32 s2, 0xffffff
	v_cmp_lt_u32_e32 vcc, s2, v30
	s_and_saveexec_b64 s[2:3], vcc
	s_cbranch_execz .LBB885_35
; %bb.30:
	v_lshrrev_b32_e32 v42, 24, v30
	s_movk_i32 s8, 0x80
	v_cmp_ne_u32_e32 vcc, s8, v42
	v_mov_b32_e32 v45, 0xffff8000
	s_and_saveexec_b64 s[8:9], vcc
	s_cbranch_execz .LBB885_34
; %bb.31:
	v_bfe_u32 v30, v30, 24, 7
	s_movk_i32 s10, 0x7f
	v_cmp_ne_u32_e32 vcc, s10, v30
	v_mov_b32_e32 v45, 0x7f80
	s_and_saveexec_b64 s[10:11], vcc
	s_cbranch_execz .LBB885_33
; %bb.32:
	v_and_b32_e32 v45, 7, v42
	v_ffbh_u32_e32 v52, v45
	v_min_u32_e32 v55, 32, v52
	v_subrev_u32_e32 v52, 28, v55
	v_lshlrev_b64 v[52:53], v52, v[42:43]
	v_lshrrev_b32_e32 v54, 3, v30
	v_sub_u32_e32 v53, 29, v55
	v_and_b32_e32 v52, 7, v52
	v_cmp_gt_u32_e32 vcc, 8, v30
	v_cndmask_b32_e32 v30, v54, v53, vcc
	v_cndmask_b32_e32 v45, v45, v52, vcc
	v_lshlrev_b32_e32 v42, 24, v42
	v_bfrev_b32_e32 v52, 60
	v_lshlrev_b32_e32 v45, 20, v45
	v_and_b32_e32 v42, 0x80000000, v42
	v_lshl_add_u32 v30, v30, 23, v52
	v_or3_b32 v30, v42, v30, v45
	v_lshrrev_b32_e32 v45, 16, v30
.LBB885_33:
	s_or_b64 exec, exec, s[10:11]
.LBB885_34:
	s_or_b64 exec, exec, s[8:9]
.LBB885_35:
	s_or_b64 exec, exec, s[2:3]
	v_mov_b32_e32 v42, 0
	v_cmp_ne_u16_sdwa s[8:9], v31, v42 src0_sel:BYTE_0 src1_sel:DWORD
	v_mov_b32_e32 v52, 0
	s_and_saveexec_b64 s[2:3], s[8:9]
	s_cbranch_execz .LBB885_41
; %bb.36:
	s_movk_i32 s8, 0x80
	v_cmp_ne_u16_sdwa s[10:11], v31, s8 src0_sel:BYTE_0 src1_sel:DWORD
	v_mov_b32_e32 v52, 0xffff8000
	s_and_saveexec_b64 s[8:9], s[10:11]
	s_cbranch_execz .LBB885_40
; %bb.37:
	s_movk_i32 s10, 0x7f
	v_and_b32_e32 v30, 0x7f, v31
	v_cmp_ne_u32_e32 vcc, s10, v30
	v_mov_b32_e32 v52, 0x7f80
	s_and_saveexec_b64 s[10:11], vcc
	s_cbranch_execz .LBB885_39
; %bb.38:
	v_and_b32_e32 v54, 7, v31
	v_ffbh_u32_e32 v53, v54
	v_min_u32_e32 v56, 32, v53
	v_mov_b32_e32 v52, v31
	v_subrev_u32_e32 v53, 28, v56
	v_lshlrev_b64 v[52:53], v53, v[52:53]
	v_lshrrev_b32_e32 v55, 3, v30
	v_sub_u32_e32 v53, 29, v56
	v_and_b32_e32 v52, 7, v52
	v_cmp_gt_u32_e32 vcc, 8, v30
	v_cndmask_b32_e32 v30, v55, v53, vcc
	v_cndmask_b32_e32 v52, v54, v52, vcc
	v_lshlrev_b32_e32 v53, 24, v31
	v_bfrev_b32_e32 v54, 60
	v_lshlrev_b32_e32 v52, 20, v52
	v_and_b32_e32 v53, 0x80000000, v53
	v_lshl_add_u32 v30, v30, 23, v54
	v_or3_b32 v30, v53, v30, v52
	v_lshrrev_b32_e32 v52, 16, v30
.LBB885_39:
	s_or_b64 exec, exec, s[10:11]
.LBB885_40:
	s_or_b64 exec, exec, s[8:9]
.LBB885_41:
	s_or_b64 exec, exec, s[2:3]
	v_lshrrev_b16_e32 v30, 8, v31
	v_cmp_ne_u16_e32 vcc, 0, v30
	s_and_saveexec_b64 s[2:3], vcc
	s_cbranch_execz .LBB885_47
; %bb.42:
	s_movk_i32 s8, 0x80
	v_cmp_ne_u16_e32 vcc, s8, v30
	v_mov_b32_e32 v42, 0xffff8000
	s_and_saveexec_b64 s[8:9], vcc
	s_cbranch_execz .LBB885_46
; %bb.43:
	s_movk_i32 s10, 0x7f
	v_and_b32_e32 v53, 0x7f, v30
	v_cmp_ne_u32_e32 vcc, s10, v53
	v_mov_b32_e32 v42, 0x7f80
	s_and_saveexec_b64 s[10:11], vcc
	s_cbranch_execz .LBB885_45
; %bb.44:
	v_and_b32_e32 v42, 7, v30
	v_ffbh_u32_e32 v54, v42
	v_min_u32_e32 v57, 32, v54
	v_subrev_u32_e32 v54, 28, v57
	v_lshlrev_b64 v[54:55], v54, v[30:31]
	v_lshrrev_b32_e32 v56, 3, v53
	v_sub_u32_e32 v30, 29, v57
	v_and_b32_e32 v54, 7, v54
	v_cmp_gt_u32_e32 vcc, 8, v53
	v_cndmask_b32_e32 v30, v56, v30, vcc
	v_cndmask_b32_e32 v42, v42, v54, vcc
	v_lshlrev_b32_e32 v53, 16, v31
	v_bfrev_b32_e32 v54, 60
	v_lshlrev_b32_e32 v42, 20, v42
	v_and_b32_e32 v53, 0x80000000, v53
	v_lshl_add_u32 v30, v30, 23, v54
	v_or3_b32 v30, v53, v30, v42
	v_lshrrev_b32_e32 v42, 16, v30
.LBB885_45:
	s_or_b64 exec, exec, s[10:11]
.LBB885_46:
	s_or_b64 exec, exec, s[8:9]
.LBB885_47:
	s_or_b64 exec, exec, s[2:3]
	s_movk_i32 s2, 0xff
	v_and_b32_sdwa v55, v31, s2 dst_sel:DWORD dst_unused:UNUSED_PAD src0_sel:WORD_1 src1_sel:DWORD
	v_lshrrev_b32_e32 v30, 16, v31
	v_cmp_ne_u16_e32 vcc, 0, v55
	v_mov_b32_e32 v53, 0
	v_mov_b32_e32 v54, 0
	s_and_saveexec_b64 s[2:3], vcc
	s_cbranch_execz .LBB885_53
; %bb.48:
	s_movk_i32 s8, 0x80
	v_cmp_ne_u16_e32 vcc, s8, v55
	v_mov_b32_e32 v54, 0xffff8000
	s_and_saveexec_b64 s[8:9], vcc
	s_cbranch_execz .LBB885_52
; %bb.49:
	v_bfe_u32 v55, v31, 16, 7
	s_movk_i32 s10, 0x7f
	v_cmp_ne_u32_e32 vcc, s10, v55
	v_mov_b32_e32 v54, 0x7f80
	s_and_saveexec_b64 s[10:11], vcc
	s_cbranch_execz .LBB885_51
; %bb.50:
	v_and_b32_e32 v54, 7, v30
	v_ffbh_u32_e32 v56, v54
	v_min_u32_e32 v59, 32, v56
	v_subrev_u32_e32 v56, 28, v59
	v_lshlrev_b64 v[56:57], v56, v[30:31]
	v_lshrrev_b32_e32 v58, 3, v55
	v_sub_u32_e32 v30, 29, v59
	v_and_b32_e32 v56, 7, v56
	v_cmp_gt_u32_e32 vcc, 8, v55
	v_mov_b32_e32 v55, 24
	v_cndmask_b32_e32 v30, v58, v30, vcc
	v_cndmask_b32_e32 v54, v54, v56, vcc
	v_lshlrev_b32_sdwa v55, v55, v31 dst_sel:DWORD dst_unused:UNUSED_PAD src0_sel:DWORD src1_sel:WORD_1
	v_bfrev_b32_e32 v56, 60
	v_lshlrev_b32_e32 v54, 20, v54
	v_and_b32_e32 v55, 0x80000000, v55
	v_lshl_add_u32 v30, v30, 23, v56
	v_or3_b32 v30, v55, v30, v54
	v_lshrrev_b32_e32 v54, 16, v30
.LBB885_51:
	s_or_b64 exec, exec, s[10:11]
.LBB885_52:
	s_or_b64 exec, exec, s[8:9]
.LBB885_53:
	s_or_b64 exec, exec, s[2:3]
	s_mov_b32 s2, 0xffffff
	v_cmp_lt_u32_e32 vcc, s2, v31
	s_and_saveexec_b64 s[2:3], vcc
	s_cbranch_execz .LBB885_59
; %bb.54:
	v_lshrrev_b32_e32 v30, 24, v31
	s_movk_i32 s8, 0x80
	v_cmp_ne_u32_e32 vcc, s8, v30
	v_mov_b32_e32 v53, 0xffff8000
	s_and_saveexec_b64 s[8:9], vcc
	s_cbranch_execz .LBB885_58
; %bb.55:
	v_bfe_u32 v31, v31, 24, 7
	s_movk_i32 s10, 0x7f
	v_cmp_ne_u32_e32 vcc, s10, v31
	v_mov_b32_e32 v53, 0x7f80
	s_and_saveexec_b64 s[10:11], vcc
	s_cbranch_execz .LBB885_57
; %bb.56:
	v_and_b32_e32 v53, 7, v30
	v_ffbh_u32_e32 v56, v53
	v_min_u32_e32 v58, 32, v56
	v_subrev_u32_e32 v56, 28, v58
	v_lshlrev_b64 v[56:57], v56, v[30:31]
	v_lshrrev_b32_e32 v55, 3, v31
	v_sub_u32_e32 v57, 29, v58
	v_and_b32_e32 v56, 7, v56
	v_cmp_gt_u32_e32 vcc, 8, v31
	v_cndmask_b32_e32 v31, v55, v57, vcc
	v_cndmask_b32_e32 v53, v53, v56, vcc
	v_lshlrev_b32_e32 v30, 24, v30
	v_bfrev_b32_e32 v55, 60
	v_lshlrev_b32_e32 v53, 20, v53
	v_and_b32_e32 v30, 0x80000000, v30
	v_lshl_add_u32 v31, v31, 23, v55
	v_or3_b32 v30, v30, v31, v53
	v_lshrrev_b32_e32 v53, 16, v30
.LBB885_57:
	s_or_b64 exec, exec, s[10:11]
.LBB885_58:
	s_or_b64 exec, exec, s[8:9]
.LBB885_59:
	s_or_b64 exec, exec, s[2:3]
	s_mov_b32 s2, 0x5040100
	v_perm_b32 v31, v45, v51, s2
	v_perm_b32 v30, v44, v43, s2
	;; [unrolled: 1-line block ×4, first 2 shown]
	v_mov_b32_e32 v51, 0
	s_waitcnt lgkmcnt(0)
	v_mfma_f32_16x16x16bf16_1k v[56:59], v[30:31], v[26:27], 0
	v_mov_b32_e32 v31, 0
	v_cmp_ne_u16_sdwa s[8:9], v32, v31 src0_sel:BYTE_0 src1_sel:DWORD
	v_mfma_f32_16x16x16bf16_1k v[42:45], v[42:43], v[28:29], v[56:59]
	s_and_saveexec_b64 s[2:3], s[8:9]
	s_cbranch_execz .LBB885_65
; %bb.60:
	s_movk_i32 s8, 0x80
	v_cmp_ne_u16_sdwa s[10:11], v32, s8 src0_sel:BYTE_0 src1_sel:DWORD
	v_mov_b32_e32 v51, 0xffff8000
	s_and_saveexec_b64 s[8:9], s[10:11]
	s_cbranch_execz .LBB885_64
; %bb.61:
	s_movk_i32 s10, 0x7f
	v_and_b32_e32 v30, 0x7f, v32
	v_cmp_ne_u32_e32 vcc, s10, v30
	v_mov_b32_e32 v51, 0x7f80
	s_and_saveexec_b64 s[10:11], vcc
	s_cbranch_execz .LBB885_63
; %bb.62:
	v_and_b32_e32 v51, 7, v32
	v_ffbh_u32_e32 v52, v51
	v_min_u32_e32 v55, 32, v52
	v_subrev_u32_e32 v52, 28, v55
	v_lshlrev_b64 v[52:53], v52, v[32:33]
	v_lshrrev_b32_e32 v54, 3, v30
	v_sub_u32_e32 v53, 29, v55
	v_and_b32_e32 v52, 7, v52
	v_cmp_gt_u32_e32 vcc, 8, v30
	v_cndmask_b32_e32 v30, v54, v53, vcc
	v_cndmask_b32_e32 v51, v51, v52, vcc
	v_lshlrev_b32_e32 v52, 24, v32
	v_bfrev_b32_e32 v53, 60
	v_lshlrev_b32_e32 v51, 20, v51
	v_and_b32_e32 v52, 0x80000000, v52
	v_lshl_add_u32 v30, v30, 23, v53
	v_or3_b32 v30, v52, v30, v51
	v_lshrrev_b32_e32 v51, 16, v30
.LBB885_63:
	s_or_b64 exec, exec, s[10:11]
.LBB885_64:
	s_or_b64 exec, exec, s[8:9]
.LBB885_65:
	s_or_b64 exec, exec, s[2:3]
	v_lshrrev_b16_e32 v30, 8, v32
	v_cmp_ne_u16_e32 vcc, 0, v30
	s_and_saveexec_b64 s[2:3], vcc
	s_cbranch_execz .LBB885_71
; %bb.66:
	s_movk_i32 s8, 0x80
	v_cmp_ne_u16_e32 vcc, s8, v30
	v_mov_b32_e32 v31, 0xffff8000
	s_and_saveexec_b64 s[8:9], vcc
	s_cbranch_execz .LBB885_70
; %bb.67:
	s_movk_i32 s10, 0x7f
	v_and_b32_e32 v52, 0x7f, v30
	v_cmp_ne_u32_e32 vcc, s10, v52
	v_mov_b32_e32 v31, 0x7f80
	s_and_saveexec_b64 s[10:11], vcc
	s_cbranch_execz .LBB885_69
; %bb.68:
	v_and_b32_e32 v53, 7, v30
	v_ffbh_u32_e32 v31, v53
	v_min_u32_e32 v55, 32, v31
	v_subrev_u32_e32 v31, 28, v55
	v_lshlrev_b64 v[30:31], v31, v[30:31]
	v_lshrrev_b32_e32 v54, 3, v52
	v_sub_u32_e32 v31, 29, v55
	v_and_b32_e32 v30, 7, v30
	v_cmp_gt_u32_e32 vcc, 8, v52
	v_cndmask_b32_e32 v31, v54, v31, vcc
	v_cndmask_b32_e32 v30, v53, v30, vcc
	v_lshlrev_b32_e32 v52, 16, v32
	v_bfrev_b32_e32 v53, 60
	v_lshlrev_b32_e32 v30, 20, v30
	v_and_b32_e32 v52, 0x80000000, v52
	v_lshl_add_u32 v31, v31, 23, v53
	v_or3_b32 v30, v52, v31, v30
	v_lshrrev_b32_e32 v31, 16, v30
.LBB885_69:
	s_or_b64 exec, exec, s[10:11]
.LBB885_70:
	s_or_b64 exec, exec, s[8:9]
.LBB885_71:
	s_or_b64 exec, exec, s[2:3]
	s_movk_i32 s2, 0xff
	v_and_b32_sdwa v54, v32, s2 dst_sel:DWORD dst_unused:UNUSED_PAD src0_sel:WORD_1 src1_sel:DWORD
	v_lshrrev_b32_e32 v30, 16, v32
	v_cmp_ne_u16_e32 vcc, 0, v54
	v_mov_b32_e32 v52, 0
	v_mov_b32_e32 v53, 0
	s_and_saveexec_b64 s[2:3], vcc
	s_cbranch_execz .LBB885_77
; %bb.72:
	s_movk_i32 s8, 0x80
	v_cmp_ne_u16_e32 vcc, s8, v54
	v_mov_b32_e32 v53, 0xffff8000
	s_and_saveexec_b64 s[8:9], vcc
	s_cbranch_execz .LBB885_76
; %bb.73:
	v_bfe_u32 v54, v32, 16, 7
	s_movk_i32 s10, 0x7f
	v_cmp_ne_u32_e32 vcc, s10, v54
	v_mov_b32_e32 v53, 0x7f80
	s_and_saveexec_b64 s[10:11], vcc
	s_cbranch_execz .LBB885_75
; %bb.74:
	v_and_b32_e32 v53, 7, v30
	v_ffbh_u32_e32 v56, v53
	v_min_u32_e32 v58, 32, v56
	v_subrev_u32_e32 v56, 28, v58
	v_lshlrev_b64 v[56:57], v56, v[30:31]
	v_lshrrev_b32_e32 v55, 3, v54
	v_sub_u32_e32 v30, 29, v58
	v_and_b32_e32 v56, 7, v56
	v_cmp_gt_u32_e32 vcc, 8, v54
	v_mov_b32_e32 v54, 24
	v_cndmask_b32_e32 v30, v55, v30, vcc
	v_cndmask_b32_e32 v53, v53, v56, vcc
	v_lshlrev_b32_sdwa v54, v54, v32 dst_sel:DWORD dst_unused:UNUSED_PAD src0_sel:DWORD src1_sel:WORD_1
	v_bfrev_b32_e32 v55, 60
	v_lshlrev_b32_e32 v53, 20, v53
	v_and_b32_e32 v54, 0x80000000, v54
	v_lshl_add_u32 v30, v30, 23, v55
	v_or3_b32 v30, v54, v30, v53
	v_lshrrev_b32_e32 v53, 16, v30
.LBB885_75:
	s_or_b64 exec, exec, s[10:11]
.LBB885_76:
	s_or_b64 exec, exec, s[8:9]
.LBB885_77:
	s_or_b64 exec, exec, s[2:3]
	s_mov_b32 s2, 0xffffff
	v_cmp_lt_u32_e32 vcc, s2, v32
	s_and_saveexec_b64 s[2:3], vcc
	s_cbranch_execz .LBB885_83
; %bb.78:
	v_lshrrev_b32_e32 v30, 24, v32
	s_movk_i32 s8, 0x80
	v_cmp_ne_u32_e32 vcc, s8, v30
	v_mov_b32_e32 v52, 0xffff8000
	s_and_saveexec_b64 s[8:9], vcc
	s_cbranch_execz .LBB885_82
; %bb.79:
	v_bfe_u32 v32, v32, 24, 7
	s_movk_i32 s10, 0x7f
	v_cmp_ne_u32_e32 vcc, s10, v32
	v_mov_b32_e32 v52, 0x7f80
	s_and_saveexec_b64 s[10:11], vcc
	s_cbranch_execz .LBB885_81
; %bb.80:
	v_and_b32_e32 v52, 7, v30
	v_ffbh_u32_e32 v54, v52
	v_min_u32_e32 v57, 32, v54
	v_subrev_u32_e32 v54, 28, v57
	v_lshlrev_b64 v[54:55], v54, v[30:31]
	v_lshrrev_b32_e32 v56, 3, v32
	v_sub_u32_e32 v55, 29, v57
	v_and_b32_e32 v54, 7, v54
	v_cmp_gt_u32_e32 vcc, 8, v32
	v_cndmask_b32_e32 v32, v56, v55, vcc
	v_cndmask_b32_e32 v52, v52, v54, vcc
	v_lshlrev_b32_e32 v30, 24, v30
	v_bfrev_b32_e32 v54, 60
	v_lshlrev_b32_e32 v52, 20, v52
	v_and_b32_e32 v30, 0x80000000, v30
	v_lshl_add_u32 v32, v32, 23, v54
	v_or3_b32 v30, v30, v32, v52
	v_lshrrev_b32_e32 v52, 16, v30
.LBB885_81:
	s_or_b64 exec, exec, s[10:11]
.LBB885_82:
	s_or_b64 exec, exec, s[8:9]
.LBB885_83:
	s_or_b64 exec, exec, s[2:3]
	v_mov_b32_e32 v32, 0
	v_cmp_ne_u16_sdwa s[8:9], v33, v32 src0_sel:BYTE_0 src1_sel:DWORD
	v_mov_b32_e32 v54, 0
	s_and_saveexec_b64 s[2:3], s[8:9]
	s_cbranch_execz .LBB885_89
; %bb.84:
	s_movk_i32 s8, 0x80
	v_cmp_ne_u16_sdwa s[10:11], v33, s8 src0_sel:BYTE_0 src1_sel:DWORD
	v_mov_b32_e32 v54, 0xffff8000
	s_and_saveexec_b64 s[8:9], s[10:11]
	s_cbranch_execz .LBB885_88
; %bb.85:
	s_movk_i32 s10, 0x7f
	v_and_b32_e32 v30, 0x7f, v33
	v_cmp_ne_u32_e32 vcc, s10, v30
	v_mov_b32_e32 v54, 0x7f80
	s_and_saveexec_b64 s[10:11], vcc
	s_cbranch_execz .LBB885_87
; %bb.86:
	v_and_b32_e32 v56, 7, v33
	v_ffbh_u32_e32 v55, v56
	v_min_u32_e32 v58, 32, v55
	v_mov_b32_e32 v54, v33
	v_subrev_u32_e32 v55, 28, v58
	v_lshlrev_b64 v[54:55], v55, v[54:55]
	v_lshrrev_b32_e32 v57, 3, v30
	v_sub_u32_e32 v55, 29, v58
	v_and_b32_e32 v54, 7, v54
	v_cmp_gt_u32_e32 vcc, 8, v30
	v_cndmask_b32_e32 v30, v57, v55, vcc
	v_cndmask_b32_e32 v54, v56, v54, vcc
	v_lshlrev_b32_e32 v55, 24, v33
	v_bfrev_b32_e32 v56, 60
	v_lshlrev_b32_e32 v54, 20, v54
	v_and_b32_e32 v55, 0x80000000, v55
	v_lshl_add_u32 v30, v30, 23, v56
	v_or3_b32 v30, v55, v30, v54
	v_lshrrev_b32_e32 v54, 16, v30
.LBB885_87:
	s_or_b64 exec, exec, s[10:11]
.LBB885_88:
	s_or_b64 exec, exec, s[8:9]
.LBB885_89:
	s_or_b64 exec, exec, s[2:3]
	v_lshrrev_b16_e32 v30, 8, v33
	v_cmp_ne_u16_e32 vcc, 0, v30
	s_and_saveexec_b64 s[2:3], vcc
	s_cbranch_execz .LBB885_95
; %bb.90:
	s_movk_i32 s8, 0x80
	v_cmp_ne_u16_e32 vcc, s8, v30
	v_mov_b32_e32 v32, 0xffff8000
	s_and_saveexec_b64 s[8:9], vcc
	s_cbranch_execz .LBB885_94
; %bb.91:
	s_movk_i32 s10, 0x7f
	v_and_b32_e32 v55, 0x7f, v30
	v_cmp_ne_u32_e32 vcc, s10, v55
	v_mov_b32_e32 v32, 0x7f80
	s_and_saveexec_b64 s[10:11], vcc
	s_cbranch_execz .LBB885_93
; %bb.92:
	v_and_b32_e32 v32, 7, v30
	v_ffbh_u32_e32 v56, v32
	v_min_u32_e32 v59, 32, v56
	v_subrev_u32_e32 v56, 28, v59
	v_lshlrev_b64 v[56:57], v56, v[30:31]
	v_lshrrev_b32_e32 v58, 3, v55
	v_sub_u32_e32 v30, 29, v59
	v_and_b32_e32 v56, 7, v56
	v_cmp_gt_u32_e32 vcc, 8, v55
	v_cndmask_b32_e32 v30, v58, v30, vcc
	v_cndmask_b32_e32 v32, v32, v56, vcc
	v_lshlrev_b32_e32 v55, 16, v33
	v_bfrev_b32_e32 v56, 60
	v_lshlrev_b32_e32 v32, 20, v32
	v_and_b32_e32 v55, 0x80000000, v55
	v_lshl_add_u32 v30, v30, 23, v56
	v_or3_b32 v30, v55, v30, v32
	v_lshrrev_b32_e32 v32, 16, v30
.LBB885_93:
	s_or_b64 exec, exec, s[10:11]
.LBB885_94:
	s_or_b64 exec, exec, s[8:9]
.LBB885_95:
	s_or_b64 exec, exec, s[2:3]
	s_movk_i32 s2, 0xff
	v_and_b32_sdwa v57, v33, s2 dst_sel:DWORD dst_unused:UNUSED_PAD src0_sel:WORD_1 src1_sel:DWORD
	v_lshrrev_b32_e32 v30, 16, v33
	v_cmp_ne_u16_e32 vcc, 0, v57
	v_mov_b32_e32 v55, 0
	v_mov_b32_e32 v56, 0
	s_and_saveexec_b64 s[2:3], vcc
	s_cbranch_execz .LBB885_101
; %bb.96:
	s_movk_i32 s8, 0x80
	v_cmp_ne_u16_e32 vcc, s8, v57
	v_mov_b32_e32 v56, 0xffff8000
	s_and_saveexec_b64 s[8:9], vcc
	s_cbranch_execz .LBB885_100
; %bb.97:
	v_bfe_u32 v57, v33, 16, 7
	s_movk_i32 s10, 0x7f
	v_cmp_ne_u32_e32 vcc, s10, v57
	v_mov_b32_e32 v56, 0x7f80
	s_and_saveexec_b64 s[10:11], vcc
	s_cbranch_execz .LBB885_99
; %bb.98:
	v_and_b32_e32 v56, 7, v30
	v_ffbh_u32_e32 v58, v56
	v_min_u32_e32 v61, 32, v58
	v_subrev_u32_e32 v58, 28, v61
	v_lshlrev_b64 v[58:59], v58, v[30:31]
	v_lshrrev_b32_e32 v60, 3, v57
	v_sub_u32_e32 v30, 29, v61
	v_and_b32_e32 v58, 7, v58
	v_cmp_gt_u32_e32 vcc, 8, v57
	v_mov_b32_e32 v57, 24
	v_cndmask_b32_e32 v30, v60, v30, vcc
	v_cndmask_b32_e32 v56, v56, v58, vcc
	v_lshlrev_b32_sdwa v57, v57, v33 dst_sel:DWORD dst_unused:UNUSED_PAD src0_sel:DWORD src1_sel:WORD_1
	v_bfrev_b32_e32 v58, 60
	v_lshlrev_b32_e32 v56, 20, v56
	v_and_b32_e32 v57, 0x80000000, v57
	v_lshl_add_u32 v30, v30, 23, v58
	v_or3_b32 v30, v57, v30, v56
	v_lshrrev_b32_e32 v56, 16, v30
.LBB885_99:
	s_or_b64 exec, exec, s[10:11]
.LBB885_100:
	s_or_b64 exec, exec, s[8:9]
.LBB885_101:
	s_or_b64 exec, exec, s[2:3]
	s_mov_b32 s2, 0xffffff
	v_cmp_lt_u32_e32 vcc, s2, v33
	s_and_saveexec_b64 s[2:3], vcc
	s_cbranch_execz .LBB885_107
; %bb.102:
	v_lshrrev_b32_e32 v30, 24, v33
	s_movk_i32 s8, 0x80
	v_cmp_ne_u32_e32 vcc, s8, v30
	v_mov_b32_e32 v55, 0xffff8000
	s_and_saveexec_b64 s[8:9], vcc
	s_cbranch_execz .LBB885_106
; %bb.103:
	v_bfe_u32 v33, v33, 24, 7
	s_movk_i32 s10, 0x7f
	v_cmp_ne_u32_e32 vcc, s10, v33
	v_mov_b32_e32 v55, 0x7f80
	s_and_saveexec_b64 s[10:11], vcc
	s_cbranch_execz .LBB885_105
; %bb.104:
	v_and_b32_e32 v55, 7, v30
	v_ffbh_u32_e32 v58, v55
	v_min_u32_e32 v60, 32, v58
	v_subrev_u32_e32 v58, 28, v60
	v_lshlrev_b64 v[58:59], v58, v[30:31]
	v_lshrrev_b32_e32 v57, 3, v33
	v_sub_u32_e32 v59, 29, v60
	v_and_b32_e32 v58, 7, v58
	v_cmp_gt_u32_e32 vcc, 8, v33
	v_cndmask_b32_e32 v33, v57, v59, vcc
	v_cndmask_b32_e32 v55, v55, v58, vcc
	v_lshlrev_b32_e32 v30, 24, v30
	v_bfrev_b32_e32 v57, 60
	v_lshlrev_b32_e32 v55, 20, v55
	v_and_b32_e32 v30, 0x80000000, v30
	v_lshl_add_u32 v33, v33, 23, v57
	v_or3_b32 v30, v30, v33, v55
	v_lshrrev_b32_e32 v55, 16, v30
.LBB885_105:
	s_or_b64 exec, exec, s[10:11]
.LBB885_106:
	s_or_b64 exec, exec, s[8:9]
.LBB885_107:
	s_or_b64 exec, exec, s[2:3]
	s_mov_b32 s2, 0x5040100
	v_perm_b32 v53, v52, v53, s2
	v_perm_b32 v52, v31, v51, s2
	;; [unrolled: 1-line block ×4, first 2 shown]
	v_mfma_f32_16x16x16bf16_1k v[58:61], v[52:53], v[18:19], v[42:45]
	s_nop 6
	v_mov_b32_e32 v43, 0
	s_waitcnt vmcnt(6)
	v_cmp_ne_u16_sdwa s[8:9], v38, v43 src0_sel:BYTE_0 src1_sel:DWORD
	v_mfma_f32_16x16x16bf16_1k v[30:33], v[30:31], v[20:21], v[58:61]
	v_mov_b32_e32 v44, 0
	s_and_saveexec_b64 s[2:3], s[8:9]
	s_cbranch_execz .LBB885_113
; %bb.108:
	s_movk_i32 s8, 0x80
	v_cmp_ne_u16_sdwa s[10:11], v38, s8 src0_sel:BYTE_0 src1_sel:DWORD
	v_mov_b32_e32 v44, 0xffff8000
	s_and_saveexec_b64 s[8:9], s[10:11]
	s_cbranch_execz .LBB885_112
; %bb.109:
	s_movk_i32 s10, 0x7f
	v_and_b32_e32 v42, 0x7f, v38
	v_cmp_ne_u32_e32 vcc, s10, v42
	v_mov_b32_e32 v44, 0x7f80
	s_and_saveexec_b64 s[10:11], vcc
	s_cbranch_execz .LBB885_111
; %bb.110:
	v_and_b32_e32 v51, 7, v38
	v_ffbh_u32_e32 v44, v51
	v_min_u32_e32 v53, 32, v44
	v_subrev_u32_e32 v44, 28, v53
	v_lshlrev_b64 v[44:45], v44, v[38:39]
	v_lshrrev_b32_e32 v52, 3, v42
	v_sub_u32_e32 v45, 29, v53
	v_and_b32_e32 v44, 7, v44
	v_cmp_gt_u32_e32 vcc, 8, v42
	v_cndmask_b32_e32 v42, v52, v45, vcc
	v_cndmask_b32_e32 v44, v51, v44, vcc
	v_lshlrev_b32_e32 v45, 24, v38
	v_bfrev_b32_e32 v51, 60
	v_lshlrev_b32_e32 v44, 20, v44
	v_and_b32_e32 v45, 0x80000000, v45
	v_lshl_add_u32 v42, v42, 23, v51
	v_or3_b32 v42, v45, v42, v44
	v_lshrrev_b32_e32 v44, 16, v42
.LBB885_111:
	s_or_b64 exec, exec, s[10:11]
.LBB885_112:
	s_or_b64 exec, exec, s[8:9]
.LBB885_113:
	s_or_b64 exec, exec, s[2:3]
	v_lshrrev_b16_e32 v42, 8, v38
	v_cmp_ne_u16_e32 vcc, 0, v42
	s_and_saveexec_b64 s[2:3], vcc
	s_cbranch_execz .LBB885_119
; %bb.114:
	s_movk_i32 s8, 0x80
	v_cmp_ne_u16_e32 vcc, s8, v42
	v_mov_b32_e32 v43, 0xffff8000
	s_and_saveexec_b64 s[8:9], vcc
	s_cbranch_execz .LBB885_118
; %bb.115:
	s_movk_i32 s10, 0x7f
	v_and_b32_e32 v45, 0x7f, v42
	v_cmp_ne_u32_e32 vcc, s10, v45
	v_mov_b32_e32 v43, 0x7f80
	s_and_saveexec_b64 s[10:11], vcc
	s_cbranch_execz .LBB885_117
; %bb.116:
	v_and_b32_e32 v51, 7, v42
	v_ffbh_u32_e32 v43, v51
	v_min_u32_e32 v53, 32, v43
	v_subrev_u32_e32 v43, 28, v53
	v_lshlrev_b64 v[42:43], v43, v[42:43]
	v_lshrrev_b32_e32 v52, 3, v45
	v_sub_u32_e32 v43, 29, v53
	v_and_b32_e32 v42, 7, v42
	v_cmp_gt_u32_e32 vcc, 8, v45
	v_cndmask_b32_e32 v43, v52, v43, vcc
	v_cndmask_b32_e32 v42, v51, v42, vcc
	v_lshlrev_b32_e32 v45, 16, v38
	v_bfrev_b32_e32 v51, 60
	v_lshlrev_b32_e32 v42, 20, v42
	v_and_b32_e32 v45, 0x80000000, v45
	v_lshl_add_u32 v43, v43, 23, v51
	v_or3_b32 v42, v45, v43, v42
	v_lshrrev_b32_e32 v43, 16, v42
.LBB885_117:
	s_or_b64 exec, exec, s[10:11]
.LBB885_118:
	s_or_b64 exec, exec, s[8:9]
.LBB885_119:
	s_or_b64 exec, exec, s[2:3]
	s_movk_i32 s2, 0xff
	v_and_b32_sdwa v52, v38, s2 dst_sel:DWORD dst_unused:UNUSED_PAD src0_sel:WORD_1 src1_sel:DWORD
	v_lshrrev_b32_e32 v42, 16, v38
	v_cmp_ne_u16_e32 vcc, 0, v52
	v_mov_b32_e32 v45, 0
	v_mov_b32_e32 v51, 0
	s_and_saveexec_b64 s[2:3], vcc
	s_cbranch_execz .LBB885_125
; %bb.120:
	s_movk_i32 s8, 0x80
	v_cmp_ne_u16_e32 vcc, s8, v52
	v_mov_b32_e32 v51, 0xffff8000
	s_and_saveexec_b64 s[8:9], vcc
	s_cbranch_execz .LBB885_124
; %bb.121:
	v_bfe_u32 v52, v38, 16, 7
	s_movk_i32 s10, 0x7f
	v_cmp_ne_u32_e32 vcc, s10, v52
	v_mov_b32_e32 v51, 0x7f80
	s_and_saveexec_b64 s[10:11], vcc
	s_cbranch_execz .LBB885_123
; %bb.122:
	v_and_b32_e32 v51, 7, v42
	v_ffbh_u32_e32 v54, v51
	v_min_u32_e32 v56, 32, v54
	v_subrev_u32_e32 v54, 28, v56
	v_lshlrev_b64 v[54:55], v54, v[42:43]
	v_lshrrev_b32_e32 v53, 3, v52
	v_sub_u32_e32 v42, 29, v56
	v_and_b32_e32 v54, 7, v54
	v_cmp_gt_u32_e32 vcc, 8, v52
	v_mov_b32_e32 v52, 24
	v_cndmask_b32_e32 v42, v53, v42, vcc
	v_cndmask_b32_e32 v51, v51, v54, vcc
	v_lshlrev_b32_sdwa v52, v52, v38 dst_sel:DWORD dst_unused:UNUSED_PAD src0_sel:DWORD src1_sel:WORD_1
	v_bfrev_b32_e32 v53, 60
	v_lshlrev_b32_e32 v51, 20, v51
	v_and_b32_e32 v52, 0x80000000, v52
	v_lshl_add_u32 v42, v42, 23, v53
	v_or3_b32 v42, v52, v42, v51
	v_lshrrev_b32_e32 v51, 16, v42
.LBB885_123:
	s_or_b64 exec, exec, s[10:11]
.LBB885_124:
	s_or_b64 exec, exec, s[8:9]
.LBB885_125:
	s_or_b64 exec, exec, s[2:3]
	s_mov_b32 s2, 0xffffff
	v_cmp_lt_u32_e32 vcc, s2, v38
	s_and_saveexec_b64 s[2:3], vcc
	s_cbranch_execz .LBB885_131
; %bb.126:
	v_lshrrev_b32_e32 v42, 24, v38
	s_movk_i32 s8, 0x80
	v_cmp_ne_u32_e32 vcc, s8, v42
	v_mov_b32_e32 v45, 0xffff8000
	s_and_saveexec_b64 s[8:9], vcc
	s_cbranch_execz .LBB885_130
; %bb.127:
	v_bfe_u32 v38, v38, 24, 7
	s_movk_i32 s10, 0x7f
	v_cmp_ne_u32_e32 vcc, s10, v38
	v_mov_b32_e32 v45, 0x7f80
	s_and_saveexec_b64 s[10:11], vcc
	s_cbranch_execz .LBB885_129
; %bb.128:
	v_and_b32_e32 v45, 7, v42
	v_ffbh_u32_e32 v52, v45
	v_min_u32_e32 v55, 32, v52
	v_subrev_u32_e32 v52, 28, v55
	v_lshlrev_b64 v[52:53], v52, v[42:43]
	v_lshrrev_b32_e32 v54, 3, v38
	v_sub_u32_e32 v53, 29, v55
	v_and_b32_e32 v52, 7, v52
	v_cmp_gt_u32_e32 vcc, 8, v38
	v_cndmask_b32_e32 v38, v54, v53, vcc
	v_cndmask_b32_e32 v45, v45, v52, vcc
	v_lshlrev_b32_e32 v42, 24, v42
	v_bfrev_b32_e32 v52, 60
	v_lshlrev_b32_e32 v45, 20, v45
	v_and_b32_e32 v42, 0x80000000, v42
	v_lshl_add_u32 v38, v38, 23, v52
	v_or3_b32 v38, v42, v38, v45
	v_lshrrev_b32_e32 v45, 16, v38
.LBB885_129:
	s_or_b64 exec, exec, s[10:11]
.LBB885_130:
	s_or_b64 exec, exec, s[8:9]
.LBB885_131:
	s_or_b64 exec, exec, s[2:3]
	v_mov_b32_e32 v42, 0
	v_cmp_ne_u16_sdwa s[8:9], v39, v42 src0_sel:BYTE_0 src1_sel:DWORD
	v_mov_b32_e32 v52, 0
	s_and_saveexec_b64 s[2:3], s[8:9]
	s_cbranch_execz .LBB885_137
; %bb.132:
	s_movk_i32 s8, 0x80
	v_cmp_ne_u16_sdwa s[10:11], v39, s8 src0_sel:BYTE_0 src1_sel:DWORD
	v_mov_b32_e32 v52, 0xffff8000
	s_and_saveexec_b64 s[8:9], s[10:11]
	s_cbranch_execz .LBB885_136
; %bb.133:
	s_movk_i32 s10, 0x7f
	v_and_b32_e32 v38, 0x7f, v39
	v_cmp_ne_u32_e32 vcc, s10, v38
	v_mov_b32_e32 v52, 0x7f80
	s_and_saveexec_b64 s[10:11], vcc
	s_cbranch_execz .LBB885_135
; %bb.134:
	v_and_b32_e32 v54, 7, v39
	v_ffbh_u32_e32 v53, v54
	v_min_u32_e32 v56, 32, v53
	v_mov_b32_e32 v52, v39
	v_subrev_u32_e32 v53, 28, v56
	v_lshlrev_b64 v[52:53], v53, v[52:53]
	v_lshrrev_b32_e32 v55, 3, v38
	v_sub_u32_e32 v53, 29, v56
	v_and_b32_e32 v52, 7, v52
	v_cmp_gt_u32_e32 vcc, 8, v38
	v_cndmask_b32_e32 v38, v55, v53, vcc
	v_cndmask_b32_e32 v52, v54, v52, vcc
	v_lshlrev_b32_e32 v53, 24, v39
	v_bfrev_b32_e32 v54, 60
	v_lshlrev_b32_e32 v52, 20, v52
	v_and_b32_e32 v53, 0x80000000, v53
	v_lshl_add_u32 v38, v38, 23, v54
	v_or3_b32 v38, v53, v38, v52
	v_lshrrev_b32_e32 v52, 16, v38
.LBB885_135:
	s_or_b64 exec, exec, s[10:11]
.LBB885_136:
	s_or_b64 exec, exec, s[8:9]
.LBB885_137:
	s_or_b64 exec, exec, s[2:3]
	v_lshrrev_b16_e32 v38, 8, v39
	v_cmp_ne_u16_e32 vcc, 0, v38
	s_and_saveexec_b64 s[2:3], vcc
	s_cbranch_execz .LBB885_143
; %bb.138:
	s_movk_i32 s8, 0x80
	v_cmp_ne_u16_e32 vcc, s8, v38
	v_mov_b32_e32 v42, 0xffff8000
	s_and_saveexec_b64 s[8:9], vcc
	s_cbranch_execz .LBB885_142
; %bb.139:
	s_movk_i32 s10, 0x7f
	v_and_b32_e32 v53, 0x7f, v38
	v_cmp_ne_u32_e32 vcc, s10, v53
	v_mov_b32_e32 v42, 0x7f80
	s_and_saveexec_b64 s[10:11], vcc
	s_cbranch_execz .LBB885_141
; %bb.140:
	v_and_b32_e32 v42, 7, v38
	v_ffbh_u32_e32 v54, v42
	v_min_u32_e32 v57, 32, v54
	v_subrev_u32_e32 v54, 28, v57
	v_lshlrev_b64 v[54:55], v54, v[38:39]
	v_lshrrev_b32_e32 v56, 3, v53
	v_sub_u32_e32 v38, 29, v57
	v_and_b32_e32 v54, 7, v54
	v_cmp_gt_u32_e32 vcc, 8, v53
	v_cndmask_b32_e32 v38, v56, v38, vcc
	v_cndmask_b32_e32 v42, v42, v54, vcc
	v_lshlrev_b32_e32 v53, 16, v39
	v_bfrev_b32_e32 v54, 60
	v_lshlrev_b32_e32 v42, 20, v42
	v_and_b32_e32 v53, 0x80000000, v53
	v_lshl_add_u32 v38, v38, 23, v54
	v_or3_b32 v38, v53, v38, v42
	v_lshrrev_b32_e32 v42, 16, v38
.LBB885_141:
	s_or_b64 exec, exec, s[10:11]
.LBB885_142:
	s_or_b64 exec, exec, s[8:9]
.LBB885_143:
	s_or_b64 exec, exec, s[2:3]
	s_movk_i32 s2, 0xff
	v_and_b32_sdwa v55, v39, s2 dst_sel:DWORD dst_unused:UNUSED_PAD src0_sel:WORD_1 src1_sel:DWORD
	v_lshrrev_b32_e32 v38, 16, v39
	v_cmp_ne_u16_e32 vcc, 0, v55
	v_mov_b32_e32 v53, 0
	v_mov_b32_e32 v54, 0
	s_and_saveexec_b64 s[2:3], vcc
	s_cbranch_execz .LBB885_149
; %bb.144:
	s_movk_i32 s8, 0x80
	v_cmp_ne_u16_e32 vcc, s8, v55
	v_mov_b32_e32 v54, 0xffff8000
	s_and_saveexec_b64 s[8:9], vcc
	s_cbranch_execz .LBB885_148
; %bb.145:
	v_bfe_u32 v55, v39, 16, 7
	s_movk_i32 s10, 0x7f
	v_cmp_ne_u32_e32 vcc, s10, v55
	v_mov_b32_e32 v54, 0x7f80
	s_and_saveexec_b64 s[10:11], vcc
	s_cbranch_execz .LBB885_147
; %bb.146:
	v_and_b32_e32 v54, 7, v38
	v_ffbh_u32_e32 v56, v54
	v_min_u32_e32 v59, 32, v56
	v_subrev_u32_e32 v56, 28, v59
	v_lshlrev_b64 v[56:57], v56, v[38:39]
	v_lshrrev_b32_e32 v58, 3, v55
	v_sub_u32_e32 v38, 29, v59
	v_and_b32_e32 v56, 7, v56
	v_cmp_gt_u32_e32 vcc, 8, v55
	v_mov_b32_e32 v55, 24
	v_cndmask_b32_e32 v38, v58, v38, vcc
	v_cndmask_b32_e32 v54, v54, v56, vcc
	v_lshlrev_b32_sdwa v55, v55, v39 dst_sel:DWORD dst_unused:UNUSED_PAD src0_sel:DWORD src1_sel:WORD_1
	v_bfrev_b32_e32 v56, 60
	v_lshlrev_b32_e32 v54, 20, v54
	v_and_b32_e32 v55, 0x80000000, v55
	v_lshl_add_u32 v38, v38, 23, v56
	v_or3_b32 v38, v55, v38, v54
	v_lshrrev_b32_e32 v54, 16, v38
.LBB885_147:
	s_or_b64 exec, exec, s[10:11]
.LBB885_148:
	s_or_b64 exec, exec, s[8:9]
.LBB885_149:
	s_or_b64 exec, exec, s[2:3]
	s_mov_b32 s2, 0xffffff
	v_cmp_lt_u32_e32 vcc, s2, v39
	s_and_saveexec_b64 s[2:3], vcc
	s_cbranch_execz .LBB885_155
; %bb.150:
	v_lshrrev_b32_e32 v38, 24, v39
	s_movk_i32 s8, 0x80
	v_cmp_ne_u32_e32 vcc, s8, v38
	v_mov_b32_e32 v53, 0xffff8000
	s_and_saveexec_b64 s[8:9], vcc
	s_cbranch_execz .LBB885_154
; %bb.151:
	v_bfe_u32 v39, v39, 24, 7
	s_movk_i32 s10, 0x7f
	v_cmp_ne_u32_e32 vcc, s10, v39
	v_mov_b32_e32 v53, 0x7f80
	s_and_saveexec_b64 s[10:11], vcc
	s_cbranch_execz .LBB885_153
; %bb.152:
	v_and_b32_e32 v53, 7, v38
	v_ffbh_u32_e32 v56, v53
	v_min_u32_e32 v58, 32, v56
	v_subrev_u32_e32 v56, 28, v58
	v_lshlrev_b64 v[56:57], v56, v[38:39]
	v_lshrrev_b32_e32 v55, 3, v39
	v_sub_u32_e32 v57, 29, v58
	v_and_b32_e32 v56, 7, v56
	v_cmp_gt_u32_e32 vcc, 8, v39
	v_cndmask_b32_e32 v39, v55, v57, vcc
	v_cndmask_b32_e32 v53, v53, v56, vcc
	v_lshlrev_b32_e32 v38, 24, v38
	v_bfrev_b32_e32 v55, 60
	v_lshlrev_b32_e32 v53, 20, v53
	v_and_b32_e32 v38, 0x80000000, v38
	v_lshl_add_u32 v39, v39, 23, v55
	v_or3_b32 v38, v38, v39, v53
	v_lshrrev_b32_e32 v53, 16, v38
.LBB885_153:
	s_or_b64 exec, exec, s[10:11]
.LBB885_154:
	s_or_b64 exec, exec, s[8:9]
.LBB885_155:
	s_or_b64 exec, exec, s[2:3]
	s_mov_b32 s2, 0x5040100
	v_perm_b32 v39, v45, v51, s2
	v_perm_b32 v38, v43, v44, s2
	;; [unrolled: 1-line block ×4, first 2 shown]
	v_mov_b32_e32 v51, 0
	v_mfma_f32_16x16x16bf16_1k v[56:59], v[38:39], v[26:27], 0
	v_mov_b32_e32 v39, 0
	v_cmp_ne_u16_sdwa s[8:9], v40, v39 src0_sel:BYTE_0 src1_sel:DWORD
	v_mfma_f32_16x16x16bf16_1k v[42:45], v[42:43], v[28:29], v[56:59]
	s_and_saveexec_b64 s[2:3], s[8:9]
	s_cbranch_execz .LBB885_161
; %bb.156:
	s_movk_i32 s8, 0x80
	v_cmp_ne_u16_sdwa s[10:11], v40, s8 src0_sel:BYTE_0 src1_sel:DWORD
	v_mov_b32_e32 v51, 0xffff8000
	s_and_saveexec_b64 s[8:9], s[10:11]
	s_cbranch_execz .LBB885_160
; %bb.157:
	s_movk_i32 s10, 0x7f
	v_and_b32_e32 v38, 0x7f, v40
	v_cmp_ne_u32_e32 vcc, s10, v38
	v_mov_b32_e32 v51, 0x7f80
	s_and_saveexec_b64 s[10:11], vcc
	s_cbranch_execz .LBB885_159
; %bb.158:
	v_and_b32_e32 v51, 7, v40
	v_ffbh_u32_e32 v52, v51
	v_min_u32_e32 v55, 32, v52
	v_subrev_u32_e32 v52, 28, v55
	v_lshlrev_b64 v[52:53], v52, v[40:41]
	v_lshrrev_b32_e32 v54, 3, v38
	v_sub_u32_e32 v53, 29, v55
	v_and_b32_e32 v52, 7, v52
	v_cmp_gt_u32_e32 vcc, 8, v38
	v_cndmask_b32_e32 v38, v54, v53, vcc
	v_cndmask_b32_e32 v51, v51, v52, vcc
	v_lshlrev_b32_e32 v52, 24, v40
	v_bfrev_b32_e32 v53, 60
	v_lshlrev_b32_e32 v51, 20, v51
	v_and_b32_e32 v52, 0x80000000, v52
	v_lshl_add_u32 v38, v38, 23, v53
	v_or3_b32 v38, v52, v38, v51
	v_lshrrev_b32_e32 v51, 16, v38
.LBB885_159:
	s_or_b64 exec, exec, s[10:11]
.LBB885_160:
	s_or_b64 exec, exec, s[8:9]
.LBB885_161:
	s_or_b64 exec, exec, s[2:3]
	v_lshrrev_b16_e32 v38, 8, v40
	v_cmp_ne_u16_e32 vcc, 0, v38
	s_and_saveexec_b64 s[2:3], vcc
	s_cbranch_execz .LBB885_167
; %bb.162:
	s_movk_i32 s8, 0x80
	v_cmp_ne_u16_e32 vcc, s8, v38
	v_mov_b32_e32 v39, 0xffff8000
	s_and_saveexec_b64 s[8:9], vcc
	s_cbranch_execz .LBB885_166
; %bb.163:
	s_movk_i32 s10, 0x7f
	v_and_b32_e32 v52, 0x7f, v38
	v_cmp_ne_u32_e32 vcc, s10, v52
	v_mov_b32_e32 v39, 0x7f80
	s_and_saveexec_b64 s[10:11], vcc
	s_cbranch_execz .LBB885_165
; %bb.164:
	v_and_b32_e32 v53, 7, v38
	v_ffbh_u32_e32 v39, v53
	v_min_u32_e32 v55, 32, v39
	v_subrev_u32_e32 v39, 28, v55
	v_lshlrev_b64 v[38:39], v39, v[38:39]
	v_lshrrev_b32_e32 v54, 3, v52
	v_sub_u32_e32 v39, 29, v55
	v_and_b32_e32 v38, 7, v38
	v_cmp_gt_u32_e32 vcc, 8, v52
	v_cndmask_b32_e32 v39, v54, v39, vcc
	v_cndmask_b32_e32 v38, v53, v38, vcc
	v_lshlrev_b32_e32 v52, 16, v40
	v_bfrev_b32_e32 v53, 60
	v_lshlrev_b32_e32 v38, 20, v38
	v_and_b32_e32 v52, 0x80000000, v52
	v_lshl_add_u32 v39, v39, 23, v53
	v_or3_b32 v38, v52, v39, v38
	v_lshrrev_b32_e32 v39, 16, v38
.LBB885_165:
	s_or_b64 exec, exec, s[10:11]
.LBB885_166:
	s_or_b64 exec, exec, s[8:9]
.LBB885_167:
	s_or_b64 exec, exec, s[2:3]
	s_movk_i32 s2, 0xff
	v_and_b32_sdwa v54, v40, s2 dst_sel:DWORD dst_unused:UNUSED_PAD src0_sel:WORD_1 src1_sel:DWORD
	v_lshrrev_b32_e32 v38, 16, v40
	v_cmp_ne_u16_e32 vcc, 0, v54
	v_mov_b32_e32 v52, 0
	v_mov_b32_e32 v53, 0
	s_and_saveexec_b64 s[2:3], vcc
	s_cbranch_execz .LBB885_173
; %bb.168:
	s_movk_i32 s8, 0x80
	v_cmp_ne_u16_e32 vcc, s8, v54
	v_mov_b32_e32 v53, 0xffff8000
	s_and_saveexec_b64 s[8:9], vcc
	s_cbranch_execz .LBB885_172
; %bb.169:
	v_bfe_u32 v54, v40, 16, 7
	s_movk_i32 s10, 0x7f
	v_cmp_ne_u32_e32 vcc, s10, v54
	v_mov_b32_e32 v53, 0x7f80
	s_and_saveexec_b64 s[10:11], vcc
	s_cbranch_execz .LBB885_171
; %bb.170:
	v_and_b32_e32 v53, 7, v38
	v_ffbh_u32_e32 v56, v53
	v_min_u32_e32 v58, 32, v56
	v_subrev_u32_e32 v56, 28, v58
	v_lshlrev_b64 v[56:57], v56, v[38:39]
	v_lshrrev_b32_e32 v55, 3, v54
	v_sub_u32_e32 v38, 29, v58
	v_and_b32_e32 v56, 7, v56
	v_cmp_gt_u32_e32 vcc, 8, v54
	v_mov_b32_e32 v54, 24
	v_cndmask_b32_e32 v38, v55, v38, vcc
	v_cndmask_b32_e32 v53, v53, v56, vcc
	v_lshlrev_b32_sdwa v54, v54, v40 dst_sel:DWORD dst_unused:UNUSED_PAD src0_sel:DWORD src1_sel:WORD_1
	v_bfrev_b32_e32 v55, 60
	v_lshlrev_b32_e32 v53, 20, v53
	v_and_b32_e32 v54, 0x80000000, v54
	v_lshl_add_u32 v38, v38, 23, v55
	v_or3_b32 v38, v54, v38, v53
	v_lshrrev_b32_e32 v53, 16, v38
.LBB885_171:
	s_or_b64 exec, exec, s[10:11]
.LBB885_172:
	s_or_b64 exec, exec, s[8:9]
.LBB885_173:
	s_or_b64 exec, exec, s[2:3]
	s_mov_b32 s2, 0xffffff
	v_cmp_lt_u32_e32 vcc, s2, v40
	s_and_saveexec_b64 s[2:3], vcc
	s_cbranch_execz .LBB885_179
; %bb.174:
	v_lshrrev_b32_e32 v38, 24, v40
	s_movk_i32 s8, 0x80
	v_cmp_ne_u32_e32 vcc, s8, v38
	v_mov_b32_e32 v52, 0xffff8000
	s_and_saveexec_b64 s[8:9], vcc
	s_cbranch_execz .LBB885_178
; %bb.175:
	v_bfe_u32 v40, v40, 24, 7
	s_movk_i32 s10, 0x7f
	v_cmp_ne_u32_e32 vcc, s10, v40
	v_mov_b32_e32 v52, 0x7f80
	s_and_saveexec_b64 s[10:11], vcc
	s_cbranch_execz .LBB885_177
; %bb.176:
	v_and_b32_e32 v52, 7, v38
	v_ffbh_u32_e32 v54, v52
	v_min_u32_e32 v57, 32, v54
	v_subrev_u32_e32 v54, 28, v57
	v_lshlrev_b64 v[54:55], v54, v[38:39]
	v_lshrrev_b32_e32 v56, 3, v40
	v_sub_u32_e32 v55, 29, v57
	v_and_b32_e32 v54, 7, v54
	v_cmp_gt_u32_e32 vcc, 8, v40
	v_cndmask_b32_e32 v40, v56, v55, vcc
	v_cndmask_b32_e32 v52, v52, v54, vcc
	v_lshlrev_b32_e32 v38, 24, v38
	v_bfrev_b32_e32 v54, 60
	v_lshlrev_b32_e32 v52, 20, v52
	v_and_b32_e32 v38, 0x80000000, v38
	v_lshl_add_u32 v40, v40, 23, v54
	v_or3_b32 v38, v38, v40, v52
	v_lshrrev_b32_e32 v52, 16, v38
.LBB885_177:
	s_or_b64 exec, exec, s[10:11]
.LBB885_178:
	s_or_b64 exec, exec, s[8:9]
.LBB885_179:
	s_or_b64 exec, exec, s[2:3]
	v_mov_b32_e32 v40, 0
	v_cmp_ne_u16_sdwa s[8:9], v41, v40 src0_sel:BYTE_0 src1_sel:DWORD
	v_mov_b32_e32 v54, 0
	s_and_saveexec_b64 s[2:3], s[8:9]
	s_cbranch_execz .LBB885_185
; %bb.180:
	s_movk_i32 s8, 0x80
	v_cmp_ne_u16_sdwa s[10:11], v41, s8 src0_sel:BYTE_0 src1_sel:DWORD
	v_mov_b32_e32 v54, 0xffff8000
	s_and_saveexec_b64 s[8:9], s[10:11]
	s_cbranch_execz .LBB885_184
; %bb.181:
	s_movk_i32 s10, 0x7f
	v_and_b32_e32 v38, 0x7f, v41
	v_cmp_ne_u32_e32 vcc, s10, v38
	v_mov_b32_e32 v54, 0x7f80
	s_and_saveexec_b64 s[10:11], vcc
	s_cbranch_execz .LBB885_183
; %bb.182:
	v_and_b32_e32 v56, 7, v41
	v_ffbh_u32_e32 v55, v56
	v_min_u32_e32 v58, 32, v55
	v_mov_b32_e32 v54, v41
	v_subrev_u32_e32 v55, 28, v58
	v_lshlrev_b64 v[54:55], v55, v[54:55]
	v_lshrrev_b32_e32 v57, 3, v38
	v_sub_u32_e32 v55, 29, v58
	v_and_b32_e32 v54, 7, v54
	v_cmp_gt_u32_e32 vcc, 8, v38
	v_cndmask_b32_e32 v38, v57, v55, vcc
	v_cndmask_b32_e32 v54, v56, v54, vcc
	v_lshlrev_b32_e32 v55, 24, v41
	v_bfrev_b32_e32 v56, 60
	v_lshlrev_b32_e32 v54, 20, v54
	v_and_b32_e32 v55, 0x80000000, v55
	v_lshl_add_u32 v38, v38, 23, v56
	v_or3_b32 v38, v55, v38, v54
	v_lshrrev_b32_e32 v54, 16, v38
.LBB885_183:
	s_or_b64 exec, exec, s[10:11]
.LBB885_184:
	s_or_b64 exec, exec, s[8:9]
.LBB885_185:
	s_or_b64 exec, exec, s[2:3]
	v_lshrrev_b16_e32 v38, 8, v41
	v_cmp_ne_u16_e32 vcc, 0, v38
	s_and_saveexec_b64 s[2:3], vcc
	s_cbranch_execz .LBB885_191
; %bb.186:
	s_movk_i32 s8, 0x80
	v_cmp_ne_u16_e32 vcc, s8, v38
	v_mov_b32_e32 v40, 0xffff8000
	s_and_saveexec_b64 s[8:9], vcc
	s_cbranch_execz .LBB885_190
; %bb.187:
	s_movk_i32 s10, 0x7f
	v_and_b32_e32 v55, 0x7f, v38
	v_cmp_ne_u32_e32 vcc, s10, v55
	v_mov_b32_e32 v40, 0x7f80
	s_and_saveexec_b64 s[10:11], vcc
	s_cbranch_execz .LBB885_189
; %bb.188:
	v_and_b32_e32 v40, 7, v38
	v_ffbh_u32_e32 v56, v40
	v_min_u32_e32 v59, 32, v56
	v_subrev_u32_e32 v56, 28, v59
	v_lshlrev_b64 v[56:57], v56, v[38:39]
	v_lshrrev_b32_e32 v58, 3, v55
	v_sub_u32_e32 v38, 29, v59
	v_and_b32_e32 v56, 7, v56
	v_cmp_gt_u32_e32 vcc, 8, v55
	v_cndmask_b32_e32 v38, v58, v38, vcc
	v_cndmask_b32_e32 v40, v40, v56, vcc
	v_lshlrev_b32_e32 v55, 16, v41
	v_bfrev_b32_e32 v56, 60
	v_lshlrev_b32_e32 v40, 20, v40
	v_and_b32_e32 v55, 0x80000000, v55
	v_lshl_add_u32 v38, v38, 23, v56
	v_or3_b32 v38, v55, v38, v40
	v_lshrrev_b32_e32 v40, 16, v38
.LBB885_189:
	s_or_b64 exec, exec, s[10:11]
.LBB885_190:
	s_or_b64 exec, exec, s[8:9]
.LBB885_191:
	s_or_b64 exec, exec, s[2:3]
	s_movk_i32 s2, 0xff
	v_and_b32_sdwa v57, v41, s2 dst_sel:DWORD dst_unused:UNUSED_PAD src0_sel:WORD_1 src1_sel:DWORD
	v_lshrrev_b32_e32 v38, 16, v41
	v_cmp_ne_u16_e32 vcc, 0, v57
	v_mov_b32_e32 v55, 0
	v_mov_b32_e32 v56, 0
	s_and_saveexec_b64 s[2:3], vcc
	s_cbranch_execz .LBB885_197
; %bb.192:
	s_movk_i32 s8, 0x80
	v_cmp_ne_u16_e32 vcc, s8, v57
	v_mov_b32_e32 v56, 0xffff8000
	s_and_saveexec_b64 s[8:9], vcc
	s_cbranch_execz .LBB885_196
; %bb.193:
	v_bfe_u32 v57, v41, 16, 7
	s_movk_i32 s10, 0x7f
	v_cmp_ne_u32_e32 vcc, s10, v57
	v_mov_b32_e32 v56, 0x7f80
	s_and_saveexec_b64 s[10:11], vcc
	s_cbranch_execz .LBB885_195
; %bb.194:
	v_and_b32_e32 v56, 7, v38
	v_ffbh_u32_e32 v58, v56
	v_min_u32_e32 v61, 32, v58
	v_subrev_u32_e32 v58, 28, v61
	v_lshlrev_b64 v[58:59], v58, v[38:39]
	v_lshrrev_b32_e32 v60, 3, v57
	v_sub_u32_e32 v38, 29, v61
	v_and_b32_e32 v58, 7, v58
	v_cmp_gt_u32_e32 vcc, 8, v57
	v_mov_b32_e32 v57, 24
	v_cndmask_b32_e32 v38, v60, v38, vcc
	v_cndmask_b32_e32 v56, v56, v58, vcc
	v_lshlrev_b32_sdwa v57, v57, v41 dst_sel:DWORD dst_unused:UNUSED_PAD src0_sel:DWORD src1_sel:WORD_1
	v_bfrev_b32_e32 v58, 60
	v_lshlrev_b32_e32 v56, 20, v56
	v_and_b32_e32 v57, 0x80000000, v57
	v_lshl_add_u32 v38, v38, 23, v58
	v_or3_b32 v38, v57, v38, v56
	v_lshrrev_b32_e32 v56, 16, v38
.LBB885_195:
	s_or_b64 exec, exec, s[10:11]
.LBB885_196:
	s_or_b64 exec, exec, s[8:9]
.LBB885_197:
	s_or_b64 exec, exec, s[2:3]
	s_mov_b32 s2, 0xffffff
	v_cmp_lt_u32_e32 vcc, s2, v41
	s_and_saveexec_b64 s[2:3], vcc
	s_cbranch_execz .LBB885_203
; %bb.198:
	v_lshrrev_b32_e32 v38, 24, v41
	s_movk_i32 s8, 0x80
	v_cmp_ne_u32_e32 vcc, s8, v38
	v_mov_b32_e32 v55, 0xffff8000
	s_and_saveexec_b64 s[8:9], vcc
	s_cbranch_execz .LBB885_202
; %bb.199:
	v_bfe_u32 v41, v41, 24, 7
	s_movk_i32 s10, 0x7f
	v_cmp_ne_u32_e32 vcc, s10, v41
	v_mov_b32_e32 v55, 0x7f80
	s_and_saveexec_b64 s[10:11], vcc
	s_cbranch_execz .LBB885_201
; %bb.200:
	v_and_b32_e32 v55, 7, v38
	v_ffbh_u32_e32 v58, v55
	v_min_u32_e32 v60, 32, v58
	v_subrev_u32_e32 v58, 28, v60
	v_lshlrev_b64 v[58:59], v58, v[38:39]
	v_lshrrev_b32_e32 v57, 3, v41
	v_sub_u32_e32 v59, 29, v60
	v_and_b32_e32 v58, 7, v58
	v_cmp_gt_u32_e32 vcc, 8, v41
	v_cndmask_b32_e32 v41, v57, v59, vcc
	v_cndmask_b32_e32 v55, v55, v58, vcc
	v_lshlrev_b32_e32 v38, 24, v38
	v_bfrev_b32_e32 v57, 60
	v_lshlrev_b32_e32 v55, 20, v55
	v_and_b32_e32 v38, 0x80000000, v38
	v_lshl_add_u32 v41, v41, 23, v57
	v_or3_b32 v38, v38, v41, v55
	v_lshrrev_b32_e32 v55, 16, v38
.LBB885_201:
	s_or_b64 exec, exec, s[10:11]
.LBB885_202:
	s_or_b64 exec, exec, s[8:9]
.LBB885_203:
	s_or_b64 exec, exec, s[2:3]
	s_mov_b32 s2, 0x5040100
	v_perm_b32 v53, v52, v53, s2
	v_perm_b32 v52, v39, v51, s2
	;; [unrolled: 1-line block ×4, first 2 shown]
	v_mfma_f32_16x16x16bf16_1k v[58:61], v[52:53], v[18:19], v[42:45]
	s_nop 6
	v_mov_b32_e32 v43, 0
	s_waitcnt vmcnt(5)
	v_cmp_ne_u16_sdwa s[8:9], v34, v43 src0_sel:BYTE_0 src1_sel:DWORD
	v_mfma_f32_16x16x16bf16_1k v[38:41], v[38:39], v[20:21], v[58:61]
	v_mov_b32_e32 v44, 0
	s_and_saveexec_b64 s[2:3], s[8:9]
	s_cbranch_execz .LBB885_209
; %bb.204:
	s_movk_i32 s8, 0x80
	v_cmp_ne_u16_sdwa s[10:11], v34, s8 src0_sel:BYTE_0 src1_sel:DWORD
	v_mov_b32_e32 v44, 0xffff8000
	s_and_saveexec_b64 s[8:9], s[10:11]
	s_cbranch_execz .LBB885_208
; %bb.205:
	s_movk_i32 s10, 0x7f
	v_and_b32_e32 v42, 0x7f, v34
	v_cmp_ne_u32_e32 vcc, s10, v42
	v_mov_b32_e32 v44, 0x7f80
	s_and_saveexec_b64 s[10:11], vcc
	s_cbranch_execz .LBB885_207
; %bb.206:
	v_and_b32_e32 v51, 7, v34
	v_ffbh_u32_e32 v44, v51
	v_min_u32_e32 v53, 32, v44
	v_subrev_u32_e32 v44, 28, v53
	v_lshlrev_b64 v[44:45], v44, v[34:35]
	v_lshrrev_b32_e32 v52, 3, v42
	v_sub_u32_e32 v45, 29, v53
	v_and_b32_e32 v44, 7, v44
	v_cmp_gt_u32_e32 vcc, 8, v42
	v_cndmask_b32_e32 v42, v52, v45, vcc
	v_cndmask_b32_e32 v44, v51, v44, vcc
	v_lshlrev_b32_e32 v45, 24, v34
	v_bfrev_b32_e32 v51, 60
	v_lshlrev_b32_e32 v44, 20, v44
	v_and_b32_e32 v45, 0x80000000, v45
	v_lshl_add_u32 v42, v42, 23, v51
	v_or3_b32 v42, v45, v42, v44
	v_lshrrev_b32_e32 v44, 16, v42
.LBB885_207:
	s_or_b64 exec, exec, s[10:11]
.LBB885_208:
	s_or_b64 exec, exec, s[8:9]
.LBB885_209:
	s_or_b64 exec, exec, s[2:3]
	v_lshrrev_b16_e32 v42, 8, v34
	v_cmp_ne_u16_e32 vcc, 0, v42
	s_and_saveexec_b64 s[2:3], vcc
	s_cbranch_execz .LBB885_215
; %bb.210:
	s_movk_i32 s8, 0x80
	v_cmp_ne_u16_e32 vcc, s8, v42
	v_mov_b32_e32 v43, 0xffff8000
	s_and_saveexec_b64 s[8:9], vcc
	s_cbranch_execz .LBB885_214
; %bb.211:
	s_movk_i32 s10, 0x7f
	v_and_b32_e32 v45, 0x7f, v42
	v_cmp_ne_u32_e32 vcc, s10, v45
	v_mov_b32_e32 v43, 0x7f80
	s_and_saveexec_b64 s[10:11], vcc
	s_cbranch_execz .LBB885_213
; %bb.212:
	v_and_b32_e32 v51, 7, v42
	v_ffbh_u32_e32 v43, v51
	v_min_u32_e32 v53, 32, v43
	v_subrev_u32_e32 v43, 28, v53
	v_lshlrev_b64 v[42:43], v43, v[42:43]
	v_lshrrev_b32_e32 v52, 3, v45
	v_sub_u32_e32 v43, 29, v53
	v_and_b32_e32 v42, 7, v42
	v_cmp_gt_u32_e32 vcc, 8, v45
	v_cndmask_b32_e32 v43, v52, v43, vcc
	v_cndmask_b32_e32 v42, v51, v42, vcc
	v_lshlrev_b32_e32 v45, 16, v34
	v_bfrev_b32_e32 v51, 60
	v_lshlrev_b32_e32 v42, 20, v42
	v_and_b32_e32 v45, 0x80000000, v45
	v_lshl_add_u32 v43, v43, 23, v51
	v_or3_b32 v42, v45, v43, v42
	v_lshrrev_b32_e32 v43, 16, v42
.LBB885_213:
	s_or_b64 exec, exec, s[10:11]
.LBB885_214:
	s_or_b64 exec, exec, s[8:9]
.LBB885_215:
	s_or_b64 exec, exec, s[2:3]
	s_movk_i32 s2, 0xff
	v_and_b32_sdwa v52, v34, s2 dst_sel:DWORD dst_unused:UNUSED_PAD src0_sel:WORD_1 src1_sel:DWORD
	v_lshrrev_b32_e32 v42, 16, v34
	v_cmp_ne_u16_e32 vcc, 0, v52
	v_mov_b32_e32 v45, 0
	v_mov_b32_e32 v51, 0
	s_and_saveexec_b64 s[2:3], vcc
	s_cbranch_execz .LBB885_221
; %bb.216:
	s_movk_i32 s8, 0x80
	v_cmp_ne_u16_e32 vcc, s8, v52
	v_mov_b32_e32 v51, 0xffff8000
	s_and_saveexec_b64 s[8:9], vcc
	s_cbranch_execz .LBB885_220
; %bb.217:
	v_bfe_u32 v52, v34, 16, 7
	s_movk_i32 s10, 0x7f
	v_cmp_ne_u32_e32 vcc, s10, v52
	v_mov_b32_e32 v51, 0x7f80
	s_and_saveexec_b64 s[10:11], vcc
	s_cbranch_execz .LBB885_219
; %bb.218:
	v_and_b32_e32 v51, 7, v42
	v_ffbh_u32_e32 v54, v51
	v_min_u32_e32 v56, 32, v54
	v_subrev_u32_e32 v54, 28, v56
	v_lshlrev_b64 v[54:55], v54, v[42:43]
	v_lshrrev_b32_e32 v53, 3, v52
	v_sub_u32_e32 v42, 29, v56
	v_and_b32_e32 v54, 7, v54
	v_cmp_gt_u32_e32 vcc, 8, v52
	v_mov_b32_e32 v52, 24
	v_cndmask_b32_e32 v42, v53, v42, vcc
	v_cndmask_b32_e32 v51, v51, v54, vcc
	v_lshlrev_b32_sdwa v52, v52, v34 dst_sel:DWORD dst_unused:UNUSED_PAD src0_sel:DWORD src1_sel:WORD_1
	v_bfrev_b32_e32 v53, 60
	v_lshlrev_b32_e32 v51, 20, v51
	v_and_b32_e32 v52, 0x80000000, v52
	v_lshl_add_u32 v42, v42, 23, v53
	v_or3_b32 v42, v52, v42, v51
	v_lshrrev_b32_e32 v51, 16, v42
.LBB885_219:
	s_or_b64 exec, exec, s[10:11]
.LBB885_220:
	s_or_b64 exec, exec, s[8:9]
.LBB885_221:
	s_or_b64 exec, exec, s[2:3]
	s_mov_b32 s2, 0xffffff
	v_cmp_lt_u32_e32 vcc, s2, v34
	s_and_saveexec_b64 s[2:3], vcc
	s_cbranch_execz .LBB885_227
; %bb.222:
	v_lshrrev_b32_e32 v42, 24, v34
	s_movk_i32 s8, 0x80
	v_cmp_ne_u32_e32 vcc, s8, v42
	v_mov_b32_e32 v45, 0xffff8000
	s_and_saveexec_b64 s[8:9], vcc
	s_cbranch_execz .LBB885_226
; %bb.223:
	v_bfe_u32 v34, v34, 24, 7
	s_movk_i32 s10, 0x7f
	v_cmp_ne_u32_e32 vcc, s10, v34
	v_mov_b32_e32 v45, 0x7f80
	s_and_saveexec_b64 s[10:11], vcc
	s_cbranch_execz .LBB885_225
; %bb.224:
	v_and_b32_e32 v45, 7, v42
	v_ffbh_u32_e32 v52, v45
	v_min_u32_e32 v55, 32, v52
	v_subrev_u32_e32 v52, 28, v55
	v_lshlrev_b64 v[52:53], v52, v[42:43]
	v_lshrrev_b32_e32 v54, 3, v34
	v_sub_u32_e32 v53, 29, v55
	v_and_b32_e32 v52, 7, v52
	v_cmp_gt_u32_e32 vcc, 8, v34
	v_cndmask_b32_e32 v34, v54, v53, vcc
	v_cndmask_b32_e32 v45, v45, v52, vcc
	v_lshlrev_b32_e32 v42, 24, v42
	v_bfrev_b32_e32 v52, 60
	v_lshlrev_b32_e32 v45, 20, v45
	v_and_b32_e32 v42, 0x80000000, v42
	v_lshl_add_u32 v34, v34, 23, v52
	v_or3_b32 v34, v42, v34, v45
	v_lshrrev_b32_e32 v45, 16, v34
.LBB885_225:
	s_or_b64 exec, exec, s[10:11]
.LBB885_226:
	s_or_b64 exec, exec, s[8:9]
.LBB885_227:
	s_or_b64 exec, exec, s[2:3]
	v_mov_b32_e32 v42, 0
	v_cmp_ne_u16_sdwa s[8:9], v35, v42 src0_sel:BYTE_0 src1_sel:DWORD
	v_mov_b32_e32 v52, 0
	s_and_saveexec_b64 s[2:3], s[8:9]
	s_cbranch_execz .LBB885_233
; %bb.228:
	s_movk_i32 s8, 0x80
	v_cmp_ne_u16_sdwa s[10:11], v35, s8 src0_sel:BYTE_0 src1_sel:DWORD
	v_mov_b32_e32 v52, 0xffff8000
	s_and_saveexec_b64 s[8:9], s[10:11]
	s_cbranch_execz .LBB885_232
; %bb.229:
	s_movk_i32 s10, 0x7f
	v_and_b32_e32 v34, 0x7f, v35
	v_cmp_ne_u32_e32 vcc, s10, v34
	v_mov_b32_e32 v52, 0x7f80
	s_and_saveexec_b64 s[10:11], vcc
	s_cbranch_execz .LBB885_231
; %bb.230:
	v_and_b32_e32 v54, 7, v35
	v_ffbh_u32_e32 v53, v54
	v_min_u32_e32 v56, 32, v53
	v_mov_b32_e32 v52, v35
	v_subrev_u32_e32 v53, 28, v56
	v_lshlrev_b64 v[52:53], v53, v[52:53]
	v_lshrrev_b32_e32 v55, 3, v34
	v_sub_u32_e32 v53, 29, v56
	v_and_b32_e32 v52, 7, v52
	v_cmp_gt_u32_e32 vcc, 8, v34
	v_cndmask_b32_e32 v34, v55, v53, vcc
	v_cndmask_b32_e32 v52, v54, v52, vcc
	v_lshlrev_b32_e32 v53, 24, v35
	v_bfrev_b32_e32 v54, 60
	v_lshlrev_b32_e32 v52, 20, v52
	v_and_b32_e32 v53, 0x80000000, v53
	v_lshl_add_u32 v34, v34, 23, v54
	v_or3_b32 v34, v53, v34, v52
	v_lshrrev_b32_e32 v52, 16, v34
.LBB885_231:
	s_or_b64 exec, exec, s[10:11]
.LBB885_232:
	s_or_b64 exec, exec, s[8:9]
.LBB885_233:
	s_or_b64 exec, exec, s[2:3]
	v_lshrrev_b16_e32 v34, 8, v35
	v_cmp_ne_u16_e32 vcc, 0, v34
	s_and_saveexec_b64 s[2:3], vcc
	s_cbranch_execz .LBB885_239
; %bb.234:
	s_movk_i32 s8, 0x80
	v_cmp_ne_u16_e32 vcc, s8, v34
	v_mov_b32_e32 v42, 0xffff8000
	s_and_saveexec_b64 s[8:9], vcc
	s_cbranch_execz .LBB885_238
; %bb.235:
	s_movk_i32 s10, 0x7f
	v_and_b32_e32 v53, 0x7f, v34
	v_cmp_ne_u32_e32 vcc, s10, v53
	v_mov_b32_e32 v42, 0x7f80
	s_and_saveexec_b64 s[10:11], vcc
	s_cbranch_execz .LBB885_237
; %bb.236:
	v_and_b32_e32 v42, 7, v34
	v_ffbh_u32_e32 v54, v42
	v_min_u32_e32 v57, 32, v54
	v_subrev_u32_e32 v54, 28, v57
	v_lshlrev_b64 v[54:55], v54, v[34:35]
	v_lshrrev_b32_e32 v56, 3, v53
	v_sub_u32_e32 v34, 29, v57
	v_and_b32_e32 v54, 7, v54
	v_cmp_gt_u32_e32 vcc, 8, v53
	v_cndmask_b32_e32 v34, v56, v34, vcc
	v_cndmask_b32_e32 v42, v42, v54, vcc
	v_lshlrev_b32_e32 v53, 16, v35
	v_bfrev_b32_e32 v54, 60
	v_lshlrev_b32_e32 v42, 20, v42
	v_and_b32_e32 v53, 0x80000000, v53
	v_lshl_add_u32 v34, v34, 23, v54
	v_or3_b32 v34, v53, v34, v42
	v_lshrrev_b32_e32 v42, 16, v34
.LBB885_237:
	s_or_b64 exec, exec, s[10:11]
.LBB885_238:
	s_or_b64 exec, exec, s[8:9]
.LBB885_239:
	s_or_b64 exec, exec, s[2:3]
	s_movk_i32 s2, 0xff
	v_and_b32_sdwa v55, v35, s2 dst_sel:DWORD dst_unused:UNUSED_PAD src0_sel:WORD_1 src1_sel:DWORD
	v_lshrrev_b32_e32 v34, 16, v35
	v_cmp_ne_u16_e32 vcc, 0, v55
	v_mov_b32_e32 v53, 0
	v_mov_b32_e32 v54, 0
	s_and_saveexec_b64 s[2:3], vcc
	s_cbranch_execz .LBB885_245
; %bb.240:
	s_movk_i32 s8, 0x80
	v_cmp_ne_u16_e32 vcc, s8, v55
	v_mov_b32_e32 v54, 0xffff8000
	s_and_saveexec_b64 s[8:9], vcc
	s_cbranch_execz .LBB885_244
; %bb.241:
	v_bfe_u32 v55, v35, 16, 7
	s_movk_i32 s10, 0x7f
	v_cmp_ne_u32_e32 vcc, s10, v55
	v_mov_b32_e32 v54, 0x7f80
	s_and_saveexec_b64 s[10:11], vcc
	s_cbranch_execz .LBB885_243
; %bb.242:
	v_and_b32_e32 v54, 7, v34
	v_ffbh_u32_e32 v56, v54
	v_min_u32_e32 v59, 32, v56
	v_subrev_u32_e32 v56, 28, v59
	v_lshlrev_b64 v[56:57], v56, v[34:35]
	v_lshrrev_b32_e32 v58, 3, v55
	v_sub_u32_e32 v34, 29, v59
	v_and_b32_e32 v56, 7, v56
	v_cmp_gt_u32_e32 vcc, 8, v55
	v_mov_b32_e32 v55, 24
	v_cndmask_b32_e32 v34, v58, v34, vcc
	v_cndmask_b32_e32 v54, v54, v56, vcc
	v_lshlrev_b32_sdwa v55, v55, v35 dst_sel:DWORD dst_unused:UNUSED_PAD src0_sel:DWORD src1_sel:WORD_1
	v_bfrev_b32_e32 v56, 60
	v_lshlrev_b32_e32 v54, 20, v54
	v_and_b32_e32 v55, 0x80000000, v55
	v_lshl_add_u32 v34, v34, 23, v56
	v_or3_b32 v34, v55, v34, v54
	v_lshrrev_b32_e32 v54, 16, v34
.LBB885_243:
	s_or_b64 exec, exec, s[10:11]
.LBB885_244:
	s_or_b64 exec, exec, s[8:9]
.LBB885_245:
	s_or_b64 exec, exec, s[2:3]
	s_mov_b32 s2, 0xffffff
	v_cmp_lt_u32_e32 vcc, s2, v35
	s_and_saveexec_b64 s[2:3], vcc
	s_cbranch_execz .LBB885_251
; %bb.246:
	v_lshrrev_b32_e32 v34, 24, v35
	s_movk_i32 s8, 0x80
	v_cmp_ne_u32_e32 vcc, s8, v34
	v_mov_b32_e32 v53, 0xffff8000
	s_and_saveexec_b64 s[8:9], vcc
	s_cbranch_execz .LBB885_250
; %bb.247:
	v_bfe_u32 v35, v35, 24, 7
	s_movk_i32 s10, 0x7f
	v_cmp_ne_u32_e32 vcc, s10, v35
	v_mov_b32_e32 v53, 0x7f80
	s_and_saveexec_b64 s[10:11], vcc
	s_cbranch_execz .LBB885_249
; %bb.248:
	v_and_b32_e32 v53, 7, v34
	v_ffbh_u32_e32 v56, v53
	v_min_u32_e32 v58, 32, v56
	v_subrev_u32_e32 v56, 28, v58
	v_lshlrev_b64 v[56:57], v56, v[34:35]
	v_lshrrev_b32_e32 v55, 3, v35
	v_sub_u32_e32 v57, 29, v58
	v_and_b32_e32 v56, 7, v56
	v_cmp_gt_u32_e32 vcc, 8, v35
	v_cndmask_b32_e32 v35, v55, v57, vcc
	v_cndmask_b32_e32 v53, v53, v56, vcc
	v_lshlrev_b32_e32 v34, 24, v34
	v_bfrev_b32_e32 v55, 60
	v_lshlrev_b32_e32 v53, 20, v53
	v_and_b32_e32 v34, 0x80000000, v34
	v_lshl_add_u32 v35, v35, 23, v55
	v_or3_b32 v34, v34, v35, v53
	v_lshrrev_b32_e32 v53, 16, v34
.LBB885_249:
	s_or_b64 exec, exec, s[10:11]
.LBB885_250:
	s_or_b64 exec, exec, s[8:9]
.LBB885_251:
	s_or_b64 exec, exec, s[2:3]
	s_mov_b32 s2, 0x5040100
	v_perm_b32 v35, v45, v51, s2
	v_perm_b32 v34, v43, v44, s2
	v_perm_b32 v43, v53, v54, s2
	v_perm_b32 v42, v42, v52, s2
	v_mov_b32_e32 v51, 0
	v_mfma_f32_16x16x16bf16_1k v[56:59], v[34:35], v[26:27], 0
	v_mov_b32_e32 v35, 0
	v_cmp_ne_u16_sdwa s[8:9], v36, v35 src0_sel:BYTE_0 src1_sel:DWORD
	v_mfma_f32_16x16x16bf16_1k v[42:45], v[42:43], v[28:29], v[56:59]
	s_and_saveexec_b64 s[2:3], s[8:9]
	s_cbranch_execz .LBB885_257
; %bb.252:
	s_movk_i32 s8, 0x80
	v_cmp_ne_u16_sdwa s[10:11], v36, s8 src0_sel:BYTE_0 src1_sel:DWORD
	v_mov_b32_e32 v51, 0xffff8000
	s_and_saveexec_b64 s[8:9], s[10:11]
	s_cbranch_execz .LBB885_256
; %bb.253:
	s_movk_i32 s10, 0x7f
	v_and_b32_e32 v34, 0x7f, v36
	v_cmp_ne_u32_e32 vcc, s10, v34
	v_mov_b32_e32 v51, 0x7f80
	s_and_saveexec_b64 s[10:11], vcc
	s_cbranch_execz .LBB885_255
; %bb.254:
	v_and_b32_e32 v51, 7, v36
	v_ffbh_u32_e32 v52, v51
	v_min_u32_e32 v55, 32, v52
	v_subrev_u32_e32 v52, 28, v55
	v_lshlrev_b64 v[52:53], v52, v[36:37]
	v_lshrrev_b32_e32 v54, 3, v34
	v_sub_u32_e32 v53, 29, v55
	v_and_b32_e32 v52, 7, v52
	v_cmp_gt_u32_e32 vcc, 8, v34
	v_cndmask_b32_e32 v34, v54, v53, vcc
	v_cndmask_b32_e32 v51, v51, v52, vcc
	v_lshlrev_b32_e32 v52, 24, v36
	v_bfrev_b32_e32 v53, 60
	v_lshlrev_b32_e32 v51, 20, v51
	v_and_b32_e32 v52, 0x80000000, v52
	v_lshl_add_u32 v34, v34, 23, v53
	v_or3_b32 v34, v52, v34, v51
	v_lshrrev_b32_e32 v51, 16, v34
.LBB885_255:
	s_or_b64 exec, exec, s[10:11]
.LBB885_256:
	s_or_b64 exec, exec, s[8:9]
.LBB885_257:
	s_or_b64 exec, exec, s[2:3]
	v_lshrrev_b16_e32 v34, 8, v36
	v_cmp_ne_u16_e32 vcc, 0, v34
	s_and_saveexec_b64 s[2:3], vcc
	s_cbranch_execz .LBB885_263
; %bb.258:
	s_movk_i32 s8, 0x80
	v_cmp_ne_u16_e32 vcc, s8, v34
	v_mov_b32_e32 v35, 0xffff8000
	s_and_saveexec_b64 s[8:9], vcc
	s_cbranch_execz .LBB885_262
; %bb.259:
	s_movk_i32 s10, 0x7f
	v_and_b32_e32 v52, 0x7f, v34
	v_cmp_ne_u32_e32 vcc, s10, v52
	v_mov_b32_e32 v35, 0x7f80
	s_and_saveexec_b64 s[10:11], vcc
	s_cbranch_execz .LBB885_261
; %bb.260:
	v_and_b32_e32 v53, 7, v34
	v_ffbh_u32_e32 v35, v53
	v_min_u32_e32 v55, 32, v35
	v_subrev_u32_e32 v35, 28, v55
	v_lshlrev_b64 v[34:35], v35, v[34:35]
	v_lshrrev_b32_e32 v54, 3, v52
	v_sub_u32_e32 v35, 29, v55
	v_and_b32_e32 v34, 7, v34
	v_cmp_gt_u32_e32 vcc, 8, v52
	v_cndmask_b32_e32 v35, v54, v35, vcc
	v_cndmask_b32_e32 v34, v53, v34, vcc
	v_lshlrev_b32_e32 v52, 16, v36
	v_bfrev_b32_e32 v53, 60
	v_lshlrev_b32_e32 v34, 20, v34
	v_and_b32_e32 v52, 0x80000000, v52
	v_lshl_add_u32 v35, v35, 23, v53
	v_or3_b32 v34, v52, v35, v34
	v_lshrrev_b32_e32 v35, 16, v34
.LBB885_261:
	s_or_b64 exec, exec, s[10:11]
.LBB885_262:
	s_or_b64 exec, exec, s[8:9]
.LBB885_263:
	s_or_b64 exec, exec, s[2:3]
	s_movk_i32 s2, 0xff
	v_and_b32_sdwa v54, v36, s2 dst_sel:DWORD dst_unused:UNUSED_PAD src0_sel:WORD_1 src1_sel:DWORD
	v_lshrrev_b32_e32 v34, 16, v36
	v_cmp_ne_u16_e32 vcc, 0, v54
	v_mov_b32_e32 v52, 0
	v_mov_b32_e32 v53, 0
	s_and_saveexec_b64 s[2:3], vcc
	s_cbranch_execz .LBB885_269
; %bb.264:
	s_movk_i32 s8, 0x80
	v_cmp_ne_u16_e32 vcc, s8, v54
	v_mov_b32_e32 v53, 0xffff8000
	s_and_saveexec_b64 s[8:9], vcc
	s_cbranch_execz .LBB885_268
; %bb.265:
	v_bfe_u32 v54, v36, 16, 7
	s_movk_i32 s10, 0x7f
	v_cmp_ne_u32_e32 vcc, s10, v54
	v_mov_b32_e32 v53, 0x7f80
	s_and_saveexec_b64 s[10:11], vcc
	s_cbranch_execz .LBB885_267
; %bb.266:
	v_and_b32_e32 v53, 7, v34
	v_ffbh_u32_e32 v56, v53
	v_min_u32_e32 v58, 32, v56
	v_subrev_u32_e32 v56, 28, v58
	v_lshlrev_b64 v[56:57], v56, v[34:35]
	v_lshrrev_b32_e32 v55, 3, v54
	v_sub_u32_e32 v34, 29, v58
	v_and_b32_e32 v56, 7, v56
	v_cmp_gt_u32_e32 vcc, 8, v54
	v_mov_b32_e32 v54, 24
	v_cndmask_b32_e32 v34, v55, v34, vcc
	v_cndmask_b32_e32 v53, v53, v56, vcc
	v_lshlrev_b32_sdwa v54, v54, v36 dst_sel:DWORD dst_unused:UNUSED_PAD src0_sel:DWORD src1_sel:WORD_1
	v_bfrev_b32_e32 v55, 60
	v_lshlrev_b32_e32 v53, 20, v53
	v_and_b32_e32 v54, 0x80000000, v54
	v_lshl_add_u32 v34, v34, 23, v55
	v_or3_b32 v34, v54, v34, v53
	v_lshrrev_b32_e32 v53, 16, v34
.LBB885_267:
	s_or_b64 exec, exec, s[10:11]
.LBB885_268:
	s_or_b64 exec, exec, s[8:9]
.LBB885_269:
	s_or_b64 exec, exec, s[2:3]
	s_mov_b32 s2, 0xffffff
	v_cmp_lt_u32_e32 vcc, s2, v36
	s_and_saveexec_b64 s[2:3], vcc
	s_cbranch_execz .LBB885_275
; %bb.270:
	v_lshrrev_b32_e32 v34, 24, v36
	s_movk_i32 s8, 0x80
	v_cmp_ne_u32_e32 vcc, s8, v34
	v_mov_b32_e32 v52, 0xffff8000
	s_and_saveexec_b64 s[8:9], vcc
	s_cbranch_execz .LBB885_274
; %bb.271:
	v_bfe_u32 v36, v36, 24, 7
	s_movk_i32 s10, 0x7f
	v_cmp_ne_u32_e32 vcc, s10, v36
	v_mov_b32_e32 v52, 0x7f80
	s_and_saveexec_b64 s[10:11], vcc
	s_cbranch_execz .LBB885_273
; %bb.272:
	v_and_b32_e32 v52, 7, v34
	v_ffbh_u32_e32 v54, v52
	v_min_u32_e32 v57, 32, v54
	v_subrev_u32_e32 v54, 28, v57
	v_lshlrev_b64 v[54:55], v54, v[34:35]
	v_lshrrev_b32_e32 v56, 3, v36
	v_sub_u32_e32 v55, 29, v57
	v_and_b32_e32 v54, 7, v54
	v_cmp_gt_u32_e32 vcc, 8, v36
	v_cndmask_b32_e32 v36, v56, v55, vcc
	v_cndmask_b32_e32 v52, v52, v54, vcc
	v_lshlrev_b32_e32 v34, 24, v34
	v_bfrev_b32_e32 v54, 60
	v_lshlrev_b32_e32 v52, 20, v52
	v_and_b32_e32 v34, 0x80000000, v34
	v_lshl_add_u32 v36, v36, 23, v54
	v_or3_b32 v34, v34, v36, v52
	v_lshrrev_b32_e32 v52, 16, v34
.LBB885_273:
	s_or_b64 exec, exec, s[10:11]
.LBB885_274:
	s_or_b64 exec, exec, s[8:9]
.LBB885_275:
	s_or_b64 exec, exec, s[2:3]
	v_mov_b32_e32 v36, 0
	v_cmp_ne_u16_sdwa s[8:9], v37, v36 src0_sel:BYTE_0 src1_sel:DWORD
	v_mov_b32_e32 v54, 0
	s_and_saveexec_b64 s[2:3], s[8:9]
	s_cbranch_execz .LBB885_281
; %bb.276:
	s_movk_i32 s8, 0x80
	v_cmp_ne_u16_sdwa s[10:11], v37, s8 src0_sel:BYTE_0 src1_sel:DWORD
	v_mov_b32_e32 v54, 0xffff8000
	s_and_saveexec_b64 s[8:9], s[10:11]
	s_cbranch_execz .LBB885_280
; %bb.277:
	s_movk_i32 s10, 0x7f
	v_and_b32_e32 v34, 0x7f, v37
	v_cmp_ne_u32_e32 vcc, s10, v34
	v_mov_b32_e32 v54, 0x7f80
	s_and_saveexec_b64 s[10:11], vcc
	s_cbranch_execz .LBB885_279
; %bb.278:
	v_and_b32_e32 v56, 7, v37
	v_ffbh_u32_e32 v55, v56
	v_min_u32_e32 v58, 32, v55
	v_mov_b32_e32 v54, v37
	v_subrev_u32_e32 v55, 28, v58
	v_lshlrev_b64 v[54:55], v55, v[54:55]
	v_lshrrev_b32_e32 v57, 3, v34
	v_sub_u32_e32 v55, 29, v58
	v_and_b32_e32 v54, 7, v54
	v_cmp_gt_u32_e32 vcc, 8, v34
	v_cndmask_b32_e32 v34, v57, v55, vcc
	v_cndmask_b32_e32 v54, v56, v54, vcc
	v_lshlrev_b32_e32 v55, 24, v37
	v_bfrev_b32_e32 v56, 60
	v_lshlrev_b32_e32 v54, 20, v54
	v_and_b32_e32 v55, 0x80000000, v55
	v_lshl_add_u32 v34, v34, 23, v56
	v_or3_b32 v34, v55, v34, v54
	v_lshrrev_b32_e32 v54, 16, v34
.LBB885_279:
	s_or_b64 exec, exec, s[10:11]
.LBB885_280:
	s_or_b64 exec, exec, s[8:9]
.LBB885_281:
	s_or_b64 exec, exec, s[2:3]
	v_lshrrev_b16_e32 v34, 8, v37
	v_cmp_ne_u16_e32 vcc, 0, v34
	s_and_saveexec_b64 s[2:3], vcc
	s_cbranch_execz .LBB885_287
; %bb.282:
	s_movk_i32 s8, 0x80
	v_cmp_ne_u16_e32 vcc, s8, v34
	v_mov_b32_e32 v36, 0xffff8000
	s_and_saveexec_b64 s[8:9], vcc
	s_cbranch_execz .LBB885_286
; %bb.283:
	s_movk_i32 s10, 0x7f
	v_and_b32_e32 v55, 0x7f, v34
	v_cmp_ne_u32_e32 vcc, s10, v55
	v_mov_b32_e32 v36, 0x7f80
	s_and_saveexec_b64 s[10:11], vcc
	s_cbranch_execz .LBB885_285
; %bb.284:
	v_and_b32_e32 v36, 7, v34
	v_ffbh_u32_e32 v56, v36
	v_min_u32_e32 v59, 32, v56
	v_subrev_u32_e32 v56, 28, v59
	v_lshlrev_b64 v[56:57], v56, v[34:35]
	v_lshrrev_b32_e32 v58, 3, v55
	v_sub_u32_e32 v34, 29, v59
	v_and_b32_e32 v56, 7, v56
	v_cmp_gt_u32_e32 vcc, 8, v55
	v_cndmask_b32_e32 v34, v58, v34, vcc
	v_cndmask_b32_e32 v36, v36, v56, vcc
	v_lshlrev_b32_e32 v55, 16, v37
	v_bfrev_b32_e32 v56, 60
	v_lshlrev_b32_e32 v36, 20, v36
	v_and_b32_e32 v55, 0x80000000, v55
	v_lshl_add_u32 v34, v34, 23, v56
	v_or3_b32 v34, v55, v34, v36
	v_lshrrev_b32_e32 v36, 16, v34
.LBB885_285:
	s_or_b64 exec, exec, s[10:11]
.LBB885_286:
	s_or_b64 exec, exec, s[8:9]
.LBB885_287:
	s_or_b64 exec, exec, s[2:3]
	s_movk_i32 s2, 0xff
	v_and_b32_sdwa v57, v37, s2 dst_sel:DWORD dst_unused:UNUSED_PAD src0_sel:WORD_1 src1_sel:DWORD
	v_lshrrev_b32_e32 v34, 16, v37
	v_cmp_ne_u16_e32 vcc, 0, v57
	v_mov_b32_e32 v55, 0
	v_mov_b32_e32 v56, 0
	s_and_saveexec_b64 s[2:3], vcc
	s_cbranch_execz .LBB885_293
; %bb.288:
	s_movk_i32 s8, 0x80
	v_cmp_ne_u16_e32 vcc, s8, v57
	v_mov_b32_e32 v56, 0xffff8000
	s_and_saveexec_b64 s[8:9], vcc
	s_cbranch_execz .LBB885_292
; %bb.289:
	v_bfe_u32 v57, v37, 16, 7
	s_movk_i32 s10, 0x7f
	v_cmp_ne_u32_e32 vcc, s10, v57
	v_mov_b32_e32 v56, 0x7f80
	s_and_saveexec_b64 s[10:11], vcc
	s_cbranch_execz .LBB885_291
; %bb.290:
	v_and_b32_e32 v56, 7, v34
	v_ffbh_u32_e32 v58, v56
	v_min_u32_e32 v61, 32, v58
	v_subrev_u32_e32 v58, 28, v61
	v_lshlrev_b64 v[58:59], v58, v[34:35]
	v_lshrrev_b32_e32 v60, 3, v57
	v_sub_u32_e32 v34, 29, v61
	v_and_b32_e32 v58, 7, v58
	v_cmp_gt_u32_e32 vcc, 8, v57
	v_mov_b32_e32 v57, 24
	v_cndmask_b32_e32 v34, v60, v34, vcc
	v_cndmask_b32_e32 v56, v56, v58, vcc
	v_lshlrev_b32_sdwa v57, v57, v37 dst_sel:DWORD dst_unused:UNUSED_PAD src0_sel:DWORD src1_sel:WORD_1
	v_bfrev_b32_e32 v58, 60
	v_lshlrev_b32_e32 v56, 20, v56
	v_and_b32_e32 v57, 0x80000000, v57
	v_lshl_add_u32 v34, v34, 23, v58
	v_or3_b32 v34, v57, v34, v56
	v_lshrrev_b32_e32 v56, 16, v34
.LBB885_291:
	s_or_b64 exec, exec, s[10:11]
.LBB885_292:
	s_or_b64 exec, exec, s[8:9]
.LBB885_293:
	s_or_b64 exec, exec, s[2:3]
	s_mov_b32 s2, 0xffffff
	v_cmp_lt_u32_e32 vcc, s2, v37
	s_and_saveexec_b64 s[2:3], vcc
	s_cbranch_execz .LBB885_299
; %bb.294:
	v_lshrrev_b32_e32 v34, 24, v37
	s_movk_i32 s8, 0x80
	v_cmp_ne_u32_e32 vcc, s8, v34
	v_mov_b32_e32 v55, 0xffff8000
	s_and_saveexec_b64 s[8:9], vcc
	s_cbranch_execz .LBB885_298
; %bb.295:
	v_bfe_u32 v37, v37, 24, 7
	s_movk_i32 s10, 0x7f
	v_cmp_ne_u32_e32 vcc, s10, v37
	v_mov_b32_e32 v55, 0x7f80
	s_and_saveexec_b64 s[10:11], vcc
	s_cbranch_execz .LBB885_297
; %bb.296:
	v_and_b32_e32 v55, 7, v34
	v_ffbh_u32_e32 v58, v55
	v_min_u32_e32 v60, 32, v58
	v_subrev_u32_e32 v58, 28, v60
	v_lshlrev_b64 v[58:59], v58, v[34:35]
	v_lshrrev_b32_e32 v57, 3, v37
	v_sub_u32_e32 v59, 29, v60
	v_and_b32_e32 v58, 7, v58
	v_cmp_gt_u32_e32 vcc, 8, v37
	v_cndmask_b32_e32 v37, v57, v59, vcc
	v_cndmask_b32_e32 v55, v55, v58, vcc
	v_lshlrev_b32_e32 v34, 24, v34
	v_bfrev_b32_e32 v57, 60
	v_lshlrev_b32_e32 v55, 20, v55
	v_and_b32_e32 v34, 0x80000000, v34
	v_lshl_add_u32 v37, v37, 23, v57
	v_or3_b32 v34, v34, v37, v55
	v_lshrrev_b32_e32 v55, 16, v34
.LBB885_297:
	s_or_b64 exec, exec, s[10:11]
.LBB885_298:
	s_or_b64 exec, exec, s[8:9]
.LBB885_299:
	s_or_b64 exec, exec, s[2:3]
	s_mov_b32 s2, 0x5040100
	v_perm_b32 v53, v52, v53, s2
	v_perm_b32 v52, v35, v51, s2
	;; [unrolled: 1-line block ×4, first 2 shown]
	v_mfma_f32_16x16x16bf16_1k v[58:61], v[52:53], v[18:19], v[42:45]
	s_nop 6
	v_mov_b32_e32 v43, 0
	s_waitcnt vmcnt(4)
	v_cmp_ne_u16_sdwa s[8:9], v22, v43 src0_sel:BYTE_0 src1_sel:DWORD
	v_mfma_f32_16x16x16bf16_1k v[34:37], v[34:35], v[20:21], v[58:61]
	v_mov_b32_e32 v44, 0
	s_and_saveexec_b64 s[2:3], s[8:9]
	s_cbranch_execz .LBB885_305
; %bb.300:
	s_movk_i32 s8, 0x80
	v_cmp_ne_u16_sdwa s[10:11], v22, s8 src0_sel:BYTE_0 src1_sel:DWORD
	v_mov_b32_e32 v44, 0xffff8000
	s_and_saveexec_b64 s[8:9], s[10:11]
	s_cbranch_execz .LBB885_304
; %bb.301:
	s_movk_i32 s10, 0x7f
	v_and_b32_e32 v42, 0x7f, v22
	v_cmp_ne_u32_e32 vcc, s10, v42
	v_mov_b32_e32 v44, 0x7f80
	s_and_saveexec_b64 s[10:11], vcc
	s_cbranch_execz .LBB885_303
; %bb.302:
	v_and_b32_e32 v51, 7, v22
	v_ffbh_u32_e32 v44, v51
	v_min_u32_e32 v53, 32, v44
	v_subrev_u32_e32 v44, 28, v53
	v_lshlrev_b64 v[44:45], v44, v[22:23]
	v_lshrrev_b32_e32 v52, 3, v42
	v_sub_u32_e32 v45, 29, v53
	v_and_b32_e32 v44, 7, v44
	v_cmp_gt_u32_e32 vcc, 8, v42
	v_cndmask_b32_e32 v42, v52, v45, vcc
	v_cndmask_b32_e32 v44, v51, v44, vcc
	v_lshlrev_b32_e32 v45, 24, v22
	v_bfrev_b32_e32 v51, 60
	v_lshlrev_b32_e32 v44, 20, v44
	v_and_b32_e32 v45, 0x80000000, v45
	v_lshl_add_u32 v42, v42, 23, v51
	v_or3_b32 v42, v45, v42, v44
	v_lshrrev_b32_e32 v44, 16, v42
.LBB885_303:
	s_or_b64 exec, exec, s[10:11]
.LBB885_304:
	s_or_b64 exec, exec, s[8:9]
.LBB885_305:
	s_or_b64 exec, exec, s[2:3]
	v_lshrrev_b16_e32 v42, 8, v22
	v_cmp_ne_u16_e32 vcc, 0, v42
	s_and_saveexec_b64 s[2:3], vcc
	s_cbranch_execz .LBB885_311
; %bb.306:
	s_movk_i32 s8, 0x80
	v_cmp_ne_u16_e32 vcc, s8, v42
	v_mov_b32_e32 v43, 0xffff8000
	s_and_saveexec_b64 s[8:9], vcc
	s_cbranch_execz .LBB885_310
; %bb.307:
	s_movk_i32 s10, 0x7f
	v_and_b32_e32 v45, 0x7f, v42
	v_cmp_ne_u32_e32 vcc, s10, v45
	v_mov_b32_e32 v43, 0x7f80
	s_and_saveexec_b64 s[10:11], vcc
	s_cbranch_execz .LBB885_309
; %bb.308:
	v_and_b32_e32 v51, 7, v42
	v_ffbh_u32_e32 v43, v51
	v_min_u32_e32 v53, 32, v43
	v_subrev_u32_e32 v43, 28, v53
	v_lshlrev_b64 v[42:43], v43, v[42:43]
	v_lshrrev_b32_e32 v52, 3, v45
	v_sub_u32_e32 v43, 29, v53
	v_and_b32_e32 v42, 7, v42
	v_cmp_gt_u32_e32 vcc, 8, v45
	v_cndmask_b32_e32 v43, v52, v43, vcc
	v_cndmask_b32_e32 v42, v51, v42, vcc
	v_lshlrev_b32_e32 v45, 16, v22
	v_bfrev_b32_e32 v51, 60
	v_lshlrev_b32_e32 v42, 20, v42
	v_and_b32_e32 v45, 0x80000000, v45
	v_lshl_add_u32 v43, v43, 23, v51
	v_or3_b32 v42, v45, v43, v42
	v_lshrrev_b32_e32 v43, 16, v42
.LBB885_309:
	s_or_b64 exec, exec, s[10:11]
.LBB885_310:
	s_or_b64 exec, exec, s[8:9]
.LBB885_311:
	s_or_b64 exec, exec, s[2:3]
	s_movk_i32 s2, 0xff
	v_and_b32_sdwa v52, v22, s2 dst_sel:DWORD dst_unused:UNUSED_PAD src0_sel:WORD_1 src1_sel:DWORD
	v_lshrrev_b32_e32 v42, 16, v22
	v_cmp_ne_u16_e32 vcc, 0, v52
	v_mov_b32_e32 v45, 0
	v_mov_b32_e32 v51, 0
	s_and_saveexec_b64 s[2:3], vcc
	s_cbranch_execz .LBB885_317
; %bb.312:
	s_movk_i32 s8, 0x80
	v_cmp_ne_u16_e32 vcc, s8, v52
	v_mov_b32_e32 v51, 0xffff8000
	s_and_saveexec_b64 s[8:9], vcc
	s_cbranch_execz .LBB885_316
; %bb.313:
	v_bfe_u32 v52, v22, 16, 7
	s_movk_i32 s10, 0x7f
	v_cmp_ne_u32_e32 vcc, s10, v52
	v_mov_b32_e32 v51, 0x7f80
	s_and_saveexec_b64 s[10:11], vcc
	s_cbranch_execz .LBB885_315
; %bb.314:
	v_and_b32_e32 v51, 7, v42
	v_ffbh_u32_e32 v54, v51
	v_min_u32_e32 v56, 32, v54
	v_subrev_u32_e32 v54, 28, v56
	v_lshlrev_b64 v[54:55], v54, v[42:43]
	v_lshrrev_b32_e32 v53, 3, v52
	v_sub_u32_e32 v42, 29, v56
	v_and_b32_e32 v54, 7, v54
	v_cmp_gt_u32_e32 vcc, 8, v52
	v_mov_b32_e32 v52, 24
	v_cndmask_b32_e32 v42, v53, v42, vcc
	v_cndmask_b32_e32 v51, v51, v54, vcc
	v_lshlrev_b32_sdwa v52, v52, v22 dst_sel:DWORD dst_unused:UNUSED_PAD src0_sel:DWORD src1_sel:WORD_1
	v_bfrev_b32_e32 v53, 60
	v_lshlrev_b32_e32 v51, 20, v51
	v_and_b32_e32 v52, 0x80000000, v52
	v_lshl_add_u32 v42, v42, 23, v53
	v_or3_b32 v42, v52, v42, v51
	v_lshrrev_b32_e32 v51, 16, v42
.LBB885_315:
	s_or_b64 exec, exec, s[10:11]
.LBB885_316:
	s_or_b64 exec, exec, s[8:9]
.LBB885_317:
	s_or_b64 exec, exec, s[2:3]
	s_mov_b32 s2, 0xffffff
	v_cmp_lt_u32_e32 vcc, s2, v22
	s_and_saveexec_b64 s[2:3], vcc
	s_cbranch_execz .LBB885_323
; %bb.318:
	v_lshrrev_b32_e32 v42, 24, v22
	s_movk_i32 s8, 0x80
	v_cmp_ne_u32_e32 vcc, s8, v42
	v_mov_b32_e32 v45, 0xffff8000
	s_and_saveexec_b64 s[8:9], vcc
	s_cbranch_execz .LBB885_322
; %bb.319:
	v_bfe_u32 v22, v22, 24, 7
	s_movk_i32 s10, 0x7f
	v_cmp_ne_u32_e32 vcc, s10, v22
	v_mov_b32_e32 v45, 0x7f80
	s_and_saveexec_b64 s[10:11], vcc
	s_cbranch_execz .LBB885_321
; %bb.320:
	v_and_b32_e32 v45, 7, v42
	v_ffbh_u32_e32 v52, v45
	v_min_u32_e32 v55, 32, v52
	v_subrev_u32_e32 v52, 28, v55
	v_lshlrev_b64 v[52:53], v52, v[42:43]
	v_lshrrev_b32_e32 v54, 3, v22
	v_sub_u32_e32 v53, 29, v55
	v_and_b32_e32 v52, 7, v52
	v_cmp_gt_u32_e32 vcc, 8, v22
	v_cndmask_b32_e32 v22, v54, v53, vcc
	v_cndmask_b32_e32 v45, v45, v52, vcc
	v_lshlrev_b32_e32 v42, 24, v42
	v_bfrev_b32_e32 v52, 60
	v_lshlrev_b32_e32 v45, 20, v45
	v_and_b32_e32 v42, 0x80000000, v42
	v_lshl_add_u32 v22, v22, 23, v52
	v_or3_b32 v22, v42, v22, v45
	v_lshrrev_b32_e32 v45, 16, v22
.LBB885_321:
	s_or_b64 exec, exec, s[10:11]
.LBB885_322:
	s_or_b64 exec, exec, s[8:9]
.LBB885_323:
	s_or_b64 exec, exec, s[2:3]
	v_mov_b32_e32 v42, 0
	v_cmp_ne_u16_sdwa s[8:9], v23, v42 src0_sel:BYTE_0 src1_sel:DWORD
	v_mov_b32_e32 v52, 0
	s_and_saveexec_b64 s[2:3], s[8:9]
	s_cbranch_execz .LBB885_329
; %bb.324:
	s_movk_i32 s8, 0x80
	v_cmp_ne_u16_sdwa s[10:11], v23, s8 src0_sel:BYTE_0 src1_sel:DWORD
	v_mov_b32_e32 v52, 0xffff8000
	s_and_saveexec_b64 s[8:9], s[10:11]
	s_cbranch_execz .LBB885_328
; %bb.325:
	s_movk_i32 s10, 0x7f
	v_and_b32_e32 v22, 0x7f, v23
	v_cmp_ne_u32_e32 vcc, s10, v22
	v_mov_b32_e32 v52, 0x7f80
	s_and_saveexec_b64 s[10:11], vcc
	s_cbranch_execz .LBB885_327
; %bb.326:
	v_and_b32_e32 v54, 7, v23
	v_ffbh_u32_e32 v53, v54
	v_min_u32_e32 v56, 32, v53
	v_mov_b32_e32 v52, v23
	v_subrev_u32_e32 v53, 28, v56
	v_lshlrev_b64 v[52:53], v53, v[52:53]
	v_lshrrev_b32_e32 v55, 3, v22
	v_sub_u32_e32 v53, 29, v56
	v_and_b32_e32 v52, 7, v52
	v_cmp_gt_u32_e32 vcc, 8, v22
	v_cndmask_b32_e32 v22, v55, v53, vcc
	v_cndmask_b32_e32 v52, v54, v52, vcc
	v_lshlrev_b32_e32 v53, 24, v23
	v_bfrev_b32_e32 v54, 60
	v_lshlrev_b32_e32 v52, 20, v52
	v_and_b32_e32 v53, 0x80000000, v53
	v_lshl_add_u32 v22, v22, 23, v54
	v_or3_b32 v22, v53, v22, v52
	v_lshrrev_b32_e32 v52, 16, v22
.LBB885_327:
	s_or_b64 exec, exec, s[10:11]
.LBB885_328:
	s_or_b64 exec, exec, s[8:9]
.LBB885_329:
	s_or_b64 exec, exec, s[2:3]
	v_lshrrev_b16_e32 v22, 8, v23
	v_cmp_ne_u16_e32 vcc, 0, v22
	s_and_saveexec_b64 s[2:3], vcc
	s_cbranch_execz .LBB885_335
; %bb.330:
	s_movk_i32 s8, 0x80
	v_cmp_ne_u16_e32 vcc, s8, v22
	v_mov_b32_e32 v42, 0xffff8000
	s_and_saveexec_b64 s[8:9], vcc
	s_cbranch_execz .LBB885_334
; %bb.331:
	s_movk_i32 s10, 0x7f
	v_and_b32_e32 v53, 0x7f, v22
	v_cmp_ne_u32_e32 vcc, s10, v53
	v_mov_b32_e32 v42, 0x7f80
	s_and_saveexec_b64 s[10:11], vcc
	s_cbranch_execz .LBB885_333
; %bb.332:
	v_and_b32_e32 v42, 7, v22
	v_ffbh_u32_e32 v54, v42
	v_min_u32_e32 v57, 32, v54
	v_subrev_u32_e32 v54, 28, v57
	v_lshlrev_b64 v[54:55], v54, v[22:23]
	v_lshrrev_b32_e32 v56, 3, v53
	v_sub_u32_e32 v22, 29, v57
	v_and_b32_e32 v54, 7, v54
	v_cmp_gt_u32_e32 vcc, 8, v53
	v_cndmask_b32_e32 v22, v56, v22, vcc
	v_cndmask_b32_e32 v42, v42, v54, vcc
	v_lshlrev_b32_e32 v53, 16, v23
	v_bfrev_b32_e32 v54, 60
	v_lshlrev_b32_e32 v42, 20, v42
	v_and_b32_e32 v53, 0x80000000, v53
	v_lshl_add_u32 v22, v22, 23, v54
	v_or3_b32 v22, v53, v22, v42
	v_lshrrev_b32_e32 v42, 16, v22
.LBB885_333:
	s_or_b64 exec, exec, s[10:11]
.LBB885_334:
	s_or_b64 exec, exec, s[8:9]
.LBB885_335:
	s_or_b64 exec, exec, s[2:3]
	s_movk_i32 s2, 0xff
	v_and_b32_sdwa v55, v23, s2 dst_sel:DWORD dst_unused:UNUSED_PAD src0_sel:WORD_1 src1_sel:DWORD
	v_lshrrev_b32_e32 v22, 16, v23
	v_cmp_ne_u16_e32 vcc, 0, v55
	v_mov_b32_e32 v53, 0
	v_mov_b32_e32 v54, 0
	s_and_saveexec_b64 s[2:3], vcc
	s_cbranch_execz .LBB885_341
; %bb.336:
	s_movk_i32 s8, 0x80
	v_cmp_ne_u16_e32 vcc, s8, v55
	v_mov_b32_e32 v54, 0xffff8000
	s_and_saveexec_b64 s[8:9], vcc
	s_cbranch_execz .LBB885_340
; %bb.337:
	v_bfe_u32 v55, v23, 16, 7
	s_movk_i32 s10, 0x7f
	v_cmp_ne_u32_e32 vcc, s10, v55
	v_mov_b32_e32 v54, 0x7f80
	s_and_saveexec_b64 s[10:11], vcc
	s_cbranch_execz .LBB885_339
; %bb.338:
	v_and_b32_e32 v54, 7, v22
	v_ffbh_u32_e32 v56, v54
	v_min_u32_e32 v59, 32, v56
	v_subrev_u32_e32 v56, 28, v59
	v_lshlrev_b64 v[56:57], v56, v[22:23]
	v_lshrrev_b32_e32 v58, 3, v55
	v_sub_u32_e32 v22, 29, v59
	v_and_b32_e32 v56, 7, v56
	v_cmp_gt_u32_e32 vcc, 8, v55
	v_mov_b32_e32 v55, 24
	v_cndmask_b32_e32 v22, v58, v22, vcc
	v_cndmask_b32_e32 v54, v54, v56, vcc
	v_lshlrev_b32_sdwa v55, v55, v23 dst_sel:DWORD dst_unused:UNUSED_PAD src0_sel:DWORD src1_sel:WORD_1
	v_bfrev_b32_e32 v56, 60
	v_lshlrev_b32_e32 v54, 20, v54
	v_and_b32_e32 v55, 0x80000000, v55
	v_lshl_add_u32 v22, v22, 23, v56
	v_or3_b32 v22, v55, v22, v54
	v_lshrrev_b32_e32 v54, 16, v22
.LBB885_339:
	s_or_b64 exec, exec, s[10:11]
.LBB885_340:
	s_or_b64 exec, exec, s[8:9]
.LBB885_341:
	s_or_b64 exec, exec, s[2:3]
	s_mov_b32 s2, 0xffffff
	v_cmp_lt_u32_e32 vcc, s2, v23
	s_and_saveexec_b64 s[2:3], vcc
	s_cbranch_execz .LBB885_347
; %bb.342:
	v_lshrrev_b32_e32 v22, 24, v23
	s_movk_i32 s8, 0x80
	v_cmp_ne_u32_e32 vcc, s8, v22
	v_mov_b32_e32 v53, 0xffff8000
	s_and_saveexec_b64 s[8:9], vcc
	s_cbranch_execz .LBB885_346
; %bb.343:
	v_bfe_u32 v23, v23, 24, 7
	s_movk_i32 s10, 0x7f
	v_cmp_ne_u32_e32 vcc, s10, v23
	v_mov_b32_e32 v53, 0x7f80
	s_and_saveexec_b64 s[10:11], vcc
	s_cbranch_execz .LBB885_345
; %bb.344:
	v_and_b32_e32 v53, 7, v22
	v_ffbh_u32_e32 v56, v53
	v_min_u32_e32 v58, 32, v56
	v_subrev_u32_e32 v56, 28, v58
	v_lshlrev_b64 v[56:57], v56, v[22:23]
	v_lshrrev_b32_e32 v55, 3, v23
	v_sub_u32_e32 v57, 29, v58
	v_and_b32_e32 v56, 7, v56
	v_cmp_gt_u32_e32 vcc, 8, v23
	v_cndmask_b32_e32 v23, v55, v57, vcc
	v_cndmask_b32_e32 v53, v53, v56, vcc
	v_lshlrev_b32_e32 v22, 24, v22
	v_bfrev_b32_e32 v55, 60
	v_lshlrev_b32_e32 v53, 20, v53
	v_and_b32_e32 v22, 0x80000000, v22
	v_lshl_add_u32 v23, v23, 23, v55
	v_or3_b32 v22, v22, v23, v53
	v_lshrrev_b32_e32 v53, 16, v22
.LBB885_345:
	s_or_b64 exec, exec, s[10:11]
.LBB885_346:
	s_or_b64 exec, exec, s[8:9]
.LBB885_347:
	s_or_b64 exec, exec, s[2:3]
	s_mov_b32 s2, 0x5040100
	v_perm_b32 v23, v45, v51, s2
	v_perm_b32 v22, v43, v44, s2
	s_nop 1
	v_mfma_f32_16x16x16bf16_1k v[56:59], v[22:23], v[26:27], 0
	v_perm_b32 v27, v53, v54, s2
	v_perm_b32 v26, v42, v52, s2
	v_mov_b32_e32 v23, 0
	v_cmp_ne_u16_sdwa s[8:9], v24, v23 src0_sel:BYTE_0 src1_sel:DWORD
	v_mov_b32_e32 v42, 0
	v_mfma_f32_16x16x16bf16_1k v[26:29], v[26:27], v[28:29], v[56:59]
	s_and_saveexec_b64 s[2:3], s[8:9]
	s_cbranch_execz .LBB885_353
; %bb.348:
	s_movk_i32 s8, 0x80
	v_cmp_ne_u16_sdwa s[10:11], v24, s8 src0_sel:BYTE_0 src1_sel:DWORD
	v_mov_b32_e32 v42, 0xffff8000
	s_and_saveexec_b64 s[8:9], s[10:11]
	s_cbranch_execz .LBB885_352
; %bb.349:
	s_movk_i32 s10, 0x7f
	v_and_b32_e32 v22, 0x7f, v24
	v_cmp_ne_u32_e32 vcc, s10, v22
	v_mov_b32_e32 v42, 0x7f80
	s_and_saveexec_b64 s[10:11], vcc
	s_cbranch_execz .LBB885_351
; %bb.350:
	v_and_b32_e32 v44, 7, v24
	v_ffbh_u32_e32 v42, v44
	v_min_u32_e32 v51, 32, v42
	v_subrev_u32_e32 v42, 28, v51
	v_lshlrev_b64 v[42:43], v42, v[24:25]
	v_lshrrev_b32_e32 v45, 3, v22
	v_sub_u32_e32 v43, 29, v51
	v_and_b32_e32 v42, 7, v42
	v_cmp_gt_u32_e32 vcc, 8, v22
	v_cndmask_b32_e32 v22, v45, v43, vcc
	v_cndmask_b32_e32 v42, v44, v42, vcc
	v_lshlrev_b32_e32 v43, 24, v24
	v_bfrev_b32_e32 v44, 60
	v_lshlrev_b32_e32 v42, 20, v42
	v_and_b32_e32 v43, 0x80000000, v43
	v_lshl_add_u32 v22, v22, 23, v44
	v_or3_b32 v22, v43, v22, v42
	v_lshrrev_b32_e32 v42, 16, v22
.LBB885_351:
	s_or_b64 exec, exec, s[10:11]
.LBB885_352:
	s_or_b64 exec, exec, s[8:9]
.LBB885_353:
	s_or_b64 exec, exec, s[2:3]
	v_lshrrev_b16_e32 v22, 8, v24
	v_cmp_ne_u16_e32 vcc, 0, v22
	s_and_saveexec_b64 s[2:3], vcc
	s_cbranch_execz .LBB885_359
; %bb.354:
	s_movk_i32 s8, 0x80
	v_cmp_ne_u16_e32 vcc, s8, v22
	v_mov_b32_e32 v23, 0xffff8000
	s_and_saveexec_b64 s[8:9], vcc
	s_cbranch_execz .LBB885_358
; %bb.355:
	s_movk_i32 s10, 0x7f
	v_and_b32_e32 v43, 0x7f, v22
	v_cmp_ne_u32_e32 vcc, s10, v43
	v_mov_b32_e32 v23, 0x7f80
	s_and_saveexec_b64 s[10:11], vcc
	s_cbranch_execz .LBB885_357
; %bb.356:
	v_and_b32_e32 v44, 7, v22
	v_ffbh_u32_e32 v23, v44
	v_min_u32_e32 v51, 32, v23
	v_subrev_u32_e32 v23, 28, v51
	v_lshlrev_b64 v[22:23], v23, v[22:23]
	v_lshrrev_b32_e32 v45, 3, v43
	v_sub_u32_e32 v23, 29, v51
	v_and_b32_e32 v22, 7, v22
	v_cmp_gt_u32_e32 vcc, 8, v43
	v_cndmask_b32_e32 v23, v45, v23, vcc
	v_cndmask_b32_e32 v22, v44, v22, vcc
	v_lshlrev_b32_e32 v43, 16, v24
	v_bfrev_b32_e32 v44, 60
	v_lshlrev_b32_e32 v22, 20, v22
	v_and_b32_e32 v43, 0x80000000, v43
	v_lshl_add_u32 v23, v23, 23, v44
	v_or3_b32 v22, v43, v23, v22
	v_lshrrev_b32_e32 v23, 16, v22
.LBB885_357:
	s_or_b64 exec, exec, s[10:11]
.LBB885_358:
	s_or_b64 exec, exec, s[8:9]
.LBB885_359:
	s_or_b64 exec, exec, s[2:3]
	s_movk_i32 s2, 0xff
	v_and_b32_sdwa v45, v24, s2 dst_sel:DWORD dst_unused:UNUSED_PAD src0_sel:WORD_1 src1_sel:DWORD
	v_lshrrev_b32_e32 v22, 16, v24
	v_cmp_ne_u16_e32 vcc, 0, v45
	v_mov_b32_e32 v43, 0
	v_mov_b32_e32 v44, 0
	s_and_saveexec_b64 s[2:3], vcc
	s_cbranch_execz .LBB885_365
; %bb.360:
	s_movk_i32 s8, 0x80
	v_cmp_ne_u16_e32 vcc, s8, v45
	v_mov_b32_e32 v44, 0xffff8000
	s_and_saveexec_b64 s[8:9], vcc
	s_cbranch_execz .LBB885_364
; %bb.361:
	v_bfe_u32 v45, v24, 16, 7
	s_movk_i32 s10, 0x7f
	v_cmp_ne_u32_e32 vcc, s10, v45
	v_mov_b32_e32 v44, 0x7f80
	s_and_saveexec_b64 s[10:11], vcc
	s_cbranch_execz .LBB885_363
; %bb.362:
	v_and_b32_e32 v44, 7, v22
	v_ffbh_u32_e32 v52, v44
	v_min_u32_e32 v54, 32, v52
	v_subrev_u32_e32 v52, 28, v54
	v_lshlrev_b64 v[52:53], v52, v[22:23]
	v_lshrrev_b32_e32 v51, 3, v45
	v_sub_u32_e32 v22, 29, v54
	v_and_b32_e32 v52, 7, v52
	v_cmp_gt_u32_e32 vcc, 8, v45
	v_mov_b32_e32 v45, 24
	v_cndmask_b32_e32 v22, v51, v22, vcc
	v_cndmask_b32_e32 v44, v44, v52, vcc
	v_lshlrev_b32_sdwa v45, v45, v24 dst_sel:DWORD dst_unused:UNUSED_PAD src0_sel:DWORD src1_sel:WORD_1
	v_bfrev_b32_e32 v51, 60
	v_lshlrev_b32_e32 v44, 20, v44
	v_and_b32_e32 v45, 0x80000000, v45
	v_lshl_add_u32 v22, v22, 23, v51
	v_or3_b32 v22, v45, v22, v44
	v_lshrrev_b32_e32 v44, 16, v22
.LBB885_363:
	s_or_b64 exec, exec, s[10:11]
.LBB885_364:
	s_or_b64 exec, exec, s[8:9]
.LBB885_365:
	s_or_b64 exec, exec, s[2:3]
	s_mov_b32 s2, 0xffffff
	v_cmp_lt_u32_e32 vcc, s2, v24
	s_and_saveexec_b64 s[2:3], vcc
	s_cbranch_execz .LBB885_371
; %bb.366:
	v_lshrrev_b32_e32 v22, 24, v24
	s_movk_i32 s8, 0x80
	v_cmp_ne_u32_e32 vcc, s8, v22
	v_mov_b32_e32 v43, 0xffff8000
	s_and_saveexec_b64 s[8:9], vcc
	s_cbranch_execz .LBB885_370
; %bb.367:
	v_bfe_u32 v24, v24, 24, 7
	s_movk_i32 s10, 0x7f
	v_cmp_ne_u32_e32 vcc, s10, v24
	v_mov_b32_e32 v43, 0x7f80
	s_and_saveexec_b64 s[10:11], vcc
	s_cbranch_execz .LBB885_369
; %bb.368:
	v_and_b32_e32 v43, 7, v22
	v_ffbh_u32_e32 v51, v43
	v_min_u32_e32 v51, 32, v51
	v_subrev_u32_e32 v52, 28, v51
	v_lshlrev_b64 v[52:53], v52, v[22:23]
	v_lshrrev_b32_e32 v45, 3, v24
	v_sub_u32_e32 v51, 29, v51
	v_and_b32_e32 v52, 7, v52
	v_cmp_gt_u32_e32 vcc, 8, v24
	v_cndmask_b32_e32 v24, v45, v51, vcc
	v_cndmask_b32_e32 v43, v43, v52, vcc
	v_lshlrev_b32_e32 v22, 24, v22
	v_bfrev_b32_e32 v45, 60
	v_lshlrev_b32_e32 v43, 20, v43
	v_and_b32_e32 v22, 0x80000000, v22
	v_lshl_add_u32 v24, v24, 23, v45
	v_or3_b32 v22, v22, v24, v43
	v_lshrrev_b32_e32 v43, 16, v22
.LBB885_369:
	s_or_b64 exec, exec, s[10:11]
.LBB885_370:
	s_or_b64 exec, exec, s[8:9]
.LBB885_371:
	s_or_b64 exec, exec, s[2:3]
	v_mov_b32_e32 v24, 0
	v_cmp_ne_u16_sdwa s[8:9], v25, v24 src0_sel:BYTE_0 src1_sel:DWORD
	v_mov_b32_e32 v51, 0
	s_and_saveexec_b64 s[2:3], s[8:9]
	s_cbranch_execz .LBB885_377
; %bb.372:
	s_movk_i32 s8, 0x80
	v_cmp_ne_u16_sdwa s[10:11], v25, s8 src0_sel:BYTE_0 src1_sel:DWORD
	v_mov_b32_e32 v51, 0xffff8000
	s_and_saveexec_b64 s[8:9], s[10:11]
	s_cbranch_execz .LBB885_376
; %bb.373:
	s_movk_i32 s10, 0x7f
	v_and_b32_e32 v22, 0x7f, v25
	v_cmp_ne_u32_e32 vcc, s10, v22
	v_mov_b32_e32 v51, 0x7f80
	s_and_saveexec_b64 s[10:11], vcc
	s_cbranch_execz .LBB885_375
; %bb.374:
	v_and_b32_e32 v45, 7, v25
	v_ffbh_u32_e32 v53, v45
	v_min_u32_e32 v54, 32, v53
	v_mov_b32_e32 v52, v25
	v_subrev_u32_e32 v53, 28, v54
	v_lshlrev_b64 v[52:53], v53, v[52:53]
	v_lshrrev_b32_e32 v51, 3, v22
	v_sub_u32_e32 v53, 29, v54
	v_and_b32_e32 v52, 7, v52
	v_cmp_gt_u32_e32 vcc, 8, v22
	v_cndmask_b32_e32 v22, v51, v53, vcc
	v_cndmask_b32_e32 v45, v45, v52, vcc
	v_lshlrev_b32_e32 v51, 24, v25
	v_bfrev_b32_e32 v52, 60
	v_lshlrev_b32_e32 v45, 20, v45
	v_and_b32_e32 v51, 0x80000000, v51
	v_lshl_add_u32 v22, v22, 23, v52
	v_or3_b32 v22, v51, v22, v45
	v_lshrrev_b32_e32 v51, 16, v22
.LBB885_375:
	s_or_b64 exec, exec, s[10:11]
.LBB885_376:
	s_or_b64 exec, exec, s[8:9]
.LBB885_377:
	s_or_b64 exec, exec, s[2:3]
	v_lshrrev_b16_e32 v22, 8, v25
	v_cmp_ne_u16_e32 vcc, 0, v22
	s_and_saveexec_b64 s[2:3], vcc
	s_cbranch_execz .LBB885_383
; %bb.378:
	s_movk_i32 s8, 0x80
	v_cmp_ne_u16_e32 vcc, s8, v22
	v_mov_b32_e32 v24, 0xffff8000
	s_and_saveexec_b64 s[8:9], vcc
	s_cbranch_execz .LBB885_382
; %bb.379:
	s_movk_i32 s10, 0x7f
	v_and_b32_e32 v45, 0x7f, v22
	v_cmp_ne_u32_e32 vcc, s10, v45
	v_mov_b32_e32 v24, 0x7f80
	s_and_saveexec_b64 s[10:11], vcc
	s_cbranch_execz .LBB885_381
; %bb.380:
	v_and_b32_e32 v24, 7, v22
	v_ffbh_u32_e32 v52, v24
	v_min_u32_e32 v55, 32, v52
	v_subrev_u32_e32 v52, 28, v55
	v_lshlrev_b64 v[52:53], v52, v[22:23]
	v_lshrrev_b32_e32 v54, 3, v45
	v_sub_u32_e32 v22, 29, v55
	v_and_b32_e32 v52, 7, v52
	v_cmp_gt_u32_e32 vcc, 8, v45
	v_cndmask_b32_e32 v22, v54, v22, vcc
	v_cndmask_b32_e32 v24, v24, v52, vcc
	v_lshlrev_b32_e32 v45, 16, v25
	v_bfrev_b32_e32 v52, 60
	v_lshlrev_b32_e32 v24, 20, v24
	v_and_b32_e32 v45, 0x80000000, v45
	v_lshl_add_u32 v22, v22, 23, v52
	v_or3_b32 v22, v45, v22, v24
	v_lshrrev_b32_e32 v24, 16, v22
.LBB885_381:
	s_or_b64 exec, exec, s[10:11]
.LBB885_382:
	s_or_b64 exec, exec, s[8:9]
.LBB885_383:
	s_or_b64 exec, exec, s[2:3]
	s_movk_i32 s2, 0xff
	v_and_b32_sdwa v45, v25, s2 dst_sel:DWORD dst_unused:UNUSED_PAD src0_sel:WORD_1 src1_sel:DWORD
	v_lshrrev_b32_e32 v22, 16, v25
	v_cmp_ne_u16_e32 vcc, 0, v45
	v_mov_b32_e32 v52, 0
	v_mov_b32_e32 v53, 0
	s_and_saveexec_b64 s[2:3], vcc
	s_cbranch_execz .LBB885_389
; %bb.384:
	s_movk_i32 s8, 0x80
	v_cmp_ne_u16_e32 vcc, s8, v45
	v_mov_b32_e32 v53, 0xffff8000
	s_and_saveexec_b64 s[8:9], vcc
	s_cbranch_execz .LBB885_388
; %bb.385:
	v_bfe_u32 v45, v25, 16, 7
	s_movk_i32 s10, 0x7f
	v_cmp_ne_u32_e32 vcc, s10, v45
	v_mov_b32_e32 v53, 0x7f80
	s_and_saveexec_b64 s[10:11], vcc
	s_cbranch_execz .LBB885_387
; %bb.386:
	v_and_b32_e32 v53, 7, v22
	v_ffbh_u32_e32 v54, v53
	v_min_u32_e32 v57, 32, v54
	v_subrev_u32_e32 v54, 28, v57
	v_lshlrev_b64 v[54:55], v54, v[22:23]
	v_and_b32_e32 v54, 7, v54
	v_cmp_gt_u32_e32 vcc, 8, v45
	v_lshrrev_b32_e32 v56, 3, v45
	v_sub_u32_e32 v22, 29, v57
	v_cndmask_b32_e32 v45, v53, v54, vcc
	v_mov_b32_e32 v53, 24
	v_cndmask_b32_e32 v22, v56, v22, vcc
	v_lshlrev_b32_sdwa v53, v53, v25 dst_sel:DWORD dst_unused:UNUSED_PAD src0_sel:DWORD src1_sel:WORD_1
	v_bfrev_b32_e32 v54, 60
	v_lshlrev_b32_e32 v45, 20, v45
	v_and_b32_e32 v53, 0x80000000, v53
	v_lshl_add_u32 v22, v22, 23, v54
	v_or3_b32 v22, v53, v22, v45
	v_lshrrev_b32_e32 v53, 16, v22
.LBB885_387:
	s_or_b64 exec, exec, s[10:11]
.LBB885_388:
	s_or_b64 exec, exec, s[8:9]
.LBB885_389:
	s_or_b64 exec, exec, s[2:3]
	s_mov_b32 s2, 0xffffff
	v_and_b32_e32 v45, 63, v0
	v_cmp_lt_u32_e32 vcc, s2, v25
	s_and_saveexec_b64 s[2:3], vcc
	s_cbranch_execz .LBB885_395
; %bb.390:
	v_lshrrev_b32_e32 v22, 24, v25
	s_movk_i32 s8, 0x80
	v_cmp_ne_u32_e32 vcc, s8, v22
	v_mov_b32_e32 v52, 0xffff8000
	s_and_saveexec_b64 s[8:9], vcc
	s_cbranch_execz .LBB885_394
; %bb.391:
	v_bfe_u32 v25, v25, 24, 7
	s_movk_i32 s10, 0x7f
	v_cmp_ne_u32_e32 vcc, s10, v25
	v_mov_b32_e32 v52, 0x7f80
	s_and_saveexec_b64 s[10:11], vcc
	s_cbranch_execz .LBB885_393
; %bb.392:
	v_and_b32_e32 v52, 7, v22
	v_ffbh_u32_e32 v54, v52
	v_min_u32_e32 v57, 32, v54
	v_subrev_u32_e32 v54, 28, v57
	v_lshlrev_b64 v[54:55], v54, v[22:23]
	v_lshrrev_b32_e32 v56, 3, v25
	v_sub_u32_e32 v55, 29, v57
	v_and_b32_e32 v54, 7, v54
	v_cmp_gt_u32_e32 vcc, 8, v25
	v_cndmask_b32_e32 v25, v56, v55, vcc
	v_cndmask_b32_e32 v52, v52, v54, vcc
	v_lshlrev_b32_e32 v22, 24, v22
	v_bfrev_b32_e32 v54, 60
	v_lshlrev_b32_e32 v52, 20, v52
	v_and_b32_e32 v22, 0x80000000, v22
	v_lshl_add_u32 v25, v25, 23, v54
	v_or3_b32 v22, v22, v25, v52
	v_lshrrev_b32_e32 v52, 16, v22
.LBB885_393:
	s_or_b64 exec, exec, s[10:11]
.LBB885_394:
	s_or_b64 exec, exec, s[8:9]
.LBB885_395:
	s_or_b64 exec, exec, s[2:3]
	s_mov_b32 s3, 0x5040100
	v_perm_b32 v43, v43, v44, s3
	v_perm_b32 v42, v23, v42, s3
	s_load_dword s2, s[4:5], 0x1c
	s_mov_b32 s46, 0xff7fffff
	s_waitcnt lgkmcnt(0)
	v_mfma_f32_16x16x16bf16_1k v[26:29], v[42:43], v[18:19], v[26:29]
	v_perm_b32 v19, v52, v53, s3
	v_perm_b32 v18, v24, v51, s3
	v_and_b32_e32 v24, 0xc0, v0
	v_mov_b32_e32 v22, s2
	v_add_u32_e32 v24, s20, v24
	v_mul_f32_e32 v44, s12, v22
	v_lshl_or_b32 v42, v1, 2, v24
	v_mfma_f32_16x16x16bf16_1k v[18:21], v[18:19], v[20:21], v[26:29]
	v_pk_mul_f32 v[22:23], v[44:45], v[36:37] op_sel_hi:[0,1]
	v_pk_mul_f32 v[36:37], v[44:45], v[40:41] op_sel_hi:[0,1]
	;; [unrolled: 1-line block ×4, first 2 shown]
	v_mov_b32_e32 v43, 0xff7fffff
	v_cmp_gt_i32_e64 s[26:27], s33, v42
	v_pk_mul_f32 v[38:39], v[44:45], v[38:39] op_sel_hi:[0,1]
	s_nop 3
	v_pk_mul_f32 v[32:33], v[44:45], v[18:19] op_sel_hi:[0,1]
	v_or_b32_e32 v19, 1, v42
	v_cmp_gt_i32_e64 s[28:29], s33, v19
	v_cndmask_b32_e64 v18, v43, v30, s[26:27]
	v_cndmask_b32_e64 v19, v43, v31, s[28:29]
	v_pk_mul_f32 v[24:25], v[44:45], v[20:21] op_sel_hi:[0,1]
	v_max3_f32 v18, v18, s46, v19
	v_or_b32_e32 v19, 2, v42
	v_or_b32_e32 v20, 3, v42
	v_cmp_gt_i32_e64 s[30:31], s33, v19
	v_cmp_gt_i32_e64 s[34:35], s33, v20
	v_cndmask_b32_e64 v19, v43, v40, s[30:31]
	v_cndmask_b32_e64 v20, v43, v41, s[34:35]
	v_max3_f32 v18, v18, v19, v20
	v_or_b32_e32 v19, 16, v42
	v_or_b32_e32 v20, 17, v42
	v_cmp_gt_i32_e64 s[36:37], s33, v19
	v_cmp_gt_i32_e64 s[38:39], s33, v20
	v_cndmask_b32_e64 v19, v43, v38, s[36:37]
	v_cndmask_b32_e64 v20, v43, v39, s[38:39]
	;; [unrolled: 7-line block ×3, first 2 shown]
	v_max3_f32 v18, v18, v19, v20
	v_or_b32_e32 v19, 32, v42
	v_or_b32_e32 v20, 33, v42
	v_pk_mul_f32 v[34:35], v[44:45], v[34:35] op_sel_hi:[0,1]
	v_cmp_gt_i32_e64 s[16:17], s33, v19
	v_cmp_gt_i32_e64 s[18:19], s33, v20
	v_cndmask_b32_e64 v19, v43, v34, s[16:17]
	v_cndmask_b32_e64 v20, v43, v35, s[18:19]
	v_max3_f32 v18, v18, v19, v20
	v_or_b32_e32 v19, 34, v42
	v_or_b32_e32 v20, 35, v42
	v_cmp_gt_i32_e64 s[12:13], s33, v19
	v_cmp_gt_i32_e64 s[14:15], s33, v20
	v_cndmask_b32_e64 v19, v43, v22, s[12:13]
	v_cndmask_b32_e64 v20, v43, v23, s[14:15]
	v_max3_f32 v18, v18, v19, v20
	v_or_b32_e32 v19, 48, v42
	v_or_b32_e32 v20, 49, v42
	;; [unrolled: 7-line block ×3, first 2 shown]
	v_cmp_gt_i32_e32 vcc, s33, v19
	v_cmp_gt_i32_e64 s[2:3], s33, v20
	v_cndmask_b32_e32 v19, v43, v24, vcc
	v_cndmask_b32_e64 v20, v43, v25, s[2:3]
	v_max3_f32 v18, v18, v19, v20
	v_mbcnt_lo_u32_b32 v19, -1, 0
	v_mbcnt_hi_u32_b32 v19, -1, v19
	v_and_b32_e32 v20, 64, v19
	v_add_u32_e32 v20, 64, v20
	v_xor_b32_e32 v21, 32, v19
	v_cmp_lt_i32_e64 s[40:41], v21, v20
	v_cndmask_b32_e64 v21, v19, v21, s[40:41]
	v_lshlrev_b32_e32 v43, 2, v21
	ds_bpermute_b32 v21, v43, v18
	s_barrier
	s_waitcnt lgkmcnt(0)
	v_max_f32_e32 v21, v21, v21
	v_max_f32_e32 v18, v18, v21
	v_xor_b32_e32 v21, 16, v19
	v_cmp_lt_i32_e64 s[40:41], v21, v20
	v_cndmask_b32_e64 v19, v19, v21, s[40:41]
	v_lshlrev_b32_e32 v44, 2, v19
	ds_bpermute_b32 v19, v44, v18
	s_waitcnt lgkmcnt(0)
	v_max_f32_e32 v19, v19, v19
	v_max_f32_e32 v42, v18, v19
	v_sub_f32_e32 v21, v40, v42
	v_sub_f32_e32 v26, v41, v42
	v_mul_f32_e32 v21, 0x3fb8aa3b, v21
	v_mul_f32_e32 v26, 0x3fb8aa3b, v26
	v_sub_f32_e32 v18, v30, v42
	v_exp_f32_e32 v21, v21
	v_exp_f32_e32 v26, v26
	v_mul_f32_e32 v18, 0x3fb8aa3b, v18
	v_sub_f32_e32 v19, v31, v42
	v_exp_f32_e32 v18, v18
	v_mul_f32_e32 v19, 0x3fb8aa3b, v19
	v_exp_f32_e32 v19, v19
	v_cndmask_b32_e64 v28, 0, v21, s[30:31]
	v_cndmask_b32_e64 v29, 0, v26, s[34:35]
	v_sub_f32_e32 v21, v38, v42
	v_sub_f32_e32 v26, v39, v42
	v_mul_f32_e32 v21, 0x3fb8aa3b, v21
	v_mul_f32_e32 v26, 0x3fb8aa3b, v26
	v_cndmask_b32_e64 v18, 0, v18, s[26:27]
	v_exp_f32_e32 v21, v21
	v_exp_f32_e32 v26, v26
	v_add_f32_e32 v20, 0, v18
	v_cndmask_b32_e64 v19, 0, v19, s[28:29]
	v_add_f32_e32 v20, v20, v19
	v_add_f32_e32 v20, v20, v28
	;; [unrolled: 1-line block ×3, first 2 shown]
	v_cndmask_b32_e64 v20, 0, v21, s[36:37]
	v_cndmask_b32_e64 v21, 0, v26, s[38:39]
	v_sub_f32_e32 v26, v36, v42
	v_mul_f32_e32 v26, 0x3fb8aa3b, v26
	v_exp_f32_e32 v26, v26
	v_sub_f32_e32 v30, v37, v42
	v_add_f32_e32 v27, v27, v20
	v_mul_f32_e32 v30, 0x3fb8aa3b, v30
	v_exp_f32_e32 v31, v30
	v_add_f32_e32 v27, v27, v21
	v_cndmask_b32_e64 v30, 0, v26, s[20:21]
	v_add_f32_e32 v26, v27, v30
	v_sub_f32_e32 v27, v34, v42
	v_mul_f32_e32 v27, 0x3fb8aa3b, v27
	v_sub_f32_e32 v34, v35, v42
	v_exp_f32_e32 v27, v27
	v_mul_f32_e32 v34, 0x3fb8aa3b, v34
	v_sub_f32_e32 v22, v22, v42
	v_exp_f32_e32 v34, v34
	;; [unrolled: 3-line block ×3, first 2 shown]
	v_mul_f32_e32 v23, 0x3fb8aa3b, v23
	v_cndmask_b32_e64 v31, 0, v31, s[22:23]
	v_exp_f32_e32 v23, v23
	v_add_f32_e32 v35, v26, v31
	v_cndmask_b32_e64 v26, 0, v27, s[16:17]
	v_add_f32_e32 v35, v35, v26
	v_cndmask_b32_e64 v27, 0, v34, s[18:19]
	;; [unrolled: 2-line block ×4, first 2 shown]
	v_sub_f32_e32 v23, v32, v42
	v_mul_f32_e32 v23, 0x3fb8aa3b, v23
	v_sub_f32_e32 v32, v33, v42
	v_exp_f32_e32 v23, v23
	v_mul_f32_e32 v32, 0x3fb8aa3b, v32
	v_sub_f32_e32 v24, v24, v42
	v_exp_f32_e32 v32, v32
	;; [unrolled: 3-line block ×3, first 2 shown]
	v_mul_f32_e32 v25, 0x3fb8aa3b, v25
	v_exp_f32_e32 v25, v25
	v_add_f32_e32 v33, v22, v35
	v_cndmask_b32_e64 v22, 0, v23, s[8:9]
	v_add_f32_e32 v33, v33, v22
	v_cndmask_b32_e64 v23, 0, v32, s[10:11]
	v_add_f32_e32 v32, v33, v23
	v_cndmask_b32_e32 v24, 0, v24, vcc
	v_add_f32_e32 v32, v32, v24
	v_cndmask_b32_e64 v25, 0, v25, s[2:3]
	v_add_f32_e32 v32, v32, v25
	ds_bpermute_b32 v33, v43, v32
	v_cmp_gt_u32_e32 vcc, 16, v45
	s_waitcnt lgkmcnt(0)
	v_add_f32_e32 v32, v32, v33
	ds_bpermute_b32 v36, v44, v32
	v_lshlrev_b32_e32 v33, 2, v50
	s_and_saveexec_b64 s[2:3], vcc
	s_cbranch_execz .LBB885_397
; %bb.396:
	s_waitcnt lgkmcnt(0)
	v_add_f32_e32 v32, v32, v36
	v_lshl_or_b32 v36, v49, 6, v33
	ds_write2st64_b32 v36, v42, v32 offset1:1
.LBB885_397:
	s_or_b64 exec, exec, s[2:3]
	s_waitcnt lgkmcnt(0)
	s_barrier
	ds_read2_b32 v[36:37], v33 offset1:16
	ds_read2_b32 v[38:39], v33 offset0:32 offset1:48
	ds_read2_b32 v[40:41], v33 offset0:64 offset1:80
	s_lshl_b32 s12, s45, 3
	s_waitcnt lgkmcnt(2)
	v_max3_f32 v32, v36, s46, v37
	s_waitcnt lgkmcnt(1)
	v_max3_f32 v32, v32, v38, v39
	v_sub_f32_e32 v36, v36, v32
	v_mul_f32_e32 v36, 0x3fb8aa3b, v36
	v_exp_f32_e32 v42, v36
	v_sub_f32_e32 v36, v37, v32
	v_mul_f32_e32 v36, 0x3fb8aa3b, v36
	v_exp_f32_e32 v43, v36
	;; [unrolled: 3-line block ×3, first 2 shown]
	ds_read2_b32 v[36:37], v33 offset0:96 offset1:112
	v_sub_f32_e32 v33, v39, v32
	v_mul_f32_e32 v33, 0x3fb8aa3b, v33
	v_exp_f32_e32 v39, v33
	s_waitcnt lgkmcnt(1)
	v_fma_f32 v33, v42, v40, 0
	v_fmac_f32_e32 v33, v43, v41
	s_waitcnt lgkmcnt(0)
	v_fmac_f32_e32 v33, v38, v36
	v_fmac_f32_e32 v33, v39, v37
	v_add_f32_e32 v36, 0x358637bd, v33
	v_div_scale_f32 v37, s[2:3], v36, v36, 1.0
	v_rcp_f32_e32 v40, v37
	s_movk_i32 s2, 0x7fff
	s_mov_b32 s3, 0x7060302
	v_fma_f32 v41, -v37, v40, 1.0
	v_fmac_f32_e32 v40, v41, v40
	v_div_scale_f32 v41, vcc, 1.0, v36, 1.0
	v_mul_f32_e32 v44, v41, v40
	v_fma_f32 v45, -v37, v44, v41
	v_fmac_f32_e32 v44, v45, v40
	v_fma_f32 v37, -v37, v44, v41
	v_div_fmas_f32 v37, v37, v40, v44
	v_cmp_eq_u32_e32 vcc, 1, v49
	v_div_fixup_f32 v36, v37, v36, 1.0
	v_cndmask_b32_e32 v37, v42, v43, vcc
	v_cmp_eq_u32_e32 vcc, 2, v49
	v_cndmask_b32_e32 v37, v37, v38, vcc
	v_cmp_eq_u32_e32 vcc, 3, v49
	v_cndmask_b32_e32 v37, v37, v39, vcc
	v_mul_f32_e32 v36, v37, v36
	v_pk_mul_f32 v[18:19], v[36:37], v[18:19] op_sel_hi:[0,1]
	v_pk_mul_f32 v[28:29], v[36:37], v[28:29] op_sel_hi:[0,1]
	v_bfe_u32 v37, v19, 16, 1
	v_bfe_u32 v38, v18, 16, 1
	v_add3_u32 v18, v18, v38, s2
	v_add3_u32 v19, v19, v37, s2
	v_perm_b32 v18, v19, v18, s3
	v_bfe_u32 v19, v29, 16, 1
	v_bfe_u32 v37, v28, 16, 1
	v_add3_u32 v28, v28, v37, s2
	v_add3_u32 v19, v29, v19, s2
	v_perm_b32 v19, v19, v28, s3
	v_lshlrev_b32_e32 v28, 3, v1
	v_lshlrev_b32_e32 v29, 11, v49
	v_pk_mul_f32 v[20:21], v[36:37], v[20:21] op_sel_hi:[0,1]
	v_or3_b32 v28, v29, v48, v28
	v_pk_mul_f32 v[30:31], v[36:37], v[30:31] op_sel_hi:[0,1]
	v_bfe_u32 v29, v21, 16, 1
	v_bfe_u32 v37, v20, 16, 1
	v_add3_u32 v20, v20, v37, s2
	v_add3_u32 v21, v21, v29, s2
	v_perm_b32 v20, v21, v20, s3
	v_bfe_u32 v21, v31, 16, 1
	v_bfe_u32 v29, v30, 16, 1
	v_add3_u32 v29, v30, v29, s2
	v_add3_u32 v21, v31, v21, s2
	v_perm_b32 v21, v21, v29, s3
	s_barrier
	ds_write2st64_b64 v28, v[18:19], v[20:21] offset1:1
	v_pk_mul_f32 v[20:21], v[36:37], v[26:27] op_sel_hi:[0,1]
	v_bfe_u32 v26, v21, 16, 1
	v_bfe_u32 v27, v20, 16, 1
	v_pk_mul_f32 v[18:19], v[36:37], v[34:35] op_sel_hi:[0,1]
	v_add3_u32 v20, v20, v27, s2
	v_add3_u32 v21, v21, v26, s2
	v_perm_b32 v20, v21, v20, s3
	v_bfe_u32 v21, v19, 16, 1
	v_bfe_u32 v26, v18, 16, 1
	v_add3_u32 v18, v18, v26, s2
	v_add3_u32 v19, v19, v21, s2
	v_pk_mul_f32 v[22:23], v[36:37], v[22:23] op_sel_hi:[0,1]
	v_perm_b32 v21, v19, v18, s3
	v_pk_mul_f32 v[18:19], v[36:37], v[24:25] op_sel_hi:[0,1]
	v_bfe_u32 v24, v23, 16, 1
	v_bfe_u32 v25, v22, 16, 1
	v_add3_u32 v22, v22, v25, s2
	v_add3_u32 v23, v23, v24, s2
	v_perm_b32 v22, v23, v22, s3
	v_bfe_u32 v23, v19, 16, 1
	v_bfe_u32 v24, v18, 16, 1
	v_add3_u32 v18, v18, v24, s2
	v_add3_u32 v19, v19, v23, s2
	v_perm_b32 v23, v19, v18, s3
	v_cmp_gt_u32_e32 vcc, 8, v0
	ds_write2st64_b64 v28, v[20:21], v[22:23] offset0:2 offset1:3
	s_and_saveexec_b64 s[2:3], vcc
	s_cbranch_execz .LBB885_399
; %bb.398:
	v_or_b32_e32 v18, s25, v0
	v_mov_b32_e32 v19, 0
	v_mov_b32_e32 v20, s12
	v_mad_u64_u32 v[20:21], s[14:15], s6, v20, v[18:19]
	v_mov_b32_e32 v18, s24
	s_load_dwordx4 s[8:11], s[4:5], 0x58
	s_mul_i32 s7, s7, s12
	v_mad_u64_u32 v[18:19], s[14:15], v20, s44, v[18:19]
	v_add_u32_e32 v21, s7, v21
	v_mov_b32_e32 v20, v19
	v_mad_u64_u32 v[20:21], s[14:15], v21, s44, v[20:21]
	v_mov_b32_e32 v19, v20
	v_lshlrev_b64 v[18:19], 2, v[18:19]
	s_waitcnt lgkmcnt(0)
	v_mov_b32_e32 v21, s11
	v_add_co_u32_e32 v20, vcc, s10, v18
	v_addc_co_u32_e32 v21, vcc, v21, v19, vcc
	global_store_dword v[20:21], v32, off
	v_mov_b32_e32 v20, s9
	v_add_co_u32_e32 v18, vcc, s8, v18
	v_addc_co_u32_e32 v19, vcc, v20, v19, vcc
	global_store_dword v[18:19], v33, off
.LBB885_399:
	s_or_b64 exec, exec, s[2:3]
	v_mov_b32_e32 v19, 0
	s_waitcnt vmcnt(3)
	v_cmp_ne_u16_sdwa s[8:9], v14, v19 src0_sel:BYTE_0 src1_sel:DWORD
	v_mov_b32_e32 v20, 0
	s_waitcnt lgkmcnt(0)
	s_barrier
	s_and_saveexec_b64 s[2:3], s[8:9]
	s_cbranch_execz .LBB885_405
; %bb.400:
	s_movk_i32 s7, 0x80
	v_cmp_ne_u16_sdwa s[10:11], v14, s7 src0_sel:BYTE_0 src1_sel:DWORD
	v_mov_b32_e32 v20, 0xffff8000
	s_and_saveexec_b64 s[8:9], s[10:11]
	s_cbranch_execz .LBB885_404
; %bb.401:
	s_movk_i32 s7, 0x7f
	v_and_b32_e32 v18, 0x7f, v14
	v_cmp_ne_u32_e32 vcc, s7, v18
	v_mov_b32_e32 v20, 0x7f80
	s_and_saveexec_b64 s[10:11], vcc
	s_cbranch_execz .LBB885_403
; %bb.402:
	v_and_b32_e32 v22, 7, v14
	v_ffbh_u32_e32 v20, v22
	v_min_u32_e32 v24, 32, v20
	v_subrev_u32_e32 v20, 28, v24
	v_lshlrev_b64 v[20:21], v20, v[14:15]
	v_lshrrev_b32_e32 v23, 3, v18
	v_sub_u32_e32 v21, 29, v24
	v_and_b32_e32 v20, 7, v20
	v_cmp_gt_u32_e32 vcc, 8, v18
	v_cndmask_b32_e32 v18, v23, v21, vcc
	v_cndmask_b32_e32 v20, v22, v20, vcc
	v_lshlrev_b32_e32 v21, 24, v14
	v_bfrev_b32_e32 v22, 60
	v_lshlrev_b32_e32 v20, 20, v20
	v_and_b32_e32 v21, 0x80000000, v21
	v_lshl_add_u32 v18, v18, 23, v22
	v_or3_b32 v18, v21, v18, v20
	v_lshrrev_b32_e32 v20, 16, v18
.LBB885_403:
	s_or_b64 exec, exec, s[10:11]
.LBB885_404:
	s_or_b64 exec, exec, s[8:9]
.LBB885_405:
	s_or_b64 exec, exec, s[2:3]
	v_lshrrev_b16_e32 v18, 8, v14
	v_cmp_ne_u16_e32 vcc, 0, v18
	s_and_saveexec_b64 s[2:3], vcc
	s_cbranch_execz .LBB885_411
; %bb.406:
	s_movk_i32 s7, 0x80
	v_cmp_ne_u16_e32 vcc, s7, v18
	v_mov_b32_e32 v19, 0xffff8000
	s_and_saveexec_b64 s[8:9], vcc
	s_cbranch_execz .LBB885_410
; %bb.407:
	s_movk_i32 s7, 0x7f
	v_and_b32_e32 v21, 0x7f, v18
	v_cmp_ne_u32_e32 vcc, s7, v21
	v_mov_b32_e32 v19, 0x7f80
	s_and_saveexec_b64 s[10:11], vcc
	s_cbranch_execz .LBB885_409
; %bb.408:
	v_and_b32_e32 v22, 7, v18
	v_ffbh_u32_e32 v19, v22
	v_min_u32_e32 v24, 32, v19
	v_subrev_u32_e32 v19, 28, v24
	v_lshlrev_b64 v[18:19], v19, v[18:19]
	v_lshrrev_b32_e32 v23, 3, v21
	v_sub_u32_e32 v19, 29, v24
	v_and_b32_e32 v18, 7, v18
	v_cmp_gt_u32_e32 vcc, 8, v21
	v_cndmask_b32_e32 v19, v23, v19, vcc
	v_cndmask_b32_e32 v18, v22, v18, vcc
	v_lshlrev_b32_e32 v21, 16, v14
	v_bfrev_b32_e32 v22, 60
	v_lshlrev_b32_e32 v18, 20, v18
	v_and_b32_e32 v21, 0x80000000, v21
	v_lshl_add_u32 v19, v19, 23, v22
	v_or3_b32 v18, v21, v19, v18
	v_lshrrev_b32_e32 v19, 16, v18
.LBB885_409:
	s_or_b64 exec, exec, s[10:11]
.LBB885_410:
	s_or_b64 exec, exec, s[8:9]
.LBB885_411:
	s_or_b64 exec, exec, s[2:3]
	s_movk_i32 s2, 0xff
	v_and_b32_sdwa v23, v14, s2 dst_sel:DWORD dst_unused:UNUSED_PAD src0_sel:WORD_1 src1_sel:DWORD
	v_lshrrev_b32_e32 v18, 16, v14
	v_cmp_ne_u16_e32 vcc, 0, v23
	v_mov_b32_e32 v21, 0
	v_mov_b32_e32 v22, 0
	s_and_saveexec_b64 s[2:3], vcc
	s_cbranch_execz .LBB885_417
; %bb.412:
	s_movk_i32 s7, 0x80
	v_cmp_ne_u16_e32 vcc, s7, v23
	v_mov_b32_e32 v22, 0xffff8000
	s_and_saveexec_b64 s[8:9], vcc
	s_cbranch_execz .LBB885_416
; %bb.413:
	v_bfe_u32 v23, v14, 16, 7
	s_movk_i32 s7, 0x7f
	v_cmp_ne_u32_e32 vcc, s7, v23
	v_mov_b32_e32 v22, 0x7f80
	s_and_saveexec_b64 s[10:11], vcc
	s_cbranch_execz .LBB885_415
; %bb.414:
	v_and_b32_e32 v22, 7, v18
	v_ffbh_u32_e32 v24, v22
	v_min_u32_e32 v27, 32, v24
	v_subrev_u32_e32 v24, 28, v27
	v_lshlrev_b64 v[24:25], v24, v[18:19]
	v_lshrrev_b32_e32 v26, 3, v23
	v_sub_u32_e32 v18, 29, v27
	v_and_b32_e32 v24, 7, v24
	v_cmp_gt_u32_e32 vcc, 8, v23
	v_mov_b32_e32 v23, 24
	v_cndmask_b32_e32 v18, v26, v18, vcc
	v_cndmask_b32_e32 v22, v22, v24, vcc
	v_lshlrev_b32_sdwa v23, v23, v14 dst_sel:DWORD dst_unused:UNUSED_PAD src0_sel:DWORD src1_sel:WORD_1
	v_bfrev_b32_e32 v24, 60
	v_lshlrev_b32_e32 v22, 20, v22
	v_and_b32_e32 v23, 0x80000000, v23
	v_lshl_add_u32 v18, v18, 23, v24
	v_or3_b32 v18, v23, v18, v22
	v_lshrrev_b32_e32 v22, 16, v18
.LBB885_415:
	s_or_b64 exec, exec, s[10:11]
.LBB885_416:
	s_or_b64 exec, exec, s[8:9]
.LBB885_417:
	s_or_b64 exec, exec, s[2:3]
	s_mov_b32 s2, 0xffffff
	v_cmp_lt_u32_e32 vcc, s2, v14
	s_and_saveexec_b64 s[2:3], vcc
	s_cbranch_execz .LBB885_423
; %bb.418:
	v_lshrrev_b32_e32 v18, 24, v14
	s_movk_i32 s7, 0x80
	v_cmp_ne_u32_e32 vcc, s7, v18
	v_mov_b32_e32 v21, 0xffff8000
	s_and_saveexec_b64 s[8:9], vcc
	s_cbranch_execz .LBB885_422
; %bb.419:
	v_bfe_u32 v14, v14, 24, 7
	s_movk_i32 s7, 0x7f
	v_cmp_ne_u32_e32 vcc, s7, v14
	v_mov_b32_e32 v21, 0x7f80
	s_and_saveexec_b64 s[10:11], vcc
	s_cbranch_execz .LBB885_421
; %bb.420:
	v_and_b32_e32 v21, 7, v18
	v_ffbh_u32_e32 v24, v21
	v_min_u32_e32 v26, 32, v24
	v_subrev_u32_e32 v24, 28, v26
	v_lshlrev_b64 v[24:25], v24, v[18:19]
	v_lshrrev_b32_e32 v23, 3, v14
	v_sub_u32_e32 v25, 29, v26
	v_and_b32_e32 v24, 7, v24
	v_cmp_gt_u32_e32 vcc, 8, v14
	v_cndmask_b32_e32 v14, v23, v25, vcc
	v_cndmask_b32_e32 v21, v21, v24, vcc
	v_lshlrev_b32_e32 v18, 24, v18
	v_bfrev_b32_e32 v23, 60
	v_lshlrev_b32_e32 v21, 20, v21
	v_and_b32_e32 v18, 0x80000000, v18
	v_lshl_add_u32 v14, v14, 23, v23
	v_or3_b32 v14, v18, v14, v21
	v_lshrrev_b32_e32 v21, 16, v14
.LBB885_421:
	s_or_b64 exec, exec, s[10:11]
.LBB885_422:
	s_or_b64 exec, exec, s[8:9]
.LBB885_423:
	s_or_b64 exec, exec, s[2:3]
	v_mov_b32_e32 v18, 0
	v_cmp_ne_u16_sdwa s[8:9], v15, v18 src0_sel:BYTE_0 src1_sel:DWORD
	v_mov_b32_e32 v23, 0
	s_and_saveexec_b64 s[2:3], s[8:9]
	s_cbranch_execz .LBB885_429
; %bb.424:
	s_movk_i32 s7, 0x80
	v_cmp_ne_u16_sdwa s[10:11], v15, s7 src0_sel:BYTE_0 src1_sel:DWORD
	v_mov_b32_e32 v23, 0xffff8000
	s_and_saveexec_b64 s[8:9], s[10:11]
	s_cbranch_execz .LBB885_428
; %bb.425:
	s_movk_i32 s7, 0x7f
	v_and_b32_e32 v14, 0x7f, v15
	v_cmp_ne_u32_e32 vcc, s7, v14
	v_mov_b32_e32 v23, 0x7f80
	s_and_saveexec_b64 s[10:11], vcc
	s_cbranch_execz .LBB885_427
; %bb.426:
	v_and_b32_e32 v23, 7, v15
	v_ffbh_u32_e32 v25, v23
	v_min_u32_e32 v27, 32, v25
	v_mov_b32_e32 v24, v15
	v_subrev_u32_e32 v25, 28, v27
	v_lshlrev_b64 v[24:25], v25, v[24:25]
	v_lshrrev_b32_e32 v26, 3, v14
	v_sub_u32_e32 v25, 29, v27
	v_and_b32_e32 v24, 7, v24
	v_cmp_gt_u32_e32 vcc, 8, v14
	v_cndmask_b32_e32 v14, v26, v25, vcc
	v_cndmask_b32_e32 v23, v23, v24, vcc
	v_lshlrev_b32_e32 v24, 24, v15
	v_bfrev_b32_e32 v25, 60
	v_lshlrev_b32_e32 v23, 20, v23
	v_and_b32_e32 v24, 0x80000000, v24
	v_lshl_add_u32 v14, v14, 23, v25
	v_or3_b32 v14, v24, v14, v23
	v_lshrrev_b32_e32 v23, 16, v14
.LBB885_427:
	s_or_b64 exec, exec, s[10:11]
.LBB885_428:
	s_or_b64 exec, exec, s[8:9]
.LBB885_429:
	s_or_b64 exec, exec, s[2:3]
	v_lshrrev_b16_e32 v14, 8, v15
	v_cmp_ne_u16_e32 vcc, 0, v14
	s_and_saveexec_b64 s[2:3], vcc
	s_cbranch_execz .LBB885_435
; %bb.430:
	s_movk_i32 s7, 0x80
	v_cmp_ne_u16_e32 vcc, s7, v14
	v_mov_b32_e32 v18, 0xffff8000
	s_and_saveexec_b64 s[8:9], vcc
	s_cbranch_execz .LBB885_434
; %bb.431:
	s_movk_i32 s7, 0x7f
	v_and_b32_e32 v24, 0x7f, v14
	v_cmp_ne_u32_e32 vcc, s7, v24
	v_mov_b32_e32 v18, 0x7f80
	s_and_saveexec_b64 s[10:11], vcc
	s_cbranch_execz .LBB885_433
; %bb.432:
	v_and_b32_e32 v18, 7, v14
	v_ffbh_u32_e32 v26, v18
	v_min_u32_e32 v29, 32, v26
	v_subrev_u32_e32 v26, 28, v29
	v_lshlrev_b64 v[26:27], v26, v[14:15]
	v_lshrrev_b32_e32 v25, 3, v24
	v_sub_u32_e32 v14, 29, v29
	v_and_b32_e32 v26, 7, v26
	v_cmp_gt_u32_e32 vcc, 8, v24
	v_cndmask_b32_e32 v14, v25, v14, vcc
	v_cndmask_b32_e32 v18, v18, v26, vcc
	v_lshlrev_b32_e32 v24, 16, v15
	v_bfrev_b32_e32 v25, 60
	v_lshlrev_b32_e32 v18, 20, v18
	v_and_b32_e32 v24, 0x80000000, v24
	v_lshl_add_u32 v14, v14, 23, v25
	v_or3_b32 v14, v24, v14, v18
	v_lshrrev_b32_e32 v18, 16, v14
.LBB885_433:
	s_or_b64 exec, exec, s[10:11]
.LBB885_434:
	s_or_b64 exec, exec, s[8:9]
.LBB885_435:
	s_or_b64 exec, exec, s[2:3]
	s_movk_i32 s2, 0xff
	v_and_b32_sdwa v26, v15, s2 dst_sel:DWORD dst_unused:UNUSED_PAD src0_sel:WORD_1 src1_sel:DWORD
	v_lshrrev_b32_e32 v14, 16, v15
	v_cmp_ne_u16_e32 vcc, 0, v26
	v_mov_b32_e32 v24, 0
	v_mov_b32_e32 v25, 0
	s_and_saveexec_b64 s[2:3], vcc
	s_cbranch_execz .LBB885_441
; %bb.436:
	s_movk_i32 s7, 0x80
	v_cmp_ne_u16_e32 vcc, s7, v26
	v_mov_b32_e32 v25, 0xffff8000
	s_and_saveexec_b64 s[8:9], vcc
	s_cbranch_execz .LBB885_440
; %bb.437:
	v_bfe_u32 v26, v15, 16, 7
	s_movk_i32 s7, 0x7f
	v_cmp_ne_u32_e32 vcc, s7, v26
	v_mov_b32_e32 v25, 0x7f80
	s_and_saveexec_b64 s[10:11], vcc
	s_cbranch_execz .LBB885_439
; %bb.438:
	v_and_b32_e32 v25, 7, v14
	v_ffbh_u32_e32 v29, v25
	v_min_u32_e32 v29, 32, v29
	v_subrev_u32_e32 v30, 28, v29
	v_lshlrev_b64 v[30:31], v30, v[14:15]
	v_lshrrev_b32_e32 v27, 3, v26
	v_sub_u32_e32 v14, 29, v29
	v_and_b32_e32 v29, 7, v30
	v_cmp_gt_u32_e32 vcc, 8, v26
	v_mov_b32_e32 v26, 24
	v_cndmask_b32_e32 v14, v27, v14, vcc
	v_cndmask_b32_e32 v25, v25, v29, vcc
	v_lshlrev_b32_sdwa v26, v26, v15 dst_sel:DWORD dst_unused:UNUSED_PAD src0_sel:DWORD src1_sel:WORD_1
	v_bfrev_b32_e32 v27, 60
	v_lshlrev_b32_e32 v25, 20, v25
	v_and_b32_e32 v26, 0x80000000, v26
	v_lshl_add_u32 v14, v14, 23, v27
	v_or3_b32 v14, v26, v14, v25
	v_lshrrev_b32_e32 v25, 16, v14
.LBB885_439:
	s_or_b64 exec, exec, s[10:11]
.LBB885_440:
	s_or_b64 exec, exec, s[8:9]
.LBB885_441:
	s_or_b64 exec, exec, s[2:3]
	s_mov_b32 s2, 0xffffff
	v_cmp_lt_u32_e32 vcc, s2, v15
	s_and_saveexec_b64 s[2:3], vcc
	s_cbranch_execz .LBB885_447
; %bb.442:
	v_lshrrev_b32_e32 v14, 24, v15
	s_movk_i32 s7, 0x80
	v_cmp_ne_u32_e32 vcc, s7, v14
	v_mov_b32_e32 v24, 0xffff8000
	s_and_saveexec_b64 s[8:9], vcc
	s_cbranch_execz .LBB885_446
; %bb.443:
	v_bfe_u32 v15, v15, 24, 7
	s_movk_i32 s7, 0x7f
	v_cmp_ne_u32_e32 vcc, s7, v15
	v_mov_b32_e32 v24, 0x7f80
	s_and_saveexec_b64 s[10:11], vcc
	s_cbranch_execz .LBB885_445
; %bb.444:
	v_and_b32_e32 v24, 7, v14
	v_ffbh_u32_e32 v26, v24
	v_min_u32_e32 v30, 32, v26
	v_subrev_u32_e32 v26, 28, v30
	v_lshlrev_b64 v[26:27], v26, v[14:15]
	v_lshrrev_b32_e32 v29, 3, v15
	v_sub_u32_e32 v27, 29, v30
	v_and_b32_e32 v26, 7, v26
	v_cmp_gt_u32_e32 vcc, 8, v15
	v_cndmask_b32_e32 v15, v29, v27, vcc
	v_cndmask_b32_e32 v24, v24, v26, vcc
	v_lshlrev_b32_e32 v14, 24, v14
	v_bfrev_b32_e32 v26, 60
	v_lshlrev_b32_e32 v24, 20, v24
	v_and_b32_e32 v14, 0x80000000, v14
	v_lshl_add_u32 v15, v15, 23, v26
	v_or3_b32 v14, v14, v15, v24
	v_lshrrev_b32_e32 v24, 16, v14
.LBB885_445:
	s_or_b64 exec, exec, s[10:11]
.LBB885_446:
	s_or_b64 exec, exec, s[8:9]
.LBB885_447:
	s_or_b64 exec, exec, s[2:3]
	s_mov_b32 s2, 0x5040100
	v_perm_b32 v15, v21, v22, s2
	v_lshl_or_b32 v22, v1, 9, v48
	v_perm_b32 v14, v19, v20, s2
	ds_read_b128 v[30:33], v22
	v_perm_b32 v19, v24, v25, s2
	v_perm_b32 v18, v18, v23, s2
	s_waitcnt lgkmcnt(0)
	v_mfma_f32_16x16x16bf16_1k v[34:37], v[14:15], v[30:31], 0
	v_mov_b32_e32 v15, 0
	v_cmp_ne_u16_sdwa s[8:9], v16, v15 src0_sel:BYTE_0 src1_sel:DWORD
	v_mov_b32_e32 v23, 0
	v_mfma_f32_16x16x16bf16_1k v[18:21], v[18:19], v[32:33], v[34:37]
	s_and_saveexec_b64 s[2:3], s[8:9]
	s_cbranch_execz .LBB885_453
; %bb.448:
	s_movk_i32 s7, 0x80
	v_cmp_ne_u16_sdwa s[10:11], v16, s7 src0_sel:BYTE_0 src1_sel:DWORD
	v_mov_b32_e32 v23, 0xffff8000
	s_and_saveexec_b64 s[8:9], s[10:11]
	s_cbranch_execz .LBB885_452
; %bb.449:
	s_movk_i32 s7, 0x7f
	v_and_b32_e32 v14, 0x7f, v16
	v_cmp_ne_u32_e32 vcc, s7, v14
	v_mov_b32_e32 v23, 0x7f80
	s_and_saveexec_b64 s[10:11], vcc
	s_cbranch_execz .LBB885_451
; %bb.450:
	v_and_b32_e32 v23, 7, v16
	v_ffbh_u32_e32 v24, v23
	v_min_u32_e32 v27, 32, v24
	v_subrev_u32_e32 v24, 28, v27
	v_lshlrev_b64 v[24:25], v24, v[16:17]
	v_lshrrev_b32_e32 v26, 3, v14
	v_sub_u32_e32 v25, 29, v27
	v_and_b32_e32 v24, 7, v24
	v_cmp_gt_u32_e32 vcc, 8, v14
	v_cndmask_b32_e32 v14, v26, v25, vcc
	v_cndmask_b32_e32 v23, v23, v24, vcc
	v_lshlrev_b32_e32 v24, 24, v16
	v_bfrev_b32_e32 v25, 60
	v_lshlrev_b32_e32 v23, 20, v23
	v_and_b32_e32 v24, 0x80000000, v24
	v_lshl_add_u32 v14, v14, 23, v25
	v_or3_b32 v14, v24, v14, v23
	v_lshrrev_b32_e32 v23, 16, v14
.LBB885_451:
	s_or_b64 exec, exec, s[10:11]
.LBB885_452:
	s_or_b64 exec, exec, s[8:9]
.LBB885_453:
	s_or_b64 exec, exec, s[2:3]
	v_lshrrev_b16_e32 v14, 8, v16
	v_cmp_ne_u16_e32 vcc, 0, v14
	s_and_saveexec_b64 s[2:3], vcc
	s_cbranch_execz .LBB885_459
; %bb.454:
	s_movk_i32 s7, 0x80
	v_cmp_ne_u16_e32 vcc, s7, v14
	v_mov_b32_e32 v15, 0xffff8000
	s_and_saveexec_b64 s[8:9], vcc
	s_cbranch_execz .LBB885_458
; %bb.455:
	s_movk_i32 s7, 0x7f
	v_and_b32_e32 v24, 0x7f, v14
	v_cmp_ne_u32_e32 vcc, s7, v24
	v_mov_b32_e32 v15, 0x7f80
	s_and_saveexec_b64 s[10:11], vcc
	s_cbranch_execz .LBB885_457
; %bb.456:
	v_and_b32_e32 v25, 7, v14
	v_ffbh_u32_e32 v15, v25
	v_min_u32_e32 v27, 32, v15
	v_subrev_u32_e32 v15, 28, v27
	v_lshlrev_b64 v[14:15], v15, v[14:15]
	v_lshrrev_b32_e32 v26, 3, v24
	v_sub_u32_e32 v15, 29, v27
	v_and_b32_e32 v14, 7, v14
	v_cmp_gt_u32_e32 vcc, 8, v24
	v_cndmask_b32_e32 v15, v26, v15, vcc
	v_cndmask_b32_e32 v14, v25, v14, vcc
	v_lshlrev_b32_e32 v24, 16, v16
	v_bfrev_b32_e32 v25, 60
	v_lshlrev_b32_e32 v14, 20, v14
	v_and_b32_e32 v24, 0x80000000, v24
	v_lshl_add_u32 v15, v15, 23, v25
	v_or3_b32 v14, v24, v15, v14
	v_lshrrev_b32_e32 v15, 16, v14
.LBB885_457:
	s_or_b64 exec, exec, s[10:11]
.LBB885_458:
	s_or_b64 exec, exec, s[8:9]
.LBB885_459:
	s_or_b64 exec, exec, s[2:3]
	s_movk_i32 s2, 0xff
	v_and_b32_sdwa v26, v16, s2 dst_sel:DWORD dst_unused:UNUSED_PAD src0_sel:WORD_1 src1_sel:DWORD
	v_lshrrev_b32_e32 v14, 16, v16
	v_cmp_ne_u16_e32 vcc, 0, v26
	v_mov_b32_e32 v24, 0
	v_mov_b32_e32 v25, 0
	s_and_saveexec_b64 s[2:3], vcc
	s_cbranch_execz .LBB885_465
; %bb.460:
	s_movk_i32 s7, 0x80
	v_cmp_ne_u16_e32 vcc, s7, v26
	v_mov_b32_e32 v25, 0xffff8000
	s_and_saveexec_b64 s[8:9], vcc
	s_cbranch_execz .LBB885_464
; %bb.461:
	v_bfe_u32 v26, v16, 16, 7
	s_movk_i32 s7, 0x7f
	v_cmp_ne_u32_e32 vcc, s7, v26
	v_mov_b32_e32 v25, 0x7f80
	s_and_saveexec_b64 s[10:11], vcc
	s_cbranch_execz .LBB885_463
; %bb.462:
	v_and_b32_e32 v25, 7, v14
	v_ffbh_u32_e32 v29, v25
	v_min_u32_e32 v29, 32, v29
	v_subrev_u32_e32 v30, 28, v29
	v_lshlrev_b64 v[30:31], v30, v[14:15]
	v_lshrrev_b32_e32 v27, 3, v26
	v_sub_u32_e32 v14, 29, v29
	v_and_b32_e32 v29, 7, v30
	v_cmp_gt_u32_e32 vcc, 8, v26
	v_mov_b32_e32 v26, 24
	v_cndmask_b32_e32 v14, v27, v14, vcc
	v_cndmask_b32_e32 v25, v25, v29, vcc
	v_lshlrev_b32_sdwa v26, v26, v16 dst_sel:DWORD dst_unused:UNUSED_PAD src0_sel:DWORD src1_sel:WORD_1
	v_bfrev_b32_e32 v27, 60
	v_lshlrev_b32_e32 v25, 20, v25
	v_and_b32_e32 v26, 0x80000000, v26
	v_lshl_add_u32 v14, v14, 23, v27
	v_or3_b32 v14, v26, v14, v25
	v_lshrrev_b32_e32 v25, 16, v14
.LBB885_463:
	s_or_b64 exec, exec, s[10:11]
.LBB885_464:
	s_or_b64 exec, exec, s[8:9]
.LBB885_465:
	s_or_b64 exec, exec, s[2:3]
	s_mov_b32 s2, 0xffffff
	v_cmp_lt_u32_e32 vcc, s2, v16
	s_and_saveexec_b64 s[2:3], vcc
	s_cbranch_execz .LBB885_471
; %bb.466:
	v_lshrrev_b32_e32 v14, 24, v16
	s_movk_i32 s7, 0x80
	v_cmp_ne_u32_e32 vcc, s7, v14
	v_mov_b32_e32 v24, 0xffff8000
	s_and_saveexec_b64 s[8:9], vcc
	s_cbranch_execz .LBB885_470
; %bb.467:
	v_bfe_u32 v16, v16, 24, 7
	s_movk_i32 s7, 0x7f
	v_cmp_ne_u32_e32 vcc, s7, v16
	v_mov_b32_e32 v24, 0x7f80
	s_and_saveexec_b64 s[10:11], vcc
	s_cbranch_execz .LBB885_469
; %bb.468:
	v_and_b32_e32 v24, 7, v14
	v_ffbh_u32_e32 v26, v24
	v_min_u32_e32 v30, 32, v26
	v_subrev_u32_e32 v26, 28, v30
	v_lshlrev_b64 v[26:27], v26, v[14:15]
	v_lshrrev_b32_e32 v29, 3, v16
	v_sub_u32_e32 v27, 29, v30
	v_and_b32_e32 v26, 7, v26
	v_cmp_gt_u32_e32 vcc, 8, v16
	v_cndmask_b32_e32 v16, v29, v27, vcc
	v_cndmask_b32_e32 v24, v24, v26, vcc
	v_lshlrev_b32_e32 v14, 24, v14
	v_bfrev_b32_e32 v26, 60
	v_lshlrev_b32_e32 v24, 20, v24
	v_and_b32_e32 v14, 0x80000000, v14
	v_lshl_add_u32 v16, v16, 23, v26
	v_or3_b32 v14, v14, v16, v24
	v_lshrrev_b32_e32 v24, 16, v14
.LBB885_469:
	s_or_b64 exec, exec, s[10:11]
.LBB885_470:
	s_or_b64 exec, exec, s[8:9]
.LBB885_471:
	s_or_b64 exec, exec, s[2:3]
	v_mov_b32_e32 v16, 0
	v_cmp_ne_u16_sdwa s[8:9], v17, v16 src0_sel:BYTE_0 src1_sel:DWORD
	v_mov_b32_e32 v26, 0
	s_and_saveexec_b64 s[2:3], s[8:9]
	s_cbranch_execz .LBB885_477
; %bb.472:
	s_movk_i32 s7, 0x80
	v_cmp_ne_u16_sdwa s[10:11], v17, s7 src0_sel:BYTE_0 src1_sel:DWORD
	v_mov_b32_e32 v26, 0xffff8000
	s_and_saveexec_b64 s[8:9], s[10:11]
	s_cbranch_execz .LBB885_476
; %bb.473:
	s_movk_i32 s7, 0x7f
	v_and_b32_e32 v14, 0x7f, v17
	v_cmp_ne_u32_e32 vcc, s7, v14
	v_mov_b32_e32 v26, 0x7f80
	s_and_saveexec_b64 s[10:11], vcc
	s_cbranch_execz .LBB885_475
; %bb.474:
	v_and_b32_e32 v29, 7, v17
	v_ffbh_u32_e32 v27, v29
	v_min_u32_e32 v31, 32, v27
	v_mov_b32_e32 v26, v17
	v_subrev_u32_e32 v27, 28, v31
	v_lshlrev_b64 v[26:27], v27, v[26:27]
	v_lshrrev_b32_e32 v30, 3, v14
	v_sub_u32_e32 v27, 29, v31
	v_and_b32_e32 v26, 7, v26
	v_cmp_gt_u32_e32 vcc, 8, v14
	v_cndmask_b32_e32 v14, v30, v27, vcc
	v_cndmask_b32_e32 v26, v29, v26, vcc
	v_lshlrev_b32_e32 v27, 24, v17
	v_bfrev_b32_e32 v29, 60
	v_lshlrev_b32_e32 v26, 20, v26
	v_and_b32_e32 v27, 0x80000000, v27
	v_lshl_add_u32 v14, v14, 23, v29
	v_or3_b32 v14, v27, v14, v26
	v_lshrrev_b32_e32 v26, 16, v14
.LBB885_475:
	s_or_b64 exec, exec, s[10:11]
.LBB885_476:
	s_or_b64 exec, exec, s[8:9]
.LBB885_477:
	s_or_b64 exec, exec, s[2:3]
	v_lshrrev_b16_e32 v14, 8, v17
	v_cmp_ne_u16_e32 vcc, 0, v14
	s_and_saveexec_b64 s[2:3], vcc
	s_cbranch_execz .LBB885_483
; %bb.478:
	s_movk_i32 s7, 0x80
	v_cmp_ne_u16_e32 vcc, s7, v14
	v_mov_b32_e32 v16, 0xffff8000
	s_and_saveexec_b64 s[8:9], vcc
	s_cbranch_execz .LBB885_482
; %bb.479:
	s_movk_i32 s7, 0x7f
	v_and_b32_e32 v27, 0x7f, v14
	v_cmp_ne_u32_e32 vcc, s7, v27
	v_mov_b32_e32 v16, 0x7f80
	s_and_saveexec_b64 s[10:11], vcc
	s_cbranch_execz .LBB885_481
; %bb.480:
	v_and_b32_e32 v16, 7, v14
	v_ffbh_u32_e32 v30, v16
	v_min_u32_e32 v32, 32, v30
	v_subrev_u32_e32 v30, 28, v32
	v_lshlrev_b64 v[30:31], v30, v[14:15]
	v_lshrrev_b32_e32 v29, 3, v27
	v_sub_u32_e32 v14, 29, v32
	v_and_b32_e32 v30, 7, v30
	v_cmp_gt_u32_e32 vcc, 8, v27
	v_cndmask_b32_e32 v14, v29, v14, vcc
	v_cndmask_b32_e32 v16, v16, v30, vcc
	v_lshlrev_b32_e32 v27, 16, v17
	v_bfrev_b32_e32 v29, 60
	v_lshlrev_b32_e32 v16, 20, v16
	v_and_b32_e32 v27, 0x80000000, v27
	v_lshl_add_u32 v14, v14, 23, v29
	v_or3_b32 v14, v27, v14, v16
	v_lshrrev_b32_e32 v16, 16, v14
.LBB885_481:
	s_or_b64 exec, exec, s[10:11]
.LBB885_482:
	s_or_b64 exec, exec, s[8:9]
.LBB885_483:
	s_or_b64 exec, exec, s[2:3]
	s_movk_i32 s2, 0xff
	v_and_b32_sdwa v30, v17, s2 dst_sel:DWORD dst_unused:UNUSED_PAD src0_sel:WORD_1 src1_sel:DWORD
	v_lshrrev_b32_e32 v14, 16, v17
	v_cmp_ne_u16_e32 vcc, 0, v30
	v_mov_b32_e32 v27, 0
	v_mov_b32_e32 v29, 0
	s_and_saveexec_b64 s[2:3], vcc
	s_cbranch_execz .LBB885_489
; %bb.484:
	s_movk_i32 s7, 0x80
	v_cmp_ne_u16_e32 vcc, s7, v30
	v_mov_b32_e32 v29, 0xffff8000
	s_and_saveexec_b64 s[8:9], vcc
	s_cbranch_execz .LBB885_488
; %bb.485:
	v_bfe_u32 v30, v17, 16, 7
	s_movk_i32 s7, 0x7f
	v_cmp_ne_u32_e32 vcc, s7, v30
	v_mov_b32_e32 v29, 0x7f80
	s_and_saveexec_b64 s[10:11], vcc
	s_cbranch_execz .LBB885_487
; %bb.486:
	v_and_b32_e32 v29, 7, v14
	v_ffbh_u32_e32 v32, v29
	v_min_u32_e32 v34, 32, v32
	v_subrev_u32_e32 v32, 28, v34
	v_lshlrev_b64 v[32:33], v32, v[14:15]
	v_lshrrev_b32_e32 v31, 3, v30
	v_sub_u32_e32 v14, 29, v34
	v_and_b32_e32 v32, 7, v32
	v_cmp_gt_u32_e32 vcc, 8, v30
	v_mov_b32_e32 v30, 24
	v_cndmask_b32_e32 v14, v31, v14, vcc
	v_cndmask_b32_e32 v29, v29, v32, vcc
	v_lshlrev_b32_sdwa v30, v30, v17 dst_sel:DWORD dst_unused:UNUSED_PAD src0_sel:DWORD src1_sel:WORD_1
	v_bfrev_b32_e32 v31, 60
	v_lshlrev_b32_e32 v29, 20, v29
	v_and_b32_e32 v30, 0x80000000, v30
	v_lshl_add_u32 v14, v14, 23, v31
	v_or3_b32 v14, v30, v14, v29
	v_lshrrev_b32_e32 v29, 16, v14
.LBB885_487:
	s_or_b64 exec, exec, s[10:11]
.LBB885_488:
	s_or_b64 exec, exec, s[8:9]
.LBB885_489:
	s_or_b64 exec, exec, s[2:3]
	s_mov_b32 s2, 0xffffff
	v_cmp_lt_u32_e32 vcc, s2, v17
	s_and_saveexec_b64 s[2:3], vcc
	s_cbranch_execz .LBB885_495
; %bb.490:
	v_lshrrev_b32_e32 v14, 24, v17
	s_movk_i32 s7, 0x80
	v_cmp_ne_u32_e32 vcc, s7, v14
	v_mov_b32_e32 v27, 0xffff8000
	s_and_saveexec_b64 s[8:9], vcc
	s_cbranch_execz .LBB885_494
; %bb.491:
	v_bfe_u32 v17, v17, 24, 7
	s_movk_i32 s7, 0x7f
	v_cmp_ne_u32_e32 vcc, s7, v17
	v_mov_b32_e32 v27, 0x7f80
	s_and_saveexec_b64 s[10:11], vcc
	s_cbranch_execz .LBB885_493
; %bb.492:
	v_and_b32_e32 v27, 7, v14
	v_ffbh_u32_e32 v30, v27
	v_min_u32_e32 v33, 32, v30
	v_subrev_u32_e32 v30, 28, v33
	v_lshlrev_b64 v[30:31], v30, v[14:15]
	v_lshrrev_b32_e32 v32, 3, v17
	v_sub_u32_e32 v31, 29, v33
	v_and_b32_e32 v30, 7, v30
	v_cmp_gt_u32_e32 vcc, 8, v17
	v_cndmask_b32_e32 v17, v32, v31, vcc
	v_cndmask_b32_e32 v27, v27, v30, vcc
	v_lshlrev_b32_e32 v14, 24, v14
	v_bfrev_b32_e32 v30, 60
	v_lshlrev_b32_e32 v27, 20, v27
	v_and_b32_e32 v14, 0x80000000, v14
	v_lshl_add_u32 v17, v17, 23, v30
	v_or3_b32 v14, v14, v17, v27
	v_lshrrev_b32_e32 v27, 16, v14
.LBB885_493:
	s_or_b64 exec, exec, s[10:11]
.LBB885_494:
	s_or_b64 exec, exec, s[8:9]
.LBB885_495:
	s_or_b64 exec, exec, s[2:3]
	s_mov_b32 s2, 0x5040100
	v_perm_b32 v25, v24, v25, s2
	v_perm_b32 v24, v15, v23, s2
	ds_read_b128 v[30:33], v22 offset:16
	v_perm_b32 v15, v27, v29, s2
	v_perm_b32 v14, v16, v26, s2
	s_waitcnt lgkmcnt(0)
	v_mfma_f32_16x16x16bf16_1k v[34:37], v[24:25], v[30:31], v[18:21]
	s_nop 6
	v_mov_b32_e32 v19, 0
	s_waitcnt vmcnt(2)
	v_cmp_ne_u16_sdwa s[8:9], v10, v19 src0_sel:BYTE_0 src1_sel:DWORD
	v_mfma_f32_16x16x16bf16_1k v[14:17], v[14:15], v[32:33], v[34:37]
	v_mov_b32_e32 v20, 0
	s_and_saveexec_b64 s[2:3], s[8:9]
	s_cbranch_execz .LBB885_501
; %bb.496:
	s_movk_i32 s7, 0x80
	v_cmp_ne_u16_sdwa s[10:11], v10, s7 src0_sel:BYTE_0 src1_sel:DWORD
	v_mov_b32_e32 v20, 0xffff8000
	s_and_saveexec_b64 s[8:9], s[10:11]
	s_cbranch_execz .LBB885_500
; %bb.497:
	s_movk_i32 s7, 0x7f
	v_and_b32_e32 v18, 0x7f, v10
	v_cmp_ne_u32_e32 vcc, s7, v18
	v_mov_b32_e32 v20, 0x7f80
	s_and_saveexec_b64 s[10:11], vcc
	s_cbranch_execz .LBB885_499
; %bb.498:
	v_and_b32_e32 v23, 7, v10
	v_ffbh_u32_e32 v20, v23
	v_min_u32_e32 v25, 32, v20
	v_subrev_u32_e32 v20, 28, v25
	v_lshlrev_b64 v[20:21], v20, v[10:11]
	v_lshrrev_b32_e32 v24, 3, v18
	v_sub_u32_e32 v21, 29, v25
	v_and_b32_e32 v20, 7, v20
	v_cmp_gt_u32_e32 vcc, 8, v18
	v_cndmask_b32_e32 v18, v24, v21, vcc
	v_cndmask_b32_e32 v20, v23, v20, vcc
	v_lshlrev_b32_e32 v21, 24, v10
	v_bfrev_b32_e32 v23, 60
	v_lshlrev_b32_e32 v20, 20, v20
	v_and_b32_e32 v21, 0x80000000, v21
	v_lshl_add_u32 v18, v18, 23, v23
	v_or3_b32 v18, v21, v18, v20
	v_lshrrev_b32_e32 v20, 16, v18
.LBB885_499:
	s_or_b64 exec, exec, s[10:11]
.LBB885_500:
	s_or_b64 exec, exec, s[8:9]
.LBB885_501:
	s_or_b64 exec, exec, s[2:3]
	v_lshrrev_b16_e32 v18, 8, v10
	v_cmp_ne_u16_e32 vcc, 0, v18
	s_and_saveexec_b64 s[2:3], vcc
	s_cbranch_execz .LBB885_507
; %bb.502:
	s_movk_i32 s7, 0x80
	v_cmp_ne_u16_e32 vcc, s7, v18
	v_mov_b32_e32 v19, 0xffff8000
	s_and_saveexec_b64 s[8:9], vcc
	s_cbranch_execz .LBB885_506
; %bb.503:
	s_movk_i32 s7, 0x7f
	v_and_b32_e32 v21, 0x7f, v18
	v_cmp_ne_u32_e32 vcc, s7, v21
	v_mov_b32_e32 v19, 0x7f80
	s_and_saveexec_b64 s[10:11], vcc
	s_cbranch_execz .LBB885_505
; %bb.504:
	v_and_b32_e32 v23, 7, v18
	v_ffbh_u32_e32 v19, v23
	v_min_u32_e32 v25, 32, v19
	v_subrev_u32_e32 v19, 28, v25
	v_lshlrev_b64 v[18:19], v19, v[18:19]
	v_lshrrev_b32_e32 v24, 3, v21
	v_sub_u32_e32 v19, 29, v25
	v_and_b32_e32 v18, 7, v18
	v_cmp_gt_u32_e32 vcc, 8, v21
	v_cndmask_b32_e32 v19, v24, v19, vcc
	v_cndmask_b32_e32 v18, v23, v18, vcc
	v_lshlrev_b32_e32 v21, 16, v10
	v_bfrev_b32_e32 v23, 60
	v_lshlrev_b32_e32 v18, 20, v18
	v_and_b32_e32 v21, 0x80000000, v21
	v_lshl_add_u32 v19, v19, 23, v23
	v_or3_b32 v18, v21, v19, v18
	v_lshrrev_b32_e32 v19, 16, v18
.LBB885_505:
	s_or_b64 exec, exec, s[10:11]
.LBB885_506:
	s_or_b64 exec, exec, s[8:9]
.LBB885_507:
	s_or_b64 exec, exec, s[2:3]
	s_movk_i32 s2, 0xff
	v_and_b32_sdwa v24, v10, s2 dst_sel:DWORD dst_unused:UNUSED_PAD src0_sel:WORD_1 src1_sel:DWORD
	v_lshrrev_b32_e32 v18, 16, v10
	v_cmp_ne_u16_e32 vcc, 0, v24
	v_mov_b32_e32 v21, 0
	v_mov_b32_e32 v23, 0
	s_and_saveexec_b64 s[2:3], vcc
	s_cbranch_execz .LBB885_513
; %bb.508:
	s_movk_i32 s7, 0x80
	v_cmp_ne_u16_e32 vcc, s7, v24
	v_mov_b32_e32 v23, 0xffff8000
	s_and_saveexec_b64 s[8:9], vcc
	s_cbranch_execz .LBB885_512
; %bb.509:
	v_bfe_u32 v24, v10, 16, 7
	s_movk_i32 s7, 0x7f
	v_cmp_ne_u32_e32 vcc, s7, v24
	v_mov_b32_e32 v23, 0x7f80
	s_and_saveexec_b64 s[10:11], vcc
	s_cbranch_execz .LBB885_511
; %bb.510:
	v_and_b32_e32 v23, 7, v18
	v_ffbh_u32_e32 v26, v23
	v_min_u32_e32 v29, 32, v26
	v_subrev_u32_e32 v26, 28, v29
	v_lshlrev_b64 v[26:27], v26, v[18:19]
	v_lshrrev_b32_e32 v25, 3, v24
	v_sub_u32_e32 v18, 29, v29
	v_and_b32_e32 v26, 7, v26
	v_cmp_gt_u32_e32 vcc, 8, v24
	v_mov_b32_e32 v24, 24
	v_cndmask_b32_e32 v18, v25, v18, vcc
	v_cndmask_b32_e32 v23, v23, v26, vcc
	v_lshlrev_b32_sdwa v24, v24, v10 dst_sel:DWORD dst_unused:UNUSED_PAD src0_sel:DWORD src1_sel:WORD_1
	v_bfrev_b32_e32 v25, 60
	v_lshlrev_b32_e32 v23, 20, v23
	v_and_b32_e32 v24, 0x80000000, v24
	v_lshl_add_u32 v18, v18, 23, v25
	v_or3_b32 v18, v24, v18, v23
	v_lshrrev_b32_e32 v23, 16, v18
.LBB885_511:
	s_or_b64 exec, exec, s[10:11]
.LBB885_512:
	s_or_b64 exec, exec, s[8:9]
.LBB885_513:
	s_or_b64 exec, exec, s[2:3]
	s_mov_b32 s2, 0xffffff
	v_cmp_lt_u32_e32 vcc, s2, v10
	s_and_saveexec_b64 s[2:3], vcc
	s_cbranch_execz .LBB885_519
; %bb.514:
	v_lshrrev_b32_e32 v18, 24, v10
	s_movk_i32 s7, 0x80
	v_cmp_ne_u32_e32 vcc, s7, v18
	v_mov_b32_e32 v21, 0xffff8000
	s_and_saveexec_b64 s[8:9], vcc
	s_cbranch_execz .LBB885_518
; %bb.515:
	v_bfe_u32 v10, v10, 24, 7
	s_movk_i32 s7, 0x7f
	v_cmp_ne_u32_e32 vcc, s7, v10
	v_mov_b32_e32 v21, 0x7f80
	s_and_saveexec_b64 s[10:11], vcc
	s_cbranch_execz .LBB885_517
; %bb.516:
	v_and_b32_e32 v21, 7, v18
	v_ffbh_u32_e32 v24, v21
	v_min_u32_e32 v27, 32, v24
	v_subrev_u32_e32 v24, 28, v27
	v_lshlrev_b64 v[24:25], v24, v[18:19]
	v_lshrrev_b32_e32 v26, 3, v10
	v_sub_u32_e32 v25, 29, v27
	v_and_b32_e32 v24, 7, v24
	v_cmp_gt_u32_e32 vcc, 8, v10
	v_cndmask_b32_e32 v10, v26, v25, vcc
	v_cndmask_b32_e32 v21, v21, v24, vcc
	v_lshlrev_b32_e32 v18, 24, v18
	v_bfrev_b32_e32 v24, 60
	v_lshlrev_b32_e32 v21, 20, v21
	v_and_b32_e32 v18, 0x80000000, v18
	v_lshl_add_u32 v10, v10, 23, v24
	v_or3_b32 v10, v18, v10, v21
	v_lshrrev_b32_e32 v21, 16, v10
.LBB885_517:
	s_or_b64 exec, exec, s[10:11]
.LBB885_518:
	s_or_b64 exec, exec, s[8:9]
.LBB885_519:
	s_or_b64 exec, exec, s[2:3]
	v_mov_b32_e32 v18, 0
	v_cmp_ne_u16_sdwa s[8:9], v11, v18 src0_sel:BYTE_0 src1_sel:DWORD
	v_mov_b32_e32 v24, 0
	s_and_saveexec_b64 s[2:3], s[8:9]
	s_cbranch_execz .LBB885_525
; %bb.520:
	s_movk_i32 s7, 0x80
	v_cmp_ne_u16_sdwa s[10:11], v11, s7 src0_sel:BYTE_0 src1_sel:DWORD
	v_mov_b32_e32 v24, 0xffff8000
	s_and_saveexec_b64 s[8:9], s[10:11]
	s_cbranch_execz .LBB885_524
; %bb.521:
	s_movk_i32 s7, 0x7f
	v_and_b32_e32 v10, 0x7f, v11
	v_cmp_ne_u32_e32 vcc, s7, v10
	v_mov_b32_e32 v24, 0x7f80
	s_and_saveexec_b64 s[10:11], vcc
	s_cbranch_execz .LBB885_523
; %bb.522:
	v_and_b32_e32 v26, 7, v11
	v_ffbh_u32_e32 v25, v26
	v_min_u32_e32 v29, 32, v25
	v_mov_b32_e32 v24, v11
	v_subrev_u32_e32 v25, 28, v29
	v_lshlrev_b64 v[24:25], v25, v[24:25]
	v_lshrrev_b32_e32 v27, 3, v10
	v_sub_u32_e32 v25, 29, v29
	v_and_b32_e32 v24, 7, v24
	v_cmp_gt_u32_e32 vcc, 8, v10
	v_cndmask_b32_e32 v10, v27, v25, vcc
	v_cndmask_b32_e32 v24, v26, v24, vcc
	v_lshlrev_b32_e32 v25, 24, v11
	v_bfrev_b32_e32 v26, 60
	v_lshlrev_b32_e32 v24, 20, v24
	v_and_b32_e32 v25, 0x80000000, v25
	v_lshl_add_u32 v10, v10, 23, v26
	v_or3_b32 v10, v25, v10, v24
	v_lshrrev_b32_e32 v24, 16, v10
.LBB885_523:
	s_or_b64 exec, exec, s[10:11]
.LBB885_524:
	s_or_b64 exec, exec, s[8:9]
.LBB885_525:
	s_or_b64 exec, exec, s[2:3]
	v_lshrrev_b16_e32 v10, 8, v11
	v_cmp_ne_u16_e32 vcc, 0, v10
	s_and_saveexec_b64 s[2:3], vcc
	s_cbranch_execz .LBB885_531
; %bb.526:
	s_movk_i32 s7, 0x80
	v_cmp_ne_u16_e32 vcc, s7, v10
	v_mov_b32_e32 v18, 0xffff8000
	s_and_saveexec_b64 s[8:9], vcc
	s_cbranch_execz .LBB885_530
; %bb.527:
	s_movk_i32 s7, 0x7f
	v_and_b32_e32 v25, 0x7f, v10
	v_cmp_ne_u32_e32 vcc, s7, v25
	v_mov_b32_e32 v18, 0x7f80
	s_and_saveexec_b64 s[10:11], vcc
	s_cbranch_execz .LBB885_529
; %bb.528:
	v_and_b32_e32 v18, 7, v10
	v_ffbh_u32_e32 v26, v18
	v_min_u32_e32 v30, 32, v26
	v_subrev_u32_e32 v26, 28, v30
	v_lshlrev_b64 v[26:27], v26, v[10:11]
	v_lshrrev_b32_e32 v29, 3, v25
	v_sub_u32_e32 v10, 29, v30
	v_and_b32_e32 v26, 7, v26
	v_cmp_gt_u32_e32 vcc, 8, v25
	v_cndmask_b32_e32 v10, v29, v10, vcc
	v_cndmask_b32_e32 v18, v18, v26, vcc
	v_lshlrev_b32_e32 v25, 16, v11
	v_bfrev_b32_e32 v26, 60
	v_lshlrev_b32_e32 v18, 20, v18
	v_and_b32_e32 v25, 0x80000000, v25
	v_lshl_add_u32 v10, v10, 23, v26
	v_or3_b32 v10, v25, v10, v18
	v_lshrrev_b32_e32 v18, 16, v10
.LBB885_529:
	s_or_b64 exec, exec, s[10:11]
.LBB885_530:
	s_or_b64 exec, exec, s[8:9]
.LBB885_531:
	s_or_b64 exec, exec, s[2:3]
	s_movk_i32 s2, 0xff
	v_and_b32_sdwa v27, v11, s2 dst_sel:DWORD dst_unused:UNUSED_PAD src0_sel:WORD_1 src1_sel:DWORD
	v_lshrrev_b32_e32 v10, 16, v11
	v_cmp_ne_u16_e32 vcc, 0, v27
	v_mov_b32_e32 v25, 0
	v_mov_b32_e32 v26, 0
	s_and_saveexec_b64 s[2:3], vcc
	s_cbranch_execz .LBB885_537
; %bb.532:
	s_movk_i32 s7, 0x80
	v_cmp_ne_u16_e32 vcc, s7, v27
	v_mov_b32_e32 v26, 0xffff8000
	s_and_saveexec_b64 s[8:9], vcc
	s_cbranch_execz .LBB885_536
; %bb.533:
	v_bfe_u32 v27, v11, 16, 7
	s_movk_i32 s7, 0x7f
	v_cmp_ne_u32_e32 vcc, s7, v27
	v_mov_b32_e32 v26, 0x7f80
	s_and_saveexec_b64 s[10:11], vcc
	s_cbranch_execz .LBB885_535
; %bb.534:
	v_and_b32_e32 v26, 7, v10
	v_ffbh_u32_e32 v30, v26
	v_min_u32_e32 v32, 32, v30
	v_subrev_u32_e32 v30, 28, v32
	v_lshlrev_b64 v[30:31], v30, v[10:11]
	v_lshrrev_b32_e32 v29, 3, v27
	v_sub_u32_e32 v10, 29, v32
	v_and_b32_e32 v30, 7, v30
	v_cmp_gt_u32_e32 vcc, 8, v27
	v_mov_b32_e32 v27, 24
	v_cndmask_b32_e32 v10, v29, v10, vcc
	v_cndmask_b32_e32 v26, v26, v30, vcc
	v_lshlrev_b32_sdwa v27, v27, v11 dst_sel:DWORD dst_unused:UNUSED_PAD src0_sel:DWORD src1_sel:WORD_1
	v_bfrev_b32_e32 v29, 60
	v_lshlrev_b32_e32 v26, 20, v26
	v_and_b32_e32 v27, 0x80000000, v27
	v_lshl_add_u32 v10, v10, 23, v29
	v_or3_b32 v10, v27, v10, v26
	v_lshrrev_b32_e32 v26, 16, v10
.LBB885_535:
	s_or_b64 exec, exec, s[10:11]
.LBB885_536:
	s_or_b64 exec, exec, s[8:9]
.LBB885_537:
	s_or_b64 exec, exec, s[2:3]
	s_mov_b32 s2, 0xffffff
	v_cmp_lt_u32_e32 vcc, s2, v11
	s_and_saveexec_b64 s[2:3], vcc
	s_cbranch_execz .LBB885_543
; %bb.538:
	v_lshrrev_b32_e32 v10, 24, v11
	s_movk_i32 s7, 0x80
	v_cmp_ne_u32_e32 vcc, s7, v10
	v_mov_b32_e32 v25, 0xffff8000
	s_and_saveexec_b64 s[8:9], vcc
	s_cbranch_execz .LBB885_542
; %bb.539:
	v_bfe_u32 v11, v11, 24, 7
	s_movk_i32 s7, 0x7f
	v_cmp_ne_u32_e32 vcc, s7, v11
	v_mov_b32_e32 v25, 0x7f80
	s_and_saveexec_b64 s[10:11], vcc
	s_cbranch_execz .LBB885_541
; %bb.540:
	v_and_b32_e32 v25, 7, v10
	v_ffbh_u32_e32 v29, v25
	v_min_u32_e32 v29, 32, v29
	v_subrev_u32_e32 v30, 28, v29
	v_lshlrev_b64 v[30:31], v30, v[10:11]
	v_lshrrev_b32_e32 v27, 3, v11
	v_sub_u32_e32 v29, 29, v29
	v_and_b32_e32 v30, 7, v30
	v_cmp_gt_u32_e32 vcc, 8, v11
	v_cndmask_b32_e32 v11, v27, v29, vcc
	v_cndmask_b32_e32 v25, v25, v30, vcc
	v_lshlrev_b32_e32 v10, 24, v10
	v_bfrev_b32_e32 v27, 60
	v_lshlrev_b32_e32 v25, 20, v25
	v_and_b32_e32 v10, 0x80000000, v10
	v_lshl_add_u32 v11, v11, 23, v27
	v_or3_b32 v10, v10, v11, v25
	v_lshrrev_b32_e32 v25, 16, v10
.LBB885_541:
	s_or_b64 exec, exec, s[10:11]
.LBB885_542:
	s_or_b64 exec, exec, s[8:9]
.LBB885_543:
	s_or_b64 exec, exec, s[2:3]
	s_mov_b32 s2, 0x5040100
	v_perm_b32 v11, v21, v23, s2
	v_perm_b32 v10, v19, v20, s2
	ds_read_b128 v[30:33], v22 offset:2048
	v_perm_b32 v21, v25, v26, s2
	v_perm_b32 v20, v18, v24, s2
	s_waitcnt lgkmcnt(0)
	v_mfma_f32_16x16x16bf16_1k v[14:17], v[10:11], v[30:31], v[14:17]
	v_mov_b32_e32 v11, 0
	v_cmp_ne_u16_sdwa s[8:9], v12, v11 src0_sel:BYTE_0 src1_sel:DWORD
	v_mov_b32_e32 v18, 0
	v_mfma_f32_16x16x16bf16_1k v[14:17], v[20:21], v[32:33], v[14:17]
	s_and_saveexec_b64 s[2:3], s[8:9]
	s_cbranch_execz .LBB885_549
; %bb.544:
	s_movk_i32 s7, 0x80
	v_cmp_ne_u16_sdwa s[10:11], v12, s7 src0_sel:BYTE_0 src1_sel:DWORD
	v_mov_b32_e32 v18, 0xffff8000
	s_and_saveexec_b64 s[8:9], s[10:11]
	s_cbranch_execz .LBB885_548
; %bb.545:
	s_movk_i32 s7, 0x7f
	v_and_b32_e32 v10, 0x7f, v12
	v_cmp_ne_u32_e32 vcc, s7, v10
	v_mov_b32_e32 v18, 0x7f80
	s_and_saveexec_b64 s[10:11], vcc
	s_cbranch_execz .LBB885_547
; %bb.546:
	v_and_b32_e32 v20, 7, v12
	v_ffbh_u32_e32 v18, v20
	v_min_u32_e32 v23, 32, v18
	v_subrev_u32_e32 v18, 28, v23
	v_lshlrev_b64 v[18:19], v18, v[12:13]
	v_lshrrev_b32_e32 v21, 3, v10
	v_sub_u32_e32 v19, 29, v23
	v_and_b32_e32 v18, 7, v18
	v_cmp_gt_u32_e32 vcc, 8, v10
	v_cndmask_b32_e32 v10, v21, v19, vcc
	v_cndmask_b32_e32 v18, v20, v18, vcc
	v_lshlrev_b32_e32 v19, 24, v12
	v_bfrev_b32_e32 v20, 60
	v_lshlrev_b32_e32 v18, 20, v18
	v_and_b32_e32 v19, 0x80000000, v19
	v_lshl_add_u32 v10, v10, 23, v20
	v_or3_b32 v10, v19, v10, v18
	v_lshrrev_b32_e32 v18, 16, v10
.LBB885_547:
	s_or_b64 exec, exec, s[10:11]
.LBB885_548:
	s_or_b64 exec, exec, s[8:9]
.LBB885_549:
	s_or_b64 exec, exec, s[2:3]
	v_lshrrev_b16_e32 v10, 8, v12
	v_cmp_ne_u16_e32 vcc, 0, v10
	s_and_saveexec_b64 s[2:3], vcc
	s_cbranch_execz .LBB885_555
; %bb.550:
	s_movk_i32 s7, 0x80
	v_cmp_ne_u16_e32 vcc, s7, v10
	v_mov_b32_e32 v11, 0xffff8000
	s_and_saveexec_b64 s[8:9], vcc
	s_cbranch_execz .LBB885_554
; %bb.551:
	s_movk_i32 s7, 0x7f
	v_and_b32_e32 v19, 0x7f, v10
	v_cmp_ne_u32_e32 vcc, s7, v19
	v_mov_b32_e32 v11, 0x7f80
	s_and_saveexec_b64 s[10:11], vcc
	s_cbranch_execz .LBB885_553
; %bb.552:
	v_and_b32_e32 v20, 7, v10
	v_ffbh_u32_e32 v11, v20
	v_min_u32_e32 v23, 32, v11
	v_subrev_u32_e32 v11, 28, v23
	v_lshlrev_b64 v[10:11], v11, v[10:11]
	v_lshrrev_b32_e32 v21, 3, v19
	v_sub_u32_e32 v11, 29, v23
	v_and_b32_e32 v10, 7, v10
	v_cmp_gt_u32_e32 vcc, 8, v19
	v_cndmask_b32_e32 v11, v21, v11, vcc
	v_cndmask_b32_e32 v10, v20, v10, vcc
	v_lshlrev_b32_e32 v19, 16, v12
	v_bfrev_b32_e32 v20, 60
	v_lshlrev_b32_e32 v10, 20, v10
	v_and_b32_e32 v19, 0x80000000, v19
	v_lshl_add_u32 v11, v11, 23, v20
	v_or3_b32 v10, v19, v11, v10
	v_lshrrev_b32_e32 v11, 16, v10
.LBB885_553:
	s_or_b64 exec, exec, s[10:11]
.LBB885_554:
	s_or_b64 exec, exec, s[8:9]
.LBB885_555:
	s_or_b64 exec, exec, s[2:3]
	s_movk_i32 s2, 0xff
	v_and_b32_sdwa v21, v12, s2 dst_sel:DWORD dst_unused:UNUSED_PAD src0_sel:WORD_1 src1_sel:DWORD
	v_lshrrev_b32_e32 v10, 16, v12
	v_cmp_ne_u16_e32 vcc, 0, v21
	v_mov_b32_e32 v19, 0
	v_mov_b32_e32 v20, 0
	s_and_saveexec_b64 s[2:3], vcc
	s_cbranch_execz .LBB885_561
; %bb.556:
	s_movk_i32 s7, 0x80
	v_cmp_ne_u16_e32 vcc, s7, v21
	v_mov_b32_e32 v20, 0xffff8000
	s_and_saveexec_b64 s[8:9], vcc
	s_cbranch_execz .LBB885_560
; %bb.557:
	v_bfe_u32 v21, v12, 16, 7
	s_movk_i32 s7, 0x7f
	v_cmp_ne_u32_e32 vcc, s7, v21
	v_mov_b32_e32 v20, 0x7f80
	s_and_saveexec_b64 s[10:11], vcc
	s_cbranch_execz .LBB885_559
; %bb.558:
	v_and_b32_e32 v20, 7, v10
	v_ffbh_u32_e32 v24, v20
	v_min_u32_e32 v26, 32, v24
	v_subrev_u32_e32 v24, 28, v26
	v_lshlrev_b64 v[24:25], v24, v[10:11]
	v_lshrrev_b32_e32 v23, 3, v21
	v_sub_u32_e32 v10, 29, v26
	v_and_b32_e32 v24, 7, v24
	v_cmp_gt_u32_e32 vcc, 8, v21
	v_mov_b32_e32 v21, 24
	v_cndmask_b32_e32 v10, v23, v10, vcc
	v_cndmask_b32_e32 v20, v20, v24, vcc
	v_lshlrev_b32_sdwa v21, v21, v12 dst_sel:DWORD dst_unused:UNUSED_PAD src0_sel:DWORD src1_sel:WORD_1
	v_bfrev_b32_e32 v23, 60
	v_lshlrev_b32_e32 v20, 20, v20
	v_and_b32_e32 v21, 0x80000000, v21
	v_lshl_add_u32 v10, v10, 23, v23
	v_or3_b32 v10, v21, v10, v20
	v_lshrrev_b32_e32 v20, 16, v10
.LBB885_559:
	s_or_b64 exec, exec, s[10:11]
.LBB885_560:
	s_or_b64 exec, exec, s[8:9]
.LBB885_561:
	s_or_b64 exec, exec, s[2:3]
	s_mov_b32 s2, 0xffffff
	v_cmp_lt_u32_e32 vcc, s2, v12
	s_and_saveexec_b64 s[2:3], vcc
	s_cbranch_execz .LBB885_567
; %bb.562:
	v_lshrrev_b32_e32 v10, 24, v12
	s_movk_i32 s7, 0x80
	v_cmp_ne_u32_e32 vcc, s7, v10
	v_mov_b32_e32 v19, 0xffff8000
	s_and_saveexec_b64 s[8:9], vcc
	s_cbranch_execz .LBB885_566
; %bb.563:
	v_bfe_u32 v12, v12, 24, 7
	s_movk_i32 s7, 0x7f
	v_cmp_ne_u32_e32 vcc, s7, v12
	v_mov_b32_e32 v19, 0x7f80
	s_and_saveexec_b64 s[10:11], vcc
	s_cbranch_execz .LBB885_565
; %bb.564:
	v_and_b32_e32 v19, 7, v10
	v_ffbh_u32_e32 v23, v19
	v_min_u32_e32 v23, 32, v23
	v_subrev_u32_e32 v24, 28, v23
	v_lshlrev_b64 v[24:25], v24, v[10:11]
	v_lshrrev_b32_e32 v21, 3, v12
	v_sub_u32_e32 v23, 29, v23
	v_and_b32_e32 v24, 7, v24
	v_cmp_gt_u32_e32 vcc, 8, v12
	v_cndmask_b32_e32 v12, v21, v23, vcc
	v_cndmask_b32_e32 v19, v19, v24, vcc
	v_lshlrev_b32_e32 v10, 24, v10
	v_bfrev_b32_e32 v21, 60
	v_lshlrev_b32_e32 v19, 20, v19
	v_and_b32_e32 v10, 0x80000000, v10
	v_lshl_add_u32 v12, v12, 23, v21
	v_or3_b32 v10, v10, v12, v19
	v_lshrrev_b32_e32 v19, 16, v10
.LBB885_565:
	s_or_b64 exec, exec, s[10:11]
.LBB885_566:
	s_or_b64 exec, exec, s[8:9]
.LBB885_567:
	s_or_b64 exec, exec, s[2:3]
	v_mov_b32_e32 v12, 0
	v_cmp_ne_u16_sdwa s[8:9], v13, v12 src0_sel:BYTE_0 src1_sel:DWORD
	v_mov_b32_e32 v21, 0
	s_and_saveexec_b64 s[2:3], s[8:9]
	s_cbranch_execz .LBB885_573
; %bb.568:
	s_movk_i32 s7, 0x80
	v_cmp_ne_u16_sdwa s[10:11], v13, s7 src0_sel:BYTE_0 src1_sel:DWORD
	v_mov_b32_e32 v21, 0xffff8000
	s_and_saveexec_b64 s[8:9], s[10:11]
	s_cbranch_execz .LBB885_572
; %bb.569:
	s_movk_i32 s7, 0x7f
	v_and_b32_e32 v10, 0x7f, v13
	v_cmp_ne_u32_e32 vcc, s7, v10
	v_mov_b32_e32 v21, 0x7f80
	s_and_saveexec_b64 s[10:11], vcc
	s_cbranch_execz .LBB885_571
; %bb.570:
	v_and_b32_e32 v21, 7, v13
	v_ffbh_u32_e32 v25, v21
	v_min_u32_e32 v26, 32, v25
	v_mov_b32_e32 v24, v13
	v_subrev_u32_e32 v25, 28, v26
	v_lshlrev_b64 v[24:25], v25, v[24:25]
	v_lshrrev_b32_e32 v23, 3, v10
	v_sub_u32_e32 v25, 29, v26
	v_and_b32_e32 v24, 7, v24
	v_cmp_gt_u32_e32 vcc, 8, v10
	v_cndmask_b32_e32 v10, v23, v25, vcc
	v_cndmask_b32_e32 v21, v21, v24, vcc
	v_lshlrev_b32_e32 v23, 24, v13
	v_bfrev_b32_e32 v24, 60
	v_lshlrev_b32_e32 v21, 20, v21
	v_and_b32_e32 v23, 0x80000000, v23
	v_lshl_add_u32 v10, v10, 23, v24
	v_or3_b32 v10, v23, v10, v21
	v_lshrrev_b32_e32 v21, 16, v10
.LBB885_571:
	s_or_b64 exec, exec, s[10:11]
.LBB885_572:
	s_or_b64 exec, exec, s[8:9]
.LBB885_573:
	s_or_b64 exec, exec, s[2:3]
	v_lshrrev_b16_e32 v10, 8, v13
	v_cmp_ne_u16_e32 vcc, 0, v10
	s_and_saveexec_b64 s[2:3], vcc
	s_cbranch_execz .LBB885_579
; %bb.574:
	s_movk_i32 s7, 0x80
	v_cmp_ne_u16_e32 vcc, s7, v10
	v_mov_b32_e32 v12, 0xffff8000
	s_and_saveexec_b64 s[8:9], vcc
	s_cbranch_execz .LBB885_578
; %bb.575:
	s_movk_i32 s7, 0x7f
	v_and_b32_e32 v23, 0x7f, v10
	v_cmp_ne_u32_e32 vcc, s7, v23
	v_mov_b32_e32 v12, 0x7f80
	s_and_saveexec_b64 s[10:11], vcc
	s_cbranch_execz .LBB885_577
; %bb.576:
	v_and_b32_e32 v12, 7, v10
	v_ffbh_u32_e32 v24, v12
	v_min_u32_e32 v27, 32, v24
	v_subrev_u32_e32 v24, 28, v27
	v_lshlrev_b64 v[24:25], v24, v[10:11]
	v_lshrrev_b32_e32 v26, 3, v23
	v_sub_u32_e32 v10, 29, v27
	v_and_b32_e32 v24, 7, v24
	v_cmp_gt_u32_e32 vcc, 8, v23
	v_cndmask_b32_e32 v10, v26, v10, vcc
	v_cndmask_b32_e32 v12, v12, v24, vcc
	v_lshlrev_b32_e32 v23, 16, v13
	v_bfrev_b32_e32 v24, 60
	v_lshlrev_b32_e32 v12, 20, v12
	v_and_b32_e32 v23, 0x80000000, v23
	v_lshl_add_u32 v10, v10, 23, v24
	v_or3_b32 v10, v23, v10, v12
	v_lshrrev_b32_e32 v12, 16, v10
.LBB885_577:
	s_or_b64 exec, exec, s[10:11]
.LBB885_578:
	s_or_b64 exec, exec, s[8:9]
.LBB885_579:
	s_or_b64 exec, exec, s[2:3]
	s_movk_i32 s2, 0xff
	v_and_b32_sdwa v25, v13, s2 dst_sel:DWORD dst_unused:UNUSED_PAD src0_sel:WORD_1 src1_sel:DWORD
	v_lshrrev_b32_e32 v10, 16, v13
	v_cmp_ne_u16_e32 vcc, 0, v25
	v_mov_b32_e32 v23, 0
	v_mov_b32_e32 v24, 0
	s_and_saveexec_b64 s[2:3], vcc
	s_cbranch_execz .LBB885_585
; %bb.580:
	s_movk_i32 s7, 0x80
	v_cmp_ne_u16_e32 vcc, s7, v25
	v_mov_b32_e32 v24, 0xffff8000
	s_and_saveexec_b64 s[8:9], vcc
	s_cbranch_execz .LBB885_584
; %bb.581:
	v_bfe_u32 v25, v13, 16, 7
	s_movk_i32 s7, 0x7f
	v_cmp_ne_u32_e32 vcc, s7, v25
	v_mov_b32_e32 v24, 0x7f80
	s_and_saveexec_b64 s[10:11], vcc
	s_cbranch_execz .LBB885_583
; %bb.582:
	v_and_b32_e32 v24, 7, v10
	v_ffbh_u32_e32 v26, v24
	v_min_u32_e32 v30, 32, v26
	v_subrev_u32_e32 v26, 28, v30
	v_lshlrev_b64 v[26:27], v26, v[10:11]
	v_lshrrev_b32_e32 v29, 3, v25
	v_sub_u32_e32 v10, 29, v30
	v_and_b32_e32 v26, 7, v26
	v_cmp_gt_u32_e32 vcc, 8, v25
	v_mov_b32_e32 v25, 24
	v_cndmask_b32_e32 v10, v29, v10, vcc
	v_cndmask_b32_e32 v24, v24, v26, vcc
	v_lshlrev_b32_sdwa v25, v25, v13 dst_sel:DWORD dst_unused:UNUSED_PAD src0_sel:DWORD src1_sel:WORD_1
	v_bfrev_b32_e32 v26, 60
	v_lshlrev_b32_e32 v24, 20, v24
	v_and_b32_e32 v25, 0x80000000, v25
	v_lshl_add_u32 v10, v10, 23, v26
	v_or3_b32 v10, v25, v10, v24
	v_lshrrev_b32_e32 v24, 16, v10
.LBB885_583:
	s_or_b64 exec, exec, s[10:11]
.LBB885_584:
	s_or_b64 exec, exec, s[8:9]
.LBB885_585:
	s_or_b64 exec, exec, s[2:3]
	s_mov_b32 s2, 0xffffff
	v_cmp_lt_u32_e32 vcc, s2, v13
	s_and_saveexec_b64 s[2:3], vcc
	s_cbranch_execz .LBB885_591
; %bb.586:
	v_lshrrev_b32_e32 v10, 24, v13
	s_movk_i32 s7, 0x80
	v_cmp_ne_u32_e32 vcc, s7, v10
	v_mov_b32_e32 v23, 0xffff8000
	s_and_saveexec_b64 s[8:9], vcc
	s_cbranch_execz .LBB885_590
; %bb.587:
	v_bfe_u32 v13, v13, 24, 7
	s_movk_i32 s7, 0x7f
	v_cmp_ne_u32_e32 vcc, s7, v13
	v_mov_b32_e32 v23, 0x7f80
	s_and_saveexec_b64 s[10:11], vcc
	s_cbranch_execz .LBB885_589
; %bb.588:
	v_and_b32_e32 v23, 7, v10
	v_ffbh_u32_e32 v26, v23
	v_min_u32_e32 v29, 32, v26
	v_subrev_u32_e32 v26, 28, v29
	v_lshlrev_b64 v[26:27], v26, v[10:11]
	v_lshrrev_b32_e32 v25, 3, v13
	v_sub_u32_e32 v27, 29, v29
	v_and_b32_e32 v26, 7, v26
	v_cmp_gt_u32_e32 vcc, 8, v13
	v_cndmask_b32_e32 v13, v25, v27, vcc
	v_cndmask_b32_e32 v23, v23, v26, vcc
	v_lshlrev_b32_e32 v10, 24, v10
	v_bfrev_b32_e32 v25, 60
	v_lshlrev_b32_e32 v23, 20, v23
	v_and_b32_e32 v10, 0x80000000, v10
	v_lshl_add_u32 v13, v13, 23, v25
	v_or3_b32 v10, v10, v13, v23
	v_lshrrev_b32_e32 v23, 16, v10
.LBB885_589:
	s_or_b64 exec, exec, s[10:11]
.LBB885_590:
	s_or_b64 exec, exec, s[8:9]
.LBB885_591:
	s_or_b64 exec, exec, s[2:3]
	s_mov_b32 s2, 0x5040100
	v_perm_b32 v19, v19, v20, s2
	v_perm_b32 v18, v11, v18, s2
	ds_read_b128 v[30:33], v22 offset:2064
	v_perm_b32 v11, v23, v24, s2
	v_perm_b32 v10, v12, v21, s2
	s_waitcnt lgkmcnt(0)
	v_mfma_f32_16x16x16bf16_1k v[34:37], v[18:19], v[30:31], v[14:17]
	s_nop 6
	v_mov_b32_e32 v15, 0
	s_waitcnt vmcnt(1)
	v_cmp_ne_u16_sdwa s[8:9], v6, v15 src0_sel:BYTE_0 src1_sel:DWORD
	v_mfma_f32_16x16x16bf16_1k v[10:13], v[10:11], v[32:33], v[34:37]
	v_mov_b32_e32 v16, 0
	s_and_saveexec_b64 s[2:3], s[8:9]
	s_cbranch_execz .LBB885_597
; %bb.592:
	s_movk_i32 s7, 0x80
	v_cmp_ne_u16_sdwa s[10:11], v6, s7 src0_sel:BYTE_0 src1_sel:DWORD
	v_mov_b32_e32 v16, 0xffff8000
	s_and_saveexec_b64 s[8:9], s[10:11]
	s_cbranch_execz .LBB885_596
; %bb.593:
	s_movk_i32 s7, 0x7f
	v_and_b32_e32 v14, 0x7f, v6
	v_cmp_ne_u32_e32 vcc, s7, v14
	v_mov_b32_e32 v16, 0x7f80
	s_and_saveexec_b64 s[10:11], vcc
	s_cbranch_execz .LBB885_595
; %bb.594:
	v_and_b32_e32 v18, 7, v6
	v_ffbh_u32_e32 v16, v18
	v_min_u32_e32 v20, 32, v16
	v_subrev_u32_e32 v16, 28, v20
	v_lshlrev_b64 v[16:17], v16, v[6:7]
	v_lshrrev_b32_e32 v19, 3, v14
	v_sub_u32_e32 v17, 29, v20
	v_and_b32_e32 v16, 7, v16
	v_cmp_gt_u32_e32 vcc, 8, v14
	v_cndmask_b32_e32 v14, v19, v17, vcc
	v_cndmask_b32_e32 v16, v18, v16, vcc
	v_lshlrev_b32_e32 v17, 24, v6
	v_bfrev_b32_e32 v18, 60
	v_lshlrev_b32_e32 v16, 20, v16
	v_and_b32_e32 v17, 0x80000000, v17
	v_lshl_add_u32 v14, v14, 23, v18
	v_or3_b32 v14, v17, v14, v16
	v_lshrrev_b32_e32 v16, 16, v14
.LBB885_595:
	s_or_b64 exec, exec, s[10:11]
.LBB885_596:
	s_or_b64 exec, exec, s[8:9]
.LBB885_597:
	s_or_b64 exec, exec, s[2:3]
	v_lshrrev_b16_e32 v14, 8, v6
	v_cmp_ne_u16_e32 vcc, 0, v14
	s_and_saveexec_b64 s[2:3], vcc
	s_cbranch_execz .LBB885_603
; %bb.598:
	s_movk_i32 s7, 0x80
	v_cmp_ne_u16_e32 vcc, s7, v14
	v_mov_b32_e32 v15, 0xffff8000
	s_and_saveexec_b64 s[8:9], vcc
	s_cbranch_execz .LBB885_602
; %bb.599:
	s_movk_i32 s7, 0x7f
	v_and_b32_e32 v17, 0x7f, v14
	v_cmp_ne_u32_e32 vcc, s7, v17
	v_mov_b32_e32 v15, 0x7f80
	s_and_saveexec_b64 s[10:11], vcc
	s_cbranch_execz .LBB885_601
; %bb.600:
	v_and_b32_e32 v18, 7, v14
	v_ffbh_u32_e32 v15, v18
	v_min_u32_e32 v20, 32, v15
	v_subrev_u32_e32 v15, 28, v20
	v_lshlrev_b64 v[14:15], v15, v[14:15]
	v_lshrrev_b32_e32 v19, 3, v17
	v_sub_u32_e32 v15, 29, v20
	v_and_b32_e32 v14, 7, v14
	v_cmp_gt_u32_e32 vcc, 8, v17
	v_cndmask_b32_e32 v15, v19, v15, vcc
	v_cndmask_b32_e32 v14, v18, v14, vcc
	v_lshlrev_b32_e32 v17, 16, v6
	v_bfrev_b32_e32 v18, 60
	v_lshlrev_b32_e32 v14, 20, v14
	v_and_b32_e32 v17, 0x80000000, v17
	v_lshl_add_u32 v15, v15, 23, v18
	v_or3_b32 v14, v17, v15, v14
	v_lshrrev_b32_e32 v15, 16, v14
.LBB885_601:
	s_or_b64 exec, exec, s[10:11]
.LBB885_602:
	s_or_b64 exec, exec, s[8:9]
.LBB885_603:
	s_or_b64 exec, exec, s[2:3]
	s_movk_i32 s2, 0xff
	v_and_b32_sdwa v19, v6, s2 dst_sel:DWORD dst_unused:UNUSED_PAD src0_sel:WORD_1 src1_sel:DWORD
	v_lshrrev_b32_e32 v14, 16, v6
	v_cmp_ne_u16_e32 vcc, 0, v19
	v_mov_b32_e32 v17, 0
	v_mov_b32_e32 v18, 0
	s_and_saveexec_b64 s[2:3], vcc
	s_cbranch_execz .LBB885_609
; %bb.604:
	s_movk_i32 s7, 0x80
	v_cmp_ne_u16_e32 vcc, s7, v19
	v_mov_b32_e32 v18, 0xffff8000
	s_and_saveexec_b64 s[8:9], vcc
	s_cbranch_execz .LBB885_608
; %bb.605:
	v_bfe_u32 v19, v6, 16, 7
	s_movk_i32 s7, 0x7f
	v_cmp_ne_u32_e32 vcc, s7, v19
	v_mov_b32_e32 v18, 0x7f80
	s_and_saveexec_b64 s[10:11], vcc
	s_cbranch_execz .LBB885_607
; %bb.606:
	v_and_b32_e32 v18, 7, v14
	v_ffbh_u32_e32 v20, v18
	v_min_u32_e32 v24, 32, v20
	v_subrev_u32_e32 v20, 28, v24
	v_lshlrev_b64 v[20:21], v20, v[14:15]
	v_lshrrev_b32_e32 v23, 3, v19
	v_sub_u32_e32 v14, 29, v24
	v_and_b32_e32 v20, 7, v20
	v_cmp_gt_u32_e32 vcc, 8, v19
	v_mov_b32_e32 v19, 24
	v_cndmask_b32_e32 v14, v23, v14, vcc
	v_cndmask_b32_e32 v18, v18, v20, vcc
	v_lshlrev_b32_sdwa v19, v19, v6 dst_sel:DWORD dst_unused:UNUSED_PAD src0_sel:DWORD src1_sel:WORD_1
	v_bfrev_b32_e32 v20, 60
	v_lshlrev_b32_e32 v18, 20, v18
	v_and_b32_e32 v19, 0x80000000, v19
	v_lshl_add_u32 v14, v14, 23, v20
	v_or3_b32 v14, v19, v14, v18
	v_lshrrev_b32_e32 v18, 16, v14
.LBB885_607:
	s_or_b64 exec, exec, s[10:11]
.LBB885_608:
	s_or_b64 exec, exec, s[8:9]
.LBB885_609:
	s_or_b64 exec, exec, s[2:3]
	s_mov_b32 s2, 0xffffff
	v_cmp_lt_u32_e32 vcc, s2, v6
	s_and_saveexec_b64 s[2:3], vcc
	s_cbranch_execz .LBB885_615
; %bb.610:
	v_lshrrev_b32_e32 v14, 24, v6
	s_movk_i32 s7, 0x80
	v_cmp_ne_u32_e32 vcc, s7, v14
	v_mov_b32_e32 v17, 0xffff8000
	s_and_saveexec_b64 s[8:9], vcc
	s_cbranch_execz .LBB885_614
; %bb.611:
	v_bfe_u32 v6, v6, 24, 7
	s_movk_i32 s7, 0x7f
	v_cmp_ne_u32_e32 vcc, s7, v6
	v_mov_b32_e32 v17, 0x7f80
	s_and_saveexec_b64 s[10:11], vcc
	s_cbranch_execz .LBB885_613
; %bb.612:
	v_and_b32_e32 v17, 7, v14
	v_ffbh_u32_e32 v20, v17
	v_min_u32_e32 v23, 32, v20
	v_subrev_u32_e32 v20, 28, v23
	v_lshlrev_b64 v[20:21], v20, v[14:15]
	v_lshrrev_b32_e32 v19, 3, v6
	v_sub_u32_e32 v21, 29, v23
	v_and_b32_e32 v20, 7, v20
	v_cmp_gt_u32_e32 vcc, 8, v6
	v_cndmask_b32_e32 v6, v19, v21, vcc
	v_cndmask_b32_e32 v17, v17, v20, vcc
	v_lshlrev_b32_e32 v14, 24, v14
	v_bfrev_b32_e32 v19, 60
	v_lshlrev_b32_e32 v17, 20, v17
	v_and_b32_e32 v14, 0x80000000, v14
	v_lshl_add_u32 v6, v6, 23, v19
	v_or3_b32 v6, v14, v6, v17
	v_lshrrev_b32_e32 v17, 16, v6
.LBB885_613:
	s_or_b64 exec, exec, s[10:11]
.LBB885_614:
	s_or_b64 exec, exec, s[8:9]
.LBB885_615:
	s_or_b64 exec, exec, s[2:3]
	v_mov_b32_e32 v14, 0
	v_cmp_ne_u16_sdwa s[8:9], v7, v14 src0_sel:BYTE_0 src1_sel:DWORD
	v_mov_b32_e32 v19, 0
	s_and_saveexec_b64 s[2:3], s[8:9]
	s_cbranch_execz .LBB885_621
; %bb.616:
	s_movk_i32 s7, 0x80
	v_cmp_ne_u16_sdwa s[10:11], v7, s7 src0_sel:BYTE_0 src1_sel:DWORD
	v_mov_b32_e32 v19, 0xffff8000
	s_and_saveexec_b64 s[8:9], s[10:11]
	s_cbranch_execz .LBB885_620
; %bb.617:
	s_movk_i32 s7, 0x7f
	v_and_b32_e32 v6, 0x7f, v7
	v_cmp_ne_u32_e32 vcc, s7, v6
	v_mov_b32_e32 v19, 0x7f80
	s_and_saveexec_b64 s[10:11], vcc
	s_cbranch_execz .LBB885_619
; %bb.618:
	v_and_b32_e32 v19, 7, v7
	v_ffbh_u32_e32 v21, v19
	v_min_u32_e32 v24, 32, v21
	v_mov_b32_e32 v20, v7
	v_subrev_u32_e32 v21, 28, v24
	v_lshlrev_b64 v[20:21], v21, v[20:21]
	v_lshrrev_b32_e32 v23, 3, v6
	v_sub_u32_e32 v21, 29, v24
	v_and_b32_e32 v20, 7, v20
	v_cmp_gt_u32_e32 vcc, 8, v6
	v_cndmask_b32_e32 v6, v23, v21, vcc
	v_cndmask_b32_e32 v19, v19, v20, vcc
	v_lshlrev_b32_e32 v20, 24, v7
	v_bfrev_b32_e32 v21, 60
	v_lshlrev_b32_e32 v19, 20, v19
	v_and_b32_e32 v20, 0x80000000, v20
	v_lshl_add_u32 v6, v6, 23, v21
	v_or3_b32 v6, v20, v6, v19
	v_lshrrev_b32_e32 v19, 16, v6
.LBB885_619:
	s_or_b64 exec, exec, s[10:11]
.LBB885_620:
	s_or_b64 exec, exec, s[8:9]
.LBB885_621:
	s_or_b64 exec, exec, s[2:3]
	v_lshrrev_b16_e32 v6, 8, v7
	v_cmp_ne_u16_e32 vcc, 0, v6
	s_and_saveexec_b64 s[2:3], vcc
	s_cbranch_execz .LBB885_627
; %bb.622:
	s_movk_i32 s7, 0x80
	v_cmp_ne_u16_e32 vcc, s7, v6
	v_mov_b32_e32 v14, 0xffff8000
	s_and_saveexec_b64 s[8:9], vcc
	s_cbranch_execz .LBB885_626
; %bb.623:
	s_movk_i32 s7, 0x7f
	v_and_b32_e32 v20, 0x7f, v6
	v_cmp_ne_u32_e32 vcc, s7, v20
	v_mov_b32_e32 v14, 0x7f80
	s_and_saveexec_b64 s[10:11], vcc
	s_cbranch_execz .LBB885_625
; %bb.624:
	v_and_b32_e32 v14, 7, v6
	v_ffbh_u32_e32 v23, v14
	v_min_u32_e32 v23, 32, v23
	v_subrev_u32_e32 v24, 28, v23
	v_lshlrev_b64 v[24:25], v24, v[6:7]
	v_lshrrev_b32_e32 v21, 3, v20
	v_sub_u32_e32 v6, 29, v23
	v_and_b32_e32 v23, 7, v24
	v_cmp_gt_u32_e32 vcc, 8, v20
	v_cndmask_b32_e32 v6, v21, v6, vcc
	v_cndmask_b32_e32 v14, v14, v23, vcc
	v_lshlrev_b32_e32 v20, 16, v7
	v_bfrev_b32_e32 v21, 60
	v_lshlrev_b32_e32 v14, 20, v14
	v_and_b32_e32 v20, 0x80000000, v20
	v_lshl_add_u32 v6, v6, 23, v21
	v_or3_b32 v6, v20, v6, v14
	v_lshrrev_b32_e32 v14, 16, v6
.LBB885_625:
	s_or_b64 exec, exec, s[10:11]
.LBB885_626:
	s_or_b64 exec, exec, s[8:9]
.LBB885_627:
	s_or_b64 exec, exec, s[2:3]
	s_movk_i32 s2, 0xff
	v_and_b32_sdwa v23, v7, s2 dst_sel:DWORD dst_unused:UNUSED_PAD src0_sel:WORD_1 src1_sel:DWORD
	v_lshrrev_b32_e32 v6, 16, v7
	v_cmp_ne_u16_e32 vcc, 0, v23
	v_mov_b32_e32 v20, 0
	v_mov_b32_e32 v21, 0
	s_and_saveexec_b64 s[2:3], vcc
	s_cbranch_execz .LBB885_633
; %bb.628:
	s_movk_i32 s7, 0x80
	v_cmp_ne_u16_e32 vcc, s7, v23
	v_mov_b32_e32 v21, 0xffff8000
	s_and_saveexec_b64 s[8:9], vcc
	s_cbranch_execz .LBB885_632
; %bb.629:
	v_bfe_u32 v23, v7, 16, 7
	s_movk_i32 s7, 0x7f
	v_cmp_ne_u32_e32 vcc, s7, v23
	v_mov_b32_e32 v21, 0x7f80
	s_and_saveexec_b64 s[10:11], vcc
	s_cbranch_execz .LBB885_631
; %bb.630:
	v_and_b32_e32 v21, 7, v6
	v_ffbh_u32_e32 v24, v21
	v_min_u32_e32 v27, 32, v24
	v_subrev_u32_e32 v24, 28, v27
	v_lshlrev_b64 v[24:25], v24, v[6:7]
	v_lshrrev_b32_e32 v26, 3, v23
	v_sub_u32_e32 v6, 29, v27
	v_and_b32_e32 v24, 7, v24
	v_cmp_gt_u32_e32 vcc, 8, v23
	v_mov_b32_e32 v23, 24
	v_cndmask_b32_e32 v6, v26, v6, vcc
	v_cndmask_b32_e32 v21, v21, v24, vcc
	v_lshlrev_b32_sdwa v23, v23, v7 dst_sel:DWORD dst_unused:UNUSED_PAD src0_sel:DWORD src1_sel:WORD_1
	v_bfrev_b32_e32 v24, 60
	v_lshlrev_b32_e32 v21, 20, v21
	v_and_b32_e32 v23, 0x80000000, v23
	v_lshl_add_u32 v6, v6, 23, v24
	v_or3_b32 v6, v23, v6, v21
	v_lshrrev_b32_e32 v21, 16, v6
.LBB885_631:
	s_or_b64 exec, exec, s[10:11]
.LBB885_632:
	s_or_b64 exec, exec, s[8:9]
.LBB885_633:
	s_or_b64 exec, exec, s[2:3]
	s_mov_b32 s2, 0xffffff
	v_cmp_lt_u32_e32 vcc, s2, v7
	s_and_saveexec_b64 s[2:3], vcc
	s_cbranch_execz .LBB885_639
; %bb.634:
	v_lshrrev_b32_e32 v6, 24, v7
	s_movk_i32 s7, 0x80
	v_cmp_ne_u32_e32 vcc, s7, v6
	v_mov_b32_e32 v20, 0xffff8000
	s_and_saveexec_b64 s[8:9], vcc
	s_cbranch_execz .LBB885_638
; %bb.635:
	v_bfe_u32 v7, v7, 24, 7
	s_movk_i32 s7, 0x7f
	v_cmp_ne_u32_e32 vcc, s7, v7
	v_mov_b32_e32 v20, 0x7f80
	s_and_saveexec_b64 s[10:11], vcc
	s_cbranch_execz .LBB885_637
; %bb.636:
	v_and_b32_e32 v20, 7, v6
	v_ffbh_u32_e32 v24, v20
	v_min_u32_e32 v26, 32, v24
	v_subrev_u32_e32 v24, 28, v26
	v_lshlrev_b64 v[24:25], v24, v[6:7]
	v_lshrrev_b32_e32 v23, 3, v7
	v_sub_u32_e32 v25, 29, v26
	v_and_b32_e32 v24, 7, v24
	v_cmp_gt_u32_e32 vcc, 8, v7
	v_cndmask_b32_e32 v7, v23, v25, vcc
	v_cndmask_b32_e32 v20, v20, v24, vcc
	v_lshlrev_b32_e32 v6, 24, v6
	v_bfrev_b32_e32 v23, 60
	v_lshlrev_b32_e32 v20, 20, v20
	v_and_b32_e32 v6, 0x80000000, v6
	v_lshl_add_u32 v7, v7, 23, v23
	v_or3_b32 v6, v6, v7, v20
	v_lshrrev_b32_e32 v20, 16, v6
.LBB885_637:
	s_or_b64 exec, exec, s[10:11]
.LBB885_638:
	s_or_b64 exec, exec, s[8:9]
.LBB885_639:
	s_or_b64 exec, exec, s[2:3]
	s_mov_b32 s2, 0x5040100
	v_perm_b32 v7, v17, v18, s2
	v_perm_b32 v6, v15, v16, s2
	ds_read_b128 v[24:27], v22 offset:4096
	v_perm_b32 v17, v20, v21, s2
	v_perm_b32 v16, v14, v19, s2
	s_waitcnt lgkmcnt(0)
	v_mfma_f32_16x16x16bf16_1k v[10:13], v[6:7], v[24:25], v[10:13]
	v_mov_b32_e32 v7, 0
	v_cmp_ne_u16_sdwa s[8:9], v8, v7 src0_sel:BYTE_0 src1_sel:DWORD
	v_mov_b32_e32 v14, 0
	v_mfma_f32_16x16x16bf16_1k v[10:13], v[16:17], v[26:27], v[10:13]
	s_and_saveexec_b64 s[2:3], s[8:9]
	s_cbranch_execz .LBB885_645
; %bb.640:
	s_movk_i32 s7, 0x80
	v_cmp_ne_u16_sdwa s[10:11], v8, s7 src0_sel:BYTE_0 src1_sel:DWORD
	v_mov_b32_e32 v14, 0xffff8000
	s_and_saveexec_b64 s[8:9], s[10:11]
	s_cbranch_execz .LBB885_644
; %bb.641:
	s_movk_i32 s7, 0x7f
	v_and_b32_e32 v6, 0x7f, v8
	v_cmp_ne_u32_e32 vcc, s7, v6
	v_mov_b32_e32 v14, 0x7f80
	s_and_saveexec_b64 s[10:11], vcc
	s_cbranch_execz .LBB885_643
; %bb.642:
	v_and_b32_e32 v16, 7, v8
	v_ffbh_u32_e32 v14, v16
	v_min_u32_e32 v18, 32, v14
	v_subrev_u32_e32 v14, 28, v18
	v_lshlrev_b64 v[14:15], v14, v[8:9]
	v_lshrrev_b32_e32 v17, 3, v6
	v_sub_u32_e32 v15, 29, v18
	v_and_b32_e32 v14, 7, v14
	v_cmp_gt_u32_e32 vcc, 8, v6
	v_cndmask_b32_e32 v6, v17, v15, vcc
	v_cndmask_b32_e32 v14, v16, v14, vcc
	v_lshlrev_b32_e32 v15, 24, v8
	v_bfrev_b32_e32 v16, 60
	v_lshlrev_b32_e32 v14, 20, v14
	v_and_b32_e32 v15, 0x80000000, v15
	v_lshl_add_u32 v6, v6, 23, v16
	v_or3_b32 v6, v15, v6, v14
	v_lshrrev_b32_e32 v14, 16, v6
.LBB885_643:
	s_or_b64 exec, exec, s[10:11]
.LBB885_644:
	s_or_b64 exec, exec, s[8:9]
.LBB885_645:
	s_or_b64 exec, exec, s[2:3]
	v_lshrrev_b16_e32 v6, 8, v8
	v_cmp_ne_u16_e32 vcc, 0, v6
	s_and_saveexec_b64 s[2:3], vcc
	s_cbranch_execz .LBB885_651
; %bb.646:
	s_movk_i32 s7, 0x80
	v_cmp_ne_u16_e32 vcc, s7, v6
	v_mov_b32_e32 v7, 0xffff8000
	s_and_saveexec_b64 s[8:9], vcc
	s_cbranch_execz .LBB885_650
; %bb.647:
	s_movk_i32 s7, 0x7f
	v_and_b32_e32 v15, 0x7f, v6
	v_cmp_ne_u32_e32 vcc, s7, v15
	v_mov_b32_e32 v7, 0x7f80
	s_and_saveexec_b64 s[10:11], vcc
	s_cbranch_execz .LBB885_649
; %bb.648:
	v_and_b32_e32 v16, 7, v6
	v_ffbh_u32_e32 v7, v16
	v_min_u32_e32 v18, 32, v7
	v_subrev_u32_e32 v7, 28, v18
	v_lshlrev_b64 v[6:7], v7, v[6:7]
	v_lshrrev_b32_e32 v17, 3, v15
	v_sub_u32_e32 v7, 29, v18
	v_and_b32_e32 v6, 7, v6
	v_cmp_gt_u32_e32 vcc, 8, v15
	v_cndmask_b32_e32 v7, v17, v7, vcc
	v_cndmask_b32_e32 v6, v16, v6, vcc
	v_lshlrev_b32_e32 v15, 16, v8
	v_bfrev_b32_e32 v16, 60
	v_lshlrev_b32_e32 v6, 20, v6
	v_and_b32_e32 v15, 0x80000000, v15
	v_lshl_add_u32 v7, v7, 23, v16
	v_or3_b32 v6, v15, v7, v6
	v_lshrrev_b32_e32 v7, 16, v6
.LBB885_649:
	s_or_b64 exec, exec, s[10:11]
.LBB885_650:
	s_or_b64 exec, exec, s[8:9]
.LBB885_651:
	s_or_b64 exec, exec, s[2:3]
	s_movk_i32 s2, 0xff
	v_and_b32_sdwa v17, v8, s2 dst_sel:DWORD dst_unused:UNUSED_PAD src0_sel:WORD_1 src1_sel:DWORD
	v_lshrrev_b32_e32 v6, 16, v8
	v_cmp_ne_u16_e32 vcc, 0, v17
	v_mov_b32_e32 v15, 0
	v_mov_b32_e32 v16, 0
	s_and_saveexec_b64 s[2:3], vcc
	s_cbranch_execz .LBB885_657
; %bb.652:
	s_movk_i32 s7, 0x80
	v_cmp_ne_u16_e32 vcc, s7, v17
	v_mov_b32_e32 v16, 0xffff8000
	s_and_saveexec_b64 s[8:9], vcc
	s_cbranch_execz .LBB885_656
; %bb.653:
	v_bfe_u32 v17, v8, 16, 7
	s_movk_i32 s7, 0x7f
	v_cmp_ne_u32_e32 vcc, s7, v17
	v_mov_b32_e32 v16, 0x7f80
	s_and_saveexec_b64 s[10:11], vcc
	s_cbranch_execz .LBB885_655
; %bb.654:
	v_and_b32_e32 v16, 7, v6
	v_ffbh_u32_e32 v18, v16
	v_min_u32_e32 v21, 32, v18
	v_subrev_u32_e32 v18, 28, v21
	v_lshlrev_b64 v[18:19], v18, v[6:7]
	v_lshrrev_b32_e32 v20, 3, v17
	v_sub_u32_e32 v6, 29, v21
	v_and_b32_e32 v18, 7, v18
	v_cmp_gt_u32_e32 vcc, 8, v17
	v_mov_b32_e32 v17, 24
	v_cndmask_b32_e32 v6, v20, v6, vcc
	v_cndmask_b32_e32 v16, v16, v18, vcc
	v_lshlrev_b32_sdwa v17, v17, v8 dst_sel:DWORD dst_unused:UNUSED_PAD src0_sel:DWORD src1_sel:WORD_1
	v_bfrev_b32_e32 v18, 60
	v_lshlrev_b32_e32 v16, 20, v16
	v_and_b32_e32 v17, 0x80000000, v17
	v_lshl_add_u32 v6, v6, 23, v18
	v_or3_b32 v6, v17, v6, v16
	v_lshrrev_b32_e32 v16, 16, v6
.LBB885_655:
	s_or_b64 exec, exec, s[10:11]
.LBB885_656:
	s_or_b64 exec, exec, s[8:9]
.LBB885_657:
	s_or_b64 exec, exec, s[2:3]
	s_mov_b32 s2, 0xffffff
	v_cmp_lt_u32_e32 vcc, s2, v8
	s_and_saveexec_b64 s[2:3], vcc
	s_cbranch_execz .LBB885_663
; %bb.658:
	v_lshrrev_b32_e32 v6, 24, v8
	s_movk_i32 s7, 0x80
	v_cmp_ne_u32_e32 vcc, s7, v6
	v_mov_b32_e32 v15, 0xffff8000
	s_and_saveexec_b64 s[8:9], vcc
	s_cbranch_execz .LBB885_662
; %bb.659:
	v_bfe_u32 v8, v8, 24, 7
	s_movk_i32 s7, 0x7f
	v_cmp_ne_u32_e32 vcc, s7, v8
	v_mov_b32_e32 v15, 0x7f80
	s_and_saveexec_b64 s[10:11], vcc
	s_cbranch_execz .LBB885_661
; %bb.660:
	v_and_b32_e32 v15, 7, v6
	v_ffbh_u32_e32 v18, v15
	v_min_u32_e32 v20, 32, v18
	v_subrev_u32_e32 v18, 28, v20
	v_lshlrev_b64 v[18:19], v18, v[6:7]
	v_lshrrev_b32_e32 v17, 3, v8
	v_sub_u32_e32 v19, 29, v20
	v_and_b32_e32 v18, 7, v18
	v_cmp_gt_u32_e32 vcc, 8, v8
	v_cndmask_b32_e32 v8, v17, v19, vcc
	v_cndmask_b32_e32 v15, v15, v18, vcc
	v_lshlrev_b32_e32 v6, 24, v6
	v_bfrev_b32_e32 v17, 60
	v_lshlrev_b32_e32 v15, 20, v15
	v_and_b32_e32 v6, 0x80000000, v6
	v_lshl_add_u32 v8, v8, 23, v17
	v_or3_b32 v6, v6, v8, v15
	v_lshrrev_b32_e32 v15, 16, v6
.LBB885_661:
	s_or_b64 exec, exec, s[10:11]
.LBB885_662:
	s_or_b64 exec, exec, s[8:9]
.LBB885_663:
	s_or_b64 exec, exec, s[2:3]
	v_mov_b32_e32 v8, 0
	v_cmp_ne_u16_sdwa s[8:9], v9, v8 src0_sel:BYTE_0 src1_sel:DWORD
	v_mov_b32_e32 v17, 0
	s_and_saveexec_b64 s[2:3], s[8:9]
	s_cbranch_execz .LBB885_669
; %bb.664:
	s_movk_i32 s7, 0x80
	v_cmp_ne_u16_sdwa s[10:11], v9, s7 src0_sel:BYTE_0 src1_sel:DWORD
	v_mov_b32_e32 v17, 0xffff8000
	s_and_saveexec_b64 s[8:9], s[10:11]
	s_cbranch_execz .LBB885_668
; %bb.665:
	s_movk_i32 s7, 0x7f
	v_and_b32_e32 v6, 0x7f, v9
	v_cmp_ne_u32_e32 vcc, s7, v6
	v_mov_b32_e32 v17, 0x7f80
	s_and_saveexec_b64 s[10:11], vcc
	s_cbranch_execz .LBB885_667
; %bb.666:
	v_and_b32_e32 v17, 7, v9
	v_ffbh_u32_e32 v19, v17
	v_min_u32_e32 v21, 32, v19
	v_mov_b32_e32 v18, v9
	v_subrev_u32_e32 v19, 28, v21
	v_lshlrev_b64 v[18:19], v19, v[18:19]
	v_lshrrev_b32_e32 v20, 3, v6
	v_sub_u32_e32 v19, 29, v21
	v_and_b32_e32 v18, 7, v18
	v_cmp_gt_u32_e32 vcc, 8, v6
	v_cndmask_b32_e32 v6, v20, v19, vcc
	v_cndmask_b32_e32 v17, v17, v18, vcc
	v_lshlrev_b32_e32 v18, 24, v9
	v_bfrev_b32_e32 v19, 60
	v_lshlrev_b32_e32 v17, 20, v17
	v_and_b32_e32 v18, 0x80000000, v18
	v_lshl_add_u32 v6, v6, 23, v19
	v_or3_b32 v6, v18, v6, v17
	v_lshrrev_b32_e32 v17, 16, v6
.LBB885_667:
	s_or_b64 exec, exec, s[10:11]
.LBB885_668:
	s_or_b64 exec, exec, s[8:9]
.LBB885_669:
	s_or_b64 exec, exec, s[2:3]
	v_lshrrev_b16_e32 v6, 8, v9
	v_cmp_ne_u16_e32 vcc, 0, v6
	s_and_saveexec_b64 s[2:3], vcc
	s_cbranch_execz .LBB885_675
; %bb.670:
	s_movk_i32 s7, 0x80
	v_cmp_ne_u16_e32 vcc, s7, v6
	v_mov_b32_e32 v8, 0xffff8000
	s_and_saveexec_b64 s[8:9], vcc
	s_cbranch_execz .LBB885_674
; %bb.671:
	s_movk_i32 s7, 0x7f
	v_and_b32_e32 v18, 0x7f, v6
	v_cmp_ne_u32_e32 vcc, s7, v18
	v_mov_b32_e32 v8, 0x7f80
	s_and_saveexec_b64 s[10:11], vcc
	s_cbranch_execz .LBB885_673
; %bb.672:
	v_and_b32_e32 v8, 7, v6
	v_ffbh_u32_e32 v20, v8
	v_min_u32_e32 v23, 32, v20
	v_subrev_u32_e32 v20, 28, v23
	v_lshlrev_b64 v[20:21], v20, v[6:7]
	v_lshrrev_b32_e32 v19, 3, v18
	v_sub_u32_e32 v6, 29, v23
	v_and_b32_e32 v20, 7, v20
	v_cmp_gt_u32_e32 vcc, 8, v18
	v_cndmask_b32_e32 v6, v19, v6, vcc
	v_cndmask_b32_e32 v8, v8, v20, vcc
	v_lshlrev_b32_e32 v18, 16, v9
	v_bfrev_b32_e32 v19, 60
	v_lshlrev_b32_e32 v8, 20, v8
	v_and_b32_e32 v18, 0x80000000, v18
	v_lshl_add_u32 v6, v6, 23, v19
	v_or3_b32 v6, v18, v6, v8
	v_lshrrev_b32_e32 v8, 16, v6
.LBB885_673:
	s_or_b64 exec, exec, s[10:11]
.LBB885_674:
	s_or_b64 exec, exec, s[8:9]
.LBB885_675:
	s_or_b64 exec, exec, s[2:3]
	s_movk_i32 s2, 0xff
	v_and_b32_sdwa v20, v9, s2 dst_sel:DWORD dst_unused:UNUSED_PAD src0_sel:WORD_1 src1_sel:DWORD
	v_lshrrev_b32_e32 v6, 16, v9
	v_cmp_ne_u16_e32 vcc, 0, v20
	v_mov_b32_e32 v18, 0
	v_mov_b32_e32 v19, 0
	s_and_saveexec_b64 s[2:3], vcc
	s_cbranch_execz .LBB885_681
; %bb.676:
	s_movk_i32 s7, 0x80
	v_cmp_ne_u16_e32 vcc, s7, v20
	v_mov_b32_e32 v19, 0xffff8000
	s_and_saveexec_b64 s[8:9], vcc
	s_cbranch_execz .LBB885_680
; %bb.677:
	v_bfe_u32 v20, v9, 16, 7
	s_movk_i32 s7, 0x7f
	v_cmp_ne_u32_e32 vcc, s7, v20
	v_mov_b32_e32 v19, 0x7f80
	s_and_saveexec_b64 s[10:11], vcc
	s_cbranch_execz .LBB885_679
; %bb.678:
	v_and_b32_e32 v19, 7, v6
	v_ffbh_u32_e32 v23, v19
	v_min_u32_e32 v23, 32, v23
	v_subrev_u32_e32 v24, 28, v23
	v_lshlrev_b64 v[24:25], v24, v[6:7]
	v_lshrrev_b32_e32 v21, 3, v20
	v_sub_u32_e32 v6, 29, v23
	v_and_b32_e32 v23, 7, v24
	v_cmp_gt_u32_e32 vcc, 8, v20
	v_mov_b32_e32 v20, 24
	v_cndmask_b32_e32 v6, v21, v6, vcc
	v_cndmask_b32_e32 v19, v19, v23, vcc
	v_lshlrev_b32_sdwa v20, v20, v9 dst_sel:DWORD dst_unused:UNUSED_PAD src0_sel:DWORD src1_sel:WORD_1
	v_bfrev_b32_e32 v21, 60
	v_lshlrev_b32_e32 v19, 20, v19
	v_and_b32_e32 v20, 0x80000000, v20
	v_lshl_add_u32 v6, v6, 23, v21
	v_or3_b32 v6, v20, v6, v19
	v_lshrrev_b32_e32 v19, 16, v6
.LBB885_679:
	s_or_b64 exec, exec, s[10:11]
.LBB885_680:
	s_or_b64 exec, exec, s[8:9]
.LBB885_681:
	s_or_b64 exec, exec, s[2:3]
	s_mov_b32 s2, 0xffffff
	v_cmp_lt_u32_e32 vcc, s2, v9
	s_and_saveexec_b64 s[2:3], vcc
	s_cbranch_execz .LBB885_687
; %bb.682:
	v_lshrrev_b32_e32 v6, 24, v9
	s_movk_i32 s7, 0x80
	v_cmp_ne_u32_e32 vcc, s7, v6
	v_mov_b32_e32 v18, 0xffff8000
	s_and_saveexec_b64 s[8:9], vcc
	s_cbranch_execz .LBB885_686
; %bb.683:
	v_bfe_u32 v9, v9, 24, 7
	s_movk_i32 s7, 0x7f
	v_cmp_ne_u32_e32 vcc, s7, v9
	v_mov_b32_e32 v18, 0x7f80
	s_and_saveexec_b64 s[10:11], vcc
	s_cbranch_execz .LBB885_685
; %bb.684:
	v_and_b32_e32 v18, 7, v6
	v_ffbh_u32_e32 v20, v18
	v_min_u32_e32 v24, 32, v20
	v_subrev_u32_e32 v20, 28, v24
	v_lshlrev_b64 v[20:21], v20, v[6:7]
	v_lshrrev_b32_e32 v23, 3, v9
	v_sub_u32_e32 v21, 29, v24
	v_and_b32_e32 v20, 7, v20
	v_cmp_gt_u32_e32 vcc, 8, v9
	v_cndmask_b32_e32 v9, v23, v21, vcc
	v_cndmask_b32_e32 v18, v18, v20, vcc
	v_lshlrev_b32_e32 v6, 24, v6
	v_bfrev_b32_e32 v20, 60
	v_lshlrev_b32_e32 v18, 20, v18
	v_and_b32_e32 v6, 0x80000000, v6
	v_lshl_add_u32 v9, v9, 23, v20
	v_or3_b32 v6, v6, v9, v18
	v_lshrrev_b32_e32 v18, 16, v6
.LBB885_685:
	s_or_b64 exec, exec, s[10:11]
.LBB885_686:
	s_or_b64 exec, exec, s[8:9]
.LBB885_687:
	s_or_b64 exec, exec, s[2:3]
	s_mov_b32 s2, 0x5040100
	v_perm_b32 v15, v15, v16, s2
	v_perm_b32 v14, v7, v14, s2
	ds_read_b128 v[24:27], v22 offset:4112
	v_perm_b32 v7, v18, v19, s2
	v_perm_b32 v6, v8, v17, s2
	s_waitcnt lgkmcnt(0)
	v_mfma_f32_16x16x16bf16_1k v[30:33], v[14:15], v[24:25], v[10:13]
	s_nop 6
	v_mov_b32_e32 v11, 0
	s_waitcnt vmcnt(0)
	v_cmp_ne_u16_sdwa s[8:9], v2, v11 src0_sel:BYTE_0 src1_sel:DWORD
	v_mfma_f32_16x16x16bf16_1k v[6:9], v[6:7], v[26:27], v[30:33]
	v_mov_b32_e32 v12, 0
	s_and_saveexec_b64 s[2:3], s[8:9]
	s_cbranch_execz .LBB885_693
; %bb.688:
	s_movk_i32 s7, 0x80
	v_cmp_ne_u16_sdwa s[10:11], v2, s7 src0_sel:BYTE_0 src1_sel:DWORD
	v_mov_b32_e32 v12, 0xffff8000
	s_and_saveexec_b64 s[8:9], s[10:11]
	s_cbranch_execz .LBB885_692
; %bb.689:
	s_movk_i32 s7, 0x7f
	v_and_b32_e32 v10, 0x7f, v2
	v_cmp_ne_u32_e32 vcc, s7, v10
	v_mov_b32_e32 v12, 0x7f80
	s_and_saveexec_b64 s[10:11], vcc
	s_cbranch_execz .LBB885_691
; %bb.690:
	v_and_b32_e32 v14, 7, v2
	v_ffbh_u32_e32 v12, v14
	v_min_u32_e32 v16, 32, v12
	v_subrev_u32_e32 v12, 28, v16
	v_lshlrev_b64 v[12:13], v12, v[2:3]
	v_lshrrev_b32_e32 v15, 3, v10
	v_sub_u32_e32 v13, 29, v16
	v_and_b32_e32 v12, 7, v12
	v_cmp_gt_u32_e32 vcc, 8, v10
	v_cndmask_b32_e32 v10, v15, v13, vcc
	v_cndmask_b32_e32 v12, v14, v12, vcc
	v_lshlrev_b32_e32 v13, 24, v2
	v_bfrev_b32_e32 v14, 60
	v_lshlrev_b32_e32 v12, 20, v12
	v_and_b32_e32 v13, 0x80000000, v13
	v_lshl_add_u32 v10, v10, 23, v14
	v_or3_b32 v10, v13, v10, v12
	v_lshrrev_b32_e32 v12, 16, v10
.LBB885_691:
	s_or_b64 exec, exec, s[10:11]
.LBB885_692:
	s_or_b64 exec, exec, s[8:9]
.LBB885_693:
	s_or_b64 exec, exec, s[2:3]
	v_lshrrev_b16_e32 v10, 8, v2
	v_cmp_ne_u16_e32 vcc, 0, v10
	s_and_saveexec_b64 s[2:3], vcc
	s_cbranch_execz .LBB885_699
; %bb.694:
	s_movk_i32 s7, 0x80
	v_cmp_ne_u16_e32 vcc, s7, v10
	v_mov_b32_e32 v11, 0xffff8000
	s_and_saveexec_b64 s[8:9], vcc
	s_cbranch_execz .LBB885_698
; %bb.695:
	s_movk_i32 s7, 0x7f
	v_and_b32_e32 v13, 0x7f, v10
	v_cmp_ne_u32_e32 vcc, s7, v13
	v_mov_b32_e32 v11, 0x7f80
	s_and_saveexec_b64 s[10:11], vcc
	s_cbranch_execz .LBB885_697
; %bb.696:
	v_and_b32_e32 v14, 7, v10
	v_ffbh_u32_e32 v11, v14
	v_min_u32_e32 v16, 32, v11
	v_subrev_u32_e32 v11, 28, v16
	v_lshlrev_b64 v[10:11], v11, v[10:11]
	v_lshrrev_b32_e32 v15, 3, v13
	v_sub_u32_e32 v11, 29, v16
	v_and_b32_e32 v10, 7, v10
	v_cmp_gt_u32_e32 vcc, 8, v13
	v_cndmask_b32_e32 v11, v15, v11, vcc
	v_cndmask_b32_e32 v10, v14, v10, vcc
	v_lshlrev_b32_e32 v13, 16, v2
	v_bfrev_b32_e32 v14, 60
	v_lshlrev_b32_e32 v10, 20, v10
	v_and_b32_e32 v13, 0x80000000, v13
	v_lshl_add_u32 v11, v11, 23, v14
	v_or3_b32 v10, v13, v11, v10
	v_lshrrev_b32_e32 v11, 16, v10
.LBB885_697:
	s_or_b64 exec, exec, s[10:11]
.LBB885_698:
	s_or_b64 exec, exec, s[8:9]
.LBB885_699:
	s_or_b64 exec, exec, s[2:3]
	s_movk_i32 s2, 0xff
	v_and_b32_sdwa v15, v2, s2 dst_sel:DWORD dst_unused:UNUSED_PAD src0_sel:WORD_1 src1_sel:DWORD
	v_lshrrev_b32_e32 v10, 16, v2
	v_cmp_ne_u16_e32 vcc, 0, v15
	v_mov_b32_e32 v13, 0
	v_mov_b32_e32 v14, 0
	s_and_saveexec_b64 s[2:3], vcc
	s_cbranch_execz .LBB885_705
; %bb.700:
	s_movk_i32 s7, 0x80
	v_cmp_ne_u16_e32 vcc, s7, v15
	v_mov_b32_e32 v14, 0xffff8000
	s_and_saveexec_b64 s[8:9], vcc
	s_cbranch_execz .LBB885_704
; %bb.701:
	v_bfe_u32 v15, v2, 16, 7
	s_movk_i32 s7, 0x7f
	v_cmp_ne_u32_e32 vcc, s7, v15
	v_mov_b32_e32 v14, 0x7f80
	s_and_saveexec_b64 s[10:11], vcc
	s_cbranch_execz .LBB885_703
; %bb.702:
	v_and_b32_e32 v14, 7, v10
	v_ffbh_u32_e32 v16, v14
	v_min_u32_e32 v19, 32, v16
	v_subrev_u32_e32 v16, 28, v19
	v_lshlrev_b64 v[16:17], v16, v[10:11]
	v_lshrrev_b32_e32 v18, 3, v15
	v_sub_u32_e32 v10, 29, v19
	v_and_b32_e32 v16, 7, v16
	v_cmp_gt_u32_e32 vcc, 8, v15
	v_mov_b32_e32 v15, 24
	v_cndmask_b32_e32 v10, v18, v10, vcc
	v_cndmask_b32_e32 v14, v14, v16, vcc
	v_lshlrev_b32_sdwa v15, v15, v2 dst_sel:DWORD dst_unused:UNUSED_PAD src0_sel:DWORD src1_sel:WORD_1
	v_bfrev_b32_e32 v16, 60
	v_lshlrev_b32_e32 v14, 20, v14
	v_and_b32_e32 v15, 0x80000000, v15
	v_lshl_add_u32 v10, v10, 23, v16
	v_or3_b32 v10, v15, v10, v14
	v_lshrrev_b32_e32 v14, 16, v10
.LBB885_703:
	s_or_b64 exec, exec, s[10:11]
.LBB885_704:
	s_or_b64 exec, exec, s[8:9]
.LBB885_705:
	s_or_b64 exec, exec, s[2:3]
	s_mov_b32 s2, 0xffffff
	v_cmp_lt_u32_e32 vcc, s2, v2
	s_and_saveexec_b64 s[2:3], vcc
	s_cbranch_execz .LBB885_711
; %bb.706:
	v_lshrrev_b32_e32 v10, 24, v2
	s_movk_i32 s7, 0x80
	v_cmp_ne_u32_e32 vcc, s7, v10
	v_mov_b32_e32 v13, 0xffff8000
	s_and_saveexec_b64 s[8:9], vcc
	s_cbranch_execz .LBB885_710
; %bb.707:
	v_bfe_u32 v2, v2, 24, 7
	s_movk_i32 s7, 0x7f
	v_cmp_ne_u32_e32 vcc, s7, v2
	v_mov_b32_e32 v13, 0x7f80
	s_and_saveexec_b64 s[10:11], vcc
	s_cbranch_execz .LBB885_709
; %bb.708:
	v_and_b32_e32 v13, 7, v10
	v_ffbh_u32_e32 v16, v13
	v_min_u32_e32 v18, 32, v16
	v_subrev_u32_e32 v16, 28, v18
	v_lshlrev_b64 v[16:17], v16, v[10:11]
	v_lshrrev_b32_e32 v15, 3, v2
	v_sub_u32_e32 v17, 29, v18
	v_and_b32_e32 v16, 7, v16
	v_cmp_gt_u32_e32 vcc, 8, v2
	v_cndmask_b32_e32 v2, v15, v17, vcc
	v_cndmask_b32_e32 v13, v13, v16, vcc
	v_lshlrev_b32_e32 v10, 24, v10
	v_bfrev_b32_e32 v15, 60
	v_lshlrev_b32_e32 v13, 20, v13
	v_and_b32_e32 v10, 0x80000000, v10
	v_lshl_add_u32 v2, v2, 23, v15
	v_or3_b32 v2, v10, v2, v13
	v_lshrrev_b32_e32 v13, 16, v2
.LBB885_709:
	s_or_b64 exec, exec, s[10:11]
.LBB885_710:
	s_or_b64 exec, exec, s[8:9]
.LBB885_711:
	s_or_b64 exec, exec, s[2:3]
	v_mov_b32_e32 v10, 0
	v_cmp_ne_u16_sdwa s[8:9], v3, v10 src0_sel:BYTE_0 src1_sel:DWORD
	v_mov_b32_e32 v15, 0
	s_and_saveexec_b64 s[2:3], s[8:9]
	s_cbranch_execz .LBB885_717
; %bb.712:
	s_movk_i32 s7, 0x80
	v_cmp_ne_u16_sdwa s[10:11], v3, s7 src0_sel:BYTE_0 src1_sel:DWORD
	v_mov_b32_e32 v15, 0xffff8000
	s_and_saveexec_b64 s[8:9], s[10:11]
	s_cbranch_execz .LBB885_716
; %bb.713:
	s_movk_i32 s7, 0x7f
	v_and_b32_e32 v2, 0x7f, v3
	v_cmp_ne_u32_e32 vcc, s7, v2
	v_mov_b32_e32 v15, 0x7f80
	s_and_saveexec_b64 s[10:11], vcc
	s_cbranch_execz .LBB885_715
; %bb.714:
	v_and_b32_e32 v15, 7, v3
	v_ffbh_u32_e32 v17, v15
	v_min_u32_e32 v19, 32, v17
	v_mov_b32_e32 v16, v3
	v_subrev_u32_e32 v17, 28, v19
	v_lshlrev_b64 v[16:17], v17, v[16:17]
	v_lshrrev_b32_e32 v18, 3, v2
	v_sub_u32_e32 v17, 29, v19
	v_and_b32_e32 v16, 7, v16
	v_cmp_gt_u32_e32 vcc, 8, v2
	v_cndmask_b32_e32 v2, v18, v17, vcc
	v_cndmask_b32_e32 v15, v15, v16, vcc
	v_lshlrev_b32_e32 v16, 24, v3
	v_bfrev_b32_e32 v17, 60
	v_lshlrev_b32_e32 v15, 20, v15
	v_and_b32_e32 v16, 0x80000000, v16
	v_lshl_add_u32 v2, v2, 23, v17
	v_or3_b32 v2, v16, v2, v15
	v_lshrrev_b32_e32 v15, 16, v2
.LBB885_715:
	s_or_b64 exec, exec, s[10:11]
.LBB885_716:
	s_or_b64 exec, exec, s[8:9]
.LBB885_717:
	s_or_b64 exec, exec, s[2:3]
	v_lshrrev_b16_e32 v2, 8, v3
	v_cmp_ne_u16_e32 vcc, 0, v2
	s_and_saveexec_b64 s[2:3], vcc
	s_cbranch_execz .LBB885_723
; %bb.718:
	s_movk_i32 s7, 0x80
	v_cmp_ne_u16_e32 vcc, s7, v2
	v_mov_b32_e32 v10, 0xffff8000
	s_and_saveexec_b64 s[8:9], vcc
	s_cbranch_execz .LBB885_722
; %bb.719:
	s_movk_i32 s7, 0x7f
	v_and_b32_e32 v16, 0x7f, v2
	v_cmp_ne_u32_e32 vcc, s7, v16
	v_mov_b32_e32 v10, 0x7f80
	s_and_saveexec_b64 s[10:11], vcc
	s_cbranch_execz .LBB885_721
; %bb.720:
	v_and_b32_e32 v10, 7, v2
	v_ffbh_u32_e32 v18, v10
	v_min_u32_e32 v20, 32, v18
	v_subrev_u32_e32 v18, 28, v20
	v_lshlrev_b64 v[18:19], v18, v[2:3]
	v_lshrrev_b32_e32 v17, 3, v16
	v_sub_u32_e32 v2, 29, v20
	v_and_b32_e32 v18, 7, v18
	v_cmp_gt_u32_e32 vcc, 8, v16
	v_cndmask_b32_e32 v2, v17, v2, vcc
	v_cndmask_b32_e32 v10, v10, v18, vcc
	v_lshlrev_b32_e32 v16, 16, v3
	v_bfrev_b32_e32 v17, 60
	v_lshlrev_b32_e32 v10, 20, v10
	v_and_b32_e32 v16, 0x80000000, v16
	v_lshl_add_u32 v2, v2, 23, v17
	v_or3_b32 v2, v16, v2, v10
	v_lshrrev_b32_e32 v10, 16, v2
.LBB885_721:
	s_or_b64 exec, exec, s[10:11]
.LBB885_722:
	s_or_b64 exec, exec, s[8:9]
.LBB885_723:
	s_or_b64 exec, exec, s[2:3]
	s_movk_i32 s2, 0xff
	v_and_b32_sdwa v18, v3, s2 dst_sel:DWORD dst_unused:UNUSED_PAD src0_sel:WORD_1 src1_sel:DWORD
	v_lshrrev_b32_e32 v2, 16, v3
	v_cmp_ne_u16_e32 vcc, 0, v18
	v_mov_b32_e32 v16, 0
	v_mov_b32_e32 v17, 0
	s_and_saveexec_b64 s[2:3], vcc
	s_cbranch_execz .LBB885_729
; %bb.724:
	s_movk_i32 s7, 0x80
	v_cmp_ne_u16_e32 vcc, s7, v18
	v_mov_b32_e32 v17, 0xffff8000
	s_and_saveexec_b64 s[8:9], vcc
	s_cbranch_execz .LBB885_728
; %bb.725:
	v_bfe_u32 v18, v3, 16, 7
	s_movk_i32 s7, 0x7f
	v_cmp_ne_u32_e32 vcc, s7, v18
	v_mov_b32_e32 v17, 0x7f80
	s_and_saveexec_b64 s[10:11], vcc
	s_cbranch_execz .LBB885_727
; %bb.726:
	v_and_b32_e32 v17, 7, v2
	v_ffbh_u32_e32 v20, v17
	v_min_u32_e32 v23, 32, v20
	v_subrev_u32_e32 v20, 28, v23
	v_lshlrev_b64 v[20:21], v20, v[2:3]
	v_lshrrev_b32_e32 v19, 3, v18
	v_sub_u32_e32 v2, 29, v23
	v_and_b32_e32 v20, 7, v20
	v_cmp_gt_u32_e32 vcc, 8, v18
	v_mov_b32_e32 v18, 24
	v_cndmask_b32_e32 v2, v19, v2, vcc
	v_cndmask_b32_e32 v17, v17, v20, vcc
	v_lshlrev_b32_sdwa v18, v18, v3 dst_sel:DWORD dst_unused:UNUSED_PAD src0_sel:DWORD src1_sel:WORD_1
	v_bfrev_b32_e32 v19, 60
	v_lshlrev_b32_e32 v17, 20, v17
	v_and_b32_e32 v18, 0x80000000, v18
	v_lshl_add_u32 v2, v2, 23, v19
	v_or3_b32 v2, v18, v2, v17
	v_lshrrev_b32_e32 v17, 16, v2
.LBB885_727:
	s_or_b64 exec, exec, s[10:11]
.LBB885_728:
	s_or_b64 exec, exec, s[8:9]
.LBB885_729:
	s_or_b64 exec, exec, s[2:3]
	s_mov_b32 s2, 0xffffff
	v_cmp_lt_u32_e32 vcc, s2, v3
	s_and_saveexec_b64 s[2:3], vcc
	s_cbranch_execz .LBB885_735
; %bb.730:
	v_lshrrev_b32_e32 v2, 24, v3
	s_movk_i32 s7, 0x80
	v_cmp_ne_u32_e32 vcc, s7, v2
	v_mov_b32_e32 v16, 0xffff8000
	s_and_saveexec_b64 s[8:9], vcc
	s_cbranch_execz .LBB885_734
; %bb.731:
	v_bfe_u32 v3, v3, 24, 7
	s_movk_i32 s7, 0x7f
	v_cmp_ne_u32_e32 vcc, s7, v3
	v_mov_b32_e32 v16, 0x7f80
	s_and_saveexec_b64 s[10:11], vcc
	s_cbranch_execz .LBB885_733
; %bb.732:
	v_and_b32_e32 v16, 7, v2
	v_ffbh_u32_e32 v18, v16
	v_min_u32_e32 v21, 32, v18
	v_subrev_u32_e32 v18, 28, v21
	v_lshlrev_b64 v[18:19], v18, v[2:3]
	v_lshrrev_b32_e32 v20, 3, v3
	v_sub_u32_e32 v19, 29, v21
	v_and_b32_e32 v18, 7, v18
	v_cmp_gt_u32_e32 vcc, 8, v3
	v_cndmask_b32_e32 v3, v20, v19, vcc
	v_cndmask_b32_e32 v16, v16, v18, vcc
	v_lshlrev_b32_e32 v2, 24, v2
	v_bfrev_b32_e32 v18, 60
	v_lshlrev_b32_e32 v16, 20, v16
	v_and_b32_e32 v2, 0x80000000, v2
	v_lshl_add_u32 v3, v3, 23, v18
	v_or3_b32 v2, v2, v3, v16
	v_lshrrev_b32_e32 v16, 16, v2
.LBB885_733:
	s_or_b64 exec, exec, s[10:11]
.LBB885_734:
	s_or_b64 exec, exec, s[8:9]
.LBB885_735:
	s_or_b64 exec, exec, s[2:3]
	s_mov_b32 s2, 0x5040100
	v_perm_b32 v3, v13, v14, s2
	v_perm_b32 v2, v11, v12, s2
	ds_read_b128 v[18:21], v22 offset:6144
	v_perm_b32 v13, v16, v17, s2
	v_perm_b32 v12, v10, v15, s2
	s_waitcnt lgkmcnt(0)
	v_mfma_f32_16x16x16bf16_1k v[6:9], v[2:3], v[18:19], v[6:9]
	v_mov_b32_e32 v3, 0
	v_cmp_ne_u16_sdwa s[8:9], v4, v3 src0_sel:BYTE_0 src1_sel:DWORD
	v_mov_b32_e32 v10, 0
	v_mfma_f32_16x16x16bf16_1k v[6:9], v[12:13], v[20:21], v[6:9]
	s_and_saveexec_b64 s[2:3], s[8:9]
	s_cbranch_execz .LBB885_741
; %bb.736:
	s_movk_i32 s7, 0x80
	v_cmp_ne_u16_sdwa s[10:11], v4, s7 src0_sel:BYTE_0 src1_sel:DWORD
	v_mov_b32_e32 v10, 0xffff8000
	s_and_saveexec_b64 s[8:9], s[10:11]
	s_cbranch_execz .LBB885_740
; %bb.737:
	s_movk_i32 s7, 0x7f
	v_and_b32_e32 v2, 0x7f, v4
	v_cmp_ne_u32_e32 vcc, s7, v2
	v_mov_b32_e32 v10, 0x7f80
	s_and_saveexec_b64 s[10:11], vcc
	s_cbranch_execz .LBB885_739
; %bb.738:
	v_and_b32_e32 v12, 7, v4
	v_ffbh_u32_e32 v10, v12
	v_min_u32_e32 v14, 32, v10
	v_subrev_u32_e32 v10, 28, v14
	v_lshlrev_b64 v[10:11], v10, v[4:5]
	v_lshrrev_b32_e32 v13, 3, v2
	v_sub_u32_e32 v11, 29, v14
	v_and_b32_e32 v10, 7, v10
	v_cmp_gt_u32_e32 vcc, 8, v2
	v_cndmask_b32_e32 v2, v13, v11, vcc
	v_cndmask_b32_e32 v10, v12, v10, vcc
	v_lshlrev_b32_e32 v11, 24, v4
	v_bfrev_b32_e32 v12, 60
	v_lshlrev_b32_e32 v10, 20, v10
	v_and_b32_e32 v11, 0x80000000, v11
	v_lshl_add_u32 v2, v2, 23, v12
	v_or3_b32 v2, v11, v2, v10
	v_lshrrev_b32_e32 v10, 16, v2
.LBB885_739:
	s_or_b64 exec, exec, s[10:11]
.LBB885_740:
	s_or_b64 exec, exec, s[8:9]
.LBB885_741:
	s_or_b64 exec, exec, s[2:3]
	v_lshrrev_b16_e32 v2, 8, v4
	v_cmp_ne_u16_e32 vcc, 0, v2
	s_and_saveexec_b64 s[2:3], vcc
	s_cbranch_execz .LBB885_747
; %bb.742:
	s_movk_i32 s7, 0x80
	v_cmp_ne_u16_e32 vcc, s7, v2
	v_mov_b32_e32 v3, 0xffff8000
	s_and_saveexec_b64 s[8:9], vcc
	s_cbranch_execz .LBB885_746
; %bb.743:
	s_movk_i32 s7, 0x7f
	v_and_b32_e32 v11, 0x7f, v2
	v_cmp_ne_u32_e32 vcc, s7, v11
	v_mov_b32_e32 v3, 0x7f80
	s_and_saveexec_b64 s[10:11], vcc
	s_cbranch_execz .LBB885_745
; %bb.744:
	v_and_b32_e32 v12, 7, v2
	v_ffbh_u32_e32 v3, v12
	v_min_u32_e32 v14, 32, v3
	v_subrev_u32_e32 v3, 28, v14
	v_lshlrev_b64 v[2:3], v3, v[2:3]
	v_lshrrev_b32_e32 v13, 3, v11
	v_sub_u32_e32 v3, 29, v14
	v_and_b32_e32 v2, 7, v2
	v_cmp_gt_u32_e32 vcc, 8, v11
	v_cndmask_b32_e32 v3, v13, v3, vcc
	v_cndmask_b32_e32 v2, v12, v2, vcc
	v_lshlrev_b32_e32 v11, 16, v4
	v_bfrev_b32_e32 v12, 60
	v_lshlrev_b32_e32 v2, 20, v2
	v_and_b32_e32 v11, 0x80000000, v11
	v_lshl_add_u32 v3, v3, 23, v12
	v_or3_b32 v2, v11, v3, v2
	v_lshrrev_b32_e32 v3, 16, v2
.LBB885_745:
	s_or_b64 exec, exec, s[10:11]
.LBB885_746:
	s_or_b64 exec, exec, s[8:9]
.LBB885_747:
	s_or_b64 exec, exec, s[2:3]
	s_movk_i32 s2, 0xff
	v_and_b32_sdwa v13, v4, s2 dst_sel:DWORD dst_unused:UNUSED_PAD src0_sel:WORD_1 src1_sel:DWORD
	v_lshrrev_b32_e32 v2, 16, v4
	v_cmp_ne_u16_e32 vcc, 0, v13
	v_mov_b32_e32 v11, 0
	v_mov_b32_e32 v12, 0
	s_and_saveexec_b64 s[2:3], vcc
	s_cbranch_execz .LBB885_753
; %bb.748:
	s_movk_i32 s7, 0x80
	v_cmp_ne_u16_e32 vcc, s7, v13
	v_mov_b32_e32 v12, 0xffff8000
	s_and_saveexec_b64 s[8:9], vcc
	s_cbranch_execz .LBB885_752
; %bb.749:
	v_bfe_u32 v13, v4, 16, 7
	s_movk_i32 s7, 0x7f
	v_cmp_ne_u32_e32 vcc, s7, v13
	v_mov_b32_e32 v12, 0x7f80
	s_and_saveexec_b64 s[10:11], vcc
	s_cbranch_execz .LBB885_751
; %bb.750:
	v_and_b32_e32 v12, 7, v2
	v_ffbh_u32_e32 v14, v12
	v_min_u32_e32 v17, 32, v14
	v_subrev_u32_e32 v14, 28, v17
	v_lshlrev_b64 v[14:15], v14, v[2:3]
	v_lshrrev_b32_e32 v16, 3, v13
	v_sub_u32_e32 v2, 29, v17
	v_and_b32_e32 v14, 7, v14
	v_cmp_gt_u32_e32 vcc, 8, v13
	v_mov_b32_e32 v13, 24
	v_cndmask_b32_e32 v2, v16, v2, vcc
	v_cndmask_b32_e32 v12, v12, v14, vcc
	v_lshlrev_b32_sdwa v13, v13, v4 dst_sel:DWORD dst_unused:UNUSED_PAD src0_sel:DWORD src1_sel:WORD_1
	v_bfrev_b32_e32 v14, 60
	v_lshlrev_b32_e32 v12, 20, v12
	v_and_b32_e32 v13, 0x80000000, v13
	v_lshl_add_u32 v2, v2, 23, v14
	v_or3_b32 v2, v13, v2, v12
	v_lshrrev_b32_e32 v12, 16, v2
.LBB885_751:
	s_or_b64 exec, exec, s[10:11]
.LBB885_752:
	s_or_b64 exec, exec, s[8:9]
.LBB885_753:
	s_or_b64 exec, exec, s[2:3]
	s_mov_b32 s2, 0xffffff
	v_cmp_lt_u32_e32 vcc, s2, v4
	s_and_saveexec_b64 s[2:3], vcc
	s_cbranch_execz .LBB885_759
; %bb.754:
	v_lshrrev_b32_e32 v2, 24, v4
	s_movk_i32 s7, 0x80
	v_cmp_ne_u32_e32 vcc, s7, v2
	v_mov_b32_e32 v11, 0xffff8000
	s_and_saveexec_b64 s[8:9], vcc
	s_cbranch_execz .LBB885_758
; %bb.755:
	v_bfe_u32 v4, v4, 24, 7
	s_movk_i32 s7, 0x7f
	v_cmp_ne_u32_e32 vcc, s7, v4
	v_mov_b32_e32 v11, 0x7f80
	s_and_saveexec_b64 s[10:11], vcc
	s_cbranch_execz .LBB885_757
; %bb.756:
	v_and_b32_e32 v11, 7, v2
	v_ffbh_u32_e32 v14, v11
	v_min_u32_e32 v16, 32, v14
	v_subrev_u32_e32 v14, 28, v16
	v_lshlrev_b64 v[14:15], v14, v[2:3]
	v_lshrrev_b32_e32 v13, 3, v4
	v_sub_u32_e32 v15, 29, v16
	v_and_b32_e32 v14, 7, v14
	v_cmp_gt_u32_e32 vcc, 8, v4
	v_cndmask_b32_e32 v4, v13, v15, vcc
	v_cndmask_b32_e32 v11, v11, v14, vcc
	v_lshlrev_b32_e32 v2, 24, v2
	v_bfrev_b32_e32 v13, 60
	v_lshlrev_b32_e32 v11, 20, v11
	v_and_b32_e32 v2, 0x80000000, v2
	v_lshl_add_u32 v4, v4, 23, v13
	v_or3_b32 v2, v2, v4, v11
	v_lshrrev_b32_e32 v11, 16, v2
.LBB885_757:
	s_or_b64 exec, exec, s[10:11]
.LBB885_758:
	s_or_b64 exec, exec, s[8:9]
.LBB885_759:
	s_or_b64 exec, exec, s[2:3]
	v_mov_b32_e32 v4, 0
	v_cmp_ne_u16_sdwa s[8:9], v5, v4 src0_sel:BYTE_0 src1_sel:DWORD
	v_mov_b32_e32 v13, 0
	s_and_saveexec_b64 s[2:3], s[8:9]
	s_cbranch_execz .LBB885_765
; %bb.760:
	s_movk_i32 s7, 0x80
	v_cmp_ne_u16_sdwa s[10:11], v5, s7 src0_sel:BYTE_0 src1_sel:DWORD
	v_mov_b32_e32 v13, 0xffff8000
	s_and_saveexec_b64 s[8:9], s[10:11]
	s_cbranch_execz .LBB885_764
; %bb.761:
	s_movk_i32 s7, 0x7f
	v_and_b32_e32 v2, 0x7f, v5
	v_cmp_ne_u32_e32 vcc, s7, v2
	v_mov_b32_e32 v13, 0x7f80
	s_and_saveexec_b64 s[10:11], vcc
	s_cbranch_execz .LBB885_763
; %bb.762:
	v_and_b32_e32 v13, 7, v5
	v_ffbh_u32_e32 v15, v13
	v_min_u32_e32 v17, 32, v15
	v_mov_b32_e32 v14, v5
	v_subrev_u32_e32 v15, 28, v17
	v_lshlrev_b64 v[14:15], v15, v[14:15]
	v_lshrrev_b32_e32 v16, 3, v2
	v_sub_u32_e32 v15, 29, v17
	v_and_b32_e32 v14, 7, v14
	v_cmp_gt_u32_e32 vcc, 8, v2
	v_cndmask_b32_e32 v2, v16, v15, vcc
	v_cndmask_b32_e32 v13, v13, v14, vcc
	v_lshlrev_b32_e32 v14, 24, v5
	v_bfrev_b32_e32 v15, 60
	v_lshlrev_b32_e32 v13, 20, v13
	v_and_b32_e32 v14, 0x80000000, v14
	v_lshl_add_u32 v2, v2, 23, v15
	v_or3_b32 v2, v14, v2, v13
	v_lshrrev_b32_e32 v13, 16, v2
.LBB885_763:
	s_or_b64 exec, exec, s[10:11]
.LBB885_764:
	s_or_b64 exec, exec, s[8:9]
.LBB885_765:
	s_or_b64 exec, exec, s[2:3]
	v_lshrrev_b16_e32 v2, 8, v5
	v_cmp_ne_u16_e32 vcc, 0, v2
	s_and_saveexec_b64 s[2:3], vcc
	s_cbranch_execz .LBB885_771
; %bb.766:
	s_movk_i32 s7, 0x80
	v_cmp_ne_u16_e32 vcc, s7, v2
	v_mov_b32_e32 v4, 0xffff8000
	s_and_saveexec_b64 s[8:9], vcc
	s_cbranch_execz .LBB885_770
; %bb.767:
	s_movk_i32 s7, 0x7f
	v_and_b32_e32 v14, 0x7f, v2
	v_cmp_ne_u32_e32 vcc, s7, v14
	v_mov_b32_e32 v4, 0x7f80
	s_and_saveexec_b64 s[10:11], vcc
	s_cbranch_execz .LBB885_769
; %bb.768:
	v_and_b32_e32 v4, 7, v2
	v_ffbh_u32_e32 v16, v4
	v_min_u32_e32 v18, 32, v16
	v_subrev_u32_e32 v16, 28, v18
	v_lshlrev_b64 v[16:17], v16, v[2:3]
	v_lshrrev_b32_e32 v15, 3, v14
	v_sub_u32_e32 v2, 29, v18
	v_and_b32_e32 v16, 7, v16
	v_cmp_gt_u32_e32 vcc, 8, v14
	v_cndmask_b32_e32 v2, v15, v2, vcc
	v_cndmask_b32_e32 v4, v4, v16, vcc
	v_lshlrev_b32_e32 v14, 16, v5
	v_bfrev_b32_e32 v15, 60
	v_lshlrev_b32_e32 v4, 20, v4
	v_and_b32_e32 v14, 0x80000000, v14
	v_lshl_add_u32 v2, v2, 23, v15
	v_or3_b32 v2, v14, v2, v4
	v_lshrrev_b32_e32 v4, 16, v2
.LBB885_769:
	s_or_b64 exec, exec, s[10:11]
.LBB885_770:
	s_or_b64 exec, exec, s[8:9]
.LBB885_771:
	s_or_b64 exec, exec, s[2:3]
	s_movk_i32 s2, 0xff
	v_and_b32_sdwa v16, v5, s2 dst_sel:DWORD dst_unused:UNUSED_PAD src0_sel:WORD_1 src1_sel:DWORD
	v_lshrrev_b32_e32 v2, 16, v5
	v_cmp_ne_u16_e32 vcc, 0, v16
	v_mov_b32_e32 v14, 0
	v_mov_b32_e32 v15, 0
	s_and_saveexec_b64 s[2:3], vcc
	s_cbranch_execz .LBB885_777
; %bb.772:
	s_movk_i32 s7, 0x80
	v_cmp_ne_u16_e32 vcc, s7, v16
	v_mov_b32_e32 v15, 0xffff8000
	s_and_saveexec_b64 s[8:9], vcc
	s_cbranch_execz .LBB885_776
; %bb.773:
	v_bfe_u32 v16, v5, 16, 7
	s_movk_i32 s7, 0x7f
	v_cmp_ne_u32_e32 vcc, s7, v16
	v_mov_b32_e32 v15, 0x7f80
	s_and_saveexec_b64 s[10:11], vcc
	s_cbranch_execz .LBB885_775
; %bb.774:
	v_and_b32_e32 v15, 7, v2
	v_ffbh_u32_e32 v18, v15
	v_min_u32_e32 v20, 32, v18
	v_subrev_u32_e32 v18, 28, v20
	v_lshlrev_b64 v[18:19], v18, v[2:3]
	v_lshrrev_b32_e32 v17, 3, v16
	v_sub_u32_e32 v2, 29, v20
	v_and_b32_e32 v18, 7, v18
	v_cmp_gt_u32_e32 vcc, 8, v16
	v_mov_b32_e32 v16, 24
	v_cndmask_b32_e32 v2, v17, v2, vcc
	v_cndmask_b32_e32 v15, v15, v18, vcc
	v_lshlrev_b32_sdwa v16, v16, v5 dst_sel:DWORD dst_unused:UNUSED_PAD src0_sel:DWORD src1_sel:WORD_1
	v_bfrev_b32_e32 v17, 60
	v_lshlrev_b32_e32 v15, 20, v15
	v_and_b32_e32 v16, 0x80000000, v16
	v_lshl_add_u32 v2, v2, 23, v17
	v_or3_b32 v2, v16, v2, v15
	v_lshrrev_b32_e32 v15, 16, v2
.LBB885_775:
	s_or_b64 exec, exec, s[10:11]
.LBB885_776:
	s_or_b64 exec, exec, s[8:9]
.LBB885_777:
	s_or_b64 exec, exec, s[2:3]
	s_mov_b32 s2, 0xffffff
	v_cmp_lt_u32_e32 vcc, s2, v5
	s_and_saveexec_b64 s[2:3], vcc
	s_cbranch_execz .LBB885_783
; %bb.778:
	v_lshrrev_b32_e32 v2, 24, v5
	s_movk_i32 s7, 0x80
	v_cmp_ne_u32_e32 vcc, s7, v2
	v_mov_b32_e32 v14, 0xffff8000
	s_and_saveexec_b64 s[8:9], vcc
	s_cbranch_execz .LBB885_782
; %bb.779:
	v_bfe_u32 v5, v5, 24, 7
	s_movk_i32 s7, 0x7f
	v_cmp_ne_u32_e32 vcc, s7, v5
	v_mov_b32_e32 v14, 0x7f80
	s_and_saveexec_b64 s[10:11], vcc
	s_cbranch_execz .LBB885_781
; %bb.780:
	v_and_b32_e32 v14, 7, v2
	v_ffbh_u32_e32 v16, v14
	v_min_u32_e32 v19, 32, v16
	v_subrev_u32_e32 v16, 28, v19
	v_lshlrev_b64 v[16:17], v16, v[2:3]
	v_lshrrev_b32_e32 v18, 3, v5
	v_sub_u32_e32 v17, 29, v19
	v_and_b32_e32 v16, 7, v16
	v_cmp_gt_u32_e32 vcc, 8, v5
	v_cndmask_b32_e32 v5, v18, v17, vcc
	v_cndmask_b32_e32 v14, v14, v16, vcc
	v_lshlrev_b32_e32 v2, 24, v2
	v_bfrev_b32_e32 v16, 60
	v_lshlrev_b32_e32 v14, 20, v14
	v_and_b32_e32 v2, 0x80000000, v2
	v_lshl_add_u32 v5, v5, 23, v16
	v_or3_b32 v2, v2, v5, v14
	v_lshrrev_b32_e32 v14, 16, v2
.LBB885_781:
	s_or_b64 exec, exec, s[10:11]
.LBB885_782:
	s_or_b64 exec, exec, s[8:9]
.LBB885_783:
	s_or_b64 exec, exec, s[2:3]
	s_mov_b32 s3, 0x5040100
	v_perm_b32 v11, v11, v12, s3
	ds_read_b128 v[16:19], v22 offset:6160
	v_perm_b32 v10, v3, v10, s3
	v_perm_b32 v3, v14, v15, s3
	;; [unrolled: 1-line block ×3, first 2 shown]
	s_waitcnt lgkmcnt(0)
	v_mfma_f32_16x16x16bf16_1k v[6:9], v[10:11], v[16:17], v[6:9]
	s_load_dword s2, s[42:43], 0x0
	s_mov_b32 s3, 0x7060302
	s_movk_i32 s7, 0x7fff
	v_cmp_gt_u32_e32 vcc, 64, v0
	s_and_b64 s[0:1], vcc, s[0:1]
	s_waitcnt lgkmcnt(0)
	s_barrier
	v_mfma_f32_16x16x16bf16_1k v[2:5], v[2:3], v[18:19], v[6:9]
	s_nop 7
	s_nop 2
	v_pk_mul_f32 v[4:5], v[4:5], s[2:3] op_sel_hi:[1,0]
	v_pk_mul_f32 v[2:3], v[2:3], s[2:3] op_sel_hi:[1,0]
	v_bfe_u32 v6, v3, 16, 1
	v_bfe_u32 v7, v2, 16, 1
	;; [unrolled: 1-line block ×4, first 2 shown]
	v_add3_u32 v2, v2, v7, s7
	v_add3_u32 v3, v3, v6, s7
	;; [unrolled: 1-line block ×4, first 2 shown]
	v_perm_b32 v2, v3, v2, s3
	v_perm_b32 v3, v5, v4, s3
	ds_write_b64 v28, v[2:3]
	s_waitcnt lgkmcnt(0)
	s_barrier
	s_and_saveexec_b64 s[2:3], s[0:1]
	s_cbranch_execz .LBB885_785
; %bb.784:
	s_load_dwordx2 s[0:1], s[4:5], 0x68
	s_lshl_b32 s4, s44, 6
	s_mul_i32 s2, s12, s6
	s_mul_hi_u32 s3, s2, s4
	s_mul_i32 s2, s2, s4
	s_lshl_b64 s[2:3], s[2:3], 1
	s_waitcnt lgkmcnt(0)
	s_add_u32 s2, s0, s2
	s_addc_u32 s3, s1, s3
	s_lshl_b32 s0, s24, 6
	s_mov_b32 s1, 0
	v_lshlrev_b32_e32 v0, 10, v0
	s_lshl_b64 s[0:1], s[0:1], 1
	v_and_b32_e32 v0, 0x1800, v0
	v_lshlrev_b32_e32 v2, 5, v1
	v_and_b32_e32 v3, 16, v47
	s_add_u32 s0, s2, s0
	v_or3_b32 v0, v0, v2, v3
	s_addc_u32 s1, s3, s1
	ds_read_b128 v[2:5], v0
	ds_read_b128 v[6:9], v0 offset:128
	v_mov_b32_e32 v0, s1
	v_add_co_u32_e32 v10, vcc, s0, v46
	v_or_b32_e32 v12, s25, v1
	v_addc_co_u32_e32 v11, vcc, 0, v0, vcc
	v_mad_u64_u32 v[0:1], s[0:1], v12, s4, 0
	v_lshlrev_b64 v[0:1], 1, v[0:1]
	v_add_co_u32_e32 v0, vcc, v10, v0
	v_addc_co_u32_e32 v1, vcc, v11, v1, vcc
	s_waitcnt lgkmcnt(1)
	global_store_dwordx4 v[0:1], v[2:5], off
	v_or_b32_e32 v0, 4, v12
	v_mad_u64_u32 v[0:1], s[0:1], v0, s4, 0
	v_lshlrev_b64 v[0:1], 1, v[0:1]
	v_add_co_u32_e32 v0, vcc, v10, v0
	v_addc_co_u32_e32 v1, vcc, v11, v1, vcc
	s_waitcnt lgkmcnt(0)
	global_store_dwordx4 v[0:1], v[6:9], off
.LBB885_785:
	s_endpgm
	.section	.rodata,"a",@progbits
	.p2align	6, 0x0
	.amdhsa_kernel _Z39paged_attention_ll4mi_QKV_mfma16_kernelI14__hip_bfloat16hLN4vllm18Fp8KVCacheDataTypeE1ES0_Li32ELi64ELi256ELb0ELi8EL8MFMAType0EEvPKT_PKT0_S9_ifPKiSB_SB_iPKfiiiPfSE_PS4_PT2_iSD_SD_
		.amdhsa_group_segment_fixed_size 8192
		.amdhsa_private_segment_fixed_size 0
		.amdhsa_kernarg_size 400
		.amdhsa_user_sgpr_count 6
		.amdhsa_user_sgpr_private_segment_buffer 1
		.amdhsa_user_sgpr_dispatch_ptr 0
		.amdhsa_user_sgpr_queue_ptr 0
		.amdhsa_user_sgpr_kernarg_segment_ptr 1
		.amdhsa_user_sgpr_dispatch_id 0
		.amdhsa_user_sgpr_flat_scratch_init 0
		.amdhsa_user_sgpr_kernarg_preload_length 0
		.amdhsa_user_sgpr_kernarg_preload_offset 0
		.amdhsa_user_sgpr_private_segment_size 0
		.amdhsa_uses_dynamic_stack 0
		.amdhsa_system_sgpr_private_segment_wavefront_offset 0
		.amdhsa_system_sgpr_workgroup_id_x 1
		.amdhsa_system_sgpr_workgroup_id_y 1
		.amdhsa_system_sgpr_workgroup_id_z 1
		.amdhsa_system_sgpr_workgroup_info 0
		.amdhsa_system_vgpr_workitem_id 0
		.amdhsa_next_free_vgpr 62
		.amdhsa_next_free_sgpr 47
		.amdhsa_accum_offset 64
		.amdhsa_reserve_vcc 1
		.amdhsa_reserve_flat_scratch 0
		.amdhsa_float_round_mode_32 0
		.amdhsa_float_round_mode_16_64 0
		.amdhsa_float_denorm_mode_32 3
		.amdhsa_float_denorm_mode_16_64 3
		.amdhsa_dx10_clamp 1
		.amdhsa_ieee_mode 1
		.amdhsa_fp16_overflow 0
		.amdhsa_tg_split 0
		.amdhsa_exception_fp_ieee_invalid_op 0
		.amdhsa_exception_fp_denorm_src 0
		.amdhsa_exception_fp_ieee_div_zero 0
		.amdhsa_exception_fp_ieee_overflow 0
		.amdhsa_exception_fp_ieee_underflow 0
		.amdhsa_exception_fp_ieee_inexact 0
		.amdhsa_exception_int_div_zero 0
	.end_amdhsa_kernel
	.section	.text._Z39paged_attention_ll4mi_QKV_mfma16_kernelI14__hip_bfloat16hLN4vllm18Fp8KVCacheDataTypeE1ES0_Li32ELi64ELi256ELb0ELi8EL8MFMAType0EEvPKT_PKT0_S9_ifPKiSB_SB_iPKfiiiPfSE_PS4_PT2_iSD_SD_,"axG",@progbits,_Z39paged_attention_ll4mi_QKV_mfma16_kernelI14__hip_bfloat16hLN4vllm18Fp8KVCacheDataTypeE1ES0_Li32ELi64ELi256ELb0ELi8EL8MFMAType0EEvPKT_PKT0_S9_ifPKiSB_SB_iPKfiiiPfSE_PS4_PT2_iSD_SD_,comdat
.Lfunc_end885:
	.size	_Z39paged_attention_ll4mi_QKV_mfma16_kernelI14__hip_bfloat16hLN4vllm18Fp8KVCacheDataTypeE1ES0_Li32ELi64ELi256ELb0ELi8EL8MFMAType0EEvPKT_PKT0_S9_ifPKiSB_SB_iPKfiiiPfSE_PS4_PT2_iSD_SD_, .Lfunc_end885-_Z39paged_attention_ll4mi_QKV_mfma16_kernelI14__hip_bfloat16hLN4vllm18Fp8KVCacheDataTypeE1ES0_Li32ELi64ELi256ELb0ELi8EL8MFMAType0EEvPKT_PKT0_S9_ifPKiSB_SB_iPKfiiiPfSE_PS4_PT2_iSD_SD_
                                        ; -- End function
	.section	.AMDGPU.csdata,"",@progbits
; Kernel info:
; codeLenInByte = 28344
; NumSgprs: 51
; NumVgprs: 62
; NumAgprs: 0
; TotalNumVgprs: 62
; ScratchSize: 0
; MemoryBound: 0
; FloatMode: 240
; IeeeMode: 1
; LDSByteSize: 8192 bytes/workgroup (compile time only)
; SGPRBlocks: 6
; VGPRBlocks: 7
; NumSGPRsForWavesPerEU: 51
; NumVGPRsForWavesPerEU: 62
; AccumOffset: 64
; Occupancy: 8
; WaveLimiterHint : 1
; COMPUTE_PGM_RSRC2:SCRATCH_EN: 0
; COMPUTE_PGM_RSRC2:USER_SGPR: 6
; COMPUTE_PGM_RSRC2:TRAP_HANDLER: 0
; COMPUTE_PGM_RSRC2:TGID_X_EN: 1
; COMPUTE_PGM_RSRC2:TGID_Y_EN: 1
; COMPUTE_PGM_RSRC2:TGID_Z_EN: 1
; COMPUTE_PGM_RSRC2:TIDIG_COMP_CNT: 0
; COMPUTE_PGM_RSRC3_GFX90A:ACCUM_OFFSET: 15
; COMPUTE_PGM_RSRC3_GFX90A:TG_SPLIT: 0
	.section	.text._Z39paged_attention_ll4mi_QKV_mfma16_kernelI14__hip_bfloat16hLN4vllm18Fp8KVCacheDataTypeE1ES0_Li32ELi64ELi256ELb0ELi9EL8MFMAType0EEvPKT_PKT0_S9_ifPKiSB_SB_iPKfiiiPfSE_PS4_PT2_iSD_SD_,"axG",@progbits,_Z39paged_attention_ll4mi_QKV_mfma16_kernelI14__hip_bfloat16hLN4vllm18Fp8KVCacheDataTypeE1ES0_Li32ELi64ELi256ELb0ELi9EL8MFMAType0EEvPKT_PKT0_S9_ifPKiSB_SB_iPKfiiiPfSE_PS4_PT2_iSD_SD_,comdat
	.protected	_Z39paged_attention_ll4mi_QKV_mfma16_kernelI14__hip_bfloat16hLN4vllm18Fp8KVCacheDataTypeE1ES0_Li32ELi64ELi256ELb0ELi9EL8MFMAType0EEvPKT_PKT0_S9_ifPKiSB_SB_iPKfiiiPfSE_PS4_PT2_iSD_SD_ ; -- Begin function _Z39paged_attention_ll4mi_QKV_mfma16_kernelI14__hip_bfloat16hLN4vllm18Fp8KVCacheDataTypeE1ES0_Li32ELi64ELi256ELb0ELi9EL8MFMAType0EEvPKT_PKT0_S9_ifPKiSB_SB_iPKfiiiPfSE_PS4_PT2_iSD_SD_
	.globl	_Z39paged_attention_ll4mi_QKV_mfma16_kernelI14__hip_bfloat16hLN4vllm18Fp8KVCacheDataTypeE1ES0_Li32ELi64ELi256ELb0ELi9EL8MFMAType0EEvPKT_PKT0_S9_ifPKiSB_SB_iPKfiiiPfSE_PS4_PT2_iSD_SD_
	.p2align	8
	.type	_Z39paged_attention_ll4mi_QKV_mfma16_kernelI14__hip_bfloat16hLN4vllm18Fp8KVCacheDataTypeE1ES0_Li32ELi64ELi256ELb0ELi9EL8MFMAType0EEvPKT_PKT0_S9_ifPKiSB_SB_iPKfiiiPfSE_PS4_PT2_iSD_SD_,@function
_Z39paged_attention_ll4mi_QKV_mfma16_kernelI14__hip_bfloat16hLN4vllm18Fp8KVCacheDataTypeE1ES0_Li32ELi64ELi256ELb0ELi9EL8MFMAType0EEvPKT_PKT0_S9_ifPKiSB_SB_iPKfiiiPfSE_PS4_PT2_iSD_SD_: ; @_Z39paged_attention_ll4mi_QKV_mfma16_kernelI14__hip_bfloat16hLN4vllm18Fp8KVCacheDataTypeE1ES0_Li32ELi64ELi256ELb0ELi9EL8MFMAType0EEvPKT_PKT0_S9_ifPKiSB_SB_iPKfiiiPfSE_PS4_PT2_iSD_SD_
; %bb.0:
	s_load_dwordx2 s[0:1], s[4:5], 0x30
	s_mov_b32 s24, s7
	s_mov_b64 s[10:11], 0
	s_waitcnt lgkmcnt(0)
	s_cmp_lg_u64 s[0:1], 0
	s_cselect_b64 s[2:3], -1, 0
	s_and_b64 vcc, exec, s[2:3]
	s_cbranch_vccz .LBB886_7
; %bb.1:
	s_add_i32 s12, s6, 1
	s_mov_b32 s13, 0
	s_lshl_b64 s[14:15], s[12:13], 2
	s_add_u32 s14, s0, s14
	s_mov_b32 s7, s13
	s_addc_u32 s15, s1, s15
	s_lshl_b64 s[12:13], s[6:7], 2
	s_add_u32 s12, s0, s12
	s_addc_u32 s13, s1, s13
	s_load_dword s9, s[14:15], 0x0
	s_load_dword s16, s[12:13], 0x0
	s_waitcnt lgkmcnt(0)
	s_sub_i32 s9, s9, s16
	s_cmp_eq_u32 s9, 1
	s_cselect_b64 s[12:13], -1, 0
	s_andn2_b64 vcc, exec, s[10:11]
	s_cbranch_vccnz .LBB886_3
.LBB886_2:
	s_mov_b32 s7, 0
	s_mov_b64 s[12:13], -1
.LBB886_3:
	s_andn2_b64 vcc, exec, s[12:13]
	s_cbranch_vccnz .LBB886_786
; %bb.4:
	s_load_dwordx2 s[12:13], s[4:5], 0x28
	s_lshl_b64 s[10:11], s[6:7], 2
	s_waitcnt lgkmcnt(0)
	s_add_u32 s12, s12, s10
	s_addc_u32 s13, s13, s11
	s_load_dword s33, s[12:13], 0x0
	s_lshl_b32 s20, s24, 8
	s_waitcnt lgkmcnt(0)
	s_cmp_ge_i32 s20, s33
	s_cbranch_scc1 .LBB886_786
; %bb.5:
	s_add_i32 s14, s33, 31
	s_load_dwordx2 s[12:13], s[4:5], 0x20
	s_load_dword s9, s[4:5], 0x38
	s_ashr_i32 s15, s14, 31
	v_and_b32_e32 v1, 0xcf, v0
	s_lshr_b32 s15, s15, 27
	v_add_u32_e32 v1, s20, v1
	s_add_i32 s14, s14, s15
	v_ashrrev_i32_e32 v2, 31, v1
	s_ashr_i32 s22, s14, 5
	v_lshrrev_b32_e32 v4, 27, v2
	s_add_i32 s22, s22, -1
	v_add_u32_e32 v2, v1, v4
	s_waitcnt lgkmcnt(0)
	s_mul_i32 s14, s6, s9
	s_mov_b32 s15, 0
	v_ashrrev_i32_e32 v2, 5, v2
	v_mov_b32_e32 v5, s22
	v_cmp_gt_i32_e32 vcc, s33, v1
	s_lshl_b64 s[14:15], s[14:15], 2
	v_cndmask_b32_e32 v2, v5, v2, vcc
	s_add_u32 s9, s12, s14
	v_ashrrev_i32_e32 v3, 31, v2
	s_addc_u32 s21, s13, s15
	v_lshlrev_b64 v[2:3], 2, v[2:3]
	v_mov_b32_e32 v7, s21
	v_add_co_u32_e32 v6, vcc, s9, v2
	v_or_b32_e32 v2, 16, v1
	v_addc_co_u32_e32 v7, vcc, v7, v3, vcc
	v_add_u32_e32 v3, v2, v4
	v_ashrrev_i32_e32 v3, 5, v3
	v_cmp_gt_i32_e32 vcc, s33, v2
	v_cndmask_b32_e32 v2, v5, v3, vcc
	v_ashrrev_i32_e32 v3, 31, v2
	v_lshlrev_b64 v[2:3], 2, v[2:3]
	v_mov_b32_e32 v9, s21
	v_add_co_u32_e32 v8, vcc, s9, v2
	v_or_b32_e32 v2, 32, v1
	v_addc_co_u32_e32 v9, vcc, v9, v3, vcc
	v_add_u32_e32 v3, v2, v4
	v_ashrrev_i32_e32 v3, 5, v3
	v_cmp_gt_i32_e32 vcc, s33, v2
	v_cndmask_b32_e32 v2, v5, v3, vcc
	v_ashrrev_i32_e32 v3, 31, v2
	;; [unrolled: 10-line block ×3, first 2 shown]
	v_lshlrev_b64 v[2:3], 2, v[2:3]
	v_mov_b32_e32 v1, s21
	v_add_co_u32_e32 v12, vcc, s9, v2
	v_addc_co_u32_e32 v13, vcc, v1, v3, vcc
	global_load_dword v5, v[6:7], off
	global_load_dword v4, v[8:9], off
	;; [unrolled: 1-line block ×4, first 2 shown]
	s_load_dwordx4 s[12:15], s[4:5], 0x8
	s_andn2_b64 vcc, exec, s[2:3]
	s_cbranch_vccnz .LBB886_8
; %bb.6:
	s_add_u32 s0, s0, s10
	s_addc_u32 s1, s1, s11
	s_load_dword s10, s[0:1], 0x0
	s_branch .LBB886_9
.LBB886_7:
	s_mov_b64 s[12:13], 0
	s_branch .LBB886_2
.LBB886_8:
	s_mov_b32 s10, s6
.LBB886_9:
	s_load_dwordx4 s[16:19], s[4:5], 0x48
	v_lshrrev_b32_e32 v50, 6, v0
	v_bfe_u32 v1, v0, 4, 2
	v_lshl_or_b32 v6, v50, 2, v1
	v_and_b32_e32 v49, 15, v0
	v_lshlrev_b32_e32 v7, 3, v49
	v_cmp_gt_u32_e32 vcc, 9, v6
	v_cmp_gt_u32_e64 s[0:1], 8, v49
	s_mul_i32 s25, s8, 9
	s_and_b64 s[26:27], s[0:1], vcc
	v_lshlrev_b32_e32 v46, 1, v7
	v_lshlrev_b32_e32 v47, 4, v0
	s_and_saveexec_b64 s[2:3], s[26:27]
	s_cbranch_execz .LBB886_11
; %bb.10:
	s_load_dwordx2 s[26:27], s[4:5], 0x0
	s_waitcnt lgkmcnt(0)
	s_ashr_i32 s11, s16, 31
	s_mul_hi_u32 s19, s10, s16
	s_mul_i32 s11, s10, s11
	s_add_i32 s11, s19, s11
	s_mul_i32 s10, s10, s16
	s_lshl_b64 s[10:11], s[10:11], 1
	v_add_lshl_u32 v8, v6, s25, 6
	s_add_u32 s10, s26, s10
	v_ashrrev_i32_e32 v9, 31, v8
	s_addc_u32 s11, s27, s11
	v_lshlrev_b64 v[8:9], 1, v[8:9]
	v_mov_b32_e32 v7, s11
	v_add_co_u32_e32 v8, vcc, s10, v8
	v_addc_co_u32_e32 v7, vcc, v7, v9, vcc
	v_add_co_u32_e32 v8, vcc, v8, v46
	v_addc_co_u32_e32 v9, vcc, 0, v7, vcc
	global_load_dwordx4 v[8:11], v[8:9], off
	v_lshlrev_b32_e32 v12, 8, v49
	v_lshlrev_b32_e32 v6, 5, v6
	v_and_b32_e32 v7, 16, v47
	v_and_b32_e32 v12, 0xe00, v12
	v_or3_b32 v6, v12, v6, v7
	s_waitcnt vmcnt(0)
	ds_write_b128 v6, v[8:11]
.LBB886_11:
	s_or_b64 exec, exec, s[2:3]
	s_waitcnt lgkmcnt(0)
	s_mul_i32 s8, s8, s18
	s_add_u32 s2, s12, s8
	s_addc_u32 s3, s13, 0
	v_and_b32_e32 v12, 48, v0
	s_ashr_i32 s10, s20, 31
	v_or_b32_e32 v13, s20, v12
	s_lshr_b32 s10, s10, 27
	v_add_u32_e32 v6, s10, v13
	v_ashrrev_i32_e32 v6, 5, v6
	v_mov_b32_e32 v14, s22
	v_cmp_gt_i32_e32 vcc, s33, v13
	v_cndmask_b32_e32 v6, v14, v6, vcc
	v_ashrrev_i32_e32 v7, 31, v6
	v_lshlrev_b64 v[6:7], 2, v[6:7]
	v_mov_b32_e32 v8, s21
	v_add_co_u32_e32 v6, vcc, s9, v6
	v_addc_co_u32_e32 v7, vcc, v8, v7, vcc
	v_or_b32_e32 v8, 64, v13
	v_add_u32_e32 v9, s10, v8
	v_ashrrev_i32_e32 v9, 5, v9
	v_cmp_gt_i32_e32 vcc, s33, v8
	v_cndmask_b32_e32 v8, v14, v9, vcc
	v_ashrrev_i32_e32 v9, 31, v8
	v_lshlrev_b64 v[8:9], 2, v[8:9]
	v_mov_b32_e32 v10, s21
	v_add_co_u32_e32 v8, vcc, s9, v8
	v_addc_co_u32_e32 v9, vcc, v10, v9, vcc
	v_or_b32_e32 v10, 0x80, v13
	v_add_u32_e32 v11, s10, v10
	v_ashrrev_i32_e32 v11, 5, v11
	v_cmp_gt_i32_e32 vcc, s33, v10
	v_cndmask_b32_e32 v10, v14, v11, vcc
	v_ashrrev_i32_e32 v11, 31, v10
	v_lshlrev_b64 v[10:11], 2, v[10:11]
	v_mov_b32_e32 v15, s21
	v_add_co_u32_e32 v10, vcc, s9, v10
	s_load_dwordx2 s[44:45], s[4:5], 0x94
	s_load_dwordx4 s[40:43], s[4:5], 0x80
	s_waitcnt lgkmcnt(0)
	s_barrier
	v_addc_co_u32_e32 v11, vcc, v15, v11, vcc
	global_load_dword v15, v[6:7], off
	global_load_dword v16, v[8:9], off
	global_load_dword v18, v[10:11], off
	v_or_b32_e32 v6, 0xc0, v13
	v_add_u32_e32 v7, s10, v6
	v_ashrrev_i32_e32 v7, 5, v7
	v_cmp_gt_i32_e32 vcc, s33, v6
	v_cndmask_b32_e32 v6, v14, v7, vcc
	v_ashrrev_i32_e32 v7, 31, v6
	v_lshlrev_b64 v[6:7], 2, v[6:7]
	v_mov_b32_e32 v8, s21
	v_add_co_u32_e32 v6, vcc, s9, v6
	v_addc_co_u32_e32 v7, vcc, v8, v7, vcc
	global_load_dword v20, v[6:7], off
	v_pk_mov_b32 v[6:7], s[2:3], s[2:3] op_sel:[0,1]
	s_waitcnt vmcnt(7)
	v_mad_i64_i32 v[8:9], s[2:3], v5, s17, v[6:7]
	v_lshlrev_b32_e32 v11, 4, v49
	v_add_co_u32_e32 v5, vcc, v8, v11
	v_lshlrev_b32_e32 v10, 5, v12
	v_addc_co_u32_e32 v9, vcc, 0, v9, vcc
	v_add_co_u32_e32 v8, vcc, v5, v10
	v_addc_co_u32_e32 v9, vcc, 0, v9, vcc
	s_waitcnt vmcnt(6)
	v_mad_i64_i32 v[4:5], s[2:3], v4, s17, v[6:7]
	v_or_b32_e32 v12, 0x100, v11
	v_add_co_u32_e32 v4, vcc, v4, v12
	v_addc_co_u32_e32 v5, vcc, 0, v5, vcc
	v_add_co_u32_e32 v4, vcc, v4, v10
	v_addc_co_u32_e32 v5, vcc, 0, v5, vcc
	global_load_dwordx4 v[30:33], v[8:9], off
	global_load_dwordx4 v[38:41], v[4:5], off
	s_waitcnt vmcnt(7)
	v_mad_i64_i32 v[4:5], s[2:3], v3, s17, v[6:7]
	v_add_co_u32_e32 v3, vcc, v4, v11
	v_addc_co_u32_e32 v5, vcc, 0, v5, vcc
	v_add_co_u32_e32 v4, vcc, v3, v10
	v_addc_co_u32_e32 v5, vcc, 0, v5, vcc
	s_waitcnt vmcnt(6)
	v_mad_i64_i32 v[2:3], s[2:3], v2, s17, v[6:7]
	v_add_co_u32_e32 v2, vcc, v2, v12
	v_addc_co_u32_e32 v3, vcc, 0, v3, vcc
	v_add_co_u32_e32 v2, vcc, v2, v10
	s_add_u32 s2, s14, s8
	v_addc_co_u32_e32 v3, vcc, 0, v3, vcc
	global_load_dwordx4 v[34:37], v[4:5], off
	global_load_dwordx4 v[22:25], v[2:3], off
	s_addc_u32 s3, s15, 0
	v_and_b32_e32 v2, 16, v0
	v_mov_b32_e32 v3, s3
	v_add_co_u32_e32 v2, vcc, s2, v2
	v_lshlrev_b32_e32 v48, 5, v49
	v_addc_co_u32_e32 v3, vcc, 0, v3, vcc
	v_lshl_or_b32 v4, v50, 9, v48
	v_add_co_u32_e32 v2, vcc, v2, v4
	v_addc_co_u32_e32 v3, vcc, 0, v3, vcc
	v_cmp_gt_u32_e32 vcc, 9, v49
	v_mov_b32_e32 v44, 0
	v_mov_b32_e32 v43, 0
	s_movk_i32 s8, 0x80
	s_waitcnt vmcnt(7)
	v_mad_i64_i32 v[4:5], s[2:3], v15, s17, v[2:3]
	s_waitcnt vmcnt(6)
	v_mad_i64_i32 v[6:7], s[2:3], v16, s17, v[2:3]
	;; [unrolled: 2-line block ×3, first 2 shown]
	global_load_dwordx4 v[14:17], v[4:5], off
	global_load_dwordx4 v[10:13], v[6:7], off
	s_waitcnt vmcnt(6)
	v_mad_i64_i32 v[20:21], s[2:3], v20, s17, v[2:3]
	global_load_dwordx4 v[6:9], v[18:19], off
	global_load_dwordx4 v[2:5], v[20:21], off
	v_add_u32_e32 v18, -9, v49
	v_cndmask_b32_e32 v18, v18, v49, vcc
	v_lshlrev_b32_e32 v18, 5, v18
	v_lshl_add_u32 v18, v1, 9, v18
	ds_read_b128 v[26:29], v18
	ds_read_b128 v[18:21], v18 offset:16
	s_load_dword s12, s[40:41], 0x0
	s_waitcnt vmcnt(7)
	v_cmp_ne_u16_sdwa s[10:11], v30, v44 src0_sel:BYTE_0 src1_sel:DWORD
	s_and_saveexec_b64 s[2:3], s[10:11]
	s_cbranch_execz .LBB886_17
; %bb.12:
	v_cmp_ne_u16_sdwa s[10:11], v30, s8 src0_sel:BYTE_0 src1_sel:DWORD
	v_mov_b32_e32 v43, 0xffff8000
	s_and_saveexec_b64 s[8:9], s[10:11]
	s_cbranch_execz .LBB886_16
; %bb.13:
	s_movk_i32 s10, 0x7f
	v_and_b32_e32 v42, 0x7f, v30
	v_cmp_ne_u32_e32 vcc, s10, v42
	v_mov_b32_e32 v43, 0x7f80
	s_and_saveexec_b64 s[10:11], vcc
	s_cbranch_execz .LBB886_15
; %bb.14:
	v_and_b32_e32 v43, 7, v30
	v_ffbh_u32_e32 v51, v43
	v_min_u32_e32 v51, 32, v51
	v_subrev_u32_e32 v52, 28, v51
	v_lshlrev_b64 v[52:53], v52, v[30:31]
	v_lshrrev_b32_e32 v45, 3, v42
	v_sub_u32_e32 v51, 29, v51
	v_and_b32_e32 v52, 7, v52
	v_cmp_gt_u32_e32 vcc, 8, v42
	v_cndmask_b32_e32 v42, v45, v51, vcc
	v_cndmask_b32_e32 v43, v43, v52, vcc
	v_lshlrev_b32_e32 v45, 24, v30
	v_bfrev_b32_e32 v51, 60
	v_lshlrev_b32_e32 v43, 20, v43
	v_and_b32_e32 v45, 0x80000000, v45
	v_lshl_add_u32 v42, v42, 23, v51
	v_or3_b32 v42, v45, v42, v43
	v_lshrrev_b32_e32 v43, 16, v42
.LBB886_15:
	s_or_b64 exec, exec, s[10:11]
.LBB886_16:
	s_or_b64 exec, exec, s[8:9]
.LBB886_17:
	s_or_b64 exec, exec, s[2:3]
	v_lshrrev_b16_e32 v42, 8, v30
	v_cmp_ne_u16_e32 vcc, 0, v42
	s_and_saveexec_b64 s[2:3], vcc
	s_cbranch_execz .LBB886_23
; %bb.18:
	s_movk_i32 s8, 0x80
	v_cmp_ne_u16_e32 vcc, s8, v42
	v_mov_b32_e32 v44, 0xffff8000
	s_and_saveexec_b64 s[8:9], vcc
	s_cbranch_execz .LBB886_22
; %bb.19:
	s_movk_i32 s10, 0x7f
	v_and_b32_e32 v45, 0x7f, v42
	v_cmp_ne_u32_e32 vcc, s10, v45
	v_mov_b32_e32 v44, 0x7f80
	s_and_saveexec_b64 s[10:11], vcc
	s_cbranch_execz .LBB886_21
; %bb.20:
	v_and_b32_e32 v44, 7, v42
	v_ffbh_u32_e32 v52, v44
	v_min_u32_e32 v54, 32, v52
	v_subrev_u32_e32 v52, 28, v54
	v_lshlrev_b64 v[52:53], v52, v[42:43]
	v_lshrrev_b32_e32 v51, 3, v45
	v_sub_u32_e32 v42, 29, v54
	v_and_b32_e32 v52, 7, v52
	v_cmp_gt_u32_e32 vcc, 8, v45
	v_cndmask_b32_e32 v42, v51, v42, vcc
	v_cndmask_b32_e32 v44, v44, v52, vcc
	v_lshlrev_b32_e32 v45, 16, v30
	v_bfrev_b32_e32 v51, 60
	v_lshlrev_b32_e32 v44, 20, v44
	v_and_b32_e32 v45, 0x80000000, v45
	v_lshl_add_u32 v42, v42, 23, v51
	v_or3_b32 v42, v45, v42, v44
	v_lshrrev_b32_e32 v44, 16, v42
.LBB886_21:
	s_or_b64 exec, exec, s[10:11]
.LBB886_22:
	s_or_b64 exec, exec, s[8:9]
.LBB886_23:
	s_or_b64 exec, exec, s[2:3]
	s_movk_i32 s2, 0xff
	v_and_b32_sdwa v52, v30, s2 dst_sel:DWORD dst_unused:UNUSED_PAD src0_sel:WORD_1 src1_sel:DWORD
	v_lshrrev_b32_e32 v42, 16, v30
	v_cmp_ne_u16_e32 vcc, 0, v52
	v_mov_b32_e32 v45, 0
	v_mov_b32_e32 v51, 0
	s_and_saveexec_b64 s[2:3], vcc
	s_cbranch_execz .LBB886_29
; %bb.24:
	s_movk_i32 s8, 0x80
	v_cmp_ne_u16_e32 vcc, s8, v52
	v_mov_b32_e32 v51, 0xffff8000
	s_and_saveexec_b64 s[8:9], vcc
	s_cbranch_execz .LBB886_28
; %bb.25:
	v_bfe_u32 v52, v30, 16, 7
	s_movk_i32 s10, 0x7f
	v_cmp_ne_u32_e32 vcc, s10, v52
	v_mov_b32_e32 v51, 0x7f80
	s_and_saveexec_b64 s[10:11], vcc
	s_cbranch_execz .LBB886_27
; %bb.26:
	v_and_b32_e32 v51, 7, v42
	v_ffbh_u32_e32 v54, v51
	v_min_u32_e32 v56, 32, v54
	v_subrev_u32_e32 v54, 28, v56
	v_lshlrev_b64 v[54:55], v54, v[42:43]
	v_lshrrev_b32_e32 v53, 3, v52
	v_sub_u32_e32 v42, 29, v56
	v_and_b32_e32 v54, 7, v54
	v_cmp_gt_u32_e32 vcc, 8, v52
	v_mov_b32_e32 v52, 24
	v_cndmask_b32_e32 v42, v53, v42, vcc
	v_cndmask_b32_e32 v51, v51, v54, vcc
	v_lshlrev_b32_sdwa v52, v52, v30 dst_sel:DWORD dst_unused:UNUSED_PAD src0_sel:DWORD src1_sel:WORD_1
	v_bfrev_b32_e32 v53, 60
	v_lshlrev_b32_e32 v51, 20, v51
	v_and_b32_e32 v52, 0x80000000, v52
	v_lshl_add_u32 v42, v42, 23, v53
	v_or3_b32 v42, v52, v42, v51
	v_lshrrev_b32_e32 v51, 16, v42
.LBB886_27:
	s_or_b64 exec, exec, s[10:11]
.LBB886_28:
	s_or_b64 exec, exec, s[8:9]
.LBB886_29:
	s_or_b64 exec, exec, s[2:3]
	s_mov_b32 s2, 0xffffff
	v_cmp_lt_u32_e32 vcc, s2, v30
	s_and_saveexec_b64 s[2:3], vcc
	s_cbranch_execz .LBB886_35
; %bb.30:
	v_lshrrev_b32_e32 v42, 24, v30
	s_movk_i32 s8, 0x80
	v_cmp_ne_u32_e32 vcc, s8, v42
	v_mov_b32_e32 v45, 0xffff8000
	s_and_saveexec_b64 s[8:9], vcc
	s_cbranch_execz .LBB886_34
; %bb.31:
	v_bfe_u32 v30, v30, 24, 7
	s_movk_i32 s10, 0x7f
	v_cmp_ne_u32_e32 vcc, s10, v30
	v_mov_b32_e32 v45, 0x7f80
	s_and_saveexec_b64 s[10:11], vcc
	s_cbranch_execz .LBB886_33
; %bb.32:
	v_and_b32_e32 v45, 7, v42
	v_ffbh_u32_e32 v52, v45
	v_min_u32_e32 v55, 32, v52
	v_subrev_u32_e32 v52, 28, v55
	v_lshlrev_b64 v[52:53], v52, v[42:43]
	v_lshrrev_b32_e32 v54, 3, v30
	v_sub_u32_e32 v53, 29, v55
	v_and_b32_e32 v52, 7, v52
	v_cmp_gt_u32_e32 vcc, 8, v30
	v_cndmask_b32_e32 v30, v54, v53, vcc
	v_cndmask_b32_e32 v45, v45, v52, vcc
	v_lshlrev_b32_e32 v42, 24, v42
	v_bfrev_b32_e32 v52, 60
	v_lshlrev_b32_e32 v45, 20, v45
	v_and_b32_e32 v42, 0x80000000, v42
	v_lshl_add_u32 v30, v30, 23, v52
	v_or3_b32 v30, v42, v30, v45
	v_lshrrev_b32_e32 v45, 16, v30
.LBB886_33:
	s_or_b64 exec, exec, s[10:11]
.LBB886_34:
	s_or_b64 exec, exec, s[8:9]
.LBB886_35:
	s_or_b64 exec, exec, s[2:3]
	v_mov_b32_e32 v42, 0
	v_cmp_ne_u16_sdwa s[8:9], v31, v42 src0_sel:BYTE_0 src1_sel:DWORD
	v_mov_b32_e32 v52, 0
	s_and_saveexec_b64 s[2:3], s[8:9]
	s_cbranch_execz .LBB886_41
; %bb.36:
	s_movk_i32 s8, 0x80
	v_cmp_ne_u16_sdwa s[10:11], v31, s8 src0_sel:BYTE_0 src1_sel:DWORD
	v_mov_b32_e32 v52, 0xffff8000
	s_and_saveexec_b64 s[8:9], s[10:11]
	s_cbranch_execz .LBB886_40
; %bb.37:
	s_movk_i32 s10, 0x7f
	v_and_b32_e32 v30, 0x7f, v31
	v_cmp_ne_u32_e32 vcc, s10, v30
	v_mov_b32_e32 v52, 0x7f80
	s_and_saveexec_b64 s[10:11], vcc
	s_cbranch_execz .LBB886_39
; %bb.38:
	v_and_b32_e32 v54, 7, v31
	v_ffbh_u32_e32 v53, v54
	v_min_u32_e32 v56, 32, v53
	v_mov_b32_e32 v52, v31
	v_subrev_u32_e32 v53, 28, v56
	v_lshlrev_b64 v[52:53], v53, v[52:53]
	v_lshrrev_b32_e32 v55, 3, v30
	v_sub_u32_e32 v53, 29, v56
	v_and_b32_e32 v52, 7, v52
	v_cmp_gt_u32_e32 vcc, 8, v30
	v_cndmask_b32_e32 v30, v55, v53, vcc
	v_cndmask_b32_e32 v52, v54, v52, vcc
	v_lshlrev_b32_e32 v53, 24, v31
	v_bfrev_b32_e32 v54, 60
	v_lshlrev_b32_e32 v52, 20, v52
	v_and_b32_e32 v53, 0x80000000, v53
	v_lshl_add_u32 v30, v30, 23, v54
	v_or3_b32 v30, v53, v30, v52
	v_lshrrev_b32_e32 v52, 16, v30
.LBB886_39:
	s_or_b64 exec, exec, s[10:11]
.LBB886_40:
	s_or_b64 exec, exec, s[8:9]
.LBB886_41:
	s_or_b64 exec, exec, s[2:3]
	v_lshrrev_b16_e32 v30, 8, v31
	v_cmp_ne_u16_e32 vcc, 0, v30
	s_and_saveexec_b64 s[2:3], vcc
	s_cbranch_execz .LBB886_47
; %bb.42:
	s_movk_i32 s8, 0x80
	v_cmp_ne_u16_e32 vcc, s8, v30
	v_mov_b32_e32 v42, 0xffff8000
	s_and_saveexec_b64 s[8:9], vcc
	s_cbranch_execz .LBB886_46
; %bb.43:
	s_movk_i32 s10, 0x7f
	v_and_b32_e32 v53, 0x7f, v30
	v_cmp_ne_u32_e32 vcc, s10, v53
	v_mov_b32_e32 v42, 0x7f80
	s_and_saveexec_b64 s[10:11], vcc
	s_cbranch_execz .LBB886_45
; %bb.44:
	v_and_b32_e32 v42, 7, v30
	v_ffbh_u32_e32 v54, v42
	v_min_u32_e32 v57, 32, v54
	v_subrev_u32_e32 v54, 28, v57
	v_lshlrev_b64 v[54:55], v54, v[30:31]
	v_lshrrev_b32_e32 v56, 3, v53
	v_sub_u32_e32 v30, 29, v57
	v_and_b32_e32 v54, 7, v54
	v_cmp_gt_u32_e32 vcc, 8, v53
	v_cndmask_b32_e32 v30, v56, v30, vcc
	v_cndmask_b32_e32 v42, v42, v54, vcc
	v_lshlrev_b32_e32 v53, 16, v31
	v_bfrev_b32_e32 v54, 60
	v_lshlrev_b32_e32 v42, 20, v42
	v_and_b32_e32 v53, 0x80000000, v53
	v_lshl_add_u32 v30, v30, 23, v54
	v_or3_b32 v30, v53, v30, v42
	v_lshrrev_b32_e32 v42, 16, v30
.LBB886_45:
	s_or_b64 exec, exec, s[10:11]
.LBB886_46:
	s_or_b64 exec, exec, s[8:9]
.LBB886_47:
	s_or_b64 exec, exec, s[2:3]
	s_movk_i32 s2, 0xff
	v_and_b32_sdwa v55, v31, s2 dst_sel:DWORD dst_unused:UNUSED_PAD src0_sel:WORD_1 src1_sel:DWORD
	v_lshrrev_b32_e32 v30, 16, v31
	v_cmp_ne_u16_e32 vcc, 0, v55
	v_mov_b32_e32 v53, 0
	v_mov_b32_e32 v54, 0
	s_and_saveexec_b64 s[2:3], vcc
	s_cbranch_execz .LBB886_53
; %bb.48:
	s_movk_i32 s8, 0x80
	v_cmp_ne_u16_e32 vcc, s8, v55
	v_mov_b32_e32 v54, 0xffff8000
	s_and_saveexec_b64 s[8:9], vcc
	s_cbranch_execz .LBB886_52
; %bb.49:
	v_bfe_u32 v55, v31, 16, 7
	s_movk_i32 s10, 0x7f
	v_cmp_ne_u32_e32 vcc, s10, v55
	v_mov_b32_e32 v54, 0x7f80
	s_and_saveexec_b64 s[10:11], vcc
	s_cbranch_execz .LBB886_51
; %bb.50:
	v_and_b32_e32 v54, 7, v30
	v_ffbh_u32_e32 v56, v54
	v_min_u32_e32 v59, 32, v56
	v_subrev_u32_e32 v56, 28, v59
	v_lshlrev_b64 v[56:57], v56, v[30:31]
	v_lshrrev_b32_e32 v58, 3, v55
	v_sub_u32_e32 v30, 29, v59
	v_and_b32_e32 v56, 7, v56
	v_cmp_gt_u32_e32 vcc, 8, v55
	v_mov_b32_e32 v55, 24
	v_cndmask_b32_e32 v30, v58, v30, vcc
	v_cndmask_b32_e32 v54, v54, v56, vcc
	v_lshlrev_b32_sdwa v55, v55, v31 dst_sel:DWORD dst_unused:UNUSED_PAD src0_sel:DWORD src1_sel:WORD_1
	v_bfrev_b32_e32 v56, 60
	v_lshlrev_b32_e32 v54, 20, v54
	v_and_b32_e32 v55, 0x80000000, v55
	v_lshl_add_u32 v30, v30, 23, v56
	v_or3_b32 v30, v55, v30, v54
	v_lshrrev_b32_e32 v54, 16, v30
.LBB886_51:
	s_or_b64 exec, exec, s[10:11]
.LBB886_52:
	s_or_b64 exec, exec, s[8:9]
.LBB886_53:
	s_or_b64 exec, exec, s[2:3]
	s_mov_b32 s2, 0xffffff
	v_cmp_lt_u32_e32 vcc, s2, v31
	s_and_saveexec_b64 s[2:3], vcc
	s_cbranch_execz .LBB886_59
; %bb.54:
	v_lshrrev_b32_e32 v30, 24, v31
	s_movk_i32 s8, 0x80
	v_cmp_ne_u32_e32 vcc, s8, v30
	v_mov_b32_e32 v53, 0xffff8000
	s_and_saveexec_b64 s[8:9], vcc
	s_cbranch_execz .LBB886_58
; %bb.55:
	v_bfe_u32 v31, v31, 24, 7
	s_movk_i32 s10, 0x7f
	v_cmp_ne_u32_e32 vcc, s10, v31
	v_mov_b32_e32 v53, 0x7f80
	s_and_saveexec_b64 s[10:11], vcc
	s_cbranch_execz .LBB886_57
; %bb.56:
	v_and_b32_e32 v53, 7, v30
	v_ffbh_u32_e32 v56, v53
	v_min_u32_e32 v58, 32, v56
	v_subrev_u32_e32 v56, 28, v58
	v_lshlrev_b64 v[56:57], v56, v[30:31]
	v_lshrrev_b32_e32 v55, 3, v31
	v_sub_u32_e32 v57, 29, v58
	v_and_b32_e32 v56, 7, v56
	v_cmp_gt_u32_e32 vcc, 8, v31
	v_cndmask_b32_e32 v31, v55, v57, vcc
	v_cndmask_b32_e32 v53, v53, v56, vcc
	v_lshlrev_b32_e32 v30, 24, v30
	v_bfrev_b32_e32 v55, 60
	v_lshlrev_b32_e32 v53, 20, v53
	v_and_b32_e32 v30, 0x80000000, v30
	v_lshl_add_u32 v31, v31, 23, v55
	v_or3_b32 v30, v30, v31, v53
	v_lshrrev_b32_e32 v53, 16, v30
.LBB886_57:
	s_or_b64 exec, exec, s[10:11]
.LBB886_58:
	s_or_b64 exec, exec, s[8:9]
.LBB886_59:
	s_or_b64 exec, exec, s[2:3]
	s_mov_b32 s2, 0x5040100
	v_perm_b32 v31, v45, v51, s2
	v_perm_b32 v30, v44, v43, s2
	;; [unrolled: 1-line block ×4, first 2 shown]
	v_mov_b32_e32 v51, 0
	s_waitcnt lgkmcnt(0)
	v_mfma_f32_16x16x16bf16_1k v[56:59], v[30:31], v[26:27], 0
	v_mov_b32_e32 v31, 0
	v_cmp_ne_u16_sdwa s[8:9], v32, v31 src0_sel:BYTE_0 src1_sel:DWORD
	v_mfma_f32_16x16x16bf16_1k v[42:45], v[42:43], v[28:29], v[56:59]
	s_and_saveexec_b64 s[2:3], s[8:9]
	s_cbranch_execz .LBB886_65
; %bb.60:
	s_movk_i32 s8, 0x80
	v_cmp_ne_u16_sdwa s[10:11], v32, s8 src0_sel:BYTE_0 src1_sel:DWORD
	v_mov_b32_e32 v51, 0xffff8000
	s_and_saveexec_b64 s[8:9], s[10:11]
	s_cbranch_execz .LBB886_64
; %bb.61:
	s_movk_i32 s10, 0x7f
	v_and_b32_e32 v30, 0x7f, v32
	v_cmp_ne_u32_e32 vcc, s10, v30
	v_mov_b32_e32 v51, 0x7f80
	s_and_saveexec_b64 s[10:11], vcc
	s_cbranch_execz .LBB886_63
; %bb.62:
	v_and_b32_e32 v51, 7, v32
	v_ffbh_u32_e32 v52, v51
	v_min_u32_e32 v55, 32, v52
	v_subrev_u32_e32 v52, 28, v55
	v_lshlrev_b64 v[52:53], v52, v[32:33]
	v_lshrrev_b32_e32 v54, 3, v30
	v_sub_u32_e32 v53, 29, v55
	v_and_b32_e32 v52, 7, v52
	v_cmp_gt_u32_e32 vcc, 8, v30
	v_cndmask_b32_e32 v30, v54, v53, vcc
	v_cndmask_b32_e32 v51, v51, v52, vcc
	v_lshlrev_b32_e32 v52, 24, v32
	v_bfrev_b32_e32 v53, 60
	v_lshlrev_b32_e32 v51, 20, v51
	v_and_b32_e32 v52, 0x80000000, v52
	v_lshl_add_u32 v30, v30, 23, v53
	v_or3_b32 v30, v52, v30, v51
	v_lshrrev_b32_e32 v51, 16, v30
.LBB886_63:
	s_or_b64 exec, exec, s[10:11]
.LBB886_64:
	s_or_b64 exec, exec, s[8:9]
.LBB886_65:
	s_or_b64 exec, exec, s[2:3]
	v_lshrrev_b16_e32 v30, 8, v32
	v_cmp_ne_u16_e32 vcc, 0, v30
	s_and_saveexec_b64 s[2:3], vcc
	s_cbranch_execz .LBB886_71
; %bb.66:
	s_movk_i32 s8, 0x80
	v_cmp_ne_u16_e32 vcc, s8, v30
	v_mov_b32_e32 v31, 0xffff8000
	s_and_saveexec_b64 s[8:9], vcc
	s_cbranch_execz .LBB886_70
; %bb.67:
	s_movk_i32 s10, 0x7f
	v_and_b32_e32 v52, 0x7f, v30
	v_cmp_ne_u32_e32 vcc, s10, v52
	v_mov_b32_e32 v31, 0x7f80
	s_and_saveexec_b64 s[10:11], vcc
	s_cbranch_execz .LBB886_69
; %bb.68:
	v_and_b32_e32 v53, 7, v30
	v_ffbh_u32_e32 v31, v53
	v_min_u32_e32 v55, 32, v31
	v_subrev_u32_e32 v31, 28, v55
	v_lshlrev_b64 v[30:31], v31, v[30:31]
	v_lshrrev_b32_e32 v54, 3, v52
	v_sub_u32_e32 v31, 29, v55
	v_and_b32_e32 v30, 7, v30
	v_cmp_gt_u32_e32 vcc, 8, v52
	v_cndmask_b32_e32 v31, v54, v31, vcc
	v_cndmask_b32_e32 v30, v53, v30, vcc
	v_lshlrev_b32_e32 v52, 16, v32
	v_bfrev_b32_e32 v53, 60
	v_lshlrev_b32_e32 v30, 20, v30
	v_and_b32_e32 v52, 0x80000000, v52
	v_lshl_add_u32 v31, v31, 23, v53
	v_or3_b32 v30, v52, v31, v30
	v_lshrrev_b32_e32 v31, 16, v30
.LBB886_69:
	s_or_b64 exec, exec, s[10:11]
.LBB886_70:
	s_or_b64 exec, exec, s[8:9]
.LBB886_71:
	s_or_b64 exec, exec, s[2:3]
	s_movk_i32 s2, 0xff
	v_and_b32_sdwa v54, v32, s2 dst_sel:DWORD dst_unused:UNUSED_PAD src0_sel:WORD_1 src1_sel:DWORD
	v_lshrrev_b32_e32 v30, 16, v32
	v_cmp_ne_u16_e32 vcc, 0, v54
	v_mov_b32_e32 v52, 0
	v_mov_b32_e32 v53, 0
	s_and_saveexec_b64 s[2:3], vcc
	s_cbranch_execz .LBB886_77
; %bb.72:
	s_movk_i32 s8, 0x80
	v_cmp_ne_u16_e32 vcc, s8, v54
	v_mov_b32_e32 v53, 0xffff8000
	s_and_saveexec_b64 s[8:9], vcc
	s_cbranch_execz .LBB886_76
; %bb.73:
	v_bfe_u32 v54, v32, 16, 7
	s_movk_i32 s10, 0x7f
	v_cmp_ne_u32_e32 vcc, s10, v54
	v_mov_b32_e32 v53, 0x7f80
	s_and_saveexec_b64 s[10:11], vcc
	s_cbranch_execz .LBB886_75
; %bb.74:
	v_and_b32_e32 v53, 7, v30
	v_ffbh_u32_e32 v56, v53
	v_min_u32_e32 v58, 32, v56
	v_subrev_u32_e32 v56, 28, v58
	v_lshlrev_b64 v[56:57], v56, v[30:31]
	v_lshrrev_b32_e32 v55, 3, v54
	v_sub_u32_e32 v30, 29, v58
	v_and_b32_e32 v56, 7, v56
	v_cmp_gt_u32_e32 vcc, 8, v54
	v_mov_b32_e32 v54, 24
	v_cndmask_b32_e32 v30, v55, v30, vcc
	v_cndmask_b32_e32 v53, v53, v56, vcc
	v_lshlrev_b32_sdwa v54, v54, v32 dst_sel:DWORD dst_unused:UNUSED_PAD src0_sel:DWORD src1_sel:WORD_1
	v_bfrev_b32_e32 v55, 60
	v_lshlrev_b32_e32 v53, 20, v53
	v_and_b32_e32 v54, 0x80000000, v54
	v_lshl_add_u32 v30, v30, 23, v55
	v_or3_b32 v30, v54, v30, v53
	v_lshrrev_b32_e32 v53, 16, v30
.LBB886_75:
	s_or_b64 exec, exec, s[10:11]
.LBB886_76:
	s_or_b64 exec, exec, s[8:9]
.LBB886_77:
	s_or_b64 exec, exec, s[2:3]
	s_mov_b32 s2, 0xffffff
	v_cmp_lt_u32_e32 vcc, s2, v32
	s_and_saveexec_b64 s[2:3], vcc
	s_cbranch_execz .LBB886_83
; %bb.78:
	v_lshrrev_b32_e32 v30, 24, v32
	s_movk_i32 s8, 0x80
	v_cmp_ne_u32_e32 vcc, s8, v30
	v_mov_b32_e32 v52, 0xffff8000
	s_and_saveexec_b64 s[8:9], vcc
	s_cbranch_execz .LBB886_82
; %bb.79:
	v_bfe_u32 v32, v32, 24, 7
	s_movk_i32 s10, 0x7f
	v_cmp_ne_u32_e32 vcc, s10, v32
	v_mov_b32_e32 v52, 0x7f80
	s_and_saveexec_b64 s[10:11], vcc
	s_cbranch_execz .LBB886_81
; %bb.80:
	v_and_b32_e32 v52, 7, v30
	v_ffbh_u32_e32 v54, v52
	v_min_u32_e32 v57, 32, v54
	v_subrev_u32_e32 v54, 28, v57
	v_lshlrev_b64 v[54:55], v54, v[30:31]
	v_lshrrev_b32_e32 v56, 3, v32
	v_sub_u32_e32 v55, 29, v57
	v_and_b32_e32 v54, 7, v54
	v_cmp_gt_u32_e32 vcc, 8, v32
	v_cndmask_b32_e32 v32, v56, v55, vcc
	v_cndmask_b32_e32 v52, v52, v54, vcc
	v_lshlrev_b32_e32 v30, 24, v30
	v_bfrev_b32_e32 v54, 60
	v_lshlrev_b32_e32 v52, 20, v52
	v_and_b32_e32 v30, 0x80000000, v30
	v_lshl_add_u32 v32, v32, 23, v54
	v_or3_b32 v30, v30, v32, v52
	v_lshrrev_b32_e32 v52, 16, v30
.LBB886_81:
	s_or_b64 exec, exec, s[10:11]
.LBB886_82:
	s_or_b64 exec, exec, s[8:9]
.LBB886_83:
	s_or_b64 exec, exec, s[2:3]
	v_mov_b32_e32 v32, 0
	v_cmp_ne_u16_sdwa s[8:9], v33, v32 src0_sel:BYTE_0 src1_sel:DWORD
	v_mov_b32_e32 v54, 0
	s_and_saveexec_b64 s[2:3], s[8:9]
	s_cbranch_execz .LBB886_89
; %bb.84:
	s_movk_i32 s8, 0x80
	v_cmp_ne_u16_sdwa s[10:11], v33, s8 src0_sel:BYTE_0 src1_sel:DWORD
	v_mov_b32_e32 v54, 0xffff8000
	s_and_saveexec_b64 s[8:9], s[10:11]
	s_cbranch_execz .LBB886_88
; %bb.85:
	s_movk_i32 s10, 0x7f
	v_and_b32_e32 v30, 0x7f, v33
	v_cmp_ne_u32_e32 vcc, s10, v30
	v_mov_b32_e32 v54, 0x7f80
	s_and_saveexec_b64 s[10:11], vcc
	s_cbranch_execz .LBB886_87
; %bb.86:
	v_and_b32_e32 v56, 7, v33
	v_ffbh_u32_e32 v55, v56
	v_min_u32_e32 v58, 32, v55
	v_mov_b32_e32 v54, v33
	v_subrev_u32_e32 v55, 28, v58
	v_lshlrev_b64 v[54:55], v55, v[54:55]
	v_lshrrev_b32_e32 v57, 3, v30
	v_sub_u32_e32 v55, 29, v58
	v_and_b32_e32 v54, 7, v54
	v_cmp_gt_u32_e32 vcc, 8, v30
	v_cndmask_b32_e32 v30, v57, v55, vcc
	v_cndmask_b32_e32 v54, v56, v54, vcc
	v_lshlrev_b32_e32 v55, 24, v33
	v_bfrev_b32_e32 v56, 60
	v_lshlrev_b32_e32 v54, 20, v54
	v_and_b32_e32 v55, 0x80000000, v55
	v_lshl_add_u32 v30, v30, 23, v56
	v_or3_b32 v30, v55, v30, v54
	v_lshrrev_b32_e32 v54, 16, v30
.LBB886_87:
	s_or_b64 exec, exec, s[10:11]
.LBB886_88:
	s_or_b64 exec, exec, s[8:9]
.LBB886_89:
	s_or_b64 exec, exec, s[2:3]
	v_lshrrev_b16_e32 v30, 8, v33
	v_cmp_ne_u16_e32 vcc, 0, v30
	s_and_saveexec_b64 s[2:3], vcc
	s_cbranch_execz .LBB886_95
; %bb.90:
	s_movk_i32 s8, 0x80
	v_cmp_ne_u16_e32 vcc, s8, v30
	v_mov_b32_e32 v32, 0xffff8000
	s_and_saveexec_b64 s[8:9], vcc
	s_cbranch_execz .LBB886_94
; %bb.91:
	s_movk_i32 s10, 0x7f
	v_and_b32_e32 v55, 0x7f, v30
	v_cmp_ne_u32_e32 vcc, s10, v55
	v_mov_b32_e32 v32, 0x7f80
	s_and_saveexec_b64 s[10:11], vcc
	s_cbranch_execz .LBB886_93
; %bb.92:
	v_and_b32_e32 v32, 7, v30
	v_ffbh_u32_e32 v56, v32
	v_min_u32_e32 v59, 32, v56
	v_subrev_u32_e32 v56, 28, v59
	v_lshlrev_b64 v[56:57], v56, v[30:31]
	v_lshrrev_b32_e32 v58, 3, v55
	v_sub_u32_e32 v30, 29, v59
	v_and_b32_e32 v56, 7, v56
	v_cmp_gt_u32_e32 vcc, 8, v55
	v_cndmask_b32_e32 v30, v58, v30, vcc
	v_cndmask_b32_e32 v32, v32, v56, vcc
	v_lshlrev_b32_e32 v55, 16, v33
	v_bfrev_b32_e32 v56, 60
	v_lshlrev_b32_e32 v32, 20, v32
	v_and_b32_e32 v55, 0x80000000, v55
	v_lshl_add_u32 v30, v30, 23, v56
	v_or3_b32 v30, v55, v30, v32
	v_lshrrev_b32_e32 v32, 16, v30
.LBB886_93:
	s_or_b64 exec, exec, s[10:11]
.LBB886_94:
	s_or_b64 exec, exec, s[8:9]
.LBB886_95:
	s_or_b64 exec, exec, s[2:3]
	s_movk_i32 s2, 0xff
	v_and_b32_sdwa v57, v33, s2 dst_sel:DWORD dst_unused:UNUSED_PAD src0_sel:WORD_1 src1_sel:DWORD
	v_lshrrev_b32_e32 v30, 16, v33
	v_cmp_ne_u16_e32 vcc, 0, v57
	v_mov_b32_e32 v55, 0
	v_mov_b32_e32 v56, 0
	s_and_saveexec_b64 s[2:3], vcc
	s_cbranch_execz .LBB886_101
; %bb.96:
	s_movk_i32 s8, 0x80
	v_cmp_ne_u16_e32 vcc, s8, v57
	v_mov_b32_e32 v56, 0xffff8000
	s_and_saveexec_b64 s[8:9], vcc
	s_cbranch_execz .LBB886_100
; %bb.97:
	v_bfe_u32 v57, v33, 16, 7
	s_movk_i32 s10, 0x7f
	v_cmp_ne_u32_e32 vcc, s10, v57
	v_mov_b32_e32 v56, 0x7f80
	s_and_saveexec_b64 s[10:11], vcc
	s_cbranch_execz .LBB886_99
; %bb.98:
	v_and_b32_e32 v56, 7, v30
	v_ffbh_u32_e32 v58, v56
	v_min_u32_e32 v61, 32, v58
	v_subrev_u32_e32 v58, 28, v61
	v_lshlrev_b64 v[58:59], v58, v[30:31]
	v_lshrrev_b32_e32 v60, 3, v57
	v_sub_u32_e32 v30, 29, v61
	v_and_b32_e32 v58, 7, v58
	v_cmp_gt_u32_e32 vcc, 8, v57
	v_mov_b32_e32 v57, 24
	v_cndmask_b32_e32 v30, v60, v30, vcc
	v_cndmask_b32_e32 v56, v56, v58, vcc
	v_lshlrev_b32_sdwa v57, v57, v33 dst_sel:DWORD dst_unused:UNUSED_PAD src0_sel:DWORD src1_sel:WORD_1
	v_bfrev_b32_e32 v58, 60
	v_lshlrev_b32_e32 v56, 20, v56
	v_and_b32_e32 v57, 0x80000000, v57
	v_lshl_add_u32 v30, v30, 23, v58
	v_or3_b32 v30, v57, v30, v56
	v_lshrrev_b32_e32 v56, 16, v30
.LBB886_99:
	s_or_b64 exec, exec, s[10:11]
.LBB886_100:
	s_or_b64 exec, exec, s[8:9]
.LBB886_101:
	s_or_b64 exec, exec, s[2:3]
	s_mov_b32 s2, 0xffffff
	v_cmp_lt_u32_e32 vcc, s2, v33
	s_and_saveexec_b64 s[2:3], vcc
	s_cbranch_execz .LBB886_107
; %bb.102:
	v_lshrrev_b32_e32 v30, 24, v33
	s_movk_i32 s8, 0x80
	v_cmp_ne_u32_e32 vcc, s8, v30
	v_mov_b32_e32 v55, 0xffff8000
	s_and_saveexec_b64 s[8:9], vcc
	s_cbranch_execz .LBB886_106
; %bb.103:
	v_bfe_u32 v33, v33, 24, 7
	s_movk_i32 s10, 0x7f
	v_cmp_ne_u32_e32 vcc, s10, v33
	v_mov_b32_e32 v55, 0x7f80
	s_and_saveexec_b64 s[10:11], vcc
	s_cbranch_execz .LBB886_105
; %bb.104:
	v_and_b32_e32 v55, 7, v30
	v_ffbh_u32_e32 v58, v55
	v_min_u32_e32 v60, 32, v58
	v_subrev_u32_e32 v58, 28, v60
	v_lshlrev_b64 v[58:59], v58, v[30:31]
	v_lshrrev_b32_e32 v57, 3, v33
	v_sub_u32_e32 v59, 29, v60
	v_and_b32_e32 v58, 7, v58
	v_cmp_gt_u32_e32 vcc, 8, v33
	v_cndmask_b32_e32 v33, v57, v59, vcc
	v_cndmask_b32_e32 v55, v55, v58, vcc
	v_lshlrev_b32_e32 v30, 24, v30
	v_bfrev_b32_e32 v57, 60
	v_lshlrev_b32_e32 v55, 20, v55
	v_and_b32_e32 v30, 0x80000000, v30
	v_lshl_add_u32 v33, v33, 23, v57
	v_or3_b32 v30, v30, v33, v55
	v_lshrrev_b32_e32 v55, 16, v30
.LBB886_105:
	s_or_b64 exec, exec, s[10:11]
.LBB886_106:
	s_or_b64 exec, exec, s[8:9]
.LBB886_107:
	s_or_b64 exec, exec, s[2:3]
	s_mov_b32 s2, 0x5040100
	v_perm_b32 v53, v52, v53, s2
	v_perm_b32 v52, v31, v51, s2
	;; [unrolled: 1-line block ×4, first 2 shown]
	v_mfma_f32_16x16x16bf16_1k v[58:61], v[52:53], v[18:19], v[42:45]
	s_nop 6
	v_mov_b32_e32 v43, 0
	s_waitcnt vmcnt(6)
	v_cmp_ne_u16_sdwa s[8:9], v38, v43 src0_sel:BYTE_0 src1_sel:DWORD
	v_mfma_f32_16x16x16bf16_1k v[30:33], v[30:31], v[20:21], v[58:61]
	v_mov_b32_e32 v44, 0
	s_and_saveexec_b64 s[2:3], s[8:9]
	s_cbranch_execz .LBB886_113
; %bb.108:
	s_movk_i32 s8, 0x80
	v_cmp_ne_u16_sdwa s[10:11], v38, s8 src0_sel:BYTE_0 src1_sel:DWORD
	v_mov_b32_e32 v44, 0xffff8000
	s_and_saveexec_b64 s[8:9], s[10:11]
	s_cbranch_execz .LBB886_112
; %bb.109:
	s_movk_i32 s10, 0x7f
	v_and_b32_e32 v42, 0x7f, v38
	v_cmp_ne_u32_e32 vcc, s10, v42
	v_mov_b32_e32 v44, 0x7f80
	s_and_saveexec_b64 s[10:11], vcc
	s_cbranch_execz .LBB886_111
; %bb.110:
	v_and_b32_e32 v51, 7, v38
	v_ffbh_u32_e32 v44, v51
	v_min_u32_e32 v53, 32, v44
	v_subrev_u32_e32 v44, 28, v53
	v_lshlrev_b64 v[44:45], v44, v[38:39]
	v_lshrrev_b32_e32 v52, 3, v42
	v_sub_u32_e32 v45, 29, v53
	v_and_b32_e32 v44, 7, v44
	v_cmp_gt_u32_e32 vcc, 8, v42
	v_cndmask_b32_e32 v42, v52, v45, vcc
	v_cndmask_b32_e32 v44, v51, v44, vcc
	v_lshlrev_b32_e32 v45, 24, v38
	v_bfrev_b32_e32 v51, 60
	v_lshlrev_b32_e32 v44, 20, v44
	v_and_b32_e32 v45, 0x80000000, v45
	v_lshl_add_u32 v42, v42, 23, v51
	v_or3_b32 v42, v45, v42, v44
	v_lshrrev_b32_e32 v44, 16, v42
.LBB886_111:
	s_or_b64 exec, exec, s[10:11]
.LBB886_112:
	s_or_b64 exec, exec, s[8:9]
.LBB886_113:
	s_or_b64 exec, exec, s[2:3]
	v_lshrrev_b16_e32 v42, 8, v38
	v_cmp_ne_u16_e32 vcc, 0, v42
	s_and_saveexec_b64 s[2:3], vcc
	s_cbranch_execz .LBB886_119
; %bb.114:
	s_movk_i32 s8, 0x80
	v_cmp_ne_u16_e32 vcc, s8, v42
	v_mov_b32_e32 v43, 0xffff8000
	s_and_saveexec_b64 s[8:9], vcc
	s_cbranch_execz .LBB886_118
; %bb.115:
	s_movk_i32 s10, 0x7f
	v_and_b32_e32 v45, 0x7f, v42
	v_cmp_ne_u32_e32 vcc, s10, v45
	v_mov_b32_e32 v43, 0x7f80
	s_and_saveexec_b64 s[10:11], vcc
	s_cbranch_execz .LBB886_117
; %bb.116:
	v_and_b32_e32 v51, 7, v42
	v_ffbh_u32_e32 v43, v51
	v_min_u32_e32 v53, 32, v43
	v_subrev_u32_e32 v43, 28, v53
	v_lshlrev_b64 v[42:43], v43, v[42:43]
	v_lshrrev_b32_e32 v52, 3, v45
	v_sub_u32_e32 v43, 29, v53
	v_and_b32_e32 v42, 7, v42
	v_cmp_gt_u32_e32 vcc, 8, v45
	v_cndmask_b32_e32 v43, v52, v43, vcc
	v_cndmask_b32_e32 v42, v51, v42, vcc
	v_lshlrev_b32_e32 v45, 16, v38
	v_bfrev_b32_e32 v51, 60
	v_lshlrev_b32_e32 v42, 20, v42
	v_and_b32_e32 v45, 0x80000000, v45
	v_lshl_add_u32 v43, v43, 23, v51
	v_or3_b32 v42, v45, v43, v42
	v_lshrrev_b32_e32 v43, 16, v42
.LBB886_117:
	s_or_b64 exec, exec, s[10:11]
.LBB886_118:
	s_or_b64 exec, exec, s[8:9]
.LBB886_119:
	s_or_b64 exec, exec, s[2:3]
	s_movk_i32 s2, 0xff
	v_and_b32_sdwa v52, v38, s2 dst_sel:DWORD dst_unused:UNUSED_PAD src0_sel:WORD_1 src1_sel:DWORD
	v_lshrrev_b32_e32 v42, 16, v38
	v_cmp_ne_u16_e32 vcc, 0, v52
	v_mov_b32_e32 v45, 0
	v_mov_b32_e32 v51, 0
	s_and_saveexec_b64 s[2:3], vcc
	s_cbranch_execz .LBB886_125
; %bb.120:
	s_movk_i32 s8, 0x80
	v_cmp_ne_u16_e32 vcc, s8, v52
	v_mov_b32_e32 v51, 0xffff8000
	s_and_saveexec_b64 s[8:9], vcc
	s_cbranch_execz .LBB886_124
; %bb.121:
	v_bfe_u32 v52, v38, 16, 7
	s_movk_i32 s10, 0x7f
	v_cmp_ne_u32_e32 vcc, s10, v52
	v_mov_b32_e32 v51, 0x7f80
	s_and_saveexec_b64 s[10:11], vcc
	s_cbranch_execz .LBB886_123
; %bb.122:
	v_and_b32_e32 v51, 7, v42
	v_ffbh_u32_e32 v54, v51
	v_min_u32_e32 v56, 32, v54
	v_subrev_u32_e32 v54, 28, v56
	v_lshlrev_b64 v[54:55], v54, v[42:43]
	v_lshrrev_b32_e32 v53, 3, v52
	v_sub_u32_e32 v42, 29, v56
	v_and_b32_e32 v54, 7, v54
	v_cmp_gt_u32_e32 vcc, 8, v52
	v_mov_b32_e32 v52, 24
	v_cndmask_b32_e32 v42, v53, v42, vcc
	v_cndmask_b32_e32 v51, v51, v54, vcc
	v_lshlrev_b32_sdwa v52, v52, v38 dst_sel:DWORD dst_unused:UNUSED_PAD src0_sel:DWORD src1_sel:WORD_1
	v_bfrev_b32_e32 v53, 60
	v_lshlrev_b32_e32 v51, 20, v51
	v_and_b32_e32 v52, 0x80000000, v52
	v_lshl_add_u32 v42, v42, 23, v53
	v_or3_b32 v42, v52, v42, v51
	v_lshrrev_b32_e32 v51, 16, v42
.LBB886_123:
	s_or_b64 exec, exec, s[10:11]
.LBB886_124:
	s_or_b64 exec, exec, s[8:9]
.LBB886_125:
	s_or_b64 exec, exec, s[2:3]
	s_mov_b32 s2, 0xffffff
	v_cmp_lt_u32_e32 vcc, s2, v38
	s_and_saveexec_b64 s[2:3], vcc
	s_cbranch_execz .LBB886_131
; %bb.126:
	v_lshrrev_b32_e32 v42, 24, v38
	s_movk_i32 s8, 0x80
	v_cmp_ne_u32_e32 vcc, s8, v42
	v_mov_b32_e32 v45, 0xffff8000
	s_and_saveexec_b64 s[8:9], vcc
	s_cbranch_execz .LBB886_130
; %bb.127:
	v_bfe_u32 v38, v38, 24, 7
	s_movk_i32 s10, 0x7f
	v_cmp_ne_u32_e32 vcc, s10, v38
	v_mov_b32_e32 v45, 0x7f80
	s_and_saveexec_b64 s[10:11], vcc
	s_cbranch_execz .LBB886_129
; %bb.128:
	v_and_b32_e32 v45, 7, v42
	v_ffbh_u32_e32 v52, v45
	v_min_u32_e32 v55, 32, v52
	v_subrev_u32_e32 v52, 28, v55
	v_lshlrev_b64 v[52:53], v52, v[42:43]
	v_lshrrev_b32_e32 v54, 3, v38
	v_sub_u32_e32 v53, 29, v55
	v_and_b32_e32 v52, 7, v52
	v_cmp_gt_u32_e32 vcc, 8, v38
	v_cndmask_b32_e32 v38, v54, v53, vcc
	v_cndmask_b32_e32 v45, v45, v52, vcc
	v_lshlrev_b32_e32 v42, 24, v42
	v_bfrev_b32_e32 v52, 60
	v_lshlrev_b32_e32 v45, 20, v45
	v_and_b32_e32 v42, 0x80000000, v42
	v_lshl_add_u32 v38, v38, 23, v52
	v_or3_b32 v38, v42, v38, v45
	v_lshrrev_b32_e32 v45, 16, v38
.LBB886_129:
	s_or_b64 exec, exec, s[10:11]
.LBB886_130:
	s_or_b64 exec, exec, s[8:9]
.LBB886_131:
	s_or_b64 exec, exec, s[2:3]
	v_mov_b32_e32 v42, 0
	v_cmp_ne_u16_sdwa s[8:9], v39, v42 src0_sel:BYTE_0 src1_sel:DWORD
	v_mov_b32_e32 v52, 0
	s_and_saveexec_b64 s[2:3], s[8:9]
	s_cbranch_execz .LBB886_137
; %bb.132:
	s_movk_i32 s8, 0x80
	v_cmp_ne_u16_sdwa s[10:11], v39, s8 src0_sel:BYTE_0 src1_sel:DWORD
	v_mov_b32_e32 v52, 0xffff8000
	s_and_saveexec_b64 s[8:9], s[10:11]
	s_cbranch_execz .LBB886_136
; %bb.133:
	s_movk_i32 s10, 0x7f
	v_and_b32_e32 v38, 0x7f, v39
	v_cmp_ne_u32_e32 vcc, s10, v38
	v_mov_b32_e32 v52, 0x7f80
	s_and_saveexec_b64 s[10:11], vcc
	s_cbranch_execz .LBB886_135
; %bb.134:
	v_and_b32_e32 v54, 7, v39
	v_ffbh_u32_e32 v53, v54
	v_min_u32_e32 v56, 32, v53
	v_mov_b32_e32 v52, v39
	v_subrev_u32_e32 v53, 28, v56
	v_lshlrev_b64 v[52:53], v53, v[52:53]
	v_lshrrev_b32_e32 v55, 3, v38
	v_sub_u32_e32 v53, 29, v56
	v_and_b32_e32 v52, 7, v52
	v_cmp_gt_u32_e32 vcc, 8, v38
	v_cndmask_b32_e32 v38, v55, v53, vcc
	v_cndmask_b32_e32 v52, v54, v52, vcc
	v_lshlrev_b32_e32 v53, 24, v39
	v_bfrev_b32_e32 v54, 60
	v_lshlrev_b32_e32 v52, 20, v52
	v_and_b32_e32 v53, 0x80000000, v53
	v_lshl_add_u32 v38, v38, 23, v54
	v_or3_b32 v38, v53, v38, v52
	v_lshrrev_b32_e32 v52, 16, v38
.LBB886_135:
	s_or_b64 exec, exec, s[10:11]
.LBB886_136:
	s_or_b64 exec, exec, s[8:9]
.LBB886_137:
	s_or_b64 exec, exec, s[2:3]
	v_lshrrev_b16_e32 v38, 8, v39
	v_cmp_ne_u16_e32 vcc, 0, v38
	s_and_saveexec_b64 s[2:3], vcc
	s_cbranch_execz .LBB886_143
; %bb.138:
	s_movk_i32 s8, 0x80
	v_cmp_ne_u16_e32 vcc, s8, v38
	v_mov_b32_e32 v42, 0xffff8000
	s_and_saveexec_b64 s[8:9], vcc
	s_cbranch_execz .LBB886_142
; %bb.139:
	s_movk_i32 s10, 0x7f
	v_and_b32_e32 v53, 0x7f, v38
	v_cmp_ne_u32_e32 vcc, s10, v53
	v_mov_b32_e32 v42, 0x7f80
	s_and_saveexec_b64 s[10:11], vcc
	s_cbranch_execz .LBB886_141
; %bb.140:
	v_and_b32_e32 v42, 7, v38
	v_ffbh_u32_e32 v54, v42
	v_min_u32_e32 v57, 32, v54
	v_subrev_u32_e32 v54, 28, v57
	v_lshlrev_b64 v[54:55], v54, v[38:39]
	v_lshrrev_b32_e32 v56, 3, v53
	v_sub_u32_e32 v38, 29, v57
	v_and_b32_e32 v54, 7, v54
	v_cmp_gt_u32_e32 vcc, 8, v53
	v_cndmask_b32_e32 v38, v56, v38, vcc
	v_cndmask_b32_e32 v42, v42, v54, vcc
	v_lshlrev_b32_e32 v53, 16, v39
	v_bfrev_b32_e32 v54, 60
	v_lshlrev_b32_e32 v42, 20, v42
	v_and_b32_e32 v53, 0x80000000, v53
	v_lshl_add_u32 v38, v38, 23, v54
	v_or3_b32 v38, v53, v38, v42
	v_lshrrev_b32_e32 v42, 16, v38
.LBB886_141:
	s_or_b64 exec, exec, s[10:11]
.LBB886_142:
	s_or_b64 exec, exec, s[8:9]
.LBB886_143:
	s_or_b64 exec, exec, s[2:3]
	s_movk_i32 s2, 0xff
	v_and_b32_sdwa v55, v39, s2 dst_sel:DWORD dst_unused:UNUSED_PAD src0_sel:WORD_1 src1_sel:DWORD
	v_lshrrev_b32_e32 v38, 16, v39
	v_cmp_ne_u16_e32 vcc, 0, v55
	v_mov_b32_e32 v53, 0
	v_mov_b32_e32 v54, 0
	s_and_saveexec_b64 s[2:3], vcc
	s_cbranch_execz .LBB886_149
; %bb.144:
	s_movk_i32 s8, 0x80
	v_cmp_ne_u16_e32 vcc, s8, v55
	v_mov_b32_e32 v54, 0xffff8000
	s_and_saveexec_b64 s[8:9], vcc
	s_cbranch_execz .LBB886_148
; %bb.145:
	v_bfe_u32 v55, v39, 16, 7
	s_movk_i32 s10, 0x7f
	v_cmp_ne_u32_e32 vcc, s10, v55
	v_mov_b32_e32 v54, 0x7f80
	s_and_saveexec_b64 s[10:11], vcc
	s_cbranch_execz .LBB886_147
; %bb.146:
	v_and_b32_e32 v54, 7, v38
	v_ffbh_u32_e32 v56, v54
	v_min_u32_e32 v59, 32, v56
	v_subrev_u32_e32 v56, 28, v59
	v_lshlrev_b64 v[56:57], v56, v[38:39]
	v_lshrrev_b32_e32 v58, 3, v55
	v_sub_u32_e32 v38, 29, v59
	v_and_b32_e32 v56, 7, v56
	v_cmp_gt_u32_e32 vcc, 8, v55
	v_mov_b32_e32 v55, 24
	v_cndmask_b32_e32 v38, v58, v38, vcc
	v_cndmask_b32_e32 v54, v54, v56, vcc
	v_lshlrev_b32_sdwa v55, v55, v39 dst_sel:DWORD dst_unused:UNUSED_PAD src0_sel:DWORD src1_sel:WORD_1
	v_bfrev_b32_e32 v56, 60
	v_lshlrev_b32_e32 v54, 20, v54
	v_and_b32_e32 v55, 0x80000000, v55
	v_lshl_add_u32 v38, v38, 23, v56
	v_or3_b32 v38, v55, v38, v54
	v_lshrrev_b32_e32 v54, 16, v38
.LBB886_147:
	s_or_b64 exec, exec, s[10:11]
.LBB886_148:
	s_or_b64 exec, exec, s[8:9]
.LBB886_149:
	s_or_b64 exec, exec, s[2:3]
	s_mov_b32 s2, 0xffffff
	v_cmp_lt_u32_e32 vcc, s2, v39
	s_and_saveexec_b64 s[2:3], vcc
	s_cbranch_execz .LBB886_155
; %bb.150:
	v_lshrrev_b32_e32 v38, 24, v39
	s_movk_i32 s8, 0x80
	v_cmp_ne_u32_e32 vcc, s8, v38
	v_mov_b32_e32 v53, 0xffff8000
	s_and_saveexec_b64 s[8:9], vcc
	s_cbranch_execz .LBB886_154
; %bb.151:
	v_bfe_u32 v39, v39, 24, 7
	s_movk_i32 s10, 0x7f
	v_cmp_ne_u32_e32 vcc, s10, v39
	v_mov_b32_e32 v53, 0x7f80
	s_and_saveexec_b64 s[10:11], vcc
	s_cbranch_execz .LBB886_153
; %bb.152:
	v_and_b32_e32 v53, 7, v38
	v_ffbh_u32_e32 v56, v53
	v_min_u32_e32 v58, 32, v56
	v_subrev_u32_e32 v56, 28, v58
	v_lshlrev_b64 v[56:57], v56, v[38:39]
	v_lshrrev_b32_e32 v55, 3, v39
	v_sub_u32_e32 v57, 29, v58
	v_and_b32_e32 v56, 7, v56
	v_cmp_gt_u32_e32 vcc, 8, v39
	v_cndmask_b32_e32 v39, v55, v57, vcc
	v_cndmask_b32_e32 v53, v53, v56, vcc
	v_lshlrev_b32_e32 v38, 24, v38
	v_bfrev_b32_e32 v55, 60
	v_lshlrev_b32_e32 v53, 20, v53
	v_and_b32_e32 v38, 0x80000000, v38
	v_lshl_add_u32 v39, v39, 23, v55
	v_or3_b32 v38, v38, v39, v53
	v_lshrrev_b32_e32 v53, 16, v38
.LBB886_153:
	s_or_b64 exec, exec, s[10:11]
.LBB886_154:
	s_or_b64 exec, exec, s[8:9]
.LBB886_155:
	s_or_b64 exec, exec, s[2:3]
	s_mov_b32 s2, 0x5040100
	v_perm_b32 v39, v45, v51, s2
	v_perm_b32 v38, v43, v44, s2
	;; [unrolled: 1-line block ×4, first 2 shown]
	v_mov_b32_e32 v51, 0
	v_mfma_f32_16x16x16bf16_1k v[56:59], v[38:39], v[26:27], 0
	v_mov_b32_e32 v39, 0
	v_cmp_ne_u16_sdwa s[8:9], v40, v39 src0_sel:BYTE_0 src1_sel:DWORD
	v_mfma_f32_16x16x16bf16_1k v[42:45], v[42:43], v[28:29], v[56:59]
	s_and_saveexec_b64 s[2:3], s[8:9]
	s_cbranch_execz .LBB886_161
; %bb.156:
	s_movk_i32 s8, 0x80
	v_cmp_ne_u16_sdwa s[10:11], v40, s8 src0_sel:BYTE_0 src1_sel:DWORD
	v_mov_b32_e32 v51, 0xffff8000
	s_and_saveexec_b64 s[8:9], s[10:11]
	s_cbranch_execz .LBB886_160
; %bb.157:
	s_movk_i32 s10, 0x7f
	v_and_b32_e32 v38, 0x7f, v40
	v_cmp_ne_u32_e32 vcc, s10, v38
	v_mov_b32_e32 v51, 0x7f80
	s_and_saveexec_b64 s[10:11], vcc
	s_cbranch_execz .LBB886_159
; %bb.158:
	v_and_b32_e32 v51, 7, v40
	v_ffbh_u32_e32 v52, v51
	v_min_u32_e32 v55, 32, v52
	v_subrev_u32_e32 v52, 28, v55
	v_lshlrev_b64 v[52:53], v52, v[40:41]
	v_lshrrev_b32_e32 v54, 3, v38
	v_sub_u32_e32 v53, 29, v55
	v_and_b32_e32 v52, 7, v52
	v_cmp_gt_u32_e32 vcc, 8, v38
	v_cndmask_b32_e32 v38, v54, v53, vcc
	v_cndmask_b32_e32 v51, v51, v52, vcc
	v_lshlrev_b32_e32 v52, 24, v40
	v_bfrev_b32_e32 v53, 60
	v_lshlrev_b32_e32 v51, 20, v51
	v_and_b32_e32 v52, 0x80000000, v52
	v_lshl_add_u32 v38, v38, 23, v53
	v_or3_b32 v38, v52, v38, v51
	v_lshrrev_b32_e32 v51, 16, v38
.LBB886_159:
	s_or_b64 exec, exec, s[10:11]
.LBB886_160:
	s_or_b64 exec, exec, s[8:9]
.LBB886_161:
	s_or_b64 exec, exec, s[2:3]
	v_lshrrev_b16_e32 v38, 8, v40
	v_cmp_ne_u16_e32 vcc, 0, v38
	s_and_saveexec_b64 s[2:3], vcc
	s_cbranch_execz .LBB886_167
; %bb.162:
	s_movk_i32 s8, 0x80
	v_cmp_ne_u16_e32 vcc, s8, v38
	v_mov_b32_e32 v39, 0xffff8000
	s_and_saveexec_b64 s[8:9], vcc
	s_cbranch_execz .LBB886_166
; %bb.163:
	s_movk_i32 s10, 0x7f
	v_and_b32_e32 v52, 0x7f, v38
	v_cmp_ne_u32_e32 vcc, s10, v52
	v_mov_b32_e32 v39, 0x7f80
	s_and_saveexec_b64 s[10:11], vcc
	s_cbranch_execz .LBB886_165
; %bb.164:
	v_and_b32_e32 v53, 7, v38
	v_ffbh_u32_e32 v39, v53
	v_min_u32_e32 v55, 32, v39
	v_subrev_u32_e32 v39, 28, v55
	v_lshlrev_b64 v[38:39], v39, v[38:39]
	v_lshrrev_b32_e32 v54, 3, v52
	v_sub_u32_e32 v39, 29, v55
	v_and_b32_e32 v38, 7, v38
	v_cmp_gt_u32_e32 vcc, 8, v52
	v_cndmask_b32_e32 v39, v54, v39, vcc
	v_cndmask_b32_e32 v38, v53, v38, vcc
	v_lshlrev_b32_e32 v52, 16, v40
	v_bfrev_b32_e32 v53, 60
	v_lshlrev_b32_e32 v38, 20, v38
	v_and_b32_e32 v52, 0x80000000, v52
	v_lshl_add_u32 v39, v39, 23, v53
	v_or3_b32 v38, v52, v39, v38
	v_lshrrev_b32_e32 v39, 16, v38
.LBB886_165:
	s_or_b64 exec, exec, s[10:11]
.LBB886_166:
	s_or_b64 exec, exec, s[8:9]
.LBB886_167:
	s_or_b64 exec, exec, s[2:3]
	s_movk_i32 s2, 0xff
	v_and_b32_sdwa v54, v40, s2 dst_sel:DWORD dst_unused:UNUSED_PAD src0_sel:WORD_1 src1_sel:DWORD
	v_lshrrev_b32_e32 v38, 16, v40
	v_cmp_ne_u16_e32 vcc, 0, v54
	v_mov_b32_e32 v52, 0
	v_mov_b32_e32 v53, 0
	s_and_saveexec_b64 s[2:3], vcc
	s_cbranch_execz .LBB886_173
; %bb.168:
	s_movk_i32 s8, 0x80
	v_cmp_ne_u16_e32 vcc, s8, v54
	v_mov_b32_e32 v53, 0xffff8000
	s_and_saveexec_b64 s[8:9], vcc
	s_cbranch_execz .LBB886_172
; %bb.169:
	v_bfe_u32 v54, v40, 16, 7
	s_movk_i32 s10, 0x7f
	v_cmp_ne_u32_e32 vcc, s10, v54
	v_mov_b32_e32 v53, 0x7f80
	s_and_saveexec_b64 s[10:11], vcc
	s_cbranch_execz .LBB886_171
; %bb.170:
	v_and_b32_e32 v53, 7, v38
	v_ffbh_u32_e32 v56, v53
	v_min_u32_e32 v58, 32, v56
	v_subrev_u32_e32 v56, 28, v58
	v_lshlrev_b64 v[56:57], v56, v[38:39]
	v_lshrrev_b32_e32 v55, 3, v54
	v_sub_u32_e32 v38, 29, v58
	v_and_b32_e32 v56, 7, v56
	v_cmp_gt_u32_e32 vcc, 8, v54
	v_mov_b32_e32 v54, 24
	v_cndmask_b32_e32 v38, v55, v38, vcc
	v_cndmask_b32_e32 v53, v53, v56, vcc
	v_lshlrev_b32_sdwa v54, v54, v40 dst_sel:DWORD dst_unused:UNUSED_PAD src0_sel:DWORD src1_sel:WORD_1
	v_bfrev_b32_e32 v55, 60
	v_lshlrev_b32_e32 v53, 20, v53
	v_and_b32_e32 v54, 0x80000000, v54
	v_lshl_add_u32 v38, v38, 23, v55
	v_or3_b32 v38, v54, v38, v53
	v_lshrrev_b32_e32 v53, 16, v38
.LBB886_171:
	s_or_b64 exec, exec, s[10:11]
.LBB886_172:
	s_or_b64 exec, exec, s[8:9]
.LBB886_173:
	s_or_b64 exec, exec, s[2:3]
	s_mov_b32 s2, 0xffffff
	v_cmp_lt_u32_e32 vcc, s2, v40
	s_and_saveexec_b64 s[2:3], vcc
	s_cbranch_execz .LBB886_179
; %bb.174:
	v_lshrrev_b32_e32 v38, 24, v40
	s_movk_i32 s8, 0x80
	v_cmp_ne_u32_e32 vcc, s8, v38
	v_mov_b32_e32 v52, 0xffff8000
	s_and_saveexec_b64 s[8:9], vcc
	s_cbranch_execz .LBB886_178
; %bb.175:
	v_bfe_u32 v40, v40, 24, 7
	s_movk_i32 s10, 0x7f
	v_cmp_ne_u32_e32 vcc, s10, v40
	v_mov_b32_e32 v52, 0x7f80
	s_and_saveexec_b64 s[10:11], vcc
	s_cbranch_execz .LBB886_177
; %bb.176:
	v_and_b32_e32 v52, 7, v38
	v_ffbh_u32_e32 v54, v52
	v_min_u32_e32 v57, 32, v54
	v_subrev_u32_e32 v54, 28, v57
	v_lshlrev_b64 v[54:55], v54, v[38:39]
	v_lshrrev_b32_e32 v56, 3, v40
	v_sub_u32_e32 v55, 29, v57
	v_and_b32_e32 v54, 7, v54
	v_cmp_gt_u32_e32 vcc, 8, v40
	v_cndmask_b32_e32 v40, v56, v55, vcc
	v_cndmask_b32_e32 v52, v52, v54, vcc
	v_lshlrev_b32_e32 v38, 24, v38
	v_bfrev_b32_e32 v54, 60
	v_lshlrev_b32_e32 v52, 20, v52
	v_and_b32_e32 v38, 0x80000000, v38
	v_lshl_add_u32 v40, v40, 23, v54
	v_or3_b32 v38, v38, v40, v52
	v_lshrrev_b32_e32 v52, 16, v38
.LBB886_177:
	s_or_b64 exec, exec, s[10:11]
.LBB886_178:
	s_or_b64 exec, exec, s[8:9]
.LBB886_179:
	s_or_b64 exec, exec, s[2:3]
	v_mov_b32_e32 v40, 0
	v_cmp_ne_u16_sdwa s[8:9], v41, v40 src0_sel:BYTE_0 src1_sel:DWORD
	v_mov_b32_e32 v54, 0
	s_and_saveexec_b64 s[2:3], s[8:9]
	s_cbranch_execz .LBB886_185
; %bb.180:
	s_movk_i32 s8, 0x80
	v_cmp_ne_u16_sdwa s[10:11], v41, s8 src0_sel:BYTE_0 src1_sel:DWORD
	v_mov_b32_e32 v54, 0xffff8000
	s_and_saveexec_b64 s[8:9], s[10:11]
	s_cbranch_execz .LBB886_184
; %bb.181:
	s_movk_i32 s10, 0x7f
	v_and_b32_e32 v38, 0x7f, v41
	v_cmp_ne_u32_e32 vcc, s10, v38
	v_mov_b32_e32 v54, 0x7f80
	s_and_saveexec_b64 s[10:11], vcc
	s_cbranch_execz .LBB886_183
; %bb.182:
	v_and_b32_e32 v56, 7, v41
	v_ffbh_u32_e32 v55, v56
	v_min_u32_e32 v58, 32, v55
	v_mov_b32_e32 v54, v41
	v_subrev_u32_e32 v55, 28, v58
	v_lshlrev_b64 v[54:55], v55, v[54:55]
	v_lshrrev_b32_e32 v57, 3, v38
	v_sub_u32_e32 v55, 29, v58
	v_and_b32_e32 v54, 7, v54
	v_cmp_gt_u32_e32 vcc, 8, v38
	v_cndmask_b32_e32 v38, v57, v55, vcc
	v_cndmask_b32_e32 v54, v56, v54, vcc
	v_lshlrev_b32_e32 v55, 24, v41
	v_bfrev_b32_e32 v56, 60
	v_lshlrev_b32_e32 v54, 20, v54
	v_and_b32_e32 v55, 0x80000000, v55
	v_lshl_add_u32 v38, v38, 23, v56
	v_or3_b32 v38, v55, v38, v54
	v_lshrrev_b32_e32 v54, 16, v38
.LBB886_183:
	s_or_b64 exec, exec, s[10:11]
.LBB886_184:
	s_or_b64 exec, exec, s[8:9]
.LBB886_185:
	s_or_b64 exec, exec, s[2:3]
	v_lshrrev_b16_e32 v38, 8, v41
	v_cmp_ne_u16_e32 vcc, 0, v38
	s_and_saveexec_b64 s[2:3], vcc
	s_cbranch_execz .LBB886_191
; %bb.186:
	s_movk_i32 s8, 0x80
	v_cmp_ne_u16_e32 vcc, s8, v38
	v_mov_b32_e32 v40, 0xffff8000
	s_and_saveexec_b64 s[8:9], vcc
	s_cbranch_execz .LBB886_190
; %bb.187:
	s_movk_i32 s10, 0x7f
	v_and_b32_e32 v55, 0x7f, v38
	v_cmp_ne_u32_e32 vcc, s10, v55
	v_mov_b32_e32 v40, 0x7f80
	s_and_saveexec_b64 s[10:11], vcc
	s_cbranch_execz .LBB886_189
; %bb.188:
	v_and_b32_e32 v40, 7, v38
	v_ffbh_u32_e32 v56, v40
	v_min_u32_e32 v59, 32, v56
	v_subrev_u32_e32 v56, 28, v59
	v_lshlrev_b64 v[56:57], v56, v[38:39]
	v_lshrrev_b32_e32 v58, 3, v55
	v_sub_u32_e32 v38, 29, v59
	v_and_b32_e32 v56, 7, v56
	v_cmp_gt_u32_e32 vcc, 8, v55
	v_cndmask_b32_e32 v38, v58, v38, vcc
	v_cndmask_b32_e32 v40, v40, v56, vcc
	v_lshlrev_b32_e32 v55, 16, v41
	v_bfrev_b32_e32 v56, 60
	v_lshlrev_b32_e32 v40, 20, v40
	v_and_b32_e32 v55, 0x80000000, v55
	v_lshl_add_u32 v38, v38, 23, v56
	v_or3_b32 v38, v55, v38, v40
	v_lshrrev_b32_e32 v40, 16, v38
.LBB886_189:
	s_or_b64 exec, exec, s[10:11]
.LBB886_190:
	s_or_b64 exec, exec, s[8:9]
.LBB886_191:
	s_or_b64 exec, exec, s[2:3]
	s_movk_i32 s2, 0xff
	v_and_b32_sdwa v57, v41, s2 dst_sel:DWORD dst_unused:UNUSED_PAD src0_sel:WORD_1 src1_sel:DWORD
	v_lshrrev_b32_e32 v38, 16, v41
	v_cmp_ne_u16_e32 vcc, 0, v57
	v_mov_b32_e32 v55, 0
	v_mov_b32_e32 v56, 0
	s_and_saveexec_b64 s[2:3], vcc
	s_cbranch_execz .LBB886_197
; %bb.192:
	s_movk_i32 s8, 0x80
	v_cmp_ne_u16_e32 vcc, s8, v57
	v_mov_b32_e32 v56, 0xffff8000
	s_and_saveexec_b64 s[8:9], vcc
	s_cbranch_execz .LBB886_196
; %bb.193:
	v_bfe_u32 v57, v41, 16, 7
	s_movk_i32 s10, 0x7f
	v_cmp_ne_u32_e32 vcc, s10, v57
	v_mov_b32_e32 v56, 0x7f80
	s_and_saveexec_b64 s[10:11], vcc
	s_cbranch_execz .LBB886_195
; %bb.194:
	v_and_b32_e32 v56, 7, v38
	v_ffbh_u32_e32 v58, v56
	v_min_u32_e32 v61, 32, v58
	v_subrev_u32_e32 v58, 28, v61
	v_lshlrev_b64 v[58:59], v58, v[38:39]
	v_lshrrev_b32_e32 v60, 3, v57
	v_sub_u32_e32 v38, 29, v61
	v_and_b32_e32 v58, 7, v58
	v_cmp_gt_u32_e32 vcc, 8, v57
	v_mov_b32_e32 v57, 24
	v_cndmask_b32_e32 v38, v60, v38, vcc
	v_cndmask_b32_e32 v56, v56, v58, vcc
	v_lshlrev_b32_sdwa v57, v57, v41 dst_sel:DWORD dst_unused:UNUSED_PAD src0_sel:DWORD src1_sel:WORD_1
	v_bfrev_b32_e32 v58, 60
	v_lshlrev_b32_e32 v56, 20, v56
	v_and_b32_e32 v57, 0x80000000, v57
	v_lshl_add_u32 v38, v38, 23, v58
	v_or3_b32 v38, v57, v38, v56
	v_lshrrev_b32_e32 v56, 16, v38
.LBB886_195:
	s_or_b64 exec, exec, s[10:11]
.LBB886_196:
	s_or_b64 exec, exec, s[8:9]
.LBB886_197:
	s_or_b64 exec, exec, s[2:3]
	s_mov_b32 s2, 0xffffff
	v_cmp_lt_u32_e32 vcc, s2, v41
	s_and_saveexec_b64 s[2:3], vcc
	s_cbranch_execz .LBB886_203
; %bb.198:
	v_lshrrev_b32_e32 v38, 24, v41
	s_movk_i32 s8, 0x80
	v_cmp_ne_u32_e32 vcc, s8, v38
	v_mov_b32_e32 v55, 0xffff8000
	s_and_saveexec_b64 s[8:9], vcc
	s_cbranch_execz .LBB886_202
; %bb.199:
	v_bfe_u32 v41, v41, 24, 7
	s_movk_i32 s10, 0x7f
	v_cmp_ne_u32_e32 vcc, s10, v41
	v_mov_b32_e32 v55, 0x7f80
	s_and_saveexec_b64 s[10:11], vcc
	s_cbranch_execz .LBB886_201
; %bb.200:
	v_and_b32_e32 v55, 7, v38
	v_ffbh_u32_e32 v58, v55
	v_min_u32_e32 v60, 32, v58
	v_subrev_u32_e32 v58, 28, v60
	v_lshlrev_b64 v[58:59], v58, v[38:39]
	v_lshrrev_b32_e32 v57, 3, v41
	v_sub_u32_e32 v59, 29, v60
	v_and_b32_e32 v58, 7, v58
	v_cmp_gt_u32_e32 vcc, 8, v41
	v_cndmask_b32_e32 v41, v57, v59, vcc
	v_cndmask_b32_e32 v55, v55, v58, vcc
	v_lshlrev_b32_e32 v38, 24, v38
	v_bfrev_b32_e32 v57, 60
	v_lshlrev_b32_e32 v55, 20, v55
	v_and_b32_e32 v38, 0x80000000, v38
	v_lshl_add_u32 v41, v41, 23, v57
	v_or3_b32 v38, v38, v41, v55
	v_lshrrev_b32_e32 v55, 16, v38
.LBB886_201:
	s_or_b64 exec, exec, s[10:11]
.LBB886_202:
	s_or_b64 exec, exec, s[8:9]
.LBB886_203:
	s_or_b64 exec, exec, s[2:3]
	s_mov_b32 s2, 0x5040100
	v_perm_b32 v53, v52, v53, s2
	v_perm_b32 v52, v39, v51, s2
	;; [unrolled: 1-line block ×4, first 2 shown]
	v_mfma_f32_16x16x16bf16_1k v[58:61], v[52:53], v[18:19], v[42:45]
	s_nop 6
	v_mov_b32_e32 v43, 0
	s_waitcnt vmcnt(5)
	v_cmp_ne_u16_sdwa s[8:9], v34, v43 src0_sel:BYTE_0 src1_sel:DWORD
	v_mfma_f32_16x16x16bf16_1k v[38:41], v[38:39], v[20:21], v[58:61]
	v_mov_b32_e32 v44, 0
	s_and_saveexec_b64 s[2:3], s[8:9]
	s_cbranch_execz .LBB886_209
; %bb.204:
	s_movk_i32 s8, 0x80
	v_cmp_ne_u16_sdwa s[10:11], v34, s8 src0_sel:BYTE_0 src1_sel:DWORD
	v_mov_b32_e32 v44, 0xffff8000
	s_and_saveexec_b64 s[8:9], s[10:11]
	s_cbranch_execz .LBB886_208
; %bb.205:
	s_movk_i32 s10, 0x7f
	v_and_b32_e32 v42, 0x7f, v34
	v_cmp_ne_u32_e32 vcc, s10, v42
	v_mov_b32_e32 v44, 0x7f80
	s_and_saveexec_b64 s[10:11], vcc
	s_cbranch_execz .LBB886_207
; %bb.206:
	v_and_b32_e32 v51, 7, v34
	v_ffbh_u32_e32 v44, v51
	v_min_u32_e32 v53, 32, v44
	v_subrev_u32_e32 v44, 28, v53
	v_lshlrev_b64 v[44:45], v44, v[34:35]
	v_lshrrev_b32_e32 v52, 3, v42
	v_sub_u32_e32 v45, 29, v53
	v_and_b32_e32 v44, 7, v44
	v_cmp_gt_u32_e32 vcc, 8, v42
	v_cndmask_b32_e32 v42, v52, v45, vcc
	v_cndmask_b32_e32 v44, v51, v44, vcc
	v_lshlrev_b32_e32 v45, 24, v34
	v_bfrev_b32_e32 v51, 60
	v_lshlrev_b32_e32 v44, 20, v44
	v_and_b32_e32 v45, 0x80000000, v45
	v_lshl_add_u32 v42, v42, 23, v51
	v_or3_b32 v42, v45, v42, v44
	v_lshrrev_b32_e32 v44, 16, v42
.LBB886_207:
	s_or_b64 exec, exec, s[10:11]
.LBB886_208:
	s_or_b64 exec, exec, s[8:9]
.LBB886_209:
	s_or_b64 exec, exec, s[2:3]
	v_lshrrev_b16_e32 v42, 8, v34
	v_cmp_ne_u16_e32 vcc, 0, v42
	s_and_saveexec_b64 s[2:3], vcc
	s_cbranch_execz .LBB886_215
; %bb.210:
	s_movk_i32 s8, 0x80
	v_cmp_ne_u16_e32 vcc, s8, v42
	v_mov_b32_e32 v43, 0xffff8000
	s_and_saveexec_b64 s[8:9], vcc
	s_cbranch_execz .LBB886_214
; %bb.211:
	s_movk_i32 s10, 0x7f
	v_and_b32_e32 v45, 0x7f, v42
	v_cmp_ne_u32_e32 vcc, s10, v45
	v_mov_b32_e32 v43, 0x7f80
	s_and_saveexec_b64 s[10:11], vcc
	s_cbranch_execz .LBB886_213
; %bb.212:
	v_and_b32_e32 v51, 7, v42
	v_ffbh_u32_e32 v43, v51
	v_min_u32_e32 v53, 32, v43
	v_subrev_u32_e32 v43, 28, v53
	v_lshlrev_b64 v[42:43], v43, v[42:43]
	v_lshrrev_b32_e32 v52, 3, v45
	v_sub_u32_e32 v43, 29, v53
	v_and_b32_e32 v42, 7, v42
	v_cmp_gt_u32_e32 vcc, 8, v45
	v_cndmask_b32_e32 v43, v52, v43, vcc
	v_cndmask_b32_e32 v42, v51, v42, vcc
	v_lshlrev_b32_e32 v45, 16, v34
	v_bfrev_b32_e32 v51, 60
	v_lshlrev_b32_e32 v42, 20, v42
	v_and_b32_e32 v45, 0x80000000, v45
	v_lshl_add_u32 v43, v43, 23, v51
	v_or3_b32 v42, v45, v43, v42
	v_lshrrev_b32_e32 v43, 16, v42
.LBB886_213:
	s_or_b64 exec, exec, s[10:11]
.LBB886_214:
	s_or_b64 exec, exec, s[8:9]
.LBB886_215:
	s_or_b64 exec, exec, s[2:3]
	s_movk_i32 s2, 0xff
	v_and_b32_sdwa v52, v34, s2 dst_sel:DWORD dst_unused:UNUSED_PAD src0_sel:WORD_1 src1_sel:DWORD
	v_lshrrev_b32_e32 v42, 16, v34
	v_cmp_ne_u16_e32 vcc, 0, v52
	v_mov_b32_e32 v45, 0
	v_mov_b32_e32 v51, 0
	s_and_saveexec_b64 s[2:3], vcc
	s_cbranch_execz .LBB886_221
; %bb.216:
	s_movk_i32 s8, 0x80
	v_cmp_ne_u16_e32 vcc, s8, v52
	v_mov_b32_e32 v51, 0xffff8000
	s_and_saveexec_b64 s[8:9], vcc
	s_cbranch_execz .LBB886_220
; %bb.217:
	v_bfe_u32 v52, v34, 16, 7
	s_movk_i32 s10, 0x7f
	v_cmp_ne_u32_e32 vcc, s10, v52
	v_mov_b32_e32 v51, 0x7f80
	s_and_saveexec_b64 s[10:11], vcc
	s_cbranch_execz .LBB886_219
; %bb.218:
	v_and_b32_e32 v51, 7, v42
	v_ffbh_u32_e32 v54, v51
	v_min_u32_e32 v56, 32, v54
	v_subrev_u32_e32 v54, 28, v56
	v_lshlrev_b64 v[54:55], v54, v[42:43]
	v_lshrrev_b32_e32 v53, 3, v52
	v_sub_u32_e32 v42, 29, v56
	v_and_b32_e32 v54, 7, v54
	v_cmp_gt_u32_e32 vcc, 8, v52
	v_mov_b32_e32 v52, 24
	v_cndmask_b32_e32 v42, v53, v42, vcc
	v_cndmask_b32_e32 v51, v51, v54, vcc
	v_lshlrev_b32_sdwa v52, v52, v34 dst_sel:DWORD dst_unused:UNUSED_PAD src0_sel:DWORD src1_sel:WORD_1
	v_bfrev_b32_e32 v53, 60
	v_lshlrev_b32_e32 v51, 20, v51
	v_and_b32_e32 v52, 0x80000000, v52
	v_lshl_add_u32 v42, v42, 23, v53
	v_or3_b32 v42, v52, v42, v51
	v_lshrrev_b32_e32 v51, 16, v42
.LBB886_219:
	s_or_b64 exec, exec, s[10:11]
.LBB886_220:
	s_or_b64 exec, exec, s[8:9]
.LBB886_221:
	s_or_b64 exec, exec, s[2:3]
	s_mov_b32 s2, 0xffffff
	v_cmp_lt_u32_e32 vcc, s2, v34
	s_and_saveexec_b64 s[2:3], vcc
	s_cbranch_execz .LBB886_227
; %bb.222:
	v_lshrrev_b32_e32 v42, 24, v34
	s_movk_i32 s8, 0x80
	v_cmp_ne_u32_e32 vcc, s8, v42
	v_mov_b32_e32 v45, 0xffff8000
	s_and_saveexec_b64 s[8:9], vcc
	s_cbranch_execz .LBB886_226
; %bb.223:
	v_bfe_u32 v34, v34, 24, 7
	s_movk_i32 s10, 0x7f
	v_cmp_ne_u32_e32 vcc, s10, v34
	v_mov_b32_e32 v45, 0x7f80
	s_and_saveexec_b64 s[10:11], vcc
	s_cbranch_execz .LBB886_225
; %bb.224:
	v_and_b32_e32 v45, 7, v42
	v_ffbh_u32_e32 v52, v45
	v_min_u32_e32 v55, 32, v52
	v_subrev_u32_e32 v52, 28, v55
	v_lshlrev_b64 v[52:53], v52, v[42:43]
	v_lshrrev_b32_e32 v54, 3, v34
	v_sub_u32_e32 v53, 29, v55
	v_and_b32_e32 v52, 7, v52
	v_cmp_gt_u32_e32 vcc, 8, v34
	v_cndmask_b32_e32 v34, v54, v53, vcc
	v_cndmask_b32_e32 v45, v45, v52, vcc
	v_lshlrev_b32_e32 v42, 24, v42
	v_bfrev_b32_e32 v52, 60
	v_lshlrev_b32_e32 v45, 20, v45
	v_and_b32_e32 v42, 0x80000000, v42
	v_lshl_add_u32 v34, v34, 23, v52
	v_or3_b32 v34, v42, v34, v45
	v_lshrrev_b32_e32 v45, 16, v34
.LBB886_225:
	s_or_b64 exec, exec, s[10:11]
.LBB886_226:
	s_or_b64 exec, exec, s[8:9]
.LBB886_227:
	s_or_b64 exec, exec, s[2:3]
	v_mov_b32_e32 v42, 0
	v_cmp_ne_u16_sdwa s[8:9], v35, v42 src0_sel:BYTE_0 src1_sel:DWORD
	v_mov_b32_e32 v52, 0
	s_and_saveexec_b64 s[2:3], s[8:9]
	s_cbranch_execz .LBB886_233
; %bb.228:
	s_movk_i32 s8, 0x80
	v_cmp_ne_u16_sdwa s[10:11], v35, s8 src0_sel:BYTE_0 src1_sel:DWORD
	v_mov_b32_e32 v52, 0xffff8000
	s_and_saveexec_b64 s[8:9], s[10:11]
	s_cbranch_execz .LBB886_232
; %bb.229:
	s_movk_i32 s10, 0x7f
	v_and_b32_e32 v34, 0x7f, v35
	v_cmp_ne_u32_e32 vcc, s10, v34
	v_mov_b32_e32 v52, 0x7f80
	s_and_saveexec_b64 s[10:11], vcc
	s_cbranch_execz .LBB886_231
; %bb.230:
	v_and_b32_e32 v54, 7, v35
	v_ffbh_u32_e32 v53, v54
	v_min_u32_e32 v56, 32, v53
	v_mov_b32_e32 v52, v35
	v_subrev_u32_e32 v53, 28, v56
	v_lshlrev_b64 v[52:53], v53, v[52:53]
	v_lshrrev_b32_e32 v55, 3, v34
	v_sub_u32_e32 v53, 29, v56
	v_and_b32_e32 v52, 7, v52
	v_cmp_gt_u32_e32 vcc, 8, v34
	v_cndmask_b32_e32 v34, v55, v53, vcc
	v_cndmask_b32_e32 v52, v54, v52, vcc
	v_lshlrev_b32_e32 v53, 24, v35
	v_bfrev_b32_e32 v54, 60
	v_lshlrev_b32_e32 v52, 20, v52
	v_and_b32_e32 v53, 0x80000000, v53
	v_lshl_add_u32 v34, v34, 23, v54
	v_or3_b32 v34, v53, v34, v52
	v_lshrrev_b32_e32 v52, 16, v34
.LBB886_231:
	s_or_b64 exec, exec, s[10:11]
.LBB886_232:
	s_or_b64 exec, exec, s[8:9]
.LBB886_233:
	s_or_b64 exec, exec, s[2:3]
	v_lshrrev_b16_e32 v34, 8, v35
	v_cmp_ne_u16_e32 vcc, 0, v34
	s_and_saveexec_b64 s[2:3], vcc
	s_cbranch_execz .LBB886_239
; %bb.234:
	s_movk_i32 s8, 0x80
	v_cmp_ne_u16_e32 vcc, s8, v34
	v_mov_b32_e32 v42, 0xffff8000
	s_and_saveexec_b64 s[8:9], vcc
	s_cbranch_execz .LBB886_238
; %bb.235:
	s_movk_i32 s10, 0x7f
	v_and_b32_e32 v53, 0x7f, v34
	v_cmp_ne_u32_e32 vcc, s10, v53
	v_mov_b32_e32 v42, 0x7f80
	s_and_saveexec_b64 s[10:11], vcc
	s_cbranch_execz .LBB886_237
; %bb.236:
	v_and_b32_e32 v42, 7, v34
	v_ffbh_u32_e32 v54, v42
	v_min_u32_e32 v57, 32, v54
	v_subrev_u32_e32 v54, 28, v57
	v_lshlrev_b64 v[54:55], v54, v[34:35]
	v_lshrrev_b32_e32 v56, 3, v53
	v_sub_u32_e32 v34, 29, v57
	v_and_b32_e32 v54, 7, v54
	v_cmp_gt_u32_e32 vcc, 8, v53
	v_cndmask_b32_e32 v34, v56, v34, vcc
	v_cndmask_b32_e32 v42, v42, v54, vcc
	v_lshlrev_b32_e32 v53, 16, v35
	v_bfrev_b32_e32 v54, 60
	v_lshlrev_b32_e32 v42, 20, v42
	v_and_b32_e32 v53, 0x80000000, v53
	v_lshl_add_u32 v34, v34, 23, v54
	v_or3_b32 v34, v53, v34, v42
	v_lshrrev_b32_e32 v42, 16, v34
.LBB886_237:
	s_or_b64 exec, exec, s[10:11]
.LBB886_238:
	s_or_b64 exec, exec, s[8:9]
.LBB886_239:
	s_or_b64 exec, exec, s[2:3]
	s_movk_i32 s2, 0xff
	v_and_b32_sdwa v55, v35, s2 dst_sel:DWORD dst_unused:UNUSED_PAD src0_sel:WORD_1 src1_sel:DWORD
	v_lshrrev_b32_e32 v34, 16, v35
	v_cmp_ne_u16_e32 vcc, 0, v55
	v_mov_b32_e32 v53, 0
	v_mov_b32_e32 v54, 0
	s_and_saveexec_b64 s[2:3], vcc
	s_cbranch_execz .LBB886_245
; %bb.240:
	s_movk_i32 s8, 0x80
	v_cmp_ne_u16_e32 vcc, s8, v55
	v_mov_b32_e32 v54, 0xffff8000
	s_and_saveexec_b64 s[8:9], vcc
	s_cbranch_execz .LBB886_244
; %bb.241:
	v_bfe_u32 v55, v35, 16, 7
	s_movk_i32 s10, 0x7f
	v_cmp_ne_u32_e32 vcc, s10, v55
	v_mov_b32_e32 v54, 0x7f80
	s_and_saveexec_b64 s[10:11], vcc
	s_cbranch_execz .LBB886_243
; %bb.242:
	v_and_b32_e32 v54, 7, v34
	v_ffbh_u32_e32 v56, v54
	v_min_u32_e32 v59, 32, v56
	v_subrev_u32_e32 v56, 28, v59
	v_lshlrev_b64 v[56:57], v56, v[34:35]
	v_lshrrev_b32_e32 v58, 3, v55
	v_sub_u32_e32 v34, 29, v59
	v_and_b32_e32 v56, 7, v56
	v_cmp_gt_u32_e32 vcc, 8, v55
	v_mov_b32_e32 v55, 24
	v_cndmask_b32_e32 v34, v58, v34, vcc
	v_cndmask_b32_e32 v54, v54, v56, vcc
	v_lshlrev_b32_sdwa v55, v55, v35 dst_sel:DWORD dst_unused:UNUSED_PAD src0_sel:DWORD src1_sel:WORD_1
	v_bfrev_b32_e32 v56, 60
	v_lshlrev_b32_e32 v54, 20, v54
	v_and_b32_e32 v55, 0x80000000, v55
	v_lshl_add_u32 v34, v34, 23, v56
	v_or3_b32 v34, v55, v34, v54
	v_lshrrev_b32_e32 v54, 16, v34
.LBB886_243:
	s_or_b64 exec, exec, s[10:11]
.LBB886_244:
	s_or_b64 exec, exec, s[8:9]
.LBB886_245:
	s_or_b64 exec, exec, s[2:3]
	s_mov_b32 s2, 0xffffff
	v_cmp_lt_u32_e32 vcc, s2, v35
	s_and_saveexec_b64 s[2:3], vcc
	s_cbranch_execz .LBB886_251
; %bb.246:
	v_lshrrev_b32_e32 v34, 24, v35
	s_movk_i32 s8, 0x80
	v_cmp_ne_u32_e32 vcc, s8, v34
	v_mov_b32_e32 v53, 0xffff8000
	s_and_saveexec_b64 s[8:9], vcc
	s_cbranch_execz .LBB886_250
; %bb.247:
	v_bfe_u32 v35, v35, 24, 7
	s_movk_i32 s10, 0x7f
	v_cmp_ne_u32_e32 vcc, s10, v35
	v_mov_b32_e32 v53, 0x7f80
	s_and_saveexec_b64 s[10:11], vcc
	s_cbranch_execz .LBB886_249
; %bb.248:
	v_and_b32_e32 v53, 7, v34
	v_ffbh_u32_e32 v56, v53
	v_min_u32_e32 v58, 32, v56
	v_subrev_u32_e32 v56, 28, v58
	v_lshlrev_b64 v[56:57], v56, v[34:35]
	v_lshrrev_b32_e32 v55, 3, v35
	v_sub_u32_e32 v57, 29, v58
	v_and_b32_e32 v56, 7, v56
	v_cmp_gt_u32_e32 vcc, 8, v35
	v_cndmask_b32_e32 v35, v55, v57, vcc
	v_cndmask_b32_e32 v53, v53, v56, vcc
	v_lshlrev_b32_e32 v34, 24, v34
	v_bfrev_b32_e32 v55, 60
	v_lshlrev_b32_e32 v53, 20, v53
	v_and_b32_e32 v34, 0x80000000, v34
	v_lshl_add_u32 v35, v35, 23, v55
	v_or3_b32 v34, v34, v35, v53
	v_lshrrev_b32_e32 v53, 16, v34
.LBB886_249:
	s_or_b64 exec, exec, s[10:11]
.LBB886_250:
	s_or_b64 exec, exec, s[8:9]
.LBB886_251:
	s_or_b64 exec, exec, s[2:3]
	s_mov_b32 s2, 0x5040100
	v_perm_b32 v35, v45, v51, s2
	v_perm_b32 v34, v43, v44, s2
	;; [unrolled: 1-line block ×4, first 2 shown]
	v_mov_b32_e32 v51, 0
	v_mfma_f32_16x16x16bf16_1k v[56:59], v[34:35], v[26:27], 0
	v_mov_b32_e32 v35, 0
	v_cmp_ne_u16_sdwa s[8:9], v36, v35 src0_sel:BYTE_0 src1_sel:DWORD
	v_mfma_f32_16x16x16bf16_1k v[42:45], v[42:43], v[28:29], v[56:59]
	s_and_saveexec_b64 s[2:3], s[8:9]
	s_cbranch_execz .LBB886_257
; %bb.252:
	s_movk_i32 s8, 0x80
	v_cmp_ne_u16_sdwa s[10:11], v36, s8 src0_sel:BYTE_0 src1_sel:DWORD
	v_mov_b32_e32 v51, 0xffff8000
	s_and_saveexec_b64 s[8:9], s[10:11]
	s_cbranch_execz .LBB886_256
; %bb.253:
	s_movk_i32 s10, 0x7f
	v_and_b32_e32 v34, 0x7f, v36
	v_cmp_ne_u32_e32 vcc, s10, v34
	v_mov_b32_e32 v51, 0x7f80
	s_and_saveexec_b64 s[10:11], vcc
	s_cbranch_execz .LBB886_255
; %bb.254:
	v_and_b32_e32 v51, 7, v36
	v_ffbh_u32_e32 v52, v51
	v_min_u32_e32 v55, 32, v52
	v_subrev_u32_e32 v52, 28, v55
	v_lshlrev_b64 v[52:53], v52, v[36:37]
	v_lshrrev_b32_e32 v54, 3, v34
	v_sub_u32_e32 v53, 29, v55
	v_and_b32_e32 v52, 7, v52
	v_cmp_gt_u32_e32 vcc, 8, v34
	v_cndmask_b32_e32 v34, v54, v53, vcc
	v_cndmask_b32_e32 v51, v51, v52, vcc
	v_lshlrev_b32_e32 v52, 24, v36
	v_bfrev_b32_e32 v53, 60
	v_lshlrev_b32_e32 v51, 20, v51
	v_and_b32_e32 v52, 0x80000000, v52
	v_lshl_add_u32 v34, v34, 23, v53
	v_or3_b32 v34, v52, v34, v51
	v_lshrrev_b32_e32 v51, 16, v34
.LBB886_255:
	s_or_b64 exec, exec, s[10:11]
.LBB886_256:
	s_or_b64 exec, exec, s[8:9]
.LBB886_257:
	s_or_b64 exec, exec, s[2:3]
	v_lshrrev_b16_e32 v34, 8, v36
	v_cmp_ne_u16_e32 vcc, 0, v34
	s_and_saveexec_b64 s[2:3], vcc
	s_cbranch_execz .LBB886_263
; %bb.258:
	s_movk_i32 s8, 0x80
	v_cmp_ne_u16_e32 vcc, s8, v34
	v_mov_b32_e32 v35, 0xffff8000
	s_and_saveexec_b64 s[8:9], vcc
	s_cbranch_execz .LBB886_262
; %bb.259:
	s_movk_i32 s10, 0x7f
	v_and_b32_e32 v52, 0x7f, v34
	v_cmp_ne_u32_e32 vcc, s10, v52
	v_mov_b32_e32 v35, 0x7f80
	s_and_saveexec_b64 s[10:11], vcc
	s_cbranch_execz .LBB886_261
; %bb.260:
	v_and_b32_e32 v53, 7, v34
	v_ffbh_u32_e32 v35, v53
	v_min_u32_e32 v55, 32, v35
	v_subrev_u32_e32 v35, 28, v55
	v_lshlrev_b64 v[34:35], v35, v[34:35]
	v_lshrrev_b32_e32 v54, 3, v52
	v_sub_u32_e32 v35, 29, v55
	v_and_b32_e32 v34, 7, v34
	v_cmp_gt_u32_e32 vcc, 8, v52
	v_cndmask_b32_e32 v35, v54, v35, vcc
	v_cndmask_b32_e32 v34, v53, v34, vcc
	v_lshlrev_b32_e32 v52, 16, v36
	v_bfrev_b32_e32 v53, 60
	v_lshlrev_b32_e32 v34, 20, v34
	v_and_b32_e32 v52, 0x80000000, v52
	v_lshl_add_u32 v35, v35, 23, v53
	v_or3_b32 v34, v52, v35, v34
	v_lshrrev_b32_e32 v35, 16, v34
.LBB886_261:
	s_or_b64 exec, exec, s[10:11]
.LBB886_262:
	s_or_b64 exec, exec, s[8:9]
.LBB886_263:
	s_or_b64 exec, exec, s[2:3]
	s_movk_i32 s2, 0xff
	v_and_b32_sdwa v54, v36, s2 dst_sel:DWORD dst_unused:UNUSED_PAD src0_sel:WORD_1 src1_sel:DWORD
	v_lshrrev_b32_e32 v34, 16, v36
	v_cmp_ne_u16_e32 vcc, 0, v54
	v_mov_b32_e32 v52, 0
	v_mov_b32_e32 v53, 0
	s_and_saveexec_b64 s[2:3], vcc
	s_cbranch_execz .LBB886_269
; %bb.264:
	s_movk_i32 s8, 0x80
	v_cmp_ne_u16_e32 vcc, s8, v54
	v_mov_b32_e32 v53, 0xffff8000
	s_and_saveexec_b64 s[8:9], vcc
	s_cbranch_execz .LBB886_268
; %bb.265:
	v_bfe_u32 v54, v36, 16, 7
	s_movk_i32 s10, 0x7f
	v_cmp_ne_u32_e32 vcc, s10, v54
	v_mov_b32_e32 v53, 0x7f80
	s_and_saveexec_b64 s[10:11], vcc
	s_cbranch_execz .LBB886_267
; %bb.266:
	v_and_b32_e32 v53, 7, v34
	v_ffbh_u32_e32 v56, v53
	v_min_u32_e32 v58, 32, v56
	v_subrev_u32_e32 v56, 28, v58
	v_lshlrev_b64 v[56:57], v56, v[34:35]
	v_lshrrev_b32_e32 v55, 3, v54
	v_sub_u32_e32 v34, 29, v58
	v_and_b32_e32 v56, 7, v56
	v_cmp_gt_u32_e32 vcc, 8, v54
	v_mov_b32_e32 v54, 24
	v_cndmask_b32_e32 v34, v55, v34, vcc
	v_cndmask_b32_e32 v53, v53, v56, vcc
	v_lshlrev_b32_sdwa v54, v54, v36 dst_sel:DWORD dst_unused:UNUSED_PAD src0_sel:DWORD src1_sel:WORD_1
	v_bfrev_b32_e32 v55, 60
	v_lshlrev_b32_e32 v53, 20, v53
	v_and_b32_e32 v54, 0x80000000, v54
	v_lshl_add_u32 v34, v34, 23, v55
	v_or3_b32 v34, v54, v34, v53
	v_lshrrev_b32_e32 v53, 16, v34
.LBB886_267:
	s_or_b64 exec, exec, s[10:11]
.LBB886_268:
	s_or_b64 exec, exec, s[8:9]
.LBB886_269:
	s_or_b64 exec, exec, s[2:3]
	s_mov_b32 s2, 0xffffff
	v_cmp_lt_u32_e32 vcc, s2, v36
	s_and_saveexec_b64 s[2:3], vcc
	s_cbranch_execz .LBB886_275
; %bb.270:
	v_lshrrev_b32_e32 v34, 24, v36
	s_movk_i32 s8, 0x80
	v_cmp_ne_u32_e32 vcc, s8, v34
	v_mov_b32_e32 v52, 0xffff8000
	s_and_saveexec_b64 s[8:9], vcc
	s_cbranch_execz .LBB886_274
; %bb.271:
	v_bfe_u32 v36, v36, 24, 7
	s_movk_i32 s10, 0x7f
	v_cmp_ne_u32_e32 vcc, s10, v36
	v_mov_b32_e32 v52, 0x7f80
	s_and_saveexec_b64 s[10:11], vcc
	s_cbranch_execz .LBB886_273
; %bb.272:
	v_and_b32_e32 v52, 7, v34
	v_ffbh_u32_e32 v54, v52
	v_min_u32_e32 v57, 32, v54
	v_subrev_u32_e32 v54, 28, v57
	v_lshlrev_b64 v[54:55], v54, v[34:35]
	v_lshrrev_b32_e32 v56, 3, v36
	v_sub_u32_e32 v55, 29, v57
	v_and_b32_e32 v54, 7, v54
	v_cmp_gt_u32_e32 vcc, 8, v36
	v_cndmask_b32_e32 v36, v56, v55, vcc
	v_cndmask_b32_e32 v52, v52, v54, vcc
	v_lshlrev_b32_e32 v34, 24, v34
	v_bfrev_b32_e32 v54, 60
	v_lshlrev_b32_e32 v52, 20, v52
	v_and_b32_e32 v34, 0x80000000, v34
	v_lshl_add_u32 v36, v36, 23, v54
	v_or3_b32 v34, v34, v36, v52
	v_lshrrev_b32_e32 v52, 16, v34
.LBB886_273:
	s_or_b64 exec, exec, s[10:11]
.LBB886_274:
	s_or_b64 exec, exec, s[8:9]
.LBB886_275:
	s_or_b64 exec, exec, s[2:3]
	v_mov_b32_e32 v36, 0
	v_cmp_ne_u16_sdwa s[8:9], v37, v36 src0_sel:BYTE_0 src1_sel:DWORD
	v_mov_b32_e32 v54, 0
	s_and_saveexec_b64 s[2:3], s[8:9]
	s_cbranch_execz .LBB886_281
; %bb.276:
	s_movk_i32 s8, 0x80
	v_cmp_ne_u16_sdwa s[10:11], v37, s8 src0_sel:BYTE_0 src1_sel:DWORD
	v_mov_b32_e32 v54, 0xffff8000
	s_and_saveexec_b64 s[8:9], s[10:11]
	s_cbranch_execz .LBB886_280
; %bb.277:
	s_movk_i32 s10, 0x7f
	v_and_b32_e32 v34, 0x7f, v37
	v_cmp_ne_u32_e32 vcc, s10, v34
	v_mov_b32_e32 v54, 0x7f80
	s_and_saveexec_b64 s[10:11], vcc
	s_cbranch_execz .LBB886_279
; %bb.278:
	v_and_b32_e32 v56, 7, v37
	v_ffbh_u32_e32 v55, v56
	v_min_u32_e32 v58, 32, v55
	v_mov_b32_e32 v54, v37
	v_subrev_u32_e32 v55, 28, v58
	v_lshlrev_b64 v[54:55], v55, v[54:55]
	v_lshrrev_b32_e32 v57, 3, v34
	v_sub_u32_e32 v55, 29, v58
	v_and_b32_e32 v54, 7, v54
	v_cmp_gt_u32_e32 vcc, 8, v34
	v_cndmask_b32_e32 v34, v57, v55, vcc
	v_cndmask_b32_e32 v54, v56, v54, vcc
	v_lshlrev_b32_e32 v55, 24, v37
	v_bfrev_b32_e32 v56, 60
	v_lshlrev_b32_e32 v54, 20, v54
	v_and_b32_e32 v55, 0x80000000, v55
	v_lshl_add_u32 v34, v34, 23, v56
	v_or3_b32 v34, v55, v34, v54
	v_lshrrev_b32_e32 v54, 16, v34
.LBB886_279:
	s_or_b64 exec, exec, s[10:11]
.LBB886_280:
	s_or_b64 exec, exec, s[8:9]
.LBB886_281:
	s_or_b64 exec, exec, s[2:3]
	v_lshrrev_b16_e32 v34, 8, v37
	v_cmp_ne_u16_e32 vcc, 0, v34
	s_and_saveexec_b64 s[2:3], vcc
	s_cbranch_execz .LBB886_287
; %bb.282:
	s_movk_i32 s8, 0x80
	v_cmp_ne_u16_e32 vcc, s8, v34
	v_mov_b32_e32 v36, 0xffff8000
	s_and_saveexec_b64 s[8:9], vcc
	s_cbranch_execz .LBB886_286
; %bb.283:
	s_movk_i32 s10, 0x7f
	v_and_b32_e32 v55, 0x7f, v34
	v_cmp_ne_u32_e32 vcc, s10, v55
	v_mov_b32_e32 v36, 0x7f80
	s_and_saveexec_b64 s[10:11], vcc
	s_cbranch_execz .LBB886_285
; %bb.284:
	v_and_b32_e32 v36, 7, v34
	v_ffbh_u32_e32 v56, v36
	v_min_u32_e32 v59, 32, v56
	v_subrev_u32_e32 v56, 28, v59
	v_lshlrev_b64 v[56:57], v56, v[34:35]
	v_lshrrev_b32_e32 v58, 3, v55
	v_sub_u32_e32 v34, 29, v59
	v_and_b32_e32 v56, 7, v56
	v_cmp_gt_u32_e32 vcc, 8, v55
	v_cndmask_b32_e32 v34, v58, v34, vcc
	v_cndmask_b32_e32 v36, v36, v56, vcc
	v_lshlrev_b32_e32 v55, 16, v37
	v_bfrev_b32_e32 v56, 60
	v_lshlrev_b32_e32 v36, 20, v36
	v_and_b32_e32 v55, 0x80000000, v55
	v_lshl_add_u32 v34, v34, 23, v56
	v_or3_b32 v34, v55, v34, v36
	v_lshrrev_b32_e32 v36, 16, v34
.LBB886_285:
	s_or_b64 exec, exec, s[10:11]
.LBB886_286:
	s_or_b64 exec, exec, s[8:9]
.LBB886_287:
	s_or_b64 exec, exec, s[2:3]
	s_movk_i32 s2, 0xff
	v_and_b32_sdwa v57, v37, s2 dst_sel:DWORD dst_unused:UNUSED_PAD src0_sel:WORD_1 src1_sel:DWORD
	v_lshrrev_b32_e32 v34, 16, v37
	v_cmp_ne_u16_e32 vcc, 0, v57
	v_mov_b32_e32 v55, 0
	v_mov_b32_e32 v56, 0
	s_and_saveexec_b64 s[2:3], vcc
	s_cbranch_execz .LBB886_293
; %bb.288:
	s_movk_i32 s8, 0x80
	v_cmp_ne_u16_e32 vcc, s8, v57
	v_mov_b32_e32 v56, 0xffff8000
	s_and_saveexec_b64 s[8:9], vcc
	s_cbranch_execz .LBB886_292
; %bb.289:
	v_bfe_u32 v57, v37, 16, 7
	s_movk_i32 s10, 0x7f
	v_cmp_ne_u32_e32 vcc, s10, v57
	v_mov_b32_e32 v56, 0x7f80
	s_and_saveexec_b64 s[10:11], vcc
	s_cbranch_execz .LBB886_291
; %bb.290:
	v_and_b32_e32 v56, 7, v34
	v_ffbh_u32_e32 v58, v56
	v_min_u32_e32 v61, 32, v58
	v_subrev_u32_e32 v58, 28, v61
	v_lshlrev_b64 v[58:59], v58, v[34:35]
	v_lshrrev_b32_e32 v60, 3, v57
	v_sub_u32_e32 v34, 29, v61
	v_and_b32_e32 v58, 7, v58
	v_cmp_gt_u32_e32 vcc, 8, v57
	v_mov_b32_e32 v57, 24
	v_cndmask_b32_e32 v34, v60, v34, vcc
	v_cndmask_b32_e32 v56, v56, v58, vcc
	v_lshlrev_b32_sdwa v57, v57, v37 dst_sel:DWORD dst_unused:UNUSED_PAD src0_sel:DWORD src1_sel:WORD_1
	v_bfrev_b32_e32 v58, 60
	v_lshlrev_b32_e32 v56, 20, v56
	v_and_b32_e32 v57, 0x80000000, v57
	v_lshl_add_u32 v34, v34, 23, v58
	v_or3_b32 v34, v57, v34, v56
	v_lshrrev_b32_e32 v56, 16, v34
.LBB886_291:
	s_or_b64 exec, exec, s[10:11]
.LBB886_292:
	s_or_b64 exec, exec, s[8:9]
.LBB886_293:
	s_or_b64 exec, exec, s[2:3]
	s_mov_b32 s2, 0xffffff
	v_cmp_lt_u32_e32 vcc, s2, v37
	s_and_saveexec_b64 s[2:3], vcc
	s_cbranch_execz .LBB886_299
; %bb.294:
	v_lshrrev_b32_e32 v34, 24, v37
	s_movk_i32 s8, 0x80
	v_cmp_ne_u32_e32 vcc, s8, v34
	v_mov_b32_e32 v55, 0xffff8000
	s_and_saveexec_b64 s[8:9], vcc
	s_cbranch_execz .LBB886_298
; %bb.295:
	v_bfe_u32 v37, v37, 24, 7
	s_movk_i32 s10, 0x7f
	v_cmp_ne_u32_e32 vcc, s10, v37
	v_mov_b32_e32 v55, 0x7f80
	s_and_saveexec_b64 s[10:11], vcc
	s_cbranch_execz .LBB886_297
; %bb.296:
	v_and_b32_e32 v55, 7, v34
	v_ffbh_u32_e32 v58, v55
	v_min_u32_e32 v60, 32, v58
	v_subrev_u32_e32 v58, 28, v60
	v_lshlrev_b64 v[58:59], v58, v[34:35]
	v_lshrrev_b32_e32 v57, 3, v37
	v_sub_u32_e32 v59, 29, v60
	v_and_b32_e32 v58, 7, v58
	v_cmp_gt_u32_e32 vcc, 8, v37
	v_cndmask_b32_e32 v37, v57, v59, vcc
	v_cndmask_b32_e32 v55, v55, v58, vcc
	v_lshlrev_b32_e32 v34, 24, v34
	v_bfrev_b32_e32 v57, 60
	v_lshlrev_b32_e32 v55, 20, v55
	v_and_b32_e32 v34, 0x80000000, v34
	v_lshl_add_u32 v37, v37, 23, v57
	v_or3_b32 v34, v34, v37, v55
	v_lshrrev_b32_e32 v55, 16, v34
.LBB886_297:
	s_or_b64 exec, exec, s[10:11]
.LBB886_298:
	s_or_b64 exec, exec, s[8:9]
.LBB886_299:
	s_or_b64 exec, exec, s[2:3]
	s_mov_b32 s2, 0x5040100
	v_perm_b32 v53, v52, v53, s2
	v_perm_b32 v52, v35, v51, s2
	;; [unrolled: 1-line block ×4, first 2 shown]
	v_mfma_f32_16x16x16bf16_1k v[58:61], v[52:53], v[18:19], v[42:45]
	s_nop 6
	v_mov_b32_e32 v43, 0
	s_waitcnt vmcnt(4)
	v_cmp_ne_u16_sdwa s[8:9], v22, v43 src0_sel:BYTE_0 src1_sel:DWORD
	v_mfma_f32_16x16x16bf16_1k v[34:37], v[34:35], v[20:21], v[58:61]
	v_mov_b32_e32 v44, 0
	s_and_saveexec_b64 s[2:3], s[8:9]
	s_cbranch_execz .LBB886_305
; %bb.300:
	s_movk_i32 s8, 0x80
	v_cmp_ne_u16_sdwa s[10:11], v22, s8 src0_sel:BYTE_0 src1_sel:DWORD
	v_mov_b32_e32 v44, 0xffff8000
	s_and_saveexec_b64 s[8:9], s[10:11]
	s_cbranch_execz .LBB886_304
; %bb.301:
	s_movk_i32 s10, 0x7f
	v_and_b32_e32 v42, 0x7f, v22
	v_cmp_ne_u32_e32 vcc, s10, v42
	v_mov_b32_e32 v44, 0x7f80
	s_and_saveexec_b64 s[10:11], vcc
	s_cbranch_execz .LBB886_303
; %bb.302:
	v_and_b32_e32 v51, 7, v22
	v_ffbh_u32_e32 v44, v51
	v_min_u32_e32 v53, 32, v44
	v_subrev_u32_e32 v44, 28, v53
	v_lshlrev_b64 v[44:45], v44, v[22:23]
	v_lshrrev_b32_e32 v52, 3, v42
	v_sub_u32_e32 v45, 29, v53
	v_and_b32_e32 v44, 7, v44
	v_cmp_gt_u32_e32 vcc, 8, v42
	v_cndmask_b32_e32 v42, v52, v45, vcc
	v_cndmask_b32_e32 v44, v51, v44, vcc
	v_lshlrev_b32_e32 v45, 24, v22
	v_bfrev_b32_e32 v51, 60
	v_lshlrev_b32_e32 v44, 20, v44
	v_and_b32_e32 v45, 0x80000000, v45
	v_lshl_add_u32 v42, v42, 23, v51
	v_or3_b32 v42, v45, v42, v44
	v_lshrrev_b32_e32 v44, 16, v42
.LBB886_303:
	s_or_b64 exec, exec, s[10:11]
.LBB886_304:
	s_or_b64 exec, exec, s[8:9]
.LBB886_305:
	s_or_b64 exec, exec, s[2:3]
	v_lshrrev_b16_e32 v42, 8, v22
	v_cmp_ne_u16_e32 vcc, 0, v42
	s_and_saveexec_b64 s[2:3], vcc
	s_cbranch_execz .LBB886_311
; %bb.306:
	s_movk_i32 s8, 0x80
	v_cmp_ne_u16_e32 vcc, s8, v42
	v_mov_b32_e32 v43, 0xffff8000
	s_and_saveexec_b64 s[8:9], vcc
	s_cbranch_execz .LBB886_310
; %bb.307:
	s_movk_i32 s10, 0x7f
	v_and_b32_e32 v45, 0x7f, v42
	v_cmp_ne_u32_e32 vcc, s10, v45
	v_mov_b32_e32 v43, 0x7f80
	s_and_saveexec_b64 s[10:11], vcc
	s_cbranch_execz .LBB886_309
; %bb.308:
	v_and_b32_e32 v51, 7, v42
	v_ffbh_u32_e32 v43, v51
	v_min_u32_e32 v53, 32, v43
	v_subrev_u32_e32 v43, 28, v53
	v_lshlrev_b64 v[42:43], v43, v[42:43]
	v_lshrrev_b32_e32 v52, 3, v45
	v_sub_u32_e32 v43, 29, v53
	v_and_b32_e32 v42, 7, v42
	v_cmp_gt_u32_e32 vcc, 8, v45
	v_cndmask_b32_e32 v43, v52, v43, vcc
	v_cndmask_b32_e32 v42, v51, v42, vcc
	v_lshlrev_b32_e32 v45, 16, v22
	v_bfrev_b32_e32 v51, 60
	v_lshlrev_b32_e32 v42, 20, v42
	v_and_b32_e32 v45, 0x80000000, v45
	v_lshl_add_u32 v43, v43, 23, v51
	v_or3_b32 v42, v45, v43, v42
	v_lshrrev_b32_e32 v43, 16, v42
.LBB886_309:
	s_or_b64 exec, exec, s[10:11]
.LBB886_310:
	s_or_b64 exec, exec, s[8:9]
.LBB886_311:
	s_or_b64 exec, exec, s[2:3]
	s_movk_i32 s2, 0xff
	v_and_b32_sdwa v52, v22, s2 dst_sel:DWORD dst_unused:UNUSED_PAD src0_sel:WORD_1 src1_sel:DWORD
	v_lshrrev_b32_e32 v42, 16, v22
	v_cmp_ne_u16_e32 vcc, 0, v52
	v_mov_b32_e32 v45, 0
	v_mov_b32_e32 v51, 0
	s_and_saveexec_b64 s[2:3], vcc
	s_cbranch_execz .LBB886_317
; %bb.312:
	s_movk_i32 s8, 0x80
	v_cmp_ne_u16_e32 vcc, s8, v52
	v_mov_b32_e32 v51, 0xffff8000
	s_and_saveexec_b64 s[8:9], vcc
	s_cbranch_execz .LBB886_316
; %bb.313:
	v_bfe_u32 v52, v22, 16, 7
	s_movk_i32 s10, 0x7f
	v_cmp_ne_u32_e32 vcc, s10, v52
	v_mov_b32_e32 v51, 0x7f80
	s_and_saveexec_b64 s[10:11], vcc
	s_cbranch_execz .LBB886_315
; %bb.314:
	v_and_b32_e32 v51, 7, v42
	v_ffbh_u32_e32 v54, v51
	v_min_u32_e32 v56, 32, v54
	v_subrev_u32_e32 v54, 28, v56
	v_lshlrev_b64 v[54:55], v54, v[42:43]
	v_lshrrev_b32_e32 v53, 3, v52
	v_sub_u32_e32 v42, 29, v56
	v_and_b32_e32 v54, 7, v54
	v_cmp_gt_u32_e32 vcc, 8, v52
	v_mov_b32_e32 v52, 24
	v_cndmask_b32_e32 v42, v53, v42, vcc
	v_cndmask_b32_e32 v51, v51, v54, vcc
	v_lshlrev_b32_sdwa v52, v52, v22 dst_sel:DWORD dst_unused:UNUSED_PAD src0_sel:DWORD src1_sel:WORD_1
	v_bfrev_b32_e32 v53, 60
	v_lshlrev_b32_e32 v51, 20, v51
	v_and_b32_e32 v52, 0x80000000, v52
	v_lshl_add_u32 v42, v42, 23, v53
	v_or3_b32 v42, v52, v42, v51
	v_lshrrev_b32_e32 v51, 16, v42
.LBB886_315:
	s_or_b64 exec, exec, s[10:11]
.LBB886_316:
	s_or_b64 exec, exec, s[8:9]
.LBB886_317:
	s_or_b64 exec, exec, s[2:3]
	s_mov_b32 s2, 0xffffff
	v_cmp_lt_u32_e32 vcc, s2, v22
	s_and_saveexec_b64 s[2:3], vcc
	s_cbranch_execz .LBB886_323
; %bb.318:
	v_lshrrev_b32_e32 v42, 24, v22
	s_movk_i32 s8, 0x80
	v_cmp_ne_u32_e32 vcc, s8, v42
	v_mov_b32_e32 v45, 0xffff8000
	s_and_saveexec_b64 s[8:9], vcc
	s_cbranch_execz .LBB886_322
; %bb.319:
	v_bfe_u32 v22, v22, 24, 7
	s_movk_i32 s10, 0x7f
	v_cmp_ne_u32_e32 vcc, s10, v22
	v_mov_b32_e32 v45, 0x7f80
	s_and_saveexec_b64 s[10:11], vcc
	s_cbranch_execz .LBB886_321
; %bb.320:
	v_and_b32_e32 v45, 7, v42
	v_ffbh_u32_e32 v52, v45
	v_min_u32_e32 v55, 32, v52
	v_subrev_u32_e32 v52, 28, v55
	v_lshlrev_b64 v[52:53], v52, v[42:43]
	v_lshrrev_b32_e32 v54, 3, v22
	v_sub_u32_e32 v53, 29, v55
	v_and_b32_e32 v52, 7, v52
	v_cmp_gt_u32_e32 vcc, 8, v22
	v_cndmask_b32_e32 v22, v54, v53, vcc
	v_cndmask_b32_e32 v45, v45, v52, vcc
	v_lshlrev_b32_e32 v42, 24, v42
	v_bfrev_b32_e32 v52, 60
	v_lshlrev_b32_e32 v45, 20, v45
	v_and_b32_e32 v42, 0x80000000, v42
	v_lshl_add_u32 v22, v22, 23, v52
	v_or3_b32 v22, v42, v22, v45
	v_lshrrev_b32_e32 v45, 16, v22
.LBB886_321:
	s_or_b64 exec, exec, s[10:11]
.LBB886_322:
	s_or_b64 exec, exec, s[8:9]
.LBB886_323:
	s_or_b64 exec, exec, s[2:3]
	v_mov_b32_e32 v42, 0
	v_cmp_ne_u16_sdwa s[8:9], v23, v42 src0_sel:BYTE_0 src1_sel:DWORD
	v_mov_b32_e32 v52, 0
	s_and_saveexec_b64 s[2:3], s[8:9]
	s_cbranch_execz .LBB886_329
; %bb.324:
	s_movk_i32 s8, 0x80
	v_cmp_ne_u16_sdwa s[10:11], v23, s8 src0_sel:BYTE_0 src1_sel:DWORD
	v_mov_b32_e32 v52, 0xffff8000
	s_and_saveexec_b64 s[8:9], s[10:11]
	s_cbranch_execz .LBB886_328
; %bb.325:
	s_movk_i32 s10, 0x7f
	v_and_b32_e32 v22, 0x7f, v23
	v_cmp_ne_u32_e32 vcc, s10, v22
	v_mov_b32_e32 v52, 0x7f80
	s_and_saveexec_b64 s[10:11], vcc
	s_cbranch_execz .LBB886_327
; %bb.326:
	v_and_b32_e32 v54, 7, v23
	v_ffbh_u32_e32 v53, v54
	v_min_u32_e32 v56, 32, v53
	v_mov_b32_e32 v52, v23
	v_subrev_u32_e32 v53, 28, v56
	v_lshlrev_b64 v[52:53], v53, v[52:53]
	v_lshrrev_b32_e32 v55, 3, v22
	v_sub_u32_e32 v53, 29, v56
	v_and_b32_e32 v52, 7, v52
	v_cmp_gt_u32_e32 vcc, 8, v22
	v_cndmask_b32_e32 v22, v55, v53, vcc
	v_cndmask_b32_e32 v52, v54, v52, vcc
	v_lshlrev_b32_e32 v53, 24, v23
	v_bfrev_b32_e32 v54, 60
	v_lshlrev_b32_e32 v52, 20, v52
	v_and_b32_e32 v53, 0x80000000, v53
	v_lshl_add_u32 v22, v22, 23, v54
	v_or3_b32 v22, v53, v22, v52
	v_lshrrev_b32_e32 v52, 16, v22
.LBB886_327:
	s_or_b64 exec, exec, s[10:11]
.LBB886_328:
	s_or_b64 exec, exec, s[8:9]
.LBB886_329:
	s_or_b64 exec, exec, s[2:3]
	v_lshrrev_b16_e32 v22, 8, v23
	v_cmp_ne_u16_e32 vcc, 0, v22
	s_and_saveexec_b64 s[2:3], vcc
	s_cbranch_execz .LBB886_335
; %bb.330:
	s_movk_i32 s8, 0x80
	v_cmp_ne_u16_e32 vcc, s8, v22
	v_mov_b32_e32 v42, 0xffff8000
	s_and_saveexec_b64 s[8:9], vcc
	s_cbranch_execz .LBB886_334
; %bb.331:
	s_movk_i32 s10, 0x7f
	v_and_b32_e32 v53, 0x7f, v22
	v_cmp_ne_u32_e32 vcc, s10, v53
	v_mov_b32_e32 v42, 0x7f80
	s_and_saveexec_b64 s[10:11], vcc
	s_cbranch_execz .LBB886_333
; %bb.332:
	v_and_b32_e32 v42, 7, v22
	v_ffbh_u32_e32 v54, v42
	v_min_u32_e32 v57, 32, v54
	v_subrev_u32_e32 v54, 28, v57
	v_lshlrev_b64 v[54:55], v54, v[22:23]
	v_lshrrev_b32_e32 v56, 3, v53
	v_sub_u32_e32 v22, 29, v57
	v_and_b32_e32 v54, 7, v54
	v_cmp_gt_u32_e32 vcc, 8, v53
	v_cndmask_b32_e32 v22, v56, v22, vcc
	v_cndmask_b32_e32 v42, v42, v54, vcc
	v_lshlrev_b32_e32 v53, 16, v23
	v_bfrev_b32_e32 v54, 60
	v_lshlrev_b32_e32 v42, 20, v42
	v_and_b32_e32 v53, 0x80000000, v53
	v_lshl_add_u32 v22, v22, 23, v54
	v_or3_b32 v22, v53, v22, v42
	v_lshrrev_b32_e32 v42, 16, v22
.LBB886_333:
	s_or_b64 exec, exec, s[10:11]
.LBB886_334:
	s_or_b64 exec, exec, s[8:9]
.LBB886_335:
	s_or_b64 exec, exec, s[2:3]
	s_movk_i32 s2, 0xff
	v_and_b32_sdwa v55, v23, s2 dst_sel:DWORD dst_unused:UNUSED_PAD src0_sel:WORD_1 src1_sel:DWORD
	v_lshrrev_b32_e32 v22, 16, v23
	v_cmp_ne_u16_e32 vcc, 0, v55
	v_mov_b32_e32 v53, 0
	v_mov_b32_e32 v54, 0
	s_and_saveexec_b64 s[2:3], vcc
	s_cbranch_execz .LBB886_341
; %bb.336:
	s_movk_i32 s8, 0x80
	v_cmp_ne_u16_e32 vcc, s8, v55
	v_mov_b32_e32 v54, 0xffff8000
	s_and_saveexec_b64 s[8:9], vcc
	s_cbranch_execz .LBB886_340
; %bb.337:
	v_bfe_u32 v55, v23, 16, 7
	s_movk_i32 s10, 0x7f
	v_cmp_ne_u32_e32 vcc, s10, v55
	v_mov_b32_e32 v54, 0x7f80
	s_and_saveexec_b64 s[10:11], vcc
	s_cbranch_execz .LBB886_339
; %bb.338:
	v_and_b32_e32 v54, 7, v22
	v_ffbh_u32_e32 v56, v54
	v_min_u32_e32 v59, 32, v56
	v_subrev_u32_e32 v56, 28, v59
	v_lshlrev_b64 v[56:57], v56, v[22:23]
	v_lshrrev_b32_e32 v58, 3, v55
	v_sub_u32_e32 v22, 29, v59
	v_and_b32_e32 v56, 7, v56
	v_cmp_gt_u32_e32 vcc, 8, v55
	v_mov_b32_e32 v55, 24
	v_cndmask_b32_e32 v22, v58, v22, vcc
	v_cndmask_b32_e32 v54, v54, v56, vcc
	v_lshlrev_b32_sdwa v55, v55, v23 dst_sel:DWORD dst_unused:UNUSED_PAD src0_sel:DWORD src1_sel:WORD_1
	v_bfrev_b32_e32 v56, 60
	v_lshlrev_b32_e32 v54, 20, v54
	v_and_b32_e32 v55, 0x80000000, v55
	v_lshl_add_u32 v22, v22, 23, v56
	v_or3_b32 v22, v55, v22, v54
	v_lshrrev_b32_e32 v54, 16, v22
.LBB886_339:
	s_or_b64 exec, exec, s[10:11]
.LBB886_340:
	s_or_b64 exec, exec, s[8:9]
.LBB886_341:
	s_or_b64 exec, exec, s[2:3]
	s_mov_b32 s2, 0xffffff
	v_cmp_lt_u32_e32 vcc, s2, v23
	s_and_saveexec_b64 s[2:3], vcc
	s_cbranch_execz .LBB886_347
; %bb.342:
	v_lshrrev_b32_e32 v22, 24, v23
	s_movk_i32 s8, 0x80
	v_cmp_ne_u32_e32 vcc, s8, v22
	v_mov_b32_e32 v53, 0xffff8000
	s_and_saveexec_b64 s[8:9], vcc
	s_cbranch_execz .LBB886_346
; %bb.343:
	v_bfe_u32 v23, v23, 24, 7
	s_movk_i32 s10, 0x7f
	v_cmp_ne_u32_e32 vcc, s10, v23
	v_mov_b32_e32 v53, 0x7f80
	s_and_saveexec_b64 s[10:11], vcc
	s_cbranch_execz .LBB886_345
; %bb.344:
	v_and_b32_e32 v53, 7, v22
	v_ffbh_u32_e32 v56, v53
	v_min_u32_e32 v58, 32, v56
	v_subrev_u32_e32 v56, 28, v58
	v_lshlrev_b64 v[56:57], v56, v[22:23]
	v_lshrrev_b32_e32 v55, 3, v23
	v_sub_u32_e32 v57, 29, v58
	v_and_b32_e32 v56, 7, v56
	v_cmp_gt_u32_e32 vcc, 8, v23
	v_cndmask_b32_e32 v23, v55, v57, vcc
	v_cndmask_b32_e32 v53, v53, v56, vcc
	v_lshlrev_b32_e32 v22, 24, v22
	v_bfrev_b32_e32 v55, 60
	v_lshlrev_b32_e32 v53, 20, v53
	v_and_b32_e32 v22, 0x80000000, v22
	v_lshl_add_u32 v23, v23, 23, v55
	v_or3_b32 v22, v22, v23, v53
	v_lshrrev_b32_e32 v53, 16, v22
.LBB886_345:
	s_or_b64 exec, exec, s[10:11]
.LBB886_346:
	s_or_b64 exec, exec, s[8:9]
.LBB886_347:
	s_or_b64 exec, exec, s[2:3]
	s_mov_b32 s2, 0x5040100
	v_perm_b32 v23, v45, v51, s2
	v_perm_b32 v22, v43, v44, s2
	s_nop 1
	v_mfma_f32_16x16x16bf16_1k v[56:59], v[22:23], v[26:27], 0
	v_perm_b32 v27, v53, v54, s2
	v_perm_b32 v26, v42, v52, s2
	v_mov_b32_e32 v23, 0
	v_cmp_ne_u16_sdwa s[8:9], v24, v23 src0_sel:BYTE_0 src1_sel:DWORD
	v_mov_b32_e32 v42, 0
	v_mfma_f32_16x16x16bf16_1k v[26:29], v[26:27], v[28:29], v[56:59]
	s_and_saveexec_b64 s[2:3], s[8:9]
	s_cbranch_execz .LBB886_353
; %bb.348:
	s_movk_i32 s8, 0x80
	v_cmp_ne_u16_sdwa s[10:11], v24, s8 src0_sel:BYTE_0 src1_sel:DWORD
	v_mov_b32_e32 v42, 0xffff8000
	s_and_saveexec_b64 s[8:9], s[10:11]
	s_cbranch_execz .LBB886_352
; %bb.349:
	s_movk_i32 s10, 0x7f
	v_and_b32_e32 v22, 0x7f, v24
	v_cmp_ne_u32_e32 vcc, s10, v22
	v_mov_b32_e32 v42, 0x7f80
	s_and_saveexec_b64 s[10:11], vcc
	s_cbranch_execz .LBB886_351
; %bb.350:
	v_and_b32_e32 v44, 7, v24
	v_ffbh_u32_e32 v42, v44
	v_min_u32_e32 v51, 32, v42
	v_subrev_u32_e32 v42, 28, v51
	v_lshlrev_b64 v[42:43], v42, v[24:25]
	v_lshrrev_b32_e32 v45, 3, v22
	v_sub_u32_e32 v43, 29, v51
	v_and_b32_e32 v42, 7, v42
	v_cmp_gt_u32_e32 vcc, 8, v22
	v_cndmask_b32_e32 v22, v45, v43, vcc
	v_cndmask_b32_e32 v42, v44, v42, vcc
	v_lshlrev_b32_e32 v43, 24, v24
	v_bfrev_b32_e32 v44, 60
	v_lshlrev_b32_e32 v42, 20, v42
	v_and_b32_e32 v43, 0x80000000, v43
	v_lshl_add_u32 v22, v22, 23, v44
	v_or3_b32 v22, v43, v22, v42
	v_lshrrev_b32_e32 v42, 16, v22
.LBB886_351:
	s_or_b64 exec, exec, s[10:11]
.LBB886_352:
	s_or_b64 exec, exec, s[8:9]
.LBB886_353:
	s_or_b64 exec, exec, s[2:3]
	v_lshrrev_b16_e32 v22, 8, v24
	v_cmp_ne_u16_e32 vcc, 0, v22
	s_and_saveexec_b64 s[2:3], vcc
	s_cbranch_execz .LBB886_359
; %bb.354:
	s_movk_i32 s8, 0x80
	v_cmp_ne_u16_e32 vcc, s8, v22
	v_mov_b32_e32 v23, 0xffff8000
	s_and_saveexec_b64 s[8:9], vcc
	s_cbranch_execz .LBB886_358
; %bb.355:
	s_movk_i32 s10, 0x7f
	v_and_b32_e32 v43, 0x7f, v22
	v_cmp_ne_u32_e32 vcc, s10, v43
	v_mov_b32_e32 v23, 0x7f80
	s_and_saveexec_b64 s[10:11], vcc
	s_cbranch_execz .LBB886_357
; %bb.356:
	v_and_b32_e32 v44, 7, v22
	v_ffbh_u32_e32 v23, v44
	v_min_u32_e32 v51, 32, v23
	v_subrev_u32_e32 v23, 28, v51
	v_lshlrev_b64 v[22:23], v23, v[22:23]
	v_lshrrev_b32_e32 v45, 3, v43
	v_sub_u32_e32 v23, 29, v51
	v_and_b32_e32 v22, 7, v22
	v_cmp_gt_u32_e32 vcc, 8, v43
	v_cndmask_b32_e32 v23, v45, v23, vcc
	v_cndmask_b32_e32 v22, v44, v22, vcc
	v_lshlrev_b32_e32 v43, 16, v24
	v_bfrev_b32_e32 v44, 60
	v_lshlrev_b32_e32 v22, 20, v22
	v_and_b32_e32 v43, 0x80000000, v43
	v_lshl_add_u32 v23, v23, 23, v44
	v_or3_b32 v22, v43, v23, v22
	v_lshrrev_b32_e32 v23, 16, v22
.LBB886_357:
	s_or_b64 exec, exec, s[10:11]
.LBB886_358:
	s_or_b64 exec, exec, s[8:9]
.LBB886_359:
	s_or_b64 exec, exec, s[2:3]
	s_movk_i32 s2, 0xff
	v_and_b32_sdwa v45, v24, s2 dst_sel:DWORD dst_unused:UNUSED_PAD src0_sel:WORD_1 src1_sel:DWORD
	v_lshrrev_b32_e32 v22, 16, v24
	v_cmp_ne_u16_e32 vcc, 0, v45
	v_mov_b32_e32 v43, 0
	v_mov_b32_e32 v44, 0
	s_and_saveexec_b64 s[2:3], vcc
	s_cbranch_execz .LBB886_365
; %bb.360:
	s_movk_i32 s8, 0x80
	v_cmp_ne_u16_e32 vcc, s8, v45
	v_mov_b32_e32 v44, 0xffff8000
	s_and_saveexec_b64 s[8:9], vcc
	s_cbranch_execz .LBB886_364
; %bb.361:
	v_bfe_u32 v45, v24, 16, 7
	s_movk_i32 s10, 0x7f
	v_cmp_ne_u32_e32 vcc, s10, v45
	v_mov_b32_e32 v44, 0x7f80
	s_and_saveexec_b64 s[10:11], vcc
	s_cbranch_execz .LBB886_363
; %bb.362:
	v_and_b32_e32 v44, 7, v22
	v_ffbh_u32_e32 v52, v44
	v_min_u32_e32 v54, 32, v52
	v_subrev_u32_e32 v52, 28, v54
	v_lshlrev_b64 v[52:53], v52, v[22:23]
	v_lshrrev_b32_e32 v51, 3, v45
	v_sub_u32_e32 v22, 29, v54
	v_and_b32_e32 v52, 7, v52
	v_cmp_gt_u32_e32 vcc, 8, v45
	v_mov_b32_e32 v45, 24
	v_cndmask_b32_e32 v22, v51, v22, vcc
	v_cndmask_b32_e32 v44, v44, v52, vcc
	v_lshlrev_b32_sdwa v45, v45, v24 dst_sel:DWORD dst_unused:UNUSED_PAD src0_sel:DWORD src1_sel:WORD_1
	v_bfrev_b32_e32 v51, 60
	v_lshlrev_b32_e32 v44, 20, v44
	v_and_b32_e32 v45, 0x80000000, v45
	v_lshl_add_u32 v22, v22, 23, v51
	v_or3_b32 v22, v45, v22, v44
	v_lshrrev_b32_e32 v44, 16, v22
.LBB886_363:
	s_or_b64 exec, exec, s[10:11]
.LBB886_364:
	s_or_b64 exec, exec, s[8:9]
.LBB886_365:
	s_or_b64 exec, exec, s[2:3]
	s_mov_b32 s2, 0xffffff
	v_cmp_lt_u32_e32 vcc, s2, v24
	s_and_saveexec_b64 s[2:3], vcc
	s_cbranch_execz .LBB886_371
; %bb.366:
	v_lshrrev_b32_e32 v22, 24, v24
	s_movk_i32 s8, 0x80
	v_cmp_ne_u32_e32 vcc, s8, v22
	v_mov_b32_e32 v43, 0xffff8000
	s_and_saveexec_b64 s[8:9], vcc
	s_cbranch_execz .LBB886_370
; %bb.367:
	v_bfe_u32 v24, v24, 24, 7
	s_movk_i32 s10, 0x7f
	v_cmp_ne_u32_e32 vcc, s10, v24
	v_mov_b32_e32 v43, 0x7f80
	s_and_saveexec_b64 s[10:11], vcc
	s_cbranch_execz .LBB886_369
; %bb.368:
	v_and_b32_e32 v43, 7, v22
	v_ffbh_u32_e32 v51, v43
	v_min_u32_e32 v51, 32, v51
	v_subrev_u32_e32 v52, 28, v51
	v_lshlrev_b64 v[52:53], v52, v[22:23]
	v_lshrrev_b32_e32 v45, 3, v24
	v_sub_u32_e32 v51, 29, v51
	v_and_b32_e32 v52, 7, v52
	v_cmp_gt_u32_e32 vcc, 8, v24
	v_cndmask_b32_e32 v24, v45, v51, vcc
	v_cndmask_b32_e32 v43, v43, v52, vcc
	v_lshlrev_b32_e32 v22, 24, v22
	v_bfrev_b32_e32 v45, 60
	v_lshlrev_b32_e32 v43, 20, v43
	v_and_b32_e32 v22, 0x80000000, v22
	v_lshl_add_u32 v24, v24, 23, v45
	v_or3_b32 v22, v22, v24, v43
	v_lshrrev_b32_e32 v43, 16, v22
.LBB886_369:
	s_or_b64 exec, exec, s[10:11]
.LBB886_370:
	s_or_b64 exec, exec, s[8:9]
.LBB886_371:
	s_or_b64 exec, exec, s[2:3]
	v_mov_b32_e32 v24, 0
	v_cmp_ne_u16_sdwa s[8:9], v25, v24 src0_sel:BYTE_0 src1_sel:DWORD
	v_mov_b32_e32 v51, 0
	s_and_saveexec_b64 s[2:3], s[8:9]
	s_cbranch_execz .LBB886_377
; %bb.372:
	s_movk_i32 s8, 0x80
	v_cmp_ne_u16_sdwa s[10:11], v25, s8 src0_sel:BYTE_0 src1_sel:DWORD
	v_mov_b32_e32 v51, 0xffff8000
	s_and_saveexec_b64 s[8:9], s[10:11]
	s_cbranch_execz .LBB886_376
; %bb.373:
	s_movk_i32 s10, 0x7f
	v_and_b32_e32 v22, 0x7f, v25
	v_cmp_ne_u32_e32 vcc, s10, v22
	v_mov_b32_e32 v51, 0x7f80
	s_and_saveexec_b64 s[10:11], vcc
	s_cbranch_execz .LBB886_375
; %bb.374:
	v_and_b32_e32 v45, 7, v25
	v_ffbh_u32_e32 v53, v45
	v_min_u32_e32 v54, 32, v53
	v_mov_b32_e32 v52, v25
	v_subrev_u32_e32 v53, 28, v54
	v_lshlrev_b64 v[52:53], v53, v[52:53]
	v_lshrrev_b32_e32 v51, 3, v22
	v_sub_u32_e32 v53, 29, v54
	v_and_b32_e32 v52, 7, v52
	v_cmp_gt_u32_e32 vcc, 8, v22
	v_cndmask_b32_e32 v22, v51, v53, vcc
	v_cndmask_b32_e32 v45, v45, v52, vcc
	v_lshlrev_b32_e32 v51, 24, v25
	v_bfrev_b32_e32 v52, 60
	v_lshlrev_b32_e32 v45, 20, v45
	v_and_b32_e32 v51, 0x80000000, v51
	v_lshl_add_u32 v22, v22, 23, v52
	v_or3_b32 v22, v51, v22, v45
	v_lshrrev_b32_e32 v51, 16, v22
.LBB886_375:
	s_or_b64 exec, exec, s[10:11]
.LBB886_376:
	s_or_b64 exec, exec, s[8:9]
.LBB886_377:
	s_or_b64 exec, exec, s[2:3]
	v_lshrrev_b16_e32 v22, 8, v25
	v_cmp_ne_u16_e32 vcc, 0, v22
	s_and_saveexec_b64 s[2:3], vcc
	s_cbranch_execz .LBB886_383
; %bb.378:
	s_movk_i32 s8, 0x80
	v_cmp_ne_u16_e32 vcc, s8, v22
	v_mov_b32_e32 v24, 0xffff8000
	s_and_saveexec_b64 s[8:9], vcc
	s_cbranch_execz .LBB886_382
; %bb.379:
	s_movk_i32 s10, 0x7f
	v_and_b32_e32 v45, 0x7f, v22
	v_cmp_ne_u32_e32 vcc, s10, v45
	v_mov_b32_e32 v24, 0x7f80
	s_and_saveexec_b64 s[10:11], vcc
	s_cbranch_execz .LBB886_381
; %bb.380:
	v_and_b32_e32 v24, 7, v22
	v_ffbh_u32_e32 v52, v24
	v_min_u32_e32 v55, 32, v52
	v_subrev_u32_e32 v52, 28, v55
	v_lshlrev_b64 v[52:53], v52, v[22:23]
	v_lshrrev_b32_e32 v54, 3, v45
	v_sub_u32_e32 v22, 29, v55
	v_and_b32_e32 v52, 7, v52
	v_cmp_gt_u32_e32 vcc, 8, v45
	v_cndmask_b32_e32 v22, v54, v22, vcc
	v_cndmask_b32_e32 v24, v24, v52, vcc
	v_lshlrev_b32_e32 v45, 16, v25
	v_bfrev_b32_e32 v52, 60
	v_lshlrev_b32_e32 v24, 20, v24
	v_and_b32_e32 v45, 0x80000000, v45
	v_lshl_add_u32 v22, v22, 23, v52
	v_or3_b32 v22, v45, v22, v24
	v_lshrrev_b32_e32 v24, 16, v22
.LBB886_381:
	s_or_b64 exec, exec, s[10:11]
.LBB886_382:
	s_or_b64 exec, exec, s[8:9]
.LBB886_383:
	s_or_b64 exec, exec, s[2:3]
	s_movk_i32 s2, 0xff
	v_and_b32_sdwa v45, v25, s2 dst_sel:DWORD dst_unused:UNUSED_PAD src0_sel:WORD_1 src1_sel:DWORD
	v_lshrrev_b32_e32 v22, 16, v25
	v_cmp_ne_u16_e32 vcc, 0, v45
	v_mov_b32_e32 v52, 0
	v_mov_b32_e32 v53, 0
	s_and_saveexec_b64 s[2:3], vcc
	s_cbranch_execz .LBB886_389
; %bb.384:
	s_movk_i32 s8, 0x80
	v_cmp_ne_u16_e32 vcc, s8, v45
	v_mov_b32_e32 v53, 0xffff8000
	s_and_saveexec_b64 s[8:9], vcc
	s_cbranch_execz .LBB886_388
; %bb.385:
	v_bfe_u32 v45, v25, 16, 7
	s_movk_i32 s10, 0x7f
	v_cmp_ne_u32_e32 vcc, s10, v45
	v_mov_b32_e32 v53, 0x7f80
	s_and_saveexec_b64 s[10:11], vcc
	s_cbranch_execz .LBB886_387
; %bb.386:
	v_and_b32_e32 v53, 7, v22
	v_ffbh_u32_e32 v54, v53
	v_min_u32_e32 v57, 32, v54
	v_subrev_u32_e32 v54, 28, v57
	v_lshlrev_b64 v[54:55], v54, v[22:23]
	v_and_b32_e32 v54, 7, v54
	v_cmp_gt_u32_e32 vcc, 8, v45
	v_lshrrev_b32_e32 v56, 3, v45
	v_sub_u32_e32 v22, 29, v57
	v_cndmask_b32_e32 v45, v53, v54, vcc
	v_mov_b32_e32 v53, 24
	v_cndmask_b32_e32 v22, v56, v22, vcc
	v_lshlrev_b32_sdwa v53, v53, v25 dst_sel:DWORD dst_unused:UNUSED_PAD src0_sel:DWORD src1_sel:WORD_1
	v_bfrev_b32_e32 v54, 60
	v_lshlrev_b32_e32 v45, 20, v45
	v_and_b32_e32 v53, 0x80000000, v53
	v_lshl_add_u32 v22, v22, 23, v54
	v_or3_b32 v22, v53, v22, v45
	v_lshrrev_b32_e32 v53, 16, v22
.LBB886_387:
	s_or_b64 exec, exec, s[10:11]
.LBB886_388:
	s_or_b64 exec, exec, s[8:9]
.LBB886_389:
	s_or_b64 exec, exec, s[2:3]
	s_mov_b32 s2, 0xffffff
	v_and_b32_e32 v45, 63, v0
	v_cmp_lt_u32_e32 vcc, s2, v25
	s_and_saveexec_b64 s[2:3], vcc
	s_cbranch_execz .LBB886_395
; %bb.390:
	v_lshrrev_b32_e32 v22, 24, v25
	s_movk_i32 s8, 0x80
	v_cmp_ne_u32_e32 vcc, s8, v22
	v_mov_b32_e32 v52, 0xffff8000
	s_and_saveexec_b64 s[8:9], vcc
	s_cbranch_execz .LBB886_394
; %bb.391:
	v_bfe_u32 v25, v25, 24, 7
	s_movk_i32 s10, 0x7f
	v_cmp_ne_u32_e32 vcc, s10, v25
	v_mov_b32_e32 v52, 0x7f80
	s_and_saveexec_b64 s[10:11], vcc
	s_cbranch_execz .LBB886_393
; %bb.392:
	v_and_b32_e32 v52, 7, v22
	v_ffbh_u32_e32 v54, v52
	v_min_u32_e32 v57, 32, v54
	v_subrev_u32_e32 v54, 28, v57
	v_lshlrev_b64 v[54:55], v54, v[22:23]
	v_lshrrev_b32_e32 v56, 3, v25
	v_sub_u32_e32 v55, 29, v57
	v_and_b32_e32 v54, 7, v54
	v_cmp_gt_u32_e32 vcc, 8, v25
	v_cndmask_b32_e32 v25, v56, v55, vcc
	v_cndmask_b32_e32 v52, v52, v54, vcc
	v_lshlrev_b32_e32 v22, 24, v22
	v_bfrev_b32_e32 v54, 60
	v_lshlrev_b32_e32 v52, 20, v52
	v_and_b32_e32 v22, 0x80000000, v22
	v_lshl_add_u32 v25, v25, 23, v54
	v_or3_b32 v22, v22, v25, v52
	v_lshrrev_b32_e32 v52, 16, v22
.LBB886_393:
	s_or_b64 exec, exec, s[10:11]
.LBB886_394:
	s_or_b64 exec, exec, s[8:9]
.LBB886_395:
	s_or_b64 exec, exec, s[2:3]
	s_mov_b32 s3, 0x5040100
	v_perm_b32 v43, v43, v44, s3
	v_perm_b32 v42, v23, v42, s3
	s_load_dword s2, s[4:5], 0x1c
	s_mov_b32 s46, 0xff7fffff
	s_waitcnt lgkmcnt(0)
	v_mfma_f32_16x16x16bf16_1k v[26:29], v[42:43], v[18:19], v[26:29]
	v_perm_b32 v19, v52, v53, s3
	v_perm_b32 v18, v24, v51, s3
	v_and_b32_e32 v24, 0xc0, v0
	v_mov_b32_e32 v22, s2
	v_add_u32_e32 v24, s20, v24
	v_mul_f32_e32 v44, s12, v22
	v_lshl_or_b32 v42, v1, 2, v24
	v_mfma_f32_16x16x16bf16_1k v[18:21], v[18:19], v[20:21], v[26:29]
	v_pk_mul_f32 v[22:23], v[44:45], v[36:37] op_sel_hi:[0,1]
	v_pk_mul_f32 v[36:37], v[44:45], v[40:41] op_sel_hi:[0,1]
	v_pk_mul_f32 v[40:41], v[44:45], v[32:33] op_sel_hi:[0,1]
	v_pk_mul_f32 v[30:31], v[44:45], v[30:31] op_sel_hi:[0,1]
	v_mov_b32_e32 v43, 0xff7fffff
	v_cmp_gt_i32_e64 s[26:27], s33, v42
	v_pk_mul_f32 v[38:39], v[44:45], v[38:39] op_sel_hi:[0,1]
	s_nop 3
	v_pk_mul_f32 v[32:33], v[44:45], v[18:19] op_sel_hi:[0,1]
	v_or_b32_e32 v19, 1, v42
	v_cmp_gt_i32_e64 s[28:29], s33, v19
	v_cndmask_b32_e64 v18, v43, v30, s[26:27]
	v_cndmask_b32_e64 v19, v43, v31, s[28:29]
	v_pk_mul_f32 v[24:25], v[44:45], v[20:21] op_sel_hi:[0,1]
	v_max3_f32 v18, v18, s46, v19
	v_or_b32_e32 v19, 2, v42
	v_or_b32_e32 v20, 3, v42
	v_cmp_gt_i32_e64 s[30:31], s33, v19
	v_cmp_gt_i32_e64 s[34:35], s33, v20
	v_cndmask_b32_e64 v19, v43, v40, s[30:31]
	v_cndmask_b32_e64 v20, v43, v41, s[34:35]
	v_max3_f32 v18, v18, v19, v20
	v_or_b32_e32 v19, 16, v42
	v_or_b32_e32 v20, 17, v42
	v_cmp_gt_i32_e64 s[36:37], s33, v19
	v_cmp_gt_i32_e64 s[38:39], s33, v20
	v_cndmask_b32_e64 v19, v43, v38, s[36:37]
	v_cndmask_b32_e64 v20, v43, v39, s[38:39]
	;; [unrolled: 7-line block ×3, first 2 shown]
	v_max3_f32 v18, v18, v19, v20
	v_or_b32_e32 v19, 32, v42
	v_or_b32_e32 v20, 33, v42
	v_pk_mul_f32 v[34:35], v[44:45], v[34:35] op_sel_hi:[0,1]
	v_cmp_gt_i32_e64 s[16:17], s33, v19
	v_cmp_gt_i32_e64 s[18:19], s33, v20
	v_cndmask_b32_e64 v19, v43, v34, s[16:17]
	v_cndmask_b32_e64 v20, v43, v35, s[18:19]
	v_max3_f32 v18, v18, v19, v20
	v_or_b32_e32 v19, 34, v42
	v_or_b32_e32 v20, 35, v42
	v_cmp_gt_i32_e64 s[12:13], s33, v19
	v_cmp_gt_i32_e64 s[14:15], s33, v20
	v_cndmask_b32_e64 v19, v43, v22, s[12:13]
	v_cndmask_b32_e64 v20, v43, v23, s[14:15]
	v_max3_f32 v18, v18, v19, v20
	v_or_b32_e32 v19, 48, v42
	v_or_b32_e32 v20, 49, v42
	;; [unrolled: 7-line block ×3, first 2 shown]
	v_cmp_gt_i32_e32 vcc, s33, v19
	v_cmp_gt_i32_e64 s[2:3], s33, v20
	v_cndmask_b32_e32 v19, v43, v24, vcc
	v_cndmask_b32_e64 v20, v43, v25, s[2:3]
	v_max3_f32 v18, v18, v19, v20
	v_mbcnt_lo_u32_b32 v19, -1, 0
	v_mbcnt_hi_u32_b32 v19, -1, v19
	v_and_b32_e32 v20, 64, v19
	v_add_u32_e32 v20, 64, v20
	v_xor_b32_e32 v21, 32, v19
	v_cmp_lt_i32_e64 s[40:41], v21, v20
	v_cndmask_b32_e64 v21, v19, v21, s[40:41]
	v_lshlrev_b32_e32 v43, 2, v21
	ds_bpermute_b32 v21, v43, v18
	s_barrier
	s_waitcnt lgkmcnt(0)
	v_max_f32_e32 v21, v21, v21
	v_max_f32_e32 v18, v18, v21
	v_xor_b32_e32 v21, 16, v19
	v_cmp_lt_i32_e64 s[40:41], v21, v20
	v_cndmask_b32_e64 v19, v19, v21, s[40:41]
	v_lshlrev_b32_e32 v44, 2, v19
	ds_bpermute_b32 v19, v44, v18
	s_waitcnt lgkmcnt(0)
	v_max_f32_e32 v19, v19, v19
	v_max_f32_e32 v42, v18, v19
	v_sub_f32_e32 v21, v40, v42
	v_sub_f32_e32 v26, v41, v42
	v_mul_f32_e32 v21, 0x3fb8aa3b, v21
	v_mul_f32_e32 v26, 0x3fb8aa3b, v26
	v_sub_f32_e32 v18, v30, v42
	v_exp_f32_e32 v21, v21
	v_exp_f32_e32 v26, v26
	v_mul_f32_e32 v18, 0x3fb8aa3b, v18
	v_sub_f32_e32 v19, v31, v42
	v_exp_f32_e32 v18, v18
	v_mul_f32_e32 v19, 0x3fb8aa3b, v19
	v_exp_f32_e32 v19, v19
	v_cndmask_b32_e64 v28, 0, v21, s[30:31]
	v_cndmask_b32_e64 v29, 0, v26, s[34:35]
	v_sub_f32_e32 v21, v38, v42
	v_sub_f32_e32 v26, v39, v42
	v_mul_f32_e32 v21, 0x3fb8aa3b, v21
	v_mul_f32_e32 v26, 0x3fb8aa3b, v26
	v_cndmask_b32_e64 v18, 0, v18, s[26:27]
	v_exp_f32_e32 v21, v21
	v_exp_f32_e32 v26, v26
	v_add_f32_e32 v20, 0, v18
	v_cndmask_b32_e64 v19, 0, v19, s[28:29]
	v_add_f32_e32 v20, v20, v19
	v_add_f32_e32 v20, v20, v28
	;; [unrolled: 1-line block ×3, first 2 shown]
	v_cndmask_b32_e64 v20, 0, v21, s[36:37]
	v_cndmask_b32_e64 v21, 0, v26, s[38:39]
	v_sub_f32_e32 v26, v36, v42
	v_mul_f32_e32 v26, 0x3fb8aa3b, v26
	v_exp_f32_e32 v26, v26
	v_sub_f32_e32 v30, v37, v42
	v_add_f32_e32 v27, v27, v20
	v_mul_f32_e32 v30, 0x3fb8aa3b, v30
	v_exp_f32_e32 v31, v30
	v_add_f32_e32 v27, v27, v21
	v_cndmask_b32_e64 v30, 0, v26, s[20:21]
	v_add_f32_e32 v26, v27, v30
	v_sub_f32_e32 v27, v34, v42
	v_mul_f32_e32 v27, 0x3fb8aa3b, v27
	v_sub_f32_e32 v34, v35, v42
	v_exp_f32_e32 v27, v27
	v_mul_f32_e32 v34, 0x3fb8aa3b, v34
	v_sub_f32_e32 v22, v22, v42
	v_exp_f32_e32 v34, v34
	;; [unrolled: 3-line block ×3, first 2 shown]
	v_mul_f32_e32 v23, 0x3fb8aa3b, v23
	v_cndmask_b32_e64 v31, 0, v31, s[22:23]
	v_exp_f32_e32 v23, v23
	v_add_f32_e32 v35, v26, v31
	v_cndmask_b32_e64 v26, 0, v27, s[16:17]
	v_add_f32_e32 v35, v35, v26
	v_cndmask_b32_e64 v27, 0, v34, s[18:19]
	;; [unrolled: 2-line block ×4, first 2 shown]
	v_sub_f32_e32 v23, v32, v42
	v_mul_f32_e32 v23, 0x3fb8aa3b, v23
	v_sub_f32_e32 v32, v33, v42
	v_exp_f32_e32 v23, v23
	v_mul_f32_e32 v32, 0x3fb8aa3b, v32
	v_sub_f32_e32 v24, v24, v42
	v_exp_f32_e32 v32, v32
	;; [unrolled: 3-line block ×3, first 2 shown]
	v_mul_f32_e32 v25, 0x3fb8aa3b, v25
	v_exp_f32_e32 v25, v25
	v_add_f32_e32 v33, v22, v35
	v_cndmask_b32_e64 v22, 0, v23, s[8:9]
	v_add_f32_e32 v33, v33, v22
	v_cndmask_b32_e64 v23, 0, v32, s[10:11]
	v_add_f32_e32 v32, v33, v23
	v_cndmask_b32_e32 v24, 0, v24, vcc
	v_add_f32_e32 v32, v32, v24
	v_cndmask_b32_e64 v25, 0, v25, s[2:3]
	v_add_f32_e32 v32, v32, v25
	ds_bpermute_b32 v33, v43, v32
	v_cmp_gt_u32_e64 s[2:3], 16, v45
	s_waitcnt lgkmcnt(0)
	v_add_f32_e32 v32, v32, v33
	ds_bpermute_b32 v36, v44, v32
	v_lshlrev_b32_e32 v33, 2, v49
	s_and_saveexec_b64 s[8:9], s[2:3]
	s_cbranch_execz .LBB886_397
; %bb.396:
	s_waitcnt lgkmcnt(0)
	v_add_f32_e32 v32, v32, v36
	v_lshl_or_b32 v36, v50, 6, v33
	ds_write2st64_b32 v36, v42, v32 offset1:1
.LBB886_397:
	s_or_b64 exec, exec, s[8:9]
	s_waitcnt lgkmcnt(0)
	s_barrier
	ds_read2_b32 v[36:37], v33 offset1:16
	ds_read2_b32 v[38:39], v33 offset0:32 offset1:48
	ds_read2_b32 v[40:41], v33 offset0:64 offset1:80
	s_mul_i32 s14, s45, 9
	s_waitcnt lgkmcnt(2)
	v_max3_f32 v32, v36, s46, v37
	s_waitcnt lgkmcnt(1)
	v_max3_f32 v32, v32, v38, v39
	v_sub_f32_e32 v36, v36, v32
	v_mul_f32_e32 v36, 0x3fb8aa3b, v36
	v_exp_f32_e32 v42, v36
	v_sub_f32_e32 v36, v37, v32
	v_mul_f32_e32 v36, 0x3fb8aa3b, v36
	v_exp_f32_e32 v43, v36
	;; [unrolled: 3-line block ×3, first 2 shown]
	ds_read2_b32 v[36:37], v33 offset0:96 offset1:112
	v_sub_f32_e32 v33, v39, v32
	v_mul_f32_e32 v33, 0x3fb8aa3b, v33
	v_exp_f32_e32 v39, v33
	s_waitcnt lgkmcnt(1)
	v_fma_f32 v33, v42, v40, 0
	v_fmac_f32_e32 v33, v43, v41
	s_waitcnt lgkmcnt(0)
	v_fmac_f32_e32 v33, v38, v36
	v_fmac_f32_e32 v33, v39, v37
	v_add_f32_e32 v36, 0x358637bd, v33
	v_div_scale_f32 v37, s[8:9], v36, v36, 1.0
	v_rcp_f32_e32 v40, v37
	s_movk_i32 s8, 0x7fff
	s_mov_b32 s9, 0x7060302
	v_fma_f32 v41, -v37, v40, 1.0
	v_fmac_f32_e32 v40, v41, v40
	v_div_scale_f32 v41, vcc, 1.0, v36, 1.0
	v_mul_f32_e32 v44, v41, v40
	v_fma_f32 v45, -v37, v44, v41
	v_fmac_f32_e32 v44, v45, v40
	v_fma_f32 v37, -v37, v44, v41
	v_div_fmas_f32 v37, v37, v40, v44
	v_cmp_eq_u32_e32 vcc, 1, v50
	v_div_fixup_f32 v36, v37, v36, 1.0
	v_cndmask_b32_e32 v37, v42, v43, vcc
	v_cmp_eq_u32_e32 vcc, 2, v50
	v_cndmask_b32_e32 v37, v37, v38, vcc
	v_cmp_eq_u32_e32 vcc, 3, v50
	v_cndmask_b32_e32 v37, v37, v39, vcc
	v_mul_f32_e32 v36, v37, v36
	v_pk_mul_f32 v[18:19], v[36:37], v[18:19] op_sel_hi:[0,1]
	v_pk_mul_f32 v[28:29], v[36:37], v[28:29] op_sel_hi:[0,1]
	v_bfe_u32 v37, v19, 16, 1
	v_bfe_u32 v38, v18, 16, 1
	v_add3_u32 v18, v18, v38, s8
	v_add3_u32 v19, v19, v37, s8
	v_perm_b32 v18, v19, v18, s9
	v_bfe_u32 v19, v29, 16, 1
	v_bfe_u32 v37, v28, 16, 1
	v_add3_u32 v28, v28, v37, s8
	v_add3_u32 v19, v29, v19, s8
	v_perm_b32 v19, v19, v28, s9
	v_lshlrev_b32_e32 v28, 3, v1
	v_lshlrev_b32_e32 v29, 11, v50
	v_pk_mul_f32 v[20:21], v[36:37], v[20:21] op_sel_hi:[0,1]
	v_or3_b32 v28, v29, v48, v28
	v_pk_mul_f32 v[30:31], v[36:37], v[30:31] op_sel_hi:[0,1]
	v_bfe_u32 v29, v21, 16, 1
	v_bfe_u32 v37, v20, 16, 1
	v_add3_u32 v20, v20, v37, s8
	v_add3_u32 v21, v21, v29, s8
	v_perm_b32 v20, v21, v20, s9
	v_bfe_u32 v21, v31, 16, 1
	v_bfe_u32 v29, v30, 16, 1
	v_add3_u32 v29, v30, v29, s8
	v_add3_u32 v21, v31, v21, s8
	v_perm_b32 v21, v21, v29, s9
	s_barrier
	ds_write2st64_b64 v28, v[18:19], v[20:21] offset1:1
	v_pk_mul_f32 v[20:21], v[36:37], v[26:27] op_sel_hi:[0,1]
	v_bfe_u32 v26, v21, 16, 1
	v_bfe_u32 v27, v20, 16, 1
	v_pk_mul_f32 v[18:19], v[36:37], v[34:35] op_sel_hi:[0,1]
	v_add3_u32 v20, v20, v27, s8
	v_add3_u32 v21, v21, v26, s8
	v_perm_b32 v20, v21, v20, s9
	v_bfe_u32 v21, v19, 16, 1
	v_bfe_u32 v26, v18, 16, 1
	v_add3_u32 v18, v18, v26, s8
	v_add3_u32 v19, v19, v21, s8
	v_pk_mul_f32 v[22:23], v[36:37], v[22:23] op_sel_hi:[0,1]
	v_perm_b32 v21, v19, v18, s9
	v_pk_mul_f32 v[18:19], v[36:37], v[24:25] op_sel_hi:[0,1]
	v_bfe_u32 v24, v23, 16, 1
	v_bfe_u32 v25, v22, 16, 1
	v_add3_u32 v22, v22, v25, s8
	v_add3_u32 v23, v23, v24, s8
	v_perm_b32 v22, v23, v22, s9
	v_bfe_u32 v23, v19, 16, 1
	v_bfe_u32 v24, v18, 16, 1
	v_add3_u32 v18, v18, v24, s8
	v_add3_u32 v19, v19, v23, s8
	v_perm_b32 v23, v19, v18, s9
	v_cmp_gt_u32_e32 vcc, 9, v0
	ds_write2st64_b64 v28, v[20:21], v[22:23] offset0:2 offset1:3
	s_and_saveexec_b64 s[8:9], vcc
	s_cbranch_execz .LBB886_399
; %bb.398:
	v_add_co_u32_e32 v20, vcc, s25, v49
	v_addc_co_u32_e64 v21, s[10:11], 0, 0, vcc
	v_mov_b32_e32 v18, s14
	v_mov_b32_e32 v19, 0
	v_mad_u64_u32 v[20:21], s[10:11], s6, v18, v[20:21]
	v_mov_b32_e32 v18, s24
	s_load_dwordx4 s[16:19], s[4:5], 0x58
	s_mul_i32 s7, s7, s14
	v_mad_u64_u32 v[18:19], s[10:11], v20, s44, v[18:19]
	v_add_u32_e32 v21, s7, v21
	v_mov_b32_e32 v20, v19
	v_mad_u64_u32 v[20:21], s[10:11], v21, s44, v[20:21]
	v_mov_b32_e32 v19, v20
	v_lshlrev_b64 v[18:19], 2, v[18:19]
	s_waitcnt lgkmcnt(0)
	v_mov_b32_e32 v21, s19
	v_add_co_u32_e32 v20, vcc, s18, v18
	v_addc_co_u32_e32 v21, vcc, v21, v19, vcc
	global_store_dword v[20:21], v32, off
	v_mov_b32_e32 v20, s17
	v_add_co_u32_e32 v18, vcc, s16, v18
	v_addc_co_u32_e32 v19, vcc, v20, v19, vcc
	global_store_dword v[18:19], v33, off
.LBB886_399:
	s_or_b64 exec, exec, s[8:9]
	v_mov_b32_e32 v19, 0
	s_waitcnt vmcnt(3)
	v_cmp_ne_u16_sdwa s[10:11], v14, v19 src0_sel:BYTE_0 src1_sel:DWORD
	v_mov_b32_e32 v20, 0
	s_waitcnt lgkmcnt(0)
	s_barrier
	s_and_saveexec_b64 s[8:9], s[10:11]
	s_cbranch_execz .LBB886_405
; %bb.400:
	s_movk_i32 s7, 0x80
	v_cmp_ne_u16_sdwa s[12:13], v14, s7 src0_sel:BYTE_0 src1_sel:DWORD
	v_mov_b32_e32 v20, 0xffff8000
	s_and_saveexec_b64 s[10:11], s[12:13]
	s_cbranch_execz .LBB886_404
; %bb.401:
	s_movk_i32 s7, 0x7f
	v_and_b32_e32 v18, 0x7f, v14
	v_cmp_ne_u32_e32 vcc, s7, v18
	v_mov_b32_e32 v20, 0x7f80
	s_and_saveexec_b64 s[12:13], vcc
	s_cbranch_execz .LBB886_403
; %bb.402:
	v_and_b32_e32 v22, 7, v14
	v_ffbh_u32_e32 v20, v22
	v_min_u32_e32 v24, 32, v20
	v_subrev_u32_e32 v20, 28, v24
	v_lshlrev_b64 v[20:21], v20, v[14:15]
	v_lshrrev_b32_e32 v23, 3, v18
	v_sub_u32_e32 v21, 29, v24
	v_and_b32_e32 v20, 7, v20
	v_cmp_gt_u32_e32 vcc, 8, v18
	v_cndmask_b32_e32 v18, v23, v21, vcc
	v_cndmask_b32_e32 v20, v22, v20, vcc
	v_lshlrev_b32_e32 v21, 24, v14
	v_bfrev_b32_e32 v22, 60
	v_lshlrev_b32_e32 v20, 20, v20
	v_and_b32_e32 v21, 0x80000000, v21
	v_lshl_add_u32 v18, v18, 23, v22
	v_or3_b32 v18, v21, v18, v20
	v_lshrrev_b32_e32 v20, 16, v18
.LBB886_403:
	s_or_b64 exec, exec, s[12:13]
.LBB886_404:
	s_or_b64 exec, exec, s[10:11]
.LBB886_405:
	s_or_b64 exec, exec, s[8:9]
	v_lshrrev_b16_e32 v18, 8, v14
	v_cmp_ne_u16_e32 vcc, 0, v18
	s_and_saveexec_b64 s[8:9], vcc
	s_cbranch_execz .LBB886_411
; %bb.406:
	s_movk_i32 s7, 0x80
	v_cmp_ne_u16_e32 vcc, s7, v18
	v_mov_b32_e32 v19, 0xffff8000
	s_and_saveexec_b64 s[10:11], vcc
	s_cbranch_execz .LBB886_410
; %bb.407:
	s_movk_i32 s7, 0x7f
	v_and_b32_e32 v21, 0x7f, v18
	v_cmp_ne_u32_e32 vcc, s7, v21
	v_mov_b32_e32 v19, 0x7f80
	s_and_saveexec_b64 s[12:13], vcc
	s_cbranch_execz .LBB886_409
; %bb.408:
	v_and_b32_e32 v22, 7, v18
	v_ffbh_u32_e32 v19, v22
	v_min_u32_e32 v24, 32, v19
	v_subrev_u32_e32 v19, 28, v24
	v_lshlrev_b64 v[18:19], v19, v[18:19]
	v_lshrrev_b32_e32 v23, 3, v21
	v_sub_u32_e32 v19, 29, v24
	v_and_b32_e32 v18, 7, v18
	v_cmp_gt_u32_e32 vcc, 8, v21
	v_cndmask_b32_e32 v19, v23, v19, vcc
	v_cndmask_b32_e32 v18, v22, v18, vcc
	v_lshlrev_b32_e32 v21, 16, v14
	v_bfrev_b32_e32 v22, 60
	v_lshlrev_b32_e32 v18, 20, v18
	v_and_b32_e32 v21, 0x80000000, v21
	v_lshl_add_u32 v19, v19, 23, v22
	v_or3_b32 v18, v21, v19, v18
	v_lshrrev_b32_e32 v19, 16, v18
.LBB886_409:
	s_or_b64 exec, exec, s[12:13]
.LBB886_410:
	s_or_b64 exec, exec, s[10:11]
.LBB886_411:
	s_or_b64 exec, exec, s[8:9]
	s_movk_i32 s7, 0xff
	v_and_b32_sdwa v23, v14, s7 dst_sel:DWORD dst_unused:UNUSED_PAD src0_sel:WORD_1 src1_sel:DWORD
	v_lshrrev_b32_e32 v18, 16, v14
	v_cmp_ne_u16_e32 vcc, 0, v23
	v_mov_b32_e32 v21, 0
	v_mov_b32_e32 v22, 0
	s_and_saveexec_b64 s[8:9], vcc
	s_cbranch_execz .LBB886_417
; %bb.412:
	s_movk_i32 s7, 0x80
	v_cmp_ne_u16_e32 vcc, s7, v23
	v_mov_b32_e32 v22, 0xffff8000
	s_and_saveexec_b64 s[10:11], vcc
	s_cbranch_execz .LBB886_416
; %bb.413:
	v_bfe_u32 v23, v14, 16, 7
	s_movk_i32 s7, 0x7f
	v_cmp_ne_u32_e32 vcc, s7, v23
	v_mov_b32_e32 v22, 0x7f80
	s_and_saveexec_b64 s[12:13], vcc
	s_cbranch_execz .LBB886_415
; %bb.414:
	v_and_b32_e32 v22, 7, v18
	v_ffbh_u32_e32 v24, v22
	v_min_u32_e32 v27, 32, v24
	v_subrev_u32_e32 v24, 28, v27
	v_lshlrev_b64 v[24:25], v24, v[18:19]
	v_lshrrev_b32_e32 v26, 3, v23
	v_sub_u32_e32 v18, 29, v27
	v_and_b32_e32 v24, 7, v24
	v_cmp_gt_u32_e32 vcc, 8, v23
	v_mov_b32_e32 v23, 24
	v_cndmask_b32_e32 v18, v26, v18, vcc
	v_cndmask_b32_e32 v22, v22, v24, vcc
	v_lshlrev_b32_sdwa v23, v23, v14 dst_sel:DWORD dst_unused:UNUSED_PAD src0_sel:DWORD src1_sel:WORD_1
	v_bfrev_b32_e32 v24, 60
	v_lshlrev_b32_e32 v22, 20, v22
	v_and_b32_e32 v23, 0x80000000, v23
	v_lshl_add_u32 v18, v18, 23, v24
	v_or3_b32 v18, v23, v18, v22
	v_lshrrev_b32_e32 v22, 16, v18
.LBB886_415:
	s_or_b64 exec, exec, s[12:13]
.LBB886_416:
	s_or_b64 exec, exec, s[10:11]
.LBB886_417:
	s_or_b64 exec, exec, s[8:9]
	s_mov_b32 s7, 0xffffff
	v_cmp_lt_u32_e32 vcc, s7, v14
	s_and_saveexec_b64 s[8:9], vcc
	s_cbranch_execz .LBB886_423
; %bb.418:
	v_lshrrev_b32_e32 v18, 24, v14
	s_movk_i32 s7, 0x80
	v_cmp_ne_u32_e32 vcc, s7, v18
	v_mov_b32_e32 v21, 0xffff8000
	s_and_saveexec_b64 s[10:11], vcc
	s_cbranch_execz .LBB886_422
; %bb.419:
	v_bfe_u32 v14, v14, 24, 7
	s_movk_i32 s7, 0x7f
	v_cmp_ne_u32_e32 vcc, s7, v14
	v_mov_b32_e32 v21, 0x7f80
	s_and_saveexec_b64 s[12:13], vcc
	s_cbranch_execz .LBB886_421
; %bb.420:
	v_and_b32_e32 v21, 7, v18
	v_ffbh_u32_e32 v24, v21
	v_min_u32_e32 v26, 32, v24
	v_subrev_u32_e32 v24, 28, v26
	v_lshlrev_b64 v[24:25], v24, v[18:19]
	v_lshrrev_b32_e32 v23, 3, v14
	v_sub_u32_e32 v25, 29, v26
	v_and_b32_e32 v24, 7, v24
	v_cmp_gt_u32_e32 vcc, 8, v14
	v_cndmask_b32_e32 v14, v23, v25, vcc
	v_cndmask_b32_e32 v21, v21, v24, vcc
	v_lshlrev_b32_e32 v18, 24, v18
	v_bfrev_b32_e32 v23, 60
	v_lshlrev_b32_e32 v21, 20, v21
	v_and_b32_e32 v18, 0x80000000, v18
	v_lshl_add_u32 v14, v14, 23, v23
	v_or3_b32 v14, v18, v14, v21
	v_lshrrev_b32_e32 v21, 16, v14
.LBB886_421:
	s_or_b64 exec, exec, s[12:13]
.LBB886_422:
	s_or_b64 exec, exec, s[10:11]
.LBB886_423:
	s_or_b64 exec, exec, s[8:9]
	v_mov_b32_e32 v18, 0
	v_cmp_ne_u16_sdwa s[10:11], v15, v18 src0_sel:BYTE_0 src1_sel:DWORD
	v_mov_b32_e32 v23, 0
	s_and_saveexec_b64 s[8:9], s[10:11]
	s_cbranch_execz .LBB886_429
; %bb.424:
	s_movk_i32 s7, 0x80
	v_cmp_ne_u16_sdwa s[12:13], v15, s7 src0_sel:BYTE_0 src1_sel:DWORD
	v_mov_b32_e32 v23, 0xffff8000
	s_and_saveexec_b64 s[10:11], s[12:13]
	s_cbranch_execz .LBB886_428
; %bb.425:
	s_movk_i32 s7, 0x7f
	v_and_b32_e32 v14, 0x7f, v15
	v_cmp_ne_u32_e32 vcc, s7, v14
	v_mov_b32_e32 v23, 0x7f80
	s_and_saveexec_b64 s[12:13], vcc
	s_cbranch_execz .LBB886_427
; %bb.426:
	v_and_b32_e32 v23, 7, v15
	v_ffbh_u32_e32 v25, v23
	v_min_u32_e32 v27, 32, v25
	v_mov_b32_e32 v24, v15
	v_subrev_u32_e32 v25, 28, v27
	v_lshlrev_b64 v[24:25], v25, v[24:25]
	v_lshrrev_b32_e32 v26, 3, v14
	v_sub_u32_e32 v25, 29, v27
	v_and_b32_e32 v24, 7, v24
	v_cmp_gt_u32_e32 vcc, 8, v14
	v_cndmask_b32_e32 v14, v26, v25, vcc
	v_cndmask_b32_e32 v23, v23, v24, vcc
	v_lshlrev_b32_e32 v24, 24, v15
	v_bfrev_b32_e32 v25, 60
	v_lshlrev_b32_e32 v23, 20, v23
	v_and_b32_e32 v24, 0x80000000, v24
	v_lshl_add_u32 v14, v14, 23, v25
	v_or3_b32 v14, v24, v14, v23
	v_lshrrev_b32_e32 v23, 16, v14
.LBB886_427:
	s_or_b64 exec, exec, s[12:13]
.LBB886_428:
	s_or_b64 exec, exec, s[10:11]
.LBB886_429:
	s_or_b64 exec, exec, s[8:9]
	v_lshrrev_b16_e32 v14, 8, v15
	v_cmp_ne_u16_e32 vcc, 0, v14
	s_and_saveexec_b64 s[8:9], vcc
	s_cbranch_execz .LBB886_435
; %bb.430:
	s_movk_i32 s7, 0x80
	v_cmp_ne_u16_e32 vcc, s7, v14
	v_mov_b32_e32 v18, 0xffff8000
	s_and_saveexec_b64 s[10:11], vcc
	s_cbranch_execz .LBB886_434
; %bb.431:
	s_movk_i32 s7, 0x7f
	v_and_b32_e32 v24, 0x7f, v14
	v_cmp_ne_u32_e32 vcc, s7, v24
	v_mov_b32_e32 v18, 0x7f80
	s_and_saveexec_b64 s[12:13], vcc
	s_cbranch_execz .LBB886_433
; %bb.432:
	v_and_b32_e32 v18, 7, v14
	v_ffbh_u32_e32 v26, v18
	v_min_u32_e32 v29, 32, v26
	v_subrev_u32_e32 v26, 28, v29
	v_lshlrev_b64 v[26:27], v26, v[14:15]
	v_lshrrev_b32_e32 v25, 3, v24
	v_sub_u32_e32 v14, 29, v29
	v_and_b32_e32 v26, 7, v26
	v_cmp_gt_u32_e32 vcc, 8, v24
	v_cndmask_b32_e32 v14, v25, v14, vcc
	v_cndmask_b32_e32 v18, v18, v26, vcc
	v_lshlrev_b32_e32 v24, 16, v15
	v_bfrev_b32_e32 v25, 60
	v_lshlrev_b32_e32 v18, 20, v18
	v_and_b32_e32 v24, 0x80000000, v24
	v_lshl_add_u32 v14, v14, 23, v25
	v_or3_b32 v14, v24, v14, v18
	v_lshrrev_b32_e32 v18, 16, v14
.LBB886_433:
	s_or_b64 exec, exec, s[12:13]
.LBB886_434:
	s_or_b64 exec, exec, s[10:11]
.LBB886_435:
	s_or_b64 exec, exec, s[8:9]
	s_movk_i32 s7, 0xff
	v_and_b32_sdwa v26, v15, s7 dst_sel:DWORD dst_unused:UNUSED_PAD src0_sel:WORD_1 src1_sel:DWORD
	v_lshrrev_b32_e32 v14, 16, v15
	v_cmp_ne_u16_e32 vcc, 0, v26
	v_mov_b32_e32 v24, 0
	v_mov_b32_e32 v25, 0
	s_and_saveexec_b64 s[8:9], vcc
	s_cbranch_execz .LBB886_441
; %bb.436:
	s_movk_i32 s7, 0x80
	v_cmp_ne_u16_e32 vcc, s7, v26
	v_mov_b32_e32 v25, 0xffff8000
	s_and_saveexec_b64 s[10:11], vcc
	s_cbranch_execz .LBB886_440
; %bb.437:
	v_bfe_u32 v26, v15, 16, 7
	s_movk_i32 s7, 0x7f
	v_cmp_ne_u32_e32 vcc, s7, v26
	v_mov_b32_e32 v25, 0x7f80
	s_and_saveexec_b64 s[12:13], vcc
	s_cbranch_execz .LBB886_439
; %bb.438:
	v_and_b32_e32 v25, 7, v14
	v_ffbh_u32_e32 v29, v25
	v_min_u32_e32 v29, 32, v29
	v_subrev_u32_e32 v30, 28, v29
	v_lshlrev_b64 v[30:31], v30, v[14:15]
	v_lshrrev_b32_e32 v27, 3, v26
	v_sub_u32_e32 v14, 29, v29
	v_and_b32_e32 v29, 7, v30
	v_cmp_gt_u32_e32 vcc, 8, v26
	v_mov_b32_e32 v26, 24
	v_cndmask_b32_e32 v14, v27, v14, vcc
	v_cndmask_b32_e32 v25, v25, v29, vcc
	v_lshlrev_b32_sdwa v26, v26, v15 dst_sel:DWORD dst_unused:UNUSED_PAD src0_sel:DWORD src1_sel:WORD_1
	v_bfrev_b32_e32 v27, 60
	v_lshlrev_b32_e32 v25, 20, v25
	v_and_b32_e32 v26, 0x80000000, v26
	v_lshl_add_u32 v14, v14, 23, v27
	v_or3_b32 v14, v26, v14, v25
	v_lshrrev_b32_e32 v25, 16, v14
.LBB886_439:
	s_or_b64 exec, exec, s[12:13]
.LBB886_440:
	s_or_b64 exec, exec, s[10:11]
.LBB886_441:
	s_or_b64 exec, exec, s[8:9]
	s_mov_b32 s7, 0xffffff
	v_cmp_lt_u32_e32 vcc, s7, v15
	s_and_saveexec_b64 s[8:9], vcc
	s_cbranch_execz .LBB886_447
; %bb.442:
	v_lshrrev_b32_e32 v14, 24, v15
	s_movk_i32 s7, 0x80
	v_cmp_ne_u32_e32 vcc, s7, v14
	v_mov_b32_e32 v24, 0xffff8000
	s_and_saveexec_b64 s[10:11], vcc
	s_cbranch_execz .LBB886_446
; %bb.443:
	v_bfe_u32 v15, v15, 24, 7
	s_movk_i32 s7, 0x7f
	v_cmp_ne_u32_e32 vcc, s7, v15
	v_mov_b32_e32 v24, 0x7f80
	s_and_saveexec_b64 s[12:13], vcc
	s_cbranch_execz .LBB886_445
; %bb.444:
	v_and_b32_e32 v24, 7, v14
	v_ffbh_u32_e32 v26, v24
	v_min_u32_e32 v30, 32, v26
	v_subrev_u32_e32 v26, 28, v30
	v_lshlrev_b64 v[26:27], v26, v[14:15]
	v_lshrrev_b32_e32 v29, 3, v15
	v_sub_u32_e32 v27, 29, v30
	v_and_b32_e32 v26, 7, v26
	v_cmp_gt_u32_e32 vcc, 8, v15
	v_cndmask_b32_e32 v15, v29, v27, vcc
	v_cndmask_b32_e32 v24, v24, v26, vcc
	v_lshlrev_b32_e32 v14, 24, v14
	v_bfrev_b32_e32 v26, 60
	v_lshlrev_b32_e32 v24, 20, v24
	v_and_b32_e32 v14, 0x80000000, v14
	v_lshl_add_u32 v15, v15, 23, v26
	v_or3_b32 v14, v14, v15, v24
	v_lshrrev_b32_e32 v24, 16, v14
.LBB886_445:
	s_or_b64 exec, exec, s[12:13]
.LBB886_446:
	s_or_b64 exec, exec, s[10:11]
.LBB886_447:
	s_or_b64 exec, exec, s[8:9]
	s_mov_b32 s7, 0x5040100
	v_perm_b32 v15, v21, v22, s7
	v_lshl_or_b32 v22, v1, 9, v48
	v_perm_b32 v14, v19, v20, s7
	ds_read_b128 v[30:33], v22
	v_perm_b32 v19, v24, v25, s7
	v_perm_b32 v18, v18, v23, s7
	s_waitcnt lgkmcnt(0)
	v_mfma_f32_16x16x16bf16_1k v[34:37], v[14:15], v[30:31], 0
	v_mov_b32_e32 v15, 0
	v_cmp_ne_u16_sdwa s[10:11], v16, v15 src0_sel:BYTE_0 src1_sel:DWORD
	v_mov_b32_e32 v23, 0
	v_mfma_f32_16x16x16bf16_1k v[18:21], v[18:19], v[32:33], v[34:37]
	s_and_saveexec_b64 s[8:9], s[10:11]
	s_cbranch_execz .LBB886_453
; %bb.448:
	s_movk_i32 s7, 0x80
	v_cmp_ne_u16_sdwa s[12:13], v16, s7 src0_sel:BYTE_0 src1_sel:DWORD
	v_mov_b32_e32 v23, 0xffff8000
	s_and_saveexec_b64 s[10:11], s[12:13]
	s_cbranch_execz .LBB886_452
; %bb.449:
	s_movk_i32 s7, 0x7f
	v_and_b32_e32 v14, 0x7f, v16
	v_cmp_ne_u32_e32 vcc, s7, v14
	v_mov_b32_e32 v23, 0x7f80
	s_and_saveexec_b64 s[12:13], vcc
	s_cbranch_execz .LBB886_451
; %bb.450:
	v_and_b32_e32 v23, 7, v16
	v_ffbh_u32_e32 v24, v23
	v_min_u32_e32 v27, 32, v24
	v_subrev_u32_e32 v24, 28, v27
	v_lshlrev_b64 v[24:25], v24, v[16:17]
	v_lshrrev_b32_e32 v26, 3, v14
	v_sub_u32_e32 v25, 29, v27
	v_and_b32_e32 v24, 7, v24
	v_cmp_gt_u32_e32 vcc, 8, v14
	v_cndmask_b32_e32 v14, v26, v25, vcc
	v_cndmask_b32_e32 v23, v23, v24, vcc
	v_lshlrev_b32_e32 v24, 24, v16
	v_bfrev_b32_e32 v25, 60
	v_lshlrev_b32_e32 v23, 20, v23
	v_and_b32_e32 v24, 0x80000000, v24
	v_lshl_add_u32 v14, v14, 23, v25
	v_or3_b32 v14, v24, v14, v23
	v_lshrrev_b32_e32 v23, 16, v14
.LBB886_451:
	s_or_b64 exec, exec, s[12:13]
.LBB886_452:
	s_or_b64 exec, exec, s[10:11]
.LBB886_453:
	s_or_b64 exec, exec, s[8:9]
	v_lshrrev_b16_e32 v14, 8, v16
	v_cmp_ne_u16_e32 vcc, 0, v14
	s_and_saveexec_b64 s[8:9], vcc
	s_cbranch_execz .LBB886_459
; %bb.454:
	s_movk_i32 s7, 0x80
	v_cmp_ne_u16_e32 vcc, s7, v14
	v_mov_b32_e32 v15, 0xffff8000
	s_and_saveexec_b64 s[10:11], vcc
	s_cbranch_execz .LBB886_458
; %bb.455:
	s_movk_i32 s7, 0x7f
	v_and_b32_e32 v24, 0x7f, v14
	v_cmp_ne_u32_e32 vcc, s7, v24
	v_mov_b32_e32 v15, 0x7f80
	s_and_saveexec_b64 s[12:13], vcc
	s_cbranch_execz .LBB886_457
; %bb.456:
	v_and_b32_e32 v25, 7, v14
	v_ffbh_u32_e32 v15, v25
	v_min_u32_e32 v27, 32, v15
	v_subrev_u32_e32 v15, 28, v27
	v_lshlrev_b64 v[14:15], v15, v[14:15]
	v_lshrrev_b32_e32 v26, 3, v24
	v_sub_u32_e32 v15, 29, v27
	v_and_b32_e32 v14, 7, v14
	v_cmp_gt_u32_e32 vcc, 8, v24
	v_cndmask_b32_e32 v15, v26, v15, vcc
	v_cndmask_b32_e32 v14, v25, v14, vcc
	v_lshlrev_b32_e32 v24, 16, v16
	v_bfrev_b32_e32 v25, 60
	v_lshlrev_b32_e32 v14, 20, v14
	v_and_b32_e32 v24, 0x80000000, v24
	v_lshl_add_u32 v15, v15, 23, v25
	v_or3_b32 v14, v24, v15, v14
	v_lshrrev_b32_e32 v15, 16, v14
.LBB886_457:
	s_or_b64 exec, exec, s[12:13]
.LBB886_458:
	s_or_b64 exec, exec, s[10:11]
.LBB886_459:
	s_or_b64 exec, exec, s[8:9]
	s_movk_i32 s7, 0xff
	v_and_b32_sdwa v26, v16, s7 dst_sel:DWORD dst_unused:UNUSED_PAD src0_sel:WORD_1 src1_sel:DWORD
	v_lshrrev_b32_e32 v14, 16, v16
	v_cmp_ne_u16_e32 vcc, 0, v26
	v_mov_b32_e32 v24, 0
	v_mov_b32_e32 v25, 0
	s_and_saveexec_b64 s[8:9], vcc
	s_cbranch_execz .LBB886_465
; %bb.460:
	s_movk_i32 s7, 0x80
	v_cmp_ne_u16_e32 vcc, s7, v26
	v_mov_b32_e32 v25, 0xffff8000
	s_and_saveexec_b64 s[10:11], vcc
	s_cbranch_execz .LBB886_464
; %bb.461:
	v_bfe_u32 v26, v16, 16, 7
	s_movk_i32 s7, 0x7f
	v_cmp_ne_u32_e32 vcc, s7, v26
	v_mov_b32_e32 v25, 0x7f80
	s_and_saveexec_b64 s[12:13], vcc
	s_cbranch_execz .LBB886_463
; %bb.462:
	v_and_b32_e32 v25, 7, v14
	v_ffbh_u32_e32 v29, v25
	v_min_u32_e32 v29, 32, v29
	v_subrev_u32_e32 v30, 28, v29
	v_lshlrev_b64 v[30:31], v30, v[14:15]
	v_lshrrev_b32_e32 v27, 3, v26
	v_sub_u32_e32 v14, 29, v29
	v_and_b32_e32 v29, 7, v30
	v_cmp_gt_u32_e32 vcc, 8, v26
	v_mov_b32_e32 v26, 24
	v_cndmask_b32_e32 v14, v27, v14, vcc
	v_cndmask_b32_e32 v25, v25, v29, vcc
	v_lshlrev_b32_sdwa v26, v26, v16 dst_sel:DWORD dst_unused:UNUSED_PAD src0_sel:DWORD src1_sel:WORD_1
	v_bfrev_b32_e32 v27, 60
	v_lshlrev_b32_e32 v25, 20, v25
	v_and_b32_e32 v26, 0x80000000, v26
	v_lshl_add_u32 v14, v14, 23, v27
	v_or3_b32 v14, v26, v14, v25
	v_lshrrev_b32_e32 v25, 16, v14
.LBB886_463:
	s_or_b64 exec, exec, s[12:13]
.LBB886_464:
	s_or_b64 exec, exec, s[10:11]
.LBB886_465:
	s_or_b64 exec, exec, s[8:9]
	s_mov_b32 s7, 0xffffff
	v_cmp_lt_u32_e32 vcc, s7, v16
	s_and_saveexec_b64 s[8:9], vcc
	s_cbranch_execz .LBB886_471
; %bb.466:
	v_lshrrev_b32_e32 v14, 24, v16
	s_movk_i32 s7, 0x80
	v_cmp_ne_u32_e32 vcc, s7, v14
	v_mov_b32_e32 v24, 0xffff8000
	s_and_saveexec_b64 s[10:11], vcc
	s_cbranch_execz .LBB886_470
; %bb.467:
	v_bfe_u32 v16, v16, 24, 7
	s_movk_i32 s7, 0x7f
	v_cmp_ne_u32_e32 vcc, s7, v16
	v_mov_b32_e32 v24, 0x7f80
	s_and_saveexec_b64 s[12:13], vcc
	s_cbranch_execz .LBB886_469
; %bb.468:
	v_and_b32_e32 v24, 7, v14
	v_ffbh_u32_e32 v26, v24
	v_min_u32_e32 v30, 32, v26
	v_subrev_u32_e32 v26, 28, v30
	v_lshlrev_b64 v[26:27], v26, v[14:15]
	v_lshrrev_b32_e32 v29, 3, v16
	v_sub_u32_e32 v27, 29, v30
	v_and_b32_e32 v26, 7, v26
	v_cmp_gt_u32_e32 vcc, 8, v16
	v_cndmask_b32_e32 v16, v29, v27, vcc
	v_cndmask_b32_e32 v24, v24, v26, vcc
	v_lshlrev_b32_e32 v14, 24, v14
	v_bfrev_b32_e32 v26, 60
	v_lshlrev_b32_e32 v24, 20, v24
	v_and_b32_e32 v14, 0x80000000, v14
	v_lshl_add_u32 v16, v16, 23, v26
	v_or3_b32 v14, v14, v16, v24
	v_lshrrev_b32_e32 v24, 16, v14
.LBB886_469:
	s_or_b64 exec, exec, s[12:13]
.LBB886_470:
	s_or_b64 exec, exec, s[10:11]
.LBB886_471:
	s_or_b64 exec, exec, s[8:9]
	v_mov_b32_e32 v16, 0
	v_cmp_ne_u16_sdwa s[10:11], v17, v16 src0_sel:BYTE_0 src1_sel:DWORD
	v_mov_b32_e32 v26, 0
	s_and_saveexec_b64 s[8:9], s[10:11]
	s_cbranch_execz .LBB886_477
; %bb.472:
	s_movk_i32 s7, 0x80
	v_cmp_ne_u16_sdwa s[12:13], v17, s7 src0_sel:BYTE_0 src1_sel:DWORD
	v_mov_b32_e32 v26, 0xffff8000
	s_and_saveexec_b64 s[10:11], s[12:13]
	s_cbranch_execz .LBB886_476
; %bb.473:
	s_movk_i32 s7, 0x7f
	v_and_b32_e32 v14, 0x7f, v17
	v_cmp_ne_u32_e32 vcc, s7, v14
	v_mov_b32_e32 v26, 0x7f80
	s_and_saveexec_b64 s[12:13], vcc
	s_cbranch_execz .LBB886_475
; %bb.474:
	v_and_b32_e32 v29, 7, v17
	v_ffbh_u32_e32 v27, v29
	v_min_u32_e32 v31, 32, v27
	v_mov_b32_e32 v26, v17
	v_subrev_u32_e32 v27, 28, v31
	v_lshlrev_b64 v[26:27], v27, v[26:27]
	v_lshrrev_b32_e32 v30, 3, v14
	v_sub_u32_e32 v27, 29, v31
	v_and_b32_e32 v26, 7, v26
	v_cmp_gt_u32_e32 vcc, 8, v14
	v_cndmask_b32_e32 v14, v30, v27, vcc
	v_cndmask_b32_e32 v26, v29, v26, vcc
	v_lshlrev_b32_e32 v27, 24, v17
	v_bfrev_b32_e32 v29, 60
	v_lshlrev_b32_e32 v26, 20, v26
	v_and_b32_e32 v27, 0x80000000, v27
	v_lshl_add_u32 v14, v14, 23, v29
	v_or3_b32 v14, v27, v14, v26
	v_lshrrev_b32_e32 v26, 16, v14
.LBB886_475:
	s_or_b64 exec, exec, s[12:13]
.LBB886_476:
	s_or_b64 exec, exec, s[10:11]
.LBB886_477:
	s_or_b64 exec, exec, s[8:9]
	v_lshrrev_b16_e32 v14, 8, v17
	v_cmp_ne_u16_e32 vcc, 0, v14
	s_and_saveexec_b64 s[8:9], vcc
	s_cbranch_execz .LBB886_483
; %bb.478:
	s_movk_i32 s7, 0x80
	v_cmp_ne_u16_e32 vcc, s7, v14
	v_mov_b32_e32 v16, 0xffff8000
	s_and_saveexec_b64 s[10:11], vcc
	s_cbranch_execz .LBB886_482
; %bb.479:
	s_movk_i32 s7, 0x7f
	v_and_b32_e32 v27, 0x7f, v14
	v_cmp_ne_u32_e32 vcc, s7, v27
	v_mov_b32_e32 v16, 0x7f80
	s_and_saveexec_b64 s[12:13], vcc
	s_cbranch_execz .LBB886_481
; %bb.480:
	v_and_b32_e32 v16, 7, v14
	v_ffbh_u32_e32 v30, v16
	v_min_u32_e32 v32, 32, v30
	v_subrev_u32_e32 v30, 28, v32
	v_lshlrev_b64 v[30:31], v30, v[14:15]
	v_lshrrev_b32_e32 v29, 3, v27
	v_sub_u32_e32 v14, 29, v32
	v_and_b32_e32 v30, 7, v30
	v_cmp_gt_u32_e32 vcc, 8, v27
	v_cndmask_b32_e32 v14, v29, v14, vcc
	v_cndmask_b32_e32 v16, v16, v30, vcc
	v_lshlrev_b32_e32 v27, 16, v17
	v_bfrev_b32_e32 v29, 60
	v_lshlrev_b32_e32 v16, 20, v16
	v_and_b32_e32 v27, 0x80000000, v27
	v_lshl_add_u32 v14, v14, 23, v29
	v_or3_b32 v14, v27, v14, v16
	v_lshrrev_b32_e32 v16, 16, v14
.LBB886_481:
	s_or_b64 exec, exec, s[12:13]
.LBB886_482:
	s_or_b64 exec, exec, s[10:11]
.LBB886_483:
	s_or_b64 exec, exec, s[8:9]
	s_movk_i32 s7, 0xff
	v_and_b32_sdwa v30, v17, s7 dst_sel:DWORD dst_unused:UNUSED_PAD src0_sel:WORD_1 src1_sel:DWORD
	v_lshrrev_b32_e32 v14, 16, v17
	v_cmp_ne_u16_e32 vcc, 0, v30
	v_mov_b32_e32 v27, 0
	v_mov_b32_e32 v29, 0
	s_and_saveexec_b64 s[8:9], vcc
	s_cbranch_execz .LBB886_489
; %bb.484:
	s_movk_i32 s7, 0x80
	v_cmp_ne_u16_e32 vcc, s7, v30
	v_mov_b32_e32 v29, 0xffff8000
	s_and_saveexec_b64 s[10:11], vcc
	s_cbranch_execz .LBB886_488
; %bb.485:
	v_bfe_u32 v30, v17, 16, 7
	s_movk_i32 s7, 0x7f
	v_cmp_ne_u32_e32 vcc, s7, v30
	v_mov_b32_e32 v29, 0x7f80
	s_and_saveexec_b64 s[12:13], vcc
	s_cbranch_execz .LBB886_487
; %bb.486:
	v_and_b32_e32 v29, 7, v14
	v_ffbh_u32_e32 v32, v29
	v_min_u32_e32 v34, 32, v32
	v_subrev_u32_e32 v32, 28, v34
	v_lshlrev_b64 v[32:33], v32, v[14:15]
	v_lshrrev_b32_e32 v31, 3, v30
	v_sub_u32_e32 v14, 29, v34
	v_and_b32_e32 v32, 7, v32
	v_cmp_gt_u32_e32 vcc, 8, v30
	v_mov_b32_e32 v30, 24
	v_cndmask_b32_e32 v14, v31, v14, vcc
	v_cndmask_b32_e32 v29, v29, v32, vcc
	v_lshlrev_b32_sdwa v30, v30, v17 dst_sel:DWORD dst_unused:UNUSED_PAD src0_sel:DWORD src1_sel:WORD_1
	v_bfrev_b32_e32 v31, 60
	v_lshlrev_b32_e32 v29, 20, v29
	v_and_b32_e32 v30, 0x80000000, v30
	v_lshl_add_u32 v14, v14, 23, v31
	v_or3_b32 v14, v30, v14, v29
	v_lshrrev_b32_e32 v29, 16, v14
.LBB886_487:
	s_or_b64 exec, exec, s[12:13]
.LBB886_488:
	s_or_b64 exec, exec, s[10:11]
.LBB886_489:
	s_or_b64 exec, exec, s[8:9]
	s_mov_b32 s7, 0xffffff
	v_cmp_lt_u32_e32 vcc, s7, v17
	s_and_saveexec_b64 s[8:9], vcc
	s_cbranch_execz .LBB886_495
; %bb.490:
	v_lshrrev_b32_e32 v14, 24, v17
	s_movk_i32 s7, 0x80
	v_cmp_ne_u32_e32 vcc, s7, v14
	v_mov_b32_e32 v27, 0xffff8000
	s_and_saveexec_b64 s[10:11], vcc
	s_cbranch_execz .LBB886_494
; %bb.491:
	v_bfe_u32 v17, v17, 24, 7
	s_movk_i32 s7, 0x7f
	v_cmp_ne_u32_e32 vcc, s7, v17
	v_mov_b32_e32 v27, 0x7f80
	s_and_saveexec_b64 s[12:13], vcc
	s_cbranch_execz .LBB886_493
; %bb.492:
	v_and_b32_e32 v27, 7, v14
	v_ffbh_u32_e32 v30, v27
	v_min_u32_e32 v33, 32, v30
	v_subrev_u32_e32 v30, 28, v33
	v_lshlrev_b64 v[30:31], v30, v[14:15]
	v_lshrrev_b32_e32 v32, 3, v17
	v_sub_u32_e32 v31, 29, v33
	v_and_b32_e32 v30, 7, v30
	v_cmp_gt_u32_e32 vcc, 8, v17
	v_cndmask_b32_e32 v17, v32, v31, vcc
	v_cndmask_b32_e32 v27, v27, v30, vcc
	v_lshlrev_b32_e32 v14, 24, v14
	v_bfrev_b32_e32 v30, 60
	v_lshlrev_b32_e32 v27, 20, v27
	v_and_b32_e32 v14, 0x80000000, v14
	v_lshl_add_u32 v17, v17, 23, v30
	v_or3_b32 v14, v14, v17, v27
	v_lshrrev_b32_e32 v27, 16, v14
.LBB886_493:
	s_or_b64 exec, exec, s[12:13]
.LBB886_494:
	s_or_b64 exec, exec, s[10:11]
.LBB886_495:
	s_or_b64 exec, exec, s[8:9]
	s_mov_b32 s7, 0x5040100
	v_perm_b32 v25, v24, v25, s7
	v_perm_b32 v24, v15, v23, s7
	ds_read_b128 v[30:33], v22 offset:16
	v_perm_b32 v15, v27, v29, s7
	v_perm_b32 v14, v16, v26, s7
	s_waitcnt lgkmcnt(0)
	v_mfma_f32_16x16x16bf16_1k v[34:37], v[24:25], v[30:31], v[18:21]
	s_nop 6
	v_mov_b32_e32 v19, 0
	s_waitcnt vmcnt(2)
	v_cmp_ne_u16_sdwa s[10:11], v10, v19 src0_sel:BYTE_0 src1_sel:DWORD
	v_mfma_f32_16x16x16bf16_1k v[14:17], v[14:15], v[32:33], v[34:37]
	v_mov_b32_e32 v20, 0
	s_and_saveexec_b64 s[8:9], s[10:11]
	s_cbranch_execz .LBB886_501
; %bb.496:
	s_movk_i32 s7, 0x80
	v_cmp_ne_u16_sdwa s[12:13], v10, s7 src0_sel:BYTE_0 src1_sel:DWORD
	v_mov_b32_e32 v20, 0xffff8000
	s_and_saveexec_b64 s[10:11], s[12:13]
	s_cbranch_execz .LBB886_500
; %bb.497:
	s_movk_i32 s7, 0x7f
	v_and_b32_e32 v18, 0x7f, v10
	v_cmp_ne_u32_e32 vcc, s7, v18
	v_mov_b32_e32 v20, 0x7f80
	s_and_saveexec_b64 s[12:13], vcc
	s_cbranch_execz .LBB886_499
; %bb.498:
	v_and_b32_e32 v23, 7, v10
	v_ffbh_u32_e32 v20, v23
	v_min_u32_e32 v25, 32, v20
	v_subrev_u32_e32 v20, 28, v25
	v_lshlrev_b64 v[20:21], v20, v[10:11]
	v_lshrrev_b32_e32 v24, 3, v18
	v_sub_u32_e32 v21, 29, v25
	v_and_b32_e32 v20, 7, v20
	v_cmp_gt_u32_e32 vcc, 8, v18
	v_cndmask_b32_e32 v18, v24, v21, vcc
	v_cndmask_b32_e32 v20, v23, v20, vcc
	v_lshlrev_b32_e32 v21, 24, v10
	v_bfrev_b32_e32 v23, 60
	v_lshlrev_b32_e32 v20, 20, v20
	v_and_b32_e32 v21, 0x80000000, v21
	v_lshl_add_u32 v18, v18, 23, v23
	v_or3_b32 v18, v21, v18, v20
	v_lshrrev_b32_e32 v20, 16, v18
.LBB886_499:
	s_or_b64 exec, exec, s[12:13]
.LBB886_500:
	s_or_b64 exec, exec, s[10:11]
.LBB886_501:
	s_or_b64 exec, exec, s[8:9]
	v_lshrrev_b16_e32 v18, 8, v10
	v_cmp_ne_u16_e32 vcc, 0, v18
	s_and_saveexec_b64 s[8:9], vcc
	s_cbranch_execz .LBB886_507
; %bb.502:
	s_movk_i32 s7, 0x80
	v_cmp_ne_u16_e32 vcc, s7, v18
	v_mov_b32_e32 v19, 0xffff8000
	s_and_saveexec_b64 s[10:11], vcc
	s_cbranch_execz .LBB886_506
; %bb.503:
	s_movk_i32 s7, 0x7f
	v_and_b32_e32 v21, 0x7f, v18
	v_cmp_ne_u32_e32 vcc, s7, v21
	v_mov_b32_e32 v19, 0x7f80
	s_and_saveexec_b64 s[12:13], vcc
	s_cbranch_execz .LBB886_505
; %bb.504:
	v_and_b32_e32 v23, 7, v18
	v_ffbh_u32_e32 v19, v23
	v_min_u32_e32 v25, 32, v19
	v_subrev_u32_e32 v19, 28, v25
	v_lshlrev_b64 v[18:19], v19, v[18:19]
	v_lshrrev_b32_e32 v24, 3, v21
	v_sub_u32_e32 v19, 29, v25
	v_and_b32_e32 v18, 7, v18
	v_cmp_gt_u32_e32 vcc, 8, v21
	v_cndmask_b32_e32 v19, v24, v19, vcc
	v_cndmask_b32_e32 v18, v23, v18, vcc
	v_lshlrev_b32_e32 v21, 16, v10
	v_bfrev_b32_e32 v23, 60
	v_lshlrev_b32_e32 v18, 20, v18
	v_and_b32_e32 v21, 0x80000000, v21
	v_lshl_add_u32 v19, v19, 23, v23
	v_or3_b32 v18, v21, v19, v18
	v_lshrrev_b32_e32 v19, 16, v18
.LBB886_505:
	s_or_b64 exec, exec, s[12:13]
.LBB886_506:
	s_or_b64 exec, exec, s[10:11]
.LBB886_507:
	s_or_b64 exec, exec, s[8:9]
	s_movk_i32 s7, 0xff
	v_and_b32_sdwa v24, v10, s7 dst_sel:DWORD dst_unused:UNUSED_PAD src0_sel:WORD_1 src1_sel:DWORD
	v_lshrrev_b32_e32 v18, 16, v10
	v_cmp_ne_u16_e32 vcc, 0, v24
	v_mov_b32_e32 v21, 0
	v_mov_b32_e32 v23, 0
	s_and_saveexec_b64 s[8:9], vcc
	s_cbranch_execz .LBB886_513
; %bb.508:
	s_movk_i32 s7, 0x80
	v_cmp_ne_u16_e32 vcc, s7, v24
	v_mov_b32_e32 v23, 0xffff8000
	s_and_saveexec_b64 s[10:11], vcc
	s_cbranch_execz .LBB886_512
; %bb.509:
	v_bfe_u32 v24, v10, 16, 7
	s_movk_i32 s7, 0x7f
	v_cmp_ne_u32_e32 vcc, s7, v24
	v_mov_b32_e32 v23, 0x7f80
	s_and_saveexec_b64 s[12:13], vcc
	s_cbranch_execz .LBB886_511
; %bb.510:
	v_and_b32_e32 v23, 7, v18
	v_ffbh_u32_e32 v26, v23
	v_min_u32_e32 v29, 32, v26
	v_subrev_u32_e32 v26, 28, v29
	v_lshlrev_b64 v[26:27], v26, v[18:19]
	v_lshrrev_b32_e32 v25, 3, v24
	v_sub_u32_e32 v18, 29, v29
	v_and_b32_e32 v26, 7, v26
	v_cmp_gt_u32_e32 vcc, 8, v24
	v_mov_b32_e32 v24, 24
	v_cndmask_b32_e32 v18, v25, v18, vcc
	v_cndmask_b32_e32 v23, v23, v26, vcc
	v_lshlrev_b32_sdwa v24, v24, v10 dst_sel:DWORD dst_unused:UNUSED_PAD src0_sel:DWORD src1_sel:WORD_1
	v_bfrev_b32_e32 v25, 60
	v_lshlrev_b32_e32 v23, 20, v23
	v_and_b32_e32 v24, 0x80000000, v24
	v_lshl_add_u32 v18, v18, 23, v25
	v_or3_b32 v18, v24, v18, v23
	v_lshrrev_b32_e32 v23, 16, v18
.LBB886_511:
	s_or_b64 exec, exec, s[12:13]
.LBB886_512:
	s_or_b64 exec, exec, s[10:11]
.LBB886_513:
	s_or_b64 exec, exec, s[8:9]
	s_mov_b32 s7, 0xffffff
	v_cmp_lt_u32_e32 vcc, s7, v10
	s_and_saveexec_b64 s[8:9], vcc
	s_cbranch_execz .LBB886_519
; %bb.514:
	v_lshrrev_b32_e32 v18, 24, v10
	s_movk_i32 s7, 0x80
	v_cmp_ne_u32_e32 vcc, s7, v18
	v_mov_b32_e32 v21, 0xffff8000
	s_and_saveexec_b64 s[10:11], vcc
	s_cbranch_execz .LBB886_518
; %bb.515:
	v_bfe_u32 v10, v10, 24, 7
	s_movk_i32 s7, 0x7f
	v_cmp_ne_u32_e32 vcc, s7, v10
	v_mov_b32_e32 v21, 0x7f80
	s_and_saveexec_b64 s[12:13], vcc
	s_cbranch_execz .LBB886_517
; %bb.516:
	v_and_b32_e32 v21, 7, v18
	v_ffbh_u32_e32 v24, v21
	v_min_u32_e32 v27, 32, v24
	v_subrev_u32_e32 v24, 28, v27
	v_lshlrev_b64 v[24:25], v24, v[18:19]
	v_lshrrev_b32_e32 v26, 3, v10
	v_sub_u32_e32 v25, 29, v27
	v_and_b32_e32 v24, 7, v24
	v_cmp_gt_u32_e32 vcc, 8, v10
	v_cndmask_b32_e32 v10, v26, v25, vcc
	v_cndmask_b32_e32 v21, v21, v24, vcc
	v_lshlrev_b32_e32 v18, 24, v18
	v_bfrev_b32_e32 v24, 60
	v_lshlrev_b32_e32 v21, 20, v21
	v_and_b32_e32 v18, 0x80000000, v18
	v_lshl_add_u32 v10, v10, 23, v24
	v_or3_b32 v10, v18, v10, v21
	v_lshrrev_b32_e32 v21, 16, v10
.LBB886_517:
	s_or_b64 exec, exec, s[12:13]
.LBB886_518:
	s_or_b64 exec, exec, s[10:11]
.LBB886_519:
	s_or_b64 exec, exec, s[8:9]
	v_mov_b32_e32 v18, 0
	v_cmp_ne_u16_sdwa s[10:11], v11, v18 src0_sel:BYTE_0 src1_sel:DWORD
	v_mov_b32_e32 v24, 0
	s_and_saveexec_b64 s[8:9], s[10:11]
	s_cbranch_execz .LBB886_525
; %bb.520:
	s_movk_i32 s7, 0x80
	v_cmp_ne_u16_sdwa s[12:13], v11, s7 src0_sel:BYTE_0 src1_sel:DWORD
	v_mov_b32_e32 v24, 0xffff8000
	s_and_saveexec_b64 s[10:11], s[12:13]
	s_cbranch_execz .LBB886_524
; %bb.521:
	s_movk_i32 s7, 0x7f
	v_and_b32_e32 v10, 0x7f, v11
	v_cmp_ne_u32_e32 vcc, s7, v10
	v_mov_b32_e32 v24, 0x7f80
	s_and_saveexec_b64 s[12:13], vcc
	s_cbranch_execz .LBB886_523
; %bb.522:
	v_and_b32_e32 v26, 7, v11
	v_ffbh_u32_e32 v25, v26
	v_min_u32_e32 v29, 32, v25
	v_mov_b32_e32 v24, v11
	v_subrev_u32_e32 v25, 28, v29
	v_lshlrev_b64 v[24:25], v25, v[24:25]
	v_lshrrev_b32_e32 v27, 3, v10
	v_sub_u32_e32 v25, 29, v29
	v_and_b32_e32 v24, 7, v24
	v_cmp_gt_u32_e32 vcc, 8, v10
	v_cndmask_b32_e32 v10, v27, v25, vcc
	v_cndmask_b32_e32 v24, v26, v24, vcc
	v_lshlrev_b32_e32 v25, 24, v11
	v_bfrev_b32_e32 v26, 60
	v_lshlrev_b32_e32 v24, 20, v24
	v_and_b32_e32 v25, 0x80000000, v25
	v_lshl_add_u32 v10, v10, 23, v26
	v_or3_b32 v10, v25, v10, v24
	v_lshrrev_b32_e32 v24, 16, v10
.LBB886_523:
	s_or_b64 exec, exec, s[12:13]
.LBB886_524:
	s_or_b64 exec, exec, s[10:11]
.LBB886_525:
	s_or_b64 exec, exec, s[8:9]
	v_lshrrev_b16_e32 v10, 8, v11
	v_cmp_ne_u16_e32 vcc, 0, v10
	s_and_saveexec_b64 s[8:9], vcc
	s_cbranch_execz .LBB886_531
; %bb.526:
	s_movk_i32 s7, 0x80
	v_cmp_ne_u16_e32 vcc, s7, v10
	v_mov_b32_e32 v18, 0xffff8000
	s_and_saveexec_b64 s[10:11], vcc
	s_cbranch_execz .LBB886_530
; %bb.527:
	s_movk_i32 s7, 0x7f
	v_and_b32_e32 v25, 0x7f, v10
	v_cmp_ne_u32_e32 vcc, s7, v25
	v_mov_b32_e32 v18, 0x7f80
	s_and_saveexec_b64 s[12:13], vcc
	s_cbranch_execz .LBB886_529
; %bb.528:
	v_and_b32_e32 v18, 7, v10
	v_ffbh_u32_e32 v26, v18
	v_min_u32_e32 v30, 32, v26
	v_subrev_u32_e32 v26, 28, v30
	v_lshlrev_b64 v[26:27], v26, v[10:11]
	v_lshrrev_b32_e32 v29, 3, v25
	v_sub_u32_e32 v10, 29, v30
	v_and_b32_e32 v26, 7, v26
	v_cmp_gt_u32_e32 vcc, 8, v25
	v_cndmask_b32_e32 v10, v29, v10, vcc
	v_cndmask_b32_e32 v18, v18, v26, vcc
	v_lshlrev_b32_e32 v25, 16, v11
	v_bfrev_b32_e32 v26, 60
	v_lshlrev_b32_e32 v18, 20, v18
	v_and_b32_e32 v25, 0x80000000, v25
	v_lshl_add_u32 v10, v10, 23, v26
	v_or3_b32 v10, v25, v10, v18
	v_lshrrev_b32_e32 v18, 16, v10
.LBB886_529:
	s_or_b64 exec, exec, s[12:13]
.LBB886_530:
	s_or_b64 exec, exec, s[10:11]
.LBB886_531:
	s_or_b64 exec, exec, s[8:9]
	s_movk_i32 s7, 0xff
	v_and_b32_sdwa v27, v11, s7 dst_sel:DWORD dst_unused:UNUSED_PAD src0_sel:WORD_1 src1_sel:DWORD
	v_lshrrev_b32_e32 v10, 16, v11
	v_cmp_ne_u16_e32 vcc, 0, v27
	v_mov_b32_e32 v25, 0
	v_mov_b32_e32 v26, 0
	s_and_saveexec_b64 s[8:9], vcc
	s_cbranch_execz .LBB886_537
; %bb.532:
	s_movk_i32 s7, 0x80
	v_cmp_ne_u16_e32 vcc, s7, v27
	v_mov_b32_e32 v26, 0xffff8000
	s_and_saveexec_b64 s[10:11], vcc
	s_cbranch_execz .LBB886_536
; %bb.533:
	v_bfe_u32 v27, v11, 16, 7
	s_movk_i32 s7, 0x7f
	v_cmp_ne_u32_e32 vcc, s7, v27
	v_mov_b32_e32 v26, 0x7f80
	s_and_saveexec_b64 s[12:13], vcc
	s_cbranch_execz .LBB886_535
; %bb.534:
	v_and_b32_e32 v26, 7, v10
	v_ffbh_u32_e32 v30, v26
	v_min_u32_e32 v32, 32, v30
	v_subrev_u32_e32 v30, 28, v32
	v_lshlrev_b64 v[30:31], v30, v[10:11]
	v_lshrrev_b32_e32 v29, 3, v27
	v_sub_u32_e32 v10, 29, v32
	v_and_b32_e32 v30, 7, v30
	v_cmp_gt_u32_e32 vcc, 8, v27
	v_mov_b32_e32 v27, 24
	v_cndmask_b32_e32 v10, v29, v10, vcc
	v_cndmask_b32_e32 v26, v26, v30, vcc
	v_lshlrev_b32_sdwa v27, v27, v11 dst_sel:DWORD dst_unused:UNUSED_PAD src0_sel:DWORD src1_sel:WORD_1
	v_bfrev_b32_e32 v29, 60
	v_lshlrev_b32_e32 v26, 20, v26
	v_and_b32_e32 v27, 0x80000000, v27
	v_lshl_add_u32 v10, v10, 23, v29
	v_or3_b32 v10, v27, v10, v26
	v_lshrrev_b32_e32 v26, 16, v10
.LBB886_535:
	s_or_b64 exec, exec, s[12:13]
.LBB886_536:
	s_or_b64 exec, exec, s[10:11]
.LBB886_537:
	s_or_b64 exec, exec, s[8:9]
	s_mov_b32 s7, 0xffffff
	v_cmp_lt_u32_e32 vcc, s7, v11
	s_and_saveexec_b64 s[8:9], vcc
	s_cbranch_execz .LBB886_543
; %bb.538:
	v_lshrrev_b32_e32 v10, 24, v11
	s_movk_i32 s7, 0x80
	v_cmp_ne_u32_e32 vcc, s7, v10
	v_mov_b32_e32 v25, 0xffff8000
	s_and_saveexec_b64 s[10:11], vcc
	s_cbranch_execz .LBB886_542
; %bb.539:
	v_bfe_u32 v11, v11, 24, 7
	s_movk_i32 s7, 0x7f
	v_cmp_ne_u32_e32 vcc, s7, v11
	v_mov_b32_e32 v25, 0x7f80
	s_and_saveexec_b64 s[12:13], vcc
	s_cbranch_execz .LBB886_541
; %bb.540:
	v_and_b32_e32 v25, 7, v10
	v_ffbh_u32_e32 v29, v25
	v_min_u32_e32 v29, 32, v29
	v_subrev_u32_e32 v30, 28, v29
	v_lshlrev_b64 v[30:31], v30, v[10:11]
	v_lshrrev_b32_e32 v27, 3, v11
	v_sub_u32_e32 v29, 29, v29
	v_and_b32_e32 v30, 7, v30
	v_cmp_gt_u32_e32 vcc, 8, v11
	v_cndmask_b32_e32 v11, v27, v29, vcc
	v_cndmask_b32_e32 v25, v25, v30, vcc
	v_lshlrev_b32_e32 v10, 24, v10
	v_bfrev_b32_e32 v27, 60
	v_lshlrev_b32_e32 v25, 20, v25
	v_and_b32_e32 v10, 0x80000000, v10
	v_lshl_add_u32 v11, v11, 23, v27
	v_or3_b32 v10, v10, v11, v25
	v_lshrrev_b32_e32 v25, 16, v10
.LBB886_541:
	s_or_b64 exec, exec, s[12:13]
.LBB886_542:
	s_or_b64 exec, exec, s[10:11]
.LBB886_543:
	s_or_b64 exec, exec, s[8:9]
	s_mov_b32 s7, 0x5040100
	v_perm_b32 v11, v21, v23, s7
	v_perm_b32 v10, v19, v20, s7
	ds_read_b128 v[30:33], v22 offset:2048
	v_perm_b32 v21, v25, v26, s7
	v_perm_b32 v20, v18, v24, s7
	s_waitcnt lgkmcnt(0)
	v_mfma_f32_16x16x16bf16_1k v[14:17], v[10:11], v[30:31], v[14:17]
	v_mov_b32_e32 v11, 0
	v_cmp_ne_u16_sdwa s[10:11], v12, v11 src0_sel:BYTE_0 src1_sel:DWORD
	v_mov_b32_e32 v18, 0
	v_mfma_f32_16x16x16bf16_1k v[14:17], v[20:21], v[32:33], v[14:17]
	s_and_saveexec_b64 s[8:9], s[10:11]
	s_cbranch_execz .LBB886_549
; %bb.544:
	s_movk_i32 s7, 0x80
	v_cmp_ne_u16_sdwa s[12:13], v12, s7 src0_sel:BYTE_0 src1_sel:DWORD
	v_mov_b32_e32 v18, 0xffff8000
	s_and_saveexec_b64 s[10:11], s[12:13]
	s_cbranch_execz .LBB886_548
; %bb.545:
	s_movk_i32 s7, 0x7f
	v_and_b32_e32 v10, 0x7f, v12
	v_cmp_ne_u32_e32 vcc, s7, v10
	v_mov_b32_e32 v18, 0x7f80
	s_and_saveexec_b64 s[12:13], vcc
	s_cbranch_execz .LBB886_547
; %bb.546:
	v_and_b32_e32 v20, 7, v12
	v_ffbh_u32_e32 v18, v20
	v_min_u32_e32 v23, 32, v18
	v_subrev_u32_e32 v18, 28, v23
	v_lshlrev_b64 v[18:19], v18, v[12:13]
	v_lshrrev_b32_e32 v21, 3, v10
	v_sub_u32_e32 v19, 29, v23
	v_and_b32_e32 v18, 7, v18
	v_cmp_gt_u32_e32 vcc, 8, v10
	v_cndmask_b32_e32 v10, v21, v19, vcc
	v_cndmask_b32_e32 v18, v20, v18, vcc
	v_lshlrev_b32_e32 v19, 24, v12
	v_bfrev_b32_e32 v20, 60
	v_lshlrev_b32_e32 v18, 20, v18
	v_and_b32_e32 v19, 0x80000000, v19
	v_lshl_add_u32 v10, v10, 23, v20
	v_or3_b32 v10, v19, v10, v18
	v_lshrrev_b32_e32 v18, 16, v10
.LBB886_547:
	s_or_b64 exec, exec, s[12:13]
.LBB886_548:
	s_or_b64 exec, exec, s[10:11]
.LBB886_549:
	s_or_b64 exec, exec, s[8:9]
	v_lshrrev_b16_e32 v10, 8, v12
	v_cmp_ne_u16_e32 vcc, 0, v10
	s_and_saveexec_b64 s[8:9], vcc
	s_cbranch_execz .LBB886_555
; %bb.550:
	s_movk_i32 s7, 0x80
	v_cmp_ne_u16_e32 vcc, s7, v10
	v_mov_b32_e32 v11, 0xffff8000
	s_and_saveexec_b64 s[10:11], vcc
	s_cbranch_execz .LBB886_554
; %bb.551:
	s_movk_i32 s7, 0x7f
	v_and_b32_e32 v19, 0x7f, v10
	v_cmp_ne_u32_e32 vcc, s7, v19
	v_mov_b32_e32 v11, 0x7f80
	s_and_saveexec_b64 s[12:13], vcc
	s_cbranch_execz .LBB886_553
; %bb.552:
	v_and_b32_e32 v20, 7, v10
	v_ffbh_u32_e32 v11, v20
	v_min_u32_e32 v23, 32, v11
	v_subrev_u32_e32 v11, 28, v23
	v_lshlrev_b64 v[10:11], v11, v[10:11]
	v_lshrrev_b32_e32 v21, 3, v19
	v_sub_u32_e32 v11, 29, v23
	v_and_b32_e32 v10, 7, v10
	v_cmp_gt_u32_e32 vcc, 8, v19
	v_cndmask_b32_e32 v11, v21, v11, vcc
	v_cndmask_b32_e32 v10, v20, v10, vcc
	v_lshlrev_b32_e32 v19, 16, v12
	v_bfrev_b32_e32 v20, 60
	v_lshlrev_b32_e32 v10, 20, v10
	v_and_b32_e32 v19, 0x80000000, v19
	v_lshl_add_u32 v11, v11, 23, v20
	v_or3_b32 v10, v19, v11, v10
	v_lshrrev_b32_e32 v11, 16, v10
.LBB886_553:
	s_or_b64 exec, exec, s[12:13]
.LBB886_554:
	s_or_b64 exec, exec, s[10:11]
.LBB886_555:
	s_or_b64 exec, exec, s[8:9]
	s_movk_i32 s7, 0xff
	v_and_b32_sdwa v21, v12, s7 dst_sel:DWORD dst_unused:UNUSED_PAD src0_sel:WORD_1 src1_sel:DWORD
	v_lshrrev_b32_e32 v10, 16, v12
	v_cmp_ne_u16_e32 vcc, 0, v21
	v_mov_b32_e32 v19, 0
	v_mov_b32_e32 v20, 0
	s_and_saveexec_b64 s[8:9], vcc
	s_cbranch_execz .LBB886_561
; %bb.556:
	s_movk_i32 s7, 0x80
	v_cmp_ne_u16_e32 vcc, s7, v21
	v_mov_b32_e32 v20, 0xffff8000
	s_and_saveexec_b64 s[10:11], vcc
	s_cbranch_execz .LBB886_560
; %bb.557:
	v_bfe_u32 v21, v12, 16, 7
	s_movk_i32 s7, 0x7f
	v_cmp_ne_u32_e32 vcc, s7, v21
	v_mov_b32_e32 v20, 0x7f80
	s_and_saveexec_b64 s[12:13], vcc
	s_cbranch_execz .LBB886_559
; %bb.558:
	v_and_b32_e32 v20, 7, v10
	v_ffbh_u32_e32 v24, v20
	v_min_u32_e32 v26, 32, v24
	v_subrev_u32_e32 v24, 28, v26
	v_lshlrev_b64 v[24:25], v24, v[10:11]
	v_lshrrev_b32_e32 v23, 3, v21
	v_sub_u32_e32 v10, 29, v26
	v_and_b32_e32 v24, 7, v24
	v_cmp_gt_u32_e32 vcc, 8, v21
	v_mov_b32_e32 v21, 24
	v_cndmask_b32_e32 v10, v23, v10, vcc
	v_cndmask_b32_e32 v20, v20, v24, vcc
	v_lshlrev_b32_sdwa v21, v21, v12 dst_sel:DWORD dst_unused:UNUSED_PAD src0_sel:DWORD src1_sel:WORD_1
	v_bfrev_b32_e32 v23, 60
	v_lshlrev_b32_e32 v20, 20, v20
	v_and_b32_e32 v21, 0x80000000, v21
	v_lshl_add_u32 v10, v10, 23, v23
	v_or3_b32 v10, v21, v10, v20
	v_lshrrev_b32_e32 v20, 16, v10
.LBB886_559:
	s_or_b64 exec, exec, s[12:13]
.LBB886_560:
	s_or_b64 exec, exec, s[10:11]
.LBB886_561:
	s_or_b64 exec, exec, s[8:9]
	s_mov_b32 s7, 0xffffff
	v_cmp_lt_u32_e32 vcc, s7, v12
	s_and_saveexec_b64 s[8:9], vcc
	s_cbranch_execz .LBB886_567
; %bb.562:
	v_lshrrev_b32_e32 v10, 24, v12
	s_movk_i32 s7, 0x80
	v_cmp_ne_u32_e32 vcc, s7, v10
	v_mov_b32_e32 v19, 0xffff8000
	s_and_saveexec_b64 s[10:11], vcc
	s_cbranch_execz .LBB886_566
; %bb.563:
	v_bfe_u32 v12, v12, 24, 7
	s_movk_i32 s7, 0x7f
	v_cmp_ne_u32_e32 vcc, s7, v12
	v_mov_b32_e32 v19, 0x7f80
	s_and_saveexec_b64 s[12:13], vcc
	s_cbranch_execz .LBB886_565
; %bb.564:
	v_and_b32_e32 v19, 7, v10
	v_ffbh_u32_e32 v23, v19
	v_min_u32_e32 v23, 32, v23
	v_subrev_u32_e32 v24, 28, v23
	v_lshlrev_b64 v[24:25], v24, v[10:11]
	v_lshrrev_b32_e32 v21, 3, v12
	v_sub_u32_e32 v23, 29, v23
	v_and_b32_e32 v24, 7, v24
	v_cmp_gt_u32_e32 vcc, 8, v12
	v_cndmask_b32_e32 v12, v21, v23, vcc
	v_cndmask_b32_e32 v19, v19, v24, vcc
	v_lshlrev_b32_e32 v10, 24, v10
	v_bfrev_b32_e32 v21, 60
	v_lshlrev_b32_e32 v19, 20, v19
	v_and_b32_e32 v10, 0x80000000, v10
	v_lshl_add_u32 v12, v12, 23, v21
	v_or3_b32 v10, v10, v12, v19
	v_lshrrev_b32_e32 v19, 16, v10
.LBB886_565:
	s_or_b64 exec, exec, s[12:13]
.LBB886_566:
	s_or_b64 exec, exec, s[10:11]
.LBB886_567:
	s_or_b64 exec, exec, s[8:9]
	v_mov_b32_e32 v12, 0
	v_cmp_ne_u16_sdwa s[10:11], v13, v12 src0_sel:BYTE_0 src1_sel:DWORD
	v_mov_b32_e32 v21, 0
	s_and_saveexec_b64 s[8:9], s[10:11]
	s_cbranch_execz .LBB886_573
; %bb.568:
	s_movk_i32 s7, 0x80
	v_cmp_ne_u16_sdwa s[12:13], v13, s7 src0_sel:BYTE_0 src1_sel:DWORD
	v_mov_b32_e32 v21, 0xffff8000
	s_and_saveexec_b64 s[10:11], s[12:13]
	s_cbranch_execz .LBB886_572
; %bb.569:
	s_movk_i32 s7, 0x7f
	v_and_b32_e32 v10, 0x7f, v13
	v_cmp_ne_u32_e32 vcc, s7, v10
	v_mov_b32_e32 v21, 0x7f80
	s_and_saveexec_b64 s[12:13], vcc
	s_cbranch_execz .LBB886_571
; %bb.570:
	v_and_b32_e32 v21, 7, v13
	v_ffbh_u32_e32 v25, v21
	v_min_u32_e32 v26, 32, v25
	v_mov_b32_e32 v24, v13
	v_subrev_u32_e32 v25, 28, v26
	v_lshlrev_b64 v[24:25], v25, v[24:25]
	v_lshrrev_b32_e32 v23, 3, v10
	v_sub_u32_e32 v25, 29, v26
	v_and_b32_e32 v24, 7, v24
	v_cmp_gt_u32_e32 vcc, 8, v10
	v_cndmask_b32_e32 v10, v23, v25, vcc
	v_cndmask_b32_e32 v21, v21, v24, vcc
	v_lshlrev_b32_e32 v23, 24, v13
	v_bfrev_b32_e32 v24, 60
	v_lshlrev_b32_e32 v21, 20, v21
	v_and_b32_e32 v23, 0x80000000, v23
	v_lshl_add_u32 v10, v10, 23, v24
	v_or3_b32 v10, v23, v10, v21
	v_lshrrev_b32_e32 v21, 16, v10
.LBB886_571:
	s_or_b64 exec, exec, s[12:13]
.LBB886_572:
	s_or_b64 exec, exec, s[10:11]
.LBB886_573:
	s_or_b64 exec, exec, s[8:9]
	v_lshrrev_b16_e32 v10, 8, v13
	v_cmp_ne_u16_e32 vcc, 0, v10
	s_and_saveexec_b64 s[8:9], vcc
	s_cbranch_execz .LBB886_579
; %bb.574:
	s_movk_i32 s7, 0x80
	v_cmp_ne_u16_e32 vcc, s7, v10
	v_mov_b32_e32 v12, 0xffff8000
	s_and_saveexec_b64 s[10:11], vcc
	s_cbranch_execz .LBB886_578
; %bb.575:
	s_movk_i32 s7, 0x7f
	v_and_b32_e32 v23, 0x7f, v10
	v_cmp_ne_u32_e32 vcc, s7, v23
	v_mov_b32_e32 v12, 0x7f80
	s_and_saveexec_b64 s[12:13], vcc
	s_cbranch_execz .LBB886_577
; %bb.576:
	v_and_b32_e32 v12, 7, v10
	v_ffbh_u32_e32 v24, v12
	v_min_u32_e32 v27, 32, v24
	v_subrev_u32_e32 v24, 28, v27
	v_lshlrev_b64 v[24:25], v24, v[10:11]
	v_lshrrev_b32_e32 v26, 3, v23
	v_sub_u32_e32 v10, 29, v27
	v_and_b32_e32 v24, 7, v24
	v_cmp_gt_u32_e32 vcc, 8, v23
	v_cndmask_b32_e32 v10, v26, v10, vcc
	v_cndmask_b32_e32 v12, v12, v24, vcc
	v_lshlrev_b32_e32 v23, 16, v13
	v_bfrev_b32_e32 v24, 60
	v_lshlrev_b32_e32 v12, 20, v12
	v_and_b32_e32 v23, 0x80000000, v23
	v_lshl_add_u32 v10, v10, 23, v24
	v_or3_b32 v10, v23, v10, v12
	v_lshrrev_b32_e32 v12, 16, v10
.LBB886_577:
	s_or_b64 exec, exec, s[12:13]
.LBB886_578:
	s_or_b64 exec, exec, s[10:11]
.LBB886_579:
	s_or_b64 exec, exec, s[8:9]
	s_movk_i32 s7, 0xff
	v_and_b32_sdwa v25, v13, s7 dst_sel:DWORD dst_unused:UNUSED_PAD src0_sel:WORD_1 src1_sel:DWORD
	v_lshrrev_b32_e32 v10, 16, v13
	v_cmp_ne_u16_e32 vcc, 0, v25
	v_mov_b32_e32 v23, 0
	v_mov_b32_e32 v24, 0
	s_and_saveexec_b64 s[8:9], vcc
	s_cbranch_execz .LBB886_585
; %bb.580:
	s_movk_i32 s7, 0x80
	v_cmp_ne_u16_e32 vcc, s7, v25
	v_mov_b32_e32 v24, 0xffff8000
	s_and_saveexec_b64 s[10:11], vcc
	s_cbranch_execz .LBB886_584
; %bb.581:
	v_bfe_u32 v25, v13, 16, 7
	s_movk_i32 s7, 0x7f
	v_cmp_ne_u32_e32 vcc, s7, v25
	v_mov_b32_e32 v24, 0x7f80
	s_and_saveexec_b64 s[12:13], vcc
	s_cbranch_execz .LBB886_583
; %bb.582:
	v_and_b32_e32 v24, 7, v10
	v_ffbh_u32_e32 v26, v24
	v_min_u32_e32 v30, 32, v26
	v_subrev_u32_e32 v26, 28, v30
	v_lshlrev_b64 v[26:27], v26, v[10:11]
	v_lshrrev_b32_e32 v29, 3, v25
	v_sub_u32_e32 v10, 29, v30
	v_and_b32_e32 v26, 7, v26
	v_cmp_gt_u32_e32 vcc, 8, v25
	v_mov_b32_e32 v25, 24
	v_cndmask_b32_e32 v10, v29, v10, vcc
	v_cndmask_b32_e32 v24, v24, v26, vcc
	v_lshlrev_b32_sdwa v25, v25, v13 dst_sel:DWORD dst_unused:UNUSED_PAD src0_sel:DWORD src1_sel:WORD_1
	v_bfrev_b32_e32 v26, 60
	v_lshlrev_b32_e32 v24, 20, v24
	v_and_b32_e32 v25, 0x80000000, v25
	v_lshl_add_u32 v10, v10, 23, v26
	v_or3_b32 v10, v25, v10, v24
	v_lshrrev_b32_e32 v24, 16, v10
.LBB886_583:
	s_or_b64 exec, exec, s[12:13]
.LBB886_584:
	s_or_b64 exec, exec, s[10:11]
.LBB886_585:
	s_or_b64 exec, exec, s[8:9]
	s_mov_b32 s7, 0xffffff
	v_cmp_lt_u32_e32 vcc, s7, v13
	s_and_saveexec_b64 s[8:9], vcc
	s_cbranch_execz .LBB886_591
; %bb.586:
	v_lshrrev_b32_e32 v10, 24, v13
	s_movk_i32 s7, 0x80
	v_cmp_ne_u32_e32 vcc, s7, v10
	v_mov_b32_e32 v23, 0xffff8000
	s_and_saveexec_b64 s[10:11], vcc
	s_cbranch_execz .LBB886_590
; %bb.587:
	v_bfe_u32 v13, v13, 24, 7
	s_movk_i32 s7, 0x7f
	v_cmp_ne_u32_e32 vcc, s7, v13
	v_mov_b32_e32 v23, 0x7f80
	s_and_saveexec_b64 s[12:13], vcc
	s_cbranch_execz .LBB886_589
; %bb.588:
	v_and_b32_e32 v23, 7, v10
	v_ffbh_u32_e32 v26, v23
	v_min_u32_e32 v29, 32, v26
	v_subrev_u32_e32 v26, 28, v29
	v_lshlrev_b64 v[26:27], v26, v[10:11]
	v_lshrrev_b32_e32 v25, 3, v13
	v_sub_u32_e32 v27, 29, v29
	v_and_b32_e32 v26, 7, v26
	v_cmp_gt_u32_e32 vcc, 8, v13
	v_cndmask_b32_e32 v13, v25, v27, vcc
	v_cndmask_b32_e32 v23, v23, v26, vcc
	v_lshlrev_b32_e32 v10, 24, v10
	v_bfrev_b32_e32 v25, 60
	v_lshlrev_b32_e32 v23, 20, v23
	v_and_b32_e32 v10, 0x80000000, v10
	v_lshl_add_u32 v13, v13, 23, v25
	v_or3_b32 v10, v10, v13, v23
	v_lshrrev_b32_e32 v23, 16, v10
.LBB886_589:
	s_or_b64 exec, exec, s[12:13]
.LBB886_590:
	s_or_b64 exec, exec, s[10:11]
.LBB886_591:
	s_or_b64 exec, exec, s[8:9]
	s_mov_b32 s7, 0x5040100
	v_perm_b32 v19, v19, v20, s7
	v_perm_b32 v18, v11, v18, s7
	ds_read_b128 v[30:33], v22 offset:2064
	v_perm_b32 v11, v23, v24, s7
	v_perm_b32 v10, v12, v21, s7
	s_waitcnt lgkmcnt(0)
	v_mfma_f32_16x16x16bf16_1k v[34:37], v[18:19], v[30:31], v[14:17]
	s_nop 6
	v_mov_b32_e32 v15, 0
	s_waitcnt vmcnt(1)
	v_cmp_ne_u16_sdwa s[10:11], v6, v15 src0_sel:BYTE_0 src1_sel:DWORD
	v_mfma_f32_16x16x16bf16_1k v[10:13], v[10:11], v[32:33], v[34:37]
	v_mov_b32_e32 v16, 0
	s_and_saveexec_b64 s[8:9], s[10:11]
	s_cbranch_execz .LBB886_597
; %bb.592:
	s_movk_i32 s7, 0x80
	v_cmp_ne_u16_sdwa s[12:13], v6, s7 src0_sel:BYTE_0 src1_sel:DWORD
	v_mov_b32_e32 v16, 0xffff8000
	s_and_saveexec_b64 s[10:11], s[12:13]
	s_cbranch_execz .LBB886_596
; %bb.593:
	s_movk_i32 s7, 0x7f
	v_and_b32_e32 v14, 0x7f, v6
	v_cmp_ne_u32_e32 vcc, s7, v14
	v_mov_b32_e32 v16, 0x7f80
	s_and_saveexec_b64 s[12:13], vcc
	s_cbranch_execz .LBB886_595
; %bb.594:
	v_and_b32_e32 v18, 7, v6
	v_ffbh_u32_e32 v16, v18
	v_min_u32_e32 v20, 32, v16
	v_subrev_u32_e32 v16, 28, v20
	v_lshlrev_b64 v[16:17], v16, v[6:7]
	v_lshrrev_b32_e32 v19, 3, v14
	v_sub_u32_e32 v17, 29, v20
	v_and_b32_e32 v16, 7, v16
	v_cmp_gt_u32_e32 vcc, 8, v14
	v_cndmask_b32_e32 v14, v19, v17, vcc
	v_cndmask_b32_e32 v16, v18, v16, vcc
	v_lshlrev_b32_e32 v17, 24, v6
	v_bfrev_b32_e32 v18, 60
	v_lshlrev_b32_e32 v16, 20, v16
	v_and_b32_e32 v17, 0x80000000, v17
	v_lshl_add_u32 v14, v14, 23, v18
	v_or3_b32 v14, v17, v14, v16
	v_lshrrev_b32_e32 v16, 16, v14
.LBB886_595:
	s_or_b64 exec, exec, s[12:13]
.LBB886_596:
	s_or_b64 exec, exec, s[10:11]
.LBB886_597:
	s_or_b64 exec, exec, s[8:9]
	v_lshrrev_b16_e32 v14, 8, v6
	v_cmp_ne_u16_e32 vcc, 0, v14
	s_and_saveexec_b64 s[8:9], vcc
	s_cbranch_execz .LBB886_603
; %bb.598:
	s_movk_i32 s7, 0x80
	v_cmp_ne_u16_e32 vcc, s7, v14
	v_mov_b32_e32 v15, 0xffff8000
	s_and_saveexec_b64 s[10:11], vcc
	s_cbranch_execz .LBB886_602
; %bb.599:
	s_movk_i32 s7, 0x7f
	v_and_b32_e32 v17, 0x7f, v14
	v_cmp_ne_u32_e32 vcc, s7, v17
	v_mov_b32_e32 v15, 0x7f80
	s_and_saveexec_b64 s[12:13], vcc
	s_cbranch_execz .LBB886_601
; %bb.600:
	v_and_b32_e32 v18, 7, v14
	v_ffbh_u32_e32 v15, v18
	v_min_u32_e32 v20, 32, v15
	v_subrev_u32_e32 v15, 28, v20
	v_lshlrev_b64 v[14:15], v15, v[14:15]
	v_lshrrev_b32_e32 v19, 3, v17
	v_sub_u32_e32 v15, 29, v20
	v_and_b32_e32 v14, 7, v14
	v_cmp_gt_u32_e32 vcc, 8, v17
	v_cndmask_b32_e32 v15, v19, v15, vcc
	v_cndmask_b32_e32 v14, v18, v14, vcc
	v_lshlrev_b32_e32 v17, 16, v6
	v_bfrev_b32_e32 v18, 60
	v_lshlrev_b32_e32 v14, 20, v14
	v_and_b32_e32 v17, 0x80000000, v17
	v_lshl_add_u32 v15, v15, 23, v18
	v_or3_b32 v14, v17, v15, v14
	v_lshrrev_b32_e32 v15, 16, v14
.LBB886_601:
	s_or_b64 exec, exec, s[12:13]
.LBB886_602:
	s_or_b64 exec, exec, s[10:11]
.LBB886_603:
	s_or_b64 exec, exec, s[8:9]
	s_movk_i32 s7, 0xff
	v_and_b32_sdwa v19, v6, s7 dst_sel:DWORD dst_unused:UNUSED_PAD src0_sel:WORD_1 src1_sel:DWORD
	v_lshrrev_b32_e32 v14, 16, v6
	v_cmp_ne_u16_e32 vcc, 0, v19
	v_mov_b32_e32 v17, 0
	v_mov_b32_e32 v18, 0
	s_and_saveexec_b64 s[8:9], vcc
	s_cbranch_execz .LBB886_609
; %bb.604:
	s_movk_i32 s7, 0x80
	v_cmp_ne_u16_e32 vcc, s7, v19
	v_mov_b32_e32 v18, 0xffff8000
	s_and_saveexec_b64 s[10:11], vcc
	s_cbranch_execz .LBB886_608
; %bb.605:
	v_bfe_u32 v19, v6, 16, 7
	s_movk_i32 s7, 0x7f
	v_cmp_ne_u32_e32 vcc, s7, v19
	v_mov_b32_e32 v18, 0x7f80
	s_and_saveexec_b64 s[12:13], vcc
	s_cbranch_execz .LBB886_607
; %bb.606:
	v_and_b32_e32 v18, 7, v14
	v_ffbh_u32_e32 v20, v18
	v_min_u32_e32 v24, 32, v20
	v_subrev_u32_e32 v20, 28, v24
	v_lshlrev_b64 v[20:21], v20, v[14:15]
	v_lshrrev_b32_e32 v23, 3, v19
	v_sub_u32_e32 v14, 29, v24
	v_and_b32_e32 v20, 7, v20
	v_cmp_gt_u32_e32 vcc, 8, v19
	v_mov_b32_e32 v19, 24
	v_cndmask_b32_e32 v14, v23, v14, vcc
	v_cndmask_b32_e32 v18, v18, v20, vcc
	v_lshlrev_b32_sdwa v19, v19, v6 dst_sel:DWORD dst_unused:UNUSED_PAD src0_sel:DWORD src1_sel:WORD_1
	v_bfrev_b32_e32 v20, 60
	v_lshlrev_b32_e32 v18, 20, v18
	v_and_b32_e32 v19, 0x80000000, v19
	v_lshl_add_u32 v14, v14, 23, v20
	v_or3_b32 v14, v19, v14, v18
	v_lshrrev_b32_e32 v18, 16, v14
.LBB886_607:
	s_or_b64 exec, exec, s[12:13]
.LBB886_608:
	s_or_b64 exec, exec, s[10:11]
.LBB886_609:
	s_or_b64 exec, exec, s[8:9]
	s_mov_b32 s7, 0xffffff
	v_cmp_lt_u32_e32 vcc, s7, v6
	s_and_saveexec_b64 s[8:9], vcc
	s_cbranch_execz .LBB886_615
; %bb.610:
	v_lshrrev_b32_e32 v14, 24, v6
	s_movk_i32 s7, 0x80
	v_cmp_ne_u32_e32 vcc, s7, v14
	v_mov_b32_e32 v17, 0xffff8000
	s_and_saveexec_b64 s[10:11], vcc
	s_cbranch_execz .LBB886_614
; %bb.611:
	v_bfe_u32 v6, v6, 24, 7
	s_movk_i32 s7, 0x7f
	v_cmp_ne_u32_e32 vcc, s7, v6
	v_mov_b32_e32 v17, 0x7f80
	s_and_saveexec_b64 s[12:13], vcc
	s_cbranch_execz .LBB886_613
; %bb.612:
	v_and_b32_e32 v17, 7, v14
	v_ffbh_u32_e32 v20, v17
	v_min_u32_e32 v23, 32, v20
	v_subrev_u32_e32 v20, 28, v23
	v_lshlrev_b64 v[20:21], v20, v[14:15]
	v_lshrrev_b32_e32 v19, 3, v6
	v_sub_u32_e32 v21, 29, v23
	v_and_b32_e32 v20, 7, v20
	v_cmp_gt_u32_e32 vcc, 8, v6
	v_cndmask_b32_e32 v6, v19, v21, vcc
	v_cndmask_b32_e32 v17, v17, v20, vcc
	v_lshlrev_b32_e32 v14, 24, v14
	v_bfrev_b32_e32 v19, 60
	v_lshlrev_b32_e32 v17, 20, v17
	v_and_b32_e32 v14, 0x80000000, v14
	v_lshl_add_u32 v6, v6, 23, v19
	v_or3_b32 v6, v14, v6, v17
	v_lshrrev_b32_e32 v17, 16, v6
.LBB886_613:
	s_or_b64 exec, exec, s[12:13]
.LBB886_614:
	s_or_b64 exec, exec, s[10:11]
.LBB886_615:
	s_or_b64 exec, exec, s[8:9]
	v_mov_b32_e32 v14, 0
	v_cmp_ne_u16_sdwa s[10:11], v7, v14 src0_sel:BYTE_0 src1_sel:DWORD
	v_mov_b32_e32 v19, 0
	s_and_saveexec_b64 s[8:9], s[10:11]
	s_cbranch_execz .LBB886_621
; %bb.616:
	s_movk_i32 s7, 0x80
	v_cmp_ne_u16_sdwa s[12:13], v7, s7 src0_sel:BYTE_0 src1_sel:DWORD
	v_mov_b32_e32 v19, 0xffff8000
	s_and_saveexec_b64 s[10:11], s[12:13]
	s_cbranch_execz .LBB886_620
; %bb.617:
	s_movk_i32 s7, 0x7f
	v_and_b32_e32 v6, 0x7f, v7
	v_cmp_ne_u32_e32 vcc, s7, v6
	v_mov_b32_e32 v19, 0x7f80
	s_and_saveexec_b64 s[12:13], vcc
	s_cbranch_execz .LBB886_619
; %bb.618:
	v_and_b32_e32 v19, 7, v7
	v_ffbh_u32_e32 v21, v19
	v_min_u32_e32 v24, 32, v21
	v_mov_b32_e32 v20, v7
	v_subrev_u32_e32 v21, 28, v24
	v_lshlrev_b64 v[20:21], v21, v[20:21]
	v_lshrrev_b32_e32 v23, 3, v6
	v_sub_u32_e32 v21, 29, v24
	v_and_b32_e32 v20, 7, v20
	v_cmp_gt_u32_e32 vcc, 8, v6
	v_cndmask_b32_e32 v6, v23, v21, vcc
	v_cndmask_b32_e32 v19, v19, v20, vcc
	v_lshlrev_b32_e32 v20, 24, v7
	v_bfrev_b32_e32 v21, 60
	v_lshlrev_b32_e32 v19, 20, v19
	v_and_b32_e32 v20, 0x80000000, v20
	v_lshl_add_u32 v6, v6, 23, v21
	v_or3_b32 v6, v20, v6, v19
	v_lshrrev_b32_e32 v19, 16, v6
.LBB886_619:
	s_or_b64 exec, exec, s[12:13]
.LBB886_620:
	s_or_b64 exec, exec, s[10:11]
.LBB886_621:
	s_or_b64 exec, exec, s[8:9]
	v_lshrrev_b16_e32 v6, 8, v7
	v_cmp_ne_u16_e32 vcc, 0, v6
	s_and_saveexec_b64 s[8:9], vcc
	s_cbranch_execz .LBB886_627
; %bb.622:
	s_movk_i32 s7, 0x80
	v_cmp_ne_u16_e32 vcc, s7, v6
	v_mov_b32_e32 v14, 0xffff8000
	s_and_saveexec_b64 s[10:11], vcc
	s_cbranch_execz .LBB886_626
; %bb.623:
	s_movk_i32 s7, 0x7f
	v_and_b32_e32 v20, 0x7f, v6
	v_cmp_ne_u32_e32 vcc, s7, v20
	v_mov_b32_e32 v14, 0x7f80
	s_and_saveexec_b64 s[12:13], vcc
	s_cbranch_execz .LBB886_625
; %bb.624:
	v_and_b32_e32 v14, 7, v6
	v_ffbh_u32_e32 v23, v14
	v_min_u32_e32 v23, 32, v23
	v_subrev_u32_e32 v24, 28, v23
	v_lshlrev_b64 v[24:25], v24, v[6:7]
	v_lshrrev_b32_e32 v21, 3, v20
	v_sub_u32_e32 v6, 29, v23
	v_and_b32_e32 v23, 7, v24
	v_cmp_gt_u32_e32 vcc, 8, v20
	v_cndmask_b32_e32 v6, v21, v6, vcc
	v_cndmask_b32_e32 v14, v14, v23, vcc
	v_lshlrev_b32_e32 v20, 16, v7
	v_bfrev_b32_e32 v21, 60
	v_lshlrev_b32_e32 v14, 20, v14
	v_and_b32_e32 v20, 0x80000000, v20
	v_lshl_add_u32 v6, v6, 23, v21
	v_or3_b32 v6, v20, v6, v14
	v_lshrrev_b32_e32 v14, 16, v6
.LBB886_625:
	s_or_b64 exec, exec, s[12:13]
.LBB886_626:
	s_or_b64 exec, exec, s[10:11]
.LBB886_627:
	s_or_b64 exec, exec, s[8:9]
	s_movk_i32 s7, 0xff
	v_and_b32_sdwa v23, v7, s7 dst_sel:DWORD dst_unused:UNUSED_PAD src0_sel:WORD_1 src1_sel:DWORD
	v_lshrrev_b32_e32 v6, 16, v7
	v_cmp_ne_u16_e32 vcc, 0, v23
	v_mov_b32_e32 v20, 0
	v_mov_b32_e32 v21, 0
	s_and_saveexec_b64 s[8:9], vcc
	s_cbranch_execz .LBB886_633
; %bb.628:
	s_movk_i32 s7, 0x80
	v_cmp_ne_u16_e32 vcc, s7, v23
	v_mov_b32_e32 v21, 0xffff8000
	s_and_saveexec_b64 s[10:11], vcc
	s_cbranch_execz .LBB886_632
; %bb.629:
	v_bfe_u32 v23, v7, 16, 7
	s_movk_i32 s7, 0x7f
	v_cmp_ne_u32_e32 vcc, s7, v23
	v_mov_b32_e32 v21, 0x7f80
	s_and_saveexec_b64 s[12:13], vcc
	s_cbranch_execz .LBB886_631
; %bb.630:
	v_and_b32_e32 v21, 7, v6
	v_ffbh_u32_e32 v24, v21
	v_min_u32_e32 v27, 32, v24
	v_subrev_u32_e32 v24, 28, v27
	v_lshlrev_b64 v[24:25], v24, v[6:7]
	v_lshrrev_b32_e32 v26, 3, v23
	v_sub_u32_e32 v6, 29, v27
	v_and_b32_e32 v24, 7, v24
	v_cmp_gt_u32_e32 vcc, 8, v23
	v_mov_b32_e32 v23, 24
	v_cndmask_b32_e32 v6, v26, v6, vcc
	v_cndmask_b32_e32 v21, v21, v24, vcc
	v_lshlrev_b32_sdwa v23, v23, v7 dst_sel:DWORD dst_unused:UNUSED_PAD src0_sel:DWORD src1_sel:WORD_1
	v_bfrev_b32_e32 v24, 60
	v_lshlrev_b32_e32 v21, 20, v21
	v_and_b32_e32 v23, 0x80000000, v23
	v_lshl_add_u32 v6, v6, 23, v24
	v_or3_b32 v6, v23, v6, v21
	v_lshrrev_b32_e32 v21, 16, v6
.LBB886_631:
	s_or_b64 exec, exec, s[12:13]
.LBB886_632:
	s_or_b64 exec, exec, s[10:11]
.LBB886_633:
	s_or_b64 exec, exec, s[8:9]
	s_mov_b32 s7, 0xffffff
	v_cmp_lt_u32_e32 vcc, s7, v7
	s_and_saveexec_b64 s[8:9], vcc
	s_cbranch_execz .LBB886_639
; %bb.634:
	v_lshrrev_b32_e32 v6, 24, v7
	s_movk_i32 s7, 0x80
	v_cmp_ne_u32_e32 vcc, s7, v6
	v_mov_b32_e32 v20, 0xffff8000
	s_and_saveexec_b64 s[10:11], vcc
	s_cbranch_execz .LBB886_638
; %bb.635:
	v_bfe_u32 v7, v7, 24, 7
	s_movk_i32 s7, 0x7f
	v_cmp_ne_u32_e32 vcc, s7, v7
	v_mov_b32_e32 v20, 0x7f80
	s_and_saveexec_b64 s[12:13], vcc
	s_cbranch_execz .LBB886_637
; %bb.636:
	v_and_b32_e32 v20, 7, v6
	v_ffbh_u32_e32 v24, v20
	v_min_u32_e32 v26, 32, v24
	v_subrev_u32_e32 v24, 28, v26
	v_lshlrev_b64 v[24:25], v24, v[6:7]
	v_lshrrev_b32_e32 v23, 3, v7
	v_sub_u32_e32 v25, 29, v26
	v_and_b32_e32 v24, 7, v24
	v_cmp_gt_u32_e32 vcc, 8, v7
	v_cndmask_b32_e32 v7, v23, v25, vcc
	v_cndmask_b32_e32 v20, v20, v24, vcc
	v_lshlrev_b32_e32 v6, 24, v6
	v_bfrev_b32_e32 v23, 60
	v_lshlrev_b32_e32 v20, 20, v20
	v_and_b32_e32 v6, 0x80000000, v6
	v_lshl_add_u32 v7, v7, 23, v23
	v_or3_b32 v6, v6, v7, v20
	v_lshrrev_b32_e32 v20, 16, v6
.LBB886_637:
	s_or_b64 exec, exec, s[12:13]
.LBB886_638:
	s_or_b64 exec, exec, s[10:11]
.LBB886_639:
	s_or_b64 exec, exec, s[8:9]
	s_mov_b32 s7, 0x5040100
	v_perm_b32 v7, v17, v18, s7
	v_perm_b32 v6, v15, v16, s7
	ds_read_b128 v[24:27], v22 offset:4096
	v_perm_b32 v17, v20, v21, s7
	v_perm_b32 v16, v14, v19, s7
	s_waitcnt lgkmcnt(0)
	v_mfma_f32_16x16x16bf16_1k v[10:13], v[6:7], v[24:25], v[10:13]
	v_mov_b32_e32 v7, 0
	v_cmp_ne_u16_sdwa s[10:11], v8, v7 src0_sel:BYTE_0 src1_sel:DWORD
	v_mov_b32_e32 v14, 0
	v_mfma_f32_16x16x16bf16_1k v[10:13], v[16:17], v[26:27], v[10:13]
	s_and_saveexec_b64 s[8:9], s[10:11]
	s_cbranch_execz .LBB886_645
; %bb.640:
	s_movk_i32 s7, 0x80
	v_cmp_ne_u16_sdwa s[12:13], v8, s7 src0_sel:BYTE_0 src1_sel:DWORD
	v_mov_b32_e32 v14, 0xffff8000
	s_and_saveexec_b64 s[10:11], s[12:13]
	s_cbranch_execz .LBB886_644
; %bb.641:
	s_movk_i32 s7, 0x7f
	v_and_b32_e32 v6, 0x7f, v8
	v_cmp_ne_u32_e32 vcc, s7, v6
	v_mov_b32_e32 v14, 0x7f80
	s_and_saveexec_b64 s[12:13], vcc
	s_cbranch_execz .LBB886_643
; %bb.642:
	v_and_b32_e32 v16, 7, v8
	v_ffbh_u32_e32 v14, v16
	v_min_u32_e32 v18, 32, v14
	v_subrev_u32_e32 v14, 28, v18
	v_lshlrev_b64 v[14:15], v14, v[8:9]
	v_lshrrev_b32_e32 v17, 3, v6
	v_sub_u32_e32 v15, 29, v18
	v_and_b32_e32 v14, 7, v14
	v_cmp_gt_u32_e32 vcc, 8, v6
	v_cndmask_b32_e32 v6, v17, v15, vcc
	v_cndmask_b32_e32 v14, v16, v14, vcc
	v_lshlrev_b32_e32 v15, 24, v8
	v_bfrev_b32_e32 v16, 60
	v_lshlrev_b32_e32 v14, 20, v14
	v_and_b32_e32 v15, 0x80000000, v15
	v_lshl_add_u32 v6, v6, 23, v16
	v_or3_b32 v6, v15, v6, v14
	v_lshrrev_b32_e32 v14, 16, v6
.LBB886_643:
	s_or_b64 exec, exec, s[12:13]
.LBB886_644:
	s_or_b64 exec, exec, s[10:11]
.LBB886_645:
	s_or_b64 exec, exec, s[8:9]
	v_lshrrev_b16_e32 v6, 8, v8
	v_cmp_ne_u16_e32 vcc, 0, v6
	s_and_saveexec_b64 s[8:9], vcc
	s_cbranch_execz .LBB886_651
; %bb.646:
	s_movk_i32 s7, 0x80
	v_cmp_ne_u16_e32 vcc, s7, v6
	v_mov_b32_e32 v7, 0xffff8000
	s_and_saveexec_b64 s[10:11], vcc
	s_cbranch_execz .LBB886_650
; %bb.647:
	s_movk_i32 s7, 0x7f
	v_and_b32_e32 v15, 0x7f, v6
	v_cmp_ne_u32_e32 vcc, s7, v15
	v_mov_b32_e32 v7, 0x7f80
	s_and_saveexec_b64 s[12:13], vcc
	s_cbranch_execz .LBB886_649
; %bb.648:
	v_and_b32_e32 v16, 7, v6
	v_ffbh_u32_e32 v7, v16
	v_min_u32_e32 v18, 32, v7
	v_subrev_u32_e32 v7, 28, v18
	v_lshlrev_b64 v[6:7], v7, v[6:7]
	v_lshrrev_b32_e32 v17, 3, v15
	v_sub_u32_e32 v7, 29, v18
	v_and_b32_e32 v6, 7, v6
	v_cmp_gt_u32_e32 vcc, 8, v15
	v_cndmask_b32_e32 v7, v17, v7, vcc
	v_cndmask_b32_e32 v6, v16, v6, vcc
	v_lshlrev_b32_e32 v15, 16, v8
	v_bfrev_b32_e32 v16, 60
	v_lshlrev_b32_e32 v6, 20, v6
	v_and_b32_e32 v15, 0x80000000, v15
	v_lshl_add_u32 v7, v7, 23, v16
	v_or3_b32 v6, v15, v7, v6
	v_lshrrev_b32_e32 v7, 16, v6
.LBB886_649:
	s_or_b64 exec, exec, s[12:13]
.LBB886_650:
	s_or_b64 exec, exec, s[10:11]
.LBB886_651:
	s_or_b64 exec, exec, s[8:9]
	s_movk_i32 s7, 0xff
	v_and_b32_sdwa v17, v8, s7 dst_sel:DWORD dst_unused:UNUSED_PAD src0_sel:WORD_1 src1_sel:DWORD
	v_lshrrev_b32_e32 v6, 16, v8
	v_cmp_ne_u16_e32 vcc, 0, v17
	v_mov_b32_e32 v15, 0
	v_mov_b32_e32 v16, 0
	s_and_saveexec_b64 s[8:9], vcc
	s_cbranch_execz .LBB886_657
; %bb.652:
	s_movk_i32 s7, 0x80
	v_cmp_ne_u16_e32 vcc, s7, v17
	v_mov_b32_e32 v16, 0xffff8000
	s_and_saveexec_b64 s[10:11], vcc
	s_cbranch_execz .LBB886_656
; %bb.653:
	v_bfe_u32 v17, v8, 16, 7
	s_movk_i32 s7, 0x7f
	v_cmp_ne_u32_e32 vcc, s7, v17
	v_mov_b32_e32 v16, 0x7f80
	s_and_saveexec_b64 s[12:13], vcc
	s_cbranch_execz .LBB886_655
; %bb.654:
	v_and_b32_e32 v16, 7, v6
	v_ffbh_u32_e32 v18, v16
	v_min_u32_e32 v21, 32, v18
	v_subrev_u32_e32 v18, 28, v21
	v_lshlrev_b64 v[18:19], v18, v[6:7]
	v_lshrrev_b32_e32 v20, 3, v17
	v_sub_u32_e32 v6, 29, v21
	v_and_b32_e32 v18, 7, v18
	v_cmp_gt_u32_e32 vcc, 8, v17
	v_mov_b32_e32 v17, 24
	v_cndmask_b32_e32 v6, v20, v6, vcc
	v_cndmask_b32_e32 v16, v16, v18, vcc
	v_lshlrev_b32_sdwa v17, v17, v8 dst_sel:DWORD dst_unused:UNUSED_PAD src0_sel:DWORD src1_sel:WORD_1
	v_bfrev_b32_e32 v18, 60
	v_lshlrev_b32_e32 v16, 20, v16
	v_and_b32_e32 v17, 0x80000000, v17
	v_lshl_add_u32 v6, v6, 23, v18
	v_or3_b32 v6, v17, v6, v16
	v_lshrrev_b32_e32 v16, 16, v6
.LBB886_655:
	s_or_b64 exec, exec, s[12:13]
.LBB886_656:
	s_or_b64 exec, exec, s[10:11]
.LBB886_657:
	s_or_b64 exec, exec, s[8:9]
	s_mov_b32 s7, 0xffffff
	v_cmp_lt_u32_e32 vcc, s7, v8
	s_and_saveexec_b64 s[8:9], vcc
	s_cbranch_execz .LBB886_663
; %bb.658:
	v_lshrrev_b32_e32 v6, 24, v8
	s_movk_i32 s7, 0x80
	v_cmp_ne_u32_e32 vcc, s7, v6
	v_mov_b32_e32 v15, 0xffff8000
	s_and_saveexec_b64 s[10:11], vcc
	s_cbranch_execz .LBB886_662
; %bb.659:
	v_bfe_u32 v8, v8, 24, 7
	s_movk_i32 s7, 0x7f
	v_cmp_ne_u32_e32 vcc, s7, v8
	v_mov_b32_e32 v15, 0x7f80
	s_and_saveexec_b64 s[12:13], vcc
	s_cbranch_execz .LBB886_661
; %bb.660:
	v_and_b32_e32 v15, 7, v6
	v_ffbh_u32_e32 v18, v15
	v_min_u32_e32 v20, 32, v18
	v_subrev_u32_e32 v18, 28, v20
	v_lshlrev_b64 v[18:19], v18, v[6:7]
	v_lshrrev_b32_e32 v17, 3, v8
	v_sub_u32_e32 v19, 29, v20
	v_and_b32_e32 v18, 7, v18
	v_cmp_gt_u32_e32 vcc, 8, v8
	v_cndmask_b32_e32 v8, v17, v19, vcc
	v_cndmask_b32_e32 v15, v15, v18, vcc
	v_lshlrev_b32_e32 v6, 24, v6
	v_bfrev_b32_e32 v17, 60
	v_lshlrev_b32_e32 v15, 20, v15
	v_and_b32_e32 v6, 0x80000000, v6
	v_lshl_add_u32 v8, v8, 23, v17
	v_or3_b32 v6, v6, v8, v15
	v_lshrrev_b32_e32 v15, 16, v6
.LBB886_661:
	s_or_b64 exec, exec, s[12:13]
.LBB886_662:
	s_or_b64 exec, exec, s[10:11]
.LBB886_663:
	s_or_b64 exec, exec, s[8:9]
	v_mov_b32_e32 v8, 0
	v_cmp_ne_u16_sdwa s[10:11], v9, v8 src0_sel:BYTE_0 src1_sel:DWORD
	v_mov_b32_e32 v17, 0
	s_and_saveexec_b64 s[8:9], s[10:11]
	s_cbranch_execz .LBB886_669
; %bb.664:
	s_movk_i32 s7, 0x80
	v_cmp_ne_u16_sdwa s[12:13], v9, s7 src0_sel:BYTE_0 src1_sel:DWORD
	v_mov_b32_e32 v17, 0xffff8000
	s_and_saveexec_b64 s[10:11], s[12:13]
	s_cbranch_execz .LBB886_668
; %bb.665:
	s_movk_i32 s7, 0x7f
	v_and_b32_e32 v6, 0x7f, v9
	v_cmp_ne_u32_e32 vcc, s7, v6
	v_mov_b32_e32 v17, 0x7f80
	s_and_saveexec_b64 s[12:13], vcc
	s_cbranch_execz .LBB886_667
; %bb.666:
	v_and_b32_e32 v17, 7, v9
	v_ffbh_u32_e32 v19, v17
	v_min_u32_e32 v21, 32, v19
	v_mov_b32_e32 v18, v9
	v_subrev_u32_e32 v19, 28, v21
	v_lshlrev_b64 v[18:19], v19, v[18:19]
	v_lshrrev_b32_e32 v20, 3, v6
	v_sub_u32_e32 v19, 29, v21
	v_and_b32_e32 v18, 7, v18
	v_cmp_gt_u32_e32 vcc, 8, v6
	v_cndmask_b32_e32 v6, v20, v19, vcc
	v_cndmask_b32_e32 v17, v17, v18, vcc
	v_lshlrev_b32_e32 v18, 24, v9
	v_bfrev_b32_e32 v19, 60
	v_lshlrev_b32_e32 v17, 20, v17
	v_and_b32_e32 v18, 0x80000000, v18
	v_lshl_add_u32 v6, v6, 23, v19
	v_or3_b32 v6, v18, v6, v17
	v_lshrrev_b32_e32 v17, 16, v6
.LBB886_667:
	s_or_b64 exec, exec, s[12:13]
.LBB886_668:
	s_or_b64 exec, exec, s[10:11]
.LBB886_669:
	s_or_b64 exec, exec, s[8:9]
	v_lshrrev_b16_e32 v6, 8, v9
	v_cmp_ne_u16_e32 vcc, 0, v6
	s_and_saveexec_b64 s[8:9], vcc
	s_cbranch_execz .LBB886_675
; %bb.670:
	s_movk_i32 s7, 0x80
	v_cmp_ne_u16_e32 vcc, s7, v6
	v_mov_b32_e32 v8, 0xffff8000
	s_and_saveexec_b64 s[10:11], vcc
	s_cbranch_execz .LBB886_674
; %bb.671:
	s_movk_i32 s7, 0x7f
	v_and_b32_e32 v18, 0x7f, v6
	v_cmp_ne_u32_e32 vcc, s7, v18
	v_mov_b32_e32 v8, 0x7f80
	s_and_saveexec_b64 s[12:13], vcc
	s_cbranch_execz .LBB886_673
; %bb.672:
	v_and_b32_e32 v8, 7, v6
	v_ffbh_u32_e32 v20, v8
	v_min_u32_e32 v23, 32, v20
	v_subrev_u32_e32 v20, 28, v23
	v_lshlrev_b64 v[20:21], v20, v[6:7]
	v_lshrrev_b32_e32 v19, 3, v18
	v_sub_u32_e32 v6, 29, v23
	v_and_b32_e32 v20, 7, v20
	v_cmp_gt_u32_e32 vcc, 8, v18
	v_cndmask_b32_e32 v6, v19, v6, vcc
	v_cndmask_b32_e32 v8, v8, v20, vcc
	v_lshlrev_b32_e32 v18, 16, v9
	v_bfrev_b32_e32 v19, 60
	v_lshlrev_b32_e32 v8, 20, v8
	v_and_b32_e32 v18, 0x80000000, v18
	v_lshl_add_u32 v6, v6, 23, v19
	v_or3_b32 v6, v18, v6, v8
	v_lshrrev_b32_e32 v8, 16, v6
.LBB886_673:
	s_or_b64 exec, exec, s[12:13]
.LBB886_674:
	s_or_b64 exec, exec, s[10:11]
.LBB886_675:
	s_or_b64 exec, exec, s[8:9]
	s_movk_i32 s7, 0xff
	v_and_b32_sdwa v20, v9, s7 dst_sel:DWORD dst_unused:UNUSED_PAD src0_sel:WORD_1 src1_sel:DWORD
	v_lshrrev_b32_e32 v6, 16, v9
	v_cmp_ne_u16_e32 vcc, 0, v20
	v_mov_b32_e32 v18, 0
	v_mov_b32_e32 v19, 0
	s_and_saveexec_b64 s[8:9], vcc
	s_cbranch_execz .LBB886_681
; %bb.676:
	s_movk_i32 s7, 0x80
	v_cmp_ne_u16_e32 vcc, s7, v20
	v_mov_b32_e32 v19, 0xffff8000
	s_and_saveexec_b64 s[10:11], vcc
	s_cbranch_execz .LBB886_680
; %bb.677:
	v_bfe_u32 v20, v9, 16, 7
	s_movk_i32 s7, 0x7f
	v_cmp_ne_u32_e32 vcc, s7, v20
	v_mov_b32_e32 v19, 0x7f80
	s_and_saveexec_b64 s[12:13], vcc
	s_cbranch_execz .LBB886_679
; %bb.678:
	v_and_b32_e32 v19, 7, v6
	v_ffbh_u32_e32 v23, v19
	v_min_u32_e32 v23, 32, v23
	v_subrev_u32_e32 v24, 28, v23
	v_lshlrev_b64 v[24:25], v24, v[6:7]
	v_lshrrev_b32_e32 v21, 3, v20
	v_sub_u32_e32 v6, 29, v23
	v_and_b32_e32 v23, 7, v24
	v_cmp_gt_u32_e32 vcc, 8, v20
	v_mov_b32_e32 v20, 24
	v_cndmask_b32_e32 v6, v21, v6, vcc
	v_cndmask_b32_e32 v19, v19, v23, vcc
	v_lshlrev_b32_sdwa v20, v20, v9 dst_sel:DWORD dst_unused:UNUSED_PAD src0_sel:DWORD src1_sel:WORD_1
	v_bfrev_b32_e32 v21, 60
	v_lshlrev_b32_e32 v19, 20, v19
	v_and_b32_e32 v20, 0x80000000, v20
	v_lshl_add_u32 v6, v6, 23, v21
	v_or3_b32 v6, v20, v6, v19
	v_lshrrev_b32_e32 v19, 16, v6
.LBB886_679:
	s_or_b64 exec, exec, s[12:13]
.LBB886_680:
	s_or_b64 exec, exec, s[10:11]
.LBB886_681:
	s_or_b64 exec, exec, s[8:9]
	s_mov_b32 s7, 0xffffff
	v_cmp_lt_u32_e32 vcc, s7, v9
	s_and_saveexec_b64 s[8:9], vcc
	s_cbranch_execz .LBB886_687
; %bb.682:
	v_lshrrev_b32_e32 v6, 24, v9
	s_movk_i32 s7, 0x80
	v_cmp_ne_u32_e32 vcc, s7, v6
	v_mov_b32_e32 v18, 0xffff8000
	s_and_saveexec_b64 s[10:11], vcc
	s_cbranch_execz .LBB886_686
; %bb.683:
	v_bfe_u32 v9, v9, 24, 7
	s_movk_i32 s7, 0x7f
	v_cmp_ne_u32_e32 vcc, s7, v9
	v_mov_b32_e32 v18, 0x7f80
	s_and_saveexec_b64 s[12:13], vcc
	s_cbranch_execz .LBB886_685
; %bb.684:
	v_and_b32_e32 v18, 7, v6
	v_ffbh_u32_e32 v20, v18
	v_min_u32_e32 v24, 32, v20
	v_subrev_u32_e32 v20, 28, v24
	v_lshlrev_b64 v[20:21], v20, v[6:7]
	v_lshrrev_b32_e32 v23, 3, v9
	v_sub_u32_e32 v21, 29, v24
	v_and_b32_e32 v20, 7, v20
	v_cmp_gt_u32_e32 vcc, 8, v9
	v_cndmask_b32_e32 v9, v23, v21, vcc
	v_cndmask_b32_e32 v18, v18, v20, vcc
	v_lshlrev_b32_e32 v6, 24, v6
	v_bfrev_b32_e32 v20, 60
	v_lshlrev_b32_e32 v18, 20, v18
	v_and_b32_e32 v6, 0x80000000, v6
	v_lshl_add_u32 v9, v9, 23, v20
	v_or3_b32 v6, v6, v9, v18
	v_lshrrev_b32_e32 v18, 16, v6
.LBB886_685:
	s_or_b64 exec, exec, s[12:13]
.LBB886_686:
	s_or_b64 exec, exec, s[10:11]
.LBB886_687:
	s_or_b64 exec, exec, s[8:9]
	s_mov_b32 s7, 0x5040100
	v_perm_b32 v15, v15, v16, s7
	v_perm_b32 v14, v7, v14, s7
	ds_read_b128 v[24:27], v22 offset:4112
	v_perm_b32 v7, v18, v19, s7
	v_perm_b32 v6, v8, v17, s7
	s_waitcnt lgkmcnt(0)
	v_mfma_f32_16x16x16bf16_1k v[30:33], v[14:15], v[24:25], v[10:13]
	s_nop 6
	v_mov_b32_e32 v11, 0
	s_waitcnt vmcnt(0)
	v_cmp_ne_u16_sdwa s[10:11], v2, v11 src0_sel:BYTE_0 src1_sel:DWORD
	v_mfma_f32_16x16x16bf16_1k v[6:9], v[6:7], v[26:27], v[30:33]
	v_mov_b32_e32 v12, 0
	s_and_saveexec_b64 s[8:9], s[10:11]
	s_cbranch_execz .LBB886_693
; %bb.688:
	s_movk_i32 s7, 0x80
	v_cmp_ne_u16_sdwa s[12:13], v2, s7 src0_sel:BYTE_0 src1_sel:DWORD
	v_mov_b32_e32 v12, 0xffff8000
	s_and_saveexec_b64 s[10:11], s[12:13]
	s_cbranch_execz .LBB886_692
; %bb.689:
	s_movk_i32 s7, 0x7f
	v_and_b32_e32 v10, 0x7f, v2
	v_cmp_ne_u32_e32 vcc, s7, v10
	v_mov_b32_e32 v12, 0x7f80
	s_and_saveexec_b64 s[12:13], vcc
	s_cbranch_execz .LBB886_691
; %bb.690:
	v_and_b32_e32 v14, 7, v2
	v_ffbh_u32_e32 v12, v14
	v_min_u32_e32 v16, 32, v12
	v_subrev_u32_e32 v12, 28, v16
	v_lshlrev_b64 v[12:13], v12, v[2:3]
	v_lshrrev_b32_e32 v15, 3, v10
	v_sub_u32_e32 v13, 29, v16
	v_and_b32_e32 v12, 7, v12
	v_cmp_gt_u32_e32 vcc, 8, v10
	v_cndmask_b32_e32 v10, v15, v13, vcc
	v_cndmask_b32_e32 v12, v14, v12, vcc
	v_lshlrev_b32_e32 v13, 24, v2
	v_bfrev_b32_e32 v14, 60
	v_lshlrev_b32_e32 v12, 20, v12
	v_and_b32_e32 v13, 0x80000000, v13
	v_lshl_add_u32 v10, v10, 23, v14
	v_or3_b32 v10, v13, v10, v12
	v_lshrrev_b32_e32 v12, 16, v10
.LBB886_691:
	s_or_b64 exec, exec, s[12:13]
.LBB886_692:
	s_or_b64 exec, exec, s[10:11]
.LBB886_693:
	s_or_b64 exec, exec, s[8:9]
	v_lshrrev_b16_e32 v10, 8, v2
	v_cmp_ne_u16_e32 vcc, 0, v10
	s_and_saveexec_b64 s[8:9], vcc
	s_cbranch_execz .LBB886_699
; %bb.694:
	s_movk_i32 s7, 0x80
	v_cmp_ne_u16_e32 vcc, s7, v10
	v_mov_b32_e32 v11, 0xffff8000
	s_and_saveexec_b64 s[10:11], vcc
	s_cbranch_execz .LBB886_698
; %bb.695:
	s_movk_i32 s7, 0x7f
	v_and_b32_e32 v13, 0x7f, v10
	v_cmp_ne_u32_e32 vcc, s7, v13
	v_mov_b32_e32 v11, 0x7f80
	s_and_saveexec_b64 s[12:13], vcc
	s_cbranch_execz .LBB886_697
; %bb.696:
	v_and_b32_e32 v14, 7, v10
	v_ffbh_u32_e32 v11, v14
	v_min_u32_e32 v16, 32, v11
	v_subrev_u32_e32 v11, 28, v16
	v_lshlrev_b64 v[10:11], v11, v[10:11]
	v_lshrrev_b32_e32 v15, 3, v13
	v_sub_u32_e32 v11, 29, v16
	v_and_b32_e32 v10, 7, v10
	v_cmp_gt_u32_e32 vcc, 8, v13
	v_cndmask_b32_e32 v11, v15, v11, vcc
	v_cndmask_b32_e32 v10, v14, v10, vcc
	v_lshlrev_b32_e32 v13, 16, v2
	v_bfrev_b32_e32 v14, 60
	v_lshlrev_b32_e32 v10, 20, v10
	v_and_b32_e32 v13, 0x80000000, v13
	v_lshl_add_u32 v11, v11, 23, v14
	v_or3_b32 v10, v13, v11, v10
	v_lshrrev_b32_e32 v11, 16, v10
.LBB886_697:
	s_or_b64 exec, exec, s[12:13]
.LBB886_698:
	s_or_b64 exec, exec, s[10:11]
.LBB886_699:
	s_or_b64 exec, exec, s[8:9]
	s_movk_i32 s7, 0xff
	v_and_b32_sdwa v15, v2, s7 dst_sel:DWORD dst_unused:UNUSED_PAD src0_sel:WORD_1 src1_sel:DWORD
	v_lshrrev_b32_e32 v10, 16, v2
	v_cmp_ne_u16_e32 vcc, 0, v15
	v_mov_b32_e32 v13, 0
	v_mov_b32_e32 v14, 0
	s_and_saveexec_b64 s[8:9], vcc
	s_cbranch_execz .LBB886_705
; %bb.700:
	s_movk_i32 s7, 0x80
	v_cmp_ne_u16_e32 vcc, s7, v15
	v_mov_b32_e32 v14, 0xffff8000
	s_and_saveexec_b64 s[10:11], vcc
	s_cbranch_execz .LBB886_704
; %bb.701:
	v_bfe_u32 v15, v2, 16, 7
	s_movk_i32 s7, 0x7f
	v_cmp_ne_u32_e32 vcc, s7, v15
	v_mov_b32_e32 v14, 0x7f80
	s_and_saveexec_b64 s[12:13], vcc
	s_cbranch_execz .LBB886_703
; %bb.702:
	v_and_b32_e32 v14, 7, v10
	v_ffbh_u32_e32 v16, v14
	v_min_u32_e32 v19, 32, v16
	v_subrev_u32_e32 v16, 28, v19
	v_lshlrev_b64 v[16:17], v16, v[10:11]
	v_lshrrev_b32_e32 v18, 3, v15
	v_sub_u32_e32 v10, 29, v19
	v_and_b32_e32 v16, 7, v16
	v_cmp_gt_u32_e32 vcc, 8, v15
	v_mov_b32_e32 v15, 24
	v_cndmask_b32_e32 v10, v18, v10, vcc
	v_cndmask_b32_e32 v14, v14, v16, vcc
	v_lshlrev_b32_sdwa v15, v15, v2 dst_sel:DWORD dst_unused:UNUSED_PAD src0_sel:DWORD src1_sel:WORD_1
	v_bfrev_b32_e32 v16, 60
	v_lshlrev_b32_e32 v14, 20, v14
	v_and_b32_e32 v15, 0x80000000, v15
	v_lshl_add_u32 v10, v10, 23, v16
	v_or3_b32 v10, v15, v10, v14
	v_lshrrev_b32_e32 v14, 16, v10
.LBB886_703:
	s_or_b64 exec, exec, s[12:13]
.LBB886_704:
	s_or_b64 exec, exec, s[10:11]
.LBB886_705:
	s_or_b64 exec, exec, s[8:9]
	s_mov_b32 s7, 0xffffff
	v_cmp_lt_u32_e32 vcc, s7, v2
	s_and_saveexec_b64 s[8:9], vcc
	s_cbranch_execz .LBB886_711
; %bb.706:
	v_lshrrev_b32_e32 v10, 24, v2
	s_movk_i32 s7, 0x80
	v_cmp_ne_u32_e32 vcc, s7, v10
	v_mov_b32_e32 v13, 0xffff8000
	s_and_saveexec_b64 s[10:11], vcc
	s_cbranch_execz .LBB886_710
; %bb.707:
	v_bfe_u32 v2, v2, 24, 7
	s_movk_i32 s7, 0x7f
	v_cmp_ne_u32_e32 vcc, s7, v2
	v_mov_b32_e32 v13, 0x7f80
	s_and_saveexec_b64 s[12:13], vcc
	s_cbranch_execz .LBB886_709
; %bb.708:
	v_and_b32_e32 v13, 7, v10
	v_ffbh_u32_e32 v16, v13
	v_min_u32_e32 v18, 32, v16
	v_subrev_u32_e32 v16, 28, v18
	v_lshlrev_b64 v[16:17], v16, v[10:11]
	v_lshrrev_b32_e32 v15, 3, v2
	v_sub_u32_e32 v17, 29, v18
	v_and_b32_e32 v16, 7, v16
	v_cmp_gt_u32_e32 vcc, 8, v2
	v_cndmask_b32_e32 v2, v15, v17, vcc
	v_cndmask_b32_e32 v13, v13, v16, vcc
	v_lshlrev_b32_e32 v10, 24, v10
	v_bfrev_b32_e32 v15, 60
	v_lshlrev_b32_e32 v13, 20, v13
	v_and_b32_e32 v10, 0x80000000, v10
	v_lshl_add_u32 v2, v2, 23, v15
	v_or3_b32 v2, v10, v2, v13
	v_lshrrev_b32_e32 v13, 16, v2
.LBB886_709:
	s_or_b64 exec, exec, s[12:13]
.LBB886_710:
	s_or_b64 exec, exec, s[10:11]
.LBB886_711:
	s_or_b64 exec, exec, s[8:9]
	v_mov_b32_e32 v10, 0
	v_cmp_ne_u16_sdwa s[10:11], v3, v10 src0_sel:BYTE_0 src1_sel:DWORD
	v_mov_b32_e32 v15, 0
	s_and_saveexec_b64 s[8:9], s[10:11]
	s_cbranch_execz .LBB886_717
; %bb.712:
	s_movk_i32 s7, 0x80
	v_cmp_ne_u16_sdwa s[12:13], v3, s7 src0_sel:BYTE_0 src1_sel:DWORD
	v_mov_b32_e32 v15, 0xffff8000
	s_and_saveexec_b64 s[10:11], s[12:13]
	s_cbranch_execz .LBB886_716
; %bb.713:
	s_movk_i32 s7, 0x7f
	v_and_b32_e32 v2, 0x7f, v3
	v_cmp_ne_u32_e32 vcc, s7, v2
	v_mov_b32_e32 v15, 0x7f80
	s_and_saveexec_b64 s[12:13], vcc
	s_cbranch_execz .LBB886_715
; %bb.714:
	v_and_b32_e32 v15, 7, v3
	v_ffbh_u32_e32 v17, v15
	v_min_u32_e32 v19, 32, v17
	v_mov_b32_e32 v16, v3
	v_subrev_u32_e32 v17, 28, v19
	v_lshlrev_b64 v[16:17], v17, v[16:17]
	v_lshrrev_b32_e32 v18, 3, v2
	v_sub_u32_e32 v17, 29, v19
	v_and_b32_e32 v16, 7, v16
	v_cmp_gt_u32_e32 vcc, 8, v2
	v_cndmask_b32_e32 v2, v18, v17, vcc
	v_cndmask_b32_e32 v15, v15, v16, vcc
	v_lshlrev_b32_e32 v16, 24, v3
	v_bfrev_b32_e32 v17, 60
	v_lshlrev_b32_e32 v15, 20, v15
	v_and_b32_e32 v16, 0x80000000, v16
	v_lshl_add_u32 v2, v2, 23, v17
	v_or3_b32 v2, v16, v2, v15
	v_lshrrev_b32_e32 v15, 16, v2
.LBB886_715:
	s_or_b64 exec, exec, s[12:13]
.LBB886_716:
	s_or_b64 exec, exec, s[10:11]
.LBB886_717:
	s_or_b64 exec, exec, s[8:9]
	v_lshrrev_b16_e32 v2, 8, v3
	v_cmp_ne_u16_e32 vcc, 0, v2
	s_and_saveexec_b64 s[8:9], vcc
	s_cbranch_execz .LBB886_723
; %bb.718:
	s_movk_i32 s7, 0x80
	v_cmp_ne_u16_e32 vcc, s7, v2
	v_mov_b32_e32 v10, 0xffff8000
	s_and_saveexec_b64 s[10:11], vcc
	s_cbranch_execz .LBB886_722
; %bb.719:
	s_movk_i32 s7, 0x7f
	v_and_b32_e32 v16, 0x7f, v2
	v_cmp_ne_u32_e32 vcc, s7, v16
	v_mov_b32_e32 v10, 0x7f80
	s_and_saveexec_b64 s[12:13], vcc
	s_cbranch_execz .LBB886_721
; %bb.720:
	v_and_b32_e32 v10, 7, v2
	v_ffbh_u32_e32 v18, v10
	v_min_u32_e32 v20, 32, v18
	v_subrev_u32_e32 v18, 28, v20
	v_lshlrev_b64 v[18:19], v18, v[2:3]
	v_lshrrev_b32_e32 v17, 3, v16
	v_sub_u32_e32 v2, 29, v20
	v_and_b32_e32 v18, 7, v18
	v_cmp_gt_u32_e32 vcc, 8, v16
	v_cndmask_b32_e32 v2, v17, v2, vcc
	v_cndmask_b32_e32 v10, v10, v18, vcc
	v_lshlrev_b32_e32 v16, 16, v3
	v_bfrev_b32_e32 v17, 60
	v_lshlrev_b32_e32 v10, 20, v10
	v_and_b32_e32 v16, 0x80000000, v16
	v_lshl_add_u32 v2, v2, 23, v17
	v_or3_b32 v2, v16, v2, v10
	v_lshrrev_b32_e32 v10, 16, v2
.LBB886_721:
	s_or_b64 exec, exec, s[12:13]
.LBB886_722:
	s_or_b64 exec, exec, s[10:11]
.LBB886_723:
	s_or_b64 exec, exec, s[8:9]
	s_movk_i32 s7, 0xff
	v_and_b32_sdwa v18, v3, s7 dst_sel:DWORD dst_unused:UNUSED_PAD src0_sel:WORD_1 src1_sel:DWORD
	v_lshrrev_b32_e32 v2, 16, v3
	v_cmp_ne_u16_e32 vcc, 0, v18
	v_mov_b32_e32 v16, 0
	v_mov_b32_e32 v17, 0
	s_and_saveexec_b64 s[8:9], vcc
	s_cbranch_execz .LBB886_729
; %bb.724:
	s_movk_i32 s7, 0x80
	v_cmp_ne_u16_e32 vcc, s7, v18
	v_mov_b32_e32 v17, 0xffff8000
	s_and_saveexec_b64 s[10:11], vcc
	s_cbranch_execz .LBB886_728
; %bb.725:
	v_bfe_u32 v18, v3, 16, 7
	s_movk_i32 s7, 0x7f
	v_cmp_ne_u32_e32 vcc, s7, v18
	v_mov_b32_e32 v17, 0x7f80
	s_and_saveexec_b64 s[12:13], vcc
	s_cbranch_execz .LBB886_727
; %bb.726:
	v_and_b32_e32 v17, 7, v2
	v_ffbh_u32_e32 v20, v17
	v_min_u32_e32 v23, 32, v20
	v_subrev_u32_e32 v20, 28, v23
	v_lshlrev_b64 v[20:21], v20, v[2:3]
	v_lshrrev_b32_e32 v19, 3, v18
	v_sub_u32_e32 v2, 29, v23
	v_and_b32_e32 v20, 7, v20
	v_cmp_gt_u32_e32 vcc, 8, v18
	v_mov_b32_e32 v18, 24
	v_cndmask_b32_e32 v2, v19, v2, vcc
	v_cndmask_b32_e32 v17, v17, v20, vcc
	v_lshlrev_b32_sdwa v18, v18, v3 dst_sel:DWORD dst_unused:UNUSED_PAD src0_sel:DWORD src1_sel:WORD_1
	v_bfrev_b32_e32 v19, 60
	v_lshlrev_b32_e32 v17, 20, v17
	v_and_b32_e32 v18, 0x80000000, v18
	v_lshl_add_u32 v2, v2, 23, v19
	v_or3_b32 v2, v18, v2, v17
	v_lshrrev_b32_e32 v17, 16, v2
.LBB886_727:
	s_or_b64 exec, exec, s[12:13]
.LBB886_728:
	s_or_b64 exec, exec, s[10:11]
.LBB886_729:
	s_or_b64 exec, exec, s[8:9]
	s_mov_b32 s7, 0xffffff
	v_cmp_lt_u32_e32 vcc, s7, v3
	s_and_saveexec_b64 s[8:9], vcc
	s_cbranch_execz .LBB886_735
; %bb.730:
	v_lshrrev_b32_e32 v2, 24, v3
	s_movk_i32 s7, 0x80
	v_cmp_ne_u32_e32 vcc, s7, v2
	v_mov_b32_e32 v16, 0xffff8000
	s_and_saveexec_b64 s[10:11], vcc
	s_cbranch_execz .LBB886_734
; %bb.731:
	v_bfe_u32 v3, v3, 24, 7
	s_movk_i32 s7, 0x7f
	v_cmp_ne_u32_e32 vcc, s7, v3
	v_mov_b32_e32 v16, 0x7f80
	s_and_saveexec_b64 s[12:13], vcc
	s_cbranch_execz .LBB886_733
; %bb.732:
	v_and_b32_e32 v16, 7, v2
	v_ffbh_u32_e32 v18, v16
	v_min_u32_e32 v21, 32, v18
	v_subrev_u32_e32 v18, 28, v21
	v_lshlrev_b64 v[18:19], v18, v[2:3]
	v_lshrrev_b32_e32 v20, 3, v3
	v_sub_u32_e32 v19, 29, v21
	v_and_b32_e32 v18, 7, v18
	v_cmp_gt_u32_e32 vcc, 8, v3
	v_cndmask_b32_e32 v3, v20, v19, vcc
	v_cndmask_b32_e32 v16, v16, v18, vcc
	v_lshlrev_b32_e32 v2, 24, v2
	v_bfrev_b32_e32 v18, 60
	v_lshlrev_b32_e32 v16, 20, v16
	v_and_b32_e32 v2, 0x80000000, v2
	v_lshl_add_u32 v3, v3, 23, v18
	v_or3_b32 v2, v2, v3, v16
	v_lshrrev_b32_e32 v16, 16, v2
.LBB886_733:
	s_or_b64 exec, exec, s[12:13]
.LBB886_734:
	s_or_b64 exec, exec, s[10:11]
.LBB886_735:
	s_or_b64 exec, exec, s[8:9]
	s_mov_b32 s7, 0x5040100
	v_perm_b32 v3, v13, v14, s7
	v_perm_b32 v2, v11, v12, s7
	ds_read_b128 v[18:21], v22 offset:6144
	v_perm_b32 v13, v16, v17, s7
	v_perm_b32 v12, v10, v15, s7
	s_waitcnt lgkmcnt(0)
	v_mfma_f32_16x16x16bf16_1k v[6:9], v[2:3], v[18:19], v[6:9]
	v_mov_b32_e32 v3, 0
	v_cmp_ne_u16_sdwa s[10:11], v4, v3 src0_sel:BYTE_0 src1_sel:DWORD
	v_mov_b32_e32 v10, 0
	v_mfma_f32_16x16x16bf16_1k v[6:9], v[12:13], v[20:21], v[6:9]
	s_and_saveexec_b64 s[8:9], s[10:11]
	s_cbranch_execz .LBB886_741
; %bb.736:
	s_movk_i32 s7, 0x80
	v_cmp_ne_u16_sdwa s[12:13], v4, s7 src0_sel:BYTE_0 src1_sel:DWORD
	v_mov_b32_e32 v10, 0xffff8000
	s_and_saveexec_b64 s[10:11], s[12:13]
	s_cbranch_execz .LBB886_740
; %bb.737:
	s_movk_i32 s7, 0x7f
	v_and_b32_e32 v2, 0x7f, v4
	v_cmp_ne_u32_e32 vcc, s7, v2
	v_mov_b32_e32 v10, 0x7f80
	s_and_saveexec_b64 s[12:13], vcc
	s_cbranch_execz .LBB886_739
; %bb.738:
	v_and_b32_e32 v12, 7, v4
	v_ffbh_u32_e32 v10, v12
	v_min_u32_e32 v14, 32, v10
	v_subrev_u32_e32 v10, 28, v14
	v_lshlrev_b64 v[10:11], v10, v[4:5]
	v_lshrrev_b32_e32 v13, 3, v2
	v_sub_u32_e32 v11, 29, v14
	v_and_b32_e32 v10, 7, v10
	v_cmp_gt_u32_e32 vcc, 8, v2
	v_cndmask_b32_e32 v2, v13, v11, vcc
	v_cndmask_b32_e32 v10, v12, v10, vcc
	v_lshlrev_b32_e32 v11, 24, v4
	v_bfrev_b32_e32 v12, 60
	v_lshlrev_b32_e32 v10, 20, v10
	v_and_b32_e32 v11, 0x80000000, v11
	v_lshl_add_u32 v2, v2, 23, v12
	v_or3_b32 v2, v11, v2, v10
	v_lshrrev_b32_e32 v10, 16, v2
.LBB886_739:
	s_or_b64 exec, exec, s[12:13]
.LBB886_740:
	s_or_b64 exec, exec, s[10:11]
.LBB886_741:
	s_or_b64 exec, exec, s[8:9]
	v_lshrrev_b16_e32 v2, 8, v4
	v_cmp_ne_u16_e32 vcc, 0, v2
	s_and_saveexec_b64 s[8:9], vcc
	s_cbranch_execz .LBB886_747
; %bb.742:
	s_movk_i32 s7, 0x80
	v_cmp_ne_u16_e32 vcc, s7, v2
	v_mov_b32_e32 v3, 0xffff8000
	s_and_saveexec_b64 s[10:11], vcc
	s_cbranch_execz .LBB886_746
; %bb.743:
	s_movk_i32 s7, 0x7f
	v_and_b32_e32 v11, 0x7f, v2
	v_cmp_ne_u32_e32 vcc, s7, v11
	v_mov_b32_e32 v3, 0x7f80
	s_and_saveexec_b64 s[12:13], vcc
	s_cbranch_execz .LBB886_745
; %bb.744:
	v_and_b32_e32 v12, 7, v2
	v_ffbh_u32_e32 v3, v12
	v_min_u32_e32 v14, 32, v3
	v_subrev_u32_e32 v3, 28, v14
	v_lshlrev_b64 v[2:3], v3, v[2:3]
	v_lshrrev_b32_e32 v13, 3, v11
	v_sub_u32_e32 v3, 29, v14
	v_and_b32_e32 v2, 7, v2
	v_cmp_gt_u32_e32 vcc, 8, v11
	v_cndmask_b32_e32 v3, v13, v3, vcc
	v_cndmask_b32_e32 v2, v12, v2, vcc
	v_lshlrev_b32_e32 v11, 16, v4
	v_bfrev_b32_e32 v12, 60
	v_lshlrev_b32_e32 v2, 20, v2
	v_and_b32_e32 v11, 0x80000000, v11
	v_lshl_add_u32 v3, v3, 23, v12
	v_or3_b32 v2, v11, v3, v2
	v_lshrrev_b32_e32 v3, 16, v2
.LBB886_745:
	s_or_b64 exec, exec, s[12:13]
.LBB886_746:
	s_or_b64 exec, exec, s[10:11]
.LBB886_747:
	s_or_b64 exec, exec, s[8:9]
	s_movk_i32 s7, 0xff
	v_and_b32_sdwa v13, v4, s7 dst_sel:DWORD dst_unused:UNUSED_PAD src0_sel:WORD_1 src1_sel:DWORD
	v_lshrrev_b32_e32 v2, 16, v4
	v_cmp_ne_u16_e32 vcc, 0, v13
	v_mov_b32_e32 v11, 0
	v_mov_b32_e32 v12, 0
	s_and_saveexec_b64 s[8:9], vcc
	s_cbranch_execz .LBB886_753
; %bb.748:
	s_movk_i32 s7, 0x80
	v_cmp_ne_u16_e32 vcc, s7, v13
	v_mov_b32_e32 v12, 0xffff8000
	s_and_saveexec_b64 s[10:11], vcc
	s_cbranch_execz .LBB886_752
; %bb.749:
	v_bfe_u32 v13, v4, 16, 7
	s_movk_i32 s7, 0x7f
	v_cmp_ne_u32_e32 vcc, s7, v13
	v_mov_b32_e32 v12, 0x7f80
	s_and_saveexec_b64 s[12:13], vcc
	s_cbranch_execz .LBB886_751
; %bb.750:
	v_and_b32_e32 v12, 7, v2
	v_ffbh_u32_e32 v14, v12
	v_min_u32_e32 v17, 32, v14
	v_subrev_u32_e32 v14, 28, v17
	v_lshlrev_b64 v[14:15], v14, v[2:3]
	v_lshrrev_b32_e32 v16, 3, v13
	v_sub_u32_e32 v2, 29, v17
	v_and_b32_e32 v14, 7, v14
	v_cmp_gt_u32_e32 vcc, 8, v13
	v_mov_b32_e32 v13, 24
	v_cndmask_b32_e32 v2, v16, v2, vcc
	v_cndmask_b32_e32 v12, v12, v14, vcc
	v_lshlrev_b32_sdwa v13, v13, v4 dst_sel:DWORD dst_unused:UNUSED_PAD src0_sel:DWORD src1_sel:WORD_1
	v_bfrev_b32_e32 v14, 60
	v_lshlrev_b32_e32 v12, 20, v12
	v_and_b32_e32 v13, 0x80000000, v13
	v_lshl_add_u32 v2, v2, 23, v14
	v_or3_b32 v2, v13, v2, v12
	v_lshrrev_b32_e32 v12, 16, v2
.LBB886_751:
	s_or_b64 exec, exec, s[12:13]
.LBB886_752:
	s_or_b64 exec, exec, s[10:11]
.LBB886_753:
	s_or_b64 exec, exec, s[8:9]
	s_mov_b32 s7, 0xffffff
	v_cmp_lt_u32_e32 vcc, s7, v4
	s_and_saveexec_b64 s[8:9], vcc
	s_cbranch_execz .LBB886_759
; %bb.754:
	v_lshrrev_b32_e32 v2, 24, v4
	s_movk_i32 s7, 0x80
	v_cmp_ne_u32_e32 vcc, s7, v2
	v_mov_b32_e32 v11, 0xffff8000
	s_and_saveexec_b64 s[10:11], vcc
	s_cbranch_execz .LBB886_758
; %bb.755:
	v_bfe_u32 v4, v4, 24, 7
	s_movk_i32 s7, 0x7f
	v_cmp_ne_u32_e32 vcc, s7, v4
	v_mov_b32_e32 v11, 0x7f80
	s_and_saveexec_b64 s[12:13], vcc
	s_cbranch_execz .LBB886_757
; %bb.756:
	v_and_b32_e32 v11, 7, v2
	v_ffbh_u32_e32 v14, v11
	v_min_u32_e32 v16, 32, v14
	v_subrev_u32_e32 v14, 28, v16
	v_lshlrev_b64 v[14:15], v14, v[2:3]
	v_lshrrev_b32_e32 v13, 3, v4
	v_sub_u32_e32 v15, 29, v16
	v_and_b32_e32 v14, 7, v14
	v_cmp_gt_u32_e32 vcc, 8, v4
	v_cndmask_b32_e32 v4, v13, v15, vcc
	v_cndmask_b32_e32 v11, v11, v14, vcc
	v_lshlrev_b32_e32 v2, 24, v2
	v_bfrev_b32_e32 v13, 60
	v_lshlrev_b32_e32 v11, 20, v11
	v_and_b32_e32 v2, 0x80000000, v2
	v_lshl_add_u32 v4, v4, 23, v13
	v_or3_b32 v2, v2, v4, v11
	v_lshrrev_b32_e32 v11, 16, v2
.LBB886_757:
	s_or_b64 exec, exec, s[12:13]
.LBB886_758:
	s_or_b64 exec, exec, s[10:11]
.LBB886_759:
	s_or_b64 exec, exec, s[8:9]
	v_mov_b32_e32 v4, 0
	v_cmp_ne_u16_sdwa s[10:11], v5, v4 src0_sel:BYTE_0 src1_sel:DWORD
	v_mov_b32_e32 v13, 0
	s_and_saveexec_b64 s[8:9], s[10:11]
	s_cbranch_execz .LBB886_765
; %bb.760:
	s_movk_i32 s7, 0x80
	v_cmp_ne_u16_sdwa s[12:13], v5, s7 src0_sel:BYTE_0 src1_sel:DWORD
	v_mov_b32_e32 v13, 0xffff8000
	s_and_saveexec_b64 s[10:11], s[12:13]
	s_cbranch_execz .LBB886_764
; %bb.761:
	s_movk_i32 s7, 0x7f
	v_and_b32_e32 v2, 0x7f, v5
	v_cmp_ne_u32_e32 vcc, s7, v2
	v_mov_b32_e32 v13, 0x7f80
	s_and_saveexec_b64 s[12:13], vcc
	s_cbranch_execz .LBB886_763
; %bb.762:
	v_and_b32_e32 v13, 7, v5
	v_ffbh_u32_e32 v15, v13
	v_min_u32_e32 v17, 32, v15
	v_mov_b32_e32 v14, v5
	v_subrev_u32_e32 v15, 28, v17
	v_lshlrev_b64 v[14:15], v15, v[14:15]
	v_lshrrev_b32_e32 v16, 3, v2
	v_sub_u32_e32 v15, 29, v17
	v_and_b32_e32 v14, 7, v14
	v_cmp_gt_u32_e32 vcc, 8, v2
	v_cndmask_b32_e32 v2, v16, v15, vcc
	v_cndmask_b32_e32 v13, v13, v14, vcc
	v_lshlrev_b32_e32 v14, 24, v5
	v_bfrev_b32_e32 v15, 60
	v_lshlrev_b32_e32 v13, 20, v13
	v_and_b32_e32 v14, 0x80000000, v14
	v_lshl_add_u32 v2, v2, 23, v15
	v_or3_b32 v2, v14, v2, v13
	v_lshrrev_b32_e32 v13, 16, v2
.LBB886_763:
	s_or_b64 exec, exec, s[12:13]
.LBB886_764:
	s_or_b64 exec, exec, s[10:11]
.LBB886_765:
	s_or_b64 exec, exec, s[8:9]
	v_lshrrev_b16_e32 v2, 8, v5
	v_cmp_ne_u16_e32 vcc, 0, v2
	s_and_saveexec_b64 s[8:9], vcc
	s_cbranch_execz .LBB886_771
; %bb.766:
	s_movk_i32 s7, 0x80
	v_cmp_ne_u16_e32 vcc, s7, v2
	v_mov_b32_e32 v4, 0xffff8000
	s_and_saveexec_b64 s[10:11], vcc
	s_cbranch_execz .LBB886_770
; %bb.767:
	s_movk_i32 s7, 0x7f
	v_and_b32_e32 v14, 0x7f, v2
	v_cmp_ne_u32_e32 vcc, s7, v14
	v_mov_b32_e32 v4, 0x7f80
	s_and_saveexec_b64 s[12:13], vcc
	s_cbranch_execz .LBB886_769
; %bb.768:
	v_and_b32_e32 v4, 7, v2
	v_ffbh_u32_e32 v16, v4
	v_min_u32_e32 v18, 32, v16
	v_subrev_u32_e32 v16, 28, v18
	v_lshlrev_b64 v[16:17], v16, v[2:3]
	v_lshrrev_b32_e32 v15, 3, v14
	v_sub_u32_e32 v2, 29, v18
	v_and_b32_e32 v16, 7, v16
	v_cmp_gt_u32_e32 vcc, 8, v14
	v_cndmask_b32_e32 v2, v15, v2, vcc
	v_cndmask_b32_e32 v4, v4, v16, vcc
	v_lshlrev_b32_e32 v14, 16, v5
	v_bfrev_b32_e32 v15, 60
	v_lshlrev_b32_e32 v4, 20, v4
	v_and_b32_e32 v14, 0x80000000, v14
	v_lshl_add_u32 v2, v2, 23, v15
	v_or3_b32 v2, v14, v2, v4
	v_lshrrev_b32_e32 v4, 16, v2
.LBB886_769:
	s_or_b64 exec, exec, s[12:13]
.LBB886_770:
	s_or_b64 exec, exec, s[10:11]
.LBB886_771:
	s_or_b64 exec, exec, s[8:9]
	s_movk_i32 s7, 0xff
	v_and_b32_sdwa v16, v5, s7 dst_sel:DWORD dst_unused:UNUSED_PAD src0_sel:WORD_1 src1_sel:DWORD
	v_lshrrev_b32_e32 v2, 16, v5
	v_cmp_ne_u16_e32 vcc, 0, v16
	v_mov_b32_e32 v14, 0
	v_mov_b32_e32 v15, 0
	s_and_saveexec_b64 s[8:9], vcc
	s_cbranch_execz .LBB886_777
; %bb.772:
	s_movk_i32 s7, 0x80
	v_cmp_ne_u16_e32 vcc, s7, v16
	v_mov_b32_e32 v15, 0xffff8000
	s_and_saveexec_b64 s[10:11], vcc
	s_cbranch_execz .LBB886_776
; %bb.773:
	v_bfe_u32 v16, v5, 16, 7
	s_movk_i32 s7, 0x7f
	v_cmp_ne_u32_e32 vcc, s7, v16
	v_mov_b32_e32 v15, 0x7f80
	s_and_saveexec_b64 s[12:13], vcc
	s_cbranch_execz .LBB886_775
; %bb.774:
	v_and_b32_e32 v15, 7, v2
	v_ffbh_u32_e32 v18, v15
	v_min_u32_e32 v20, 32, v18
	v_subrev_u32_e32 v18, 28, v20
	v_lshlrev_b64 v[18:19], v18, v[2:3]
	v_lshrrev_b32_e32 v17, 3, v16
	v_sub_u32_e32 v2, 29, v20
	v_and_b32_e32 v18, 7, v18
	v_cmp_gt_u32_e32 vcc, 8, v16
	v_mov_b32_e32 v16, 24
	v_cndmask_b32_e32 v2, v17, v2, vcc
	v_cndmask_b32_e32 v15, v15, v18, vcc
	v_lshlrev_b32_sdwa v16, v16, v5 dst_sel:DWORD dst_unused:UNUSED_PAD src0_sel:DWORD src1_sel:WORD_1
	v_bfrev_b32_e32 v17, 60
	v_lshlrev_b32_e32 v15, 20, v15
	v_and_b32_e32 v16, 0x80000000, v16
	v_lshl_add_u32 v2, v2, 23, v17
	v_or3_b32 v2, v16, v2, v15
	v_lshrrev_b32_e32 v15, 16, v2
.LBB886_775:
	s_or_b64 exec, exec, s[12:13]
.LBB886_776:
	s_or_b64 exec, exec, s[10:11]
.LBB886_777:
	s_or_b64 exec, exec, s[8:9]
	s_mov_b32 s7, 0xffffff
	v_cmp_lt_u32_e32 vcc, s7, v5
	s_and_saveexec_b64 s[8:9], vcc
	s_cbranch_execz .LBB886_783
; %bb.778:
	v_lshrrev_b32_e32 v2, 24, v5
	s_movk_i32 s7, 0x80
	v_cmp_ne_u32_e32 vcc, s7, v2
	v_mov_b32_e32 v14, 0xffff8000
	s_and_saveexec_b64 s[10:11], vcc
	s_cbranch_execz .LBB886_782
; %bb.779:
	v_bfe_u32 v5, v5, 24, 7
	s_movk_i32 s7, 0x7f
	v_cmp_ne_u32_e32 vcc, s7, v5
	v_mov_b32_e32 v14, 0x7f80
	s_and_saveexec_b64 s[12:13], vcc
	s_cbranch_execz .LBB886_781
; %bb.780:
	v_and_b32_e32 v14, 7, v2
	v_ffbh_u32_e32 v16, v14
	v_min_u32_e32 v19, 32, v16
	v_subrev_u32_e32 v16, 28, v19
	v_lshlrev_b64 v[16:17], v16, v[2:3]
	v_lshrrev_b32_e32 v18, 3, v5
	v_sub_u32_e32 v17, 29, v19
	v_and_b32_e32 v16, 7, v16
	v_cmp_gt_u32_e32 vcc, 8, v5
	v_cndmask_b32_e32 v5, v18, v17, vcc
	v_cndmask_b32_e32 v14, v14, v16, vcc
	v_lshlrev_b32_e32 v2, 24, v2
	v_bfrev_b32_e32 v16, 60
	v_lshlrev_b32_e32 v14, 20, v14
	v_and_b32_e32 v2, 0x80000000, v2
	v_lshl_add_u32 v5, v5, 23, v16
	v_or3_b32 v2, v2, v5, v14
	v_lshrrev_b32_e32 v14, 16, v2
.LBB886_781:
	s_or_b64 exec, exec, s[12:13]
.LBB886_782:
	s_or_b64 exec, exec, s[10:11]
.LBB886_783:
	s_or_b64 exec, exec, s[8:9]
	s_mov_b32 s7, 0x5040100
	v_perm_b32 v11, v11, v12, s7
	ds_read_b128 v[16:19], v22 offset:6160
	v_perm_b32 v10, v3, v10, s7
	v_perm_b32 v3, v14, v15, s7
	;; [unrolled: 1-line block ×3, first 2 shown]
	s_waitcnt lgkmcnt(0)
	v_mfma_f32_16x16x16bf16_1k v[6:9], v[10:11], v[16:17], v[6:9]
	s_load_dword s8, s[42:43], 0x0
	s_movk_i32 s9, 0x7fff
	s_mov_b32 s7, 0x7060302
	v_cmp_gt_u32_e32 vcc, 64, v0
	s_and_b64 s[0:1], vcc, s[0:1]
	s_waitcnt lgkmcnt(0)
	s_barrier
	v_mfma_f32_16x16x16bf16_1k v[2:5], v[2:3], v[18:19], v[6:9]
	s_nop 7
	s_nop 2
	v_pk_mul_f32 v[4:5], v[4:5], s[8:9] op_sel_hi:[1,0]
	v_pk_mul_f32 v[2:3], v[2:3], s[8:9] op_sel_hi:[1,0]
	v_bfe_u32 v6, v3, 16, 1
	v_bfe_u32 v7, v2, 16, 1
	;; [unrolled: 1-line block ×4, first 2 shown]
	v_add3_u32 v2, v2, v7, s9
	v_add3_u32 v3, v3, v6, s9
	;; [unrolled: 1-line block ×4, first 2 shown]
	v_perm_b32 v2, v3, v2, s7
	v_perm_b32 v3, v5, v4, s7
	ds_write_b64 v28, v[2:3]
	s_waitcnt lgkmcnt(0)
	s_barrier
	s_and_saveexec_b64 s[8:9], s[0:1]
	s_cbranch_execz .LBB886_786
; %bb.784:
	s_load_dwordx2 s[4:5], s[4:5], 0x68
	s_lshl_b32 s0, s44, 6
	s_mul_i32 s1, s14, s6
	s_mul_hi_u32 s9, s1, s0
	s_mul_i32 s8, s1, s0
	s_lshl_b64 s[8:9], s[8:9], 1
	s_waitcnt lgkmcnt(0)
	s_add_u32 s1, s4, s8
	v_lshlrev_b32_e32 v0, 10, v0
	s_mov_b32 s7, 0
	s_addc_u32 s8, s5, s9
	s_lshl_b32 s6, s24, 6
	v_and_b32_e32 v0, 0x1800, v0
	v_lshlrev_b32_e32 v2, 5, v1
	v_and_b32_e32 v3, 16, v47
	s_lshl_b64 s[4:5], s[6:7], 1
	v_or3_b32 v0, v0, v2, v3
	s_add_u32 s1, s1, s4
	s_addc_u32 s4, s8, s5
	ds_read_b128 v[4:7], v0 offset:128
	ds_read_b128 v[8:11], v0
	v_add_u32_e32 v14, s25, v1
	v_mov_b32_e32 v3, s4
	v_add_co_u32_e32 v2, vcc, s1, v46
	v_mad_u64_u32 v[12:13], s[4:5], v14, s0, 0
	v_addc_co_u32_e32 v3, vcc, 0, v3, vcc
	v_lshlrev_b64 v[12:13], 1, v[12:13]
	v_add_co_u32_e32 v12, vcc, v2, v12
	v_addc_co_u32_e32 v13, vcc, v3, v13, vcc
	s_waitcnt lgkmcnt(0)
	global_store_dwordx4 v[12:13], v[8:11], off
	s_nop 0
	v_add_u32_e32 v8, 4, v14
	v_mad_u64_u32 v[8:9], s[4:5], v8, s0, 0
	v_lshlrev_b64 v[8:9], 1, v[8:9]
	v_add_co_u32_e32 v8, vcc, v2, v8
	v_addc_co_u32_e32 v9, vcc, v3, v9, vcc
	global_store_dwordx4 v[8:9], v[4:7], off
	s_and_b64 exec, exec, s[2:3]
	s_cbranch_execz .LBB886_786
; %bb.785:
	ds_read_b128 v[4:7], v0 offset:256
	v_add3_u32 v0, s25, v1, 8
	v_mad_u64_u32 v[0:1], s[0:1], v0, s0, 0
	v_lshlrev_b64 v[0:1], 1, v[0:1]
	v_add_co_u32_e32 v0, vcc, v2, v0
	v_addc_co_u32_e32 v1, vcc, v3, v1, vcc
	s_waitcnt lgkmcnt(0)
	global_store_dwordx4 v[0:1], v[4:7], off
.LBB886_786:
	s_endpgm
	.section	.rodata,"a",@progbits
	.p2align	6, 0x0
	.amdhsa_kernel _Z39paged_attention_ll4mi_QKV_mfma16_kernelI14__hip_bfloat16hLN4vllm18Fp8KVCacheDataTypeE1ES0_Li32ELi64ELi256ELb0ELi9EL8MFMAType0EEvPKT_PKT0_S9_ifPKiSB_SB_iPKfiiiPfSE_PS4_PT2_iSD_SD_
		.amdhsa_group_segment_fixed_size 8192
		.amdhsa_private_segment_fixed_size 0
		.amdhsa_kernarg_size 400
		.amdhsa_user_sgpr_count 6
		.amdhsa_user_sgpr_private_segment_buffer 1
		.amdhsa_user_sgpr_dispatch_ptr 0
		.amdhsa_user_sgpr_queue_ptr 0
		.amdhsa_user_sgpr_kernarg_segment_ptr 1
		.amdhsa_user_sgpr_dispatch_id 0
		.amdhsa_user_sgpr_flat_scratch_init 0
		.amdhsa_user_sgpr_kernarg_preload_length 0
		.amdhsa_user_sgpr_kernarg_preload_offset 0
		.amdhsa_user_sgpr_private_segment_size 0
		.amdhsa_uses_dynamic_stack 0
		.amdhsa_system_sgpr_private_segment_wavefront_offset 0
		.amdhsa_system_sgpr_workgroup_id_x 1
		.amdhsa_system_sgpr_workgroup_id_y 1
		.amdhsa_system_sgpr_workgroup_id_z 1
		.amdhsa_system_sgpr_workgroup_info 0
		.amdhsa_system_vgpr_workitem_id 0
		.amdhsa_next_free_vgpr 62
		.amdhsa_next_free_sgpr 47
		.amdhsa_accum_offset 64
		.amdhsa_reserve_vcc 1
		.amdhsa_reserve_flat_scratch 0
		.amdhsa_float_round_mode_32 0
		.amdhsa_float_round_mode_16_64 0
		.amdhsa_float_denorm_mode_32 3
		.amdhsa_float_denorm_mode_16_64 3
		.amdhsa_dx10_clamp 1
		.amdhsa_ieee_mode 1
		.amdhsa_fp16_overflow 0
		.amdhsa_tg_split 0
		.amdhsa_exception_fp_ieee_invalid_op 0
		.amdhsa_exception_fp_denorm_src 0
		.amdhsa_exception_fp_ieee_div_zero 0
		.amdhsa_exception_fp_ieee_overflow 0
		.amdhsa_exception_fp_ieee_underflow 0
		.amdhsa_exception_fp_ieee_inexact 0
		.amdhsa_exception_int_div_zero 0
	.end_amdhsa_kernel
	.section	.text._Z39paged_attention_ll4mi_QKV_mfma16_kernelI14__hip_bfloat16hLN4vllm18Fp8KVCacheDataTypeE1ES0_Li32ELi64ELi256ELb0ELi9EL8MFMAType0EEvPKT_PKT0_S9_ifPKiSB_SB_iPKfiiiPfSE_PS4_PT2_iSD_SD_,"axG",@progbits,_Z39paged_attention_ll4mi_QKV_mfma16_kernelI14__hip_bfloat16hLN4vllm18Fp8KVCacheDataTypeE1ES0_Li32ELi64ELi256ELb0ELi9EL8MFMAType0EEvPKT_PKT0_S9_ifPKiSB_SB_iPKfiiiPfSE_PS4_PT2_iSD_SD_,comdat
.Lfunc_end886:
	.size	_Z39paged_attention_ll4mi_QKV_mfma16_kernelI14__hip_bfloat16hLN4vllm18Fp8KVCacheDataTypeE1ES0_Li32ELi64ELi256ELb0ELi9EL8MFMAType0EEvPKT_PKT0_S9_ifPKiSB_SB_iPKfiiiPfSE_PS4_PT2_iSD_SD_, .Lfunc_end886-_Z39paged_attention_ll4mi_QKV_mfma16_kernelI14__hip_bfloat16hLN4vllm18Fp8KVCacheDataTypeE1ES0_Li32ELi64ELi256ELb0ELi9EL8MFMAType0EEvPKT_PKT0_S9_ifPKiSB_SB_iPKfiiiPfSE_PS4_PT2_iSD_SD_
                                        ; -- End function
	.section	.AMDGPU.csdata,"",@progbits
; Kernel info:
; codeLenInByte = 28420
; NumSgprs: 51
; NumVgprs: 62
; NumAgprs: 0
; TotalNumVgprs: 62
; ScratchSize: 0
; MemoryBound: 0
; FloatMode: 240
; IeeeMode: 1
; LDSByteSize: 8192 bytes/workgroup (compile time only)
; SGPRBlocks: 6
; VGPRBlocks: 7
; NumSGPRsForWavesPerEU: 51
; NumVGPRsForWavesPerEU: 62
; AccumOffset: 64
; Occupancy: 8
; WaveLimiterHint : 1
; COMPUTE_PGM_RSRC2:SCRATCH_EN: 0
; COMPUTE_PGM_RSRC2:USER_SGPR: 6
; COMPUTE_PGM_RSRC2:TRAP_HANDLER: 0
; COMPUTE_PGM_RSRC2:TGID_X_EN: 1
; COMPUTE_PGM_RSRC2:TGID_Y_EN: 1
; COMPUTE_PGM_RSRC2:TGID_Z_EN: 1
; COMPUTE_PGM_RSRC2:TIDIG_COMP_CNT: 0
; COMPUTE_PGM_RSRC3_GFX90A:ACCUM_OFFSET: 15
; COMPUTE_PGM_RSRC3_GFX90A:TG_SPLIT: 0
	.section	.text._Z39paged_attention_ll4mi_QKV_mfma16_kernelI14__hip_bfloat16hLN4vllm18Fp8KVCacheDataTypeE1ES0_Li32ELi64ELi256ELb0ELi10EL8MFMAType0EEvPKT_PKT0_S9_ifPKiSB_SB_iPKfiiiPfSE_PS4_PT2_iSD_SD_,"axG",@progbits,_Z39paged_attention_ll4mi_QKV_mfma16_kernelI14__hip_bfloat16hLN4vllm18Fp8KVCacheDataTypeE1ES0_Li32ELi64ELi256ELb0ELi10EL8MFMAType0EEvPKT_PKT0_S9_ifPKiSB_SB_iPKfiiiPfSE_PS4_PT2_iSD_SD_,comdat
	.protected	_Z39paged_attention_ll4mi_QKV_mfma16_kernelI14__hip_bfloat16hLN4vllm18Fp8KVCacheDataTypeE1ES0_Li32ELi64ELi256ELb0ELi10EL8MFMAType0EEvPKT_PKT0_S9_ifPKiSB_SB_iPKfiiiPfSE_PS4_PT2_iSD_SD_ ; -- Begin function _Z39paged_attention_ll4mi_QKV_mfma16_kernelI14__hip_bfloat16hLN4vllm18Fp8KVCacheDataTypeE1ES0_Li32ELi64ELi256ELb0ELi10EL8MFMAType0EEvPKT_PKT0_S9_ifPKiSB_SB_iPKfiiiPfSE_PS4_PT2_iSD_SD_
	.globl	_Z39paged_attention_ll4mi_QKV_mfma16_kernelI14__hip_bfloat16hLN4vllm18Fp8KVCacheDataTypeE1ES0_Li32ELi64ELi256ELb0ELi10EL8MFMAType0EEvPKT_PKT0_S9_ifPKiSB_SB_iPKfiiiPfSE_PS4_PT2_iSD_SD_
	.p2align	8
	.type	_Z39paged_attention_ll4mi_QKV_mfma16_kernelI14__hip_bfloat16hLN4vllm18Fp8KVCacheDataTypeE1ES0_Li32ELi64ELi256ELb0ELi10EL8MFMAType0EEvPKT_PKT0_S9_ifPKiSB_SB_iPKfiiiPfSE_PS4_PT2_iSD_SD_,@function
_Z39paged_attention_ll4mi_QKV_mfma16_kernelI14__hip_bfloat16hLN4vllm18Fp8KVCacheDataTypeE1ES0_Li32ELi64ELi256ELb0ELi10EL8MFMAType0EEvPKT_PKT0_S9_ifPKiSB_SB_iPKfiiiPfSE_PS4_PT2_iSD_SD_: ; @_Z39paged_attention_ll4mi_QKV_mfma16_kernelI14__hip_bfloat16hLN4vllm18Fp8KVCacheDataTypeE1ES0_Li32ELi64ELi256ELb0ELi10EL8MFMAType0EEvPKT_PKT0_S9_ifPKiSB_SB_iPKfiiiPfSE_PS4_PT2_iSD_SD_
; %bb.0:
	s_load_dwordx2 s[0:1], s[4:5], 0x30
	s_mov_b32 s24, s7
	s_mov_b64 s[10:11], 0
	s_waitcnt lgkmcnt(0)
	s_cmp_lg_u64 s[0:1], 0
	s_cselect_b64 s[2:3], -1, 0
	s_and_b64 vcc, exec, s[2:3]
	s_cbranch_vccz .LBB887_7
; %bb.1:
	s_add_i32 s12, s6, 1
	s_mov_b32 s13, 0
	s_lshl_b64 s[14:15], s[12:13], 2
	s_add_u32 s14, s0, s14
	s_mov_b32 s7, s13
	s_addc_u32 s15, s1, s15
	s_lshl_b64 s[12:13], s[6:7], 2
	s_add_u32 s12, s0, s12
	s_addc_u32 s13, s1, s13
	s_load_dword s9, s[14:15], 0x0
	s_load_dword s16, s[12:13], 0x0
	s_waitcnt lgkmcnt(0)
	s_sub_i32 s9, s9, s16
	s_cmp_eq_u32 s9, 1
	s_cselect_b64 s[12:13], -1, 0
	s_andn2_b64 vcc, exec, s[10:11]
	s_cbranch_vccnz .LBB887_3
.LBB887_2:
	s_mov_b32 s7, 0
	s_mov_b64 s[12:13], -1
.LBB887_3:
	s_andn2_b64 vcc, exec, s[12:13]
	s_cbranch_vccnz .LBB887_786
; %bb.4:
	s_load_dwordx2 s[12:13], s[4:5], 0x28
	s_lshl_b64 s[10:11], s[6:7], 2
	s_waitcnt lgkmcnt(0)
	s_add_u32 s12, s12, s10
	s_addc_u32 s13, s13, s11
	s_load_dword s33, s[12:13], 0x0
	s_lshl_b32 s20, s24, 8
	s_waitcnt lgkmcnt(0)
	s_cmp_ge_i32 s20, s33
	s_cbranch_scc1 .LBB887_786
; %bb.5:
	s_add_i32 s14, s33, 31
	s_load_dwordx2 s[12:13], s[4:5], 0x20
	s_load_dword s9, s[4:5], 0x38
	s_ashr_i32 s15, s14, 31
	v_and_b32_e32 v1, 0xcf, v0
	s_lshr_b32 s15, s15, 27
	v_add_u32_e32 v1, s20, v1
	s_add_i32 s14, s14, s15
	v_ashrrev_i32_e32 v2, 31, v1
	s_ashr_i32 s22, s14, 5
	v_lshrrev_b32_e32 v4, 27, v2
	s_add_i32 s22, s22, -1
	v_add_u32_e32 v2, v1, v4
	s_waitcnt lgkmcnt(0)
	s_mul_i32 s14, s6, s9
	s_mov_b32 s15, 0
	v_ashrrev_i32_e32 v2, 5, v2
	v_mov_b32_e32 v5, s22
	v_cmp_gt_i32_e32 vcc, s33, v1
	s_lshl_b64 s[14:15], s[14:15], 2
	v_cndmask_b32_e32 v2, v5, v2, vcc
	s_add_u32 s9, s12, s14
	v_ashrrev_i32_e32 v3, 31, v2
	s_addc_u32 s21, s13, s15
	v_lshlrev_b64 v[2:3], 2, v[2:3]
	v_mov_b32_e32 v7, s21
	v_add_co_u32_e32 v6, vcc, s9, v2
	v_or_b32_e32 v2, 16, v1
	v_addc_co_u32_e32 v7, vcc, v7, v3, vcc
	v_add_u32_e32 v3, v2, v4
	v_ashrrev_i32_e32 v3, 5, v3
	v_cmp_gt_i32_e32 vcc, s33, v2
	v_cndmask_b32_e32 v2, v5, v3, vcc
	v_ashrrev_i32_e32 v3, 31, v2
	v_lshlrev_b64 v[2:3], 2, v[2:3]
	v_mov_b32_e32 v9, s21
	v_add_co_u32_e32 v8, vcc, s9, v2
	v_or_b32_e32 v2, 32, v1
	v_addc_co_u32_e32 v9, vcc, v9, v3, vcc
	v_add_u32_e32 v3, v2, v4
	v_ashrrev_i32_e32 v3, 5, v3
	v_cmp_gt_i32_e32 vcc, s33, v2
	v_cndmask_b32_e32 v2, v5, v3, vcc
	v_ashrrev_i32_e32 v3, 31, v2
	;; [unrolled: 10-line block ×3, first 2 shown]
	v_lshlrev_b64 v[2:3], 2, v[2:3]
	v_mov_b32_e32 v1, s21
	v_add_co_u32_e32 v12, vcc, s9, v2
	v_addc_co_u32_e32 v13, vcc, v1, v3, vcc
	global_load_dword v5, v[6:7], off
	global_load_dword v4, v[8:9], off
	;; [unrolled: 1-line block ×4, first 2 shown]
	s_load_dwordx4 s[12:15], s[4:5], 0x8
	s_andn2_b64 vcc, exec, s[2:3]
	s_cbranch_vccnz .LBB887_8
; %bb.6:
	s_add_u32 s0, s0, s10
	s_addc_u32 s1, s1, s11
	s_load_dword s10, s[0:1], 0x0
	s_branch .LBB887_9
.LBB887_7:
	s_mov_b64 s[12:13], 0
	s_branch .LBB887_2
.LBB887_8:
	s_mov_b32 s10, s6
.LBB887_9:
	s_load_dwordx4 s[16:19], s[4:5], 0x48
	v_lshrrev_b32_e32 v50, 6, v0
	v_bfe_u32 v1, v0, 4, 2
	v_lshl_or_b32 v6, v50, 2, v1
	v_and_b32_e32 v49, 15, v0
	v_lshlrev_b32_e32 v7, 3, v49
	v_cmp_gt_u32_e32 vcc, 10, v6
	v_cmp_gt_u32_e64 s[0:1], 8, v49
	s_mul_i32 s25, s8, 10
	s_and_b64 s[26:27], s[0:1], vcc
	v_lshlrev_b32_e32 v46, 1, v7
	v_lshlrev_b32_e32 v47, 4, v0
	s_and_saveexec_b64 s[2:3], s[26:27]
	s_cbranch_execz .LBB887_11
; %bb.10:
	s_load_dwordx2 s[26:27], s[4:5], 0x0
	s_waitcnt lgkmcnt(0)
	s_ashr_i32 s11, s16, 31
	s_mul_hi_u32 s19, s10, s16
	s_mul_i32 s11, s10, s11
	s_add_i32 s11, s19, s11
	s_mul_i32 s10, s10, s16
	s_lshl_b64 s[10:11], s[10:11], 1
	v_add_lshl_u32 v8, v6, s25, 6
	s_add_u32 s10, s26, s10
	v_ashrrev_i32_e32 v9, 31, v8
	s_addc_u32 s11, s27, s11
	v_lshlrev_b64 v[8:9], 1, v[8:9]
	v_mov_b32_e32 v7, s11
	v_add_co_u32_e32 v8, vcc, s10, v8
	v_addc_co_u32_e32 v7, vcc, v7, v9, vcc
	v_add_co_u32_e32 v8, vcc, v8, v46
	v_addc_co_u32_e32 v9, vcc, 0, v7, vcc
	global_load_dwordx4 v[8:11], v[8:9], off
	v_lshlrev_b32_e32 v12, 8, v49
	v_lshlrev_b32_e32 v6, 5, v6
	v_and_b32_e32 v7, 16, v47
	v_and_b32_e32 v12, 0xe00, v12
	v_or3_b32 v6, v12, v6, v7
	s_waitcnt vmcnt(0)
	ds_write_b128 v6, v[8:11]
.LBB887_11:
	s_or_b64 exec, exec, s[2:3]
	s_waitcnt lgkmcnt(0)
	s_mul_i32 s8, s8, s18
	s_add_u32 s2, s12, s8
	s_addc_u32 s3, s13, 0
	v_and_b32_e32 v12, 48, v0
	s_ashr_i32 s10, s20, 31
	v_or_b32_e32 v13, s20, v12
	s_lshr_b32 s10, s10, 27
	v_add_u32_e32 v6, s10, v13
	v_ashrrev_i32_e32 v6, 5, v6
	v_mov_b32_e32 v14, s22
	v_cmp_gt_i32_e32 vcc, s33, v13
	v_cndmask_b32_e32 v6, v14, v6, vcc
	v_ashrrev_i32_e32 v7, 31, v6
	v_lshlrev_b64 v[6:7], 2, v[6:7]
	v_mov_b32_e32 v8, s21
	v_add_co_u32_e32 v6, vcc, s9, v6
	v_addc_co_u32_e32 v7, vcc, v8, v7, vcc
	v_or_b32_e32 v8, 64, v13
	v_add_u32_e32 v9, s10, v8
	v_ashrrev_i32_e32 v9, 5, v9
	v_cmp_gt_i32_e32 vcc, s33, v8
	v_cndmask_b32_e32 v8, v14, v9, vcc
	v_ashrrev_i32_e32 v9, 31, v8
	v_lshlrev_b64 v[8:9], 2, v[8:9]
	v_mov_b32_e32 v10, s21
	v_add_co_u32_e32 v8, vcc, s9, v8
	v_addc_co_u32_e32 v9, vcc, v10, v9, vcc
	v_or_b32_e32 v10, 0x80, v13
	v_add_u32_e32 v11, s10, v10
	v_ashrrev_i32_e32 v11, 5, v11
	v_cmp_gt_i32_e32 vcc, s33, v10
	v_cndmask_b32_e32 v10, v14, v11, vcc
	v_ashrrev_i32_e32 v11, 31, v10
	v_lshlrev_b64 v[10:11], 2, v[10:11]
	v_mov_b32_e32 v15, s21
	v_add_co_u32_e32 v10, vcc, s9, v10
	s_load_dwordx2 s[44:45], s[4:5], 0x94
	s_load_dwordx4 s[40:43], s[4:5], 0x80
	s_waitcnt lgkmcnt(0)
	s_barrier
	v_addc_co_u32_e32 v11, vcc, v15, v11, vcc
	global_load_dword v15, v[6:7], off
	global_load_dword v16, v[8:9], off
	;; [unrolled: 1-line block ×3, first 2 shown]
	v_or_b32_e32 v6, 0xc0, v13
	v_add_u32_e32 v7, s10, v6
	v_ashrrev_i32_e32 v7, 5, v7
	v_cmp_gt_i32_e32 vcc, s33, v6
	v_cndmask_b32_e32 v6, v14, v7, vcc
	v_ashrrev_i32_e32 v7, 31, v6
	v_lshlrev_b64 v[6:7], 2, v[6:7]
	v_mov_b32_e32 v8, s21
	v_add_co_u32_e32 v6, vcc, s9, v6
	v_addc_co_u32_e32 v7, vcc, v8, v7, vcc
	global_load_dword v20, v[6:7], off
	v_pk_mov_b32 v[6:7], s[2:3], s[2:3] op_sel:[0,1]
	s_waitcnt vmcnt(7)
	v_mad_i64_i32 v[8:9], s[2:3], v5, s17, v[6:7]
	v_lshlrev_b32_e32 v11, 4, v49
	v_add_co_u32_e32 v5, vcc, v8, v11
	v_lshlrev_b32_e32 v10, 5, v12
	v_addc_co_u32_e32 v9, vcc, 0, v9, vcc
	v_add_co_u32_e32 v8, vcc, v5, v10
	v_addc_co_u32_e32 v9, vcc, 0, v9, vcc
	s_waitcnt vmcnt(6)
	v_mad_i64_i32 v[4:5], s[2:3], v4, s17, v[6:7]
	v_or_b32_e32 v12, 0x100, v11
	v_add_co_u32_e32 v4, vcc, v4, v12
	v_addc_co_u32_e32 v5, vcc, 0, v5, vcc
	v_add_co_u32_e32 v4, vcc, v4, v10
	v_addc_co_u32_e32 v5, vcc, 0, v5, vcc
	global_load_dwordx4 v[30:33], v[8:9], off
	global_load_dwordx4 v[38:41], v[4:5], off
	s_waitcnt vmcnt(7)
	v_mad_i64_i32 v[4:5], s[2:3], v3, s17, v[6:7]
	v_add_co_u32_e32 v3, vcc, v4, v11
	v_addc_co_u32_e32 v5, vcc, 0, v5, vcc
	v_add_co_u32_e32 v4, vcc, v3, v10
	v_addc_co_u32_e32 v5, vcc, 0, v5, vcc
	s_waitcnt vmcnt(6)
	v_mad_i64_i32 v[2:3], s[2:3], v2, s17, v[6:7]
	v_add_co_u32_e32 v2, vcc, v2, v12
	v_addc_co_u32_e32 v3, vcc, 0, v3, vcc
	v_add_co_u32_e32 v2, vcc, v2, v10
	s_add_u32 s2, s14, s8
	v_addc_co_u32_e32 v3, vcc, 0, v3, vcc
	global_load_dwordx4 v[34:37], v[4:5], off
	global_load_dwordx4 v[22:25], v[2:3], off
	s_addc_u32 s3, s15, 0
	v_and_b32_e32 v2, 16, v0
	v_mov_b32_e32 v3, s3
	v_add_co_u32_e32 v2, vcc, s2, v2
	v_lshlrev_b32_e32 v48, 5, v49
	v_addc_co_u32_e32 v3, vcc, 0, v3, vcc
	v_lshl_or_b32 v4, v50, 9, v48
	v_add_co_u32_e32 v2, vcc, v2, v4
	v_addc_co_u32_e32 v3, vcc, 0, v3, vcc
	v_cmp_gt_u32_e32 vcc, 10, v49
	v_mov_b32_e32 v44, 0
	v_mov_b32_e32 v43, 0
	s_movk_i32 s8, 0x80
	s_waitcnt vmcnt(7)
	v_mad_i64_i32 v[4:5], s[2:3], v15, s17, v[2:3]
	s_waitcnt vmcnt(6)
	v_mad_i64_i32 v[6:7], s[2:3], v16, s17, v[2:3]
	;; [unrolled: 2-line block ×3, first 2 shown]
	global_load_dwordx4 v[14:17], v[4:5], off
	global_load_dwordx4 v[10:13], v[6:7], off
	s_waitcnt vmcnt(6)
	v_mad_i64_i32 v[20:21], s[2:3], v20, s17, v[2:3]
	global_load_dwordx4 v[6:9], v[18:19], off
	global_load_dwordx4 v[2:5], v[20:21], off
	v_add_u32_e32 v18, -10, v49
	v_cndmask_b32_e32 v18, v18, v49, vcc
	v_lshlrev_b32_e32 v18, 5, v18
	v_lshl_add_u32 v18, v1, 9, v18
	ds_read_b128 v[26:29], v18
	ds_read_b128 v[18:21], v18 offset:16
	s_load_dword s12, s[40:41], 0x0
	s_waitcnt vmcnt(7)
	v_cmp_ne_u16_sdwa s[10:11], v30, v44 src0_sel:BYTE_0 src1_sel:DWORD
	s_and_saveexec_b64 s[2:3], s[10:11]
	s_cbranch_execz .LBB887_17
; %bb.12:
	v_cmp_ne_u16_sdwa s[10:11], v30, s8 src0_sel:BYTE_0 src1_sel:DWORD
	v_mov_b32_e32 v43, 0xffff8000
	s_and_saveexec_b64 s[8:9], s[10:11]
	s_cbranch_execz .LBB887_16
; %bb.13:
	s_movk_i32 s10, 0x7f
	v_and_b32_e32 v42, 0x7f, v30
	v_cmp_ne_u32_e32 vcc, s10, v42
	v_mov_b32_e32 v43, 0x7f80
	s_and_saveexec_b64 s[10:11], vcc
	s_cbranch_execz .LBB887_15
; %bb.14:
	v_and_b32_e32 v43, 7, v30
	v_ffbh_u32_e32 v51, v43
	v_min_u32_e32 v51, 32, v51
	v_subrev_u32_e32 v52, 28, v51
	v_lshlrev_b64 v[52:53], v52, v[30:31]
	v_lshrrev_b32_e32 v45, 3, v42
	v_sub_u32_e32 v51, 29, v51
	v_and_b32_e32 v52, 7, v52
	v_cmp_gt_u32_e32 vcc, 8, v42
	v_cndmask_b32_e32 v42, v45, v51, vcc
	v_cndmask_b32_e32 v43, v43, v52, vcc
	v_lshlrev_b32_e32 v45, 24, v30
	v_bfrev_b32_e32 v51, 60
	v_lshlrev_b32_e32 v43, 20, v43
	v_and_b32_e32 v45, 0x80000000, v45
	v_lshl_add_u32 v42, v42, 23, v51
	v_or3_b32 v42, v45, v42, v43
	v_lshrrev_b32_e32 v43, 16, v42
.LBB887_15:
	s_or_b64 exec, exec, s[10:11]
.LBB887_16:
	s_or_b64 exec, exec, s[8:9]
.LBB887_17:
	s_or_b64 exec, exec, s[2:3]
	v_lshrrev_b16_e32 v42, 8, v30
	v_cmp_ne_u16_e32 vcc, 0, v42
	s_and_saveexec_b64 s[2:3], vcc
	s_cbranch_execz .LBB887_23
; %bb.18:
	s_movk_i32 s8, 0x80
	v_cmp_ne_u16_e32 vcc, s8, v42
	v_mov_b32_e32 v44, 0xffff8000
	s_and_saveexec_b64 s[8:9], vcc
	s_cbranch_execz .LBB887_22
; %bb.19:
	s_movk_i32 s10, 0x7f
	v_and_b32_e32 v45, 0x7f, v42
	v_cmp_ne_u32_e32 vcc, s10, v45
	v_mov_b32_e32 v44, 0x7f80
	s_and_saveexec_b64 s[10:11], vcc
	s_cbranch_execz .LBB887_21
; %bb.20:
	v_and_b32_e32 v44, 7, v42
	v_ffbh_u32_e32 v52, v44
	v_min_u32_e32 v54, 32, v52
	v_subrev_u32_e32 v52, 28, v54
	v_lshlrev_b64 v[52:53], v52, v[42:43]
	v_lshrrev_b32_e32 v51, 3, v45
	v_sub_u32_e32 v42, 29, v54
	v_and_b32_e32 v52, 7, v52
	v_cmp_gt_u32_e32 vcc, 8, v45
	v_cndmask_b32_e32 v42, v51, v42, vcc
	v_cndmask_b32_e32 v44, v44, v52, vcc
	v_lshlrev_b32_e32 v45, 16, v30
	v_bfrev_b32_e32 v51, 60
	v_lshlrev_b32_e32 v44, 20, v44
	v_and_b32_e32 v45, 0x80000000, v45
	v_lshl_add_u32 v42, v42, 23, v51
	v_or3_b32 v42, v45, v42, v44
	v_lshrrev_b32_e32 v44, 16, v42
.LBB887_21:
	s_or_b64 exec, exec, s[10:11]
.LBB887_22:
	s_or_b64 exec, exec, s[8:9]
.LBB887_23:
	s_or_b64 exec, exec, s[2:3]
	s_movk_i32 s2, 0xff
	v_and_b32_sdwa v52, v30, s2 dst_sel:DWORD dst_unused:UNUSED_PAD src0_sel:WORD_1 src1_sel:DWORD
	v_lshrrev_b32_e32 v42, 16, v30
	v_cmp_ne_u16_e32 vcc, 0, v52
	v_mov_b32_e32 v45, 0
	v_mov_b32_e32 v51, 0
	s_and_saveexec_b64 s[2:3], vcc
	s_cbranch_execz .LBB887_29
; %bb.24:
	s_movk_i32 s8, 0x80
	v_cmp_ne_u16_e32 vcc, s8, v52
	v_mov_b32_e32 v51, 0xffff8000
	s_and_saveexec_b64 s[8:9], vcc
	s_cbranch_execz .LBB887_28
; %bb.25:
	v_bfe_u32 v52, v30, 16, 7
	s_movk_i32 s10, 0x7f
	v_cmp_ne_u32_e32 vcc, s10, v52
	v_mov_b32_e32 v51, 0x7f80
	s_and_saveexec_b64 s[10:11], vcc
	s_cbranch_execz .LBB887_27
; %bb.26:
	v_and_b32_e32 v51, 7, v42
	v_ffbh_u32_e32 v54, v51
	v_min_u32_e32 v56, 32, v54
	v_subrev_u32_e32 v54, 28, v56
	v_lshlrev_b64 v[54:55], v54, v[42:43]
	v_lshrrev_b32_e32 v53, 3, v52
	v_sub_u32_e32 v42, 29, v56
	v_and_b32_e32 v54, 7, v54
	v_cmp_gt_u32_e32 vcc, 8, v52
	v_mov_b32_e32 v52, 24
	v_cndmask_b32_e32 v42, v53, v42, vcc
	v_cndmask_b32_e32 v51, v51, v54, vcc
	v_lshlrev_b32_sdwa v52, v52, v30 dst_sel:DWORD dst_unused:UNUSED_PAD src0_sel:DWORD src1_sel:WORD_1
	v_bfrev_b32_e32 v53, 60
	v_lshlrev_b32_e32 v51, 20, v51
	v_and_b32_e32 v52, 0x80000000, v52
	v_lshl_add_u32 v42, v42, 23, v53
	v_or3_b32 v42, v52, v42, v51
	v_lshrrev_b32_e32 v51, 16, v42
.LBB887_27:
	s_or_b64 exec, exec, s[10:11]
.LBB887_28:
	s_or_b64 exec, exec, s[8:9]
.LBB887_29:
	s_or_b64 exec, exec, s[2:3]
	s_mov_b32 s2, 0xffffff
	v_cmp_lt_u32_e32 vcc, s2, v30
	s_and_saveexec_b64 s[2:3], vcc
	s_cbranch_execz .LBB887_35
; %bb.30:
	v_lshrrev_b32_e32 v42, 24, v30
	s_movk_i32 s8, 0x80
	v_cmp_ne_u32_e32 vcc, s8, v42
	v_mov_b32_e32 v45, 0xffff8000
	s_and_saveexec_b64 s[8:9], vcc
	s_cbranch_execz .LBB887_34
; %bb.31:
	v_bfe_u32 v30, v30, 24, 7
	s_movk_i32 s10, 0x7f
	v_cmp_ne_u32_e32 vcc, s10, v30
	v_mov_b32_e32 v45, 0x7f80
	s_and_saveexec_b64 s[10:11], vcc
	s_cbranch_execz .LBB887_33
; %bb.32:
	v_and_b32_e32 v45, 7, v42
	v_ffbh_u32_e32 v52, v45
	v_min_u32_e32 v55, 32, v52
	v_subrev_u32_e32 v52, 28, v55
	v_lshlrev_b64 v[52:53], v52, v[42:43]
	v_lshrrev_b32_e32 v54, 3, v30
	v_sub_u32_e32 v53, 29, v55
	v_and_b32_e32 v52, 7, v52
	v_cmp_gt_u32_e32 vcc, 8, v30
	v_cndmask_b32_e32 v30, v54, v53, vcc
	v_cndmask_b32_e32 v45, v45, v52, vcc
	v_lshlrev_b32_e32 v42, 24, v42
	v_bfrev_b32_e32 v52, 60
	v_lshlrev_b32_e32 v45, 20, v45
	v_and_b32_e32 v42, 0x80000000, v42
	v_lshl_add_u32 v30, v30, 23, v52
	v_or3_b32 v30, v42, v30, v45
	v_lshrrev_b32_e32 v45, 16, v30
.LBB887_33:
	s_or_b64 exec, exec, s[10:11]
.LBB887_34:
	s_or_b64 exec, exec, s[8:9]
.LBB887_35:
	s_or_b64 exec, exec, s[2:3]
	v_mov_b32_e32 v42, 0
	v_cmp_ne_u16_sdwa s[8:9], v31, v42 src0_sel:BYTE_0 src1_sel:DWORD
	v_mov_b32_e32 v52, 0
	s_and_saveexec_b64 s[2:3], s[8:9]
	s_cbranch_execz .LBB887_41
; %bb.36:
	s_movk_i32 s8, 0x80
	v_cmp_ne_u16_sdwa s[10:11], v31, s8 src0_sel:BYTE_0 src1_sel:DWORD
	v_mov_b32_e32 v52, 0xffff8000
	s_and_saveexec_b64 s[8:9], s[10:11]
	s_cbranch_execz .LBB887_40
; %bb.37:
	s_movk_i32 s10, 0x7f
	v_and_b32_e32 v30, 0x7f, v31
	v_cmp_ne_u32_e32 vcc, s10, v30
	v_mov_b32_e32 v52, 0x7f80
	s_and_saveexec_b64 s[10:11], vcc
	s_cbranch_execz .LBB887_39
; %bb.38:
	v_and_b32_e32 v54, 7, v31
	v_ffbh_u32_e32 v53, v54
	v_min_u32_e32 v56, 32, v53
	v_mov_b32_e32 v52, v31
	v_subrev_u32_e32 v53, 28, v56
	v_lshlrev_b64 v[52:53], v53, v[52:53]
	v_lshrrev_b32_e32 v55, 3, v30
	v_sub_u32_e32 v53, 29, v56
	v_and_b32_e32 v52, 7, v52
	v_cmp_gt_u32_e32 vcc, 8, v30
	v_cndmask_b32_e32 v30, v55, v53, vcc
	v_cndmask_b32_e32 v52, v54, v52, vcc
	v_lshlrev_b32_e32 v53, 24, v31
	v_bfrev_b32_e32 v54, 60
	v_lshlrev_b32_e32 v52, 20, v52
	v_and_b32_e32 v53, 0x80000000, v53
	v_lshl_add_u32 v30, v30, 23, v54
	v_or3_b32 v30, v53, v30, v52
	v_lshrrev_b32_e32 v52, 16, v30
.LBB887_39:
	s_or_b64 exec, exec, s[10:11]
.LBB887_40:
	s_or_b64 exec, exec, s[8:9]
.LBB887_41:
	s_or_b64 exec, exec, s[2:3]
	v_lshrrev_b16_e32 v30, 8, v31
	v_cmp_ne_u16_e32 vcc, 0, v30
	s_and_saveexec_b64 s[2:3], vcc
	s_cbranch_execz .LBB887_47
; %bb.42:
	s_movk_i32 s8, 0x80
	v_cmp_ne_u16_e32 vcc, s8, v30
	v_mov_b32_e32 v42, 0xffff8000
	s_and_saveexec_b64 s[8:9], vcc
	s_cbranch_execz .LBB887_46
; %bb.43:
	s_movk_i32 s10, 0x7f
	v_and_b32_e32 v53, 0x7f, v30
	v_cmp_ne_u32_e32 vcc, s10, v53
	v_mov_b32_e32 v42, 0x7f80
	s_and_saveexec_b64 s[10:11], vcc
	s_cbranch_execz .LBB887_45
; %bb.44:
	v_and_b32_e32 v42, 7, v30
	v_ffbh_u32_e32 v54, v42
	v_min_u32_e32 v57, 32, v54
	v_subrev_u32_e32 v54, 28, v57
	v_lshlrev_b64 v[54:55], v54, v[30:31]
	v_lshrrev_b32_e32 v56, 3, v53
	v_sub_u32_e32 v30, 29, v57
	v_and_b32_e32 v54, 7, v54
	v_cmp_gt_u32_e32 vcc, 8, v53
	v_cndmask_b32_e32 v30, v56, v30, vcc
	v_cndmask_b32_e32 v42, v42, v54, vcc
	v_lshlrev_b32_e32 v53, 16, v31
	v_bfrev_b32_e32 v54, 60
	v_lshlrev_b32_e32 v42, 20, v42
	v_and_b32_e32 v53, 0x80000000, v53
	v_lshl_add_u32 v30, v30, 23, v54
	v_or3_b32 v30, v53, v30, v42
	v_lshrrev_b32_e32 v42, 16, v30
.LBB887_45:
	s_or_b64 exec, exec, s[10:11]
.LBB887_46:
	s_or_b64 exec, exec, s[8:9]
.LBB887_47:
	s_or_b64 exec, exec, s[2:3]
	s_movk_i32 s2, 0xff
	v_and_b32_sdwa v55, v31, s2 dst_sel:DWORD dst_unused:UNUSED_PAD src0_sel:WORD_1 src1_sel:DWORD
	v_lshrrev_b32_e32 v30, 16, v31
	v_cmp_ne_u16_e32 vcc, 0, v55
	v_mov_b32_e32 v53, 0
	v_mov_b32_e32 v54, 0
	s_and_saveexec_b64 s[2:3], vcc
	s_cbranch_execz .LBB887_53
; %bb.48:
	s_movk_i32 s8, 0x80
	v_cmp_ne_u16_e32 vcc, s8, v55
	v_mov_b32_e32 v54, 0xffff8000
	s_and_saveexec_b64 s[8:9], vcc
	s_cbranch_execz .LBB887_52
; %bb.49:
	v_bfe_u32 v55, v31, 16, 7
	s_movk_i32 s10, 0x7f
	v_cmp_ne_u32_e32 vcc, s10, v55
	v_mov_b32_e32 v54, 0x7f80
	s_and_saveexec_b64 s[10:11], vcc
	s_cbranch_execz .LBB887_51
; %bb.50:
	v_and_b32_e32 v54, 7, v30
	v_ffbh_u32_e32 v56, v54
	v_min_u32_e32 v59, 32, v56
	v_subrev_u32_e32 v56, 28, v59
	v_lshlrev_b64 v[56:57], v56, v[30:31]
	v_lshrrev_b32_e32 v58, 3, v55
	v_sub_u32_e32 v30, 29, v59
	v_and_b32_e32 v56, 7, v56
	v_cmp_gt_u32_e32 vcc, 8, v55
	v_mov_b32_e32 v55, 24
	v_cndmask_b32_e32 v30, v58, v30, vcc
	v_cndmask_b32_e32 v54, v54, v56, vcc
	v_lshlrev_b32_sdwa v55, v55, v31 dst_sel:DWORD dst_unused:UNUSED_PAD src0_sel:DWORD src1_sel:WORD_1
	v_bfrev_b32_e32 v56, 60
	v_lshlrev_b32_e32 v54, 20, v54
	v_and_b32_e32 v55, 0x80000000, v55
	v_lshl_add_u32 v30, v30, 23, v56
	v_or3_b32 v30, v55, v30, v54
	v_lshrrev_b32_e32 v54, 16, v30
.LBB887_51:
	s_or_b64 exec, exec, s[10:11]
.LBB887_52:
	s_or_b64 exec, exec, s[8:9]
.LBB887_53:
	s_or_b64 exec, exec, s[2:3]
	s_mov_b32 s2, 0xffffff
	v_cmp_lt_u32_e32 vcc, s2, v31
	s_and_saveexec_b64 s[2:3], vcc
	s_cbranch_execz .LBB887_59
; %bb.54:
	v_lshrrev_b32_e32 v30, 24, v31
	s_movk_i32 s8, 0x80
	v_cmp_ne_u32_e32 vcc, s8, v30
	v_mov_b32_e32 v53, 0xffff8000
	s_and_saveexec_b64 s[8:9], vcc
	s_cbranch_execz .LBB887_58
; %bb.55:
	v_bfe_u32 v31, v31, 24, 7
	s_movk_i32 s10, 0x7f
	v_cmp_ne_u32_e32 vcc, s10, v31
	v_mov_b32_e32 v53, 0x7f80
	s_and_saveexec_b64 s[10:11], vcc
	s_cbranch_execz .LBB887_57
; %bb.56:
	v_and_b32_e32 v53, 7, v30
	v_ffbh_u32_e32 v56, v53
	v_min_u32_e32 v58, 32, v56
	v_subrev_u32_e32 v56, 28, v58
	v_lshlrev_b64 v[56:57], v56, v[30:31]
	v_lshrrev_b32_e32 v55, 3, v31
	v_sub_u32_e32 v57, 29, v58
	v_and_b32_e32 v56, 7, v56
	v_cmp_gt_u32_e32 vcc, 8, v31
	v_cndmask_b32_e32 v31, v55, v57, vcc
	v_cndmask_b32_e32 v53, v53, v56, vcc
	v_lshlrev_b32_e32 v30, 24, v30
	v_bfrev_b32_e32 v55, 60
	v_lshlrev_b32_e32 v53, 20, v53
	v_and_b32_e32 v30, 0x80000000, v30
	v_lshl_add_u32 v31, v31, 23, v55
	v_or3_b32 v30, v30, v31, v53
	v_lshrrev_b32_e32 v53, 16, v30
.LBB887_57:
	s_or_b64 exec, exec, s[10:11]
.LBB887_58:
	s_or_b64 exec, exec, s[8:9]
.LBB887_59:
	s_or_b64 exec, exec, s[2:3]
	s_mov_b32 s2, 0x5040100
	v_perm_b32 v31, v45, v51, s2
	v_perm_b32 v30, v44, v43, s2
	;; [unrolled: 1-line block ×4, first 2 shown]
	v_mov_b32_e32 v51, 0
	s_waitcnt lgkmcnt(0)
	v_mfma_f32_16x16x16bf16_1k v[56:59], v[30:31], v[26:27], 0
	v_mov_b32_e32 v31, 0
	v_cmp_ne_u16_sdwa s[8:9], v32, v31 src0_sel:BYTE_0 src1_sel:DWORD
	v_mfma_f32_16x16x16bf16_1k v[42:45], v[42:43], v[28:29], v[56:59]
	s_and_saveexec_b64 s[2:3], s[8:9]
	s_cbranch_execz .LBB887_65
; %bb.60:
	s_movk_i32 s8, 0x80
	v_cmp_ne_u16_sdwa s[10:11], v32, s8 src0_sel:BYTE_0 src1_sel:DWORD
	v_mov_b32_e32 v51, 0xffff8000
	s_and_saveexec_b64 s[8:9], s[10:11]
	s_cbranch_execz .LBB887_64
; %bb.61:
	s_movk_i32 s10, 0x7f
	v_and_b32_e32 v30, 0x7f, v32
	v_cmp_ne_u32_e32 vcc, s10, v30
	v_mov_b32_e32 v51, 0x7f80
	s_and_saveexec_b64 s[10:11], vcc
	s_cbranch_execz .LBB887_63
; %bb.62:
	v_and_b32_e32 v51, 7, v32
	v_ffbh_u32_e32 v52, v51
	v_min_u32_e32 v55, 32, v52
	v_subrev_u32_e32 v52, 28, v55
	v_lshlrev_b64 v[52:53], v52, v[32:33]
	v_lshrrev_b32_e32 v54, 3, v30
	v_sub_u32_e32 v53, 29, v55
	v_and_b32_e32 v52, 7, v52
	v_cmp_gt_u32_e32 vcc, 8, v30
	v_cndmask_b32_e32 v30, v54, v53, vcc
	v_cndmask_b32_e32 v51, v51, v52, vcc
	v_lshlrev_b32_e32 v52, 24, v32
	v_bfrev_b32_e32 v53, 60
	v_lshlrev_b32_e32 v51, 20, v51
	v_and_b32_e32 v52, 0x80000000, v52
	v_lshl_add_u32 v30, v30, 23, v53
	v_or3_b32 v30, v52, v30, v51
	v_lshrrev_b32_e32 v51, 16, v30
.LBB887_63:
	s_or_b64 exec, exec, s[10:11]
.LBB887_64:
	s_or_b64 exec, exec, s[8:9]
.LBB887_65:
	s_or_b64 exec, exec, s[2:3]
	v_lshrrev_b16_e32 v30, 8, v32
	v_cmp_ne_u16_e32 vcc, 0, v30
	s_and_saveexec_b64 s[2:3], vcc
	s_cbranch_execz .LBB887_71
; %bb.66:
	s_movk_i32 s8, 0x80
	v_cmp_ne_u16_e32 vcc, s8, v30
	v_mov_b32_e32 v31, 0xffff8000
	s_and_saveexec_b64 s[8:9], vcc
	s_cbranch_execz .LBB887_70
; %bb.67:
	s_movk_i32 s10, 0x7f
	v_and_b32_e32 v52, 0x7f, v30
	v_cmp_ne_u32_e32 vcc, s10, v52
	v_mov_b32_e32 v31, 0x7f80
	s_and_saveexec_b64 s[10:11], vcc
	s_cbranch_execz .LBB887_69
; %bb.68:
	v_and_b32_e32 v53, 7, v30
	v_ffbh_u32_e32 v31, v53
	v_min_u32_e32 v55, 32, v31
	v_subrev_u32_e32 v31, 28, v55
	v_lshlrev_b64 v[30:31], v31, v[30:31]
	v_lshrrev_b32_e32 v54, 3, v52
	v_sub_u32_e32 v31, 29, v55
	v_and_b32_e32 v30, 7, v30
	v_cmp_gt_u32_e32 vcc, 8, v52
	v_cndmask_b32_e32 v31, v54, v31, vcc
	v_cndmask_b32_e32 v30, v53, v30, vcc
	v_lshlrev_b32_e32 v52, 16, v32
	v_bfrev_b32_e32 v53, 60
	v_lshlrev_b32_e32 v30, 20, v30
	v_and_b32_e32 v52, 0x80000000, v52
	v_lshl_add_u32 v31, v31, 23, v53
	v_or3_b32 v30, v52, v31, v30
	v_lshrrev_b32_e32 v31, 16, v30
.LBB887_69:
	s_or_b64 exec, exec, s[10:11]
.LBB887_70:
	s_or_b64 exec, exec, s[8:9]
.LBB887_71:
	s_or_b64 exec, exec, s[2:3]
	s_movk_i32 s2, 0xff
	v_and_b32_sdwa v54, v32, s2 dst_sel:DWORD dst_unused:UNUSED_PAD src0_sel:WORD_1 src1_sel:DWORD
	v_lshrrev_b32_e32 v30, 16, v32
	v_cmp_ne_u16_e32 vcc, 0, v54
	v_mov_b32_e32 v52, 0
	v_mov_b32_e32 v53, 0
	s_and_saveexec_b64 s[2:3], vcc
	s_cbranch_execz .LBB887_77
; %bb.72:
	s_movk_i32 s8, 0x80
	v_cmp_ne_u16_e32 vcc, s8, v54
	v_mov_b32_e32 v53, 0xffff8000
	s_and_saveexec_b64 s[8:9], vcc
	s_cbranch_execz .LBB887_76
; %bb.73:
	v_bfe_u32 v54, v32, 16, 7
	s_movk_i32 s10, 0x7f
	v_cmp_ne_u32_e32 vcc, s10, v54
	v_mov_b32_e32 v53, 0x7f80
	s_and_saveexec_b64 s[10:11], vcc
	s_cbranch_execz .LBB887_75
; %bb.74:
	v_and_b32_e32 v53, 7, v30
	v_ffbh_u32_e32 v56, v53
	v_min_u32_e32 v58, 32, v56
	v_subrev_u32_e32 v56, 28, v58
	v_lshlrev_b64 v[56:57], v56, v[30:31]
	v_lshrrev_b32_e32 v55, 3, v54
	v_sub_u32_e32 v30, 29, v58
	v_and_b32_e32 v56, 7, v56
	v_cmp_gt_u32_e32 vcc, 8, v54
	v_mov_b32_e32 v54, 24
	v_cndmask_b32_e32 v30, v55, v30, vcc
	v_cndmask_b32_e32 v53, v53, v56, vcc
	v_lshlrev_b32_sdwa v54, v54, v32 dst_sel:DWORD dst_unused:UNUSED_PAD src0_sel:DWORD src1_sel:WORD_1
	v_bfrev_b32_e32 v55, 60
	v_lshlrev_b32_e32 v53, 20, v53
	v_and_b32_e32 v54, 0x80000000, v54
	v_lshl_add_u32 v30, v30, 23, v55
	v_or3_b32 v30, v54, v30, v53
	v_lshrrev_b32_e32 v53, 16, v30
.LBB887_75:
	s_or_b64 exec, exec, s[10:11]
.LBB887_76:
	s_or_b64 exec, exec, s[8:9]
.LBB887_77:
	s_or_b64 exec, exec, s[2:3]
	s_mov_b32 s2, 0xffffff
	v_cmp_lt_u32_e32 vcc, s2, v32
	s_and_saveexec_b64 s[2:3], vcc
	s_cbranch_execz .LBB887_83
; %bb.78:
	v_lshrrev_b32_e32 v30, 24, v32
	s_movk_i32 s8, 0x80
	v_cmp_ne_u32_e32 vcc, s8, v30
	v_mov_b32_e32 v52, 0xffff8000
	s_and_saveexec_b64 s[8:9], vcc
	s_cbranch_execz .LBB887_82
; %bb.79:
	v_bfe_u32 v32, v32, 24, 7
	s_movk_i32 s10, 0x7f
	v_cmp_ne_u32_e32 vcc, s10, v32
	v_mov_b32_e32 v52, 0x7f80
	s_and_saveexec_b64 s[10:11], vcc
	s_cbranch_execz .LBB887_81
; %bb.80:
	v_and_b32_e32 v52, 7, v30
	v_ffbh_u32_e32 v54, v52
	v_min_u32_e32 v57, 32, v54
	v_subrev_u32_e32 v54, 28, v57
	v_lshlrev_b64 v[54:55], v54, v[30:31]
	v_lshrrev_b32_e32 v56, 3, v32
	v_sub_u32_e32 v55, 29, v57
	v_and_b32_e32 v54, 7, v54
	v_cmp_gt_u32_e32 vcc, 8, v32
	v_cndmask_b32_e32 v32, v56, v55, vcc
	v_cndmask_b32_e32 v52, v52, v54, vcc
	v_lshlrev_b32_e32 v30, 24, v30
	v_bfrev_b32_e32 v54, 60
	v_lshlrev_b32_e32 v52, 20, v52
	v_and_b32_e32 v30, 0x80000000, v30
	v_lshl_add_u32 v32, v32, 23, v54
	v_or3_b32 v30, v30, v32, v52
	v_lshrrev_b32_e32 v52, 16, v30
.LBB887_81:
	s_or_b64 exec, exec, s[10:11]
.LBB887_82:
	s_or_b64 exec, exec, s[8:9]
.LBB887_83:
	s_or_b64 exec, exec, s[2:3]
	v_mov_b32_e32 v32, 0
	v_cmp_ne_u16_sdwa s[8:9], v33, v32 src0_sel:BYTE_0 src1_sel:DWORD
	v_mov_b32_e32 v54, 0
	s_and_saveexec_b64 s[2:3], s[8:9]
	s_cbranch_execz .LBB887_89
; %bb.84:
	s_movk_i32 s8, 0x80
	v_cmp_ne_u16_sdwa s[10:11], v33, s8 src0_sel:BYTE_0 src1_sel:DWORD
	v_mov_b32_e32 v54, 0xffff8000
	s_and_saveexec_b64 s[8:9], s[10:11]
	s_cbranch_execz .LBB887_88
; %bb.85:
	s_movk_i32 s10, 0x7f
	v_and_b32_e32 v30, 0x7f, v33
	v_cmp_ne_u32_e32 vcc, s10, v30
	v_mov_b32_e32 v54, 0x7f80
	s_and_saveexec_b64 s[10:11], vcc
	s_cbranch_execz .LBB887_87
; %bb.86:
	v_and_b32_e32 v56, 7, v33
	v_ffbh_u32_e32 v55, v56
	v_min_u32_e32 v58, 32, v55
	v_mov_b32_e32 v54, v33
	v_subrev_u32_e32 v55, 28, v58
	v_lshlrev_b64 v[54:55], v55, v[54:55]
	v_lshrrev_b32_e32 v57, 3, v30
	v_sub_u32_e32 v55, 29, v58
	v_and_b32_e32 v54, 7, v54
	v_cmp_gt_u32_e32 vcc, 8, v30
	v_cndmask_b32_e32 v30, v57, v55, vcc
	v_cndmask_b32_e32 v54, v56, v54, vcc
	v_lshlrev_b32_e32 v55, 24, v33
	v_bfrev_b32_e32 v56, 60
	v_lshlrev_b32_e32 v54, 20, v54
	v_and_b32_e32 v55, 0x80000000, v55
	v_lshl_add_u32 v30, v30, 23, v56
	v_or3_b32 v30, v55, v30, v54
	v_lshrrev_b32_e32 v54, 16, v30
.LBB887_87:
	s_or_b64 exec, exec, s[10:11]
.LBB887_88:
	s_or_b64 exec, exec, s[8:9]
.LBB887_89:
	s_or_b64 exec, exec, s[2:3]
	v_lshrrev_b16_e32 v30, 8, v33
	v_cmp_ne_u16_e32 vcc, 0, v30
	s_and_saveexec_b64 s[2:3], vcc
	s_cbranch_execz .LBB887_95
; %bb.90:
	s_movk_i32 s8, 0x80
	v_cmp_ne_u16_e32 vcc, s8, v30
	v_mov_b32_e32 v32, 0xffff8000
	s_and_saveexec_b64 s[8:9], vcc
	s_cbranch_execz .LBB887_94
; %bb.91:
	s_movk_i32 s10, 0x7f
	v_and_b32_e32 v55, 0x7f, v30
	v_cmp_ne_u32_e32 vcc, s10, v55
	v_mov_b32_e32 v32, 0x7f80
	s_and_saveexec_b64 s[10:11], vcc
	s_cbranch_execz .LBB887_93
; %bb.92:
	v_and_b32_e32 v32, 7, v30
	v_ffbh_u32_e32 v56, v32
	v_min_u32_e32 v59, 32, v56
	v_subrev_u32_e32 v56, 28, v59
	v_lshlrev_b64 v[56:57], v56, v[30:31]
	v_lshrrev_b32_e32 v58, 3, v55
	v_sub_u32_e32 v30, 29, v59
	v_and_b32_e32 v56, 7, v56
	v_cmp_gt_u32_e32 vcc, 8, v55
	v_cndmask_b32_e32 v30, v58, v30, vcc
	v_cndmask_b32_e32 v32, v32, v56, vcc
	v_lshlrev_b32_e32 v55, 16, v33
	v_bfrev_b32_e32 v56, 60
	v_lshlrev_b32_e32 v32, 20, v32
	v_and_b32_e32 v55, 0x80000000, v55
	v_lshl_add_u32 v30, v30, 23, v56
	v_or3_b32 v30, v55, v30, v32
	v_lshrrev_b32_e32 v32, 16, v30
.LBB887_93:
	s_or_b64 exec, exec, s[10:11]
.LBB887_94:
	s_or_b64 exec, exec, s[8:9]
.LBB887_95:
	s_or_b64 exec, exec, s[2:3]
	s_movk_i32 s2, 0xff
	v_and_b32_sdwa v57, v33, s2 dst_sel:DWORD dst_unused:UNUSED_PAD src0_sel:WORD_1 src1_sel:DWORD
	v_lshrrev_b32_e32 v30, 16, v33
	v_cmp_ne_u16_e32 vcc, 0, v57
	v_mov_b32_e32 v55, 0
	v_mov_b32_e32 v56, 0
	s_and_saveexec_b64 s[2:3], vcc
	s_cbranch_execz .LBB887_101
; %bb.96:
	s_movk_i32 s8, 0x80
	v_cmp_ne_u16_e32 vcc, s8, v57
	v_mov_b32_e32 v56, 0xffff8000
	s_and_saveexec_b64 s[8:9], vcc
	s_cbranch_execz .LBB887_100
; %bb.97:
	v_bfe_u32 v57, v33, 16, 7
	s_movk_i32 s10, 0x7f
	v_cmp_ne_u32_e32 vcc, s10, v57
	v_mov_b32_e32 v56, 0x7f80
	s_and_saveexec_b64 s[10:11], vcc
	s_cbranch_execz .LBB887_99
; %bb.98:
	v_and_b32_e32 v56, 7, v30
	v_ffbh_u32_e32 v58, v56
	v_min_u32_e32 v61, 32, v58
	v_subrev_u32_e32 v58, 28, v61
	v_lshlrev_b64 v[58:59], v58, v[30:31]
	v_lshrrev_b32_e32 v60, 3, v57
	v_sub_u32_e32 v30, 29, v61
	v_and_b32_e32 v58, 7, v58
	v_cmp_gt_u32_e32 vcc, 8, v57
	v_mov_b32_e32 v57, 24
	v_cndmask_b32_e32 v30, v60, v30, vcc
	v_cndmask_b32_e32 v56, v56, v58, vcc
	v_lshlrev_b32_sdwa v57, v57, v33 dst_sel:DWORD dst_unused:UNUSED_PAD src0_sel:DWORD src1_sel:WORD_1
	v_bfrev_b32_e32 v58, 60
	v_lshlrev_b32_e32 v56, 20, v56
	v_and_b32_e32 v57, 0x80000000, v57
	v_lshl_add_u32 v30, v30, 23, v58
	v_or3_b32 v30, v57, v30, v56
	v_lshrrev_b32_e32 v56, 16, v30
.LBB887_99:
	s_or_b64 exec, exec, s[10:11]
.LBB887_100:
	s_or_b64 exec, exec, s[8:9]
.LBB887_101:
	s_or_b64 exec, exec, s[2:3]
	s_mov_b32 s2, 0xffffff
	v_cmp_lt_u32_e32 vcc, s2, v33
	s_and_saveexec_b64 s[2:3], vcc
	s_cbranch_execz .LBB887_107
; %bb.102:
	v_lshrrev_b32_e32 v30, 24, v33
	s_movk_i32 s8, 0x80
	v_cmp_ne_u32_e32 vcc, s8, v30
	v_mov_b32_e32 v55, 0xffff8000
	s_and_saveexec_b64 s[8:9], vcc
	s_cbranch_execz .LBB887_106
; %bb.103:
	v_bfe_u32 v33, v33, 24, 7
	s_movk_i32 s10, 0x7f
	v_cmp_ne_u32_e32 vcc, s10, v33
	v_mov_b32_e32 v55, 0x7f80
	s_and_saveexec_b64 s[10:11], vcc
	s_cbranch_execz .LBB887_105
; %bb.104:
	v_and_b32_e32 v55, 7, v30
	v_ffbh_u32_e32 v58, v55
	v_min_u32_e32 v60, 32, v58
	v_subrev_u32_e32 v58, 28, v60
	v_lshlrev_b64 v[58:59], v58, v[30:31]
	v_lshrrev_b32_e32 v57, 3, v33
	v_sub_u32_e32 v59, 29, v60
	v_and_b32_e32 v58, 7, v58
	v_cmp_gt_u32_e32 vcc, 8, v33
	v_cndmask_b32_e32 v33, v57, v59, vcc
	v_cndmask_b32_e32 v55, v55, v58, vcc
	v_lshlrev_b32_e32 v30, 24, v30
	v_bfrev_b32_e32 v57, 60
	v_lshlrev_b32_e32 v55, 20, v55
	v_and_b32_e32 v30, 0x80000000, v30
	v_lshl_add_u32 v33, v33, 23, v57
	v_or3_b32 v30, v30, v33, v55
	v_lshrrev_b32_e32 v55, 16, v30
.LBB887_105:
	s_or_b64 exec, exec, s[10:11]
.LBB887_106:
	s_or_b64 exec, exec, s[8:9]
.LBB887_107:
	s_or_b64 exec, exec, s[2:3]
	s_mov_b32 s2, 0x5040100
	v_perm_b32 v53, v52, v53, s2
	v_perm_b32 v52, v31, v51, s2
	v_perm_b32 v31, v55, v56, s2
	v_perm_b32 v30, v32, v54, s2
	v_mfma_f32_16x16x16bf16_1k v[58:61], v[52:53], v[18:19], v[42:45]
	s_nop 6
	v_mov_b32_e32 v43, 0
	s_waitcnt vmcnt(6)
	v_cmp_ne_u16_sdwa s[8:9], v38, v43 src0_sel:BYTE_0 src1_sel:DWORD
	v_mfma_f32_16x16x16bf16_1k v[30:33], v[30:31], v[20:21], v[58:61]
	v_mov_b32_e32 v44, 0
	s_and_saveexec_b64 s[2:3], s[8:9]
	s_cbranch_execz .LBB887_113
; %bb.108:
	s_movk_i32 s8, 0x80
	v_cmp_ne_u16_sdwa s[10:11], v38, s8 src0_sel:BYTE_0 src1_sel:DWORD
	v_mov_b32_e32 v44, 0xffff8000
	s_and_saveexec_b64 s[8:9], s[10:11]
	s_cbranch_execz .LBB887_112
; %bb.109:
	s_movk_i32 s10, 0x7f
	v_and_b32_e32 v42, 0x7f, v38
	v_cmp_ne_u32_e32 vcc, s10, v42
	v_mov_b32_e32 v44, 0x7f80
	s_and_saveexec_b64 s[10:11], vcc
	s_cbranch_execz .LBB887_111
; %bb.110:
	v_and_b32_e32 v51, 7, v38
	v_ffbh_u32_e32 v44, v51
	v_min_u32_e32 v53, 32, v44
	v_subrev_u32_e32 v44, 28, v53
	v_lshlrev_b64 v[44:45], v44, v[38:39]
	v_lshrrev_b32_e32 v52, 3, v42
	v_sub_u32_e32 v45, 29, v53
	v_and_b32_e32 v44, 7, v44
	v_cmp_gt_u32_e32 vcc, 8, v42
	v_cndmask_b32_e32 v42, v52, v45, vcc
	v_cndmask_b32_e32 v44, v51, v44, vcc
	v_lshlrev_b32_e32 v45, 24, v38
	v_bfrev_b32_e32 v51, 60
	v_lshlrev_b32_e32 v44, 20, v44
	v_and_b32_e32 v45, 0x80000000, v45
	v_lshl_add_u32 v42, v42, 23, v51
	v_or3_b32 v42, v45, v42, v44
	v_lshrrev_b32_e32 v44, 16, v42
.LBB887_111:
	s_or_b64 exec, exec, s[10:11]
.LBB887_112:
	s_or_b64 exec, exec, s[8:9]
.LBB887_113:
	s_or_b64 exec, exec, s[2:3]
	v_lshrrev_b16_e32 v42, 8, v38
	v_cmp_ne_u16_e32 vcc, 0, v42
	s_and_saveexec_b64 s[2:3], vcc
	s_cbranch_execz .LBB887_119
; %bb.114:
	s_movk_i32 s8, 0x80
	v_cmp_ne_u16_e32 vcc, s8, v42
	v_mov_b32_e32 v43, 0xffff8000
	s_and_saveexec_b64 s[8:9], vcc
	s_cbranch_execz .LBB887_118
; %bb.115:
	s_movk_i32 s10, 0x7f
	v_and_b32_e32 v45, 0x7f, v42
	v_cmp_ne_u32_e32 vcc, s10, v45
	v_mov_b32_e32 v43, 0x7f80
	s_and_saveexec_b64 s[10:11], vcc
	s_cbranch_execz .LBB887_117
; %bb.116:
	v_and_b32_e32 v51, 7, v42
	v_ffbh_u32_e32 v43, v51
	v_min_u32_e32 v53, 32, v43
	v_subrev_u32_e32 v43, 28, v53
	v_lshlrev_b64 v[42:43], v43, v[42:43]
	v_lshrrev_b32_e32 v52, 3, v45
	v_sub_u32_e32 v43, 29, v53
	v_and_b32_e32 v42, 7, v42
	v_cmp_gt_u32_e32 vcc, 8, v45
	v_cndmask_b32_e32 v43, v52, v43, vcc
	v_cndmask_b32_e32 v42, v51, v42, vcc
	v_lshlrev_b32_e32 v45, 16, v38
	v_bfrev_b32_e32 v51, 60
	v_lshlrev_b32_e32 v42, 20, v42
	v_and_b32_e32 v45, 0x80000000, v45
	v_lshl_add_u32 v43, v43, 23, v51
	v_or3_b32 v42, v45, v43, v42
	v_lshrrev_b32_e32 v43, 16, v42
.LBB887_117:
	s_or_b64 exec, exec, s[10:11]
.LBB887_118:
	s_or_b64 exec, exec, s[8:9]
.LBB887_119:
	s_or_b64 exec, exec, s[2:3]
	s_movk_i32 s2, 0xff
	v_and_b32_sdwa v52, v38, s2 dst_sel:DWORD dst_unused:UNUSED_PAD src0_sel:WORD_1 src1_sel:DWORD
	v_lshrrev_b32_e32 v42, 16, v38
	v_cmp_ne_u16_e32 vcc, 0, v52
	v_mov_b32_e32 v45, 0
	v_mov_b32_e32 v51, 0
	s_and_saveexec_b64 s[2:3], vcc
	s_cbranch_execz .LBB887_125
; %bb.120:
	s_movk_i32 s8, 0x80
	v_cmp_ne_u16_e32 vcc, s8, v52
	v_mov_b32_e32 v51, 0xffff8000
	s_and_saveexec_b64 s[8:9], vcc
	s_cbranch_execz .LBB887_124
; %bb.121:
	v_bfe_u32 v52, v38, 16, 7
	s_movk_i32 s10, 0x7f
	v_cmp_ne_u32_e32 vcc, s10, v52
	v_mov_b32_e32 v51, 0x7f80
	s_and_saveexec_b64 s[10:11], vcc
	s_cbranch_execz .LBB887_123
; %bb.122:
	v_and_b32_e32 v51, 7, v42
	v_ffbh_u32_e32 v54, v51
	v_min_u32_e32 v56, 32, v54
	v_subrev_u32_e32 v54, 28, v56
	v_lshlrev_b64 v[54:55], v54, v[42:43]
	v_lshrrev_b32_e32 v53, 3, v52
	v_sub_u32_e32 v42, 29, v56
	v_and_b32_e32 v54, 7, v54
	v_cmp_gt_u32_e32 vcc, 8, v52
	v_mov_b32_e32 v52, 24
	v_cndmask_b32_e32 v42, v53, v42, vcc
	v_cndmask_b32_e32 v51, v51, v54, vcc
	v_lshlrev_b32_sdwa v52, v52, v38 dst_sel:DWORD dst_unused:UNUSED_PAD src0_sel:DWORD src1_sel:WORD_1
	v_bfrev_b32_e32 v53, 60
	v_lshlrev_b32_e32 v51, 20, v51
	v_and_b32_e32 v52, 0x80000000, v52
	v_lshl_add_u32 v42, v42, 23, v53
	v_or3_b32 v42, v52, v42, v51
	v_lshrrev_b32_e32 v51, 16, v42
.LBB887_123:
	s_or_b64 exec, exec, s[10:11]
.LBB887_124:
	s_or_b64 exec, exec, s[8:9]
.LBB887_125:
	s_or_b64 exec, exec, s[2:3]
	s_mov_b32 s2, 0xffffff
	v_cmp_lt_u32_e32 vcc, s2, v38
	s_and_saveexec_b64 s[2:3], vcc
	s_cbranch_execz .LBB887_131
; %bb.126:
	v_lshrrev_b32_e32 v42, 24, v38
	s_movk_i32 s8, 0x80
	v_cmp_ne_u32_e32 vcc, s8, v42
	v_mov_b32_e32 v45, 0xffff8000
	s_and_saveexec_b64 s[8:9], vcc
	s_cbranch_execz .LBB887_130
; %bb.127:
	v_bfe_u32 v38, v38, 24, 7
	s_movk_i32 s10, 0x7f
	v_cmp_ne_u32_e32 vcc, s10, v38
	v_mov_b32_e32 v45, 0x7f80
	s_and_saveexec_b64 s[10:11], vcc
	s_cbranch_execz .LBB887_129
; %bb.128:
	v_and_b32_e32 v45, 7, v42
	v_ffbh_u32_e32 v52, v45
	v_min_u32_e32 v55, 32, v52
	v_subrev_u32_e32 v52, 28, v55
	v_lshlrev_b64 v[52:53], v52, v[42:43]
	v_lshrrev_b32_e32 v54, 3, v38
	v_sub_u32_e32 v53, 29, v55
	v_and_b32_e32 v52, 7, v52
	v_cmp_gt_u32_e32 vcc, 8, v38
	v_cndmask_b32_e32 v38, v54, v53, vcc
	v_cndmask_b32_e32 v45, v45, v52, vcc
	v_lshlrev_b32_e32 v42, 24, v42
	v_bfrev_b32_e32 v52, 60
	v_lshlrev_b32_e32 v45, 20, v45
	v_and_b32_e32 v42, 0x80000000, v42
	v_lshl_add_u32 v38, v38, 23, v52
	v_or3_b32 v38, v42, v38, v45
	v_lshrrev_b32_e32 v45, 16, v38
.LBB887_129:
	s_or_b64 exec, exec, s[10:11]
.LBB887_130:
	s_or_b64 exec, exec, s[8:9]
.LBB887_131:
	s_or_b64 exec, exec, s[2:3]
	v_mov_b32_e32 v42, 0
	v_cmp_ne_u16_sdwa s[8:9], v39, v42 src0_sel:BYTE_0 src1_sel:DWORD
	v_mov_b32_e32 v52, 0
	s_and_saveexec_b64 s[2:3], s[8:9]
	s_cbranch_execz .LBB887_137
; %bb.132:
	s_movk_i32 s8, 0x80
	v_cmp_ne_u16_sdwa s[10:11], v39, s8 src0_sel:BYTE_0 src1_sel:DWORD
	v_mov_b32_e32 v52, 0xffff8000
	s_and_saveexec_b64 s[8:9], s[10:11]
	s_cbranch_execz .LBB887_136
; %bb.133:
	s_movk_i32 s10, 0x7f
	v_and_b32_e32 v38, 0x7f, v39
	v_cmp_ne_u32_e32 vcc, s10, v38
	v_mov_b32_e32 v52, 0x7f80
	s_and_saveexec_b64 s[10:11], vcc
	s_cbranch_execz .LBB887_135
; %bb.134:
	v_and_b32_e32 v54, 7, v39
	v_ffbh_u32_e32 v53, v54
	v_min_u32_e32 v56, 32, v53
	v_mov_b32_e32 v52, v39
	v_subrev_u32_e32 v53, 28, v56
	v_lshlrev_b64 v[52:53], v53, v[52:53]
	v_lshrrev_b32_e32 v55, 3, v38
	v_sub_u32_e32 v53, 29, v56
	v_and_b32_e32 v52, 7, v52
	v_cmp_gt_u32_e32 vcc, 8, v38
	v_cndmask_b32_e32 v38, v55, v53, vcc
	v_cndmask_b32_e32 v52, v54, v52, vcc
	v_lshlrev_b32_e32 v53, 24, v39
	v_bfrev_b32_e32 v54, 60
	v_lshlrev_b32_e32 v52, 20, v52
	v_and_b32_e32 v53, 0x80000000, v53
	v_lshl_add_u32 v38, v38, 23, v54
	v_or3_b32 v38, v53, v38, v52
	v_lshrrev_b32_e32 v52, 16, v38
.LBB887_135:
	s_or_b64 exec, exec, s[10:11]
.LBB887_136:
	s_or_b64 exec, exec, s[8:9]
.LBB887_137:
	s_or_b64 exec, exec, s[2:3]
	v_lshrrev_b16_e32 v38, 8, v39
	v_cmp_ne_u16_e32 vcc, 0, v38
	s_and_saveexec_b64 s[2:3], vcc
	s_cbranch_execz .LBB887_143
; %bb.138:
	s_movk_i32 s8, 0x80
	v_cmp_ne_u16_e32 vcc, s8, v38
	v_mov_b32_e32 v42, 0xffff8000
	s_and_saveexec_b64 s[8:9], vcc
	s_cbranch_execz .LBB887_142
; %bb.139:
	s_movk_i32 s10, 0x7f
	v_and_b32_e32 v53, 0x7f, v38
	v_cmp_ne_u32_e32 vcc, s10, v53
	v_mov_b32_e32 v42, 0x7f80
	s_and_saveexec_b64 s[10:11], vcc
	s_cbranch_execz .LBB887_141
; %bb.140:
	v_and_b32_e32 v42, 7, v38
	v_ffbh_u32_e32 v54, v42
	v_min_u32_e32 v57, 32, v54
	v_subrev_u32_e32 v54, 28, v57
	v_lshlrev_b64 v[54:55], v54, v[38:39]
	v_lshrrev_b32_e32 v56, 3, v53
	v_sub_u32_e32 v38, 29, v57
	v_and_b32_e32 v54, 7, v54
	v_cmp_gt_u32_e32 vcc, 8, v53
	v_cndmask_b32_e32 v38, v56, v38, vcc
	v_cndmask_b32_e32 v42, v42, v54, vcc
	v_lshlrev_b32_e32 v53, 16, v39
	v_bfrev_b32_e32 v54, 60
	v_lshlrev_b32_e32 v42, 20, v42
	v_and_b32_e32 v53, 0x80000000, v53
	v_lshl_add_u32 v38, v38, 23, v54
	v_or3_b32 v38, v53, v38, v42
	v_lshrrev_b32_e32 v42, 16, v38
.LBB887_141:
	s_or_b64 exec, exec, s[10:11]
.LBB887_142:
	s_or_b64 exec, exec, s[8:9]
.LBB887_143:
	s_or_b64 exec, exec, s[2:3]
	s_movk_i32 s2, 0xff
	v_and_b32_sdwa v55, v39, s2 dst_sel:DWORD dst_unused:UNUSED_PAD src0_sel:WORD_1 src1_sel:DWORD
	v_lshrrev_b32_e32 v38, 16, v39
	v_cmp_ne_u16_e32 vcc, 0, v55
	v_mov_b32_e32 v53, 0
	v_mov_b32_e32 v54, 0
	s_and_saveexec_b64 s[2:3], vcc
	s_cbranch_execz .LBB887_149
; %bb.144:
	s_movk_i32 s8, 0x80
	v_cmp_ne_u16_e32 vcc, s8, v55
	v_mov_b32_e32 v54, 0xffff8000
	s_and_saveexec_b64 s[8:9], vcc
	s_cbranch_execz .LBB887_148
; %bb.145:
	v_bfe_u32 v55, v39, 16, 7
	s_movk_i32 s10, 0x7f
	v_cmp_ne_u32_e32 vcc, s10, v55
	v_mov_b32_e32 v54, 0x7f80
	s_and_saveexec_b64 s[10:11], vcc
	s_cbranch_execz .LBB887_147
; %bb.146:
	v_and_b32_e32 v54, 7, v38
	v_ffbh_u32_e32 v56, v54
	v_min_u32_e32 v59, 32, v56
	v_subrev_u32_e32 v56, 28, v59
	v_lshlrev_b64 v[56:57], v56, v[38:39]
	v_lshrrev_b32_e32 v58, 3, v55
	v_sub_u32_e32 v38, 29, v59
	v_and_b32_e32 v56, 7, v56
	v_cmp_gt_u32_e32 vcc, 8, v55
	v_mov_b32_e32 v55, 24
	v_cndmask_b32_e32 v38, v58, v38, vcc
	v_cndmask_b32_e32 v54, v54, v56, vcc
	v_lshlrev_b32_sdwa v55, v55, v39 dst_sel:DWORD dst_unused:UNUSED_PAD src0_sel:DWORD src1_sel:WORD_1
	v_bfrev_b32_e32 v56, 60
	v_lshlrev_b32_e32 v54, 20, v54
	v_and_b32_e32 v55, 0x80000000, v55
	v_lshl_add_u32 v38, v38, 23, v56
	v_or3_b32 v38, v55, v38, v54
	v_lshrrev_b32_e32 v54, 16, v38
.LBB887_147:
	s_or_b64 exec, exec, s[10:11]
.LBB887_148:
	s_or_b64 exec, exec, s[8:9]
.LBB887_149:
	s_or_b64 exec, exec, s[2:3]
	s_mov_b32 s2, 0xffffff
	v_cmp_lt_u32_e32 vcc, s2, v39
	s_and_saveexec_b64 s[2:3], vcc
	s_cbranch_execz .LBB887_155
; %bb.150:
	v_lshrrev_b32_e32 v38, 24, v39
	s_movk_i32 s8, 0x80
	v_cmp_ne_u32_e32 vcc, s8, v38
	v_mov_b32_e32 v53, 0xffff8000
	s_and_saveexec_b64 s[8:9], vcc
	s_cbranch_execz .LBB887_154
; %bb.151:
	v_bfe_u32 v39, v39, 24, 7
	s_movk_i32 s10, 0x7f
	v_cmp_ne_u32_e32 vcc, s10, v39
	v_mov_b32_e32 v53, 0x7f80
	s_and_saveexec_b64 s[10:11], vcc
	s_cbranch_execz .LBB887_153
; %bb.152:
	v_and_b32_e32 v53, 7, v38
	v_ffbh_u32_e32 v56, v53
	v_min_u32_e32 v58, 32, v56
	v_subrev_u32_e32 v56, 28, v58
	v_lshlrev_b64 v[56:57], v56, v[38:39]
	v_lshrrev_b32_e32 v55, 3, v39
	v_sub_u32_e32 v57, 29, v58
	v_and_b32_e32 v56, 7, v56
	v_cmp_gt_u32_e32 vcc, 8, v39
	v_cndmask_b32_e32 v39, v55, v57, vcc
	v_cndmask_b32_e32 v53, v53, v56, vcc
	v_lshlrev_b32_e32 v38, 24, v38
	v_bfrev_b32_e32 v55, 60
	v_lshlrev_b32_e32 v53, 20, v53
	v_and_b32_e32 v38, 0x80000000, v38
	v_lshl_add_u32 v39, v39, 23, v55
	v_or3_b32 v38, v38, v39, v53
	v_lshrrev_b32_e32 v53, 16, v38
.LBB887_153:
	s_or_b64 exec, exec, s[10:11]
.LBB887_154:
	s_or_b64 exec, exec, s[8:9]
.LBB887_155:
	s_or_b64 exec, exec, s[2:3]
	s_mov_b32 s2, 0x5040100
	v_perm_b32 v39, v45, v51, s2
	v_perm_b32 v38, v43, v44, s2
	;; [unrolled: 1-line block ×4, first 2 shown]
	v_mov_b32_e32 v51, 0
	v_mfma_f32_16x16x16bf16_1k v[56:59], v[38:39], v[26:27], 0
	v_mov_b32_e32 v39, 0
	v_cmp_ne_u16_sdwa s[8:9], v40, v39 src0_sel:BYTE_0 src1_sel:DWORD
	v_mfma_f32_16x16x16bf16_1k v[42:45], v[42:43], v[28:29], v[56:59]
	s_and_saveexec_b64 s[2:3], s[8:9]
	s_cbranch_execz .LBB887_161
; %bb.156:
	s_movk_i32 s8, 0x80
	v_cmp_ne_u16_sdwa s[10:11], v40, s8 src0_sel:BYTE_0 src1_sel:DWORD
	v_mov_b32_e32 v51, 0xffff8000
	s_and_saveexec_b64 s[8:9], s[10:11]
	s_cbranch_execz .LBB887_160
; %bb.157:
	s_movk_i32 s10, 0x7f
	v_and_b32_e32 v38, 0x7f, v40
	v_cmp_ne_u32_e32 vcc, s10, v38
	v_mov_b32_e32 v51, 0x7f80
	s_and_saveexec_b64 s[10:11], vcc
	s_cbranch_execz .LBB887_159
; %bb.158:
	v_and_b32_e32 v51, 7, v40
	v_ffbh_u32_e32 v52, v51
	v_min_u32_e32 v55, 32, v52
	v_subrev_u32_e32 v52, 28, v55
	v_lshlrev_b64 v[52:53], v52, v[40:41]
	v_lshrrev_b32_e32 v54, 3, v38
	v_sub_u32_e32 v53, 29, v55
	v_and_b32_e32 v52, 7, v52
	v_cmp_gt_u32_e32 vcc, 8, v38
	v_cndmask_b32_e32 v38, v54, v53, vcc
	v_cndmask_b32_e32 v51, v51, v52, vcc
	v_lshlrev_b32_e32 v52, 24, v40
	v_bfrev_b32_e32 v53, 60
	v_lshlrev_b32_e32 v51, 20, v51
	v_and_b32_e32 v52, 0x80000000, v52
	v_lshl_add_u32 v38, v38, 23, v53
	v_or3_b32 v38, v52, v38, v51
	v_lshrrev_b32_e32 v51, 16, v38
.LBB887_159:
	s_or_b64 exec, exec, s[10:11]
.LBB887_160:
	s_or_b64 exec, exec, s[8:9]
.LBB887_161:
	s_or_b64 exec, exec, s[2:3]
	v_lshrrev_b16_e32 v38, 8, v40
	v_cmp_ne_u16_e32 vcc, 0, v38
	s_and_saveexec_b64 s[2:3], vcc
	s_cbranch_execz .LBB887_167
; %bb.162:
	s_movk_i32 s8, 0x80
	v_cmp_ne_u16_e32 vcc, s8, v38
	v_mov_b32_e32 v39, 0xffff8000
	s_and_saveexec_b64 s[8:9], vcc
	s_cbranch_execz .LBB887_166
; %bb.163:
	s_movk_i32 s10, 0x7f
	v_and_b32_e32 v52, 0x7f, v38
	v_cmp_ne_u32_e32 vcc, s10, v52
	v_mov_b32_e32 v39, 0x7f80
	s_and_saveexec_b64 s[10:11], vcc
	s_cbranch_execz .LBB887_165
; %bb.164:
	v_and_b32_e32 v53, 7, v38
	v_ffbh_u32_e32 v39, v53
	v_min_u32_e32 v55, 32, v39
	v_subrev_u32_e32 v39, 28, v55
	v_lshlrev_b64 v[38:39], v39, v[38:39]
	v_lshrrev_b32_e32 v54, 3, v52
	v_sub_u32_e32 v39, 29, v55
	v_and_b32_e32 v38, 7, v38
	v_cmp_gt_u32_e32 vcc, 8, v52
	v_cndmask_b32_e32 v39, v54, v39, vcc
	v_cndmask_b32_e32 v38, v53, v38, vcc
	v_lshlrev_b32_e32 v52, 16, v40
	v_bfrev_b32_e32 v53, 60
	v_lshlrev_b32_e32 v38, 20, v38
	v_and_b32_e32 v52, 0x80000000, v52
	v_lshl_add_u32 v39, v39, 23, v53
	v_or3_b32 v38, v52, v39, v38
	v_lshrrev_b32_e32 v39, 16, v38
.LBB887_165:
	s_or_b64 exec, exec, s[10:11]
.LBB887_166:
	s_or_b64 exec, exec, s[8:9]
.LBB887_167:
	s_or_b64 exec, exec, s[2:3]
	s_movk_i32 s2, 0xff
	v_and_b32_sdwa v54, v40, s2 dst_sel:DWORD dst_unused:UNUSED_PAD src0_sel:WORD_1 src1_sel:DWORD
	v_lshrrev_b32_e32 v38, 16, v40
	v_cmp_ne_u16_e32 vcc, 0, v54
	v_mov_b32_e32 v52, 0
	v_mov_b32_e32 v53, 0
	s_and_saveexec_b64 s[2:3], vcc
	s_cbranch_execz .LBB887_173
; %bb.168:
	s_movk_i32 s8, 0x80
	v_cmp_ne_u16_e32 vcc, s8, v54
	v_mov_b32_e32 v53, 0xffff8000
	s_and_saveexec_b64 s[8:9], vcc
	s_cbranch_execz .LBB887_172
; %bb.169:
	v_bfe_u32 v54, v40, 16, 7
	s_movk_i32 s10, 0x7f
	v_cmp_ne_u32_e32 vcc, s10, v54
	v_mov_b32_e32 v53, 0x7f80
	s_and_saveexec_b64 s[10:11], vcc
	s_cbranch_execz .LBB887_171
; %bb.170:
	v_and_b32_e32 v53, 7, v38
	v_ffbh_u32_e32 v56, v53
	v_min_u32_e32 v58, 32, v56
	v_subrev_u32_e32 v56, 28, v58
	v_lshlrev_b64 v[56:57], v56, v[38:39]
	v_lshrrev_b32_e32 v55, 3, v54
	v_sub_u32_e32 v38, 29, v58
	v_and_b32_e32 v56, 7, v56
	v_cmp_gt_u32_e32 vcc, 8, v54
	v_mov_b32_e32 v54, 24
	v_cndmask_b32_e32 v38, v55, v38, vcc
	v_cndmask_b32_e32 v53, v53, v56, vcc
	v_lshlrev_b32_sdwa v54, v54, v40 dst_sel:DWORD dst_unused:UNUSED_PAD src0_sel:DWORD src1_sel:WORD_1
	v_bfrev_b32_e32 v55, 60
	v_lshlrev_b32_e32 v53, 20, v53
	v_and_b32_e32 v54, 0x80000000, v54
	v_lshl_add_u32 v38, v38, 23, v55
	v_or3_b32 v38, v54, v38, v53
	v_lshrrev_b32_e32 v53, 16, v38
.LBB887_171:
	s_or_b64 exec, exec, s[10:11]
.LBB887_172:
	s_or_b64 exec, exec, s[8:9]
.LBB887_173:
	s_or_b64 exec, exec, s[2:3]
	s_mov_b32 s2, 0xffffff
	v_cmp_lt_u32_e32 vcc, s2, v40
	s_and_saveexec_b64 s[2:3], vcc
	s_cbranch_execz .LBB887_179
; %bb.174:
	v_lshrrev_b32_e32 v38, 24, v40
	s_movk_i32 s8, 0x80
	v_cmp_ne_u32_e32 vcc, s8, v38
	v_mov_b32_e32 v52, 0xffff8000
	s_and_saveexec_b64 s[8:9], vcc
	s_cbranch_execz .LBB887_178
; %bb.175:
	v_bfe_u32 v40, v40, 24, 7
	s_movk_i32 s10, 0x7f
	v_cmp_ne_u32_e32 vcc, s10, v40
	v_mov_b32_e32 v52, 0x7f80
	s_and_saveexec_b64 s[10:11], vcc
	s_cbranch_execz .LBB887_177
; %bb.176:
	v_and_b32_e32 v52, 7, v38
	v_ffbh_u32_e32 v54, v52
	v_min_u32_e32 v57, 32, v54
	v_subrev_u32_e32 v54, 28, v57
	v_lshlrev_b64 v[54:55], v54, v[38:39]
	v_lshrrev_b32_e32 v56, 3, v40
	v_sub_u32_e32 v55, 29, v57
	v_and_b32_e32 v54, 7, v54
	v_cmp_gt_u32_e32 vcc, 8, v40
	v_cndmask_b32_e32 v40, v56, v55, vcc
	v_cndmask_b32_e32 v52, v52, v54, vcc
	v_lshlrev_b32_e32 v38, 24, v38
	v_bfrev_b32_e32 v54, 60
	v_lshlrev_b32_e32 v52, 20, v52
	v_and_b32_e32 v38, 0x80000000, v38
	v_lshl_add_u32 v40, v40, 23, v54
	v_or3_b32 v38, v38, v40, v52
	v_lshrrev_b32_e32 v52, 16, v38
.LBB887_177:
	s_or_b64 exec, exec, s[10:11]
.LBB887_178:
	s_or_b64 exec, exec, s[8:9]
.LBB887_179:
	s_or_b64 exec, exec, s[2:3]
	v_mov_b32_e32 v40, 0
	v_cmp_ne_u16_sdwa s[8:9], v41, v40 src0_sel:BYTE_0 src1_sel:DWORD
	v_mov_b32_e32 v54, 0
	s_and_saveexec_b64 s[2:3], s[8:9]
	s_cbranch_execz .LBB887_185
; %bb.180:
	s_movk_i32 s8, 0x80
	v_cmp_ne_u16_sdwa s[10:11], v41, s8 src0_sel:BYTE_0 src1_sel:DWORD
	v_mov_b32_e32 v54, 0xffff8000
	s_and_saveexec_b64 s[8:9], s[10:11]
	s_cbranch_execz .LBB887_184
; %bb.181:
	s_movk_i32 s10, 0x7f
	v_and_b32_e32 v38, 0x7f, v41
	v_cmp_ne_u32_e32 vcc, s10, v38
	v_mov_b32_e32 v54, 0x7f80
	s_and_saveexec_b64 s[10:11], vcc
	s_cbranch_execz .LBB887_183
; %bb.182:
	v_and_b32_e32 v56, 7, v41
	v_ffbh_u32_e32 v55, v56
	v_min_u32_e32 v58, 32, v55
	v_mov_b32_e32 v54, v41
	v_subrev_u32_e32 v55, 28, v58
	v_lshlrev_b64 v[54:55], v55, v[54:55]
	v_lshrrev_b32_e32 v57, 3, v38
	v_sub_u32_e32 v55, 29, v58
	v_and_b32_e32 v54, 7, v54
	v_cmp_gt_u32_e32 vcc, 8, v38
	v_cndmask_b32_e32 v38, v57, v55, vcc
	v_cndmask_b32_e32 v54, v56, v54, vcc
	v_lshlrev_b32_e32 v55, 24, v41
	v_bfrev_b32_e32 v56, 60
	v_lshlrev_b32_e32 v54, 20, v54
	v_and_b32_e32 v55, 0x80000000, v55
	v_lshl_add_u32 v38, v38, 23, v56
	v_or3_b32 v38, v55, v38, v54
	v_lshrrev_b32_e32 v54, 16, v38
.LBB887_183:
	s_or_b64 exec, exec, s[10:11]
.LBB887_184:
	s_or_b64 exec, exec, s[8:9]
.LBB887_185:
	s_or_b64 exec, exec, s[2:3]
	v_lshrrev_b16_e32 v38, 8, v41
	v_cmp_ne_u16_e32 vcc, 0, v38
	s_and_saveexec_b64 s[2:3], vcc
	s_cbranch_execz .LBB887_191
; %bb.186:
	s_movk_i32 s8, 0x80
	v_cmp_ne_u16_e32 vcc, s8, v38
	v_mov_b32_e32 v40, 0xffff8000
	s_and_saveexec_b64 s[8:9], vcc
	s_cbranch_execz .LBB887_190
; %bb.187:
	s_movk_i32 s10, 0x7f
	v_and_b32_e32 v55, 0x7f, v38
	v_cmp_ne_u32_e32 vcc, s10, v55
	v_mov_b32_e32 v40, 0x7f80
	s_and_saveexec_b64 s[10:11], vcc
	s_cbranch_execz .LBB887_189
; %bb.188:
	v_and_b32_e32 v40, 7, v38
	v_ffbh_u32_e32 v56, v40
	v_min_u32_e32 v59, 32, v56
	v_subrev_u32_e32 v56, 28, v59
	v_lshlrev_b64 v[56:57], v56, v[38:39]
	v_lshrrev_b32_e32 v58, 3, v55
	v_sub_u32_e32 v38, 29, v59
	v_and_b32_e32 v56, 7, v56
	v_cmp_gt_u32_e32 vcc, 8, v55
	v_cndmask_b32_e32 v38, v58, v38, vcc
	v_cndmask_b32_e32 v40, v40, v56, vcc
	v_lshlrev_b32_e32 v55, 16, v41
	v_bfrev_b32_e32 v56, 60
	v_lshlrev_b32_e32 v40, 20, v40
	v_and_b32_e32 v55, 0x80000000, v55
	v_lshl_add_u32 v38, v38, 23, v56
	v_or3_b32 v38, v55, v38, v40
	v_lshrrev_b32_e32 v40, 16, v38
.LBB887_189:
	s_or_b64 exec, exec, s[10:11]
.LBB887_190:
	s_or_b64 exec, exec, s[8:9]
.LBB887_191:
	s_or_b64 exec, exec, s[2:3]
	s_movk_i32 s2, 0xff
	v_and_b32_sdwa v57, v41, s2 dst_sel:DWORD dst_unused:UNUSED_PAD src0_sel:WORD_1 src1_sel:DWORD
	v_lshrrev_b32_e32 v38, 16, v41
	v_cmp_ne_u16_e32 vcc, 0, v57
	v_mov_b32_e32 v55, 0
	v_mov_b32_e32 v56, 0
	s_and_saveexec_b64 s[2:3], vcc
	s_cbranch_execz .LBB887_197
; %bb.192:
	s_movk_i32 s8, 0x80
	v_cmp_ne_u16_e32 vcc, s8, v57
	v_mov_b32_e32 v56, 0xffff8000
	s_and_saveexec_b64 s[8:9], vcc
	s_cbranch_execz .LBB887_196
; %bb.193:
	v_bfe_u32 v57, v41, 16, 7
	s_movk_i32 s10, 0x7f
	v_cmp_ne_u32_e32 vcc, s10, v57
	v_mov_b32_e32 v56, 0x7f80
	s_and_saveexec_b64 s[10:11], vcc
	s_cbranch_execz .LBB887_195
; %bb.194:
	v_and_b32_e32 v56, 7, v38
	v_ffbh_u32_e32 v58, v56
	v_min_u32_e32 v61, 32, v58
	v_subrev_u32_e32 v58, 28, v61
	v_lshlrev_b64 v[58:59], v58, v[38:39]
	v_lshrrev_b32_e32 v60, 3, v57
	v_sub_u32_e32 v38, 29, v61
	v_and_b32_e32 v58, 7, v58
	v_cmp_gt_u32_e32 vcc, 8, v57
	v_mov_b32_e32 v57, 24
	v_cndmask_b32_e32 v38, v60, v38, vcc
	v_cndmask_b32_e32 v56, v56, v58, vcc
	v_lshlrev_b32_sdwa v57, v57, v41 dst_sel:DWORD dst_unused:UNUSED_PAD src0_sel:DWORD src1_sel:WORD_1
	v_bfrev_b32_e32 v58, 60
	v_lshlrev_b32_e32 v56, 20, v56
	v_and_b32_e32 v57, 0x80000000, v57
	v_lshl_add_u32 v38, v38, 23, v58
	v_or3_b32 v38, v57, v38, v56
	v_lshrrev_b32_e32 v56, 16, v38
.LBB887_195:
	s_or_b64 exec, exec, s[10:11]
.LBB887_196:
	s_or_b64 exec, exec, s[8:9]
.LBB887_197:
	s_or_b64 exec, exec, s[2:3]
	s_mov_b32 s2, 0xffffff
	v_cmp_lt_u32_e32 vcc, s2, v41
	s_and_saveexec_b64 s[2:3], vcc
	s_cbranch_execz .LBB887_203
; %bb.198:
	v_lshrrev_b32_e32 v38, 24, v41
	s_movk_i32 s8, 0x80
	v_cmp_ne_u32_e32 vcc, s8, v38
	v_mov_b32_e32 v55, 0xffff8000
	s_and_saveexec_b64 s[8:9], vcc
	s_cbranch_execz .LBB887_202
; %bb.199:
	v_bfe_u32 v41, v41, 24, 7
	s_movk_i32 s10, 0x7f
	v_cmp_ne_u32_e32 vcc, s10, v41
	v_mov_b32_e32 v55, 0x7f80
	s_and_saveexec_b64 s[10:11], vcc
	s_cbranch_execz .LBB887_201
; %bb.200:
	v_and_b32_e32 v55, 7, v38
	v_ffbh_u32_e32 v58, v55
	v_min_u32_e32 v60, 32, v58
	v_subrev_u32_e32 v58, 28, v60
	v_lshlrev_b64 v[58:59], v58, v[38:39]
	v_lshrrev_b32_e32 v57, 3, v41
	v_sub_u32_e32 v59, 29, v60
	v_and_b32_e32 v58, 7, v58
	v_cmp_gt_u32_e32 vcc, 8, v41
	v_cndmask_b32_e32 v41, v57, v59, vcc
	v_cndmask_b32_e32 v55, v55, v58, vcc
	v_lshlrev_b32_e32 v38, 24, v38
	v_bfrev_b32_e32 v57, 60
	v_lshlrev_b32_e32 v55, 20, v55
	v_and_b32_e32 v38, 0x80000000, v38
	v_lshl_add_u32 v41, v41, 23, v57
	v_or3_b32 v38, v38, v41, v55
	v_lshrrev_b32_e32 v55, 16, v38
.LBB887_201:
	s_or_b64 exec, exec, s[10:11]
.LBB887_202:
	s_or_b64 exec, exec, s[8:9]
.LBB887_203:
	s_or_b64 exec, exec, s[2:3]
	s_mov_b32 s2, 0x5040100
	v_perm_b32 v53, v52, v53, s2
	v_perm_b32 v52, v39, v51, s2
	;; [unrolled: 1-line block ×4, first 2 shown]
	v_mfma_f32_16x16x16bf16_1k v[58:61], v[52:53], v[18:19], v[42:45]
	s_nop 6
	v_mov_b32_e32 v43, 0
	s_waitcnt vmcnt(5)
	v_cmp_ne_u16_sdwa s[8:9], v34, v43 src0_sel:BYTE_0 src1_sel:DWORD
	v_mfma_f32_16x16x16bf16_1k v[38:41], v[38:39], v[20:21], v[58:61]
	v_mov_b32_e32 v44, 0
	s_and_saveexec_b64 s[2:3], s[8:9]
	s_cbranch_execz .LBB887_209
; %bb.204:
	s_movk_i32 s8, 0x80
	v_cmp_ne_u16_sdwa s[10:11], v34, s8 src0_sel:BYTE_0 src1_sel:DWORD
	v_mov_b32_e32 v44, 0xffff8000
	s_and_saveexec_b64 s[8:9], s[10:11]
	s_cbranch_execz .LBB887_208
; %bb.205:
	s_movk_i32 s10, 0x7f
	v_and_b32_e32 v42, 0x7f, v34
	v_cmp_ne_u32_e32 vcc, s10, v42
	v_mov_b32_e32 v44, 0x7f80
	s_and_saveexec_b64 s[10:11], vcc
	s_cbranch_execz .LBB887_207
; %bb.206:
	v_and_b32_e32 v51, 7, v34
	v_ffbh_u32_e32 v44, v51
	v_min_u32_e32 v53, 32, v44
	v_subrev_u32_e32 v44, 28, v53
	v_lshlrev_b64 v[44:45], v44, v[34:35]
	v_lshrrev_b32_e32 v52, 3, v42
	v_sub_u32_e32 v45, 29, v53
	v_and_b32_e32 v44, 7, v44
	v_cmp_gt_u32_e32 vcc, 8, v42
	v_cndmask_b32_e32 v42, v52, v45, vcc
	v_cndmask_b32_e32 v44, v51, v44, vcc
	v_lshlrev_b32_e32 v45, 24, v34
	v_bfrev_b32_e32 v51, 60
	v_lshlrev_b32_e32 v44, 20, v44
	v_and_b32_e32 v45, 0x80000000, v45
	v_lshl_add_u32 v42, v42, 23, v51
	v_or3_b32 v42, v45, v42, v44
	v_lshrrev_b32_e32 v44, 16, v42
.LBB887_207:
	s_or_b64 exec, exec, s[10:11]
.LBB887_208:
	s_or_b64 exec, exec, s[8:9]
.LBB887_209:
	s_or_b64 exec, exec, s[2:3]
	v_lshrrev_b16_e32 v42, 8, v34
	v_cmp_ne_u16_e32 vcc, 0, v42
	s_and_saveexec_b64 s[2:3], vcc
	s_cbranch_execz .LBB887_215
; %bb.210:
	s_movk_i32 s8, 0x80
	v_cmp_ne_u16_e32 vcc, s8, v42
	v_mov_b32_e32 v43, 0xffff8000
	s_and_saveexec_b64 s[8:9], vcc
	s_cbranch_execz .LBB887_214
; %bb.211:
	s_movk_i32 s10, 0x7f
	v_and_b32_e32 v45, 0x7f, v42
	v_cmp_ne_u32_e32 vcc, s10, v45
	v_mov_b32_e32 v43, 0x7f80
	s_and_saveexec_b64 s[10:11], vcc
	s_cbranch_execz .LBB887_213
; %bb.212:
	v_and_b32_e32 v51, 7, v42
	v_ffbh_u32_e32 v43, v51
	v_min_u32_e32 v53, 32, v43
	v_subrev_u32_e32 v43, 28, v53
	v_lshlrev_b64 v[42:43], v43, v[42:43]
	v_lshrrev_b32_e32 v52, 3, v45
	v_sub_u32_e32 v43, 29, v53
	v_and_b32_e32 v42, 7, v42
	v_cmp_gt_u32_e32 vcc, 8, v45
	v_cndmask_b32_e32 v43, v52, v43, vcc
	v_cndmask_b32_e32 v42, v51, v42, vcc
	v_lshlrev_b32_e32 v45, 16, v34
	v_bfrev_b32_e32 v51, 60
	v_lshlrev_b32_e32 v42, 20, v42
	v_and_b32_e32 v45, 0x80000000, v45
	v_lshl_add_u32 v43, v43, 23, v51
	v_or3_b32 v42, v45, v43, v42
	v_lshrrev_b32_e32 v43, 16, v42
.LBB887_213:
	s_or_b64 exec, exec, s[10:11]
.LBB887_214:
	s_or_b64 exec, exec, s[8:9]
.LBB887_215:
	s_or_b64 exec, exec, s[2:3]
	s_movk_i32 s2, 0xff
	v_and_b32_sdwa v52, v34, s2 dst_sel:DWORD dst_unused:UNUSED_PAD src0_sel:WORD_1 src1_sel:DWORD
	v_lshrrev_b32_e32 v42, 16, v34
	v_cmp_ne_u16_e32 vcc, 0, v52
	v_mov_b32_e32 v45, 0
	v_mov_b32_e32 v51, 0
	s_and_saveexec_b64 s[2:3], vcc
	s_cbranch_execz .LBB887_221
; %bb.216:
	s_movk_i32 s8, 0x80
	v_cmp_ne_u16_e32 vcc, s8, v52
	v_mov_b32_e32 v51, 0xffff8000
	s_and_saveexec_b64 s[8:9], vcc
	s_cbranch_execz .LBB887_220
; %bb.217:
	v_bfe_u32 v52, v34, 16, 7
	s_movk_i32 s10, 0x7f
	v_cmp_ne_u32_e32 vcc, s10, v52
	v_mov_b32_e32 v51, 0x7f80
	s_and_saveexec_b64 s[10:11], vcc
	s_cbranch_execz .LBB887_219
; %bb.218:
	v_and_b32_e32 v51, 7, v42
	v_ffbh_u32_e32 v54, v51
	v_min_u32_e32 v56, 32, v54
	v_subrev_u32_e32 v54, 28, v56
	v_lshlrev_b64 v[54:55], v54, v[42:43]
	v_lshrrev_b32_e32 v53, 3, v52
	v_sub_u32_e32 v42, 29, v56
	v_and_b32_e32 v54, 7, v54
	v_cmp_gt_u32_e32 vcc, 8, v52
	v_mov_b32_e32 v52, 24
	v_cndmask_b32_e32 v42, v53, v42, vcc
	v_cndmask_b32_e32 v51, v51, v54, vcc
	v_lshlrev_b32_sdwa v52, v52, v34 dst_sel:DWORD dst_unused:UNUSED_PAD src0_sel:DWORD src1_sel:WORD_1
	v_bfrev_b32_e32 v53, 60
	v_lshlrev_b32_e32 v51, 20, v51
	v_and_b32_e32 v52, 0x80000000, v52
	v_lshl_add_u32 v42, v42, 23, v53
	v_or3_b32 v42, v52, v42, v51
	v_lshrrev_b32_e32 v51, 16, v42
.LBB887_219:
	s_or_b64 exec, exec, s[10:11]
.LBB887_220:
	s_or_b64 exec, exec, s[8:9]
.LBB887_221:
	s_or_b64 exec, exec, s[2:3]
	s_mov_b32 s2, 0xffffff
	v_cmp_lt_u32_e32 vcc, s2, v34
	s_and_saveexec_b64 s[2:3], vcc
	s_cbranch_execz .LBB887_227
; %bb.222:
	v_lshrrev_b32_e32 v42, 24, v34
	s_movk_i32 s8, 0x80
	v_cmp_ne_u32_e32 vcc, s8, v42
	v_mov_b32_e32 v45, 0xffff8000
	s_and_saveexec_b64 s[8:9], vcc
	s_cbranch_execz .LBB887_226
; %bb.223:
	v_bfe_u32 v34, v34, 24, 7
	s_movk_i32 s10, 0x7f
	v_cmp_ne_u32_e32 vcc, s10, v34
	v_mov_b32_e32 v45, 0x7f80
	s_and_saveexec_b64 s[10:11], vcc
	s_cbranch_execz .LBB887_225
; %bb.224:
	v_and_b32_e32 v45, 7, v42
	v_ffbh_u32_e32 v52, v45
	v_min_u32_e32 v55, 32, v52
	v_subrev_u32_e32 v52, 28, v55
	v_lshlrev_b64 v[52:53], v52, v[42:43]
	v_lshrrev_b32_e32 v54, 3, v34
	v_sub_u32_e32 v53, 29, v55
	v_and_b32_e32 v52, 7, v52
	v_cmp_gt_u32_e32 vcc, 8, v34
	v_cndmask_b32_e32 v34, v54, v53, vcc
	v_cndmask_b32_e32 v45, v45, v52, vcc
	v_lshlrev_b32_e32 v42, 24, v42
	v_bfrev_b32_e32 v52, 60
	v_lshlrev_b32_e32 v45, 20, v45
	v_and_b32_e32 v42, 0x80000000, v42
	v_lshl_add_u32 v34, v34, 23, v52
	v_or3_b32 v34, v42, v34, v45
	v_lshrrev_b32_e32 v45, 16, v34
.LBB887_225:
	s_or_b64 exec, exec, s[10:11]
.LBB887_226:
	s_or_b64 exec, exec, s[8:9]
.LBB887_227:
	s_or_b64 exec, exec, s[2:3]
	v_mov_b32_e32 v42, 0
	v_cmp_ne_u16_sdwa s[8:9], v35, v42 src0_sel:BYTE_0 src1_sel:DWORD
	v_mov_b32_e32 v52, 0
	s_and_saveexec_b64 s[2:3], s[8:9]
	s_cbranch_execz .LBB887_233
; %bb.228:
	s_movk_i32 s8, 0x80
	v_cmp_ne_u16_sdwa s[10:11], v35, s8 src0_sel:BYTE_0 src1_sel:DWORD
	v_mov_b32_e32 v52, 0xffff8000
	s_and_saveexec_b64 s[8:9], s[10:11]
	s_cbranch_execz .LBB887_232
; %bb.229:
	s_movk_i32 s10, 0x7f
	v_and_b32_e32 v34, 0x7f, v35
	v_cmp_ne_u32_e32 vcc, s10, v34
	v_mov_b32_e32 v52, 0x7f80
	s_and_saveexec_b64 s[10:11], vcc
	s_cbranch_execz .LBB887_231
; %bb.230:
	v_and_b32_e32 v54, 7, v35
	v_ffbh_u32_e32 v53, v54
	v_min_u32_e32 v56, 32, v53
	v_mov_b32_e32 v52, v35
	v_subrev_u32_e32 v53, 28, v56
	v_lshlrev_b64 v[52:53], v53, v[52:53]
	v_lshrrev_b32_e32 v55, 3, v34
	v_sub_u32_e32 v53, 29, v56
	v_and_b32_e32 v52, 7, v52
	v_cmp_gt_u32_e32 vcc, 8, v34
	v_cndmask_b32_e32 v34, v55, v53, vcc
	v_cndmask_b32_e32 v52, v54, v52, vcc
	v_lshlrev_b32_e32 v53, 24, v35
	v_bfrev_b32_e32 v54, 60
	v_lshlrev_b32_e32 v52, 20, v52
	v_and_b32_e32 v53, 0x80000000, v53
	v_lshl_add_u32 v34, v34, 23, v54
	v_or3_b32 v34, v53, v34, v52
	v_lshrrev_b32_e32 v52, 16, v34
.LBB887_231:
	s_or_b64 exec, exec, s[10:11]
.LBB887_232:
	s_or_b64 exec, exec, s[8:9]
.LBB887_233:
	s_or_b64 exec, exec, s[2:3]
	v_lshrrev_b16_e32 v34, 8, v35
	v_cmp_ne_u16_e32 vcc, 0, v34
	s_and_saveexec_b64 s[2:3], vcc
	s_cbranch_execz .LBB887_239
; %bb.234:
	s_movk_i32 s8, 0x80
	v_cmp_ne_u16_e32 vcc, s8, v34
	v_mov_b32_e32 v42, 0xffff8000
	s_and_saveexec_b64 s[8:9], vcc
	s_cbranch_execz .LBB887_238
; %bb.235:
	s_movk_i32 s10, 0x7f
	v_and_b32_e32 v53, 0x7f, v34
	v_cmp_ne_u32_e32 vcc, s10, v53
	v_mov_b32_e32 v42, 0x7f80
	s_and_saveexec_b64 s[10:11], vcc
	s_cbranch_execz .LBB887_237
; %bb.236:
	v_and_b32_e32 v42, 7, v34
	v_ffbh_u32_e32 v54, v42
	v_min_u32_e32 v57, 32, v54
	v_subrev_u32_e32 v54, 28, v57
	v_lshlrev_b64 v[54:55], v54, v[34:35]
	v_lshrrev_b32_e32 v56, 3, v53
	v_sub_u32_e32 v34, 29, v57
	v_and_b32_e32 v54, 7, v54
	v_cmp_gt_u32_e32 vcc, 8, v53
	v_cndmask_b32_e32 v34, v56, v34, vcc
	v_cndmask_b32_e32 v42, v42, v54, vcc
	v_lshlrev_b32_e32 v53, 16, v35
	v_bfrev_b32_e32 v54, 60
	v_lshlrev_b32_e32 v42, 20, v42
	v_and_b32_e32 v53, 0x80000000, v53
	v_lshl_add_u32 v34, v34, 23, v54
	v_or3_b32 v34, v53, v34, v42
	v_lshrrev_b32_e32 v42, 16, v34
.LBB887_237:
	s_or_b64 exec, exec, s[10:11]
.LBB887_238:
	s_or_b64 exec, exec, s[8:9]
.LBB887_239:
	s_or_b64 exec, exec, s[2:3]
	s_movk_i32 s2, 0xff
	v_and_b32_sdwa v55, v35, s2 dst_sel:DWORD dst_unused:UNUSED_PAD src0_sel:WORD_1 src1_sel:DWORD
	v_lshrrev_b32_e32 v34, 16, v35
	v_cmp_ne_u16_e32 vcc, 0, v55
	v_mov_b32_e32 v53, 0
	v_mov_b32_e32 v54, 0
	s_and_saveexec_b64 s[2:3], vcc
	s_cbranch_execz .LBB887_245
; %bb.240:
	s_movk_i32 s8, 0x80
	v_cmp_ne_u16_e32 vcc, s8, v55
	v_mov_b32_e32 v54, 0xffff8000
	s_and_saveexec_b64 s[8:9], vcc
	s_cbranch_execz .LBB887_244
; %bb.241:
	v_bfe_u32 v55, v35, 16, 7
	s_movk_i32 s10, 0x7f
	v_cmp_ne_u32_e32 vcc, s10, v55
	v_mov_b32_e32 v54, 0x7f80
	s_and_saveexec_b64 s[10:11], vcc
	s_cbranch_execz .LBB887_243
; %bb.242:
	v_and_b32_e32 v54, 7, v34
	v_ffbh_u32_e32 v56, v54
	v_min_u32_e32 v59, 32, v56
	v_subrev_u32_e32 v56, 28, v59
	v_lshlrev_b64 v[56:57], v56, v[34:35]
	v_lshrrev_b32_e32 v58, 3, v55
	v_sub_u32_e32 v34, 29, v59
	v_and_b32_e32 v56, 7, v56
	v_cmp_gt_u32_e32 vcc, 8, v55
	v_mov_b32_e32 v55, 24
	v_cndmask_b32_e32 v34, v58, v34, vcc
	v_cndmask_b32_e32 v54, v54, v56, vcc
	v_lshlrev_b32_sdwa v55, v55, v35 dst_sel:DWORD dst_unused:UNUSED_PAD src0_sel:DWORD src1_sel:WORD_1
	v_bfrev_b32_e32 v56, 60
	v_lshlrev_b32_e32 v54, 20, v54
	v_and_b32_e32 v55, 0x80000000, v55
	v_lshl_add_u32 v34, v34, 23, v56
	v_or3_b32 v34, v55, v34, v54
	v_lshrrev_b32_e32 v54, 16, v34
.LBB887_243:
	s_or_b64 exec, exec, s[10:11]
.LBB887_244:
	s_or_b64 exec, exec, s[8:9]
.LBB887_245:
	s_or_b64 exec, exec, s[2:3]
	s_mov_b32 s2, 0xffffff
	v_cmp_lt_u32_e32 vcc, s2, v35
	s_and_saveexec_b64 s[2:3], vcc
	s_cbranch_execz .LBB887_251
; %bb.246:
	v_lshrrev_b32_e32 v34, 24, v35
	s_movk_i32 s8, 0x80
	v_cmp_ne_u32_e32 vcc, s8, v34
	v_mov_b32_e32 v53, 0xffff8000
	s_and_saveexec_b64 s[8:9], vcc
	s_cbranch_execz .LBB887_250
; %bb.247:
	v_bfe_u32 v35, v35, 24, 7
	s_movk_i32 s10, 0x7f
	v_cmp_ne_u32_e32 vcc, s10, v35
	v_mov_b32_e32 v53, 0x7f80
	s_and_saveexec_b64 s[10:11], vcc
	s_cbranch_execz .LBB887_249
; %bb.248:
	v_and_b32_e32 v53, 7, v34
	v_ffbh_u32_e32 v56, v53
	v_min_u32_e32 v58, 32, v56
	v_subrev_u32_e32 v56, 28, v58
	v_lshlrev_b64 v[56:57], v56, v[34:35]
	v_lshrrev_b32_e32 v55, 3, v35
	v_sub_u32_e32 v57, 29, v58
	v_and_b32_e32 v56, 7, v56
	v_cmp_gt_u32_e32 vcc, 8, v35
	v_cndmask_b32_e32 v35, v55, v57, vcc
	v_cndmask_b32_e32 v53, v53, v56, vcc
	v_lshlrev_b32_e32 v34, 24, v34
	v_bfrev_b32_e32 v55, 60
	v_lshlrev_b32_e32 v53, 20, v53
	v_and_b32_e32 v34, 0x80000000, v34
	v_lshl_add_u32 v35, v35, 23, v55
	v_or3_b32 v34, v34, v35, v53
	v_lshrrev_b32_e32 v53, 16, v34
.LBB887_249:
	s_or_b64 exec, exec, s[10:11]
.LBB887_250:
	s_or_b64 exec, exec, s[8:9]
.LBB887_251:
	s_or_b64 exec, exec, s[2:3]
	s_mov_b32 s2, 0x5040100
	v_perm_b32 v35, v45, v51, s2
	v_perm_b32 v34, v43, v44, s2
	v_perm_b32 v43, v53, v54, s2
	v_perm_b32 v42, v42, v52, s2
	v_mov_b32_e32 v51, 0
	v_mfma_f32_16x16x16bf16_1k v[56:59], v[34:35], v[26:27], 0
	v_mov_b32_e32 v35, 0
	v_cmp_ne_u16_sdwa s[8:9], v36, v35 src0_sel:BYTE_0 src1_sel:DWORD
	v_mfma_f32_16x16x16bf16_1k v[42:45], v[42:43], v[28:29], v[56:59]
	s_and_saveexec_b64 s[2:3], s[8:9]
	s_cbranch_execz .LBB887_257
; %bb.252:
	s_movk_i32 s8, 0x80
	v_cmp_ne_u16_sdwa s[10:11], v36, s8 src0_sel:BYTE_0 src1_sel:DWORD
	v_mov_b32_e32 v51, 0xffff8000
	s_and_saveexec_b64 s[8:9], s[10:11]
	s_cbranch_execz .LBB887_256
; %bb.253:
	s_movk_i32 s10, 0x7f
	v_and_b32_e32 v34, 0x7f, v36
	v_cmp_ne_u32_e32 vcc, s10, v34
	v_mov_b32_e32 v51, 0x7f80
	s_and_saveexec_b64 s[10:11], vcc
	s_cbranch_execz .LBB887_255
; %bb.254:
	v_and_b32_e32 v51, 7, v36
	v_ffbh_u32_e32 v52, v51
	v_min_u32_e32 v55, 32, v52
	v_subrev_u32_e32 v52, 28, v55
	v_lshlrev_b64 v[52:53], v52, v[36:37]
	v_lshrrev_b32_e32 v54, 3, v34
	v_sub_u32_e32 v53, 29, v55
	v_and_b32_e32 v52, 7, v52
	v_cmp_gt_u32_e32 vcc, 8, v34
	v_cndmask_b32_e32 v34, v54, v53, vcc
	v_cndmask_b32_e32 v51, v51, v52, vcc
	v_lshlrev_b32_e32 v52, 24, v36
	v_bfrev_b32_e32 v53, 60
	v_lshlrev_b32_e32 v51, 20, v51
	v_and_b32_e32 v52, 0x80000000, v52
	v_lshl_add_u32 v34, v34, 23, v53
	v_or3_b32 v34, v52, v34, v51
	v_lshrrev_b32_e32 v51, 16, v34
.LBB887_255:
	s_or_b64 exec, exec, s[10:11]
.LBB887_256:
	s_or_b64 exec, exec, s[8:9]
.LBB887_257:
	s_or_b64 exec, exec, s[2:3]
	v_lshrrev_b16_e32 v34, 8, v36
	v_cmp_ne_u16_e32 vcc, 0, v34
	s_and_saveexec_b64 s[2:3], vcc
	s_cbranch_execz .LBB887_263
; %bb.258:
	s_movk_i32 s8, 0x80
	v_cmp_ne_u16_e32 vcc, s8, v34
	v_mov_b32_e32 v35, 0xffff8000
	s_and_saveexec_b64 s[8:9], vcc
	s_cbranch_execz .LBB887_262
; %bb.259:
	s_movk_i32 s10, 0x7f
	v_and_b32_e32 v52, 0x7f, v34
	v_cmp_ne_u32_e32 vcc, s10, v52
	v_mov_b32_e32 v35, 0x7f80
	s_and_saveexec_b64 s[10:11], vcc
	s_cbranch_execz .LBB887_261
; %bb.260:
	v_and_b32_e32 v53, 7, v34
	v_ffbh_u32_e32 v35, v53
	v_min_u32_e32 v55, 32, v35
	v_subrev_u32_e32 v35, 28, v55
	v_lshlrev_b64 v[34:35], v35, v[34:35]
	v_lshrrev_b32_e32 v54, 3, v52
	v_sub_u32_e32 v35, 29, v55
	v_and_b32_e32 v34, 7, v34
	v_cmp_gt_u32_e32 vcc, 8, v52
	v_cndmask_b32_e32 v35, v54, v35, vcc
	v_cndmask_b32_e32 v34, v53, v34, vcc
	v_lshlrev_b32_e32 v52, 16, v36
	v_bfrev_b32_e32 v53, 60
	v_lshlrev_b32_e32 v34, 20, v34
	v_and_b32_e32 v52, 0x80000000, v52
	v_lshl_add_u32 v35, v35, 23, v53
	v_or3_b32 v34, v52, v35, v34
	v_lshrrev_b32_e32 v35, 16, v34
.LBB887_261:
	s_or_b64 exec, exec, s[10:11]
.LBB887_262:
	s_or_b64 exec, exec, s[8:9]
.LBB887_263:
	s_or_b64 exec, exec, s[2:3]
	s_movk_i32 s2, 0xff
	v_and_b32_sdwa v54, v36, s2 dst_sel:DWORD dst_unused:UNUSED_PAD src0_sel:WORD_1 src1_sel:DWORD
	v_lshrrev_b32_e32 v34, 16, v36
	v_cmp_ne_u16_e32 vcc, 0, v54
	v_mov_b32_e32 v52, 0
	v_mov_b32_e32 v53, 0
	s_and_saveexec_b64 s[2:3], vcc
	s_cbranch_execz .LBB887_269
; %bb.264:
	s_movk_i32 s8, 0x80
	v_cmp_ne_u16_e32 vcc, s8, v54
	v_mov_b32_e32 v53, 0xffff8000
	s_and_saveexec_b64 s[8:9], vcc
	s_cbranch_execz .LBB887_268
; %bb.265:
	v_bfe_u32 v54, v36, 16, 7
	s_movk_i32 s10, 0x7f
	v_cmp_ne_u32_e32 vcc, s10, v54
	v_mov_b32_e32 v53, 0x7f80
	s_and_saveexec_b64 s[10:11], vcc
	s_cbranch_execz .LBB887_267
; %bb.266:
	v_and_b32_e32 v53, 7, v34
	v_ffbh_u32_e32 v56, v53
	v_min_u32_e32 v58, 32, v56
	v_subrev_u32_e32 v56, 28, v58
	v_lshlrev_b64 v[56:57], v56, v[34:35]
	v_lshrrev_b32_e32 v55, 3, v54
	v_sub_u32_e32 v34, 29, v58
	v_and_b32_e32 v56, 7, v56
	v_cmp_gt_u32_e32 vcc, 8, v54
	v_mov_b32_e32 v54, 24
	v_cndmask_b32_e32 v34, v55, v34, vcc
	v_cndmask_b32_e32 v53, v53, v56, vcc
	v_lshlrev_b32_sdwa v54, v54, v36 dst_sel:DWORD dst_unused:UNUSED_PAD src0_sel:DWORD src1_sel:WORD_1
	v_bfrev_b32_e32 v55, 60
	v_lshlrev_b32_e32 v53, 20, v53
	v_and_b32_e32 v54, 0x80000000, v54
	v_lshl_add_u32 v34, v34, 23, v55
	v_or3_b32 v34, v54, v34, v53
	v_lshrrev_b32_e32 v53, 16, v34
.LBB887_267:
	s_or_b64 exec, exec, s[10:11]
.LBB887_268:
	s_or_b64 exec, exec, s[8:9]
.LBB887_269:
	s_or_b64 exec, exec, s[2:3]
	s_mov_b32 s2, 0xffffff
	v_cmp_lt_u32_e32 vcc, s2, v36
	s_and_saveexec_b64 s[2:3], vcc
	s_cbranch_execz .LBB887_275
; %bb.270:
	v_lshrrev_b32_e32 v34, 24, v36
	s_movk_i32 s8, 0x80
	v_cmp_ne_u32_e32 vcc, s8, v34
	v_mov_b32_e32 v52, 0xffff8000
	s_and_saveexec_b64 s[8:9], vcc
	s_cbranch_execz .LBB887_274
; %bb.271:
	v_bfe_u32 v36, v36, 24, 7
	s_movk_i32 s10, 0x7f
	v_cmp_ne_u32_e32 vcc, s10, v36
	v_mov_b32_e32 v52, 0x7f80
	s_and_saveexec_b64 s[10:11], vcc
	s_cbranch_execz .LBB887_273
; %bb.272:
	v_and_b32_e32 v52, 7, v34
	v_ffbh_u32_e32 v54, v52
	v_min_u32_e32 v57, 32, v54
	v_subrev_u32_e32 v54, 28, v57
	v_lshlrev_b64 v[54:55], v54, v[34:35]
	v_lshrrev_b32_e32 v56, 3, v36
	v_sub_u32_e32 v55, 29, v57
	v_and_b32_e32 v54, 7, v54
	v_cmp_gt_u32_e32 vcc, 8, v36
	v_cndmask_b32_e32 v36, v56, v55, vcc
	v_cndmask_b32_e32 v52, v52, v54, vcc
	v_lshlrev_b32_e32 v34, 24, v34
	v_bfrev_b32_e32 v54, 60
	v_lshlrev_b32_e32 v52, 20, v52
	v_and_b32_e32 v34, 0x80000000, v34
	v_lshl_add_u32 v36, v36, 23, v54
	v_or3_b32 v34, v34, v36, v52
	v_lshrrev_b32_e32 v52, 16, v34
.LBB887_273:
	s_or_b64 exec, exec, s[10:11]
.LBB887_274:
	s_or_b64 exec, exec, s[8:9]
.LBB887_275:
	s_or_b64 exec, exec, s[2:3]
	v_mov_b32_e32 v36, 0
	v_cmp_ne_u16_sdwa s[8:9], v37, v36 src0_sel:BYTE_0 src1_sel:DWORD
	v_mov_b32_e32 v54, 0
	s_and_saveexec_b64 s[2:3], s[8:9]
	s_cbranch_execz .LBB887_281
; %bb.276:
	s_movk_i32 s8, 0x80
	v_cmp_ne_u16_sdwa s[10:11], v37, s8 src0_sel:BYTE_0 src1_sel:DWORD
	v_mov_b32_e32 v54, 0xffff8000
	s_and_saveexec_b64 s[8:9], s[10:11]
	s_cbranch_execz .LBB887_280
; %bb.277:
	s_movk_i32 s10, 0x7f
	v_and_b32_e32 v34, 0x7f, v37
	v_cmp_ne_u32_e32 vcc, s10, v34
	v_mov_b32_e32 v54, 0x7f80
	s_and_saveexec_b64 s[10:11], vcc
	s_cbranch_execz .LBB887_279
; %bb.278:
	v_and_b32_e32 v56, 7, v37
	v_ffbh_u32_e32 v55, v56
	v_min_u32_e32 v58, 32, v55
	v_mov_b32_e32 v54, v37
	v_subrev_u32_e32 v55, 28, v58
	v_lshlrev_b64 v[54:55], v55, v[54:55]
	v_lshrrev_b32_e32 v57, 3, v34
	v_sub_u32_e32 v55, 29, v58
	v_and_b32_e32 v54, 7, v54
	v_cmp_gt_u32_e32 vcc, 8, v34
	v_cndmask_b32_e32 v34, v57, v55, vcc
	v_cndmask_b32_e32 v54, v56, v54, vcc
	v_lshlrev_b32_e32 v55, 24, v37
	v_bfrev_b32_e32 v56, 60
	v_lshlrev_b32_e32 v54, 20, v54
	v_and_b32_e32 v55, 0x80000000, v55
	v_lshl_add_u32 v34, v34, 23, v56
	v_or3_b32 v34, v55, v34, v54
	v_lshrrev_b32_e32 v54, 16, v34
.LBB887_279:
	s_or_b64 exec, exec, s[10:11]
.LBB887_280:
	s_or_b64 exec, exec, s[8:9]
.LBB887_281:
	s_or_b64 exec, exec, s[2:3]
	v_lshrrev_b16_e32 v34, 8, v37
	v_cmp_ne_u16_e32 vcc, 0, v34
	s_and_saveexec_b64 s[2:3], vcc
	s_cbranch_execz .LBB887_287
; %bb.282:
	s_movk_i32 s8, 0x80
	v_cmp_ne_u16_e32 vcc, s8, v34
	v_mov_b32_e32 v36, 0xffff8000
	s_and_saveexec_b64 s[8:9], vcc
	s_cbranch_execz .LBB887_286
; %bb.283:
	s_movk_i32 s10, 0x7f
	v_and_b32_e32 v55, 0x7f, v34
	v_cmp_ne_u32_e32 vcc, s10, v55
	v_mov_b32_e32 v36, 0x7f80
	s_and_saveexec_b64 s[10:11], vcc
	s_cbranch_execz .LBB887_285
; %bb.284:
	v_and_b32_e32 v36, 7, v34
	v_ffbh_u32_e32 v56, v36
	v_min_u32_e32 v59, 32, v56
	v_subrev_u32_e32 v56, 28, v59
	v_lshlrev_b64 v[56:57], v56, v[34:35]
	v_lshrrev_b32_e32 v58, 3, v55
	v_sub_u32_e32 v34, 29, v59
	v_and_b32_e32 v56, 7, v56
	v_cmp_gt_u32_e32 vcc, 8, v55
	v_cndmask_b32_e32 v34, v58, v34, vcc
	v_cndmask_b32_e32 v36, v36, v56, vcc
	v_lshlrev_b32_e32 v55, 16, v37
	v_bfrev_b32_e32 v56, 60
	v_lshlrev_b32_e32 v36, 20, v36
	v_and_b32_e32 v55, 0x80000000, v55
	v_lshl_add_u32 v34, v34, 23, v56
	v_or3_b32 v34, v55, v34, v36
	v_lshrrev_b32_e32 v36, 16, v34
.LBB887_285:
	s_or_b64 exec, exec, s[10:11]
.LBB887_286:
	s_or_b64 exec, exec, s[8:9]
.LBB887_287:
	s_or_b64 exec, exec, s[2:3]
	s_movk_i32 s2, 0xff
	v_and_b32_sdwa v57, v37, s2 dst_sel:DWORD dst_unused:UNUSED_PAD src0_sel:WORD_1 src1_sel:DWORD
	v_lshrrev_b32_e32 v34, 16, v37
	v_cmp_ne_u16_e32 vcc, 0, v57
	v_mov_b32_e32 v55, 0
	v_mov_b32_e32 v56, 0
	s_and_saveexec_b64 s[2:3], vcc
	s_cbranch_execz .LBB887_293
; %bb.288:
	s_movk_i32 s8, 0x80
	v_cmp_ne_u16_e32 vcc, s8, v57
	v_mov_b32_e32 v56, 0xffff8000
	s_and_saveexec_b64 s[8:9], vcc
	s_cbranch_execz .LBB887_292
; %bb.289:
	v_bfe_u32 v57, v37, 16, 7
	s_movk_i32 s10, 0x7f
	v_cmp_ne_u32_e32 vcc, s10, v57
	v_mov_b32_e32 v56, 0x7f80
	s_and_saveexec_b64 s[10:11], vcc
	s_cbranch_execz .LBB887_291
; %bb.290:
	v_and_b32_e32 v56, 7, v34
	v_ffbh_u32_e32 v58, v56
	v_min_u32_e32 v61, 32, v58
	v_subrev_u32_e32 v58, 28, v61
	v_lshlrev_b64 v[58:59], v58, v[34:35]
	v_lshrrev_b32_e32 v60, 3, v57
	v_sub_u32_e32 v34, 29, v61
	v_and_b32_e32 v58, 7, v58
	v_cmp_gt_u32_e32 vcc, 8, v57
	v_mov_b32_e32 v57, 24
	v_cndmask_b32_e32 v34, v60, v34, vcc
	v_cndmask_b32_e32 v56, v56, v58, vcc
	v_lshlrev_b32_sdwa v57, v57, v37 dst_sel:DWORD dst_unused:UNUSED_PAD src0_sel:DWORD src1_sel:WORD_1
	v_bfrev_b32_e32 v58, 60
	v_lshlrev_b32_e32 v56, 20, v56
	v_and_b32_e32 v57, 0x80000000, v57
	v_lshl_add_u32 v34, v34, 23, v58
	v_or3_b32 v34, v57, v34, v56
	v_lshrrev_b32_e32 v56, 16, v34
.LBB887_291:
	s_or_b64 exec, exec, s[10:11]
.LBB887_292:
	s_or_b64 exec, exec, s[8:9]
.LBB887_293:
	s_or_b64 exec, exec, s[2:3]
	s_mov_b32 s2, 0xffffff
	v_cmp_lt_u32_e32 vcc, s2, v37
	s_and_saveexec_b64 s[2:3], vcc
	s_cbranch_execz .LBB887_299
; %bb.294:
	v_lshrrev_b32_e32 v34, 24, v37
	s_movk_i32 s8, 0x80
	v_cmp_ne_u32_e32 vcc, s8, v34
	v_mov_b32_e32 v55, 0xffff8000
	s_and_saveexec_b64 s[8:9], vcc
	s_cbranch_execz .LBB887_298
; %bb.295:
	v_bfe_u32 v37, v37, 24, 7
	s_movk_i32 s10, 0x7f
	v_cmp_ne_u32_e32 vcc, s10, v37
	v_mov_b32_e32 v55, 0x7f80
	s_and_saveexec_b64 s[10:11], vcc
	s_cbranch_execz .LBB887_297
; %bb.296:
	v_and_b32_e32 v55, 7, v34
	v_ffbh_u32_e32 v58, v55
	v_min_u32_e32 v60, 32, v58
	v_subrev_u32_e32 v58, 28, v60
	v_lshlrev_b64 v[58:59], v58, v[34:35]
	v_lshrrev_b32_e32 v57, 3, v37
	v_sub_u32_e32 v59, 29, v60
	v_and_b32_e32 v58, 7, v58
	v_cmp_gt_u32_e32 vcc, 8, v37
	v_cndmask_b32_e32 v37, v57, v59, vcc
	v_cndmask_b32_e32 v55, v55, v58, vcc
	v_lshlrev_b32_e32 v34, 24, v34
	v_bfrev_b32_e32 v57, 60
	v_lshlrev_b32_e32 v55, 20, v55
	v_and_b32_e32 v34, 0x80000000, v34
	v_lshl_add_u32 v37, v37, 23, v57
	v_or3_b32 v34, v34, v37, v55
	v_lshrrev_b32_e32 v55, 16, v34
.LBB887_297:
	s_or_b64 exec, exec, s[10:11]
.LBB887_298:
	s_or_b64 exec, exec, s[8:9]
.LBB887_299:
	s_or_b64 exec, exec, s[2:3]
	s_mov_b32 s2, 0x5040100
	v_perm_b32 v53, v52, v53, s2
	v_perm_b32 v52, v35, v51, s2
	;; [unrolled: 1-line block ×4, first 2 shown]
	v_mfma_f32_16x16x16bf16_1k v[58:61], v[52:53], v[18:19], v[42:45]
	s_nop 6
	v_mov_b32_e32 v43, 0
	s_waitcnt vmcnt(4)
	v_cmp_ne_u16_sdwa s[8:9], v22, v43 src0_sel:BYTE_0 src1_sel:DWORD
	v_mfma_f32_16x16x16bf16_1k v[34:37], v[34:35], v[20:21], v[58:61]
	v_mov_b32_e32 v44, 0
	s_and_saveexec_b64 s[2:3], s[8:9]
	s_cbranch_execz .LBB887_305
; %bb.300:
	s_movk_i32 s8, 0x80
	v_cmp_ne_u16_sdwa s[10:11], v22, s8 src0_sel:BYTE_0 src1_sel:DWORD
	v_mov_b32_e32 v44, 0xffff8000
	s_and_saveexec_b64 s[8:9], s[10:11]
	s_cbranch_execz .LBB887_304
; %bb.301:
	s_movk_i32 s10, 0x7f
	v_and_b32_e32 v42, 0x7f, v22
	v_cmp_ne_u32_e32 vcc, s10, v42
	v_mov_b32_e32 v44, 0x7f80
	s_and_saveexec_b64 s[10:11], vcc
	s_cbranch_execz .LBB887_303
; %bb.302:
	v_and_b32_e32 v51, 7, v22
	v_ffbh_u32_e32 v44, v51
	v_min_u32_e32 v53, 32, v44
	v_subrev_u32_e32 v44, 28, v53
	v_lshlrev_b64 v[44:45], v44, v[22:23]
	v_lshrrev_b32_e32 v52, 3, v42
	v_sub_u32_e32 v45, 29, v53
	v_and_b32_e32 v44, 7, v44
	v_cmp_gt_u32_e32 vcc, 8, v42
	v_cndmask_b32_e32 v42, v52, v45, vcc
	v_cndmask_b32_e32 v44, v51, v44, vcc
	v_lshlrev_b32_e32 v45, 24, v22
	v_bfrev_b32_e32 v51, 60
	v_lshlrev_b32_e32 v44, 20, v44
	v_and_b32_e32 v45, 0x80000000, v45
	v_lshl_add_u32 v42, v42, 23, v51
	v_or3_b32 v42, v45, v42, v44
	v_lshrrev_b32_e32 v44, 16, v42
.LBB887_303:
	s_or_b64 exec, exec, s[10:11]
.LBB887_304:
	s_or_b64 exec, exec, s[8:9]
.LBB887_305:
	s_or_b64 exec, exec, s[2:3]
	v_lshrrev_b16_e32 v42, 8, v22
	v_cmp_ne_u16_e32 vcc, 0, v42
	s_and_saveexec_b64 s[2:3], vcc
	s_cbranch_execz .LBB887_311
; %bb.306:
	s_movk_i32 s8, 0x80
	v_cmp_ne_u16_e32 vcc, s8, v42
	v_mov_b32_e32 v43, 0xffff8000
	s_and_saveexec_b64 s[8:9], vcc
	s_cbranch_execz .LBB887_310
; %bb.307:
	s_movk_i32 s10, 0x7f
	v_and_b32_e32 v45, 0x7f, v42
	v_cmp_ne_u32_e32 vcc, s10, v45
	v_mov_b32_e32 v43, 0x7f80
	s_and_saveexec_b64 s[10:11], vcc
	s_cbranch_execz .LBB887_309
; %bb.308:
	v_and_b32_e32 v51, 7, v42
	v_ffbh_u32_e32 v43, v51
	v_min_u32_e32 v53, 32, v43
	v_subrev_u32_e32 v43, 28, v53
	v_lshlrev_b64 v[42:43], v43, v[42:43]
	v_lshrrev_b32_e32 v52, 3, v45
	v_sub_u32_e32 v43, 29, v53
	v_and_b32_e32 v42, 7, v42
	v_cmp_gt_u32_e32 vcc, 8, v45
	v_cndmask_b32_e32 v43, v52, v43, vcc
	v_cndmask_b32_e32 v42, v51, v42, vcc
	v_lshlrev_b32_e32 v45, 16, v22
	v_bfrev_b32_e32 v51, 60
	v_lshlrev_b32_e32 v42, 20, v42
	v_and_b32_e32 v45, 0x80000000, v45
	v_lshl_add_u32 v43, v43, 23, v51
	v_or3_b32 v42, v45, v43, v42
	v_lshrrev_b32_e32 v43, 16, v42
.LBB887_309:
	s_or_b64 exec, exec, s[10:11]
.LBB887_310:
	s_or_b64 exec, exec, s[8:9]
.LBB887_311:
	s_or_b64 exec, exec, s[2:3]
	s_movk_i32 s2, 0xff
	v_and_b32_sdwa v52, v22, s2 dst_sel:DWORD dst_unused:UNUSED_PAD src0_sel:WORD_1 src1_sel:DWORD
	v_lshrrev_b32_e32 v42, 16, v22
	v_cmp_ne_u16_e32 vcc, 0, v52
	v_mov_b32_e32 v45, 0
	v_mov_b32_e32 v51, 0
	s_and_saveexec_b64 s[2:3], vcc
	s_cbranch_execz .LBB887_317
; %bb.312:
	s_movk_i32 s8, 0x80
	v_cmp_ne_u16_e32 vcc, s8, v52
	v_mov_b32_e32 v51, 0xffff8000
	s_and_saveexec_b64 s[8:9], vcc
	s_cbranch_execz .LBB887_316
; %bb.313:
	v_bfe_u32 v52, v22, 16, 7
	s_movk_i32 s10, 0x7f
	v_cmp_ne_u32_e32 vcc, s10, v52
	v_mov_b32_e32 v51, 0x7f80
	s_and_saveexec_b64 s[10:11], vcc
	s_cbranch_execz .LBB887_315
; %bb.314:
	v_and_b32_e32 v51, 7, v42
	v_ffbh_u32_e32 v54, v51
	v_min_u32_e32 v56, 32, v54
	v_subrev_u32_e32 v54, 28, v56
	v_lshlrev_b64 v[54:55], v54, v[42:43]
	v_lshrrev_b32_e32 v53, 3, v52
	v_sub_u32_e32 v42, 29, v56
	v_and_b32_e32 v54, 7, v54
	v_cmp_gt_u32_e32 vcc, 8, v52
	v_mov_b32_e32 v52, 24
	v_cndmask_b32_e32 v42, v53, v42, vcc
	v_cndmask_b32_e32 v51, v51, v54, vcc
	v_lshlrev_b32_sdwa v52, v52, v22 dst_sel:DWORD dst_unused:UNUSED_PAD src0_sel:DWORD src1_sel:WORD_1
	v_bfrev_b32_e32 v53, 60
	v_lshlrev_b32_e32 v51, 20, v51
	v_and_b32_e32 v52, 0x80000000, v52
	v_lshl_add_u32 v42, v42, 23, v53
	v_or3_b32 v42, v52, v42, v51
	v_lshrrev_b32_e32 v51, 16, v42
.LBB887_315:
	s_or_b64 exec, exec, s[10:11]
.LBB887_316:
	s_or_b64 exec, exec, s[8:9]
.LBB887_317:
	s_or_b64 exec, exec, s[2:3]
	s_mov_b32 s2, 0xffffff
	v_cmp_lt_u32_e32 vcc, s2, v22
	s_and_saveexec_b64 s[2:3], vcc
	s_cbranch_execz .LBB887_323
; %bb.318:
	v_lshrrev_b32_e32 v42, 24, v22
	s_movk_i32 s8, 0x80
	v_cmp_ne_u32_e32 vcc, s8, v42
	v_mov_b32_e32 v45, 0xffff8000
	s_and_saveexec_b64 s[8:9], vcc
	s_cbranch_execz .LBB887_322
; %bb.319:
	v_bfe_u32 v22, v22, 24, 7
	s_movk_i32 s10, 0x7f
	v_cmp_ne_u32_e32 vcc, s10, v22
	v_mov_b32_e32 v45, 0x7f80
	s_and_saveexec_b64 s[10:11], vcc
	s_cbranch_execz .LBB887_321
; %bb.320:
	v_and_b32_e32 v45, 7, v42
	v_ffbh_u32_e32 v52, v45
	v_min_u32_e32 v55, 32, v52
	v_subrev_u32_e32 v52, 28, v55
	v_lshlrev_b64 v[52:53], v52, v[42:43]
	v_lshrrev_b32_e32 v54, 3, v22
	v_sub_u32_e32 v53, 29, v55
	v_and_b32_e32 v52, 7, v52
	v_cmp_gt_u32_e32 vcc, 8, v22
	v_cndmask_b32_e32 v22, v54, v53, vcc
	v_cndmask_b32_e32 v45, v45, v52, vcc
	v_lshlrev_b32_e32 v42, 24, v42
	v_bfrev_b32_e32 v52, 60
	v_lshlrev_b32_e32 v45, 20, v45
	v_and_b32_e32 v42, 0x80000000, v42
	v_lshl_add_u32 v22, v22, 23, v52
	v_or3_b32 v22, v42, v22, v45
	v_lshrrev_b32_e32 v45, 16, v22
.LBB887_321:
	s_or_b64 exec, exec, s[10:11]
.LBB887_322:
	s_or_b64 exec, exec, s[8:9]
.LBB887_323:
	s_or_b64 exec, exec, s[2:3]
	v_mov_b32_e32 v42, 0
	v_cmp_ne_u16_sdwa s[8:9], v23, v42 src0_sel:BYTE_0 src1_sel:DWORD
	v_mov_b32_e32 v52, 0
	s_and_saveexec_b64 s[2:3], s[8:9]
	s_cbranch_execz .LBB887_329
; %bb.324:
	s_movk_i32 s8, 0x80
	v_cmp_ne_u16_sdwa s[10:11], v23, s8 src0_sel:BYTE_0 src1_sel:DWORD
	v_mov_b32_e32 v52, 0xffff8000
	s_and_saveexec_b64 s[8:9], s[10:11]
	s_cbranch_execz .LBB887_328
; %bb.325:
	s_movk_i32 s10, 0x7f
	v_and_b32_e32 v22, 0x7f, v23
	v_cmp_ne_u32_e32 vcc, s10, v22
	v_mov_b32_e32 v52, 0x7f80
	s_and_saveexec_b64 s[10:11], vcc
	s_cbranch_execz .LBB887_327
; %bb.326:
	v_and_b32_e32 v54, 7, v23
	v_ffbh_u32_e32 v53, v54
	v_min_u32_e32 v56, 32, v53
	v_mov_b32_e32 v52, v23
	v_subrev_u32_e32 v53, 28, v56
	v_lshlrev_b64 v[52:53], v53, v[52:53]
	v_lshrrev_b32_e32 v55, 3, v22
	v_sub_u32_e32 v53, 29, v56
	v_and_b32_e32 v52, 7, v52
	v_cmp_gt_u32_e32 vcc, 8, v22
	v_cndmask_b32_e32 v22, v55, v53, vcc
	v_cndmask_b32_e32 v52, v54, v52, vcc
	v_lshlrev_b32_e32 v53, 24, v23
	v_bfrev_b32_e32 v54, 60
	v_lshlrev_b32_e32 v52, 20, v52
	v_and_b32_e32 v53, 0x80000000, v53
	v_lshl_add_u32 v22, v22, 23, v54
	v_or3_b32 v22, v53, v22, v52
	v_lshrrev_b32_e32 v52, 16, v22
.LBB887_327:
	s_or_b64 exec, exec, s[10:11]
.LBB887_328:
	s_or_b64 exec, exec, s[8:9]
.LBB887_329:
	s_or_b64 exec, exec, s[2:3]
	v_lshrrev_b16_e32 v22, 8, v23
	v_cmp_ne_u16_e32 vcc, 0, v22
	s_and_saveexec_b64 s[2:3], vcc
	s_cbranch_execz .LBB887_335
; %bb.330:
	s_movk_i32 s8, 0x80
	v_cmp_ne_u16_e32 vcc, s8, v22
	v_mov_b32_e32 v42, 0xffff8000
	s_and_saveexec_b64 s[8:9], vcc
	s_cbranch_execz .LBB887_334
; %bb.331:
	s_movk_i32 s10, 0x7f
	v_and_b32_e32 v53, 0x7f, v22
	v_cmp_ne_u32_e32 vcc, s10, v53
	v_mov_b32_e32 v42, 0x7f80
	s_and_saveexec_b64 s[10:11], vcc
	s_cbranch_execz .LBB887_333
; %bb.332:
	v_and_b32_e32 v42, 7, v22
	v_ffbh_u32_e32 v54, v42
	v_min_u32_e32 v57, 32, v54
	v_subrev_u32_e32 v54, 28, v57
	v_lshlrev_b64 v[54:55], v54, v[22:23]
	v_lshrrev_b32_e32 v56, 3, v53
	v_sub_u32_e32 v22, 29, v57
	v_and_b32_e32 v54, 7, v54
	v_cmp_gt_u32_e32 vcc, 8, v53
	v_cndmask_b32_e32 v22, v56, v22, vcc
	v_cndmask_b32_e32 v42, v42, v54, vcc
	v_lshlrev_b32_e32 v53, 16, v23
	v_bfrev_b32_e32 v54, 60
	v_lshlrev_b32_e32 v42, 20, v42
	v_and_b32_e32 v53, 0x80000000, v53
	v_lshl_add_u32 v22, v22, 23, v54
	v_or3_b32 v22, v53, v22, v42
	v_lshrrev_b32_e32 v42, 16, v22
.LBB887_333:
	s_or_b64 exec, exec, s[10:11]
.LBB887_334:
	s_or_b64 exec, exec, s[8:9]
.LBB887_335:
	s_or_b64 exec, exec, s[2:3]
	s_movk_i32 s2, 0xff
	v_and_b32_sdwa v55, v23, s2 dst_sel:DWORD dst_unused:UNUSED_PAD src0_sel:WORD_1 src1_sel:DWORD
	v_lshrrev_b32_e32 v22, 16, v23
	v_cmp_ne_u16_e32 vcc, 0, v55
	v_mov_b32_e32 v53, 0
	v_mov_b32_e32 v54, 0
	s_and_saveexec_b64 s[2:3], vcc
	s_cbranch_execz .LBB887_341
; %bb.336:
	s_movk_i32 s8, 0x80
	v_cmp_ne_u16_e32 vcc, s8, v55
	v_mov_b32_e32 v54, 0xffff8000
	s_and_saveexec_b64 s[8:9], vcc
	s_cbranch_execz .LBB887_340
; %bb.337:
	v_bfe_u32 v55, v23, 16, 7
	s_movk_i32 s10, 0x7f
	v_cmp_ne_u32_e32 vcc, s10, v55
	v_mov_b32_e32 v54, 0x7f80
	s_and_saveexec_b64 s[10:11], vcc
	s_cbranch_execz .LBB887_339
; %bb.338:
	v_and_b32_e32 v54, 7, v22
	v_ffbh_u32_e32 v56, v54
	v_min_u32_e32 v59, 32, v56
	v_subrev_u32_e32 v56, 28, v59
	v_lshlrev_b64 v[56:57], v56, v[22:23]
	v_lshrrev_b32_e32 v58, 3, v55
	v_sub_u32_e32 v22, 29, v59
	v_and_b32_e32 v56, 7, v56
	v_cmp_gt_u32_e32 vcc, 8, v55
	v_mov_b32_e32 v55, 24
	v_cndmask_b32_e32 v22, v58, v22, vcc
	v_cndmask_b32_e32 v54, v54, v56, vcc
	v_lshlrev_b32_sdwa v55, v55, v23 dst_sel:DWORD dst_unused:UNUSED_PAD src0_sel:DWORD src1_sel:WORD_1
	v_bfrev_b32_e32 v56, 60
	v_lshlrev_b32_e32 v54, 20, v54
	v_and_b32_e32 v55, 0x80000000, v55
	v_lshl_add_u32 v22, v22, 23, v56
	v_or3_b32 v22, v55, v22, v54
	v_lshrrev_b32_e32 v54, 16, v22
.LBB887_339:
	s_or_b64 exec, exec, s[10:11]
.LBB887_340:
	s_or_b64 exec, exec, s[8:9]
.LBB887_341:
	s_or_b64 exec, exec, s[2:3]
	s_mov_b32 s2, 0xffffff
	v_cmp_lt_u32_e32 vcc, s2, v23
	s_and_saveexec_b64 s[2:3], vcc
	s_cbranch_execz .LBB887_347
; %bb.342:
	v_lshrrev_b32_e32 v22, 24, v23
	s_movk_i32 s8, 0x80
	v_cmp_ne_u32_e32 vcc, s8, v22
	v_mov_b32_e32 v53, 0xffff8000
	s_and_saveexec_b64 s[8:9], vcc
	s_cbranch_execz .LBB887_346
; %bb.343:
	v_bfe_u32 v23, v23, 24, 7
	s_movk_i32 s10, 0x7f
	v_cmp_ne_u32_e32 vcc, s10, v23
	v_mov_b32_e32 v53, 0x7f80
	s_and_saveexec_b64 s[10:11], vcc
	s_cbranch_execz .LBB887_345
; %bb.344:
	v_and_b32_e32 v53, 7, v22
	v_ffbh_u32_e32 v56, v53
	v_min_u32_e32 v58, 32, v56
	v_subrev_u32_e32 v56, 28, v58
	v_lshlrev_b64 v[56:57], v56, v[22:23]
	v_lshrrev_b32_e32 v55, 3, v23
	v_sub_u32_e32 v57, 29, v58
	v_and_b32_e32 v56, 7, v56
	v_cmp_gt_u32_e32 vcc, 8, v23
	v_cndmask_b32_e32 v23, v55, v57, vcc
	v_cndmask_b32_e32 v53, v53, v56, vcc
	v_lshlrev_b32_e32 v22, 24, v22
	v_bfrev_b32_e32 v55, 60
	v_lshlrev_b32_e32 v53, 20, v53
	v_and_b32_e32 v22, 0x80000000, v22
	v_lshl_add_u32 v23, v23, 23, v55
	v_or3_b32 v22, v22, v23, v53
	v_lshrrev_b32_e32 v53, 16, v22
.LBB887_345:
	s_or_b64 exec, exec, s[10:11]
.LBB887_346:
	s_or_b64 exec, exec, s[8:9]
.LBB887_347:
	s_or_b64 exec, exec, s[2:3]
	s_mov_b32 s2, 0x5040100
	v_perm_b32 v23, v45, v51, s2
	v_perm_b32 v22, v43, v44, s2
	s_nop 1
	v_mfma_f32_16x16x16bf16_1k v[56:59], v[22:23], v[26:27], 0
	v_perm_b32 v27, v53, v54, s2
	v_perm_b32 v26, v42, v52, s2
	v_mov_b32_e32 v23, 0
	v_cmp_ne_u16_sdwa s[8:9], v24, v23 src0_sel:BYTE_0 src1_sel:DWORD
	v_mov_b32_e32 v42, 0
	v_mfma_f32_16x16x16bf16_1k v[26:29], v[26:27], v[28:29], v[56:59]
	s_and_saveexec_b64 s[2:3], s[8:9]
	s_cbranch_execz .LBB887_353
; %bb.348:
	s_movk_i32 s8, 0x80
	v_cmp_ne_u16_sdwa s[10:11], v24, s8 src0_sel:BYTE_0 src1_sel:DWORD
	v_mov_b32_e32 v42, 0xffff8000
	s_and_saveexec_b64 s[8:9], s[10:11]
	s_cbranch_execz .LBB887_352
; %bb.349:
	s_movk_i32 s10, 0x7f
	v_and_b32_e32 v22, 0x7f, v24
	v_cmp_ne_u32_e32 vcc, s10, v22
	v_mov_b32_e32 v42, 0x7f80
	s_and_saveexec_b64 s[10:11], vcc
	s_cbranch_execz .LBB887_351
; %bb.350:
	v_and_b32_e32 v44, 7, v24
	v_ffbh_u32_e32 v42, v44
	v_min_u32_e32 v51, 32, v42
	v_subrev_u32_e32 v42, 28, v51
	v_lshlrev_b64 v[42:43], v42, v[24:25]
	v_lshrrev_b32_e32 v45, 3, v22
	v_sub_u32_e32 v43, 29, v51
	v_and_b32_e32 v42, 7, v42
	v_cmp_gt_u32_e32 vcc, 8, v22
	v_cndmask_b32_e32 v22, v45, v43, vcc
	v_cndmask_b32_e32 v42, v44, v42, vcc
	v_lshlrev_b32_e32 v43, 24, v24
	v_bfrev_b32_e32 v44, 60
	v_lshlrev_b32_e32 v42, 20, v42
	v_and_b32_e32 v43, 0x80000000, v43
	v_lshl_add_u32 v22, v22, 23, v44
	v_or3_b32 v22, v43, v22, v42
	v_lshrrev_b32_e32 v42, 16, v22
.LBB887_351:
	s_or_b64 exec, exec, s[10:11]
.LBB887_352:
	s_or_b64 exec, exec, s[8:9]
.LBB887_353:
	s_or_b64 exec, exec, s[2:3]
	v_lshrrev_b16_e32 v22, 8, v24
	v_cmp_ne_u16_e32 vcc, 0, v22
	s_and_saveexec_b64 s[2:3], vcc
	s_cbranch_execz .LBB887_359
; %bb.354:
	s_movk_i32 s8, 0x80
	v_cmp_ne_u16_e32 vcc, s8, v22
	v_mov_b32_e32 v23, 0xffff8000
	s_and_saveexec_b64 s[8:9], vcc
	s_cbranch_execz .LBB887_358
; %bb.355:
	s_movk_i32 s10, 0x7f
	v_and_b32_e32 v43, 0x7f, v22
	v_cmp_ne_u32_e32 vcc, s10, v43
	v_mov_b32_e32 v23, 0x7f80
	s_and_saveexec_b64 s[10:11], vcc
	s_cbranch_execz .LBB887_357
; %bb.356:
	v_and_b32_e32 v44, 7, v22
	v_ffbh_u32_e32 v23, v44
	v_min_u32_e32 v51, 32, v23
	v_subrev_u32_e32 v23, 28, v51
	v_lshlrev_b64 v[22:23], v23, v[22:23]
	v_lshrrev_b32_e32 v45, 3, v43
	v_sub_u32_e32 v23, 29, v51
	v_and_b32_e32 v22, 7, v22
	v_cmp_gt_u32_e32 vcc, 8, v43
	v_cndmask_b32_e32 v23, v45, v23, vcc
	v_cndmask_b32_e32 v22, v44, v22, vcc
	v_lshlrev_b32_e32 v43, 16, v24
	v_bfrev_b32_e32 v44, 60
	v_lshlrev_b32_e32 v22, 20, v22
	v_and_b32_e32 v43, 0x80000000, v43
	v_lshl_add_u32 v23, v23, 23, v44
	v_or3_b32 v22, v43, v23, v22
	v_lshrrev_b32_e32 v23, 16, v22
.LBB887_357:
	s_or_b64 exec, exec, s[10:11]
.LBB887_358:
	s_or_b64 exec, exec, s[8:9]
.LBB887_359:
	s_or_b64 exec, exec, s[2:3]
	s_movk_i32 s2, 0xff
	v_and_b32_sdwa v45, v24, s2 dst_sel:DWORD dst_unused:UNUSED_PAD src0_sel:WORD_1 src1_sel:DWORD
	v_lshrrev_b32_e32 v22, 16, v24
	v_cmp_ne_u16_e32 vcc, 0, v45
	v_mov_b32_e32 v43, 0
	v_mov_b32_e32 v44, 0
	s_and_saveexec_b64 s[2:3], vcc
	s_cbranch_execz .LBB887_365
; %bb.360:
	s_movk_i32 s8, 0x80
	v_cmp_ne_u16_e32 vcc, s8, v45
	v_mov_b32_e32 v44, 0xffff8000
	s_and_saveexec_b64 s[8:9], vcc
	s_cbranch_execz .LBB887_364
; %bb.361:
	v_bfe_u32 v45, v24, 16, 7
	s_movk_i32 s10, 0x7f
	v_cmp_ne_u32_e32 vcc, s10, v45
	v_mov_b32_e32 v44, 0x7f80
	s_and_saveexec_b64 s[10:11], vcc
	s_cbranch_execz .LBB887_363
; %bb.362:
	v_and_b32_e32 v44, 7, v22
	v_ffbh_u32_e32 v52, v44
	v_min_u32_e32 v54, 32, v52
	v_subrev_u32_e32 v52, 28, v54
	v_lshlrev_b64 v[52:53], v52, v[22:23]
	v_lshrrev_b32_e32 v51, 3, v45
	v_sub_u32_e32 v22, 29, v54
	v_and_b32_e32 v52, 7, v52
	v_cmp_gt_u32_e32 vcc, 8, v45
	v_mov_b32_e32 v45, 24
	v_cndmask_b32_e32 v22, v51, v22, vcc
	v_cndmask_b32_e32 v44, v44, v52, vcc
	v_lshlrev_b32_sdwa v45, v45, v24 dst_sel:DWORD dst_unused:UNUSED_PAD src0_sel:DWORD src1_sel:WORD_1
	v_bfrev_b32_e32 v51, 60
	v_lshlrev_b32_e32 v44, 20, v44
	v_and_b32_e32 v45, 0x80000000, v45
	v_lshl_add_u32 v22, v22, 23, v51
	v_or3_b32 v22, v45, v22, v44
	v_lshrrev_b32_e32 v44, 16, v22
.LBB887_363:
	s_or_b64 exec, exec, s[10:11]
.LBB887_364:
	s_or_b64 exec, exec, s[8:9]
.LBB887_365:
	s_or_b64 exec, exec, s[2:3]
	s_mov_b32 s2, 0xffffff
	v_cmp_lt_u32_e32 vcc, s2, v24
	s_and_saveexec_b64 s[2:3], vcc
	s_cbranch_execz .LBB887_371
; %bb.366:
	v_lshrrev_b32_e32 v22, 24, v24
	s_movk_i32 s8, 0x80
	v_cmp_ne_u32_e32 vcc, s8, v22
	v_mov_b32_e32 v43, 0xffff8000
	s_and_saveexec_b64 s[8:9], vcc
	s_cbranch_execz .LBB887_370
; %bb.367:
	v_bfe_u32 v24, v24, 24, 7
	s_movk_i32 s10, 0x7f
	v_cmp_ne_u32_e32 vcc, s10, v24
	v_mov_b32_e32 v43, 0x7f80
	s_and_saveexec_b64 s[10:11], vcc
	s_cbranch_execz .LBB887_369
; %bb.368:
	v_and_b32_e32 v43, 7, v22
	v_ffbh_u32_e32 v51, v43
	v_min_u32_e32 v51, 32, v51
	v_subrev_u32_e32 v52, 28, v51
	v_lshlrev_b64 v[52:53], v52, v[22:23]
	v_lshrrev_b32_e32 v45, 3, v24
	v_sub_u32_e32 v51, 29, v51
	v_and_b32_e32 v52, 7, v52
	v_cmp_gt_u32_e32 vcc, 8, v24
	v_cndmask_b32_e32 v24, v45, v51, vcc
	v_cndmask_b32_e32 v43, v43, v52, vcc
	v_lshlrev_b32_e32 v22, 24, v22
	v_bfrev_b32_e32 v45, 60
	v_lshlrev_b32_e32 v43, 20, v43
	v_and_b32_e32 v22, 0x80000000, v22
	v_lshl_add_u32 v24, v24, 23, v45
	v_or3_b32 v22, v22, v24, v43
	v_lshrrev_b32_e32 v43, 16, v22
.LBB887_369:
	s_or_b64 exec, exec, s[10:11]
.LBB887_370:
	s_or_b64 exec, exec, s[8:9]
.LBB887_371:
	s_or_b64 exec, exec, s[2:3]
	v_mov_b32_e32 v24, 0
	v_cmp_ne_u16_sdwa s[8:9], v25, v24 src0_sel:BYTE_0 src1_sel:DWORD
	v_mov_b32_e32 v51, 0
	s_and_saveexec_b64 s[2:3], s[8:9]
	s_cbranch_execz .LBB887_377
; %bb.372:
	s_movk_i32 s8, 0x80
	v_cmp_ne_u16_sdwa s[10:11], v25, s8 src0_sel:BYTE_0 src1_sel:DWORD
	v_mov_b32_e32 v51, 0xffff8000
	s_and_saveexec_b64 s[8:9], s[10:11]
	s_cbranch_execz .LBB887_376
; %bb.373:
	s_movk_i32 s10, 0x7f
	v_and_b32_e32 v22, 0x7f, v25
	v_cmp_ne_u32_e32 vcc, s10, v22
	v_mov_b32_e32 v51, 0x7f80
	s_and_saveexec_b64 s[10:11], vcc
	s_cbranch_execz .LBB887_375
; %bb.374:
	v_and_b32_e32 v45, 7, v25
	v_ffbh_u32_e32 v53, v45
	v_min_u32_e32 v54, 32, v53
	v_mov_b32_e32 v52, v25
	v_subrev_u32_e32 v53, 28, v54
	v_lshlrev_b64 v[52:53], v53, v[52:53]
	v_lshrrev_b32_e32 v51, 3, v22
	v_sub_u32_e32 v53, 29, v54
	v_and_b32_e32 v52, 7, v52
	v_cmp_gt_u32_e32 vcc, 8, v22
	v_cndmask_b32_e32 v22, v51, v53, vcc
	v_cndmask_b32_e32 v45, v45, v52, vcc
	v_lshlrev_b32_e32 v51, 24, v25
	v_bfrev_b32_e32 v52, 60
	v_lshlrev_b32_e32 v45, 20, v45
	v_and_b32_e32 v51, 0x80000000, v51
	v_lshl_add_u32 v22, v22, 23, v52
	v_or3_b32 v22, v51, v22, v45
	v_lshrrev_b32_e32 v51, 16, v22
.LBB887_375:
	s_or_b64 exec, exec, s[10:11]
.LBB887_376:
	s_or_b64 exec, exec, s[8:9]
.LBB887_377:
	s_or_b64 exec, exec, s[2:3]
	v_lshrrev_b16_e32 v22, 8, v25
	v_cmp_ne_u16_e32 vcc, 0, v22
	s_and_saveexec_b64 s[2:3], vcc
	s_cbranch_execz .LBB887_383
; %bb.378:
	s_movk_i32 s8, 0x80
	v_cmp_ne_u16_e32 vcc, s8, v22
	v_mov_b32_e32 v24, 0xffff8000
	s_and_saveexec_b64 s[8:9], vcc
	s_cbranch_execz .LBB887_382
; %bb.379:
	s_movk_i32 s10, 0x7f
	v_and_b32_e32 v45, 0x7f, v22
	v_cmp_ne_u32_e32 vcc, s10, v45
	v_mov_b32_e32 v24, 0x7f80
	s_and_saveexec_b64 s[10:11], vcc
	s_cbranch_execz .LBB887_381
; %bb.380:
	v_and_b32_e32 v24, 7, v22
	v_ffbh_u32_e32 v52, v24
	v_min_u32_e32 v55, 32, v52
	v_subrev_u32_e32 v52, 28, v55
	v_lshlrev_b64 v[52:53], v52, v[22:23]
	v_lshrrev_b32_e32 v54, 3, v45
	v_sub_u32_e32 v22, 29, v55
	v_and_b32_e32 v52, 7, v52
	v_cmp_gt_u32_e32 vcc, 8, v45
	v_cndmask_b32_e32 v22, v54, v22, vcc
	v_cndmask_b32_e32 v24, v24, v52, vcc
	v_lshlrev_b32_e32 v45, 16, v25
	v_bfrev_b32_e32 v52, 60
	v_lshlrev_b32_e32 v24, 20, v24
	v_and_b32_e32 v45, 0x80000000, v45
	v_lshl_add_u32 v22, v22, 23, v52
	v_or3_b32 v22, v45, v22, v24
	v_lshrrev_b32_e32 v24, 16, v22
.LBB887_381:
	s_or_b64 exec, exec, s[10:11]
.LBB887_382:
	s_or_b64 exec, exec, s[8:9]
.LBB887_383:
	s_or_b64 exec, exec, s[2:3]
	s_movk_i32 s2, 0xff
	v_and_b32_sdwa v45, v25, s2 dst_sel:DWORD dst_unused:UNUSED_PAD src0_sel:WORD_1 src1_sel:DWORD
	v_lshrrev_b32_e32 v22, 16, v25
	v_cmp_ne_u16_e32 vcc, 0, v45
	v_mov_b32_e32 v52, 0
	v_mov_b32_e32 v53, 0
	s_and_saveexec_b64 s[2:3], vcc
	s_cbranch_execz .LBB887_389
; %bb.384:
	s_movk_i32 s8, 0x80
	v_cmp_ne_u16_e32 vcc, s8, v45
	v_mov_b32_e32 v53, 0xffff8000
	s_and_saveexec_b64 s[8:9], vcc
	s_cbranch_execz .LBB887_388
; %bb.385:
	v_bfe_u32 v45, v25, 16, 7
	s_movk_i32 s10, 0x7f
	v_cmp_ne_u32_e32 vcc, s10, v45
	v_mov_b32_e32 v53, 0x7f80
	s_and_saveexec_b64 s[10:11], vcc
	s_cbranch_execz .LBB887_387
; %bb.386:
	v_and_b32_e32 v53, 7, v22
	v_ffbh_u32_e32 v54, v53
	v_min_u32_e32 v57, 32, v54
	v_subrev_u32_e32 v54, 28, v57
	v_lshlrev_b64 v[54:55], v54, v[22:23]
	v_and_b32_e32 v54, 7, v54
	v_cmp_gt_u32_e32 vcc, 8, v45
	v_lshrrev_b32_e32 v56, 3, v45
	v_sub_u32_e32 v22, 29, v57
	v_cndmask_b32_e32 v45, v53, v54, vcc
	v_mov_b32_e32 v53, 24
	v_cndmask_b32_e32 v22, v56, v22, vcc
	v_lshlrev_b32_sdwa v53, v53, v25 dst_sel:DWORD dst_unused:UNUSED_PAD src0_sel:DWORD src1_sel:WORD_1
	v_bfrev_b32_e32 v54, 60
	v_lshlrev_b32_e32 v45, 20, v45
	v_and_b32_e32 v53, 0x80000000, v53
	v_lshl_add_u32 v22, v22, 23, v54
	v_or3_b32 v22, v53, v22, v45
	v_lshrrev_b32_e32 v53, 16, v22
.LBB887_387:
	s_or_b64 exec, exec, s[10:11]
.LBB887_388:
	s_or_b64 exec, exec, s[8:9]
.LBB887_389:
	s_or_b64 exec, exec, s[2:3]
	s_mov_b32 s2, 0xffffff
	v_and_b32_e32 v45, 63, v0
	v_cmp_lt_u32_e32 vcc, s2, v25
	s_and_saveexec_b64 s[2:3], vcc
	s_cbranch_execz .LBB887_395
; %bb.390:
	v_lshrrev_b32_e32 v22, 24, v25
	s_movk_i32 s8, 0x80
	v_cmp_ne_u32_e32 vcc, s8, v22
	v_mov_b32_e32 v52, 0xffff8000
	s_and_saveexec_b64 s[8:9], vcc
	s_cbranch_execz .LBB887_394
; %bb.391:
	v_bfe_u32 v25, v25, 24, 7
	s_movk_i32 s10, 0x7f
	v_cmp_ne_u32_e32 vcc, s10, v25
	v_mov_b32_e32 v52, 0x7f80
	s_and_saveexec_b64 s[10:11], vcc
	s_cbranch_execz .LBB887_393
; %bb.392:
	v_and_b32_e32 v52, 7, v22
	v_ffbh_u32_e32 v54, v52
	v_min_u32_e32 v57, 32, v54
	v_subrev_u32_e32 v54, 28, v57
	v_lshlrev_b64 v[54:55], v54, v[22:23]
	v_lshrrev_b32_e32 v56, 3, v25
	v_sub_u32_e32 v55, 29, v57
	v_and_b32_e32 v54, 7, v54
	v_cmp_gt_u32_e32 vcc, 8, v25
	v_cndmask_b32_e32 v25, v56, v55, vcc
	v_cndmask_b32_e32 v52, v52, v54, vcc
	v_lshlrev_b32_e32 v22, 24, v22
	v_bfrev_b32_e32 v54, 60
	v_lshlrev_b32_e32 v52, 20, v52
	v_and_b32_e32 v22, 0x80000000, v22
	v_lshl_add_u32 v25, v25, 23, v54
	v_or3_b32 v22, v22, v25, v52
	v_lshrrev_b32_e32 v52, 16, v22
.LBB887_393:
	s_or_b64 exec, exec, s[10:11]
.LBB887_394:
	s_or_b64 exec, exec, s[8:9]
.LBB887_395:
	s_or_b64 exec, exec, s[2:3]
	s_mov_b32 s3, 0x5040100
	v_perm_b32 v43, v43, v44, s3
	v_perm_b32 v42, v23, v42, s3
	s_load_dword s2, s[4:5], 0x1c
	s_mov_b32 s46, 0xff7fffff
	s_waitcnt lgkmcnt(0)
	v_mfma_f32_16x16x16bf16_1k v[26:29], v[42:43], v[18:19], v[26:29]
	v_perm_b32 v19, v52, v53, s3
	v_perm_b32 v18, v24, v51, s3
	v_and_b32_e32 v24, 0xc0, v0
	v_mov_b32_e32 v22, s2
	v_add_u32_e32 v24, s20, v24
	v_mul_f32_e32 v44, s12, v22
	v_lshl_or_b32 v42, v1, 2, v24
	v_mfma_f32_16x16x16bf16_1k v[18:21], v[18:19], v[20:21], v[26:29]
	v_pk_mul_f32 v[22:23], v[44:45], v[36:37] op_sel_hi:[0,1]
	v_pk_mul_f32 v[36:37], v[44:45], v[40:41] op_sel_hi:[0,1]
	;; [unrolled: 1-line block ×4, first 2 shown]
	v_mov_b32_e32 v43, 0xff7fffff
	v_cmp_gt_i32_e64 s[26:27], s33, v42
	v_pk_mul_f32 v[38:39], v[44:45], v[38:39] op_sel_hi:[0,1]
	s_nop 3
	v_pk_mul_f32 v[32:33], v[44:45], v[18:19] op_sel_hi:[0,1]
	v_or_b32_e32 v19, 1, v42
	v_cmp_gt_i32_e64 s[28:29], s33, v19
	v_cndmask_b32_e64 v18, v43, v30, s[26:27]
	v_cndmask_b32_e64 v19, v43, v31, s[28:29]
	v_pk_mul_f32 v[24:25], v[44:45], v[20:21] op_sel_hi:[0,1]
	v_max3_f32 v18, v18, s46, v19
	v_or_b32_e32 v19, 2, v42
	v_or_b32_e32 v20, 3, v42
	v_cmp_gt_i32_e64 s[30:31], s33, v19
	v_cmp_gt_i32_e64 s[34:35], s33, v20
	v_cndmask_b32_e64 v19, v43, v40, s[30:31]
	v_cndmask_b32_e64 v20, v43, v41, s[34:35]
	v_max3_f32 v18, v18, v19, v20
	v_or_b32_e32 v19, 16, v42
	v_or_b32_e32 v20, 17, v42
	v_cmp_gt_i32_e64 s[36:37], s33, v19
	v_cmp_gt_i32_e64 s[38:39], s33, v20
	v_cndmask_b32_e64 v19, v43, v38, s[36:37]
	v_cndmask_b32_e64 v20, v43, v39, s[38:39]
	;; [unrolled: 7-line block ×3, first 2 shown]
	v_max3_f32 v18, v18, v19, v20
	v_or_b32_e32 v19, 32, v42
	v_or_b32_e32 v20, 33, v42
	v_pk_mul_f32 v[34:35], v[44:45], v[34:35] op_sel_hi:[0,1]
	v_cmp_gt_i32_e64 s[16:17], s33, v19
	v_cmp_gt_i32_e64 s[18:19], s33, v20
	v_cndmask_b32_e64 v19, v43, v34, s[16:17]
	v_cndmask_b32_e64 v20, v43, v35, s[18:19]
	v_max3_f32 v18, v18, v19, v20
	v_or_b32_e32 v19, 34, v42
	v_or_b32_e32 v20, 35, v42
	v_cmp_gt_i32_e64 s[12:13], s33, v19
	v_cmp_gt_i32_e64 s[14:15], s33, v20
	v_cndmask_b32_e64 v19, v43, v22, s[12:13]
	v_cndmask_b32_e64 v20, v43, v23, s[14:15]
	v_max3_f32 v18, v18, v19, v20
	v_or_b32_e32 v19, 48, v42
	v_or_b32_e32 v20, 49, v42
	v_cmp_gt_i32_e64 s[8:9], s33, v19
	v_cmp_gt_i32_e64 s[10:11], s33, v20
	v_cndmask_b32_e64 v19, v43, v32, s[8:9]
	v_cndmask_b32_e64 v20, v43, v33, s[10:11]
	v_max3_f32 v18, v18, v19, v20
	v_or_b32_e32 v19, 50, v42
	v_or_b32_e32 v20, 51, v42
	v_cmp_gt_i32_e32 vcc, s33, v19
	v_cmp_gt_i32_e64 s[2:3], s33, v20
	v_cndmask_b32_e32 v19, v43, v24, vcc
	v_cndmask_b32_e64 v20, v43, v25, s[2:3]
	v_max3_f32 v18, v18, v19, v20
	v_mbcnt_lo_u32_b32 v19, -1, 0
	v_mbcnt_hi_u32_b32 v19, -1, v19
	v_and_b32_e32 v20, 64, v19
	v_add_u32_e32 v20, 64, v20
	v_xor_b32_e32 v21, 32, v19
	v_cmp_lt_i32_e64 s[40:41], v21, v20
	v_cndmask_b32_e64 v21, v19, v21, s[40:41]
	v_lshlrev_b32_e32 v43, 2, v21
	ds_bpermute_b32 v21, v43, v18
	s_barrier
	s_waitcnt lgkmcnt(0)
	v_max_f32_e32 v21, v21, v21
	v_max_f32_e32 v18, v18, v21
	v_xor_b32_e32 v21, 16, v19
	v_cmp_lt_i32_e64 s[40:41], v21, v20
	v_cndmask_b32_e64 v19, v19, v21, s[40:41]
	v_lshlrev_b32_e32 v44, 2, v19
	ds_bpermute_b32 v19, v44, v18
	s_waitcnt lgkmcnt(0)
	v_max_f32_e32 v19, v19, v19
	v_max_f32_e32 v42, v18, v19
	v_sub_f32_e32 v21, v40, v42
	v_sub_f32_e32 v26, v41, v42
	v_mul_f32_e32 v21, 0x3fb8aa3b, v21
	v_mul_f32_e32 v26, 0x3fb8aa3b, v26
	v_sub_f32_e32 v18, v30, v42
	v_exp_f32_e32 v21, v21
	v_exp_f32_e32 v26, v26
	v_mul_f32_e32 v18, 0x3fb8aa3b, v18
	v_sub_f32_e32 v19, v31, v42
	v_exp_f32_e32 v18, v18
	v_mul_f32_e32 v19, 0x3fb8aa3b, v19
	v_exp_f32_e32 v19, v19
	v_cndmask_b32_e64 v28, 0, v21, s[30:31]
	v_cndmask_b32_e64 v29, 0, v26, s[34:35]
	v_sub_f32_e32 v21, v38, v42
	v_sub_f32_e32 v26, v39, v42
	v_mul_f32_e32 v21, 0x3fb8aa3b, v21
	v_mul_f32_e32 v26, 0x3fb8aa3b, v26
	v_cndmask_b32_e64 v18, 0, v18, s[26:27]
	v_exp_f32_e32 v21, v21
	v_exp_f32_e32 v26, v26
	v_add_f32_e32 v20, 0, v18
	v_cndmask_b32_e64 v19, 0, v19, s[28:29]
	v_add_f32_e32 v20, v20, v19
	v_add_f32_e32 v20, v20, v28
	;; [unrolled: 1-line block ×3, first 2 shown]
	v_cndmask_b32_e64 v20, 0, v21, s[36:37]
	v_cndmask_b32_e64 v21, 0, v26, s[38:39]
	v_sub_f32_e32 v26, v36, v42
	v_mul_f32_e32 v26, 0x3fb8aa3b, v26
	v_exp_f32_e32 v26, v26
	v_sub_f32_e32 v30, v37, v42
	v_add_f32_e32 v27, v27, v20
	v_mul_f32_e32 v30, 0x3fb8aa3b, v30
	v_exp_f32_e32 v31, v30
	v_add_f32_e32 v27, v27, v21
	v_cndmask_b32_e64 v30, 0, v26, s[20:21]
	v_add_f32_e32 v26, v27, v30
	v_sub_f32_e32 v27, v34, v42
	v_mul_f32_e32 v27, 0x3fb8aa3b, v27
	v_sub_f32_e32 v34, v35, v42
	v_exp_f32_e32 v27, v27
	v_mul_f32_e32 v34, 0x3fb8aa3b, v34
	v_sub_f32_e32 v22, v22, v42
	v_exp_f32_e32 v34, v34
	;; [unrolled: 3-line block ×3, first 2 shown]
	v_mul_f32_e32 v23, 0x3fb8aa3b, v23
	v_cndmask_b32_e64 v31, 0, v31, s[22:23]
	v_exp_f32_e32 v23, v23
	v_add_f32_e32 v35, v26, v31
	v_cndmask_b32_e64 v26, 0, v27, s[16:17]
	v_add_f32_e32 v35, v35, v26
	v_cndmask_b32_e64 v27, 0, v34, s[18:19]
	;; [unrolled: 2-line block ×4, first 2 shown]
	v_sub_f32_e32 v23, v32, v42
	v_mul_f32_e32 v23, 0x3fb8aa3b, v23
	v_sub_f32_e32 v32, v33, v42
	v_exp_f32_e32 v23, v23
	v_mul_f32_e32 v32, 0x3fb8aa3b, v32
	v_sub_f32_e32 v24, v24, v42
	v_exp_f32_e32 v32, v32
	;; [unrolled: 3-line block ×3, first 2 shown]
	v_mul_f32_e32 v25, 0x3fb8aa3b, v25
	v_exp_f32_e32 v25, v25
	v_add_f32_e32 v33, v22, v35
	v_cndmask_b32_e64 v22, 0, v23, s[8:9]
	v_add_f32_e32 v33, v33, v22
	v_cndmask_b32_e64 v23, 0, v32, s[10:11]
	v_add_f32_e32 v32, v33, v23
	v_cndmask_b32_e32 v24, 0, v24, vcc
	v_add_f32_e32 v32, v32, v24
	v_cndmask_b32_e64 v25, 0, v25, s[2:3]
	v_add_f32_e32 v32, v32, v25
	ds_bpermute_b32 v33, v43, v32
	v_cmp_gt_u32_e32 vcc, 16, v45
	s_waitcnt lgkmcnt(0)
	v_add_f32_e32 v32, v32, v33
	ds_bpermute_b32 v36, v44, v32
	v_lshlrev_b32_e32 v33, 2, v49
	s_and_saveexec_b64 s[2:3], vcc
	s_cbranch_execz .LBB887_397
; %bb.396:
	s_waitcnt lgkmcnt(0)
	v_add_f32_e32 v32, v32, v36
	v_lshl_or_b32 v36, v50, 6, v33
	ds_write2st64_b32 v36, v42, v32 offset1:1
.LBB887_397:
	s_or_b64 exec, exec, s[2:3]
	s_waitcnt lgkmcnt(0)
	s_barrier
	ds_read2_b32 v[36:37], v33 offset1:16
	ds_read2_b32 v[38:39], v33 offset0:32 offset1:48
	ds_read2_b32 v[40:41], v33 offset0:64 offset1:80
	s_mul_i32 s12, s45, 10
	s_waitcnt lgkmcnt(2)
	v_max3_f32 v32, v36, s46, v37
	s_waitcnt lgkmcnt(1)
	v_max3_f32 v32, v32, v38, v39
	v_sub_f32_e32 v36, v36, v32
	v_mul_f32_e32 v36, 0x3fb8aa3b, v36
	v_exp_f32_e32 v42, v36
	v_sub_f32_e32 v36, v37, v32
	v_mul_f32_e32 v36, 0x3fb8aa3b, v36
	v_exp_f32_e32 v43, v36
	;; [unrolled: 3-line block ×3, first 2 shown]
	ds_read2_b32 v[36:37], v33 offset0:96 offset1:112
	v_sub_f32_e32 v33, v39, v32
	v_mul_f32_e32 v33, 0x3fb8aa3b, v33
	v_exp_f32_e32 v39, v33
	s_waitcnt lgkmcnt(1)
	v_fma_f32 v33, v42, v40, 0
	v_fmac_f32_e32 v33, v43, v41
	s_waitcnt lgkmcnt(0)
	v_fmac_f32_e32 v33, v38, v36
	v_fmac_f32_e32 v33, v39, v37
	v_add_f32_e32 v36, 0x358637bd, v33
	v_div_scale_f32 v37, s[2:3], v36, v36, 1.0
	v_rcp_f32_e32 v40, v37
	s_movk_i32 s2, 0x7fff
	s_mov_b32 s3, 0x7060302
	v_fma_f32 v41, -v37, v40, 1.0
	v_fmac_f32_e32 v40, v41, v40
	v_div_scale_f32 v41, vcc, 1.0, v36, 1.0
	v_mul_f32_e32 v44, v41, v40
	v_fma_f32 v45, -v37, v44, v41
	v_fmac_f32_e32 v44, v45, v40
	v_fma_f32 v37, -v37, v44, v41
	v_div_fmas_f32 v37, v37, v40, v44
	v_cmp_eq_u32_e32 vcc, 1, v50
	v_div_fixup_f32 v36, v37, v36, 1.0
	v_cndmask_b32_e32 v37, v42, v43, vcc
	v_cmp_eq_u32_e32 vcc, 2, v50
	v_cndmask_b32_e32 v37, v37, v38, vcc
	v_cmp_eq_u32_e32 vcc, 3, v50
	v_cndmask_b32_e32 v37, v37, v39, vcc
	v_mul_f32_e32 v36, v37, v36
	v_pk_mul_f32 v[18:19], v[36:37], v[18:19] op_sel_hi:[0,1]
	v_pk_mul_f32 v[28:29], v[36:37], v[28:29] op_sel_hi:[0,1]
	v_bfe_u32 v37, v19, 16, 1
	v_bfe_u32 v38, v18, 16, 1
	v_add3_u32 v18, v18, v38, s2
	v_add3_u32 v19, v19, v37, s2
	v_perm_b32 v18, v19, v18, s3
	v_bfe_u32 v19, v29, 16, 1
	v_bfe_u32 v37, v28, 16, 1
	v_add3_u32 v28, v28, v37, s2
	v_add3_u32 v19, v29, v19, s2
	v_perm_b32 v19, v19, v28, s3
	v_lshlrev_b32_e32 v28, 3, v1
	v_lshlrev_b32_e32 v29, 11, v50
	v_pk_mul_f32 v[20:21], v[36:37], v[20:21] op_sel_hi:[0,1]
	v_or3_b32 v28, v29, v48, v28
	v_pk_mul_f32 v[30:31], v[36:37], v[30:31] op_sel_hi:[0,1]
	v_bfe_u32 v29, v21, 16, 1
	v_bfe_u32 v37, v20, 16, 1
	v_add3_u32 v20, v20, v37, s2
	v_add3_u32 v21, v21, v29, s2
	v_perm_b32 v20, v21, v20, s3
	v_bfe_u32 v21, v31, 16, 1
	v_bfe_u32 v29, v30, 16, 1
	v_add3_u32 v29, v30, v29, s2
	v_add3_u32 v21, v31, v21, s2
	v_perm_b32 v21, v21, v29, s3
	s_barrier
	ds_write2st64_b64 v28, v[18:19], v[20:21] offset1:1
	v_pk_mul_f32 v[20:21], v[36:37], v[26:27] op_sel_hi:[0,1]
	v_bfe_u32 v26, v21, 16, 1
	v_bfe_u32 v27, v20, 16, 1
	v_pk_mul_f32 v[18:19], v[36:37], v[34:35] op_sel_hi:[0,1]
	v_add3_u32 v20, v20, v27, s2
	v_add3_u32 v21, v21, v26, s2
	v_perm_b32 v20, v21, v20, s3
	v_bfe_u32 v21, v19, 16, 1
	v_bfe_u32 v26, v18, 16, 1
	v_add3_u32 v18, v18, v26, s2
	v_add3_u32 v19, v19, v21, s2
	v_pk_mul_f32 v[22:23], v[36:37], v[22:23] op_sel_hi:[0,1]
	v_perm_b32 v21, v19, v18, s3
	v_pk_mul_f32 v[18:19], v[36:37], v[24:25] op_sel_hi:[0,1]
	v_bfe_u32 v24, v23, 16, 1
	v_bfe_u32 v25, v22, 16, 1
	v_add3_u32 v22, v22, v25, s2
	v_add3_u32 v23, v23, v24, s2
	v_perm_b32 v22, v23, v22, s3
	v_bfe_u32 v23, v19, 16, 1
	v_bfe_u32 v24, v18, 16, 1
	v_add3_u32 v18, v18, v24, s2
	v_add3_u32 v19, v19, v23, s2
	v_perm_b32 v23, v19, v18, s3
	v_cmp_gt_u32_e32 vcc, 10, v0
	ds_write2st64_b64 v28, v[20:21], v[22:23] offset0:2 offset1:3
	s_and_saveexec_b64 s[2:3], vcc
	s_cbranch_execz .LBB887_399
; %bb.398:
	v_add_co_u32_e32 v20, vcc, s25, v49
	v_addc_co_u32_e64 v21, s[14:15], 0, 0, vcc
	v_mov_b32_e32 v18, s12
	v_mov_b32_e32 v19, 0
	v_mad_u64_u32 v[20:21], s[14:15], s6, v18, v[20:21]
	v_mov_b32_e32 v18, s24
	s_load_dwordx4 s[8:11], s[4:5], 0x58
	s_mul_i32 s7, s7, s12
	v_mad_u64_u32 v[18:19], s[14:15], v20, s44, v[18:19]
	v_add_u32_e32 v21, s7, v21
	v_mov_b32_e32 v20, v19
	v_mad_u64_u32 v[20:21], s[14:15], v21, s44, v[20:21]
	v_mov_b32_e32 v19, v20
	v_lshlrev_b64 v[18:19], 2, v[18:19]
	s_waitcnt lgkmcnt(0)
	v_mov_b32_e32 v21, s11
	v_add_co_u32_e32 v20, vcc, s10, v18
	v_addc_co_u32_e32 v21, vcc, v21, v19, vcc
	global_store_dword v[20:21], v32, off
	v_mov_b32_e32 v20, s9
	v_add_co_u32_e32 v18, vcc, s8, v18
	v_addc_co_u32_e32 v19, vcc, v20, v19, vcc
	global_store_dword v[18:19], v33, off
.LBB887_399:
	s_or_b64 exec, exec, s[2:3]
	v_mov_b32_e32 v19, 0
	s_waitcnt vmcnt(3)
	v_cmp_ne_u16_sdwa s[8:9], v14, v19 src0_sel:BYTE_0 src1_sel:DWORD
	v_mov_b32_e32 v20, 0
	s_waitcnt lgkmcnt(0)
	s_barrier
	s_and_saveexec_b64 s[2:3], s[8:9]
	s_cbranch_execz .LBB887_405
; %bb.400:
	s_movk_i32 s7, 0x80
	v_cmp_ne_u16_sdwa s[10:11], v14, s7 src0_sel:BYTE_0 src1_sel:DWORD
	v_mov_b32_e32 v20, 0xffff8000
	s_and_saveexec_b64 s[8:9], s[10:11]
	s_cbranch_execz .LBB887_404
; %bb.401:
	s_movk_i32 s7, 0x7f
	v_and_b32_e32 v18, 0x7f, v14
	v_cmp_ne_u32_e32 vcc, s7, v18
	v_mov_b32_e32 v20, 0x7f80
	s_and_saveexec_b64 s[10:11], vcc
	s_cbranch_execz .LBB887_403
; %bb.402:
	v_and_b32_e32 v22, 7, v14
	v_ffbh_u32_e32 v20, v22
	v_min_u32_e32 v24, 32, v20
	v_subrev_u32_e32 v20, 28, v24
	v_lshlrev_b64 v[20:21], v20, v[14:15]
	v_lshrrev_b32_e32 v23, 3, v18
	v_sub_u32_e32 v21, 29, v24
	v_and_b32_e32 v20, 7, v20
	v_cmp_gt_u32_e32 vcc, 8, v18
	v_cndmask_b32_e32 v18, v23, v21, vcc
	v_cndmask_b32_e32 v20, v22, v20, vcc
	v_lshlrev_b32_e32 v21, 24, v14
	v_bfrev_b32_e32 v22, 60
	v_lshlrev_b32_e32 v20, 20, v20
	v_and_b32_e32 v21, 0x80000000, v21
	v_lshl_add_u32 v18, v18, 23, v22
	v_or3_b32 v18, v21, v18, v20
	v_lshrrev_b32_e32 v20, 16, v18
.LBB887_403:
	s_or_b64 exec, exec, s[10:11]
.LBB887_404:
	s_or_b64 exec, exec, s[8:9]
.LBB887_405:
	s_or_b64 exec, exec, s[2:3]
	v_lshrrev_b16_e32 v18, 8, v14
	v_cmp_ne_u16_e32 vcc, 0, v18
	s_and_saveexec_b64 s[2:3], vcc
	s_cbranch_execz .LBB887_411
; %bb.406:
	s_movk_i32 s7, 0x80
	v_cmp_ne_u16_e32 vcc, s7, v18
	v_mov_b32_e32 v19, 0xffff8000
	s_and_saveexec_b64 s[8:9], vcc
	s_cbranch_execz .LBB887_410
; %bb.407:
	s_movk_i32 s7, 0x7f
	v_and_b32_e32 v21, 0x7f, v18
	v_cmp_ne_u32_e32 vcc, s7, v21
	v_mov_b32_e32 v19, 0x7f80
	s_and_saveexec_b64 s[10:11], vcc
	s_cbranch_execz .LBB887_409
; %bb.408:
	v_and_b32_e32 v22, 7, v18
	v_ffbh_u32_e32 v19, v22
	v_min_u32_e32 v24, 32, v19
	v_subrev_u32_e32 v19, 28, v24
	v_lshlrev_b64 v[18:19], v19, v[18:19]
	v_lshrrev_b32_e32 v23, 3, v21
	v_sub_u32_e32 v19, 29, v24
	v_and_b32_e32 v18, 7, v18
	v_cmp_gt_u32_e32 vcc, 8, v21
	v_cndmask_b32_e32 v19, v23, v19, vcc
	v_cndmask_b32_e32 v18, v22, v18, vcc
	v_lshlrev_b32_e32 v21, 16, v14
	v_bfrev_b32_e32 v22, 60
	v_lshlrev_b32_e32 v18, 20, v18
	v_and_b32_e32 v21, 0x80000000, v21
	v_lshl_add_u32 v19, v19, 23, v22
	v_or3_b32 v18, v21, v19, v18
	v_lshrrev_b32_e32 v19, 16, v18
.LBB887_409:
	s_or_b64 exec, exec, s[10:11]
.LBB887_410:
	s_or_b64 exec, exec, s[8:9]
.LBB887_411:
	s_or_b64 exec, exec, s[2:3]
	s_movk_i32 s2, 0xff
	v_and_b32_sdwa v23, v14, s2 dst_sel:DWORD dst_unused:UNUSED_PAD src0_sel:WORD_1 src1_sel:DWORD
	v_lshrrev_b32_e32 v18, 16, v14
	v_cmp_ne_u16_e32 vcc, 0, v23
	v_mov_b32_e32 v21, 0
	v_mov_b32_e32 v22, 0
	s_and_saveexec_b64 s[2:3], vcc
	s_cbranch_execz .LBB887_417
; %bb.412:
	s_movk_i32 s7, 0x80
	v_cmp_ne_u16_e32 vcc, s7, v23
	v_mov_b32_e32 v22, 0xffff8000
	s_and_saveexec_b64 s[8:9], vcc
	s_cbranch_execz .LBB887_416
; %bb.413:
	v_bfe_u32 v23, v14, 16, 7
	s_movk_i32 s7, 0x7f
	v_cmp_ne_u32_e32 vcc, s7, v23
	v_mov_b32_e32 v22, 0x7f80
	s_and_saveexec_b64 s[10:11], vcc
	s_cbranch_execz .LBB887_415
; %bb.414:
	v_and_b32_e32 v22, 7, v18
	v_ffbh_u32_e32 v24, v22
	v_min_u32_e32 v27, 32, v24
	v_subrev_u32_e32 v24, 28, v27
	v_lshlrev_b64 v[24:25], v24, v[18:19]
	v_lshrrev_b32_e32 v26, 3, v23
	v_sub_u32_e32 v18, 29, v27
	v_and_b32_e32 v24, 7, v24
	v_cmp_gt_u32_e32 vcc, 8, v23
	v_mov_b32_e32 v23, 24
	v_cndmask_b32_e32 v18, v26, v18, vcc
	v_cndmask_b32_e32 v22, v22, v24, vcc
	v_lshlrev_b32_sdwa v23, v23, v14 dst_sel:DWORD dst_unused:UNUSED_PAD src0_sel:DWORD src1_sel:WORD_1
	v_bfrev_b32_e32 v24, 60
	v_lshlrev_b32_e32 v22, 20, v22
	v_and_b32_e32 v23, 0x80000000, v23
	v_lshl_add_u32 v18, v18, 23, v24
	v_or3_b32 v18, v23, v18, v22
	v_lshrrev_b32_e32 v22, 16, v18
.LBB887_415:
	s_or_b64 exec, exec, s[10:11]
.LBB887_416:
	s_or_b64 exec, exec, s[8:9]
.LBB887_417:
	s_or_b64 exec, exec, s[2:3]
	s_mov_b32 s2, 0xffffff
	v_cmp_lt_u32_e32 vcc, s2, v14
	s_and_saveexec_b64 s[2:3], vcc
	s_cbranch_execz .LBB887_423
; %bb.418:
	v_lshrrev_b32_e32 v18, 24, v14
	s_movk_i32 s7, 0x80
	v_cmp_ne_u32_e32 vcc, s7, v18
	v_mov_b32_e32 v21, 0xffff8000
	s_and_saveexec_b64 s[8:9], vcc
	s_cbranch_execz .LBB887_422
; %bb.419:
	v_bfe_u32 v14, v14, 24, 7
	s_movk_i32 s7, 0x7f
	v_cmp_ne_u32_e32 vcc, s7, v14
	v_mov_b32_e32 v21, 0x7f80
	s_and_saveexec_b64 s[10:11], vcc
	s_cbranch_execz .LBB887_421
; %bb.420:
	v_and_b32_e32 v21, 7, v18
	v_ffbh_u32_e32 v24, v21
	v_min_u32_e32 v26, 32, v24
	v_subrev_u32_e32 v24, 28, v26
	v_lshlrev_b64 v[24:25], v24, v[18:19]
	v_lshrrev_b32_e32 v23, 3, v14
	v_sub_u32_e32 v25, 29, v26
	v_and_b32_e32 v24, 7, v24
	v_cmp_gt_u32_e32 vcc, 8, v14
	v_cndmask_b32_e32 v14, v23, v25, vcc
	v_cndmask_b32_e32 v21, v21, v24, vcc
	v_lshlrev_b32_e32 v18, 24, v18
	v_bfrev_b32_e32 v23, 60
	v_lshlrev_b32_e32 v21, 20, v21
	v_and_b32_e32 v18, 0x80000000, v18
	v_lshl_add_u32 v14, v14, 23, v23
	v_or3_b32 v14, v18, v14, v21
	v_lshrrev_b32_e32 v21, 16, v14
.LBB887_421:
	s_or_b64 exec, exec, s[10:11]
.LBB887_422:
	s_or_b64 exec, exec, s[8:9]
.LBB887_423:
	s_or_b64 exec, exec, s[2:3]
	v_mov_b32_e32 v18, 0
	v_cmp_ne_u16_sdwa s[8:9], v15, v18 src0_sel:BYTE_0 src1_sel:DWORD
	v_mov_b32_e32 v23, 0
	s_and_saveexec_b64 s[2:3], s[8:9]
	s_cbranch_execz .LBB887_429
; %bb.424:
	s_movk_i32 s7, 0x80
	v_cmp_ne_u16_sdwa s[10:11], v15, s7 src0_sel:BYTE_0 src1_sel:DWORD
	v_mov_b32_e32 v23, 0xffff8000
	s_and_saveexec_b64 s[8:9], s[10:11]
	s_cbranch_execz .LBB887_428
; %bb.425:
	s_movk_i32 s7, 0x7f
	v_and_b32_e32 v14, 0x7f, v15
	v_cmp_ne_u32_e32 vcc, s7, v14
	v_mov_b32_e32 v23, 0x7f80
	s_and_saveexec_b64 s[10:11], vcc
	s_cbranch_execz .LBB887_427
; %bb.426:
	v_and_b32_e32 v23, 7, v15
	v_ffbh_u32_e32 v25, v23
	v_min_u32_e32 v27, 32, v25
	v_mov_b32_e32 v24, v15
	v_subrev_u32_e32 v25, 28, v27
	v_lshlrev_b64 v[24:25], v25, v[24:25]
	v_lshrrev_b32_e32 v26, 3, v14
	v_sub_u32_e32 v25, 29, v27
	v_and_b32_e32 v24, 7, v24
	v_cmp_gt_u32_e32 vcc, 8, v14
	v_cndmask_b32_e32 v14, v26, v25, vcc
	v_cndmask_b32_e32 v23, v23, v24, vcc
	v_lshlrev_b32_e32 v24, 24, v15
	v_bfrev_b32_e32 v25, 60
	v_lshlrev_b32_e32 v23, 20, v23
	v_and_b32_e32 v24, 0x80000000, v24
	v_lshl_add_u32 v14, v14, 23, v25
	v_or3_b32 v14, v24, v14, v23
	v_lshrrev_b32_e32 v23, 16, v14
.LBB887_427:
	s_or_b64 exec, exec, s[10:11]
.LBB887_428:
	s_or_b64 exec, exec, s[8:9]
.LBB887_429:
	s_or_b64 exec, exec, s[2:3]
	v_lshrrev_b16_e32 v14, 8, v15
	v_cmp_ne_u16_e32 vcc, 0, v14
	s_and_saveexec_b64 s[2:3], vcc
	s_cbranch_execz .LBB887_435
; %bb.430:
	s_movk_i32 s7, 0x80
	v_cmp_ne_u16_e32 vcc, s7, v14
	v_mov_b32_e32 v18, 0xffff8000
	s_and_saveexec_b64 s[8:9], vcc
	s_cbranch_execz .LBB887_434
; %bb.431:
	s_movk_i32 s7, 0x7f
	v_and_b32_e32 v24, 0x7f, v14
	v_cmp_ne_u32_e32 vcc, s7, v24
	v_mov_b32_e32 v18, 0x7f80
	s_and_saveexec_b64 s[10:11], vcc
	s_cbranch_execz .LBB887_433
; %bb.432:
	v_and_b32_e32 v18, 7, v14
	v_ffbh_u32_e32 v26, v18
	v_min_u32_e32 v29, 32, v26
	v_subrev_u32_e32 v26, 28, v29
	v_lshlrev_b64 v[26:27], v26, v[14:15]
	v_lshrrev_b32_e32 v25, 3, v24
	v_sub_u32_e32 v14, 29, v29
	v_and_b32_e32 v26, 7, v26
	v_cmp_gt_u32_e32 vcc, 8, v24
	v_cndmask_b32_e32 v14, v25, v14, vcc
	v_cndmask_b32_e32 v18, v18, v26, vcc
	v_lshlrev_b32_e32 v24, 16, v15
	v_bfrev_b32_e32 v25, 60
	v_lshlrev_b32_e32 v18, 20, v18
	v_and_b32_e32 v24, 0x80000000, v24
	v_lshl_add_u32 v14, v14, 23, v25
	v_or3_b32 v14, v24, v14, v18
	v_lshrrev_b32_e32 v18, 16, v14
.LBB887_433:
	s_or_b64 exec, exec, s[10:11]
.LBB887_434:
	s_or_b64 exec, exec, s[8:9]
.LBB887_435:
	s_or_b64 exec, exec, s[2:3]
	s_movk_i32 s2, 0xff
	v_and_b32_sdwa v26, v15, s2 dst_sel:DWORD dst_unused:UNUSED_PAD src0_sel:WORD_1 src1_sel:DWORD
	v_lshrrev_b32_e32 v14, 16, v15
	v_cmp_ne_u16_e32 vcc, 0, v26
	v_mov_b32_e32 v24, 0
	v_mov_b32_e32 v25, 0
	s_and_saveexec_b64 s[2:3], vcc
	s_cbranch_execz .LBB887_441
; %bb.436:
	s_movk_i32 s7, 0x80
	v_cmp_ne_u16_e32 vcc, s7, v26
	v_mov_b32_e32 v25, 0xffff8000
	s_and_saveexec_b64 s[8:9], vcc
	s_cbranch_execz .LBB887_440
; %bb.437:
	v_bfe_u32 v26, v15, 16, 7
	s_movk_i32 s7, 0x7f
	v_cmp_ne_u32_e32 vcc, s7, v26
	v_mov_b32_e32 v25, 0x7f80
	s_and_saveexec_b64 s[10:11], vcc
	s_cbranch_execz .LBB887_439
; %bb.438:
	v_and_b32_e32 v25, 7, v14
	v_ffbh_u32_e32 v29, v25
	v_min_u32_e32 v29, 32, v29
	v_subrev_u32_e32 v30, 28, v29
	v_lshlrev_b64 v[30:31], v30, v[14:15]
	v_lshrrev_b32_e32 v27, 3, v26
	v_sub_u32_e32 v14, 29, v29
	v_and_b32_e32 v29, 7, v30
	v_cmp_gt_u32_e32 vcc, 8, v26
	v_mov_b32_e32 v26, 24
	v_cndmask_b32_e32 v14, v27, v14, vcc
	v_cndmask_b32_e32 v25, v25, v29, vcc
	v_lshlrev_b32_sdwa v26, v26, v15 dst_sel:DWORD dst_unused:UNUSED_PAD src0_sel:DWORD src1_sel:WORD_1
	v_bfrev_b32_e32 v27, 60
	v_lshlrev_b32_e32 v25, 20, v25
	v_and_b32_e32 v26, 0x80000000, v26
	v_lshl_add_u32 v14, v14, 23, v27
	v_or3_b32 v14, v26, v14, v25
	v_lshrrev_b32_e32 v25, 16, v14
.LBB887_439:
	s_or_b64 exec, exec, s[10:11]
.LBB887_440:
	s_or_b64 exec, exec, s[8:9]
.LBB887_441:
	s_or_b64 exec, exec, s[2:3]
	s_mov_b32 s2, 0xffffff
	v_cmp_lt_u32_e32 vcc, s2, v15
	s_and_saveexec_b64 s[2:3], vcc
	s_cbranch_execz .LBB887_447
; %bb.442:
	v_lshrrev_b32_e32 v14, 24, v15
	s_movk_i32 s7, 0x80
	v_cmp_ne_u32_e32 vcc, s7, v14
	v_mov_b32_e32 v24, 0xffff8000
	s_and_saveexec_b64 s[8:9], vcc
	s_cbranch_execz .LBB887_446
; %bb.443:
	v_bfe_u32 v15, v15, 24, 7
	s_movk_i32 s7, 0x7f
	v_cmp_ne_u32_e32 vcc, s7, v15
	v_mov_b32_e32 v24, 0x7f80
	s_and_saveexec_b64 s[10:11], vcc
	s_cbranch_execz .LBB887_445
; %bb.444:
	v_and_b32_e32 v24, 7, v14
	v_ffbh_u32_e32 v26, v24
	v_min_u32_e32 v30, 32, v26
	v_subrev_u32_e32 v26, 28, v30
	v_lshlrev_b64 v[26:27], v26, v[14:15]
	v_lshrrev_b32_e32 v29, 3, v15
	v_sub_u32_e32 v27, 29, v30
	v_and_b32_e32 v26, 7, v26
	v_cmp_gt_u32_e32 vcc, 8, v15
	v_cndmask_b32_e32 v15, v29, v27, vcc
	v_cndmask_b32_e32 v24, v24, v26, vcc
	v_lshlrev_b32_e32 v14, 24, v14
	v_bfrev_b32_e32 v26, 60
	v_lshlrev_b32_e32 v24, 20, v24
	v_and_b32_e32 v14, 0x80000000, v14
	v_lshl_add_u32 v15, v15, 23, v26
	v_or3_b32 v14, v14, v15, v24
	v_lshrrev_b32_e32 v24, 16, v14
.LBB887_445:
	s_or_b64 exec, exec, s[10:11]
.LBB887_446:
	s_or_b64 exec, exec, s[8:9]
.LBB887_447:
	s_or_b64 exec, exec, s[2:3]
	s_mov_b32 s2, 0x5040100
	v_perm_b32 v15, v21, v22, s2
	v_lshl_or_b32 v22, v1, 9, v48
	v_perm_b32 v14, v19, v20, s2
	ds_read_b128 v[30:33], v22
	v_perm_b32 v19, v24, v25, s2
	v_perm_b32 v18, v18, v23, s2
	s_waitcnt lgkmcnt(0)
	v_mfma_f32_16x16x16bf16_1k v[34:37], v[14:15], v[30:31], 0
	v_mov_b32_e32 v15, 0
	v_cmp_ne_u16_sdwa s[8:9], v16, v15 src0_sel:BYTE_0 src1_sel:DWORD
	v_mov_b32_e32 v23, 0
	v_mfma_f32_16x16x16bf16_1k v[18:21], v[18:19], v[32:33], v[34:37]
	s_and_saveexec_b64 s[2:3], s[8:9]
	s_cbranch_execz .LBB887_453
; %bb.448:
	s_movk_i32 s7, 0x80
	v_cmp_ne_u16_sdwa s[10:11], v16, s7 src0_sel:BYTE_0 src1_sel:DWORD
	v_mov_b32_e32 v23, 0xffff8000
	s_and_saveexec_b64 s[8:9], s[10:11]
	s_cbranch_execz .LBB887_452
; %bb.449:
	s_movk_i32 s7, 0x7f
	v_and_b32_e32 v14, 0x7f, v16
	v_cmp_ne_u32_e32 vcc, s7, v14
	v_mov_b32_e32 v23, 0x7f80
	s_and_saveexec_b64 s[10:11], vcc
	s_cbranch_execz .LBB887_451
; %bb.450:
	v_and_b32_e32 v23, 7, v16
	v_ffbh_u32_e32 v24, v23
	v_min_u32_e32 v27, 32, v24
	v_subrev_u32_e32 v24, 28, v27
	v_lshlrev_b64 v[24:25], v24, v[16:17]
	v_lshrrev_b32_e32 v26, 3, v14
	v_sub_u32_e32 v25, 29, v27
	v_and_b32_e32 v24, 7, v24
	v_cmp_gt_u32_e32 vcc, 8, v14
	v_cndmask_b32_e32 v14, v26, v25, vcc
	v_cndmask_b32_e32 v23, v23, v24, vcc
	v_lshlrev_b32_e32 v24, 24, v16
	v_bfrev_b32_e32 v25, 60
	v_lshlrev_b32_e32 v23, 20, v23
	v_and_b32_e32 v24, 0x80000000, v24
	v_lshl_add_u32 v14, v14, 23, v25
	v_or3_b32 v14, v24, v14, v23
	v_lshrrev_b32_e32 v23, 16, v14
.LBB887_451:
	s_or_b64 exec, exec, s[10:11]
.LBB887_452:
	s_or_b64 exec, exec, s[8:9]
.LBB887_453:
	s_or_b64 exec, exec, s[2:3]
	v_lshrrev_b16_e32 v14, 8, v16
	v_cmp_ne_u16_e32 vcc, 0, v14
	s_and_saveexec_b64 s[2:3], vcc
	s_cbranch_execz .LBB887_459
; %bb.454:
	s_movk_i32 s7, 0x80
	v_cmp_ne_u16_e32 vcc, s7, v14
	v_mov_b32_e32 v15, 0xffff8000
	s_and_saveexec_b64 s[8:9], vcc
	s_cbranch_execz .LBB887_458
; %bb.455:
	s_movk_i32 s7, 0x7f
	v_and_b32_e32 v24, 0x7f, v14
	v_cmp_ne_u32_e32 vcc, s7, v24
	v_mov_b32_e32 v15, 0x7f80
	s_and_saveexec_b64 s[10:11], vcc
	s_cbranch_execz .LBB887_457
; %bb.456:
	v_and_b32_e32 v25, 7, v14
	v_ffbh_u32_e32 v15, v25
	v_min_u32_e32 v27, 32, v15
	v_subrev_u32_e32 v15, 28, v27
	v_lshlrev_b64 v[14:15], v15, v[14:15]
	v_lshrrev_b32_e32 v26, 3, v24
	v_sub_u32_e32 v15, 29, v27
	v_and_b32_e32 v14, 7, v14
	v_cmp_gt_u32_e32 vcc, 8, v24
	v_cndmask_b32_e32 v15, v26, v15, vcc
	v_cndmask_b32_e32 v14, v25, v14, vcc
	v_lshlrev_b32_e32 v24, 16, v16
	v_bfrev_b32_e32 v25, 60
	v_lshlrev_b32_e32 v14, 20, v14
	v_and_b32_e32 v24, 0x80000000, v24
	v_lshl_add_u32 v15, v15, 23, v25
	v_or3_b32 v14, v24, v15, v14
	v_lshrrev_b32_e32 v15, 16, v14
.LBB887_457:
	s_or_b64 exec, exec, s[10:11]
.LBB887_458:
	s_or_b64 exec, exec, s[8:9]
.LBB887_459:
	s_or_b64 exec, exec, s[2:3]
	s_movk_i32 s2, 0xff
	v_and_b32_sdwa v26, v16, s2 dst_sel:DWORD dst_unused:UNUSED_PAD src0_sel:WORD_1 src1_sel:DWORD
	v_lshrrev_b32_e32 v14, 16, v16
	v_cmp_ne_u16_e32 vcc, 0, v26
	v_mov_b32_e32 v24, 0
	v_mov_b32_e32 v25, 0
	s_and_saveexec_b64 s[2:3], vcc
	s_cbranch_execz .LBB887_465
; %bb.460:
	s_movk_i32 s7, 0x80
	v_cmp_ne_u16_e32 vcc, s7, v26
	v_mov_b32_e32 v25, 0xffff8000
	s_and_saveexec_b64 s[8:9], vcc
	s_cbranch_execz .LBB887_464
; %bb.461:
	v_bfe_u32 v26, v16, 16, 7
	s_movk_i32 s7, 0x7f
	v_cmp_ne_u32_e32 vcc, s7, v26
	v_mov_b32_e32 v25, 0x7f80
	s_and_saveexec_b64 s[10:11], vcc
	s_cbranch_execz .LBB887_463
; %bb.462:
	v_and_b32_e32 v25, 7, v14
	v_ffbh_u32_e32 v29, v25
	v_min_u32_e32 v29, 32, v29
	v_subrev_u32_e32 v30, 28, v29
	v_lshlrev_b64 v[30:31], v30, v[14:15]
	v_lshrrev_b32_e32 v27, 3, v26
	v_sub_u32_e32 v14, 29, v29
	v_and_b32_e32 v29, 7, v30
	v_cmp_gt_u32_e32 vcc, 8, v26
	v_mov_b32_e32 v26, 24
	v_cndmask_b32_e32 v14, v27, v14, vcc
	v_cndmask_b32_e32 v25, v25, v29, vcc
	v_lshlrev_b32_sdwa v26, v26, v16 dst_sel:DWORD dst_unused:UNUSED_PAD src0_sel:DWORD src1_sel:WORD_1
	v_bfrev_b32_e32 v27, 60
	v_lshlrev_b32_e32 v25, 20, v25
	v_and_b32_e32 v26, 0x80000000, v26
	v_lshl_add_u32 v14, v14, 23, v27
	v_or3_b32 v14, v26, v14, v25
	v_lshrrev_b32_e32 v25, 16, v14
.LBB887_463:
	s_or_b64 exec, exec, s[10:11]
.LBB887_464:
	s_or_b64 exec, exec, s[8:9]
.LBB887_465:
	s_or_b64 exec, exec, s[2:3]
	s_mov_b32 s2, 0xffffff
	v_cmp_lt_u32_e32 vcc, s2, v16
	s_and_saveexec_b64 s[2:3], vcc
	s_cbranch_execz .LBB887_471
; %bb.466:
	v_lshrrev_b32_e32 v14, 24, v16
	s_movk_i32 s7, 0x80
	v_cmp_ne_u32_e32 vcc, s7, v14
	v_mov_b32_e32 v24, 0xffff8000
	s_and_saveexec_b64 s[8:9], vcc
	s_cbranch_execz .LBB887_470
; %bb.467:
	v_bfe_u32 v16, v16, 24, 7
	s_movk_i32 s7, 0x7f
	v_cmp_ne_u32_e32 vcc, s7, v16
	v_mov_b32_e32 v24, 0x7f80
	s_and_saveexec_b64 s[10:11], vcc
	s_cbranch_execz .LBB887_469
; %bb.468:
	v_and_b32_e32 v24, 7, v14
	v_ffbh_u32_e32 v26, v24
	v_min_u32_e32 v30, 32, v26
	v_subrev_u32_e32 v26, 28, v30
	v_lshlrev_b64 v[26:27], v26, v[14:15]
	v_lshrrev_b32_e32 v29, 3, v16
	v_sub_u32_e32 v27, 29, v30
	v_and_b32_e32 v26, 7, v26
	v_cmp_gt_u32_e32 vcc, 8, v16
	v_cndmask_b32_e32 v16, v29, v27, vcc
	v_cndmask_b32_e32 v24, v24, v26, vcc
	v_lshlrev_b32_e32 v14, 24, v14
	v_bfrev_b32_e32 v26, 60
	v_lshlrev_b32_e32 v24, 20, v24
	v_and_b32_e32 v14, 0x80000000, v14
	v_lshl_add_u32 v16, v16, 23, v26
	v_or3_b32 v14, v14, v16, v24
	v_lshrrev_b32_e32 v24, 16, v14
.LBB887_469:
	s_or_b64 exec, exec, s[10:11]
.LBB887_470:
	s_or_b64 exec, exec, s[8:9]
.LBB887_471:
	s_or_b64 exec, exec, s[2:3]
	v_mov_b32_e32 v16, 0
	v_cmp_ne_u16_sdwa s[8:9], v17, v16 src0_sel:BYTE_0 src1_sel:DWORD
	v_mov_b32_e32 v26, 0
	s_and_saveexec_b64 s[2:3], s[8:9]
	s_cbranch_execz .LBB887_477
; %bb.472:
	s_movk_i32 s7, 0x80
	v_cmp_ne_u16_sdwa s[10:11], v17, s7 src0_sel:BYTE_0 src1_sel:DWORD
	v_mov_b32_e32 v26, 0xffff8000
	s_and_saveexec_b64 s[8:9], s[10:11]
	s_cbranch_execz .LBB887_476
; %bb.473:
	s_movk_i32 s7, 0x7f
	v_and_b32_e32 v14, 0x7f, v17
	v_cmp_ne_u32_e32 vcc, s7, v14
	v_mov_b32_e32 v26, 0x7f80
	s_and_saveexec_b64 s[10:11], vcc
	s_cbranch_execz .LBB887_475
; %bb.474:
	v_and_b32_e32 v29, 7, v17
	v_ffbh_u32_e32 v27, v29
	v_min_u32_e32 v31, 32, v27
	v_mov_b32_e32 v26, v17
	v_subrev_u32_e32 v27, 28, v31
	v_lshlrev_b64 v[26:27], v27, v[26:27]
	v_lshrrev_b32_e32 v30, 3, v14
	v_sub_u32_e32 v27, 29, v31
	v_and_b32_e32 v26, 7, v26
	v_cmp_gt_u32_e32 vcc, 8, v14
	v_cndmask_b32_e32 v14, v30, v27, vcc
	v_cndmask_b32_e32 v26, v29, v26, vcc
	v_lshlrev_b32_e32 v27, 24, v17
	v_bfrev_b32_e32 v29, 60
	v_lshlrev_b32_e32 v26, 20, v26
	v_and_b32_e32 v27, 0x80000000, v27
	v_lshl_add_u32 v14, v14, 23, v29
	v_or3_b32 v14, v27, v14, v26
	v_lshrrev_b32_e32 v26, 16, v14
.LBB887_475:
	s_or_b64 exec, exec, s[10:11]
.LBB887_476:
	s_or_b64 exec, exec, s[8:9]
.LBB887_477:
	s_or_b64 exec, exec, s[2:3]
	v_lshrrev_b16_e32 v14, 8, v17
	v_cmp_ne_u16_e32 vcc, 0, v14
	s_and_saveexec_b64 s[2:3], vcc
	s_cbranch_execz .LBB887_483
; %bb.478:
	s_movk_i32 s7, 0x80
	v_cmp_ne_u16_e32 vcc, s7, v14
	v_mov_b32_e32 v16, 0xffff8000
	s_and_saveexec_b64 s[8:9], vcc
	s_cbranch_execz .LBB887_482
; %bb.479:
	s_movk_i32 s7, 0x7f
	v_and_b32_e32 v27, 0x7f, v14
	v_cmp_ne_u32_e32 vcc, s7, v27
	v_mov_b32_e32 v16, 0x7f80
	s_and_saveexec_b64 s[10:11], vcc
	s_cbranch_execz .LBB887_481
; %bb.480:
	v_and_b32_e32 v16, 7, v14
	v_ffbh_u32_e32 v30, v16
	v_min_u32_e32 v32, 32, v30
	v_subrev_u32_e32 v30, 28, v32
	v_lshlrev_b64 v[30:31], v30, v[14:15]
	v_lshrrev_b32_e32 v29, 3, v27
	v_sub_u32_e32 v14, 29, v32
	v_and_b32_e32 v30, 7, v30
	v_cmp_gt_u32_e32 vcc, 8, v27
	v_cndmask_b32_e32 v14, v29, v14, vcc
	v_cndmask_b32_e32 v16, v16, v30, vcc
	v_lshlrev_b32_e32 v27, 16, v17
	v_bfrev_b32_e32 v29, 60
	v_lshlrev_b32_e32 v16, 20, v16
	v_and_b32_e32 v27, 0x80000000, v27
	v_lshl_add_u32 v14, v14, 23, v29
	v_or3_b32 v14, v27, v14, v16
	v_lshrrev_b32_e32 v16, 16, v14
.LBB887_481:
	s_or_b64 exec, exec, s[10:11]
.LBB887_482:
	s_or_b64 exec, exec, s[8:9]
.LBB887_483:
	s_or_b64 exec, exec, s[2:3]
	s_movk_i32 s2, 0xff
	v_and_b32_sdwa v30, v17, s2 dst_sel:DWORD dst_unused:UNUSED_PAD src0_sel:WORD_1 src1_sel:DWORD
	v_lshrrev_b32_e32 v14, 16, v17
	v_cmp_ne_u16_e32 vcc, 0, v30
	v_mov_b32_e32 v27, 0
	v_mov_b32_e32 v29, 0
	s_and_saveexec_b64 s[2:3], vcc
	s_cbranch_execz .LBB887_489
; %bb.484:
	s_movk_i32 s7, 0x80
	v_cmp_ne_u16_e32 vcc, s7, v30
	v_mov_b32_e32 v29, 0xffff8000
	s_and_saveexec_b64 s[8:9], vcc
	s_cbranch_execz .LBB887_488
; %bb.485:
	v_bfe_u32 v30, v17, 16, 7
	s_movk_i32 s7, 0x7f
	v_cmp_ne_u32_e32 vcc, s7, v30
	v_mov_b32_e32 v29, 0x7f80
	s_and_saveexec_b64 s[10:11], vcc
	s_cbranch_execz .LBB887_487
; %bb.486:
	v_and_b32_e32 v29, 7, v14
	v_ffbh_u32_e32 v32, v29
	v_min_u32_e32 v34, 32, v32
	v_subrev_u32_e32 v32, 28, v34
	v_lshlrev_b64 v[32:33], v32, v[14:15]
	v_lshrrev_b32_e32 v31, 3, v30
	v_sub_u32_e32 v14, 29, v34
	v_and_b32_e32 v32, 7, v32
	v_cmp_gt_u32_e32 vcc, 8, v30
	v_mov_b32_e32 v30, 24
	v_cndmask_b32_e32 v14, v31, v14, vcc
	v_cndmask_b32_e32 v29, v29, v32, vcc
	v_lshlrev_b32_sdwa v30, v30, v17 dst_sel:DWORD dst_unused:UNUSED_PAD src0_sel:DWORD src1_sel:WORD_1
	v_bfrev_b32_e32 v31, 60
	v_lshlrev_b32_e32 v29, 20, v29
	v_and_b32_e32 v30, 0x80000000, v30
	v_lshl_add_u32 v14, v14, 23, v31
	v_or3_b32 v14, v30, v14, v29
	v_lshrrev_b32_e32 v29, 16, v14
.LBB887_487:
	s_or_b64 exec, exec, s[10:11]
.LBB887_488:
	s_or_b64 exec, exec, s[8:9]
.LBB887_489:
	s_or_b64 exec, exec, s[2:3]
	s_mov_b32 s2, 0xffffff
	v_cmp_lt_u32_e32 vcc, s2, v17
	s_and_saveexec_b64 s[2:3], vcc
	s_cbranch_execz .LBB887_495
; %bb.490:
	v_lshrrev_b32_e32 v14, 24, v17
	s_movk_i32 s7, 0x80
	v_cmp_ne_u32_e32 vcc, s7, v14
	v_mov_b32_e32 v27, 0xffff8000
	s_and_saveexec_b64 s[8:9], vcc
	s_cbranch_execz .LBB887_494
; %bb.491:
	v_bfe_u32 v17, v17, 24, 7
	s_movk_i32 s7, 0x7f
	v_cmp_ne_u32_e32 vcc, s7, v17
	v_mov_b32_e32 v27, 0x7f80
	s_and_saveexec_b64 s[10:11], vcc
	s_cbranch_execz .LBB887_493
; %bb.492:
	v_and_b32_e32 v27, 7, v14
	v_ffbh_u32_e32 v30, v27
	v_min_u32_e32 v33, 32, v30
	v_subrev_u32_e32 v30, 28, v33
	v_lshlrev_b64 v[30:31], v30, v[14:15]
	v_lshrrev_b32_e32 v32, 3, v17
	v_sub_u32_e32 v31, 29, v33
	v_and_b32_e32 v30, 7, v30
	v_cmp_gt_u32_e32 vcc, 8, v17
	v_cndmask_b32_e32 v17, v32, v31, vcc
	v_cndmask_b32_e32 v27, v27, v30, vcc
	v_lshlrev_b32_e32 v14, 24, v14
	v_bfrev_b32_e32 v30, 60
	v_lshlrev_b32_e32 v27, 20, v27
	v_and_b32_e32 v14, 0x80000000, v14
	v_lshl_add_u32 v17, v17, 23, v30
	v_or3_b32 v14, v14, v17, v27
	v_lshrrev_b32_e32 v27, 16, v14
.LBB887_493:
	s_or_b64 exec, exec, s[10:11]
.LBB887_494:
	s_or_b64 exec, exec, s[8:9]
.LBB887_495:
	s_or_b64 exec, exec, s[2:3]
	s_mov_b32 s2, 0x5040100
	v_perm_b32 v25, v24, v25, s2
	v_perm_b32 v24, v15, v23, s2
	ds_read_b128 v[30:33], v22 offset:16
	v_perm_b32 v15, v27, v29, s2
	v_perm_b32 v14, v16, v26, s2
	s_waitcnt lgkmcnt(0)
	v_mfma_f32_16x16x16bf16_1k v[34:37], v[24:25], v[30:31], v[18:21]
	s_nop 6
	v_mov_b32_e32 v19, 0
	s_waitcnt vmcnt(2)
	v_cmp_ne_u16_sdwa s[8:9], v10, v19 src0_sel:BYTE_0 src1_sel:DWORD
	v_mfma_f32_16x16x16bf16_1k v[14:17], v[14:15], v[32:33], v[34:37]
	v_mov_b32_e32 v20, 0
	s_and_saveexec_b64 s[2:3], s[8:9]
	s_cbranch_execz .LBB887_501
; %bb.496:
	s_movk_i32 s7, 0x80
	v_cmp_ne_u16_sdwa s[10:11], v10, s7 src0_sel:BYTE_0 src1_sel:DWORD
	v_mov_b32_e32 v20, 0xffff8000
	s_and_saveexec_b64 s[8:9], s[10:11]
	s_cbranch_execz .LBB887_500
; %bb.497:
	s_movk_i32 s7, 0x7f
	v_and_b32_e32 v18, 0x7f, v10
	v_cmp_ne_u32_e32 vcc, s7, v18
	v_mov_b32_e32 v20, 0x7f80
	s_and_saveexec_b64 s[10:11], vcc
	s_cbranch_execz .LBB887_499
; %bb.498:
	v_and_b32_e32 v23, 7, v10
	v_ffbh_u32_e32 v20, v23
	v_min_u32_e32 v25, 32, v20
	v_subrev_u32_e32 v20, 28, v25
	v_lshlrev_b64 v[20:21], v20, v[10:11]
	v_lshrrev_b32_e32 v24, 3, v18
	v_sub_u32_e32 v21, 29, v25
	v_and_b32_e32 v20, 7, v20
	v_cmp_gt_u32_e32 vcc, 8, v18
	v_cndmask_b32_e32 v18, v24, v21, vcc
	v_cndmask_b32_e32 v20, v23, v20, vcc
	v_lshlrev_b32_e32 v21, 24, v10
	v_bfrev_b32_e32 v23, 60
	v_lshlrev_b32_e32 v20, 20, v20
	v_and_b32_e32 v21, 0x80000000, v21
	v_lshl_add_u32 v18, v18, 23, v23
	v_or3_b32 v18, v21, v18, v20
	v_lshrrev_b32_e32 v20, 16, v18
.LBB887_499:
	s_or_b64 exec, exec, s[10:11]
.LBB887_500:
	s_or_b64 exec, exec, s[8:9]
.LBB887_501:
	s_or_b64 exec, exec, s[2:3]
	v_lshrrev_b16_e32 v18, 8, v10
	v_cmp_ne_u16_e32 vcc, 0, v18
	s_and_saveexec_b64 s[2:3], vcc
	s_cbranch_execz .LBB887_507
; %bb.502:
	s_movk_i32 s7, 0x80
	v_cmp_ne_u16_e32 vcc, s7, v18
	v_mov_b32_e32 v19, 0xffff8000
	s_and_saveexec_b64 s[8:9], vcc
	s_cbranch_execz .LBB887_506
; %bb.503:
	s_movk_i32 s7, 0x7f
	v_and_b32_e32 v21, 0x7f, v18
	v_cmp_ne_u32_e32 vcc, s7, v21
	v_mov_b32_e32 v19, 0x7f80
	s_and_saveexec_b64 s[10:11], vcc
	s_cbranch_execz .LBB887_505
; %bb.504:
	v_and_b32_e32 v23, 7, v18
	v_ffbh_u32_e32 v19, v23
	v_min_u32_e32 v25, 32, v19
	v_subrev_u32_e32 v19, 28, v25
	v_lshlrev_b64 v[18:19], v19, v[18:19]
	v_lshrrev_b32_e32 v24, 3, v21
	v_sub_u32_e32 v19, 29, v25
	v_and_b32_e32 v18, 7, v18
	v_cmp_gt_u32_e32 vcc, 8, v21
	v_cndmask_b32_e32 v19, v24, v19, vcc
	v_cndmask_b32_e32 v18, v23, v18, vcc
	v_lshlrev_b32_e32 v21, 16, v10
	v_bfrev_b32_e32 v23, 60
	v_lshlrev_b32_e32 v18, 20, v18
	v_and_b32_e32 v21, 0x80000000, v21
	v_lshl_add_u32 v19, v19, 23, v23
	v_or3_b32 v18, v21, v19, v18
	v_lshrrev_b32_e32 v19, 16, v18
.LBB887_505:
	s_or_b64 exec, exec, s[10:11]
.LBB887_506:
	s_or_b64 exec, exec, s[8:9]
.LBB887_507:
	s_or_b64 exec, exec, s[2:3]
	s_movk_i32 s2, 0xff
	v_and_b32_sdwa v24, v10, s2 dst_sel:DWORD dst_unused:UNUSED_PAD src0_sel:WORD_1 src1_sel:DWORD
	v_lshrrev_b32_e32 v18, 16, v10
	v_cmp_ne_u16_e32 vcc, 0, v24
	v_mov_b32_e32 v21, 0
	v_mov_b32_e32 v23, 0
	s_and_saveexec_b64 s[2:3], vcc
	s_cbranch_execz .LBB887_513
; %bb.508:
	s_movk_i32 s7, 0x80
	v_cmp_ne_u16_e32 vcc, s7, v24
	v_mov_b32_e32 v23, 0xffff8000
	s_and_saveexec_b64 s[8:9], vcc
	s_cbranch_execz .LBB887_512
; %bb.509:
	v_bfe_u32 v24, v10, 16, 7
	s_movk_i32 s7, 0x7f
	v_cmp_ne_u32_e32 vcc, s7, v24
	v_mov_b32_e32 v23, 0x7f80
	s_and_saveexec_b64 s[10:11], vcc
	s_cbranch_execz .LBB887_511
; %bb.510:
	v_and_b32_e32 v23, 7, v18
	v_ffbh_u32_e32 v26, v23
	v_min_u32_e32 v29, 32, v26
	v_subrev_u32_e32 v26, 28, v29
	v_lshlrev_b64 v[26:27], v26, v[18:19]
	v_lshrrev_b32_e32 v25, 3, v24
	v_sub_u32_e32 v18, 29, v29
	v_and_b32_e32 v26, 7, v26
	v_cmp_gt_u32_e32 vcc, 8, v24
	v_mov_b32_e32 v24, 24
	v_cndmask_b32_e32 v18, v25, v18, vcc
	v_cndmask_b32_e32 v23, v23, v26, vcc
	v_lshlrev_b32_sdwa v24, v24, v10 dst_sel:DWORD dst_unused:UNUSED_PAD src0_sel:DWORD src1_sel:WORD_1
	v_bfrev_b32_e32 v25, 60
	v_lshlrev_b32_e32 v23, 20, v23
	v_and_b32_e32 v24, 0x80000000, v24
	v_lshl_add_u32 v18, v18, 23, v25
	v_or3_b32 v18, v24, v18, v23
	v_lshrrev_b32_e32 v23, 16, v18
.LBB887_511:
	s_or_b64 exec, exec, s[10:11]
.LBB887_512:
	s_or_b64 exec, exec, s[8:9]
.LBB887_513:
	s_or_b64 exec, exec, s[2:3]
	s_mov_b32 s2, 0xffffff
	v_cmp_lt_u32_e32 vcc, s2, v10
	s_and_saveexec_b64 s[2:3], vcc
	s_cbranch_execz .LBB887_519
; %bb.514:
	v_lshrrev_b32_e32 v18, 24, v10
	s_movk_i32 s7, 0x80
	v_cmp_ne_u32_e32 vcc, s7, v18
	v_mov_b32_e32 v21, 0xffff8000
	s_and_saveexec_b64 s[8:9], vcc
	s_cbranch_execz .LBB887_518
; %bb.515:
	v_bfe_u32 v10, v10, 24, 7
	s_movk_i32 s7, 0x7f
	v_cmp_ne_u32_e32 vcc, s7, v10
	v_mov_b32_e32 v21, 0x7f80
	s_and_saveexec_b64 s[10:11], vcc
	s_cbranch_execz .LBB887_517
; %bb.516:
	v_and_b32_e32 v21, 7, v18
	v_ffbh_u32_e32 v24, v21
	v_min_u32_e32 v27, 32, v24
	v_subrev_u32_e32 v24, 28, v27
	v_lshlrev_b64 v[24:25], v24, v[18:19]
	v_lshrrev_b32_e32 v26, 3, v10
	v_sub_u32_e32 v25, 29, v27
	v_and_b32_e32 v24, 7, v24
	v_cmp_gt_u32_e32 vcc, 8, v10
	v_cndmask_b32_e32 v10, v26, v25, vcc
	v_cndmask_b32_e32 v21, v21, v24, vcc
	v_lshlrev_b32_e32 v18, 24, v18
	v_bfrev_b32_e32 v24, 60
	v_lshlrev_b32_e32 v21, 20, v21
	v_and_b32_e32 v18, 0x80000000, v18
	v_lshl_add_u32 v10, v10, 23, v24
	v_or3_b32 v10, v18, v10, v21
	v_lshrrev_b32_e32 v21, 16, v10
.LBB887_517:
	s_or_b64 exec, exec, s[10:11]
.LBB887_518:
	s_or_b64 exec, exec, s[8:9]
.LBB887_519:
	s_or_b64 exec, exec, s[2:3]
	v_mov_b32_e32 v18, 0
	v_cmp_ne_u16_sdwa s[8:9], v11, v18 src0_sel:BYTE_0 src1_sel:DWORD
	v_mov_b32_e32 v24, 0
	s_and_saveexec_b64 s[2:3], s[8:9]
	s_cbranch_execz .LBB887_525
; %bb.520:
	s_movk_i32 s7, 0x80
	v_cmp_ne_u16_sdwa s[10:11], v11, s7 src0_sel:BYTE_0 src1_sel:DWORD
	v_mov_b32_e32 v24, 0xffff8000
	s_and_saveexec_b64 s[8:9], s[10:11]
	s_cbranch_execz .LBB887_524
; %bb.521:
	s_movk_i32 s7, 0x7f
	v_and_b32_e32 v10, 0x7f, v11
	v_cmp_ne_u32_e32 vcc, s7, v10
	v_mov_b32_e32 v24, 0x7f80
	s_and_saveexec_b64 s[10:11], vcc
	s_cbranch_execz .LBB887_523
; %bb.522:
	v_and_b32_e32 v26, 7, v11
	v_ffbh_u32_e32 v25, v26
	v_min_u32_e32 v29, 32, v25
	v_mov_b32_e32 v24, v11
	v_subrev_u32_e32 v25, 28, v29
	v_lshlrev_b64 v[24:25], v25, v[24:25]
	v_lshrrev_b32_e32 v27, 3, v10
	v_sub_u32_e32 v25, 29, v29
	v_and_b32_e32 v24, 7, v24
	v_cmp_gt_u32_e32 vcc, 8, v10
	v_cndmask_b32_e32 v10, v27, v25, vcc
	v_cndmask_b32_e32 v24, v26, v24, vcc
	v_lshlrev_b32_e32 v25, 24, v11
	v_bfrev_b32_e32 v26, 60
	v_lshlrev_b32_e32 v24, 20, v24
	v_and_b32_e32 v25, 0x80000000, v25
	v_lshl_add_u32 v10, v10, 23, v26
	v_or3_b32 v10, v25, v10, v24
	v_lshrrev_b32_e32 v24, 16, v10
.LBB887_523:
	s_or_b64 exec, exec, s[10:11]
.LBB887_524:
	s_or_b64 exec, exec, s[8:9]
.LBB887_525:
	s_or_b64 exec, exec, s[2:3]
	v_lshrrev_b16_e32 v10, 8, v11
	v_cmp_ne_u16_e32 vcc, 0, v10
	s_and_saveexec_b64 s[2:3], vcc
	s_cbranch_execz .LBB887_531
; %bb.526:
	s_movk_i32 s7, 0x80
	v_cmp_ne_u16_e32 vcc, s7, v10
	v_mov_b32_e32 v18, 0xffff8000
	s_and_saveexec_b64 s[8:9], vcc
	s_cbranch_execz .LBB887_530
; %bb.527:
	s_movk_i32 s7, 0x7f
	v_and_b32_e32 v25, 0x7f, v10
	v_cmp_ne_u32_e32 vcc, s7, v25
	v_mov_b32_e32 v18, 0x7f80
	s_and_saveexec_b64 s[10:11], vcc
	s_cbranch_execz .LBB887_529
; %bb.528:
	v_and_b32_e32 v18, 7, v10
	v_ffbh_u32_e32 v26, v18
	v_min_u32_e32 v30, 32, v26
	v_subrev_u32_e32 v26, 28, v30
	v_lshlrev_b64 v[26:27], v26, v[10:11]
	v_lshrrev_b32_e32 v29, 3, v25
	v_sub_u32_e32 v10, 29, v30
	v_and_b32_e32 v26, 7, v26
	v_cmp_gt_u32_e32 vcc, 8, v25
	v_cndmask_b32_e32 v10, v29, v10, vcc
	v_cndmask_b32_e32 v18, v18, v26, vcc
	v_lshlrev_b32_e32 v25, 16, v11
	v_bfrev_b32_e32 v26, 60
	v_lshlrev_b32_e32 v18, 20, v18
	v_and_b32_e32 v25, 0x80000000, v25
	v_lshl_add_u32 v10, v10, 23, v26
	v_or3_b32 v10, v25, v10, v18
	v_lshrrev_b32_e32 v18, 16, v10
.LBB887_529:
	s_or_b64 exec, exec, s[10:11]
.LBB887_530:
	s_or_b64 exec, exec, s[8:9]
.LBB887_531:
	s_or_b64 exec, exec, s[2:3]
	s_movk_i32 s2, 0xff
	v_and_b32_sdwa v27, v11, s2 dst_sel:DWORD dst_unused:UNUSED_PAD src0_sel:WORD_1 src1_sel:DWORD
	v_lshrrev_b32_e32 v10, 16, v11
	v_cmp_ne_u16_e32 vcc, 0, v27
	v_mov_b32_e32 v25, 0
	v_mov_b32_e32 v26, 0
	s_and_saveexec_b64 s[2:3], vcc
	s_cbranch_execz .LBB887_537
; %bb.532:
	s_movk_i32 s7, 0x80
	v_cmp_ne_u16_e32 vcc, s7, v27
	v_mov_b32_e32 v26, 0xffff8000
	s_and_saveexec_b64 s[8:9], vcc
	s_cbranch_execz .LBB887_536
; %bb.533:
	v_bfe_u32 v27, v11, 16, 7
	s_movk_i32 s7, 0x7f
	v_cmp_ne_u32_e32 vcc, s7, v27
	v_mov_b32_e32 v26, 0x7f80
	s_and_saveexec_b64 s[10:11], vcc
	s_cbranch_execz .LBB887_535
; %bb.534:
	v_and_b32_e32 v26, 7, v10
	v_ffbh_u32_e32 v30, v26
	v_min_u32_e32 v32, 32, v30
	v_subrev_u32_e32 v30, 28, v32
	v_lshlrev_b64 v[30:31], v30, v[10:11]
	v_lshrrev_b32_e32 v29, 3, v27
	v_sub_u32_e32 v10, 29, v32
	v_and_b32_e32 v30, 7, v30
	v_cmp_gt_u32_e32 vcc, 8, v27
	v_mov_b32_e32 v27, 24
	v_cndmask_b32_e32 v10, v29, v10, vcc
	v_cndmask_b32_e32 v26, v26, v30, vcc
	v_lshlrev_b32_sdwa v27, v27, v11 dst_sel:DWORD dst_unused:UNUSED_PAD src0_sel:DWORD src1_sel:WORD_1
	v_bfrev_b32_e32 v29, 60
	v_lshlrev_b32_e32 v26, 20, v26
	v_and_b32_e32 v27, 0x80000000, v27
	v_lshl_add_u32 v10, v10, 23, v29
	v_or3_b32 v10, v27, v10, v26
	v_lshrrev_b32_e32 v26, 16, v10
.LBB887_535:
	s_or_b64 exec, exec, s[10:11]
.LBB887_536:
	s_or_b64 exec, exec, s[8:9]
.LBB887_537:
	s_or_b64 exec, exec, s[2:3]
	s_mov_b32 s2, 0xffffff
	v_cmp_lt_u32_e32 vcc, s2, v11
	s_and_saveexec_b64 s[2:3], vcc
	s_cbranch_execz .LBB887_543
; %bb.538:
	v_lshrrev_b32_e32 v10, 24, v11
	s_movk_i32 s7, 0x80
	v_cmp_ne_u32_e32 vcc, s7, v10
	v_mov_b32_e32 v25, 0xffff8000
	s_and_saveexec_b64 s[8:9], vcc
	s_cbranch_execz .LBB887_542
; %bb.539:
	v_bfe_u32 v11, v11, 24, 7
	s_movk_i32 s7, 0x7f
	v_cmp_ne_u32_e32 vcc, s7, v11
	v_mov_b32_e32 v25, 0x7f80
	s_and_saveexec_b64 s[10:11], vcc
	s_cbranch_execz .LBB887_541
; %bb.540:
	v_and_b32_e32 v25, 7, v10
	v_ffbh_u32_e32 v29, v25
	v_min_u32_e32 v29, 32, v29
	v_subrev_u32_e32 v30, 28, v29
	v_lshlrev_b64 v[30:31], v30, v[10:11]
	v_lshrrev_b32_e32 v27, 3, v11
	v_sub_u32_e32 v29, 29, v29
	v_and_b32_e32 v30, 7, v30
	v_cmp_gt_u32_e32 vcc, 8, v11
	v_cndmask_b32_e32 v11, v27, v29, vcc
	v_cndmask_b32_e32 v25, v25, v30, vcc
	v_lshlrev_b32_e32 v10, 24, v10
	v_bfrev_b32_e32 v27, 60
	v_lshlrev_b32_e32 v25, 20, v25
	v_and_b32_e32 v10, 0x80000000, v10
	v_lshl_add_u32 v11, v11, 23, v27
	v_or3_b32 v10, v10, v11, v25
	v_lshrrev_b32_e32 v25, 16, v10
.LBB887_541:
	s_or_b64 exec, exec, s[10:11]
.LBB887_542:
	s_or_b64 exec, exec, s[8:9]
.LBB887_543:
	s_or_b64 exec, exec, s[2:3]
	s_mov_b32 s2, 0x5040100
	v_perm_b32 v11, v21, v23, s2
	v_perm_b32 v10, v19, v20, s2
	ds_read_b128 v[30:33], v22 offset:2048
	v_perm_b32 v21, v25, v26, s2
	v_perm_b32 v20, v18, v24, s2
	s_waitcnt lgkmcnt(0)
	v_mfma_f32_16x16x16bf16_1k v[14:17], v[10:11], v[30:31], v[14:17]
	v_mov_b32_e32 v11, 0
	v_cmp_ne_u16_sdwa s[8:9], v12, v11 src0_sel:BYTE_0 src1_sel:DWORD
	v_mov_b32_e32 v18, 0
	v_mfma_f32_16x16x16bf16_1k v[14:17], v[20:21], v[32:33], v[14:17]
	s_and_saveexec_b64 s[2:3], s[8:9]
	s_cbranch_execz .LBB887_549
; %bb.544:
	s_movk_i32 s7, 0x80
	v_cmp_ne_u16_sdwa s[10:11], v12, s7 src0_sel:BYTE_0 src1_sel:DWORD
	v_mov_b32_e32 v18, 0xffff8000
	s_and_saveexec_b64 s[8:9], s[10:11]
	s_cbranch_execz .LBB887_548
; %bb.545:
	s_movk_i32 s7, 0x7f
	v_and_b32_e32 v10, 0x7f, v12
	v_cmp_ne_u32_e32 vcc, s7, v10
	v_mov_b32_e32 v18, 0x7f80
	s_and_saveexec_b64 s[10:11], vcc
	s_cbranch_execz .LBB887_547
; %bb.546:
	v_and_b32_e32 v20, 7, v12
	v_ffbh_u32_e32 v18, v20
	v_min_u32_e32 v23, 32, v18
	v_subrev_u32_e32 v18, 28, v23
	v_lshlrev_b64 v[18:19], v18, v[12:13]
	v_lshrrev_b32_e32 v21, 3, v10
	v_sub_u32_e32 v19, 29, v23
	v_and_b32_e32 v18, 7, v18
	v_cmp_gt_u32_e32 vcc, 8, v10
	v_cndmask_b32_e32 v10, v21, v19, vcc
	v_cndmask_b32_e32 v18, v20, v18, vcc
	v_lshlrev_b32_e32 v19, 24, v12
	v_bfrev_b32_e32 v20, 60
	v_lshlrev_b32_e32 v18, 20, v18
	v_and_b32_e32 v19, 0x80000000, v19
	v_lshl_add_u32 v10, v10, 23, v20
	v_or3_b32 v10, v19, v10, v18
	v_lshrrev_b32_e32 v18, 16, v10
.LBB887_547:
	s_or_b64 exec, exec, s[10:11]
.LBB887_548:
	s_or_b64 exec, exec, s[8:9]
.LBB887_549:
	s_or_b64 exec, exec, s[2:3]
	v_lshrrev_b16_e32 v10, 8, v12
	v_cmp_ne_u16_e32 vcc, 0, v10
	s_and_saveexec_b64 s[2:3], vcc
	s_cbranch_execz .LBB887_555
; %bb.550:
	s_movk_i32 s7, 0x80
	v_cmp_ne_u16_e32 vcc, s7, v10
	v_mov_b32_e32 v11, 0xffff8000
	s_and_saveexec_b64 s[8:9], vcc
	s_cbranch_execz .LBB887_554
; %bb.551:
	s_movk_i32 s7, 0x7f
	v_and_b32_e32 v19, 0x7f, v10
	v_cmp_ne_u32_e32 vcc, s7, v19
	v_mov_b32_e32 v11, 0x7f80
	s_and_saveexec_b64 s[10:11], vcc
	s_cbranch_execz .LBB887_553
; %bb.552:
	v_and_b32_e32 v20, 7, v10
	v_ffbh_u32_e32 v11, v20
	v_min_u32_e32 v23, 32, v11
	v_subrev_u32_e32 v11, 28, v23
	v_lshlrev_b64 v[10:11], v11, v[10:11]
	v_lshrrev_b32_e32 v21, 3, v19
	v_sub_u32_e32 v11, 29, v23
	v_and_b32_e32 v10, 7, v10
	v_cmp_gt_u32_e32 vcc, 8, v19
	v_cndmask_b32_e32 v11, v21, v11, vcc
	v_cndmask_b32_e32 v10, v20, v10, vcc
	v_lshlrev_b32_e32 v19, 16, v12
	v_bfrev_b32_e32 v20, 60
	v_lshlrev_b32_e32 v10, 20, v10
	v_and_b32_e32 v19, 0x80000000, v19
	v_lshl_add_u32 v11, v11, 23, v20
	v_or3_b32 v10, v19, v11, v10
	v_lshrrev_b32_e32 v11, 16, v10
.LBB887_553:
	s_or_b64 exec, exec, s[10:11]
.LBB887_554:
	s_or_b64 exec, exec, s[8:9]
.LBB887_555:
	s_or_b64 exec, exec, s[2:3]
	s_movk_i32 s2, 0xff
	v_and_b32_sdwa v21, v12, s2 dst_sel:DWORD dst_unused:UNUSED_PAD src0_sel:WORD_1 src1_sel:DWORD
	v_lshrrev_b32_e32 v10, 16, v12
	v_cmp_ne_u16_e32 vcc, 0, v21
	v_mov_b32_e32 v19, 0
	v_mov_b32_e32 v20, 0
	s_and_saveexec_b64 s[2:3], vcc
	s_cbranch_execz .LBB887_561
; %bb.556:
	s_movk_i32 s7, 0x80
	v_cmp_ne_u16_e32 vcc, s7, v21
	v_mov_b32_e32 v20, 0xffff8000
	s_and_saveexec_b64 s[8:9], vcc
	s_cbranch_execz .LBB887_560
; %bb.557:
	v_bfe_u32 v21, v12, 16, 7
	s_movk_i32 s7, 0x7f
	v_cmp_ne_u32_e32 vcc, s7, v21
	v_mov_b32_e32 v20, 0x7f80
	s_and_saveexec_b64 s[10:11], vcc
	s_cbranch_execz .LBB887_559
; %bb.558:
	v_and_b32_e32 v20, 7, v10
	v_ffbh_u32_e32 v24, v20
	v_min_u32_e32 v26, 32, v24
	v_subrev_u32_e32 v24, 28, v26
	v_lshlrev_b64 v[24:25], v24, v[10:11]
	v_lshrrev_b32_e32 v23, 3, v21
	v_sub_u32_e32 v10, 29, v26
	v_and_b32_e32 v24, 7, v24
	v_cmp_gt_u32_e32 vcc, 8, v21
	v_mov_b32_e32 v21, 24
	v_cndmask_b32_e32 v10, v23, v10, vcc
	v_cndmask_b32_e32 v20, v20, v24, vcc
	v_lshlrev_b32_sdwa v21, v21, v12 dst_sel:DWORD dst_unused:UNUSED_PAD src0_sel:DWORD src1_sel:WORD_1
	v_bfrev_b32_e32 v23, 60
	v_lshlrev_b32_e32 v20, 20, v20
	v_and_b32_e32 v21, 0x80000000, v21
	v_lshl_add_u32 v10, v10, 23, v23
	v_or3_b32 v10, v21, v10, v20
	v_lshrrev_b32_e32 v20, 16, v10
.LBB887_559:
	s_or_b64 exec, exec, s[10:11]
.LBB887_560:
	s_or_b64 exec, exec, s[8:9]
.LBB887_561:
	s_or_b64 exec, exec, s[2:3]
	s_mov_b32 s2, 0xffffff
	v_cmp_lt_u32_e32 vcc, s2, v12
	s_and_saveexec_b64 s[2:3], vcc
	s_cbranch_execz .LBB887_567
; %bb.562:
	v_lshrrev_b32_e32 v10, 24, v12
	s_movk_i32 s7, 0x80
	v_cmp_ne_u32_e32 vcc, s7, v10
	v_mov_b32_e32 v19, 0xffff8000
	s_and_saveexec_b64 s[8:9], vcc
	s_cbranch_execz .LBB887_566
; %bb.563:
	v_bfe_u32 v12, v12, 24, 7
	s_movk_i32 s7, 0x7f
	v_cmp_ne_u32_e32 vcc, s7, v12
	v_mov_b32_e32 v19, 0x7f80
	s_and_saveexec_b64 s[10:11], vcc
	s_cbranch_execz .LBB887_565
; %bb.564:
	v_and_b32_e32 v19, 7, v10
	v_ffbh_u32_e32 v23, v19
	v_min_u32_e32 v23, 32, v23
	v_subrev_u32_e32 v24, 28, v23
	v_lshlrev_b64 v[24:25], v24, v[10:11]
	v_lshrrev_b32_e32 v21, 3, v12
	v_sub_u32_e32 v23, 29, v23
	v_and_b32_e32 v24, 7, v24
	v_cmp_gt_u32_e32 vcc, 8, v12
	v_cndmask_b32_e32 v12, v21, v23, vcc
	v_cndmask_b32_e32 v19, v19, v24, vcc
	v_lshlrev_b32_e32 v10, 24, v10
	v_bfrev_b32_e32 v21, 60
	v_lshlrev_b32_e32 v19, 20, v19
	v_and_b32_e32 v10, 0x80000000, v10
	v_lshl_add_u32 v12, v12, 23, v21
	v_or3_b32 v10, v10, v12, v19
	v_lshrrev_b32_e32 v19, 16, v10
.LBB887_565:
	s_or_b64 exec, exec, s[10:11]
.LBB887_566:
	s_or_b64 exec, exec, s[8:9]
.LBB887_567:
	s_or_b64 exec, exec, s[2:3]
	v_mov_b32_e32 v12, 0
	v_cmp_ne_u16_sdwa s[8:9], v13, v12 src0_sel:BYTE_0 src1_sel:DWORD
	v_mov_b32_e32 v21, 0
	s_and_saveexec_b64 s[2:3], s[8:9]
	s_cbranch_execz .LBB887_573
; %bb.568:
	s_movk_i32 s7, 0x80
	v_cmp_ne_u16_sdwa s[10:11], v13, s7 src0_sel:BYTE_0 src1_sel:DWORD
	v_mov_b32_e32 v21, 0xffff8000
	s_and_saveexec_b64 s[8:9], s[10:11]
	s_cbranch_execz .LBB887_572
; %bb.569:
	s_movk_i32 s7, 0x7f
	v_and_b32_e32 v10, 0x7f, v13
	v_cmp_ne_u32_e32 vcc, s7, v10
	v_mov_b32_e32 v21, 0x7f80
	s_and_saveexec_b64 s[10:11], vcc
	s_cbranch_execz .LBB887_571
; %bb.570:
	v_and_b32_e32 v21, 7, v13
	v_ffbh_u32_e32 v25, v21
	v_min_u32_e32 v26, 32, v25
	v_mov_b32_e32 v24, v13
	v_subrev_u32_e32 v25, 28, v26
	v_lshlrev_b64 v[24:25], v25, v[24:25]
	v_lshrrev_b32_e32 v23, 3, v10
	v_sub_u32_e32 v25, 29, v26
	v_and_b32_e32 v24, 7, v24
	v_cmp_gt_u32_e32 vcc, 8, v10
	v_cndmask_b32_e32 v10, v23, v25, vcc
	v_cndmask_b32_e32 v21, v21, v24, vcc
	v_lshlrev_b32_e32 v23, 24, v13
	v_bfrev_b32_e32 v24, 60
	v_lshlrev_b32_e32 v21, 20, v21
	v_and_b32_e32 v23, 0x80000000, v23
	v_lshl_add_u32 v10, v10, 23, v24
	v_or3_b32 v10, v23, v10, v21
	v_lshrrev_b32_e32 v21, 16, v10
.LBB887_571:
	s_or_b64 exec, exec, s[10:11]
.LBB887_572:
	s_or_b64 exec, exec, s[8:9]
.LBB887_573:
	s_or_b64 exec, exec, s[2:3]
	v_lshrrev_b16_e32 v10, 8, v13
	v_cmp_ne_u16_e32 vcc, 0, v10
	s_and_saveexec_b64 s[2:3], vcc
	s_cbranch_execz .LBB887_579
; %bb.574:
	s_movk_i32 s7, 0x80
	v_cmp_ne_u16_e32 vcc, s7, v10
	v_mov_b32_e32 v12, 0xffff8000
	s_and_saveexec_b64 s[8:9], vcc
	s_cbranch_execz .LBB887_578
; %bb.575:
	s_movk_i32 s7, 0x7f
	v_and_b32_e32 v23, 0x7f, v10
	v_cmp_ne_u32_e32 vcc, s7, v23
	v_mov_b32_e32 v12, 0x7f80
	s_and_saveexec_b64 s[10:11], vcc
	s_cbranch_execz .LBB887_577
; %bb.576:
	v_and_b32_e32 v12, 7, v10
	v_ffbh_u32_e32 v24, v12
	v_min_u32_e32 v27, 32, v24
	v_subrev_u32_e32 v24, 28, v27
	v_lshlrev_b64 v[24:25], v24, v[10:11]
	v_lshrrev_b32_e32 v26, 3, v23
	v_sub_u32_e32 v10, 29, v27
	v_and_b32_e32 v24, 7, v24
	v_cmp_gt_u32_e32 vcc, 8, v23
	v_cndmask_b32_e32 v10, v26, v10, vcc
	v_cndmask_b32_e32 v12, v12, v24, vcc
	v_lshlrev_b32_e32 v23, 16, v13
	v_bfrev_b32_e32 v24, 60
	v_lshlrev_b32_e32 v12, 20, v12
	v_and_b32_e32 v23, 0x80000000, v23
	v_lshl_add_u32 v10, v10, 23, v24
	v_or3_b32 v10, v23, v10, v12
	v_lshrrev_b32_e32 v12, 16, v10
.LBB887_577:
	s_or_b64 exec, exec, s[10:11]
.LBB887_578:
	s_or_b64 exec, exec, s[8:9]
.LBB887_579:
	s_or_b64 exec, exec, s[2:3]
	s_movk_i32 s2, 0xff
	v_and_b32_sdwa v25, v13, s2 dst_sel:DWORD dst_unused:UNUSED_PAD src0_sel:WORD_1 src1_sel:DWORD
	v_lshrrev_b32_e32 v10, 16, v13
	v_cmp_ne_u16_e32 vcc, 0, v25
	v_mov_b32_e32 v23, 0
	v_mov_b32_e32 v24, 0
	s_and_saveexec_b64 s[2:3], vcc
	s_cbranch_execz .LBB887_585
; %bb.580:
	s_movk_i32 s7, 0x80
	v_cmp_ne_u16_e32 vcc, s7, v25
	v_mov_b32_e32 v24, 0xffff8000
	s_and_saveexec_b64 s[8:9], vcc
	s_cbranch_execz .LBB887_584
; %bb.581:
	v_bfe_u32 v25, v13, 16, 7
	s_movk_i32 s7, 0x7f
	v_cmp_ne_u32_e32 vcc, s7, v25
	v_mov_b32_e32 v24, 0x7f80
	s_and_saveexec_b64 s[10:11], vcc
	s_cbranch_execz .LBB887_583
; %bb.582:
	v_and_b32_e32 v24, 7, v10
	v_ffbh_u32_e32 v26, v24
	v_min_u32_e32 v30, 32, v26
	v_subrev_u32_e32 v26, 28, v30
	v_lshlrev_b64 v[26:27], v26, v[10:11]
	v_lshrrev_b32_e32 v29, 3, v25
	v_sub_u32_e32 v10, 29, v30
	v_and_b32_e32 v26, 7, v26
	v_cmp_gt_u32_e32 vcc, 8, v25
	v_mov_b32_e32 v25, 24
	v_cndmask_b32_e32 v10, v29, v10, vcc
	v_cndmask_b32_e32 v24, v24, v26, vcc
	v_lshlrev_b32_sdwa v25, v25, v13 dst_sel:DWORD dst_unused:UNUSED_PAD src0_sel:DWORD src1_sel:WORD_1
	v_bfrev_b32_e32 v26, 60
	v_lshlrev_b32_e32 v24, 20, v24
	v_and_b32_e32 v25, 0x80000000, v25
	v_lshl_add_u32 v10, v10, 23, v26
	v_or3_b32 v10, v25, v10, v24
	v_lshrrev_b32_e32 v24, 16, v10
.LBB887_583:
	s_or_b64 exec, exec, s[10:11]
.LBB887_584:
	s_or_b64 exec, exec, s[8:9]
.LBB887_585:
	s_or_b64 exec, exec, s[2:3]
	s_mov_b32 s2, 0xffffff
	v_cmp_lt_u32_e32 vcc, s2, v13
	s_and_saveexec_b64 s[2:3], vcc
	s_cbranch_execz .LBB887_591
; %bb.586:
	v_lshrrev_b32_e32 v10, 24, v13
	s_movk_i32 s7, 0x80
	v_cmp_ne_u32_e32 vcc, s7, v10
	v_mov_b32_e32 v23, 0xffff8000
	s_and_saveexec_b64 s[8:9], vcc
	s_cbranch_execz .LBB887_590
; %bb.587:
	v_bfe_u32 v13, v13, 24, 7
	s_movk_i32 s7, 0x7f
	v_cmp_ne_u32_e32 vcc, s7, v13
	v_mov_b32_e32 v23, 0x7f80
	s_and_saveexec_b64 s[10:11], vcc
	s_cbranch_execz .LBB887_589
; %bb.588:
	v_and_b32_e32 v23, 7, v10
	v_ffbh_u32_e32 v26, v23
	v_min_u32_e32 v29, 32, v26
	v_subrev_u32_e32 v26, 28, v29
	v_lshlrev_b64 v[26:27], v26, v[10:11]
	v_lshrrev_b32_e32 v25, 3, v13
	v_sub_u32_e32 v27, 29, v29
	v_and_b32_e32 v26, 7, v26
	v_cmp_gt_u32_e32 vcc, 8, v13
	v_cndmask_b32_e32 v13, v25, v27, vcc
	v_cndmask_b32_e32 v23, v23, v26, vcc
	v_lshlrev_b32_e32 v10, 24, v10
	v_bfrev_b32_e32 v25, 60
	v_lshlrev_b32_e32 v23, 20, v23
	v_and_b32_e32 v10, 0x80000000, v10
	v_lshl_add_u32 v13, v13, 23, v25
	v_or3_b32 v10, v10, v13, v23
	v_lshrrev_b32_e32 v23, 16, v10
.LBB887_589:
	s_or_b64 exec, exec, s[10:11]
.LBB887_590:
	s_or_b64 exec, exec, s[8:9]
.LBB887_591:
	s_or_b64 exec, exec, s[2:3]
	s_mov_b32 s2, 0x5040100
	v_perm_b32 v19, v19, v20, s2
	v_perm_b32 v18, v11, v18, s2
	ds_read_b128 v[30:33], v22 offset:2064
	v_perm_b32 v11, v23, v24, s2
	v_perm_b32 v10, v12, v21, s2
	s_waitcnt lgkmcnt(0)
	v_mfma_f32_16x16x16bf16_1k v[34:37], v[18:19], v[30:31], v[14:17]
	s_nop 6
	v_mov_b32_e32 v15, 0
	s_waitcnt vmcnt(1)
	v_cmp_ne_u16_sdwa s[8:9], v6, v15 src0_sel:BYTE_0 src1_sel:DWORD
	v_mfma_f32_16x16x16bf16_1k v[10:13], v[10:11], v[32:33], v[34:37]
	v_mov_b32_e32 v16, 0
	s_and_saveexec_b64 s[2:3], s[8:9]
	s_cbranch_execz .LBB887_597
; %bb.592:
	s_movk_i32 s7, 0x80
	v_cmp_ne_u16_sdwa s[10:11], v6, s7 src0_sel:BYTE_0 src1_sel:DWORD
	v_mov_b32_e32 v16, 0xffff8000
	s_and_saveexec_b64 s[8:9], s[10:11]
	s_cbranch_execz .LBB887_596
; %bb.593:
	s_movk_i32 s7, 0x7f
	v_and_b32_e32 v14, 0x7f, v6
	v_cmp_ne_u32_e32 vcc, s7, v14
	v_mov_b32_e32 v16, 0x7f80
	s_and_saveexec_b64 s[10:11], vcc
	s_cbranch_execz .LBB887_595
; %bb.594:
	v_and_b32_e32 v18, 7, v6
	v_ffbh_u32_e32 v16, v18
	v_min_u32_e32 v20, 32, v16
	v_subrev_u32_e32 v16, 28, v20
	v_lshlrev_b64 v[16:17], v16, v[6:7]
	v_lshrrev_b32_e32 v19, 3, v14
	v_sub_u32_e32 v17, 29, v20
	v_and_b32_e32 v16, 7, v16
	v_cmp_gt_u32_e32 vcc, 8, v14
	v_cndmask_b32_e32 v14, v19, v17, vcc
	v_cndmask_b32_e32 v16, v18, v16, vcc
	v_lshlrev_b32_e32 v17, 24, v6
	v_bfrev_b32_e32 v18, 60
	v_lshlrev_b32_e32 v16, 20, v16
	v_and_b32_e32 v17, 0x80000000, v17
	v_lshl_add_u32 v14, v14, 23, v18
	v_or3_b32 v14, v17, v14, v16
	v_lshrrev_b32_e32 v16, 16, v14
.LBB887_595:
	s_or_b64 exec, exec, s[10:11]
.LBB887_596:
	s_or_b64 exec, exec, s[8:9]
.LBB887_597:
	s_or_b64 exec, exec, s[2:3]
	v_lshrrev_b16_e32 v14, 8, v6
	v_cmp_ne_u16_e32 vcc, 0, v14
	s_and_saveexec_b64 s[2:3], vcc
	s_cbranch_execz .LBB887_603
; %bb.598:
	s_movk_i32 s7, 0x80
	v_cmp_ne_u16_e32 vcc, s7, v14
	v_mov_b32_e32 v15, 0xffff8000
	s_and_saveexec_b64 s[8:9], vcc
	s_cbranch_execz .LBB887_602
; %bb.599:
	s_movk_i32 s7, 0x7f
	v_and_b32_e32 v17, 0x7f, v14
	v_cmp_ne_u32_e32 vcc, s7, v17
	v_mov_b32_e32 v15, 0x7f80
	s_and_saveexec_b64 s[10:11], vcc
	s_cbranch_execz .LBB887_601
; %bb.600:
	v_and_b32_e32 v18, 7, v14
	v_ffbh_u32_e32 v15, v18
	v_min_u32_e32 v20, 32, v15
	v_subrev_u32_e32 v15, 28, v20
	v_lshlrev_b64 v[14:15], v15, v[14:15]
	v_lshrrev_b32_e32 v19, 3, v17
	v_sub_u32_e32 v15, 29, v20
	v_and_b32_e32 v14, 7, v14
	v_cmp_gt_u32_e32 vcc, 8, v17
	v_cndmask_b32_e32 v15, v19, v15, vcc
	v_cndmask_b32_e32 v14, v18, v14, vcc
	v_lshlrev_b32_e32 v17, 16, v6
	v_bfrev_b32_e32 v18, 60
	v_lshlrev_b32_e32 v14, 20, v14
	v_and_b32_e32 v17, 0x80000000, v17
	v_lshl_add_u32 v15, v15, 23, v18
	v_or3_b32 v14, v17, v15, v14
	v_lshrrev_b32_e32 v15, 16, v14
.LBB887_601:
	s_or_b64 exec, exec, s[10:11]
.LBB887_602:
	s_or_b64 exec, exec, s[8:9]
.LBB887_603:
	s_or_b64 exec, exec, s[2:3]
	s_movk_i32 s2, 0xff
	v_and_b32_sdwa v19, v6, s2 dst_sel:DWORD dst_unused:UNUSED_PAD src0_sel:WORD_1 src1_sel:DWORD
	v_lshrrev_b32_e32 v14, 16, v6
	v_cmp_ne_u16_e32 vcc, 0, v19
	v_mov_b32_e32 v17, 0
	v_mov_b32_e32 v18, 0
	s_and_saveexec_b64 s[2:3], vcc
	s_cbranch_execz .LBB887_609
; %bb.604:
	s_movk_i32 s7, 0x80
	v_cmp_ne_u16_e32 vcc, s7, v19
	v_mov_b32_e32 v18, 0xffff8000
	s_and_saveexec_b64 s[8:9], vcc
	s_cbranch_execz .LBB887_608
; %bb.605:
	v_bfe_u32 v19, v6, 16, 7
	s_movk_i32 s7, 0x7f
	v_cmp_ne_u32_e32 vcc, s7, v19
	v_mov_b32_e32 v18, 0x7f80
	s_and_saveexec_b64 s[10:11], vcc
	s_cbranch_execz .LBB887_607
; %bb.606:
	v_and_b32_e32 v18, 7, v14
	v_ffbh_u32_e32 v20, v18
	v_min_u32_e32 v24, 32, v20
	v_subrev_u32_e32 v20, 28, v24
	v_lshlrev_b64 v[20:21], v20, v[14:15]
	v_lshrrev_b32_e32 v23, 3, v19
	v_sub_u32_e32 v14, 29, v24
	v_and_b32_e32 v20, 7, v20
	v_cmp_gt_u32_e32 vcc, 8, v19
	v_mov_b32_e32 v19, 24
	v_cndmask_b32_e32 v14, v23, v14, vcc
	v_cndmask_b32_e32 v18, v18, v20, vcc
	v_lshlrev_b32_sdwa v19, v19, v6 dst_sel:DWORD dst_unused:UNUSED_PAD src0_sel:DWORD src1_sel:WORD_1
	v_bfrev_b32_e32 v20, 60
	v_lshlrev_b32_e32 v18, 20, v18
	v_and_b32_e32 v19, 0x80000000, v19
	v_lshl_add_u32 v14, v14, 23, v20
	v_or3_b32 v14, v19, v14, v18
	v_lshrrev_b32_e32 v18, 16, v14
.LBB887_607:
	s_or_b64 exec, exec, s[10:11]
.LBB887_608:
	s_or_b64 exec, exec, s[8:9]
.LBB887_609:
	s_or_b64 exec, exec, s[2:3]
	s_mov_b32 s2, 0xffffff
	v_cmp_lt_u32_e32 vcc, s2, v6
	s_and_saveexec_b64 s[2:3], vcc
	s_cbranch_execz .LBB887_615
; %bb.610:
	v_lshrrev_b32_e32 v14, 24, v6
	s_movk_i32 s7, 0x80
	v_cmp_ne_u32_e32 vcc, s7, v14
	v_mov_b32_e32 v17, 0xffff8000
	s_and_saveexec_b64 s[8:9], vcc
	s_cbranch_execz .LBB887_614
; %bb.611:
	v_bfe_u32 v6, v6, 24, 7
	s_movk_i32 s7, 0x7f
	v_cmp_ne_u32_e32 vcc, s7, v6
	v_mov_b32_e32 v17, 0x7f80
	s_and_saveexec_b64 s[10:11], vcc
	s_cbranch_execz .LBB887_613
; %bb.612:
	v_and_b32_e32 v17, 7, v14
	v_ffbh_u32_e32 v20, v17
	v_min_u32_e32 v23, 32, v20
	v_subrev_u32_e32 v20, 28, v23
	v_lshlrev_b64 v[20:21], v20, v[14:15]
	v_lshrrev_b32_e32 v19, 3, v6
	v_sub_u32_e32 v21, 29, v23
	v_and_b32_e32 v20, 7, v20
	v_cmp_gt_u32_e32 vcc, 8, v6
	v_cndmask_b32_e32 v6, v19, v21, vcc
	v_cndmask_b32_e32 v17, v17, v20, vcc
	v_lshlrev_b32_e32 v14, 24, v14
	v_bfrev_b32_e32 v19, 60
	v_lshlrev_b32_e32 v17, 20, v17
	v_and_b32_e32 v14, 0x80000000, v14
	v_lshl_add_u32 v6, v6, 23, v19
	v_or3_b32 v6, v14, v6, v17
	v_lshrrev_b32_e32 v17, 16, v6
.LBB887_613:
	s_or_b64 exec, exec, s[10:11]
.LBB887_614:
	s_or_b64 exec, exec, s[8:9]
.LBB887_615:
	s_or_b64 exec, exec, s[2:3]
	v_mov_b32_e32 v14, 0
	v_cmp_ne_u16_sdwa s[8:9], v7, v14 src0_sel:BYTE_0 src1_sel:DWORD
	v_mov_b32_e32 v19, 0
	s_and_saveexec_b64 s[2:3], s[8:9]
	s_cbranch_execz .LBB887_621
; %bb.616:
	s_movk_i32 s7, 0x80
	v_cmp_ne_u16_sdwa s[10:11], v7, s7 src0_sel:BYTE_0 src1_sel:DWORD
	v_mov_b32_e32 v19, 0xffff8000
	s_and_saveexec_b64 s[8:9], s[10:11]
	s_cbranch_execz .LBB887_620
; %bb.617:
	s_movk_i32 s7, 0x7f
	v_and_b32_e32 v6, 0x7f, v7
	v_cmp_ne_u32_e32 vcc, s7, v6
	v_mov_b32_e32 v19, 0x7f80
	s_and_saveexec_b64 s[10:11], vcc
	s_cbranch_execz .LBB887_619
; %bb.618:
	v_and_b32_e32 v19, 7, v7
	v_ffbh_u32_e32 v21, v19
	v_min_u32_e32 v24, 32, v21
	v_mov_b32_e32 v20, v7
	v_subrev_u32_e32 v21, 28, v24
	v_lshlrev_b64 v[20:21], v21, v[20:21]
	v_lshrrev_b32_e32 v23, 3, v6
	v_sub_u32_e32 v21, 29, v24
	v_and_b32_e32 v20, 7, v20
	v_cmp_gt_u32_e32 vcc, 8, v6
	v_cndmask_b32_e32 v6, v23, v21, vcc
	v_cndmask_b32_e32 v19, v19, v20, vcc
	v_lshlrev_b32_e32 v20, 24, v7
	v_bfrev_b32_e32 v21, 60
	v_lshlrev_b32_e32 v19, 20, v19
	v_and_b32_e32 v20, 0x80000000, v20
	v_lshl_add_u32 v6, v6, 23, v21
	v_or3_b32 v6, v20, v6, v19
	v_lshrrev_b32_e32 v19, 16, v6
.LBB887_619:
	s_or_b64 exec, exec, s[10:11]
.LBB887_620:
	s_or_b64 exec, exec, s[8:9]
.LBB887_621:
	s_or_b64 exec, exec, s[2:3]
	v_lshrrev_b16_e32 v6, 8, v7
	v_cmp_ne_u16_e32 vcc, 0, v6
	s_and_saveexec_b64 s[2:3], vcc
	s_cbranch_execz .LBB887_627
; %bb.622:
	s_movk_i32 s7, 0x80
	v_cmp_ne_u16_e32 vcc, s7, v6
	v_mov_b32_e32 v14, 0xffff8000
	s_and_saveexec_b64 s[8:9], vcc
	s_cbranch_execz .LBB887_626
; %bb.623:
	s_movk_i32 s7, 0x7f
	v_and_b32_e32 v20, 0x7f, v6
	v_cmp_ne_u32_e32 vcc, s7, v20
	v_mov_b32_e32 v14, 0x7f80
	s_and_saveexec_b64 s[10:11], vcc
	s_cbranch_execz .LBB887_625
; %bb.624:
	v_and_b32_e32 v14, 7, v6
	v_ffbh_u32_e32 v23, v14
	v_min_u32_e32 v23, 32, v23
	v_subrev_u32_e32 v24, 28, v23
	v_lshlrev_b64 v[24:25], v24, v[6:7]
	v_lshrrev_b32_e32 v21, 3, v20
	v_sub_u32_e32 v6, 29, v23
	v_and_b32_e32 v23, 7, v24
	v_cmp_gt_u32_e32 vcc, 8, v20
	v_cndmask_b32_e32 v6, v21, v6, vcc
	v_cndmask_b32_e32 v14, v14, v23, vcc
	v_lshlrev_b32_e32 v20, 16, v7
	v_bfrev_b32_e32 v21, 60
	v_lshlrev_b32_e32 v14, 20, v14
	v_and_b32_e32 v20, 0x80000000, v20
	v_lshl_add_u32 v6, v6, 23, v21
	v_or3_b32 v6, v20, v6, v14
	v_lshrrev_b32_e32 v14, 16, v6
.LBB887_625:
	s_or_b64 exec, exec, s[10:11]
.LBB887_626:
	s_or_b64 exec, exec, s[8:9]
.LBB887_627:
	s_or_b64 exec, exec, s[2:3]
	s_movk_i32 s2, 0xff
	v_and_b32_sdwa v23, v7, s2 dst_sel:DWORD dst_unused:UNUSED_PAD src0_sel:WORD_1 src1_sel:DWORD
	v_lshrrev_b32_e32 v6, 16, v7
	v_cmp_ne_u16_e32 vcc, 0, v23
	v_mov_b32_e32 v20, 0
	v_mov_b32_e32 v21, 0
	s_and_saveexec_b64 s[2:3], vcc
	s_cbranch_execz .LBB887_633
; %bb.628:
	s_movk_i32 s7, 0x80
	v_cmp_ne_u16_e32 vcc, s7, v23
	v_mov_b32_e32 v21, 0xffff8000
	s_and_saveexec_b64 s[8:9], vcc
	s_cbranch_execz .LBB887_632
; %bb.629:
	v_bfe_u32 v23, v7, 16, 7
	s_movk_i32 s7, 0x7f
	v_cmp_ne_u32_e32 vcc, s7, v23
	v_mov_b32_e32 v21, 0x7f80
	s_and_saveexec_b64 s[10:11], vcc
	s_cbranch_execz .LBB887_631
; %bb.630:
	v_and_b32_e32 v21, 7, v6
	v_ffbh_u32_e32 v24, v21
	v_min_u32_e32 v27, 32, v24
	v_subrev_u32_e32 v24, 28, v27
	v_lshlrev_b64 v[24:25], v24, v[6:7]
	v_lshrrev_b32_e32 v26, 3, v23
	v_sub_u32_e32 v6, 29, v27
	v_and_b32_e32 v24, 7, v24
	v_cmp_gt_u32_e32 vcc, 8, v23
	v_mov_b32_e32 v23, 24
	v_cndmask_b32_e32 v6, v26, v6, vcc
	v_cndmask_b32_e32 v21, v21, v24, vcc
	v_lshlrev_b32_sdwa v23, v23, v7 dst_sel:DWORD dst_unused:UNUSED_PAD src0_sel:DWORD src1_sel:WORD_1
	v_bfrev_b32_e32 v24, 60
	v_lshlrev_b32_e32 v21, 20, v21
	v_and_b32_e32 v23, 0x80000000, v23
	v_lshl_add_u32 v6, v6, 23, v24
	v_or3_b32 v6, v23, v6, v21
	v_lshrrev_b32_e32 v21, 16, v6
.LBB887_631:
	s_or_b64 exec, exec, s[10:11]
.LBB887_632:
	s_or_b64 exec, exec, s[8:9]
.LBB887_633:
	s_or_b64 exec, exec, s[2:3]
	s_mov_b32 s2, 0xffffff
	v_cmp_lt_u32_e32 vcc, s2, v7
	s_and_saveexec_b64 s[2:3], vcc
	s_cbranch_execz .LBB887_639
; %bb.634:
	v_lshrrev_b32_e32 v6, 24, v7
	s_movk_i32 s7, 0x80
	v_cmp_ne_u32_e32 vcc, s7, v6
	v_mov_b32_e32 v20, 0xffff8000
	s_and_saveexec_b64 s[8:9], vcc
	s_cbranch_execz .LBB887_638
; %bb.635:
	v_bfe_u32 v7, v7, 24, 7
	s_movk_i32 s7, 0x7f
	v_cmp_ne_u32_e32 vcc, s7, v7
	v_mov_b32_e32 v20, 0x7f80
	s_and_saveexec_b64 s[10:11], vcc
	s_cbranch_execz .LBB887_637
; %bb.636:
	v_and_b32_e32 v20, 7, v6
	v_ffbh_u32_e32 v24, v20
	v_min_u32_e32 v26, 32, v24
	v_subrev_u32_e32 v24, 28, v26
	v_lshlrev_b64 v[24:25], v24, v[6:7]
	v_lshrrev_b32_e32 v23, 3, v7
	v_sub_u32_e32 v25, 29, v26
	v_and_b32_e32 v24, 7, v24
	v_cmp_gt_u32_e32 vcc, 8, v7
	v_cndmask_b32_e32 v7, v23, v25, vcc
	v_cndmask_b32_e32 v20, v20, v24, vcc
	v_lshlrev_b32_e32 v6, 24, v6
	v_bfrev_b32_e32 v23, 60
	v_lshlrev_b32_e32 v20, 20, v20
	v_and_b32_e32 v6, 0x80000000, v6
	v_lshl_add_u32 v7, v7, 23, v23
	v_or3_b32 v6, v6, v7, v20
	v_lshrrev_b32_e32 v20, 16, v6
.LBB887_637:
	s_or_b64 exec, exec, s[10:11]
.LBB887_638:
	s_or_b64 exec, exec, s[8:9]
.LBB887_639:
	s_or_b64 exec, exec, s[2:3]
	s_mov_b32 s2, 0x5040100
	v_perm_b32 v7, v17, v18, s2
	v_perm_b32 v6, v15, v16, s2
	ds_read_b128 v[24:27], v22 offset:4096
	v_perm_b32 v17, v20, v21, s2
	v_perm_b32 v16, v14, v19, s2
	s_waitcnt lgkmcnt(0)
	v_mfma_f32_16x16x16bf16_1k v[10:13], v[6:7], v[24:25], v[10:13]
	v_mov_b32_e32 v7, 0
	v_cmp_ne_u16_sdwa s[8:9], v8, v7 src0_sel:BYTE_0 src1_sel:DWORD
	v_mov_b32_e32 v14, 0
	v_mfma_f32_16x16x16bf16_1k v[10:13], v[16:17], v[26:27], v[10:13]
	s_and_saveexec_b64 s[2:3], s[8:9]
	s_cbranch_execz .LBB887_645
; %bb.640:
	s_movk_i32 s7, 0x80
	v_cmp_ne_u16_sdwa s[10:11], v8, s7 src0_sel:BYTE_0 src1_sel:DWORD
	v_mov_b32_e32 v14, 0xffff8000
	s_and_saveexec_b64 s[8:9], s[10:11]
	s_cbranch_execz .LBB887_644
; %bb.641:
	s_movk_i32 s7, 0x7f
	v_and_b32_e32 v6, 0x7f, v8
	v_cmp_ne_u32_e32 vcc, s7, v6
	v_mov_b32_e32 v14, 0x7f80
	s_and_saveexec_b64 s[10:11], vcc
	s_cbranch_execz .LBB887_643
; %bb.642:
	v_and_b32_e32 v16, 7, v8
	v_ffbh_u32_e32 v14, v16
	v_min_u32_e32 v18, 32, v14
	v_subrev_u32_e32 v14, 28, v18
	v_lshlrev_b64 v[14:15], v14, v[8:9]
	v_lshrrev_b32_e32 v17, 3, v6
	v_sub_u32_e32 v15, 29, v18
	v_and_b32_e32 v14, 7, v14
	v_cmp_gt_u32_e32 vcc, 8, v6
	v_cndmask_b32_e32 v6, v17, v15, vcc
	v_cndmask_b32_e32 v14, v16, v14, vcc
	v_lshlrev_b32_e32 v15, 24, v8
	v_bfrev_b32_e32 v16, 60
	v_lshlrev_b32_e32 v14, 20, v14
	v_and_b32_e32 v15, 0x80000000, v15
	v_lshl_add_u32 v6, v6, 23, v16
	v_or3_b32 v6, v15, v6, v14
	v_lshrrev_b32_e32 v14, 16, v6
.LBB887_643:
	s_or_b64 exec, exec, s[10:11]
.LBB887_644:
	s_or_b64 exec, exec, s[8:9]
.LBB887_645:
	s_or_b64 exec, exec, s[2:3]
	v_lshrrev_b16_e32 v6, 8, v8
	v_cmp_ne_u16_e32 vcc, 0, v6
	s_and_saveexec_b64 s[2:3], vcc
	s_cbranch_execz .LBB887_651
; %bb.646:
	s_movk_i32 s7, 0x80
	v_cmp_ne_u16_e32 vcc, s7, v6
	v_mov_b32_e32 v7, 0xffff8000
	s_and_saveexec_b64 s[8:9], vcc
	s_cbranch_execz .LBB887_650
; %bb.647:
	s_movk_i32 s7, 0x7f
	v_and_b32_e32 v15, 0x7f, v6
	v_cmp_ne_u32_e32 vcc, s7, v15
	v_mov_b32_e32 v7, 0x7f80
	s_and_saveexec_b64 s[10:11], vcc
	s_cbranch_execz .LBB887_649
; %bb.648:
	v_and_b32_e32 v16, 7, v6
	v_ffbh_u32_e32 v7, v16
	v_min_u32_e32 v18, 32, v7
	v_subrev_u32_e32 v7, 28, v18
	v_lshlrev_b64 v[6:7], v7, v[6:7]
	v_lshrrev_b32_e32 v17, 3, v15
	v_sub_u32_e32 v7, 29, v18
	v_and_b32_e32 v6, 7, v6
	v_cmp_gt_u32_e32 vcc, 8, v15
	v_cndmask_b32_e32 v7, v17, v7, vcc
	v_cndmask_b32_e32 v6, v16, v6, vcc
	v_lshlrev_b32_e32 v15, 16, v8
	v_bfrev_b32_e32 v16, 60
	v_lshlrev_b32_e32 v6, 20, v6
	v_and_b32_e32 v15, 0x80000000, v15
	v_lshl_add_u32 v7, v7, 23, v16
	v_or3_b32 v6, v15, v7, v6
	v_lshrrev_b32_e32 v7, 16, v6
.LBB887_649:
	s_or_b64 exec, exec, s[10:11]
.LBB887_650:
	s_or_b64 exec, exec, s[8:9]
.LBB887_651:
	s_or_b64 exec, exec, s[2:3]
	s_movk_i32 s2, 0xff
	v_and_b32_sdwa v17, v8, s2 dst_sel:DWORD dst_unused:UNUSED_PAD src0_sel:WORD_1 src1_sel:DWORD
	v_lshrrev_b32_e32 v6, 16, v8
	v_cmp_ne_u16_e32 vcc, 0, v17
	v_mov_b32_e32 v15, 0
	v_mov_b32_e32 v16, 0
	s_and_saveexec_b64 s[2:3], vcc
	s_cbranch_execz .LBB887_657
; %bb.652:
	s_movk_i32 s7, 0x80
	v_cmp_ne_u16_e32 vcc, s7, v17
	v_mov_b32_e32 v16, 0xffff8000
	s_and_saveexec_b64 s[8:9], vcc
	s_cbranch_execz .LBB887_656
; %bb.653:
	v_bfe_u32 v17, v8, 16, 7
	s_movk_i32 s7, 0x7f
	v_cmp_ne_u32_e32 vcc, s7, v17
	v_mov_b32_e32 v16, 0x7f80
	s_and_saveexec_b64 s[10:11], vcc
	s_cbranch_execz .LBB887_655
; %bb.654:
	v_and_b32_e32 v16, 7, v6
	v_ffbh_u32_e32 v18, v16
	v_min_u32_e32 v21, 32, v18
	v_subrev_u32_e32 v18, 28, v21
	v_lshlrev_b64 v[18:19], v18, v[6:7]
	v_lshrrev_b32_e32 v20, 3, v17
	v_sub_u32_e32 v6, 29, v21
	v_and_b32_e32 v18, 7, v18
	v_cmp_gt_u32_e32 vcc, 8, v17
	v_mov_b32_e32 v17, 24
	v_cndmask_b32_e32 v6, v20, v6, vcc
	v_cndmask_b32_e32 v16, v16, v18, vcc
	v_lshlrev_b32_sdwa v17, v17, v8 dst_sel:DWORD dst_unused:UNUSED_PAD src0_sel:DWORD src1_sel:WORD_1
	v_bfrev_b32_e32 v18, 60
	v_lshlrev_b32_e32 v16, 20, v16
	v_and_b32_e32 v17, 0x80000000, v17
	v_lshl_add_u32 v6, v6, 23, v18
	v_or3_b32 v6, v17, v6, v16
	v_lshrrev_b32_e32 v16, 16, v6
.LBB887_655:
	s_or_b64 exec, exec, s[10:11]
.LBB887_656:
	s_or_b64 exec, exec, s[8:9]
.LBB887_657:
	s_or_b64 exec, exec, s[2:3]
	s_mov_b32 s2, 0xffffff
	v_cmp_lt_u32_e32 vcc, s2, v8
	s_and_saveexec_b64 s[2:3], vcc
	s_cbranch_execz .LBB887_663
; %bb.658:
	v_lshrrev_b32_e32 v6, 24, v8
	s_movk_i32 s7, 0x80
	v_cmp_ne_u32_e32 vcc, s7, v6
	v_mov_b32_e32 v15, 0xffff8000
	s_and_saveexec_b64 s[8:9], vcc
	s_cbranch_execz .LBB887_662
; %bb.659:
	v_bfe_u32 v8, v8, 24, 7
	s_movk_i32 s7, 0x7f
	v_cmp_ne_u32_e32 vcc, s7, v8
	v_mov_b32_e32 v15, 0x7f80
	s_and_saveexec_b64 s[10:11], vcc
	s_cbranch_execz .LBB887_661
; %bb.660:
	v_and_b32_e32 v15, 7, v6
	v_ffbh_u32_e32 v18, v15
	v_min_u32_e32 v20, 32, v18
	v_subrev_u32_e32 v18, 28, v20
	v_lshlrev_b64 v[18:19], v18, v[6:7]
	v_lshrrev_b32_e32 v17, 3, v8
	v_sub_u32_e32 v19, 29, v20
	v_and_b32_e32 v18, 7, v18
	v_cmp_gt_u32_e32 vcc, 8, v8
	v_cndmask_b32_e32 v8, v17, v19, vcc
	v_cndmask_b32_e32 v15, v15, v18, vcc
	v_lshlrev_b32_e32 v6, 24, v6
	v_bfrev_b32_e32 v17, 60
	v_lshlrev_b32_e32 v15, 20, v15
	v_and_b32_e32 v6, 0x80000000, v6
	v_lshl_add_u32 v8, v8, 23, v17
	v_or3_b32 v6, v6, v8, v15
	v_lshrrev_b32_e32 v15, 16, v6
.LBB887_661:
	s_or_b64 exec, exec, s[10:11]
.LBB887_662:
	s_or_b64 exec, exec, s[8:9]
.LBB887_663:
	s_or_b64 exec, exec, s[2:3]
	v_mov_b32_e32 v8, 0
	v_cmp_ne_u16_sdwa s[8:9], v9, v8 src0_sel:BYTE_0 src1_sel:DWORD
	v_mov_b32_e32 v17, 0
	s_and_saveexec_b64 s[2:3], s[8:9]
	s_cbranch_execz .LBB887_669
; %bb.664:
	s_movk_i32 s7, 0x80
	v_cmp_ne_u16_sdwa s[10:11], v9, s7 src0_sel:BYTE_0 src1_sel:DWORD
	v_mov_b32_e32 v17, 0xffff8000
	s_and_saveexec_b64 s[8:9], s[10:11]
	s_cbranch_execz .LBB887_668
; %bb.665:
	s_movk_i32 s7, 0x7f
	v_and_b32_e32 v6, 0x7f, v9
	v_cmp_ne_u32_e32 vcc, s7, v6
	v_mov_b32_e32 v17, 0x7f80
	s_and_saveexec_b64 s[10:11], vcc
	s_cbranch_execz .LBB887_667
; %bb.666:
	v_and_b32_e32 v17, 7, v9
	v_ffbh_u32_e32 v19, v17
	v_min_u32_e32 v21, 32, v19
	v_mov_b32_e32 v18, v9
	v_subrev_u32_e32 v19, 28, v21
	v_lshlrev_b64 v[18:19], v19, v[18:19]
	v_lshrrev_b32_e32 v20, 3, v6
	v_sub_u32_e32 v19, 29, v21
	v_and_b32_e32 v18, 7, v18
	v_cmp_gt_u32_e32 vcc, 8, v6
	v_cndmask_b32_e32 v6, v20, v19, vcc
	v_cndmask_b32_e32 v17, v17, v18, vcc
	v_lshlrev_b32_e32 v18, 24, v9
	v_bfrev_b32_e32 v19, 60
	v_lshlrev_b32_e32 v17, 20, v17
	v_and_b32_e32 v18, 0x80000000, v18
	v_lshl_add_u32 v6, v6, 23, v19
	v_or3_b32 v6, v18, v6, v17
	v_lshrrev_b32_e32 v17, 16, v6
.LBB887_667:
	s_or_b64 exec, exec, s[10:11]
.LBB887_668:
	s_or_b64 exec, exec, s[8:9]
.LBB887_669:
	s_or_b64 exec, exec, s[2:3]
	v_lshrrev_b16_e32 v6, 8, v9
	v_cmp_ne_u16_e32 vcc, 0, v6
	s_and_saveexec_b64 s[2:3], vcc
	s_cbranch_execz .LBB887_675
; %bb.670:
	s_movk_i32 s7, 0x80
	v_cmp_ne_u16_e32 vcc, s7, v6
	v_mov_b32_e32 v8, 0xffff8000
	s_and_saveexec_b64 s[8:9], vcc
	s_cbranch_execz .LBB887_674
; %bb.671:
	s_movk_i32 s7, 0x7f
	v_and_b32_e32 v18, 0x7f, v6
	v_cmp_ne_u32_e32 vcc, s7, v18
	v_mov_b32_e32 v8, 0x7f80
	s_and_saveexec_b64 s[10:11], vcc
	s_cbranch_execz .LBB887_673
; %bb.672:
	v_and_b32_e32 v8, 7, v6
	v_ffbh_u32_e32 v20, v8
	v_min_u32_e32 v23, 32, v20
	v_subrev_u32_e32 v20, 28, v23
	v_lshlrev_b64 v[20:21], v20, v[6:7]
	v_lshrrev_b32_e32 v19, 3, v18
	v_sub_u32_e32 v6, 29, v23
	v_and_b32_e32 v20, 7, v20
	v_cmp_gt_u32_e32 vcc, 8, v18
	v_cndmask_b32_e32 v6, v19, v6, vcc
	v_cndmask_b32_e32 v8, v8, v20, vcc
	v_lshlrev_b32_e32 v18, 16, v9
	v_bfrev_b32_e32 v19, 60
	v_lshlrev_b32_e32 v8, 20, v8
	v_and_b32_e32 v18, 0x80000000, v18
	v_lshl_add_u32 v6, v6, 23, v19
	v_or3_b32 v6, v18, v6, v8
	v_lshrrev_b32_e32 v8, 16, v6
.LBB887_673:
	s_or_b64 exec, exec, s[10:11]
.LBB887_674:
	s_or_b64 exec, exec, s[8:9]
.LBB887_675:
	s_or_b64 exec, exec, s[2:3]
	s_movk_i32 s2, 0xff
	v_and_b32_sdwa v20, v9, s2 dst_sel:DWORD dst_unused:UNUSED_PAD src0_sel:WORD_1 src1_sel:DWORD
	v_lshrrev_b32_e32 v6, 16, v9
	v_cmp_ne_u16_e32 vcc, 0, v20
	v_mov_b32_e32 v18, 0
	v_mov_b32_e32 v19, 0
	s_and_saveexec_b64 s[2:3], vcc
	s_cbranch_execz .LBB887_681
; %bb.676:
	s_movk_i32 s7, 0x80
	v_cmp_ne_u16_e32 vcc, s7, v20
	v_mov_b32_e32 v19, 0xffff8000
	s_and_saveexec_b64 s[8:9], vcc
	s_cbranch_execz .LBB887_680
; %bb.677:
	v_bfe_u32 v20, v9, 16, 7
	s_movk_i32 s7, 0x7f
	v_cmp_ne_u32_e32 vcc, s7, v20
	v_mov_b32_e32 v19, 0x7f80
	s_and_saveexec_b64 s[10:11], vcc
	s_cbranch_execz .LBB887_679
; %bb.678:
	v_and_b32_e32 v19, 7, v6
	v_ffbh_u32_e32 v23, v19
	v_min_u32_e32 v23, 32, v23
	v_subrev_u32_e32 v24, 28, v23
	v_lshlrev_b64 v[24:25], v24, v[6:7]
	v_lshrrev_b32_e32 v21, 3, v20
	v_sub_u32_e32 v6, 29, v23
	v_and_b32_e32 v23, 7, v24
	v_cmp_gt_u32_e32 vcc, 8, v20
	v_mov_b32_e32 v20, 24
	v_cndmask_b32_e32 v6, v21, v6, vcc
	v_cndmask_b32_e32 v19, v19, v23, vcc
	v_lshlrev_b32_sdwa v20, v20, v9 dst_sel:DWORD dst_unused:UNUSED_PAD src0_sel:DWORD src1_sel:WORD_1
	v_bfrev_b32_e32 v21, 60
	v_lshlrev_b32_e32 v19, 20, v19
	v_and_b32_e32 v20, 0x80000000, v20
	v_lshl_add_u32 v6, v6, 23, v21
	v_or3_b32 v6, v20, v6, v19
	v_lshrrev_b32_e32 v19, 16, v6
.LBB887_679:
	s_or_b64 exec, exec, s[10:11]
.LBB887_680:
	s_or_b64 exec, exec, s[8:9]
.LBB887_681:
	s_or_b64 exec, exec, s[2:3]
	s_mov_b32 s2, 0xffffff
	v_cmp_lt_u32_e32 vcc, s2, v9
	s_and_saveexec_b64 s[2:3], vcc
	s_cbranch_execz .LBB887_687
; %bb.682:
	v_lshrrev_b32_e32 v6, 24, v9
	s_movk_i32 s7, 0x80
	v_cmp_ne_u32_e32 vcc, s7, v6
	v_mov_b32_e32 v18, 0xffff8000
	s_and_saveexec_b64 s[8:9], vcc
	s_cbranch_execz .LBB887_686
; %bb.683:
	v_bfe_u32 v9, v9, 24, 7
	s_movk_i32 s7, 0x7f
	v_cmp_ne_u32_e32 vcc, s7, v9
	v_mov_b32_e32 v18, 0x7f80
	s_and_saveexec_b64 s[10:11], vcc
	s_cbranch_execz .LBB887_685
; %bb.684:
	v_and_b32_e32 v18, 7, v6
	v_ffbh_u32_e32 v20, v18
	v_min_u32_e32 v24, 32, v20
	v_subrev_u32_e32 v20, 28, v24
	v_lshlrev_b64 v[20:21], v20, v[6:7]
	v_lshrrev_b32_e32 v23, 3, v9
	v_sub_u32_e32 v21, 29, v24
	v_and_b32_e32 v20, 7, v20
	v_cmp_gt_u32_e32 vcc, 8, v9
	v_cndmask_b32_e32 v9, v23, v21, vcc
	v_cndmask_b32_e32 v18, v18, v20, vcc
	v_lshlrev_b32_e32 v6, 24, v6
	v_bfrev_b32_e32 v20, 60
	v_lshlrev_b32_e32 v18, 20, v18
	v_and_b32_e32 v6, 0x80000000, v6
	v_lshl_add_u32 v9, v9, 23, v20
	v_or3_b32 v6, v6, v9, v18
	v_lshrrev_b32_e32 v18, 16, v6
.LBB887_685:
	s_or_b64 exec, exec, s[10:11]
.LBB887_686:
	s_or_b64 exec, exec, s[8:9]
.LBB887_687:
	s_or_b64 exec, exec, s[2:3]
	s_mov_b32 s2, 0x5040100
	v_perm_b32 v15, v15, v16, s2
	v_perm_b32 v14, v7, v14, s2
	ds_read_b128 v[24:27], v22 offset:4112
	v_perm_b32 v7, v18, v19, s2
	v_perm_b32 v6, v8, v17, s2
	s_waitcnt lgkmcnt(0)
	v_mfma_f32_16x16x16bf16_1k v[30:33], v[14:15], v[24:25], v[10:13]
	s_nop 6
	v_mov_b32_e32 v11, 0
	s_waitcnt vmcnt(0)
	v_cmp_ne_u16_sdwa s[8:9], v2, v11 src0_sel:BYTE_0 src1_sel:DWORD
	v_mfma_f32_16x16x16bf16_1k v[6:9], v[6:7], v[26:27], v[30:33]
	v_mov_b32_e32 v12, 0
	s_and_saveexec_b64 s[2:3], s[8:9]
	s_cbranch_execz .LBB887_693
; %bb.688:
	s_movk_i32 s7, 0x80
	v_cmp_ne_u16_sdwa s[10:11], v2, s7 src0_sel:BYTE_0 src1_sel:DWORD
	v_mov_b32_e32 v12, 0xffff8000
	s_and_saveexec_b64 s[8:9], s[10:11]
	s_cbranch_execz .LBB887_692
; %bb.689:
	s_movk_i32 s7, 0x7f
	v_and_b32_e32 v10, 0x7f, v2
	v_cmp_ne_u32_e32 vcc, s7, v10
	v_mov_b32_e32 v12, 0x7f80
	s_and_saveexec_b64 s[10:11], vcc
	s_cbranch_execz .LBB887_691
; %bb.690:
	v_and_b32_e32 v14, 7, v2
	v_ffbh_u32_e32 v12, v14
	v_min_u32_e32 v16, 32, v12
	v_subrev_u32_e32 v12, 28, v16
	v_lshlrev_b64 v[12:13], v12, v[2:3]
	v_lshrrev_b32_e32 v15, 3, v10
	v_sub_u32_e32 v13, 29, v16
	v_and_b32_e32 v12, 7, v12
	v_cmp_gt_u32_e32 vcc, 8, v10
	v_cndmask_b32_e32 v10, v15, v13, vcc
	v_cndmask_b32_e32 v12, v14, v12, vcc
	v_lshlrev_b32_e32 v13, 24, v2
	v_bfrev_b32_e32 v14, 60
	v_lshlrev_b32_e32 v12, 20, v12
	v_and_b32_e32 v13, 0x80000000, v13
	v_lshl_add_u32 v10, v10, 23, v14
	v_or3_b32 v10, v13, v10, v12
	v_lshrrev_b32_e32 v12, 16, v10
.LBB887_691:
	s_or_b64 exec, exec, s[10:11]
.LBB887_692:
	s_or_b64 exec, exec, s[8:9]
.LBB887_693:
	s_or_b64 exec, exec, s[2:3]
	v_lshrrev_b16_e32 v10, 8, v2
	v_cmp_ne_u16_e32 vcc, 0, v10
	s_and_saveexec_b64 s[2:3], vcc
	s_cbranch_execz .LBB887_699
; %bb.694:
	s_movk_i32 s7, 0x80
	v_cmp_ne_u16_e32 vcc, s7, v10
	v_mov_b32_e32 v11, 0xffff8000
	s_and_saveexec_b64 s[8:9], vcc
	s_cbranch_execz .LBB887_698
; %bb.695:
	s_movk_i32 s7, 0x7f
	v_and_b32_e32 v13, 0x7f, v10
	v_cmp_ne_u32_e32 vcc, s7, v13
	v_mov_b32_e32 v11, 0x7f80
	s_and_saveexec_b64 s[10:11], vcc
	s_cbranch_execz .LBB887_697
; %bb.696:
	v_and_b32_e32 v14, 7, v10
	v_ffbh_u32_e32 v11, v14
	v_min_u32_e32 v16, 32, v11
	v_subrev_u32_e32 v11, 28, v16
	v_lshlrev_b64 v[10:11], v11, v[10:11]
	v_lshrrev_b32_e32 v15, 3, v13
	v_sub_u32_e32 v11, 29, v16
	v_and_b32_e32 v10, 7, v10
	v_cmp_gt_u32_e32 vcc, 8, v13
	v_cndmask_b32_e32 v11, v15, v11, vcc
	v_cndmask_b32_e32 v10, v14, v10, vcc
	v_lshlrev_b32_e32 v13, 16, v2
	v_bfrev_b32_e32 v14, 60
	v_lshlrev_b32_e32 v10, 20, v10
	v_and_b32_e32 v13, 0x80000000, v13
	v_lshl_add_u32 v11, v11, 23, v14
	v_or3_b32 v10, v13, v11, v10
	v_lshrrev_b32_e32 v11, 16, v10
.LBB887_697:
	s_or_b64 exec, exec, s[10:11]
.LBB887_698:
	s_or_b64 exec, exec, s[8:9]
.LBB887_699:
	s_or_b64 exec, exec, s[2:3]
	s_movk_i32 s2, 0xff
	v_and_b32_sdwa v15, v2, s2 dst_sel:DWORD dst_unused:UNUSED_PAD src0_sel:WORD_1 src1_sel:DWORD
	v_lshrrev_b32_e32 v10, 16, v2
	v_cmp_ne_u16_e32 vcc, 0, v15
	v_mov_b32_e32 v13, 0
	v_mov_b32_e32 v14, 0
	s_and_saveexec_b64 s[2:3], vcc
	s_cbranch_execz .LBB887_705
; %bb.700:
	s_movk_i32 s7, 0x80
	v_cmp_ne_u16_e32 vcc, s7, v15
	v_mov_b32_e32 v14, 0xffff8000
	s_and_saveexec_b64 s[8:9], vcc
	s_cbranch_execz .LBB887_704
; %bb.701:
	v_bfe_u32 v15, v2, 16, 7
	s_movk_i32 s7, 0x7f
	v_cmp_ne_u32_e32 vcc, s7, v15
	v_mov_b32_e32 v14, 0x7f80
	s_and_saveexec_b64 s[10:11], vcc
	s_cbranch_execz .LBB887_703
; %bb.702:
	v_and_b32_e32 v14, 7, v10
	v_ffbh_u32_e32 v16, v14
	v_min_u32_e32 v19, 32, v16
	v_subrev_u32_e32 v16, 28, v19
	v_lshlrev_b64 v[16:17], v16, v[10:11]
	v_lshrrev_b32_e32 v18, 3, v15
	v_sub_u32_e32 v10, 29, v19
	v_and_b32_e32 v16, 7, v16
	v_cmp_gt_u32_e32 vcc, 8, v15
	v_mov_b32_e32 v15, 24
	v_cndmask_b32_e32 v10, v18, v10, vcc
	v_cndmask_b32_e32 v14, v14, v16, vcc
	v_lshlrev_b32_sdwa v15, v15, v2 dst_sel:DWORD dst_unused:UNUSED_PAD src0_sel:DWORD src1_sel:WORD_1
	v_bfrev_b32_e32 v16, 60
	v_lshlrev_b32_e32 v14, 20, v14
	v_and_b32_e32 v15, 0x80000000, v15
	v_lshl_add_u32 v10, v10, 23, v16
	v_or3_b32 v10, v15, v10, v14
	v_lshrrev_b32_e32 v14, 16, v10
.LBB887_703:
	s_or_b64 exec, exec, s[10:11]
.LBB887_704:
	s_or_b64 exec, exec, s[8:9]
.LBB887_705:
	s_or_b64 exec, exec, s[2:3]
	s_mov_b32 s2, 0xffffff
	v_cmp_lt_u32_e32 vcc, s2, v2
	s_and_saveexec_b64 s[2:3], vcc
	s_cbranch_execz .LBB887_711
; %bb.706:
	v_lshrrev_b32_e32 v10, 24, v2
	s_movk_i32 s7, 0x80
	v_cmp_ne_u32_e32 vcc, s7, v10
	v_mov_b32_e32 v13, 0xffff8000
	s_and_saveexec_b64 s[8:9], vcc
	s_cbranch_execz .LBB887_710
; %bb.707:
	v_bfe_u32 v2, v2, 24, 7
	s_movk_i32 s7, 0x7f
	v_cmp_ne_u32_e32 vcc, s7, v2
	v_mov_b32_e32 v13, 0x7f80
	s_and_saveexec_b64 s[10:11], vcc
	s_cbranch_execz .LBB887_709
; %bb.708:
	v_and_b32_e32 v13, 7, v10
	v_ffbh_u32_e32 v16, v13
	v_min_u32_e32 v18, 32, v16
	v_subrev_u32_e32 v16, 28, v18
	v_lshlrev_b64 v[16:17], v16, v[10:11]
	v_lshrrev_b32_e32 v15, 3, v2
	v_sub_u32_e32 v17, 29, v18
	v_and_b32_e32 v16, 7, v16
	v_cmp_gt_u32_e32 vcc, 8, v2
	v_cndmask_b32_e32 v2, v15, v17, vcc
	v_cndmask_b32_e32 v13, v13, v16, vcc
	v_lshlrev_b32_e32 v10, 24, v10
	v_bfrev_b32_e32 v15, 60
	v_lshlrev_b32_e32 v13, 20, v13
	v_and_b32_e32 v10, 0x80000000, v10
	v_lshl_add_u32 v2, v2, 23, v15
	v_or3_b32 v2, v10, v2, v13
	v_lshrrev_b32_e32 v13, 16, v2
.LBB887_709:
	s_or_b64 exec, exec, s[10:11]
.LBB887_710:
	s_or_b64 exec, exec, s[8:9]
.LBB887_711:
	s_or_b64 exec, exec, s[2:3]
	v_mov_b32_e32 v10, 0
	v_cmp_ne_u16_sdwa s[8:9], v3, v10 src0_sel:BYTE_0 src1_sel:DWORD
	v_mov_b32_e32 v15, 0
	s_and_saveexec_b64 s[2:3], s[8:9]
	s_cbranch_execz .LBB887_717
; %bb.712:
	s_movk_i32 s7, 0x80
	v_cmp_ne_u16_sdwa s[10:11], v3, s7 src0_sel:BYTE_0 src1_sel:DWORD
	v_mov_b32_e32 v15, 0xffff8000
	s_and_saveexec_b64 s[8:9], s[10:11]
	s_cbranch_execz .LBB887_716
; %bb.713:
	s_movk_i32 s7, 0x7f
	v_and_b32_e32 v2, 0x7f, v3
	v_cmp_ne_u32_e32 vcc, s7, v2
	v_mov_b32_e32 v15, 0x7f80
	s_and_saveexec_b64 s[10:11], vcc
	s_cbranch_execz .LBB887_715
; %bb.714:
	v_and_b32_e32 v15, 7, v3
	v_ffbh_u32_e32 v17, v15
	v_min_u32_e32 v19, 32, v17
	v_mov_b32_e32 v16, v3
	v_subrev_u32_e32 v17, 28, v19
	v_lshlrev_b64 v[16:17], v17, v[16:17]
	v_lshrrev_b32_e32 v18, 3, v2
	v_sub_u32_e32 v17, 29, v19
	v_and_b32_e32 v16, 7, v16
	v_cmp_gt_u32_e32 vcc, 8, v2
	v_cndmask_b32_e32 v2, v18, v17, vcc
	v_cndmask_b32_e32 v15, v15, v16, vcc
	v_lshlrev_b32_e32 v16, 24, v3
	v_bfrev_b32_e32 v17, 60
	v_lshlrev_b32_e32 v15, 20, v15
	v_and_b32_e32 v16, 0x80000000, v16
	v_lshl_add_u32 v2, v2, 23, v17
	v_or3_b32 v2, v16, v2, v15
	v_lshrrev_b32_e32 v15, 16, v2
.LBB887_715:
	s_or_b64 exec, exec, s[10:11]
.LBB887_716:
	s_or_b64 exec, exec, s[8:9]
.LBB887_717:
	s_or_b64 exec, exec, s[2:3]
	v_lshrrev_b16_e32 v2, 8, v3
	v_cmp_ne_u16_e32 vcc, 0, v2
	s_and_saveexec_b64 s[2:3], vcc
	s_cbranch_execz .LBB887_723
; %bb.718:
	s_movk_i32 s7, 0x80
	v_cmp_ne_u16_e32 vcc, s7, v2
	v_mov_b32_e32 v10, 0xffff8000
	s_and_saveexec_b64 s[8:9], vcc
	s_cbranch_execz .LBB887_722
; %bb.719:
	s_movk_i32 s7, 0x7f
	v_and_b32_e32 v16, 0x7f, v2
	v_cmp_ne_u32_e32 vcc, s7, v16
	v_mov_b32_e32 v10, 0x7f80
	s_and_saveexec_b64 s[10:11], vcc
	s_cbranch_execz .LBB887_721
; %bb.720:
	v_and_b32_e32 v10, 7, v2
	v_ffbh_u32_e32 v18, v10
	v_min_u32_e32 v20, 32, v18
	v_subrev_u32_e32 v18, 28, v20
	v_lshlrev_b64 v[18:19], v18, v[2:3]
	v_lshrrev_b32_e32 v17, 3, v16
	v_sub_u32_e32 v2, 29, v20
	v_and_b32_e32 v18, 7, v18
	v_cmp_gt_u32_e32 vcc, 8, v16
	v_cndmask_b32_e32 v2, v17, v2, vcc
	v_cndmask_b32_e32 v10, v10, v18, vcc
	v_lshlrev_b32_e32 v16, 16, v3
	v_bfrev_b32_e32 v17, 60
	v_lshlrev_b32_e32 v10, 20, v10
	v_and_b32_e32 v16, 0x80000000, v16
	v_lshl_add_u32 v2, v2, 23, v17
	v_or3_b32 v2, v16, v2, v10
	v_lshrrev_b32_e32 v10, 16, v2
.LBB887_721:
	s_or_b64 exec, exec, s[10:11]
.LBB887_722:
	s_or_b64 exec, exec, s[8:9]
.LBB887_723:
	s_or_b64 exec, exec, s[2:3]
	s_movk_i32 s2, 0xff
	v_and_b32_sdwa v18, v3, s2 dst_sel:DWORD dst_unused:UNUSED_PAD src0_sel:WORD_1 src1_sel:DWORD
	v_lshrrev_b32_e32 v2, 16, v3
	v_cmp_ne_u16_e32 vcc, 0, v18
	v_mov_b32_e32 v16, 0
	v_mov_b32_e32 v17, 0
	s_and_saveexec_b64 s[2:3], vcc
	s_cbranch_execz .LBB887_729
; %bb.724:
	s_movk_i32 s7, 0x80
	v_cmp_ne_u16_e32 vcc, s7, v18
	v_mov_b32_e32 v17, 0xffff8000
	s_and_saveexec_b64 s[8:9], vcc
	s_cbranch_execz .LBB887_728
; %bb.725:
	v_bfe_u32 v18, v3, 16, 7
	s_movk_i32 s7, 0x7f
	v_cmp_ne_u32_e32 vcc, s7, v18
	v_mov_b32_e32 v17, 0x7f80
	s_and_saveexec_b64 s[10:11], vcc
	s_cbranch_execz .LBB887_727
; %bb.726:
	v_and_b32_e32 v17, 7, v2
	v_ffbh_u32_e32 v20, v17
	v_min_u32_e32 v23, 32, v20
	v_subrev_u32_e32 v20, 28, v23
	v_lshlrev_b64 v[20:21], v20, v[2:3]
	v_lshrrev_b32_e32 v19, 3, v18
	v_sub_u32_e32 v2, 29, v23
	v_and_b32_e32 v20, 7, v20
	v_cmp_gt_u32_e32 vcc, 8, v18
	v_mov_b32_e32 v18, 24
	v_cndmask_b32_e32 v2, v19, v2, vcc
	v_cndmask_b32_e32 v17, v17, v20, vcc
	v_lshlrev_b32_sdwa v18, v18, v3 dst_sel:DWORD dst_unused:UNUSED_PAD src0_sel:DWORD src1_sel:WORD_1
	v_bfrev_b32_e32 v19, 60
	v_lshlrev_b32_e32 v17, 20, v17
	v_and_b32_e32 v18, 0x80000000, v18
	v_lshl_add_u32 v2, v2, 23, v19
	v_or3_b32 v2, v18, v2, v17
	v_lshrrev_b32_e32 v17, 16, v2
.LBB887_727:
	s_or_b64 exec, exec, s[10:11]
.LBB887_728:
	s_or_b64 exec, exec, s[8:9]
.LBB887_729:
	s_or_b64 exec, exec, s[2:3]
	s_mov_b32 s2, 0xffffff
	v_cmp_lt_u32_e32 vcc, s2, v3
	s_and_saveexec_b64 s[2:3], vcc
	s_cbranch_execz .LBB887_735
; %bb.730:
	v_lshrrev_b32_e32 v2, 24, v3
	s_movk_i32 s7, 0x80
	v_cmp_ne_u32_e32 vcc, s7, v2
	v_mov_b32_e32 v16, 0xffff8000
	s_and_saveexec_b64 s[8:9], vcc
	s_cbranch_execz .LBB887_734
; %bb.731:
	v_bfe_u32 v3, v3, 24, 7
	s_movk_i32 s7, 0x7f
	v_cmp_ne_u32_e32 vcc, s7, v3
	v_mov_b32_e32 v16, 0x7f80
	s_and_saveexec_b64 s[10:11], vcc
	s_cbranch_execz .LBB887_733
; %bb.732:
	v_and_b32_e32 v16, 7, v2
	v_ffbh_u32_e32 v18, v16
	v_min_u32_e32 v21, 32, v18
	v_subrev_u32_e32 v18, 28, v21
	v_lshlrev_b64 v[18:19], v18, v[2:3]
	v_lshrrev_b32_e32 v20, 3, v3
	v_sub_u32_e32 v19, 29, v21
	v_and_b32_e32 v18, 7, v18
	v_cmp_gt_u32_e32 vcc, 8, v3
	v_cndmask_b32_e32 v3, v20, v19, vcc
	v_cndmask_b32_e32 v16, v16, v18, vcc
	v_lshlrev_b32_e32 v2, 24, v2
	v_bfrev_b32_e32 v18, 60
	v_lshlrev_b32_e32 v16, 20, v16
	v_and_b32_e32 v2, 0x80000000, v2
	v_lshl_add_u32 v3, v3, 23, v18
	v_or3_b32 v2, v2, v3, v16
	v_lshrrev_b32_e32 v16, 16, v2
.LBB887_733:
	s_or_b64 exec, exec, s[10:11]
.LBB887_734:
	s_or_b64 exec, exec, s[8:9]
.LBB887_735:
	s_or_b64 exec, exec, s[2:3]
	s_mov_b32 s2, 0x5040100
	v_perm_b32 v3, v13, v14, s2
	v_perm_b32 v2, v11, v12, s2
	ds_read_b128 v[18:21], v22 offset:6144
	v_perm_b32 v13, v16, v17, s2
	v_perm_b32 v12, v10, v15, s2
	s_waitcnt lgkmcnt(0)
	v_mfma_f32_16x16x16bf16_1k v[6:9], v[2:3], v[18:19], v[6:9]
	v_mov_b32_e32 v3, 0
	v_cmp_ne_u16_sdwa s[8:9], v4, v3 src0_sel:BYTE_0 src1_sel:DWORD
	v_mov_b32_e32 v10, 0
	v_mfma_f32_16x16x16bf16_1k v[6:9], v[12:13], v[20:21], v[6:9]
	s_and_saveexec_b64 s[2:3], s[8:9]
	s_cbranch_execz .LBB887_741
; %bb.736:
	s_movk_i32 s7, 0x80
	v_cmp_ne_u16_sdwa s[10:11], v4, s7 src0_sel:BYTE_0 src1_sel:DWORD
	v_mov_b32_e32 v10, 0xffff8000
	s_and_saveexec_b64 s[8:9], s[10:11]
	s_cbranch_execz .LBB887_740
; %bb.737:
	s_movk_i32 s7, 0x7f
	v_and_b32_e32 v2, 0x7f, v4
	v_cmp_ne_u32_e32 vcc, s7, v2
	v_mov_b32_e32 v10, 0x7f80
	s_and_saveexec_b64 s[10:11], vcc
	s_cbranch_execz .LBB887_739
; %bb.738:
	v_and_b32_e32 v12, 7, v4
	v_ffbh_u32_e32 v10, v12
	v_min_u32_e32 v14, 32, v10
	v_subrev_u32_e32 v10, 28, v14
	v_lshlrev_b64 v[10:11], v10, v[4:5]
	v_lshrrev_b32_e32 v13, 3, v2
	v_sub_u32_e32 v11, 29, v14
	v_and_b32_e32 v10, 7, v10
	v_cmp_gt_u32_e32 vcc, 8, v2
	v_cndmask_b32_e32 v2, v13, v11, vcc
	v_cndmask_b32_e32 v10, v12, v10, vcc
	v_lshlrev_b32_e32 v11, 24, v4
	v_bfrev_b32_e32 v12, 60
	v_lshlrev_b32_e32 v10, 20, v10
	v_and_b32_e32 v11, 0x80000000, v11
	v_lshl_add_u32 v2, v2, 23, v12
	v_or3_b32 v2, v11, v2, v10
	v_lshrrev_b32_e32 v10, 16, v2
.LBB887_739:
	s_or_b64 exec, exec, s[10:11]
.LBB887_740:
	s_or_b64 exec, exec, s[8:9]
.LBB887_741:
	s_or_b64 exec, exec, s[2:3]
	v_lshrrev_b16_e32 v2, 8, v4
	v_cmp_ne_u16_e32 vcc, 0, v2
	s_and_saveexec_b64 s[2:3], vcc
	s_cbranch_execz .LBB887_747
; %bb.742:
	s_movk_i32 s7, 0x80
	v_cmp_ne_u16_e32 vcc, s7, v2
	v_mov_b32_e32 v3, 0xffff8000
	s_and_saveexec_b64 s[8:9], vcc
	s_cbranch_execz .LBB887_746
; %bb.743:
	s_movk_i32 s7, 0x7f
	v_and_b32_e32 v11, 0x7f, v2
	v_cmp_ne_u32_e32 vcc, s7, v11
	v_mov_b32_e32 v3, 0x7f80
	s_and_saveexec_b64 s[10:11], vcc
	s_cbranch_execz .LBB887_745
; %bb.744:
	v_and_b32_e32 v12, 7, v2
	v_ffbh_u32_e32 v3, v12
	v_min_u32_e32 v14, 32, v3
	v_subrev_u32_e32 v3, 28, v14
	v_lshlrev_b64 v[2:3], v3, v[2:3]
	v_lshrrev_b32_e32 v13, 3, v11
	v_sub_u32_e32 v3, 29, v14
	v_and_b32_e32 v2, 7, v2
	v_cmp_gt_u32_e32 vcc, 8, v11
	v_cndmask_b32_e32 v3, v13, v3, vcc
	v_cndmask_b32_e32 v2, v12, v2, vcc
	v_lshlrev_b32_e32 v11, 16, v4
	v_bfrev_b32_e32 v12, 60
	v_lshlrev_b32_e32 v2, 20, v2
	v_and_b32_e32 v11, 0x80000000, v11
	v_lshl_add_u32 v3, v3, 23, v12
	v_or3_b32 v2, v11, v3, v2
	v_lshrrev_b32_e32 v3, 16, v2
.LBB887_745:
	s_or_b64 exec, exec, s[10:11]
.LBB887_746:
	s_or_b64 exec, exec, s[8:9]
.LBB887_747:
	s_or_b64 exec, exec, s[2:3]
	s_movk_i32 s2, 0xff
	v_and_b32_sdwa v13, v4, s2 dst_sel:DWORD dst_unused:UNUSED_PAD src0_sel:WORD_1 src1_sel:DWORD
	v_lshrrev_b32_e32 v2, 16, v4
	v_cmp_ne_u16_e32 vcc, 0, v13
	v_mov_b32_e32 v11, 0
	v_mov_b32_e32 v12, 0
	s_and_saveexec_b64 s[2:3], vcc
	s_cbranch_execz .LBB887_753
; %bb.748:
	s_movk_i32 s7, 0x80
	v_cmp_ne_u16_e32 vcc, s7, v13
	v_mov_b32_e32 v12, 0xffff8000
	s_and_saveexec_b64 s[8:9], vcc
	s_cbranch_execz .LBB887_752
; %bb.749:
	v_bfe_u32 v13, v4, 16, 7
	s_movk_i32 s7, 0x7f
	v_cmp_ne_u32_e32 vcc, s7, v13
	v_mov_b32_e32 v12, 0x7f80
	s_and_saveexec_b64 s[10:11], vcc
	s_cbranch_execz .LBB887_751
; %bb.750:
	v_and_b32_e32 v12, 7, v2
	v_ffbh_u32_e32 v14, v12
	v_min_u32_e32 v17, 32, v14
	v_subrev_u32_e32 v14, 28, v17
	v_lshlrev_b64 v[14:15], v14, v[2:3]
	v_lshrrev_b32_e32 v16, 3, v13
	v_sub_u32_e32 v2, 29, v17
	v_and_b32_e32 v14, 7, v14
	v_cmp_gt_u32_e32 vcc, 8, v13
	v_mov_b32_e32 v13, 24
	v_cndmask_b32_e32 v2, v16, v2, vcc
	v_cndmask_b32_e32 v12, v12, v14, vcc
	v_lshlrev_b32_sdwa v13, v13, v4 dst_sel:DWORD dst_unused:UNUSED_PAD src0_sel:DWORD src1_sel:WORD_1
	v_bfrev_b32_e32 v14, 60
	v_lshlrev_b32_e32 v12, 20, v12
	v_and_b32_e32 v13, 0x80000000, v13
	v_lshl_add_u32 v2, v2, 23, v14
	v_or3_b32 v2, v13, v2, v12
	v_lshrrev_b32_e32 v12, 16, v2
.LBB887_751:
	s_or_b64 exec, exec, s[10:11]
.LBB887_752:
	s_or_b64 exec, exec, s[8:9]
.LBB887_753:
	s_or_b64 exec, exec, s[2:3]
	s_mov_b32 s2, 0xffffff
	v_cmp_lt_u32_e32 vcc, s2, v4
	s_and_saveexec_b64 s[2:3], vcc
	s_cbranch_execz .LBB887_759
; %bb.754:
	v_lshrrev_b32_e32 v2, 24, v4
	s_movk_i32 s7, 0x80
	v_cmp_ne_u32_e32 vcc, s7, v2
	v_mov_b32_e32 v11, 0xffff8000
	s_and_saveexec_b64 s[8:9], vcc
	s_cbranch_execz .LBB887_758
; %bb.755:
	v_bfe_u32 v4, v4, 24, 7
	s_movk_i32 s7, 0x7f
	v_cmp_ne_u32_e32 vcc, s7, v4
	v_mov_b32_e32 v11, 0x7f80
	s_and_saveexec_b64 s[10:11], vcc
	s_cbranch_execz .LBB887_757
; %bb.756:
	v_and_b32_e32 v11, 7, v2
	v_ffbh_u32_e32 v14, v11
	v_min_u32_e32 v16, 32, v14
	v_subrev_u32_e32 v14, 28, v16
	v_lshlrev_b64 v[14:15], v14, v[2:3]
	v_lshrrev_b32_e32 v13, 3, v4
	v_sub_u32_e32 v15, 29, v16
	v_and_b32_e32 v14, 7, v14
	v_cmp_gt_u32_e32 vcc, 8, v4
	v_cndmask_b32_e32 v4, v13, v15, vcc
	v_cndmask_b32_e32 v11, v11, v14, vcc
	v_lshlrev_b32_e32 v2, 24, v2
	v_bfrev_b32_e32 v13, 60
	v_lshlrev_b32_e32 v11, 20, v11
	v_and_b32_e32 v2, 0x80000000, v2
	v_lshl_add_u32 v4, v4, 23, v13
	v_or3_b32 v2, v2, v4, v11
	v_lshrrev_b32_e32 v11, 16, v2
.LBB887_757:
	s_or_b64 exec, exec, s[10:11]
.LBB887_758:
	s_or_b64 exec, exec, s[8:9]
.LBB887_759:
	s_or_b64 exec, exec, s[2:3]
	v_mov_b32_e32 v4, 0
	v_cmp_ne_u16_sdwa s[8:9], v5, v4 src0_sel:BYTE_0 src1_sel:DWORD
	v_mov_b32_e32 v13, 0
	s_and_saveexec_b64 s[2:3], s[8:9]
	s_cbranch_execz .LBB887_765
; %bb.760:
	s_movk_i32 s7, 0x80
	v_cmp_ne_u16_sdwa s[10:11], v5, s7 src0_sel:BYTE_0 src1_sel:DWORD
	v_mov_b32_e32 v13, 0xffff8000
	s_and_saveexec_b64 s[8:9], s[10:11]
	s_cbranch_execz .LBB887_764
; %bb.761:
	s_movk_i32 s7, 0x7f
	v_and_b32_e32 v2, 0x7f, v5
	v_cmp_ne_u32_e32 vcc, s7, v2
	v_mov_b32_e32 v13, 0x7f80
	s_and_saveexec_b64 s[10:11], vcc
	s_cbranch_execz .LBB887_763
; %bb.762:
	v_and_b32_e32 v13, 7, v5
	v_ffbh_u32_e32 v15, v13
	v_min_u32_e32 v17, 32, v15
	v_mov_b32_e32 v14, v5
	v_subrev_u32_e32 v15, 28, v17
	v_lshlrev_b64 v[14:15], v15, v[14:15]
	v_lshrrev_b32_e32 v16, 3, v2
	v_sub_u32_e32 v15, 29, v17
	v_and_b32_e32 v14, 7, v14
	v_cmp_gt_u32_e32 vcc, 8, v2
	v_cndmask_b32_e32 v2, v16, v15, vcc
	v_cndmask_b32_e32 v13, v13, v14, vcc
	v_lshlrev_b32_e32 v14, 24, v5
	v_bfrev_b32_e32 v15, 60
	v_lshlrev_b32_e32 v13, 20, v13
	v_and_b32_e32 v14, 0x80000000, v14
	v_lshl_add_u32 v2, v2, 23, v15
	v_or3_b32 v2, v14, v2, v13
	v_lshrrev_b32_e32 v13, 16, v2
.LBB887_763:
	s_or_b64 exec, exec, s[10:11]
.LBB887_764:
	s_or_b64 exec, exec, s[8:9]
.LBB887_765:
	s_or_b64 exec, exec, s[2:3]
	v_lshrrev_b16_e32 v2, 8, v5
	v_cmp_ne_u16_e32 vcc, 0, v2
	s_and_saveexec_b64 s[2:3], vcc
	s_cbranch_execz .LBB887_771
; %bb.766:
	s_movk_i32 s7, 0x80
	v_cmp_ne_u16_e32 vcc, s7, v2
	v_mov_b32_e32 v4, 0xffff8000
	s_and_saveexec_b64 s[8:9], vcc
	s_cbranch_execz .LBB887_770
; %bb.767:
	s_movk_i32 s7, 0x7f
	v_and_b32_e32 v14, 0x7f, v2
	v_cmp_ne_u32_e32 vcc, s7, v14
	v_mov_b32_e32 v4, 0x7f80
	s_and_saveexec_b64 s[10:11], vcc
	s_cbranch_execz .LBB887_769
; %bb.768:
	v_and_b32_e32 v4, 7, v2
	v_ffbh_u32_e32 v16, v4
	v_min_u32_e32 v18, 32, v16
	v_subrev_u32_e32 v16, 28, v18
	v_lshlrev_b64 v[16:17], v16, v[2:3]
	v_lshrrev_b32_e32 v15, 3, v14
	v_sub_u32_e32 v2, 29, v18
	v_and_b32_e32 v16, 7, v16
	v_cmp_gt_u32_e32 vcc, 8, v14
	v_cndmask_b32_e32 v2, v15, v2, vcc
	v_cndmask_b32_e32 v4, v4, v16, vcc
	v_lshlrev_b32_e32 v14, 16, v5
	v_bfrev_b32_e32 v15, 60
	v_lshlrev_b32_e32 v4, 20, v4
	v_and_b32_e32 v14, 0x80000000, v14
	v_lshl_add_u32 v2, v2, 23, v15
	v_or3_b32 v2, v14, v2, v4
	v_lshrrev_b32_e32 v4, 16, v2
.LBB887_769:
	s_or_b64 exec, exec, s[10:11]
.LBB887_770:
	s_or_b64 exec, exec, s[8:9]
.LBB887_771:
	s_or_b64 exec, exec, s[2:3]
	s_movk_i32 s2, 0xff
	v_and_b32_sdwa v16, v5, s2 dst_sel:DWORD dst_unused:UNUSED_PAD src0_sel:WORD_1 src1_sel:DWORD
	v_lshrrev_b32_e32 v2, 16, v5
	v_cmp_ne_u16_e32 vcc, 0, v16
	v_mov_b32_e32 v14, 0
	v_mov_b32_e32 v15, 0
	s_and_saveexec_b64 s[2:3], vcc
	s_cbranch_execz .LBB887_777
; %bb.772:
	s_movk_i32 s7, 0x80
	v_cmp_ne_u16_e32 vcc, s7, v16
	v_mov_b32_e32 v15, 0xffff8000
	s_and_saveexec_b64 s[8:9], vcc
	s_cbranch_execz .LBB887_776
; %bb.773:
	v_bfe_u32 v16, v5, 16, 7
	s_movk_i32 s7, 0x7f
	v_cmp_ne_u32_e32 vcc, s7, v16
	v_mov_b32_e32 v15, 0x7f80
	s_and_saveexec_b64 s[10:11], vcc
	s_cbranch_execz .LBB887_775
; %bb.774:
	v_and_b32_e32 v15, 7, v2
	v_ffbh_u32_e32 v18, v15
	v_min_u32_e32 v20, 32, v18
	v_subrev_u32_e32 v18, 28, v20
	v_lshlrev_b64 v[18:19], v18, v[2:3]
	v_lshrrev_b32_e32 v17, 3, v16
	v_sub_u32_e32 v2, 29, v20
	v_and_b32_e32 v18, 7, v18
	v_cmp_gt_u32_e32 vcc, 8, v16
	v_mov_b32_e32 v16, 24
	v_cndmask_b32_e32 v2, v17, v2, vcc
	v_cndmask_b32_e32 v15, v15, v18, vcc
	v_lshlrev_b32_sdwa v16, v16, v5 dst_sel:DWORD dst_unused:UNUSED_PAD src0_sel:DWORD src1_sel:WORD_1
	v_bfrev_b32_e32 v17, 60
	v_lshlrev_b32_e32 v15, 20, v15
	v_and_b32_e32 v16, 0x80000000, v16
	v_lshl_add_u32 v2, v2, 23, v17
	v_or3_b32 v2, v16, v2, v15
	v_lshrrev_b32_e32 v15, 16, v2
.LBB887_775:
	s_or_b64 exec, exec, s[10:11]
.LBB887_776:
	s_or_b64 exec, exec, s[8:9]
.LBB887_777:
	s_or_b64 exec, exec, s[2:3]
	s_mov_b32 s2, 0xffffff
	v_cmp_lt_u32_e32 vcc, s2, v5
	s_and_saveexec_b64 s[2:3], vcc
	s_cbranch_execz .LBB887_783
; %bb.778:
	v_lshrrev_b32_e32 v2, 24, v5
	s_movk_i32 s7, 0x80
	v_cmp_ne_u32_e32 vcc, s7, v2
	v_mov_b32_e32 v14, 0xffff8000
	s_and_saveexec_b64 s[8:9], vcc
	s_cbranch_execz .LBB887_782
; %bb.779:
	v_bfe_u32 v5, v5, 24, 7
	s_movk_i32 s7, 0x7f
	v_cmp_ne_u32_e32 vcc, s7, v5
	v_mov_b32_e32 v14, 0x7f80
	s_and_saveexec_b64 s[10:11], vcc
	s_cbranch_execz .LBB887_781
; %bb.780:
	v_and_b32_e32 v14, 7, v2
	v_ffbh_u32_e32 v16, v14
	v_min_u32_e32 v19, 32, v16
	v_subrev_u32_e32 v16, 28, v19
	v_lshlrev_b64 v[16:17], v16, v[2:3]
	v_lshrrev_b32_e32 v18, 3, v5
	v_sub_u32_e32 v17, 29, v19
	v_and_b32_e32 v16, 7, v16
	v_cmp_gt_u32_e32 vcc, 8, v5
	v_cndmask_b32_e32 v5, v18, v17, vcc
	v_cndmask_b32_e32 v14, v14, v16, vcc
	v_lshlrev_b32_e32 v2, 24, v2
	v_bfrev_b32_e32 v16, 60
	v_lshlrev_b32_e32 v14, 20, v14
	v_and_b32_e32 v2, 0x80000000, v2
	v_lshl_add_u32 v5, v5, 23, v16
	v_or3_b32 v2, v2, v5, v14
	v_lshrrev_b32_e32 v14, 16, v2
.LBB887_781:
	s_or_b64 exec, exec, s[10:11]
.LBB887_782:
	s_or_b64 exec, exec, s[8:9]
.LBB887_783:
	s_or_b64 exec, exec, s[2:3]
	s_mov_b32 s3, 0x5040100
	v_perm_b32 v11, v11, v12, s3
	ds_read_b128 v[16:19], v22 offset:6160
	v_perm_b32 v10, v3, v10, s3
	v_perm_b32 v3, v14, v15, s3
	v_perm_b32 v2, v4, v13, s3
	s_waitcnt lgkmcnt(0)
	v_mfma_f32_16x16x16bf16_1k v[6:9], v[10:11], v[16:17], v[6:9]
	s_load_dword s2, s[42:43], 0x0
	s_mov_b32 s3, 0x7060302
	s_movk_i32 s7, 0x7fff
	v_cmp_gt_u32_e32 vcc, 64, v0
	s_and_b64 s[0:1], vcc, s[0:1]
	s_waitcnt lgkmcnt(0)
	s_barrier
	v_mfma_f32_16x16x16bf16_1k v[2:5], v[2:3], v[18:19], v[6:9]
	s_nop 7
	s_nop 2
	v_pk_mul_f32 v[4:5], v[4:5], s[2:3] op_sel_hi:[1,0]
	v_pk_mul_f32 v[2:3], v[2:3], s[2:3] op_sel_hi:[1,0]
	v_bfe_u32 v6, v3, 16, 1
	v_bfe_u32 v7, v2, 16, 1
	;; [unrolled: 1-line block ×4, first 2 shown]
	v_add3_u32 v2, v2, v7, s7
	v_add3_u32 v3, v3, v6, s7
	;; [unrolled: 1-line block ×4, first 2 shown]
	v_perm_b32 v2, v3, v2, s3
	v_perm_b32 v3, v5, v4, s3
	ds_write_b64 v28, v[2:3]
	s_waitcnt lgkmcnt(0)
	s_barrier
	s_and_saveexec_b64 s[2:3], s[0:1]
	s_cbranch_execz .LBB887_786
; %bb.784:
	s_load_dwordx2 s[2:3], s[4:5], 0x68
	s_lshl_b32 s0, s44, 6
	s_mul_i32 s1, s12, s6
	s_mul_hi_u32 s7, s1, s0
	s_mul_i32 s6, s1, s0
	s_lshl_b64 s[6:7], s[6:7], 1
	s_waitcnt lgkmcnt(0)
	s_add_u32 s1, s2, s6
	v_lshlrev_b32_e32 v0, 10, v0
	s_mov_b32 s5, 0
	s_addc_u32 s6, s3, s7
	s_lshl_b32 s4, s24, 6
	v_and_b32_e32 v0, 0x1800, v0
	v_lshlrev_b32_e32 v2, 5, v1
	v_and_b32_e32 v3, 16, v47
	s_lshl_b64 s[2:3], s[4:5], 1
	v_or3_b32 v0, v0, v2, v3
	s_add_u32 s1, s1, s2
	v_or_b32_e32 v2, 8, v1
	s_addc_u32 s2, s6, s3
	ds_read_b128 v[6:9], v0 offset:128
	ds_read_b128 v[10:13], v0
	v_add_u32_e32 v1, s25, v1
	v_mov_b32_e32 v4, s2
	v_add_co_u32_e32 v3, vcc, s1, v46
	v_mad_u64_u32 v[14:15], s[2:3], v1, s0, 0
	v_addc_co_u32_e32 v4, vcc, 0, v4, vcc
	v_lshlrev_b64 v[14:15], 1, v[14:15]
	v_add_co_u32_e32 v14, vcc, v3, v14
	v_addc_co_u32_e32 v15, vcc, v4, v15, vcc
	v_add_u32_e32 v1, 4, v1
	s_waitcnt lgkmcnt(0)
	global_store_dwordx4 v[14:15], v[10:13], off
	s_nop 0
	v_mad_u64_u32 v[10:11], s[2:3], v1, s0, 0
	v_lshlrev_b64 v[10:11], 1, v[10:11]
	v_add_co_u32_e32 v10, vcc, v3, v10
	v_addc_co_u32_e32 v11, vcc, v4, v11, vcc
	v_cmp_gt_u32_e32 vcc, 10, v2
	global_store_dwordx4 v[10:11], v[6:9], off
	s_and_b64 exec, exec, vcc
	s_cbranch_execz .LBB887_786
; %bb.785:
	ds_read_b128 v[6:9], v0 offset:256
	v_add_u32_e32 v0, s25, v2
	v_mad_u64_u32 v[0:1], s[0:1], v0, s0, 0
	v_lshlrev_b64 v[0:1], 1, v[0:1]
	v_add_co_u32_e32 v0, vcc, v3, v0
	v_addc_co_u32_e32 v1, vcc, v4, v1, vcc
	s_waitcnt lgkmcnt(0)
	global_store_dwordx4 v[0:1], v[6:9], off
.LBB887_786:
	s_endpgm
	.section	.rodata,"a",@progbits
	.p2align	6, 0x0
	.amdhsa_kernel _Z39paged_attention_ll4mi_QKV_mfma16_kernelI14__hip_bfloat16hLN4vllm18Fp8KVCacheDataTypeE1ES0_Li32ELi64ELi256ELb0ELi10EL8MFMAType0EEvPKT_PKT0_S9_ifPKiSB_SB_iPKfiiiPfSE_PS4_PT2_iSD_SD_
		.amdhsa_group_segment_fixed_size 8192
		.amdhsa_private_segment_fixed_size 0
		.amdhsa_kernarg_size 400
		.amdhsa_user_sgpr_count 6
		.amdhsa_user_sgpr_private_segment_buffer 1
		.amdhsa_user_sgpr_dispatch_ptr 0
		.amdhsa_user_sgpr_queue_ptr 0
		.amdhsa_user_sgpr_kernarg_segment_ptr 1
		.amdhsa_user_sgpr_dispatch_id 0
		.amdhsa_user_sgpr_flat_scratch_init 0
		.amdhsa_user_sgpr_kernarg_preload_length 0
		.amdhsa_user_sgpr_kernarg_preload_offset 0
		.amdhsa_user_sgpr_private_segment_size 0
		.amdhsa_uses_dynamic_stack 0
		.amdhsa_system_sgpr_private_segment_wavefront_offset 0
		.amdhsa_system_sgpr_workgroup_id_x 1
		.amdhsa_system_sgpr_workgroup_id_y 1
		.amdhsa_system_sgpr_workgroup_id_z 1
		.amdhsa_system_sgpr_workgroup_info 0
		.amdhsa_system_vgpr_workitem_id 0
		.amdhsa_next_free_vgpr 62
		.amdhsa_next_free_sgpr 47
		.amdhsa_accum_offset 64
		.amdhsa_reserve_vcc 1
		.amdhsa_reserve_flat_scratch 0
		.amdhsa_float_round_mode_32 0
		.amdhsa_float_round_mode_16_64 0
		.amdhsa_float_denorm_mode_32 3
		.amdhsa_float_denorm_mode_16_64 3
		.amdhsa_dx10_clamp 1
		.amdhsa_ieee_mode 1
		.amdhsa_fp16_overflow 0
		.amdhsa_tg_split 0
		.amdhsa_exception_fp_ieee_invalid_op 0
		.amdhsa_exception_fp_denorm_src 0
		.amdhsa_exception_fp_ieee_div_zero 0
		.amdhsa_exception_fp_ieee_overflow 0
		.amdhsa_exception_fp_ieee_underflow 0
		.amdhsa_exception_fp_ieee_inexact 0
		.amdhsa_exception_int_div_zero 0
	.end_amdhsa_kernel
	.section	.text._Z39paged_attention_ll4mi_QKV_mfma16_kernelI14__hip_bfloat16hLN4vllm18Fp8KVCacheDataTypeE1ES0_Li32ELi64ELi256ELb0ELi10EL8MFMAType0EEvPKT_PKT0_S9_ifPKiSB_SB_iPKfiiiPfSE_PS4_PT2_iSD_SD_,"axG",@progbits,_Z39paged_attention_ll4mi_QKV_mfma16_kernelI14__hip_bfloat16hLN4vllm18Fp8KVCacheDataTypeE1ES0_Li32ELi64ELi256ELb0ELi10EL8MFMAType0EEvPKT_PKT0_S9_ifPKiSB_SB_iPKfiiiPfSE_PS4_PT2_iSD_SD_,comdat
.Lfunc_end887:
	.size	_Z39paged_attention_ll4mi_QKV_mfma16_kernelI14__hip_bfloat16hLN4vllm18Fp8KVCacheDataTypeE1ES0_Li32ELi64ELi256ELb0ELi10EL8MFMAType0EEvPKT_PKT0_S9_ifPKiSB_SB_iPKfiiiPfSE_PS4_PT2_iSD_SD_, .Lfunc_end887-_Z39paged_attention_ll4mi_QKV_mfma16_kernelI14__hip_bfloat16hLN4vllm18Fp8KVCacheDataTypeE1ES0_Li32ELi64ELi256ELb0ELi10EL8MFMAType0EEvPKT_PKT0_S9_ifPKiSB_SB_iPKfiiiPfSE_PS4_PT2_iSD_SD_
                                        ; -- End function
	.section	.AMDGPU.csdata,"",@progbits
; Kernel info:
; codeLenInByte = 28420
; NumSgprs: 51
; NumVgprs: 62
; NumAgprs: 0
; TotalNumVgprs: 62
; ScratchSize: 0
; MemoryBound: 0
; FloatMode: 240
; IeeeMode: 1
; LDSByteSize: 8192 bytes/workgroup (compile time only)
; SGPRBlocks: 6
; VGPRBlocks: 7
; NumSGPRsForWavesPerEU: 51
; NumVGPRsForWavesPerEU: 62
; AccumOffset: 64
; Occupancy: 8
; WaveLimiterHint : 1
; COMPUTE_PGM_RSRC2:SCRATCH_EN: 0
; COMPUTE_PGM_RSRC2:USER_SGPR: 6
; COMPUTE_PGM_RSRC2:TRAP_HANDLER: 0
; COMPUTE_PGM_RSRC2:TGID_X_EN: 1
; COMPUTE_PGM_RSRC2:TGID_Y_EN: 1
; COMPUTE_PGM_RSRC2:TGID_Z_EN: 1
; COMPUTE_PGM_RSRC2:TIDIG_COMP_CNT: 0
; COMPUTE_PGM_RSRC3_GFX90A:ACCUM_OFFSET: 15
; COMPUTE_PGM_RSRC3_GFX90A:TG_SPLIT: 0
	.section	.text._Z39paged_attention_ll4mi_QKV_mfma16_kernelI14__hip_bfloat16hLN4vllm18Fp8KVCacheDataTypeE1ES0_Li32ELi64ELi256ELb0ELi11EL8MFMAType0EEvPKT_PKT0_S9_ifPKiSB_SB_iPKfiiiPfSE_PS4_PT2_iSD_SD_,"axG",@progbits,_Z39paged_attention_ll4mi_QKV_mfma16_kernelI14__hip_bfloat16hLN4vllm18Fp8KVCacheDataTypeE1ES0_Li32ELi64ELi256ELb0ELi11EL8MFMAType0EEvPKT_PKT0_S9_ifPKiSB_SB_iPKfiiiPfSE_PS4_PT2_iSD_SD_,comdat
	.protected	_Z39paged_attention_ll4mi_QKV_mfma16_kernelI14__hip_bfloat16hLN4vllm18Fp8KVCacheDataTypeE1ES0_Li32ELi64ELi256ELb0ELi11EL8MFMAType0EEvPKT_PKT0_S9_ifPKiSB_SB_iPKfiiiPfSE_PS4_PT2_iSD_SD_ ; -- Begin function _Z39paged_attention_ll4mi_QKV_mfma16_kernelI14__hip_bfloat16hLN4vllm18Fp8KVCacheDataTypeE1ES0_Li32ELi64ELi256ELb0ELi11EL8MFMAType0EEvPKT_PKT0_S9_ifPKiSB_SB_iPKfiiiPfSE_PS4_PT2_iSD_SD_
	.globl	_Z39paged_attention_ll4mi_QKV_mfma16_kernelI14__hip_bfloat16hLN4vllm18Fp8KVCacheDataTypeE1ES0_Li32ELi64ELi256ELb0ELi11EL8MFMAType0EEvPKT_PKT0_S9_ifPKiSB_SB_iPKfiiiPfSE_PS4_PT2_iSD_SD_
	.p2align	8
	.type	_Z39paged_attention_ll4mi_QKV_mfma16_kernelI14__hip_bfloat16hLN4vllm18Fp8KVCacheDataTypeE1ES0_Li32ELi64ELi256ELb0ELi11EL8MFMAType0EEvPKT_PKT0_S9_ifPKiSB_SB_iPKfiiiPfSE_PS4_PT2_iSD_SD_,@function
_Z39paged_attention_ll4mi_QKV_mfma16_kernelI14__hip_bfloat16hLN4vllm18Fp8KVCacheDataTypeE1ES0_Li32ELi64ELi256ELb0ELi11EL8MFMAType0EEvPKT_PKT0_S9_ifPKiSB_SB_iPKfiiiPfSE_PS4_PT2_iSD_SD_: ; @_Z39paged_attention_ll4mi_QKV_mfma16_kernelI14__hip_bfloat16hLN4vllm18Fp8KVCacheDataTypeE1ES0_Li32ELi64ELi256ELb0ELi11EL8MFMAType0EEvPKT_PKT0_S9_ifPKiSB_SB_iPKfiiiPfSE_PS4_PT2_iSD_SD_
; %bb.0:
	s_load_dwordx2 s[0:1], s[4:5], 0x30
	s_mov_b32 s24, s7
	s_mov_b64 s[10:11], 0
	s_waitcnt lgkmcnt(0)
	s_cmp_lg_u64 s[0:1], 0
	s_cselect_b64 s[2:3], -1, 0
	s_and_b64 vcc, exec, s[2:3]
	s_cbranch_vccz .LBB888_7
; %bb.1:
	s_add_i32 s12, s6, 1
	s_mov_b32 s13, 0
	s_lshl_b64 s[14:15], s[12:13], 2
	s_add_u32 s14, s0, s14
	s_mov_b32 s7, s13
	s_addc_u32 s15, s1, s15
	s_lshl_b64 s[12:13], s[6:7], 2
	s_add_u32 s12, s0, s12
	s_addc_u32 s13, s1, s13
	s_load_dword s9, s[14:15], 0x0
	s_load_dword s16, s[12:13], 0x0
	s_waitcnt lgkmcnt(0)
	s_sub_i32 s9, s9, s16
	s_cmp_eq_u32 s9, 1
	s_cselect_b64 s[12:13], -1, 0
	s_andn2_b64 vcc, exec, s[10:11]
	s_cbranch_vccnz .LBB888_3
.LBB888_2:
	s_mov_b32 s7, 0
	s_mov_b64 s[12:13], -1
.LBB888_3:
	s_andn2_b64 vcc, exec, s[12:13]
	s_cbranch_vccnz .LBB888_786
; %bb.4:
	s_load_dwordx2 s[12:13], s[4:5], 0x28
	s_lshl_b64 s[10:11], s[6:7], 2
	s_waitcnt lgkmcnt(0)
	s_add_u32 s12, s12, s10
	s_addc_u32 s13, s13, s11
	s_load_dword s33, s[12:13], 0x0
	s_lshl_b32 s20, s24, 8
	s_waitcnt lgkmcnt(0)
	s_cmp_ge_i32 s20, s33
	s_cbranch_scc1 .LBB888_786
; %bb.5:
	s_add_i32 s14, s33, 31
	s_load_dwordx2 s[12:13], s[4:5], 0x20
	s_load_dword s9, s[4:5], 0x38
	s_ashr_i32 s15, s14, 31
	v_and_b32_e32 v1, 0xcf, v0
	s_lshr_b32 s15, s15, 27
	v_add_u32_e32 v1, s20, v1
	s_add_i32 s14, s14, s15
	v_ashrrev_i32_e32 v2, 31, v1
	s_ashr_i32 s22, s14, 5
	v_lshrrev_b32_e32 v4, 27, v2
	s_add_i32 s22, s22, -1
	v_add_u32_e32 v2, v1, v4
	s_waitcnt lgkmcnt(0)
	s_mul_i32 s14, s6, s9
	s_mov_b32 s15, 0
	v_ashrrev_i32_e32 v2, 5, v2
	v_mov_b32_e32 v5, s22
	v_cmp_gt_i32_e32 vcc, s33, v1
	s_lshl_b64 s[14:15], s[14:15], 2
	v_cndmask_b32_e32 v2, v5, v2, vcc
	s_add_u32 s9, s12, s14
	v_ashrrev_i32_e32 v3, 31, v2
	s_addc_u32 s21, s13, s15
	v_lshlrev_b64 v[2:3], 2, v[2:3]
	v_mov_b32_e32 v7, s21
	v_add_co_u32_e32 v6, vcc, s9, v2
	v_or_b32_e32 v2, 16, v1
	v_addc_co_u32_e32 v7, vcc, v7, v3, vcc
	v_add_u32_e32 v3, v2, v4
	v_ashrrev_i32_e32 v3, 5, v3
	v_cmp_gt_i32_e32 vcc, s33, v2
	v_cndmask_b32_e32 v2, v5, v3, vcc
	v_ashrrev_i32_e32 v3, 31, v2
	v_lshlrev_b64 v[2:3], 2, v[2:3]
	v_mov_b32_e32 v9, s21
	v_add_co_u32_e32 v8, vcc, s9, v2
	v_or_b32_e32 v2, 32, v1
	v_addc_co_u32_e32 v9, vcc, v9, v3, vcc
	v_add_u32_e32 v3, v2, v4
	v_ashrrev_i32_e32 v3, 5, v3
	v_cmp_gt_i32_e32 vcc, s33, v2
	v_cndmask_b32_e32 v2, v5, v3, vcc
	v_ashrrev_i32_e32 v3, 31, v2
	;; [unrolled: 10-line block ×3, first 2 shown]
	v_lshlrev_b64 v[2:3], 2, v[2:3]
	v_mov_b32_e32 v1, s21
	v_add_co_u32_e32 v12, vcc, s9, v2
	v_addc_co_u32_e32 v13, vcc, v1, v3, vcc
	global_load_dword v5, v[6:7], off
	global_load_dword v4, v[8:9], off
	;; [unrolled: 1-line block ×4, first 2 shown]
	s_load_dwordx4 s[12:15], s[4:5], 0x8
	s_andn2_b64 vcc, exec, s[2:3]
	s_cbranch_vccnz .LBB888_8
; %bb.6:
	s_add_u32 s0, s0, s10
	s_addc_u32 s1, s1, s11
	s_load_dword s10, s[0:1], 0x0
	s_branch .LBB888_9
.LBB888_7:
	s_mov_b64 s[12:13], 0
	s_branch .LBB888_2
.LBB888_8:
	s_mov_b32 s10, s6
.LBB888_9:
	s_load_dwordx4 s[16:19], s[4:5], 0x48
	v_lshrrev_b32_e32 v50, 6, v0
	v_bfe_u32 v1, v0, 4, 2
	v_lshl_or_b32 v6, v50, 2, v1
	v_and_b32_e32 v49, 15, v0
	v_lshlrev_b32_e32 v7, 3, v49
	v_cmp_gt_u32_e32 vcc, 11, v6
	v_cmp_gt_u32_e64 s[0:1], 8, v49
	s_mul_i32 s25, s8, 11
	s_and_b64 s[26:27], s[0:1], vcc
	v_lshlrev_b32_e32 v46, 1, v7
	v_lshlrev_b32_e32 v47, 4, v0
	s_and_saveexec_b64 s[2:3], s[26:27]
	s_cbranch_execz .LBB888_11
; %bb.10:
	s_load_dwordx2 s[26:27], s[4:5], 0x0
	s_waitcnt lgkmcnt(0)
	s_ashr_i32 s11, s16, 31
	s_mul_hi_u32 s19, s10, s16
	s_mul_i32 s11, s10, s11
	s_add_i32 s11, s19, s11
	s_mul_i32 s10, s10, s16
	s_lshl_b64 s[10:11], s[10:11], 1
	v_add_lshl_u32 v8, v6, s25, 6
	s_add_u32 s10, s26, s10
	v_ashrrev_i32_e32 v9, 31, v8
	s_addc_u32 s11, s27, s11
	v_lshlrev_b64 v[8:9], 1, v[8:9]
	v_mov_b32_e32 v7, s11
	v_add_co_u32_e32 v8, vcc, s10, v8
	v_addc_co_u32_e32 v7, vcc, v7, v9, vcc
	v_add_co_u32_e32 v8, vcc, v8, v46
	v_addc_co_u32_e32 v9, vcc, 0, v7, vcc
	global_load_dwordx4 v[8:11], v[8:9], off
	v_lshlrev_b32_e32 v12, 8, v49
	v_lshlrev_b32_e32 v6, 5, v6
	v_and_b32_e32 v7, 16, v47
	v_and_b32_e32 v12, 0xe00, v12
	v_or3_b32 v6, v12, v6, v7
	s_waitcnt vmcnt(0)
	ds_write_b128 v6, v[8:11]
.LBB888_11:
	s_or_b64 exec, exec, s[2:3]
	s_waitcnt lgkmcnt(0)
	s_mul_i32 s8, s8, s18
	s_add_u32 s2, s12, s8
	s_addc_u32 s3, s13, 0
	v_and_b32_e32 v12, 48, v0
	s_ashr_i32 s10, s20, 31
	v_or_b32_e32 v13, s20, v12
	s_lshr_b32 s10, s10, 27
	v_add_u32_e32 v6, s10, v13
	v_ashrrev_i32_e32 v6, 5, v6
	v_mov_b32_e32 v14, s22
	v_cmp_gt_i32_e32 vcc, s33, v13
	v_cndmask_b32_e32 v6, v14, v6, vcc
	v_ashrrev_i32_e32 v7, 31, v6
	v_lshlrev_b64 v[6:7], 2, v[6:7]
	v_mov_b32_e32 v8, s21
	v_add_co_u32_e32 v6, vcc, s9, v6
	v_addc_co_u32_e32 v7, vcc, v8, v7, vcc
	v_or_b32_e32 v8, 64, v13
	v_add_u32_e32 v9, s10, v8
	v_ashrrev_i32_e32 v9, 5, v9
	v_cmp_gt_i32_e32 vcc, s33, v8
	v_cndmask_b32_e32 v8, v14, v9, vcc
	v_ashrrev_i32_e32 v9, 31, v8
	v_lshlrev_b64 v[8:9], 2, v[8:9]
	v_mov_b32_e32 v10, s21
	v_add_co_u32_e32 v8, vcc, s9, v8
	v_addc_co_u32_e32 v9, vcc, v10, v9, vcc
	v_or_b32_e32 v10, 0x80, v13
	v_add_u32_e32 v11, s10, v10
	v_ashrrev_i32_e32 v11, 5, v11
	v_cmp_gt_i32_e32 vcc, s33, v10
	v_cndmask_b32_e32 v10, v14, v11, vcc
	v_ashrrev_i32_e32 v11, 31, v10
	v_lshlrev_b64 v[10:11], 2, v[10:11]
	v_mov_b32_e32 v15, s21
	v_add_co_u32_e32 v10, vcc, s9, v10
	s_load_dwordx2 s[44:45], s[4:5], 0x94
	s_load_dwordx4 s[40:43], s[4:5], 0x80
	s_waitcnt lgkmcnt(0)
	s_barrier
	v_addc_co_u32_e32 v11, vcc, v15, v11, vcc
	global_load_dword v15, v[6:7], off
	global_load_dword v16, v[8:9], off
	global_load_dword v18, v[10:11], off
	v_or_b32_e32 v6, 0xc0, v13
	v_add_u32_e32 v7, s10, v6
	v_ashrrev_i32_e32 v7, 5, v7
	v_cmp_gt_i32_e32 vcc, s33, v6
	v_cndmask_b32_e32 v6, v14, v7, vcc
	v_ashrrev_i32_e32 v7, 31, v6
	v_lshlrev_b64 v[6:7], 2, v[6:7]
	v_mov_b32_e32 v8, s21
	v_add_co_u32_e32 v6, vcc, s9, v6
	v_addc_co_u32_e32 v7, vcc, v8, v7, vcc
	global_load_dword v20, v[6:7], off
	v_pk_mov_b32 v[6:7], s[2:3], s[2:3] op_sel:[0,1]
	s_waitcnt vmcnt(7)
	v_mad_i64_i32 v[8:9], s[2:3], v5, s17, v[6:7]
	v_lshlrev_b32_e32 v11, 4, v49
	v_add_co_u32_e32 v5, vcc, v8, v11
	v_lshlrev_b32_e32 v10, 5, v12
	v_addc_co_u32_e32 v9, vcc, 0, v9, vcc
	v_add_co_u32_e32 v8, vcc, v5, v10
	v_addc_co_u32_e32 v9, vcc, 0, v9, vcc
	s_waitcnt vmcnt(6)
	v_mad_i64_i32 v[4:5], s[2:3], v4, s17, v[6:7]
	v_or_b32_e32 v12, 0x100, v11
	v_add_co_u32_e32 v4, vcc, v4, v12
	v_addc_co_u32_e32 v5, vcc, 0, v5, vcc
	v_add_co_u32_e32 v4, vcc, v4, v10
	v_addc_co_u32_e32 v5, vcc, 0, v5, vcc
	global_load_dwordx4 v[30:33], v[8:9], off
	global_load_dwordx4 v[38:41], v[4:5], off
	s_waitcnt vmcnt(7)
	v_mad_i64_i32 v[4:5], s[2:3], v3, s17, v[6:7]
	v_add_co_u32_e32 v3, vcc, v4, v11
	v_addc_co_u32_e32 v5, vcc, 0, v5, vcc
	v_add_co_u32_e32 v4, vcc, v3, v10
	v_addc_co_u32_e32 v5, vcc, 0, v5, vcc
	s_waitcnt vmcnt(6)
	v_mad_i64_i32 v[2:3], s[2:3], v2, s17, v[6:7]
	v_add_co_u32_e32 v2, vcc, v2, v12
	v_addc_co_u32_e32 v3, vcc, 0, v3, vcc
	v_add_co_u32_e32 v2, vcc, v2, v10
	s_add_u32 s2, s14, s8
	v_addc_co_u32_e32 v3, vcc, 0, v3, vcc
	global_load_dwordx4 v[34:37], v[4:5], off
	global_load_dwordx4 v[22:25], v[2:3], off
	s_addc_u32 s3, s15, 0
	v_and_b32_e32 v2, 16, v0
	v_mov_b32_e32 v3, s3
	v_add_co_u32_e32 v2, vcc, s2, v2
	v_lshlrev_b32_e32 v48, 5, v49
	v_addc_co_u32_e32 v3, vcc, 0, v3, vcc
	v_lshl_or_b32 v4, v50, 9, v48
	v_add_co_u32_e32 v2, vcc, v2, v4
	v_addc_co_u32_e32 v3, vcc, 0, v3, vcc
	v_cmp_gt_u32_e32 vcc, 11, v49
	v_mov_b32_e32 v44, 0
	v_mov_b32_e32 v43, 0
	s_movk_i32 s8, 0x80
	s_waitcnt vmcnt(7)
	v_mad_i64_i32 v[4:5], s[2:3], v15, s17, v[2:3]
	s_waitcnt vmcnt(6)
	v_mad_i64_i32 v[6:7], s[2:3], v16, s17, v[2:3]
	;; [unrolled: 2-line block ×3, first 2 shown]
	global_load_dwordx4 v[14:17], v[4:5], off
	global_load_dwordx4 v[10:13], v[6:7], off
	s_waitcnt vmcnt(6)
	v_mad_i64_i32 v[20:21], s[2:3], v20, s17, v[2:3]
	global_load_dwordx4 v[6:9], v[18:19], off
	global_load_dwordx4 v[2:5], v[20:21], off
	v_add_u32_e32 v18, -11, v49
	v_cndmask_b32_e32 v18, v18, v49, vcc
	v_lshlrev_b32_e32 v18, 5, v18
	v_lshl_add_u32 v18, v1, 9, v18
	ds_read_b128 v[26:29], v18
	ds_read_b128 v[18:21], v18 offset:16
	s_load_dword s12, s[40:41], 0x0
	s_waitcnt vmcnt(7)
	v_cmp_ne_u16_sdwa s[10:11], v30, v44 src0_sel:BYTE_0 src1_sel:DWORD
	s_and_saveexec_b64 s[2:3], s[10:11]
	s_cbranch_execz .LBB888_17
; %bb.12:
	v_cmp_ne_u16_sdwa s[10:11], v30, s8 src0_sel:BYTE_0 src1_sel:DWORD
	v_mov_b32_e32 v43, 0xffff8000
	s_and_saveexec_b64 s[8:9], s[10:11]
	s_cbranch_execz .LBB888_16
; %bb.13:
	s_movk_i32 s10, 0x7f
	v_and_b32_e32 v42, 0x7f, v30
	v_cmp_ne_u32_e32 vcc, s10, v42
	v_mov_b32_e32 v43, 0x7f80
	s_and_saveexec_b64 s[10:11], vcc
	s_cbranch_execz .LBB888_15
; %bb.14:
	v_and_b32_e32 v43, 7, v30
	v_ffbh_u32_e32 v51, v43
	v_min_u32_e32 v51, 32, v51
	v_subrev_u32_e32 v52, 28, v51
	v_lshlrev_b64 v[52:53], v52, v[30:31]
	v_lshrrev_b32_e32 v45, 3, v42
	v_sub_u32_e32 v51, 29, v51
	v_and_b32_e32 v52, 7, v52
	v_cmp_gt_u32_e32 vcc, 8, v42
	v_cndmask_b32_e32 v42, v45, v51, vcc
	v_cndmask_b32_e32 v43, v43, v52, vcc
	v_lshlrev_b32_e32 v45, 24, v30
	v_bfrev_b32_e32 v51, 60
	v_lshlrev_b32_e32 v43, 20, v43
	v_and_b32_e32 v45, 0x80000000, v45
	v_lshl_add_u32 v42, v42, 23, v51
	v_or3_b32 v42, v45, v42, v43
	v_lshrrev_b32_e32 v43, 16, v42
.LBB888_15:
	s_or_b64 exec, exec, s[10:11]
.LBB888_16:
	s_or_b64 exec, exec, s[8:9]
.LBB888_17:
	s_or_b64 exec, exec, s[2:3]
	v_lshrrev_b16_e32 v42, 8, v30
	v_cmp_ne_u16_e32 vcc, 0, v42
	s_and_saveexec_b64 s[2:3], vcc
	s_cbranch_execz .LBB888_23
; %bb.18:
	s_movk_i32 s8, 0x80
	v_cmp_ne_u16_e32 vcc, s8, v42
	v_mov_b32_e32 v44, 0xffff8000
	s_and_saveexec_b64 s[8:9], vcc
	s_cbranch_execz .LBB888_22
; %bb.19:
	s_movk_i32 s10, 0x7f
	v_and_b32_e32 v45, 0x7f, v42
	v_cmp_ne_u32_e32 vcc, s10, v45
	v_mov_b32_e32 v44, 0x7f80
	s_and_saveexec_b64 s[10:11], vcc
	s_cbranch_execz .LBB888_21
; %bb.20:
	v_and_b32_e32 v44, 7, v42
	v_ffbh_u32_e32 v52, v44
	v_min_u32_e32 v54, 32, v52
	v_subrev_u32_e32 v52, 28, v54
	v_lshlrev_b64 v[52:53], v52, v[42:43]
	v_lshrrev_b32_e32 v51, 3, v45
	v_sub_u32_e32 v42, 29, v54
	v_and_b32_e32 v52, 7, v52
	v_cmp_gt_u32_e32 vcc, 8, v45
	v_cndmask_b32_e32 v42, v51, v42, vcc
	v_cndmask_b32_e32 v44, v44, v52, vcc
	v_lshlrev_b32_e32 v45, 16, v30
	v_bfrev_b32_e32 v51, 60
	v_lshlrev_b32_e32 v44, 20, v44
	v_and_b32_e32 v45, 0x80000000, v45
	v_lshl_add_u32 v42, v42, 23, v51
	v_or3_b32 v42, v45, v42, v44
	v_lshrrev_b32_e32 v44, 16, v42
.LBB888_21:
	s_or_b64 exec, exec, s[10:11]
.LBB888_22:
	s_or_b64 exec, exec, s[8:9]
.LBB888_23:
	s_or_b64 exec, exec, s[2:3]
	s_movk_i32 s2, 0xff
	v_and_b32_sdwa v52, v30, s2 dst_sel:DWORD dst_unused:UNUSED_PAD src0_sel:WORD_1 src1_sel:DWORD
	v_lshrrev_b32_e32 v42, 16, v30
	v_cmp_ne_u16_e32 vcc, 0, v52
	v_mov_b32_e32 v45, 0
	v_mov_b32_e32 v51, 0
	s_and_saveexec_b64 s[2:3], vcc
	s_cbranch_execz .LBB888_29
; %bb.24:
	s_movk_i32 s8, 0x80
	v_cmp_ne_u16_e32 vcc, s8, v52
	v_mov_b32_e32 v51, 0xffff8000
	s_and_saveexec_b64 s[8:9], vcc
	s_cbranch_execz .LBB888_28
; %bb.25:
	v_bfe_u32 v52, v30, 16, 7
	s_movk_i32 s10, 0x7f
	v_cmp_ne_u32_e32 vcc, s10, v52
	v_mov_b32_e32 v51, 0x7f80
	s_and_saveexec_b64 s[10:11], vcc
	s_cbranch_execz .LBB888_27
; %bb.26:
	v_and_b32_e32 v51, 7, v42
	v_ffbh_u32_e32 v54, v51
	v_min_u32_e32 v56, 32, v54
	v_subrev_u32_e32 v54, 28, v56
	v_lshlrev_b64 v[54:55], v54, v[42:43]
	v_lshrrev_b32_e32 v53, 3, v52
	v_sub_u32_e32 v42, 29, v56
	v_and_b32_e32 v54, 7, v54
	v_cmp_gt_u32_e32 vcc, 8, v52
	v_mov_b32_e32 v52, 24
	v_cndmask_b32_e32 v42, v53, v42, vcc
	v_cndmask_b32_e32 v51, v51, v54, vcc
	v_lshlrev_b32_sdwa v52, v52, v30 dst_sel:DWORD dst_unused:UNUSED_PAD src0_sel:DWORD src1_sel:WORD_1
	v_bfrev_b32_e32 v53, 60
	v_lshlrev_b32_e32 v51, 20, v51
	v_and_b32_e32 v52, 0x80000000, v52
	v_lshl_add_u32 v42, v42, 23, v53
	v_or3_b32 v42, v52, v42, v51
	v_lshrrev_b32_e32 v51, 16, v42
.LBB888_27:
	s_or_b64 exec, exec, s[10:11]
.LBB888_28:
	s_or_b64 exec, exec, s[8:9]
.LBB888_29:
	s_or_b64 exec, exec, s[2:3]
	s_mov_b32 s2, 0xffffff
	v_cmp_lt_u32_e32 vcc, s2, v30
	s_and_saveexec_b64 s[2:3], vcc
	s_cbranch_execz .LBB888_35
; %bb.30:
	v_lshrrev_b32_e32 v42, 24, v30
	s_movk_i32 s8, 0x80
	v_cmp_ne_u32_e32 vcc, s8, v42
	v_mov_b32_e32 v45, 0xffff8000
	s_and_saveexec_b64 s[8:9], vcc
	s_cbranch_execz .LBB888_34
; %bb.31:
	v_bfe_u32 v30, v30, 24, 7
	s_movk_i32 s10, 0x7f
	v_cmp_ne_u32_e32 vcc, s10, v30
	v_mov_b32_e32 v45, 0x7f80
	s_and_saveexec_b64 s[10:11], vcc
	s_cbranch_execz .LBB888_33
; %bb.32:
	v_and_b32_e32 v45, 7, v42
	v_ffbh_u32_e32 v52, v45
	v_min_u32_e32 v55, 32, v52
	v_subrev_u32_e32 v52, 28, v55
	v_lshlrev_b64 v[52:53], v52, v[42:43]
	v_lshrrev_b32_e32 v54, 3, v30
	v_sub_u32_e32 v53, 29, v55
	v_and_b32_e32 v52, 7, v52
	v_cmp_gt_u32_e32 vcc, 8, v30
	v_cndmask_b32_e32 v30, v54, v53, vcc
	v_cndmask_b32_e32 v45, v45, v52, vcc
	v_lshlrev_b32_e32 v42, 24, v42
	v_bfrev_b32_e32 v52, 60
	v_lshlrev_b32_e32 v45, 20, v45
	v_and_b32_e32 v42, 0x80000000, v42
	v_lshl_add_u32 v30, v30, 23, v52
	v_or3_b32 v30, v42, v30, v45
	v_lshrrev_b32_e32 v45, 16, v30
.LBB888_33:
	s_or_b64 exec, exec, s[10:11]
.LBB888_34:
	s_or_b64 exec, exec, s[8:9]
.LBB888_35:
	s_or_b64 exec, exec, s[2:3]
	v_mov_b32_e32 v42, 0
	v_cmp_ne_u16_sdwa s[8:9], v31, v42 src0_sel:BYTE_0 src1_sel:DWORD
	v_mov_b32_e32 v52, 0
	s_and_saveexec_b64 s[2:3], s[8:9]
	s_cbranch_execz .LBB888_41
; %bb.36:
	s_movk_i32 s8, 0x80
	v_cmp_ne_u16_sdwa s[10:11], v31, s8 src0_sel:BYTE_0 src1_sel:DWORD
	v_mov_b32_e32 v52, 0xffff8000
	s_and_saveexec_b64 s[8:9], s[10:11]
	s_cbranch_execz .LBB888_40
; %bb.37:
	s_movk_i32 s10, 0x7f
	v_and_b32_e32 v30, 0x7f, v31
	v_cmp_ne_u32_e32 vcc, s10, v30
	v_mov_b32_e32 v52, 0x7f80
	s_and_saveexec_b64 s[10:11], vcc
	s_cbranch_execz .LBB888_39
; %bb.38:
	v_and_b32_e32 v54, 7, v31
	v_ffbh_u32_e32 v53, v54
	v_min_u32_e32 v56, 32, v53
	v_mov_b32_e32 v52, v31
	v_subrev_u32_e32 v53, 28, v56
	v_lshlrev_b64 v[52:53], v53, v[52:53]
	v_lshrrev_b32_e32 v55, 3, v30
	v_sub_u32_e32 v53, 29, v56
	v_and_b32_e32 v52, 7, v52
	v_cmp_gt_u32_e32 vcc, 8, v30
	v_cndmask_b32_e32 v30, v55, v53, vcc
	v_cndmask_b32_e32 v52, v54, v52, vcc
	v_lshlrev_b32_e32 v53, 24, v31
	v_bfrev_b32_e32 v54, 60
	v_lshlrev_b32_e32 v52, 20, v52
	v_and_b32_e32 v53, 0x80000000, v53
	v_lshl_add_u32 v30, v30, 23, v54
	v_or3_b32 v30, v53, v30, v52
	v_lshrrev_b32_e32 v52, 16, v30
.LBB888_39:
	s_or_b64 exec, exec, s[10:11]
.LBB888_40:
	s_or_b64 exec, exec, s[8:9]
.LBB888_41:
	s_or_b64 exec, exec, s[2:3]
	v_lshrrev_b16_e32 v30, 8, v31
	v_cmp_ne_u16_e32 vcc, 0, v30
	s_and_saveexec_b64 s[2:3], vcc
	s_cbranch_execz .LBB888_47
; %bb.42:
	s_movk_i32 s8, 0x80
	v_cmp_ne_u16_e32 vcc, s8, v30
	v_mov_b32_e32 v42, 0xffff8000
	s_and_saveexec_b64 s[8:9], vcc
	s_cbranch_execz .LBB888_46
; %bb.43:
	s_movk_i32 s10, 0x7f
	v_and_b32_e32 v53, 0x7f, v30
	v_cmp_ne_u32_e32 vcc, s10, v53
	v_mov_b32_e32 v42, 0x7f80
	s_and_saveexec_b64 s[10:11], vcc
	s_cbranch_execz .LBB888_45
; %bb.44:
	v_and_b32_e32 v42, 7, v30
	v_ffbh_u32_e32 v54, v42
	v_min_u32_e32 v57, 32, v54
	v_subrev_u32_e32 v54, 28, v57
	v_lshlrev_b64 v[54:55], v54, v[30:31]
	v_lshrrev_b32_e32 v56, 3, v53
	v_sub_u32_e32 v30, 29, v57
	v_and_b32_e32 v54, 7, v54
	v_cmp_gt_u32_e32 vcc, 8, v53
	v_cndmask_b32_e32 v30, v56, v30, vcc
	v_cndmask_b32_e32 v42, v42, v54, vcc
	v_lshlrev_b32_e32 v53, 16, v31
	v_bfrev_b32_e32 v54, 60
	v_lshlrev_b32_e32 v42, 20, v42
	v_and_b32_e32 v53, 0x80000000, v53
	v_lshl_add_u32 v30, v30, 23, v54
	v_or3_b32 v30, v53, v30, v42
	v_lshrrev_b32_e32 v42, 16, v30
.LBB888_45:
	s_or_b64 exec, exec, s[10:11]
.LBB888_46:
	s_or_b64 exec, exec, s[8:9]
.LBB888_47:
	s_or_b64 exec, exec, s[2:3]
	s_movk_i32 s2, 0xff
	v_and_b32_sdwa v55, v31, s2 dst_sel:DWORD dst_unused:UNUSED_PAD src0_sel:WORD_1 src1_sel:DWORD
	v_lshrrev_b32_e32 v30, 16, v31
	v_cmp_ne_u16_e32 vcc, 0, v55
	v_mov_b32_e32 v53, 0
	v_mov_b32_e32 v54, 0
	s_and_saveexec_b64 s[2:3], vcc
	s_cbranch_execz .LBB888_53
; %bb.48:
	s_movk_i32 s8, 0x80
	v_cmp_ne_u16_e32 vcc, s8, v55
	v_mov_b32_e32 v54, 0xffff8000
	s_and_saveexec_b64 s[8:9], vcc
	s_cbranch_execz .LBB888_52
; %bb.49:
	v_bfe_u32 v55, v31, 16, 7
	s_movk_i32 s10, 0x7f
	v_cmp_ne_u32_e32 vcc, s10, v55
	v_mov_b32_e32 v54, 0x7f80
	s_and_saveexec_b64 s[10:11], vcc
	s_cbranch_execz .LBB888_51
; %bb.50:
	v_and_b32_e32 v54, 7, v30
	v_ffbh_u32_e32 v56, v54
	v_min_u32_e32 v59, 32, v56
	v_subrev_u32_e32 v56, 28, v59
	v_lshlrev_b64 v[56:57], v56, v[30:31]
	v_lshrrev_b32_e32 v58, 3, v55
	v_sub_u32_e32 v30, 29, v59
	v_and_b32_e32 v56, 7, v56
	v_cmp_gt_u32_e32 vcc, 8, v55
	v_mov_b32_e32 v55, 24
	v_cndmask_b32_e32 v30, v58, v30, vcc
	v_cndmask_b32_e32 v54, v54, v56, vcc
	v_lshlrev_b32_sdwa v55, v55, v31 dst_sel:DWORD dst_unused:UNUSED_PAD src0_sel:DWORD src1_sel:WORD_1
	v_bfrev_b32_e32 v56, 60
	v_lshlrev_b32_e32 v54, 20, v54
	v_and_b32_e32 v55, 0x80000000, v55
	v_lshl_add_u32 v30, v30, 23, v56
	v_or3_b32 v30, v55, v30, v54
	v_lshrrev_b32_e32 v54, 16, v30
.LBB888_51:
	s_or_b64 exec, exec, s[10:11]
.LBB888_52:
	s_or_b64 exec, exec, s[8:9]
.LBB888_53:
	s_or_b64 exec, exec, s[2:3]
	s_mov_b32 s2, 0xffffff
	v_cmp_lt_u32_e32 vcc, s2, v31
	s_and_saveexec_b64 s[2:3], vcc
	s_cbranch_execz .LBB888_59
; %bb.54:
	v_lshrrev_b32_e32 v30, 24, v31
	s_movk_i32 s8, 0x80
	v_cmp_ne_u32_e32 vcc, s8, v30
	v_mov_b32_e32 v53, 0xffff8000
	s_and_saveexec_b64 s[8:9], vcc
	s_cbranch_execz .LBB888_58
; %bb.55:
	v_bfe_u32 v31, v31, 24, 7
	s_movk_i32 s10, 0x7f
	v_cmp_ne_u32_e32 vcc, s10, v31
	v_mov_b32_e32 v53, 0x7f80
	s_and_saveexec_b64 s[10:11], vcc
	s_cbranch_execz .LBB888_57
; %bb.56:
	v_and_b32_e32 v53, 7, v30
	v_ffbh_u32_e32 v56, v53
	v_min_u32_e32 v58, 32, v56
	v_subrev_u32_e32 v56, 28, v58
	v_lshlrev_b64 v[56:57], v56, v[30:31]
	v_lshrrev_b32_e32 v55, 3, v31
	v_sub_u32_e32 v57, 29, v58
	v_and_b32_e32 v56, 7, v56
	v_cmp_gt_u32_e32 vcc, 8, v31
	v_cndmask_b32_e32 v31, v55, v57, vcc
	v_cndmask_b32_e32 v53, v53, v56, vcc
	v_lshlrev_b32_e32 v30, 24, v30
	v_bfrev_b32_e32 v55, 60
	v_lshlrev_b32_e32 v53, 20, v53
	v_and_b32_e32 v30, 0x80000000, v30
	v_lshl_add_u32 v31, v31, 23, v55
	v_or3_b32 v30, v30, v31, v53
	v_lshrrev_b32_e32 v53, 16, v30
.LBB888_57:
	s_or_b64 exec, exec, s[10:11]
.LBB888_58:
	s_or_b64 exec, exec, s[8:9]
.LBB888_59:
	s_or_b64 exec, exec, s[2:3]
	s_mov_b32 s2, 0x5040100
	v_perm_b32 v31, v45, v51, s2
	v_perm_b32 v30, v44, v43, s2
	;; [unrolled: 1-line block ×4, first 2 shown]
	v_mov_b32_e32 v51, 0
	s_waitcnt lgkmcnt(0)
	v_mfma_f32_16x16x16bf16_1k v[56:59], v[30:31], v[26:27], 0
	v_mov_b32_e32 v31, 0
	v_cmp_ne_u16_sdwa s[8:9], v32, v31 src0_sel:BYTE_0 src1_sel:DWORD
	v_mfma_f32_16x16x16bf16_1k v[42:45], v[42:43], v[28:29], v[56:59]
	s_and_saveexec_b64 s[2:3], s[8:9]
	s_cbranch_execz .LBB888_65
; %bb.60:
	s_movk_i32 s8, 0x80
	v_cmp_ne_u16_sdwa s[10:11], v32, s8 src0_sel:BYTE_0 src1_sel:DWORD
	v_mov_b32_e32 v51, 0xffff8000
	s_and_saveexec_b64 s[8:9], s[10:11]
	s_cbranch_execz .LBB888_64
; %bb.61:
	s_movk_i32 s10, 0x7f
	v_and_b32_e32 v30, 0x7f, v32
	v_cmp_ne_u32_e32 vcc, s10, v30
	v_mov_b32_e32 v51, 0x7f80
	s_and_saveexec_b64 s[10:11], vcc
	s_cbranch_execz .LBB888_63
; %bb.62:
	v_and_b32_e32 v51, 7, v32
	v_ffbh_u32_e32 v52, v51
	v_min_u32_e32 v55, 32, v52
	v_subrev_u32_e32 v52, 28, v55
	v_lshlrev_b64 v[52:53], v52, v[32:33]
	v_lshrrev_b32_e32 v54, 3, v30
	v_sub_u32_e32 v53, 29, v55
	v_and_b32_e32 v52, 7, v52
	v_cmp_gt_u32_e32 vcc, 8, v30
	v_cndmask_b32_e32 v30, v54, v53, vcc
	v_cndmask_b32_e32 v51, v51, v52, vcc
	v_lshlrev_b32_e32 v52, 24, v32
	v_bfrev_b32_e32 v53, 60
	v_lshlrev_b32_e32 v51, 20, v51
	v_and_b32_e32 v52, 0x80000000, v52
	v_lshl_add_u32 v30, v30, 23, v53
	v_or3_b32 v30, v52, v30, v51
	v_lshrrev_b32_e32 v51, 16, v30
.LBB888_63:
	s_or_b64 exec, exec, s[10:11]
.LBB888_64:
	s_or_b64 exec, exec, s[8:9]
.LBB888_65:
	s_or_b64 exec, exec, s[2:3]
	v_lshrrev_b16_e32 v30, 8, v32
	v_cmp_ne_u16_e32 vcc, 0, v30
	s_and_saveexec_b64 s[2:3], vcc
	s_cbranch_execz .LBB888_71
; %bb.66:
	s_movk_i32 s8, 0x80
	v_cmp_ne_u16_e32 vcc, s8, v30
	v_mov_b32_e32 v31, 0xffff8000
	s_and_saveexec_b64 s[8:9], vcc
	s_cbranch_execz .LBB888_70
; %bb.67:
	s_movk_i32 s10, 0x7f
	v_and_b32_e32 v52, 0x7f, v30
	v_cmp_ne_u32_e32 vcc, s10, v52
	v_mov_b32_e32 v31, 0x7f80
	s_and_saveexec_b64 s[10:11], vcc
	s_cbranch_execz .LBB888_69
; %bb.68:
	v_and_b32_e32 v53, 7, v30
	v_ffbh_u32_e32 v31, v53
	v_min_u32_e32 v55, 32, v31
	v_subrev_u32_e32 v31, 28, v55
	v_lshlrev_b64 v[30:31], v31, v[30:31]
	v_lshrrev_b32_e32 v54, 3, v52
	v_sub_u32_e32 v31, 29, v55
	v_and_b32_e32 v30, 7, v30
	v_cmp_gt_u32_e32 vcc, 8, v52
	v_cndmask_b32_e32 v31, v54, v31, vcc
	v_cndmask_b32_e32 v30, v53, v30, vcc
	v_lshlrev_b32_e32 v52, 16, v32
	v_bfrev_b32_e32 v53, 60
	v_lshlrev_b32_e32 v30, 20, v30
	v_and_b32_e32 v52, 0x80000000, v52
	v_lshl_add_u32 v31, v31, 23, v53
	v_or3_b32 v30, v52, v31, v30
	v_lshrrev_b32_e32 v31, 16, v30
.LBB888_69:
	s_or_b64 exec, exec, s[10:11]
.LBB888_70:
	s_or_b64 exec, exec, s[8:9]
.LBB888_71:
	s_or_b64 exec, exec, s[2:3]
	s_movk_i32 s2, 0xff
	v_and_b32_sdwa v54, v32, s2 dst_sel:DWORD dst_unused:UNUSED_PAD src0_sel:WORD_1 src1_sel:DWORD
	v_lshrrev_b32_e32 v30, 16, v32
	v_cmp_ne_u16_e32 vcc, 0, v54
	v_mov_b32_e32 v52, 0
	v_mov_b32_e32 v53, 0
	s_and_saveexec_b64 s[2:3], vcc
	s_cbranch_execz .LBB888_77
; %bb.72:
	s_movk_i32 s8, 0x80
	v_cmp_ne_u16_e32 vcc, s8, v54
	v_mov_b32_e32 v53, 0xffff8000
	s_and_saveexec_b64 s[8:9], vcc
	s_cbranch_execz .LBB888_76
; %bb.73:
	v_bfe_u32 v54, v32, 16, 7
	s_movk_i32 s10, 0x7f
	v_cmp_ne_u32_e32 vcc, s10, v54
	v_mov_b32_e32 v53, 0x7f80
	s_and_saveexec_b64 s[10:11], vcc
	s_cbranch_execz .LBB888_75
; %bb.74:
	v_and_b32_e32 v53, 7, v30
	v_ffbh_u32_e32 v56, v53
	v_min_u32_e32 v58, 32, v56
	v_subrev_u32_e32 v56, 28, v58
	v_lshlrev_b64 v[56:57], v56, v[30:31]
	v_lshrrev_b32_e32 v55, 3, v54
	v_sub_u32_e32 v30, 29, v58
	v_and_b32_e32 v56, 7, v56
	v_cmp_gt_u32_e32 vcc, 8, v54
	v_mov_b32_e32 v54, 24
	v_cndmask_b32_e32 v30, v55, v30, vcc
	v_cndmask_b32_e32 v53, v53, v56, vcc
	v_lshlrev_b32_sdwa v54, v54, v32 dst_sel:DWORD dst_unused:UNUSED_PAD src0_sel:DWORD src1_sel:WORD_1
	v_bfrev_b32_e32 v55, 60
	v_lshlrev_b32_e32 v53, 20, v53
	v_and_b32_e32 v54, 0x80000000, v54
	v_lshl_add_u32 v30, v30, 23, v55
	v_or3_b32 v30, v54, v30, v53
	v_lshrrev_b32_e32 v53, 16, v30
.LBB888_75:
	s_or_b64 exec, exec, s[10:11]
.LBB888_76:
	s_or_b64 exec, exec, s[8:9]
.LBB888_77:
	s_or_b64 exec, exec, s[2:3]
	s_mov_b32 s2, 0xffffff
	v_cmp_lt_u32_e32 vcc, s2, v32
	s_and_saveexec_b64 s[2:3], vcc
	s_cbranch_execz .LBB888_83
; %bb.78:
	v_lshrrev_b32_e32 v30, 24, v32
	s_movk_i32 s8, 0x80
	v_cmp_ne_u32_e32 vcc, s8, v30
	v_mov_b32_e32 v52, 0xffff8000
	s_and_saveexec_b64 s[8:9], vcc
	s_cbranch_execz .LBB888_82
; %bb.79:
	v_bfe_u32 v32, v32, 24, 7
	s_movk_i32 s10, 0x7f
	v_cmp_ne_u32_e32 vcc, s10, v32
	v_mov_b32_e32 v52, 0x7f80
	s_and_saveexec_b64 s[10:11], vcc
	s_cbranch_execz .LBB888_81
; %bb.80:
	v_and_b32_e32 v52, 7, v30
	v_ffbh_u32_e32 v54, v52
	v_min_u32_e32 v57, 32, v54
	v_subrev_u32_e32 v54, 28, v57
	v_lshlrev_b64 v[54:55], v54, v[30:31]
	v_lshrrev_b32_e32 v56, 3, v32
	v_sub_u32_e32 v55, 29, v57
	v_and_b32_e32 v54, 7, v54
	v_cmp_gt_u32_e32 vcc, 8, v32
	v_cndmask_b32_e32 v32, v56, v55, vcc
	v_cndmask_b32_e32 v52, v52, v54, vcc
	v_lshlrev_b32_e32 v30, 24, v30
	v_bfrev_b32_e32 v54, 60
	v_lshlrev_b32_e32 v52, 20, v52
	v_and_b32_e32 v30, 0x80000000, v30
	v_lshl_add_u32 v32, v32, 23, v54
	v_or3_b32 v30, v30, v32, v52
	v_lshrrev_b32_e32 v52, 16, v30
.LBB888_81:
	s_or_b64 exec, exec, s[10:11]
.LBB888_82:
	s_or_b64 exec, exec, s[8:9]
.LBB888_83:
	s_or_b64 exec, exec, s[2:3]
	v_mov_b32_e32 v32, 0
	v_cmp_ne_u16_sdwa s[8:9], v33, v32 src0_sel:BYTE_0 src1_sel:DWORD
	v_mov_b32_e32 v54, 0
	s_and_saveexec_b64 s[2:3], s[8:9]
	s_cbranch_execz .LBB888_89
; %bb.84:
	s_movk_i32 s8, 0x80
	v_cmp_ne_u16_sdwa s[10:11], v33, s8 src0_sel:BYTE_0 src1_sel:DWORD
	v_mov_b32_e32 v54, 0xffff8000
	s_and_saveexec_b64 s[8:9], s[10:11]
	s_cbranch_execz .LBB888_88
; %bb.85:
	s_movk_i32 s10, 0x7f
	v_and_b32_e32 v30, 0x7f, v33
	v_cmp_ne_u32_e32 vcc, s10, v30
	v_mov_b32_e32 v54, 0x7f80
	s_and_saveexec_b64 s[10:11], vcc
	s_cbranch_execz .LBB888_87
; %bb.86:
	v_and_b32_e32 v56, 7, v33
	v_ffbh_u32_e32 v55, v56
	v_min_u32_e32 v58, 32, v55
	v_mov_b32_e32 v54, v33
	v_subrev_u32_e32 v55, 28, v58
	v_lshlrev_b64 v[54:55], v55, v[54:55]
	v_lshrrev_b32_e32 v57, 3, v30
	v_sub_u32_e32 v55, 29, v58
	v_and_b32_e32 v54, 7, v54
	v_cmp_gt_u32_e32 vcc, 8, v30
	v_cndmask_b32_e32 v30, v57, v55, vcc
	v_cndmask_b32_e32 v54, v56, v54, vcc
	v_lshlrev_b32_e32 v55, 24, v33
	v_bfrev_b32_e32 v56, 60
	v_lshlrev_b32_e32 v54, 20, v54
	v_and_b32_e32 v55, 0x80000000, v55
	v_lshl_add_u32 v30, v30, 23, v56
	v_or3_b32 v30, v55, v30, v54
	v_lshrrev_b32_e32 v54, 16, v30
.LBB888_87:
	s_or_b64 exec, exec, s[10:11]
.LBB888_88:
	s_or_b64 exec, exec, s[8:9]
.LBB888_89:
	s_or_b64 exec, exec, s[2:3]
	v_lshrrev_b16_e32 v30, 8, v33
	v_cmp_ne_u16_e32 vcc, 0, v30
	s_and_saveexec_b64 s[2:3], vcc
	s_cbranch_execz .LBB888_95
; %bb.90:
	s_movk_i32 s8, 0x80
	v_cmp_ne_u16_e32 vcc, s8, v30
	v_mov_b32_e32 v32, 0xffff8000
	s_and_saveexec_b64 s[8:9], vcc
	s_cbranch_execz .LBB888_94
; %bb.91:
	s_movk_i32 s10, 0x7f
	v_and_b32_e32 v55, 0x7f, v30
	v_cmp_ne_u32_e32 vcc, s10, v55
	v_mov_b32_e32 v32, 0x7f80
	s_and_saveexec_b64 s[10:11], vcc
	s_cbranch_execz .LBB888_93
; %bb.92:
	v_and_b32_e32 v32, 7, v30
	v_ffbh_u32_e32 v56, v32
	v_min_u32_e32 v59, 32, v56
	v_subrev_u32_e32 v56, 28, v59
	v_lshlrev_b64 v[56:57], v56, v[30:31]
	v_lshrrev_b32_e32 v58, 3, v55
	v_sub_u32_e32 v30, 29, v59
	v_and_b32_e32 v56, 7, v56
	v_cmp_gt_u32_e32 vcc, 8, v55
	v_cndmask_b32_e32 v30, v58, v30, vcc
	v_cndmask_b32_e32 v32, v32, v56, vcc
	v_lshlrev_b32_e32 v55, 16, v33
	v_bfrev_b32_e32 v56, 60
	v_lshlrev_b32_e32 v32, 20, v32
	v_and_b32_e32 v55, 0x80000000, v55
	v_lshl_add_u32 v30, v30, 23, v56
	v_or3_b32 v30, v55, v30, v32
	v_lshrrev_b32_e32 v32, 16, v30
.LBB888_93:
	s_or_b64 exec, exec, s[10:11]
.LBB888_94:
	s_or_b64 exec, exec, s[8:9]
.LBB888_95:
	s_or_b64 exec, exec, s[2:3]
	s_movk_i32 s2, 0xff
	v_and_b32_sdwa v57, v33, s2 dst_sel:DWORD dst_unused:UNUSED_PAD src0_sel:WORD_1 src1_sel:DWORD
	v_lshrrev_b32_e32 v30, 16, v33
	v_cmp_ne_u16_e32 vcc, 0, v57
	v_mov_b32_e32 v55, 0
	v_mov_b32_e32 v56, 0
	s_and_saveexec_b64 s[2:3], vcc
	s_cbranch_execz .LBB888_101
; %bb.96:
	s_movk_i32 s8, 0x80
	v_cmp_ne_u16_e32 vcc, s8, v57
	v_mov_b32_e32 v56, 0xffff8000
	s_and_saveexec_b64 s[8:9], vcc
	s_cbranch_execz .LBB888_100
; %bb.97:
	v_bfe_u32 v57, v33, 16, 7
	s_movk_i32 s10, 0x7f
	v_cmp_ne_u32_e32 vcc, s10, v57
	v_mov_b32_e32 v56, 0x7f80
	s_and_saveexec_b64 s[10:11], vcc
	s_cbranch_execz .LBB888_99
; %bb.98:
	v_and_b32_e32 v56, 7, v30
	v_ffbh_u32_e32 v58, v56
	v_min_u32_e32 v61, 32, v58
	v_subrev_u32_e32 v58, 28, v61
	v_lshlrev_b64 v[58:59], v58, v[30:31]
	v_lshrrev_b32_e32 v60, 3, v57
	v_sub_u32_e32 v30, 29, v61
	v_and_b32_e32 v58, 7, v58
	v_cmp_gt_u32_e32 vcc, 8, v57
	v_mov_b32_e32 v57, 24
	v_cndmask_b32_e32 v30, v60, v30, vcc
	v_cndmask_b32_e32 v56, v56, v58, vcc
	v_lshlrev_b32_sdwa v57, v57, v33 dst_sel:DWORD dst_unused:UNUSED_PAD src0_sel:DWORD src1_sel:WORD_1
	v_bfrev_b32_e32 v58, 60
	v_lshlrev_b32_e32 v56, 20, v56
	v_and_b32_e32 v57, 0x80000000, v57
	v_lshl_add_u32 v30, v30, 23, v58
	v_or3_b32 v30, v57, v30, v56
	v_lshrrev_b32_e32 v56, 16, v30
.LBB888_99:
	s_or_b64 exec, exec, s[10:11]
.LBB888_100:
	s_or_b64 exec, exec, s[8:9]
.LBB888_101:
	s_or_b64 exec, exec, s[2:3]
	s_mov_b32 s2, 0xffffff
	v_cmp_lt_u32_e32 vcc, s2, v33
	s_and_saveexec_b64 s[2:3], vcc
	s_cbranch_execz .LBB888_107
; %bb.102:
	v_lshrrev_b32_e32 v30, 24, v33
	s_movk_i32 s8, 0x80
	v_cmp_ne_u32_e32 vcc, s8, v30
	v_mov_b32_e32 v55, 0xffff8000
	s_and_saveexec_b64 s[8:9], vcc
	s_cbranch_execz .LBB888_106
; %bb.103:
	v_bfe_u32 v33, v33, 24, 7
	s_movk_i32 s10, 0x7f
	v_cmp_ne_u32_e32 vcc, s10, v33
	v_mov_b32_e32 v55, 0x7f80
	s_and_saveexec_b64 s[10:11], vcc
	s_cbranch_execz .LBB888_105
; %bb.104:
	v_and_b32_e32 v55, 7, v30
	v_ffbh_u32_e32 v58, v55
	v_min_u32_e32 v60, 32, v58
	v_subrev_u32_e32 v58, 28, v60
	v_lshlrev_b64 v[58:59], v58, v[30:31]
	v_lshrrev_b32_e32 v57, 3, v33
	v_sub_u32_e32 v59, 29, v60
	v_and_b32_e32 v58, 7, v58
	v_cmp_gt_u32_e32 vcc, 8, v33
	v_cndmask_b32_e32 v33, v57, v59, vcc
	v_cndmask_b32_e32 v55, v55, v58, vcc
	v_lshlrev_b32_e32 v30, 24, v30
	v_bfrev_b32_e32 v57, 60
	v_lshlrev_b32_e32 v55, 20, v55
	v_and_b32_e32 v30, 0x80000000, v30
	v_lshl_add_u32 v33, v33, 23, v57
	v_or3_b32 v30, v30, v33, v55
	v_lshrrev_b32_e32 v55, 16, v30
.LBB888_105:
	s_or_b64 exec, exec, s[10:11]
.LBB888_106:
	s_or_b64 exec, exec, s[8:9]
.LBB888_107:
	s_or_b64 exec, exec, s[2:3]
	s_mov_b32 s2, 0x5040100
	v_perm_b32 v53, v52, v53, s2
	v_perm_b32 v52, v31, v51, s2
	v_perm_b32 v31, v55, v56, s2
	v_perm_b32 v30, v32, v54, s2
	v_mfma_f32_16x16x16bf16_1k v[58:61], v[52:53], v[18:19], v[42:45]
	s_nop 6
	v_mov_b32_e32 v43, 0
	s_waitcnt vmcnt(6)
	v_cmp_ne_u16_sdwa s[8:9], v38, v43 src0_sel:BYTE_0 src1_sel:DWORD
	v_mfma_f32_16x16x16bf16_1k v[30:33], v[30:31], v[20:21], v[58:61]
	v_mov_b32_e32 v44, 0
	s_and_saveexec_b64 s[2:3], s[8:9]
	s_cbranch_execz .LBB888_113
; %bb.108:
	s_movk_i32 s8, 0x80
	v_cmp_ne_u16_sdwa s[10:11], v38, s8 src0_sel:BYTE_0 src1_sel:DWORD
	v_mov_b32_e32 v44, 0xffff8000
	s_and_saveexec_b64 s[8:9], s[10:11]
	s_cbranch_execz .LBB888_112
; %bb.109:
	s_movk_i32 s10, 0x7f
	v_and_b32_e32 v42, 0x7f, v38
	v_cmp_ne_u32_e32 vcc, s10, v42
	v_mov_b32_e32 v44, 0x7f80
	s_and_saveexec_b64 s[10:11], vcc
	s_cbranch_execz .LBB888_111
; %bb.110:
	v_and_b32_e32 v51, 7, v38
	v_ffbh_u32_e32 v44, v51
	v_min_u32_e32 v53, 32, v44
	v_subrev_u32_e32 v44, 28, v53
	v_lshlrev_b64 v[44:45], v44, v[38:39]
	v_lshrrev_b32_e32 v52, 3, v42
	v_sub_u32_e32 v45, 29, v53
	v_and_b32_e32 v44, 7, v44
	v_cmp_gt_u32_e32 vcc, 8, v42
	v_cndmask_b32_e32 v42, v52, v45, vcc
	v_cndmask_b32_e32 v44, v51, v44, vcc
	v_lshlrev_b32_e32 v45, 24, v38
	v_bfrev_b32_e32 v51, 60
	v_lshlrev_b32_e32 v44, 20, v44
	v_and_b32_e32 v45, 0x80000000, v45
	v_lshl_add_u32 v42, v42, 23, v51
	v_or3_b32 v42, v45, v42, v44
	v_lshrrev_b32_e32 v44, 16, v42
.LBB888_111:
	s_or_b64 exec, exec, s[10:11]
.LBB888_112:
	s_or_b64 exec, exec, s[8:9]
.LBB888_113:
	s_or_b64 exec, exec, s[2:3]
	v_lshrrev_b16_e32 v42, 8, v38
	v_cmp_ne_u16_e32 vcc, 0, v42
	s_and_saveexec_b64 s[2:3], vcc
	s_cbranch_execz .LBB888_119
; %bb.114:
	s_movk_i32 s8, 0x80
	v_cmp_ne_u16_e32 vcc, s8, v42
	v_mov_b32_e32 v43, 0xffff8000
	s_and_saveexec_b64 s[8:9], vcc
	s_cbranch_execz .LBB888_118
; %bb.115:
	s_movk_i32 s10, 0x7f
	v_and_b32_e32 v45, 0x7f, v42
	v_cmp_ne_u32_e32 vcc, s10, v45
	v_mov_b32_e32 v43, 0x7f80
	s_and_saveexec_b64 s[10:11], vcc
	s_cbranch_execz .LBB888_117
; %bb.116:
	v_and_b32_e32 v51, 7, v42
	v_ffbh_u32_e32 v43, v51
	v_min_u32_e32 v53, 32, v43
	v_subrev_u32_e32 v43, 28, v53
	v_lshlrev_b64 v[42:43], v43, v[42:43]
	v_lshrrev_b32_e32 v52, 3, v45
	v_sub_u32_e32 v43, 29, v53
	v_and_b32_e32 v42, 7, v42
	v_cmp_gt_u32_e32 vcc, 8, v45
	v_cndmask_b32_e32 v43, v52, v43, vcc
	v_cndmask_b32_e32 v42, v51, v42, vcc
	v_lshlrev_b32_e32 v45, 16, v38
	v_bfrev_b32_e32 v51, 60
	v_lshlrev_b32_e32 v42, 20, v42
	v_and_b32_e32 v45, 0x80000000, v45
	v_lshl_add_u32 v43, v43, 23, v51
	v_or3_b32 v42, v45, v43, v42
	v_lshrrev_b32_e32 v43, 16, v42
.LBB888_117:
	s_or_b64 exec, exec, s[10:11]
.LBB888_118:
	s_or_b64 exec, exec, s[8:9]
.LBB888_119:
	s_or_b64 exec, exec, s[2:3]
	s_movk_i32 s2, 0xff
	v_and_b32_sdwa v52, v38, s2 dst_sel:DWORD dst_unused:UNUSED_PAD src0_sel:WORD_1 src1_sel:DWORD
	v_lshrrev_b32_e32 v42, 16, v38
	v_cmp_ne_u16_e32 vcc, 0, v52
	v_mov_b32_e32 v45, 0
	v_mov_b32_e32 v51, 0
	s_and_saveexec_b64 s[2:3], vcc
	s_cbranch_execz .LBB888_125
; %bb.120:
	s_movk_i32 s8, 0x80
	v_cmp_ne_u16_e32 vcc, s8, v52
	v_mov_b32_e32 v51, 0xffff8000
	s_and_saveexec_b64 s[8:9], vcc
	s_cbranch_execz .LBB888_124
; %bb.121:
	v_bfe_u32 v52, v38, 16, 7
	s_movk_i32 s10, 0x7f
	v_cmp_ne_u32_e32 vcc, s10, v52
	v_mov_b32_e32 v51, 0x7f80
	s_and_saveexec_b64 s[10:11], vcc
	s_cbranch_execz .LBB888_123
; %bb.122:
	v_and_b32_e32 v51, 7, v42
	v_ffbh_u32_e32 v54, v51
	v_min_u32_e32 v56, 32, v54
	v_subrev_u32_e32 v54, 28, v56
	v_lshlrev_b64 v[54:55], v54, v[42:43]
	v_lshrrev_b32_e32 v53, 3, v52
	v_sub_u32_e32 v42, 29, v56
	v_and_b32_e32 v54, 7, v54
	v_cmp_gt_u32_e32 vcc, 8, v52
	v_mov_b32_e32 v52, 24
	v_cndmask_b32_e32 v42, v53, v42, vcc
	v_cndmask_b32_e32 v51, v51, v54, vcc
	v_lshlrev_b32_sdwa v52, v52, v38 dst_sel:DWORD dst_unused:UNUSED_PAD src0_sel:DWORD src1_sel:WORD_1
	v_bfrev_b32_e32 v53, 60
	v_lshlrev_b32_e32 v51, 20, v51
	v_and_b32_e32 v52, 0x80000000, v52
	v_lshl_add_u32 v42, v42, 23, v53
	v_or3_b32 v42, v52, v42, v51
	v_lshrrev_b32_e32 v51, 16, v42
.LBB888_123:
	s_or_b64 exec, exec, s[10:11]
.LBB888_124:
	s_or_b64 exec, exec, s[8:9]
.LBB888_125:
	s_or_b64 exec, exec, s[2:3]
	s_mov_b32 s2, 0xffffff
	v_cmp_lt_u32_e32 vcc, s2, v38
	s_and_saveexec_b64 s[2:3], vcc
	s_cbranch_execz .LBB888_131
; %bb.126:
	v_lshrrev_b32_e32 v42, 24, v38
	s_movk_i32 s8, 0x80
	v_cmp_ne_u32_e32 vcc, s8, v42
	v_mov_b32_e32 v45, 0xffff8000
	s_and_saveexec_b64 s[8:9], vcc
	s_cbranch_execz .LBB888_130
; %bb.127:
	v_bfe_u32 v38, v38, 24, 7
	s_movk_i32 s10, 0x7f
	v_cmp_ne_u32_e32 vcc, s10, v38
	v_mov_b32_e32 v45, 0x7f80
	s_and_saveexec_b64 s[10:11], vcc
	s_cbranch_execz .LBB888_129
; %bb.128:
	v_and_b32_e32 v45, 7, v42
	v_ffbh_u32_e32 v52, v45
	v_min_u32_e32 v55, 32, v52
	v_subrev_u32_e32 v52, 28, v55
	v_lshlrev_b64 v[52:53], v52, v[42:43]
	v_lshrrev_b32_e32 v54, 3, v38
	v_sub_u32_e32 v53, 29, v55
	v_and_b32_e32 v52, 7, v52
	v_cmp_gt_u32_e32 vcc, 8, v38
	v_cndmask_b32_e32 v38, v54, v53, vcc
	v_cndmask_b32_e32 v45, v45, v52, vcc
	v_lshlrev_b32_e32 v42, 24, v42
	v_bfrev_b32_e32 v52, 60
	v_lshlrev_b32_e32 v45, 20, v45
	v_and_b32_e32 v42, 0x80000000, v42
	v_lshl_add_u32 v38, v38, 23, v52
	v_or3_b32 v38, v42, v38, v45
	v_lshrrev_b32_e32 v45, 16, v38
.LBB888_129:
	s_or_b64 exec, exec, s[10:11]
.LBB888_130:
	s_or_b64 exec, exec, s[8:9]
.LBB888_131:
	s_or_b64 exec, exec, s[2:3]
	v_mov_b32_e32 v42, 0
	v_cmp_ne_u16_sdwa s[8:9], v39, v42 src0_sel:BYTE_0 src1_sel:DWORD
	v_mov_b32_e32 v52, 0
	s_and_saveexec_b64 s[2:3], s[8:9]
	s_cbranch_execz .LBB888_137
; %bb.132:
	s_movk_i32 s8, 0x80
	v_cmp_ne_u16_sdwa s[10:11], v39, s8 src0_sel:BYTE_0 src1_sel:DWORD
	v_mov_b32_e32 v52, 0xffff8000
	s_and_saveexec_b64 s[8:9], s[10:11]
	s_cbranch_execz .LBB888_136
; %bb.133:
	s_movk_i32 s10, 0x7f
	v_and_b32_e32 v38, 0x7f, v39
	v_cmp_ne_u32_e32 vcc, s10, v38
	v_mov_b32_e32 v52, 0x7f80
	s_and_saveexec_b64 s[10:11], vcc
	s_cbranch_execz .LBB888_135
; %bb.134:
	v_and_b32_e32 v54, 7, v39
	v_ffbh_u32_e32 v53, v54
	v_min_u32_e32 v56, 32, v53
	v_mov_b32_e32 v52, v39
	v_subrev_u32_e32 v53, 28, v56
	v_lshlrev_b64 v[52:53], v53, v[52:53]
	v_lshrrev_b32_e32 v55, 3, v38
	v_sub_u32_e32 v53, 29, v56
	v_and_b32_e32 v52, 7, v52
	v_cmp_gt_u32_e32 vcc, 8, v38
	v_cndmask_b32_e32 v38, v55, v53, vcc
	v_cndmask_b32_e32 v52, v54, v52, vcc
	v_lshlrev_b32_e32 v53, 24, v39
	v_bfrev_b32_e32 v54, 60
	v_lshlrev_b32_e32 v52, 20, v52
	v_and_b32_e32 v53, 0x80000000, v53
	v_lshl_add_u32 v38, v38, 23, v54
	v_or3_b32 v38, v53, v38, v52
	v_lshrrev_b32_e32 v52, 16, v38
.LBB888_135:
	s_or_b64 exec, exec, s[10:11]
.LBB888_136:
	s_or_b64 exec, exec, s[8:9]
.LBB888_137:
	s_or_b64 exec, exec, s[2:3]
	v_lshrrev_b16_e32 v38, 8, v39
	v_cmp_ne_u16_e32 vcc, 0, v38
	s_and_saveexec_b64 s[2:3], vcc
	s_cbranch_execz .LBB888_143
; %bb.138:
	s_movk_i32 s8, 0x80
	v_cmp_ne_u16_e32 vcc, s8, v38
	v_mov_b32_e32 v42, 0xffff8000
	s_and_saveexec_b64 s[8:9], vcc
	s_cbranch_execz .LBB888_142
; %bb.139:
	s_movk_i32 s10, 0x7f
	v_and_b32_e32 v53, 0x7f, v38
	v_cmp_ne_u32_e32 vcc, s10, v53
	v_mov_b32_e32 v42, 0x7f80
	s_and_saveexec_b64 s[10:11], vcc
	s_cbranch_execz .LBB888_141
; %bb.140:
	v_and_b32_e32 v42, 7, v38
	v_ffbh_u32_e32 v54, v42
	v_min_u32_e32 v57, 32, v54
	v_subrev_u32_e32 v54, 28, v57
	v_lshlrev_b64 v[54:55], v54, v[38:39]
	v_lshrrev_b32_e32 v56, 3, v53
	v_sub_u32_e32 v38, 29, v57
	v_and_b32_e32 v54, 7, v54
	v_cmp_gt_u32_e32 vcc, 8, v53
	v_cndmask_b32_e32 v38, v56, v38, vcc
	v_cndmask_b32_e32 v42, v42, v54, vcc
	v_lshlrev_b32_e32 v53, 16, v39
	v_bfrev_b32_e32 v54, 60
	v_lshlrev_b32_e32 v42, 20, v42
	v_and_b32_e32 v53, 0x80000000, v53
	v_lshl_add_u32 v38, v38, 23, v54
	v_or3_b32 v38, v53, v38, v42
	v_lshrrev_b32_e32 v42, 16, v38
.LBB888_141:
	s_or_b64 exec, exec, s[10:11]
.LBB888_142:
	s_or_b64 exec, exec, s[8:9]
.LBB888_143:
	s_or_b64 exec, exec, s[2:3]
	s_movk_i32 s2, 0xff
	v_and_b32_sdwa v55, v39, s2 dst_sel:DWORD dst_unused:UNUSED_PAD src0_sel:WORD_1 src1_sel:DWORD
	v_lshrrev_b32_e32 v38, 16, v39
	v_cmp_ne_u16_e32 vcc, 0, v55
	v_mov_b32_e32 v53, 0
	v_mov_b32_e32 v54, 0
	s_and_saveexec_b64 s[2:3], vcc
	s_cbranch_execz .LBB888_149
; %bb.144:
	s_movk_i32 s8, 0x80
	v_cmp_ne_u16_e32 vcc, s8, v55
	v_mov_b32_e32 v54, 0xffff8000
	s_and_saveexec_b64 s[8:9], vcc
	s_cbranch_execz .LBB888_148
; %bb.145:
	v_bfe_u32 v55, v39, 16, 7
	s_movk_i32 s10, 0x7f
	v_cmp_ne_u32_e32 vcc, s10, v55
	v_mov_b32_e32 v54, 0x7f80
	s_and_saveexec_b64 s[10:11], vcc
	s_cbranch_execz .LBB888_147
; %bb.146:
	v_and_b32_e32 v54, 7, v38
	v_ffbh_u32_e32 v56, v54
	v_min_u32_e32 v59, 32, v56
	v_subrev_u32_e32 v56, 28, v59
	v_lshlrev_b64 v[56:57], v56, v[38:39]
	v_lshrrev_b32_e32 v58, 3, v55
	v_sub_u32_e32 v38, 29, v59
	v_and_b32_e32 v56, 7, v56
	v_cmp_gt_u32_e32 vcc, 8, v55
	v_mov_b32_e32 v55, 24
	v_cndmask_b32_e32 v38, v58, v38, vcc
	v_cndmask_b32_e32 v54, v54, v56, vcc
	v_lshlrev_b32_sdwa v55, v55, v39 dst_sel:DWORD dst_unused:UNUSED_PAD src0_sel:DWORD src1_sel:WORD_1
	v_bfrev_b32_e32 v56, 60
	v_lshlrev_b32_e32 v54, 20, v54
	v_and_b32_e32 v55, 0x80000000, v55
	v_lshl_add_u32 v38, v38, 23, v56
	v_or3_b32 v38, v55, v38, v54
	v_lshrrev_b32_e32 v54, 16, v38
.LBB888_147:
	s_or_b64 exec, exec, s[10:11]
.LBB888_148:
	s_or_b64 exec, exec, s[8:9]
.LBB888_149:
	s_or_b64 exec, exec, s[2:3]
	s_mov_b32 s2, 0xffffff
	v_cmp_lt_u32_e32 vcc, s2, v39
	s_and_saveexec_b64 s[2:3], vcc
	s_cbranch_execz .LBB888_155
; %bb.150:
	v_lshrrev_b32_e32 v38, 24, v39
	s_movk_i32 s8, 0x80
	v_cmp_ne_u32_e32 vcc, s8, v38
	v_mov_b32_e32 v53, 0xffff8000
	s_and_saveexec_b64 s[8:9], vcc
	s_cbranch_execz .LBB888_154
; %bb.151:
	v_bfe_u32 v39, v39, 24, 7
	s_movk_i32 s10, 0x7f
	v_cmp_ne_u32_e32 vcc, s10, v39
	v_mov_b32_e32 v53, 0x7f80
	s_and_saveexec_b64 s[10:11], vcc
	s_cbranch_execz .LBB888_153
; %bb.152:
	v_and_b32_e32 v53, 7, v38
	v_ffbh_u32_e32 v56, v53
	v_min_u32_e32 v58, 32, v56
	v_subrev_u32_e32 v56, 28, v58
	v_lshlrev_b64 v[56:57], v56, v[38:39]
	v_lshrrev_b32_e32 v55, 3, v39
	v_sub_u32_e32 v57, 29, v58
	v_and_b32_e32 v56, 7, v56
	v_cmp_gt_u32_e32 vcc, 8, v39
	v_cndmask_b32_e32 v39, v55, v57, vcc
	v_cndmask_b32_e32 v53, v53, v56, vcc
	v_lshlrev_b32_e32 v38, 24, v38
	v_bfrev_b32_e32 v55, 60
	v_lshlrev_b32_e32 v53, 20, v53
	v_and_b32_e32 v38, 0x80000000, v38
	v_lshl_add_u32 v39, v39, 23, v55
	v_or3_b32 v38, v38, v39, v53
	v_lshrrev_b32_e32 v53, 16, v38
.LBB888_153:
	s_or_b64 exec, exec, s[10:11]
.LBB888_154:
	s_or_b64 exec, exec, s[8:9]
.LBB888_155:
	s_or_b64 exec, exec, s[2:3]
	s_mov_b32 s2, 0x5040100
	v_perm_b32 v39, v45, v51, s2
	v_perm_b32 v38, v43, v44, s2
	;; [unrolled: 1-line block ×4, first 2 shown]
	v_mov_b32_e32 v51, 0
	v_mfma_f32_16x16x16bf16_1k v[56:59], v[38:39], v[26:27], 0
	v_mov_b32_e32 v39, 0
	v_cmp_ne_u16_sdwa s[8:9], v40, v39 src0_sel:BYTE_0 src1_sel:DWORD
	v_mfma_f32_16x16x16bf16_1k v[42:45], v[42:43], v[28:29], v[56:59]
	s_and_saveexec_b64 s[2:3], s[8:9]
	s_cbranch_execz .LBB888_161
; %bb.156:
	s_movk_i32 s8, 0x80
	v_cmp_ne_u16_sdwa s[10:11], v40, s8 src0_sel:BYTE_0 src1_sel:DWORD
	v_mov_b32_e32 v51, 0xffff8000
	s_and_saveexec_b64 s[8:9], s[10:11]
	s_cbranch_execz .LBB888_160
; %bb.157:
	s_movk_i32 s10, 0x7f
	v_and_b32_e32 v38, 0x7f, v40
	v_cmp_ne_u32_e32 vcc, s10, v38
	v_mov_b32_e32 v51, 0x7f80
	s_and_saveexec_b64 s[10:11], vcc
	s_cbranch_execz .LBB888_159
; %bb.158:
	v_and_b32_e32 v51, 7, v40
	v_ffbh_u32_e32 v52, v51
	v_min_u32_e32 v55, 32, v52
	v_subrev_u32_e32 v52, 28, v55
	v_lshlrev_b64 v[52:53], v52, v[40:41]
	v_lshrrev_b32_e32 v54, 3, v38
	v_sub_u32_e32 v53, 29, v55
	v_and_b32_e32 v52, 7, v52
	v_cmp_gt_u32_e32 vcc, 8, v38
	v_cndmask_b32_e32 v38, v54, v53, vcc
	v_cndmask_b32_e32 v51, v51, v52, vcc
	v_lshlrev_b32_e32 v52, 24, v40
	v_bfrev_b32_e32 v53, 60
	v_lshlrev_b32_e32 v51, 20, v51
	v_and_b32_e32 v52, 0x80000000, v52
	v_lshl_add_u32 v38, v38, 23, v53
	v_or3_b32 v38, v52, v38, v51
	v_lshrrev_b32_e32 v51, 16, v38
.LBB888_159:
	s_or_b64 exec, exec, s[10:11]
.LBB888_160:
	s_or_b64 exec, exec, s[8:9]
.LBB888_161:
	s_or_b64 exec, exec, s[2:3]
	v_lshrrev_b16_e32 v38, 8, v40
	v_cmp_ne_u16_e32 vcc, 0, v38
	s_and_saveexec_b64 s[2:3], vcc
	s_cbranch_execz .LBB888_167
; %bb.162:
	s_movk_i32 s8, 0x80
	v_cmp_ne_u16_e32 vcc, s8, v38
	v_mov_b32_e32 v39, 0xffff8000
	s_and_saveexec_b64 s[8:9], vcc
	s_cbranch_execz .LBB888_166
; %bb.163:
	s_movk_i32 s10, 0x7f
	v_and_b32_e32 v52, 0x7f, v38
	v_cmp_ne_u32_e32 vcc, s10, v52
	v_mov_b32_e32 v39, 0x7f80
	s_and_saveexec_b64 s[10:11], vcc
	s_cbranch_execz .LBB888_165
; %bb.164:
	v_and_b32_e32 v53, 7, v38
	v_ffbh_u32_e32 v39, v53
	v_min_u32_e32 v55, 32, v39
	v_subrev_u32_e32 v39, 28, v55
	v_lshlrev_b64 v[38:39], v39, v[38:39]
	v_lshrrev_b32_e32 v54, 3, v52
	v_sub_u32_e32 v39, 29, v55
	v_and_b32_e32 v38, 7, v38
	v_cmp_gt_u32_e32 vcc, 8, v52
	v_cndmask_b32_e32 v39, v54, v39, vcc
	v_cndmask_b32_e32 v38, v53, v38, vcc
	v_lshlrev_b32_e32 v52, 16, v40
	v_bfrev_b32_e32 v53, 60
	v_lshlrev_b32_e32 v38, 20, v38
	v_and_b32_e32 v52, 0x80000000, v52
	v_lshl_add_u32 v39, v39, 23, v53
	v_or3_b32 v38, v52, v39, v38
	v_lshrrev_b32_e32 v39, 16, v38
.LBB888_165:
	s_or_b64 exec, exec, s[10:11]
.LBB888_166:
	s_or_b64 exec, exec, s[8:9]
.LBB888_167:
	s_or_b64 exec, exec, s[2:3]
	s_movk_i32 s2, 0xff
	v_and_b32_sdwa v54, v40, s2 dst_sel:DWORD dst_unused:UNUSED_PAD src0_sel:WORD_1 src1_sel:DWORD
	v_lshrrev_b32_e32 v38, 16, v40
	v_cmp_ne_u16_e32 vcc, 0, v54
	v_mov_b32_e32 v52, 0
	v_mov_b32_e32 v53, 0
	s_and_saveexec_b64 s[2:3], vcc
	s_cbranch_execz .LBB888_173
; %bb.168:
	s_movk_i32 s8, 0x80
	v_cmp_ne_u16_e32 vcc, s8, v54
	v_mov_b32_e32 v53, 0xffff8000
	s_and_saveexec_b64 s[8:9], vcc
	s_cbranch_execz .LBB888_172
; %bb.169:
	v_bfe_u32 v54, v40, 16, 7
	s_movk_i32 s10, 0x7f
	v_cmp_ne_u32_e32 vcc, s10, v54
	v_mov_b32_e32 v53, 0x7f80
	s_and_saveexec_b64 s[10:11], vcc
	s_cbranch_execz .LBB888_171
; %bb.170:
	v_and_b32_e32 v53, 7, v38
	v_ffbh_u32_e32 v56, v53
	v_min_u32_e32 v58, 32, v56
	v_subrev_u32_e32 v56, 28, v58
	v_lshlrev_b64 v[56:57], v56, v[38:39]
	v_lshrrev_b32_e32 v55, 3, v54
	v_sub_u32_e32 v38, 29, v58
	v_and_b32_e32 v56, 7, v56
	v_cmp_gt_u32_e32 vcc, 8, v54
	v_mov_b32_e32 v54, 24
	v_cndmask_b32_e32 v38, v55, v38, vcc
	v_cndmask_b32_e32 v53, v53, v56, vcc
	v_lshlrev_b32_sdwa v54, v54, v40 dst_sel:DWORD dst_unused:UNUSED_PAD src0_sel:DWORD src1_sel:WORD_1
	v_bfrev_b32_e32 v55, 60
	v_lshlrev_b32_e32 v53, 20, v53
	v_and_b32_e32 v54, 0x80000000, v54
	v_lshl_add_u32 v38, v38, 23, v55
	v_or3_b32 v38, v54, v38, v53
	v_lshrrev_b32_e32 v53, 16, v38
.LBB888_171:
	s_or_b64 exec, exec, s[10:11]
.LBB888_172:
	s_or_b64 exec, exec, s[8:9]
.LBB888_173:
	s_or_b64 exec, exec, s[2:3]
	s_mov_b32 s2, 0xffffff
	v_cmp_lt_u32_e32 vcc, s2, v40
	s_and_saveexec_b64 s[2:3], vcc
	s_cbranch_execz .LBB888_179
; %bb.174:
	v_lshrrev_b32_e32 v38, 24, v40
	s_movk_i32 s8, 0x80
	v_cmp_ne_u32_e32 vcc, s8, v38
	v_mov_b32_e32 v52, 0xffff8000
	s_and_saveexec_b64 s[8:9], vcc
	s_cbranch_execz .LBB888_178
; %bb.175:
	v_bfe_u32 v40, v40, 24, 7
	s_movk_i32 s10, 0x7f
	v_cmp_ne_u32_e32 vcc, s10, v40
	v_mov_b32_e32 v52, 0x7f80
	s_and_saveexec_b64 s[10:11], vcc
	s_cbranch_execz .LBB888_177
; %bb.176:
	v_and_b32_e32 v52, 7, v38
	v_ffbh_u32_e32 v54, v52
	v_min_u32_e32 v57, 32, v54
	v_subrev_u32_e32 v54, 28, v57
	v_lshlrev_b64 v[54:55], v54, v[38:39]
	v_lshrrev_b32_e32 v56, 3, v40
	v_sub_u32_e32 v55, 29, v57
	v_and_b32_e32 v54, 7, v54
	v_cmp_gt_u32_e32 vcc, 8, v40
	v_cndmask_b32_e32 v40, v56, v55, vcc
	v_cndmask_b32_e32 v52, v52, v54, vcc
	v_lshlrev_b32_e32 v38, 24, v38
	v_bfrev_b32_e32 v54, 60
	v_lshlrev_b32_e32 v52, 20, v52
	v_and_b32_e32 v38, 0x80000000, v38
	v_lshl_add_u32 v40, v40, 23, v54
	v_or3_b32 v38, v38, v40, v52
	v_lshrrev_b32_e32 v52, 16, v38
.LBB888_177:
	s_or_b64 exec, exec, s[10:11]
.LBB888_178:
	s_or_b64 exec, exec, s[8:9]
.LBB888_179:
	s_or_b64 exec, exec, s[2:3]
	v_mov_b32_e32 v40, 0
	v_cmp_ne_u16_sdwa s[8:9], v41, v40 src0_sel:BYTE_0 src1_sel:DWORD
	v_mov_b32_e32 v54, 0
	s_and_saveexec_b64 s[2:3], s[8:9]
	s_cbranch_execz .LBB888_185
; %bb.180:
	s_movk_i32 s8, 0x80
	v_cmp_ne_u16_sdwa s[10:11], v41, s8 src0_sel:BYTE_0 src1_sel:DWORD
	v_mov_b32_e32 v54, 0xffff8000
	s_and_saveexec_b64 s[8:9], s[10:11]
	s_cbranch_execz .LBB888_184
; %bb.181:
	s_movk_i32 s10, 0x7f
	v_and_b32_e32 v38, 0x7f, v41
	v_cmp_ne_u32_e32 vcc, s10, v38
	v_mov_b32_e32 v54, 0x7f80
	s_and_saveexec_b64 s[10:11], vcc
	s_cbranch_execz .LBB888_183
; %bb.182:
	v_and_b32_e32 v56, 7, v41
	v_ffbh_u32_e32 v55, v56
	v_min_u32_e32 v58, 32, v55
	v_mov_b32_e32 v54, v41
	v_subrev_u32_e32 v55, 28, v58
	v_lshlrev_b64 v[54:55], v55, v[54:55]
	v_lshrrev_b32_e32 v57, 3, v38
	v_sub_u32_e32 v55, 29, v58
	v_and_b32_e32 v54, 7, v54
	v_cmp_gt_u32_e32 vcc, 8, v38
	v_cndmask_b32_e32 v38, v57, v55, vcc
	v_cndmask_b32_e32 v54, v56, v54, vcc
	v_lshlrev_b32_e32 v55, 24, v41
	v_bfrev_b32_e32 v56, 60
	v_lshlrev_b32_e32 v54, 20, v54
	v_and_b32_e32 v55, 0x80000000, v55
	v_lshl_add_u32 v38, v38, 23, v56
	v_or3_b32 v38, v55, v38, v54
	v_lshrrev_b32_e32 v54, 16, v38
.LBB888_183:
	s_or_b64 exec, exec, s[10:11]
.LBB888_184:
	s_or_b64 exec, exec, s[8:9]
.LBB888_185:
	s_or_b64 exec, exec, s[2:3]
	v_lshrrev_b16_e32 v38, 8, v41
	v_cmp_ne_u16_e32 vcc, 0, v38
	s_and_saveexec_b64 s[2:3], vcc
	s_cbranch_execz .LBB888_191
; %bb.186:
	s_movk_i32 s8, 0x80
	v_cmp_ne_u16_e32 vcc, s8, v38
	v_mov_b32_e32 v40, 0xffff8000
	s_and_saveexec_b64 s[8:9], vcc
	s_cbranch_execz .LBB888_190
; %bb.187:
	s_movk_i32 s10, 0x7f
	v_and_b32_e32 v55, 0x7f, v38
	v_cmp_ne_u32_e32 vcc, s10, v55
	v_mov_b32_e32 v40, 0x7f80
	s_and_saveexec_b64 s[10:11], vcc
	s_cbranch_execz .LBB888_189
; %bb.188:
	v_and_b32_e32 v40, 7, v38
	v_ffbh_u32_e32 v56, v40
	v_min_u32_e32 v59, 32, v56
	v_subrev_u32_e32 v56, 28, v59
	v_lshlrev_b64 v[56:57], v56, v[38:39]
	v_lshrrev_b32_e32 v58, 3, v55
	v_sub_u32_e32 v38, 29, v59
	v_and_b32_e32 v56, 7, v56
	v_cmp_gt_u32_e32 vcc, 8, v55
	v_cndmask_b32_e32 v38, v58, v38, vcc
	v_cndmask_b32_e32 v40, v40, v56, vcc
	v_lshlrev_b32_e32 v55, 16, v41
	v_bfrev_b32_e32 v56, 60
	v_lshlrev_b32_e32 v40, 20, v40
	v_and_b32_e32 v55, 0x80000000, v55
	v_lshl_add_u32 v38, v38, 23, v56
	v_or3_b32 v38, v55, v38, v40
	v_lshrrev_b32_e32 v40, 16, v38
.LBB888_189:
	s_or_b64 exec, exec, s[10:11]
.LBB888_190:
	s_or_b64 exec, exec, s[8:9]
.LBB888_191:
	s_or_b64 exec, exec, s[2:3]
	s_movk_i32 s2, 0xff
	v_and_b32_sdwa v57, v41, s2 dst_sel:DWORD dst_unused:UNUSED_PAD src0_sel:WORD_1 src1_sel:DWORD
	v_lshrrev_b32_e32 v38, 16, v41
	v_cmp_ne_u16_e32 vcc, 0, v57
	v_mov_b32_e32 v55, 0
	v_mov_b32_e32 v56, 0
	s_and_saveexec_b64 s[2:3], vcc
	s_cbranch_execz .LBB888_197
; %bb.192:
	s_movk_i32 s8, 0x80
	v_cmp_ne_u16_e32 vcc, s8, v57
	v_mov_b32_e32 v56, 0xffff8000
	s_and_saveexec_b64 s[8:9], vcc
	s_cbranch_execz .LBB888_196
; %bb.193:
	v_bfe_u32 v57, v41, 16, 7
	s_movk_i32 s10, 0x7f
	v_cmp_ne_u32_e32 vcc, s10, v57
	v_mov_b32_e32 v56, 0x7f80
	s_and_saveexec_b64 s[10:11], vcc
	s_cbranch_execz .LBB888_195
; %bb.194:
	v_and_b32_e32 v56, 7, v38
	v_ffbh_u32_e32 v58, v56
	v_min_u32_e32 v61, 32, v58
	v_subrev_u32_e32 v58, 28, v61
	v_lshlrev_b64 v[58:59], v58, v[38:39]
	v_lshrrev_b32_e32 v60, 3, v57
	v_sub_u32_e32 v38, 29, v61
	v_and_b32_e32 v58, 7, v58
	v_cmp_gt_u32_e32 vcc, 8, v57
	v_mov_b32_e32 v57, 24
	v_cndmask_b32_e32 v38, v60, v38, vcc
	v_cndmask_b32_e32 v56, v56, v58, vcc
	v_lshlrev_b32_sdwa v57, v57, v41 dst_sel:DWORD dst_unused:UNUSED_PAD src0_sel:DWORD src1_sel:WORD_1
	v_bfrev_b32_e32 v58, 60
	v_lshlrev_b32_e32 v56, 20, v56
	v_and_b32_e32 v57, 0x80000000, v57
	v_lshl_add_u32 v38, v38, 23, v58
	v_or3_b32 v38, v57, v38, v56
	v_lshrrev_b32_e32 v56, 16, v38
.LBB888_195:
	s_or_b64 exec, exec, s[10:11]
.LBB888_196:
	s_or_b64 exec, exec, s[8:9]
.LBB888_197:
	s_or_b64 exec, exec, s[2:3]
	s_mov_b32 s2, 0xffffff
	v_cmp_lt_u32_e32 vcc, s2, v41
	s_and_saveexec_b64 s[2:3], vcc
	s_cbranch_execz .LBB888_203
; %bb.198:
	v_lshrrev_b32_e32 v38, 24, v41
	s_movk_i32 s8, 0x80
	v_cmp_ne_u32_e32 vcc, s8, v38
	v_mov_b32_e32 v55, 0xffff8000
	s_and_saveexec_b64 s[8:9], vcc
	s_cbranch_execz .LBB888_202
; %bb.199:
	v_bfe_u32 v41, v41, 24, 7
	s_movk_i32 s10, 0x7f
	v_cmp_ne_u32_e32 vcc, s10, v41
	v_mov_b32_e32 v55, 0x7f80
	s_and_saveexec_b64 s[10:11], vcc
	s_cbranch_execz .LBB888_201
; %bb.200:
	v_and_b32_e32 v55, 7, v38
	v_ffbh_u32_e32 v58, v55
	v_min_u32_e32 v60, 32, v58
	v_subrev_u32_e32 v58, 28, v60
	v_lshlrev_b64 v[58:59], v58, v[38:39]
	v_lshrrev_b32_e32 v57, 3, v41
	v_sub_u32_e32 v59, 29, v60
	v_and_b32_e32 v58, 7, v58
	v_cmp_gt_u32_e32 vcc, 8, v41
	v_cndmask_b32_e32 v41, v57, v59, vcc
	v_cndmask_b32_e32 v55, v55, v58, vcc
	v_lshlrev_b32_e32 v38, 24, v38
	v_bfrev_b32_e32 v57, 60
	v_lshlrev_b32_e32 v55, 20, v55
	v_and_b32_e32 v38, 0x80000000, v38
	v_lshl_add_u32 v41, v41, 23, v57
	v_or3_b32 v38, v38, v41, v55
	v_lshrrev_b32_e32 v55, 16, v38
.LBB888_201:
	s_or_b64 exec, exec, s[10:11]
.LBB888_202:
	s_or_b64 exec, exec, s[8:9]
.LBB888_203:
	s_or_b64 exec, exec, s[2:3]
	s_mov_b32 s2, 0x5040100
	v_perm_b32 v53, v52, v53, s2
	v_perm_b32 v52, v39, v51, s2
	;; [unrolled: 1-line block ×4, first 2 shown]
	v_mfma_f32_16x16x16bf16_1k v[58:61], v[52:53], v[18:19], v[42:45]
	s_nop 6
	v_mov_b32_e32 v43, 0
	s_waitcnt vmcnt(5)
	v_cmp_ne_u16_sdwa s[8:9], v34, v43 src0_sel:BYTE_0 src1_sel:DWORD
	v_mfma_f32_16x16x16bf16_1k v[38:41], v[38:39], v[20:21], v[58:61]
	v_mov_b32_e32 v44, 0
	s_and_saveexec_b64 s[2:3], s[8:9]
	s_cbranch_execz .LBB888_209
; %bb.204:
	s_movk_i32 s8, 0x80
	v_cmp_ne_u16_sdwa s[10:11], v34, s8 src0_sel:BYTE_0 src1_sel:DWORD
	v_mov_b32_e32 v44, 0xffff8000
	s_and_saveexec_b64 s[8:9], s[10:11]
	s_cbranch_execz .LBB888_208
; %bb.205:
	s_movk_i32 s10, 0x7f
	v_and_b32_e32 v42, 0x7f, v34
	v_cmp_ne_u32_e32 vcc, s10, v42
	v_mov_b32_e32 v44, 0x7f80
	s_and_saveexec_b64 s[10:11], vcc
	s_cbranch_execz .LBB888_207
; %bb.206:
	v_and_b32_e32 v51, 7, v34
	v_ffbh_u32_e32 v44, v51
	v_min_u32_e32 v53, 32, v44
	v_subrev_u32_e32 v44, 28, v53
	v_lshlrev_b64 v[44:45], v44, v[34:35]
	v_lshrrev_b32_e32 v52, 3, v42
	v_sub_u32_e32 v45, 29, v53
	v_and_b32_e32 v44, 7, v44
	v_cmp_gt_u32_e32 vcc, 8, v42
	v_cndmask_b32_e32 v42, v52, v45, vcc
	v_cndmask_b32_e32 v44, v51, v44, vcc
	v_lshlrev_b32_e32 v45, 24, v34
	v_bfrev_b32_e32 v51, 60
	v_lshlrev_b32_e32 v44, 20, v44
	v_and_b32_e32 v45, 0x80000000, v45
	v_lshl_add_u32 v42, v42, 23, v51
	v_or3_b32 v42, v45, v42, v44
	v_lshrrev_b32_e32 v44, 16, v42
.LBB888_207:
	s_or_b64 exec, exec, s[10:11]
.LBB888_208:
	s_or_b64 exec, exec, s[8:9]
.LBB888_209:
	s_or_b64 exec, exec, s[2:3]
	v_lshrrev_b16_e32 v42, 8, v34
	v_cmp_ne_u16_e32 vcc, 0, v42
	s_and_saveexec_b64 s[2:3], vcc
	s_cbranch_execz .LBB888_215
; %bb.210:
	s_movk_i32 s8, 0x80
	v_cmp_ne_u16_e32 vcc, s8, v42
	v_mov_b32_e32 v43, 0xffff8000
	s_and_saveexec_b64 s[8:9], vcc
	s_cbranch_execz .LBB888_214
; %bb.211:
	s_movk_i32 s10, 0x7f
	v_and_b32_e32 v45, 0x7f, v42
	v_cmp_ne_u32_e32 vcc, s10, v45
	v_mov_b32_e32 v43, 0x7f80
	s_and_saveexec_b64 s[10:11], vcc
	s_cbranch_execz .LBB888_213
; %bb.212:
	v_and_b32_e32 v51, 7, v42
	v_ffbh_u32_e32 v43, v51
	v_min_u32_e32 v53, 32, v43
	v_subrev_u32_e32 v43, 28, v53
	v_lshlrev_b64 v[42:43], v43, v[42:43]
	v_lshrrev_b32_e32 v52, 3, v45
	v_sub_u32_e32 v43, 29, v53
	v_and_b32_e32 v42, 7, v42
	v_cmp_gt_u32_e32 vcc, 8, v45
	v_cndmask_b32_e32 v43, v52, v43, vcc
	v_cndmask_b32_e32 v42, v51, v42, vcc
	v_lshlrev_b32_e32 v45, 16, v34
	v_bfrev_b32_e32 v51, 60
	v_lshlrev_b32_e32 v42, 20, v42
	v_and_b32_e32 v45, 0x80000000, v45
	v_lshl_add_u32 v43, v43, 23, v51
	v_or3_b32 v42, v45, v43, v42
	v_lshrrev_b32_e32 v43, 16, v42
.LBB888_213:
	s_or_b64 exec, exec, s[10:11]
.LBB888_214:
	s_or_b64 exec, exec, s[8:9]
.LBB888_215:
	s_or_b64 exec, exec, s[2:3]
	s_movk_i32 s2, 0xff
	v_and_b32_sdwa v52, v34, s2 dst_sel:DWORD dst_unused:UNUSED_PAD src0_sel:WORD_1 src1_sel:DWORD
	v_lshrrev_b32_e32 v42, 16, v34
	v_cmp_ne_u16_e32 vcc, 0, v52
	v_mov_b32_e32 v45, 0
	v_mov_b32_e32 v51, 0
	s_and_saveexec_b64 s[2:3], vcc
	s_cbranch_execz .LBB888_221
; %bb.216:
	s_movk_i32 s8, 0x80
	v_cmp_ne_u16_e32 vcc, s8, v52
	v_mov_b32_e32 v51, 0xffff8000
	s_and_saveexec_b64 s[8:9], vcc
	s_cbranch_execz .LBB888_220
; %bb.217:
	v_bfe_u32 v52, v34, 16, 7
	s_movk_i32 s10, 0x7f
	v_cmp_ne_u32_e32 vcc, s10, v52
	v_mov_b32_e32 v51, 0x7f80
	s_and_saveexec_b64 s[10:11], vcc
	s_cbranch_execz .LBB888_219
; %bb.218:
	v_and_b32_e32 v51, 7, v42
	v_ffbh_u32_e32 v54, v51
	v_min_u32_e32 v56, 32, v54
	v_subrev_u32_e32 v54, 28, v56
	v_lshlrev_b64 v[54:55], v54, v[42:43]
	v_lshrrev_b32_e32 v53, 3, v52
	v_sub_u32_e32 v42, 29, v56
	v_and_b32_e32 v54, 7, v54
	v_cmp_gt_u32_e32 vcc, 8, v52
	v_mov_b32_e32 v52, 24
	v_cndmask_b32_e32 v42, v53, v42, vcc
	v_cndmask_b32_e32 v51, v51, v54, vcc
	v_lshlrev_b32_sdwa v52, v52, v34 dst_sel:DWORD dst_unused:UNUSED_PAD src0_sel:DWORD src1_sel:WORD_1
	v_bfrev_b32_e32 v53, 60
	v_lshlrev_b32_e32 v51, 20, v51
	v_and_b32_e32 v52, 0x80000000, v52
	v_lshl_add_u32 v42, v42, 23, v53
	v_or3_b32 v42, v52, v42, v51
	v_lshrrev_b32_e32 v51, 16, v42
.LBB888_219:
	s_or_b64 exec, exec, s[10:11]
.LBB888_220:
	s_or_b64 exec, exec, s[8:9]
.LBB888_221:
	s_or_b64 exec, exec, s[2:3]
	s_mov_b32 s2, 0xffffff
	v_cmp_lt_u32_e32 vcc, s2, v34
	s_and_saveexec_b64 s[2:3], vcc
	s_cbranch_execz .LBB888_227
; %bb.222:
	v_lshrrev_b32_e32 v42, 24, v34
	s_movk_i32 s8, 0x80
	v_cmp_ne_u32_e32 vcc, s8, v42
	v_mov_b32_e32 v45, 0xffff8000
	s_and_saveexec_b64 s[8:9], vcc
	s_cbranch_execz .LBB888_226
; %bb.223:
	v_bfe_u32 v34, v34, 24, 7
	s_movk_i32 s10, 0x7f
	v_cmp_ne_u32_e32 vcc, s10, v34
	v_mov_b32_e32 v45, 0x7f80
	s_and_saveexec_b64 s[10:11], vcc
	s_cbranch_execz .LBB888_225
; %bb.224:
	v_and_b32_e32 v45, 7, v42
	v_ffbh_u32_e32 v52, v45
	v_min_u32_e32 v55, 32, v52
	v_subrev_u32_e32 v52, 28, v55
	v_lshlrev_b64 v[52:53], v52, v[42:43]
	v_lshrrev_b32_e32 v54, 3, v34
	v_sub_u32_e32 v53, 29, v55
	v_and_b32_e32 v52, 7, v52
	v_cmp_gt_u32_e32 vcc, 8, v34
	v_cndmask_b32_e32 v34, v54, v53, vcc
	v_cndmask_b32_e32 v45, v45, v52, vcc
	v_lshlrev_b32_e32 v42, 24, v42
	v_bfrev_b32_e32 v52, 60
	v_lshlrev_b32_e32 v45, 20, v45
	v_and_b32_e32 v42, 0x80000000, v42
	v_lshl_add_u32 v34, v34, 23, v52
	v_or3_b32 v34, v42, v34, v45
	v_lshrrev_b32_e32 v45, 16, v34
.LBB888_225:
	s_or_b64 exec, exec, s[10:11]
.LBB888_226:
	s_or_b64 exec, exec, s[8:9]
.LBB888_227:
	s_or_b64 exec, exec, s[2:3]
	v_mov_b32_e32 v42, 0
	v_cmp_ne_u16_sdwa s[8:9], v35, v42 src0_sel:BYTE_0 src1_sel:DWORD
	v_mov_b32_e32 v52, 0
	s_and_saveexec_b64 s[2:3], s[8:9]
	s_cbranch_execz .LBB888_233
; %bb.228:
	s_movk_i32 s8, 0x80
	v_cmp_ne_u16_sdwa s[10:11], v35, s8 src0_sel:BYTE_0 src1_sel:DWORD
	v_mov_b32_e32 v52, 0xffff8000
	s_and_saveexec_b64 s[8:9], s[10:11]
	s_cbranch_execz .LBB888_232
; %bb.229:
	s_movk_i32 s10, 0x7f
	v_and_b32_e32 v34, 0x7f, v35
	v_cmp_ne_u32_e32 vcc, s10, v34
	v_mov_b32_e32 v52, 0x7f80
	s_and_saveexec_b64 s[10:11], vcc
	s_cbranch_execz .LBB888_231
; %bb.230:
	v_and_b32_e32 v54, 7, v35
	v_ffbh_u32_e32 v53, v54
	v_min_u32_e32 v56, 32, v53
	v_mov_b32_e32 v52, v35
	v_subrev_u32_e32 v53, 28, v56
	v_lshlrev_b64 v[52:53], v53, v[52:53]
	v_lshrrev_b32_e32 v55, 3, v34
	v_sub_u32_e32 v53, 29, v56
	v_and_b32_e32 v52, 7, v52
	v_cmp_gt_u32_e32 vcc, 8, v34
	v_cndmask_b32_e32 v34, v55, v53, vcc
	v_cndmask_b32_e32 v52, v54, v52, vcc
	v_lshlrev_b32_e32 v53, 24, v35
	v_bfrev_b32_e32 v54, 60
	v_lshlrev_b32_e32 v52, 20, v52
	v_and_b32_e32 v53, 0x80000000, v53
	v_lshl_add_u32 v34, v34, 23, v54
	v_or3_b32 v34, v53, v34, v52
	v_lshrrev_b32_e32 v52, 16, v34
.LBB888_231:
	s_or_b64 exec, exec, s[10:11]
.LBB888_232:
	s_or_b64 exec, exec, s[8:9]
.LBB888_233:
	s_or_b64 exec, exec, s[2:3]
	v_lshrrev_b16_e32 v34, 8, v35
	v_cmp_ne_u16_e32 vcc, 0, v34
	s_and_saveexec_b64 s[2:3], vcc
	s_cbranch_execz .LBB888_239
; %bb.234:
	s_movk_i32 s8, 0x80
	v_cmp_ne_u16_e32 vcc, s8, v34
	v_mov_b32_e32 v42, 0xffff8000
	s_and_saveexec_b64 s[8:9], vcc
	s_cbranch_execz .LBB888_238
; %bb.235:
	s_movk_i32 s10, 0x7f
	v_and_b32_e32 v53, 0x7f, v34
	v_cmp_ne_u32_e32 vcc, s10, v53
	v_mov_b32_e32 v42, 0x7f80
	s_and_saveexec_b64 s[10:11], vcc
	s_cbranch_execz .LBB888_237
; %bb.236:
	v_and_b32_e32 v42, 7, v34
	v_ffbh_u32_e32 v54, v42
	v_min_u32_e32 v57, 32, v54
	v_subrev_u32_e32 v54, 28, v57
	v_lshlrev_b64 v[54:55], v54, v[34:35]
	v_lshrrev_b32_e32 v56, 3, v53
	v_sub_u32_e32 v34, 29, v57
	v_and_b32_e32 v54, 7, v54
	v_cmp_gt_u32_e32 vcc, 8, v53
	v_cndmask_b32_e32 v34, v56, v34, vcc
	v_cndmask_b32_e32 v42, v42, v54, vcc
	v_lshlrev_b32_e32 v53, 16, v35
	v_bfrev_b32_e32 v54, 60
	v_lshlrev_b32_e32 v42, 20, v42
	v_and_b32_e32 v53, 0x80000000, v53
	v_lshl_add_u32 v34, v34, 23, v54
	v_or3_b32 v34, v53, v34, v42
	v_lshrrev_b32_e32 v42, 16, v34
.LBB888_237:
	s_or_b64 exec, exec, s[10:11]
.LBB888_238:
	s_or_b64 exec, exec, s[8:9]
.LBB888_239:
	s_or_b64 exec, exec, s[2:3]
	s_movk_i32 s2, 0xff
	v_and_b32_sdwa v55, v35, s2 dst_sel:DWORD dst_unused:UNUSED_PAD src0_sel:WORD_1 src1_sel:DWORD
	v_lshrrev_b32_e32 v34, 16, v35
	v_cmp_ne_u16_e32 vcc, 0, v55
	v_mov_b32_e32 v53, 0
	v_mov_b32_e32 v54, 0
	s_and_saveexec_b64 s[2:3], vcc
	s_cbranch_execz .LBB888_245
; %bb.240:
	s_movk_i32 s8, 0x80
	v_cmp_ne_u16_e32 vcc, s8, v55
	v_mov_b32_e32 v54, 0xffff8000
	s_and_saveexec_b64 s[8:9], vcc
	s_cbranch_execz .LBB888_244
; %bb.241:
	v_bfe_u32 v55, v35, 16, 7
	s_movk_i32 s10, 0x7f
	v_cmp_ne_u32_e32 vcc, s10, v55
	v_mov_b32_e32 v54, 0x7f80
	s_and_saveexec_b64 s[10:11], vcc
	s_cbranch_execz .LBB888_243
; %bb.242:
	v_and_b32_e32 v54, 7, v34
	v_ffbh_u32_e32 v56, v54
	v_min_u32_e32 v59, 32, v56
	v_subrev_u32_e32 v56, 28, v59
	v_lshlrev_b64 v[56:57], v56, v[34:35]
	v_lshrrev_b32_e32 v58, 3, v55
	v_sub_u32_e32 v34, 29, v59
	v_and_b32_e32 v56, 7, v56
	v_cmp_gt_u32_e32 vcc, 8, v55
	v_mov_b32_e32 v55, 24
	v_cndmask_b32_e32 v34, v58, v34, vcc
	v_cndmask_b32_e32 v54, v54, v56, vcc
	v_lshlrev_b32_sdwa v55, v55, v35 dst_sel:DWORD dst_unused:UNUSED_PAD src0_sel:DWORD src1_sel:WORD_1
	v_bfrev_b32_e32 v56, 60
	v_lshlrev_b32_e32 v54, 20, v54
	v_and_b32_e32 v55, 0x80000000, v55
	v_lshl_add_u32 v34, v34, 23, v56
	v_or3_b32 v34, v55, v34, v54
	v_lshrrev_b32_e32 v54, 16, v34
.LBB888_243:
	s_or_b64 exec, exec, s[10:11]
.LBB888_244:
	s_or_b64 exec, exec, s[8:9]
.LBB888_245:
	s_or_b64 exec, exec, s[2:3]
	s_mov_b32 s2, 0xffffff
	v_cmp_lt_u32_e32 vcc, s2, v35
	s_and_saveexec_b64 s[2:3], vcc
	s_cbranch_execz .LBB888_251
; %bb.246:
	v_lshrrev_b32_e32 v34, 24, v35
	s_movk_i32 s8, 0x80
	v_cmp_ne_u32_e32 vcc, s8, v34
	v_mov_b32_e32 v53, 0xffff8000
	s_and_saveexec_b64 s[8:9], vcc
	s_cbranch_execz .LBB888_250
; %bb.247:
	v_bfe_u32 v35, v35, 24, 7
	s_movk_i32 s10, 0x7f
	v_cmp_ne_u32_e32 vcc, s10, v35
	v_mov_b32_e32 v53, 0x7f80
	s_and_saveexec_b64 s[10:11], vcc
	s_cbranch_execz .LBB888_249
; %bb.248:
	v_and_b32_e32 v53, 7, v34
	v_ffbh_u32_e32 v56, v53
	v_min_u32_e32 v58, 32, v56
	v_subrev_u32_e32 v56, 28, v58
	v_lshlrev_b64 v[56:57], v56, v[34:35]
	v_lshrrev_b32_e32 v55, 3, v35
	v_sub_u32_e32 v57, 29, v58
	v_and_b32_e32 v56, 7, v56
	v_cmp_gt_u32_e32 vcc, 8, v35
	v_cndmask_b32_e32 v35, v55, v57, vcc
	v_cndmask_b32_e32 v53, v53, v56, vcc
	v_lshlrev_b32_e32 v34, 24, v34
	v_bfrev_b32_e32 v55, 60
	v_lshlrev_b32_e32 v53, 20, v53
	v_and_b32_e32 v34, 0x80000000, v34
	v_lshl_add_u32 v35, v35, 23, v55
	v_or3_b32 v34, v34, v35, v53
	v_lshrrev_b32_e32 v53, 16, v34
.LBB888_249:
	s_or_b64 exec, exec, s[10:11]
.LBB888_250:
	s_or_b64 exec, exec, s[8:9]
.LBB888_251:
	s_or_b64 exec, exec, s[2:3]
	s_mov_b32 s2, 0x5040100
	v_perm_b32 v35, v45, v51, s2
	v_perm_b32 v34, v43, v44, s2
	;; [unrolled: 1-line block ×4, first 2 shown]
	v_mov_b32_e32 v51, 0
	v_mfma_f32_16x16x16bf16_1k v[56:59], v[34:35], v[26:27], 0
	v_mov_b32_e32 v35, 0
	v_cmp_ne_u16_sdwa s[8:9], v36, v35 src0_sel:BYTE_0 src1_sel:DWORD
	v_mfma_f32_16x16x16bf16_1k v[42:45], v[42:43], v[28:29], v[56:59]
	s_and_saveexec_b64 s[2:3], s[8:9]
	s_cbranch_execz .LBB888_257
; %bb.252:
	s_movk_i32 s8, 0x80
	v_cmp_ne_u16_sdwa s[10:11], v36, s8 src0_sel:BYTE_0 src1_sel:DWORD
	v_mov_b32_e32 v51, 0xffff8000
	s_and_saveexec_b64 s[8:9], s[10:11]
	s_cbranch_execz .LBB888_256
; %bb.253:
	s_movk_i32 s10, 0x7f
	v_and_b32_e32 v34, 0x7f, v36
	v_cmp_ne_u32_e32 vcc, s10, v34
	v_mov_b32_e32 v51, 0x7f80
	s_and_saveexec_b64 s[10:11], vcc
	s_cbranch_execz .LBB888_255
; %bb.254:
	v_and_b32_e32 v51, 7, v36
	v_ffbh_u32_e32 v52, v51
	v_min_u32_e32 v55, 32, v52
	v_subrev_u32_e32 v52, 28, v55
	v_lshlrev_b64 v[52:53], v52, v[36:37]
	v_lshrrev_b32_e32 v54, 3, v34
	v_sub_u32_e32 v53, 29, v55
	v_and_b32_e32 v52, 7, v52
	v_cmp_gt_u32_e32 vcc, 8, v34
	v_cndmask_b32_e32 v34, v54, v53, vcc
	v_cndmask_b32_e32 v51, v51, v52, vcc
	v_lshlrev_b32_e32 v52, 24, v36
	v_bfrev_b32_e32 v53, 60
	v_lshlrev_b32_e32 v51, 20, v51
	v_and_b32_e32 v52, 0x80000000, v52
	v_lshl_add_u32 v34, v34, 23, v53
	v_or3_b32 v34, v52, v34, v51
	v_lshrrev_b32_e32 v51, 16, v34
.LBB888_255:
	s_or_b64 exec, exec, s[10:11]
.LBB888_256:
	s_or_b64 exec, exec, s[8:9]
.LBB888_257:
	s_or_b64 exec, exec, s[2:3]
	v_lshrrev_b16_e32 v34, 8, v36
	v_cmp_ne_u16_e32 vcc, 0, v34
	s_and_saveexec_b64 s[2:3], vcc
	s_cbranch_execz .LBB888_263
; %bb.258:
	s_movk_i32 s8, 0x80
	v_cmp_ne_u16_e32 vcc, s8, v34
	v_mov_b32_e32 v35, 0xffff8000
	s_and_saveexec_b64 s[8:9], vcc
	s_cbranch_execz .LBB888_262
; %bb.259:
	s_movk_i32 s10, 0x7f
	v_and_b32_e32 v52, 0x7f, v34
	v_cmp_ne_u32_e32 vcc, s10, v52
	v_mov_b32_e32 v35, 0x7f80
	s_and_saveexec_b64 s[10:11], vcc
	s_cbranch_execz .LBB888_261
; %bb.260:
	v_and_b32_e32 v53, 7, v34
	v_ffbh_u32_e32 v35, v53
	v_min_u32_e32 v55, 32, v35
	v_subrev_u32_e32 v35, 28, v55
	v_lshlrev_b64 v[34:35], v35, v[34:35]
	v_lshrrev_b32_e32 v54, 3, v52
	v_sub_u32_e32 v35, 29, v55
	v_and_b32_e32 v34, 7, v34
	v_cmp_gt_u32_e32 vcc, 8, v52
	v_cndmask_b32_e32 v35, v54, v35, vcc
	v_cndmask_b32_e32 v34, v53, v34, vcc
	v_lshlrev_b32_e32 v52, 16, v36
	v_bfrev_b32_e32 v53, 60
	v_lshlrev_b32_e32 v34, 20, v34
	v_and_b32_e32 v52, 0x80000000, v52
	v_lshl_add_u32 v35, v35, 23, v53
	v_or3_b32 v34, v52, v35, v34
	v_lshrrev_b32_e32 v35, 16, v34
.LBB888_261:
	s_or_b64 exec, exec, s[10:11]
.LBB888_262:
	s_or_b64 exec, exec, s[8:9]
.LBB888_263:
	s_or_b64 exec, exec, s[2:3]
	s_movk_i32 s2, 0xff
	v_and_b32_sdwa v54, v36, s2 dst_sel:DWORD dst_unused:UNUSED_PAD src0_sel:WORD_1 src1_sel:DWORD
	v_lshrrev_b32_e32 v34, 16, v36
	v_cmp_ne_u16_e32 vcc, 0, v54
	v_mov_b32_e32 v52, 0
	v_mov_b32_e32 v53, 0
	s_and_saveexec_b64 s[2:3], vcc
	s_cbranch_execz .LBB888_269
; %bb.264:
	s_movk_i32 s8, 0x80
	v_cmp_ne_u16_e32 vcc, s8, v54
	v_mov_b32_e32 v53, 0xffff8000
	s_and_saveexec_b64 s[8:9], vcc
	s_cbranch_execz .LBB888_268
; %bb.265:
	v_bfe_u32 v54, v36, 16, 7
	s_movk_i32 s10, 0x7f
	v_cmp_ne_u32_e32 vcc, s10, v54
	v_mov_b32_e32 v53, 0x7f80
	s_and_saveexec_b64 s[10:11], vcc
	s_cbranch_execz .LBB888_267
; %bb.266:
	v_and_b32_e32 v53, 7, v34
	v_ffbh_u32_e32 v56, v53
	v_min_u32_e32 v58, 32, v56
	v_subrev_u32_e32 v56, 28, v58
	v_lshlrev_b64 v[56:57], v56, v[34:35]
	v_lshrrev_b32_e32 v55, 3, v54
	v_sub_u32_e32 v34, 29, v58
	v_and_b32_e32 v56, 7, v56
	v_cmp_gt_u32_e32 vcc, 8, v54
	v_mov_b32_e32 v54, 24
	v_cndmask_b32_e32 v34, v55, v34, vcc
	v_cndmask_b32_e32 v53, v53, v56, vcc
	v_lshlrev_b32_sdwa v54, v54, v36 dst_sel:DWORD dst_unused:UNUSED_PAD src0_sel:DWORD src1_sel:WORD_1
	v_bfrev_b32_e32 v55, 60
	v_lshlrev_b32_e32 v53, 20, v53
	v_and_b32_e32 v54, 0x80000000, v54
	v_lshl_add_u32 v34, v34, 23, v55
	v_or3_b32 v34, v54, v34, v53
	v_lshrrev_b32_e32 v53, 16, v34
.LBB888_267:
	s_or_b64 exec, exec, s[10:11]
.LBB888_268:
	s_or_b64 exec, exec, s[8:9]
.LBB888_269:
	s_or_b64 exec, exec, s[2:3]
	s_mov_b32 s2, 0xffffff
	v_cmp_lt_u32_e32 vcc, s2, v36
	s_and_saveexec_b64 s[2:3], vcc
	s_cbranch_execz .LBB888_275
; %bb.270:
	v_lshrrev_b32_e32 v34, 24, v36
	s_movk_i32 s8, 0x80
	v_cmp_ne_u32_e32 vcc, s8, v34
	v_mov_b32_e32 v52, 0xffff8000
	s_and_saveexec_b64 s[8:9], vcc
	s_cbranch_execz .LBB888_274
; %bb.271:
	v_bfe_u32 v36, v36, 24, 7
	s_movk_i32 s10, 0x7f
	v_cmp_ne_u32_e32 vcc, s10, v36
	v_mov_b32_e32 v52, 0x7f80
	s_and_saveexec_b64 s[10:11], vcc
	s_cbranch_execz .LBB888_273
; %bb.272:
	v_and_b32_e32 v52, 7, v34
	v_ffbh_u32_e32 v54, v52
	v_min_u32_e32 v57, 32, v54
	v_subrev_u32_e32 v54, 28, v57
	v_lshlrev_b64 v[54:55], v54, v[34:35]
	v_lshrrev_b32_e32 v56, 3, v36
	v_sub_u32_e32 v55, 29, v57
	v_and_b32_e32 v54, 7, v54
	v_cmp_gt_u32_e32 vcc, 8, v36
	v_cndmask_b32_e32 v36, v56, v55, vcc
	v_cndmask_b32_e32 v52, v52, v54, vcc
	v_lshlrev_b32_e32 v34, 24, v34
	v_bfrev_b32_e32 v54, 60
	v_lshlrev_b32_e32 v52, 20, v52
	v_and_b32_e32 v34, 0x80000000, v34
	v_lshl_add_u32 v36, v36, 23, v54
	v_or3_b32 v34, v34, v36, v52
	v_lshrrev_b32_e32 v52, 16, v34
.LBB888_273:
	s_or_b64 exec, exec, s[10:11]
.LBB888_274:
	s_or_b64 exec, exec, s[8:9]
.LBB888_275:
	s_or_b64 exec, exec, s[2:3]
	v_mov_b32_e32 v36, 0
	v_cmp_ne_u16_sdwa s[8:9], v37, v36 src0_sel:BYTE_0 src1_sel:DWORD
	v_mov_b32_e32 v54, 0
	s_and_saveexec_b64 s[2:3], s[8:9]
	s_cbranch_execz .LBB888_281
; %bb.276:
	s_movk_i32 s8, 0x80
	v_cmp_ne_u16_sdwa s[10:11], v37, s8 src0_sel:BYTE_0 src1_sel:DWORD
	v_mov_b32_e32 v54, 0xffff8000
	s_and_saveexec_b64 s[8:9], s[10:11]
	s_cbranch_execz .LBB888_280
; %bb.277:
	s_movk_i32 s10, 0x7f
	v_and_b32_e32 v34, 0x7f, v37
	v_cmp_ne_u32_e32 vcc, s10, v34
	v_mov_b32_e32 v54, 0x7f80
	s_and_saveexec_b64 s[10:11], vcc
	s_cbranch_execz .LBB888_279
; %bb.278:
	v_and_b32_e32 v56, 7, v37
	v_ffbh_u32_e32 v55, v56
	v_min_u32_e32 v58, 32, v55
	v_mov_b32_e32 v54, v37
	v_subrev_u32_e32 v55, 28, v58
	v_lshlrev_b64 v[54:55], v55, v[54:55]
	v_lshrrev_b32_e32 v57, 3, v34
	v_sub_u32_e32 v55, 29, v58
	v_and_b32_e32 v54, 7, v54
	v_cmp_gt_u32_e32 vcc, 8, v34
	v_cndmask_b32_e32 v34, v57, v55, vcc
	v_cndmask_b32_e32 v54, v56, v54, vcc
	v_lshlrev_b32_e32 v55, 24, v37
	v_bfrev_b32_e32 v56, 60
	v_lshlrev_b32_e32 v54, 20, v54
	v_and_b32_e32 v55, 0x80000000, v55
	v_lshl_add_u32 v34, v34, 23, v56
	v_or3_b32 v34, v55, v34, v54
	v_lshrrev_b32_e32 v54, 16, v34
.LBB888_279:
	s_or_b64 exec, exec, s[10:11]
.LBB888_280:
	s_or_b64 exec, exec, s[8:9]
.LBB888_281:
	s_or_b64 exec, exec, s[2:3]
	v_lshrrev_b16_e32 v34, 8, v37
	v_cmp_ne_u16_e32 vcc, 0, v34
	s_and_saveexec_b64 s[2:3], vcc
	s_cbranch_execz .LBB888_287
; %bb.282:
	s_movk_i32 s8, 0x80
	v_cmp_ne_u16_e32 vcc, s8, v34
	v_mov_b32_e32 v36, 0xffff8000
	s_and_saveexec_b64 s[8:9], vcc
	s_cbranch_execz .LBB888_286
; %bb.283:
	s_movk_i32 s10, 0x7f
	v_and_b32_e32 v55, 0x7f, v34
	v_cmp_ne_u32_e32 vcc, s10, v55
	v_mov_b32_e32 v36, 0x7f80
	s_and_saveexec_b64 s[10:11], vcc
	s_cbranch_execz .LBB888_285
; %bb.284:
	v_and_b32_e32 v36, 7, v34
	v_ffbh_u32_e32 v56, v36
	v_min_u32_e32 v59, 32, v56
	v_subrev_u32_e32 v56, 28, v59
	v_lshlrev_b64 v[56:57], v56, v[34:35]
	v_lshrrev_b32_e32 v58, 3, v55
	v_sub_u32_e32 v34, 29, v59
	v_and_b32_e32 v56, 7, v56
	v_cmp_gt_u32_e32 vcc, 8, v55
	v_cndmask_b32_e32 v34, v58, v34, vcc
	v_cndmask_b32_e32 v36, v36, v56, vcc
	v_lshlrev_b32_e32 v55, 16, v37
	v_bfrev_b32_e32 v56, 60
	v_lshlrev_b32_e32 v36, 20, v36
	v_and_b32_e32 v55, 0x80000000, v55
	v_lshl_add_u32 v34, v34, 23, v56
	v_or3_b32 v34, v55, v34, v36
	v_lshrrev_b32_e32 v36, 16, v34
.LBB888_285:
	s_or_b64 exec, exec, s[10:11]
.LBB888_286:
	s_or_b64 exec, exec, s[8:9]
.LBB888_287:
	s_or_b64 exec, exec, s[2:3]
	s_movk_i32 s2, 0xff
	v_and_b32_sdwa v57, v37, s2 dst_sel:DWORD dst_unused:UNUSED_PAD src0_sel:WORD_1 src1_sel:DWORD
	v_lshrrev_b32_e32 v34, 16, v37
	v_cmp_ne_u16_e32 vcc, 0, v57
	v_mov_b32_e32 v55, 0
	v_mov_b32_e32 v56, 0
	s_and_saveexec_b64 s[2:3], vcc
	s_cbranch_execz .LBB888_293
; %bb.288:
	s_movk_i32 s8, 0x80
	v_cmp_ne_u16_e32 vcc, s8, v57
	v_mov_b32_e32 v56, 0xffff8000
	s_and_saveexec_b64 s[8:9], vcc
	s_cbranch_execz .LBB888_292
; %bb.289:
	v_bfe_u32 v57, v37, 16, 7
	s_movk_i32 s10, 0x7f
	v_cmp_ne_u32_e32 vcc, s10, v57
	v_mov_b32_e32 v56, 0x7f80
	s_and_saveexec_b64 s[10:11], vcc
	s_cbranch_execz .LBB888_291
; %bb.290:
	v_and_b32_e32 v56, 7, v34
	v_ffbh_u32_e32 v58, v56
	v_min_u32_e32 v61, 32, v58
	v_subrev_u32_e32 v58, 28, v61
	v_lshlrev_b64 v[58:59], v58, v[34:35]
	v_lshrrev_b32_e32 v60, 3, v57
	v_sub_u32_e32 v34, 29, v61
	v_and_b32_e32 v58, 7, v58
	v_cmp_gt_u32_e32 vcc, 8, v57
	v_mov_b32_e32 v57, 24
	v_cndmask_b32_e32 v34, v60, v34, vcc
	v_cndmask_b32_e32 v56, v56, v58, vcc
	v_lshlrev_b32_sdwa v57, v57, v37 dst_sel:DWORD dst_unused:UNUSED_PAD src0_sel:DWORD src1_sel:WORD_1
	v_bfrev_b32_e32 v58, 60
	v_lshlrev_b32_e32 v56, 20, v56
	v_and_b32_e32 v57, 0x80000000, v57
	v_lshl_add_u32 v34, v34, 23, v58
	v_or3_b32 v34, v57, v34, v56
	v_lshrrev_b32_e32 v56, 16, v34
.LBB888_291:
	s_or_b64 exec, exec, s[10:11]
.LBB888_292:
	s_or_b64 exec, exec, s[8:9]
.LBB888_293:
	s_or_b64 exec, exec, s[2:3]
	s_mov_b32 s2, 0xffffff
	v_cmp_lt_u32_e32 vcc, s2, v37
	s_and_saveexec_b64 s[2:3], vcc
	s_cbranch_execz .LBB888_299
; %bb.294:
	v_lshrrev_b32_e32 v34, 24, v37
	s_movk_i32 s8, 0x80
	v_cmp_ne_u32_e32 vcc, s8, v34
	v_mov_b32_e32 v55, 0xffff8000
	s_and_saveexec_b64 s[8:9], vcc
	s_cbranch_execz .LBB888_298
; %bb.295:
	v_bfe_u32 v37, v37, 24, 7
	s_movk_i32 s10, 0x7f
	v_cmp_ne_u32_e32 vcc, s10, v37
	v_mov_b32_e32 v55, 0x7f80
	s_and_saveexec_b64 s[10:11], vcc
	s_cbranch_execz .LBB888_297
; %bb.296:
	v_and_b32_e32 v55, 7, v34
	v_ffbh_u32_e32 v58, v55
	v_min_u32_e32 v60, 32, v58
	v_subrev_u32_e32 v58, 28, v60
	v_lshlrev_b64 v[58:59], v58, v[34:35]
	v_lshrrev_b32_e32 v57, 3, v37
	v_sub_u32_e32 v59, 29, v60
	v_and_b32_e32 v58, 7, v58
	v_cmp_gt_u32_e32 vcc, 8, v37
	v_cndmask_b32_e32 v37, v57, v59, vcc
	v_cndmask_b32_e32 v55, v55, v58, vcc
	v_lshlrev_b32_e32 v34, 24, v34
	v_bfrev_b32_e32 v57, 60
	v_lshlrev_b32_e32 v55, 20, v55
	v_and_b32_e32 v34, 0x80000000, v34
	v_lshl_add_u32 v37, v37, 23, v57
	v_or3_b32 v34, v34, v37, v55
	v_lshrrev_b32_e32 v55, 16, v34
.LBB888_297:
	s_or_b64 exec, exec, s[10:11]
.LBB888_298:
	s_or_b64 exec, exec, s[8:9]
.LBB888_299:
	s_or_b64 exec, exec, s[2:3]
	s_mov_b32 s2, 0x5040100
	v_perm_b32 v53, v52, v53, s2
	v_perm_b32 v52, v35, v51, s2
	;; [unrolled: 1-line block ×4, first 2 shown]
	v_mfma_f32_16x16x16bf16_1k v[58:61], v[52:53], v[18:19], v[42:45]
	s_nop 6
	v_mov_b32_e32 v43, 0
	s_waitcnt vmcnt(4)
	v_cmp_ne_u16_sdwa s[8:9], v22, v43 src0_sel:BYTE_0 src1_sel:DWORD
	v_mfma_f32_16x16x16bf16_1k v[34:37], v[34:35], v[20:21], v[58:61]
	v_mov_b32_e32 v44, 0
	s_and_saveexec_b64 s[2:3], s[8:9]
	s_cbranch_execz .LBB888_305
; %bb.300:
	s_movk_i32 s8, 0x80
	v_cmp_ne_u16_sdwa s[10:11], v22, s8 src0_sel:BYTE_0 src1_sel:DWORD
	v_mov_b32_e32 v44, 0xffff8000
	s_and_saveexec_b64 s[8:9], s[10:11]
	s_cbranch_execz .LBB888_304
; %bb.301:
	s_movk_i32 s10, 0x7f
	v_and_b32_e32 v42, 0x7f, v22
	v_cmp_ne_u32_e32 vcc, s10, v42
	v_mov_b32_e32 v44, 0x7f80
	s_and_saveexec_b64 s[10:11], vcc
	s_cbranch_execz .LBB888_303
; %bb.302:
	v_and_b32_e32 v51, 7, v22
	v_ffbh_u32_e32 v44, v51
	v_min_u32_e32 v53, 32, v44
	v_subrev_u32_e32 v44, 28, v53
	v_lshlrev_b64 v[44:45], v44, v[22:23]
	v_lshrrev_b32_e32 v52, 3, v42
	v_sub_u32_e32 v45, 29, v53
	v_and_b32_e32 v44, 7, v44
	v_cmp_gt_u32_e32 vcc, 8, v42
	v_cndmask_b32_e32 v42, v52, v45, vcc
	v_cndmask_b32_e32 v44, v51, v44, vcc
	v_lshlrev_b32_e32 v45, 24, v22
	v_bfrev_b32_e32 v51, 60
	v_lshlrev_b32_e32 v44, 20, v44
	v_and_b32_e32 v45, 0x80000000, v45
	v_lshl_add_u32 v42, v42, 23, v51
	v_or3_b32 v42, v45, v42, v44
	v_lshrrev_b32_e32 v44, 16, v42
.LBB888_303:
	s_or_b64 exec, exec, s[10:11]
.LBB888_304:
	s_or_b64 exec, exec, s[8:9]
.LBB888_305:
	s_or_b64 exec, exec, s[2:3]
	v_lshrrev_b16_e32 v42, 8, v22
	v_cmp_ne_u16_e32 vcc, 0, v42
	s_and_saveexec_b64 s[2:3], vcc
	s_cbranch_execz .LBB888_311
; %bb.306:
	s_movk_i32 s8, 0x80
	v_cmp_ne_u16_e32 vcc, s8, v42
	v_mov_b32_e32 v43, 0xffff8000
	s_and_saveexec_b64 s[8:9], vcc
	s_cbranch_execz .LBB888_310
; %bb.307:
	s_movk_i32 s10, 0x7f
	v_and_b32_e32 v45, 0x7f, v42
	v_cmp_ne_u32_e32 vcc, s10, v45
	v_mov_b32_e32 v43, 0x7f80
	s_and_saveexec_b64 s[10:11], vcc
	s_cbranch_execz .LBB888_309
; %bb.308:
	v_and_b32_e32 v51, 7, v42
	v_ffbh_u32_e32 v43, v51
	v_min_u32_e32 v53, 32, v43
	v_subrev_u32_e32 v43, 28, v53
	v_lshlrev_b64 v[42:43], v43, v[42:43]
	v_lshrrev_b32_e32 v52, 3, v45
	v_sub_u32_e32 v43, 29, v53
	v_and_b32_e32 v42, 7, v42
	v_cmp_gt_u32_e32 vcc, 8, v45
	v_cndmask_b32_e32 v43, v52, v43, vcc
	v_cndmask_b32_e32 v42, v51, v42, vcc
	v_lshlrev_b32_e32 v45, 16, v22
	v_bfrev_b32_e32 v51, 60
	v_lshlrev_b32_e32 v42, 20, v42
	v_and_b32_e32 v45, 0x80000000, v45
	v_lshl_add_u32 v43, v43, 23, v51
	v_or3_b32 v42, v45, v43, v42
	v_lshrrev_b32_e32 v43, 16, v42
.LBB888_309:
	s_or_b64 exec, exec, s[10:11]
.LBB888_310:
	s_or_b64 exec, exec, s[8:9]
.LBB888_311:
	s_or_b64 exec, exec, s[2:3]
	s_movk_i32 s2, 0xff
	v_and_b32_sdwa v52, v22, s2 dst_sel:DWORD dst_unused:UNUSED_PAD src0_sel:WORD_1 src1_sel:DWORD
	v_lshrrev_b32_e32 v42, 16, v22
	v_cmp_ne_u16_e32 vcc, 0, v52
	v_mov_b32_e32 v45, 0
	v_mov_b32_e32 v51, 0
	s_and_saveexec_b64 s[2:3], vcc
	s_cbranch_execz .LBB888_317
; %bb.312:
	s_movk_i32 s8, 0x80
	v_cmp_ne_u16_e32 vcc, s8, v52
	v_mov_b32_e32 v51, 0xffff8000
	s_and_saveexec_b64 s[8:9], vcc
	s_cbranch_execz .LBB888_316
; %bb.313:
	v_bfe_u32 v52, v22, 16, 7
	s_movk_i32 s10, 0x7f
	v_cmp_ne_u32_e32 vcc, s10, v52
	v_mov_b32_e32 v51, 0x7f80
	s_and_saveexec_b64 s[10:11], vcc
	s_cbranch_execz .LBB888_315
; %bb.314:
	v_and_b32_e32 v51, 7, v42
	v_ffbh_u32_e32 v54, v51
	v_min_u32_e32 v56, 32, v54
	v_subrev_u32_e32 v54, 28, v56
	v_lshlrev_b64 v[54:55], v54, v[42:43]
	v_lshrrev_b32_e32 v53, 3, v52
	v_sub_u32_e32 v42, 29, v56
	v_and_b32_e32 v54, 7, v54
	v_cmp_gt_u32_e32 vcc, 8, v52
	v_mov_b32_e32 v52, 24
	v_cndmask_b32_e32 v42, v53, v42, vcc
	v_cndmask_b32_e32 v51, v51, v54, vcc
	v_lshlrev_b32_sdwa v52, v52, v22 dst_sel:DWORD dst_unused:UNUSED_PAD src0_sel:DWORD src1_sel:WORD_1
	v_bfrev_b32_e32 v53, 60
	v_lshlrev_b32_e32 v51, 20, v51
	v_and_b32_e32 v52, 0x80000000, v52
	v_lshl_add_u32 v42, v42, 23, v53
	v_or3_b32 v42, v52, v42, v51
	v_lshrrev_b32_e32 v51, 16, v42
.LBB888_315:
	s_or_b64 exec, exec, s[10:11]
.LBB888_316:
	s_or_b64 exec, exec, s[8:9]
.LBB888_317:
	s_or_b64 exec, exec, s[2:3]
	s_mov_b32 s2, 0xffffff
	v_cmp_lt_u32_e32 vcc, s2, v22
	s_and_saveexec_b64 s[2:3], vcc
	s_cbranch_execz .LBB888_323
; %bb.318:
	v_lshrrev_b32_e32 v42, 24, v22
	s_movk_i32 s8, 0x80
	v_cmp_ne_u32_e32 vcc, s8, v42
	v_mov_b32_e32 v45, 0xffff8000
	s_and_saveexec_b64 s[8:9], vcc
	s_cbranch_execz .LBB888_322
; %bb.319:
	v_bfe_u32 v22, v22, 24, 7
	s_movk_i32 s10, 0x7f
	v_cmp_ne_u32_e32 vcc, s10, v22
	v_mov_b32_e32 v45, 0x7f80
	s_and_saveexec_b64 s[10:11], vcc
	s_cbranch_execz .LBB888_321
; %bb.320:
	v_and_b32_e32 v45, 7, v42
	v_ffbh_u32_e32 v52, v45
	v_min_u32_e32 v55, 32, v52
	v_subrev_u32_e32 v52, 28, v55
	v_lshlrev_b64 v[52:53], v52, v[42:43]
	v_lshrrev_b32_e32 v54, 3, v22
	v_sub_u32_e32 v53, 29, v55
	v_and_b32_e32 v52, 7, v52
	v_cmp_gt_u32_e32 vcc, 8, v22
	v_cndmask_b32_e32 v22, v54, v53, vcc
	v_cndmask_b32_e32 v45, v45, v52, vcc
	v_lshlrev_b32_e32 v42, 24, v42
	v_bfrev_b32_e32 v52, 60
	v_lshlrev_b32_e32 v45, 20, v45
	v_and_b32_e32 v42, 0x80000000, v42
	v_lshl_add_u32 v22, v22, 23, v52
	v_or3_b32 v22, v42, v22, v45
	v_lshrrev_b32_e32 v45, 16, v22
.LBB888_321:
	s_or_b64 exec, exec, s[10:11]
.LBB888_322:
	s_or_b64 exec, exec, s[8:9]
.LBB888_323:
	s_or_b64 exec, exec, s[2:3]
	v_mov_b32_e32 v42, 0
	v_cmp_ne_u16_sdwa s[8:9], v23, v42 src0_sel:BYTE_0 src1_sel:DWORD
	v_mov_b32_e32 v52, 0
	s_and_saveexec_b64 s[2:3], s[8:9]
	s_cbranch_execz .LBB888_329
; %bb.324:
	s_movk_i32 s8, 0x80
	v_cmp_ne_u16_sdwa s[10:11], v23, s8 src0_sel:BYTE_0 src1_sel:DWORD
	v_mov_b32_e32 v52, 0xffff8000
	s_and_saveexec_b64 s[8:9], s[10:11]
	s_cbranch_execz .LBB888_328
; %bb.325:
	s_movk_i32 s10, 0x7f
	v_and_b32_e32 v22, 0x7f, v23
	v_cmp_ne_u32_e32 vcc, s10, v22
	v_mov_b32_e32 v52, 0x7f80
	s_and_saveexec_b64 s[10:11], vcc
	s_cbranch_execz .LBB888_327
; %bb.326:
	v_and_b32_e32 v54, 7, v23
	v_ffbh_u32_e32 v53, v54
	v_min_u32_e32 v56, 32, v53
	v_mov_b32_e32 v52, v23
	v_subrev_u32_e32 v53, 28, v56
	v_lshlrev_b64 v[52:53], v53, v[52:53]
	v_lshrrev_b32_e32 v55, 3, v22
	v_sub_u32_e32 v53, 29, v56
	v_and_b32_e32 v52, 7, v52
	v_cmp_gt_u32_e32 vcc, 8, v22
	v_cndmask_b32_e32 v22, v55, v53, vcc
	v_cndmask_b32_e32 v52, v54, v52, vcc
	v_lshlrev_b32_e32 v53, 24, v23
	v_bfrev_b32_e32 v54, 60
	v_lshlrev_b32_e32 v52, 20, v52
	v_and_b32_e32 v53, 0x80000000, v53
	v_lshl_add_u32 v22, v22, 23, v54
	v_or3_b32 v22, v53, v22, v52
	v_lshrrev_b32_e32 v52, 16, v22
.LBB888_327:
	s_or_b64 exec, exec, s[10:11]
.LBB888_328:
	s_or_b64 exec, exec, s[8:9]
.LBB888_329:
	s_or_b64 exec, exec, s[2:3]
	v_lshrrev_b16_e32 v22, 8, v23
	v_cmp_ne_u16_e32 vcc, 0, v22
	s_and_saveexec_b64 s[2:3], vcc
	s_cbranch_execz .LBB888_335
; %bb.330:
	s_movk_i32 s8, 0x80
	v_cmp_ne_u16_e32 vcc, s8, v22
	v_mov_b32_e32 v42, 0xffff8000
	s_and_saveexec_b64 s[8:9], vcc
	s_cbranch_execz .LBB888_334
; %bb.331:
	s_movk_i32 s10, 0x7f
	v_and_b32_e32 v53, 0x7f, v22
	v_cmp_ne_u32_e32 vcc, s10, v53
	v_mov_b32_e32 v42, 0x7f80
	s_and_saveexec_b64 s[10:11], vcc
	s_cbranch_execz .LBB888_333
; %bb.332:
	v_and_b32_e32 v42, 7, v22
	v_ffbh_u32_e32 v54, v42
	v_min_u32_e32 v57, 32, v54
	v_subrev_u32_e32 v54, 28, v57
	v_lshlrev_b64 v[54:55], v54, v[22:23]
	v_lshrrev_b32_e32 v56, 3, v53
	v_sub_u32_e32 v22, 29, v57
	v_and_b32_e32 v54, 7, v54
	v_cmp_gt_u32_e32 vcc, 8, v53
	v_cndmask_b32_e32 v22, v56, v22, vcc
	v_cndmask_b32_e32 v42, v42, v54, vcc
	v_lshlrev_b32_e32 v53, 16, v23
	v_bfrev_b32_e32 v54, 60
	v_lshlrev_b32_e32 v42, 20, v42
	v_and_b32_e32 v53, 0x80000000, v53
	v_lshl_add_u32 v22, v22, 23, v54
	v_or3_b32 v22, v53, v22, v42
	v_lshrrev_b32_e32 v42, 16, v22
.LBB888_333:
	s_or_b64 exec, exec, s[10:11]
.LBB888_334:
	s_or_b64 exec, exec, s[8:9]
.LBB888_335:
	s_or_b64 exec, exec, s[2:3]
	s_movk_i32 s2, 0xff
	v_and_b32_sdwa v55, v23, s2 dst_sel:DWORD dst_unused:UNUSED_PAD src0_sel:WORD_1 src1_sel:DWORD
	v_lshrrev_b32_e32 v22, 16, v23
	v_cmp_ne_u16_e32 vcc, 0, v55
	v_mov_b32_e32 v53, 0
	v_mov_b32_e32 v54, 0
	s_and_saveexec_b64 s[2:3], vcc
	s_cbranch_execz .LBB888_341
; %bb.336:
	s_movk_i32 s8, 0x80
	v_cmp_ne_u16_e32 vcc, s8, v55
	v_mov_b32_e32 v54, 0xffff8000
	s_and_saveexec_b64 s[8:9], vcc
	s_cbranch_execz .LBB888_340
; %bb.337:
	v_bfe_u32 v55, v23, 16, 7
	s_movk_i32 s10, 0x7f
	v_cmp_ne_u32_e32 vcc, s10, v55
	v_mov_b32_e32 v54, 0x7f80
	s_and_saveexec_b64 s[10:11], vcc
	s_cbranch_execz .LBB888_339
; %bb.338:
	v_and_b32_e32 v54, 7, v22
	v_ffbh_u32_e32 v56, v54
	v_min_u32_e32 v59, 32, v56
	v_subrev_u32_e32 v56, 28, v59
	v_lshlrev_b64 v[56:57], v56, v[22:23]
	v_lshrrev_b32_e32 v58, 3, v55
	v_sub_u32_e32 v22, 29, v59
	v_and_b32_e32 v56, 7, v56
	v_cmp_gt_u32_e32 vcc, 8, v55
	v_mov_b32_e32 v55, 24
	v_cndmask_b32_e32 v22, v58, v22, vcc
	v_cndmask_b32_e32 v54, v54, v56, vcc
	v_lshlrev_b32_sdwa v55, v55, v23 dst_sel:DWORD dst_unused:UNUSED_PAD src0_sel:DWORD src1_sel:WORD_1
	v_bfrev_b32_e32 v56, 60
	v_lshlrev_b32_e32 v54, 20, v54
	v_and_b32_e32 v55, 0x80000000, v55
	v_lshl_add_u32 v22, v22, 23, v56
	v_or3_b32 v22, v55, v22, v54
	v_lshrrev_b32_e32 v54, 16, v22
.LBB888_339:
	s_or_b64 exec, exec, s[10:11]
.LBB888_340:
	s_or_b64 exec, exec, s[8:9]
.LBB888_341:
	s_or_b64 exec, exec, s[2:3]
	s_mov_b32 s2, 0xffffff
	v_cmp_lt_u32_e32 vcc, s2, v23
	s_and_saveexec_b64 s[2:3], vcc
	s_cbranch_execz .LBB888_347
; %bb.342:
	v_lshrrev_b32_e32 v22, 24, v23
	s_movk_i32 s8, 0x80
	v_cmp_ne_u32_e32 vcc, s8, v22
	v_mov_b32_e32 v53, 0xffff8000
	s_and_saveexec_b64 s[8:9], vcc
	s_cbranch_execz .LBB888_346
; %bb.343:
	v_bfe_u32 v23, v23, 24, 7
	s_movk_i32 s10, 0x7f
	v_cmp_ne_u32_e32 vcc, s10, v23
	v_mov_b32_e32 v53, 0x7f80
	s_and_saveexec_b64 s[10:11], vcc
	s_cbranch_execz .LBB888_345
; %bb.344:
	v_and_b32_e32 v53, 7, v22
	v_ffbh_u32_e32 v56, v53
	v_min_u32_e32 v58, 32, v56
	v_subrev_u32_e32 v56, 28, v58
	v_lshlrev_b64 v[56:57], v56, v[22:23]
	v_lshrrev_b32_e32 v55, 3, v23
	v_sub_u32_e32 v57, 29, v58
	v_and_b32_e32 v56, 7, v56
	v_cmp_gt_u32_e32 vcc, 8, v23
	v_cndmask_b32_e32 v23, v55, v57, vcc
	v_cndmask_b32_e32 v53, v53, v56, vcc
	v_lshlrev_b32_e32 v22, 24, v22
	v_bfrev_b32_e32 v55, 60
	v_lshlrev_b32_e32 v53, 20, v53
	v_and_b32_e32 v22, 0x80000000, v22
	v_lshl_add_u32 v23, v23, 23, v55
	v_or3_b32 v22, v22, v23, v53
	v_lshrrev_b32_e32 v53, 16, v22
.LBB888_345:
	s_or_b64 exec, exec, s[10:11]
.LBB888_346:
	s_or_b64 exec, exec, s[8:9]
.LBB888_347:
	s_or_b64 exec, exec, s[2:3]
	s_mov_b32 s2, 0x5040100
	v_perm_b32 v23, v45, v51, s2
	v_perm_b32 v22, v43, v44, s2
	s_nop 1
	v_mfma_f32_16x16x16bf16_1k v[56:59], v[22:23], v[26:27], 0
	v_perm_b32 v27, v53, v54, s2
	v_perm_b32 v26, v42, v52, s2
	v_mov_b32_e32 v23, 0
	v_cmp_ne_u16_sdwa s[8:9], v24, v23 src0_sel:BYTE_0 src1_sel:DWORD
	v_mov_b32_e32 v42, 0
	v_mfma_f32_16x16x16bf16_1k v[26:29], v[26:27], v[28:29], v[56:59]
	s_and_saveexec_b64 s[2:3], s[8:9]
	s_cbranch_execz .LBB888_353
; %bb.348:
	s_movk_i32 s8, 0x80
	v_cmp_ne_u16_sdwa s[10:11], v24, s8 src0_sel:BYTE_0 src1_sel:DWORD
	v_mov_b32_e32 v42, 0xffff8000
	s_and_saveexec_b64 s[8:9], s[10:11]
	s_cbranch_execz .LBB888_352
; %bb.349:
	s_movk_i32 s10, 0x7f
	v_and_b32_e32 v22, 0x7f, v24
	v_cmp_ne_u32_e32 vcc, s10, v22
	v_mov_b32_e32 v42, 0x7f80
	s_and_saveexec_b64 s[10:11], vcc
	s_cbranch_execz .LBB888_351
; %bb.350:
	v_and_b32_e32 v44, 7, v24
	v_ffbh_u32_e32 v42, v44
	v_min_u32_e32 v51, 32, v42
	v_subrev_u32_e32 v42, 28, v51
	v_lshlrev_b64 v[42:43], v42, v[24:25]
	v_lshrrev_b32_e32 v45, 3, v22
	v_sub_u32_e32 v43, 29, v51
	v_and_b32_e32 v42, 7, v42
	v_cmp_gt_u32_e32 vcc, 8, v22
	v_cndmask_b32_e32 v22, v45, v43, vcc
	v_cndmask_b32_e32 v42, v44, v42, vcc
	v_lshlrev_b32_e32 v43, 24, v24
	v_bfrev_b32_e32 v44, 60
	v_lshlrev_b32_e32 v42, 20, v42
	v_and_b32_e32 v43, 0x80000000, v43
	v_lshl_add_u32 v22, v22, 23, v44
	v_or3_b32 v22, v43, v22, v42
	v_lshrrev_b32_e32 v42, 16, v22
.LBB888_351:
	s_or_b64 exec, exec, s[10:11]
.LBB888_352:
	s_or_b64 exec, exec, s[8:9]
.LBB888_353:
	s_or_b64 exec, exec, s[2:3]
	v_lshrrev_b16_e32 v22, 8, v24
	v_cmp_ne_u16_e32 vcc, 0, v22
	s_and_saveexec_b64 s[2:3], vcc
	s_cbranch_execz .LBB888_359
; %bb.354:
	s_movk_i32 s8, 0x80
	v_cmp_ne_u16_e32 vcc, s8, v22
	v_mov_b32_e32 v23, 0xffff8000
	s_and_saveexec_b64 s[8:9], vcc
	s_cbranch_execz .LBB888_358
; %bb.355:
	s_movk_i32 s10, 0x7f
	v_and_b32_e32 v43, 0x7f, v22
	v_cmp_ne_u32_e32 vcc, s10, v43
	v_mov_b32_e32 v23, 0x7f80
	s_and_saveexec_b64 s[10:11], vcc
	s_cbranch_execz .LBB888_357
; %bb.356:
	v_and_b32_e32 v44, 7, v22
	v_ffbh_u32_e32 v23, v44
	v_min_u32_e32 v51, 32, v23
	v_subrev_u32_e32 v23, 28, v51
	v_lshlrev_b64 v[22:23], v23, v[22:23]
	v_lshrrev_b32_e32 v45, 3, v43
	v_sub_u32_e32 v23, 29, v51
	v_and_b32_e32 v22, 7, v22
	v_cmp_gt_u32_e32 vcc, 8, v43
	v_cndmask_b32_e32 v23, v45, v23, vcc
	v_cndmask_b32_e32 v22, v44, v22, vcc
	v_lshlrev_b32_e32 v43, 16, v24
	v_bfrev_b32_e32 v44, 60
	v_lshlrev_b32_e32 v22, 20, v22
	v_and_b32_e32 v43, 0x80000000, v43
	v_lshl_add_u32 v23, v23, 23, v44
	v_or3_b32 v22, v43, v23, v22
	v_lshrrev_b32_e32 v23, 16, v22
.LBB888_357:
	s_or_b64 exec, exec, s[10:11]
.LBB888_358:
	s_or_b64 exec, exec, s[8:9]
.LBB888_359:
	s_or_b64 exec, exec, s[2:3]
	s_movk_i32 s2, 0xff
	v_and_b32_sdwa v45, v24, s2 dst_sel:DWORD dst_unused:UNUSED_PAD src0_sel:WORD_1 src1_sel:DWORD
	v_lshrrev_b32_e32 v22, 16, v24
	v_cmp_ne_u16_e32 vcc, 0, v45
	v_mov_b32_e32 v43, 0
	v_mov_b32_e32 v44, 0
	s_and_saveexec_b64 s[2:3], vcc
	s_cbranch_execz .LBB888_365
; %bb.360:
	s_movk_i32 s8, 0x80
	v_cmp_ne_u16_e32 vcc, s8, v45
	v_mov_b32_e32 v44, 0xffff8000
	s_and_saveexec_b64 s[8:9], vcc
	s_cbranch_execz .LBB888_364
; %bb.361:
	v_bfe_u32 v45, v24, 16, 7
	s_movk_i32 s10, 0x7f
	v_cmp_ne_u32_e32 vcc, s10, v45
	v_mov_b32_e32 v44, 0x7f80
	s_and_saveexec_b64 s[10:11], vcc
	s_cbranch_execz .LBB888_363
; %bb.362:
	v_and_b32_e32 v44, 7, v22
	v_ffbh_u32_e32 v52, v44
	v_min_u32_e32 v54, 32, v52
	v_subrev_u32_e32 v52, 28, v54
	v_lshlrev_b64 v[52:53], v52, v[22:23]
	v_lshrrev_b32_e32 v51, 3, v45
	v_sub_u32_e32 v22, 29, v54
	v_and_b32_e32 v52, 7, v52
	v_cmp_gt_u32_e32 vcc, 8, v45
	v_mov_b32_e32 v45, 24
	v_cndmask_b32_e32 v22, v51, v22, vcc
	v_cndmask_b32_e32 v44, v44, v52, vcc
	v_lshlrev_b32_sdwa v45, v45, v24 dst_sel:DWORD dst_unused:UNUSED_PAD src0_sel:DWORD src1_sel:WORD_1
	v_bfrev_b32_e32 v51, 60
	v_lshlrev_b32_e32 v44, 20, v44
	v_and_b32_e32 v45, 0x80000000, v45
	v_lshl_add_u32 v22, v22, 23, v51
	v_or3_b32 v22, v45, v22, v44
	v_lshrrev_b32_e32 v44, 16, v22
.LBB888_363:
	s_or_b64 exec, exec, s[10:11]
.LBB888_364:
	s_or_b64 exec, exec, s[8:9]
.LBB888_365:
	s_or_b64 exec, exec, s[2:3]
	s_mov_b32 s2, 0xffffff
	v_cmp_lt_u32_e32 vcc, s2, v24
	s_and_saveexec_b64 s[2:3], vcc
	s_cbranch_execz .LBB888_371
; %bb.366:
	v_lshrrev_b32_e32 v22, 24, v24
	s_movk_i32 s8, 0x80
	v_cmp_ne_u32_e32 vcc, s8, v22
	v_mov_b32_e32 v43, 0xffff8000
	s_and_saveexec_b64 s[8:9], vcc
	s_cbranch_execz .LBB888_370
; %bb.367:
	v_bfe_u32 v24, v24, 24, 7
	s_movk_i32 s10, 0x7f
	v_cmp_ne_u32_e32 vcc, s10, v24
	v_mov_b32_e32 v43, 0x7f80
	s_and_saveexec_b64 s[10:11], vcc
	s_cbranch_execz .LBB888_369
; %bb.368:
	v_and_b32_e32 v43, 7, v22
	v_ffbh_u32_e32 v51, v43
	v_min_u32_e32 v51, 32, v51
	v_subrev_u32_e32 v52, 28, v51
	v_lshlrev_b64 v[52:53], v52, v[22:23]
	v_lshrrev_b32_e32 v45, 3, v24
	v_sub_u32_e32 v51, 29, v51
	v_and_b32_e32 v52, 7, v52
	v_cmp_gt_u32_e32 vcc, 8, v24
	v_cndmask_b32_e32 v24, v45, v51, vcc
	v_cndmask_b32_e32 v43, v43, v52, vcc
	v_lshlrev_b32_e32 v22, 24, v22
	v_bfrev_b32_e32 v45, 60
	v_lshlrev_b32_e32 v43, 20, v43
	v_and_b32_e32 v22, 0x80000000, v22
	v_lshl_add_u32 v24, v24, 23, v45
	v_or3_b32 v22, v22, v24, v43
	v_lshrrev_b32_e32 v43, 16, v22
.LBB888_369:
	s_or_b64 exec, exec, s[10:11]
.LBB888_370:
	s_or_b64 exec, exec, s[8:9]
.LBB888_371:
	s_or_b64 exec, exec, s[2:3]
	v_mov_b32_e32 v24, 0
	v_cmp_ne_u16_sdwa s[8:9], v25, v24 src0_sel:BYTE_0 src1_sel:DWORD
	v_mov_b32_e32 v51, 0
	s_and_saveexec_b64 s[2:3], s[8:9]
	s_cbranch_execz .LBB888_377
; %bb.372:
	s_movk_i32 s8, 0x80
	v_cmp_ne_u16_sdwa s[10:11], v25, s8 src0_sel:BYTE_0 src1_sel:DWORD
	v_mov_b32_e32 v51, 0xffff8000
	s_and_saveexec_b64 s[8:9], s[10:11]
	s_cbranch_execz .LBB888_376
; %bb.373:
	s_movk_i32 s10, 0x7f
	v_and_b32_e32 v22, 0x7f, v25
	v_cmp_ne_u32_e32 vcc, s10, v22
	v_mov_b32_e32 v51, 0x7f80
	s_and_saveexec_b64 s[10:11], vcc
	s_cbranch_execz .LBB888_375
; %bb.374:
	v_and_b32_e32 v45, 7, v25
	v_ffbh_u32_e32 v53, v45
	v_min_u32_e32 v54, 32, v53
	v_mov_b32_e32 v52, v25
	v_subrev_u32_e32 v53, 28, v54
	v_lshlrev_b64 v[52:53], v53, v[52:53]
	v_lshrrev_b32_e32 v51, 3, v22
	v_sub_u32_e32 v53, 29, v54
	v_and_b32_e32 v52, 7, v52
	v_cmp_gt_u32_e32 vcc, 8, v22
	v_cndmask_b32_e32 v22, v51, v53, vcc
	v_cndmask_b32_e32 v45, v45, v52, vcc
	v_lshlrev_b32_e32 v51, 24, v25
	v_bfrev_b32_e32 v52, 60
	v_lshlrev_b32_e32 v45, 20, v45
	v_and_b32_e32 v51, 0x80000000, v51
	v_lshl_add_u32 v22, v22, 23, v52
	v_or3_b32 v22, v51, v22, v45
	v_lshrrev_b32_e32 v51, 16, v22
.LBB888_375:
	s_or_b64 exec, exec, s[10:11]
.LBB888_376:
	s_or_b64 exec, exec, s[8:9]
.LBB888_377:
	s_or_b64 exec, exec, s[2:3]
	v_lshrrev_b16_e32 v22, 8, v25
	v_cmp_ne_u16_e32 vcc, 0, v22
	s_and_saveexec_b64 s[2:3], vcc
	s_cbranch_execz .LBB888_383
; %bb.378:
	s_movk_i32 s8, 0x80
	v_cmp_ne_u16_e32 vcc, s8, v22
	v_mov_b32_e32 v24, 0xffff8000
	s_and_saveexec_b64 s[8:9], vcc
	s_cbranch_execz .LBB888_382
; %bb.379:
	s_movk_i32 s10, 0x7f
	v_and_b32_e32 v45, 0x7f, v22
	v_cmp_ne_u32_e32 vcc, s10, v45
	v_mov_b32_e32 v24, 0x7f80
	s_and_saveexec_b64 s[10:11], vcc
	s_cbranch_execz .LBB888_381
; %bb.380:
	v_and_b32_e32 v24, 7, v22
	v_ffbh_u32_e32 v52, v24
	v_min_u32_e32 v55, 32, v52
	v_subrev_u32_e32 v52, 28, v55
	v_lshlrev_b64 v[52:53], v52, v[22:23]
	v_lshrrev_b32_e32 v54, 3, v45
	v_sub_u32_e32 v22, 29, v55
	v_and_b32_e32 v52, 7, v52
	v_cmp_gt_u32_e32 vcc, 8, v45
	v_cndmask_b32_e32 v22, v54, v22, vcc
	v_cndmask_b32_e32 v24, v24, v52, vcc
	v_lshlrev_b32_e32 v45, 16, v25
	v_bfrev_b32_e32 v52, 60
	v_lshlrev_b32_e32 v24, 20, v24
	v_and_b32_e32 v45, 0x80000000, v45
	v_lshl_add_u32 v22, v22, 23, v52
	v_or3_b32 v22, v45, v22, v24
	v_lshrrev_b32_e32 v24, 16, v22
.LBB888_381:
	s_or_b64 exec, exec, s[10:11]
.LBB888_382:
	s_or_b64 exec, exec, s[8:9]
.LBB888_383:
	s_or_b64 exec, exec, s[2:3]
	s_movk_i32 s2, 0xff
	v_and_b32_sdwa v45, v25, s2 dst_sel:DWORD dst_unused:UNUSED_PAD src0_sel:WORD_1 src1_sel:DWORD
	v_lshrrev_b32_e32 v22, 16, v25
	v_cmp_ne_u16_e32 vcc, 0, v45
	v_mov_b32_e32 v52, 0
	v_mov_b32_e32 v53, 0
	s_and_saveexec_b64 s[2:3], vcc
	s_cbranch_execz .LBB888_389
; %bb.384:
	s_movk_i32 s8, 0x80
	v_cmp_ne_u16_e32 vcc, s8, v45
	v_mov_b32_e32 v53, 0xffff8000
	s_and_saveexec_b64 s[8:9], vcc
	s_cbranch_execz .LBB888_388
; %bb.385:
	v_bfe_u32 v45, v25, 16, 7
	s_movk_i32 s10, 0x7f
	v_cmp_ne_u32_e32 vcc, s10, v45
	v_mov_b32_e32 v53, 0x7f80
	s_and_saveexec_b64 s[10:11], vcc
	s_cbranch_execz .LBB888_387
; %bb.386:
	v_and_b32_e32 v53, 7, v22
	v_ffbh_u32_e32 v54, v53
	v_min_u32_e32 v57, 32, v54
	v_subrev_u32_e32 v54, 28, v57
	v_lshlrev_b64 v[54:55], v54, v[22:23]
	v_and_b32_e32 v54, 7, v54
	v_cmp_gt_u32_e32 vcc, 8, v45
	v_lshrrev_b32_e32 v56, 3, v45
	v_sub_u32_e32 v22, 29, v57
	v_cndmask_b32_e32 v45, v53, v54, vcc
	v_mov_b32_e32 v53, 24
	v_cndmask_b32_e32 v22, v56, v22, vcc
	v_lshlrev_b32_sdwa v53, v53, v25 dst_sel:DWORD dst_unused:UNUSED_PAD src0_sel:DWORD src1_sel:WORD_1
	v_bfrev_b32_e32 v54, 60
	v_lshlrev_b32_e32 v45, 20, v45
	v_and_b32_e32 v53, 0x80000000, v53
	v_lshl_add_u32 v22, v22, 23, v54
	v_or3_b32 v22, v53, v22, v45
	v_lshrrev_b32_e32 v53, 16, v22
.LBB888_387:
	s_or_b64 exec, exec, s[10:11]
.LBB888_388:
	s_or_b64 exec, exec, s[8:9]
.LBB888_389:
	s_or_b64 exec, exec, s[2:3]
	s_mov_b32 s2, 0xffffff
	v_and_b32_e32 v45, 63, v0
	v_cmp_lt_u32_e32 vcc, s2, v25
	s_and_saveexec_b64 s[2:3], vcc
	s_cbranch_execz .LBB888_395
; %bb.390:
	v_lshrrev_b32_e32 v22, 24, v25
	s_movk_i32 s8, 0x80
	v_cmp_ne_u32_e32 vcc, s8, v22
	v_mov_b32_e32 v52, 0xffff8000
	s_and_saveexec_b64 s[8:9], vcc
	s_cbranch_execz .LBB888_394
; %bb.391:
	v_bfe_u32 v25, v25, 24, 7
	s_movk_i32 s10, 0x7f
	v_cmp_ne_u32_e32 vcc, s10, v25
	v_mov_b32_e32 v52, 0x7f80
	s_and_saveexec_b64 s[10:11], vcc
	s_cbranch_execz .LBB888_393
; %bb.392:
	v_and_b32_e32 v52, 7, v22
	v_ffbh_u32_e32 v54, v52
	v_min_u32_e32 v57, 32, v54
	v_subrev_u32_e32 v54, 28, v57
	v_lshlrev_b64 v[54:55], v54, v[22:23]
	v_lshrrev_b32_e32 v56, 3, v25
	v_sub_u32_e32 v55, 29, v57
	v_and_b32_e32 v54, 7, v54
	v_cmp_gt_u32_e32 vcc, 8, v25
	v_cndmask_b32_e32 v25, v56, v55, vcc
	v_cndmask_b32_e32 v52, v52, v54, vcc
	v_lshlrev_b32_e32 v22, 24, v22
	v_bfrev_b32_e32 v54, 60
	v_lshlrev_b32_e32 v52, 20, v52
	v_and_b32_e32 v22, 0x80000000, v22
	v_lshl_add_u32 v25, v25, 23, v54
	v_or3_b32 v22, v22, v25, v52
	v_lshrrev_b32_e32 v52, 16, v22
.LBB888_393:
	s_or_b64 exec, exec, s[10:11]
.LBB888_394:
	s_or_b64 exec, exec, s[8:9]
.LBB888_395:
	s_or_b64 exec, exec, s[2:3]
	s_mov_b32 s3, 0x5040100
	v_perm_b32 v43, v43, v44, s3
	v_perm_b32 v42, v23, v42, s3
	s_load_dword s2, s[4:5], 0x1c
	s_mov_b32 s46, 0xff7fffff
	s_waitcnt lgkmcnt(0)
	v_mfma_f32_16x16x16bf16_1k v[26:29], v[42:43], v[18:19], v[26:29]
	v_perm_b32 v19, v52, v53, s3
	v_perm_b32 v18, v24, v51, s3
	v_and_b32_e32 v24, 0xc0, v0
	v_mov_b32_e32 v22, s2
	v_add_u32_e32 v24, s20, v24
	v_mul_f32_e32 v44, s12, v22
	v_lshl_or_b32 v42, v1, 2, v24
	v_mfma_f32_16x16x16bf16_1k v[18:21], v[18:19], v[20:21], v[26:29]
	v_pk_mul_f32 v[22:23], v[44:45], v[36:37] op_sel_hi:[0,1]
	v_pk_mul_f32 v[36:37], v[44:45], v[40:41] op_sel_hi:[0,1]
	;; [unrolled: 1-line block ×4, first 2 shown]
	v_mov_b32_e32 v43, 0xff7fffff
	v_cmp_gt_i32_e64 s[26:27], s33, v42
	v_pk_mul_f32 v[38:39], v[44:45], v[38:39] op_sel_hi:[0,1]
	s_nop 3
	v_pk_mul_f32 v[32:33], v[44:45], v[18:19] op_sel_hi:[0,1]
	v_or_b32_e32 v19, 1, v42
	v_cmp_gt_i32_e64 s[28:29], s33, v19
	v_cndmask_b32_e64 v18, v43, v30, s[26:27]
	v_cndmask_b32_e64 v19, v43, v31, s[28:29]
	v_pk_mul_f32 v[24:25], v[44:45], v[20:21] op_sel_hi:[0,1]
	v_max3_f32 v18, v18, s46, v19
	v_or_b32_e32 v19, 2, v42
	v_or_b32_e32 v20, 3, v42
	v_cmp_gt_i32_e64 s[30:31], s33, v19
	v_cmp_gt_i32_e64 s[34:35], s33, v20
	v_cndmask_b32_e64 v19, v43, v40, s[30:31]
	v_cndmask_b32_e64 v20, v43, v41, s[34:35]
	v_max3_f32 v18, v18, v19, v20
	v_or_b32_e32 v19, 16, v42
	v_or_b32_e32 v20, 17, v42
	v_cmp_gt_i32_e64 s[36:37], s33, v19
	v_cmp_gt_i32_e64 s[38:39], s33, v20
	v_cndmask_b32_e64 v19, v43, v38, s[36:37]
	v_cndmask_b32_e64 v20, v43, v39, s[38:39]
	;; [unrolled: 7-line block ×3, first 2 shown]
	v_max3_f32 v18, v18, v19, v20
	v_or_b32_e32 v19, 32, v42
	v_or_b32_e32 v20, 33, v42
	v_pk_mul_f32 v[34:35], v[44:45], v[34:35] op_sel_hi:[0,1]
	v_cmp_gt_i32_e64 s[16:17], s33, v19
	v_cmp_gt_i32_e64 s[18:19], s33, v20
	v_cndmask_b32_e64 v19, v43, v34, s[16:17]
	v_cndmask_b32_e64 v20, v43, v35, s[18:19]
	v_max3_f32 v18, v18, v19, v20
	v_or_b32_e32 v19, 34, v42
	v_or_b32_e32 v20, 35, v42
	v_cmp_gt_i32_e64 s[12:13], s33, v19
	v_cmp_gt_i32_e64 s[14:15], s33, v20
	v_cndmask_b32_e64 v19, v43, v22, s[12:13]
	v_cndmask_b32_e64 v20, v43, v23, s[14:15]
	v_max3_f32 v18, v18, v19, v20
	v_or_b32_e32 v19, 48, v42
	v_or_b32_e32 v20, 49, v42
	;; [unrolled: 7-line block ×3, first 2 shown]
	v_cmp_gt_i32_e32 vcc, s33, v19
	v_cmp_gt_i32_e64 s[2:3], s33, v20
	v_cndmask_b32_e32 v19, v43, v24, vcc
	v_cndmask_b32_e64 v20, v43, v25, s[2:3]
	v_max3_f32 v18, v18, v19, v20
	v_mbcnt_lo_u32_b32 v19, -1, 0
	v_mbcnt_hi_u32_b32 v19, -1, v19
	v_and_b32_e32 v20, 64, v19
	v_add_u32_e32 v20, 64, v20
	v_xor_b32_e32 v21, 32, v19
	v_cmp_lt_i32_e64 s[40:41], v21, v20
	v_cndmask_b32_e64 v21, v19, v21, s[40:41]
	v_lshlrev_b32_e32 v43, 2, v21
	ds_bpermute_b32 v21, v43, v18
	s_barrier
	s_waitcnt lgkmcnt(0)
	v_max_f32_e32 v21, v21, v21
	v_max_f32_e32 v18, v18, v21
	v_xor_b32_e32 v21, 16, v19
	v_cmp_lt_i32_e64 s[40:41], v21, v20
	v_cndmask_b32_e64 v19, v19, v21, s[40:41]
	v_lshlrev_b32_e32 v44, 2, v19
	ds_bpermute_b32 v19, v44, v18
	s_waitcnt lgkmcnt(0)
	v_max_f32_e32 v19, v19, v19
	v_max_f32_e32 v42, v18, v19
	v_sub_f32_e32 v21, v40, v42
	v_sub_f32_e32 v26, v41, v42
	v_mul_f32_e32 v21, 0x3fb8aa3b, v21
	v_mul_f32_e32 v26, 0x3fb8aa3b, v26
	v_sub_f32_e32 v18, v30, v42
	v_exp_f32_e32 v21, v21
	v_exp_f32_e32 v26, v26
	v_mul_f32_e32 v18, 0x3fb8aa3b, v18
	v_sub_f32_e32 v19, v31, v42
	v_exp_f32_e32 v18, v18
	v_mul_f32_e32 v19, 0x3fb8aa3b, v19
	v_exp_f32_e32 v19, v19
	v_cndmask_b32_e64 v28, 0, v21, s[30:31]
	v_cndmask_b32_e64 v29, 0, v26, s[34:35]
	v_sub_f32_e32 v21, v38, v42
	v_sub_f32_e32 v26, v39, v42
	v_mul_f32_e32 v21, 0x3fb8aa3b, v21
	v_mul_f32_e32 v26, 0x3fb8aa3b, v26
	v_cndmask_b32_e64 v18, 0, v18, s[26:27]
	v_exp_f32_e32 v21, v21
	v_exp_f32_e32 v26, v26
	v_add_f32_e32 v20, 0, v18
	v_cndmask_b32_e64 v19, 0, v19, s[28:29]
	v_add_f32_e32 v20, v20, v19
	v_add_f32_e32 v20, v20, v28
	;; [unrolled: 1-line block ×3, first 2 shown]
	v_cndmask_b32_e64 v20, 0, v21, s[36:37]
	v_cndmask_b32_e64 v21, 0, v26, s[38:39]
	v_sub_f32_e32 v26, v36, v42
	v_mul_f32_e32 v26, 0x3fb8aa3b, v26
	v_exp_f32_e32 v26, v26
	v_sub_f32_e32 v30, v37, v42
	v_add_f32_e32 v27, v27, v20
	v_mul_f32_e32 v30, 0x3fb8aa3b, v30
	v_exp_f32_e32 v31, v30
	v_add_f32_e32 v27, v27, v21
	v_cndmask_b32_e64 v30, 0, v26, s[20:21]
	v_add_f32_e32 v26, v27, v30
	v_sub_f32_e32 v27, v34, v42
	v_mul_f32_e32 v27, 0x3fb8aa3b, v27
	v_sub_f32_e32 v34, v35, v42
	v_exp_f32_e32 v27, v27
	v_mul_f32_e32 v34, 0x3fb8aa3b, v34
	v_sub_f32_e32 v22, v22, v42
	v_exp_f32_e32 v34, v34
	;; [unrolled: 3-line block ×3, first 2 shown]
	v_mul_f32_e32 v23, 0x3fb8aa3b, v23
	v_cndmask_b32_e64 v31, 0, v31, s[22:23]
	v_exp_f32_e32 v23, v23
	v_add_f32_e32 v35, v26, v31
	v_cndmask_b32_e64 v26, 0, v27, s[16:17]
	v_add_f32_e32 v35, v35, v26
	v_cndmask_b32_e64 v27, 0, v34, s[18:19]
	;; [unrolled: 2-line block ×4, first 2 shown]
	v_sub_f32_e32 v23, v32, v42
	v_mul_f32_e32 v23, 0x3fb8aa3b, v23
	v_sub_f32_e32 v32, v33, v42
	v_exp_f32_e32 v23, v23
	v_mul_f32_e32 v32, 0x3fb8aa3b, v32
	v_sub_f32_e32 v24, v24, v42
	v_exp_f32_e32 v32, v32
	;; [unrolled: 3-line block ×3, first 2 shown]
	v_mul_f32_e32 v25, 0x3fb8aa3b, v25
	v_exp_f32_e32 v25, v25
	v_add_f32_e32 v33, v22, v35
	v_cndmask_b32_e64 v22, 0, v23, s[8:9]
	v_add_f32_e32 v33, v33, v22
	v_cndmask_b32_e64 v23, 0, v32, s[10:11]
	v_add_f32_e32 v32, v33, v23
	v_cndmask_b32_e32 v24, 0, v24, vcc
	v_add_f32_e32 v32, v32, v24
	v_cndmask_b32_e64 v25, 0, v25, s[2:3]
	v_add_f32_e32 v32, v32, v25
	ds_bpermute_b32 v33, v43, v32
	v_cmp_gt_u32_e32 vcc, 16, v45
	s_waitcnt lgkmcnt(0)
	v_add_f32_e32 v32, v32, v33
	ds_bpermute_b32 v36, v44, v32
	v_lshlrev_b32_e32 v33, 2, v49
	s_and_saveexec_b64 s[2:3], vcc
	s_cbranch_execz .LBB888_397
; %bb.396:
	s_waitcnt lgkmcnt(0)
	v_add_f32_e32 v32, v32, v36
	v_lshl_or_b32 v36, v50, 6, v33
	ds_write2st64_b32 v36, v42, v32 offset1:1
.LBB888_397:
	s_or_b64 exec, exec, s[2:3]
	s_waitcnt lgkmcnt(0)
	s_barrier
	ds_read2_b32 v[36:37], v33 offset1:16
	ds_read2_b32 v[38:39], v33 offset0:32 offset1:48
	ds_read2_b32 v[40:41], v33 offset0:64 offset1:80
	s_mul_i32 s12, s45, 11
	s_waitcnt lgkmcnt(2)
	v_max3_f32 v32, v36, s46, v37
	s_waitcnt lgkmcnt(1)
	v_max3_f32 v32, v32, v38, v39
	v_sub_f32_e32 v36, v36, v32
	v_mul_f32_e32 v36, 0x3fb8aa3b, v36
	v_exp_f32_e32 v42, v36
	v_sub_f32_e32 v36, v37, v32
	v_mul_f32_e32 v36, 0x3fb8aa3b, v36
	v_exp_f32_e32 v43, v36
	;; [unrolled: 3-line block ×3, first 2 shown]
	ds_read2_b32 v[36:37], v33 offset0:96 offset1:112
	v_sub_f32_e32 v33, v39, v32
	v_mul_f32_e32 v33, 0x3fb8aa3b, v33
	v_exp_f32_e32 v39, v33
	s_waitcnt lgkmcnt(1)
	v_fma_f32 v33, v42, v40, 0
	v_fmac_f32_e32 v33, v43, v41
	s_waitcnt lgkmcnt(0)
	v_fmac_f32_e32 v33, v38, v36
	v_fmac_f32_e32 v33, v39, v37
	v_add_f32_e32 v36, 0x358637bd, v33
	v_div_scale_f32 v37, s[2:3], v36, v36, 1.0
	v_rcp_f32_e32 v40, v37
	s_movk_i32 s2, 0x7fff
	s_mov_b32 s3, 0x7060302
	v_fma_f32 v41, -v37, v40, 1.0
	v_fmac_f32_e32 v40, v41, v40
	v_div_scale_f32 v41, vcc, 1.0, v36, 1.0
	v_mul_f32_e32 v44, v41, v40
	v_fma_f32 v45, -v37, v44, v41
	v_fmac_f32_e32 v44, v45, v40
	v_fma_f32 v37, -v37, v44, v41
	v_div_fmas_f32 v37, v37, v40, v44
	v_cmp_eq_u32_e32 vcc, 1, v50
	v_div_fixup_f32 v36, v37, v36, 1.0
	v_cndmask_b32_e32 v37, v42, v43, vcc
	v_cmp_eq_u32_e32 vcc, 2, v50
	v_cndmask_b32_e32 v37, v37, v38, vcc
	v_cmp_eq_u32_e32 vcc, 3, v50
	v_cndmask_b32_e32 v37, v37, v39, vcc
	v_mul_f32_e32 v36, v37, v36
	v_pk_mul_f32 v[18:19], v[36:37], v[18:19] op_sel_hi:[0,1]
	v_pk_mul_f32 v[28:29], v[36:37], v[28:29] op_sel_hi:[0,1]
	v_bfe_u32 v37, v19, 16, 1
	v_bfe_u32 v38, v18, 16, 1
	v_add3_u32 v18, v18, v38, s2
	v_add3_u32 v19, v19, v37, s2
	v_perm_b32 v18, v19, v18, s3
	v_bfe_u32 v19, v29, 16, 1
	v_bfe_u32 v37, v28, 16, 1
	v_add3_u32 v28, v28, v37, s2
	v_add3_u32 v19, v29, v19, s2
	v_perm_b32 v19, v19, v28, s3
	v_lshlrev_b32_e32 v28, 3, v1
	v_lshlrev_b32_e32 v29, 11, v50
	v_pk_mul_f32 v[20:21], v[36:37], v[20:21] op_sel_hi:[0,1]
	v_or3_b32 v28, v29, v48, v28
	v_pk_mul_f32 v[30:31], v[36:37], v[30:31] op_sel_hi:[0,1]
	v_bfe_u32 v29, v21, 16, 1
	v_bfe_u32 v37, v20, 16, 1
	v_add3_u32 v20, v20, v37, s2
	v_add3_u32 v21, v21, v29, s2
	v_perm_b32 v20, v21, v20, s3
	v_bfe_u32 v21, v31, 16, 1
	v_bfe_u32 v29, v30, 16, 1
	v_add3_u32 v29, v30, v29, s2
	v_add3_u32 v21, v31, v21, s2
	v_perm_b32 v21, v21, v29, s3
	s_barrier
	ds_write2st64_b64 v28, v[18:19], v[20:21] offset1:1
	v_pk_mul_f32 v[20:21], v[36:37], v[26:27] op_sel_hi:[0,1]
	v_bfe_u32 v26, v21, 16, 1
	v_bfe_u32 v27, v20, 16, 1
	v_pk_mul_f32 v[18:19], v[36:37], v[34:35] op_sel_hi:[0,1]
	v_add3_u32 v20, v20, v27, s2
	v_add3_u32 v21, v21, v26, s2
	v_perm_b32 v20, v21, v20, s3
	v_bfe_u32 v21, v19, 16, 1
	v_bfe_u32 v26, v18, 16, 1
	v_add3_u32 v18, v18, v26, s2
	v_add3_u32 v19, v19, v21, s2
	v_pk_mul_f32 v[22:23], v[36:37], v[22:23] op_sel_hi:[0,1]
	v_perm_b32 v21, v19, v18, s3
	v_pk_mul_f32 v[18:19], v[36:37], v[24:25] op_sel_hi:[0,1]
	v_bfe_u32 v24, v23, 16, 1
	v_bfe_u32 v25, v22, 16, 1
	v_add3_u32 v22, v22, v25, s2
	v_add3_u32 v23, v23, v24, s2
	v_perm_b32 v22, v23, v22, s3
	v_bfe_u32 v23, v19, 16, 1
	v_bfe_u32 v24, v18, 16, 1
	v_add3_u32 v18, v18, v24, s2
	v_add3_u32 v19, v19, v23, s2
	v_perm_b32 v23, v19, v18, s3
	v_cmp_gt_u32_e32 vcc, 11, v0
	ds_write2st64_b64 v28, v[20:21], v[22:23] offset0:2 offset1:3
	s_and_saveexec_b64 s[2:3], vcc
	s_cbranch_execz .LBB888_399
; %bb.398:
	v_add_co_u32_e32 v20, vcc, s25, v49
	v_addc_co_u32_e64 v21, s[14:15], 0, 0, vcc
	v_mov_b32_e32 v18, s12
	v_mov_b32_e32 v19, 0
	v_mad_u64_u32 v[20:21], s[14:15], s6, v18, v[20:21]
	v_mov_b32_e32 v18, s24
	s_load_dwordx4 s[8:11], s[4:5], 0x58
	s_mul_i32 s7, s7, s12
	v_mad_u64_u32 v[18:19], s[14:15], v20, s44, v[18:19]
	v_add_u32_e32 v21, s7, v21
	v_mov_b32_e32 v20, v19
	v_mad_u64_u32 v[20:21], s[14:15], v21, s44, v[20:21]
	v_mov_b32_e32 v19, v20
	v_lshlrev_b64 v[18:19], 2, v[18:19]
	s_waitcnt lgkmcnt(0)
	v_mov_b32_e32 v21, s11
	v_add_co_u32_e32 v20, vcc, s10, v18
	v_addc_co_u32_e32 v21, vcc, v21, v19, vcc
	global_store_dword v[20:21], v32, off
	v_mov_b32_e32 v20, s9
	v_add_co_u32_e32 v18, vcc, s8, v18
	v_addc_co_u32_e32 v19, vcc, v20, v19, vcc
	global_store_dword v[18:19], v33, off
.LBB888_399:
	s_or_b64 exec, exec, s[2:3]
	v_mov_b32_e32 v19, 0
	s_waitcnt vmcnt(3)
	v_cmp_ne_u16_sdwa s[8:9], v14, v19 src0_sel:BYTE_0 src1_sel:DWORD
	v_mov_b32_e32 v20, 0
	s_waitcnt lgkmcnt(0)
	s_barrier
	s_and_saveexec_b64 s[2:3], s[8:9]
	s_cbranch_execz .LBB888_405
; %bb.400:
	s_movk_i32 s7, 0x80
	v_cmp_ne_u16_sdwa s[10:11], v14, s7 src0_sel:BYTE_0 src1_sel:DWORD
	v_mov_b32_e32 v20, 0xffff8000
	s_and_saveexec_b64 s[8:9], s[10:11]
	s_cbranch_execz .LBB888_404
; %bb.401:
	s_movk_i32 s7, 0x7f
	v_and_b32_e32 v18, 0x7f, v14
	v_cmp_ne_u32_e32 vcc, s7, v18
	v_mov_b32_e32 v20, 0x7f80
	s_and_saveexec_b64 s[10:11], vcc
	s_cbranch_execz .LBB888_403
; %bb.402:
	v_and_b32_e32 v22, 7, v14
	v_ffbh_u32_e32 v20, v22
	v_min_u32_e32 v24, 32, v20
	v_subrev_u32_e32 v20, 28, v24
	v_lshlrev_b64 v[20:21], v20, v[14:15]
	v_lshrrev_b32_e32 v23, 3, v18
	v_sub_u32_e32 v21, 29, v24
	v_and_b32_e32 v20, 7, v20
	v_cmp_gt_u32_e32 vcc, 8, v18
	v_cndmask_b32_e32 v18, v23, v21, vcc
	v_cndmask_b32_e32 v20, v22, v20, vcc
	v_lshlrev_b32_e32 v21, 24, v14
	v_bfrev_b32_e32 v22, 60
	v_lshlrev_b32_e32 v20, 20, v20
	v_and_b32_e32 v21, 0x80000000, v21
	v_lshl_add_u32 v18, v18, 23, v22
	v_or3_b32 v18, v21, v18, v20
	v_lshrrev_b32_e32 v20, 16, v18
.LBB888_403:
	s_or_b64 exec, exec, s[10:11]
.LBB888_404:
	s_or_b64 exec, exec, s[8:9]
.LBB888_405:
	s_or_b64 exec, exec, s[2:3]
	v_lshrrev_b16_e32 v18, 8, v14
	v_cmp_ne_u16_e32 vcc, 0, v18
	s_and_saveexec_b64 s[2:3], vcc
	s_cbranch_execz .LBB888_411
; %bb.406:
	s_movk_i32 s7, 0x80
	v_cmp_ne_u16_e32 vcc, s7, v18
	v_mov_b32_e32 v19, 0xffff8000
	s_and_saveexec_b64 s[8:9], vcc
	s_cbranch_execz .LBB888_410
; %bb.407:
	s_movk_i32 s7, 0x7f
	v_and_b32_e32 v21, 0x7f, v18
	v_cmp_ne_u32_e32 vcc, s7, v21
	v_mov_b32_e32 v19, 0x7f80
	s_and_saveexec_b64 s[10:11], vcc
	s_cbranch_execz .LBB888_409
; %bb.408:
	v_and_b32_e32 v22, 7, v18
	v_ffbh_u32_e32 v19, v22
	v_min_u32_e32 v24, 32, v19
	v_subrev_u32_e32 v19, 28, v24
	v_lshlrev_b64 v[18:19], v19, v[18:19]
	v_lshrrev_b32_e32 v23, 3, v21
	v_sub_u32_e32 v19, 29, v24
	v_and_b32_e32 v18, 7, v18
	v_cmp_gt_u32_e32 vcc, 8, v21
	v_cndmask_b32_e32 v19, v23, v19, vcc
	v_cndmask_b32_e32 v18, v22, v18, vcc
	v_lshlrev_b32_e32 v21, 16, v14
	v_bfrev_b32_e32 v22, 60
	v_lshlrev_b32_e32 v18, 20, v18
	v_and_b32_e32 v21, 0x80000000, v21
	v_lshl_add_u32 v19, v19, 23, v22
	v_or3_b32 v18, v21, v19, v18
	v_lshrrev_b32_e32 v19, 16, v18
.LBB888_409:
	s_or_b64 exec, exec, s[10:11]
.LBB888_410:
	s_or_b64 exec, exec, s[8:9]
.LBB888_411:
	s_or_b64 exec, exec, s[2:3]
	s_movk_i32 s2, 0xff
	v_and_b32_sdwa v23, v14, s2 dst_sel:DWORD dst_unused:UNUSED_PAD src0_sel:WORD_1 src1_sel:DWORD
	v_lshrrev_b32_e32 v18, 16, v14
	v_cmp_ne_u16_e32 vcc, 0, v23
	v_mov_b32_e32 v21, 0
	v_mov_b32_e32 v22, 0
	s_and_saveexec_b64 s[2:3], vcc
	s_cbranch_execz .LBB888_417
; %bb.412:
	s_movk_i32 s7, 0x80
	v_cmp_ne_u16_e32 vcc, s7, v23
	v_mov_b32_e32 v22, 0xffff8000
	s_and_saveexec_b64 s[8:9], vcc
	s_cbranch_execz .LBB888_416
; %bb.413:
	v_bfe_u32 v23, v14, 16, 7
	s_movk_i32 s7, 0x7f
	v_cmp_ne_u32_e32 vcc, s7, v23
	v_mov_b32_e32 v22, 0x7f80
	s_and_saveexec_b64 s[10:11], vcc
	s_cbranch_execz .LBB888_415
; %bb.414:
	v_and_b32_e32 v22, 7, v18
	v_ffbh_u32_e32 v24, v22
	v_min_u32_e32 v27, 32, v24
	v_subrev_u32_e32 v24, 28, v27
	v_lshlrev_b64 v[24:25], v24, v[18:19]
	v_lshrrev_b32_e32 v26, 3, v23
	v_sub_u32_e32 v18, 29, v27
	v_and_b32_e32 v24, 7, v24
	v_cmp_gt_u32_e32 vcc, 8, v23
	v_mov_b32_e32 v23, 24
	v_cndmask_b32_e32 v18, v26, v18, vcc
	v_cndmask_b32_e32 v22, v22, v24, vcc
	v_lshlrev_b32_sdwa v23, v23, v14 dst_sel:DWORD dst_unused:UNUSED_PAD src0_sel:DWORD src1_sel:WORD_1
	v_bfrev_b32_e32 v24, 60
	v_lshlrev_b32_e32 v22, 20, v22
	v_and_b32_e32 v23, 0x80000000, v23
	v_lshl_add_u32 v18, v18, 23, v24
	v_or3_b32 v18, v23, v18, v22
	v_lshrrev_b32_e32 v22, 16, v18
.LBB888_415:
	s_or_b64 exec, exec, s[10:11]
.LBB888_416:
	s_or_b64 exec, exec, s[8:9]
.LBB888_417:
	s_or_b64 exec, exec, s[2:3]
	s_mov_b32 s2, 0xffffff
	v_cmp_lt_u32_e32 vcc, s2, v14
	s_and_saveexec_b64 s[2:3], vcc
	s_cbranch_execz .LBB888_423
; %bb.418:
	v_lshrrev_b32_e32 v18, 24, v14
	s_movk_i32 s7, 0x80
	v_cmp_ne_u32_e32 vcc, s7, v18
	v_mov_b32_e32 v21, 0xffff8000
	s_and_saveexec_b64 s[8:9], vcc
	s_cbranch_execz .LBB888_422
; %bb.419:
	v_bfe_u32 v14, v14, 24, 7
	s_movk_i32 s7, 0x7f
	v_cmp_ne_u32_e32 vcc, s7, v14
	v_mov_b32_e32 v21, 0x7f80
	s_and_saveexec_b64 s[10:11], vcc
	s_cbranch_execz .LBB888_421
; %bb.420:
	v_and_b32_e32 v21, 7, v18
	v_ffbh_u32_e32 v24, v21
	v_min_u32_e32 v26, 32, v24
	v_subrev_u32_e32 v24, 28, v26
	v_lshlrev_b64 v[24:25], v24, v[18:19]
	v_lshrrev_b32_e32 v23, 3, v14
	v_sub_u32_e32 v25, 29, v26
	v_and_b32_e32 v24, 7, v24
	v_cmp_gt_u32_e32 vcc, 8, v14
	v_cndmask_b32_e32 v14, v23, v25, vcc
	v_cndmask_b32_e32 v21, v21, v24, vcc
	v_lshlrev_b32_e32 v18, 24, v18
	v_bfrev_b32_e32 v23, 60
	v_lshlrev_b32_e32 v21, 20, v21
	v_and_b32_e32 v18, 0x80000000, v18
	v_lshl_add_u32 v14, v14, 23, v23
	v_or3_b32 v14, v18, v14, v21
	v_lshrrev_b32_e32 v21, 16, v14
.LBB888_421:
	s_or_b64 exec, exec, s[10:11]
.LBB888_422:
	s_or_b64 exec, exec, s[8:9]
.LBB888_423:
	s_or_b64 exec, exec, s[2:3]
	v_mov_b32_e32 v18, 0
	v_cmp_ne_u16_sdwa s[8:9], v15, v18 src0_sel:BYTE_0 src1_sel:DWORD
	v_mov_b32_e32 v23, 0
	s_and_saveexec_b64 s[2:3], s[8:9]
	s_cbranch_execz .LBB888_429
; %bb.424:
	s_movk_i32 s7, 0x80
	v_cmp_ne_u16_sdwa s[10:11], v15, s7 src0_sel:BYTE_0 src1_sel:DWORD
	v_mov_b32_e32 v23, 0xffff8000
	s_and_saveexec_b64 s[8:9], s[10:11]
	s_cbranch_execz .LBB888_428
; %bb.425:
	s_movk_i32 s7, 0x7f
	v_and_b32_e32 v14, 0x7f, v15
	v_cmp_ne_u32_e32 vcc, s7, v14
	v_mov_b32_e32 v23, 0x7f80
	s_and_saveexec_b64 s[10:11], vcc
	s_cbranch_execz .LBB888_427
; %bb.426:
	v_and_b32_e32 v23, 7, v15
	v_ffbh_u32_e32 v25, v23
	v_min_u32_e32 v27, 32, v25
	v_mov_b32_e32 v24, v15
	v_subrev_u32_e32 v25, 28, v27
	v_lshlrev_b64 v[24:25], v25, v[24:25]
	v_lshrrev_b32_e32 v26, 3, v14
	v_sub_u32_e32 v25, 29, v27
	v_and_b32_e32 v24, 7, v24
	v_cmp_gt_u32_e32 vcc, 8, v14
	v_cndmask_b32_e32 v14, v26, v25, vcc
	v_cndmask_b32_e32 v23, v23, v24, vcc
	v_lshlrev_b32_e32 v24, 24, v15
	v_bfrev_b32_e32 v25, 60
	v_lshlrev_b32_e32 v23, 20, v23
	v_and_b32_e32 v24, 0x80000000, v24
	v_lshl_add_u32 v14, v14, 23, v25
	v_or3_b32 v14, v24, v14, v23
	v_lshrrev_b32_e32 v23, 16, v14
.LBB888_427:
	s_or_b64 exec, exec, s[10:11]
.LBB888_428:
	s_or_b64 exec, exec, s[8:9]
.LBB888_429:
	s_or_b64 exec, exec, s[2:3]
	v_lshrrev_b16_e32 v14, 8, v15
	v_cmp_ne_u16_e32 vcc, 0, v14
	s_and_saveexec_b64 s[2:3], vcc
	s_cbranch_execz .LBB888_435
; %bb.430:
	s_movk_i32 s7, 0x80
	v_cmp_ne_u16_e32 vcc, s7, v14
	v_mov_b32_e32 v18, 0xffff8000
	s_and_saveexec_b64 s[8:9], vcc
	s_cbranch_execz .LBB888_434
; %bb.431:
	s_movk_i32 s7, 0x7f
	v_and_b32_e32 v24, 0x7f, v14
	v_cmp_ne_u32_e32 vcc, s7, v24
	v_mov_b32_e32 v18, 0x7f80
	s_and_saveexec_b64 s[10:11], vcc
	s_cbranch_execz .LBB888_433
; %bb.432:
	v_and_b32_e32 v18, 7, v14
	v_ffbh_u32_e32 v26, v18
	v_min_u32_e32 v29, 32, v26
	v_subrev_u32_e32 v26, 28, v29
	v_lshlrev_b64 v[26:27], v26, v[14:15]
	v_lshrrev_b32_e32 v25, 3, v24
	v_sub_u32_e32 v14, 29, v29
	v_and_b32_e32 v26, 7, v26
	v_cmp_gt_u32_e32 vcc, 8, v24
	v_cndmask_b32_e32 v14, v25, v14, vcc
	v_cndmask_b32_e32 v18, v18, v26, vcc
	v_lshlrev_b32_e32 v24, 16, v15
	v_bfrev_b32_e32 v25, 60
	v_lshlrev_b32_e32 v18, 20, v18
	v_and_b32_e32 v24, 0x80000000, v24
	v_lshl_add_u32 v14, v14, 23, v25
	v_or3_b32 v14, v24, v14, v18
	v_lshrrev_b32_e32 v18, 16, v14
.LBB888_433:
	s_or_b64 exec, exec, s[10:11]
.LBB888_434:
	s_or_b64 exec, exec, s[8:9]
.LBB888_435:
	s_or_b64 exec, exec, s[2:3]
	s_movk_i32 s2, 0xff
	v_and_b32_sdwa v26, v15, s2 dst_sel:DWORD dst_unused:UNUSED_PAD src0_sel:WORD_1 src1_sel:DWORD
	v_lshrrev_b32_e32 v14, 16, v15
	v_cmp_ne_u16_e32 vcc, 0, v26
	v_mov_b32_e32 v24, 0
	v_mov_b32_e32 v25, 0
	s_and_saveexec_b64 s[2:3], vcc
	s_cbranch_execz .LBB888_441
; %bb.436:
	s_movk_i32 s7, 0x80
	v_cmp_ne_u16_e32 vcc, s7, v26
	v_mov_b32_e32 v25, 0xffff8000
	s_and_saveexec_b64 s[8:9], vcc
	s_cbranch_execz .LBB888_440
; %bb.437:
	v_bfe_u32 v26, v15, 16, 7
	s_movk_i32 s7, 0x7f
	v_cmp_ne_u32_e32 vcc, s7, v26
	v_mov_b32_e32 v25, 0x7f80
	s_and_saveexec_b64 s[10:11], vcc
	s_cbranch_execz .LBB888_439
; %bb.438:
	v_and_b32_e32 v25, 7, v14
	v_ffbh_u32_e32 v29, v25
	v_min_u32_e32 v29, 32, v29
	v_subrev_u32_e32 v30, 28, v29
	v_lshlrev_b64 v[30:31], v30, v[14:15]
	v_lshrrev_b32_e32 v27, 3, v26
	v_sub_u32_e32 v14, 29, v29
	v_and_b32_e32 v29, 7, v30
	v_cmp_gt_u32_e32 vcc, 8, v26
	v_mov_b32_e32 v26, 24
	v_cndmask_b32_e32 v14, v27, v14, vcc
	v_cndmask_b32_e32 v25, v25, v29, vcc
	v_lshlrev_b32_sdwa v26, v26, v15 dst_sel:DWORD dst_unused:UNUSED_PAD src0_sel:DWORD src1_sel:WORD_1
	v_bfrev_b32_e32 v27, 60
	v_lshlrev_b32_e32 v25, 20, v25
	v_and_b32_e32 v26, 0x80000000, v26
	v_lshl_add_u32 v14, v14, 23, v27
	v_or3_b32 v14, v26, v14, v25
	v_lshrrev_b32_e32 v25, 16, v14
.LBB888_439:
	s_or_b64 exec, exec, s[10:11]
.LBB888_440:
	s_or_b64 exec, exec, s[8:9]
.LBB888_441:
	s_or_b64 exec, exec, s[2:3]
	s_mov_b32 s2, 0xffffff
	v_cmp_lt_u32_e32 vcc, s2, v15
	s_and_saveexec_b64 s[2:3], vcc
	s_cbranch_execz .LBB888_447
; %bb.442:
	v_lshrrev_b32_e32 v14, 24, v15
	s_movk_i32 s7, 0x80
	v_cmp_ne_u32_e32 vcc, s7, v14
	v_mov_b32_e32 v24, 0xffff8000
	s_and_saveexec_b64 s[8:9], vcc
	s_cbranch_execz .LBB888_446
; %bb.443:
	v_bfe_u32 v15, v15, 24, 7
	s_movk_i32 s7, 0x7f
	v_cmp_ne_u32_e32 vcc, s7, v15
	v_mov_b32_e32 v24, 0x7f80
	s_and_saveexec_b64 s[10:11], vcc
	s_cbranch_execz .LBB888_445
; %bb.444:
	v_and_b32_e32 v24, 7, v14
	v_ffbh_u32_e32 v26, v24
	v_min_u32_e32 v30, 32, v26
	v_subrev_u32_e32 v26, 28, v30
	v_lshlrev_b64 v[26:27], v26, v[14:15]
	v_lshrrev_b32_e32 v29, 3, v15
	v_sub_u32_e32 v27, 29, v30
	v_and_b32_e32 v26, 7, v26
	v_cmp_gt_u32_e32 vcc, 8, v15
	v_cndmask_b32_e32 v15, v29, v27, vcc
	v_cndmask_b32_e32 v24, v24, v26, vcc
	v_lshlrev_b32_e32 v14, 24, v14
	v_bfrev_b32_e32 v26, 60
	v_lshlrev_b32_e32 v24, 20, v24
	v_and_b32_e32 v14, 0x80000000, v14
	v_lshl_add_u32 v15, v15, 23, v26
	v_or3_b32 v14, v14, v15, v24
	v_lshrrev_b32_e32 v24, 16, v14
.LBB888_445:
	s_or_b64 exec, exec, s[10:11]
.LBB888_446:
	s_or_b64 exec, exec, s[8:9]
.LBB888_447:
	s_or_b64 exec, exec, s[2:3]
	s_mov_b32 s2, 0x5040100
	v_perm_b32 v15, v21, v22, s2
	v_lshl_or_b32 v22, v1, 9, v48
	v_perm_b32 v14, v19, v20, s2
	ds_read_b128 v[30:33], v22
	v_perm_b32 v19, v24, v25, s2
	v_perm_b32 v18, v18, v23, s2
	s_waitcnt lgkmcnt(0)
	v_mfma_f32_16x16x16bf16_1k v[34:37], v[14:15], v[30:31], 0
	v_mov_b32_e32 v15, 0
	v_cmp_ne_u16_sdwa s[8:9], v16, v15 src0_sel:BYTE_0 src1_sel:DWORD
	v_mov_b32_e32 v23, 0
	v_mfma_f32_16x16x16bf16_1k v[18:21], v[18:19], v[32:33], v[34:37]
	s_and_saveexec_b64 s[2:3], s[8:9]
	s_cbranch_execz .LBB888_453
; %bb.448:
	s_movk_i32 s7, 0x80
	v_cmp_ne_u16_sdwa s[10:11], v16, s7 src0_sel:BYTE_0 src1_sel:DWORD
	v_mov_b32_e32 v23, 0xffff8000
	s_and_saveexec_b64 s[8:9], s[10:11]
	s_cbranch_execz .LBB888_452
; %bb.449:
	s_movk_i32 s7, 0x7f
	v_and_b32_e32 v14, 0x7f, v16
	v_cmp_ne_u32_e32 vcc, s7, v14
	v_mov_b32_e32 v23, 0x7f80
	s_and_saveexec_b64 s[10:11], vcc
	s_cbranch_execz .LBB888_451
; %bb.450:
	v_and_b32_e32 v23, 7, v16
	v_ffbh_u32_e32 v24, v23
	v_min_u32_e32 v27, 32, v24
	v_subrev_u32_e32 v24, 28, v27
	v_lshlrev_b64 v[24:25], v24, v[16:17]
	v_lshrrev_b32_e32 v26, 3, v14
	v_sub_u32_e32 v25, 29, v27
	v_and_b32_e32 v24, 7, v24
	v_cmp_gt_u32_e32 vcc, 8, v14
	v_cndmask_b32_e32 v14, v26, v25, vcc
	v_cndmask_b32_e32 v23, v23, v24, vcc
	v_lshlrev_b32_e32 v24, 24, v16
	v_bfrev_b32_e32 v25, 60
	v_lshlrev_b32_e32 v23, 20, v23
	v_and_b32_e32 v24, 0x80000000, v24
	v_lshl_add_u32 v14, v14, 23, v25
	v_or3_b32 v14, v24, v14, v23
	v_lshrrev_b32_e32 v23, 16, v14
.LBB888_451:
	s_or_b64 exec, exec, s[10:11]
.LBB888_452:
	s_or_b64 exec, exec, s[8:9]
.LBB888_453:
	s_or_b64 exec, exec, s[2:3]
	v_lshrrev_b16_e32 v14, 8, v16
	v_cmp_ne_u16_e32 vcc, 0, v14
	s_and_saveexec_b64 s[2:3], vcc
	s_cbranch_execz .LBB888_459
; %bb.454:
	s_movk_i32 s7, 0x80
	v_cmp_ne_u16_e32 vcc, s7, v14
	v_mov_b32_e32 v15, 0xffff8000
	s_and_saveexec_b64 s[8:9], vcc
	s_cbranch_execz .LBB888_458
; %bb.455:
	s_movk_i32 s7, 0x7f
	v_and_b32_e32 v24, 0x7f, v14
	v_cmp_ne_u32_e32 vcc, s7, v24
	v_mov_b32_e32 v15, 0x7f80
	s_and_saveexec_b64 s[10:11], vcc
	s_cbranch_execz .LBB888_457
; %bb.456:
	v_and_b32_e32 v25, 7, v14
	v_ffbh_u32_e32 v15, v25
	v_min_u32_e32 v27, 32, v15
	v_subrev_u32_e32 v15, 28, v27
	v_lshlrev_b64 v[14:15], v15, v[14:15]
	v_lshrrev_b32_e32 v26, 3, v24
	v_sub_u32_e32 v15, 29, v27
	v_and_b32_e32 v14, 7, v14
	v_cmp_gt_u32_e32 vcc, 8, v24
	v_cndmask_b32_e32 v15, v26, v15, vcc
	v_cndmask_b32_e32 v14, v25, v14, vcc
	v_lshlrev_b32_e32 v24, 16, v16
	v_bfrev_b32_e32 v25, 60
	v_lshlrev_b32_e32 v14, 20, v14
	v_and_b32_e32 v24, 0x80000000, v24
	v_lshl_add_u32 v15, v15, 23, v25
	v_or3_b32 v14, v24, v15, v14
	v_lshrrev_b32_e32 v15, 16, v14
.LBB888_457:
	s_or_b64 exec, exec, s[10:11]
.LBB888_458:
	s_or_b64 exec, exec, s[8:9]
.LBB888_459:
	s_or_b64 exec, exec, s[2:3]
	s_movk_i32 s2, 0xff
	v_and_b32_sdwa v26, v16, s2 dst_sel:DWORD dst_unused:UNUSED_PAD src0_sel:WORD_1 src1_sel:DWORD
	v_lshrrev_b32_e32 v14, 16, v16
	v_cmp_ne_u16_e32 vcc, 0, v26
	v_mov_b32_e32 v24, 0
	v_mov_b32_e32 v25, 0
	s_and_saveexec_b64 s[2:3], vcc
	s_cbranch_execz .LBB888_465
; %bb.460:
	s_movk_i32 s7, 0x80
	v_cmp_ne_u16_e32 vcc, s7, v26
	v_mov_b32_e32 v25, 0xffff8000
	s_and_saveexec_b64 s[8:9], vcc
	s_cbranch_execz .LBB888_464
; %bb.461:
	v_bfe_u32 v26, v16, 16, 7
	s_movk_i32 s7, 0x7f
	v_cmp_ne_u32_e32 vcc, s7, v26
	v_mov_b32_e32 v25, 0x7f80
	s_and_saveexec_b64 s[10:11], vcc
	s_cbranch_execz .LBB888_463
; %bb.462:
	v_and_b32_e32 v25, 7, v14
	v_ffbh_u32_e32 v29, v25
	v_min_u32_e32 v29, 32, v29
	v_subrev_u32_e32 v30, 28, v29
	v_lshlrev_b64 v[30:31], v30, v[14:15]
	v_lshrrev_b32_e32 v27, 3, v26
	v_sub_u32_e32 v14, 29, v29
	v_and_b32_e32 v29, 7, v30
	v_cmp_gt_u32_e32 vcc, 8, v26
	v_mov_b32_e32 v26, 24
	v_cndmask_b32_e32 v14, v27, v14, vcc
	v_cndmask_b32_e32 v25, v25, v29, vcc
	v_lshlrev_b32_sdwa v26, v26, v16 dst_sel:DWORD dst_unused:UNUSED_PAD src0_sel:DWORD src1_sel:WORD_1
	v_bfrev_b32_e32 v27, 60
	v_lshlrev_b32_e32 v25, 20, v25
	v_and_b32_e32 v26, 0x80000000, v26
	v_lshl_add_u32 v14, v14, 23, v27
	v_or3_b32 v14, v26, v14, v25
	v_lshrrev_b32_e32 v25, 16, v14
.LBB888_463:
	s_or_b64 exec, exec, s[10:11]
.LBB888_464:
	s_or_b64 exec, exec, s[8:9]
.LBB888_465:
	s_or_b64 exec, exec, s[2:3]
	s_mov_b32 s2, 0xffffff
	v_cmp_lt_u32_e32 vcc, s2, v16
	s_and_saveexec_b64 s[2:3], vcc
	s_cbranch_execz .LBB888_471
; %bb.466:
	v_lshrrev_b32_e32 v14, 24, v16
	s_movk_i32 s7, 0x80
	v_cmp_ne_u32_e32 vcc, s7, v14
	v_mov_b32_e32 v24, 0xffff8000
	s_and_saveexec_b64 s[8:9], vcc
	s_cbranch_execz .LBB888_470
; %bb.467:
	v_bfe_u32 v16, v16, 24, 7
	s_movk_i32 s7, 0x7f
	v_cmp_ne_u32_e32 vcc, s7, v16
	v_mov_b32_e32 v24, 0x7f80
	s_and_saveexec_b64 s[10:11], vcc
	s_cbranch_execz .LBB888_469
; %bb.468:
	v_and_b32_e32 v24, 7, v14
	v_ffbh_u32_e32 v26, v24
	v_min_u32_e32 v30, 32, v26
	v_subrev_u32_e32 v26, 28, v30
	v_lshlrev_b64 v[26:27], v26, v[14:15]
	v_lshrrev_b32_e32 v29, 3, v16
	v_sub_u32_e32 v27, 29, v30
	v_and_b32_e32 v26, 7, v26
	v_cmp_gt_u32_e32 vcc, 8, v16
	v_cndmask_b32_e32 v16, v29, v27, vcc
	v_cndmask_b32_e32 v24, v24, v26, vcc
	v_lshlrev_b32_e32 v14, 24, v14
	v_bfrev_b32_e32 v26, 60
	v_lshlrev_b32_e32 v24, 20, v24
	v_and_b32_e32 v14, 0x80000000, v14
	v_lshl_add_u32 v16, v16, 23, v26
	v_or3_b32 v14, v14, v16, v24
	v_lshrrev_b32_e32 v24, 16, v14
.LBB888_469:
	s_or_b64 exec, exec, s[10:11]
.LBB888_470:
	s_or_b64 exec, exec, s[8:9]
.LBB888_471:
	s_or_b64 exec, exec, s[2:3]
	v_mov_b32_e32 v16, 0
	v_cmp_ne_u16_sdwa s[8:9], v17, v16 src0_sel:BYTE_0 src1_sel:DWORD
	v_mov_b32_e32 v26, 0
	s_and_saveexec_b64 s[2:3], s[8:9]
	s_cbranch_execz .LBB888_477
; %bb.472:
	s_movk_i32 s7, 0x80
	v_cmp_ne_u16_sdwa s[10:11], v17, s7 src0_sel:BYTE_0 src1_sel:DWORD
	v_mov_b32_e32 v26, 0xffff8000
	s_and_saveexec_b64 s[8:9], s[10:11]
	s_cbranch_execz .LBB888_476
; %bb.473:
	s_movk_i32 s7, 0x7f
	v_and_b32_e32 v14, 0x7f, v17
	v_cmp_ne_u32_e32 vcc, s7, v14
	v_mov_b32_e32 v26, 0x7f80
	s_and_saveexec_b64 s[10:11], vcc
	s_cbranch_execz .LBB888_475
; %bb.474:
	v_and_b32_e32 v29, 7, v17
	v_ffbh_u32_e32 v27, v29
	v_min_u32_e32 v31, 32, v27
	v_mov_b32_e32 v26, v17
	v_subrev_u32_e32 v27, 28, v31
	v_lshlrev_b64 v[26:27], v27, v[26:27]
	v_lshrrev_b32_e32 v30, 3, v14
	v_sub_u32_e32 v27, 29, v31
	v_and_b32_e32 v26, 7, v26
	v_cmp_gt_u32_e32 vcc, 8, v14
	v_cndmask_b32_e32 v14, v30, v27, vcc
	v_cndmask_b32_e32 v26, v29, v26, vcc
	v_lshlrev_b32_e32 v27, 24, v17
	v_bfrev_b32_e32 v29, 60
	v_lshlrev_b32_e32 v26, 20, v26
	v_and_b32_e32 v27, 0x80000000, v27
	v_lshl_add_u32 v14, v14, 23, v29
	v_or3_b32 v14, v27, v14, v26
	v_lshrrev_b32_e32 v26, 16, v14
.LBB888_475:
	s_or_b64 exec, exec, s[10:11]
.LBB888_476:
	s_or_b64 exec, exec, s[8:9]
.LBB888_477:
	s_or_b64 exec, exec, s[2:3]
	v_lshrrev_b16_e32 v14, 8, v17
	v_cmp_ne_u16_e32 vcc, 0, v14
	s_and_saveexec_b64 s[2:3], vcc
	s_cbranch_execz .LBB888_483
; %bb.478:
	s_movk_i32 s7, 0x80
	v_cmp_ne_u16_e32 vcc, s7, v14
	v_mov_b32_e32 v16, 0xffff8000
	s_and_saveexec_b64 s[8:9], vcc
	s_cbranch_execz .LBB888_482
; %bb.479:
	s_movk_i32 s7, 0x7f
	v_and_b32_e32 v27, 0x7f, v14
	v_cmp_ne_u32_e32 vcc, s7, v27
	v_mov_b32_e32 v16, 0x7f80
	s_and_saveexec_b64 s[10:11], vcc
	s_cbranch_execz .LBB888_481
; %bb.480:
	v_and_b32_e32 v16, 7, v14
	v_ffbh_u32_e32 v30, v16
	v_min_u32_e32 v32, 32, v30
	v_subrev_u32_e32 v30, 28, v32
	v_lshlrev_b64 v[30:31], v30, v[14:15]
	v_lshrrev_b32_e32 v29, 3, v27
	v_sub_u32_e32 v14, 29, v32
	v_and_b32_e32 v30, 7, v30
	v_cmp_gt_u32_e32 vcc, 8, v27
	v_cndmask_b32_e32 v14, v29, v14, vcc
	v_cndmask_b32_e32 v16, v16, v30, vcc
	v_lshlrev_b32_e32 v27, 16, v17
	v_bfrev_b32_e32 v29, 60
	v_lshlrev_b32_e32 v16, 20, v16
	v_and_b32_e32 v27, 0x80000000, v27
	v_lshl_add_u32 v14, v14, 23, v29
	v_or3_b32 v14, v27, v14, v16
	v_lshrrev_b32_e32 v16, 16, v14
.LBB888_481:
	s_or_b64 exec, exec, s[10:11]
.LBB888_482:
	s_or_b64 exec, exec, s[8:9]
.LBB888_483:
	s_or_b64 exec, exec, s[2:3]
	s_movk_i32 s2, 0xff
	v_and_b32_sdwa v30, v17, s2 dst_sel:DWORD dst_unused:UNUSED_PAD src0_sel:WORD_1 src1_sel:DWORD
	v_lshrrev_b32_e32 v14, 16, v17
	v_cmp_ne_u16_e32 vcc, 0, v30
	v_mov_b32_e32 v27, 0
	v_mov_b32_e32 v29, 0
	s_and_saveexec_b64 s[2:3], vcc
	s_cbranch_execz .LBB888_489
; %bb.484:
	s_movk_i32 s7, 0x80
	v_cmp_ne_u16_e32 vcc, s7, v30
	v_mov_b32_e32 v29, 0xffff8000
	s_and_saveexec_b64 s[8:9], vcc
	s_cbranch_execz .LBB888_488
; %bb.485:
	v_bfe_u32 v30, v17, 16, 7
	s_movk_i32 s7, 0x7f
	v_cmp_ne_u32_e32 vcc, s7, v30
	v_mov_b32_e32 v29, 0x7f80
	s_and_saveexec_b64 s[10:11], vcc
	s_cbranch_execz .LBB888_487
; %bb.486:
	v_and_b32_e32 v29, 7, v14
	v_ffbh_u32_e32 v32, v29
	v_min_u32_e32 v34, 32, v32
	v_subrev_u32_e32 v32, 28, v34
	v_lshlrev_b64 v[32:33], v32, v[14:15]
	v_lshrrev_b32_e32 v31, 3, v30
	v_sub_u32_e32 v14, 29, v34
	v_and_b32_e32 v32, 7, v32
	v_cmp_gt_u32_e32 vcc, 8, v30
	v_mov_b32_e32 v30, 24
	v_cndmask_b32_e32 v14, v31, v14, vcc
	v_cndmask_b32_e32 v29, v29, v32, vcc
	v_lshlrev_b32_sdwa v30, v30, v17 dst_sel:DWORD dst_unused:UNUSED_PAD src0_sel:DWORD src1_sel:WORD_1
	v_bfrev_b32_e32 v31, 60
	v_lshlrev_b32_e32 v29, 20, v29
	v_and_b32_e32 v30, 0x80000000, v30
	v_lshl_add_u32 v14, v14, 23, v31
	v_or3_b32 v14, v30, v14, v29
	v_lshrrev_b32_e32 v29, 16, v14
.LBB888_487:
	s_or_b64 exec, exec, s[10:11]
.LBB888_488:
	s_or_b64 exec, exec, s[8:9]
.LBB888_489:
	s_or_b64 exec, exec, s[2:3]
	s_mov_b32 s2, 0xffffff
	v_cmp_lt_u32_e32 vcc, s2, v17
	s_and_saveexec_b64 s[2:3], vcc
	s_cbranch_execz .LBB888_495
; %bb.490:
	v_lshrrev_b32_e32 v14, 24, v17
	s_movk_i32 s7, 0x80
	v_cmp_ne_u32_e32 vcc, s7, v14
	v_mov_b32_e32 v27, 0xffff8000
	s_and_saveexec_b64 s[8:9], vcc
	s_cbranch_execz .LBB888_494
; %bb.491:
	v_bfe_u32 v17, v17, 24, 7
	s_movk_i32 s7, 0x7f
	v_cmp_ne_u32_e32 vcc, s7, v17
	v_mov_b32_e32 v27, 0x7f80
	s_and_saveexec_b64 s[10:11], vcc
	s_cbranch_execz .LBB888_493
; %bb.492:
	v_and_b32_e32 v27, 7, v14
	v_ffbh_u32_e32 v30, v27
	v_min_u32_e32 v33, 32, v30
	v_subrev_u32_e32 v30, 28, v33
	v_lshlrev_b64 v[30:31], v30, v[14:15]
	v_lshrrev_b32_e32 v32, 3, v17
	v_sub_u32_e32 v31, 29, v33
	v_and_b32_e32 v30, 7, v30
	v_cmp_gt_u32_e32 vcc, 8, v17
	v_cndmask_b32_e32 v17, v32, v31, vcc
	v_cndmask_b32_e32 v27, v27, v30, vcc
	v_lshlrev_b32_e32 v14, 24, v14
	v_bfrev_b32_e32 v30, 60
	v_lshlrev_b32_e32 v27, 20, v27
	v_and_b32_e32 v14, 0x80000000, v14
	v_lshl_add_u32 v17, v17, 23, v30
	v_or3_b32 v14, v14, v17, v27
	v_lshrrev_b32_e32 v27, 16, v14
.LBB888_493:
	s_or_b64 exec, exec, s[10:11]
.LBB888_494:
	s_or_b64 exec, exec, s[8:9]
.LBB888_495:
	s_or_b64 exec, exec, s[2:3]
	s_mov_b32 s2, 0x5040100
	v_perm_b32 v25, v24, v25, s2
	v_perm_b32 v24, v15, v23, s2
	ds_read_b128 v[30:33], v22 offset:16
	v_perm_b32 v15, v27, v29, s2
	v_perm_b32 v14, v16, v26, s2
	s_waitcnt lgkmcnt(0)
	v_mfma_f32_16x16x16bf16_1k v[34:37], v[24:25], v[30:31], v[18:21]
	s_nop 6
	v_mov_b32_e32 v19, 0
	s_waitcnt vmcnt(2)
	v_cmp_ne_u16_sdwa s[8:9], v10, v19 src0_sel:BYTE_0 src1_sel:DWORD
	v_mfma_f32_16x16x16bf16_1k v[14:17], v[14:15], v[32:33], v[34:37]
	v_mov_b32_e32 v20, 0
	s_and_saveexec_b64 s[2:3], s[8:9]
	s_cbranch_execz .LBB888_501
; %bb.496:
	s_movk_i32 s7, 0x80
	v_cmp_ne_u16_sdwa s[10:11], v10, s7 src0_sel:BYTE_0 src1_sel:DWORD
	v_mov_b32_e32 v20, 0xffff8000
	s_and_saveexec_b64 s[8:9], s[10:11]
	s_cbranch_execz .LBB888_500
; %bb.497:
	s_movk_i32 s7, 0x7f
	v_and_b32_e32 v18, 0x7f, v10
	v_cmp_ne_u32_e32 vcc, s7, v18
	v_mov_b32_e32 v20, 0x7f80
	s_and_saveexec_b64 s[10:11], vcc
	s_cbranch_execz .LBB888_499
; %bb.498:
	v_and_b32_e32 v23, 7, v10
	v_ffbh_u32_e32 v20, v23
	v_min_u32_e32 v25, 32, v20
	v_subrev_u32_e32 v20, 28, v25
	v_lshlrev_b64 v[20:21], v20, v[10:11]
	v_lshrrev_b32_e32 v24, 3, v18
	v_sub_u32_e32 v21, 29, v25
	v_and_b32_e32 v20, 7, v20
	v_cmp_gt_u32_e32 vcc, 8, v18
	v_cndmask_b32_e32 v18, v24, v21, vcc
	v_cndmask_b32_e32 v20, v23, v20, vcc
	v_lshlrev_b32_e32 v21, 24, v10
	v_bfrev_b32_e32 v23, 60
	v_lshlrev_b32_e32 v20, 20, v20
	v_and_b32_e32 v21, 0x80000000, v21
	v_lshl_add_u32 v18, v18, 23, v23
	v_or3_b32 v18, v21, v18, v20
	v_lshrrev_b32_e32 v20, 16, v18
.LBB888_499:
	s_or_b64 exec, exec, s[10:11]
.LBB888_500:
	s_or_b64 exec, exec, s[8:9]
.LBB888_501:
	s_or_b64 exec, exec, s[2:3]
	v_lshrrev_b16_e32 v18, 8, v10
	v_cmp_ne_u16_e32 vcc, 0, v18
	s_and_saveexec_b64 s[2:3], vcc
	s_cbranch_execz .LBB888_507
; %bb.502:
	s_movk_i32 s7, 0x80
	v_cmp_ne_u16_e32 vcc, s7, v18
	v_mov_b32_e32 v19, 0xffff8000
	s_and_saveexec_b64 s[8:9], vcc
	s_cbranch_execz .LBB888_506
; %bb.503:
	s_movk_i32 s7, 0x7f
	v_and_b32_e32 v21, 0x7f, v18
	v_cmp_ne_u32_e32 vcc, s7, v21
	v_mov_b32_e32 v19, 0x7f80
	s_and_saveexec_b64 s[10:11], vcc
	s_cbranch_execz .LBB888_505
; %bb.504:
	v_and_b32_e32 v23, 7, v18
	v_ffbh_u32_e32 v19, v23
	v_min_u32_e32 v25, 32, v19
	v_subrev_u32_e32 v19, 28, v25
	v_lshlrev_b64 v[18:19], v19, v[18:19]
	v_lshrrev_b32_e32 v24, 3, v21
	v_sub_u32_e32 v19, 29, v25
	v_and_b32_e32 v18, 7, v18
	v_cmp_gt_u32_e32 vcc, 8, v21
	v_cndmask_b32_e32 v19, v24, v19, vcc
	v_cndmask_b32_e32 v18, v23, v18, vcc
	v_lshlrev_b32_e32 v21, 16, v10
	v_bfrev_b32_e32 v23, 60
	v_lshlrev_b32_e32 v18, 20, v18
	v_and_b32_e32 v21, 0x80000000, v21
	v_lshl_add_u32 v19, v19, 23, v23
	v_or3_b32 v18, v21, v19, v18
	v_lshrrev_b32_e32 v19, 16, v18
.LBB888_505:
	s_or_b64 exec, exec, s[10:11]
.LBB888_506:
	s_or_b64 exec, exec, s[8:9]
.LBB888_507:
	s_or_b64 exec, exec, s[2:3]
	s_movk_i32 s2, 0xff
	v_and_b32_sdwa v24, v10, s2 dst_sel:DWORD dst_unused:UNUSED_PAD src0_sel:WORD_1 src1_sel:DWORD
	v_lshrrev_b32_e32 v18, 16, v10
	v_cmp_ne_u16_e32 vcc, 0, v24
	v_mov_b32_e32 v21, 0
	v_mov_b32_e32 v23, 0
	s_and_saveexec_b64 s[2:3], vcc
	s_cbranch_execz .LBB888_513
; %bb.508:
	s_movk_i32 s7, 0x80
	v_cmp_ne_u16_e32 vcc, s7, v24
	v_mov_b32_e32 v23, 0xffff8000
	s_and_saveexec_b64 s[8:9], vcc
	s_cbranch_execz .LBB888_512
; %bb.509:
	v_bfe_u32 v24, v10, 16, 7
	s_movk_i32 s7, 0x7f
	v_cmp_ne_u32_e32 vcc, s7, v24
	v_mov_b32_e32 v23, 0x7f80
	s_and_saveexec_b64 s[10:11], vcc
	s_cbranch_execz .LBB888_511
; %bb.510:
	v_and_b32_e32 v23, 7, v18
	v_ffbh_u32_e32 v26, v23
	v_min_u32_e32 v29, 32, v26
	v_subrev_u32_e32 v26, 28, v29
	v_lshlrev_b64 v[26:27], v26, v[18:19]
	v_lshrrev_b32_e32 v25, 3, v24
	v_sub_u32_e32 v18, 29, v29
	v_and_b32_e32 v26, 7, v26
	v_cmp_gt_u32_e32 vcc, 8, v24
	v_mov_b32_e32 v24, 24
	v_cndmask_b32_e32 v18, v25, v18, vcc
	v_cndmask_b32_e32 v23, v23, v26, vcc
	v_lshlrev_b32_sdwa v24, v24, v10 dst_sel:DWORD dst_unused:UNUSED_PAD src0_sel:DWORD src1_sel:WORD_1
	v_bfrev_b32_e32 v25, 60
	v_lshlrev_b32_e32 v23, 20, v23
	v_and_b32_e32 v24, 0x80000000, v24
	v_lshl_add_u32 v18, v18, 23, v25
	v_or3_b32 v18, v24, v18, v23
	v_lshrrev_b32_e32 v23, 16, v18
.LBB888_511:
	s_or_b64 exec, exec, s[10:11]
.LBB888_512:
	s_or_b64 exec, exec, s[8:9]
.LBB888_513:
	s_or_b64 exec, exec, s[2:3]
	s_mov_b32 s2, 0xffffff
	v_cmp_lt_u32_e32 vcc, s2, v10
	s_and_saveexec_b64 s[2:3], vcc
	s_cbranch_execz .LBB888_519
; %bb.514:
	v_lshrrev_b32_e32 v18, 24, v10
	s_movk_i32 s7, 0x80
	v_cmp_ne_u32_e32 vcc, s7, v18
	v_mov_b32_e32 v21, 0xffff8000
	s_and_saveexec_b64 s[8:9], vcc
	s_cbranch_execz .LBB888_518
; %bb.515:
	v_bfe_u32 v10, v10, 24, 7
	s_movk_i32 s7, 0x7f
	v_cmp_ne_u32_e32 vcc, s7, v10
	v_mov_b32_e32 v21, 0x7f80
	s_and_saveexec_b64 s[10:11], vcc
	s_cbranch_execz .LBB888_517
; %bb.516:
	v_and_b32_e32 v21, 7, v18
	v_ffbh_u32_e32 v24, v21
	v_min_u32_e32 v27, 32, v24
	v_subrev_u32_e32 v24, 28, v27
	v_lshlrev_b64 v[24:25], v24, v[18:19]
	v_lshrrev_b32_e32 v26, 3, v10
	v_sub_u32_e32 v25, 29, v27
	v_and_b32_e32 v24, 7, v24
	v_cmp_gt_u32_e32 vcc, 8, v10
	v_cndmask_b32_e32 v10, v26, v25, vcc
	v_cndmask_b32_e32 v21, v21, v24, vcc
	v_lshlrev_b32_e32 v18, 24, v18
	v_bfrev_b32_e32 v24, 60
	v_lshlrev_b32_e32 v21, 20, v21
	v_and_b32_e32 v18, 0x80000000, v18
	v_lshl_add_u32 v10, v10, 23, v24
	v_or3_b32 v10, v18, v10, v21
	v_lshrrev_b32_e32 v21, 16, v10
.LBB888_517:
	s_or_b64 exec, exec, s[10:11]
.LBB888_518:
	s_or_b64 exec, exec, s[8:9]
.LBB888_519:
	s_or_b64 exec, exec, s[2:3]
	v_mov_b32_e32 v18, 0
	v_cmp_ne_u16_sdwa s[8:9], v11, v18 src0_sel:BYTE_0 src1_sel:DWORD
	v_mov_b32_e32 v24, 0
	s_and_saveexec_b64 s[2:3], s[8:9]
	s_cbranch_execz .LBB888_525
; %bb.520:
	s_movk_i32 s7, 0x80
	v_cmp_ne_u16_sdwa s[10:11], v11, s7 src0_sel:BYTE_0 src1_sel:DWORD
	v_mov_b32_e32 v24, 0xffff8000
	s_and_saveexec_b64 s[8:9], s[10:11]
	s_cbranch_execz .LBB888_524
; %bb.521:
	s_movk_i32 s7, 0x7f
	v_and_b32_e32 v10, 0x7f, v11
	v_cmp_ne_u32_e32 vcc, s7, v10
	v_mov_b32_e32 v24, 0x7f80
	s_and_saveexec_b64 s[10:11], vcc
	s_cbranch_execz .LBB888_523
; %bb.522:
	v_and_b32_e32 v26, 7, v11
	v_ffbh_u32_e32 v25, v26
	v_min_u32_e32 v29, 32, v25
	v_mov_b32_e32 v24, v11
	v_subrev_u32_e32 v25, 28, v29
	v_lshlrev_b64 v[24:25], v25, v[24:25]
	v_lshrrev_b32_e32 v27, 3, v10
	v_sub_u32_e32 v25, 29, v29
	v_and_b32_e32 v24, 7, v24
	v_cmp_gt_u32_e32 vcc, 8, v10
	v_cndmask_b32_e32 v10, v27, v25, vcc
	v_cndmask_b32_e32 v24, v26, v24, vcc
	v_lshlrev_b32_e32 v25, 24, v11
	v_bfrev_b32_e32 v26, 60
	v_lshlrev_b32_e32 v24, 20, v24
	v_and_b32_e32 v25, 0x80000000, v25
	v_lshl_add_u32 v10, v10, 23, v26
	v_or3_b32 v10, v25, v10, v24
	v_lshrrev_b32_e32 v24, 16, v10
.LBB888_523:
	s_or_b64 exec, exec, s[10:11]
.LBB888_524:
	s_or_b64 exec, exec, s[8:9]
.LBB888_525:
	s_or_b64 exec, exec, s[2:3]
	v_lshrrev_b16_e32 v10, 8, v11
	v_cmp_ne_u16_e32 vcc, 0, v10
	s_and_saveexec_b64 s[2:3], vcc
	s_cbranch_execz .LBB888_531
; %bb.526:
	s_movk_i32 s7, 0x80
	v_cmp_ne_u16_e32 vcc, s7, v10
	v_mov_b32_e32 v18, 0xffff8000
	s_and_saveexec_b64 s[8:9], vcc
	s_cbranch_execz .LBB888_530
; %bb.527:
	s_movk_i32 s7, 0x7f
	v_and_b32_e32 v25, 0x7f, v10
	v_cmp_ne_u32_e32 vcc, s7, v25
	v_mov_b32_e32 v18, 0x7f80
	s_and_saveexec_b64 s[10:11], vcc
	s_cbranch_execz .LBB888_529
; %bb.528:
	v_and_b32_e32 v18, 7, v10
	v_ffbh_u32_e32 v26, v18
	v_min_u32_e32 v30, 32, v26
	v_subrev_u32_e32 v26, 28, v30
	v_lshlrev_b64 v[26:27], v26, v[10:11]
	v_lshrrev_b32_e32 v29, 3, v25
	v_sub_u32_e32 v10, 29, v30
	v_and_b32_e32 v26, 7, v26
	v_cmp_gt_u32_e32 vcc, 8, v25
	v_cndmask_b32_e32 v10, v29, v10, vcc
	v_cndmask_b32_e32 v18, v18, v26, vcc
	v_lshlrev_b32_e32 v25, 16, v11
	v_bfrev_b32_e32 v26, 60
	v_lshlrev_b32_e32 v18, 20, v18
	v_and_b32_e32 v25, 0x80000000, v25
	v_lshl_add_u32 v10, v10, 23, v26
	v_or3_b32 v10, v25, v10, v18
	v_lshrrev_b32_e32 v18, 16, v10
.LBB888_529:
	s_or_b64 exec, exec, s[10:11]
.LBB888_530:
	s_or_b64 exec, exec, s[8:9]
.LBB888_531:
	s_or_b64 exec, exec, s[2:3]
	s_movk_i32 s2, 0xff
	v_and_b32_sdwa v27, v11, s2 dst_sel:DWORD dst_unused:UNUSED_PAD src0_sel:WORD_1 src1_sel:DWORD
	v_lshrrev_b32_e32 v10, 16, v11
	v_cmp_ne_u16_e32 vcc, 0, v27
	v_mov_b32_e32 v25, 0
	v_mov_b32_e32 v26, 0
	s_and_saveexec_b64 s[2:3], vcc
	s_cbranch_execz .LBB888_537
; %bb.532:
	s_movk_i32 s7, 0x80
	v_cmp_ne_u16_e32 vcc, s7, v27
	v_mov_b32_e32 v26, 0xffff8000
	s_and_saveexec_b64 s[8:9], vcc
	s_cbranch_execz .LBB888_536
; %bb.533:
	v_bfe_u32 v27, v11, 16, 7
	s_movk_i32 s7, 0x7f
	v_cmp_ne_u32_e32 vcc, s7, v27
	v_mov_b32_e32 v26, 0x7f80
	s_and_saveexec_b64 s[10:11], vcc
	s_cbranch_execz .LBB888_535
; %bb.534:
	v_and_b32_e32 v26, 7, v10
	v_ffbh_u32_e32 v30, v26
	v_min_u32_e32 v32, 32, v30
	v_subrev_u32_e32 v30, 28, v32
	v_lshlrev_b64 v[30:31], v30, v[10:11]
	v_lshrrev_b32_e32 v29, 3, v27
	v_sub_u32_e32 v10, 29, v32
	v_and_b32_e32 v30, 7, v30
	v_cmp_gt_u32_e32 vcc, 8, v27
	v_mov_b32_e32 v27, 24
	v_cndmask_b32_e32 v10, v29, v10, vcc
	v_cndmask_b32_e32 v26, v26, v30, vcc
	v_lshlrev_b32_sdwa v27, v27, v11 dst_sel:DWORD dst_unused:UNUSED_PAD src0_sel:DWORD src1_sel:WORD_1
	v_bfrev_b32_e32 v29, 60
	v_lshlrev_b32_e32 v26, 20, v26
	v_and_b32_e32 v27, 0x80000000, v27
	v_lshl_add_u32 v10, v10, 23, v29
	v_or3_b32 v10, v27, v10, v26
	v_lshrrev_b32_e32 v26, 16, v10
.LBB888_535:
	s_or_b64 exec, exec, s[10:11]
.LBB888_536:
	s_or_b64 exec, exec, s[8:9]
.LBB888_537:
	s_or_b64 exec, exec, s[2:3]
	s_mov_b32 s2, 0xffffff
	v_cmp_lt_u32_e32 vcc, s2, v11
	s_and_saveexec_b64 s[2:3], vcc
	s_cbranch_execz .LBB888_543
; %bb.538:
	v_lshrrev_b32_e32 v10, 24, v11
	s_movk_i32 s7, 0x80
	v_cmp_ne_u32_e32 vcc, s7, v10
	v_mov_b32_e32 v25, 0xffff8000
	s_and_saveexec_b64 s[8:9], vcc
	s_cbranch_execz .LBB888_542
; %bb.539:
	v_bfe_u32 v11, v11, 24, 7
	s_movk_i32 s7, 0x7f
	v_cmp_ne_u32_e32 vcc, s7, v11
	v_mov_b32_e32 v25, 0x7f80
	s_and_saveexec_b64 s[10:11], vcc
	s_cbranch_execz .LBB888_541
; %bb.540:
	v_and_b32_e32 v25, 7, v10
	v_ffbh_u32_e32 v29, v25
	v_min_u32_e32 v29, 32, v29
	v_subrev_u32_e32 v30, 28, v29
	v_lshlrev_b64 v[30:31], v30, v[10:11]
	v_lshrrev_b32_e32 v27, 3, v11
	v_sub_u32_e32 v29, 29, v29
	v_and_b32_e32 v30, 7, v30
	v_cmp_gt_u32_e32 vcc, 8, v11
	v_cndmask_b32_e32 v11, v27, v29, vcc
	v_cndmask_b32_e32 v25, v25, v30, vcc
	v_lshlrev_b32_e32 v10, 24, v10
	v_bfrev_b32_e32 v27, 60
	v_lshlrev_b32_e32 v25, 20, v25
	v_and_b32_e32 v10, 0x80000000, v10
	v_lshl_add_u32 v11, v11, 23, v27
	v_or3_b32 v10, v10, v11, v25
	v_lshrrev_b32_e32 v25, 16, v10
.LBB888_541:
	s_or_b64 exec, exec, s[10:11]
.LBB888_542:
	s_or_b64 exec, exec, s[8:9]
.LBB888_543:
	s_or_b64 exec, exec, s[2:3]
	s_mov_b32 s2, 0x5040100
	v_perm_b32 v11, v21, v23, s2
	v_perm_b32 v10, v19, v20, s2
	ds_read_b128 v[30:33], v22 offset:2048
	v_perm_b32 v21, v25, v26, s2
	v_perm_b32 v20, v18, v24, s2
	s_waitcnt lgkmcnt(0)
	v_mfma_f32_16x16x16bf16_1k v[14:17], v[10:11], v[30:31], v[14:17]
	v_mov_b32_e32 v11, 0
	v_cmp_ne_u16_sdwa s[8:9], v12, v11 src0_sel:BYTE_0 src1_sel:DWORD
	v_mov_b32_e32 v18, 0
	v_mfma_f32_16x16x16bf16_1k v[14:17], v[20:21], v[32:33], v[14:17]
	s_and_saveexec_b64 s[2:3], s[8:9]
	s_cbranch_execz .LBB888_549
; %bb.544:
	s_movk_i32 s7, 0x80
	v_cmp_ne_u16_sdwa s[10:11], v12, s7 src0_sel:BYTE_0 src1_sel:DWORD
	v_mov_b32_e32 v18, 0xffff8000
	s_and_saveexec_b64 s[8:9], s[10:11]
	s_cbranch_execz .LBB888_548
; %bb.545:
	s_movk_i32 s7, 0x7f
	v_and_b32_e32 v10, 0x7f, v12
	v_cmp_ne_u32_e32 vcc, s7, v10
	v_mov_b32_e32 v18, 0x7f80
	s_and_saveexec_b64 s[10:11], vcc
	s_cbranch_execz .LBB888_547
; %bb.546:
	v_and_b32_e32 v20, 7, v12
	v_ffbh_u32_e32 v18, v20
	v_min_u32_e32 v23, 32, v18
	v_subrev_u32_e32 v18, 28, v23
	v_lshlrev_b64 v[18:19], v18, v[12:13]
	v_lshrrev_b32_e32 v21, 3, v10
	v_sub_u32_e32 v19, 29, v23
	v_and_b32_e32 v18, 7, v18
	v_cmp_gt_u32_e32 vcc, 8, v10
	v_cndmask_b32_e32 v10, v21, v19, vcc
	v_cndmask_b32_e32 v18, v20, v18, vcc
	v_lshlrev_b32_e32 v19, 24, v12
	v_bfrev_b32_e32 v20, 60
	v_lshlrev_b32_e32 v18, 20, v18
	v_and_b32_e32 v19, 0x80000000, v19
	v_lshl_add_u32 v10, v10, 23, v20
	v_or3_b32 v10, v19, v10, v18
	v_lshrrev_b32_e32 v18, 16, v10
.LBB888_547:
	s_or_b64 exec, exec, s[10:11]
.LBB888_548:
	s_or_b64 exec, exec, s[8:9]
.LBB888_549:
	s_or_b64 exec, exec, s[2:3]
	v_lshrrev_b16_e32 v10, 8, v12
	v_cmp_ne_u16_e32 vcc, 0, v10
	s_and_saveexec_b64 s[2:3], vcc
	s_cbranch_execz .LBB888_555
; %bb.550:
	s_movk_i32 s7, 0x80
	v_cmp_ne_u16_e32 vcc, s7, v10
	v_mov_b32_e32 v11, 0xffff8000
	s_and_saveexec_b64 s[8:9], vcc
	s_cbranch_execz .LBB888_554
; %bb.551:
	s_movk_i32 s7, 0x7f
	v_and_b32_e32 v19, 0x7f, v10
	v_cmp_ne_u32_e32 vcc, s7, v19
	v_mov_b32_e32 v11, 0x7f80
	s_and_saveexec_b64 s[10:11], vcc
	s_cbranch_execz .LBB888_553
; %bb.552:
	v_and_b32_e32 v20, 7, v10
	v_ffbh_u32_e32 v11, v20
	v_min_u32_e32 v23, 32, v11
	v_subrev_u32_e32 v11, 28, v23
	v_lshlrev_b64 v[10:11], v11, v[10:11]
	v_lshrrev_b32_e32 v21, 3, v19
	v_sub_u32_e32 v11, 29, v23
	v_and_b32_e32 v10, 7, v10
	v_cmp_gt_u32_e32 vcc, 8, v19
	v_cndmask_b32_e32 v11, v21, v11, vcc
	v_cndmask_b32_e32 v10, v20, v10, vcc
	v_lshlrev_b32_e32 v19, 16, v12
	v_bfrev_b32_e32 v20, 60
	v_lshlrev_b32_e32 v10, 20, v10
	v_and_b32_e32 v19, 0x80000000, v19
	v_lshl_add_u32 v11, v11, 23, v20
	v_or3_b32 v10, v19, v11, v10
	v_lshrrev_b32_e32 v11, 16, v10
.LBB888_553:
	s_or_b64 exec, exec, s[10:11]
.LBB888_554:
	s_or_b64 exec, exec, s[8:9]
.LBB888_555:
	s_or_b64 exec, exec, s[2:3]
	s_movk_i32 s2, 0xff
	v_and_b32_sdwa v21, v12, s2 dst_sel:DWORD dst_unused:UNUSED_PAD src0_sel:WORD_1 src1_sel:DWORD
	v_lshrrev_b32_e32 v10, 16, v12
	v_cmp_ne_u16_e32 vcc, 0, v21
	v_mov_b32_e32 v19, 0
	v_mov_b32_e32 v20, 0
	s_and_saveexec_b64 s[2:3], vcc
	s_cbranch_execz .LBB888_561
; %bb.556:
	s_movk_i32 s7, 0x80
	v_cmp_ne_u16_e32 vcc, s7, v21
	v_mov_b32_e32 v20, 0xffff8000
	s_and_saveexec_b64 s[8:9], vcc
	s_cbranch_execz .LBB888_560
; %bb.557:
	v_bfe_u32 v21, v12, 16, 7
	s_movk_i32 s7, 0x7f
	v_cmp_ne_u32_e32 vcc, s7, v21
	v_mov_b32_e32 v20, 0x7f80
	s_and_saveexec_b64 s[10:11], vcc
	s_cbranch_execz .LBB888_559
; %bb.558:
	v_and_b32_e32 v20, 7, v10
	v_ffbh_u32_e32 v24, v20
	v_min_u32_e32 v26, 32, v24
	v_subrev_u32_e32 v24, 28, v26
	v_lshlrev_b64 v[24:25], v24, v[10:11]
	v_lshrrev_b32_e32 v23, 3, v21
	v_sub_u32_e32 v10, 29, v26
	v_and_b32_e32 v24, 7, v24
	v_cmp_gt_u32_e32 vcc, 8, v21
	v_mov_b32_e32 v21, 24
	v_cndmask_b32_e32 v10, v23, v10, vcc
	v_cndmask_b32_e32 v20, v20, v24, vcc
	v_lshlrev_b32_sdwa v21, v21, v12 dst_sel:DWORD dst_unused:UNUSED_PAD src0_sel:DWORD src1_sel:WORD_1
	v_bfrev_b32_e32 v23, 60
	v_lshlrev_b32_e32 v20, 20, v20
	v_and_b32_e32 v21, 0x80000000, v21
	v_lshl_add_u32 v10, v10, 23, v23
	v_or3_b32 v10, v21, v10, v20
	v_lshrrev_b32_e32 v20, 16, v10
.LBB888_559:
	s_or_b64 exec, exec, s[10:11]
.LBB888_560:
	s_or_b64 exec, exec, s[8:9]
.LBB888_561:
	s_or_b64 exec, exec, s[2:3]
	s_mov_b32 s2, 0xffffff
	v_cmp_lt_u32_e32 vcc, s2, v12
	s_and_saveexec_b64 s[2:3], vcc
	s_cbranch_execz .LBB888_567
; %bb.562:
	v_lshrrev_b32_e32 v10, 24, v12
	s_movk_i32 s7, 0x80
	v_cmp_ne_u32_e32 vcc, s7, v10
	v_mov_b32_e32 v19, 0xffff8000
	s_and_saveexec_b64 s[8:9], vcc
	s_cbranch_execz .LBB888_566
; %bb.563:
	v_bfe_u32 v12, v12, 24, 7
	s_movk_i32 s7, 0x7f
	v_cmp_ne_u32_e32 vcc, s7, v12
	v_mov_b32_e32 v19, 0x7f80
	s_and_saveexec_b64 s[10:11], vcc
	s_cbranch_execz .LBB888_565
; %bb.564:
	v_and_b32_e32 v19, 7, v10
	v_ffbh_u32_e32 v23, v19
	v_min_u32_e32 v23, 32, v23
	v_subrev_u32_e32 v24, 28, v23
	v_lshlrev_b64 v[24:25], v24, v[10:11]
	v_lshrrev_b32_e32 v21, 3, v12
	v_sub_u32_e32 v23, 29, v23
	v_and_b32_e32 v24, 7, v24
	v_cmp_gt_u32_e32 vcc, 8, v12
	v_cndmask_b32_e32 v12, v21, v23, vcc
	v_cndmask_b32_e32 v19, v19, v24, vcc
	v_lshlrev_b32_e32 v10, 24, v10
	v_bfrev_b32_e32 v21, 60
	v_lshlrev_b32_e32 v19, 20, v19
	v_and_b32_e32 v10, 0x80000000, v10
	v_lshl_add_u32 v12, v12, 23, v21
	v_or3_b32 v10, v10, v12, v19
	v_lshrrev_b32_e32 v19, 16, v10
.LBB888_565:
	s_or_b64 exec, exec, s[10:11]
.LBB888_566:
	s_or_b64 exec, exec, s[8:9]
.LBB888_567:
	s_or_b64 exec, exec, s[2:3]
	v_mov_b32_e32 v12, 0
	v_cmp_ne_u16_sdwa s[8:9], v13, v12 src0_sel:BYTE_0 src1_sel:DWORD
	v_mov_b32_e32 v21, 0
	s_and_saveexec_b64 s[2:3], s[8:9]
	s_cbranch_execz .LBB888_573
; %bb.568:
	s_movk_i32 s7, 0x80
	v_cmp_ne_u16_sdwa s[10:11], v13, s7 src0_sel:BYTE_0 src1_sel:DWORD
	v_mov_b32_e32 v21, 0xffff8000
	s_and_saveexec_b64 s[8:9], s[10:11]
	s_cbranch_execz .LBB888_572
; %bb.569:
	s_movk_i32 s7, 0x7f
	v_and_b32_e32 v10, 0x7f, v13
	v_cmp_ne_u32_e32 vcc, s7, v10
	v_mov_b32_e32 v21, 0x7f80
	s_and_saveexec_b64 s[10:11], vcc
	s_cbranch_execz .LBB888_571
; %bb.570:
	v_and_b32_e32 v21, 7, v13
	v_ffbh_u32_e32 v25, v21
	v_min_u32_e32 v26, 32, v25
	v_mov_b32_e32 v24, v13
	v_subrev_u32_e32 v25, 28, v26
	v_lshlrev_b64 v[24:25], v25, v[24:25]
	v_lshrrev_b32_e32 v23, 3, v10
	v_sub_u32_e32 v25, 29, v26
	v_and_b32_e32 v24, 7, v24
	v_cmp_gt_u32_e32 vcc, 8, v10
	v_cndmask_b32_e32 v10, v23, v25, vcc
	v_cndmask_b32_e32 v21, v21, v24, vcc
	v_lshlrev_b32_e32 v23, 24, v13
	v_bfrev_b32_e32 v24, 60
	v_lshlrev_b32_e32 v21, 20, v21
	v_and_b32_e32 v23, 0x80000000, v23
	v_lshl_add_u32 v10, v10, 23, v24
	v_or3_b32 v10, v23, v10, v21
	v_lshrrev_b32_e32 v21, 16, v10
.LBB888_571:
	s_or_b64 exec, exec, s[10:11]
.LBB888_572:
	s_or_b64 exec, exec, s[8:9]
.LBB888_573:
	s_or_b64 exec, exec, s[2:3]
	v_lshrrev_b16_e32 v10, 8, v13
	v_cmp_ne_u16_e32 vcc, 0, v10
	s_and_saveexec_b64 s[2:3], vcc
	s_cbranch_execz .LBB888_579
; %bb.574:
	s_movk_i32 s7, 0x80
	v_cmp_ne_u16_e32 vcc, s7, v10
	v_mov_b32_e32 v12, 0xffff8000
	s_and_saveexec_b64 s[8:9], vcc
	s_cbranch_execz .LBB888_578
; %bb.575:
	s_movk_i32 s7, 0x7f
	v_and_b32_e32 v23, 0x7f, v10
	v_cmp_ne_u32_e32 vcc, s7, v23
	v_mov_b32_e32 v12, 0x7f80
	s_and_saveexec_b64 s[10:11], vcc
	s_cbranch_execz .LBB888_577
; %bb.576:
	v_and_b32_e32 v12, 7, v10
	v_ffbh_u32_e32 v24, v12
	v_min_u32_e32 v27, 32, v24
	v_subrev_u32_e32 v24, 28, v27
	v_lshlrev_b64 v[24:25], v24, v[10:11]
	v_lshrrev_b32_e32 v26, 3, v23
	v_sub_u32_e32 v10, 29, v27
	v_and_b32_e32 v24, 7, v24
	v_cmp_gt_u32_e32 vcc, 8, v23
	v_cndmask_b32_e32 v10, v26, v10, vcc
	v_cndmask_b32_e32 v12, v12, v24, vcc
	v_lshlrev_b32_e32 v23, 16, v13
	v_bfrev_b32_e32 v24, 60
	v_lshlrev_b32_e32 v12, 20, v12
	v_and_b32_e32 v23, 0x80000000, v23
	v_lshl_add_u32 v10, v10, 23, v24
	v_or3_b32 v10, v23, v10, v12
	v_lshrrev_b32_e32 v12, 16, v10
.LBB888_577:
	s_or_b64 exec, exec, s[10:11]
.LBB888_578:
	s_or_b64 exec, exec, s[8:9]
.LBB888_579:
	s_or_b64 exec, exec, s[2:3]
	s_movk_i32 s2, 0xff
	v_and_b32_sdwa v25, v13, s2 dst_sel:DWORD dst_unused:UNUSED_PAD src0_sel:WORD_1 src1_sel:DWORD
	v_lshrrev_b32_e32 v10, 16, v13
	v_cmp_ne_u16_e32 vcc, 0, v25
	v_mov_b32_e32 v23, 0
	v_mov_b32_e32 v24, 0
	s_and_saveexec_b64 s[2:3], vcc
	s_cbranch_execz .LBB888_585
; %bb.580:
	s_movk_i32 s7, 0x80
	v_cmp_ne_u16_e32 vcc, s7, v25
	v_mov_b32_e32 v24, 0xffff8000
	s_and_saveexec_b64 s[8:9], vcc
	s_cbranch_execz .LBB888_584
; %bb.581:
	v_bfe_u32 v25, v13, 16, 7
	s_movk_i32 s7, 0x7f
	v_cmp_ne_u32_e32 vcc, s7, v25
	v_mov_b32_e32 v24, 0x7f80
	s_and_saveexec_b64 s[10:11], vcc
	s_cbranch_execz .LBB888_583
; %bb.582:
	v_and_b32_e32 v24, 7, v10
	v_ffbh_u32_e32 v26, v24
	v_min_u32_e32 v30, 32, v26
	v_subrev_u32_e32 v26, 28, v30
	v_lshlrev_b64 v[26:27], v26, v[10:11]
	v_lshrrev_b32_e32 v29, 3, v25
	v_sub_u32_e32 v10, 29, v30
	v_and_b32_e32 v26, 7, v26
	v_cmp_gt_u32_e32 vcc, 8, v25
	v_mov_b32_e32 v25, 24
	v_cndmask_b32_e32 v10, v29, v10, vcc
	v_cndmask_b32_e32 v24, v24, v26, vcc
	v_lshlrev_b32_sdwa v25, v25, v13 dst_sel:DWORD dst_unused:UNUSED_PAD src0_sel:DWORD src1_sel:WORD_1
	v_bfrev_b32_e32 v26, 60
	v_lshlrev_b32_e32 v24, 20, v24
	v_and_b32_e32 v25, 0x80000000, v25
	v_lshl_add_u32 v10, v10, 23, v26
	v_or3_b32 v10, v25, v10, v24
	v_lshrrev_b32_e32 v24, 16, v10
.LBB888_583:
	s_or_b64 exec, exec, s[10:11]
.LBB888_584:
	s_or_b64 exec, exec, s[8:9]
.LBB888_585:
	s_or_b64 exec, exec, s[2:3]
	s_mov_b32 s2, 0xffffff
	v_cmp_lt_u32_e32 vcc, s2, v13
	s_and_saveexec_b64 s[2:3], vcc
	s_cbranch_execz .LBB888_591
; %bb.586:
	v_lshrrev_b32_e32 v10, 24, v13
	s_movk_i32 s7, 0x80
	v_cmp_ne_u32_e32 vcc, s7, v10
	v_mov_b32_e32 v23, 0xffff8000
	s_and_saveexec_b64 s[8:9], vcc
	s_cbranch_execz .LBB888_590
; %bb.587:
	v_bfe_u32 v13, v13, 24, 7
	s_movk_i32 s7, 0x7f
	v_cmp_ne_u32_e32 vcc, s7, v13
	v_mov_b32_e32 v23, 0x7f80
	s_and_saveexec_b64 s[10:11], vcc
	s_cbranch_execz .LBB888_589
; %bb.588:
	v_and_b32_e32 v23, 7, v10
	v_ffbh_u32_e32 v26, v23
	v_min_u32_e32 v29, 32, v26
	v_subrev_u32_e32 v26, 28, v29
	v_lshlrev_b64 v[26:27], v26, v[10:11]
	v_lshrrev_b32_e32 v25, 3, v13
	v_sub_u32_e32 v27, 29, v29
	v_and_b32_e32 v26, 7, v26
	v_cmp_gt_u32_e32 vcc, 8, v13
	v_cndmask_b32_e32 v13, v25, v27, vcc
	v_cndmask_b32_e32 v23, v23, v26, vcc
	v_lshlrev_b32_e32 v10, 24, v10
	v_bfrev_b32_e32 v25, 60
	v_lshlrev_b32_e32 v23, 20, v23
	v_and_b32_e32 v10, 0x80000000, v10
	v_lshl_add_u32 v13, v13, 23, v25
	v_or3_b32 v10, v10, v13, v23
	v_lshrrev_b32_e32 v23, 16, v10
.LBB888_589:
	s_or_b64 exec, exec, s[10:11]
.LBB888_590:
	s_or_b64 exec, exec, s[8:9]
.LBB888_591:
	s_or_b64 exec, exec, s[2:3]
	s_mov_b32 s2, 0x5040100
	v_perm_b32 v19, v19, v20, s2
	v_perm_b32 v18, v11, v18, s2
	ds_read_b128 v[30:33], v22 offset:2064
	v_perm_b32 v11, v23, v24, s2
	v_perm_b32 v10, v12, v21, s2
	s_waitcnt lgkmcnt(0)
	v_mfma_f32_16x16x16bf16_1k v[34:37], v[18:19], v[30:31], v[14:17]
	s_nop 6
	v_mov_b32_e32 v15, 0
	s_waitcnt vmcnt(1)
	v_cmp_ne_u16_sdwa s[8:9], v6, v15 src0_sel:BYTE_0 src1_sel:DWORD
	v_mfma_f32_16x16x16bf16_1k v[10:13], v[10:11], v[32:33], v[34:37]
	v_mov_b32_e32 v16, 0
	s_and_saveexec_b64 s[2:3], s[8:9]
	s_cbranch_execz .LBB888_597
; %bb.592:
	s_movk_i32 s7, 0x80
	v_cmp_ne_u16_sdwa s[10:11], v6, s7 src0_sel:BYTE_0 src1_sel:DWORD
	v_mov_b32_e32 v16, 0xffff8000
	s_and_saveexec_b64 s[8:9], s[10:11]
	s_cbranch_execz .LBB888_596
; %bb.593:
	s_movk_i32 s7, 0x7f
	v_and_b32_e32 v14, 0x7f, v6
	v_cmp_ne_u32_e32 vcc, s7, v14
	v_mov_b32_e32 v16, 0x7f80
	s_and_saveexec_b64 s[10:11], vcc
	s_cbranch_execz .LBB888_595
; %bb.594:
	v_and_b32_e32 v18, 7, v6
	v_ffbh_u32_e32 v16, v18
	v_min_u32_e32 v20, 32, v16
	v_subrev_u32_e32 v16, 28, v20
	v_lshlrev_b64 v[16:17], v16, v[6:7]
	v_lshrrev_b32_e32 v19, 3, v14
	v_sub_u32_e32 v17, 29, v20
	v_and_b32_e32 v16, 7, v16
	v_cmp_gt_u32_e32 vcc, 8, v14
	v_cndmask_b32_e32 v14, v19, v17, vcc
	v_cndmask_b32_e32 v16, v18, v16, vcc
	v_lshlrev_b32_e32 v17, 24, v6
	v_bfrev_b32_e32 v18, 60
	v_lshlrev_b32_e32 v16, 20, v16
	v_and_b32_e32 v17, 0x80000000, v17
	v_lshl_add_u32 v14, v14, 23, v18
	v_or3_b32 v14, v17, v14, v16
	v_lshrrev_b32_e32 v16, 16, v14
.LBB888_595:
	s_or_b64 exec, exec, s[10:11]
.LBB888_596:
	s_or_b64 exec, exec, s[8:9]
.LBB888_597:
	s_or_b64 exec, exec, s[2:3]
	v_lshrrev_b16_e32 v14, 8, v6
	v_cmp_ne_u16_e32 vcc, 0, v14
	s_and_saveexec_b64 s[2:3], vcc
	s_cbranch_execz .LBB888_603
; %bb.598:
	s_movk_i32 s7, 0x80
	v_cmp_ne_u16_e32 vcc, s7, v14
	v_mov_b32_e32 v15, 0xffff8000
	s_and_saveexec_b64 s[8:9], vcc
	s_cbranch_execz .LBB888_602
; %bb.599:
	s_movk_i32 s7, 0x7f
	v_and_b32_e32 v17, 0x7f, v14
	v_cmp_ne_u32_e32 vcc, s7, v17
	v_mov_b32_e32 v15, 0x7f80
	s_and_saveexec_b64 s[10:11], vcc
	s_cbranch_execz .LBB888_601
; %bb.600:
	v_and_b32_e32 v18, 7, v14
	v_ffbh_u32_e32 v15, v18
	v_min_u32_e32 v20, 32, v15
	v_subrev_u32_e32 v15, 28, v20
	v_lshlrev_b64 v[14:15], v15, v[14:15]
	v_lshrrev_b32_e32 v19, 3, v17
	v_sub_u32_e32 v15, 29, v20
	v_and_b32_e32 v14, 7, v14
	v_cmp_gt_u32_e32 vcc, 8, v17
	v_cndmask_b32_e32 v15, v19, v15, vcc
	v_cndmask_b32_e32 v14, v18, v14, vcc
	v_lshlrev_b32_e32 v17, 16, v6
	v_bfrev_b32_e32 v18, 60
	v_lshlrev_b32_e32 v14, 20, v14
	v_and_b32_e32 v17, 0x80000000, v17
	v_lshl_add_u32 v15, v15, 23, v18
	v_or3_b32 v14, v17, v15, v14
	v_lshrrev_b32_e32 v15, 16, v14
.LBB888_601:
	s_or_b64 exec, exec, s[10:11]
.LBB888_602:
	s_or_b64 exec, exec, s[8:9]
.LBB888_603:
	s_or_b64 exec, exec, s[2:3]
	s_movk_i32 s2, 0xff
	v_and_b32_sdwa v19, v6, s2 dst_sel:DWORD dst_unused:UNUSED_PAD src0_sel:WORD_1 src1_sel:DWORD
	v_lshrrev_b32_e32 v14, 16, v6
	v_cmp_ne_u16_e32 vcc, 0, v19
	v_mov_b32_e32 v17, 0
	v_mov_b32_e32 v18, 0
	s_and_saveexec_b64 s[2:3], vcc
	s_cbranch_execz .LBB888_609
; %bb.604:
	s_movk_i32 s7, 0x80
	v_cmp_ne_u16_e32 vcc, s7, v19
	v_mov_b32_e32 v18, 0xffff8000
	s_and_saveexec_b64 s[8:9], vcc
	s_cbranch_execz .LBB888_608
; %bb.605:
	v_bfe_u32 v19, v6, 16, 7
	s_movk_i32 s7, 0x7f
	v_cmp_ne_u32_e32 vcc, s7, v19
	v_mov_b32_e32 v18, 0x7f80
	s_and_saveexec_b64 s[10:11], vcc
	s_cbranch_execz .LBB888_607
; %bb.606:
	v_and_b32_e32 v18, 7, v14
	v_ffbh_u32_e32 v20, v18
	v_min_u32_e32 v24, 32, v20
	v_subrev_u32_e32 v20, 28, v24
	v_lshlrev_b64 v[20:21], v20, v[14:15]
	v_lshrrev_b32_e32 v23, 3, v19
	v_sub_u32_e32 v14, 29, v24
	v_and_b32_e32 v20, 7, v20
	v_cmp_gt_u32_e32 vcc, 8, v19
	v_mov_b32_e32 v19, 24
	v_cndmask_b32_e32 v14, v23, v14, vcc
	v_cndmask_b32_e32 v18, v18, v20, vcc
	v_lshlrev_b32_sdwa v19, v19, v6 dst_sel:DWORD dst_unused:UNUSED_PAD src0_sel:DWORD src1_sel:WORD_1
	v_bfrev_b32_e32 v20, 60
	v_lshlrev_b32_e32 v18, 20, v18
	v_and_b32_e32 v19, 0x80000000, v19
	v_lshl_add_u32 v14, v14, 23, v20
	v_or3_b32 v14, v19, v14, v18
	v_lshrrev_b32_e32 v18, 16, v14
.LBB888_607:
	s_or_b64 exec, exec, s[10:11]
.LBB888_608:
	s_or_b64 exec, exec, s[8:9]
.LBB888_609:
	s_or_b64 exec, exec, s[2:3]
	s_mov_b32 s2, 0xffffff
	v_cmp_lt_u32_e32 vcc, s2, v6
	s_and_saveexec_b64 s[2:3], vcc
	s_cbranch_execz .LBB888_615
; %bb.610:
	v_lshrrev_b32_e32 v14, 24, v6
	s_movk_i32 s7, 0x80
	v_cmp_ne_u32_e32 vcc, s7, v14
	v_mov_b32_e32 v17, 0xffff8000
	s_and_saveexec_b64 s[8:9], vcc
	s_cbranch_execz .LBB888_614
; %bb.611:
	v_bfe_u32 v6, v6, 24, 7
	s_movk_i32 s7, 0x7f
	v_cmp_ne_u32_e32 vcc, s7, v6
	v_mov_b32_e32 v17, 0x7f80
	s_and_saveexec_b64 s[10:11], vcc
	s_cbranch_execz .LBB888_613
; %bb.612:
	v_and_b32_e32 v17, 7, v14
	v_ffbh_u32_e32 v20, v17
	v_min_u32_e32 v23, 32, v20
	v_subrev_u32_e32 v20, 28, v23
	v_lshlrev_b64 v[20:21], v20, v[14:15]
	v_lshrrev_b32_e32 v19, 3, v6
	v_sub_u32_e32 v21, 29, v23
	v_and_b32_e32 v20, 7, v20
	v_cmp_gt_u32_e32 vcc, 8, v6
	v_cndmask_b32_e32 v6, v19, v21, vcc
	v_cndmask_b32_e32 v17, v17, v20, vcc
	v_lshlrev_b32_e32 v14, 24, v14
	v_bfrev_b32_e32 v19, 60
	v_lshlrev_b32_e32 v17, 20, v17
	v_and_b32_e32 v14, 0x80000000, v14
	v_lshl_add_u32 v6, v6, 23, v19
	v_or3_b32 v6, v14, v6, v17
	v_lshrrev_b32_e32 v17, 16, v6
.LBB888_613:
	s_or_b64 exec, exec, s[10:11]
.LBB888_614:
	s_or_b64 exec, exec, s[8:9]
.LBB888_615:
	s_or_b64 exec, exec, s[2:3]
	v_mov_b32_e32 v14, 0
	v_cmp_ne_u16_sdwa s[8:9], v7, v14 src0_sel:BYTE_0 src1_sel:DWORD
	v_mov_b32_e32 v19, 0
	s_and_saveexec_b64 s[2:3], s[8:9]
	s_cbranch_execz .LBB888_621
; %bb.616:
	s_movk_i32 s7, 0x80
	v_cmp_ne_u16_sdwa s[10:11], v7, s7 src0_sel:BYTE_0 src1_sel:DWORD
	v_mov_b32_e32 v19, 0xffff8000
	s_and_saveexec_b64 s[8:9], s[10:11]
	s_cbranch_execz .LBB888_620
; %bb.617:
	s_movk_i32 s7, 0x7f
	v_and_b32_e32 v6, 0x7f, v7
	v_cmp_ne_u32_e32 vcc, s7, v6
	v_mov_b32_e32 v19, 0x7f80
	s_and_saveexec_b64 s[10:11], vcc
	s_cbranch_execz .LBB888_619
; %bb.618:
	v_and_b32_e32 v19, 7, v7
	v_ffbh_u32_e32 v21, v19
	v_min_u32_e32 v24, 32, v21
	v_mov_b32_e32 v20, v7
	v_subrev_u32_e32 v21, 28, v24
	v_lshlrev_b64 v[20:21], v21, v[20:21]
	v_lshrrev_b32_e32 v23, 3, v6
	v_sub_u32_e32 v21, 29, v24
	v_and_b32_e32 v20, 7, v20
	v_cmp_gt_u32_e32 vcc, 8, v6
	v_cndmask_b32_e32 v6, v23, v21, vcc
	v_cndmask_b32_e32 v19, v19, v20, vcc
	v_lshlrev_b32_e32 v20, 24, v7
	v_bfrev_b32_e32 v21, 60
	v_lshlrev_b32_e32 v19, 20, v19
	v_and_b32_e32 v20, 0x80000000, v20
	v_lshl_add_u32 v6, v6, 23, v21
	v_or3_b32 v6, v20, v6, v19
	v_lshrrev_b32_e32 v19, 16, v6
.LBB888_619:
	s_or_b64 exec, exec, s[10:11]
.LBB888_620:
	s_or_b64 exec, exec, s[8:9]
.LBB888_621:
	s_or_b64 exec, exec, s[2:3]
	v_lshrrev_b16_e32 v6, 8, v7
	v_cmp_ne_u16_e32 vcc, 0, v6
	s_and_saveexec_b64 s[2:3], vcc
	s_cbranch_execz .LBB888_627
; %bb.622:
	s_movk_i32 s7, 0x80
	v_cmp_ne_u16_e32 vcc, s7, v6
	v_mov_b32_e32 v14, 0xffff8000
	s_and_saveexec_b64 s[8:9], vcc
	s_cbranch_execz .LBB888_626
; %bb.623:
	s_movk_i32 s7, 0x7f
	v_and_b32_e32 v20, 0x7f, v6
	v_cmp_ne_u32_e32 vcc, s7, v20
	v_mov_b32_e32 v14, 0x7f80
	s_and_saveexec_b64 s[10:11], vcc
	s_cbranch_execz .LBB888_625
; %bb.624:
	v_and_b32_e32 v14, 7, v6
	v_ffbh_u32_e32 v23, v14
	v_min_u32_e32 v23, 32, v23
	v_subrev_u32_e32 v24, 28, v23
	v_lshlrev_b64 v[24:25], v24, v[6:7]
	v_lshrrev_b32_e32 v21, 3, v20
	v_sub_u32_e32 v6, 29, v23
	v_and_b32_e32 v23, 7, v24
	v_cmp_gt_u32_e32 vcc, 8, v20
	v_cndmask_b32_e32 v6, v21, v6, vcc
	v_cndmask_b32_e32 v14, v14, v23, vcc
	v_lshlrev_b32_e32 v20, 16, v7
	v_bfrev_b32_e32 v21, 60
	v_lshlrev_b32_e32 v14, 20, v14
	v_and_b32_e32 v20, 0x80000000, v20
	v_lshl_add_u32 v6, v6, 23, v21
	v_or3_b32 v6, v20, v6, v14
	v_lshrrev_b32_e32 v14, 16, v6
.LBB888_625:
	s_or_b64 exec, exec, s[10:11]
.LBB888_626:
	s_or_b64 exec, exec, s[8:9]
.LBB888_627:
	s_or_b64 exec, exec, s[2:3]
	s_movk_i32 s2, 0xff
	v_and_b32_sdwa v23, v7, s2 dst_sel:DWORD dst_unused:UNUSED_PAD src0_sel:WORD_1 src1_sel:DWORD
	v_lshrrev_b32_e32 v6, 16, v7
	v_cmp_ne_u16_e32 vcc, 0, v23
	v_mov_b32_e32 v20, 0
	v_mov_b32_e32 v21, 0
	s_and_saveexec_b64 s[2:3], vcc
	s_cbranch_execz .LBB888_633
; %bb.628:
	s_movk_i32 s7, 0x80
	v_cmp_ne_u16_e32 vcc, s7, v23
	v_mov_b32_e32 v21, 0xffff8000
	s_and_saveexec_b64 s[8:9], vcc
	s_cbranch_execz .LBB888_632
; %bb.629:
	v_bfe_u32 v23, v7, 16, 7
	s_movk_i32 s7, 0x7f
	v_cmp_ne_u32_e32 vcc, s7, v23
	v_mov_b32_e32 v21, 0x7f80
	s_and_saveexec_b64 s[10:11], vcc
	s_cbranch_execz .LBB888_631
; %bb.630:
	v_and_b32_e32 v21, 7, v6
	v_ffbh_u32_e32 v24, v21
	v_min_u32_e32 v27, 32, v24
	v_subrev_u32_e32 v24, 28, v27
	v_lshlrev_b64 v[24:25], v24, v[6:7]
	v_lshrrev_b32_e32 v26, 3, v23
	v_sub_u32_e32 v6, 29, v27
	v_and_b32_e32 v24, 7, v24
	v_cmp_gt_u32_e32 vcc, 8, v23
	v_mov_b32_e32 v23, 24
	v_cndmask_b32_e32 v6, v26, v6, vcc
	v_cndmask_b32_e32 v21, v21, v24, vcc
	v_lshlrev_b32_sdwa v23, v23, v7 dst_sel:DWORD dst_unused:UNUSED_PAD src0_sel:DWORD src1_sel:WORD_1
	v_bfrev_b32_e32 v24, 60
	v_lshlrev_b32_e32 v21, 20, v21
	v_and_b32_e32 v23, 0x80000000, v23
	v_lshl_add_u32 v6, v6, 23, v24
	v_or3_b32 v6, v23, v6, v21
	v_lshrrev_b32_e32 v21, 16, v6
.LBB888_631:
	s_or_b64 exec, exec, s[10:11]
.LBB888_632:
	s_or_b64 exec, exec, s[8:9]
.LBB888_633:
	s_or_b64 exec, exec, s[2:3]
	s_mov_b32 s2, 0xffffff
	v_cmp_lt_u32_e32 vcc, s2, v7
	s_and_saveexec_b64 s[2:3], vcc
	s_cbranch_execz .LBB888_639
; %bb.634:
	v_lshrrev_b32_e32 v6, 24, v7
	s_movk_i32 s7, 0x80
	v_cmp_ne_u32_e32 vcc, s7, v6
	v_mov_b32_e32 v20, 0xffff8000
	s_and_saveexec_b64 s[8:9], vcc
	s_cbranch_execz .LBB888_638
; %bb.635:
	v_bfe_u32 v7, v7, 24, 7
	s_movk_i32 s7, 0x7f
	v_cmp_ne_u32_e32 vcc, s7, v7
	v_mov_b32_e32 v20, 0x7f80
	s_and_saveexec_b64 s[10:11], vcc
	s_cbranch_execz .LBB888_637
; %bb.636:
	v_and_b32_e32 v20, 7, v6
	v_ffbh_u32_e32 v24, v20
	v_min_u32_e32 v26, 32, v24
	v_subrev_u32_e32 v24, 28, v26
	v_lshlrev_b64 v[24:25], v24, v[6:7]
	v_lshrrev_b32_e32 v23, 3, v7
	v_sub_u32_e32 v25, 29, v26
	v_and_b32_e32 v24, 7, v24
	v_cmp_gt_u32_e32 vcc, 8, v7
	v_cndmask_b32_e32 v7, v23, v25, vcc
	v_cndmask_b32_e32 v20, v20, v24, vcc
	v_lshlrev_b32_e32 v6, 24, v6
	v_bfrev_b32_e32 v23, 60
	v_lshlrev_b32_e32 v20, 20, v20
	v_and_b32_e32 v6, 0x80000000, v6
	v_lshl_add_u32 v7, v7, 23, v23
	v_or3_b32 v6, v6, v7, v20
	v_lshrrev_b32_e32 v20, 16, v6
.LBB888_637:
	s_or_b64 exec, exec, s[10:11]
.LBB888_638:
	s_or_b64 exec, exec, s[8:9]
.LBB888_639:
	s_or_b64 exec, exec, s[2:3]
	s_mov_b32 s2, 0x5040100
	v_perm_b32 v7, v17, v18, s2
	v_perm_b32 v6, v15, v16, s2
	ds_read_b128 v[24:27], v22 offset:4096
	v_perm_b32 v17, v20, v21, s2
	v_perm_b32 v16, v14, v19, s2
	s_waitcnt lgkmcnt(0)
	v_mfma_f32_16x16x16bf16_1k v[10:13], v[6:7], v[24:25], v[10:13]
	v_mov_b32_e32 v7, 0
	v_cmp_ne_u16_sdwa s[8:9], v8, v7 src0_sel:BYTE_0 src1_sel:DWORD
	v_mov_b32_e32 v14, 0
	v_mfma_f32_16x16x16bf16_1k v[10:13], v[16:17], v[26:27], v[10:13]
	s_and_saveexec_b64 s[2:3], s[8:9]
	s_cbranch_execz .LBB888_645
; %bb.640:
	s_movk_i32 s7, 0x80
	v_cmp_ne_u16_sdwa s[10:11], v8, s7 src0_sel:BYTE_0 src1_sel:DWORD
	v_mov_b32_e32 v14, 0xffff8000
	s_and_saveexec_b64 s[8:9], s[10:11]
	s_cbranch_execz .LBB888_644
; %bb.641:
	s_movk_i32 s7, 0x7f
	v_and_b32_e32 v6, 0x7f, v8
	v_cmp_ne_u32_e32 vcc, s7, v6
	v_mov_b32_e32 v14, 0x7f80
	s_and_saveexec_b64 s[10:11], vcc
	s_cbranch_execz .LBB888_643
; %bb.642:
	v_and_b32_e32 v16, 7, v8
	v_ffbh_u32_e32 v14, v16
	v_min_u32_e32 v18, 32, v14
	v_subrev_u32_e32 v14, 28, v18
	v_lshlrev_b64 v[14:15], v14, v[8:9]
	v_lshrrev_b32_e32 v17, 3, v6
	v_sub_u32_e32 v15, 29, v18
	v_and_b32_e32 v14, 7, v14
	v_cmp_gt_u32_e32 vcc, 8, v6
	v_cndmask_b32_e32 v6, v17, v15, vcc
	v_cndmask_b32_e32 v14, v16, v14, vcc
	v_lshlrev_b32_e32 v15, 24, v8
	v_bfrev_b32_e32 v16, 60
	v_lshlrev_b32_e32 v14, 20, v14
	v_and_b32_e32 v15, 0x80000000, v15
	v_lshl_add_u32 v6, v6, 23, v16
	v_or3_b32 v6, v15, v6, v14
	v_lshrrev_b32_e32 v14, 16, v6
.LBB888_643:
	s_or_b64 exec, exec, s[10:11]
.LBB888_644:
	s_or_b64 exec, exec, s[8:9]
.LBB888_645:
	s_or_b64 exec, exec, s[2:3]
	v_lshrrev_b16_e32 v6, 8, v8
	v_cmp_ne_u16_e32 vcc, 0, v6
	s_and_saveexec_b64 s[2:3], vcc
	s_cbranch_execz .LBB888_651
; %bb.646:
	s_movk_i32 s7, 0x80
	v_cmp_ne_u16_e32 vcc, s7, v6
	v_mov_b32_e32 v7, 0xffff8000
	s_and_saveexec_b64 s[8:9], vcc
	s_cbranch_execz .LBB888_650
; %bb.647:
	s_movk_i32 s7, 0x7f
	v_and_b32_e32 v15, 0x7f, v6
	v_cmp_ne_u32_e32 vcc, s7, v15
	v_mov_b32_e32 v7, 0x7f80
	s_and_saveexec_b64 s[10:11], vcc
	s_cbranch_execz .LBB888_649
; %bb.648:
	v_and_b32_e32 v16, 7, v6
	v_ffbh_u32_e32 v7, v16
	v_min_u32_e32 v18, 32, v7
	v_subrev_u32_e32 v7, 28, v18
	v_lshlrev_b64 v[6:7], v7, v[6:7]
	v_lshrrev_b32_e32 v17, 3, v15
	v_sub_u32_e32 v7, 29, v18
	v_and_b32_e32 v6, 7, v6
	v_cmp_gt_u32_e32 vcc, 8, v15
	v_cndmask_b32_e32 v7, v17, v7, vcc
	v_cndmask_b32_e32 v6, v16, v6, vcc
	v_lshlrev_b32_e32 v15, 16, v8
	v_bfrev_b32_e32 v16, 60
	v_lshlrev_b32_e32 v6, 20, v6
	v_and_b32_e32 v15, 0x80000000, v15
	v_lshl_add_u32 v7, v7, 23, v16
	v_or3_b32 v6, v15, v7, v6
	v_lshrrev_b32_e32 v7, 16, v6
.LBB888_649:
	s_or_b64 exec, exec, s[10:11]
.LBB888_650:
	s_or_b64 exec, exec, s[8:9]
.LBB888_651:
	s_or_b64 exec, exec, s[2:3]
	s_movk_i32 s2, 0xff
	v_and_b32_sdwa v17, v8, s2 dst_sel:DWORD dst_unused:UNUSED_PAD src0_sel:WORD_1 src1_sel:DWORD
	v_lshrrev_b32_e32 v6, 16, v8
	v_cmp_ne_u16_e32 vcc, 0, v17
	v_mov_b32_e32 v15, 0
	v_mov_b32_e32 v16, 0
	s_and_saveexec_b64 s[2:3], vcc
	s_cbranch_execz .LBB888_657
; %bb.652:
	s_movk_i32 s7, 0x80
	v_cmp_ne_u16_e32 vcc, s7, v17
	v_mov_b32_e32 v16, 0xffff8000
	s_and_saveexec_b64 s[8:9], vcc
	s_cbranch_execz .LBB888_656
; %bb.653:
	v_bfe_u32 v17, v8, 16, 7
	s_movk_i32 s7, 0x7f
	v_cmp_ne_u32_e32 vcc, s7, v17
	v_mov_b32_e32 v16, 0x7f80
	s_and_saveexec_b64 s[10:11], vcc
	s_cbranch_execz .LBB888_655
; %bb.654:
	v_and_b32_e32 v16, 7, v6
	v_ffbh_u32_e32 v18, v16
	v_min_u32_e32 v21, 32, v18
	v_subrev_u32_e32 v18, 28, v21
	v_lshlrev_b64 v[18:19], v18, v[6:7]
	v_lshrrev_b32_e32 v20, 3, v17
	v_sub_u32_e32 v6, 29, v21
	v_and_b32_e32 v18, 7, v18
	v_cmp_gt_u32_e32 vcc, 8, v17
	v_mov_b32_e32 v17, 24
	v_cndmask_b32_e32 v6, v20, v6, vcc
	v_cndmask_b32_e32 v16, v16, v18, vcc
	v_lshlrev_b32_sdwa v17, v17, v8 dst_sel:DWORD dst_unused:UNUSED_PAD src0_sel:DWORD src1_sel:WORD_1
	v_bfrev_b32_e32 v18, 60
	v_lshlrev_b32_e32 v16, 20, v16
	v_and_b32_e32 v17, 0x80000000, v17
	v_lshl_add_u32 v6, v6, 23, v18
	v_or3_b32 v6, v17, v6, v16
	v_lshrrev_b32_e32 v16, 16, v6
.LBB888_655:
	s_or_b64 exec, exec, s[10:11]
.LBB888_656:
	s_or_b64 exec, exec, s[8:9]
.LBB888_657:
	s_or_b64 exec, exec, s[2:3]
	s_mov_b32 s2, 0xffffff
	v_cmp_lt_u32_e32 vcc, s2, v8
	s_and_saveexec_b64 s[2:3], vcc
	s_cbranch_execz .LBB888_663
; %bb.658:
	v_lshrrev_b32_e32 v6, 24, v8
	s_movk_i32 s7, 0x80
	v_cmp_ne_u32_e32 vcc, s7, v6
	v_mov_b32_e32 v15, 0xffff8000
	s_and_saveexec_b64 s[8:9], vcc
	s_cbranch_execz .LBB888_662
; %bb.659:
	v_bfe_u32 v8, v8, 24, 7
	s_movk_i32 s7, 0x7f
	v_cmp_ne_u32_e32 vcc, s7, v8
	v_mov_b32_e32 v15, 0x7f80
	s_and_saveexec_b64 s[10:11], vcc
	s_cbranch_execz .LBB888_661
; %bb.660:
	v_and_b32_e32 v15, 7, v6
	v_ffbh_u32_e32 v18, v15
	v_min_u32_e32 v20, 32, v18
	v_subrev_u32_e32 v18, 28, v20
	v_lshlrev_b64 v[18:19], v18, v[6:7]
	v_lshrrev_b32_e32 v17, 3, v8
	v_sub_u32_e32 v19, 29, v20
	v_and_b32_e32 v18, 7, v18
	v_cmp_gt_u32_e32 vcc, 8, v8
	v_cndmask_b32_e32 v8, v17, v19, vcc
	v_cndmask_b32_e32 v15, v15, v18, vcc
	v_lshlrev_b32_e32 v6, 24, v6
	v_bfrev_b32_e32 v17, 60
	v_lshlrev_b32_e32 v15, 20, v15
	v_and_b32_e32 v6, 0x80000000, v6
	v_lshl_add_u32 v8, v8, 23, v17
	v_or3_b32 v6, v6, v8, v15
	v_lshrrev_b32_e32 v15, 16, v6
.LBB888_661:
	s_or_b64 exec, exec, s[10:11]
.LBB888_662:
	s_or_b64 exec, exec, s[8:9]
.LBB888_663:
	s_or_b64 exec, exec, s[2:3]
	v_mov_b32_e32 v8, 0
	v_cmp_ne_u16_sdwa s[8:9], v9, v8 src0_sel:BYTE_0 src1_sel:DWORD
	v_mov_b32_e32 v17, 0
	s_and_saveexec_b64 s[2:3], s[8:9]
	s_cbranch_execz .LBB888_669
; %bb.664:
	s_movk_i32 s7, 0x80
	v_cmp_ne_u16_sdwa s[10:11], v9, s7 src0_sel:BYTE_0 src1_sel:DWORD
	v_mov_b32_e32 v17, 0xffff8000
	s_and_saveexec_b64 s[8:9], s[10:11]
	s_cbranch_execz .LBB888_668
; %bb.665:
	s_movk_i32 s7, 0x7f
	v_and_b32_e32 v6, 0x7f, v9
	v_cmp_ne_u32_e32 vcc, s7, v6
	v_mov_b32_e32 v17, 0x7f80
	s_and_saveexec_b64 s[10:11], vcc
	s_cbranch_execz .LBB888_667
; %bb.666:
	v_and_b32_e32 v17, 7, v9
	v_ffbh_u32_e32 v19, v17
	v_min_u32_e32 v21, 32, v19
	v_mov_b32_e32 v18, v9
	v_subrev_u32_e32 v19, 28, v21
	v_lshlrev_b64 v[18:19], v19, v[18:19]
	v_lshrrev_b32_e32 v20, 3, v6
	v_sub_u32_e32 v19, 29, v21
	v_and_b32_e32 v18, 7, v18
	v_cmp_gt_u32_e32 vcc, 8, v6
	v_cndmask_b32_e32 v6, v20, v19, vcc
	v_cndmask_b32_e32 v17, v17, v18, vcc
	v_lshlrev_b32_e32 v18, 24, v9
	v_bfrev_b32_e32 v19, 60
	v_lshlrev_b32_e32 v17, 20, v17
	v_and_b32_e32 v18, 0x80000000, v18
	v_lshl_add_u32 v6, v6, 23, v19
	v_or3_b32 v6, v18, v6, v17
	v_lshrrev_b32_e32 v17, 16, v6
.LBB888_667:
	s_or_b64 exec, exec, s[10:11]
.LBB888_668:
	s_or_b64 exec, exec, s[8:9]
.LBB888_669:
	s_or_b64 exec, exec, s[2:3]
	v_lshrrev_b16_e32 v6, 8, v9
	v_cmp_ne_u16_e32 vcc, 0, v6
	s_and_saveexec_b64 s[2:3], vcc
	s_cbranch_execz .LBB888_675
; %bb.670:
	s_movk_i32 s7, 0x80
	v_cmp_ne_u16_e32 vcc, s7, v6
	v_mov_b32_e32 v8, 0xffff8000
	s_and_saveexec_b64 s[8:9], vcc
	s_cbranch_execz .LBB888_674
; %bb.671:
	s_movk_i32 s7, 0x7f
	v_and_b32_e32 v18, 0x7f, v6
	v_cmp_ne_u32_e32 vcc, s7, v18
	v_mov_b32_e32 v8, 0x7f80
	s_and_saveexec_b64 s[10:11], vcc
	s_cbranch_execz .LBB888_673
; %bb.672:
	v_and_b32_e32 v8, 7, v6
	v_ffbh_u32_e32 v20, v8
	v_min_u32_e32 v23, 32, v20
	v_subrev_u32_e32 v20, 28, v23
	v_lshlrev_b64 v[20:21], v20, v[6:7]
	v_lshrrev_b32_e32 v19, 3, v18
	v_sub_u32_e32 v6, 29, v23
	v_and_b32_e32 v20, 7, v20
	v_cmp_gt_u32_e32 vcc, 8, v18
	v_cndmask_b32_e32 v6, v19, v6, vcc
	v_cndmask_b32_e32 v8, v8, v20, vcc
	v_lshlrev_b32_e32 v18, 16, v9
	v_bfrev_b32_e32 v19, 60
	v_lshlrev_b32_e32 v8, 20, v8
	v_and_b32_e32 v18, 0x80000000, v18
	v_lshl_add_u32 v6, v6, 23, v19
	v_or3_b32 v6, v18, v6, v8
	v_lshrrev_b32_e32 v8, 16, v6
.LBB888_673:
	s_or_b64 exec, exec, s[10:11]
.LBB888_674:
	s_or_b64 exec, exec, s[8:9]
.LBB888_675:
	s_or_b64 exec, exec, s[2:3]
	s_movk_i32 s2, 0xff
	v_and_b32_sdwa v20, v9, s2 dst_sel:DWORD dst_unused:UNUSED_PAD src0_sel:WORD_1 src1_sel:DWORD
	v_lshrrev_b32_e32 v6, 16, v9
	v_cmp_ne_u16_e32 vcc, 0, v20
	v_mov_b32_e32 v18, 0
	v_mov_b32_e32 v19, 0
	s_and_saveexec_b64 s[2:3], vcc
	s_cbranch_execz .LBB888_681
; %bb.676:
	s_movk_i32 s7, 0x80
	v_cmp_ne_u16_e32 vcc, s7, v20
	v_mov_b32_e32 v19, 0xffff8000
	s_and_saveexec_b64 s[8:9], vcc
	s_cbranch_execz .LBB888_680
; %bb.677:
	v_bfe_u32 v20, v9, 16, 7
	s_movk_i32 s7, 0x7f
	v_cmp_ne_u32_e32 vcc, s7, v20
	v_mov_b32_e32 v19, 0x7f80
	s_and_saveexec_b64 s[10:11], vcc
	s_cbranch_execz .LBB888_679
; %bb.678:
	v_and_b32_e32 v19, 7, v6
	v_ffbh_u32_e32 v23, v19
	v_min_u32_e32 v23, 32, v23
	v_subrev_u32_e32 v24, 28, v23
	v_lshlrev_b64 v[24:25], v24, v[6:7]
	v_lshrrev_b32_e32 v21, 3, v20
	v_sub_u32_e32 v6, 29, v23
	v_and_b32_e32 v23, 7, v24
	v_cmp_gt_u32_e32 vcc, 8, v20
	v_mov_b32_e32 v20, 24
	v_cndmask_b32_e32 v6, v21, v6, vcc
	v_cndmask_b32_e32 v19, v19, v23, vcc
	v_lshlrev_b32_sdwa v20, v20, v9 dst_sel:DWORD dst_unused:UNUSED_PAD src0_sel:DWORD src1_sel:WORD_1
	v_bfrev_b32_e32 v21, 60
	v_lshlrev_b32_e32 v19, 20, v19
	v_and_b32_e32 v20, 0x80000000, v20
	v_lshl_add_u32 v6, v6, 23, v21
	v_or3_b32 v6, v20, v6, v19
	v_lshrrev_b32_e32 v19, 16, v6
.LBB888_679:
	s_or_b64 exec, exec, s[10:11]
.LBB888_680:
	s_or_b64 exec, exec, s[8:9]
.LBB888_681:
	s_or_b64 exec, exec, s[2:3]
	s_mov_b32 s2, 0xffffff
	v_cmp_lt_u32_e32 vcc, s2, v9
	s_and_saveexec_b64 s[2:3], vcc
	s_cbranch_execz .LBB888_687
; %bb.682:
	v_lshrrev_b32_e32 v6, 24, v9
	s_movk_i32 s7, 0x80
	v_cmp_ne_u32_e32 vcc, s7, v6
	v_mov_b32_e32 v18, 0xffff8000
	s_and_saveexec_b64 s[8:9], vcc
	s_cbranch_execz .LBB888_686
; %bb.683:
	v_bfe_u32 v9, v9, 24, 7
	s_movk_i32 s7, 0x7f
	v_cmp_ne_u32_e32 vcc, s7, v9
	v_mov_b32_e32 v18, 0x7f80
	s_and_saveexec_b64 s[10:11], vcc
	s_cbranch_execz .LBB888_685
; %bb.684:
	v_and_b32_e32 v18, 7, v6
	v_ffbh_u32_e32 v20, v18
	v_min_u32_e32 v24, 32, v20
	v_subrev_u32_e32 v20, 28, v24
	v_lshlrev_b64 v[20:21], v20, v[6:7]
	v_lshrrev_b32_e32 v23, 3, v9
	v_sub_u32_e32 v21, 29, v24
	v_and_b32_e32 v20, 7, v20
	v_cmp_gt_u32_e32 vcc, 8, v9
	v_cndmask_b32_e32 v9, v23, v21, vcc
	v_cndmask_b32_e32 v18, v18, v20, vcc
	v_lshlrev_b32_e32 v6, 24, v6
	v_bfrev_b32_e32 v20, 60
	v_lshlrev_b32_e32 v18, 20, v18
	v_and_b32_e32 v6, 0x80000000, v6
	v_lshl_add_u32 v9, v9, 23, v20
	v_or3_b32 v6, v6, v9, v18
	v_lshrrev_b32_e32 v18, 16, v6
.LBB888_685:
	s_or_b64 exec, exec, s[10:11]
.LBB888_686:
	s_or_b64 exec, exec, s[8:9]
.LBB888_687:
	s_or_b64 exec, exec, s[2:3]
	s_mov_b32 s2, 0x5040100
	v_perm_b32 v15, v15, v16, s2
	v_perm_b32 v14, v7, v14, s2
	ds_read_b128 v[24:27], v22 offset:4112
	v_perm_b32 v7, v18, v19, s2
	v_perm_b32 v6, v8, v17, s2
	s_waitcnt lgkmcnt(0)
	v_mfma_f32_16x16x16bf16_1k v[30:33], v[14:15], v[24:25], v[10:13]
	s_nop 6
	v_mov_b32_e32 v11, 0
	s_waitcnt vmcnt(0)
	v_cmp_ne_u16_sdwa s[8:9], v2, v11 src0_sel:BYTE_0 src1_sel:DWORD
	v_mfma_f32_16x16x16bf16_1k v[6:9], v[6:7], v[26:27], v[30:33]
	v_mov_b32_e32 v12, 0
	s_and_saveexec_b64 s[2:3], s[8:9]
	s_cbranch_execz .LBB888_693
; %bb.688:
	s_movk_i32 s7, 0x80
	v_cmp_ne_u16_sdwa s[10:11], v2, s7 src0_sel:BYTE_0 src1_sel:DWORD
	v_mov_b32_e32 v12, 0xffff8000
	s_and_saveexec_b64 s[8:9], s[10:11]
	s_cbranch_execz .LBB888_692
; %bb.689:
	s_movk_i32 s7, 0x7f
	v_and_b32_e32 v10, 0x7f, v2
	v_cmp_ne_u32_e32 vcc, s7, v10
	v_mov_b32_e32 v12, 0x7f80
	s_and_saveexec_b64 s[10:11], vcc
	s_cbranch_execz .LBB888_691
; %bb.690:
	v_and_b32_e32 v14, 7, v2
	v_ffbh_u32_e32 v12, v14
	v_min_u32_e32 v16, 32, v12
	v_subrev_u32_e32 v12, 28, v16
	v_lshlrev_b64 v[12:13], v12, v[2:3]
	v_lshrrev_b32_e32 v15, 3, v10
	v_sub_u32_e32 v13, 29, v16
	v_and_b32_e32 v12, 7, v12
	v_cmp_gt_u32_e32 vcc, 8, v10
	v_cndmask_b32_e32 v10, v15, v13, vcc
	v_cndmask_b32_e32 v12, v14, v12, vcc
	v_lshlrev_b32_e32 v13, 24, v2
	v_bfrev_b32_e32 v14, 60
	v_lshlrev_b32_e32 v12, 20, v12
	v_and_b32_e32 v13, 0x80000000, v13
	v_lshl_add_u32 v10, v10, 23, v14
	v_or3_b32 v10, v13, v10, v12
	v_lshrrev_b32_e32 v12, 16, v10
.LBB888_691:
	s_or_b64 exec, exec, s[10:11]
.LBB888_692:
	s_or_b64 exec, exec, s[8:9]
.LBB888_693:
	s_or_b64 exec, exec, s[2:3]
	v_lshrrev_b16_e32 v10, 8, v2
	v_cmp_ne_u16_e32 vcc, 0, v10
	s_and_saveexec_b64 s[2:3], vcc
	s_cbranch_execz .LBB888_699
; %bb.694:
	s_movk_i32 s7, 0x80
	v_cmp_ne_u16_e32 vcc, s7, v10
	v_mov_b32_e32 v11, 0xffff8000
	s_and_saveexec_b64 s[8:9], vcc
	s_cbranch_execz .LBB888_698
; %bb.695:
	s_movk_i32 s7, 0x7f
	v_and_b32_e32 v13, 0x7f, v10
	v_cmp_ne_u32_e32 vcc, s7, v13
	v_mov_b32_e32 v11, 0x7f80
	s_and_saveexec_b64 s[10:11], vcc
	s_cbranch_execz .LBB888_697
; %bb.696:
	v_and_b32_e32 v14, 7, v10
	v_ffbh_u32_e32 v11, v14
	v_min_u32_e32 v16, 32, v11
	v_subrev_u32_e32 v11, 28, v16
	v_lshlrev_b64 v[10:11], v11, v[10:11]
	v_lshrrev_b32_e32 v15, 3, v13
	v_sub_u32_e32 v11, 29, v16
	v_and_b32_e32 v10, 7, v10
	v_cmp_gt_u32_e32 vcc, 8, v13
	v_cndmask_b32_e32 v11, v15, v11, vcc
	v_cndmask_b32_e32 v10, v14, v10, vcc
	v_lshlrev_b32_e32 v13, 16, v2
	v_bfrev_b32_e32 v14, 60
	v_lshlrev_b32_e32 v10, 20, v10
	v_and_b32_e32 v13, 0x80000000, v13
	v_lshl_add_u32 v11, v11, 23, v14
	v_or3_b32 v10, v13, v11, v10
	v_lshrrev_b32_e32 v11, 16, v10
.LBB888_697:
	s_or_b64 exec, exec, s[10:11]
.LBB888_698:
	s_or_b64 exec, exec, s[8:9]
.LBB888_699:
	s_or_b64 exec, exec, s[2:3]
	s_movk_i32 s2, 0xff
	v_and_b32_sdwa v15, v2, s2 dst_sel:DWORD dst_unused:UNUSED_PAD src0_sel:WORD_1 src1_sel:DWORD
	v_lshrrev_b32_e32 v10, 16, v2
	v_cmp_ne_u16_e32 vcc, 0, v15
	v_mov_b32_e32 v13, 0
	v_mov_b32_e32 v14, 0
	s_and_saveexec_b64 s[2:3], vcc
	s_cbranch_execz .LBB888_705
; %bb.700:
	s_movk_i32 s7, 0x80
	v_cmp_ne_u16_e32 vcc, s7, v15
	v_mov_b32_e32 v14, 0xffff8000
	s_and_saveexec_b64 s[8:9], vcc
	s_cbranch_execz .LBB888_704
; %bb.701:
	v_bfe_u32 v15, v2, 16, 7
	s_movk_i32 s7, 0x7f
	v_cmp_ne_u32_e32 vcc, s7, v15
	v_mov_b32_e32 v14, 0x7f80
	s_and_saveexec_b64 s[10:11], vcc
	s_cbranch_execz .LBB888_703
; %bb.702:
	v_and_b32_e32 v14, 7, v10
	v_ffbh_u32_e32 v16, v14
	v_min_u32_e32 v19, 32, v16
	v_subrev_u32_e32 v16, 28, v19
	v_lshlrev_b64 v[16:17], v16, v[10:11]
	v_lshrrev_b32_e32 v18, 3, v15
	v_sub_u32_e32 v10, 29, v19
	v_and_b32_e32 v16, 7, v16
	v_cmp_gt_u32_e32 vcc, 8, v15
	v_mov_b32_e32 v15, 24
	v_cndmask_b32_e32 v10, v18, v10, vcc
	v_cndmask_b32_e32 v14, v14, v16, vcc
	v_lshlrev_b32_sdwa v15, v15, v2 dst_sel:DWORD dst_unused:UNUSED_PAD src0_sel:DWORD src1_sel:WORD_1
	v_bfrev_b32_e32 v16, 60
	v_lshlrev_b32_e32 v14, 20, v14
	v_and_b32_e32 v15, 0x80000000, v15
	v_lshl_add_u32 v10, v10, 23, v16
	v_or3_b32 v10, v15, v10, v14
	v_lshrrev_b32_e32 v14, 16, v10
.LBB888_703:
	s_or_b64 exec, exec, s[10:11]
.LBB888_704:
	s_or_b64 exec, exec, s[8:9]
.LBB888_705:
	s_or_b64 exec, exec, s[2:3]
	s_mov_b32 s2, 0xffffff
	v_cmp_lt_u32_e32 vcc, s2, v2
	s_and_saveexec_b64 s[2:3], vcc
	s_cbranch_execz .LBB888_711
; %bb.706:
	v_lshrrev_b32_e32 v10, 24, v2
	s_movk_i32 s7, 0x80
	v_cmp_ne_u32_e32 vcc, s7, v10
	v_mov_b32_e32 v13, 0xffff8000
	s_and_saveexec_b64 s[8:9], vcc
	s_cbranch_execz .LBB888_710
; %bb.707:
	v_bfe_u32 v2, v2, 24, 7
	s_movk_i32 s7, 0x7f
	v_cmp_ne_u32_e32 vcc, s7, v2
	v_mov_b32_e32 v13, 0x7f80
	s_and_saveexec_b64 s[10:11], vcc
	s_cbranch_execz .LBB888_709
; %bb.708:
	v_and_b32_e32 v13, 7, v10
	v_ffbh_u32_e32 v16, v13
	v_min_u32_e32 v18, 32, v16
	v_subrev_u32_e32 v16, 28, v18
	v_lshlrev_b64 v[16:17], v16, v[10:11]
	v_lshrrev_b32_e32 v15, 3, v2
	v_sub_u32_e32 v17, 29, v18
	v_and_b32_e32 v16, 7, v16
	v_cmp_gt_u32_e32 vcc, 8, v2
	v_cndmask_b32_e32 v2, v15, v17, vcc
	v_cndmask_b32_e32 v13, v13, v16, vcc
	v_lshlrev_b32_e32 v10, 24, v10
	v_bfrev_b32_e32 v15, 60
	v_lshlrev_b32_e32 v13, 20, v13
	v_and_b32_e32 v10, 0x80000000, v10
	v_lshl_add_u32 v2, v2, 23, v15
	v_or3_b32 v2, v10, v2, v13
	v_lshrrev_b32_e32 v13, 16, v2
.LBB888_709:
	s_or_b64 exec, exec, s[10:11]
.LBB888_710:
	s_or_b64 exec, exec, s[8:9]
.LBB888_711:
	s_or_b64 exec, exec, s[2:3]
	v_mov_b32_e32 v10, 0
	v_cmp_ne_u16_sdwa s[8:9], v3, v10 src0_sel:BYTE_0 src1_sel:DWORD
	v_mov_b32_e32 v15, 0
	s_and_saveexec_b64 s[2:3], s[8:9]
	s_cbranch_execz .LBB888_717
; %bb.712:
	s_movk_i32 s7, 0x80
	v_cmp_ne_u16_sdwa s[10:11], v3, s7 src0_sel:BYTE_0 src1_sel:DWORD
	v_mov_b32_e32 v15, 0xffff8000
	s_and_saveexec_b64 s[8:9], s[10:11]
	s_cbranch_execz .LBB888_716
; %bb.713:
	s_movk_i32 s7, 0x7f
	v_and_b32_e32 v2, 0x7f, v3
	v_cmp_ne_u32_e32 vcc, s7, v2
	v_mov_b32_e32 v15, 0x7f80
	s_and_saveexec_b64 s[10:11], vcc
	s_cbranch_execz .LBB888_715
; %bb.714:
	v_and_b32_e32 v15, 7, v3
	v_ffbh_u32_e32 v17, v15
	v_min_u32_e32 v19, 32, v17
	v_mov_b32_e32 v16, v3
	v_subrev_u32_e32 v17, 28, v19
	v_lshlrev_b64 v[16:17], v17, v[16:17]
	v_lshrrev_b32_e32 v18, 3, v2
	v_sub_u32_e32 v17, 29, v19
	v_and_b32_e32 v16, 7, v16
	v_cmp_gt_u32_e32 vcc, 8, v2
	v_cndmask_b32_e32 v2, v18, v17, vcc
	v_cndmask_b32_e32 v15, v15, v16, vcc
	v_lshlrev_b32_e32 v16, 24, v3
	v_bfrev_b32_e32 v17, 60
	v_lshlrev_b32_e32 v15, 20, v15
	v_and_b32_e32 v16, 0x80000000, v16
	v_lshl_add_u32 v2, v2, 23, v17
	v_or3_b32 v2, v16, v2, v15
	v_lshrrev_b32_e32 v15, 16, v2
.LBB888_715:
	s_or_b64 exec, exec, s[10:11]
.LBB888_716:
	s_or_b64 exec, exec, s[8:9]
.LBB888_717:
	s_or_b64 exec, exec, s[2:3]
	v_lshrrev_b16_e32 v2, 8, v3
	v_cmp_ne_u16_e32 vcc, 0, v2
	s_and_saveexec_b64 s[2:3], vcc
	s_cbranch_execz .LBB888_723
; %bb.718:
	s_movk_i32 s7, 0x80
	v_cmp_ne_u16_e32 vcc, s7, v2
	v_mov_b32_e32 v10, 0xffff8000
	s_and_saveexec_b64 s[8:9], vcc
	s_cbranch_execz .LBB888_722
; %bb.719:
	s_movk_i32 s7, 0x7f
	v_and_b32_e32 v16, 0x7f, v2
	v_cmp_ne_u32_e32 vcc, s7, v16
	v_mov_b32_e32 v10, 0x7f80
	s_and_saveexec_b64 s[10:11], vcc
	s_cbranch_execz .LBB888_721
; %bb.720:
	v_and_b32_e32 v10, 7, v2
	v_ffbh_u32_e32 v18, v10
	v_min_u32_e32 v20, 32, v18
	v_subrev_u32_e32 v18, 28, v20
	v_lshlrev_b64 v[18:19], v18, v[2:3]
	v_lshrrev_b32_e32 v17, 3, v16
	v_sub_u32_e32 v2, 29, v20
	v_and_b32_e32 v18, 7, v18
	v_cmp_gt_u32_e32 vcc, 8, v16
	v_cndmask_b32_e32 v2, v17, v2, vcc
	v_cndmask_b32_e32 v10, v10, v18, vcc
	v_lshlrev_b32_e32 v16, 16, v3
	v_bfrev_b32_e32 v17, 60
	v_lshlrev_b32_e32 v10, 20, v10
	v_and_b32_e32 v16, 0x80000000, v16
	v_lshl_add_u32 v2, v2, 23, v17
	v_or3_b32 v2, v16, v2, v10
	v_lshrrev_b32_e32 v10, 16, v2
.LBB888_721:
	s_or_b64 exec, exec, s[10:11]
.LBB888_722:
	s_or_b64 exec, exec, s[8:9]
.LBB888_723:
	s_or_b64 exec, exec, s[2:3]
	s_movk_i32 s2, 0xff
	v_and_b32_sdwa v18, v3, s2 dst_sel:DWORD dst_unused:UNUSED_PAD src0_sel:WORD_1 src1_sel:DWORD
	v_lshrrev_b32_e32 v2, 16, v3
	v_cmp_ne_u16_e32 vcc, 0, v18
	v_mov_b32_e32 v16, 0
	v_mov_b32_e32 v17, 0
	s_and_saveexec_b64 s[2:3], vcc
	s_cbranch_execz .LBB888_729
; %bb.724:
	s_movk_i32 s7, 0x80
	v_cmp_ne_u16_e32 vcc, s7, v18
	v_mov_b32_e32 v17, 0xffff8000
	s_and_saveexec_b64 s[8:9], vcc
	s_cbranch_execz .LBB888_728
; %bb.725:
	v_bfe_u32 v18, v3, 16, 7
	s_movk_i32 s7, 0x7f
	v_cmp_ne_u32_e32 vcc, s7, v18
	v_mov_b32_e32 v17, 0x7f80
	s_and_saveexec_b64 s[10:11], vcc
	s_cbranch_execz .LBB888_727
; %bb.726:
	v_and_b32_e32 v17, 7, v2
	v_ffbh_u32_e32 v20, v17
	v_min_u32_e32 v23, 32, v20
	v_subrev_u32_e32 v20, 28, v23
	v_lshlrev_b64 v[20:21], v20, v[2:3]
	v_lshrrev_b32_e32 v19, 3, v18
	v_sub_u32_e32 v2, 29, v23
	v_and_b32_e32 v20, 7, v20
	v_cmp_gt_u32_e32 vcc, 8, v18
	v_mov_b32_e32 v18, 24
	v_cndmask_b32_e32 v2, v19, v2, vcc
	v_cndmask_b32_e32 v17, v17, v20, vcc
	v_lshlrev_b32_sdwa v18, v18, v3 dst_sel:DWORD dst_unused:UNUSED_PAD src0_sel:DWORD src1_sel:WORD_1
	v_bfrev_b32_e32 v19, 60
	v_lshlrev_b32_e32 v17, 20, v17
	v_and_b32_e32 v18, 0x80000000, v18
	v_lshl_add_u32 v2, v2, 23, v19
	v_or3_b32 v2, v18, v2, v17
	v_lshrrev_b32_e32 v17, 16, v2
.LBB888_727:
	s_or_b64 exec, exec, s[10:11]
.LBB888_728:
	s_or_b64 exec, exec, s[8:9]
.LBB888_729:
	s_or_b64 exec, exec, s[2:3]
	s_mov_b32 s2, 0xffffff
	v_cmp_lt_u32_e32 vcc, s2, v3
	s_and_saveexec_b64 s[2:3], vcc
	s_cbranch_execz .LBB888_735
; %bb.730:
	v_lshrrev_b32_e32 v2, 24, v3
	s_movk_i32 s7, 0x80
	v_cmp_ne_u32_e32 vcc, s7, v2
	v_mov_b32_e32 v16, 0xffff8000
	s_and_saveexec_b64 s[8:9], vcc
	s_cbranch_execz .LBB888_734
; %bb.731:
	v_bfe_u32 v3, v3, 24, 7
	s_movk_i32 s7, 0x7f
	v_cmp_ne_u32_e32 vcc, s7, v3
	v_mov_b32_e32 v16, 0x7f80
	s_and_saveexec_b64 s[10:11], vcc
	s_cbranch_execz .LBB888_733
; %bb.732:
	v_and_b32_e32 v16, 7, v2
	v_ffbh_u32_e32 v18, v16
	v_min_u32_e32 v21, 32, v18
	v_subrev_u32_e32 v18, 28, v21
	v_lshlrev_b64 v[18:19], v18, v[2:3]
	v_lshrrev_b32_e32 v20, 3, v3
	v_sub_u32_e32 v19, 29, v21
	v_and_b32_e32 v18, 7, v18
	v_cmp_gt_u32_e32 vcc, 8, v3
	v_cndmask_b32_e32 v3, v20, v19, vcc
	v_cndmask_b32_e32 v16, v16, v18, vcc
	v_lshlrev_b32_e32 v2, 24, v2
	v_bfrev_b32_e32 v18, 60
	v_lshlrev_b32_e32 v16, 20, v16
	v_and_b32_e32 v2, 0x80000000, v2
	v_lshl_add_u32 v3, v3, 23, v18
	v_or3_b32 v2, v2, v3, v16
	v_lshrrev_b32_e32 v16, 16, v2
.LBB888_733:
	s_or_b64 exec, exec, s[10:11]
.LBB888_734:
	s_or_b64 exec, exec, s[8:9]
.LBB888_735:
	s_or_b64 exec, exec, s[2:3]
	s_mov_b32 s2, 0x5040100
	v_perm_b32 v3, v13, v14, s2
	v_perm_b32 v2, v11, v12, s2
	ds_read_b128 v[18:21], v22 offset:6144
	v_perm_b32 v13, v16, v17, s2
	v_perm_b32 v12, v10, v15, s2
	s_waitcnt lgkmcnt(0)
	v_mfma_f32_16x16x16bf16_1k v[6:9], v[2:3], v[18:19], v[6:9]
	v_mov_b32_e32 v3, 0
	v_cmp_ne_u16_sdwa s[8:9], v4, v3 src0_sel:BYTE_0 src1_sel:DWORD
	v_mov_b32_e32 v10, 0
	v_mfma_f32_16x16x16bf16_1k v[6:9], v[12:13], v[20:21], v[6:9]
	s_and_saveexec_b64 s[2:3], s[8:9]
	s_cbranch_execz .LBB888_741
; %bb.736:
	s_movk_i32 s7, 0x80
	v_cmp_ne_u16_sdwa s[10:11], v4, s7 src0_sel:BYTE_0 src1_sel:DWORD
	v_mov_b32_e32 v10, 0xffff8000
	s_and_saveexec_b64 s[8:9], s[10:11]
	s_cbranch_execz .LBB888_740
; %bb.737:
	s_movk_i32 s7, 0x7f
	v_and_b32_e32 v2, 0x7f, v4
	v_cmp_ne_u32_e32 vcc, s7, v2
	v_mov_b32_e32 v10, 0x7f80
	s_and_saveexec_b64 s[10:11], vcc
	s_cbranch_execz .LBB888_739
; %bb.738:
	v_and_b32_e32 v12, 7, v4
	v_ffbh_u32_e32 v10, v12
	v_min_u32_e32 v14, 32, v10
	v_subrev_u32_e32 v10, 28, v14
	v_lshlrev_b64 v[10:11], v10, v[4:5]
	v_lshrrev_b32_e32 v13, 3, v2
	v_sub_u32_e32 v11, 29, v14
	v_and_b32_e32 v10, 7, v10
	v_cmp_gt_u32_e32 vcc, 8, v2
	v_cndmask_b32_e32 v2, v13, v11, vcc
	v_cndmask_b32_e32 v10, v12, v10, vcc
	v_lshlrev_b32_e32 v11, 24, v4
	v_bfrev_b32_e32 v12, 60
	v_lshlrev_b32_e32 v10, 20, v10
	v_and_b32_e32 v11, 0x80000000, v11
	v_lshl_add_u32 v2, v2, 23, v12
	v_or3_b32 v2, v11, v2, v10
	v_lshrrev_b32_e32 v10, 16, v2
.LBB888_739:
	s_or_b64 exec, exec, s[10:11]
.LBB888_740:
	s_or_b64 exec, exec, s[8:9]
.LBB888_741:
	s_or_b64 exec, exec, s[2:3]
	v_lshrrev_b16_e32 v2, 8, v4
	v_cmp_ne_u16_e32 vcc, 0, v2
	s_and_saveexec_b64 s[2:3], vcc
	s_cbranch_execz .LBB888_747
; %bb.742:
	s_movk_i32 s7, 0x80
	v_cmp_ne_u16_e32 vcc, s7, v2
	v_mov_b32_e32 v3, 0xffff8000
	s_and_saveexec_b64 s[8:9], vcc
	s_cbranch_execz .LBB888_746
; %bb.743:
	s_movk_i32 s7, 0x7f
	v_and_b32_e32 v11, 0x7f, v2
	v_cmp_ne_u32_e32 vcc, s7, v11
	v_mov_b32_e32 v3, 0x7f80
	s_and_saveexec_b64 s[10:11], vcc
	s_cbranch_execz .LBB888_745
; %bb.744:
	v_and_b32_e32 v12, 7, v2
	v_ffbh_u32_e32 v3, v12
	v_min_u32_e32 v14, 32, v3
	v_subrev_u32_e32 v3, 28, v14
	v_lshlrev_b64 v[2:3], v3, v[2:3]
	v_lshrrev_b32_e32 v13, 3, v11
	v_sub_u32_e32 v3, 29, v14
	v_and_b32_e32 v2, 7, v2
	v_cmp_gt_u32_e32 vcc, 8, v11
	v_cndmask_b32_e32 v3, v13, v3, vcc
	v_cndmask_b32_e32 v2, v12, v2, vcc
	v_lshlrev_b32_e32 v11, 16, v4
	v_bfrev_b32_e32 v12, 60
	v_lshlrev_b32_e32 v2, 20, v2
	v_and_b32_e32 v11, 0x80000000, v11
	v_lshl_add_u32 v3, v3, 23, v12
	v_or3_b32 v2, v11, v3, v2
	v_lshrrev_b32_e32 v3, 16, v2
.LBB888_745:
	s_or_b64 exec, exec, s[10:11]
.LBB888_746:
	s_or_b64 exec, exec, s[8:9]
.LBB888_747:
	s_or_b64 exec, exec, s[2:3]
	s_movk_i32 s2, 0xff
	v_and_b32_sdwa v13, v4, s2 dst_sel:DWORD dst_unused:UNUSED_PAD src0_sel:WORD_1 src1_sel:DWORD
	v_lshrrev_b32_e32 v2, 16, v4
	v_cmp_ne_u16_e32 vcc, 0, v13
	v_mov_b32_e32 v11, 0
	v_mov_b32_e32 v12, 0
	s_and_saveexec_b64 s[2:3], vcc
	s_cbranch_execz .LBB888_753
; %bb.748:
	s_movk_i32 s7, 0x80
	v_cmp_ne_u16_e32 vcc, s7, v13
	v_mov_b32_e32 v12, 0xffff8000
	s_and_saveexec_b64 s[8:9], vcc
	s_cbranch_execz .LBB888_752
; %bb.749:
	v_bfe_u32 v13, v4, 16, 7
	s_movk_i32 s7, 0x7f
	v_cmp_ne_u32_e32 vcc, s7, v13
	v_mov_b32_e32 v12, 0x7f80
	s_and_saveexec_b64 s[10:11], vcc
	s_cbranch_execz .LBB888_751
; %bb.750:
	v_and_b32_e32 v12, 7, v2
	v_ffbh_u32_e32 v14, v12
	v_min_u32_e32 v17, 32, v14
	v_subrev_u32_e32 v14, 28, v17
	v_lshlrev_b64 v[14:15], v14, v[2:3]
	v_lshrrev_b32_e32 v16, 3, v13
	v_sub_u32_e32 v2, 29, v17
	v_and_b32_e32 v14, 7, v14
	v_cmp_gt_u32_e32 vcc, 8, v13
	v_mov_b32_e32 v13, 24
	v_cndmask_b32_e32 v2, v16, v2, vcc
	v_cndmask_b32_e32 v12, v12, v14, vcc
	v_lshlrev_b32_sdwa v13, v13, v4 dst_sel:DWORD dst_unused:UNUSED_PAD src0_sel:DWORD src1_sel:WORD_1
	v_bfrev_b32_e32 v14, 60
	v_lshlrev_b32_e32 v12, 20, v12
	v_and_b32_e32 v13, 0x80000000, v13
	v_lshl_add_u32 v2, v2, 23, v14
	v_or3_b32 v2, v13, v2, v12
	v_lshrrev_b32_e32 v12, 16, v2
.LBB888_751:
	s_or_b64 exec, exec, s[10:11]
.LBB888_752:
	s_or_b64 exec, exec, s[8:9]
.LBB888_753:
	s_or_b64 exec, exec, s[2:3]
	s_mov_b32 s2, 0xffffff
	v_cmp_lt_u32_e32 vcc, s2, v4
	s_and_saveexec_b64 s[2:3], vcc
	s_cbranch_execz .LBB888_759
; %bb.754:
	v_lshrrev_b32_e32 v2, 24, v4
	s_movk_i32 s7, 0x80
	v_cmp_ne_u32_e32 vcc, s7, v2
	v_mov_b32_e32 v11, 0xffff8000
	s_and_saveexec_b64 s[8:9], vcc
	s_cbranch_execz .LBB888_758
; %bb.755:
	v_bfe_u32 v4, v4, 24, 7
	s_movk_i32 s7, 0x7f
	v_cmp_ne_u32_e32 vcc, s7, v4
	v_mov_b32_e32 v11, 0x7f80
	s_and_saveexec_b64 s[10:11], vcc
	s_cbranch_execz .LBB888_757
; %bb.756:
	v_and_b32_e32 v11, 7, v2
	v_ffbh_u32_e32 v14, v11
	v_min_u32_e32 v16, 32, v14
	v_subrev_u32_e32 v14, 28, v16
	v_lshlrev_b64 v[14:15], v14, v[2:3]
	v_lshrrev_b32_e32 v13, 3, v4
	v_sub_u32_e32 v15, 29, v16
	v_and_b32_e32 v14, 7, v14
	v_cmp_gt_u32_e32 vcc, 8, v4
	v_cndmask_b32_e32 v4, v13, v15, vcc
	v_cndmask_b32_e32 v11, v11, v14, vcc
	v_lshlrev_b32_e32 v2, 24, v2
	v_bfrev_b32_e32 v13, 60
	v_lshlrev_b32_e32 v11, 20, v11
	v_and_b32_e32 v2, 0x80000000, v2
	v_lshl_add_u32 v4, v4, 23, v13
	v_or3_b32 v2, v2, v4, v11
	v_lshrrev_b32_e32 v11, 16, v2
.LBB888_757:
	s_or_b64 exec, exec, s[10:11]
.LBB888_758:
	s_or_b64 exec, exec, s[8:9]
.LBB888_759:
	s_or_b64 exec, exec, s[2:3]
	v_mov_b32_e32 v4, 0
	v_cmp_ne_u16_sdwa s[8:9], v5, v4 src0_sel:BYTE_0 src1_sel:DWORD
	v_mov_b32_e32 v13, 0
	s_and_saveexec_b64 s[2:3], s[8:9]
	s_cbranch_execz .LBB888_765
; %bb.760:
	s_movk_i32 s7, 0x80
	v_cmp_ne_u16_sdwa s[10:11], v5, s7 src0_sel:BYTE_0 src1_sel:DWORD
	v_mov_b32_e32 v13, 0xffff8000
	s_and_saveexec_b64 s[8:9], s[10:11]
	s_cbranch_execz .LBB888_764
; %bb.761:
	s_movk_i32 s7, 0x7f
	v_and_b32_e32 v2, 0x7f, v5
	v_cmp_ne_u32_e32 vcc, s7, v2
	v_mov_b32_e32 v13, 0x7f80
	s_and_saveexec_b64 s[10:11], vcc
	s_cbranch_execz .LBB888_763
; %bb.762:
	v_and_b32_e32 v13, 7, v5
	v_ffbh_u32_e32 v15, v13
	v_min_u32_e32 v17, 32, v15
	v_mov_b32_e32 v14, v5
	v_subrev_u32_e32 v15, 28, v17
	v_lshlrev_b64 v[14:15], v15, v[14:15]
	v_lshrrev_b32_e32 v16, 3, v2
	v_sub_u32_e32 v15, 29, v17
	v_and_b32_e32 v14, 7, v14
	v_cmp_gt_u32_e32 vcc, 8, v2
	v_cndmask_b32_e32 v2, v16, v15, vcc
	v_cndmask_b32_e32 v13, v13, v14, vcc
	v_lshlrev_b32_e32 v14, 24, v5
	v_bfrev_b32_e32 v15, 60
	v_lshlrev_b32_e32 v13, 20, v13
	v_and_b32_e32 v14, 0x80000000, v14
	v_lshl_add_u32 v2, v2, 23, v15
	v_or3_b32 v2, v14, v2, v13
	v_lshrrev_b32_e32 v13, 16, v2
.LBB888_763:
	s_or_b64 exec, exec, s[10:11]
.LBB888_764:
	s_or_b64 exec, exec, s[8:9]
.LBB888_765:
	s_or_b64 exec, exec, s[2:3]
	v_lshrrev_b16_e32 v2, 8, v5
	v_cmp_ne_u16_e32 vcc, 0, v2
	s_and_saveexec_b64 s[2:3], vcc
	s_cbranch_execz .LBB888_771
; %bb.766:
	s_movk_i32 s7, 0x80
	v_cmp_ne_u16_e32 vcc, s7, v2
	v_mov_b32_e32 v4, 0xffff8000
	s_and_saveexec_b64 s[8:9], vcc
	s_cbranch_execz .LBB888_770
; %bb.767:
	s_movk_i32 s7, 0x7f
	v_and_b32_e32 v14, 0x7f, v2
	v_cmp_ne_u32_e32 vcc, s7, v14
	v_mov_b32_e32 v4, 0x7f80
	s_and_saveexec_b64 s[10:11], vcc
	s_cbranch_execz .LBB888_769
; %bb.768:
	v_and_b32_e32 v4, 7, v2
	v_ffbh_u32_e32 v16, v4
	v_min_u32_e32 v18, 32, v16
	v_subrev_u32_e32 v16, 28, v18
	v_lshlrev_b64 v[16:17], v16, v[2:3]
	v_lshrrev_b32_e32 v15, 3, v14
	v_sub_u32_e32 v2, 29, v18
	v_and_b32_e32 v16, 7, v16
	v_cmp_gt_u32_e32 vcc, 8, v14
	v_cndmask_b32_e32 v2, v15, v2, vcc
	v_cndmask_b32_e32 v4, v4, v16, vcc
	v_lshlrev_b32_e32 v14, 16, v5
	v_bfrev_b32_e32 v15, 60
	v_lshlrev_b32_e32 v4, 20, v4
	v_and_b32_e32 v14, 0x80000000, v14
	v_lshl_add_u32 v2, v2, 23, v15
	v_or3_b32 v2, v14, v2, v4
	v_lshrrev_b32_e32 v4, 16, v2
.LBB888_769:
	s_or_b64 exec, exec, s[10:11]
.LBB888_770:
	s_or_b64 exec, exec, s[8:9]
.LBB888_771:
	s_or_b64 exec, exec, s[2:3]
	s_movk_i32 s2, 0xff
	v_and_b32_sdwa v16, v5, s2 dst_sel:DWORD dst_unused:UNUSED_PAD src0_sel:WORD_1 src1_sel:DWORD
	v_lshrrev_b32_e32 v2, 16, v5
	v_cmp_ne_u16_e32 vcc, 0, v16
	v_mov_b32_e32 v14, 0
	v_mov_b32_e32 v15, 0
	s_and_saveexec_b64 s[2:3], vcc
	s_cbranch_execz .LBB888_777
; %bb.772:
	s_movk_i32 s7, 0x80
	v_cmp_ne_u16_e32 vcc, s7, v16
	v_mov_b32_e32 v15, 0xffff8000
	s_and_saveexec_b64 s[8:9], vcc
	s_cbranch_execz .LBB888_776
; %bb.773:
	v_bfe_u32 v16, v5, 16, 7
	s_movk_i32 s7, 0x7f
	v_cmp_ne_u32_e32 vcc, s7, v16
	v_mov_b32_e32 v15, 0x7f80
	s_and_saveexec_b64 s[10:11], vcc
	s_cbranch_execz .LBB888_775
; %bb.774:
	v_and_b32_e32 v15, 7, v2
	v_ffbh_u32_e32 v18, v15
	v_min_u32_e32 v20, 32, v18
	v_subrev_u32_e32 v18, 28, v20
	v_lshlrev_b64 v[18:19], v18, v[2:3]
	v_lshrrev_b32_e32 v17, 3, v16
	v_sub_u32_e32 v2, 29, v20
	v_and_b32_e32 v18, 7, v18
	v_cmp_gt_u32_e32 vcc, 8, v16
	v_mov_b32_e32 v16, 24
	v_cndmask_b32_e32 v2, v17, v2, vcc
	v_cndmask_b32_e32 v15, v15, v18, vcc
	v_lshlrev_b32_sdwa v16, v16, v5 dst_sel:DWORD dst_unused:UNUSED_PAD src0_sel:DWORD src1_sel:WORD_1
	v_bfrev_b32_e32 v17, 60
	v_lshlrev_b32_e32 v15, 20, v15
	v_and_b32_e32 v16, 0x80000000, v16
	v_lshl_add_u32 v2, v2, 23, v17
	v_or3_b32 v2, v16, v2, v15
	v_lshrrev_b32_e32 v15, 16, v2
.LBB888_775:
	s_or_b64 exec, exec, s[10:11]
.LBB888_776:
	s_or_b64 exec, exec, s[8:9]
.LBB888_777:
	s_or_b64 exec, exec, s[2:3]
	s_mov_b32 s2, 0xffffff
	v_cmp_lt_u32_e32 vcc, s2, v5
	s_and_saveexec_b64 s[2:3], vcc
	s_cbranch_execz .LBB888_783
; %bb.778:
	v_lshrrev_b32_e32 v2, 24, v5
	s_movk_i32 s7, 0x80
	v_cmp_ne_u32_e32 vcc, s7, v2
	v_mov_b32_e32 v14, 0xffff8000
	s_and_saveexec_b64 s[8:9], vcc
	s_cbranch_execz .LBB888_782
; %bb.779:
	v_bfe_u32 v5, v5, 24, 7
	s_movk_i32 s7, 0x7f
	v_cmp_ne_u32_e32 vcc, s7, v5
	v_mov_b32_e32 v14, 0x7f80
	s_and_saveexec_b64 s[10:11], vcc
	s_cbranch_execz .LBB888_781
; %bb.780:
	v_and_b32_e32 v14, 7, v2
	v_ffbh_u32_e32 v16, v14
	v_min_u32_e32 v19, 32, v16
	v_subrev_u32_e32 v16, 28, v19
	v_lshlrev_b64 v[16:17], v16, v[2:3]
	v_lshrrev_b32_e32 v18, 3, v5
	v_sub_u32_e32 v17, 29, v19
	v_and_b32_e32 v16, 7, v16
	v_cmp_gt_u32_e32 vcc, 8, v5
	v_cndmask_b32_e32 v5, v18, v17, vcc
	v_cndmask_b32_e32 v14, v14, v16, vcc
	v_lshlrev_b32_e32 v2, 24, v2
	v_bfrev_b32_e32 v16, 60
	v_lshlrev_b32_e32 v14, 20, v14
	v_and_b32_e32 v2, 0x80000000, v2
	v_lshl_add_u32 v5, v5, 23, v16
	v_or3_b32 v2, v2, v5, v14
	v_lshrrev_b32_e32 v14, 16, v2
.LBB888_781:
	s_or_b64 exec, exec, s[10:11]
.LBB888_782:
	s_or_b64 exec, exec, s[8:9]
.LBB888_783:
	s_or_b64 exec, exec, s[2:3]
	s_mov_b32 s3, 0x5040100
	v_perm_b32 v11, v11, v12, s3
	ds_read_b128 v[16:19], v22 offset:6160
	v_perm_b32 v10, v3, v10, s3
	v_perm_b32 v3, v14, v15, s3
	;; [unrolled: 1-line block ×3, first 2 shown]
	s_waitcnt lgkmcnt(0)
	v_mfma_f32_16x16x16bf16_1k v[6:9], v[10:11], v[16:17], v[6:9]
	s_load_dword s2, s[42:43], 0x0
	s_mov_b32 s3, 0x7060302
	s_movk_i32 s7, 0x7fff
	v_cmp_gt_u32_e32 vcc, 64, v0
	s_and_b64 s[0:1], vcc, s[0:1]
	s_waitcnt lgkmcnt(0)
	s_barrier
	v_mfma_f32_16x16x16bf16_1k v[2:5], v[2:3], v[18:19], v[6:9]
	s_nop 7
	s_nop 2
	v_pk_mul_f32 v[4:5], v[4:5], s[2:3] op_sel_hi:[1,0]
	v_pk_mul_f32 v[2:3], v[2:3], s[2:3] op_sel_hi:[1,0]
	v_bfe_u32 v6, v3, 16, 1
	v_bfe_u32 v7, v2, 16, 1
	;; [unrolled: 1-line block ×4, first 2 shown]
	v_add3_u32 v2, v2, v7, s7
	v_add3_u32 v3, v3, v6, s7
	;; [unrolled: 1-line block ×4, first 2 shown]
	v_perm_b32 v2, v3, v2, s3
	v_perm_b32 v3, v5, v4, s3
	ds_write_b64 v28, v[2:3]
	s_waitcnt lgkmcnt(0)
	s_barrier
	s_and_saveexec_b64 s[2:3], s[0:1]
	s_cbranch_execz .LBB888_786
; %bb.784:
	s_load_dwordx2 s[2:3], s[4:5], 0x68
	s_lshl_b32 s0, s44, 6
	s_mul_i32 s1, s12, s6
	s_mul_hi_u32 s7, s1, s0
	s_mul_i32 s6, s1, s0
	s_lshl_b64 s[6:7], s[6:7], 1
	s_waitcnt lgkmcnt(0)
	s_add_u32 s1, s2, s6
	v_lshlrev_b32_e32 v0, 10, v0
	s_mov_b32 s5, 0
	s_addc_u32 s6, s3, s7
	s_lshl_b32 s4, s24, 6
	v_and_b32_e32 v0, 0x1800, v0
	v_lshlrev_b32_e32 v2, 5, v1
	v_and_b32_e32 v3, 16, v47
	s_lshl_b64 s[2:3], s[4:5], 1
	v_or3_b32 v0, v0, v2, v3
	s_add_u32 s1, s1, s2
	s_addc_u32 s2, s6, s3
	ds_read_b128 v[4:7], v0 offset:128
	ds_read_b128 v[8:11], v0
	v_add_u32_e32 v14, s25, v1
	v_mov_b32_e32 v3, s2
	v_add_co_u32_e32 v2, vcc, s1, v46
	v_mad_u64_u32 v[12:13], s[2:3], v14, s0, 0
	v_addc_co_u32_e32 v3, vcc, 0, v3, vcc
	v_lshlrev_b64 v[12:13], 1, v[12:13]
	v_add_co_u32_e32 v12, vcc, v2, v12
	v_addc_co_u32_e32 v13, vcc, v3, v13, vcc
	s_waitcnt lgkmcnt(0)
	global_store_dwordx4 v[12:13], v[8:11], off
	s_nop 0
	v_add_u32_e32 v8, 4, v14
	v_mad_u64_u32 v[8:9], s[2:3], v8, s0, 0
	v_lshlrev_b64 v[8:9], 1, v[8:9]
	v_add_co_u32_e32 v8, vcc, v2, v8
	v_addc_co_u32_e32 v9, vcc, v3, v9, vcc
	v_cmp_ne_u32_e32 vcc, 3, v1
	global_store_dwordx4 v[8:9], v[4:7], off
	s_and_b64 exec, exec, vcc
	s_cbranch_execz .LBB888_786
; %bb.785:
	ds_read_b128 v[4:7], v0 offset:256
	v_add3_u32 v0, s25, v1, 8
	v_mad_u64_u32 v[0:1], s[0:1], v0, s0, 0
	v_lshlrev_b64 v[0:1], 1, v[0:1]
	v_add_co_u32_e32 v0, vcc, v2, v0
	v_addc_co_u32_e32 v1, vcc, v3, v1, vcc
	s_waitcnt lgkmcnt(0)
	global_store_dwordx4 v[0:1], v[4:7], off
.LBB888_786:
	s_endpgm
	.section	.rodata,"a",@progbits
	.p2align	6, 0x0
	.amdhsa_kernel _Z39paged_attention_ll4mi_QKV_mfma16_kernelI14__hip_bfloat16hLN4vllm18Fp8KVCacheDataTypeE1ES0_Li32ELi64ELi256ELb0ELi11EL8MFMAType0EEvPKT_PKT0_S9_ifPKiSB_SB_iPKfiiiPfSE_PS4_PT2_iSD_SD_
		.amdhsa_group_segment_fixed_size 8192
		.amdhsa_private_segment_fixed_size 0
		.amdhsa_kernarg_size 400
		.amdhsa_user_sgpr_count 6
		.amdhsa_user_sgpr_private_segment_buffer 1
		.amdhsa_user_sgpr_dispatch_ptr 0
		.amdhsa_user_sgpr_queue_ptr 0
		.amdhsa_user_sgpr_kernarg_segment_ptr 1
		.amdhsa_user_sgpr_dispatch_id 0
		.amdhsa_user_sgpr_flat_scratch_init 0
		.amdhsa_user_sgpr_kernarg_preload_length 0
		.amdhsa_user_sgpr_kernarg_preload_offset 0
		.amdhsa_user_sgpr_private_segment_size 0
		.amdhsa_uses_dynamic_stack 0
		.amdhsa_system_sgpr_private_segment_wavefront_offset 0
		.amdhsa_system_sgpr_workgroup_id_x 1
		.amdhsa_system_sgpr_workgroup_id_y 1
		.amdhsa_system_sgpr_workgroup_id_z 1
		.amdhsa_system_sgpr_workgroup_info 0
		.amdhsa_system_vgpr_workitem_id 0
		.amdhsa_next_free_vgpr 62
		.amdhsa_next_free_sgpr 47
		.amdhsa_accum_offset 64
		.amdhsa_reserve_vcc 1
		.amdhsa_reserve_flat_scratch 0
		.amdhsa_float_round_mode_32 0
		.amdhsa_float_round_mode_16_64 0
		.amdhsa_float_denorm_mode_32 3
		.amdhsa_float_denorm_mode_16_64 3
		.amdhsa_dx10_clamp 1
		.amdhsa_ieee_mode 1
		.amdhsa_fp16_overflow 0
		.amdhsa_tg_split 0
		.amdhsa_exception_fp_ieee_invalid_op 0
		.amdhsa_exception_fp_denorm_src 0
		.amdhsa_exception_fp_ieee_div_zero 0
		.amdhsa_exception_fp_ieee_overflow 0
		.amdhsa_exception_fp_ieee_underflow 0
		.amdhsa_exception_fp_ieee_inexact 0
		.amdhsa_exception_int_div_zero 0
	.end_amdhsa_kernel
	.section	.text._Z39paged_attention_ll4mi_QKV_mfma16_kernelI14__hip_bfloat16hLN4vllm18Fp8KVCacheDataTypeE1ES0_Li32ELi64ELi256ELb0ELi11EL8MFMAType0EEvPKT_PKT0_S9_ifPKiSB_SB_iPKfiiiPfSE_PS4_PT2_iSD_SD_,"axG",@progbits,_Z39paged_attention_ll4mi_QKV_mfma16_kernelI14__hip_bfloat16hLN4vllm18Fp8KVCacheDataTypeE1ES0_Li32ELi64ELi256ELb0ELi11EL8MFMAType0EEvPKT_PKT0_S9_ifPKiSB_SB_iPKfiiiPfSE_PS4_PT2_iSD_SD_,comdat
.Lfunc_end888:
	.size	_Z39paged_attention_ll4mi_QKV_mfma16_kernelI14__hip_bfloat16hLN4vllm18Fp8KVCacheDataTypeE1ES0_Li32ELi64ELi256ELb0ELi11EL8MFMAType0EEvPKT_PKT0_S9_ifPKiSB_SB_iPKfiiiPfSE_PS4_PT2_iSD_SD_, .Lfunc_end888-_Z39paged_attention_ll4mi_QKV_mfma16_kernelI14__hip_bfloat16hLN4vllm18Fp8KVCacheDataTypeE1ES0_Li32ELi64ELi256ELb0ELi11EL8MFMAType0EEvPKT_PKT0_S9_ifPKiSB_SB_iPKfiiiPfSE_PS4_PT2_iSD_SD_
                                        ; -- End function
	.section	.AMDGPU.csdata,"",@progbits
; Kernel info:
; codeLenInByte = 28420
; NumSgprs: 51
; NumVgprs: 62
; NumAgprs: 0
; TotalNumVgprs: 62
; ScratchSize: 0
; MemoryBound: 0
; FloatMode: 240
; IeeeMode: 1
; LDSByteSize: 8192 bytes/workgroup (compile time only)
; SGPRBlocks: 6
; VGPRBlocks: 7
; NumSGPRsForWavesPerEU: 51
; NumVGPRsForWavesPerEU: 62
; AccumOffset: 64
; Occupancy: 8
; WaveLimiterHint : 1
; COMPUTE_PGM_RSRC2:SCRATCH_EN: 0
; COMPUTE_PGM_RSRC2:USER_SGPR: 6
; COMPUTE_PGM_RSRC2:TRAP_HANDLER: 0
; COMPUTE_PGM_RSRC2:TGID_X_EN: 1
; COMPUTE_PGM_RSRC2:TGID_Y_EN: 1
; COMPUTE_PGM_RSRC2:TGID_Z_EN: 1
; COMPUTE_PGM_RSRC2:TIDIG_COMP_CNT: 0
; COMPUTE_PGM_RSRC3_GFX90A:ACCUM_OFFSET: 15
; COMPUTE_PGM_RSRC3_GFX90A:TG_SPLIT: 0
	.section	.text._Z39paged_attention_ll4mi_QKV_mfma16_kernelI14__hip_bfloat16hLN4vllm18Fp8KVCacheDataTypeE1ES0_Li32ELi64ELi256ELb0ELi12EL8MFMAType0EEvPKT_PKT0_S9_ifPKiSB_SB_iPKfiiiPfSE_PS4_PT2_iSD_SD_,"axG",@progbits,_Z39paged_attention_ll4mi_QKV_mfma16_kernelI14__hip_bfloat16hLN4vllm18Fp8KVCacheDataTypeE1ES0_Li32ELi64ELi256ELb0ELi12EL8MFMAType0EEvPKT_PKT0_S9_ifPKiSB_SB_iPKfiiiPfSE_PS4_PT2_iSD_SD_,comdat
	.protected	_Z39paged_attention_ll4mi_QKV_mfma16_kernelI14__hip_bfloat16hLN4vllm18Fp8KVCacheDataTypeE1ES0_Li32ELi64ELi256ELb0ELi12EL8MFMAType0EEvPKT_PKT0_S9_ifPKiSB_SB_iPKfiiiPfSE_PS4_PT2_iSD_SD_ ; -- Begin function _Z39paged_attention_ll4mi_QKV_mfma16_kernelI14__hip_bfloat16hLN4vllm18Fp8KVCacheDataTypeE1ES0_Li32ELi64ELi256ELb0ELi12EL8MFMAType0EEvPKT_PKT0_S9_ifPKiSB_SB_iPKfiiiPfSE_PS4_PT2_iSD_SD_
	.globl	_Z39paged_attention_ll4mi_QKV_mfma16_kernelI14__hip_bfloat16hLN4vllm18Fp8KVCacheDataTypeE1ES0_Li32ELi64ELi256ELb0ELi12EL8MFMAType0EEvPKT_PKT0_S9_ifPKiSB_SB_iPKfiiiPfSE_PS4_PT2_iSD_SD_
	.p2align	8
	.type	_Z39paged_attention_ll4mi_QKV_mfma16_kernelI14__hip_bfloat16hLN4vllm18Fp8KVCacheDataTypeE1ES0_Li32ELi64ELi256ELb0ELi12EL8MFMAType0EEvPKT_PKT0_S9_ifPKiSB_SB_iPKfiiiPfSE_PS4_PT2_iSD_SD_,@function
_Z39paged_attention_ll4mi_QKV_mfma16_kernelI14__hip_bfloat16hLN4vllm18Fp8KVCacheDataTypeE1ES0_Li32ELi64ELi256ELb0ELi12EL8MFMAType0EEvPKT_PKT0_S9_ifPKiSB_SB_iPKfiiiPfSE_PS4_PT2_iSD_SD_: ; @_Z39paged_attention_ll4mi_QKV_mfma16_kernelI14__hip_bfloat16hLN4vllm18Fp8KVCacheDataTypeE1ES0_Li32ELi64ELi256ELb0ELi12EL8MFMAType0EEvPKT_PKT0_S9_ifPKiSB_SB_iPKfiiiPfSE_PS4_PT2_iSD_SD_
; %bb.0:
	s_load_dwordx2 s[0:1], s[4:5], 0x30
	s_mov_b32 s24, s7
	s_mov_b64 s[10:11], 0
	s_waitcnt lgkmcnt(0)
	s_cmp_lg_u64 s[0:1], 0
	s_cselect_b64 s[2:3], -1, 0
	s_and_b64 vcc, exec, s[2:3]
	s_cbranch_vccz .LBB889_7
; %bb.1:
	s_add_i32 s12, s6, 1
	s_mov_b32 s13, 0
	s_lshl_b64 s[14:15], s[12:13], 2
	s_add_u32 s14, s0, s14
	s_mov_b32 s7, s13
	s_addc_u32 s15, s1, s15
	s_lshl_b64 s[12:13], s[6:7], 2
	s_add_u32 s12, s0, s12
	s_addc_u32 s13, s1, s13
	s_load_dword s9, s[14:15], 0x0
	s_load_dword s16, s[12:13], 0x0
	s_waitcnt lgkmcnt(0)
	s_sub_i32 s9, s9, s16
	s_cmp_eq_u32 s9, 1
	s_cselect_b64 s[12:13], -1, 0
	s_andn2_b64 vcc, exec, s[10:11]
	s_cbranch_vccnz .LBB889_3
.LBB889_2:
	s_mov_b32 s7, 0
	s_mov_b64 s[12:13], -1
.LBB889_3:
	s_andn2_b64 vcc, exec, s[12:13]
	s_cbranch_vccnz .LBB889_785
; %bb.4:
	s_load_dwordx2 s[12:13], s[4:5], 0x28
	s_lshl_b64 s[10:11], s[6:7], 2
	s_waitcnt lgkmcnt(0)
	s_add_u32 s12, s12, s10
	s_addc_u32 s13, s13, s11
	s_load_dword s33, s[12:13], 0x0
	s_lshl_b32 s20, s24, 8
	s_waitcnt lgkmcnt(0)
	s_cmp_ge_i32 s20, s33
	s_cbranch_scc1 .LBB889_785
; %bb.5:
	s_add_i32 s14, s33, 31
	s_load_dwordx2 s[12:13], s[4:5], 0x20
	s_load_dword s9, s[4:5], 0x38
	s_ashr_i32 s15, s14, 31
	v_and_b32_e32 v1, 0xcf, v0
	s_lshr_b32 s15, s15, 27
	v_add_u32_e32 v1, s20, v1
	s_add_i32 s14, s14, s15
	v_ashrrev_i32_e32 v2, 31, v1
	s_ashr_i32 s22, s14, 5
	v_lshrrev_b32_e32 v4, 27, v2
	s_add_i32 s22, s22, -1
	v_add_u32_e32 v2, v1, v4
	s_waitcnt lgkmcnt(0)
	s_mul_i32 s14, s6, s9
	s_mov_b32 s15, 0
	v_ashrrev_i32_e32 v2, 5, v2
	v_mov_b32_e32 v5, s22
	v_cmp_gt_i32_e32 vcc, s33, v1
	s_lshl_b64 s[14:15], s[14:15], 2
	v_cndmask_b32_e32 v2, v5, v2, vcc
	s_add_u32 s9, s12, s14
	v_ashrrev_i32_e32 v3, 31, v2
	s_addc_u32 s21, s13, s15
	v_lshlrev_b64 v[2:3], 2, v[2:3]
	v_mov_b32_e32 v7, s21
	v_add_co_u32_e32 v6, vcc, s9, v2
	v_or_b32_e32 v2, 16, v1
	v_addc_co_u32_e32 v7, vcc, v7, v3, vcc
	v_add_u32_e32 v3, v2, v4
	v_ashrrev_i32_e32 v3, 5, v3
	v_cmp_gt_i32_e32 vcc, s33, v2
	v_cndmask_b32_e32 v2, v5, v3, vcc
	v_ashrrev_i32_e32 v3, 31, v2
	v_lshlrev_b64 v[2:3], 2, v[2:3]
	v_mov_b32_e32 v9, s21
	v_add_co_u32_e32 v8, vcc, s9, v2
	v_or_b32_e32 v2, 32, v1
	v_addc_co_u32_e32 v9, vcc, v9, v3, vcc
	v_add_u32_e32 v3, v2, v4
	v_ashrrev_i32_e32 v3, 5, v3
	v_cmp_gt_i32_e32 vcc, s33, v2
	v_cndmask_b32_e32 v2, v5, v3, vcc
	v_ashrrev_i32_e32 v3, 31, v2
	;; [unrolled: 10-line block ×3, first 2 shown]
	v_lshlrev_b64 v[2:3], 2, v[2:3]
	v_mov_b32_e32 v1, s21
	v_add_co_u32_e32 v12, vcc, s9, v2
	v_addc_co_u32_e32 v13, vcc, v1, v3, vcc
	global_load_dword v5, v[6:7], off
	global_load_dword v4, v[8:9], off
	;; [unrolled: 1-line block ×4, first 2 shown]
	s_load_dwordx4 s[12:15], s[4:5], 0x8
	s_andn2_b64 vcc, exec, s[2:3]
	s_cbranch_vccnz .LBB889_8
; %bb.6:
	s_add_u32 s0, s0, s10
	s_addc_u32 s1, s1, s11
	s_load_dword s10, s[0:1], 0x0
	s_branch .LBB889_9
.LBB889_7:
	s_mov_b64 s[12:13], 0
	s_branch .LBB889_2
.LBB889_8:
	s_mov_b32 s10, s6
.LBB889_9:
	s_load_dwordx4 s[16:19], s[4:5], 0x48
	v_and_b32_e32 v49, 15, v0
	s_movk_i32 s0, 0xc0
	v_lshlrev_b32_e32 v6, 3, v49
	v_cmp_gt_u32_e32 vcc, s0, v0
	v_cmp_gt_u32_e64 s[0:1], 8, v49
	v_lshrrev_b32_e32 v50, 6, v0
	v_bfe_u32 v1, v0, 4, 2
	s_mul_i32 s25, s8, 12
	s_and_b64 s[26:27], vcc, s[0:1]
	v_lshlrev_b32_e32 v46, 1, v6
	v_lshlrev_b32_e32 v47, 4, v0
	s_and_saveexec_b64 s[2:3], s[26:27]
	s_cbranch_execz .LBB889_11
; %bb.10:
	s_load_dwordx2 s[26:27], s[4:5], 0x0
	s_waitcnt lgkmcnt(0)
	s_ashr_i32 s11, s16, 31
	s_mul_hi_u32 s19, s10, s16
	s_mul_i32 s11, s10, s11
	v_lshl_or_b32 v10, v50, 2, v1
	s_add_i32 s11, s19, s11
	s_mul_i32 s10, s10, s16
	s_lshl_b64 s[10:11], s[10:11], 1
	v_add_lshl_u32 v6, v10, s25, 6
	s_add_u32 s10, s26, s10
	v_ashrrev_i32_e32 v7, 31, v6
	s_addc_u32 s11, s27, s11
	v_lshlrev_b64 v[6:7], 1, v[6:7]
	v_mov_b32_e32 v8, s11
	v_add_co_u32_e32 v6, vcc, s10, v6
	v_addc_co_u32_e32 v7, vcc, v8, v7, vcc
	v_add_co_u32_e32 v6, vcc, v6, v46
	v_addc_co_u32_e32 v7, vcc, 0, v7, vcc
	global_load_dwordx4 v[6:9], v[6:7], off
	v_lshlrev_b32_e32 v12, 8, v49
	v_lshlrev_b32_e32 v10, 5, v10
	v_and_b32_e32 v11, 16, v47
	v_and_b32_e32 v12, 0xe00, v12
	v_or3_b32 v10, v12, v10, v11
	s_waitcnt vmcnt(0)
	ds_write_b128 v10, v[6:9]
.LBB889_11:
	s_or_b64 exec, exec, s[2:3]
	s_waitcnt lgkmcnt(0)
	s_mul_i32 s8, s8, s18
	s_add_u32 s2, s12, s8
	s_addc_u32 s3, s13, 0
	v_and_b32_e32 v12, 48, v0
	s_ashr_i32 s10, s20, 31
	v_or_b32_e32 v13, s20, v12
	s_lshr_b32 s10, s10, 27
	v_add_u32_e32 v6, s10, v13
	v_ashrrev_i32_e32 v6, 5, v6
	v_mov_b32_e32 v14, s22
	v_cmp_gt_i32_e32 vcc, s33, v13
	v_cndmask_b32_e32 v6, v14, v6, vcc
	v_ashrrev_i32_e32 v7, 31, v6
	v_lshlrev_b64 v[6:7], 2, v[6:7]
	v_mov_b32_e32 v8, s21
	v_add_co_u32_e32 v6, vcc, s9, v6
	v_addc_co_u32_e32 v7, vcc, v8, v7, vcc
	v_or_b32_e32 v8, 64, v13
	v_add_u32_e32 v9, s10, v8
	v_ashrrev_i32_e32 v9, 5, v9
	v_cmp_gt_i32_e32 vcc, s33, v8
	v_cndmask_b32_e32 v8, v14, v9, vcc
	v_ashrrev_i32_e32 v9, 31, v8
	v_lshlrev_b64 v[8:9], 2, v[8:9]
	v_mov_b32_e32 v10, s21
	v_add_co_u32_e32 v8, vcc, s9, v8
	v_addc_co_u32_e32 v9, vcc, v10, v9, vcc
	v_or_b32_e32 v10, 0x80, v13
	v_add_u32_e32 v11, s10, v10
	v_ashrrev_i32_e32 v11, 5, v11
	v_cmp_gt_i32_e32 vcc, s33, v10
	v_cndmask_b32_e32 v10, v14, v11, vcc
	v_ashrrev_i32_e32 v11, 31, v10
	v_lshlrev_b64 v[10:11], 2, v[10:11]
	v_mov_b32_e32 v15, s21
	v_add_co_u32_e32 v10, vcc, s9, v10
	s_load_dwordx2 s[44:45], s[4:5], 0x94
	s_load_dwordx4 s[40:43], s[4:5], 0x80
	s_waitcnt lgkmcnt(0)
	s_barrier
	v_addc_co_u32_e32 v11, vcc, v15, v11, vcc
	global_load_dword v15, v[6:7], off
	global_load_dword v16, v[8:9], off
	;; [unrolled: 1-line block ×3, first 2 shown]
	v_or_b32_e32 v6, 0xc0, v13
	v_add_u32_e32 v7, s10, v6
	v_ashrrev_i32_e32 v7, 5, v7
	v_cmp_gt_i32_e32 vcc, s33, v6
	v_cndmask_b32_e32 v6, v14, v7, vcc
	v_ashrrev_i32_e32 v7, 31, v6
	v_lshlrev_b64 v[6:7], 2, v[6:7]
	v_mov_b32_e32 v8, s21
	v_add_co_u32_e32 v6, vcc, s9, v6
	v_addc_co_u32_e32 v7, vcc, v8, v7, vcc
	global_load_dword v20, v[6:7], off
	v_pk_mov_b32 v[6:7], s[2:3], s[2:3] op_sel:[0,1]
	s_waitcnt vmcnt(7)
	v_mad_i64_i32 v[8:9], s[2:3], v5, s17, v[6:7]
	v_lshlrev_b32_e32 v11, 4, v49
	v_add_co_u32_e32 v5, vcc, v8, v11
	v_lshlrev_b32_e32 v10, 5, v12
	v_addc_co_u32_e32 v9, vcc, 0, v9, vcc
	v_add_co_u32_e32 v8, vcc, v5, v10
	v_addc_co_u32_e32 v9, vcc, 0, v9, vcc
	s_waitcnt vmcnt(6)
	v_mad_i64_i32 v[4:5], s[2:3], v4, s17, v[6:7]
	v_or_b32_e32 v12, 0x100, v11
	v_add_co_u32_e32 v4, vcc, v4, v12
	v_addc_co_u32_e32 v5, vcc, 0, v5, vcc
	v_add_co_u32_e32 v4, vcc, v4, v10
	v_addc_co_u32_e32 v5, vcc, 0, v5, vcc
	global_load_dwordx4 v[30:33], v[8:9], off
	global_load_dwordx4 v[38:41], v[4:5], off
	s_waitcnt vmcnt(7)
	v_mad_i64_i32 v[4:5], s[2:3], v3, s17, v[6:7]
	v_add_co_u32_e32 v3, vcc, v4, v11
	v_addc_co_u32_e32 v5, vcc, 0, v5, vcc
	v_add_co_u32_e32 v4, vcc, v3, v10
	v_addc_co_u32_e32 v5, vcc, 0, v5, vcc
	s_waitcnt vmcnt(6)
	v_mad_i64_i32 v[2:3], s[2:3], v2, s17, v[6:7]
	v_add_co_u32_e32 v2, vcc, v2, v12
	v_addc_co_u32_e32 v3, vcc, 0, v3, vcc
	v_add_co_u32_e32 v2, vcc, v2, v10
	s_add_u32 s2, s14, s8
	v_addc_co_u32_e32 v3, vcc, 0, v3, vcc
	global_load_dwordx4 v[34:37], v[4:5], off
	global_load_dwordx4 v[22:25], v[2:3], off
	s_addc_u32 s3, s15, 0
	v_and_b32_e32 v2, 16, v0
	v_mov_b32_e32 v3, s3
	v_add_co_u32_e32 v2, vcc, s2, v2
	v_lshlrev_b32_e32 v48, 5, v49
	v_addc_co_u32_e32 v3, vcc, 0, v3, vcc
	v_lshl_or_b32 v4, v50, 9, v48
	v_add_co_u32_e32 v2, vcc, v2, v4
	v_addc_co_u32_e32 v3, vcc, 0, v3, vcc
	v_cmp_gt_u32_e32 vcc, 12, v49
	v_mov_b32_e32 v44, 0
	v_mov_b32_e32 v43, 0
	s_movk_i32 s8, 0x80
	s_waitcnt vmcnt(7)
	v_mad_i64_i32 v[4:5], s[2:3], v15, s17, v[2:3]
	s_waitcnt vmcnt(6)
	v_mad_i64_i32 v[6:7], s[2:3], v16, s17, v[2:3]
	;; [unrolled: 2-line block ×3, first 2 shown]
	global_load_dwordx4 v[14:17], v[4:5], off
	global_load_dwordx4 v[10:13], v[6:7], off
	s_waitcnt vmcnt(6)
	v_mad_i64_i32 v[20:21], s[2:3], v20, s17, v[2:3]
	global_load_dwordx4 v[6:9], v[18:19], off
	global_load_dwordx4 v[2:5], v[20:21], off
	v_add_u32_e32 v18, -12, v49
	v_cndmask_b32_e32 v18, v18, v49, vcc
	v_lshlrev_b32_e32 v18, 5, v18
	v_lshl_add_u32 v18, v1, 9, v18
	ds_read_b128 v[26:29], v18
	ds_read_b128 v[18:21], v18 offset:16
	s_load_dword s12, s[40:41], 0x0
	s_waitcnt vmcnt(7)
	v_cmp_ne_u16_sdwa s[10:11], v30, v44 src0_sel:BYTE_0 src1_sel:DWORD
	s_and_saveexec_b64 s[2:3], s[10:11]
	s_cbranch_execz .LBB889_17
; %bb.12:
	v_cmp_ne_u16_sdwa s[10:11], v30, s8 src0_sel:BYTE_0 src1_sel:DWORD
	v_mov_b32_e32 v43, 0xffff8000
	s_and_saveexec_b64 s[8:9], s[10:11]
	s_cbranch_execz .LBB889_16
; %bb.13:
	s_movk_i32 s10, 0x7f
	v_and_b32_e32 v42, 0x7f, v30
	v_cmp_ne_u32_e32 vcc, s10, v42
	v_mov_b32_e32 v43, 0x7f80
	s_and_saveexec_b64 s[10:11], vcc
	s_cbranch_execz .LBB889_15
; %bb.14:
	v_and_b32_e32 v43, 7, v30
	v_ffbh_u32_e32 v51, v43
	v_min_u32_e32 v51, 32, v51
	v_subrev_u32_e32 v52, 28, v51
	v_lshlrev_b64 v[52:53], v52, v[30:31]
	v_lshrrev_b32_e32 v45, 3, v42
	v_sub_u32_e32 v51, 29, v51
	v_and_b32_e32 v52, 7, v52
	v_cmp_gt_u32_e32 vcc, 8, v42
	v_cndmask_b32_e32 v42, v45, v51, vcc
	v_cndmask_b32_e32 v43, v43, v52, vcc
	v_lshlrev_b32_e32 v45, 24, v30
	v_bfrev_b32_e32 v51, 60
	v_lshlrev_b32_e32 v43, 20, v43
	v_and_b32_e32 v45, 0x80000000, v45
	v_lshl_add_u32 v42, v42, 23, v51
	v_or3_b32 v42, v45, v42, v43
	v_lshrrev_b32_e32 v43, 16, v42
.LBB889_15:
	s_or_b64 exec, exec, s[10:11]
.LBB889_16:
	s_or_b64 exec, exec, s[8:9]
.LBB889_17:
	s_or_b64 exec, exec, s[2:3]
	v_lshrrev_b16_e32 v42, 8, v30
	v_cmp_ne_u16_e32 vcc, 0, v42
	s_and_saveexec_b64 s[2:3], vcc
	s_cbranch_execz .LBB889_23
; %bb.18:
	s_movk_i32 s8, 0x80
	v_cmp_ne_u16_e32 vcc, s8, v42
	v_mov_b32_e32 v44, 0xffff8000
	s_and_saveexec_b64 s[8:9], vcc
	s_cbranch_execz .LBB889_22
; %bb.19:
	s_movk_i32 s10, 0x7f
	v_and_b32_e32 v45, 0x7f, v42
	v_cmp_ne_u32_e32 vcc, s10, v45
	v_mov_b32_e32 v44, 0x7f80
	s_and_saveexec_b64 s[10:11], vcc
	s_cbranch_execz .LBB889_21
; %bb.20:
	v_and_b32_e32 v44, 7, v42
	v_ffbh_u32_e32 v52, v44
	v_min_u32_e32 v54, 32, v52
	v_subrev_u32_e32 v52, 28, v54
	v_lshlrev_b64 v[52:53], v52, v[42:43]
	v_lshrrev_b32_e32 v51, 3, v45
	v_sub_u32_e32 v42, 29, v54
	v_and_b32_e32 v52, 7, v52
	v_cmp_gt_u32_e32 vcc, 8, v45
	v_cndmask_b32_e32 v42, v51, v42, vcc
	v_cndmask_b32_e32 v44, v44, v52, vcc
	v_lshlrev_b32_e32 v45, 16, v30
	v_bfrev_b32_e32 v51, 60
	v_lshlrev_b32_e32 v44, 20, v44
	v_and_b32_e32 v45, 0x80000000, v45
	v_lshl_add_u32 v42, v42, 23, v51
	v_or3_b32 v42, v45, v42, v44
	v_lshrrev_b32_e32 v44, 16, v42
.LBB889_21:
	s_or_b64 exec, exec, s[10:11]
.LBB889_22:
	s_or_b64 exec, exec, s[8:9]
.LBB889_23:
	s_or_b64 exec, exec, s[2:3]
	s_movk_i32 s2, 0xff
	v_and_b32_sdwa v52, v30, s2 dst_sel:DWORD dst_unused:UNUSED_PAD src0_sel:WORD_1 src1_sel:DWORD
	v_lshrrev_b32_e32 v42, 16, v30
	v_cmp_ne_u16_e32 vcc, 0, v52
	v_mov_b32_e32 v45, 0
	v_mov_b32_e32 v51, 0
	s_and_saveexec_b64 s[2:3], vcc
	s_cbranch_execz .LBB889_29
; %bb.24:
	s_movk_i32 s8, 0x80
	v_cmp_ne_u16_e32 vcc, s8, v52
	v_mov_b32_e32 v51, 0xffff8000
	s_and_saveexec_b64 s[8:9], vcc
	s_cbranch_execz .LBB889_28
; %bb.25:
	v_bfe_u32 v52, v30, 16, 7
	s_movk_i32 s10, 0x7f
	v_cmp_ne_u32_e32 vcc, s10, v52
	v_mov_b32_e32 v51, 0x7f80
	s_and_saveexec_b64 s[10:11], vcc
	s_cbranch_execz .LBB889_27
; %bb.26:
	v_and_b32_e32 v51, 7, v42
	v_ffbh_u32_e32 v54, v51
	v_min_u32_e32 v56, 32, v54
	v_subrev_u32_e32 v54, 28, v56
	v_lshlrev_b64 v[54:55], v54, v[42:43]
	v_lshrrev_b32_e32 v53, 3, v52
	v_sub_u32_e32 v42, 29, v56
	v_and_b32_e32 v54, 7, v54
	v_cmp_gt_u32_e32 vcc, 8, v52
	v_mov_b32_e32 v52, 24
	v_cndmask_b32_e32 v42, v53, v42, vcc
	v_cndmask_b32_e32 v51, v51, v54, vcc
	v_lshlrev_b32_sdwa v52, v52, v30 dst_sel:DWORD dst_unused:UNUSED_PAD src0_sel:DWORD src1_sel:WORD_1
	v_bfrev_b32_e32 v53, 60
	v_lshlrev_b32_e32 v51, 20, v51
	v_and_b32_e32 v52, 0x80000000, v52
	v_lshl_add_u32 v42, v42, 23, v53
	v_or3_b32 v42, v52, v42, v51
	v_lshrrev_b32_e32 v51, 16, v42
.LBB889_27:
	s_or_b64 exec, exec, s[10:11]
.LBB889_28:
	s_or_b64 exec, exec, s[8:9]
.LBB889_29:
	s_or_b64 exec, exec, s[2:3]
	s_mov_b32 s2, 0xffffff
	v_cmp_lt_u32_e32 vcc, s2, v30
	s_and_saveexec_b64 s[2:3], vcc
	s_cbranch_execz .LBB889_35
; %bb.30:
	v_lshrrev_b32_e32 v42, 24, v30
	s_movk_i32 s8, 0x80
	v_cmp_ne_u32_e32 vcc, s8, v42
	v_mov_b32_e32 v45, 0xffff8000
	s_and_saveexec_b64 s[8:9], vcc
	s_cbranch_execz .LBB889_34
; %bb.31:
	v_bfe_u32 v30, v30, 24, 7
	s_movk_i32 s10, 0x7f
	v_cmp_ne_u32_e32 vcc, s10, v30
	v_mov_b32_e32 v45, 0x7f80
	s_and_saveexec_b64 s[10:11], vcc
	s_cbranch_execz .LBB889_33
; %bb.32:
	v_and_b32_e32 v45, 7, v42
	v_ffbh_u32_e32 v52, v45
	v_min_u32_e32 v55, 32, v52
	v_subrev_u32_e32 v52, 28, v55
	v_lshlrev_b64 v[52:53], v52, v[42:43]
	v_lshrrev_b32_e32 v54, 3, v30
	v_sub_u32_e32 v53, 29, v55
	v_and_b32_e32 v52, 7, v52
	v_cmp_gt_u32_e32 vcc, 8, v30
	v_cndmask_b32_e32 v30, v54, v53, vcc
	v_cndmask_b32_e32 v45, v45, v52, vcc
	v_lshlrev_b32_e32 v42, 24, v42
	v_bfrev_b32_e32 v52, 60
	v_lshlrev_b32_e32 v45, 20, v45
	v_and_b32_e32 v42, 0x80000000, v42
	v_lshl_add_u32 v30, v30, 23, v52
	v_or3_b32 v30, v42, v30, v45
	v_lshrrev_b32_e32 v45, 16, v30
.LBB889_33:
	s_or_b64 exec, exec, s[10:11]
.LBB889_34:
	s_or_b64 exec, exec, s[8:9]
.LBB889_35:
	s_or_b64 exec, exec, s[2:3]
	v_mov_b32_e32 v42, 0
	v_cmp_ne_u16_sdwa s[8:9], v31, v42 src0_sel:BYTE_0 src1_sel:DWORD
	v_mov_b32_e32 v52, 0
	s_and_saveexec_b64 s[2:3], s[8:9]
	s_cbranch_execz .LBB889_41
; %bb.36:
	s_movk_i32 s8, 0x80
	v_cmp_ne_u16_sdwa s[10:11], v31, s8 src0_sel:BYTE_0 src1_sel:DWORD
	v_mov_b32_e32 v52, 0xffff8000
	s_and_saveexec_b64 s[8:9], s[10:11]
	s_cbranch_execz .LBB889_40
; %bb.37:
	s_movk_i32 s10, 0x7f
	v_and_b32_e32 v30, 0x7f, v31
	v_cmp_ne_u32_e32 vcc, s10, v30
	v_mov_b32_e32 v52, 0x7f80
	s_and_saveexec_b64 s[10:11], vcc
	s_cbranch_execz .LBB889_39
; %bb.38:
	v_and_b32_e32 v54, 7, v31
	v_ffbh_u32_e32 v53, v54
	v_min_u32_e32 v56, 32, v53
	v_mov_b32_e32 v52, v31
	v_subrev_u32_e32 v53, 28, v56
	v_lshlrev_b64 v[52:53], v53, v[52:53]
	v_lshrrev_b32_e32 v55, 3, v30
	v_sub_u32_e32 v53, 29, v56
	v_and_b32_e32 v52, 7, v52
	v_cmp_gt_u32_e32 vcc, 8, v30
	v_cndmask_b32_e32 v30, v55, v53, vcc
	v_cndmask_b32_e32 v52, v54, v52, vcc
	v_lshlrev_b32_e32 v53, 24, v31
	v_bfrev_b32_e32 v54, 60
	v_lshlrev_b32_e32 v52, 20, v52
	v_and_b32_e32 v53, 0x80000000, v53
	v_lshl_add_u32 v30, v30, 23, v54
	v_or3_b32 v30, v53, v30, v52
	v_lshrrev_b32_e32 v52, 16, v30
.LBB889_39:
	s_or_b64 exec, exec, s[10:11]
.LBB889_40:
	s_or_b64 exec, exec, s[8:9]
.LBB889_41:
	s_or_b64 exec, exec, s[2:3]
	v_lshrrev_b16_e32 v30, 8, v31
	v_cmp_ne_u16_e32 vcc, 0, v30
	s_and_saveexec_b64 s[2:3], vcc
	s_cbranch_execz .LBB889_47
; %bb.42:
	s_movk_i32 s8, 0x80
	v_cmp_ne_u16_e32 vcc, s8, v30
	v_mov_b32_e32 v42, 0xffff8000
	s_and_saveexec_b64 s[8:9], vcc
	s_cbranch_execz .LBB889_46
; %bb.43:
	s_movk_i32 s10, 0x7f
	v_and_b32_e32 v53, 0x7f, v30
	v_cmp_ne_u32_e32 vcc, s10, v53
	v_mov_b32_e32 v42, 0x7f80
	s_and_saveexec_b64 s[10:11], vcc
	s_cbranch_execz .LBB889_45
; %bb.44:
	v_and_b32_e32 v42, 7, v30
	v_ffbh_u32_e32 v54, v42
	v_min_u32_e32 v57, 32, v54
	v_subrev_u32_e32 v54, 28, v57
	v_lshlrev_b64 v[54:55], v54, v[30:31]
	v_lshrrev_b32_e32 v56, 3, v53
	v_sub_u32_e32 v30, 29, v57
	v_and_b32_e32 v54, 7, v54
	v_cmp_gt_u32_e32 vcc, 8, v53
	v_cndmask_b32_e32 v30, v56, v30, vcc
	v_cndmask_b32_e32 v42, v42, v54, vcc
	v_lshlrev_b32_e32 v53, 16, v31
	v_bfrev_b32_e32 v54, 60
	v_lshlrev_b32_e32 v42, 20, v42
	v_and_b32_e32 v53, 0x80000000, v53
	v_lshl_add_u32 v30, v30, 23, v54
	v_or3_b32 v30, v53, v30, v42
	v_lshrrev_b32_e32 v42, 16, v30
.LBB889_45:
	s_or_b64 exec, exec, s[10:11]
.LBB889_46:
	s_or_b64 exec, exec, s[8:9]
.LBB889_47:
	s_or_b64 exec, exec, s[2:3]
	s_movk_i32 s2, 0xff
	v_and_b32_sdwa v55, v31, s2 dst_sel:DWORD dst_unused:UNUSED_PAD src0_sel:WORD_1 src1_sel:DWORD
	v_lshrrev_b32_e32 v30, 16, v31
	v_cmp_ne_u16_e32 vcc, 0, v55
	v_mov_b32_e32 v53, 0
	v_mov_b32_e32 v54, 0
	s_and_saveexec_b64 s[2:3], vcc
	s_cbranch_execz .LBB889_53
; %bb.48:
	s_movk_i32 s8, 0x80
	v_cmp_ne_u16_e32 vcc, s8, v55
	v_mov_b32_e32 v54, 0xffff8000
	s_and_saveexec_b64 s[8:9], vcc
	s_cbranch_execz .LBB889_52
; %bb.49:
	v_bfe_u32 v55, v31, 16, 7
	s_movk_i32 s10, 0x7f
	v_cmp_ne_u32_e32 vcc, s10, v55
	v_mov_b32_e32 v54, 0x7f80
	s_and_saveexec_b64 s[10:11], vcc
	s_cbranch_execz .LBB889_51
; %bb.50:
	v_and_b32_e32 v54, 7, v30
	v_ffbh_u32_e32 v56, v54
	v_min_u32_e32 v59, 32, v56
	v_subrev_u32_e32 v56, 28, v59
	v_lshlrev_b64 v[56:57], v56, v[30:31]
	v_lshrrev_b32_e32 v58, 3, v55
	v_sub_u32_e32 v30, 29, v59
	v_and_b32_e32 v56, 7, v56
	v_cmp_gt_u32_e32 vcc, 8, v55
	v_mov_b32_e32 v55, 24
	v_cndmask_b32_e32 v30, v58, v30, vcc
	v_cndmask_b32_e32 v54, v54, v56, vcc
	v_lshlrev_b32_sdwa v55, v55, v31 dst_sel:DWORD dst_unused:UNUSED_PAD src0_sel:DWORD src1_sel:WORD_1
	v_bfrev_b32_e32 v56, 60
	v_lshlrev_b32_e32 v54, 20, v54
	v_and_b32_e32 v55, 0x80000000, v55
	v_lshl_add_u32 v30, v30, 23, v56
	v_or3_b32 v30, v55, v30, v54
	v_lshrrev_b32_e32 v54, 16, v30
.LBB889_51:
	s_or_b64 exec, exec, s[10:11]
.LBB889_52:
	s_or_b64 exec, exec, s[8:9]
.LBB889_53:
	s_or_b64 exec, exec, s[2:3]
	s_mov_b32 s2, 0xffffff
	v_cmp_lt_u32_e32 vcc, s2, v31
	s_and_saveexec_b64 s[2:3], vcc
	s_cbranch_execz .LBB889_59
; %bb.54:
	v_lshrrev_b32_e32 v30, 24, v31
	s_movk_i32 s8, 0x80
	v_cmp_ne_u32_e32 vcc, s8, v30
	v_mov_b32_e32 v53, 0xffff8000
	s_and_saveexec_b64 s[8:9], vcc
	s_cbranch_execz .LBB889_58
; %bb.55:
	v_bfe_u32 v31, v31, 24, 7
	s_movk_i32 s10, 0x7f
	v_cmp_ne_u32_e32 vcc, s10, v31
	v_mov_b32_e32 v53, 0x7f80
	s_and_saveexec_b64 s[10:11], vcc
	s_cbranch_execz .LBB889_57
; %bb.56:
	v_and_b32_e32 v53, 7, v30
	v_ffbh_u32_e32 v56, v53
	v_min_u32_e32 v58, 32, v56
	v_subrev_u32_e32 v56, 28, v58
	v_lshlrev_b64 v[56:57], v56, v[30:31]
	v_lshrrev_b32_e32 v55, 3, v31
	v_sub_u32_e32 v57, 29, v58
	v_and_b32_e32 v56, 7, v56
	v_cmp_gt_u32_e32 vcc, 8, v31
	v_cndmask_b32_e32 v31, v55, v57, vcc
	v_cndmask_b32_e32 v53, v53, v56, vcc
	v_lshlrev_b32_e32 v30, 24, v30
	v_bfrev_b32_e32 v55, 60
	v_lshlrev_b32_e32 v53, 20, v53
	v_and_b32_e32 v30, 0x80000000, v30
	v_lshl_add_u32 v31, v31, 23, v55
	v_or3_b32 v30, v30, v31, v53
	v_lshrrev_b32_e32 v53, 16, v30
.LBB889_57:
	s_or_b64 exec, exec, s[10:11]
.LBB889_58:
	s_or_b64 exec, exec, s[8:9]
.LBB889_59:
	s_or_b64 exec, exec, s[2:3]
	s_mov_b32 s2, 0x5040100
	v_perm_b32 v31, v45, v51, s2
	v_perm_b32 v30, v44, v43, s2
	;; [unrolled: 1-line block ×4, first 2 shown]
	v_mov_b32_e32 v51, 0
	s_waitcnt lgkmcnt(0)
	v_mfma_f32_16x16x16bf16_1k v[56:59], v[30:31], v[26:27], 0
	v_mov_b32_e32 v31, 0
	v_cmp_ne_u16_sdwa s[8:9], v32, v31 src0_sel:BYTE_0 src1_sel:DWORD
	v_mfma_f32_16x16x16bf16_1k v[42:45], v[42:43], v[28:29], v[56:59]
	s_and_saveexec_b64 s[2:3], s[8:9]
	s_cbranch_execz .LBB889_65
; %bb.60:
	s_movk_i32 s8, 0x80
	v_cmp_ne_u16_sdwa s[10:11], v32, s8 src0_sel:BYTE_0 src1_sel:DWORD
	v_mov_b32_e32 v51, 0xffff8000
	s_and_saveexec_b64 s[8:9], s[10:11]
	s_cbranch_execz .LBB889_64
; %bb.61:
	s_movk_i32 s10, 0x7f
	v_and_b32_e32 v30, 0x7f, v32
	v_cmp_ne_u32_e32 vcc, s10, v30
	v_mov_b32_e32 v51, 0x7f80
	s_and_saveexec_b64 s[10:11], vcc
	s_cbranch_execz .LBB889_63
; %bb.62:
	v_and_b32_e32 v51, 7, v32
	v_ffbh_u32_e32 v52, v51
	v_min_u32_e32 v55, 32, v52
	v_subrev_u32_e32 v52, 28, v55
	v_lshlrev_b64 v[52:53], v52, v[32:33]
	v_lshrrev_b32_e32 v54, 3, v30
	v_sub_u32_e32 v53, 29, v55
	v_and_b32_e32 v52, 7, v52
	v_cmp_gt_u32_e32 vcc, 8, v30
	v_cndmask_b32_e32 v30, v54, v53, vcc
	v_cndmask_b32_e32 v51, v51, v52, vcc
	v_lshlrev_b32_e32 v52, 24, v32
	v_bfrev_b32_e32 v53, 60
	v_lshlrev_b32_e32 v51, 20, v51
	v_and_b32_e32 v52, 0x80000000, v52
	v_lshl_add_u32 v30, v30, 23, v53
	v_or3_b32 v30, v52, v30, v51
	v_lshrrev_b32_e32 v51, 16, v30
.LBB889_63:
	s_or_b64 exec, exec, s[10:11]
.LBB889_64:
	s_or_b64 exec, exec, s[8:9]
.LBB889_65:
	s_or_b64 exec, exec, s[2:3]
	v_lshrrev_b16_e32 v30, 8, v32
	v_cmp_ne_u16_e32 vcc, 0, v30
	s_and_saveexec_b64 s[2:3], vcc
	s_cbranch_execz .LBB889_71
; %bb.66:
	s_movk_i32 s8, 0x80
	v_cmp_ne_u16_e32 vcc, s8, v30
	v_mov_b32_e32 v31, 0xffff8000
	s_and_saveexec_b64 s[8:9], vcc
	s_cbranch_execz .LBB889_70
; %bb.67:
	s_movk_i32 s10, 0x7f
	v_and_b32_e32 v52, 0x7f, v30
	v_cmp_ne_u32_e32 vcc, s10, v52
	v_mov_b32_e32 v31, 0x7f80
	s_and_saveexec_b64 s[10:11], vcc
	s_cbranch_execz .LBB889_69
; %bb.68:
	v_and_b32_e32 v53, 7, v30
	v_ffbh_u32_e32 v31, v53
	v_min_u32_e32 v55, 32, v31
	v_subrev_u32_e32 v31, 28, v55
	v_lshlrev_b64 v[30:31], v31, v[30:31]
	v_lshrrev_b32_e32 v54, 3, v52
	v_sub_u32_e32 v31, 29, v55
	v_and_b32_e32 v30, 7, v30
	v_cmp_gt_u32_e32 vcc, 8, v52
	v_cndmask_b32_e32 v31, v54, v31, vcc
	v_cndmask_b32_e32 v30, v53, v30, vcc
	v_lshlrev_b32_e32 v52, 16, v32
	v_bfrev_b32_e32 v53, 60
	v_lshlrev_b32_e32 v30, 20, v30
	v_and_b32_e32 v52, 0x80000000, v52
	v_lshl_add_u32 v31, v31, 23, v53
	v_or3_b32 v30, v52, v31, v30
	v_lshrrev_b32_e32 v31, 16, v30
.LBB889_69:
	s_or_b64 exec, exec, s[10:11]
.LBB889_70:
	s_or_b64 exec, exec, s[8:9]
.LBB889_71:
	s_or_b64 exec, exec, s[2:3]
	s_movk_i32 s2, 0xff
	v_and_b32_sdwa v54, v32, s2 dst_sel:DWORD dst_unused:UNUSED_PAD src0_sel:WORD_1 src1_sel:DWORD
	v_lshrrev_b32_e32 v30, 16, v32
	v_cmp_ne_u16_e32 vcc, 0, v54
	v_mov_b32_e32 v52, 0
	v_mov_b32_e32 v53, 0
	s_and_saveexec_b64 s[2:3], vcc
	s_cbranch_execz .LBB889_77
; %bb.72:
	s_movk_i32 s8, 0x80
	v_cmp_ne_u16_e32 vcc, s8, v54
	v_mov_b32_e32 v53, 0xffff8000
	s_and_saveexec_b64 s[8:9], vcc
	s_cbranch_execz .LBB889_76
; %bb.73:
	v_bfe_u32 v54, v32, 16, 7
	s_movk_i32 s10, 0x7f
	v_cmp_ne_u32_e32 vcc, s10, v54
	v_mov_b32_e32 v53, 0x7f80
	s_and_saveexec_b64 s[10:11], vcc
	s_cbranch_execz .LBB889_75
; %bb.74:
	v_and_b32_e32 v53, 7, v30
	v_ffbh_u32_e32 v56, v53
	v_min_u32_e32 v58, 32, v56
	v_subrev_u32_e32 v56, 28, v58
	v_lshlrev_b64 v[56:57], v56, v[30:31]
	v_lshrrev_b32_e32 v55, 3, v54
	v_sub_u32_e32 v30, 29, v58
	v_and_b32_e32 v56, 7, v56
	v_cmp_gt_u32_e32 vcc, 8, v54
	v_mov_b32_e32 v54, 24
	v_cndmask_b32_e32 v30, v55, v30, vcc
	v_cndmask_b32_e32 v53, v53, v56, vcc
	v_lshlrev_b32_sdwa v54, v54, v32 dst_sel:DWORD dst_unused:UNUSED_PAD src0_sel:DWORD src1_sel:WORD_1
	v_bfrev_b32_e32 v55, 60
	v_lshlrev_b32_e32 v53, 20, v53
	v_and_b32_e32 v54, 0x80000000, v54
	v_lshl_add_u32 v30, v30, 23, v55
	v_or3_b32 v30, v54, v30, v53
	v_lshrrev_b32_e32 v53, 16, v30
.LBB889_75:
	s_or_b64 exec, exec, s[10:11]
.LBB889_76:
	s_or_b64 exec, exec, s[8:9]
.LBB889_77:
	s_or_b64 exec, exec, s[2:3]
	s_mov_b32 s2, 0xffffff
	v_cmp_lt_u32_e32 vcc, s2, v32
	s_and_saveexec_b64 s[2:3], vcc
	s_cbranch_execz .LBB889_83
; %bb.78:
	v_lshrrev_b32_e32 v30, 24, v32
	s_movk_i32 s8, 0x80
	v_cmp_ne_u32_e32 vcc, s8, v30
	v_mov_b32_e32 v52, 0xffff8000
	s_and_saveexec_b64 s[8:9], vcc
	s_cbranch_execz .LBB889_82
; %bb.79:
	v_bfe_u32 v32, v32, 24, 7
	s_movk_i32 s10, 0x7f
	v_cmp_ne_u32_e32 vcc, s10, v32
	v_mov_b32_e32 v52, 0x7f80
	s_and_saveexec_b64 s[10:11], vcc
	s_cbranch_execz .LBB889_81
; %bb.80:
	v_and_b32_e32 v52, 7, v30
	v_ffbh_u32_e32 v54, v52
	v_min_u32_e32 v57, 32, v54
	v_subrev_u32_e32 v54, 28, v57
	v_lshlrev_b64 v[54:55], v54, v[30:31]
	v_lshrrev_b32_e32 v56, 3, v32
	v_sub_u32_e32 v55, 29, v57
	v_and_b32_e32 v54, 7, v54
	v_cmp_gt_u32_e32 vcc, 8, v32
	v_cndmask_b32_e32 v32, v56, v55, vcc
	v_cndmask_b32_e32 v52, v52, v54, vcc
	v_lshlrev_b32_e32 v30, 24, v30
	v_bfrev_b32_e32 v54, 60
	v_lshlrev_b32_e32 v52, 20, v52
	v_and_b32_e32 v30, 0x80000000, v30
	v_lshl_add_u32 v32, v32, 23, v54
	v_or3_b32 v30, v30, v32, v52
	v_lshrrev_b32_e32 v52, 16, v30
.LBB889_81:
	s_or_b64 exec, exec, s[10:11]
.LBB889_82:
	s_or_b64 exec, exec, s[8:9]
.LBB889_83:
	s_or_b64 exec, exec, s[2:3]
	v_mov_b32_e32 v32, 0
	v_cmp_ne_u16_sdwa s[8:9], v33, v32 src0_sel:BYTE_0 src1_sel:DWORD
	v_mov_b32_e32 v54, 0
	s_and_saveexec_b64 s[2:3], s[8:9]
	s_cbranch_execz .LBB889_89
; %bb.84:
	s_movk_i32 s8, 0x80
	v_cmp_ne_u16_sdwa s[10:11], v33, s8 src0_sel:BYTE_0 src1_sel:DWORD
	v_mov_b32_e32 v54, 0xffff8000
	s_and_saveexec_b64 s[8:9], s[10:11]
	s_cbranch_execz .LBB889_88
; %bb.85:
	s_movk_i32 s10, 0x7f
	v_and_b32_e32 v30, 0x7f, v33
	v_cmp_ne_u32_e32 vcc, s10, v30
	v_mov_b32_e32 v54, 0x7f80
	s_and_saveexec_b64 s[10:11], vcc
	s_cbranch_execz .LBB889_87
; %bb.86:
	v_and_b32_e32 v56, 7, v33
	v_ffbh_u32_e32 v55, v56
	v_min_u32_e32 v58, 32, v55
	v_mov_b32_e32 v54, v33
	v_subrev_u32_e32 v55, 28, v58
	v_lshlrev_b64 v[54:55], v55, v[54:55]
	v_lshrrev_b32_e32 v57, 3, v30
	v_sub_u32_e32 v55, 29, v58
	v_and_b32_e32 v54, 7, v54
	v_cmp_gt_u32_e32 vcc, 8, v30
	v_cndmask_b32_e32 v30, v57, v55, vcc
	v_cndmask_b32_e32 v54, v56, v54, vcc
	v_lshlrev_b32_e32 v55, 24, v33
	v_bfrev_b32_e32 v56, 60
	v_lshlrev_b32_e32 v54, 20, v54
	v_and_b32_e32 v55, 0x80000000, v55
	v_lshl_add_u32 v30, v30, 23, v56
	v_or3_b32 v30, v55, v30, v54
	v_lshrrev_b32_e32 v54, 16, v30
.LBB889_87:
	s_or_b64 exec, exec, s[10:11]
.LBB889_88:
	s_or_b64 exec, exec, s[8:9]
.LBB889_89:
	s_or_b64 exec, exec, s[2:3]
	v_lshrrev_b16_e32 v30, 8, v33
	v_cmp_ne_u16_e32 vcc, 0, v30
	s_and_saveexec_b64 s[2:3], vcc
	s_cbranch_execz .LBB889_95
; %bb.90:
	s_movk_i32 s8, 0x80
	v_cmp_ne_u16_e32 vcc, s8, v30
	v_mov_b32_e32 v32, 0xffff8000
	s_and_saveexec_b64 s[8:9], vcc
	s_cbranch_execz .LBB889_94
; %bb.91:
	s_movk_i32 s10, 0x7f
	v_and_b32_e32 v55, 0x7f, v30
	v_cmp_ne_u32_e32 vcc, s10, v55
	v_mov_b32_e32 v32, 0x7f80
	s_and_saveexec_b64 s[10:11], vcc
	s_cbranch_execz .LBB889_93
; %bb.92:
	v_and_b32_e32 v32, 7, v30
	v_ffbh_u32_e32 v56, v32
	v_min_u32_e32 v59, 32, v56
	v_subrev_u32_e32 v56, 28, v59
	v_lshlrev_b64 v[56:57], v56, v[30:31]
	v_lshrrev_b32_e32 v58, 3, v55
	v_sub_u32_e32 v30, 29, v59
	v_and_b32_e32 v56, 7, v56
	v_cmp_gt_u32_e32 vcc, 8, v55
	v_cndmask_b32_e32 v30, v58, v30, vcc
	v_cndmask_b32_e32 v32, v32, v56, vcc
	v_lshlrev_b32_e32 v55, 16, v33
	v_bfrev_b32_e32 v56, 60
	v_lshlrev_b32_e32 v32, 20, v32
	v_and_b32_e32 v55, 0x80000000, v55
	v_lshl_add_u32 v30, v30, 23, v56
	v_or3_b32 v30, v55, v30, v32
	v_lshrrev_b32_e32 v32, 16, v30
.LBB889_93:
	s_or_b64 exec, exec, s[10:11]
.LBB889_94:
	s_or_b64 exec, exec, s[8:9]
.LBB889_95:
	s_or_b64 exec, exec, s[2:3]
	s_movk_i32 s2, 0xff
	v_and_b32_sdwa v57, v33, s2 dst_sel:DWORD dst_unused:UNUSED_PAD src0_sel:WORD_1 src1_sel:DWORD
	v_lshrrev_b32_e32 v30, 16, v33
	v_cmp_ne_u16_e32 vcc, 0, v57
	v_mov_b32_e32 v55, 0
	v_mov_b32_e32 v56, 0
	s_and_saveexec_b64 s[2:3], vcc
	s_cbranch_execz .LBB889_101
; %bb.96:
	s_movk_i32 s8, 0x80
	v_cmp_ne_u16_e32 vcc, s8, v57
	v_mov_b32_e32 v56, 0xffff8000
	s_and_saveexec_b64 s[8:9], vcc
	s_cbranch_execz .LBB889_100
; %bb.97:
	v_bfe_u32 v57, v33, 16, 7
	s_movk_i32 s10, 0x7f
	v_cmp_ne_u32_e32 vcc, s10, v57
	v_mov_b32_e32 v56, 0x7f80
	s_and_saveexec_b64 s[10:11], vcc
	s_cbranch_execz .LBB889_99
; %bb.98:
	v_and_b32_e32 v56, 7, v30
	v_ffbh_u32_e32 v58, v56
	v_min_u32_e32 v61, 32, v58
	v_subrev_u32_e32 v58, 28, v61
	v_lshlrev_b64 v[58:59], v58, v[30:31]
	v_lshrrev_b32_e32 v60, 3, v57
	v_sub_u32_e32 v30, 29, v61
	v_and_b32_e32 v58, 7, v58
	v_cmp_gt_u32_e32 vcc, 8, v57
	v_mov_b32_e32 v57, 24
	v_cndmask_b32_e32 v30, v60, v30, vcc
	v_cndmask_b32_e32 v56, v56, v58, vcc
	v_lshlrev_b32_sdwa v57, v57, v33 dst_sel:DWORD dst_unused:UNUSED_PAD src0_sel:DWORD src1_sel:WORD_1
	v_bfrev_b32_e32 v58, 60
	v_lshlrev_b32_e32 v56, 20, v56
	v_and_b32_e32 v57, 0x80000000, v57
	v_lshl_add_u32 v30, v30, 23, v58
	v_or3_b32 v30, v57, v30, v56
	v_lshrrev_b32_e32 v56, 16, v30
.LBB889_99:
	s_or_b64 exec, exec, s[10:11]
.LBB889_100:
	s_or_b64 exec, exec, s[8:9]
.LBB889_101:
	s_or_b64 exec, exec, s[2:3]
	s_mov_b32 s2, 0xffffff
	v_cmp_lt_u32_e32 vcc, s2, v33
	s_and_saveexec_b64 s[2:3], vcc
	s_cbranch_execz .LBB889_107
; %bb.102:
	v_lshrrev_b32_e32 v30, 24, v33
	s_movk_i32 s8, 0x80
	v_cmp_ne_u32_e32 vcc, s8, v30
	v_mov_b32_e32 v55, 0xffff8000
	s_and_saveexec_b64 s[8:9], vcc
	s_cbranch_execz .LBB889_106
; %bb.103:
	v_bfe_u32 v33, v33, 24, 7
	s_movk_i32 s10, 0x7f
	v_cmp_ne_u32_e32 vcc, s10, v33
	v_mov_b32_e32 v55, 0x7f80
	s_and_saveexec_b64 s[10:11], vcc
	s_cbranch_execz .LBB889_105
; %bb.104:
	v_and_b32_e32 v55, 7, v30
	v_ffbh_u32_e32 v58, v55
	v_min_u32_e32 v60, 32, v58
	v_subrev_u32_e32 v58, 28, v60
	v_lshlrev_b64 v[58:59], v58, v[30:31]
	v_lshrrev_b32_e32 v57, 3, v33
	v_sub_u32_e32 v59, 29, v60
	v_and_b32_e32 v58, 7, v58
	v_cmp_gt_u32_e32 vcc, 8, v33
	v_cndmask_b32_e32 v33, v57, v59, vcc
	v_cndmask_b32_e32 v55, v55, v58, vcc
	v_lshlrev_b32_e32 v30, 24, v30
	v_bfrev_b32_e32 v57, 60
	v_lshlrev_b32_e32 v55, 20, v55
	v_and_b32_e32 v30, 0x80000000, v30
	v_lshl_add_u32 v33, v33, 23, v57
	v_or3_b32 v30, v30, v33, v55
	v_lshrrev_b32_e32 v55, 16, v30
.LBB889_105:
	s_or_b64 exec, exec, s[10:11]
.LBB889_106:
	s_or_b64 exec, exec, s[8:9]
.LBB889_107:
	s_or_b64 exec, exec, s[2:3]
	s_mov_b32 s2, 0x5040100
	v_perm_b32 v53, v52, v53, s2
	v_perm_b32 v52, v31, v51, s2
	;; [unrolled: 1-line block ×4, first 2 shown]
	v_mfma_f32_16x16x16bf16_1k v[58:61], v[52:53], v[18:19], v[42:45]
	s_nop 6
	v_mov_b32_e32 v43, 0
	s_waitcnt vmcnt(6)
	v_cmp_ne_u16_sdwa s[8:9], v38, v43 src0_sel:BYTE_0 src1_sel:DWORD
	v_mfma_f32_16x16x16bf16_1k v[30:33], v[30:31], v[20:21], v[58:61]
	v_mov_b32_e32 v44, 0
	s_and_saveexec_b64 s[2:3], s[8:9]
	s_cbranch_execz .LBB889_113
; %bb.108:
	s_movk_i32 s8, 0x80
	v_cmp_ne_u16_sdwa s[10:11], v38, s8 src0_sel:BYTE_0 src1_sel:DWORD
	v_mov_b32_e32 v44, 0xffff8000
	s_and_saveexec_b64 s[8:9], s[10:11]
	s_cbranch_execz .LBB889_112
; %bb.109:
	s_movk_i32 s10, 0x7f
	v_and_b32_e32 v42, 0x7f, v38
	v_cmp_ne_u32_e32 vcc, s10, v42
	v_mov_b32_e32 v44, 0x7f80
	s_and_saveexec_b64 s[10:11], vcc
	s_cbranch_execz .LBB889_111
; %bb.110:
	v_and_b32_e32 v51, 7, v38
	v_ffbh_u32_e32 v44, v51
	v_min_u32_e32 v53, 32, v44
	v_subrev_u32_e32 v44, 28, v53
	v_lshlrev_b64 v[44:45], v44, v[38:39]
	v_lshrrev_b32_e32 v52, 3, v42
	v_sub_u32_e32 v45, 29, v53
	v_and_b32_e32 v44, 7, v44
	v_cmp_gt_u32_e32 vcc, 8, v42
	v_cndmask_b32_e32 v42, v52, v45, vcc
	v_cndmask_b32_e32 v44, v51, v44, vcc
	v_lshlrev_b32_e32 v45, 24, v38
	v_bfrev_b32_e32 v51, 60
	v_lshlrev_b32_e32 v44, 20, v44
	v_and_b32_e32 v45, 0x80000000, v45
	v_lshl_add_u32 v42, v42, 23, v51
	v_or3_b32 v42, v45, v42, v44
	v_lshrrev_b32_e32 v44, 16, v42
.LBB889_111:
	s_or_b64 exec, exec, s[10:11]
.LBB889_112:
	s_or_b64 exec, exec, s[8:9]
.LBB889_113:
	s_or_b64 exec, exec, s[2:3]
	v_lshrrev_b16_e32 v42, 8, v38
	v_cmp_ne_u16_e32 vcc, 0, v42
	s_and_saveexec_b64 s[2:3], vcc
	s_cbranch_execz .LBB889_119
; %bb.114:
	s_movk_i32 s8, 0x80
	v_cmp_ne_u16_e32 vcc, s8, v42
	v_mov_b32_e32 v43, 0xffff8000
	s_and_saveexec_b64 s[8:9], vcc
	s_cbranch_execz .LBB889_118
; %bb.115:
	s_movk_i32 s10, 0x7f
	v_and_b32_e32 v45, 0x7f, v42
	v_cmp_ne_u32_e32 vcc, s10, v45
	v_mov_b32_e32 v43, 0x7f80
	s_and_saveexec_b64 s[10:11], vcc
	s_cbranch_execz .LBB889_117
; %bb.116:
	v_and_b32_e32 v51, 7, v42
	v_ffbh_u32_e32 v43, v51
	v_min_u32_e32 v53, 32, v43
	v_subrev_u32_e32 v43, 28, v53
	v_lshlrev_b64 v[42:43], v43, v[42:43]
	v_lshrrev_b32_e32 v52, 3, v45
	v_sub_u32_e32 v43, 29, v53
	v_and_b32_e32 v42, 7, v42
	v_cmp_gt_u32_e32 vcc, 8, v45
	v_cndmask_b32_e32 v43, v52, v43, vcc
	v_cndmask_b32_e32 v42, v51, v42, vcc
	v_lshlrev_b32_e32 v45, 16, v38
	v_bfrev_b32_e32 v51, 60
	v_lshlrev_b32_e32 v42, 20, v42
	v_and_b32_e32 v45, 0x80000000, v45
	v_lshl_add_u32 v43, v43, 23, v51
	v_or3_b32 v42, v45, v43, v42
	v_lshrrev_b32_e32 v43, 16, v42
.LBB889_117:
	s_or_b64 exec, exec, s[10:11]
.LBB889_118:
	s_or_b64 exec, exec, s[8:9]
.LBB889_119:
	s_or_b64 exec, exec, s[2:3]
	s_movk_i32 s2, 0xff
	v_and_b32_sdwa v52, v38, s2 dst_sel:DWORD dst_unused:UNUSED_PAD src0_sel:WORD_1 src1_sel:DWORD
	v_lshrrev_b32_e32 v42, 16, v38
	v_cmp_ne_u16_e32 vcc, 0, v52
	v_mov_b32_e32 v45, 0
	v_mov_b32_e32 v51, 0
	s_and_saveexec_b64 s[2:3], vcc
	s_cbranch_execz .LBB889_125
; %bb.120:
	s_movk_i32 s8, 0x80
	v_cmp_ne_u16_e32 vcc, s8, v52
	v_mov_b32_e32 v51, 0xffff8000
	s_and_saveexec_b64 s[8:9], vcc
	s_cbranch_execz .LBB889_124
; %bb.121:
	v_bfe_u32 v52, v38, 16, 7
	s_movk_i32 s10, 0x7f
	v_cmp_ne_u32_e32 vcc, s10, v52
	v_mov_b32_e32 v51, 0x7f80
	s_and_saveexec_b64 s[10:11], vcc
	s_cbranch_execz .LBB889_123
; %bb.122:
	v_and_b32_e32 v51, 7, v42
	v_ffbh_u32_e32 v54, v51
	v_min_u32_e32 v56, 32, v54
	v_subrev_u32_e32 v54, 28, v56
	v_lshlrev_b64 v[54:55], v54, v[42:43]
	v_lshrrev_b32_e32 v53, 3, v52
	v_sub_u32_e32 v42, 29, v56
	v_and_b32_e32 v54, 7, v54
	v_cmp_gt_u32_e32 vcc, 8, v52
	v_mov_b32_e32 v52, 24
	v_cndmask_b32_e32 v42, v53, v42, vcc
	v_cndmask_b32_e32 v51, v51, v54, vcc
	v_lshlrev_b32_sdwa v52, v52, v38 dst_sel:DWORD dst_unused:UNUSED_PAD src0_sel:DWORD src1_sel:WORD_1
	v_bfrev_b32_e32 v53, 60
	v_lshlrev_b32_e32 v51, 20, v51
	v_and_b32_e32 v52, 0x80000000, v52
	v_lshl_add_u32 v42, v42, 23, v53
	v_or3_b32 v42, v52, v42, v51
	v_lshrrev_b32_e32 v51, 16, v42
.LBB889_123:
	s_or_b64 exec, exec, s[10:11]
.LBB889_124:
	s_or_b64 exec, exec, s[8:9]
.LBB889_125:
	s_or_b64 exec, exec, s[2:3]
	s_mov_b32 s2, 0xffffff
	v_cmp_lt_u32_e32 vcc, s2, v38
	s_and_saveexec_b64 s[2:3], vcc
	s_cbranch_execz .LBB889_131
; %bb.126:
	v_lshrrev_b32_e32 v42, 24, v38
	s_movk_i32 s8, 0x80
	v_cmp_ne_u32_e32 vcc, s8, v42
	v_mov_b32_e32 v45, 0xffff8000
	s_and_saveexec_b64 s[8:9], vcc
	s_cbranch_execz .LBB889_130
; %bb.127:
	v_bfe_u32 v38, v38, 24, 7
	s_movk_i32 s10, 0x7f
	v_cmp_ne_u32_e32 vcc, s10, v38
	v_mov_b32_e32 v45, 0x7f80
	s_and_saveexec_b64 s[10:11], vcc
	s_cbranch_execz .LBB889_129
; %bb.128:
	v_and_b32_e32 v45, 7, v42
	v_ffbh_u32_e32 v52, v45
	v_min_u32_e32 v55, 32, v52
	v_subrev_u32_e32 v52, 28, v55
	v_lshlrev_b64 v[52:53], v52, v[42:43]
	v_lshrrev_b32_e32 v54, 3, v38
	v_sub_u32_e32 v53, 29, v55
	v_and_b32_e32 v52, 7, v52
	v_cmp_gt_u32_e32 vcc, 8, v38
	v_cndmask_b32_e32 v38, v54, v53, vcc
	v_cndmask_b32_e32 v45, v45, v52, vcc
	v_lshlrev_b32_e32 v42, 24, v42
	v_bfrev_b32_e32 v52, 60
	v_lshlrev_b32_e32 v45, 20, v45
	v_and_b32_e32 v42, 0x80000000, v42
	v_lshl_add_u32 v38, v38, 23, v52
	v_or3_b32 v38, v42, v38, v45
	v_lshrrev_b32_e32 v45, 16, v38
.LBB889_129:
	s_or_b64 exec, exec, s[10:11]
.LBB889_130:
	s_or_b64 exec, exec, s[8:9]
.LBB889_131:
	s_or_b64 exec, exec, s[2:3]
	v_mov_b32_e32 v42, 0
	v_cmp_ne_u16_sdwa s[8:9], v39, v42 src0_sel:BYTE_0 src1_sel:DWORD
	v_mov_b32_e32 v52, 0
	s_and_saveexec_b64 s[2:3], s[8:9]
	s_cbranch_execz .LBB889_137
; %bb.132:
	s_movk_i32 s8, 0x80
	v_cmp_ne_u16_sdwa s[10:11], v39, s8 src0_sel:BYTE_0 src1_sel:DWORD
	v_mov_b32_e32 v52, 0xffff8000
	s_and_saveexec_b64 s[8:9], s[10:11]
	s_cbranch_execz .LBB889_136
; %bb.133:
	s_movk_i32 s10, 0x7f
	v_and_b32_e32 v38, 0x7f, v39
	v_cmp_ne_u32_e32 vcc, s10, v38
	v_mov_b32_e32 v52, 0x7f80
	s_and_saveexec_b64 s[10:11], vcc
	s_cbranch_execz .LBB889_135
; %bb.134:
	v_and_b32_e32 v54, 7, v39
	v_ffbh_u32_e32 v53, v54
	v_min_u32_e32 v56, 32, v53
	v_mov_b32_e32 v52, v39
	v_subrev_u32_e32 v53, 28, v56
	v_lshlrev_b64 v[52:53], v53, v[52:53]
	v_lshrrev_b32_e32 v55, 3, v38
	v_sub_u32_e32 v53, 29, v56
	v_and_b32_e32 v52, 7, v52
	v_cmp_gt_u32_e32 vcc, 8, v38
	v_cndmask_b32_e32 v38, v55, v53, vcc
	v_cndmask_b32_e32 v52, v54, v52, vcc
	v_lshlrev_b32_e32 v53, 24, v39
	v_bfrev_b32_e32 v54, 60
	v_lshlrev_b32_e32 v52, 20, v52
	v_and_b32_e32 v53, 0x80000000, v53
	v_lshl_add_u32 v38, v38, 23, v54
	v_or3_b32 v38, v53, v38, v52
	v_lshrrev_b32_e32 v52, 16, v38
.LBB889_135:
	s_or_b64 exec, exec, s[10:11]
.LBB889_136:
	s_or_b64 exec, exec, s[8:9]
.LBB889_137:
	s_or_b64 exec, exec, s[2:3]
	v_lshrrev_b16_e32 v38, 8, v39
	v_cmp_ne_u16_e32 vcc, 0, v38
	s_and_saveexec_b64 s[2:3], vcc
	s_cbranch_execz .LBB889_143
; %bb.138:
	s_movk_i32 s8, 0x80
	v_cmp_ne_u16_e32 vcc, s8, v38
	v_mov_b32_e32 v42, 0xffff8000
	s_and_saveexec_b64 s[8:9], vcc
	s_cbranch_execz .LBB889_142
; %bb.139:
	s_movk_i32 s10, 0x7f
	v_and_b32_e32 v53, 0x7f, v38
	v_cmp_ne_u32_e32 vcc, s10, v53
	v_mov_b32_e32 v42, 0x7f80
	s_and_saveexec_b64 s[10:11], vcc
	s_cbranch_execz .LBB889_141
; %bb.140:
	v_and_b32_e32 v42, 7, v38
	v_ffbh_u32_e32 v54, v42
	v_min_u32_e32 v57, 32, v54
	v_subrev_u32_e32 v54, 28, v57
	v_lshlrev_b64 v[54:55], v54, v[38:39]
	v_lshrrev_b32_e32 v56, 3, v53
	v_sub_u32_e32 v38, 29, v57
	v_and_b32_e32 v54, 7, v54
	v_cmp_gt_u32_e32 vcc, 8, v53
	v_cndmask_b32_e32 v38, v56, v38, vcc
	v_cndmask_b32_e32 v42, v42, v54, vcc
	v_lshlrev_b32_e32 v53, 16, v39
	v_bfrev_b32_e32 v54, 60
	v_lshlrev_b32_e32 v42, 20, v42
	v_and_b32_e32 v53, 0x80000000, v53
	v_lshl_add_u32 v38, v38, 23, v54
	v_or3_b32 v38, v53, v38, v42
	v_lshrrev_b32_e32 v42, 16, v38
.LBB889_141:
	s_or_b64 exec, exec, s[10:11]
.LBB889_142:
	s_or_b64 exec, exec, s[8:9]
.LBB889_143:
	s_or_b64 exec, exec, s[2:3]
	s_movk_i32 s2, 0xff
	v_and_b32_sdwa v55, v39, s2 dst_sel:DWORD dst_unused:UNUSED_PAD src0_sel:WORD_1 src1_sel:DWORD
	v_lshrrev_b32_e32 v38, 16, v39
	v_cmp_ne_u16_e32 vcc, 0, v55
	v_mov_b32_e32 v53, 0
	v_mov_b32_e32 v54, 0
	s_and_saveexec_b64 s[2:3], vcc
	s_cbranch_execz .LBB889_149
; %bb.144:
	s_movk_i32 s8, 0x80
	v_cmp_ne_u16_e32 vcc, s8, v55
	v_mov_b32_e32 v54, 0xffff8000
	s_and_saveexec_b64 s[8:9], vcc
	s_cbranch_execz .LBB889_148
; %bb.145:
	v_bfe_u32 v55, v39, 16, 7
	s_movk_i32 s10, 0x7f
	v_cmp_ne_u32_e32 vcc, s10, v55
	v_mov_b32_e32 v54, 0x7f80
	s_and_saveexec_b64 s[10:11], vcc
	s_cbranch_execz .LBB889_147
; %bb.146:
	v_and_b32_e32 v54, 7, v38
	v_ffbh_u32_e32 v56, v54
	v_min_u32_e32 v59, 32, v56
	v_subrev_u32_e32 v56, 28, v59
	v_lshlrev_b64 v[56:57], v56, v[38:39]
	v_lshrrev_b32_e32 v58, 3, v55
	v_sub_u32_e32 v38, 29, v59
	v_and_b32_e32 v56, 7, v56
	v_cmp_gt_u32_e32 vcc, 8, v55
	v_mov_b32_e32 v55, 24
	v_cndmask_b32_e32 v38, v58, v38, vcc
	v_cndmask_b32_e32 v54, v54, v56, vcc
	v_lshlrev_b32_sdwa v55, v55, v39 dst_sel:DWORD dst_unused:UNUSED_PAD src0_sel:DWORD src1_sel:WORD_1
	v_bfrev_b32_e32 v56, 60
	v_lshlrev_b32_e32 v54, 20, v54
	v_and_b32_e32 v55, 0x80000000, v55
	v_lshl_add_u32 v38, v38, 23, v56
	v_or3_b32 v38, v55, v38, v54
	v_lshrrev_b32_e32 v54, 16, v38
.LBB889_147:
	s_or_b64 exec, exec, s[10:11]
.LBB889_148:
	s_or_b64 exec, exec, s[8:9]
.LBB889_149:
	s_or_b64 exec, exec, s[2:3]
	s_mov_b32 s2, 0xffffff
	v_cmp_lt_u32_e32 vcc, s2, v39
	s_and_saveexec_b64 s[2:3], vcc
	s_cbranch_execz .LBB889_155
; %bb.150:
	v_lshrrev_b32_e32 v38, 24, v39
	s_movk_i32 s8, 0x80
	v_cmp_ne_u32_e32 vcc, s8, v38
	v_mov_b32_e32 v53, 0xffff8000
	s_and_saveexec_b64 s[8:9], vcc
	s_cbranch_execz .LBB889_154
; %bb.151:
	v_bfe_u32 v39, v39, 24, 7
	s_movk_i32 s10, 0x7f
	v_cmp_ne_u32_e32 vcc, s10, v39
	v_mov_b32_e32 v53, 0x7f80
	s_and_saveexec_b64 s[10:11], vcc
	s_cbranch_execz .LBB889_153
; %bb.152:
	v_and_b32_e32 v53, 7, v38
	v_ffbh_u32_e32 v56, v53
	v_min_u32_e32 v58, 32, v56
	v_subrev_u32_e32 v56, 28, v58
	v_lshlrev_b64 v[56:57], v56, v[38:39]
	v_lshrrev_b32_e32 v55, 3, v39
	v_sub_u32_e32 v57, 29, v58
	v_and_b32_e32 v56, 7, v56
	v_cmp_gt_u32_e32 vcc, 8, v39
	v_cndmask_b32_e32 v39, v55, v57, vcc
	v_cndmask_b32_e32 v53, v53, v56, vcc
	v_lshlrev_b32_e32 v38, 24, v38
	v_bfrev_b32_e32 v55, 60
	v_lshlrev_b32_e32 v53, 20, v53
	v_and_b32_e32 v38, 0x80000000, v38
	v_lshl_add_u32 v39, v39, 23, v55
	v_or3_b32 v38, v38, v39, v53
	v_lshrrev_b32_e32 v53, 16, v38
.LBB889_153:
	s_or_b64 exec, exec, s[10:11]
.LBB889_154:
	s_or_b64 exec, exec, s[8:9]
.LBB889_155:
	s_or_b64 exec, exec, s[2:3]
	s_mov_b32 s2, 0x5040100
	v_perm_b32 v39, v45, v51, s2
	v_perm_b32 v38, v43, v44, s2
	;; [unrolled: 1-line block ×4, first 2 shown]
	v_mov_b32_e32 v51, 0
	v_mfma_f32_16x16x16bf16_1k v[56:59], v[38:39], v[26:27], 0
	v_mov_b32_e32 v39, 0
	v_cmp_ne_u16_sdwa s[8:9], v40, v39 src0_sel:BYTE_0 src1_sel:DWORD
	v_mfma_f32_16x16x16bf16_1k v[42:45], v[42:43], v[28:29], v[56:59]
	s_and_saveexec_b64 s[2:3], s[8:9]
	s_cbranch_execz .LBB889_161
; %bb.156:
	s_movk_i32 s8, 0x80
	v_cmp_ne_u16_sdwa s[10:11], v40, s8 src0_sel:BYTE_0 src1_sel:DWORD
	v_mov_b32_e32 v51, 0xffff8000
	s_and_saveexec_b64 s[8:9], s[10:11]
	s_cbranch_execz .LBB889_160
; %bb.157:
	s_movk_i32 s10, 0x7f
	v_and_b32_e32 v38, 0x7f, v40
	v_cmp_ne_u32_e32 vcc, s10, v38
	v_mov_b32_e32 v51, 0x7f80
	s_and_saveexec_b64 s[10:11], vcc
	s_cbranch_execz .LBB889_159
; %bb.158:
	v_and_b32_e32 v51, 7, v40
	v_ffbh_u32_e32 v52, v51
	v_min_u32_e32 v55, 32, v52
	v_subrev_u32_e32 v52, 28, v55
	v_lshlrev_b64 v[52:53], v52, v[40:41]
	v_lshrrev_b32_e32 v54, 3, v38
	v_sub_u32_e32 v53, 29, v55
	v_and_b32_e32 v52, 7, v52
	v_cmp_gt_u32_e32 vcc, 8, v38
	v_cndmask_b32_e32 v38, v54, v53, vcc
	v_cndmask_b32_e32 v51, v51, v52, vcc
	v_lshlrev_b32_e32 v52, 24, v40
	v_bfrev_b32_e32 v53, 60
	v_lshlrev_b32_e32 v51, 20, v51
	v_and_b32_e32 v52, 0x80000000, v52
	v_lshl_add_u32 v38, v38, 23, v53
	v_or3_b32 v38, v52, v38, v51
	v_lshrrev_b32_e32 v51, 16, v38
.LBB889_159:
	s_or_b64 exec, exec, s[10:11]
.LBB889_160:
	s_or_b64 exec, exec, s[8:9]
.LBB889_161:
	s_or_b64 exec, exec, s[2:3]
	v_lshrrev_b16_e32 v38, 8, v40
	v_cmp_ne_u16_e32 vcc, 0, v38
	s_and_saveexec_b64 s[2:3], vcc
	s_cbranch_execz .LBB889_167
; %bb.162:
	s_movk_i32 s8, 0x80
	v_cmp_ne_u16_e32 vcc, s8, v38
	v_mov_b32_e32 v39, 0xffff8000
	s_and_saveexec_b64 s[8:9], vcc
	s_cbranch_execz .LBB889_166
; %bb.163:
	s_movk_i32 s10, 0x7f
	v_and_b32_e32 v52, 0x7f, v38
	v_cmp_ne_u32_e32 vcc, s10, v52
	v_mov_b32_e32 v39, 0x7f80
	s_and_saveexec_b64 s[10:11], vcc
	s_cbranch_execz .LBB889_165
; %bb.164:
	v_and_b32_e32 v53, 7, v38
	v_ffbh_u32_e32 v39, v53
	v_min_u32_e32 v55, 32, v39
	v_subrev_u32_e32 v39, 28, v55
	v_lshlrev_b64 v[38:39], v39, v[38:39]
	v_lshrrev_b32_e32 v54, 3, v52
	v_sub_u32_e32 v39, 29, v55
	v_and_b32_e32 v38, 7, v38
	v_cmp_gt_u32_e32 vcc, 8, v52
	v_cndmask_b32_e32 v39, v54, v39, vcc
	v_cndmask_b32_e32 v38, v53, v38, vcc
	v_lshlrev_b32_e32 v52, 16, v40
	v_bfrev_b32_e32 v53, 60
	v_lshlrev_b32_e32 v38, 20, v38
	v_and_b32_e32 v52, 0x80000000, v52
	v_lshl_add_u32 v39, v39, 23, v53
	v_or3_b32 v38, v52, v39, v38
	v_lshrrev_b32_e32 v39, 16, v38
.LBB889_165:
	s_or_b64 exec, exec, s[10:11]
.LBB889_166:
	s_or_b64 exec, exec, s[8:9]
.LBB889_167:
	s_or_b64 exec, exec, s[2:3]
	s_movk_i32 s2, 0xff
	v_and_b32_sdwa v54, v40, s2 dst_sel:DWORD dst_unused:UNUSED_PAD src0_sel:WORD_1 src1_sel:DWORD
	v_lshrrev_b32_e32 v38, 16, v40
	v_cmp_ne_u16_e32 vcc, 0, v54
	v_mov_b32_e32 v52, 0
	v_mov_b32_e32 v53, 0
	s_and_saveexec_b64 s[2:3], vcc
	s_cbranch_execz .LBB889_173
; %bb.168:
	s_movk_i32 s8, 0x80
	v_cmp_ne_u16_e32 vcc, s8, v54
	v_mov_b32_e32 v53, 0xffff8000
	s_and_saveexec_b64 s[8:9], vcc
	s_cbranch_execz .LBB889_172
; %bb.169:
	v_bfe_u32 v54, v40, 16, 7
	s_movk_i32 s10, 0x7f
	v_cmp_ne_u32_e32 vcc, s10, v54
	v_mov_b32_e32 v53, 0x7f80
	s_and_saveexec_b64 s[10:11], vcc
	s_cbranch_execz .LBB889_171
; %bb.170:
	v_and_b32_e32 v53, 7, v38
	v_ffbh_u32_e32 v56, v53
	v_min_u32_e32 v58, 32, v56
	v_subrev_u32_e32 v56, 28, v58
	v_lshlrev_b64 v[56:57], v56, v[38:39]
	v_lshrrev_b32_e32 v55, 3, v54
	v_sub_u32_e32 v38, 29, v58
	v_and_b32_e32 v56, 7, v56
	v_cmp_gt_u32_e32 vcc, 8, v54
	v_mov_b32_e32 v54, 24
	v_cndmask_b32_e32 v38, v55, v38, vcc
	v_cndmask_b32_e32 v53, v53, v56, vcc
	v_lshlrev_b32_sdwa v54, v54, v40 dst_sel:DWORD dst_unused:UNUSED_PAD src0_sel:DWORD src1_sel:WORD_1
	v_bfrev_b32_e32 v55, 60
	v_lshlrev_b32_e32 v53, 20, v53
	v_and_b32_e32 v54, 0x80000000, v54
	v_lshl_add_u32 v38, v38, 23, v55
	v_or3_b32 v38, v54, v38, v53
	v_lshrrev_b32_e32 v53, 16, v38
.LBB889_171:
	s_or_b64 exec, exec, s[10:11]
.LBB889_172:
	s_or_b64 exec, exec, s[8:9]
.LBB889_173:
	s_or_b64 exec, exec, s[2:3]
	s_mov_b32 s2, 0xffffff
	v_cmp_lt_u32_e32 vcc, s2, v40
	s_and_saveexec_b64 s[2:3], vcc
	s_cbranch_execz .LBB889_179
; %bb.174:
	v_lshrrev_b32_e32 v38, 24, v40
	s_movk_i32 s8, 0x80
	v_cmp_ne_u32_e32 vcc, s8, v38
	v_mov_b32_e32 v52, 0xffff8000
	s_and_saveexec_b64 s[8:9], vcc
	s_cbranch_execz .LBB889_178
; %bb.175:
	v_bfe_u32 v40, v40, 24, 7
	s_movk_i32 s10, 0x7f
	v_cmp_ne_u32_e32 vcc, s10, v40
	v_mov_b32_e32 v52, 0x7f80
	s_and_saveexec_b64 s[10:11], vcc
	s_cbranch_execz .LBB889_177
; %bb.176:
	v_and_b32_e32 v52, 7, v38
	v_ffbh_u32_e32 v54, v52
	v_min_u32_e32 v57, 32, v54
	v_subrev_u32_e32 v54, 28, v57
	v_lshlrev_b64 v[54:55], v54, v[38:39]
	v_lshrrev_b32_e32 v56, 3, v40
	v_sub_u32_e32 v55, 29, v57
	v_and_b32_e32 v54, 7, v54
	v_cmp_gt_u32_e32 vcc, 8, v40
	v_cndmask_b32_e32 v40, v56, v55, vcc
	v_cndmask_b32_e32 v52, v52, v54, vcc
	v_lshlrev_b32_e32 v38, 24, v38
	v_bfrev_b32_e32 v54, 60
	v_lshlrev_b32_e32 v52, 20, v52
	v_and_b32_e32 v38, 0x80000000, v38
	v_lshl_add_u32 v40, v40, 23, v54
	v_or3_b32 v38, v38, v40, v52
	v_lshrrev_b32_e32 v52, 16, v38
.LBB889_177:
	s_or_b64 exec, exec, s[10:11]
.LBB889_178:
	s_or_b64 exec, exec, s[8:9]
.LBB889_179:
	s_or_b64 exec, exec, s[2:3]
	v_mov_b32_e32 v40, 0
	v_cmp_ne_u16_sdwa s[8:9], v41, v40 src0_sel:BYTE_0 src1_sel:DWORD
	v_mov_b32_e32 v54, 0
	s_and_saveexec_b64 s[2:3], s[8:9]
	s_cbranch_execz .LBB889_185
; %bb.180:
	s_movk_i32 s8, 0x80
	v_cmp_ne_u16_sdwa s[10:11], v41, s8 src0_sel:BYTE_0 src1_sel:DWORD
	v_mov_b32_e32 v54, 0xffff8000
	s_and_saveexec_b64 s[8:9], s[10:11]
	s_cbranch_execz .LBB889_184
; %bb.181:
	s_movk_i32 s10, 0x7f
	v_and_b32_e32 v38, 0x7f, v41
	v_cmp_ne_u32_e32 vcc, s10, v38
	v_mov_b32_e32 v54, 0x7f80
	s_and_saveexec_b64 s[10:11], vcc
	s_cbranch_execz .LBB889_183
; %bb.182:
	v_and_b32_e32 v56, 7, v41
	v_ffbh_u32_e32 v55, v56
	v_min_u32_e32 v58, 32, v55
	v_mov_b32_e32 v54, v41
	v_subrev_u32_e32 v55, 28, v58
	v_lshlrev_b64 v[54:55], v55, v[54:55]
	v_lshrrev_b32_e32 v57, 3, v38
	v_sub_u32_e32 v55, 29, v58
	v_and_b32_e32 v54, 7, v54
	v_cmp_gt_u32_e32 vcc, 8, v38
	v_cndmask_b32_e32 v38, v57, v55, vcc
	v_cndmask_b32_e32 v54, v56, v54, vcc
	v_lshlrev_b32_e32 v55, 24, v41
	v_bfrev_b32_e32 v56, 60
	v_lshlrev_b32_e32 v54, 20, v54
	v_and_b32_e32 v55, 0x80000000, v55
	v_lshl_add_u32 v38, v38, 23, v56
	v_or3_b32 v38, v55, v38, v54
	v_lshrrev_b32_e32 v54, 16, v38
.LBB889_183:
	s_or_b64 exec, exec, s[10:11]
.LBB889_184:
	s_or_b64 exec, exec, s[8:9]
.LBB889_185:
	s_or_b64 exec, exec, s[2:3]
	v_lshrrev_b16_e32 v38, 8, v41
	v_cmp_ne_u16_e32 vcc, 0, v38
	s_and_saveexec_b64 s[2:3], vcc
	s_cbranch_execz .LBB889_191
; %bb.186:
	s_movk_i32 s8, 0x80
	v_cmp_ne_u16_e32 vcc, s8, v38
	v_mov_b32_e32 v40, 0xffff8000
	s_and_saveexec_b64 s[8:9], vcc
	s_cbranch_execz .LBB889_190
; %bb.187:
	s_movk_i32 s10, 0x7f
	v_and_b32_e32 v55, 0x7f, v38
	v_cmp_ne_u32_e32 vcc, s10, v55
	v_mov_b32_e32 v40, 0x7f80
	s_and_saveexec_b64 s[10:11], vcc
	s_cbranch_execz .LBB889_189
; %bb.188:
	v_and_b32_e32 v40, 7, v38
	v_ffbh_u32_e32 v56, v40
	v_min_u32_e32 v59, 32, v56
	v_subrev_u32_e32 v56, 28, v59
	v_lshlrev_b64 v[56:57], v56, v[38:39]
	v_lshrrev_b32_e32 v58, 3, v55
	v_sub_u32_e32 v38, 29, v59
	v_and_b32_e32 v56, 7, v56
	v_cmp_gt_u32_e32 vcc, 8, v55
	v_cndmask_b32_e32 v38, v58, v38, vcc
	v_cndmask_b32_e32 v40, v40, v56, vcc
	v_lshlrev_b32_e32 v55, 16, v41
	v_bfrev_b32_e32 v56, 60
	v_lshlrev_b32_e32 v40, 20, v40
	v_and_b32_e32 v55, 0x80000000, v55
	v_lshl_add_u32 v38, v38, 23, v56
	v_or3_b32 v38, v55, v38, v40
	v_lshrrev_b32_e32 v40, 16, v38
.LBB889_189:
	s_or_b64 exec, exec, s[10:11]
.LBB889_190:
	s_or_b64 exec, exec, s[8:9]
.LBB889_191:
	s_or_b64 exec, exec, s[2:3]
	s_movk_i32 s2, 0xff
	v_and_b32_sdwa v57, v41, s2 dst_sel:DWORD dst_unused:UNUSED_PAD src0_sel:WORD_1 src1_sel:DWORD
	v_lshrrev_b32_e32 v38, 16, v41
	v_cmp_ne_u16_e32 vcc, 0, v57
	v_mov_b32_e32 v55, 0
	v_mov_b32_e32 v56, 0
	s_and_saveexec_b64 s[2:3], vcc
	s_cbranch_execz .LBB889_197
; %bb.192:
	s_movk_i32 s8, 0x80
	v_cmp_ne_u16_e32 vcc, s8, v57
	v_mov_b32_e32 v56, 0xffff8000
	s_and_saveexec_b64 s[8:9], vcc
	s_cbranch_execz .LBB889_196
; %bb.193:
	v_bfe_u32 v57, v41, 16, 7
	s_movk_i32 s10, 0x7f
	v_cmp_ne_u32_e32 vcc, s10, v57
	v_mov_b32_e32 v56, 0x7f80
	s_and_saveexec_b64 s[10:11], vcc
	s_cbranch_execz .LBB889_195
; %bb.194:
	v_and_b32_e32 v56, 7, v38
	v_ffbh_u32_e32 v58, v56
	v_min_u32_e32 v61, 32, v58
	v_subrev_u32_e32 v58, 28, v61
	v_lshlrev_b64 v[58:59], v58, v[38:39]
	v_lshrrev_b32_e32 v60, 3, v57
	v_sub_u32_e32 v38, 29, v61
	v_and_b32_e32 v58, 7, v58
	v_cmp_gt_u32_e32 vcc, 8, v57
	v_mov_b32_e32 v57, 24
	v_cndmask_b32_e32 v38, v60, v38, vcc
	v_cndmask_b32_e32 v56, v56, v58, vcc
	v_lshlrev_b32_sdwa v57, v57, v41 dst_sel:DWORD dst_unused:UNUSED_PAD src0_sel:DWORD src1_sel:WORD_1
	v_bfrev_b32_e32 v58, 60
	v_lshlrev_b32_e32 v56, 20, v56
	v_and_b32_e32 v57, 0x80000000, v57
	v_lshl_add_u32 v38, v38, 23, v58
	v_or3_b32 v38, v57, v38, v56
	v_lshrrev_b32_e32 v56, 16, v38
.LBB889_195:
	s_or_b64 exec, exec, s[10:11]
.LBB889_196:
	s_or_b64 exec, exec, s[8:9]
.LBB889_197:
	s_or_b64 exec, exec, s[2:3]
	s_mov_b32 s2, 0xffffff
	v_cmp_lt_u32_e32 vcc, s2, v41
	s_and_saveexec_b64 s[2:3], vcc
	s_cbranch_execz .LBB889_203
; %bb.198:
	v_lshrrev_b32_e32 v38, 24, v41
	s_movk_i32 s8, 0x80
	v_cmp_ne_u32_e32 vcc, s8, v38
	v_mov_b32_e32 v55, 0xffff8000
	s_and_saveexec_b64 s[8:9], vcc
	s_cbranch_execz .LBB889_202
; %bb.199:
	v_bfe_u32 v41, v41, 24, 7
	s_movk_i32 s10, 0x7f
	v_cmp_ne_u32_e32 vcc, s10, v41
	v_mov_b32_e32 v55, 0x7f80
	s_and_saveexec_b64 s[10:11], vcc
	s_cbranch_execz .LBB889_201
; %bb.200:
	v_and_b32_e32 v55, 7, v38
	v_ffbh_u32_e32 v58, v55
	v_min_u32_e32 v60, 32, v58
	v_subrev_u32_e32 v58, 28, v60
	v_lshlrev_b64 v[58:59], v58, v[38:39]
	v_lshrrev_b32_e32 v57, 3, v41
	v_sub_u32_e32 v59, 29, v60
	v_and_b32_e32 v58, 7, v58
	v_cmp_gt_u32_e32 vcc, 8, v41
	v_cndmask_b32_e32 v41, v57, v59, vcc
	v_cndmask_b32_e32 v55, v55, v58, vcc
	v_lshlrev_b32_e32 v38, 24, v38
	v_bfrev_b32_e32 v57, 60
	v_lshlrev_b32_e32 v55, 20, v55
	v_and_b32_e32 v38, 0x80000000, v38
	v_lshl_add_u32 v41, v41, 23, v57
	v_or3_b32 v38, v38, v41, v55
	v_lshrrev_b32_e32 v55, 16, v38
.LBB889_201:
	s_or_b64 exec, exec, s[10:11]
.LBB889_202:
	s_or_b64 exec, exec, s[8:9]
.LBB889_203:
	s_or_b64 exec, exec, s[2:3]
	s_mov_b32 s2, 0x5040100
	v_perm_b32 v53, v52, v53, s2
	v_perm_b32 v52, v39, v51, s2
	v_perm_b32 v39, v55, v56, s2
	v_perm_b32 v38, v40, v54, s2
	v_mfma_f32_16x16x16bf16_1k v[58:61], v[52:53], v[18:19], v[42:45]
	s_nop 6
	v_mov_b32_e32 v43, 0
	s_waitcnt vmcnt(5)
	v_cmp_ne_u16_sdwa s[8:9], v34, v43 src0_sel:BYTE_0 src1_sel:DWORD
	v_mfma_f32_16x16x16bf16_1k v[38:41], v[38:39], v[20:21], v[58:61]
	v_mov_b32_e32 v44, 0
	s_and_saveexec_b64 s[2:3], s[8:9]
	s_cbranch_execz .LBB889_209
; %bb.204:
	s_movk_i32 s8, 0x80
	v_cmp_ne_u16_sdwa s[10:11], v34, s8 src0_sel:BYTE_0 src1_sel:DWORD
	v_mov_b32_e32 v44, 0xffff8000
	s_and_saveexec_b64 s[8:9], s[10:11]
	s_cbranch_execz .LBB889_208
; %bb.205:
	s_movk_i32 s10, 0x7f
	v_and_b32_e32 v42, 0x7f, v34
	v_cmp_ne_u32_e32 vcc, s10, v42
	v_mov_b32_e32 v44, 0x7f80
	s_and_saveexec_b64 s[10:11], vcc
	s_cbranch_execz .LBB889_207
; %bb.206:
	v_and_b32_e32 v51, 7, v34
	v_ffbh_u32_e32 v44, v51
	v_min_u32_e32 v53, 32, v44
	v_subrev_u32_e32 v44, 28, v53
	v_lshlrev_b64 v[44:45], v44, v[34:35]
	v_lshrrev_b32_e32 v52, 3, v42
	v_sub_u32_e32 v45, 29, v53
	v_and_b32_e32 v44, 7, v44
	v_cmp_gt_u32_e32 vcc, 8, v42
	v_cndmask_b32_e32 v42, v52, v45, vcc
	v_cndmask_b32_e32 v44, v51, v44, vcc
	v_lshlrev_b32_e32 v45, 24, v34
	v_bfrev_b32_e32 v51, 60
	v_lshlrev_b32_e32 v44, 20, v44
	v_and_b32_e32 v45, 0x80000000, v45
	v_lshl_add_u32 v42, v42, 23, v51
	v_or3_b32 v42, v45, v42, v44
	v_lshrrev_b32_e32 v44, 16, v42
.LBB889_207:
	s_or_b64 exec, exec, s[10:11]
.LBB889_208:
	s_or_b64 exec, exec, s[8:9]
.LBB889_209:
	s_or_b64 exec, exec, s[2:3]
	v_lshrrev_b16_e32 v42, 8, v34
	v_cmp_ne_u16_e32 vcc, 0, v42
	s_and_saveexec_b64 s[2:3], vcc
	s_cbranch_execz .LBB889_215
; %bb.210:
	s_movk_i32 s8, 0x80
	v_cmp_ne_u16_e32 vcc, s8, v42
	v_mov_b32_e32 v43, 0xffff8000
	s_and_saveexec_b64 s[8:9], vcc
	s_cbranch_execz .LBB889_214
; %bb.211:
	s_movk_i32 s10, 0x7f
	v_and_b32_e32 v45, 0x7f, v42
	v_cmp_ne_u32_e32 vcc, s10, v45
	v_mov_b32_e32 v43, 0x7f80
	s_and_saveexec_b64 s[10:11], vcc
	s_cbranch_execz .LBB889_213
; %bb.212:
	v_and_b32_e32 v51, 7, v42
	v_ffbh_u32_e32 v43, v51
	v_min_u32_e32 v53, 32, v43
	v_subrev_u32_e32 v43, 28, v53
	v_lshlrev_b64 v[42:43], v43, v[42:43]
	v_lshrrev_b32_e32 v52, 3, v45
	v_sub_u32_e32 v43, 29, v53
	v_and_b32_e32 v42, 7, v42
	v_cmp_gt_u32_e32 vcc, 8, v45
	v_cndmask_b32_e32 v43, v52, v43, vcc
	v_cndmask_b32_e32 v42, v51, v42, vcc
	v_lshlrev_b32_e32 v45, 16, v34
	v_bfrev_b32_e32 v51, 60
	v_lshlrev_b32_e32 v42, 20, v42
	v_and_b32_e32 v45, 0x80000000, v45
	v_lshl_add_u32 v43, v43, 23, v51
	v_or3_b32 v42, v45, v43, v42
	v_lshrrev_b32_e32 v43, 16, v42
.LBB889_213:
	s_or_b64 exec, exec, s[10:11]
.LBB889_214:
	s_or_b64 exec, exec, s[8:9]
.LBB889_215:
	s_or_b64 exec, exec, s[2:3]
	s_movk_i32 s2, 0xff
	v_and_b32_sdwa v52, v34, s2 dst_sel:DWORD dst_unused:UNUSED_PAD src0_sel:WORD_1 src1_sel:DWORD
	v_lshrrev_b32_e32 v42, 16, v34
	v_cmp_ne_u16_e32 vcc, 0, v52
	v_mov_b32_e32 v45, 0
	v_mov_b32_e32 v51, 0
	s_and_saveexec_b64 s[2:3], vcc
	s_cbranch_execz .LBB889_221
; %bb.216:
	s_movk_i32 s8, 0x80
	v_cmp_ne_u16_e32 vcc, s8, v52
	v_mov_b32_e32 v51, 0xffff8000
	s_and_saveexec_b64 s[8:9], vcc
	s_cbranch_execz .LBB889_220
; %bb.217:
	v_bfe_u32 v52, v34, 16, 7
	s_movk_i32 s10, 0x7f
	v_cmp_ne_u32_e32 vcc, s10, v52
	v_mov_b32_e32 v51, 0x7f80
	s_and_saveexec_b64 s[10:11], vcc
	s_cbranch_execz .LBB889_219
; %bb.218:
	v_and_b32_e32 v51, 7, v42
	v_ffbh_u32_e32 v54, v51
	v_min_u32_e32 v56, 32, v54
	v_subrev_u32_e32 v54, 28, v56
	v_lshlrev_b64 v[54:55], v54, v[42:43]
	v_lshrrev_b32_e32 v53, 3, v52
	v_sub_u32_e32 v42, 29, v56
	v_and_b32_e32 v54, 7, v54
	v_cmp_gt_u32_e32 vcc, 8, v52
	v_mov_b32_e32 v52, 24
	v_cndmask_b32_e32 v42, v53, v42, vcc
	v_cndmask_b32_e32 v51, v51, v54, vcc
	v_lshlrev_b32_sdwa v52, v52, v34 dst_sel:DWORD dst_unused:UNUSED_PAD src0_sel:DWORD src1_sel:WORD_1
	v_bfrev_b32_e32 v53, 60
	v_lshlrev_b32_e32 v51, 20, v51
	v_and_b32_e32 v52, 0x80000000, v52
	v_lshl_add_u32 v42, v42, 23, v53
	v_or3_b32 v42, v52, v42, v51
	v_lshrrev_b32_e32 v51, 16, v42
.LBB889_219:
	s_or_b64 exec, exec, s[10:11]
.LBB889_220:
	s_or_b64 exec, exec, s[8:9]
.LBB889_221:
	s_or_b64 exec, exec, s[2:3]
	s_mov_b32 s2, 0xffffff
	v_cmp_lt_u32_e32 vcc, s2, v34
	s_and_saveexec_b64 s[2:3], vcc
	s_cbranch_execz .LBB889_227
; %bb.222:
	v_lshrrev_b32_e32 v42, 24, v34
	s_movk_i32 s8, 0x80
	v_cmp_ne_u32_e32 vcc, s8, v42
	v_mov_b32_e32 v45, 0xffff8000
	s_and_saveexec_b64 s[8:9], vcc
	s_cbranch_execz .LBB889_226
; %bb.223:
	v_bfe_u32 v34, v34, 24, 7
	s_movk_i32 s10, 0x7f
	v_cmp_ne_u32_e32 vcc, s10, v34
	v_mov_b32_e32 v45, 0x7f80
	s_and_saveexec_b64 s[10:11], vcc
	s_cbranch_execz .LBB889_225
; %bb.224:
	v_and_b32_e32 v45, 7, v42
	v_ffbh_u32_e32 v52, v45
	v_min_u32_e32 v55, 32, v52
	v_subrev_u32_e32 v52, 28, v55
	v_lshlrev_b64 v[52:53], v52, v[42:43]
	v_lshrrev_b32_e32 v54, 3, v34
	v_sub_u32_e32 v53, 29, v55
	v_and_b32_e32 v52, 7, v52
	v_cmp_gt_u32_e32 vcc, 8, v34
	v_cndmask_b32_e32 v34, v54, v53, vcc
	v_cndmask_b32_e32 v45, v45, v52, vcc
	v_lshlrev_b32_e32 v42, 24, v42
	v_bfrev_b32_e32 v52, 60
	v_lshlrev_b32_e32 v45, 20, v45
	v_and_b32_e32 v42, 0x80000000, v42
	v_lshl_add_u32 v34, v34, 23, v52
	v_or3_b32 v34, v42, v34, v45
	v_lshrrev_b32_e32 v45, 16, v34
.LBB889_225:
	s_or_b64 exec, exec, s[10:11]
.LBB889_226:
	s_or_b64 exec, exec, s[8:9]
.LBB889_227:
	s_or_b64 exec, exec, s[2:3]
	v_mov_b32_e32 v42, 0
	v_cmp_ne_u16_sdwa s[8:9], v35, v42 src0_sel:BYTE_0 src1_sel:DWORD
	v_mov_b32_e32 v52, 0
	s_and_saveexec_b64 s[2:3], s[8:9]
	s_cbranch_execz .LBB889_233
; %bb.228:
	s_movk_i32 s8, 0x80
	v_cmp_ne_u16_sdwa s[10:11], v35, s8 src0_sel:BYTE_0 src1_sel:DWORD
	v_mov_b32_e32 v52, 0xffff8000
	s_and_saveexec_b64 s[8:9], s[10:11]
	s_cbranch_execz .LBB889_232
; %bb.229:
	s_movk_i32 s10, 0x7f
	v_and_b32_e32 v34, 0x7f, v35
	v_cmp_ne_u32_e32 vcc, s10, v34
	v_mov_b32_e32 v52, 0x7f80
	s_and_saveexec_b64 s[10:11], vcc
	s_cbranch_execz .LBB889_231
; %bb.230:
	v_and_b32_e32 v54, 7, v35
	v_ffbh_u32_e32 v53, v54
	v_min_u32_e32 v56, 32, v53
	v_mov_b32_e32 v52, v35
	v_subrev_u32_e32 v53, 28, v56
	v_lshlrev_b64 v[52:53], v53, v[52:53]
	v_lshrrev_b32_e32 v55, 3, v34
	v_sub_u32_e32 v53, 29, v56
	v_and_b32_e32 v52, 7, v52
	v_cmp_gt_u32_e32 vcc, 8, v34
	v_cndmask_b32_e32 v34, v55, v53, vcc
	v_cndmask_b32_e32 v52, v54, v52, vcc
	v_lshlrev_b32_e32 v53, 24, v35
	v_bfrev_b32_e32 v54, 60
	v_lshlrev_b32_e32 v52, 20, v52
	v_and_b32_e32 v53, 0x80000000, v53
	v_lshl_add_u32 v34, v34, 23, v54
	v_or3_b32 v34, v53, v34, v52
	v_lshrrev_b32_e32 v52, 16, v34
.LBB889_231:
	s_or_b64 exec, exec, s[10:11]
.LBB889_232:
	s_or_b64 exec, exec, s[8:9]
.LBB889_233:
	s_or_b64 exec, exec, s[2:3]
	v_lshrrev_b16_e32 v34, 8, v35
	v_cmp_ne_u16_e32 vcc, 0, v34
	s_and_saveexec_b64 s[2:3], vcc
	s_cbranch_execz .LBB889_239
; %bb.234:
	s_movk_i32 s8, 0x80
	v_cmp_ne_u16_e32 vcc, s8, v34
	v_mov_b32_e32 v42, 0xffff8000
	s_and_saveexec_b64 s[8:9], vcc
	s_cbranch_execz .LBB889_238
; %bb.235:
	s_movk_i32 s10, 0x7f
	v_and_b32_e32 v53, 0x7f, v34
	v_cmp_ne_u32_e32 vcc, s10, v53
	v_mov_b32_e32 v42, 0x7f80
	s_and_saveexec_b64 s[10:11], vcc
	s_cbranch_execz .LBB889_237
; %bb.236:
	v_and_b32_e32 v42, 7, v34
	v_ffbh_u32_e32 v54, v42
	v_min_u32_e32 v57, 32, v54
	v_subrev_u32_e32 v54, 28, v57
	v_lshlrev_b64 v[54:55], v54, v[34:35]
	v_lshrrev_b32_e32 v56, 3, v53
	v_sub_u32_e32 v34, 29, v57
	v_and_b32_e32 v54, 7, v54
	v_cmp_gt_u32_e32 vcc, 8, v53
	v_cndmask_b32_e32 v34, v56, v34, vcc
	v_cndmask_b32_e32 v42, v42, v54, vcc
	v_lshlrev_b32_e32 v53, 16, v35
	v_bfrev_b32_e32 v54, 60
	v_lshlrev_b32_e32 v42, 20, v42
	v_and_b32_e32 v53, 0x80000000, v53
	v_lshl_add_u32 v34, v34, 23, v54
	v_or3_b32 v34, v53, v34, v42
	v_lshrrev_b32_e32 v42, 16, v34
.LBB889_237:
	s_or_b64 exec, exec, s[10:11]
.LBB889_238:
	s_or_b64 exec, exec, s[8:9]
.LBB889_239:
	s_or_b64 exec, exec, s[2:3]
	s_movk_i32 s2, 0xff
	v_and_b32_sdwa v55, v35, s2 dst_sel:DWORD dst_unused:UNUSED_PAD src0_sel:WORD_1 src1_sel:DWORD
	v_lshrrev_b32_e32 v34, 16, v35
	v_cmp_ne_u16_e32 vcc, 0, v55
	v_mov_b32_e32 v53, 0
	v_mov_b32_e32 v54, 0
	s_and_saveexec_b64 s[2:3], vcc
	s_cbranch_execz .LBB889_245
; %bb.240:
	s_movk_i32 s8, 0x80
	v_cmp_ne_u16_e32 vcc, s8, v55
	v_mov_b32_e32 v54, 0xffff8000
	s_and_saveexec_b64 s[8:9], vcc
	s_cbranch_execz .LBB889_244
; %bb.241:
	v_bfe_u32 v55, v35, 16, 7
	s_movk_i32 s10, 0x7f
	v_cmp_ne_u32_e32 vcc, s10, v55
	v_mov_b32_e32 v54, 0x7f80
	s_and_saveexec_b64 s[10:11], vcc
	s_cbranch_execz .LBB889_243
; %bb.242:
	v_and_b32_e32 v54, 7, v34
	v_ffbh_u32_e32 v56, v54
	v_min_u32_e32 v59, 32, v56
	v_subrev_u32_e32 v56, 28, v59
	v_lshlrev_b64 v[56:57], v56, v[34:35]
	v_lshrrev_b32_e32 v58, 3, v55
	v_sub_u32_e32 v34, 29, v59
	v_and_b32_e32 v56, 7, v56
	v_cmp_gt_u32_e32 vcc, 8, v55
	v_mov_b32_e32 v55, 24
	v_cndmask_b32_e32 v34, v58, v34, vcc
	v_cndmask_b32_e32 v54, v54, v56, vcc
	v_lshlrev_b32_sdwa v55, v55, v35 dst_sel:DWORD dst_unused:UNUSED_PAD src0_sel:DWORD src1_sel:WORD_1
	v_bfrev_b32_e32 v56, 60
	v_lshlrev_b32_e32 v54, 20, v54
	v_and_b32_e32 v55, 0x80000000, v55
	v_lshl_add_u32 v34, v34, 23, v56
	v_or3_b32 v34, v55, v34, v54
	v_lshrrev_b32_e32 v54, 16, v34
.LBB889_243:
	s_or_b64 exec, exec, s[10:11]
.LBB889_244:
	s_or_b64 exec, exec, s[8:9]
.LBB889_245:
	s_or_b64 exec, exec, s[2:3]
	s_mov_b32 s2, 0xffffff
	v_cmp_lt_u32_e32 vcc, s2, v35
	s_and_saveexec_b64 s[2:3], vcc
	s_cbranch_execz .LBB889_251
; %bb.246:
	v_lshrrev_b32_e32 v34, 24, v35
	s_movk_i32 s8, 0x80
	v_cmp_ne_u32_e32 vcc, s8, v34
	v_mov_b32_e32 v53, 0xffff8000
	s_and_saveexec_b64 s[8:9], vcc
	s_cbranch_execz .LBB889_250
; %bb.247:
	v_bfe_u32 v35, v35, 24, 7
	s_movk_i32 s10, 0x7f
	v_cmp_ne_u32_e32 vcc, s10, v35
	v_mov_b32_e32 v53, 0x7f80
	s_and_saveexec_b64 s[10:11], vcc
	s_cbranch_execz .LBB889_249
; %bb.248:
	v_and_b32_e32 v53, 7, v34
	v_ffbh_u32_e32 v56, v53
	v_min_u32_e32 v58, 32, v56
	v_subrev_u32_e32 v56, 28, v58
	v_lshlrev_b64 v[56:57], v56, v[34:35]
	v_lshrrev_b32_e32 v55, 3, v35
	v_sub_u32_e32 v57, 29, v58
	v_and_b32_e32 v56, 7, v56
	v_cmp_gt_u32_e32 vcc, 8, v35
	v_cndmask_b32_e32 v35, v55, v57, vcc
	v_cndmask_b32_e32 v53, v53, v56, vcc
	v_lshlrev_b32_e32 v34, 24, v34
	v_bfrev_b32_e32 v55, 60
	v_lshlrev_b32_e32 v53, 20, v53
	v_and_b32_e32 v34, 0x80000000, v34
	v_lshl_add_u32 v35, v35, 23, v55
	v_or3_b32 v34, v34, v35, v53
	v_lshrrev_b32_e32 v53, 16, v34
.LBB889_249:
	s_or_b64 exec, exec, s[10:11]
.LBB889_250:
	s_or_b64 exec, exec, s[8:9]
.LBB889_251:
	s_or_b64 exec, exec, s[2:3]
	s_mov_b32 s2, 0x5040100
	v_perm_b32 v35, v45, v51, s2
	v_perm_b32 v34, v43, v44, s2
	;; [unrolled: 1-line block ×4, first 2 shown]
	v_mov_b32_e32 v51, 0
	v_mfma_f32_16x16x16bf16_1k v[56:59], v[34:35], v[26:27], 0
	v_mov_b32_e32 v35, 0
	v_cmp_ne_u16_sdwa s[8:9], v36, v35 src0_sel:BYTE_0 src1_sel:DWORD
	v_mfma_f32_16x16x16bf16_1k v[42:45], v[42:43], v[28:29], v[56:59]
	s_and_saveexec_b64 s[2:3], s[8:9]
	s_cbranch_execz .LBB889_257
; %bb.252:
	s_movk_i32 s8, 0x80
	v_cmp_ne_u16_sdwa s[10:11], v36, s8 src0_sel:BYTE_0 src1_sel:DWORD
	v_mov_b32_e32 v51, 0xffff8000
	s_and_saveexec_b64 s[8:9], s[10:11]
	s_cbranch_execz .LBB889_256
; %bb.253:
	s_movk_i32 s10, 0x7f
	v_and_b32_e32 v34, 0x7f, v36
	v_cmp_ne_u32_e32 vcc, s10, v34
	v_mov_b32_e32 v51, 0x7f80
	s_and_saveexec_b64 s[10:11], vcc
	s_cbranch_execz .LBB889_255
; %bb.254:
	v_and_b32_e32 v51, 7, v36
	v_ffbh_u32_e32 v52, v51
	v_min_u32_e32 v55, 32, v52
	v_subrev_u32_e32 v52, 28, v55
	v_lshlrev_b64 v[52:53], v52, v[36:37]
	v_lshrrev_b32_e32 v54, 3, v34
	v_sub_u32_e32 v53, 29, v55
	v_and_b32_e32 v52, 7, v52
	v_cmp_gt_u32_e32 vcc, 8, v34
	v_cndmask_b32_e32 v34, v54, v53, vcc
	v_cndmask_b32_e32 v51, v51, v52, vcc
	v_lshlrev_b32_e32 v52, 24, v36
	v_bfrev_b32_e32 v53, 60
	v_lshlrev_b32_e32 v51, 20, v51
	v_and_b32_e32 v52, 0x80000000, v52
	v_lshl_add_u32 v34, v34, 23, v53
	v_or3_b32 v34, v52, v34, v51
	v_lshrrev_b32_e32 v51, 16, v34
.LBB889_255:
	s_or_b64 exec, exec, s[10:11]
.LBB889_256:
	s_or_b64 exec, exec, s[8:9]
.LBB889_257:
	s_or_b64 exec, exec, s[2:3]
	v_lshrrev_b16_e32 v34, 8, v36
	v_cmp_ne_u16_e32 vcc, 0, v34
	s_and_saveexec_b64 s[2:3], vcc
	s_cbranch_execz .LBB889_263
; %bb.258:
	s_movk_i32 s8, 0x80
	v_cmp_ne_u16_e32 vcc, s8, v34
	v_mov_b32_e32 v35, 0xffff8000
	s_and_saveexec_b64 s[8:9], vcc
	s_cbranch_execz .LBB889_262
; %bb.259:
	s_movk_i32 s10, 0x7f
	v_and_b32_e32 v52, 0x7f, v34
	v_cmp_ne_u32_e32 vcc, s10, v52
	v_mov_b32_e32 v35, 0x7f80
	s_and_saveexec_b64 s[10:11], vcc
	s_cbranch_execz .LBB889_261
; %bb.260:
	v_and_b32_e32 v53, 7, v34
	v_ffbh_u32_e32 v35, v53
	v_min_u32_e32 v55, 32, v35
	v_subrev_u32_e32 v35, 28, v55
	v_lshlrev_b64 v[34:35], v35, v[34:35]
	v_lshrrev_b32_e32 v54, 3, v52
	v_sub_u32_e32 v35, 29, v55
	v_and_b32_e32 v34, 7, v34
	v_cmp_gt_u32_e32 vcc, 8, v52
	v_cndmask_b32_e32 v35, v54, v35, vcc
	v_cndmask_b32_e32 v34, v53, v34, vcc
	v_lshlrev_b32_e32 v52, 16, v36
	v_bfrev_b32_e32 v53, 60
	v_lshlrev_b32_e32 v34, 20, v34
	v_and_b32_e32 v52, 0x80000000, v52
	v_lshl_add_u32 v35, v35, 23, v53
	v_or3_b32 v34, v52, v35, v34
	v_lshrrev_b32_e32 v35, 16, v34
.LBB889_261:
	s_or_b64 exec, exec, s[10:11]
.LBB889_262:
	s_or_b64 exec, exec, s[8:9]
.LBB889_263:
	s_or_b64 exec, exec, s[2:3]
	s_movk_i32 s2, 0xff
	v_and_b32_sdwa v54, v36, s2 dst_sel:DWORD dst_unused:UNUSED_PAD src0_sel:WORD_1 src1_sel:DWORD
	v_lshrrev_b32_e32 v34, 16, v36
	v_cmp_ne_u16_e32 vcc, 0, v54
	v_mov_b32_e32 v52, 0
	v_mov_b32_e32 v53, 0
	s_and_saveexec_b64 s[2:3], vcc
	s_cbranch_execz .LBB889_269
; %bb.264:
	s_movk_i32 s8, 0x80
	v_cmp_ne_u16_e32 vcc, s8, v54
	v_mov_b32_e32 v53, 0xffff8000
	s_and_saveexec_b64 s[8:9], vcc
	s_cbranch_execz .LBB889_268
; %bb.265:
	v_bfe_u32 v54, v36, 16, 7
	s_movk_i32 s10, 0x7f
	v_cmp_ne_u32_e32 vcc, s10, v54
	v_mov_b32_e32 v53, 0x7f80
	s_and_saveexec_b64 s[10:11], vcc
	s_cbranch_execz .LBB889_267
; %bb.266:
	v_and_b32_e32 v53, 7, v34
	v_ffbh_u32_e32 v56, v53
	v_min_u32_e32 v58, 32, v56
	v_subrev_u32_e32 v56, 28, v58
	v_lshlrev_b64 v[56:57], v56, v[34:35]
	v_lshrrev_b32_e32 v55, 3, v54
	v_sub_u32_e32 v34, 29, v58
	v_and_b32_e32 v56, 7, v56
	v_cmp_gt_u32_e32 vcc, 8, v54
	v_mov_b32_e32 v54, 24
	v_cndmask_b32_e32 v34, v55, v34, vcc
	v_cndmask_b32_e32 v53, v53, v56, vcc
	v_lshlrev_b32_sdwa v54, v54, v36 dst_sel:DWORD dst_unused:UNUSED_PAD src0_sel:DWORD src1_sel:WORD_1
	v_bfrev_b32_e32 v55, 60
	v_lshlrev_b32_e32 v53, 20, v53
	v_and_b32_e32 v54, 0x80000000, v54
	v_lshl_add_u32 v34, v34, 23, v55
	v_or3_b32 v34, v54, v34, v53
	v_lshrrev_b32_e32 v53, 16, v34
.LBB889_267:
	s_or_b64 exec, exec, s[10:11]
.LBB889_268:
	s_or_b64 exec, exec, s[8:9]
.LBB889_269:
	s_or_b64 exec, exec, s[2:3]
	s_mov_b32 s2, 0xffffff
	v_cmp_lt_u32_e32 vcc, s2, v36
	s_and_saveexec_b64 s[2:3], vcc
	s_cbranch_execz .LBB889_275
; %bb.270:
	v_lshrrev_b32_e32 v34, 24, v36
	s_movk_i32 s8, 0x80
	v_cmp_ne_u32_e32 vcc, s8, v34
	v_mov_b32_e32 v52, 0xffff8000
	s_and_saveexec_b64 s[8:9], vcc
	s_cbranch_execz .LBB889_274
; %bb.271:
	v_bfe_u32 v36, v36, 24, 7
	s_movk_i32 s10, 0x7f
	v_cmp_ne_u32_e32 vcc, s10, v36
	v_mov_b32_e32 v52, 0x7f80
	s_and_saveexec_b64 s[10:11], vcc
	s_cbranch_execz .LBB889_273
; %bb.272:
	v_and_b32_e32 v52, 7, v34
	v_ffbh_u32_e32 v54, v52
	v_min_u32_e32 v57, 32, v54
	v_subrev_u32_e32 v54, 28, v57
	v_lshlrev_b64 v[54:55], v54, v[34:35]
	v_lshrrev_b32_e32 v56, 3, v36
	v_sub_u32_e32 v55, 29, v57
	v_and_b32_e32 v54, 7, v54
	v_cmp_gt_u32_e32 vcc, 8, v36
	v_cndmask_b32_e32 v36, v56, v55, vcc
	v_cndmask_b32_e32 v52, v52, v54, vcc
	v_lshlrev_b32_e32 v34, 24, v34
	v_bfrev_b32_e32 v54, 60
	v_lshlrev_b32_e32 v52, 20, v52
	v_and_b32_e32 v34, 0x80000000, v34
	v_lshl_add_u32 v36, v36, 23, v54
	v_or3_b32 v34, v34, v36, v52
	v_lshrrev_b32_e32 v52, 16, v34
.LBB889_273:
	s_or_b64 exec, exec, s[10:11]
.LBB889_274:
	s_or_b64 exec, exec, s[8:9]
.LBB889_275:
	s_or_b64 exec, exec, s[2:3]
	v_mov_b32_e32 v36, 0
	v_cmp_ne_u16_sdwa s[8:9], v37, v36 src0_sel:BYTE_0 src1_sel:DWORD
	v_mov_b32_e32 v54, 0
	s_and_saveexec_b64 s[2:3], s[8:9]
	s_cbranch_execz .LBB889_281
; %bb.276:
	s_movk_i32 s8, 0x80
	v_cmp_ne_u16_sdwa s[10:11], v37, s8 src0_sel:BYTE_0 src1_sel:DWORD
	v_mov_b32_e32 v54, 0xffff8000
	s_and_saveexec_b64 s[8:9], s[10:11]
	s_cbranch_execz .LBB889_280
; %bb.277:
	s_movk_i32 s10, 0x7f
	v_and_b32_e32 v34, 0x7f, v37
	v_cmp_ne_u32_e32 vcc, s10, v34
	v_mov_b32_e32 v54, 0x7f80
	s_and_saveexec_b64 s[10:11], vcc
	s_cbranch_execz .LBB889_279
; %bb.278:
	v_and_b32_e32 v56, 7, v37
	v_ffbh_u32_e32 v55, v56
	v_min_u32_e32 v58, 32, v55
	v_mov_b32_e32 v54, v37
	v_subrev_u32_e32 v55, 28, v58
	v_lshlrev_b64 v[54:55], v55, v[54:55]
	v_lshrrev_b32_e32 v57, 3, v34
	v_sub_u32_e32 v55, 29, v58
	v_and_b32_e32 v54, 7, v54
	v_cmp_gt_u32_e32 vcc, 8, v34
	v_cndmask_b32_e32 v34, v57, v55, vcc
	v_cndmask_b32_e32 v54, v56, v54, vcc
	v_lshlrev_b32_e32 v55, 24, v37
	v_bfrev_b32_e32 v56, 60
	v_lshlrev_b32_e32 v54, 20, v54
	v_and_b32_e32 v55, 0x80000000, v55
	v_lshl_add_u32 v34, v34, 23, v56
	v_or3_b32 v34, v55, v34, v54
	v_lshrrev_b32_e32 v54, 16, v34
.LBB889_279:
	s_or_b64 exec, exec, s[10:11]
.LBB889_280:
	s_or_b64 exec, exec, s[8:9]
.LBB889_281:
	s_or_b64 exec, exec, s[2:3]
	v_lshrrev_b16_e32 v34, 8, v37
	v_cmp_ne_u16_e32 vcc, 0, v34
	s_and_saveexec_b64 s[2:3], vcc
	s_cbranch_execz .LBB889_287
; %bb.282:
	s_movk_i32 s8, 0x80
	v_cmp_ne_u16_e32 vcc, s8, v34
	v_mov_b32_e32 v36, 0xffff8000
	s_and_saveexec_b64 s[8:9], vcc
	s_cbranch_execz .LBB889_286
; %bb.283:
	s_movk_i32 s10, 0x7f
	v_and_b32_e32 v55, 0x7f, v34
	v_cmp_ne_u32_e32 vcc, s10, v55
	v_mov_b32_e32 v36, 0x7f80
	s_and_saveexec_b64 s[10:11], vcc
	s_cbranch_execz .LBB889_285
; %bb.284:
	v_and_b32_e32 v36, 7, v34
	v_ffbh_u32_e32 v56, v36
	v_min_u32_e32 v59, 32, v56
	v_subrev_u32_e32 v56, 28, v59
	v_lshlrev_b64 v[56:57], v56, v[34:35]
	v_lshrrev_b32_e32 v58, 3, v55
	v_sub_u32_e32 v34, 29, v59
	v_and_b32_e32 v56, 7, v56
	v_cmp_gt_u32_e32 vcc, 8, v55
	v_cndmask_b32_e32 v34, v58, v34, vcc
	v_cndmask_b32_e32 v36, v36, v56, vcc
	v_lshlrev_b32_e32 v55, 16, v37
	v_bfrev_b32_e32 v56, 60
	v_lshlrev_b32_e32 v36, 20, v36
	v_and_b32_e32 v55, 0x80000000, v55
	v_lshl_add_u32 v34, v34, 23, v56
	v_or3_b32 v34, v55, v34, v36
	v_lshrrev_b32_e32 v36, 16, v34
.LBB889_285:
	s_or_b64 exec, exec, s[10:11]
.LBB889_286:
	s_or_b64 exec, exec, s[8:9]
.LBB889_287:
	s_or_b64 exec, exec, s[2:3]
	s_movk_i32 s2, 0xff
	v_and_b32_sdwa v57, v37, s2 dst_sel:DWORD dst_unused:UNUSED_PAD src0_sel:WORD_1 src1_sel:DWORD
	v_lshrrev_b32_e32 v34, 16, v37
	v_cmp_ne_u16_e32 vcc, 0, v57
	v_mov_b32_e32 v55, 0
	v_mov_b32_e32 v56, 0
	s_and_saveexec_b64 s[2:3], vcc
	s_cbranch_execz .LBB889_293
; %bb.288:
	s_movk_i32 s8, 0x80
	v_cmp_ne_u16_e32 vcc, s8, v57
	v_mov_b32_e32 v56, 0xffff8000
	s_and_saveexec_b64 s[8:9], vcc
	s_cbranch_execz .LBB889_292
; %bb.289:
	v_bfe_u32 v57, v37, 16, 7
	s_movk_i32 s10, 0x7f
	v_cmp_ne_u32_e32 vcc, s10, v57
	v_mov_b32_e32 v56, 0x7f80
	s_and_saveexec_b64 s[10:11], vcc
	s_cbranch_execz .LBB889_291
; %bb.290:
	v_and_b32_e32 v56, 7, v34
	v_ffbh_u32_e32 v58, v56
	v_min_u32_e32 v61, 32, v58
	v_subrev_u32_e32 v58, 28, v61
	v_lshlrev_b64 v[58:59], v58, v[34:35]
	v_lshrrev_b32_e32 v60, 3, v57
	v_sub_u32_e32 v34, 29, v61
	v_and_b32_e32 v58, 7, v58
	v_cmp_gt_u32_e32 vcc, 8, v57
	v_mov_b32_e32 v57, 24
	v_cndmask_b32_e32 v34, v60, v34, vcc
	v_cndmask_b32_e32 v56, v56, v58, vcc
	v_lshlrev_b32_sdwa v57, v57, v37 dst_sel:DWORD dst_unused:UNUSED_PAD src0_sel:DWORD src1_sel:WORD_1
	v_bfrev_b32_e32 v58, 60
	v_lshlrev_b32_e32 v56, 20, v56
	v_and_b32_e32 v57, 0x80000000, v57
	v_lshl_add_u32 v34, v34, 23, v58
	v_or3_b32 v34, v57, v34, v56
	v_lshrrev_b32_e32 v56, 16, v34
.LBB889_291:
	s_or_b64 exec, exec, s[10:11]
.LBB889_292:
	s_or_b64 exec, exec, s[8:9]
.LBB889_293:
	s_or_b64 exec, exec, s[2:3]
	s_mov_b32 s2, 0xffffff
	v_cmp_lt_u32_e32 vcc, s2, v37
	s_and_saveexec_b64 s[2:3], vcc
	s_cbranch_execz .LBB889_299
; %bb.294:
	v_lshrrev_b32_e32 v34, 24, v37
	s_movk_i32 s8, 0x80
	v_cmp_ne_u32_e32 vcc, s8, v34
	v_mov_b32_e32 v55, 0xffff8000
	s_and_saveexec_b64 s[8:9], vcc
	s_cbranch_execz .LBB889_298
; %bb.295:
	v_bfe_u32 v37, v37, 24, 7
	s_movk_i32 s10, 0x7f
	v_cmp_ne_u32_e32 vcc, s10, v37
	v_mov_b32_e32 v55, 0x7f80
	s_and_saveexec_b64 s[10:11], vcc
	s_cbranch_execz .LBB889_297
; %bb.296:
	v_and_b32_e32 v55, 7, v34
	v_ffbh_u32_e32 v58, v55
	v_min_u32_e32 v60, 32, v58
	v_subrev_u32_e32 v58, 28, v60
	v_lshlrev_b64 v[58:59], v58, v[34:35]
	v_lshrrev_b32_e32 v57, 3, v37
	v_sub_u32_e32 v59, 29, v60
	v_and_b32_e32 v58, 7, v58
	v_cmp_gt_u32_e32 vcc, 8, v37
	v_cndmask_b32_e32 v37, v57, v59, vcc
	v_cndmask_b32_e32 v55, v55, v58, vcc
	v_lshlrev_b32_e32 v34, 24, v34
	v_bfrev_b32_e32 v57, 60
	v_lshlrev_b32_e32 v55, 20, v55
	v_and_b32_e32 v34, 0x80000000, v34
	v_lshl_add_u32 v37, v37, 23, v57
	v_or3_b32 v34, v34, v37, v55
	v_lshrrev_b32_e32 v55, 16, v34
.LBB889_297:
	s_or_b64 exec, exec, s[10:11]
.LBB889_298:
	s_or_b64 exec, exec, s[8:9]
.LBB889_299:
	s_or_b64 exec, exec, s[2:3]
	s_mov_b32 s2, 0x5040100
	v_perm_b32 v53, v52, v53, s2
	v_perm_b32 v52, v35, v51, s2
	;; [unrolled: 1-line block ×4, first 2 shown]
	v_mfma_f32_16x16x16bf16_1k v[58:61], v[52:53], v[18:19], v[42:45]
	s_nop 6
	v_mov_b32_e32 v43, 0
	s_waitcnt vmcnt(4)
	v_cmp_ne_u16_sdwa s[8:9], v22, v43 src0_sel:BYTE_0 src1_sel:DWORD
	v_mfma_f32_16x16x16bf16_1k v[34:37], v[34:35], v[20:21], v[58:61]
	v_mov_b32_e32 v44, 0
	s_and_saveexec_b64 s[2:3], s[8:9]
	s_cbranch_execz .LBB889_305
; %bb.300:
	s_movk_i32 s8, 0x80
	v_cmp_ne_u16_sdwa s[10:11], v22, s8 src0_sel:BYTE_0 src1_sel:DWORD
	v_mov_b32_e32 v44, 0xffff8000
	s_and_saveexec_b64 s[8:9], s[10:11]
	s_cbranch_execz .LBB889_304
; %bb.301:
	s_movk_i32 s10, 0x7f
	v_and_b32_e32 v42, 0x7f, v22
	v_cmp_ne_u32_e32 vcc, s10, v42
	v_mov_b32_e32 v44, 0x7f80
	s_and_saveexec_b64 s[10:11], vcc
	s_cbranch_execz .LBB889_303
; %bb.302:
	v_and_b32_e32 v51, 7, v22
	v_ffbh_u32_e32 v44, v51
	v_min_u32_e32 v53, 32, v44
	v_subrev_u32_e32 v44, 28, v53
	v_lshlrev_b64 v[44:45], v44, v[22:23]
	v_lshrrev_b32_e32 v52, 3, v42
	v_sub_u32_e32 v45, 29, v53
	v_and_b32_e32 v44, 7, v44
	v_cmp_gt_u32_e32 vcc, 8, v42
	v_cndmask_b32_e32 v42, v52, v45, vcc
	v_cndmask_b32_e32 v44, v51, v44, vcc
	v_lshlrev_b32_e32 v45, 24, v22
	v_bfrev_b32_e32 v51, 60
	v_lshlrev_b32_e32 v44, 20, v44
	v_and_b32_e32 v45, 0x80000000, v45
	v_lshl_add_u32 v42, v42, 23, v51
	v_or3_b32 v42, v45, v42, v44
	v_lshrrev_b32_e32 v44, 16, v42
.LBB889_303:
	s_or_b64 exec, exec, s[10:11]
.LBB889_304:
	s_or_b64 exec, exec, s[8:9]
.LBB889_305:
	s_or_b64 exec, exec, s[2:3]
	v_lshrrev_b16_e32 v42, 8, v22
	v_cmp_ne_u16_e32 vcc, 0, v42
	s_and_saveexec_b64 s[2:3], vcc
	s_cbranch_execz .LBB889_311
; %bb.306:
	s_movk_i32 s8, 0x80
	v_cmp_ne_u16_e32 vcc, s8, v42
	v_mov_b32_e32 v43, 0xffff8000
	s_and_saveexec_b64 s[8:9], vcc
	s_cbranch_execz .LBB889_310
; %bb.307:
	s_movk_i32 s10, 0x7f
	v_and_b32_e32 v45, 0x7f, v42
	v_cmp_ne_u32_e32 vcc, s10, v45
	v_mov_b32_e32 v43, 0x7f80
	s_and_saveexec_b64 s[10:11], vcc
	s_cbranch_execz .LBB889_309
; %bb.308:
	v_and_b32_e32 v51, 7, v42
	v_ffbh_u32_e32 v43, v51
	v_min_u32_e32 v53, 32, v43
	v_subrev_u32_e32 v43, 28, v53
	v_lshlrev_b64 v[42:43], v43, v[42:43]
	v_lshrrev_b32_e32 v52, 3, v45
	v_sub_u32_e32 v43, 29, v53
	v_and_b32_e32 v42, 7, v42
	v_cmp_gt_u32_e32 vcc, 8, v45
	v_cndmask_b32_e32 v43, v52, v43, vcc
	v_cndmask_b32_e32 v42, v51, v42, vcc
	v_lshlrev_b32_e32 v45, 16, v22
	v_bfrev_b32_e32 v51, 60
	v_lshlrev_b32_e32 v42, 20, v42
	v_and_b32_e32 v45, 0x80000000, v45
	v_lshl_add_u32 v43, v43, 23, v51
	v_or3_b32 v42, v45, v43, v42
	v_lshrrev_b32_e32 v43, 16, v42
.LBB889_309:
	s_or_b64 exec, exec, s[10:11]
.LBB889_310:
	s_or_b64 exec, exec, s[8:9]
.LBB889_311:
	s_or_b64 exec, exec, s[2:3]
	s_movk_i32 s2, 0xff
	v_and_b32_sdwa v52, v22, s2 dst_sel:DWORD dst_unused:UNUSED_PAD src0_sel:WORD_1 src1_sel:DWORD
	v_lshrrev_b32_e32 v42, 16, v22
	v_cmp_ne_u16_e32 vcc, 0, v52
	v_mov_b32_e32 v45, 0
	v_mov_b32_e32 v51, 0
	s_and_saveexec_b64 s[2:3], vcc
	s_cbranch_execz .LBB889_317
; %bb.312:
	s_movk_i32 s8, 0x80
	v_cmp_ne_u16_e32 vcc, s8, v52
	v_mov_b32_e32 v51, 0xffff8000
	s_and_saveexec_b64 s[8:9], vcc
	s_cbranch_execz .LBB889_316
; %bb.313:
	v_bfe_u32 v52, v22, 16, 7
	s_movk_i32 s10, 0x7f
	v_cmp_ne_u32_e32 vcc, s10, v52
	v_mov_b32_e32 v51, 0x7f80
	s_and_saveexec_b64 s[10:11], vcc
	s_cbranch_execz .LBB889_315
; %bb.314:
	v_and_b32_e32 v51, 7, v42
	v_ffbh_u32_e32 v54, v51
	v_min_u32_e32 v56, 32, v54
	v_subrev_u32_e32 v54, 28, v56
	v_lshlrev_b64 v[54:55], v54, v[42:43]
	v_lshrrev_b32_e32 v53, 3, v52
	v_sub_u32_e32 v42, 29, v56
	v_and_b32_e32 v54, 7, v54
	v_cmp_gt_u32_e32 vcc, 8, v52
	v_mov_b32_e32 v52, 24
	v_cndmask_b32_e32 v42, v53, v42, vcc
	v_cndmask_b32_e32 v51, v51, v54, vcc
	v_lshlrev_b32_sdwa v52, v52, v22 dst_sel:DWORD dst_unused:UNUSED_PAD src0_sel:DWORD src1_sel:WORD_1
	v_bfrev_b32_e32 v53, 60
	v_lshlrev_b32_e32 v51, 20, v51
	v_and_b32_e32 v52, 0x80000000, v52
	v_lshl_add_u32 v42, v42, 23, v53
	v_or3_b32 v42, v52, v42, v51
	v_lshrrev_b32_e32 v51, 16, v42
.LBB889_315:
	s_or_b64 exec, exec, s[10:11]
.LBB889_316:
	s_or_b64 exec, exec, s[8:9]
.LBB889_317:
	s_or_b64 exec, exec, s[2:3]
	s_mov_b32 s2, 0xffffff
	v_cmp_lt_u32_e32 vcc, s2, v22
	s_and_saveexec_b64 s[2:3], vcc
	s_cbranch_execz .LBB889_323
; %bb.318:
	v_lshrrev_b32_e32 v42, 24, v22
	s_movk_i32 s8, 0x80
	v_cmp_ne_u32_e32 vcc, s8, v42
	v_mov_b32_e32 v45, 0xffff8000
	s_and_saveexec_b64 s[8:9], vcc
	s_cbranch_execz .LBB889_322
; %bb.319:
	v_bfe_u32 v22, v22, 24, 7
	s_movk_i32 s10, 0x7f
	v_cmp_ne_u32_e32 vcc, s10, v22
	v_mov_b32_e32 v45, 0x7f80
	s_and_saveexec_b64 s[10:11], vcc
	s_cbranch_execz .LBB889_321
; %bb.320:
	v_and_b32_e32 v45, 7, v42
	v_ffbh_u32_e32 v52, v45
	v_min_u32_e32 v55, 32, v52
	v_subrev_u32_e32 v52, 28, v55
	v_lshlrev_b64 v[52:53], v52, v[42:43]
	v_lshrrev_b32_e32 v54, 3, v22
	v_sub_u32_e32 v53, 29, v55
	v_and_b32_e32 v52, 7, v52
	v_cmp_gt_u32_e32 vcc, 8, v22
	v_cndmask_b32_e32 v22, v54, v53, vcc
	v_cndmask_b32_e32 v45, v45, v52, vcc
	v_lshlrev_b32_e32 v42, 24, v42
	v_bfrev_b32_e32 v52, 60
	v_lshlrev_b32_e32 v45, 20, v45
	v_and_b32_e32 v42, 0x80000000, v42
	v_lshl_add_u32 v22, v22, 23, v52
	v_or3_b32 v22, v42, v22, v45
	v_lshrrev_b32_e32 v45, 16, v22
.LBB889_321:
	s_or_b64 exec, exec, s[10:11]
.LBB889_322:
	s_or_b64 exec, exec, s[8:9]
.LBB889_323:
	s_or_b64 exec, exec, s[2:3]
	v_mov_b32_e32 v42, 0
	v_cmp_ne_u16_sdwa s[8:9], v23, v42 src0_sel:BYTE_0 src1_sel:DWORD
	v_mov_b32_e32 v52, 0
	s_and_saveexec_b64 s[2:3], s[8:9]
	s_cbranch_execz .LBB889_329
; %bb.324:
	s_movk_i32 s8, 0x80
	v_cmp_ne_u16_sdwa s[10:11], v23, s8 src0_sel:BYTE_0 src1_sel:DWORD
	v_mov_b32_e32 v52, 0xffff8000
	s_and_saveexec_b64 s[8:9], s[10:11]
	s_cbranch_execz .LBB889_328
; %bb.325:
	s_movk_i32 s10, 0x7f
	v_and_b32_e32 v22, 0x7f, v23
	v_cmp_ne_u32_e32 vcc, s10, v22
	v_mov_b32_e32 v52, 0x7f80
	s_and_saveexec_b64 s[10:11], vcc
	s_cbranch_execz .LBB889_327
; %bb.326:
	v_and_b32_e32 v54, 7, v23
	v_ffbh_u32_e32 v53, v54
	v_min_u32_e32 v56, 32, v53
	v_mov_b32_e32 v52, v23
	v_subrev_u32_e32 v53, 28, v56
	v_lshlrev_b64 v[52:53], v53, v[52:53]
	v_lshrrev_b32_e32 v55, 3, v22
	v_sub_u32_e32 v53, 29, v56
	v_and_b32_e32 v52, 7, v52
	v_cmp_gt_u32_e32 vcc, 8, v22
	v_cndmask_b32_e32 v22, v55, v53, vcc
	v_cndmask_b32_e32 v52, v54, v52, vcc
	v_lshlrev_b32_e32 v53, 24, v23
	v_bfrev_b32_e32 v54, 60
	v_lshlrev_b32_e32 v52, 20, v52
	v_and_b32_e32 v53, 0x80000000, v53
	v_lshl_add_u32 v22, v22, 23, v54
	v_or3_b32 v22, v53, v22, v52
	v_lshrrev_b32_e32 v52, 16, v22
.LBB889_327:
	s_or_b64 exec, exec, s[10:11]
.LBB889_328:
	s_or_b64 exec, exec, s[8:9]
.LBB889_329:
	s_or_b64 exec, exec, s[2:3]
	v_lshrrev_b16_e32 v22, 8, v23
	v_cmp_ne_u16_e32 vcc, 0, v22
	s_and_saveexec_b64 s[2:3], vcc
	s_cbranch_execz .LBB889_335
; %bb.330:
	s_movk_i32 s8, 0x80
	v_cmp_ne_u16_e32 vcc, s8, v22
	v_mov_b32_e32 v42, 0xffff8000
	s_and_saveexec_b64 s[8:9], vcc
	s_cbranch_execz .LBB889_334
; %bb.331:
	s_movk_i32 s10, 0x7f
	v_and_b32_e32 v53, 0x7f, v22
	v_cmp_ne_u32_e32 vcc, s10, v53
	v_mov_b32_e32 v42, 0x7f80
	s_and_saveexec_b64 s[10:11], vcc
	s_cbranch_execz .LBB889_333
; %bb.332:
	v_and_b32_e32 v42, 7, v22
	v_ffbh_u32_e32 v54, v42
	v_min_u32_e32 v57, 32, v54
	v_subrev_u32_e32 v54, 28, v57
	v_lshlrev_b64 v[54:55], v54, v[22:23]
	v_lshrrev_b32_e32 v56, 3, v53
	v_sub_u32_e32 v22, 29, v57
	v_and_b32_e32 v54, 7, v54
	v_cmp_gt_u32_e32 vcc, 8, v53
	v_cndmask_b32_e32 v22, v56, v22, vcc
	v_cndmask_b32_e32 v42, v42, v54, vcc
	v_lshlrev_b32_e32 v53, 16, v23
	v_bfrev_b32_e32 v54, 60
	v_lshlrev_b32_e32 v42, 20, v42
	v_and_b32_e32 v53, 0x80000000, v53
	v_lshl_add_u32 v22, v22, 23, v54
	v_or3_b32 v22, v53, v22, v42
	v_lshrrev_b32_e32 v42, 16, v22
.LBB889_333:
	s_or_b64 exec, exec, s[10:11]
.LBB889_334:
	s_or_b64 exec, exec, s[8:9]
.LBB889_335:
	s_or_b64 exec, exec, s[2:3]
	s_movk_i32 s2, 0xff
	v_and_b32_sdwa v55, v23, s2 dst_sel:DWORD dst_unused:UNUSED_PAD src0_sel:WORD_1 src1_sel:DWORD
	v_lshrrev_b32_e32 v22, 16, v23
	v_cmp_ne_u16_e32 vcc, 0, v55
	v_mov_b32_e32 v53, 0
	v_mov_b32_e32 v54, 0
	s_and_saveexec_b64 s[2:3], vcc
	s_cbranch_execz .LBB889_341
; %bb.336:
	s_movk_i32 s8, 0x80
	v_cmp_ne_u16_e32 vcc, s8, v55
	v_mov_b32_e32 v54, 0xffff8000
	s_and_saveexec_b64 s[8:9], vcc
	s_cbranch_execz .LBB889_340
; %bb.337:
	v_bfe_u32 v55, v23, 16, 7
	s_movk_i32 s10, 0x7f
	v_cmp_ne_u32_e32 vcc, s10, v55
	v_mov_b32_e32 v54, 0x7f80
	s_and_saveexec_b64 s[10:11], vcc
	s_cbranch_execz .LBB889_339
; %bb.338:
	v_and_b32_e32 v54, 7, v22
	v_ffbh_u32_e32 v56, v54
	v_min_u32_e32 v59, 32, v56
	v_subrev_u32_e32 v56, 28, v59
	v_lshlrev_b64 v[56:57], v56, v[22:23]
	v_lshrrev_b32_e32 v58, 3, v55
	v_sub_u32_e32 v22, 29, v59
	v_and_b32_e32 v56, 7, v56
	v_cmp_gt_u32_e32 vcc, 8, v55
	v_mov_b32_e32 v55, 24
	v_cndmask_b32_e32 v22, v58, v22, vcc
	v_cndmask_b32_e32 v54, v54, v56, vcc
	v_lshlrev_b32_sdwa v55, v55, v23 dst_sel:DWORD dst_unused:UNUSED_PAD src0_sel:DWORD src1_sel:WORD_1
	v_bfrev_b32_e32 v56, 60
	v_lshlrev_b32_e32 v54, 20, v54
	v_and_b32_e32 v55, 0x80000000, v55
	v_lshl_add_u32 v22, v22, 23, v56
	v_or3_b32 v22, v55, v22, v54
	v_lshrrev_b32_e32 v54, 16, v22
.LBB889_339:
	s_or_b64 exec, exec, s[10:11]
.LBB889_340:
	s_or_b64 exec, exec, s[8:9]
.LBB889_341:
	s_or_b64 exec, exec, s[2:3]
	s_mov_b32 s2, 0xffffff
	v_cmp_lt_u32_e32 vcc, s2, v23
	s_and_saveexec_b64 s[2:3], vcc
	s_cbranch_execz .LBB889_347
; %bb.342:
	v_lshrrev_b32_e32 v22, 24, v23
	s_movk_i32 s8, 0x80
	v_cmp_ne_u32_e32 vcc, s8, v22
	v_mov_b32_e32 v53, 0xffff8000
	s_and_saveexec_b64 s[8:9], vcc
	s_cbranch_execz .LBB889_346
; %bb.343:
	v_bfe_u32 v23, v23, 24, 7
	s_movk_i32 s10, 0x7f
	v_cmp_ne_u32_e32 vcc, s10, v23
	v_mov_b32_e32 v53, 0x7f80
	s_and_saveexec_b64 s[10:11], vcc
	s_cbranch_execz .LBB889_345
; %bb.344:
	v_and_b32_e32 v53, 7, v22
	v_ffbh_u32_e32 v56, v53
	v_min_u32_e32 v58, 32, v56
	v_subrev_u32_e32 v56, 28, v58
	v_lshlrev_b64 v[56:57], v56, v[22:23]
	v_lshrrev_b32_e32 v55, 3, v23
	v_sub_u32_e32 v57, 29, v58
	v_and_b32_e32 v56, 7, v56
	v_cmp_gt_u32_e32 vcc, 8, v23
	v_cndmask_b32_e32 v23, v55, v57, vcc
	v_cndmask_b32_e32 v53, v53, v56, vcc
	v_lshlrev_b32_e32 v22, 24, v22
	v_bfrev_b32_e32 v55, 60
	v_lshlrev_b32_e32 v53, 20, v53
	v_and_b32_e32 v22, 0x80000000, v22
	v_lshl_add_u32 v23, v23, 23, v55
	v_or3_b32 v22, v22, v23, v53
	v_lshrrev_b32_e32 v53, 16, v22
.LBB889_345:
	s_or_b64 exec, exec, s[10:11]
.LBB889_346:
	s_or_b64 exec, exec, s[8:9]
.LBB889_347:
	s_or_b64 exec, exec, s[2:3]
	s_mov_b32 s2, 0x5040100
	v_perm_b32 v23, v45, v51, s2
	v_perm_b32 v22, v43, v44, s2
	s_nop 1
	v_mfma_f32_16x16x16bf16_1k v[56:59], v[22:23], v[26:27], 0
	v_perm_b32 v27, v53, v54, s2
	v_perm_b32 v26, v42, v52, s2
	v_mov_b32_e32 v23, 0
	v_cmp_ne_u16_sdwa s[8:9], v24, v23 src0_sel:BYTE_0 src1_sel:DWORD
	v_mov_b32_e32 v42, 0
	v_mfma_f32_16x16x16bf16_1k v[26:29], v[26:27], v[28:29], v[56:59]
	s_and_saveexec_b64 s[2:3], s[8:9]
	s_cbranch_execz .LBB889_353
; %bb.348:
	s_movk_i32 s8, 0x80
	v_cmp_ne_u16_sdwa s[10:11], v24, s8 src0_sel:BYTE_0 src1_sel:DWORD
	v_mov_b32_e32 v42, 0xffff8000
	s_and_saveexec_b64 s[8:9], s[10:11]
	s_cbranch_execz .LBB889_352
; %bb.349:
	s_movk_i32 s10, 0x7f
	v_and_b32_e32 v22, 0x7f, v24
	v_cmp_ne_u32_e32 vcc, s10, v22
	v_mov_b32_e32 v42, 0x7f80
	s_and_saveexec_b64 s[10:11], vcc
	s_cbranch_execz .LBB889_351
; %bb.350:
	v_and_b32_e32 v44, 7, v24
	v_ffbh_u32_e32 v42, v44
	v_min_u32_e32 v51, 32, v42
	v_subrev_u32_e32 v42, 28, v51
	v_lshlrev_b64 v[42:43], v42, v[24:25]
	v_lshrrev_b32_e32 v45, 3, v22
	v_sub_u32_e32 v43, 29, v51
	v_and_b32_e32 v42, 7, v42
	v_cmp_gt_u32_e32 vcc, 8, v22
	v_cndmask_b32_e32 v22, v45, v43, vcc
	v_cndmask_b32_e32 v42, v44, v42, vcc
	v_lshlrev_b32_e32 v43, 24, v24
	v_bfrev_b32_e32 v44, 60
	v_lshlrev_b32_e32 v42, 20, v42
	v_and_b32_e32 v43, 0x80000000, v43
	v_lshl_add_u32 v22, v22, 23, v44
	v_or3_b32 v22, v43, v22, v42
	v_lshrrev_b32_e32 v42, 16, v22
.LBB889_351:
	s_or_b64 exec, exec, s[10:11]
.LBB889_352:
	s_or_b64 exec, exec, s[8:9]
.LBB889_353:
	s_or_b64 exec, exec, s[2:3]
	v_lshrrev_b16_e32 v22, 8, v24
	v_cmp_ne_u16_e32 vcc, 0, v22
	s_and_saveexec_b64 s[2:3], vcc
	s_cbranch_execz .LBB889_359
; %bb.354:
	s_movk_i32 s8, 0x80
	v_cmp_ne_u16_e32 vcc, s8, v22
	v_mov_b32_e32 v23, 0xffff8000
	s_and_saveexec_b64 s[8:9], vcc
	s_cbranch_execz .LBB889_358
; %bb.355:
	s_movk_i32 s10, 0x7f
	v_and_b32_e32 v43, 0x7f, v22
	v_cmp_ne_u32_e32 vcc, s10, v43
	v_mov_b32_e32 v23, 0x7f80
	s_and_saveexec_b64 s[10:11], vcc
	s_cbranch_execz .LBB889_357
; %bb.356:
	v_and_b32_e32 v44, 7, v22
	v_ffbh_u32_e32 v23, v44
	v_min_u32_e32 v51, 32, v23
	v_subrev_u32_e32 v23, 28, v51
	v_lshlrev_b64 v[22:23], v23, v[22:23]
	v_lshrrev_b32_e32 v45, 3, v43
	v_sub_u32_e32 v23, 29, v51
	v_and_b32_e32 v22, 7, v22
	v_cmp_gt_u32_e32 vcc, 8, v43
	v_cndmask_b32_e32 v23, v45, v23, vcc
	v_cndmask_b32_e32 v22, v44, v22, vcc
	v_lshlrev_b32_e32 v43, 16, v24
	v_bfrev_b32_e32 v44, 60
	v_lshlrev_b32_e32 v22, 20, v22
	v_and_b32_e32 v43, 0x80000000, v43
	v_lshl_add_u32 v23, v23, 23, v44
	v_or3_b32 v22, v43, v23, v22
	v_lshrrev_b32_e32 v23, 16, v22
.LBB889_357:
	s_or_b64 exec, exec, s[10:11]
.LBB889_358:
	s_or_b64 exec, exec, s[8:9]
.LBB889_359:
	s_or_b64 exec, exec, s[2:3]
	s_movk_i32 s2, 0xff
	v_and_b32_sdwa v45, v24, s2 dst_sel:DWORD dst_unused:UNUSED_PAD src0_sel:WORD_1 src1_sel:DWORD
	v_lshrrev_b32_e32 v22, 16, v24
	v_cmp_ne_u16_e32 vcc, 0, v45
	v_mov_b32_e32 v43, 0
	v_mov_b32_e32 v44, 0
	s_and_saveexec_b64 s[2:3], vcc
	s_cbranch_execz .LBB889_365
; %bb.360:
	s_movk_i32 s8, 0x80
	v_cmp_ne_u16_e32 vcc, s8, v45
	v_mov_b32_e32 v44, 0xffff8000
	s_and_saveexec_b64 s[8:9], vcc
	s_cbranch_execz .LBB889_364
; %bb.361:
	v_bfe_u32 v45, v24, 16, 7
	s_movk_i32 s10, 0x7f
	v_cmp_ne_u32_e32 vcc, s10, v45
	v_mov_b32_e32 v44, 0x7f80
	s_and_saveexec_b64 s[10:11], vcc
	s_cbranch_execz .LBB889_363
; %bb.362:
	v_and_b32_e32 v44, 7, v22
	v_ffbh_u32_e32 v52, v44
	v_min_u32_e32 v54, 32, v52
	v_subrev_u32_e32 v52, 28, v54
	v_lshlrev_b64 v[52:53], v52, v[22:23]
	v_lshrrev_b32_e32 v51, 3, v45
	v_sub_u32_e32 v22, 29, v54
	v_and_b32_e32 v52, 7, v52
	v_cmp_gt_u32_e32 vcc, 8, v45
	v_mov_b32_e32 v45, 24
	v_cndmask_b32_e32 v22, v51, v22, vcc
	v_cndmask_b32_e32 v44, v44, v52, vcc
	v_lshlrev_b32_sdwa v45, v45, v24 dst_sel:DWORD dst_unused:UNUSED_PAD src0_sel:DWORD src1_sel:WORD_1
	v_bfrev_b32_e32 v51, 60
	v_lshlrev_b32_e32 v44, 20, v44
	v_and_b32_e32 v45, 0x80000000, v45
	v_lshl_add_u32 v22, v22, 23, v51
	v_or3_b32 v22, v45, v22, v44
	v_lshrrev_b32_e32 v44, 16, v22
.LBB889_363:
	s_or_b64 exec, exec, s[10:11]
.LBB889_364:
	s_or_b64 exec, exec, s[8:9]
.LBB889_365:
	s_or_b64 exec, exec, s[2:3]
	s_mov_b32 s2, 0xffffff
	v_cmp_lt_u32_e32 vcc, s2, v24
	s_and_saveexec_b64 s[2:3], vcc
	s_cbranch_execz .LBB889_371
; %bb.366:
	v_lshrrev_b32_e32 v22, 24, v24
	s_movk_i32 s8, 0x80
	v_cmp_ne_u32_e32 vcc, s8, v22
	v_mov_b32_e32 v43, 0xffff8000
	s_and_saveexec_b64 s[8:9], vcc
	s_cbranch_execz .LBB889_370
; %bb.367:
	v_bfe_u32 v24, v24, 24, 7
	s_movk_i32 s10, 0x7f
	v_cmp_ne_u32_e32 vcc, s10, v24
	v_mov_b32_e32 v43, 0x7f80
	s_and_saveexec_b64 s[10:11], vcc
	s_cbranch_execz .LBB889_369
; %bb.368:
	v_and_b32_e32 v43, 7, v22
	v_ffbh_u32_e32 v51, v43
	v_min_u32_e32 v51, 32, v51
	v_subrev_u32_e32 v52, 28, v51
	v_lshlrev_b64 v[52:53], v52, v[22:23]
	v_lshrrev_b32_e32 v45, 3, v24
	v_sub_u32_e32 v51, 29, v51
	v_and_b32_e32 v52, 7, v52
	v_cmp_gt_u32_e32 vcc, 8, v24
	v_cndmask_b32_e32 v24, v45, v51, vcc
	v_cndmask_b32_e32 v43, v43, v52, vcc
	v_lshlrev_b32_e32 v22, 24, v22
	v_bfrev_b32_e32 v45, 60
	v_lshlrev_b32_e32 v43, 20, v43
	v_and_b32_e32 v22, 0x80000000, v22
	v_lshl_add_u32 v24, v24, 23, v45
	v_or3_b32 v22, v22, v24, v43
	v_lshrrev_b32_e32 v43, 16, v22
.LBB889_369:
	s_or_b64 exec, exec, s[10:11]
.LBB889_370:
	s_or_b64 exec, exec, s[8:9]
.LBB889_371:
	s_or_b64 exec, exec, s[2:3]
	v_mov_b32_e32 v24, 0
	v_cmp_ne_u16_sdwa s[8:9], v25, v24 src0_sel:BYTE_0 src1_sel:DWORD
	v_mov_b32_e32 v51, 0
	s_and_saveexec_b64 s[2:3], s[8:9]
	s_cbranch_execz .LBB889_377
; %bb.372:
	s_movk_i32 s8, 0x80
	v_cmp_ne_u16_sdwa s[10:11], v25, s8 src0_sel:BYTE_0 src1_sel:DWORD
	v_mov_b32_e32 v51, 0xffff8000
	s_and_saveexec_b64 s[8:9], s[10:11]
	s_cbranch_execz .LBB889_376
; %bb.373:
	s_movk_i32 s10, 0x7f
	v_and_b32_e32 v22, 0x7f, v25
	v_cmp_ne_u32_e32 vcc, s10, v22
	v_mov_b32_e32 v51, 0x7f80
	s_and_saveexec_b64 s[10:11], vcc
	s_cbranch_execz .LBB889_375
; %bb.374:
	v_and_b32_e32 v45, 7, v25
	v_ffbh_u32_e32 v53, v45
	v_min_u32_e32 v54, 32, v53
	v_mov_b32_e32 v52, v25
	v_subrev_u32_e32 v53, 28, v54
	v_lshlrev_b64 v[52:53], v53, v[52:53]
	v_lshrrev_b32_e32 v51, 3, v22
	v_sub_u32_e32 v53, 29, v54
	v_and_b32_e32 v52, 7, v52
	v_cmp_gt_u32_e32 vcc, 8, v22
	v_cndmask_b32_e32 v22, v51, v53, vcc
	v_cndmask_b32_e32 v45, v45, v52, vcc
	v_lshlrev_b32_e32 v51, 24, v25
	v_bfrev_b32_e32 v52, 60
	v_lshlrev_b32_e32 v45, 20, v45
	v_and_b32_e32 v51, 0x80000000, v51
	v_lshl_add_u32 v22, v22, 23, v52
	v_or3_b32 v22, v51, v22, v45
	v_lshrrev_b32_e32 v51, 16, v22
.LBB889_375:
	s_or_b64 exec, exec, s[10:11]
.LBB889_376:
	s_or_b64 exec, exec, s[8:9]
.LBB889_377:
	s_or_b64 exec, exec, s[2:3]
	v_lshrrev_b16_e32 v22, 8, v25
	v_cmp_ne_u16_e32 vcc, 0, v22
	s_and_saveexec_b64 s[2:3], vcc
	s_cbranch_execz .LBB889_383
; %bb.378:
	s_movk_i32 s8, 0x80
	v_cmp_ne_u16_e32 vcc, s8, v22
	v_mov_b32_e32 v24, 0xffff8000
	s_and_saveexec_b64 s[8:9], vcc
	s_cbranch_execz .LBB889_382
; %bb.379:
	s_movk_i32 s10, 0x7f
	v_and_b32_e32 v45, 0x7f, v22
	v_cmp_ne_u32_e32 vcc, s10, v45
	v_mov_b32_e32 v24, 0x7f80
	s_and_saveexec_b64 s[10:11], vcc
	s_cbranch_execz .LBB889_381
; %bb.380:
	v_and_b32_e32 v24, 7, v22
	v_ffbh_u32_e32 v52, v24
	v_min_u32_e32 v55, 32, v52
	v_subrev_u32_e32 v52, 28, v55
	v_lshlrev_b64 v[52:53], v52, v[22:23]
	v_lshrrev_b32_e32 v54, 3, v45
	v_sub_u32_e32 v22, 29, v55
	v_and_b32_e32 v52, 7, v52
	v_cmp_gt_u32_e32 vcc, 8, v45
	v_cndmask_b32_e32 v22, v54, v22, vcc
	v_cndmask_b32_e32 v24, v24, v52, vcc
	v_lshlrev_b32_e32 v45, 16, v25
	v_bfrev_b32_e32 v52, 60
	v_lshlrev_b32_e32 v24, 20, v24
	v_and_b32_e32 v45, 0x80000000, v45
	v_lshl_add_u32 v22, v22, 23, v52
	v_or3_b32 v22, v45, v22, v24
	v_lshrrev_b32_e32 v24, 16, v22
.LBB889_381:
	s_or_b64 exec, exec, s[10:11]
.LBB889_382:
	s_or_b64 exec, exec, s[8:9]
.LBB889_383:
	s_or_b64 exec, exec, s[2:3]
	s_movk_i32 s2, 0xff
	v_and_b32_sdwa v45, v25, s2 dst_sel:DWORD dst_unused:UNUSED_PAD src0_sel:WORD_1 src1_sel:DWORD
	v_lshrrev_b32_e32 v22, 16, v25
	v_cmp_ne_u16_e32 vcc, 0, v45
	v_mov_b32_e32 v52, 0
	v_mov_b32_e32 v53, 0
	s_and_saveexec_b64 s[2:3], vcc
	s_cbranch_execz .LBB889_389
; %bb.384:
	s_movk_i32 s8, 0x80
	v_cmp_ne_u16_e32 vcc, s8, v45
	v_mov_b32_e32 v53, 0xffff8000
	s_and_saveexec_b64 s[8:9], vcc
	s_cbranch_execz .LBB889_388
; %bb.385:
	v_bfe_u32 v45, v25, 16, 7
	s_movk_i32 s10, 0x7f
	v_cmp_ne_u32_e32 vcc, s10, v45
	v_mov_b32_e32 v53, 0x7f80
	s_and_saveexec_b64 s[10:11], vcc
	s_cbranch_execz .LBB889_387
; %bb.386:
	v_and_b32_e32 v53, 7, v22
	v_ffbh_u32_e32 v54, v53
	v_min_u32_e32 v57, 32, v54
	v_subrev_u32_e32 v54, 28, v57
	v_lshlrev_b64 v[54:55], v54, v[22:23]
	v_and_b32_e32 v54, 7, v54
	v_cmp_gt_u32_e32 vcc, 8, v45
	v_lshrrev_b32_e32 v56, 3, v45
	v_sub_u32_e32 v22, 29, v57
	v_cndmask_b32_e32 v45, v53, v54, vcc
	v_mov_b32_e32 v53, 24
	v_cndmask_b32_e32 v22, v56, v22, vcc
	v_lshlrev_b32_sdwa v53, v53, v25 dst_sel:DWORD dst_unused:UNUSED_PAD src0_sel:DWORD src1_sel:WORD_1
	v_bfrev_b32_e32 v54, 60
	v_lshlrev_b32_e32 v45, 20, v45
	v_and_b32_e32 v53, 0x80000000, v53
	v_lshl_add_u32 v22, v22, 23, v54
	v_or3_b32 v22, v53, v22, v45
	v_lshrrev_b32_e32 v53, 16, v22
.LBB889_387:
	s_or_b64 exec, exec, s[10:11]
.LBB889_388:
	s_or_b64 exec, exec, s[8:9]
.LBB889_389:
	s_or_b64 exec, exec, s[2:3]
	s_mov_b32 s2, 0xffffff
	v_and_b32_e32 v45, 63, v0
	v_cmp_lt_u32_e32 vcc, s2, v25
	s_and_saveexec_b64 s[2:3], vcc
	s_cbranch_execz .LBB889_395
; %bb.390:
	v_lshrrev_b32_e32 v22, 24, v25
	s_movk_i32 s8, 0x80
	v_cmp_ne_u32_e32 vcc, s8, v22
	v_mov_b32_e32 v52, 0xffff8000
	s_and_saveexec_b64 s[8:9], vcc
	s_cbranch_execz .LBB889_394
; %bb.391:
	v_bfe_u32 v25, v25, 24, 7
	s_movk_i32 s10, 0x7f
	v_cmp_ne_u32_e32 vcc, s10, v25
	v_mov_b32_e32 v52, 0x7f80
	s_and_saveexec_b64 s[10:11], vcc
	s_cbranch_execz .LBB889_393
; %bb.392:
	v_and_b32_e32 v52, 7, v22
	v_ffbh_u32_e32 v54, v52
	v_min_u32_e32 v57, 32, v54
	v_subrev_u32_e32 v54, 28, v57
	v_lshlrev_b64 v[54:55], v54, v[22:23]
	v_lshrrev_b32_e32 v56, 3, v25
	v_sub_u32_e32 v55, 29, v57
	v_and_b32_e32 v54, 7, v54
	v_cmp_gt_u32_e32 vcc, 8, v25
	v_cndmask_b32_e32 v25, v56, v55, vcc
	v_cndmask_b32_e32 v52, v52, v54, vcc
	v_lshlrev_b32_e32 v22, 24, v22
	v_bfrev_b32_e32 v54, 60
	v_lshlrev_b32_e32 v52, 20, v52
	v_and_b32_e32 v22, 0x80000000, v22
	v_lshl_add_u32 v25, v25, 23, v54
	v_or3_b32 v22, v22, v25, v52
	v_lshrrev_b32_e32 v52, 16, v22
.LBB889_393:
	s_or_b64 exec, exec, s[10:11]
.LBB889_394:
	s_or_b64 exec, exec, s[8:9]
.LBB889_395:
	s_or_b64 exec, exec, s[2:3]
	s_mov_b32 s3, 0x5040100
	v_perm_b32 v43, v43, v44, s3
	v_perm_b32 v42, v23, v42, s3
	s_load_dword s2, s[4:5], 0x1c
	s_mov_b32 s46, 0xff7fffff
	s_waitcnt lgkmcnt(0)
	v_mfma_f32_16x16x16bf16_1k v[26:29], v[42:43], v[18:19], v[26:29]
	v_perm_b32 v19, v52, v53, s3
	v_perm_b32 v18, v24, v51, s3
	v_and_b32_e32 v24, 0xc0, v0
	v_mov_b32_e32 v22, s2
	v_add_u32_e32 v24, s20, v24
	v_mul_f32_e32 v44, s12, v22
	v_lshl_or_b32 v42, v1, 2, v24
	v_mfma_f32_16x16x16bf16_1k v[18:21], v[18:19], v[20:21], v[26:29]
	v_pk_mul_f32 v[22:23], v[44:45], v[36:37] op_sel_hi:[0,1]
	v_pk_mul_f32 v[36:37], v[44:45], v[40:41] op_sel_hi:[0,1]
	;; [unrolled: 1-line block ×4, first 2 shown]
	v_mov_b32_e32 v43, 0xff7fffff
	v_cmp_gt_i32_e64 s[26:27], s33, v42
	v_pk_mul_f32 v[38:39], v[44:45], v[38:39] op_sel_hi:[0,1]
	s_nop 3
	v_pk_mul_f32 v[32:33], v[44:45], v[18:19] op_sel_hi:[0,1]
	v_or_b32_e32 v19, 1, v42
	v_cmp_gt_i32_e64 s[28:29], s33, v19
	v_cndmask_b32_e64 v18, v43, v30, s[26:27]
	v_cndmask_b32_e64 v19, v43, v31, s[28:29]
	v_pk_mul_f32 v[24:25], v[44:45], v[20:21] op_sel_hi:[0,1]
	v_max3_f32 v18, v18, s46, v19
	v_or_b32_e32 v19, 2, v42
	v_or_b32_e32 v20, 3, v42
	v_cmp_gt_i32_e64 s[30:31], s33, v19
	v_cmp_gt_i32_e64 s[34:35], s33, v20
	v_cndmask_b32_e64 v19, v43, v40, s[30:31]
	v_cndmask_b32_e64 v20, v43, v41, s[34:35]
	v_max3_f32 v18, v18, v19, v20
	v_or_b32_e32 v19, 16, v42
	v_or_b32_e32 v20, 17, v42
	v_cmp_gt_i32_e64 s[36:37], s33, v19
	v_cmp_gt_i32_e64 s[38:39], s33, v20
	v_cndmask_b32_e64 v19, v43, v38, s[36:37]
	v_cndmask_b32_e64 v20, v43, v39, s[38:39]
	;; [unrolled: 7-line block ×3, first 2 shown]
	v_max3_f32 v18, v18, v19, v20
	v_or_b32_e32 v19, 32, v42
	v_or_b32_e32 v20, 33, v42
	v_pk_mul_f32 v[34:35], v[44:45], v[34:35] op_sel_hi:[0,1]
	v_cmp_gt_i32_e64 s[16:17], s33, v19
	v_cmp_gt_i32_e64 s[18:19], s33, v20
	v_cndmask_b32_e64 v19, v43, v34, s[16:17]
	v_cndmask_b32_e64 v20, v43, v35, s[18:19]
	v_max3_f32 v18, v18, v19, v20
	v_or_b32_e32 v19, 34, v42
	v_or_b32_e32 v20, 35, v42
	v_cmp_gt_i32_e64 s[12:13], s33, v19
	v_cmp_gt_i32_e64 s[14:15], s33, v20
	v_cndmask_b32_e64 v19, v43, v22, s[12:13]
	v_cndmask_b32_e64 v20, v43, v23, s[14:15]
	v_max3_f32 v18, v18, v19, v20
	v_or_b32_e32 v19, 48, v42
	v_or_b32_e32 v20, 49, v42
	;; [unrolled: 7-line block ×3, first 2 shown]
	v_cmp_gt_i32_e32 vcc, s33, v19
	v_cmp_gt_i32_e64 s[2:3], s33, v20
	v_cndmask_b32_e32 v19, v43, v24, vcc
	v_cndmask_b32_e64 v20, v43, v25, s[2:3]
	v_max3_f32 v18, v18, v19, v20
	v_mbcnt_lo_u32_b32 v19, -1, 0
	v_mbcnt_hi_u32_b32 v19, -1, v19
	v_and_b32_e32 v20, 64, v19
	v_add_u32_e32 v20, 64, v20
	v_xor_b32_e32 v21, 32, v19
	v_cmp_lt_i32_e64 s[40:41], v21, v20
	v_cndmask_b32_e64 v21, v19, v21, s[40:41]
	v_lshlrev_b32_e32 v43, 2, v21
	ds_bpermute_b32 v21, v43, v18
	s_barrier
	s_waitcnt lgkmcnt(0)
	v_max_f32_e32 v21, v21, v21
	v_max_f32_e32 v18, v18, v21
	v_xor_b32_e32 v21, 16, v19
	v_cmp_lt_i32_e64 s[40:41], v21, v20
	v_cndmask_b32_e64 v19, v19, v21, s[40:41]
	v_lshlrev_b32_e32 v44, 2, v19
	ds_bpermute_b32 v19, v44, v18
	s_waitcnt lgkmcnt(0)
	v_max_f32_e32 v19, v19, v19
	v_max_f32_e32 v42, v18, v19
	v_sub_f32_e32 v21, v40, v42
	v_sub_f32_e32 v26, v41, v42
	v_mul_f32_e32 v21, 0x3fb8aa3b, v21
	v_mul_f32_e32 v26, 0x3fb8aa3b, v26
	v_sub_f32_e32 v18, v30, v42
	v_exp_f32_e32 v21, v21
	v_exp_f32_e32 v26, v26
	v_mul_f32_e32 v18, 0x3fb8aa3b, v18
	v_sub_f32_e32 v19, v31, v42
	v_exp_f32_e32 v18, v18
	v_mul_f32_e32 v19, 0x3fb8aa3b, v19
	v_exp_f32_e32 v19, v19
	v_cndmask_b32_e64 v28, 0, v21, s[30:31]
	v_cndmask_b32_e64 v29, 0, v26, s[34:35]
	v_sub_f32_e32 v21, v38, v42
	v_sub_f32_e32 v26, v39, v42
	v_mul_f32_e32 v21, 0x3fb8aa3b, v21
	v_mul_f32_e32 v26, 0x3fb8aa3b, v26
	v_cndmask_b32_e64 v18, 0, v18, s[26:27]
	v_exp_f32_e32 v21, v21
	v_exp_f32_e32 v26, v26
	v_add_f32_e32 v20, 0, v18
	v_cndmask_b32_e64 v19, 0, v19, s[28:29]
	v_add_f32_e32 v20, v20, v19
	v_add_f32_e32 v20, v20, v28
	;; [unrolled: 1-line block ×3, first 2 shown]
	v_cndmask_b32_e64 v20, 0, v21, s[36:37]
	v_cndmask_b32_e64 v21, 0, v26, s[38:39]
	v_sub_f32_e32 v26, v36, v42
	v_mul_f32_e32 v26, 0x3fb8aa3b, v26
	v_exp_f32_e32 v26, v26
	v_sub_f32_e32 v30, v37, v42
	v_add_f32_e32 v27, v27, v20
	v_mul_f32_e32 v30, 0x3fb8aa3b, v30
	v_exp_f32_e32 v31, v30
	v_add_f32_e32 v27, v27, v21
	v_cndmask_b32_e64 v30, 0, v26, s[20:21]
	v_add_f32_e32 v26, v27, v30
	v_sub_f32_e32 v27, v34, v42
	v_mul_f32_e32 v27, 0x3fb8aa3b, v27
	v_sub_f32_e32 v34, v35, v42
	v_exp_f32_e32 v27, v27
	v_mul_f32_e32 v34, 0x3fb8aa3b, v34
	v_sub_f32_e32 v22, v22, v42
	v_exp_f32_e32 v34, v34
	;; [unrolled: 3-line block ×3, first 2 shown]
	v_mul_f32_e32 v23, 0x3fb8aa3b, v23
	v_cndmask_b32_e64 v31, 0, v31, s[22:23]
	v_exp_f32_e32 v23, v23
	v_add_f32_e32 v35, v26, v31
	v_cndmask_b32_e64 v26, 0, v27, s[16:17]
	v_add_f32_e32 v35, v35, v26
	v_cndmask_b32_e64 v27, 0, v34, s[18:19]
	;; [unrolled: 2-line block ×4, first 2 shown]
	v_sub_f32_e32 v23, v32, v42
	v_mul_f32_e32 v23, 0x3fb8aa3b, v23
	v_sub_f32_e32 v32, v33, v42
	v_exp_f32_e32 v23, v23
	v_mul_f32_e32 v32, 0x3fb8aa3b, v32
	v_sub_f32_e32 v24, v24, v42
	v_exp_f32_e32 v32, v32
	;; [unrolled: 3-line block ×3, first 2 shown]
	v_mul_f32_e32 v25, 0x3fb8aa3b, v25
	v_exp_f32_e32 v25, v25
	v_add_f32_e32 v33, v22, v35
	v_cndmask_b32_e64 v22, 0, v23, s[8:9]
	v_add_f32_e32 v33, v33, v22
	v_cndmask_b32_e64 v23, 0, v32, s[10:11]
	v_add_f32_e32 v32, v33, v23
	v_cndmask_b32_e32 v24, 0, v24, vcc
	v_add_f32_e32 v32, v32, v24
	v_cndmask_b32_e64 v25, 0, v25, s[2:3]
	v_add_f32_e32 v32, v32, v25
	ds_bpermute_b32 v33, v43, v32
	v_cmp_gt_u32_e32 vcc, 16, v45
	s_waitcnt lgkmcnt(0)
	v_add_f32_e32 v32, v32, v33
	ds_bpermute_b32 v36, v44, v32
	v_lshlrev_b32_e32 v33, 2, v49
	s_and_saveexec_b64 s[2:3], vcc
	s_cbranch_execz .LBB889_397
; %bb.396:
	s_waitcnt lgkmcnt(0)
	v_add_f32_e32 v32, v32, v36
	v_lshl_or_b32 v36, v50, 6, v33
	ds_write2st64_b32 v36, v42, v32 offset1:1
.LBB889_397:
	s_or_b64 exec, exec, s[2:3]
	s_waitcnt lgkmcnt(0)
	s_barrier
	ds_read2_b32 v[36:37], v33 offset1:16
	ds_read2_b32 v[38:39], v33 offset0:32 offset1:48
	ds_read2_b32 v[40:41], v33 offset0:64 offset1:80
	s_mul_i32 s12, s45, 12
	s_waitcnt lgkmcnt(2)
	v_max3_f32 v32, v36, s46, v37
	s_waitcnt lgkmcnt(1)
	v_max3_f32 v32, v32, v38, v39
	v_sub_f32_e32 v36, v36, v32
	v_mul_f32_e32 v36, 0x3fb8aa3b, v36
	v_exp_f32_e32 v42, v36
	v_sub_f32_e32 v36, v37, v32
	v_mul_f32_e32 v36, 0x3fb8aa3b, v36
	v_exp_f32_e32 v43, v36
	;; [unrolled: 3-line block ×3, first 2 shown]
	ds_read2_b32 v[36:37], v33 offset0:96 offset1:112
	v_sub_f32_e32 v33, v39, v32
	v_mul_f32_e32 v33, 0x3fb8aa3b, v33
	v_exp_f32_e32 v39, v33
	s_waitcnt lgkmcnt(1)
	v_fma_f32 v33, v42, v40, 0
	v_fmac_f32_e32 v33, v43, v41
	s_waitcnt lgkmcnt(0)
	v_fmac_f32_e32 v33, v38, v36
	v_fmac_f32_e32 v33, v39, v37
	v_add_f32_e32 v36, 0x358637bd, v33
	v_div_scale_f32 v37, s[2:3], v36, v36, 1.0
	v_rcp_f32_e32 v40, v37
	s_movk_i32 s2, 0x7fff
	s_mov_b32 s3, 0x7060302
	v_fma_f32 v41, -v37, v40, 1.0
	v_fmac_f32_e32 v40, v41, v40
	v_div_scale_f32 v41, vcc, 1.0, v36, 1.0
	v_mul_f32_e32 v44, v41, v40
	v_fma_f32 v45, -v37, v44, v41
	v_fmac_f32_e32 v44, v45, v40
	v_fma_f32 v37, -v37, v44, v41
	v_div_fmas_f32 v37, v37, v40, v44
	v_cmp_eq_u32_e32 vcc, 1, v50
	v_div_fixup_f32 v36, v37, v36, 1.0
	v_cndmask_b32_e32 v37, v42, v43, vcc
	v_cmp_eq_u32_e32 vcc, 2, v50
	v_cndmask_b32_e32 v37, v37, v38, vcc
	v_cmp_eq_u32_e32 vcc, 3, v50
	v_cndmask_b32_e32 v37, v37, v39, vcc
	v_mul_f32_e32 v36, v37, v36
	v_pk_mul_f32 v[18:19], v[36:37], v[18:19] op_sel_hi:[0,1]
	v_pk_mul_f32 v[28:29], v[36:37], v[28:29] op_sel_hi:[0,1]
	v_bfe_u32 v37, v19, 16, 1
	v_bfe_u32 v38, v18, 16, 1
	v_add3_u32 v18, v18, v38, s2
	v_add3_u32 v19, v19, v37, s2
	v_perm_b32 v18, v19, v18, s3
	v_bfe_u32 v19, v29, 16, 1
	v_bfe_u32 v37, v28, 16, 1
	v_add3_u32 v28, v28, v37, s2
	v_add3_u32 v19, v29, v19, s2
	v_perm_b32 v19, v19, v28, s3
	v_lshlrev_b32_e32 v28, 3, v1
	v_lshlrev_b32_e32 v29, 11, v50
	v_pk_mul_f32 v[20:21], v[36:37], v[20:21] op_sel_hi:[0,1]
	v_or3_b32 v28, v29, v48, v28
	v_pk_mul_f32 v[30:31], v[36:37], v[30:31] op_sel_hi:[0,1]
	v_bfe_u32 v29, v21, 16, 1
	v_bfe_u32 v37, v20, 16, 1
	v_add3_u32 v20, v20, v37, s2
	v_add3_u32 v21, v21, v29, s2
	v_perm_b32 v20, v21, v20, s3
	v_bfe_u32 v21, v31, 16, 1
	v_bfe_u32 v29, v30, 16, 1
	v_add3_u32 v29, v30, v29, s2
	v_add3_u32 v21, v31, v21, s2
	v_perm_b32 v21, v21, v29, s3
	s_barrier
	ds_write2st64_b64 v28, v[18:19], v[20:21] offset1:1
	v_pk_mul_f32 v[20:21], v[36:37], v[26:27] op_sel_hi:[0,1]
	v_bfe_u32 v26, v21, 16, 1
	v_bfe_u32 v27, v20, 16, 1
	v_pk_mul_f32 v[18:19], v[36:37], v[34:35] op_sel_hi:[0,1]
	v_add3_u32 v20, v20, v27, s2
	v_add3_u32 v21, v21, v26, s2
	v_perm_b32 v20, v21, v20, s3
	v_bfe_u32 v21, v19, 16, 1
	v_bfe_u32 v26, v18, 16, 1
	v_add3_u32 v18, v18, v26, s2
	v_add3_u32 v19, v19, v21, s2
	v_pk_mul_f32 v[22:23], v[36:37], v[22:23] op_sel_hi:[0,1]
	v_perm_b32 v21, v19, v18, s3
	v_pk_mul_f32 v[18:19], v[36:37], v[24:25] op_sel_hi:[0,1]
	v_bfe_u32 v24, v23, 16, 1
	v_bfe_u32 v25, v22, 16, 1
	v_add3_u32 v22, v22, v25, s2
	v_add3_u32 v23, v23, v24, s2
	v_perm_b32 v22, v23, v22, s3
	v_bfe_u32 v23, v19, 16, 1
	v_bfe_u32 v24, v18, 16, 1
	v_add3_u32 v18, v18, v24, s2
	v_add3_u32 v19, v19, v23, s2
	v_perm_b32 v23, v19, v18, s3
	v_cmp_gt_u32_e32 vcc, 12, v0
	ds_write2st64_b64 v28, v[20:21], v[22:23] offset0:2 offset1:3
	s_and_saveexec_b64 s[2:3], vcc
	s_cbranch_execz .LBB889_399
; %bb.398:
	v_add_co_u32_e32 v20, vcc, s25, v49
	v_addc_co_u32_e64 v21, s[14:15], 0, 0, vcc
	v_mov_b32_e32 v18, s12
	v_mov_b32_e32 v19, 0
	v_mad_u64_u32 v[20:21], s[14:15], s6, v18, v[20:21]
	v_mov_b32_e32 v18, s24
	s_load_dwordx4 s[8:11], s[4:5], 0x58
	s_mul_i32 s7, s7, s12
	v_mad_u64_u32 v[18:19], s[14:15], v20, s44, v[18:19]
	v_add_u32_e32 v21, s7, v21
	v_mov_b32_e32 v20, v19
	v_mad_u64_u32 v[20:21], s[14:15], v21, s44, v[20:21]
	v_mov_b32_e32 v19, v20
	v_lshlrev_b64 v[18:19], 2, v[18:19]
	s_waitcnt lgkmcnt(0)
	v_mov_b32_e32 v21, s11
	v_add_co_u32_e32 v20, vcc, s10, v18
	v_addc_co_u32_e32 v21, vcc, v21, v19, vcc
	global_store_dword v[20:21], v32, off
	v_mov_b32_e32 v20, s9
	v_add_co_u32_e32 v18, vcc, s8, v18
	v_addc_co_u32_e32 v19, vcc, v20, v19, vcc
	global_store_dword v[18:19], v33, off
.LBB889_399:
	s_or_b64 exec, exec, s[2:3]
	v_mov_b32_e32 v19, 0
	s_waitcnt vmcnt(3)
	v_cmp_ne_u16_sdwa s[8:9], v14, v19 src0_sel:BYTE_0 src1_sel:DWORD
	v_mov_b32_e32 v20, 0
	s_waitcnt lgkmcnt(0)
	s_barrier
	s_and_saveexec_b64 s[2:3], s[8:9]
	s_cbranch_execz .LBB889_405
; %bb.400:
	s_movk_i32 s7, 0x80
	v_cmp_ne_u16_sdwa s[10:11], v14, s7 src0_sel:BYTE_0 src1_sel:DWORD
	v_mov_b32_e32 v20, 0xffff8000
	s_and_saveexec_b64 s[8:9], s[10:11]
	s_cbranch_execz .LBB889_404
; %bb.401:
	s_movk_i32 s7, 0x7f
	v_and_b32_e32 v18, 0x7f, v14
	v_cmp_ne_u32_e32 vcc, s7, v18
	v_mov_b32_e32 v20, 0x7f80
	s_and_saveexec_b64 s[10:11], vcc
	s_cbranch_execz .LBB889_403
; %bb.402:
	v_and_b32_e32 v22, 7, v14
	v_ffbh_u32_e32 v20, v22
	v_min_u32_e32 v24, 32, v20
	v_subrev_u32_e32 v20, 28, v24
	v_lshlrev_b64 v[20:21], v20, v[14:15]
	v_lshrrev_b32_e32 v23, 3, v18
	v_sub_u32_e32 v21, 29, v24
	v_and_b32_e32 v20, 7, v20
	v_cmp_gt_u32_e32 vcc, 8, v18
	v_cndmask_b32_e32 v18, v23, v21, vcc
	v_cndmask_b32_e32 v20, v22, v20, vcc
	v_lshlrev_b32_e32 v21, 24, v14
	v_bfrev_b32_e32 v22, 60
	v_lshlrev_b32_e32 v20, 20, v20
	v_and_b32_e32 v21, 0x80000000, v21
	v_lshl_add_u32 v18, v18, 23, v22
	v_or3_b32 v18, v21, v18, v20
	v_lshrrev_b32_e32 v20, 16, v18
.LBB889_403:
	s_or_b64 exec, exec, s[10:11]
.LBB889_404:
	s_or_b64 exec, exec, s[8:9]
.LBB889_405:
	s_or_b64 exec, exec, s[2:3]
	v_lshrrev_b16_e32 v18, 8, v14
	v_cmp_ne_u16_e32 vcc, 0, v18
	s_and_saveexec_b64 s[2:3], vcc
	s_cbranch_execz .LBB889_411
; %bb.406:
	s_movk_i32 s7, 0x80
	v_cmp_ne_u16_e32 vcc, s7, v18
	v_mov_b32_e32 v19, 0xffff8000
	s_and_saveexec_b64 s[8:9], vcc
	s_cbranch_execz .LBB889_410
; %bb.407:
	s_movk_i32 s7, 0x7f
	v_and_b32_e32 v21, 0x7f, v18
	v_cmp_ne_u32_e32 vcc, s7, v21
	v_mov_b32_e32 v19, 0x7f80
	s_and_saveexec_b64 s[10:11], vcc
	s_cbranch_execz .LBB889_409
; %bb.408:
	v_and_b32_e32 v22, 7, v18
	v_ffbh_u32_e32 v19, v22
	v_min_u32_e32 v24, 32, v19
	v_subrev_u32_e32 v19, 28, v24
	v_lshlrev_b64 v[18:19], v19, v[18:19]
	v_lshrrev_b32_e32 v23, 3, v21
	v_sub_u32_e32 v19, 29, v24
	v_and_b32_e32 v18, 7, v18
	v_cmp_gt_u32_e32 vcc, 8, v21
	v_cndmask_b32_e32 v19, v23, v19, vcc
	v_cndmask_b32_e32 v18, v22, v18, vcc
	v_lshlrev_b32_e32 v21, 16, v14
	v_bfrev_b32_e32 v22, 60
	v_lshlrev_b32_e32 v18, 20, v18
	v_and_b32_e32 v21, 0x80000000, v21
	v_lshl_add_u32 v19, v19, 23, v22
	v_or3_b32 v18, v21, v19, v18
	v_lshrrev_b32_e32 v19, 16, v18
.LBB889_409:
	s_or_b64 exec, exec, s[10:11]
.LBB889_410:
	s_or_b64 exec, exec, s[8:9]
.LBB889_411:
	s_or_b64 exec, exec, s[2:3]
	s_movk_i32 s2, 0xff
	v_and_b32_sdwa v23, v14, s2 dst_sel:DWORD dst_unused:UNUSED_PAD src0_sel:WORD_1 src1_sel:DWORD
	v_lshrrev_b32_e32 v18, 16, v14
	v_cmp_ne_u16_e32 vcc, 0, v23
	v_mov_b32_e32 v21, 0
	v_mov_b32_e32 v22, 0
	s_and_saveexec_b64 s[2:3], vcc
	s_cbranch_execz .LBB889_417
; %bb.412:
	s_movk_i32 s7, 0x80
	v_cmp_ne_u16_e32 vcc, s7, v23
	v_mov_b32_e32 v22, 0xffff8000
	s_and_saveexec_b64 s[8:9], vcc
	s_cbranch_execz .LBB889_416
; %bb.413:
	v_bfe_u32 v23, v14, 16, 7
	s_movk_i32 s7, 0x7f
	v_cmp_ne_u32_e32 vcc, s7, v23
	v_mov_b32_e32 v22, 0x7f80
	s_and_saveexec_b64 s[10:11], vcc
	s_cbranch_execz .LBB889_415
; %bb.414:
	v_and_b32_e32 v22, 7, v18
	v_ffbh_u32_e32 v24, v22
	v_min_u32_e32 v27, 32, v24
	v_subrev_u32_e32 v24, 28, v27
	v_lshlrev_b64 v[24:25], v24, v[18:19]
	v_lshrrev_b32_e32 v26, 3, v23
	v_sub_u32_e32 v18, 29, v27
	v_and_b32_e32 v24, 7, v24
	v_cmp_gt_u32_e32 vcc, 8, v23
	v_mov_b32_e32 v23, 24
	v_cndmask_b32_e32 v18, v26, v18, vcc
	v_cndmask_b32_e32 v22, v22, v24, vcc
	v_lshlrev_b32_sdwa v23, v23, v14 dst_sel:DWORD dst_unused:UNUSED_PAD src0_sel:DWORD src1_sel:WORD_1
	v_bfrev_b32_e32 v24, 60
	v_lshlrev_b32_e32 v22, 20, v22
	v_and_b32_e32 v23, 0x80000000, v23
	v_lshl_add_u32 v18, v18, 23, v24
	v_or3_b32 v18, v23, v18, v22
	v_lshrrev_b32_e32 v22, 16, v18
.LBB889_415:
	s_or_b64 exec, exec, s[10:11]
.LBB889_416:
	s_or_b64 exec, exec, s[8:9]
.LBB889_417:
	s_or_b64 exec, exec, s[2:3]
	s_mov_b32 s2, 0xffffff
	v_cmp_lt_u32_e32 vcc, s2, v14
	s_and_saveexec_b64 s[2:3], vcc
	s_cbranch_execz .LBB889_423
; %bb.418:
	v_lshrrev_b32_e32 v18, 24, v14
	s_movk_i32 s7, 0x80
	v_cmp_ne_u32_e32 vcc, s7, v18
	v_mov_b32_e32 v21, 0xffff8000
	s_and_saveexec_b64 s[8:9], vcc
	s_cbranch_execz .LBB889_422
; %bb.419:
	v_bfe_u32 v14, v14, 24, 7
	s_movk_i32 s7, 0x7f
	v_cmp_ne_u32_e32 vcc, s7, v14
	v_mov_b32_e32 v21, 0x7f80
	s_and_saveexec_b64 s[10:11], vcc
	s_cbranch_execz .LBB889_421
; %bb.420:
	v_and_b32_e32 v21, 7, v18
	v_ffbh_u32_e32 v24, v21
	v_min_u32_e32 v26, 32, v24
	v_subrev_u32_e32 v24, 28, v26
	v_lshlrev_b64 v[24:25], v24, v[18:19]
	v_lshrrev_b32_e32 v23, 3, v14
	v_sub_u32_e32 v25, 29, v26
	v_and_b32_e32 v24, 7, v24
	v_cmp_gt_u32_e32 vcc, 8, v14
	v_cndmask_b32_e32 v14, v23, v25, vcc
	v_cndmask_b32_e32 v21, v21, v24, vcc
	v_lshlrev_b32_e32 v18, 24, v18
	v_bfrev_b32_e32 v23, 60
	v_lshlrev_b32_e32 v21, 20, v21
	v_and_b32_e32 v18, 0x80000000, v18
	v_lshl_add_u32 v14, v14, 23, v23
	v_or3_b32 v14, v18, v14, v21
	v_lshrrev_b32_e32 v21, 16, v14
.LBB889_421:
	s_or_b64 exec, exec, s[10:11]
.LBB889_422:
	s_or_b64 exec, exec, s[8:9]
.LBB889_423:
	s_or_b64 exec, exec, s[2:3]
	v_mov_b32_e32 v18, 0
	v_cmp_ne_u16_sdwa s[8:9], v15, v18 src0_sel:BYTE_0 src1_sel:DWORD
	v_mov_b32_e32 v23, 0
	s_and_saveexec_b64 s[2:3], s[8:9]
	s_cbranch_execz .LBB889_429
; %bb.424:
	s_movk_i32 s7, 0x80
	v_cmp_ne_u16_sdwa s[10:11], v15, s7 src0_sel:BYTE_0 src1_sel:DWORD
	v_mov_b32_e32 v23, 0xffff8000
	s_and_saveexec_b64 s[8:9], s[10:11]
	s_cbranch_execz .LBB889_428
; %bb.425:
	s_movk_i32 s7, 0x7f
	v_and_b32_e32 v14, 0x7f, v15
	v_cmp_ne_u32_e32 vcc, s7, v14
	v_mov_b32_e32 v23, 0x7f80
	s_and_saveexec_b64 s[10:11], vcc
	s_cbranch_execz .LBB889_427
; %bb.426:
	v_and_b32_e32 v23, 7, v15
	v_ffbh_u32_e32 v25, v23
	v_min_u32_e32 v27, 32, v25
	v_mov_b32_e32 v24, v15
	v_subrev_u32_e32 v25, 28, v27
	v_lshlrev_b64 v[24:25], v25, v[24:25]
	v_lshrrev_b32_e32 v26, 3, v14
	v_sub_u32_e32 v25, 29, v27
	v_and_b32_e32 v24, 7, v24
	v_cmp_gt_u32_e32 vcc, 8, v14
	v_cndmask_b32_e32 v14, v26, v25, vcc
	v_cndmask_b32_e32 v23, v23, v24, vcc
	v_lshlrev_b32_e32 v24, 24, v15
	v_bfrev_b32_e32 v25, 60
	v_lshlrev_b32_e32 v23, 20, v23
	v_and_b32_e32 v24, 0x80000000, v24
	v_lshl_add_u32 v14, v14, 23, v25
	v_or3_b32 v14, v24, v14, v23
	v_lshrrev_b32_e32 v23, 16, v14
.LBB889_427:
	s_or_b64 exec, exec, s[10:11]
.LBB889_428:
	s_or_b64 exec, exec, s[8:9]
.LBB889_429:
	s_or_b64 exec, exec, s[2:3]
	v_lshrrev_b16_e32 v14, 8, v15
	v_cmp_ne_u16_e32 vcc, 0, v14
	s_and_saveexec_b64 s[2:3], vcc
	s_cbranch_execz .LBB889_435
; %bb.430:
	s_movk_i32 s7, 0x80
	v_cmp_ne_u16_e32 vcc, s7, v14
	v_mov_b32_e32 v18, 0xffff8000
	s_and_saveexec_b64 s[8:9], vcc
	s_cbranch_execz .LBB889_434
; %bb.431:
	s_movk_i32 s7, 0x7f
	v_and_b32_e32 v24, 0x7f, v14
	v_cmp_ne_u32_e32 vcc, s7, v24
	v_mov_b32_e32 v18, 0x7f80
	s_and_saveexec_b64 s[10:11], vcc
	s_cbranch_execz .LBB889_433
; %bb.432:
	v_and_b32_e32 v18, 7, v14
	v_ffbh_u32_e32 v26, v18
	v_min_u32_e32 v29, 32, v26
	v_subrev_u32_e32 v26, 28, v29
	v_lshlrev_b64 v[26:27], v26, v[14:15]
	v_lshrrev_b32_e32 v25, 3, v24
	v_sub_u32_e32 v14, 29, v29
	v_and_b32_e32 v26, 7, v26
	v_cmp_gt_u32_e32 vcc, 8, v24
	v_cndmask_b32_e32 v14, v25, v14, vcc
	v_cndmask_b32_e32 v18, v18, v26, vcc
	v_lshlrev_b32_e32 v24, 16, v15
	v_bfrev_b32_e32 v25, 60
	v_lshlrev_b32_e32 v18, 20, v18
	v_and_b32_e32 v24, 0x80000000, v24
	v_lshl_add_u32 v14, v14, 23, v25
	v_or3_b32 v14, v24, v14, v18
	v_lshrrev_b32_e32 v18, 16, v14
.LBB889_433:
	s_or_b64 exec, exec, s[10:11]
.LBB889_434:
	s_or_b64 exec, exec, s[8:9]
.LBB889_435:
	s_or_b64 exec, exec, s[2:3]
	s_movk_i32 s2, 0xff
	v_and_b32_sdwa v26, v15, s2 dst_sel:DWORD dst_unused:UNUSED_PAD src0_sel:WORD_1 src1_sel:DWORD
	v_lshrrev_b32_e32 v14, 16, v15
	v_cmp_ne_u16_e32 vcc, 0, v26
	v_mov_b32_e32 v24, 0
	v_mov_b32_e32 v25, 0
	s_and_saveexec_b64 s[2:3], vcc
	s_cbranch_execz .LBB889_441
; %bb.436:
	s_movk_i32 s7, 0x80
	v_cmp_ne_u16_e32 vcc, s7, v26
	v_mov_b32_e32 v25, 0xffff8000
	s_and_saveexec_b64 s[8:9], vcc
	s_cbranch_execz .LBB889_440
; %bb.437:
	v_bfe_u32 v26, v15, 16, 7
	s_movk_i32 s7, 0x7f
	v_cmp_ne_u32_e32 vcc, s7, v26
	v_mov_b32_e32 v25, 0x7f80
	s_and_saveexec_b64 s[10:11], vcc
	s_cbranch_execz .LBB889_439
; %bb.438:
	v_and_b32_e32 v25, 7, v14
	v_ffbh_u32_e32 v29, v25
	v_min_u32_e32 v29, 32, v29
	v_subrev_u32_e32 v30, 28, v29
	v_lshlrev_b64 v[30:31], v30, v[14:15]
	v_lshrrev_b32_e32 v27, 3, v26
	v_sub_u32_e32 v14, 29, v29
	v_and_b32_e32 v29, 7, v30
	v_cmp_gt_u32_e32 vcc, 8, v26
	v_mov_b32_e32 v26, 24
	v_cndmask_b32_e32 v14, v27, v14, vcc
	v_cndmask_b32_e32 v25, v25, v29, vcc
	v_lshlrev_b32_sdwa v26, v26, v15 dst_sel:DWORD dst_unused:UNUSED_PAD src0_sel:DWORD src1_sel:WORD_1
	v_bfrev_b32_e32 v27, 60
	v_lshlrev_b32_e32 v25, 20, v25
	v_and_b32_e32 v26, 0x80000000, v26
	v_lshl_add_u32 v14, v14, 23, v27
	v_or3_b32 v14, v26, v14, v25
	v_lshrrev_b32_e32 v25, 16, v14
.LBB889_439:
	s_or_b64 exec, exec, s[10:11]
.LBB889_440:
	s_or_b64 exec, exec, s[8:9]
.LBB889_441:
	s_or_b64 exec, exec, s[2:3]
	s_mov_b32 s2, 0xffffff
	v_cmp_lt_u32_e32 vcc, s2, v15
	s_and_saveexec_b64 s[2:3], vcc
	s_cbranch_execz .LBB889_447
; %bb.442:
	v_lshrrev_b32_e32 v14, 24, v15
	s_movk_i32 s7, 0x80
	v_cmp_ne_u32_e32 vcc, s7, v14
	v_mov_b32_e32 v24, 0xffff8000
	s_and_saveexec_b64 s[8:9], vcc
	s_cbranch_execz .LBB889_446
; %bb.443:
	v_bfe_u32 v15, v15, 24, 7
	s_movk_i32 s7, 0x7f
	v_cmp_ne_u32_e32 vcc, s7, v15
	v_mov_b32_e32 v24, 0x7f80
	s_and_saveexec_b64 s[10:11], vcc
	s_cbranch_execz .LBB889_445
; %bb.444:
	v_and_b32_e32 v24, 7, v14
	v_ffbh_u32_e32 v26, v24
	v_min_u32_e32 v30, 32, v26
	v_subrev_u32_e32 v26, 28, v30
	v_lshlrev_b64 v[26:27], v26, v[14:15]
	v_lshrrev_b32_e32 v29, 3, v15
	v_sub_u32_e32 v27, 29, v30
	v_and_b32_e32 v26, 7, v26
	v_cmp_gt_u32_e32 vcc, 8, v15
	v_cndmask_b32_e32 v15, v29, v27, vcc
	v_cndmask_b32_e32 v24, v24, v26, vcc
	v_lshlrev_b32_e32 v14, 24, v14
	v_bfrev_b32_e32 v26, 60
	v_lshlrev_b32_e32 v24, 20, v24
	v_and_b32_e32 v14, 0x80000000, v14
	v_lshl_add_u32 v15, v15, 23, v26
	v_or3_b32 v14, v14, v15, v24
	v_lshrrev_b32_e32 v24, 16, v14
.LBB889_445:
	s_or_b64 exec, exec, s[10:11]
.LBB889_446:
	s_or_b64 exec, exec, s[8:9]
.LBB889_447:
	s_or_b64 exec, exec, s[2:3]
	s_mov_b32 s2, 0x5040100
	v_perm_b32 v15, v21, v22, s2
	v_lshl_or_b32 v22, v1, 9, v48
	v_perm_b32 v14, v19, v20, s2
	ds_read_b128 v[30:33], v22
	v_perm_b32 v19, v24, v25, s2
	v_perm_b32 v18, v18, v23, s2
	s_waitcnt lgkmcnt(0)
	v_mfma_f32_16x16x16bf16_1k v[34:37], v[14:15], v[30:31], 0
	v_mov_b32_e32 v15, 0
	v_cmp_ne_u16_sdwa s[8:9], v16, v15 src0_sel:BYTE_0 src1_sel:DWORD
	v_mov_b32_e32 v23, 0
	v_mfma_f32_16x16x16bf16_1k v[18:21], v[18:19], v[32:33], v[34:37]
	s_and_saveexec_b64 s[2:3], s[8:9]
	s_cbranch_execz .LBB889_453
; %bb.448:
	s_movk_i32 s7, 0x80
	v_cmp_ne_u16_sdwa s[10:11], v16, s7 src0_sel:BYTE_0 src1_sel:DWORD
	v_mov_b32_e32 v23, 0xffff8000
	s_and_saveexec_b64 s[8:9], s[10:11]
	s_cbranch_execz .LBB889_452
; %bb.449:
	s_movk_i32 s7, 0x7f
	v_and_b32_e32 v14, 0x7f, v16
	v_cmp_ne_u32_e32 vcc, s7, v14
	v_mov_b32_e32 v23, 0x7f80
	s_and_saveexec_b64 s[10:11], vcc
	s_cbranch_execz .LBB889_451
; %bb.450:
	v_and_b32_e32 v23, 7, v16
	v_ffbh_u32_e32 v24, v23
	v_min_u32_e32 v27, 32, v24
	v_subrev_u32_e32 v24, 28, v27
	v_lshlrev_b64 v[24:25], v24, v[16:17]
	v_lshrrev_b32_e32 v26, 3, v14
	v_sub_u32_e32 v25, 29, v27
	v_and_b32_e32 v24, 7, v24
	v_cmp_gt_u32_e32 vcc, 8, v14
	v_cndmask_b32_e32 v14, v26, v25, vcc
	v_cndmask_b32_e32 v23, v23, v24, vcc
	v_lshlrev_b32_e32 v24, 24, v16
	v_bfrev_b32_e32 v25, 60
	v_lshlrev_b32_e32 v23, 20, v23
	v_and_b32_e32 v24, 0x80000000, v24
	v_lshl_add_u32 v14, v14, 23, v25
	v_or3_b32 v14, v24, v14, v23
	v_lshrrev_b32_e32 v23, 16, v14
.LBB889_451:
	s_or_b64 exec, exec, s[10:11]
.LBB889_452:
	s_or_b64 exec, exec, s[8:9]
.LBB889_453:
	s_or_b64 exec, exec, s[2:3]
	v_lshrrev_b16_e32 v14, 8, v16
	v_cmp_ne_u16_e32 vcc, 0, v14
	s_and_saveexec_b64 s[2:3], vcc
	s_cbranch_execz .LBB889_459
; %bb.454:
	s_movk_i32 s7, 0x80
	v_cmp_ne_u16_e32 vcc, s7, v14
	v_mov_b32_e32 v15, 0xffff8000
	s_and_saveexec_b64 s[8:9], vcc
	s_cbranch_execz .LBB889_458
; %bb.455:
	s_movk_i32 s7, 0x7f
	v_and_b32_e32 v24, 0x7f, v14
	v_cmp_ne_u32_e32 vcc, s7, v24
	v_mov_b32_e32 v15, 0x7f80
	s_and_saveexec_b64 s[10:11], vcc
	s_cbranch_execz .LBB889_457
; %bb.456:
	v_and_b32_e32 v25, 7, v14
	v_ffbh_u32_e32 v15, v25
	v_min_u32_e32 v27, 32, v15
	v_subrev_u32_e32 v15, 28, v27
	v_lshlrev_b64 v[14:15], v15, v[14:15]
	v_lshrrev_b32_e32 v26, 3, v24
	v_sub_u32_e32 v15, 29, v27
	v_and_b32_e32 v14, 7, v14
	v_cmp_gt_u32_e32 vcc, 8, v24
	v_cndmask_b32_e32 v15, v26, v15, vcc
	v_cndmask_b32_e32 v14, v25, v14, vcc
	v_lshlrev_b32_e32 v24, 16, v16
	v_bfrev_b32_e32 v25, 60
	v_lshlrev_b32_e32 v14, 20, v14
	v_and_b32_e32 v24, 0x80000000, v24
	v_lshl_add_u32 v15, v15, 23, v25
	v_or3_b32 v14, v24, v15, v14
	v_lshrrev_b32_e32 v15, 16, v14
.LBB889_457:
	s_or_b64 exec, exec, s[10:11]
.LBB889_458:
	s_or_b64 exec, exec, s[8:9]
.LBB889_459:
	s_or_b64 exec, exec, s[2:3]
	s_movk_i32 s2, 0xff
	v_and_b32_sdwa v26, v16, s2 dst_sel:DWORD dst_unused:UNUSED_PAD src0_sel:WORD_1 src1_sel:DWORD
	v_lshrrev_b32_e32 v14, 16, v16
	v_cmp_ne_u16_e32 vcc, 0, v26
	v_mov_b32_e32 v24, 0
	v_mov_b32_e32 v25, 0
	s_and_saveexec_b64 s[2:3], vcc
	s_cbranch_execz .LBB889_465
; %bb.460:
	s_movk_i32 s7, 0x80
	v_cmp_ne_u16_e32 vcc, s7, v26
	v_mov_b32_e32 v25, 0xffff8000
	s_and_saveexec_b64 s[8:9], vcc
	s_cbranch_execz .LBB889_464
; %bb.461:
	v_bfe_u32 v26, v16, 16, 7
	s_movk_i32 s7, 0x7f
	v_cmp_ne_u32_e32 vcc, s7, v26
	v_mov_b32_e32 v25, 0x7f80
	s_and_saveexec_b64 s[10:11], vcc
	s_cbranch_execz .LBB889_463
; %bb.462:
	v_and_b32_e32 v25, 7, v14
	v_ffbh_u32_e32 v29, v25
	v_min_u32_e32 v29, 32, v29
	v_subrev_u32_e32 v30, 28, v29
	v_lshlrev_b64 v[30:31], v30, v[14:15]
	v_lshrrev_b32_e32 v27, 3, v26
	v_sub_u32_e32 v14, 29, v29
	v_and_b32_e32 v29, 7, v30
	v_cmp_gt_u32_e32 vcc, 8, v26
	v_mov_b32_e32 v26, 24
	v_cndmask_b32_e32 v14, v27, v14, vcc
	v_cndmask_b32_e32 v25, v25, v29, vcc
	v_lshlrev_b32_sdwa v26, v26, v16 dst_sel:DWORD dst_unused:UNUSED_PAD src0_sel:DWORD src1_sel:WORD_1
	v_bfrev_b32_e32 v27, 60
	v_lshlrev_b32_e32 v25, 20, v25
	v_and_b32_e32 v26, 0x80000000, v26
	v_lshl_add_u32 v14, v14, 23, v27
	v_or3_b32 v14, v26, v14, v25
	v_lshrrev_b32_e32 v25, 16, v14
.LBB889_463:
	s_or_b64 exec, exec, s[10:11]
.LBB889_464:
	s_or_b64 exec, exec, s[8:9]
.LBB889_465:
	s_or_b64 exec, exec, s[2:3]
	s_mov_b32 s2, 0xffffff
	v_cmp_lt_u32_e32 vcc, s2, v16
	s_and_saveexec_b64 s[2:3], vcc
	s_cbranch_execz .LBB889_471
; %bb.466:
	v_lshrrev_b32_e32 v14, 24, v16
	s_movk_i32 s7, 0x80
	v_cmp_ne_u32_e32 vcc, s7, v14
	v_mov_b32_e32 v24, 0xffff8000
	s_and_saveexec_b64 s[8:9], vcc
	s_cbranch_execz .LBB889_470
; %bb.467:
	v_bfe_u32 v16, v16, 24, 7
	s_movk_i32 s7, 0x7f
	v_cmp_ne_u32_e32 vcc, s7, v16
	v_mov_b32_e32 v24, 0x7f80
	s_and_saveexec_b64 s[10:11], vcc
	s_cbranch_execz .LBB889_469
; %bb.468:
	v_and_b32_e32 v24, 7, v14
	v_ffbh_u32_e32 v26, v24
	v_min_u32_e32 v30, 32, v26
	v_subrev_u32_e32 v26, 28, v30
	v_lshlrev_b64 v[26:27], v26, v[14:15]
	v_lshrrev_b32_e32 v29, 3, v16
	v_sub_u32_e32 v27, 29, v30
	v_and_b32_e32 v26, 7, v26
	v_cmp_gt_u32_e32 vcc, 8, v16
	v_cndmask_b32_e32 v16, v29, v27, vcc
	v_cndmask_b32_e32 v24, v24, v26, vcc
	v_lshlrev_b32_e32 v14, 24, v14
	v_bfrev_b32_e32 v26, 60
	v_lshlrev_b32_e32 v24, 20, v24
	v_and_b32_e32 v14, 0x80000000, v14
	v_lshl_add_u32 v16, v16, 23, v26
	v_or3_b32 v14, v14, v16, v24
	v_lshrrev_b32_e32 v24, 16, v14
.LBB889_469:
	s_or_b64 exec, exec, s[10:11]
.LBB889_470:
	s_or_b64 exec, exec, s[8:9]
.LBB889_471:
	s_or_b64 exec, exec, s[2:3]
	v_mov_b32_e32 v16, 0
	v_cmp_ne_u16_sdwa s[8:9], v17, v16 src0_sel:BYTE_0 src1_sel:DWORD
	v_mov_b32_e32 v26, 0
	s_and_saveexec_b64 s[2:3], s[8:9]
	s_cbranch_execz .LBB889_477
; %bb.472:
	s_movk_i32 s7, 0x80
	v_cmp_ne_u16_sdwa s[10:11], v17, s7 src0_sel:BYTE_0 src1_sel:DWORD
	v_mov_b32_e32 v26, 0xffff8000
	s_and_saveexec_b64 s[8:9], s[10:11]
	s_cbranch_execz .LBB889_476
; %bb.473:
	s_movk_i32 s7, 0x7f
	v_and_b32_e32 v14, 0x7f, v17
	v_cmp_ne_u32_e32 vcc, s7, v14
	v_mov_b32_e32 v26, 0x7f80
	s_and_saveexec_b64 s[10:11], vcc
	s_cbranch_execz .LBB889_475
; %bb.474:
	v_and_b32_e32 v29, 7, v17
	v_ffbh_u32_e32 v27, v29
	v_min_u32_e32 v31, 32, v27
	v_mov_b32_e32 v26, v17
	v_subrev_u32_e32 v27, 28, v31
	v_lshlrev_b64 v[26:27], v27, v[26:27]
	v_lshrrev_b32_e32 v30, 3, v14
	v_sub_u32_e32 v27, 29, v31
	v_and_b32_e32 v26, 7, v26
	v_cmp_gt_u32_e32 vcc, 8, v14
	v_cndmask_b32_e32 v14, v30, v27, vcc
	v_cndmask_b32_e32 v26, v29, v26, vcc
	v_lshlrev_b32_e32 v27, 24, v17
	v_bfrev_b32_e32 v29, 60
	v_lshlrev_b32_e32 v26, 20, v26
	v_and_b32_e32 v27, 0x80000000, v27
	v_lshl_add_u32 v14, v14, 23, v29
	v_or3_b32 v14, v27, v14, v26
	v_lshrrev_b32_e32 v26, 16, v14
.LBB889_475:
	s_or_b64 exec, exec, s[10:11]
.LBB889_476:
	s_or_b64 exec, exec, s[8:9]
.LBB889_477:
	s_or_b64 exec, exec, s[2:3]
	v_lshrrev_b16_e32 v14, 8, v17
	v_cmp_ne_u16_e32 vcc, 0, v14
	s_and_saveexec_b64 s[2:3], vcc
	s_cbranch_execz .LBB889_483
; %bb.478:
	s_movk_i32 s7, 0x80
	v_cmp_ne_u16_e32 vcc, s7, v14
	v_mov_b32_e32 v16, 0xffff8000
	s_and_saveexec_b64 s[8:9], vcc
	s_cbranch_execz .LBB889_482
; %bb.479:
	s_movk_i32 s7, 0x7f
	v_and_b32_e32 v27, 0x7f, v14
	v_cmp_ne_u32_e32 vcc, s7, v27
	v_mov_b32_e32 v16, 0x7f80
	s_and_saveexec_b64 s[10:11], vcc
	s_cbranch_execz .LBB889_481
; %bb.480:
	v_and_b32_e32 v16, 7, v14
	v_ffbh_u32_e32 v30, v16
	v_min_u32_e32 v32, 32, v30
	v_subrev_u32_e32 v30, 28, v32
	v_lshlrev_b64 v[30:31], v30, v[14:15]
	v_lshrrev_b32_e32 v29, 3, v27
	v_sub_u32_e32 v14, 29, v32
	v_and_b32_e32 v30, 7, v30
	v_cmp_gt_u32_e32 vcc, 8, v27
	v_cndmask_b32_e32 v14, v29, v14, vcc
	v_cndmask_b32_e32 v16, v16, v30, vcc
	v_lshlrev_b32_e32 v27, 16, v17
	v_bfrev_b32_e32 v29, 60
	v_lshlrev_b32_e32 v16, 20, v16
	v_and_b32_e32 v27, 0x80000000, v27
	v_lshl_add_u32 v14, v14, 23, v29
	v_or3_b32 v14, v27, v14, v16
	v_lshrrev_b32_e32 v16, 16, v14
.LBB889_481:
	s_or_b64 exec, exec, s[10:11]
.LBB889_482:
	s_or_b64 exec, exec, s[8:9]
.LBB889_483:
	s_or_b64 exec, exec, s[2:3]
	s_movk_i32 s2, 0xff
	v_and_b32_sdwa v30, v17, s2 dst_sel:DWORD dst_unused:UNUSED_PAD src0_sel:WORD_1 src1_sel:DWORD
	v_lshrrev_b32_e32 v14, 16, v17
	v_cmp_ne_u16_e32 vcc, 0, v30
	v_mov_b32_e32 v27, 0
	v_mov_b32_e32 v29, 0
	s_and_saveexec_b64 s[2:3], vcc
	s_cbranch_execz .LBB889_489
; %bb.484:
	s_movk_i32 s7, 0x80
	v_cmp_ne_u16_e32 vcc, s7, v30
	v_mov_b32_e32 v29, 0xffff8000
	s_and_saveexec_b64 s[8:9], vcc
	s_cbranch_execz .LBB889_488
; %bb.485:
	v_bfe_u32 v30, v17, 16, 7
	s_movk_i32 s7, 0x7f
	v_cmp_ne_u32_e32 vcc, s7, v30
	v_mov_b32_e32 v29, 0x7f80
	s_and_saveexec_b64 s[10:11], vcc
	s_cbranch_execz .LBB889_487
; %bb.486:
	v_and_b32_e32 v29, 7, v14
	v_ffbh_u32_e32 v32, v29
	v_min_u32_e32 v34, 32, v32
	v_subrev_u32_e32 v32, 28, v34
	v_lshlrev_b64 v[32:33], v32, v[14:15]
	v_lshrrev_b32_e32 v31, 3, v30
	v_sub_u32_e32 v14, 29, v34
	v_and_b32_e32 v32, 7, v32
	v_cmp_gt_u32_e32 vcc, 8, v30
	v_mov_b32_e32 v30, 24
	v_cndmask_b32_e32 v14, v31, v14, vcc
	v_cndmask_b32_e32 v29, v29, v32, vcc
	v_lshlrev_b32_sdwa v30, v30, v17 dst_sel:DWORD dst_unused:UNUSED_PAD src0_sel:DWORD src1_sel:WORD_1
	v_bfrev_b32_e32 v31, 60
	v_lshlrev_b32_e32 v29, 20, v29
	v_and_b32_e32 v30, 0x80000000, v30
	v_lshl_add_u32 v14, v14, 23, v31
	v_or3_b32 v14, v30, v14, v29
	v_lshrrev_b32_e32 v29, 16, v14
.LBB889_487:
	s_or_b64 exec, exec, s[10:11]
.LBB889_488:
	s_or_b64 exec, exec, s[8:9]
.LBB889_489:
	s_or_b64 exec, exec, s[2:3]
	s_mov_b32 s2, 0xffffff
	v_cmp_lt_u32_e32 vcc, s2, v17
	s_and_saveexec_b64 s[2:3], vcc
	s_cbranch_execz .LBB889_495
; %bb.490:
	v_lshrrev_b32_e32 v14, 24, v17
	s_movk_i32 s7, 0x80
	v_cmp_ne_u32_e32 vcc, s7, v14
	v_mov_b32_e32 v27, 0xffff8000
	s_and_saveexec_b64 s[8:9], vcc
	s_cbranch_execz .LBB889_494
; %bb.491:
	v_bfe_u32 v17, v17, 24, 7
	s_movk_i32 s7, 0x7f
	v_cmp_ne_u32_e32 vcc, s7, v17
	v_mov_b32_e32 v27, 0x7f80
	s_and_saveexec_b64 s[10:11], vcc
	s_cbranch_execz .LBB889_493
; %bb.492:
	v_and_b32_e32 v27, 7, v14
	v_ffbh_u32_e32 v30, v27
	v_min_u32_e32 v33, 32, v30
	v_subrev_u32_e32 v30, 28, v33
	v_lshlrev_b64 v[30:31], v30, v[14:15]
	v_lshrrev_b32_e32 v32, 3, v17
	v_sub_u32_e32 v31, 29, v33
	v_and_b32_e32 v30, 7, v30
	v_cmp_gt_u32_e32 vcc, 8, v17
	v_cndmask_b32_e32 v17, v32, v31, vcc
	v_cndmask_b32_e32 v27, v27, v30, vcc
	v_lshlrev_b32_e32 v14, 24, v14
	v_bfrev_b32_e32 v30, 60
	v_lshlrev_b32_e32 v27, 20, v27
	v_and_b32_e32 v14, 0x80000000, v14
	v_lshl_add_u32 v17, v17, 23, v30
	v_or3_b32 v14, v14, v17, v27
	v_lshrrev_b32_e32 v27, 16, v14
.LBB889_493:
	s_or_b64 exec, exec, s[10:11]
.LBB889_494:
	s_or_b64 exec, exec, s[8:9]
.LBB889_495:
	s_or_b64 exec, exec, s[2:3]
	s_mov_b32 s2, 0x5040100
	v_perm_b32 v25, v24, v25, s2
	v_perm_b32 v24, v15, v23, s2
	ds_read_b128 v[30:33], v22 offset:16
	v_perm_b32 v15, v27, v29, s2
	v_perm_b32 v14, v16, v26, s2
	s_waitcnt lgkmcnt(0)
	v_mfma_f32_16x16x16bf16_1k v[34:37], v[24:25], v[30:31], v[18:21]
	s_nop 6
	v_mov_b32_e32 v19, 0
	s_waitcnt vmcnt(2)
	v_cmp_ne_u16_sdwa s[8:9], v10, v19 src0_sel:BYTE_0 src1_sel:DWORD
	v_mfma_f32_16x16x16bf16_1k v[14:17], v[14:15], v[32:33], v[34:37]
	v_mov_b32_e32 v20, 0
	s_and_saveexec_b64 s[2:3], s[8:9]
	s_cbranch_execz .LBB889_501
; %bb.496:
	s_movk_i32 s7, 0x80
	v_cmp_ne_u16_sdwa s[10:11], v10, s7 src0_sel:BYTE_0 src1_sel:DWORD
	v_mov_b32_e32 v20, 0xffff8000
	s_and_saveexec_b64 s[8:9], s[10:11]
	s_cbranch_execz .LBB889_500
; %bb.497:
	s_movk_i32 s7, 0x7f
	v_and_b32_e32 v18, 0x7f, v10
	v_cmp_ne_u32_e32 vcc, s7, v18
	v_mov_b32_e32 v20, 0x7f80
	s_and_saveexec_b64 s[10:11], vcc
	s_cbranch_execz .LBB889_499
; %bb.498:
	v_and_b32_e32 v23, 7, v10
	v_ffbh_u32_e32 v20, v23
	v_min_u32_e32 v25, 32, v20
	v_subrev_u32_e32 v20, 28, v25
	v_lshlrev_b64 v[20:21], v20, v[10:11]
	v_lshrrev_b32_e32 v24, 3, v18
	v_sub_u32_e32 v21, 29, v25
	v_and_b32_e32 v20, 7, v20
	v_cmp_gt_u32_e32 vcc, 8, v18
	v_cndmask_b32_e32 v18, v24, v21, vcc
	v_cndmask_b32_e32 v20, v23, v20, vcc
	v_lshlrev_b32_e32 v21, 24, v10
	v_bfrev_b32_e32 v23, 60
	v_lshlrev_b32_e32 v20, 20, v20
	v_and_b32_e32 v21, 0x80000000, v21
	v_lshl_add_u32 v18, v18, 23, v23
	v_or3_b32 v18, v21, v18, v20
	v_lshrrev_b32_e32 v20, 16, v18
.LBB889_499:
	s_or_b64 exec, exec, s[10:11]
.LBB889_500:
	s_or_b64 exec, exec, s[8:9]
.LBB889_501:
	s_or_b64 exec, exec, s[2:3]
	v_lshrrev_b16_e32 v18, 8, v10
	v_cmp_ne_u16_e32 vcc, 0, v18
	s_and_saveexec_b64 s[2:3], vcc
	s_cbranch_execz .LBB889_507
; %bb.502:
	s_movk_i32 s7, 0x80
	v_cmp_ne_u16_e32 vcc, s7, v18
	v_mov_b32_e32 v19, 0xffff8000
	s_and_saveexec_b64 s[8:9], vcc
	s_cbranch_execz .LBB889_506
; %bb.503:
	s_movk_i32 s7, 0x7f
	v_and_b32_e32 v21, 0x7f, v18
	v_cmp_ne_u32_e32 vcc, s7, v21
	v_mov_b32_e32 v19, 0x7f80
	s_and_saveexec_b64 s[10:11], vcc
	s_cbranch_execz .LBB889_505
; %bb.504:
	v_and_b32_e32 v23, 7, v18
	v_ffbh_u32_e32 v19, v23
	v_min_u32_e32 v25, 32, v19
	v_subrev_u32_e32 v19, 28, v25
	v_lshlrev_b64 v[18:19], v19, v[18:19]
	v_lshrrev_b32_e32 v24, 3, v21
	v_sub_u32_e32 v19, 29, v25
	v_and_b32_e32 v18, 7, v18
	v_cmp_gt_u32_e32 vcc, 8, v21
	v_cndmask_b32_e32 v19, v24, v19, vcc
	v_cndmask_b32_e32 v18, v23, v18, vcc
	v_lshlrev_b32_e32 v21, 16, v10
	v_bfrev_b32_e32 v23, 60
	v_lshlrev_b32_e32 v18, 20, v18
	v_and_b32_e32 v21, 0x80000000, v21
	v_lshl_add_u32 v19, v19, 23, v23
	v_or3_b32 v18, v21, v19, v18
	v_lshrrev_b32_e32 v19, 16, v18
.LBB889_505:
	s_or_b64 exec, exec, s[10:11]
.LBB889_506:
	s_or_b64 exec, exec, s[8:9]
.LBB889_507:
	s_or_b64 exec, exec, s[2:3]
	s_movk_i32 s2, 0xff
	v_and_b32_sdwa v24, v10, s2 dst_sel:DWORD dst_unused:UNUSED_PAD src0_sel:WORD_1 src1_sel:DWORD
	v_lshrrev_b32_e32 v18, 16, v10
	v_cmp_ne_u16_e32 vcc, 0, v24
	v_mov_b32_e32 v21, 0
	v_mov_b32_e32 v23, 0
	s_and_saveexec_b64 s[2:3], vcc
	s_cbranch_execz .LBB889_513
; %bb.508:
	s_movk_i32 s7, 0x80
	v_cmp_ne_u16_e32 vcc, s7, v24
	v_mov_b32_e32 v23, 0xffff8000
	s_and_saveexec_b64 s[8:9], vcc
	s_cbranch_execz .LBB889_512
; %bb.509:
	v_bfe_u32 v24, v10, 16, 7
	s_movk_i32 s7, 0x7f
	v_cmp_ne_u32_e32 vcc, s7, v24
	v_mov_b32_e32 v23, 0x7f80
	s_and_saveexec_b64 s[10:11], vcc
	s_cbranch_execz .LBB889_511
; %bb.510:
	v_and_b32_e32 v23, 7, v18
	v_ffbh_u32_e32 v26, v23
	v_min_u32_e32 v29, 32, v26
	v_subrev_u32_e32 v26, 28, v29
	v_lshlrev_b64 v[26:27], v26, v[18:19]
	v_lshrrev_b32_e32 v25, 3, v24
	v_sub_u32_e32 v18, 29, v29
	v_and_b32_e32 v26, 7, v26
	v_cmp_gt_u32_e32 vcc, 8, v24
	v_mov_b32_e32 v24, 24
	v_cndmask_b32_e32 v18, v25, v18, vcc
	v_cndmask_b32_e32 v23, v23, v26, vcc
	v_lshlrev_b32_sdwa v24, v24, v10 dst_sel:DWORD dst_unused:UNUSED_PAD src0_sel:DWORD src1_sel:WORD_1
	v_bfrev_b32_e32 v25, 60
	v_lshlrev_b32_e32 v23, 20, v23
	v_and_b32_e32 v24, 0x80000000, v24
	v_lshl_add_u32 v18, v18, 23, v25
	v_or3_b32 v18, v24, v18, v23
	v_lshrrev_b32_e32 v23, 16, v18
.LBB889_511:
	s_or_b64 exec, exec, s[10:11]
.LBB889_512:
	s_or_b64 exec, exec, s[8:9]
.LBB889_513:
	s_or_b64 exec, exec, s[2:3]
	s_mov_b32 s2, 0xffffff
	v_cmp_lt_u32_e32 vcc, s2, v10
	s_and_saveexec_b64 s[2:3], vcc
	s_cbranch_execz .LBB889_519
; %bb.514:
	v_lshrrev_b32_e32 v18, 24, v10
	s_movk_i32 s7, 0x80
	v_cmp_ne_u32_e32 vcc, s7, v18
	v_mov_b32_e32 v21, 0xffff8000
	s_and_saveexec_b64 s[8:9], vcc
	s_cbranch_execz .LBB889_518
; %bb.515:
	v_bfe_u32 v10, v10, 24, 7
	s_movk_i32 s7, 0x7f
	v_cmp_ne_u32_e32 vcc, s7, v10
	v_mov_b32_e32 v21, 0x7f80
	s_and_saveexec_b64 s[10:11], vcc
	s_cbranch_execz .LBB889_517
; %bb.516:
	v_and_b32_e32 v21, 7, v18
	v_ffbh_u32_e32 v24, v21
	v_min_u32_e32 v27, 32, v24
	v_subrev_u32_e32 v24, 28, v27
	v_lshlrev_b64 v[24:25], v24, v[18:19]
	v_lshrrev_b32_e32 v26, 3, v10
	v_sub_u32_e32 v25, 29, v27
	v_and_b32_e32 v24, 7, v24
	v_cmp_gt_u32_e32 vcc, 8, v10
	v_cndmask_b32_e32 v10, v26, v25, vcc
	v_cndmask_b32_e32 v21, v21, v24, vcc
	v_lshlrev_b32_e32 v18, 24, v18
	v_bfrev_b32_e32 v24, 60
	v_lshlrev_b32_e32 v21, 20, v21
	v_and_b32_e32 v18, 0x80000000, v18
	v_lshl_add_u32 v10, v10, 23, v24
	v_or3_b32 v10, v18, v10, v21
	v_lshrrev_b32_e32 v21, 16, v10
.LBB889_517:
	s_or_b64 exec, exec, s[10:11]
.LBB889_518:
	s_or_b64 exec, exec, s[8:9]
.LBB889_519:
	s_or_b64 exec, exec, s[2:3]
	v_mov_b32_e32 v18, 0
	v_cmp_ne_u16_sdwa s[8:9], v11, v18 src0_sel:BYTE_0 src1_sel:DWORD
	v_mov_b32_e32 v24, 0
	s_and_saveexec_b64 s[2:3], s[8:9]
	s_cbranch_execz .LBB889_525
; %bb.520:
	s_movk_i32 s7, 0x80
	v_cmp_ne_u16_sdwa s[10:11], v11, s7 src0_sel:BYTE_0 src1_sel:DWORD
	v_mov_b32_e32 v24, 0xffff8000
	s_and_saveexec_b64 s[8:9], s[10:11]
	s_cbranch_execz .LBB889_524
; %bb.521:
	s_movk_i32 s7, 0x7f
	v_and_b32_e32 v10, 0x7f, v11
	v_cmp_ne_u32_e32 vcc, s7, v10
	v_mov_b32_e32 v24, 0x7f80
	s_and_saveexec_b64 s[10:11], vcc
	s_cbranch_execz .LBB889_523
; %bb.522:
	v_and_b32_e32 v26, 7, v11
	v_ffbh_u32_e32 v25, v26
	v_min_u32_e32 v29, 32, v25
	v_mov_b32_e32 v24, v11
	v_subrev_u32_e32 v25, 28, v29
	v_lshlrev_b64 v[24:25], v25, v[24:25]
	v_lshrrev_b32_e32 v27, 3, v10
	v_sub_u32_e32 v25, 29, v29
	v_and_b32_e32 v24, 7, v24
	v_cmp_gt_u32_e32 vcc, 8, v10
	v_cndmask_b32_e32 v10, v27, v25, vcc
	v_cndmask_b32_e32 v24, v26, v24, vcc
	v_lshlrev_b32_e32 v25, 24, v11
	v_bfrev_b32_e32 v26, 60
	v_lshlrev_b32_e32 v24, 20, v24
	v_and_b32_e32 v25, 0x80000000, v25
	v_lshl_add_u32 v10, v10, 23, v26
	v_or3_b32 v10, v25, v10, v24
	v_lshrrev_b32_e32 v24, 16, v10
.LBB889_523:
	s_or_b64 exec, exec, s[10:11]
.LBB889_524:
	s_or_b64 exec, exec, s[8:9]
.LBB889_525:
	s_or_b64 exec, exec, s[2:3]
	v_lshrrev_b16_e32 v10, 8, v11
	v_cmp_ne_u16_e32 vcc, 0, v10
	s_and_saveexec_b64 s[2:3], vcc
	s_cbranch_execz .LBB889_531
; %bb.526:
	s_movk_i32 s7, 0x80
	v_cmp_ne_u16_e32 vcc, s7, v10
	v_mov_b32_e32 v18, 0xffff8000
	s_and_saveexec_b64 s[8:9], vcc
	s_cbranch_execz .LBB889_530
; %bb.527:
	s_movk_i32 s7, 0x7f
	v_and_b32_e32 v25, 0x7f, v10
	v_cmp_ne_u32_e32 vcc, s7, v25
	v_mov_b32_e32 v18, 0x7f80
	s_and_saveexec_b64 s[10:11], vcc
	s_cbranch_execz .LBB889_529
; %bb.528:
	v_and_b32_e32 v18, 7, v10
	v_ffbh_u32_e32 v26, v18
	v_min_u32_e32 v30, 32, v26
	v_subrev_u32_e32 v26, 28, v30
	v_lshlrev_b64 v[26:27], v26, v[10:11]
	v_lshrrev_b32_e32 v29, 3, v25
	v_sub_u32_e32 v10, 29, v30
	v_and_b32_e32 v26, 7, v26
	v_cmp_gt_u32_e32 vcc, 8, v25
	v_cndmask_b32_e32 v10, v29, v10, vcc
	v_cndmask_b32_e32 v18, v18, v26, vcc
	v_lshlrev_b32_e32 v25, 16, v11
	v_bfrev_b32_e32 v26, 60
	v_lshlrev_b32_e32 v18, 20, v18
	v_and_b32_e32 v25, 0x80000000, v25
	v_lshl_add_u32 v10, v10, 23, v26
	v_or3_b32 v10, v25, v10, v18
	v_lshrrev_b32_e32 v18, 16, v10
.LBB889_529:
	s_or_b64 exec, exec, s[10:11]
.LBB889_530:
	s_or_b64 exec, exec, s[8:9]
.LBB889_531:
	s_or_b64 exec, exec, s[2:3]
	s_movk_i32 s2, 0xff
	v_and_b32_sdwa v27, v11, s2 dst_sel:DWORD dst_unused:UNUSED_PAD src0_sel:WORD_1 src1_sel:DWORD
	v_lshrrev_b32_e32 v10, 16, v11
	v_cmp_ne_u16_e32 vcc, 0, v27
	v_mov_b32_e32 v25, 0
	v_mov_b32_e32 v26, 0
	s_and_saveexec_b64 s[2:3], vcc
	s_cbranch_execz .LBB889_537
; %bb.532:
	s_movk_i32 s7, 0x80
	v_cmp_ne_u16_e32 vcc, s7, v27
	v_mov_b32_e32 v26, 0xffff8000
	s_and_saveexec_b64 s[8:9], vcc
	s_cbranch_execz .LBB889_536
; %bb.533:
	v_bfe_u32 v27, v11, 16, 7
	s_movk_i32 s7, 0x7f
	v_cmp_ne_u32_e32 vcc, s7, v27
	v_mov_b32_e32 v26, 0x7f80
	s_and_saveexec_b64 s[10:11], vcc
	s_cbranch_execz .LBB889_535
; %bb.534:
	v_and_b32_e32 v26, 7, v10
	v_ffbh_u32_e32 v30, v26
	v_min_u32_e32 v32, 32, v30
	v_subrev_u32_e32 v30, 28, v32
	v_lshlrev_b64 v[30:31], v30, v[10:11]
	v_lshrrev_b32_e32 v29, 3, v27
	v_sub_u32_e32 v10, 29, v32
	v_and_b32_e32 v30, 7, v30
	v_cmp_gt_u32_e32 vcc, 8, v27
	v_mov_b32_e32 v27, 24
	v_cndmask_b32_e32 v10, v29, v10, vcc
	v_cndmask_b32_e32 v26, v26, v30, vcc
	v_lshlrev_b32_sdwa v27, v27, v11 dst_sel:DWORD dst_unused:UNUSED_PAD src0_sel:DWORD src1_sel:WORD_1
	v_bfrev_b32_e32 v29, 60
	v_lshlrev_b32_e32 v26, 20, v26
	v_and_b32_e32 v27, 0x80000000, v27
	v_lshl_add_u32 v10, v10, 23, v29
	v_or3_b32 v10, v27, v10, v26
	v_lshrrev_b32_e32 v26, 16, v10
.LBB889_535:
	s_or_b64 exec, exec, s[10:11]
.LBB889_536:
	s_or_b64 exec, exec, s[8:9]
.LBB889_537:
	s_or_b64 exec, exec, s[2:3]
	s_mov_b32 s2, 0xffffff
	v_cmp_lt_u32_e32 vcc, s2, v11
	s_and_saveexec_b64 s[2:3], vcc
	s_cbranch_execz .LBB889_543
; %bb.538:
	v_lshrrev_b32_e32 v10, 24, v11
	s_movk_i32 s7, 0x80
	v_cmp_ne_u32_e32 vcc, s7, v10
	v_mov_b32_e32 v25, 0xffff8000
	s_and_saveexec_b64 s[8:9], vcc
	s_cbranch_execz .LBB889_542
; %bb.539:
	v_bfe_u32 v11, v11, 24, 7
	s_movk_i32 s7, 0x7f
	v_cmp_ne_u32_e32 vcc, s7, v11
	v_mov_b32_e32 v25, 0x7f80
	s_and_saveexec_b64 s[10:11], vcc
	s_cbranch_execz .LBB889_541
; %bb.540:
	v_and_b32_e32 v25, 7, v10
	v_ffbh_u32_e32 v29, v25
	v_min_u32_e32 v29, 32, v29
	v_subrev_u32_e32 v30, 28, v29
	v_lshlrev_b64 v[30:31], v30, v[10:11]
	v_lshrrev_b32_e32 v27, 3, v11
	v_sub_u32_e32 v29, 29, v29
	v_and_b32_e32 v30, 7, v30
	v_cmp_gt_u32_e32 vcc, 8, v11
	v_cndmask_b32_e32 v11, v27, v29, vcc
	v_cndmask_b32_e32 v25, v25, v30, vcc
	v_lshlrev_b32_e32 v10, 24, v10
	v_bfrev_b32_e32 v27, 60
	v_lshlrev_b32_e32 v25, 20, v25
	v_and_b32_e32 v10, 0x80000000, v10
	v_lshl_add_u32 v11, v11, 23, v27
	v_or3_b32 v10, v10, v11, v25
	v_lshrrev_b32_e32 v25, 16, v10
.LBB889_541:
	s_or_b64 exec, exec, s[10:11]
.LBB889_542:
	s_or_b64 exec, exec, s[8:9]
.LBB889_543:
	s_or_b64 exec, exec, s[2:3]
	s_mov_b32 s2, 0x5040100
	v_perm_b32 v11, v21, v23, s2
	v_perm_b32 v10, v19, v20, s2
	ds_read_b128 v[30:33], v22 offset:2048
	v_perm_b32 v21, v25, v26, s2
	v_perm_b32 v20, v18, v24, s2
	s_waitcnt lgkmcnt(0)
	v_mfma_f32_16x16x16bf16_1k v[14:17], v[10:11], v[30:31], v[14:17]
	v_mov_b32_e32 v11, 0
	v_cmp_ne_u16_sdwa s[8:9], v12, v11 src0_sel:BYTE_0 src1_sel:DWORD
	v_mov_b32_e32 v18, 0
	v_mfma_f32_16x16x16bf16_1k v[14:17], v[20:21], v[32:33], v[14:17]
	s_and_saveexec_b64 s[2:3], s[8:9]
	s_cbranch_execz .LBB889_549
; %bb.544:
	s_movk_i32 s7, 0x80
	v_cmp_ne_u16_sdwa s[10:11], v12, s7 src0_sel:BYTE_0 src1_sel:DWORD
	v_mov_b32_e32 v18, 0xffff8000
	s_and_saveexec_b64 s[8:9], s[10:11]
	s_cbranch_execz .LBB889_548
; %bb.545:
	s_movk_i32 s7, 0x7f
	v_and_b32_e32 v10, 0x7f, v12
	v_cmp_ne_u32_e32 vcc, s7, v10
	v_mov_b32_e32 v18, 0x7f80
	s_and_saveexec_b64 s[10:11], vcc
	s_cbranch_execz .LBB889_547
; %bb.546:
	v_and_b32_e32 v20, 7, v12
	v_ffbh_u32_e32 v18, v20
	v_min_u32_e32 v23, 32, v18
	v_subrev_u32_e32 v18, 28, v23
	v_lshlrev_b64 v[18:19], v18, v[12:13]
	v_lshrrev_b32_e32 v21, 3, v10
	v_sub_u32_e32 v19, 29, v23
	v_and_b32_e32 v18, 7, v18
	v_cmp_gt_u32_e32 vcc, 8, v10
	v_cndmask_b32_e32 v10, v21, v19, vcc
	v_cndmask_b32_e32 v18, v20, v18, vcc
	v_lshlrev_b32_e32 v19, 24, v12
	v_bfrev_b32_e32 v20, 60
	v_lshlrev_b32_e32 v18, 20, v18
	v_and_b32_e32 v19, 0x80000000, v19
	v_lshl_add_u32 v10, v10, 23, v20
	v_or3_b32 v10, v19, v10, v18
	v_lshrrev_b32_e32 v18, 16, v10
.LBB889_547:
	s_or_b64 exec, exec, s[10:11]
.LBB889_548:
	s_or_b64 exec, exec, s[8:9]
.LBB889_549:
	s_or_b64 exec, exec, s[2:3]
	v_lshrrev_b16_e32 v10, 8, v12
	v_cmp_ne_u16_e32 vcc, 0, v10
	s_and_saveexec_b64 s[2:3], vcc
	s_cbranch_execz .LBB889_555
; %bb.550:
	s_movk_i32 s7, 0x80
	v_cmp_ne_u16_e32 vcc, s7, v10
	v_mov_b32_e32 v11, 0xffff8000
	s_and_saveexec_b64 s[8:9], vcc
	s_cbranch_execz .LBB889_554
; %bb.551:
	s_movk_i32 s7, 0x7f
	v_and_b32_e32 v19, 0x7f, v10
	v_cmp_ne_u32_e32 vcc, s7, v19
	v_mov_b32_e32 v11, 0x7f80
	s_and_saveexec_b64 s[10:11], vcc
	s_cbranch_execz .LBB889_553
; %bb.552:
	v_and_b32_e32 v20, 7, v10
	v_ffbh_u32_e32 v11, v20
	v_min_u32_e32 v23, 32, v11
	v_subrev_u32_e32 v11, 28, v23
	v_lshlrev_b64 v[10:11], v11, v[10:11]
	v_lshrrev_b32_e32 v21, 3, v19
	v_sub_u32_e32 v11, 29, v23
	v_and_b32_e32 v10, 7, v10
	v_cmp_gt_u32_e32 vcc, 8, v19
	v_cndmask_b32_e32 v11, v21, v11, vcc
	v_cndmask_b32_e32 v10, v20, v10, vcc
	v_lshlrev_b32_e32 v19, 16, v12
	v_bfrev_b32_e32 v20, 60
	v_lshlrev_b32_e32 v10, 20, v10
	v_and_b32_e32 v19, 0x80000000, v19
	v_lshl_add_u32 v11, v11, 23, v20
	v_or3_b32 v10, v19, v11, v10
	v_lshrrev_b32_e32 v11, 16, v10
.LBB889_553:
	s_or_b64 exec, exec, s[10:11]
.LBB889_554:
	s_or_b64 exec, exec, s[8:9]
.LBB889_555:
	s_or_b64 exec, exec, s[2:3]
	s_movk_i32 s2, 0xff
	v_and_b32_sdwa v21, v12, s2 dst_sel:DWORD dst_unused:UNUSED_PAD src0_sel:WORD_1 src1_sel:DWORD
	v_lshrrev_b32_e32 v10, 16, v12
	v_cmp_ne_u16_e32 vcc, 0, v21
	v_mov_b32_e32 v19, 0
	v_mov_b32_e32 v20, 0
	s_and_saveexec_b64 s[2:3], vcc
	s_cbranch_execz .LBB889_561
; %bb.556:
	s_movk_i32 s7, 0x80
	v_cmp_ne_u16_e32 vcc, s7, v21
	v_mov_b32_e32 v20, 0xffff8000
	s_and_saveexec_b64 s[8:9], vcc
	s_cbranch_execz .LBB889_560
; %bb.557:
	v_bfe_u32 v21, v12, 16, 7
	s_movk_i32 s7, 0x7f
	v_cmp_ne_u32_e32 vcc, s7, v21
	v_mov_b32_e32 v20, 0x7f80
	s_and_saveexec_b64 s[10:11], vcc
	s_cbranch_execz .LBB889_559
; %bb.558:
	v_and_b32_e32 v20, 7, v10
	v_ffbh_u32_e32 v24, v20
	v_min_u32_e32 v26, 32, v24
	v_subrev_u32_e32 v24, 28, v26
	v_lshlrev_b64 v[24:25], v24, v[10:11]
	v_lshrrev_b32_e32 v23, 3, v21
	v_sub_u32_e32 v10, 29, v26
	v_and_b32_e32 v24, 7, v24
	v_cmp_gt_u32_e32 vcc, 8, v21
	v_mov_b32_e32 v21, 24
	v_cndmask_b32_e32 v10, v23, v10, vcc
	v_cndmask_b32_e32 v20, v20, v24, vcc
	v_lshlrev_b32_sdwa v21, v21, v12 dst_sel:DWORD dst_unused:UNUSED_PAD src0_sel:DWORD src1_sel:WORD_1
	v_bfrev_b32_e32 v23, 60
	v_lshlrev_b32_e32 v20, 20, v20
	v_and_b32_e32 v21, 0x80000000, v21
	v_lshl_add_u32 v10, v10, 23, v23
	v_or3_b32 v10, v21, v10, v20
	v_lshrrev_b32_e32 v20, 16, v10
.LBB889_559:
	s_or_b64 exec, exec, s[10:11]
.LBB889_560:
	s_or_b64 exec, exec, s[8:9]
.LBB889_561:
	s_or_b64 exec, exec, s[2:3]
	s_mov_b32 s2, 0xffffff
	v_cmp_lt_u32_e32 vcc, s2, v12
	s_and_saveexec_b64 s[2:3], vcc
	s_cbranch_execz .LBB889_567
; %bb.562:
	v_lshrrev_b32_e32 v10, 24, v12
	s_movk_i32 s7, 0x80
	v_cmp_ne_u32_e32 vcc, s7, v10
	v_mov_b32_e32 v19, 0xffff8000
	s_and_saveexec_b64 s[8:9], vcc
	s_cbranch_execz .LBB889_566
; %bb.563:
	v_bfe_u32 v12, v12, 24, 7
	s_movk_i32 s7, 0x7f
	v_cmp_ne_u32_e32 vcc, s7, v12
	v_mov_b32_e32 v19, 0x7f80
	s_and_saveexec_b64 s[10:11], vcc
	s_cbranch_execz .LBB889_565
; %bb.564:
	v_and_b32_e32 v19, 7, v10
	v_ffbh_u32_e32 v23, v19
	v_min_u32_e32 v23, 32, v23
	v_subrev_u32_e32 v24, 28, v23
	v_lshlrev_b64 v[24:25], v24, v[10:11]
	v_lshrrev_b32_e32 v21, 3, v12
	v_sub_u32_e32 v23, 29, v23
	v_and_b32_e32 v24, 7, v24
	v_cmp_gt_u32_e32 vcc, 8, v12
	v_cndmask_b32_e32 v12, v21, v23, vcc
	v_cndmask_b32_e32 v19, v19, v24, vcc
	v_lshlrev_b32_e32 v10, 24, v10
	v_bfrev_b32_e32 v21, 60
	v_lshlrev_b32_e32 v19, 20, v19
	v_and_b32_e32 v10, 0x80000000, v10
	v_lshl_add_u32 v12, v12, 23, v21
	v_or3_b32 v10, v10, v12, v19
	v_lshrrev_b32_e32 v19, 16, v10
.LBB889_565:
	s_or_b64 exec, exec, s[10:11]
.LBB889_566:
	s_or_b64 exec, exec, s[8:9]
.LBB889_567:
	s_or_b64 exec, exec, s[2:3]
	v_mov_b32_e32 v12, 0
	v_cmp_ne_u16_sdwa s[8:9], v13, v12 src0_sel:BYTE_0 src1_sel:DWORD
	v_mov_b32_e32 v21, 0
	s_and_saveexec_b64 s[2:3], s[8:9]
	s_cbranch_execz .LBB889_573
; %bb.568:
	s_movk_i32 s7, 0x80
	v_cmp_ne_u16_sdwa s[10:11], v13, s7 src0_sel:BYTE_0 src1_sel:DWORD
	v_mov_b32_e32 v21, 0xffff8000
	s_and_saveexec_b64 s[8:9], s[10:11]
	s_cbranch_execz .LBB889_572
; %bb.569:
	s_movk_i32 s7, 0x7f
	v_and_b32_e32 v10, 0x7f, v13
	v_cmp_ne_u32_e32 vcc, s7, v10
	v_mov_b32_e32 v21, 0x7f80
	s_and_saveexec_b64 s[10:11], vcc
	s_cbranch_execz .LBB889_571
; %bb.570:
	v_and_b32_e32 v21, 7, v13
	v_ffbh_u32_e32 v25, v21
	v_min_u32_e32 v26, 32, v25
	v_mov_b32_e32 v24, v13
	v_subrev_u32_e32 v25, 28, v26
	v_lshlrev_b64 v[24:25], v25, v[24:25]
	v_lshrrev_b32_e32 v23, 3, v10
	v_sub_u32_e32 v25, 29, v26
	v_and_b32_e32 v24, 7, v24
	v_cmp_gt_u32_e32 vcc, 8, v10
	v_cndmask_b32_e32 v10, v23, v25, vcc
	v_cndmask_b32_e32 v21, v21, v24, vcc
	v_lshlrev_b32_e32 v23, 24, v13
	v_bfrev_b32_e32 v24, 60
	v_lshlrev_b32_e32 v21, 20, v21
	v_and_b32_e32 v23, 0x80000000, v23
	v_lshl_add_u32 v10, v10, 23, v24
	v_or3_b32 v10, v23, v10, v21
	v_lshrrev_b32_e32 v21, 16, v10
.LBB889_571:
	s_or_b64 exec, exec, s[10:11]
.LBB889_572:
	s_or_b64 exec, exec, s[8:9]
.LBB889_573:
	s_or_b64 exec, exec, s[2:3]
	v_lshrrev_b16_e32 v10, 8, v13
	v_cmp_ne_u16_e32 vcc, 0, v10
	s_and_saveexec_b64 s[2:3], vcc
	s_cbranch_execz .LBB889_579
; %bb.574:
	s_movk_i32 s7, 0x80
	v_cmp_ne_u16_e32 vcc, s7, v10
	v_mov_b32_e32 v12, 0xffff8000
	s_and_saveexec_b64 s[8:9], vcc
	s_cbranch_execz .LBB889_578
; %bb.575:
	s_movk_i32 s7, 0x7f
	v_and_b32_e32 v23, 0x7f, v10
	v_cmp_ne_u32_e32 vcc, s7, v23
	v_mov_b32_e32 v12, 0x7f80
	s_and_saveexec_b64 s[10:11], vcc
	s_cbranch_execz .LBB889_577
; %bb.576:
	v_and_b32_e32 v12, 7, v10
	v_ffbh_u32_e32 v24, v12
	v_min_u32_e32 v27, 32, v24
	v_subrev_u32_e32 v24, 28, v27
	v_lshlrev_b64 v[24:25], v24, v[10:11]
	v_lshrrev_b32_e32 v26, 3, v23
	v_sub_u32_e32 v10, 29, v27
	v_and_b32_e32 v24, 7, v24
	v_cmp_gt_u32_e32 vcc, 8, v23
	v_cndmask_b32_e32 v10, v26, v10, vcc
	v_cndmask_b32_e32 v12, v12, v24, vcc
	v_lshlrev_b32_e32 v23, 16, v13
	v_bfrev_b32_e32 v24, 60
	v_lshlrev_b32_e32 v12, 20, v12
	v_and_b32_e32 v23, 0x80000000, v23
	v_lshl_add_u32 v10, v10, 23, v24
	v_or3_b32 v10, v23, v10, v12
	v_lshrrev_b32_e32 v12, 16, v10
.LBB889_577:
	s_or_b64 exec, exec, s[10:11]
.LBB889_578:
	s_or_b64 exec, exec, s[8:9]
.LBB889_579:
	s_or_b64 exec, exec, s[2:3]
	s_movk_i32 s2, 0xff
	v_and_b32_sdwa v25, v13, s2 dst_sel:DWORD dst_unused:UNUSED_PAD src0_sel:WORD_1 src1_sel:DWORD
	v_lshrrev_b32_e32 v10, 16, v13
	v_cmp_ne_u16_e32 vcc, 0, v25
	v_mov_b32_e32 v23, 0
	v_mov_b32_e32 v24, 0
	s_and_saveexec_b64 s[2:3], vcc
	s_cbranch_execz .LBB889_585
; %bb.580:
	s_movk_i32 s7, 0x80
	v_cmp_ne_u16_e32 vcc, s7, v25
	v_mov_b32_e32 v24, 0xffff8000
	s_and_saveexec_b64 s[8:9], vcc
	s_cbranch_execz .LBB889_584
; %bb.581:
	v_bfe_u32 v25, v13, 16, 7
	s_movk_i32 s7, 0x7f
	v_cmp_ne_u32_e32 vcc, s7, v25
	v_mov_b32_e32 v24, 0x7f80
	s_and_saveexec_b64 s[10:11], vcc
	s_cbranch_execz .LBB889_583
; %bb.582:
	v_and_b32_e32 v24, 7, v10
	v_ffbh_u32_e32 v26, v24
	v_min_u32_e32 v30, 32, v26
	v_subrev_u32_e32 v26, 28, v30
	v_lshlrev_b64 v[26:27], v26, v[10:11]
	v_lshrrev_b32_e32 v29, 3, v25
	v_sub_u32_e32 v10, 29, v30
	v_and_b32_e32 v26, 7, v26
	v_cmp_gt_u32_e32 vcc, 8, v25
	v_mov_b32_e32 v25, 24
	v_cndmask_b32_e32 v10, v29, v10, vcc
	v_cndmask_b32_e32 v24, v24, v26, vcc
	v_lshlrev_b32_sdwa v25, v25, v13 dst_sel:DWORD dst_unused:UNUSED_PAD src0_sel:DWORD src1_sel:WORD_1
	v_bfrev_b32_e32 v26, 60
	v_lshlrev_b32_e32 v24, 20, v24
	v_and_b32_e32 v25, 0x80000000, v25
	v_lshl_add_u32 v10, v10, 23, v26
	v_or3_b32 v10, v25, v10, v24
	v_lshrrev_b32_e32 v24, 16, v10
.LBB889_583:
	s_or_b64 exec, exec, s[10:11]
.LBB889_584:
	s_or_b64 exec, exec, s[8:9]
.LBB889_585:
	s_or_b64 exec, exec, s[2:3]
	s_mov_b32 s2, 0xffffff
	v_cmp_lt_u32_e32 vcc, s2, v13
	s_and_saveexec_b64 s[2:3], vcc
	s_cbranch_execz .LBB889_591
; %bb.586:
	v_lshrrev_b32_e32 v10, 24, v13
	s_movk_i32 s7, 0x80
	v_cmp_ne_u32_e32 vcc, s7, v10
	v_mov_b32_e32 v23, 0xffff8000
	s_and_saveexec_b64 s[8:9], vcc
	s_cbranch_execz .LBB889_590
; %bb.587:
	v_bfe_u32 v13, v13, 24, 7
	s_movk_i32 s7, 0x7f
	v_cmp_ne_u32_e32 vcc, s7, v13
	v_mov_b32_e32 v23, 0x7f80
	s_and_saveexec_b64 s[10:11], vcc
	s_cbranch_execz .LBB889_589
; %bb.588:
	v_and_b32_e32 v23, 7, v10
	v_ffbh_u32_e32 v26, v23
	v_min_u32_e32 v29, 32, v26
	v_subrev_u32_e32 v26, 28, v29
	v_lshlrev_b64 v[26:27], v26, v[10:11]
	v_lshrrev_b32_e32 v25, 3, v13
	v_sub_u32_e32 v27, 29, v29
	v_and_b32_e32 v26, 7, v26
	v_cmp_gt_u32_e32 vcc, 8, v13
	v_cndmask_b32_e32 v13, v25, v27, vcc
	v_cndmask_b32_e32 v23, v23, v26, vcc
	v_lshlrev_b32_e32 v10, 24, v10
	v_bfrev_b32_e32 v25, 60
	v_lshlrev_b32_e32 v23, 20, v23
	v_and_b32_e32 v10, 0x80000000, v10
	v_lshl_add_u32 v13, v13, 23, v25
	v_or3_b32 v10, v10, v13, v23
	v_lshrrev_b32_e32 v23, 16, v10
.LBB889_589:
	s_or_b64 exec, exec, s[10:11]
.LBB889_590:
	s_or_b64 exec, exec, s[8:9]
.LBB889_591:
	s_or_b64 exec, exec, s[2:3]
	s_mov_b32 s2, 0x5040100
	v_perm_b32 v19, v19, v20, s2
	v_perm_b32 v18, v11, v18, s2
	ds_read_b128 v[30:33], v22 offset:2064
	v_perm_b32 v11, v23, v24, s2
	v_perm_b32 v10, v12, v21, s2
	s_waitcnt lgkmcnt(0)
	v_mfma_f32_16x16x16bf16_1k v[34:37], v[18:19], v[30:31], v[14:17]
	s_nop 6
	v_mov_b32_e32 v15, 0
	s_waitcnt vmcnt(1)
	v_cmp_ne_u16_sdwa s[8:9], v6, v15 src0_sel:BYTE_0 src1_sel:DWORD
	v_mfma_f32_16x16x16bf16_1k v[10:13], v[10:11], v[32:33], v[34:37]
	v_mov_b32_e32 v16, 0
	s_and_saveexec_b64 s[2:3], s[8:9]
	s_cbranch_execz .LBB889_597
; %bb.592:
	s_movk_i32 s7, 0x80
	v_cmp_ne_u16_sdwa s[10:11], v6, s7 src0_sel:BYTE_0 src1_sel:DWORD
	v_mov_b32_e32 v16, 0xffff8000
	s_and_saveexec_b64 s[8:9], s[10:11]
	s_cbranch_execz .LBB889_596
; %bb.593:
	s_movk_i32 s7, 0x7f
	v_and_b32_e32 v14, 0x7f, v6
	v_cmp_ne_u32_e32 vcc, s7, v14
	v_mov_b32_e32 v16, 0x7f80
	s_and_saveexec_b64 s[10:11], vcc
	s_cbranch_execz .LBB889_595
; %bb.594:
	v_and_b32_e32 v18, 7, v6
	v_ffbh_u32_e32 v16, v18
	v_min_u32_e32 v20, 32, v16
	v_subrev_u32_e32 v16, 28, v20
	v_lshlrev_b64 v[16:17], v16, v[6:7]
	v_lshrrev_b32_e32 v19, 3, v14
	v_sub_u32_e32 v17, 29, v20
	v_and_b32_e32 v16, 7, v16
	v_cmp_gt_u32_e32 vcc, 8, v14
	v_cndmask_b32_e32 v14, v19, v17, vcc
	v_cndmask_b32_e32 v16, v18, v16, vcc
	v_lshlrev_b32_e32 v17, 24, v6
	v_bfrev_b32_e32 v18, 60
	v_lshlrev_b32_e32 v16, 20, v16
	v_and_b32_e32 v17, 0x80000000, v17
	v_lshl_add_u32 v14, v14, 23, v18
	v_or3_b32 v14, v17, v14, v16
	v_lshrrev_b32_e32 v16, 16, v14
.LBB889_595:
	s_or_b64 exec, exec, s[10:11]
.LBB889_596:
	s_or_b64 exec, exec, s[8:9]
.LBB889_597:
	s_or_b64 exec, exec, s[2:3]
	v_lshrrev_b16_e32 v14, 8, v6
	v_cmp_ne_u16_e32 vcc, 0, v14
	s_and_saveexec_b64 s[2:3], vcc
	s_cbranch_execz .LBB889_603
; %bb.598:
	s_movk_i32 s7, 0x80
	v_cmp_ne_u16_e32 vcc, s7, v14
	v_mov_b32_e32 v15, 0xffff8000
	s_and_saveexec_b64 s[8:9], vcc
	s_cbranch_execz .LBB889_602
; %bb.599:
	s_movk_i32 s7, 0x7f
	v_and_b32_e32 v17, 0x7f, v14
	v_cmp_ne_u32_e32 vcc, s7, v17
	v_mov_b32_e32 v15, 0x7f80
	s_and_saveexec_b64 s[10:11], vcc
	s_cbranch_execz .LBB889_601
; %bb.600:
	v_and_b32_e32 v18, 7, v14
	v_ffbh_u32_e32 v15, v18
	v_min_u32_e32 v20, 32, v15
	v_subrev_u32_e32 v15, 28, v20
	v_lshlrev_b64 v[14:15], v15, v[14:15]
	v_lshrrev_b32_e32 v19, 3, v17
	v_sub_u32_e32 v15, 29, v20
	v_and_b32_e32 v14, 7, v14
	v_cmp_gt_u32_e32 vcc, 8, v17
	v_cndmask_b32_e32 v15, v19, v15, vcc
	v_cndmask_b32_e32 v14, v18, v14, vcc
	v_lshlrev_b32_e32 v17, 16, v6
	v_bfrev_b32_e32 v18, 60
	v_lshlrev_b32_e32 v14, 20, v14
	v_and_b32_e32 v17, 0x80000000, v17
	v_lshl_add_u32 v15, v15, 23, v18
	v_or3_b32 v14, v17, v15, v14
	v_lshrrev_b32_e32 v15, 16, v14
.LBB889_601:
	s_or_b64 exec, exec, s[10:11]
.LBB889_602:
	s_or_b64 exec, exec, s[8:9]
.LBB889_603:
	s_or_b64 exec, exec, s[2:3]
	s_movk_i32 s2, 0xff
	v_and_b32_sdwa v19, v6, s2 dst_sel:DWORD dst_unused:UNUSED_PAD src0_sel:WORD_1 src1_sel:DWORD
	v_lshrrev_b32_e32 v14, 16, v6
	v_cmp_ne_u16_e32 vcc, 0, v19
	v_mov_b32_e32 v17, 0
	v_mov_b32_e32 v18, 0
	s_and_saveexec_b64 s[2:3], vcc
	s_cbranch_execz .LBB889_609
; %bb.604:
	s_movk_i32 s7, 0x80
	v_cmp_ne_u16_e32 vcc, s7, v19
	v_mov_b32_e32 v18, 0xffff8000
	s_and_saveexec_b64 s[8:9], vcc
	s_cbranch_execz .LBB889_608
; %bb.605:
	v_bfe_u32 v19, v6, 16, 7
	s_movk_i32 s7, 0x7f
	v_cmp_ne_u32_e32 vcc, s7, v19
	v_mov_b32_e32 v18, 0x7f80
	s_and_saveexec_b64 s[10:11], vcc
	s_cbranch_execz .LBB889_607
; %bb.606:
	v_and_b32_e32 v18, 7, v14
	v_ffbh_u32_e32 v20, v18
	v_min_u32_e32 v24, 32, v20
	v_subrev_u32_e32 v20, 28, v24
	v_lshlrev_b64 v[20:21], v20, v[14:15]
	v_lshrrev_b32_e32 v23, 3, v19
	v_sub_u32_e32 v14, 29, v24
	v_and_b32_e32 v20, 7, v20
	v_cmp_gt_u32_e32 vcc, 8, v19
	v_mov_b32_e32 v19, 24
	v_cndmask_b32_e32 v14, v23, v14, vcc
	v_cndmask_b32_e32 v18, v18, v20, vcc
	v_lshlrev_b32_sdwa v19, v19, v6 dst_sel:DWORD dst_unused:UNUSED_PAD src0_sel:DWORD src1_sel:WORD_1
	v_bfrev_b32_e32 v20, 60
	v_lshlrev_b32_e32 v18, 20, v18
	v_and_b32_e32 v19, 0x80000000, v19
	v_lshl_add_u32 v14, v14, 23, v20
	v_or3_b32 v14, v19, v14, v18
	v_lshrrev_b32_e32 v18, 16, v14
.LBB889_607:
	s_or_b64 exec, exec, s[10:11]
.LBB889_608:
	s_or_b64 exec, exec, s[8:9]
.LBB889_609:
	s_or_b64 exec, exec, s[2:3]
	s_mov_b32 s2, 0xffffff
	v_cmp_lt_u32_e32 vcc, s2, v6
	s_and_saveexec_b64 s[2:3], vcc
	s_cbranch_execz .LBB889_615
; %bb.610:
	v_lshrrev_b32_e32 v14, 24, v6
	s_movk_i32 s7, 0x80
	v_cmp_ne_u32_e32 vcc, s7, v14
	v_mov_b32_e32 v17, 0xffff8000
	s_and_saveexec_b64 s[8:9], vcc
	s_cbranch_execz .LBB889_614
; %bb.611:
	v_bfe_u32 v6, v6, 24, 7
	s_movk_i32 s7, 0x7f
	v_cmp_ne_u32_e32 vcc, s7, v6
	v_mov_b32_e32 v17, 0x7f80
	s_and_saveexec_b64 s[10:11], vcc
	s_cbranch_execz .LBB889_613
; %bb.612:
	v_and_b32_e32 v17, 7, v14
	v_ffbh_u32_e32 v20, v17
	v_min_u32_e32 v23, 32, v20
	v_subrev_u32_e32 v20, 28, v23
	v_lshlrev_b64 v[20:21], v20, v[14:15]
	v_lshrrev_b32_e32 v19, 3, v6
	v_sub_u32_e32 v21, 29, v23
	v_and_b32_e32 v20, 7, v20
	v_cmp_gt_u32_e32 vcc, 8, v6
	v_cndmask_b32_e32 v6, v19, v21, vcc
	v_cndmask_b32_e32 v17, v17, v20, vcc
	v_lshlrev_b32_e32 v14, 24, v14
	v_bfrev_b32_e32 v19, 60
	v_lshlrev_b32_e32 v17, 20, v17
	v_and_b32_e32 v14, 0x80000000, v14
	v_lshl_add_u32 v6, v6, 23, v19
	v_or3_b32 v6, v14, v6, v17
	v_lshrrev_b32_e32 v17, 16, v6
.LBB889_613:
	s_or_b64 exec, exec, s[10:11]
.LBB889_614:
	s_or_b64 exec, exec, s[8:9]
.LBB889_615:
	s_or_b64 exec, exec, s[2:3]
	v_mov_b32_e32 v14, 0
	v_cmp_ne_u16_sdwa s[8:9], v7, v14 src0_sel:BYTE_0 src1_sel:DWORD
	v_mov_b32_e32 v19, 0
	s_and_saveexec_b64 s[2:3], s[8:9]
	s_cbranch_execz .LBB889_621
; %bb.616:
	s_movk_i32 s7, 0x80
	v_cmp_ne_u16_sdwa s[10:11], v7, s7 src0_sel:BYTE_0 src1_sel:DWORD
	v_mov_b32_e32 v19, 0xffff8000
	s_and_saveexec_b64 s[8:9], s[10:11]
	s_cbranch_execz .LBB889_620
; %bb.617:
	s_movk_i32 s7, 0x7f
	v_and_b32_e32 v6, 0x7f, v7
	v_cmp_ne_u32_e32 vcc, s7, v6
	v_mov_b32_e32 v19, 0x7f80
	s_and_saveexec_b64 s[10:11], vcc
	s_cbranch_execz .LBB889_619
; %bb.618:
	v_and_b32_e32 v19, 7, v7
	v_ffbh_u32_e32 v21, v19
	v_min_u32_e32 v24, 32, v21
	v_mov_b32_e32 v20, v7
	v_subrev_u32_e32 v21, 28, v24
	v_lshlrev_b64 v[20:21], v21, v[20:21]
	v_lshrrev_b32_e32 v23, 3, v6
	v_sub_u32_e32 v21, 29, v24
	v_and_b32_e32 v20, 7, v20
	v_cmp_gt_u32_e32 vcc, 8, v6
	v_cndmask_b32_e32 v6, v23, v21, vcc
	v_cndmask_b32_e32 v19, v19, v20, vcc
	v_lshlrev_b32_e32 v20, 24, v7
	v_bfrev_b32_e32 v21, 60
	v_lshlrev_b32_e32 v19, 20, v19
	v_and_b32_e32 v20, 0x80000000, v20
	v_lshl_add_u32 v6, v6, 23, v21
	v_or3_b32 v6, v20, v6, v19
	v_lshrrev_b32_e32 v19, 16, v6
.LBB889_619:
	s_or_b64 exec, exec, s[10:11]
.LBB889_620:
	s_or_b64 exec, exec, s[8:9]
.LBB889_621:
	s_or_b64 exec, exec, s[2:3]
	v_lshrrev_b16_e32 v6, 8, v7
	v_cmp_ne_u16_e32 vcc, 0, v6
	s_and_saveexec_b64 s[2:3], vcc
	s_cbranch_execz .LBB889_627
; %bb.622:
	s_movk_i32 s7, 0x80
	v_cmp_ne_u16_e32 vcc, s7, v6
	v_mov_b32_e32 v14, 0xffff8000
	s_and_saveexec_b64 s[8:9], vcc
	s_cbranch_execz .LBB889_626
; %bb.623:
	s_movk_i32 s7, 0x7f
	v_and_b32_e32 v20, 0x7f, v6
	v_cmp_ne_u32_e32 vcc, s7, v20
	v_mov_b32_e32 v14, 0x7f80
	s_and_saveexec_b64 s[10:11], vcc
	s_cbranch_execz .LBB889_625
; %bb.624:
	v_and_b32_e32 v14, 7, v6
	v_ffbh_u32_e32 v23, v14
	v_min_u32_e32 v23, 32, v23
	v_subrev_u32_e32 v24, 28, v23
	v_lshlrev_b64 v[24:25], v24, v[6:7]
	v_lshrrev_b32_e32 v21, 3, v20
	v_sub_u32_e32 v6, 29, v23
	v_and_b32_e32 v23, 7, v24
	v_cmp_gt_u32_e32 vcc, 8, v20
	v_cndmask_b32_e32 v6, v21, v6, vcc
	v_cndmask_b32_e32 v14, v14, v23, vcc
	v_lshlrev_b32_e32 v20, 16, v7
	v_bfrev_b32_e32 v21, 60
	v_lshlrev_b32_e32 v14, 20, v14
	v_and_b32_e32 v20, 0x80000000, v20
	v_lshl_add_u32 v6, v6, 23, v21
	v_or3_b32 v6, v20, v6, v14
	v_lshrrev_b32_e32 v14, 16, v6
.LBB889_625:
	s_or_b64 exec, exec, s[10:11]
.LBB889_626:
	s_or_b64 exec, exec, s[8:9]
.LBB889_627:
	s_or_b64 exec, exec, s[2:3]
	s_movk_i32 s2, 0xff
	v_and_b32_sdwa v23, v7, s2 dst_sel:DWORD dst_unused:UNUSED_PAD src0_sel:WORD_1 src1_sel:DWORD
	v_lshrrev_b32_e32 v6, 16, v7
	v_cmp_ne_u16_e32 vcc, 0, v23
	v_mov_b32_e32 v20, 0
	v_mov_b32_e32 v21, 0
	s_and_saveexec_b64 s[2:3], vcc
	s_cbranch_execz .LBB889_633
; %bb.628:
	s_movk_i32 s7, 0x80
	v_cmp_ne_u16_e32 vcc, s7, v23
	v_mov_b32_e32 v21, 0xffff8000
	s_and_saveexec_b64 s[8:9], vcc
	s_cbranch_execz .LBB889_632
; %bb.629:
	v_bfe_u32 v23, v7, 16, 7
	s_movk_i32 s7, 0x7f
	v_cmp_ne_u32_e32 vcc, s7, v23
	v_mov_b32_e32 v21, 0x7f80
	s_and_saveexec_b64 s[10:11], vcc
	s_cbranch_execz .LBB889_631
; %bb.630:
	v_and_b32_e32 v21, 7, v6
	v_ffbh_u32_e32 v24, v21
	v_min_u32_e32 v27, 32, v24
	v_subrev_u32_e32 v24, 28, v27
	v_lshlrev_b64 v[24:25], v24, v[6:7]
	v_lshrrev_b32_e32 v26, 3, v23
	v_sub_u32_e32 v6, 29, v27
	v_and_b32_e32 v24, 7, v24
	v_cmp_gt_u32_e32 vcc, 8, v23
	v_mov_b32_e32 v23, 24
	v_cndmask_b32_e32 v6, v26, v6, vcc
	v_cndmask_b32_e32 v21, v21, v24, vcc
	v_lshlrev_b32_sdwa v23, v23, v7 dst_sel:DWORD dst_unused:UNUSED_PAD src0_sel:DWORD src1_sel:WORD_1
	v_bfrev_b32_e32 v24, 60
	v_lshlrev_b32_e32 v21, 20, v21
	v_and_b32_e32 v23, 0x80000000, v23
	v_lshl_add_u32 v6, v6, 23, v24
	v_or3_b32 v6, v23, v6, v21
	v_lshrrev_b32_e32 v21, 16, v6
.LBB889_631:
	s_or_b64 exec, exec, s[10:11]
.LBB889_632:
	s_or_b64 exec, exec, s[8:9]
.LBB889_633:
	s_or_b64 exec, exec, s[2:3]
	s_mov_b32 s2, 0xffffff
	v_cmp_lt_u32_e32 vcc, s2, v7
	s_and_saveexec_b64 s[2:3], vcc
	s_cbranch_execz .LBB889_639
; %bb.634:
	v_lshrrev_b32_e32 v6, 24, v7
	s_movk_i32 s7, 0x80
	v_cmp_ne_u32_e32 vcc, s7, v6
	v_mov_b32_e32 v20, 0xffff8000
	s_and_saveexec_b64 s[8:9], vcc
	s_cbranch_execz .LBB889_638
; %bb.635:
	v_bfe_u32 v7, v7, 24, 7
	s_movk_i32 s7, 0x7f
	v_cmp_ne_u32_e32 vcc, s7, v7
	v_mov_b32_e32 v20, 0x7f80
	s_and_saveexec_b64 s[10:11], vcc
	s_cbranch_execz .LBB889_637
; %bb.636:
	v_and_b32_e32 v20, 7, v6
	v_ffbh_u32_e32 v24, v20
	v_min_u32_e32 v26, 32, v24
	v_subrev_u32_e32 v24, 28, v26
	v_lshlrev_b64 v[24:25], v24, v[6:7]
	v_lshrrev_b32_e32 v23, 3, v7
	v_sub_u32_e32 v25, 29, v26
	v_and_b32_e32 v24, 7, v24
	v_cmp_gt_u32_e32 vcc, 8, v7
	v_cndmask_b32_e32 v7, v23, v25, vcc
	v_cndmask_b32_e32 v20, v20, v24, vcc
	v_lshlrev_b32_e32 v6, 24, v6
	v_bfrev_b32_e32 v23, 60
	v_lshlrev_b32_e32 v20, 20, v20
	v_and_b32_e32 v6, 0x80000000, v6
	v_lshl_add_u32 v7, v7, 23, v23
	v_or3_b32 v6, v6, v7, v20
	v_lshrrev_b32_e32 v20, 16, v6
.LBB889_637:
	s_or_b64 exec, exec, s[10:11]
.LBB889_638:
	s_or_b64 exec, exec, s[8:9]
.LBB889_639:
	s_or_b64 exec, exec, s[2:3]
	s_mov_b32 s2, 0x5040100
	v_perm_b32 v7, v17, v18, s2
	v_perm_b32 v6, v15, v16, s2
	ds_read_b128 v[24:27], v22 offset:4096
	v_perm_b32 v17, v20, v21, s2
	v_perm_b32 v16, v14, v19, s2
	s_waitcnt lgkmcnt(0)
	v_mfma_f32_16x16x16bf16_1k v[10:13], v[6:7], v[24:25], v[10:13]
	v_mov_b32_e32 v7, 0
	v_cmp_ne_u16_sdwa s[8:9], v8, v7 src0_sel:BYTE_0 src1_sel:DWORD
	v_mov_b32_e32 v14, 0
	v_mfma_f32_16x16x16bf16_1k v[10:13], v[16:17], v[26:27], v[10:13]
	s_and_saveexec_b64 s[2:3], s[8:9]
	s_cbranch_execz .LBB889_645
; %bb.640:
	s_movk_i32 s7, 0x80
	v_cmp_ne_u16_sdwa s[10:11], v8, s7 src0_sel:BYTE_0 src1_sel:DWORD
	v_mov_b32_e32 v14, 0xffff8000
	s_and_saveexec_b64 s[8:9], s[10:11]
	s_cbranch_execz .LBB889_644
; %bb.641:
	s_movk_i32 s7, 0x7f
	v_and_b32_e32 v6, 0x7f, v8
	v_cmp_ne_u32_e32 vcc, s7, v6
	v_mov_b32_e32 v14, 0x7f80
	s_and_saveexec_b64 s[10:11], vcc
	s_cbranch_execz .LBB889_643
; %bb.642:
	v_and_b32_e32 v16, 7, v8
	v_ffbh_u32_e32 v14, v16
	v_min_u32_e32 v18, 32, v14
	v_subrev_u32_e32 v14, 28, v18
	v_lshlrev_b64 v[14:15], v14, v[8:9]
	v_lshrrev_b32_e32 v17, 3, v6
	v_sub_u32_e32 v15, 29, v18
	v_and_b32_e32 v14, 7, v14
	v_cmp_gt_u32_e32 vcc, 8, v6
	v_cndmask_b32_e32 v6, v17, v15, vcc
	v_cndmask_b32_e32 v14, v16, v14, vcc
	v_lshlrev_b32_e32 v15, 24, v8
	v_bfrev_b32_e32 v16, 60
	v_lshlrev_b32_e32 v14, 20, v14
	v_and_b32_e32 v15, 0x80000000, v15
	v_lshl_add_u32 v6, v6, 23, v16
	v_or3_b32 v6, v15, v6, v14
	v_lshrrev_b32_e32 v14, 16, v6
.LBB889_643:
	s_or_b64 exec, exec, s[10:11]
.LBB889_644:
	s_or_b64 exec, exec, s[8:9]
.LBB889_645:
	s_or_b64 exec, exec, s[2:3]
	v_lshrrev_b16_e32 v6, 8, v8
	v_cmp_ne_u16_e32 vcc, 0, v6
	s_and_saveexec_b64 s[2:3], vcc
	s_cbranch_execz .LBB889_651
; %bb.646:
	s_movk_i32 s7, 0x80
	v_cmp_ne_u16_e32 vcc, s7, v6
	v_mov_b32_e32 v7, 0xffff8000
	s_and_saveexec_b64 s[8:9], vcc
	s_cbranch_execz .LBB889_650
; %bb.647:
	s_movk_i32 s7, 0x7f
	v_and_b32_e32 v15, 0x7f, v6
	v_cmp_ne_u32_e32 vcc, s7, v15
	v_mov_b32_e32 v7, 0x7f80
	s_and_saveexec_b64 s[10:11], vcc
	s_cbranch_execz .LBB889_649
; %bb.648:
	v_and_b32_e32 v16, 7, v6
	v_ffbh_u32_e32 v7, v16
	v_min_u32_e32 v18, 32, v7
	v_subrev_u32_e32 v7, 28, v18
	v_lshlrev_b64 v[6:7], v7, v[6:7]
	v_lshrrev_b32_e32 v17, 3, v15
	v_sub_u32_e32 v7, 29, v18
	v_and_b32_e32 v6, 7, v6
	v_cmp_gt_u32_e32 vcc, 8, v15
	v_cndmask_b32_e32 v7, v17, v7, vcc
	v_cndmask_b32_e32 v6, v16, v6, vcc
	v_lshlrev_b32_e32 v15, 16, v8
	v_bfrev_b32_e32 v16, 60
	v_lshlrev_b32_e32 v6, 20, v6
	v_and_b32_e32 v15, 0x80000000, v15
	v_lshl_add_u32 v7, v7, 23, v16
	v_or3_b32 v6, v15, v7, v6
	v_lshrrev_b32_e32 v7, 16, v6
.LBB889_649:
	s_or_b64 exec, exec, s[10:11]
.LBB889_650:
	s_or_b64 exec, exec, s[8:9]
.LBB889_651:
	s_or_b64 exec, exec, s[2:3]
	s_movk_i32 s2, 0xff
	v_and_b32_sdwa v17, v8, s2 dst_sel:DWORD dst_unused:UNUSED_PAD src0_sel:WORD_1 src1_sel:DWORD
	v_lshrrev_b32_e32 v6, 16, v8
	v_cmp_ne_u16_e32 vcc, 0, v17
	v_mov_b32_e32 v15, 0
	v_mov_b32_e32 v16, 0
	s_and_saveexec_b64 s[2:3], vcc
	s_cbranch_execz .LBB889_657
; %bb.652:
	s_movk_i32 s7, 0x80
	v_cmp_ne_u16_e32 vcc, s7, v17
	v_mov_b32_e32 v16, 0xffff8000
	s_and_saveexec_b64 s[8:9], vcc
	s_cbranch_execz .LBB889_656
; %bb.653:
	v_bfe_u32 v17, v8, 16, 7
	s_movk_i32 s7, 0x7f
	v_cmp_ne_u32_e32 vcc, s7, v17
	v_mov_b32_e32 v16, 0x7f80
	s_and_saveexec_b64 s[10:11], vcc
	s_cbranch_execz .LBB889_655
; %bb.654:
	v_and_b32_e32 v16, 7, v6
	v_ffbh_u32_e32 v18, v16
	v_min_u32_e32 v21, 32, v18
	v_subrev_u32_e32 v18, 28, v21
	v_lshlrev_b64 v[18:19], v18, v[6:7]
	v_lshrrev_b32_e32 v20, 3, v17
	v_sub_u32_e32 v6, 29, v21
	v_and_b32_e32 v18, 7, v18
	v_cmp_gt_u32_e32 vcc, 8, v17
	v_mov_b32_e32 v17, 24
	v_cndmask_b32_e32 v6, v20, v6, vcc
	v_cndmask_b32_e32 v16, v16, v18, vcc
	v_lshlrev_b32_sdwa v17, v17, v8 dst_sel:DWORD dst_unused:UNUSED_PAD src0_sel:DWORD src1_sel:WORD_1
	v_bfrev_b32_e32 v18, 60
	v_lshlrev_b32_e32 v16, 20, v16
	v_and_b32_e32 v17, 0x80000000, v17
	v_lshl_add_u32 v6, v6, 23, v18
	v_or3_b32 v6, v17, v6, v16
	v_lshrrev_b32_e32 v16, 16, v6
.LBB889_655:
	s_or_b64 exec, exec, s[10:11]
.LBB889_656:
	s_or_b64 exec, exec, s[8:9]
.LBB889_657:
	s_or_b64 exec, exec, s[2:3]
	s_mov_b32 s2, 0xffffff
	v_cmp_lt_u32_e32 vcc, s2, v8
	s_and_saveexec_b64 s[2:3], vcc
	s_cbranch_execz .LBB889_663
; %bb.658:
	v_lshrrev_b32_e32 v6, 24, v8
	s_movk_i32 s7, 0x80
	v_cmp_ne_u32_e32 vcc, s7, v6
	v_mov_b32_e32 v15, 0xffff8000
	s_and_saveexec_b64 s[8:9], vcc
	s_cbranch_execz .LBB889_662
; %bb.659:
	v_bfe_u32 v8, v8, 24, 7
	s_movk_i32 s7, 0x7f
	v_cmp_ne_u32_e32 vcc, s7, v8
	v_mov_b32_e32 v15, 0x7f80
	s_and_saveexec_b64 s[10:11], vcc
	s_cbranch_execz .LBB889_661
; %bb.660:
	v_and_b32_e32 v15, 7, v6
	v_ffbh_u32_e32 v18, v15
	v_min_u32_e32 v20, 32, v18
	v_subrev_u32_e32 v18, 28, v20
	v_lshlrev_b64 v[18:19], v18, v[6:7]
	v_lshrrev_b32_e32 v17, 3, v8
	v_sub_u32_e32 v19, 29, v20
	v_and_b32_e32 v18, 7, v18
	v_cmp_gt_u32_e32 vcc, 8, v8
	v_cndmask_b32_e32 v8, v17, v19, vcc
	v_cndmask_b32_e32 v15, v15, v18, vcc
	v_lshlrev_b32_e32 v6, 24, v6
	v_bfrev_b32_e32 v17, 60
	v_lshlrev_b32_e32 v15, 20, v15
	v_and_b32_e32 v6, 0x80000000, v6
	v_lshl_add_u32 v8, v8, 23, v17
	v_or3_b32 v6, v6, v8, v15
	v_lshrrev_b32_e32 v15, 16, v6
.LBB889_661:
	s_or_b64 exec, exec, s[10:11]
.LBB889_662:
	s_or_b64 exec, exec, s[8:9]
.LBB889_663:
	s_or_b64 exec, exec, s[2:3]
	v_mov_b32_e32 v8, 0
	v_cmp_ne_u16_sdwa s[8:9], v9, v8 src0_sel:BYTE_0 src1_sel:DWORD
	v_mov_b32_e32 v17, 0
	s_and_saveexec_b64 s[2:3], s[8:9]
	s_cbranch_execz .LBB889_669
; %bb.664:
	s_movk_i32 s7, 0x80
	v_cmp_ne_u16_sdwa s[10:11], v9, s7 src0_sel:BYTE_0 src1_sel:DWORD
	v_mov_b32_e32 v17, 0xffff8000
	s_and_saveexec_b64 s[8:9], s[10:11]
	s_cbranch_execz .LBB889_668
; %bb.665:
	s_movk_i32 s7, 0x7f
	v_and_b32_e32 v6, 0x7f, v9
	v_cmp_ne_u32_e32 vcc, s7, v6
	v_mov_b32_e32 v17, 0x7f80
	s_and_saveexec_b64 s[10:11], vcc
	s_cbranch_execz .LBB889_667
; %bb.666:
	v_and_b32_e32 v17, 7, v9
	v_ffbh_u32_e32 v19, v17
	v_min_u32_e32 v21, 32, v19
	v_mov_b32_e32 v18, v9
	v_subrev_u32_e32 v19, 28, v21
	v_lshlrev_b64 v[18:19], v19, v[18:19]
	v_lshrrev_b32_e32 v20, 3, v6
	v_sub_u32_e32 v19, 29, v21
	v_and_b32_e32 v18, 7, v18
	v_cmp_gt_u32_e32 vcc, 8, v6
	v_cndmask_b32_e32 v6, v20, v19, vcc
	v_cndmask_b32_e32 v17, v17, v18, vcc
	v_lshlrev_b32_e32 v18, 24, v9
	v_bfrev_b32_e32 v19, 60
	v_lshlrev_b32_e32 v17, 20, v17
	v_and_b32_e32 v18, 0x80000000, v18
	v_lshl_add_u32 v6, v6, 23, v19
	v_or3_b32 v6, v18, v6, v17
	v_lshrrev_b32_e32 v17, 16, v6
.LBB889_667:
	s_or_b64 exec, exec, s[10:11]
.LBB889_668:
	s_or_b64 exec, exec, s[8:9]
.LBB889_669:
	s_or_b64 exec, exec, s[2:3]
	v_lshrrev_b16_e32 v6, 8, v9
	v_cmp_ne_u16_e32 vcc, 0, v6
	s_and_saveexec_b64 s[2:3], vcc
	s_cbranch_execz .LBB889_675
; %bb.670:
	s_movk_i32 s7, 0x80
	v_cmp_ne_u16_e32 vcc, s7, v6
	v_mov_b32_e32 v8, 0xffff8000
	s_and_saveexec_b64 s[8:9], vcc
	s_cbranch_execz .LBB889_674
; %bb.671:
	s_movk_i32 s7, 0x7f
	v_and_b32_e32 v18, 0x7f, v6
	v_cmp_ne_u32_e32 vcc, s7, v18
	v_mov_b32_e32 v8, 0x7f80
	s_and_saveexec_b64 s[10:11], vcc
	s_cbranch_execz .LBB889_673
; %bb.672:
	v_and_b32_e32 v8, 7, v6
	v_ffbh_u32_e32 v20, v8
	v_min_u32_e32 v23, 32, v20
	v_subrev_u32_e32 v20, 28, v23
	v_lshlrev_b64 v[20:21], v20, v[6:7]
	v_lshrrev_b32_e32 v19, 3, v18
	v_sub_u32_e32 v6, 29, v23
	v_and_b32_e32 v20, 7, v20
	v_cmp_gt_u32_e32 vcc, 8, v18
	v_cndmask_b32_e32 v6, v19, v6, vcc
	v_cndmask_b32_e32 v8, v8, v20, vcc
	v_lshlrev_b32_e32 v18, 16, v9
	v_bfrev_b32_e32 v19, 60
	v_lshlrev_b32_e32 v8, 20, v8
	v_and_b32_e32 v18, 0x80000000, v18
	v_lshl_add_u32 v6, v6, 23, v19
	v_or3_b32 v6, v18, v6, v8
	v_lshrrev_b32_e32 v8, 16, v6
.LBB889_673:
	s_or_b64 exec, exec, s[10:11]
.LBB889_674:
	s_or_b64 exec, exec, s[8:9]
.LBB889_675:
	s_or_b64 exec, exec, s[2:3]
	s_movk_i32 s2, 0xff
	v_and_b32_sdwa v20, v9, s2 dst_sel:DWORD dst_unused:UNUSED_PAD src0_sel:WORD_1 src1_sel:DWORD
	v_lshrrev_b32_e32 v6, 16, v9
	v_cmp_ne_u16_e32 vcc, 0, v20
	v_mov_b32_e32 v18, 0
	v_mov_b32_e32 v19, 0
	s_and_saveexec_b64 s[2:3], vcc
	s_cbranch_execz .LBB889_681
; %bb.676:
	s_movk_i32 s7, 0x80
	v_cmp_ne_u16_e32 vcc, s7, v20
	v_mov_b32_e32 v19, 0xffff8000
	s_and_saveexec_b64 s[8:9], vcc
	s_cbranch_execz .LBB889_680
; %bb.677:
	v_bfe_u32 v20, v9, 16, 7
	s_movk_i32 s7, 0x7f
	v_cmp_ne_u32_e32 vcc, s7, v20
	v_mov_b32_e32 v19, 0x7f80
	s_and_saveexec_b64 s[10:11], vcc
	s_cbranch_execz .LBB889_679
; %bb.678:
	v_and_b32_e32 v19, 7, v6
	v_ffbh_u32_e32 v23, v19
	v_min_u32_e32 v23, 32, v23
	v_subrev_u32_e32 v24, 28, v23
	v_lshlrev_b64 v[24:25], v24, v[6:7]
	v_lshrrev_b32_e32 v21, 3, v20
	v_sub_u32_e32 v6, 29, v23
	v_and_b32_e32 v23, 7, v24
	v_cmp_gt_u32_e32 vcc, 8, v20
	v_mov_b32_e32 v20, 24
	v_cndmask_b32_e32 v6, v21, v6, vcc
	v_cndmask_b32_e32 v19, v19, v23, vcc
	v_lshlrev_b32_sdwa v20, v20, v9 dst_sel:DWORD dst_unused:UNUSED_PAD src0_sel:DWORD src1_sel:WORD_1
	v_bfrev_b32_e32 v21, 60
	v_lshlrev_b32_e32 v19, 20, v19
	v_and_b32_e32 v20, 0x80000000, v20
	v_lshl_add_u32 v6, v6, 23, v21
	v_or3_b32 v6, v20, v6, v19
	v_lshrrev_b32_e32 v19, 16, v6
.LBB889_679:
	s_or_b64 exec, exec, s[10:11]
.LBB889_680:
	s_or_b64 exec, exec, s[8:9]
.LBB889_681:
	s_or_b64 exec, exec, s[2:3]
	s_mov_b32 s2, 0xffffff
	v_cmp_lt_u32_e32 vcc, s2, v9
	s_and_saveexec_b64 s[2:3], vcc
	s_cbranch_execz .LBB889_687
; %bb.682:
	v_lshrrev_b32_e32 v6, 24, v9
	s_movk_i32 s7, 0x80
	v_cmp_ne_u32_e32 vcc, s7, v6
	v_mov_b32_e32 v18, 0xffff8000
	s_and_saveexec_b64 s[8:9], vcc
	s_cbranch_execz .LBB889_686
; %bb.683:
	v_bfe_u32 v9, v9, 24, 7
	s_movk_i32 s7, 0x7f
	v_cmp_ne_u32_e32 vcc, s7, v9
	v_mov_b32_e32 v18, 0x7f80
	s_and_saveexec_b64 s[10:11], vcc
	s_cbranch_execz .LBB889_685
; %bb.684:
	v_and_b32_e32 v18, 7, v6
	v_ffbh_u32_e32 v20, v18
	v_min_u32_e32 v24, 32, v20
	v_subrev_u32_e32 v20, 28, v24
	v_lshlrev_b64 v[20:21], v20, v[6:7]
	v_lshrrev_b32_e32 v23, 3, v9
	v_sub_u32_e32 v21, 29, v24
	v_and_b32_e32 v20, 7, v20
	v_cmp_gt_u32_e32 vcc, 8, v9
	v_cndmask_b32_e32 v9, v23, v21, vcc
	v_cndmask_b32_e32 v18, v18, v20, vcc
	v_lshlrev_b32_e32 v6, 24, v6
	v_bfrev_b32_e32 v20, 60
	v_lshlrev_b32_e32 v18, 20, v18
	v_and_b32_e32 v6, 0x80000000, v6
	v_lshl_add_u32 v9, v9, 23, v20
	v_or3_b32 v6, v6, v9, v18
	v_lshrrev_b32_e32 v18, 16, v6
.LBB889_685:
	s_or_b64 exec, exec, s[10:11]
.LBB889_686:
	s_or_b64 exec, exec, s[8:9]
.LBB889_687:
	s_or_b64 exec, exec, s[2:3]
	s_mov_b32 s2, 0x5040100
	v_perm_b32 v15, v15, v16, s2
	v_perm_b32 v14, v7, v14, s2
	ds_read_b128 v[24:27], v22 offset:4112
	v_perm_b32 v7, v18, v19, s2
	v_perm_b32 v6, v8, v17, s2
	s_waitcnt lgkmcnt(0)
	v_mfma_f32_16x16x16bf16_1k v[30:33], v[14:15], v[24:25], v[10:13]
	s_nop 6
	v_mov_b32_e32 v11, 0
	s_waitcnt vmcnt(0)
	v_cmp_ne_u16_sdwa s[8:9], v2, v11 src0_sel:BYTE_0 src1_sel:DWORD
	v_mfma_f32_16x16x16bf16_1k v[6:9], v[6:7], v[26:27], v[30:33]
	v_mov_b32_e32 v12, 0
	s_and_saveexec_b64 s[2:3], s[8:9]
	s_cbranch_execz .LBB889_693
; %bb.688:
	s_movk_i32 s7, 0x80
	v_cmp_ne_u16_sdwa s[10:11], v2, s7 src0_sel:BYTE_0 src1_sel:DWORD
	v_mov_b32_e32 v12, 0xffff8000
	s_and_saveexec_b64 s[8:9], s[10:11]
	s_cbranch_execz .LBB889_692
; %bb.689:
	s_movk_i32 s7, 0x7f
	v_and_b32_e32 v10, 0x7f, v2
	v_cmp_ne_u32_e32 vcc, s7, v10
	v_mov_b32_e32 v12, 0x7f80
	s_and_saveexec_b64 s[10:11], vcc
	s_cbranch_execz .LBB889_691
; %bb.690:
	v_and_b32_e32 v14, 7, v2
	v_ffbh_u32_e32 v12, v14
	v_min_u32_e32 v16, 32, v12
	v_subrev_u32_e32 v12, 28, v16
	v_lshlrev_b64 v[12:13], v12, v[2:3]
	v_lshrrev_b32_e32 v15, 3, v10
	v_sub_u32_e32 v13, 29, v16
	v_and_b32_e32 v12, 7, v12
	v_cmp_gt_u32_e32 vcc, 8, v10
	v_cndmask_b32_e32 v10, v15, v13, vcc
	v_cndmask_b32_e32 v12, v14, v12, vcc
	v_lshlrev_b32_e32 v13, 24, v2
	v_bfrev_b32_e32 v14, 60
	v_lshlrev_b32_e32 v12, 20, v12
	v_and_b32_e32 v13, 0x80000000, v13
	v_lshl_add_u32 v10, v10, 23, v14
	v_or3_b32 v10, v13, v10, v12
	v_lshrrev_b32_e32 v12, 16, v10
.LBB889_691:
	s_or_b64 exec, exec, s[10:11]
.LBB889_692:
	s_or_b64 exec, exec, s[8:9]
.LBB889_693:
	s_or_b64 exec, exec, s[2:3]
	v_lshrrev_b16_e32 v10, 8, v2
	v_cmp_ne_u16_e32 vcc, 0, v10
	s_and_saveexec_b64 s[2:3], vcc
	s_cbranch_execz .LBB889_699
; %bb.694:
	s_movk_i32 s7, 0x80
	v_cmp_ne_u16_e32 vcc, s7, v10
	v_mov_b32_e32 v11, 0xffff8000
	s_and_saveexec_b64 s[8:9], vcc
	s_cbranch_execz .LBB889_698
; %bb.695:
	s_movk_i32 s7, 0x7f
	v_and_b32_e32 v13, 0x7f, v10
	v_cmp_ne_u32_e32 vcc, s7, v13
	v_mov_b32_e32 v11, 0x7f80
	s_and_saveexec_b64 s[10:11], vcc
	s_cbranch_execz .LBB889_697
; %bb.696:
	v_and_b32_e32 v14, 7, v10
	v_ffbh_u32_e32 v11, v14
	v_min_u32_e32 v16, 32, v11
	v_subrev_u32_e32 v11, 28, v16
	v_lshlrev_b64 v[10:11], v11, v[10:11]
	v_lshrrev_b32_e32 v15, 3, v13
	v_sub_u32_e32 v11, 29, v16
	v_and_b32_e32 v10, 7, v10
	v_cmp_gt_u32_e32 vcc, 8, v13
	v_cndmask_b32_e32 v11, v15, v11, vcc
	v_cndmask_b32_e32 v10, v14, v10, vcc
	v_lshlrev_b32_e32 v13, 16, v2
	v_bfrev_b32_e32 v14, 60
	v_lshlrev_b32_e32 v10, 20, v10
	v_and_b32_e32 v13, 0x80000000, v13
	v_lshl_add_u32 v11, v11, 23, v14
	v_or3_b32 v10, v13, v11, v10
	v_lshrrev_b32_e32 v11, 16, v10
.LBB889_697:
	s_or_b64 exec, exec, s[10:11]
.LBB889_698:
	s_or_b64 exec, exec, s[8:9]
.LBB889_699:
	s_or_b64 exec, exec, s[2:3]
	s_movk_i32 s2, 0xff
	v_and_b32_sdwa v15, v2, s2 dst_sel:DWORD dst_unused:UNUSED_PAD src0_sel:WORD_1 src1_sel:DWORD
	v_lshrrev_b32_e32 v10, 16, v2
	v_cmp_ne_u16_e32 vcc, 0, v15
	v_mov_b32_e32 v13, 0
	v_mov_b32_e32 v14, 0
	s_and_saveexec_b64 s[2:3], vcc
	s_cbranch_execz .LBB889_705
; %bb.700:
	s_movk_i32 s7, 0x80
	v_cmp_ne_u16_e32 vcc, s7, v15
	v_mov_b32_e32 v14, 0xffff8000
	s_and_saveexec_b64 s[8:9], vcc
	s_cbranch_execz .LBB889_704
; %bb.701:
	v_bfe_u32 v15, v2, 16, 7
	s_movk_i32 s7, 0x7f
	v_cmp_ne_u32_e32 vcc, s7, v15
	v_mov_b32_e32 v14, 0x7f80
	s_and_saveexec_b64 s[10:11], vcc
	s_cbranch_execz .LBB889_703
; %bb.702:
	v_and_b32_e32 v14, 7, v10
	v_ffbh_u32_e32 v16, v14
	v_min_u32_e32 v19, 32, v16
	v_subrev_u32_e32 v16, 28, v19
	v_lshlrev_b64 v[16:17], v16, v[10:11]
	v_lshrrev_b32_e32 v18, 3, v15
	v_sub_u32_e32 v10, 29, v19
	v_and_b32_e32 v16, 7, v16
	v_cmp_gt_u32_e32 vcc, 8, v15
	v_mov_b32_e32 v15, 24
	v_cndmask_b32_e32 v10, v18, v10, vcc
	v_cndmask_b32_e32 v14, v14, v16, vcc
	v_lshlrev_b32_sdwa v15, v15, v2 dst_sel:DWORD dst_unused:UNUSED_PAD src0_sel:DWORD src1_sel:WORD_1
	v_bfrev_b32_e32 v16, 60
	v_lshlrev_b32_e32 v14, 20, v14
	v_and_b32_e32 v15, 0x80000000, v15
	v_lshl_add_u32 v10, v10, 23, v16
	v_or3_b32 v10, v15, v10, v14
	v_lshrrev_b32_e32 v14, 16, v10
.LBB889_703:
	s_or_b64 exec, exec, s[10:11]
.LBB889_704:
	s_or_b64 exec, exec, s[8:9]
.LBB889_705:
	s_or_b64 exec, exec, s[2:3]
	s_mov_b32 s2, 0xffffff
	v_cmp_lt_u32_e32 vcc, s2, v2
	s_and_saveexec_b64 s[2:3], vcc
	s_cbranch_execz .LBB889_711
; %bb.706:
	v_lshrrev_b32_e32 v10, 24, v2
	s_movk_i32 s7, 0x80
	v_cmp_ne_u32_e32 vcc, s7, v10
	v_mov_b32_e32 v13, 0xffff8000
	s_and_saveexec_b64 s[8:9], vcc
	s_cbranch_execz .LBB889_710
; %bb.707:
	v_bfe_u32 v2, v2, 24, 7
	s_movk_i32 s7, 0x7f
	v_cmp_ne_u32_e32 vcc, s7, v2
	v_mov_b32_e32 v13, 0x7f80
	s_and_saveexec_b64 s[10:11], vcc
	s_cbranch_execz .LBB889_709
; %bb.708:
	v_and_b32_e32 v13, 7, v10
	v_ffbh_u32_e32 v16, v13
	v_min_u32_e32 v18, 32, v16
	v_subrev_u32_e32 v16, 28, v18
	v_lshlrev_b64 v[16:17], v16, v[10:11]
	v_lshrrev_b32_e32 v15, 3, v2
	v_sub_u32_e32 v17, 29, v18
	v_and_b32_e32 v16, 7, v16
	v_cmp_gt_u32_e32 vcc, 8, v2
	v_cndmask_b32_e32 v2, v15, v17, vcc
	v_cndmask_b32_e32 v13, v13, v16, vcc
	v_lshlrev_b32_e32 v10, 24, v10
	v_bfrev_b32_e32 v15, 60
	v_lshlrev_b32_e32 v13, 20, v13
	v_and_b32_e32 v10, 0x80000000, v10
	v_lshl_add_u32 v2, v2, 23, v15
	v_or3_b32 v2, v10, v2, v13
	v_lshrrev_b32_e32 v13, 16, v2
.LBB889_709:
	s_or_b64 exec, exec, s[10:11]
.LBB889_710:
	s_or_b64 exec, exec, s[8:9]
.LBB889_711:
	s_or_b64 exec, exec, s[2:3]
	v_mov_b32_e32 v10, 0
	v_cmp_ne_u16_sdwa s[8:9], v3, v10 src0_sel:BYTE_0 src1_sel:DWORD
	v_mov_b32_e32 v15, 0
	s_and_saveexec_b64 s[2:3], s[8:9]
	s_cbranch_execz .LBB889_717
; %bb.712:
	s_movk_i32 s7, 0x80
	v_cmp_ne_u16_sdwa s[10:11], v3, s7 src0_sel:BYTE_0 src1_sel:DWORD
	v_mov_b32_e32 v15, 0xffff8000
	s_and_saveexec_b64 s[8:9], s[10:11]
	s_cbranch_execz .LBB889_716
; %bb.713:
	s_movk_i32 s7, 0x7f
	v_and_b32_e32 v2, 0x7f, v3
	v_cmp_ne_u32_e32 vcc, s7, v2
	v_mov_b32_e32 v15, 0x7f80
	s_and_saveexec_b64 s[10:11], vcc
	s_cbranch_execz .LBB889_715
; %bb.714:
	v_and_b32_e32 v15, 7, v3
	v_ffbh_u32_e32 v17, v15
	v_min_u32_e32 v19, 32, v17
	v_mov_b32_e32 v16, v3
	v_subrev_u32_e32 v17, 28, v19
	v_lshlrev_b64 v[16:17], v17, v[16:17]
	v_lshrrev_b32_e32 v18, 3, v2
	v_sub_u32_e32 v17, 29, v19
	v_and_b32_e32 v16, 7, v16
	v_cmp_gt_u32_e32 vcc, 8, v2
	v_cndmask_b32_e32 v2, v18, v17, vcc
	v_cndmask_b32_e32 v15, v15, v16, vcc
	v_lshlrev_b32_e32 v16, 24, v3
	v_bfrev_b32_e32 v17, 60
	v_lshlrev_b32_e32 v15, 20, v15
	v_and_b32_e32 v16, 0x80000000, v16
	v_lshl_add_u32 v2, v2, 23, v17
	v_or3_b32 v2, v16, v2, v15
	v_lshrrev_b32_e32 v15, 16, v2
.LBB889_715:
	s_or_b64 exec, exec, s[10:11]
.LBB889_716:
	s_or_b64 exec, exec, s[8:9]
.LBB889_717:
	s_or_b64 exec, exec, s[2:3]
	v_lshrrev_b16_e32 v2, 8, v3
	v_cmp_ne_u16_e32 vcc, 0, v2
	s_and_saveexec_b64 s[2:3], vcc
	s_cbranch_execz .LBB889_723
; %bb.718:
	s_movk_i32 s7, 0x80
	v_cmp_ne_u16_e32 vcc, s7, v2
	v_mov_b32_e32 v10, 0xffff8000
	s_and_saveexec_b64 s[8:9], vcc
	s_cbranch_execz .LBB889_722
; %bb.719:
	s_movk_i32 s7, 0x7f
	v_and_b32_e32 v16, 0x7f, v2
	v_cmp_ne_u32_e32 vcc, s7, v16
	v_mov_b32_e32 v10, 0x7f80
	s_and_saveexec_b64 s[10:11], vcc
	s_cbranch_execz .LBB889_721
; %bb.720:
	v_and_b32_e32 v10, 7, v2
	v_ffbh_u32_e32 v18, v10
	v_min_u32_e32 v20, 32, v18
	v_subrev_u32_e32 v18, 28, v20
	v_lshlrev_b64 v[18:19], v18, v[2:3]
	v_lshrrev_b32_e32 v17, 3, v16
	v_sub_u32_e32 v2, 29, v20
	v_and_b32_e32 v18, 7, v18
	v_cmp_gt_u32_e32 vcc, 8, v16
	v_cndmask_b32_e32 v2, v17, v2, vcc
	v_cndmask_b32_e32 v10, v10, v18, vcc
	v_lshlrev_b32_e32 v16, 16, v3
	v_bfrev_b32_e32 v17, 60
	v_lshlrev_b32_e32 v10, 20, v10
	v_and_b32_e32 v16, 0x80000000, v16
	v_lshl_add_u32 v2, v2, 23, v17
	v_or3_b32 v2, v16, v2, v10
	v_lshrrev_b32_e32 v10, 16, v2
.LBB889_721:
	s_or_b64 exec, exec, s[10:11]
.LBB889_722:
	s_or_b64 exec, exec, s[8:9]
.LBB889_723:
	s_or_b64 exec, exec, s[2:3]
	s_movk_i32 s2, 0xff
	v_and_b32_sdwa v18, v3, s2 dst_sel:DWORD dst_unused:UNUSED_PAD src0_sel:WORD_1 src1_sel:DWORD
	v_lshrrev_b32_e32 v2, 16, v3
	v_cmp_ne_u16_e32 vcc, 0, v18
	v_mov_b32_e32 v16, 0
	v_mov_b32_e32 v17, 0
	s_and_saveexec_b64 s[2:3], vcc
	s_cbranch_execz .LBB889_729
; %bb.724:
	s_movk_i32 s7, 0x80
	v_cmp_ne_u16_e32 vcc, s7, v18
	v_mov_b32_e32 v17, 0xffff8000
	s_and_saveexec_b64 s[8:9], vcc
	s_cbranch_execz .LBB889_728
; %bb.725:
	v_bfe_u32 v18, v3, 16, 7
	s_movk_i32 s7, 0x7f
	v_cmp_ne_u32_e32 vcc, s7, v18
	v_mov_b32_e32 v17, 0x7f80
	s_and_saveexec_b64 s[10:11], vcc
	s_cbranch_execz .LBB889_727
; %bb.726:
	v_and_b32_e32 v17, 7, v2
	v_ffbh_u32_e32 v20, v17
	v_min_u32_e32 v23, 32, v20
	v_subrev_u32_e32 v20, 28, v23
	v_lshlrev_b64 v[20:21], v20, v[2:3]
	v_lshrrev_b32_e32 v19, 3, v18
	v_sub_u32_e32 v2, 29, v23
	v_and_b32_e32 v20, 7, v20
	v_cmp_gt_u32_e32 vcc, 8, v18
	v_mov_b32_e32 v18, 24
	v_cndmask_b32_e32 v2, v19, v2, vcc
	v_cndmask_b32_e32 v17, v17, v20, vcc
	v_lshlrev_b32_sdwa v18, v18, v3 dst_sel:DWORD dst_unused:UNUSED_PAD src0_sel:DWORD src1_sel:WORD_1
	v_bfrev_b32_e32 v19, 60
	v_lshlrev_b32_e32 v17, 20, v17
	v_and_b32_e32 v18, 0x80000000, v18
	v_lshl_add_u32 v2, v2, 23, v19
	v_or3_b32 v2, v18, v2, v17
	v_lshrrev_b32_e32 v17, 16, v2
.LBB889_727:
	s_or_b64 exec, exec, s[10:11]
.LBB889_728:
	s_or_b64 exec, exec, s[8:9]
.LBB889_729:
	s_or_b64 exec, exec, s[2:3]
	s_mov_b32 s2, 0xffffff
	v_cmp_lt_u32_e32 vcc, s2, v3
	s_and_saveexec_b64 s[2:3], vcc
	s_cbranch_execz .LBB889_735
; %bb.730:
	v_lshrrev_b32_e32 v2, 24, v3
	s_movk_i32 s7, 0x80
	v_cmp_ne_u32_e32 vcc, s7, v2
	v_mov_b32_e32 v16, 0xffff8000
	s_and_saveexec_b64 s[8:9], vcc
	s_cbranch_execz .LBB889_734
; %bb.731:
	v_bfe_u32 v3, v3, 24, 7
	s_movk_i32 s7, 0x7f
	v_cmp_ne_u32_e32 vcc, s7, v3
	v_mov_b32_e32 v16, 0x7f80
	s_and_saveexec_b64 s[10:11], vcc
	s_cbranch_execz .LBB889_733
; %bb.732:
	v_and_b32_e32 v16, 7, v2
	v_ffbh_u32_e32 v18, v16
	v_min_u32_e32 v21, 32, v18
	v_subrev_u32_e32 v18, 28, v21
	v_lshlrev_b64 v[18:19], v18, v[2:3]
	v_lshrrev_b32_e32 v20, 3, v3
	v_sub_u32_e32 v19, 29, v21
	v_and_b32_e32 v18, 7, v18
	v_cmp_gt_u32_e32 vcc, 8, v3
	v_cndmask_b32_e32 v3, v20, v19, vcc
	v_cndmask_b32_e32 v16, v16, v18, vcc
	v_lshlrev_b32_e32 v2, 24, v2
	v_bfrev_b32_e32 v18, 60
	v_lshlrev_b32_e32 v16, 20, v16
	v_and_b32_e32 v2, 0x80000000, v2
	v_lshl_add_u32 v3, v3, 23, v18
	v_or3_b32 v2, v2, v3, v16
	v_lshrrev_b32_e32 v16, 16, v2
.LBB889_733:
	s_or_b64 exec, exec, s[10:11]
.LBB889_734:
	s_or_b64 exec, exec, s[8:9]
.LBB889_735:
	s_or_b64 exec, exec, s[2:3]
	s_mov_b32 s2, 0x5040100
	v_perm_b32 v3, v13, v14, s2
	v_perm_b32 v2, v11, v12, s2
	ds_read_b128 v[18:21], v22 offset:6144
	v_perm_b32 v13, v16, v17, s2
	v_perm_b32 v12, v10, v15, s2
	s_waitcnt lgkmcnt(0)
	v_mfma_f32_16x16x16bf16_1k v[6:9], v[2:3], v[18:19], v[6:9]
	v_mov_b32_e32 v3, 0
	v_cmp_ne_u16_sdwa s[8:9], v4, v3 src0_sel:BYTE_0 src1_sel:DWORD
	v_mov_b32_e32 v10, 0
	v_mfma_f32_16x16x16bf16_1k v[6:9], v[12:13], v[20:21], v[6:9]
	s_and_saveexec_b64 s[2:3], s[8:9]
	s_cbranch_execz .LBB889_741
; %bb.736:
	s_movk_i32 s7, 0x80
	v_cmp_ne_u16_sdwa s[10:11], v4, s7 src0_sel:BYTE_0 src1_sel:DWORD
	v_mov_b32_e32 v10, 0xffff8000
	s_and_saveexec_b64 s[8:9], s[10:11]
	s_cbranch_execz .LBB889_740
; %bb.737:
	s_movk_i32 s7, 0x7f
	v_and_b32_e32 v2, 0x7f, v4
	v_cmp_ne_u32_e32 vcc, s7, v2
	v_mov_b32_e32 v10, 0x7f80
	s_and_saveexec_b64 s[10:11], vcc
	s_cbranch_execz .LBB889_739
; %bb.738:
	v_and_b32_e32 v12, 7, v4
	v_ffbh_u32_e32 v10, v12
	v_min_u32_e32 v14, 32, v10
	v_subrev_u32_e32 v10, 28, v14
	v_lshlrev_b64 v[10:11], v10, v[4:5]
	v_lshrrev_b32_e32 v13, 3, v2
	v_sub_u32_e32 v11, 29, v14
	v_and_b32_e32 v10, 7, v10
	v_cmp_gt_u32_e32 vcc, 8, v2
	v_cndmask_b32_e32 v2, v13, v11, vcc
	v_cndmask_b32_e32 v10, v12, v10, vcc
	v_lshlrev_b32_e32 v11, 24, v4
	v_bfrev_b32_e32 v12, 60
	v_lshlrev_b32_e32 v10, 20, v10
	v_and_b32_e32 v11, 0x80000000, v11
	v_lshl_add_u32 v2, v2, 23, v12
	v_or3_b32 v2, v11, v2, v10
	v_lshrrev_b32_e32 v10, 16, v2
.LBB889_739:
	s_or_b64 exec, exec, s[10:11]
.LBB889_740:
	s_or_b64 exec, exec, s[8:9]
.LBB889_741:
	s_or_b64 exec, exec, s[2:3]
	v_lshrrev_b16_e32 v2, 8, v4
	v_cmp_ne_u16_e32 vcc, 0, v2
	s_and_saveexec_b64 s[2:3], vcc
	s_cbranch_execz .LBB889_747
; %bb.742:
	s_movk_i32 s7, 0x80
	v_cmp_ne_u16_e32 vcc, s7, v2
	v_mov_b32_e32 v3, 0xffff8000
	s_and_saveexec_b64 s[8:9], vcc
	s_cbranch_execz .LBB889_746
; %bb.743:
	s_movk_i32 s7, 0x7f
	v_and_b32_e32 v11, 0x7f, v2
	v_cmp_ne_u32_e32 vcc, s7, v11
	v_mov_b32_e32 v3, 0x7f80
	s_and_saveexec_b64 s[10:11], vcc
	s_cbranch_execz .LBB889_745
; %bb.744:
	v_and_b32_e32 v12, 7, v2
	v_ffbh_u32_e32 v3, v12
	v_min_u32_e32 v14, 32, v3
	v_subrev_u32_e32 v3, 28, v14
	v_lshlrev_b64 v[2:3], v3, v[2:3]
	v_lshrrev_b32_e32 v13, 3, v11
	v_sub_u32_e32 v3, 29, v14
	v_and_b32_e32 v2, 7, v2
	v_cmp_gt_u32_e32 vcc, 8, v11
	v_cndmask_b32_e32 v3, v13, v3, vcc
	v_cndmask_b32_e32 v2, v12, v2, vcc
	v_lshlrev_b32_e32 v11, 16, v4
	v_bfrev_b32_e32 v12, 60
	v_lshlrev_b32_e32 v2, 20, v2
	v_and_b32_e32 v11, 0x80000000, v11
	v_lshl_add_u32 v3, v3, 23, v12
	v_or3_b32 v2, v11, v3, v2
	v_lshrrev_b32_e32 v3, 16, v2
.LBB889_745:
	s_or_b64 exec, exec, s[10:11]
.LBB889_746:
	s_or_b64 exec, exec, s[8:9]
.LBB889_747:
	s_or_b64 exec, exec, s[2:3]
	s_movk_i32 s2, 0xff
	v_and_b32_sdwa v13, v4, s2 dst_sel:DWORD dst_unused:UNUSED_PAD src0_sel:WORD_1 src1_sel:DWORD
	v_lshrrev_b32_e32 v2, 16, v4
	v_cmp_ne_u16_e32 vcc, 0, v13
	v_mov_b32_e32 v11, 0
	v_mov_b32_e32 v12, 0
	s_and_saveexec_b64 s[2:3], vcc
	s_cbranch_execz .LBB889_753
; %bb.748:
	s_movk_i32 s7, 0x80
	v_cmp_ne_u16_e32 vcc, s7, v13
	v_mov_b32_e32 v12, 0xffff8000
	s_and_saveexec_b64 s[8:9], vcc
	s_cbranch_execz .LBB889_752
; %bb.749:
	v_bfe_u32 v13, v4, 16, 7
	s_movk_i32 s7, 0x7f
	v_cmp_ne_u32_e32 vcc, s7, v13
	v_mov_b32_e32 v12, 0x7f80
	s_and_saveexec_b64 s[10:11], vcc
	s_cbranch_execz .LBB889_751
; %bb.750:
	v_and_b32_e32 v12, 7, v2
	v_ffbh_u32_e32 v14, v12
	v_min_u32_e32 v17, 32, v14
	v_subrev_u32_e32 v14, 28, v17
	v_lshlrev_b64 v[14:15], v14, v[2:3]
	v_lshrrev_b32_e32 v16, 3, v13
	v_sub_u32_e32 v2, 29, v17
	v_and_b32_e32 v14, 7, v14
	v_cmp_gt_u32_e32 vcc, 8, v13
	v_mov_b32_e32 v13, 24
	v_cndmask_b32_e32 v2, v16, v2, vcc
	v_cndmask_b32_e32 v12, v12, v14, vcc
	v_lshlrev_b32_sdwa v13, v13, v4 dst_sel:DWORD dst_unused:UNUSED_PAD src0_sel:DWORD src1_sel:WORD_1
	v_bfrev_b32_e32 v14, 60
	v_lshlrev_b32_e32 v12, 20, v12
	v_and_b32_e32 v13, 0x80000000, v13
	v_lshl_add_u32 v2, v2, 23, v14
	v_or3_b32 v2, v13, v2, v12
	v_lshrrev_b32_e32 v12, 16, v2
.LBB889_751:
	s_or_b64 exec, exec, s[10:11]
.LBB889_752:
	s_or_b64 exec, exec, s[8:9]
.LBB889_753:
	s_or_b64 exec, exec, s[2:3]
	s_mov_b32 s2, 0xffffff
	v_cmp_lt_u32_e32 vcc, s2, v4
	s_and_saveexec_b64 s[2:3], vcc
	s_cbranch_execz .LBB889_759
; %bb.754:
	v_lshrrev_b32_e32 v2, 24, v4
	s_movk_i32 s7, 0x80
	v_cmp_ne_u32_e32 vcc, s7, v2
	v_mov_b32_e32 v11, 0xffff8000
	s_and_saveexec_b64 s[8:9], vcc
	s_cbranch_execz .LBB889_758
; %bb.755:
	v_bfe_u32 v4, v4, 24, 7
	s_movk_i32 s7, 0x7f
	v_cmp_ne_u32_e32 vcc, s7, v4
	v_mov_b32_e32 v11, 0x7f80
	s_and_saveexec_b64 s[10:11], vcc
	s_cbranch_execz .LBB889_757
; %bb.756:
	v_and_b32_e32 v11, 7, v2
	v_ffbh_u32_e32 v14, v11
	v_min_u32_e32 v16, 32, v14
	v_subrev_u32_e32 v14, 28, v16
	v_lshlrev_b64 v[14:15], v14, v[2:3]
	v_lshrrev_b32_e32 v13, 3, v4
	v_sub_u32_e32 v15, 29, v16
	v_and_b32_e32 v14, 7, v14
	v_cmp_gt_u32_e32 vcc, 8, v4
	v_cndmask_b32_e32 v4, v13, v15, vcc
	v_cndmask_b32_e32 v11, v11, v14, vcc
	v_lshlrev_b32_e32 v2, 24, v2
	v_bfrev_b32_e32 v13, 60
	v_lshlrev_b32_e32 v11, 20, v11
	v_and_b32_e32 v2, 0x80000000, v2
	v_lshl_add_u32 v4, v4, 23, v13
	v_or3_b32 v2, v2, v4, v11
	v_lshrrev_b32_e32 v11, 16, v2
.LBB889_757:
	s_or_b64 exec, exec, s[10:11]
.LBB889_758:
	s_or_b64 exec, exec, s[8:9]
.LBB889_759:
	s_or_b64 exec, exec, s[2:3]
	v_mov_b32_e32 v4, 0
	v_cmp_ne_u16_sdwa s[8:9], v5, v4 src0_sel:BYTE_0 src1_sel:DWORD
	v_mov_b32_e32 v13, 0
	s_and_saveexec_b64 s[2:3], s[8:9]
	s_cbranch_execz .LBB889_765
; %bb.760:
	s_movk_i32 s7, 0x80
	v_cmp_ne_u16_sdwa s[10:11], v5, s7 src0_sel:BYTE_0 src1_sel:DWORD
	v_mov_b32_e32 v13, 0xffff8000
	s_and_saveexec_b64 s[8:9], s[10:11]
	s_cbranch_execz .LBB889_764
; %bb.761:
	s_movk_i32 s7, 0x7f
	v_and_b32_e32 v2, 0x7f, v5
	v_cmp_ne_u32_e32 vcc, s7, v2
	v_mov_b32_e32 v13, 0x7f80
	s_and_saveexec_b64 s[10:11], vcc
	s_cbranch_execz .LBB889_763
; %bb.762:
	v_and_b32_e32 v13, 7, v5
	v_ffbh_u32_e32 v15, v13
	v_min_u32_e32 v17, 32, v15
	v_mov_b32_e32 v14, v5
	v_subrev_u32_e32 v15, 28, v17
	v_lshlrev_b64 v[14:15], v15, v[14:15]
	v_lshrrev_b32_e32 v16, 3, v2
	v_sub_u32_e32 v15, 29, v17
	v_and_b32_e32 v14, 7, v14
	v_cmp_gt_u32_e32 vcc, 8, v2
	v_cndmask_b32_e32 v2, v16, v15, vcc
	v_cndmask_b32_e32 v13, v13, v14, vcc
	v_lshlrev_b32_e32 v14, 24, v5
	v_bfrev_b32_e32 v15, 60
	v_lshlrev_b32_e32 v13, 20, v13
	v_and_b32_e32 v14, 0x80000000, v14
	v_lshl_add_u32 v2, v2, 23, v15
	v_or3_b32 v2, v14, v2, v13
	v_lshrrev_b32_e32 v13, 16, v2
.LBB889_763:
	s_or_b64 exec, exec, s[10:11]
.LBB889_764:
	s_or_b64 exec, exec, s[8:9]
.LBB889_765:
	s_or_b64 exec, exec, s[2:3]
	v_lshrrev_b16_e32 v2, 8, v5
	v_cmp_ne_u16_e32 vcc, 0, v2
	s_and_saveexec_b64 s[2:3], vcc
	s_cbranch_execz .LBB889_771
; %bb.766:
	s_movk_i32 s7, 0x80
	v_cmp_ne_u16_e32 vcc, s7, v2
	v_mov_b32_e32 v4, 0xffff8000
	s_and_saveexec_b64 s[8:9], vcc
	s_cbranch_execz .LBB889_770
; %bb.767:
	s_movk_i32 s7, 0x7f
	v_and_b32_e32 v14, 0x7f, v2
	v_cmp_ne_u32_e32 vcc, s7, v14
	v_mov_b32_e32 v4, 0x7f80
	s_and_saveexec_b64 s[10:11], vcc
	s_cbranch_execz .LBB889_769
; %bb.768:
	v_and_b32_e32 v4, 7, v2
	v_ffbh_u32_e32 v16, v4
	v_min_u32_e32 v18, 32, v16
	v_subrev_u32_e32 v16, 28, v18
	v_lshlrev_b64 v[16:17], v16, v[2:3]
	v_lshrrev_b32_e32 v15, 3, v14
	v_sub_u32_e32 v2, 29, v18
	v_and_b32_e32 v16, 7, v16
	v_cmp_gt_u32_e32 vcc, 8, v14
	v_cndmask_b32_e32 v2, v15, v2, vcc
	v_cndmask_b32_e32 v4, v4, v16, vcc
	v_lshlrev_b32_e32 v14, 16, v5
	v_bfrev_b32_e32 v15, 60
	v_lshlrev_b32_e32 v4, 20, v4
	v_and_b32_e32 v14, 0x80000000, v14
	v_lshl_add_u32 v2, v2, 23, v15
	v_or3_b32 v2, v14, v2, v4
	v_lshrrev_b32_e32 v4, 16, v2
.LBB889_769:
	s_or_b64 exec, exec, s[10:11]
.LBB889_770:
	s_or_b64 exec, exec, s[8:9]
.LBB889_771:
	s_or_b64 exec, exec, s[2:3]
	s_movk_i32 s2, 0xff
	v_and_b32_sdwa v16, v5, s2 dst_sel:DWORD dst_unused:UNUSED_PAD src0_sel:WORD_1 src1_sel:DWORD
	v_lshrrev_b32_e32 v2, 16, v5
	v_cmp_ne_u16_e32 vcc, 0, v16
	v_mov_b32_e32 v14, 0
	v_mov_b32_e32 v15, 0
	s_and_saveexec_b64 s[2:3], vcc
	s_cbranch_execz .LBB889_777
; %bb.772:
	s_movk_i32 s7, 0x80
	v_cmp_ne_u16_e32 vcc, s7, v16
	v_mov_b32_e32 v15, 0xffff8000
	s_and_saveexec_b64 s[8:9], vcc
	s_cbranch_execz .LBB889_776
; %bb.773:
	v_bfe_u32 v16, v5, 16, 7
	s_movk_i32 s7, 0x7f
	v_cmp_ne_u32_e32 vcc, s7, v16
	v_mov_b32_e32 v15, 0x7f80
	s_and_saveexec_b64 s[10:11], vcc
	s_cbranch_execz .LBB889_775
; %bb.774:
	v_and_b32_e32 v15, 7, v2
	v_ffbh_u32_e32 v18, v15
	v_min_u32_e32 v20, 32, v18
	v_subrev_u32_e32 v18, 28, v20
	v_lshlrev_b64 v[18:19], v18, v[2:3]
	v_lshrrev_b32_e32 v17, 3, v16
	v_sub_u32_e32 v2, 29, v20
	v_and_b32_e32 v18, 7, v18
	v_cmp_gt_u32_e32 vcc, 8, v16
	v_mov_b32_e32 v16, 24
	v_cndmask_b32_e32 v2, v17, v2, vcc
	v_cndmask_b32_e32 v15, v15, v18, vcc
	v_lshlrev_b32_sdwa v16, v16, v5 dst_sel:DWORD dst_unused:UNUSED_PAD src0_sel:DWORD src1_sel:WORD_1
	v_bfrev_b32_e32 v17, 60
	v_lshlrev_b32_e32 v15, 20, v15
	v_and_b32_e32 v16, 0x80000000, v16
	v_lshl_add_u32 v2, v2, 23, v17
	v_or3_b32 v2, v16, v2, v15
	v_lshrrev_b32_e32 v15, 16, v2
.LBB889_775:
	s_or_b64 exec, exec, s[10:11]
.LBB889_776:
	s_or_b64 exec, exec, s[8:9]
.LBB889_777:
	s_or_b64 exec, exec, s[2:3]
	s_mov_b32 s2, 0xffffff
	v_cmp_lt_u32_e32 vcc, s2, v5
	s_and_saveexec_b64 s[2:3], vcc
	s_cbranch_execz .LBB889_783
; %bb.778:
	v_lshrrev_b32_e32 v2, 24, v5
	s_movk_i32 s7, 0x80
	v_cmp_ne_u32_e32 vcc, s7, v2
	v_mov_b32_e32 v14, 0xffff8000
	s_and_saveexec_b64 s[8:9], vcc
	s_cbranch_execz .LBB889_782
; %bb.779:
	v_bfe_u32 v5, v5, 24, 7
	s_movk_i32 s7, 0x7f
	v_cmp_ne_u32_e32 vcc, s7, v5
	v_mov_b32_e32 v14, 0x7f80
	s_and_saveexec_b64 s[10:11], vcc
	s_cbranch_execz .LBB889_781
; %bb.780:
	v_and_b32_e32 v14, 7, v2
	v_ffbh_u32_e32 v16, v14
	v_min_u32_e32 v19, 32, v16
	v_subrev_u32_e32 v16, 28, v19
	v_lshlrev_b64 v[16:17], v16, v[2:3]
	v_lshrrev_b32_e32 v18, 3, v5
	v_sub_u32_e32 v17, 29, v19
	v_and_b32_e32 v16, 7, v16
	v_cmp_gt_u32_e32 vcc, 8, v5
	v_cndmask_b32_e32 v5, v18, v17, vcc
	v_cndmask_b32_e32 v14, v14, v16, vcc
	v_lshlrev_b32_e32 v2, 24, v2
	v_bfrev_b32_e32 v16, 60
	v_lshlrev_b32_e32 v14, 20, v14
	v_and_b32_e32 v2, 0x80000000, v2
	v_lshl_add_u32 v5, v5, 23, v16
	v_or3_b32 v2, v2, v5, v14
	v_lshrrev_b32_e32 v14, 16, v2
.LBB889_781:
	s_or_b64 exec, exec, s[10:11]
.LBB889_782:
	s_or_b64 exec, exec, s[8:9]
.LBB889_783:
	s_or_b64 exec, exec, s[2:3]
	s_mov_b32 s3, 0x5040100
	v_perm_b32 v11, v11, v12, s3
	ds_read_b128 v[16:19], v22 offset:6160
	v_perm_b32 v10, v3, v10, s3
	v_perm_b32 v3, v14, v15, s3
	;; [unrolled: 1-line block ×3, first 2 shown]
	s_waitcnt lgkmcnt(0)
	v_mfma_f32_16x16x16bf16_1k v[6:9], v[10:11], v[16:17], v[6:9]
	s_load_dword s2, s[42:43], 0x0
	s_mov_b32 s3, 0x7060302
	s_movk_i32 s7, 0x7fff
	v_cmp_gt_u32_e32 vcc, 64, v0
	s_and_b64 s[0:1], vcc, s[0:1]
	s_waitcnt lgkmcnt(0)
	s_barrier
	v_mfma_f32_16x16x16bf16_1k v[2:5], v[2:3], v[18:19], v[6:9]
	s_nop 7
	s_nop 2
	v_pk_mul_f32 v[4:5], v[4:5], s[2:3] op_sel_hi:[1,0]
	v_pk_mul_f32 v[2:3], v[2:3], s[2:3] op_sel_hi:[1,0]
	v_bfe_u32 v6, v3, 16, 1
	v_bfe_u32 v7, v2, 16, 1
	;; [unrolled: 1-line block ×4, first 2 shown]
	v_add3_u32 v2, v2, v7, s7
	v_add3_u32 v3, v3, v6, s7
	;; [unrolled: 1-line block ×4, first 2 shown]
	v_perm_b32 v2, v3, v2, s3
	v_perm_b32 v3, v5, v4, s3
	ds_write_b64 v28, v[2:3]
	s_waitcnt lgkmcnt(0)
	s_barrier
	s_and_saveexec_b64 s[2:3], s[0:1]
	s_cbranch_execz .LBB889_785
; %bb.784:
	s_load_dwordx2 s[0:1], s[4:5], 0x68
	s_lshl_b32 s4, s44, 6
	s_mul_i32 s2, s12, s6
	s_mul_hi_u32 s3, s2, s4
	s_mul_i32 s2, s2, s4
	s_lshl_b64 s[2:3], s[2:3], 1
	s_waitcnt lgkmcnt(0)
	s_add_u32 s2, s0, s2
	s_addc_u32 s3, s1, s3
	s_lshl_b32 s0, s24, 6
	s_mov_b32 s1, 0
	v_lshlrev_b32_e32 v0, 10, v0
	s_lshl_b64 s[0:1], s[0:1], 1
	v_and_b32_e32 v0, 0x1800, v0
	v_lshlrev_b32_e32 v2, 5, v1
	v_and_b32_e32 v3, 16, v47
	s_add_u32 s0, s2, s0
	v_or3_b32 v0, v0, v2, v3
	s_addc_u32 s1, s3, s1
	ds_read_b128 v[2:5], v0
	ds_read_b128 v[6:9], v0 offset:128
	ds_read_b128 v[10:13], v0 offset:256
	v_or_b32_e32 v14, s25, v1
	v_mov_b32_e32 v0, s1
	v_add_co_u32_e32 v15, vcc, s0, v46
	v_addc_co_u32_e32 v16, vcc, 0, v0, vcc
	v_mad_u64_u32 v[0:1], s[0:1], v14, s4, 0
	v_lshlrev_b64 v[0:1], 1, v[0:1]
	v_add_co_u32_e32 v0, vcc, v15, v0
	v_addc_co_u32_e32 v1, vcc, v16, v1, vcc
	s_waitcnt lgkmcnt(2)
	global_store_dwordx4 v[0:1], v[2:5], off
	v_add_u32_e32 v0, 4, v14
	v_mad_u64_u32 v[0:1], s[0:1], v0, s4, 0
	v_lshlrev_b64 v[0:1], 1, v[0:1]
	v_add_co_u32_e32 v0, vcc, v15, v0
	v_addc_co_u32_e32 v1, vcc, v16, v1, vcc
	s_waitcnt lgkmcnt(1)
	global_store_dwordx4 v[0:1], v[6:9], off
	v_add_u32_e32 v0, 8, v14
	v_mad_u64_u32 v[0:1], s[0:1], v0, s4, 0
	v_lshlrev_b64 v[0:1], 1, v[0:1]
	v_add_co_u32_e32 v0, vcc, v15, v0
	v_addc_co_u32_e32 v1, vcc, v16, v1, vcc
	s_waitcnt lgkmcnt(0)
	global_store_dwordx4 v[0:1], v[10:13], off
.LBB889_785:
	s_endpgm
	.section	.rodata,"a",@progbits
	.p2align	6, 0x0
	.amdhsa_kernel _Z39paged_attention_ll4mi_QKV_mfma16_kernelI14__hip_bfloat16hLN4vllm18Fp8KVCacheDataTypeE1ES0_Li32ELi64ELi256ELb0ELi12EL8MFMAType0EEvPKT_PKT0_S9_ifPKiSB_SB_iPKfiiiPfSE_PS4_PT2_iSD_SD_
		.amdhsa_group_segment_fixed_size 8192
		.amdhsa_private_segment_fixed_size 0
		.amdhsa_kernarg_size 400
		.amdhsa_user_sgpr_count 6
		.amdhsa_user_sgpr_private_segment_buffer 1
		.amdhsa_user_sgpr_dispatch_ptr 0
		.amdhsa_user_sgpr_queue_ptr 0
		.amdhsa_user_sgpr_kernarg_segment_ptr 1
		.amdhsa_user_sgpr_dispatch_id 0
		.amdhsa_user_sgpr_flat_scratch_init 0
		.amdhsa_user_sgpr_kernarg_preload_length 0
		.amdhsa_user_sgpr_kernarg_preload_offset 0
		.amdhsa_user_sgpr_private_segment_size 0
		.amdhsa_uses_dynamic_stack 0
		.amdhsa_system_sgpr_private_segment_wavefront_offset 0
		.amdhsa_system_sgpr_workgroup_id_x 1
		.amdhsa_system_sgpr_workgroup_id_y 1
		.amdhsa_system_sgpr_workgroup_id_z 1
		.amdhsa_system_sgpr_workgroup_info 0
		.amdhsa_system_vgpr_workitem_id 0
		.amdhsa_next_free_vgpr 62
		.amdhsa_next_free_sgpr 47
		.amdhsa_accum_offset 64
		.amdhsa_reserve_vcc 1
		.amdhsa_reserve_flat_scratch 0
		.amdhsa_float_round_mode_32 0
		.amdhsa_float_round_mode_16_64 0
		.amdhsa_float_denorm_mode_32 3
		.amdhsa_float_denorm_mode_16_64 3
		.amdhsa_dx10_clamp 1
		.amdhsa_ieee_mode 1
		.amdhsa_fp16_overflow 0
		.amdhsa_tg_split 0
		.amdhsa_exception_fp_ieee_invalid_op 0
		.amdhsa_exception_fp_denorm_src 0
		.amdhsa_exception_fp_ieee_div_zero 0
		.amdhsa_exception_fp_ieee_overflow 0
		.amdhsa_exception_fp_ieee_underflow 0
		.amdhsa_exception_fp_ieee_inexact 0
		.amdhsa_exception_int_div_zero 0
	.end_amdhsa_kernel
	.section	.text._Z39paged_attention_ll4mi_QKV_mfma16_kernelI14__hip_bfloat16hLN4vllm18Fp8KVCacheDataTypeE1ES0_Li32ELi64ELi256ELb0ELi12EL8MFMAType0EEvPKT_PKT0_S9_ifPKiSB_SB_iPKfiiiPfSE_PS4_PT2_iSD_SD_,"axG",@progbits,_Z39paged_attention_ll4mi_QKV_mfma16_kernelI14__hip_bfloat16hLN4vllm18Fp8KVCacheDataTypeE1ES0_Li32ELi64ELi256ELb0ELi12EL8MFMAType0EEvPKT_PKT0_S9_ifPKiSB_SB_iPKfiiiPfSE_PS4_PT2_iSD_SD_,comdat
.Lfunc_end889:
	.size	_Z39paged_attention_ll4mi_QKV_mfma16_kernelI14__hip_bfloat16hLN4vllm18Fp8KVCacheDataTypeE1ES0_Li32ELi64ELi256ELb0ELi12EL8MFMAType0EEvPKT_PKT0_S9_ifPKiSB_SB_iPKfiiiPfSE_PS4_PT2_iSD_SD_, .Lfunc_end889-_Z39paged_attention_ll4mi_QKV_mfma16_kernelI14__hip_bfloat16hLN4vllm18Fp8KVCacheDataTypeE1ES0_Li32ELi64ELi256ELb0ELi12EL8MFMAType0EEvPKT_PKT0_S9_ifPKiSB_SB_iPKfiiiPfSE_PS4_PT2_iSD_SD_
                                        ; -- End function
	.section	.AMDGPU.csdata,"",@progbits
; Kernel info:
; codeLenInByte = 28408
; NumSgprs: 51
; NumVgprs: 62
; NumAgprs: 0
; TotalNumVgprs: 62
; ScratchSize: 0
; MemoryBound: 0
; FloatMode: 240
; IeeeMode: 1
; LDSByteSize: 8192 bytes/workgroup (compile time only)
; SGPRBlocks: 6
; VGPRBlocks: 7
; NumSGPRsForWavesPerEU: 51
; NumVGPRsForWavesPerEU: 62
; AccumOffset: 64
; Occupancy: 8
; WaveLimiterHint : 1
; COMPUTE_PGM_RSRC2:SCRATCH_EN: 0
; COMPUTE_PGM_RSRC2:USER_SGPR: 6
; COMPUTE_PGM_RSRC2:TRAP_HANDLER: 0
; COMPUTE_PGM_RSRC2:TGID_X_EN: 1
; COMPUTE_PGM_RSRC2:TGID_Y_EN: 1
; COMPUTE_PGM_RSRC2:TGID_Z_EN: 1
; COMPUTE_PGM_RSRC2:TIDIG_COMP_CNT: 0
; COMPUTE_PGM_RSRC3_GFX90A:ACCUM_OFFSET: 15
; COMPUTE_PGM_RSRC3_GFX90A:TG_SPLIT: 0
	.section	.text._Z39paged_attention_ll4mi_QKV_mfma16_kernelI14__hip_bfloat16hLN4vllm18Fp8KVCacheDataTypeE1ES0_Li32ELi64ELi256ELb0ELi13EL8MFMAType0EEvPKT_PKT0_S9_ifPKiSB_SB_iPKfiiiPfSE_PS4_PT2_iSD_SD_,"axG",@progbits,_Z39paged_attention_ll4mi_QKV_mfma16_kernelI14__hip_bfloat16hLN4vllm18Fp8KVCacheDataTypeE1ES0_Li32ELi64ELi256ELb0ELi13EL8MFMAType0EEvPKT_PKT0_S9_ifPKiSB_SB_iPKfiiiPfSE_PS4_PT2_iSD_SD_,comdat
	.protected	_Z39paged_attention_ll4mi_QKV_mfma16_kernelI14__hip_bfloat16hLN4vllm18Fp8KVCacheDataTypeE1ES0_Li32ELi64ELi256ELb0ELi13EL8MFMAType0EEvPKT_PKT0_S9_ifPKiSB_SB_iPKfiiiPfSE_PS4_PT2_iSD_SD_ ; -- Begin function _Z39paged_attention_ll4mi_QKV_mfma16_kernelI14__hip_bfloat16hLN4vllm18Fp8KVCacheDataTypeE1ES0_Li32ELi64ELi256ELb0ELi13EL8MFMAType0EEvPKT_PKT0_S9_ifPKiSB_SB_iPKfiiiPfSE_PS4_PT2_iSD_SD_
	.globl	_Z39paged_attention_ll4mi_QKV_mfma16_kernelI14__hip_bfloat16hLN4vllm18Fp8KVCacheDataTypeE1ES0_Li32ELi64ELi256ELb0ELi13EL8MFMAType0EEvPKT_PKT0_S9_ifPKiSB_SB_iPKfiiiPfSE_PS4_PT2_iSD_SD_
	.p2align	8
	.type	_Z39paged_attention_ll4mi_QKV_mfma16_kernelI14__hip_bfloat16hLN4vllm18Fp8KVCacheDataTypeE1ES0_Li32ELi64ELi256ELb0ELi13EL8MFMAType0EEvPKT_PKT0_S9_ifPKiSB_SB_iPKfiiiPfSE_PS4_PT2_iSD_SD_,@function
_Z39paged_attention_ll4mi_QKV_mfma16_kernelI14__hip_bfloat16hLN4vllm18Fp8KVCacheDataTypeE1ES0_Li32ELi64ELi256ELb0ELi13EL8MFMAType0EEvPKT_PKT0_S9_ifPKiSB_SB_iPKfiiiPfSE_PS4_PT2_iSD_SD_: ; @_Z39paged_attention_ll4mi_QKV_mfma16_kernelI14__hip_bfloat16hLN4vllm18Fp8KVCacheDataTypeE1ES0_Li32ELi64ELi256ELb0ELi13EL8MFMAType0EEvPKT_PKT0_S9_ifPKiSB_SB_iPKfiiiPfSE_PS4_PT2_iSD_SD_
; %bb.0:
	s_load_dwordx2 s[0:1], s[4:5], 0x30
	s_mov_b32 s24, s7
	s_mov_b64 s[10:11], 0
	s_waitcnt lgkmcnt(0)
	s_cmp_lg_u64 s[0:1], 0
	s_cselect_b64 s[2:3], -1, 0
	s_and_b64 vcc, exec, s[2:3]
	s_cbranch_vccz .LBB890_7
; %bb.1:
	s_add_i32 s12, s6, 1
	s_mov_b32 s13, 0
	s_lshl_b64 s[14:15], s[12:13], 2
	s_add_u32 s14, s0, s14
	s_mov_b32 s7, s13
	s_addc_u32 s15, s1, s15
	s_lshl_b64 s[12:13], s[6:7], 2
	s_add_u32 s12, s0, s12
	s_addc_u32 s13, s1, s13
	s_load_dword s9, s[14:15], 0x0
	s_load_dword s16, s[12:13], 0x0
	s_waitcnt lgkmcnt(0)
	s_sub_i32 s9, s9, s16
	s_cmp_eq_u32 s9, 1
	s_cselect_b64 s[12:13], -1, 0
	s_andn2_b64 vcc, exec, s[10:11]
	s_cbranch_vccnz .LBB890_3
.LBB890_2:
	s_mov_b32 s7, 0
	s_mov_b64 s[12:13], -1
.LBB890_3:
	s_andn2_b64 vcc, exec, s[12:13]
	s_cbranch_vccnz .LBB890_786
; %bb.4:
	s_load_dwordx2 s[12:13], s[4:5], 0x28
	s_lshl_b64 s[10:11], s[6:7], 2
	s_waitcnt lgkmcnt(0)
	s_add_u32 s12, s12, s10
	s_addc_u32 s13, s13, s11
	s_load_dword s33, s[12:13], 0x0
	s_lshl_b32 s20, s24, 8
	s_waitcnt lgkmcnt(0)
	s_cmp_ge_i32 s20, s33
	s_cbranch_scc1 .LBB890_786
; %bb.5:
	s_add_i32 s14, s33, 31
	s_load_dwordx2 s[12:13], s[4:5], 0x20
	s_load_dword s9, s[4:5], 0x38
	s_ashr_i32 s15, s14, 31
	v_and_b32_e32 v1, 0xcf, v0
	s_lshr_b32 s15, s15, 27
	v_add_u32_e32 v1, s20, v1
	s_add_i32 s14, s14, s15
	v_ashrrev_i32_e32 v2, 31, v1
	s_ashr_i32 s22, s14, 5
	v_lshrrev_b32_e32 v4, 27, v2
	s_add_i32 s22, s22, -1
	v_add_u32_e32 v2, v1, v4
	s_waitcnt lgkmcnt(0)
	s_mul_i32 s14, s6, s9
	s_mov_b32 s15, 0
	v_ashrrev_i32_e32 v2, 5, v2
	v_mov_b32_e32 v5, s22
	v_cmp_gt_i32_e32 vcc, s33, v1
	s_lshl_b64 s[14:15], s[14:15], 2
	v_cndmask_b32_e32 v2, v5, v2, vcc
	s_add_u32 s9, s12, s14
	v_ashrrev_i32_e32 v3, 31, v2
	s_addc_u32 s21, s13, s15
	v_lshlrev_b64 v[2:3], 2, v[2:3]
	v_mov_b32_e32 v7, s21
	v_add_co_u32_e32 v6, vcc, s9, v2
	v_or_b32_e32 v2, 16, v1
	v_addc_co_u32_e32 v7, vcc, v7, v3, vcc
	v_add_u32_e32 v3, v2, v4
	v_ashrrev_i32_e32 v3, 5, v3
	v_cmp_gt_i32_e32 vcc, s33, v2
	v_cndmask_b32_e32 v2, v5, v3, vcc
	v_ashrrev_i32_e32 v3, 31, v2
	v_lshlrev_b64 v[2:3], 2, v[2:3]
	v_mov_b32_e32 v9, s21
	v_add_co_u32_e32 v8, vcc, s9, v2
	v_or_b32_e32 v2, 32, v1
	v_addc_co_u32_e32 v9, vcc, v9, v3, vcc
	v_add_u32_e32 v3, v2, v4
	v_ashrrev_i32_e32 v3, 5, v3
	v_cmp_gt_i32_e32 vcc, s33, v2
	v_cndmask_b32_e32 v2, v5, v3, vcc
	v_ashrrev_i32_e32 v3, 31, v2
	;; [unrolled: 10-line block ×3, first 2 shown]
	v_lshlrev_b64 v[2:3], 2, v[2:3]
	v_mov_b32_e32 v1, s21
	v_add_co_u32_e32 v12, vcc, s9, v2
	v_addc_co_u32_e32 v13, vcc, v1, v3, vcc
	global_load_dword v5, v[6:7], off
	global_load_dword v4, v[8:9], off
	;; [unrolled: 1-line block ×4, first 2 shown]
	s_load_dwordx4 s[12:15], s[4:5], 0x8
	s_andn2_b64 vcc, exec, s[2:3]
	s_cbranch_vccnz .LBB890_8
; %bb.6:
	s_add_u32 s0, s0, s10
	s_addc_u32 s1, s1, s11
	s_load_dword s10, s[0:1], 0x0
	s_branch .LBB890_9
.LBB890_7:
	s_mov_b64 s[12:13], 0
	s_branch .LBB890_2
.LBB890_8:
	s_mov_b32 s10, s6
.LBB890_9:
	s_load_dwordx4 s[16:19], s[4:5], 0x48
	v_lshrrev_b32_e32 v50, 6, v0
	v_bfe_u32 v1, v0, 4, 2
	v_lshl_or_b32 v6, v50, 2, v1
	v_and_b32_e32 v49, 15, v0
	v_lshlrev_b32_e32 v7, 3, v49
	v_cmp_gt_u32_e32 vcc, 13, v6
	v_cmp_gt_u32_e64 s[0:1], 8, v49
	s_mul_i32 s25, s8, 13
	s_and_b64 s[26:27], s[0:1], vcc
	v_lshlrev_b32_e32 v46, 1, v7
	v_lshlrev_b32_e32 v47, 4, v0
	s_and_saveexec_b64 s[2:3], s[26:27]
	s_cbranch_execz .LBB890_11
; %bb.10:
	s_load_dwordx2 s[26:27], s[4:5], 0x0
	s_waitcnt lgkmcnt(0)
	s_ashr_i32 s11, s16, 31
	s_mul_hi_u32 s19, s10, s16
	s_mul_i32 s11, s10, s11
	s_add_i32 s11, s19, s11
	s_mul_i32 s10, s10, s16
	s_lshl_b64 s[10:11], s[10:11], 1
	v_add_lshl_u32 v8, v6, s25, 6
	s_add_u32 s10, s26, s10
	v_ashrrev_i32_e32 v9, 31, v8
	s_addc_u32 s11, s27, s11
	v_lshlrev_b64 v[8:9], 1, v[8:9]
	v_mov_b32_e32 v7, s11
	v_add_co_u32_e32 v8, vcc, s10, v8
	v_addc_co_u32_e32 v7, vcc, v7, v9, vcc
	v_add_co_u32_e32 v8, vcc, v8, v46
	v_addc_co_u32_e32 v9, vcc, 0, v7, vcc
	global_load_dwordx4 v[8:11], v[8:9], off
	v_lshlrev_b32_e32 v12, 8, v49
	v_lshlrev_b32_e32 v6, 5, v6
	v_and_b32_e32 v7, 16, v47
	v_and_b32_e32 v12, 0xe00, v12
	v_or3_b32 v6, v12, v6, v7
	s_waitcnt vmcnt(0)
	ds_write_b128 v6, v[8:11]
.LBB890_11:
	s_or_b64 exec, exec, s[2:3]
	s_waitcnt lgkmcnt(0)
	s_mul_i32 s8, s8, s18
	s_add_u32 s2, s12, s8
	s_addc_u32 s3, s13, 0
	v_and_b32_e32 v12, 48, v0
	s_ashr_i32 s10, s20, 31
	v_or_b32_e32 v13, s20, v12
	s_lshr_b32 s10, s10, 27
	v_add_u32_e32 v6, s10, v13
	v_ashrrev_i32_e32 v6, 5, v6
	v_mov_b32_e32 v14, s22
	v_cmp_gt_i32_e32 vcc, s33, v13
	v_cndmask_b32_e32 v6, v14, v6, vcc
	v_ashrrev_i32_e32 v7, 31, v6
	v_lshlrev_b64 v[6:7], 2, v[6:7]
	v_mov_b32_e32 v8, s21
	v_add_co_u32_e32 v6, vcc, s9, v6
	v_addc_co_u32_e32 v7, vcc, v8, v7, vcc
	v_or_b32_e32 v8, 64, v13
	v_add_u32_e32 v9, s10, v8
	v_ashrrev_i32_e32 v9, 5, v9
	v_cmp_gt_i32_e32 vcc, s33, v8
	v_cndmask_b32_e32 v8, v14, v9, vcc
	v_ashrrev_i32_e32 v9, 31, v8
	v_lshlrev_b64 v[8:9], 2, v[8:9]
	v_mov_b32_e32 v10, s21
	v_add_co_u32_e32 v8, vcc, s9, v8
	v_addc_co_u32_e32 v9, vcc, v10, v9, vcc
	v_or_b32_e32 v10, 0x80, v13
	v_add_u32_e32 v11, s10, v10
	v_ashrrev_i32_e32 v11, 5, v11
	v_cmp_gt_i32_e32 vcc, s33, v10
	v_cndmask_b32_e32 v10, v14, v11, vcc
	v_ashrrev_i32_e32 v11, 31, v10
	v_lshlrev_b64 v[10:11], 2, v[10:11]
	v_mov_b32_e32 v15, s21
	v_add_co_u32_e32 v10, vcc, s9, v10
	s_load_dwordx2 s[44:45], s[4:5], 0x94
	s_load_dwordx4 s[40:43], s[4:5], 0x80
	s_waitcnt lgkmcnt(0)
	s_barrier
	v_addc_co_u32_e32 v11, vcc, v15, v11, vcc
	global_load_dword v15, v[6:7], off
	global_load_dword v16, v[8:9], off
	;; [unrolled: 1-line block ×3, first 2 shown]
	v_or_b32_e32 v6, 0xc0, v13
	v_add_u32_e32 v7, s10, v6
	v_ashrrev_i32_e32 v7, 5, v7
	v_cmp_gt_i32_e32 vcc, s33, v6
	v_cndmask_b32_e32 v6, v14, v7, vcc
	v_ashrrev_i32_e32 v7, 31, v6
	v_lshlrev_b64 v[6:7], 2, v[6:7]
	v_mov_b32_e32 v8, s21
	v_add_co_u32_e32 v6, vcc, s9, v6
	v_addc_co_u32_e32 v7, vcc, v8, v7, vcc
	global_load_dword v20, v[6:7], off
	v_pk_mov_b32 v[6:7], s[2:3], s[2:3] op_sel:[0,1]
	s_waitcnt vmcnt(7)
	v_mad_i64_i32 v[8:9], s[2:3], v5, s17, v[6:7]
	v_lshlrev_b32_e32 v11, 4, v49
	v_add_co_u32_e32 v5, vcc, v8, v11
	v_lshlrev_b32_e32 v10, 5, v12
	v_addc_co_u32_e32 v9, vcc, 0, v9, vcc
	v_add_co_u32_e32 v8, vcc, v5, v10
	v_addc_co_u32_e32 v9, vcc, 0, v9, vcc
	s_waitcnt vmcnt(6)
	v_mad_i64_i32 v[4:5], s[2:3], v4, s17, v[6:7]
	v_or_b32_e32 v12, 0x100, v11
	v_add_co_u32_e32 v4, vcc, v4, v12
	v_addc_co_u32_e32 v5, vcc, 0, v5, vcc
	v_add_co_u32_e32 v4, vcc, v4, v10
	v_addc_co_u32_e32 v5, vcc, 0, v5, vcc
	global_load_dwordx4 v[30:33], v[8:9], off
	global_load_dwordx4 v[38:41], v[4:5], off
	s_waitcnt vmcnt(7)
	v_mad_i64_i32 v[4:5], s[2:3], v3, s17, v[6:7]
	v_add_co_u32_e32 v3, vcc, v4, v11
	v_addc_co_u32_e32 v5, vcc, 0, v5, vcc
	v_add_co_u32_e32 v4, vcc, v3, v10
	v_addc_co_u32_e32 v5, vcc, 0, v5, vcc
	s_waitcnt vmcnt(6)
	v_mad_i64_i32 v[2:3], s[2:3], v2, s17, v[6:7]
	v_add_co_u32_e32 v2, vcc, v2, v12
	v_addc_co_u32_e32 v3, vcc, 0, v3, vcc
	v_add_co_u32_e32 v2, vcc, v2, v10
	s_add_u32 s2, s14, s8
	v_addc_co_u32_e32 v3, vcc, 0, v3, vcc
	global_load_dwordx4 v[34:37], v[4:5], off
	global_load_dwordx4 v[22:25], v[2:3], off
	s_addc_u32 s3, s15, 0
	v_and_b32_e32 v2, 16, v0
	v_mov_b32_e32 v3, s3
	v_add_co_u32_e32 v2, vcc, s2, v2
	v_lshlrev_b32_e32 v48, 5, v49
	v_addc_co_u32_e32 v3, vcc, 0, v3, vcc
	v_lshl_or_b32 v4, v50, 9, v48
	v_add_co_u32_e32 v2, vcc, v2, v4
	v_addc_co_u32_e32 v3, vcc, 0, v3, vcc
	v_cmp_gt_u32_e32 vcc, 13, v49
	v_mov_b32_e32 v44, 0
	v_mov_b32_e32 v43, 0
	s_movk_i32 s8, 0x80
	s_waitcnt vmcnt(7)
	v_mad_i64_i32 v[4:5], s[2:3], v15, s17, v[2:3]
	s_waitcnt vmcnt(6)
	v_mad_i64_i32 v[6:7], s[2:3], v16, s17, v[2:3]
	;; [unrolled: 2-line block ×3, first 2 shown]
	global_load_dwordx4 v[14:17], v[4:5], off
	global_load_dwordx4 v[10:13], v[6:7], off
	s_waitcnt vmcnt(6)
	v_mad_i64_i32 v[20:21], s[2:3], v20, s17, v[2:3]
	global_load_dwordx4 v[6:9], v[18:19], off
	global_load_dwordx4 v[2:5], v[20:21], off
	v_add_u32_e32 v18, -13, v49
	v_cndmask_b32_e32 v18, v18, v49, vcc
	v_lshlrev_b32_e32 v18, 5, v18
	v_lshl_add_u32 v18, v1, 9, v18
	ds_read_b128 v[26:29], v18
	ds_read_b128 v[18:21], v18 offset:16
	s_load_dword s12, s[40:41], 0x0
	s_waitcnt vmcnt(7)
	v_cmp_ne_u16_sdwa s[10:11], v30, v44 src0_sel:BYTE_0 src1_sel:DWORD
	s_and_saveexec_b64 s[2:3], s[10:11]
	s_cbranch_execz .LBB890_17
; %bb.12:
	v_cmp_ne_u16_sdwa s[10:11], v30, s8 src0_sel:BYTE_0 src1_sel:DWORD
	v_mov_b32_e32 v43, 0xffff8000
	s_and_saveexec_b64 s[8:9], s[10:11]
	s_cbranch_execz .LBB890_16
; %bb.13:
	s_movk_i32 s10, 0x7f
	v_and_b32_e32 v42, 0x7f, v30
	v_cmp_ne_u32_e32 vcc, s10, v42
	v_mov_b32_e32 v43, 0x7f80
	s_and_saveexec_b64 s[10:11], vcc
	s_cbranch_execz .LBB890_15
; %bb.14:
	v_and_b32_e32 v43, 7, v30
	v_ffbh_u32_e32 v51, v43
	v_min_u32_e32 v51, 32, v51
	v_subrev_u32_e32 v52, 28, v51
	v_lshlrev_b64 v[52:53], v52, v[30:31]
	v_lshrrev_b32_e32 v45, 3, v42
	v_sub_u32_e32 v51, 29, v51
	v_and_b32_e32 v52, 7, v52
	v_cmp_gt_u32_e32 vcc, 8, v42
	v_cndmask_b32_e32 v42, v45, v51, vcc
	v_cndmask_b32_e32 v43, v43, v52, vcc
	v_lshlrev_b32_e32 v45, 24, v30
	v_bfrev_b32_e32 v51, 60
	v_lshlrev_b32_e32 v43, 20, v43
	v_and_b32_e32 v45, 0x80000000, v45
	v_lshl_add_u32 v42, v42, 23, v51
	v_or3_b32 v42, v45, v42, v43
	v_lshrrev_b32_e32 v43, 16, v42
.LBB890_15:
	s_or_b64 exec, exec, s[10:11]
.LBB890_16:
	s_or_b64 exec, exec, s[8:9]
.LBB890_17:
	s_or_b64 exec, exec, s[2:3]
	v_lshrrev_b16_e32 v42, 8, v30
	v_cmp_ne_u16_e32 vcc, 0, v42
	s_and_saveexec_b64 s[2:3], vcc
	s_cbranch_execz .LBB890_23
; %bb.18:
	s_movk_i32 s8, 0x80
	v_cmp_ne_u16_e32 vcc, s8, v42
	v_mov_b32_e32 v44, 0xffff8000
	s_and_saveexec_b64 s[8:9], vcc
	s_cbranch_execz .LBB890_22
; %bb.19:
	s_movk_i32 s10, 0x7f
	v_and_b32_e32 v45, 0x7f, v42
	v_cmp_ne_u32_e32 vcc, s10, v45
	v_mov_b32_e32 v44, 0x7f80
	s_and_saveexec_b64 s[10:11], vcc
	s_cbranch_execz .LBB890_21
; %bb.20:
	v_and_b32_e32 v44, 7, v42
	v_ffbh_u32_e32 v52, v44
	v_min_u32_e32 v54, 32, v52
	v_subrev_u32_e32 v52, 28, v54
	v_lshlrev_b64 v[52:53], v52, v[42:43]
	v_lshrrev_b32_e32 v51, 3, v45
	v_sub_u32_e32 v42, 29, v54
	v_and_b32_e32 v52, 7, v52
	v_cmp_gt_u32_e32 vcc, 8, v45
	v_cndmask_b32_e32 v42, v51, v42, vcc
	v_cndmask_b32_e32 v44, v44, v52, vcc
	v_lshlrev_b32_e32 v45, 16, v30
	v_bfrev_b32_e32 v51, 60
	v_lshlrev_b32_e32 v44, 20, v44
	v_and_b32_e32 v45, 0x80000000, v45
	v_lshl_add_u32 v42, v42, 23, v51
	v_or3_b32 v42, v45, v42, v44
	v_lshrrev_b32_e32 v44, 16, v42
.LBB890_21:
	s_or_b64 exec, exec, s[10:11]
.LBB890_22:
	s_or_b64 exec, exec, s[8:9]
.LBB890_23:
	s_or_b64 exec, exec, s[2:3]
	s_movk_i32 s2, 0xff
	v_and_b32_sdwa v52, v30, s2 dst_sel:DWORD dst_unused:UNUSED_PAD src0_sel:WORD_1 src1_sel:DWORD
	v_lshrrev_b32_e32 v42, 16, v30
	v_cmp_ne_u16_e32 vcc, 0, v52
	v_mov_b32_e32 v45, 0
	v_mov_b32_e32 v51, 0
	s_and_saveexec_b64 s[2:3], vcc
	s_cbranch_execz .LBB890_29
; %bb.24:
	s_movk_i32 s8, 0x80
	v_cmp_ne_u16_e32 vcc, s8, v52
	v_mov_b32_e32 v51, 0xffff8000
	s_and_saveexec_b64 s[8:9], vcc
	s_cbranch_execz .LBB890_28
; %bb.25:
	v_bfe_u32 v52, v30, 16, 7
	s_movk_i32 s10, 0x7f
	v_cmp_ne_u32_e32 vcc, s10, v52
	v_mov_b32_e32 v51, 0x7f80
	s_and_saveexec_b64 s[10:11], vcc
	s_cbranch_execz .LBB890_27
; %bb.26:
	v_and_b32_e32 v51, 7, v42
	v_ffbh_u32_e32 v54, v51
	v_min_u32_e32 v56, 32, v54
	v_subrev_u32_e32 v54, 28, v56
	v_lshlrev_b64 v[54:55], v54, v[42:43]
	v_lshrrev_b32_e32 v53, 3, v52
	v_sub_u32_e32 v42, 29, v56
	v_and_b32_e32 v54, 7, v54
	v_cmp_gt_u32_e32 vcc, 8, v52
	v_mov_b32_e32 v52, 24
	v_cndmask_b32_e32 v42, v53, v42, vcc
	v_cndmask_b32_e32 v51, v51, v54, vcc
	v_lshlrev_b32_sdwa v52, v52, v30 dst_sel:DWORD dst_unused:UNUSED_PAD src0_sel:DWORD src1_sel:WORD_1
	v_bfrev_b32_e32 v53, 60
	v_lshlrev_b32_e32 v51, 20, v51
	v_and_b32_e32 v52, 0x80000000, v52
	v_lshl_add_u32 v42, v42, 23, v53
	v_or3_b32 v42, v52, v42, v51
	v_lshrrev_b32_e32 v51, 16, v42
.LBB890_27:
	s_or_b64 exec, exec, s[10:11]
.LBB890_28:
	s_or_b64 exec, exec, s[8:9]
.LBB890_29:
	s_or_b64 exec, exec, s[2:3]
	s_mov_b32 s2, 0xffffff
	v_cmp_lt_u32_e32 vcc, s2, v30
	s_and_saveexec_b64 s[2:3], vcc
	s_cbranch_execz .LBB890_35
; %bb.30:
	v_lshrrev_b32_e32 v42, 24, v30
	s_movk_i32 s8, 0x80
	v_cmp_ne_u32_e32 vcc, s8, v42
	v_mov_b32_e32 v45, 0xffff8000
	s_and_saveexec_b64 s[8:9], vcc
	s_cbranch_execz .LBB890_34
; %bb.31:
	v_bfe_u32 v30, v30, 24, 7
	s_movk_i32 s10, 0x7f
	v_cmp_ne_u32_e32 vcc, s10, v30
	v_mov_b32_e32 v45, 0x7f80
	s_and_saveexec_b64 s[10:11], vcc
	s_cbranch_execz .LBB890_33
; %bb.32:
	v_and_b32_e32 v45, 7, v42
	v_ffbh_u32_e32 v52, v45
	v_min_u32_e32 v55, 32, v52
	v_subrev_u32_e32 v52, 28, v55
	v_lshlrev_b64 v[52:53], v52, v[42:43]
	v_lshrrev_b32_e32 v54, 3, v30
	v_sub_u32_e32 v53, 29, v55
	v_and_b32_e32 v52, 7, v52
	v_cmp_gt_u32_e32 vcc, 8, v30
	v_cndmask_b32_e32 v30, v54, v53, vcc
	v_cndmask_b32_e32 v45, v45, v52, vcc
	v_lshlrev_b32_e32 v42, 24, v42
	v_bfrev_b32_e32 v52, 60
	v_lshlrev_b32_e32 v45, 20, v45
	v_and_b32_e32 v42, 0x80000000, v42
	v_lshl_add_u32 v30, v30, 23, v52
	v_or3_b32 v30, v42, v30, v45
	v_lshrrev_b32_e32 v45, 16, v30
.LBB890_33:
	s_or_b64 exec, exec, s[10:11]
.LBB890_34:
	s_or_b64 exec, exec, s[8:9]
.LBB890_35:
	s_or_b64 exec, exec, s[2:3]
	v_mov_b32_e32 v42, 0
	v_cmp_ne_u16_sdwa s[8:9], v31, v42 src0_sel:BYTE_0 src1_sel:DWORD
	v_mov_b32_e32 v52, 0
	s_and_saveexec_b64 s[2:3], s[8:9]
	s_cbranch_execz .LBB890_41
; %bb.36:
	s_movk_i32 s8, 0x80
	v_cmp_ne_u16_sdwa s[10:11], v31, s8 src0_sel:BYTE_0 src1_sel:DWORD
	v_mov_b32_e32 v52, 0xffff8000
	s_and_saveexec_b64 s[8:9], s[10:11]
	s_cbranch_execz .LBB890_40
; %bb.37:
	s_movk_i32 s10, 0x7f
	v_and_b32_e32 v30, 0x7f, v31
	v_cmp_ne_u32_e32 vcc, s10, v30
	v_mov_b32_e32 v52, 0x7f80
	s_and_saveexec_b64 s[10:11], vcc
	s_cbranch_execz .LBB890_39
; %bb.38:
	v_and_b32_e32 v54, 7, v31
	v_ffbh_u32_e32 v53, v54
	v_min_u32_e32 v56, 32, v53
	v_mov_b32_e32 v52, v31
	v_subrev_u32_e32 v53, 28, v56
	v_lshlrev_b64 v[52:53], v53, v[52:53]
	v_lshrrev_b32_e32 v55, 3, v30
	v_sub_u32_e32 v53, 29, v56
	v_and_b32_e32 v52, 7, v52
	v_cmp_gt_u32_e32 vcc, 8, v30
	v_cndmask_b32_e32 v30, v55, v53, vcc
	v_cndmask_b32_e32 v52, v54, v52, vcc
	v_lshlrev_b32_e32 v53, 24, v31
	v_bfrev_b32_e32 v54, 60
	v_lshlrev_b32_e32 v52, 20, v52
	v_and_b32_e32 v53, 0x80000000, v53
	v_lshl_add_u32 v30, v30, 23, v54
	v_or3_b32 v30, v53, v30, v52
	v_lshrrev_b32_e32 v52, 16, v30
.LBB890_39:
	s_or_b64 exec, exec, s[10:11]
.LBB890_40:
	s_or_b64 exec, exec, s[8:9]
.LBB890_41:
	s_or_b64 exec, exec, s[2:3]
	v_lshrrev_b16_e32 v30, 8, v31
	v_cmp_ne_u16_e32 vcc, 0, v30
	s_and_saveexec_b64 s[2:3], vcc
	s_cbranch_execz .LBB890_47
; %bb.42:
	s_movk_i32 s8, 0x80
	v_cmp_ne_u16_e32 vcc, s8, v30
	v_mov_b32_e32 v42, 0xffff8000
	s_and_saveexec_b64 s[8:9], vcc
	s_cbranch_execz .LBB890_46
; %bb.43:
	s_movk_i32 s10, 0x7f
	v_and_b32_e32 v53, 0x7f, v30
	v_cmp_ne_u32_e32 vcc, s10, v53
	v_mov_b32_e32 v42, 0x7f80
	s_and_saveexec_b64 s[10:11], vcc
	s_cbranch_execz .LBB890_45
; %bb.44:
	v_and_b32_e32 v42, 7, v30
	v_ffbh_u32_e32 v54, v42
	v_min_u32_e32 v57, 32, v54
	v_subrev_u32_e32 v54, 28, v57
	v_lshlrev_b64 v[54:55], v54, v[30:31]
	v_lshrrev_b32_e32 v56, 3, v53
	v_sub_u32_e32 v30, 29, v57
	v_and_b32_e32 v54, 7, v54
	v_cmp_gt_u32_e32 vcc, 8, v53
	v_cndmask_b32_e32 v30, v56, v30, vcc
	v_cndmask_b32_e32 v42, v42, v54, vcc
	v_lshlrev_b32_e32 v53, 16, v31
	v_bfrev_b32_e32 v54, 60
	v_lshlrev_b32_e32 v42, 20, v42
	v_and_b32_e32 v53, 0x80000000, v53
	v_lshl_add_u32 v30, v30, 23, v54
	v_or3_b32 v30, v53, v30, v42
	v_lshrrev_b32_e32 v42, 16, v30
.LBB890_45:
	s_or_b64 exec, exec, s[10:11]
.LBB890_46:
	s_or_b64 exec, exec, s[8:9]
.LBB890_47:
	s_or_b64 exec, exec, s[2:3]
	s_movk_i32 s2, 0xff
	v_and_b32_sdwa v55, v31, s2 dst_sel:DWORD dst_unused:UNUSED_PAD src0_sel:WORD_1 src1_sel:DWORD
	v_lshrrev_b32_e32 v30, 16, v31
	v_cmp_ne_u16_e32 vcc, 0, v55
	v_mov_b32_e32 v53, 0
	v_mov_b32_e32 v54, 0
	s_and_saveexec_b64 s[2:3], vcc
	s_cbranch_execz .LBB890_53
; %bb.48:
	s_movk_i32 s8, 0x80
	v_cmp_ne_u16_e32 vcc, s8, v55
	v_mov_b32_e32 v54, 0xffff8000
	s_and_saveexec_b64 s[8:9], vcc
	s_cbranch_execz .LBB890_52
; %bb.49:
	v_bfe_u32 v55, v31, 16, 7
	s_movk_i32 s10, 0x7f
	v_cmp_ne_u32_e32 vcc, s10, v55
	v_mov_b32_e32 v54, 0x7f80
	s_and_saveexec_b64 s[10:11], vcc
	s_cbranch_execz .LBB890_51
; %bb.50:
	v_and_b32_e32 v54, 7, v30
	v_ffbh_u32_e32 v56, v54
	v_min_u32_e32 v59, 32, v56
	v_subrev_u32_e32 v56, 28, v59
	v_lshlrev_b64 v[56:57], v56, v[30:31]
	v_lshrrev_b32_e32 v58, 3, v55
	v_sub_u32_e32 v30, 29, v59
	v_and_b32_e32 v56, 7, v56
	v_cmp_gt_u32_e32 vcc, 8, v55
	v_mov_b32_e32 v55, 24
	v_cndmask_b32_e32 v30, v58, v30, vcc
	v_cndmask_b32_e32 v54, v54, v56, vcc
	v_lshlrev_b32_sdwa v55, v55, v31 dst_sel:DWORD dst_unused:UNUSED_PAD src0_sel:DWORD src1_sel:WORD_1
	v_bfrev_b32_e32 v56, 60
	v_lshlrev_b32_e32 v54, 20, v54
	v_and_b32_e32 v55, 0x80000000, v55
	v_lshl_add_u32 v30, v30, 23, v56
	v_or3_b32 v30, v55, v30, v54
	v_lshrrev_b32_e32 v54, 16, v30
.LBB890_51:
	s_or_b64 exec, exec, s[10:11]
.LBB890_52:
	s_or_b64 exec, exec, s[8:9]
.LBB890_53:
	s_or_b64 exec, exec, s[2:3]
	s_mov_b32 s2, 0xffffff
	v_cmp_lt_u32_e32 vcc, s2, v31
	s_and_saveexec_b64 s[2:3], vcc
	s_cbranch_execz .LBB890_59
; %bb.54:
	v_lshrrev_b32_e32 v30, 24, v31
	s_movk_i32 s8, 0x80
	v_cmp_ne_u32_e32 vcc, s8, v30
	v_mov_b32_e32 v53, 0xffff8000
	s_and_saveexec_b64 s[8:9], vcc
	s_cbranch_execz .LBB890_58
; %bb.55:
	v_bfe_u32 v31, v31, 24, 7
	s_movk_i32 s10, 0x7f
	v_cmp_ne_u32_e32 vcc, s10, v31
	v_mov_b32_e32 v53, 0x7f80
	s_and_saveexec_b64 s[10:11], vcc
	s_cbranch_execz .LBB890_57
; %bb.56:
	v_and_b32_e32 v53, 7, v30
	v_ffbh_u32_e32 v56, v53
	v_min_u32_e32 v58, 32, v56
	v_subrev_u32_e32 v56, 28, v58
	v_lshlrev_b64 v[56:57], v56, v[30:31]
	v_lshrrev_b32_e32 v55, 3, v31
	v_sub_u32_e32 v57, 29, v58
	v_and_b32_e32 v56, 7, v56
	v_cmp_gt_u32_e32 vcc, 8, v31
	v_cndmask_b32_e32 v31, v55, v57, vcc
	v_cndmask_b32_e32 v53, v53, v56, vcc
	v_lshlrev_b32_e32 v30, 24, v30
	v_bfrev_b32_e32 v55, 60
	v_lshlrev_b32_e32 v53, 20, v53
	v_and_b32_e32 v30, 0x80000000, v30
	v_lshl_add_u32 v31, v31, 23, v55
	v_or3_b32 v30, v30, v31, v53
	v_lshrrev_b32_e32 v53, 16, v30
.LBB890_57:
	s_or_b64 exec, exec, s[10:11]
.LBB890_58:
	s_or_b64 exec, exec, s[8:9]
.LBB890_59:
	s_or_b64 exec, exec, s[2:3]
	s_mov_b32 s2, 0x5040100
	v_perm_b32 v31, v45, v51, s2
	v_perm_b32 v30, v44, v43, s2
	;; [unrolled: 1-line block ×4, first 2 shown]
	v_mov_b32_e32 v51, 0
	s_waitcnt lgkmcnt(0)
	v_mfma_f32_16x16x16bf16_1k v[56:59], v[30:31], v[26:27], 0
	v_mov_b32_e32 v31, 0
	v_cmp_ne_u16_sdwa s[8:9], v32, v31 src0_sel:BYTE_0 src1_sel:DWORD
	v_mfma_f32_16x16x16bf16_1k v[42:45], v[42:43], v[28:29], v[56:59]
	s_and_saveexec_b64 s[2:3], s[8:9]
	s_cbranch_execz .LBB890_65
; %bb.60:
	s_movk_i32 s8, 0x80
	v_cmp_ne_u16_sdwa s[10:11], v32, s8 src0_sel:BYTE_0 src1_sel:DWORD
	v_mov_b32_e32 v51, 0xffff8000
	s_and_saveexec_b64 s[8:9], s[10:11]
	s_cbranch_execz .LBB890_64
; %bb.61:
	s_movk_i32 s10, 0x7f
	v_and_b32_e32 v30, 0x7f, v32
	v_cmp_ne_u32_e32 vcc, s10, v30
	v_mov_b32_e32 v51, 0x7f80
	s_and_saveexec_b64 s[10:11], vcc
	s_cbranch_execz .LBB890_63
; %bb.62:
	v_and_b32_e32 v51, 7, v32
	v_ffbh_u32_e32 v52, v51
	v_min_u32_e32 v55, 32, v52
	v_subrev_u32_e32 v52, 28, v55
	v_lshlrev_b64 v[52:53], v52, v[32:33]
	v_lshrrev_b32_e32 v54, 3, v30
	v_sub_u32_e32 v53, 29, v55
	v_and_b32_e32 v52, 7, v52
	v_cmp_gt_u32_e32 vcc, 8, v30
	v_cndmask_b32_e32 v30, v54, v53, vcc
	v_cndmask_b32_e32 v51, v51, v52, vcc
	v_lshlrev_b32_e32 v52, 24, v32
	v_bfrev_b32_e32 v53, 60
	v_lshlrev_b32_e32 v51, 20, v51
	v_and_b32_e32 v52, 0x80000000, v52
	v_lshl_add_u32 v30, v30, 23, v53
	v_or3_b32 v30, v52, v30, v51
	v_lshrrev_b32_e32 v51, 16, v30
.LBB890_63:
	s_or_b64 exec, exec, s[10:11]
.LBB890_64:
	s_or_b64 exec, exec, s[8:9]
.LBB890_65:
	s_or_b64 exec, exec, s[2:3]
	v_lshrrev_b16_e32 v30, 8, v32
	v_cmp_ne_u16_e32 vcc, 0, v30
	s_and_saveexec_b64 s[2:3], vcc
	s_cbranch_execz .LBB890_71
; %bb.66:
	s_movk_i32 s8, 0x80
	v_cmp_ne_u16_e32 vcc, s8, v30
	v_mov_b32_e32 v31, 0xffff8000
	s_and_saveexec_b64 s[8:9], vcc
	s_cbranch_execz .LBB890_70
; %bb.67:
	s_movk_i32 s10, 0x7f
	v_and_b32_e32 v52, 0x7f, v30
	v_cmp_ne_u32_e32 vcc, s10, v52
	v_mov_b32_e32 v31, 0x7f80
	s_and_saveexec_b64 s[10:11], vcc
	s_cbranch_execz .LBB890_69
; %bb.68:
	v_and_b32_e32 v53, 7, v30
	v_ffbh_u32_e32 v31, v53
	v_min_u32_e32 v55, 32, v31
	v_subrev_u32_e32 v31, 28, v55
	v_lshlrev_b64 v[30:31], v31, v[30:31]
	v_lshrrev_b32_e32 v54, 3, v52
	v_sub_u32_e32 v31, 29, v55
	v_and_b32_e32 v30, 7, v30
	v_cmp_gt_u32_e32 vcc, 8, v52
	v_cndmask_b32_e32 v31, v54, v31, vcc
	v_cndmask_b32_e32 v30, v53, v30, vcc
	v_lshlrev_b32_e32 v52, 16, v32
	v_bfrev_b32_e32 v53, 60
	v_lshlrev_b32_e32 v30, 20, v30
	v_and_b32_e32 v52, 0x80000000, v52
	v_lshl_add_u32 v31, v31, 23, v53
	v_or3_b32 v30, v52, v31, v30
	v_lshrrev_b32_e32 v31, 16, v30
.LBB890_69:
	s_or_b64 exec, exec, s[10:11]
.LBB890_70:
	s_or_b64 exec, exec, s[8:9]
.LBB890_71:
	s_or_b64 exec, exec, s[2:3]
	s_movk_i32 s2, 0xff
	v_and_b32_sdwa v54, v32, s2 dst_sel:DWORD dst_unused:UNUSED_PAD src0_sel:WORD_1 src1_sel:DWORD
	v_lshrrev_b32_e32 v30, 16, v32
	v_cmp_ne_u16_e32 vcc, 0, v54
	v_mov_b32_e32 v52, 0
	v_mov_b32_e32 v53, 0
	s_and_saveexec_b64 s[2:3], vcc
	s_cbranch_execz .LBB890_77
; %bb.72:
	s_movk_i32 s8, 0x80
	v_cmp_ne_u16_e32 vcc, s8, v54
	v_mov_b32_e32 v53, 0xffff8000
	s_and_saveexec_b64 s[8:9], vcc
	s_cbranch_execz .LBB890_76
; %bb.73:
	v_bfe_u32 v54, v32, 16, 7
	s_movk_i32 s10, 0x7f
	v_cmp_ne_u32_e32 vcc, s10, v54
	v_mov_b32_e32 v53, 0x7f80
	s_and_saveexec_b64 s[10:11], vcc
	s_cbranch_execz .LBB890_75
; %bb.74:
	v_and_b32_e32 v53, 7, v30
	v_ffbh_u32_e32 v56, v53
	v_min_u32_e32 v58, 32, v56
	v_subrev_u32_e32 v56, 28, v58
	v_lshlrev_b64 v[56:57], v56, v[30:31]
	v_lshrrev_b32_e32 v55, 3, v54
	v_sub_u32_e32 v30, 29, v58
	v_and_b32_e32 v56, 7, v56
	v_cmp_gt_u32_e32 vcc, 8, v54
	v_mov_b32_e32 v54, 24
	v_cndmask_b32_e32 v30, v55, v30, vcc
	v_cndmask_b32_e32 v53, v53, v56, vcc
	v_lshlrev_b32_sdwa v54, v54, v32 dst_sel:DWORD dst_unused:UNUSED_PAD src0_sel:DWORD src1_sel:WORD_1
	v_bfrev_b32_e32 v55, 60
	v_lshlrev_b32_e32 v53, 20, v53
	v_and_b32_e32 v54, 0x80000000, v54
	v_lshl_add_u32 v30, v30, 23, v55
	v_or3_b32 v30, v54, v30, v53
	v_lshrrev_b32_e32 v53, 16, v30
.LBB890_75:
	s_or_b64 exec, exec, s[10:11]
.LBB890_76:
	s_or_b64 exec, exec, s[8:9]
.LBB890_77:
	s_or_b64 exec, exec, s[2:3]
	s_mov_b32 s2, 0xffffff
	v_cmp_lt_u32_e32 vcc, s2, v32
	s_and_saveexec_b64 s[2:3], vcc
	s_cbranch_execz .LBB890_83
; %bb.78:
	v_lshrrev_b32_e32 v30, 24, v32
	s_movk_i32 s8, 0x80
	v_cmp_ne_u32_e32 vcc, s8, v30
	v_mov_b32_e32 v52, 0xffff8000
	s_and_saveexec_b64 s[8:9], vcc
	s_cbranch_execz .LBB890_82
; %bb.79:
	v_bfe_u32 v32, v32, 24, 7
	s_movk_i32 s10, 0x7f
	v_cmp_ne_u32_e32 vcc, s10, v32
	v_mov_b32_e32 v52, 0x7f80
	s_and_saveexec_b64 s[10:11], vcc
	s_cbranch_execz .LBB890_81
; %bb.80:
	v_and_b32_e32 v52, 7, v30
	v_ffbh_u32_e32 v54, v52
	v_min_u32_e32 v57, 32, v54
	v_subrev_u32_e32 v54, 28, v57
	v_lshlrev_b64 v[54:55], v54, v[30:31]
	v_lshrrev_b32_e32 v56, 3, v32
	v_sub_u32_e32 v55, 29, v57
	v_and_b32_e32 v54, 7, v54
	v_cmp_gt_u32_e32 vcc, 8, v32
	v_cndmask_b32_e32 v32, v56, v55, vcc
	v_cndmask_b32_e32 v52, v52, v54, vcc
	v_lshlrev_b32_e32 v30, 24, v30
	v_bfrev_b32_e32 v54, 60
	v_lshlrev_b32_e32 v52, 20, v52
	v_and_b32_e32 v30, 0x80000000, v30
	v_lshl_add_u32 v32, v32, 23, v54
	v_or3_b32 v30, v30, v32, v52
	v_lshrrev_b32_e32 v52, 16, v30
.LBB890_81:
	s_or_b64 exec, exec, s[10:11]
.LBB890_82:
	s_or_b64 exec, exec, s[8:9]
.LBB890_83:
	s_or_b64 exec, exec, s[2:3]
	v_mov_b32_e32 v32, 0
	v_cmp_ne_u16_sdwa s[8:9], v33, v32 src0_sel:BYTE_0 src1_sel:DWORD
	v_mov_b32_e32 v54, 0
	s_and_saveexec_b64 s[2:3], s[8:9]
	s_cbranch_execz .LBB890_89
; %bb.84:
	s_movk_i32 s8, 0x80
	v_cmp_ne_u16_sdwa s[10:11], v33, s8 src0_sel:BYTE_0 src1_sel:DWORD
	v_mov_b32_e32 v54, 0xffff8000
	s_and_saveexec_b64 s[8:9], s[10:11]
	s_cbranch_execz .LBB890_88
; %bb.85:
	s_movk_i32 s10, 0x7f
	v_and_b32_e32 v30, 0x7f, v33
	v_cmp_ne_u32_e32 vcc, s10, v30
	v_mov_b32_e32 v54, 0x7f80
	s_and_saveexec_b64 s[10:11], vcc
	s_cbranch_execz .LBB890_87
; %bb.86:
	v_and_b32_e32 v56, 7, v33
	v_ffbh_u32_e32 v55, v56
	v_min_u32_e32 v58, 32, v55
	v_mov_b32_e32 v54, v33
	v_subrev_u32_e32 v55, 28, v58
	v_lshlrev_b64 v[54:55], v55, v[54:55]
	v_lshrrev_b32_e32 v57, 3, v30
	v_sub_u32_e32 v55, 29, v58
	v_and_b32_e32 v54, 7, v54
	v_cmp_gt_u32_e32 vcc, 8, v30
	v_cndmask_b32_e32 v30, v57, v55, vcc
	v_cndmask_b32_e32 v54, v56, v54, vcc
	v_lshlrev_b32_e32 v55, 24, v33
	v_bfrev_b32_e32 v56, 60
	v_lshlrev_b32_e32 v54, 20, v54
	v_and_b32_e32 v55, 0x80000000, v55
	v_lshl_add_u32 v30, v30, 23, v56
	v_or3_b32 v30, v55, v30, v54
	v_lshrrev_b32_e32 v54, 16, v30
.LBB890_87:
	s_or_b64 exec, exec, s[10:11]
.LBB890_88:
	s_or_b64 exec, exec, s[8:9]
.LBB890_89:
	s_or_b64 exec, exec, s[2:3]
	v_lshrrev_b16_e32 v30, 8, v33
	v_cmp_ne_u16_e32 vcc, 0, v30
	s_and_saveexec_b64 s[2:3], vcc
	s_cbranch_execz .LBB890_95
; %bb.90:
	s_movk_i32 s8, 0x80
	v_cmp_ne_u16_e32 vcc, s8, v30
	v_mov_b32_e32 v32, 0xffff8000
	s_and_saveexec_b64 s[8:9], vcc
	s_cbranch_execz .LBB890_94
; %bb.91:
	s_movk_i32 s10, 0x7f
	v_and_b32_e32 v55, 0x7f, v30
	v_cmp_ne_u32_e32 vcc, s10, v55
	v_mov_b32_e32 v32, 0x7f80
	s_and_saveexec_b64 s[10:11], vcc
	s_cbranch_execz .LBB890_93
; %bb.92:
	v_and_b32_e32 v32, 7, v30
	v_ffbh_u32_e32 v56, v32
	v_min_u32_e32 v59, 32, v56
	v_subrev_u32_e32 v56, 28, v59
	v_lshlrev_b64 v[56:57], v56, v[30:31]
	v_lshrrev_b32_e32 v58, 3, v55
	v_sub_u32_e32 v30, 29, v59
	v_and_b32_e32 v56, 7, v56
	v_cmp_gt_u32_e32 vcc, 8, v55
	v_cndmask_b32_e32 v30, v58, v30, vcc
	v_cndmask_b32_e32 v32, v32, v56, vcc
	v_lshlrev_b32_e32 v55, 16, v33
	v_bfrev_b32_e32 v56, 60
	v_lshlrev_b32_e32 v32, 20, v32
	v_and_b32_e32 v55, 0x80000000, v55
	v_lshl_add_u32 v30, v30, 23, v56
	v_or3_b32 v30, v55, v30, v32
	v_lshrrev_b32_e32 v32, 16, v30
.LBB890_93:
	s_or_b64 exec, exec, s[10:11]
.LBB890_94:
	s_or_b64 exec, exec, s[8:9]
.LBB890_95:
	s_or_b64 exec, exec, s[2:3]
	s_movk_i32 s2, 0xff
	v_and_b32_sdwa v57, v33, s2 dst_sel:DWORD dst_unused:UNUSED_PAD src0_sel:WORD_1 src1_sel:DWORD
	v_lshrrev_b32_e32 v30, 16, v33
	v_cmp_ne_u16_e32 vcc, 0, v57
	v_mov_b32_e32 v55, 0
	v_mov_b32_e32 v56, 0
	s_and_saveexec_b64 s[2:3], vcc
	s_cbranch_execz .LBB890_101
; %bb.96:
	s_movk_i32 s8, 0x80
	v_cmp_ne_u16_e32 vcc, s8, v57
	v_mov_b32_e32 v56, 0xffff8000
	s_and_saveexec_b64 s[8:9], vcc
	s_cbranch_execz .LBB890_100
; %bb.97:
	v_bfe_u32 v57, v33, 16, 7
	s_movk_i32 s10, 0x7f
	v_cmp_ne_u32_e32 vcc, s10, v57
	v_mov_b32_e32 v56, 0x7f80
	s_and_saveexec_b64 s[10:11], vcc
	s_cbranch_execz .LBB890_99
; %bb.98:
	v_and_b32_e32 v56, 7, v30
	v_ffbh_u32_e32 v58, v56
	v_min_u32_e32 v61, 32, v58
	v_subrev_u32_e32 v58, 28, v61
	v_lshlrev_b64 v[58:59], v58, v[30:31]
	v_lshrrev_b32_e32 v60, 3, v57
	v_sub_u32_e32 v30, 29, v61
	v_and_b32_e32 v58, 7, v58
	v_cmp_gt_u32_e32 vcc, 8, v57
	v_mov_b32_e32 v57, 24
	v_cndmask_b32_e32 v30, v60, v30, vcc
	v_cndmask_b32_e32 v56, v56, v58, vcc
	v_lshlrev_b32_sdwa v57, v57, v33 dst_sel:DWORD dst_unused:UNUSED_PAD src0_sel:DWORD src1_sel:WORD_1
	v_bfrev_b32_e32 v58, 60
	v_lshlrev_b32_e32 v56, 20, v56
	v_and_b32_e32 v57, 0x80000000, v57
	v_lshl_add_u32 v30, v30, 23, v58
	v_or3_b32 v30, v57, v30, v56
	v_lshrrev_b32_e32 v56, 16, v30
.LBB890_99:
	s_or_b64 exec, exec, s[10:11]
.LBB890_100:
	s_or_b64 exec, exec, s[8:9]
.LBB890_101:
	s_or_b64 exec, exec, s[2:3]
	s_mov_b32 s2, 0xffffff
	v_cmp_lt_u32_e32 vcc, s2, v33
	s_and_saveexec_b64 s[2:3], vcc
	s_cbranch_execz .LBB890_107
; %bb.102:
	v_lshrrev_b32_e32 v30, 24, v33
	s_movk_i32 s8, 0x80
	v_cmp_ne_u32_e32 vcc, s8, v30
	v_mov_b32_e32 v55, 0xffff8000
	s_and_saveexec_b64 s[8:9], vcc
	s_cbranch_execz .LBB890_106
; %bb.103:
	v_bfe_u32 v33, v33, 24, 7
	s_movk_i32 s10, 0x7f
	v_cmp_ne_u32_e32 vcc, s10, v33
	v_mov_b32_e32 v55, 0x7f80
	s_and_saveexec_b64 s[10:11], vcc
	s_cbranch_execz .LBB890_105
; %bb.104:
	v_and_b32_e32 v55, 7, v30
	v_ffbh_u32_e32 v58, v55
	v_min_u32_e32 v60, 32, v58
	v_subrev_u32_e32 v58, 28, v60
	v_lshlrev_b64 v[58:59], v58, v[30:31]
	v_lshrrev_b32_e32 v57, 3, v33
	v_sub_u32_e32 v59, 29, v60
	v_and_b32_e32 v58, 7, v58
	v_cmp_gt_u32_e32 vcc, 8, v33
	v_cndmask_b32_e32 v33, v57, v59, vcc
	v_cndmask_b32_e32 v55, v55, v58, vcc
	v_lshlrev_b32_e32 v30, 24, v30
	v_bfrev_b32_e32 v57, 60
	v_lshlrev_b32_e32 v55, 20, v55
	v_and_b32_e32 v30, 0x80000000, v30
	v_lshl_add_u32 v33, v33, 23, v57
	v_or3_b32 v30, v30, v33, v55
	v_lshrrev_b32_e32 v55, 16, v30
.LBB890_105:
	s_or_b64 exec, exec, s[10:11]
.LBB890_106:
	s_or_b64 exec, exec, s[8:9]
.LBB890_107:
	s_or_b64 exec, exec, s[2:3]
	s_mov_b32 s2, 0x5040100
	v_perm_b32 v53, v52, v53, s2
	v_perm_b32 v52, v31, v51, s2
	;; [unrolled: 1-line block ×4, first 2 shown]
	v_mfma_f32_16x16x16bf16_1k v[58:61], v[52:53], v[18:19], v[42:45]
	s_nop 6
	v_mov_b32_e32 v43, 0
	s_waitcnt vmcnt(6)
	v_cmp_ne_u16_sdwa s[8:9], v38, v43 src0_sel:BYTE_0 src1_sel:DWORD
	v_mfma_f32_16x16x16bf16_1k v[30:33], v[30:31], v[20:21], v[58:61]
	v_mov_b32_e32 v44, 0
	s_and_saveexec_b64 s[2:3], s[8:9]
	s_cbranch_execz .LBB890_113
; %bb.108:
	s_movk_i32 s8, 0x80
	v_cmp_ne_u16_sdwa s[10:11], v38, s8 src0_sel:BYTE_0 src1_sel:DWORD
	v_mov_b32_e32 v44, 0xffff8000
	s_and_saveexec_b64 s[8:9], s[10:11]
	s_cbranch_execz .LBB890_112
; %bb.109:
	s_movk_i32 s10, 0x7f
	v_and_b32_e32 v42, 0x7f, v38
	v_cmp_ne_u32_e32 vcc, s10, v42
	v_mov_b32_e32 v44, 0x7f80
	s_and_saveexec_b64 s[10:11], vcc
	s_cbranch_execz .LBB890_111
; %bb.110:
	v_and_b32_e32 v51, 7, v38
	v_ffbh_u32_e32 v44, v51
	v_min_u32_e32 v53, 32, v44
	v_subrev_u32_e32 v44, 28, v53
	v_lshlrev_b64 v[44:45], v44, v[38:39]
	v_lshrrev_b32_e32 v52, 3, v42
	v_sub_u32_e32 v45, 29, v53
	v_and_b32_e32 v44, 7, v44
	v_cmp_gt_u32_e32 vcc, 8, v42
	v_cndmask_b32_e32 v42, v52, v45, vcc
	v_cndmask_b32_e32 v44, v51, v44, vcc
	v_lshlrev_b32_e32 v45, 24, v38
	v_bfrev_b32_e32 v51, 60
	v_lshlrev_b32_e32 v44, 20, v44
	v_and_b32_e32 v45, 0x80000000, v45
	v_lshl_add_u32 v42, v42, 23, v51
	v_or3_b32 v42, v45, v42, v44
	v_lshrrev_b32_e32 v44, 16, v42
.LBB890_111:
	s_or_b64 exec, exec, s[10:11]
.LBB890_112:
	s_or_b64 exec, exec, s[8:9]
.LBB890_113:
	s_or_b64 exec, exec, s[2:3]
	v_lshrrev_b16_e32 v42, 8, v38
	v_cmp_ne_u16_e32 vcc, 0, v42
	s_and_saveexec_b64 s[2:3], vcc
	s_cbranch_execz .LBB890_119
; %bb.114:
	s_movk_i32 s8, 0x80
	v_cmp_ne_u16_e32 vcc, s8, v42
	v_mov_b32_e32 v43, 0xffff8000
	s_and_saveexec_b64 s[8:9], vcc
	s_cbranch_execz .LBB890_118
; %bb.115:
	s_movk_i32 s10, 0x7f
	v_and_b32_e32 v45, 0x7f, v42
	v_cmp_ne_u32_e32 vcc, s10, v45
	v_mov_b32_e32 v43, 0x7f80
	s_and_saveexec_b64 s[10:11], vcc
	s_cbranch_execz .LBB890_117
; %bb.116:
	v_and_b32_e32 v51, 7, v42
	v_ffbh_u32_e32 v43, v51
	v_min_u32_e32 v53, 32, v43
	v_subrev_u32_e32 v43, 28, v53
	v_lshlrev_b64 v[42:43], v43, v[42:43]
	v_lshrrev_b32_e32 v52, 3, v45
	v_sub_u32_e32 v43, 29, v53
	v_and_b32_e32 v42, 7, v42
	v_cmp_gt_u32_e32 vcc, 8, v45
	v_cndmask_b32_e32 v43, v52, v43, vcc
	v_cndmask_b32_e32 v42, v51, v42, vcc
	v_lshlrev_b32_e32 v45, 16, v38
	v_bfrev_b32_e32 v51, 60
	v_lshlrev_b32_e32 v42, 20, v42
	v_and_b32_e32 v45, 0x80000000, v45
	v_lshl_add_u32 v43, v43, 23, v51
	v_or3_b32 v42, v45, v43, v42
	v_lshrrev_b32_e32 v43, 16, v42
.LBB890_117:
	s_or_b64 exec, exec, s[10:11]
.LBB890_118:
	s_or_b64 exec, exec, s[8:9]
.LBB890_119:
	s_or_b64 exec, exec, s[2:3]
	s_movk_i32 s2, 0xff
	v_and_b32_sdwa v52, v38, s2 dst_sel:DWORD dst_unused:UNUSED_PAD src0_sel:WORD_1 src1_sel:DWORD
	v_lshrrev_b32_e32 v42, 16, v38
	v_cmp_ne_u16_e32 vcc, 0, v52
	v_mov_b32_e32 v45, 0
	v_mov_b32_e32 v51, 0
	s_and_saveexec_b64 s[2:3], vcc
	s_cbranch_execz .LBB890_125
; %bb.120:
	s_movk_i32 s8, 0x80
	v_cmp_ne_u16_e32 vcc, s8, v52
	v_mov_b32_e32 v51, 0xffff8000
	s_and_saveexec_b64 s[8:9], vcc
	s_cbranch_execz .LBB890_124
; %bb.121:
	v_bfe_u32 v52, v38, 16, 7
	s_movk_i32 s10, 0x7f
	v_cmp_ne_u32_e32 vcc, s10, v52
	v_mov_b32_e32 v51, 0x7f80
	s_and_saveexec_b64 s[10:11], vcc
	s_cbranch_execz .LBB890_123
; %bb.122:
	v_and_b32_e32 v51, 7, v42
	v_ffbh_u32_e32 v54, v51
	v_min_u32_e32 v56, 32, v54
	v_subrev_u32_e32 v54, 28, v56
	v_lshlrev_b64 v[54:55], v54, v[42:43]
	v_lshrrev_b32_e32 v53, 3, v52
	v_sub_u32_e32 v42, 29, v56
	v_and_b32_e32 v54, 7, v54
	v_cmp_gt_u32_e32 vcc, 8, v52
	v_mov_b32_e32 v52, 24
	v_cndmask_b32_e32 v42, v53, v42, vcc
	v_cndmask_b32_e32 v51, v51, v54, vcc
	v_lshlrev_b32_sdwa v52, v52, v38 dst_sel:DWORD dst_unused:UNUSED_PAD src0_sel:DWORD src1_sel:WORD_1
	v_bfrev_b32_e32 v53, 60
	v_lshlrev_b32_e32 v51, 20, v51
	v_and_b32_e32 v52, 0x80000000, v52
	v_lshl_add_u32 v42, v42, 23, v53
	v_or3_b32 v42, v52, v42, v51
	v_lshrrev_b32_e32 v51, 16, v42
.LBB890_123:
	s_or_b64 exec, exec, s[10:11]
.LBB890_124:
	s_or_b64 exec, exec, s[8:9]
.LBB890_125:
	s_or_b64 exec, exec, s[2:3]
	s_mov_b32 s2, 0xffffff
	v_cmp_lt_u32_e32 vcc, s2, v38
	s_and_saveexec_b64 s[2:3], vcc
	s_cbranch_execz .LBB890_131
; %bb.126:
	v_lshrrev_b32_e32 v42, 24, v38
	s_movk_i32 s8, 0x80
	v_cmp_ne_u32_e32 vcc, s8, v42
	v_mov_b32_e32 v45, 0xffff8000
	s_and_saveexec_b64 s[8:9], vcc
	s_cbranch_execz .LBB890_130
; %bb.127:
	v_bfe_u32 v38, v38, 24, 7
	s_movk_i32 s10, 0x7f
	v_cmp_ne_u32_e32 vcc, s10, v38
	v_mov_b32_e32 v45, 0x7f80
	s_and_saveexec_b64 s[10:11], vcc
	s_cbranch_execz .LBB890_129
; %bb.128:
	v_and_b32_e32 v45, 7, v42
	v_ffbh_u32_e32 v52, v45
	v_min_u32_e32 v55, 32, v52
	v_subrev_u32_e32 v52, 28, v55
	v_lshlrev_b64 v[52:53], v52, v[42:43]
	v_lshrrev_b32_e32 v54, 3, v38
	v_sub_u32_e32 v53, 29, v55
	v_and_b32_e32 v52, 7, v52
	v_cmp_gt_u32_e32 vcc, 8, v38
	v_cndmask_b32_e32 v38, v54, v53, vcc
	v_cndmask_b32_e32 v45, v45, v52, vcc
	v_lshlrev_b32_e32 v42, 24, v42
	v_bfrev_b32_e32 v52, 60
	v_lshlrev_b32_e32 v45, 20, v45
	v_and_b32_e32 v42, 0x80000000, v42
	v_lshl_add_u32 v38, v38, 23, v52
	v_or3_b32 v38, v42, v38, v45
	v_lshrrev_b32_e32 v45, 16, v38
.LBB890_129:
	s_or_b64 exec, exec, s[10:11]
.LBB890_130:
	s_or_b64 exec, exec, s[8:9]
.LBB890_131:
	s_or_b64 exec, exec, s[2:3]
	v_mov_b32_e32 v42, 0
	v_cmp_ne_u16_sdwa s[8:9], v39, v42 src0_sel:BYTE_0 src1_sel:DWORD
	v_mov_b32_e32 v52, 0
	s_and_saveexec_b64 s[2:3], s[8:9]
	s_cbranch_execz .LBB890_137
; %bb.132:
	s_movk_i32 s8, 0x80
	v_cmp_ne_u16_sdwa s[10:11], v39, s8 src0_sel:BYTE_0 src1_sel:DWORD
	v_mov_b32_e32 v52, 0xffff8000
	s_and_saveexec_b64 s[8:9], s[10:11]
	s_cbranch_execz .LBB890_136
; %bb.133:
	s_movk_i32 s10, 0x7f
	v_and_b32_e32 v38, 0x7f, v39
	v_cmp_ne_u32_e32 vcc, s10, v38
	v_mov_b32_e32 v52, 0x7f80
	s_and_saveexec_b64 s[10:11], vcc
	s_cbranch_execz .LBB890_135
; %bb.134:
	v_and_b32_e32 v54, 7, v39
	v_ffbh_u32_e32 v53, v54
	v_min_u32_e32 v56, 32, v53
	v_mov_b32_e32 v52, v39
	v_subrev_u32_e32 v53, 28, v56
	v_lshlrev_b64 v[52:53], v53, v[52:53]
	v_lshrrev_b32_e32 v55, 3, v38
	v_sub_u32_e32 v53, 29, v56
	v_and_b32_e32 v52, 7, v52
	v_cmp_gt_u32_e32 vcc, 8, v38
	v_cndmask_b32_e32 v38, v55, v53, vcc
	v_cndmask_b32_e32 v52, v54, v52, vcc
	v_lshlrev_b32_e32 v53, 24, v39
	v_bfrev_b32_e32 v54, 60
	v_lshlrev_b32_e32 v52, 20, v52
	v_and_b32_e32 v53, 0x80000000, v53
	v_lshl_add_u32 v38, v38, 23, v54
	v_or3_b32 v38, v53, v38, v52
	v_lshrrev_b32_e32 v52, 16, v38
.LBB890_135:
	s_or_b64 exec, exec, s[10:11]
.LBB890_136:
	s_or_b64 exec, exec, s[8:9]
.LBB890_137:
	s_or_b64 exec, exec, s[2:3]
	v_lshrrev_b16_e32 v38, 8, v39
	v_cmp_ne_u16_e32 vcc, 0, v38
	s_and_saveexec_b64 s[2:3], vcc
	s_cbranch_execz .LBB890_143
; %bb.138:
	s_movk_i32 s8, 0x80
	v_cmp_ne_u16_e32 vcc, s8, v38
	v_mov_b32_e32 v42, 0xffff8000
	s_and_saveexec_b64 s[8:9], vcc
	s_cbranch_execz .LBB890_142
; %bb.139:
	s_movk_i32 s10, 0x7f
	v_and_b32_e32 v53, 0x7f, v38
	v_cmp_ne_u32_e32 vcc, s10, v53
	v_mov_b32_e32 v42, 0x7f80
	s_and_saveexec_b64 s[10:11], vcc
	s_cbranch_execz .LBB890_141
; %bb.140:
	v_and_b32_e32 v42, 7, v38
	v_ffbh_u32_e32 v54, v42
	v_min_u32_e32 v57, 32, v54
	v_subrev_u32_e32 v54, 28, v57
	v_lshlrev_b64 v[54:55], v54, v[38:39]
	v_lshrrev_b32_e32 v56, 3, v53
	v_sub_u32_e32 v38, 29, v57
	v_and_b32_e32 v54, 7, v54
	v_cmp_gt_u32_e32 vcc, 8, v53
	v_cndmask_b32_e32 v38, v56, v38, vcc
	v_cndmask_b32_e32 v42, v42, v54, vcc
	v_lshlrev_b32_e32 v53, 16, v39
	v_bfrev_b32_e32 v54, 60
	v_lshlrev_b32_e32 v42, 20, v42
	v_and_b32_e32 v53, 0x80000000, v53
	v_lshl_add_u32 v38, v38, 23, v54
	v_or3_b32 v38, v53, v38, v42
	v_lshrrev_b32_e32 v42, 16, v38
.LBB890_141:
	s_or_b64 exec, exec, s[10:11]
.LBB890_142:
	s_or_b64 exec, exec, s[8:9]
.LBB890_143:
	s_or_b64 exec, exec, s[2:3]
	s_movk_i32 s2, 0xff
	v_and_b32_sdwa v55, v39, s2 dst_sel:DWORD dst_unused:UNUSED_PAD src0_sel:WORD_1 src1_sel:DWORD
	v_lshrrev_b32_e32 v38, 16, v39
	v_cmp_ne_u16_e32 vcc, 0, v55
	v_mov_b32_e32 v53, 0
	v_mov_b32_e32 v54, 0
	s_and_saveexec_b64 s[2:3], vcc
	s_cbranch_execz .LBB890_149
; %bb.144:
	s_movk_i32 s8, 0x80
	v_cmp_ne_u16_e32 vcc, s8, v55
	v_mov_b32_e32 v54, 0xffff8000
	s_and_saveexec_b64 s[8:9], vcc
	s_cbranch_execz .LBB890_148
; %bb.145:
	v_bfe_u32 v55, v39, 16, 7
	s_movk_i32 s10, 0x7f
	v_cmp_ne_u32_e32 vcc, s10, v55
	v_mov_b32_e32 v54, 0x7f80
	s_and_saveexec_b64 s[10:11], vcc
	s_cbranch_execz .LBB890_147
; %bb.146:
	v_and_b32_e32 v54, 7, v38
	v_ffbh_u32_e32 v56, v54
	v_min_u32_e32 v59, 32, v56
	v_subrev_u32_e32 v56, 28, v59
	v_lshlrev_b64 v[56:57], v56, v[38:39]
	v_lshrrev_b32_e32 v58, 3, v55
	v_sub_u32_e32 v38, 29, v59
	v_and_b32_e32 v56, 7, v56
	v_cmp_gt_u32_e32 vcc, 8, v55
	v_mov_b32_e32 v55, 24
	v_cndmask_b32_e32 v38, v58, v38, vcc
	v_cndmask_b32_e32 v54, v54, v56, vcc
	v_lshlrev_b32_sdwa v55, v55, v39 dst_sel:DWORD dst_unused:UNUSED_PAD src0_sel:DWORD src1_sel:WORD_1
	v_bfrev_b32_e32 v56, 60
	v_lshlrev_b32_e32 v54, 20, v54
	v_and_b32_e32 v55, 0x80000000, v55
	v_lshl_add_u32 v38, v38, 23, v56
	v_or3_b32 v38, v55, v38, v54
	v_lshrrev_b32_e32 v54, 16, v38
.LBB890_147:
	s_or_b64 exec, exec, s[10:11]
.LBB890_148:
	s_or_b64 exec, exec, s[8:9]
.LBB890_149:
	s_or_b64 exec, exec, s[2:3]
	s_mov_b32 s2, 0xffffff
	v_cmp_lt_u32_e32 vcc, s2, v39
	s_and_saveexec_b64 s[2:3], vcc
	s_cbranch_execz .LBB890_155
; %bb.150:
	v_lshrrev_b32_e32 v38, 24, v39
	s_movk_i32 s8, 0x80
	v_cmp_ne_u32_e32 vcc, s8, v38
	v_mov_b32_e32 v53, 0xffff8000
	s_and_saveexec_b64 s[8:9], vcc
	s_cbranch_execz .LBB890_154
; %bb.151:
	v_bfe_u32 v39, v39, 24, 7
	s_movk_i32 s10, 0x7f
	v_cmp_ne_u32_e32 vcc, s10, v39
	v_mov_b32_e32 v53, 0x7f80
	s_and_saveexec_b64 s[10:11], vcc
	s_cbranch_execz .LBB890_153
; %bb.152:
	v_and_b32_e32 v53, 7, v38
	v_ffbh_u32_e32 v56, v53
	v_min_u32_e32 v58, 32, v56
	v_subrev_u32_e32 v56, 28, v58
	v_lshlrev_b64 v[56:57], v56, v[38:39]
	v_lshrrev_b32_e32 v55, 3, v39
	v_sub_u32_e32 v57, 29, v58
	v_and_b32_e32 v56, 7, v56
	v_cmp_gt_u32_e32 vcc, 8, v39
	v_cndmask_b32_e32 v39, v55, v57, vcc
	v_cndmask_b32_e32 v53, v53, v56, vcc
	v_lshlrev_b32_e32 v38, 24, v38
	v_bfrev_b32_e32 v55, 60
	v_lshlrev_b32_e32 v53, 20, v53
	v_and_b32_e32 v38, 0x80000000, v38
	v_lshl_add_u32 v39, v39, 23, v55
	v_or3_b32 v38, v38, v39, v53
	v_lshrrev_b32_e32 v53, 16, v38
.LBB890_153:
	s_or_b64 exec, exec, s[10:11]
.LBB890_154:
	s_or_b64 exec, exec, s[8:9]
.LBB890_155:
	s_or_b64 exec, exec, s[2:3]
	s_mov_b32 s2, 0x5040100
	v_perm_b32 v39, v45, v51, s2
	v_perm_b32 v38, v43, v44, s2
	;; [unrolled: 1-line block ×4, first 2 shown]
	v_mov_b32_e32 v51, 0
	v_mfma_f32_16x16x16bf16_1k v[56:59], v[38:39], v[26:27], 0
	v_mov_b32_e32 v39, 0
	v_cmp_ne_u16_sdwa s[8:9], v40, v39 src0_sel:BYTE_0 src1_sel:DWORD
	v_mfma_f32_16x16x16bf16_1k v[42:45], v[42:43], v[28:29], v[56:59]
	s_and_saveexec_b64 s[2:3], s[8:9]
	s_cbranch_execz .LBB890_161
; %bb.156:
	s_movk_i32 s8, 0x80
	v_cmp_ne_u16_sdwa s[10:11], v40, s8 src0_sel:BYTE_0 src1_sel:DWORD
	v_mov_b32_e32 v51, 0xffff8000
	s_and_saveexec_b64 s[8:9], s[10:11]
	s_cbranch_execz .LBB890_160
; %bb.157:
	s_movk_i32 s10, 0x7f
	v_and_b32_e32 v38, 0x7f, v40
	v_cmp_ne_u32_e32 vcc, s10, v38
	v_mov_b32_e32 v51, 0x7f80
	s_and_saveexec_b64 s[10:11], vcc
	s_cbranch_execz .LBB890_159
; %bb.158:
	v_and_b32_e32 v51, 7, v40
	v_ffbh_u32_e32 v52, v51
	v_min_u32_e32 v55, 32, v52
	v_subrev_u32_e32 v52, 28, v55
	v_lshlrev_b64 v[52:53], v52, v[40:41]
	v_lshrrev_b32_e32 v54, 3, v38
	v_sub_u32_e32 v53, 29, v55
	v_and_b32_e32 v52, 7, v52
	v_cmp_gt_u32_e32 vcc, 8, v38
	v_cndmask_b32_e32 v38, v54, v53, vcc
	v_cndmask_b32_e32 v51, v51, v52, vcc
	v_lshlrev_b32_e32 v52, 24, v40
	v_bfrev_b32_e32 v53, 60
	v_lshlrev_b32_e32 v51, 20, v51
	v_and_b32_e32 v52, 0x80000000, v52
	v_lshl_add_u32 v38, v38, 23, v53
	v_or3_b32 v38, v52, v38, v51
	v_lshrrev_b32_e32 v51, 16, v38
.LBB890_159:
	s_or_b64 exec, exec, s[10:11]
.LBB890_160:
	s_or_b64 exec, exec, s[8:9]
.LBB890_161:
	s_or_b64 exec, exec, s[2:3]
	v_lshrrev_b16_e32 v38, 8, v40
	v_cmp_ne_u16_e32 vcc, 0, v38
	s_and_saveexec_b64 s[2:3], vcc
	s_cbranch_execz .LBB890_167
; %bb.162:
	s_movk_i32 s8, 0x80
	v_cmp_ne_u16_e32 vcc, s8, v38
	v_mov_b32_e32 v39, 0xffff8000
	s_and_saveexec_b64 s[8:9], vcc
	s_cbranch_execz .LBB890_166
; %bb.163:
	s_movk_i32 s10, 0x7f
	v_and_b32_e32 v52, 0x7f, v38
	v_cmp_ne_u32_e32 vcc, s10, v52
	v_mov_b32_e32 v39, 0x7f80
	s_and_saveexec_b64 s[10:11], vcc
	s_cbranch_execz .LBB890_165
; %bb.164:
	v_and_b32_e32 v53, 7, v38
	v_ffbh_u32_e32 v39, v53
	v_min_u32_e32 v55, 32, v39
	v_subrev_u32_e32 v39, 28, v55
	v_lshlrev_b64 v[38:39], v39, v[38:39]
	v_lshrrev_b32_e32 v54, 3, v52
	v_sub_u32_e32 v39, 29, v55
	v_and_b32_e32 v38, 7, v38
	v_cmp_gt_u32_e32 vcc, 8, v52
	v_cndmask_b32_e32 v39, v54, v39, vcc
	v_cndmask_b32_e32 v38, v53, v38, vcc
	v_lshlrev_b32_e32 v52, 16, v40
	v_bfrev_b32_e32 v53, 60
	v_lshlrev_b32_e32 v38, 20, v38
	v_and_b32_e32 v52, 0x80000000, v52
	v_lshl_add_u32 v39, v39, 23, v53
	v_or3_b32 v38, v52, v39, v38
	v_lshrrev_b32_e32 v39, 16, v38
.LBB890_165:
	s_or_b64 exec, exec, s[10:11]
.LBB890_166:
	s_or_b64 exec, exec, s[8:9]
.LBB890_167:
	s_or_b64 exec, exec, s[2:3]
	s_movk_i32 s2, 0xff
	v_and_b32_sdwa v54, v40, s2 dst_sel:DWORD dst_unused:UNUSED_PAD src0_sel:WORD_1 src1_sel:DWORD
	v_lshrrev_b32_e32 v38, 16, v40
	v_cmp_ne_u16_e32 vcc, 0, v54
	v_mov_b32_e32 v52, 0
	v_mov_b32_e32 v53, 0
	s_and_saveexec_b64 s[2:3], vcc
	s_cbranch_execz .LBB890_173
; %bb.168:
	s_movk_i32 s8, 0x80
	v_cmp_ne_u16_e32 vcc, s8, v54
	v_mov_b32_e32 v53, 0xffff8000
	s_and_saveexec_b64 s[8:9], vcc
	s_cbranch_execz .LBB890_172
; %bb.169:
	v_bfe_u32 v54, v40, 16, 7
	s_movk_i32 s10, 0x7f
	v_cmp_ne_u32_e32 vcc, s10, v54
	v_mov_b32_e32 v53, 0x7f80
	s_and_saveexec_b64 s[10:11], vcc
	s_cbranch_execz .LBB890_171
; %bb.170:
	v_and_b32_e32 v53, 7, v38
	v_ffbh_u32_e32 v56, v53
	v_min_u32_e32 v58, 32, v56
	v_subrev_u32_e32 v56, 28, v58
	v_lshlrev_b64 v[56:57], v56, v[38:39]
	v_lshrrev_b32_e32 v55, 3, v54
	v_sub_u32_e32 v38, 29, v58
	v_and_b32_e32 v56, 7, v56
	v_cmp_gt_u32_e32 vcc, 8, v54
	v_mov_b32_e32 v54, 24
	v_cndmask_b32_e32 v38, v55, v38, vcc
	v_cndmask_b32_e32 v53, v53, v56, vcc
	v_lshlrev_b32_sdwa v54, v54, v40 dst_sel:DWORD dst_unused:UNUSED_PAD src0_sel:DWORD src1_sel:WORD_1
	v_bfrev_b32_e32 v55, 60
	v_lshlrev_b32_e32 v53, 20, v53
	v_and_b32_e32 v54, 0x80000000, v54
	v_lshl_add_u32 v38, v38, 23, v55
	v_or3_b32 v38, v54, v38, v53
	v_lshrrev_b32_e32 v53, 16, v38
.LBB890_171:
	s_or_b64 exec, exec, s[10:11]
.LBB890_172:
	s_or_b64 exec, exec, s[8:9]
.LBB890_173:
	s_or_b64 exec, exec, s[2:3]
	s_mov_b32 s2, 0xffffff
	v_cmp_lt_u32_e32 vcc, s2, v40
	s_and_saveexec_b64 s[2:3], vcc
	s_cbranch_execz .LBB890_179
; %bb.174:
	v_lshrrev_b32_e32 v38, 24, v40
	s_movk_i32 s8, 0x80
	v_cmp_ne_u32_e32 vcc, s8, v38
	v_mov_b32_e32 v52, 0xffff8000
	s_and_saveexec_b64 s[8:9], vcc
	s_cbranch_execz .LBB890_178
; %bb.175:
	v_bfe_u32 v40, v40, 24, 7
	s_movk_i32 s10, 0x7f
	v_cmp_ne_u32_e32 vcc, s10, v40
	v_mov_b32_e32 v52, 0x7f80
	s_and_saveexec_b64 s[10:11], vcc
	s_cbranch_execz .LBB890_177
; %bb.176:
	v_and_b32_e32 v52, 7, v38
	v_ffbh_u32_e32 v54, v52
	v_min_u32_e32 v57, 32, v54
	v_subrev_u32_e32 v54, 28, v57
	v_lshlrev_b64 v[54:55], v54, v[38:39]
	v_lshrrev_b32_e32 v56, 3, v40
	v_sub_u32_e32 v55, 29, v57
	v_and_b32_e32 v54, 7, v54
	v_cmp_gt_u32_e32 vcc, 8, v40
	v_cndmask_b32_e32 v40, v56, v55, vcc
	v_cndmask_b32_e32 v52, v52, v54, vcc
	v_lshlrev_b32_e32 v38, 24, v38
	v_bfrev_b32_e32 v54, 60
	v_lshlrev_b32_e32 v52, 20, v52
	v_and_b32_e32 v38, 0x80000000, v38
	v_lshl_add_u32 v40, v40, 23, v54
	v_or3_b32 v38, v38, v40, v52
	v_lshrrev_b32_e32 v52, 16, v38
.LBB890_177:
	s_or_b64 exec, exec, s[10:11]
.LBB890_178:
	s_or_b64 exec, exec, s[8:9]
.LBB890_179:
	s_or_b64 exec, exec, s[2:3]
	v_mov_b32_e32 v40, 0
	v_cmp_ne_u16_sdwa s[8:9], v41, v40 src0_sel:BYTE_0 src1_sel:DWORD
	v_mov_b32_e32 v54, 0
	s_and_saveexec_b64 s[2:3], s[8:9]
	s_cbranch_execz .LBB890_185
; %bb.180:
	s_movk_i32 s8, 0x80
	v_cmp_ne_u16_sdwa s[10:11], v41, s8 src0_sel:BYTE_0 src1_sel:DWORD
	v_mov_b32_e32 v54, 0xffff8000
	s_and_saveexec_b64 s[8:9], s[10:11]
	s_cbranch_execz .LBB890_184
; %bb.181:
	s_movk_i32 s10, 0x7f
	v_and_b32_e32 v38, 0x7f, v41
	v_cmp_ne_u32_e32 vcc, s10, v38
	v_mov_b32_e32 v54, 0x7f80
	s_and_saveexec_b64 s[10:11], vcc
	s_cbranch_execz .LBB890_183
; %bb.182:
	v_and_b32_e32 v56, 7, v41
	v_ffbh_u32_e32 v55, v56
	v_min_u32_e32 v58, 32, v55
	v_mov_b32_e32 v54, v41
	v_subrev_u32_e32 v55, 28, v58
	v_lshlrev_b64 v[54:55], v55, v[54:55]
	v_lshrrev_b32_e32 v57, 3, v38
	v_sub_u32_e32 v55, 29, v58
	v_and_b32_e32 v54, 7, v54
	v_cmp_gt_u32_e32 vcc, 8, v38
	v_cndmask_b32_e32 v38, v57, v55, vcc
	v_cndmask_b32_e32 v54, v56, v54, vcc
	v_lshlrev_b32_e32 v55, 24, v41
	v_bfrev_b32_e32 v56, 60
	v_lshlrev_b32_e32 v54, 20, v54
	v_and_b32_e32 v55, 0x80000000, v55
	v_lshl_add_u32 v38, v38, 23, v56
	v_or3_b32 v38, v55, v38, v54
	v_lshrrev_b32_e32 v54, 16, v38
.LBB890_183:
	s_or_b64 exec, exec, s[10:11]
.LBB890_184:
	s_or_b64 exec, exec, s[8:9]
.LBB890_185:
	s_or_b64 exec, exec, s[2:3]
	v_lshrrev_b16_e32 v38, 8, v41
	v_cmp_ne_u16_e32 vcc, 0, v38
	s_and_saveexec_b64 s[2:3], vcc
	s_cbranch_execz .LBB890_191
; %bb.186:
	s_movk_i32 s8, 0x80
	v_cmp_ne_u16_e32 vcc, s8, v38
	v_mov_b32_e32 v40, 0xffff8000
	s_and_saveexec_b64 s[8:9], vcc
	s_cbranch_execz .LBB890_190
; %bb.187:
	s_movk_i32 s10, 0x7f
	v_and_b32_e32 v55, 0x7f, v38
	v_cmp_ne_u32_e32 vcc, s10, v55
	v_mov_b32_e32 v40, 0x7f80
	s_and_saveexec_b64 s[10:11], vcc
	s_cbranch_execz .LBB890_189
; %bb.188:
	v_and_b32_e32 v40, 7, v38
	v_ffbh_u32_e32 v56, v40
	v_min_u32_e32 v59, 32, v56
	v_subrev_u32_e32 v56, 28, v59
	v_lshlrev_b64 v[56:57], v56, v[38:39]
	v_lshrrev_b32_e32 v58, 3, v55
	v_sub_u32_e32 v38, 29, v59
	v_and_b32_e32 v56, 7, v56
	v_cmp_gt_u32_e32 vcc, 8, v55
	v_cndmask_b32_e32 v38, v58, v38, vcc
	v_cndmask_b32_e32 v40, v40, v56, vcc
	v_lshlrev_b32_e32 v55, 16, v41
	v_bfrev_b32_e32 v56, 60
	v_lshlrev_b32_e32 v40, 20, v40
	v_and_b32_e32 v55, 0x80000000, v55
	v_lshl_add_u32 v38, v38, 23, v56
	v_or3_b32 v38, v55, v38, v40
	v_lshrrev_b32_e32 v40, 16, v38
.LBB890_189:
	s_or_b64 exec, exec, s[10:11]
.LBB890_190:
	s_or_b64 exec, exec, s[8:9]
.LBB890_191:
	s_or_b64 exec, exec, s[2:3]
	s_movk_i32 s2, 0xff
	v_and_b32_sdwa v57, v41, s2 dst_sel:DWORD dst_unused:UNUSED_PAD src0_sel:WORD_1 src1_sel:DWORD
	v_lshrrev_b32_e32 v38, 16, v41
	v_cmp_ne_u16_e32 vcc, 0, v57
	v_mov_b32_e32 v55, 0
	v_mov_b32_e32 v56, 0
	s_and_saveexec_b64 s[2:3], vcc
	s_cbranch_execz .LBB890_197
; %bb.192:
	s_movk_i32 s8, 0x80
	v_cmp_ne_u16_e32 vcc, s8, v57
	v_mov_b32_e32 v56, 0xffff8000
	s_and_saveexec_b64 s[8:9], vcc
	s_cbranch_execz .LBB890_196
; %bb.193:
	v_bfe_u32 v57, v41, 16, 7
	s_movk_i32 s10, 0x7f
	v_cmp_ne_u32_e32 vcc, s10, v57
	v_mov_b32_e32 v56, 0x7f80
	s_and_saveexec_b64 s[10:11], vcc
	s_cbranch_execz .LBB890_195
; %bb.194:
	v_and_b32_e32 v56, 7, v38
	v_ffbh_u32_e32 v58, v56
	v_min_u32_e32 v61, 32, v58
	v_subrev_u32_e32 v58, 28, v61
	v_lshlrev_b64 v[58:59], v58, v[38:39]
	v_lshrrev_b32_e32 v60, 3, v57
	v_sub_u32_e32 v38, 29, v61
	v_and_b32_e32 v58, 7, v58
	v_cmp_gt_u32_e32 vcc, 8, v57
	v_mov_b32_e32 v57, 24
	v_cndmask_b32_e32 v38, v60, v38, vcc
	v_cndmask_b32_e32 v56, v56, v58, vcc
	v_lshlrev_b32_sdwa v57, v57, v41 dst_sel:DWORD dst_unused:UNUSED_PAD src0_sel:DWORD src1_sel:WORD_1
	v_bfrev_b32_e32 v58, 60
	v_lshlrev_b32_e32 v56, 20, v56
	v_and_b32_e32 v57, 0x80000000, v57
	v_lshl_add_u32 v38, v38, 23, v58
	v_or3_b32 v38, v57, v38, v56
	v_lshrrev_b32_e32 v56, 16, v38
.LBB890_195:
	s_or_b64 exec, exec, s[10:11]
.LBB890_196:
	s_or_b64 exec, exec, s[8:9]
.LBB890_197:
	s_or_b64 exec, exec, s[2:3]
	s_mov_b32 s2, 0xffffff
	v_cmp_lt_u32_e32 vcc, s2, v41
	s_and_saveexec_b64 s[2:3], vcc
	s_cbranch_execz .LBB890_203
; %bb.198:
	v_lshrrev_b32_e32 v38, 24, v41
	s_movk_i32 s8, 0x80
	v_cmp_ne_u32_e32 vcc, s8, v38
	v_mov_b32_e32 v55, 0xffff8000
	s_and_saveexec_b64 s[8:9], vcc
	s_cbranch_execz .LBB890_202
; %bb.199:
	v_bfe_u32 v41, v41, 24, 7
	s_movk_i32 s10, 0x7f
	v_cmp_ne_u32_e32 vcc, s10, v41
	v_mov_b32_e32 v55, 0x7f80
	s_and_saveexec_b64 s[10:11], vcc
	s_cbranch_execz .LBB890_201
; %bb.200:
	v_and_b32_e32 v55, 7, v38
	v_ffbh_u32_e32 v58, v55
	v_min_u32_e32 v60, 32, v58
	v_subrev_u32_e32 v58, 28, v60
	v_lshlrev_b64 v[58:59], v58, v[38:39]
	v_lshrrev_b32_e32 v57, 3, v41
	v_sub_u32_e32 v59, 29, v60
	v_and_b32_e32 v58, 7, v58
	v_cmp_gt_u32_e32 vcc, 8, v41
	v_cndmask_b32_e32 v41, v57, v59, vcc
	v_cndmask_b32_e32 v55, v55, v58, vcc
	v_lshlrev_b32_e32 v38, 24, v38
	v_bfrev_b32_e32 v57, 60
	v_lshlrev_b32_e32 v55, 20, v55
	v_and_b32_e32 v38, 0x80000000, v38
	v_lshl_add_u32 v41, v41, 23, v57
	v_or3_b32 v38, v38, v41, v55
	v_lshrrev_b32_e32 v55, 16, v38
.LBB890_201:
	s_or_b64 exec, exec, s[10:11]
.LBB890_202:
	s_or_b64 exec, exec, s[8:9]
.LBB890_203:
	s_or_b64 exec, exec, s[2:3]
	s_mov_b32 s2, 0x5040100
	v_perm_b32 v53, v52, v53, s2
	v_perm_b32 v52, v39, v51, s2
	;; [unrolled: 1-line block ×4, first 2 shown]
	v_mfma_f32_16x16x16bf16_1k v[58:61], v[52:53], v[18:19], v[42:45]
	s_nop 6
	v_mov_b32_e32 v43, 0
	s_waitcnt vmcnt(5)
	v_cmp_ne_u16_sdwa s[8:9], v34, v43 src0_sel:BYTE_0 src1_sel:DWORD
	v_mfma_f32_16x16x16bf16_1k v[38:41], v[38:39], v[20:21], v[58:61]
	v_mov_b32_e32 v44, 0
	s_and_saveexec_b64 s[2:3], s[8:9]
	s_cbranch_execz .LBB890_209
; %bb.204:
	s_movk_i32 s8, 0x80
	v_cmp_ne_u16_sdwa s[10:11], v34, s8 src0_sel:BYTE_0 src1_sel:DWORD
	v_mov_b32_e32 v44, 0xffff8000
	s_and_saveexec_b64 s[8:9], s[10:11]
	s_cbranch_execz .LBB890_208
; %bb.205:
	s_movk_i32 s10, 0x7f
	v_and_b32_e32 v42, 0x7f, v34
	v_cmp_ne_u32_e32 vcc, s10, v42
	v_mov_b32_e32 v44, 0x7f80
	s_and_saveexec_b64 s[10:11], vcc
	s_cbranch_execz .LBB890_207
; %bb.206:
	v_and_b32_e32 v51, 7, v34
	v_ffbh_u32_e32 v44, v51
	v_min_u32_e32 v53, 32, v44
	v_subrev_u32_e32 v44, 28, v53
	v_lshlrev_b64 v[44:45], v44, v[34:35]
	v_lshrrev_b32_e32 v52, 3, v42
	v_sub_u32_e32 v45, 29, v53
	v_and_b32_e32 v44, 7, v44
	v_cmp_gt_u32_e32 vcc, 8, v42
	v_cndmask_b32_e32 v42, v52, v45, vcc
	v_cndmask_b32_e32 v44, v51, v44, vcc
	v_lshlrev_b32_e32 v45, 24, v34
	v_bfrev_b32_e32 v51, 60
	v_lshlrev_b32_e32 v44, 20, v44
	v_and_b32_e32 v45, 0x80000000, v45
	v_lshl_add_u32 v42, v42, 23, v51
	v_or3_b32 v42, v45, v42, v44
	v_lshrrev_b32_e32 v44, 16, v42
.LBB890_207:
	s_or_b64 exec, exec, s[10:11]
.LBB890_208:
	s_or_b64 exec, exec, s[8:9]
.LBB890_209:
	s_or_b64 exec, exec, s[2:3]
	v_lshrrev_b16_e32 v42, 8, v34
	v_cmp_ne_u16_e32 vcc, 0, v42
	s_and_saveexec_b64 s[2:3], vcc
	s_cbranch_execz .LBB890_215
; %bb.210:
	s_movk_i32 s8, 0x80
	v_cmp_ne_u16_e32 vcc, s8, v42
	v_mov_b32_e32 v43, 0xffff8000
	s_and_saveexec_b64 s[8:9], vcc
	s_cbranch_execz .LBB890_214
; %bb.211:
	s_movk_i32 s10, 0x7f
	v_and_b32_e32 v45, 0x7f, v42
	v_cmp_ne_u32_e32 vcc, s10, v45
	v_mov_b32_e32 v43, 0x7f80
	s_and_saveexec_b64 s[10:11], vcc
	s_cbranch_execz .LBB890_213
; %bb.212:
	v_and_b32_e32 v51, 7, v42
	v_ffbh_u32_e32 v43, v51
	v_min_u32_e32 v53, 32, v43
	v_subrev_u32_e32 v43, 28, v53
	v_lshlrev_b64 v[42:43], v43, v[42:43]
	v_lshrrev_b32_e32 v52, 3, v45
	v_sub_u32_e32 v43, 29, v53
	v_and_b32_e32 v42, 7, v42
	v_cmp_gt_u32_e32 vcc, 8, v45
	v_cndmask_b32_e32 v43, v52, v43, vcc
	v_cndmask_b32_e32 v42, v51, v42, vcc
	v_lshlrev_b32_e32 v45, 16, v34
	v_bfrev_b32_e32 v51, 60
	v_lshlrev_b32_e32 v42, 20, v42
	v_and_b32_e32 v45, 0x80000000, v45
	v_lshl_add_u32 v43, v43, 23, v51
	v_or3_b32 v42, v45, v43, v42
	v_lshrrev_b32_e32 v43, 16, v42
.LBB890_213:
	s_or_b64 exec, exec, s[10:11]
.LBB890_214:
	s_or_b64 exec, exec, s[8:9]
.LBB890_215:
	s_or_b64 exec, exec, s[2:3]
	s_movk_i32 s2, 0xff
	v_and_b32_sdwa v52, v34, s2 dst_sel:DWORD dst_unused:UNUSED_PAD src0_sel:WORD_1 src1_sel:DWORD
	v_lshrrev_b32_e32 v42, 16, v34
	v_cmp_ne_u16_e32 vcc, 0, v52
	v_mov_b32_e32 v45, 0
	v_mov_b32_e32 v51, 0
	s_and_saveexec_b64 s[2:3], vcc
	s_cbranch_execz .LBB890_221
; %bb.216:
	s_movk_i32 s8, 0x80
	v_cmp_ne_u16_e32 vcc, s8, v52
	v_mov_b32_e32 v51, 0xffff8000
	s_and_saveexec_b64 s[8:9], vcc
	s_cbranch_execz .LBB890_220
; %bb.217:
	v_bfe_u32 v52, v34, 16, 7
	s_movk_i32 s10, 0x7f
	v_cmp_ne_u32_e32 vcc, s10, v52
	v_mov_b32_e32 v51, 0x7f80
	s_and_saveexec_b64 s[10:11], vcc
	s_cbranch_execz .LBB890_219
; %bb.218:
	v_and_b32_e32 v51, 7, v42
	v_ffbh_u32_e32 v54, v51
	v_min_u32_e32 v56, 32, v54
	v_subrev_u32_e32 v54, 28, v56
	v_lshlrev_b64 v[54:55], v54, v[42:43]
	v_lshrrev_b32_e32 v53, 3, v52
	v_sub_u32_e32 v42, 29, v56
	v_and_b32_e32 v54, 7, v54
	v_cmp_gt_u32_e32 vcc, 8, v52
	v_mov_b32_e32 v52, 24
	v_cndmask_b32_e32 v42, v53, v42, vcc
	v_cndmask_b32_e32 v51, v51, v54, vcc
	v_lshlrev_b32_sdwa v52, v52, v34 dst_sel:DWORD dst_unused:UNUSED_PAD src0_sel:DWORD src1_sel:WORD_1
	v_bfrev_b32_e32 v53, 60
	v_lshlrev_b32_e32 v51, 20, v51
	v_and_b32_e32 v52, 0x80000000, v52
	v_lshl_add_u32 v42, v42, 23, v53
	v_or3_b32 v42, v52, v42, v51
	v_lshrrev_b32_e32 v51, 16, v42
.LBB890_219:
	s_or_b64 exec, exec, s[10:11]
.LBB890_220:
	s_or_b64 exec, exec, s[8:9]
.LBB890_221:
	s_or_b64 exec, exec, s[2:3]
	s_mov_b32 s2, 0xffffff
	v_cmp_lt_u32_e32 vcc, s2, v34
	s_and_saveexec_b64 s[2:3], vcc
	s_cbranch_execz .LBB890_227
; %bb.222:
	v_lshrrev_b32_e32 v42, 24, v34
	s_movk_i32 s8, 0x80
	v_cmp_ne_u32_e32 vcc, s8, v42
	v_mov_b32_e32 v45, 0xffff8000
	s_and_saveexec_b64 s[8:9], vcc
	s_cbranch_execz .LBB890_226
; %bb.223:
	v_bfe_u32 v34, v34, 24, 7
	s_movk_i32 s10, 0x7f
	v_cmp_ne_u32_e32 vcc, s10, v34
	v_mov_b32_e32 v45, 0x7f80
	s_and_saveexec_b64 s[10:11], vcc
	s_cbranch_execz .LBB890_225
; %bb.224:
	v_and_b32_e32 v45, 7, v42
	v_ffbh_u32_e32 v52, v45
	v_min_u32_e32 v55, 32, v52
	v_subrev_u32_e32 v52, 28, v55
	v_lshlrev_b64 v[52:53], v52, v[42:43]
	v_lshrrev_b32_e32 v54, 3, v34
	v_sub_u32_e32 v53, 29, v55
	v_and_b32_e32 v52, 7, v52
	v_cmp_gt_u32_e32 vcc, 8, v34
	v_cndmask_b32_e32 v34, v54, v53, vcc
	v_cndmask_b32_e32 v45, v45, v52, vcc
	v_lshlrev_b32_e32 v42, 24, v42
	v_bfrev_b32_e32 v52, 60
	v_lshlrev_b32_e32 v45, 20, v45
	v_and_b32_e32 v42, 0x80000000, v42
	v_lshl_add_u32 v34, v34, 23, v52
	v_or3_b32 v34, v42, v34, v45
	v_lshrrev_b32_e32 v45, 16, v34
.LBB890_225:
	s_or_b64 exec, exec, s[10:11]
.LBB890_226:
	s_or_b64 exec, exec, s[8:9]
.LBB890_227:
	s_or_b64 exec, exec, s[2:3]
	v_mov_b32_e32 v42, 0
	v_cmp_ne_u16_sdwa s[8:9], v35, v42 src0_sel:BYTE_0 src1_sel:DWORD
	v_mov_b32_e32 v52, 0
	s_and_saveexec_b64 s[2:3], s[8:9]
	s_cbranch_execz .LBB890_233
; %bb.228:
	s_movk_i32 s8, 0x80
	v_cmp_ne_u16_sdwa s[10:11], v35, s8 src0_sel:BYTE_0 src1_sel:DWORD
	v_mov_b32_e32 v52, 0xffff8000
	s_and_saveexec_b64 s[8:9], s[10:11]
	s_cbranch_execz .LBB890_232
; %bb.229:
	s_movk_i32 s10, 0x7f
	v_and_b32_e32 v34, 0x7f, v35
	v_cmp_ne_u32_e32 vcc, s10, v34
	v_mov_b32_e32 v52, 0x7f80
	s_and_saveexec_b64 s[10:11], vcc
	s_cbranch_execz .LBB890_231
; %bb.230:
	v_and_b32_e32 v54, 7, v35
	v_ffbh_u32_e32 v53, v54
	v_min_u32_e32 v56, 32, v53
	v_mov_b32_e32 v52, v35
	v_subrev_u32_e32 v53, 28, v56
	v_lshlrev_b64 v[52:53], v53, v[52:53]
	v_lshrrev_b32_e32 v55, 3, v34
	v_sub_u32_e32 v53, 29, v56
	v_and_b32_e32 v52, 7, v52
	v_cmp_gt_u32_e32 vcc, 8, v34
	v_cndmask_b32_e32 v34, v55, v53, vcc
	v_cndmask_b32_e32 v52, v54, v52, vcc
	v_lshlrev_b32_e32 v53, 24, v35
	v_bfrev_b32_e32 v54, 60
	v_lshlrev_b32_e32 v52, 20, v52
	v_and_b32_e32 v53, 0x80000000, v53
	v_lshl_add_u32 v34, v34, 23, v54
	v_or3_b32 v34, v53, v34, v52
	v_lshrrev_b32_e32 v52, 16, v34
.LBB890_231:
	s_or_b64 exec, exec, s[10:11]
.LBB890_232:
	s_or_b64 exec, exec, s[8:9]
.LBB890_233:
	s_or_b64 exec, exec, s[2:3]
	v_lshrrev_b16_e32 v34, 8, v35
	v_cmp_ne_u16_e32 vcc, 0, v34
	s_and_saveexec_b64 s[2:3], vcc
	s_cbranch_execz .LBB890_239
; %bb.234:
	s_movk_i32 s8, 0x80
	v_cmp_ne_u16_e32 vcc, s8, v34
	v_mov_b32_e32 v42, 0xffff8000
	s_and_saveexec_b64 s[8:9], vcc
	s_cbranch_execz .LBB890_238
; %bb.235:
	s_movk_i32 s10, 0x7f
	v_and_b32_e32 v53, 0x7f, v34
	v_cmp_ne_u32_e32 vcc, s10, v53
	v_mov_b32_e32 v42, 0x7f80
	s_and_saveexec_b64 s[10:11], vcc
	s_cbranch_execz .LBB890_237
; %bb.236:
	v_and_b32_e32 v42, 7, v34
	v_ffbh_u32_e32 v54, v42
	v_min_u32_e32 v57, 32, v54
	v_subrev_u32_e32 v54, 28, v57
	v_lshlrev_b64 v[54:55], v54, v[34:35]
	v_lshrrev_b32_e32 v56, 3, v53
	v_sub_u32_e32 v34, 29, v57
	v_and_b32_e32 v54, 7, v54
	v_cmp_gt_u32_e32 vcc, 8, v53
	v_cndmask_b32_e32 v34, v56, v34, vcc
	v_cndmask_b32_e32 v42, v42, v54, vcc
	v_lshlrev_b32_e32 v53, 16, v35
	v_bfrev_b32_e32 v54, 60
	v_lshlrev_b32_e32 v42, 20, v42
	v_and_b32_e32 v53, 0x80000000, v53
	v_lshl_add_u32 v34, v34, 23, v54
	v_or3_b32 v34, v53, v34, v42
	v_lshrrev_b32_e32 v42, 16, v34
.LBB890_237:
	s_or_b64 exec, exec, s[10:11]
.LBB890_238:
	s_or_b64 exec, exec, s[8:9]
.LBB890_239:
	s_or_b64 exec, exec, s[2:3]
	s_movk_i32 s2, 0xff
	v_and_b32_sdwa v55, v35, s2 dst_sel:DWORD dst_unused:UNUSED_PAD src0_sel:WORD_1 src1_sel:DWORD
	v_lshrrev_b32_e32 v34, 16, v35
	v_cmp_ne_u16_e32 vcc, 0, v55
	v_mov_b32_e32 v53, 0
	v_mov_b32_e32 v54, 0
	s_and_saveexec_b64 s[2:3], vcc
	s_cbranch_execz .LBB890_245
; %bb.240:
	s_movk_i32 s8, 0x80
	v_cmp_ne_u16_e32 vcc, s8, v55
	v_mov_b32_e32 v54, 0xffff8000
	s_and_saveexec_b64 s[8:9], vcc
	s_cbranch_execz .LBB890_244
; %bb.241:
	v_bfe_u32 v55, v35, 16, 7
	s_movk_i32 s10, 0x7f
	v_cmp_ne_u32_e32 vcc, s10, v55
	v_mov_b32_e32 v54, 0x7f80
	s_and_saveexec_b64 s[10:11], vcc
	s_cbranch_execz .LBB890_243
; %bb.242:
	v_and_b32_e32 v54, 7, v34
	v_ffbh_u32_e32 v56, v54
	v_min_u32_e32 v59, 32, v56
	v_subrev_u32_e32 v56, 28, v59
	v_lshlrev_b64 v[56:57], v56, v[34:35]
	v_lshrrev_b32_e32 v58, 3, v55
	v_sub_u32_e32 v34, 29, v59
	v_and_b32_e32 v56, 7, v56
	v_cmp_gt_u32_e32 vcc, 8, v55
	v_mov_b32_e32 v55, 24
	v_cndmask_b32_e32 v34, v58, v34, vcc
	v_cndmask_b32_e32 v54, v54, v56, vcc
	v_lshlrev_b32_sdwa v55, v55, v35 dst_sel:DWORD dst_unused:UNUSED_PAD src0_sel:DWORD src1_sel:WORD_1
	v_bfrev_b32_e32 v56, 60
	v_lshlrev_b32_e32 v54, 20, v54
	v_and_b32_e32 v55, 0x80000000, v55
	v_lshl_add_u32 v34, v34, 23, v56
	v_or3_b32 v34, v55, v34, v54
	v_lshrrev_b32_e32 v54, 16, v34
.LBB890_243:
	s_or_b64 exec, exec, s[10:11]
.LBB890_244:
	s_or_b64 exec, exec, s[8:9]
.LBB890_245:
	s_or_b64 exec, exec, s[2:3]
	s_mov_b32 s2, 0xffffff
	v_cmp_lt_u32_e32 vcc, s2, v35
	s_and_saveexec_b64 s[2:3], vcc
	s_cbranch_execz .LBB890_251
; %bb.246:
	v_lshrrev_b32_e32 v34, 24, v35
	s_movk_i32 s8, 0x80
	v_cmp_ne_u32_e32 vcc, s8, v34
	v_mov_b32_e32 v53, 0xffff8000
	s_and_saveexec_b64 s[8:9], vcc
	s_cbranch_execz .LBB890_250
; %bb.247:
	v_bfe_u32 v35, v35, 24, 7
	s_movk_i32 s10, 0x7f
	v_cmp_ne_u32_e32 vcc, s10, v35
	v_mov_b32_e32 v53, 0x7f80
	s_and_saveexec_b64 s[10:11], vcc
	s_cbranch_execz .LBB890_249
; %bb.248:
	v_and_b32_e32 v53, 7, v34
	v_ffbh_u32_e32 v56, v53
	v_min_u32_e32 v58, 32, v56
	v_subrev_u32_e32 v56, 28, v58
	v_lshlrev_b64 v[56:57], v56, v[34:35]
	v_lshrrev_b32_e32 v55, 3, v35
	v_sub_u32_e32 v57, 29, v58
	v_and_b32_e32 v56, 7, v56
	v_cmp_gt_u32_e32 vcc, 8, v35
	v_cndmask_b32_e32 v35, v55, v57, vcc
	v_cndmask_b32_e32 v53, v53, v56, vcc
	v_lshlrev_b32_e32 v34, 24, v34
	v_bfrev_b32_e32 v55, 60
	v_lshlrev_b32_e32 v53, 20, v53
	v_and_b32_e32 v34, 0x80000000, v34
	v_lshl_add_u32 v35, v35, 23, v55
	v_or3_b32 v34, v34, v35, v53
	v_lshrrev_b32_e32 v53, 16, v34
.LBB890_249:
	s_or_b64 exec, exec, s[10:11]
.LBB890_250:
	s_or_b64 exec, exec, s[8:9]
.LBB890_251:
	s_or_b64 exec, exec, s[2:3]
	s_mov_b32 s2, 0x5040100
	v_perm_b32 v35, v45, v51, s2
	v_perm_b32 v34, v43, v44, s2
	;; [unrolled: 1-line block ×4, first 2 shown]
	v_mov_b32_e32 v51, 0
	v_mfma_f32_16x16x16bf16_1k v[56:59], v[34:35], v[26:27], 0
	v_mov_b32_e32 v35, 0
	v_cmp_ne_u16_sdwa s[8:9], v36, v35 src0_sel:BYTE_0 src1_sel:DWORD
	v_mfma_f32_16x16x16bf16_1k v[42:45], v[42:43], v[28:29], v[56:59]
	s_and_saveexec_b64 s[2:3], s[8:9]
	s_cbranch_execz .LBB890_257
; %bb.252:
	s_movk_i32 s8, 0x80
	v_cmp_ne_u16_sdwa s[10:11], v36, s8 src0_sel:BYTE_0 src1_sel:DWORD
	v_mov_b32_e32 v51, 0xffff8000
	s_and_saveexec_b64 s[8:9], s[10:11]
	s_cbranch_execz .LBB890_256
; %bb.253:
	s_movk_i32 s10, 0x7f
	v_and_b32_e32 v34, 0x7f, v36
	v_cmp_ne_u32_e32 vcc, s10, v34
	v_mov_b32_e32 v51, 0x7f80
	s_and_saveexec_b64 s[10:11], vcc
	s_cbranch_execz .LBB890_255
; %bb.254:
	v_and_b32_e32 v51, 7, v36
	v_ffbh_u32_e32 v52, v51
	v_min_u32_e32 v55, 32, v52
	v_subrev_u32_e32 v52, 28, v55
	v_lshlrev_b64 v[52:53], v52, v[36:37]
	v_lshrrev_b32_e32 v54, 3, v34
	v_sub_u32_e32 v53, 29, v55
	v_and_b32_e32 v52, 7, v52
	v_cmp_gt_u32_e32 vcc, 8, v34
	v_cndmask_b32_e32 v34, v54, v53, vcc
	v_cndmask_b32_e32 v51, v51, v52, vcc
	v_lshlrev_b32_e32 v52, 24, v36
	v_bfrev_b32_e32 v53, 60
	v_lshlrev_b32_e32 v51, 20, v51
	v_and_b32_e32 v52, 0x80000000, v52
	v_lshl_add_u32 v34, v34, 23, v53
	v_or3_b32 v34, v52, v34, v51
	v_lshrrev_b32_e32 v51, 16, v34
.LBB890_255:
	s_or_b64 exec, exec, s[10:11]
.LBB890_256:
	s_or_b64 exec, exec, s[8:9]
.LBB890_257:
	s_or_b64 exec, exec, s[2:3]
	v_lshrrev_b16_e32 v34, 8, v36
	v_cmp_ne_u16_e32 vcc, 0, v34
	s_and_saveexec_b64 s[2:3], vcc
	s_cbranch_execz .LBB890_263
; %bb.258:
	s_movk_i32 s8, 0x80
	v_cmp_ne_u16_e32 vcc, s8, v34
	v_mov_b32_e32 v35, 0xffff8000
	s_and_saveexec_b64 s[8:9], vcc
	s_cbranch_execz .LBB890_262
; %bb.259:
	s_movk_i32 s10, 0x7f
	v_and_b32_e32 v52, 0x7f, v34
	v_cmp_ne_u32_e32 vcc, s10, v52
	v_mov_b32_e32 v35, 0x7f80
	s_and_saveexec_b64 s[10:11], vcc
	s_cbranch_execz .LBB890_261
; %bb.260:
	v_and_b32_e32 v53, 7, v34
	v_ffbh_u32_e32 v35, v53
	v_min_u32_e32 v55, 32, v35
	v_subrev_u32_e32 v35, 28, v55
	v_lshlrev_b64 v[34:35], v35, v[34:35]
	v_lshrrev_b32_e32 v54, 3, v52
	v_sub_u32_e32 v35, 29, v55
	v_and_b32_e32 v34, 7, v34
	v_cmp_gt_u32_e32 vcc, 8, v52
	v_cndmask_b32_e32 v35, v54, v35, vcc
	v_cndmask_b32_e32 v34, v53, v34, vcc
	v_lshlrev_b32_e32 v52, 16, v36
	v_bfrev_b32_e32 v53, 60
	v_lshlrev_b32_e32 v34, 20, v34
	v_and_b32_e32 v52, 0x80000000, v52
	v_lshl_add_u32 v35, v35, 23, v53
	v_or3_b32 v34, v52, v35, v34
	v_lshrrev_b32_e32 v35, 16, v34
.LBB890_261:
	s_or_b64 exec, exec, s[10:11]
.LBB890_262:
	s_or_b64 exec, exec, s[8:9]
.LBB890_263:
	s_or_b64 exec, exec, s[2:3]
	s_movk_i32 s2, 0xff
	v_and_b32_sdwa v54, v36, s2 dst_sel:DWORD dst_unused:UNUSED_PAD src0_sel:WORD_1 src1_sel:DWORD
	v_lshrrev_b32_e32 v34, 16, v36
	v_cmp_ne_u16_e32 vcc, 0, v54
	v_mov_b32_e32 v52, 0
	v_mov_b32_e32 v53, 0
	s_and_saveexec_b64 s[2:3], vcc
	s_cbranch_execz .LBB890_269
; %bb.264:
	s_movk_i32 s8, 0x80
	v_cmp_ne_u16_e32 vcc, s8, v54
	v_mov_b32_e32 v53, 0xffff8000
	s_and_saveexec_b64 s[8:9], vcc
	s_cbranch_execz .LBB890_268
; %bb.265:
	v_bfe_u32 v54, v36, 16, 7
	s_movk_i32 s10, 0x7f
	v_cmp_ne_u32_e32 vcc, s10, v54
	v_mov_b32_e32 v53, 0x7f80
	s_and_saveexec_b64 s[10:11], vcc
	s_cbranch_execz .LBB890_267
; %bb.266:
	v_and_b32_e32 v53, 7, v34
	v_ffbh_u32_e32 v56, v53
	v_min_u32_e32 v58, 32, v56
	v_subrev_u32_e32 v56, 28, v58
	v_lshlrev_b64 v[56:57], v56, v[34:35]
	v_lshrrev_b32_e32 v55, 3, v54
	v_sub_u32_e32 v34, 29, v58
	v_and_b32_e32 v56, 7, v56
	v_cmp_gt_u32_e32 vcc, 8, v54
	v_mov_b32_e32 v54, 24
	v_cndmask_b32_e32 v34, v55, v34, vcc
	v_cndmask_b32_e32 v53, v53, v56, vcc
	v_lshlrev_b32_sdwa v54, v54, v36 dst_sel:DWORD dst_unused:UNUSED_PAD src0_sel:DWORD src1_sel:WORD_1
	v_bfrev_b32_e32 v55, 60
	v_lshlrev_b32_e32 v53, 20, v53
	v_and_b32_e32 v54, 0x80000000, v54
	v_lshl_add_u32 v34, v34, 23, v55
	v_or3_b32 v34, v54, v34, v53
	v_lshrrev_b32_e32 v53, 16, v34
.LBB890_267:
	s_or_b64 exec, exec, s[10:11]
.LBB890_268:
	s_or_b64 exec, exec, s[8:9]
.LBB890_269:
	s_or_b64 exec, exec, s[2:3]
	s_mov_b32 s2, 0xffffff
	v_cmp_lt_u32_e32 vcc, s2, v36
	s_and_saveexec_b64 s[2:3], vcc
	s_cbranch_execz .LBB890_275
; %bb.270:
	v_lshrrev_b32_e32 v34, 24, v36
	s_movk_i32 s8, 0x80
	v_cmp_ne_u32_e32 vcc, s8, v34
	v_mov_b32_e32 v52, 0xffff8000
	s_and_saveexec_b64 s[8:9], vcc
	s_cbranch_execz .LBB890_274
; %bb.271:
	v_bfe_u32 v36, v36, 24, 7
	s_movk_i32 s10, 0x7f
	v_cmp_ne_u32_e32 vcc, s10, v36
	v_mov_b32_e32 v52, 0x7f80
	s_and_saveexec_b64 s[10:11], vcc
	s_cbranch_execz .LBB890_273
; %bb.272:
	v_and_b32_e32 v52, 7, v34
	v_ffbh_u32_e32 v54, v52
	v_min_u32_e32 v57, 32, v54
	v_subrev_u32_e32 v54, 28, v57
	v_lshlrev_b64 v[54:55], v54, v[34:35]
	v_lshrrev_b32_e32 v56, 3, v36
	v_sub_u32_e32 v55, 29, v57
	v_and_b32_e32 v54, 7, v54
	v_cmp_gt_u32_e32 vcc, 8, v36
	v_cndmask_b32_e32 v36, v56, v55, vcc
	v_cndmask_b32_e32 v52, v52, v54, vcc
	v_lshlrev_b32_e32 v34, 24, v34
	v_bfrev_b32_e32 v54, 60
	v_lshlrev_b32_e32 v52, 20, v52
	v_and_b32_e32 v34, 0x80000000, v34
	v_lshl_add_u32 v36, v36, 23, v54
	v_or3_b32 v34, v34, v36, v52
	v_lshrrev_b32_e32 v52, 16, v34
.LBB890_273:
	s_or_b64 exec, exec, s[10:11]
.LBB890_274:
	s_or_b64 exec, exec, s[8:9]
.LBB890_275:
	s_or_b64 exec, exec, s[2:3]
	v_mov_b32_e32 v36, 0
	v_cmp_ne_u16_sdwa s[8:9], v37, v36 src0_sel:BYTE_0 src1_sel:DWORD
	v_mov_b32_e32 v54, 0
	s_and_saveexec_b64 s[2:3], s[8:9]
	s_cbranch_execz .LBB890_281
; %bb.276:
	s_movk_i32 s8, 0x80
	v_cmp_ne_u16_sdwa s[10:11], v37, s8 src0_sel:BYTE_0 src1_sel:DWORD
	v_mov_b32_e32 v54, 0xffff8000
	s_and_saveexec_b64 s[8:9], s[10:11]
	s_cbranch_execz .LBB890_280
; %bb.277:
	s_movk_i32 s10, 0x7f
	v_and_b32_e32 v34, 0x7f, v37
	v_cmp_ne_u32_e32 vcc, s10, v34
	v_mov_b32_e32 v54, 0x7f80
	s_and_saveexec_b64 s[10:11], vcc
	s_cbranch_execz .LBB890_279
; %bb.278:
	v_and_b32_e32 v56, 7, v37
	v_ffbh_u32_e32 v55, v56
	v_min_u32_e32 v58, 32, v55
	v_mov_b32_e32 v54, v37
	v_subrev_u32_e32 v55, 28, v58
	v_lshlrev_b64 v[54:55], v55, v[54:55]
	v_lshrrev_b32_e32 v57, 3, v34
	v_sub_u32_e32 v55, 29, v58
	v_and_b32_e32 v54, 7, v54
	v_cmp_gt_u32_e32 vcc, 8, v34
	v_cndmask_b32_e32 v34, v57, v55, vcc
	v_cndmask_b32_e32 v54, v56, v54, vcc
	v_lshlrev_b32_e32 v55, 24, v37
	v_bfrev_b32_e32 v56, 60
	v_lshlrev_b32_e32 v54, 20, v54
	v_and_b32_e32 v55, 0x80000000, v55
	v_lshl_add_u32 v34, v34, 23, v56
	v_or3_b32 v34, v55, v34, v54
	v_lshrrev_b32_e32 v54, 16, v34
.LBB890_279:
	s_or_b64 exec, exec, s[10:11]
.LBB890_280:
	s_or_b64 exec, exec, s[8:9]
.LBB890_281:
	s_or_b64 exec, exec, s[2:3]
	v_lshrrev_b16_e32 v34, 8, v37
	v_cmp_ne_u16_e32 vcc, 0, v34
	s_and_saveexec_b64 s[2:3], vcc
	s_cbranch_execz .LBB890_287
; %bb.282:
	s_movk_i32 s8, 0x80
	v_cmp_ne_u16_e32 vcc, s8, v34
	v_mov_b32_e32 v36, 0xffff8000
	s_and_saveexec_b64 s[8:9], vcc
	s_cbranch_execz .LBB890_286
; %bb.283:
	s_movk_i32 s10, 0x7f
	v_and_b32_e32 v55, 0x7f, v34
	v_cmp_ne_u32_e32 vcc, s10, v55
	v_mov_b32_e32 v36, 0x7f80
	s_and_saveexec_b64 s[10:11], vcc
	s_cbranch_execz .LBB890_285
; %bb.284:
	v_and_b32_e32 v36, 7, v34
	v_ffbh_u32_e32 v56, v36
	v_min_u32_e32 v59, 32, v56
	v_subrev_u32_e32 v56, 28, v59
	v_lshlrev_b64 v[56:57], v56, v[34:35]
	v_lshrrev_b32_e32 v58, 3, v55
	v_sub_u32_e32 v34, 29, v59
	v_and_b32_e32 v56, 7, v56
	v_cmp_gt_u32_e32 vcc, 8, v55
	v_cndmask_b32_e32 v34, v58, v34, vcc
	v_cndmask_b32_e32 v36, v36, v56, vcc
	v_lshlrev_b32_e32 v55, 16, v37
	v_bfrev_b32_e32 v56, 60
	v_lshlrev_b32_e32 v36, 20, v36
	v_and_b32_e32 v55, 0x80000000, v55
	v_lshl_add_u32 v34, v34, 23, v56
	v_or3_b32 v34, v55, v34, v36
	v_lshrrev_b32_e32 v36, 16, v34
.LBB890_285:
	s_or_b64 exec, exec, s[10:11]
.LBB890_286:
	s_or_b64 exec, exec, s[8:9]
.LBB890_287:
	s_or_b64 exec, exec, s[2:3]
	s_movk_i32 s2, 0xff
	v_and_b32_sdwa v57, v37, s2 dst_sel:DWORD dst_unused:UNUSED_PAD src0_sel:WORD_1 src1_sel:DWORD
	v_lshrrev_b32_e32 v34, 16, v37
	v_cmp_ne_u16_e32 vcc, 0, v57
	v_mov_b32_e32 v55, 0
	v_mov_b32_e32 v56, 0
	s_and_saveexec_b64 s[2:3], vcc
	s_cbranch_execz .LBB890_293
; %bb.288:
	s_movk_i32 s8, 0x80
	v_cmp_ne_u16_e32 vcc, s8, v57
	v_mov_b32_e32 v56, 0xffff8000
	s_and_saveexec_b64 s[8:9], vcc
	s_cbranch_execz .LBB890_292
; %bb.289:
	v_bfe_u32 v57, v37, 16, 7
	s_movk_i32 s10, 0x7f
	v_cmp_ne_u32_e32 vcc, s10, v57
	v_mov_b32_e32 v56, 0x7f80
	s_and_saveexec_b64 s[10:11], vcc
	s_cbranch_execz .LBB890_291
; %bb.290:
	v_and_b32_e32 v56, 7, v34
	v_ffbh_u32_e32 v58, v56
	v_min_u32_e32 v61, 32, v58
	v_subrev_u32_e32 v58, 28, v61
	v_lshlrev_b64 v[58:59], v58, v[34:35]
	v_lshrrev_b32_e32 v60, 3, v57
	v_sub_u32_e32 v34, 29, v61
	v_and_b32_e32 v58, 7, v58
	v_cmp_gt_u32_e32 vcc, 8, v57
	v_mov_b32_e32 v57, 24
	v_cndmask_b32_e32 v34, v60, v34, vcc
	v_cndmask_b32_e32 v56, v56, v58, vcc
	v_lshlrev_b32_sdwa v57, v57, v37 dst_sel:DWORD dst_unused:UNUSED_PAD src0_sel:DWORD src1_sel:WORD_1
	v_bfrev_b32_e32 v58, 60
	v_lshlrev_b32_e32 v56, 20, v56
	v_and_b32_e32 v57, 0x80000000, v57
	v_lshl_add_u32 v34, v34, 23, v58
	v_or3_b32 v34, v57, v34, v56
	v_lshrrev_b32_e32 v56, 16, v34
.LBB890_291:
	s_or_b64 exec, exec, s[10:11]
.LBB890_292:
	s_or_b64 exec, exec, s[8:9]
.LBB890_293:
	s_or_b64 exec, exec, s[2:3]
	s_mov_b32 s2, 0xffffff
	v_cmp_lt_u32_e32 vcc, s2, v37
	s_and_saveexec_b64 s[2:3], vcc
	s_cbranch_execz .LBB890_299
; %bb.294:
	v_lshrrev_b32_e32 v34, 24, v37
	s_movk_i32 s8, 0x80
	v_cmp_ne_u32_e32 vcc, s8, v34
	v_mov_b32_e32 v55, 0xffff8000
	s_and_saveexec_b64 s[8:9], vcc
	s_cbranch_execz .LBB890_298
; %bb.295:
	v_bfe_u32 v37, v37, 24, 7
	s_movk_i32 s10, 0x7f
	v_cmp_ne_u32_e32 vcc, s10, v37
	v_mov_b32_e32 v55, 0x7f80
	s_and_saveexec_b64 s[10:11], vcc
	s_cbranch_execz .LBB890_297
; %bb.296:
	v_and_b32_e32 v55, 7, v34
	v_ffbh_u32_e32 v58, v55
	v_min_u32_e32 v60, 32, v58
	v_subrev_u32_e32 v58, 28, v60
	v_lshlrev_b64 v[58:59], v58, v[34:35]
	v_lshrrev_b32_e32 v57, 3, v37
	v_sub_u32_e32 v59, 29, v60
	v_and_b32_e32 v58, 7, v58
	v_cmp_gt_u32_e32 vcc, 8, v37
	v_cndmask_b32_e32 v37, v57, v59, vcc
	v_cndmask_b32_e32 v55, v55, v58, vcc
	v_lshlrev_b32_e32 v34, 24, v34
	v_bfrev_b32_e32 v57, 60
	v_lshlrev_b32_e32 v55, 20, v55
	v_and_b32_e32 v34, 0x80000000, v34
	v_lshl_add_u32 v37, v37, 23, v57
	v_or3_b32 v34, v34, v37, v55
	v_lshrrev_b32_e32 v55, 16, v34
.LBB890_297:
	s_or_b64 exec, exec, s[10:11]
.LBB890_298:
	s_or_b64 exec, exec, s[8:9]
.LBB890_299:
	s_or_b64 exec, exec, s[2:3]
	s_mov_b32 s2, 0x5040100
	v_perm_b32 v53, v52, v53, s2
	v_perm_b32 v52, v35, v51, s2
	;; [unrolled: 1-line block ×4, first 2 shown]
	v_mfma_f32_16x16x16bf16_1k v[58:61], v[52:53], v[18:19], v[42:45]
	s_nop 6
	v_mov_b32_e32 v43, 0
	s_waitcnt vmcnt(4)
	v_cmp_ne_u16_sdwa s[8:9], v22, v43 src0_sel:BYTE_0 src1_sel:DWORD
	v_mfma_f32_16x16x16bf16_1k v[34:37], v[34:35], v[20:21], v[58:61]
	v_mov_b32_e32 v44, 0
	s_and_saveexec_b64 s[2:3], s[8:9]
	s_cbranch_execz .LBB890_305
; %bb.300:
	s_movk_i32 s8, 0x80
	v_cmp_ne_u16_sdwa s[10:11], v22, s8 src0_sel:BYTE_0 src1_sel:DWORD
	v_mov_b32_e32 v44, 0xffff8000
	s_and_saveexec_b64 s[8:9], s[10:11]
	s_cbranch_execz .LBB890_304
; %bb.301:
	s_movk_i32 s10, 0x7f
	v_and_b32_e32 v42, 0x7f, v22
	v_cmp_ne_u32_e32 vcc, s10, v42
	v_mov_b32_e32 v44, 0x7f80
	s_and_saveexec_b64 s[10:11], vcc
	s_cbranch_execz .LBB890_303
; %bb.302:
	v_and_b32_e32 v51, 7, v22
	v_ffbh_u32_e32 v44, v51
	v_min_u32_e32 v53, 32, v44
	v_subrev_u32_e32 v44, 28, v53
	v_lshlrev_b64 v[44:45], v44, v[22:23]
	v_lshrrev_b32_e32 v52, 3, v42
	v_sub_u32_e32 v45, 29, v53
	v_and_b32_e32 v44, 7, v44
	v_cmp_gt_u32_e32 vcc, 8, v42
	v_cndmask_b32_e32 v42, v52, v45, vcc
	v_cndmask_b32_e32 v44, v51, v44, vcc
	v_lshlrev_b32_e32 v45, 24, v22
	v_bfrev_b32_e32 v51, 60
	v_lshlrev_b32_e32 v44, 20, v44
	v_and_b32_e32 v45, 0x80000000, v45
	v_lshl_add_u32 v42, v42, 23, v51
	v_or3_b32 v42, v45, v42, v44
	v_lshrrev_b32_e32 v44, 16, v42
.LBB890_303:
	s_or_b64 exec, exec, s[10:11]
.LBB890_304:
	s_or_b64 exec, exec, s[8:9]
.LBB890_305:
	s_or_b64 exec, exec, s[2:3]
	v_lshrrev_b16_e32 v42, 8, v22
	v_cmp_ne_u16_e32 vcc, 0, v42
	s_and_saveexec_b64 s[2:3], vcc
	s_cbranch_execz .LBB890_311
; %bb.306:
	s_movk_i32 s8, 0x80
	v_cmp_ne_u16_e32 vcc, s8, v42
	v_mov_b32_e32 v43, 0xffff8000
	s_and_saveexec_b64 s[8:9], vcc
	s_cbranch_execz .LBB890_310
; %bb.307:
	s_movk_i32 s10, 0x7f
	v_and_b32_e32 v45, 0x7f, v42
	v_cmp_ne_u32_e32 vcc, s10, v45
	v_mov_b32_e32 v43, 0x7f80
	s_and_saveexec_b64 s[10:11], vcc
	s_cbranch_execz .LBB890_309
; %bb.308:
	v_and_b32_e32 v51, 7, v42
	v_ffbh_u32_e32 v43, v51
	v_min_u32_e32 v53, 32, v43
	v_subrev_u32_e32 v43, 28, v53
	v_lshlrev_b64 v[42:43], v43, v[42:43]
	v_lshrrev_b32_e32 v52, 3, v45
	v_sub_u32_e32 v43, 29, v53
	v_and_b32_e32 v42, 7, v42
	v_cmp_gt_u32_e32 vcc, 8, v45
	v_cndmask_b32_e32 v43, v52, v43, vcc
	v_cndmask_b32_e32 v42, v51, v42, vcc
	v_lshlrev_b32_e32 v45, 16, v22
	v_bfrev_b32_e32 v51, 60
	v_lshlrev_b32_e32 v42, 20, v42
	v_and_b32_e32 v45, 0x80000000, v45
	v_lshl_add_u32 v43, v43, 23, v51
	v_or3_b32 v42, v45, v43, v42
	v_lshrrev_b32_e32 v43, 16, v42
.LBB890_309:
	s_or_b64 exec, exec, s[10:11]
.LBB890_310:
	s_or_b64 exec, exec, s[8:9]
.LBB890_311:
	s_or_b64 exec, exec, s[2:3]
	s_movk_i32 s2, 0xff
	v_and_b32_sdwa v52, v22, s2 dst_sel:DWORD dst_unused:UNUSED_PAD src0_sel:WORD_1 src1_sel:DWORD
	v_lshrrev_b32_e32 v42, 16, v22
	v_cmp_ne_u16_e32 vcc, 0, v52
	v_mov_b32_e32 v45, 0
	v_mov_b32_e32 v51, 0
	s_and_saveexec_b64 s[2:3], vcc
	s_cbranch_execz .LBB890_317
; %bb.312:
	s_movk_i32 s8, 0x80
	v_cmp_ne_u16_e32 vcc, s8, v52
	v_mov_b32_e32 v51, 0xffff8000
	s_and_saveexec_b64 s[8:9], vcc
	s_cbranch_execz .LBB890_316
; %bb.313:
	v_bfe_u32 v52, v22, 16, 7
	s_movk_i32 s10, 0x7f
	v_cmp_ne_u32_e32 vcc, s10, v52
	v_mov_b32_e32 v51, 0x7f80
	s_and_saveexec_b64 s[10:11], vcc
	s_cbranch_execz .LBB890_315
; %bb.314:
	v_and_b32_e32 v51, 7, v42
	v_ffbh_u32_e32 v54, v51
	v_min_u32_e32 v56, 32, v54
	v_subrev_u32_e32 v54, 28, v56
	v_lshlrev_b64 v[54:55], v54, v[42:43]
	v_lshrrev_b32_e32 v53, 3, v52
	v_sub_u32_e32 v42, 29, v56
	v_and_b32_e32 v54, 7, v54
	v_cmp_gt_u32_e32 vcc, 8, v52
	v_mov_b32_e32 v52, 24
	v_cndmask_b32_e32 v42, v53, v42, vcc
	v_cndmask_b32_e32 v51, v51, v54, vcc
	v_lshlrev_b32_sdwa v52, v52, v22 dst_sel:DWORD dst_unused:UNUSED_PAD src0_sel:DWORD src1_sel:WORD_1
	v_bfrev_b32_e32 v53, 60
	v_lshlrev_b32_e32 v51, 20, v51
	v_and_b32_e32 v52, 0x80000000, v52
	v_lshl_add_u32 v42, v42, 23, v53
	v_or3_b32 v42, v52, v42, v51
	v_lshrrev_b32_e32 v51, 16, v42
.LBB890_315:
	s_or_b64 exec, exec, s[10:11]
.LBB890_316:
	s_or_b64 exec, exec, s[8:9]
.LBB890_317:
	s_or_b64 exec, exec, s[2:3]
	s_mov_b32 s2, 0xffffff
	v_cmp_lt_u32_e32 vcc, s2, v22
	s_and_saveexec_b64 s[2:3], vcc
	s_cbranch_execz .LBB890_323
; %bb.318:
	v_lshrrev_b32_e32 v42, 24, v22
	s_movk_i32 s8, 0x80
	v_cmp_ne_u32_e32 vcc, s8, v42
	v_mov_b32_e32 v45, 0xffff8000
	s_and_saveexec_b64 s[8:9], vcc
	s_cbranch_execz .LBB890_322
; %bb.319:
	v_bfe_u32 v22, v22, 24, 7
	s_movk_i32 s10, 0x7f
	v_cmp_ne_u32_e32 vcc, s10, v22
	v_mov_b32_e32 v45, 0x7f80
	s_and_saveexec_b64 s[10:11], vcc
	s_cbranch_execz .LBB890_321
; %bb.320:
	v_and_b32_e32 v45, 7, v42
	v_ffbh_u32_e32 v52, v45
	v_min_u32_e32 v55, 32, v52
	v_subrev_u32_e32 v52, 28, v55
	v_lshlrev_b64 v[52:53], v52, v[42:43]
	v_lshrrev_b32_e32 v54, 3, v22
	v_sub_u32_e32 v53, 29, v55
	v_and_b32_e32 v52, 7, v52
	v_cmp_gt_u32_e32 vcc, 8, v22
	v_cndmask_b32_e32 v22, v54, v53, vcc
	v_cndmask_b32_e32 v45, v45, v52, vcc
	v_lshlrev_b32_e32 v42, 24, v42
	v_bfrev_b32_e32 v52, 60
	v_lshlrev_b32_e32 v45, 20, v45
	v_and_b32_e32 v42, 0x80000000, v42
	v_lshl_add_u32 v22, v22, 23, v52
	v_or3_b32 v22, v42, v22, v45
	v_lshrrev_b32_e32 v45, 16, v22
.LBB890_321:
	s_or_b64 exec, exec, s[10:11]
.LBB890_322:
	s_or_b64 exec, exec, s[8:9]
.LBB890_323:
	s_or_b64 exec, exec, s[2:3]
	v_mov_b32_e32 v42, 0
	v_cmp_ne_u16_sdwa s[8:9], v23, v42 src0_sel:BYTE_0 src1_sel:DWORD
	v_mov_b32_e32 v52, 0
	s_and_saveexec_b64 s[2:3], s[8:9]
	s_cbranch_execz .LBB890_329
; %bb.324:
	s_movk_i32 s8, 0x80
	v_cmp_ne_u16_sdwa s[10:11], v23, s8 src0_sel:BYTE_0 src1_sel:DWORD
	v_mov_b32_e32 v52, 0xffff8000
	s_and_saveexec_b64 s[8:9], s[10:11]
	s_cbranch_execz .LBB890_328
; %bb.325:
	s_movk_i32 s10, 0x7f
	v_and_b32_e32 v22, 0x7f, v23
	v_cmp_ne_u32_e32 vcc, s10, v22
	v_mov_b32_e32 v52, 0x7f80
	s_and_saveexec_b64 s[10:11], vcc
	s_cbranch_execz .LBB890_327
; %bb.326:
	v_and_b32_e32 v54, 7, v23
	v_ffbh_u32_e32 v53, v54
	v_min_u32_e32 v56, 32, v53
	v_mov_b32_e32 v52, v23
	v_subrev_u32_e32 v53, 28, v56
	v_lshlrev_b64 v[52:53], v53, v[52:53]
	v_lshrrev_b32_e32 v55, 3, v22
	v_sub_u32_e32 v53, 29, v56
	v_and_b32_e32 v52, 7, v52
	v_cmp_gt_u32_e32 vcc, 8, v22
	v_cndmask_b32_e32 v22, v55, v53, vcc
	v_cndmask_b32_e32 v52, v54, v52, vcc
	v_lshlrev_b32_e32 v53, 24, v23
	v_bfrev_b32_e32 v54, 60
	v_lshlrev_b32_e32 v52, 20, v52
	v_and_b32_e32 v53, 0x80000000, v53
	v_lshl_add_u32 v22, v22, 23, v54
	v_or3_b32 v22, v53, v22, v52
	v_lshrrev_b32_e32 v52, 16, v22
.LBB890_327:
	s_or_b64 exec, exec, s[10:11]
.LBB890_328:
	s_or_b64 exec, exec, s[8:9]
.LBB890_329:
	s_or_b64 exec, exec, s[2:3]
	v_lshrrev_b16_e32 v22, 8, v23
	v_cmp_ne_u16_e32 vcc, 0, v22
	s_and_saveexec_b64 s[2:3], vcc
	s_cbranch_execz .LBB890_335
; %bb.330:
	s_movk_i32 s8, 0x80
	v_cmp_ne_u16_e32 vcc, s8, v22
	v_mov_b32_e32 v42, 0xffff8000
	s_and_saveexec_b64 s[8:9], vcc
	s_cbranch_execz .LBB890_334
; %bb.331:
	s_movk_i32 s10, 0x7f
	v_and_b32_e32 v53, 0x7f, v22
	v_cmp_ne_u32_e32 vcc, s10, v53
	v_mov_b32_e32 v42, 0x7f80
	s_and_saveexec_b64 s[10:11], vcc
	s_cbranch_execz .LBB890_333
; %bb.332:
	v_and_b32_e32 v42, 7, v22
	v_ffbh_u32_e32 v54, v42
	v_min_u32_e32 v57, 32, v54
	v_subrev_u32_e32 v54, 28, v57
	v_lshlrev_b64 v[54:55], v54, v[22:23]
	v_lshrrev_b32_e32 v56, 3, v53
	v_sub_u32_e32 v22, 29, v57
	v_and_b32_e32 v54, 7, v54
	v_cmp_gt_u32_e32 vcc, 8, v53
	v_cndmask_b32_e32 v22, v56, v22, vcc
	v_cndmask_b32_e32 v42, v42, v54, vcc
	v_lshlrev_b32_e32 v53, 16, v23
	v_bfrev_b32_e32 v54, 60
	v_lshlrev_b32_e32 v42, 20, v42
	v_and_b32_e32 v53, 0x80000000, v53
	v_lshl_add_u32 v22, v22, 23, v54
	v_or3_b32 v22, v53, v22, v42
	v_lshrrev_b32_e32 v42, 16, v22
.LBB890_333:
	s_or_b64 exec, exec, s[10:11]
.LBB890_334:
	s_or_b64 exec, exec, s[8:9]
.LBB890_335:
	s_or_b64 exec, exec, s[2:3]
	s_movk_i32 s2, 0xff
	v_and_b32_sdwa v55, v23, s2 dst_sel:DWORD dst_unused:UNUSED_PAD src0_sel:WORD_1 src1_sel:DWORD
	v_lshrrev_b32_e32 v22, 16, v23
	v_cmp_ne_u16_e32 vcc, 0, v55
	v_mov_b32_e32 v53, 0
	v_mov_b32_e32 v54, 0
	s_and_saveexec_b64 s[2:3], vcc
	s_cbranch_execz .LBB890_341
; %bb.336:
	s_movk_i32 s8, 0x80
	v_cmp_ne_u16_e32 vcc, s8, v55
	v_mov_b32_e32 v54, 0xffff8000
	s_and_saveexec_b64 s[8:9], vcc
	s_cbranch_execz .LBB890_340
; %bb.337:
	v_bfe_u32 v55, v23, 16, 7
	s_movk_i32 s10, 0x7f
	v_cmp_ne_u32_e32 vcc, s10, v55
	v_mov_b32_e32 v54, 0x7f80
	s_and_saveexec_b64 s[10:11], vcc
	s_cbranch_execz .LBB890_339
; %bb.338:
	v_and_b32_e32 v54, 7, v22
	v_ffbh_u32_e32 v56, v54
	v_min_u32_e32 v59, 32, v56
	v_subrev_u32_e32 v56, 28, v59
	v_lshlrev_b64 v[56:57], v56, v[22:23]
	v_lshrrev_b32_e32 v58, 3, v55
	v_sub_u32_e32 v22, 29, v59
	v_and_b32_e32 v56, 7, v56
	v_cmp_gt_u32_e32 vcc, 8, v55
	v_mov_b32_e32 v55, 24
	v_cndmask_b32_e32 v22, v58, v22, vcc
	v_cndmask_b32_e32 v54, v54, v56, vcc
	v_lshlrev_b32_sdwa v55, v55, v23 dst_sel:DWORD dst_unused:UNUSED_PAD src0_sel:DWORD src1_sel:WORD_1
	v_bfrev_b32_e32 v56, 60
	v_lshlrev_b32_e32 v54, 20, v54
	v_and_b32_e32 v55, 0x80000000, v55
	v_lshl_add_u32 v22, v22, 23, v56
	v_or3_b32 v22, v55, v22, v54
	v_lshrrev_b32_e32 v54, 16, v22
.LBB890_339:
	s_or_b64 exec, exec, s[10:11]
.LBB890_340:
	s_or_b64 exec, exec, s[8:9]
.LBB890_341:
	s_or_b64 exec, exec, s[2:3]
	s_mov_b32 s2, 0xffffff
	v_cmp_lt_u32_e32 vcc, s2, v23
	s_and_saveexec_b64 s[2:3], vcc
	s_cbranch_execz .LBB890_347
; %bb.342:
	v_lshrrev_b32_e32 v22, 24, v23
	s_movk_i32 s8, 0x80
	v_cmp_ne_u32_e32 vcc, s8, v22
	v_mov_b32_e32 v53, 0xffff8000
	s_and_saveexec_b64 s[8:9], vcc
	s_cbranch_execz .LBB890_346
; %bb.343:
	v_bfe_u32 v23, v23, 24, 7
	s_movk_i32 s10, 0x7f
	v_cmp_ne_u32_e32 vcc, s10, v23
	v_mov_b32_e32 v53, 0x7f80
	s_and_saveexec_b64 s[10:11], vcc
	s_cbranch_execz .LBB890_345
; %bb.344:
	v_and_b32_e32 v53, 7, v22
	v_ffbh_u32_e32 v56, v53
	v_min_u32_e32 v58, 32, v56
	v_subrev_u32_e32 v56, 28, v58
	v_lshlrev_b64 v[56:57], v56, v[22:23]
	v_lshrrev_b32_e32 v55, 3, v23
	v_sub_u32_e32 v57, 29, v58
	v_and_b32_e32 v56, 7, v56
	v_cmp_gt_u32_e32 vcc, 8, v23
	v_cndmask_b32_e32 v23, v55, v57, vcc
	v_cndmask_b32_e32 v53, v53, v56, vcc
	v_lshlrev_b32_e32 v22, 24, v22
	v_bfrev_b32_e32 v55, 60
	v_lshlrev_b32_e32 v53, 20, v53
	v_and_b32_e32 v22, 0x80000000, v22
	v_lshl_add_u32 v23, v23, 23, v55
	v_or3_b32 v22, v22, v23, v53
	v_lshrrev_b32_e32 v53, 16, v22
.LBB890_345:
	s_or_b64 exec, exec, s[10:11]
.LBB890_346:
	s_or_b64 exec, exec, s[8:9]
.LBB890_347:
	s_or_b64 exec, exec, s[2:3]
	s_mov_b32 s2, 0x5040100
	v_perm_b32 v23, v45, v51, s2
	v_perm_b32 v22, v43, v44, s2
	s_nop 1
	v_mfma_f32_16x16x16bf16_1k v[56:59], v[22:23], v[26:27], 0
	v_perm_b32 v27, v53, v54, s2
	v_perm_b32 v26, v42, v52, s2
	v_mov_b32_e32 v23, 0
	v_cmp_ne_u16_sdwa s[8:9], v24, v23 src0_sel:BYTE_0 src1_sel:DWORD
	v_mov_b32_e32 v42, 0
	v_mfma_f32_16x16x16bf16_1k v[26:29], v[26:27], v[28:29], v[56:59]
	s_and_saveexec_b64 s[2:3], s[8:9]
	s_cbranch_execz .LBB890_353
; %bb.348:
	s_movk_i32 s8, 0x80
	v_cmp_ne_u16_sdwa s[10:11], v24, s8 src0_sel:BYTE_0 src1_sel:DWORD
	v_mov_b32_e32 v42, 0xffff8000
	s_and_saveexec_b64 s[8:9], s[10:11]
	s_cbranch_execz .LBB890_352
; %bb.349:
	s_movk_i32 s10, 0x7f
	v_and_b32_e32 v22, 0x7f, v24
	v_cmp_ne_u32_e32 vcc, s10, v22
	v_mov_b32_e32 v42, 0x7f80
	s_and_saveexec_b64 s[10:11], vcc
	s_cbranch_execz .LBB890_351
; %bb.350:
	v_and_b32_e32 v44, 7, v24
	v_ffbh_u32_e32 v42, v44
	v_min_u32_e32 v51, 32, v42
	v_subrev_u32_e32 v42, 28, v51
	v_lshlrev_b64 v[42:43], v42, v[24:25]
	v_lshrrev_b32_e32 v45, 3, v22
	v_sub_u32_e32 v43, 29, v51
	v_and_b32_e32 v42, 7, v42
	v_cmp_gt_u32_e32 vcc, 8, v22
	v_cndmask_b32_e32 v22, v45, v43, vcc
	v_cndmask_b32_e32 v42, v44, v42, vcc
	v_lshlrev_b32_e32 v43, 24, v24
	v_bfrev_b32_e32 v44, 60
	v_lshlrev_b32_e32 v42, 20, v42
	v_and_b32_e32 v43, 0x80000000, v43
	v_lshl_add_u32 v22, v22, 23, v44
	v_or3_b32 v22, v43, v22, v42
	v_lshrrev_b32_e32 v42, 16, v22
.LBB890_351:
	s_or_b64 exec, exec, s[10:11]
.LBB890_352:
	s_or_b64 exec, exec, s[8:9]
.LBB890_353:
	s_or_b64 exec, exec, s[2:3]
	v_lshrrev_b16_e32 v22, 8, v24
	v_cmp_ne_u16_e32 vcc, 0, v22
	s_and_saveexec_b64 s[2:3], vcc
	s_cbranch_execz .LBB890_359
; %bb.354:
	s_movk_i32 s8, 0x80
	v_cmp_ne_u16_e32 vcc, s8, v22
	v_mov_b32_e32 v23, 0xffff8000
	s_and_saveexec_b64 s[8:9], vcc
	s_cbranch_execz .LBB890_358
; %bb.355:
	s_movk_i32 s10, 0x7f
	v_and_b32_e32 v43, 0x7f, v22
	v_cmp_ne_u32_e32 vcc, s10, v43
	v_mov_b32_e32 v23, 0x7f80
	s_and_saveexec_b64 s[10:11], vcc
	s_cbranch_execz .LBB890_357
; %bb.356:
	v_and_b32_e32 v44, 7, v22
	v_ffbh_u32_e32 v23, v44
	v_min_u32_e32 v51, 32, v23
	v_subrev_u32_e32 v23, 28, v51
	v_lshlrev_b64 v[22:23], v23, v[22:23]
	v_lshrrev_b32_e32 v45, 3, v43
	v_sub_u32_e32 v23, 29, v51
	v_and_b32_e32 v22, 7, v22
	v_cmp_gt_u32_e32 vcc, 8, v43
	v_cndmask_b32_e32 v23, v45, v23, vcc
	v_cndmask_b32_e32 v22, v44, v22, vcc
	v_lshlrev_b32_e32 v43, 16, v24
	v_bfrev_b32_e32 v44, 60
	v_lshlrev_b32_e32 v22, 20, v22
	v_and_b32_e32 v43, 0x80000000, v43
	v_lshl_add_u32 v23, v23, 23, v44
	v_or3_b32 v22, v43, v23, v22
	v_lshrrev_b32_e32 v23, 16, v22
.LBB890_357:
	s_or_b64 exec, exec, s[10:11]
.LBB890_358:
	s_or_b64 exec, exec, s[8:9]
.LBB890_359:
	s_or_b64 exec, exec, s[2:3]
	s_movk_i32 s2, 0xff
	v_and_b32_sdwa v45, v24, s2 dst_sel:DWORD dst_unused:UNUSED_PAD src0_sel:WORD_1 src1_sel:DWORD
	v_lshrrev_b32_e32 v22, 16, v24
	v_cmp_ne_u16_e32 vcc, 0, v45
	v_mov_b32_e32 v43, 0
	v_mov_b32_e32 v44, 0
	s_and_saveexec_b64 s[2:3], vcc
	s_cbranch_execz .LBB890_365
; %bb.360:
	s_movk_i32 s8, 0x80
	v_cmp_ne_u16_e32 vcc, s8, v45
	v_mov_b32_e32 v44, 0xffff8000
	s_and_saveexec_b64 s[8:9], vcc
	s_cbranch_execz .LBB890_364
; %bb.361:
	v_bfe_u32 v45, v24, 16, 7
	s_movk_i32 s10, 0x7f
	v_cmp_ne_u32_e32 vcc, s10, v45
	v_mov_b32_e32 v44, 0x7f80
	s_and_saveexec_b64 s[10:11], vcc
	s_cbranch_execz .LBB890_363
; %bb.362:
	v_and_b32_e32 v44, 7, v22
	v_ffbh_u32_e32 v52, v44
	v_min_u32_e32 v54, 32, v52
	v_subrev_u32_e32 v52, 28, v54
	v_lshlrev_b64 v[52:53], v52, v[22:23]
	v_lshrrev_b32_e32 v51, 3, v45
	v_sub_u32_e32 v22, 29, v54
	v_and_b32_e32 v52, 7, v52
	v_cmp_gt_u32_e32 vcc, 8, v45
	v_mov_b32_e32 v45, 24
	v_cndmask_b32_e32 v22, v51, v22, vcc
	v_cndmask_b32_e32 v44, v44, v52, vcc
	v_lshlrev_b32_sdwa v45, v45, v24 dst_sel:DWORD dst_unused:UNUSED_PAD src0_sel:DWORD src1_sel:WORD_1
	v_bfrev_b32_e32 v51, 60
	v_lshlrev_b32_e32 v44, 20, v44
	v_and_b32_e32 v45, 0x80000000, v45
	v_lshl_add_u32 v22, v22, 23, v51
	v_or3_b32 v22, v45, v22, v44
	v_lshrrev_b32_e32 v44, 16, v22
.LBB890_363:
	s_or_b64 exec, exec, s[10:11]
.LBB890_364:
	s_or_b64 exec, exec, s[8:9]
.LBB890_365:
	s_or_b64 exec, exec, s[2:3]
	s_mov_b32 s2, 0xffffff
	v_cmp_lt_u32_e32 vcc, s2, v24
	s_and_saveexec_b64 s[2:3], vcc
	s_cbranch_execz .LBB890_371
; %bb.366:
	v_lshrrev_b32_e32 v22, 24, v24
	s_movk_i32 s8, 0x80
	v_cmp_ne_u32_e32 vcc, s8, v22
	v_mov_b32_e32 v43, 0xffff8000
	s_and_saveexec_b64 s[8:9], vcc
	s_cbranch_execz .LBB890_370
; %bb.367:
	v_bfe_u32 v24, v24, 24, 7
	s_movk_i32 s10, 0x7f
	v_cmp_ne_u32_e32 vcc, s10, v24
	v_mov_b32_e32 v43, 0x7f80
	s_and_saveexec_b64 s[10:11], vcc
	s_cbranch_execz .LBB890_369
; %bb.368:
	v_and_b32_e32 v43, 7, v22
	v_ffbh_u32_e32 v51, v43
	v_min_u32_e32 v51, 32, v51
	v_subrev_u32_e32 v52, 28, v51
	v_lshlrev_b64 v[52:53], v52, v[22:23]
	v_lshrrev_b32_e32 v45, 3, v24
	v_sub_u32_e32 v51, 29, v51
	v_and_b32_e32 v52, 7, v52
	v_cmp_gt_u32_e32 vcc, 8, v24
	v_cndmask_b32_e32 v24, v45, v51, vcc
	v_cndmask_b32_e32 v43, v43, v52, vcc
	v_lshlrev_b32_e32 v22, 24, v22
	v_bfrev_b32_e32 v45, 60
	v_lshlrev_b32_e32 v43, 20, v43
	v_and_b32_e32 v22, 0x80000000, v22
	v_lshl_add_u32 v24, v24, 23, v45
	v_or3_b32 v22, v22, v24, v43
	v_lshrrev_b32_e32 v43, 16, v22
.LBB890_369:
	s_or_b64 exec, exec, s[10:11]
.LBB890_370:
	s_or_b64 exec, exec, s[8:9]
.LBB890_371:
	s_or_b64 exec, exec, s[2:3]
	v_mov_b32_e32 v24, 0
	v_cmp_ne_u16_sdwa s[8:9], v25, v24 src0_sel:BYTE_0 src1_sel:DWORD
	v_mov_b32_e32 v51, 0
	s_and_saveexec_b64 s[2:3], s[8:9]
	s_cbranch_execz .LBB890_377
; %bb.372:
	s_movk_i32 s8, 0x80
	v_cmp_ne_u16_sdwa s[10:11], v25, s8 src0_sel:BYTE_0 src1_sel:DWORD
	v_mov_b32_e32 v51, 0xffff8000
	s_and_saveexec_b64 s[8:9], s[10:11]
	s_cbranch_execz .LBB890_376
; %bb.373:
	s_movk_i32 s10, 0x7f
	v_and_b32_e32 v22, 0x7f, v25
	v_cmp_ne_u32_e32 vcc, s10, v22
	v_mov_b32_e32 v51, 0x7f80
	s_and_saveexec_b64 s[10:11], vcc
	s_cbranch_execz .LBB890_375
; %bb.374:
	v_and_b32_e32 v45, 7, v25
	v_ffbh_u32_e32 v53, v45
	v_min_u32_e32 v54, 32, v53
	v_mov_b32_e32 v52, v25
	v_subrev_u32_e32 v53, 28, v54
	v_lshlrev_b64 v[52:53], v53, v[52:53]
	v_lshrrev_b32_e32 v51, 3, v22
	v_sub_u32_e32 v53, 29, v54
	v_and_b32_e32 v52, 7, v52
	v_cmp_gt_u32_e32 vcc, 8, v22
	v_cndmask_b32_e32 v22, v51, v53, vcc
	v_cndmask_b32_e32 v45, v45, v52, vcc
	v_lshlrev_b32_e32 v51, 24, v25
	v_bfrev_b32_e32 v52, 60
	v_lshlrev_b32_e32 v45, 20, v45
	v_and_b32_e32 v51, 0x80000000, v51
	v_lshl_add_u32 v22, v22, 23, v52
	v_or3_b32 v22, v51, v22, v45
	v_lshrrev_b32_e32 v51, 16, v22
.LBB890_375:
	s_or_b64 exec, exec, s[10:11]
.LBB890_376:
	s_or_b64 exec, exec, s[8:9]
.LBB890_377:
	s_or_b64 exec, exec, s[2:3]
	v_lshrrev_b16_e32 v22, 8, v25
	v_cmp_ne_u16_e32 vcc, 0, v22
	s_and_saveexec_b64 s[2:3], vcc
	s_cbranch_execz .LBB890_383
; %bb.378:
	s_movk_i32 s8, 0x80
	v_cmp_ne_u16_e32 vcc, s8, v22
	v_mov_b32_e32 v24, 0xffff8000
	s_and_saveexec_b64 s[8:9], vcc
	s_cbranch_execz .LBB890_382
; %bb.379:
	s_movk_i32 s10, 0x7f
	v_and_b32_e32 v45, 0x7f, v22
	v_cmp_ne_u32_e32 vcc, s10, v45
	v_mov_b32_e32 v24, 0x7f80
	s_and_saveexec_b64 s[10:11], vcc
	s_cbranch_execz .LBB890_381
; %bb.380:
	v_and_b32_e32 v24, 7, v22
	v_ffbh_u32_e32 v52, v24
	v_min_u32_e32 v55, 32, v52
	v_subrev_u32_e32 v52, 28, v55
	v_lshlrev_b64 v[52:53], v52, v[22:23]
	v_lshrrev_b32_e32 v54, 3, v45
	v_sub_u32_e32 v22, 29, v55
	v_and_b32_e32 v52, 7, v52
	v_cmp_gt_u32_e32 vcc, 8, v45
	v_cndmask_b32_e32 v22, v54, v22, vcc
	v_cndmask_b32_e32 v24, v24, v52, vcc
	v_lshlrev_b32_e32 v45, 16, v25
	v_bfrev_b32_e32 v52, 60
	v_lshlrev_b32_e32 v24, 20, v24
	v_and_b32_e32 v45, 0x80000000, v45
	v_lshl_add_u32 v22, v22, 23, v52
	v_or3_b32 v22, v45, v22, v24
	v_lshrrev_b32_e32 v24, 16, v22
.LBB890_381:
	s_or_b64 exec, exec, s[10:11]
.LBB890_382:
	s_or_b64 exec, exec, s[8:9]
.LBB890_383:
	s_or_b64 exec, exec, s[2:3]
	s_movk_i32 s2, 0xff
	v_and_b32_sdwa v45, v25, s2 dst_sel:DWORD dst_unused:UNUSED_PAD src0_sel:WORD_1 src1_sel:DWORD
	v_lshrrev_b32_e32 v22, 16, v25
	v_cmp_ne_u16_e32 vcc, 0, v45
	v_mov_b32_e32 v52, 0
	v_mov_b32_e32 v53, 0
	s_and_saveexec_b64 s[2:3], vcc
	s_cbranch_execz .LBB890_389
; %bb.384:
	s_movk_i32 s8, 0x80
	v_cmp_ne_u16_e32 vcc, s8, v45
	v_mov_b32_e32 v53, 0xffff8000
	s_and_saveexec_b64 s[8:9], vcc
	s_cbranch_execz .LBB890_388
; %bb.385:
	v_bfe_u32 v45, v25, 16, 7
	s_movk_i32 s10, 0x7f
	v_cmp_ne_u32_e32 vcc, s10, v45
	v_mov_b32_e32 v53, 0x7f80
	s_and_saveexec_b64 s[10:11], vcc
	s_cbranch_execz .LBB890_387
; %bb.386:
	v_and_b32_e32 v53, 7, v22
	v_ffbh_u32_e32 v54, v53
	v_min_u32_e32 v57, 32, v54
	v_subrev_u32_e32 v54, 28, v57
	v_lshlrev_b64 v[54:55], v54, v[22:23]
	v_and_b32_e32 v54, 7, v54
	v_cmp_gt_u32_e32 vcc, 8, v45
	v_lshrrev_b32_e32 v56, 3, v45
	v_sub_u32_e32 v22, 29, v57
	v_cndmask_b32_e32 v45, v53, v54, vcc
	v_mov_b32_e32 v53, 24
	v_cndmask_b32_e32 v22, v56, v22, vcc
	v_lshlrev_b32_sdwa v53, v53, v25 dst_sel:DWORD dst_unused:UNUSED_PAD src0_sel:DWORD src1_sel:WORD_1
	v_bfrev_b32_e32 v54, 60
	v_lshlrev_b32_e32 v45, 20, v45
	v_and_b32_e32 v53, 0x80000000, v53
	v_lshl_add_u32 v22, v22, 23, v54
	v_or3_b32 v22, v53, v22, v45
	v_lshrrev_b32_e32 v53, 16, v22
.LBB890_387:
	s_or_b64 exec, exec, s[10:11]
.LBB890_388:
	s_or_b64 exec, exec, s[8:9]
.LBB890_389:
	s_or_b64 exec, exec, s[2:3]
	s_mov_b32 s2, 0xffffff
	v_and_b32_e32 v45, 63, v0
	v_cmp_lt_u32_e32 vcc, s2, v25
	s_and_saveexec_b64 s[2:3], vcc
	s_cbranch_execz .LBB890_395
; %bb.390:
	v_lshrrev_b32_e32 v22, 24, v25
	s_movk_i32 s8, 0x80
	v_cmp_ne_u32_e32 vcc, s8, v22
	v_mov_b32_e32 v52, 0xffff8000
	s_and_saveexec_b64 s[8:9], vcc
	s_cbranch_execz .LBB890_394
; %bb.391:
	v_bfe_u32 v25, v25, 24, 7
	s_movk_i32 s10, 0x7f
	v_cmp_ne_u32_e32 vcc, s10, v25
	v_mov_b32_e32 v52, 0x7f80
	s_and_saveexec_b64 s[10:11], vcc
	s_cbranch_execz .LBB890_393
; %bb.392:
	v_and_b32_e32 v52, 7, v22
	v_ffbh_u32_e32 v54, v52
	v_min_u32_e32 v57, 32, v54
	v_subrev_u32_e32 v54, 28, v57
	v_lshlrev_b64 v[54:55], v54, v[22:23]
	v_lshrrev_b32_e32 v56, 3, v25
	v_sub_u32_e32 v55, 29, v57
	v_and_b32_e32 v54, 7, v54
	v_cmp_gt_u32_e32 vcc, 8, v25
	v_cndmask_b32_e32 v25, v56, v55, vcc
	v_cndmask_b32_e32 v52, v52, v54, vcc
	v_lshlrev_b32_e32 v22, 24, v22
	v_bfrev_b32_e32 v54, 60
	v_lshlrev_b32_e32 v52, 20, v52
	v_and_b32_e32 v22, 0x80000000, v22
	v_lshl_add_u32 v25, v25, 23, v54
	v_or3_b32 v22, v22, v25, v52
	v_lshrrev_b32_e32 v52, 16, v22
.LBB890_393:
	s_or_b64 exec, exec, s[10:11]
.LBB890_394:
	s_or_b64 exec, exec, s[8:9]
.LBB890_395:
	s_or_b64 exec, exec, s[2:3]
	s_mov_b32 s3, 0x5040100
	v_perm_b32 v43, v43, v44, s3
	v_perm_b32 v42, v23, v42, s3
	s_load_dword s2, s[4:5], 0x1c
	s_mov_b32 s46, 0xff7fffff
	s_waitcnt lgkmcnt(0)
	v_mfma_f32_16x16x16bf16_1k v[26:29], v[42:43], v[18:19], v[26:29]
	v_perm_b32 v19, v52, v53, s3
	v_perm_b32 v18, v24, v51, s3
	v_and_b32_e32 v24, 0xc0, v0
	v_mov_b32_e32 v22, s2
	v_add_u32_e32 v24, s20, v24
	v_mul_f32_e32 v44, s12, v22
	v_lshl_or_b32 v42, v1, 2, v24
	v_mfma_f32_16x16x16bf16_1k v[18:21], v[18:19], v[20:21], v[26:29]
	v_pk_mul_f32 v[22:23], v[44:45], v[36:37] op_sel_hi:[0,1]
	v_pk_mul_f32 v[36:37], v[44:45], v[40:41] op_sel_hi:[0,1]
	;; [unrolled: 1-line block ×4, first 2 shown]
	v_mov_b32_e32 v43, 0xff7fffff
	v_cmp_gt_i32_e64 s[26:27], s33, v42
	v_pk_mul_f32 v[38:39], v[44:45], v[38:39] op_sel_hi:[0,1]
	s_nop 3
	v_pk_mul_f32 v[32:33], v[44:45], v[18:19] op_sel_hi:[0,1]
	v_or_b32_e32 v19, 1, v42
	v_cmp_gt_i32_e64 s[28:29], s33, v19
	v_cndmask_b32_e64 v18, v43, v30, s[26:27]
	v_cndmask_b32_e64 v19, v43, v31, s[28:29]
	v_pk_mul_f32 v[24:25], v[44:45], v[20:21] op_sel_hi:[0,1]
	v_max3_f32 v18, v18, s46, v19
	v_or_b32_e32 v19, 2, v42
	v_or_b32_e32 v20, 3, v42
	v_cmp_gt_i32_e64 s[30:31], s33, v19
	v_cmp_gt_i32_e64 s[34:35], s33, v20
	v_cndmask_b32_e64 v19, v43, v40, s[30:31]
	v_cndmask_b32_e64 v20, v43, v41, s[34:35]
	v_max3_f32 v18, v18, v19, v20
	v_or_b32_e32 v19, 16, v42
	v_or_b32_e32 v20, 17, v42
	v_cmp_gt_i32_e64 s[36:37], s33, v19
	v_cmp_gt_i32_e64 s[38:39], s33, v20
	v_cndmask_b32_e64 v19, v43, v38, s[36:37]
	v_cndmask_b32_e64 v20, v43, v39, s[38:39]
	;; [unrolled: 7-line block ×3, first 2 shown]
	v_max3_f32 v18, v18, v19, v20
	v_or_b32_e32 v19, 32, v42
	v_or_b32_e32 v20, 33, v42
	v_pk_mul_f32 v[34:35], v[44:45], v[34:35] op_sel_hi:[0,1]
	v_cmp_gt_i32_e64 s[16:17], s33, v19
	v_cmp_gt_i32_e64 s[18:19], s33, v20
	v_cndmask_b32_e64 v19, v43, v34, s[16:17]
	v_cndmask_b32_e64 v20, v43, v35, s[18:19]
	v_max3_f32 v18, v18, v19, v20
	v_or_b32_e32 v19, 34, v42
	v_or_b32_e32 v20, 35, v42
	v_cmp_gt_i32_e64 s[12:13], s33, v19
	v_cmp_gt_i32_e64 s[14:15], s33, v20
	v_cndmask_b32_e64 v19, v43, v22, s[12:13]
	v_cndmask_b32_e64 v20, v43, v23, s[14:15]
	v_max3_f32 v18, v18, v19, v20
	v_or_b32_e32 v19, 48, v42
	v_or_b32_e32 v20, 49, v42
	v_cmp_gt_i32_e64 s[8:9], s33, v19
	v_cmp_gt_i32_e64 s[10:11], s33, v20
	v_cndmask_b32_e64 v19, v43, v32, s[8:9]
	v_cndmask_b32_e64 v20, v43, v33, s[10:11]
	v_max3_f32 v18, v18, v19, v20
	v_or_b32_e32 v19, 50, v42
	v_or_b32_e32 v20, 51, v42
	v_cmp_gt_i32_e32 vcc, s33, v19
	v_cmp_gt_i32_e64 s[2:3], s33, v20
	v_cndmask_b32_e32 v19, v43, v24, vcc
	v_cndmask_b32_e64 v20, v43, v25, s[2:3]
	v_max3_f32 v18, v18, v19, v20
	v_mbcnt_lo_u32_b32 v19, -1, 0
	v_mbcnt_hi_u32_b32 v19, -1, v19
	v_and_b32_e32 v20, 64, v19
	v_add_u32_e32 v20, 64, v20
	v_xor_b32_e32 v21, 32, v19
	v_cmp_lt_i32_e64 s[40:41], v21, v20
	v_cndmask_b32_e64 v21, v19, v21, s[40:41]
	v_lshlrev_b32_e32 v43, 2, v21
	ds_bpermute_b32 v21, v43, v18
	s_barrier
	s_waitcnt lgkmcnt(0)
	v_max_f32_e32 v21, v21, v21
	v_max_f32_e32 v18, v18, v21
	v_xor_b32_e32 v21, 16, v19
	v_cmp_lt_i32_e64 s[40:41], v21, v20
	v_cndmask_b32_e64 v19, v19, v21, s[40:41]
	v_lshlrev_b32_e32 v44, 2, v19
	ds_bpermute_b32 v19, v44, v18
	s_waitcnt lgkmcnt(0)
	v_max_f32_e32 v19, v19, v19
	v_max_f32_e32 v42, v18, v19
	v_sub_f32_e32 v21, v40, v42
	v_sub_f32_e32 v26, v41, v42
	v_mul_f32_e32 v21, 0x3fb8aa3b, v21
	v_mul_f32_e32 v26, 0x3fb8aa3b, v26
	v_sub_f32_e32 v18, v30, v42
	v_exp_f32_e32 v21, v21
	v_exp_f32_e32 v26, v26
	v_mul_f32_e32 v18, 0x3fb8aa3b, v18
	v_sub_f32_e32 v19, v31, v42
	v_exp_f32_e32 v18, v18
	v_mul_f32_e32 v19, 0x3fb8aa3b, v19
	v_exp_f32_e32 v19, v19
	v_cndmask_b32_e64 v28, 0, v21, s[30:31]
	v_cndmask_b32_e64 v29, 0, v26, s[34:35]
	v_sub_f32_e32 v21, v38, v42
	v_sub_f32_e32 v26, v39, v42
	v_mul_f32_e32 v21, 0x3fb8aa3b, v21
	v_mul_f32_e32 v26, 0x3fb8aa3b, v26
	v_cndmask_b32_e64 v18, 0, v18, s[26:27]
	v_exp_f32_e32 v21, v21
	v_exp_f32_e32 v26, v26
	v_add_f32_e32 v20, 0, v18
	v_cndmask_b32_e64 v19, 0, v19, s[28:29]
	v_add_f32_e32 v20, v20, v19
	v_add_f32_e32 v20, v20, v28
	v_add_f32_e32 v27, v20, v29
	v_cndmask_b32_e64 v20, 0, v21, s[36:37]
	v_cndmask_b32_e64 v21, 0, v26, s[38:39]
	v_sub_f32_e32 v26, v36, v42
	v_mul_f32_e32 v26, 0x3fb8aa3b, v26
	v_exp_f32_e32 v26, v26
	v_sub_f32_e32 v30, v37, v42
	v_add_f32_e32 v27, v27, v20
	v_mul_f32_e32 v30, 0x3fb8aa3b, v30
	v_exp_f32_e32 v31, v30
	v_add_f32_e32 v27, v27, v21
	v_cndmask_b32_e64 v30, 0, v26, s[20:21]
	v_add_f32_e32 v26, v27, v30
	v_sub_f32_e32 v27, v34, v42
	v_mul_f32_e32 v27, 0x3fb8aa3b, v27
	v_sub_f32_e32 v34, v35, v42
	v_exp_f32_e32 v27, v27
	v_mul_f32_e32 v34, 0x3fb8aa3b, v34
	v_sub_f32_e32 v22, v22, v42
	v_exp_f32_e32 v34, v34
	;; [unrolled: 3-line block ×3, first 2 shown]
	v_mul_f32_e32 v23, 0x3fb8aa3b, v23
	v_cndmask_b32_e64 v31, 0, v31, s[22:23]
	v_exp_f32_e32 v23, v23
	v_add_f32_e32 v35, v26, v31
	v_cndmask_b32_e64 v26, 0, v27, s[16:17]
	v_add_f32_e32 v35, v35, v26
	v_cndmask_b32_e64 v27, 0, v34, s[18:19]
	;; [unrolled: 2-line block ×4, first 2 shown]
	v_sub_f32_e32 v23, v32, v42
	v_mul_f32_e32 v23, 0x3fb8aa3b, v23
	v_sub_f32_e32 v32, v33, v42
	v_exp_f32_e32 v23, v23
	v_mul_f32_e32 v32, 0x3fb8aa3b, v32
	v_sub_f32_e32 v24, v24, v42
	v_exp_f32_e32 v32, v32
	;; [unrolled: 3-line block ×3, first 2 shown]
	v_mul_f32_e32 v25, 0x3fb8aa3b, v25
	v_exp_f32_e32 v25, v25
	v_add_f32_e32 v33, v22, v35
	v_cndmask_b32_e64 v22, 0, v23, s[8:9]
	v_add_f32_e32 v33, v33, v22
	v_cndmask_b32_e64 v23, 0, v32, s[10:11]
	v_add_f32_e32 v32, v33, v23
	v_cndmask_b32_e32 v24, 0, v24, vcc
	v_add_f32_e32 v32, v32, v24
	v_cndmask_b32_e64 v25, 0, v25, s[2:3]
	v_add_f32_e32 v32, v32, v25
	ds_bpermute_b32 v33, v43, v32
	v_cmp_gt_u32_e64 s[2:3], 16, v45
	s_waitcnt lgkmcnt(0)
	v_add_f32_e32 v32, v32, v33
	ds_bpermute_b32 v36, v44, v32
	v_lshlrev_b32_e32 v33, 2, v49
	s_and_saveexec_b64 s[8:9], s[2:3]
	s_cbranch_execz .LBB890_397
; %bb.396:
	s_waitcnt lgkmcnt(0)
	v_add_f32_e32 v32, v32, v36
	v_lshl_or_b32 v36, v50, 6, v33
	ds_write2st64_b32 v36, v42, v32 offset1:1
.LBB890_397:
	s_or_b64 exec, exec, s[8:9]
	s_waitcnt lgkmcnt(0)
	s_barrier
	ds_read2_b32 v[36:37], v33 offset1:16
	ds_read2_b32 v[38:39], v33 offset0:32 offset1:48
	ds_read2_b32 v[40:41], v33 offset0:64 offset1:80
	s_mul_i32 s14, s45, 13
	s_waitcnt lgkmcnt(2)
	v_max3_f32 v32, v36, s46, v37
	s_waitcnt lgkmcnt(1)
	v_max3_f32 v32, v32, v38, v39
	v_sub_f32_e32 v36, v36, v32
	v_mul_f32_e32 v36, 0x3fb8aa3b, v36
	v_exp_f32_e32 v42, v36
	v_sub_f32_e32 v36, v37, v32
	v_mul_f32_e32 v36, 0x3fb8aa3b, v36
	v_exp_f32_e32 v43, v36
	;; [unrolled: 3-line block ×3, first 2 shown]
	ds_read2_b32 v[36:37], v33 offset0:96 offset1:112
	v_sub_f32_e32 v33, v39, v32
	v_mul_f32_e32 v33, 0x3fb8aa3b, v33
	v_exp_f32_e32 v39, v33
	s_waitcnt lgkmcnt(1)
	v_fma_f32 v33, v42, v40, 0
	v_fmac_f32_e32 v33, v43, v41
	s_waitcnt lgkmcnt(0)
	v_fmac_f32_e32 v33, v38, v36
	v_fmac_f32_e32 v33, v39, v37
	v_add_f32_e32 v36, 0x358637bd, v33
	v_div_scale_f32 v37, s[8:9], v36, v36, 1.0
	v_rcp_f32_e32 v40, v37
	s_movk_i32 s8, 0x7fff
	s_mov_b32 s9, 0x7060302
	v_fma_f32 v41, -v37, v40, 1.0
	v_fmac_f32_e32 v40, v41, v40
	v_div_scale_f32 v41, vcc, 1.0, v36, 1.0
	v_mul_f32_e32 v44, v41, v40
	v_fma_f32 v45, -v37, v44, v41
	v_fmac_f32_e32 v44, v45, v40
	v_fma_f32 v37, -v37, v44, v41
	v_div_fmas_f32 v37, v37, v40, v44
	v_cmp_eq_u32_e32 vcc, 1, v50
	v_div_fixup_f32 v36, v37, v36, 1.0
	v_cndmask_b32_e32 v37, v42, v43, vcc
	v_cmp_eq_u32_e32 vcc, 2, v50
	v_cndmask_b32_e32 v37, v37, v38, vcc
	v_cmp_eq_u32_e32 vcc, 3, v50
	v_cndmask_b32_e32 v37, v37, v39, vcc
	v_mul_f32_e32 v36, v37, v36
	v_pk_mul_f32 v[18:19], v[36:37], v[18:19] op_sel_hi:[0,1]
	v_pk_mul_f32 v[28:29], v[36:37], v[28:29] op_sel_hi:[0,1]
	v_bfe_u32 v37, v19, 16, 1
	v_bfe_u32 v38, v18, 16, 1
	v_add3_u32 v18, v18, v38, s8
	v_add3_u32 v19, v19, v37, s8
	v_perm_b32 v18, v19, v18, s9
	v_bfe_u32 v19, v29, 16, 1
	v_bfe_u32 v37, v28, 16, 1
	v_add3_u32 v28, v28, v37, s8
	v_add3_u32 v19, v29, v19, s8
	v_perm_b32 v19, v19, v28, s9
	v_lshlrev_b32_e32 v28, 3, v1
	v_lshlrev_b32_e32 v29, 11, v50
	v_pk_mul_f32 v[20:21], v[36:37], v[20:21] op_sel_hi:[0,1]
	v_or3_b32 v28, v29, v48, v28
	v_pk_mul_f32 v[30:31], v[36:37], v[30:31] op_sel_hi:[0,1]
	v_bfe_u32 v29, v21, 16, 1
	v_bfe_u32 v37, v20, 16, 1
	v_add3_u32 v20, v20, v37, s8
	v_add3_u32 v21, v21, v29, s8
	v_perm_b32 v20, v21, v20, s9
	v_bfe_u32 v21, v31, 16, 1
	v_bfe_u32 v29, v30, 16, 1
	v_add3_u32 v29, v30, v29, s8
	v_add3_u32 v21, v31, v21, s8
	v_perm_b32 v21, v21, v29, s9
	s_barrier
	ds_write2st64_b64 v28, v[18:19], v[20:21] offset1:1
	v_pk_mul_f32 v[20:21], v[36:37], v[26:27] op_sel_hi:[0,1]
	v_bfe_u32 v26, v21, 16, 1
	v_bfe_u32 v27, v20, 16, 1
	v_pk_mul_f32 v[18:19], v[36:37], v[34:35] op_sel_hi:[0,1]
	v_add3_u32 v20, v20, v27, s8
	v_add3_u32 v21, v21, v26, s8
	v_perm_b32 v20, v21, v20, s9
	v_bfe_u32 v21, v19, 16, 1
	v_bfe_u32 v26, v18, 16, 1
	v_add3_u32 v18, v18, v26, s8
	v_add3_u32 v19, v19, v21, s8
	v_pk_mul_f32 v[22:23], v[36:37], v[22:23] op_sel_hi:[0,1]
	v_perm_b32 v21, v19, v18, s9
	v_pk_mul_f32 v[18:19], v[36:37], v[24:25] op_sel_hi:[0,1]
	v_bfe_u32 v24, v23, 16, 1
	v_bfe_u32 v25, v22, 16, 1
	v_add3_u32 v22, v22, v25, s8
	v_add3_u32 v23, v23, v24, s8
	v_perm_b32 v22, v23, v22, s9
	v_bfe_u32 v23, v19, 16, 1
	v_bfe_u32 v24, v18, 16, 1
	v_add3_u32 v18, v18, v24, s8
	v_add3_u32 v19, v19, v23, s8
	v_perm_b32 v23, v19, v18, s9
	v_cmp_gt_u32_e32 vcc, 13, v0
	ds_write2st64_b64 v28, v[20:21], v[22:23] offset0:2 offset1:3
	s_and_saveexec_b64 s[8:9], vcc
	s_cbranch_execz .LBB890_399
; %bb.398:
	v_add_co_u32_e32 v20, vcc, s25, v49
	v_addc_co_u32_e64 v21, s[10:11], 0, 0, vcc
	v_mov_b32_e32 v18, s14
	v_mov_b32_e32 v19, 0
	v_mad_u64_u32 v[20:21], s[10:11], s6, v18, v[20:21]
	v_mov_b32_e32 v18, s24
	s_load_dwordx4 s[16:19], s[4:5], 0x58
	s_mul_i32 s7, s7, s14
	v_mad_u64_u32 v[18:19], s[10:11], v20, s44, v[18:19]
	v_add_u32_e32 v21, s7, v21
	v_mov_b32_e32 v20, v19
	v_mad_u64_u32 v[20:21], s[10:11], v21, s44, v[20:21]
	v_mov_b32_e32 v19, v20
	v_lshlrev_b64 v[18:19], 2, v[18:19]
	s_waitcnt lgkmcnt(0)
	v_mov_b32_e32 v21, s19
	v_add_co_u32_e32 v20, vcc, s18, v18
	v_addc_co_u32_e32 v21, vcc, v21, v19, vcc
	global_store_dword v[20:21], v32, off
	v_mov_b32_e32 v20, s17
	v_add_co_u32_e32 v18, vcc, s16, v18
	v_addc_co_u32_e32 v19, vcc, v20, v19, vcc
	global_store_dword v[18:19], v33, off
.LBB890_399:
	s_or_b64 exec, exec, s[8:9]
	v_mov_b32_e32 v19, 0
	s_waitcnt vmcnt(3)
	v_cmp_ne_u16_sdwa s[10:11], v14, v19 src0_sel:BYTE_0 src1_sel:DWORD
	v_mov_b32_e32 v20, 0
	s_waitcnt lgkmcnt(0)
	s_barrier
	s_and_saveexec_b64 s[8:9], s[10:11]
	s_cbranch_execz .LBB890_405
; %bb.400:
	s_movk_i32 s7, 0x80
	v_cmp_ne_u16_sdwa s[12:13], v14, s7 src0_sel:BYTE_0 src1_sel:DWORD
	v_mov_b32_e32 v20, 0xffff8000
	s_and_saveexec_b64 s[10:11], s[12:13]
	s_cbranch_execz .LBB890_404
; %bb.401:
	s_movk_i32 s7, 0x7f
	v_and_b32_e32 v18, 0x7f, v14
	v_cmp_ne_u32_e32 vcc, s7, v18
	v_mov_b32_e32 v20, 0x7f80
	s_and_saveexec_b64 s[12:13], vcc
	s_cbranch_execz .LBB890_403
; %bb.402:
	v_and_b32_e32 v22, 7, v14
	v_ffbh_u32_e32 v20, v22
	v_min_u32_e32 v24, 32, v20
	v_subrev_u32_e32 v20, 28, v24
	v_lshlrev_b64 v[20:21], v20, v[14:15]
	v_lshrrev_b32_e32 v23, 3, v18
	v_sub_u32_e32 v21, 29, v24
	v_and_b32_e32 v20, 7, v20
	v_cmp_gt_u32_e32 vcc, 8, v18
	v_cndmask_b32_e32 v18, v23, v21, vcc
	v_cndmask_b32_e32 v20, v22, v20, vcc
	v_lshlrev_b32_e32 v21, 24, v14
	v_bfrev_b32_e32 v22, 60
	v_lshlrev_b32_e32 v20, 20, v20
	v_and_b32_e32 v21, 0x80000000, v21
	v_lshl_add_u32 v18, v18, 23, v22
	v_or3_b32 v18, v21, v18, v20
	v_lshrrev_b32_e32 v20, 16, v18
.LBB890_403:
	s_or_b64 exec, exec, s[12:13]
.LBB890_404:
	s_or_b64 exec, exec, s[10:11]
.LBB890_405:
	s_or_b64 exec, exec, s[8:9]
	v_lshrrev_b16_e32 v18, 8, v14
	v_cmp_ne_u16_e32 vcc, 0, v18
	s_and_saveexec_b64 s[8:9], vcc
	s_cbranch_execz .LBB890_411
; %bb.406:
	s_movk_i32 s7, 0x80
	v_cmp_ne_u16_e32 vcc, s7, v18
	v_mov_b32_e32 v19, 0xffff8000
	s_and_saveexec_b64 s[10:11], vcc
	s_cbranch_execz .LBB890_410
; %bb.407:
	s_movk_i32 s7, 0x7f
	v_and_b32_e32 v21, 0x7f, v18
	v_cmp_ne_u32_e32 vcc, s7, v21
	v_mov_b32_e32 v19, 0x7f80
	s_and_saveexec_b64 s[12:13], vcc
	s_cbranch_execz .LBB890_409
; %bb.408:
	v_and_b32_e32 v22, 7, v18
	v_ffbh_u32_e32 v19, v22
	v_min_u32_e32 v24, 32, v19
	v_subrev_u32_e32 v19, 28, v24
	v_lshlrev_b64 v[18:19], v19, v[18:19]
	v_lshrrev_b32_e32 v23, 3, v21
	v_sub_u32_e32 v19, 29, v24
	v_and_b32_e32 v18, 7, v18
	v_cmp_gt_u32_e32 vcc, 8, v21
	v_cndmask_b32_e32 v19, v23, v19, vcc
	v_cndmask_b32_e32 v18, v22, v18, vcc
	v_lshlrev_b32_e32 v21, 16, v14
	v_bfrev_b32_e32 v22, 60
	v_lshlrev_b32_e32 v18, 20, v18
	v_and_b32_e32 v21, 0x80000000, v21
	v_lshl_add_u32 v19, v19, 23, v22
	v_or3_b32 v18, v21, v19, v18
	v_lshrrev_b32_e32 v19, 16, v18
.LBB890_409:
	s_or_b64 exec, exec, s[12:13]
.LBB890_410:
	s_or_b64 exec, exec, s[10:11]
.LBB890_411:
	s_or_b64 exec, exec, s[8:9]
	s_movk_i32 s7, 0xff
	v_and_b32_sdwa v23, v14, s7 dst_sel:DWORD dst_unused:UNUSED_PAD src0_sel:WORD_1 src1_sel:DWORD
	v_lshrrev_b32_e32 v18, 16, v14
	v_cmp_ne_u16_e32 vcc, 0, v23
	v_mov_b32_e32 v21, 0
	v_mov_b32_e32 v22, 0
	s_and_saveexec_b64 s[8:9], vcc
	s_cbranch_execz .LBB890_417
; %bb.412:
	s_movk_i32 s7, 0x80
	v_cmp_ne_u16_e32 vcc, s7, v23
	v_mov_b32_e32 v22, 0xffff8000
	s_and_saveexec_b64 s[10:11], vcc
	s_cbranch_execz .LBB890_416
; %bb.413:
	v_bfe_u32 v23, v14, 16, 7
	s_movk_i32 s7, 0x7f
	v_cmp_ne_u32_e32 vcc, s7, v23
	v_mov_b32_e32 v22, 0x7f80
	s_and_saveexec_b64 s[12:13], vcc
	s_cbranch_execz .LBB890_415
; %bb.414:
	v_and_b32_e32 v22, 7, v18
	v_ffbh_u32_e32 v24, v22
	v_min_u32_e32 v27, 32, v24
	v_subrev_u32_e32 v24, 28, v27
	v_lshlrev_b64 v[24:25], v24, v[18:19]
	v_lshrrev_b32_e32 v26, 3, v23
	v_sub_u32_e32 v18, 29, v27
	v_and_b32_e32 v24, 7, v24
	v_cmp_gt_u32_e32 vcc, 8, v23
	v_mov_b32_e32 v23, 24
	v_cndmask_b32_e32 v18, v26, v18, vcc
	v_cndmask_b32_e32 v22, v22, v24, vcc
	v_lshlrev_b32_sdwa v23, v23, v14 dst_sel:DWORD dst_unused:UNUSED_PAD src0_sel:DWORD src1_sel:WORD_1
	v_bfrev_b32_e32 v24, 60
	v_lshlrev_b32_e32 v22, 20, v22
	v_and_b32_e32 v23, 0x80000000, v23
	v_lshl_add_u32 v18, v18, 23, v24
	v_or3_b32 v18, v23, v18, v22
	v_lshrrev_b32_e32 v22, 16, v18
.LBB890_415:
	s_or_b64 exec, exec, s[12:13]
.LBB890_416:
	s_or_b64 exec, exec, s[10:11]
.LBB890_417:
	s_or_b64 exec, exec, s[8:9]
	s_mov_b32 s7, 0xffffff
	v_cmp_lt_u32_e32 vcc, s7, v14
	s_and_saveexec_b64 s[8:9], vcc
	s_cbranch_execz .LBB890_423
; %bb.418:
	v_lshrrev_b32_e32 v18, 24, v14
	s_movk_i32 s7, 0x80
	v_cmp_ne_u32_e32 vcc, s7, v18
	v_mov_b32_e32 v21, 0xffff8000
	s_and_saveexec_b64 s[10:11], vcc
	s_cbranch_execz .LBB890_422
; %bb.419:
	v_bfe_u32 v14, v14, 24, 7
	s_movk_i32 s7, 0x7f
	v_cmp_ne_u32_e32 vcc, s7, v14
	v_mov_b32_e32 v21, 0x7f80
	s_and_saveexec_b64 s[12:13], vcc
	s_cbranch_execz .LBB890_421
; %bb.420:
	v_and_b32_e32 v21, 7, v18
	v_ffbh_u32_e32 v24, v21
	v_min_u32_e32 v26, 32, v24
	v_subrev_u32_e32 v24, 28, v26
	v_lshlrev_b64 v[24:25], v24, v[18:19]
	v_lshrrev_b32_e32 v23, 3, v14
	v_sub_u32_e32 v25, 29, v26
	v_and_b32_e32 v24, 7, v24
	v_cmp_gt_u32_e32 vcc, 8, v14
	v_cndmask_b32_e32 v14, v23, v25, vcc
	v_cndmask_b32_e32 v21, v21, v24, vcc
	v_lshlrev_b32_e32 v18, 24, v18
	v_bfrev_b32_e32 v23, 60
	v_lshlrev_b32_e32 v21, 20, v21
	v_and_b32_e32 v18, 0x80000000, v18
	v_lshl_add_u32 v14, v14, 23, v23
	v_or3_b32 v14, v18, v14, v21
	v_lshrrev_b32_e32 v21, 16, v14
.LBB890_421:
	s_or_b64 exec, exec, s[12:13]
.LBB890_422:
	s_or_b64 exec, exec, s[10:11]
.LBB890_423:
	s_or_b64 exec, exec, s[8:9]
	v_mov_b32_e32 v18, 0
	v_cmp_ne_u16_sdwa s[10:11], v15, v18 src0_sel:BYTE_0 src1_sel:DWORD
	v_mov_b32_e32 v23, 0
	s_and_saveexec_b64 s[8:9], s[10:11]
	s_cbranch_execz .LBB890_429
; %bb.424:
	s_movk_i32 s7, 0x80
	v_cmp_ne_u16_sdwa s[12:13], v15, s7 src0_sel:BYTE_0 src1_sel:DWORD
	v_mov_b32_e32 v23, 0xffff8000
	s_and_saveexec_b64 s[10:11], s[12:13]
	s_cbranch_execz .LBB890_428
; %bb.425:
	s_movk_i32 s7, 0x7f
	v_and_b32_e32 v14, 0x7f, v15
	v_cmp_ne_u32_e32 vcc, s7, v14
	v_mov_b32_e32 v23, 0x7f80
	s_and_saveexec_b64 s[12:13], vcc
	s_cbranch_execz .LBB890_427
; %bb.426:
	v_and_b32_e32 v23, 7, v15
	v_ffbh_u32_e32 v25, v23
	v_min_u32_e32 v27, 32, v25
	v_mov_b32_e32 v24, v15
	v_subrev_u32_e32 v25, 28, v27
	v_lshlrev_b64 v[24:25], v25, v[24:25]
	v_lshrrev_b32_e32 v26, 3, v14
	v_sub_u32_e32 v25, 29, v27
	v_and_b32_e32 v24, 7, v24
	v_cmp_gt_u32_e32 vcc, 8, v14
	v_cndmask_b32_e32 v14, v26, v25, vcc
	v_cndmask_b32_e32 v23, v23, v24, vcc
	v_lshlrev_b32_e32 v24, 24, v15
	v_bfrev_b32_e32 v25, 60
	v_lshlrev_b32_e32 v23, 20, v23
	v_and_b32_e32 v24, 0x80000000, v24
	v_lshl_add_u32 v14, v14, 23, v25
	v_or3_b32 v14, v24, v14, v23
	v_lshrrev_b32_e32 v23, 16, v14
.LBB890_427:
	s_or_b64 exec, exec, s[12:13]
.LBB890_428:
	s_or_b64 exec, exec, s[10:11]
.LBB890_429:
	s_or_b64 exec, exec, s[8:9]
	v_lshrrev_b16_e32 v14, 8, v15
	v_cmp_ne_u16_e32 vcc, 0, v14
	s_and_saveexec_b64 s[8:9], vcc
	s_cbranch_execz .LBB890_435
; %bb.430:
	s_movk_i32 s7, 0x80
	v_cmp_ne_u16_e32 vcc, s7, v14
	v_mov_b32_e32 v18, 0xffff8000
	s_and_saveexec_b64 s[10:11], vcc
	s_cbranch_execz .LBB890_434
; %bb.431:
	s_movk_i32 s7, 0x7f
	v_and_b32_e32 v24, 0x7f, v14
	v_cmp_ne_u32_e32 vcc, s7, v24
	v_mov_b32_e32 v18, 0x7f80
	s_and_saveexec_b64 s[12:13], vcc
	s_cbranch_execz .LBB890_433
; %bb.432:
	v_and_b32_e32 v18, 7, v14
	v_ffbh_u32_e32 v26, v18
	v_min_u32_e32 v29, 32, v26
	v_subrev_u32_e32 v26, 28, v29
	v_lshlrev_b64 v[26:27], v26, v[14:15]
	v_lshrrev_b32_e32 v25, 3, v24
	v_sub_u32_e32 v14, 29, v29
	v_and_b32_e32 v26, 7, v26
	v_cmp_gt_u32_e32 vcc, 8, v24
	v_cndmask_b32_e32 v14, v25, v14, vcc
	v_cndmask_b32_e32 v18, v18, v26, vcc
	v_lshlrev_b32_e32 v24, 16, v15
	v_bfrev_b32_e32 v25, 60
	v_lshlrev_b32_e32 v18, 20, v18
	v_and_b32_e32 v24, 0x80000000, v24
	v_lshl_add_u32 v14, v14, 23, v25
	v_or3_b32 v14, v24, v14, v18
	v_lshrrev_b32_e32 v18, 16, v14
.LBB890_433:
	s_or_b64 exec, exec, s[12:13]
.LBB890_434:
	s_or_b64 exec, exec, s[10:11]
.LBB890_435:
	s_or_b64 exec, exec, s[8:9]
	s_movk_i32 s7, 0xff
	v_and_b32_sdwa v26, v15, s7 dst_sel:DWORD dst_unused:UNUSED_PAD src0_sel:WORD_1 src1_sel:DWORD
	v_lshrrev_b32_e32 v14, 16, v15
	v_cmp_ne_u16_e32 vcc, 0, v26
	v_mov_b32_e32 v24, 0
	v_mov_b32_e32 v25, 0
	s_and_saveexec_b64 s[8:9], vcc
	s_cbranch_execz .LBB890_441
; %bb.436:
	s_movk_i32 s7, 0x80
	v_cmp_ne_u16_e32 vcc, s7, v26
	v_mov_b32_e32 v25, 0xffff8000
	s_and_saveexec_b64 s[10:11], vcc
	s_cbranch_execz .LBB890_440
; %bb.437:
	v_bfe_u32 v26, v15, 16, 7
	s_movk_i32 s7, 0x7f
	v_cmp_ne_u32_e32 vcc, s7, v26
	v_mov_b32_e32 v25, 0x7f80
	s_and_saveexec_b64 s[12:13], vcc
	s_cbranch_execz .LBB890_439
; %bb.438:
	v_and_b32_e32 v25, 7, v14
	v_ffbh_u32_e32 v29, v25
	v_min_u32_e32 v29, 32, v29
	v_subrev_u32_e32 v30, 28, v29
	v_lshlrev_b64 v[30:31], v30, v[14:15]
	v_lshrrev_b32_e32 v27, 3, v26
	v_sub_u32_e32 v14, 29, v29
	v_and_b32_e32 v29, 7, v30
	v_cmp_gt_u32_e32 vcc, 8, v26
	v_mov_b32_e32 v26, 24
	v_cndmask_b32_e32 v14, v27, v14, vcc
	v_cndmask_b32_e32 v25, v25, v29, vcc
	v_lshlrev_b32_sdwa v26, v26, v15 dst_sel:DWORD dst_unused:UNUSED_PAD src0_sel:DWORD src1_sel:WORD_1
	v_bfrev_b32_e32 v27, 60
	v_lshlrev_b32_e32 v25, 20, v25
	v_and_b32_e32 v26, 0x80000000, v26
	v_lshl_add_u32 v14, v14, 23, v27
	v_or3_b32 v14, v26, v14, v25
	v_lshrrev_b32_e32 v25, 16, v14
.LBB890_439:
	s_or_b64 exec, exec, s[12:13]
.LBB890_440:
	s_or_b64 exec, exec, s[10:11]
.LBB890_441:
	s_or_b64 exec, exec, s[8:9]
	s_mov_b32 s7, 0xffffff
	v_cmp_lt_u32_e32 vcc, s7, v15
	s_and_saveexec_b64 s[8:9], vcc
	s_cbranch_execz .LBB890_447
; %bb.442:
	v_lshrrev_b32_e32 v14, 24, v15
	s_movk_i32 s7, 0x80
	v_cmp_ne_u32_e32 vcc, s7, v14
	v_mov_b32_e32 v24, 0xffff8000
	s_and_saveexec_b64 s[10:11], vcc
	s_cbranch_execz .LBB890_446
; %bb.443:
	v_bfe_u32 v15, v15, 24, 7
	s_movk_i32 s7, 0x7f
	v_cmp_ne_u32_e32 vcc, s7, v15
	v_mov_b32_e32 v24, 0x7f80
	s_and_saveexec_b64 s[12:13], vcc
	s_cbranch_execz .LBB890_445
; %bb.444:
	v_and_b32_e32 v24, 7, v14
	v_ffbh_u32_e32 v26, v24
	v_min_u32_e32 v30, 32, v26
	v_subrev_u32_e32 v26, 28, v30
	v_lshlrev_b64 v[26:27], v26, v[14:15]
	v_lshrrev_b32_e32 v29, 3, v15
	v_sub_u32_e32 v27, 29, v30
	v_and_b32_e32 v26, 7, v26
	v_cmp_gt_u32_e32 vcc, 8, v15
	v_cndmask_b32_e32 v15, v29, v27, vcc
	v_cndmask_b32_e32 v24, v24, v26, vcc
	v_lshlrev_b32_e32 v14, 24, v14
	v_bfrev_b32_e32 v26, 60
	v_lshlrev_b32_e32 v24, 20, v24
	v_and_b32_e32 v14, 0x80000000, v14
	v_lshl_add_u32 v15, v15, 23, v26
	v_or3_b32 v14, v14, v15, v24
	v_lshrrev_b32_e32 v24, 16, v14
.LBB890_445:
	s_or_b64 exec, exec, s[12:13]
.LBB890_446:
	s_or_b64 exec, exec, s[10:11]
.LBB890_447:
	s_or_b64 exec, exec, s[8:9]
	s_mov_b32 s7, 0x5040100
	v_perm_b32 v15, v21, v22, s7
	v_lshl_or_b32 v22, v1, 9, v48
	v_perm_b32 v14, v19, v20, s7
	ds_read_b128 v[30:33], v22
	v_perm_b32 v19, v24, v25, s7
	v_perm_b32 v18, v18, v23, s7
	s_waitcnt lgkmcnt(0)
	v_mfma_f32_16x16x16bf16_1k v[34:37], v[14:15], v[30:31], 0
	v_mov_b32_e32 v15, 0
	v_cmp_ne_u16_sdwa s[10:11], v16, v15 src0_sel:BYTE_0 src1_sel:DWORD
	v_mov_b32_e32 v23, 0
	v_mfma_f32_16x16x16bf16_1k v[18:21], v[18:19], v[32:33], v[34:37]
	s_and_saveexec_b64 s[8:9], s[10:11]
	s_cbranch_execz .LBB890_453
; %bb.448:
	s_movk_i32 s7, 0x80
	v_cmp_ne_u16_sdwa s[12:13], v16, s7 src0_sel:BYTE_0 src1_sel:DWORD
	v_mov_b32_e32 v23, 0xffff8000
	s_and_saveexec_b64 s[10:11], s[12:13]
	s_cbranch_execz .LBB890_452
; %bb.449:
	s_movk_i32 s7, 0x7f
	v_and_b32_e32 v14, 0x7f, v16
	v_cmp_ne_u32_e32 vcc, s7, v14
	v_mov_b32_e32 v23, 0x7f80
	s_and_saveexec_b64 s[12:13], vcc
	s_cbranch_execz .LBB890_451
; %bb.450:
	v_and_b32_e32 v23, 7, v16
	v_ffbh_u32_e32 v24, v23
	v_min_u32_e32 v27, 32, v24
	v_subrev_u32_e32 v24, 28, v27
	v_lshlrev_b64 v[24:25], v24, v[16:17]
	v_lshrrev_b32_e32 v26, 3, v14
	v_sub_u32_e32 v25, 29, v27
	v_and_b32_e32 v24, 7, v24
	v_cmp_gt_u32_e32 vcc, 8, v14
	v_cndmask_b32_e32 v14, v26, v25, vcc
	v_cndmask_b32_e32 v23, v23, v24, vcc
	v_lshlrev_b32_e32 v24, 24, v16
	v_bfrev_b32_e32 v25, 60
	v_lshlrev_b32_e32 v23, 20, v23
	v_and_b32_e32 v24, 0x80000000, v24
	v_lshl_add_u32 v14, v14, 23, v25
	v_or3_b32 v14, v24, v14, v23
	v_lshrrev_b32_e32 v23, 16, v14
.LBB890_451:
	s_or_b64 exec, exec, s[12:13]
.LBB890_452:
	s_or_b64 exec, exec, s[10:11]
.LBB890_453:
	s_or_b64 exec, exec, s[8:9]
	v_lshrrev_b16_e32 v14, 8, v16
	v_cmp_ne_u16_e32 vcc, 0, v14
	s_and_saveexec_b64 s[8:9], vcc
	s_cbranch_execz .LBB890_459
; %bb.454:
	s_movk_i32 s7, 0x80
	v_cmp_ne_u16_e32 vcc, s7, v14
	v_mov_b32_e32 v15, 0xffff8000
	s_and_saveexec_b64 s[10:11], vcc
	s_cbranch_execz .LBB890_458
; %bb.455:
	s_movk_i32 s7, 0x7f
	v_and_b32_e32 v24, 0x7f, v14
	v_cmp_ne_u32_e32 vcc, s7, v24
	v_mov_b32_e32 v15, 0x7f80
	s_and_saveexec_b64 s[12:13], vcc
	s_cbranch_execz .LBB890_457
; %bb.456:
	v_and_b32_e32 v25, 7, v14
	v_ffbh_u32_e32 v15, v25
	v_min_u32_e32 v27, 32, v15
	v_subrev_u32_e32 v15, 28, v27
	v_lshlrev_b64 v[14:15], v15, v[14:15]
	v_lshrrev_b32_e32 v26, 3, v24
	v_sub_u32_e32 v15, 29, v27
	v_and_b32_e32 v14, 7, v14
	v_cmp_gt_u32_e32 vcc, 8, v24
	v_cndmask_b32_e32 v15, v26, v15, vcc
	v_cndmask_b32_e32 v14, v25, v14, vcc
	v_lshlrev_b32_e32 v24, 16, v16
	v_bfrev_b32_e32 v25, 60
	v_lshlrev_b32_e32 v14, 20, v14
	v_and_b32_e32 v24, 0x80000000, v24
	v_lshl_add_u32 v15, v15, 23, v25
	v_or3_b32 v14, v24, v15, v14
	v_lshrrev_b32_e32 v15, 16, v14
.LBB890_457:
	s_or_b64 exec, exec, s[12:13]
.LBB890_458:
	s_or_b64 exec, exec, s[10:11]
.LBB890_459:
	s_or_b64 exec, exec, s[8:9]
	s_movk_i32 s7, 0xff
	v_and_b32_sdwa v26, v16, s7 dst_sel:DWORD dst_unused:UNUSED_PAD src0_sel:WORD_1 src1_sel:DWORD
	v_lshrrev_b32_e32 v14, 16, v16
	v_cmp_ne_u16_e32 vcc, 0, v26
	v_mov_b32_e32 v24, 0
	v_mov_b32_e32 v25, 0
	s_and_saveexec_b64 s[8:9], vcc
	s_cbranch_execz .LBB890_465
; %bb.460:
	s_movk_i32 s7, 0x80
	v_cmp_ne_u16_e32 vcc, s7, v26
	v_mov_b32_e32 v25, 0xffff8000
	s_and_saveexec_b64 s[10:11], vcc
	s_cbranch_execz .LBB890_464
; %bb.461:
	v_bfe_u32 v26, v16, 16, 7
	s_movk_i32 s7, 0x7f
	v_cmp_ne_u32_e32 vcc, s7, v26
	v_mov_b32_e32 v25, 0x7f80
	s_and_saveexec_b64 s[12:13], vcc
	s_cbranch_execz .LBB890_463
; %bb.462:
	v_and_b32_e32 v25, 7, v14
	v_ffbh_u32_e32 v29, v25
	v_min_u32_e32 v29, 32, v29
	v_subrev_u32_e32 v30, 28, v29
	v_lshlrev_b64 v[30:31], v30, v[14:15]
	v_lshrrev_b32_e32 v27, 3, v26
	v_sub_u32_e32 v14, 29, v29
	v_and_b32_e32 v29, 7, v30
	v_cmp_gt_u32_e32 vcc, 8, v26
	v_mov_b32_e32 v26, 24
	v_cndmask_b32_e32 v14, v27, v14, vcc
	v_cndmask_b32_e32 v25, v25, v29, vcc
	v_lshlrev_b32_sdwa v26, v26, v16 dst_sel:DWORD dst_unused:UNUSED_PAD src0_sel:DWORD src1_sel:WORD_1
	v_bfrev_b32_e32 v27, 60
	v_lshlrev_b32_e32 v25, 20, v25
	v_and_b32_e32 v26, 0x80000000, v26
	v_lshl_add_u32 v14, v14, 23, v27
	v_or3_b32 v14, v26, v14, v25
	v_lshrrev_b32_e32 v25, 16, v14
.LBB890_463:
	s_or_b64 exec, exec, s[12:13]
.LBB890_464:
	s_or_b64 exec, exec, s[10:11]
.LBB890_465:
	s_or_b64 exec, exec, s[8:9]
	s_mov_b32 s7, 0xffffff
	v_cmp_lt_u32_e32 vcc, s7, v16
	s_and_saveexec_b64 s[8:9], vcc
	s_cbranch_execz .LBB890_471
; %bb.466:
	v_lshrrev_b32_e32 v14, 24, v16
	s_movk_i32 s7, 0x80
	v_cmp_ne_u32_e32 vcc, s7, v14
	v_mov_b32_e32 v24, 0xffff8000
	s_and_saveexec_b64 s[10:11], vcc
	s_cbranch_execz .LBB890_470
; %bb.467:
	v_bfe_u32 v16, v16, 24, 7
	s_movk_i32 s7, 0x7f
	v_cmp_ne_u32_e32 vcc, s7, v16
	v_mov_b32_e32 v24, 0x7f80
	s_and_saveexec_b64 s[12:13], vcc
	s_cbranch_execz .LBB890_469
; %bb.468:
	v_and_b32_e32 v24, 7, v14
	v_ffbh_u32_e32 v26, v24
	v_min_u32_e32 v30, 32, v26
	v_subrev_u32_e32 v26, 28, v30
	v_lshlrev_b64 v[26:27], v26, v[14:15]
	v_lshrrev_b32_e32 v29, 3, v16
	v_sub_u32_e32 v27, 29, v30
	v_and_b32_e32 v26, 7, v26
	v_cmp_gt_u32_e32 vcc, 8, v16
	v_cndmask_b32_e32 v16, v29, v27, vcc
	v_cndmask_b32_e32 v24, v24, v26, vcc
	v_lshlrev_b32_e32 v14, 24, v14
	v_bfrev_b32_e32 v26, 60
	v_lshlrev_b32_e32 v24, 20, v24
	v_and_b32_e32 v14, 0x80000000, v14
	v_lshl_add_u32 v16, v16, 23, v26
	v_or3_b32 v14, v14, v16, v24
	v_lshrrev_b32_e32 v24, 16, v14
.LBB890_469:
	s_or_b64 exec, exec, s[12:13]
.LBB890_470:
	s_or_b64 exec, exec, s[10:11]
.LBB890_471:
	s_or_b64 exec, exec, s[8:9]
	v_mov_b32_e32 v16, 0
	v_cmp_ne_u16_sdwa s[10:11], v17, v16 src0_sel:BYTE_0 src1_sel:DWORD
	v_mov_b32_e32 v26, 0
	s_and_saveexec_b64 s[8:9], s[10:11]
	s_cbranch_execz .LBB890_477
; %bb.472:
	s_movk_i32 s7, 0x80
	v_cmp_ne_u16_sdwa s[12:13], v17, s7 src0_sel:BYTE_0 src1_sel:DWORD
	v_mov_b32_e32 v26, 0xffff8000
	s_and_saveexec_b64 s[10:11], s[12:13]
	s_cbranch_execz .LBB890_476
; %bb.473:
	s_movk_i32 s7, 0x7f
	v_and_b32_e32 v14, 0x7f, v17
	v_cmp_ne_u32_e32 vcc, s7, v14
	v_mov_b32_e32 v26, 0x7f80
	s_and_saveexec_b64 s[12:13], vcc
	s_cbranch_execz .LBB890_475
; %bb.474:
	v_and_b32_e32 v29, 7, v17
	v_ffbh_u32_e32 v27, v29
	v_min_u32_e32 v31, 32, v27
	v_mov_b32_e32 v26, v17
	v_subrev_u32_e32 v27, 28, v31
	v_lshlrev_b64 v[26:27], v27, v[26:27]
	v_lshrrev_b32_e32 v30, 3, v14
	v_sub_u32_e32 v27, 29, v31
	v_and_b32_e32 v26, 7, v26
	v_cmp_gt_u32_e32 vcc, 8, v14
	v_cndmask_b32_e32 v14, v30, v27, vcc
	v_cndmask_b32_e32 v26, v29, v26, vcc
	v_lshlrev_b32_e32 v27, 24, v17
	v_bfrev_b32_e32 v29, 60
	v_lshlrev_b32_e32 v26, 20, v26
	v_and_b32_e32 v27, 0x80000000, v27
	v_lshl_add_u32 v14, v14, 23, v29
	v_or3_b32 v14, v27, v14, v26
	v_lshrrev_b32_e32 v26, 16, v14
.LBB890_475:
	s_or_b64 exec, exec, s[12:13]
.LBB890_476:
	s_or_b64 exec, exec, s[10:11]
.LBB890_477:
	s_or_b64 exec, exec, s[8:9]
	v_lshrrev_b16_e32 v14, 8, v17
	v_cmp_ne_u16_e32 vcc, 0, v14
	s_and_saveexec_b64 s[8:9], vcc
	s_cbranch_execz .LBB890_483
; %bb.478:
	s_movk_i32 s7, 0x80
	v_cmp_ne_u16_e32 vcc, s7, v14
	v_mov_b32_e32 v16, 0xffff8000
	s_and_saveexec_b64 s[10:11], vcc
	s_cbranch_execz .LBB890_482
; %bb.479:
	s_movk_i32 s7, 0x7f
	v_and_b32_e32 v27, 0x7f, v14
	v_cmp_ne_u32_e32 vcc, s7, v27
	v_mov_b32_e32 v16, 0x7f80
	s_and_saveexec_b64 s[12:13], vcc
	s_cbranch_execz .LBB890_481
; %bb.480:
	v_and_b32_e32 v16, 7, v14
	v_ffbh_u32_e32 v30, v16
	v_min_u32_e32 v32, 32, v30
	v_subrev_u32_e32 v30, 28, v32
	v_lshlrev_b64 v[30:31], v30, v[14:15]
	v_lshrrev_b32_e32 v29, 3, v27
	v_sub_u32_e32 v14, 29, v32
	v_and_b32_e32 v30, 7, v30
	v_cmp_gt_u32_e32 vcc, 8, v27
	v_cndmask_b32_e32 v14, v29, v14, vcc
	v_cndmask_b32_e32 v16, v16, v30, vcc
	v_lshlrev_b32_e32 v27, 16, v17
	v_bfrev_b32_e32 v29, 60
	v_lshlrev_b32_e32 v16, 20, v16
	v_and_b32_e32 v27, 0x80000000, v27
	v_lshl_add_u32 v14, v14, 23, v29
	v_or3_b32 v14, v27, v14, v16
	v_lshrrev_b32_e32 v16, 16, v14
.LBB890_481:
	s_or_b64 exec, exec, s[12:13]
.LBB890_482:
	s_or_b64 exec, exec, s[10:11]
.LBB890_483:
	s_or_b64 exec, exec, s[8:9]
	s_movk_i32 s7, 0xff
	v_and_b32_sdwa v30, v17, s7 dst_sel:DWORD dst_unused:UNUSED_PAD src0_sel:WORD_1 src1_sel:DWORD
	v_lshrrev_b32_e32 v14, 16, v17
	v_cmp_ne_u16_e32 vcc, 0, v30
	v_mov_b32_e32 v27, 0
	v_mov_b32_e32 v29, 0
	s_and_saveexec_b64 s[8:9], vcc
	s_cbranch_execz .LBB890_489
; %bb.484:
	s_movk_i32 s7, 0x80
	v_cmp_ne_u16_e32 vcc, s7, v30
	v_mov_b32_e32 v29, 0xffff8000
	s_and_saveexec_b64 s[10:11], vcc
	s_cbranch_execz .LBB890_488
; %bb.485:
	v_bfe_u32 v30, v17, 16, 7
	s_movk_i32 s7, 0x7f
	v_cmp_ne_u32_e32 vcc, s7, v30
	v_mov_b32_e32 v29, 0x7f80
	s_and_saveexec_b64 s[12:13], vcc
	s_cbranch_execz .LBB890_487
; %bb.486:
	v_and_b32_e32 v29, 7, v14
	v_ffbh_u32_e32 v32, v29
	v_min_u32_e32 v34, 32, v32
	v_subrev_u32_e32 v32, 28, v34
	v_lshlrev_b64 v[32:33], v32, v[14:15]
	v_lshrrev_b32_e32 v31, 3, v30
	v_sub_u32_e32 v14, 29, v34
	v_and_b32_e32 v32, 7, v32
	v_cmp_gt_u32_e32 vcc, 8, v30
	v_mov_b32_e32 v30, 24
	v_cndmask_b32_e32 v14, v31, v14, vcc
	v_cndmask_b32_e32 v29, v29, v32, vcc
	v_lshlrev_b32_sdwa v30, v30, v17 dst_sel:DWORD dst_unused:UNUSED_PAD src0_sel:DWORD src1_sel:WORD_1
	v_bfrev_b32_e32 v31, 60
	v_lshlrev_b32_e32 v29, 20, v29
	v_and_b32_e32 v30, 0x80000000, v30
	v_lshl_add_u32 v14, v14, 23, v31
	v_or3_b32 v14, v30, v14, v29
	v_lshrrev_b32_e32 v29, 16, v14
.LBB890_487:
	s_or_b64 exec, exec, s[12:13]
.LBB890_488:
	s_or_b64 exec, exec, s[10:11]
.LBB890_489:
	s_or_b64 exec, exec, s[8:9]
	s_mov_b32 s7, 0xffffff
	v_cmp_lt_u32_e32 vcc, s7, v17
	s_and_saveexec_b64 s[8:9], vcc
	s_cbranch_execz .LBB890_495
; %bb.490:
	v_lshrrev_b32_e32 v14, 24, v17
	s_movk_i32 s7, 0x80
	v_cmp_ne_u32_e32 vcc, s7, v14
	v_mov_b32_e32 v27, 0xffff8000
	s_and_saveexec_b64 s[10:11], vcc
	s_cbranch_execz .LBB890_494
; %bb.491:
	v_bfe_u32 v17, v17, 24, 7
	s_movk_i32 s7, 0x7f
	v_cmp_ne_u32_e32 vcc, s7, v17
	v_mov_b32_e32 v27, 0x7f80
	s_and_saveexec_b64 s[12:13], vcc
	s_cbranch_execz .LBB890_493
; %bb.492:
	v_and_b32_e32 v27, 7, v14
	v_ffbh_u32_e32 v30, v27
	v_min_u32_e32 v33, 32, v30
	v_subrev_u32_e32 v30, 28, v33
	v_lshlrev_b64 v[30:31], v30, v[14:15]
	v_lshrrev_b32_e32 v32, 3, v17
	v_sub_u32_e32 v31, 29, v33
	v_and_b32_e32 v30, 7, v30
	v_cmp_gt_u32_e32 vcc, 8, v17
	v_cndmask_b32_e32 v17, v32, v31, vcc
	v_cndmask_b32_e32 v27, v27, v30, vcc
	v_lshlrev_b32_e32 v14, 24, v14
	v_bfrev_b32_e32 v30, 60
	v_lshlrev_b32_e32 v27, 20, v27
	v_and_b32_e32 v14, 0x80000000, v14
	v_lshl_add_u32 v17, v17, 23, v30
	v_or3_b32 v14, v14, v17, v27
	v_lshrrev_b32_e32 v27, 16, v14
.LBB890_493:
	s_or_b64 exec, exec, s[12:13]
.LBB890_494:
	s_or_b64 exec, exec, s[10:11]
.LBB890_495:
	s_or_b64 exec, exec, s[8:9]
	s_mov_b32 s7, 0x5040100
	v_perm_b32 v25, v24, v25, s7
	v_perm_b32 v24, v15, v23, s7
	ds_read_b128 v[30:33], v22 offset:16
	v_perm_b32 v15, v27, v29, s7
	v_perm_b32 v14, v16, v26, s7
	s_waitcnt lgkmcnt(0)
	v_mfma_f32_16x16x16bf16_1k v[34:37], v[24:25], v[30:31], v[18:21]
	s_nop 6
	v_mov_b32_e32 v19, 0
	s_waitcnt vmcnt(2)
	v_cmp_ne_u16_sdwa s[10:11], v10, v19 src0_sel:BYTE_0 src1_sel:DWORD
	v_mfma_f32_16x16x16bf16_1k v[14:17], v[14:15], v[32:33], v[34:37]
	v_mov_b32_e32 v20, 0
	s_and_saveexec_b64 s[8:9], s[10:11]
	s_cbranch_execz .LBB890_501
; %bb.496:
	s_movk_i32 s7, 0x80
	v_cmp_ne_u16_sdwa s[12:13], v10, s7 src0_sel:BYTE_0 src1_sel:DWORD
	v_mov_b32_e32 v20, 0xffff8000
	s_and_saveexec_b64 s[10:11], s[12:13]
	s_cbranch_execz .LBB890_500
; %bb.497:
	s_movk_i32 s7, 0x7f
	v_and_b32_e32 v18, 0x7f, v10
	v_cmp_ne_u32_e32 vcc, s7, v18
	v_mov_b32_e32 v20, 0x7f80
	s_and_saveexec_b64 s[12:13], vcc
	s_cbranch_execz .LBB890_499
; %bb.498:
	v_and_b32_e32 v23, 7, v10
	v_ffbh_u32_e32 v20, v23
	v_min_u32_e32 v25, 32, v20
	v_subrev_u32_e32 v20, 28, v25
	v_lshlrev_b64 v[20:21], v20, v[10:11]
	v_lshrrev_b32_e32 v24, 3, v18
	v_sub_u32_e32 v21, 29, v25
	v_and_b32_e32 v20, 7, v20
	v_cmp_gt_u32_e32 vcc, 8, v18
	v_cndmask_b32_e32 v18, v24, v21, vcc
	v_cndmask_b32_e32 v20, v23, v20, vcc
	v_lshlrev_b32_e32 v21, 24, v10
	v_bfrev_b32_e32 v23, 60
	v_lshlrev_b32_e32 v20, 20, v20
	v_and_b32_e32 v21, 0x80000000, v21
	v_lshl_add_u32 v18, v18, 23, v23
	v_or3_b32 v18, v21, v18, v20
	v_lshrrev_b32_e32 v20, 16, v18
.LBB890_499:
	s_or_b64 exec, exec, s[12:13]
.LBB890_500:
	s_or_b64 exec, exec, s[10:11]
.LBB890_501:
	s_or_b64 exec, exec, s[8:9]
	v_lshrrev_b16_e32 v18, 8, v10
	v_cmp_ne_u16_e32 vcc, 0, v18
	s_and_saveexec_b64 s[8:9], vcc
	s_cbranch_execz .LBB890_507
; %bb.502:
	s_movk_i32 s7, 0x80
	v_cmp_ne_u16_e32 vcc, s7, v18
	v_mov_b32_e32 v19, 0xffff8000
	s_and_saveexec_b64 s[10:11], vcc
	s_cbranch_execz .LBB890_506
; %bb.503:
	s_movk_i32 s7, 0x7f
	v_and_b32_e32 v21, 0x7f, v18
	v_cmp_ne_u32_e32 vcc, s7, v21
	v_mov_b32_e32 v19, 0x7f80
	s_and_saveexec_b64 s[12:13], vcc
	s_cbranch_execz .LBB890_505
; %bb.504:
	v_and_b32_e32 v23, 7, v18
	v_ffbh_u32_e32 v19, v23
	v_min_u32_e32 v25, 32, v19
	v_subrev_u32_e32 v19, 28, v25
	v_lshlrev_b64 v[18:19], v19, v[18:19]
	v_lshrrev_b32_e32 v24, 3, v21
	v_sub_u32_e32 v19, 29, v25
	v_and_b32_e32 v18, 7, v18
	v_cmp_gt_u32_e32 vcc, 8, v21
	v_cndmask_b32_e32 v19, v24, v19, vcc
	v_cndmask_b32_e32 v18, v23, v18, vcc
	v_lshlrev_b32_e32 v21, 16, v10
	v_bfrev_b32_e32 v23, 60
	v_lshlrev_b32_e32 v18, 20, v18
	v_and_b32_e32 v21, 0x80000000, v21
	v_lshl_add_u32 v19, v19, 23, v23
	v_or3_b32 v18, v21, v19, v18
	v_lshrrev_b32_e32 v19, 16, v18
.LBB890_505:
	s_or_b64 exec, exec, s[12:13]
.LBB890_506:
	s_or_b64 exec, exec, s[10:11]
.LBB890_507:
	s_or_b64 exec, exec, s[8:9]
	s_movk_i32 s7, 0xff
	v_and_b32_sdwa v24, v10, s7 dst_sel:DWORD dst_unused:UNUSED_PAD src0_sel:WORD_1 src1_sel:DWORD
	v_lshrrev_b32_e32 v18, 16, v10
	v_cmp_ne_u16_e32 vcc, 0, v24
	v_mov_b32_e32 v21, 0
	v_mov_b32_e32 v23, 0
	s_and_saveexec_b64 s[8:9], vcc
	s_cbranch_execz .LBB890_513
; %bb.508:
	s_movk_i32 s7, 0x80
	v_cmp_ne_u16_e32 vcc, s7, v24
	v_mov_b32_e32 v23, 0xffff8000
	s_and_saveexec_b64 s[10:11], vcc
	s_cbranch_execz .LBB890_512
; %bb.509:
	v_bfe_u32 v24, v10, 16, 7
	s_movk_i32 s7, 0x7f
	v_cmp_ne_u32_e32 vcc, s7, v24
	v_mov_b32_e32 v23, 0x7f80
	s_and_saveexec_b64 s[12:13], vcc
	s_cbranch_execz .LBB890_511
; %bb.510:
	v_and_b32_e32 v23, 7, v18
	v_ffbh_u32_e32 v26, v23
	v_min_u32_e32 v29, 32, v26
	v_subrev_u32_e32 v26, 28, v29
	v_lshlrev_b64 v[26:27], v26, v[18:19]
	v_lshrrev_b32_e32 v25, 3, v24
	v_sub_u32_e32 v18, 29, v29
	v_and_b32_e32 v26, 7, v26
	v_cmp_gt_u32_e32 vcc, 8, v24
	v_mov_b32_e32 v24, 24
	v_cndmask_b32_e32 v18, v25, v18, vcc
	v_cndmask_b32_e32 v23, v23, v26, vcc
	v_lshlrev_b32_sdwa v24, v24, v10 dst_sel:DWORD dst_unused:UNUSED_PAD src0_sel:DWORD src1_sel:WORD_1
	v_bfrev_b32_e32 v25, 60
	v_lshlrev_b32_e32 v23, 20, v23
	v_and_b32_e32 v24, 0x80000000, v24
	v_lshl_add_u32 v18, v18, 23, v25
	v_or3_b32 v18, v24, v18, v23
	v_lshrrev_b32_e32 v23, 16, v18
.LBB890_511:
	s_or_b64 exec, exec, s[12:13]
.LBB890_512:
	s_or_b64 exec, exec, s[10:11]
.LBB890_513:
	s_or_b64 exec, exec, s[8:9]
	s_mov_b32 s7, 0xffffff
	v_cmp_lt_u32_e32 vcc, s7, v10
	s_and_saveexec_b64 s[8:9], vcc
	s_cbranch_execz .LBB890_519
; %bb.514:
	v_lshrrev_b32_e32 v18, 24, v10
	s_movk_i32 s7, 0x80
	v_cmp_ne_u32_e32 vcc, s7, v18
	v_mov_b32_e32 v21, 0xffff8000
	s_and_saveexec_b64 s[10:11], vcc
	s_cbranch_execz .LBB890_518
; %bb.515:
	v_bfe_u32 v10, v10, 24, 7
	s_movk_i32 s7, 0x7f
	v_cmp_ne_u32_e32 vcc, s7, v10
	v_mov_b32_e32 v21, 0x7f80
	s_and_saveexec_b64 s[12:13], vcc
	s_cbranch_execz .LBB890_517
; %bb.516:
	v_and_b32_e32 v21, 7, v18
	v_ffbh_u32_e32 v24, v21
	v_min_u32_e32 v27, 32, v24
	v_subrev_u32_e32 v24, 28, v27
	v_lshlrev_b64 v[24:25], v24, v[18:19]
	v_lshrrev_b32_e32 v26, 3, v10
	v_sub_u32_e32 v25, 29, v27
	v_and_b32_e32 v24, 7, v24
	v_cmp_gt_u32_e32 vcc, 8, v10
	v_cndmask_b32_e32 v10, v26, v25, vcc
	v_cndmask_b32_e32 v21, v21, v24, vcc
	v_lshlrev_b32_e32 v18, 24, v18
	v_bfrev_b32_e32 v24, 60
	v_lshlrev_b32_e32 v21, 20, v21
	v_and_b32_e32 v18, 0x80000000, v18
	v_lshl_add_u32 v10, v10, 23, v24
	v_or3_b32 v10, v18, v10, v21
	v_lshrrev_b32_e32 v21, 16, v10
.LBB890_517:
	s_or_b64 exec, exec, s[12:13]
.LBB890_518:
	s_or_b64 exec, exec, s[10:11]
.LBB890_519:
	s_or_b64 exec, exec, s[8:9]
	v_mov_b32_e32 v18, 0
	v_cmp_ne_u16_sdwa s[10:11], v11, v18 src0_sel:BYTE_0 src1_sel:DWORD
	v_mov_b32_e32 v24, 0
	s_and_saveexec_b64 s[8:9], s[10:11]
	s_cbranch_execz .LBB890_525
; %bb.520:
	s_movk_i32 s7, 0x80
	v_cmp_ne_u16_sdwa s[12:13], v11, s7 src0_sel:BYTE_0 src1_sel:DWORD
	v_mov_b32_e32 v24, 0xffff8000
	s_and_saveexec_b64 s[10:11], s[12:13]
	s_cbranch_execz .LBB890_524
; %bb.521:
	s_movk_i32 s7, 0x7f
	v_and_b32_e32 v10, 0x7f, v11
	v_cmp_ne_u32_e32 vcc, s7, v10
	v_mov_b32_e32 v24, 0x7f80
	s_and_saveexec_b64 s[12:13], vcc
	s_cbranch_execz .LBB890_523
; %bb.522:
	v_and_b32_e32 v26, 7, v11
	v_ffbh_u32_e32 v25, v26
	v_min_u32_e32 v29, 32, v25
	v_mov_b32_e32 v24, v11
	v_subrev_u32_e32 v25, 28, v29
	v_lshlrev_b64 v[24:25], v25, v[24:25]
	v_lshrrev_b32_e32 v27, 3, v10
	v_sub_u32_e32 v25, 29, v29
	v_and_b32_e32 v24, 7, v24
	v_cmp_gt_u32_e32 vcc, 8, v10
	v_cndmask_b32_e32 v10, v27, v25, vcc
	v_cndmask_b32_e32 v24, v26, v24, vcc
	v_lshlrev_b32_e32 v25, 24, v11
	v_bfrev_b32_e32 v26, 60
	v_lshlrev_b32_e32 v24, 20, v24
	v_and_b32_e32 v25, 0x80000000, v25
	v_lshl_add_u32 v10, v10, 23, v26
	v_or3_b32 v10, v25, v10, v24
	v_lshrrev_b32_e32 v24, 16, v10
.LBB890_523:
	s_or_b64 exec, exec, s[12:13]
.LBB890_524:
	s_or_b64 exec, exec, s[10:11]
.LBB890_525:
	s_or_b64 exec, exec, s[8:9]
	v_lshrrev_b16_e32 v10, 8, v11
	v_cmp_ne_u16_e32 vcc, 0, v10
	s_and_saveexec_b64 s[8:9], vcc
	s_cbranch_execz .LBB890_531
; %bb.526:
	s_movk_i32 s7, 0x80
	v_cmp_ne_u16_e32 vcc, s7, v10
	v_mov_b32_e32 v18, 0xffff8000
	s_and_saveexec_b64 s[10:11], vcc
	s_cbranch_execz .LBB890_530
; %bb.527:
	s_movk_i32 s7, 0x7f
	v_and_b32_e32 v25, 0x7f, v10
	v_cmp_ne_u32_e32 vcc, s7, v25
	v_mov_b32_e32 v18, 0x7f80
	s_and_saveexec_b64 s[12:13], vcc
	s_cbranch_execz .LBB890_529
; %bb.528:
	v_and_b32_e32 v18, 7, v10
	v_ffbh_u32_e32 v26, v18
	v_min_u32_e32 v30, 32, v26
	v_subrev_u32_e32 v26, 28, v30
	v_lshlrev_b64 v[26:27], v26, v[10:11]
	v_lshrrev_b32_e32 v29, 3, v25
	v_sub_u32_e32 v10, 29, v30
	v_and_b32_e32 v26, 7, v26
	v_cmp_gt_u32_e32 vcc, 8, v25
	v_cndmask_b32_e32 v10, v29, v10, vcc
	v_cndmask_b32_e32 v18, v18, v26, vcc
	v_lshlrev_b32_e32 v25, 16, v11
	v_bfrev_b32_e32 v26, 60
	v_lshlrev_b32_e32 v18, 20, v18
	v_and_b32_e32 v25, 0x80000000, v25
	v_lshl_add_u32 v10, v10, 23, v26
	v_or3_b32 v10, v25, v10, v18
	v_lshrrev_b32_e32 v18, 16, v10
.LBB890_529:
	s_or_b64 exec, exec, s[12:13]
.LBB890_530:
	s_or_b64 exec, exec, s[10:11]
.LBB890_531:
	s_or_b64 exec, exec, s[8:9]
	s_movk_i32 s7, 0xff
	v_and_b32_sdwa v27, v11, s7 dst_sel:DWORD dst_unused:UNUSED_PAD src0_sel:WORD_1 src1_sel:DWORD
	v_lshrrev_b32_e32 v10, 16, v11
	v_cmp_ne_u16_e32 vcc, 0, v27
	v_mov_b32_e32 v25, 0
	v_mov_b32_e32 v26, 0
	s_and_saveexec_b64 s[8:9], vcc
	s_cbranch_execz .LBB890_537
; %bb.532:
	s_movk_i32 s7, 0x80
	v_cmp_ne_u16_e32 vcc, s7, v27
	v_mov_b32_e32 v26, 0xffff8000
	s_and_saveexec_b64 s[10:11], vcc
	s_cbranch_execz .LBB890_536
; %bb.533:
	v_bfe_u32 v27, v11, 16, 7
	s_movk_i32 s7, 0x7f
	v_cmp_ne_u32_e32 vcc, s7, v27
	v_mov_b32_e32 v26, 0x7f80
	s_and_saveexec_b64 s[12:13], vcc
	s_cbranch_execz .LBB890_535
; %bb.534:
	v_and_b32_e32 v26, 7, v10
	v_ffbh_u32_e32 v30, v26
	v_min_u32_e32 v32, 32, v30
	v_subrev_u32_e32 v30, 28, v32
	v_lshlrev_b64 v[30:31], v30, v[10:11]
	v_lshrrev_b32_e32 v29, 3, v27
	v_sub_u32_e32 v10, 29, v32
	v_and_b32_e32 v30, 7, v30
	v_cmp_gt_u32_e32 vcc, 8, v27
	v_mov_b32_e32 v27, 24
	v_cndmask_b32_e32 v10, v29, v10, vcc
	v_cndmask_b32_e32 v26, v26, v30, vcc
	v_lshlrev_b32_sdwa v27, v27, v11 dst_sel:DWORD dst_unused:UNUSED_PAD src0_sel:DWORD src1_sel:WORD_1
	v_bfrev_b32_e32 v29, 60
	v_lshlrev_b32_e32 v26, 20, v26
	v_and_b32_e32 v27, 0x80000000, v27
	v_lshl_add_u32 v10, v10, 23, v29
	v_or3_b32 v10, v27, v10, v26
	v_lshrrev_b32_e32 v26, 16, v10
.LBB890_535:
	s_or_b64 exec, exec, s[12:13]
.LBB890_536:
	s_or_b64 exec, exec, s[10:11]
.LBB890_537:
	s_or_b64 exec, exec, s[8:9]
	s_mov_b32 s7, 0xffffff
	v_cmp_lt_u32_e32 vcc, s7, v11
	s_and_saveexec_b64 s[8:9], vcc
	s_cbranch_execz .LBB890_543
; %bb.538:
	v_lshrrev_b32_e32 v10, 24, v11
	s_movk_i32 s7, 0x80
	v_cmp_ne_u32_e32 vcc, s7, v10
	v_mov_b32_e32 v25, 0xffff8000
	s_and_saveexec_b64 s[10:11], vcc
	s_cbranch_execz .LBB890_542
; %bb.539:
	v_bfe_u32 v11, v11, 24, 7
	s_movk_i32 s7, 0x7f
	v_cmp_ne_u32_e32 vcc, s7, v11
	v_mov_b32_e32 v25, 0x7f80
	s_and_saveexec_b64 s[12:13], vcc
	s_cbranch_execz .LBB890_541
; %bb.540:
	v_and_b32_e32 v25, 7, v10
	v_ffbh_u32_e32 v29, v25
	v_min_u32_e32 v29, 32, v29
	v_subrev_u32_e32 v30, 28, v29
	v_lshlrev_b64 v[30:31], v30, v[10:11]
	v_lshrrev_b32_e32 v27, 3, v11
	v_sub_u32_e32 v29, 29, v29
	v_and_b32_e32 v30, 7, v30
	v_cmp_gt_u32_e32 vcc, 8, v11
	v_cndmask_b32_e32 v11, v27, v29, vcc
	v_cndmask_b32_e32 v25, v25, v30, vcc
	v_lshlrev_b32_e32 v10, 24, v10
	v_bfrev_b32_e32 v27, 60
	v_lshlrev_b32_e32 v25, 20, v25
	v_and_b32_e32 v10, 0x80000000, v10
	v_lshl_add_u32 v11, v11, 23, v27
	v_or3_b32 v10, v10, v11, v25
	v_lshrrev_b32_e32 v25, 16, v10
.LBB890_541:
	s_or_b64 exec, exec, s[12:13]
.LBB890_542:
	s_or_b64 exec, exec, s[10:11]
.LBB890_543:
	s_or_b64 exec, exec, s[8:9]
	s_mov_b32 s7, 0x5040100
	v_perm_b32 v11, v21, v23, s7
	v_perm_b32 v10, v19, v20, s7
	ds_read_b128 v[30:33], v22 offset:2048
	v_perm_b32 v21, v25, v26, s7
	v_perm_b32 v20, v18, v24, s7
	s_waitcnt lgkmcnt(0)
	v_mfma_f32_16x16x16bf16_1k v[14:17], v[10:11], v[30:31], v[14:17]
	v_mov_b32_e32 v11, 0
	v_cmp_ne_u16_sdwa s[10:11], v12, v11 src0_sel:BYTE_0 src1_sel:DWORD
	v_mov_b32_e32 v18, 0
	v_mfma_f32_16x16x16bf16_1k v[14:17], v[20:21], v[32:33], v[14:17]
	s_and_saveexec_b64 s[8:9], s[10:11]
	s_cbranch_execz .LBB890_549
; %bb.544:
	s_movk_i32 s7, 0x80
	v_cmp_ne_u16_sdwa s[12:13], v12, s7 src0_sel:BYTE_0 src1_sel:DWORD
	v_mov_b32_e32 v18, 0xffff8000
	s_and_saveexec_b64 s[10:11], s[12:13]
	s_cbranch_execz .LBB890_548
; %bb.545:
	s_movk_i32 s7, 0x7f
	v_and_b32_e32 v10, 0x7f, v12
	v_cmp_ne_u32_e32 vcc, s7, v10
	v_mov_b32_e32 v18, 0x7f80
	s_and_saveexec_b64 s[12:13], vcc
	s_cbranch_execz .LBB890_547
; %bb.546:
	v_and_b32_e32 v20, 7, v12
	v_ffbh_u32_e32 v18, v20
	v_min_u32_e32 v23, 32, v18
	v_subrev_u32_e32 v18, 28, v23
	v_lshlrev_b64 v[18:19], v18, v[12:13]
	v_lshrrev_b32_e32 v21, 3, v10
	v_sub_u32_e32 v19, 29, v23
	v_and_b32_e32 v18, 7, v18
	v_cmp_gt_u32_e32 vcc, 8, v10
	v_cndmask_b32_e32 v10, v21, v19, vcc
	v_cndmask_b32_e32 v18, v20, v18, vcc
	v_lshlrev_b32_e32 v19, 24, v12
	v_bfrev_b32_e32 v20, 60
	v_lshlrev_b32_e32 v18, 20, v18
	v_and_b32_e32 v19, 0x80000000, v19
	v_lshl_add_u32 v10, v10, 23, v20
	v_or3_b32 v10, v19, v10, v18
	v_lshrrev_b32_e32 v18, 16, v10
.LBB890_547:
	s_or_b64 exec, exec, s[12:13]
.LBB890_548:
	s_or_b64 exec, exec, s[10:11]
.LBB890_549:
	s_or_b64 exec, exec, s[8:9]
	v_lshrrev_b16_e32 v10, 8, v12
	v_cmp_ne_u16_e32 vcc, 0, v10
	s_and_saveexec_b64 s[8:9], vcc
	s_cbranch_execz .LBB890_555
; %bb.550:
	s_movk_i32 s7, 0x80
	v_cmp_ne_u16_e32 vcc, s7, v10
	v_mov_b32_e32 v11, 0xffff8000
	s_and_saveexec_b64 s[10:11], vcc
	s_cbranch_execz .LBB890_554
; %bb.551:
	s_movk_i32 s7, 0x7f
	v_and_b32_e32 v19, 0x7f, v10
	v_cmp_ne_u32_e32 vcc, s7, v19
	v_mov_b32_e32 v11, 0x7f80
	s_and_saveexec_b64 s[12:13], vcc
	s_cbranch_execz .LBB890_553
; %bb.552:
	v_and_b32_e32 v20, 7, v10
	v_ffbh_u32_e32 v11, v20
	v_min_u32_e32 v23, 32, v11
	v_subrev_u32_e32 v11, 28, v23
	v_lshlrev_b64 v[10:11], v11, v[10:11]
	v_lshrrev_b32_e32 v21, 3, v19
	v_sub_u32_e32 v11, 29, v23
	v_and_b32_e32 v10, 7, v10
	v_cmp_gt_u32_e32 vcc, 8, v19
	v_cndmask_b32_e32 v11, v21, v11, vcc
	v_cndmask_b32_e32 v10, v20, v10, vcc
	v_lshlrev_b32_e32 v19, 16, v12
	v_bfrev_b32_e32 v20, 60
	v_lshlrev_b32_e32 v10, 20, v10
	v_and_b32_e32 v19, 0x80000000, v19
	v_lshl_add_u32 v11, v11, 23, v20
	v_or3_b32 v10, v19, v11, v10
	v_lshrrev_b32_e32 v11, 16, v10
.LBB890_553:
	s_or_b64 exec, exec, s[12:13]
.LBB890_554:
	s_or_b64 exec, exec, s[10:11]
.LBB890_555:
	s_or_b64 exec, exec, s[8:9]
	s_movk_i32 s7, 0xff
	v_and_b32_sdwa v21, v12, s7 dst_sel:DWORD dst_unused:UNUSED_PAD src0_sel:WORD_1 src1_sel:DWORD
	v_lshrrev_b32_e32 v10, 16, v12
	v_cmp_ne_u16_e32 vcc, 0, v21
	v_mov_b32_e32 v19, 0
	v_mov_b32_e32 v20, 0
	s_and_saveexec_b64 s[8:9], vcc
	s_cbranch_execz .LBB890_561
; %bb.556:
	s_movk_i32 s7, 0x80
	v_cmp_ne_u16_e32 vcc, s7, v21
	v_mov_b32_e32 v20, 0xffff8000
	s_and_saveexec_b64 s[10:11], vcc
	s_cbranch_execz .LBB890_560
; %bb.557:
	v_bfe_u32 v21, v12, 16, 7
	s_movk_i32 s7, 0x7f
	v_cmp_ne_u32_e32 vcc, s7, v21
	v_mov_b32_e32 v20, 0x7f80
	s_and_saveexec_b64 s[12:13], vcc
	s_cbranch_execz .LBB890_559
; %bb.558:
	v_and_b32_e32 v20, 7, v10
	v_ffbh_u32_e32 v24, v20
	v_min_u32_e32 v26, 32, v24
	v_subrev_u32_e32 v24, 28, v26
	v_lshlrev_b64 v[24:25], v24, v[10:11]
	v_lshrrev_b32_e32 v23, 3, v21
	v_sub_u32_e32 v10, 29, v26
	v_and_b32_e32 v24, 7, v24
	v_cmp_gt_u32_e32 vcc, 8, v21
	v_mov_b32_e32 v21, 24
	v_cndmask_b32_e32 v10, v23, v10, vcc
	v_cndmask_b32_e32 v20, v20, v24, vcc
	v_lshlrev_b32_sdwa v21, v21, v12 dst_sel:DWORD dst_unused:UNUSED_PAD src0_sel:DWORD src1_sel:WORD_1
	v_bfrev_b32_e32 v23, 60
	v_lshlrev_b32_e32 v20, 20, v20
	v_and_b32_e32 v21, 0x80000000, v21
	v_lshl_add_u32 v10, v10, 23, v23
	v_or3_b32 v10, v21, v10, v20
	v_lshrrev_b32_e32 v20, 16, v10
.LBB890_559:
	s_or_b64 exec, exec, s[12:13]
.LBB890_560:
	s_or_b64 exec, exec, s[10:11]
.LBB890_561:
	s_or_b64 exec, exec, s[8:9]
	s_mov_b32 s7, 0xffffff
	v_cmp_lt_u32_e32 vcc, s7, v12
	s_and_saveexec_b64 s[8:9], vcc
	s_cbranch_execz .LBB890_567
; %bb.562:
	v_lshrrev_b32_e32 v10, 24, v12
	s_movk_i32 s7, 0x80
	v_cmp_ne_u32_e32 vcc, s7, v10
	v_mov_b32_e32 v19, 0xffff8000
	s_and_saveexec_b64 s[10:11], vcc
	s_cbranch_execz .LBB890_566
; %bb.563:
	v_bfe_u32 v12, v12, 24, 7
	s_movk_i32 s7, 0x7f
	v_cmp_ne_u32_e32 vcc, s7, v12
	v_mov_b32_e32 v19, 0x7f80
	s_and_saveexec_b64 s[12:13], vcc
	s_cbranch_execz .LBB890_565
; %bb.564:
	v_and_b32_e32 v19, 7, v10
	v_ffbh_u32_e32 v23, v19
	v_min_u32_e32 v23, 32, v23
	v_subrev_u32_e32 v24, 28, v23
	v_lshlrev_b64 v[24:25], v24, v[10:11]
	v_lshrrev_b32_e32 v21, 3, v12
	v_sub_u32_e32 v23, 29, v23
	v_and_b32_e32 v24, 7, v24
	v_cmp_gt_u32_e32 vcc, 8, v12
	v_cndmask_b32_e32 v12, v21, v23, vcc
	v_cndmask_b32_e32 v19, v19, v24, vcc
	v_lshlrev_b32_e32 v10, 24, v10
	v_bfrev_b32_e32 v21, 60
	v_lshlrev_b32_e32 v19, 20, v19
	v_and_b32_e32 v10, 0x80000000, v10
	v_lshl_add_u32 v12, v12, 23, v21
	v_or3_b32 v10, v10, v12, v19
	v_lshrrev_b32_e32 v19, 16, v10
.LBB890_565:
	s_or_b64 exec, exec, s[12:13]
.LBB890_566:
	s_or_b64 exec, exec, s[10:11]
.LBB890_567:
	s_or_b64 exec, exec, s[8:9]
	v_mov_b32_e32 v12, 0
	v_cmp_ne_u16_sdwa s[10:11], v13, v12 src0_sel:BYTE_0 src1_sel:DWORD
	v_mov_b32_e32 v21, 0
	s_and_saveexec_b64 s[8:9], s[10:11]
	s_cbranch_execz .LBB890_573
; %bb.568:
	s_movk_i32 s7, 0x80
	v_cmp_ne_u16_sdwa s[12:13], v13, s7 src0_sel:BYTE_0 src1_sel:DWORD
	v_mov_b32_e32 v21, 0xffff8000
	s_and_saveexec_b64 s[10:11], s[12:13]
	s_cbranch_execz .LBB890_572
; %bb.569:
	s_movk_i32 s7, 0x7f
	v_and_b32_e32 v10, 0x7f, v13
	v_cmp_ne_u32_e32 vcc, s7, v10
	v_mov_b32_e32 v21, 0x7f80
	s_and_saveexec_b64 s[12:13], vcc
	s_cbranch_execz .LBB890_571
; %bb.570:
	v_and_b32_e32 v21, 7, v13
	v_ffbh_u32_e32 v25, v21
	v_min_u32_e32 v26, 32, v25
	v_mov_b32_e32 v24, v13
	v_subrev_u32_e32 v25, 28, v26
	v_lshlrev_b64 v[24:25], v25, v[24:25]
	v_lshrrev_b32_e32 v23, 3, v10
	v_sub_u32_e32 v25, 29, v26
	v_and_b32_e32 v24, 7, v24
	v_cmp_gt_u32_e32 vcc, 8, v10
	v_cndmask_b32_e32 v10, v23, v25, vcc
	v_cndmask_b32_e32 v21, v21, v24, vcc
	v_lshlrev_b32_e32 v23, 24, v13
	v_bfrev_b32_e32 v24, 60
	v_lshlrev_b32_e32 v21, 20, v21
	v_and_b32_e32 v23, 0x80000000, v23
	v_lshl_add_u32 v10, v10, 23, v24
	v_or3_b32 v10, v23, v10, v21
	v_lshrrev_b32_e32 v21, 16, v10
.LBB890_571:
	s_or_b64 exec, exec, s[12:13]
.LBB890_572:
	s_or_b64 exec, exec, s[10:11]
.LBB890_573:
	s_or_b64 exec, exec, s[8:9]
	v_lshrrev_b16_e32 v10, 8, v13
	v_cmp_ne_u16_e32 vcc, 0, v10
	s_and_saveexec_b64 s[8:9], vcc
	s_cbranch_execz .LBB890_579
; %bb.574:
	s_movk_i32 s7, 0x80
	v_cmp_ne_u16_e32 vcc, s7, v10
	v_mov_b32_e32 v12, 0xffff8000
	s_and_saveexec_b64 s[10:11], vcc
	s_cbranch_execz .LBB890_578
; %bb.575:
	s_movk_i32 s7, 0x7f
	v_and_b32_e32 v23, 0x7f, v10
	v_cmp_ne_u32_e32 vcc, s7, v23
	v_mov_b32_e32 v12, 0x7f80
	s_and_saveexec_b64 s[12:13], vcc
	s_cbranch_execz .LBB890_577
; %bb.576:
	v_and_b32_e32 v12, 7, v10
	v_ffbh_u32_e32 v24, v12
	v_min_u32_e32 v27, 32, v24
	v_subrev_u32_e32 v24, 28, v27
	v_lshlrev_b64 v[24:25], v24, v[10:11]
	v_lshrrev_b32_e32 v26, 3, v23
	v_sub_u32_e32 v10, 29, v27
	v_and_b32_e32 v24, 7, v24
	v_cmp_gt_u32_e32 vcc, 8, v23
	v_cndmask_b32_e32 v10, v26, v10, vcc
	v_cndmask_b32_e32 v12, v12, v24, vcc
	v_lshlrev_b32_e32 v23, 16, v13
	v_bfrev_b32_e32 v24, 60
	v_lshlrev_b32_e32 v12, 20, v12
	v_and_b32_e32 v23, 0x80000000, v23
	v_lshl_add_u32 v10, v10, 23, v24
	v_or3_b32 v10, v23, v10, v12
	v_lshrrev_b32_e32 v12, 16, v10
.LBB890_577:
	s_or_b64 exec, exec, s[12:13]
.LBB890_578:
	s_or_b64 exec, exec, s[10:11]
.LBB890_579:
	s_or_b64 exec, exec, s[8:9]
	s_movk_i32 s7, 0xff
	v_and_b32_sdwa v25, v13, s7 dst_sel:DWORD dst_unused:UNUSED_PAD src0_sel:WORD_1 src1_sel:DWORD
	v_lshrrev_b32_e32 v10, 16, v13
	v_cmp_ne_u16_e32 vcc, 0, v25
	v_mov_b32_e32 v23, 0
	v_mov_b32_e32 v24, 0
	s_and_saveexec_b64 s[8:9], vcc
	s_cbranch_execz .LBB890_585
; %bb.580:
	s_movk_i32 s7, 0x80
	v_cmp_ne_u16_e32 vcc, s7, v25
	v_mov_b32_e32 v24, 0xffff8000
	s_and_saveexec_b64 s[10:11], vcc
	s_cbranch_execz .LBB890_584
; %bb.581:
	v_bfe_u32 v25, v13, 16, 7
	s_movk_i32 s7, 0x7f
	v_cmp_ne_u32_e32 vcc, s7, v25
	v_mov_b32_e32 v24, 0x7f80
	s_and_saveexec_b64 s[12:13], vcc
	s_cbranch_execz .LBB890_583
; %bb.582:
	v_and_b32_e32 v24, 7, v10
	v_ffbh_u32_e32 v26, v24
	v_min_u32_e32 v30, 32, v26
	v_subrev_u32_e32 v26, 28, v30
	v_lshlrev_b64 v[26:27], v26, v[10:11]
	v_lshrrev_b32_e32 v29, 3, v25
	v_sub_u32_e32 v10, 29, v30
	v_and_b32_e32 v26, 7, v26
	v_cmp_gt_u32_e32 vcc, 8, v25
	v_mov_b32_e32 v25, 24
	v_cndmask_b32_e32 v10, v29, v10, vcc
	v_cndmask_b32_e32 v24, v24, v26, vcc
	v_lshlrev_b32_sdwa v25, v25, v13 dst_sel:DWORD dst_unused:UNUSED_PAD src0_sel:DWORD src1_sel:WORD_1
	v_bfrev_b32_e32 v26, 60
	v_lshlrev_b32_e32 v24, 20, v24
	v_and_b32_e32 v25, 0x80000000, v25
	v_lshl_add_u32 v10, v10, 23, v26
	v_or3_b32 v10, v25, v10, v24
	v_lshrrev_b32_e32 v24, 16, v10
.LBB890_583:
	s_or_b64 exec, exec, s[12:13]
.LBB890_584:
	s_or_b64 exec, exec, s[10:11]
.LBB890_585:
	s_or_b64 exec, exec, s[8:9]
	s_mov_b32 s7, 0xffffff
	v_cmp_lt_u32_e32 vcc, s7, v13
	s_and_saveexec_b64 s[8:9], vcc
	s_cbranch_execz .LBB890_591
; %bb.586:
	v_lshrrev_b32_e32 v10, 24, v13
	s_movk_i32 s7, 0x80
	v_cmp_ne_u32_e32 vcc, s7, v10
	v_mov_b32_e32 v23, 0xffff8000
	s_and_saveexec_b64 s[10:11], vcc
	s_cbranch_execz .LBB890_590
; %bb.587:
	v_bfe_u32 v13, v13, 24, 7
	s_movk_i32 s7, 0x7f
	v_cmp_ne_u32_e32 vcc, s7, v13
	v_mov_b32_e32 v23, 0x7f80
	s_and_saveexec_b64 s[12:13], vcc
	s_cbranch_execz .LBB890_589
; %bb.588:
	v_and_b32_e32 v23, 7, v10
	v_ffbh_u32_e32 v26, v23
	v_min_u32_e32 v29, 32, v26
	v_subrev_u32_e32 v26, 28, v29
	v_lshlrev_b64 v[26:27], v26, v[10:11]
	v_lshrrev_b32_e32 v25, 3, v13
	v_sub_u32_e32 v27, 29, v29
	v_and_b32_e32 v26, 7, v26
	v_cmp_gt_u32_e32 vcc, 8, v13
	v_cndmask_b32_e32 v13, v25, v27, vcc
	v_cndmask_b32_e32 v23, v23, v26, vcc
	v_lshlrev_b32_e32 v10, 24, v10
	v_bfrev_b32_e32 v25, 60
	v_lshlrev_b32_e32 v23, 20, v23
	v_and_b32_e32 v10, 0x80000000, v10
	v_lshl_add_u32 v13, v13, 23, v25
	v_or3_b32 v10, v10, v13, v23
	v_lshrrev_b32_e32 v23, 16, v10
.LBB890_589:
	s_or_b64 exec, exec, s[12:13]
.LBB890_590:
	s_or_b64 exec, exec, s[10:11]
.LBB890_591:
	s_or_b64 exec, exec, s[8:9]
	s_mov_b32 s7, 0x5040100
	v_perm_b32 v19, v19, v20, s7
	v_perm_b32 v18, v11, v18, s7
	ds_read_b128 v[30:33], v22 offset:2064
	v_perm_b32 v11, v23, v24, s7
	v_perm_b32 v10, v12, v21, s7
	s_waitcnt lgkmcnt(0)
	v_mfma_f32_16x16x16bf16_1k v[34:37], v[18:19], v[30:31], v[14:17]
	s_nop 6
	v_mov_b32_e32 v15, 0
	s_waitcnt vmcnt(1)
	v_cmp_ne_u16_sdwa s[10:11], v6, v15 src0_sel:BYTE_0 src1_sel:DWORD
	v_mfma_f32_16x16x16bf16_1k v[10:13], v[10:11], v[32:33], v[34:37]
	v_mov_b32_e32 v16, 0
	s_and_saveexec_b64 s[8:9], s[10:11]
	s_cbranch_execz .LBB890_597
; %bb.592:
	s_movk_i32 s7, 0x80
	v_cmp_ne_u16_sdwa s[12:13], v6, s7 src0_sel:BYTE_0 src1_sel:DWORD
	v_mov_b32_e32 v16, 0xffff8000
	s_and_saveexec_b64 s[10:11], s[12:13]
	s_cbranch_execz .LBB890_596
; %bb.593:
	s_movk_i32 s7, 0x7f
	v_and_b32_e32 v14, 0x7f, v6
	v_cmp_ne_u32_e32 vcc, s7, v14
	v_mov_b32_e32 v16, 0x7f80
	s_and_saveexec_b64 s[12:13], vcc
	s_cbranch_execz .LBB890_595
; %bb.594:
	v_and_b32_e32 v18, 7, v6
	v_ffbh_u32_e32 v16, v18
	v_min_u32_e32 v20, 32, v16
	v_subrev_u32_e32 v16, 28, v20
	v_lshlrev_b64 v[16:17], v16, v[6:7]
	v_lshrrev_b32_e32 v19, 3, v14
	v_sub_u32_e32 v17, 29, v20
	v_and_b32_e32 v16, 7, v16
	v_cmp_gt_u32_e32 vcc, 8, v14
	v_cndmask_b32_e32 v14, v19, v17, vcc
	v_cndmask_b32_e32 v16, v18, v16, vcc
	v_lshlrev_b32_e32 v17, 24, v6
	v_bfrev_b32_e32 v18, 60
	v_lshlrev_b32_e32 v16, 20, v16
	v_and_b32_e32 v17, 0x80000000, v17
	v_lshl_add_u32 v14, v14, 23, v18
	v_or3_b32 v14, v17, v14, v16
	v_lshrrev_b32_e32 v16, 16, v14
.LBB890_595:
	s_or_b64 exec, exec, s[12:13]
.LBB890_596:
	s_or_b64 exec, exec, s[10:11]
.LBB890_597:
	s_or_b64 exec, exec, s[8:9]
	v_lshrrev_b16_e32 v14, 8, v6
	v_cmp_ne_u16_e32 vcc, 0, v14
	s_and_saveexec_b64 s[8:9], vcc
	s_cbranch_execz .LBB890_603
; %bb.598:
	s_movk_i32 s7, 0x80
	v_cmp_ne_u16_e32 vcc, s7, v14
	v_mov_b32_e32 v15, 0xffff8000
	s_and_saveexec_b64 s[10:11], vcc
	s_cbranch_execz .LBB890_602
; %bb.599:
	s_movk_i32 s7, 0x7f
	v_and_b32_e32 v17, 0x7f, v14
	v_cmp_ne_u32_e32 vcc, s7, v17
	v_mov_b32_e32 v15, 0x7f80
	s_and_saveexec_b64 s[12:13], vcc
	s_cbranch_execz .LBB890_601
; %bb.600:
	v_and_b32_e32 v18, 7, v14
	v_ffbh_u32_e32 v15, v18
	v_min_u32_e32 v20, 32, v15
	v_subrev_u32_e32 v15, 28, v20
	v_lshlrev_b64 v[14:15], v15, v[14:15]
	v_lshrrev_b32_e32 v19, 3, v17
	v_sub_u32_e32 v15, 29, v20
	v_and_b32_e32 v14, 7, v14
	v_cmp_gt_u32_e32 vcc, 8, v17
	v_cndmask_b32_e32 v15, v19, v15, vcc
	v_cndmask_b32_e32 v14, v18, v14, vcc
	v_lshlrev_b32_e32 v17, 16, v6
	v_bfrev_b32_e32 v18, 60
	v_lshlrev_b32_e32 v14, 20, v14
	v_and_b32_e32 v17, 0x80000000, v17
	v_lshl_add_u32 v15, v15, 23, v18
	v_or3_b32 v14, v17, v15, v14
	v_lshrrev_b32_e32 v15, 16, v14
.LBB890_601:
	s_or_b64 exec, exec, s[12:13]
.LBB890_602:
	s_or_b64 exec, exec, s[10:11]
.LBB890_603:
	s_or_b64 exec, exec, s[8:9]
	s_movk_i32 s7, 0xff
	v_and_b32_sdwa v19, v6, s7 dst_sel:DWORD dst_unused:UNUSED_PAD src0_sel:WORD_1 src1_sel:DWORD
	v_lshrrev_b32_e32 v14, 16, v6
	v_cmp_ne_u16_e32 vcc, 0, v19
	v_mov_b32_e32 v17, 0
	v_mov_b32_e32 v18, 0
	s_and_saveexec_b64 s[8:9], vcc
	s_cbranch_execz .LBB890_609
; %bb.604:
	s_movk_i32 s7, 0x80
	v_cmp_ne_u16_e32 vcc, s7, v19
	v_mov_b32_e32 v18, 0xffff8000
	s_and_saveexec_b64 s[10:11], vcc
	s_cbranch_execz .LBB890_608
; %bb.605:
	v_bfe_u32 v19, v6, 16, 7
	s_movk_i32 s7, 0x7f
	v_cmp_ne_u32_e32 vcc, s7, v19
	v_mov_b32_e32 v18, 0x7f80
	s_and_saveexec_b64 s[12:13], vcc
	s_cbranch_execz .LBB890_607
; %bb.606:
	v_and_b32_e32 v18, 7, v14
	v_ffbh_u32_e32 v20, v18
	v_min_u32_e32 v24, 32, v20
	v_subrev_u32_e32 v20, 28, v24
	v_lshlrev_b64 v[20:21], v20, v[14:15]
	v_lshrrev_b32_e32 v23, 3, v19
	v_sub_u32_e32 v14, 29, v24
	v_and_b32_e32 v20, 7, v20
	v_cmp_gt_u32_e32 vcc, 8, v19
	v_mov_b32_e32 v19, 24
	v_cndmask_b32_e32 v14, v23, v14, vcc
	v_cndmask_b32_e32 v18, v18, v20, vcc
	v_lshlrev_b32_sdwa v19, v19, v6 dst_sel:DWORD dst_unused:UNUSED_PAD src0_sel:DWORD src1_sel:WORD_1
	v_bfrev_b32_e32 v20, 60
	v_lshlrev_b32_e32 v18, 20, v18
	v_and_b32_e32 v19, 0x80000000, v19
	v_lshl_add_u32 v14, v14, 23, v20
	v_or3_b32 v14, v19, v14, v18
	v_lshrrev_b32_e32 v18, 16, v14
.LBB890_607:
	s_or_b64 exec, exec, s[12:13]
.LBB890_608:
	s_or_b64 exec, exec, s[10:11]
.LBB890_609:
	s_or_b64 exec, exec, s[8:9]
	s_mov_b32 s7, 0xffffff
	v_cmp_lt_u32_e32 vcc, s7, v6
	s_and_saveexec_b64 s[8:9], vcc
	s_cbranch_execz .LBB890_615
; %bb.610:
	v_lshrrev_b32_e32 v14, 24, v6
	s_movk_i32 s7, 0x80
	v_cmp_ne_u32_e32 vcc, s7, v14
	v_mov_b32_e32 v17, 0xffff8000
	s_and_saveexec_b64 s[10:11], vcc
	s_cbranch_execz .LBB890_614
; %bb.611:
	v_bfe_u32 v6, v6, 24, 7
	s_movk_i32 s7, 0x7f
	v_cmp_ne_u32_e32 vcc, s7, v6
	v_mov_b32_e32 v17, 0x7f80
	s_and_saveexec_b64 s[12:13], vcc
	s_cbranch_execz .LBB890_613
; %bb.612:
	v_and_b32_e32 v17, 7, v14
	v_ffbh_u32_e32 v20, v17
	v_min_u32_e32 v23, 32, v20
	v_subrev_u32_e32 v20, 28, v23
	v_lshlrev_b64 v[20:21], v20, v[14:15]
	v_lshrrev_b32_e32 v19, 3, v6
	v_sub_u32_e32 v21, 29, v23
	v_and_b32_e32 v20, 7, v20
	v_cmp_gt_u32_e32 vcc, 8, v6
	v_cndmask_b32_e32 v6, v19, v21, vcc
	v_cndmask_b32_e32 v17, v17, v20, vcc
	v_lshlrev_b32_e32 v14, 24, v14
	v_bfrev_b32_e32 v19, 60
	v_lshlrev_b32_e32 v17, 20, v17
	v_and_b32_e32 v14, 0x80000000, v14
	v_lshl_add_u32 v6, v6, 23, v19
	v_or3_b32 v6, v14, v6, v17
	v_lshrrev_b32_e32 v17, 16, v6
.LBB890_613:
	s_or_b64 exec, exec, s[12:13]
.LBB890_614:
	s_or_b64 exec, exec, s[10:11]
.LBB890_615:
	s_or_b64 exec, exec, s[8:9]
	v_mov_b32_e32 v14, 0
	v_cmp_ne_u16_sdwa s[10:11], v7, v14 src0_sel:BYTE_0 src1_sel:DWORD
	v_mov_b32_e32 v19, 0
	s_and_saveexec_b64 s[8:9], s[10:11]
	s_cbranch_execz .LBB890_621
; %bb.616:
	s_movk_i32 s7, 0x80
	v_cmp_ne_u16_sdwa s[12:13], v7, s7 src0_sel:BYTE_0 src1_sel:DWORD
	v_mov_b32_e32 v19, 0xffff8000
	s_and_saveexec_b64 s[10:11], s[12:13]
	s_cbranch_execz .LBB890_620
; %bb.617:
	s_movk_i32 s7, 0x7f
	v_and_b32_e32 v6, 0x7f, v7
	v_cmp_ne_u32_e32 vcc, s7, v6
	v_mov_b32_e32 v19, 0x7f80
	s_and_saveexec_b64 s[12:13], vcc
	s_cbranch_execz .LBB890_619
; %bb.618:
	v_and_b32_e32 v19, 7, v7
	v_ffbh_u32_e32 v21, v19
	v_min_u32_e32 v24, 32, v21
	v_mov_b32_e32 v20, v7
	v_subrev_u32_e32 v21, 28, v24
	v_lshlrev_b64 v[20:21], v21, v[20:21]
	v_lshrrev_b32_e32 v23, 3, v6
	v_sub_u32_e32 v21, 29, v24
	v_and_b32_e32 v20, 7, v20
	v_cmp_gt_u32_e32 vcc, 8, v6
	v_cndmask_b32_e32 v6, v23, v21, vcc
	v_cndmask_b32_e32 v19, v19, v20, vcc
	v_lshlrev_b32_e32 v20, 24, v7
	v_bfrev_b32_e32 v21, 60
	v_lshlrev_b32_e32 v19, 20, v19
	v_and_b32_e32 v20, 0x80000000, v20
	v_lshl_add_u32 v6, v6, 23, v21
	v_or3_b32 v6, v20, v6, v19
	v_lshrrev_b32_e32 v19, 16, v6
.LBB890_619:
	s_or_b64 exec, exec, s[12:13]
.LBB890_620:
	s_or_b64 exec, exec, s[10:11]
.LBB890_621:
	s_or_b64 exec, exec, s[8:9]
	v_lshrrev_b16_e32 v6, 8, v7
	v_cmp_ne_u16_e32 vcc, 0, v6
	s_and_saveexec_b64 s[8:9], vcc
	s_cbranch_execz .LBB890_627
; %bb.622:
	s_movk_i32 s7, 0x80
	v_cmp_ne_u16_e32 vcc, s7, v6
	v_mov_b32_e32 v14, 0xffff8000
	s_and_saveexec_b64 s[10:11], vcc
	s_cbranch_execz .LBB890_626
; %bb.623:
	s_movk_i32 s7, 0x7f
	v_and_b32_e32 v20, 0x7f, v6
	v_cmp_ne_u32_e32 vcc, s7, v20
	v_mov_b32_e32 v14, 0x7f80
	s_and_saveexec_b64 s[12:13], vcc
	s_cbranch_execz .LBB890_625
; %bb.624:
	v_and_b32_e32 v14, 7, v6
	v_ffbh_u32_e32 v23, v14
	v_min_u32_e32 v23, 32, v23
	v_subrev_u32_e32 v24, 28, v23
	v_lshlrev_b64 v[24:25], v24, v[6:7]
	v_lshrrev_b32_e32 v21, 3, v20
	v_sub_u32_e32 v6, 29, v23
	v_and_b32_e32 v23, 7, v24
	v_cmp_gt_u32_e32 vcc, 8, v20
	v_cndmask_b32_e32 v6, v21, v6, vcc
	v_cndmask_b32_e32 v14, v14, v23, vcc
	v_lshlrev_b32_e32 v20, 16, v7
	v_bfrev_b32_e32 v21, 60
	v_lshlrev_b32_e32 v14, 20, v14
	v_and_b32_e32 v20, 0x80000000, v20
	v_lshl_add_u32 v6, v6, 23, v21
	v_or3_b32 v6, v20, v6, v14
	v_lshrrev_b32_e32 v14, 16, v6
.LBB890_625:
	s_or_b64 exec, exec, s[12:13]
.LBB890_626:
	s_or_b64 exec, exec, s[10:11]
.LBB890_627:
	s_or_b64 exec, exec, s[8:9]
	s_movk_i32 s7, 0xff
	v_and_b32_sdwa v23, v7, s7 dst_sel:DWORD dst_unused:UNUSED_PAD src0_sel:WORD_1 src1_sel:DWORD
	v_lshrrev_b32_e32 v6, 16, v7
	v_cmp_ne_u16_e32 vcc, 0, v23
	v_mov_b32_e32 v20, 0
	v_mov_b32_e32 v21, 0
	s_and_saveexec_b64 s[8:9], vcc
	s_cbranch_execz .LBB890_633
; %bb.628:
	s_movk_i32 s7, 0x80
	v_cmp_ne_u16_e32 vcc, s7, v23
	v_mov_b32_e32 v21, 0xffff8000
	s_and_saveexec_b64 s[10:11], vcc
	s_cbranch_execz .LBB890_632
; %bb.629:
	v_bfe_u32 v23, v7, 16, 7
	s_movk_i32 s7, 0x7f
	v_cmp_ne_u32_e32 vcc, s7, v23
	v_mov_b32_e32 v21, 0x7f80
	s_and_saveexec_b64 s[12:13], vcc
	s_cbranch_execz .LBB890_631
; %bb.630:
	v_and_b32_e32 v21, 7, v6
	v_ffbh_u32_e32 v24, v21
	v_min_u32_e32 v27, 32, v24
	v_subrev_u32_e32 v24, 28, v27
	v_lshlrev_b64 v[24:25], v24, v[6:7]
	v_lshrrev_b32_e32 v26, 3, v23
	v_sub_u32_e32 v6, 29, v27
	v_and_b32_e32 v24, 7, v24
	v_cmp_gt_u32_e32 vcc, 8, v23
	v_mov_b32_e32 v23, 24
	v_cndmask_b32_e32 v6, v26, v6, vcc
	v_cndmask_b32_e32 v21, v21, v24, vcc
	v_lshlrev_b32_sdwa v23, v23, v7 dst_sel:DWORD dst_unused:UNUSED_PAD src0_sel:DWORD src1_sel:WORD_1
	v_bfrev_b32_e32 v24, 60
	v_lshlrev_b32_e32 v21, 20, v21
	v_and_b32_e32 v23, 0x80000000, v23
	v_lshl_add_u32 v6, v6, 23, v24
	v_or3_b32 v6, v23, v6, v21
	v_lshrrev_b32_e32 v21, 16, v6
.LBB890_631:
	s_or_b64 exec, exec, s[12:13]
.LBB890_632:
	s_or_b64 exec, exec, s[10:11]
.LBB890_633:
	s_or_b64 exec, exec, s[8:9]
	s_mov_b32 s7, 0xffffff
	v_cmp_lt_u32_e32 vcc, s7, v7
	s_and_saveexec_b64 s[8:9], vcc
	s_cbranch_execz .LBB890_639
; %bb.634:
	v_lshrrev_b32_e32 v6, 24, v7
	s_movk_i32 s7, 0x80
	v_cmp_ne_u32_e32 vcc, s7, v6
	v_mov_b32_e32 v20, 0xffff8000
	s_and_saveexec_b64 s[10:11], vcc
	s_cbranch_execz .LBB890_638
; %bb.635:
	v_bfe_u32 v7, v7, 24, 7
	s_movk_i32 s7, 0x7f
	v_cmp_ne_u32_e32 vcc, s7, v7
	v_mov_b32_e32 v20, 0x7f80
	s_and_saveexec_b64 s[12:13], vcc
	s_cbranch_execz .LBB890_637
; %bb.636:
	v_and_b32_e32 v20, 7, v6
	v_ffbh_u32_e32 v24, v20
	v_min_u32_e32 v26, 32, v24
	v_subrev_u32_e32 v24, 28, v26
	v_lshlrev_b64 v[24:25], v24, v[6:7]
	v_lshrrev_b32_e32 v23, 3, v7
	v_sub_u32_e32 v25, 29, v26
	v_and_b32_e32 v24, 7, v24
	v_cmp_gt_u32_e32 vcc, 8, v7
	v_cndmask_b32_e32 v7, v23, v25, vcc
	v_cndmask_b32_e32 v20, v20, v24, vcc
	v_lshlrev_b32_e32 v6, 24, v6
	v_bfrev_b32_e32 v23, 60
	v_lshlrev_b32_e32 v20, 20, v20
	v_and_b32_e32 v6, 0x80000000, v6
	v_lshl_add_u32 v7, v7, 23, v23
	v_or3_b32 v6, v6, v7, v20
	v_lshrrev_b32_e32 v20, 16, v6
.LBB890_637:
	s_or_b64 exec, exec, s[12:13]
.LBB890_638:
	s_or_b64 exec, exec, s[10:11]
.LBB890_639:
	s_or_b64 exec, exec, s[8:9]
	s_mov_b32 s7, 0x5040100
	v_perm_b32 v7, v17, v18, s7
	v_perm_b32 v6, v15, v16, s7
	ds_read_b128 v[24:27], v22 offset:4096
	v_perm_b32 v17, v20, v21, s7
	v_perm_b32 v16, v14, v19, s7
	s_waitcnt lgkmcnt(0)
	v_mfma_f32_16x16x16bf16_1k v[10:13], v[6:7], v[24:25], v[10:13]
	v_mov_b32_e32 v7, 0
	v_cmp_ne_u16_sdwa s[10:11], v8, v7 src0_sel:BYTE_0 src1_sel:DWORD
	v_mov_b32_e32 v14, 0
	v_mfma_f32_16x16x16bf16_1k v[10:13], v[16:17], v[26:27], v[10:13]
	s_and_saveexec_b64 s[8:9], s[10:11]
	s_cbranch_execz .LBB890_645
; %bb.640:
	s_movk_i32 s7, 0x80
	v_cmp_ne_u16_sdwa s[12:13], v8, s7 src0_sel:BYTE_0 src1_sel:DWORD
	v_mov_b32_e32 v14, 0xffff8000
	s_and_saveexec_b64 s[10:11], s[12:13]
	s_cbranch_execz .LBB890_644
; %bb.641:
	s_movk_i32 s7, 0x7f
	v_and_b32_e32 v6, 0x7f, v8
	v_cmp_ne_u32_e32 vcc, s7, v6
	v_mov_b32_e32 v14, 0x7f80
	s_and_saveexec_b64 s[12:13], vcc
	s_cbranch_execz .LBB890_643
; %bb.642:
	v_and_b32_e32 v16, 7, v8
	v_ffbh_u32_e32 v14, v16
	v_min_u32_e32 v18, 32, v14
	v_subrev_u32_e32 v14, 28, v18
	v_lshlrev_b64 v[14:15], v14, v[8:9]
	v_lshrrev_b32_e32 v17, 3, v6
	v_sub_u32_e32 v15, 29, v18
	v_and_b32_e32 v14, 7, v14
	v_cmp_gt_u32_e32 vcc, 8, v6
	v_cndmask_b32_e32 v6, v17, v15, vcc
	v_cndmask_b32_e32 v14, v16, v14, vcc
	v_lshlrev_b32_e32 v15, 24, v8
	v_bfrev_b32_e32 v16, 60
	v_lshlrev_b32_e32 v14, 20, v14
	v_and_b32_e32 v15, 0x80000000, v15
	v_lshl_add_u32 v6, v6, 23, v16
	v_or3_b32 v6, v15, v6, v14
	v_lshrrev_b32_e32 v14, 16, v6
.LBB890_643:
	s_or_b64 exec, exec, s[12:13]
.LBB890_644:
	s_or_b64 exec, exec, s[10:11]
.LBB890_645:
	s_or_b64 exec, exec, s[8:9]
	v_lshrrev_b16_e32 v6, 8, v8
	v_cmp_ne_u16_e32 vcc, 0, v6
	s_and_saveexec_b64 s[8:9], vcc
	s_cbranch_execz .LBB890_651
; %bb.646:
	s_movk_i32 s7, 0x80
	v_cmp_ne_u16_e32 vcc, s7, v6
	v_mov_b32_e32 v7, 0xffff8000
	s_and_saveexec_b64 s[10:11], vcc
	s_cbranch_execz .LBB890_650
; %bb.647:
	s_movk_i32 s7, 0x7f
	v_and_b32_e32 v15, 0x7f, v6
	v_cmp_ne_u32_e32 vcc, s7, v15
	v_mov_b32_e32 v7, 0x7f80
	s_and_saveexec_b64 s[12:13], vcc
	s_cbranch_execz .LBB890_649
; %bb.648:
	v_and_b32_e32 v16, 7, v6
	v_ffbh_u32_e32 v7, v16
	v_min_u32_e32 v18, 32, v7
	v_subrev_u32_e32 v7, 28, v18
	v_lshlrev_b64 v[6:7], v7, v[6:7]
	v_lshrrev_b32_e32 v17, 3, v15
	v_sub_u32_e32 v7, 29, v18
	v_and_b32_e32 v6, 7, v6
	v_cmp_gt_u32_e32 vcc, 8, v15
	v_cndmask_b32_e32 v7, v17, v7, vcc
	v_cndmask_b32_e32 v6, v16, v6, vcc
	v_lshlrev_b32_e32 v15, 16, v8
	v_bfrev_b32_e32 v16, 60
	v_lshlrev_b32_e32 v6, 20, v6
	v_and_b32_e32 v15, 0x80000000, v15
	v_lshl_add_u32 v7, v7, 23, v16
	v_or3_b32 v6, v15, v7, v6
	v_lshrrev_b32_e32 v7, 16, v6
.LBB890_649:
	s_or_b64 exec, exec, s[12:13]
.LBB890_650:
	s_or_b64 exec, exec, s[10:11]
.LBB890_651:
	s_or_b64 exec, exec, s[8:9]
	s_movk_i32 s7, 0xff
	v_and_b32_sdwa v17, v8, s7 dst_sel:DWORD dst_unused:UNUSED_PAD src0_sel:WORD_1 src1_sel:DWORD
	v_lshrrev_b32_e32 v6, 16, v8
	v_cmp_ne_u16_e32 vcc, 0, v17
	v_mov_b32_e32 v15, 0
	v_mov_b32_e32 v16, 0
	s_and_saveexec_b64 s[8:9], vcc
	s_cbranch_execz .LBB890_657
; %bb.652:
	s_movk_i32 s7, 0x80
	v_cmp_ne_u16_e32 vcc, s7, v17
	v_mov_b32_e32 v16, 0xffff8000
	s_and_saveexec_b64 s[10:11], vcc
	s_cbranch_execz .LBB890_656
; %bb.653:
	v_bfe_u32 v17, v8, 16, 7
	s_movk_i32 s7, 0x7f
	v_cmp_ne_u32_e32 vcc, s7, v17
	v_mov_b32_e32 v16, 0x7f80
	s_and_saveexec_b64 s[12:13], vcc
	s_cbranch_execz .LBB890_655
; %bb.654:
	v_and_b32_e32 v16, 7, v6
	v_ffbh_u32_e32 v18, v16
	v_min_u32_e32 v21, 32, v18
	v_subrev_u32_e32 v18, 28, v21
	v_lshlrev_b64 v[18:19], v18, v[6:7]
	v_lshrrev_b32_e32 v20, 3, v17
	v_sub_u32_e32 v6, 29, v21
	v_and_b32_e32 v18, 7, v18
	v_cmp_gt_u32_e32 vcc, 8, v17
	v_mov_b32_e32 v17, 24
	v_cndmask_b32_e32 v6, v20, v6, vcc
	v_cndmask_b32_e32 v16, v16, v18, vcc
	v_lshlrev_b32_sdwa v17, v17, v8 dst_sel:DWORD dst_unused:UNUSED_PAD src0_sel:DWORD src1_sel:WORD_1
	v_bfrev_b32_e32 v18, 60
	v_lshlrev_b32_e32 v16, 20, v16
	v_and_b32_e32 v17, 0x80000000, v17
	v_lshl_add_u32 v6, v6, 23, v18
	v_or3_b32 v6, v17, v6, v16
	v_lshrrev_b32_e32 v16, 16, v6
.LBB890_655:
	s_or_b64 exec, exec, s[12:13]
.LBB890_656:
	s_or_b64 exec, exec, s[10:11]
.LBB890_657:
	s_or_b64 exec, exec, s[8:9]
	s_mov_b32 s7, 0xffffff
	v_cmp_lt_u32_e32 vcc, s7, v8
	s_and_saveexec_b64 s[8:9], vcc
	s_cbranch_execz .LBB890_663
; %bb.658:
	v_lshrrev_b32_e32 v6, 24, v8
	s_movk_i32 s7, 0x80
	v_cmp_ne_u32_e32 vcc, s7, v6
	v_mov_b32_e32 v15, 0xffff8000
	s_and_saveexec_b64 s[10:11], vcc
	s_cbranch_execz .LBB890_662
; %bb.659:
	v_bfe_u32 v8, v8, 24, 7
	s_movk_i32 s7, 0x7f
	v_cmp_ne_u32_e32 vcc, s7, v8
	v_mov_b32_e32 v15, 0x7f80
	s_and_saveexec_b64 s[12:13], vcc
	s_cbranch_execz .LBB890_661
; %bb.660:
	v_and_b32_e32 v15, 7, v6
	v_ffbh_u32_e32 v18, v15
	v_min_u32_e32 v20, 32, v18
	v_subrev_u32_e32 v18, 28, v20
	v_lshlrev_b64 v[18:19], v18, v[6:7]
	v_lshrrev_b32_e32 v17, 3, v8
	v_sub_u32_e32 v19, 29, v20
	v_and_b32_e32 v18, 7, v18
	v_cmp_gt_u32_e32 vcc, 8, v8
	v_cndmask_b32_e32 v8, v17, v19, vcc
	v_cndmask_b32_e32 v15, v15, v18, vcc
	v_lshlrev_b32_e32 v6, 24, v6
	v_bfrev_b32_e32 v17, 60
	v_lshlrev_b32_e32 v15, 20, v15
	v_and_b32_e32 v6, 0x80000000, v6
	v_lshl_add_u32 v8, v8, 23, v17
	v_or3_b32 v6, v6, v8, v15
	v_lshrrev_b32_e32 v15, 16, v6
.LBB890_661:
	s_or_b64 exec, exec, s[12:13]
.LBB890_662:
	s_or_b64 exec, exec, s[10:11]
.LBB890_663:
	s_or_b64 exec, exec, s[8:9]
	v_mov_b32_e32 v8, 0
	v_cmp_ne_u16_sdwa s[10:11], v9, v8 src0_sel:BYTE_0 src1_sel:DWORD
	v_mov_b32_e32 v17, 0
	s_and_saveexec_b64 s[8:9], s[10:11]
	s_cbranch_execz .LBB890_669
; %bb.664:
	s_movk_i32 s7, 0x80
	v_cmp_ne_u16_sdwa s[12:13], v9, s7 src0_sel:BYTE_0 src1_sel:DWORD
	v_mov_b32_e32 v17, 0xffff8000
	s_and_saveexec_b64 s[10:11], s[12:13]
	s_cbranch_execz .LBB890_668
; %bb.665:
	s_movk_i32 s7, 0x7f
	v_and_b32_e32 v6, 0x7f, v9
	v_cmp_ne_u32_e32 vcc, s7, v6
	v_mov_b32_e32 v17, 0x7f80
	s_and_saveexec_b64 s[12:13], vcc
	s_cbranch_execz .LBB890_667
; %bb.666:
	v_and_b32_e32 v17, 7, v9
	v_ffbh_u32_e32 v19, v17
	v_min_u32_e32 v21, 32, v19
	v_mov_b32_e32 v18, v9
	v_subrev_u32_e32 v19, 28, v21
	v_lshlrev_b64 v[18:19], v19, v[18:19]
	v_lshrrev_b32_e32 v20, 3, v6
	v_sub_u32_e32 v19, 29, v21
	v_and_b32_e32 v18, 7, v18
	v_cmp_gt_u32_e32 vcc, 8, v6
	v_cndmask_b32_e32 v6, v20, v19, vcc
	v_cndmask_b32_e32 v17, v17, v18, vcc
	v_lshlrev_b32_e32 v18, 24, v9
	v_bfrev_b32_e32 v19, 60
	v_lshlrev_b32_e32 v17, 20, v17
	v_and_b32_e32 v18, 0x80000000, v18
	v_lshl_add_u32 v6, v6, 23, v19
	v_or3_b32 v6, v18, v6, v17
	v_lshrrev_b32_e32 v17, 16, v6
.LBB890_667:
	s_or_b64 exec, exec, s[12:13]
.LBB890_668:
	s_or_b64 exec, exec, s[10:11]
.LBB890_669:
	s_or_b64 exec, exec, s[8:9]
	v_lshrrev_b16_e32 v6, 8, v9
	v_cmp_ne_u16_e32 vcc, 0, v6
	s_and_saveexec_b64 s[8:9], vcc
	s_cbranch_execz .LBB890_675
; %bb.670:
	s_movk_i32 s7, 0x80
	v_cmp_ne_u16_e32 vcc, s7, v6
	v_mov_b32_e32 v8, 0xffff8000
	s_and_saveexec_b64 s[10:11], vcc
	s_cbranch_execz .LBB890_674
; %bb.671:
	s_movk_i32 s7, 0x7f
	v_and_b32_e32 v18, 0x7f, v6
	v_cmp_ne_u32_e32 vcc, s7, v18
	v_mov_b32_e32 v8, 0x7f80
	s_and_saveexec_b64 s[12:13], vcc
	s_cbranch_execz .LBB890_673
; %bb.672:
	v_and_b32_e32 v8, 7, v6
	v_ffbh_u32_e32 v20, v8
	v_min_u32_e32 v23, 32, v20
	v_subrev_u32_e32 v20, 28, v23
	v_lshlrev_b64 v[20:21], v20, v[6:7]
	v_lshrrev_b32_e32 v19, 3, v18
	v_sub_u32_e32 v6, 29, v23
	v_and_b32_e32 v20, 7, v20
	v_cmp_gt_u32_e32 vcc, 8, v18
	v_cndmask_b32_e32 v6, v19, v6, vcc
	v_cndmask_b32_e32 v8, v8, v20, vcc
	v_lshlrev_b32_e32 v18, 16, v9
	v_bfrev_b32_e32 v19, 60
	v_lshlrev_b32_e32 v8, 20, v8
	v_and_b32_e32 v18, 0x80000000, v18
	v_lshl_add_u32 v6, v6, 23, v19
	v_or3_b32 v6, v18, v6, v8
	v_lshrrev_b32_e32 v8, 16, v6
.LBB890_673:
	s_or_b64 exec, exec, s[12:13]
.LBB890_674:
	s_or_b64 exec, exec, s[10:11]
.LBB890_675:
	s_or_b64 exec, exec, s[8:9]
	s_movk_i32 s7, 0xff
	v_and_b32_sdwa v20, v9, s7 dst_sel:DWORD dst_unused:UNUSED_PAD src0_sel:WORD_1 src1_sel:DWORD
	v_lshrrev_b32_e32 v6, 16, v9
	v_cmp_ne_u16_e32 vcc, 0, v20
	v_mov_b32_e32 v18, 0
	v_mov_b32_e32 v19, 0
	s_and_saveexec_b64 s[8:9], vcc
	s_cbranch_execz .LBB890_681
; %bb.676:
	s_movk_i32 s7, 0x80
	v_cmp_ne_u16_e32 vcc, s7, v20
	v_mov_b32_e32 v19, 0xffff8000
	s_and_saveexec_b64 s[10:11], vcc
	s_cbranch_execz .LBB890_680
; %bb.677:
	v_bfe_u32 v20, v9, 16, 7
	s_movk_i32 s7, 0x7f
	v_cmp_ne_u32_e32 vcc, s7, v20
	v_mov_b32_e32 v19, 0x7f80
	s_and_saveexec_b64 s[12:13], vcc
	s_cbranch_execz .LBB890_679
; %bb.678:
	v_and_b32_e32 v19, 7, v6
	v_ffbh_u32_e32 v23, v19
	v_min_u32_e32 v23, 32, v23
	v_subrev_u32_e32 v24, 28, v23
	v_lshlrev_b64 v[24:25], v24, v[6:7]
	v_lshrrev_b32_e32 v21, 3, v20
	v_sub_u32_e32 v6, 29, v23
	v_and_b32_e32 v23, 7, v24
	v_cmp_gt_u32_e32 vcc, 8, v20
	v_mov_b32_e32 v20, 24
	v_cndmask_b32_e32 v6, v21, v6, vcc
	v_cndmask_b32_e32 v19, v19, v23, vcc
	v_lshlrev_b32_sdwa v20, v20, v9 dst_sel:DWORD dst_unused:UNUSED_PAD src0_sel:DWORD src1_sel:WORD_1
	v_bfrev_b32_e32 v21, 60
	v_lshlrev_b32_e32 v19, 20, v19
	v_and_b32_e32 v20, 0x80000000, v20
	v_lshl_add_u32 v6, v6, 23, v21
	v_or3_b32 v6, v20, v6, v19
	v_lshrrev_b32_e32 v19, 16, v6
.LBB890_679:
	s_or_b64 exec, exec, s[12:13]
.LBB890_680:
	s_or_b64 exec, exec, s[10:11]
.LBB890_681:
	s_or_b64 exec, exec, s[8:9]
	s_mov_b32 s7, 0xffffff
	v_cmp_lt_u32_e32 vcc, s7, v9
	s_and_saveexec_b64 s[8:9], vcc
	s_cbranch_execz .LBB890_687
; %bb.682:
	v_lshrrev_b32_e32 v6, 24, v9
	s_movk_i32 s7, 0x80
	v_cmp_ne_u32_e32 vcc, s7, v6
	v_mov_b32_e32 v18, 0xffff8000
	s_and_saveexec_b64 s[10:11], vcc
	s_cbranch_execz .LBB890_686
; %bb.683:
	v_bfe_u32 v9, v9, 24, 7
	s_movk_i32 s7, 0x7f
	v_cmp_ne_u32_e32 vcc, s7, v9
	v_mov_b32_e32 v18, 0x7f80
	s_and_saveexec_b64 s[12:13], vcc
	s_cbranch_execz .LBB890_685
; %bb.684:
	v_and_b32_e32 v18, 7, v6
	v_ffbh_u32_e32 v20, v18
	v_min_u32_e32 v24, 32, v20
	v_subrev_u32_e32 v20, 28, v24
	v_lshlrev_b64 v[20:21], v20, v[6:7]
	v_lshrrev_b32_e32 v23, 3, v9
	v_sub_u32_e32 v21, 29, v24
	v_and_b32_e32 v20, 7, v20
	v_cmp_gt_u32_e32 vcc, 8, v9
	v_cndmask_b32_e32 v9, v23, v21, vcc
	v_cndmask_b32_e32 v18, v18, v20, vcc
	v_lshlrev_b32_e32 v6, 24, v6
	v_bfrev_b32_e32 v20, 60
	v_lshlrev_b32_e32 v18, 20, v18
	v_and_b32_e32 v6, 0x80000000, v6
	v_lshl_add_u32 v9, v9, 23, v20
	v_or3_b32 v6, v6, v9, v18
	v_lshrrev_b32_e32 v18, 16, v6
.LBB890_685:
	s_or_b64 exec, exec, s[12:13]
.LBB890_686:
	s_or_b64 exec, exec, s[10:11]
.LBB890_687:
	s_or_b64 exec, exec, s[8:9]
	s_mov_b32 s7, 0x5040100
	v_perm_b32 v15, v15, v16, s7
	v_perm_b32 v14, v7, v14, s7
	ds_read_b128 v[24:27], v22 offset:4112
	v_perm_b32 v7, v18, v19, s7
	v_perm_b32 v6, v8, v17, s7
	s_waitcnt lgkmcnt(0)
	v_mfma_f32_16x16x16bf16_1k v[30:33], v[14:15], v[24:25], v[10:13]
	s_nop 6
	v_mov_b32_e32 v11, 0
	s_waitcnt vmcnt(0)
	v_cmp_ne_u16_sdwa s[10:11], v2, v11 src0_sel:BYTE_0 src1_sel:DWORD
	v_mfma_f32_16x16x16bf16_1k v[6:9], v[6:7], v[26:27], v[30:33]
	v_mov_b32_e32 v12, 0
	s_and_saveexec_b64 s[8:9], s[10:11]
	s_cbranch_execz .LBB890_693
; %bb.688:
	s_movk_i32 s7, 0x80
	v_cmp_ne_u16_sdwa s[12:13], v2, s7 src0_sel:BYTE_0 src1_sel:DWORD
	v_mov_b32_e32 v12, 0xffff8000
	s_and_saveexec_b64 s[10:11], s[12:13]
	s_cbranch_execz .LBB890_692
; %bb.689:
	s_movk_i32 s7, 0x7f
	v_and_b32_e32 v10, 0x7f, v2
	v_cmp_ne_u32_e32 vcc, s7, v10
	v_mov_b32_e32 v12, 0x7f80
	s_and_saveexec_b64 s[12:13], vcc
	s_cbranch_execz .LBB890_691
; %bb.690:
	v_and_b32_e32 v14, 7, v2
	v_ffbh_u32_e32 v12, v14
	v_min_u32_e32 v16, 32, v12
	v_subrev_u32_e32 v12, 28, v16
	v_lshlrev_b64 v[12:13], v12, v[2:3]
	v_lshrrev_b32_e32 v15, 3, v10
	v_sub_u32_e32 v13, 29, v16
	v_and_b32_e32 v12, 7, v12
	v_cmp_gt_u32_e32 vcc, 8, v10
	v_cndmask_b32_e32 v10, v15, v13, vcc
	v_cndmask_b32_e32 v12, v14, v12, vcc
	v_lshlrev_b32_e32 v13, 24, v2
	v_bfrev_b32_e32 v14, 60
	v_lshlrev_b32_e32 v12, 20, v12
	v_and_b32_e32 v13, 0x80000000, v13
	v_lshl_add_u32 v10, v10, 23, v14
	v_or3_b32 v10, v13, v10, v12
	v_lshrrev_b32_e32 v12, 16, v10
.LBB890_691:
	s_or_b64 exec, exec, s[12:13]
.LBB890_692:
	s_or_b64 exec, exec, s[10:11]
.LBB890_693:
	s_or_b64 exec, exec, s[8:9]
	v_lshrrev_b16_e32 v10, 8, v2
	v_cmp_ne_u16_e32 vcc, 0, v10
	s_and_saveexec_b64 s[8:9], vcc
	s_cbranch_execz .LBB890_699
; %bb.694:
	s_movk_i32 s7, 0x80
	v_cmp_ne_u16_e32 vcc, s7, v10
	v_mov_b32_e32 v11, 0xffff8000
	s_and_saveexec_b64 s[10:11], vcc
	s_cbranch_execz .LBB890_698
; %bb.695:
	s_movk_i32 s7, 0x7f
	v_and_b32_e32 v13, 0x7f, v10
	v_cmp_ne_u32_e32 vcc, s7, v13
	v_mov_b32_e32 v11, 0x7f80
	s_and_saveexec_b64 s[12:13], vcc
	s_cbranch_execz .LBB890_697
; %bb.696:
	v_and_b32_e32 v14, 7, v10
	v_ffbh_u32_e32 v11, v14
	v_min_u32_e32 v16, 32, v11
	v_subrev_u32_e32 v11, 28, v16
	v_lshlrev_b64 v[10:11], v11, v[10:11]
	v_lshrrev_b32_e32 v15, 3, v13
	v_sub_u32_e32 v11, 29, v16
	v_and_b32_e32 v10, 7, v10
	v_cmp_gt_u32_e32 vcc, 8, v13
	v_cndmask_b32_e32 v11, v15, v11, vcc
	v_cndmask_b32_e32 v10, v14, v10, vcc
	v_lshlrev_b32_e32 v13, 16, v2
	v_bfrev_b32_e32 v14, 60
	v_lshlrev_b32_e32 v10, 20, v10
	v_and_b32_e32 v13, 0x80000000, v13
	v_lshl_add_u32 v11, v11, 23, v14
	v_or3_b32 v10, v13, v11, v10
	v_lshrrev_b32_e32 v11, 16, v10
.LBB890_697:
	s_or_b64 exec, exec, s[12:13]
.LBB890_698:
	s_or_b64 exec, exec, s[10:11]
.LBB890_699:
	s_or_b64 exec, exec, s[8:9]
	s_movk_i32 s7, 0xff
	v_and_b32_sdwa v15, v2, s7 dst_sel:DWORD dst_unused:UNUSED_PAD src0_sel:WORD_1 src1_sel:DWORD
	v_lshrrev_b32_e32 v10, 16, v2
	v_cmp_ne_u16_e32 vcc, 0, v15
	v_mov_b32_e32 v13, 0
	v_mov_b32_e32 v14, 0
	s_and_saveexec_b64 s[8:9], vcc
	s_cbranch_execz .LBB890_705
; %bb.700:
	s_movk_i32 s7, 0x80
	v_cmp_ne_u16_e32 vcc, s7, v15
	v_mov_b32_e32 v14, 0xffff8000
	s_and_saveexec_b64 s[10:11], vcc
	s_cbranch_execz .LBB890_704
; %bb.701:
	v_bfe_u32 v15, v2, 16, 7
	s_movk_i32 s7, 0x7f
	v_cmp_ne_u32_e32 vcc, s7, v15
	v_mov_b32_e32 v14, 0x7f80
	s_and_saveexec_b64 s[12:13], vcc
	s_cbranch_execz .LBB890_703
; %bb.702:
	v_and_b32_e32 v14, 7, v10
	v_ffbh_u32_e32 v16, v14
	v_min_u32_e32 v19, 32, v16
	v_subrev_u32_e32 v16, 28, v19
	v_lshlrev_b64 v[16:17], v16, v[10:11]
	v_lshrrev_b32_e32 v18, 3, v15
	v_sub_u32_e32 v10, 29, v19
	v_and_b32_e32 v16, 7, v16
	v_cmp_gt_u32_e32 vcc, 8, v15
	v_mov_b32_e32 v15, 24
	v_cndmask_b32_e32 v10, v18, v10, vcc
	v_cndmask_b32_e32 v14, v14, v16, vcc
	v_lshlrev_b32_sdwa v15, v15, v2 dst_sel:DWORD dst_unused:UNUSED_PAD src0_sel:DWORD src1_sel:WORD_1
	v_bfrev_b32_e32 v16, 60
	v_lshlrev_b32_e32 v14, 20, v14
	v_and_b32_e32 v15, 0x80000000, v15
	v_lshl_add_u32 v10, v10, 23, v16
	v_or3_b32 v10, v15, v10, v14
	v_lshrrev_b32_e32 v14, 16, v10
.LBB890_703:
	s_or_b64 exec, exec, s[12:13]
.LBB890_704:
	s_or_b64 exec, exec, s[10:11]
.LBB890_705:
	s_or_b64 exec, exec, s[8:9]
	s_mov_b32 s7, 0xffffff
	v_cmp_lt_u32_e32 vcc, s7, v2
	s_and_saveexec_b64 s[8:9], vcc
	s_cbranch_execz .LBB890_711
; %bb.706:
	v_lshrrev_b32_e32 v10, 24, v2
	s_movk_i32 s7, 0x80
	v_cmp_ne_u32_e32 vcc, s7, v10
	v_mov_b32_e32 v13, 0xffff8000
	s_and_saveexec_b64 s[10:11], vcc
	s_cbranch_execz .LBB890_710
; %bb.707:
	v_bfe_u32 v2, v2, 24, 7
	s_movk_i32 s7, 0x7f
	v_cmp_ne_u32_e32 vcc, s7, v2
	v_mov_b32_e32 v13, 0x7f80
	s_and_saveexec_b64 s[12:13], vcc
	s_cbranch_execz .LBB890_709
; %bb.708:
	v_and_b32_e32 v13, 7, v10
	v_ffbh_u32_e32 v16, v13
	v_min_u32_e32 v18, 32, v16
	v_subrev_u32_e32 v16, 28, v18
	v_lshlrev_b64 v[16:17], v16, v[10:11]
	v_lshrrev_b32_e32 v15, 3, v2
	v_sub_u32_e32 v17, 29, v18
	v_and_b32_e32 v16, 7, v16
	v_cmp_gt_u32_e32 vcc, 8, v2
	v_cndmask_b32_e32 v2, v15, v17, vcc
	v_cndmask_b32_e32 v13, v13, v16, vcc
	v_lshlrev_b32_e32 v10, 24, v10
	v_bfrev_b32_e32 v15, 60
	v_lshlrev_b32_e32 v13, 20, v13
	v_and_b32_e32 v10, 0x80000000, v10
	v_lshl_add_u32 v2, v2, 23, v15
	v_or3_b32 v2, v10, v2, v13
	v_lshrrev_b32_e32 v13, 16, v2
.LBB890_709:
	s_or_b64 exec, exec, s[12:13]
.LBB890_710:
	s_or_b64 exec, exec, s[10:11]
.LBB890_711:
	s_or_b64 exec, exec, s[8:9]
	v_mov_b32_e32 v10, 0
	v_cmp_ne_u16_sdwa s[10:11], v3, v10 src0_sel:BYTE_0 src1_sel:DWORD
	v_mov_b32_e32 v15, 0
	s_and_saveexec_b64 s[8:9], s[10:11]
	s_cbranch_execz .LBB890_717
; %bb.712:
	s_movk_i32 s7, 0x80
	v_cmp_ne_u16_sdwa s[12:13], v3, s7 src0_sel:BYTE_0 src1_sel:DWORD
	v_mov_b32_e32 v15, 0xffff8000
	s_and_saveexec_b64 s[10:11], s[12:13]
	s_cbranch_execz .LBB890_716
; %bb.713:
	s_movk_i32 s7, 0x7f
	v_and_b32_e32 v2, 0x7f, v3
	v_cmp_ne_u32_e32 vcc, s7, v2
	v_mov_b32_e32 v15, 0x7f80
	s_and_saveexec_b64 s[12:13], vcc
	s_cbranch_execz .LBB890_715
; %bb.714:
	v_and_b32_e32 v15, 7, v3
	v_ffbh_u32_e32 v17, v15
	v_min_u32_e32 v19, 32, v17
	v_mov_b32_e32 v16, v3
	v_subrev_u32_e32 v17, 28, v19
	v_lshlrev_b64 v[16:17], v17, v[16:17]
	v_lshrrev_b32_e32 v18, 3, v2
	v_sub_u32_e32 v17, 29, v19
	v_and_b32_e32 v16, 7, v16
	v_cmp_gt_u32_e32 vcc, 8, v2
	v_cndmask_b32_e32 v2, v18, v17, vcc
	v_cndmask_b32_e32 v15, v15, v16, vcc
	v_lshlrev_b32_e32 v16, 24, v3
	v_bfrev_b32_e32 v17, 60
	v_lshlrev_b32_e32 v15, 20, v15
	v_and_b32_e32 v16, 0x80000000, v16
	v_lshl_add_u32 v2, v2, 23, v17
	v_or3_b32 v2, v16, v2, v15
	v_lshrrev_b32_e32 v15, 16, v2
.LBB890_715:
	s_or_b64 exec, exec, s[12:13]
.LBB890_716:
	s_or_b64 exec, exec, s[10:11]
.LBB890_717:
	s_or_b64 exec, exec, s[8:9]
	v_lshrrev_b16_e32 v2, 8, v3
	v_cmp_ne_u16_e32 vcc, 0, v2
	s_and_saveexec_b64 s[8:9], vcc
	s_cbranch_execz .LBB890_723
; %bb.718:
	s_movk_i32 s7, 0x80
	v_cmp_ne_u16_e32 vcc, s7, v2
	v_mov_b32_e32 v10, 0xffff8000
	s_and_saveexec_b64 s[10:11], vcc
	s_cbranch_execz .LBB890_722
; %bb.719:
	s_movk_i32 s7, 0x7f
	v_and_b32_e32 v16, 0x7f, v2
	v_cmp_ne_u32_e32 vcc, s7, v16
	v_mov_b32_e32 v10, 0x7f80
	s_and_saveexec_b64 s[12:13], vcc
	s_cbranch_execz .LBB890_721
; %bb.720:
	v_and_b32_e32 v10, 7, v2
	v_ffbh_u32_e32 v18, v10
	v_min_u32_e32 v20, 32, v18
	v_subrev_u32_e32 v18, 28, v20
	v_lshlrev_b64 v[18:19], v18, v[2:3]
	v_lshrrev_b32_e32 v17, 3, v16
	v_sub_u32_e32 v2, 29, v20
	v_and_b32_e32 v18, 7, v18
	v_cmp_gt_u32_e32 vcc, 8, v16
	v_cndmask_b32_e32 v2, v17, v2, vcc
	v_cndmask_b32_e32 v10, v10, v18, vcc
	v_lshlrev_b32_e32 v16, 16, v3
	v_bfrev_b32_e32 v17, 60
	v_lshlrev_b32_e32 v10, 20, v10
	v_and_b32_e32 v16, 0x80000000, v16
	v_lshl_add_u32 v2, v2, 23, v17
	v_or3_b32 v2, v16, v2, v10
	v_lshrrev_b32_e32 v10, 16, v2
.LBB890_721:
	s_or_b64 exec, exec, s[12:13]
.LBB890_722:
	s_or_b64 exec, exec, s[10:11]
.LBB890_723:
	s_or_b64 exec, exec, s[8:9]
	s_movk_i32 s7, 0xff
	v_and_b32_sdwa v18, v3, s7 dst_sel:DWORD dst_unused:UNUSED_PAD src0_sel:WORD_1 src1_sel:DWORD
	v_lshrrev_b32_e32 v2, 16, v3
	v_cmp_ne_u16_e32 vcc, 0, v18
	v_mov_b32_e32 v16, 0
	v_mov_b32_e32 v17, 0
	s_and_saveexec_b64 s[8:9], vcc
	s_cbranch_execz .LBB890_729
; %bb.724:
	s_movk_i32 s7, 0x80
	v_cmp_ne_u16_e32 vcc, s7, v18
	v_mov_b32_e32 v17, 0xffff8000
	s_and_saveexec_b64 s[10:11], vcc
	s_cbranch_execz .LBB890_728
; %bb.725:
	v_bfe_u32 v18, v3, 16, 7
	s_movk_i32 s7, 0x7f
	v_cmp_ne_u32_e32 vcc, s7, v18
	v_mov_b32_e32 v17, 0x7f80
	s_and_saveexec_b64 s[12:13], vcc
	s_cbranch_execz .LBB890_727
; %bb.726:
	v_and_b32_e32 v17, 7, v2
	v_ffbh_u32_e32 v20, v17
	v_min_u32_e32 v23, 32, v20
	v_subrev_u32_e32 v20, 28, v23
	v_lshlrev_b64 v[20:21], v20, v[2:3]
	v_lshrrev_b32_e32 v19, 3, v18
	v_sub_u32_e32 v2, 29, v23
	v_and_b32_e32 v20, 7, v20
	v_cmp_gt_u32_e32 vcc, 8, v18
	v_mov_b32_e32 v18, 24
	v_cndmask_b32_e32 v2, v19, v2, vcc
	v_cndmask_b32_e32 v17, v17, v20, vcc
	v_lshlrev_b32_sdwa v18, v18, v3 dst_sel:DWORD dst_unused:UNUSED_PAD src0_sel:DWORD src1_sel:WORD_1
	v_bfrev_b32_e32 v19, 60
	v_lshlrev_b32_e32 v17, 20, v17
	v_and_b32_e32 v18, 0x80000000, v18
	v_lshl_add_u32 v2, v2, 23, v19
	v_or3_b32 v2, v18, v2, v17
	v_lshrrev_b32_e32 v17, 16, v2
.LBB890_727:
	s_or_b64 exec, exec, s[12:13]
.LBB890_728:
	s_or_b64 exec, exec, s[10:11]
.LBB890_729:
	s_or_b64 exec, exec, s[8:9]
	s_mov_b32 s7, 0xffffff
	v_cmp_lt_u32_e32 vcc, s7, v3
	s_and_saveexec_b64 s[8:9], vcc
	s_cbranch_execz .LBB890_735
; %bb.730:
	v_lshrrev_b32_e32 v2, 24, v3
	s_movk_i32 s7, 0x80
	v_cmp_ne_u32_e32 vcc, s7, v2
	v_mov_b32_e32 v16, 0xffff8000
	s_and_saveexec_b64 s[10:11], vcc
	s_cbranch_execz .LBB890_734
; %bb.731:
	v_bfe_u32 v3, v3, 24, 7
	s_movk_i32 s7, 0x7f
	v_cmp_ne_u32_e32 vcc, s7, v3
	v_mov_b32_e32 v16, 0x7f80
	s_and_saveexec_b64 s[12:13], vcc
	s_cbranch_execz .LBB890_733
; %bb.732:
	v_and_b32_e32 v16, 7, v2
	v_ffbh_u32_e32 v18, v16
	v_min_u32_e32 v21, 32, v18
	v_subrev_u32_e32 v18, 28, v21
	v_lshlrev_b64 v[18:19], v18, v[2:3]
	v_lshrrev_b32_e32 v20, 3, v3
	v_sub_u32_e32 v19, 29, v21
	v_and_b32_e32 v18, 7, v18
	v_cmp_gt_u32_e32 vcc, 8, v3
	v_cndmask_b32_e32 v3, v20, v19, vcc
	v_cndmask_b32_e32 v16, v16, v18, vcc
	v_lshlrev_b32_e32 v2, 24, v2
	v_bfrev_b32_e32 v18, 60
	v_lshlrev_b32_e32 v16, 20, v16
	v_and_b32_e32 v2, 0x80000000, v2
	v_lshl_add_u32 v3, v3, 23, v18
	v_or3_b32 v2, v2, v3, v16
	v_lshrrev_b32_e32 v16, 16, v2
.LBB890_733:
	s_or_b64 exec, exec, s[12:13]
.LBB890_734:
	s_or_b64 exec, exec, s[10:11]
.LBB890_735:
	s_or_b64 exec, exec, s[8:9]
	s_mov_b32 s7, 0x5040100
	v_perm_b32 v3, v13, v14, s7
	v_perm_b32 v2, v11, v12, s7
	ds_read_b128 v[18:21], v22 offset:6144
	v_perm_b32 v13, v16, v17, s7
	v_perm_b32 v12, v10, v15, s7
	s_waitcnt lgkmcnt(0)
	v_mfma_f32_16x16x16bf16_1k v[6:9], v[2:3], v[18:19], v[6:9]
	v_mov_b32_e32 v3, 0
	v_cmp_ne_u16_sdwa s[10:11], v4, v3 src0_sel:BYTE_0 src1_sel:DWORD
	v_mov_b32_e32 v10, 0
	v_mfma_f32_16x16x16bf16_1k v[6:9], v[12:13], v[20:21], v[6:9]
	s_and_saveexec_b64 s[8:9], s[10:11]
	s_cbranch_execz .LBB890_741
; %bb.736:
	s_movk_i32 s7, 0x80
	v_cmp_ne_u16_sdwa s[12:13], v4, s7 src0_sel:BYTE_0 src1_sel:DWORD
	v_mov_b32_e32 v10, 0xffff8000
	s_and_saveexec_b64 s[10:11], s[12:13]
	s_cbranch_execz .LBB890_740
; %bb.737:
	s_movk_i32 s7, 0x7f
	v_and_b32_e32 v2, 0x7f, v4
	v_cmp_ne_u32_e32 vcc, s7, v2
	v_mov_b32_e32 v10, 0x7f80
	s_and_saveexec_b64 s[12:13], vcc
	s_cbranch_execz .LBB890_739
; %bb.738:
	v_and_b32_e32 v12, 7, v4
	v_ffbh_u32_e32 v10, v12
	v_min_u32_e32 v14, 32, v10
	v_subrev_u32_e32 v10, 28, v14
	v_lshlrev_b64 v[10:11], v10, v[4:5]
	v_lshrrev_b32_e32 v13, 3, v2
	v_sub_u32_e32 v11, 29, v14
	v_and_b32_e32 v10, 7, v10
	v_cmp_gt_u32_e32 vcc, 8, v2
	v_cndmask_b32_e32 v2, v13, v11, vcc
	v_cndmask_b32_e32 v10, v12, v10, vcc
	v_lshlrev_b32_e32 v11, 24, v4
	v_bfrev_b32_e32 v12, 60
	v_lshlrev_b32_e32 v10, 20, v10
	v_and_b32_e32 v11, 0x80000000, v11
	v_lshl_add_u32 v2, v2, 23, v12
	v_or3_b32 v2, v11, v2, v10
	v_lshrrev_b32_e32 v10, 16, v2
.LBB890_739:
	s_or_b64 exec, exec, s[12:13]
.LBB890_740:
	s_or_b64 exec, exec, s[10:11]
.LBB890_741:
	s_or_b64 exec, exec, s[8:9]
	v_lshrrev_b16_e32 v2, 8, v4
	v_cmp_ne_u16_e32 vcc, 0, v2
	s_and_saveexec_b64 s[8:9], vcc
	s_cbranch_execz .LBB890_747
; %bb.742:
	s_movk_i32 s7, 0x80
	v_cmp_ne_u16_e32 vcc, s7, v2
	v_mov_b32_e32 v3, 0xffff8000
	s_and_saveexec_b64 s[10:11], vcc
	s_cbranch_execz .LBB890_746
; %bb.743:
	s_movk_i32 s7, 0x7f
	v_and_b32_e32 v11, 0x7f, v2
	v_cmp_ne_u32_e32 vcc, s7, v11
	v_mov_b32_e32 v3, 0x7f80
	s_and_saveexec_b64 s[12:13], vcc
	s_cbranch_execz .LBB890_745
; %bb.744:
	v_and_b32_e32 v12, 7, v2
	v_ffbh_u32_e32 v3, v12
	v_min_u32_e32 v14, 32, v3
	v_subrev_u32_e32 v3, 28, v14
	v_lshlrev_b64 v[2:3], v3, v[2:3]
	v_lshrrev_b32_e32 v13, 3, v11
	v_sub_u32_e32 v3, 29, v14
	v_and_b32_e32 v2, 7, v2
	v_cmp_gt_u32_e32 vcc, 8, v11
	v_cndmask_b32_e32 v3, v13, v3, vcc
	v_cndmask_b32_e32 v2, v12, v2, vcc
	v_lshlrev_b32_e32 v11, 16, v4
	v_bfrev_b32_e32 v12, 60
	v_lshlrev_b32_e32 v2, 20, v2
	v_and_b32_e32 v11, 0x80000000, v11
	v_lshl_add_u32 v3, v3, 23, v12
	v_or3_b32 v2, v11, v3, v2
	v_lshrrev_b32_e32 v3, 16, v2
.LBB890_745:
	s_or_b64 exec, exec, s[12:13]
.LBB890_746:
	s_or_b64 exec, exec, s[10:11]
.LBB890_747:
	s_or_b64 exec, exec, s[8:9]
	s_movk_i32 s7, 0xff
	v_and_b32_sdwa v13, v4, s7 dst_sel:DWORD dst_unused:UNUSED_PAD src0_sel:WORD_1 src1_sel:DWORD
	v_lshrrev_b32_e32 v2, 16, v4
	v_cmp_ne_u16_e32 vcc, 0, v13
	v_mov_b32_e32 v11, 0
	v_mov_b32_e32 v12, 0
	s_and_saveexec_b64 s[8:9], vcc
	s_cbranch_execz .LBB890_753
; %bb.748:
	s_movk_i32 s7, 0x80
	v_cmp_ne_u16_e32 vcc, s7, v13
	v_mov_b32_e32 v12, 0xffff8000
	s_and_saveexec_b64 s[10:11], vcc
	s_cbranch_execz .LBB890_752
; %bb.749:
	v_bfe_u32 v13, v4, 16, 7
	s_movk_i32 s7, 0x7f
	v_cmp_ne_u32_e32 vcc, s7, v13
	v_mov_b32_e32 v12, 0x7f80
	s_and_saveexec_b64 s[12:13], vcc
	s_cbranch_execz .LBB890_751
; %bb.750:
	v_and_b32_e32 v12, 7, v2
	v_ffbh_u32_e32 v14, v12
	v_min_u32_e32 v17, 32, v14
	v_subrev_u32_e32 v14, 28, v17
	v_lshlrev_b64 v[14:15], v14, v[2:3]
	v_lshrrev_b32_e32 v16, 3, v13
	v_sub_u32_e32 v2, 29, v17
	v_and_b32_e32 v14, 7, v14
	v_cmp_gt_u32_e32 vcc, 8, v13
	v_mov_b32_e32 v13, 24
	v_cndmask_b32_e32 v2, v16, v2, vcc
	v_cndmask_b32_e32 v12, v12, v14, vcc
	v_lshlrev_b32_sdwa v13, v13, v4 dst_sel:DWORD dst_unused:UNUSED_PAD src0_sel:DWORD src1_sel:WORD_1
	v_bfrev_b32_e32 v14, 60
	v_lshlrev_b32_e32 v12, 20, v12
	v_and_b32_e32 v13, 0x80000000, v13
	v_lshl_add_u32 v2, v2, 23, v14
	v_or3_b32 v2, v13, v2, v12
	v_lshrrev_b32_e32 v12, 16, v2
.LBB890_751:
	s_or_b64 exec, exec, s[12:13]
.LBB890_752:
	s_or_b64 exec, exec, s[10:11]
.LBB890_753:
	s_or_b64 exec, exec, s[8:9]
	s_mov_b32 s7, 0xffffff
	v_cmp_lt_u32_e32 vcc, s7, v4
	s_and_saveexec_b64 s[8:9], vcc
	s_cbranch_execz .LBB890_759
; %bb.754:
	v_lshrrev_b32_e32 v2, 24, v4
	s_movk_i32 s7, 0x80
	v_cmp_ne_u32_e32 vcc, s7, v2
	v_mov_b32_e32 v11, 0xffff8000
	s_and_saveexec_b64 s[10:11], vcc
	s_cbranch_execz .LBB890_758
; %bb.755:
	v_bfe_u32 v4, v4, 24, 7
	s_movk_i32 s7, 0x7f
	v_cmp_ne_u32_e32 vcc, s7, v4
	v_mov_b32_e32 v11, 0x7f80
	s_and_saveexec_b64 s[12:13], vcc
	s_cbranch_execz .LBB890_757
; %bb.756:
	v_and_b32_e32 v11, 7, v2
	v_ffbh_u32_e32 v14, v11
	v_min_u32_e32 v16, 32, v14
	v_subrev_u32_e32 v14, 28, v16
	v_lshlrev_b64 v[14:15], v14, v[2:3]
	v_lshrrev_b32_e32 v13, 3, v4
	v_sub_u32_e32 v15, 29, v16
	v_and_b32_e32 v14, 7, v14
	v_cmp_gt_u32_e32 vcc, 8, v4
	v_cndmask_b32_e32 v4, v13, v15, vcc
	v_cndmask_b32_e32 v11, v11, v14, vcc
	v_lshlrev_b32_e32 v2, 24, v2
	v_bfrev_b32_e32 v13, 60
	v_lshlrev_b32_e32 v11, 20, v11
	v_and_b32_e32 v2, 0x80000000, v2
	v_lshl_add_u32 v4, v4, 23, v13
	v_or3_b32 v2, v2, v4, v11
	v_lshrrev_b32_e32 v11, 16, v2
.LBB890_757:
	s_or_b64 exec, exec, s[12:13]
.LBB890_758:
	s_or_b64 exec, exec, s[10:11]
.LBB890_759:
	s_or_b64 exec, exec, s[8:9]
	v_mov_b32_e32 v4, 0
	v_cmp_ne_u16_sdwa s[10:11], v5, v4 src0_sel:BYTE_0 src1_sel:DWORD
	v_mov_b32_e32 v13, 0
	s_and_saveexec_b64 s[8:9], s[10:11]
	s_cbranch_execz .LBB890_765
; %bb.760:
	s_movk_i32 s7, 0x80
	v_cmp_ne_u16_sdwa s[12:13], v5, s7 src0_sel:BYTE_0 src1_sel:DWORD
	v_mov_b32_e32 v13, 0xffff8000
	s_and_saveexec_b64 s[10:11], s[12:13]
	s_cbranch_execz .LBB890_764
; %bb.761:
	s_movk_i32 s7, 0x7f
	v_and_b32_e32 v2, 0x7f, v5
	v_cmp_ne_u32_e32 vcc, s7, v2
	v_mov_b32_e32 v13, 0x7f80
	s_and_saveexec_b64 s[12:13], vcc
	s_cbranch_execz .LBB890_763
; %bb.762:
	v_and_b32_e32 v13, 7, v5
	v_ffbh_u32_e32 v15, v13
	v_min_u32_e32 v17, 32, v15
	v_mov_b32_e32 v14, v5
	v_subrev_u32_e32 v15, 28, v17
	v_lshlrev_b64 v[14:15], v15, v[14:15]
	v_lshrrev_b32_e32 v16, 3, v2
	v_sub_u32_e32 v15, 29, v17
	v_and_b32_e32 v14, 7, v14
	v_cmp_gt_u32_e32 vcc, 8, v2
	v_cndmask_b32_e32 v2, v16, v15, vcc
	v_cndmask_b32_e32 v13, v13, v14, vcc
	v_lshlrev_b32_e32 v14, 24, v5
	v_bfrev_b32_e32 v15, 60
	v_lshlrev_b32_e32 v13, 20, v13
	v_and_b32_e32 v14, 0x80000000, v14
	v_lshl_add_u32 v2, v2, 23, v15
	v_or3_b32 v2, v14, v2, v13
	v_lshrrev_b32_e32 v13, 16, v2
.LBB890_763:
	s_or_b64 exec, exec, s[12:13]
.LBB890_764:
	s_or_b64 exec, exec, s[10:11]
.LBB890_765:
	s_or_b64 exec, exec, s[8:9]
	v_lshrrev_b16_e32 v2, 8, v5
	v_cmp_ne_u16_e32 vcc, 0, v2
	s_and_saveexec_b64 s[8:9], vcc
	s_cbranch_execz .LBB890_771
; %bb.766:
	s_movk_i32 s7, 0x80
	v_cmp_ne_u16_e32 vcc, s7, v2
	v_mov_b32_e32 v4, 0xffff8000
	s_and_saveexec_b64 s[10:11], vcc
	s_cbranch_execz .LBB890_770
; %bb.767:
	s_movk_i32 s7, 0x7f
	v_and_b32_e32 v14, 0x7f, v2
	v_cmp_ne_u32_e32 vcc, s7, v14
	v_mov_b32_e32 v4, 0x7f80
	s_and_saveexec_b64 s[12:13], vcc
	s_cbranch_execz .LBB890_769
; %bb.768:
	v_and_b32_e32 v4, 7, v2
	v_ffbh_u32_e32 v16, v4
	v_min_u32_e32 v18, 32, v16
	v_subrev_u32_e32 v16, 28, v18
	v_lshlrev_b64 v[16:17], v16, v[2:3]
	v_lshrrev_b32_e32 v15, 3, v14
	v_sub_u32_e32 v2, 29, v18
	v_and_b32_e32 v16, 7, v16
	v_cmp_gt_u32_e32 vcc, 8, v14
	v_cndmask_b32_e32 v2, v15, v2, vcc
	v_cndmask_b32_e32 v4, v4, v16, vcc
	v_lshlrev_b32_e32 v14, 16, v5
	v_bfrev_b32_e32 v15, 60
	v_lshlrev_b32_e32 v4, 20, v4
	v_and_b32_e32 v14, 0x80000000, v14
	v_lshl_add_u32 v2, v2, 23, v15
	v_or3_b32 v2, v14, v2, v4
	v_lshrrev_b32_e32 v4, 16, v2
.LBB890_769:
	s_or_b64 exec, exec, s[12:13]
.LBB890_770:
	s_or_b64 exec, exec, s[10:11]
.LBB890_771:
	s_or_b64 exec, exec, s[8:9]
	s_movk_i32 s7, 0xff
	v_and_b32_sdwa v16, v5, s7 dst_sel:DWORD dst_unused:UNUSED_PAD src0_sel:WORD_1 src1_sel:DWORD
	v_lshrrev_b32_e32 v2, 16, v5
	v_cmp_ne_u16_e32 vcc, 0, v16
	v_mov_b32_e32 v14, 0
	v_mov_b32_e32 v15, 0
	s_and_saveexec_b64 s[8:9], vcc
	s_cbranch_execz .LBB890_777
; %bb.772:
	s_movk_i32 s7, 0x80
	v_cmp_ne_u16_e32 vcc, s7, v16
	v_mov_b32_e32 v15, 0xffff8000
	s_and_saveexec_b64 s[10:11], vcc
	s_cbranch_execz .LBB890_776
; %bb.773:
	v_bfe_u32 v16, v5, 16, 7
	s_movk_i32 s7, 0x7f
	v_cmp_ne_u32_e32 vcc, s7, v16
	v_mov_b32_e32 v15, 0x7f80
	s_and_saveexec_b64 s[12:13], vcc
	s_cbranch_execz .LBB890_775
; %bb.774:
	v_and_b32_e32 v15, 7, v2
	v_ffbh_u32_e32 v18, v15
	v_min_u32_e32 v20, 32, v18
	v_subrev_u32_e32 v18, 28, v20
	v_lshlrev_b64 v[18:19], v18, v[2:3]
	v_lshrrev_b32_e32 v17, 3, v16
	v_sub_u32_e32 v2, 29, v20
	v_and_b32_e32 v18, 7, v18
	v_cmp_gt_u32_e32 vcc, 8, v16
	v_mov_b32_e32 v16, 24
	v_cndmask_b32_e32 v2, v17, v2, vcc
	v_cndmask_b32_e32 v15, v15, v18, vcc
	v_lshlrev_b32_sdwa v16, v16, v5 dst_sel:DWORD dst_unused:UNUSED_PAD src0_sel:DWORD src1_sel:WORD_1
	v_bfrev_b32_e32 v17, 60
	v_lshlrev_b32_e32 v15, 20, v15
	v_and_b32_e32 v16, 0x80000000, v16
	v_lshl_add_u32 v2, v2, 23, v17
	v_or3_b32 v2, v16, v2, v15
	v_lshrrev_b32_e32 v15, 16, v2
.LBB890_775:
	s_or_b64 exec, exec, s[12:13]
.LBB890_776:
	s_or_b64 exec, exec, s[10:11]
.LBB890_777:
	s_or_b64 exec, exec, s[8:9]
	s_mov_b32 s7, 0xffffff
	v_cmp_lt_u32_e32 vcc, s7, v5
	s_and_saveexec_b64 s[8:9], vcc
	s_cbranch_execz .LBB890_783
; %bb.778:
	v_lshrrev_b32_e32 v2, 24, v5
	s_movk_i32 s7, 0x80
	v_cmp_ne_u32_e32 vcc, s7, v2
	v_mov_b32_e32 v14, 0xffff8000
	s_and_saveexec_b64 s[10:11], vcc
	s_cbranch_execz .LBB890_782
; %bb.779:
	v_bfe_u32 v5, v5, 24, 7
	s_movk_i32 s7, 0x7f
	v_cmp_ne_u32_e32 vcc, s7, v5
	v_mov_b32_e32 v14, 0x7f80
	s_and_saveexec_b64 s[12:13], vcc
	s_cbranch_execz .LBB890_781
; %bb.780:
	v_and_b32_e32 v14, 7, v2
	v_ffbh_u32_e32 v16, v14
	v_min_u32_e32 v19, 32, v16
	v_subrev_u32_e32 v16, 28, v19
	v_lshlrev_b64 v[16:17], v16, v[2:3]
	v_lshrrev_b32_e32 v18, 3, v5
	v_sub_u32_e32 v17, 29, v19
	v_and_b32_e32 v16, 7, v16
	v_cmp_gt_u32_e32 vcc, 8, v5
	v_cndmask_b32_e32 v5, v18, v17, vcc
	v_cndmask_b32_e32 v14, v14, v16, vcc
	v_lshlrev_b32_e32 v2, 24, v2
	v_bfrev_b32_e32 v16, 60
	v_lshlrev_b32_e32 v14, 20, v14
	v_and_b32_e32 v2, 0x80000000, v2
	v_lshl_add_u32 v5, v5, 23, v16
	v_or3_b32 v2, v2, v5, v14
	v_lshrrev_b32_e32 v14, 16, v2
.LBB890_781:
	s_or_b64 exec, exec, s[12:13]
.LBB890_782:
	s_or_b64 exec, exec, s[10:11]
.LBB890_783:
	s_or_b64 exec, exec, s[8:9]
	s_mov_b32 s7, 0x5040100
	v_perm_b32 v11, v11, v12, s7
	ds_read_b128 v[16:19], v22 offset:6160
	v_perm_b32 v10, v3, v10, s7
	v_perm_b32 v3, v14, v15, s7
	;; [unrolled: 1-line block ×3, first 2 shown]
	s_waitcnt lgkmcnt(0)
	v_mfma_f32_16x16x16bf16_1k v[6:9], v[10:11], v[16:17], v[6:9]
	s_load_dword s8, s[42:43], 0x0
	s_movk_i32 s9, 0x7fff
	s_mov_b32 s7, 0x7060302
	v_cmp_gt_u32_e32 vcc, 64, v0
	s_and_b64 s[0:1], vcc, s[0:1]
	s_waitcnt lgkmcnt(0)
	s_barrier
	v_mfma_f32_16x16x16bf16_1k v[2:5], v[2:3], v[18:19], v[6:9]
	s_nop 7
	s_nop 2
	v_pk_mul_f32 v[4:5], v[4:5], s[8:9] op_sel_hi:[1,0]
	v_pk_mul_f32 v[2:3], v[2:3], s[8:9] op_sel_hi:[1,0]
	v_bfe_u32 v6, v3, 16, 1
	v_bfe_u32 v7, v2, 16, 1
	v_bfe_u32 v8, v5, 16, 1
	v_bfe_u32 v9, v4, 16, 1
	v_add3_u32 v2, v2, v7, s9
	v_add3_u32 v3, v3, v6, s9
	v_add3_u32 v4, v4, v9, s9
	v_add3_u32 v5, v5, v8, s9
	v_perm_b32 v2, v3, v2, s7
	v_perm_b32 v3, v5, v4, s7
	ds_write_b64 v28, v[2:3]
	s_waitcnt lgkmcnt(0)
	s_barrier
	s_and_saveexec_b64 s[8:9], s[0:1]
	s_cbranch_execz .LBB890_786
; %bb.784:
	s_load_dwordx2 s[4:5], s[4:5], 0x68
	s_lshl_b32 s0, s44, 6
	s_mul_i32 s1, s14, s6
	s_mul_hi_u32 s9, s1, s0
	s_mul_i32 s8, s1, s0
	s_lshl_b64 s[8:9], s[8:9], 1
	s_waitcnt lgkmcnt(0)
	s_add_u32 s1, s4, s8
	v_lshlrev_b32_e32 v0, 10, v0
	s_mov_b32 s7, 0
	s_addc_u32 s8, s5, s9
	s_lshl_b32 s6, s24, 6
	v_and_b32_e32 v0, 0x1800, v0
	v_lshlrev_b32_e32 v2, 5, v1
	v_and_b32_e32 v3, 16, v47
	s_lshl_b64 s[4:5], s[6:7], 1
	v_or3_b32 v0, v0, v2, v3
	s_add_u32 s1, s1, s4
	ds_read_b128 v[4:7], v0 offset:256
	s_addc_u32 s4, s8, s5
	ds_read_b128 v[8:11], v0 offset:128
	ds_read_b128 v[12:15], v0
	v_add_u32_e32 v18, s25, v1
	v_mov_b32_e32 v3, s4
	v_add_co_u32_e32 v2, vcc, s1, v46
	v_mad_u64_u32 v[16:17], s[4:5], v18, s0, 0
	v_addc_co_u32_e32 v3, vcc, 0, v3, vcc
	v_lshlrev_b64 v[16:17], 1, v[16:17]
	v_add_co_u32_e32 v16, vcc, v2, v16
	v_addc_co_u32_e32 v17, vcc, v3, v17, vcc
	s_waitcnt lgkmcnt(0)
	global_store_dwordx4 v[16:17], v[12:15], off
	s_nop 0
	v_add_u32_e32 v12, 4, v18
	v_mad_u64_u32 v[12:13], s[4:5], v12, s0, 0
	v_lshlrev_b64 v[12:13], 1, v[12:13]
	v_add_co_u32_e32 v12, vcc, v2, v12
	v_addc_co_u32_e32 v13, vcc, v3, v13, vcc
	global_store_dwordx4 v[12:13], v[8:11], off
	s_nop 0
	v_add_u32_e32 v8, 8, v18
	v_mad_u64_u32 v[8:9], s[4:5], v8, s0, 0
	v_lshlrev_b64 v[8:9], 1, v[8:9]
	v_add_co_u32_e32 v8, vcc, v2, v8
	v_addc_co_u32_e32 v9, vcc, v3, v9, vcc
	global_store_dwordx4 v[8:9], v[4:7], off
	s_and_b64 exec, exec, s[2:3]
	s_cbranch_execz .LBB890_786
; %bb.785:
	ds_read_b128 v[4:7], v0 offset:384
	v_add3_u32 v0, s25, v1, 12
	v_mad_u64_u32 v[0:1], s[0:1], v0, s0, 0
	v_lshlrev_b64 v[0:1], 1, v[0:1]
	v_add_co_u32_e32 v0, vcc, v2, v0
	v_addc_co_u32_e32 v1, vcc, v3, v1, vcc
	s_waitcnt lgkmcnt(0)
	global_store_dwordx4 v[0:1], v[4:7], off
.LBB890_786:
	s_endpgm
	.section	.rodata,"a",@progbits
	.p2align	6, 0x0
	.amdhsa_kernel _Z39paged_attention_ll4mi_QKV_mfma16_kernelI14__hip_bfloat16hLN4vllm18Fp8KVCacheDataTypeE1ES0_Li32ELi64ELi256ELb0ELi13EL8MFMAType0EEvPKT_PKT0_S9_ifPKiSB_SB_iPKfiiiPfSE_PS4_PT2_iSD_SD_
		.amdhsa_group_segment_fixed_size 8192
		.amdhsa_private_segment_fixed_size 0
		.amdhsa_kernarg_size 400
		.amdhsa_user_sgpr_count 6
		.amdhsa_user_sgpr_private_segment_buffer 1
		.amdhsa_user_sgpr_dispatch_ptr 0
		.amdhsa_user_sgpr_queue_ptr 0
		.amdhsa_user_sgpr_kernarg_segment_ptr 1
		.amdhsa_user_sgpr_dispatch_id 0
		.amdhsa_user_sgpr_flat_scratch_init 0
		.amdhsa_user_sgpr_kernarg_preload_length 0
		.amdhsa_user_sgpr_kernarg_preload_offset 0
		.amdhsa_user_sgpr_private_segment_size 0
		.amdhsa_uses_dynamic_stack 0
		.amdhsa_system_sgpr_private_segment_wavefront_offset 0
		.amdhsa_system_sgpr_workgroup_id_x 1
		.amdhsa_system_sgpr_workgroup_id_y 1
		.amdhsa_system_sgpr_workgroup_id_z 1
		.amdhsa_system_sgpr_workgroup_info 0
		.amdhsa_system_vgpr_workitem_id 0
		.amdhsa_next_free_vgpr 62
		.amdhsa_next_free_sgpr 47
		.amdhsa_accum_offset 64
		.amdhsa_reserve_vcc 1
		.amdhsa_reserve_flat_scratch 0
		.amdhsa_float_round_mode_32 0
		.amdhsa_float_round_mode_16_64 0
		.amdhsa_float_denorm_mode_32 3
		.amdhsa_float_denorm_mode_16_64 3
		.amdhsa_dx10_clamp 1
		.amdhsa_ieee_mode 1
		.amdhsa_fp16_overflow 0
		.amdhsa_tg_split 0
		.amdhsa_exception_fp_ieee_invalid_op 0
		.amdhsa_exception_fp_denorm_src 0
		.amdhsa_exception_fp_ieee_div_zero 0
		.amdhsa_exception_fp_ieee_overflow 0
		.amdhsa_exception_fp_ieee_underflow 0
		.amdhsa_exception_fp_ieee_inexact 0
		.amdhsa_exception_int_div_zero 0
	.end_amdhsa_kernel
	.section	.text._Z39paged_attention_ll4mi_QKV_mfma16_kernelI14__hip_bfloat16hLN4vllm18Fp8KVCacheDataTypeE1ES0_Li32ELi64ELi256ELb0ELi13EL8MFMAType0EEvPKT_PKT0_S9_ifPKiSB_SB_iPKfiiiPfSE_PS4_PT2_iSD_SD_,"axG",@progbits,_Z39paged_attention_ll4mi_QKV_mfma16_kernelI14__hip_bfloat16hLN4vllm18Fp8KVCacheDataTypeE1ES0_Li32ELi64ELi256ELb0ELi13EL8MFMAType0EEvPKT_PKT0_S9_ifPKiSB_SB_iPKfiiiPfSE_PS4_PT2_iSD_SD_,comdat
.Lfunc_end890:
	.size	_Z39paged_attention_ll4mi_QKV_mfma16_kernelI14__hip_bfloat16hLN4vllm18Fp8KVCacheDataTypeE1ES0_Li32ELi64ELi256ELb0ELi13EL8MFMAType0EEvPKT_PKT0_S9_ifPKiSB_SB_iPKfiiiPfSE_PS4_PT2_iSD_SD_, .Lfunc_end890-_Z39paged_attention_ll4mi_QKV_mfma16_kernelI14__hip_bfloat16hLN4vllm18Fp8KVCacheDataTypeE1ES0_Li32ELi64ELi256ELb0ELi13EL8MFMAType0EEvPKT_PKT0_S9_ifPKiSB_SB_iPKfiiiPfSE_PS4_PT2_iSD_SD_
                                        ; -- End function
	.section	.AMDGPU.csdata,"",@progbits
; Kernel info:
; codeLenInByte = 28468
; NumSgprs: 51
; NumVgprs: 62
; NumAgprs: 0
; TotalNumVgprs: 62
; ScratchSize: 0
; MemoryBound: 0
; FloatMode: 240
; IeeeMode: 1
; LDSByteSize: 8192 bytes/workgroup (compile time only)
; SGPRBlocks: 6
; VGPRBlocks: 7
; NumSGPRsForWavesPerEU: 51
; NumVGPRsForWavesPerEU: 62
; AccumOffset: 64
; Occupancy: 8
; WaveLimiterHint : 1
; COMPUTE_PGM_RSRC2:SCRATCH_EN: 0
; COMPUTE_PGM_RSRC2:USER_SGPR: 6
; COMPUTE_PGM_RSRC2:TRAP_HANDLER: 0
; COMPUTE_PGM_RSRC2:TGID_X_EN: 1
; COMPUTE_PGM_RSRC2:TGID_Y_EN: 1
; COMPUTE_PGM_RSRC2:TGID_Z_EN: 1
; COMPUTE_PGM_RSRC2:TIDIG_COMP_CNT: 0
; COMPUTE_PGM_RSRC3_GFX90A:ACCUM_OFFSET: 15
; COMPUTE_PGM_RSRC3_GFX90A:TG_SPLIT: 0
	.section	.text._Z39paged_attention_ll4mi_QKV_mfma16_kernelI14__hip_bfloat16hLN4vllm18Fp8KVCacheDataTypeE1ES0_Li32ELi64ELi256ELb0ELi14EL8MFMAType0EEvPKT_PKT0_S9_ifPKiSB_SB_iPKfiiiPfSE_PS4_PT2_iSD_SD_,"axG",@progbits,_Z39paged_attention_ll4mi_QKV_mfma16_kernelI14__hip_bfloat16hLN4vllm18Fp8KVCacheDataTypeE1ES0_Li32ELi64ELi256ELb0ELi14EL8MFMAType0EEvPKT_PKT0_S9_ifPKiSB_SB_iPKfiiiPfSE_PS4_PT2_iSD_SD_,comdat
	.protected	_Z39paged_attention_ll4mi_QKV_mfma16_kernelI14__hip_bfloat16hLN4vllm18Fp8KVCacheDataTypeE1ES0_Li32ELi64ELi256ELb0ELi14EL8MFMAType0EEvPKT_PKT0_S9_ifPKiSB_SB_iPKfiiiPfSE_PS4_PT2_iSD_SD_ ; -- Begin function _Z39paged_attention_ll4mi_QKV_mfma16_kernelI14__hip_bfloat16hLN4vllm18Fp8KVCacheDataTypeE1ES0_Li32ELi64ELi256ELb0ELi14EL8MFMAType0EEvPKT_PKT0_S9_ifPKiSB_SB_iPKfiiiPfSE_PS4_PT2_iSD_SD_
	.globl	_Z39paged_attention_ll4mi_QKV_mfma16_kernelI14__hip_bfloat16hLN4vllm18Fp8KVCacheDataTypeE1ES0_Li32ELi64ELi256ELb0ELi14EL8MFMAType0EEvPKT_PKT0_S9_ifPKiSB_SB_iPKfiiiPfSE_PS4_PT2_iSD_SD_
	.p2align	8
	.type	_Z39paged_attention_ll4mi_QKV_mfma16_kernelI14__hip_bfloat16hLN4vllm18Fp8KVCacheDataTypeE1ES0_Li32ELi64ELi256ELb0ELi14EL8MFMAType0EEvPKT_PKT0_S9_ifPKiSB_SB_iPKfiiiPfSE_PS4_PT2_iSD_SD_,@function
_Z39paged_attention_ll4mi_QKV_mfma16_kernelI14__hip_bfloat16hLN4vllm18Fp8KVCacheDataTypeE1ES0_Li32ELi64ELi256ELb0ELi14EL8MFMAType0EEvPKT_PKT0_S9_ifPKiSB_SB_iPKfiiiPfSE_PS4_PT2_iSD_SD_: ; @_Z39paged_attention_ll4mi_QKV_mfma16_kernelI14__hip_bfloat16hLN4vllm18Fp8KVCacheDataTypeE1ES0_Li32ELi64ELi256ELb0ELi14EL8MFMAType0EEvPKT_PKT0_S9_ifPKiSB_SB_iPKfiiiPfSE_PS4_PT2_iSD_SD_
; %bb.0:
	s_load_dwordx2 s[0:1], s[4:5], 0x30
	s_mov_b32 s24, s7
	s_mov_b64 s[10:11], 0
	s_waitcnt lgkmcnt(0)
	s_cmp_lg_u64 s[0:1], 0
	s_cselect_b64 s[2:3], -1, 0
	s_and_b64 vcc, exec, s[2:3]
	s_cbranch_vccz .LBB891_7
; %bb.1:
	s_add_i32 s12, s6, 1
	s_mov_b32 s13, 0
	s_lshl_b64 s[14:15], s[12:13], 2
	s_add_u32 s14, s0, s14
	s_mov_b32 s7, s13
	s_addc_u32 s15, s1, s15
	s_lshl_b64 s[12:13], s[6:7], 2
	s_add_u32 s12, s0, s12
	s_addc_u32 s13, s1, s13
	s_load_dword s9, s[14:15], 0x0
	s_load_dword s16, s[12:13], 0x0
	s_waitcnt lgkmcnt(0)
	s_sub_i32 s9, s9, s16
	s_cmp_eq_u32 s9, 1
	s_cselect_b64 s[12:13], -1, 0
	s_andn2_b64 vcc, exec, s[10:11]
	s_cbranch_vccnz .LBB891_3
.LBB891_2:
	s_mov_b32 s7, 0
	s_mov_b64 s[12:13], -1
.LBB891_3:
	s_andn2_b64 vcc, exec, s[12:13]
	s_cbranch_vccnz .LBB891_786
; %bb.4:
	s_load_dwordx2 s[12:13], s[4:5], 0x28
	s_lshl_b64 s[10:11], s[6:7], 2
	s_waitcnt lgkmcnt(0)
	s_add_u32 s12, s12, s10
	s_addc_u32 s13, s13, s11
	s_load_dword s33, s[12:13], 0x0
	s_lshl_b32 s20, s24, 8
	s_waitcnt lgkmcnt(0)
	s_cmp_ge_i32 s20, s33
	s_cbranch_scc1 .LBB891_786
; %bb.5:
	s_add_i32 s14, s33, 31
	s_load_dwordx2 s[12:13], s[4:5], 0x20
	s_load_dword s9, s[4:5], 0x38
	s_ashr_i32 s15, s14, 31
	v_and_b32_e32 v1, 0xcf, v0
	s_lshr_b32 s15, s15, 27
	v_add_u32_e32 v1, s20, v1
	s_add_i32 s14, s14, s15
	v_ashrrev_i32_e32 v2, 31, v1
	s_ashr_i32 s22, s14, 5
	v_lshrrev_b32_e32 v4, 27, v2
	s_add_i32 s22, s22, -1
	v_add_u32_e32 v2, v1, v4
	s_waitcnt lgkmcnt(0)
	s_mul_i32 s14, s6, s9
	s_mov_b32 s15, 0
	v_ashrrev_i32_e32 v2, 5, v2
	v_mov_b32_e32 v5, s22
	v_cmp_gt_i32_e32 vcc, s33, v1
	s_lshl_b64 s[14:15], s[14:15], 2
	v_cndmask_b32_e32 v2, v5, v2, vcc
	s_add_u32 s9, s12, s14
	v_ashrrev_i32_e32 v3, 31, v2
	s_addc_u32 s21, s13, s15
	v_lshlrev_b64 v[2:3], 2, v[2:3]
	v_mov_b32_e32 v7, s21
	v_add_co_u32_e32 v6, vcc, s9, v2
	v_or_b32_e32 v2, 16, v1
	v_addc_co_u32_e32 v7, vcc, v7, v3, vcc
	v_add_u32_e32 v3, v2, v4
	v_ashrrev_i32_e32 v3, 5, v3
	v_cmp_gt_i32_e32 vcc, s33, v2
	v_cndmask_b32_e32 v2, v5, v3, vcc
	v_ashrrev_i32_e32 v3, 31, v2
	v_lshlrev_b64 v[2:3], 2, v[2:3]
	v_mov_b32_e32 v9, s21
	v_add_co_u32_e32 v8, vcc, s9, v2
	v_or_b32_e32 v2, 32, v1
	v_addc_co_u32_e32 v9, vcc, v9, v3, vcc
	v_add_u32_e32 v3, v2, v4
	v_ashrrev_i32_e32 v3, 5, v3
	v_cmp_gt_i32_e32 vcc, s33, v2
	v_cndmask_b32_e32 v2, v5, v3, vcc
	v_ashrrev_i32_e32 v3, 31, v2
	;; [unrolled: 10-line block ×3, first 2 shown]
	v_lshlrev_b64 v[2:3], 2, v[2:3]
	v_mov_b32_e32 v1, s21
	v_add_co_u32_e32 v12, vcc, s9, v2
	v_addc_co_u32_e32 v13, vcc, v1, v3, vcc
	global_load_dword v5, v[6:7], off
	global_load_dword v4, v[8:9], off
	global_load_dword v3, v[10:11], off
	global_load_dword v2, v[12:13], off
	s_load_dwordx4 s[12:15], s[4:5], 0x8
	s_andn2_b64 vcc, exec, s[2:3]
	s_cbranch_vccnz .LBB891_8
; %bb.6:
	s_add_u32 s0, s0, s10
	s_addc_u32 s1, s1, s11
	s_load_dword s10, s[0:1], 0x0
	s_branch .LBB891_9
.LBB891_7:
	s_mov_b64 s[12:13], 0
	s_branch .LBB891_2
.LBB891_8:
	s_mov_b32 s10, s6
.LBB891_9:
	s_load_dwordx4 s[16:19], s[4:5], 0x48
	v_lshrrev_b32_e32 v50, 6, v0
	v_bfe_u32 v1, v0, 4, 2
	v_lshl_or_b32 v6, v50, 2, v1
	v_and_b32_e32 v49, 15, v0
	v_lshlrev_b32_e32 v7, 3, v49
	v_cmp_gt_u32_e32 vcc, 14, v6
	v_cmp_gt_u32_e64 s[0:1], 8, v49
	s_mul_i32 s25, s8, 14
	s_and_b64 s[26:27], s[0:1], vcc
	v_lshlrev_b32_e32 v46, 1, v7
	v_lshlrev_b32_e32 v47, 4, v0
	s_and_saveexec_b64 s[2:3], s[26:27]
	s_cbranch_execz .LBB891_11
; %bb.10:
	s_load_dwordx2 s[26:27], s[4:5], 0x0
	s_waitcnt lgkmcnt(0)
	s_ashr_i32 s11, s16, 31
	s_mul_hi_u32 s19, s10, s16
	s_mul_i32 s11, s10, s11
	s_add_i32 s11, s19, s11
	s_mul_i32 s10, s10, s16
	s_lshl_b64 s[10:11], s[10:11], 1
	v_add_lshl_u32 v8, v6, s25, 6
	s_add_u32 s10, s26, s10
	v_ashrrev_i32_e32 v9, 31, v8
	s_addc_u32 s11, s27, s11
	v_lshlrev_b64 v[8:9], 1, v[8:9]
	v_mov_b32_e32 v7, s11
	v_add_co_u32_e32 v8, vcc, s10, v8
	v_addc_co_u32_e32 v7, vcc, v7, v9, vcc
	v_add_co_u32_e32 v8, vcc, v8, v46
	v_addc_co_u32_e32 v9, vcc, 0, v7, vcc
	global_load_dwordx4 v[8:11], v[8:9], off
	v_lshlrev_b32_e32 v12, 8, v49
	v_lshlrev_b32_e32 v6, 5, v6
	v_and_b32_e32 v7, 16, v47
	v_and_b32_e32 v12, 0xe00, v12
	v_or3_b32 v6, v12, v6, v7
	s_waitcnt vmcnt(0)
	ds_write_b128 v6, v[8:11]
.LBB891_11:
	s_or_b64 exec, exec, s[2:3]
	s_waitcnt lgkmcnt(0)
	s_mul_i32 s8, s8, s18
	s_add_u32 s2, s12, s8
	s_addc_u32 s3, s13, 0
	v_and_b32_e32 v12, 48, v0
	s_ashr_i32 s10, s20, 31
	v_or_b32_e32 v13, s20, v12
	s_lshr_b32 s10, s10, 27
	v_add_u32_e32 v6, s10, v13
	v_ashrrev_i32_e32 v6, 5, v6
	v_mov_b32_e32 v14, s22
	v_cmp_gt_i32_e32 vcc, s33, v13
	v_cndmask_b32_e32 v6, v14, v6, vcc
	v_ashrrev_i32_e32 v7, 31, v6
	v_lshlrev_b64 v[6:7], 2, v[6:7]
	v_mov_b32_e32 v8, s21
	v_add_co_u32_e32 v6, vcc, s9, v6
	v_addc_co_u32_e32 v7, vcc, v8, v7, vcc
	v_or_b32_e32 v8, 64, v13
	v_add_u32_e32 v9, s10, v8
	v_ashrrev_i32_e32 v9, 5, v9
	v_cmp_gt_i32_e32 vcc, s33, v8
	v_cndmask_b32_e32 v8, v14, v9, vcc
	v_ashrrev_i32_e32 v9, 31, v8
	v_lshlrev_b64 v[8:9], 2, v[8:9]
	v_mov_b32_e32 v10, s21
	v_add_co_u32_e32 v8, vcc, s9, v8
	v_addc_co_u32_e32 v9, vcc, v10, v9, vcc
	v_or_b32_e32 v10, 0x80, v13
	v_add_u32_e32 v11, s10, v10
	v_ashrrev_i32_e32 v11, 5, v11
	v_cmp_gt_i32_e32 vcc, s33, v10
	v_cndmask_b32_e32 v10, v14, v11, vcc
	v_ashrrev_i32_e32 v11, 31, v10
	v_lshlrev_b64 v[10:11], 2, v[10:11]
	v_mov_b32_e32 v15, s21
	v_add_co_u32_e32 v10, vcc, s9, v10
	s_load_dwordx2 s[44:45], s[4:5], 0x94
	s_load_dwordx4 s[40:43], s[4:5], 0x80
	s_waitcnt lgkmcnt(0)
	s_barrier
	v_addc_co_u32_e32 v11, vcc, v15, v11, vcc
	global_load_dword v15, v[6:7], off
	global_load_dword v16, v[8:9], off
	;; [unrolled: 1-line block ×3, first 2 shown]
	v_or_b32_e32 v6, 0xc0, v13
	v_add_u32_e32 v7, s10, v6
	v_ashrrev_i32_e32 v7, 5, v7
	v_cmp_gt_i32_e32 vcc, s33, v6
	v_cndmask_b32_e32 v6, v14, v7, vcc
	v_ashrrev_i32_e32 v7, 31, v6
	v_lshlrev_b64 v[6:7], 2, v[6:7]
	v_mov_b32_e32 v8, s21
	v_add_co_u32_e32 v6, vcc, s9, v6
	v_addc_co_u32_e32 v7, vcc, v8, v7, vcc
	global_load_dword v20, v[6:7], off
	v_pk_mov_b32 v[6:7], s[2:3], s[2:3] op_sel:[0,1]
	s_waitcnt vmcnt(7)
	v_mad_i64_i32 v[8:9], s[2:3], v5, s17, v[6:7]
	v_lshlrev_b32_e32 v11, 4, v49
	v_add_co_u32_e32 v5, vcc, v8, v11
	v_lshlrev_b32_e32 v10, 5, v12
	v_addc_co_u32_e32 v9, vcc, 0, v9, vcc
	v_add_co_u32_e32 v8, vcc, v5, v10
	v_addc_co_u32_e32 v9, vcc, 0, v9, vcc
	s_waitcnt vmcnt(6)
	v_mad_i64_i32 v[4:5], s[2:3], v4, s17, v[6:7]
	v_or_b32_e32 v12, 0x100, v11
	v_add_co_u32_e32 v4, vcc, v4, v12
	v_addc_co_u32_e32 v5, vcc, 0, v5, vcc
	v_add_co_u32_e32 v4, vcc, v4, v10
	v_addc_co_u32_e32 v5, vcc, 0, v5, vcc
	global_load_dwordx4 v[30:33], v[8:9], off
	global_load_dwordx4 v[38:41], v[4:5], off
	s_waitcnt vmcnt(7)
	v_mad_i64_i32 v[4:5], s[2:3], v3, s17, v[6:7]
	v_add_co_u32_e32 v3, vcc, v4, v11
	v_addc_co_u32_e32 v5, vcc, 0, v5, vcc
	v_add_co_u32_e32 v4, vcc, v3, v10
	v_addc_co_u32_e32 v5, vcc, 0, v5, vcc
	s_waitcnt vmcnt(6)
	v_mad_i64_i32 v[2:3], s[2:3], v2, s17, v[6:7]
	v_add_co_u32_e32 v2, vcc, v2, v12
	v_addc_co_u32_e32 v3, vcc, 0, v3, vcc
	v_add_co_u32_e32 v2, vcc, v2, v10
	s_add_u32 s2, s14, s8
	v_addc_co_u32_e32 v3, vcc, 0, v3, vcc
	global_load_dwordx4 v[34:37], v[4:5], off
	global_load_dwordx4 v[22:25], v[2:3], off
	s_addc_u32 s3, s15, 0
	v_and_b32_e32 v2, 16, v0
	v_mov_b32_e32 v3, s3
	v_add_co_u32_e32 v2, vcc, s2, v2
	v_lshlrev_b32_e32 v48, 5, v49
	v_addc_co_u32_e32 v3, vcc, 0, v3, vcc
	v_lshl_or_b32 v4, v50, 9, v48
	v_add_co_u32_e32 v2, vcc, v2, v4
	v_addc_co_u32_e32 v3, vcc, 0, v3, vcc
	v_cmp_gt_u32_e32 vcc, 14, v49
	v_mov_b32_e32 v44, 0
	v_mov_b32_e32 v43, 0
	s_movk_i32 s8, 0x80
	s_waitcnt vmcnt(7)
	v_mad_i64_i32 v[4:5], s[2:3], v15, s17, v[2:3]
	s_waitcnt vmcnt(6)
	v_mad_i64_i32 v[6:7], s[2:3], v16, s17, v[2:3]
	;; [unrolled: 2-line block ×3, first 2 shown]
	global_load_dwordx4 v[14:17], v[4:5], off
	global_load_dwordx4 v[10:13], v[6:7], off
	s_waitcnt vmcnt(6)
	v_mad_i64_i32 v[20:21], s[2:3], v20, s17, v[2:3]
	global_load_dwordx4 v[6:9], v[18:19], off
	global_load_dwordx4 v[2:5], v[20:21], off
	v_add_u32_e32 v18, -14, v49
	v_cndmask_b32_e32 v18, v18, v49, vcc
	v_lshlrev_b32_e32 v18, 5, v18
	v_lshl_add_u32 v18, v1, 9, v18
	ds_read_b128 v[26:29], v18
	ds_read_b128 v[18:21], v18 offset:16
	s_load_dword s12, s[40:41], 0x0
	s_waitcnt vmcnt(7)
	v_cmp_ne_u16_sdwa s[10:11], v30, v44 src0_sel:BYTE_0 src1_sel:DWORD
	s_and_saveexec_b64 s[2:3], s[10:11]
	s_cbranch_execz .LBB891_17
; %bb.12:
	v_cmp_ne_u16_sdwa s[10:11], v30, s8 src0_sel:BYTE_0 src1_sel:DWORD
	v_mov_b32_e32 v43, 0xffff8000
	s_and_saveexec_b64 s[8:9], s[10:11]
	s_cbranch_execz .LBB891_16
; %bb.13:
	s_movk_i32 s10, 0x7f
	v_and_b32_e32 v42, 0x7f, v30
	v_cmp_ne_u32_e32 vcc, s10, v42
	v_mov_b32_e32 v43, 0x7f80
	s_and_saveexec_b64 s[10:11], vcc
	s_cbranch_execz .LBB891_15
; %bb.14:
	v_and_b32_e32 v43, 7, v30
	v_ffbh_u32_e32 v51, v43
	v_min_u32_e32 v51, 32, v51
	v_subrev_u32_e32 v52, 28, v51
	v_lshlrev_b64 v[52:53], v52, v[30:31]
	v_lshrrev_b32_e32 v45, 3, v42
	v_sub_u32_e32 v51, 29, v51
	v_and_b32_e32 v52, 7, v52
	v_cmp_gt_u32_e32 vcc, 8, v42
	v_cndmask_b32_e32 v42, v45, v51, vcc
	v_cndmask_b32_e32 v43, v43, v52, vcc
	v_lshlrev_b32_e32 v45, 24, v30
	v_bfrev_b32_e32 v51, 60
	v_lshlrev_b32_e32 v43, 20, v43
	v_and_b32_e32 v45, 0x80000000, v45
	v_lshl_add_u32 v42, v42, 23, v51
	v_or3_b32 v42, v45, v42, v43
	v_lshrrev_b32_e32 v43, 16, v42
.LBB891_15:
	s_or_b64 exec, exec, s[10:11]
.LBB891_16:
	s_or_b64 exec, exec, s[8:9]
.LBB891_17:
	s_or_b64 exec, exec, s[2:3]
	v_lshrrev_b16_e32 v42, 8, v30
	v_cmp_ne_u16_e32 vcc, 0, v42
	s_and_saveexec_b64 s[2:3], vcc
	s_cbranch_execz .LBB891_23
; %bb.18:
	s_movk_i32 s8, 0x80
	v_cmp_ne_u16_e32 vcc, s8, v42
	v_mov_b32_e32 v44, 0xffff8000
	s_and_saveexec_b64 s[8:9], vcc
	s_cbranch_execz .LBB891_22
; %bb.19:
	s_movk_i32 s10, 0x7f
	v_and_b32_e32 v45, 0x7f, v42
	v_cmp_ne_u32_e32 vcc, s10, v45
	v_mov_b32_e32 v44, 0x7f80
	s_and_saveexec_b64 s[10:11], vcc
	s_cbranch_execz .LBB891_21
; %bb.20:
	v_and_b32_e32 v44, 7, v42
	v_ffbh_u32_e32 v52, v44
	v_min_u32_e32 v54, 32, v52
	v_subrev_u32_e32 v52, 28, v54
	v_lshlrev_b64 v[52:53], v52, v[42:43]
	v_lshrrev_b32_e32 v51, 3, v45
	v_sub_u32_e32 v42, 29, v54
	v_and_b32_e32 v52, 7, v52
	v_cmp_gt_u32_e32 vcc, 8, v45
	v_cndmask_b32_e32 v42, v51, v42, vcc
	v_cndmask_b32_e32 v44, v44, v52, vcc
	v_lshlrev_b32_e32 v45, 16, v30
	v_bfrev_b32_e32 v51, 60
	v_lshlrev_b32_e32 v44, 20, v44
	v_and_b32_e32 v45, 0x80000000, v45
	v_lshl_add_u32 v42, v42, 23, v51
	v_or3_b32 v42, v45, v42, v44
	v_lshrrev_b32_e32 v44, 16, v42
.LBB891_21:
	s_or_b64 exec, exec, s[10:11]
.LBB891_22:
	s_or_b64 exec, exec, s[8:9]
.LBB891_23:
	s_or_b64 exec, exec, s[2:3]
	s_movk_i32 s2, 0xff
	v_and_b32_sdwa v52, v30, s2 dst_sel:DWORD dst_unused:UNUSED_PAD src0_sel:WORD_1 src1_sel:DWORD
	v_lshrrev_b32_e32 v42, 16, v30
	v_cmp_ne_u16_e32 vcc, 0, v52
	v_mov_b32_e32 v45, 0
	v_mov_b32_e32 v51, 0
	s_and_saveexec_b64 s[2:3], vcc
	s_cbranch_execz .LBB891_29
; %bb.24:
	s_movk_i32 s8, 0x80
	v_cmp_ne_u16_e32 vcc, s8, v52
	v_mov_b32_e32 v51, 0xffff8000
	s_and_saveexec_b64 s[8:9], vcc
	s_cbranch_execz .LBB891_28
; %bb.25:
	v_bfe_u32 v52, v30, 16, 7
	s_movk_i32 s10, 0x7f
	v_cmp_ne_u32_e32 vcc, s10, v52
	v_mov_b32_e32 v51, 0x7f80
	s_and_saveexec_b64 s[10:11], vcc
	s_cbranch_execz .LBB891_27
; %bb.26:
	v_and_b32_e32 v51, 7, v42
	v_ffbh_u32_e32 v54, v51
	v_min_u32_e32 v56, 32, v54
	v_subrev_u32_e32 v54, 28, v56
	v_lshlrev_b64 v[54:55], v54, v[42:43]
	v_lshrrev_b32_e32 v53, 3, v52
	v_sub_u32_e32 v42, 29, v56
	v_and_b32_e32 v54, 7, v54
	v_cmp_gt_u32_e32 vcc, 8, v52
	v_mov_b32_e32 v52, 24
	v_cndmask_b32_e32 v42, v53, v42, vcc
	v_cndmask_b32_e32 v51, v51, v54, vcc
	v_lshlrev_b32_sdwa v52, v52, v30 dst_sel:DWORD dst_unused:UNUSED_PAD src0_sel:DWORD src1_sel:WORD_1
	v_bfrev_b32_e32 v53, 60
	v_lshlrev_b32_e32 v51, 20, v51
	v_and_b32_e32 v52, 0x80000000, v52
	v_lshl_add_u32 v42, v42, 23, v53
	v_or3_b32 v42, v52, v42, v51
	v_lshrrev_b32_e32 v51, 16, v42
.LBB891_27:
	s_or_b64 exec, exec, s[10:11]
.LBB891_28:
	s_or_b64 exec, exec, s[8:9]
.LBB891_29:
	s_or_b64 exec, exec, s[2:3]
	s_mov_b32 s2, 0xffffff
	v_cmp_lt_u32_e32 vcc, s2, v30
	s_and_saveexec_b64 s[2:3], vcc
	s_cbranch_execz .LBB891_35
; %bb.30:
	v_lshrrev_b32_e32 v42, 24, v30
	s_movk_i32 s8, 0x80
	v_cmp_ne_u32_e32 vcc, s8, v42
	v_mov_b32_e32 v45, 0xffff8000
	s_and_saveexec_b64 s[8:9], vcc
	s_cbranch_execz .LBB891_34
; %bb.31:
	v_bfe_u32 v30, v30, 24, 7
	s_movk_i32 s10, 0x7f
	v_cmp_ne_u32_e32 vcc, s10, v30
	v_mov_b32_e32 v45, 0x7f80
	s_and_saveexec_b64 s[10:11], vcc
	s_cbranch_execz .LBB891_33
; %bb.32:
	v_and_b32_e32 v45, 7, v42
	v_ffbh_u32_e32 v52, v45
	v_min_u32_e32 v55, 32, v52
	v_subrev_u32_e32 v52, 28, v55
	v_lshlrev_b64 v[52:53], v52, v[42:43]
	v_lshrrev_b32_e32 v54, 3, v30
	v_sub_u32_e32 v53, 29, v55
	v_and_b32_e32 v52, 7, v52
	v_cmp_gt_u32_e32 vcc, 8, v30
	v_cndmask_b32_e32 v30, v54, v53, vcc
	v_cndmask_b32_e32 v45, v45, v52, vcc
	v_lshlrev_b32_e32 v42, 24, v42
	v_bfrev_b32_e32 v52, 60
	v_lshlrev_b32_e32 v45, 20, v45
	v_and_b32_e32 v42, 0x80000000, v42
	v_lshl_add_u32 v30, v30, 23, v52
	v_or3_b32 v30, v42, v30, v45
	v_lshrrev_b32_e32 v45, 16, v30
.LBB891_33:
	s_or_b64 exec, exec, s[10:11]
.LBB891_34:
	s_or_b64 exec, exec, s[8:9]
.LBB891_35:
	s_or_b64 exec, exec, s[2:3]
	v_mov_b32_e32 v42, 0
	v_cmp_ne_u16_sdwa s[8:9], v31, v42 src0_sel:BYTE_0 src1_sel:DWORD
	v_mov_b32_e32 v52, 0
	s_and_saveexec_b64 s[2:3], s[8:9]
	s_cbranch_execz .LBB891_41
; %bb.36:
	s_movk_i32 s8, 0x80
	v_cmp_ne_u16_sdwa s[10:11], v31, s8 src0_sel:BYTE_0 src1_sel:DWORD
	v_mov_b32_e32 v52, 0xffff8000
	s_and_saveexec_b64 s[8:9], s[10:11]
	s_cbranch_execz .LBB891_40
; %bb.37:
	s_movk_i32 s10, 0x7f
	v_and_b32_e32 v30, 0x7f, v31
	v_cmp_ne_u32_e32 vcc, s10, v30
	v_mov_b32_e32 v52, 0x7f80
	s_and_saveexec_b64 s[10:11], vcc
	s_cbranch_execz .LBB891_39
; %bb.38:
	v_and_b32_e32 v54, 7, v31
	v_ffbh_u32_e32 v53, v54
	v_min_u32_e32 v56, 32, v53
	v_mov_b32_e32 v52, v31
	v_subrev_u32_e32 v53, 28, v56
	v_lshlrev_b64 v[52:53], v53, v[52:53]
	v_lshrrev_b32_e32 v55, 3, v30
	v_sub_u32_e32 v53, 29, v56
	v_and_b32_e32 v52, 7, v52
	v_cmp_gt_u32_e32 vcc, 8, v30
	v_cndmask_b32_e32 v30, v55, v53, vcc
	v_cndmask_b32_e32 v52, v54, v52, vcc
	v_lshlrev_b32_e32 v53, 24, v31
	v_bfrev_b32_e32 v54, 60
	v_lshlrev_b32_e32 v52, 20, v52
	v_and_b32_e32 v53, 0x80000000, v53
	v_lshl_add_u32 v30, v30, 23, v54
	v_or3_b32 v30, v53, v30, v52
	v_lshrrev_b32_e32 v52, 16, v30
.LBB891_39:
	s_or_b64 exec, exec, s[10:11]
.LBB891_40:
	s_or_b64 exec, exec, s[8:9]
.LBB891_41:
	s_or_b64 exec, exec, s[2:3]
	v_lshrrev_b16_e32 v30, 8, v31
	v_cmp_ne_u16_e32 vcc, 0, v30
	s_and_saveexec_b64 s[2:3], vcc
	s_cbranch_execz .LBB891_47
; %bb.42:
	s_movk_i32 s8, 0x80
	v_cmp_ne_u16_e32 vcc, s8, v30
	v_mov_b32_e32 v42, 0xffff8000
	s_and_saveexec_b64 s[8:9], vcc
	s_cbranch_execz .LBB891_46
; %bb.43:
	s_movk_i32 s10, 0x7f
	v_and_b32_e32 v53, 0x7f, v30
	v_cmp_ne_u32_e32 vcc, s10, v53
	v_mov_b32_e32 v42, 0x7f80
	s_and_saveexec_b64 s[10:11], vcc
	s_cbranch_execz .LBB891_45
; %bb.44:
	v_and_b32_e32 v42, 7, v30
	v_ffbh_u32_e32 v54, v42
	v_min_u32_e32 v57, 32, v54
	v_subrev_u32_e32 v54, 28, v57
	v_lshlrev_b64 v[54:55], v54, v[30:31]
	v_lshrrev_b32_e32 v56, 3, v53
	v_sub_u32_e32 v30, 29, v57
	v_and_b32_e32 v54, 7, v54
	v_cmp_gt_u32_e32 vcc, 8, v53
	v_cndmask_b32_e32 v30, v56, v30, vcc
	v_cndmask_b32_e32 v42, v42, v54, vcc
	v_lshlrev_b32_e32 v53, 16, v31
	v_bfrev_b32_e32 v54, 60
	v_lshlrev_b32_e32 v42, 20, v42
	v_and_b32_e32 v53, 0x80000000, v53
	v_lshl_add_u32 v30, v30, 23, v54
	v_or3_b32 v30, v53, v30, v42
	v_lshrrev_b32_e32 v42, 16, v30
.LBB891_45:
	s_or_b64 exec, exec, s[10:11]
.LBB891_46:
	s_or_b64 exec, exec, s[8:9]
.LBB891_47:
	s_or_b64 exec, exec, s[2:3]
	s_movk_i32 s2, 0xff
	v_and_b32_sdwa v55, v31, s2 dst_sel:DWORD dst_unused:UNUSED_PAD src0_sel:WORD_1 src1_sel:DWORD
	v_lshrrev_b32_e32 v30, 16, v31
	v_cmp_ne_u16_e32 vcc, 0, v55
	v_mov_b32_e32 v53, 0
	v_mov_b32_e32 v54, 0
	s_and_saveexec_b64 s[2:3], vcc
	s_cbranch_execz .LBB891_53
; %bb.48:
	s_movk_i32 s8, 0x80
	v_cmp_ne_u16_e32 vcc, s8, v55
	v_mov_b32_e32 v54, 0xffff8000
	s_and_saveexec_b64 s[8:9], vcc
	s_cbranch_execz .LBB891_52
; %bb.49:
	v_bfe_u32 v55, v31, 16, 7
	s_movk_i32 s10, 0x7f
	v_cmp_ne_u32_e32 vcc, s10, v55
	v_mov_b32_e32 v54, 0x7f80
	s_and_saveexec_b64 s[10:11], vcc
	s_cbranch_execz .LBB891_51
; %bb.50:
	v_and_b32_e32 v54, 7, v30
	v_ffbh_u32_e32 v56, v54
	v_min_u32_e32 v59, 32, v56
	v_subrev_u32_e32 v56, 28, v59
	v_lshlrev_b64 v[56:57], v56, v[30:31]
	v_lshrrev_b32_e32 v58, 3, v55
	v_sub_u32_e32 v30, 29, v59
	v_and_b32_e32 v56, 7, v56
	v_cmp_gt_u32_e32 vcc, 8, v55
	v_mov_b32_e32 v55, 24
	v_cndmask_b32_e32 v30, v58, v30, vcc
	v_cndmask_b32_e32 v54, v54, v56, vcc
	v_lshlrev_b32_sdwa v55, v55, v31 dst_sel:DWORD dst_unused:UNUSED_PAD src0_sel:DWORD src1_sel:WORD_1
	v_bfrev_b32_e32 v56, 60
	v_lshlrev_b32_e32 v54, 20, v54
	v_and_b32_e32 v55, 0x80000000, v55
	v_lshl_add_u32 v30, v30, 23, v56
	v_or3_b32 v30, v55, v30, v54
	v_lshrrev_b32_e32 v54, 16, v30
.LBB891_51:
	s_or_b64 exec, exec, s[10:11]
.LBB891_52:
	s_or_b64 exec, exec, s[8:9]
.LBB891_53:
	s_or_b64 exec, exec, s[2:3]
	s_mov_b32 s2, 0xffffff
	v_cmp_lt_u32_e32 vcc, s2, v31
	s_and_saveexec_b64 s[2:3], vcc
	s_cbranch_execz .LBB891_59
; %bb.54:
	v_lshrrev_b32_e32 v30, 24, v31
	s_movk_i32 s8, 0x80
	v_cmp_ne_u32_e32 vcc, s8, v30
	v_mov_b32_e32 v53, 0xffff8000
	s_and_saveexec_b64 s[8:9], vcc
	s_cbranch_execz .LBB891_58
; %bb.55:
	v_bfe_u32 v31, v31, 24, 7
	s_movk_i32 s10, 0x7f
	v_cmp_ne_u32_e32 vcc, s10, v31
	v_mov_b32_e32 v53, 0x7f80
	s_and_saveexec_b64 s[10:11], vcc
	s_cbranch_execz .LBB891_57
; %bb.56:
	v_and_b32_e32 v53, 7, v30
	v_ffbh_u32_e32 v56, v53
	v_min_u32_e32 v58, 32, v56
	v_subrev_u32_e32 v56, 28, v58
	v_lshlrev_b64 v[56:57], v56, v[30:31]
	v_lshrrev_b32_e32 v55, 3, v31
	v_sub_u32_e32 v57, 29, v58
	v_and_b32_e32 v56, 7, v56
	v_cmp_gt_u32_e32 vcc, 8, v31
	v_cndmask_b32_e32 v31, v55, v57, vcc
	v_cndmask_b32_e32 v53, v53, v56, vcc
	v_lshlrev_b32_e32 v30, 24, v30
	v_bfrev_b32_e32 v55, 60
	v_lshlrev_b32_e32 v53, 20, v53
	v_and_b32_e32 v30, 0x80000000, v30
	v_lshl_add_u32 v31, v31, 23, v55
	v_or3_b32 v30, v30, v31, v53
	v_lshrrev_b32_e32 v53, 16, v30
.LBB891_57:
	s_or_b64 exec, exec, s[10:11]
.LBB891_58:
	s_or_b64 exec, exec, s[8:9]
.LBB891_59:
	s_or_b64 exec, exec, s[2:3]
	s_mov_b32 s2, 0x5040100
	v_perm_b32 v31, v45, v51, s2
	v_perm_b32 v30, v44, v43, s2
	;; [unrolled: 1-line block ×4, first 2 shown]
	v_mov_b32_e32 v51, 0
	s_waitcnt lgkmcnt(0)
	v_mfma_f32_16x16x16bf16_1k v[56:59], v[30:31], v[26:27], 0
	v_mov_b32_e32 v31, 0
	v_cmp_ne_u16_sdwa s[8:9], v32, v31 src0_sel:BYTE_0 src1_sel:DWORD
	v_mfma_f32_16x16x16bf16_1k v[42:45], v[42:43], v[28:29], v[56:59]
	s_and_saveexec_b64 s[2:3], s[8:9]
	s_cbranch_execz .LBB891_65
; %bb.60:
	s_movk_i32 s8, 0x80
	v_cmp_ne_u16_sdwa s[10:11], v32, s8 src0_sel:BYTE_0 src1_sel:DWORD
	v_mov_b32_e32 v51, 0xffff8000
	s_and_saveexec_b64 s[8:9], s[10:11]
	s_cbranch_execz .LBB891_64
; %bb.61:
	s_movk_i32 s10, 0x7f
	v_and_b32_e32 v30, 0x7f, v32
	v_cmp_ne_u32_e32 vcc, s10, v30
	v_mov_b32_e32 v51, 0x7f80
	s_and_saveexec_b64 s[10:11], vcc
	s_cbranch_execz .LBB891_63
; %bb.62:
	v_and_b32_e32 v51, 7, v32
	v_ffbh_u32_e32 v52, v51
	v_min_u32_e32 v55, 32, v52
	v_subrev_u32_e32 v52, 28, v55
	v_lshlrev_b64 v[52:53], v52, v[32:33]
	v_lshrrev_b32_e32 v54, 3, v30
	v_sub_u32_e32 v53, 29, v55
	v_and_b32_e32 v52, 7, v52
	v_cmp_gt_u32_e32 vcc, 8, v30
	v_cndmask_b32_e32 v30, v54, v53, vcc
	v_cndmask_b32_e32 v51, v51, v52, vcc
	v_lshlrev_b32_e32 v52, 24, v32
	v_bfrev_b32_e32 v53, 60
	v_lshlrev_b32_e32 v51, 20, v51
	v_and_b32_e32 v52, 0x80000000, v52
	v_lshl_add_u32 v30, v30, 23, v53
	v_or3_b32 v30, v52, v30, v51
	v_lshrrev_b32_e32 v51, 16, v30
.LBB891_63:
	s_or_b64 exec, exec, s[10:11]
.LBB891_64:
	s_or_b64 exec, exec, s[8:9]
.LBB891_65:
	s_or_b64 exec, exec, s[2:3]
	v_lshrrev_b16_e32 v30, 8, v32
	v_cmp_ne_u16_e32 vcc, 0, v30
	s_and_saveexec_b64 s[2:3], vcc
	s_cbranch_execz .LBB891_71
; %bb.66:
	s_movk_i32 s8, 0x80
	v_cmp_ne_u16_e32 vcc, s8, v30
	v_mov_b32_e32 v31, 0xffff8000
	s_and_saveexec_b64 s[8:9], vcc
	s_cbranch_execz .LBB891_70
; %bb.67:
	s_movk_i32 s10, 0x7f
	v_and_b32_e32 v52, 0x7f, v30
	v_cmp_ne_u32_e32 vcc, s10, v52
	v_mov_b32_e32 v31, 0x7f80
	s_and_saveexec_b64 s[10:11], vcc
	s_cbranch_execz .LBB891_69
; %bb.68:
	v_and_b32_e32 v53, 7, v30
	v_ffbh_u32_e32 v31, v53
	v_min_u32_e32 v55, 32, v31
	v_subrev_u32_e32 v31, 28, v55
	v_lshlrev_b64 v[30:31], v31, v[30:31]
	v_lshrrev_b32_e32 v54, 3, v52
	v_sub_u32_e32 v31, 29, v55
	v_and_b32_e32 v30, 7, v30
	v_cmp_gt_u32_e32 vcc, 8, v52
	v_cndmask_b32_e32 v31, v54, v31, vcc
	v_cndmask_b32_e32 v30, v53, v30, vcc
	v_lshlrev_b32_e32 v52, 16, v32
	v_bfrev_b32_e32 v53, 60
	v_lshlrev_b32_e32 v30, 20, v30
	v_and_b32_e32 v52, 0x80000000, v52
	v_lshl_add_u32 v31, v31, 23, v53
	v_or3_b32 v30, v52, v31, v30
	v_lshrrev_b32_e32 v31, 16, v30
.LBB891_69:
	s_or_b64 exec, exec, s[10:11]
.LBB891_70:
	s_or_b64 exec, exec, s[8:9]
.LBB891_71:
	s_or_b64 exec, exec, s[2:3]
	s_movk_i32 s2, 0xff
	v_and_b32_sdwa v54, v32, s2 dst_sel:DWORD dst_unused:UNUSED_PAD src0_sel:WORD_1 src1_sel:DWORD
	v_lshrrev_b32_e32 v30, 16, v32
	v_cmp_ne_u16_e32 vcc, 0, v54
	v_mov_b32_e32 v52, 0
	v_mov_b32_e32 v53, 0
	s_and_saveexec_b64 s[2:3], vcc
	s_cbranch_execz .LBB891_77
; %bb.72:
	s_movk_i32 s8, 0x80
	v_cmp_ne_u16_e32 vcc, s8, v54
	v_mov_b32_e32 v53, 0xffff8000
	s_and_saveexec_b64 s[8:9], vcc
	s_cbranch_execz .LBB891_76
; %bb.73:
	v_bfe_u32 v54, v32, 16, 7
	s_movk_i32 s10, 0x7f
	v_cmp_ne_u32_e32 vcc, s10, v54
	v_mov_b32_e32 v53, 0x7f80
	s_and_saveexec_b64 s[10:11], vcc
	s_cbranch_execz .LBB891_75
; %bb.74:
	v_and_b32_e32 v53, 7, v30
	v_ffbh_u32_e32 v56, v53
	v_min_u32_e32 v58, 32, v56
	v_subrev_u32_e32 v56, 28, v58
	v_lshlrev_b64 v[56:57], v56, v[30:31]
	v_lshrrev_b32_e32 v55, 3, v54
	v_sub_u32_e32 v30, 29, v58
	v_and_b32_e32 v56, 7, v56
	v_cmp_gt_u32_e32 vcc, 8, v54
	v_mov_b32_e32 v54, 24
	v_cndmask_b32_e32 v30, v55, v30, vcc
	v_cndmask_b32_e32 v53, v53, v56, vcc
	v_lshlrev_b32_sdwa v54, v54, v32 dst_sel:DWORD dst_unused:UNUSED_PAD src0_sel:DWORD src1_sel:WORD_1
	v_bfrev_b32_e32 v55, 60
	v_lshlrev_b32_e32 v53, 20, v53
	v_and_b32_e32 v54, 0x80000000, v54
	v_lshl_add_u32 v30, v30, 23, v55
	v_or3_b32 v30, v54, v30, v53
	v_lshrrev_b32_e32 v53, 16, v30
.LBB891_75:
	s_or_b64 exec, exec, s[10:11]
.LBB891_76:
	s_or_b64 exec, exec, s[8:9]
.LBB891_77:
	s_or_b64 exec, exec, s[2:3]
	s_mov_b32 s2, 0xffffff
	v_cmp_lt_u32_e32 vcc, s2, v32
	s_and_saveexec_b64 s[2:3], vcc
	s_cbranch_execz .LBB891_83
; %bb.78:
	v_lshrrev_b32_e32 v30, 24, v32
	s_movk_i32 s8, 0x80
	v_cmp_ne_u32_e32 vcc, s8, v30
	v_mov_b32_e32 v52, 0xffff8000
	s_and_saveexec_b64 s[8:9], vcc
	s_cbranch_execz .LBB891_82
; %bb.79:
	v_bfe_u32 v32, v32, 24, 7
	s_movk_i32 s10, 0x7f
	v_cmp_ne_u32_e32 vcc, s10, v32
	v_mov_b32_e32 v52, 0x7f80
	s_and_saveexec_b64 s[10:11], vcc
	s_cbranch_execz .LBB891_81
; %bb.80:
	v_and_b32_e32 v52, 7, v30
	v_ffbh_u32_e32 v54, v52
	v_min_u32_e32 v57, 32, v54
	v_subrev_u32_e32 v54, 28, v57
	v_lshlrev_b64 v[54:55], v54, v[30:31]
	v_lshrrev_b32_e32 v56, 3, v32
	v_sub_u32_e32 v55, 29, v57
	v_and_b32_e32 v54, 7, v54
	v_cmp_gt_u32_e32 vcc, 8, v32
	v_cndmask_b32_e32 v32, v56, v55, vcc
	v_cndmask_b32_e32 v52, v52, v54, vcc
	v_lshlrev_b32_e32 v30, 24, v30
	v_bfrev_b32_e32 v54, 60
	v_lshlrev_b32_e32 v52, 20, v52
	v_and_b32_e32 v30, 0x80000000, v30
	v_lshl_add_u32 v32, v32, 23, v54
	v_or3_b32 v30, v30, v32, v52
	v_lshrrev_b32_e32 v52, 16, v30
.LBB891_81:
	s_or_b64 exec, exec, s[10:11]
.LBB891_82:
	s_or_b64 exec, exec, s[8:9]
.LBB891_83:
	s_or_b64 exec, exec, s[2:3]
	v_mov_b32_e32 v32, 0
	v_cmp_ne_u16_sdwa s[8:9], v33, v32 src0_sel:BYTE_0 src1_sel:DWORD
	v_mov_b32_e32 v54, 0
	s_and_saveexec_b64 s[2:3], s[8:9]
	s_cbranch_execz .LBB891_89
; %bb.84:
	s_movk_i32 s8, 0x80
	v_cmp_ne_u16_sdwa s[10:11], v33, s8 src0_sel:BYTE_0 src1_sel:DWORD
	v_mov_b32_e32 v54, 0xffff8000
	s_and_saveexec_b64 s[8:9], s[10:11]
	s_cbranch_execz .LBB891_88
; %bb.85:
	s_movk_i32 s10, 0x7f
	v_and_b32_e32 v30, 0x7f, v33
	v_cmp_ne_u32_e32 vcc, s10, v30
	v_mov_b32_e32 v54, 0x7f80
	s_and_saveexec_b64 s[10:11], vcc
	s_cbranch_execz .LBB891_87
; %bb.86:
	v_and_b32_e32 v56, 7, v33
	v_ffbh_u32_e32 v55, v56
	v_min_u32_e32 v58, 32, v55
	v_mov_b32_e32 v54, v33
	v_subrev_u32_e32 v55, 28, v58
	v_lshlrev_b64 v[54:55], v55, v[54:55]
	v_lshrrev_b32_e32 v57, 3, v30
	v_sub_u32_e32 v55, 29, v58
	v_and_b32_e32 v54, 7, v54
	v_cmp_gt_u32_e32 vcc, 8, v30
	v_cndmask_b32_e32 v30, v57, v55, vcc
	v_cndmask_b32_e32 v54, v56, v54, vcc
	v_lshlrev_b32_e32 v55, 24, v33
	v_bfrev_b32_e32 v56, 60
	v_lshlrev_b32_e32 v54, 20, v54
	v_and_b32_e32 v55, 0x80000000, v55
	v_lshl_add_u32 v30, v30, 23, v56
	v_or3_b32 v30, v55, v30, v54
	v_lshrrev_b32_e32 v54, 16, v30
.LBB891_87:
	s_or_b64 exec, exec, s[10:11]
.LBB891_88:
	s_or_b64 exec, exec, s[8:9]
.LBB891_89:
	s_or_b64 exec, exec, s[2:3]
	v_lshrrev_b16_e32 v30, 8, v33
	v_cmp_ne_u16_e32 vcc, 0, v30
	s_and_saveexec_b64 s[2:3], vcc
	s_cbranch_execz .LBB891_95
; %bb.90:
	s_movk_i32 s8, 0x80
	v_cmp_ne_u16_e32 vcc, s8, v30
	v_mov_b32_e32 v32, 0xffff8000
	s_and_saveexec_b64 s[8:9], vcc
	s_cbranch_execz .LBB891_94
; %bb.91:
	s_movk_i32 s10, 0x7f
	v_and_b32_e32 v55, 0x7f, v30
	v_cmp_ne_u32_e32 vcc, s10, v55
	v_mov_b32_e32 v32, 0x7f80
	s_and_saveexec_b64 s[10:11], vcc
	s_cbranch_execz .LBB891_93
; %bb.92:
	v_and_b32_e32 v32, 7, v30
	v_ffbh_u32_e32 v56, v32
	v_min_u32_e32 v59, 32, v56
	v_subrev_u32_e32 v56, 28, v59
	v_lshlrev_b64 v[56:57], v56, v[30:31]
	v_lshrrev_b32_e32 v58, 3, v55
	v_sub_u32_e32 v30, 29, v59
	v_and_b32_e32 v56, 7, v56
	v_cmp_gt_u32_e32 vcc, 8, v55
	v_cndmask_b32_e32 v30, v58, v30, vcc
	v_cndmask_b32_e32 v32, v32, v56, vcc
	v_lshlrev_b32_e32 v55, 16, v33
	v_bfrev_b32_e32 v56, 60
	v_lshlrev_b32_e32 v32, 20, v32
	v_and_b32_e32 v55, 0x80000000, v55
	v_lshl_add_u32 v30, v30, 23, v56
	v_or3_b32 v30, v55, v30, v32
	v_lshrrev_b32_e32 v32, 16, v30
.LBB891_93:
	s_or_b64 exec, exec, s[10:11]
.LBB891_94:
	s_or_b64 exec, exec, s[8:9]
.LBB891_95:
	s_or_b64 exec, exec, s[2:3]
	s_movk_i32 s2, 0xff
	v_and_b32_sdwa v57, v33, s2 dst_sel:DWORD dst_unused:UNUSED_PAD src0_sel:WORD_1 src1_sel:DWORD
	v_lshrrev_b32_e32 v30, 16, v33
	v_cmp_ne_u16_e32 vcc, 0, v57
	v_mov_b32_e32 v55, 0
	v_mov_b32_e32 v56, 0
	s_and_saveexec_b64 s[2:3], vcc
	s_cbranch_execz .LBB891_101
; %bb.96:
	s_movk_i32 s8, 0x80
	v_cmp_ne_u16_e32 vcc, s8, v57
	v_mov_b32_e32 v56, 0xffff8000
	s_and_saveexec_b64 s[8:9], vcc
	s_cbranch_execz .LBB891_100
; %bb.97:
	v_bfe_u32 v57, v33, 16, 7
	s_movk_i32 s10, 0x7f
	v_cmp_ne_u32_e32 vcc, s10, v57
	v_mov_b32_e32 v56, 0x7f80
	s_and_saveexec_b64 s[10:11], vcc
	s_cbranch_execz .LBB891_99
; %bb.98:
	v_and_b32_e32 v56, 7, v30
	v_ffbh_u32_e32 v58, v56
	v_min_u32_e32 v61, 32, v58
	v_subrev_u32_e32 v58, 28, v61
	v_lshlrev_b64 v[58:59], v58, v[30:31]
	v_lshrrev_b32_e32 v60, 3, v57
	v_sub_u32_e32 v30, 29, v61
	v_and_b32_e32 v58, 7, v58
	v_cmp_gt_u32_e32 vcc, 8, v57
	v_mov_b32_e32 v57, 24
	v_cndmask_b32_e32 v30, v60, v30, vcc
	v_cndmask_b32_e32 v56, v56, v58, vcc
	v_lshlrev_b32_sdwa v57, v57, v33 dst_sel:DWORD dst_unused:UNUSED_PAD src0_sel:DWORD src1_sel:WORD_1
	v_bfrev_b32_e32 v58, 60
	v_lshlrev_b32_e32 v56, 20, v56
	v_and_b32_e32 v57, 0x80000000, v57
	v_lshl_add_u32 v30, v30, 23, v58
	v_or3_b32 v30, v57, v30, v56
	v_lshrrev_b32_e32 v56, 16, v30
.LBB891_99:
	s_or_b64 exec, exec, s[10:11]
.LBB891_100:
	s_or_b64 exec, exec, s[8:9]
.LBB891_101:
	s_or_b64 exec, exec, s[2:3]
	s_mov_b32 s2, 0xffffff
	v_cmp_lt_u32_e32 vcc, s2, v33
	s_and_saveexec_b64 s[2:3], vcc
	s_cbranch_execz .LBB891_107
; %bb.102:
	v_lshrrev_b32_e32 v30, 24, v33
	s_movk_i32 s8, 0x80
	v_cmp_ne_u32_e32 vcc, s8, v30
	v_mov_b32_e32 v55, 0xffff8000
	s_and_saveexec_b64 s[8:9], vcc
	s_cbranch_execz .LBB891_106
; %bb.103:
	v_bfe_u32 v33, v33, 24, 7
	s_movk_i32 s10, 0x7f
	v_cmp_ne_u32_e32 vcc, s10, v33
	v_mov_b32_e32 v55, 0x7f80
	s_and_saveexec_b64 s[10:11], vcc
	s_cbranch_execz .LBB891_105
; %bb.104:
	v_and_b32_e32 v55, 7, v30
	v_ffbh_u32_e32 v58, v55
	v_min_u32_e32 v60, 32, v58
	v_subrev_u32_e32 v58, 28, v60
	v_lshlrev_b64 v[58:59], v58, v[30:31]
	v_lshrrev_b32_e32 v57, 3, v33
	v_sub_u32_e32 v59, 29, v60
	v_and_b32_e32 v58, 7, v58
	v_cmp_gt_u32_e32 vcc, 8, v33
	v_cndmask_b32_e32 v33, v57, v59, vcc
	v_cndmask_b32_e32 v55, v55, v58, vcc
	v_lshlrev_b32_e32 v30, 24, v30
	v_bfrev_b32_e32 v57, 60
	v_lshlrev_b32_e32 v55, 20, v55
	v_and_b32_e32 v30, 0x80000000, v30
	v_lshl_add_u32 v33, v33, 23, v57
	v_or3_b32 v30, v30, v33, v55
	v_lshrrev_b32_e32 v55, 16, v30
.LBB891_105:
	s_or_b64 exec, exec, s[10:11]
.LBB891_106:
	s_or_b64 exec, exec, s[8:9]
.LBB891_107:
	s_or_b64 exec, exec, s[2:3]
	s_mov_b32 s2, 0x5040100
	v_perm_b32 v53, v52, v53, s2
	v_perm_b32 v52, v31, v51, s2
	;; [unrolled: 1-line block ×4, first 2 shown]
	v_mfma_f32_16x16x16bf16_1k v[58:61], v[52:53], v[18:19], v[42:45]
	s_nop 6
	v_mov_b32_e32 v43, 0
	s_waitcnt vmcnt(6)
	v_cmp_ne_u16_sdwa s[8:9], v38, v43 src0_sel:BYTE_0 src1_sel:DWORD
	v_mfma_f32_16x16x16bf16_1k v[30:33], v[30:31], v[20:21], v[58:61]
	v_mov_b32_e32 v44, 0
	s_and_saveexec_b64 s[2:3], s[8:9]
	s_cbranch_execz .LBB891_113
; %bb.108:
	s_movk_i32 s8, 0x80
	v_cmp_ne_u16_sdwa s[10:11], v38, s8 src0_sel:BYTE_0 src1_sel:DWORD
	v_mov_b32_e32 v44, 0xffff8000
	s_and_saveexec_b64 s[8:9], s[10:11]
	s_cbranch_execz .LBB891_112
; %bb.109:
	s_movk_i32 s10, 0x7f
	v_and_b32_e32 v42, 0x7f, v38
	v_cmp_ne_u32_e32 vcc, s10, v42
	v_mov_b32_e32 v44, 0x7f80
	s_and_saveexec_b64 s[10:11], vcc
	s_cbranch_execz .LBB891_111
; %bb.110:
	v_and_b32_e32 v51, 7, v38
	v_ffbh_u32_e32 v44, v51
	v_min_u32_e32 v53, 32, v44
	v_subrev_u32_e32 v44, 28, v53
	v_lshlrev_b64 v[44:45], v44, v[38:39]
	v_lshrrev_b32_e32 v52, 3, v42
	v_sub_u32_e32 v45, 29, v53
	v_and_b32_e32 v44, 7, v44
	v_cmp_gt_u32_e32 vcc, 8, v42
	v_cndmask_b32_e32 v42, v52, v45, vcc
	v_cndmask_b32_e32 v44, v51, v44, vcc
	v_lshlrev_b32_e32 v45, 24, v38
	v_bfrev_b32_e32 v51, 60
	v_lshlrev_b32_e32 v44, 20, v44
	v_and_b32_e32 v45, 0x80000000, v45
	v_lshl_add_u32 v42, v42, 23, v51
	v_or3_b32 v42, v45, v42, v44
	v_lshrrev_b32_e32 v44, 16, v42
.LBB891_111:
	s_or_b64 exec, exec, s[10:11]
.LBB891_112:
	s_or_b64 exec, exec, s[8:9]
.LBB891_113:
	s_or_b64 exec, exec, s[2:3]
	v_lshrrev_b16_e32 v42, 8, v38
	v_cmp_ne_u16_e32 vcc, 0, v42
	s_and_saveexec_b64 s[2:3], vcc
	s_cbranch_execz .LBB891_119
; %bb.114:
	s_movk_i32 s8, 0x80
	v_cmp_ne_u16_e32 vcc, s8, v42
	v_mov_b32_e32 v43, 0xffff8000
	s_and_saveexec_b64 s[8:9], vcc
	s_cbranch_execz .LBB891_118
; %bb.115:
	s_movk_i32 s10, 0x7f
	v_and_b32_e32 v45, 0x7f, v42
	v_cmp_ne_u32_e32 vcc, s10, v45
	v_mov_b32_e32 v43, 0x7f80
	s_and_saveexec_b64 s[10:11], vcc
	s_cbranch_execz .LBB891_117
; %bb.116:
	v_and_b32_e32 v51, 7, v42
	v_ffbh_u32_e32 v43, v51
	v_min_u32_e32 v53, 32, v43
	v_subrev_u32_e32 v43, 28, v53
	v_lshlrev_b64 v[42:43], v43, v[42:43]
	v_lshrrev_b32_e32 v52, 3, v45
	v_sub_u32_e32 v43, 29, v53
	v_and_b32_e32 v42, 7, v42
	v_cmp_gt_u32_e32 vcc, 8, v45
	v_cndmask_b32_e32 v43, v52, v43, vcc
	v_cndmask_b32_e32 v42, v51, v42, vcc
	v_lshlrev_b32_e32 v45, 16, v38
	v_bfrev_b32_e32 v51, 60
	v_lshlrev_b32_e32 v42, 20, v42
	v_and_b32_e32 v45, 0x80000000, v45
	v_lshl_add_u32 v43, v43, 23, v51
	v_or3_b32 v42, v45, v43, v42
	v_lshrrev_b32_e32 v43, 16, v42
.LBB891_117:
	s_or_b64 exec, exec, s[10:11]
.LBB891_118:
	s_or_b64 exec, exec, s[8:9]
.LBB891_119:
	s_or_b64 exec, exec, s[2:3]
	s_movk_i32 s2, 0xff
	v_and_b32_sdwa v52, v38, s2 dst_sel:DWORD dst_unused:UNUSED_PAD src0_sel:WORD_1 src1_sel:DWORD
	v_lshrrev_b32_e32 v42, 16, v38
	v_cmp_ne_u16_e32 vcc, 0, v52
	v_mov_b32_e32 v45, 0
	v_mov_b32_e32 v51, 0
	s_and_saveexec_b64 s[2:3], vcc
	s_cbranch_execz .LBB891_125
; %bb.120:
	s_movk_i32 s8, 0x80
	v_cmp_ne_u16_e32 vcc, s8, v52
	v_mov_b32_e32 v51, 0xffff8000
	s_and_saveexec_b64 s[8:9], vcc
	s_cbranch_execz .LBB891_124
; %bb.121:
	v_bfe_u32 v52, v38, 16, 7
	s_movk_i32 s10, 0x7f
	v_cmp_ne_u32_e32 vcc, s10, v52
	v_mov_b32_e32 v51, 0x7f80
	s_and_saveexec_b64 s[10:11], vcc
	s_cbranch_execz .LBB891_123
; %bb.122:
	v_and_b32_e32 v51, 7, v42
	v_ffbh_u32_e32 v54, v51
	v_min_u32_e32 v56, 32, v54
	v_subrev_u32_e32 v54, 28, v56
	v_lshlrev_b64 v[54:55], v54, v[42:43]
	v_lshrrev_b32_e32 v53, 3, v52
	v_sub_u32_e32 v42, 29, v56
	v_and_b32_e32 v54, 7, v54
	v_cmp_gt_u32_e32 vcc, 8, v52
	v_mov_b32_e32 v52, 24
	v_cndmask_b32_e32 v42, v53, v42, vcc
	v_cndmask_b32_e32 v51, v51, v54, vcc
	v_lshlrev_b32_sdwa v52, v52, v38 dst_sel:DWORD dst_unused:UNUSED_PAD src0_sel:DWORD src1_sel:WORD_1
	v_bfrev_b32_e32 v53, 60
	v_lshlrev_b32_e32 v51, 20, v51
	v_and_b32_e32 v52, 0x80000000, v52
	v_lshl_add_u32 v42, v42, 23, v53
	v_or3_b32 v42, v52, v42, v51
	v_lshrrev_b32_e32 v51, 16, v42
.LBB891_123:
	s_or_b64 exec, exec, s[10:11]
.LBB891_124:
	s_or_b64 exec, exec, s[8:9]
.LBB891_125:
	s_or_b64 exec, exec, s[2:3]
	s_mov_b32 s2, 0xffffff
	v_cmp_lt_u32_e32 vcc, s2, v38
	s_and_saveexec_b64 s[2:3], vcc
	s_cbranch_execz .LBB891_131
; %bb.126:
	v_lshrrev_b32_e32 v42, 24, v38
	s_movk_i32 s8, 0x80
	v_cmp_ne_u32_e32 vcc, s8, v42
	v_mov_b32_e32 v45, 0xffff8000
	s_and_saveexec_b64 s[8:9], vcc
	s_cbranch_execz .LBB891_130
; %bb.127:
	v_bfe_u32 v38, v38, 24, 7
	s_movk_i32 s10, 0x7f
	v_cmp_ne_u32_e32 vcc, s10, v38
	v_mov_b32_e32 v45, 0x7f80
	s_and_saveexec_b64 s[10:11], vcc
	s_cbranch_execz .LBB891_129
; %bb.128:
	v_and_b32_e32 v45, 7, v42
	v_ffbh_u32_e32 v52, v45
	v_min_u32_e32 v55, 32, v52
	v_subrev_u32_e32 v52, 28, v55
	v_lshlrev_b64 v[52:53], v52, v[42:43]
	v_lshrrev_b32_e32 v54, 3, v38
	v_sub_u32_e32 v53, 29, v55
	v_and_b32_e32 v52, 7, v52
	v_cmp_gt_u32_e32 vcc, 8, v38
	v_cndmask_b32_e32 v38, v54, v53, vcc
	v_cndmask_b32_e32 v45, v45, v52, vcc
	v_lshlrev_b32_e32 v42, 24, v42
	v_bfrev_b32_e32 v52, 60
	v_lshlrev_b32_e32 v45, 20, v45
	v_and_b32_e32 v42, 0x80000000, v42
	v_lshl_add_u32 v38, v38, 23, v52
	v_or3_b32 v38, v42, v38, v45
	v_lshrrev_b32_e32 v45, 16, v38
.LBB891_129:
	s_or_b64 exec, exec, s[10:11]
.LBB891_130:
	s_or_b64 exec, exec, s[8:9]
.LBB891_131:
	s_or_b64 exec, exec, s[2:3]
	v_mov_b32_e32 v42, 0
	v_cmp_ne_u16_sdwa s[8:9], v39, v42 src0_sel:BYTE_0 src1_sel:DWORD
	v_mov_b32_e32 v52, 0
	s_and_saveexec_b64 s[2:3], s[8:9]
	s_cbranch_execz .LBB891_137
; %bb.132:
	s_movk_i32 s8, 0x80
	v_cmp_ne_u16_sdwa s[10:11], v39, s8 src0_sel:BYTE_0 src1_sel:DWORD
	v_mov_b32_e32 v52, 0xffff8000
	s_and_saveexec_b64 s[8:9], s[10:11]
	s_cbranch_execz .LBB891_136
; %bb.133:
	s_movk_i32 s10, 0x7f
	v_and_b32_e32 v38, 0x7f, v39
	v_cmp_ne_u32_e32 vcc, s10, v38
	v_mov_b32_e32 v52, 0x7f80
	s_and_saveexec_b64 s[10:11], vcc
	s_cbranch_execz .LBB891_135
; %bb.134:
	v_and_b32_e32 v54, 7, v39
	v_ffbh_u32_e32 v53, v54
	v_min_u32_e32 v56, 32, v53
	v_mov_b32_e32 v52, v39
	v_subrev_u32_e32 v53, 28, v56
	v_lshlrev_b64 v[52:53], v53, v[52:53]
	v_lshrrev_b32_e32 v55, 3, v38
	v_sub_u32_e32 v53, 29, v56
	v_and_b32_e32 v52, 7, v52
	v_cmp_gt_u32_e32 vcc, 8, v38
	v_cndmask_b32_e32 v38, v55, v53, vcc
	v_cndmask_b32_e32 v52, v54, v52, vcc
	v_lshlrev_b32_e32 v53, 24, v39
	v_bfrev_b32_e32 v54, 60
	v_lshlrev_b32_e32 v52, 20, v52
	v_and_b32_e32 v53, 0x80000000, v53
	v_lshl_add_u32 v38, v38, 23, v54
	v_or3_b32 v38, v53, v38, v52
	v_lshrrev_b32_e32 v52, 16, v38
.LBB891_135:
	s_or_b64 exec, exec, s[10:11]
.LBB891_136:
	s_or_b64 exec, exec, s[8:9]
.LBB891_137:
	s_or_b64 exec, exec, s[2:3]
	v_lshrrev_b16_e32 v38, 8, v39
	v_cmp_ne_u16_e32 vcc, 0, v38
	s_and_saveexec_b64 s[2:3], vcc
	s_cbranch_execz .LBB891_143
; %bb.138:
	s_movk_i32 s8, 0x80
	v_cmp_ne_u16_e32 vcc, s8, v38
	v_mov_b32_e32 v42, 0xffff8000
	s_and_saveexec_b64 s[8:9], vcc
	s_cbranch_execz .LBB891_142
; %bb.139:
	s_movk_i32 s10, 0x7f
	v_and_b32_e32 v53, 0x7f, v38
	v_cmp_ne_u32_e32 vcc, s10, v53
	v_mov_b32_e32 v42, 0x7f80
	s_and_saveexec_b64 s[10:11], vcc
	s_cbranch_execz .LBB891_141
; %bb.140:
	v_and_b32_e32 v42, 7, v38
	v_ffbh_u32_e32 v54, v42
	v_min_u32_e32 v57, 32, v54
	v_subrev_u32_e32 v54, 28, v57
	v_lshlrev_b64 v[54:55], v54, v[38:39]
	v_lshrrev_b32_e32 v56, 3, v53
	v_sub_u32_e32 v38, 29, v57
	v_and_b32_e32 v54, 7, v54
	v_cmp_gt_u32_e32 vcc, 8, v53
	v_cndmask_b32_e32 v38, v56, v38, vcc
	v_cndmask_b32_e32 v42, v42, v54, vcc
	v_lshlrev_b32_e32 v53, 16, v39
	v_bfrev_b32_e32 v54, 60
	v_lshlrev_b32_e32 v42, 20, v42
	v_and_b32_e32 v53, 0x80000000, v53
	v_lshl_add_u32 v38, v38, 23, v54
	v_or3_b32 v38, v53, v38, v42
	v_lshrrev_b32_e32 v42, 16, v38
.LBB891_141:
	s_or_b64 exec, exec, s[10:11]
.LBB891_142:
	s_or_b64 exec, exec, s[8:9]
.LBB891_143:
	s_or_b64 exec, exec, s[2:3]
	s_movk_i32 s2, 0xff
	v_and_b32_sdwa v55, v39, s2 dst_sel:DWORD dst_unused:UNUSED_PAD src0_sel:WORD_1 src1_sel:DWORD
	v_lshrrev_b32_e32 v38, 16, v39
	v_cmp_ne_u16_e32 vcc, 0, v55
	v_mov_b32_e32 v53, 0
	v_mov_b32_e32 v54, 0
	s_and_saveexec_b64 s[2:3], vcc
	s_cbranch_execz .LBB891_149
; %bb.144:
	s_movk_i32 s8, 0x80
	v_cmp_ne_u16_e32 vcc, s8, v55
	v_mov_b32_e32 v54, 0xffff8000
	s_and_saveexec_b64 s[8:9], vcc
	s_cbranch_execz .LBB891_148
; %bb.145:
	v_bfe_u32 v55, v39, 16, 7
	s_movk_i32 s10, 0x7f
	v_cmp_ne_u32_e32 vcc, s10, v55
	v_mov_b32_e32 v54, 0x7f80
	s_and_saveexec_b64 s[10:11], vcc
	s_cbranch_execz .LBB891_147
; %bb.146:
	v_and_b32_e32 v54, 7, v38
	v_ffbh_u32_e32 v56, v54
	v_min_u32_e32 v59, 32, v56
	v_subrev_u32_e32 v56, 28, v59
	v_lshlrev_b64 v[56:57], v56, v[38:39]
	v_lshrrev_b32_e32 v58, 3, v55
	v_sub_u32_e32 v38, 29, v59
	v_and_b32_e32 v56, 7, v56
	v_cmp_gt_u32_e32 vcc, 8, v55
	v_mov_b32_e32 v55, 24
	v_cndmask_b32_e32 v38, v58, v38, vcc
	v_cndmask_b32_e32 v54, v54, v56, vcc
	v_lshlrev_b32_sdwa v55, v55, v39 dst_sel:DWORD dst_unused:UNUSED_PAD src0_sel:DWORD src1_sel:WORD_1
	v_bfrev_b32_e32 v56, 60
	v_lshlrev_b32_e32 v54, 20, v54
	v_and_b32_e32 v55, 0x80000000, v55
	v_lshl_add_u32 v38, v38, 23, v56
	v_or3_b32 v38, v55, v38, v54
	v_lshrrev_b32_e32 v54, 16, v38
.LBB891_147:
	s_or_b64 exec, exec, s[10:11]
.LBB891_148:
	s_or_b64 exec, exec, s[8:9]
.LBB891_149:
	s_or_b64 exec, exec, s[2:3]
	s_mov_b32 s2, 0xffffff
	v_cmp_lt_u32_e32 vcc, s2, v39
	s_and_saveexec_b64 s[2:3], vcc
	s_cbranch_execz .LBB891_155
; %bb.150:
	v_lshrrev_b32_e32 v38, 24, v39
	s_movk_i32 s8, 0x80
	v_cmp_ne_u32_e32 vcc, s8, v38
	v_mov_b32_e32 v53, 0xffff8000
	s_and_saveexec_b64 s[8:9], vcc
	s_cbranch_execz .LBB891_154
; %bb.151:
	v_bfe_u32 v39, v39, 24, 7
	s_movk_i32 s10, 0x7f
	v_cmp_ne_u32_e32 vcc, s10, v39
	v_mov_b32_e32 v53, 0x7f80
	s_and_saveexec_b64 s[10:11], vcc
	s_cbranch_execz .LBB891_153
; %bb.152:
	v_and_b32_e32 v53, 7, v38
	v_ffbh_u32_e32 v56, v53
	v_min_u32_e32 v58, 32, v56
	v_subrev_u32_e32 v56, 28, v58
	v_lshlrev_b64 v[56:57], v56, v[38:39]
	v_lshrrev_b32_e32 v55, 3, v39
	v_sub_u32_e32 v57, 29, v58
	v_and_b32_e32 v56, 7, v56
	v_cmp_gt_u32_e32 vcc, 8, v39
	v_cndmask_b32_e32 v39, v55, v57, vcc
	v_cndmask_b32_e32 v53, v53, v56, vcc
	v_lshlrev_b32_e32 v38, 24, v38
	v_bfrev_b32_e32 v55, 60
	v_lshlrev_b32_e32 v53, 20, v53
	v_and_b32_e32 v38, 0x80000000, v38
	v_lshl_add_u32 v39, v39, 23, v55
	v_or3_b32 v38, v38, v39, v53
	v_lshrrev_b32_e32 v53, 16, v38
.LBB891_153:
	s_or_b64 exec, exec, s[10:11]
.LBB891_154:
	s_or_b64 exec, exec, s[8:9]
.LBB891_155:
	s_or_b64 exec, exec, s[2:3]
	s_mov_b32 s2, 0x5040100
	v_perm_b32 v39, v45, v51, s2
	v_perm_b32 v38, v43, v44, s2
	;; [unrolled: 1-line block ×4, first 2 shown]
	v_mov_b32_e32 v51, 0
	v_mfma_f32_16x16x16bf16_1k v[56:59], v[38:39], v[26:27], 0
	v_mov_b32_e32 v39, 0
	v_cmp_ne_u16_sdwa s[8:9], v40, v39 src0_sel:BYTE_0 src1_sel:DWORD
	v_mfma_f32_16x16x16bf16_1k v[42:45], v[42:43], v[28:29], v[56:59]
	s_and_saveexec_b64 s[2:3], s[8:9]
	s_cbranch_execz .LBB891_161
; %bb.156:
	s_movk_i32 s8, 0x80
	v_cmp_ne_u16_sdwa s[10:11], v40, s8 src0_sel:BYTE_0 src1_sel:DWORD
	v_mov_b32_e32 v51, 0xffff8000
	s_and_saveexec_b64 s[8:9], s[10:11]
	s_cbranch_execz .LBB891_160
; %bb.157:
	s_movk_i32 s10, 0x7f
	v_and_b32_e32 v38, 0x7f, v40
	v_cmp_ne_u32_e32 vcc, s10, v38
	v_mov_b32_e32 v51, 0x7f80
	s_and_saveexec_b64 s[10:11], vcc
	s_cbranch_execz .LBB891_159
; %bb.158:
	v_and_b32_e32 v51, 7, v40
	v_ffbh_u32_e32 v52, v51
	v_min_u32_e32 v55, 32, v52
	v_subrev_u32_e32 v52, 28, v55
	v_lshlrev_b64 v[52:53], v52, v[40:41]
	v_lshrrev_b32_e32 v54, 3, v38
	v_sub_u32_e32 v53, 29, v55
	v_and_b32_e32 v52, 7, v52
	v_cmp_gt_u32_e32 vcc, 8, v38
	v_cndmask_b32_e32 v38, v54, v53, vcc
	v_cndmask_b32_e32 v51, v51, v52, vcc
	v_lshlrev_b32_e32 v52, 24, v40
	v_bfrev_b32_e32 v53, 60
	v_lshlrev_b32_e32 v51, 20, v51
	v_and_b32_e32 v52, 0x80000000, v52
	v_lshl_add_u32 v38, v38, 23, v53
	v_or3_b32 v38, v52, v38, v51
	v_lshrrev_b32_e32 v51, 16, v38
.LBB891_159:
	s_or_b64 exec, exec, s[10:11]
.LBB891_160:
	s_or_b64 exec, exec, s[8:9]
.LBB891_161:
	s_or_b64 exec, exec, s[2:3]
	v_lshrrev_b16_e32 v38, 8, v40
	v_cmp_ne_u16_e32 vcc, 0, v38
	s_and_saveexec_b64 s[2:3], vcc
	s_cbranch_execz .LBB891_167
; %bb.162:
	s_movk_i32 s8, 0x80
	v_cmp_ne_u16_e32 vcc, s8, v38
	v_mov_b32_e32 v39, 0xffff8000
	s_and_saveexec_b64 s[8:9], vcc
	s_cbranch_execz .LBB891_166
; %bb.163:
	s_movk_i32 s10, 0x7f
	v_and_b32_e32 v52, 0x7f, v38
	v_cmp_ne_u32_e32 vcc, s10, v52
	v_mov_b32_e32 v39, 0x7f80
	s_and_saveexec_b64 s[10:11], vcc
	s_cbranch_execz .LBB891_165
; %bb.164:
	v_and_b32_e32 v53, 7, v38
	v_ffbh_u32_e32 v39, v53
	v_min_u32_e32 v55, 32, v39
	v_subrev_u32_e32 v39, 28, v55
	v_lshlrev_b64 v[38:39], v39, v[38:39]
	v_lshrrev_b32_e32 v54, 3, v52
	v_sub_u32_e32 v39, 29, v55
	v_and_b32_e32 v38, 7, v38
	v_cmp_gt_u32_e32 vcc, 8, v52
	v_cndmask_b32_e32 v39, v54, v39, vcc
	v_cndmask_b32_e32 v38, v53, v38, vcc
	v_lshlrev_b32_e32 v52, 16, v40
	v_bfrev_b32_e32 v53, 60
	v_lshlrev_b32_e32 v38, 20, v38
	v_and_b32_e32 v52, 0x80000000, v52
	v_lshl_add_u32 v39, v39, 23, v53
	v_or3_b32 v38, v52, v39, v38
	v_lshrrev_b32_e32 v39, 16, v38
.LBB891_165:
	s_or_b64 exec, exec, s[10:11]
.LBB891_166:
	s_or_b64 exec, exec, s[8:9]
.LBB891_167:
	s_or_b64 exec, exec, s[2:3]
	s_movk_i32 s2, 0xff
	v_and_b32_sdwa v54, v40, s2 dst_sel:DWORD dst_unused:UNUSED_PAD src0_sel:WORD_1 src1_sel:DWORD
	v_lshrrev_b32_e32 v38, 16, v40
	v_cmp_ne_u16_e32 vcc, 0, v54
	v_mov_b32_e32 v52, 0
	v_mov_b32_e32 v53, 0
	s_and_saveexec_b64 s[2:3], vcc
	s_cbranch_execz .LBB891_173
; %bb.168:
	s_movk_i32 s8, 0x80
	v_cmp_ne_u16_e32 vcc, s8, v54
	v_mov_b32_e32 v53, 0xffff8000
	s_and_saveexec_b64 s[8:9], vcc
	s_cbranch_execz .LBB891_172
; %bb.169:
	v_bfe_u32 v54, v40, 16, 7
	s_movk_i32 s10, 0x7f
	v_cmp_ne_u32_e32 vcc, s10, v54
	v_mov_b32_e32 v53, 0x7f80
	s_and_saveexec_b64 s[10:11], vcc
	s_cbranch_execz .LBB891_171
; %bb.170:
	v_and_b32_e32 v53, 7, v38
	v_ffbh_u32_e32 v56, v53
	v_min_u32_e32 v58, 32, v56
	v_subrev_u32_e32 v56, 28, v58
	v_lshlrev_b64 v[56:57], v56, v[38:39]
	v_lshrrev_b32_e32 v55, 3, v54
	v_sub_u32_e32 v38, 29, v58
	v_and_b32_e32 v56, 7, v56
	v_cmp_gt_u32_e32 vcc, 8, v54
	v_mov_b32_e32 v54, 24
	v_cndmask_b32_e32 v38, v55, v38, vcc
	v_cndmask_b32_e32 v53, v53, v56, vcc
	v_lshlrev_b32_sdwa v54, v54, v40 dst_sel:DWORD dst_unused:UNUSED_PAD src0_sel:DWORD src1_sel:WORD_1
	v_bfrev_b32_e32 v55, 60
	v_lshlrev_b32_e32 v53, 20, v53
	v_and_b32_e32 v54, 0x80000000, v54
	v_lshl_add_u32 v38, v38, 23, v55
	v_or3_b32 v38, v54, v38, v53
	v_lshrrev_b32_e32 v53, 16, v38
.LBB891_171:
	s_or_b64 exec, exec, s[10:11]
.LBB891_172:
	s_or_b64 exec, exec, s[8:9]
.LBB891_173:
	s_or_b64 exec, exec, s[2:3]
	s_mov_b32 s2, 0xffffff
	v_cmp_lt_u32_e32 vcc, s2, v40
	s_and_saveexec_b64 s[2:3], vcc
	s_cbranch_execz .LBB891_179
; %bb.174:
	v_lshrrev_b32_e32 v38, 24, v40
	s_movk_i32 s8, 0x80
	v_cmp_ne_u32_e32 vcc, s8, v38
	v_mov_b32_e32 v52, 0xffff8000
	s_and_saveexec_b64 s[8:9], vcc
	s_cbranch_execz .LBB891_178
; %bb.175:
	v_bfe_u32 v40, v40, 24, 7
	s_movk_i32 s10, 0x7f
	v_cmp_ne_u32_e32 vcc, s10, v40
	v_mov_b32_e32 v52, 0x7f80
	s_and_saveexec_b64 s[10:11], vcc
	s_cbranch_execz .LBB891_177
; %bb.176:
	v_and_b32_e32 v52, 7, v38
	v_ffbh_u32_e32 v54, v52
	v_min_u32_e32 v57, 32, v54
	v_subrev_u32_e32 v54, 28, v57
	v_lshlrev_b64 v[54:55], v54, v[38:39]
	v_lshrrev_b32_e32 v56, 3, v40
	v_sub_u32_e32 v55, 29, v57
	v_and_b32_e32 v54, 7, v54
	v_cmp_gt_u32_e32 vcc, 8, v40
	v_cndmask_b32_e32 v40, v56, v55, vcc
	v_cndmask_b32_e32 v52, v52, v54, vcc
	v_lshlrev_b32_e32 v38, 24, v38
	v_bfrev_b32_e32 v54, 60
	v_lshlrev_b32_e32 v52, 20, v52
	v_and_b32_e32 v38, 0x80000000, v38
	v_lshl_add_u32 v40, v40, 23, v54
	v_or3_b32 v38, v38, v40, v52
	v_lshrrev_b32_e32 v52, 16, v38
.LBB891_177:
	s_or_b64 exec, exec, s[10:11]
.LBB891_178:
	s_or_b64 exec, exec, s[8:9]
.LBB891_179:
	s_or_b64 exec, exec, s[2:3]
	v_mov_b32_e32 v40, 0
	v_cmp_ne_u16_sdwa s[8:9], v41, v40 src0_sel:BYTE_0 src1_sel:DWORD
	v_mov_b32_e32 v54, 0
	s_and_saveexec_b64 s[2:3], s[8:9]
	s_cbranch_execz .LBB891_185
; %bb.180:
	s_movk_i32 s8, 0x80
	v_cmp_ne_u16_sdwa s[10:11], v41, s8 src0_sel:BYTE_0 src1_sel:DWORD
	v_mov_b32_e32 v54, 0xffff8000
	s_and_saveexec_b64 s[8:9], s[10:11]
	s_cbranch_execz .LBB891_184
; %bb.181:
	s_movk_i32 s10, 0x7f
	v_and_b32_e32 v38, 0x7f, v41
	v_cmp_ne_u32_e32 vcc, s10, v38
	v_mov_b32_e32 v54, 0x7f80
	s_and_saveexec_b64 s[10:11], vcc
	s_cbranch_execz .LBB891_183
; %bb.182:
	v_and_b32_e32 v56, 7, v41
	v_ffbh_u32_e32 v55, v56
	v_min_u32_e32 v58, 32, v55
	v_mov_b32_e32 v54, v41
	v_subrev_u32_e32 v55, 28, v58
	v_lshlrev_b64 v[54:55], v55, v[54:55]
	v_lshrrev_b32_e32 v57, 3, v38
	v_sub_u32_e32 v55, 29, v58
	v_and_b32_e32 v54, 7, v54
	v_cmp_gt_u32_e32 vcc, 8, v38
	v_cndmask_b32_e32 v38, v57, v55, vcc
	v_cndmask_b32_e32 v54, v56, v54, vcc
	v_lshlrev_b32_e32 v55, 24, v41
	v_bfrev_b32_e32 v56, 60
	v_lshlrev_b32_e32 v54, 20, v54
	v_and_b32_e32 v55, 0x80000000, v55
	v_lshl_add_u32 v38, v38, 23, v56
	v_or3_b32 v38, v55, v38, v54
	v_lshrrev_b32_e32 v54, 16, v38
.LBB891_183:
	s_or_b64 exec, exec, s[10:11]
.LBB891_184:
	s_or_b64 exec, exec, s[8:9]
.LBB891_185:
	s_or_b64 exec, exec, s[2:3]
	v_lshrrev_b16_e32 v38, 8, v41
	v_cmp_ne_u16_e32 vcc, 0, v38
	s_and_saveexec_b64 s[2:3], vcc
	s_cbranch_execz .LBB891_191
; %bb.186:
	s_movk_i32 s8, 0x80
	v_cmp_ne_u16_e32 vcc, s8, v38
	v_mov_b32_e32 v40, 0xffff8000
	s_and_saveexec_b64 s[8:9], vcc
	s_cbranch_execz .LBB891_190
; %bb.187:
	s_movk_i32 s10, 0x7f
	v_and_b32_e32 v55, 0x7f, v38
	v_cmp_ne_u32_e32 vcc, s10, v55
	v_mov_b32_e32 v40, 0x7f80
	s_and_saveexec_b64 s[10:11], vcc
	s_cbranch_execz .LBB891_189
; %bb.188:
	v_and_b32_e32 v40, 7, v38
	v_ffbh_u32_e32 v56, v40
	v_min_u32_e32 v59, 32, v56
	v_subrev_u32_e32 v56, 28, v59
	v_lshlrev_b64 v[56:57], v56, v[38:39]
	v_lshrrev_b32_e32 v58, 3, v55
	v_sub_u32_e32 v38, 29, v59
	v_and_b32_e32 v56, 7, v56
	v_cmp_gt_u32_e32 vcc, 8, v55
	v_cndmask_b32_e32 v38, v58, v38, vcc
	v_cndmask_b32_e32 v40, v40, v56, vcc
	v_lshlrev_b32_e32 v55, 16, v41
	v_bfrev_b32_e32 v56, 60
	v_lshlrev_b32_e32 v40, 20, v40
	v_and_b32_e32 v55, 0x80000000, v55
	v_lshl_add_u32 v38, v38, 23, v56
	v_or3_b32 v38, v55, v38, v40
	v_lshrrev_b32_e32 v40, 16, v38
.LBB891_189:
	s_or_b64 exec, exec, s[10:11]
.LBB891_190:
	s_or_b64 exec, exec, s[8:9]
.LBB891_191:
	s_or_b64 exec, exec, s[2:3]
	s_movk_i32 s2, 0xff
	v_and_b32_sdwa v57, v41, s2 dst_sel:DWORD dst_unused:UNUSED_PAD src0_sel:WORD_1 src1_sel:DWORD
	v_lshrrev_b32_e32 v38, 16, v41
	v_cmp_ne_u16_e32 vcc, 0, v57
	v_mov_b32_e32 v55, 0
	v_mov_b32_e32 v56, 0
	s_and_saveexec_b64 s[2:3], vcc
	s_cbranch_execz .LBB891_197
; %bb.192:
	s_movk_i32 s8, 0x80
	v_cmp_ne_u16_e32 vcc, s8, v57
	v_mov_b32_e32 v56, 0xffff8000
	s_and_saveexec_b64 s[8:9], vcc
	s_cbranch_execz .LBB891_196
; %bb.193:
	v_bfe_u32 v57, v41, 16, 7
	s_movk_i32 s10, 0x7f
	v_cmp_ne_u32_e32 vcc, s10, v57
	v_mov_b32_e32 v56, 0x7f80
	s_and_saveexec_b64 s[10:11], vcc
	s_cbranch_execz .LBB891_195
; %bb.194:
	v_and_b32_e32 v56, 7, v38
	v_ffbh_u32_e32 v58, v56
	v_min_u32_e32 v61, 32, v58
	v_subrev_u32_e32 v58, 28, v61
	v_lshlrev_b64 v[58:59], v58, v[38:39]
	v_lshrrev_b32_e32 v60, 3, v57
	v_sub_u32_e32 v38, 29, v61
	v_and_b32_e32 v58, 7, v58
	v_cmp_gt_u32_e32 vcc, 8, v57
	v_mov_b32_e32 v57, 24
	v_cndmask_b32_e32 v38, v60, v38, vcc
	v_cndmask_b32_e32 v56, v56, v58, vcc
	v_lshlrev_b32_sdwa v57, v57, v41 dst_sel:DWORD dst_unused:UNUSED_PAD src0_sel:DWORD src1_sel:WORD_1
	v_bfrev_b32_e32 v58, 60
	v_lshlrev_b32_e32 v56, 20, v56
	v_and_b32_e32 v57, 0x80000000, v57
	v_lshl_add_u32 v38, v38, 23, v58
	v_or3_b32 v38, v57, v38, v56
	v_lshrrev_b32_e32 v56, 16, v38
.LBB891_195:
	s_or_b64 exec, exec, s[10:11]
.LBB891_196:
	s_or_b64 exec, exec, s[8:9]
.LBB891_197:
	s_or_b64 exec, exec, s[2:3]
	s_mov_b32 s2, 0xffffff
	v_cmp_lt_u32_e32 vcc, s2, v41
	s_and_saveexec_b64 s[2:3], vcc
	s_cbranch_execz .LBB891_203
; %bb.198:
	v_lshrrev_b32_e32 v38, 24, v41
	s_movk_i32 s8, 0x80
	v_cmp_ne_u32_e32 vcc, s8, v38
	v_mov_b32_e32 v55, 0xffff8000
	s_and_saveexec_b64 s[8:9], vcc
	s_cbranch_execz .LBB891_202
; %bb.199:
	v_bfe_u32 v41, v41, 24, 7
	s_movk_i32 s10, 0x7f
	v_cmp_ne_u32_e32 vcc, s10, v41
	v_mov_b32_e32 v55, 0x7f80
	s_and_saveexec_b64 s[10:11], vcc
	s_cbranch_execz .LBB891_201
; %bb.200:
	v_and_b32_e32 v55, 7, v38
	v_ffbh_u32_e32 v58, v55
	v_min_u32_e32 v60, 32, v58
	v_subrev_u32_e32 v58, 28, v60
	v_lshlrev_b64 v[58:59], v58, v[38:39]
	v_lshrrev_b32_e32 v57, 3, v41
	v_sub_u32_e32 v59, 29, v60
	v_and_b32_e32 v58, 7, v58
	v_cmp_gt_u32_e32 vcc, 8, v41
	v_cndmask_b32_e32 v41, v57, v59, vcc
	v_cndmask_b32_e32 v55, v55, v58, vcc
	v_lshlrev_b32_e32 v38, 24, v38
	v_bfrev_b32_e32 v57, 60
	v_lshlrev_b32_e32 v55, 20, v55
	v_and_b32_e32 v38, 0x80000000, v38
	v_lshl_add_u32 v41, v41, 23, v57
	v_or3_b32 v38, v38, v41, v55
	v_lshrrev_b32_e32 v55, 16, v38
.LBB891_201:
	s_or_b64 exec, exec, s[10:11]
.LBB891_202:
	s_or_b64 exec, exec, s[8:9]
.LBB891_203:
	s_or_b64 exec, exec, s[2:3]
	s_mov_b32 s2, 0x5040100
	v_perm_b32 v53, v52, v53, s2
	v_perm_b32 v52, v39, v51, s2
	;; [unrolled: 1-line block ×4, first 2 shown]
	v_mfma_f32_16x16x16bf16_1k v[58:61], v[52:53], v[18:19], v[42:45]
	s_nop 6
	v_mov_b32_e32 v43, 0
	s_waitcnt vmcnt(5)
	v_cmp_ne_u16_sdwa s[8:9], v34, v43 src0_sel:BYTE_0 src1_sel:DWORD
	v_mfma_f32_16x16x16bf16_1k v[38:41], v[38:39], v[20:21], v[58:61]
	v_mov_b32_e32 v44, 0
	s_and_saveexec_b64 s[2:3], s[8:9]
	s_cbranch_execz .LBB891_209
; %bb.204:
	s_movk_i32 s8, 0x80
	v_cmp_ne_u16_sdwa s[10:11], v34, s8 src0_sel:BYTE_0 src1_sel:DWORD
	v_mov_b32_e32 v44, 0xffff8000
	s_and_saveexec_b64 s[8:9], s[10:11]
	s_cbranch_execz .LBB891_208
; %bb.205:
	s_movk_i32 s10, 0x7f
	v_and_b32_e32 v42, 0x7f, v34
	v_cmp_ne_u32_e32 vcc, s10, v42
	v_mov_b32_e32 v44, 0x7f80
	s_and_saveexec_b64 s[10:11], vcc
	s_cbranch_execz .LBB891_207
; %bb.206:
	v_and_b32_e32 v51, 7, v34
	v_ffbh_u32_e32 v44, v51
	v_min_u32_e32 v53, 32, v44
	v_subrev_u32_e32 v44, 28, v53
	v_lshlrev_b64 v[44:45], v44, v[34:35]
	v_lshrrev_b32_e32 v52, 3, v42
	v_sub_u32_e32 v45, 29, v53
	v_and_b32_e32 v44, 7, v44
	v_cmp_gt_u32_e32 vcc, 8, v42
	v_cndmask_b32_e32 v42, v52, v45, vcc
	v_cndmask_b32_e32 v44, v51, v44, vcc
	v_lshlrev_b32_e32 v45, 24, v34
	v_bfrev_b32_e32 v51, 60
	v_lshlrev_b32_e32 v44, 20, v44
	v_and_b32_e32 v45, 0x80000000, v45
	v_lshl_add_u32 v42, v42, 23, v51
	v_or3_b32 v42, v45, v42, v44
	v_lshrrev_b32_e32 v44, 16, v42
.LBB891_207:
	s_or_b64 exec, exec, s[10:11]
.LBB891_208:
	s_or_b64 exec, exec, s[8:9]
.LBB891_209:
	s_or_b64 exec, exec, s[2:3]
	v_lshrrev_b16_e32 v42, 8, v34
	v_cmp_ne_u16_e32 vcc, 0, v42
	s_and_saveexec_b64 s[2:3], vcc
	s_cbranch_execz .LBB891_215
; %bb.210:
	s_movk_i32 s8, 0x80
	v_cmp_ne_u16_e32 vcc, s8, v42
	v_mov_b32_e32 v43, 0xffff8000
	s_and_saveexec_b64 s[8:9], vcc
	s_cbranch_execz .LBB891_214
; %bb.211:
	s_movk_i32 s10, 0x7f
	v_and_b32_e32 v45, 0x7f, v42
	v_cmp_ne_u32_e32 vcc, s10, v45
	v_mov_b32_e32 v43, 0x7f80
	s_and_saveexec_b64 s[10:11], vcc
	s_cbranch_execz .LBB891_213
; %bb.212:
	v_and_b32_e32 v51, 7, v42
	v_ffbh_u32_e32 v43, v51
	v_min_u32_e32 v53, 32, v43
	v_subrev_u32_e32 v43, 28, v53
	v_lshlrev_b64 v[42:43], v43, v[42:43]
	v_lshrrev_b32_e32 v52, 3, v45
	v_sub_u32_e32 v43, 29, v53
	v_and_b32_e32 v42, 7, v42
	v_cmp_gt_u32_e32 vcc, 8, v45
	v_cndmask_b32_e32 v43, v52, v43, vcc
	v_cndmask_b32_e32 v42, v51, v42, vcc
	v_lshlrev_b32_e32 v45, 16, v34
	v_bfrev_b32_e32 v51, 60
	v_lshlrev_b32_e32 v42, 20, v42
	v_and_b32_e32 v45, 0x80000000, v45
	v_lshl_add_u32 v43, v43, 23, v51
	v_or3_b32 v42, v45, v43, v42
	v_lshrrev_b32_e32 v43, 16, v42
.LBB891_213:
	s_or_b64 exec, exec, s[10:11]
.LBB891_214:
	s_or_b64 exec, exec, s[8:9]
.LBB891_215:
	s_or_b64 exec, exec, s[2:3]
	s_movk_i32 s2, 0xff
	v_and_b32_sdwa v52, v34, s2 dst_sel:DWORD dst_unused:UNUSED_PAD src0_sel:WORD_1 src1_sel:DWORD
	v_lshrrev_b32_e32 v42, 16, v34
	v_cmp_ne_u16_e32 vcc, 0, v52
	v_mov_b32_e32 v45, 0
	v_mov_b32_e32 v51, 0
	s_and_saveexec_b64 s[2:3], vcc
	s_cbranch_execz .LBB891_221
; %bb.216:
	s_movk_i32 s8, 0x80
	v_cmp_ne_u16_e32 vcc, s8, v52
	v_mov_b32_e32 v51, 0xffff8000
	s_and_saveexec_b64 s[8:9], vcc
	s_cbranch_execz .LBB891_220
; %bb.217:
	v_bfe_u32 v52, v34, 16, 7
	s_movk_i32 s10, 0x7f
	v_cmp_ne_u32_e32 vcc, s10, v52
	v_mov_b32_e32 v51, 0x7f80
	s_and_saveexec_b64 s[10:11], vcc
	s_cbranch_execz .LBB891_219
; %bb.218:
	v_and_b32_e32 v51, 7, v42
	v_ffbh_u32_e32 v54, v51
	v_min_u32_e32 v56, 32, v54
	v_subrev_u32_e32 v54, 28, v56
	v_lshlrev_b64 v[54:55], v54, v[42:43]
	v_lshrrev_b32_e32 v53, 3, v52
	v_sub_u32_e32 v42, 29, v56
	v_and_b32_e32 v54, 7, v54
	v_cmp_gt_u32_e32 vcc, 8, v52
	v_mov_b32_e32 v52, 24
	v_cndmask_b32_e32 v42, v53, v42, vcc
	v_cndmask_b32_e32 v51, v51, v54, vcc
	v_lshlrev_b32_sdwa v52, v52, v34 dst_sel:DWORD dst_unused:UNUSED_PAD src0_sel:DWORD src1_sel:WORD_1
	v_bfrev_b32_e32 v53, 60
	v_lshlrev_b32_e32 v51, 20, v51
	v_and_b32_e32 v52, 0x80000000, v52
	v_lshl_add_u32 v42, v42, 23, v53
	v_or3_b32 v42, v52, v42, v51
	v_lshrrev_b32_e32 v51, 16, v42
.LBB891_219:
	s_or_b64 exec, exec, s[10:11]
.LBB891_220:
	s_or_b64 exec, exec, s[8:9]
.LBB891_221:
	s_or_b64 exec, exec, s[2:3]
	s_mov_b32 s2, 0xffffff
	v_cmp_lt_u32_e32 vcc, s2, v34
	s_and_saveexec_b64 s[2:3], vcc
	s_cbranch_execz .LBB891_227
; %bb.222:
	v_lshrrev_b32_e32 v42, 24, v34
	s_movk_i32 s8, 0x80
	v_cmp_ne_u32_e32 vcc, s8, v42
	v_mov_b32_e32 v45, 0xffff8000
	s_and_saveexec_b64 s[8:9], vcc
	s_cbranch_execz .LBB891_226
; %bb.223:
	v_bfe_u32 v34, v34, 24, 7
	s_movk_i32 s10, 0x7f
	v_cmp_ne_u32_e32 vcc, s10, v34
	v_mov_b32_e32 v45, 0x7f80
	s_and_saveexec_b64 s[10:11], vcc
	s_cbranch_execz .LBB891_225
; %bb.224:
	v_and_b32_e32 v45, 7, v42
	v_ffbh_u32_e32 v52, v45
	v_min_u32_e32 v55, 32, v52
	v_subrev_u32_e32 v52, 28, v55
	v_lshlrev_b64 v[52:53], v52, v[42:43]
	v_lshrrev_b32_e32 v54, 3, v34
	v_sub_u32_e32 v53, 29, v55
	v_and_b32_e32 v52, 7, v52
	v_cmp_gt_u32_e32 vcc, 8, v34
	v_cndmask_b32_e32 v34, v54, v53, vcc
	v_cndmask_b32_e32 v45, v45, v52, vcc
	v_lshlrev_b32_e32 v42, 24, v42
	v_bfrev_b32_e32 v52, 60
	v_lshlrev_b32_e32 v45, 20, v45
	v_and_b32_e32 v42, 0x80000000, v42
	v_lshl_add_u32 v34, v34, 23, v52
	v_or3_b32 v34, v42, v34, v45
	v_lshrrev_b32_e32 v45, 16, v34
.LBB891_225:
	s_or_b64 exec, exec, s[10:11]
.LBB891_226:
	s_or_b64 exec, exec, s[8:9]
.LBB891_227:
	s_or_b64 exec, exec, s[2:3]
	v_mov_b32_e32 v42, 0
	v_cmp_ne_u16_sdwa s[8:9], v35, v42 src0_sel:BYTE_0 src1_sel:DWORD
	v_mov_b32_e32 v52, 0
	s_and_saveexec_b64 s[2:3], s[8:9]
	s_cbranch_execz .LBB891_233
; %bb.228:
	s_movk_i32 s8, 0x80
	v_cmp_ne_u16_sdwa s[10:11], v35, s8 src0_sel:BYTE_0 src1_sel:DWORD
	v_mov_b32_e32 v52, 0xffff8000
	s_and_saveexec_b64 s[8:9], s[10:11]
	s_cbranch_execz .LBB891_232
; %bb.229:
	s_movk_i32 s10, 0x7f
	v_and_b32_e32 v34, 0x7f, v35
	v_cmp_ne_u32_e32 vcc, s10, v34
	v_mov_b32_e32 v52, 0x7f80
	s_and_saveexec_b64 s[10:11], vcc
	s_cbranch_execz .LBB891_231
; %bb.230:
	v_and_b32_e32 v54, 7, v35
	v_ffbh_u32_e32 v53, v54
	v_min_u32_e32 v56, 32, v53
	v_mov_b32_e32 v52, v35
	v_subrev_u32_e32 v53, 28, v56
	v_lshlrev_b64 v[52:53], v53, v[52:53]
	v_lshrrev_b32_e32 v55, 3, v34
	v_sub_u32_e32 v53, 29, v56
	v_and_b32_e32 v52, 7, v52
	v_cmp_gt_u32_e32 vcc, 8, v34
	v_cndmask_b32_e32 v34, v55, v53, vcc
	v_cndmask_b32_e32 v52, v54, v52, vcc
	v_lshlrev_b32_e32 v53, 24, v35
	v_bfrev_b32_e32 v54, 60
	v_lshlrev_b32_e32 v52, 20, v52
	v_and_b32_e32 v53, 0x80000000, v53
	v_lshl_add_u32 v34, v34, 23, v54
	v_or3_b32 v34, v53, v34, v52
	v_lshrrev_b32_e32 v52, 16, v34
.LBB891_231:
	s_or_b64 exec, exec, s[10:11]
.LBB891_232:
	s_or_b64 exec, exec, s[8:9]
.LBB891_233:
	s_or_b64 exec, exec, s[2:3]
	v_lshrrev_b16_e32 v34, 8, v35
	v_cmp_ne_u16_e32 vcc, 0, v34
	s_and_saveexec_b64 s[2:3], vcc
	s_cbranch_execz .LBB891_239
; %bb.234:
	s_movk_i32 s8, 0x80
	v_cmp_ne_u16_e32 vcc, s8, v34
	v_mov_b32_e32 v42, 0xffff8000
	s_and_saveexec_b64 s[8:9], vcc
	s_cbranch_execz .LBB891_238
; %bb.235:
	s_movk_i32 s10, 0x7f
	v_and_b32_e32 v53, 0x7f, v34
	v_cmp_ne_u32_e32 vcc, s10, v53
	v_mov_b32_e32 v42, 0x7f80
	s_and_saveexec_b64 s[10:11], vcc
	s_cbranch_execz .LBB891_237
; %bb.236:
	v_and_b32_e32 v42, 7, v34
	v_ffbh_u32_e32 v54, v42
	v_min_u32_e32 v57, 32, v54
	v_subrev_u32_e32 v54, 28, v57
	v_lshlrev_b64 v[54:55], v54, v[34:35]
	v_lshrrev_b32_e32 v56, 3, v53
	v_sub_u32_e32 v34, 29, v57
	v_and_b32_e32 v54, 7, v54
	v_cmp_gt_u32_e32 vcc, 8, v53
	v_cndmask_b32_e32 v34, v56, v34, vcc
	v_cndmask_b32_e32 v42, v42, v54, vcc
	v_lshlrev_b32_e32 v53, 16, v35
	v_bfrev_b32_e32 v54, 60
	v_lshlrev_b32_e32 v42, 20, v42
	v_and_b32_e32 v53, 0x80000000, v53
	v_lshl_add_u32 v34, v34, 23, v54
	v_or3_b32 v34, v53, v34, v42
	v_lshrrev_b32_e32 v42, 16, v34
.LBB891_237:
	s_or_b64 exec, exec, s[10:11]
.LBB891_238:
	s_or_b64 exec, exec, s[8:9]
.LBB891_239:
	s_or_b64 exec, exec, s[2:3]
	s_movk_i32 s2, 0xff
	v_and_b32_sdwa v55, v35, s2 dst_sel:DWORD dst_unused:UNUSED_PAD src0_sel:WORD_1 src1_sel:DWORD
	v_lshrrev_b32_e32 v34, 16, v35
	v_cmp_ne_u16_e32 vcc, 0, v55
	v_mov_b32_e32 v53, 0
	v_mov_b32_e32 v54, 0
	s_and_saveexec_b64 s[2:3], vcc
	s_cbranch_execz .LBB891_245
; %bb.240:
	s_movk_i32 s8, 0x80
	v_cmp_ne_u16_e32 vcc, s8, v55
	v_mov_b32_e32 v54, 0xffff8000
	s_and_saveexec_b64 s[8:9], vcc
	s_cbranch_execz .LBB891_244
; %bb.241:
	v_bfe_u32 v55, v35, 16, 7
	s_movk_i32 s10, 0x7f
	v_cmp_ne_u32_e32 vcc, s10, v55
	v_mov_b32_e32 v54, 0x7f80
	s_and_saveexec_b64 s[10:11], vcc
	s_cbranch_execz .LBB891_243
; %bb.242:
	v_and_b32_e32 v54, 7, v34
	v_ffbh_u32_e32 v56, v54
	v_min_u32_e32 v59, 32, v56
	v_subrev_u32_e32 v56, 28, v59
	v_lshlrev_b64 v[56:57], v56, v[34:35]
	v_lshrrev_b32_e32 v58, 3, v55
	v_sub_u32_e32 v34, 29, v59
	v_and_b32_e32 v56, 7, v56
	v_cmp_gt_u32_e32 vcc, 8, v55
	v_mov_b32_e32 v55, 24
	v_cndmask_b32_e32 v34, v58, v34, vcc
	v_cndmask_b32_e32 v54, v54, v56, vcc
	v_lshlrev_b32_sdwa v55, v55, v35 dst_sel:DWORD dst_unused:UNUSED_PAD src0_sel:DWORD src1_sel:WORD_1
	v_bfrev_b32_e32 v56, 60
	v_lshlrev_b32_e32 v54, 20, v54
	v_and_b32_e32 v55, 0x80000000, v55
	v_lshl_add_u32 v34, v34, 23, v56
	v_or3_b32 v34, v55, v34, v54
	v_lshrrev_b32_e32 v54, 16, v34
.LBB891_243:
	s_or_b64 exec, exec, s[10:11]
.LBB891_244:
	s_or_b64 exec, exec, s[8:9]
.LBB891_245:
	s_or_b64 exec, exec, s[2:3]
	s_mov_b32 s2, 0xffffff
	v_cmp_lt_u32_e32 vcc, s2, v35
	s_and_saveexec_b64 s[2:3], vcc
	s_cbranch_execz .LBB891_251
; %bb.246:
	v_lshrrev_b32_e32 v34, 24, v35
	s_movk_i32 s8, 0x80
	v_cmp_ne_u32_e32 vcc, s8, v34
	v_mov_b32_e32 v53, 0xffff8000
	s_and_saveexec_b64 s[8:9], vcc
	s_cbranch_execz .LBB891_250
; %bb.247:
	v_bfe_u32 v35, v35, 24, 7
	s_movk_i32 s10, 0x7f
	v_cmp_ne_u32_e32 vcc, s10, v35
	v_mov_b32_e32 v53, 0x7f80
	s_and_saveexec_b64 s[10:11], vcc
	s_cbranch_execz .LBB891_249
; %bb.248:
	v_and_b32_e32 v53, 7, v34
	v_ffbh_u32_e32 v56, v53
	v_min_u32_e32 v58, 32, v56
	v_subrev_u32_e32 v56, 28, v58
	v_lshlrev_b64 v[56:57], v56, v[34:35]
	v_lshrrev_b32_e32 v55, 3, v35
	v_sub_u32_e32 v57, 29, v58
	v_and_b32_e32 v56, 7, v56
	v_cmp_gt_u32_e32 vcc, 8, v35
	v_cndmask_b32_e32 v35, v55, v57, vcc
	v_cndmask_b32_e32 v53, v53, v56, vcc
	v_lshlrev_b32_e32 v34, 24, v34
	v_bfrev_b32_e32 v55, 60
	v_lshlrev_b32_e32 v53, 20, v53
	v_and_b32_e32 v34, 0x80000000, v34
	v_lshl_add_u32 v35, v35, 23, v55
	v_or3_b32 v34, v34, v35, v53
	v_lshrrev_b32_e32 v53, 16, v34
.LBB891_249:
	s_or_b64 exec, exec, s[10:11]
.LBB891_250:
	s_or_b64 exec, exec, s[8:9]
.LBB891_251:
	s_or_b64 exec, exec, s[2:3]
	s_mov_b32 s2, 0x5040100
	v_perm_b32 v35, v45, v51, s2
	v_perm_b32 v34, v43, v44, s2
	;; [unrolled: 1-line block ×4, first 2 shown]
	v_mov_b32_e32 v51, 0
	v_mfma_f32_16x16x16bf16_1k v[56:59], v[34:35], v[26:27], 0
	v_mov_b32_e32 v35, 0
	v_cmp_ne_u16_sdwa s[8:9], v36, v35 src0_sel:BYTE_0 src1_sel:DWORD
	v_mfma_f32_16x16x16bf16_1k v[42:45], v[42:43], v[28:29], v[56:59]
	s_and_saveexec_b64 s[2:3], s[8:9]
	s_cbranch_execz .LBB891_257
; %bb.252:
	s_movk_i32 s8, 0x80
	v_cmp_ne_u16_sdwa s[10:11], v36, s8 src0_sel:BYTE_0 src1_sel:DWORD
	v_mov_b32_e32 v51, 0xffff8000
	s_and_saveexec_b64 s[8:9], s[10:11]
	s_cbranch_execz .LBB891_256
; %bb.253:
	s_movk_i32 s10, 0x7f
	v_and_b32_e32 v34, 0x7f, v36
	v_cmp_ne_u32_e32 vcc, s10, v34
	v_mov_b32_e32 v51, 0x7f80
	s_and_saveexec_b64 s[10:11], vcc
	s_cbranch_execz .LBB891_255
; %bb.254:
	v_and_b32_e32 v51, 7, v36
	v_ffbh_u32_e32 v52, v51
	v_min_u32_e32 v55, 32, v52
	v_subrev_u32_e32 v52, 28, v55
	v_lshlrev_b64 v[52:53], v52, v[36:37]
	v_lshrrev_b32_e32 v54, 3, v34
	v_sub_u32_e32 v53, 29, v55
	v_and_b32_e32 v52, 7, v52
	v_cmp_gt_u32_e32 vcc, 8, v34
	v_cndmask_b32_e32 v34, v54, v53, vcc
	v_cndmask_b32_e32 v51, v51, v52, vcc
	v_lshlrev_b32_e32 v52, 24, v36
	v_bfrev_b32_e32 v53, 60
	v_lshlrev_b32_e32 v51, 20, v51
	v_and_b32_e32 v52, 0x80000000, v52
	v_lshl_add_u32 v34, v34, 23, v53
	v_or3_b32 v34, v52, v34, v51
	v_lshrrev_b32_e32 v51, 16, v34
.LBB891_255:
	s_or_b64 exec, exec, s[10:11]
.LBB891_256:
	s_or_b64 exec, exec, s[8:9]
.LBB891_257:
	s_or_b64 exec, exec, s[2:3]
	v_lshrrev_b16_e32 v34, 8, v36
	v_cmp_ne_u16_e32 vcc, 0, v34
	s_and_saveexec_b64 s[2:3], vcc
	s_cbranch_execz .LBB891_263
; %bb.258:
	s_movk_i32 s8, 0x80
	v_cmp_ne_u16_e32 vcc, s8, v34
	v_mov_b32_e32 v35, 0xffff8000
	s_and_saveexec_b64 s[8:9], vcc
	s_cbranch_execz .LBB891_262
; %bb.259:
	s_movk_i32 s10, 0x7f
	v_and_b32_e32 v52, 0x7f, v34
	v_cmp_ne_u32_e32 vcc, s10, v52
	v_mov_b32_e32 v35, 0x7f80
	s_and_saveexec_b64 s[10:11], vcc
	s_cbranch_execz .LBB891_261
; %bb.260:
	v_and_b32_e32 v53, 7, v34
	v_ffbh_u32_e32 v35, v53
	v_min_u32_e32 v55, 32, v35
	v_subrev_u32_e32 v35, 28, v55
	v_lshlrev_b64 v[34:35], v35, v[34:35]
	v_lshrrev_b32_e32 v54, 3, v52
	v_sub_u32_e32 v35, 29, v55
	v_and_b32_e32 v34, 7, v34
	v_cmp_gt_u32_e32 vcc, 8, v52
	v_cndmask_b32_e32 v35, v54, v35, vcc
	v_cndmask_b32_e32 v34, v53, v34, vcc
	v_lshlrev_b32_e32 v52, 16, v36
	v_bfrev_b32_e32 v53, 60
	v_lshlrev_b32_e32 v34, 20, v34
	v_and_b32_e32 v52, 0x80000000, v52
	v_lshl_add_u32 v35, v35, 23, v53
	v_or3_b32 v34, v52, v35, v34
	v_lshrrev_b32_e32 v35, 16, v34
.LBB891_261:
	s_or_b64 exec, exec, s[10:11]
.LBB891_262:
	s_or_b64 exec, exec, s[8:9]
.LBB891_263:
	s_or_b64 exec, exec, s[2:3]
	s_movk_i32 s2, 0xff
	v_and_b32_sdwa v54, v36, s2 dst_sel:DWORD dst_unused:UNUSED_PAD src0_sel:WORD_1 src1_sel:DWORD
	v_lshrrev_b32_e32 v34, 16, v36
	v_cmp_ne_u16_e32 vcc, 0, v54
	v_mov_b32_e32 v52, 0
	v_mov_b32_e32 v53, 0
	s_and_saveexec_b64 s[2:3], vcc
	s_cbranch_execz .LBB891_269
; %bb.264:
	s_movk_i32 s8, 0x80
	v_cmp_ne_u16_e32 vcc, s8, v54
	v_mov_b32_e32 v53, 0xffff8000
	s_and_saveexec_b64 s[8:9], vcc
	s_cbranch_execz .LBB891_268
; %bb.265:
	v_bfe_u32 v54, v36, 16, 7
	s_movk_i32 s10, 0x7f
	v_cmp_ne_u32_e32 vcc, s10, v54
	v_mov_b32_e32 v53, 0x7f80
	s_and_saveexec_b64 s[10:11], vcc
	s_cbranch_execz .LBB891_267
; %bb.266:
	v_and_b32_e32 v53, 7, v34
	v_ffbh_u32_e32 v56, v53
	v_min_u32_e32 v58, 32, v56
	v_subrev_u32_e32 v56, 28, v58
	v_lshlrev_b64 v[56:57], v56, v[34:35]
	v_lshrrev_b32_e32 v55, 3, v54
	v_sub_u32_e32 v34, 29, v58
	v_and_b32_e32 v56, 7, v56
	v_cmp_gt_u32_e32 vcc, 8, v54
	v_mov_b32_e32 v54, 24
	v_cndmask_b32_e32 v34, v55, v34, vcc
	v_cndmask_b32_e32 v53, v53, v56, vcc
	v_lshlrev_b32_sdwa v54, v54, v36 dst_sel:DWORD dst_unused:UNUSED_PAD src0_sel:DWORD src1_sel:WORD_1
	v_bfrev_b32_e32 v55, 60
	v_lshlrev_b32_e32 v53, 20, v53
	v_and_b32_e32 v54, 0x80000000, v54
	v_lshl_add_u32 v34, v34, 23, v55
	v_or3_b32 v34, v54, v34, v53
	v_lshrrev_b32_e32 v53, 16, v34
.LBB891_267:
	s_or_b64 exec, exec, s[10:11]
.LBB891_268:
	s_or_b64 exec, exec, s[8:9]
.LBB891_269:
	s_or_b64 exec, exec, s[2:3]
	s_mov_b32 s2, 0xffffff
	v_cmp_lt_u32_e32 vcc, s2, v36
	s_and_saveexec_b64 s[2:3], vcc
	s_cbranch_execz .LBB891_275
; %bb.270:
	v_lshrrev_b32_e32 v34, 24, v36
	s_movk_i32 s8, 0x80
	v_cmp_ne_u32_e32 vcc, s8, v34
	v_mov_b32_e32 v52, 0xffff8000
	s_and_saveexec_b64 s[8:9], vcc
	s_cbranch_execz .LBB891_274
; %bb.271:
	v_bfe_u32 v36, v36, 24, 7
	s_movk_i32 s10, 0x7f
	v_cmp_ne_u32_e32 vcc, s10, v36
	v_mov_b32_e32 v52, 0x7f80
	s_and_saveexec_b64 s[10:11], vcc
	s_cbranch_execz .LBB891_273
; %bb.272:
	v_and_b32_e32 v52, 7, v34
	v_ffbh_u32_e32 v54, v52
	v_min_u32_e32 v57, 32, v54
	v_subrev_u32_e32 v54, 28, v57
	v_lshlrev_b64 v[54:55], v54, v[34:35]
	v_lshrrev_b32_e32 v56, 3, v36
	v_sub_u32_e32 v55, 29, v57
	v_and_b32_e32 v54, 7, v54
	v_cmp_gt_u32_e32 vcc, 8, v36
	v_cndmask_b32_e32 v36, v56, v55, vcc
	v_cndmask_b32_e32 v52, v52, v54, vcc
	v_lshlrev_b32_e32 v34, 24, v34
	v_bfrev_b32_e32 v54, 60
	v_lshlrev_b32_e32 v52, 20, v52
	v_and_b32_e32 v34, 0x80000000, v34
	v_lshl_add_u32 v36, v36, 23, v54
	v_or3_b32 v34, v34, v36, v52
	v_lshrrev_b32_e32 v52, 16, v34
.LBB891_273:
	s_or_b64 exec, exec, s[10:11]
.LBB891_274:
	s_or_b64 exec, exec, s[8:9]
.LBB891_275:
	s_or_b64 exec, exec, s[2:3]
	v_mov_b32_e32 v36, 0
	v_cmp_ne_u16_sdwa s[8:9], v37, v36 src0_sel:BYTE_0 src1_sel:DWORD
	v_mov_b32_e32 v54, 0
	s_and_saveexec_b64 s[2:3], s[8:9]
	s_cbranch_execz .LBB891_281
; %bb.276:
	s_movk_i32 s8, 0x80
	v_cmp_ne_u16_sdwa s[10:11], v37, s8 src0_sel:BYTE_0 src1_sel:DWORD
	v_mov_b32_e32 v54, 0xffff8000
	s_and_saveexec_b64 s[8:9], s[10:11]
	s_cbranch_execz .LBB891_280
; %bb.277:
	s_movk_i32 s10, 0x7f
	v_and_b32_e32 v34, 0x7f, v37
	v_cmp_ne_u32_e32 vcc, s10, v34
	v_mov_b32_e32 v54, 0x7f80
	s_and_saveexec_b64 s[10:11], vcc
	s_cbranch_execz .LBB891_279
; %bb.278:
	v_and_b32_e32 v56, 7, v37
	v_ffbh_u32_e32 v55, v56
	v_min_u32_e32 v58, 32, v55
	v_mov_b32_e32 v54, v37
	v_subrev_u32_e32 v55, 28, v58
	v_lshlrev_b64 v[54:55], v55, v[54:55]
	v_lshrrev_b32_e32 v57, 3, v34
	v_sub_u32_e32 v55, 29, v58
	v_and_b32_e32 v54, 7, v54
	v_cmp_gt_u32_e32 vcc, 8, v34
	v_cndmask_b32_e32 v34, v57, v55, vcc
	v_cndmask_b32_e32 v54, v56, v54, vcc
	v_lshlrev_b32_e32 v55, 24, v37
	v_bfrev_b32_e32 v56, 60
	v_lshlrev_b32_e32 v54, 20, v54
	v_and_b32_e32 v55, 0x80000000, v55
	v_lshl_add_u32 v34, v34, 23, v56
	v_or3_b32 v34, v55, v34, v54
	v_lshrrev_b32_e32 v54, 16, v34
.LBB891_279:
	s_or_b64 exec, exec, s[10:11]
.LBB891_280:
	s_or_b64 exec, exec, s[8:9]
.LBB891_281:
	s_or_b64 exec, exec, s[2:3]
	v_lshrrev_b16_e32 v34, 8, v37
	v_cmp_ne_u16_e32 vcc, 0, v34
	s_and_saveexec_b64 s[2:3], vcc
	s_cbranch_execz .LBB891_287
; %bb.282:
	s_movk_i32 s8, 0x80
	v_cmp_ne_u16_e32 vcc, s8, v34
	v_mov_b32_e32 v36, 0xffff8000
	s_and_saveexec_b64 s[8:9], vcc
	s_cbranch_execz .LBB891_286
; %bb.283:
	s_movk_i32 s10, 0x7f
	v_and_b32_e32 v55, 0x7f, v34
	v_cmp_ne_u32_e32 vcc, s10, v55
	v_mov_b32_e32 v36, 0x7f80
	s_and_saveexec_b64 s[10:11], vcc
	s_cbranch_execz .LBB891_285
; %bb.284:
	v_and_b32_e32 v36, 7, v34
	v_ffbh_u32_e32 v56, v36
	v_min_u32_e32 v59, 32, v56
	v_subrev_u32_e32 v56, 28, v59
	v_lshlrev_b64 v[56:57], v56, v[34:35]
	v_lshrrev_b32_e32 v58, 3, v55
	v_sub_u32_e32 v34, 29, v59
	v_and_b32_e32 v56, 7, v56
	v_cmp_gt_u32_e32 vcc, 8, v55
	v_cndmask_b32_e32 v34, v58, v34, vcc
	v_cndmask_b32_e32 v36, v36, v56, vcc
	v_lshlrev_b32_e32 v55, 16, v37
	v_bfrev_b32_e32 v56, 60
	v_lshlrev_b32_e32 v36, 20, v36
	v_and_b32_e32 v55, 0x80000000, v55
	v_lshl_add_u32 v34, v34, 23, v56
	v_or3_b32 v34, v55, v34, v36
	v_lshrrev_b32_e32 v36, 16, v34
.LBB891_285:
	s_or_b64 exec, exec, s[10:11]
.LBB891_286:
	s_or_b64 exec, exec, s[8:9]
.LBB891_287:
	s_or_b64 exec, exec, s[2:3]
	s_movk_i32 s2, 0xff
	v_and_b32_sdwa v57, v37, s2 dst_sel:DWORD dst_unused:UNUSED_PAD src0_sel:WORD_1 src1_sel:DWORD
	v_lshrrev_b32_e32 v34, 16, v37
	v_cmp_ne_u16_e32 vcc, 0, v57
	v_mov_b32_e32 v55, 0
	v_mov_b32_e32 v56, 0
	s_and_saveexec_b64 s[2:3], vcc
	s_cbranch_execz .LBB891_293
; %bb.288:
	s_movk_i32 s8, 0x80
	v_cmp_ne_u16_e32 vcc, s8, v57
	v_mov_b32_e32 v56, 0xffff8000
	s_and_saveexec_b64 s[8:9], vcc
	s_cbranch_execz .LBB891_292
; %bb.289:
	v_bfe_u32 v57, v37, 16, 7
	s_movk_i32 s10, 0x7f
	v_cmp_ne_u32_e32 vcc, s10, v57
	v_mov_b32_e32 v56, 0x7f80
	s_and_saveexec_b64 s[10:11], vcc
	s_cbranch_execz .LBB891_291
; %bb.290:
	v_and_b32_e32 v56, 7, v34
	v_ffbh_u32_e32 v58, v56
	v_min_u32_e32 v61, 32, v58
	v_subrev_u32_e32 v58, 28, v61
	v_lshlrev_b64 v[58:59], v58, v[34:35]
	v_lshrrev_b32_e32 v60, 3, v57
	v_sub_u32_e32 v34, 29, v61
	v_and_b32_e32 v58, 7, v58
	v_cmp_gt_u32_e32 vcc, 8, v57
	v_mov_b32_e32 v57, 24
	v_cndmask_b32_e32 v34, v60, v34, vcc
	v_cndmask_b32_e32 v56, v56, v58, vcc
	v_lshlrev_b32_sdwa v57, v57, v37 dst_sel:DWORD dst_unused:UNUSED_PAD src0_sel:DWORD src1_sel:WORD_1
	v_bfrev_b32_e32 v58, 60
	v_lshlrev_b32_e32 v56, 20, v56
	v_and_b32_e32 v57, 0x80000000, v57
	v_lshl_add_u32 v34, v34, 23, v58
	v_or3_b32 v34, v57, v34, v56
	v_lshrrev_b32_e32 v56, 16, v34
.LBB891_291:
	s_or_b64 exec, exec, s[10:11]
.LBB891_292:
	s_or_b64 exec, exec, s[8:9]
.LBB891_293:
	s_or_b64 exec, exec, s[2:3]
	s_mov_b32 s2, 0xffffff
	v_cmp_lt_u32_e32 vcc, s2, v37
	s_and_saveexec_b64 s[2:3], vcc
	s_cbranch_execz .LBB891_299
; %bb.294:
	v_lshrrev_b32_e32 v34, 24, v37
	s_movk_i32 s8, 0x80
	v_cmp_ne_u32_e32 vcc, s8, v34
	v_mov_b32_e32 v55, 0xffff8000
	s_and_saveexec_b64 s[8:9], vcc
	s_cbranch_execz .LBB891_298
; %bb.295:
	v_bfe_u32 v37, v37, 24, 7
	s_movk_i32 s10, 0x7f
	v_cmp_ne_u32_e32 vcc, s10, v37
	v_mov_b32_e32 v55, 0x7f80
	s_and_saveexec_b64 s[10:11], vcc
	s_cbranch_execz .LBB891_297
; %bb.296:
	v_and_b32_e32 v55, 7, v34
	v_ffbh_u32_e32 v58, v55
	v_min_u32_e32 v60, 32, v58
	v_subrev_u32_e32 v58, 28, v60
	v_lshlrev_b64 v[58:59], v58, v[34:35]
	v_lshrrev_b32_e32 v57, 3, v37
	v_sub_u32_e32 v59, 29, v60
	v_and_b32_e32 v58, 7, v58
	v_cmp_gt_u32_e32 vcc, 8, v37
	v_cndmask_b32_e32 v37, v57, v59, vcc
	v_cndmask_b32_e32 v55, v55, v58, vcc
	v_lshlrev_b32_e32 v34, 24, v34
	v_bfrev_b32_e32 v57, 60
	v_lshlrev_b32_e32 v55, 20, v55
	v_and_b32_e32 v34, 0x80000000, v34
	v_lshl_add_u32 v37, v37, 23, v57
	v_or3_b32 v34, v34, v37, v55
	v_lshrrev_b32_e32 v55, 16, v34
.LBB891_297:
	s_or_b64 exec, exec, s[10:11]
.LBB891_298:
	s_or_b64 exec, exec, s[8:9]
.LBB891_299:
	s_or_b64 exec, exec, s[2:3]
	s_mov_b32 s2, 0x5040100
	v_perm_b32 v53, v52, v53, s2
	v_perm_b32 v52, v35, v51, s2
	;; [unrolled: 1-line block ×4, first 2 shown]
	v_mfma_f32_16x16x16bf16_1k v[58:61], v[52:53], v[18:19], v[42:45]
	s_nop 6
	v_mov_b32_e32 v43, 0
	s_waitcnt vmcnt(4)
	v_cmp_ne_u16_sdwa s[8:9], v22, v43 src0_sel:BYTE_0 src1_sel:DWORD
	v_mfma_f32_16x16x16bf16_1k v[34:37], v[34:35], v[20:21], v[58:61]
	v_mov_b32_e32 v44, 0
	s_and_saveexec_b64 s[2:3], s[8:9]
	s_cbranch_execz .LBB891_305
; %bb.300:
	s_movk_i32 s8, 0x80
	v_cmp_ne_u16_sdwa s[10:11], v22, s8 src0_sel:BYTE_0 src1_sel:DWORD
	v_mov_b32_e32 v44, 0xffff8000
	s_and_saveexec_b64 s[8:9], s[10:11]
	s_cbranch_execz .LBB891_304
; %bb.301:
	s_movk_i32 s10, 0x7f
	v_and_b32_e32 v42, 0x7f, v22
	v_cmp_ne_u32_e32 vcc, s10, v42
	v_mov_b32_e32 v44, 0x7f80
	s_and_saveexec_b64 s[10:11], vcc
	s_cbranch_execz .LBB891_303
; %bb.302:
	v_and_b32_e32 v51, 7, v22
	v_ffbh_u32_e32 v44, v51
	v_min_u32_e32 v53, 32, v44
	v_subrev_u32_e32 v44, 28, v53
	v_lshlrev_b64 v[44:45], v44, v[22:23]
	v_lshrrev_b32_e32 v52, 3, v42
	v_sub_u32_e32 v45, 29, v53
	v_and_b32_e32 v44, 7, v44
	v_cmp_gt_u32_e32 vcc, 8, v42
	v_cndmask_b32_e32 v42, v52, v45, vcc
	v_cndmask_b32_e32 v44, v51, v44, vcc
	v_lshlrev_b32_e32 v45, 24, v22
	v_bfrev_b32_e32 v51, 60
	v_lshlrev_b32_e32 v44, 20, v44
	v_and_b32_e32 v45, 0x80000000, v45
	v_lshl_add_u32 v42, v42, 23, v51
	v_or3_b32 v42, v45, v42, v44
	v_lshrrev_b32_e32 v44, 16, v42
.LBB891_303:
	s_or_b64 exec, exec, s[10:11]
.LBB891_304:
	s_or_b64 exec, exec, s[8:9]
.LBB891_305:
	s_or_b64 exec, exec, s[2:3]
	v_lshrrev_b16_e32 v42, 8, v22
	v_cmp_ne_u16_e32 vcc, 0, v42
	s_and_saveexec_b64 s[2:3], vcc
	s_cbranch_execz .LBB891_311
; %bb.306:
	s_movk_i32 s8, 0x80
	v_cmp_ne_u16_e32 vcc, s8, v42
	v_mov_b32_e32 v43, 0xffff8000
	s_and_saveexec_b64 s[8:9], vcc
	s_cbranch_execz .LBB891_310
; %bb.307:
	s_movk_i32 s10, 0x7f
	v_and_b32_e32 v45, 0x7f, v42
	v_cmp_ne_u32_e32 vcc, s10, v45
	v_mov_b32_e32 v43, 0x7f80
	s_and_saveexec_b64 s[10:11], vcc
	s_cbranch_execz .LBB891_309
; %bb.308:
	v_and_b32_e32 v51, 7, v42
	v_ffbh_u32_e32 v43, v51
	v_min_u32_e32 v53, 32, v43
	v_subrev_u32_e32 v43, 28, v53
	v_lshlrev_b64 v[42:43], v43, v[42:43]
	v_lshrrev_b32_e32 v52, 3, v45
	v_sub_u32_e32 v43, 29, v53
	v_and_b32_e32 v42, 7, v42
	v_cmp_gt_u32_e32 vcc, 8, v45
	v_cndmask_b32_e32 v43, v52, v43, vcc
	v_cndmask_b32_e32 v42, v51, v42, vcc
	v_lshlrev_b32_e32 v45, 16, v22
	v_bfrev_b32_e32 v51, 60
	v_lshlrev_b32_e32 v42, 20, v42
	v_and_b32_e32 v45, 0x80000000, v45
	v_lshl_add_u32 v43, v43, 23, v51
	v_or3_b32 v42, v45, v43, v42
	v_lshrrev_b32_e32 v43, 16, v42
.LBB891_309:
	s_or_b64 exec, exec, s[10:11]
.LBB891_310:
	s_or_b64 exec, exec, s[8:9]
.LBB891_311:
	s_or_b64 exec, exec, s[2:3]
	s_movk_i32 s2, 0xff
	v_and_b32_sdwa v52, v22, s2 dst_sel:DWORD dst_unused:UNUSED_PAD src0_sel:WORD_1 src1_sel:DWORD
	v_lshrrev_b32_e32 v42, 16, v22
	v_cmp_ne_u16_e32 vcc, 0, v52
	v_mov_b32_e32 v45, 0
	v_mov_b32_e32 v51, 0
	s_and_saveexec_b64 s[2:3], vcc
	s_cbranch_execz .LBB891_317
; %bb.312:
	s_movk_i32 s8, 0x80
	v_cmp_ne_u16_e32 vcc, s8, v52
	v_mov_b32_e32 v51, 0xffff8000
	s_and_saveexec_b64 s[8:9], vcc
	s_cbranch_execz .LBB891_316
; %bb.313:
	v_bfe_u32 v52, v22, 16, 7
	s_movk_i32 s10, 0x7f
	v_cmp_ne_u32_e32 vcc, s10, v52
	v_mov_b32_e32 v51, 0x7f80
	s_and_saveexec_b64 s[10:11], vcc
	s_cbranch_execz .LBB891_315
; %bb.314:
	v_and_b32_e32 v51, 7, v42
	v_ffbh_u32_e32 v54, v51
	v_min_u32_e32 v56, 32, v54
	v_subrev_u32_e32 v54, 28, v56
	v_lshlrev_b64 v[54:55], v54, v[42:43]
	v_lshrrev_b32_e32 v53, 3, v52
	v_sub_u32_e32 v42, 29, v56
	v_and_b32_e32 v54, 7, v54
	v_cmp_gt_u32_e32 vcc, 8, v52
	v_mov_b32_e32 v52, 24
	v_cndmask_b32_e32 v42, v53, v42, vcc
	v_cndmask_b32_e32 v51, v51, v54, vcc
	v_lshlrev_b32_sdwa v52, v52, v22 dst_sel:DWORD dst_unused:UNUSED_PAD src0_sel:DWORD src1_sel:WORD_1
	v_bfrev_b32_e32 v53, 60
	v_lshlrev_b32_e32 v51, 20, v51
	v_and_b32_e32 v52, 0x80000000, v52
	v_lshl_add_u32 v42, v42, 23, v53
	v_or3_b32 v42, v52, v42, v51
	v_lshrrev_b32_e32 v51, 16, v42
.LBB891_315:
	s_or_b64 exec, exec, s[10:11]
.LBB891_316:
	s_or_b64 exec, exec, s[8:9]
.LBB891_317:
	s_or_b64 exec, exec, s[2:3]
	s_mov_b32 s2, 0xffffff
	v_cmp_lt_u32_e32 vcc, s2, v22
	s_and_saveexec_b64 s[2:3], vcc
	s_cbranch_execz .LBB891_323
; %bb.318:
	v_lshrrev_b32_e32 v42, 24, v22
	s_movk_i32 s8, 0x80
	v_cmp_ne_u32_e32 vcc, s8, v42
	v_mov_b32_e32 v45, 0xffff8000
	s_and_saveexec_b64 s[8:9], vcc
	s_cbranch_execz .LBB891_322
; %bb.319:
	v_bfe_u32 v22, v22, 24, 7
	s_movk_i32 s10, 0x7f
	v_cmp_ne_u32_e32 vcc, s10, v22
	v_mov_b32_e32 v45, 0x7f80
	s_and_saveexec_b64 s[10:11], vcc
	s_cbranch_execz .LBB891_321
; %bb.320:
	v_and_b32_e32 v45, 7, v42
	v_ffbh_u32_e32 v52, v45
	v_min_u32_e32 v55, 32, v52
	v_subrev_u32_e32 v52, 28, v55
	v_lshlrev_b64 v[52:53], v52, v[42:43]
	v_lshrrev_b32_e32 v54, 3, v22
	v_sub_u32_e32 v53, 29, v55
	v_and_b32_e32 v52, 7, v52
	v_cmp_gt_u32_e32 vcc, 8, v22
	v_cndmask_b32_e32 v22, v54, v53, vcc
	v_cndmask_b32_e32 v45, v45, v52, vcc
	v_lshlrev_b32_e32 v42, 24, v42
	v_bfrev_b32_e32 v52, 60
	v_lshlrev_b32_e32 v45, 20, v45
	v_and_b32_e32 v42, 0x80000000, v42
	v_lshl_add_u32 v22, v22, 23, v52
	v_or3_b32 v22, v42, v22, v45
	v_lshrrev_b32_e32 v45, 16, v22
.LBB891_321:
	s_or_b64 exec, exec, s[10:11]
.LBB891_322:
	s_or_b64 exec, exec, s[8:9]
.LBB891_323:
	s_or_b64 exec, exec, s[2:3]
	v_mov_b32_e32 v42, 0
	v_cmp_ne_u16_sdwa s[8:9], v23, v42 src0_sel:BYTE_0 src1_sel:DWORD
	v_mov_b32_e32 v52, 0
	s_and_saveexec_b64 s[2:3], s[8:9]
	s_cbranch_execz .LBB891_329
; %bb.324:
	s_movk_i32 s8, 0x80
	v_cmp_ne_u16_sdwa s[10:11], v23, s8 src0_sel:BYTE_0 src1_sel:DWORD
	v_mov_b32_e32 v52, 0xffff8000
	s_and_saveexec_b64 s[8:9], s[10:11]
	s_cbranch_execz .LBB891_328
; %bb.325:
	s_movk_i32 s10, 0x7f
	v_and_b32_e32 v22, 0x7f, v23
	v_cmp_ne_u32_e32 vcc, s10, v22
	v_mov_b32_e32 v52, 0x7f80
	s_and_saveexec_b64 s[10:11], vcc
	s_cbranch_execz .LBB891_327
; %bb.326:
	v_and_b32_e32 v54, 7, v23
	v_ffbh_u32_e32 v53, v54
	v_min_u32_e32 v56, 32, v53
	v_mov_b32_e32 v52, v23
	v_subrev_u32_e32 v53, 28, v56
	v_lshlrev_b64 v[52:53], v53, v[52:53]
	v_lshrrev_b32_e32 v55, 3, v22
	v_sub_u32_e32 v53, 29, v56
	v_and_b32_e32 v52, 7, v52
	v_cmp_gt_u32_e32 vcc, 8, v22
	v_cndmask_b32_e32 v22, v55, v53, vcc
	v_cndmask_b32_e32 v52, v54, v52, vcc
	v_lshlrev_b32_e32 v53, 24, v23
	v_bfrev_b32_e32 v54, 60
	v_lshlrev_b32_e32 v52, 20, v52
	v_and_b32_e32 v53, 0x80000000, v53
	v_lshl_add_u32 v22, v22, 23, v54
	v_or3_b32 v22, v53, v22, v52
	v_lshrrev_b32_e32 v52, 16, v22
.LBB891_327:
	s_or_b64 exec, exec, s[10:11]
.LBB891_328:
	s_or_b64 exec, exec, s[8:9]
.LBB891_329:
	s_or_b64 exec, exec, s[2:3]
	v_lshrrev_b16_e32 v22, 8, v23
	v_cmp_ne_u16_e32 vcc, 0, v22
	s_and_saveexec_b64 s[2:3], vcc
	s_cbranch_execz .LBB891_335
; %bb.330:
	s_movk_i32 s8, 0x80
	v_cmp_ne_u16_e32 vcc, s8, v22
	v_mov_b32_e32 v42, 0xffff8000
	s_and_saveexec_b64 s[8:9], vcc
	s_cbranch_execz .LBB891_334
; %bb.331:
	s_movk_i32 s10, 0x7f
	v_and_b32_e32 v53, 0x7f, v22
	v_cmp_ne_u32_e32 vcc, s10, v53
	v_mov_b32_e32 v42, 0x7f80
	s_and_saveexec_b64 s[10:11], vcc
	s_cbranch_execz .LBB891_333
; %bb.332:
	v_and_b32_e32 v42, 7, v22
	v_ffbh_u32_e32 v54, v42
	v_min_u32_e32 v57, 32, v54
	v_subrev_u32_e32 v54, 28, v57
	v_lshlrev_b64 v[54:55], v54, v[22:23]
	v_lshrrev_b32_e32 v56, 3, v53
	v_sub_u32_e32 v22, 29, v57
	v_and_b32_e32 v54, 7, v54
	v_cmp_gt_u32_e32 vcc, 8, v53
	v_cndmask_b32_e32 v22, v56, v22, vcc
	v_cndmask_b32_e32 v42, v42, v54, vcc
	v_lshlrev_b32_e32 v53, 16, v23
	v_bfrev_b32_e32 v54, 60
	v_lshlrev_b32_e32 v42, 20, v42
	v_and_b32_e32 v53, 0x80000000, v53
	v_lshl_add_u32 v22, v22, 23, v54
	v_or3_b32 v22, v53, v22, v42
	v_lshrrev_b32_e32 v42, 16, v22
.LBB891_333:
	s_or_b64 exec, exec, s[10:11]
.LBB891_334:
	s_or_b64 exec, exec, s[8:9]
.LBB891_335:
	s_or_b64 exec, exec, s[2:3]
	s_movk_i32 s2, 0xff
	v_and_b32_sdwa v55, v23, s2 dst_sel:DWORD dst_unused:UNUSED_PAD src0_sel:WORD_1 src1_sel:DWORD
	v_lshrrev_b32_e32 v22, 16, v23
	v_cmp_ne_u16_e32 vcc, 0, v55
	v_mov_b32_e32 v53, 0
	v_mov_b32_e32 v54, 0
	s_and_saveexec_b64 s[2:3], vcc
	s_cbranch_execz .LBB891_341
; %bb.336:
	s_movk_i32 s8, 0x80
	v_cmp_ne_u16_e32 vcc, s8, v55
	v_mov_b32_e32 v54, 0xffff8000
	s_and_saveexec_b64 s[8:9], vcc
	s_cbranch_execz .LBB891_340
; %bb.337:
	v_bfe_u32 v55, v23, 16, 7
	s_movk_i32 s10, 0x7f
	v_cmp_ne_u32_e32 vcc, s10, v55
	v_mov_b32_e32 v54, 0x7f80
	s_and_saveexec_b64 s[10:11], vcc
	s_cbranch_execz .LBB891_339
; %bb.338:
	v_and_b32_e32 v54, 7, v22
	v_ffbh_u32_e32 v56, v54
	v_min_u32_e32 v59, 32, v56
	v_subrev_u32_e32 v56, 28, v59
	v_lshlrev_b64 v[56:57], v56, v[22:23]
	v_lshrrev_b32_e32 v58, 3, v55
	v_sub_u32_e32 v22, 29, v59
	v_and_b32_e32 v56, 7, v56
	v_cmp_gt_u32_e32 vcc, 8, v55
	v_mov_b32_e32 v55, 24
	v_cndmask_b32_e32 v22, v58, v22, vcc
	v_cndmask_b32_e32 v54, v54, v56, vcc
	v_lshlrev_b32_sdwa v55, v55, v23 dst_sel:DWORD dst_unused:UNUSED_PAD src0_sel:DWORD src1_sel:WORD_1
	v_bfrev_b32_e32 v56, 60
	v_lshlrev_b32_e32 v54, 20, v54
	v_and_b32_e32 v55, 0x80000000, v55
	v_lshl_add_u32 v22, v22, 23, v56
	v_or3_b32 v22, v55, v22, v54
	v_lshrrev_b32_e32 v54, 16, v22
.LBB891_339:
	s_or_b64 exec, exec, s[10:11]
.LBB891_340:
	s_or_b64 exec, exec, s[8:9]
.LBB891_341:
	s_or_b64 exec, exec, s[2:3]
	s_mov_b32 s2, 0xffffff
	v_cmp_lt_u32_e32 vcc, s2, v23
	s_and_saveexec_b64 s[2:3], vcc
	s_cbranch_execz .LBB891_347
; %bb.342:
	v_lshrrev_b32_e32 v22, 24, v23
	s_movk_i32 s8, 0x80
	v_cmp_ne_u32_e32 vcc, s8, v22
	v_mov_b32_e32 v53, 0xffff8000
	s_and_saveexec_b64 s[8:9], vcc
	s_cbranch_execz .LBB891_346
; %bb.343:
	v_bfe_u32 v23, v23, 24, 7
	s_movk_i32 s10, 0x7f
	v_cmp_ne_u32_e32 vcc, s10, v23
	v_mov_b32_e32 v53, 0x7f80
	s_and_saveexec_b64 s[10:11], vcc
	s_cbranch_execz .LBB891_345
; %bb.344:
	v_and_b32_e32 v53, 7, v22
	v_ffbh_u32_e32 v56, v53
	v_min_u32_e32 v58, 32, v56
	v_subrev_u32_e32 v56, 28, v58
	v_lshlrev_b64 v[56:57], v56, v[22:23]
	v_lshrrev_b32_e32 v55, 3, v23
	v_sub_u32_e32 v57, 29, v58
	v_and_b32_e32 v56, 7, v56
	v_cmp_gt_u32_e32 vcc, 8, v23
	v_cndmask_b32_e32 v23, v55, v57, vcc
	v_cndmask_b32_e32 v53, v53, v56, vcc
	v_lshlrev_b32_e32 v22, 24, v22
	v_bfrev_b32_e32 v55, 60
	v_lshlrev_b32_e32 v53, 20, v53
	v_and_b32_e32 v22, 0x80000000, v22
	v_lshl_add_u32 v23, v23, 23, v55
	v_or3_b32 v22, v22, v23, v53
	v_lshrrev_b32_e32 v53, 16, v22
.LBB891_345:
	s_or_b64 exec, exec, s[10:11]
.LBB891_346:
	s_or_b64 exec, exec, s[8:9]
.LBB891_347:
	s_or_b64 exec, exec, s[2:3]
	s_mov_b32 s2, 0x5040100
	v_perm_b32 v23, v45, v51, s2
	v_perm_b32 v22, v43, v44, s2
	s_nop 1
	v_mfma_f32_16x16x16bf16_1k v[56:59], v[22:23], v[26:27], 0
	v_perm_b32 v27, v53, v54, s2
	v_perm_b32 v26, v42, v52, s2
	v_mov_b32_e32 v23, 0
	v_cmp_ne_u16_sdwa s[8:9], v24, v23 src0_sel:BYTE_0 src1_sel:DWORD
	v_mov_b32_e32 v42, 0
	v_mfma_f32_16x16x16bf16_1k v[26:29], v[26:27], v[28:29], v[56:59]
	s_and_saveexec_b64 s[2:3], s[8:9]
	s_cbranch_execz .LBB891_353
; %bb.348:
	s_movk_i32 s8, 0x80
	v_cmp_ne_u16_sdwa s[10:11], v24, s8 src0_sel:BYTE_0 src1_sel:DWORD
	v_mov_b32_e32 v42, 0xffff8000
	s_and_saveexec_b64 s[8:9], s[10:11]
	s_cbranch_execz .LBB891_352
; %bb.349:
	s_movk_i32 s10, 0x7f
	v_and_b32_e32 v22, 0x7f, v24
	v_cmp_ne_u32_e32 vcc, s10, v22
	v_mov_b32_e32 v42, 0x7f80
	s_and_saveexec_b64 s[10:11], vcc
	s_cbranch_execz .LBB891_351
; %bb.350:
	v_and_b32_e32 v44, 7, v24
	v_ffbh_u32_e32 v42, v44
	v_min_u32_e32 v51, 32, v42
	v_subrev_u32_e32 v42, 28, v51
	v_lshlrev_b64 v[42:43], v42, v[24:25]
	v_lshrrev_b32_e32 v45, 3, v22
	v_sub_u32_e32 v43, 29, v51
	v_and_b32_e32 v42, 7, v42
	v_cmp_gt_u32_e32 vcc, 8, v22
	v_cndmask_b32_e32 v22, v45, v43, vcc
	v_cndmask_b32_e32 v42, v44, v42, vcc
	v_lshlrev_b32_e32 v43, 24, v24
	v_bfrev_b32_e32 v44, 60
	v_lshlrev_b32_e32 v42, 20, v42
	v_and_b32_e32 v43, 0x80000000, v43
	v_lshl_add_u32 v22, v22, 23, v44
	v_or3_b32 v22, v43, v22, v42
	v_lshrrev_b32_e32 v42, 16, v22
.LBB891_351:
	s_or_b64 exec, exec, s[10:11]
.LBB891_352:
	s_or_b64 exec, exec, s[8:9]
.LBB891_353:
	s_or_b64 exec, exec, s[2:3]
	v_lshrrev_b16_e32 v22, 8, v24
	v_cmp_ne_u16_e32 vcc, 0, v22
	s_and_saveexec_b64 s[2:3], vcc
	s_cbranch_execz .LBB891_359
; %bb.354:
	s_movk_i32 s8, 0x80
	v_cmp_ne_u16_e32 vcc, s8, v22
	v_mov_b32_e32 v23, 0xffff8000
	s_and_saveexec_b64 s[8:9], vcc
	s_cbranch_execz .LBB891_358
; %bb.355:
	s_movk_i32 s10, 0x7f
	v_and_b32_e32 v43, 0x7f, v22
	v_cmp_ne_u32_e32 vcc, s10, v43
	v_mov_b32_e32 v23, 0x7f80
	s_and_saveexec_b64 s[10:11], vcc
	s_cbranch_execz .LBB891_357
; %bb.356:
	v_and_b32_e32 v44, 7, v22
	v_ffbh_u32_e32 v23, v44
	v_min_u32_e32 v51, 32, v23
	v_subrev_u32_e32 v23, 28, v51
	v_lshlrev_b64 v[22:23], v23, v[22:23]
	v_lshrrev_b32_e32 v45, 3, v43
	v_sub_u32_e32 v23, 29, v51
	v_and_b32_e32 v22, 7, v22
	v_cmp_gt_u32_e32 vcc, 8, v43
	v_cndmask_b32_e32 v23, v45, v23, vcc
	v_cndmask_b32_e32 v22, v44, v22, vcc
	v_lshlrev_b32_e32 v43, 16, v24
	v_bfrev_b32_e32 v44, 60
	v_lshlrev_b32_e32 v22, 20, v22
	v_and_b32_e32 v43, 0x80000000, v43
	v_lshl_add_u32 v23, v23, 23, v44
	v_or3_b32 v22, v43, v23, v22
	v_lshrrev_b32_e32 v23, 16, v22
.LBB891_357:
	s_or_b64 exec, exec, s[10:11]
.LBB891_358:
	s_or_b64 exec, exec, s[8:9]
.LBB891_359:
	s_or_b64 exec, exec, s[2:3]
	s_movk_i32 s2, 0xff
	v_and_b32_sdwa v45, v24, s2 dst_sel:DWORD dst_unused:UNUSED_PAD src0_sel:WORD_1 src1_sel:DWORD
	v_lshrrev_b32_e32 v22, 16, v24
	v_cmp_ne_u16_e32 vcc, 0, v45
	v_mov_b32_e32 v43, 0
	v_mov_b32_e32 v44, 0
	s_and_saveexec_b64 s[2:3], vcc
	s_cbranch_execz .LBB891_365
; %bb.360:
	s_movk_i32 s8, 0x80
	v_cmp_ne_u16_e32 vcc, s8, v45
	v_mov_b32_e32 v44, 0xffff8000
	s_and_saveexec_b64 s[8:9], vcc
	s_cbranch_execz .LBB891_364
; %bb.361:
	v_bfe_u32 v45, v24, 16, 7
	s_movk_i32 s10, 0x7f
	v_cmp_ne_u32_e32 vcc, s10, v45
	v_mov_b32_e32 v44, 0x7f80
	s_and_saveexec_b64 s[10:11], vcc
	s_cbranch_execz .LBB891_363
; %bb.362:
	v_and_b32_e32 v44, 7, v22
	v_ffbh_u32_e32 v52, v44
	v_min_u32_e32 v54, 32, v52
	v_subrev_u32_e32 v52, 28, v54
	v_lshlrev_b64 v[52:53], v52, v[22:23]
	v_lshrrev_b32_e32 v51, 3, v45
	v_sub_u32_e32 v22, 29, v54
	v_and_b32_e32 v52, 7, v52
	v_cmp_gt_u32_e32 vcc, 8, v45
	v_mov_b32_e32 v45, 24
	v_cndmask_b32_e32 v22, v51, v22, vcc
	v_cndmask_b32_e32 v44, v44, v52, vcc
	v_lshlrev_b32_sdwa v45, v45, v24 dst_sel:DWORD dst_unused:UNUSED_PAD src0_sel:DWORD src1_sel:WORD_1
	v_bfrev_b32_e32 v51, 60
	v_lshlrev_b32_e32 v44, 20, v44
	v_and_b32_e32 v45, 0x80000000, v45
	v_lshl_add_u32 v22, v22, 23, v51
	v_or3_b32 v22, v45, v22, v44
	v_lshrrev_b32_e32 v44, 16, v22
.LBB891_363:
	s_or_b64 exec, exec, s[10:11]
.LBB891_364:
	s_or_b64 exec, exec, s[8:9]
.LBB891_365:
	s_or_b64 exec, exec, s[2:3]
	s_mov_b32 s2, 0xffffff
	v_cmp_lt_u32_e32 vcc, s2, v24
	s_and_saveexec_b64 s[2:3], vcc
	s_cbranch_execz .LBB891_371
; %bb.366:
	v_lshrrev_b32_e32 v22, 24, v24
	s_movk_i32 s8, 0x80
	v_cmp_ne_u32_e32 vcc, s8, v22
	v_mov_b32_e32 v43, 0xffff8000
	s_and_saveexec_b64 s[8:9], vcc
	s_cbranch_execz .LBB891_370
; %bb.367:
	v_bfe_u32 v24, v24, 24, 7
	s_movk_i32 s10, 0x7f
	v_cmp_ne_u32_e32 vcc, s10, v24
	v_mov_b32_e32 v43, 0x7f80
	s_and_saveexec_b64 s[10:11], vcc
	s_cbranch_execz .LBB891_369
; %bb.368:
	v_and_b32_e32 v43, 7, v22
	v_ffbh_u32_e32 v51, v43
	v_min_u32_e32 v51, 32, v51
	v_subrev_u32_e32 v52, 28, v51
	v_lshlrev_b64 v[52:53], v52, v[22:23]
	v_lshrrev_b32_e32 v45, 3, v24
	v_sub_u32_e32 v51, 29, v51
	v_and_b32_e32 v52, 7, v52
	v_cmp_gt_u32_e32 vcc, 8, v24
	v_cndmask_b32_e32 v24, v45, v51, vcc
	v_cndmask_b32_e32 v43, v43, v52, vcc
	v_lshlrev_b32_e32 v22, 24, v22
	v_bfrev_b32_e32 v45, 60
	v_lshlrev_b32_e32 v43, 20, v43
	v_and_b32_e32 v22, 0x80000000, v22
	v_lshl_add_u32 v24, v24, 23, v45
	v_or3_b32 v22, v22, v24, v43
	v_lshrrev_b32_e32 v43, 16, v22
.LBB891_369:
	s_or_b64 exec, exec, s[10:11]
.LBB891_370:
	s_or_b64 exec, exec, s[8:9]
.LBB891_371:
	s_or_b64 exec, exec, s[2:3]
	v_mov_b32_e32 v24, 0
	v_cmp_ne_u16_sdwa s[8:9], v25, v24 src0_sel:BYTE_0 src1_sel:DWORD
	v_mov_b32_e32 v51, 0
	s_and_saveexec_b64 s[2:3], s[8:9]
	s_cbranch_execz .LBB891_377
; %bb.372:
	s_movk_i32 s8, 0x80
	v_cmp_ne_u16_sdwa s[10:11], v25, s8 src0_sel:BYTE_0 src1_sel:DWORD
	v_mov_b32_e32 v51, 0xffff8000
	s_and_saveexec_b64 s[8:9], s[10:11]
	s_cbranch_execz .LBB891_376
; %bb.373:
	s_movk_i32 s10, 0x7f
	v_and_b32_e32 v22, 0x7f, v25
	v_cmp_ne_u32_e32 vcc, s10, v22
	v_mov_b32_e32 v51, 0x7f80
	s_and_saveexec_b64 s[10:11], vcc
	s_cbranch_execz .LBB891_375
; %bb.374:
	v_and_b32_e32 v45, 7, v25
	v_ffbh_u32_e32 v53, v45
	v_min_u32_e32 v54, 32, v53
	v_mov_b32_e32 v52, v25
	v_subrev_u32_e32 v53, 28, v54
	v_lshlrev_b64 v[52:53], v53, v[52:53]
	v_lshrrev_b32_e32 v51, 3, v22
	v_sub_u32_e32 v53, 29, v54
	v_and_b32_e32 v52, 7, v52
	v_cmp_gt_u32_e32 vcc, 8, v22
	v_cndmask_b32_e32 v22, v51, v53, vcc
	v_cndmask_b32_e32 v45, v45, v52, vcc
	v_lshlrev_b32_e32 v51, 24, v25
	v_bfrev_b32_e32 v52, 60
	v_lshlrev_b32_e32 v45, 20, v45
	v_and_b32_e32 v51, 0x80000000, v51
	v_lshl_add_u32 v22, v22, 23, v52
	v_or3_b32 v22, v51, v22, v45
	v_lshrrev_b32_e32 v51, 16, v22
.LBB891_375:
	s_or_b64 exec, exec, s[10:11]
.LBB891_376:
	s_or_b64 exec, exec, s[8:9]
.LBB891_377:
	s_or_b64 exec, exec, s[2:3]
	v_lshrrev_b16_e32 v22, 8, v25
	v_cmp_ne_u16_e32 vcc, 0, v22
	s_and_saveexec_b64 s[2:3], vcc
	s_cbranch_execz .LBB891_383
; %bb.378:
	s_movk_i32 s8, 0x80
	v_cmp_ne_u16_e32 vcc, s8, v22
	v_mov_b32_e32 v24, 0xffff8000
	s_and_saveexec_b64 s[8:9], vcc
	s_cbranch_execz .LBB891_382
; %bb.379:
	s_movk_i32 s10, 0x7f
	v_and_b32_e32 v45, 0x7f, v22
	v_cmp_ne_u32_e32 vcc, s10, v45
	v_mov_b32_e32 v24, 0x7f80
	s_and_saveexec_b64 s[10:11], vcc
	s_cbranch_execz .LBB891_381
; %bb.380:
	v_and_b32_e32 v24, 7, v22
	v_ffbh_u32_e32 v52, v24
	v_min_u32_e32 v55, 32, v52
	v_subrev_u32_e32 v52, 28, v55
	v_lshlrev_b64 v[52:53], v52, v[22:23]
	v_lshrrev_b32_e32 v54, 3, v45
	v_sub_u32_e32 v22, 29, v55
	v_and_b32_e32 v52, 7, v52
	v_cmp_gt_u32_e32 vcc, 8, v45
	v_cndmask_b32_e32 v22, v54, v22, vcc
	v_cndmask_b32_e32 v24, v24, v52, vcc
	v_lshlrev_b32_e32 v45, 16, v25
	v_bfrev_b32_e32 v52, 60
	v_lshlrev_b32_e32 v24, 20, v24
	v_and_b32_e32 v45, 0x80000000, v45
	v_lshl_add_u32 v22, v22, 23, v52
	v_or3_b32 v22, v45, v22, v24
	v_lshrrev_b32_e32 v24, 16, v22
.LBB891_381:
	s_or_b64 exec, exec, s[10:11]
.LBB891_382:
	s_or_b64 exec, exec, s[8:9]
.LBB891_383:
	s_or_b64 exec, exec, s[2:3]
	s_movk_i32 s2, 0xff
	v_and_b32_sdwa v45, v25, s2 dst_sel:DWORD dst_unused:UNUSED_PAD src0_sel:WORD_1 src1_sel:DWORD
	v_lshrrev_b32_e32 v22, 16, v25
	v_cmp_ne_u16_e32 vcc, 0, v45
	v_mov_b32_e32 v52, 0
	v_mov_b32_e32 v53, 0
	s_and_saveexec_b64 s[2:3], vcc
	s_cbranch_execz .LBB891_389
; %bb.384:
	s_movk_i32 s8, 0x80
	v_cmp_ne_u16_e32 vcc, s8, v45
	v_mov_b32_e32 v53, 0xffff8000
	s_and_saveexec_b64 s[8:9], vcc
	s_cbranch_execz .LBB891_388
; %bb.385:
	v_bfe_u32 v45, v25, 16, 7
	s_movk_i32 s10, 0x7f
	v_cmp_ne_u32_e32 vcc, s10, v45
	v_mov_b32_e32 v53, 0x7f80
	s_and_saveexec_b64 s[10:11], vcc
	s_cbranch_execz .LBB891_387
; %bb.386:
	v_and_b32_e32 v53, 7, v22
	v_ffbh_u32_e32 v54, v53
	v_min_u32_e32 v57, 32, v54
	v_subrev_u32_e32 v54, 28, v57
	v_lshlrev_b64 v[54:55], v54, v[22:23]
	v_and_b32_e32 v54, 7, v54
	v_cmp_gt_u32_e32 vcc, 8, v45
	v_lshrrev_b32_e32 v56, 3, v45
	v_sub_u32_e32 v22, 29, v57
	v_cndmask_b32_e32 v45, v53, v54, vcc
	v_mov_b32_e32 v53, 24
	v_cndmask_b32_e32 v22, v56, v22, vcc
	v_lshlrev_b32_sdwa v53, v53, v25 dst_sel:DWORD dst_unused:UNUSED_PAD src0_sel:DWORD src1_sel:WORD_1
	v_bfrev_b32_e32 v54, 60
	v_lshlrev_b32_e32 v45, 20, v45
	v_and_b32_e32 v53, 0x80000000, v53
	v_lshl_add_u32 v22, v22, 23, v54
	v_or3_b32 v22, v53, v22, v45
	v_lshrrev_b32_e32 v53, 16, v22
.LBB891_387:
	s_or_b64 exec, exec, s[10:11]
.LBB891_388:
	s_or_b64 exec, exec, s[8:9]
.LBB891_389:
	s_or_b64 exec, exec, s[2:3]
	s_mov_b32 s2, 0xffffff
	v_and_b32_e32 v45, 63, v0
	v_cmp_lt_u32_e32 vcc, s2, v25
	s_and_saveexec_b64 s[2:3], vcc
	s_cbranch_execz .LBB891_395
; %bb.390:
	v_lshrrev_b32_e32 v22, 24, v25
	s_movk_i32 s8, 0x80
	v_cmp_ne_u32_e32 vcc, s8, v22
	v_mov_b32_e32 v52, 0xffff8000
	s_and_saveexec_b64 s[8:9], vcc
	s_cbranch_execz .LBB891_394
; %bb.391:
	v_bfe_u32 v25, v25, 24, 7
	s_movk_i32 s10, 0x7f
	v_cmp_ne_u32_e32 vcc, s10, v25
	v_mov_b32_e32 v52, 0x7f80
	s_and_saveexec_b64 s[10:11], vcc
	s_cbranch_execz .LBB891_393
; %bb.392:
	v_and_b32_e32 v52, 7, v22
	v_ffbh_u32_e32 v54, v52
	v_min_u32_e32 v57, 32, v54
	v_subrev_u32_e32 v54, 28, v57
	v_lshlrev_b64 v[54:55], v54, v[22:23]
	v_lshrrev_b32_e32 v56, 3, v25
	v_sub_u32_e32 v55, 29, v57
	v_and_b32_e32 v54, 7, v54
	v_cmp_gt_u32_e32 vcc, 8, v25
	v_cndmask_b32_e32 v25, v56, v55, vcc
	v_cndmask_b32_e32 v52, v52, v54, vcc
	v_lshlrev_b32_e32 v22, 24, v22
	v_bfrev_b32_e32 v54, 60
	v_lshlrev_b32_e32 v52, 20, v52
	v_and_b32_e32 v22, 0x80000000, v22
	v_lshl_add_u32 v25, v25, 23, v54
	v_or3_b32 v22, v22, v25, v52
	v_lshrrev_b32_e32 v52, 16, v22
.LBB891_393:
	s_or_b64 exec, exec, s[10:11]
.LBB891_394:
	s_or_b64 exec, exec, s[8:9]
.LBB891_395:
	s_or_b64 exec, exec, s[2:3]
	s_mov_b32 s3, 0x5040100
	v_perm_b32 v43, v43, v44, s3
	v_perm_b32 v42, v23, v42, s3
	s_load_dword s2, s[4:5], 0x1c
	s_mov_b32 s46, 0xff7fffff
	s_waitcnt lgkmcnt(0)
	v_mfma_f32_16x16x16bf16_1k v[26:29], v[42:43], v[18:19], v[26:29]
	v_perm_b32 v19, v52, v53, s3
	v_perm_b32 v18, v24, v51, s3
	v_and_b32_e32 v24, 0xc0, v0
	v_mov_b32_e32 v22, s2
	v_add_u32_e32 v24, s20, v24
	v_mul_f32_e32 v44, s12, v22
	v_lshl_or_b32 v42, v1, 2, v24
	v_mfma_f32_16x16x16bf16_1k v[18:21], v[18:19], v[20:21], v[26:29]
	v_pk_mul_f32 v[22:23], v[44:45], v[36:37] op_sel_hi:[0,1]
	v_pk_mul_f32 v[36:37], v[44:45], v[40:41] op_sel_hi:[0,1]
	;; [unrolled: 1-line block ×4, first 2 shown]
	v_mov_b32_e32 v43, 0xff7fffff
	v_cmp_gt_i32_e64 s[26:27], s33, v42
	v_pk_mul_f32 v[38:39], v[44:45], v[38:39] op_sel_hi:[0,1]
	s_nop 3
	v_pk_mul_f32 v[32:33], v[44:45], v[18:19] op_sel_hi:[0,1]
	v_or_b32_e32 v19, 1, v42
	v_cmp_gt_i32_e64 s[28:29], s33, v19
	v_cndmask_b32_e64 v18, v43, v30, s[26:27]
	v_cndmask_b32_e64 v19, v43, v31, s[28:29]
	v_pk_mul_f32 v[24:25], v[44:45], v[20:21] op_sel_hi:[0,1]
	v_max3_f32 v18, v18, s46, v19
	v_or_b32_e32 v19, 2, v42
	v_or_b32_e32 v20, 3, v42
	v_cmp_gt_i32_e64 s[30:31], s33, v19
	v_cmp_gt_i32_e64 s[34:35], s33, v20
	v_cndmask_b32_e64 v19, v43, v40, s[30:31]
	v_cndmask_b32_e64 v20, v43, v41, s[34:35]
	v_max3_f32 v18, v18, v19, v20
	v_or_b32_e32 v19, 16, v42
	v_or_b32_e32 v20, 17, v42
	v_cmp_gt_i32_e64 s[36:37], s33, v19
	v_cmp_gt_i32_e64 s[38:39], s33, v20
	v_cndmask_b32_e64 v19, v43, v38, s[36:37]
	v_cndmask_b32_e64 v20, v43, v39, s[38:39]
	;; [unrolled: 7-line block ×3, first 2 shown]
	v_max3_f32 v18, v18, v19, v20
	v_or_b32_e32 v19, 32, v42
	v_or_b32_e32 v20, 33, v42
	v_pk_mul_f32 v[34:35], v[44:45], v[34:35] op_sel_hi:[0,1]
	v_cmp_gt_i32_e64 s[16:17], s33, v19
	v_cmp_gt_i32_e64 s[18:19], s33, v20
	v_cndmask_b32_e64 v19, v43, v34, s[16:17]
	v_cndmask_b32_e64 v20, v43, v35, s[18:19]
	v_max3_f32 v18, v18, v19, v20
	v_or_b32_e32 v19, 34, v42
	v_or_b32_e32 v20, 35, v42
	v_cmp_gt_i32_e64 s[12:13], s33, v19
	v_cmp_gt_i32_e64 s[14:15], s33, v20
	v_cndmask_b32_e64 v19, v43, v22, s[12:13]
	v_cndmask_b32_e64 v20, v43, v23, s[14:15]
	v_max3_f32 v18, v18, v19, v20
	v_or_b32_e32 v19, 48, v42
	v_or_b32_e32 v20, 49, v42
	;; [unrolled: 7-line block ×3, first 2 shown]
	v_cmp_gt_i32_e32 vcc, s33, v19
	v_cmp_gt_i32_e64 s[2:3], s33, v20
	v_cndmask_b32_e32 v19, v43, v24, vcc
	v_cndmask_b32_e64 v20, v43, v25, s[2:3]
	v_max3_f32 v18, v18, v19, v20
	v_mbcnt_lo_u32_b32 v19, -1, 0
	v_mbcnt_hi_u32_b32 v19, -1, v19
	v_and_b32_e32 v20, 64, v19
	v_add_u32_e32 v20, 64, v20
	v_xor_b32_e32 v21, 32, v19
	v_cmp_lt_i32_e64 s[40:41], v21, v20
	v_cndmask_b32_e64 v21, v19, v21, s[40:41]
	v_lshlrev_b32_e32 v43, 2, v21
	ds_bpermute_b32 v21, v43, v18
	s_barrier
	s_waitcnt lgkmcnt(0)
	v_max_f32_e32 v21, v21, v21
	v_max_f32_e32 v18, v18, v21
	v_xor_b32_e32 v21, 16, v19
	v_cmp_lt_i32_e64 s[40:41], v21, v20
	v_cndmask_b32_e64 v19, v19, v21, s[40:41]
	v_lshlrev_b32_e32 v44, 2, v19
	ds_bpermute_b32 v19, v44, v18
	s_waitcnt lgkmcnt(0)
	v_max_f32_e32 v19, v19, v19
	v_max_f32_e32 v42, v18, v19
	v_sub_f32_e32 v21, v40, v42
	v_sub_f32_e32 v26, v41, v42
	v_mul_f32_e32 v21, 0x3fb8aa3b, v21
	v_mul_f32_e32 v26, 0x3fb8aa3b, v26
	v_sub_f32_e32 v18, v30, v42
	v_exp_f32_e32 v21, v21
	v_exp_f32_e32 v26, v26
	v_mul_f32_e32 v18, 0x3fb8aa3b, v18
	v_sub_f32_e32 v19, v31, v42
	v_exp_f32_e32 v18, v18
	v_mul_f32_e32 v19, 0x3fb8aa3b, v19
	v_exp_f32_e32 v19, v19
	v_cndmask_b32_e64 v28, 0, v21, s[30:31]
	v_cndmask_b32_e64 v29, 0, v26, s[34:35]
	v_sub_f32_e32 v21, v38, v42
	v_sub_f32_e32 v26, v39, v42
	v_mul_f32_e32 v21, 0x3fb8aa3b, v21
	v_mul_f32_e32 v26, 0x3fb8aa3b, v26
	v_cndmask_b32_e64 v18, 0, v18, s[26:27]
	v_exp_f32_e32 v21, v21
	v_exp_f32_e32 v26, v26
	v_add_f32_e32 v20, 0, v18
	v_cndmask_b32_e64 v19, 0, v19, s[28:29]
	v_add_f32_e32 v20, v20, v19
	v_add_f32_e32 v20, v20, v28
	;; [unrolled: 1-line block ×3, first 2 shown]
	v_cndmask_b32_e64 v20, 0, v21, s[36:37]
	v_cndmask_b32_e64 v21, 0, v26, s[38:39]
	v_sub_f32_e32 v26, v36, v42
	v_mul_f32_e32 v26, 0x3fb8aa3b, v26
	v_exp_f32_e32 v26, v26
	v_sub_f32_e32 v30, v37, v42
	v_add_f32_e32 v27, v27, v20
	v_mul_f32_e32 v30, 0x3fb8aa3b, v30
	v_exp_f32_e32 v31, v30
	v_add_f32_e32 v27, v27, v21
	v_cndmask_b32_e64 v30, 0, v26, s[20:21]
	v_add_f32_e32 v26, v27, v30
	v_sub_f32_e32 v27, v34, v42
	v_mul_f32_e32 v27, 0x3fb8aa3b, v27
	v_sub_f32_e32 v34, v35, v42
	v_exp_f32_e32 v27, v27
	v_mul_f32_e32 v34, 0x3fb8aa3b, v34
	v_sub_f32_e32 v22, v22, v42
	v_exp_f32_e32 v34, v34
	;; [unrolled: 3-line block ×3, first 2 shown]
	v_mul_f32_e32 v23, 0x3fb8aa3b, v23
	v_cndmask_b32_e64 v31, 0, v31, s[22:23]
	v_exp_f32_e32 v23, v23
	v_add_f32_e32 v35, v26, v31
	v_cndmask_b32_e64 v26, 0, v27, s[16:17]
	v_add_f32_e32 v35, v35, v26
	v_cndmask_b32_e64 v27, 0, v34, s[18:19]
	;; [unrolled: 2-line block ×4, first 2 shown]
	v_sub_f32_e32 v23, v32, v42
	v_mul_f32_e32 v23, 0x3fb8aa3b, v23
	v_sub_f32_e32 v32, v33, v42
	v_exp_f32_e32 v23, v23
	v_mul_f32_e32 v32, 0x3fb8aa3b, v32
	v_sub_f32_e32 v24, v24, v42
	v_exp_f32_e32 v32, v32
	;; [unrolled: 3-line block ×3, first 2 shown]
	v_mul_f32_e32 v25, 0x3fb8aa3b, v25
	v_exp_f32_e32 v25, v25
	v_add_f32_e32 v33, v22, v35
	v_cndmask_b32_e64 v22, 0, v23, s[8:9]
	v_add_f32_e32 v33, v33, v22
	v_cndmask_b32_e64 v23, 0, v32, s[10:11]
	v_add_f32_e32 v32, v33, v23
	v_cndmask_b32_e32 v24, 0, v24, vcc
	v_add_f32_e32 v32, v32, v24
	v_cndmask_b32_e64 v25, 0, v25, s[2:3]
	v_add_f32_e32 v32, v32, v25
	ds_bpermute_b32 v33, v43, v32
	v_cmp_gt_u32_e32 vcc, 16, v45
	s_waitcnt lgkmcnt(0)
	v_add_f32_e32 v32, v32, v33
	ds_bpermute_b32 v36, v44, v32
	v_lshlrev_b32_e32 v33, 2, v49
	s_and_saveexec_b64 s[2:3], vcc
	s_cbranch_execz .LBB891_397
; %bb.396:
	s_waitcnt lgkmcnt(0)
	v_add_f32_e32 v32, v32, v36
	v_lshl_or_b32 v36, v50, 6, v33
	ds_write2st64_b32 v36, v42, v32 offset1:1
.LBB891_397:
	s_or_b64 exec, exec, s[2:3]
	s_waitcnt lgkmcnt(0)
	s_barrier
	ds_read2_b32 v[36:37], v33 offset1:16
	ds_read2_b32 v[38:39], v33 offset0:32 offset1:48
	ds_read2_b32 v[40:41], v33 offset0:64 offset1:80
	s_mul_i32 s12, s45, 14
	s_waitcnt lgkmcnt(2)
	v_max3_f32 v32, v36, s46, v37
	s_waitcnt lgkmcnt(1)
	v_max3_f32 v32, v32, v38, v39
	v_sub_f32_e32 v36, v36, v32
	v_mul_f32_e32 v36, 0x3fb8aa3b, v36
	v_exp_f32_e32 v42, v36
	v_sub_f32_e32 v36, v37, v32
	v_mul_f32_e32 v36, 0x3fb8aa3b, v36
	v_exp_f32_e32 v43, v36
	;; [unrolled: 3-line block ×3, first 2 shown]
	ds_read2_b32 v[36:37], v33 offset0:96 offset1:112
	v_sub_f32_e32 v33, v39, v32
	v_mul_f32_e32 v33, 0x3fb8aa3b, v33
	v_exp_f32_e32 v39, v33
	s_waitcnt lgkmcnt(1)
	v_fma_f32 v33, v42, v40, 0
	v_fmac_f32_e32 v33, v43, v41
	s_waitcnt lgkmcnt(0)
	v_fmac_f32_e32 v33, v38, v36
	v_fmac_f32_e32 v33, v39, v37
	v_add_f32_e32 v36, 0x358637bd, v33
	v_div_scale_f32 v37, s[2:3], v36, v36, 1.0
	v_rcp_f32_e32 v40, v37
	s_movk_i32 s2, 0x7fff
	s_mov_b32 s3, 0x7060302
	v_fma_f32 v41, -v37, v40, 1.0
	v_fmac_f32_e32 v40, v41, v40
	v_div_scale_f32 v41, vcc, 1.0, v36, 1.0
	v_mul_f32_e32 v44, v41, v40
	v_fma_f32 v45, -v37, v44, v41
	v_fmac_f32_e32 v44, v45, v40
	v_fma_f32 v37, -v37, v44, v41
	v_div_fmas_f32 v37, v37, v40, v44
	v_cmp_eq_u32_e32 vcc, 1, v50
	v_div_fixup_f32 v36, v37, v36, 1.0
	v_cndmask_b32_e32 v37, v42, v43, vcc
	v_cmp_eq_u32_e32 vcc, 2, v50
	v_cndmask_b32_e32 v37, v37, v38, vcc
	v_cmp_eq_u32_e32 vcc, 3, v50
	v_cndmask_b32_e32 v37, v37, v39, vcc
	v_mul_f32_e32 v36, v37, v36
	v_pk_mul_f32 v[18:19], v[36:37], v[18:19] op_sel_hi:[0,1]
	v_pk_mul_f32 v[28:29], v[36:37], v[28:29] op_sel_hi:[0,1]
	v_bfe_u32 v37, v19, 16, 1
	v_bfe_u32 v38, v18, 16, 1
	v_add3_u32 v18, v18, v38, s2
	v_add3_u32 v19, v19, v37, s2
	v_perm_b32 v18, v19, v18, s3
	v_bfe_u32 v19, v29, 16, 1
	v_bfe_u32 v37, v28, 16, 1
	v_add3_u32 v28, v28, v37, s2
	v_add3_u32 v19, v29, v19, s2
	v_perm_b32 v19, v19, v28, s3
	v_lshlrev_b32_e32 v28, 3, v1
	v_lshlrev_b32_e32 v29, 11, v50
	v_pk_mul_f32 v[20:21], v[36:37], v[20:21] op_sel_hi:[0,1]
	v_or3_b32 v28, v29, v48, v28
	v_pk_mul_f32 v[30:31], v[36:37], v[30:31] op_sel_hi:[0,1]
	v_bfe_u32 v29, v21, 16, 1
	v_bfe_u32 v37, v20, 16, 1
	v_add3_u32 v20, v20, v37, s2
	v_add3_u32 v21, v21, v29, s2
	v_perm_b32 v20, v21, v20, s3
	v_bfe_u32 v21, v31, 16, 1
	v_bfe_u32 v29, v30, 16, 1
	v_add3_u32 v29, v30, v29, s2
	v_add3_u32 v21, v31, v21, s2
	v_perm_b32 v21, v21, v29, s3
	s_barrier
	ds_write2st64_b64 v28, v[18:19], v[20:21] offset1:1
	v_pk_mul_f32 v[20:21], v[36:37], v[26:27] op_sel_hi:[0,1]
	v_bfe_u32 v26, v21, 16, 1
	v_bfe_u32 v27, v20, 16, 1
	v_pk_mul_f32 v[18:19], v[36:37], v[34:35] op_sel_hi:[0,1]
	v_add3_u32 v20, v20, v27, s2
	v_add3_u32 v21, v21, v26, s2
	v_perm_b32 v20, v21, v20, s3
	v_bfe_u32 v21, v19, 16, 1
	v_bfe_u32 v26, v18, 16, 1
	v_add3_u32 v18, v18, v26, s2
	v_add3_u32 v19, v19, v21, s2
	v_pk_mul_f32 v[22:23], v[36:37], v[22:23] op_sel_hi:[0,1]
	v_perm_b32 v21, v19, v18, s3
	v_pk_mul_f32 v[18:19], v[36:37], v[24:25] op_sel_hi:[0,1]
	v_bfe_u32 v24, v23, 16, 1
	v_bfe_u32 v25, v22, 16, 1
	v_add3_u32 v22, v22, v25, s2
	v_add3_u32 v23, v23, v24, s2
	v_perm_b32 v22, v23, v22, s3
	v_bfe_u32 v23, v19, 16, 1
	v_bfe_u32 v24, v18, 16, 1
	v_add3_u32 v18, v18, v24, s2
	v_add3_u32 v19, v19, v23, s2
	v_perm_b32 v23, v19, v18, s3
	v_cmp_gt_u32_e32 vcc, 14, v0
	ds_write2st64_b64 v28, v[20:21], v[22:23] offset0:2 offset1:3
	s_and_saveexec_b64 s[2:3], vcc
	s_cbranch_execz .LBB891_399
; %bb.398:
	v_add_co_u32_e32 v20, vcc, s25, v49
	v_addc_co_u32_e64 v21, s[14:15], 0, 0, vcc
	v_mov_b32_e32 v18, s12
	v_mov_b32_e32 v19, 0
	v_mad_u64_u32 v[20:21], s[14:15], s6, v18, v[20:21]
	v_mov_b32_e32 v18, s24
	s_load_dwordx4 s[8:11], s[4:5], 0x58
	s_mul_i32 s7, s7, s12
	v_mad_u64_u32 v[18:19], s[14:15], v20, s44, v[18:19]
	v_add_u32_e32 v21, s7, v21
	v_mov_b32_e32 v20, v19
	v_mad_u64_u32 v[20:21], s[14:15], v21, s44, v[20:21]
	v_mov_b32_e32 v19, v20
	v_lshlrev_b64 v[18:19], 2, v[18:19]
	s_waitcnt lgkmcnt(0)
	v_mov_b32_e32 v21, s11
	v_add_co_u32_e32 v20, vcc, s10, v18
	v_addc_co_u32_e32 v21, vcc, v21, v19, vcc
	global_store_dword v[20:21], v32, off
	v_mov_b32_e32 v20, s9
	v_add_co_u32_e32 v18, vcc, s8, v18
	v_addc_co_u32_e32 v19, vcc, v20, v19, vcc
	global_store_dword v[18:19], v33, off
.LBB891_399:
	s_or_b64 exec, exec, s[2:3]
	v_mov_b32_e32 v19, 0
	s_waitcnt vmcnt(3)
	v_cmp_ne_u16_sdwa s[8:9], v14, v19 src0_sel:BYTE_0 src1_sel:DWORD
	v_mov_b32_e32 v20, 0
	s_waitcnt lgkmcnt(0)
	s_barrier
	s_and_saveexec_b64 s[2:3], s[8:9]
	s_cbranch_execz .LBB891_405
; %bb.400:
	s_movk_i32 s7, 0x80
	v_cmp_ne_u16_sdwa s[10:11], v14, s7 src0_sel:BYTE_0 src1_sel:DWORD
	v_mov_b32_e32 v20, 0xffff8000
	s_and_saveexec_b64 s[8:9], s[10:11]
	s_cbranch_execz .LBB891_404
; %bb.401:
	s_movk_i32 s7, 0x7f
	v_and_b32_e32 v18, 0x7f, v14
	v_cmp_ne_u32_e32 vcc, s7, v18
	v_mov_b32_e32 v20, 0x7f80
	s_and_saveexec_b64 s[10:11], vcc
	s_cbranch_execz .LBB891_403
; %bb.402:
	v_and_b32_e32 v22, 7, v14
	v_ffbh_u32_e32 v20, v22
	v_min_u32_e32 v24, 32, v20
	v_subrev_u32_e32 v20, 28, v24
	v_lshlrev_b64 v[20:21], v20, v[14:15]
	v_lshrrev_b32_e32 v23, 3, v18
	v_sub_u32_e32 v21, 29, v24
	v_and_b32_e32 v20, 7, v20
	v_cmp_gt_u32_e32 vcc, 8, v18
	v_cndmask_b32_e32 v18, v23, v21, vcc
	v_cndmask_b32_e32 v20, v22, v20, vcc
	v_lshlrev_b32_e32 v21, 24, v14
	v_bfrev_b32_e32 v22, 60
	v_lshlrev_b32_e32 v20, 20, v20
	v_and_b32_e32 v21, 0x80000000, v21
	v_lshl_add_u32 v18, v18, 23, v22
	v_or3_b32 v18, v21, v18, v20
	v_lshrrev_b32_e32 v20, 16, v18
.LBB891_403:
	s_or_b64 exec, exec, s[10:11]
.LBB891_404:
	s_or_b64 exec, exec, s[8:9]
.LBB891_405:
	s_or_b64 exec, exec, s[2:3]
	v_lshrrev_b16_e32 v18, 8, v14
	v_cmp_ne_u16_e32 vcc, 0, v18
	s_and_saveexec_b64 s[2:3], vcc
	s_cbranch_execz .LBB891_411
; %bb.406:
	s_movk_i32 s7, 0x80
	v_cmp_ne_u16_e32 vcc, s7, v18
	v_mov_b32_e32 v19, 0xffff8000
	s_and_saveexec_b64 s[8:9], vcc
	s_cbranch_execz .LBB891_410
; %bb.407:
	s_movk_i32 s7, 0x7f
	v_and_b32_e32 v21, 0x7f, v18
	v_cmp_ne_u32_e32 vcc, s7, v21
	v_mov_b32_e32 v19, 0x7f80
	s_and_saveexec_b64 s[10:11], vcc
	s_cbranch_execz .LBB891_409
; %bb.408:
	v_and_b32_e32 v22, 7, v18
	v_ffbh_u32_e32 v19, v22
	v_min_u32_e32 v24, 32, v19
	v_subrev_u32_e32 v19, 28, v24
	v_lshlrev_b64 v[18:19], v19, v[18:19]
	v_lshrrev_b32_e32 v23, 3, v21
	v_sub_u32_e32 v19, 29, v24
	v_and_b32_e32 v18, 7, v18
	v_cmp_gt_u32_e32 vcc, 8, v21
	v_cndmask_b32_e32 v19, v23, v19, vcc
	v_cndmask_b32_e32 v18, v22, v18, vcc
	v_lshlrev_b32_e32 v21, 16, v14
	v_bfrev_b32_e32 v22, 60
	v_lshlrev_b32_e32 v18, 20, v18
	v_and_b32_e32 v21, 0x80000000, v21
	v_lshl_add_u32 v19, v19, 23, v22
	v_or3_b32 v18, v21, v19, v18
	v_lshrrev_b32_e32 v19, 16, v18
.LBB891_409:
	s_or_b64 exec, exec, s[10:11]
.LBB891_410:
	s_or_b64 exec, exec, s[8:9]
.LBB891_411:
	s_or_b64 exec, exec, s[2:3]
	s_movk_i32 s2, 0xff
	v_and_b32_sdwa v23, v14, s2 dst_sel:DWORD dst_unused:UNUSED_PAD src0_sel:WORD_1 src1_sel:DWORD
	v_lshrrev_b32_e32 v18, 16, v14
	v_cmp_ne_u16_e32 vcc, 0, v23
	v_mov_b32_e32 v21, 0
	v_mov_b32_e32 v22, 0
	s_and_saveexec_b64 s[2:3], vcc
	s_cbranch_execz .LBB891_417
; %bb.412:
	s_movk_i32 s7, 0x80
	v_cmp_ne_u16_e32 vcc, s7, v23
	v_mov_b32_e32 v22, 0xffff8000
	s_and_saveexec_b64 s[8:9], vcc
	s_cbranch_execz .LBB891_416
; %bb.413:
	v_bfe_u32 v23, v14, 16, 7
	s_movk_i32 s7, 0x7f
	v_cmp_ne_u32_e32 vcc, s7, v23
	v_mov_b32_e32 v22, 0x7f80
	s_and_saveexec_b64 s[10:11], vcc
	s_cbranch_execz .LBB891_415
; %bb.414:
	v_and_b32_e32 v22, 7, v18
	v_ffbh_u32_e32 v24, v22
	v_min_u32_e32 v27, 32, v24
	v_subrev_u32_e32 v24, 28, v27
	v_lshlrev_b64 v[24:25], v24, v[18:19]
	v_lshrrev_b32_e32 v26, 3, v23
	v_sub_u32_e32 v18, 29, v27
	v_and_b32_e32 v24, 7, v24
	v_cmp_gt_u32_e32 vcc, 8, v23
	v_mov_b32_e32 v23, 24
	v_cndmask_b32_e32 v18, v26, v18, vcc
	v_cndmask_b32_e32 v22, v22, v24, vcc
	v_lshlrev_b32_sdwa v23, v23, v14 dst_sel:DWORD dst_unused:UNUSED_PAD src0_sel:DWORD src1_sel:WORD_1
	v_bfrev_b32_e32 v24, 60
	v_lshlrev_b32_e32 v22, 20, v22
	v_and_b32_e32 v23, 0x80000000, v23
	v_lshl_add_u32 v18, v18, 23, v24
	v_or3_b32 v18, v23, v18, v22
	v_lshrrev_b32_e32 v22, 16, v18
.LBB891_415:
	s_or_b64 exec, exec, s[10:11]
.LBB891_416:
	s_or_b64 exec, exec, s[8:9]
.LBB891_417:
	s_or_b64 exec, exec, s[2:3]
	s_mov_b32 s2, 0xffffff
	v_cmp_lt_u32_e32 vcc, s2, v14
	s_and_saveexec_b64 s[2:3], vcc
	s_cbranch_execz .LBB891_423
; %bb.418:
	v_lshrrev_b32_e32 v18, 24, v14
	s_movk_i32 s7, 0x80
	v_cmp_ne_u32_e32 vcc, s7, v18
	v_mov_b32_e32 v21, 0xffff8000
	s_and_saveexec_b64 s[8:9], vcc
	s_cbranch_execz .LBB891_422
; %bb.419:
	v_bfe_u32 v14, v14, 24, 7
	s_movk_i32 s7, 0x7f
	v_cmp_ne_u32_e32 vcc, s7, v14
	v_mov_b32_e32 v21, 0x7f80
	s_and_saveexec_b64 s[10:11], vcc
	s_cbranch_execz .LBB891_421
; %bb.420:
	v_and_b32_e32 v21, 7, v18
	v_ffbh_u32_e32 v24, v21
	v_min_u32_e32 v26, 32, v24
	v_subrev_u32_e32 v24, 28, v26
	v_lshlrev_b64 v[24:25], v24, v[18:19]
	v_lshrrev_b32_e32 v23, 3, v14
	v_sub_u32_e32 v25, 29, v26
	v_and_b32_e32 v24, 7, v24
	v_cmp_gt_u32_e32 vcc, 8, v14
	v_cndmask_b32_e32 v14, v23, v25, vcc
	v_cndmask_b32_e32 v21, v21, v24, vcc
	v_lshlrev_b32_e32 v18, 24, v18
	v_bfrev_b32_e32 v23, 60
	v_lshlrev_b32_e32 v21, 20, v21
	v_and_b32_e32 v18, 0x80000000, v18
	v_lshl_add_u32 v14, v14, 23, v23
	v_or3_b32 v14, v18, v14, v21
	v_lshrrev_b32_e32 v21, 16, v14
.LBB891_421:
	s_or_b64 exec, exec, s[10:11]
.LBB891_422:
	s_or_b64 exec, exec, s[8:9]
.LBB891_423:
	s_or_b64 exec, exec, s[2:3]
	v_mov_b32_e32 v18, 0
	v_cmp_ne_u16_sdwa s[8:9], v15, v18 src0_sel:BYTE_0 src1_sel:DWORD
	v_mov_b32_e32 v23, 0
	s_and_saveexec_b64 s[2:3], s[8:9]
	s_cbranch_execz .LBB891_429
; %bb.424:
	s_movk_i32 s7, 0x80
	v_cmp_ne_u16_sdwa s[10:11], v15, s7 src0_sel:BYTE_0 src1_sel:DWORD
	v_mov_b32_e32 v23, 0xffff8000
	s_and_saveexec_b64 s[8:9], s[10:11]
	s_cbranch_execz .LBB891_428
; %bb.425:
	s_movk_i32 s7, 0x7f
	v_and_b32_e32 v14, 0x7f, v15
	v_cmp_ne_u32_e32 vcc, s7, v14
	v_mov_b32_e32 v23, 0x7f80
	s_and_saveexec_b64 s[10:11], vcc
	s_cbranch_execz .LBB891_427
; %bb.426:
	v_and_b32_e32 v23, 7, v15
	v_ffbh_u32_e32 v25, v23
	v_min_u32_e32 v27, 32, v25
	v_mov_b32_e32 v24, v15
	v_subrev_u32_e32 v25, 28, v27
	v_lshlrev_b64 v[24:25], v25, v[24:25]
	v_lshrrev_b32_e32 v26, 3, v14
	v_sub_u32_e32 v25, 29, v27
	v_and_b32_e32 v24, 7, v24
	v_cmp_gt_u32_e32 vcc, 8, v14
	v_cndmask_b32_e32 v14, v26, v25, vcc
	v_cndmask_b32_e32 v23, v23, v24, vcc
	v_lshlrev_b32_e32 v24, 24, v15
	v_bfrev_b32_e32 v25, 60
	v_lshlrev_b32_e32 v23, 20, v23
	v_and_b32_e32 v24, 0x80000000, v24
	v_lshl_add_u32 v14, v14, 23, v25
	v_or3_b32 v14, v24, v14, v23
	v_lshrrev_b32_e32 v23, 16, v14
.LBB891_427:
	s_or_b64 exec, exec, s[10:11]
.LBB891_428:
	s_or_b64 exec, exec, s[8:9]
.LBB891_429:
	s_or_b64 exec, exec, s[2:3]
	v_lshrrev_b16_e32 v14, 8, v15
	v_cmp_ne_u16_e32 vcc, 0, v14
	s_and_saveexec_b64 s[2:3], vcc
	s_cbranch_execz .LBB891_435
; %bb.430:
	s_movk_i32 s7, 0x80
	v_cmp_ne_u16_e32 vcc, s7, v14
	v_mov_b32_e32 v18, 0xffff8000
	s_and_saveexec_b64 s[8:9], vcc
	s_cbranch_execz .LBB891_434
; %bb.431:
	s_movk_i32 s7, 0x7f
	v_and_b32_e32 v24, 0x7f, v14
	v_cmp_ne_u32_e32 vcc, s7, v24
	v_mov_b32_e32 v18, 0x7f80
	s_and_saveexec_b64 s[10:11], vcc
	s_cbranch_execz .LBB891_433
; %bb.432:
	v_and_b32_e32 v18, 7, v14
	v_ffbh_u32_e32 v26, v18
	v_min_u32_e32 v29, 32, v26
	v_subrev_u32_e32 v26, 28, v29
	v_lshlrev_b64 v[26:27], v26, v[14:15]
	v_lshrrev_b32_e32 v25, 3, v24
	v_sub_u32_e32 v14, 29, v29
	v_and_b32_e32 v26, 7, v26
	v_cmp_gt_u32_e32 vcc, 8, v24
	v_cndmask_b32_e32 v14, v25, v14, vcc
	v_cndmask_b32_e32 v18, v18, v26, vcc
	v_lshlrev_b32_e32 v24, 16, v15
	v_bfrev_b32_e32 v25, 60
	v_lshlrev_b32_e32 v18, 20, v18
	v_and_b32_e32 v24, 0x80000000, v24
	v_lshl_add_u32 v14, v14, 23, v25
	v_or3_b32 v14, v24, v14, v18
	v_lshrrev_b32_e32 v18, 16, v14
.LBB891_433:
	s_or_b64 exec, exec, s[10:11]
.LBB891_434:
	s_or_b64 exec, exec, s[8:9]
.LBB891_435:
	s_or_b64 exec, exec, s[2:3]
	s_movk_i32 s2, 0xff
	v_and_b32_sdwa v26, v15, s2 dst_sel:DWORD dst_unused:UNUSED_PAD src0_sel:WORD_1 src1_sel:DWORD
	v_lshrrev_b32_e32 v14, 16, v15
	v_cmp_ne_u16_e32 vcc, 0, v26
	v_mov_b32_e32 v24, 0
	v_mov_b32_e32 v25, 0
	s_and_saveexec_b64 s[2:3], vcc
	s_cbranch_execz .LBB891_441
; %bb.436:
	s_movk_i32 s7, 0x80
	v_cmp_ne_u16_e32 vcc, s7, v26
	v_mov_b32_e32 v25, 0xffff8000
	s_and_saveexec_b64 s[8:9], vcc
	s_cbranch_execz .LBB891_440
; %bb.437:
	v_bfe_u32 v26, v15, 16, 7
	s_movk_i32 s7, 0x7f
	v_cmp_ne_u32_e32 vcc, s7, v26
	v_mov_b32_e32 v25, 0x7f80
	s_and_saveexec_b64 s[10:11], vcc
	s_cbranch_execz .LBB891_439
; %bb.438:
	v_and_b32_e32 v25, 7, v14
	v_ffbh_u32_e32 v29, v25
	v_min_u32_e32 v29, 32, v29
	v_subrev_u32_e32 v30, 28, v29
	v_lshlrev_b64 v[30:31], v30, v[14:15]
	v_lshrrev_b32_e32 v27, 3, v26
	v_sub_u32_e32 v14, 29, v29
	v_and_b32_e32 v29, 7, v30
	v_cmp_gt_u32_e32 vcc, 8, v26
	v_mov_b32_e32 v26, 24
	v_cndmask_b32_e32 v14, v27, v14, vcc
	v_cndmask_b32_e32 v25, v25, v29, vcc
	v_lshlrev_b32_sdwa v26, v26, v15 dst_sel:DWORD dst_unused:UNUSED_PAD src0_sel:DWORD src1_sel:WORD_1
	v_bfrev_b32_e32 v27, 60
	v_lshlrev_b32_e32 v25, 20, v25
	v_and_b32_e32 v26, 0x80000000, v26
	v_lshl_add_u32 v14, v14, 23, v27
	v_or3_b32 v14, v26, v14, v25
	v_lshrrev_b32_e32 v25, 16, v14
.LBB891_439:
	s_or_b64 exec, exec, s[10:11]
.LBB891_440:
	s_or_b64 exec, exec, s[8:9]
.LBB891_441:
	s_or_b64 exec, exec, s[2:3]
	s_mov_b32 s2, 0xffffff
	v_cmp_lt_u32_e32 vcc, s2, v15
	s_and_saveexec_b64 s[2:3], vcc
	s_cbranch_execz .LBB891_447
; %bb.442:
	v_lshrrev_b32_e32 v14, 24, v15
	s_movk_i32 s7, 0x80
	v_cmp_ne_u32_e32 vcc, s7, v14
	v_mov_b32_e32 v24, 0xffff8000
	s_and_saveexec_b64 s[8:9], vcc
	s_cbranch_execz .LBB891_446
; %bb.443:
	v_bfe_u32 v15, v15, 24, 7
	s_movk_i32 s7, 0x7f
	v_cmp_ne_u32_e32 vcc, s7, v15
	v_mov_b32_e32 v24, 0x7f80
	s_and_saveexec_b64 s[10:11], vcc
	s_cbranch_execz .LBB891_445
; %bb.444:
	v_and_b32_e32 v24, 7, v14
	v_ffbh_u32_e32 v26, v24
	v_min_u32_e32 v30, 32, v26
	v_subrev_u32_e32 v26, 28, v30
	v_lshlrev_b64 v[26:27], v26, v[14:15]
	v_lshrrev_b32_e32 v29, 3, v15
	v_sub_u32_e32 v27, 29, v30
	v_and_b32_e32 v26, 7, v26
	v_cmp_gt_u32_e32 vcc, 8, v15
	v_cndmask_b32_e32 v15, v29, v27, vcc
	v_cndmask_b32_e32 v24, v24, v26, vcc
	v_lshlrev_b32_e32 v14, 24, v14
	v_bfrev_b32_e32 v26, 60
	v_lshlrev_b32_e32 v24, 20, v24
	v_and_b32_e32 v14, 0x80000000, v14
	v_lshl_add_u32 v15, v15, 23, v26
	v_or3_b32 v14, v14, v15, v24
	v_lshrrev_b32_e32 v24, 16, v14
.LBB891_445:
	s_or_b64 exec, exec, s[10:11]
.LBB891_446:
	s_or_b64 exec, exec, s[8:9]
.LBB891_447:
	s_or_b64 exec, exec, s[2:3]
	s_mov_b32 s2, 0x5040100
	v_perm_b32 v15, v21, v22, s2
	v_lshl_or_b32 v22, v1, 9, v48
	v_perm_b32 v14, v19, v20, s2
	ds_read_b128 v[30:33], v22
	v_perm_b32 v19, v24, v25, s2
	v_perm_b32 v18, v18, v23, s2
	s_waitcnt lgkmcnt(0)
	v_mfma_f32_16x16x16bf16_1k v[34:37], v[14:15], v[30:31], 0
	v_mov_b32_e32 v15, 0
	v_cmp_ne_u16_sdwa s[8:9], v16, v15 src0_sel:BYTE_0 src1_sel:DWORD
	v_mov_b32_e32 v23, 0
	v_mfma_f32_16x16x16bf16_1k v[18:21], v[18:19], v[32:33], v[34:37]
	s_and_saveexec_b64 s[2:3], s[8:9]
	s_cbranch_execz .LBB891_453
; %bb.448:
	s_movk_i32 s7, 0x80
	v_cmp_ne_u16_sdwa s[10:11], v16, s7 src0_sel:BYTE_0 src1_sel:DWORD
	v_mov_b32_e32 v23, 0xffff8000
	s_and_saveexec_b64 s[8:9], s[10:11]
	s_cbranch_execz .LBB891_452
; %bb.449:
	s_movk_i32 s7, 0x7f
	v_and_b32_e32 v14, 0x7f, v16
	v_cmp_ne_u32_e32 vcc, s7, v14
	v_mov_b32_e32 v23, 0x7f80
	s_and_saveexec_b64 s[10:11], vcc
	s_cbranch_execz .LBB891_451
; %bb.450:
	v_and_b32_e32 v23, 7, v16
	v_ffbh_u32_e32 v24, v23
	v_min_u32_e32 v27, 32, v24
	v_subrev_u32_e32 v24, 28, v27
	v_lshlrev_b64 v[24:25], v24, v[16:17]
	v_lshrrev_b32_e32 v26, 3, v14
	v_sub_u32_e32 v25, 29, v27
	v_and_b32_e32 v24, 7, v24
	v_cmp_gt_u32_e32 vcc, 8, v14
	v_cndmask_b32_e32 v14, v26, v25, vcc
	v_cndmask_b32_e32 v23, v23, v24, vcc
	v_lshlrev_b32_e32 v24, 24, v16
	v_bfrev_b32_e32 v25, 60
	v_lshlrev_b32_e32 v23, 20, v23
	v_and_b32_e32 v24, 0x80000000, v24
	v_lshl_add_u32 v14, v14, 23, v25
	v_or3_b32 v14, v24, v14, v23
	v_lshrrev_b32_e32 v23, 16, v14
.LBB891_451:
	s_or_b64 exec, exec, s[10:11]
.LBB891_452:
	s_or_b64 exec, exec, s[8:9]
.LBB891_453:
	s_or_b64 exec, exec, s[2:3]
	v_lshrrev_b16_e32 v14, 8, v16
	v_cmp_ne_u16_e32 vcc, 0, v14
	s_and_saveexec_b64 s[2:3], vcc
	s_cbranch_execz .LBB891_459
; %bb.454:
	s_movk_i32 s7, 0x80
	v_cmp_ne_u16_e32 vcc, s7, v14
	v_mov_b32_e32 v15, 0xffff8000
	s_and_saveexec_b64 s[8:9], vcc
	s_cbranch_execz .LBB891_458
; %bb.455:
	s_movk_i32 s7, 0x7f
	v_and_b32_e32 v24, 0x7f, v14
	v_cmp_ne_u32_e32 vcc, s7, v24
	v_mov_b32_e32 v15, 0x7f80
	s_and_saveexec_b64 s[10:11], vcc
	s_cbranch_execz .LBB891_457
; %bb.456:
	v_and_b32_e32 v25, 7, v14
	v_ffbh_u32_e32 v15, v25
	v_min_u32_e32 v27, 32, v15
	v_subrev_u32_e32 v15, 28, v27
	v_lshlrev_b64 v[14:15], v15, v[14:15]
	v_lshrrev_b32_e32 v26, 3, v24
	v_sub_u32_e32 v15, 29, v27
	v_and_b32_e32 v14, 7, v14
	v_cmp_gt_u32_e32 vcc, 8, v24
	v_cndmask_b32_e32 v15, v26, v15, vcc
	v_cndmask_b32_e32 v14, v25, v14, vcc
	v_lshlrev_b32_e32 v24, 16, v16
	v_bfrev_b32_e32 v25, 60
	v_lshlrev_b32_e32 v14, 20, v14
	v_and_b32_e32 v24, 0x80000000, v24
	v_lshl_add_u32 v15, v15, 23, v25
	v_or3_b32 v14, v24, v15, v14
	v_lshrrev_b32_e32 v15, 16, v14
.LBB891_457:
	s_or_b64 exec, exec, s[10:11]
.LBB891_458:
	s_or_b64 exec, exec, s[8:9]
.LBB891_459:
	s_or_b64 exec, exec, s[2:3]
	s_movk_i32 s2, 0xff
	v_and_b32_sdwa v26, v16, s2 dst_sel:DWORD dst_unused:UNUSED_PAD src0_sel:WORD_1 src1_sel:DWORD
	v_lshrrev_b32_e32 v14, 16, v16
	v_cmp_ne_u16_e32 vcc, 0, v26
	v_mov_b32_e32 v24, 0
	v_mov_b32_e32 v25, 0
	s_and_saveexec_b64 s[2:3], vcc
	s_cbranch_execz .LBB891_465
; %bb.460:
	s_movk_i32 s7, 0x80
	v_cmp_ne_u16_e32 vcc, s7, v26
	v_mov_b32_e32 v25, 0xffff8000
	s_and_saveexec_b64 s[8:9], vcc
	s_cbranch_execz .LBB891_464
; %bb.461:
	v_bfe_u32 v26, v16, 16, 7
	s_movk_i32 s7, 0x7f
	v_cmp_ne_u32_e32 vcc, s7, v26
	v_mov_b32_e32 v25, 0x7f80
	s_and_saveexec_b64 s[10:11], vcc
	s_cbranch_execz .LBB891_463
; %bb.462:
	v_and_b32_e32 v25, 7, v14
	v_ffbh_u32_e32 v29, v25
	v_min_u32_e32 v29, 32, v29
	v_subrev_u32_e32 v30, 28, v29
	v_lshlrev_b64 v[30:31], v30, v[14:15]
	v_lshrrev_b32_e32 v27, 3, v26
	v_sub_u32_e32 v14, 29, v29
	v_and_b32_e32 v29, 7, v30
	v_cmp_gt_u32_e32 vcc, 8, v26
	v_mov_b32_e32 v26, 24
	v_cndmask_b32_e32 v14, v27, v14, vcc
	v_cndmask_b32_e32 v25, v25, v29, vcc
	v_lshlrev_b32_sdwa v26, v26, v16 dst_sel:DWORD dst_unused:UNUSED_PAD src0_sel:DWORD src1_sel:WORD_1
	v_bfrev_b32_e32 v27, 60
	v_lshlrev_b32_e32 v25, 20, v25
	v_and_b32_e32 v26, 0x80000000, v26
	v_lshl_add_u32 v14, v14, 23, v27
	v_or3_b32 v14, v26, v14, v25
	v_lshrrev_b32_e32 v25, 16, v14
.LBB891_463:
	s_or_b64 exec, exec, s[10:11]
.LBB891_464:
	s_or_b64 exec, exec, s[8:9]
.LBB891_465:
	s_or_b64 exec, exec, s[2:3]
	s_mov_b32 s2, 0xffffff
	v_cmp_lt_u32_e32 vcc, s2, v16
	s_and_saveexec_b64 s[2:3], vcc
	s_cbranch_execz .LBB891_471
; %bb.466:
	v_lshrrev_b32_e32 v14, 24, v16
	s_movk_i32 s7, 0x80
	v_cmp_ne_u32_e32 vcc, s7, v14
	v_mov_b32_e32 v24, 0xffff8000
	s_and_saveexec_b64 s[8:9], vcc
	s_cbranch_execz .LBB891_470
; %bb.467:
	v_bfe_u32 v16, v16, 24, 7
	s_movk_i32 s7, 0x7f
	v_cmp_ne_u32_e32 vcc, s7, v16
	v_mov_b32_e32 v24, 0x7f80
	s_and_saveexec_b64 s[10:11], vcc
	s_cbranch_execz .LBB891_469
; %bb.468:
	v_and_b32_e32 v24, 7, v14
	v_ffbh_u32_e32 v26, v24
	v_min_u32_e32 v30, 32, v26
	v_subrev_u32_e32 v26, 28, v30
	v_lshlrev_b64 v[26:27], v26, v[14:15]
	v_lshrrev_b32_e32 v29, 3, v16
	v_sub_u32_e32 v27, 29, v30
	v_and_b32_e32 v26, 7, v26
	v_cmp_gt_u32_e32 vcc, 8, v16
	v_cndmask_b32_e32 v16, v29, v27, vcc
	v_cndmask_b32_e32 v24, v24, v26, vcc
	v_lshlrev_b32_e32 v14, 24, v14
	v_bfrev_b32_e32 v26, 60
	v_lshlrev_b32_e32 v24, 20, v24
	v_and_b32_e32 v14, 0x80000000, v14
	v_lshl_add_u32 v16, v16, 23, v26
	v_or3_b32 v14, v14, v16, v24
	v_lshrrev_b32_e32 v24, 16, v14
.LBB891_469:
	s_or_b64 exec, exec, s[10:11]
.LBB891_470:
	s_or_b64 exec, exec, s[8:9]
.LBB891_471:
	s_or_b64 exec, exec, s[2:3]
	v_mov_b32_e32 v16, 0
	v_cmp_ne_u16_sdwa s[8:9], v17, v16 src0_sel:BYTE_0 src1_sel:DWORD
	v_mov_b32_e32 v26, 0
	s_and_saveexec_b64 s[2:3], s[8:9]
	s_cbranch_execz .LBB891_477
; %bb.472:
	s_movk_i32 s7, 0x80
	v_cmp_ne_u16_sdwa s[10:11], v17, s7 src0_sel:BYTE_0 src1_sel:DWORD
	v_mov_b32_e32 v26, 0xffff8000
	s_and_saveexec_b64 s[8:9], s[10:11]
	s_cbranch_execz .LBB891_476
; %bb.473:
	s_movk_i32 s7, 0x7f
	v_and_b32_e32 v14, 0x7f, v17
	v_cmp_ne_u32_e32 vcc, s7, v14
	v_mov_b32_e32 v26, 0x7f80
	s_and_saveexec_b64 s[10:11], vcc
	s_cbranch_execz .LBB891_475
; %bb.474:
	v_and_b32_e32 v29, 7, v17
	v_ffbh_u32_e32 v27, v29
	v_min_u32_e32 v31, 32, v27
	v_mov_b32_e32 v26, v17
	v_subrev_u32_e32 v27, 28, v31
	v_lshlrev_b64 v[26:27], v27, v[26:27]
	v_lshrrev_b32_e32 v30, 3, v14
	v_sub_u32_e32 v27, 29, v31
	v_and_b32_e32 v26, 7, v26
	v_cmp_gt_u32_e32 vcc, 8, v14
	v_cndmask_b32_e32 v14, v30, v27, vcc
	v_cndmask_b32_e32 v26, v29, v26, vcc
	v_lshlrev_b32_e32 v27, 24, v17
	v_bfrev_b32_e32 v29, 60
	v_lshlrev_b32_e32 v26, 20, v26
	v_and_b32_e32 v27, 0x80000000, v27
	v_lshl_add_u32 v14, v14, 23, v29
	v_or3_b32 v14, v27, v14, v26
	v_lshrrev_b32_e32 v26, 16, v14
.LBB891_475:
	s_or_b64 exec, exec, s[10:11]
.LBB891_476:
	s_or_b64 exec, exec, s[8:9]
.LBB891_477:
	s_or_b64 exec, exec, s[2:3]
	v_lshrrev_b16_e32 v14, 8, v17
	v_cmp_ne_u16_e32 vcc, 0, v14
	s_and_saveexec_b64 s[2:3], vcc
	s_cbranch_execz .LBB891_483
; %bb.478:
	s_movk_i32 s7, 0x80
	v_cmp_ne_u16_e32 vcc, s7, v14
	v_mov_b32_e32 v16, 0xffff8000
	s_and_saveexec_b64 s[8:9], vcc
	s_cbranch_execz .LBB891_482
; %bb.479:
	s_movk_i32 s7, 0x7f
	v_and_b32_e32 v27, 0x7f, v14
	v_cmp_ne_u32_e32 vcc, s7, v27
	v_mov_b32_e32 v16, 0x7f80
	s_and_saveexec_b64 s[10:11], vcc
	s_cbranch_execz .LBB891_481
; %bb.480:
	v_and_b32_e32 v16, 7, v14
	v_ffbh_u32_e32 v30, v16
	v_min_u32_e32 v32, 32, v30
	v_subrev_u32_e32 v30, 28, v32
	v_lshlrev_b64 v[30:31], v30, v[14:15]
	v_lshrrev_b32_e32 v29, 3, v27
	v_sub_u32_e32 v14, 29, v32
	v_and_b32_e32 v30, 7, v30
	v_cmp_gt_u32_e32 vcc, 8, v27
	v_cndmask_b32_e32 v14, v29, v14, vcc
	v_cndmask_b32_e32 v16, v16, v30, vcc
	v_lshlrev_b32_e32 v27, 16, v17
	v_bfrev_b32_e32 v29, 60
	v_lshlrev_b32_e32 v16, 20, v16
	v_and_b32_e32 v27, 0x80000000, v27
	v_lshl_add_u32 v14, v14, 23, v29
	v_or3_b32 v14, v27, v14, v16
	v_lshrrev_b32_e32 v16, 16, v14
.LBB891_481:
	s_or_b64 exec, exec, s[10:11]
.LBB891_482:
	s_or_b64 exec, exec, s[8:9]
.LBB891_483:
	s_or_b64 exec, exec, s[2:3]
	s_movk_i32 s2, 0xff
	v_and_b32_sdwa v30, v17, s2 dst_sel:DWORD dst_unused:UNUSED_PAD src0_sel:WORD_1 src1_sel:DWORD
	v_lshrrev_b32_e32 v14, 16, v17
	v_cmp_ne_u16_e32 vcc, 0, v30
	v_mov_b32_e32 v27, 0
	v_mov_b32_e32 v29, 0
	s_and_saveexec_b64 s[2:3], vcc
	s_cbranch_execz .LBB891_489
; %bb.484:
	s_movk_i32 s7, 0x80
	v_cmp_ne_u16_e32 vcc, s7, v30
	v_mov_b32_e32 v29, 0xffff8000
	s_and_saveexec_b64 s[8:9], vcc
	s_cbranch_execz .LBB891_488
; %bb.485:
	v_bfe_u32 v30, v17, 16, 7
	s_movk_i32 s7, 0x7f
	v_cmp_ne_u32_e32 vcc, s7, v30
	v_mov_b32_e32 v29, 0x7f80
	s_and_saveexec_b64 s[10:11], vcc
	s_cbranch_execz .LBB891_487
; %bb.486:
	v_and_b32_e32 v29, 7, v14
	v_ffbh_u32_e32 v32, v29
	v_min_u32_e32 v34, 32, v32
	v_subrev_u32_e32 v32, 28, v34
	v_lshlrev_b64 v[32:33], v32, v[14:15]
	v_lshrrev_b32_e32 v31, 3, v30
	v_sub_u32_e32 v14, 29, v34
	v_and_b32_e32 v32, 7, v32
	v_cmp_gt_u32_e32 vcc, 8, v30
	v_mov_b32_e32 v30, 24
	v_cndmask_b32_e32 v14, v31, v14, vcc
	v_cndmask_b32_e32 v29, v29, v32, vcc
	v_lshlrev_b32_sdwa v30, v30, v17 dst_sel:DWORD dst_unused:UNUSED_PAD src0_sel:DWORD src1_sel:WORD_1
	v_bfrev_b32_e32 v31, 60
	v_lshlrev_b32_e32 v29, 20, v29
	v_and_b32_e32 v30, 0x80000000, v30
	v_lshl_add_u32 v14, v14, 23, v31
	v_or3_b32 v14, v30, v14, v29
	v_lshrrev_b32_e32 v29, 16, v14
.LBB891_487:
	s_or_b64 exec, exec, s[10:11]
.LBB891_488:
	s_or_b64 exec, exec, s[8:9]
.LBB891_489:
	s_or_b64 exec, exec, s[2:3]
	s_mov_b32 s2, 0xffffff
	v_cmp_lt_u32_e32 vcc, s2, v17
	s_and_saveexec_b64 s[2:3], vcc
	s_cbranch_execz .LBB891_495
; %bb.490:
	v_lshrrev_b32_e32 v14, 24, v17
	s_movk_i32 s7, 0x80
	v_cmp_ne_u32_e32 vcc, s7, v14
	v_mov_b32_e32 v27, 0xffff8000
	s_and_saveexec_b64 s[8:9], vcc
	s_cbranch_execz .LBB891_494
; %bb.491:
	v_bfe_u32 v17, v17, 24, 7
	s_movk_i32 s7, 0x7f
	v_cmp_ne_u32_e32 vcc, s7, v17
	v_mov_b32_e32 v27, 0x7f80
	s_and_saveexec_b64 s[10:11], vcc
	s_cbranch_execz .LBB891_493
; %bb.492:
	v_and_b32_e32 v27, 7, v14
	v_ffbh_u32_e32 v30, v27
	v_min_u32_e32 v33, 32, v30
	v_subrev_u32_e32 v30, 28, v33
	v_lshlrev_b64 v[30:31], v30, v[14:15]
	v_lshrrev_b32_e32 v32, 3, v17
	v_sub_u32_e32 v31, 29, v33
	v_and_b32_e32 v30, 7, v30
	v_cmp_gt_u32_e32 vcc, 8, v17
	v_cndmask_b32_e32 v17, v32, v31, vcc
	v_cndmask_b32_e32 v27, v27, v30, vcc
	v_lshlrev_b32_e32 v14, 24, v14
	v_bfrev_b32_e32 v30, 60
	v_lshlrev_b32_e32 v27, 20, v27
	v_and_b32_e32 v14, 0x80000000, v14
	v_lshl_add_u32 v17, v17, 23, v30
	v_or3_b32 v14, v14, v17, v27
	v_lshrrev_b32_e32 v27, 16, v14
.LBB891_493:
	s_or_b64 exec, exec, s[10:11]
.LBB891_494:
	s_or_b64 exec, exec, s[8:9]
.LBB891_495:
	s_or_b64 exec, exec, s[2:3]
	s_mov_b32 s2, 0x5040100
	v_perm_b32 v25, v24, v25, s2
	v_perm_b32 v24, v15, v23, s2
	ds_read_b128 v[30:33], v22 offset:16
	v_perm_b32 v15, v27, v29, s2
	v_perm_b32 v14, v16, v26, s2
	s_waitcnt lgkmcnt(0)
	v_mfma_f32_16x16x16bf16_1k v[34:37], v[24:25], v[30:31], v[18:21]
	s_nop 6
	v_mov_b32_e32 v19, 0
	s_waitcnt vmcnt(2)
	v_cmp_ne_u16_sdwa s[8:9], v10, v19 src0_sel:BYTE_0 src1_sel:DWORD
	v_mfma_f32_16x16x16bf16_1k v[14:17], v[14:15], v[32:33], v[34:37]
	v_mov_b32_e32 v20, 0
	s_and_saveexec_b64 s[2:3], s[8:9]
	s_cbranch_execz .LBB891_501
; %bb.496:
	s_movk_i32 s7, 0x80
	v_cmp_ne_u16_sdwa s[10:11], v10, s7 src0_sel:BYTE_0 src1_sel:DWORD
	v_mov_b32_e32 v20, 0xffff8000
	s_and_saveexec_b64 s[8:9], s[10:11]
	s_cbranch_execz .LBB891_500
; %bb.497:
	s_movk_i32 s7, 0x7f
	v_and_b32_e32 v18, 0x7f, v10
	v_cmp_ne_u32_e32 vcc, s7, v18
	v_mov_b32_e32 v20, 0x7f80
	s_and_saveexec_b64 s[10:11], vcc
	s_cbranch_execz .LBB891_499
; %bb.498:
	v_and_b32_e32 v23, 7, v10
	v_ffbh_u32_e32 v20, v23
	v_min_u32_e32 v25, 32, v20
	v_subrev_u32_e32 v20, 28, v25
	v_lshlrev_b64 v[20:21], v20, v[10:11]
	v_lshrrev_b32_e32 v24, 3, v18
	v_sub_u32_e32 v21, 29, v25
	v_and_b32_e32 v20, 7, v20
	v_cmp_gt_u32_e32 vcc, 8, v18
	v_cndmask_b32_e32 v18, v24, v21, vcc
	v_cndmask_b32_e32 v20, v23, v20, vcc
	v_lshlrev_b32_e32 v21, 24, v10
	v_bfrev_b32_e32 v23, 60
	v_lshlrev_b32_e32 v20, 20, v20
	v_and_b32_e32 v21, 0x80000000, v21
	v_lshl_add_u32 v18, v18, 23, v23
	v_or3_b32 v18, v21, v18, v20
	v_lshrrev_b32_e32 v20, 16, v18
.LBB891_499:
	s_or_b64 exec, exec, s[10:11]
.LBB891_500:
	s_or_b64 exec, exec, s[8:9]
.LBB891_501:
	s_or_b64 exec, exec, s[2:3]
	v_lshrrev_b16_e32 v18, 8, v10
	v_cmp_ne_u16_e32 vcc, 0, v18
	s_and_saveexec_b64 s[2:3], vcc
	s_cbranch_execz .LBB891_507
; %bb.502:
	s_movk_i32 s7, 0x80
	v_cmp_ne_u16_e32 vcc, s7, v18
	v_mov_b32_e32 v19, 0xffff8000
	s_and_saveexec_b64 s[8:9], vcc
	s_cbranch_execz .LBB891_506
; %bb.503:
	s_movk_i32 s7, 0x7f
	v_and_b32_e32 v21, 0x7f, v18
	v_cmp_ne_u32_e32 vcc, s7, v21
	v_mov_b32_e32 v19, 0x7f80
	s_and_saveexec_b64 s[10:11], vcc
	s_cbranch_execz .LBB891_505
; %bb.504:
	v_and_b32_e32 v23, 7, v18
	v_ffbh_u32_e32 v19, v23
	v_min_u32_e32 v25, 32, v19
	v_subrev_u32_e32 v19, 28, v25
	v_lshlrev_b64 v[18:19], v19, v[18:19]
	v_lshrrev_b32_e32 v24, 3, v21
	v_sub_u32_e32 v19, 29, v25
	v_and_b32_e32 v18, 7, v18
	v_cmp_gt_u32_e32 vcc, 8, v21
	v_cndmask_b32_e32 v19, v24, v19, vcc
	v_cndmask_b32_e32 v18, v23, v18, vcc
	v_lshlrev_b32_e32 v21, 16, v10
	v_bfrev_b32_e32 v23, 60
	v_lshlrev_b32_e32 v18, 20, v18
	v_and_b32_e32 v21, 0x80000000, v21
	v_lshl_add_u32 v19, v19, 23, v23
	v_or3_b32 v18, v21, v19, v18
	v_lshrrev_b32_e32 v19, 16, v18
.LBB891_505:
	s_or_b64 exec, exec, s[10:11]
.LBB891_506:
	s_or_b64 exec, exec, s[8:9]
.LBB891_507:
	s_or_b64 exec, exec, s[2:3]
	s_movk_i32 s2, 0xff
	v_and_b32_sdwa v24, v10, s2 dst_sel:DWORD dst_unused:UNUSED_PAD src0_sel:WORD_1 src1_sel:DWORD
	v_lshrrev_b32_e32 v18, 16, v10
	v_cmp_ne_u16_e32 vcc, 0, v24
	v_mov_b32_e32 v21, 0
	v_mov_b32_e32 v23, 0
	s_and_saveexec_b64 s[2:3], vcc
	s_cbranch_execz .LBB891_513
; %bb.508:
	s_movk_i32 s7, 0x80
	v_cmp_ne_u16_e32 vcc, s7, v24
	v_mov_b32_e32 v23, 0xffff8000
	s_and_saveexec_b64 s[8:9], vcc
	s_cbranch_execz .LBB891_512
; %bb.509:
	v_bfe_u32 v24, v10, 16, 7
	s_movk_i32 s7, 0x7f
	v_cmp_ne_u32_e32 vcc, s7, v24
	v_mov_b32_e32 v23, 0x7f80
	s_and_saveexec_b64 s[10:11], vcc
	s_cbranch_execz .LBB891_511
; %bb.510:
	v_and_b32_e32 v23, 7, v18
	v_ffbh_u32_e32 v26, v23
	v_min_u32_e32 v29, 32, v26
	v_subrev_u32_e32 v26, 28, v29
	v_lshlrev_b64 v[26:27], v26, v[18:19]
	v_lshrrev_b32_e32 v25, 3, v24
	v_sub_u32_e32 v18, 29, v29
	v_and_b32_e32 v26, 7, v26
	v_cmp_gt_u32_e32 vcc, 8, v24
	v_mov_b32_e32 v24, 24
	v_cndmask_b32_e32 v18, v25, v18, vcc
	v_cndmask_b32_e32 v23, v23, v26, vcc
	v_lshlrev_b32_sdwa v24, v24, v10 dst_sel:DWORD dst_unused:UNUSED_PAD src0_sel:DWORD src1_sel:WORD_1
	v_bfrev_b32_e32 v25, 60
	v_lshlrev_b32_e32 v23, 20, v23
	v_and_b32_e32 v24, 0x80000000, v24
	v_lshl_add_u32 v18, v18, 23, v25
	v_or3_b32 v18, v24, v18, v23
	v_lshrrev_b32_e32 v23, 16, v18
.LBB891_511:
	s_or_b64 exec, exec, s[10:11]
.LBB891_512:
	s_or_b64 exec, exec, s[8:9]
.LBB891_513:
	s_or_b64 exec, exec, s[2:3]
	s_mov_b32 s2, 0xffffff
	v_cmp_lt_u32_e32 vcc, s2, v10
	s_and_saveexec_b64 s[2:3], vcc
	s_cbranch_execz .LBB891_519
; %bb.514:
	v_lshrrev_b32_e32 v18, 24, v10
	s_movk_i32 s7, 0x80
	v_cmp_ne_u32_e32 vcc, s7, v18
	v_mov_b32_e32 v21, 0xffff8000
	s_and_saveexec_b64 s[8:9], vcc
	s_cbranch_execz .LBB891_518
; %bb.515:
	v_bfe_u32 v10, v10, 24, 7
	s_movk_i32 s7, 0x7f
	v_cmp_ne_u32_e32 vcc, s7, v10
	v_mov_b32_e32 v21, 0x7f80
	s_and_saveexec_b64 s[10:11], vcc
	s_cbranch_execz .LBB891_517
; %bb.516:
	v_and_b32_e32 v21, 7, v18
	v_ffbh_u32_e32 v24, v21
	v_min_u32_e32 v27, 32, v24
	v_subrev_u32_e32 v24, 28, v27
	v_lshlrev_b64 v[24:25], v24, v[18:19]
	v_lshrrev_b32_e32 v26, 3, v10
	v_sub_u32_e32 v25, 29, v27
	v_and_b32_e32 v24, 7, v24
	v_cmp_gt_u32_e32 vcc, 8, v10
	v_cndmask_b32_e32 v10, v26, v25, vcc
	v_cndmask_b32_e32 v21, v21, v24, vcc
	v_lshlrev_b32_e32 v18, 24, v18
	v_bfrev_b32_e32 v24, 60
	v_lshlrev_b32_e32 v21, 20, v21
	v_and_b32_e32 v18, 0x80000000, v18
	v_lshl_add_u32 v10, v10, 23, v24
	v_or3_b32 v10, v18, v10, v21
	v_lshrrev_b32_e32 v21, 16, v10
.LBB891_517:
	s_or_b64 exec, exec, s[10:11]
.LBB891_518:
	s_or_b64 exec, exec, s[8:9]
.LBB891_519:
	s_or_b64 exec, exec, s[2:3]
	v_mov_b32_e32 v18, 0
	v_cmp_ne_u16_sdwa s[8:9], v11, v18 src0_sel:BYTE_0 src1_sel:DWORD
	v_mov_b32_e32 v24, 0
	s_and_saveexec_b64 s[2:3], s[8:9]
	s_cbranch_execz .LBB891_525
; %bb.520:
	s_movk_i32 s7, 0x80
	v_cmp_ne_u16_sdwa s[10:11], v11, s7 src0_sel:BYTE_0 src1_sel:DWORD
	v_mov_b32_e32 v24, 0xffff8000
	s_and_saveexec_b64 s[8:9], s[10:11]
	s_cbranch_execz .LBB891_524
; %bb.521:
	s_movk_i32 s7, 0x7f
	v_and_b32_e32 v10, 0x7f, v11
	v_cmp_ne_u32_e32 vcc, s7, v10
	v_mov_b32_e32 v24, 0x7f80
	s_and_saveexec_b64 s[10:11], vcc
	s_cbranch_execz .LBB891_523
; %bb.522:
	v_and_b32_e32 v26, 7, v11
	v_ffbh_u32_e32 v25, v26
	v_min_u32_e32 v29, 32, v25
	v_mov_b32_e32 v24, v11
	v_subrev_u32_e32 v25, 28, v29
	v_lshlrev_b64 v[24:25], v25, v[24:25]
	v_lshrrev_b32_e32 v27, 3, v10
	v_sub_u32_e32 v25, 29, v29
	v_and_b32_e32 v24, 7, v24
	v_cmp_gt_u32_e32 vcc, 8, v10
	v_cndmask_b32_e32 v10, v27, v25, vcc
	v_cndmask_b32_e32 v24, v26, v24, vcc
	v_lshlrev_b32_e32 v25, 24, v11
	v_bfrev_b32_e32 v26, 60
	v_lshlrev_b32_e32 v24, 20, v24
	v_and_b32_e32 v25, 0x80000000, v25
	v_lshl_add_u32 v10, v10, 23, v26
	v_or3_b32 v10, v25, v10, v24
	v_lshrrev_b32_e32 v24, 16, v10
.LBB891_523:
	s_or_b64 exec, exec, s[10:11]
.LBB891_524:
	s_or_b64 exec, exec, s[8:9]
.LBB891_525:
	s_or_b64 exec, exec, s[2:3]
	v_lshrrev_b16_e32 v10, 8, v11
	v_cmp_ne_u16_e32 vcc, 0, v10
	s_and_saveexec_b64 s[2:3], vcc
	s_cbranch_execz .LBB891_531
; %bb.526:
	s_movk_i32 s7, 0x80
	v_cmp_ne_u16_e32 vcc, s7, v10
	v_mov_b32_e32 v18, 0xffff8000
	s_and_saveexec_b64 s[8:9], vcc
	s_cbranch_execz .LBB891_530
; %bb.527:
	s_movk_i32 s7, 0x7f
	v_and_b32_e32 v25, 0x7f, v10
	v_cmp_ne_u32_e32 vcc, s7, v25
	v_mov_b32_e32 v18, 0x7f80
	s_and_saveexec_b64 s[10:11], vcc
	s_cbranch_execz .LBB891_529
; %bb.528:
	v_and_b32_e32 v18, 7, v10
	v_ffbh_u32_e32 v26, v18
	v_min_u32_e32 v30, 32, v26
	v_subrev_u32_e32 v26, 28, v30
	v_lshlrev_b64 v[26:27], v26, v[10:11]
	v_lshrrev_b32_e32 v29, 3, v25
	v_sub_u32_e32 v10, 29, v30
	v_and_b32_e32 v26, 7, v26
	v_cmp_gt_u32_e32 vcc, 8, v25
	v_cndmask_b32_e32 v10, v29, v10, vcc
	v_cndmask_b32_e32 v18, v18, v26, vcc
	v_lshlrev_b32_e32 v25, 16, v11
	v_bfrev_b32_e32 v26, 60
	v_lshlrev_b32_e32 v18, 20, v18
	v_and_b32_e32 v25, 0x80000000, v25
	v_lshl_add_u32 v10, v10, 23, v26
	v_or3_b32 v10, v25, v10, v18
	v_lshrrev_b32_e32 v18, 16, v10
.LBB891_529:
	s_or_b64 exec, exec, s[10:11]
.LBB891_530:
	s_or_b64 exec, exec, s[8:9]
.LBB891_531:
	s_or_b64 exec, exec, s[2:3]
	s_movk_i32 s2, 0xff
	v_and_b32_sdwa v27, v11, s2 dst_sel:DWORD dst_unused:UNUSED_PAD src0_sel:WORD_1 src1_sel:DWORD
	v_lshrrev_b32_e32 v10, 16, v11
	v_cmp_ne_u16_e32 vcc, 0, v27
	v_mov_b32_e32 v25, 0
	v_mov_b32_e32 v26, 0
	s_and_saveexec_b64 s[2:3], vcc
	s_cbranch_execz .LBB891_537
; %bb.532:
	s_movk_i32 s7, 0x80
	v_cmp_ne_u16_e32 vcc, s7, v27
	v_mov_b32_e32 v26, 0xffff8000
	s_and_saveexec_b64 s[8:9], vcc
	s_cbranch_execz .LBB891_536
; %bb.533:
	v_bfe_u32 v27, v11, 16, 7
	s_movk_i32 s7, 0x7f
	v_cmp_ne_u32_e32 vcc, s7, v27
	v_mov_b32_e32 v26, 0x7f80
	s_and_saveexec_b64 s[10:11], vcc
	s_cbranch_execz .LBB891_535
; %bb.534:
	v_and_b32_e32 v26, 7, v10
	v_ffbh_u32_e32 v30, v26
	v_min_u32_e32 v32, 32, v30
	v_subrev_u32_e32 v30, 28, v32
	v_lshlrev_b64 v[30:31], v30, v[10:11]
	v_lshrrev_b32_e32 v29, 3, v27
	v_sub_u32_e32 v10, 29, v32
	v_and_b32_e32 v30, 7, v30
	v_cmp_gt_u32_e32 vcc, 8, v27
	v_mov_b32_e32 v27, 24
	v_cndmask_b32_e32 v10, v29, v10, vcc
	v_cndmask_b32_e32 v26, v26, v30, vcc
	v_lshlrev_b32_sdwa v27, v27, v11 dst_sel:DWORD dst_unused:UNUSED_PAD src0_sel:DWORD src1_sel:WORD_1
	v_bfrev_b32_e32 v29, 60
	v_lshlrev_b32_e32 v26, 20, v26
	v_and_b32_e32 v27, 0x80000000, v27
	v_lshl_add_u32 v10, v10, 23, v29
	v_or3_b32 v10, v27, v10, v26
	v_lshrrev_b32_e32 v26, 16, v10
.LBB891_535:
	s_or_b64 exec, exec, s[10:11]
.LBB891_536:
	s_or_b64 exec, exec, s[8:9]
.LBB891_537:
	s_or_b64 exec, exec, s[2:3]
	s_mov_b32 s2, 0xffffff
	v_cmp_lt_u32_e32 vcc, s2, v11
	s_and_saveexec_b64 s[2:3], vcc
	s_cbranch_execz .LBB891_543
; %bb.538:
	v_lshrrev_b32_e32 v10, 24, v11
	s_movk_i32 s7, 0x80
	v_cmp_ne_u32_e32 vcc, s7, v10
	v_mov_b32_e32 v25, 0xffff8000
	s_and_saveexec_b64 s[8:9], vcc
	s_cbranch_execz .LBB891_542
; %bb.539:
	v_bfe_u32 v11, v11, 24, 7
	s_movk_i32 s7, 0x7f
	v_cmp_ne_u32_e32 vcc, s7, v11
	v_mov_b32_e32 v25, 0x7f80
	s_and_saveexec_b64 s[10:11], vcc
	s_cbranch_execz .LBB891_541
; %bb.540:
	v_and_b32_e32 v25, 7, v10
	v_ffbh_u32_e32 v29, v25
	v_min_u32_e32 v29, 32, v29
	v_subrev_u32_e32 v30, 28, v29
	v_lshlrev_b64 v[30:31], v30, v[10:11]
	v_lshrrev_b32_e32 v27, 3, v11
	v_sub_u32_e32 v29, 29, v29
	v_and_b32_e32 v30, 7, v30
	v_cmp_gt_u32_e32 vcc, 8, v11
	v_cndmask_b32_e32 v11, v27, v29, vcc
	v_cndmask_b32_e32 v25, v25, v30, vcc
	v_lshlrev_b32_e32 v10, 24, v10
	v_bfrev_b32_e32 v27, 60
	v_lshlrev_b32_e32 v25, 20, v25
	v_and_b32_e32 v10, 0x80000000, v10
	v_lshl_add_u32 v11, v11, 23, v27
	v_or3_b32 v10, v10, v11, v25
	v_lshrrev_b32_e32 v25, 16, v10
.LBB891_541:
	s_or_b64 exec, exec, s[10:11]
.LBB891_542:
	s_or_b64 exec, exec, s[8:9]
.LBB891_543:
	s_or_b64 exec, exec, s[2:3]
	s_mov_b32 s2, 0x5040100
	v_perm_b32 v11, v21, v23, s2
	v_perm_b32 v10, v19, v20, s2
	ds_read_b128 v[30:33], v22 offset:2048
	v_perm_b32 v21, v25, v26, s2
	v_perm_b32 v20, v18, v24, s2
	s_waitcnt lgkmcnt(0)
	v_mfma_f32_16x16x16bf16_1k v[14:17], v[10:11], v[30:31], v[14:17]
	v_mov_b32_e32 v11, 0
	v_cmp_ne_u16_sdwa s[8:9], v12, v11 src0_sel:BYTE_0 src1_sel:DWORD
	v_mov_b32_e32 v18, 0
	v_mfma_f32_16x16x16bf16_1k v[14:17], v[20:21], v[32:33], v[14:17]
	s_and_saveexec_b64 s[2:3], s[8:9]
	s_cbranch_execz .LBB891_549
; %bb.544:
	s_movk_i32 s7, 0x80
	v_cmp_ne_u16_sdwa s[10:11], v12, s7 src0_sel:BYTE_0 src1_sel:DWORD
	v_mov_b32_e32 v18, 0xffff8000
	s_and_saveexec_b64 s[8:9], s[10:11]
	s_cbranch_execz .LBB891_548
; %bb.545:
	s_movk_i32 s7, 0x7f
	v_and_b32_e32 v10, 0x7f, v12
	v_cmp_ne_u32_e32 vcc, s7, v10
	v_mov_b32_e32 v18, 0x7f80
	s_and_saveexec_b64 s[10:11], vcc
	s_cbranch_execz .LBB891_547
; %bb.546:
	v_and_b32_e32 v20, 7, v12
	v_ffbh_u32_e32 v18, v20
	v_min_u32_e32 v23, 32, v18
	v_subrev_u32_e32 v18, 28, v23
	v_lshlrev_b64 v[18:19], v18, v[12:13]
	v_lshrrev_b32_e32 v21, 3, v10
	v_sub_u32_e32 v19, 29, v23
	v_and_b32_e32 v18, 7, v18
	v_cmp_gt_u32_e32 vcc, 8, v10
	v_cndmask_b32_e32 v10, v21, v19, vcc
	v_cndmask_b32_e32 v18, v20, v18, vcc
	v_lshlrev_b32_e32 v19, 24, v12
	v_bfrev_b32_e32 v20, 60
	v_lshlrev_b32_e32 v18, 20, v18
	v_and_b32_e32 v19, 0x80000000, v19
	v_lshl_add_u32 v10, v10, 23, v20
	v_or3_b32 v10, v19, v10, v18
	v_lshrrev_b32_e32 v18, 16, v10
.LBB891_547:
	s_or_b64 exec, exec, s[10:11]
.LBB891_548:
	s_or_b64 exec, exec, s[8:9]
.LBB891_549:
	s_or_b64 exec, exec, s[2:3]
	v_lshrrev_b16_e32 v10, 8, v12
	v_cmp_ne_u16_e32 vcc, 0, v10
	s_and_saveexec_b64 s[2:3], vcc
	s_cbranch_execz .LBB891_555
; %bb.550:
	s_movk_i32 s7, 0x80
	v_cmp_ne_u16_e32 vcc, s7, v10
	v_mov_b32_e32 v11, 0xffff8000
	s_and_saveexec_b64 s[8:9], vcc
	s_cbranch_execz .LBB891_554
; %bb.551:
	s_movk_i32 s7, 0x7f
	v_and_b32_e32 v19, 0x7f, v10
	v_cmp_ne_u32_e32 vcc, s7, v19
	v_mov_b32_e32 v11, 0x7f80
	s_and_saveexec_b64 s[10:11], vcc
	s_cbranch_execz .LBB891_553
; %bb.552:
	v_and_b32_e32 v20, 7, v10
	v_ffbh_u32_e32 v11, v20
	v_min_u32_e32 v23, 32, v11
	v_subrev_u32_e32 v11, 28, v23
	v_lshlrev_b64 v[10:11], v11, v[10:11]
	v_lshrrev_b32_e32 v21, 3, v19
	v_sub_u32_e32 v11, 29, v23
	v_and_b32_e32 v10, 7, v10
	v_cmp_gt_u32_e32 vcc, 8, v19
	v_cndmask_b32_e32 v11, v21, v11, vcc
	v_cndmask_b32_e32 v10, v20, v10, vcc
	v_lshlrev_b32_e32 v19, 16, v12
	v_bfrev_b32_e32 v20, 60
	v_lshlrev_b32_e32 v10, 20, v10
	v_and_b32_e32 v19, 0x80000000, v19
	v_lshl_add_u32 v11, v11, 23, v20
	v_or3_b32 v10, v19, v11, v10
	v_lshrrev_b32_e32 v11, 16, v10
.LBB891_553:
	s_or_b64 exec, exec, s[10:11]
.LBB891_554:
	s_or_b64 exec, exec, s[8:9]
.LBB891_555:
	s_or_b64 exec, exec, s[2:3]
	s_movk_i32 s2, 0xff
	v_and_b32_sdwa v21, v12, s2 dst_sel:DWORD dst_unused:UNUSED_PAD src0_sel:WORD_1 src1_sel:DWORD
	v_lshrrev_b32_e32 v10, 16, v12
	v_cmp_ne_u16_e32 vcc, 0, v21
	v_mov_b32_e32 v19, 0
	v_mov_b32_e32 v20, 0
	s_and_saveexec_b64 s[2:3], vcc
	s_cbranch_execz .LBB891_561
; %bb.556:
	s_movk_i32 s7, 0x80
	v_cmp_ne_u16_e32 vcc, s7, v21
	v_mov_b32_e32 v20, 0xffff8000
	s_and_saveexec_b64 s[8:9], vcc
	s_cbranch_execz .LBB891_560
; %bb.557:
	v_bfe_u32 v21, v12, 16, 7
	s_movk_i32 s7, 0x7f
	v_cmp_ne_u32_e32 vcc, s7, v21
	v_mov_b32_e32 v20, 0x7f80
	s_and_saveexec_b64 s[10:11], vcc
	s_cbranch_execz .LBB891_559
; %bb.558:
	v_and_b32_e32 v20, 7, v10
	v_ffbh_u32_e32 v24, v20
	v_min_u32_e32 v26, 32, v24
	v_subrev_u32_e32 v24, 28, v26
	v_lshlrev_b64 v[24:25], v24, v[10:11]
	v_lshrrev_b32_e32 v23, 3, v21
	v_sub_u32_e32 v10, 29, v26
	v_and_b32_e32 v24, 7, v24
	v_cmp_gt_u32_e32 vcc, 8, v21
	v_mov_b32_e32 v21, 24
	v_cndmask_b32_e32 v10, v23, v10, vcc
	v_cndmask_b32_e32 v20, v20, v24, vcc
	v_lshlrev_b32_sdwa v21, v21, v12 dst_sel:DWORD dst_unused:UNUSED_PAD src0_sel:DWORD src1_sel:WORD_1
	v_bfrev_b32_e32 v23, 60
	v_lshlrev_b32_e32 v20, 20, v20
	v_and_b32_e32 v21, 0x80000000, v21
	v_lshl_add_u32 v10, v10, 23, v23
	v_or3_b32 v10, v21, v10, v20
	v_lshrrev_b32_e32 v20, 16, v10
.LBB891_559:
	s_or_b64 exec, exec, s[10:11]
.LBB891_560:
	s_or_b64 exec, exec, s[8:9]
.LBB891_561:
	s_or_b64 exec, exec, s[2:3]
	s_mov_b32 s2, 0xffffff
	v_cmp_lt_u32_e32 vcc, s2, v12
	s_and_saveexec_b64 s[2:3], vcc
	s_cbranch_execz .LBB891_567
; %bb.562:
	v_lshrrev_b32_e32 v10, 24, v12
	s_movk_i32 s7, 0x80
	v_cmp_ne_u32_e32 vcc, s7, v10
	v_mov_b32_e32 v19, 0xffff8000
	s_and_saveexec_b64 s[8:9], vcc
	s_cbranch_execz .LBB891_566
; %bb.563:
	v_bfe_u32 v12, v12, 24, 7
	s_movk_i32 s7, 0x7f
	v_cmp_ne_u32_e32 vcc, s7, v12
	v_mov_b32_e32 v19, 0x7f80
	s_and_saveexec_b64 s[10:11], vcc
	s_cbranch_execz .LBB891_565
; %bb.564:
	v_and_b32_e32 v19, 7, v10
	v_ffbh_u32_e32 v23, v19
	v_min_u32_e32 v23, 32, v23
	v_subrev_u32_e32 v24, 28, v23
	v_lshlrev_b64 v[24:25], v24, v[10:11]
	v_lshrrev_b32_e32 v21, 3, v12
	v_sub_u32_e32 v23, 29, v23
	v_and_b32_e32 v24, 7, v24
	v_cmp_gt_u32_e32 vcc, 8, v12
	v_cndmask_b32_e32 v12, v21, v23, vcc
	v_cndmask_b32_e32 v19, v19, v24, vcc
	v_lshlrev_b32_e32 v10, 24, v10
	v_bfrev_b32_e32 v21, 60
	v_lshlrev_b32_e32 v19, 20, v19
	v_and_b32_e32 v10, 0x80000000, v10
	v_lshl_add_u32 v12, v12, 23, v21
	v_or3_b32 v10, v10, v12, v19
	v_lshrrev_b32_e32 v19, 16, v10
.LBB891_565:
	s_or_b64 exec, exec, s[10:11]
.LBB891_566:
	s_or_b64 exec, exec, s[8:9]
.LBB891_567:
	s_or_b64 exec, exec, s[2:3]
	v_mov_b32_e32 v12, 0
	v_cmp_ne_u16_sdwa s[8:9], v13, v12 src0_sel:BYTE_0 src1_sel:DWORD
	v_mov_b32_e32 v21, 0
	s_and_saveexec_b64 s[2:3], s[8:9]
	s_cbranch_execz .LBB891_573
; %bb.568:
	s_movk_i32 s7, 0x80
	v_cmp_ne_u16_sdwa s[10:11], v13, s7 src0_sel:BYTE_0 src1_sel:DWORD
	v_mov_b32_e32 v21, 0xffff8000
	s_and_saveexec_b64 s[8:9], s[10:11]
	s_cbranch_execz .LBB891_572
; %bb.569:
	s_movk_i32 s7, 0x7f
	v_and_b32_e32 v10, 0x7f, v13
	v_cmp_ne_u32_e32 vcc, s7, v10
	v_mov_b32_e32 v21, 0x7f80
	s_and_saveexec_b64 s[10:11], vcc
	s_cbranch_execz .LBB891_571
; %bb.570:
	v_and_b32_e32 v21, 7, v13
	v_ffbh_u32_e32 v25, v21
	v_min_u32_e32 v26, 32, v25
	v_mov_b32_e32 v24, v13
	v_subrev_u32_e32 v25, 28, v26
	v_lshlrev_b64 v[24:25], v25, v[24:25]
	v_lshrrev_b32_e32 v23, 3, v10
	v_sub_u32_e32 v25, 29, v26
	v_and_b32_e32 v24, 7, v24
	v_cmp_gt_u32_e32 vcc, 8, v10
	v_cndmask_b32_e32 v10, v23, v25, vcc
	v_cndmask_b32_e32 v21, v21, v24, vcc
	v_lshlrev_b32_e32 v23, 24, v13
	v_bfrev_b32_e32 v24, 60
	v_lshlrev_b32_e32 v21, 20, v21
	v_and_b32_e32 v23, 0x80000000, v23
	v_lshl_add_u32 v10, v10, 23, v24
	v_or3_b32 v10, v23, v10, v21
	v_lshrrev_b32_e32 v21, 16, v10
.LBB891_571:
	s_or_b64 exec, exec, s[10:11]
.LBB891_572:
	s_or_b64 exec, exec, s[8:9]
.LBB891_573:
	s_or_b64 exec, exec, s[2:3]
	v_lshrrev_b16_e32 v10, 8, v13
	v_cmp_ne_u16_e32 vcc, 0, v10
	s_and_saveexec_b64 s[2:3], vcc
	s_cbranch_execz .LBB891_579
; %bb.574:
	s_movk_i32 s7, 0x80
	v_cmp_ne_u16_e32 vcc, s7, v10
	v_mov_b32_e32 v12, 0xffff8000
	s_and_saveexec_b64 s[8:9], vcc
	s_cbranch_execz .LBB891_578
; %bb.575:
	s_movk_i32 s7, 0x7f
	v_and_b32_e32 v23, 0x7f, v10
	v_cmp_ne_u32_e32 vcc, s7, v23
	v_mov_b32_e32 v12, 0x7f80
	s_and_saveexec_b64 s[10:11], vcc
	s_cbranch_execz .LBB891_577
; %bb.576:
	v_and_b32_e32 v12, 7, v10
	v_ffbh_u32_e32 v24, v12
	v_min_u32_e32 v27, 32, v24
	v_subrev_u32_e32 v24, 28, v27
	v_lshlrev_b64 v[24:25], v24, v[10:11]
	v_lshrrev_b32_e32 v26, 3, v23
	v_sub_u32_e32 v10, 29, v27
	v_and_b32_e32 v24, 7, v24
	v_cmp_gt_u32_e32 vcc, 8, v23
	v_cndmask_b32_e32 v10, v26, v10, vcc
	v_cndmask_b32_e32 v12, v12, v24, vcc
	v_lshlrev_b32_e32 v23, 16, v13
	v_bfrev_b32_e32 v24, 60
	v_lshlrev_b32_e32 v12, 20, v12
	v_and_b32_e32 v23, 0x80000000, v23
	v_lshl_add_u32 v10, v10, 23, v24
	v_or3_b32 v10, v23, v10, v12
	v_lshrrev_b32_e32 v12, 16, v10
.LBB891_577:
	s_or_b64 exec, exec, s[10:11]
.LBB891_578:
	s_or_b64 exec, exec, s[8:9]
.LBB891_579:
	s_or_b64 exec, exec, s[2:3]
	s_movk_i32 s2, 0xff
	v_and_b32_sdwa v25, v13, s2 dst_sel:DWORD dst_unused:UNUSED_PAD src0_sel:WORD_1 src1_sel:DWORD
	v_lshrrev_b32_e32 v10, 16, v13
	v_cmp_ne_u16_e32 vcc, 0, v25
	v_mov_b32_e32 v23, 0
	v_mov_b32_e32 v24, 0
	s_and_saveexec_b64 s[2:3], vcc
	s_cbranch_execz .LBB891_585
; %bb.580:
	s_movk_i32 s7, 0x80
	v_cmp_ne_u16_e32 vcc, s7, v25
	v_mov_b32_e32 v24, 0xffff8000
	s_and_saveexec_b64 s[8:9], vcc
	s_cbranch_execz .LBB891_584
; %bb.581:
	v_bfe_u32 v25, v13, 16, 7
	s_movk_i32 s7, 0x7f
	v_cmp_ne_u32_e32 vcc, s7, v25
	v_mov_b32_e32 v24, 0x7f80
	s_and_saveexec_b64 s[10:11], vcc
	s_cbranch_execz .LBB891_583
; %bb.582:
	v_and_b32_e32 v24, 7, v10
	v_ffbh_u32_e32 v26, v24
	v_min_u32_e32 v30, 32, v26
	v_subrev_u32_e32 v26, 28, v30
	v_lshlrev_b64 v[26:27], v26, v[10:11]
	v_lshrrev_b32_e32 v29, 3, v25
	v_sub_u32_e32 v10, 29, v30
	v_and_b32_e32 v26, 7, v26
	v_cmp_gt_u32_e32 vcc, 8, v25
	v_mov_b32_e32 v25, 24
	v_cndmask_b32_e32 v10, v29, v10, vcc
	v_cndmask_b32_e32 v24, v24, v26, vcc
	v_lshlrev_b32_sdwa v25, v25, v13 dst_sel:DWORD dst_unused:UNUSED_PAD src0_sel:DWORD src1_sel:WORD_1
	v_bfrev_b32_e32 v26, 60
	v_lshlrev_b32_e32 v24, 20, v24
	v_and_b32_e32 v25, 0x80000000, v25
	v_lshl_add_u32 v10, v10, 23, v26
	v_or3_b32 v10, v25, v10, v24
	v_lshrrev_b32_e32 v24, 16, v10
.LBB891_583:
	s_or_b64 exec, exec, s[10:11]
.LBB891_584:
	s_or_b64 exec, exec, s[8:9]
.LBB891_585:
	s_or_b64 exec, exec, s[2:3]
	s_mov_b32 s2, 0xffffff
	v_cmp_lt_u32_e32 vcc, s2, v13
	s_and_saveexec_b64 s[2:3], vcc
	s_cbranch_execz .LBB891_591
; %bb.586:
	v_lshrrev_b32_e32 v10, 24, v13
	s_movk_i32 s7, 0x80
	v_cmp_ne_u32_e32 vcc, s7, v10
	v_mov_b32_e32 v23, 0xffff8000
	s_and_saveexec_b64 s[8:9], vcc
	s_cbranch_execz .LBB891_590
; %bb.587:
	v_bfe_u32 v13, v13, 24, 7
	s_movk_i32 s7, 0x7f
	v_cmp_ne_u32_e32 vcc, s7, v13
	v_mov_b32_e32 v23, 0x7f80
	s_and_saveexec_b64 s[10:11], vcc
	s_cbranch_execz .LBB891_589
; %bb.588:
	v_and_b32_e32 v23, 7, v10
	v_ffbh_u32_e32 v26, v23
	v_min_u32_e32 v29, 32, v26
	v_subrev_u32_e32 v26, 28, v29
	v_lshlrev_b64 v[26:27], v26, v[10:11]
	v_lshrrev_b32_e32 v25, 3, v13
	v_sub_u32_e32 v27, 29, v29
	v_and_b32_e32 v26, 7, v26
	v_cmp_gt_u32_e32 vcc, 8, v13
	v_cndmask_b32_e32 v13, v25, v27, vcc
	v_cndmask_b32_e32 v23, v23, v26, vcc
	v_lshlrev_b32_e32 v10, 24, v10
	v_bfrev_b32_e32 v25, 60
	v_lshlrev_b32_e32 v23, 20, v23
	v_and_b32_e32 v10, 0x80000000, v10
	v_lshl_add_u32 v13, v13, 23, v25
	v_or3_b32 v10, v10, v13, v23
	v_lshrrev_b32_e32 v23, 16, v10
.LBB891_589:
	s_or_b64 exec, exec, s[10:11]
.LBB891_590:
	s_or_b64 exec, exec, s[8:9]
.LBB891_591:
	s_or_b64 exec, exec, s[2:3]
	s_mov_b32 s2, 0x5040100
	v_perm_b32 v19, v19, v20, s2
	v_perm_b32 v18, v11, v18, s2
	ds_read_b128 v[30:33], v22 offset:2064
	v_perm_b32 v11, v23, v24, s2
	v_perm_b32 v10, v12, v21, s2
	s_waitcnt lgkmcnt(0)
	v_mfma_f32_16x16x16bf16_1k v[34:37], v[18:19], v[30:31], v[14:17]
	s_nop 6
	v_mov_b32_e32 v15, 0
	s_waitcnt vmcnt(1)
	v_cmp_ne_u16_sdwa s[8:9], v6, v15 src0_sel:BYTE_0 src1_sel:DWORD
	v_mfma_f32_16x16x16bf16_1k v[10:13], v[10:11], v[32:33], v[34:37]
	v_mov_b32_e32 v16, 0
	s_and_saveexec_b64 s[2:3], s[8:9]
	s_cbranch_execz .LBB891_597
; %bb.592:
	s_movk_i32 s7, 0x80
	v_cmp_ne_u16_sdwa s[10:11], v6, s7 src0_sel:BYTE_0 src1_sel:DWORD
	v_mov_b32_e32 v16, 0xffff8000
	s_and_saveexec_b64 s[8:9], s[10:11]
	s_cbranch_execz .LBB891_596
; %bb.593:
	s_movk_i32 s7, 0x7f
	v_and_b32_e32 v14, 0x7f, v6
	v_cmp_ne_u32_e32 vcc, s7, v14
	v_mov_b32_e32 v16, 0x7f80
	s_and_saveexec_b64 s[10:11], vcc
	s_cbranch_execz .LBB891_595
; %bb.594:
	v_and_b32_e32 v18, 7, v6
	v_ffbh_u32_e32 v16, v18
	v_min_u32_e32 v20, 32, v16
	v_subrev_u32_e32 v16, 28, v20
	v_lshlrev_b64 v[16:17], v16, v[6:7]
	v_lshrrev_b32_e32 v19, 3, v14
	v_sub_u32_e32 v17, 29, v20
	v_and_b32_e32 v16, 7, v16
	v_cmp_gt_u32_e32 vcc, 8, v14
	v_cndmask_b32_e32 v14, v19, v17, vcc
	v_cndmask_b32_e32 v16, v18, v16, vcc
	v_lshlrev_b32_e32 v17, 24, v6
	v_bfrev_b32_e32 v18, 60
	v_lshlrev_b32_e32 v16, 20, v16
	v_and_b32_e32 v17, 0x80000000, v17
	v_lshl_add_u32 v14, v14, 23, v18
	v_or3_b32 v14, v17, v14, v16
	v_lshrrev_b32_e32 v16, 16, v14
.LBB891_595:
	s_or_b64 exec, exec, s[10:11]
.LBB891_596:
	s_or_b64 exec, exec, s[8:9]
.LBB891_597:
	s_or_b64 exec, exec, s[2:3]
	v_lshrrev_b16_e32 v14, 8, v6
	v_cmp_ne_u16_e32 vcc, 0, v14
	s_and_saveexec_b64 s[2:3], vcc
	s_cbranch_execz .LBB891_603
; %bb.598:
	s_movk_i32 s7, 0x80
	v_cmp_ne_u16_e32 vcc, s7, v14
	v_mov_b32_e32 v15, 0xffff8000
	s_and_saveexec_b64 s[8:9], vcc
	s_cbranch_execz .LBB891_602
; %bb.599:
	s_movk_i32 s7, 0x7f
	v_and_b32_e32 v17, 0x7f, v14
	v_cmp_ne_u32_e32 vcc, s7, v17
	v_mov_b32_e32 v15, 0x7f80
	s_and_saveexec_b64 s[10:11], vcc
	s_cbranch_execz .LBB891_601
; %bb.600:
	v_and_b32_e32 v18, 7, v14
	v_ffbh_u32_e32 v15, v18
	v_min_u32_e32 v20, 32, v15
	v_subrev_u32_e32 v15, 28, v20
	v_lshlrev_b64 v[14:15], v15, v[14:15]
	v_lshrrev_b32_e32 v19, 3, v17
	v_sub_u32_e32 v15, 29, v20
	v_and_b32_e32 v14, 7, v14
	v_cmp_gt_u32_e32 vcc, 8, v17
	v_cndmask_b32_e32 v15, v19, v15, vcc
	v_cndmask_b32_e32 v14, v18, v14, vcc
	v_lshlrev_b32_e32 v17, 16, v6
	v_bfrev_b32_e32 v18, 60
	v_lshlrev_b32_e32 v14, 20, v14
	v_and_b32_e32 v17, 0x80000000, v17
	v_lshl_add_u32 v15, v15, 23, v18
	v_or3_b32 v14, v17, v15, v14
	v_lshrrev_b32_e32 v15, 16, v14
.LBB891_601:
	s_or_b64 exec, exec, s[10:11]
.LBB891_602:
	s_or_b64 exec, exec, s[8:9]
.LBB891_603:
	s_or_b64 exec, exec, s[2:3]
	s_movk_i32 s2, 0xff
	v_and_b32_sdwa v19, v6, s2 dst_sel:DWORD dst_unused:UNUSED_PAD src0_sel:WORD_1 src1_sel:DWORD
	v_lshrrev_b32_e32 v14, 16, v6
	v_cmp_ne_u16_e32 vcc, 0, v19
	v_mov_b32_e32 v17, 0
	v_mov_b32_e32 v18, 0
	s_and_saveexec_b64 s[2:3], vcc
	s_cbranch_execz .LBB891_609
; %bb.604:
	s_movk_i32 s7, 0x80
	v_cmp_ne_u16_e32 vcc, s7, v19
	v_mov_b32_e32 v18, 0xffff8000
	s_and_saveexec_b64 s[8:9], vcc
	s_cbranch_execz .LBB891_608
; %bb.605:
	v_bfe_u32 v19, v6, 16, 7
	s_movk_i32 s7, 0x7f
	v_cmp_ne_u32_e32 vcc, s7, v19
	v_mov_b32_e32 v18, 0x7f80
	s_and_saveexec_b64 s[10:11], vcc
	s_cbranch_execz .LBB891_607
; %bb.606:
	v_and_b32_e32 v18, 7, v14
	v_ffbh_u32_e32 v20, v18
	v_min_u32_e32 v24, 32, v20
	v_subrev_u32_e32 v20, 28, v24
	v_lshlrev_b64 v[20:21], v20, v[14:15]
	v_lshrrev_b32_e32 v23, 3, v19
	v_sub_u32_e32 v14, 29, v24
	v_and_b32_e32 v20, 7, v20
	v_cmp_gt_u32_e32 vcc, 8, v19
	v_mov_b32_e32 v19, 24
	v_cndmask_b32_e32 v14, v23, v14, vcc
	v_cndmask_b32_e32 v18, v18, v20, vcc
	v_lshlrev_b32_sdwa v19, v19, v6 dst_sel:DWORD dst_unused:UNUSED_PAD src0_sel:DWORD src1_sel:WORD_1
	v_bfrev_b32_e32 v20, 60
	v_lshlrev_b32_e32 v18, 20, v18
	v_and_b32_e32 v19, 0x80000000, v19
	v_lshl_add_u32 v14, v14, 23, v20
	v_or3_b32 v14, v19, v14, v18
	v_lshrrev_b32_e32 v18, 16, v14
.LBB891_607:
	s_or_b64 exec, exec, s[10:11]
.LBB891_608:
	s_or_b64 exec, exec, s[8:9]
.LBB891_609:
	s_or_b64 exec, exec, s[2:3]
	s_mov_b32 s2, 0xffffff
	v_cmp_lt_u32_e32 vcc, s2, v6
	s_and_saveexec_b64 s[2:3], vcc
	s_cbranch_execz .LBB891_615
; %bb.610:
	v_lshrrev_b32_e32 v14, 24, v6
	s_movk_i32 s7, 0x80
	v_cmp_ne_u32_e32 vcc, s7, v14
	v_mov_b32_e32 v17, 0xffff8000
	s_and_saveexec_b64 s[8:9], vcc
	s_cbranch_execz .LBB891_614
; %bb.611:
	v_bfe_u32 v6, v6, 24, 7
	s_movk_i32 s7, 0x7f
	v_cmp_ne_u32_e32 vcc, s7, v6
	v_mov_b32_e32 v17, 0x7f80
	s_and_saveexec_b64 s[10:11], vcc
	s_cbranch_execz .LBB891_613
; %bb.612:
	v_and_b32_e32 v17, 7, v14
	v_ffbh_u32_e32 v20, v17
	v_min_u32_e32 v23, 32, v20
	v_subrev_u32_e32 v20, 28, v23
	v_lshlrev_b64 v[20:21], v20, v[14:15]
	v_lshrrev_b32_e32 v19, 3, v6
	v_sub_u32_e32 v21, 29, v23
	v_and_b32_e32 v20, 7, v20
	v_cmp_gt_u32_e32 vcc, 8, v6
	v_cndmask_b32_e32 v6, v19, v21, vcc
	v_cndmask_b32_e32 v17, v17, v20, vcc
	v_lshlrev_b32_e32 v14, 24, v14
	v_bfrev_b32_e32 v19, 60
	v_lshlrev_b32_e32 v17, 20, v17
	v_and_b32_e32 v14, 0x80000000, v14
	v_lshl_add_u32 v6, v6, 23, v19
	v_or3_b32 v6, v14, v6, v17
	v_lshrrev_b32_e32 v17, 16, v6
.LBB891_613:
	s_or_b64 exec, exec, s[10:11]
.LBB891_614:
	s_or_b64 exec, exec, s[8:9]
.LBB891_615:
	s_or_b64 exec, exec, s[2:3]
	v_mov_b32_e32 v14, 0
	v_cmp_ne_u16_sdwa s[8:9], v7, v14 src0_sel:BYTE_0 src1_sel:DWORD
	v_mov_b32_e32 v19, 0
	s_and_saveexec_b64 s[2:3], s[8:9]
	s_cbranch_execz .LBB891_621
; %bb.616:
	s_movk_i32 s7, 0x80
	v_cmp_ne_u16_sdwa s[10:11], v7, s7 src0_sel:BYTE_0 src1_sel:DWORD
	v_mov_b32_e32 v19, 0xffff8000
	s_and_saveexec_b64 s[8:9], s[10:11]
	s_cbranch_execz .LBB891_620
; %bb.617:
	s_movk_i32 s7, 0x7f
	v_and_b32_e32 v6, 0x7f, v7
	v_cmp_ne_u32_e32 vcc, s7, v6
	v_mov_b32_e32 v19, 0x7f80
	s_and_saveexec_b64 s[10:11], vcc
	s_cbranch_execz .LBB891_619
; %bb.618:
	v_and_b32_e32 v19, 7, v7
	v_ffbh_u32_e32 v21, v19
	v_min_u32_e32 v24, 32, v21
	v_mov_b32_e32 v20, v7
	v_subrev_u32_e32 v21, 28, v24
	v_lshlrev_b64 v[20:21], v21, v[20:21]
	v_lshrrev_b32_e32 v23, 3, v6
	v_sub_u32_e32 v21, 29, v24
	v_and_b32_e32 v20, 7, v20
	v_cmp_gt_u32_e32 vcc, 8, v6
	v_cndmask_b32_e32 v6, v23, v21, vcc
	v_cndmask_b32_e32 v19, v19, v20, vcc
	v_lshlrev_b32_e32 v20, 24, v7
	v_bfrev_b32_e32 v21, 60
	v_lshlrev_b32_e32 v19, 20, v19
	v_and_b32_e32 v20, 0x80000000, v20
	v_lshl_add_u32 v6, v6, 23, v21
	v_or3_b32 v6, v20, v6, v19
	v_lshrrev_b32_e32 v19, 16, v6
.LBB891_619:
	s_or_b64 exec, exec, s[10:11]
.LBB891_620:
	s_or_b64 exec, exec, s[8:9]
.LBB891_621:
	s_or_b64 exec, exec, s[2:3]
	v_lshrrev_b16_e32 v6, 8, v7
	v_cmp_ne_u16_e32 vcc, 0, v6
	s_and_saveexec_b64 s[2:3], vcc
	s_cbranch_execz .LBB891_627
; %bb.622:
	s_movk_i32 s7, 0x80
	v_cmp_ne_u16_e32 vcc, s7, v6
	v_mov_b32_e32 v14, 0xffff8000
	s_and_saveexec_b64 s[8:9], vcc
	s_cbranch_execz .LBB891_626
; %bb.623:
	s_movk_i32 s7, 0x7f
	v_and_b32_e32 v20, 0x7f, v6
	v_cmp_ne_u32_e32 vcc, s7, v20
	v_mov_b32_e32 v14, 0x7f80
	s_and_saveexec_b64 s[10:11], vcc
	s_cbranch_execz .LBB891_625
; %bb.624:
	v_and_b32_e32 v14, 7, v6
	v_ffbh_u32_e32 v23, v14
	v_min_u32_e32 v23, 32, v23
	v_subrev_u32_e32 v24, 28, v23
	v_lshlrev_b64 v[24:25], v24, v[6:7]
	v_lshrrev_b32_e32 v21, 3, v20
	v_sub_u32_e32 v6, 29, v23
	v_and_b32_e32 v23, 7, v24
	v_cmp_gt_u32_e32 vcc, 8, v20
	v_cndmask_b32_e32 v6, v21, v6, vcc
	v_cndmask_b32_e32 v14, v14, v23, vcc
	v_lshlrev_b32_e32 v20, 16, v7
	v_bfrev_b32_e32 v21, 60
	v_lshlrev_b32_e32 v14, 20, v14
	v_and_b32_e32 v20, 0x80000000, v20
	v_lshl_add_u32 v6, v6, 23, v21
	v_or3_b32 v6, v20, v6, v14
	v_lshrrev_b32_e32 v14, 16, v6
.LBB891_625:
	s_or_b64 exec, exec, s[10:11]
.LBB891_626:
	s_or_b64 exec, exec, s[8:9]
.LBB891_627:
	s_or_b64 exec, exec, s[2:3]
	s_movk_i32 s2, 0xff
	v_and_b32_sdwa v23, v7, s2 dst_sel:DWORD dst_unused:UNUSED_PAD src0_sel:WORD_1 src1_sel:DWORD
	v_lshrrev_b32_e32 v6, 16, v7
	v_cmp_ne_u16_e32 vcc, 0, v23
	v_mov_b32_e32 v20, 0
	v_mov_b32_e32 v21, 0
	s_and_saveexec_b64 s[2:3], vcc
	s_cbranch_execz .LBB891_633
; %bb.628:
	s_movk_i32 s7, 0x80
	v_cmp_ne_u16_e32 vcc, s7, v23
	v_mov_b32_e32 v21, 0xffff8000
	s_and_saveexec_b64 s[8:9], vcc
	s_cbranch_execz .LBB891_632
; %bb.629:
	v_bfe_u32 v23, v7, 16, 7
	s_movk_i32 s7, 0x7f
	v_cmp_ne_u32_e32 vcc, s7, v23
	v_mov_b32_e32 v21, 0x7f80
	s_and_saveexec_b64 s[10:11], vcc
	s_cbranch_execz .LBB891_631
; %bb.630:
	v_and_b32_e32 v21, 7, v6
	v_ffbh_u32_e32 v24, v21
	v_min_u32_e32 v27, 32, v24
	v_subrev_u32_e32 v24, 28, v27
	v_lshlrev_b64 v[24:25], v24, v[6:7]
	v_lshrrev_b32_e32 v26, 3, v23
	v_sub_u32_e32 v6, 29, v27
	v_and_b32_e32 v24, 7, v24
	v_cmp_gt_u32_e32 vcc, 8, v23
	v_mov_b32_e32 v23, 24
	v_cndmask_b32_e32 v6, v26, v6, vcc
	v_cndmask_b32_e32 v21, v21, v24, vcc
	v_lshlrev_b32_sdwa v23, v23, v7 dst_sel:DWORD dst_unused:UNUSED_PAD src0_sel:DWORD src1_sel:WORD_1
	v_bfrev_b32_e32 v24, 60
	v_lshlrev_b32_e32 v21, 20, v21
	v_and_b32_e32 v23, 0x80000000, v23
	v_lshl_add_u32 v6, v6, 23, v24
	v_or3_b32 v6, v23, v6, v21
	v_lshrrev_b32_e32 v21, 16, v6
.LBB891_631:
	s_or_b64 exec, exec, s[10:11]
.LBB891_632:
	s_or_b64 exec, exec, s[8:9]
.LBB891_633:
	s_or_b64 exec, exec, s[2:3]
	s_mov_b32 s2, 0xffffff
	v_cmp_lt_u32_e32 vcc, s2, v7
	s_and_saveexec_b64 s[2:3], vcc
	s_cbranch_execz .LBB891_639
; %bb.634:
	v_lshrrev_b32_e32 v6, 24, v7
	s_movk_i32 s7, 0x80
	v_cmp_ne_u32_e32 vcc, s7, v6
	v_mov_b32_e32 v20, 0xffff8000
	s_and_saveexec_b64 s[8:9], vcc
	s_cbranch_execz .LBB891_638
; %bb.635:
	v_bfe_u32 v7, v7, 24, 7
	s_movk_i32 s7, 0x7f
	v_cmp_ne_u32_e32 vcc, s7, v7
	v_mov_b32_e32 v20, 0x7f80
	s_and_saveexec_b64 s[10:11], vcc
	s_cbranch_execz .LBB891_637
; %bb.636:
	v_and_b32_e32 v20, 7, v6
	v_ffbh_u32_e32 v24, v20
	v_min_u32_e32 v26, 32, v24
	v_subrev_u32_e32 v24, 28, v26
	v_lshlrev_b64 v[24:25], v24, v[6:7]
	v_lshrrev_b32_e32 v23, 3, v7
	v_sub_u32_e32 v25, 29, v26
	v_and_b32_e32 v24, 7, v24
	v_cmp_gt_u32_e32 vcc, 8, v7
	v_cndmask_b32_e32 v7, v23, v25, vcc
	v_cndmask_b32_e32 v20, v20, v24, vcc
	v_lshlrev_b32_e32 v6, 24, v6
	v_bfrev_b32_e32 v23, 60
	v_lshlrev_b32_e32 v20, 20, v20
	v_and_b32_e32 v6, 0x80000000, v6
	v_lshl_add_u32 v7, v7, 23, v23
	v_or3_b32 v6, v6, v7, v20
	v_lshrrev_b32_e32 v20, 16, v6
.LBB891_637:
	s_or_b64 exec, exec, s[10:11]
.LBB891_638:
	s_or_b64 exec, exec, s[8:9]
.LBB891_639:
	s_or_b64 exec, exec, s[2:3]
	s_mov_b32 s2, 0x5040100
	v_perm_b32 v7, v17, v18, s2
	v_perm_b32 v6, v15, v16, s2
	ds_read_b128 v[24:27], v22 offset:4096
	v_perm_b32 v17, v20, v21, s2
	v_perm_b32 v16, v14, v19, s2
	s_waitcnt lgkmcnt(0)
	v_mfma_f32_16x16x16bf16_1k v[10:13], v[6:7], v[24:25], v[10:13]
	v_mov_b32_e32 v7, 0
	v_cmp_ne_u16_sdwa s[8:9], v8, v7 src0_sel:BYTE_0 src1_sel:DWORD
	v_mov_b32_e32 v14, 0
	v_mfma_f32_16x16x16bf16_1k v[10:13], v[16:17], v[26:27], v[10:13]
	s_and_saveexec_b64 s[2:3], s[8:9]
	s_cbranch_execz .LBB891_645
; %bb.640:
	s_movk_i32 s7, 0x80
	v_cmp_ne_u16_sdwa s[10:11], v8, s7 src0_sel:BYTE_0 src1_sel:DWORD
	v_mov_b32_e32 v14, 0xffff8000
	s_and_saveexec_b64 s[8:9], s[10:11]
	s_cbranch_execz .LBB891_644
; %bb.641:
	s_movk_i32 s7, 0x7f
	v_and_b32_e32 v6, 0x7f, v8
	v_cmp_ne_u32_e32 vcc, s7, v6
	v_mov_b32_e32 v14, 0x7f80
	s_and_saveexec_b64 s[10:11], vcc
	s_cbranch_execz .LBB891_643
; %bb.642:
	v_and_b32_e32 v16, 7, v8
	v_ffbh_u32_e32 v14, v16
	v_min_u32_e32 v18, 32, v14
	v_subrev_u32_e32 v14, 28, v18
	v_lshlrev_b64 v[14:15], v14, v[8:9]
	v_lshrrev_b32_e32 v17, 3, v6
	v_sub_u32_e32 v15, 29, v18
	v_and_b32_e32 v14, 7, v14
	v_cmp_gt_u32_e32 vcc, 8, v6
	v_cndmask_b32_e32 v6, v17, v15, vcc
	v_cndmask_b32_e32 v14, v16, v14, vcc
	v_lshlrev_b32_e32 v15, 24, v8
	v_bfrev_b32_e32 v16, 60
	v_lshlrev_b32_e32 v14, 20, v14
	v_and_b32_e32 v15, 0x80000000, v15
	v_lshl_add_u32 v6, v6, 23, v16
	v_or3_b32 v6, v15, v6, v14
	v_lshrrev_b32_e32 v14, 16, v6
.LBB891_643:
	s_or_b64 exec, exec, s[10:11]
.LBB891_644:
	s_or_b64 exec, exec, s[8:9]
.LBB891_645:
	s_or_b64 exec, exec, s[2:3]
	v_lshrrev_b16_e32 v6, 8, v8
	v_cmp_ne_u16_e32 vcc, 0, v6
	s_and_saveexec_b64 s[2:3], vcc
	s_cbranch_execz .LBB891_651
; %bb.646:
	s_movk_i32 s7, 0x80
	v_cmp_ne_u16_e32 vcc, s7, v6
	v_mov_b32_e32 v7, 0xffff8000
	s_and_saveexec_b64 s[8:9], vcc
	s_cbranch_execz .LBB891_650
; %bb.647:
	s_movk_i32 s7, 0x7f
	v_and_b32_e32 v15, 0x7f, v6
	v_cmp_ne_u32_e32 vcc, s7, v15
	v_mov_b32_e32 v7, 0x7f80
	s_and_saveexec_b64 s[10:11], vcc
	s_cbranch_execz .LBB891_649
; %bb.648:
	v_and_b32_e32 v16, 7, v6
	v_ffbh_u32_e32 v7, v16
	v_min_u32_e32 v18, 32, v7
	v_subrev_u32_e32 v7, 28, v18
	v_lshlrev_b64 v[6:7], v7, v[6:7]
	v_lshrrev_b32_e32 v17, 3, v15
	v_sub_u32_e32 v7, 29, v18
	v_and_b32_e32 v6, 7, v6
	v_cmp_gt_u32_e32 vcc, 8, v15
	v_cndmask_b32_e32 v7, v17, v7, vcc
	v_cndmask_b32_e32 v6, v16, v6, vcc
	v_lshlrev_b32_e32 v15, 16, v8
	v_bfrev_b32_e32 v16, 60
	v_lshlrev_b32_e32 v6, 20, v6
	v_and_b32_e32 v15, 0x80000000, v15
	v_lshl_add_u32 v7, v7, 23, v16
	v_or3_b32 v6, v15, v7, v6
	v_lshrrev_b32_e32 v7, 16, v6
.LBB891_649:
	s_or_b64 exec, exec, s[10:11]
.LBB891_650:
	s_or_b64 exec, exec, s[8:9]
.LBB891_651:
	s_or_b64 exec, exec, s[2:3]
	s_movk_i32 s2, 0xff
	v_and_b32_sdwa v17, v8, s2 dst_sel:DWORD dst_unused:UNUSED_PAD src0_sel:WORD_1 src1_sel:DWORD
	v_lshrrev_b32_e32 v6, 16, v8
	v_cmp_ne_u16_e32 vcc, 0, v17
	v_mov_b32_e32 v15, 0
	v_mov_b32_e32 v16, 0
	s_and_saveexec_b64 s[2:3], vcc
	s_cbranch_execz .LBB891_657
; %bb.652:
	s_movk_i32 s7, 0x80
	v_cmp_ne_u16_e32 vcc, s7, v17
	v_mov_b32_e32 v16, 0xffff8000
	s_and_saveexec_b64 s[8:9], vcc
	s_cbranch_execz .LBB891_656
; %bb.653:
	v_bfe_u32 v17, v8, 16, 7
	s_movk_i32 s7, 0x7f
	v_cmp_ne_u32_e32 vcc, s7, v17
	v_mov_b32_e32 v16, 0x7f80
	s_and_saveexec_b64 s[10:11], vcc
	s_cbranch_execz .LBB891_655
; %bb.654:
	v_and_b32_e32 v16, 7, v6
	v_ffbh_u32_e32 v18, v16
	v_min_u32_e32 v21, 32, v18
	v_subrev_u32_e32 v18, 28, v21
	v_lshlrev_b64 v[18:19], v18, v[6:7]
	v_lshrrev_b32_e32 v20, 3, v17
	v_sub_u32_e32 v6, 29, v21
	v_and_b32_e32 v18, 7, v18
	v_cmp_gt_u32_e32 vcc, 8, v17
	v_mov_b32_e32 v17, 24
	v_cndmask_b32_e32 v6, v20, v6, vcc
	v_cndmask_b32_e32 v16, v16, v18, vcc
	v_lshlrev_b32_sdwa v17, v17, v8 dst_sel:DWORD dst_unused:UNUSED_PAD src0_sel:DWORD src1_sel:WORD_1
	v_bfrev_b32_e32 v18, 60
	v_lshlrev_b32_e32 v16, 20, v16
	v_and_b32_e32 v17, 0x80000000, v17
	v_lshl_add_u32 v6, v6, 23, v18
	v_or3_b32 v6, v17, v6, v16
	v_lshrrev_b32_e32 v16, 16, v6
.LBB891_655:
	s_or_b64 exec, exec, s[10:11]
.LBB891_656:
	s_or_b64 exec, exec, s[8:9]
.LBB891_657:
	s_or_b64 exec, exec, s[2:3]
	s_mov_b32 s2, 0xffffff
	v_cmp_lt_u32_e32 vcc, s2, v8
	s_and_saveexec_b64 s[2:3], vcc
	s_cbranch_execz .LBB891_663
; %bb.658:
	v_lshrrev_b32_e32 v6, 24, v8
	s_movk_i32 s7, 0x80
	v_cmp_ne_u32_e32 vcc, s7, v6
	v_mov_b32_e32 v15, 0xffff8000
	s_and_saveexec_b64 s[8:9], vcc
	s_cbranch_execz .LBB891_662
; %bb.659:
	v_bfe_u32 v8, v8, 24, 7
	s_movk_i32 s7, 0x7f
	v_cmp_ne_u32_e32 vcc, s7, v8
	v_mov_b32_e32 v15, 0x7f80
	s_and_saveexec_b64 s[10:11], vcc
	s_cbranch_execz .LBB891_661
; %bb.660:
	v_and_b32_e32 v15, 7, v6
	v_ffbh_u32_e32 v18, v15
	v_min_u32_e32 v20, 32, v18
	v_subrev_u32_e32 v18, 28, v20
	v_lshlrev_b64 v[18:19], v18, v[6:7]
	v_lshrrev_b32_e32 v17, 3, v8
	v_sub_u32_e32 v19, 29, v20
	v_and_b32_e32 v18, 7, v18
	v_cmp_gt_u32_e32 vcc, 8, v8
	v_cndmask_b32_e32 v8, v17, v19, vcc
	v_cndmask_b32_e32 v15, v15, v18, vcc
	v_lshlrev_b32_e32 v6, 24, v6
	v_bfrev_b32_e32 v17, 60
	v_lshlrev_b32_e32 v15, 20, v15
	v_and_b32_e32 v6, 0x80000000, v6
	v_lshl_add_u32 v8, v8, 23, v17
	v_or3_b32 v6, v6, v8, v15
	v_lshrrev_b32_e32 v15, 16, v6
.LBB891_661:
	s_or_b64 exec, exec, s[10:11]
.LBB891_662:
	s_or_b64 exec, exec, s[8:9]
.LBB891_663:
	s_or_b64 exec, exec, s[2:3]
	v_mov_b32_e32 v8, 0
	v_cmp_ne_u16_sdwa s[8:9], v9, v8 src0_sel:BYTE_0 src1_sel:DWORD
	v_mov_b32_e32 v17, 0
	s_and_saveexec_b64 s[2:3], s[8:9]
	s_cbranch_execz .LBB891_669
; %bb.664:
	s_movk_i32 s7, 0x80
	v_cmp_ne_u16_sdwa s[10:11], v9, s7 src0_sel:BYTE_0 src1_sel:DWORD
	v_mov_b32_e32 v17, 0xffff8000
	s_and_saveexec_b64 s[8:9], s[10:11]
	s_cbranch_execz .LBB891_668
; %bb.665:
	s_movk_i32 s7, 0x7f
	v_and_b32_e32 v6, 0x7f, v9
	v_cmp_ne_u32_e32 vcc, s7, v6
	v_mov_b32_e32 v17, 0x7f80
	s_and_saveexec_b64 s[10:11], vcc
	s_cbranch_execz .LBB891_667
; %bb.666:
	v_and_b32_e32 v17, 7, v9
	v_ffbh_u32_e32 v19, v17
	v_min_u32_e32 v21, 32, v19
	v_mov_b32_e32 v18, v9
	v_subrev_u32_e32 v19, 28, v21
	v_lshlrev_b64 v[18:19], v19, v[18:19]
	v_lshrrev_b32_e32 v20, 3, v6
	v_sub_u32_e32 v19, 29, v21
	v_and_b32_e32 v18, 7, v18
	v_cmp_gt_u32_e32 vcc, 8, v6
	v_cndmask_b32_e32 v6, v20, v19, vcc
	v_cndmask_b32_e32 v17, v17, v18, vcc
	v_lshlrev_b32_e32 v18, 24, v9
	v_bfrev_b32_e32 v19, 60
	v_lshlrev_b32_e32 v17, 20, v17
	v_and_b32_e32 v18, 0x80000000, v18
	v_lshl_add_u32 v6, v6, 23, v19
	v_or3_b32 v6, v18, v6, v17
	v_lshrrev_b32_e32 v17, 16, v6
.LBB891_667:
	s_or_b64 exec, exec, s[10:11]
.LBB891_668:
	s_or_b64 exec, exec, s[8:9]
.LBB891_669:
	s_or_b64 exec, exec, s[2:3]
	v_lshrrev_b16_e32 v6, 8, v9
	v_cmp_ne_u16_e32 vcc, 0, v6
	s_and_saveexec_b64 s[2:3], vcc
	s_cbranch_execz .LBB891_675
; %bb.670:
	s_movk_i32 s7, 0x80
	v_cmp_ne_u16_e32 vcc, s7, v6
	v_mov_b32_e32 v8, 0xffff8000
	s_and_saveexec_b64 s[8:9], vcc
	s_cbranch_execz .LBB891_674
; %bb.671:
	s_movk_i32 s7, 0x7f
	v_and_b32_e32 v18, 0x7f, v6
	v_cmp_ne_u32_e32 vcc, s7, v18
	v_mov_b32_e32 v8, 0x7f80
	s_and_saveexec_b64 s[10:11], vcc
	s_cbranch_execz .LBB891_673
; %bb.672:
	v_and_b32_e32 v8, 7, v6
	v_ffbh_u32_e32 v20, v8
	v_min_u32_e32 v23, 32, v20
	v_subrev_u32_e32 v20, 28, v23
	v_lshlrev_b64 v[20:21], v20, v[6:7]
	v_lshrrev_b32_e32 v19, 3, v18
	v_sub_u32_e32 v6, 29, v23
	v_and_b32_e32 v20, 7, v20
	v_cmp_gt_u32_e32 vcc, 8, v18
	v_cndmask_b32_e32 v6, v19, v6, vcc
	v_cndmask_b32_e32 v8, v8, v20, vcc
	v_lshlrev_b32_e32 v18, 16, v9
	v_bfrev_b32_e32 v19, 60
	v_lshlrev_b32_e32 v8, 20, v8
	v_and_b32_e32 v18, 0x80000000, v18
	v_lshl_add_u32 v6, v6, 23, v19
	v_or3_b32 v6, v18, v6, v8
	v_lshrrev_b32_e32 v8, 16, v6
.LBB891_673:
	s_or_b64 exec, exec, s[10:11]
.LBB891_674:
	s_or_b64 exec, exec, s[8:9]
.LBB891_675:
	s_or_b64 exec, exec, s[2:3]
	s_movk_i32 s2, 0xff
	v_and_b32_sdwa v20, v9, s2 dst_sel:DWORD dst_unused:UNUSED_PAD src0_sel:WORD_1 src1_sel:DWORD
	v_lshrrev_b32_e32 v6, 16, v9
	v_cmp_ne_u16_e32 vcc, 0, v20
	v_mov_b32_e32 v18, 0
	v_mov_b32_e32 v19, 0
	s_and_saveexec_b64 s[2:3], vcc
	s_cbranch_execz .LBB891_681
; %bb.676:
	s_movk_i32 s7, 0x80
	v_cmp_ne_u16_e32 vcc, s7, v20
	v_mov_b32_e32 v19, 0xffff8000
	s_and_saveexec_b64 s[8:9], vcc
	s_cbranch_execz .LBB891_680
; %bb.677:
	v_bfe_u32 v20, v9, 16, 7
	s_movk_i32 s7, 0x7f
	v_cmp_ne_u32_e32 vcc, s7, v20
	v_mov_b32_e32 v19, 0x7f80
	s_and_saveexec_b64 s[10:11], vcc
	s_cbranch_execz .LBB891_679
; %bb.678:
	v_and_b32_e32 v19, 7, v6
	v_ffbh_u32_e32 v23, v19
	v_min_u32_e32 v23, 32, v23
	v_subrev_u32_e32 v24, 28, v23
	v_lshlrev_b64 v[24:25], v24, v[6:7]
	v_lshrrev_b32_e32 v21, 3, v20
	v_sub_u32_e32 v6, 29, v23
	v_and_b32_e32 v23, 7, v24
	v_cmp_gt_u32_e32 vcc, 8, v20
	v_mov_b32_e32 v20, 24
	v_cndmask_b32_e32 v6, v21, v6, vcc
	v_cndmask_b32_e32 v19, v19, v23, vcc
	v_lshlrev_b32_sdwa v20, v20, v9 dst_sel:DWORD dst_unused:UNUSED_PAD src0_sel:DWORD src1_sel:WORD_1
	v_bfrev_b32_e32 v21, 60
	v_lshlrev_b32_e32 v19, 20, v19
	v_and_b32_e32 v20, 0x80000000, v20
	v_lshl_add_u32 v6, v6, 23, v21
	v_or3_b32 v6, v20, v6, v19
	v_lshrrev_b32_e32 v19, 16, v6
.LBB891_679:
	s_or_b64 exec, exec, s[10:11]
.LBB891_680:
	s_or_b64 exec, exec, s[8:9]
.LBB891_681:
	s_or_b64 exec, exec, s[2:3]
	s_mov_b32 s2, 0xffffff
	v_cmp_lt_u32_e32 vcc, s2, v9
	s_and_saveexec_b64 s[2:3], vcc
	s_cbranch_execz .LBB891_687
; %bb.682:
	v_lshrrev_b32_e32 v6, 24, v9
	s_movk_i32 s7, 0x80
	v_cmp_ne_u32_e32 vcc, s7, v6
	v_mov_b32_e32 v18, 0xffff8000
	s_and_saveexec_b64 s[8:9], vcc
	s_cbranch_execz .LBB891_686
; %bb.683:
	v_bfe_u32 v9, v9, 24, 7
	s_movk_i32 s7, 0x7f
	v_cmp_ne_u32_e32 vcc, s7, v9
	v_mov_b32_e32 v18, 0x7f80
	s_and_saveexec_b64 s[10:11], vcc
	s_cbranch_execz .LBB891_685
; %bb.684:
	v_and_b32_e32 v18, 7, v6
	v_ffbh_u32_e32 v20, v18
	v_min_u32_e32 v24, 32, v20
	v_subrev_u32_e32 v20, 28, v24
	v_lshlrev_b64 v[20:21], v20, v[6:7]
	v_lshrrev_b32_e32 v23, 3, v9
	v_sub_u32_e32 v21, 29, v24
	v_and_b32_e32 v20, 7, v20
	v_cmp_gt_u32_e32 vcc, 8, v9
	v_cndmask_b32_e32 v9, v23, v21, vcc
	v_cndmask_b32_e32 v18, v18, v20, vcc
	v_lshlrev_b32_e32 v6, 24, v6
	v_bfrev_b32_e32 v20, 60
	v_lshlrev_b32_e32 v18, 20, v18
	v_and_b32_e32 v6, 0x80000000, v6
	v_lshl_add_u32 v9, v9, 23, v20
	v_or3_b32 v6, v6, v9, v18
	v_lshrrev_b32_e32 v18, 16, v6
.LBB891_685:
	s_or_b64 exec, exec, s[10:11]
.LBB891_686:
	s_or_b64 exec, exec, s[8:9]
.LBB891_687:
	s_or_b64 exec, exec, s[2:3]
	s_mov_b32 s2, 0x5040100
	v_perm_b32 v15, v15, v16, s2
	v_perm_b32 v14, v7, v14, s2
	ds_read_b128 v[24:27], v22 offset:4112
	v_perm_b32 v7, v18, v19, s2
	v_perm_b32 v6, v8, v17, s2
	s_waitcnt lgkmcnt(0)
	v_mfma_f32_16x16x16bf16_1k v[30:33], v[14:15], v[24:25], v[10:13]
	s_nop 6
	v_mov_b32_e32 v11, 0
	s_waitcnt vmcnt(0)
	v_cmp_ne_u16_sdwa s[8:9], v2, v11 src0_sel:BYTE_0 src1_sel:DWORD
	v_mfma_f32_16x16x16bf16_1k v[6:9], v[6:7], v[26:27], v[30:33]
	v_mov_b32_e32 v12, 0
	s_and_saveexec_b64 s[2:3], s[8:9]
	s_cbranch_execz .LBB891_693
; %bb.688:
	s_movk_i32 s7, 0x80
	v_cmp_ne_u16_sdwa s[10:11], v2, s7 src0_sel:BYTE_0 src1_sel:DWORD
	v_mov_b32_e32 v12, 0xffff8000
	s_and_saveexec_b64 s[8:9], s[10:11]
	s_cbranch_execz .LBB891_692
; %bb.689:
	s_movk_i32 s7, 0x7f
	v_and_b32_e32 v10, 0x7f, v2
	v_cmp_ne_u32_e32 vcc, s7, v10
	v_mov_b32_e32 v12, 0x7f80
	s_and_saveexec_b64 s[10:11], vcc
	s_cbranch_execz .LBB891_691
; %bb.690:
	v_and_b32_e32 v14, 7, v2
	v_ffbh_u32_e32 v12, v14
	v_min_u32_e32 v16, 32, v12
	v_subrev_u32_e32 v12, 28, v16
	v_lshlrev_b64 v[12:13], v12, v[2:3]
	v_lshrrev_b32_e32 v15, 3, v10
	v_sub_u32_e32 v13, 29, v16
	v_and_b32_e32 v12, 7, v12
	v_cmp_gt_u32_e32 vcc, 8, v10
	v_cndmask_b32_e32 v10, v15, v13, vcc
	v_cndmask_b32_e32 v12, v14, v12, vcc
	v_lshlrev_b32_e32 v13, 24, v2
	v_bfrev_b32_e32 v14, 60
	v_lshlrev_b32_e32 v12, 20, v12
	v_and_b32_e32 v13, 0x80000000, v13
	v_lshl_add_u32 v10, v10, 23, v14
	v_or3_b32 v10, v13, v10, v12
	v_lshrrev_b32_e32 v12, 16, v10
.LBB891_691:
	s_or_b64 exec, exec, s[10:11]
.LBB891_692:
	s_or_b64 exec, exec, s[8:9]
.LBB891_693:
	s_or_b64 exec, exec, s[2:3]
	v_lshrrev_b16_e32 v10, 8, v2
	v_cmp_ne_u16_e32 vcc, 0, v10
	s_and_saveexec_b64 s[2:3], vcc
	s_cbranch_execz .LBB891_699
; %bb.694:
	s_movk_i32 s7, 0x80
	v_cmp_ne_u16_e32 vcc, s7, v10
	v_mov_b32_e32 v11, 0xffff8000
	s_and_saveexec_b64 s[8:9], vcc
	s_cbranch_execz .LBB891_698
; %bb.695:
	s_movk_i32 s7, 0x7f
	v_and_b32_e32 v13, 0x7f, v10
	v_cmp_ne_u32_e32 vcc, s7, v13
	v_mov_b32_e32 v11, 0x7f80
	s_and_saveexec_b64 s[10:11], vcc
	s_cbranch_execz .LBB891_697
; %bb.696:
	v_and_b32_e32 v14, 7, v10
	v_ffbh_u32_e32 v11, v14
	v_min_u32_e32 v16, 32, v11
	v_subrev_u32_e32 v11, 28, v16
	v_lshlrev_b64 v[10:11], v11, v[10:11]
	v_lshrrev_b32_e32 v15, 3, v13
	v_sub_u32_e32 v11, 29, v16
	v_and_b32_e32 v10, 7, v10
	v_cmp_gt_u32_e32 vcc, 8, v13
	v_cndmask_b32_e32 v11, v15, v11, vcc
	v_cndmask_b32_e32 v10, v14, v10, vcc
	v_lshlrev_b32_e32 v13, 16, v2
	v_bfrev_b32_e32 v14, 60
	v_lshlrev_b32_e32 v10, 20, v10
	v_and_b32_e32 v13, 0x80000000, v13
	v_lshl_add_u32 v11, v11, 23, v14
	v_or3_b32 v10, v13, v11, v10
	v_lshrrev_b32_e32 v11, 16, v10
.LBB891_697:
	s_or_b64 exec, exec, s[10:11]
.LBB891_698:
	s_or_b64 exec, exec, s[8:9]
.LBB891_699:
	s_or_b64 exec, exec, s[2:3]
	s_movk_i32 s2, 0xff
	v_and_b32_sdwa v15, v2, s2 dst_sel:DWORD dst_unused:UNUSED_PAD src0_sel:WORD_1 src1_sel:DWORD
	v_lshrrev_b32_e32 v10, 16, v2
	v_cmp_ne_u16_e32 vcc, 0, v15
	v_mov_b32_e32 v13, 0
	v_mov_b32_e32 v14, 0
	s_and_saveexec_b64 s[2:3], vcc
	s_cbranch_execz .LBB891_705
; %bb.700:
	s_movk_i32 s7, 0x80
	v_cmp_ne_u16_e32 vcc, s7, v15
	v_mov_b32_e32 v14, 0xffff8000
	s_and_saveexec_b64 s[8:9], vcc
	s_cbranch_execz .LBB891_704
; %bb.701:
	v_bfe_u32 v15, v2, 16, 7
	s_movk_i32 s7, 0x7f
	v_cmp_ne_u32_e32 vcc, s7, v15
	v_mov_b32_e32 v14, 0x7f80
	s_and_saveexec_b64 s[10:11], vcc
	s_cbranch_execz .LBB891_703
; %bb.702:
	v_and_b32_e32 v14, 7, v10
	v_ffbh_u32_e32 v16, v14
	v_min_u32_e32 v19, 32, v16
	v_subrev_u32_e32 v16, 28, v19
	v_lshlrev_b64 v[16:17], v16, v[10:11]
	v_lshrrev_b32_e32 v18, 3, v15
	v_sub_u32_e32 v10, 29, v19
	v_and_b32_e32 v16, 7, v16
	v_cmp_gt_u32_e32 vcc, 8, v15
	v_mov_b32_e32 v15, 24
	v_cndmask_b32_e32 v10, v18, v10, vcc
	v_cndmask_b32_e32 v14, v14, v16, vcc
	v_lshlrev_b32_sdwa v15, v15, v2 dst_sel:DWORD dst_unused:UNUSED_PAD src0_sel:DWORD src1_sel:WORD_1
	v_bfrev_b32_e32 v16, 60
	v_lshlrev_b32_e32 v14, 20, v14
	v_and_b32_e32 v15, 0x80000000, v15
	v_lshl_add_u32 v10, v10, 23, v16
	v_or3_b32 v10, v15, v10, v14
	v_lshrrev_b32_e32 v14, 16, v10
.LBB891_703:
	s_or_b64 exec, exec, s[10:11]
.LBB891_704:
	s_or_b64 exec, exec, s[8:9]
.LBB891_705:
	s_or_b64 exec, exec, s[2:3]
	s_mov_b32 s2, 0xffffff
	v_cmp_lt_u32_e32 vcc, s2, v2
	s_and_saveexec_b64 s[2:3], vcc
	s_cbranch_execz .LBB891_711
; %bb.706:
	v_lshrrev_b32_e32 v10, 24, v2
	s_movk_i32 s7, 0x80
	v_cmp_ne_u32_e32 vcc, s7, v10
	v_mov_b32_e32 v13, 0xffff8000
	s_and_saveexec_b64 s[8:9], vcc
	s_cbranch_execz .LBB891_710
; %bb.707:
	v_bfe_u32 v2, v2, 24, 7
	s_movk_i32 s7, 0x7f
	v_cmp_ne_u32_e32 vcc, s7, v2
	v_mov_b32_e32 v13, 0x7f80
	s_and_saveexec_b64 s[10:11], vcc
	s_cbranch_execz .LBB891_709
; %bb.708:
	v_and_b32_e32 v13, 7, v10
	v_ffbh_u32_e32 v16, v13
	v_min_u32_e32 v18, 32, v16
	v_subrev_u32_e32 v16, 28, v18
	v_lshlrev_b64 v[16:17], v16, v[10:11]
	v_lshrrev_b32_e32 v15, 3, v2
	v_sub_u32_e32 v17, 29, v18
	v_and_b32_e32 v16, 7, v16
	v_cmp_gt_u32_e32 vcc, 8, v2
	v_cndmask_b32_e32 v2, v15, v17, vcc
	v_cndmask_b32_e32 v13, v13, v16, vcc
	v_lshlrev_b32_e32 v10, 24, v10
	v_bfrev_b32_e32 v15, 60
	v_lshlrev_b32_e32 v13, 20, v13
	v_and_b32_e32 v10, 0x80000000, v10
	v_lshl_add_u32 v2, v2, 23, v15
	v_or3_b32 v2, v10, v2, v13
	v_lshrrev_b32_e32 v13, 16, v2
.LBB891_709:
	s_or_b64 exec, exec, s[10:11]
.LBB891_710:
	s_or_b64 exec, exec, s[8:9]
.LBB891_711:
	s_or_b64 exec, exec, s[2:3]
	v_mov_b32_e32 v10, 0
	v_cmp_ne_u16_sdwa s[8:9], v3, v10 src0_sel:BYTE_0 src1_sel:DWORD
	v_mov_b32_e32 v15, 0
	s_and_saveexec_b64 s[2:3], s[8:9]
	s_cbranch_execz .LBB891_717
; %bb.712:
	s_movk_i32 s7, 0x80
	v_cmp_ne_u16_sdwa s[10:11], v3, s7 src0_sel:BYTE_0 src1_sel:DWORD
	v_mov_b32_e32 v15, 0xffff8000
	s_and_saveexec_b64 s[8:9], s[10:11]
	s_cbranch_execz .LBB891_716
; %bb.713:
	s_movk_i32 s7, 0x7f
	v_and_b32_e32 v2, 0x7f, v3
	v_cmp_ne_u32_e32 vcc, s7, v2
	v_mov_b32_e32 v15, 0x7f80
	s_and_saveexec_b64 s[10:11], vcc
	s_cbranch_execz .LBB891_715
; %bb.714:
	v_and_b32_e32 v15, 7, v3
	v_ffbh_u32_e32 v17, v15
	v_min_u32_e32 v19, 32, v17
	v_mov_b32_e32 v16, v3
	v_subrev_u32_e32 v17, 28, v19
	v_lshlrev_b64 v[16:17], v17, v[16:17]
	v_lshrrev_b32_e32 v18, 3, v2
	v_sub_u32_e32 v17, 29, v19
	v_and_b32_e32 v16, 7, v16
	v_cmp_gt_u32_e32 vcc, 8, v2
	v_cndmask_b32_e32 v2, v18, v17, vcc
	v_cndmask_b32_e32 v15, v15, v16, vcc
	v_lshlrev_b32_e32 v16, 24, v3
	v_bfrev_b32_e32 v17, 60
	v_lshlrev_b32_e32 v15, 20, v15
	v_and_b32_e32 v16, 0x80000000, v16
	v_lshl_add_u32 v2, v2, 23, v17
	v_or3_b32 v2, v16, v2, v15
	v_lshrrev_b32_e32 v15, 16, v2
.LBB891_715:
	s_or_b64 exec, exec, s[10:11]
.LBB891_716:
	s_or_b64 exec, exec, s[8:9]
.LBB891_717:
	s_or_b64 exec, exec, s[2:3]
	v_lshrrev_b16_e32 v2, 8, v3
	v_cmp_ne_u16_e32 vcc, 0, v2
	s_and_saveexec_b64 s[2:3], vcc
	s_cbranch_execz .LBB891_723
; %bb.718:
	s_movk_i32 s7, 0x80
	v_cmp_ne_u16_e32 vcc, s7, v2
	v_mov_b32_e32 v10, 0xffff8000
	s_and_saveexec_b64 s[8:9], vcc
	s_cbranch_execz .LBB891_722
; %bb.719:
	s_movk_i32 s7, 0x7f
	v_and_b32_e32 v16, 0x7f, v2
	v_cmp_ne_u32_e32 vcc, s7, v16
	v_mov_b32_e32 v10, 0x7f80
	s_and_saveexec_b64 s[10:11], vcc
	s_cbranch_execz .LBB891_721
; %bb.720:
	v_and_b32_e32 v10, 7, v2
	v_ffbh_u32_e32 v18, v10
	v_min_u32_e32 v20, 32, v18
	v_subrev_u32_e32 v18, 28, v20
	v_lshlrev_b64 v[18:19], v18, v[2:3]
	v_lshrrev_b32_e32 v17, 3, v16
	v_sub_u32_e32 v2, 29, v20
	v_and_b32_e32 v18, 7, v18
	v_cmp_gt_u32_e32 vcc, 8, v16
	v_cndmask_b32_e32 v2, v17, v2, vcc
	v_cndmask_b32_e32 v10, v10, v18, vcc
	v_lshlrev_b32_e32 v16, 16, v3
	v_bfrev_b32_e32 v17, 60
	v_lshlrev_b32_e32 v10, 20, v10
	v_and_b32_e32 v16, 0x80000000, v16
	v_lshl_add_u32 v2, v2, 23, v17
	v_or3_b32 v2, v16, v2, v10
	v_lshrrev_b32_e32 v10, 16, v2
.LBB891_721:
	s_or_b64 exec, exec, s[10:11]
.LBB891_722:
	s_or_b64 exec, exec, s[8:9]
.LBB891_723:
	s_or_b64 exec, exec, s[2:3]
	s_movk_i32 s2, 0xff
	v_and_b32_sdwa v18, v3, s2 dst_sel:DWORD dst_unused:UNUSED_PAD src0_sel:WORD_1 src1_sel:DWORD
	v_lshrrev_b32_e32 v2, 16, v3
	v_cmp_ne_u16_e32 vcc, 0, v18
	v_mov_b32_e32 v16, 0
	v_mov_b32_e32 v17, 0
	s_and_saveexec_b64 s[2:3], vcc
	s_cbranch_execz .LBB891_729
; %bb.724:
	s_movk_i32 s7, 0x80
	v_cmp_ne_u16_e32 vcc, s7, v18
	v_mov_b32_e32 v17, 0xffff8000
	s_and_saveexec_b64 s[8:9], vcc
	s_cbranch_execz .LBB891_728
; %bb.725:
	v_bfe_u32 v18, v3, 16, 7
	s_movk_i32 s7, 0x7f
	v_cmp_ne_u32_e32 vcc, s7, v18
	v_mov_b32_e32 v17, 0x7f80
	s_and_saveexec_b64 s[10:11], vcc
	s_cbranch_execz .LBB891_727
; %bb.726:
	v_and_b32_e32 v17, 7, v2
	v_ffbh_u32_e32 v20, v17
	v_min_u32_e32 v23, 32, v20
	v_subrev_u32_e32 v20, 28, v23
	v_lshlrev_b64 v[20:21], v20, v[2:3]
	v_lshrrev_b32_e32 v19, 3, v18
	v_sub_u32_e32 v2, 29, v23
	v_and_b32_e32 v20, 7, v20
	v_cmp_gt_u32_e32 vcc, 8, v18
	v_mov_b32_e32 v18, 24
	v_cndmask_b32_e32 v2, v19, v2, vcc
	v_cndmask_b32_e32 v17, v17, v20, vcc
	v_lshlrev_b32_sdwa v18, v18, v3 dst_sel:DWORD dst_unused:UNUSED_PAD src0_sel:DWORD src1_sel:WORD_1
	v_bfrev_b32_e32 v19, 60
	v_lshlrev_b32_e32 v17, 20, v17
	v_and_b32_e32 v18, 0x80000000, v18
	v_lshl_add_u32 v2, v2, 23, v19
	v_or3_b32 v2, v18, v2, v17
	v_lshrrev_b32_e32 v17, 16, v2
.LBB891_727:
	s_or_b64 exec, exec, s[10:11]
.LBB891_728:
	s_or_b64 exec, exec, s[8:9]
.LBB891_729:
	s_or_b64 exec, exec, s[2:3]
	s_mov_b32 s2, 0xffffff
	v_cmp_lt_u32_e32 vcc, s2, v3
	s_and_saveexec_b64 s[2:3], vcc
	s_cbranch_execz .LBB891_735
; %bb.730:
	v_lshrrev_b32_e32 v2, 24, v3
	s_movk_i32 s7, 0x80
	v_cmp_ne_u32_e32 vcc, s7, v2
	v_mov_b32_e32 v16, 0xffff8000
	s_and_saveexec_b64 s[8:9], vcc
	s_cbranch_execz .LBB891_734
; %bb.731:
	v_bfe_u32 v3, v3, 24, 7
	s_movk_i32 s7, 0x7f
	v_cmp_ne_u32_e32 vcc, s7, v3
	v_mov_b32_e32 v16, 0x7f80
	s_and_saveexec_b64 s[10:11], vcc
	s_cbranch_execz .LBB891_733
; %bb.732:
	v_and_b32_e32 v16, 7, v2
	v_ffbh_u32_e32 v18, v16
	v_min_u32_e32 v21, 32, v18
	v_subrev_u32_e32 v18, 28, v21
	v_lshlrev_b64 v[18:19], v18, v[2:3]
	v_lshrrev_b32_e32 v20, 3, v3
	v_sub_u32_e32 v19, 29, v21
	v_and_b32_e32 v18, 7, v18
	v_cmp_gt_u32_e32 vcc, 8, v3
	v_cndmask_b32_e32 v3, v20, v19, vcc
	v_cndmask_b32_e32 v16, v16, v18, vcc
	v_lshlrev_b32_e32 v2, 24, v2
	v_bfrev_b32_e32 v18, 60
	v_lshlrev_b32_e32 v16, 20, v16
	v_and_b32_e32 v2, 0x80000000, v2
	v_lshl_add_u32 v3, v3, 23, v18
	v_or3_b32 v2, v2, v3, v16
	v_lshrrev_b32_e32 v16, 16, v2
.LBB891_733:
	s_or_b64 exec, exec, s[10:11]
.LBB891_734:
	s_or_b64 exec, exec, s[8:9]
.LBB891_735:
	s_or_b64 exec, exec, s[2:3]
	s_mov_b32 s2, 0x5040100
	v_perm_b32 v3, v13, v14, s2
	v_perm_b32 v2, v11, v12, s2
	ds_read_b128 v[18:21], v22 offset:6144
	v_perm_b32 v13, v16, v17, s2
	v_perm_b32 v12, v10, v15, s2
	s_waitcnt lgkmcnt(0)
	v_mfma_f32_16x16x16bf16_1k v[6:9], v[2:3], v[18:19], v[6:9]
	v_mov_b32_e32 v3, 0
	v_cmp_ne_u16_sdwa s[8:9], v4, v3 src0_sel:BYTE_0 src1_sel:DWORD
	v_mov_b32_e32 v10, 0
	v_mfma_f32_16x16x16bf16_1k v[6:9], v[12:13], v[20:21], v[6:9]
	s_and_saveexec_b64 s[2:3], s[8:9]
	s_cbranch_execz .LBB891_741
; %bb.736:
	s_movk_i32 s7, 0x80
	v_cmp_ne_u16_sdwa s[10:11], v4, s7 src0_sel:BYTE_0 src1_sel:DWORD
	v_mov_b32_e32 v10, 0xffff8000
	s_and_saveexec_b64 s[8:9], s[10:11]
	s_cbranch_execz .LBB891_740
; %bb.737:
	s_movk_i32 s7, 0x7f
	v_and_b32_e32 v2, 0x7f, v4
	v_cmp_ne_u32_e32 vcc, s7, v2
	v_mov_b32_e32 v10, 0x7f80
	s_and_saveexec_b64 s[10:11], vcc
	s_cbranch_execz .LBB891_739
; %bb.738:
	v_and_b32_e32 v12, 7, v4
	v_ffbh_u32_e32 v10, v12
	v_min_u32_e32 v14, 32, v10
	v_subrev_u32_e32 v10, 28, v14
	v_lshlrev_b64 v[10:11], v10, v[4:5]
	v_lshrrev_b32_e32 v13, 3, v2
	v_sub_u32_e32 v11, 29, v14
	v_and_b32_e32 v10, 7, v10
	v_cmp_gt_u32_e32 vcc, 8, v2
	v_cndmask_b32_e32 v2, v13, v11, vcc
	v_cndmask_b32_e32 v10, v12, v10, vcc
	v_lshlrev_b32_e32 v11, 24, v4
	v_bfrev_b32_e32 v12, 60
	v_lshlrev_b32_e32 v10, 20, v10
	v_and_b32_e32 v11, 0x80000000, v11
	v_lshl_add_u32 v2, v2, 23, v12
	v_or3_b32 v2, v11, v2, v10
	v_lshrrev_b32_e32 v10, 16, v2
.LBB891_739:
	s_or_b64 exec, exec, s[10:11]
.LBB891_740:
	s_or_b64 exec, exec, s[8:9]
.LBB891_741:
	s_or_b64 exec, exec, s[2:3]
	v_lshrrev_b16_e32 v2, 8, v4
	v_cmp_ne_u16_e32 vcc, 0, v2
	s_and_saveexec_b64 s[2:3], vcc
	s_cbranch_execz .LBB891_747
; %bb.742:
	s_movk_i32 s7, 0x80
	v_cmp_ne_u16_e32 vcc, s7, v2
	v_mov_b32_e32 v3, 0xffff8000
	s_and_saveexec_b64 s[8:9], vcc
	s_cbranch_execz .LBB891_746
; %bb.743:
	s_movk_i32 s7, 0x7f
	v_and_b32_e32 v11, 0x7f, v2
	v_cmp_ne_u32_e32 vcc, s7, v11
	v_mov_b32_e32 v3, 0x7f80
	s_and_saveexec_b64 s[10:11], vcc
	s_cbranch_execz .LBB891_745
; %bb.744:
	v_and_b32_e32 v12, 7, v2
	v_ffbh_u32_e32 v3, v12
	v_min_u32_e32 v14, 32, v3
	v_subrev_u32_e32 v3, 28, v14
	v_lshlrev_b64 v[2:3], v3, v[2:3]
	v_lshrrev_b32_e32 v13, 3, v11
	v_sub_u32_e32 v3, 29, v14
	v_and_b32_e32 v2, 7, v2
	v_cmp_gt_u32_e32 vcc, 8, v11
	v_cndmask_b32_e32 v3, v13, v3, vcc
	v_cndmask_b32_e32 v2, v12, v2, vcc
	v_lshlrev_b32_e32 v11, 16, v4
	v_bfrev_b32_e32 v12, 60
	v_lshlrev_b32_e32 v2, 20, v2
	v_and_b32_e32 v11, 0x80000000, v11
	v_lshl_add_u32 v3, v3, 23, v12
	v_or3_b32 v2, v11, v3, v2
	v_lshrrev_b32_e32 v3, 16, v2
.LBB891_745:
	s_or_b64 exec, exec, s[10:11]
.LBB891_746:
	s_or_b64 exec, exec, s[8:9]
.LBB891_747:
	s_or_b64 exec, exec, s[2:3]
	s_movk_i32 s2, 0xff
	v_and_b32_sdwa v13, v4, s2 dst_sel:DWORD dst_unused:UNUSED_PAD src0_sel:WORD_1 src1_sel:DWORD
	v_lshrrev_b32_e32 v2, 16, v4
	v_cmp_ne_u16_e32 vcc, 0, v13
	v_mov_b32_e32 v11, 0
	v_mov_b32_e32 v12, 0
	s_and_saveexec_b64 s[2:3], vcc
	s_cbranch_execz .LBB891_753
; %bb.748:
	s_movk_i32 s7, 0x80
	v_cmp_ne_u16_e32 vcc, s7, v13
	v_mov_b32_e32 v12, 0xffff8000
	s_and_saveexec_b64 s[8:9], vcc
	s_cbranch_execz .LBB891_752
; %bb.749:
	v_bfe_u32 v13, v4, 16, 7
	s_movk_i32 s7, 0x7f
	v_cmp_ne_u32_e32 vcc, s7, v13
	v_mov_b32_e32 v12, 0x7f80
	s_and_saveexec_b64 s[10:11], vcc
	s_cbranch_execz .LBB891_751
; %bb.750:
	v_and_b32_e32 v12, 7, v2
	v_ffbh_u32_e32 v14, v12
	v_min_u32_e32 v17, 32, v14
	v_subrev_u32_e32 v14, 28, v17
	v_lshlrev_b64 v[14:15], v14, v[2:3]
	v_lshrrev_b32_e32 v16, 3, v13
	v_sub_u32_e32 v2, 29, v17
	v_and_b32_e32 v14, 7, v14
	v_cmp_gt_u32_e32 vcc, 8, v13
	v_mov_b32_e32 v13, 24
	v_cndmask_b32_e32 v2, v16, v2, vcc
	v_cndmask_b32_e32 v12, v12, v14, vcc
	v_lshlrev_b32_sdwa v13, v13, v4 dst_sel:DWORD dst_unused:UNUSED_PAD src0_sel:DWORD src1_sel:WORD_1
	v_bfrev_b32_e32 v14, 60
	v_lshlrev_b32_e32 v12, 20, v12
	v_and_b32_e32 v13, 0x80000000, v13
	v_lshl_add_u32 v2, v2, 23, v14
	v_or3_b32 v2, v13, v2, v12
	v_lshrrev_b32_e32 v12, 16, v2
.LBB891_751:
	s_or_b64 exec, exec, s[10:11]
.LBB891_752:
	s_or_b64 exec, exec, s[8:9]
.LBB891_753:
	s_or_b64 exec, exec, s[2:3]
	s_mov_b32 s2, 0xffffff
	v_cmp_lt_u32_e32 vcc, s2, v4
	s_and_saveexec_b64 s[2:3], vcc
	s_cbranch_execz .LBB891_759
; %bb.754:
	v_lshrrev_b32_e32 v2, 24, v4
	s_movk_i32 s7, 0x80
	v_cmp_ne_u32_e32 vcc, s7, v2
	v_mov_b32_e32 v11, 0xffff8000
	s_and_saveexec_b64 s[8:9], vcc
	s_cbranch_execz .LBB891_758
; %bb.755:
	v_bfe_u32 v4, v4, 24, 7
	s_movk_i32 s7, 0x7f
	v_cmp_ne_u32_e32 vcc, s7, v4
	v_mov_b32_e32 v11, 0x7f80
	s_and_saveexec_b64 s[10:11], vcc
	s_cbranch_execz .LBB891_757
; %bb.756:
	v_and_b32_e32 v11, 7, v2
	v_ffbh_u32_e32 v14, v11
	v_min_u32_e32 v16, 32, v14
	v_subrev_u32_e32 v14, 28, v16
	v_lshlrev_b64 v[14:15], v14, v[2:3]
	v_lshrrev_b32_e32 v13, 3, v4
	v_sub_u32_e32 v15, 29, v16
	v_and_b32_e32 v14, 7, v14
	v_cmp_gt_u32_e32 vcc, 8, v4
	v_cndmask_b32_e32 v4, v13, v15, vcc
	v_cndmask_b32_e32 v11, v11, v14, vcc
	v_lshlrev_b32_e32 v2, 24, v2
	v_bfrev_b32_e32 v13, 60
	v_lshlrev_b32_e32 v11, 20, v11
	v_and_b32_e32 v2, 0x80000000, v2
	v_lshl_add_u32 v4, v4, 23, v13
	v_or3_b32 v2, v2, v4, v11
	v_lshrrev_b32_e32 v11, 16, v2
.LBB891_757:
	s_or_b64 exec, exec, s[10:11]
.LBB891_758:
	s_or_b64 exec, exec, s[8:9]
.LBB891_759:
	s_or_b64 exec, exec, s[2:3]
	v_mov_b32_e32 v4, 0
	v_cmp_ne_u16_sdwa s[8:9], v5, v4 src0_sel:BYTE_0 src1_sel:DWORD
	v_mov_b32_e32 v13, 0
	s_and_saveexec_b64 s[2:3], s[8:9]
	s_cbranch_execz .LBB891_765
; %bb.760:
	s_movk_i32 s7, 0x80
	v_cmp_ne_u16_sdwa s[10:11], v5, s7 src0_sel:BYTE_0 src1_sel:DWORD
	v_mov_b32_e32 v13, 0xffff8000
	s_and_saveexec_b64 s[8:9], s[10:11]
	s_cbranch_execz .LBB891_764
; %bb.761:
	s_movk_i32 s7, 0x7f
	v_and_b32_e32 v2, 0x7f, v5
	v_cmp_ne_u32_e32 vcc, s7, v2
	v_mov_b32_e32 v13, 0x7f80
	s_and_saveexec_b64 s[10:11], vcc
	s_cbranch_execz .LBB891_763
; %bb.762:
	v_and_b32_e32 v13, 7, v5
	v_ffbh_u32_e32 v15, v13
	v_min_u32_e32 v17, 32, v15
	v_mov_b32_e32 v14, v5
	v_subrev_u32_e32 v15, 28, v17
	v_lshlrev_b64 v[14:15], v15, v[14:15]
	v_lshrrev_b32_e32 v16, 3, v2
	v_sub_u32_e32 v15, 29, v17
	v_and_b32_e32 v14, 7, v14
	v_cmp_gt_u32_e32 vcc, 8, v2
	v_cndmask_b32_e32 v2, v16, v15, vcc
	v_cndmask_b32_e32 v13, v13, v14, vcc
	v_lshlrev_b32_e32 v14, 24, v5
	v_bfrev_b32_e32 v15, 60
	v_lshlrev_b32_e32 v13, 20, v13
	v_and_b32_e32 v14, 0x80000000, v14
	v_lshl_add_u32 v2, v2, 23, v15
	v_or3_b32 v2, v14, v2, v13
	v_lshrrev_b32_e32 v13, 16, v2
.LBB891_763:
	s_or_b64 exec, exec, s[10:11]
.LBB891_764:
	s_or_b64 exec, exec, s[8:9]
.LBB891_765:
	s_or_b64 exec, exec, s[2:3]
	v_lshrrev_b16_e32 v2, 8, v5
	v_cmp_ne_u16_e32 vcc, 0, v2
	s_and_saveexec_b64 s[2:3], vcc
	s_cbranch_execz .LBB891_771
; %bb.766:
	s_movk_i32 s7, 0x80
	v_cmp_ne_u16_e32 vcc, s7, v2
	v_mov_b32_e32 v4, 0xffff8000
	s_and_saveexec_b64 s[8:9], vcc
	s_cbranch_execz .LBB891_770
; %bb.767:
	s_movk_i32 s7, 0x7f
	v_and_b32_e32 v14, 0x7f, v2
	v_cmp_ne_u32_e32 vcc, s7, v14
	v_mov_b32_e32 v4, 0x7f80
	s_and_saveexec_b64 s[10:11], vcc
	s_cbranch_execz .LBB891_769
; %bb.768:
	v_and_b32_e32 v4, 7, v2
	v_ffbh_u32_e32 v16, v4
	v_min_u32_e32 v18, 32, v16
	v_subrev_u32_e32 v16, 28, v18
	v_lshlrev_b64 v[16:17], v16, v[2:3]
	v_lshrrev_b32_e32 v15, 3, v14
	v_sub_u32_e32 v2, 29, v18
	v_and_b32_e32 v16, 7, v16
	v_cmp_gt_u32_e32 vcc, 8, v14
	v_cndmask_b32_e32 v2, v15, v2, vcc
	v_cndmask_b32_e32 v4, v4, v16, vcc
	v_lshlrev_b32_e32 v14, 16, v5
	v_bfrev_b32_e32 v15, 60
	v_lshlrev_b32_e32 v4, 20, v4
	v_and_b32_e32 v14, 0x80000000, v14
	v_lshl_add_u32 v2, v2, 23, v15
	v_or3_b32 v2, v14, v2, v4
	v_lshrrev_b32_e32 v4, 16, v2
.LBB891_769:
	s_or_b64 exec, exec, s[10:11]
.LBB891_770:
	s_or_b64 exec, exec, s[8:9]
.LBB891_771:
	s_or_b64 exec, exec, s[2:3]
	s_movk_i32 s2, 0xff
	v_and_b32_sdwa v16, v5, s2 dst_sel:DWORD dst_unused:UNUSED_PAD src0_sel:WORD_1 src1_sel:DWORD
	v_lshrrev_b32_e32 v2, 16, v5
	v_cmp_ne_u16_e32 vcc, 0, v16
	v_mov_b32_e32 v14, 0
	v_mov_b32_e32 v15, 0
	s_and_saveexec_b64 s[2:3], vcc
	s_cbranch_execz .LBB891_777
; %bb.772:
	s_movk_i32 s7, 0x80
	v_cmp_ne_u16_e32 vcc, s7, v16
	v_mov_b32_e32 v15, 0xffff8000
	s_and_saveexec_b64 s[8:9], vcc
	s_cbranch_execz .LBB891_776
; %bb.773:
	v_bfe_u32 v16, v5, 16, 7
	s_movk_i32 s7, 0x7f
	v_cmp_ne_u32_e32 vcc, s7, v16
	v_mov_b32_e32 v15, 0x7f80
	s_and_saveexec_b64 s[10:11], vcc
	s_cbranch_execz .LBB891_775
; %bb.774:
	v_and_b32_e32 v15, 7, v2
	v_ffbh_u32_e32 v18, v15
	v_min_u32_e32 v20, 32, v18
	v_subrev_u32_e32 v18, 28, v20
	v_lshlrev_b64 v[18:19], v18, v[2:3]
	v_lshrrev_b32_e32 v17, 3, v16
	v_sub_u32_e32 v2, 29, v20
	v_and_b32_e32 v18, 7, v18
	v_cmp_gt_u32_e32 vcc, 8, v16
	v_mov_b32_e32 v16, 24
	v_cndmask_b32_e32 v2, v17, v2, vcc
	v_cndmask_b32_e32 v15, v15, v18, vcc
	v_lshlrev_b32_sdwa v16, v16, v5 dst_sel:DWORD dst_unused:UNUSED_PAD src0_sel:DWORD src1_sel:WORD_1
	v_bfrev_b32_e32 v17, 60
	v_lshlrev_b32_e32 v15, 20, v15
	v_and_b32_e32 v16, 0x80000000, v16
	v_lshl_add_u32 v2, v2, 23, v17
	v_or3_b32 v2, v16, v2, v15
	v_lshrrev_b32_e32 v15, 16, v2
.LBB891_775:
	s_or_b64 exec, exec, s[10:11]
.LBB891_776:
	s_or_b64 exec, exec, s[8:9]
.LBB891_777:
	s_or_b64 exec, exec, s[2:3]
	s_mov_b32 s2, 0xffffff
	v_cmp_lt_u32_e32 vcc, s2, v5
	s_and_saveexec_b64 s[2:3], vcc
	s_cbranch_execz .LBB891_783
; %bb.778:
	v_lshrrev_b32_e32 v2, 24, v5
	s_movk_i32 s7, 0x80
	v_cmp_ne_u32_e32 vcc, s7, v2
	v_mov_b32_e32 v14, 0xffff8000
	s_and_saveexec_b64 s[8:9], vcc
	s_cbranch_execz .LBB891_782
; %bb.779:
	v_bfe_u32 v5, v5, 24, 7
	s_movk_i32 s7, 0x7f
	v_cmp_ne_u32_e32 vcc, s7, v5
	v_mov_b32_e32 v14, 0x7f80
	s_and_saveexec_b64 s[10:11], vcc
	s_cbranch_execz .LBB891_781
; %bb.780:
	v_and_b32_e32 v14, 7, v2
	v_ffbh_u32_e32 v16, v14
	v_min_u32_e32 v19, 32, v16
	v_subrev_u32_e32 v16, 28, v19
	v_lshlrev_b64 v[16:17], v16, v[2:3]
	v_lshrrev_b32_e32 v18, 3, v5
	v_sub_u32_e32 v17, 29, v19
	v_and_b32_e32 v16, 7, v16
	v_cmp_gt_u32_e32 vcc, 8, v5
	v_cndmask_b32_e32 v5, v18, v17, vcc
	v_cndmask_b32_e32 v14, v14, v16, vcc
	v_lshlrev_b32_e32 v2, 24, v2
	v_bfrev_b32_e32 v16, 60
	v_lshlrev_b32_e32 v14, 20, v14
	v_and_b32_e32 v2, 0x80000000, v2
	v_lshl_add_u32 v5, v5, 23, v16
	v_or3_b32 v2, v2, v5, v14
	v_lshrrev_b32_e32 v14, 16, v2
.LBB891_781:
	s_or_b64 exec, exec, s[10:11]
.LBB891_782:
	s_or_b64 exec, exec, s[8:9]
.LBB891_783:
	s_or_b64 exec, exec, s[2:3]
	s_mov_b32 s3, 0x5040100
	v_perm_b32 v11, v11, v12, s3
	ds_read_b128 v[16:19], v22 offset:6160
	v_perm_b32 v10, v3, v10, s3
	v_perm_b32 v3, v14, v15, s3
	;; [unrolled: 1-line block ×3, first 2 shown]
	s_waitcnt lgkmcnt(0)
	v_mfma_f32_16x16x16bf16_1k v[6:9], v[10:11], v[16:17], v[6:9]
	s_load_dword s2, s[42:43], 0x0
	s_mov_b32 s3, 0x7060302
	s_movk_i32 s7, 0x7fff
	v_cmp_gt_u32_e32 vcc, 64, v0
	s_and_b64 s[0:1], vcc, s[0:1]
	s_waitcnt lgkmcnt(0)
	s_barrier
	v_mfma_f32_16x16x16bf16_1k v[2:5], v[2:3], v[18:19], v[6:9]
	s_nop 7
	s_nop 2
	v_pk_mul_f32 v[4:5], v[4:5], s[2:3] op_sel_hi:[1,0]
	v_pk_mul_f32 v[2:3], v[2:3], s[2:3] op_sel_hi:[1,0]
	v_bfe_u32 v6, v3, 16, 1
	v_bfe_u32 v7, v2, 16, 1
	;; [unrolled: 1-line block ×4, first 2 shown]
	v_add3_u32 v2, v2, v7, s7
	v_add3_u32 v3, v3, v6, s7
	;; [unrolled: 1-line block ×4, first 2 shown]
	v_perm_b32 v2, v3, v2, s3
	v_perm_b32 v3, v5, v4, s3
	ds_write_b64 v28, v[2:3]
	s_waitcnt lgkmcnt(0)
	s_barrier
	s_and_saveexec_b64 s[2:3], s[0:1]
	s_cbranch_execz .LBB891_786
; %bb.784:
	s_load_dwordx2 s[2:3], s[4:5], 0x68
	s_lshl_b32 s0, s44, 6
	s_mul_i32 s1, s12, s6
	s_mul_hi_u32 s7, s1, s0
	s_mul_i32 s6, s1, s0
	s_lshl_b64 s[6:7], s[6:7], 1
	s_waitcnt lgkmcnt(0)
	s_add_u32 s1, s2, s6
	v_lshlrev_b32_e32 v0, 10, v0
	s_mov_b32 s5, 0
	s_addc_u32 s6, s3, s7
	s_lshl_b32 s4, s24, 6
	v_and_b32_e32 v0, 0x1800, v0
	v_lshlrev_b32_e32 v2, 5, v1
	v_and_b32_e32 v3, 16, v47
	s_lshl_b64 s[2:3], s[4:5], 1
	v_or3_b32 v0, v0, v2, v3
	s_add_u32 s1, s1, s2
	ds_read_b128 v[6:9], v0 offset:256
	v_or_b32_e32 v2, 12, v1
	s_addc_u32 s2, s6, s3
	ds_read_b128 v[10:13], v0 offset:128
	ds_read_b128 v[14:17], v0
	v_add_u32_e32 v1, s25, v1
	v_mov_b32_e32 v4, s2
	v_add_co_u32_e32 v3, vcc, s1, v46
	v_mad_u64_u32 v[18:19], s[2:3], v1, s0, 0
	v_addc_co_u32_e32 v4, vcc, 0, v4, vcc
	v_lshlrev_b64 v[18:19], 1, v[18:19]
	v_add_co_u32_e32 v18, vcc, v3, v18
	v_addc_co_u32_e32 v19, vcc, v4, v19, vcc
	v_add_u32_e32 v5, 4, v1
	s_waitcnt lgkmcnt(0)
	global_store_dwordx4 v[18:19], v[14:17], off
	v_add_u32_e32 v1, 8, v1
	v_mad_u64_u32 v[14:15], s[2:3], v5, s0, 0
	v_lshlrev_b64 v[14:15], 1, v[14:15]
	v_add_co_u32_e32 v14, vcc, v3, v14
	v_addc_co_u32_e32 v15, vcc, v4, v15, vcc
	global_store_dwordx4 v[14:15], v[10:13], off
	s_nop 0
	v_mad_u64_u32 v[10:11], s[2:3], v1, s0, 0
	v_lshlrev_b64 v[10:11], 1, v[10:11]
	v_add_co_u32_e32 v10, vcc, v3, v10
	v_addc_co_u32_e32 v11, vcc, v4, v11, vcc
	v_cmp_gt_u32_e32 vcc, 14, v2
	global_store_dwordx4 v[10:11], v[6:9], off
	s_and_b64 exec, exec, vcc
	s_cbranch_execz .LBB891_786
; %bb.785:
	ds_read_b128 v[6:9], v0 offset:384
	v_add_u32_e32 v0, s25, v2
	v_mad_u64_u32 v[0:1], s[0:1], v0, s0, 0
	v_lshlrev_b64 v[0:1], 1, v[0:1]
	v_add_co_u32_e32 v0, vcc, v3, v0
	v_addc_co_u32_e32 v1, vcc, v4, v1, vcc
	s_waitcnt lgkmcnt(0)
	global_store_dwordx4 v[0:1], v[6:9], off
.LBB891_786:
	s_endpgm
	.section	.rodata,"a",@progbits
	.p2align	6, 0x0
	.amdhsa_kernel _Z39paged_attention_ll4mi_QKV_mfma16_kernelI14__hip_bfloat16hLN4vllm18Fp8KVCacheDataTypeE1ES0_Li32ELi64ELi256ELb0ELi14EL8MFMAType0EEvPKT_PKT0_S9_ifPKiSB_SB_iPKfiiiPfSE_PS4_PT2_iSD_SD_
		.amdhsa_group_segment_fixed_size 8192
		.amdhsa_private_segment_fixed_size 0
		.amdhsa_kernarg_size 400
		.amdhsa_user_sgpr_count 6
		.amdhsa_user_sgpr_private_segment_buffer 1
		.amdhsa_user_sgpr_dispatch_ptr 0
		.amdhsa_user_sgpr_queue_ptr 0
		.amdhsa_user_sgpr_kernarg_segment_ptr 1
		.amdhsa_user_sgpr_dispatch_id 0
		.amdhsa_user_sgpr_flat_scratch_init 0
		.amdhsa_user_sgpr_kernarg_preload_length 0
		.amdhsa_user_sgpr_kernarg_preload_offset 0
		.amdhsa_user_sgpr_private_segment_size 0
		.amdhsa_uses_dynamic_stack 0
		.amdhsa_system_sgpr_private_segment_wavefront_offset 0
		.amdhsa_system_sgpr_workgroup_id_x 1
		.amdhsa_system_sgpr_workgroup_id_y 1
		.amdhsa_system_sgpr_workgroup_id_z 1
		.amdhsa_system_sgpr_workgroup_info 0
		.amdhsa_system_vgpr_workitem_id 0
		.amdhsa_next_free_vgpr 62
		.amdhsa_next_free_sgpr 47
		.amdhsa_accum_offset 64
		.amdhsa_reserve_vcc 1
		.amdhsa_reserve_flat_scratch 0
		.amdhsa_float_round_mode_32 0
		.amdhsa_float_round_mode_16_64 0
		.amdhsa_float_denorm_mode_32 3
		.amdhsa_float_denorm_mode_16_64 3
		.amdhsa_dx10_clamp 1
		.amdhsa_ieee_mode 1
		.amdhsa_fp16_overflow 0
		.amdhsa_tg_split 0
		.amdhsa_exception_fp_ieee_invalid_op 0
		.amdhsa_exception_fp_denorm_src 0
		.amdhsa_exception_fp_ieee_div_zero 0
		.amdhsa_exception_fp_ieee_overflow 0
		.amdhsa_exception_fp_ieee_underflow 0
		.amdhsa_exception_fp_ieee_inexact 0
		.amdhsa_exception_int_div_zero 0
	.end_amdhsa_kernel
	.section	.text._Z39paged_attention_ll4mi_QKV_mfma16_kernelI14__hip_bfloat16hLN4vllm18Fp8KVCacheDataTypeE1ES0_Li32ELi64ELi256ELb0ELi14EL8MFMAType0EEvPKT_PKT0_S9_ifPKiSB_SB_iPKfiiiPfSE_PS4_PT2_iSD_SD_,"axG",@progbits,_Z39paged_attention_ll4mi_QKV_mfma16_kernelI14__hip_bfloat16hLN4vllm18Fp8KVCacheDataTypeE1ES0_Li32ELi64ELi256ELb0ELi14EL8MFMAType0EEvPKT_PKT0_S9_ifPKiSB_SB_iPKfiiiPfSE_PS4_PT2_iSD_SD_,comdat
.Lfunc_end891:
	.size	_Z39paged_attention_ll4mi_QKV_mfma16_kernelI14__hip_bfloat16hLN4vllm18Fp8KVCacheDataTypeE1ES0_Li32ELi64ELi256ELb0ELi14EL8MFMAType0EEvPKT_PKT0_S9_ifPKiSB_SB_iPKfiiiPfSE_PS4_PT2_iSD_SD_, .Lfunc_end891-_Z39paged_attention_ll4mi_QKV_mfma16_kernelI14__hip_bfloat16hLN4vllm18Fp8KVCacheDataTypeE1ES0_Li32ELi64ELi256ELb0ELi14EL8MFMAType0EEvPKT_PKT0_S9_ifPKiSB_SB_iPKfiiiPfSE_PS4_PT2_iSD_SD_
                                        ; -- End function
	.section	.AMDGPU.csdata,"",@progbits
; Kernel info:
; codeLenInByte = 28464
; NumSgprs: 51
; NumVgprs: 62
; NumAgprs: 0
; TotalNumVgprs: 62
; ScratchSize: 0
; MemoryBound: 0
; FloatMode: 240
; IeeeMode: 1
; LDSByteSize: 8192 bytes/workgroup (compile time only)
; SGPRBlocks: 6
; VGPRBlocks: 7
; NumSGPRsForWavesPerEU: 51
; NumVGPRsForWavesPerEU: 62
; AccumOffset: 64
; Occupancy: 8
; WaveLimiterHint : 1
; COMPUTE_PGM_RSRC2:SCRATCH_EN: 0
; COMPUTE_PGM_RSRC2:USER_SGPR: 6
; COMPUTE_PGM_RSRC2:TRAP_HANDLER: 0
; COMPUTE_PGM_RSRC2:TGID_X_EN: 1
; COMPUTE_PGM_RSRC2:TGID_Y_EN: 1
; COMPUTE_PGM_RSRC2:TGID_Z_EN: 1
; COMPUTE_PGM_RSRC2:TIDIG_COMP_CNT: 0
; COMPUTE_PGM_RSRC3_GFX90A:ACCUM_OFFSET: 15
; COMPUTE_PGM_RSRC3_GFX90A:TG_SPLIT: 0
	.section	.text._Z39paged_attention_ll4mi_QKV_mfma16_kernelI14__hip_bfloat16hLN4vllm18Fp8KVCacheDataTypeE1ES0_Li32ELi64ELi256ELb0ELi15EL8MFMAType0EEvPKT_PKT0_S9_ifPKiSB_SB_iPKfiiiPfSE_PS4_PT2_iSD_SD_,"axG",@progbits,_Z39paged_attention_ll4mi_QKV_mfma16_kernelI14__hip_bfloat16hLN4vllm18Fp8KVCacheDataTypeE1ES0_Li32ELi64ELi256ELb0ELi15EL8MFMAType0EEvPKT_PKT0_S9_ifPKiSB_SB_iPKfiiiPfSE_PS4_PT2_iSD_SD_,comdat
	.protected	_Z39paged_attention_ll4mi_QKV_mfma16_kernelI14__hip_bfloat16hLN4vllm18Fp8KVCacheDataTypeE1ES0_Li32ELi64ELi256ELb0ELi15EL8MFMAType0EEvPKT_PKT0_S9_ifPKiSB_SB_iPKfiiiPfSE_PS4_PT2_iSD_SD_ ; -- Begin function _Z39paged_attention_ll4mi_QKV_mfma16_kernelI14__hip_bfloat16hLN4vllm18Fp8KVCacheDataTypeE1ES0_Li32ELi64ELi256ELb0ELi15EL8MFMAType0EEvPKT_PKT0_S9_ifPKiSB_SB_iPKfiiiPfSE_PS4_PT2_iSD_SD_
	.globl	_Z39paged_attention_ll4mi_QKV_mfma16_kernelI14__hip_bfloat16hLN4vllm18Fp8KVCacheDataTypeE1ES0_Li32ELi64ELi256ELb0ELi15EL8MFMAType0EEvPKT_PKT0_S9_ifPKiSB_SB_iPKfiiiPfSE_PS4_PT2_iSD_SD_
	.p2align	8
	.type	_Z39paged_attention_ll4mi_QKV_mfma16_kernelI14__hip_bfloat16hLN4vllm18Fp8KVCacheDataTypeE1ES0_Li32ELi64ELi256ELb0ELi15EL8MFMAType0EEvPKT_PKT0_S9_ifPKiSB_SB_iPKfiiiPfSE_PS4_PT2_iSD_SD_,@function
_Z39paged_attention_ll4mi_QKV_mfma16_kernelI14__hip_bfloat16hLN4vllm18Fp8KVCacheDataTypeE1ES0_Li32ELi64ELi256ELb0ELi15EL8MFMAType0EEvPKT_PKT0_S9_ifPKiSB_SB_iPKfiiiPfSE_PS4_PT2_iSD_SD_: ; @_Z39paged_attention_ll4mi_QKV_mfma16_kernelI14__hip_bfloat16hLN4vllm18Fp8KVCacheDataTypeE1ES0_Li32ELi64ELi256ELb0ELi15EL8MFMAType0EEvPKT_PKT0_S9_ifPKiSB_SB_iPKfiiiPfSE_PS4_PT2_iSD_SD_
; %bb.0:
	s_load_dwordx2 s[0:1], s[4:5], 0x30
	s_mov_b32 s24, s7
	s_mov_b64 s[10:11], 0
	s_waitcnt lgkmcnt(0)
	s_cmp_lg_u64 s[0:1], 0
	s_cselect_b64 s[2:3], -1, 0
	s_and_b64 vcc, exec, s[2:3]
	s_cbranch_vccz .LBB892_7
; %bb.1:
	s_add_i32 s12, s6, 1
	s_mov_b32 s13, 0
	s_lshl_b64 s[14:15], s[12:13], 2
	s_add_u32 s14, s0, s14
	s_mov_b32 s7, s13
	s_addc_u32 s15, s1, s15
	s_lshl_b64 s[12:13], s[6:7], 2
	s_add_u32 s12, s0, s12
	s_addc_u32 s13, s1, s13
	s_load_dword s9, s[14:15], 0x0
	s_load_dword s16, s[12:13], 0x0
	s_waitcnt lgkmcnt(0)
	s_sub_i32 s9, s9, s16
	s_cmp_eq_u32 s9, 1
	s_cselect_b64 s[12:13], -1, 0
	s_andn2_b64 vcc, exec, s[10:11]
	s_cbranch_vccnz .LBB892_3
.LBB892_2:
	s_mov_b32 s7, 0
	s_mov_b64 s[12:13], -1
.LBB892_3:
	s_andn2_b64 vcc, exec, s[12:13]
	s_cbranch_vccnz .LBB892_786
; %bb.4:
	s_load_dwordx2 s[12:13], s[4:5], 0x28
	s_lshl_b64 s[10:11], s[6:7], 2
	s_waitcnt lgkmcnt(0)
	s_add_u32 s12, s12, s10
	s_addc_u32 s13, s13, s11
	s_load_dword s33, s[12:13], 0x0
	s_lshl_b32 s20, s24, 8
	s_waitcnt lgkmcnt(0)
	s_cmp_ge_i32 s20, s33
	s_cbranch_scc1 .LBB892_786
; %bb.5:
	s_add_i32 s14, s33, 31
	s_load_dwordx2 s[12:13], s[4:5], 0x20
	s_load_dword s9, s[4:5], 0x38
	s_ashr_i32 s15, s14, 31
	v_and_b32_e32 v1, 0xcf, v0
	s_lshr_b32 s15, s15, 27
	v_add_u32_e32 v1, s20, v1
	s_add_i32 s14, s14, s15
	v_ashrrev_i32_e32 v2, 31, v1
	s_ashr_i32 s22, s14, 5
	v_lshrrev_b32_e32 v4, 27, v2
	s_add_i32 s22, s22, -1
	v_add_u32_e32 v2, v1, v4
	s_waitcnt lgkmcnt(0)
	s_mul_i32 s14, s6, s9
	s_mov_b32 s15, 0
	v_ashrrev_i32_e32 v2, 5, v2
	v_mov_b32_e32 v5, s22
	v_cmp_gt_i32_e32 vcc, s33, v1
	s_lshl_b64 s[14:15], s[14:15], 2
	v_cndmask_b32_e32 v2, v5, v2, vcc
	s_add_u32 s9, s12, s14
	v_ashrrev_i32_e32 v3, 31, v2
	s_addc_u32 s21, s13, s15
	v_lshlrev_b64 v[2:3], 2, v[2:3]
	v_mov_b32_e32 v7, s21
	v_add_co_u32_e32 v6, vcc, s9, v2
	v_or_b32_e32 v2, 16, v1
	v_addc_co_u32_e32 v7, vcc, v7, v3, vcc
	v_add_u32_e32 v3, v2, v4
	v_ashrrev_i32_e32 v3, 5, v3
	v_cmp_gt_i32_e32 vcc, s33, v2
	v_cndmask_b32_e32 v2, v5, v3, vcc
	v_ashrrev_i32_e32 v3, 31, v2
	v_lshlrev_b64 v[2:3], 2, v[2:3]
	v_mov_b32_e32 v9, s21
	v_add_co_u32_e32 v8, vcc, s9, v2
	v_or_b32_e32 v2, 32, v1
	v_addc_co_u32_e32 v9, vcc, v9, v3, vcc
	v_add_u32_e32 v3, v2, v4
	v_ashrrev_i32_e32 v3, 5, v3
	v_cmp_gt_i32_e32 vcc, s33, v2
	v_cndmask_b32_e32 v2, v5, v3, vcc
	v_ashrrev_i32_e32 v3, 31, v2
	;; [unrolled: 10-line block ×3, first 2 shown]
	v_lshlrev_b64 v[2:3], 2, v[2:3]
	v_mov_b32_e32 v1, s21
	v_add_co_u32_e32 v12, vcc, s9, v2
	v_addc_co_u32_e32 v13, vcc, v1, v3, vcc
	global_load_dword v5, v[6:7], off
	global_load_dword v4, v[8:9], off
	global_load_dword v3, v[10:11], off
	global_load_dword v2, v[12:13], off
	s_load_dwordx4 s[12:15], s[4:5], 0x8
	s_andn2_b64 vcc, exec, s[2:3]
	s_cbranch_vccnz .LBB892_8
; %bb.6:
	s_add_u32 s0, s0, s10
	s_addc_u32 s1, s1, s11
	s_load_dword s10, s[0:1], 0x0
	s_branch .LBB892_9
.LBB892_7:
	s_mov_b64 s[12:13], 0
	s_branch .LBB892_2
.LBB892_8:
	s_mov_b32 s10, s6
.LBB892_9:
	s_load_dwordx4 s[16:19], s[4:5], 0x48
	v_lshrrev_b32_e32 v50, 6, v0
	v_bfe_u32 v1, v0, 4, 2
	v_lshl_or_b32 v6, v50, 2, v1
	v_and_b32_e32 v49, 15, v0
	v_lshlrev_b32_e32 v7, 3, v49
	v_cmp_gt_u32_e32 vcc, 15, v6
	v_cmp_gt_u32_e64 s[0:1], 8, v49
	s_mul_i32 s25, s8, 15
	s_and_b64 s[26:27], s[0:1], vcc
	v_lshlrev_b32_e32 v46, 1, v7
	v_lshlrev_b32_e32 v47, 4, v0
	s_and_saveexec_b64 s[2:3], s[26:27]
	s_cbranch_execz .LBB892_11
; %bb.10:
	s_load_dwordx2 s[26:27], s[4:5], 0x0
	s_waitcnt lgkmcnt(0)
	s_ashr_i32 s11, s16, 31
	s_mul_hi_u32 s19, s10, s16
	s_mul_i32 s11, s10, s11
	s_add_i32 s11, s19, s11
	s_mul_i32 s10, s10, s16
	s_lshl_b64 s[10:11], s[10:11], 1
	v_add_lshl_u32 v8, v6, s25, 6
	s_add_u32 s10, s26, s10
	v_ashrrev_i32_e32 v9, 31, v8
	s_addc_u32 s11, s27, s11
	v_lshlrev_b64 v[8:9], 1, v[8:9]
	v_mov_b32_e32 v7, s11
	v_add_co_u32_e32 v8, vcc, s10, v8
	v_addc_co_u32_e32 v7, vcc, v7, v9, vcc
	v_add_co_u32_e32 v8, vcc, v8, v46
	v_addc_co_u32_e32 v9, vcc, 0, v7, vcc
	global_load_dwordx4 v[8:11], v[8:9], off
	v_lshlrev_b32_e32 v12, 8, v49
	v_lshlrev_b32_e32 v6, 5, v6
	v_and_b32_e32 v7, 16, v47
	v_and_b32_e32 v12, 0xe00, v12
	v_or3_b32 v6, v12, v6, v7
	s_waitcnt vmcnt(0)
	ds_write_b128 v6, v[8:11]
.LBB892_11:
	s_or_b64 exec, exec, s[2:3]
	s_waitcnt lgkmcnt(0)
	s_mul_i32 s8, s8, s18
	s_add_u32 s2, s12, s8
	s_addc_u32 s3, s13, 0
	v_and_b32_e32 v12, 48, v0
	s_ashr_i32 s10, s20, 31
	v_or_b32_e32 v13, s20, v12
	s_lshr_b32 s10, s10, 27
	v_add_u32_e32 v6, s10, v13
	v_ashrrev_i32_e32 v6, 5, v6
	v_mov_b32_e32 v14, s22
	v_cmp_gt_i32_e32 vcc, s33, v13
	v_cndmask_b32_e32 v6, v14, v6, vcc
	v_ashrrev_i32_e32 v7, 31, v6
	v_lshlrev_b64 v[6:7], 2, v[6:7]
	v_mov_b32_e32 v8, s21
	v_add_co_u32_e32 v6, vcc, s9, v6
	v_addc_co_u32_e32 v7, vcc, v8, v7, vcc
	v_or_b32_e32 v8, 64, v13
	v_add_u32_e32 v9, s10, v8
	v_ashrrev_i32_e32 v9, 5, v9
	v_cmp_gt_i32_e32 vcc, s33, v8
	v_cndmask_b32_e32 v8, v14, v9, vcc
	v_ashrrev_i32_e32 v9, 31, v8
	v_lshlrev_b64 v[8:9], 2, v[8:9]
	v_mov_b32_e32 v10, s21
	v_add_co_u32_e32 v8, vcc, s9, v8
	v_addc_co_u32_e32 v9, vcc, v10, v9, vcc
	v_or_b32_e32 v10, 0x80, v13
	v_add_u32_e32 v11, s10, v10
	v_ashrrev_i32_e32 v11, 5, v11
	v_cmp_gt_i32_e32 vcc, s33, v10
	v_cndmask_b32_e32 v10, v14, v11, vcc
	v_ashrrev_i32_e32 v11, 31, v10
	v_lshlrev_b64 v[10:11], 2, v[10:11]
	v_mov_b32_e32 v15, s21
	v_add_co_u32_e32 v10, vcc, s9, v10
	s_load_dwordx2 s[44:45], s[4:5], 0x94
	s_load_dwordx4 s[40:43], s[4:5], 0x80
	s_waitcnt lgkmcnt(0)
	s_barrier
	v_addc_co_u32_e32 v11, vcc, v15, v11, vcc
	global_load_dword v15, v[6:7], off
	global_load_dword v16, v[8:9], off
	;; [unrolled: 1-line block ×3, first 2 shown]
	v_or_b32_e32 v6, 0xc0, v13
	v_add_u32_e32 v7, s10, v6
	v_ashrrev_i32_e32 v7, 5, v7
	v_cmp_gt_i32_e32 vcc, s33, v6
	v_cndmask_b32_e32 v6, v14, v7, vcc
	v_ashrrev_i32_e32 v7, 31, v6
	v_lshlrev_b64 v[6:7], 2, v[6:7]
	v_mov_b32_e32 v8, s21
	v_add_co_u32_e32 v6, vcc, s9, v6
	v_addc_co_u32_e32 v7, vcc, v8, v7, vcc
	global_load_dword v20, v[6:7], off
	v_pk_mov_b32 v[6:7], s[2:3], s[2:3] op_sel:[0,1]
	s_waitcnt vmcnt(7)
	v_mad_i64_i32 v[8:9], s[2:3], v5, s17, v[6:7]
	v_lshlrev_b32_e32 v11, 4, v49
	v_add_co_u32_e32 v5, vcc, v8, v11
	v_lshlrev_b32_e32 v10, 5, v12
	v_addc_co_u32_e32 v9, vcc, 0, v9, vcc
	v_add_co_u32_e32 v8, vcc, v5, v10
	v_addc_co_u32_e32 v9, vcc, 0, v9, vcc
	s_waitcnt vmcnt(6)
	v_mad_i64_i32 v[4:5], s[2:3], v4, s17, v[6:7]
	v_or_b32_e32 v12, 0x100, v11
	v_add_co_u32_e32 v4, vcc, v4, v12
	v_addc_co_u32_e32 v5, vcc, 0, v5, vcc
	v_add_co_u32_e32 v4, vcc, v4, v10
	v_addc_co_u32_e32 v5, vcc, 0, v5, vcc
	global_load_dwordx4 v[30:33], v[8:9], off
	global_load_dwordx4 v[38:41], v[4:5], off
	s_waitcnt vmcnt(7)
	v_mad_i64_i32 v[4:5], s[2:3], v3, s17, v[6:7]
	v_add_co_u32_e32 v3, vcc, v4, v11
	v_addc_co_u32_e32 v5, vcc, 0, v5, vcc
	v_add_co_u32_e32 v4, vcc, v3, v10
	v_addc_co_u32_e32 v5, vcc, 0, v5, vcc
	s_waitcnt vmcnt(6)
	v_mad_i64_i32 v[2:3], s[2:3], v2, s17, v[6:7]
	v_add_co_u32_e32 v2, vcc, v2, v12
	v_addc_co_u32_e32 v3, vcc, 0, v3, vcc
	v_add_co_u32_e32 v2, vcc, v2, v10
	s_add_u32 s2, s14, s8
	v_addc_co_u32_e32 v3, vcc, 0, v3, vcc
	global_load_dwordx4 v[34:37], v[4:5], off
	global_load_dwordx4 v[22:25], v[2:3], off
	s_addc_u32 s3, s15, 0
	v_and_b32_e32 v2, 16, v0
	v_mov_b32_e32 v3, s3
	v_add_co_u32_e32 v2, vcc, s2, v2
	v_lshlrev_b32_e32 v48, 5, v49
	v_addc_co_u32_e32 v3, vcc, 0, v3, vcc
	v_lshl_or_b32 v4, v50, 9, v48
	v_add_co_u32_e32 v2, vcc, v2, v4
	v_addc_co_u32_e32 v3, vcc, 0, v3, vcc
	v_cmp_ne_u32_e32 vcc, 15, v49
	v_mov_b32_e32 v44, 0
	v_mov_b32_e32 v43, 0
	s_movk_i32 s8, 0x80
	s_waitcnt vmcnt(7)
	v_mad_i64_i32 v[4:5], s[2:3], v15, s17, v[2:3]
	s_waitcnt vmcnt(6)
	v_mad_i64_i32 v[6:7], s[2:3], v16, s17, v[2:3]
	;; [unrolled: 2-line block ×3, first 2 shown]
	global_load_dwordx4 v[14:17], v[4:5], off
	global_load_dwordx4 v[10:13], v[6:7], off
	s_waitcnt vmcnt(6)
	v_mad_i64_i32 v[20:21], s[2:3], v20, s17, v[2:3]
	global_load_dwordx4 v[6:9], v[18:19], off
	global_load_dwordx4 v[2:5], v[20:21], off
	v_cndmask_b32_e32 v18, 0, v49, vcc
	v_lshlrev_b32_e32 v18, 5, v18
	v_lshl_or_b32 v18, v1, 9, v18
	ds_read_b128 v[26:29], v18
	ds_read_b128 v[18:21], v18 offset:16
	s_load_dword s12, s[40:41], 0x0
	s_waitcnt vmcnt(7)
	v_cmp_ne_u16_sdwa s[10:11], v30, v44 src0_sel:BYTE_0 src1_sel:DWORD
	s_and_saveexec_b64 s[2:3], s[10:11]
	s_cbranch_execz .LBB892_17
; %bb.12:
	v_cmp_ne_u16_sdwa s[10:11], v30, s8 src0_sel:BYTE_0 src1_sel:DWORD
	v_mov_b32_e32 v43, 0xffff8000
	s_and_saveexec_b64 s[8:9], s[10:11]
	s_cbranch_execz .LBB892_16
; %bb.13:
	s_movk_i32 s10, 0x7f
	v_and_b32_e32 v42, 0x7f, v30
	v_cmp_ne_u32_e32 vcc, s10, v42
	v_mov_b32_e32 v43, 0x7f80
	s_and_saveexec_b64 s[10:11], vcc
	s_cbranch_execz .LBB892_15
; %bb.14:
	v_and_b32_e32 v43, 7, v30
	v_ffbh_u32_e32 v51, v43
	v_min_u32_e32 v51, 32, v51
	v_subrev_u32_e32 v52, 28, v51
	v_lshlrev_b64 v[52:53], v52, v[30:31]
	v_lshrrev_b32_e32 v45, 3, v42
	v_sub_u32_e32 v51, 29, v51
	v_and_b32_e32 v52, 7, v52
	v_cmp_gt_u32_e32 vcc, 8, v42
	v_cndmask_b32_e32 v42, v45, v51, vcc
	v_cndmask_b32_e32 v43, v43, v52, vcc
	v_lshlrev_b32_e32 v45, 24, v30
	v_bfrev_b32_e32 v51, 60
	v_lshlrev_b32_e32 v43, 20, v43
	v_and_b32_e32 v45, 0x80000000, v45
	v_lshl_add_u32 v42, v42, 23, v51
	v_or3_b32 v42, v45, v42, v43
	v_lshrrev_b32_e32 v43, 16, v42
.LBB892_15:
	s_or_b64 exec, exec, s[10:11]
.LBB892_16:
	s_or_b64 exec, exec, s[8:9]
.LBB892_17:
	s_or_b64 exec, exec, s[2:3]
	v_lshrrev_b16_e32 v42, 8, v30
	v_cmp_ne_u16_e32 vcc, 0, v42
	s_and_saveexec_b64 s[2:3], vcc
	s_cbranch_execz .LBB892_23
; %bb.18:
	s_movk_i32 s8, 0x80
	v_cmp_ne_u16_e32 vcc, s8, v42
	v_mov_b32_e32 v44, 0xffff8000
	s_and_saveexec_b64 s[8:9], vcc
	s_cbranch_execz .LBB892_22
; %bb.19:
	s_movk_i32 s10, 0x7f
	v_and_b32_e32 v45, 0x7f, v42
	v_cmp_ne_u32_e32 vcc, s10, v45
	v_mov_b32_e32 v44, 0x7f80
	s_and_saveexec_b64 s[10:11], vcc
	s_cbranch_execz .LBB892_21
; %bb.20:
	v_and_b32_e32 v44, 7, v42
	v_ffbh_u32_e32 v52, v44
	v_min_u32_e32 v54, 32, v52
	v_subrev_u32_e32 v52, 28, v54
	v_lshlrev_b64 v[52:53], v52, v[42:43]
	v_lshrrev_b32_e32 v51, 3, v45
	v_sub_u32_e32 v42, 29, v54
	v_and_b32_e32 v52, 7, v52
	v_cmp_gt_u32_e32 vcc, 8, v45
	v_cndmask_b32_e32 v42, v51, v42, vcc
	v_cndmask_b32_e32 v44, v44, v52, vcc
	v_lshlrev_b32_e32 v45, 16, v30
	v_bfrev_b32_e32 v51, 60
	v_lshlrev_b32_e32 v44, 20, v44
	v_and_b32_e32 v45, 0x80000000, v45
	v_lshl_add_u32 v42, v42, 23, v51
	v_or3_b32 v42, v45, v42, v44
	v_lshrrev_b32_e32 v44, 16, v42
.LBB892_21:
	s_or_b64 exec, exec, s[10:11]
.LBB892_22:
	s_or_b64 exec, exec, s[8:9]
.LBB892_23:
	s_or_b64 exec, exec, s[2:3]
	s_movk_i32 s2, 0xff
	v_and_b32_sdwa v52, v30, s2 dst_sel:DWORD dst_unused:UNUSED_PAD src0_sel:WORD_1 src1_sel:DWORD
	v_lshrrev_b32_e32 v42, 16, v30
	v_cmp_ne_u16_e32 vcc, 0, v52
	v_mov_b32_e32 v45, 0
	v_mov_b32_e32 v51, 0
	s_and_saveexec_b64 s[2:3], vcc
	s_cbranch_execz .LBB892_29
; %bb.24:
	s_movk_i32 s8, 0x80
	v_cmp_ne_u16_e32 vcc, s8, v52
	v_mov_b32_e32 v51, 0xffff8000
	s_and_saveexec_b64 s[8:9], vcc
	s_cbranch_execz .LBB892_28
; %bb.25:
	v_bfe_u32 v52, v30, 16, 7
	s_movk_i32 s10, 0x7f
	v_cmp_ne_u32_e32 vcc, s10, v52
	v_mov_b32_e32 v51, 0x7f80
	s_and_saveexec_b64 s[10:11], vcc
	s_cbranch_execz .LBB892_27
; %bb.26:
	v_and_b32_e32 v51, 7, v42
	v_ffbh_u32_e32 v54, v51
	v_min_u32_e32 v56, 32, v54
	v_subrev_u32_e32 v54, 28, v56
	v_lshlrev_b64 v[54:55], v54, v[42:43]
	v_lshrrev_b32_e32 v53, 3, v52
	v_sub_u32_e32 v42, 29, v56
	v_and_b32_e32 v54, 7, v54
	v_cmp_gt_u32_e32 vcc, 8, v52
	v_mov_b32_e32 v52, 24
	v_cndmask_b32_e32 v42, v53, v42, vcc
	v_cndmask_b32_e32 v51, v51, v54, vcc
	v_lshlrev_b32_sdwa v52, v52, v30 dst_sel:DWORD dst_unused:UNUSED_PAD src0_sel:DWORD src1_sel:WORD_1
	v_bfrev_b32_e32 v53, 60
	v_lshlrev_b32_e32 v51, 20, v51
	v_and_b32_e32 v52, 0x80000000, v52
	v_lshl_add_u32 v42, v42, 23, v53
	v_or3_b32 v42, v52, v42, v51
	v_lshrrev_b32_e32 v51, 16, v42
.LBB892_27:
	s_or_b64 exec, exec, s[10:11]
.LBB892_28:
	s_or_b64 exec, exec, s[8:9]
.LBB892_29:
	s_or_b64 exec, exec, s[2:3]
	s_mov_b32 s2, 0xffffff
	v_cmp_lt_u32_e32 vcc, s2, v30
	s_and_saveexec_b64 s[2:3], vcc
	s_cbranch_execz .LBB892_35
; %bb.30:
	v_lshrrev_b32_e32 v42, 24, v30
	s_movk_i32 s8, 0x80
	v_cmp_ne_u32_e32 vcc, s8, v42
	v_mov_b32_e32 v45, 0xffff8000
	s_and_saveexec_b64 s[8:9], vcc
	s_cbranch_execz .LBB892_34
; %bb.31:
	v_bfe_u32 v30, v30, 24, 7
	s_movk_i32 s10, 0x7f
	v_cmp_ne_u32_e32 vcc, s10, v30
	v_mov_b32_e32 v45, 0x7f80
	s_and_saveexec_b64 s[10:11], vcc
	s_cbranch_execz .LBB892_33
; %bb.32:
	v_and_b32_e32 v45, 7, v42
	v_ffbh_u32_e32 v52, v45
	v_min_u32_e32 v55, 32, v52
	v_subrev_u32_e32 v52, 28, v55
	v_lshlrev_b64 v[52:53], v52, v[42:43]
	v_lshrrev_b32_e32 v54, 3, v30
	v_sub_u32_e32 v53, 29, v55
	v_and_b32_e32 v52, 7, v52
	v_cmp_gt_u32_e32 vcc, 8, v30
	v_cndmask_b32_e32 v30, v54, v53, vcc
	v_cndmask_b32_e32 v45, v45, v52, vcc
	v_lshlrev_b32_e32 v42, 24, v42
	v_bfrev_b32_e32 v52, 60
	v_lshlrev_b32_e32 v45, 20, v45
	v_and_b32_e32 v42, 0x80000000, v42
	v_lshl_add_u32 v30, v30, 23, v52
	v_or3_b32 v30, v42, v30, v45
	v_lshrrev_b32_e32 v45, 16, v30
.LBB892_33:
	s_or_b64 exec, exec, s[10:11]
.LBB892_34:
	s_or_b64 exec, exec, s[8:9]
.LBB892_35:
	s_or_b64 exec, exec, s[2:3]
	v_mov_b32_e32 v42, 0
	v_cmp_ne_u16_sdwa s[8:9], v31, v42 src0_sel:BYTE_0 src1_sel:DWORD
	v_mov_b32_e32 v52, 0
	s_and_saveexec_b64 s[2:3], s[8:9]
	s_cbranch_execz .LBB892_41
; %bb.36:
	s_movk_i32 s8, 0x80
	v_cmp_ne_u16_sdwa s[10:11], v31, s8 src0_sel:BYTE_0 src1_sel:DWORD
	v_mov_b32_e32 v52, 0xffff8000
	s_and_saveexec_b64 s[8:9], s[10:11]
	s_cbranch_execz .LBB892_40
; %bb.37:
	s_movk_i32 s10, 0x7f
	v_and_b32_e32 v30, 0x7f, v31
	v_cmp_ne_u32_e32 vcc, s10, v30
	v_mov_b32_e32 v52, 0x7f80
	s_and_saveexec_b64 s[10:11], vcc
	s_cbranch_execz .LBB892_39
; %bb.38:
	v_and_b32_e32 v54, 7, v31
	v_ffbh_u32_e32 v53, v54
	v_min_u32_e32 v56, 32, v53
	v_mov_b32_e32 v52, v31
	v_subrev_u32_e32 v53, 28, v56
	v_lshlrev_b64 v[52:53], v53, v[52:53]
	v_lshrrev_b32_e32 v55, 3, v30
	v_sub_u32_e32 v53, 29, v56
	v_and_b32_e32 v52, 7, v52
	v_cmp_gt_u32_e32 vcc, 8, v30
	v_cndmask_b32_e32 v30, v55, v53, vcc
	v_cndmask_b32_e32 v52, v54, v52, vcc
	v_lshlrev_b32_e32 v53, 24, v31
	v_bfrev_b32_e32 v54, 60
	v_lshlrev_b32_e32 v52, 20, v52
	v_and_b32_e32 v53, 0x80000000, v53
	v_lshl_add_u32 v30, v30, 23, v54
	v_or3_b32 v30, v53, v30, v52
	v_lshrrev_b32_e32 v52, 16, v30
.LBB892_39:
	s_or_b64 exec, exec, s[10:11]
.LBB892_40:
	s_or_b64 exec, exec, s[8:9]
.LBB892_41:
	s_or_b64 exec, exec, s[2:3]
	v_lshrrev_b16_e32 v30, 8, v31
	v_cmp_ne_u16_e32 vcc, 0, v30
	s_and_saveexec_b64 s[2:3], vcc
	s_cbranch_execz .LBB892_47
; %bb.42:
	s_movk_i32 s8, 0x80
	v_cmp_ne_u16_e32 vcc, s8, v30
	v_mov_b32_e32 v42, 0xffff8000
	s_and_saveexec_b64 s[8:9], vcc
	s_cbranch_execz .LBB892_46
; %bb.43:
	s_movk_i32 s10, 0x7f
	v_and_b32_e32 v53, 0x7f, v30
	v_cmp_ne_u32_e32 vcc, s10, v53
	v_mov_b32_e32 v42, 0x7f80
	s_and_saveexec_b64 s[10:11], vcc
	s_cbranch_execz .LBB892_45
; %bb.44:
	v_and_b32_e32 v42, 7, v30
	v_ffbh_u32_e32 v54, v42
	v_min_u32_e32 v57, 32, v54
	v_subrev_u32_e32 v54, 28, v57
	v_lshlrev_b64 v[54:55], v54, v[30:31]
	v_lshrrev_b32_e32 v56, 3, v53
	v_sub_u32_e32 v30, 29, v57
	v_and_b32_e32 v54, 7, v54
	v_cmp_gt_u32_e32 vcc, 8, v53
	v_cndmask_b32_e32 v30, v56, v30, vcc
	v_cndmask_b32_e32 v42, v42, v54, vcc
	v_lshlrev_b32_e32 v53, 16, v31
	v_bfrev_b32_e32 v54, 60
	v_lshlrev_b32_e32 v42, 20, v42
	v_and_b32_e32 v53, 0x80000000, v53
	v_lshl_add_u32 v30, v30, 23, v54
	v_or3_b32 v30, v53, v30, v42
	v_lshrrev_b32_e32 v42, 16, v30
.LBB892_45:
	s_or_b64 exec, exec, s[10:11]
.LBB892_46:
	s_or_b64 exec, exec, s[8:9]
.LBB892_47:
	s_or_b64 exec, exec, s[2:3]
	s_movk_i32 s2, 0xff
	v_and_b32_sdwa v55, v31, s2 dst_sel:DWORD dst_unused:UNUSED_PAD src0_sel:WORD_1 src1_sel:DWORD
	v_lshrrev_b32_e32 v30, 16, v31
	v_cmp_ne_u16_e32 vcc, 0, v55
	v_mov_b32_e32 v53, 0
	v_mov_b32_e32 v54, 0
	s_and_saveexec_b64 s[2:3], vcc
	s_cbranch_execz .LBB892_53
; %bb.48:
	s_movk_i32 s8, 0x80
	v_cmp_ne_u16_e32 vcc, s8, v55
	v_mov_b32_e32 v54, 0xffff8000
	s_and_saveexec_b64 s[8:9], vcc
	s_cbranch_execz .LBB892_52
; %bb.49:
	v_bfe_u32 v55, v31, 16, 7
	s_movk_i32 s10, 0x7f
	v_cmp_ne_u32_e32 vcc, s10, v55
	v_mov_b32_e32 v54, 0x7f80
	s_and_saveexec_b64 s[10:11], vcc
	s_cbranch_execz .LBB892_51
; %bb.50:
	v_and_b32_e32 v54, 7, v30
	v_ffbh_u32_e32 v56, v54
	v_min_u32_e32 v59, 32, v56
	v_subrev_u32_e32 v56, 28, v59
	v_lshlrev_b64 v[56:57], v56, v[30:31]
	v_lshrrev_b32_e32 v58, 3, v55
	v_sub_u32_e32 v30, 29, v59
	v_and_b32_e32 v56, 7, v56
	v_cmp_gt_u32_e32 vcc, 8, v55
	v_mov_b32_e32 v55, 24
	v_cndmask_b32_e32 v30, v58, v30, vcc
	v_cndmask_b32_e32 v54, v54, v56, vcc
	v_lshlrev_b32_sdwa v55, v55, v31 dst_sel:DWORD dst_unused:UNUSED_PAD src0_sel:DWORD src1_sel:WORD_1
	v_bfrev_b32_e32 v56, 60
	v_lshlrev_b32_e32 v54, 20, v54
	v_and_b32_e32 v55, 0x80000000, v55
	v_lshl_add_u32 v30, v30, 23, v56
	v_or3_b32 v30, v55, v30, v54
	v_lshrrev_b32_e32 v54, 16, v30
.LBB892_51:
	s_or_b64 exec, exec, s[10:11]
.LBB892_52:
	s_or_b64 exec, exec, s[8:9]
.LBB892_53:
	s_or_b64 exec, exec, s[2:3]
	s_mov_b32 s2, 0xffffff
	v_cmp_lt_u32_e32 vcc, s2, v31
	s_and_saveexec_b64 s[2:3], vcc
	s_cbranch_execz .LBB892_59
; %bb.54:
	v_lshrrev_b32_e32 v30, 24, v31
	s_movk_i32 s8, 0x80
	v_cmp_ne_u32_e32 vcc, s8, v30
	v_mov_b32_e32 v53, 0xffff8000
	s_and_saveexec_b64 s[8:9], vcc
	s_cbranch_execz .LBB892_58
; %bb.55:
	v_bfe_u32 v31, v31, 24, 7
	s_movk_i32 s10, 0x7f
	v_cmp_ne_u32_e32 vcc, s10, v31
	v_mov_b32_e32 v53, 0x7f80
	s_and_saveexec_b64 s[10:11], vcc
	s_cbranch_execz .LBB892_57
; %bb.56:
	v_and_b32_e32 v53, 7, v30
	v_ffbh_u32_e32 v56, v53
	v_min_u32_e32 v58, 32, v56
	v_subrev_u32_e32 v56, 28, v58
	v_lshlrev_b64 v[56:57], v56, v[30:31]
	v_lshrrev_b32_e32 v55, 3, v31
	v_sub_u32_e32 v57, 29, v58
	v_and_b32_e32 v56, 7, v56
	v_cmp_gt_u32_e32 vcc, 8, v31
	v_cndmask_b32_e32 v31, v55, v57, vcc
	v_cndmask_b32_e32 v53, v53, v56, vcc
	v_lshlrev_b32_e32 v30, 24, v30
	v_bfrev_b32_e32 v55, 60
	v_lshlrev_b32_e32 v53, 20, v53
	v_and_b32_e32 v30, 0x80000000, v30
	v_lshl_add_u32 v31, v31, 23, v55
	v_or3_b32 v30, v30, v31, v53
	v_lshrrev_b32_e32 v53, 16, v30
.LBB892_57:
	s_or_b64 exec, exec, s[10:11]
.LBB892_58:
	s_or_b64 exec, exec, s[8:9]
.LBB892_59:
	s_or_b64 exec, exec, s[2:3]
	s_mov_b32 s2, 0x5040100
	v_perm_b32 v31, v45, v51, s2
	v_perm_b32 v30, v44, v43, s2
	;; [unrolled: 1-line block ×4, first 2 shown]
	v_mov_b32_e32 v51, 0
	s_waitcnt lgkmcnt(0)
	v_mfma_f32_16x16x16bf16_1k v[56:59], v[30:31], v[26:27], 0
	v_mov_b32_e32 v31, 0
	v_cmp_ne_u16_sdwa s[8:9], v32, v31 src0_sel:BYTE_0 src1_sel:DWORD
	v_mfma_f32_16x16x16bf16_1k v[42:45], v[42:43], v[28:29], v[56:59]
	s_and_saveexec_b64 s[2:3], s[8:9]
	s_cbranch_execz .LBB892_65
; %bb.60:
	s_movk_i32 s8, 0x80
	v_cmp_ne_u16_sdwa s[10:11], v32, s8 src0_sel:BYTE_0 src1_sel:DWORD
	v_mov_b32_e32 v51, 0xffff8000
	s_and_saveexec_b64 s[8:9], s[10:11]
	s_cbranch_execz .LBB892_64
; %bb.61:
	s_movk_i32 s10, 0x7f
	v_and_b32_e32 v30, 0x7f, v32
	v_cmp_ne_u32_e32 vcc, s10, v30
	v_mov_b32_e32 v51, 0x7f80
	s_and_saveexec_b64 s[10:11], vcc
	s_cbranch_execz .LBB892_63
; %bb.62:
	v_and_b32_e32 v51, 7, v32
	v_ffbh_u32_e32 v52, v51
	v_min_u32_e32 v55, 32, v52
	v_subrev_u32_e32 v52, 28, v55
	v_lshlrev_b64 v[52:53], v52, v[32:33]
	v_lshrrev_b32_e32 v54, 3, v30
	v_sub_u32_e32 v53, 29, v55
	v_and_b32_e32 v52, 7, v52
	v_cmp_gt_u32_e32 vcc, 8, v30
	v_cndmask_b32_e32 v30, v54, v53, vcc
	v_cndmask_b32_e32 v51, v51, v52, vcc
	v_lshlrev_b32_e32 v52, 24, v32
	v_bfrev_b32_e32 v53, 60
	v_lshlrev_b32_e32 v51, 20, v51
	v_and_b32_e32 v52, 0x80000000, v52
	v_lshl_add_u32 v30, v30, 23, v53
	v_or3_b32 v30, v52, v30, v51
	v_lshrrev_b32_e32 v51, 16, v30
.LBB892_63:
	s_or_b64 exec, exec, s[10:11]
.LBB892_64:
	s_or_b64 exec, exec, s[8:9]
.LBB892_65:
	s_or_b64 exec, exec, s[2:3]
	v_lshrrev_b16_e32 v30, 8, v32
	v_cmp_ne_u16_e32 vcc, 0, v30
	s_and_saveexec_b64 s[2:3], vcc
	s_cbranch_execz .LBB892_71
; %bb.66:
	s_movk_i32 s8, 0x80
	v_cmp_ne_u16_e32 vcc, s8, v30
	v_mov_b32_e32 v31, 0xffff8000
	s_and_saveexec_b64 s[8:9], vcc
	s_cbranch_execz .LBB892_70
; %bb.67:
	s_movk_i32 s10, 0x7f
	v_and_b32_e32 v52, 0x7f, v30
	v_cmp_ne_u32_e32 vcc, s10, v52
	v_mov_b32_e32 v31, 0x7f80
	s_and_saveexec_b64 s[10:11], vcc
	s_cbranch_execz .LBB892_69
; %bb.68:
	v_and_b32_e32 v53, 7, v30
	v_ffbh_u32_e32 v31, v53
	v_min_u32_e32 v55, 32, v31
	v_subrev_u32_e32 v31, 28, v55
	v_lshlrev_b64 v[30:31], v31, v[30:31]
	v_lshrrev_b32_e32 v54, 3, v52
	v_sub_u32_e32 v31, 29, v55
	v_and_b32_e32 v30, 7, v30
	v_cmp_gt_u32_e32 vcc, 8, v52
	v_cndmask_b32_e32 v31, v54, v31, vcc
	v_cndmask_b32_e32 v30, v53, v30, vcc
	v_lshlrev_b32_e32 v52, 16, v32
	v_bfrev_b32_e32 v53, 60
	v_lshlrev_b32_e32 v30, 20, v30
	v_and_b32_e32 v52, 0x80000000, v52
	v_lshl_add_u32 v31, v31, 23, v53
	v_or3_b32 v30, v52, v31, v30
	v_lshrrev_b32_e32 v31, 16, v30
.LBB892_69:
	s_or_b64 exec, exec, s[10:11]
.LBB892_70:
	s_or_b64 exec, exec, s[8:9]
.LBB892_71:
	s_or_b64 exec, exec, s[2:3]
	s_movk_i32 s2, 0xff
	v_and_b32_sdwa v54, v32, s2 dst_sel:DWORD dst_unused:UNUSED_PAD src0_sel:WORD_1 src1_sel:DWORD
	v_lshrrev_b32_e32 v30, 16, v32
	v_cmp_ne_u16_e32 vcc, 0, v54
	v_mov_b32_e32 v52, 0
	v_mov_b32_e32 v53, 0
	s_and_saveexec_b64 s[2:3], vcc
	s_cbranch_execz .LBB892_77
; %bb.72:
	s_movk_i32 s8, 0x80
	v_cmp_ne_u16_e32 vcc, s8, v54
	v_mov_b32_e32 v53, 0xffff8000
	s_and_saveexec_b64 s[8:9], vcc
	s_cbranch_execz .LBB892_76
; %bb.73:
	v_bfe_u32 v54, v32, 16, 7
	s_movk_i32 s10, 0x7f
	v_cmp_ne_u32_e32 vcc, s10, v54
	v_mov_b32_e32 v53, 0x7f80
	s_and_saveexec_b64 s[10:11], vcc
	s_cbranch_execz .LBB892_75
; %bb.74:
	v_and_b32_e32 v53, 7, v30
	v_ffbh_u32_e32 v56, v53
	v_min_u32_e32 v58, 32, v56
	v_subrev_u32_e32 v56, 28, v58
	v_lshlrev_b64 v[56:57], v56, v[30:31]
	v_lshrrev_b32_e32 v55, 3, v54
	v_sub_u32_e32 v30, 29, v58
	v_and_b32_e32 v56, 7, v56
	v_cmp_gt_u32_e32 vcc, 8, v54
	v_mov_b32_e32 v54, 24
	v_cndmask_b32_e32 v30, v55, v30, vcc
	v_cndmask_b32_e32 v53, v53, v56, vcc
	v_lshlrev_b32_sdwa v54, v54, v32 dst_sel:DWORD dst_unused:UNUSED_PAD src0_sel:DWORD src1_sel:WORD_1
	v_bfrev_b32_e32 v55, 60
	v_lshlrev_b32_e32 v53, 20, v53
	v_and_b32_e32 v54, 0x80000000, v54
	v_lshl_add_u32 v30, v30, 23, v55
	v_or3_b32 v30, v54, v30, v53
	v_lshrrev_b32_e32 v53, 16, v30
.LBB892_75:
	s_or_b64 exec, exec, s[10:11]
.LBB892_76:
	s_or_b64 exec, exec, s[8:9]
.LBB892_77:
	s_or_b64 exec, exec, s[2:3]
	s_mov_b32 s2, 0xffffff
	v_cmp_lt_u32_e32 vcc, s2, v32
	s_and_saveexec_b64 s[2:3], vcc
	s_cbranch_execz .LBB892_83
; %bb.78:
	v_lshrrev_b32_e32 v30, 24, v32
	s_movk_i32 s8, 0x80
	v_cmp_ne_u32_e32 vcc, s8, v30
	v_mov_b32_e32 v52, 0xffff8000
	s_and_saveexec_b64 s[8:9], vcc
	s_cbranch_execz .LBB892_82
; %bb.79:
	v_bfe_u32 v32, v32, 24, 7
	s_movk_i32 s10, 0x7f
	v_cmp_ne_u32_e32 vcc, s10, v32
	v_mov_b32_e32 v52, 0x7f80
	s_and_saveexec_b64 s[10:11], vcc
	s_cbranch_execz .LBB892_81
; %bb.80:
	v_and_b32_e32 v52, 7, v30
	v_ffbh_u32_e32 v54, v52
	v_min_u32_e32 v57, 32, v54
	v_subrev_u32_e32 v54, 28, v57
	v_lshlrev_b64 v[54:55], v54, v[30:31]
	v_lshrrev_b32_e32 v56, 3, v32
	v_sub_u32_e32 v55, 29, v57
	v_and_b32_e32 v54, 7, v54
	v_cmp_gt_u32_e32 vcc, 8, v32
	v_cndmask_b32_e32 v32, v56, v55, vcc
	v_cndmask_b32_e32 v52, v52, v54, vcc
	v_lshlrev_b32_e32 v30, 24, v30
	v_bfrev_b32_e32 v54, 60
	v_lshlrev_b32_e32 v52, 20, v52
	v_and_b32_e32 v30, 0x80000000, v30
	v_lshl_add_u32 v32, v32, 23, v54
	v_or3_b32 v30, v30, v32, v52
	v_lshrrev_b32_e32 v52, 16, v30
.LBB892_81:
	s_or_b64 exec, exec, s[10:11]
.LBB892_82:
	s_or_b64 exec, exec, s[8:9]
.LBB892_83:
	s_or_b64 exec, exec, s[2:3]
	v_mov_b32_e32 v32, 0
	v_cmp_ne_u16_sdwa s[8:9], v33, v32 src0_sel:BYTE_0 src1_sel:DWORD
	v_mov_b32_e32 v54, 0
	s_and_saveexec_b64 s[2:3], s[8:9]
	s_cbranch_execz .LBB892_89
; %bb.84:
	s_movk_i32 s8, 0x80
	v_cmp_ne_u16_sdwa s[10:11], v33, s8 src0_sel:BYTE_0 src1_sel:DWORD
	v_mov_b32_e32 v54, 0xffff8000
	s_and_saveexec_b64 s[8:9], s[10:11]
	s_cbranch_execz .LBB892_88
; %bb.85:
	s_movk_i32 s10, 0x7f
	v_and_b32_e32 v30, 0x7f, v33
	v_cmp_ne_u32_e32 vcc, s10, v30
	v_mov_b32_e32 v54, 0x7f80
	s_and_saveexec_b64 s[10:11], vcc
	s_cbranch_execz .LBB892_87
; %bb.86:
	v_and_b32_e32 v56, 7, v33
	v_ffbh_u32_e32 v55, v56
	v_min_u32_e32 v58, 32, v55
	v_mov_b32_e32 v54, v33
	v_subrev_u32_e32 v55, 28, v58
	v_lshlrev_b64 v[54:55], v55, v[54:55]
	v_lshrrev_b32_e32 v57, 3, v30
	v_sub_u32_e32 v55, 29, v58
	v_and_b32_e32 v54, 7, v54
	v_cmp_gt_u32_e32 vcc, 8, v30
	v_cndmask_b32_e32 v30, v57, v55, vcc
	v_cndmask_b32_e32 v54, v56, v54, vcc
	v_lshlrev_b32_e32 v55, 24, v33
	v_bfrev_b32_e32 v56, 60
	v_lshlrev_b32_e32 v54, 20, v54
	v_and_b32_e32 v55, 0x80000000, v55
	v_lshl_add_u32 v30, v30, 23, v56
	v_or3_b32 v30, v55, v30, v54
	v_lshrrev_b32_e32 v54, 16, v30
.LBB892_87:
	s_or_b64 exec, exec, s[10:11]
.LBB892_88:
	s_or_b64 exec, exec, s[8:9]
.LBB892_89:
	s_or_b64 exec, exec, s[2:3]
	v_lshrrev_b16_e32 v30, 8, v33
	v_cmp_ne_u16_e32 vcc, 0, v30
	s_and_saveexec_b64 s[2:3], vcc
	s_cbranch_execz .LBB892_95
; %bb.90:
	s_movk_i32 s8, 0x80
	v_cmp_ne_u16_e32 vcc, s8, v30
	v_mov_b32_e32 v32, 0xffff8000
	s_and_saveexec_b64 s[8:9], vcc
	s_cbranch_execz .LBB892_94
; %bb.91:
	s_movk_i32 s10, 0x7f
	v_and_b32_e32 v55, 0x7f, v30
	v_cmp_ne_u32_e32 vcc, s10, v55
	v_mov_b32_e32 v32, 0x7f80
	s_and_saveexec_b64 s[10:11], vcc
	s_cbranch_execz .LBB892_93
; %bb.92:
	v_and_b32_e32 v32, 7, v30
	v_ffbh_u32_e32 v56, v32
	v_min_u32_e32 v59, 32, v56
	v_subrev_u32_e32 v56, 28, v59
	v_lshlrev_b64 v[56:57], v56, v[30:31]
	v_lshrrev_b32_e32 v58, 3, v55
	v_sub_u32_e32 v30, 29, v59
	v_and_b32_e32 v56, 7, v56
	v_cmp_gt_u32_e32 vcc, 8, v55
	v_cndmask_b32_e32 v30, v58, v30, vcc
	v_cndmask_b32_e32 v32, v32, v56, vcc
	v_lshlrev_b32_e32 v55, 16, v33
	v_bfrev_b32_e32 v56, 60
	v_lshlrev_b32_e32 v32, 20, v32
	v_and_b32_e32 v55, 0x80000000, v55
	v_lshl_add_u32 v30, v30, 23, v56
	v_or3_b32 v30, v55, v30, v32
	v_lshrrev_b32_e32 v32, 16, v30
.LBB892_93:
	s_or_b64 exec, exec, s[10:11]
.LBB892_94:
	s_or_b64 exec, exec, s[8:9]
.LBB892_95:
	s_or_b64 exec, exec, s[2:3]
	s_movk_i32 s2, 0xff
	v_and_b32_sdwa v57, v33, s2 dst_sel:DWORD dst_unused:UNUSED_PAD src0_sel:WORD_1 src1_sel:DWORD
	v_lshrrev_b32_e32 v30, 16, v33
	v_cmp_ne_u16_e32 vcc, 0, v57
	v_mov_b32_e32 v55, 0
	v_mov_b32_e32 v56, 0
	s_and_saveexec_b64 s[2:3], vcc
	s_cbranch_execz .LBB892_101
; %bb.96:
	s_movk_i32 s8, 0x80
	v_cmp_ne_u16_e32 vcc, s8, v57
	v_mov_b32_e32 v56, 0xffff8000
	s_and_saveexec_b64 s[8:9], vcc
	s_cbranch_execz .LBB892_100
; %bb.97:
	v_bfe_u32 v57, v33, 16, 7
	s_movk_i32 s10, 0x7f
	v_cmp_ne_u32_e32 vcc, s10, v57
	v_mov_b32_e32 v56, 0x7f80
	s_and_saveexec_b64 s[10:11], vcc
	s_cbranch_execz .LBB892_99
; %bb.98:
	v_and_b32_e32 v56, 7, v30
	v_ffbh_u32_e32 v58, v56
	v_min_u32_e32 v61, 32, v58
	v_subrev_u32_e32 v58, 28, v61
	v_lshlrev_b64 v[58:59], v58, v[30:31]
	v_lshrrev_b32_e32 v60, 3, v57
	v_sub_u32_e32 v30, 29, v61
	v_and_b32_e32 v58, 7, v58
	v_cmp_gt_u32_e32 vcc, 8, v57
	v_mov_b32_e32 v57, 24
	v_cndmask_b32_e32 v30, v60, v30, vcc
	v_cndmask_b32_e32 v56, v56, v58, vcc
	v_lshlrev_b32_sdwa v57, v57, v33 dst_sel:DWORD dst_unused:UNUSED_PAD src0_sel:DWORD src1_sel:WORD_1
	v_bfrev_b32_e32 v58, 60
	v_lshlrev_b32_e32 v56, 20, v56
	v_and_b32_e32 v57, 0x80000000, v57
	v_lshl_add_u32 v30, v30, 23, v58
	v_or3_b32 v30, v57, v30, v56
	v_lshrrev_b32_e32 v56, 16, v30
.LBB892_99:
	s_or_b64 exec, exec, s[10:11]
.LBB892_100:
	s_or_b64 exec, exec, s[8:9]
.LBB892_101:
	s_or_b64 exec, exec, s[2:3]
	s_mov_b32 s2, 0xffffff
	v_cmp_lt_u32_e32 vcc, s2, v33
	s_and_saveexec_b64 s[2:3], vcc
	s_cbranch_execz .LBB892_107
; %bb.102:
	v_lshrrev_b32_e32 v30, 24, v33
	s_movk_i32 s8, 0x80
	v_cmp_ne_u32_e32 vcc, s8, v30
	v_mov_b32_e32 v55, 0xffff8000
	s_and_saveexec_b64 s[8:9], vcc
	s_cbranch_execz .LBB892_106
; %bb.103:
	v_bfe_u32 v33, v33, 24, 7
	s_movk_i32 s10, 0x7f
	v_cmp_ne_u32_e32 vcc, s10, v33
	v_mov_b32_e32 v55, 0x7f80
	s_and_saveexec_b64 s[10:11], vcc
	s_cbranch_execz .LBB892_105
; %bb.104:
	v_and_b32_e32 v55, 7, v30
	v_ffbh_u32_e32 v58, v55
	v_min_u32_e32 v60, 32, v58
	v_subrev_u32_e32 v58, 28, v60
	v_lshlrev_b64 v[58:59], v58, v[30:31]
	v_lshrrev_b32_e32 v57, 3, v33
	v_sub_u32_e32 v59, 29, v60
	v_and_b32_e32 v58, 7, v58
	v_cmp_gt_u32_e32 vcc, 8, v33
	v_cndmask_b32_e32 v33, v57, v59, vcc
	v_cndmask_b32_e32 v55, v55, v58, vcc
	v_lshlrev_b32_e32 v30, 24, v30
	v_bfrev_b32_e32 v57, 60
	v_lshlrev_b32_e32 v55, 20, v55
	v_and_b32_e32 v30, 0x80000000, v30
	v_lshl_add_u32 v33, v33, 23, v57
	v_or3_b32 v30, v30, v33, v55
	v_lshrrev_b32_e32 v55, 16, v30
.LBB892_105:
	s_or_b64 exec, exec, s[10:11]
.LBB892_106:
	s_or_b64 exec, exec, s[8:9]
.LBB892_107:
	s_or_b64 exec, exec, s[2:3]
	s_mov_b32 s2, 0x5040100
	v_perm_b32 v53, v52, v53, s2
	v_perm_b32 v52, v31, v51, s2
	;; [unrolled: 1-line block ×4, first 2 shown]
	v_mfma_f32_16x16x16bf16_1k v[58:61], v[52:53], v[18:19], v[42:45]
	s_nop 6
	v_mov_b32_e32 v43, 0
	s_waitcnt vmcnt(6)
	v_cmp_ne_u16_sdwa s[8:9], v38, v43 src0_sel:BYTE_0 src1_sel:DWORD
	v_mfma_f32_16x16x16bf16_1k v[30:33], v[30:31], v[20:21], v[58:61]
	v_mov_b32_e32 v44, 0
	s_and_saveexec_b64 s[2:3], s[8:9]
	s_cbranch_execz .LBB892_113
; %bb.108:
	s_movk_i32 s8, 0x80
	v_cmp_ne_u16_sdwa s[10:11], v38, s8 src0_sel:BYTE_0 src1_sel:DWORD
	v_mov_b32_e32 v44, 0xffff8000
	s_and_saveexec_b64 s[8:9], s[10:11]
	s_cbranch_execz .LBB892_112
; %bb.109:
	s_movk_i32 s10, 0x7f
	v_and_b32_e32 v42, 0x7f, v38
	v_cmp_ne_u32_e32 vcc, s10, v42
	v_mov_b32_e32 v44, 0x7f80
	s_and_saveexec_b64 s[10:11], vcc
	s_cbranch_execz .LBB892_111
; %bb.110:
	v_and_b32_e32 v51, 7, v38
	v_ffbh_u32_e32 v44, v51
	v_min_u32_e32 v53, 32, v44
	v_subrev_u32_e32 v44, 28, v53
	v_lshlrev_b64 v[44:45], v44, v[38:39]
	v_lshrrev_b32_e32 v52, 3, v42
	v_sub_u32_e32 v45, 29, v53
	v_and_b32_e32 v44, 7, v44
	v_cmp_gt_u32_e32 vcc, 8, v42
	v_cndmask_b32_e32 v42, v52, v45, vcc
	v_cndmask_b32_e32 v44, v51, v44, vcc
	v_lshlrev_b32_e32 v45, 24, v38
	v_bfrev_b32_e32 v51, 60
	v_lshlrev_b32_e32 v44, 20, v44
	v_and_b32_e32 v45, 0x80000000, v45
	v_lshl_add_u32 v42, v42, 23, v51
	v_or3_b32 v42, v45, v42, v44
	v_lshrrev_b32_e32 v44, 16, v42
.LBB892_111:
	s_or_b64 exec, exec, s[10:11]
.LBB892_112:
	s_or_b64 exec, exec, s[8:9]
.LBB892_113:
	s_or_b64 exec, exec, s[2:3]
	v_lshrrev_b16_e32 v42, 8, v38
	v_cmp_ne_u16_e32 vcc, 0, v42
	s_and_saveexec_b64 s[2:3], vcc
	s_cbranch_execz .LBB892_119
; %bb.114:
	s_movk_i32 s8, 0x80
	v_cmp_ne_u16_e32 vcc, s8, v42
	v_mov_b32_e32 v43, 0xffff8000
	s_and_saveexec_b64 s[8:9], vcc
	s_cbranch_execz .LBB892_118
; %bb.115:
	s_movk_i32 s10, 0x7f
	v_and_b32_e32 v45, 0x7f, v42
	v_cmp_ne_u32_e32 vcc, s10, v45
	v_mov_b32_e32 v43, 0x7f80
	s_and_saveexec_b64 s[10:11], vcc
	s_cbranch_execz .LBB892_117
; %bb.116:
	v_and_b32_e32 v51, 7, v42
	v_ffbh_u32_e32 v43, v51
	v_min_u32_e32 v53, 32, v43
	v_subrev_u32_e32 v43, 28, v53
	v_lshlrev_b64 v[42:43], v43, v[42:43]
	v_lshrrev_b32_e32 v52, 3, v45
	v_sub_u32_e32 v43, 29, v53
	v_and_b32_e32 v42, 7, v42
	v_cmp_gt_u32_e32 vcc, 8, v45
	v_cndmask_b32_e32 v43, v52, v43, vcc
	v_cndmask_b32_e32 v42, v51, v42, vcc
	v_lshlrev_b32_e32 v45, 16, v38
	v_bfrev_b32_e32 v51, 60
	v_lshlrev_b32_e32 v42, 20, v42
	v_and_b32_e32 v45, 0x80000000, v45
	v_lshl_add_u32 v43, v43, 23, v51
	v_or3_b32 v42, v45, v43, v42
	v_lshrrev_b32_e32 v43, 16, v42
.LBB892_117:
	s_or_b64 exec, exec, s[10:11]
.LBB892_118:
	s_or_b64 exec, exec, s[8:9]
.LBB892_119:
	s_or_b64 exec, exec, s[2:3]
	s_movk_i32 s2, 0xff
	v_and_b32_sdwa v52, v38, s2 dst_sel:DWORD dst_unused:UNUSED_PAD src0_sel:WORD_1 src1_sel:DWORD
	v_lshrrev_b32_e32 v42, 16, v38
	v_cmp_ne_u16_e32 vcc, 0, v52
	v_mov_b32_e32 v45, 0
	v_mov_b32_e32 v51, 0
	s_and_saveexec_b64 s[2:3], vcc
	s_cbranch_execz .LBB892_125
; %bb.120:
	s_movk_i32 s8, 0x80
	v_cmp_ne_u16_e32 vcc, s8, v52
	v_mov_b32_e32 v51, 0xffff8000
	s_and_saveexec_b64 s[8:9], vcc
	s_cbranch_execz .LBB892_124
; %bb.121:
	v_bfe_u32 v52, v38, 16, 7
	s_movk_i32 s10, 0x7f
	v_cmp_ne_u32_e32 vcc, s10, v52
	v_mov_b32_e32 v51, 0x7f80
	s_and_saveexec_b64 s[10:11], vcc
	s_cbranch_execz .LBB892_123
; %bb.122:
	v_and_b32_e32 v51, 7, v42
	v_ffbh_u32_e32 v54, v51
	v_min_u32_e32 v56, 32, v54
	v_subrev_u32_e32 v54, 28, v56
	v_lshlrev_b64 v[54:55], v54, v[42:43]
	v_lshrrev_b32_e32 v53, 3, v52
	v_sub_u32_e32 v42, 29, v56
	v_and_b32_e32 v54, 7, v54
	v_cmp_gt_u32_e32 vcc, 8, v52
	v_mov_b32_e32 v52, 24
	v_cndmask_b32_e32 v42, v53, v42, vcc
	v_cndmask_b32_e32 v51, v51, v54, vcc
	v_lshlrev_b32_sdwa v52, v52, v38 dst_sel:DWORD dst_unused:UNUSED_PAD src0_sel:DWORD src1_sel:WORD_1
	v_bfrev_b32_e32 v53, 60
	v_lshlrev_b32_e32 v51, 20, v51
	v_and_b32_e32 v52, 0x80000000, v52
	v_lshl_add_u32 v42, v42, 23, v53
	v_or3_b32 v42, v52, v42, v51
	v_lshrrev_b32_e32 v51, 16, v42
.LBB892_123:
	s_or_b64 exec, exec, s[10:11]
.LBB892_124:
	s_or_b64 exec, exec, s[8:9]
.LBB892_125:
	s_or_b64 exec, exec, s[2:3]
	s_mov_b32 s2, 0xffffff
	v_cmp_lt_u32_e32 vcc, s2, v38
	s_and_saveexec_b64 s[2:3], vcc
	s_cbranch_execz .LBB892_131
; %bb.126:
	v_lshrrev_b32_e32 v42, 24, v38
	s_movk_i32 s8, 0x80
	v_cmp_ne_u32_e32 vcc, s8, v42
	v_mov_b32_e32 v45, 0xffff8000
	s_and_saveexec_b64 s[8:9], vcc
	s_cbranch_execz .LBB892_130
; %bb.127:
	v_bfe_u32 v38, v38, 24, 7
	s_movk_i32 s10, 0x7f
	v_cmp_ne_u32_e32 vcc, s10, v38
	v_mov_b32_e32 v45, 0x7f80
	s_and_saveexec_b64 s[10:11], vcc
	s_cbranch_execz .LBB892_129
; %bb.128:
	v_and_b32_e32 v45, 7, v42
	v_ffbh_u32_e32 v52, v45
	v_min_u32_e32 v55, 32, v52
	v_subrev_u32_e32 v52, 28, v55
	v_lshlrev_b64 v[52:53], v52, v[42:43]
	v_lshrrev_b32_e32 v54, 3, v38
	v_sub_u32_e32 v53, 29, v55
	v_and_b32_e32 v52, 7, v52
	v_cmp_gt_u32_e32 vcc, 8, v38
	v_cndmask_b32_e32 v38, v54, v53, vcc
	v_cndmask_b32_e32 v45, v45, v52, vcc
	v_lshlrev_b32_e32 v42, 24, v42
	v_bfrev_b32_e32 v52, 60
	v_lshlrev_b32_e32 v45, 20, v45
	v_and_b32_e32 v42, 0x80000000, v42
	v_lshl_add_u32 v38, v38, 23, v52
	v_or3_b32 v38, v42, v38, v45
	v_lshrrev_b32_e32 v45, 16, v38
.LBB892_129:
	s_or_b64 exec, exec, s[10:11]
.LBB892_130:
	s_or_b64 exec, exec, s[8:9]
.LBB892_131:
	s_or_b64 exec, exec, s[2:3]
	v_mov_b32_e32 v42, 0
	v_cmp_ne_u16_sdwa s[8:9], v39, v42 src0_sel:BYTE_0 src1_sel:DWORD
	v_mov_b32_e32 v52, 0
	s_and_saveexec_b64 s[2:3], s[8:9]
	s_cbranch_execz .LBB892_137
; %bb.132:
	s_movk_i32 s8, 0x80
	v_cmp_ne_u16_sdwa s[10:11], v39, s8 src0_sel:BYTE_0 src1_sel:DWORD
	v_mov_b32_e32 v52, 0xffff8000
	s_and_saveexec_b64 s[8:9], s[10:11]
	s_cbranch_execz .LBB892_136
; %bb.133:
	s_movk_i32 s10, 0x7f
	v_and_b32_e32 v38, 0x7f, v39
	v_cmp_ne_u32_e32 vcc, s10, v38
	v_mov_b32_e32 v52, 0x7f80
	s_and_saveexec_b64 s[10:11], vcc
	s_cbranch_execz .LBB892_135
; %bb.134:
	v_and_b32_e32 v54, 7, v39
	v_ffbh_u32_e32 v53, v54
	v_min_u32_e32 v56, 32, v53
	v_mov_b32_e32 v52, v39
	v_subrev_u32_e32 v53, 28, v56
	v_lshlrev_b64 v[52:53], v53, v[52:53]
	v_lshrrev_b32_e32 v55, 3, v38
	v_sub_u32_e32 v53, 29, v56
	v_and_b32_e32 v52, 7, v52
	v_cmp_gt_u32_e32 vcc, 8, v38
	v_cndmask_b32_e32 v38, v55, v53, vcc
	v_cndmask_b32_e32 v52, v54, v52, vcc
	v_lshlrev_b32_e32 v53, 24, v39
	v_bfrev_b32_e32 v54, 60
	v_lshlrev_b32_e32 v52, 20, v52
	v_and_b32_e32 v53, 0x80000000, v53
	v_lshl_add_u32 v38, v38, 23, v54
	v_or3_b32 v38, v53, v38, v52
	v_lshrrev_b32_e32 v52, 16, v38
.LBB892_135:
	s_or_b64 exec, exec, s[10:11]
.LBB892_136:
	s_or_b64 exec, exec, s[8:9]
.LBB892_137:
	s_or_b64 exec, exec, s[2:3]
	v_lshrrev_b16_e32 v38, 8, v39
	v_cmp_ne_u16_e32 vcc, 0, v38
	s_and_saveexec_b64 s[2:3], vcc
	s_cbranch_execz .LBB892_143
; %bb.138:
	s_movk_i32 s8, 0x80
	v_cmp_ne_u16_e32 vcc, s8, v38
	v_mov_b32_e32 v42, 0xffff8000
	s_and_saveexec_b64 s[8:9], vcc
	s_cbranch_execz .LBB892_142
; %bb.139:
	s_movk_i32 s10, 0x7f
	v_and_b32_e32 v53, 0x7f, v38
	v_cmp_ne_u32_e32 vcc, s10, v53
	v_mov_b32_e32 v42, 0x7f80
	s_and_saveexec_b64 s[10:11], vcc
	s_cbranch_execz .LBB892_141
; %bb.140:
	v_and_b32_e32 v42, 7, v38
	v_ffbh_u32_e32 v54, v42
	v_min_u32_e32 v57, 32, v54
	v_subrev_u32_e32 v54, 28, v57
	v_lshlrev_b64 v[54:55], v54, v[38:39]
	v_lshrrev_b32_e32 v56, 3, v53
	v_sub_u32_e32 v38, 29, v57
	v_and_b32_e32 v54, 7, v54
	v_cmp_gt_u32_e32 vcc, 8, v53
	v_cndmask_b32_e32 v38, v56, v38, vcc
	v_cndmask_b32_e32 v42, v42, v54, vcc
	v_lshlrev_b32_e32 v53, 16, v39
	v_bfrev_b32_e32 v54, 60
	v_lshlrev_b32_e32 v42, 20, v42
	v_and_b32_e32 v53, 0x80000000, v53
	v_lshl_add_u32 v38, v38, 23, v54
	v_or3_b32 v38, v53, v38, v42
	v_lshrrev_b32_e32 v42, 16, v38
.LBB892_141:
	s_or_b64 exec, exec, s[10:11]
.LBB892_142:
	s_or_b64 exec, exec, s[8:9]
.LBB892_143:
	s_or_b64 exec, exec, s[2:3]
	s_movk_i32 s2, 0xff
	v_and_b32_sdwa v55, v39, s2 dst_sel:DWORD dst_unused:UNUSED_PAD src0_sel:WORD_1 src1_sel:DWORD
	v_lshrrev_b32_e32 v38, 16, v39
	v_cmp_ne_u16_e32 vcc, 0, v55
	v_mov_b32_e32 v53, 0
	v_mov_b32_e32 v54, 0
	s_and_saveexec_b64 s[2:3], vcc
	s_cbranch_execz .LBB892_149
; %bb.144:
	s_movk_i32 s8, 0x80
	v_cmp_ne_u16_e32 vcc, s8, v55
	v_mov_b32_e32 v54, 0xffff8000
	s_and_saveexec_b64 s[8:9], vcc
	s_cbranch_execz .LBB892_148
; %bb.145:
	v_bfe_u32 v55, v39, 16, 7
	s_movk_i32 s10, 0x7f
	v_cmp_ne_u32_e32 vcc, s10, v55
	v_mov_b32_e32 v54, 0x7f80
	s_and_saveexec_b64 s[10:11], vcc
	s_cbranch_execz .LBB892_147
; %bb.146:
	v_and_b32_e32 v54, 7, v38
	v_ffbh_u32_e32 v56, v54
	v_min_u32_e32 v59, 32, v56
	v_subrev_u32_e32 v56, 28, v59
	v_lshlrev_b64 v[56:57], v56, v[38:39]
	v_lshrrev_b32_e32 v58, 3, v55
	v_sub_u32_e32 v38, 29, v59
	v_and_b32_e32 v56, 7, v56
	v_cmp_gt_u32_e32 vcc, 8, v55
	v_mov_b32_e32 v55, 24
	v_cndmask_b32_e32 v38, v58, v38, vcc
	v_cndmask_b32_e32 v54, v54, v56, vcc
	v_lshlrev_b32_sdwa v55, v55, v39 dst_sel:DWORD dst_unused:UNUSED_PAD src0_sel:DWORD src1_sel:WORD_1
	v_bfrev_b32_e32 v56, 60
	v_lshlrev_b32_e32 v54, 20, v54
	v_and_b32_e32 v55, 0x80000000, v55
	v_lshl_add_u32 v38, v38, 23, v56
	v_or3_b32 v38, v55, v38, v54
	v_lshrrev_b32_e32 v54, 16, v38
.LBB892_147:
	s_or_b64 exec, exec, s[10:11]
.LBB892_148:
	s_or_b64 exec, exec, s[8:9]
.LBB892_149:
	s_or_b64 exec, exec, s[2:3]
	s_mov_b32 s2, 0xffffff
	v_cmp_lt_u32_e32 vcc, s2, v39
	s_and_saveexec_b64 s[2:3], vcc
	s_cbranch_execz .LBB892_155
; %bb.150:
	v_lshrrev_b32_e32 v38, 24, v39
	s_movk_i32 s8, 0x80
	v_cmp_ne_u32_e32 vcc, s8, v38
	v_mov_b32_e32 v53, 0xffff8000
	s_and_saveexec_b64 s[8:9], vcc
	s_cbranch_execz .LBB892_154
; %bb.151:
	v_bfe_u32 v39, v39, 24, 7
	s_movk_i32 s10, 0x7f
	v_cmp_ne_u32_e32 vcc, s10, v39
	v_mov_b32_e32 v53, 0x7f80
	s_and_saveexec_b64 s[10:11], vcc
	s_cbranch_execz .LBB892_153
; %bb.152:
	v_and_b32_e32 v53, 7, v38
	v_ffbh_u32_e32 v56, v53
	v_min_u32_e32 v58, 32, v56
	v_subrev_u32_e32 v56, 28, v58
	v_lshlrev_b64 v[56:57], v56, v[38:39]
	v_lshrrev_b32_e32 v55, 3, v39
	v_sub_u32_e32 v57, 29, v58
	v_and_b32_e32 v56, 7, v56
	v_cmp_gt_u32_e32 vcc, 8, v39
	v_cndmask_b32_e32 v39, v55, v57, vcc
	v_cndmask_b32_e32 v53, v53, v56, vcc
	v_lshlrev_b32_e32 v38, 24, v38
	v_bfrev_b32_e32 v55, 60
	v_lshlrev_b32_e32 v53, 20, v53
	v_and_b32_e32 v38, 0x80000000, v38
	v_lshl_add_u32 v39, v39, 23, v55
	v_or3_b32 v38, v38, v39, v53
	v_lshrrev_b32_e32 v53, 16, v38
.LBB892_153:
	s_or_b64 exec, exec, s[10:11]
.LBB892_154:
	s_or_b64 exec, exec, s[8:9]
.LBB892_155:
	s_or_b64 exec, exec, s[2:3]
	s_mov_b32 s2, 0x5040100
	v_perm_b32 v39, v45, v51, s2
	v_perm_b32 v38, v43, v44, s2
	;; [unrolled: 1-line block ×4, first 2 shown]
	v_mov_b32_e32 v51, 0
	v_mfma_f32_16x16x16bf16_1k v[56:59], v[38:39], v[26:27], 0
	v_mov_b32_e32 v39, 0
	v_cmp_ne_u16_sdwa s[8:9], v40, v39 src0_sel:BYTE_0 src1_sel:DWORD
	v_mfma_f32_16x16x16bf16_1k v[42:45], v[42:43], v[28:29], v[56:59]
	s_and_saveexec_b64 s[2:3], s[8:9]
	s_cbranch_execz .LBB892_161
; %bb.156:
	s_movk_i32 s8, 0x80
	v_cmp_ne_u16_sdwa s[10:11], v40, s8 src0_sel:BYTE_0 src1_sel:DWORD
	v_mov_b32_e32 v51, 0xffff8000
	s_and_saveexec_b64 s[8:9], s[10:11]
	s_cbranch_execz .LBB892_160
; %bb.157:
	s_movk_i32 s10, 0x7f
	v_and_b32_e32 v38, 0x7f, v40
	v_cmp_ne_u32_e32 vcc, s10, v38
	v_mov_b32_e32 v51, 0x7f80
	s_and_saveexec_b64 s[10:11], vcc
	s_cbranch_execz .LBB892_159
; %bb.158:
	v_and_b32_e32 v51, 7, v40
	v_ffbh_u32_e32 v52, v51
	v_min_u32_e32 v55, 32, v52
	v_subrev_u32_e32 v52, 28, v55
	v_lshlrev_b64 v[52:53], v52, v[40:41]
	v_lshrrev_b32_e32 v54, 3, v38
	v_sub_u32_e32 v53, 29, v55
	v_and_b32_e32 v52, 7, v52
	v_cmp_gt_u32_e32 vcc, 8, v38
	v_cndmask_b32_e32 v38, v54, v53, vcc
	v_cndmask_b32_e32 v51, v51, v52, vcc
	v_lshlrev_b32_e32 v52, 24, v40
	v_bfrev_b32_e32 v53, 60
	v_lshlrev_b32_e32 v51, 20, v51
	v_and_b32_e32 v52, 0x80000000, v52
	v_lshl_add_u32 v38, v38, 23, v53
	v_or3_b32 v38, v52, v38, v51
	v_lshrrev_b32_e32 v51, 16, v38
.LBB892_159:
	s_or_b64 exec, exec, s[10:11]
.LBB892_160:
	s_or_b64 exec, exec, s[8:9]
.LBB892_161:
	s_or_b64 exec, exec, s[2:3]
	v_lshrrev_b16_e32 v38, 8, v40
	v_cmp_ne_u16_e32 vcc, 0, v38
	s_and_saveexec_b64 s[2:3], vcc
	s_cbranch_execz .LBB892_167
; %bb.162:
	s_movk_i32 s8, 0x80
	v_cmp_ne_u16_e32 vcc, s8, v38
	v_mov_b32_e32 v39, 0xffff8000
	s_and_saveexec_b64 s[8:9], vcc
	s_cbranch_execz .LBB892_166
; %bb.163:
	s_movk_i32 s10, 0x7f
	v_and_b32_e32 v52, 0x7f, v38
	v_cmp_ne_u32_e32 vcc, s10, v52
	v_mov_b32_e32 v39, 0x7f80
	s_and_saveexec_b64 s[10:11], vcc
	s_cbranch_execz .LBB892_165
; %bb.164:
	v_and_b32_e32 v53, 7, v38
	v_ffbh_u32_e32 v39, v53
	v_min_u32_e32 v55, 32, v39
	v_subrev_u32_e32 v39, 28, v55
	v_lshlrev_b64 v[38:39], v39, v[38:39]
	v_lshrrev_b32_e32 v54, 3, v52
	v_sub_u32_e32 v39, 29, v55
	v_and_b32_e32 v38, 7, v38
	v_cmp_gt_u32_e32 vcc, 8, v52
	v_cndmask_b32_e32 v39, v54, v39, vcc
	v_cndmask_b32_e32 v38, v53, v38, vcc
	v_lshlrev_b32_e32 v52, 16, v40
	v_bfrev_b32_e32 v53, 60
	v_lshlrev_b32_e32 v38, 20, v38
	v_and_b32_e32 v52, 0x80000000, v52
	v_lshl_add_u32 v39, v39, 23, v53
	v_or3_b32 v38, v52, v39, v38
	v_lshrrev_b32_e32 v39, 16, v38
.LBB892_165:
	s_or_b64 exec, exec, s[10:11]
.LBB892_166:
	s_or_b64 exec, exec, s[8:9]
.LBB892_167:
	s_or_b64 exec, exec, s[2:3]
	s_movk_i32 s2, 0xff
	v_and_b32_sdwa v54, v40, s2 dst_sel:DWORD dst_unused:UNUSED_PAD src0_sel:WORD_1 src1_sel:DWORD
	v_lshrrev_b32_e32 v38, 16, v40
	v_cmp_ne_u16_e32 vcc, 0, v54
	v_mov_b32_e32 v52, 0
	v_mov_b32_e32 v53, 0
	s_and_saveexec_b64 s[2:3], vcc
	s_cbranch_execz .LBB892_173
; %bb.168:
	s_movk_i32 s8, 0x80
	v_cmp_ne_u16_e32 vcc, s8, v54
	v_mov_b32_e32 v53, 0xffff8000
	s_and_saveexec_b64 s[8:9], vcc
	s_cbranch_execz .LBB892_172
; %bb.169:
	v_bfe_u32 v54, v40, 16, 7
	s_movk_i32 s10, 0x7f
	v_cmp_ne_u32_e32 vcc, s10, v54
	v_mov_b32_e32 v53, 0x7f80
	s_and_saveexec_b64 s[10:11], vcc
	s_cbranch_execz .LBB892_171
; %bb.170:
	v_and_b32_e32 v53, 7, v38
	v_ffbh_u32_e32 v56, v53
	v_min_u32_e32 v58, 32, v56
	v_subrev_u32_e32 v56, 28, v58
	v_lshlrev_b64 v[56:57], v56, v[38:39]
	v_lshrrev_b32_e32 v55, 3, v54
	v_sub_u32_e32 v38, 29, v58
	v_and_b32_e32 v56, 7, v56
	v_cmp_gt_u32_e32 vcc, 8, v54
	v_mov_b32_e32 v54, 24
	v_cndmask_b32_e32 v38, v55, v38, vcc
	v_cndmask_b32_e32 v53, v53, v56, vcc
	v_lshlrev_b32_sdwa v54, v54, v40 dst_sel:DWORD dst_unused:UNUSED_PAD src0_sel:DWORD src1_sel:WORD_1
	v_bfrev_b32_e32 v55, 60
	v_lshlrev_b32_e32 v53, 20, v53
	v_and_b32_e32 v54, 0x80000000, v54
	v_lshl_add_u32 v38, v38, 23, v55
	v_or3_b32 v38, v54, v38, v53
	v_lshrrev_b32_e32 v53, 16, v38
.LBB892_171:
	s_or_b64 exec, exec, s[10:11]
.LBB892_172:
	s_or_b64 exec, exec, s[8:9]
.LBB892_173:
	s_or_b64 exec, exec, s[2:3]
	s_mov_b32 s2, 0xffffff
	v_cmp_lt_u32_e32 vcc, s2, v40
	s_and_saveexec_b64 s[2:3], vcc
	s_cbranch_execz .LBB892_179
; %bb.174:
	v_lshrrev_b32_e32 v38, 24, v40
	s_movk_i32 s8, 0x80
	v_cmp_ne_u32_e32 vcc, s8, v38
	v_mov_b32_e32 v52, 0xffff8000
	s_and_saveexec_b64 s[8:9], vcc
	s_cbranch_execz .LBB892_178
; %bb.175:
	v_bfe_u32 v40, v40, 24, 7
	s_movk_i32 s10, 0x7f
	v_cmp_ne_u32_e32 vcc, s10, v40
	v_mov_b32_e32 v52, 0x7f80
	s_and_saveexec_b64 s[10:11], vcc
	s_cbranch_execz .LBB892_177
; %bb.176:
	v_and_b32_e32 v52, 7, v38
	v_ffbh_u32_e32 v54, v52
	v_min_u32_e32 v57, 32, v54
	v_subrev_u32_e32 v54, 28, v57
	v_lshlrev_b64 v[54:55], v54, v[38:39]
	v_lshrrev_b32_e32 v56, 3, v40
	v_sub_u32_e32 v55, 29, v57
	v_and_b32_e32 v54, 7, v54
	v_cmp_gt_u32_e32 vcc, 8, v40
	v_cndmask_b32_e32 v40, v56, v55, vcc
	v_cndmask_b32_e32 v52, v52, v54, vcc
	v_lshlrev_b32_e32 v38, 24, v38
	v_bfrev_b32_e32 v54, 60
	v_lshlrev_b32_e32 v52, 20, v52
	v_and_b32_e32 v38, 0x80000000, v38
	v_lshl_add_u32 v40, v40, 23, v54
	v_or3_b32 v38, v38, v40, v52
	v_lshrrev_b32_e32 v52, 16, v38
.LBB892_177:
	s_or_b64 exec, exec, s[10:11]
.LBB892_178:
	s_or_b64 exec, exec, s[8:9]
.LBB892_179:
	s_or_b64 exec, exec, s[2:3]
	v_mov_b32_e32 v40, 0
	v_cmp_ne_u16_sdwa s[8:9], v41, v40 src0_sel:BYTE_0 src1_sel:DWORD
	v_mov_b32_e32 v54, 0
	s_and_saveexec_b64 s[2:3], s[8:9]
	s_cbranch_execz .LBB892_185
; %bb.180:
	s_movk_i32 s8, 0x80
	v_cmp_ne_u16_sdwa s[10:11], v41, s8 src0_sel:BYTE_0 src1_sel:DWORD
	v_mov_b32_e32 v54, 0xffff8000
	s_and_saveexec_b64 s[8:9], s[10:11]
	s_cbranch_execz .LBB892_184
; %bb.181:
	s_movk_i32 s10, 0x7f
	v_and_b32_e32 v38, 0x7f, v41
	v_cmp_ne_u32_e32 vcc, s10, v38
	v_mov_b32_e32 v54, 0x7f80
	s_and_saveexec_b64 s[10:11], vcc
	s_cbranch_execz .LBB892_183
; %bb.182:
	v_and_b32_e32 v56, 7, v41
	v_ffbh_u32_e32 v55, v56
	v_min_u32_e32 v58, 32, v55
	v_mov_b32_e32 v54, v41
	v_subrev_u32_e32 v55, 28, v58
	v_lshlrev_b64 v[54:55], v55, v[54:55]
	v_lshrrev_b32_e32 v57, 3, v38
	v_sub_u32_e32 v55, 29, v58
	v_and_b32_e32 v54, 7, v54
	v_cmp_gt_u32_e32 vcc, 8, v38
	v_cndmask_b32_e32 v38, v57, v55, vcc
	v_cndmask_b32_e32 v54, v56, v54, vcc
	v_lshlrev_b32_e32 v55, 24, v41
	v_bfrev_b32_e32 v56, 60
	v_lshlrev_b32_e32 v54, 20, v54
	v_and_b32_e32 v55, 0x80000000, v55
	v_lshl_add_u32 v38, v38, 23, v56
	v_or3_b32 v38, v55, v38, v54
	v_lshrrev_b32_e32 v54, 16, v38
.LBB892_183:
	s_or_b64 exec, exec, s[10:11]
.LBB892_184:
	s_or_b64 exec, exec, s[8:9]
.LBB892_185:
	s_or_b64 exec, exec, s[2:3]
	v_lshrrev_b16_e32 v38, 8, v41
	v_cmp_ne_u16_e32 vcc, 0, v38
	s_and_saveexec_b64 s[2:3], vcc
	s_cbranch_execz .LBB892_191
; %bb.186:
	s_movk_i32 s8, 0x80
	v_cmp_ne_u16_e32 vcc, s8, v38
	v_mov_b32_e32 v40, 0xffff8000
	s_and_saveexec_b64 s[8:9], vcc
	s_cbranch_execz .LBB892_190
; %bb.187:
	s_movk_i32 s10, 0x7f
	v_and_b32_e32 v55, 0x7f, v38
	v_cmp_ne_u32_e32 vcc, s10, v55
	v_mov_b32_e32 v40, 0x7f80
	s_and_saveexec_b64 s[10:11], vcc
	s_cbranch_execz .LBB892_189
; %bb.188:
	v_and_b32_e32 v40, 7, v38
	v_ffbh_u32_e32 v56, v40
	v_min_u32_e32 v59, 32, v56
	v_subrev_u32_e32 v56, 28, v59
	v_lshlrev_b64 v[56:57], v56, v[38:39]
	v_lshrrev_b32_e32 v58, 3, v55
	v_sub_u32_e32 v38, 29, v59
	v_and_b32_e32 v56, 7, v56
	v_cmp_gt_u32_e32 vcc, 8, v55
	v_cndmask_b32_e32 v38, v58, v38, vcc
	v_cndmask_b32_e32 v40, v40, v56, vcc
	v_lshlrev_b32_e32 v55, 16, v41
	v_bfrev_b32_e32 v56, 60
	v_lshlrev_b32_e32 v40, 20, v40
	v_and_b32_e32 v55, 0x80000000, v55
	v_lshl_add_u32 v38, v38, 23, v56
	v_or3_b32 v38, v55, v38, v40
	v_lshrrev_b32_e32 v40, 16, v38
.LBB892_189:
	s_or_b64 exec, exec, s[10:11]
.LBB892_190:
	s_or_b64 exec, exec, s[8:9]
.LBB892_191:
	s_or_b64 exec, exec, s[2:3]
	s_movk_i32 s2, 0xff
	v_and_b32_sdwa v57, v41, s2 dst_sel:DWORD dst_unused:UNUSED_PAD src0_sel:WORD_1 src1_sel:DWORD
	v_lshrrev_b32_e32 v38, 16, v41
	v_cmp_ne_u16_e32 vcc, 0, v57
	v_mov_b32_e32 v55, 0
	v_mov_b32_e32 v56, 0
	s_and_saveexec_b64 s[2:3], vcc
	s_cbranch_execz .LBB892_197
; %bb.192:
	s_movk_i32 s8, 0x80
	v_cmp_ne_u16_e32 vcc, s8, v57
	v_mov_b32_e32 v56, 0xffff8000
	s_and_saveexec_b64 s[8:9], vcc
	s_cbranch_execz .LBB892_196
; %bb.193:
	v_bfe_u32 v57, v41, 16, 7
	s_movk_i32 s10, 0x7f
	v_cmp_ne_u32_e32 vcc, s10, v57
	v_mov_b32_e32 v56, 0x7f80
	s_and_saveexec_b64 s[10:11], vcc
	s_cbranch_execz .LBB892_195
; %bb.194:
	v_and_b32_e32 v56, 7, v38
	v_ffbh_u32_e32 v58, v56
	v_min_u32_e32 v61, 32, v58
	v_subrev_u32_e32 v58, 28, v61
	v_lshlrev_b64 v[58:59], v58, v[38:39]
	v_lshrrev_b32_e32 v60, 3, v57
	v_sub_u32_e32 v38, 29, v61
	v_and_b32_e32 v58, 7, v58
	v_cmp_gt_u32_e32 vcc, 8, v57
	v_mov_b32_e32 v57, 24
	v_cndmask_b32_e32 v38, v60, v38, vcc
	v_cndmask_b32_e32 v56, v56, v58, vcc
	v_lshlrev_b32_sdwa v57, v57, v41 dst_sel:DWORD dst_unused:UNUSED_PAD src0_sel:DWORD src1_sel:WORD_1
	v_bfrev_b32_e32 v58, 60
	v_lshlrev_b32_e32 v56, 20, v56
	v_and_b32_e32 v57, 0x80000000, v57
	v_lshl_add_u32 v38, v38, 23, v58
	v_or3_b32 v38, v57, v38, v56
	v_lshrrev_b32_e32 v56, 16, v38
.LBB892_195:
	s_or_b64 exec, exec, s[10:11]
.LBB892_196:
	s_or_b64 exec, exec, s[8:9]
.LBB892_197:
	s_or_b64 exec, exec, s[2:3]
	s_mov_b32 s2, 0xffffff
	v_cmp_lt_u32_e32 vcc, s2, v41
	s_and_saveexec_b64 s[2:3], vcc
	s_cbranch_execz .LBB892_203
; %bb.198:
	v_lshrrev_b32_e32 v38, 24, v41
	s_movk_i32 s8, 0x80
	v_cmp_ne_u32_e32 vcc, s8, v38
	v_mov_b32_e32 v55, 0xffff8000
	s_and_saveexec_b64 s[8:9], vcc
	s_cbranch_execz .LBB892_202
; %bb.199:
	v_bfe_u32 v41, v41, 24, 7
	s_movk_i32 s10, 0x7f
	v_cmp_ne_u32_e32 vcc, s10, v41
	v_mov_b32_e32 v55, 0x7f80
	s_and_saveexec_b64 s[10:11], vcc
	s_cbranch_execz .LBB892_201
; %bb.200:
	v_and_b32_e32 v55, 7, v38
	v_ffbh_u32_e32 v58, v55
	v_min_u32_e32 v60, 32, v58
	v_subrev_u32_e32 v58, 28, v60
	v_lshlrev_b64 v[58:59], v58, v[38:39]
	v_lshrrev_b32_e32 v57, 3, v41
	v_sub_u32_e32 v59, 29, v60
	v_and_b32_e32 v58, 7, v58
	v_cmp_gt_u32_e32 vcc, 8, v41
	v_cndmask_b32_e32 v41, v57, v59, vcc
	v_cndmask_b32_e32 v55, v55, v58, vcc
	v_lshlrev_b32_e32 v38, 24, v38
	v_bfrev_b32_e32 v57, 60
	v_lshlrev_b32_e32 v55, 20, v55
	v_and_b32_e32 v38, 0x80000000, v38
	v_lshl_add_u32 v41, v41, 23, v57
	v_or3_b32 v38, v38, v41, v55
	v_lshrrev_b32_e32 v55, 16, v38
.LBB892_201:
	s_or_b64 exec, exec, s[10:11]
.LBB892_202:
	s_or_b64 exec, exec, s[8:9]
.LBB892_203:
	s_or_b64 exec, exec, s[2:3]
	s_mov_b32 s2, 0x5040100
	v_perm_b32 v53, v52, v53, s2
	v_perm_b32 v52, v39, v51, s2
	;; [unrolled: 1-line block ×4, first 2 shown]
	v_mfma_f32_16x16x16bf16_1k v[58:61], v[52:53], v[18:19], v[42:45]
	s_nop 6
	v_mov_b32_e32 v43, 0
	s_waitcnt vmcnt(5)
	v_cmp_ne_u16_sdwa s[8:9], v34, v43 src0_sel:BYTE_0 src1_sel:DWORD
	v_mfma_f32_16x16x16bf16_1k v[38:41], v[38:39], v[20:21], v[58:61]
	v_mov_b32_e32 v44, 0
	s_and_saveexec_b64 s[2:3], s[8:9]
	s_cbranch_execz .LBB892_209
; %bb.204:
	s_movk_i32 s8, 0x80
	v_cmp_ne_u16_sdwa s[10:11], v34, s8 src0_sel:BYTE_0 src1_sel:DWORD
	v_mov_b32_e32 v44, 0xffff8000
	s_and_saveexec_b64 s[8:9], s[10:11]
	s_cbranch_execz .LBB892_208
; %bb.205:
	s_movk_i32 s10, 0x7f
	v_and_b32_e32 v42, 0x7f, v34
	v_cmp_ne_u32_e32 vcc, s10, v42
	v_mov_b32_e32 v44, 0x7f80
	s_and_saveexec_b64 s[10:11], vcc
	s_cbranch_execz .LBB892_207
; %bb.206:
	v_and_b32_e32 v51, 7, v34
	v_ffbh_u32_e32 v44, v51
	v_min_u32_e32 v53, 32, v44
	v_subrev_u32_e32 v44, 28, v53
	v_lshlrev_b64 v[44:45], v44, v[34:35]
	v_lshrrev_b32_e32 v52, 3, v42
	v_sub_u32_e32 v45, 29, v53
	v_and_b32_e32 v44, 7, v44
	v_cmp_gt_u32_e32 vcc, 8, v42
	v_cndmask_b32_e32 v42, v52, v45, vcc
	v_cndmask_b32_e32 v44, v51, v44, vcc
	v_lshlrev_b32_e32 v45, 24, v34
	v_bfrev_b32_e32 v51, 60
	v_lshlrev_b32_e32 v44, 20, v44
	v_and_b32_e32 v45, 0x80000000, v45
	v_lshl_add_u32 v42, v42, 23, v51
	v_or3_b32 v42, v45, v42, v44
	v_lshrrev_b32_e32 v44, 16, v42
.LBB892_207:
	s_or_b64 exec, exec, s[10:11]
.LBB892_208:
	s_or_b64 exec, exec, s[8:9]
.LBB892_209:
	s_or_b64 exec, exec, s[2:3]
	v_lshrrev_b16_e32 v42, 8, v34
	v_cmp_ne_u16_e32 vcc, 0, v42
	s_and_saveexec_b64 s[2:3], vcc
	s_cbranch_execz .LBB892_215
; %bb.210:
	s_movk_i32 s8, 0x80
	v_cmp_ne_u16_e32 vcc, s8, v42
	v_mov_b32_e32 v43, 0xffff8000
	s_and_saveexec_b64 s[8:9], vcc
	s_cbranch_execz .LBB892_214
; %bb.211:
	s_movk_i32 s10, 0x7f
	v_and_b32_e32 v45, 0x7f, v42
	v_cmp_ne_u32_e32 vcc, s10, v45
	v_mov_b32_e32 v43, 0x7f80
	s_and_saveexec_b64 s[10:11], vcc
	s_cbranch_execz .LBB892_213
; %bb.212:
	v_and_b32_e32 v51, 7, v42
	v_ffbh_u32_e32 v43, v51
	v_min_u32_e32 v53, 32, v43
	v_subrev_u32_e32 v43, 28, v53
	v_lshlrev_b64 v[42:43], v43, v[42:43]
	v_lshrrev_b32_e32 v52, 3, v45
	v_sub_u32_e32 v43, 29, v53
	v_and_b32_e32 v42, 7, v42
	v_cmp_gt_u32_e32 vcc, 8, v45
	v_cndmask_b32_e32 v43, v52, v43, vcc
	v_cndmask_b32_e32 v42, v51, v42, vcc
	v_lshlrev_b32_e32 v45, 16, v34
	v_bfrev_b32_e32 v51, 60
	v_lshlrev_b32_e32 v42, 20, v42
	v_and_b32_e32 v45, 0x80000000, v45
	v_lshl_add_u32 v43, v43, 23, v51
	v_or3_b32 v42, v45, v43, v42
	v_lshrrev_b32_e32 v43, 16, v42
.LBB892_213:
	s_or_b64 exec, exec, s[10:11]
.LBB892_214:
	s_or_b64 exec, exec, s[8:9]
.LBB892_215:
	s_or_b64 exec, exec, s[2:3]
	s_movk_i32 s2, 0xff
	v_and_b32_sdwa v52, v34, s2 dst_sel:DWORD dst_unused:UNUSED_PAD src0_sel:WORD_1 src1_sel:DWORD
	v_lshrrev_b32_e32 v42, 16, v34
	v_cmp_ne_u16_e32 vcc, 0, v52
	v_mov_b32_e32 v45, 0
	v_mov_b32_e32 v51, 0
	s_and_saveexec_b64 s[2:3], vcc
	s_cbranch_execz .LBB892_221
; %bb.216:
	s_movk_i32 s8, 0x80
	v_cmp_ne_u16_e32 vcc, s8, v52
	v_mov_b32_e32 v51, 0xffff8000
	s_and_saveexec_b64 s[8:9], vcc
	s_cbranch_execz .LBB892_220
; %bb.217:
	v_bfe_u32 v52, v34, 16, 7
	s_movk_i32 s10, 0x7f
	v_cmp_ne_u32_e32 vcc, s10, v52
	v_mov_b32_e32 v51, 0x7f80
	s_and_saveexec_b64 s[10:11], vcc
	s_cbranch_execz .LBB892_219
; %bb.218:
	v_and_b32_e32 v51, 7, v42
	v_ffbh_u32_e32 v54, v51
	v_min_u32_e32 v56, 32, v54
	v_subrev_u32_e32 v54, 28, v56
	v_lshlrev_b64 v[54:55], v54, v[42:43]
	v_lshrrev_b32_e32 v53, 3, v52
	v_sub_u32_e32 v42, 29, v56
	v_and_b32_e32 v54, 7, v54
	v_cmp_gt_u32_e32 vcc, 8, v52
	v_mov_b32_e32 v52, 24
	v_cndmask_b32_e32 v42, v53, v42, vcc
	v_cndmask_b32_e32 v51, v51, v54, vcc
	v_lshlrev_b32_sdwa v52, v52, v34 dst_sel:DWORD dst_unused:UNUSED_PAD src0_sel:DWORD src1_sel:WORD_1
	v_bfrev_b32_e32 v53, 60
	v_lshlrev_b32_e32 v51, 20, v51
	v_and_b32_e32 v52, 0x80000000, v52
	v_lshl_add_u32 v42, v42, 23, v53
	v_or3_b32 v42, v52, v42, v51
	v_lshrrev_b32_e32 v51, 16, v42
.LBB892_219:
	s_or_b64 exec, exec, s[10:11]
.LBB892_220:
	s_or_b64 exec, exec, s[8:9]
.LBB892_221:
	s_or_b64 exec, exec, s[2:3]
	s_mov_b32 s2, 0xffffff
	v_cmp_lt_u32_e32 vcc, s2, v34
	s_and_saveexec_b64 s[2:3], vcc
	s_cbranch_execz .LBB892_227
; %bb.222:
	v_lshrrev_b32_e32 v42, 24, v34
	s_movk_i32 s8, 0x80
	v_cmp_ne_u32_e32 vcc, s8, v42
	v_mov_b32_e32 v45, 0xffff8000
	s_and_saveexec_b64 s[8:9], vcc
	s_cbranch_execz .LBB892_226
; %bb.223:
	v_bfe_u32 v34, v34, 24, 7
	s_movk_i32 s10, 0x7f
	v_cmp_ne_u32_e32 vcc, s10, v34
	v_mov_b32_e32 v45, 0x7f80
	s_and_saveexec_b64 s[10:11], vcc
	s_cbranch_execz .LBB892_225
; %bb.224:
	v_and_b32_e32 v45, 7, v42
	v_ffbh_u32_e32 v52, v45
	v_min_u32_e32 v55, 32, v52
	v_subrev_u32_e32 v52, 28, v55
	v_lshlrev_b64 v[52:53], v52, v[42:43]
	v_lshrrev_b32_e32 v54, 3, v34
	v_sub_u32_e32 v53, 29, v55
	v_and_b32_e32 v52, 7, v52
	v_cmp_gt_u32_e32 vcc, 8, v34
	v_cndmask_b32_e32 v34, v54, v53, vcc
	v_cndmask_b32_e32 v45, v45, v52, vcc
	v_lshlrev_b32_e32 v42, 24, v42
	v_bfrev_b32_e32 v52, 60
	v_lshlrev_b32_e32 v45, 20, v45
	v_and_b32_e32 v42, 0x80000000, v42
	v_lshl_add_u32 v34, v34, 23, v52
	v_or3_b32 v34, v42, v34, v45
	v_lshrrev_b32_e32 v45, 16, v34
.LBB892_225:
	s_or_b64 exec, exec, s[10:11]
.LBB892_226:
	s_or_b64 exec, exec, s[8:9]
.LBB892_227:
	s_or_b64 exec, exec, s[2:3]
	v_mov_b32_e32 v42, 0
	v_cmp_ne_u16_sdwa s[8:9], v35, v42 src0_sel:BYTE_0 src1_sel:DWORD
	v_mov_b32_e32 v52, 0
	s_and_saveexec_b64 s[2:3], s[8:9]
	s_cbranch_execz .LBB892_233
; %bb.228:
	s_movk_i32 s8, 0x80
	v_cmp_ne_u16_sdwa s[10:11], v35, s8 src0_sel:BYTE_0 src1_sel:DWORD
	v_mov_b32_e32 v52, 0xffff8000
	s_and_saveexec_b64 s[8:9], s[10:11]
	s_cbranch_execz .LBB892_232
; %bb.229:
	s_movk_i32 s10, 0x7f
	v_and_b32_e32 v34, 0x7f, v35
	v_cmp_ne_u32_e32 vcc, s10, v34
	v_mov_b32_e32 v52, 0x7f80
	s_and_saveexec_b64 s[10:11], vcc
	s_cbranch_execz .LBB892_231
; %bb.230:
	v_and_b32_e32 v54, 7, v35
	v_ffbh_u32_e32 v53, v54
	v_min_u32_e32 v56, 32, v53
	v_mov_b32_e32 v52, v35
	v_subrev_u32_e32 v53, 28, v56
	v_lshlrev_b64 v[52:53], v53, v[52:53]
	v_lshrrev_b32_e32 v55, 3, v34
	v_sub_u32_e32 v53, 29, v56
	v_and_b32_e32 v52, 7, v52
	v_cmp_gt_u32_e32 vcc, 8, v34
	v_cndmask_b32_e32 v34, v55, v53, vcc
	v_cndmask_b32_e32 v52, v54, v52, vcc
	v_lshlrev_b32_e32 v53, 24, v35
	v_bfrev_b32_e32 v54, 60
	v_lshlrev_b32_e32 v52, 20, v52
	v_and_b32_e32 v53, 0x80000000, v53
	v_lshl_add_u32 v34, v34, 23, v54
	v_or3_b32 v34, v53, v34, v52
	v_lshrrev_b32_e32 v52, 16, v34
.LBB892_231:
	s_or_b64 exec, exec, s[10:11]
.LBB892_232:
	s_or_b64 exec, exec, s[8:9]
.LBB892_233:
	s_or_b64 exec, exec, s[2:3]
	v_lshrrev_b16_e32 v34, 8, v35
	v_cmp_ne_u16_e32 vcc, 0, v34
	s_and_saveexec_b64 s[2:3], vcc
	s_cbranch_execz .LBB892_239
; %bb.234:
	s_movk_i32 s8, 0x80
	v_cmp_ne_u16_e32 vcc, s8, v34
	v_mov_b32_e32 v42, 0xffff8000
	s_and_saveexec_b64 s[8:9], vcc
	s_cbranch_execz .LBB892_238
; %bb.235:
	s_movk_i32 s10, 0x7f
	v_and_b32_e32 v53, 0x7f, v34
	v_cmp_ne_u32_e32 vcc, s10, v53
	v_mov_b32_e32 v42, 0x7f80
	s_and_saveexec_b64 s[10:11], vcc
	s_cbranch_execz .LBB892_237
; %bb.236:
	v_and_b32_e32 v42, 7, v34
	v_ffbh_u32_e32 v54, v42
	v_min_u32_e32 v57, 32, v54
	v_subrev_u32_e32 v54, 28, v57
	v_lshlrev_b64 v[54:55], v54, v[34:35]
	v_lshrrev_b32_e32 v56, 3, v53
	v_sub_u32_e32 v34, 29, v57
	v_and_b32_e32 v54, 7, v54
	v_cmp_gt_u32_e32 vcc, 8, v53
	v_cndmask_b32_e32 v34, v56, v34, vcc
	v_cndmask_b32_e32 v42, v42, v54, vcc
	v_lshlrev_b32_e32 v53, 16, v35
	v_bfrev_b32_e32 v54, 60
	v_lshlrev_b32_e32 v42, 20, v42
	v_and_b32_e32 v53, 0x80000000, v53
	v_lshl_add_u32 v34, v34, 23, v54
	v_or3_b32 v34, v53, v34, v42
	v_lshrrev_b32_e32 v42, 16, v34
.LBB892_237:
	s_or_b64 exec, exec, s[10:11]
.LBB892_238:
	s_or_b64 exec, exec, s[8:9]
.LBB892_239:
	s_or_b64 exec, exec, s[2:3]
	s_movk_i32 s2, 0xff
	v_and_b32_sdwa v55, v35, s2 dst_sel:DWORD dst_unused:UNUSED_PAD src0_sel:WORD_1 src1_sel:DWORD
	v_lshrrev_b32_e32 v34, 16, v35
	v_cmp_ne_u16_e32 vcc, 0, v55
	v_mov_b32_e32 v53, 0
	v_mov_b32_e32 v54, 0
	s_and_saveexec_b64 s[2:3], vcc
	s_cbranch_execz .LBB892_245
; %bb.240:
	s_movk_i32 s8, 0x80
	v_cmp_ne_u16_e32 vcc, s8, v55
	v_mov_b32_e32 v54, 0xffff8000
	s_and_saveexec_b64 s[8:9], vcc
	s_cbranch_execz .LBB892_244
; %bb.241:
	v_bfe_u32 v55, v35, 16, 7
	s_movk_i32 s10, 0x7f
	v_cmp_ne_u32_e32 vcc, s10, v55
	v_mov_b32_e32 v54, 0x7f80
	s_and_saveexec_b64 s[10:11], vcc
	s_cbranch_execz .LBB892_243
; %bb.242:
	v_and_b32_e32 v54, 7, v34
	v_ffbh_u32_e32 v56, v54
	v_min_u32_e32 v59, 32, v56
	v_subrev_u32_e32 v56, 28, v59
	v_lshlrev_b64 v[56:57], v56, v[34:35]
	v_lshrrev_b32_e32 v58, 3, v55
	v_sub_u32_e32 v34, 29, v59
	v_and_b32_e32 v56, 7, v56
	v_cmp_gt_u32_e32 vcc, 8, v55
	v_mov_b32_e32 v55, 24
	v_cndmask_b32_e32 v34, v58, v34, vcc
	v_cndmask_b32_e32 v54, v54, v56, vcc
	v_lshlrev_b32_sdwa v55, v55, v35 dst_sel:DWORD dst_unused:UNUSED_PAD src0_sel:DWORD src1_sel:WORD_1
	v_bfrev_b32_e32 v56, 60
	v_lshlrev_b32_e32 v54, 20, v54
	v_and_b32_e32 v55, 0x80000000, v55
	v_lshl_add_u32 v34, v34, 23, v56
	v_or3_b32 v34, v55, v34, v54
	v_lshrrev_b32_e32 v54, 16, v34
.LBB892_243:
	s_or_b64 exec, exec, s[10:11]
.LBB892_244:
	s_or_b64 exec, exec, s[8:9]
.LBB892_245:
	s_or_b64 exec, exec, s[2:3]
	s_mov_b32 s2, 0xffffff
	v_cmp_lt_u32_e32 vcc, s2, v35
	s_and_saveexec_b64 s[2:3], vcc
	s_cbranch_execz .LBB892_251
; %bb.246:
	v_lshrrev_b32_e32 v34, 24, v35
	s_movk_i32 s8, 0x80
	v_cmp_ne_u32_e32 vcc, s8, v34
	v_mov_b32_e32 v53, 0xffff8000
	s_and_saveexec_b64 s[8:9], vcc
	s_cbranch_execz .LBB892_250
; %bb.247:
	v_bfe_u32 v35, v35, 24, 7
	s_movk_i32 s10, 0x7f
	v_cmp_ne_u32_e32 vcc, s10, v35
	v_mov_b32_e32 v53, 0x7f80
	s_and_saveexec_b64 s[10:11], vcc
	s_cbranch_execz .LBB892_249
; %bb.248:
	v_and_b32_e32 v53, 7, v34
	v_ffbh_u32_e32 v56, v53
	v_min_u32_e32 v58, 32, v56
	v_subrev_u32_e32 v56, 28, v58
	v_lshlrev_b64 v[56:57], v56, v[34:35]
	v_lshrrev_b32_e32 v55, 3, v35
	v_sub_u32_e32 v57, 29, v58
	v_and_b32_e32 v56, 7, v56
	v_cmp_gt_u32_e32 vcc, 8, v35
	v_cndmask_b32_e32 v35, v55, v57, vcc
	v_cndmask_b32_e32 v53, v53, v56, vcc
	v_lshlrev_b32_e32 v34, 24, v34
	v_bfrev_b32_e32 v55, 60
	v_lshlrev_b32_e32 v53, 20, v53
	v_and_b32_e32 v34, 0x80000000, v34
	v_lshl_add_u32 v35, v35, 23, v55
	v_or3_b32 v34, v34, v35, v53
	v_lshrrev_b32_e32 v53, 16, v34
.LBB892_249:
	s_or_b64 exec, exec, s[10:11]
.LBB892_250:
	s_or_b64 exec, exec, s[8:9]
.LBB892_251:
	s_or_b64 exec, exec, s[2:3]
	s_mov_b32 s2, 0x5040100
	v_perm_b32 v35, v45, v51, s2
	v_perm_b32 v34, v43, v44, s2
	;; [unrolled: 1-line block ×4, first 2 shown]
	v_mov_b32_e32 v51, 0
	v_mfma_f32_16x16x16bf16_1k v[56:59], v[34:35], v[26:27], 0
	v_mov_b32_e32 v35, 0
	v_cmp_ne_u16_sdwa s[8:9], v36, v35 src0_sel:BYTE_0 src1_sel:DWORD
	v_mfma_f32_16x16x16bf16_1k v[42:45], v[42:43], v[28:29], v[56:59]
	s_and_saveexec_b64 s[2:3], s[8:9]
	s_cbranch_execz .LBB892_257
; %bb.252:
	s_movk_i32 s8, 0x80
	v_cmp_ne_u16_sdwa s[10:11], v36, s8 src0_sel:BYTE_0 src1_sel:DWORD
	v_mov_b32_e32 v51, 0xffff8000
	s_and_saveexec_b64 s[8:9], s[10:11]
	s_cbranch_execz .LBB892_256
; %bb.253:
	s_movk_i32 s10, 0x7f
	v_and_b32_e32 v34, 0x7f, v36
	v_cmp_ne_u32_e32 vcc, s10, v34
	v_mov_b32_e32 v51, 0x7f80
	s_and_saveexec_b64 s[10:11], vcc
	s_cbranch_execz .LBB892_255
; %bb.254:
	v_and_b32_e32 v51, 7, v36
	v_ffbh_u32_e32 v52, v51
	v_min_u32_e32 v55, 32, v52
	v_subrev_u32_e32 v52, 28, v55
	v_lshlrev_b64 v[52:53], v52, v[36:37]
	v_lshrrev_b32_e32 v54, 3, v34
	v_sub_u32_e32 v53, 29, v55
	v_and_b32_e32 v52, 7, v52
	v_cmp_gt_u32_e32 vcc, 8, v34
	v_cndmask_b32_e32 v34, v54, v53, vcc
	v_cndmask_b32_e32 v51, v51, v52, vcc
	v_lshlrev_b32_e32 v52, 24, v36
	v_bfrev_b32_e32 v53, 60
	v_lshlrev_b32_e32 v51, 20, v51
	v_and_b32_e32 v52, 0x80000000, v52
	v_lshl_add_u32 v34, v34, 23, v53
	v_or3_b32 v34, v52, v34, v51
	v_lshrrev_b32_e32 v51, 16, v34
.LBB892_255:
	s_or_b64 exec, exec, s[10:11]
.LBB892_256:
	s_or_b64 exec, exec, s[8:9]
.LBB892_257:
	s_or_b64 exec, exec, s[2:3]
	v_lshrrev_b16_e32 v34, 8, v36
	v_cmp_ne_u16_e32 vcc, 0, v34
	s_and_saveexec_b64 s[2:3], vcc
	s_cbranch_execz .LBB892_263
; %bb.258:
	s_movk_i32 s8, 0x80
	v_cmp_ne_u16_e32 vcc, s8, v34
	v_mov_b32_e32 v35, 0xffff8000
	s_and_saveexec_b64 s[8:9], vcc
	s_cbranch_execz .LBB892_262
; %bb.259:
	s_movk_i32 s10, 0x7f
	v_and_b32_e32 v52, 0x7f, v34
	v_cmp_ne_u32_e32 vcc, s10, v52
	v_mov_b32_e32 v35, 0x7f80
	s_and_saveexec_b64 s[10:11], vcc
	s_cbranch_execz .LBB892_261
; %bb.260:
	v_and_b32_e32 v53, 7, v34
	v_ffbh_u32_e32 v35, v53
	v_min_u32_e32 v55, 32, v35
	v_subrev_u32_e32 v35, 28, v55
	v_lshlrev_b64 v[34:35], v35, v[34:35]
	v_lshrrev_b32_e32 v54, 3, v52
	v_sub_u32_e32 v35, 29, v55
	v_and_b32_e32 v34, 7, v34
	v_cmp_gt_u32_e32 vcc, 8, v52
	v_cndmask_b32_e32 v35, v54, v35, vcc
	v_cndmask_b32_e32 v34, v53, v34, vcc
	v_lshlrev_b32_e32 v52, 16, v36
	v_bfrev_b32_e32 v53, 60
	v_lshlrev_b32_e32 v34, 20, v34
	v_and_b32_e32 v52, 0x80000000, v52
	v_lshl_add_u32 v35, v35, 23, v53
	v_or3_b32 v34, v52, v35, v34
	v_lshrrev_b32_e32 v35, 16, v34
.LBB892_261:
	s_or_b64 exec, exec, s[10:11]
.LBB892_262:
	s_or_b64 exec, exec, s[8:9]
.LBB892_263:
	s_or_b64 exec, exec, s[2:3]
	s_movk_i32 s2, 0xff
	v_and_b32_sdwa v54, v36, s2 dst_sel:DWORD dst_unused:UNUSED_PAD src0_sel:WORD_1 src1_sel:DWORD
	v_lshrrev_b32_e32 v34, 16, v36
	v_cmp_ne_u16_e32 vcc, 0, v54
	v_mov_b32_e32 v52, 0
	v_mov_b32_e32 v53, 0
	s_and_saveexec_b64 s[2:3], vcc
	s_cbranch_execz .LBB892_269
; %bb.264:
	s_movk_i32 s8, 0x80
	v_cmp_ne_u16_e32 vcc, s8, v54
	v_mov_b32_e32 v53, 0xffff8000
	s_and_saveexec_b64 s[8:9], vcc
	s_cbranch_execz .LBB892_268
; %bb.265:
	v_bfe_u32 v54, v36, 16, 7
	s_movk_i32 s10, 0x7f
	v_cmp_ne_u32_e32 vcc, s10, v54
	v_mov_b32_e32 v53, 0x7f80
	s_and_saveexec_b64 s[10:11], vcc
	s_cbranch_execz .LBB892_267
; %bb.266:
	v_and_b32_e32 v53, 7, v34
	v_ffbh_u32_e32 v56, v53
	v_min_u32_e32 v58, 32, v56
	v_subrev_u32_e32 v56, 28, v58
	v_lshlrev_b64 v[56:57], v56, v[34:35]
	v_lshrrev_b32_e32 v55, 3, v54
	v_sub_u32_e32 v34, 29, v58
	v_and_b32_e32 v56, 7, v56
	v_cmp_gt_u32_e32 vcc, 8, v54
	v_mov_b32_e32 v54, 24
	v_cndmask_b32_e32 v34, v55, v34, vcc
	v_cndmask_b32_e32 v53, v53, v56, vcc
	v_lshlrev_b32_sdwa v54, v54, v36 dst_sel:DWORD dst_unused:UNUSED_PAD src0_sel:DWORD src1_sel:WORD_1
	v_bfrev_b32_e32 v55, 60
	v_lshlrev_b32_e32 v53, 20, v53
	v_and_b32_e32 v54, 0x80000000, v54
	v_lshl_add_u32 v34, v34, 23, v55
	v_or3_b32 v34, v54, v34, v53
	v_lshrrev_b32_e32 v53, 16, v34
.LBB892_267:
	s_or_b64 exec, exec, s[10:11]
.LBB892_268:
	s_or_b64 exec, exec, s[8:9]
.LBB892_269:
	s_or_b64 exec, exec, s[2:3]
	s_mov_b32 s2, 0xffffff
	v_cmp_lt_u32_e32 vcc, s2, v36
	s_and_saveexec_b64 s[2:3], vcc
	s_cbranch_execz .LBB892_275
; %bb.270:
	v_lshrrev_b32_e32 v34, 24, v36
	s_movk_i32 s8, 0x80
	v_cmp_ne_u32_e32 vcc, s8, v34
	v_mov_b32_e32 v52, 0xffff8000
	s_and_saveexec_b64 s[8:9], vcc
	s_cbranch_execz .LBB892_274
; %bb.271:
	v_bfe_u32 v36, v36, 24, 7
	s_movk_i32 s10, 0x7f
	v_cmp_ne_u32_e32 vcc, s10, v36
	v_mov_b32_e32 v52, 0x7f80
	s_and_saveexec_b64 s[10:11], vcc
	s_cbranch_execz .LBB892_273
; %bb.272:
	v_and_b32_e32 v52, 7, v34
	v_ffbh_u32_e32 v54, v52
	v_min_u32_e32 v57, 32, v54
	v_subrev_u32_e32 v54, 28, v57
	v_lshlrev_b64 v[54:55], v54, v[34:35]
	v_lshrrev_b32_e32 v56, 3, v36
	v_sub_u32_e32 v55, 29, v57
	v_and_b32_e32 v54, 7, v54
	v_cmp_gt_u32_e32 vcc, 8, v36
	v_cndmask_b32_e32 v36, v56, v55, vcc
	v_cndmask_b32_e32 v52, v52, v54, vcc
	v_lshlrev_b32_e32 v34, 24, v34
	v_bfrev_b32_e32 v54, 60
	v_lshlrev_b32_e32 v52, 20, v52
	v_and_b32_e32 v34, 0x80000000, v34
	v_lshl_add_u32 v36, v36, 23, v54
	v_or3_b32 v34, v34, v36, v52
	v_lshrrev_b32_e32 v52, 16, v34
.LBB892_273:
	s_or_b64 exec, exec, s[10:11]
.LBB892_274:
	s_or_b64 exec, exec, s[8:9]
.LBB892_275:
	s_or_b64 exec, exec, s[2:3]
	v_mov_b32_e32 v36, 0
	v_cmp_ne_u16_sdwa s[8:9], v37, v36 src0_sel:BYTE_0 src1_sel:DWORD
	v_mov_b32_e32 v54, 0
	s_and_saveexec_b64 s[2:3], s[8:9]
	s_cbranch_execz .LBB892_281
; %bb.276:
	s_movk_i32 s8, 0x80
	v_cmp_ne_u16_sdwa s[10:11], v37, s8 src0_sel:BYTE_0 src1_sel:DWORD
	v_mov_b32_e32 v54, 0xffff8000
	s_and_saveexec_b64 s[8:9], s[10:11]
	s_cbranch_execz .LBB892_280
; %bb.277:
	s_movk_i32 s10, 0x7f
	v_and_b32_e32 v34, 0x7f, v37
	v_cmp_ne_u32_e32 vcc, s10, v34
	v_mov_b32_e32 v54, 0x7f80
	s_and_saveexec_b64 s[10:11], vcc
	s_cbranch_execz .LBB892_279
; %bb.278:
	v_and_b32_e32 v56, 7, v37
	v_ffbh_u32_e32 v55, v56
	v_min_u32_e32 v58, 32, v55
	v_mov_b32_e32 v54, v37
	v_subrev_u32_e32 v55, 28, v58
	v_lshlrev_b64 v[54:55], v55, v[54:55]
	v_lshrrev_b32_e32 v57, 3, v34
	v_sub_u32_e32 v55, 29, v58
	v_and_b32_e32 v54, 7, v54
	v_cmp_gt_u32_e32 vcc, 8, v34
	v_cndmask_b32_e32 v34, v57, v55, vcc
	v_cndmask_b32_e32 v54, v56, v54, vcc
	v_lshlrev_b32_e32 v55, 24, v37
	v_bfrev_b32_e32 v56, 60
	v_lshlrev_b32_e32 v54, 20, v54
	v_and_b32_e32 v55, 0x80000000, v55
	v_lshl_add_u32 v34, v34, 23, v56
	v_or3_b32 v34, v55, v34, v54
	v_lshrrev_b32_e32 v54, 16, v34
.LBB892_279:
	s_or_b64 exec, exec, s[10:11]
.LBB892_280:
	s_or_b64 exec, exec, s[8:9]
.LBB892_281:
	s_or_b64 exec, exec, s[2:3]
	v_lshrrev_b16_e32 v34, 8, v37
	v_cmp_ne_u16_e32 vcc, 0, v34
	s_and_saveexec_b64 s[2:3], vcc
	s_cbranch_execz .LBB892_287
; %bb.282:
	s_movk_i32 s8, 0x80
	v_cmp_ne_u16_e32 vcc, s8, v34
	v_mov_b32_e32 v36, 0xffff8000
	s_and_saveexec_b64 s[8:9], vcc
	s_cbranch_execz .LBB892_286
; %bb.283:
	s_movk_i32 s10, 0x7f
	v_and_b32_e32 v55, 0x7f, v34
	v_cmp_ne_u32_e32 vcc, s10, v55
	v_mov_b32_e32 v36, 0x7f80
	s_and_saveexec_b64 s[10:11], vcc
	s_cbranch_execz .LBB892_285
; %bb.284:
	v_and_b32_e32 v36, 7, v34
	v_ffbh_u32_e32 v56, v36
	v_min_u32_e32 v59, 32, v56
	v_subrev_u32_e32 v56, 28, v59
	v_lshlrev_b64 v[56:57], v56, v[34:35]
	v_lshrrev_b32_e32 v58, 3, v55
	v_sub_u32_e32 v34, 29, v59
	v_and_b32_e32 v56, 7, v56
	v_cmp_gt_u32_e32 vcc, 8, v55
	v_cndmask_b32_e32 v34, v58, v34, vcc
	v_cndmask_b32_e32 v36, v36, v56, vcc
	v_lshlrev_b32_e32 v55, 16, v37
	v_bfrev_b32_e32 v56, 60
	v_lshlrev_b32_e32 v36, 20, v36
	v_and_b32_e32 v55, 0x80000000, v55
	v_lshl_add_u32 v34, v34, 23, v56
	v_or3_b32 v34, v55, v34, v36
	v_lshrrev_b32_e32 v36, 16, v34
.LBB892_285:
	s_or_b64 exec, exec, s[10:11]
.LBB892_286:
	s_or_b64 exec, exec, s[8:9]
.LBB892_287:
	s_or_b64 exec, exec, s[2:3]
	s_movk_i32 s2, 0xff
	v_and_b32_sdwa v57, v37, s2 dst_sel:DWORD dst_unused:UNUSED_PAD src0_sel:WORD_1 src1_sel:DWORD
	v_lshrrev_b32_e32 v34, 16, v37
	v_cmp_ne_u16_e32 vcc, 0, v57
	v_mov_b32_e32 v55, 0
	v_mov_b32_e32 v56, 0
	s_and_saveexec_b64 s[2:3], vcc
	s_cbranch_execz .LBB892_293
; %bb.288:
	s_movk_i32 s8, 0x80
	v_cmp_ne_u16_e32 vcc, s8, v57
	v_mov_b32_e32 v56, 0xffff8000
	s_and_saveexec_b64 s[8:9], vcc
	s_cbranch_execz .LBB892_292
; %bb.289:
	v_bfe_u32 v57, v37, 16, 7
	s_movk_i32 s10, 0x7f
	v_cmp_ne_u32_e32 vcc, s10, v57
	v_mov_b32_e32 v56, 0x7f80
	s_and_saveexec_b64 s[10:11], vcc
	s_cbranch_execz .LBB892_291
; %bb.290:
	v_and_b32_e32 v56, 7, v34
	v_ffbh_u32_e32 v58, v56
	v_min_u32_e32 v61, 32, v58
	v_subrev_u32_e32 v58, 28, v61
	v_lshlrev_b64 v[58:59], v58, v[34:35]
	v_lshrrev_b32_e32 v60, 3, v57
	v_sub_u32_e32 v34, 29, v61
	v_and_b32_e32 v58, 7, v58
	v_cmp_gt_u32_e32 vcc, 8, v57
	v_mov_b32_e32 v57, 24
	v_cndmask_b32_e32 v34, v60, v34, vcc
	v_cndmask_b32_e32 v56, v56, v58, vcc
	v_lshlrev_b32_sdwa v57, v57, v37 dst_sel:DWORD dst_unused:UNUSED_PAD src0_sel:DWORD src1_sel:WORD_1
	v_bfrev_b32_e32 v58, 60
	v_lshlrev_b32_e32 v56, 20, v56
	v_and_b32_e32 v57, 0x80000000, v57
	v_lshl_add_u32 v34, v34, 23, v58
	v_or3_b32 v34, v57, v34, v56
	v_lshrrev_b32_e32 v56, 16, v34
.LBB892_291:
	s_or_b64 exec, exec, s[10:11]
.LBB892_292:
	s_or_b64 exec, exec, s[8:9]
.LBB892_293:
	s_or_b64 exec, exec, s[2:3]
	s_mov_b32 s2, 0xffffff
	v_cmp_lt_u32_e32 vcc, s2, v37
	s_and_saveexec_b64 s[2:3], vcc
	s_cbranch_execz .LBB892_299
; %bb.294:
	v_lshrrev_b32_e32 v34, 24, v37
	s_movk_i32 s8, 0x80
	v_cmp_ne_u32_e32 vcc, s8, v34
	v_mov_b32_e32 v55, 0xffff8000
	s_and_saveexec_b64 s[8:9], vcc
	s_cbranch_execz .LBB892_298
; %bb.295:
	v_bfe_u32 v37, v37, 24, 7
	s_movk_i32 s10, 0x7f
	v_cmp_ne_u32_e32 vcc, s10, v37
	v_mov_b32_e32 v55, 0x7f80
	s_and_saveexec_b64 s[10:11], vcc
	s_cbranch_execz .LBB892_297
; %bb.296:
	v_and_b32_e32 v55, 7, v34
	v_ffbh_u32_e32 v58, v55
	v_min_u32_e32 v60, 32, v58
	v_subrev_u32_e32 v58, 28, v60
	v_lshlrev_b64 v[58:59], v58, v[34:35]
	v_lshrrev_b32_e32 v57, 3, v37
	v_sub_u32_e32 v59, 29, v60
	v_and_b32_e32 v58, 7, v58
	v_cmp_gt_u32_e32 vcc, 8, v37
	v_cndmask_b32_e32 v37, v57, v59, vcc
	v_cndmask_b32_e32 v55, v55, v58, vcc
	v_lshlrev_b32_e32 v34, 24, v34
	v_bfrev_b32_e32 v57, 60
	v_lshlrev_b32_e32 v55, 20, v55
	v_and_b32_e32 v34, 0x80000000, v34
	v_lshl_add_u32 v37, v37, 23, v57
	v_or3_b32 v34, v34, v37, v55
	v_lshrrev_b32_e32 v55, 16, v34
.LBB892_297:
	s_or_b64 exec, exec, s[10:11]
.LBB892_298:
	s_or_b64 exec, exec, s[8:9]
.LBB892_299:
	s_or_b64 exec, exec, s[2:3]
	s_mov_b32 s2, 0x5040100
	v_perm_b32 v53, v52, v53, s2
	v_perm_b32 v52, v35, v51, s2
	;; [unrolled: 1-line block ×4, first 2 shown]
	v_mfma_f32_16x16x16bf16_1k v[58:61], v[52:53], v[18:19], v[42:45]
	s_nop 6
	v_mov_b32_e32 v43, 0
	s_waitcnt vmcnt(4)
	v_cmp_ne_u16_sdwa s[8:9], v22, v43 src0_sel:BYTE_0 src1_sel:DWORD
	v_mfma_f32_16x16x16bf16_1k v[34:37], v[34:35], v[20:21], v[58:61]
	v_mov_b32_e32 v44, 0
	s_and_saveexec_b64 s[2:3], s[8:9]
	s_cbranch_execz .LBB892_305
; %bb.300:
	s_movk_i32 s8, 0x80
	v_cmp_ne_u16_sdwa s[10:11], v22, s8 src0_sel:BYTE_0 src1_sel:DWORD
	v_mov_b32_e32 v44, 0xffff8000
	s_and_saveexec_b64 s[8:9], s[10:11]
	s_cbranch_execz .LBB892_304
; %bb.301:
	s_movk_i32 s10, 0x7f
	v_and_b32_e32 v42, 0x7f, v22
	v_cmp_ne_u32_e32 vcc, s10, v42
	v_mov_b32_e32 v44, 0x7f80
	s_and_saveexec_b64 s[10:11], vcc
	s_cbranch_execz .LBB892_303
; %bb.302:
	v_and_b32_e32 v51, 7, v22
	v_ffbh_u32_e32 v44, v51
	v_min_u32_e32 v53, 32, v44
	v_subrev_u32_e32 v44, 28, v53
	v_lshlrev_b64 v[44:45], v44, v[22:23]
	v_lshrrev_b32_e32 v52, 3, v42
	v_sub_u32_e32 v45, 29, v53
	v_and_b32_e32 v44, 7, v44
	v_cmp_gt_u32_e32 vcc, 8, v42
	v_cndmask_b32_e32 v42, v52, v45, vcc
	v_cndmask_b32_e32 v44, v51, v44, vcc
	v_lshlrev_b32_e32 v45, 24, v22
	v_bfrev_b32_e32 v51, 60
	v_lshlrev_b32_e32 v44, 20, v44
	v_and_b32_e32 v45, 0x80000000, v45
	v_lshl_add_u32 v42, v42, 23, v51
	v_or3_b32 v42, v45, v42, v44
	v_lshrrev_b32_e32 v44, 16, v42
.LBB892_303:
	s_or_b64 exec, exec, s[10:11]
.LBB892_304:
	s_or_b64 exec, exec, s[8:9]
.LBB892_305:
	s_or_b64 exec, exec, s[2:3]
	v_lshrrev_b16_e32 v42, 8, v22
	v_cmp_ne_u16_e32 vcc, 0, v42
	s_and_saveexec_b64 s[2:3], vcc
	s_cbranch_execz .LBB892_311
; %bb.306:
	s_movk_i32 s8, 0x80
	v_cmp_ne_u16_e32 vcc, s8, v42
	v_mov_b32_e32 v43, 0xffff8000
	s_and_saveexec_b64 s[8:9], vcc
	s_cbranch_execz .LBB892_310
; %bb.307:
	s_movk_i32 s10, 0x7f
	v_and_b32_e32 v45, 0x7f, v42
	v_cmp_ne_u32_e32 vcc, s10, v45
	v_mov_b32_e32 v43, 0x7f80
	s_and_saveexec_b64 s[10:11], vcc
	s_cbranch_execz .LBB892_309
; %bb.308:
	v_and_b32_e32 v51, 7, v42
	v_ffbh_u32_e32 v43, v51
	v_min_u32_e32 v53, 32, v43
	v_subrev_u32_e32 v43, 28, v53
	v_lshlrev_b64 v[42:43], v43, v[42:43]
	v_lshrrev_b32_e32 v52, 3, v45
	v_sub_u32_e32 v43, 29, v53
	v_and_b32_e32 v42, 7, v42
	v_cmp_gt_u32_e32 vcc, 8, v45
	v_cndmask_b32_e32 v43, v52, v43, vcc
	v_cndmask_b32_e32 v42, v51, v42, vcc
	v_lshlrev_b32_e32 v45, 16, v22
	v_bfrev_b32_e32 v51, 60
	v_lshlrev_b32_e32 v42, 20, v42
	v_and_b32_e32 v45, 0x80000000, v45
	v_lshl_add_u32 v43, v43, 23, v51
	v_or3_b32 v42, v45, v43, v42
	v_lshrrev_b32_e32 v43, 16, v42
.LBB892_309:
	s_or_b64 exec, exec, s[10:11]
.LBB892_310:
	s_or_b64 exec, exec, s[8:9]
.LBB892_311:
	s_or_b64 exec, exec, s[2:3]
	s_movk_i32 s2, 0xff
	v_and_b32_sdwa v52, v22, s2 dst_sel:DWORD dst_unused:UNUSED_PAD src0_sel:WORD_1 src1_sel:DWORD
	v_lshrrev_b32_e32 v42, 16, v22
	v_cmp_ne_u16_e32 vcc, 0, v52
	v_mov_b32_e32 v45, 0
	v_mov_b32_e32 v51, 0
	s_and_saveexec_b64 s[2:3], vcc
	s_cbranch_execz .LBB892_317
; %bb.312:
	s_movk_i32 s8, 0x80
	v_cmp_ne_u16_e32 vcc, s8, v52
	v_mov_b32_e32 v51, 0xffff8000
	s_and_saveexec_b64 s[8:9], vcc
	s_cbranch_execz .LBB892_316
; %bb.313:
	v_bfe_u32 v52, v22, 16, 7
	s_movk_i32 s10, 0x7f
	v_cmp_ne_u32_e32 vcc, s10, v52
	v_mov_b32_e32 v51, 0x7f80
	s_and_saveexec_b64 s[10:11], vcc
	s_cbranch_execz .LBB892_315
; %bb.314:
	v_and_b32_e32 v51, 7, v42
	v_ffbh_u32_e32 v54, v51
	v_min_u32_e32 v56, 32, v54
	v_subrev_u32_e32 v54, 28, v56
	v_lshlrev_b64 v[54:55], v54, v[42:43]
	v_lshrrev_b32_e32 v53, 3, v52
	v_sub_u32_e32 v42, 29, v56
	v_and_b32_e32 v54, 7, v54
	v_cmp_gt_u32_e32 vcc, 8, v52
	v_mov_b32_e32 v52, 24
	v_cndmask_b32_e32 v42, v53, v42, vcc
	v_cndmask_b32_e32 v51, v51, v54, vcc
	v_lshlrev_b32_sdwa v52, v52, v22 dst_sel:DWORD dst_unused:UNUSED_PAD src0_sel:DWORD src1_sel:WORD_1
	v_bfrev_b32_e32 v53, 60
	v_lshlrev_b32_e32 v51, 20, v51
	v_and_b32_e32 v52, 0x80000000, v52
	v_lshl_add_u32 v42, v42, 23, v53
	v_or3_b32 v42, v52, v42, v51
	v_lshrrev_b32_e32 v51, 16, v42
.LBB892_315:
	s_or_b64 exec, exec, s[10:11]
.LBB892_316:
	s_or_b64 exec, exec, s[8:9]
.LBB892_317:
	s_or_b64 exec, exec, s[2:3]
	s_mov_b32 s2, 0xffffff
	v_cmp_lt_u32_e32 vcc, s2, v22
	s_and_saveexec_b64 s[2:3], vcc
	s_cbranch_execz .LBB892_323
; %bb.318:
	v_lshrrev_b32_e32 v42, 24, v22
	s_movk_i32 s8, 0x80
	v_cmp_ne_u32_e32 vcc, s8, v42
	v_mov_b32_e32 v45, 0xffff8000
	s_and_saveexec_b64 s[8:9], vcc
	s_cbranch_execz .LBB892_322
; %bb.319:
	v_bfe_u32 v22, v22, 24, 7
	s_movk_i32 s10, 0x7f
	v_cmp_ne_u32_e32 vcc, s10, v22
	v_mov_b32_e32 v45, 0x7f80
	s_and_saveexec_b64 s[10:11], vcc
	s_cbranch_execz .LBB892_321
; %bb.320:
	v_and_b32_e32 v45, 7, v42
	v_ffbh_u32_e32 v52, v45
	v_min_u32_e32 v55, 32, v52
	v_subrev_u32_e32 v52, 28, v55
	v_lshlrev_b64 v[52:53], v52, v[42:43]
	v_lshrrev_b32_e32 v54, 3, v22
	v_sub_u32_e32 v53, 29, v55
	v_and_b32_e32 v52, 7, v52
	v_cmp_gt_u32_e32 vcc, 8, v22
	v_cndmask_b32_e32 v22, v54, v53, vcc
	v_cndmask_b32_e32 v45, v45, v52, vcc
	v_lshlrev_b32_e32 v42, 24, v42
	v_bfrev_b32_e32 v52, 60
	v_lshlrev_b32_e32 v45, 20, v45
	v_and_b32_e32 v42, 0x80000000, v42
	v_lshl_add_u32 v22, v22, 23, v52
	v_or3_b32 v22, v42, v22, v45
	v_lshrrev_b32_e32 v45, 16, v22
.LBB892_321:
	s_or_b64 exec, exec, s[10:11]
.LBB892_322:
	s_or_b64 exec, exec, s[8:9]
.LBB892_323:
	s_or_b64 exec, exec, s[2:3]
	v_mov_b32_e32 v42, 0
	v_cmp_ne_u16_sdwa s[8:9], v23, v42 src0_sel:BYTE_0 src1_sel:DWORD
	v_mov_b32_e32 v52, 0
	s_and_saveexec_b64 s[2:3], s[8:9]
	s_cbranch_execz .LBB892_329
; %bb.324:
	s_movk_i32 s8, 0x80
	v_cmp_ne_u16_sdwa s[10:11], v23, s8 src0_sel:BYTE_0 src1_sel:DWORD
	v_mov_b32_e32 v52, 0xffff8000
	s_and_saveexec_b64 s[8:9], s[10:11]
	s_cbranch_execz .LBB892_328
; %bb.325:
	s_movk_i32 s10, 0x7f
	v_and_b32_e32 v22, 0x7f, v23
	v_cmp_ne_u32_e32 vcc, s10, v22
	v_mov_b32_e32 v52, 0x7f80
	s_and_saveexec_b64 s[10:11], vcc
	s_cbranch_execz .LBB892_327
; %bb.326:
	v_and_b32_e32 v54, 7, v23
	v_ffbh_u32_e32 v53, v54
	v_min_u32_e32 v56, 32, v53
	v_mov_b32_e32 v52, v23
	v_subrev_u32_e32 v53, 28, v56
	v_lshlrev_b64 v[52:53], v53, v[52:53]
	v_lshrrev_b32_e32 v55, 3, v22
	v_sub_u32_e32 v53, 29, v56
	v_and_b32_e32 v52, 7, v52
	v_cmp_gt_u32_e32 vcc, 8, v22
	v_cndmask_b32_e32 v22, v55, v53, vcc
	v_cndmask_b32_e32 v52, v54, v52, vcc
	v_lshlrev_b32_e32 v53, 24, v23
	v_bfrev_b32_e32 v54, 60
	v_lshlrev_b32_e32 v52, 20, v52
	v_and_b32_e32 v53, 0x80000000, v53
	v_lshl_add_u32 v22, v22, 23, v54
	v_or3_b32 v22, v53, v22, v52
	v_lshrrev_b32_e32 v52, 16, v22
.LBB892_327:
	s_or_b64 exec, exec, s[10:11]
.LBB892_328:
	s_or_b64 exec, exec, s[8:9]
.LBB892_329:
	s_or_b64 exec, exec, s[2:3]
	v_lshrrev_b16_e32 v22, 8, v23
	v_cmp_ne_u16_e32 vcc, 0, v22
	s_and_saveexec_b64 s[2:3], vcc
	s_cbranch_execz .LBB892_335
; %bb.330:
	s_movk_i32 s8, 0x80
	v_cmp_ne_u16_e32 vcc, s8, v22
	v_mov_b32_e32 v42, 0xffff8000
	s_and_saveexec_b64 s[8:9], vcc
	s_cbranch_execz .LBB892_334
; %bb.331:
	s_movk_i32 s10, 0x7f
	v_and_b32_e32 v53, 0x7f, v22
	v_cmp_ne_u32_e32 vcc, s10, v53
	v_mov_b32_e32 v42, 0x7f80
	s_and_saveexec_b64 s[10:11], vcc
	s_cbranch_execz .LBB892_333
; %bb.332:
	v_and_b32_e32 v42, 7, v22
	v_ffbh_u32_e32 v54, v42
	v_min_u32_e32 v57, 32, v54
	v_subrev_u32_e32 v54, 28, v57
	v_lshlrev_b64 v[54:55], v54, v[22:23]
	v_lshrrev_b32_e32 v56, 3, v53
	v_sub_u32_e32 v22, 29, v57
	v_and_b32_e32 v54, 7, v54
	v_cmp_gt_u32_e32 vcc, 8, v53
	v_cndmask_b32_e32 v22, v56, v22, vcc
	v_cndmask_b32_e32 v42, v42, v54, vcc
	v_lshlrev_b32_e32 v53, 16, v23
	v_bfrev_b32_e32 v54, 60
	v_lshlrev_b32_e32 v42, 20, v42
	v_and_b32_e32 v53, 0x80000000, v53
	v_lshl_add_u32 v22, v22, 23, v54
	v_or3_b32 v22, v53, v22, v42
	v_lshrrev_b32_e32 v42, 16, v22
.LBB892_333:
	s_or_b64 exec, exec, s[10:11]
.LBB892_334:
	s_or_b64 exec, exec, s[8:9]
.LBB892_335:
	s_or_b64 exec, exec, s[2:3]
	s_movk_i32 s2, 0xff
	v_and_b32_sdwa v55, v23, s2 dst_sel:DWORD dst_unused:UNUSED_PAD src0_sel:WORD_1 src1_sel:DWORD
	v_lshrrev_b32_e32 v22, 16, v23
	v_cmp_ne_u16_e32 vcc, 0, v55
	v_mov_b32_e32 v53, 0
	v_mov_b32_e32 v54, 0
	s_and_saveexec_b64 s[2:3], vcc
	s_cbranch_execz .LBB892_341
; %bb.336:
	s_movk_i32 s8, 0x80
	v_cmp_ne_u16_e32 vcc, s8, v55
	v_mov_b32_e32 v54, 0xffff8000
	s_and_saveexec_b64 s[8:9], vcc
	s_cbranch_execz .LBB892_340
; %bb.337:
	v_bfe_u32 v55, v23, 16, 7
	s_movk_i32 s10, 0x7f
	v_cmp_ne_u32_e32 vcc, s10, v55
	v_mov_b32_e32 v54, 0x7f80
	s_and_saveexec_b64 s[10:11], vcc
	s_cbranch_execz .LBB892_339
; %bb.338:
	v_and_b32_e32 v54, 7, v22
	v_ffbh_u32_e32 v56, v54
	v_min_u32_e32 v59, 32, v56
	v_subrev_u32_e32 v56, 28, v59
	v_lshlrev_b64 v[56:57], v56, v[22:23]
	v_lshrrev_b32_e32 v58, 3, v55
	v_sub_u32_e32 v22, 29, v59
	v_and_b32_e32 v56, 7, v56
	v_cmp_gt_u32_e32 vcc, 8, v55
	v_mov_b32_e32 v55, 24
	v_cndmask_b32_e32 v22, v58, v22, vcc
	v_cndmask_b32_e32 v54, v54, v56, vcc
	v_lshlrev_b32_sdwa v55, v55, v23 dst_sel:DWORD dst_unused:UNUSED_PAD src0_sel:DWORD src1_sel:WORD_1
	v_bfrev_b32_e32 v56, 60
	v_lshlrev_b32_e32 v54, 20, v54
	v_and_b32_e32 v55, 0x80000000, v55
	v_lshl_add_u32 v22, v22, 23, v56
	v_or3_b32 v22, v55, v22, v54
	v_lshrrev_b32_e32 v54, 16, v22
.LBB892_339:
	s_or_b64 exec, exec, s[10:11]
.LBB892_340:
	s_or_b64 exec, exec, s[8:9]
.LBB892_341:
	s_or_b64 exec, exec, s[2:3]
	s_mov_b32 s2, 0xffffff
	v_cmp_lt_u32_e32 vcc, s2, v23
	s_and_saveexec_b64 s[2:3], vcc
	s_cbranch_execz .LBB892_347
; %bb.342:
	v_lshrrev_b32_e32 v22, 24, v23
	s_movk_i32 s8, 0x80
	v_cmp_ne_u32_e32 vcc, s8, v22
	v_mov_b32_e32 v53, 0xffff8000
	s_and_saveexec_b64 s[8:9], vcc
	s_cbranch_execz .LBB892_346
; %bb.343:
	v_bfe_u32 v23, v23, 24, 7
	s_movk_i32 s10, 0x7f
	v_cmp_ne_u32_e32 vcc, s10, v23
	v_mov_b32_e32 v53, 0x7f80
	s_and_saveexec_b64 s[10:11], vcc
	s_cbranch_execz .LBB892_345
; %bb.344:
	v_and_b32_e32 v53, 7, v22
	v_ffbh_u32_e32 v56, v53
	v_min_u32_e32 v58, 32, v56
	v_subrev_u32_e32 v56, 28, v58
	v_lshlrev_b64 v[56:57], v56, v[22:23]
	v_lshrrev_b32_e32 v55, 3, v23
	v_sub_u32_e32 v57, 29, v58
	v_and_b32_e32 v56, 7, v56
	v_cmp_gt_u32_e32 vcc, 8, v23
	v_cndmask_b32_e32 v23, v55, v57, vcc
	v_cndmask_b32_e32 v53, v53, v56, vcc
	v_lshlrev_b32_e32 v22, 24, v22
	v_bfrev_b32_e32 v55, 60
	v_lshlrev_b32_e32 v53, 20, v53
	v_and_b32_e32 v22, 0x80000000, v22
	v_lshl_add_u32 v23, v23, 23, v55
	v_or3_b32 v22, v22, v23, v53
	v_lshrrev_b32_e32 v53, 16, v22
.LBB892_345:
	s_or_b64 exec, exec, s[10:11]
.LBB892_346:
	s_or_b64 exec, exec, s[8:9]
.LBB892_347:
	s_or_b64 exec, exec, s[2:3]
	s_mov_b32 s2, 0x5040100
	v_perm_b32 v23, v45, v51, s2
	v_perm_b32 v22, v43, v44, s2
	s_nop 1
	v_mfma_f32_16x16x16bf16_1k v[56:59], v[22:23], v[26:27], 0
	v_perm_b32 v27, v53, v54, s2
	v_perm_b32 v26, v42, v52, s2
	v_mov_b32_e32 v23, 0
	v_cmp_ne_u16_sdwa s[8:9], v24, v23 src0_sel:BYTE_0 src1_sel:DWORD
	v_mov_b32_e32 v42, 0
	v_mfma_f32_16x16x16bf16_1k v[26:29], v[26:27], v[28:29], v[56:59]
	s_and_saveexec_b64 s[2:3], s[8:9]
	s_cbranch_execz .LBB892_353
; %bb.348:
	s_movk_i32 s8, 0x80
	v_cmp_ne_u16_sdwa s[10:11], v24, s8 src0_sel:BYTE_0 src1_sel:DWORD
	v_mov_b32_e32 v42, 0xffff8000
	s_and_saveexec_b64 s[8:9], s[10:11]
	s_cbranch_execz .LBB892_352
; %bb.349:
	s_movk_i32 s10, 0x7f
	v_and_b32_e32 v22, 0x7f, v24
	v_cmp_ne_u32_e32 vcc, s10, v22
	v_mov_b32_e32 v42, 0x7f80
	s_and_saveexec_b64 s[10:11], vcc
	s_cbranch_execz .LBB892_351
; %bb.350:
	v_and_b32_e32 v44, 7, v24
	v_ffbh_u32_e32 v42, v44
	v_min_u32_e32 v51, 32, v42
	v_subrev_u32_e32 v42, 28, v51
	v_lshlrev_b64 v[42:43], v42, v[24:25]
	v_lshrrev_b32_e32 v45, 3, v22
	v_sub_u32_e32 v43, 29, v51
	v_and_b32_e32 v42, 7, v42
	v_cmp_gt_u32_e32 vcc, 8, v22
	v_cndmask_b32_e32 v22, v45, v43, vcc
	v_cndmask_b32_e32 v42, v44, v42, vcc
	v_lshlrev_b32_e32 v43, 24, v24
	v_bfrev_b32_e32 v44, 60
	v_lshlrev_b32_e32 v42, 20, v42
	v_and_b32_e32 v43, 0x80000000, v43
	v_lshl_add_u32 v22, v22, 23, v44
	v_or3_b32 v22, v43, v22, v42
	v_lshrrev_b32_e32 v42, 16, v22
.LBB892_351:
	s_or_b64 exec, exec, s[10:11]
.LBB892_352:
	s_or_b64 exec, exec, s[8:9]
.LBB892_353:
	s_or_b64 exec, exec, s[2:3]
	v_lshrrev_b16_e32 v22, 8, v24
	v_cmp_ne_u16_e32 vcc, 0, v22
	s_and_saveexec_b64 s[2:3], vcc
	s_cbranch_execz .LBB892_359
; %bb.354:
	s_movk_i32 s8, 0x80
	v_cmp_ne_u16_e32 vcc, s8, v22
	v_mov_b32_e32 v23, 0xffff8000
	s_and_saveexec_b64 s[8:9], vcc
	s_cbranch_execz .LBB892_358
; %bb.355:
	s_movk_i32 s10, 0x7f
	v_and_b32_e32 v43, 0x7f, v22
	v_cmp_ne_u32_e32 vcc, s10, v43
	v_mov_b32_e32 v23, 0x7f80
	s_and_saveexec_b64 s[10:11], vcc
	s_cbranch_execz .LBB892_357
; %bb.356:
	v_and_b32_e32 v44, 7, v22
	v_ffbh_u32_e32 v23, v44
	v_min_u32_e32 v51, 32, v23
	v_subrev_u32_e32 v23, 28, v51
	v_lshlrev_b64 v[22:23], v23, v[22:23]
	v_lshrrev_b32_e32 v45, 3, v43
	v_sub_u32_e32 v23, 29, v51
	v_and_b32_e32 v22, 7, v22
	v_cmp_gt_u32_e32 vcc, 8, v43
	v_cndmask_b32_e32 v23, v45, v23, vcc
	v_cndmask_b32_e32 v22, v44, v22, vcc
	v_lshlrev_b32_e32 v43, 16, v24
	v_bfrev_b32_e32 v44, 60
	v_lshlrev_b32_e32 v22, 20, v22
	v_and_b32_e32 v43, 0x80000000, v43
	v_lshl_add_u32 v23, v23, 23, v44
	v_or3_b32 v22, v43, v23, v22
	v_lshrrev_b32_e32 v23, 16, v22
.LBB892_357:
	s_or_b64 exec, exec, s[10:11]
.LBB892_358:
	s_or_b64 exec, exec, s[8:9]
.LBB892_359:
	s_or_b64 exec, exec, s[2:3]
	s_movk_i32 s2, 0xff
	v_and_b32_sdwa v45, v24, s2 dst_sel:DWORD dst_unused:UNUSED_PAD src0_sel:WORD_1 src1_sel:DWORD
	v_lshrrev_b32_e32 v22, 16, v24
	v_cmp_ne_u16_e32 vcc, 0, v45
	v_mov_b32_e32 v43, 0
	v_mov_b32_e32 v44, 0
	s_and_saveexec_b64 s[2:3], vcc
	s_cbranch_execz .LBB892_365
; %bb.360:
	s_movk_i32 s8, 0x80
	v_cmp_ne_u16_e32 vcc, s8, v45
	v_mov_b32_e32 v44, 0xffff8000
	s_and_saveexec_b64 s[8:9], vcc
	s_cbranch_execz .LBB892_364
; %bb.361:
	v_bfe_u32 v45, v24, 16, 7
	s_movk_i32 s10, 0x7f
	v_cmp_ne_u32_e32 vcc, s10, v45
	v_mov_b32_e32 v44, 0x7f80
	s_and_saveexec_b64 s[10:11], vcc
	s_cbranch_execz .LBB892_363
; %bb.362:
	v_and_b32_e32 v44, 7, v22
	v_ffbh_u32_e32 v52, v44
	v_min_u32_e32 v54, 32, v52
	v_subrev_u32_e32 v52, 28, v54
	v_lshlrev_b64 v[52:53], v52, v[22:23]
	v_lshrrev_b32_e32 v51, 3, v45
	v_sub_u32_e32 v22, 29, v54
	v_and_b32_e32 v52, 7, v52
	v_cmp_gt_u32_e32 vcc, 8, v45
	v_mov_b32_e32 v45, 24
	v_cndmask_b32_e32 v22, v51, v22, vcc
	v_cndmask_b32_e32 v44, v44, v52, vcc
	v_lshlrev_b32_sdwa v45, v45, v24 dst_sel:DWORD dst_unused:UNUSED_PAD src0_sel:DWORD src1_sel:WORD_1
	v_bfrev_b32_e32 v51, 60
	v_lshlrev_b32_e32 v44, 20, v44
	v_and_b32_e32 v45, 0x80000000, v45
	v_lshl_add_u32 v22, v22, 23, v51
	v_or3_b32 v22, v45, v22, v44
	v_lshrrev_b32_e32 v44, 16, v22
.LBB892_363:
	s_or_b64 exec, exec, s[10:11]
.LBB892_364:
	s_or_b64 exec, exec, s[8:9]
.LBB892_365:
	s_or_b64 exec, exec, s[2:3]
	s_mov_b32 s2, 0xffffff
	v_cmp_lt_u32_e32 vcc, s2, v24
	s_and_saveexec_b64 s[2:3], vcc
	s_cbranch_execz .LBB892_371
; %bb.366:
	v_lshrrev_b32_e32 v22, 24, v24
	s_movk_i32 s8, 0x80
	v_cmp_ne_u32_e32 vcc, s8, v22
	v_mov_b32_e32 v43, 0xffff8000
	s_and_saveexec_b64 s[8:9], vcc
	s_cbranch_execz .LBB892_370
; %bb.367:
	v_bfe_u32 v24, v24, 24, 7
	s_movk_i32 s10, 0x7f
	v_cmp_ne_u32_e32 vcc, s10, v24
	v_mov_b32_e32 v43, 0x7f80
	s_and_saveexec_b64 s[10:11], vcc
	s_cbranch_execz .LBB892_369
; %bb.368:
	v_and_b32_e32 v43, 7, v22
	v_ffbh_u32_e32 v51, v43
	v_min_u32_e32 v51, 32, v51
	v_subrev_u32_e32 v52, 28, v51
	v_lshlrev_b64 v[52:53], v52, v[22:23]
	v_lshrrev_b32_e32 v45, 3, v24
	v_sub_u32_e32 v51, 29, v51
	v_and_b32_e32 v52, 7, v52
	v_cmp_gt_u32_e32 vcc, 8, v24
	v_cndmask_b32_e32 v24, v45, v51, vcc
	v_cndmask_b32_e32 v43, v43, v52, vcc
	v_lshlrev_b32_e32 v22, 24, v22
	v_bfrev_b32_e32 v45, 60
	v_lshlrev_b32_e32 v43, 20, v43
	v_and_b32_e32 v22, 0x80000000, v22
	v_lshl_add_u32 v24, v24, 23, v45
	v_or3_b32 v22, v22, v24, v43
	v_lshrrev_b32_e32 v43, 16, v22
.LBB892_369:
	s_or_b64 exec, exec, s[10:11]
.LBB892_370:
	s_or_b64 exec, exec, s[8:9]
.LBB892_371:
	s_or_b64 exec, exec, s[2:3]
	v_mov_b32_e32 v24, 0
	v_cmp_ne_u16_sdwa s[8:9], v25, v24 src0_sel:BYTE_0 src1_sel:DWORD
	v_mov_b32_e32 v51, 0
	s_and_saveexec_b64 s[2:3], s[8:9]
	s_cbranch_execz .LBB892_377
; %bb.372:
	s_movk_i32 s8, 0x80
	v_cmp_ne_u16_sdwa s[10:11], v25, s8 src0_sel:BYTE_0 src1_sel:DWORD
	v_mov_b32_e32 v51, 0xffff8000
	s_and_saveexec_b64 s[8:9], s[10:11]
	s_cbranch_execz .LBB892_376
; %bb.373:
	s_movk_i32 s10, 0x7f
	v_and_b32_e32 v22, 0x7f, v25
	v_cmp_ne_u32_e32 vcc, s10, v22
	v_mov_b32_e32 v51, 0x7f80
	s_and_saveexec_b64 s[10:11], vcc
	s_cbranch_execz .LBB892_375
; %bb.374:
	v_and_b32_e32 v45, 7, v25
	v_ffbh_u32_e32 v53, v45
	v_min_u32_e32 v54, 32, v53
	v_mov_b32_e32 v52, v25
	v_subrev_u32_e32 v53, 28, v54
	v_lshlrev_b64 v[52:53], v53, v[52:53]
	v_lshrrev_b32_e32 v51, 3, v22
	v_sub_u32_e32 v53, 29, v54
	v_and_b32_e32 v52, 7, v52
	v_cmp_gt_u32_e32 vcc, 8, v22
	v_cndmask_b32_e32 v22, v51, v53, vcc
	v_cndmask_b32_e32 v45, v45, v52, vcc
	v_lshlrev_b32_e32 v51, 24, v25
	v_bfrev_b32_e32 v52, 60
	v_lshlrev_b32_e32 v45, 20, v45
	v_and_b32_e32 v51, 0x80000000, v51
	v_lshl_add_u32 v22, v22, 23, v52
	v_or3_b32 v22, v51, v22, v45
	v_lshrrev_b32_e32 v51, 16, v22
.LBB892_375:
	s_or_b64 exec, exec, s[10:11]
.LBB892_376:
	s_or_b64 exec, exec, s[8:9]
.LBB892_377:
	s_or_b64 exec, exec, s[2:3]
	v_lshrrev_b16_e32 v22, 8, v25
	v_cmp_ne_u16_e32 vcc, 0, v22
	s_and_saveexec_b64 s[2:3], vcc
	s_cbranch_execz .LBB892_383
; %bb.378:
	s_movk_i32 s8, 0x80
	v_cmp_ne_u16_e32 vcc, s8, v22
	v_mov_b32_e32 v24, 0xffff8000
	s_and_saveexec_b64 s[8:9], vcc
	s_cbranch_execz .LBB892_382
; %bb.379:
	s_movk_i32 s10, 0x7f
	v_and_b32_e32 v45, 0x7f, v22
	v_cmp_ne_u32_e32 vcc, s10, v45
	v_mov_b32_e32 v24, 0x7f80
	s_and_saveexec_b64 s[10:11], vcc
	s_cbranch_execz .LBB892_381
; %bb.380:
	v_and_b32_e32 v24, 7, v22
	v_ffbh_u32_e32 v52, v24
	v_min_u32_e32 v55, 32, v52
	v_subrev_u32_e32 v52, 28, v55
	v_lshlrev_b64 v[52:53], v52, v[22:23]
	v_lshrrev_b32_e32 v54, 3, v45
	v_sub_u32_e32 v22, 29, v55
	v_and_b32_e32 v52, 7, v52
	v_cmp_gt_u32_e32 vcc, 8, v45
	v_cndmask_b32_e32 v22, v54, v22, vcc
	v_cndmask_b32_e32 v24, v24, v52, vcc
	v_lshlrev_b32_e32 v45, 16, v25
	v_bfrev_b32_e32 v52, 60
	v_lshlrev_b32_e32 v24, 20, v24
	v_and_b32_e32 v45, 0x80000000, v45
	v_lshl_add_u32 v22, v22, 23, v52
	v_or3_b32 v22, v45, v22, v24
	v_lshrrev_b32_e32 v24, 16, v22
.LBB892_381:
	s_or_b64 exec, exec, s[10:11]
.LBB892_382:
	s_or_b64 exec, exec, s[8:9]
.LBB892_383:
	s_or_b64 exec, exec, s[2:3]
	s_movk_i32 s2, 0xff
	v_and_b32_sdwa v45, v25, s2 dst_sel:DWORD dst_unused:UNUSED_PAD src0_sel:WORD_1 src1_sel:DWORD
	v_lshrrev_b32_e32 v22, 16, v25
	v_cmp_ne_u16_e32 vcc, 0, v45
	v_mov_b32_e32 v52, 0
	v_mov_b32_e32 v53, 0
	s_and_saveexec_b64 s[2:3], vcc
	s_cbranch_execz .LBB892_389
; %bb.384:
	s_movk_i32 s8, 0x80
	v_cmp_ne_u16_e32 vcc, s8, v45
	v_mov_b32_e32 v53, 0xffff8000
	s_and_saveexec_b64 s[8:9], vcc
	s_cbranch_execz .LBB892_388
; %bb.385:
	v_bfe_u32 v45, v25, 16, 7
	s_movk_i32 s10, 0x7f
	v_cmp_ne_u32_e32 vcc, s10, v45
	v_mov_b32_e32 v53, 0x7f80
	s_and_saveexec_b64 s[10:11], vcc
	s_cbranch_execz .LBB892_387
; %bb.386:
	v_and_b32_e32 v53, 7, v22
	v_ffbh_u32_e32 v54, v53
	v_min_u32_e32 v57, 32, v54
	v_subrev_u32_e32 v54, 28, v57
	v_lshlrev_b64 v[54:55], v54, v[22:23]
	v_and_b32_e32 v54, 7, v54
	v_cmp_gt_u32_e32 vcc, 8, v45
	v_lshrrev_b32_e32 v56, 3, v45
	v_sub_u32_e32 v22, 29, v57
	v_cndmask_b32_e32 v45, v53, v54, vcc
	v_mov_b32_e32 v53, 24
	v_cndmask_b32_e32 v22, v56, v22, vcc
	v_lshlrev_b32_sdwa v53, v53, v25 dst_sel:DWORD dst_unused:UNUSED_PAD src0_sel:DWORD src1_sel:WORD_1
	v_bfrev_b32_e32 v54, 60
	v_lshlrev_b32_e32 v45, 20, v45
	v_and_b32_e32 v53, 0x80000000, v53
	v_lshl_add_u32 v22, v22, 23, v54
	v_or3_b32 v22, v53, v22, v45
	v_lshrrev_b32_e32 v53, 16, v22
.LBB892_387:
	s_or_b64 exec, exec, s[10:11]
.LBB892_388:
	s_or_b64 exec, exec, s[8:9]
.LBB892_389:
	s_or_b64 exec, exec, s[2:3]
	s_mov_b32 s2, 0xffffff
	v_and_b32_e32 v45, 63, v0
	v_cmp_lt_u32_e32 vcc, s2, v25
	s_and_saveexec_b64 s[2:3], vcc
	s_cbranch_execz .LBB892_395
; %bb.390:
	v_lshrrev_b32_e32 v22, 24, v25
	s_movk_i32 s8, 0x80
	v_cmp_ne_u32_e32 vcc, s8, v22
	v_mov_b32_e32 v52, 0xffff8000
	s_and_saveexec_b64 s[8:9], vcc
	s_cbranch_execz .LBB892_394
; %bb.391:
	v_bfe_u32 v25, v25, 24, 7
	s_movk_i32 s10, 0x7f
	v_cmp_ne_u32_e32 vcc, s10, v25
	v_mov_b32_e32 v52, 0x7f80
	s_and_saveexec_b64 s[10:11], vcc
	s_cbranch_execz .LBB892_393
; %bb.392:
	v_and_b32_e32 v52, 7, v22
	v_ffbh_u32_e32 v54, v52
	v_min_u32_e32 v57, 32, v54
	v_subrev_u32_e32 v54, 28, v57
	v_lshlrev_b64 v[54:55], v54, v[22:23]
	v_lshrrev_b32_e32 v56, 3, v25
	v_sub_u32_e32 v55, 29, v57
	v_and_b32_e32 v54, 7, v54
	v_cmp_gt_u32_e32 vcc, 8, v25
	v_cndmask_b32_e32 v25, v56, v55, vcc
	v_cndmask_b32_e32 v52, v52, v54, vcc
	v_lshlrev_b32_e32 v22, 24, v22
	v_bfrev_b32_e32 v54, 60
	v_lshlrev_b32_e32 v52, 20, v52
	v_and_b32_e32 v22, 0x80000000, v22
	v_lshl_add_u32 v25, v25, 23, v54
	v_or3_b32 v22, v22, v25, v52
	v_lshrrev_b32_e32 v52, 16, v22
.LBB892_393:
	s_or_b64 exec, exec, s[10:11]
.LBB892_394:
	s_or_b64 exec, exec, s[8:9]
.LBB892_395:
	s_or_b64 exec, exec, s[2:3]
	s_mov_b32 s3, 0x5040100
	v_perm_b32 v43, v43, v44, s3
	v_perm_b32 v42, v23, v42, s3
	s_load_dword s2, s[4:5], 0x1c
	s_mov_b32 s46, 0xff7fffff
	s_waitcnt lgkmcnt(0)
	v_mfma_f32_16x16x16bf16_1k v[26:29], v[42:43], v[18:19], v[26:29]
	v_perm_b32 v19, v52, v53, s3
	v_perm_b32 v18, v24, v51, s3
	v_and_b32_e32 v24, 0xc0, v0
	v_mov_b32_e32 v22, s2
	v_add_u32_e32 v24, s20, v24
	v_mul_f32_e32 v44, s12, v22
	v_lshl_or_b32 v42, v1, 2, v24
	v_mfma_f32_16x16x16bf16_1k v[18:21], v[18:19], v[20:21], v[26:29]
	v_pk_mul_f32 v[22:23], v[44:45], v[36:37] op_sel_hi:[0,1]
	v_pk_mul_f32 v[36:37], v[44:45], v[40:41] op_sel_hi:[0,1]
	;; [unrolled: 1-line block ×4, first 2 shown]
	v_mov_b32_e32 v43, 0xff7fffff
	v_cmp_gt_i32_e64 s[26:27], s33, v42
	v_pk_mul_f32 v[38:39], v[44:45], v[38:39] op_sel_hi:[0,1]
	s_nop 3
	v_pk_mul_f32 v[32:33], v[44:45], v[18:19] op_sel_hi:[0,1]
	v_or_b32_e32 v19, 1, v42
	v_cmp_gt_i32_e64 s[28:29], s33, v19
	v_cndmask_b32_e64 v18, v43, v30, s[26:27]
	v_cndmask_b32_e64 v19, v43, v31, s[28:29]
	v_pk_mul_f32 v[24:25], v[44:45], v[20:21] op_sel_hi:[0,1]
	v_max3_f32 v18, v18, s46, v19
	v_or_b32_e32 v19, 2, v42
	v_or_b32_e32 v20, 3, v42
	v_cmp_gt_i32_e64 s[30:31], s33, v19
	v_cmp_gt_i32_e64 s[34:35], s33, v20
	v_cndmask_b32_e64 v19, v43, v40, s[30:31]
	v_cndmask_b32_e64 v20, v43, v41, s[34:35]
	v_max3_f32 v18, v18, v19, v20
	v_or_b32_e32 v19, 16, v42
	v_or_b32_e32 v20, 17, v42
	v_cmp_gt_i32_e64 s[36:37], s33, v19
	v_cmp_gt_i32_e64 s[38:39], s33, v20
	v_cndmask_b32_e64 v19, v43, v38, s[36:37]
	v_cndmask_b32_e64 v20, v43, v39, s[38:39]
	;; [unrolled: 7-line block ×3, first 2 shown]
	v_max3_f32 v18, v18, v19, v20
	v_or_b32_e32 v19, 32, v42
	v_or_b32_e32 v20, 33, v42
	v_pk_mul_f32 v[34:35], v[44:45], v[34:35] op_sel_hi:[0,1]
	v_cmp_gt_i32_e64 s[16:17], s33, v19
	v_cmp_gt_i32_e64 s[18:19], s33, v20
	v_cndmask_b32_e64 v19, v43, v34, s[16:17]
	v_cndmask_b32_e64 v20, v43, v35, s[18:19]
	v_max3_f32 v18, v18, v19, v20
	v_or_b32_e32 v19, 34, v42
	v_or_b32_e32 v20, 35, v42
	v_cmp_gt_i32_e64 s[12:13], s33, v19
	v_cmp_gt_i32_e64 s[14:15], s33, v20
	v_cndmask_b32_e64 v19, v43, v22, s[12:13]
	v_cndmask_b32_e64 v20, v43, v23, s[14:15]
	v_max3_f32 v18, v18, v19, v20
	v_or_b32_e32 v19, 48, v42
	v_or_b32_e32 v20, 49, v42
	v_cmp_gt_i32_e64 s[8:9], s33, v19
	v_cmp_gt_i32_e64 s[10:11], s33, v20
	v_cndmask_b32_e64 v19, v43, v32, s[8:9]
	v_cndmask_b32_e64 v20, v43, v33, s[10:11]
	v_max3_f32 v18, v18, v19, v20
	v_or_b32_e32 v19, 50, v42
	v_or_b32_e32 v20, 51, v42
	v_cmp_gt_i32_e32 vcc, s33, v19
	v_cmp_gt_i32_e64 s[2:3], s33, v20
	v_cndmask_b32_e32 v19, v43, v24, vcc
	v_cndmask_b32_e64 v20, v43, v25, s[2:3]
	v_max3_f32 v18, v18, v19, v20
	v_mbcnt_lo_u32_b32 v19, -1, 0
	v_mbcnt_hi_u32_b32 v19, -1, v19
	v_and_b32_e32 v20, 64, v19
	v_add_u32_e32 v20, 64, v20
	v_xor_b32_e32 v21, 32, v19
	v_cmp_lt_i32_e64 s[40:41], v21, v20
	v_cndmask_b32_e64 v21, v19, v21, s[40:41]
	v_lshlrev_b32_e32 v43, 2, v21
	ds_bpermute_b32 v21, v43, v18
	s_barrier
	s_waitcnt lgkmcnt(0)
	v_max_f32_e32 v21, v21, v21
	v_max_f32_e32 v18, v18, v21
	v_xor_b32_e32 v21, 16, v19
	v_cmp_lt_i32_e64 s[40:41], v21, v20
	v_cndmask_b32_e64 v19, v19, v21, s[40:41]
	v_lshlrev_b32_e32 v44, 2, v19
	ds_bpermute_b32 v19, v44, v18
	s_waitcnt lgkmcnt(0)
	v_max_f32_e32 v19, v19, v19
	v_max_f32_e32 v42, v18, v19
	v_sub_f32_e32 v21, v40, v42
	v_sub_f32_e32 v26, v41, v42
	v_mul_f32_e32 v21, 0x3fb8aa3b, v21
	v_mul_f32_e32 v26, 0x3fb8aa3b, v26
	v_sub_f32_e32 v18, v30, v42
	v_exp_f32_e32 v21, v21
	v_exp_f32_e32 v26, v26
	v_mul_f32_e32 v18, 0x3fb8aa3b, v18
	v_sub_f32_e32 v19, v31, v42
	v_exp_f32_e32 v18, v18
	v_mul_f32_e32 v19, 0x3fb8aa3b, v19
	v_exp_f32_e32 v19, v19
	v_cndmask_b32_e64 v28, 0, v21, s[30:31]
	v_cndmask_b32_e64 v29, 0, v26, s[34:35]
	v_sub_f32_e32 v21, v38, v42
	v_sub_f32_e32 v26, v39, v42
	v_mul_f32_e32 v21, 0x3fb8aa3b, v21
	v_mul_f32_e32 v26, 0x3fb8aa3b, v26
	v_cndmask_b32_e64 v18, 0, v18, s[26:27]
	v_exp_f32_e32 v21, v21
	v_exp_f32_e32 v26, v26
	v_add_f32_e32 v20, 0, v18
	v_cndmask_b32_e64 v19, 0, v19, s[28:29]
	v_add_f32_e32 v20, v20, v19
	v_add_f32_e32 v20, v20, v28
	;; [unrolled: 1-line block ×3, first 2 shown]
	v_cndmask_b32_e64 v20, 0, v21, s[36:37]
	v_cndmask_b32_e64 v21, 0, v26, s[38:39]
	v_sub_f32_e32 v26, v36, v42
	v_mul_f32_e32 v26, 0x3fb8aa3b, v26
	v_exp_f32_e32 v26, v26
	v_sub_f32_e32 v30, v37, v42
	v_add_f32_e32 v27, v27, v20
	v_mul_f32_e32 v30, 0x3fb8aa3b, v30
	v_exp_f32_e32 v31, v30
	v_add_f32_e32 v27, v27, v21
	v_cndmask_b32_e64 v30, 0, v26, s[20:21]
	v_add_f32_e32 v26, v27, v30
	v_sub_f32_e32 v27, v34, v42
	v_mul_f32_e32 v27, 0x3fb8aa3b, v27
	v_sub_f32_e32 v34, v35, v42
	v_exp_f32_e32 v27, v27
	v_mul_f32_e32 v34, 0x3fb8aa3b, v34
	v_sub_f32_e32 v22, v22, v42
	v_exp_f32_e32 v34, v34
	;; [unrolled: 3-line block ×3, first 2 shown]
	v_mul_f32_e32 v23, 0x3fb8aa3b, v23
	v_cndmask_b32_e64 v31, 0, v31, s[22:23]
	v_exp_f32_e32 v23, v23
	v_add_f32_e32 v35, v26, v31
	v_cndmask_b32_e64 v26, 0, v27, s[16:17]
	v_add_f32_e32 v35, v35, v26
	v_cndmask_b32_e64 v27, 0, v34, s[18:19]
	;; [unrolled: 2-line block ×4, first 2 shown]
	v_sub_f32_e32 v23, v32, v42
	v_mul_f32_e32 v23, 0x3fb8aa3b, v23
	v_sub_f32_e32 v32, v33, v42
	v_exp_f32_e32 v23, v23
	v_mul_f32_e32 v32, 0x3fb8aa3b, v32
	v_sub_f32_e32 v24, v24, v42
	v_exp_f32_e32 v32, v32
	;; [unrolled: 3-line block ×3, first 2 shown]
	v_mul_f32_e32 v25, 0x3fb8aa3b, v25
	v_exp_f32_e32 v25, v25
	v_add_f32_e32 v33, v22, v35
	v_cndmask_b32_e64 v22, 0, v23, s[8:9]
	v_add_f32_e32 v33, v33, v22
	v_cndmask_b32_e64 v23, 0, v32, s[10:11]
	v_add_f32_e32 v32, v33, v23
	v_cndmask_b32_e32 v24, 0, v24, vcc
	v_add_f32_e32 v32, v32, v24
	v_cndmask_b32_e64 v25, 0, v25, s[2:3]
	v_add_f32_e32 v32, v32, v25
	ds_bpermute_b32 v33, v43, v32
	v_cmp_gt_u32_e32 vcc, 16, v45
	s_waitcnt lgkmcnt(0)
	v_add_f32_e32 v32, v32, v33
	ds_bpermute_b32 v36, v44, v32
	v_lshlrev_b32_e32 v33, 2, v49
	s_and_saveexec_b64 s[2:3], vcc
	s_cbranch_execz .LBB892_397
; %bb.396:
	s_waitcnt lgkmcnt(0)
	v_add_f32_e32 v32, v32, v36
	v_lshl_or_b32 v36, v50, 6, v33
	ds_write2st64_b32 v36, v42, v32 offset1:1
.LBB892_397:
	s_or_b64 exec, exec, s[2:3]
	s_waitcnt lgkmcnt(0)
	s_barrier
	ds_read2_b32 v[36:37], v33 offset1:16
	ds_read2_b32 v[38:39], v33 offset0:32 offset1:48
	ds_read2_b32 v[40:41], v33 offset0:64 offset1:80
	s_mul_i32 s12, s45, 15
	s_waitcnt lgkmcnt(2)
	v_max3_f32 v32, v36, s46, v37
	s_waitcnt lgkmcnt(1)
	v_max3_f32 v32, v32, v38, v39
	v_sub_f32_e32 v36, v36, v32
	v_mul_f32_e32 v36, 0x3fb8aa3b, v36
	v_exp_f32_e32 v42, v36
	v_sub_f32_e32 v36, v37, v32
	v_mul_f32_e32 v36, 0x3fb8aa3b, v36
	v_exp_f32_e32 v43, v36
	;; [unrolled: 3-line block ×3, first 2 shown]
	ds_read2_b32 v[36:37], v33 offset0:96 offset1:112
	v_sub_f32_e32 v33, v39, v32
	v_mul_f32_e32 v33, 0x3fb8aa3b, v33
	v_exp_f32_e32 v39, v33
	s_waitcnt lgkmcnt(1)
	v_fma_f32 v33, v42, v40, 0
	v_fmac_f32_e32 v33, v43, v41
	s_waitcnt lgkmcnt(0)
	v_fmac_f32_e32 v33, v38, v36
	v_fmac_f32_e32 v33, v39, v37
	v_add_f32_e32 v36, 0x358637bd, v33
	v_div_scale_f32 v37, s[2:3], v36, v36, 1.0
	v_rcp_f32_e32 v40, v37
	s_movk_i32 s2, 0x7fff
	s_mov_b32 s3, 0x7060302
	v_fma_f32 v41, -v37, v40, 1.0
	v_fmac_f32_e32 v40, v41, v40
	v_div_scale_f32 v41, vcc, 1.0, v36, 1.0
	v_mul_f32_e32 v44, v41, v40
	v_fma_f32 v45, -v37, v44, v41
	v_fmac_f32_e32 v44, v45, v40
	v_fma_f32 v37, -v37, v44, v41
	v_div_fmas_f32 v37, v37, v40, v44
	v_cmp_eq_u32_e32 vcc, 1, v50
	v_div_fixup_f32 v36, v37, v36, 1.0
	v_cndmask_b32_e32 v37, v42, v43, vcc
	v_cmp_eq_u32_e32 vcc, 2, v50
	v_cndmask_b32_e32 v37, v37, v38, vcc
	v_cmp_eq_u32_e32 vcc, 3, v50
	v_cndmask_b32_e32 v37, v37, v39, vcc
	v_mul_f32_e32 v36, v37, v36
	v_pk_mul_f32 v[18:19], v[36:37], v[18:19] op_sel_hi:[0,1]
	v_pk_mul_f32 v[28:29], v[36:37], v[28:29] op_sel_hi:[0,1]
	v_bfe_u32 v37, v19, 16, 1
	v_bfe_u32 v38, v18, 16, 1
	v_add3_u32 v18, v18, v38, s2
	v_add3_u32 v19, v19, v37, s2
	v_perm_b32 v18, v19, v18, s3
	v_bfe_u32 v19, v29, 16, 1
	v_bfe_u32 v37, v28, 16, 1
	v_add3_u32 v28, v28, v37, s2
	v_add3_u32 v19, v29, v19, s2
	v_perm_b32 v19, v19, v28, s3
	v_lshlrev_b32_e32 v28, 3, v1
	v_lshlrev_b32_e32 v29, 11, v50
	v_pk_mul_f32 v[20:21], v[36:37], v[20:21] op_sel_hi:[0,1]
	v_or3_b32 v28, v29, v48, v28
	v_pk_mul_f32 v[30:31], v[36:37], v[30:31] op_sel_hi:[0,1]
	v_bfe_u32 v29, v21, 16, 1
	v_bfe_u32 v37, v20, 16, 1
	v_add3_u32 v20, v20, v37, s2
	v_add3_u32 v21, v21, v29, s2
	v_perm_b32 v20, v21, v20, s3
	v_bfe_u32 v21, v31, 16, 1
	v_bfe_u32 v29, v30, 16, 1
	v_add3_u32 v29, v30, v29, s2
	v_add3_u32 v21, v31, v21, s2
	v_perm_b32 v21, v21, v29, s3
	s_barrier
	ds_write2st64_b64 v28, v[18:19], v[20:21] offset1:1
	v_pk_mul_f32 v[20:21], v[36:37], v[26:27] op_sel_hi:[0,1]
	v_bfe_u32 v26, v21, 16, 1
	v_bfe_u32 v27, v20, 16, 1
	v_pk_mul_f32 v[18:19], v[36:37], v[34:35] op_sel_hi:[0,1]
	v_add3_u32 v20, v20, v27, s2
	v_add3_u32 v21, v21, v26, s2
	v_perm_b32 v20, v21, v20, s3
	v_bfe_u32 v21, v19, 16, 1
	v_bfe_u32 v26, v18, 16, 1
	v_add3_u32 v18, v18, v26, s2
	v_add3_u32 v19, v19, v21, s2
	v_pk_mul_f32 v[22:23], v[36:37], v[22:23] op_sel_hi:[0,1]
	v_perm_b32 v21, v19, v18, s3
	v_pk_mul_f32 v[18:19], v[36:37], v[24:25] op_sel_hi:[0,1]
	v_bfe_u32 v24, v23, 16, 1
	v_bfe_u32 v25, v22, 16, 1
	v_add3_u32 v22, v22, v25, s2
	v_add3_u32 v23, v23, v24, s2
	v_perm_b32 v22, v23, v22, s3
	v_bfe_u32 v23, v19, 16, 1
	v_bfe_u32 v24, v18, 16, 1
	v_add3_u32 v18, v18, v24, s2
	v_add3_u32 v19, v19, v23, s2
	v_perm_b32 v23, v19, v18, s3
	v_cmp_gt_u32_e32 vcc, 15, v0
	ds_write2st64_b64 v28, v[20:21], v[22:23] offset0:2 offset1:3
	s_and_saveexec_b64 s[2:3], vcc
	s_cbranch_execz .LBB892_399
; %bb.398:
	v_add_co_u32_e32 v20, vcc, s25, v49
	v_addc_co_u32_e64 v21, s[14:15], 0, 0, vcc
	v_mov_b32_e32 v18, s12
	v_mov_b32_e32 v19, 0
	v_mad_u64_u32 v[20:21], s[14:15], s6, v18, v[20:21]
	v_mov_b32_e32 v18, s24
	s_load_dwordx4 s[8:11], s[4:5], 0x58
	s_mul_i32 s7, s7, s12
	v_mad_u64_u32 v[18:19], s[14:15], v20, s44, v[18:19]
	v_add_u32_e32 v21, s7, v21
	v_mov_b32_e32 v20, v19
	v_mad_u64_u32 v[20:21], s[14:15], v21, s44, v[20:21]
	v_mov_b32_e32 v19, v20
	v_lshlrev_b64 v[18:19], 2, v[18:19]
	s_waitcnt lgkmcnt(0)
	v_mov_b32_e32 v21, s11
	v_add_co_u32_e32 v20, vcc, s10, v18
	v_addc_co_u32_e32 v21, vcc, v21, v19, vcc
	global_store_dword v[20:21], v32, off
	v_mov_b32_e32 v20, s9
	v_add_co_u32_e32 v18, vcc, s8, v18
	v_addc_co_u32_e32 v19, vcc, v20, v19, vcc
	global_store_dword v[18:19], v33, off
.LBB892_399:
	s_or_b64 exec, exec, s[2:3]
	v_mov_b32_e32 v19, 0
	s_waitcnt vmcnt(3)
	v_cmp_ne_u16_sdwa s[8:9], v14, v19 src0_sel:BYTE_0 src1_sel:DWORD
	v_mov_b32_e32 v20, 0
	s_waitcnt lgkmcnt(0)
	s_barrier
	s_and_saveexec_b64 s[2:3], s[8:9]
	s_cbranch_execz .LBB892_405
; %bb.400:
	s_movk_i32 s7, 0x80
	v_cmp_ne_u16_sdwa s[10:11], v14, s7 src0_sel:BYTE_0 src1_sel:DWORD
	v_mov_b32_e32 v20, 0xffff8000
	s_and_saveexec_b64 s[8:9], s[10:11]
	s_cbranch_execz .LBB892_404
; %bb.401:
	s_movk_i32 s7, 0x7f
	v_and_b32_e32 v18, 0x7f, v14
	v_cmp_ne_u32_e32 vcc, s7, v18
	v_mov_b32_e32 v20, 0x7f80
	s_and_saveexec_b64 s[10:11], vcc
	s_cbranch_execz .LBB892_403
; %bb.402:
	v_and_b32_e32 v22, 7, v14
	v_ffbh_u32_e32 v20, v22
	v_min_u32_e32 v24, 32, v20
	v_subrev_u32_e32 v20, 28, v24
	v_lshlrev_b64 v[20:21], v20, v[14:15]
	v_lshrrev_b32_e32 v23, 3, v18
	v_sub_u32_e32 v21, 29, v24
	v_and_b32_e32 v20, 7, v20
	v_cmp_gt_u32_e32 vcc, 8, v18
	v_cndmask_b32_e32 v18, v23, v21, vcc
	v_cndmask_b32_e32 v20, v22, v20, vcc
	v_lshlrev_b32_e32 v21, 24, v14
	v_bfrev_b32_e32 v22, 60
	v_lshlrev_b32_e32 v20, 20, v20
	v_and_b32_e32 v21, 0x80000000, v21
	v_lshl_add_u32 v18, v18, 23, v22
	v_or3_b32 v18, v21, v18, v20
	v_lshrrev_b32_e32 v20, 16, v18
.LBB892_403:
	s_or_b64 exec, exec, s[10:11]
.LBB892_404:
	s_or_b64 exec, exec, s[8:9]
.LBB892_405:
	s_or_b64 exec, exec, s[2:3]
	v_lshrrev_b16_e32 v18, 8, v14
	v_cmp_ne_u16_e32 vcc, 0, v18
	s_and_saveexec_b64 s[2:3], vcc
	s_cbranch_execz .LBB892_411
; %bb.406:
	s_movk_i32 s7, 0x80
	v_cmp_ne_u16_e32 vcc, s7, v18
	v_mov_b32_e32 v19, 0xffff8000
	s_and_saveexec_b64 s[8:9], vcc
	s_cbranch_execz .LBB892_410
; %bb.407:
	s_movk_i32 s7, 0x7f
	v_and_b32_e32 v21, 0x7f, v18
	v_cmp_ne_u32_e32 vcc, s7, v21
	v_mov_b32_e32 v19, 0x7f80
	s_and_saveexec_b64 s[10:11], vcc
	s_cbranch_execz .LBB892_409
; %bb.408:
	v_and_b32_e32 v22, 7, v18
	v_ffbh_u32_e32 v19, v22
	v_min_u32_e32 v24, 32, v19
	v_subrev_u32_e32 v19, 28, v24
	v_lshlrev_b64 v[18:19], v19, v[18:19]
	v_lshrrev_b32_e32 v23, 3, v21
	v_sub_u32_e32 v19, 29, v24
	v_and_b32_e32 v18, 7, v18
	v_cmp_gt_u32_e32 vcc, 8, v21
	v_cndmask_b32_e32 v19, v23, v19, vcc
	v_cndmask_b32_e32 v18, v22, v18, vcc
	v_lshlrev_b32_e32 v21, 16, v14
	v_bfrev_b32_e32 v22, 60
	v_lshlrev_b32_e32 v18, 20, v18
	v_and_b32_e32 v21, 0x80000000, v21
	v_lshl_add_u32 v19, v19, 23, v22
	v_or3_b32 v18, v21, v19, v18
	v_lshrrev_b32_e32 v19, 16, v18
.LBB892_409:
	s_or_b64 exec, exec, s[10:11]
.LBB892_410:
	s_or_b64 exec, exec, s[8:9]
.LBB892_411:
	s_or_b64 exec, exec, s[2:3]
	s_movk_i32 s2, 0xff
	v_and_b32_sdwa v23, v14, s2 dst_sel:DWORD dst_unused:UNUSED_PAD src0_sel:WORD_1 src1_sel:DWORD
	v_lshrrev_b32_e32 v18, 16, v14
	v_cmp_ne_u16_e32 vcc, 0, v23
	v_mov_b32_e32 v21, 0
	v_mov_b32_e32 v22, 0
	s_and_saveexec_b64 s[2:3], vcc
	s_cbranch_execz .LBB892_417
; %bb.412:
	s_movk_i32 s7, 0x80
	v_cmp_ne_u16_e32 vcc, s7, v23
	v_mov_b32_e32 v22, 0xffff8000
	s_and_saveexec_b64 s[8:9], vcc
	s_cbranch_execz .LBB892_416
; %bb.413:
	v_bfe_u32 v23, v14, 16, 7
	s_movk_i32 s7, 0x7f
	v_cmp_ne_u32_e32 vcc, s7, v23
	v_mov_b32_e32 v22, 0x7f80
	s_and_saveexec_b64 s[10:11], vcc
	s_cbranch_execz .LBB892_415
; %bb.414:
	v_and_b32_e32 v22, 7, v18
	v_ffbh_u32_e32 v24, v22
	v_min_u32_e32 v27, 32, v24
	v_subrev_u32_e32 v24, 28, v27
	v_lshlrev_b64 v[24:25], v24, v[18:19]
	v_lshrrev_b32_e32 v26, 3, v23
	v_sub_u32_e32 v18, 29, v27
	v_and_b32_e32 v24, 7, v24
	v_cmp_gt_u32_e32 vcc, 8, v23
	v_mov_b32_e32 v23, 24
	v_cndmask_b32_e32 v18, v26, v18, vcc
	v_cndmask_b32_e32 v22, v22, v24, vcc
	v_lshlrev_b32_sdwa v23, v23, v14 dst_sel:DWORD dst_unused:UNUSED_PAD src0_sel:DWORD src1_sel:WORD_1
	v_bfrev_b32_e32 v24, 60
	v_lshlrev_b32_e32 v22, 20, v22
	v_and_b32_e32 v23, 0x80000000, v23
	v_lshl_add_u32 v18, v18, 23, v24
	v_or3_b32 v18, v23, v18, v22
	v_lshrrev_b32_e32 v22, 16, v18
.LBB892_415:
	s_or_b64 exec, exec, s[10:11]
.LBB892_416:
	s_or_b64 exec, exec, s[8:9]
.LBB892_417:
	s_or_b64 exec, exec, s[2:3]
	s_mov_b32 s2, 0xffffff
	v_cmp_lt_u32_e32 vcc, s2, v14
	s_and_saveexec_b64 s[2:3], vcc
	s_cbranch_execz .LBB892_423
; %bb.418:
	v_lshrrev_b32_e32 v18, 24, v14
	s_movk_i32 s7, 0x80
	v_cmp_ne_u32_e32 vcc, s7, v18
	v_mov_b32_e32 v21, 0xffff8000
	s_and_saveexec_b64 s[8:9], vcc
	s_cbranch_execz .LBB892_422
; %bb.419:
	v_bfe_u32 v14, v14, 24, 7
	s_movk_i32 s7, 0x7f
	v_cmp_ne_u32_e32 vcc, s7, v14
	v_mov_b32_e32 v21, 0x7f80
	s_and_saveexec_b64 s[10:11], vcc
	s_cbranch_execz .LBB892_421
; %bb.420:
	v_and_b32_e32 v21, 7, v18
	v_ffbh_u32_e32 v24, v21
	v_min_u32_e32 v26, 32, v24
	v_subrev_u32_e32 v24, 28, v26
	v_lshlrev_b64 v[24:25], v24, v[18:19]
	v_lshrrev_b32_e32 v23, 3, v14
	v_sub_u32_e32 v25, 29, v26
	v_and_b32_e32 v24, 7, v24
	v_cmp_gt_u32_e32 vcc, 8, v14
	v_cndmask_b32_e32 v14, v23, v25, vcc
	v_cndmask_b32_e32 v21, v21, v24, vcc
	v_lshlrev_b32_e32 v18, 24, v18
	v_bfrev_b32_e32 v23, 60
	v_lshlrev_b32_e32 v21, 20, v21
	v_and_b32_e32 v18, 0x80000000, v18
	v_lshl_add_u32 v14, v14, 23, v23
	v_or3_b32 v14, v18, v14, v21
	v_lshrrev_b32_e32 v21, 16, v14
.LBB892_421:
	s_or_b64 exec, exec, s[10:11]
.LBB892_422:
	s_or_b64 exec, exec, s[8:9]
.LBB892_423:
	s_or_b64 exec, exec, s[2:3]
	v_mov_b32_e32 v18, 0
	v_cmp_ne_u16_sdwa s[8:9], v15, v18 src0_sel:BYTE_0 src1_sel:DWORD
	v_mov_b32_e32 v23, 0
	s_and_saveexec_b64 s[2:3], s[8:9]
	s_cbranch_execz .LBB892_429
; %bb.424:
	s_movk_i32 s7, 0x80
	v_cmp_ne_u16_sdwa s[10:11], v15, s7 src0_sel:BYTE_0 src1_sel:DWORD
	v_mov_b32_e32 v23, 0xffff8000
	s_and_saveexec_b64 s[8:9], s[10:11]
	s_cbranch_execz .LBB892_428
; %bb.425:
	s_movk_i32 s7, 0x7f
	v_and_b32_e32 v14, 0x7f, v15
	v_cmp_ne_u32_e32 vcc, s7, v14
	v_mov_b32_e32 v23, 0x7f80
	s_and_saveexec_b64 s[10:11], vcc
	s_cbranch_execz .LBB892_427
; %bb.426:
	v_and_b32_e32 v23, 7, v15
	v_ffbh_u32_e32 v25, v23
	v_min_u32_e32 v27, 32, v25
	v_mov_b32_e32 v24, v15
	v_subrev_u32_e32 v25, 28, v27
	v_lshlrev_b64 v[24:25], v25, v[24:25]
	v_lshrrev_b32_e32 v26, 3, v14
	v_sub_u32_e32 v25, 29, v27
	v_and_b32_e32 v24, 7, v24
	v_cmp_gt_u32_e32 vcc, 8, v14
	v_cndmask_b32_e32 v14, v26, v25, vcc
	v_cndmask_b32_e32 v23, v23, v24, vcc
	v_lshlrev_b32_e32 v24, 24, v15
	v_bfrev_b32_e32 v25, 60
	v_lshlrev_b32_e32 v23, 20, v23
	v_and_b32_e32 v24, 0x80000000, v24
	v_lshl_add_u32 v14, v14, 23, v25
	v_or3_b32 v14, v24, v14, v23
	v_lshrrev_b32_e32 v23, 16, v14
.LBB892_427:
	s_or_b64 exec, exec, s[10:11]
.LBB892_428:
	s_or_b64 exec, exec, s[8:9]
.LBB892_429:
	s_or_b64 exec, exec, s[2:3]
	v_lshrrev_b16_e32 v14, 8, v15
	v_cmp_ne_u16_e32 vcc, 0, v14
	s_and_saveexec_b64 s[2:3], vcc
	s_cbranch_execz .LBB892_435
; %bb.430:
	s_movk_i32 s7, 0x80
	v_cmp_ne_u16_e32 vcc, s7, v14
	v_mov_b32_e32 v18, 0xffff8000
	s_and_saveexec_b64 s[8:9], vcc
	s_cbranch_execz .LBB892_434
; %bb.431:
	s_movk_i32 s7, 0x7f
	v_and_b32_e32 v24, 0x7f, v14
	v_cmp_ne_u32_e32 vcc, s7, v24
	v_mov_b32_e32 v18, 0x7f80
	s_and_saveexec_b64 s[10:11], vcc
	s_cbranch_execz .LBB892_433
; %bb.432:
	v_and_b32_e32 v18, 7, v14
	v_ffbh_u32_e32 v26, v18
	v_min_u32_e32 v29, 32, v26
	v_subrev_u32_e32 v26, 28, v29
	v_lshlrev_b64 v[26:27], v26, v[14:15]
	v_lshrrev_b32_e32 v25, 3, v24
	v_sub_u32_e32 v14, 29, v29
	v_and_b32_e32 v26, 7, v26
	v_cmp_gt_u32_e32 vcc, 8, v24
	v_cndmask_b32_e32 v14, v25, v14, vcc
	v_cndmask_b32_e32 v18, v18, v26, vcc
	v_lshlrev_b32_e32 v24, 16, v15
	v_bfrev_b32_e32 v25, 60
	v_lshlrev_b32_e32 v18, 20, v18
	v_and_b32_e32 v24, 0x80000000, v24
	v_lshl_add_u32 v14, v14, 23, v25
	v_or3_b32 v14, v24, v14, v18
	v_lshrrev_b32_e32 v18, 16, v14
.LBB892_433:
	s_or_b64 exec, exec, s[10:11]
.LBB892_434:
	s_or_b64 exec, exec, s[8:9]
.LBB892_435:
	s_or_b64 exec, exec, s[2:3]
	s_movk_i32 s2, 0xff
	v_and_b32_sdwa v26, v15, s2 dst_sel:DWORD dst_unused:UNUSED_PAD src0_sel:WORD_1 src1_sel:DWORD
	v_lshrrev_b32_e32 v14, 16, v15
	v_cmp_ne_u16_e32 vcc, 0, v26
	v_mov_b32_e32 v24, 0
	v_mov_b32_e32 v25, 0
	s_and_saveexec_b64 s[2:3], vcc
	s_cbranch_execz .LBB892_441
; %bb.436:
	s_movk_i32 s7, 0x80
	v_cmp_ne_u16_e32 vcc, s7, v26
	v_mov_b32_e32 v25, 0xffff8000
	s_and_saveexec_b64 s[8:9], vcc
	s_cbranch_execz .LBB892_440
; %bb.437:
	v_bfe_u32 v26, v15, 16, 7
	s_movk_i32 s7, 0x7f
	v_cmp_ne_u32_e32 vcc, s7, v26
	v_mov_b32_e32 v25, 0x7f80
	s_and_saveexec_b64 s[10:11], vcc
	s_cbranch_execz .LBB892_439
; %bb.438:
	v_and_b32_e32 v25, 7, v14
	v_ffbh_u32_e32 v29, v25
	v_min_u32_e32 v29, 32, v29
	v_subrev_u32_e32 v30, 28, v29
	v_lshlrev_b64 v[30:31], v30, v[14:15]
	v_lshrrev_b32_e32 v27, 3, v26
	v_sub_u32_e32 v14, 29, v29
	v_and_b32_e32 v29, 7, v30
	v_cmp_gt_u32_e32 vcc, 8, v26
	v_mov_b32_e32 v26, 24
	v_cndmask_b32_e32 v14, v27, v14, vcc
	v_cndmask_b32_e32 v25, v25, v29, vcc
	v_lshlrev_b32_sdwa v26, v26, v15 dst_sel:DWORD dst_unused:UNUSED_PAD src0_sel:DWORD src1_sel:WORD_1
	v_bfrev_b32_e32 v27, 60
	v_lshlrev_b32_e32 v25, 20, v25
	v_and_b32_e32 v26, 0x80000000, v26
	v_lshl_add_u32 v14, v14, 23, v27
	v_or3_b32 v14, v26, v14, v25
	v_lshrrev_b32_e32 v25, 16, v14
.LBB892_439:
	s_or_b64 exec, exec, s[10:11]
.LBB892_440:
	s_or_b64 exec, exec, s[8:9]
.LBB892_441:
	s_or_b64 exec, exec, s[2:3]
	s_mov_b32 s2, 0xffffff
	v_cmp_lt_u32_e32 vcc, s2, v15
	s_and_saveexec_b64 s[2:3], vcc
	s_cbranch_execz .LBB892_447
; %bb.442:
	v_lshrrev_b32_e32 v14, 24, v15
	s_movk_i32 s7, 0x80
	v_cmp_ne_u32_e32 vcc, s7, v14
	v_mov_b32_e32 v24, 0xffff8000
	s_and_saveexec_b64 s[8:9], vcc
	s_cbranch_execz .LBB892_446
; %bb.443:
	v_bfe_u32 v15, v15, 24, 7
	s_movk_i32 s7, 0x7f
	v_cmp_ne_u32_e32 vcc, s7, v15
	v_mov_b32_e32 v24, 0x7f80
	s_and_saveexec_b64 s[10:11], vcc
	s_cbranch_execz .LBB892_445
; %bb.444:
	v_and_b32_e32 v24, 7, v14
	v_ffbh_u32_e32 v26, v24
	v_min_u32_e32 v30, 32, v26
	v_subrev_u32_e32 v26, 28, v30
	v_lshlrev_b64 v[26:27], v26, v[14:15]
	v_lshrrev_b32_e32 v29, 3, v15
	v_sub_u32_e32 v27, 29, v30
	v_and_b32_e32 v26, 7, v26
	v_cmp_gt_u32_e32 vcc, 8, v15
	v_cndmask_b32_e32 v15, v29, v27, vcc
	v_cndmask_b32_e32 v24, v24, v26, vcc
	v_lshlrev_b32_e32 v14, 24, v14
	v_bfrev_b32_e32 v26, 60
	v_lshlrev_b32_e32 v24, 20, v24
	v_and_b32_e32 v14, 0x80000000, v14
	v_lshl_add_u32 v15, v15, 23, v26
	v_or3_b32 v14, v14, v15, v24
	v_lshrrev_b32_e32 v24, 16, v14
.LBB892_445:
	s_or_b64 exec, exec, s[10:11]
.LBB892_446:
	s_or_b64 exec, exec, s[8:9]
.LBB892_447:
	s_or_b64 exec, exec, s[2:3]
	s_mov_b32 s2, 0x5040100
	v_perm_b32 v15, v21, v22, s2
	v_lshl_or_b32 v22, v1, 9, v48
	v_perm_b32 v14, v19, v20, s2
	ds_read_b128 v[30:33], v22
	v_perm_b32 v19, v24, v25, s2
	v_perm_b32 v18, v18, v23, s2
	s_waitcnt lgkmcnt(0)
	v_mfma_f32_16x16x16bf16_1k v[34:37], v[14:15], v[30:31], 0
	v_mov_b32_e32 v15, 0
	v_cmp_ne_u16_sdwa s[8:9], v16, v15 src0_sel:BYTE_0 src1_sel:DWORD
	v_mov_b32_e32 v23, 0
	v_mfma_f32_16x16x16bf16_1k v[18:21], v[18:19], v[32:33], v[34:37]
	s_and_saveexec_b64 s[2:3], s[8:9]
	s_cbranch_execz .LBB892_453
; %bb.448:
	s_movk_i32 s7, 0x80
	v_cmp_ne_u16_sdwa s[10:11], v16, s7 src0_sel:BYTE_0 src1_sel:DWORD
	v_mov_b32_e32 v23, 0xffff8000
	s_and_saveexec_b64 s[8:9], s[10:11]
	s_cbranch_execz .LBB892_452
; %bb.449:
	s_movk_i32 s7, 0x7f
	v_and_b32_e32 v14, 0x7f, v16
	v_cmp_ne_u32_e32 vcc, s7, v14
	v_mov_b32_e32 v23, 0x7f80
	s_and_saveexec_b64 s[10:11], vcc
	s_cbranch_execz .LBB892_451
; %bb.450:
	v_and_b32_e32 v23, 7, v16
	v_ffbh_u32_e32 v24, v23
	v_min_u32_e32 v27, 32, v24
	v_subrev_u32_e32 v24, 28, v27
	v_lshlrev_b64 v[24:25], v24, v[16:17]
	v_lshrrev_b32_e32 v26, 3, v14
	v_sub_u32_e32 v25, 29, v27
	v_and_b32_e32 v24, 7, v24
	v_cmp_gt_u32_e32 vcc, 8, v14
	v_cndmask_b32_e32 v14, v26, v25, vcc
	v_cndmask_b32_e32 v23, v23, v24, vcc
	v_lshlrev_b32_e32 v24, 24, v16
	v_bfrev_b32_e32 v25, 60
	v_lshlrev_b32_e32 v23, 20, v23
	v_and_b32_e32 v24, 0x80000000, v24
	v_lshl_add_u32 v14, v14, 23, v25
	v_or3_b32 v14, v24, v14, v23
	v_lshrrev_b32_e32 v23, 16, v14
.LBB892_451:
	s_or_b64 exec, exec, s[10:11]
.LBB892_452:
	s_or_b64 exec, exec, s[8:9]
.LBB892_453:
	s_or_b64 exec, exec, s[2:3]
	v_lshrrev_b16_e32 v14, 8, v16
	v_cmp_ne_u16_e32 vcc, 0, v14
	s_and_saveexec_b64 s[2:3], vcc
	s_cbranch_execz .LBB892_459
; %bb.454:
	s_movk_i32 s7, 0x80
	v_cmp_ne_u16_e32 vcc, s7, v14
	v_mov_b32_e32 v15, 0xffff8000
	s_and_saveexec_b64 s[8:9], vcc
	s_cbranch_execz .LBB892_458
; %bb.455:
	s_movk_i32 s7, 0x7f
	v_and_b32_e32 v24, 0x7f, v14
	v_cmp_ne_u32_e32 vcc, s7, v24
	v_mov_b32_e32 v15, 0x7f80
	s_and_saveexec_b64 s[10:11], vcc
	s_cbranch_execz .LBB892_457
; %bb.456:
	v_and_b32_e32 v25, 7, v14
	v_ffbh_u32_e32 v15, v25
	v_min_u32_e32 v27, 32, v15
	v_subrev_u32_e32 v15, 28, v27
	v_lshlrev_b64 v[14:15], v15, v[14:15]
	v_lshrrev_b32_e32 v26, 3, v24
	v_sub_u32_e32 v15, 29, v27
	v_and_b32_e32 v14, 7, v14
	v_cmp_gt_u32_e32 vcc, 8, v24
	v_cndmask_b32_e32 v15, v26, v15, vcc
	v_cndmask_b32_e32 v14, v25, v14, vcc
	v_lshlrev_b32_e32 v24, 16, v16
	v_bfrev_b32_e32 v25, 60
	v_lshlrev_b32_e32 v14, 20, v14
	v_and_b32_e32 v24, 0x80000000, v24
	v_lshl_add_u32 v15, v15, 23, v25
	v_or3_b32 v14, v24, v15, v14
	v_lshrrev_b32_e32 v15, 16, v14
.LBB892_457:
	s_or_b64 exec, exec, s[10:11]
.LBB892_458:
	s_or_b64 exec, exec, s[8:9]
.LBB892_459:
	s_or_b64 exec, exec, s[2:3]
	s_movk_i32 s2, 0xff
	v_and_b32_sdwa v26, v16, s2 dst_sel:DWORD dst_unused:UNUSED_PAD src0_sel:WORD_1 src1_sel:DWORD
	v_lshrrev_b32_e32 v14, 16, v16
	v_cmp_ne_u16_e32 vcc, 0, v26
	v_mov_b32_e32 v24, 0
	v_mov_b32_e32 v25, 0
	s_and_saveexec_b64 s[2:3], vcc
	s_cbranch_execz .LBB892_465
; %bb.460:
	s_movk_i32 s7, 0x80
	v_cmp_ne_u16_e32 vcc, s7, v26
	v_mov_b32_e32 v25, 0xffff8000
	s_and_saveexec_b64 s[8:9], vcc
	s_cbranch_execz .LBB892_464
; %bb.461:
	v_bfe_u32 v26, v16, 16, 7
	s_movk_i32 s7, 0x7f
	v_cmp_ne_u32_e32 vcc, s7, v26
	v_mov_b32_e32 v25, 0x7f80
	s_and_saveexec_b64 s[10:11], vcc
	s_cbranch_execz .LBB892_463
; %bb.462:
	v_and_b32_e32 v25, 7, v14
	v_ffbh_u32_e32 v29, v25
	v_min_u32_e32 v29, 32, v29
	v_subrev_u32_e32 v30, 28, v29
	v_lshlrev_b64 v[30:31], v30, v[14:15]
	v_lshrrev_b32_e32 v27, 3, v26
	v_sub_u32_e32 v14, 29, v29
	v_and_b32_e32 v29, 7, v30
	v_cmp_gt_u32_e32 vcc, 8, v26
	v_mov_b32_e32 v26, 24
	v_cndmask_b32_e32 v14, v27, v14, vcc
	v_cndmask_b32_e32 v25, v25, v29, vcc
	v_lshlrev_b32_sdwa v26, v26, v16 dst_sel:DWORD dst_unused:UNUSED_PAD src0_sel:DWORD src1_sel:WORD_1
	v_bfrev_b32_e32 v27, 60
	v_lshlrev_b32_e32 v25, 20, v25
	v_and_b32_e32 v26, 0x80000000, v26
	v_lshl_add_u32 v14, v14, 23, v27
	v_or3_b32 v14, v26, v14, v25
	v_lshrrev_b32_e32 v25, 16, v14
.LBB892_463:
	s_or_b64 exec, exec, s[10:11]
.LBB892_464:
	s_or_b64 exec, exec, s[8:9]
.LBB892_465:
	s_or_b64 exec, exec, s[2:3]
	s_mov_b32 s2, 0xffffff
	v_cmp_lt_u32_e32 vcc, s2, v16
	s_and_saveexec_b64 s[2:3], vcc
	s_cbranch_execz .LBB892_471
; %bb.466:
	v_lshrrev_b32_e32 v14, 24, v16
	s_movk_i32 s7, 0x80
	v_cmp_ne_u32_e32 vcc, s7, v14
	v_mov_b32_e32 v24, 0xffff8000
	s_and_saveexec_b64 s[8:9], vcc
	s_cbranch_execz .LBB892_470
; %bb.467:
	v_bfe_u32 v16, v16, 24, 7
	s_movk_i32 s7, 0x7f
	v_cmp_ne_u32_e32 vcc, s7, v16
	v_mov_b32_e32 v24, 0x7f80
	s_and_saveexec_b64 s[10:11], vcc
	s_cbranch_execz .LBB892_469
; %bb.468:
	v_and_b32_e32 v24, 7, v14
	v_ffbh_u32_e32 v26, v24
	v_min_u32_e32 v30, 32, v26
	v_subrev_u32_e32 v26, 28, v30
	v_lshlrev_b64 v[26:27], v26, v[14:15]
	v_lshrrev_b32_e32 v29, 3, v16
	v_sub_u32_e32 v27, 29, v30
	v_and_b32_e32 v26, 7, v26
	v_cmp_gt_u32_e32 vcc, 8, v16
	v_cndmask_b32_e32 v16, v29, v27, vcc
	v_cndmask_b32_e32 v24, v24, v26, vcc
	v_lshlrev_b32_e32 v14, 24, v14
	v_bfrev_b32_e32 v26, 60
	v_lshlrev_b32_e32 v24, 20, v24
	v_and_b32_e32 v14, 0x80000000, v14
	v_lshl_add_u32 v16, v16, 23, v26
	v_or3_b32 v14, v14, v16, v24
	v_lshrrev_b32_e32 v24, 16, v14
.LBB892_469:
	s_or_b64 exec, exec, s[10:11]
.LBB892_470:
	s_or_b64 exec, exec, s[8:9]
.LBB892_471:
	s_or_b64 exec, exec, s[2:3]
	v_mov_b32_e32 v16, 0
	v_cmp_ne_u16_sdwa s[8:9], v17, v16 src0_sel:BYTE_0 src1_sel:DWORD
	v_mov_b32_e32 v26, 0
	s_and_saveexec_b64 s[2:3], s[8:9]
	s_cbranch_execz .LBB892_477
; %bb.472:
	s_movk_i32 s7, 0x80
	v_cmp_ne_u16_sdwa s[10:11], v17, s7 src0_sel:BYTE_0 src1_sel:DWORD
	v_mov_b32_e32 v26, 0xffff8000
	s_and_saveexec_b64 s[8:9], s[10:11]
	s_cbranch_execz .LBB892_476
; %bb.473:
	s_movk_i32 s7, 0x7f
	v_and_b32_e32 v14, 0x7f, v17
	v_cmp_ne_u32_e32 vcc, s7, v14
	v_mov_b32_e32 v26, 0x7f80
	s_and_saveexec_b64 s[10:11], vcc
	s_cbranch_execz .LBB892_475
; %bb.474:
	v_and_b32_e32 v29, 7, v17
	v_ffbh_u32_e32 v27, v29
	v_min_u32_e32 v31, 32, v27
	v_mov_b32_e32 v26, v17
	v_subrev_u32_e32 v27, 28, v31
	v_lshlrev_b64 v[26:27], v27, v[26:27]
	v_lshrrev_b32_e32 v30, 3, v14
	v_sub_u32_e32 v27, 29, v31
	v_and_b32_e32 v26, 7, v26
	v_cmp_gt_u32_e32 vcc, 8, v14
	v_cndmask_b32_e32 v14, v30, v27, vcc
	v_cndmask_b32_e32 v26, v29, v26, vcc
	v_lshlrev_b32_e32 v27, 24, v17
	v_bfrev_b32_e32 v29, 60
	v_lshlrev_b32_e32 v26, 20, v26
	v_and_b32_e32 v27, 0x80000000, v27
	v_lshl_add_u32 v14, v14, 23, v29
	v_or3_b32 v14, v27, v14, v26
	v_lshrrev_b32_e32 v26, 16, v14
.LBB892_475:
	s_or_b64 exec, exec, s[10:11]
.LBB892_476:
	s_or_b64 exec, exec, s[8:9]
.LBB892_477:
	s_or_b64 exec, exec, s[2:3]
	v_lshrrev_b16_e32 v14, 8, v17
	v_cmp_ne_u16_e32 vcc, 0, v14
	s_and_saveexec_b64 s[2:3], vcc
	s_cbranch_execz .LBB892_483
; %bb.478:
	s_movk_i32 s7, 0x80
	v_cmp_ne_u16_e32 vcc, s7, v14
	v_mov_b32_e32 v16, 0xffff8000
	s_and_saveexec_b64 s[8:9], vcc
	s_cbranch_execz .LBB892_482
; %bb.479:
	s_movk_i32 s7, 0x7f
	v_and_b32_e32 v27, 0x7f, v14
	v_cmp_ne_u32_e32 vcc, s7, v27
	v_mov_b32_e32 v16, 0x7f80
	s_and_saveexec_b64 s[10:11], vcc
	s_cbranch_execz .LBB892_481
; %bb.480:
	v_and_b32_e32 v16, 7, v14
	v_ffbh_u32_e32 v30, v16
	v_min_u32_e32 v32, 32, v30
	v_subrev_u32_e32 v30, 28, v32
	v_lshlrev_b64 v[30:31], v30, v[14:15]
	v_lshrrev_b32_e32 v29, 3, v27
	v_sub_u32_e32 v14, 29, v32
	v_and_b32_e32 v30, 7, v30
	v_cmp_gt_u32_e32 vcc, 8, v27
	v_cndmask_b32_e32 v14, v29, v14, vcc
	v_cndmask_b32_e32 v16, v16, v30, vcc
	v_lshlrev_b32_e32 v27, 16, v17
	v_bfrev_b32_e32 v29, 60
	v_lshlrev_b32_e32 v16, 20, v16
	v_and_b32_e32 v27, 0x80000000, v27
	v_lshl_add_u32 v14, v14, 23, v29
	v_or3_b32 v14, v27, v14, v16
	v_lshrrev_b32_e32 v16, 16, v14
.LBB892_481:
	s_or_b64 exec, exec, s[10:11]
.LBB892_482:
	s_or_b64 exec, exec, s[8:9]
.LBB892_483:
	s_or_b64 exec, exec, s[2:3]
	s_movk_i32 s2, 0xff
	v_and_b32_sdwa v30, v17, s2 dst_sel:DWORD dst_unused:UNUSED_PAD src0_sel:WORD_1 src1_sel:DWORD
	v_lshrrev_b32_e32 v14, 16, v17
	v_cmp_ne_u16_e32 vcc, 0, v30
	v_mov_b32_e32 v27, 0
	v_mov_b32_e32 v29, 0
	s_and_saveexec_b64 s[2:3], vcc
	s_cbranch_execz .LBB892_489
; %bb.484:
	s_movk_i32 s7, 0x80
	v_cmp_ne_u16_e32 vcc, s7, v30
	v_mov_b32_e32 v29, 0xffff8000
	s_and_saveexec_b64 s[8:9], vcc
	s_cbranch_execz .LBB892_488
; %bb.485:
	v_bfe_u32 v30, v17, 16, 7
	s_movk_i32 s7, 0x7f
	v_cmp_ne_u32_e32 vcc, s7, v30
	v_mov_b32_e32 v29, 0x7f80
	s_and_saveexec_b64 s[10:11], vcc
	s_cbranch_execz .LBB892_487
; %bb.486:
	v_and_b32_e32 v29, 7, v14
	v_ffbh_u32_e32 v32, v29
	v_min_u32_e32 v34, 32, v32
	v_subrev_u32_e32 v32, 28, v34
	v_lshlrev_b64 v[32:33], v32, v[14:15]
	v_lshrrev_b32_e32 v31, 3, v30
	v_sub_u32_e32 v14, 29, v34
	v_and_b32_e32 v32, 7, v32
	v_cmp_gt_u32_e32 vcc, 8, v30
	v_mov_b32_e32 v30, 24
	v_cndmask_b32_e32 v14, v31, v14, vcc
	v_cndmask_b32_e32 v29, v29, v32, vcc
	v_lshlrev_b32_sdwa v30, v30, v17 dst_sel:DWORD dst_unused:UNUSED_PAD src0_sel:DWORD src1_sel:WORD_1
	v_bfrev_b32_e32 v31, 60
	v_lshlrev_b32_e32 v29, 20, v29
	v_and_b32_e32 v30, 0x80000000, v30
	v_lshl_add_u32 v14, v14, 23, v31
	v_or3_b32 v14, v30, v14, v29
	v_lshrrev_b32_e32 v29, 16, v14
.LBB892_487:
	s_or_b64 exec, exec, s[10:11]
.LBB892_488:
	s_or_b64 exec, exec, s[8:9]
.LBB892_489:
	s_or_b64 exec, exec, s[2:3]
	s_mov_b32 s2, 0xffffff
	v_cmp_lt_u32_e32 vcc, s2, v17
	s_and_saveexec_b64 s[2:3], vcc
	s_cbranch_execz .LBB892_495
; %bb.490:
	v_lshrrev_b32_e32 v14, 24, v17
	s_movk_i32 s7, 0x80
	v_cmp_ne_u32_e32 vcc, s7, v14
	v_mov_b32_e32 v27, 0xffff8000
	s_and_saveexec_b64 s[8:9], vcc
	s_cbranch_execz .LBB892_494
; %bb.491:
	v_bfe_u32 v17, v17, 24, 7
	s_movk_i32 s7, 0x7f
	v_cmp_ne_u32_e32 vcc, s7, v17
	v_mov_b32_e32 v27, 0x7f80
	s_and_saveexec_b64 s[10:11], vcc
	s_cbranch_execz .LBB892_493
; %bb.492:
	v_and_b32_e32 v27, 7, v14
	v_ffbh_u32_e32 v30, v27
	v_min_u32_e32 v33, 32, v30
	v_subrev_u32_e32 v30, 28, v33
	v_lshlrev_b64 v[30:31], v30, v[14:15]
	v_lshrrev_b32_e32 v32, 3, v17
	v_sub_u32_e32 v31, 29, v33
	v_and_b32_e32 v30, 7, v30
	v_cmp_gt_u32_e32 vcc, 8, v17
	v_cndmask_b32_e32 v17, v32, v31, vcc
	v_cndmask_b32_e32 v27, v27, v30, vcc
	v_lshlrev_b32_e32 v14, 24, v14
	v_bfrev_b32_e32 v30, 60
	v_lshlrev_b32_e32 v27, 20, v27
	v_and_b32_e32 v14, 0x80000000, v14
	v_lshl_add_u32 v17, v17, 23, v30
	v_or3_b32 v14, v14, v17, v27
	v_lshrrev_b32_e32 v27, 16, v14
.LBB892_493:
	s_or_b64 exec, exec, s[10:11]
.LBB892_494:
	s_or_b64 exec, exec, s[8:9]
.LBB892_495:
	s_or_b64 exec, exec, s[2:3]
	s_mov_b32 s2, 0x5040100
	v_perm_b32 v25, v24, v25, s2
	v_perm_b32 v24, v15, v23, s2
	ds_read_b128 v[30:33], v22 offset:16
	v_perm_b32 v15, v27, v29, s2
	v_perm_b32 v14, v16, v26, s2
	s_waitcnt lgkmcnt(0)
	v_mfma_f32_16x16x16bf16_1k v[34:37], v[24:25], v[30:31], v[18:21]
	s_nop 6
	v_mov_b32_e32 v19, 0
	s_waitcnt vmcnt(2)
	v_cmp_ne_u16_sdwa s[8:9], v10, v19 src0_sel:BYTE_0 src1_sel:DWORD
	v_mfma_f32_16x16x16bf16_1k v[14:17], v[14:15], v[32:33], v[34:37]
	v_mov_b32_e32 v20, 0
	s_and_saveexec_b64 s[2:3], s[8:9]
	s_cbranch_execz .LBB892_501
; %bb.496:
	s_movk_i32 s7, 0x80
	v_cmp_ne_u16_sdwa s[10:11], v10, s7 src0_sel:BYTE_0 src1_sel:DWORD
	v_mov_b32_e32 v20, 0xffff8000
	s_and_saveexec_b64 s[8:9], s[10:11]
	s_cbranch_execz .LBB892_500
; %bb.497:
	s_movk_i32 s7, 0x7f
	v_and_b32_e32 v18, 0x7f, v10
	v_cmp_ne_u32_e32 vcc, s7, v18
	v_mov_b32_e32 v20, 0x7f80
	s_and_saveexec_b64 s[10:11], vcc
	s_cbranch_execz .LBB892_499
; %bb.498:
	v_and_b32_e32 v23, 7, v10
	v_ffbh_u32_e32 v20, v23
	v_min_u32_e32 v25, 32, v20
	v_subrev_u32_e32 v20, 28, v25
	v_lshlrev_b64 v[20:21], v20, v[10:11]
	v_lshrrev_b32_e32 v24, 3, v18
	v_sub_u32_e32 v21, 29, v25
	v_and_b32_e32 v20, 7, v20
	v_cmp_gt_u32_e32 vcc, 8, v18
	v_cndmask_b32_e32 v18, v24, v21, vcc
	v_cndmask_b32_e32 v20, v23, v20, vcc
	v_lshlrev_b32_e32 v21, 24, v10
	v_bfrev_b32_e32 v23, 60
	v_lshlrev_b32_e32 v20, 20, v20
	v_and_b32_e32 v21, 0x80000000, v21
	v_lshl_add_u32 v18, v18, 23, v23
	v_or3_b32 v18, v21, v18, v20
	v_lshrrev_b32_e32 v20, 16, v18
.LBB892_499:
	s_or_b64 exec, exec, s[10:11]
.LBB892_500:
	s_or_b64 exec, exec, s[8:9]
.LBB892_501:
	s_or_b64 exec, exec, s[2:3]
	v_lshrrev_b16_e32 v18, 8, v10
	v_cmp_ne_u16_e32 vcc, 0, v18
	s_and_saveexec_b64 s[2:3], vcc
	s_cbranch_execz .LBB892_507
; %bb.502:
	s_movk_i32 s7, 0x80
	v_cmp_ne_u16_e32 vcc, s7, v18
	v_mov_b32_e32 v19, 0xffff8000
	s_and_saveexec_b64 s[8:9], vcc
	s_cbranch_execz .LBB892_506
; %bb.503:
	s_movk_i32 s7, 0x7f
	v_and_b32_e32 v21, 0x7f, v18
	v_cmp_ne_u32_e32 vcc, s7, v21
	v_mov_b32_e32 v19, 0x7f80
	s_and_saveexec_b64 s[10:11], vcc
	s_cbranch_execz .LBB892_505
; %bb.504:
	v_and_b32_e32 v23, 7, v18
	v_ffbh_u32_e32 v19, v23
	v_min_u32_e32 v25, 32, v19
	v_subrev_u32_e32 v19, 28, v25
	v_lshlrev_b64 v[18:19], v19, v[18:19]
	v_lshrrev_b32_e32 v24, 3, v21
	v_sub_u32_e32 v19, 29, v25
	v_and_b32_e32 v18, 7, v18
	v_cmp_gt_u32_e32 vcc, 8, v21
	v_cndmask_b32_e32 v19, v24, v19, vcc
	v_cndmask_b32_e32 v18, v23, v18, vcc
	v_lshlrev_b32_e32 v21, 16, v10
	v_bfrev_b32_e32 v23, 60
	v_lshlrev_b32_e32 v18, 20, v18
	v_and_b32_e32 v21, 0x80000000, v21
	v_lshl_add_u32 v19, v19, 23, v23
	v_or3_b32 v18, v21, v19, v18
	v_lshrrev_b32_e32 v19, 16, v18
.LBB892_505:
	s_or_b64 exec, exec, s[10:11]
.LBB892_506:
	s_or_b64 exec, exec, s[8:9]
.LBB892_507:
	s_or_b64 exec, exec, s[2:3]
	s_movk_i32 s2, 0xff
	v_and_b32_sdwa v24, v10, s2 dst_sel:DWORD dst_unused:UNUSED_PAD src0_sel:WORD_1 src1_sel:DWORD
	v_lshrrev_b32_e32 v18, 16, v10
	v_cmp_ne_u16_e32 vcc, 0, v24
	v_mov_b32_e32 v21, 0
	v_mov_b32_e32 v23, 0
	s_and_saveexec_b64 s[2:3], vcc
	s_cbranch_execz .LBB892_513
; %bb.508:
	s_movk_i32 s7, 0x80
	v_cmp_ne_u16_e32 vcc, s7, v24
	v_mov_b32_e32 v23, 0xffff8000
	s_and_saveexec_b64 s[8:9], vcc
	s_cbranch_execz .LBB892_512
; %bb.509:
	v_bfe_u32 v24, v10, 16, 7
	s_movk_i32 s7, 0x7f
	v_cmp_ne_u32_e32 vcc, s7, v24
	v_mov_b32_e32 v23, 0x7f80
	s_and_saveexec_b64 s[10:11], vcc
	s_cbranch_execz .LBB892_511
; %bb.510:
	v_and_b32_e32 v23, 7, v18
	v_ffbh_u32_e32 v26, v23
	v_min_u32_e32 v29, 32, v26
	v_subrev_u32_e32 v26, 28, v29
	v_lshlrev_b64 v[26:27], v26, v[18:19]
	v_lshrrev_b32_e32 v25, 3, v24
	v_sub_u32_e32 v18, 29, v29
	v_and_b32_e32 v26, 7, v26
	v_cmp_gt_u32_e32 vcc, 8, v24
	v_mov_b32_e32 v24, 24
	v_cndmask_b32_e32 v18, v25, v18, vcc
	v_cndmask_b32_e32 v23, v23, v26, vcc
	v_lshlrev_b32_sdwa v24, v24, v10 dst_sel:DWORD dst_unused:UNUSED_PAD src0_sel:DWORD src1_sel:WORD_1
	v_bfrev_b32_e32 v25, 60
	v_lshlrev_b32_e32 v23, 20, v23
	v_and_b32_e32 v24, 0x80000000, v24
	v_lshl_add_u32 v18, v18, 23, v25
	v_or3_b32 v18, v24, v18, v23
	v_lshrrev_b32_e32 v23, 16, v18
.LBB892_511:
	s_or_b64 exec, exec, s[10:11]
.LBB892_512:
	s_or_b64 exec, exec, s[8:9]
.LBB892_513:
	s_or_b64 exec, exec, s[2:3]
	s_mov_b32 s2, 0xffffff
	v_cmp_lt_u32_e32 vcc, s2, v10
	s_and_saveexec_b64 s[2:3], vcc
	s_cbranch_execz .LBB892_519
; %bb.514:
	v_lshrrev_b32_e32 v18, 24, v10
	s_movk_i32 s7, 0x80
	v_cmp_ne_u32_e32 vcc, s7, v18
	v_mov_b32_e32 v21, 0xffff8000
	s_and_saveexec_b64 s[8:9], vcc
	s_cbranch_execz .LBB892_518
; %bb.515:
	v_bfe_u32 v10, v10, 24, 7
	s_movk_i32 s7, 0x7f
	v_cmp_ne_u32_e32 vcc, s7, v10
	v_mov_b32_e32 v21, 0x7f80
	s_and_saveexec_b64 s[10:11], vcc
	s_cbranch_execz .LBB892_517
; %bb.516:
	v_and_b32_e32 v21, 7, v18
	v_ffbh_u32_e32 v24, v21
	v_min_u32_e32 v27, 32, v24
	v_subrev_u32_e32 v24, 28, v27
	v_lshlrev_b64 v[24:25], v24, v[18:19]
	v_lshrrev_b32_e32 v26, 3, v10
	v_sub_u32_e32 v25, 29, v27
	v_and_b32_e32 v24, 7, v24
	v_cmp_gt_u32_e32 vcc, 8, v10
	v_cndmask_b32_e32 v10, v26, v25, vcc
	v_cndmask_b32_e32 v21, v21, v24, vcc
	v_lshlrev_b32_e32 v18, 24, v18
	v_bfrev_b32_e32 v24, 60
	v_lshlrev_b32_e32 v21, 20, v21
	v_and_b32_e32 v18, 0x80000000, v18
	v_lshl_add_u32 v10, v10, 23, v24
	v_or3_b32 v10, v18, v10, v21
	v_lshrrev_b32_e32 v21, 16, v10
.LBB892_517:
	s_or_b64 exec, exec, s[10:11]
.LBB892_518:
	s_or_b64 exec, exec, s[8:9]
.LBB892_519:
	s_or_b64 exec, exec, s[2:3]
	v_mov_b32_e32 v18, 0
	v_cmp_ne_u16_sdwa s[8:9], v11, v18 src0_sel:BYTE_0 src1_sel:DWORD
	v_mov_b32_e32 v24, 0
	s_and_saveexec_b64 s[2:3], s[8:9]
	s_cbranch_execz .LBB892_525
; %bb.520:
	s_movk_i32 s7, 0x80
	v_cmp_ne_u16_sdwa s[10:11], v11, s7 src0_sel:BYTE_0 src1_sel:DWORD
	v_mov_b32_e32 v24, 0xffff8000
	s_and_saveexec_b64 s[8:9], s[10:11]
	s_cbranch_execz .LBB892_524
; %bb.521:
	s_movk_i32 s7, 0x7f
	v_and_b32_e32 v10, 0x7f, v11
	v_cmp_ne_u32_e32 vcc, s7, v10
	v_mov_b32_e32 v24, 0x7f80
	s_and_saveexec_b64 s[10:11], vcc
	s_cbranch_execz .LBB892_523
; %bb.522:
	v_and_b32_e32 v26, 7, v11
	v_ffbh_u32_e32 v25, v26
	v_min_u32_e32 v29, 32, v25
	v_mov_b32_e32 v24, v11
	v_subrev_u32_e32 v25, 28, v29
	v_lshlrev_b64 v[24:25], v25, v[24:25]
	v_lshrrev_b32_e32 v27, 3, v10
	v_sub_u32_e32 v25, 29, v29
	v_and_b32_e32 v24, 7, v24
	v_cmp_gt_u32_e32 vcc, 8, v10
	v_cndmask_b32_e32 v10, v27, v25, vcc
	v_cndmask_b32_e32 v24, v26, v24, vcc
	v_lshlrev_b32_e32 v25, 24, v11
	v_bfrev_b32_e32 v26, 60
	v_lshlrev_b32_e32 v24, 20, v24
	v_and_b32_e32 v25, 0x80000000, v25
	v_lshl_add_u32 v10, v10, 23, v26
	v_or3_b32 v10, v25, v10, v24
	v_lshrrev_b32_e32 v24, 16, v10
.LBB892_523:
	s_or_b64 exec, exec, s[10:11]
.LBB892_524:
	s_or_b64 exec, exec, s[8:9]
.LBB892_525:
	s_or_b64 exec, exec, s[2:3]
	v_lshrrev_b16_e32 v10, 8, v11
	v_cmp_ne_u16_e32 vcc, 0, v10
	s_and_saveexec_b64 s[2:3], vcc
	s_cbranch_execz .LBB892_531
; %bb.526:
	s_movk_i32 s7, 0x80
	v_cmp_ne_u16_e32 vcc, s7, v10
	v_mov_b32_e32 v18, 0xffff8000
	s_and_saveexec_b64 s[8:9], vcc
	s_cbranch_execz .LBB892_530
; %bb.527:
	s_movk_i32 s7, 0x7f
	v_and_b32_e32 v25, 0x7f, v10
	v_cmp_ne_u32_e32 vcc, s7, v25
	v_mov_b32_e32 v18, 0x7f80
	s_and_saveexec_b64 s[10:11], vcc
	s_cbranch_execz .LBB892_529
; %bb.528:
	v_and_b32_e32 v18, 7, v10
	v_ffbh_u32_e32 v26, v18
	v_min_u32_e32 v30, 32, v26
	v_subrev_u32_e32 v26, 28, v30
	v_lshlrev_b64 v[26:27], v26, v[10:11]
	v_lshrrev_b32_e32 v29, 3, v25
	v_sub_u32_e32 v10, 29, v30
	v_and_b32_e32 v26, 7, v26
	v_cmp_gt_u32_e32 vcc, 8, v25
	v_cndmask_b32_e32 v10, v29, v10, vcc
	v_cndmask_b32_e32 v18, v18, v26, vcc
	v_lshlrev_b32_e32 v25, 16, v11
	v_bfrev_b32_e32 v26, 60
	v_lshlrev_b32_e32 v18, 20, v18
	v_and_b32_e32 v25, 0x80000000, v25
	v_lshl_add_u32 v10, v10, 23, v26
	v_or3_b32 v10, v25, v10, v18
	v_lshrrev_b32_e32 v18, 16, v10
.LBB892_529:
	s_or_b64 exec, exec, s[10:11]
.LBB892_530:
	s_or_b64 exec, exec, s[8:9]
.LBB892_531:
	s_or_b64 exec, exec, s[2:3]
	s_movk_i32 s2, 0xff
	v_and_b32_sdwa v27, v11, s2 dst_sel:DWORD dst_unused:UNUSED_PAD src0_sel:WORD_1 src1_sel:DWORD
	v_lshrrev_b32_e32 v10, 16, v11
	v_cmp_ne_u16_e32 vcc, 0, v27
	v_mov_b32_e32 v25, 0
	v_mov_b32_e32 v26, 0
	s_and_saveexec_b64 s[2:3], vcc
	s_cbranch_execz .LBB892_537
; %bb.532:
	s_movk_i32 s7, 0x80
	v_cmp_ne_u16_e32 vcc, s7, v27
	v_mov_b32_e32 v26, 0xffff8000
	s_and_saveexec_b64 s[8:9], vcc
	s_cbranch_execz .LBB892_536
; %bb.533:
	v_bfe_u32 v27, v11, 16, 7
	s_movk_i32 s7, 0x7f
	v_cmp_ne_u32_e32 vcc, s7, v27
	v_mov_b32_e32 v26, 0x7f80
	s_and_saveexec_b64 s[10:11], vcc
	s_cbranch_execz .LBB892_535
; %bb.534:
	v_and_b32_e32 v26, 7, v10
	v_ffbh_u32_e32 v30, v26
	v_min_u32_e32 v32, 32, v30
	v_subrev_u32_e32 v30, 28, v32
	v_lshlrev_b64 v[30:31], v30, v[10:11]
	v_lshrrev_b32_e32 v29, 3, v27
	v_sub_u32_e32 v10, 29, v32
	v_and_b32_e32 v30, 7, v30
	v_cmp_gt_u32_e32 vcc, 8, v27
	v_mov_b32_e32 v27, 24
	v_cndmask_b32_e32 v10, v29, v10, vcc
	v_cndmask_b32_e32 v26, v26, v30, vcc
	v_lshlrev_b32_sdwa v27, v27, v11 dst_sel:DWORD dst_unused:UNUSED_PAD src0_sel:DWORD src1_sel:WORD_1
	v_bfrev_b32_e32 v29, 60
	v_lshlrev_b32_e32 v26, 20, v26
	v_and_b32_e32 v27, 0x80000000, v27
	v_lshl_add_u32 v10, v10, 23, v29
	v_or3_b32 v10, v27, v10, v26
	v_lshrrev_b32_e32 v26, 16, v10
.LBB892_535:
	s_or_b64 exec, exec, s[10:11]
.LBB892_536:
	s_or_b64 exec, exec, s[8:9]
.LBB892_537:
	s_or_b64 exec, exec, s[2:3]
	s_mov_b32 s2, 0xffffff
	v_cmp_lt_u32_e32 vcc, s2, v11
	s_and_saveexec_b64 s[2:3], vcc
	s_cbranch_execz .LBB892_543
; %bb.538:
	v_lshrrev_b32_e32 v10, 24, v11
	s_movk_i32 s7, 0x80
	v_cmp_ne_u32_e32 vcc, s7, v10
	v_mov_b32_e32 v25, 0xffff8000
	s_and_saveexec_b64 s[8:9], vcc
	s_cbranch_execz .LBB892_542
; %bb.539:
	v_bfe_u32 v11, v11, 24, 7
	s_movk_i32 s7, 0x7f
	v_cmp_ne_u32_e32 vcc, s7, v11
	v_mov_b32_e32 v25, 0x7f80
	s_and_saveexec_b64 s[10:11], vcc
	s_cbranch_execz .LBB892_541
; %bb.540:
	v_and_b32_e32 v25, 7, v10
	v_ffbh_u32_e32 v29, v25
	v_min_u32_e32 v29, 32, v29
	v_subrev_u32_e32 v30, 28, v29
	v_lshlrev_b64 v[30:31], v30, v[10:11]
	v_lshrrev_b32_e32 v27, 3, v11
	v_sub_u32_e32 v29, 29, v29
	v_and_b32_e32 v30, 7, v30
	v_cmp_gt_u32_e32 vcc, 8, v11
	v_cndmask_b32_e32 v11, v27, v29, vcc
	v_cndmask_b32_e32 v25, v25, v30, vcc
	v_lshlrev_b32_e32 v10, 24, v10
	v_bfrev_b32_e32 v27, 60
	v_lshlrev_b32_e32 v25, 20, v25
	v_and_b32_e32 v10, 0x80000000, v10
	v_lshl_add_u32 v11, v11, 23, v27
	v_or3_b32 v10, v10, v11, v25
	v_lshrrev_b32_e32 v25, 16, v10
.LBB892_541:
	s_or_b64 exec, exec, s[10:11]
.LBB892_542:
	s_or_b64 exec, exec, s[8:9]
.LBB892_543:
	s_or_b64 exec, exec, s[2:3]
	s_mov_b32 s2, 0x5040100
	v_perm_b32 v11, v21, v23, s2
	v_perm_b32 v10, v19, v20, s2
	ds_read_b128 v[30:33], v22 offset:2048
	v_perm_b32 v21, v25, v26, s2
	v_perm_b32 v20, v18, v24, s2
	s_waitcnt lgkmcnt(0)
	v_mfma_f32_16x16x16bf16_1k v[14:17], v[10:11], v[30:31], v[14:17]
	v_mov_b32_e32 v11, 0
	v_cmp_ne_u16_sdwa s[8:9], v12, v11 src0_sel:BYTE_0 src1_sel:DWORD
	v_mov_b32_e32 v18, 0
	v_mfma_f32_16x16x16bf16_1k v[14:17], v[20:21], v[32:33], v[14:17]
	s_and_saveexec_b64 s[2:3], s[8:9]
	s_cbranch_execz .LBB892_549
; %bb.544:
	s_movk_i32 s7, 0x80
	v_cmp_ne_u16_sdwa s[10:11], v12, s7 src0_sel:BYTE_0 src1_sel:DWORD
	v_mov_b32_e32 v18, 0xffff8000
	s_and_saveexec_b64 s[8:9], s[10:11]
	s_cbranch_execz .LBB892_548
; %bb.545:
	s_movk_i32 s7, 0x7f
	v_and_b32_e32 v10, 0x7f, v12
	v_cmp_ne_u32_e32 vcc, s7, v10
	v_mov_b32_e32 v18, 0x7f80
	s_and_saveexec_b64 s[10:11], vcc
	s_cbranch_execz .LBB892_547
; %bb.546:
	v_and_b32_e32 v20, 7, v12
	v_ffbh_u32_e32 v18, v20
	v_min_u32_e32 v23, 32, v18
	v_subrev_u32_e32 v18, 28, v23
	v_lshlrev_b64 v[18:19], v18, v[12:13]
	v_lshrrev_b32_e32 v21, 3, v10
	v_sub_u32_e32 v19, 29, v23
	v_and_b32_e32 v18, 7, v18
	v_cmp_gt_u32_e32 vcc, 8, v10
	v_cndmask_b32_e32 v10, v21, v19, vcc
	v_cndmask_b32_e32 v18, v20, v18, vcc
	v_lshlrev_b32_e32 v19, 24, v12
	v_bfrev_b32_e32 v20, 60
	v_lshlrev_b32_e32 v18, 20, v18
	v_and_b32_e32 v19, 0x80000000, v19
	v_lshl_add_u32 v10, v10, 23, v20
	v_or3_b32 v10, v19, v10, v18
	v_lshrrev_b32_e32 v18, 16, v10
.LBB892_547:
	s_or_b64 exec, exec, s[10:11]
.LBB892_548:
	s_or_b64 exec, exec, s[8:9]
.LBB892_549:
	s_or_b64 exec, exec, s[2:3]
	v_lshrrev_b16_e32 v10, 8, v12
	v_cmp_ne_u16_e32 vcc, 0, v10
	s_and_saveexec_b64 s[2:3], vcc
	s_cbranch_execz .LBB892_555
; %bb.550:
	s_movk_i32 s7, 0x80
	v_cmp_ne_u16_e32 vcc, s7, v10
	v_mov_b32_e32 v11, 0xffff8000
	s_and_saveexec_b64 s[8:9], vcc
	s_cbranch_execz .LBB892_554
; %bb.551:
	s_movk_i32 s7, 0x7f
	v_and_b32_e32 v19, 0x7f, v10
	v_cmp_ne_u32_e32 vcc, s7, v19
	v_mov_b32_e32 v11, 0x7f80
	s_and_saveexec_b64 s[10:11], vcc
	s_cbranch_execz .LBB892_553
; %bb.552:
	v_and_b32_e32 v20, 7, v10
	v_ffbh_u32_e32 v11, v20
	v_min_u32_e32 v23, 32, v11
	v_subrev_u32_e32 v11, 28, v23
	v_lshlrev_b64 v[10:11], v11, v[10:11]
	v_lshrrev_b32_e32 v21, 3, v19
	v_sub_u32_e32 v11, 29, v23
	v_and_b32_e32 v10, 7, v10
	v_cmp_gt_u32_e32 vcc, 8, v19
	v_cndmask_b32_e32 v11, v21, v11, vcc
	v_cndmask_b32_e32 v10, v20, v10, vcc
	v_lshlrev_b32_e32 v19, 16, v12
	v_bfrev_b32_e32 v20, 60
	v_lshlrev_b32_e32 v10, 20, v10
	v_and_b32_e32 v19, 0x80000000, v19
	v_lshl_add_u32 v11, v11, 23, v20
	v_or3_b32 v10, v19, v11, v10
	v_lshrrev_b32_e32 v11, 16, v10
.LBB892_553:
	s_or_b64 exec, exec, s[10:11]
.LBB892_554:
	s_or_b64 exec, exec, s[8:9]
.LBB892_555:
	s_or_b64 exec, exec, s[2:3]
	s_movk_i32 s2, 0xff
	v_and_b32_sdwa v21, v12, s2 dst_sel:DWORD dst_unused:UNUSED_PAD src0_sel:WORD_1 src1_sel:DWORD
	v_lshrrev_b32_e32 v10, 16, v12
	v_cmp_ne_u16_e32 vcc, 0, v21
	v_mov_b32_e32 v19, 0
	v_mov_b32_e32 v20, 0
	s_and_saveexec_b64 s[2:3], vcc
	s_cbranch_execz .LBB892_561
; %bb.556:
	s_movk_i32 s7, 0x80
	v_cmp_ne_u16_e32 vcc, s7, v21
	v_mov_b32_e32 v20, 0xffff8000
	s_and_saveexec_b64 s[8:9], vcc
	s_cbranch_execz .LBB892_560
; %bb.557:
	v_bfe_u32 v21, v12, 16, 7
	s_movk_i32 s7, 0x7f
	v_cmp_ne_u32_e32 vcc, s7, v21
	v_mov_b32_e32 v20, 0x7f80
	s_and_saveexec_b64 s[10:11], vcc
	s_cbranch_execz .LBB892_559
; %bb.558:
	v_and_b32_e32 v20, 7, v10
	v_ffbh_u32_e32 v24, v20
	v_min_u32_e32 v26, 32, v24
	v_subrev_u32_e32 v24, 28, v26
	v_lshlrev_b64 v[24:25], v24, v[10:11]
	v_lshrrev_b32_e32 v23, 3, v21
	v_sub_u32_e32 v10, 29, v26
	v_and_b32_e32 v24, 7, v24
	v_cmp_gt_u32_e32 vcc, 8, v21
	v_mov_b32_e32 v21, 24
	v_cndmask_b32_e32 v10, v23, v10, vcc
	v_cndmask_b32_e32 v20, v20, v24, vcc
	v_lshlrev_b32_sdwa v21, v21, v12 dst_sel:DWORD dst_unused:UNUSED_PAD src0_sel:DWORD src1_sel:WORD_1
	v_bfrev_b32_e32 v23, 60
	v_lshlrev_b32_e32 v20, 20, v20
	v_and_b32_e32 v21, 0x80000000, v21
	v_lshl_add_u32 v10, v10, 23, v23
	v_or3_b32 v10, v21, v10, v20
	v_lshrrev_b32_e32 v20, 16, v10
.LBB892_559:
	s_or_b64 exec, exec, s[10:11]
.LBB892_560:
	s_or_b64 exec, exec, s[8:9]
.LBB892_561:
	s_or_b64 exec, exec, s[2:3]
	s_mov_b32 s2, 0xffffff
	v_cmp_lt_u32_e32 vcc, s2, v12
	s_and_saveexec_b64 s[2:3], vcc
	s_cbranch_execz .LBB892_567
; %bb.562:
	v_lshrrev_b32_e32 v10, 24, v12
	s_movk_i32 s7, 0x80
	v_cmp_ne_u32_e32 vcc, s7, v10
	v_mov_b32_e32 v19, 0xffff8000
	s_and_saveexec_b64 s[8:9], vcc
	s_cbranch_execz .LBB892_566
; %bb.563:
	v_bfe_u32 v12, v12, 24, 7
	s_movk_i32 s7, 0x7f
	v_cmp_ne_u32_e32 vcc, s7, v12
	v_mov_b32_e32 v19, 0x7f80
	s_and_saveexec_b64 s[10:11], vcc
	s_cbranch_execz .LBB892_565
; %bb.564:
	v_and_b32_e32 v19, 7, v10
	v_ffbh_u32_e32 v23, v19
	v_min_u32_e32 v23, 32, v23
	v_subrev_u32_e32 v24, 28, v23
	v_lshlrev_b64 v[24:25], v24, v[10:11]
	v_lshrrev_b32_e32 v21, 3, v12
	v_sub_u32_e32 v23, 29, v23
	v_and_b32_e32 v24, 7, v24
	v_cmp_gt_u32_e32 vcc, 8, v12
	v_cndmask_b32_e32 v12, v21, v23, vcc
	v_cndmask_b32_e32 v19, v19, v24, vcc
	v_lshlrev_b32_e32 v10, 24, v10
	v_bfrev_b32_e32 v21, 60
	v_lshlrev_b32_e32 v19, 20, v19
	v_and_b32_e32 v10, 0x80000000, v10
	v_lshl_add_u32 v12, v12, 23, v21
	v_or3_b32 v10, v10, v12, v19
	v_lshrrev_b32_e32 v19, 16, v10
.LBB892_565:
	s_or_b64 exec, exec, s[10:11]
.LBB892_566:
	s_or_b64 exec, exec, s[8:9]
.LBB892_567:
	s_or_b64 exec, exec, s[2:3]
	v_mov_b32_e32 v12, 0
	v_cmp_ne_u16_sdwa s[8:9], v13, v12 src0_sel:BYTE_0 src1_sel:DWORD
	v_mov_b32_e32 v21, 0
	s_and_saveexec_b64 s[2:3], s[8:9]
	s_cbranch_execz .LBB892_573
; %bb.568:
	s_movk_i32 s7, 0x80
	v_cmp_ne_u16_sdwa s[10:11], v13, s7 src0_sel:BYTE_0 src1_sel:DWORD
	v_mov_b32_e32 v21, 0xffff8000
	s_and_saveexec_b64 s[8:9], s[10:11]
	s_cbranch_execz .LBB892_572
; %bb.569:
	s_movk_i32 s7, 0x7f
	v_and_b32_e32 v10, 0x7f, v13
	v_cmp_ne_u32_e32 vcc, s7, v10
	v_mov_b32_e32 v21, 0x7f80
	s_and_saveexec_b64 s[10:11], vcc
	s_cbranch_execz .LBB892_571
; %bb.570:
	v_and_b32_e32 v21, 7, v13
	v_ffbh_u32_e32 v25, v21
	v_min_u32_e32 v26, 32, v25
	v_mov_b32_e32 v24, v13
	v_subrev_u32_e32 v25, 28, v26
	v_lshlrev_b64 v[24:25], v25, v[24:25]
	v_lshrrev_b32_e32 v23, 3, v10
	v_sub_u32_e32 v25, 29, v26
	v_and_b32_e32 v24, 7, v24
	v_cmp_gt_u32_e32 vcc, 8, v10
	v_cndmask_b32_e32 v10, v23, v25, vcc
	v_cndmask_b32_e32 v21, v21, v24, vcc
	v_lshlrev_b32_e32 v23, 24, v13
	v_bfrev_b32_e32 v24, 60
	v_lshlrev_b32_e32 v21, 20, v21
	v_and_b32_e32 v23, 0x80000000, v23
	v_lshl_add_u32 v10, v10, 23, v24
	v_or3_b32 v10, v23, v10, v21
	v_lshrrev_b32_e32 v21, 16, v10
.LBB892_571:
	s_or_b64 exec, exec, s[10:11]
.LBB892_572:
	s_or_b64 exec, exec, s[8:9]
.LBB892_573:
	s_or_b64 exec, exec, s[2:3]
	v_lshrrev_b16_e32 v10, 8, v13
	v_cmp_ne_u16_e32 vcc, 0, v10
	s_and_saveexec_b64 s[2:3], vcc
	s_cbranch_execz .LBB892_579
; %bb.574:
	s_movk_i32 s7, 0x80
	v_cmp_ne_u16_e32 vcc, s7, v10
	v_mov_b32_e32 v12, 0xffff8000
	s_and_saveexec_b64 s[8:9], vcc
	s_cbranch_execz .LBB892_578
; %bb.575:
	s_movk_i32 s7, 0x7f
	v_and_b32_e32 v23, 0x7f, v10
	v_cmp_ne_u32_e32 vcc, s7, v23
	v_mov_b32_e32 v12, 0x7f80
	s_and_saveexec_b64 s[10:11], vcc
	s_cbranch_execz .LBB892_577
; %bb.576:
	v_and_b32_e32 v12, 7, v10
	v_ffbh_u32_e32 v24, v12
	v_min_u32_e32 v27, 32, v24
	v_subrev_u32_e32 v24, 28, v27
	v_lshlrev_b64 v[24:25], v24, v[10:11]
	v_lshrrev_b32_e32 v26, 3, v23
	v_sub_u32_e32 v10, 29, v27
	v_and_b32_e32 v24, 7, v24
	v_cmp_gt_u32_e32 vcc, 8, v23
	v_cndmask_b32_e32 v10, v26, v10, vcc
	v_cndmask_b32_e32 v12, v12, v24, vcc
	v_lshlrev_b32_e32 v23, 16, v13
	v_bfrev_b32_e32 v24, 60
	v_lshlrev_b32_e32 v12, 20, v12
	v_and_b32_e32 v23, 0x80000000, v23
	v_lshl_add_u32 v10, v10, 23, v24
	v_or3_b32 v10, v23, v10, v12
	v_lshrrev_b32_e32 v12, 16, v10
.LBB892_577:
	s_or_b64 exec, exec, s[10:11]
.LBB892_578:
	s_or_b64 exec, exec, s[8:9]
.LBB892_579:
	s_or_b64 exec, exec, s[2:3]
	s_movk_i32 s2, 0xff
	v_and_b32_sdwa v25, v13, s2 dst_sel:DWORD dst_unused:UNUSED_PAD src0_sel:WORD_1 src1_sel:DWORD
	v_lshrrev_b32_e32 v10, 16, v13
	v_cmp_ne_u16_e32 vcc, 0, v25
	v_mov_b32_e32 v23, 0
	v_mov_b32_e32 v24, 0
	s_and_saveexec_b64 s[2:3], vcc
	s_cbranch_execz .LBB892_585
; %bb.580:
	s_movk_i32 s7, 0x80
	v_cmp_ne_u16_e32 vcc, s7, v25
	v_mov_b32_e32 v24, 0xffff8000
	s_and_saveexec_b64 s[8:9], vcc
	s_cbranch_execz .LBB892_584
; %bb.581:
	v_bfe_u32 v25, v13, 16, 7
	s_movk_i32 s7, 0x7f
	v_cmp_ne_u32_e32 vcc, s7, v25
	v_mov_b32_e32 v24, 0x7f80
	s_and_saveexec_b64 s[10:11], vcc
	s_cbranch_execz .LBB892_583
; %bb.582:
	v_and_b32_e32 v24, 7, v10
	v_ffbh_u32_e32 v26, v24
	v_min_u32_e32 v30, 32, v26
	v_subrev_u32_e32 v26, 28, v30
	v_lshlrev_b64 v[26:27], v26, v[10:11]
	v_lshrrev_b32_e32 v29, 3, v25
	v_sub_u32_e32 v10, 29, v30
	v_and_b32_e32 v26, 7, v26
	v_cmp_gt_u32_e32 vcc, 8, v25
	v_mov_b32_e32 v25, 24
	v_cndmask_b32_e32 v10, v29, v10, vcc
	v_cndmask_b32_e32 v24, v24, v26, vcc
	v_lshlrev_b32_sdwa v25, v25, v13 dst_sel:DWORD dst_unused:UNUSED_PAD src0_sel:DWORD src1_sel:WORD_1
	v_bfrev_b32_e32 v26, 60
	v_lshlrev_b32_e32 v24, 20, v24
	v_and_b32_e32 v25, 0x80000000, v25
	v_lshl_add_u32 v10, v10, 23, v26
	v_or3_b32 v10, v25, v10, v24
	v_lshrrev_b32_e32 v24, 16, v10
.LBB892_583:
	s_or_b64 exec, exec, s[10:11]
.LBB892_584:
	s_or_b64 exec, exec, s[8:9]
.LBB892_585:
	s_or_b64 exec, exec, s[2:3]
	s_mov_b32 s2, 0xffffff
	v_cmp_lt_u32_e32 vcc, s2, v13
	s_and_saveexec_b64 s[2:3], vcc
	s_cbranch_execz .LBB892_591
; %bb.586:
	v_lshrrev_b32_e32 v10, 24, v13
	s_movk_i32 s7, 0x80
	v_cmp_ne_u32_e32 vcc, s7, v10
	v_mov_b32_e32 v23, 0xffff8000
	s_and_saveexec_b64 s[8:9], vcc
	s_cbranch_execz .LBB892_590
; %bb.587:
	v_bfe_u32 v13, v13, 24, 7
	s_movk_i32 s7, 0x7f
	v_cmp_ne_u32_e32 vcc, s7, v13
	v_mov_b32_e32 v23, 0x7f80
	s_and_saveexec_b64 s[10:11], vcc
	s_cbranch_execz .LBB892_589
; %bb.588:
	v_and_b32_e32 v23, 7, v10
	v_ffbh_u32_e32 v26, v23
	v_min_u32_e32 v29, 32, v26
	v_subrev_u32_e32 v26, 28, v29
	v_lshlrev_b64 v[26:27], v26, v[10:11]
	v_lshrrev_b32_e32 v25, 3, v13
	v_sub_u32_e32 v27, 29, v29
	v_and_b32_e32 v26, 7, v26
	v_cmp_gt_u32_e32 vcc, 8, v13
	v_cndmask_b32_e32 v13, v25, v27, vcc
	v_cndmask_b32_e32 v23, v23, v26, vcc
	v_lshlrev_b32_e32 v10, 24, v10
	v_bfrev_b32_e32 v25, 60
	v_lshlrev_b32_e32 v23, 20, v23
	v_and_b32_e32 v10, 0x80000000, v10
	v_lshl_add_u32 v13, v13, 23, v25
	v_or3_b32 v10, v10, v13, v23
	v_lshrrev_b32_e32 v23, 16, v10
.LBB892_589:
	s_or_b64 exec, exec, s[10:11]
.LBB892_590:
	s_or_b64 exec, exec, s[8:9]
.LBB892_591:
	s_or_b64 exec, exec, s[2:3]
	s_mov_b32 s2, 0x5040100
	v_perm_b32 v19, v19, v20, s2
	v_perm_b32 v18, v11, v18, s2
	ds_read_b128 v[30:33], v22 offset:2064
	v_perm_b32 v11, v23, v24, s2
	v_perm_b32 v10, v12, v21, s2
	s_waitcnt lgkmcnt(0)
	v_mfma_f32_16x16x16bf16_1k v[34:37], v[18:19], v[30:31], v[14:17]
	s_nop 6
	v_mov_b32_e32 v15, 0
	s_waitcnt vmcnt(1)
	v_cmp_ne_u16_sdwa s[8:9], v6, v15 src0_sel:BYTE_0 src1_sel:DWORD
	v_mfma_f32_16x16x16bf16_1k v[10:13], v[10:11], v[32:33], v[34:37]
	v_mov_b32_e32 v16, 0
	s_and_saveexec_b64 s[2:3], s[8:9]
	s_cbranch_execz .LBB892_597
; %bb.592:
	s_movk_i32 s7, 0x80
	v_cmp_ne_u16_sdwa s[10:11], v6, s7 src0_sel:BYTE_0 src1_sel:DWORD
	v_mov_b32_e32 v16, 0xffff8000
	s_and_saveexec_b64 s[8:9], s[10:11]
	s_cbranch_execz .LBB892_596
; %bb.593:
	s_movk_i32 s7, 0x7f
	v_and_b32_e32 v14, 0x7f, v6
	v_cmp_ne_u32_e32 vcc, s7, v14
	v_mov_b32_e32 v16, 0x7f80
	s_and_saveexec_b64 s[10:11], vcc
	s_cbranch_execz .LBB892_595
; %bb.594:
	v_and_b32_e32 v18, 7, v6
	v_ffbh_u32_e32 v16, v18
	v_min_u32_e32 v20, 32, v16
	v_subrev_u32_e32 v16, 28, v20
	v_lshlrev_b64 v[16:17], v16, v[6:7]
	v_lshrrev_b32_e32 v19, 3, v14
	v_sub_u32_e32 v17, 29, v20
	v_and_b32_e32 v16, 7, v16
	v_cmp_gt_u32_e32 vcc, 8, v14
	v_cndmask_b32_e32 v14, v19, v17, vcc
	v_cndmask_b32_e32 v16, v18, v16, vcc
	v_lshlrev_b32_e32 v17, 24, v6
	v_bfrev_b32_e32 v18, 60
	v_lshlrev_b32_e32 v16, 20, v16
	v_and_b32_e32 v17, 0x80000000, v17
	v_lshl_add_u32 v14, v14, 23, v18
	v_or3_b32 v14, v17, v14, v16
	v_lshrrev_b32_e32 v16, 16, v14
.LBB892_595:
	s_or_b64 exec, exec, s[10:11]
.LBB892_596:
	s_or_b64 exec, exec, s[8:9]
.LBB892_597:
	s_or_b64 exec, exec, s[2:3]
	v_lshrrev_b16_e32 v14, 8, v6
	v_cmp_ne_u16_e32 vcc, 0, v14
	s_and_saveexec_b64 s[2:3], vcc
	s_cbranch_execz .LBB892_603
; %bb.598:
	s_movk_i32 s7, 0x80
	v_cmp_ne_u16_e32 vcc, s7, v14
	v_mov_b32_e32 v15, 0xffff8000
	s_and_saveexec_b64 s[8:9], vcc
	s_cbranch_execz .LBB892_602
; %bb.599:
	s_movk_i32 s7, 0x7f
	v_and_b32_e32 v17, 0x7f, v14
	v_cmp_ne_u32_e32 vcc, s7, v17
	v_mov_b32_e32 v15, 0x7f80
	s_and_saveexec_b64 s[10:11], vcc
	s_cbranch_execz .LBB892_601
; %bb.600:
	v_and_b32_e32 v18, 7, v14
	v_ffbh_u32_e32 v15, v18
	v_min_u32_e32 v20, 32, v15
	v_subrev_u32_e32 v15, 28, v20
	v_lshlrev_b64 v[14:15], v15, v[14:15]
	v_lshrrev_b32_e32 v19, 3, v17
	v_sub_u32_e32 v15, 29, v20
	v_and_b32_e32 v14, 7, v14
	v_cmp_gt_u32_e32 vcc, 8, v17
	v_cndmask_b32_e32 v15, v19, v15, vcc
	v_cndmask_b32_e32 v14, v18, v14, vcc
	v_lshlrev_b32_e32 v17, 16, v6
	v_bfrev_b32_e32 v18, 60
	v_lshlrev_b32_e32 v14, 20, v14
	v_and_b32_e32 v17, 0x80000000, v17
	v_lshl_add_u32 v15, v15, 23, v18
	v_or3_b32 v14, v17, v15, v14
	v_lshrrev_b32_e32 v15, 16, v14
.LBB892_601:
	s_or_b64 exec, exec, s[10:11]
.LBB892_602:
	s_or_b64 exec, exec, s[8:9]
.LBB892_603:
	s_or_b64 exec, exec, s[2:3]
	s_movk_i32 s2, 0xff
	v_and_b32_sdwa v19, v6, s2 dst_sel:DWORD dst_unused:UNUSED_PAD src0_sel:WORD_1 src1_sel:DWORD
	v_lshrrev_b32_e32 v14, 16, v6
	v_cmp_ne_u16_e32 vcc, 0, v19
	v_mov_b32_e32 v17, 0
	v_mov_b32_e32 v18, 0
	s_and_saveexec_b64 s[2:3], vcc
	s_cbranch_execz .LBB892_609
; %bb.604:
	s_movk_i32 s7, 0x80
	v_cmp_ne_u16_e32 vcc, s7, v19
	v_mov_b32_e32 v18, 0xffff8000
	s_and_saveexec_b64 s[8:9], vcc
	s_cbranch_execz .LBB892_608
; %bb.605:
	v_bfe_u32 v19, v6, 16, 7
	s_movk_i32 s7, 0x7f
	v_cmp_ne_u32_e32 vcc, s7, v19
	v_mov_b32_e32 v18, 0x7f80
	s_and_saveexec_b64 s[10:11], vcc
	s_cbranch_execz .LBB892_607
; %bb.606:
	v_and_b32_e32 v18, 7, v14
	v_ffbh_u32_e32 v20, v18
	v_min_u32_e32 v24, 32, v20
	v_subrev_u32_e32 v20, 28, v24
	v_lshlrev_b64 v[20:21], v20, v[14:15]
	v_lshrrev_b32_e32 v23, 3, v19
	v_sub_u32_e32 v14, 29, v24
	v_and_b32_e32 v20, 7, v20
	v_cmp_gt_u32_e32 vcc, 8, v19
	v_mov_b32_e32 v19, 24
	v_cndmask_b32_e32 v14, v23, v14, vcc
	v_cndmask_b32_e32 v18, v18, v20, vcc
	v_lshlrev_b32_sdwa v19, v19, v6 dst_sel:DWORD dst_unused:UNUSED_PAD src0_sel:DWORD src1_sel:WORD_1
	v_bfrev_b32_e32 v20, 60
	v_lshlrev_b32_e32 v18, 20, v18
	v_and_b32_e32 v19, 0x80000000, v19
	v_lshl_add_u32 v14, v14, 23, v20
	v_or3_b32 v14, v19, v14, v18
	v_lshrrev_b32_e32 v18, 16, v14
.LBB892_607:
	s_or_b64 exec, exec, s[10:11]
.LBB892_608:
	s_or_b64 exec, exec, s[8:9]
.LBB892_609:
	s_or_b64 exec, exec, s[2:3]
	s_mov_b32 s2, 0xffffff
	v_cmp_lt_u32_e32 vcc, s2, v6
	s_and_saveexec_b64 s[2:3], vcc
	s_cbranch_execz .LBB892_615
; %bb.610:
	v_lshrrev_b32_e32 v14, 24, v6
	s_movk_i32 s7, 0x80
	v_cmp_ne_u32_e32 vcc, s7, v14
	v_mov_b32_e32 v17, 0xffff8000
	s_and_saveexec_b64 s[8:9], vcc
	s_cbranch_execz .LBB892_614
; %bb.611:
	v_bfe_u32 v6, v6, 24, 7
	s_movk_i32 s7, 0x7f
	v_cmp_ne_u32_e32 vcc, s7, v6
	v_mov_b32_e32 v17, 0x7f80
	s_and_saveexec_b64 s[10:11], vcc
	s_cbranch_execz .LBB892_613
; %bb.612:
	v_and_b32_e32 v17, 7, v14
	v_ffbh_u32_e32 v20, v17
	v_min_u32_e32 v23, 32, v20
	v_subrev_u32_e32 v20, 28, v23
	v_lshlrev_b64 v[20:21], v20, v[14:15]
	v_lshrrev_b32_e32 v19, 3, v6
	v_sub_u32_e32 v21, 29, v23
	v_and_b32_e32 v20, 7, v20
	v_cmp_gt_u32_e32 vcc, 8, v6
	v_cndmask_b32_e32 v6, v19, v21, vcc
	v_cndmask_b32_e32 v17, v17, v20, vcc
	v_lshlrev_b32_e32 v14, 24, v14
	v_bfrev_b32_e32 v19, 60
	v_lshlrev_b32_e32 v17, 20, v17
	v_and_b32_e32 v14, 0x80000000, v14
	v_lshl_add_u32 v6, v6, 23, v19
	v_or3_b32 v6, v14, v6, v17
	v_lshrrev_b32_e32 v17, 16, v6
.LBB892_613:
	s_or_b64 exec, exec, s[10:11]
.LBB892_614:
	s_or_b64 exec, exec, s[8:9]
.LBB892_615:
	s_or_b64 exec, exec, s[2:3]
	v_mov_b32_e32 v14, 0
	v_cmp_ne_u16_sdwa s[8:9], v7, v14 src0_sel:BYTE_0 src1_sel:DWORD
	v_mov_b32_e32 v19, 0
	s_and_saveexec_b64 s[2:3], s[8:9]
	s_cbranch_execz .LBB892_621
; %bb.616:
	s_movk_i32 s7, 0x80
	v_cmp_ne_u16_sdwa s[10:11], v7, s7 src0_sel:BYTE_0 src1_sel:DWORD
	v_mov_b32_e32 v19, 0xffff8000
	s_and_saveexec_b64 s[8:9], s[10:11]
	s_cbranch_execz .LBB892_620
; %bb.617:
	s_movk_i32 s7, 0x7f
	v_and_b32_e32 v6, 0x7f, v7
	v_cmp_ne_u32_e32 vcc, s7, v6
	v_mov_b32_e32 v19, 0x7f80
	s_and_saveexec_b64 s[10:11], vcc
	s_cbranch_execz .LBB892_619
; %bb.618:
	v_and_b32_e32 v19, 7, v7
	v_ffbh_u32_e32 v21, v19
	v_min_u32_e32 v24, 32, v21
	v_mov_b32_e32 v20, v7
	v_subrev_u32_e32 v21, 28, v24
	v_lshlrev_b64 v[20:21], v21, v[20:21]
	v_lshrrev_b32_e32 v23, 3, v6
	v_sub_u32_e32 v21, 29, v24
	v_and_b32_e32 v20, 7, v20
	v_cmp_gt_u32_e32 vcc, 8, v6
	v_cndmask_b32_e32 v6, v23, v21, vcc
	v_cndmask_b32_e32 v19, v19, v20, vcc
	v_lshlrev_b32_e32 v20, 24, v7
	v_bfrev_b32_e32 v21, 60
	v_lshlrev_b32_e32 v19, 20, v19
	v_and_b32_e32 v20, 0x80000000, v20
	v_lshl_add_u32 v6, v6, 23, v21
	v_or3_b32 v6, v20, v6, v19
	v_lshrrev_b32_e32 v19, 16, v6
.LBB892_619:
	s_or_b64 exec, exec, s[10:11]
.LBB892_620:
	s_or_b64 exec, exec, s[8:9]
.LBB892_621:
	s_or_b64 exec, exec, s[2:3]
	v_lshrrev_b16_e32 v6, 8, v7
	v_cmp_ne_u16_e32 vcc, 0, v6
	s_and_saveexec_b64 s[2:3], vcc
	s_cbranch_execz .LBB892_627
; %bb.622:
	s_movk_i32 s7, 0x80
	v_cmp_ne_u16_e32 vcc, s7, v6
	v_mov_b32_e32 v14, 0xffff8000
	s_and_saveexec_b64 s[8:9], vcc
	s_cbranch_execz .LBB892_626
; %bb.623:
	s_movk_i32 s7, 0x7f
	v_and_b32_e32 v20, 0x7f, v6
	v_cmp_ne_u32_e32 vcc, s7, v20
	v_mov_b32_e32 v14, 0x7f80
	s_and_saveexec_b64 s[10:11], vcc
	s_cbranch_execz .LBB892_625
; %bb.624:
	v_and_b32_e32 v14, 7, v6
	v_ffbh_u32_e32 v23, v14
	v_min_u32_e32 v23, 32, v23
	v_subrev_u32_e32 v24, 28, v23
	v_lshlrev_b64 v[24:25], v24, v[6:7]
	v_lshrrev_b32_e32 v21, 3, v20
	v_sub_u32_e32 v6, 29, v23
	v_and_b32_e32 v23, 7, v24
	v_cmp_gt_u32_e32 vcc, 8, v20
	v_cndmask_b32_e32 v6, v21, v6, vcc
	v_cndmask_b32_e32 v14, v14, v23, vcc
	v_lshlrev_b32_e32 v20, 16, v7
	v_bfrev_b32_e32 v21, 60
	v_lshlrev_b32_e32 v14, 20, v14
	v_and_b32_e32 v20, 0x80000000, v20
	v_lshl_add_u32 v6, v6, 23, v21
	v_or3_b32 v6, v20, v6, v14
	v_lshrrev_b32_e32 v14, 16, v6
.LBB892_625:
	s_or_b64 exec, exec, s[10:11]
.LBB892_626:
	s_or_b64 exec, exec, s[8:9]
.LBB892_627:
	s_or_b64 exec, exec, s[2:3]
	s_movk_i32 s2, 0xff
	v_and_b32_sdwa v23, v7, s2 dst_sel:DWORD dst_unused:UNUSED_PAD src0_sel:WORD_1 src1_sel:DWORD
	v_lshrrev_b32_e32 v6, 16, v7
	v_cmp_ne_u16_e32 vcc, 0, v23
	v_mov_b32_e32 v20, 0
	v_mov_b32_e32 v21, 0
	s_and_saveexec_b64 s[2:3], vcc
	s_cbranch_execz .LBB892_633
; %bb.628:
	s_movk_i32 s7, 0x80
	v_cmp_ne_u16_e32 vcc, s7, v23
	v_mov_b32_e32 v21, 0xffff8000
	s_and_saveexec_b64 s[8:9], vcc
	s_cbranch_execz .LBB892_632
; %bb.629:
	v_bfe_u32 v23, v7, 16, 7
	s_movk_i32 s7, 0x7f
	v_cmp_ne_u32_e32 vcc, s7, v23
	v_mov_b32_e32 v21, 0x7f80
	s_and_saveexec_b64 s[10:11], vcc
	s_cbranch_execz .LBB892_631
; %bb.630:
	v_and_b32_e32 v21, 7, v6
	v_ffbh_u32_e32 v24, v21
	v_min_u32_e32 v27, 32, v24
	v_subrev_u32_e32 v24, 28, v27
	v_lshlrev_b64 v[24:25], v24, v[6:7]
	v_lshrrev_b32_e32 v26, 3, v23
	v_sub_u32_e32 v6, 29, v27
	v_and_b32_e32 v24, 7, v24
	v_cmp_gt_u32_e32 vcc, 8, v23
	v_mov_b32_e32 v23, 24
	v_cndmask_b32_e32 v6, v26, v6, vcc
	v_cndmask_b32_e32 v21, v21, v24, vcc
	v_lshlrev_b32_sdwa v23, v23, v7 dst_sel:DWORD dst_unused:UNUSED_PAD src0_sel:DWORD src1_sel:WORD_1
	v_bfrev_b32_e32 v24, 60
	v_lshlrev_b32_e32 v21, 20, v21
	v_and_b32_e32 v23, 0x80000000, v23
	v_lshl_add_u32 v6, v6, 23, v24
	v_or3_b32 v6, v23, v6, v21
	v_lshrrev_b32_e32 v21, 16, v6
.LBB892_631:
	s_or_b64 exec, exec, s[10:11]
.LBB892_632:
	s_or_b64 exec, exec, s[8:9]
.LBB892_633:
	s_or_b64 exec, exec, s[2:3]
	s_mov_b32 s2, 0xffffff
	v_cmp_lt_u32_e32 vcc, s2, v7
	s_and_saveexec_b64 s[2:3], vcc
	s_cbranch_execz .LBB892_639
; %bb.634:
	v_lshrrev_b32_e32 v6, 24, v7
	s_movk_i32 s7, 0x80
	v_cmp_ne_u32_e32 vcc, s7, v6
	v_mov_b32_e32 v20, 0xffff8000
	s_and_saveexec_b64 s[8:9], vcc
	s_cbranch_execz .LBB892_638
; %bb.635:
	v_bfe_u32 v7, v7, 24, 7
	s_movk_i32 s7, 0x7f
	v_cmp_ne_u32_e32 vcc, s7, v7
	v_mov_b32_e32 v20, 0x7f80
	s_and_saveexec_b64 s[10:11], vcc
	s_cbranch_execz .LBB892_637
; %bb.636:
	v_and_b32_e32 v20, 7, v6
	v_ffbh_u32_e32 v24, v20
	v_min_u32_e32 v26, 32, v24
	v_subrev_u32_e32 v24, 28, v26
	v_lshlrev_b64 v[24:25], v24, v[6:7]
	v_lshrrev_b32_e32 v23, 3, v7
	v_sub_u32_e32 v25, 29, v26
	v_and_b32_e32 v24, 7, v24
	v_cmp_gt_u32_e32 vcc, 8, v7
	v_cndmask_b32_e32 v7, v23, v25, vcc
	v_cndmask_b32_e32 v20, v20, v24, vcc
	v_lshlrev_b32_e32 v6, 24, v6
	v_bfrev_b32_e32 v23, 60
	v_lshlrev_b32_e32 v20, 20, v20
	v_and_b32_e32 v6, 0x80000000, v6
	v_lshl_add_u32 v7, v7, 23, v23
	v_or3_b32 v6, v6, v7, v20
	v_lshrrev_b32_e32 v20, 16, v6
.LBB892_637:
	s_or_b64 exec, exec, s[10:11]
.LBB892_638:
	s_or_b64 exec, exec, s[8:9]
.LBB892_639:
	s_or_b64 exec, exec, s[2:3]
	s_mov_b32 s2, 0x5040100
	v_perm_b32 v7, v17, v18, s2
	v_perm_b32 v6, v15, v16, s2
	ds_read_b128 v[24:27], v22 offset:4096
	v_perm_b32 v17, v20, v21, s2
	v_perm_b32 v16, v14, v19, s2
	s_waitcnt lgkmcnt(0)
	v_mfma_f32_16x16x16bf16_1k v[10:13], v[6:7], v[24:25], v[10:13]
	v_mov_b32_e32 v7, 0
	v_cmp_ne_u16_sdwa s[8:9], v8, v7 src0_sel:BYTE_0 src1_sel:DWORD
	v_mov_b32_e32 v14, 0
	v_mfma_f32_16x16x16bf16_1k v[10:13], v[16:17], v[26:27], v[10:13]
	s_and_saveexec_b64 s[2:3], s[8:9]
	s_cbranch_execz .LBB892_645
; %bb.640:
	s_movk_i32 s7, 0x80
	v_cmp_ne_u16_sdwa s[10:11], v8, s7 src0_sel:BYTE_0 src1_sel:DWORD
	v_mov_b32_e32 v14, 0xffff8000
	s_and_saveexec_b64 s[8:9], s[10:11]
	s_cbranch_execz .LBB892_644
; %bb.641:
	s_movk_i32 s7, 0x7f
	v_and_b32_e32 v6, 0x7f, v8
	v_cmp_ne_u32_e32 vcc, s7, v6
	v_mov_b32_e32 v14, 0x7f80
	s_and_saveexec_b64 s[10:11], vcc
	s_cbranch_execz .LBB892_643
; %bb.642:
	v_and_b32_e32 v16, 7, v8
	v_ffbh_u32_e32 v14, v16
	v_min_u32_e32 v18, 32, v14
	v_subrev_u32_e32 v14, 28, v18
	v_lshlrev_b64 v[14:15], v14, v[8:9]
	v_lshrrev_b32_e32 v17, 3, v6
	v_sub_u32_e32 v15, 29, v18
	v_and_b32_e32 v14, 7, v14
	v_cmp_gt_u32_e32 vcc, 8, v6
	v_cndmask_b32_e32 v6, v17, v15, vcc
	v_cndmask_b32_e32 v14, v16, v14, vcc
	v_lshlrev_b32_e32 v15, 24, v8
	v_bfrev_b32_e32 v16, 60
	v_lshlrev_b32_e32 v14, 20, v14
	v_and_b32_e32 v15, 0x80000000, v15
	v_lshl_add_u32 v6, v6, 23, v16
	v_or3_b32 v6, v15, v6, v14
	v_lshrrev_b32_e32 v14, 16, v6
.LBB892_643:
	s_or_b64 exec, exec, s[10:11]
.LBB892_644:
	s_or_b64 exec, exec, s[8:9]
.LBB892_645:
	s_or_b64 exec, exec, s[2:3]
	v_lshrrev_b16_e32 v6, 8, v8
	v_cmp_ne_u16_e32 vcc, 0, v6
	s_and_saveexec_b64 s[2:3], vcc
	s_cbranch_execz .LBB892_651
; %bb.646:
	s_movk_i32 s7, 0x80
	v_cmp_ne_u16_e32 vcc, s7, v6
	v_mov_b32_e32 v7, 0xffff8000
	s_and_saveexec_b64 s[8:9], vcc
	s_cbranch_execz .LBB892_650
; %bb.647:
	s_movk_i32 s7, 0x7f
	v_and_b32_e32 v15, 0x7f, v6
	v_cmp_ne_u32_e32 vcc, s7, v15
	v_mov_b32_e32 v7, 0x7f80
	s_and_saveexec_b64 s[10:11], vcc
	s_cbranch_execz .LBB892_649
; %bb.648:
	v_and_b32_e32 v16, 7, v6
	v_ffbh_u32_e32 v7, v16
	v_min_u32_e32 v18, 32, v7
	v_subrev_u32_e32 v7, 28, v18
	v_lshlrev_b64 v[6:7], v7, v[6:7]
	v_lshrrev_b32_e32 v17, 3, v15
	v_sub_u32_e32 v7, 29, v18
	v_and_b32_e32 v6, 7, v6
	v_cmp_gt_u32_e32 vcc, 8, v15
	v_cndmask_b32_e32 v7, v17, v7, vcc
	v_cndmask_b32_e32 v6, v16, v6, vcc
	v_lshlrev_b32_e32 v15, 16, v8
	v_bfrev_b32_e32 v16, 60
	v_lshlrev_b32_e32 v6, 20, v6
	v_and_b32_e32 v15, 0x80000000, v15
	v_lshl_add_u32 v7, v7, 23, v16
	v_or3_b32 v6, v15, v7, v6
	v_lshrrev_b32_e32 v7, 16, v6
.LBB892_649:
	s_or_b64 exec, exec, s[10:11]
.LBB892_650:
	s_or_b64 exec, exec, s[8:9]
.LBB892_651:
	s_or_b64 exec, exec, s[2:3]
	s_movk_i32 s2, 0xff
	v_and_b32_sdwa v17, v8, s2 dst_sel:DWORD dst_unused:UNUSED_PAD src0_sel:WORD_1 src1_sel:DWORD
	v_lshrrev_b32_e32 v6, 16, v8
	v_cmp_ne_u16_e32 vcc, 0, v17
	v_mov_b32_e32 v15, 0
	v_mov_b32_e32 v16, 0
	s_and_saveexec_b64 s[2:3], vcc
	s_cbranch_execz .LBB892_657
; %bb.652:
	s_movk_i32 s7, 0x80
	v_cmp_ne_u16_e32 vcc, s7, v17
	v_mov_b32_e32 v16, 0xffff8000
	s_and_saveexec_b64 s[8:9], vcc
	s_cbranch_execz .LBB892_656
; %bb.653:
	v_bfe_u32 v17, v8, 16, 7
	s_movk_i32 s7, 0x7f
	v_cmp_ne_u32_e32 vcc, s7, v17
	v_mov_b32_e32 v16, 0x7f80
	s_and_saveexec_b64 s[10:11], vcc
	s_cbranch_execz .LBB892_655
; %bb.654:
	v_and_b32_e32 v16, 7, v6
	v_ffbh_u32_e32 v18, v16
	v_min_u32_e32 v21, 32, v18
	v_subrev_u32_e32 v18, 28, v21
	v_lshlrev_b64 v[18:19], v18, v[6:7]
	v_lshrrev_b32_e32 v20, 3, v17
	v_sub_u32_e32 v6, 29, v21
	v_and_b32_e32 v18, 7, v18
	v_cmp_gt_u32_e32 vcc, 8, v17
	v_mov_b32_e32 v17, 24
	v_cndmask_b32_e32 v6, v20, v6, vcc
	v_cndmask_b32_e32 v16, v16, v18, vcc
	v_lshlrev_b32_sdwa v17, v17, v8 dst_sel:DWORD dst_unused:UNUSED_PAD src0_sel:DWORD src1_sel:WORD_1
	v_bfrev_b32_e32 v18, 60
	v_lshlrev_b32_e32 v16, 20, v16
	v_and_b32_e32 v17, 0x80000000, v17
	v_lshl_add_u32 v6, v6, 23, v18
	v_or3_b32 v6, v17, v6, v16
	v_lshrrev_b32_e32 v16, 16, v6
.LBB892_655:
	s_or_b64 exec, exec, s[10:11]
.LBB892_656:
	s_or_b64 exec, exec, s[8:9]
.LBB892_657:
	s_or_b64 exec, exec, s[2:3]
	s_mov_b32 s2, 0xffffff
	v_cmp_lt_u32_e32 vcc, s2, v8
	s_and_saveexec_b64 s[2:3], vcc
	s_cbranch_execz .LBB892_663
; %bb.658:
	v_lshrrev_b32_e32 v6, 24, v8
	s_movk_i32 s7, 0x80
	v_cmp_ne_u32_e32 vcc, s7, v6
	v_mov_b32_e32 v15, 0xffff8000
	s_and_saveexec_b64 s[8:9], vcc
	s_cbranch_execz .LBB892_662
; %bb.659:
	v_bfe_u32 v8, v8, 24, 7
	s_movk_i32 s7, 0x7f
	v_cmp_ne_u32_e32 vcc, s7, v8
	v_mov_b32_e32 v15, 0x7f80
	s_and_saveexec_b64 s[10:11], vcc
	s_cbranch_execz .LBB892_661
; %bb.660:
	v_and_b32_e32 v15, 7, v6
	v_ffbh_u32_e32 v18, v15
	v_min_u32_e32 v20, 32, v18
	v_subrev_u32_e32 v18, 28, v20
	v_lshlrev_b64 v[18:19], v18, v[6:7]
	v_lshrrev_b32_e32 v17, 3, v8
	v_sub_u32_e32 v19, 29, v20
	v_and_b32_e32 v18, 7, v18
	v_cmp_gt_u32_e32 vcc, 8, v8
	v_cndmask_b32_e32 v8, v17, v19, vcc
	v_cndmask_b32_e32 v15, v15, v18, vcc
	v_lshlrev_b32_e32 v6, 24, v6
	v_bfrev_b32_e32 v17, 60
	v_lshlrev_b32_e32 v15, 20, v15
	v_and_b32_e32 v6, 0x80000000, v6
	v_lshl_add_u32 v8, v8, 23, v17
	v_or3_b32 v6, v6, v8, v15
	v_lshrrev_b32_e32 v15, 16, v6
.LBB892_661:
	s_or_b64 exec, exec, s[10:11]
.LBB892_662:
	s_or_b64 exec, exec, s[8:9]
.LBB892_663:
	s_or_b64 exec, exec, s[2:3]
	v_mov_b32_e32 v8, 0
	v_cmp_ne_u16_sdwa s[8:9], v9, v8 src0_sel:BYTE_0 src1_sel:DWORD
	v_mov_b32_e32 v17, 0
	s_and_saveexec_b64 s[2:3], s[8:9]
	s_cbranch_execz .LBB892_669
; %bb.664:
	s_movk_i32 s7, 0x80
	v_cmp_ne_u16_sdwa s[10:11], v9, s7 src0_sel:BYTE_0 src1_sel:DWORD
	v_mov_b32_e32 v17, 0xffff8000
	s_and_saveexec_b64 s[8:9], s[10:11]
	s_cbranch_execz .LBB892_668
; %bb.665:
	s_movk_i32 s7, 0x7f
	v_and_b32_e32 v6, 0x7f, v9
	v_cmp_ne_u32_e32 vcc, s7, v6
	v_mov_b32_e32 v17, 0x7f80
	s_and_saveexec_b64 s[10:11], vcc
	s_cbranch_execz .LBB892_667
; %bb.666:
	v_and_b32_e32 v17, 7, v9
	v_ffbh_u32_e32 v19, v17
	v_min_u32_e32 v21, 32, v19
	v_mov_b32_e32 v18, v9
	v_subrev_u32_e32 v19, 28, v21
	v_lshlrev_b64 v[18:19], v19, v[18:19]
	v_lshrrev_b32_e32 v20, 3, v6
	v_sub_u32_e32 v19, 29, v21
	v_and_b32_e32 v18, 7, v18
	v_cmp_gt_u32_e32 vcc, 8, v6
	v_cndmask_b32_e32 v6, v20, v19, vcc
	v_cndmask_b32_e32 v17, v17, v18, vcc
	v_lshlrev_b32_e32 v18, 24, v9
	v_bfrev_b32_e32 v19, 60
	v_lshlrev_b32_e32 v17, 20, v17
	v_and_b32_e32 v18, 0x80000000, v18
	v_lshl_add_u32 v6, v6, 23, v19
	v_or3_b32 v6, v18, v6, v17
	v_lshrrev_b32_e32 v17, 16, v6
.LBB892_667:
	s_or_b64 exec, exec, s[10:11]
.LBB892_668:
	s_or_b64 exec, exec, s[8:9]
.LBB892_669:
	s_or_b64 exec, exec, s[2:3]
	v_lshrrev_b16_e32 v6, 8, v9
	v_cmp_ne_u16_e32 vcc, 0, v6
	s_and_saveexec_b64 s[2:3], vcc
	s_cbranch_execz .LBB892_675
; %bb.670:
	s_movk_i32 s7, 0x80
	v_cmp_ne_u16_e32 vcc, s7, v6
	v_mov_b32_e32 v8, 0xffff8000
	s_and_saveexec_b64 s[8:9], vcc
	s_cbranch_execz .LBB892_674
; %bb.671:
	s_movk_i32 s7, 0x7f
	v_and_b32_e32 v18, 0x7f, v6
	v_cmp_ne_u32_e32 vcc, s7, v18
	v_mov_b32_e32 v8, 0x7f80
	s_and_saveexec_b64 s[10:11], vcc
	s_cbranch_execz .LBB892_673
; %bb.672:
	v_and_b32_e32 v8, 7, v6
	v_ffbh_u32_e32 v20, v8
	v_min_u32_e32 v23, 32, v20
	v_subrev_u32_e32 v20, 28, v23
	v_lshlrev_b64 v[20:21], v20, v[6:7]
	v_lshrrev_b32_e32 v19, 3, v18
	v_sub_u32_e32 v6, 29, v23
	v_and_b32_e32 v20, 7, v20
	v_cmp_gt_u32_e32 vcc, 8, v18
	v_cndmask_b32_e32 v6, v19, v6, vcc
	v_cndmask_b32_e32 v8, v8, v20, vcc
	v_lshlrev_b32_e32 v18, 16, v9
	v_bfrev_b32_e32 v19, 60
	v_lshlrev_b32_e32 v8, 20, v8
	v_and_b32_e32 v18, 0x80000000, v18
	v_lshl_add_u32 v6, v6, 23, v19
	v_or3_b32 v6, v18, v6, v8
	v_lshrrev_b32_e32 v8, 16, v6
.LBB892_673:
	s_or_b64 exec, exec, s[10:11]
.LBB892_674:
	s_or_b64 exec, exec, s[8:9]
.LBB892_675:
	s_or_b64 exec, exec, s[2:3]
	s_movk_i32 s2, 0xff
	v_and_b32_sdwa v20, v9, s2 dst_sel:DWORD dst_unused:UNUSED_PAD src0_sel:WORD_1 src1_sel:DWORD
	v_lshrrev_b32_e32 v6, 16, v9
	v_cmp_ne_u16_e32 vcc, 0, v20
	v_mov_b32_e32 v18, 0
	v_mov_b32_e32 v19, 0
	s_and_saveexec_b64 s[2:3], vcc
	s_cbranch_execz .LBB892_681
; %bb.676:
	s_movk_i32 s7, 0x80
	v_cmp_ne_u16_e32 vcc, s7, v20
	v_mov_b32_e32 v19, 0xffff8000
	s_and_saveexec_b64 s[8:9], vcc
	s_cbranch_execz .LBB892_680
; %bb.677:
	v_bfe_u32 v20, v9, 16, 7
	s_movk_i32 s7, 0x7f
	v_cmp_ne_u32_e32 vcc, s7, v20
	v_mov_b32_e32 v19, 0x7f80
	s_and_saveexec_b64 s[10:11], vcc
	s_cbranch_execz .LBB892_679
; %bb.678:
	v_and_b32_e32 v19, 7, v6
	v_ffbh_u32_e32 v23, v19
	v_min_u32_e32 v23, 32, v23
	v_subrev_u32_e32 v24, 28, v23
	v_lshlrev_b64 v[24:25], v24, v[6:7]
	v_lshrrev_b32_e32 v21, 3, v20
	v_sub_u32_e32 v6, 29, v23
	v_and_b32_e32 v23, 7, v24
	v_cmp_gt_u32_e32 vcc, 8, v20
	v_mov_b32_e32 v20, 24
	v_cndmask_b32_e32 v6, v21, v6, vcc
	v_cndmask_b32_e32 v19, v19, v23, vcc
	v_lshlrev_b32_sdwa v20, v20, v9 dst_sel:DWORD dst_unused:UNUSED_PAD src0_sel:DWORD src1_sel:WORD_1
	v_bfrev_b32_e32 v21, 60
	v_lshlrev_b32_e32 v19, 20, v19
	v_and_b32_e32 v20, 0x80000000, v20
	v_lshl_add_u32 v6, v6, 23, v21
	v_or3_b32 v6, v20, v6, v19
	v_lshrrev_b32_e32 v19, 16, v6
.LBB892_679:
	s_or_b64 exec, exec, s[10:11]
.LBB892_680:
	s_or_b64 exec, exec, s[8:9]
.LBB892_681:
	s_or_b64 exec, exec, s[2:3]
	s_mov_b32 s2, 0xffffff
	v_cmp_lt_u32_e32 vcc, s2, v9
	s_and_saveexec_b64 s[2:3], vcc
	s_cbranch_execz .LBB892_687
; %bb.682:
	v_lshrrev_b32_e32 v6, 24, v9
	s_movk_i32 s7, 0x80
	v_cmp_ne_u32_e32 vcc, s7, v6
	v_mov_b32_e32 v18, 0xffff8000
	s_and_saveexec_b64 s[8:9], vcc
	s_cbranch_execz .LBB892_686
; %bb.683:
	v_bfe_u32 v9, v9, 24, 7
	s_movk_i32 s7, 0x7f
	v_cmp_ne_u32_e32 vcc, s7, v9
	v_mov_b32_e32 v18, 0x7f80
	s_and_saveexec_b64 s[10:11], vcc
	s_cbranch_execz .LBB892_685
; %bb.684:
	v_and_b32_e32 v18, 7, v6
	v_ffbh_u32_e32 v20, v18
	v_min_u32_e32 v24, 32, v20
	v_subrev_u32_e32 v20, 28, v24
	v_lshlrev_b64 v[20:21], v20, v[6:7]
	v_lshrrev_b32_e32 v23, 3, v9
	v_sub_u32_e32 v21, 29, v24
	v_and_b32_e32 v20, 7, v20
	v_cmp_gt_u32_e32 vcc, 8, v9
	v_cndmask_b32_e32 v9, v23, v21, vcc
	v_cndmask_b32_e32 v18, v18, v20, vcc
	v_lshlrev_b32_e32 v6, 24, v6
	v_bfrev_b32_e32 v20, 60
	v_lshlrev_b32_e32 v18, 20, v18
	v_and_b32_e32 v6, 0x80000000, v6
	v_lshl_add_u32 v9, v9, 23, v20
	v_or3_b32 v6, v6, v9, v18
	v_lshrrev_b32_e32 v18, 16, v6
.LBB892_685:
	s_or_b64 exec, exec, s[10:11]
.LBB892_686:
	s_or_b64 exec, exec, s[8:9]
.LBB892_687:
	s_or_b64 exec, exec, s[2:3]
	s_mov_b32 s2, 0x5040100
	v_perm_b32 v15, v15, v16, s2
	v_perm_b32 v14, v7, v14, s2
	ds_read_b128 v[24:27], v22 offset:4112
	v_perm_b32 v7, v18, v19, s2
	v_perm_b32 v6, v8, v17, s2
	s_waitcnt lgkmcnt(0)
	v_mfma_f32_16x16x16bf16_1k v[30:33], v[14:15], v[24:25], v[10:13]
	s_nop 6
	v_mov_b32_e32 v11, 0
	s_waitcnt vmcnt(0)
	v_cmp_ne_u16_sdwa s[8:9], v2, v11 src0_sel:BYTE_0 src1_sel:DWORD
	v_mfma_f32_16x16x16bf16_1k v[6:9], v[6:7], v[26:27], v[30:33]
	v_mov_b32_e32 v12, 0
	s_and_saveexec_b64 s[2:3], s[8:9]
	s_cbranch_execz .LBB892_693
; %bb.688:
	s_movk_i32 s7, 0x80
	v_cmp_ne_u16_sdwa s[10:11], v2, s7 src0_sel:BYTE_0 src1_sel:DWORD
	v_mov_b32_e32 v12, 0xffff8000
	s_and_saveexec_b64 s[8:9], s[10:11]
	s_cbranch_execz .LBB892_692
; %bb.689:
	s_movk_i32 s7, 0x7f
	v_and_b32_e32 v10, 0x7f, v2
	v_cmp_ne_u32_e32 vcc, s7, v10
	v_mov_b32_e32 v12, 0x7f80
	s_and_saveexec_b64 s[10:11], vcc
	s_cbranch_execz .LBB892_691
; %bb.690:
	v_and_b32_e32 v14, 7, v2
	v_ffbh_u32_e32 v12, v14
	v_min_u32_e32 v16, 32, v12
	v_subrev_u32_e32 v12, 28, v16
	v_lshlrev_b64 v[12:13], v12, v[2:3]
	v_lshrrev_b32_e32 v15, 3, v10
	v_sub_u32_e32 v13, 29, v16
	v_and_b32_e32 v12, 7, v12
	v_cmp_gt_u32_e32 vcc, 8, v10
	v_cndmask_b32_e32 v10, v15, v13, vcc
	v_cndmask_b32_e32 v12, v14, v12, vcc
	v_lshlrev_b32_e32 v13, 24, v2
	v_bfrev_b32_e32 v14, 60
	v_lshlrev_b32_e32 v12, 20, v12
	v_and_b32_e32 v13, 0x80000000, v13
	v_lshl_add_u32 v10, v10, 23, v14
	v_or3_b32 v10, v13, v10, v12
	v_lshrrev_b32_e32 v12, 16, v10
.LBB892_691:
	s_or_b64 exec, exec, s[10:11]
.LBB892_692:
	s_or_b64 exec, exec, s[8:9]
.LBB892_693:
	s_or_b64 exec, exec, s[2:3]
	v_lshrrev_b16_e32 v10, 8, v2
	v_cmp_ne_u16_e32 vcc, 0, v10
	s_and_saveexec_b64 s[2:3], vcc
	s_cbranch_execz .LBB892_699
; %bb.694:
	s_movk_i32 s7, 0x80
	v_cmp_ne_u16_e32 vcc, s7, v10
	v_mov_b32_e32 v11, 0xffff8000
	s_and_saveexec_b64 s[8:9], vcc
	s_cbranch_execz .LBB892_698
; %bb.695:
	s_movk_i32 s7, 0x7f
	v_and_b32_e32 v13, 0x7f, v10
	v_cmp_ne_u32_e32 vcc, s7, v13
	v_mov_b32_e32 v11, 0x7f80
	s_and_saveexec_b64 s[10:11], vcc
	s_cbranch_execz .LBB892_697
; %bb.696:
	v_and_b32_e32 v14, 7, v10
	v_ffbh_u32_e32 v11, v14
	v_min_u32_e32 v16, 32, v11
	v_subrev_u32_e32 v11, 28, v16
	v_lshlrev_b64 v[10:11], v11, v[10:11]
	v_lshrrev_b32_e32 v15, 3, v13
	v_sub_u32_e32 v11, 29, v16
	v_and_b32_e32 v10, 7, v10
	v_cmp_gt_u32_e32 vcc, 8, v13
	v_cndmask_b32_e32 v11, v15, v11, vcc
	v_cndmask_b32_e32 v10, v14, v10, vcc
	v_lshlrev_b32_e32 v13, 16, v2
	v_bfrev_b32_e32 v14, 60
	v_lshlrev_b32_e32 v10, 20, v10
	v_and_b32_e32 v13, 0x80000000, v13
	v_lshl_add_u32 v11, v11, 23, v14
	v_or3_b32 v10, v13, v11, v10
	v_lshrrev_b32_e32 v11, 16, v10
.LBB892_697:
	s_or_b64 exec, exec, s[10:11]
.LBB892_698:
	s_or_b64 exec, exec, s[8:9]
.LBB892_699:
	s_or_b64 exec, exec, s[2:3]
	s_movk_i32 s2, 0xff
	v_and_b32_sdwa v15, v2, s2 dst_sel:DWORD dst_unused:UNUSED_PAD src0_sel:WORD_1 src1_sel:DWORD
	v_lshrrev_b32_e32 v10, 16, v2
	v_cmp_ne_u16_e32 vcc, 0, v15
	v_mov_b32_e32 v13, 0
	v_mov_b32_e32 v14, 0
	s_and_saveexec_b64 s[2:3], vcc
	s_cbranch_execz .LBB892_705
; %bb.700:
	s_movk_i32 s7, 0x80
	v_cmp_ne_u16_e32 vcc, s7, v15
	v_mov_b32_e32 v14, 0xffff8000
	s_and_saveexec_b64 s[8:9], vcc
	s_cbranch_execz .LBB892_704
; %bb.701:
	v_bfe_u32 v15, v2, 16, 7
	s_movk_i32 s7, 0x7f
	v_cmp_ne_u32_e32 vcc, s7, v15
	v_mov_b32_e32 v14, 0x7f80
	s_and_saveexec_b64 s[10:11], vcc
	s_cbranch_execz .LBB892_703
; %bb.702:
	v_and_b32_e32 v14, 7, v10
	v_ffbh_u32_e32 v16, v14
	v_min_u32_e32 v19, 32, v16
	v_subrev_u32_e32 v16, 28, v19
	v_lshlrev_b64 v[16:17], v16, v[10:11]
	v_lshrrev_b32_e32 v18, 3, v15
	v_sub_u32_e32 v10, 29, v19
	v_and_b32_e32 v16, 7, v16
	v_cmp_gt_u32_e32 vcc, 8, v15
	v_mov_b32_e32 v15, 24
	v_cndmask_b32_e32 v10, v18, v10, vcc
	v_cndmask_b32_e32 v14, v14, v16, vcc
	v_lshlrev_b32_sdwa v15, v15, v2 dst_sel:DWORD dst_unused:UNUSED_PAD src0_sel:DWORD src1_sel:WORD_1
	v_bfrev_b32_e32 v16, 60
	v_lshlrev_b32_e32 v14, 20, v14
	v_and_b32_e32 v15, 0x80000000, v15
	v_lshl_add_u32 v10, v10, 23, v16
	v_or3_b32 v10, v15, v10, v14
	v_lshrrev_b32_e32 v14, 16, v10
.LBB892_703:
	s_or_b64 exec, exec, s[10:11]
.LBB892_704:
	s_or_b64 exec, exec, s[8:9]
.LBB892_705:
	s_or_b64 exec, exec, s[2:3]
	s_mov_b32 s2, 0xffffff
	v_cmp_lt_u32_e32 vcc, s2, v2
	s_and_saveexec_b64 s[2:3], vcc
	s_cbranch_execz .LBB892_711
; %bb.706:
	v_lshrrev_b32_e32 v10, 24, v2
	s_movk_i32 s7, 0x80
	v_cmp_ne_u32_e32 vcc, s7, v10
	v_mov_b32_e32 v13, 0xffff8000
	s_and_saveexec_b64 s[8:9], vcc
	s_cbranch_execz .LBB892_710
; %bb.707:
	v_bfe_u32 v2, v2, 24, 7
	s_movk_i32 s7, 0x7f
	v_cmp_ne_u32_e32 vcc, s7, v2
	v_mov_b32_e32 v13, 0x7f80
	s_and_saveexec_b64 s[10:11], vcc
	s_cbranch_execz .LBB892_709
; %bb.708:
	v_and_b32_e32 v13, 7, v10
	v_ffbh_u32_e32 v16, v13
	v_min_u32_e32 v18, 32, v16
	v_subrev_u32_e32 v16, 28, v18
	v_lshlrev_b64 v[16:17], v16, v[10:11]
	v_lshrrev_b32_e32 v15, 3, v2
	v_sub_u32_e32 v17, 29, v18
	v_and_b32_e32 v16, 7, v16
	v_cmp_gt_u32_e32 vcc, 8, v2
	v_cndmask_b32_e32 v2, v15, v17, vcc
	v_cndmask_b32_e32 v13, v13, v16, vcc
	v_lshlrev_b32_e32 v10, 24, v10
	v_bfrev_b32_e32 v15, 60
	v_lshlrev_b32_e32 v13, 20, v13
	v_and_b32_e32 v10, 0x80000000, v10
	v_lshl_add_u32 v2, v2, 23, v15
	v_or3_b32 v2, v10, v2, v13
	v_lshrrev_b32_e32 v13, 16, v2
.LBB892_709:
	s_or_b64 exec, exec, s[10:11]
.LBB892_710:
	s_or_b64 exec, exec, s[8:9]
.LBB892_711:
	s_or_b64 exec, exec, s[2:3]
	v_mov_b32_e32 v10, 0
	v_cmp_ne_u16_sdwa s[8:9], v3, v10 src0_sel:BYTE_0 src1_sel:DWORD
	v_mov_b32_e32 v15, 0
	s_and_saveexec_b64 s[2:3], s[8:9]
	s_cbranch_execz .LBB892_717
; %bb.712:
	s_movk_i32 s7, 0x80
	v_cmp_ne_u16_sdwa s[10:11], v3, s7 src0_sel:BYTE_0 src1_sel:DWORD
	v_mov_b32_e32 v15, 0xffff8000
	s_and_saveexec_b64 s[8:9], s[10:11]
	s_cbranch_execz .LBB892_716
; %bb.713:
	s_movk_i32 s7, 0x7f
	v_and_b32_e32 v2, 0x7f, v3
	v_cmp_ne_u32_e32 vcc, s7, v2
	v_mov_b32_e32 v15, 0x7f80
	s_and_saveexec_b64 s[10:11], vcc
	s_cbranch_execz .LBB892_715
; %bb.714:
	v_and_b32_e32 v15, 7, v3
	v_ffbh_u32_e32 v17, v15
	v_min_u32_e32 v19, 32, v17
	v_mov_b32_e32 v16, v3
	v_subrev_u32_e32 v17, 28, v19
	v_lshlrev_b64 v[16:17], v17, v[16:17]
	v_lshrrev_b32_e32 v18, 3, v2
	v_sub_u32_e32 v17, 29, v19
	v_and_b32_e32 v16, 7, v16
	v_cmp_gt_u32_e32 vcc, 8, v2
	v_cndmask_b32_e32 v2, v18, v17, vcc
	v_cndmask_b32_e32 v15, v15, v16, vcc
	v_lshlrev_b32_e32 v16, 24, v3
	v_bfrev_b32_e32 v17, 60
	v_lshlrev_b32_e32 v15, 20, v15
	v_and_b32_e32 v16, 0x80000000, v16
	v_lshl_add_u32 v2, v2, 23, v17
	v_or3_b32 v2, v16, v2, v15
	v_lshrrev_b32_e32 v15, 16, v2
.LBB892_715:
	s_or_b64 exec, exec, s[10:11]
.LBB892_716:
	s_or_b64 exec, exec, s[8:9]
.LBB892_717:
	s_or_b64 exec, exec, s[2:3]
	v_lshrrev_b16_e32 v2, 8, v3
	v_cmp_ne_u16_e32 vcc, 0, v2
	s_and_saveexec_b64 s[2:3], vcc
	s_cbranch_execz .LBB892_723
; %bb.718:
	s_movk_i32 s7, 0x80
	v_cmp_ne_u16_e32 vcc, s7, v2
	v_mov_b32_e32 v10, 0xffff8000
	s_and_saveexec_b64 s[8:9], vcc
	s_cbranch_execz .LBB892_722
; %bb.719:
	s_movk_i32 s7, 0x7f
	v_and_b32_e32 v16, 0x7f, v2
	v_cmp_ne_u32_e32 vcc, s7, v16
	v_mov_b32_e32 v10, 0x7f80
	s_and_saveexec_b64 s[10:11], vcc
	s_cbranch_execz .LBB892_721
; %bb.720:
	v_and_b32_e32 v10, 7, v2
	v_ffbh_u32_e32 v18, v10
	v_min_u32_e32 v20, 32, v18
	v_subrev_u32_e32 v18, 28, v20
	v_lshlrev_b64 v[18:19], v18, v[2:3]
	v_lshrrev_b32_e32 v17, 3, v16
	v_sub_u32_e32 v2, 29, v20
	v_and_b32_e32 v18, 7, v18
	v_cmp_gt_u32_e32 vcc, 8, v16
	v_cndmask_b32_e32 v2, v17, v2, vcc
	v_cndmask_b32_e32 v10, v10, v18, vcc
	v_lshlrev_b32_e32 v16, 16, v3
	v_bfrev_b32_e32 v17, 60
	v_lshlrev_b32_e32 v10, 20, v10
	v_and_b32_e32 v16, 0x80000000, v16
	v_lshl_add_u32 v2, v2, 23, v17
	v_or3_b32 v2, v16, v2, v10
	v_lshrrev_b32_e32 v10, 16, v2
.LBB892_721:
	s_or_b64 exec, exec, s[10:11]
.LBB892_722:
	s_or_b64 exec, exec, s[8:9]
.LBB892_723:
	s_or_b64 exec, exec, s[2:3]
	s_movk_i32 s2, 0xff
	v_and_b32_sdwa v18, v3, s2 dst_sel:DWORD dst_unused:UNUSED_PAD src0_sel:WORD_1 src1_sel:DWORD
	v_lshrrev_b32_e32 v2, 16, v3
	v_cmp_ne_u16_e32 vcc, 0, v18
	v_mov_b32_e32 v16, 0
	v_mov_b32_e32 v17, 0
	s_and_saveexec_b64 s[2:3], vcc
	s_cbranch_execz .LBB892_729
; %bb.724:
	s_movk_i32 s7, 0x80
	v_cmp_ne_u16_e32 vcc, s7, v18
	v_mov_b32_e32 v17, 0xffff8000
	s_and_saveexec_b64 s[8:9], vcc
	s_cbranch_execz .LBB892_728
; %bb.725:
	v_bfe_u32 v18, v3, 16, 7
	s_movk_i32 s7, 0x7f
	v_cmp_ne_u32_e32 vcc, s7, v18
	v_mov_b32_e32 v17, 0x7f80
	s_and_saveexec_b64 s[10:11], vcc
	s_cbranch_execz .LBB892_727
; %bb.726:
	v_and_b32_e32 v17, 7, v2
	v_ffbh_u32_e32 v20, v17
	v_min_u32_e32 v23, 32, v20
	v_subrev_u32_e32 v20, 28, v23
	v_lshlrev_b64 v[20:21], v20, v[2:3]
	v_lshrrev_b32_e32 v19, 3, v18
	v_sub_u32_e32 v2, 29, v23
	v_and_b32_e32 v20, 7, v20
	v_cmp_gt_u32_e32 vcc, 8, v18
	v_mov_b32_e32 v18, 24
	v_cndmask_b32_e32 v2, v19, v2, vcc
	v_cndmask_b32_e32 v17, v17, v20, vcc
	v_lshlrev_b32_sdwa v18, v18, v3 dst_sel:DWORD dst_unused:UNUSED_PAD src0_sel:DWORD src1_sel:WORD_1
	v_bfrev_b32_e32 v19, 60
	v_lshlrev_b32_e32 v17, 20, v17
	v_and_b32_e32 v18, 0x80000000, v18
	v_lshl_add_u32 v2, v2, 23, v19
	v_or3_b32 v2, v18, v2, v17
	v_lshrrev_b32_e32 v17, 16, v2
.LBB892_727:
	s_or_b64 exec, exec, s[10:11]
.LBB892_728:
	s_or_b64 exec, exec, s[8:9]
.LBB892_729:
	s_or_b64 exec, exec, s[2:3]
	s_mov_b32 s2, 0xffffff
	v_cmp_lt_u32_e32 vcc, s2, v3
	s_and_saveexec_b64 s[2:3], vcc
	s_cbranch_execz .LBB892_735
; %bb.730:
	v_lshrrev_b32_e32 v2, 24, v3
	s_movk_i32 s7, 0x80
	v_cmp_ne_u32_e32 vcc, s7, v2
	v_mov_b32_e32 v16, 0xffff8000
	s_and_saveexec_b64 s[8:9], vcc
	s_cbranch_execz .LBB892_734
; %bb.731:
	v_bfe_u32 v3, v3, 24, 7
	s_movk_i32 s7, 0x7f
	v_cmp_ne_u32_e32 vcc, s7, v3
	v_mov_b32_e32 v16, 0x7f80
	s_and_saveexec_b64 s[10:11], vcc
	s_cbranch_execz .LBB892_733
; %bb.732:
	v_and_b32_e32 v16, 7, v2
	v_ffbh_u32_e32 v18, v16
	v_min_u32_e32 v21, 32, v18
	v_subrev_u32_e32 v18, 28, v21
	v_lshlrev_b64 v[18:19], v18, v[2:3]
	v_lshrrev_b32_e32 v20, 3, v3
	v_sub_u32_e32 v19, 29, v21
	v_and_b32_e32 v18, 7, v18
	v_cmp_gt_u32_e32 vcc, 8, v3
	v_cndmask_b32_e32 v3, v20, v19, vcc
	v_cndmask_b32_e32 v16, v16, v18, vcc
	v_lshlrev_b32_e32 v2, 24, v2
	v_bfrev_b32_e32 v18, 60
	v_lshlrev_b32_e32 v16, 20, v16
	v_and_b32_e32 v2, 0x80000000, v2
	v_lshl_add_u32 v3, v3, 23, v18
	v_or3_b32 v2, v2, v3, v16
	v_lshrrev_b32_e32 v16, 16, v2
.LBB892_733:
	s_or_b64 exec, exec, s[10:11]
.LBB892_734:
	s_or_b64 exec, exec, s[8:9]
.LBB892_735:
	s_or_b64 exec, exec, s[2:3]
	s_mov_b32 s2, 0x5040100
	v_perm_b32 v3, v13, v14, s2
	v_perm_b32 v2, v11, v12, s2
	ds_read_b128 v[18:21], v22 offset:6144
	v_perm_b32 v13, v16, v17, s2
	v_perm_b32 v12, v10, v15, s2
	s_waitcnt lgkmcnt(0)
	v_mfma_f32_16x16x16bf16_1k v[6:9], v[2:3], v[18:19], v[6:9]
	v_mov_b32_e32 v3, 0
	v_cmp_ne_u16_sdwa s[8:9], v4, v3 src0_sel:BYTE_0 src1_sel:DWORD
	v_mov_b32_e32 v10, 0
	v_mfma_f32_16x16x16bf16_1k v[6:9], v[12:13], v[20:21], v[6:9]
	s_and_saveexec_b64 s[2:3], s[8:9]
	s_cbranch_execz .LBB892_741
; %bb.736:
	s_movk_i32 s7, 0x80
	v_cmp_ne_u16_sdwa s[10:11], v4, s7 src0_sel:BYTE_0 src1_sel:DWORD
	v_mov_b32_e32 v10, 0xffff8000
	s_and_saveexec_b64 s[8:9], s[10:11]
	s_cbranch_execz .LBB892_740
; %bb.737:
	s_movk_i32 s7, 0x7f
	v_and_b32_e32 v2, 0x7f, v4
	v_cmp_ne_u32_e32 vcc, s7, v2
	v_mov_b32_e32 v10, 0x7f80
	s_and_saveexec_b64 s[10:11], vcc
	s_cbranch_execz .LBB892_739
; %bb.738:
	v_and_b32_e32 v12, 7, v4
	v_ffbh_u32_e32 v10, v12
	v_min_u32_e32 v14, 32, v10
	v_subrev_u32_e32 v10, 28, v14
	v_lshlrev_b64 v[10:11], v10, v[4:5]
	v_lshrrev_b32_e32 v13, 3, v2
	v_sub_u32_e32 v11, 29, v14
	v_and_b32_e32 v10, 7, v10
	v_cmp_gt_u32_e32 vcc, 8, v2
	v_cndmask_b32_e32 v2, v13, v11, vcc
	v_cndmask_b32_e32 v10, v12, v10, vcc
	v_lshlrev_b32_e32 v11, 24, v4
	v_bfrev_b32_e32 v12, 60
	v_lshlrev_b32_e32 v10, 20, v10
	v_and_b32_e32 v11, 0x80000000, v11
	v_lshl_add_u32 v2, v2, 23, v12
	v_or3_b32 v2, v11, v2, v10
	v_lshrrev_b32_e32 v10, 16, v2
.LBB892_739:
	s_or_b64 exec, exec, s[10:11]
.LBB892_740:
	s_or_b64 exec, exec, s[8:9]
.LBB892_741:
	s_or_b64 exec, exec, s[2:3]
	v_lshrrev_b16_e32 v2, 8, v4
	v_cmp_ne_u16_e32 vcc, 0, v2
	s_and_saveexec_b64 s[2:3], vcc
	s_cbranch_execz .LBB892_747
; %bb.742:
	s_movk_i32 s7, 0x80
	v_cmp_ne_u16_e32 vcc, s7, v2
	v_mov_b32_e32 v3, 0xffff8000
	s_and_saveexec_b64 s[8:9], vcc
	s_cbranch_execz .LBB892_746
; %bb.743:
	s_movk_i32 s7, 0x7f
	v_and_b32_e32 v11, 0x7f, v2
	v_cmp_ne_u32_e32 vcc, s7, v11
	v_mov_b32_e32 v3, 0x7f80
	s_and_saveexec_b64 s[10:11], vcc
	s_cbranch_execz .LBB892_745
; %bb.744:
	v_and_b32_e32 v12, 7, v2
	v_ffbh_u32_e32 v3, v12
	v_min_u32_e32 v14, 32, v3
	v_subrev_u32_e32 v3, 28, v14
	v_lshlrev_b64 v[2:3], v3, v[2:3]
	v_lshrrev_b32_e32 v13, 3, v11
	v_sub_u32_e32 v3, 29, v14
	v_and_b32_e32 v2, 7, v2
	v_cmp_gt_u32_e32 vcc, 8, v11
	v_cndmask_b32_e32 v3, v13, v3, vcc
	v_cndmask_b32_e32 v2, v12, v2, vcc
	v_lshlrev_b32_e32 v11, 16, v4
	v_bfrev_b32_e32 v12, 60
	v_lshlrev_b32_e32 v2, 20, v2
	v_and_b32_e32 v11, 0x80000000, v11
	v_lshl_add_u32 v3, v3, 23, v12
	v_or3_b32 v2, v11, v3, v2
	v_lshrrev_b32_e32 v3, 16, v2
.LBB892_745:
	s_or_b64 exec, exec, s[10:11]
.LBB892_746:
	s_or_b64 exec, exec, s[8:9]
.LBB892_747:
	s_or_b64 exec, exec, s[2:3]
	s_movk_i32 s2, 0xff
	v_and_b32_sdwa v13, v4, s2 dst_sel:DWORD dst_unused:UNUSED_PAD src0_sel:WORD_1 src1_sel:DWORD
	v_lshrrev_b32_e32 v2, 16, v4
	v_cmp_ne_u16_e32 vcc, 0, v13
	v_mov_b32_e32 v11, 0
	v_mov_b32_e32 v12, 0
	s_and_saveexec_b64 s[2:3], vcc
	s_cbranch_execz .LBB892_753
; %bb.748:
	s_movk_i32 s7, 0x80
	v_cmp_ne_u16_e32 vcc, s7, v13
	v_mov_b32_e32 v12, 0xffff8000
	s_and_saveexec_b64 s[8:9], vcc
	s_cbranch_execz .LBB892_752
; %bb.749:
	v_bfe_u32 v13, v4, 16, 7
	s_movk_i32 s7, 0x7f
	v_cmp_ne_u32_e32 vcc, s7, v13
	v_mov_b32_e32 v12, 0x7f80
	s_and_saveexec_b64 s[10:11], vcc
	s_cbranch_execz .LBB892_751
; %bb.750:
	v_and_b32_e32 v12, 7, v2
	v_ffbh_u32_e32 v14, v12
	v_min_u32_e32 v17, 32, v14
	v_subrev_u32_e32 v14, 28, v17
	v_lshlrev_b64 v[14:15], v14, v[2:3]
	v_lshrrev_b32_e32 v16, 3, v13
	v_sub_u32_e32 v2, 29, v17
	v_and_b32_e32 v14, 7, v14
	v_cmp_gt_u32_e32 vcc, 8, v13
	v_mov_b32_e32 v13, 24
	v_cndmask_b32_e32 v2, v16, v2, vcc
	v_cndmask_b32_e32 v12, v12, v14, vcc
	v_lshlrev_b32_sdwa v13, v13, v4 dst_sel:DWORD dst_unused:UNUSED_PAD src0_sel:DWORD src1_sel:WORD_1
	v_bfrev_b32_e32 v14, 60
	v_lshlrev_b32_e32 v12, 20, v12
	v_and_b32_e32 v13, 0x80000000, v13
	v_lshl_add_u32 v2, v2, 23, v14
	v_or3_b32 v2, v13, v2, v12
	v_lshrrev_b32_e32 v12, 16, v2
.LBB892_751:
	s_or_b64 exec, exec, s[10:11]
.LBB892_752:
	s_or_b64 exec, exec, s[8:9]
.LBB892_753:
	s_or_b64 exec, exec, s[2:3]
	s_mov_b32 s2, 0xffffff
	v_cmp_lt_u32_e32 vcc, s2, v4
	s_and_saveexec_b64 s[2:3], vcc
	s_cbranch_execz .LBB892_759
; %bb.754:
	v_lshrrev_b32_e32 v2, 24, v4
	s_movk_i32 s7, 0x80
	v_cmp_ne_u32_e32 vcc, s7, v2
	v_mov_b32_e32 v11, 0xffff8000
	s_and_saveexec_b64 s[8:9], vcc
	s_cbranch_execz .LBB892_758
; %bb.755:
	v_bfe_u32 v4, v4, 24, 7
	s_movk_i32 s7, 0x7f
	v_cmp_ne_u32_e32 vcc, s7, v4
	v_mov_b32_e32 v11, 0x7f80
	s_and_saveexec_b64 s[10:11], vcc
	s_cbranch_execz .LBB892_757
; %bb.756:
	v_and_b32_e32 v11, 7, v2
	v_ffbh_u32_e32 v14, v11
	v_min_u32_e32 v16, 32, v14
	v_subrev_u32_e32 v14, 28, v16
	v_lshlrev_b64 v[14:15], v14, v[2:3]
	v_lshrrev_b32_e32 v13, 3, v4
	v_sub_u32_e32 v15, 29, v16
	v_and_b32_e32 v14, 7, v14
	v_cmp_gt_u32_e32 vcc, 8, v4
	v_cndmask_b32_e32 v4, v13, v15, vcc
	v_cndmask_b32_e32 v11, v11, v14, vcc
	v_lshlrev_b32_e32 v2, 24, v2
	v_bfrev_b32_e32 v13, 60
	v_lshlrev_b32_e32 v11, 20, v11
	v_and_b32_e32 v2, 0x80000000, v2
	v_lshl_add_u32 v4, v4, 23, v13
	v_or3_b32 v2, v2, v4, v11
	v_lshrrev_b32_e32 v11, 16, v2
.LBB892_757:
	s_or_b64 exec, exec, s[10:11]
.LBB892_758:
	s_or_b64 exec, exec, s[8:9]
.LBB892_759:
	s_or_b64 exec, exec, s[2:3]
	v_mov_b32_e32 v4, 0
	v_cmp_ne_u16_sdwa s[8:9], v5, v4 src0_sel:BYTE_0 src1_sel:DWORD
	v_mov_b32_e32 v13, 0
	s_and_saveexec_b64 s[2:3], s[8:9]
	s_cbranch_execz .LBB892_765
; %bb.760:
	s_movk_i32 s7, 0x80
	v_cmp_ne_u16_sdwa s[10:11], v5, s7 src0_sel:BYTE_0 src1_sel:DWORD
	v_mov_b32_e32 v13, 0xffff8000
	s_and_saveexec_b64 s[8:9], s[10:11]
	s_cbranch_execz .LBB892_764
; %bb.761:
	s_movk_i32 s7, 0x7f
	v_and_b32_e32 v2, 0x7f, v5
	v_cmp_ne_u32_e32 vcc, s7, v2
	v_mov_b32_e32 v13, 0x7f80
	s_and_saveexec_b64 s[10:11], vcc
	s_cbranch_execz .LBB892_763
; %bb.762:
	v_and_b32_e32 v13, 7, v5
	v_ffbh_u32_e32 v15, v13
	v_min_u32_e32 v17, 32, v15
	v_mov_b32_e32 v14, v5
	v_subrev_u32_e32 v15, 28, v17
	v_lshlrev_b64 v[14:15], v15, v[14:15]
	v_lshrrev_b32_e32 v16, 3, v2
	v_sub_u32_e32 v15, 29, v17
	v_and_b32_e32 v14, 7, v14
	v_cmp_gt_u32_e32 vcc, 8, v2
	v_cndmask_b32_e32 v2, v16, v15, vcc
	v_cndmask_b32_e32 v13, v13, v14, vcc
	v_lshlrev_b32_e32 v14, 24, v5
	v_bfrev_b32_e32 v15, 60
	v_lshlrev_b32_e32 v13, 20, v13
	v_and_b32_e32 v14, 0x80000000, v14
	v_lshl_add_u32 v2, v2, 23, v15
	v_or3_b32 v2, v14, v2, v13
	v_lshrrev_b32_e32 v13, 16, v2
.LBB892_763:
	s_or_b64 exec, exec, s[10:11]
.LBB892_764:
	s_or_b64 exec, exec, s[8:9]
.LBB892_765:
	s_or_b64 exec, exec, s[2:3]
	v_lshrrev_b16_e32 v2, 8, v5
	v_cmp_ne_u16_e32 vcc, 0, v2
	s_and_saveexec_b64 s[2:3], vcc
	s_cbranch_execz .LBB892_771
; %bb.766:
	s_movk_i32 s7, 0x80
	v_cmp_ne_u16_e32 vcc, s7, v2
	v_mov_b32_e32 v4, 0xffff8000
	s_and_saveexec_b64 s[8:9], vcc
	s_cbranch_execz .LBB892_770
; %bb.767:
	s_movk_i32 s7, 0x7f
	v_and_b32_e32 v14, 0x7f, v2
	v_cmp_ne_u32_e32 vcc, s7, v14
	v_mov_b32_e32 v4, 0x7f80
	s_and_saveexec_b64 s[10:11], vcc
	s_cbranch_execz .LBB892_769
; %bb.768:
	v_and_b32_e32 v4, 7, v2
	v_ffbh_u32_e32 v16, v4
	v_min_u32_e32 v18, 32, v16
	v_subrev_u32_e32 v16, 28, v18
	v_lshlrev_b64 v[16:17], v16, v[2:3]
	v_lshrrev_b32_e32 v15, 3, v14
	v_sub_u32_e32 v2, 29, v18
	v_and_b32_e32 v16, 7, v16
	v_cmp_gt_u32_e32 vcc, 8, v14
	v_cndmask_b32_e32 v2, v15, v2, vcc
	v_cndmask_b32_e32 v4, v4, v16, vcc
	v_lshlrev_b32_e32 v14, 16, v5
	v_bfrev_b32_e32 v15, 60
	v_lshlrev_b32_e32 v4, 20, v4
	v_and_b32_e32 v14, 0x80000000, v14
	v_lshl_add_u32 v2, v2, 23, v15
	v_or3_b32 v2, v14, v2, v4
	v_lshrrev_b32_e32 v4, 16, v2
.LBB892_769:
	s_or_b64 exec, exec, s[10:11]
.LBB892_770:
	s_or_b64 exec, exec, s[8:9]
.LBB892_771:
	s_or_b64 exec, exec, s[2:3]
	s_movk_i32 s2, 0xff
	v_and_b32_sdwa v16, v5, s2 dst_sel:DWORD dst_unused:UNUSED_PAD src0_sel:WORD_1 src1_sel:DWORD
	v_lshrrev_b32_e32 v2, 16, v5
	v_cmp_ne_u16_e32 vcc, 0, v16
	v_mov_b32_e32 v14, 0
	v_mov_b32_e32 v15, 0
	s_and_saveexec_b64 s[2:3], vcc
	s_cbranch_execz .LBB892_777
; %bb.772:
	s_movk_i32 s7, 0x80
	v_cmp_ne_u16_e32 vcc, s7, v16
	v_mov_b32_e32 v15, 0xffff8000
	s_and_saveexec_b64 s[8:9], vcc
	s_cbranch_execz .LBB892_776
; %bb.773:
	v_bfe_u32 v16, v5, 16, 7
	s_movk_i32 s7, 0x7f
	v_cmp_ne_u32_e32 vcc, s7, v16
	v_mov_b32_e32 v15, 0x7f80
	s_and_saveexec_b64 s[10:11], vcc
	s_cbranch_execz .LBB892_775
; %bb.774:
	v_and_b32_e32 v15, 7, v2
	v_ffbh_u32_e32 v18, v15
	v_min_u32_e32 v20, 32, v18
	v_subrev_u32_e32 v18, 28, v20
	v_lshlrev_b64 v[18:19], v18, v[2:3]
	v_lshrrev_b32_e32 v17, 3, v16
	v_sub_u32_e32 v2, 29, v20
	v_and_b32_e32 v18, 7, v18
	v_cmp_gt_u32_e32 vcc, 8, v16
	v_mov_b32_e32 v16, 24
	v_cndmask_b32_e32 v2, v17, v2, vcc
	v_cndmask_b32_e32 v15, v15, v18, vcc
	v_lshlrev_b32_sdwa v16, v16, v5 dst_sel:DWORD dst_unused:UNUSED_PAD src0_sel:DWORD src1_sel:WORD_1
	v_bfrev_b32_e32 v17, 60
	v_lshlrev_b32_e32 v15, 20, v15
	v_and_b32_e32 v16, 0x80000000, v16
	v_lshl_add_u32 v2, v2, 23, v17
	v_or3_b32 v2, v16, v2, v15
	v_lshrrev_b32_e32 v15, 16, v2
.LBB892_775:
	s_or_b64 exec, exec, s[10:11]
.LBB892_776:
	s_or_b64 exec, exec, s[8:9]
.LBB892_777:
	s_or_b64 exec, exec, s[2:3]
	s_mov_b32 s2, 0xffffff
	v_cmp_lt_u32_e32 vcc, s2, v5
	s_and_saveexec_b64 s[2:3], vcc
	s_cbranch_execz .LBB892_783
; %bb.778:
	v_lshrrev_b32_e32 v2, 24, v5
	s_movk_i32 s7, 0x80
	v_cmp_ne_u32_e32 vcc, s7, v2
	v_mov_b32_e32 v14, 0xffff8000
	s_and_saveexec_b64 s[8:9], vcc
	s_cbranch_execz .LBB892_782
; %bb.779:
	v_bfe_u32 v5, v5, 24, 7
	s_movk_i32 s7, 0x7f
	v_cmp_ne_u32_e32 vcc, s7, v5
	v_mov_b32_e32 v14, 0x7f80
	s_and_saveexec_b64 s[10:11], vcc
	s_cbranch_execz .LBB892_781
; %bb.780:
	v_and_b32_e32 v14, 7, v2
	v_ffbh_u32_e32 v16, v14
	v_min_u32_e32 v19, 32, v16
	v_subrev_u32_e32 v16, 28, v19
	v_lshlrev_b64 v[16:17], v16, v[2:3]
	v_lshrrev_b32_e32 v18, 3, v5
	v_sub_u32_e32 v17, 29, v19
	v_and_b32_e32 v16, 7, v16
	v_cmp_gt_u32_e32 vcc, 8, v5
	v_cndmask_b32_e32 v5, v18, v17, vcc
	v_cndmask_b32_e32 v14, v14, v16, vcc
	v_lshlrev_b32_e32 v2, 24, v2
	v_bfrev_b32_e32 v16, 60
	v_lshlrev_b32_e32 v14, 20, v14
	v_and_b32_e32 v2, 0x80000000, v2
	v_lshl_add_u32 v5, v5, 23, v16
	v_or3_b32 v2, v2, v5, v14
	v_lshrrev_b32_e32 v14, 16, v2
.LBB892_781:
	s_or_b64 exec, exec, s[10:11]
.LBB892_782:
	s_or_b64 exec, exec, s[8:9]
.LBB892_783:
	s_or_b64 exec, exec, s[2:3]
	s_mov_b32 s3, 0x5040100
	v_perm_b32 v11, v11, v12, s3
	ds_read_b128 v[16:19], v22 offset:6160
	v_perm_b32 v10, v3, v10, s3
	v_perm_b32 v3, v14, v15, s3
	;; [unrolled: 1-line block ×3, first 2 shown]
	s_waitcnt lgkmcnt(0)
	v_mfma_f32_16x16x16bf16_1k v[6:9], v[10:11], v[16:17], v[6:9]
	s_load_dword s2, s[42:43], 0x0
	s_mov_b32 s3, 0x7060302
	s_movk_i32 s7, 0x7fff
	v_cmp_gt_u32_e32 vcc, 64, v0
	s_and_b64 s[0:1], vcc, s[0:1]
	s_waitcnt lgkmcnt(0)
	s_barrier
	v_mfma_f32_16x16x16bf16_1k v[2:5], v[2:3], v[18:19], v[6:9]
	s_nop 7
	s_nop 2
	v_pk_mul_f32 v[4:5], v[4:5], s[2:3] op_sel_hi:[1,0]
	v_pk_mul_f32 v[2:3], v[2:3], s[2:3] op_sel_hi:[1,0]
	v_bfe_u32 v6, v3, 16, 1
	v_bfe_u32 v7, v2, 16, 1
	v_bfe_u32 v8, v5, 16, 1
	v_bfe_u32 v9, v4, 16, 1
	v_add3_u32 v2, v2, v7, s7
	v_add3_u32 v3, v3, v6, s7
	;; [unrolled: 1-line block ×4, first 2 shown]
	v_perm_b32 v2, v3, v2, s3
	v_perm_b32 v3, v5, v4, s3
	ds_write_b64 v28, v[2:3]
	s_waitcnt lgkmcnt(0)
	s_barrier
	s_and_saveexec_b64 s[2:3], s[0:1]
	s_cbranch_execz .LBB892_786
; %bb.784:
	s_load_dwordx2 s[2:3], s[4:5], 0x68
	s_lshl_b32 s0, s44, 6
	s_mul_i32 s1, s12, s6
	s_mul_hi_u32 s7, s1, s0
	s_mul_i32 s6, s1, s0
	s_lshl_b64 s[6:7], s[6:7], 1
	s_waitcnt lgkmcnt(0)
	s_add_u32 s1, s2, s6
	v_lshlrev_b32_e32 v0, 10, v0
	s_mov_b32 s5, 0
	s_addc_u32 s6, s3, s7
	s_lshl_b32 s4, s24, 6
	v_and_b32_e32 v0, 0x1800, v0
	v_lshlrev_b32_e32 v2, 5, v1
	v_and_b32_e32 v3, 16, v47
	s_lshl_b64 s[2:3], s[4:5], 1
	v_or3_b32 v0, v0, v2, v3
	s_add_u32 s1, s1, s2
	ds_read_b128 v[4:7], v0 offset:256
	s_addc_u32 s2, s6, s3
	ds_read_b128 v[8:11], v0 offset:128
	ds_read_b128 v[12:15], v0
	v_add_u32_e32 v18, s25, v1
	v_mov_b32_e32 v3, s2
	v_add_co_u32_e32 v2, vcc, s1, v46
	v_mad_u64_u32 v[16:17], s[2:3], v18, s0, 0
	v_addc_co_u32_e32 v3, vcc, 0, v3, vcc
	v_lshlrev_b64 v[16:17], 1, v[16:17]
	v_add_co_u32_e32 v16, vcc, v2, v16
	v_addc_co_u32_e32 v17, vcc, v3, v17, vcc
	s_waitcnt lgkmcnt(0)
	global_store_dwordx4 v[16:17], v[12:15], off
	s_nop 0
	v_add_u32_e32 v12, 4, v18
	v_mad_u64_u32 v[12:13], s[2:3], v12, s0, 0
	v_lshlrev_b64 v[12:13], 1, v[12:13]
	v_add_co_u32_e32 v12, vcc, v2, v12
	v_addc_co_u32_e32 v13, vcc, v3, v13, vcc
	global_store_dwordx4 v[12:13], v[8:11], off
	s_nop 0
	v_add_u32_e32 v8, 8, v18
	v_mad_u64_u32 v[8:9], s[2:3], v8, s0, 0
	v_lshlrev_b64 v[8:9], 1, v[8:9]
	v_add_co_u32_e32 v8, vcc, v2, v8
	v_addc_co_u32_e32 v9, vcc, v3, v9, vcc
	v_cmp_ne_u32_e32 vcc, 3, v1
	global_store_dwordx4 v[8:9], v[4:7], off
	s_and_b64 exec, exec, vcc
	s_cbranch_execz .LBB892_786
; %bb.785:
	ds_read_b128 v[4:7], v0 offset:384
	v_add3_u32 v0, s25, v1, 12
	v_mad_u64_u32 v[0:1], s[0:1], v0, s0, 0
	v_lshlrev_b64 v[0:1], 1, v[0:1]
	v_add_co_u32_e32 v0, vcc, v2, v0
	v_addc_co_u32_e32 v1, vcc, v3, v1, vcc
	s_waitcnt lgkmcnt(0)
	global_store_dwordx4 v[0:1], v[4:7], off
.LBB892_786:
	s_endpgm
	.section	.rodata,"a",@progbits
	.p2align	6, 0x0
	.amdhsa_kernel _Z39paged_attention_ll4mi_QKV_mfma16_kernelI14__hip_bfloat16hLN4vllm18Fp8KVCacheDataTypeE1ES0_Li32ELi64ELi256ELb0ELi15EL8MFMAType0EEvPKT_PKT0_S9_ifPKiSB_SB_iPKfiiiPfSE_PS4_PT2_iSD_SD_
		.amdhsa_group_segment_fixed_size 8192
		.amdhsa_private_segment_fixed_size 0
		.amdhsa_kernarg_size 400
		.amdhsa_user_sgpr_count 6
		.amdhsa_user_sgpr_private_segment_buffer 1
		.amdhsa_user_sgpr_dispatch_ptr 0
		.amdhsa_user_sgpr_queue_ptr 0
		.amdhsa_user_sgpr_kernarg_segment_ptr 1
		.amdhsa_user_sgpr_dispatch_id 0
		.amdhsa_user_sgpr_flat_scratch_init 0
		.amdhsa_user_sgpr_kernarg_preload_length 0
		.amdhsa_user_sgpr_kernarg_preload_offset 0
		.amdhsa_user_sgpr_private_segment_size 0
		.amdhsa_uses_dynamic_stack 0
		.amdhsa_system_sgpr_private_segment_wavefront_offset 0
		.amdhsa_system_sgpr_workgroup_id_x 1
		.amdhsa_system_sgpr_workgroup_id_y 1
		.amdhsa_system_sgpr_workgroup_id_z 1
		.amdhsa_system_sgpr_workgroup_info 0
		.amdhsa_system_vgpr_workitem_id 0
		.amdhsa_next_free_vgpr 62
		.amdhsa_next_free_sgpr 47
		.amdhsa_accum_offset 64
		.amdhsa_reserve_vcc 1
		.amdhsa_reserve_flat_scratch 0
		.amdhsa_float_round_mode_32 0
		.amdhsa_float_round_mode_16_64 0
		.amdhsa_float_denorm_mode_32 3
		.amdhsa_float_denorm_mode_16_64 3
		.amdhsa_dx10_clamp 1
		.amdhsa_ieee_mode 1
		.amdhsa_fp16_overflow 0
		.amdhsa_tg_split 0
		.amdhsa_exception_fp_ieee_invalid_op 0
		.amdhsa_exception_fp_denorm_src 0
		.amdhsa_exception_fp_ieee_div_zero 0
		.amdhsa_exception_fp_ieee_overflow 0
		.amdhsa_exception_fp_ieee_underflow 0
		.amdhsa_exception_fp_ieee_inexact 0
		.amdhsa_exception_int_div_zero 0
	.end_amdhsa_kernel
	.section	.text._Z39paged_attention_ll4mi_QKV_mfma16_kernelI14__hip_bfloat16hLN4vllm18Fp8KVCacheDataTypeE1ES0_Li32ELi64ELi256ELb0ELi15EL8MFMAType0EEvPKT_PKT0_S9_ifPKiSB_SB_iPKfiiiPfSE_PS4_PT2_iSD_SD_,"axG",@progbits,_Z39paged_attention_ll4mi_QKV_mfma16_kernelI14__hip_bfloat16hLN4vllm18Fp8KVCacheDataTypeE1ES0_Li32ELi64ELi256ELb0ELi15EL8MFMAType0EEvPKT_PKT0_S9_ifPKiSB_SB_iPKfiiiPfSE_PS4_PT2_iSD_SD_,comdat
.Lfunc_end892:
	.size	_Z39paged_attention_ll4mi_QKV_mfma16_kernelI14__hip_bfloat16hLN4vllm18Fp8KVCacheDataTypeE1ES0_Li32ELi64ELi256ELb0ELi15EL8MFMAType0EEvPKT_PKT0_S9_ifPKiSB_SB_iPKfiiiPfSE_PS4_PT2_iSD_SD_, .Lfunc_end892-_Z39paged_attention_ll4mi_QKV_mfma16_kernelI14__hip_bfloat16hLN4vllm18Fp8KVCacheDataTypeE1ES0_Li32ELi64ELi256ELb0ELi15EL8MFMAType0EEvPKT_PKT0_S9_ifPKiSB_SB_iPKfiiiPfSE_PS4_PT2_iSD_SD_
                                        ; -- End function
	.section	.AMDGPU.csdata,"",@progbits
; Kernel info:
; codeLenInByte = 28464
; NumSgprs: 51
; NumVgprs: 62
; NumAgprs: 0
; TotalNumVgprs: 62
; ScratchSize: 0
; MemoryBound: 0
; FloatMode: 240
; IeeeMode: 1
; LDSByteSize: 8192 bytes/workgroup (compile time only)
; SGPRBlocks: 6
; VGPRBlocks: 7
; NumSGPRsForWavesPerEU: 51
; NumVGPRsForWavesPerEU: 62
; AccumOffset: 64
; Occupancy: 8
; WaveLimiterHint : 1
; COMPUTE_PGM_RSRC2:SCRATCH_EN: 0
; COMPUTE_PGM_RSRC2:USER_SGPR: 6
; COMPUTE_PGM_RSRC2:TRAP_HANDLER: 0
; COMPUTE_PGM_RSRC2:TGID_X_EN: 1
; COMPUTE_PGM_RSRC2:TGID_Y_EN: 1
; COMPUTE_PGM_RSRC2:TGID_Z_EN: 1
; COMPUTE_PGM_RSRC2:TIDIG_COMP_CNT: 0
; COMPUTE_PGM_RSRC3_GFX90A:ACCUM_OFFSET: 15
; COMPUTE_PGM_RSRC3_GFX90A:TG_SPLIT: 0
	.section	.text._Z39paged_attention_ll4mi_QKV_mfma16_kernelI14__hip_bfloat16hLN4vllm18Fp8KVCacheDataTypeE1ES0_Li32ELi64ELi256ELb0ELi16EL8MFMAType0EEvPKT_PKT0_S9_ifPKiSB_SB_iPKfiiiPfSE_PS4_PT2_iSD_SD_,"axG",@progbits,_Z39paged_attention_ll4mi_QKV_mfma16_kernelI14__hip_bfloat16hLN4vllm18Fp8KVCacheDataTypeE1ES0_Li32ELi64ELi256ELb0ELi16EL8MFMAType0EEvPKT_PKT0_S9_ifPKiSB_SB_iPKfiiiPfSE_PS4_PT2_iSD_SD_,comdat
	.protected	_Z39paged_attention_ll4mi_QKV_mfma16_kernelI14__hip_bfloat16hLN4vllm18Fp8KVCacheDataTypeE1ES0_Li32ELi64ELi256ELb0ELi16EL8MFMAType0EEvPKT_PKT0_S9_ifPKiSB_SB_iPKfiiiPfSE_PS4_PT2_iSD_SD_ ; -- Begin function _Z39paged_attention_ll4mi_QKV_mfma16_kernelI14__hip_bfloat16hLN4vllm18Fp8KVCacheDataTypeE1ES0_Li32ELi64ELi256ELb0ELi16EL8MFMAType0EEvPKT_PKT0_S9_ifPKiSB_SB_iPKfiiiPfSE_PS4_PT2_iSD_SD_
	.globl	_Z39paged_attention_ll4mi_QKV_mfma16_kernelI14__hip_bfloat16hLN4vllm18Fp8KVCacheDataTypeE1ES0_Li32ELi64ELi256ELb0ELi16EL8MFMAType0EEvPKT_PKT0_S9_ifPKiSB_SB_iPKfiiiPfSE_PS4_PT2_iSD_SD_
	.p2align	8
	.type	_Z39paged_attention_ll4mi_QKV_mfma16_kernelI14__hip_bfloat16hLN4vllm18Fp8KVCacheDataTypeE1ES0_Li32ELi64ELi256ELb0ELi16EL8MFMAType0EEvPKT_PKT0_S9_ifPKiSB_SB_iPKfiiiPfSE_PS4_PT2_iSD_SD_,@function
_Z39paged_attention_ll4mi_QKV_mfma16_kernelI14__hip_bfloat16hLN4vllm18Fp8KVCacheDataTypeE1ES0_Li32ELi64ELi256ELb0ELi16EL8MFMAType0EEvPKT_PKT0_S9_ifPKiSB_SB_iPKfiiiPfSE_PS4_PT2_iSD_SD_: ; @_Z39paged_attention_ll4mi_QKV_mfma16_kernelI14__hip_bfloat16hLN4vllm18Fp8KVCacheDataTypeE1ES0_Li32ELi64ELi256ELb0ELi16EL8MFMAType0EEvPKT_PKT0_S9_ifPKiSB_SB_iPKfiiiPfSE_PS4_PT2_iSD_SD_
; %bb.0:
	s_load_dwordx2 s[0:1], s[4:5], 0x30
	s_mov_b32 s24, s7
	s_mov_b64 s[10:11], 0
	s_waitcnt lgkmcnt(0)
	s_cmp_lg_u64 s[0:1], 0
	s_cselect_b64 s[2:3], -1, 0
	s_and_b64 vcc, exec, s[2:3]
	s_cbranch_vccz .LBB893_7
; %bb.1:
	s_add_i32 s12, s6, 1
	s_mov_b32 s13, 0
	s_lshl_b64 s[14:15], s[12:13], 2
	s_add_u32 s14, s0, s14
	s_mov_b32 s7, s13
	s_addc_u32 s15, s1, s15
	s_lshl_b64 s[12:13], s[6:7], 2
	s_add_u32 s12, s0, s12
	s_addc_u32 s13, s1, s13
	s_load_dword s9, s[14:15], 0x0
	s_load_dword s16, s[12:13], 0x0
	s_waitcnt lgkmcnt(0)
	s_sub_i32 s9, s9, s16
	s_cmp_eq_u32 s9, 1
	s_cselect_b64 s[12:13], -1, 0
	s_andn2_b64 vcc, exec, s[10:11]
	s_cbranch_vccnz .LBB893_3
.LBB893_2:
	s_mov_b32 s7, 0
	s_mov_b64 s[12:13], -1
.LBB893_3:
	s_andn2_b64 vcc, exec, s[12:13]
	s_cbranch_vccnz .LBB893_785
; %bb.4:
	s_load_dwordx2 s[12:13], s[4:5], 0x28
	s_lshl_b64 s[10:11], s[6:7], 2
	s_waitcnt lgkmcnt(0)
	s_add_u32 s12, s12, s10
	s_addc_u32 s13, s13, s11
	s_load_dword s33, s[12:13], 0x0
	s_lshl_b32 s20, s24, 8
	s_waitcnt lgkmcnt(0)
	s_cmp_ge_i32 s20, s33
	s_cbranch_scc1 .LBB893_785
; %bb.5:
	s_add_i32 s14, s33, 31
	s_load_dwordx2 s[12:13], s[4:5], 0x20
	s_load_dword s9, s[4:5], 0x38
	s_ashr_i32 s15, s14, 31
	v_and_b32_e32 v1, 0xcf, v0
	s_lshr_b32 s15, s15, 27
	v_add_u32_e32 v1, s20, v1
	s_add_i32 s14, s14, s15
	v_ashrrev_i32_e32 v2, 31, v1
	s_ashr_i32 s22, s14, 5
	v_lshrrev_b32_e32 v4, 27, v2
	s_add_i32 s22, s22, -1
	v_add_u32_e32 v2, v1, v4
	s_waitcnt lgkmcnt(0)
	s_mul_i32 s14, s6, s9
	s_mov_b32 s15, 0
	v_ashrrev_i32_e32 v2, 5, v2
	v_mov_b32_e32 v5, s22
	v_cmp_gt_i32_e32 vcc, s33, v1
	s_lshl_b64 s[14:15], s[14:15], 2
	v_cndmask_b32_e32 v2, v5, v2, vcc
	s_add_u32 s9, s12, s14
	v_ashrrev_i32_e32 v3, 31, v2
	s_addc_u32 s21, s13, s15
	v_lshlrev_b64 v[2:3], 2, v[2:3]
	v_mov_b32_e32 v7, s21
	v_add_co_u32_e32 v6, vcc, s9, v2
	v_or_b32_e32 v2, 16, v1
	v_addc_co_u32_e32 v7, vcc, v7, v3, vcc
	v_add_u32_e32 v3, v2, v4
	v_ashrrev_i32_e32 v3, 5, v3
	v_cmp_gt_i32_e32 vcc, s33, v2
	v_cndmask_b32_e32 v2, v5, v3, vcc
	v_ashrrev_i32_e32 v3, 31, v2
	v_lshlrev_b64 v[2:3], 2, v[2:3]
	v_mov_b32_e32 v9, s21
	v_add_co_u32_e32 v8, vcc, s9, v2
	v_or_b32_e32 v2, 32, v1
	v_addc_co_u32_e32 v9, vcc, v9, v3, vcc
	v_add_u32_e32 v3, v2, v4
	v_ashrrev_i32_e32 v3, 5, v3
	v_cmp_gt_i32_e32 vcc, s33, v2
	v_cndmask_b32_e32 v2, v5, v3, vcc
	v_ashrrev_i32_e32 v3, 31, v2
	;; [unrolled: 10-line block ×3, first 2 shown]
	v_lshlrev_b64 v[2:3], 2, v[2:3]
	v_mov_b32_e32 v1, s21
	v_add_co_u32_e32 v12, vcc, s9, v2
	v_addc_co_u32_e32 v13, vcc, v1, v3, vcc
	global_load_dword v5, v[6:7], off
	global_load_dword v4, v[8:9], off
	;; [unrolled: 1-line block ×4, first 2 shown]
	s_load_dwordx4 s[12:15], s[4:5], 0x8
	s_andn2_b64 vcc, exec, s[2:3]
	s_cbranch_vccnz .LBB893_8
; %bb.6:
	s_add_u32 s0, s0, s10
	s_addc_u32 s1, s1, s11
	s_load_dword s10, s[0:1], 0x0
	s_branch .LBB893_9
.LBB893_7:
	s_mov_b64 s[12:13], 0
	s_branch .LBB893_2
.LBB893_8:
	s_mov_b32 s10, s6
.LBB893_9:
	s_load_dwordx4 s[16:19], s[4:5], 0x48
	v_and_b32_e32 v50, 15, v0
	s_movk_i32 s0, 0x100
	v_lshlrev_b32_e32 v6, 3, v50
	v_cmp_gt_u32_e32 vcc, s0, v0
	v_cmp_gt_u32_e64 s[0:1], 8, v50
	v_lshrrev_b32_e32 v49, 6, v0
	v_bfe_u32 v1, v0, 4, 2
	s_lshl_b32 s25, s8, 4
	s_and_b64 s[26:27], vcc, s[0:1]
	v_lshlrev_b32_e32 v46, 1, v6
	v_lshlrev_b32_e32 v47, 4, v0
	s_and_saveexec_b64 s[2:3], s[26:27]
	s_cbranch_execz .LBB893_11
; %bb.10:
	s_load_dwordx2 s[26:27], s[4:5], 0x0
	s_waitcnt lgkmcnt(0)
	s_ashr_i32 s11, s16, 31
	s_mul_hi_u32 s19, s10, s16
	s_mul_i32 s11, s10, s11
	v_lshl_or_b32 v10, v49, 2, v1
	s_add_i32 s11, s19, s11
	s_mul_i32 s10, s10, s16
	s_lshl_b64 s[10:11], s[10:11], 1
	v_add_lshl_u32 v6, v10, s25, 6
	s_add_u32 s10, s26, s10
	v_ashrrev_i32_e32 v7, 31, v6
	s_addc_u32 s11, s27, s11
	v_lshlrev_b64 v[6:7], 1, v[6:7]
	v_mov_b32_e32 v8, s11
	v_add_co_u32_e32 v6, vcc, s10, v6
	v_addc_co_u32_e32 v7, vcc, v8, v7, vcc
	v_add_co_u32_e32 v6, vcc, v6, v46
	v_addc_co_u32_e32 v7, vcc, 0, v7, vcc
	global_load_dwordx4 v[6:9], v[6:7], off
	v_lshlrev_b32_e32 v12, 8, v50
	v_lshlrev_b32_e32 v10, 5, v10
	v_and_b32_e32 v11, 16, v47
	v_and_b32_e32 v12, 0xe00, v12
	v_or3_b32 v10, v12, v10, v11
	s_waitcnt vmcnt(0)
	ds_write_b128 v10, v[6:9]
.LBB893_11:
	s_or_b64 exec, exec, s[2:3]
	s_waitcnt lgkmcnt(0)
	s_mul_i32 s8, s8, s18
	s_add_u32 s2, s12, s8
	s_addc_u32 s3, s13, 0
	v_and_b32_e32 v12, 48, v0
	s_ashr_i32 s10, s20, 31
	v_or_b32_e32 v13, s20, v12
	s_lshr_b32 s10, s10, 27
	v_add_u32_e32 v6, s10, v13
	v_ashrrev_i32_e32 v6, 5, v6
	v_mov_b32_e32 v14, s22
	v_cmp_gt_i32_e32 vcc, s33, v13
	v_cndmask_b32_e32 v6, v14, v6, vcc
	v_ashrrev_i32_e32 v7, 31, v6
	v_lshlrev_b64 v[6:7], 2, v[6:7]
	v_mov_b32_e32 v8, s21
	v_add_co_u32_e32 v6, vcc, s9, v6
	v_addc_co_u32_e32 v7, vcc, v8, v7, vcc
	v_or_b32_e32 v8, 64, v13
	v_add_u32_e32 v9, s10, v8
	v_ashrrev_i32_e32 v9, 5, v9
	v_cmp_gt_i32_e32 vcc, s33, v8
	v_cndmask_b32_e32 v8, v14, v9, vcc
	v_ashrrev_i32_e32 v9, 31, v8
	v_lshlrev_b64 v[8:9], 2, v[8:9]
	v_mov_b32_e32 v10, s21
	v_add_co_u32_e32 v8, vcc, s9, v8
	v_addc_co_u32_e32 v9, vcc, v10, v9, vcc
	v_or_b32_e32 v10, 0x80, v13
	v_add_u32_e32 v11, s10, v10
	v_ashrrev_i32_e32 v11, 5, v11
	v_cmp_gt_i32_e32 vcc, s33, v10
	v_cndmask_b32_e32 v10, v14, v11, vcc
	v_ashrrev_i32_e32 v11, 31, v10
	v_lshlrev_b64 v[10:11], 2, v[10:11]
	v_mov_b32_e32 v15, s21
	v_add_co_u32_e32 v10, vcc, s9, v10
	s_load_dwordx2 s[44:45], s[4:5], 0x94
	s_load_dwordx4 s[40:43], s[4:5], 0x80
	s_waitcnt lgkmcnt(0)
	s_barrier
	v_addc_co_u32_e32 v11, vcc, v15, v11, vcc
	global_load_dword v15, v[6:7], off
	global_load_dword v16, v[8:9], off
	;; [unrolled: 1-line block ×3, first 2 shown]
	v_or_b32_e32 v6, 0xc0, v13
	v_add_u32_e32 v7, s10, v6
	v_ashrrev_i32_e32 v7, 5, v7
	v_cmp_gt_i32_e32 vcc, s33, v6
	v_cndmask_b32_e32 v6, v14, v7, vcc
	v_ashrrev_i32_e32 v7, 31, v6
	v_lshlrev_b64 v[6:7], 2, v[6:7]
	v_mov_b32_e32 v8, s21
	v_add_co_u32_e32 v6, vcc, s9, v6
	v_addc_co_u32_e32 v7, vcc, v8, v7, vcc
	global_load_dword v20, v[6:7], off
	v_pk_mov_b32 v[6:7], s[2:3], s[2:3] op_sel:[0,1]
	s_waitcnt vmcnt(7)
	v_mad_i64_i32 v[8:9], s[2:3], v5, s17, v[6:7]
	v_lshlrev_b32_e32 v11, 4, v50
	v_add_co_u32_e32 v5, vcc, v8, v11
	v_lshlrev_b32_e32 v10, 5, v12
	v_addc_co_u32_e32 v9, vcc, 0, v9, vcc
	v_add_co_u32_e32 v8, vcc, v5, v10
	v_addc_co_u32_e32 v9, vcc, 0, v9, vcc
	s_waitcnt vmcnt(6)
	v_mad_i64_i32 v[4:5], s[2:3], v4, s17, v[6:7]
	v_or_b32_e32 v12, 0x100, v11
	v_add_co_u32_e32 v4, vcc, v4, v12
	v_addc_co_u32_e32 v5, vcc, 0, v5, vcc
	v_add_co_u32_e32 v4, vcc, v4, v10
	v_addc_co_u32_e32 v5, vcc, 0, v5, vcc
	global_load_dwordx4 v[30:33], v[8:9], off
	global_load_dwordx4 v[38:41], v[4:5], off
	s_waitcnt vmcnt(7)
	v_mad_i64_i32 v[4:5], s[2:3], v3, s17, v[6:7]
	v_add_co_u32_e32 v3, vcc, v4, v11
	v_addc_co_u32_e32 v5, vcc, 0, v5, vcc
	v_add_co_u32_e32 v4, vcc, v3, v10
	v_addc_co_u32_e32 v5, vcc, 0, v5, vcc
	s_waitcnt vmcnt(6)
	v_mad_i64_i32 v[2:3], s[2:3], v2, s17, v[6:7]
	v_add_co_u32_e32 v2, vcc, v2, v12
	v_addc_co_u32_e32 v3, vcc, 0, v3, vcc
	v_add_co_u32_e32 v2, vcc, v2, v10
	s_add_u32 s2, s14, s8
	v_addc_co_u32_e32 v3, vcc, 0, v3, vcc
	global_load_dwordx4 v[34:37], v[4:5], off
	global_load_dwordx4 v[22:25], v[2:3], off
	s_addc_u32 s3, s15, 0
	v_and_b32_e32 v2, 16, v0
	v_lshlrev_b32_e32 v51, 5, v50
	v_mov_b32_e32 v3, s3
	v_add_co_u32_e32 v2, vcc, s2, v2
	v_addc_co_u32_e32 v3, vcc, 0, v3, vcc
	v_lshl_or_b32 v4, v49, 9, v51
	v_add_co_u32_e32 v2, vcc, v2, v4
	v_addc_co_u32_e32 v3, vcc, 0, v3, vcc
	v_lshl_or_b32 v48, v1, 9, v51
	v_mov_b32_e32 v44, 0
	v_mov_b32_e32 v43, 0
	s_movk_i32 s8, 0x80
	s_waitcnt vmcnt(7)
	v_mad_i64_i32 v[4:5], s[2:3], v15, s17, v[2:3]
	s_waitcnt vmcnt(6)
	v_mad_i64_i32 v[6:7], s[2:3], v16, s17, v[2:3]
	;; [unrolled: 2-line block ×3, first 2 shown]
	global_load_dwordx4 v[14:17], v[4:5], off
	global_load_dwordx4 v[10:13], v[6:7], off
	s_waitcnt vmcnt(6)
	v_mad_i64_i32 v[20:21], s[2:3], v20, s17, v[2:3]
	global_load_dwordx4 v[6:9], v[18:19], off
	global_load_dwordx4 v[2:5], v[20:21], off
	ds_read_b128 v[26:29], v48
	ds_read_b128 v[18:21], v48 offset:16
	s_load_dword s12, s[40:41], 0x0
	s_waitcnt vmcnt(7)
	v_cmp_ne_u16_sdwa s[10:11], v30, v44 src0_sel:BYTE_0 src1_sel:DWORD
	s_and_saveexec_b64 s[2:3], s[10:11]
	s_cbranch_execz .LBB893_17
; %bb.12:
	v_cmp_ne_u16_sdwa s[10:11], v30, s8 src0_sel:BYTE_0 src1_sel:DWORD
	v_mov_b32_e32 v43, 0xffff8000
	s_and_saveexec_b64 s[8:9], s[10:11]
	s_cbranch_execz .LBB893_16
; %bb.13:
	s_movk_i32 s10, 0x7f
	v_and_b32_e32 v42, 0x7f, v30
	v_cmp_ne_u32_e32 vcc, s10, v42
	v_mov_b32_e32 v43, 0x7f80
	s_and_saveexec_b64 s[10:11], vcc
	s_cbranch_execz .LBB893_15
; %bb.14:
	v_and_b32_e32 v43, 7, v30
	v_ffbh_u32_e32 v52, v43
	v_min_u32_e32 v54, 32, v52
	v_subrev_u32_e32 v52, 28, v54
	v_lshlrev_b64 v[52:53], v52, v[30:31]
	v_lshrrev_b32_e32 v45, 3, v42
	v_sub_u32_e32 v53, 29, v54
	v_and_b32_e32 v52, 7, v52
	v_cmp_gt_u32_e32 vcc, 8, v42
	v_cndmask_b32_e32 v42, v45, v53, vcc
	v_cndmask_b32_e32 v43, v43, v52, vcc
	v_lshlrev_b32_e32 v45, 24, v30
	v_bfrev_b32_e32 v52, 60
	v_lshlrev_b32_e32 v43, 20, v43
	v_and_b32_e32 v45, 0x80000000, v45
	v_lshl_add_u32 v42, v42, 23, v52
	v_or3_b32 v42, v45, v42, v43
	v_lshrrev_b32_e32 v43, 16, v42
.LBB893_15:
	s_or_b64 exec, exec, s[10:11]
.LBB893_16:
	s_or_b64 exec, exec, s[8:9]
.LBB893_17:
	s_or_b64 exec, exec, s[2:3]
	v_lshrrev_b16_e32 v42, 8, v30
	v_cmp_ne_u16_e32 vcc, 0, v42
	s_and_saveexec_b64 s[2:3], vcc
	s_cbranch_execz .LBB893_23
; %bb.18:
	s_movk_i32 s8, 0x80
	v_cmp_ne_u16_e32 vcc, s8, v42
	v_mov_b32_e32 v44, 0xffff8000
	s_and_saveexec_b64 s[8:9], vcc
	s_cbranch_execz .LBB893_22
; %bb.19:
	s_movk_i32 s10, 0x7f
	v_and_b32_e32 v45, 0x7f, v42
	v_cmp_ne_u32_e32 vcc, s10, v45
	v_mov_b32_e32 v44, 0x7f80
	s_and_saveexec_b64 s[10:11], vcc
	s_cbranch_execz .LBB893_21
; %bb.20:
	v_and_b32_e32 v44, 7, v42
	v_ffbh_u32_e32 v52, v44
	v_min_u32_e32 v55, 32, v52
	v_subrev_u32_e32 v52, 28, v55
	v_lshlrev_b64 v[52:53], v52, v[42:43]
	v_lshrrev_b32_e32 v54, 3, v45
	v_sub_u32_e32 v42, 29, v55
	v_and_b32_e32 v52, 7, v52
	v_cmp_gt_u32_e32 vcc, 8, v45
	v_cndmask_b32_e32 v42, v54, v42, vcc
	v_cndmask_b32_e32 v44, v44, v52, vcc
	v_lshlrev_b32_e32 v45, 16, v30
	v_bfrev_b32_e32 v52, 60
	v_lshlrev_b32_e32 v44, 20, v44
	v_and_b32_e32 v45, 0x80000000, v45
	v_lshl_add_u32 v42, v42, 23, v52
	v_or3_b32 v42, v45, v42, v44
	v_lshrrev_b32_e32 v44, 16, v42
.LBB893_21:
	s_or_b64 exec, exec, s[10:11]
.LBB893_22:
	s_or_b64 exec, exec, s[8:9]
.LBB893_23:
	s_or_b64 exec, exec, s[2:3]
	s_movk_i32 s2, 0xff
	v_and_b32_sdwa v53, v30, s2 dst_sel:DWORD dst_unused:UNUSED_PAD src0_sel:WORD_1 src1_sel:DWORD
	v_lshrrev_b32_e32 v42, 16, v30
	v_cmp_ne_u16_e32 vcc, 0, v53
	v_mov_b32_e32 v45, 0
	v_mov_b32_e32 v52, 0
	s_and_saveexec_b64 s[2:3], vcc
	s_cbranch_execz .LBB893_29
; %bb.24:
	s_movk_i32 s8, 0x80
	v_cmp_ne_u16_e32 vcc, s8, v53
	v_mov_b32_e32 v52, 0xffff8000
	s_and_saveexec_b64 s[8:9], vcc
	s_cbranch_execz .LBB893_28
; %bb.25:
	v_bfe_u32 v53, v30, 16, 7
	s_movk_i32 s10, 0x7f
	v_cmp_ne_u32_e32 vcc, s10, v53
	v_mov_b32_e32 v52, 0x7f80
	s_and_saveexec_b64 s[10:11], vcc
	s_cbranch_execz .LBB893_27
; %bb.26:
	v_and_b32_e32 v52, 7, v42
	v_ffbh_u32_e32 v54, v52
	v_min_u32_e32 v57, 32, v54
	v_subrev_u32_e32 v54, 28, v57
	v_lshlrev_b64 v[54:55], v54, v[42:43]
	v_lshrrev_b32_e32 v56, 3, v53
	v_sub_u32_e32 v42, 29, v57
	v_and_b32_e32 v54, 7, v54
	v_cmp_gt_u32_e32 vcc, 8, v53
	v_mov_b32_e32 v53, 24
	v_cndmask_b32_e32 v42, v56, v42, vcc
	v_cndmask_b32_e32 v52, v52, v54, vcc
	v_lshlrev_b32_sdwa v53, v53, v30 dst_sel:DWORD dst_unused:UNUSED_PAD src0_sel:DWORD src1_sel:WORD_1
	v_bfrev_b32_e32 v54, 60
	v_lshlrev_b32_e32 v52, 20, v52
	v_and_b32_e32 v53, 0x80000000, v53
	v_lshl_add_u32 v42, v42, 23, v54
	v_or3_b32 v42, v53, v42, v52
	v_lshrrev_b32_e32 v52, 16, v42
.LBB893_27:
	s_or_b64 exec, exec, s[10:11]
.LBB893_28:
	s_or_b64 exec, exec, s[8:9]
.LBB893_29:
	s_or_b64 exec, exec, s[2:3]
	s_mov_b32 s2, 0xffffff
	v_cmp_lt_u32_e32 vcc, s2, v30
	s_and_saveexec_b64 s[2:3], vcc
	s_cbranch_execz .LBB893_35
; %bb.30:
	v_lshrrev_b32_e32 v42, 24, v30
	s_movk_i32 s8, 0x80
	v_cmp_ne_u32_e32 vcc, s8, v42
	v_mov_b32_e32 v45, 0xffff8000
	s_and_saveexec_b64 s[8:9], vcc
	s_cbranch_execz .LBB893_34
; %bb.31:
	v_bfe_u32 v30, v30, 24, 7
	s_movk_i32 s10, 0x7f
	v_cmp_ne_u32_e32 vcc, s10, v30
	v_mov_b32_e32 v45, 0x7f80
	s_and_saveexec_b64 s[10:11], vcc
	s_cbranch_execz .LBB893_33
; %bb.32:
	v_and_b32_e32 v45, 7, v42
	v_ffbh_u32_e32 v54, v45
	v_min_u32_e32 v56, 32, v54
	v_subrev_u32_e32 v54, 28, v56
	v_lshlrev_b64 v[54:55], v54, v[42:43]
	v_lshrrev_b32_e32 v53, 3, v30
	v_sub_u32_e32 v55, 29, v56
	v_and_b32_e32 v54, 7, v54
	v_cmp_gt_u32_e32 vcc, 8, v30
	v_cndmask_b32_e32 v30, v53, v55, vcc
	v_cndmask_b32_e32 v45, v45, v54, vcc
	v_lshlrev_b32_e32 v42, 24, v42
	v_bfrev_b32_e32 v53, 60
	v_lshlrev_b32_e32 v45, 20, v45
	v_and_b32_e32 v42, 0x80000000, v42
	v_lshl_add_u32 v30, v30, 23, v53
	v_or3_b32 v30, v42, v30, v45
	v_lshrrev_b32_e32 v45, 16, v30
.LBB893_33:
	s_or_b64 exec, exec, s[10:11]
.LBB893_34:
	s_or_b64 exec, exec, s[8:9]
.LBB893_35:
	s_or_b64 exec, exec, s[2:3]
	v_mov_b32_e32 v42, 0
	v_cmp_ne_u16_sdwa s[8:9], v31, v42 src0_sel:BYTE_0 src1_sel:DWORD
	v_mov_b32_e32 v53, 0
	s_and_saveexec_b64 s[2:3], s[8:9]
	s_cbranch_execz .LBB893_41
; %bb.36:
	s_movk_i32 s8, 0x80
	v_cmp_ne_u16_sdwa s[10:11], v31, s8 src0_sel:BYTE_0 src1_sel:DWORD
	v_mov_b32_e32 v53, 0xffff8000
	s_and_saveexec_b64 s[8:9], s[10:11]
	s_cbranch_execz .LBB893_40
; %bb.37:
	s_movk_i32 s10, 0x7f
	v_and_b32_e32 v30, 0x7f, v31
	v_cmp_ne_u32_e32 vcc, s10, v30
	v_mov_b32_e32 v53, 0x7f80
	s_and_saveexec_b64 s[10:11], vcc
	s_cbranch_execz .LBB893_39
; %bb.38:
	v_and_b32_e32 v53, 7, v31
	v_ffbh_u32_e32 v55, v53
	v_min_u32_e32 v57, 32, v55
	v_mov_b32_e32 v54, v31
	v_subrev_u32_e32 v55, 28, v57
	v_lshlrev_b64 v[54:55], v55, v[54:55]
	v_lshrrev_b32_e32 v56, 3, v30
	v_sub_u32_e32 v55, 29, v57
	v_and_b32_e32 v54, 7, v54
	v_cmp_gt_u32_e32 vcc, 8, v30
	v_cndmask_b32_e32 v30, v56, v55, vcc
	v_cndmask_b32_e32 v53, v53, v54, vcc
	v_lshlrev_b32_e32 v54, 24, v31
	v_bfrev_b32_e32 v55, 60
	v_lshlrev_b32_e32 v53, 20, v53
	v_and_b32_e32 v54, 0x80000000, v54
	v_lshl_add_u32 v30, v30, 23, v55
	v_or3_b32 v30, v54, v30, v53
	v_lshrrev_b32_e32 v53, 16, v30
.LBB893_39:
	s_or_b64 exec, exec, s[10:11]
.LBB893_40:
	s_or_b64 exec, exec, s[8:9]
.LBB893_41:
	s_or_b64 exec, exec, s[2:3]
	v_lshrrev_b16_e32 v30, 8, v31
	v_cmp_ne_u16_e32 vcc, 0, v30
	s_and_saveexec_b64 s[2:3], vcc
	s_cbranch_execz .LBB893_47
; %bb.42:
	s_movk_i32 s8, 0x80
	v_cmp_ne_u16_e32 vcc, s8, v30
	v_mov_b32_e32 v42, 0xffff8000
	s_and_saveexec_b64 s[8:9], vcc
	s_cbranch_execz .LBB893_46
; %bb.43:
	s_movk_i32 s10, 0x7f
	v_and_b32_e32 v54, 0x7f, v30
	v_cmp_ne_u32_e32 vcc, s10, v54
	v_mov_b32_e32 v42, 0x7f80
	s_and_saveexec_b64 s[10:11], vcc
	s_cbranch_execz .LBB893_45
; %bb.44:
	v_and_b32_e32 v42, 7, v30
	v_ffbh_u32_e32 v56, v42
	v_min_u32_e32 v58, 32, v56
	v_subrev_u32_e32 v56, 28, v58
	v_lshlrev_b64 v[56:57], v56, v[30:31]
	v_lshrrev_b32_e32 v55, 3, v54
	v_sub_u32_e32 v30, 29, v58
	v_and_b32_e32 v56, 7, v56
	v_cmp_gt_u32_e32 vcc, 8, v54
	v_cndmask_b32_e32 v30, v55, v30, vcc
	v_cndmask_b32_e32 v42, v42, v56, vcc
	v_lshlrev_b32_e32 v54, 16, v31
	v_bfrev_b32_e32 v55, 60
	v_lshlrev_b32_e32 v42, 20, v42
	v_and_b32_e32 v54, 0x80000000, v54
	v_lshl_add_u32 v30, v30, 23, v55
	v_or3_b32 v30, v54, v30, v42
	v_lshrrev_b32_e32 v42, 16, v30
.LBB893_45:
	s_or_b64 exec, exec, s[10:11]
.LBB893_46:
	s_or_b64 exec, exec, s[8:9]
.LBB893_47:
	s_or_b64 exec, exec, s[2:3]
	s_movk_i32 s2, 0xff
	v_and_b32_sdwa v56, v31, s2 dst_sel:DWORD dst_unused:UNUSED_PAD src0_sel:WORD_1 src1_sel:DWORD
	v_lshrrev_b32_e32 v30, 16, v31
	v_cmp_ne_u16_e32 vcc, 0, v56
	v_mov_b32_e32 v54, 0
	v_mov_b32_e32 v55, 0
	s_and_saveexec_b64 s[2:3], vcc
	s_cbranch_execz .LBB893_53
; %bb.48:
	s_movk_i32 s8, 0x80
	v_cmp_ne_u16_e32 vcc, s8, v56
	v_mov_b32_e32 v55, 0xffff8000
	s_and_saveexec_b64 s[8:9], vcc
	s_cbranch_execz .LBB893_52
; %bb.49:
	v_bfe_u32 v56, v31, 16, 7
	s_movk_i32 s10, 0x7f
	v_cmp_ne_u32_e32 vcc, s10, v56
	v_mov_b32_e32 v55, 0x7f80
	s_and_saveexec_b64 s[10:11], vcc
	s_cbranch_execz .LBB893_51
; %bb.50:
	v_and_b32_e32 v55, 7, v30
	v_ffbh_u32_e32 v58, v55
	v_min_u32_e32 v60, 32, v58
	v_subrev_u32_e32 v58, 28, v60
	v_lshlrev_b64 v[58:59], v58, v[30:31]
	v_lshrrev_b32_e32 v57, 3, v56
	v_sub_u32_e32 v30, 29, v60
	v_and_b32_e32 v58, 7, v58
	v_cmp_gt_u32_e32 vcc, 8, v56
	v_mov_b32_e32 v56, 24
	v_cndmask_b32_e32 v30, v57, v30, vcc
	v_cndmask_b32_e32 v55, v55, v58, vcc
	v_lshlrev_b32_sdwa v56, v56, v31 dst_sel:DWORD dst_unused:UNUSED_PAD src0_sel:DWORD src1_sel:WORD_1
	v_bfrev_b32_e32 v57, 60
	v_lshlrev_b32_e32 v55, 20, v55
	v_and_b32_e32 v56, 0x80000000, v56
	v_lshl_add_u32 v30, v30, 23, v57
	v_or3_b32 v30, v56, v30, v55
	v_lshrrev_b32_e32 v55, 16, v30
.LBB893_51:
	s_or_b64 exec, exec, s[10:11]
.LBB893_52:
	s_or_b64 exec, exec, s[8:9]
.LBB893_53:
	s_or_b64 exec, exec, s[2:3]
	s_mov_b32 s2, 0xffffff
	v_cmp_lt_u32_e32 vcc, s2, v31
	s_and_saveexec_b64 s[2:3], vcc
	s_cbranch_execz .LBB893_59
; %bb.54:
	v_lshrrev_b32_e32 v30, 24, v31
	s_movk_i32 s8, 0x80
	v_cmp_ne_u32_e32 vcc, s8, v30
	v_mov_b32_e32 v54, 0xffff8000
	s_and_saveexec_b64 s[8:9], vcc
	s_cbranch_execz .LBB893_58
; %bb.55:
	v_bfe_u32 v31, v31, 24, 7
	s_movk_i32 s10, 0x7f
	v_cmp_ne_u32_e32 vcc, s10, v31
	v_mov_b32_e32 v54, 0x7f80
	s_and_saveexec_b64 s[10:11], vcc
	s_cbranch_execz .LBB893_57
; %bb.56:
	v_and_b32_e32 v54, 7, v30
	v_ffbh_u32_e32 v56, v54
	v_min_u32_e32 v59, 32, v56
	v_subrev_u32_e32 v56, 28, v59
	v_lshlrev_b64 v[56:57], v56, v[30:31]
	v_lshrrev_b32_e32 v58, 3, v31
	v_sub_u32_e32 v57, 29, v59
	v_and_b32_e32 v56, 7, v56
	v_cmp_gt_u32_e32 vcc, 8, v31
	v_cndmask_b32_e32 v31, v58, v57, vcc
	v_cndmask_b32_e32 v54, v54, v56, vcc
	v_lshlrev_b32_e32 v30, 24, v30
	v_bfrev_b32_e32 v56, 60
	v_lshlrev_b32_e32 v54, 20, v54
	v_and_b32_e32 v30, 0x80000000, v30
	v_lshl_add_u32 v31, v31, 23, v56
	v_or3_b32 v30, v30, v31, v54
	v_lshrrev_b32_e32 v54, 16, v30
.LBB893_57:
	s_or_b64 exec, exec, s[10:11]
.LBB893_58:
	s_or_b64 exec, exec, s[8:9]
.LBB893_59:
	s_or_b64 exec, exec, s[2:3]
	s_mov_b32 s2, 0x5040100
	v_perm_b32 v31, v45, v52, s2
	v_perm_b32 v30, v44, v43, s2
	;; [unrolled: 1-line block ×4, first 2 shown]
	v_mov_b32_e32 v52, 0
	s_waitcnt lgkmcnt(0)
	v_mfma_f32_16x16x16bf16_1k v[56:59], v[30:31], v[26:27], 0
	v_mov_b32_e32 v31, 0
	v_cmp_ne_u16_sdwa s[8:9], v32, v31 src0_sel:BYTE_0 src1_sel:DWORD
	v_mfma_f32_16x16x16bf16_1k v[42:45], v[42:43], v[28:29], v[56:59]
	s_and_saveexec_b64 s[2:3], s[8:9]
	s_cbranch_execz .LBB893_65
; %bb.60:
	s_movk_i32 s8, 0x80
	v_cmp_ne_u16_sdwa s[10:11], v32, s8 src0_sel:BYTE_0 src1_sel:DWORD
	v_mov_b32_e32 v52, 0xffff8000
	s_and_saveexec_b64 s[8:9], s[10:11]
	s_cbranch_execz .LBB893_64
; %bb.61:
	s_movk_i32 s10, 0x7f
	v_and_b32_e32 v30, 0x7f, v32
	v_cmp_ne_u32_e32 vcc, s10, v30
	v_mov_b32_e32 v52, 0x7f80
	s_and_saveexec_b64 s[10:11], vcc
	s_cbranch_execz .LBB893_63
; %bb.62:
	v_and_b32_e32 v54, 7, v32
	v_ffbh_u32_e32 v52, v54
	v_min_u32_e32 v56, 32, v52
	v_subrev_u32_e32 v52, 28, v56
	v_lshlrev_b64 v[52:53], v52, v[32:33]
	v_lshrrev_b32_e32 v55, 3, v30
	v_sub_u32_e32 v53, 29, v56
	v_and_b32_e32 v52, 7, v52
	v_cmp_gt_u32_e32 vcc, 8, v30
	v_cndmask_b32_e32 v30, v55, v53, vcc
	v_cndmask_b32_e32 v52, v54, v52, vcc
	v_lshlrev_b32_e32 v53, 24, v32
	v_bfrev_b32_e32 v54, 60
	v_lshlrev_b32_e32 v52, 20, v52
	v_and_b32_e32 v53, 0x80000000, v53
	v_lshl_add_u32 v30, v30, 23, v54
	v_or3_b32 v30, v53, v30, v52
	v_lshrrev_b32_e32 v52, 16, v30
.LBB893_63:
	s_or_b64 exec, exec, s[10:11]
.LBB893_64:
	s_or_b64 exec, exec, s[8:9]
.LBB893_65:
	s_or_b64 exec, exec, s[2:3]
	v_lshrrev_b16_e32 v30, 8, v32
	v_cmp_ne_u16_e32 vcc, 0, v30
	s_and_saveexec_b64 s[2:3], vcc
	s_cbranch_execz .LBB893_71
; %bb.66:
	s_movk_i32 s8, 0x80
	v_cmp_ne_u16_e32 vcc, s8, v30
	v_mov_b32_e32 v31, 0xffff8000
	s_and_saveexec_b64 s[8:9], vcc
	s_cbranch_execz .LBB893_70
; %bb.67:
	s_movk_i32 s10, 0x7f
	v_and_b32_e32 v53, 0x7f, v30
	v_cmp_ne_u32_e32 vcc, s10, v53
	v_mov_b32_e32 v31, 0x7f80
	s_and_saveexec_b64 s[10:11], vcc
	s_cbranch_execz .LBB893_69
; %bb.68:
	v_and_b32_e32 v54, 7, v30
	v_ffbh_u32_e32 v31, v54
	v_min_u32_e32 v56, 32, v31
	v_subrev_u32_e32 v31, 28, v56
	v_lshlrev_b64 v[30:31], v31, v[30:31]
	v_lshrrev_b32_e32 v55, 3, v53
	v_sub_u32_e32 v31, 29, v56
	v_and_b32_e32 v30, 7, v30
	v_cmp_gt_u32_e32 vcc, 8, v53
	v_cndmask_b32_e32 v31, v55, v31, vcc
	v_cndmask_b32_e32 v30, v54, v30, vcc
	v_lshlrev_b32_e32 v53, 16, v32
	v_bfrev_b32_e32 v54, 60
	v_lshlrev_b32_e32 v30, 20, v30
	v_and_b32_e32 v53, 0x80000000, v53
	v_lshl_add_u32 v31, v31, 23, v54
	v_or3_b32 v30, v53, v31, v30
	v_lshrrev_b32_e32 v31, 16, v30
.LBB893_69:
	s_or_b64 exec, exec, s[10:11]
.LBB893_70:
	s_or_b64 exec, exec, s[8:9]
.LBB893_71:
	s_or_b64 exec, exec, s[2:3]
	s_movk_i32 s2, 0xff
	v_and_b32_sdwa v55, v32, s2 dst_sel:DWORD dst_unused:UNUSED_PAD src0_sel:WORD_1 src1_sel:DWORD
	v_lshrrev_b32_e32 v30, 16, v32
	v_cmp_ne_u16_e32 vcc, 0, v55
	v_mov_b32_e32 v53, 0
	v_mov_b32_e32 v54, 0
	s_and_saveexec_b64 s[2:3], vcc
	s_cbranch_execz .LBB893_77
; %bb.72:
	s_movk_i32 s8, 0x80
	v_cmp_ne_u16_e32 vcc, s8, v55
	v_mov_b32_e32 v54, 0xffff8000
	s_and_saveexec_b64 s[8:9], vcc
	s_cbranch_execz .LBB893_76
; %bb.73:
	v_bfe_u32 v55, v32, 16, 7
	s_movk_i32 s10, 0x7f
	v_cmp_ne_u32_e32 vcc, s10, v55
	v_mov_b32_e32 v54, 0x7f80
	s_and_saveexec_b64 s[10:11], vcc
	s_cbranch_execz .LBB893_75
; %bb.74:
	v_and_b32_e32 v54, 7, v30
	v_ffbh_u32_e32 v56, v54
	v_min_u32_e32 v59, 32, v56
	v_subrev_u32_e32 v56, 28, v59
	v_lshlrev_b64 v[56:57], v56, v[30:31]
	v_lshrrev_b32_e32 v58, 3, v55
	v_sub_u32_e32 v30, 29, v59
	v_and_b32_e32 v56, 7, v56
	v_cmp_gt_u32_e32 vcc, 8, v55
	v_mov_b32_e32 v55, 24
	v_cndmask_b32_e32 v30, v58, v30, vcc
	v_cndmask_b32_e32 v54, v54, v56, vcc
	v_lshlrev_b32_sdwa v55, v55, v32 dst_sel:DWORD dst_unused:UNUSED_PAD src0_sel:DWORD src1_sel:WORD_1
	v_bfrev_b32_e32 v56, 60
	v_lshlrev_b32_e32 v54, 20, v54
	v_and_b32_e32 v55, 0x80000000, v55
	v_lshl_add_u32 v30, v30, 23, v56
	v_or3_b32 v30, v55, v30, v54
	v_lshrrev_b32_e32 v54, 16, v30
.LBB893_75:
	s_or_b64 exec, exec, s[10:11]
.LBB893_76:
	s_or_b64 exec, exec, s[8:9]
.LBB893_77:
	s_or_b64 exec, exec, s[2:3]
	s_mov_b32 s2, 0xffffff
	v_cmp_lt_u32_e32 vcc, s2, v32
	s_and_saveexec_b64 s[2:3], vcc
	s_cbranch_execz .LBB893_83
; %bb.78:
	v_lshrrev_b32_e32 v30, 24, v32
	s_movk_i32 s8, 0x80
	v_cmp_ne_u32_e32 vcc, s8, v30
	v_mov_b32_e32 v53, 0xffff8000
	s_and_saveexec_b64 s[8:9], vcc
	s_cbranch_execz .LBB893_82
; %bb.79:
	v_bfe_u32 v32, v32, 24, 7
	s_movk_i32 s10, 0x7f
	v_cmp_ne_u32_e32 vcc, s10, v32
	v_mov_b32_e32 v53, 0x7f80
	s_and_saveexec_b64 s[10:11], vcc
	s_cbranch_execz .LBB893_81
; %bb.80:
	v_and_b32_e32 v53, 7, v30
	v_ffbh_u32_e32 v56, v53
	v_min_u32_e32 v58, 32, v56
	v_subrev_u32_e32 v56, 28, v58
	v_lshlrev_b64 v[56:57], v56, v[30:31]
	v_lshrrev_b32_e32 v55, 3, v32
	v_sub_u32_e32 v57, 29, v58
	v_and_b32_e32 v56, 7, v56
	v_cmp_gt_u32_e32 vcc, 8, v32
	v_cndmask_b32_e32 v32, v55, v57, vcc
	v_cndmask_b32_e32 v53, v53, v56, vcc
	v_lshlrev_b32_e32 v30, 24, v30
	v_bfrev_b32_e32 v55, 60
	v_lshlrev_b32_e32 v53, 20, v53
	v_and_b32_e32 v30, 0x80000000, v30
	v_lshl_add_u32 v32, v32, 23, v55
	v_or3_b32 v30, v30, v32, v53
	v_lshrrev_b32_e32 v53, 16, v30
.LBB893_81:
	s_or_b64 exec, exec, s[10:11]
.LBB893_82:
	s_or_b64 exec, exec, s[8:9]
.LBB893_83:
	s_or_b64 exec, exec, s[2:3]
	v_mov_b32_e32 v32, 0
	v_cmp_ne_u16_sdwa s[8:9], v33, v32 src0_sel:BYTE_0 src1_sel:DWORD
	v_mov_b32_e32 v55, 0
	s_and_saveexec_b64 s[2:3], s[8:9]
	s_cbranch_execz .LBB893_89
; %bb.84:
	s_movk_i32 s8, 0x80
	v_cmp_ne_u16_sdwa s[10:11], v33, s8 src0_sel:BYTE_0 src1_sel:DWORD
	v_mov_b32_e32 v55, 0xffff8000
	s_and_saveexec_b64 s[8:9], s[10:11]
	s_cbranch_execz .LBB893_88
; %bb.85:
	s_movk_i32 s10, 0x7f
	v_and_b32_e32 v30, 0x7f, v33
	v_cmp_ne_u32_e32 vcc, s10, v30
	v_mov_b32_e32 v55, 0x7f80
	s_and_saveexec_b64 s[10:11], vcc
	s_cbranch_execz .LBB893_87
; %bb.86:
	v_and_b32_e32 v55, 7, v33
	v_ffbh_u32_e32 v57, v55
	v_min_u32_e32 v59, 32, v57
	v_mov_b32_e32 v56, v33
	v_subrev_u32_e32 v57, 28, v59
	v_lshlrev_b64 v[56:57], v57, v[56:57]
	v_lshrrev_b32_e32 v58, 3, v30
	v_sub_u32_e32 v57, 29, v59
	v_and_b32_e32 v56, 7, v56
	v_cmp_gt_u32_e32 vcc, 8, v30
	v_cndmask_b32_e32 v30, v58, v57, vcc
	v_cndmask_b32_e32 v55, v55, v56, vcc
	v_lshlrev_b32_e32 v56, 24, v33
	v_bfrev_b32_e32 v57, 60
	v_lshlrev_b32_e32 v55, 20, v55
	v_and_b32_e32 v56, 0x80000000, v56
	v_lshl_add_u32 v30, v30, 23, v57
	v_or3_b32 v30, v56, v30, v55
	v_lshrrev_b32_e32 v55, 16, v30
.LBB893_87:
	s_or_b64 exec, exec, s[10:11]
.LBB893_88:
	s_or_b64 exec, exec, s[8:9]
.LBB893_89:
	s_or_b64 exec, exec, s[2:3]
	v_lshrrev_b16_e32 v30, 8, v33
	v_cmp_ne_u16_e32 vcc, 0, v30
	s_and_saveexec_b64 s[2:3], vcc
	s_cbranch_execz .LBB893_95
; %bb.90:
	s_movk_i32 s8, 0x80
	v_cmp_ne_u16_e32 vcc, s8, v30
	v_mov_b32_e32 v32, 0xffff8000
	s_and_saveexec_b64 s[8:9], vcc
	s_cbranch_execz .LBB893_94
; %bb.91:
	s_movk_i32 s10, 0x7f
	v_and_b32_e32 v56, 0x7f, v30
	v_cmp_ne_u32_e32 vcc, s10, v56
	v_mov_b32_e32 v32, 0x7f80
	s_and_saveexec_b64 s[10:11], vcc
	s_cbranch_execz .LBB893_93
; %bb.92:
	v_and_b32_e32 v32, 7, v30
	v_ffbh_u32_e32 v58, v32
	v_min_u32_e32 v60, 32, v58
	v_subrev_u32_e32 v58, 28, v60
	v_lshlrev_b64 v[58:59], v58, v[30:31]
	v_lshrrev_b32_e32 v57, 3, v56
	v_sub_u32_e32 v30, 29, v60
	v_and_b32_e32 v58, 7, v58
	v_cmp_gt_u32_e32 vcc, 8, v56
	v_cndmask_b32_e32 v30, v57, v30, vcc
	v_cndmask_b32_e32 v32, v32, v58, vcc
	v_lshlrev_b32_e32 v56, 16, v33
	v_bfrev_b32_e32 v57, 60
	v_lshlrev_b32_e32 v32, 20, v32
	v_and_b32_e32 v56, 0x80000000, v56
	v_lshl_add_u32 v30, v30, 23, v57
	v_or3_b32 v30, v56, v30, v32
	v_lshrrev_b32_e32 v32, 16, v30
.LBB893_93:
	s_or_b64 exec, exec, s[10:11]
.LBB893_94:
	s_or_b64 exec, exec, s[8:9]
.LBB893_95:
	s_or_b64 exec, exec, s[2:3]
	s_movk_i32 s2, 0xff
	v_and_b32_sdwa v58, v33, s2 dst_sel:DWORD dst_unused:UNUSED_PAD src0_sel:WORD_1 src1_sel:DWORD
	v_lshrrev_b32_e32 v30, 16, v33
	v_cmp_ne_u16_e32 vcc, 0, v58
	v_mov_b32_e32 v56, 0
	v_mov_b32_e32 v57, 0
	s_and_saveexec_b64 s[2:3], vcc
	s_cbranch_execz .LBB893_101
; %bb.96:
	s_movk_i32 s8, 0x80
	v_cmp_ne_u16_e32 vcc, s8, v58
	v_mov_b32_e32 v57, 0xffff8000
	s_and_saveexec_b64 s[8:9], vcc
	s_cbranch_execz .LBB893_100
; %bb.97:
	v_bfe_u32 v58, v33, 16, 7
	s_movk_i32 s10, 0x7f
	v_cmp_ne_u32_e32 vcc, s10, v58
	v_mov_b32_e32 v57, 0x7f80
	s_and_saveexec_b64 s[10:11], vcc
	s_cbranch_execz .LBB893_99
; %bb.98:
	v_and_b32_e32 v57, 7, v30
	v_ffbh_u32_e32 v60, v57
	v_min_u32_e32 v62, 32, v60
	v_subrev_u32_e32 v60, 28, v62
	v_lshlrev_b64 v[60:61], v60, v[30:31]
	v_lshrrev_b32_e32 v59, 3, v58
	v_sub_u32_e32 v30, 29, v62
	v_and_b32_e32 v60, 7, v60
	v_cmp_gt_u32_e32 vcc, 8, v58
	v_mov_b32_e32 v58, 24
	v_cndmask_b32_e32 v30, v59, v30, vcc
	v_cndmask_b32_e32 v57, v57, v60, vcc
	v_lshlrev_b32_sdwa v58, v58, v33 dst_sel:DWORD dst_unused:UNUSED_PAD src0_sel:DWORD src1_sel:WORD_1
	v_bfrev_b32_e32 v59, 60
	v_lshlrev_b32_e32 v57, 20, v57
	v_and_b32_e32 v58, 0x80000000, v58
	v_lshl_add_u32 v30, v30, 23, v59
	v_or3_b32 v30, v58, v30, v57
	v_lshrrev_b32_e32 v57, 16, v30
.LBB893_99:
	s_or_b64 exec, exec, s[10:11]
.LBB893_100:
	s_or_b64 exec, exec, s[8:9]
.LBB893_101:
	s_or_b64 exec, exec, s[2:3]
	s_mov_b32 s2, 0xffffff
	v_cmp_lt_u32_e32 vcc, s2, v33
	s_and_saveexec_b64 s[2:3], vcc
	s_cbranch_execz .LBB893_107
; %bb.102:
	v_lshrrev_b32_e32 v30, 24, v33
	s_movk_i32 s8, 0x80
	v_cmp_ne_u32_e32 vcc, s8, v30
	v_mov_b32_e32 v56, 0xffff8000
	s_and_saveexec_b64 s[8:9], vcc
	s_cbranch_execz .LBB893_106
; %bb.103:
	v_bfe_u32 v33, v33, 24, 7
	s_movk_i32 s10, 0x7f
	v_cmp_ne_u32_e32 vcc, s10, v33
	v_mov_b32_e32 v56, 0x7f80
	s_and_saveexec_b64 s[10:11], vcc
	s_cbranch_execz .LBB893_105
; %bb.104:
	v_and_b32_e32 v56, 7, v30
	v_ffbh_u32_e32 v58, v56
	v_min_u32_e32 v61, 32, v58
	v_subrev_u32_e32 v58, 28, v61
	v_lshlrev_b64 v[58:59], v58, v[30:31]
	v_lshrrev_b32_e32 v60, 3, v33
	v_sub_u32_e32 v59, 29, v61
	v_and_b32_e32 v58, 7, v58
	v_cmp_gt_u32_e32 vcc, 8, v33
	v_cndmask_b32_e32 v33, v60, v59, vcc
	v_cndmask_b32_e32 v56, v56, v58, vcc
	v_lshlrev_b32_e32 v30, 24, v30
	v_bfrev_b32_e32 v58, 60
	v_lshlrev_b32_e32 v56, 20, v56
	v_and_b32_e32 v30, 0x80000000, v30
	v_lshl_add_u32 v33, v33, 23, v58
	v_or3_b32 v30, v30, v33, v56
	v_lshrrev_b32_e32 v56, 16, v30
.LBB893_105:
	s_or_b64 exec, exec, s[10:11]
.LBB893_106:
	s_or_b64 exec, exec, s[8:9]
.LBB893_107:
	s_or_b64 exec, exec, s[2:3]
	s_mov_b32 s2, 0x5040100
	v_perm_b32 v53, v53, v54, s2
	v_perm_b32 v52, v31, v52, s2
	;; [unrolled: 1-line block ×4, first 2 shown]
	v_mfma_f32_16x16x16bf16_1k v[58:61], v[52:53], v[18:19], v[42:45]
	s_nop 6
	v_mov_b32_e32 v43, 0
	s_waitcnt vmcnt(6)
	v_cmp_ne_u16_sdwa s[8:9], v38, v43 src0_sel:BYTE_0 src1_sel:DWORD
	v_mfma_f32_16x16x16bf16_1k v[30:33], v[30:31], v[20:21], v[58:61]
	v_mov_b32_e32 v44, 0
	s_and_saveexec_b64 s[2:3], s[8:9]
	s_cbranch_execz .LBB893_113
; %bb.108:
	s_movk_i32 s8, 0x80
	v_cmp_ne_u16_sdwa s[10:11], v38, s8 src0_sel:BYTE_0 src1_sel:DWORD
	v_mov_b32_e32 v44, 0xffff8000
	s_and_saveexec_b64 s[8:9], s[10:11]
	s_cbranch_execz .LBB893_112
; %bb.109:
	s_movk_i32 s10, 0x7f
	v_and_b32_e32 v42, 0x7f, v38
	v_cmp_ne_u32_e32 vcc, s10, v42
	v_mov_b32_e32 v44, 0x7f80
	s_and_saveexec_b64 s[10:11], vcc
	s_cbranch_execz .LBB893_111
; %bb.110:
	v_and_b32_e32 v52, 7, v38
	v_ffbh_u32_e32 v44, v52
	v_min_u32_e32 v54, 32, v44
	v_subrev_u32_e32 v44, 28, v54
	v_lshlrev_b64 v[44:45], v44, v[38:39]
	v_lshrrev_b32_e32 v53, 3, v42
	v_sub_u32_e32 v45, 29, v54
	v_and_b32_e32 v44, 7, v44
	v_cmp_gt_u32_e32 vcc, 8, v42
	v_cndmask_b32_e32 v42, v53, v45, vcc
	v_cndmask_b32_e32 v44, v52, v44, vcc
	v_lshlrev_b32_e32 v45, 24, v38
	v_bfrev_b32_e32 v52, 60
	v_lshlrev_b32_e32 v44, 20, v44
	v_and_b32_e32 v45, 0x80000000, v45
	v_lshl_add_u32 v42, v42, 23, v52
	v_or3_b32 v42, v45, v42, v44
	v_lshrrev_b32_e32 v44, 16, v42
.LBB893_111:
	s_or_b64 exec, exec, s[10:11]
.LBB893_112:
	s_or_b64 exec, exec, s[8:9]
.LBB893_113:
	s_or_b64 exec, exec, s[2:3]
	v_lshrrev_b16_e32 v42, 8, v38
	v_cmp_ne_u16_e32 vcc, 0, v42
	s_and_saveexec_b64 s[2:3], vcc
	s_cbranch_execz .LBB893_119
; %bb.114:
	s_movk_i32 s8, 0x80
	v_cmp_ne_u16_e32 vcc, s8, v42
	v_mov_b32_e32 v43, 0xffff8000
	s_and_saveexec_b64 s[8:9], vcc
	s_cbranch_execz .LBB893_118
; %bb.115:
	s_movk_i32 s10, 0x7f
	v_and_b32_e32 v45, 0x7f, v42
	v_cmp_ne_u32_e32 vcc, s10, v45
	v_mov_b32_e32 v43, 0x7f80
	s_and_saveexec_b64 s[10:11], vcc
	s_cbranch_execz .LBB893_117
; %bb.116:
	v_and_b32_e32 v52, 7, v42
	v_ffbh_u32_e32 v43, v52
	v_min_u32_e32 v54, 32, v43
	v_subrev_u32_e32 v43, 28, v54
	v_lshlrev_b64 v[42:43], v43, v[42:43]
	v_lshrrev_b32_e32 v53, 3, v45
	v_sub_u32_e32 v43, 29, v54
	v_and_b32_e32 v42, 7, v42
	v_cmp_gt_u32_e32 vcc, 8, v45
	v_cndmask_b32_e32 v43, v53, v43, vcc
	v_cndmask_b32_e32 v42, v52, v42, vcc
	v_lshlrev_b32_e32 v45, 16, v38
	v_bfrev_b32_e32 v52, 60
	v_lshlrev_b32_e32 v42, 20, v42
	v_and_b32_e32 v45, 0x80000000, v45
	v_lshl_add_u32 v43, v43, 23, v52
	v_or3_b32 v42, v45, v43, v42
	v_lshrrev_b32_e32 v43, 16, v42
.LBB893_117:
	s_or_b64 exec, exec, s[10:11]
.LBB893_118:
	s_or_b64 exec, exec, s[8:9]
.LBB893_119:
	s_or_b64 exec, exec, s[2:3]
	s_movk_i32 s2, 0xff
	v_and_b32_sdwa v53, v38, s2 dst_sel:DWORD dst_unused:UNUSED_PAD src0_sel:WORD_1 src1_sel:DWORD
	v_lshrrev_b32_e32 v42, 16, v38
	v_cmp_ne_u16_e32 vcc, 0, v53
	v_mov_b32_e32 v45, 0
	v_mov_b32_e32 v52, 0
	s_and_saveexec_b64 s[2:3], vcc
	s_cbranch_execz .LBB893_125
; %bb.120:
	s_movk_i32 s8, 0x80
	v_cmp_ne_u16_e32 vcc, s8, v53
	v_mov_b32_e32 v52, 0xffff8000
	s_and_saveexec_b64 s[8:9], vcc
	s_cbranch_execz .LBB893_124
; %bb.121:
	v_bfe_u32 v53, v38, 16, 7
	s_movk_i32 s10, 0x7f
	v_cmp_ne_u32_e32 vcc, s10, v53
	v_mov_b32_e32 v52, 0x7f80
	s_and_saveexec_b64 s[10:11], vcc
	s_cbranch_execz .LBB893_123
; %bb.122:
	v_and_b32_e32 v52, 7, v42
	v_ffbh_u32_e32 v54, v52
	v_min_u32_e32 v57, 32, v54
	v_subrev_u32_e32 v54, 28, v57
	v_lshlrev_b64 v[54:55], v54, v[42:43]
	v_lshrrev_b32_e32 v56, 3, v53
	v_sub_u32_e32 v42, 29, v57
	v_and_b32_e32 v54, 7, v54
	v_cmp_gt_u32_e32 vcc, 8, v53
	v_mov_b32_e32 v53, 24
	v_cndmask_b32_e32 v42, v56, v42, vcc
	v_cndmask_b32_e32 v52, v52, v54, vcc
	v_lshlrev_b32_sdwa v53, v53, v38 dst_sel:DWORD dst_unused:UNUSED_PAD src0_sel:DWORD src1_sel:WORD_1
	v_bfrev_b32_e32 v54, 60
	v_lshlrev_b32_e32 v52, 20, v52
	v_and_b32_e32 v53, 0x80000000, v53
	v_lshl_add_u32 v42, v42, 23, v54
	v_or3_b32 v42, v53, v42, v52
	v_lshrrev_b32_e32 v52, 16, v42
.LBB893_123:
	s_or_b64 exec, exec, s[10:11]
.LBB893_124:
	s_or_b64 exec, exec, s[8:9]
.LBB893_125:
	s_or_b64 exec, exec, s[2:3]
	s_mov_b32 s2, 0xffffff
	v_cmp_lt_u32_e32 vcc, s2, v38
	s_and_saveexec_b64 s[2:3], vcc
	s_cbranch_execz .LBB893_131
; %bb.126:
	v_lshrrev_b32_e32 v42, 24, v38
	s_movk_i32 s8, 0x80
	v_cmp_ne_u32_e32 vcc, s8, v42
	v_mov_b32_e32 v45, 0xffff8000
	s_and_saveexec_b64 s[8:9], vcc
	s_cbranch_execz .LBB893_130
; %bb.127:
	v_bfe_u32 v38, v38, 24, 7
	s_movk_i32 s10, 0x7f
	v_cmp_ne_u32_e32 vcc, s10, v38
	v_mov_b32_e32 v45, 0x7f80
	s_and_saveexec_b64 s[10:11], vcc
	s_cbranch_execz .LBB893_129
; %bb.128:
	v_and_b32_e32 v45, 7, v42
	v_ffbh_u32_e32 v54, v45
	v_min_u32_e32 v56, 32, v54
	v_subrev_u32_e32 v54, 28, v56
	v_lshlrev_b64 v[54:55], v54, v[42:43]
	v_lshrrev_b32_e32 v53, 3, v38
	v_sub_u32_e32 v55, 29, v56
	v_and_b32_e32 v54, 7, v54
	v_cmp_gt_u32_e32 vcc, 8, v38
	v_cndmask_b32_e32 v38, v53, v55, vcc
	v_cndmask_b32_e32 v45, v45, v54, vcc
	v_lshlrev_b32_e32 v42, 24, v42
	v_bfrev_b32_e32 v53, 60
	v_lshlrev_b32_e32 v45, 20, v45
	v_and_b32_e32 v42, 0x80000000, v42
	v_lshl_add_u32 v38, v38, 23, v53
	v_or3_b32 v38, v42, v38, v45
	v_lshrrev_b32_e32 v45, 16, v38
.LBB893_129:
	s_or_b64 exec, exec, s[10:11]
.LBB893_130:
	s_or_b64 exec, exec, s[8:9]
.LBB893_131:
	s_or_b64 exec, exec, s[2:3]
	v_mov_b32_e32 v42, 0
	v_cmp_ne_u16_sdwa s[8:9], v39, v42 src0_sel:BYTE_0 src1_sel:DWORD
	v_mov_b32_e32 v53, 0
	s_and_saveexec_b64 s[2:3], s[8:9]
	s_cbranch_execz .LBB893_137
; %bb.132:
	s_movk_i32 s8, 0x80
	v_cmp_ne_u16_sdwa s[10:11], v39, s8 src0_sel:BYTE_0 src1_sel:DWORD
	v_mov_b32_e32 v53, 0xffff8000
	s_and_saveexec_b64 s[8:9], s[10:11]
	s_cbranch_execz .LBB893_136
; %bb.133:
	s_movk_i32 s10, 0x7f
	v_and_b32_e32 v38, 0x7f, v39
	v_cmp_ne_u32_e32 vcc, s10, v38
	v_mov_b32_e32 v53, 0x7f80
	s_and_saveexec_b64 s[10:11], vcc
	s_cbranch_execz .LBB893_135
; %bb.134:
	v_and_b32_e32 v53, 7, v39
	v_ffbh_u32_e32 v55, v53
	v_min_u32_e32 v57, 32, v55
	v_mov_b32_e32 v54, v39
	v_subrev_u32_e32 v55, 28, v57
	v_lshlrev_b64 v[54:55], v55, v[54:55]
	v_lshrrev_b32_e32 v56, 3, v38
	v_sub_u32_e32 v55, 29, v57
	v_and_b32_e32 v54, 7, v54
	v_cmp_gt_u32_e32 vcc, 8, v38
	v_cndmask_b32_e32 v38, v56, v55, vcc
	v_cndmask_b32_e32 v53, v53, v54, vcc
	v_lshlrev_b32_e32 v54, 24, v39
	v_bfrev_b32_e32 v55, 60
	v_lshlrev_b32_e32 v53, 20, v53
	v_and_b32_e32 v54, 0x80000000, v54
	v_lshl_add_u32 v38, v38, 23, v55
	v_or3_b32 v38, v54, v38, v53
	v_lshrrev_b32_e32 v53, 16, v38
.LBB893_135:
	s_or_b64 exec, exec, s[10:11]
.LBB893_136:
	s_or_b64 exec, exec, s[8:9]
.LBB893_137:
	s_or_b64 exec, exec, s[2:3]
	v_lshrrev_b16_e32 v38, 8, v39
	v_cmp_ne_u16_e32 vcc, 0, v38
	s_and_saveexec_b64 s[2:3], vcc
	s_cbranch_execz .LBB893_143
; %bb.138:
	s_movk_i32 s8, 0x80
	v_cmp_ne_u16_e32 vcc, s8, v38
	v_mov_b32_e32 v42, 0xffff8000
	s_and_saveexec_b64 s[8:9], vcc
	s_cbranch_execz .LBB893_142
; %bb.139:
	s_movk_i32 s10, 0x7f
	v_and_b32_e32 v54, 0x7f, v38
	v_cmp_ne_u32_e32 vcc, s10, v54
	v_mov_b32_e32 v42, 0x7f80
	s_and_saveexec_b64 s[10:11], vcc
	s_cbranch_execz .LBB893_141
; %bb.140:
	v_and_b32_e32 v42, 7, v38
	v_ffbh_u32_e32 v56, v42
	v_min_u32_e32 v58, 32, v56
	v_subrev_u32_e32 v56, 28, v58
	v_lshlrev_b64 v[56:57], v56, v[38:39]
	v_lshrrev_b32_e32 v55, 3, v54
	v_sub_u32_e32 v38, 29, v58
	v_and_b32_e32 v56, 7, v56
	v_cmp_gt_u32_e32 vcc, 8, v54
	v_cndmask_b32_e32 v38, v55, v38, vcc
	v_cndmask_b32_e32 v42, v42, v56, vcc
	v_lshlrev_b32_e32 v54, 16, v39
	v_bfrev_b32_e32 v55, 60
	v_lshlrev_b32_e32 v42, 20, v42
	v_and_b32_e32 v54, 0x80000000, v54
	v_lshl_add_u32 v38, v38, 23, v55
	v_or3_b32 v38, v54, v38, v42
	v_lshrrev_b32_e32 v42, 16, v38
.LBB893_141:
	s_or_b64 exec, exec, s[10:11]
.LBB893_142:
	s_or_b64 exec, exec, s[8:9]
.LBB893_143:
	s_or_b64 exec, exec, s[2:3]
	s_movk_i32 s2, 0xff
	v_and_b32_sdwa v56, v39, s2 dst_sel:DWORD dst_unused:UNUSED_PAD src0_sel:WORD_1 src1_sel:DWORD
	v_lshrrev_b32_e32 v38, 16, v39
	v_cmp_ne_u16_e32 vcc, 0, v56
	v_mov_b32_e32 v54, 0
	v_mov_b32_e32 v55, 0
	s_and_saveexec_b64 s[2:3], vcc
	s_cbranch_execz .LBB893_149
; %bb.144:
	s_movk_i32 s8, 0x80
	v_cmp_ne_u16_e32 vcc, s8, v56
	v_mov_b32_e32 v55, 0xffff8000
	s_and_saveexec_b64 s[8:9], vcc
	s_cbranch_execz .LBB893_148
; %bb.145:
	v_bfe_u32 v56, v39, 16, 7
	s_movk_i32 s10, 0x7f
	v_cmp_ne_u32_e32 vcc, s10, v56
	v_mov_b32_e32 v55, 0x7f80
	s_and_saveexec_b64 s[10:11], vcc
	s_cbranch_execz .LBB893_147
; %bb.146:
	v_and_b32_e32 v55, 7, v38
	v_ffbh_u32_e32 v58, v55
	v_min_u32_e32 v60, 32, v58
	v_subrev_u32_e32 v58, 28, v60
	v_lshlrev_b64 v[58:59], v58, v[38:39]
	v_lshrrev_b32_e32 v57, 3, v56
	v_sub_u32_e32 v38, 29, v60
	v_and_b32_e32 v58, 7, v58
	v_cmp_gt_u32_e32 vcc, 8, v56
	v_mov_b32_e32 v56, 24
	v_cndmask_b32_e32 v38, v57, v38, vcc
	v_cndmask_b32_e32 v55, v55, v58, vcc
	v_lshlrev_b32_sdwa v56, v56, v39 dst_sel:DWORD dst_unused:UNUSED_PAD src0_sel:DWORD src1_sel:WORD_1
	v_bfrev_b32_e32 v57, 60
	v_lshlrev_b32_e32 v55, 20, v55
	v_and_b32_e32 v56, 0x80000000, v56
	v_lshl_add_u32 v38, v38, 23, v57
	v_or3_b32 v38, v56, v38, v55
	v_lshrrev_b32_e32 v55, 16, v38
.LBB893_147:
	s_or_b64 exec, exec, s[10:11]
.LBB893_148:
	s_or_b64 exec, exec, s[8:9]
.LBB893_149:
	s_or_b64 exec, exec, s[2:3]
	s_mov_b32 s2, 0xffffff
	v_cmp_lt_u32_e32 vcc, s2, v39
	s_and_saveexec_b64 s[2:3], vcc
	s_cbranch_execz .LBB893_155
; %bb.150:
	v_lshrrev_b32_e32 v38, 24, v39
	s_movk_i32 s8, 0x80
	v_cmp_ne_u32_e32 vcc, s8, v38
	v_mov_b32_e32 v54, 0xffff8000
	s_and_saveexec_b64 s[8:9], vcc
	s_cbranch_execz .LBB893_154
; %bb.151:
	v_bfe_u32 v39, v39, 24, 7
	s_movk_i32 s10, 0x7f
	v_cmp_ne_u32_e32 vcc, s10, v39
	v_mov_b32_e32 v54, 0x7f80
	s_and_saveexec_b64 s[10:11], vcc
	s_cbranch_execz .LBB893_153
; %bb.152:
	v_and_b32_e32 v54, 7, v38
	v_ffbh_u32_e32 v56, v54
	v_min_u32_e32 v59, 32, v56
	v_subrev_u32_e32 v56, 28, v59
	v_lshlrev_b64 v[56:57], v56, v[38:39]
	v_lshrrev_b32_e32 v58, 3, v39
	v_sub_u32_e32 v57, 29, v59
	v_and_b32_e32 v56, 7, v56
	v_cmp_gt_u32_e32 vcc, 8, v39
	v_cndmask_b32_e32 v39, v58, v57, vcc
	v_cndmask_b32_e32 v54, v54, v56, vcc
	v_lshlrev_b32_e32 v38, 24, v38
	v_bfrev_b32_e32 v56, 60
	v_lshlrev_b32_e32 v54, 20, v54
	v_and_b32_e32 v38, 0x80000000, v38
	v_lshl_add_u32 v39, v39, 23, v56
	v_or3_b32 v38, v38, v39, v54
	v_lshrrev_b32_e32 v54, 16, v38
.LBB893_153:
	s_or_b64 exec, exec, s[10:11]
.LBB893_154:
	s_or_b64 exec, exec, s[8:9]
.LBB893_155:
	s_or_b64 exec, exec, s[2:3]
	s_mov_b32 s2, 0x5040100
	v_perm_b32 v39, v45, v52, s2
	v_perm_b32 v38, v43, v44, s2
	;; [unrolled: 1-line block ×4, first 2 shown]
	v_mov_b32_e32 v52, 0
	v_mfma_f32_16x16x16bf16_1k v[56:59], v[38:39], v[26:27], 0
	v_mov_b32_e32 v39, 0
	v_cmp_ne_u16_sdwa s[8:9], v40, v39 src0_sel:BYTE_0 src1_sel:DWORD
	v_mfma_f32_16x16x16bf16_1k v[42:45], v[42:43], v[28:29], v[56:59]
	s_and_saveexec_b64 s[2:3], s[8:9]
	s_cbranch_execz .LBB893_161
; %bb.156:
	s_movk_i32 s8, 0x80
	v_cmp_ne_u16_sdwa s[10:11], v40, s8 src0_sel:BYTE_0 src1_sel:DWORD
	v_mov_b32_e32 v52, 0xffff8000
	s_and_saveexec_b64 s[8:9], s[10:11]
	s_cbranch_execz .LBB893_160
; %bb.157:
	s_movk_i32 s10, 0x7f
	v_and_b32_e32 v38, 0x7f, v40
	v_cmp_ne_u32_e32 vcc, s10, v38
	v_mov_b32_e32 v52, 0x7f80
	s_and_saveexec_b64 s[10:11], vcc
	s_cbranch_execz .LBB893_159
; %bb.158:
	v_and_b32_e32 v54, 7, v40
	v_ffbh_u32_e32 v52, v54
	v_min_u32_e32 v56, 32, v52
	v_subrev_u32_e32 v52, 28, v56
	v_lshlrev_b64 v[52:53], v52, v[40:41]
	v_lshrrev_b32_e32 v55, 3, v38
	v_sub_u32_e32 v53, 29, v56
	v_and_b32_e32 v52, 7, v52
	v_cmp_gt_u32_e32 vcc, 8, v38
	v_cndmask_b32_e32 v38, v55, v53, vcc
	v_cndmask_b32_e32 v52, v54, v52, vcc
	v_lshlrev_b32_e32 v53, 24, v40
	v_bfrev_b32_e32 v54, 60
	v_lshlrev_b32_e32 v52, 20, v52
	v_and_b32_e32 v53, 0x80000000, v53
	v_lshl_add_u32 v38, v38, 23, v54
	v_or3_b32 v38, v53, v38, v52
	v_lshrrev_b32_e32 v52, 16, v38
.LBB893_159:
	s_or_b64 exec, exec, s[10:11]
.LBB893_160:
	s_or_b64 exec, exec, s[8:9]
.LBB893_161:
	s_or_b64 exec, exec, s[2:3]
	v_lshrrev_b16_e32 v38, 8, v40
	v_cmp_ne_u16_e32 vcc, 0, v38
	s_and_saveexec_b64 s[2:3], vcc
	s_cbranch_execz .LBB893_167
; %bb.162:
	s_movk_i32 s8, 0x80
	v_cmp_ne_u16_e32 vcc, s8, v38
	v_mov_b32_e32 v39, 0xffff8000
	s_and_saveexec_b64 s[8:9], vcc
	s_cbranch_execz .LBB893_166
; %bb.163:
	s_movk_i32 s10, 0x7f
	v_and_b32_e32 v53, 0x7f, v38
	v_cmp_ne_u32_e32 vcc, s10, v53
	v_mov_b32_e32 v39, 0x7f80
	s_and_saveexec_b64 s[10:11], vcc
	s_cbranch_execz .LBB893_165
; %bb.164:
	v_and_b32_e32 v54, 7, v38
	v_ffbh_u32_e32 v39, v54
	v_min_u32_e32 v56, 32, v39
	v_subrev_u32_e32 v39, 28, v56
	v_lshlrev_b64 v[38:39], v39, v[38:39]
	v_lshrrev_b32_e32 v55, 3, v53
	v_sub_u32_e32 v39, 29, v56
	v_and_b32_e32 v38, 7, v38
	v_cmp_gt_u32_e32 vcc, 8, v53
	v_cndmask_b32_e32 v39, v55, v39, vcc
	v_cndmask_b32_e32 v38, v54, v38, vcc
	v_lshlrev_b32_e32 v53, 16, v40
	v_bfrev_b32_e32 v54, 60
	v_lshlrev_b32_e32 v38, 20, v38
	v_and_b32_e32 v53, 0x80000000, v53
	v_lshl_add_u32 v39, v39, 23, v54
	v_or3_b32 v38, v53, v39, v38
	v_lshrrev_b32_e32 v39, 16, v38
.LBB893_165:
	s_or_b64 exec, exec, s[10:11]
.LBB893_166:
	s_or_b64 exec, exec, s[8:9]
.LBB893_167:
	s_or_b64 exec, exec, s[2:3]
	s_movk_i32 s2, 0xff
	v_and_b32_sdwa v55, v40, s2 dst_sel:DWORD dst_unused:UNUSED_PAD src0_sel:WORD_1 src1_sel:DWORD
	v_lshrrev_b32_e32 v38, 16, v40
	v_cmp_ne_u16_e32 vcc, 0, v55
	v_mov_b32_e32 v53, 0
	v_mov_b32_e32 v54, 0
	s_and_saveexec_b64 s[2:3], vcc
	s_cbranch_execz .LBB893_173
; %bb.168:
	s_movk_i32 s8, 0x80
	v_cmp_ne_u16_e32 vcc, s8, v55
	v_mov_b32_e32 v54, 0xffff8000
	s_and_saveexec_b64 s[8:9], vcc
	s_cbranch_execz .LBB893_172
; %bb.169:
	v_bfe_u32 v55, v40, 16, 7
	s_movk_i32 s10, 0x7f
	v_cmp_ne_u32_e32 vcc, s10, v55
	v_mov_b32_e32 v54, 0x7f80
	s_and_saveexec_b64 s[10:11], vcc
	s_cbranch_execz .LBB893_171
; %bb.170:
	v_and_b32_e32 v54, 7, v38
	v_ffbh_u32_e32 v56, v54
	v_min_u32_e32 v59, 32, v56
	v_subrev_u32_e32 v56, 28, v59
	v_lshlrev_b64 v[56:57], v56, v[38:39]
	v_lshrrev_b32_e32 v58, 3, v55
	v_sub_u32_e32 v38, 29, v59
	v_and_b32_e32 v56, 7, v56
	v_cmp_gt_u32_e32 vcc, 8, v55
	v_mov_b32_e32 v55, 24
	v_cndmask_b32_e32 v38, v58, v38, vcc
	v_cndmask_b32_e32 v54, v54, v56, vcc
	v_lshlrev_b32_sdwa v55, v55, v40 dst_sel:DWORD dst_unused:UNUSED_PAD src0_sel:DWORD src1_sel:WORD_1
	v_bfrev_b32_e32 v56, 60
	v_lshlrev_b32_e32 v54, 20, v54
	v_and_b32_e32 v55, 0x80000000, v55
	v_lshl_add_u32 v38, v38, 23, v56
	v_or3_b32 v38, v55, v38, v54
	v_lshrrev_b32_e32 v54, 16, v38
.LBB893_171:
	s_or_b64 exec, exec, s[10:11]
.LBB893_172:
	s_or_b64 exec, exec, s[8:9]
.LBB893_173:
	s_or_b64 exec, exec, s[2:3]
	s_mov_b32 s2, 0xffffff
	v_cmp_lt_u32_e32 vcc, s2, v40
	s_and_saveexec_b64 s[2:3], vcc
	s_cbranch_execz .LBB893_179
; %bb.174:
	v_lshrrev_b32_e32 v38, 24, v40
	s_movk_i32 s8, 0x80
	v_cmp_ne_u32_e32 vcc, s8, v38
	v_mov_b32_e32 v53, 0xffff8000
	s_and_saveexec_b64 s[8:9], vcc
	s_cbranch_execz .LBB893_178
; %bb.175:
	v_bfe_u32 v40, v40, 24, 7
	s_movk_i32 s10, 0x7f
	v_cmp_ne_u32_e32 vcc, s10, v40
	v_mov_b32_e32 v53, 0x7f80
	s_and_saveexec_b64 s[10:11], vcc
	s_cbranch_execz .LBB893_177
; %bb.176:
	v_and_b32_e32 v53, 7, v38
	v_ffbh_u32_e32 v56, v53
	v_min_u32_e32 v58, 32, v56
	v_subrev_u32_e32 v56, 28, v58
	v_lshlrev_b64 v[56:57], v56, v[38:39]
	v_lshrrev_b32_e32 v55, 3, v40
	v_sub_u32_e32 v57, 29, v58
	v_and_b32_e32 v56, 7, v56
	v_cmp_gt_u32_e32 vcc, 8, v40
	v_cndmask_b32_e32 v40, v55, v57, vcc
	v_cndmask_b32_e32 v53, v53, v56, vcc
	v_lshlrev_b32_e32 v38, 24, v38
	v_bfrev_b32_e32 v55, 60
	v_lshlrev_b32_e32 v53, 20, v53
	v_and_b32_e32 v38, 0x80000000, v38
	v_lshl_add_u32 v40, v40, 23, v55
	v_or3_b32 v38, v38, v40, v53
	v_lshrrev_b32_e32 v53, 16, v38
.LBB893_177:
	s_or_b64 exec, exec, s[10:11]
.LBB893_178:
	s_or_b64 exec, exec, s[8:9]
.LBB893_179:
	s_or_b64 exec, exec, s[2:3]
	v_mov_b32_e32 v40, 0
	v_cmp_ne_u16_sdwa s[8:9], v41, v40 src0_sel:BYTE_0 src1_sel:DWORD
	v_mov_b32_e32 v55, 0
	s_and_saveexec_b64 s[2:3], s[8:9]
	s_cbranch_execz .LBB893_185
; %bb.180:
	s_movk_i32 s8, 0x80
	v_cmp_ne_u16_sdwa s[10:11], v41, s8 src0_sel:BYTE_0 src1_sel:DWORD
	v_mov_b32_e32 v55, 0xffff8000
	s_and_saveexec_b64 s[8:9], s[10:11]
	s_cbranch_execz .LBB893_184
; %bb.181:
	s_movk_i32 s10, 0x7f
	v_and_b32_e32 v38, 0x7f, v41
	v_cmp_ne_u32_e32 vcc, s10, v38
	v_mov_b32_e32 v55, 0x7f80
	s_and_saveexec_b64 s[10:11], vcc
	s_cbranch_execz .LBB893_183
; %bb.182:
	v_and_b32_e32 v55, 7, v41
	v_ffbh_u32_e32 v57, v55
	v_min_u32_e32 v59, 32, v57
	v_mov_b32_e32 v56, v41
	v_subrev_u32_e32 v57, 28, v59
	v_lshlrev_b64 v[56:57], v57, v[56:57]
	v_lshrrev_b32_e32 v58, 3, v38
	v_sub_u32_e32 v57, 29, v59
	v_and_b32_e32 v56, 7, v56
	v_cmp_gt_u32_e32 vcc, 8, v38
	v_cndmask_b32_e32 v38, v58, v57, vcc
	v_cndmask_b32_e32 v55, v55, v56, vcc
	v_lshlrev_b32_e32 v56, 24, v41
	v_bfrev_b32_e32 v57, 60
	v_lshlrev_b32_e32 v55, 20, v55
	v_and_b32_e32 v56, 0x80000000, v56
	v_lshl_add_u32 v38, v38, 23, v57
	v_or3_b32 v38, v56, v38, v55
	v_lshrrev_b32_e32 v55, 16, v38
.LBB893_183:
	s_or_b64 exec, exec, s[10:11]
.LBB893_184:
	s_or_b64 exec, exec, s[8:9]
.LBB893_185:
	s_or_b64 exec, exec, s[2:3]
	v_lshrrev_b16_e32 v38, 8, v41
	v_cmp_ne_u16_e32 vcc, 0, v38
	s_and_saveexec_b64 s[2:3], vcc
	s_cbranch_execz .LBB893_191
; %bb.186:
	s_movk_i32 s8, 0x80
	v_cmp_ne_u16_e32 vcc, s8, v38
	v_mov_b32_e32 v40, 0xffff8000
	s_and_saveexec_b64 s[8:9], vcc
	s_cbranch_execz .LBB893_190
; %bb.187:
	s_movk_i32 s10, 0x7f
	v_and_b32_e32 v56, 0x7f, v38
	v_cmp_ne_u32_e32 vcc, s10, v56
	v_mov_b32_e32 v40, 0x7f80
	s_and_saveexec_b64 s[10:11], vcc
	s_cbranch_execz .LBB893_189
; %bb.188:
	v_and_b32_e32 v40, 7, v38
	v_ffbh_u32_e32 v58, v40
	v_min_u32_e32 v60, 32, v58
	v_subrev_u32_e32 v58, 28, v60
	v_lshlrev_b64 v[58:59], v58, v[38:39]
	v_lshrrev_b32_e32 v57, 3, v56
	v_sub_u32_e32 v38, 29, v60
	v_and_b32_e32 v58, 7, v58
	v_cmp_gt_u32_e32 vcc, 8, v56
	v_cndmask_b32_e32 v38, v57, v38, vcc
	v_cndmask_b32_e32 v40, v40, v58, vcc
	v_lshlrev_b32_e32 v56, 16, v41
	v_bfrev_b32_e32 v57, 60
	v_lshlrev_b32_e32 v40, 20, v40
	v_and_b32_e32 v56, 0x80000000, v56
	v_lshl_add_u32 v38, v38, 23, v57
	v_or3_b32 v38, v56, v38, v40
	v_lshrrev_b32_e32 v40, 16, v38
.LBB893_189:
	s_or_b64 exec, exec, s[10:11]
.LBB893_190:
	s_or_b64 exec, exec, s[8:9]
.LBB893_191:
	s_or_b64 exec, exec, s[2:3]
	s_movk_i32 s2, 0xff
	v_and_b32_sdwa v58, v41, s2 dst_sel:DWORD dst_unused:UNUSED_PAD src0_sel:WORD_1 src1_sel:DWORD
	v_lshrrev_b32_e32 v38, 16, v41
	v_cmp_ne_u16_e32 vcc, 0, v58
	v_mov_b32_e32 v56, 0
	v_mov_b32_e32 v57, 0
	s_and_saveexec_b64 s[2:3], vcc
	s_cbranch_execz .LBB893_197
; %bb.192:
	s_movk_i32 s8, 0x80
	v_cmp_ne_u16_e32 vcc, s8, v58
	v_mov_b32_e32 v57, 0xffff8000
	s_and_saveexec_b64 s[8:9], vcc
	s_cbranch_execz .LBB893_196
; %bb.193:
	v_bfe_u32 v58, v41, 16, 7
	s_movk_i32 s10, 0x7f
	v_cmp_ne_u32_e32 vcc, s10, v58
	v_mov_b32_e32 v57, 0x7f80
	s_and_saveexec_b64 s[10:11], vcc
	s_cbranch_execz .LBB893_195
; %bb.194:
	v_and_b32_e32 v57, 7, v38
	v_ffbh_u32_e32 v60, v57
	v_min_u32_e32 v62, 32, v60
	v_subrev_u32_e32 v60, 28, v62
	v_lshlrev_b64 v[60:61], v60, v[38:39]
	v_lshrrev_b32_e32 v59, 3, v58
	v_sub_u32_e32 v38, 29, v62
	v_and_b32_e32 v60, 7, v60
	v_cmp_gt_u32_e32 vcc, 8, v58
	v_mov_b32_e32 v58, 24
	v_cndmask_b32_e32 v38, v59, v38, vcc
	v_cndmask_b32_e32 v57, v57, v60, vcc
	v_lshlrev_b32_sdwa v58, v58, v41 dst_sel:DWORD dst_unused:UNUSED_PAD src0_sel:DWORD src1_sel:WORD_1
	v_bfrev_b32_e32 v59, 60
	v_lshlrev_b32_e32 v57, 20, v57
	v_and_b32_e32 v58, 0x80000000, v58
	v_lshl_add_u32 v38, v38, 23, v59
	v_or3_b32 v38, v58, v38, v57
	v_lshrrev_b32_e32 v57, 16, v38
.LBB893_195:
	s_or_b64 exec, exec, s[10:11]
.LBB893_196:
	s_or_b64 exec, exec, s[8:9]
.LBB893_197:
	s_or_b64 exec, exec, s[2:3]
	s_mov_b32 s2, 0xffffff
	v_cmp_lt_u32_e32 vcc, s2, v41
	s_and_saveexec_b64 s[2:3], vcc
	s_cbranch_execz .LBB893_203
; %bb.198:
	v_lshrrev_b32_e32 v38, 24, v41
	s_movk_i32 s8, 0x80
	v_cmp_ne_u32_e32 vcc, s8, v38
	v_mov_b32_e32 v56, 0xffff8000
	s_and_saveexec_b64 s[8:9], vcc
	s_cbranch_execz .LBB893_202
; %bb.199:
	v_bfe_u32 v41, v41, 24, 7
	s_movk_i32 s10, 0x7f
	v_cmp_ne_u32_e32 vcc, s10, v41
	v_mov_b32_e32 v56, 0x7f80
	s_and_saveexec_b64 s[10:11], vcc
	s_cbranch_execz .LBB893_201
; %bb.200:
	v_and_b32_e32 v56, 7, v38
	v_ffbh_u32_e32 v58, v56
	v_min_u32_e32 v61, 32, v58
	v_subrev_u32_e32 v58, 28, v61
	v_lshlrev_b64 v[58:59], v58, v[38:39]
	v_lshrrev_b32_e32 v60, 3, v41
	v_sub_u32_e32 v59, 29, v61
	v_and_b32_e32 v58, 7, v58
	v_cmp_gt_u32_e32 vcc, 8, v41
	v_cndmask_b32_e32 v41, v60, v59, vcc
	v_cndmask_b32_e32 v56, v56, v58, vcc
	v_lshlrev_b32_e32 v38, 24, v38
	v_bfrev_b32_e32 v58, 60
	v_lshlrev_b32_e32 v56, 20, v56
	v_and_b32_e32 v38, 0x80000000, v38
	v_lshl_add_u32 v41, v41, 23, v58
	v_or3_b32 v38, v38, v41, v56
	v_lshrrev_b32_e32 v56, 16, v38
.LBB893_201:
	s_or_b64 exec, exec, s[10:11]
.LBB893_202:
	s_or_b64 exec, exec, s[8:9]
.LBB893_203:
	s_or_b64 exec, exec, s[2:3]
	s_mov_b32 s2, 0x5040100
	v_perm_b32 v53, v53, v54, s2
	v_perm_b32 v52, v39, v52, s2
	;; [unrolled: 1-line block ×4, first 2 shown]
	v_mfma_f32_16x16x16bf16_1k v[58:61], v[52:53], v[18:19], v[42:45]
	s_nop 6
	v_mov_b32_e32 v43, 0
	s_waitcnt vmcnt(5)
	v_cmp_ne_u16_sdwa s[8:9], v34, v43 src0_sel:BYTE_0 src1_sel:DWORD
	v_mfma_f32_16x16x16bf16_1k v[38:41], v[38:39], v[20:21], v[58:61]
	v_mov_b32_e32 v44, 0
	s_and_saveexec_b64 s[2:3], s[8:9]
	s_cbranch_execz .LBB893_209
; %bb.204:
	s_movk_i32 s8, 0x80
	v_cmp_ne_u16_sdwa s[10:11], v34, s8 src0_sel:BYTE_0 src1_sel:DWORD
	v_mov_b32_e32 v44, 0xffff8000
	s_and_saveexec_b64 s[8:9], s[10:11]
	s_cbranch_execz .LBB893_208
; %bb.205:
	s_movk_i32 s10, 0x7f
	v_and_b32_e32 v42, 0x7f, v34
	v_cmp_ne_u32_e32 vcc, s10, v42
	v_mov_b32_e32 v44, 0x7f80
	s_and_saveexec_b64 s[10:11], vcc
	s_cbranch_execz .LBB893_207
; %bb.206:
	v_and_b32_e32 v52, 7, v34
	v_ffbh_u32_e32 v44, v52
	v_min_u32_e32 v54, 32, v44
	v_subrev_u32_e32 v44, 28, v54
	v_lshlrev_b64 v[44:45], v44, v[34:35]
	v_lshrrev_b32_e32 v53, 3, v42
	v_sub_u32_e32 v45, 29, v54
	v_and_b32_e32 v44, 7, v44
	v_cmp_gt_u32_e32 vcc, 8, v42
	v_cndmask_b32_e32 v42, v53, v45, vcc
	v_cndmask_b32_e32 v44, v52, v44, vcc
	v_lshlrev_b32_e32 v45, 24, v34
	v_bfrev_b32_e32 v52, 60
	v_lshlrev_b32_e32 v44, 20, v44
	v_and_b32_e32 v45, 0x80000000, v45
	v_lshl_add_u32 v42, v42, 23, v52
	v_or3_b32 v42, v45, v42, v44
	v_lshrrev_b32_e32 v44, 16, v42
.LBB893_207:
	s_or_b64 exec, exec, s[10:11]
.LBB893_208:
	s_or_b64 exec, exec, s[8:9]
.LBB893_209:
	s_or_b64 exec, exec, s[2:3]
	v_lshrrev_b16_e32 v42, 8, v34
	v_cmp_ne_u16_e32 vcc, 0, v42
	s_and_saveexec_b64 s[2:3], vcc
	s_cbranch_execz .LBB893_215
; %bb.210:
	s_movk_i32 s8, 0x80
	v_cmp_ne_u16_e32 vcc, s8, v42
	v_mov_b32_e32 v43, 0xffff8000
	s_and_saveexec_b64 s[8:9], vcc
	s_cbranch_execz .LBB893_214
; %bb.211:
	s_movk_i32 s10, 0x7f
	v_and_b32_e32 v45, 0x7f, v42
	v_cmp_ne_u32_e32 vcc, s10, v45
	v_mov_b32_e32 v43, 0x7f80
	s_and_saveexec_b64 s[10:11], vcc
	s_cbranch_execz .LBB893_213
; %bb.212:
	v_and_b32_e32 v52, 7, v42
	v_ffbh_u32_e32 v43, v52
	v_min_u32_e32 v54, 32, v43
	v_subrev_u32_e32 v43, 28, v54
	v_lshlrev_b64 v[42:43], v43, v[42:43]
	v_lshrrev_b32_e32 v53, 3, v45
	v_sub_u32_e32 v43, 29, v54
	v_and_b32_e32 v42, 7, v42
	v_cmp_gt_u32_e32 vcc, 8, v45
	v_cndmask_b32_e32 v43, v53, v43, vcc
	v_cndmask_b32_e32 v42, v52, v42, vcc
	v_lshlrev_b32_e32 v45, 16, v34
	v_bfrev_b32_e32 v52, 60
	v_lshlrev_b32_e32 v42, 20, v42
	v_and_b32_e32 v45, 0x80000000, v45
	v_lshl_add_u32 v43, v43, 23, v52
	v_or3_b32 v42, v45, v43, v42
	v_lshrrev_b32_e32 v43, 16, v42
.LBB893_213:
	s_or_b64 exec, exec, s[10:11]
.LBB893_214:
	s_or_b64 exec, exec, s[8:9]
.LBB893_215:
	s_or_b64 exec, exec, s[2:3]
	s_movk_i32 s2, 0xff
	v_and_b32_sdwa v53, v34, s2 dst_sel:DWORD dst_unused:UNUSED_PAD src0_sel:WORD_1 src1_sel:DWORD
	v_lshrrev_b32_e32 v42, 16, v34
	v_cmp_ne_u16_e32 vcc, 0, v53
	v_mov_b32_e32 v45, 0
	v_mov_b32_e32 v52, 0
	s_and_saveexec_b64 s[2:3], vcc
	s_cbranch_execz .LBB893_221
; %bb.216:
	s_movk_i32 s8, 0x80
	v_cmp_ne_u16_e32 vcc, s8, v53
	v_mov_b32_e32 v52, 0xffff8000
	s_and_saveexec_b64 s[8:9], vcc
	s_cbranch_execz .LBB893_220
; %bb.217:
	v_bfe_u32 v53, v34, 16, 7
	s_movk_i32 s10, 0x7f
	v_cmp_ne_u32_e32 vcc, s10, v53
	v_mov_b32_e32 v52, 0x7f80
	s_and_saveexec_b64 s[10:11], vcc
	s_cbranch_execz .LBB893_219
; %bb.218:
	v_and_b32_e32 v52, 7, v42
	v_ffbh_u32_e32 v54, v52
	v_min_u32_e32 v57, 32, v54
	v_subrev_u32_e32 v54, 28, v57
	v_lshlrev_b64 v[54:55], v54, v[42:43]
	v_lshrrev_b32_e32 v56, 3, v53
	v_sub_u32_e32 v42, 29, v57
	v_and_b32_e32 v54, 7, v54
	v_cmp_gt_u32_e32 vcc, 8, v53
	v_mov_b32_e32 v53, 24
	v_cndmask_b32_e32 v42, v56, v42, vcc
	v_cndmask_b32_e32 v52, v52, v54, vcc
	v_lshlrev_b32_sdwa v53, v53, v34 dst_sel:DWORD dst_unused:UNUSED_PAD src0_sel:DWORD src1_sel:WORD_1
	v_bfrev_b32_e32 v54, 60
	v_lshlrev_b32_e32 v52, 20, v52
	v_and_b32_e32 v53, 0x80000000, v53
	v_lshl_add_u32 v42, v42, 23, v54
	v_or3_b32 v42, v53, v42, v52
	v_lshrrev_b32_e32 v52, 16, v42
.LBB893_219:
	s_or_b64 exec, exec, s[10:11]
.LBB893_220:
	s_or_b64 exec, exec, s[8:9]
.LBB893_221:
	s_or_b64 exec, exec, s[2:3]
	s_mov_b32 s2, 0xffffff
	v_cmp_lt_u32_e32 vcc, s2, v34
	s_and_saveexec_b64 s[2:3], vcc
	s_cbranch_execz .LBB893_227
; %bb.222:
	v_lshrrev_b32_e32 v42, 24, v34
	s_movk_i32 s8, 0x80
	v_cmp_ne_u32_e32 vcc, s8, v42
	v_mov_b32_e32 v45, 0xffff8000
	s_and_saveexec_b64 s[8:9], vcc
	s_cbranch_execz .LBB893_226
; %bb.223:
	v_bfe_u32 v34, v34, 24, 7
	s_movk_i32 s10, 0x7f
	v_cmp_ne_u32_e32 vcc, s10, v34
	v_mov_b32_e32 v45, 0x7f80
	s_and_saveexec_b64 s[10:11], vcc
	s_cbranch_execz .LBB893_225
; %bb.224:
	v_and_b32_e32 v45, 7, v42
	v_ffbh_u32_e32 v54, v45
	v_min_u32_e32 v56, 32, v54
	v_subrev_u32_e32 v54, 28, v56
	v_lshlrev_b64 v[54:55], v54, v[42:43]
	v_lshrrev_b32_e32 v53, 3, v34
	v_sub_u32_e32 v55, 29, v56
	v_and_b32_e32 v54, 7, v54
	v_cmp_gt_u32_e32 vcc, 8, v34
	v_cndmask_b32_e32 v34, v53, v55, vcc
	v_cndmask_b32_e32 v45, v45, v54, vcc
	v_lshlrev_b32_e32 v42, 24, v42
	v_bfrev_b32_e32 v53, 60
	v_lshlrev_b32_e32 v45, 20, v45
	v_and_b32_e32 v42, 0x80000000, v42
	v_lshl_add_u32 v34, v34, 23, v53
	v_or3_b32 v34, v42, v34, v45
	v_lshrrev_b32_e32 v45, 16, v34
.LBB893_225:
	s_or_b64 exec, exec, s[10:11]
.LBB893_226:
	s_or_b64 exec, exec, s[8:9]
.LBB893_227:
	s_or_b64 exec, exec, s[2:3]
	v_mov_b32_e32 v42, 0
	v_cmp_ne_u16_sdwa s[8:9], v35, v42 src0_sel:BYTE_0 src1_sel:DWORD
	v_mov_b32_e32 v53, 0
	s_and_saveexec_b64 s[2:3], s[8:9]
	s_cbranch_execz .LBB893_233
; %bb.228:
	s_movk_i32 s8, 0x80
	v_cmp_ne_u16_sdwa s[10:11], v35, s8 src0_sel:BYTE_0 src1_sel:DWORD
	v_mov_b32_e32 v53, 0xffff8000
	s_and_saveexec_b64 s[8:9], s[10:11]
	s_cbranch_execz .LBB893_232
; %bb.229:
	s_movk_i32 s10, 0x7f
	v_and_b32_e32 v34, 0x7f, v35
	v_cmp_ne_u32_e32 vcc, s10, v34
	v_mov_b32_e32 v53, 0x7f80
	s_and_saveexec_b64 s[10:11], vcc
	s_cbranch_execz .LBB893_231
; %bb.230:
	v_and_b32_e32 v53, 7, v35
	v_ffbh_u32_e32 v55, v53
	v_min_u32_e32 v57, 32, v55
	v_mov_b32_e32 v54, v35
	v_subrev_u32_e32 v55, 28, v57
	v_lshlrev_b64 v[54:55], v55, v[54:55]
	v_lshrrev_b32_e32 v56, 3, v34
	v_sub_u32_e32 v55, 29, v57
	v_and_b32_e32 v54, 7, v54
	v_cmp_gt_u32_e32 vcc, 8, v34
	v_cndmask_b32_e32 v34, v56, v55, vcc
	v_cndmask_b32_e32 v53, v53, v54, vcc
	v_lshlrev_b32_e32 v54, 24, v35
	v_bfrev_b32_e32 v55, 60
	v_lshlrev_b32_e32 v53, 20, v53
	v_and_b32_e32 v54, 0x80000000, v54
	v_lshl_add_u32 v34, v34, 23, v55
	v_or3_b32 v34, v54, v34, v53
	v_lshrrev_b32_e32 v53, 16, v34
.LBB893_231:
	s_or_b64 exec, exec, s[10:11]
.LBB893_232:
	s_or_b64 exec, exec, s[8:9]
.LBB893_233:
	s_or_b64 exec, exec, s[2:3]
	v_lshrrev_b16_e32 v34, 8, v35
	v_cmp_ne_u16_e32 vcc, 0, v34
	s_and_saveexec_b64 s[2:3], vcc
	s_cbranch_execz .LBB893_239
; %bb.234:
	s_movk_i32 s8, 0x80
	v_cmp_ne_u16_e32 vcc, s8, v34
	v_mov_b32_e32 v42, 0xffff8000
	s_and_saveexec_b64 s[8:9], vcc
	s_cbranch_execz .LBB893_238
; %bb.235:
	s_movk_i32 s10, 0x7f
	v_and_b32_e32 v54, 0x7f, v34
	v_cmp_ne_u32_e32 vcc, s10, v54
	v_mov_b32_e32 v42, 0x7f80
	s_and_saveexec_b64 s[10:11], vcc
	s_cbranch_execz .LBB893_237
; %bb.236:
	v_and_b32_e32 v42, 7, v34
	v_ffbh_u32_e32 v56, v42
	v_min_u32_e32 v58, 32, v56
	v_subrev_u32_e32 v56, 28, v58
	v_lshlrev_b64 v[56:57], v56, v[34:35]
	v_lshrrev_b32_e32 v55, 3, v54
	v_sub_u32_e32 v34, 29, v58
	v_and_b32_e32 v56, 7, v56
	v_cmp_gt_u32_e32 vcc, 8, v54
	v_cndmask_b32_e32 v34, v55, v34, vcc
	v_cndmask_b32_e32 v42, v42, v56, vcc
	v_lshlrev_b32_e32 v54, 16, v35
	v_bfrev_b32_e32 v55, 60
	v_lshlrev_b32_e32 v42, 20, v42
	v_and_b32_e32 v54, 0x80000000, v54
	v_lshl_add_u32 v34, v34, 23, v55
	v_or3_b32 v34, v54, v34, v42
	v_lshrrev_b32_e32 v42, 16, v34
.LBB893_237:
	s_or_b64 exec, exec, s[10:11]
.LBB893_238:
	s_or_b64 exec, exec, s[8:9]
.LBB893_239:
	s_or_b64 exec, exec, s[2:3]
	s_movk_i32 s2, 0xff
	v_and_b32_sdwa v56, v35, s2 dst_sel:DWORD dst_unused:UNUSED_PAD src0_sel:WORD_1 src1_sel:DWORD
	v_lshrrev_b32_e32 v34, 16, v35
	v_cmp_ne_u16_e32 vcc, 0, v56
	v_mov_b32_e32 v54, 0
	v_mov_b32_e32 v55, 0
	s_and_saveexec_b64 s[2:3], vcc
	s_cbranch_execz .LBB893_245
; %bb.240:
	s_movk_i32 s8, 0x80
	v_cmp_ne_u16_e32 vcc, s8, v56
	v_mov_b32_e32 v55, 0xffff8000
	s_and_saveexec_b64 s[8:9], vcc
	s_cbranch_execz .LBB893_244
; %bb.241:
	v_bfe_u32 v56, v35, 16, 7
	s_movk_i32 s10, 0x7f
	v_cmp_ne_u32_e32 vcc, s10, v56
	v_mov_b32_e32 v55, 0x7f80
	s_and_saveexec_b64 s[10:11], vcc
	s_cbranch_execz .LBB893_243
; %bb.242:
	v_and_b32_e32 v55, 7, v34
	v_ffbh_u32_e32 v58, v55
	v_min_u32_e32 v60, 32, v58
	v_subrev_u32_e32 v58, 28, v60
	v_lshlrev_b64 v[58:59], v58, v[34:35]
	v_lshrrev_b32_e32 v57, 3, v56
	v_sub_u32_e32 v34, 29, v60
	v_and_b32_e32 v58, 7, v58
	v_cmp_gt_u32_e32 vcc, 8, v56
	v_mov_b32_e32 v56, 24
	v_cndmask_b32_e32 v34, v57, v34, vcc
	v_cndmask_b32_e32 v55, v55, v58, vcc
	v_lshlrev_b32_sdwa v56, v56, v35 dst_sel:DWORD dst_unused:UNUSED_PAD src0_sel:DWORD src1_sel:WORD_1
	v_bfrev_b32_e32 v57, 60
	v_lshlrev_b32_e32 v55, 20, v55
	v_and_b32_e32 v56, 0x80000000, v56
	v_lshl_add_u32 v34, v34, 23, v57
	v_or3_b32 v34, v56, v34, v55
	v_lshrrev_b32_e32 v55, 16, v34
.LBB893_243:
	s_or_b64 exec, exec, s[10:11]
.LBB893_244:
	s_or_b64 exec, exec, s[8:9]
.LBB893_245:
	s_or_b64 exec, exec, s[2:3]
	s_mov_b32 s2, 0xffffff
	v_cmp_lt_u32_e32 vcc, s2, v35
	s_and_saveexec_b64 s[2:3], vcc
	s_cbranch_execz .LBB893_251
; %bb.246:
	v_lshrrev_b32_e32 v34, 24, v35
	s_movk_i32 s8, 0x80
	v_cmp_ne_u32_e32 vcc, s8, v34
	v_mov_b32_e32 v54, 0xffff8000
	s_and_saveexec_b64 s[8:9], vcc
	s_cbranch_execz .LBB893_250
; %bb.247:
	v_bfe_u32 v35, v35, 24, 7
	s_movk_i32 s10, 0x7f
	v_cmp_ne_u32_e32 vcc, s10, v35
	v_mov_b32_e32 v54, 0x7f80
	s_and_saveexec_b64 s[10:11], vcc
	s_cbranch_execz .LBB893_249
; %bb.248:
	v_and_b32_e32 v54, 7, v34
	v_ffbh_u32_e32 v56, v54
	v_min_u32_e32 v59, 32, v56
	v_subrev_u32_e32 v56, 28, v59
	v_lshlrev_b64 v[56:57], v56, v[34:35]
	v_lshrrev_b32_e32 v58, 3, v35
	v_sub_u32_e32 v57, 29, v59
	v_and_b32_e32 v56, 7, v56
	v_cmp_gt_u32_e32 vcc, 8, v35
	v_cndmask_b32_e32 v35, v58, v57, vcc
	v_cndmask_b32_e32 v54, v54, v56, vcc
	v_lshlrev_b32_e32 v34, 24, v34
	v_bfrev_b32_e32 v56, 60
	v_lshlrev_b32_e32 v54, 20, v54
	v_and_b32_e32 v34, 0x80000000, v34
	v_lshl_add_u32 v35, v35, 23, v56
	v_or3_b32 v34, v34, v35, v54
	v_lshrrev_b32_e32 v54, 16, v34
.LBB893_249:
	s_or_b64 exec, exec, s[10:11]
.LBB893_250:
	s_or_b64 exec, exec, s[8:9]
.LBB893_251:
	s_or_b64 exec, exec, s[2:3]
	s_mov_b32 s2, 0x5040100
	v_perm_b32 v35, v45, v52, s2
	v_perm_b32 v34, v43, v44, s2
	;; [unrolled: 1-line block ×4, first 2 shown]
	v_mov_b32_e32 v52, 0
	v_mfma_f32_16x16x16bf16_1k v[56:59], v[34:35], v[26:27], 0
	v_mov_b32_e32 v35, 0
	v_cmp_ne_u16_sdwa s[8:9], v36, v35 src0_sel:BYTE_0 src1_sel:DWORD
	v_mfma_f32_16x16x16bf16_1k v[42:45], v[42:43], v[28:29], v[56:59]
	s_and_saveexec_b64 s[2:3], s[8:9]
	s_cbranch_execz .LBB893_257
; %bb.252:
	s_movk_i32 s8, 0x80
	v_cmp_ne_u16_sdwa s[10:11], v36, s8 src0_sel:BYTE_0 src1_sel:DWORD
	v_mov_b32_e32 v52, 0xffff8000
	s_and_saveexec_b64 s[8:9], s[10:11]
	s_cbranch_execz .LBB893_256
; %bb.253:
	s_movk_i32 s10, 0x7f
	v_and_b32_e32 v34, 0x7f, v36
	v_cmp_ne_u32_e32 vcc, s10, v34
	v_mov_b32_e32 v52, 0x7f80
	s_and_saveexec_b64 s[10:11], vcc
	s_cbranch_execz .LBB893_255
; %bb.254:
	v_and_b32_e32 v54, 7, v36
	v_ffbh_u32_e32 v52, v54
	v_min_u32_e32 v56, 32, v52
	v_subrev_u32_e32 v52, 28, v56
	v_lshlrev_b64 v[52:53], v52, v[36:37]
	v_lshrrev_b32_e32 v55, 3, v34
	v_sub_u32_e32 v53, 29, v56
	v_and_b32_e32 v52, 7, v52
	v_cmp_gt_u32_e32 vcc, 8, v34
	v_cndmask_b32_e32 v34, v55, v53, vcc
	v_cndmask_b32_e32 v52, v54, v52, vcc
	v_lshlrev_b32_e32 v53, 24, v36
	v_bfrev_b32_e32 v54, 60
	v_lshlrev_b32_e32 v52, 20, v52
	v_and_b32_e32 v53, 0x80000000, v53
	v_lshl_add_u32 v34, v34, 23, v54
	v_or3_b32 v34, v53, v34, v52
	v_lshrrev_b32_e32 v52, 16, v34
.LBB893_255:
	s_or_b64 exec, exec, s[10:11]
.LBB893_256:
	s_or_b64 exec, exec, s[8:9]
.LBB893_257:
	s_or_b64 exec, exec, s[2:3]
	v_lshrrev_b16_e32 v34, 8, v36
	v_cmp_ne_u16_e32 vcc, 0, v34
	s_and_saveexec_b64 s[2:3], vcc
	s_cbranch_execz .LBB893_263
; %bb.258:
	s_movk_i32 s8, 0x80
	v_cmp_ne_u16_e32 vcc, s8, v34
	v_mov_b32_e32 v35, 0xffff8000
	s_and_saveexec_b64 s[8:9], vcc
	s_cbranch_execz .LBB893_262
; %bb.259:
	s_movk_i32 s10, 0x7f
	v_and_b32_e32 v53, 0x7f, v34
	v_cmp_ne_u32_e32 vcc, s10, v53
	v_mov_b32_e32 v35, 0x7f80
	s_and_saveexec_b64 s[10:11], vcc
	s_cbranch_execz .LBB893_261
; %bb.260:
	v_and_b32_e32 v54, 7, v34
	v_ffbh_u32_e32 v35, v54
	v_min_u32_e32 v56, 32, v35
	v_subrev_u32_e32 v35, 28, v56
	v_lshlrev_b64 v[34:35], v35, v[34:35]
	v_lshrrev_b32_e32 v55, 3, v53
	v_sub_u32_e32 v35, 29, v56
	v_and_b32_e32 v34, 7, v34
	v_cmp_gt_u32_e32 vcc, 8, v53
	v_cndmask_b32_e32 v35, v55, v35, vcc
	v_cndmask_b32_e32 v34, v54, v34, vcc
	v_lshlrev_b32_e32 v53, 16, v36
	v_bfrev_b32_e32 v54, 60
	v_lshlrev_b32_e32 v34, 20, v34
	v_and_b32_e32 v53, 0x80000000, v53
	v_lshl_add_u32 v35, v35, 23, v54
	v_or3_b32 v34, v53, v35, v34
	v_lshrrev_b32_e32 v35, 16, v34
.LBB893_261:
	s_or_b64 exec, exec, s[10:11]
.LBB893_262:
	s_or_b64 exec, exec, s[8:9]
.LBB893_263:
	s_or_b64 exec, exec, s[2:3]
	s_movk_i32 s2, 0xff
	v_and_b32_sdwa v55, v36, s2 dst_sel:DWORD dst_unused:UNUSED_PAD src0_sel:WORD_1 src1_sel:DWORD
	v_lshrrev_b32_e32 v34, 16, v36
	v_cmp_ne_u16_e32 vcc, 0, v55
	v_mov_b32_e32 v53, 0
	v_mov_b32_e32 v54, 0
	s_and_saveexec_b64 s[2:3], vcc
	s_cbranch_execz .LBB893_269
; %bb.264:
	s_movk_i32 s8, 0x80
	v_cmp_ne_u16_e32 vcc, s8, v55
	v_mov_b32_e32 v54, 0xffff8000
	s_and_saveexec_b64 s[8:9], vcc
	s_cbranch_execz .LBB893_268
; %bb.265:
	v_bfe_u32 v55, v36, 16, 7
	s_movk_i32 s10, 0x7f
	v_cmp_ne_u32_e32 vcc, s10, v55
	v_mov_b32_e32 v54, 0x7f80
	s_and_saveexec_b64 s[10:11], vcc
	s_cbranch_execz .LBB893_267
; %bb.266:
	v_and_b32_e32 v54, 7, v34
	v_ffbh_u32_e32 v56, v54
	v_min_u32_e32 v59, 32, v56
	v_subrev_u32_e32 v56, 28, v59
	v_lshlrev_b64 v[56:57], v56, v[34:35]
	v_lshrrev_b32_e32 v58, 3, v55
	v_sub_u32_e32 v34, 29, v59
	v_and_b32_e32 v56, 7, v56
	v_cmp_gt_u32_e32 vcc, 8, v55
	v_mov_b32_e32 v55, 24
	v_cndmask_b32_e32 v34, v58, v34, vcc
	v_cndmask_b32_e32 v54, v54, v56, vcc
	v_lshlrev_b32_sdwa v55, v55, v36 dst_sel:DWORD dst_unused:UNUSED_PAD src0_sel:DWORD src1_sel:WORD_1
	v_bfrev_b32_e32 v56, 60
	v_lshlrev_b32_e32 v54, 20, v54
	v_and_b32_e32 v55, 0x80000000, v55
	v_lshl_add_u32 v34, v34, 23, v56
	v_or3_b32 v34, v55, v34, v54
	v_lshrrev_b32_e32 v54, 16, v34
.LBB893_267:
	s_or_b64 exec, exec, s[10:11]
.LBB893_268:
	s_or_b64 exec, exec, s[8:9]
.LBB893_269:
	s_or_b64 exec, exec, s[2:3]
	s_mov_b32 s2, 0xffffff
	v_cmp_lt_u32_e32 vcc, s2, v36
	s_and_saveexec_b64 s[2:3], vcc
	s_cbranch_execz .LBB893_275
; %bb.270:
	v_lshrrev_b32_e32 v34, 24, v36
	s_movk_i32 s8, 0x80
	v_cmp_ne_u32_e32 vcc, s8, v34
	v_mov_b32_e32 v53, 0xffff8000
	s_and_saveexec_b64 s[8:9], vcc
	s_cbranch_execz .LBB893_274
; %bb.271:
	v_bfe_u32 v36, v36, 24, 7
	s_movk_i32 s10, 0x7f
	v_cmp_ne_u32_e32 vcc, s10, v36
	v_mov_b32_e32 v53, 0x7f80
	s_and_saveexec_b64 s[10:11], vcc
	s_cbranch_execz .LBB893_273
; %bb.272:
	v_and_b32_e32 v53, 7, v34
	v_ffbh_u32_e32 v56, v53
	v_min_u32_e32 v58, 32, v56
	v_subrev_u32_e32 v56, 28, v58
	v_lshlrev_b64 v[56:57], v56, v[34:35]
	v_lshrrev_b32_e32 v55, 3, v36
	v_sub_u32_e32 v57, 29, v58
	v_and_b32_e32 v56, 7, v56
	v_cmp_gt_u32_e32 vcc, 8, v36
	v_cndmask_b32_e32 v36, v55, v57, vcc
	v_cndmask_b32_e32 v53, v53, v56, vcc
	v_lshlrev_b32_e32 v34, 24, v34
	v_bfrev_b32_e32 v55, 60
	v_lshlrev_b32_e32 v53, 20, v53
	v_and_b32_e32 v34, 0x80000000, v34
	v_lshl_add_u32 v36, v36, 23, v55
	v_or3_b32 v34, v34, v36, v53
	v_lshrrev_b32_e32 v53, 16, v34
.LBB893_273:
	s_or_b64 exec, exec, s[10:11]
.LBB893_274:
	s_or_b64 exec, exec, s[8:9]
.LBB893_275:
	s_or_b64 exec, exec, s[2:3]
	v_mov_b32_e32 v36, 0
	v_cmp_ne_u16_sdwa s[8:9], v37, v36 src0_sel:BYTE_0 src1_sel:DWORD
	v_mov_b32_e32 v55, 0
	s_and_saveexec_b64 s[2:3], s[8:9]
	s_cbranch_execz .LBB893_281
; %bb.276:
	s_movk_i32 s8, 0x80
	v_cmp_ne_u16_sdwa s[10:11], v37, s8 src0_sel:BYTE_0 src1_sel:DWORD
	v_mov_b32_e32 v55, 0xffff8000
	s_and_saveexec_b64 s[8:9], s[10:11]
	s_cbranch_execz .LBB893_280
; %bb.277:
	s_movk_i32 s10, 0x7f
	v_and_b32_e32 v34, 0x7f, v37
	v_cmp_ne_u32_e32 vcc, s10, v34
	v_mov_b32_e32 v55, 0x7f80
	s_and_saveexec_b64 s[10:11], vcc
	s_cbranch_execz .LBB893_279
; %bb.278:
	v_and_b32_e32 v55, 7, v37
	v_ffbh_u32_e32 v57, v55
	v_min_u32_e32 v59, 32, v57
	v_mov_b32_e32 v56, v37
	v_subrev_u32_e32 v57, 28, v59
	v_lshlrev_b64 v[56:57], v57, v[56:57]
	v_lshrrev_b32_e32 v58, 3, v34
	v_sub_u32_e32 v57, 29, v59
	v_and_b32_e32 v56, 7, v56
	v_cmp_gt_u32_e32 vcc, 8, v34
	v_cndmask_b32_e32 v34, v58, v57, vcc
	v_cndmask_b32_e32 v55, v55, v56, vcc
	v_lshlrev_b32_e32 v56, 24, v37
	v_bfrev_b32_e32 v57, 60
	v_lshlrev_b32_e32 v55, 20, v55
	v_and_b32_e32 v56, 0x80000000, v56
	v_lshl_add_u32 v34, v34, 23, v57
	v_or3_b32 v34, v56, v34, v55
	v_lshrrev_b32_e32 v55, 16, v34
.LBB893_279:
	s_or_b64 exec, exec, s[10:11]
.LBB893_280:
	s_or_b64 exec, exec, s[8:9]
.LBB893_281:
	s_or_b64 exec, exec, s[2:3]
	v_lshrrev_b16_e32 v34, 8, v37
	v_cmp_ne_u16_e32 vcc, 0, v34
	s_and_saveexec_b64 s[2:3], vcc
	s_cbranch_execz .LBB893_287
; %bb.282:
	s_movk_i32 s8, 0x80
	v_cmp_ne_u16_e32 vcc, s8, v34
	v_mov_b32_e32 v36, 0xffff8000
	s_and_saveexec_b64 s[8:9], vcc
	s_cbranch_execz .LBB893_286
; %bb.283:
	s_movk_i32 s10, 0x7f
	v_and_b32_e32 v56, 0x7f, v34
	v_cmp_ne_u32_e32 vcc, s10, v56
	v_mov_b32_e32 v36, 0x7f80
	s_and_saveexec_b64 s[10:11], vcc
	s_cbranch_execz .LBB893_285
; %bb.284:
	v_and_b32_e32 v36, 7, v34
	v_ffbh_u32_e32 v58, v36
	v_min_u32_e32 v60, 32, v58
	v_subrev_u32_e32 v58, 28, v60
	v_lshlrev_b64 v[58:59], v58, v[34:35]
	v_lshrrev_b32_e32 v57, 3, v56
	v_sub_u32_e32 v34, 29, v60
	v_and_b32_e32 v58, 7, v58
	v_cmp_gt_u32_e32 vcc, 8, v56
	v_cndmask_b32_e32 v34, v57, v34, vcc
	v_cndmask_b32_e32 v36, v36, v58, vcc
	v_lshlrev_b32_e32 v56, 16, v37
	v_bfrev_b32_e32 v57, 60
	v_lshlrev_b32_e32 v36, 20, v36
	v_and_b32_e32 v56, 0x80000000, v56
	v_lshl_add_u32 v34, v34, 23, v57
	v_or3_b32 v34, v56, v34, v36
	v_lshrrev_b32_e32 v36, 16, v34
.LBB893_285:
	s_or_b64 exec, exec, s[10:11]
.LBB893_286:
	s_or_b64 exec, exec, s[8:9]
.LBB893_287:
	s_or_b64 exec, exec, s[2:3]
	s_movk_i32 s2, 0xff
	v_and_b32_sdwa v58, v37, s2 dst_sel:DWORD dst_unused:UNUSED_PAD src0_sel:WORD_1 src1_sel:DWORD
	v_lshrrev_b32_e32 v34, 16, v37
	v_cmp_ne_u16_e32 vcc, 0, v58
	v_mov_b32_e32 v56, 0
	v_mov_b32_e32 v57, 0
	s_and_saveexec_b64 s[2:3], vcc
	s_cbranch_execz .LBB893_293
; %bb.288:
	s_movk_i32 s8, 0x80
	v_cmp_ne_u16_e32 vcc, s8, v58
	v_mov_b32_e32 v57, 0xffff8000
	s_and_saveexec_b64 s[8:9], vcc
	s_cbranch_execz .LBB893_292
; %bb.289:
	v_bfe_u32 v58, v37, 16, 7
	s_movk_i32 s10, 0x7f
	v_cmp_ne_u32_e32 vcc, s10, v58
	v_mov_b32_e32 v57, 0x7f80
	s_and_saveexec_b64 s[10:11], vcc
	s_cbranch_execz .LBB893_291
; %bb.290:
	v_and_b32_e32 v57, 7, v34
	v_ffbh_u32_e32 v60, v57
	v_min_u32_e32 v62, 32, v60
	v_subrev_u32_e32 v60, 28, v62
	v_lshlrev_b64 v[60:61], v60, v[34:35]
	v_lshrrev_b32_e32 v59, 3, v58
	v_sub_u32_e32 v34, 29, v62
	v_and_b32_e32 v60, 7, v60
	v_cmp_gt_u32_e32 vcc, 8, v58
	v_mov_b32_e32 v58, 24
	v_cndmask_b32_e32 v34, v59, v34, vcc
	v_cndmask_b32_e32 v57, v57, v60, vcc
	v_lshlrev_b32_sdwa v58, v58, v37 dst_sel:DWORD dst_unused:UNUSED_PAD src0_sel:DWORD src1_sel:WORD_1
	v_bfrev_b32_e32 v59, 60
	v_lshlrev_b32_e32 v57, 20, v57
	v_and_b32_e32 v58, 0x80000000, v58
	v_lshl_add_u32 v34, v34, 23, v59
	v_or3_b32 v34, v58, v34, v57
	v_lshrrev_b32_e32 v57, 16, v34
.LBB893_291:
	s_or_b64 exec, exec, s[10:11]
.LBB893_292:
	s_or_b64 exec, exec, s[8:9]
.LBB893_293:
	s_or_b64 exec, exec, s[2:3]
	s_mov_b32 s2, 0xffffff
	v_cmp_lt_u32_e32 vcc, s2, v37
	s_and_saveexec_b64 s[2:3], vcc
	s_cbranch_execz .LBB893_299
; %bb.294:
	v_lshrrev_b32_e32 v34, 24, v37
	s_movk_i32 s8, 0x80
	v_cmp_ne_u32_e32 vcc, s8, v34
	v_mov_b32_e32 v56, 0xffff8000
	s_and_saveexec_b64 s[8:9], vcc
	s_cbranch_execz .LBB893_298
; %bb.295:
	v_bfe_u32 v37, v37, 24, 7
	s_movk_i32 s10, 0x7f
	v_cmp_ne_u32_e32 vcc, s10, v37
	v_mov_b32_e32 v56, 0x7f80
	s_and_saveexec_b64 s[10:11], vcc
	s_cbranch_execz .LBB893_297
; %bb.296:
	v_and_b32_e32 v56, 7, v34
	v_ffbh_u32_e32 v58, v56
	v_min_u32_e32 v61, 32, v58
	v_subrev_u32_e32 v58, 28, v61
	v_lshlrev_b64 v[58:59], v58, v[34:35]
	v_lshrrev_b32_e32 v60, 3, v37
	v_sub_u32_e32 v59, 29, v61
	v_and_b32_e32 v58, 7, v58
	v_cmp_gt_u32_e32 vcc, 8, v37
	v_cndmask_b32_e32 v37, v60, v59, vcc
	v_cndmask_b32_e32 v56, v56, v58, vcc
	v_lshlrev_b32_e32 v34, 24, v34
	v_bfrev_b32_e32 v58, 60
	v_lshlrev_b32_e32 v56, 20, v56
	v_and_b32_e32 v34, 0x80000000, v34
	v_lshl_add_u32 v37, v37, 23, v58
	v_or3_b32 v34, v34, v37, v56
	v_lshrrev_b32_e32 v56, 16, v34
.LBB893_297:
	s_or_b64 exec, exec, s[10:11]
.LBB893_298:
	s_or_b64 exec, exec, s[8:9]
.LBB893_299:
	s_or_b64 exec, exec, s[2:3]
	s_mov_b32 s2, 0x5040100
	v_perm_b32 v53, v53, v54, s2
	v_perm_b32 v52, v35, v52, s2
	;; [unrolled: 1-line block ×4, first 2 shown]
	v_mfma_f32_16x16x16bf16_1k v[58:61], v[52:53], v[18:19], v[42:45]
	s_nop 6
	v_mov_b32_e32 v43, 0
	s_waitcnt vmcnt(4)
	v_cmp_ne_u16_sdwa s[8:9], v22, v43 src0_sel:BYTE_0 src1_sel:DWORD
	v_mfma_f32_16x16x16bf16_1k v[34:37], v[34:35], v[20:21], v[58:61]
	v_mov_b32_e32 v44, 0
	s_and_saveexec_b64 s[2:3], s[8:9]
	s_cbranch_execz .LBB893_305
; %bb.300:
	s_movk_i32 s8, 0x80
	v_cmp_ne_u16_sdwa s[10:11], v22, s8 src0_sel:BYTE_0 src1_sel:DWORD
	v_mov_b32_e32 v44, 0xffff8000
	s_and_saveexec_b64 s[8:9], s[10:11]
	s_cbranch_execz .LBB893_304
; %bb.301:
	s_movk_i32 s10, 0x7f
	v_and_b32_e32 v42, 0x7f, v22
	v_cmp_ne_u32_e32 vcc, s10, v42
	v_mov_b32_e32 v44, 0x7f80
	s_and_saveexec_b64 s[10:11], vcc
	s_cbranch_execz .LBB893_303
; %bb.302:
	v_and_b32_e32 v52, 7, v22
	v_ffbh_u32_e32 v44, v52
	v_min_u32_e32 v54, 32, v44
	v_subrev_u32_e32 v44, 28, v54
	v_lshlrev_b64 v[44:45], v44, v[22:23]
	v_lshrrev_b32_e32 v53, 3, v42
	v_sub_u32_e32 v45, 29, v54
	v_and_b32_e32 v44, 7, v44
	v_cmp_gt_u32_e32 vcc, 8, v42
	v_cndmask_b32_e32 v42, v53, v45, vcc
	v_cndmask_b32_e32 v44, v52, v44, vcc
	v_lshlrev_b32_e32 v45, 24, v22
	v_bfrev_b32_e32 v52, 60
	v_lshlrev_b32_e32 v44, 20, v44
	v_and_b32_e32 v45, 0x80000000, v45
	v_lshl_add_u32 v42, v42, 23, v52
	v_or3_b32 v42, v45, v42, v44
	v_lshrrev_b32_e32 v44, 16, v42
.LBB893_303:
	s_or_b64 exec, exec, s[10:11]
.LBB893_304:
	s_or_b64 exec, exec, s[8:9]
.LBB893_305:
	s_or_b64 exec, exec, s[2:3]
	v_lshrrev_b16_e32 v42, 8, v22
	v_cmp_ne_u16_e32 vcc, 0, v42
	s_and_saveexec_b64 s[2:3], vcc
	s_cbranch_execz .LBB893_311
; %bb.306:
	s_movk_i32 s8, 0x80
	v_cmp_ne_u16_e32 vcc, s8, v42
	v_mov_b32_e32 v43, 0xffff8000
	s_and_saveexec_b64 s[8:9], vcc
	s_cbranch_execz .LBB893_310
; %bb.307:
	s_movk_i32 s10, 0x7f
	v_and_b32_e32 v45, 0x7f, v42
	v_cmp_ne_u32_e32 vcc, s10, v45
	v_mov_b32_e32 v43, 0x7f80
	s_and_saveexec_b64 s[10:11], vcc
	s_cbranch_execz .LBB893_309
; %bb.308:
	v_and_b32_e32 v52, 7, v42
	v_ffbh_u32_e32 v43, v52
	v_min_u32_e32 v54, 32, v43
	v_subrev_u32_e32 v43, 28, v54
	v_lshlrev_b64 v[42:43], v43, v[42:43]
	v_lshrrev_b32_e32 v53, 3, v45
	v_sub_u32_e32 v43, 29, v54
	v_and_b32_e32 v42, 7, v42
	v_cmp_gt_u32_e32 vcc, 8, v45
	v_cndmask_b32_e32 v43, v53, v43, vcc
	v_cndmask_b32_e32 v42, v52, v42, vcc
	v_lshlrev_b32_e32 v45, 16, v22
	v_bfrev_b32_e32 v52, 60
	v_lshlrev_b32_e32 v42, 20, v42
	v_and_b32_e32 v45, 0x80000000, v45
	v_lshl_add_u32 v43, v43, 23, v52
	v_or3_b32 v42, v45, v43, v42
	v_lshrrev_b32_e32 v43, 16, v42
.LBB893_309:
	s_or_b64 exec, exec, s[10:11]
.LBB893_310:
	s_or_b64 exec, exec, s[8:9]
.LBB893_311:
	s_or_b64 exec, exec, s[2:3]
	s_movk_i32 s2, 0xff
	v_and_b32_sdwa v53, v22, s2 dst_sel:DWORD dst_unused:UNUSED_PAD src0_sel:WORD_1 src1_sel:DWORD
	v_lshrrev_b32_e32 v42, 16, v22
	v_cmp_ne_u16_e32 vcc, 0, v53
	v_mov_b32_e32 v45, 0
	v_mov_b32_e32 v52, 0
	s_and_saveexec_b64 s[2:3], vcc
	s_cbranch_execz .LBB893_317
; %bb.312:
	s_movk_i32 s8, 0x80
	v_cmp_ne_u16_e32 vcc, s8, v53
	v_mov_b32_e32 v52, 0xffff8000
	s_and_saveexec_b64 s[8:9], vcc
	s_cbranch_execz .LBB893_316
; %bb.313:
	v_bfe_u32 v53, v22, 16, 7
	s_movk_i32 s10, 0x7f
	v_cmp_ne_u32_e32 vcc, s10, v53
	v_mov_b32_e32 v52, 0x7f80
	s_and_saveexec_b64 s[10:11], vcc
	s_cbranch_execz .LBB893_315
; %bb.314:
	v_and_b32_e32 v52, 7, v42
	v_ffbh_u32_e32 v54, v52
	v_min_u32_e32 v57, 32, v54
	v_subrev_u32_e32 v54, 28, v57
	v_lshlrev_b64 v[54:55], v54, v[42:43]
	v_lshrrev_b32_e32 v56, 3, v53
	v_sub_u32_e32 v42, 29, v57
	v_and_b32_e32 v54, 7, v54
	v_cmp_gt_u32_e32 vcc, 8, v53
	v_mov_b32_e32 v53, 24
	v_cndmask_b32_e32 v42, v56, v42, vcc
	v_cndmask_b32_e32 v52, v52, v54, vcc
	v_lshlrev_b32_sdwa v53, v53, v22 dst_sel:DWORD dst_unused:UNUSED_PAD src0_sel:DWORD src1_sel:WORD_1
	v_bfrev_b32_e32 v54, 60
	v_lshlrev_b32_e32 v52, 20, v52
	v_and_b32_e32 v53, 0x80000000, v53
	v_lshl_add_u32 v42, v42, 23, v54
	v_or3_b32 v42, v53, v42, v52
	v_lshrrev_b32_e32 v52, 16, v42
.LBB893_315:
	s_or_b64 exec, exec, s[10:11]
.LBB893_316:
	s_or_b64 exec, exec, s[8:9]
.LBB893_317:
	s_or_b64 exec, exec, s[2:3]
	s_mov_b32 s2, 0xffffff
	v_cmp_lt_u32_e32 vcc, s2, v22
	s_and_saveexec_b64 s[2:3], vcc
	s_cbranch_execz .LBB893_323
; %bb.318:
	v_lshrrev_b32_e32 v42, 24, v22
	s_movk_i32 s8, 0x80
	v_cmp_ne_u32_e32 vcc, s8, v42
	v_mov_b32_e32 v45, 0xffff8000
	s_and_saveexec_b64 s[8:9], vcc
	s_cbranch_execz .LBB893_322
; %bb.319:
	v_bfe_u32 v22, v22, 24, 7
	s_movk_i32 s10, 0x7f
	v_cmp_ne_u32_e32 vcc, s10, v22
	v_mov_b32_e32 v45, 0x7f80
	s_and_saveexec_b64 s[10:11], vcc
	s_cbranch_execz .LBB893_321
; %bb.320:
	v_and_b32_e32 v45, 7, v42
	v_ffbh_u32_e32 v54, v45
	v_min_u32_e32 v56, 32, v54
	v_subrev_u32_e32 v54, 28, v56
	v_lshlrev_b64 v[54:55], v54, v[42:43]
	v_lshrrev_b32_e32 v53, 3, v22
	v_sub_u32_e32 v55, 29, v56
	v_and_b32_e32 v54, 7, v54
	v_cmp_gt_u32_e32 vcc, 8, v22
	v_cndmask_b32_e32 v22, v53, v55, vcc
	v_cndmask_b32_e32 v45, v45, v54, vcc
	v_lshlrev_b32_e32 v42, 24, v42
	v_bfrev_b32_e32 v53, 60
	v_lshlrev_b32_e32 v45, 20, v45
	v_and_b32_e32 v42, 0x80000000, v42
	v_lshl_add_u32 v22, v22, 23, v53
	v_or3_b32 v22, v42, v22, v45
	v_lshrrev_b32_e32 v45, 16, v22
.LBB893_321:
	s_or_b64 exec, exec, s[10:11]
.LBB893_322:
	s_or_b64 exec, exec, s[8:9]
.LBB893_323:
	s_or_b64 exec, exec, s[2:3]
	v_mov_b32_e32 v42, 0
	v_cmp_ne_u16_sdwa s[8:9], v23, v42 src0_sel:BYTE_0 src1_sel:DWORD
	v_mov_b32_e32 v53, 0
	s_and_saveexec_b64 s[2:3], s[8:9]
	s_cbranch_execz .LBB893_329
; %bb.324:
	s_movk_i32 s8, 0x80
	v_cmp_ne_u16_sdwa s[10:11], v23, s8 src0_sel:BYTE_0 src1_sel:DWORD
	v_mov_b32_e32 v53, 0xffff8000
	s_and_saveexec_b64 s[8:9], s[10:11]
	s_cbranch_execz .LBB893_328
; %bb.325:
	s_movk_i32 s10, 0x7f
	v_and_b32_e32 v22, 0x7f, v23
	v_cmp_ne_u32_e32 vcc, s10, v22
	v_mov_b32_e32 v53, 0x7f80
	s_and_saveexec_b64 s[10:11], vcc
	s_cbranch_execz .LBB893_327
; %bb.326:
	v_and_b32_e32 v53, 7, v23
	v_ffbh_u32_e32 v55, v53
	v_min_u32_e32 v57, 32, v55
	v_mov_b32_e32 v54, v23
	v_subrev_u32_e32 v55, 28, v57
	v_lshlrev_b64 v[54:55], v55, v[54:55]
	v_lshrrev_b32_e32 v56, 3, v22
	v_sub_u32_e32 v55, 29, v57
	v_and_b32_e32 v54, 7, v54
	v_cmp_gt_u32_e32 vcc, 8, v22
	v_cndmask_b32_e32 v22, v56, v55, vcc
	v_cndmask_b32_e32 v53, v53, v54, vcc
	v_lshlrev_b32_e32 v54, 24, v23
	v_bfrev_b32_e32 v55, 60
	v_lshlrev_b32_e32 v53, 20, v53
	v_and_b32_e32 v54, 0x80000000, v54
	v_lshl_add_u32 v22, v22, 23, v55
	v_or3_b32 v22, v54, v22, v53
	v_lshrrev_b32_e32 v53, 16, v22
.LBB893_327:
	s_or_b64 exec, exec, s[10:11]
.LBB893_328:
	s_or_b64 exec, exec, s[8:9]
.LBB893_329:
	s_or_b64 exec, exec, s[2:3]
	v_lshrrev_b16_e32 v22, 8, v23
	v_cmp_ne_u16_e32 vcc, 0, v22
	s_and_saveexec_b64 s[2:3], vcc
	s_cbranch_execz .LBB893_335
; %bb.330:
	s_movk_i32 s8, 0x80
	v_cmp_ne_u16_e32 vcc, s8, v22
	v_mov_b32_e32 v42, 0xffff8000
	s_and_saveexec_b64 s[8:9], vcc
	s_cbranch_execz .LBB893_334
; %bb.331:
	s_movk_i32 s10, 0x7f
	v_and_b32_e32 v54, 0x7f, v22
	v_cmp_ne_u32_e32 vcc, s10, v54
	v_mov_b32_e32 v42, 0x7f80
	s_and_saveexec_b64 s[10:11], vcc
	s_cbranch_execz .LBB893_333
; %bb.332:
	v_and_b32_e32 v42, 7, v22
	v_ffbh_u32_e32 v56, v42
	v_min_u32_e32 v58, 32, v56
	v_subrev_u32_e32 v56, 28, v58
	v_lshlrev_b64 v[56:57], v56, v[22:23]
	v_lshrrev_b32_e32 v55, 3, v54
	v_sub_u32_e32 v22, 29, v58
	v_and_b32_e32 v56, 7, v56
	v_cmp_gt_u32_e32 vcc, 8, v54
	v_cndmask_b32_e32 v22, v55, v22, vcc
	v_cndmask_b32_e32 v42, v42, v56, vcc
	v_lshlrev_b32_e32 v54, 16, v23
	v_bfrev_b32_e32 v55, 60
	v_lshlrev_b32_e32 v42, 20, v42
	v_and_b32_e32 v54, 0x80000000, v54
	v_lshl_add_u32 v22, v22, 23, v55
	v_or3_b32 v22, v54, v22, v42
	v_lshrrev_b32_e32 v42, 16, v22
.LBB893_333:
	s_or_b64 exec, exec, s[10:11]
.LBB893_334:
	s_or_b64 exec, exec, s[8:9]
.LBB893_335:
	s_or_b64 exec, exec, s[2:3]
	s_movk_i32 s2, 0xff
	v_and_b32_sdwa v56, v23, s2 dst_sel:DWORD dst_unused:UNUSED_PAD src0_sel:WORD_1 src1_sel:DWORD
	v_lshrrev_b32_e32 v22, 16, v23
	v_cmp_ne_u16_e32 vcc, 0, v56
	v_mov_b32_e32 v54, 0
	v_mov_b32_e32 v55, 0
	s_and_saveexec_b64 s[2:3], vcc
	s_cbranch_execz .LBB893_341
; %bb.336:
	s_movk_i32 s8, 0x80
	v_cmp_ne_u16_e32 vcc, s8, v56
	v_mov_b32_e32 v55, 0xffff8000
	s_and_saveexec_b64 s[8:9], vcc
	s_cbranch_execz .LBB893_340
; %bb.337:
	v_bfe_u32 v56, v23, 16, 7
	s_movk_i32 s10, 0x7f
	v_cmp_ne_u32_e32 vcc, s10, v56
	v_mov_b32_e32 v55, 0x7f80
	s_and_saveexec_b64 s[10:11], vcc
	s_cbranch_execz .LBB893_339
; %bb.338:
	v_and_b32_e32 v55, 7, v22
	v_ffbh_u32_e32 v58, v55
	v_min_u32_e32 v60, 32, v58
	v_subrev_u32_e32 v58, 28, v60
	v_lshlrev_b64 v[58:59], v58, v[22:23]
	v_lshrrev_b32_e32 v57, 3, v56
	v_sub_u32_e32 v22, 29, v60
	v_and_b32_e32 v58, 7, v58
	v_cmp_gt_u32_e32 vcc, 8, v56
	v_mov_b32_e32 v56, 24
	v_cndmask_b32_e32 v22, v57, v22, vcc
	v_cndmask_b32_e32 v55, v55, v58, vcc
	v_lshlrev_b32_sdwa v56, v56, v23 dst_sel:DWORD dst_unused:UNUSED_PAD src0_sel:DWORD src1_sel:WORD_1
	v_bfrev_b32_e32 v57, 60
	v_lshlrev_b32_e32 v55, 20, v55
	v_and_b32_e32 v56, 0x80000000, v56
	v_lshl_add_u32 v22, v22, 23, v57
	v_or3_b32 v22, v56, v22, v55
	v_lshrrev_b32_e32 v55, 16, v22
.LBB893_339:
	s_or_b64 exec, exec, s[10:11]
.LBB893_340:
	s_or_b64 exec, exec, s[8:9]
.LBB893_341:
	s_or_b64 exec, exec, s[2:3]
	s_mov_b32 s2, 0xffffff
	v_cmp_lt_u32_e32 vcc, s2, v23
	s_and_saveexec_b64 s[2:3], vcc
	s_cbranch_execz .LBB893_347
; %bb.342:
	v_lshrrev_b32_e32 v22, 24, v23
	s_movk_i32 s8, 0x80
	v_cmp_ne_u32_e32 vcc, s8, v22
	v_mov_b32_e32 v54, 0xffff8000
	s_and_saveexec_b64 s[8:9], vcc
	s_cbranch_execz .LBB893_346
; %bb.343:
	v_bfe_u32 v23, v23, 24, 7
	s_movk_i32 s10, 0x7f
	v_cmp_ne_u32_e32 vcc, s10, v23
	v_mov_b32_e32 v54, 0x7f80
	s_and_saveexec_b64 s[10:11], vcc
	s_cbranch_execz .LBB893_345
; %bb.344:
	v_and_b32_e32 v54, 7, v22
	v_ffbh_u32_e32 v56, v54
	v_min_u32_e32 v59, 32, v56
	v_subrev_u32_e32 v56, 28, v59
	v_lshlrev_b64 v[56:57], v56, v[22:23]
	v_lshrrev_b32_e32 v58, 3, v23
	v_sub_u32_e32 v57, 29, v59
	v_and_b32_e32 v56, 7, v56
	v_cmp_gt_u32_e32 vcc, 8, v23
	v_cndmask_b32_e32 v23, v58, v57, vcc
	v_cndmask_b32_e32 v54, v54, v56, vcc
	v_lshlrev_b32_e32 v22, 24, v22
	v_bfrev_b32_e32 v56, 60
	v_lshlrev_b32_e32 v54, 20, v54
	v_and_b32_e32 v22, 0x80000000, v22
	v_lshl_add_u32 v23, v23, 23, v56
	v_or3_b32 v22, v22, v23, v54
	v_lshrrev_b32_e32 v54, 16, v22
.LBB893_345:
	s_or_b64 exec, exec, s[10:11]
.LBB893_346:
	s_or_b64 exec, exec, s[8:9]
.LBB893_347:
	s_or_b64 exec, exec, s[2:3]
	s_mov_b32 s2, 0x5040100
	v_perm_b32 v23, v45, v52, s2
	v_perm_b32 v22, v43, v44, s2
	s_nop 1
	v_mfma_f32_16x16x16bf16_1k v[56:59], v[22:23], v[26:27], 0
	v_perm_b32 v27, v54, v55, s2
	v_perm_b32 v26, v42, v53, s2
	v_mov_b32_e32 v23, 0
	v_cmp_ne_u16_sdwa s[8:9], v24, v23 src0_sel:BYTE_0 src1_sel:DWORD
	v_mov_b32_e32 v42, 0
	v_mfma_f32_16x16x16bf16_1k v[26:29], v[26:27], v[28:29], v[56:59]
	s_and_saveexec_b64 s[2:3], s[8:9]
	s_cbranch_execz .LBB893_353
; %bb.348:
	s_movk_i32 s8, 0x80
	v_cmp_ne_u16_sdwa s[10:11], v24, s8 src0_sel:BYTE_0 src1_sel:DWORD
	v_mov_b32_e32 v42, 0xffff8000
	s_and_saveexec_b64 s[8:9], s[10:11]
	s_cbranch_execz .LBB893_352
; %bb.349:
	s_movk_i32 s10, 0x7f
	v_and_b32_e32 v22, 0x7f, v24
	v_cmp_ne_u32_e32 vcc, s10, v22
	v_mov_b32_e32 v42, 0x7f80
	s_and_saveexec_b64 s[10:11], vcc
	s_cbranch_execz .LBB893_351
; %bb.350:
	v_and_b32_e32 v44, 7, v24
	v_ffbh_u32_e32 v42, v44
	v_min_u32_e32 v52, 32, v42
	v_subrev_u32_e32 v42, 28, v52
	v_lshlrev_b64 v[42:43], v42, v[24:25]
	v_lshrrev_b32_e32 v45, 3, v22
	v_sub_u32_e32 v43, 29, v52
	v_and_b32_e32 v42, 7, v42
	v_cmp_gt_u32_e32 vcc, 8, v22
	v_cndmask_b32_e32 v22, v45, v43, vcc
	v_cndmask_b32_e32 v42, v44, v42, vcc
	v_lshlrev_b32_e32 v43, 24, v24
	v_bfrev_b32_e32 v44, 60
	v_lshlrev_b32_e32 v42, 20, v42
	v_and_b32_e32 v43, 0x80000000, v43
	v_lshl_add_u32 v22, v22, 23, v44
	v_or3_b32 v22, v43, v22, v42
	v_lshrrev_b32_e32 v42, 16, v22
.LBB893_351:
	s_or_b64 exec, exec, s[10:11]
.LBB893_352:
	s_or_b64 exec, exec, s[8:9]
.LBB893_353:
	s_or_b64 exec, exec, s[2:3]
	v_lshrrev_b16_e32 v22, 8, v24
	v_cmp_ne_u16_e32 vcc, 0, v22
	s_and_saveexec_b64 s[2:3], vcc
	s_cbranch_execz .LBB893_359
; %bb.354:
	s_movk_i32 s8, 0x80
	v_cmp_ne_u16_e32 vcc, s8, v22
	v_mov_b32_e32 v23, 0xffff8000
	s_and_saveexec_b64 s[8:9], vcc
	s_cbranch_execz .LBB893_358
; %bb.355:
	s_movk_i32 s10, 0x7f
	v_and_b32_e32 v43, 0x7f, v22
	v_cmp_ne_u32_e32 vcc, s10, v43
	v_mov_b32_e32 v23, 0x7f80
	s_and_saveexec_b64 s[10:11], vcc
	s_cbranch_execz .LBB893_357
; %bb.356:
	v_and_b32_e32 v44, 7, v22
	v_ffbh_u32_e32 v23, v44
	v_min_u32_e32 v52, 32, v23
	v_subrev_u32_e32 v23, 28, v52
	v_lshlrev_b64 v[22:23], v23, v[22:23]
	v_lshrrev_b32_e32 v45, 3, v43
	v_sub_u32_e32 v23, 29, v52
	v_and_b32_e32 v22, 7, v22
	v_cmp_gt_u32_e32 vcc, 8, v43
	v_cndmask_b32_e32 v23, v45, v23, vcc
	v_cndmask_b32_e32 v22, v44, v22, vcc
	v_lshlrev_b32_e32 v43, 16, v24
	v_bfrev_b32_e32 v44, 60
	v_lshlrev_b32_e32 v22, 20, v22
	v_and_b32_e32 v43, 0x80000000, v43
	v_lshl_add_u32 v23, v23, 23, v44
	v_or3_b32 v22, v43, v23, v22
	v_lshrrev_b32_e32 v23, 16, v22
.LBB893_357:
	s_or_b64 exec, exec, s[10:11]
.LBB893_358:
	s_or_b64 exec, exec, s[8:9]
.LBB893_359:
	s_or_b64 exec, exec, s[2:3]
	s_movk_i32 s2, 0xff
	v_and_b32_sdwa v45, v24, s2 dst_sel:DWORD dst_unused:UNUSED_PAD src0_sel:WORD_1 src1_sel:DWORD
	v_lshrrev_b32_e32 v22, 16, v24
	v_cmp_ne_u16_e32 vcc, 0, v45
	v_mov_b32_e32 v43, 0
	v_mov_b32_e32 v44, 0
	s_and_saveexec_b64 s[2:3], vcc
	s_cbranch_execz .LBB893_365
; %bb.360:
	s_movk_i32 s8, 0x80
	v_cmp_ne_u16_e32 vcc, s8, v45
	v_mov_b32_e32 v44, 0xffff8000
	s_and_saveexec_b64 s[8:9], vcc
	s_cbranch_execz .LBB893_364
; %bb.361:
	v_bfe_u32 v45, v24, 16, 7
	s_movk_i32 s10, 0x7f
	v_cmp_ne_u32_e32 vcc, s10, v45
	v_mov_b32_e32 v44, 0x7f80
	s_and_saveexec_b64 s[10:11], vcc
	s_cbranch_execz .LBB893_363
; %bb.362:
	v_and_b32_e32 v44, 7, v22
	v_ffbh_u32_e32 v52, v44
	v_min_u32_e32 v55, 32, v52
	v_subrev_u32_e32 v52, 28, v55
	v_lshlrev_b64 v[52:53], v52, v[22:23]
	v_lshrrev_b32_e32 v54, 3, v45
	v_sub_u32_e32 v22, 29, v55
	v_and_b32_e32 v52, 7, v52
	v_cmp_gt_u32_e32 vcc, 8, v45
	v_mov_b32_e32 v45, 24
	v_cndmask_b32_e32 v22, v54, v22, vcc
	v_cndmask_b32_e32 v44, v44, v52, vcc
	v_lshlrev_b32_sdwa v45, v45, v24 dst_sel:DWORD dst_unused:UNUSED_PAD src0_sel:DWORD src1_sel:WORD_1
	v_bfrev_b32_e32 v52, 60
	v_lshlrev_b32_e32 v44, 20, v44
	v_and_b32_e32 v45, 0x80000000, v45
	v_lshl_add_u32 v22, v22, 23, v52
	v_or3_b32 v22, v45, v22, v44
	v_lshrrev_b32_e32 v44, 16, v22
.LBB893_363:
	s_or_b64 exec, exec, s[10:11]
.LBB893_364:
	s_or_b64 exec, exec, s[8:9]
.LBB893_365:
	s_or_b64 exec, exec, s[2:3]
	s_mov_b32 s2, 0xffffff
	v_cmp_lt_u32_e32 vcc, s2, v24
	s_and_saveexec_b64 s[2:3], vcc
	s_cbranch_execz .LBB893_371
; %bb.366:
	v_lshrrev_b32_e32 v22, 24, v24
	s_movk_i32 s8, 0x80
	v_cmp_ne_u32_e32 vcc, s8, v22
	v_mov_b32_e32 v43, 0xffff8000
	s_and_saveexec_b64 s[8:9], vcc
	s_cbranch_execz .LBB893_370
; %bb.367:
	v_bfe_u32 v24, v24, 24, 7
	s_movk_i32 s10, 0x7f
	v_cmp_ne_u32_e32 vcc, s10, v24
	v_mov_b32_e32 v43, 0x7f80
	s_and_saveexec_b64 s[10:11], vcc
	s_cbranch_execz .LBB893_369
; %bb.368:
	v_and_b32_e32 v43, 7, v22
	v_ffbh_u32_e32 v52, v43
	v_min_u32_e32 v54, 32, v52
	v_subrev_u32_e32 v52, 28, v54
	v_lshlrev_b64 v[52:53], v52, v[22:23]
	v_lshrrev_b32_e32 v45, 3, v24
	v_sub_u32_e32 v53, 29, v54
	v_and_b32_e32 v52, 7, v52
	v_cmp_gt_u32_e32 vcc, 8, v24
	v_cndmask_b32_e32 v24, v45, v53, vcc
	v_cndmask_b32_e32 v43, v43, v52, vcc
	v_lshlrev_b32_e32 v22, 24, v22
	v_bfrev_b32_e32 v45, 60
	v_lshlrev_b32_e32 v43, 20, v43
	v_and_b32_e32 v22, 0x80000000, v22
	v_lshl_add_u32 v24, v24, 23, v45
	v_or3_b32 v22, v22, v24, v43
	v_lshrrev_b32_e32 v43, 16, v22
.LBB893_369:
	s_or_b64 exec, exec, s[10:11]
.LBB893_370:
	s_or_b64 exec, exec, s[8:9]
.LBB893_371:
	s_or_b64 exec, exec, s[2:3]
	v_mov_b32_e32 v24, 0
	v_cmp_ne_u16_sdwa s[8:9], v25, v24 src0_sel:BYTE_0 src1_sel:DWORD
	v_mov_b32_e32 v52, 0
	s_and_saveexec_b64 s[2:3], s[8:9]
	s_cbranch_execz .LBB893_377
; %bb.372:
	s_movk_i32 s8, 0x80
	v_cmp_ne_u16_sdwa s[10:11], v25, s8 src0_sel:BYTE_0 src1_sel:DWORD
	v_mov_b32_e32 v52, 0xffff8000
	s_and_saveexec_b64 s[8:9], s[10:11]
	s_cbranch_execz .LBB893_376
; %bb.373:
	s_movk_i32 s10, 0x7f
	v_and_b32_e32 v22, 0x7f, v25
	v_cmp_ne_u32_e32 vcc, s10, v22
	v_mov_b32_e32 v52, 0x7f80
	s_and_saveexec_b64 s[10:11], vcc
	s_cbranch_execz .LBB893_375
; %bb.374:
	v_and_b32_e32 v45, 7, v25
	v_ffbh_u32_e32 v53, v45
	v_min_u32_e32 v55, 32, v53
	v_mov_b32_e32 v52, v25
	v_subrev_u32_e32 v53, 28, v55
	v_lshlrev_b64 v[52:53], v53, v[52:53]
	v_lshrrev_b32_e32 v54, 3, v22
	v_sub_u32_e32 v53, 29, v55
	v_and_b32_e32 v52, 7, v52
	v_cmp_gt_u32_e32 vcc, 8, v22
	v_cndmask_b32_e32 v22, v54, v53, vcc
	v_cndmask_b32_e32 v45, v45, v52, vcc
	v_lshlrev_b32_e32 v52, 24, v25
	v_bfrev_b32_e32 v53, 60
	v_lshlrev_b32_e32 v45, 20, v45
	v_and_b32_e32 v52, 0x80000000, v52
	v_lshl_add_u32 v22, v22, 23, v53
	v_or3_b32 v22, v52, v22, v45
	v_lshrrev_b32_e32 v52, 16, v22
.LBB893_375:
	s_or_b64 exec, exec, s[10:11]
.LBB893_376:
	s_or_b64 exec, exec, s[8:9]
.LBB893_377:
	s_or_b64 exec, exec, s[2:3]
	v_lshrrev_b16_e32 v22, 8, v25
	v_cmp_ne_u16_e32 vcc, 0, v22
	s_and_saveexec_b64 s[2:3], vcc
	s_cbranch_execz .LBB893_383
; %bb.378:
	s_movk_i32 s8, 0x80
	v_cmp_ne_u16_e32 vcc, s8, v22
	v_mov_b32_e32 v24, 0xffff8000
	s_and_saveexec_b64 s[8:9], vcc
	s_cbranch_execz .LBB893_382
; %bb.379:
	s_movk_i32 s10, 0x7f
	v_and_b32_e32 v45, 0x7f, v22
	v_cmp_ne_u32_e32 vcc, s10, v45
	v_mov_b32_e32 v24, 0x7f80
	s_and_saveexec_b64 s[10:11], vcc
	s_cbranch_execz .LBB893_381
; %bb.380:
	v_and_b32_e32 v24, 7, v22
	v_ffbh_u32_e32 v54, v24
	v_min_u32_e32 v56, 32, v54
	v_subrev_u32_e32 v54, 28, v56
	v_lshlrev_b64 v[54:55], v54, v[22:23]
	v_lshrrev_b32_e32 v53, 3, v45
	v_sub_u32_e32 v22, 29, v56
	v_and_b32_e32 v54, 7, v54
	v_cmp_gt_u32_e32 vcc, 8, v45
	v_cndmask_b32_e32 v22, v53, v22, vcc
	v_cndmask_b32_e32 v24, v24, v54, vcc
	v_lshlrev_b32_e32 v45, 16, v25
	v_bfrev_b32_e32 v53, 60
	v_lshlrev_b32_e32 v24, 20, v24
	v_and_b32_e32 v45, 0x80000000, v45
	v_lshl_add_u32 v22, v22, 23, v53
	v_or3_b32 v22, v45, v22, v24
	v_lshrrev_b32_e32 v24, 16, v22
.LBB893_381:
	s_or_b64 exec, exec, s[10:11]
.LBB893_382:
	s_or_b64 exec, exec, s[8:9]
.LBB893_383:
	s_or_b64 exec, exec, s[2:3]
	s_movk_i32 s2, 0xff
	v_and_b32_sdwa v45, v25, s2 dst_sel:DWORD dst_unused:UNUSED_PAD src0_sel:WORD_1 src1_sel:DWORD
	v_lshrrev_b32_e32 v22, 16, v25
	v_cmp_ne_u16_e32 vcc, 0, v45
	v_mov_b32_e32 v53, 0
	v_mov_b32_e32 v54, 0
	s_and_saveexec_b64 s[2:3], vcc
	s_cbranch_execz .LBB893_389
; %bb.384:
	s_movk_i32 s8, 0x80
	v_cmp_ne_u16_e32 vcc, s8, v45
	v_mov_b32_e32 v54, 0xffff8000
	s_and_saveexec_b64 s[8:9], vcc
	s_cbranch_execz .LBB893_388
; %bb.385:
	v_bfe_u32 v45, v25, 16, 7
	s_movk_i32 s10, 0x7f
	v_cmp_ne_u32_e32 vcc, s10, v45
	v_mov_b32_e32 v54, 0x7f80
	s_and_saveexec_b64 s[10:11], vcc
	s_cbranch_execz .LBB893_387
; %bb.386:
	v_and_b32_e32 v56, 7, v22
	v_ffbh_u32_e32 v54, v56
	v_min_u32_e32 v58, 32, v54
	v_subrev_u32_e32 v54, 28, v58
	v_lshlrev_b64 v[54:55], v54, v[22:23]
	v_and_b32_e32 v54, 7, v54
	v_cmp_gt_u32_e32 vcc, 8, v45
	v_lshrrev_b32_e32 v57, 3, v45
	v_sub_u32_e32 v22, 29, v58
	v_cndmask_b32_e32 v45, v56, v54, vcc
	v_mov_b32_e32 v54, 24
	v_cndmask_b32_e32 v22, v57, v22, vcc
	v_lshlrev_b32_sdwa v54, v54, v25 dst_sel:DWORD dst_unused:UNUSED_PAD src0_sel:DWORD src1_sel:WORD_1
	v_bfrev_b32_e32 v55, 60
	v_lshlrev_b32_e32 v45, 20, v45
	v_and_b32_e32 v54, 0x80000000, v54
	v_lshl_add_u32 v22, v22, 23, v55
	v_or3_b32 v22, v54, v22, v45
	v_lshrrev_b32_e32 v54, 16, v22
.LBB893_387:
	s_or_b64 exec, exec, s[10:11]
.LBB893_388:
	s_or_b64 exec, exec, s[8:9]
.LBB893_389:
	s_or_b64 exec, exec, s[2:3]
	s_mov_b32 s2, 0xffffff
	v_and_b32_e32 v45, 63, v0
	v_cmp_lt_u32_e32 vcc, s2, v25
	s_and_saveexec_b64 s[2:3], vcc
	s_cbranch_execz .LBB893_395
; %bb.390:
	v_lshrrev_b32_e32 v22, 24, v25
	s_movk_i32 s8, 0x80
	v_cmp_ne_u32_e32 vcc, s8, v22
	v_mov_b32_e32 v53, 0xffff8000
	s_and_saveexec_b64 s[8:9], vcc
	s_cbranch_execz .LBB893_394
; %bb.391:
	v_bfe_u32 v25, v25, 24, 7
	s_movk_i32 s10, 0x7f
	v_cmp_ne_u32_e32 vcc, s10, v25
	v_mov_b32_e32 v53, 0x7f80
	s_and_saveexec_b64 s[10:11], vcc
	s_cbranch_execz .LBB893_393
; %bb.392:
	v_and_b32_e32 v53, 7, v22
	v_ffbh_u32_e32 v56, v53
	v_min_u32_e32 v58, 32, v56
	v_subrev_u32_e32 v56, 28, v58
	v_lshlrev_b64 v[56:57], v56, v[22:23]
	v_lshrrev_b32_e32 v55, 3, v25
	v_sub_u32_e32 v57, 29, v58
	v_and_b32_e32 v56, 7, v56
	v_cmp_gt_u32_e32 vcc, 8, v25
	v_cndmask_b32_e32 v25, v55, v57, vcc
	v_cndmask_b32_e32 v53, v53, v56, vcc
	v_lshlrev_b32_e32 v22, 24, v22
	v_bfrev_b32_e32 v55, 60
	v_lshlrev_b32_e32 v53, 20, v53
	v_and_b32_e32 v22, 0x80000000, v22
	v_lshl_add_u32 v25, v25, 23, v55
	v_or3_b32 v22, v22, v25, v53
	v_lshrrev_b32_e32 v53, 16, v22
.LBB893_393:
	s_or_b64 exec, exec, s[10:11]
.LBB893_394:
	s_or_b64 exec, exec, s[8:9]
.LBB893_395:
	s_or_b64 exec, exec, s[2:3]
	s_mov_b32 s3, 0x5040100
	v_perm_b32 v43, v43, v44, s3
	v_perm_b32 v42, v23, v42, s3
	s_load_dword s2, s[4:5], 0x1c
	s_mov_b32 s46, 0xff7fffff
	s_waitcnt lgkmcnt(0)
	v_mfma_f32_16x16x16bf16_1k v[26:29], v[42:43], v[18:19], v[26:29]
	v_perm_b32 v19, v53, v54, s3
	v_perm_b32 v18, v24, v52, s3
	v_and_b32_e32 v24, 0xc0, v0
	v_mov_b32_e32 v22, s2
	v_add_u32_e32 v24, s20, v24
	v_mul_f32_e32 v44, s12, v22
	v_lshl_or_b32 v42, v1, 2, v24
	v_mfma_f32_16x16x16bf16_1k v[18:21], v[18:19], v[20:21], v[26:29]
	v_pk_mul_f32 v[22:23], v[44:45], v[36:37] op_sel_hi:[0,1]
	v_pk_mul_f32 v[36:37], v[44:45], v[40:41] op_sel_hi:[0,1]
	;; [unrolled: 1-line block ×4, first 2 shown]
	v_mov_b32_e32 v43, 0xff7fffff
	v_cmp_gt_i32_e64 s[26:27], s33, v42
	v_pk_mul_f32 v[38:39], v[44:45], v[38:39] op_sel_hi:[0,1]
	s_nop 3
	v_pk_mul_f32 v[32:33], v[44:45], v[18:19] op_sel_hi:[0,1]
	v_or_b32_e32 v19, 1, v42
	v_cmp_gt_i32_e64 s[28:29], s33, v19
	v_cndmask_b32_e64 v18, v43, v30, s[26:27]
	v_cndmask_b32_e64 v19, v43, v31, s[28:29]
	v_pk_mul_f32 v[24:25], v[44:45], v[20:21] op_sel_hi:[0,1]
	v_max3_f32 v18, v18, s46, v19
	v_or_b32_e32 v19, 2, v42
	v_or_b32_e32 v20, 3, v42
	v_cmp_gt_i32_e64 s[30:31], s33, v19
	v_cmp_gt_i32_e64 s[34:35], s33, v20
	v_cndmask_b32_e64 v19, v43, v40, s[30:31]
	v_cndmask_b32_e64 v20, v43, v41, s[34:35]
	v_max3_f32 v18, v18, v19, v20
	v_or_b32_e32 v19, 16, v42
	v_or_b32_e32 v20, 17, v42
	v_cmp_gt_i32_e64 s[36:37], s33, v19
	v_cmp_gt_i32_e64 s[38:39], s33, v20
	v_cndmask_b32_e64 v19, v43, v38, s[36:37]
	v_cndmask_b32_e64 v20, v43, v39, s[38:39]
	;; [unrolled: 7-line block ×3, first 2 shown]
	v_max3_f32 v18, v18, v19, v20
	v_or_b32_e32 v19, 32, v42
	v_or_b32_e32 v20, 33, v42
	v_pk_mul_f32 v[34:35], v[44:45], v[34:35] op_sel_hi:[0,1]
	v_cmp_gt_i32_e64 s[16:17], s33, v19
	v_cmp_gt_i32_e64 s[18:19], s33, v20
	v_cndmask_b32_e64 v19, v43, v34, s[16:17]
	v_cndmask_b32_e64 v20, v43, v35, s[18:19]
	v_max3_f32 v18, v18, v19, v20
	v_or_b32_e32 v19, 34, v42
	v_or_b32_e32 v20, 35, v42
	v_cmp_gt_i32_e64 s[12:13], s33, v19
	v_cmp_gt_i32_e64 s[14:15], s33, v20
	v_cndmask_b32_e64 v19, v43, v22, s[12:13]
	v_cndmask_b32_e64 v20, v43, v23, s[14:15]
	v_max3_f32 v18, v18, v19, v20
	v_or_b32_e32 v19, 48, v42
	v_or_b32_e32 v20, 49, v42
	;; [unrolled: 7-line block ×3, first 2 shown]
	v_cmp_gt_i32_e32 vcc, s33, v19
	v_cmp_gt_i32_e64 s[2:3], s33, v20
	v_cndmask_b32_e32 v19, v43, v24, vcc
	v_cndmask_b32_e64 v20, v43, v25, s[2:3]
	v_max3_f32 v18, v18, v19, v20
	v_mbcnt_lo_u32_b32 v19, -1, 0
	v_mbcnt_hi_u32_b32 v19, -1, v19
	v_and_b32_e32 v20, 64, v19
	v_add_u32_e32 v20, 64, v20
	v_xor_b32_e32 v21, 32, v19
	v_cmp_lt_i32_e64 s[40:41], v21, v20
	v_cndmask_b32_e64 v21, v19, v21, s[40:41]
	v_lshlrev_b32_e32 v43, 2, v21
	ds_bpermute_b32 v21, v43, v18
	s_barrier
	s_waitcnt lgkmcnt(0)
	v_max_f32_e32 v21, v21, v21
	v_max_f32_e32 v18, v18, v21
	v_xor_b32_e32 v21, 16, v19
	v_cmp_lt_i32_e64 s[40:41], v21, v20
	v_cndmask_b32_e64 v19, v19, v21, s[40:41]
	v_lshlrev_b32_e32 v44, 2, v19
	ds_bpermute_b32 v19, v44, v18
	s_waitcnt lgkmcnt(0)
	v_max_f32_e32 v19, v19, v19
	v_max_f32_e32 v42, v18, v19
	v_sub_f32_e32 v21, v40, v42
	v_sub_f32_e32 v26, v41, v42
	v_mul_f32_e32 v21, 0x3fb8aa3b, v21
	v_mul_f32_e32 v26, 0x3fb8aa3b, v26
	v_sub_f32_e32 v18, v30, v42
	v_exp_f32_e32 v21, v21
	v_exp_f32_e32 v26, v26
	v_mul_f32_e32 v18, 0x3fb8aa3b, v18
	v_sub_f32_e32 v19, v31, v42
	v_exp_f32_e32 v18, v18
	v_mul_f32_e32 v19, 0x3fb8aa3b, v19
	v_exp_f32_e32 v19, v19
	v_cndmask_b32_e64 v28, 0, v21, s[30:31]
	v_cndmask_b32_e64 v29, 0, v26, s[34:35]
	v_sub_f32_e32 v21, v38, v42
	v_sub_f32_e32 v26, v39, v42
	v_mul_f32_e32 v21, 0x3fb8aa3b, v21
	v_mul_f32_e32 v26, 0x3fb8aa3b, v26
	v_cndmask_b32_e64 v18, 0, v18, s[26:27]
	v_exp_f32_e32 v21, v21
	v_exp_f32_e32 v26, v26
	v_add_f32_e32 v20, 0, v18
	v_cndmask_b32_e64 v19, 0, v19, s[28:29]
	v_add_f32_e32 v20, v20, v19
	v_add_f32_e32 v20, v20, v28
	;; [unrolled: 1-line block ×3, first 2 shown]
	v_cndmask_b32_e64 v20, 0, v21, s[36:37]
	v_cndmask_b32_e64 v21, 0, v26, s[38:39]
	v_sub_f32_e32 v26, v36, v42
	v_mul_f32_e32 v26, 0x3fb8aa3b, v26
	v_exp_f32_e32 v26, v26
	v_sub_f32_e32 v30, v37, v42
	v_add_f32_e32 v27, v27, v20
	v_mul_f32_e32 v30, 0x3fb8aa3b, v30
	v_exp_f32_e32 v31, v30
	v_add_f32_e32 v27, v27, v21
	v_cndmask_b32_e64 v30, 0, v26, s[20:21]
	v_add_f32_e32 v26, v27, v30
	v_sub_f32_e32 v27, v34, v42
	v_mul_f32_e32 v27, 0x3fb8aa3b, v27
	v_sub_f32_e32 v34, v35, v42
	v_exp_f32_e32 v27, v27
	v_mul_f32_e32 v34, 0x3fb8aa3b, v34
	v_sub_f32_e32 v22, v22, v42
	v_exp_f32_e32 v34, v34
	;; [unrolled: 3-line block ×3, first 2 shown]
	v_mul_f32_e32 v23, 0x3fb8aa3b, v23
	v_cndmask_b32_e64 v31, 0, v31, s[22:23]
	v_exp_f32_e32 v23, v23
	v_add_f32_e32 v35, v26, v31
	v_cndmask_b32_e64 v26, 0, v27, s[16:17]
	v_add_f32_e32 v35, v35, v26
	v_cndmask_b32_e64 v27, 0, v34, s[18:19]
	;; [unrolled: 2-line block ×4, first 2 shown]
	v_sub_f32_e32 v23, v32, v42
	v_mul_f32_e32 v23, 0x3fb8aa3b, v23
	v_sub_f32_e32 v32, v33, v42
	v_exp_f32_e32 v23, v23
	v_mul_f32_e32 v32, 0x3fb8aa3b, v32
	v_sub_f32_e32 v24, v24, v42
	v_exp_f32_e32 v32, v32
	;; [unrolled: 3-line block ×3, first 2 shown]
	v_mul_f32_e32 v25, 0x3fb8aa3b, v25
	v_exp_f32_e32 v25, v25
	v_add_f32_e32 v33, v22, v35
	v_cndmask_b32_e64 v22, 0, v23, s[8:9]
	v_add_f32_e32 v33, v33, v22
	v_cndmask_b32_e64 v23, 0, v32, s[10:11]
	v_add_f32_e32 v32, v33, v23
	v_cndmask_b32_e32 v24, 0, v24, vcc
	v_add_f32_e32 v32, v32, v24
	v_cndmask_b32_e64 v25, 0, v25, s[2:3]
	v_add_f32_e32 v32, v32, v25
	ds_bpermute_b32 v33, v43, v32
	v_cmp_gt_u32_e32 vcc, 16, v45
	s_waitcnt lgkmcnt(0)
	v_add_f32_e32 v32, v32, v33
	ds_bpermute_b32 v36, v44, v32
	v_lshlrev_b32_e32 v33, 2, v50
	s_and_saveexec_b64 s[2:3], vcc
	s_cbranch_execz .LBB893_397
; %bb.396:
	s_waitcnt lgkmcnt(0)
	v_add_f32_e32 v32, v32, v36
	v_lshl_or_b32 v36, v49, 6, v33
	ds_write2st64_b32 v36, v42, v32 offset1:1
.LBB893_397:
	s_or_b64 exec, exec, s[2:3]
	s_waitcnt lgkmcnt(0)
	s_barrier
	ds_read2_b32 v[36:37], v33 offset1:16
	ds_read2_b32 v[38:39], v33 offset0:32 offset1:48
	ds_read2_b32 v[40:41], v33 offset0:64 offset1:80
	s_lshl_b32 s12, s45, 4
	s_waitcnt lgkmcnt(2)
	v_max3_f32 v32, v36, s46, v37
	s_waitcnt lgkmcnt(1)
	v_max3_f32 v32, v32, v38, v39
	v_sub_f32_e32 v36, v36, v32
	v_mul_f32_e32 v36, 0x3fb8aa3b, v36
	v_exp_f32_e32 v42, v36
	v_sub_f32_e32 v36, v37, v32
	v_mul_f32_e32 v36, 0x3fb8aa3b, v36
	v_exp_f32_e32 v43, v36
	;; [unrolled: 3-line block ×3, first 2 shown]
	ds_read2_b32 v[36:37], v33 offset0:96 offset1:112
	v_sub_f32_e32 v33, v39, v32
	v_mul_f32_e32 v33, 0x3fb8aa3b, v33
	v_exp_f32_e32 v39, v33
	s_waitcnt lgkmcnt(1)
	v_fma_f32 v33, v42, v40, 0
	v_fmac_f32_e32 v33, v43, v41
	s_waitcnt lgkmcnt(0)
	v_fmac_f32_e32 v33, v38, v36
	v_fmac_f32_e32 v33, v39, v37
	v_add_f32_e32 v36, 0x358637bd, v33
	v_div_scale_f32 v37, s[2:3], v36, v36, 1.0
	v_rcp_f32_e32 v40, v37
	s_movk_i32 s2, 0x7fff
	s_mov_b32 s3, 0x7060302
	v_fma_f32 v41, -v37, v40, 1.0
	v_fmac_f32_e32 v40, v41, v40
	v_div_scale_f32 v41, vcc, 1.0, v36, 1.0
	v_mul_f32_e32 v44, v41, v40
	v_fma_f32 v45, -v37, v44, v41
	v_fmac_f32_e32 v44, v45, v40
	v_fma_f32 v37, -v37, v44, v41
	v_div_fmas_f32 v37, v37, v40, v44
	v_cmp_eq_u32_e32 vcc, 1, v49
	v_div_fixup_f32 v36, v37, v36, 1.0
	v_cndmask_b32_e32 v37, v42, v43, vcc
	v_cmp_eq_u32_e32 vcc, 2, v49
	v_cndmask_b32_e32 v37, v37, v38, vcc
	v_cmp_eq_u32_e32 vcc, 3, v49
	v_cndmask_b32_e32 v37, v37, v39, vcc
	v_mul_f32_e32 v36, v37, v36
	v_pk_mul_f32 v[18:19], v[36:37], v[18:19] op_sel_hi:[0,1]
	v_pk_mul_f32 v[28:29], v[36:37], v[28:29] op_sel_hi:[0,1]
	v_bfe_u32 v37, v19, 16, 1
	v_bfe_u32 v38, v18, 16, 1
	v_add3_u32 v18, v18, v38, s2
	v_add3_u32 v19, v19, v37, s2
	v_perm_b32 v18, v19, v18, s3
	v_bfe_u32 v19, v29, 16, 1
	v_bfe_u32 v37, v28, 16, 1
	v_add3_u32 v28, v28, v37, s2
	v_add3_u32 v19, v29, v19, s2
	v_perm_b32 v19, v19, v28, s3
	v_lshlrev_b32_e32 v28, 3, v1
	v_lshlrev_b32_e32 v29, 11, v49
	v_pk_mul_f32 v[20:21], v[36:37], v[20:21] op_sel_hi:[0,1]
	v_or3_b32 v28, v29, v51, v28
	v_pk_mul_f32 v[30:31], v[36:37], v[30:31] op_sel_hi:[0,1]
	v_bfe_u32 v29, v21, 16, 1
	v_bfe_u32 v37, v20, 16, 1
	v_add3_u32 v20, v20, v37, s2
	v_add3_u32 v21, v21, v29, s2
	v_perm_b32 v20, v21, v20, s3
	v_bfe_u32 v21, v31, 16, 1
	v_bfe_u32 v29, v30, 16, 1
	v_add3_u32 v29, v30, v29, s2
	v_add3_u32 v21, v31, v21, s2
	v_perm_b32 v21, v21, v29, s3
	s_barrier
	ds_write2st64_b64 v28, v[18:19], v[20:21] offset1:1
	v_pk_mul_f32 v[20:21], v[36:37], v[26:27] op_sel_hi:[0,1]
	v_bfe_u32 v26, v21, 16, 1
	v_bfe_u32 v27, v20, 16, 1
	v_pk_mul_f32 v[18:19], v[36:37], v[34:35] op_sel_hi:[0,1]
	v_add3_u32 v20, v20, v27, s2
	v_add3_u32 v21, v21, v26, s2
	v_perm_b32 v20, v21, v20, s3
	v_bfe_u32 v21, v19, 16, 1
	v_bfe_u32 v26, v18, 16, 1
	v_add3_u32 v18, v18, v26, s2
	v_add3_u32 v19, v19, v21, s2
	v_pk_mul_f32 v[22:23], v[36:37], v[22:23] op_sel_hi:[0,1]
	v_perm_b32 v21, v19, v18, s3
	v_pk_mul_f32 v[18:19], v[36:37], v[24:25] op_sel_hi:[0,1]
	v_bfe_u32 v24, v23, 16, 1
	v_bfe_u32 v25, v22, 16, 1
	v_add3_u32 v22, v22, v25, s2
	v_add3_u32 v23, v23, v24, s2
	v_perm_b32 v22, v23, v22, s3
	v_bfe_u32 v23, v19, 16, 1
	v_bfe_u32 v24, v18, 16, 1
	v_add3_u32 v18, v18, v24, s2
	v_add3_u32 v19, v19, v23, s2
	v_perm_b32 v23, v19, v18, s3
	v_cmp_gt_u32_e32 vcc, 16, v0
	ds_write2st64_b64 v28, v[20:21], v[22:23] offset0:2 offset1:3
	s_and_saveexec_b64 s[2:3], vcc
	s_cbranch_execz .LBB893_399
; %bb.398:
	v_or_b32_e32 v18, s25, v0
	v_mov_b32_e32 v19, 0
	v_mov_b32_e32 v20, s12
	v_mad_u64_u32 v[20:21], s[14:15], s6, v20, v[18:19]
	v_mov_b32_e32 v18, s24
	s_load_dwordx4 s[8:11], s[4:5], 0x58
	s_mul_i32 s7, s7, s12
	v_mad_u64_u32 v[18:19], s[14:15], v20, s44, v[18:19]
	v_add_u32_e32 v21, s7, v21
	v_mov_b32_e32 v20, v19
	v_mad_u64_u32 v[20:21], s[14:15], v21, s44, v[20:21]
	v_mov_b32_e32 v19, v20
	v_lshlrev_b64 v[18:19], 2, v[18:19]
	s_waitcnt lgkmcnt(0)
	v_mov_b32_e32 v21, s11
	v_add_co_u32_e32 v20, vcc, s10, v18
	v_addc_co_u32_e32 v21, vcc, v21, v19, vcc
	global_store_dword v[20:21], v32, off
	v_mov_b32_e32 v20, s9
	v_add_co_u32_e32 v18, vcc, s8, v18
	v_addc_co_u32_e32 v19, vcc, v20, v19, vcc
	global_store_dword v[18:19], v33, off
.LBB893_399:
	s_or_b64 exec, exec, s[2:3]
	v_mov_b32_e32 v19, 0
	s_waitcnt vmcnt(3)
	v_cmp_ne_u16_sdwa s[8:9], v14, v19 src0_sel:BYTE_0 src1_sel:DWORD
	v_mov_b32_e32 v20, 0
	s_waitcnt lgkmcnt(0)
	s_barrier
	s_and_saveexec_b64 s[2:3], s[8:9]
	s_cbranch_execz .LBB893_405
; %bb.400:
	s_movk_i32 s7, 0x80
	v_cmp_ne_u16_sdwa s[10:11], v14, s7 src0_sel:BYTE_0 src1_sel:DWORD
	v_mov_b32_e32 v20, 0xffff8000
	s_and_saveexec_b64 s[8:9], s[10:11]
	s_cbranch_execz .LBB893_404
; %bb.401:
	s_movk_i32 s7, 0x7f
	v_and_b32_e32 v18, 0x7f, v14
	v_cmp_ne_u32_e32 vcc, s7, v18
	v_mov_b32_e32 v20, 0x7f80
	s_and_saveexec_b64 s[10:11], vcc
	s_cbranch_execz .LBB893_403
; %bb.402:
	v_and_b32_e32 v22, 7, v14
	v_ffbh_u32_e32 v20, v22
	v_min_u32_e32 v24, 32, v20
	v_subrev_u32_e32 v20, 28, v24
	v_lshlrev_b64 v[20:21], v20, v[14:15]
	v_lshrrev_b32_e32 v23, 3, v18
	v_sub_u32_e32 v21, 29, v24
	v_and_b32_e32 v20, 7, v20
	v_cmp_gt_u32_e32 vcc, 8, v18
	v_cndmask_b32_e32 v18, v23, v21, vcc
	v_cndmask_b32_e32 v20, v22, v20, vcc
	v_lshlrev_b32_e32 v21, 24, v14
	v_bfrev_b32_e32 v22, 60
	v_lshlrev_b32_e32 v20, 20, v20
	v_and_b32_e32 v21, 0x80000000, v21
	v_lshl_add_u32 v18, v18, 23, v22
	v_or3_b32 v18, v21, v18, v20
	v_lshrrev_b32_e32 v20, 16, v18
.LBB893_403:
	s_or_b64 exec, exec, s[10:11]
.LBB893_404:
	s_or_b64 exec, exec, s[8:9]
.LBB893_405:
	s_or_b64 exec, exec, s[2:3]
	v_lshrrev_b16_e32 v18, 8, v14
	v_cmp_ne_u16_e32 vcc, 0, v18
	s_and_saveexec_b64 s[2:3], vcc
	s_cbranch_execz .LBB893_411
; %bb.406:
	s_movk_i32 s7, 0x80
	v_cmp_ne_u16_e32 vcc, s7, v18
	v_mov_b32_e32 v19, 0xffff8000
	s_and_saveexec_b64 s[8:9], vcc
	s_cbranch_execz .LBB893_410
; %bb.407:
	s_movk_i32 s7, 0x7f
	v_and_b32_e32 v21, 0x7f, v18
	v_cmp_ne_u32_e32 vcc, s7, v21
	v_mov_b32_e32 v19, 0x7f80
	s_and_saveexec_b64 s[10:11], vcc
	s_cbranch_execz .LBB893_409
; %bb.408:
	v_and_b32_e32 v22, 7, v18
	v_ffbh_u32_e32 v19, v22
	v_min_u32_e32 v24, 32, v19
	v_subrev_u32_e32 v19, 28, v24
	v_lshlrev_b64 v[18:19], v19, v[18:19]
	v_lshrrev_b32_e32 v23, 3, v21
	v_sub_u32_e32 v19, 29, v24
	v_and_b32_e32 v18, 7, v18
	v_cmp_gt_u32_e32 vcc, 8, v21
	v_cndmask_b32_e32 v19, v23, v19, vcc
	v_cndmask_b32_e32 v18, v22, v18, vcc
	v_lshlrev_b32_e32 v21, 16, v14
	v_bfrev_b32_e32 v22, 60
	v_lshlrev_b32_e32 v18, 20, v18
	v_and_b32_e32 v21, 0x80000000, v21
	v_lshl_add_u32 v19, v19, 23, v22
	v_or3_b32 v18, v21, v19, v18
	v_lshrrev_b32_e32 v19, 16, v18
.LBB893_409:
	s_or_b64 exec, exec, s[10:11]
.LBB893_410:
	s_or_b64 exec, exec, s[8:9]
.LBB893_411:
	s_or_b64 exec, exec, s[2:3]
	s_movk_i32 s2, 0xff
	v_and_b32_sdwa v23, v14, s2 dst_sel:DWORD dst_unused:UNUSED_PAD src0_sel:WORD_1 src1_sel:DWORD
	v_lshrrev_b32_e32 v18, 16, v14
	v_cmp_ne_u16_e32 vcc, 0, v23
	v_mov_b32_e32 v21, 0
	v_mov_b32_e32 v22, 0
	s_and_saveexec_b64 s[2:3], vcc
	s_cbranch_execz .LBB893_417
; %bb.412:
	s_movk_i32 s7, 0x80
	v_cmp_ne_u16_e32 vcc, s7, v23
	v_mov_b32_e32 v22, 0xffff8000
	s_and_saveexec_b64 s[8:9], vcc
	s_cbranch_execz .LBB893_416
; %bb.413:
	v_bfe_u32 v23, v14, 16, 7
	s_movk_i32 s7, 0x7f
	v_cmp_ne_u32_e32 vcc, s7, v23
	v_mov_b32_e32 v22, 0x7f80
	s_and_saveexec_b64 s[10:11], vcc
	s_cbranch_execz .LBB893_415
; %bb.414:
	v_and_b32_e32 v22, 7, v18
	v_ffbh_u32_e32 v24, v22
	v_min_u32_e32 v27, 32, v24
	v_subrev_u32_e32 v24, 28, v27
	v_lshlrev_b64 v[24:25], v24, v[18:19]
	v_lshrrev_b32_e32 v26, 3, v23
	v_sub_u32_e32 v18, 29, v27
	v_and_b32_e32 v24, 7, v24
	v_cmp_gt_u32_e32 vcc, 8, v23
	v_mov_b32_e32 v23, 24
	v_cndmask_b32_e32 v18, v26, v18, vcc
	v_cndmask_b32_e32 v22, v22, v24, vcc
	v_lshlrev_b32_sdwa v23, v23, v14 dst_sel:DWORD dst_unused:UNUSED_PAD src0_sel:DWORD src1_sel:WORD_1
	v_bfrev_b32_e32 v24, 60
	v_lshlrev_b32_e32 v22, 20, v22
	v_and_b32_e32 v23, 0x80000000, v23
	v_lshl_add_u32 v18, v18, 23, v24
	v_or3_b32 v18, v23, v18, v22
	v_lshrrev_b32_e32 v22, 16, v18
.LBB893_415:
	s_or_b64 exec, exec, s[10:11]
.LBB893_416:
	s_or_b64 exec, exec, s[8:9]
.LBB893_417:
	s_or_b64 exec, exec, s[2:3]
	s_mov_b32 s2, 0xffffff
	v_cmp_lt_u32_e32 vcc, s2, v14
	s_and_saveexec_b64 s[2:3], vcc
	s_cbranch_execz .LBB893_423
; %bb.418:
	v_lshrrev_b32_e32 v18, 24, v14
	s_movk_i32 s7, 0x80
	v_cmp_ne_u32_e32 vcc, s7, v18
	v_mov_b32_e32 v21, 0xffff8000
	s_and_saveexec_b64 s[8:9], vcc
	s_cbranch_execz .LBB893_422
; %bb.419:
	v_bfe_u32 v14, v14, 24, 7
	s_movk_i32 s7, 0x7f
	v_cmp_ne_u32_e32 vcc, s7, v14
	v_mov_b32_e32 v21, 0x7f80
	s_and_saveexec_b64 s[10:11], vcc
	s_cbranch_execz .LBB893_421
; %bb.420:
	v_and_b32_e32 v21, 7, v18
	v_ffbh_u32_e32 v24, v21
	v_min_u32_e32 v26, 32, v24
	v_subrev_u32_e32 v24, 28, v26
	v_lshlrev_b64 v[24:25], v24, v[18:19]
	v_lshrrev_b32_e32 v23, 3, v14
	v_sub_u32_e32 v25, 29, v26
	v_and_b32_e32 v24, 7, v24
	v_cmp_gt_u32_e32 vcc, 8, v14
	v_cndmask_b32_e32 v14, v23, v25, vcc
	v_cndmask_b32_e32 v21, v21, v24, vcc
	v_lshlrev_b32_e32 v18, 24, v18
	v_bfrev_b32_e32 v23, 60
	v_lshlrev_b32_e32 v21, 20, v21
	v_and_b32_e32 v18, 0x80000000, v18
	v_lshl_add_u32 v14, v14, 23, v23
	v_or3_b32 v14, v18, v14, v21
	v_lshrrev_b32_e32 v21, 16, v14
.LBB893_421:
	s_or_b64 exec, exec, s[10:11]
.LBB893_422:
	s_or_b64 exec, exec, s[8:9]
.LBB893_423:
	s_or_b64 exec, exec, s[2:3]
	v_mov_b32_e32 v18, 0
	v_cmp_ne_u16_sdwa s[8:9], v15, v18 src0_sel:BYTE_0 src1_sel:DWORD
	v_mov_b32_e32 v23, 0
	s_and_saveexec_b64 s[2:3], s[8:9]
	s_cbranch_execz .LBB893_429
; %bb.424:
	s_movk_i32 s7, 0x80
	v_cmp_ne_u16_sdwa s[10:11], v15, s7 src0_sel:BYTE_0 src1_sel:DWORD
	v_mov_b32_e32 v23, 0xffff8000
	s_and_saveexec_b64 s[8:9], s[10:11]
	s_cbranch_execz .LBB893_428
; %bb.425:
	s_movk_i32 s7, 0x7f
	v_and_b32_e32 v14, 0x7f, v15
	v_cmp_ne_u32_e32 vcc, s7, v14
	v_mov_b32_e32 v23, 0x7f80
	s_and_saveexec_b64 s[10:11], vcc
	s_cbranch_execz .LBB893_427
; %bb.426:
	v_and_b32_e32 v23, 7, v15
	v_ffbh_u32_e32 v25, v23
	v_min_u32_e32 v27, 32, v25
	v_mov_b32_e32 v24, v15
	v_subrev_u32_e32 v25, 28, v27
	v_lshlrev_b64 v[24:25], v25, v[24:25]
	v_lshrrev_b32_e32 v26, 3, v14
	v_sub_u32_e32 v25, 29, v27
	v_and_b32_e32 v24, 7, v24
	v_cmp_gt_u32_e32 vcc, 8, v14
	v_cndmask_b32_e32 v14, v26, v25, vcc
	v_cndmask_b32_e32 v23, v23, v24, vcc
	v_lshlrev_b32_e32 v24, 24, v15
	v_bfrev_b32_e32 v25, 60
	v_lshlrev_b32_e32 v23, 20, v23
	v_and_b32_e32 v24, 0x80000000, v24
	v_lshl_add_u32 v14, v14, 23, v25
	v_or3_b32 v14, v24, v14, v23
	v_lshrrev_b32_e32 v23, 16, v14
.LBB893_427:
	s_or_b64 exec, exec, s[10:11]
.LBB893_428:
	s_or_b64 exec, exec, s[8:9]
.LBB893_429:
	s_or_b64 exec, exec, s[2:3]
	v_lshrrev_b16_e32 v14, 8, v15
	v_cmp_ne_u16_e32 vcc, 0, v14
	s_and_saveexec_b64 s[2:3], vcc
	s_cbranch_execz .LBB893_435
; %bb.430:
	s_movk_i32 s7, 0x80
	v_cmp_ne_u16_e32 vcc, s7, v14
	v_mov_b32_e32 v18, 0xffff8000
	s_and_saveexec_b64 s[8:9], vcc
	s_cbranch_execz .LBB893_434
; %bb.431:
	s_movk_i32 s7, 0x7f
	v_and_b32_e32 v24, 0x7f, v14
	v_cmp_ne_u32_e32 vcc, s7, v24
	v_mov_b32_e32 v18, 0x7f80
	s_and_saveexec_b64 s[10:11], vcc
	s_cbranch_execz .LBB893_433
; %bb.432:
	v_and_b32_e32 v18, 7, v14
	v_ffbh_u32_e32 v26, v18
	v_min_u32_e32 v29, 32, v26
	v_subrev_u32_e32 v26, 28, v29
	v_lshlrev_b64 v[26:27], v26, v[14:15]
	v_lshrrev_b32_e32 v25, 3, v24
	v_sub_u32_e32 v14, 29, v29
	v_and_b32_e32 v26, 7, v26
	v_cmp_gt_u32_e32 vcc, 8, v24
	v_cndmask_b32_e32 v14, v25, v14, vcc
	v_cndmask_b32_e32 v18, v18, v26, vcc
	v_lshlrev_b32_e32 v24, 16, v15
	v_bfrev_b32_e32 v25, 60
	v_lshlrev_b32_e32 v18, 20, v18
	v_and_b32_e32 v24, 0x80000000, v24
	v_lshl_add_u32 v14, v14, 23, v25
	v_or3_b32 v14, v24, v14, v18
	v_lshrrev_b32_e32 v18, 16, v14
.LBB893_433:
	s_or_b64 exec, exec, s[10:11]
.LBB893_434:
	s_or_b64 exec, exec, s[8:9]
.LBB893_435:
	s_or_b64 exec, exec, s[2:3]
	s_movk_i32 s2, 0xff
	v_and_b32_sdwa v26, v15, s2 dst_sel:DWORD dst_unused:UNUSED_PAD src0_sel:WORD_1 src1_sel:DWORD
	v_lshrrev_b32_e32 v14, 16, v15
	v_cmp_ne_u16_e32 vcc, 0, v26
	v_mov_b32_e32 v24, 0
	v_mov_b32_e32 v25, 0
	s_and_saveexec_b64 s[2:3], vcc
	s_cbranch_execz .LBB893_441
; %bb.436:
	s_movk_i32 s7, 0x80
	v_cmp_ne_u16_e32 vcc, s7, v26
	v_mov_b32_e32 v25, 0xffff8000
	s_and_saveexec_b64 s[8:9], vcc
	s_cbranch_execz .LBB893_440
; %bb.437:
	v_bfe_u32 v26, v15, 16, 7
	s_movk_i32 s7, 0x7f
	v_cmp_ne_u32_e32 vcc, s7, v26
	v_mov_b32_e32 v25, 0x7f80
	s_and_saveexec_b64 s[10:11], vcc
	s_cbranch_execz .LBB893_439
; %bb.438:
	v_and_b32_e32 v25, 7, v14
	v_ffbh_u32_e32 v29, v25
	v_min_u32_e32 v29, 32, v29
	v_subrev_u32_e32 v30, 28, v29
	v_lshlrev_b64 v[30:31], v30, v[14:15]
	v_lshrrev_b32_e32 v27, 3, v26
	v_sub_u32_e32 v14, 29, v29
	v_and_b32_e32 v29, 7, v30
	v_cmp_gt_u32_e32 vcc, 8, v26
	v_mov_b32_e32 v26, 24
	v_cndmask_b32_e32 v14, v27, v14, vcc
	v_cndmask_b32_e32 v25, v25, v29, vcc
	v_lshlrev_b32_sdwa v26, v26, v15 dst_sel:DWORD dst_unused:UNUSED_PAD src0_sel:DWORD src1_sel:WORD_1
	v_bfrev_b32_e32 v27, 60
	v_lshlrev_b32_e32 v25, 20, v25
	v_and_b32_e32 v26, 0x80000000, v26
	v_lshl_add_u32 v14, v14, 23, v27
	v_or3_b32 v14, v26, v14, v25
	v_lshrrev_b32_e32 v25, 16, v14
.LBB893_439:
	s_or_b64 exec, exec, s[10:11]
.LBB893_440:
	s_or_b64 exec, exec, s[8:9]
.LBB893_441:
	s_or_b64 exec, exec, s[2:3]
	s_mov_b32 s2, 0xffffff
	v_cmp_lt_u32_e32 vcc, s2, v15
	s_and_saveexec_b64 s[2:3], vcc
	s_cbranch_execz .LBB893_447
; %bb.442:
	v_lshrrev_b32_e32 v14, 24, v15
	s_movk_i32 s7, 0x80
	v_cmp_ne_u32_e32 vcc, s7, v14
	v_mov_b32_e32 v24, 0xffff8000
	s_and_saveexec_b64 s[8:9], vcc
	s_cbranch_execz .LBB893_446
; %bb.443:
	v_bfe_u32 v15, v15, 24, 7
	s_movk_i32 s7, 0x7f
	v_cmp_ne_u32_e32 vcc, s7, v15
	v_mov_b32_e32 v24, 0x7f80
	s_and_saveexec_b64 s[10:11], vcc
	s_cbranch_execz .LBB893_445
; %bb.444:
	v_and_b32_e32 v24, 7, v14
	v_ffbh_u32_e32 v26, v24
	v_min_u32_e32 v30, 32, v26
	v_subrev_u32_e32 v26, 28, v30
	v_lshlrev_b64 v[26:27], v26, v[14:15]
	v_lshrrev_b32_e32 v29, 3, v15
	v_sub_u32_e32 v27, 29, v30
	v_and_b32_e32 v26, 7, v26
	v_cmp_gt_u32_e32 vcc, 8, v15
	v_cndmask_b32_e32 v15, v29, v27, vcc
	v_cndmask_b32_e32 v24, v24, v26, vcc
	v_lshlrev_b32_e32 v14, 24, v14
	v_bfrev_b32_e32 v26, 60
	v_lshlrev_b32_e32 v24, 20, v24
	v_and_b32_e32 v14, 0x80000000, v14
	v_lshl_add_u32 v15, v15, 23, v26
	v_or3_b32 v14, v14, v15, v24
	v_lshrrev_b32_e32 v24, 16, v14
.LBB893_445:
	s_or_b64 exec, exec, s[10:11]
.LBB893_446:
	s_or_b64 exec, exec, s[8:9]
.LBB893_447:
	s_or_b64 exec, exec, s[2:3]
	s_mov_b32 s2, 0x5040100
	v_perm_b32 v15, v21, v22, s2
	v_perm_b32 v14, v19, v20, s2
	ds_read_b128 v[30:33], v48
	v_perm_b32 v19, v24, v25, s2
	v_perm_b32 v18, v18, v23, s2
	s_waitcnt lgkmcnt(0)
	v_mfma_f32_16x16x16bf16_1k v[34:37], v[14:15], v[30:31], 0
	v_mov_b32_e32 v15, 0
	v_cmp_ne_u16_sdwa s[8:9], v16, v15 src0_sel:BYTE_0 src1_sel:DWORD
	v_mov_b32_e32 v22, 0
	v_mfma_f32_16x16x16bf16_1k v[18:21], v[18:19], v[32:33], v[34:37]
	s_and_saveexec_b64 s[2:3], s[8:9]
	s_cbranch_execz .LBB893_453
; %bb.448:
	s_movk_i32 s7, 0x80
	v_cmp_ne_u16_sdwa s[10:11], v16, s7 src0_sel:BYTE_0 src1_sel:DWORD
	v_mov_b32_e32 v22, 0xffff8000
	s_and_saveexec_b64 s[8:9], s[10:11]
	s_cbranch_execz .LBB893_452
; %bb.449:
	s_movk_i32 s7, 0x7f
	v_and_b32_e32 v14, 0x7f, v16
	v_cmp_ne_u32_e32 vcc, s7, v14
	v_mov_b32_e32 v22, 0x7f80
	s_and_saveexec_b64 s[10:11], vcc
	s_cbranch_execz .LBB893_451
; %bb.450:
	v_and_b32_e32 v24, 7, v16
	v_ffbh_u32_e32 v22, v24
	v_min_u32_e32 v26, 32, v22
	v_subrev_u32_e32 v22, 28, v26
	v_lshlrev_b64 v[22:23], v22, v[16:17]
	v_lshrrev_b32_e32 v25, 3, v14
	v_sub_u32_e32 v23, 29, v26
	v_and_b32_e32 v22, 7, v22
	v_cmp_gt_u32_e32 vcc, 8, v14
	v_cndmask_b32_e32 v14, v25, v23, vcc
	v_cndmask_b32_e32 v22, v24, v22, vcc
	v_lshlrev_b32_e32 v23, 24, v16
	v_bfrev_b32_e32 v24, 60
	v_lshlrev_b32_e32 v22, 20, v22
	v_and_b32_e32 v23, 0x80000000, v23
	v_lshl_add_u32 v14, v14, 23, v24
	v_or3_b32 v14, v23, v14, v22
	v_lshrrev_b32_e32 v22, 16, v14
.LBB893_451:
	s_or_b64 exec, exec, s[10:11]
.LBB893_452:
	s_or_b64 exec, exec, s[8:9]
.LBB893_453:
	s_or_b64 exec, exec, s[2:3]
	v_lshrrev_b16_e32 v14, 8, v16
	v_cmp_ne_u16_e32 vcc, 0, v14
	s_and_saveexec_b64 s[2:3], vcc
	s_cbranch_execz .LBB893_459
; %bb.454:
	s_movk_i32 s7, 0x80
	v_cmp_ne_u16_e32 vcc, s7, v14
	v_mov_b32_e32 v15, 0xffff8000
	s_and_saveexec_b64 s[8:9], vcc
	s_cbranch_execz .LBB893_458
; %bb.455:
	s_movk_i32 s7, 0x7f
	v_and_b32_e32 v23, 0x7f, v14
	v_cmp_ne_u32_e32 vcc, s7, v23
	v_mov_b32_e32 v15, 0x7f80
	s_and_saveexec_b64 s[10:11], vcc
	s_cbranch_execz .LBB893_457
; %bb.456:
	v_and_b32_e32 v24, 7, v14
	v_ffbh_u32_e32 v15, v24
	v_min_u32_e32 v26, 32, v15
	v_subrev_u32_e32 v15, 28, v26
	v_lshlrev_b64 v[14:15], v15, v[14:15]
	v_lshrrev_b32_e32 v25, 3, v23
	v_sub_u32_e32 v15, 29, v26
	v_and_b32_e32 v14, 7, v14
	v_cmp_gt_u32_e32 vcc, 8, v23
	v_cndmask_b32_e32 v15, v25, v15, vcc
	v_cndmask_b32_e32 v14, v24, v14, vcc
	v_lshlrev_b32_e32 v23, 16, v16
	v_bfrev_b32_e32 v24, 60
	v_lshlrev_b32_e32 v14, 20, v14
	v_and_b32_e32 v23, 0x80000000, v23
	v_lshl_add_u32 v15, v15, 23, v24
	v_or3_b32 v14, v23, v15, v14
	v_lshrrev_b32_e32 v15, 16, v14
.LBB893_457:
	s_or_b64 exec, exec, s[10:11]
.LBB893_458:
	s_or_b64 exec, exec, s[8:9]
.LBB893_459:
	s_or_b64 exec, exec, s[2:3]
	s_movk_i32 s2, 0xff
	v_and_b32_sdwa v25, v16, s2 dst_sel:DWORD dst_unused:UNUSED_PAD src0_sel:WORD_1 src1_sel:DWORD
	v_lshrrev_b32_e32 v14, 16, v16
	v_cmp_ne_u16_e32 vcc, 0, v25
	v_mov_b32_e32 v23, 0
	v_mov_b32_e32 v24, 0
	s_and_saveexec_b64 s[2:3], vcc
	s_cbranch_execz .LBB893_465
; %bb.460:
	s_movk_i32 s7, 0x80
	v_cmp_ne_u16_e32 vcc, s7, v25
	v_mov_b32_e32 v24, 0xffff8000
	s_and_saveexec_b64 s[8:9], vcc
	s_cbranch_execz .LBB893_464
; %bb.461:
	v_bfe_u32 v25, v16, 16, 7
	s_movk_i32 s7, 0x7f
	v_cmp_ne_u32_e32 vcc, s7, v25
	v_mov_b32_e32 v24, 0x7f80
	s_and_saveexec_b64 s[10:11], vcc
	s_cbranch_execz .LBB893_463
; %bb.462:
	v_and_b32_e32 v24, 7, v14
	v_ffbh_u32_e32 v26, v24
	v_min_u32_e32 v30, 32, v26
	v_subrev_u32_e32 v26, 28, v30
	v_lshlrev_b64 v[26:27], v26, v[14:15]
	v_lshrrev_b32_e32 v29, 3, v25
	v_sub_u32_e32 v14, 29, v30
	v_and_b32_e32 v26, 7, v26
	v_cmp_gt_u32_e32 vcc, 8, v25
	v_mov_b32_e32 v25, 24
	v_cndmask_b32_e32 v14, v29, v14, vcc
	v_cndmask_b32_e32 v24, v24, v26, vcc
	v_lshlrev_b32_sdwa v25, v25, v16 dst_sel:DWORD dst_unused:UNUSED_PAD src0_sel:DWORD src1_sel:WORD_1
	v_bfrev_b32_e32 v26, 60
	v_lshlrev_b32_e32 v24, 20, v24
	v_and_b32_e32 v25, 0x80000000, v25
	v_lshl_add_u32 v14, v14, 23, v26
	v_or3_b32 v14, v25, v14, v24
	v_lshrrev_b32_e32 v24, 16, v14
.LBB893_463:
	s_or_b64 exec, exec, s[10:11]
.LBB893_464:
	s_or_b64 exec, exec, s[8:9]
.LBB893_465:
	s_or_b64 exec, exec, s[2:3]
	s_mov_b32 s2, 0xffffff
	v_cmp_lt_u32_e32 vcc, s2, v16
	s_and_saveexec_b64 s[2:3], vcc
	s_cbranch_execz .LBB893_471
; %bb.466:
	v_lshrrev_b32_e32 v14, 24, v16
	s_movk_i32 s7, 0x80
	v_cmp_ne_u32_e32 vcc, s7, v14
	v_mov_b32_e32 v23, 0xffff8000
	s_and_saveexec_b64 s[8:9], vcc
	s_cbranch_execz .LBB893_470
; %bb.467:
	v_bfe_u32 v16, v16, 24, 7
	s_movk_i32 s7, 0x7f
	v_cmp_ne_u32_e32 vcc, s7, v16
	v_mov_b32_e32 v23, 0x7f80
	s_and_saveexec_b64 s[10:11], vcc
	s_cbranch_execz .LBB893_469
; %bb.468:
	v_and_b32_e32 v23, 7, v14
	v_ffbh_u32_e32 v26, v23
	v_min_u32_e32 v29, 32, v26
	v_subrev_u32_e32 v26, 28, v29
	v_lshlrev_b64 v[26:27], v26, v[14:15]
	v_lshrrev_b32_e32 v25, 3, v16
	v_sub_u32_e32 v27, 29, v29
	v_and_b32_e32 v26, 7, v26
	v_cmp_gt_u32_e32 vcc, 8, v16
	v_cndmask_b32_e32 v16, v25, v27, vcc
	v_cndmask_b32_e32 v23, v23, v26, vcc
	v_lshlrev_b32_e32 v14, 24, v14
	v_bfrev_b32_e32 v25, 60
	v_lshlrev_b32_e32 v23, 20, v23
	v_and_b32_e32 v14, 0x80000000, v14
	v_lshl_add_u32 v16, v16, 23, v25
	v_or3_b32 v14, v14, v16, v23
	v_lshrrev_b32_e32 v23, 16, v14
.LBB893_469:
	s_or_b64 exec, exec, s[10:11]
.LBB893_470:
	s_or_b64 exec, exec, s[8:9]
.LBB893_471:
	s_or_b64 exec, exec, s[2:3]
	v_mov_b32_e32 v16, 0
	v_cmp_ne_u16_sdwa s[8:9], v17, v16 src0_sel:BYTE_0 src1_sel:DWORD
	v_mov_b32_e32 v25, 0
	s_and_saveexec_b64 s[2:3], s[8:9]
	s_cbranch_execz .LBB893_477
; %bb.472:
	s_movk_i32 s7, 0x80
	v_cmp_ne_u16_sdwa s[10:11], v17, s7 src0_sel:BYTE_0 src1_sel:DWORD
	v_mov_b32_e32 v25, 0xffff8000
	s_and_saveexec_b64 s[8:9], s[10:11]
	s_cbranch_execz .LBB893_476
; %bb.473:
	s_movk_i32 s7, 0x7f
	v_and_b32_e32 v14, 0x7f, v17
	v_cmp_ne_u32_e32 vcc, s7, v14
	v_mov_b32_e32 v25, 0x7f80
	s_and_saveexec_b64 s[10:11], vcc
	s_cbranch_execz .LBB893_475
; %bb.474:
	v_and_b32_e32 v25, 7, v17
	v_ffbh_u32_e32 v27, v25
	v_min_u32_e32 v30, 32, v27
	v_mov_b32_e32 v26, v17
	v_subrev_u32_e32 v27, 28, v30
	v_lshlrev_b64 v[26:27], v27, v[26:27]
	v_lshrrev_b32_e32 v29, 3, v14
	v_sub_u32_e32 v27, 29, v30
	v_and_b32_e32 v26, 7, v26
	v_cmp_gt_u32_e32 vcc, 8, v14
	v_cndmask_b32_e32 v14, v29, v27, vcc
	v_cndmask_b32_e32 v25, v25, v26, vcc
	v_lshlrev_b32_e32 v26, 24, v17
	v_bfrev_b32_e32 v27, 60
	v_lshlrev_b32_e32 v25, 20, v25
	v_and_b32_e32 v26, 0x80000000, v26
	v_lshl_add_u32 v14, v14, 23, v27
	v_or3_b32 v14, v26, v14, v25
	v_lshrrev_b32_e32 v25, 16, v14
.LBB893_475:
	s_or_b64 exec, exec, s[10:11]
.LBB893_476:
	s_or_b64 exec, exec, s[8:9]
.LBB893_477:
	s_or_b64 exec, exec, s[2:3]
	v_lshrrev_b16_e32 v14, 8, v17
	v_cmp_ne_u16_e32 vcc, 0, v14
	s_and_saveexec_b64 s[2:3], vcc
	s_cbranch_execz .LBB893_483
; %bb.478:
	s_movk_i32 s7, 0x80
	v_cmp_ne_u16_e32 vcc, s7, v14
	v_mov_b32_e32 v16, 0xffff8000
	s_and_saveexec_b64 s[8:9], vcc
	s_cbranch_execz .LBB893_482
; %bb.479:
	s_movk_i32 s7, 0x7f
	v_and_b32_e32 v26, 0x7f, v14
	v_cmp_ne_u32_e32 vcc, s7, v26
	v_mov_b32_e32 v16, 0x7f80
	s_and_saveexec_b64 s[10:11], vcc
	s_cbranch_execz .LBB893_481
; %bb.480:
	v_and_b32_e32 v16, 7, v14
	v_ffbh_u32_e32 v29, v16
	v_min_u32_e32 v29, 32, v29
	v_subrev_u32_e32 v30, 28, v29
	v_lshlrev_b64 v[30:31], v30, v[14:15]
	v_lshrrev_b32_e32 v27, 3, v26
	v_sub_u32_e32 v14, 29, v29
	v_and_b32_e32 v29, 7, v30
	v_cmp_gt_u32_e32 vcc, 8, v26
	v_cndmask_b32_e32 v14, v27, v14, vcc
	v_cndmask_b32_e32 v16, v16, v29, vcc
	v_lshlrev_b32_e32 v26, 16, v17
	v_bfrev_b32_e32 v27, 60
	v_lshlrev_b32_e32 v16, 20, v16
	v_and_b32_e32 v26, 0x80000000, v26
	v_lshl_add_u32 v14, v14, 23, v27
	v_or3_b32 v14, v26, v14, v16
	v_lshrrev_b32_e32 v16, 16, v14
.LBB893_481:
	s_or_b64 exec, exec, s[10:11]
.LBB893_482:
	s_or_b64 exec, exec, s[8:9]
.LBB893_483:
	s_or_b64 exec, exec, s[2:3]
	s_movk_i32 s2, 0xff
	v_and_b32_sdwa v29, v17, s2 dst_sel:DWORD dst_unused:UNUSED_PAD src0_sel:WORD_1 src1_sel:DWORD
	v_lshrrev_b32_e32 v14, 16, v17
	v_cmp_ne_u16_e32 vcc, 0, v29
	v_mov_b32_e32 v26, 0
	v_mov_b32_e32 v27, 0
	s_and_saveexec_b64 s[2:3], vcc
	s_cbranch_execz .LBB893_489
; %bb.484:
	s_movk_i32 s7, 0x80
	v_cmp_ne_u16_e32 vcc, s7, v29
	v_mov_b32_e32 v27, 0xffff8000
	s_and_saveexec_b64 s[8:9], vcc
	s_cbranch_execz .LBB893_488
; %bb.485:
	v_bfe_u32 v29, v17, 16, 7
	s_movk_i32 s7, 0x7f
	v_cmp_ne_u32_e32 vcc, s7, v29
	v_mov_b32_e32 v27, 0x7f80
	s_and_saveexec_b64 s[10:11], vcc
	s_cbranch_execz .LBB893_487
; %bb.486:
	v_and_b32_e32 v27, 7, v14
	v_ffbh_u32_e32 v30, v27
	v_min_u32_e32 v33, 32, v30
	v_subrev_u32_e32 v30, 28, v33
	v_lshlrev_b64 v[30:31], v30, v[14:15]
	v_lshrrev_b32_e32 v32, 3, v29
	v_sub_u32_e32 v14, 29, v33
	v_and_b32_e32 v30, 7, v30
	v_cmp_gt_u32_e32 vcc, 8, v29
	v_mov_b32_e32 v29, 24
	v_cndmask_b32_e32 v14, v32, v14, vcc
	v_cndmask_b32_e32 v27, v27, v30, vcc
	v_lshlrev_b32_sdwa v29, v29, v17 dst_sel:DWORD dst_unused:UNUSED_PAD src0_sel:DWORD src1_sel:WORD_1
	v_bfrev_b32_e32 v30, 60
	v_lshlrev_b32_e32 v27, 20, v27
	v_and_b32_e32 v29, 0x80000000, v29
	v_lshl_add_u32 v14, v14, 23, v30
	v_or3_b32 v14, v29, v14, v27
	v_lshrrev_b32_e32 v27, 16, v14
.LBB893_487:
	s_or_b64 exec, exec, s[10:11]
.LBB893_488:
	s_or_b64 exec, exec, s[8:9]
.LBB893_489:
	s_or_b64 exec, exec, s[2:3]
	s_mov_b32 s2, 0xffffff
	v_cmp_lt_u32_e32 vcc, s2, v17
	s_and_saveexec_b64 s[2:3], vcc
	s_cbranch_execz .LBB893_495
; %bb.490:
	v_lshrrev_b32_e32 v14, 24, v17
	s_movk_i32 s7, 0x80
	v_cmp_ne_u32_e32 vcc, s7, v14
	v_mov_b32_e32 v26, 0xffff8000
	s_and_saveexec_b64 s[8:9], vcc
	s_cbranch_execz .LBB893_494
; %bb.491:
	v_bfe_u32 v17, v17, 24, 7
	s_movk_i32 s7, 0x7f
	v_cmp_ne_u32_e32 vcc, s7, v17
	v_mov_b32_e32 v26, 0x7f80
	s_and_saveexec_b64 s[10:11], vcc
	s_cbranch_execz .LBB893_493
; %bb.492:
	v_and_b32_e32 v26, 7, v14
	v_ffbh_u32_e32 v30, v26
	v_min_u32_e32 v32, 32, v30
	v_subrev_u32_e32 v30, 28, v32
	v_lshlrev_b64 v[30:31], v30, v[14:15]
	v_lshrrev_b32_e32 v29, 3, v17
	v_sub_u32_e32 v31, 29, v32
	v_and_b32_e32 v30, 7, v30
	v_cmp_gt_u32_e32 vcc, 8, v17
	v_cndmask_b32_e32 v17, v29, v31, vcc
	v_cndmask_b32_e32 v26, v26, v30, vcc
	v_lshlrev_b32_e32 v14, 24, v14
	v_bfrev_b32_e32 v29, 60
	v_lshlrev_b32_e32 v26, 20, v26
	v_and_b32_e32 v14, 0x80000000, v14
	v_lshl_add_u32 v17, v17, 23, v29
	v_or3_b32 v14, v14, v17, v26
	v_lshrrev_b32_e32 v26, 16, v14
.LBB893_493:
	s_or_b64 exec, exec, s[10:11]
.LBB893_494:
	s_or_b64 exec, exec, s[8:9]
.LBB893_495:
	s_or_b64 exec, exec, s[2:3]
	s_mov_b32 s2, 0x5040100
	v_perm_b32 v23, v23, v24, s2
	v_perm_b32 v22, v15, v22, s2
	ds_read_b128 v[30:33], v48 offset:16
	v_perm_b32 v15, v26, v27, s2
	v_perm_b32 v14, v16, v25, s2
	s_waitcnt lgkmcnt(0)
	v_mfma_f32_16x16x16bf16_1k v[34:37], v[22:23], v[30:31], v[18:21]
	s_nop 6
	v_mov_b32_e32 v19, 0
	s_waitcnt vmcnt(2)
	v_cmp_ne_u16_sdwa s[8:9], v10, v19 src0_sel:BYTE_0 src1_sel:DWORD
	v_mfma_f32_16x16x16bf16_1k v[14:17], v[14:15], v[32:33], v[34:37]
	v_mov_b32_e32 v20, 0
	s_and_saveexec_b64 s[2:3], s[8:9]
	s_cbranch_execz .LBB893_501
; %bb.496:
	s_movk_i32 s7, 0x80
	v_cmp_ne_u16_sdwa s[10:11], v10, s7 src0_sel:BYTE_0 src1_sel:DWORD
	v_mov_b32_e32 v20, 0xffff8000
	s_and_saveexec_b64 s[8:9], s[10:11]
	s_cbranch_execz .LBB893_500
; %bb.497:
	s_movk_i32 s7, 0x7f
	v_and_b32_e32 v18, 0x7f, v10
	v_cmp_ne_u32_e32 vcc, s7, v18
	v_mov_b32_e32 v20, 0x7f80
	s_and_saveexec_b64 s[10:11], vcc
	s_cbranch_execz .LBB893_499
; %bb.498:
	v_and_b32_e32 v22, 7, v10
	v_ffbh_u32_e32 v20, v22
	v_min_u32_e32 v24, 32, v20
	v_subrev_u32_e32 v20, 28, v24
	v_lshlrev_b64 v[20:21], v20, v[10:11]
	v_lshrrev_b32_e32 v23, 3, v18
	v_sub_u32_e32 v21, 29, v24
	v_and_b32_e32 v20, 7, v20
	v_cmp_gt_u32_e32 vcc, 8, v18
	v_cndmask_b32_e32 v18, v23, v21, vcc
	v_cndmask_b32_e32 v20, v22, v20, vcc
	v_lshlrev_b32_e32 v21, 24, v10
	v_bfrev_b32_e32 v22, 60
	v_lshlrev_b32_e32 v20, 20, v20
	v_and_b32_e32 v21, 0x80000000, v21
	v_lshl_add_u32 v18, v18, 23, v22
	v_or3_b32 v18, v21, v18, v20
	v_lshrrev_b32_e32 v20, 16, v18
.LBB893_499:
	s_or_b64 exec, exec, s[10:11]
.LBB893_500:
	s_or_b64 exec, exec, s[8:9]
.LBB893_501:
	s_or_b64 exec, exec, s[2:3]
	v_lshrrev_b16_e32 v18, 8, v10
	v_cmp_ne_u16_e32 vcc, 0, v18
	s_and_saveexec_b64 s[2:3], vcc
	s_cbranch_execz .LBB893_507
; %bb.502:
	s_movk_i32 s7, 0x80
	v_cmp_ne_u16_e32 vcc, s7, v18
	v_mov_b32_e32 v19, 0xffff8000
	s_and_saveexec_b64 s[8:9], vcc
	s_cbranch_execz .LBB893_506
; %bb.503:
	s_movk_i32 s7, 0x7f
	v_and_b32_e32 v21, 0x7f, v18
	v_cmp_ne_u32_e32 vcc, s7, v21
	v_mov_b32_e32 v19, 0x7f80
	s_and_saveexec_b64 s[10:11], vcc
	s_cbranch_execz .LBB893_505
; %bb.504:
	v_and_b32_e32 v22, 7, v18
	v_ffbh_u32_e32 v19, v22
	v_min_u32_e32 v24, 32, v19
	v_subrev_u32_e32 v19, 28, v24
	v_lshlrev_b64 v[18:19], v19, v[18:19]
	v_lshrrev_b32_e32 v23, 3, v21
	v_sub_u32_e32 v19, 29, v24
	v_and_b32_e32 v18, 7, v18
	v_cmp_gt_u32_e32 vcc, 8, v21
	v_cndmask_b32_e32 v19, v23, v19, vcc
	v_cndmask_b32_e32 v18, v22, v18, vcc
	v_lshlrev_b32_e32 v21, 16, v10
	v_bfrev_b32_e32 v22, 60
	v_lshlrev_b32_e32 v18, 20, v18
	v_and_b32_e32 v21, 0x80000000, v21
	v_lshl_add_u32 v19, v19, 23, v22
	v_or3_b32 v18, v21, v19, v18
	v_lshrrev_b32_e32 v19, 16, v18
.LBB893_505:
	s_or_b64 exec, exec, s[10:11]
.LBB893_506:
	s_or_b64 exec, exec, s[8:9]
.LBB893_507:
	s_or_b64 exec, exec, s[2:3]
	s_movk_i32 s2, 0xff
	v_and_b32_sdwa v23, v10, s2 dst_sel:DWORD dst_unused:UNUSED_PAD src0_sel:WORD_1 src1_sel:DWORD
	v_lshrrev_b32_e32 v18, 16, v10
	v_cmp_ne_u16_e32 vcc, 0, v23
	v_mov_b32_e32 v21, 0
	v_mov_b32_e32 v22, 0
	s_and_saveexec_b64 s[2:3], vcc
	s_cbranch_execz .LBB893_513
; %bb.508:
	s_movk_i32 s7, 0x80
	v_cmp_ne_u16_e32 vcc, s7, v23
	v_mov_b32_e32 v22, 0xffff8000
	s_and_saveexec_b64 s[8:9], vcc
	s_cbranch_execz .LBB893_512
; %bb.509:
	v_bfe_u32 v23, v10, 16, 7
	s_movk_i32 s7, 0x7f
	v_cmp_ne_u32_e32 vcc, s7, v23
	v_mov_b32_e32 v22, 0x7f80
	s_and_saveexec_b64 s[10:11], vcc
	s_cbranch_execz .LBB893_511
; %bb.510:
	v_and_b32_e32 v22, 7, v18
	v_ffbh_u32_e32 v24, v22
	v_min_u32_e32 v27, 32, v24
	v_subrev_u32_e32 v24, 28, v27
	v_lshlrev_b64 v[24:25], v24, v[18:19]
	v_lshrrev_b32_e32 v26, 3, v23
	v_sub_u32_e32 v18, 29, v27
	v_and_b32_e32 v24, 7, v24
	v_cmp_gt_u32_e32 vcc, 8, v23
	v_mov_b32_e32 v23, 24
	v_cndmask_b32_e32 v18, v26, v18, vcc
	v_cndmask_b32_e32 v22, v22, v24, vcc
	v_lshlrev_b32_sdwa v23, v23, v10 dst_sel:DWORD dst_unused:UNUSED_PAD src0_sel:DWORD src1_sel:WORD_1
	v_bfrev_b32_e32 v24, 60
	v_lshlrev_b32_e32 v22, 20, v22
	v_and_b32_e32 v23, 0x80000000, v23
	v_lshl_add_u32 v18, v18, 23, v24
	v_or3_b32 v18, v23, v18, v22
	v_lshrrev_b32_e32 v22, 16, v18
.LBB893_511:
	s_or_b64 exec, exec, s[10:11]
.LBB893_512:
	s_or_b64 exec, exec, s[8:9]
.LBB893_513:
	s_or_b64 exec, exec, s[2:3]
	s_mov_b32 s2, 0xffffff
	v_cmp_lt_u32_e32 vcc, s2, v10
	s_and_saveexec_b64 s[2:3], vcc
	s_cbranch_execz .LBB893_519
; %bb.514:
	v_lshrrev_b32_e32 v18, 24, v10
	s_movk_i32 s7, 0x80
	v_cmp_ne_u32_e32 vcc, s7, v18
	v_mov_b32_e32 v21, 0xffff8000
	s_and_saveexec_b64 s[8:9], vcc
	s_cbranch_execz .LBB893_518
; %bb.515:
	v_bfe_u32 v10, v10, 24, 7
	s_movk_i32 s7, 0x7f
	v_cmp_ne_u32_e32 vcc, s7, v10
	v_mov_b32_e32 v21, 0x7f80
	s_and_saveexec_b64 s[10:11], vcc
	s_cbranch_execz .LBB893_517
; %bb.516:
	v_and_b32_e32 v21, 7, v18
	v_ffbh_u32_e32 v24, v21
	v_min_u32_e32 v26, 32, v24
	v_subrev_u32_e32 v24, 28, v26
	v_lshlrev_b64 v[24:25], v24, v[18:19]
	v_lshrrev_b32_e32 v23, 3, v10
	v_sub_u32_e32 v25, 29, v26
	v_and_b32_e32 v24, 7, v24
	v_cmp_gt_u32_e32 vcc, 8, v10
	v_cndmask_b32_e32 v10, v23, v25, vcc
	v_cndmask_b32_e32 v21, v21, v24, vcc
	v_lshlrev_b32_e32 v18, 24, v18
	v_bfrev_b32_e32 v23, 60
	v_lshlrev_b32_e32 v21, 20, v21
	v_and_b32_e32 v18, 0x80000000, v18
	v_lshl_add_u32 v10, v10, 23, v23
	v_or3_b32 v10, v18, v10, v21
	v_lshrrev_b32_e32 v21, 16, v10
.LBB893_517:
	s_or_b64 exec, exec, s[10:11]
.LBB893_518:
	s_or_b64 exec, exec, s[8:9]
.LBB893_519:
	s_or_b64 exec, exec, s[2:3]
	v_mov_b32_e32 v18, 0
	v_cmp_ne_u16_sdwa s[8:9], v11, v18 src0_sel:BYTE_0 src1_sel:DWORD
	v_mov_b32_e32 v23, 0
	s_and_saveexec_b64 s[2:3], s[8:9]
	s_cbranch_execz .LBB893_525
; %bb.520:
	s_movk_i32 s7, 0x80
	v_cmp_ne_u16_sdwa s[10:11], v11, s7 src0_sel:BYTE_0 src1_sel:DWORD
	v_mov_b32_e32 v23, 0xffff8000
	s_and_saveexec_b64 s[8:9], s[10:11]
	s_cbranch_execz .LBB893_524
; %bb.521:
	s_movk_i32 s7, 0x7f
	v_and_b32_e32 v10, 0x7f, v11
	v_cmp_ne_u32_e32 vcc, s7, v10
	v_mov_b32_e32 v23, 0x7f80
	s_and_saveexec_b64 s[10:11], vcc
	s_cbranch_execz .LBB893_523
; %bb.522:
	v_and_b32_e32 v23, 7, v11
	v_ffbh_u32_e32 v25, v23
	v_min_u32_e32 v27, 32, v25
	v_mov_b32_e32 v24, v11
	v_subrev_u32_e32 v25, 28, v27
	v_lshlrev_b64 v[24:25], v25, v[24:25]
	v_lshrrev_b32_e32 v26, 3, v10
	v_sub_u32_e32 v25, 29, v27
	v_and_b32_e32 v24, 7, v24
	v_cmp_gt_u32_e32 vcc, 8, v10
	v_cndmask_b32_e32 v10, v26, v25, vcc
	v_cndmask_b32_e32 v23, v23, v24, vcc
	v_lshlrev_b32_e32 v24, 24, v11
	v_bfrev_b32_e32 v25, 60
	v_lshlrev_b32_e32 v23, 20, v23
	v_and_b32_e32 v24, 0x80000000, v24
	v_lshl_add_u32 v10, v10, 23, v25
	v_or3_b32 v10, v24, v10, v23
	v_lshrrev_b32_e32 v23, 16, v10
.LBB893_523:
	s_or_b64 exec, exec, s[10:11]
.LBB893_524:
	s_or_b64 exec, exec, s[8:9]
.LBB893_525:
	s_or_b64 exec, exec, s[2:3]
	v_lshrrev_b16_e32 v10, 8, v11
	v_cmp_ne_u16_e32 vcc, 0, v10
	s_and_saveexec_b64 s[2:3], vcc
	s_cbranch_execz .LBB893_531
; %bb.526:
	s_movk_i32 s7, 0x80
	v_cmp_ne_u16_e32 vcc, s7, v10
	v_mov_b32_e32 v18, 0xffff8000
	s_and_saveexec_b64 s[8:9], vcc
	s_cbranch_execz .LBB893_530
; %bb.527:
	s_movk_i32 s7, 0x7f
	v_and_b32_e32 v24, 0x7f, v10
	v_cmp_ne_u32_e32 vcc, s7, v24
	v_mov_b32_e32 v18, 0x7f80
	s_and_saveexec_b64 s[10:11], vcc
	s_cbranch_execz .LBB893_529
; %bb.528:
	v_and_b32_e32 v18, 7, v10
	v_ffbh_u32_e32 v26, v18
	v_min_u32_e32 v29, 32, v26
	v_subrev_u32_e32 v26, 28, v29
	v_lshlrev_b64 v[26:27], v26, v[10:11]
	v_lshrrev_b32_e32 v25, 3, v24
	v_sub_u32_e32 v10, 29, v29
	v_and_b32_e32 v26, 7, v26
	v_cmp_gt_u32_e32 vcc, 8, v24
	v_cndmask_b32_e32 v10, v25, v10, vcc
	v_cndmask_b32_e32 v18, v18, v26, vcc
	v_lshlrev_b32_e32 v24, 16, v11
	v_bfrev_b32_e32 v25, 60
	v_lshlrev_b32_e32 v18, 20, v18
	v_and_b32_e32 v24, 0x80000000, v24
	v_lshl_add_u32 v10, v10, 23, v25
	v_or3_b32 v10, v24, v10, v18
	v_lshrrev_b32_e32 v18, 16, v10
.LBB893_529:
	s_or_b64 exec, exec, s[10:11]
.LBB893_530:
	s_or_b64 exec, exec, s[8:9]
.LBB893_531:
	s_or_b64 exec, exec, s[2:3]
	s_movk_i32 s2, 0xff
	v_and_b32_sdwa v26, v11, s2 dst_sel:DWORD dst_unused:UNUSED_PAD src0_sel:WORD_1 src1_sel:DWORD
	v_lshrrev_b32_e32 v10, 16, v11
	v_cmp_ne_u16_e32 vcc, 0, v26
	v_mov_b32_e32 v24, 0
	v_mov_b32_e32 v25, 0
	s_and_saveexec_b64 s[2:3], vcc
	s_cbranch_execz .LBB893_537
; %bb.532:
	s_movk_i32 s7, 0x80
	v_cmp_ne_u16_e32 vcc, s7, v26
	v_mov_b32_e32 v25, 0xffff8000
	s_and_saveexec_b64 s[8:9], vcc
	s_cbranch_execz .LBB893_536
; %bb.533:
	v_bfe_u32 v26, v11, 16, 7
	s_movk_i32 s7, 0x7f
	v_cmp_ne_u32_e32 vcc, s7, v26
	v_mov_b32_e32 v25, 0x7f80
	s_and_saveexec_b64 s[10:11], vcc
	s_cbranch_execz .LBB893_535
; %bb.534:
	v_and_b32_e32 v25, 7, v10
	v_ffbh_u32_e32 v29, v25
	v_min_u32_e32 v29, 32, v29
	v_subrev_u32_e32 v30, 28, v29
	v_lshlrev_b64 v[30:31], v30, v[10:11]
	v_lshrrev_b32_e32 v27, 3, v26
	v_sub_u32_e32 v10, 29, v29
	v_and_b32_e32 v29, 7, v30
	v_cmp_gt_u32_e32 vcc, 8, v26
	v_mov_b32_e32 v26, 24
	v_cndmask_b32_e32 v10, v27, v10, vcc
	v_cndmask_b32_e32 v25, v25, v29, vcc
	v_lshlrev_b32_sdwa v26, v26, v11 dst_sel:DWORD dst_unused:UNUSED_PAD src0_sel:DWORD src1_sel:WORD_1
	v_bfrev_b32_e32 v27, 60
	v_lshlrev_b32_e32 v25, 20, v25
	v_and_b32_e32 v26, 0x80000000, v26
	v_lshl_add_u32 v10, v10, 23, v27
	v_or3_b32 v10, v26, v10, v25
	v_lshrrev_b32_e32 v25, 16, v10
.LBB893_535:
	s_or_b64 exec, exec, s[10:11]
.LBB893_536:
	s_or_b64 exec, exec, s[8:9]
.LBB893_537:
	s_or_b64 exec, exec, s[2:3]
	s_mov_b32 s2, 0xffffff
	v_cmp_lt_u32_e32 vcc, s2, v11
	s_and_saveexec_b64 s[2:3], vcc
	s_cbranch_execz .LBB893_543
; %bb.538:
	v_lshrrev_b32_e32 v10, 24, v11
	s_movk_i32 s7, 0x80
	v_cmp_ne_u32_e32 vcc, s7, v10
	v_mov_b32_e32 v24, 0xffff8000
	s_and_saveexec_b64 s[8:9], vcc
	s_cbranch_execz .LBB893_542
; %bb.539:
	v_bfe_u32 v11, v11, 24, 7
	s_movk_i32 s7, 0x7f
	v_cmp_ne_u32_e32 vcc, s7, v11
	v_mov_b32_e32 v24, 0x7f80
	s_and_saveexec_b64 s[10:11], vcc
	s_cbranch_execz .LBB893_541
; %bb.540:
	v_and_b32_e32 v24, 7, v10
	v_ffbh_u32_e32 v26, v24
	v_min_u32_e32 v30, 32, v26
	v_subrev_u32_e32 v26, 28, v30
	v_lshlrev_b64 v[26:27], v26, v[10:11]
	v_lshrrev_b32_e32 v29, 3, v11
	v_sub_u32_e32 v27, 29, v30
	v_and_b32_e32 v26, 7, v26
	v_cmp_gt_u32_e32 vcc, 8, v11
	v_cndmask_b32_e32 v11, v29, v27, vcc
	v_cndmask_b32_e32 v24, v24, v26, vcc
	v_lshlrev_b32_e32 v10, 24, v10
	v_bfrev_b32_e32 v26, 60
	v_lshlrev_b32_e32 v24, 20, v24
	v_and_b32_e32 v10, 0x80000000, v10
	v_lshl_add_u32 v11, v11, 23, v26
	v_or3_b32 v10, v10, v11, v24
	v_lshrrev_b32_e32 v24, 16, v10
.LBB893_541:
	s_or_b64 exec, exec, s[10:11]
.LBB893_542:
	s_or_b64 exec, exec, s[8:9]
.LBB893_543:
	s_or_b64 exec, exec, s[2:3]
	s_mov_b32 s2, 0x5040100
	v_perm_b32 v11, v21, v22, s2
	v_perm_b32 v10, v19, v20, s2
	ds_read_b128 v[30:33], v48 offset:2048
	v_perm_b32 v21, v24, v25, s2
	v_perm_b32 v20, v18, v23, s2
	s_waitcnt lgkmcnt(0)
	v_mfma_f32_16x16x16bf16_1k v[14:17], v[10:11], v[30:31], v[14:17]
	v_mov_b32_e32 v11, 0
	v_cmp_ne_u16_sdwa s[8:9], v12, v11 src0_sel:BYTE_0 src1_sel:DWORD
	v_mov_b32_e32 v18, 0
	v_mfma_f32_16x16x16bf16_1k v[14:17], v[20:21], v[32:33], v[14:17]
	s_and_saveexec_b64 s[2:3], s[8:9]
	s_cbranch_execz .LBB893_549
; %bb.544:
	s_movk_i32 s7, 0x80
	v_cmp_ne_u16_sdwa s[10:11], v12, s7 src0_sel:BYTE_0 src1_sel:DWORD
	v_mov_b32_e32 v18, 0xffff8000
	s_and_saveexec_b64 s[8:9], s[10:11]
	s_cbranch_execz .LBB893_548
; %bb.545:
	s_movk_i32 s7, 0x7f
	v_and_b32_e32 v10, 0x7f, v12
	v_cmp_ne_u32_e32 vcc, s7, v10
	v_mov_b32_e32 v18, 0x7f80
	s_and_saveexec_b64 s[10:11], vcc
	s_cbranch_execz .LBB893_547
; %bb.546:
	v_and_b32_e32 v20, 7, v12
	v_ffbh_u32_e32 v18, v20
	v_min_u32_e32 v22, 32, v18
	v_subrev_u32_e32 v18, 28, v22
	v_lshlrev_b64 v[18:19], v18, v[12:13]
	v_lshrrev_b32_e32 v21, 3, v10
	v_sub_u32_e32 v19, 29, v22
	v_and_b32_e32 v18, 7, v18
	v_cmp_gt_u32_e32 vcc, 8, v10
	v_cndmask_b32_e32 v10, v21, v19, vcc
	v_cndmask_b32_e32 v18, v20, v18, vcc
	v_lshlrev_b32_e32 v19, 24, v12
	v_bfrev_b32_e32 v20, 60
	v_lshlrev_b32_e32 v18, 20, v18
	v_and_b32_e32 v19, 0x80000000, v19
	v_lshl_add_u32 v10, v10, 23, v20
	v_or3_b32 v10, v19, v10, v18
	v_lshrrev_b32_e32 v18, 16, v10
.LBB893_547:
	s_or_b64 exec, exec, s[10:11]
.LBB893_548:
	s_or_b64 exec, exec, s[8:9]
.LBB893_549:
	s_or_b64 exec, exec, s[2:3]
	v_lshrrev_b16_e32 v10, 8, v12
	v_cmp_ne_u16_e32 vcc, 0, v10
	s_and_saveexec_b64 s[2:3], vcc
	s_cbranch_execz .LBB893_555
; %bb.550:
	s_movk_i32 s7, 0x80
	v_cmp_ne_u16_e32 vcc, s7, v10
	v_mov_b32_e32 v11, 0xffff8000
	s_and_saveexec_b64 s[8:9], vcc
	s_cbranch_execz .LBB893_554
; %bb.551:
	s_movk_i32 s7, 0x7f
	v_and_b32_e32 v19, 0x7f, v10
	v_cmp_ne_u32_e32 vcc, s7, v19
	v_mov_b32_e32 v11, 0x7f80
	s_and_saveexec_b64 s[10:11], vcc
	s_cbranch_execz .LBB893_553
; %bb.552:
	v_and_b32_e32 v20, 7, v10
	v_ffbh_u32_e32 v11, v20
	v_min_u32_e32 v22, 32, v11
	v_subrev_u32_e32 v11, 28, v22
	v_lshlrev_b64 v[10:11], v11, v[10:11]
	v_lshrrev_b32_e32 v21, 3, v19
	v_sub_u32_e32 v11, 29, v22
	v_and_b32_e32 v10, 7, v10
	v_cmp_gt_u32_e32 vcc, 8, v19
	v_cndmask_b32_e32 v11, v21, v11, vcc
	v_cndmask_b32_e32 v10, v20, v10, vcc
	v_lshlrev_b32_e32 v19, 16, v12
	v_bfrev_b32_e32 v20, 60
	v_lshlrev_b32_e32 v10, 20, v10
	v_and_b32_e32 v19, 0x80000000, v19
	v_lshl_add_u32 v11, v11, 23, v20
	v_or3_b32 v10, v19, v11, v10
	v_lshrrev_b32_e32 v11, 16, v10
.LBB893_553:
	s_or_b64 exec, exec, s[10:11]
.LBB893_554:
	s_or_b64 exec, exec, s[8:9]
.LBB893_555:
	s_or_b64 exec, exec, s[2:3]
	s_movk_i32 s2, 0xff
	v_and_b32_sdwa v21, v12, s2 dst_sel:DWORD dst_unused:UNUSED_PAD src0_sel:WORD_1 src1_sel:DWORD
	v_lshrrev_b32_e32 v10, 16, v12
	v_cmp_ne_u16_e32 vcc, 0, v21
	v_mov_b32_e32 v19, 0
	v_mov_b32_e32 v20, 0
	s_and_saveexec_b64 s[2:3], vcc
	s_cbranch_execz .LBB893_561
; %bb.556:
	s_movk_i32 s7, 0x80
	v_cmp_ne_u16_e32 vcc, s7, v21
	v_mov_b32_e32 v20, 0xffff8000
	s_and_saveexec_b64 s[8:9], vcc
	s_cbranch_execz .LBB893_560
; %bb.557:
	v_bfe_u32 v21, v12, 16, 7
	s_movk_i32 s7, 0x7f
	v_cmp_ne_u32_e32 vcc, s7, v21
	v_mov_b32_e32 v20, 0x7f80
	s_and_saveexec_b64 s[10:11], vcc
	s_cbranch_execz .LBB893_559
; %bb.558:
	v_and_b32_e32 v20, 7, v10
	v_ffbh_u32_e32 v22, v20
	v_min_u32_e32 v25, 32, v22
	v_subrev_u32_e32 v22, 28, v25
	v_lshlrev_b64 v[22:23], v22, v[10:11]
	v_lshrrev_b32_e32 v24, 3, v21
	v_sub_u32_e32 v10, 29, v25
	v_and_b32_e32 v22, 7, v22
	v_cmp_gt_u32_e32 vcc, 8, v21
	v_mov_b32_e32 v21, 24
	v_cndmask_b32_e32 v10, v24, v10, vcc
	v_cndmask_b32_e32 v20, v20, v22, vcc
	v_lshlrev_b32_sdwa v21, v21, v12 dst_sel:DWORD dst_unused:UNUSED_PAD src0_sel:DWORD src1_sel:WORD_1
	v_bfrev_b32_e32 v22, 60
	v_lshlrev_b32_e32 v20, 20, v20
	v_and_b32_e32 v21, 0x80000000, v21
	v_lshl_add_u32 v10, v10, 23, v22
	v_or3_b32 v10, v21, v10, v20
	v_lshrrev_b32_e32 v20, 16, v10
.LBB893_559:
	s_or_b64 exec, exec, s[10:11]
.LBB893_560:
	s_or_b64 exec, exec, s[8:9]
.LBB893_561:
	s_or_b64 exec, exec, s[2:3]
	s_mov_b32 s2, 0xffffff
	v_cmp_lt_u32_e32 vcc, s2, v12
	s_and_saveexec_b64 s[2:3], vcc
	s_cbranch_execz .LBB893_567
; %bb.562:
	v_lshrrev_b32_e32 v10, 24, v12
	s_movk_i32 s7, 0x80
	v_cmp_ne_u32_e32 vcc, s7, v10
	v_mov_b32_e32 v19, 0xffff8000
	s_and_saveexec_b64 s[8:9], vcc
	s_cbranch_execz .LBB893_566
; %bb.563:
	v_bfe_u32 v12, v12, 24, 7
	s_movk_i32 s7, 0x7f
	v_cmp_ne_u32_e32 vcc, s7, v12
	v_mov_b32_e32 v19, 0x7f80
	s_and_saveexec_b64 s[10:11], vcc
	s_cbranch_execz .LBB893_565
; %bb.564:
	v_and_b32_e32 v19, 7, v10
	v_ffbh_u32_e32 v22, v19
	v_min_u32_e32 v24, 32, v22
	v_subrev_u32_e32 v22, 28, v24
	v_lshlrev_b64 v[22:23], v22, v[10:11]
	v_lshrrev_b32_e32 v21, 3, v12
	v_sub_u32_e32 v23, 29, v24
	v_and_b32_e32 v22, 7, v22
	v_cmp_gt_u32_e32 vcc, 8, v12
	v_cndmask_b32_e32 v12, v21, v23, vcc
	v_cndmask_b32_e32 v19, v19, v22, vcc
	v_lshlrev_b32_e32 v10, 24, v10
	v_bfrev_b32_e32 v21, 60
	v_lshlrev_b32_e32 v19, 20, v19
	v_and_b32_e32 v10, 0x80000000, v10
	v_lshl_add_u32 v12, v12, 23, v21
	v_or3_b32 v10, v10, v12, v19
	v_lshrrev_b32_e32 v19, 16, v10
.LBB893_565:
	s_or_b64 exec, exec, s[10:11]
.LBB893_566:
	s_or_b64 exec, exec, s[8:9]
.LBB893_567:
	s_or_b64 exec, exec, s[2:3]
	v_mov_b32_e32 v12, 0
	v_cmp_ne_u16_sdwa s[8:9], v13, v12 src0_sel:BYTE_0 src1_sel:DWORD
	v_mov_b32_e32 v21, 0
	s_and_saveexec_b64 s[2:3], s[8:9]
	s_cbranch_execz .LBB893_573
; %bb.568:
	s_movk_i32 s7, 0x80
	v_cmp_ne_u16_sdwa s[10:11], v13, s7 src0_sel:BYTE_0 src1_sel:DWORD
	v_mov_b32_e32 v21, 0xffff8000
	s_and_saveexec_b64 s[8:9], s[10:11]
	s_cbranch_execz .LBB893_572
; %bb.569:
	s_movk_i32 s7, 0x7f
	v_and_b32_e32 v10, 0x7f, v13
	v_cmp_ne_u32_e32 vcc, s7, v10
	v_mov_b32_e32 v21, 0x7f80
	s_and_saveexec_b64 s[10:11], vcc
	s_cbranch_execz .LBB893_571
; %bb.570:
	v_and_b32_e32 v21, 7, v13
	v_ffbh_u32_e32 v23, v21
	v_min_u32_e32 v25, 32, v23
	v_mov_b32_e32 v22, v13
	v_subrev_u32_e32 v23, 28, v25
	v_lshlrev_b64 v[22:23], v23, v[22:23]
	v_lshrrev_b32_e32 v24, 3, v10
	v_sub_u32_e32 v23, 29, v25
	v_and_b32_e32 v22, 7, v22
	v_cmp_gt_u32_e32 vcc, 8, v10
	v_cndmask_b32_e32 v10, v24, v23, vcc
	v_cndmask_b32_e32 v21, v21, v22, vcc
	v_lshlrev_b32_e32 v22, 24, v13
	v_bfrev_b32_e32 v23, 60
	v_lshlrev_b32_e32 v21, 20, v21
	v_and_b32_e32 v22, 0x80000000, v22
	v_lshl_add_u32 v10, v10, 23, v23
	v_or3_b32 v10, v22, v10, v21
	v_lshrrev_b32_e32 v21, 16, v10
.LBB893_571:
	s_or_b64 exec, exec, s[10:11]
.LBB893_572:
	s_or_b64 exec, exec, s[8:9]
.LBB893_573:
	s_or_b64 exec, exec, s[2:3]
	v_lshrrev_b16_e32 v10, 8, v13
	v_cmp_ne_u16_e32 vcc, 0, v10
	s_and_saveexec_b64 s[2:3], vcc
	s_cbranch_execz .LBB893_579
; %bb.574:
	s_movk_i32 s7, 0x80
	v_cmp_ne_u16_e32 vcc, s7, v10
	v_mov_b32_e32 v12, 0xffff8000
	s_and_saveexec_b64 s[8:9], vcc
	s_cbranch_execz .LBB893_578
; %bb.575:
	s_movk_i32 s7, 0x7f
	v_and_b32_e32 v22, 0x7f, v10
	v_cmp_ne_u32_e32 vcc, s7, v22
	v_mov_b32_e32 v12, 0x7f80
	s_and_saveexec_b64 s[10:11], vcc
	s_cbranch_execz .LBB893_577
; %bb.576:
	v_and_b32_e32 v12, 7, v10
	v_ffbh_u32_e32 v24, v12
	v_min_u32_e32 v26, 32, v24
	v_subrev_u32_e32 v24, 28, v26
	v_lshlrev_b64 v[24:25], v24, v[10:11]
	v_lshrrev_b32_e32 v23, 3, v22
	v_sub_u32_e32 v10, 29, v26
	v_and_b32_e32 v24, 7, v24
	v_cmp_gt_u32_e32 vcc, 8, v22
	v_cndmask_b32_e32 v10, v23, v10, vcc
	v_cndmask_b32_e32 v12, v12, v24, vcc
	v_lshlrev_b32_e32 v22, 16, v13
	v_bfrev_b32_e32 v23, 60
	v_lshlrev_b32_e32 v12, 20, v12
	v_and_b32_e32 v22, 0x80000000, v22
	v_lshl_add_u32 v10, v10, 23, v23
	v_or3_b32 v10, v22, v10, v12
	v_lshrrev_b32_e32 v12, 16, v10
.LBB893_577:
	s_or_b64 exec, exec, s[10:11]
.LBB893_578:
	s_or_b64 exec, exec, s[8:9]
.LBB893_579:
	s_or_b64 exec, exec, s[2:3]
	s_movk_i32 s2, 0xff
	v_and_b32_sdwa v24, v13, s2 dst_sel:DWORD dst_unused:UNUSED_PAD src0_sel:WORD_1 src1_sel:DWORD
	v_lshrrev_b32_e32 v10, 16, v13
	v_cmp_ne_u16_e32 vcc, 0, v24
	v_mov_b32_e32 v22, 0
	v_mov_b32_e32 v23, 0
	s_and_saveexec_b64 s[2:3], vcc
	s_cbranch_execz .LBB893_585
; %bb.580:
	s_movk_i32 s7, 0x80
	v_cmp_ne_u16_e32 vcc, s7, v24
	v_mov_b32_e32 v23, 0xffff8000
	s_and_saveexec_b64 s[8:9], vcc
	s_cbranch_execz .LBB893_584
; %bb.581:
	v_bfe_u32 v24, v13, 16, 7
	s_movk_i32 s7, 0x7f
	v_cmp_ne_u32_e32 vcc, s7, v24
	v_mov_b32_e32 v23, 0x7f80
	s_and_saveexec_b64 s[10:11], vcc
	s_cbranch_execz .LBB893_583
; %bb.582:
	v_and_b32_e32 v23, 7, v10
	v_ffbh_u32_e32 v26, v23
	v_min_u32_e32 v29, 32, v26
	v_subrev_u32_e32 v26, 28, v29
	v_lshlrev_b64 v[26:27], v26, v[10:11]
	v_lshrrev_b32_e32 v25, 3, v24
	v_sub_u32_e32 v10, 29, v29
	v_and_b32_e32 v26, 7, v26
	v_cmp_gt_u32_e32 vcc, 8, v24
	v_mov_b32_e32 v24, 24
	v_cndmask_b32_e32 v10, v25, v10, vcc
	v_cndmask_b32_e32 v23, v23, v26, vcc
	v_lshlrev_b32_sdwa v24, v24, v13 dst_sel:DWORD dst_unused:UNUSED_PAD src0_sel:DWORD src1_sel:WORD_1
	v_bfrev_b32_e32 v25, 60
	v_lshlrev_b32_e32 v23, 20, v23
	v_and_b32_e32 v24, 0x80000000, v24
	v_lshl_add_u32 v10, v10, 23, v25
	v_or3_b32 v10, v24, v10, v23
	v_lshrrev_b32_e32 v23, 16, v10
.LBB893_583:
	s_or_b64 exec, exec, s[10:11]
.LBB893_584:
	s_or_b64 exec, exec, s[8:9]
.LBB893_585:
	s_or_b64 exec, exec, s[2:3]
	s_mov_b32 s2, 0xffffff
	v_cmp_lt_u32_e32 vcc, s2, v13
	s_and_saveexec_b64 s[2:3], vcc
	s_cbranch_execz .LBB893_591
; %bb.586:
	v_lshrrev_b32_e32 v10, 24, v13
	s_movk_i32 s7, 0x80
	v_cmp_ne_u32_e32 vcc, s7, v10
	v_mov_b32_e32 v22, 0xffff8000
	s_and_saveexec_b64 s[8:9], vcc
	s_cbranch_execz .LBB893_590
; %bb.587:
	v_bfe_u32 v13, v13, 24, 7
	s_movk_i32 s7, 0x7f
	v_cmp_ne_u32_e32 vcc, s7, v13
	v_mov_b32_e32 v22, 0x7f80
	s_and_saveexec_b64 s[10:11], vcc
	s_cbranch_execz .LBB893_589
; %bb.588:
	v_and_b32_e32 v22, 7, v10
	v_ffbh_u32_e32 v24, v22
	v_min_u32_e32 v27, 32, v24
	v_subrev_u32_e32 v24, 28, v27
	v_lshlrev_b64 v[24:25], v24, v[10:11]
	v_lshrrev_b32_e32 v26, 3, v13
	v_sub_u32_e32 v25, 29, v27
	v_and_b32_e32 v24, 7, v24
	v_cmp_gt_u32_e32 vcc, 8, v13
	v_cndmask_b32_e32 v13, v26, v25, vcc
	v_cndmask_b32_e32 v22, v22, v24, vcc
	v_lshlrev_b32_e32 v10, 24, v10
	v_bfrev_b32_e32 v24, 60
	v_lshlrev_b32_e32 v22, 20, v22
	v_and_b32_e32 v10, 0x80000000, v10
	v_lshl_add_u32 v13, v13, 23, v24
	v_or3_b32 v10, v10, v13, v22
	v_lshrrev_b32_e32 v22, 16, v10
.LBB893_589:
	s_or_b64 exec, exec, s[10:11]
.LBB893_590:
	s_or_b64 exec, exec, s[8:9]
.LBB893_591:
	s_or_b64 exec, exec, s[2:3]
	s_mov_b32 s2, 0x5040100
	v_perm_b32 v19, v19, v20, s2
	v_perm_b32 v18, v11, v18, s2
	ds_read_b128 v[24:27], v48 offset:2064
	v_perm_b32 v11, v22, v23, s2
	v_perm_b32 v10, v12, v21, s2
	s_waitcnt lgkmcnt(0)
	v_mfma_f32_16x16x16bf16_1k v[30:33], v[18:19], v[24:25], v[14:17]
	s_nop 6
	v_mov_b32_e32 v15, 0
	s_waitcnt vmcnt(1)
	v_cmp_ne_u16_sdwa s[8:9], v6, v15 src0_sel:BYTE_0 src1_sel:DWORD
	v_mfma_f32_16x16x16bf16_1k v[10:13], v[10:11], v[26:27], v[30:33]
	v_mov_b32_e32 v16, 0
	s_and_saveexec_b64 s[2:3], s[8:9]
	s_cbranch_execz .LBB893_597
; %bb.592:
	s_movk_i32 s7, 0x80
	v_cmp_ne_u16_sdwa s[10:11], v6, s7 src0_sel:BYTE_0 src1_sel:DWORD
	v_mov_b32_e32 v16, 0xffff8000
	s_and_saveexec_b64 s[8:9], s[10:11]
	s_cbranch_execz .LBB893_596
; %bb.593:
	s_movk_i32 s7, 0x7f
	v_and_b32_e32 v14, 0x7f, v6
	v_cmp_ne_u32_e32 vcc, s7, v14
	v_mov_b32_e32 v16, 0x7f80
	s_and_saveexec_b64 s[10:11], vcc
	s_cbranch_execz .LBB893_595
; %bb.594:
	v_and_b32_e32 v18, 7, v6
	v_ffbh_u32_e32 v16, v18
	v_min_u32_e32 v20, 32, v16
	v_subrev_u32_e32 v16, 28, v20
	v_lshlrev_b64 v[16:17], v16, v[6:7]
	v_lshrrev_b32_e32 v19, 3, v14
	v_sub_u32_e32 v17, 29, v20
	v_and_b32_e32 v16, 7, v16
	v_cmp_gt_u32_e32 vcc, 8, v14
	v_cndmask_b32_e32 v14, v19, v17, vcc
	v_cndmask_b32_e32 v16, v18, v16, vcc
	v_lshlrev_b32_e32 v17, 24, v6
	v_bfrev_b32_e32 v18, 60
	v_lshlrev_b32_e32 v16, 20, v16
	v_and_b32_e32 v17, 0x80000000, v17
	v_lshl_add_u32 v14, v14, 23, v18
	v_or3_b32 v14, v17, v14, v16
	v_lshrrev_b32_e32 v16, 16, v14
.LBB893_595:
	s_or_b64 exec, exec, s[10:11]
.LBB893_596:
	s_or_b64 exec, exec, s[8:9]
.LBB893_597:
	s_or_b64 exec, exec, s[2:3]
	v_lshrrev_b16_e32 v14, 8, v6
	v_cmp_ne_u16_e32 vcc, 0, v14
	s_and_saveexec_b64 s[2:3], vcc
	s_cbranch_execz .LBB893_603
; %bb.598:
	s_movk_i32 s7, 0x80
	v_cmp_ne_u16_e32 vcc, s7, v14
	v_mov_b32_e32 v15, 0xffff8000
	s_and_saveexec_b64 s[8:9], vcc
	s_cbranch_execz .LBB893_602
; %bb.599:
	s_movk_i32 s7, 0x7f
	v_and_b32_e32 v17, 0x7f, v14
	v_cmp_ne_u32_e32 vcc, s7, v17
	v_mov_b32_e32 v15, 0x7f80
	s_and_saveexec_b64 s[10:11], vcc
	s_cbranch_execz .LBB893_601
; %bb.600:
	v_and_b32_e32 v18, 7, v14
	v_ffbh_u32_e32 v15, v18
	v_min_u32_e32 v20, 32, v15
	v_subrev_u32_e32 v15, 28, v20
	v_lshlrev_b64 v[14:15], v15, v[14:15]
	v_lshrrev_b32_e32 v19, 3, v17
	v_sub_u32_e32 v15, 29, v20
	v_and_b32_e32 v14, 7, v14
	v_cmp_gt_u32_e32 vcc, 8, v17
	v_cndmask_b32_e32 v15, v19, v15, vcc
	v_cndmask_b32_e32 v14, v18, v14, vcc
	v_lshlrev_b32_e32 v17, 16, v6
	v_bfrev_b32_e32 v18, 60
	v_lshlrev_b32_e32 v14, 20, v14
	v_and_b32_e32 v17, 0x80000000, v17
	v_lshl_add_u32 v15, v15, 23, v18
	v_or3_b32 v14, v17, v15, v14
	v_lshrrev_b32_e32 v15, 16, v14
.LBB893_601:
	s_or_b64 exec, exec, s[10:11]
.LBB893_602:
	s_or_b64 exec, exec, s[8:9]
.LBB893_603:
	s_or_b64 exec, exec, s[2:3]
	s_movk_i32 s2, 0xff
	v_and_b32_sdwa v19, v6, s2 dst_sel:DWORD dst_unused:UNUSED_PAD src0_sel:WORD_1 src1_sel:DWORD
	v_lshrrev_b32_e32 v14, 16, v6
	v_cmp_ne_u16_e32 vcc, 0, v19
	v_mov_b32_e32 v17, 0
	v_mov_b32_e32 v18, 0
	s_and_saveexec_b64 s[2:3], vcc
	s_cbranch_execz .LBB893_609
; %bb.604:
	s_movk_i32 s7, 0x80
	v_cmp_ne_u16_e32 vcc, s7, v19
	v_mov_b32_e32 v18, 0xffff8000
	s_and_saveexec_b64 s[8:9], vcc
	s_cbranch_execz .LBB893_608
; %bb.605:
	v_bfe_u32 v19, v6, 16, 7
	s_movk_i32 s7, 0x7f
	v_cmp_ne_u32_e32 vcc, s7, v19
	v_mov_b32_e32 v18, 0x7f80
	s_and_saveexec_b64 s[10:11], vcc
	s_cbranch_execz .LBB893_607
; %bb.606:
	v_and_b32_e32 v18, 7, v14
	v_ffbh_u32_e32 v20, v18
	v_min_u32_e32 v23, 32, v20
	v_subrev_u32_e32 v20, 28, v23
	v_lshlrev_b64 v[20:21], v20, v[14:15]
	v_lshrrev_b32_e32 v22, 3, v19
	v_sub_u32_e32 v14, 29, v23
	v_and_b32_e32 v20, 7, v20
	v_cmp_gt_u32_e32 vcc, 8, v19
	v_mov_b32_e32 v19, 24
	v_cndmask_b32_e32 v14, v22, v14, vcc
	v_cndmask_b32_e32 v18, v18, v20, vcc
	v_lshlrev_b32_sdwa v19, v19, v6 dst_sel:DWORD dst_unused:UNUSED_PAD src0_sel:DWORD src1_sel:WORD_1
	v_bfrev_b32_e32 v20, 60
	v_lshlrev_b32_e32 v18, 20, v18
	v_and_b32_e32 v19, 0x80000000, v19
	v_lshl_add_u32 v14, v14, 23, v20
	v_or3_b32 v14, v19, v14, v18
	v_lshrrev_b32_e32 v18, 16, v14
.LBB893_607:
	s_or_b64 exec, exec, s[10:11]
.LBB893_608:
	s_or_b64 exec, exec, s[8:9]
.LBB893_609:
	s_or_b64 exec, exec, s[2:3]
	s_mov_b32 s2, 0xffffff
	v_cmp_lt_u32_e32 vcc, s2, v6
	s_and_saveexec_b64 s[2:3], vcc
	s_cbranch_execz .LBB893_615
; %bb.610:
	v_lshrrev_b32_e32 v14, 24, v6
	s_movk_i32 s7, 0x80
	v_cmp_ne_u32_e32 vcc, s7, v14
	v_mov_b32_e32 v17, 0xffff8000
	s_and_saveexec_b64 s[8:9], vcc
	s_cbranch_execz .LBB893_614
; %bb.611:
	v_bfe_u32 v6, v6, 24, 7
	s_movk_i32 s7, 0x7f
	v_cmp_ne_u32_e32 vcc, s7, v6
	v_mov_b32_e32 v17, 0x7f80
	s_and_saveexec_b64 s[10:11], vcc
	s_cbranch_execz .LBB893_613
; %bb.612:
	v_and_b32_e32 v17, 7, v14
	v_ffbh_u32_e32 v20, v17
	v_min_u32_e32 v22, 32, v20
	v_subrev_u32_e32 v20, 28, v22
	v_lshlrev_b64 v[20:21], v20, v[14:15]
	v_lshrrev_b32_e32 v19, 3, v6
	v_sub_u32_e32 v21, 29, v22
	v_and_b32_e32 v20, 7, v20
	v_cmp_gt_u32_e32 vcc, 8, v6
	v_cndmask_b32_e32 v6, v19, v21, vcc
	v_cndmask_b32_e32 v17, v17, v20, vcc
	v_lshlrev_b32_e32 v14, 24, v14
	v_bfrev_b32_e32 v19, 60
	v_lshlrev_b32_e32 v17, 20, v17
	v_and_b32_e32 v14, 0x80000000, v14
	v_lshl_add_u32 v6, v6, 23, v19
	v_or3_b32 v6, v14, v6, v17
	v_lshrrev_b32_e32 v17, 16, v6
.LBB893_613:
	s_or_b64 exec, exec, s[10:11]
.LBB893_614:
	s_or_b64 exec, exec, s[8:9]
.LBB893_615:
	s_or_b64 exec, exec, s[2:3]
	v_mov_b32_e32 v14, 0
	v_cmp_ne_u16_sdwa s[8:9], v7, v14 src0_sel:BYTE_0 src1_sel:DWORD
	v_mov_b32_e32 v19, 0
	s_and_saveexec_b64 s[2:3], s[8:9]
	s_cbranch_execz .LBB893_621
; %bb.616:
	s_movk_i32 s7, 0x80
	v_cmp_ne_u16_sdwa s[10:11], v7, s7 src0_sel:BYTE_0 src1_sel:DWORD
	v_mov_b32_e32 v19, 0xffff8000
	s_and_saveexec_b64 s[8:9], s[10:11]
	s_cbranch_execz .LBB893_620
; %bb.617:
	s_movk_i32 s7, 0x7f
	v_and_b32_e32 v6, 0x7f, v7
	v_cmp_ne_u32_e32 vcc, s7, v6
	v_mov_b32_e32 v19, 0x7f80
	s_and_saveexec_b64 s[10:11], vcc
	s_cbranch_execz .LBB893_619
; %bb.618:
	v_and_b32_e32 v19, 7, v7
	v_ffbh_u32_e32 v21, v19
	v_min_u32_e32 v23, 32, v21
	v_mov_b32_e32 v20, v7
	v_subrev_u32_e32 v21, 28, v23
	v_lshlrev_b64 v[20:21], v21, v[20:21]
	v_lshrrev_b32_e32 v22, 3, v6
	v_sub_u32_e32 v21, 29, v23
	v_and_b32_e32 v20, 7, v20
	v_cmp_gt_u32_e32 vcc, 8, v6
	v_cndmask_b32_e32 v6, v22, v21, vcc
	v_cndmask_b32_e32 v19, v19, v20, vcc
	v_lshlrev_b32_e32 v20, 24, v7
	v_bfrev_b32_e32 v21, 60
	v_lshlrev_b32_e32 v19, 20, v19
	v_and_b32_e32 v20, 0x80000000, v20
	v_lshl_add_u32 v6, v6, 23, v21
	v_or3_b32 v6, v20, v6, v19
	v_lshrrev_b32_e32 v19, 16, v6
.LBB893_619:
	s_or_b64 exec, exec, s[10:11]
.LBB893_620:
	s_or_b64 exec, exec, s[8:9]
.LBB893_621:
	s_or_b64 exec, exec, s[2:3]
	v_lshrrev_b16_e32 v6, 8, v7
	v_cmp_ne_u16_e32 vcc, 0, v6
	s_and_saveexec_b64 s[2:3], vcc
	s_cbranch_execz .LBB893_627
; %bb.622:
	s_movk_i32 s7, 0x80
	v_cmp_ne_u16_e32 vcc, s7, v6
	v_mov_b32_e32 v14, 0xffff8000
	s_and_saveexec_b64 s[8:9], vcc
	s_cbranch_execz .LBB893_626
; %bb.623:
	s_movk_i32 s7, 0x7f
	v_and_b32_e32 v20, 0x7f, v6
	v_cmp_ne_u32_e32 vcc, s7, v20
	v_mov_b32_e32 v14, 0x7f80
	s_and_saveexec_b64 s[10:11], vcc
	s_cbranch_execz .LBB893_625
; %bb.624:
	v_and_b32_e32 v14, 7, v6
	v_ffbh_u32_e32 v22, v14
	v_min_u32_e32 v24, 32, v22
	v_subrev_u32_e32 v22, 28, v24
	v_lshlrev_b64 v[22:23], v22, v[6:7]
	v_lshrrev_b32_e32 v21, 3, v20
	v_sub_u32_e32 v6, 29, v24
	v_and_b32_e32 v22, 7, v22
	v_cmp_gt_u32_e32 vcc, 8, v20
	v_cndmask_b32_e32 v6, v21, v6, vcc
	v_cndmask_b32_e32 v14, v14, v22, vcc
	v_lshlrev_b32_e32 v20, 16, v7
	v_bfrev_b32_e32 v21, 60
	v_lshlrev_b32_e32 v14, 20, v14
	v_and_b32_e32 v20, 0x80000000, v20
	v_lshl_add_u32 v6, v6, 23, v21
	v_or3_b32 v6, v20, v6, v14
	v_lshrrev_b32_e32 v14, 16, v6
.LBB893_625:
	s_or_b64 exec, exec, s[10:11]
.LBB893_626:
	s_or_b64 exec, exec, s[8:9]
.LBB893_627:
	s_or_b64 exec, exec, s[2:3]
	s_movk_i32 s2, 0xff
	v_and_b32_sdwa v22, v7, s2 dst_sel:DWORD dst_unused:UNUSED_PAD src0_sel:WORD_1 src1_sel:DWORD
	v_lshrrev_b32_e32 v6, 16, v7
	v_cmp_ne_u16_e32 vcc, 0, v22
	v_mov_b32_e32 v20, 0
	v_mov_b32_e32 v21, 0
	s_and_saveexec_b64 s[2:3], vcc
	s_cbranch_execz .LBB893_633
; %bb.628:
	s_movk_i32 s7, 0x80
	v_cmp_ne_u16_e32 vcc, s7, v22
	v_mov_b32_e32 v21, 0xffff8000
	s_and_saveexec_b64 s[8:9], vcc
	s_cbranch_execz .LBB893_632
; %bb.629:
	v_bfe_u32 v22, v7, 16, 7
	s_movk_i32 s7, 0x7f
	v_cmp_ne_u32_e32 vcc, s7, v22
	v_mov_b32_e32 v21, 0x7f80
	s_and_saveexec_b64 s[10:11], vcc
	s_cbranch_execz .LBB893_631
; %bb.630:
	v_and_b32_e32 v21, 7, v6
	v_ffbh_u32_e32 v24, v21
	v_min_u32_e32 v26, 32, v24
	v_subrev_u32_e32 v24, 28, v26
	v_lshlrev_b64 v[24:25], v24, v[6:7]
	v_lshrrev_b32_e32 v23, 3, v22
	v_sub_u32_e32 v6, 29, v26
	v_and_b32_e32 v24, 7, v24
	v_cmp_gt_u32_e32 vcc, 8, v22
	v_mov_b32_e32 v22, 24
	v_cndmask_b32_e32 v6, v23, v6, vcc
	v_cndmask_b32_e32 v21, v21, v24, vcc
	v_lshlrev_b32_sdwa v22, v22, v7 dst_sel:DWORD dst_unused:UNUSED_PAD src0_sel:DWORD src1_sel:WORD_1
	v_bfrev_b32_e32 v23, 60
	v_lshlrev_b32_e32 v21, 20, v21
	v_and_b32_e32 v22, 0x80000000, v22
	v_lshl_add_u32 v6, v6, 23, v23
	v_or3_b32 v6, v22, v6, v21
	v_lshrrev_b32_e32 v21, 16, v6
.LBB893_631:
	s_or_b64 exec, exec, s[10:11]
.LBB893_632:
	s_or_b64 exec, exec, s[8:9]
.LBB893_633:
	s_or_b64 exec, exec, s[2:3]
	s_mov_b32 s2, 0xffffff
	v_cmp_lt_u32_e32 vcc, s2, v7
	s_and_saveexec_b64 s[2:3], vcc
	s_cbranch_execz .LBB893_639
; %bb.634:
	v_lshrrev_b32_e32 v6, 24, v7
	s_movk_i32 s7, 0x80
	v_cmp_ne_u32_e32 vcc, s7, v6
	v_mov_b32_e32 v20, 0xffff8000
	s_and_saveexec_b64 s[8:9], vcc
	s_cbranch_execz .LBB893_638
; %bb.635:
	v_bfe_u32 v7, v7, 24, 7
	s_movk_i32 s7, 0x7f
	v_cmp_ne_u32_e32 vcc, s7, v7
	v_mov_b32_e32 v20, 0x7f80
	s_and_saveexec_b64 s[10:11], vcc
	s_cbranch_execz .LBB893_637
; %bb.636:
	v_and_b32_e32 v20, 7, v6
	v_ffbh_u32_e32 v22, v20
	v_min_u32_e32 v25, 32, v22
	v_subrev_u32_e32 v22, 28, v25
	v_lshlrev_b64 v[22:23], v22, v[6:7]
	v_lshrrev_b32_e32 v24, 3, v7
	v_sub_u32_e32 v23, 29, v25
	v_and_b32_e32 v22, 7, v22
	v_cmp_gt_u32_e32 vcc, 8, v7
	v_cndmask_b32_e32 v7, v24, v23, vcc
	v_cndmask_b32_e32 v20, v20, v22, vcc
	v_lshlrev_b32_e32 v6, 24, v6
	v_bfrev_b32_e32 v22, 60
	v_lshlrev_b32_e32 v20, 20, v20
	v_and_b32_e32 v6, 0x80000000, v6
	v_lshl_add_u32 v7, v7, 23, v22
	v_or3_b32 v6, v6, v7, v20
	v_lshrrev_b32_e32 v20, 16, v6
.LBB893_637:
	s_or_b64 exec, exec, s[10:11]
.LBB893_638:
	s_or_b64 exec, exec, s[8:9]
.LBB893_639:
	s_or_b64 exec, exec, s[2:3]
	s_mov_b32 s2, 0x5040100
	v_perm_b32 v7, v17, v18, s2
	v_perm_b32 v6, v15, v16, s2
	ds_read_b128 v[22:25], v48 offset:4096
	v_perm_b32 v17, v20, v21, s2
	v_perm_b32 v16, v14, v19, s2
	s_waitcnt lgkmcnt(0)
	v_mfma_f32_16x16x16bf16_1k v[10:13], v[6:7], v[22:23], v[10:13]
	v_mov_b32_e32 v7, 0
	v_cmp_ne_u16_sdwa s[8:9], v8, v7 src0_sel:BYTE_0 src1_sel:DWORD
	v_mov_b32_e32 v14, 0
	v_mfma_f32_16x16x16bf16_1k v[10:13], v[16:17], v[24:25], v[10:13]
	s_and_saveexec_b64 s[2:3], s[8:9]
	s_cbranch_execz .LBB893_645
; %bb.640:
	s_movk_i32 s7, 0x80
	v_cmp_ne_u16_sdwa s[10:11], v8, s7 src0_sel:BYTE_0 src1_sel:DWORD
	v_mov_b32_e32 v14, 0xffff8000
	s_and_saveexec_b64 s[8:9], s[10:11]
	s_cbranch_execz .LBB893_644
; %bb.641:
	s_movk_i32 s7, 0x7f
	v_and_b32_e32 v6, 0x7f, v8
	v_cmp_ne_u32_e32 vcc, s7, v6
	v_mov_b32_e32 v14, 0x7f80
	s_and_saveexec_b64 s[10:11], vcc
	s_cbranch_execz .LBB893_643
; %bb.642:
	v_and_b32_e32 v16, 7, v8
	v_ffbh_u32_e32 v14, v16
	v_min_u32_e32 v18, 32, v14
	v_subrev_u32_e32 v14, 28, v18
	v_lshlrev_b64 v[14:15], v14, v[8:9]
	v_lshrrev_b32_e32 v17, 3, v6
	v_sub_u32_e32 v15, 29, v18
	v_and_b32_e32 v14, 7, v14
	v_cmp_gt_u32_e32 vcc, 8, v6
	v_cndmask_b32_e32 v6, v17, v15, vcc
	v_cndmask_b32_e32 v14, v16, v14, vcc
	v_lshlrev_b32_e32 v15, 24, v8
	v_bfrev_b32_e32 v16, 60
	v_lshlrev_b32_e32 v14, 20, v14
	v_and_b32_e32 v15, 0x80000000, v15
	v_lshl_add_u32 v6, v6, 23, v16
	v_or3_b32 v6, v15, v6, v14
	v_lshrrev_b32_e32 v14, 16, v6
.LBB893_643:
	s_or_b64 exec, exec, s[10:11]
.LBB893_644:
	s_or_b64 exec, exec, s[8:9]
.LBB893_645:
	s_or_b64 exec, exec, s[2:3]
	v_lshrrev_b16_e32 v6, 8, v8
	v_cmp_ne_u16_e32 vcc, 0, v6
	s_and_saveexec_b64 s[2:3], vcc
	s_cbranch_execz .LBB893_651
; %bb.646:
	s_movk_i32 s7, 0x80
	v_cmp_ne_u16_e32 vcc, s7, v6
	v_mov_b32_e32 v7, 0xffff8000
	s_and_saveexec_b64 s[8:9], vcc
	s_cbranch_execz .LBB893_650
; %bb.647:
	s_movk_i32 s7, 0x7f
	v_and_b32_e32 v15, 0x7f, v6
	v_cmp_ne_u32_e32 vcc, s7, v15
	v_mov_b32_e32 v7, 0x7f80
	s_and_saveexec_b64 s[10:11], vcc
	s_cbranch_execz .LBB893_649
; %bb.648:
	v_and_b32_e32 v16, 7, v6
	v_ffbh_u32_e32 v7, v16
	v_min_u32_e32 v18, 32, v7
	v_subrev_u32_e32 v7, 28, v18
	v_lshlrev_b64 v[6:7], v7, v[6:7]
	v_lshrrev_b32_e32 v17, 3, v15
	v_sub_u32_e32 v7, 29, v18
	v_and_b32_e32 v6, 7, v6
	v_cmp_gt_u32_e32 vcc, 8, v15
	v_cndmask_b32_e32 v7, v17, v7, vcc
	v_cndmask_b32_e32 v6, v16, v6, vcc
	v_lshlrev_b32_e32 v15, 16, v8
	v_bfrev_b32_e32 v16, 60
	v_lshlrev_b32_e32 v6, 20, v6
	v_and_b32_e32 v15, 0x80000000, v15
	v_lshl_add_u32 v7, v7, 23, v16
	v_or3_b32 v6, v15, v7, v6
	v_lshrrev_b32_e32 v7, 16, v6
.LBB893_649:
	s_or_b64 exec, exec, s[10:11]
.LBB893_650:
	s_or_b64 exec, exec, s[8:9]
.LBB893_651:
	s_or_b64 exec, exec, s[2:3]
	s_movk_i32 s2, 0xff
	v_and_b32_sdwa v17, v8, s2 dst_sel:DWORD dst_unused:UNUSED_PAD src0_sel:WORD_1 src1_sel:DWORD
	v_lshrrev_b32_e32 v6, 16, v8
	v_cmp_ne_u16_e32 vcc, 0, v17
	v_mov_b32_e32 v15, 0
	v_mov_b32_e32 v16, 0
	s_and_saveexec_b64 s[2:3], vcc
	s_cbranch_execz .LBB893_657
; %bb.652:
	s_movk_i32 s7, 0x80
	v_cmp_ne_u16_e32 vcc, s7, v17
	v_mov_b32_e32 v16, 0xffff8000
	s_and_saveexec_b64 s[8:9], vcc
	s_cbranch_execz .LBB893_656
; %bb.653:
	v_bfe_u32 v17, v8, 16, 7
	s_movk_i32 s7, 0x7f
	v_cmp_ne_u32_e32 vcc, s7, v17
	v_mov_b32_e32 v16, 0x7f80
	s_and_saveexec_b64 s[10:11], vcc
	s_cbranch_execz .LBB893_655
; %bb.654:
	v_and_b32_e32 v16, 7, v6
	v_ffbh_u32_e32 v18, v16
	v_min_u32_e32 v21, 32, v18
	v_subrev_u32_e32 v18, 28, v21
	v_lshlrev_b64 v[18:19], v18, v[6:7]
	v_lshrrev_b32_e32 v20, 3, v17
	v_sub_u32_e32 v6, 29, v21
	v_and_b32_e32 v18, 7, v18
	v_cmp_gt_u32_e32 vcc, 8, v17
	v_mov_b32_e32 v17, 24
	v_cndmask_b32_e32 v6, v20, v6, vcc
	v_cndmask_b32_e32 v16, v16, v18, vcc
	v_lshlrev_b32_sdwa v17, v17, v8 dst_sel:DWORD dst_unused:UNUSED_PAD src0_sel:DWORD src1_sel:WORD_1
	v_bfrev_b32_e32 v18, 60
	v_lshlrev_b32_e32 v16, 20, v16
	v_and_b32_e32 v17, 0x80000000, v17
	v_lshl_add_u32 v6, v6, 23, v18
	v_or3_b32 v6, v17, v6, v16
	v_lshrrev_b32_e32 v16, 16, v6
.LBB893_655:
	s_or_b64 exec, exec, s[10:11]
.LBB893_656:
	s_or_b64 exec, exec, s[8:9]
.LBB893_657:
	s_or_b64 exec, exec, s[2:3]
	s_mov_b32 s2, 0xffffff
	v_cmp_lt_u32_e32 vcc, s2, v8
	s_and_saveexec_b64 s[2:3], vcc
	s_cbranch_execz .LBB893_663
; %bb.658:
	v_lshrrev_b32_e32 v6, 24, v8
	s_movk_i32 s7, 0x80
	v_cmp_ne_u32_e32 vcc, s7, v6
	v_mov_b32_e32 v15, 0xffff8000
	s_and_saveexec_b64 s[8:9], vcc
	s_cbranch_execz .LBB893_662
; %bb.659:
	v_bfe_u32 v8, v8, 24, 7
	s_movk_i32 s7, 0x7f
	v_cmp_ne_u32_e32 vcc, s7, v8
	v_mov_b32_e32 v15, 0x7f80
	s_and_saveexec_b64 s[10:11], vcc
	s_cbranch_execz .LBB893_661
; %bb.660:
	v_and_b32_e32 v15, 7, v6
	v_ffbh_u32_e32 v18, v15
	v_min_u32_e32 v20, 32, v18
	v_subrev_u32_e32 v18, 28, v20
	v_lshlrev_b64 v[18:19], v18, v[6:7]
	v_lshrrev_b32_e32 v17, 3, v8
	v_sub_u32_e32 v19, 29, v20
	v_and_b32_e32 v18, 7, v18
	v_cmp_gt_u32_e32 vcc, 8, v8
	v_cndmask_b32_e32 v8, v17, v19, vcc
	v_cndmask_b32_e32 v15, v15, v18, vcc
	v_lshlrev_b32_e32 v6, 24, v6
	v_bfrev_b32_e32 v17, 60
	v_lshlrev_b32_e32 v15, 20, v15
	v_and_b32_e32 v6, 0x80000000, v6
	v_lshl_add_u32 v8, v8, 23, v17
	v_or3_b32 v6, v6, v8, v15
	v_lshrrev_b32_e32 v15, 16, v6
.LBB893_661:
	s_or_b64 exec, exec, s[10:11]
.LBB893_662:
	s_or_b64 exec, exec, s[8:9]
.LBB893_663:
	s_or_b64 exec, exec, s[2:3]
	v_mov_b32_e32 v8, 0
	v_cmp_ne_u16_sdwa s[8:9], v9, v8 src0_sel:BYTE_0 src1_sel:DWORD
	v_mov_b32_e32 v17, 0
	s_and_saveexec_b64 s[2:3], s[8:9]
	s_cbranch_execz .LBB893_669
; %bb.664:
	s_movk_i32 s7, 0x80
	v_cmp_ne_u16_sdwa s[10:11], v9, s7 src0_sel:BYTE_0 src1_sel:DWORD
	v_mov_b32_e32 v17, 0xffff8000
	s_and_saveexec_b64 s[8:9], s[10:11]
	s_cbranch_execz .LBB893_668
; %bb.665:
	s_movk_i32 s7, 0x7f
	v_and_b32_e32 v6, 0x7f, v9
	v_cmp_ne_u32_e32 vcc, s7, v6
	v_mov_b32_e32 v17, 0x7f80
	s_and_saveexec_b64 s[10:11], vcc
	s_cbranch_execz .LBB893_667
; %bb.666:
	v_and_b32_e32 v17, 7, v9
	v_ffbh_u32_e32 v19, v17
	v_min_u32_e32 v21, 32, v19
	v_mov_b32_e32 v18, v9
	v_subrev_u32_e32 v19, 28, v21
	v_lshlrev_b64 v[18:19], v19, v[18:19]
	v_lshrrev_b32_e32 v20, 3, v6
	v_sub_u32_e32 v19, 29, v21
	v_and_b32_e32 v18, 7, v18
	v_cmp_gt_u32_e32 vcc, 8, v6
	v_cndmask_b32_e32 v6, v20, v19, vcc
	v_cndmask_b32_e32 v17, v17, v18, vcc
	v_lshlrev_b32_e32 v18, 24, v9
	v_bfrev_b32_e32 v19, 60
	v_lshlrev_b32_e32 v17, 20, v17
	v_and_b32_e32 v18, 0x80000000, v18
	v_lshl_add_u32 v6, v6, 23, v19
	v_or3_b32 v6, v18, v6, v17
	v_lshrrev_b32_e32 v17, 16, v6
.LBB893_667:
	s_or_b64 exec, exec, s[10:11]
.LBB893_668:
	s_or_b64 exec, exec, s[8:9]
.LBB893_669:
	s_or_b64 exec, exec, s[2:3]
	v_lshrrev_b16_e32 v6, 8, v9
	v_cmp_ne_u16_e32 vcc, 0, v6
	s_and_saveexec_b64 s[2:3], vcc
	s_cbranch_execz .LBB893_675
; %bb.670:
	s_movk_i32 s7, 0x80
	v_cmp_ne_u16_e32 vcc, s7, v6
	v_mov_b32_e32 v8, 0xffff8000
	s_and_saveexec_b64 s[8:9], vcc
	s_cbranch_execz .LBB893_674
; %bb.671:
	s_movk_i32 s7, 0x7f
	v_and_b32_e32 v18, 0x7f, v6
	v_cmp_ne_u32_e32 vcc, s7, v18
	v_mov_b32_e32 v8, 0x7f80
	s_and_saveexec_b64 s[10:11], vcc
	s_cbranch_execz .LBB893_673
; %bb.672:
	v_and_b32_e32 v8, 7, v6
	v_ffbh_u32_e32 v20, v8
	v_min_u32_e32 v22, 32, v20
	v_subrev_u32_e32 v20, 28, v22
	v_lshlrev_b64 v[20:21], v20, v[6:7]
	v_lshrrev_b32_e32 v19, 3, v18
	v_sub_u32_e32 v6, 29, v22
	v_and_b32_e32 v20, 7, v20
	v_cmp_gt_u32_e32 vcc, 8, v18
	v_cndmask_b32_e32 v6, v19, v6, vcc
	v_cndmask_b32_e32 v8, v8, v20, vcc
	v_lshlrev_b32_e32 v18, 16, v9
	v_bfrev_b32_e32 v19, 60
	v_lshlrev_b32_e32 v8, 20, v8
	v_and_b32_e32 v18, 0x80000000, v18
	v_lshl_add_u32 v6, v6, 23, v19
	v_or3_b32 v6, v18, v6, v8
	v_lshrrev_b32_e32 v8, 16, v6
.LBB893_673:
	s_or_b64 exec, exec, s[10:11]
.LBB893_674:
	s_or_b64 exec, exec, s[8:9]
.LBB893_675:
	s_or_b64 exec, exec, s[2:3]
	s_movk_i32 s2, 0xff
	v_and_b32_sdwa v20, v9, s2 dst_sel:DWORD dst_unused:UNUSED_PAD src0_sel:WORD_1 src1_sel:DWORD
	v_lshrrev_b32_e32 v6, 16, v9
	v_cmp_ne_u16_e32 vcc, 0, v20
	v_mov_b32_e32 v18, 0
	v_mov_b32_e32 v19, 0
	s_and_saveexec_b64 s[2:3], vcc
	s_cbranch_execz .LBB893_681
; %bb.676:
	s_movk_i32 s7, 0x80
	v_cmp_ne_u16_e32 vcc, s7, v20
	v_mov_b32_e32 v19, 0xffff8000
	s_and_saveexec_b64 s[8:9], vcc
	s_cbranch_execz .LBB893_680
; %bb.677:
	v_bfe_u32 v20, v9, 16, 7
	s_movk_i32 s7, 0x7f
	v_cmp_ne_u32_e32 vcc, s7, v20
	v_mov_b32_e32 v19, 0x7f80
	s_and_saveexec_b64 s[10:11], vcc
	s_cbranch_execz .LBB893_679
; %bb.678:
	v_and_b32_e32 v19, 7, v6
	v_ffbh_u32_e32 v22, v19
	v_min_u32_e32 v24, 32, v22
	v_subrev_u32_e32 v22, 28, v24
	v_lshlrev_b64 v[22:23], v22, v[6:7]
	v_lshrrev_b32_e32 v21, 3, v20
	v_sub_u32_e32 v6, 29, v24
	v_and_b32_e32 v22, 7, v22
	v_cmp_gt_u32_e32 vcc, 8, v20
	v_mov_b32_e32 v20, 24
	v_cndmask_b32_e32 v6, v21, v6, vcc
	v_cndmask_b32_e32 v19, v19, v22, vcc
	v_lshlrev_b32_sdwa v20, v20, v9 dst_sel:DWORD dst_unused:UNUSED_PAD src0_sel:DWORD src1_sel:WORD_1
	v_bfrev_b32_e32 v21, 60
	v_lshlrev_b32_e32 v19, 20, v19
	v_and_b32_e32 v20, 0x80000000, v20
	v_lshl_add_u32 v6, v6, 23, v21
	v_or3_b32 v6, v20, v6, v19
	v_lshrrev_b32_e32 v19, 16, v6
.LBB893_679:
	s_or_b64 exec, exec, s[10:11]
.LBB893_680:
	s_or_b64 exec, exec, s[8:9]
.LBB893_681:
	s_or_b64 exec, exec, s[2:3]
	s_mov_b32 s2, 0xffffff
	v_cmp_lt_u32_e32 vcc, s2, v9
	s_and_saveexec_b64 s[2:3], vcc
	s_cbranch_execz .LBB893_687
; %bb.682:
	v_lshrrev_b32_e32 v6, 24, v9
	s_movk_i32 s7, 0x80
	v_cmp_ne_u32_e32 vcc, s7, v6
	v_mov_b32_e32 v18, 0xffff8000
	s_and_saveexec_b64 s[8:9], vcc
	s_cbranch_execz .LBB893_686
; %bb.683:
	v_bfe_u32 v9, v9, 24, 7
	s_movk_i32 s7, 0x7f
	v_cmp_ne_u32_e32 vcc, s7, v9
	v_mov_b32_e32 v18, 0x7f80
	s_and_saveexec_b64 s[10:11], vcc
	s_cbranch_execz .LBB893_685
; %bb.684:
	v_and_b32_e32 v18, 7, v6
	v_ffbh_u32_e32 v20, v18
	v_min_u32_e32 v23, 32, v20
	v_subrev_u32_e32 v20, 28, v23
	v_lshlrev_b64 v[20:21], v20, v[6:7]
	v_lshrrev_b32_e32 v22, 3, v9
	v_sub_u32_e32 v21, 29, v23
	v_and_b32_e32 v20, 7, v20
	v_cmp_gt_u32_e32 vcc, 8, v9
	v_cndmask_b32_e32 v9, v22, v21, vcc
	v_cndmask_b32_e32 v18, v18, v20, vcc
	v_lshlrev_b32_e32 v6, 24, v6
	v_bfrev_b32_e32 v20, 60
	v_lshlrev_b32_e32 v18, 20, v18
	v_and_b32_e32 v6, 0x80000000, v6
	v_lshl_add_u32 v9, v9, 23, v20
	v_or3_b32 v6, v6, v9, v18
	v_lshrrev_b32_e32 v18, 16, v6
.LBB893_685:
	s_or_b64 exec, exec, s[10:11]
.LBB893_686:
	s_or_b64 exec, exec, s[8:9]
.LBB893_687:
	s_or_b64 exec, exec, s[2:3]
	s_mov_b32 s2, 0x5040100
	v_perm_b32 v15, v15, v16, s2
	v_perm_b32 v14, v7, v14, s2
	ds_read_b128 v[20:23], v48 offset:4112
	v_perm_b32 v7, v18, v19, s2
	v_perm_b32 v6, v8, v17, s2
	s_waitcnt lgkmcnt(0)
	v_mfma_f32_16x16x16bf16_1k v[24:27], v[14:15], v[20:21], v[10:13]
	s_nop 6
	v_mov_b32_e32 v11, 0
	s_waitcnt vmcnt(0)
	v_cmp_ne_u16_sdwa s[8:9], v2, v11 src0_sel:BYTE_0 src1_sel:DWORD
	v_mfma_f32_16x16x16bf16_1k v[6:9], v[6:7], v[22:23], v[24:27]
	v_mov_b32_e32 v12, 0
	s_and_saveexec_b64 s[2:3], s[8:9]
	s_cbranch_execz .LBB893_693
; %bb.688:
	s_movk_i32 s7, 0x80
	v_cmp_ne_u16_sdwa s[10:11], v2, s7 src0_sel:BYTE_0 src1_sel:DWORD
	v_mov_b32_e32 v12, 0xffff8000
	s_and_saveexec_b64 s[8:9], s[10:11]
	s_cbranch_execz .LBB893_692
; %bb.689:
	s_movk_i32 s7, 0x7f
	v_and_b32_e32 v10, 0x7f, v2
	v_cmp_ne_u32_e32 vcc, s7, v10
	v_mov_b32_e32 v12, 0x7f80
	s_and_saveexec_b64 s[10:11], vcc
	s_cbranch_execz .LBB893_691
; %bb.690:
	v_and_b32_e32 v14, 7, v2
	v_ffbh_u32_e32 v12, v14
	v_min_u32_e32 v16, 32, v12
	v_subrev_u32_e32 v12, 28, v16
	v_lshlrev_b64 v[12:13], v12, v[2:3]
	v_lshrrev_b32_e32 v15, 3, v10
	v_sub_u32_e32 v13, 29, v16
	v_and_b32_e32 v12, 7, v12
	v_cmp_gt_u32_e32 vcc, 8, v10
	v_cndmask_b32_e32 v10, v15, v13, vcc
	v_cndmask_b32_e32 v12, v14, v12, vcc
	v_lshlrev_b32_e32 v13, 24, v2
	v_bfrev_b32_e32 v14, 60
	v_lshlrev_b32_e32 v12, 20, v12
	v_and_b32_e32 v13, 0x80000000, v13
	v_lshl_add_u32 v10, v10, 23, v14
	v_or3_b32 v10, v13, v10, v12
	v_lshrrev_b32_e32 v12, 16, v10
.LBB893_691:
	s_or_b64 exec, exec, s[10:11]
.LBB893_692:
	s_or_b64 exec, exec, s[8:9]
.LBB893_693:
	s_or_b64 exec, exec, s[2:3]
	v_lshrrev_b16_e32 v10, 8, v2
	v_cmp_ne_u16_e32 vcc, 0, v10
	s_and_saveexec_b64 s[2:3], vcc
	s_cbranch_execz .LBB893_699
; %bb.694:
	s_movk_i32 s7, 0x80
	v_cmp_ne_u16_e32 vcc, s7, v10
	v_mov_b32_e32 v11, 0xffff8000
	s_and_saveexec_b64 s[8:9], vcc
	s_cbranch_execz .LBB893_698
; %bb.695:
	s_movk_i32 s7, 0x7f
	v_and_b32_e32 v13, 0x7f, v10
	v_cmp_ne_u32_e32 vcc, s7, v13
	v_mov_b32_e32 v11, 0x7f80
	s_and_saveexec_b64 s[10:11], vcc
	s_cbranch_execz .LBB893_697
; %bb.696:
	v_and_b32_e32 v14, 7, v10
	v_ffbh_u32_e32 v11, v14
	v_min_u32_e32 v16, 32, v11
	v_subrev_u32_e32 v11, 28, v16
	v_lshlrev_b64 v[10:11], v11, v[10:11]
	v_lshrrev_b32_e32 v15, 3, v13
	v_sub_u32_e32 v11, 29, v16
	v_and_b32_e32 v10, 7, v10
	v_cmp_gt_u32_e32 vcc, 8, v13
	v_cndmask_b32_e32 v11, v15, v11, vcc
	v_cndmask_b32_e32 v10, v14, v10, vcc
	v_lshlrev_b32_e32 v13, 16, v2
	v_bfrev_b32_e32 v14, 60
	v_lshlrev_b32_e32 v10, 20, v10
	v_and_b32_e32 v13, 0x80000000, v13
	v_lshl_add_u32 v11, v11, 23, v14
	v_or3_b32 v10, v13, v11, v10
	v_lshrrev_b32_e32 v11, 16, v10
.LBB893_697:
	s_or_b64 exec, exec, s[10:11]
.LBB893_698:
	s_or_b64 exec, exec, s[8:9]
.LBB893_699:
	s_or_b64 exec, exec, s[2:3]
	s_movk_i32 s2, 0xff
	v_and_b32_sdwa v15, v2, s2 dst_sel:DWORD dst_unused:UNUSED_PAD src0_sel:WORD_1 src1_sel:DWORD
	v_lshrrev_b32_e32 v10, 16, v2
	v_cmp_ne_u16_e32 vcc, 0, v15
	v_mov_b32_e32 v13, 0
	v_mov_b32_e32 v14, 0
	s_and_saveexec_b64 s[2:3], vcc
	s_cbranch_execz .LBB893_705
; %bb.700:
	s_movk_i32 s7, 0x80
	v_cmp_ne_u16_e32 vcc, s7, v15
	v_mov_b32_e32 v14, 0xffff8000
	s_and_saveexec_b64 s[8:9], vcc
	s_cbranch_execz .LBB893_704
; %bb.701:
	v_bfe_u32 v15, v2, 16, 7
	s_movk_i32 s7, 0x7f
	v_cmp_ne_u32_e32 vcc, s7, v15
	v_mov_b32_e32 v14, 0x7f80
	s_and_saveexec_b64 s[10:11], vcc
	s_cbranch_execz .LBB893_703
; %bb.702:
	v_and_b32_e32 v14, 7, v10
	v_ffbh_u32_e32 v16, v14
	v_min_u32_e32 v19, 32, v16
	v_subrev_u32_e32 v16, 28, v19
	v_lshlrev_b64 v[16:17], v16, v[10:11]
	v_lshrrev_b32_e32 v18, 3, v15
	v_sub_u32_e32 v10, 29, v19
	v_and_b32_e32 v16, 7, v16
	v_cmp_gt_u32_e32 vcc, 8, v15
	v_mov_b32_e32 v15, 24
	v_cndmask_b32_e32 v10, v18, v10, vcc
	v_cndmask_b32_e32 v14, v14, v16, vcc
	v_lshlrev_b32_sdwa v15, v15, v2 dst_sel:DWORD dst_unused:UNUSED_PAD src0_sel:DWORD src1_sel:WORD_1
	v_bfrev_b32_e32 v16, 60
	v_lshlrev_b32_e32 v14, 20, v14
	v_and_b32_e32 v15, 0x80000000, v15
	v_lshl_add_u32 v10, v10, 23, v16
	v_or3_b32 v10, v15, v10, v14
	v_lshrrev_b32_e32 v14, 16, v10
.LBB893_703:
	s_or_b64 exec, exec, s[10:11]
.LBB893_704:
	s_or_b64 exec, exec, s[8:9]
.LBB893_705:
	s_or_b64 exec, exec, s[2:3]
	s_mov_b32 s2, 0xffffff
	v_cmp_lt_u32_e32 vcc, s2, v2
	s_and_saveexec_b64 s[2:3], vcc
	s_cbranch_execz .LBB893_711
; %bb.706:
	v_lshrrev_b32_e32 v10, 24, v2
	s_movk_i32 s7, 0x80
	v_cmp_ne_u32_e32 vcc, s7, v10
	v_mov_b32_e32 v13, 0xffff8000
	s_and_saveexec_b64 s[8:9], vcc
	s_cbranch_execz .LBB893_710
; %bb.707:
	v_bfe_u32 v2, v2, 24, 7
	s_movk_i32 s7, 0x7f
	v_cmp_ne_u32_e32 vcc, s7, v2
	v_mov_b32_e32 v13, 0x7f80
	s_and_saveexec_b64 s[10:11], vcc
	s_cbranch_execz .LBB893_709
; %bb.708:
	v_and_b32_e32 v13, 7, v10
	v_ffbh_u32_e32 v16, v13
	v_min_u32_e32 v18, 32, v16
	v_subrev_u32_e32 v16, 28, v18
	v_lshlrev_b64 v[16:17], v16, v[10:11]
	v_lshrrev_b32_e32 v15, 3, v2
	v_sub_u32_e32 v17, 29, v18
	v_and_b32_e32 v16, 7, v16
	v_cmp_gt_u32_e32 vcc, 8, v2
	v_cndmask_b32_e32 v2, v15, v17, vcc
	v_cndmask_b32_e32 v13, v13, v16, vcc
	v_lshlrev_b32_e32 v10, 24, v10
	v_bfrev_b32_e32 v15, 60
	v_lshlrev_b32_e32 v13, 20, v13
	v_and_b32_e32 v10, 0x80000000, v10
	v_lshl_add_u32 v2, v2, 23, v15
	v_or3_b32 v2, v10, v2, v13
	v_lshrrev_b32_e32 v13, 16, v2
.LBB893_709:
	s_or_b64 exec, exec, s[10:11]
.LBB893_710:
	s_or_b64 exec, exec, s[8:9]
.LBB893_711:
	s_or_b64 exec, exec, s[2:3]
	v_mov_b32_e32 v10, 0
	v_cmp_ne_u16_sdwa s[8:9], v3, v10 src0_sel:BYTE_0 src1_sel:DWORD
	v_mov_b32_e32 v15, 0
	s_and_saveexec_b64 s[2:3], s[8:9]
	s_cbranch_execz .LBB893_717
; %bb.712:
	s_movk_i32 s7, 0x80
	v_cmp_ne_u16_sdwa s[10:11], v3, s7 src0_sel:BYTE_0 src1_sel:DWORD
	v_mov_b32_e32 v15, 0xffff8000
	s_and_saveexec_b64 s[8:9], s[10:11]
	s_cbranch_execz .LBB893_716
; %bb.713:
	s_movk_i32 s7, 0x7f
	v_and_b32_e32 v2, 0x7f, v3
	v_cmp_ne_u32_e32 vcc, s7, v2
	v_mov_b32_e32 v15, 0x7f80
	s_and_saveexec_b64 s[10:11], vcc
	s_cbranch_execz .LBB893_715
; %bb.714:
	v_and_b32_e32 v15, 7, v3
	v_ffbh_u32_e32 v17, v15
	v_min_u32_e32 v19, 32, v17
	v_mov_b32_e32 v16, v3
	v_subrev_u32_e32 v17, 28, v19
	v_lshlrev_b64 v[16:17], v17, v[16:17]
	v_lshrrev_b32_e32 v18, 3, v2
	v_sub_u32_e32 v17, 29, v19
	v_and_b32_e32 v16, 7, v16
	v_cmp_gt_u32_e32 vcc, 8, v2
	v_cndmask_b32_e32 v2, v18, v17, vcc
	v_cndmask_b32_e32 v15, v15, v16, vcc
	v_lshlrev_b32_e32 v16, 24, v3
	v_bfrev_b32_e32 v17, 60
	v_lshlrev_b32_e32 v15, 20, v15
	v_and_b32_e32 v16, 0x80000000, v16
	v_lshl_add_u32 v2, v2, 23, v17
	v_or3_b32 v2, v16, v2, v15
	v_lshrrev_b32_e32 v15, 16, v2
.LBB893_715:
	s_or_b64 exec, exec, s[10:11]
.LBB893_716:
	s_or_b64 exec, exec, s[8:9]
.LBB893_717:
	s_or_b64 exec, exec, s[2:3]
	v_lshrrev_b16_e32 v2, 8, v3
	v_cmp_ne_u16_e32 vcc, 0, v2
	s_and_saveexec_b64 s[2:3], vcc
	s_cbranch_execz .LBB893_723
; %bb.718:
	s_movk_i32 s7, 0x80
	v_cmp_ne_u16_e32 vcc, s7, v2
	v_mov_b32_e32 v10, 0xffff8000
	s_and_saveexec_b64 s[8:9], vcc
	s_cbranch_execz .LBB893_722
; %bb.719:
	s_movk_i32 s7, 0x7f
	v_and_b32_e32 v16, 0x7f, v2
	v_cmp_ne_u32_e32 vcc, s7, v16
	v_mov_b32_e32 v10, 0x7f80
	s_and_saveexec_b64 s[10:11], vcc
	s_cbranch_execz .LBB893_721
; %bb.720:
	v_and_b32_e32 v10, 7, v2
	v_ffbh_u32_e32 v18, v10
	v_min_u32_e32 v20, 32, v18
	v_subrev_u32_e32 v18, 28, v20
	v_lshlrev_b64 v[18:19], v18, v[2:3]
	v_lshrrev_b32_e32 v17, 3, v16
	v_sub_u32_e32 v2, 29, v20
	v_and_b32_e32 v18, 7, v18
	v_cmp_gt_u32_e32 vcc, 8, v16
	v_cndmask_b32_e32 v2, v17, v2, vcc
	v_cndmask_b32_e32 v10, v10, v18, vcc
	v_lshlrev_b32_e32 v16, 16, v3
	v_bfrev_b32_e32 v17, 60
	v_lshlrev_b32_e32 v10, 20, v10
	v_and_b32_e32 v16, 0x80000000, v16
	v_lshl_add_u32 v2, v2, 23, v17
	v_or3_b32 v2, v16, v2, v10
	v_lshrrev_b32_e32 v10, 16, v2
.LBB893_721:
	s_or_b64 exec, exec, s[10:11]
.LBB893_722:
	s_or_b64 exec, exec, s[8:9]
.LBB893_723:
	s_or_b64 exec, exec, s[2:3]
	s_movk_i32 s2, 0xff
	v_and_b32_sdwa v18, v3, s2 dst_sel:DWORD dst_unused:UNUSED_PAD src0_sel:WORD_1 src1_sel:DWORD
	v_lshrrev_b32_e32 v2, 16, v3
	v_cmp_ne_u16_e32 vcc, 0, v18
	v_mov_b32_e32 v16, 0
	v_mov_b32_e32 v17, 0
	s_and_saveexec_b64 s[2:3], vcc
	s_cbranch_execz .LBB893_729
; %bb.724:
	s_movk_i32 s7, 0x80
	v_cmp_ne_u16_e32 vcc, s7, v18
	v_mov_b32_e32 v17, 0xffff8000
	s_and_saveexec_b64 s[8:9], vcc
	s_cbranch_execz .LBB893_728
; %bb.725:
	v_bfe_u32 v18, v3, 16, 7
	s_movk_i32 s7, 0x7f
	v_cmp_ne_u32_e32 vcc, s7, v18
	v_mov_b32_e32 v17, 0x7f80
	s_and_saveexec_b64 s[10:11], vcc
	s_cbranch_execz .LBB893_727
; %bb.726:
	v_and_b32_e32 v17, 7, v2
	v_ffbh_u32_e32 v20, v17
	v_min_u32_e32 v22, 32, v20
	v_subrev_u32_e32 v20, 28, v22
	v_lshlrev_b64 v[20:21], v20, v[2:3]
	v_lshrrev_b32_e32 v19, 3, v18
	v_sub_u32_e32 v2, 29, v22
	v_and_b32_e32 v20, 7, v20
	v_cmp_gt_u32_e32 vcc, 8, v18
	v_mov_b32_e32 v18, 24
	v_cndmask_b32_e32 v2, v19, v2, vcc
	v_cndmask_b32_e32 v17, v17, v20, vcc
	v_lshlrev_b32_sdwa v18, v18, v3 dst_sel:DWORD dst_unused:UNUSED_PAD src0_sel:DWORD src1_sel:WORD_1
	v_bfrev_b32_e32 v19, 60
	v_lshlrev_b32_e32 v17, 20, v17
	v_and_b32_e32 v18, 0x80000000, v18
	v_lshl_add_u32 v2, v2, 23, v19
	v_or3_b32 v2, v18, v2, v17
	v_lshrrev_b32_e32 v17, 16, v2
.LBB893_727:
	s_or_b64 exec, exec, s[10:11]
.LBB893_728:
	s_or_b64 exec, exec, s[8:9]
.LBB893_729:
	s_or_b64 exec, exec, s[2:3]
	s_mov_b32 s2, 0xffffff
	v_cmp_lt_u32_e32 vcc, s2, v3
	s_and_saveexec_b64 s[2:3], vcc
	s_cbranch_execz .LBB893_735
; %bb.730:
	v_lshrrev_b32_e32 v2, 24, v3
	s_movk_i32 s7, 0x80
	v_cmp_ne_u32_e32 vcc, s7, v2
	v_mov_b32_e32 v16, 0xffff8000
	s_and_saveexec_b64 s[8:9], vcc
	s_cbranch_execz .LBB893_734
; %bb.731:
	v_bfe_u32 v3, v3, 24, 7
	s_movk_i32 s7, 0x7f
	v_cmp_ne_u32_e32 vcc, s7, v3
	v_mov_b32_e32 v16, 0x7f80
	s_and_saveexec_b64 s[10:11], vcc
	s_cbranch_execz .LBB893_733
; %bb.732:
	v_and_b32_e32 v16, 7, v2
	v_ffbh_u32_e32 v18, v16
	v_min_u32_e32 v21, 32, v18
	v_subrev_u32_e32 v18, 28, v21
	v_lshlrev_b64 v[18:19], v18, v[2:3]
	v_lshrrev_b32_e32 v20, 3, v3
	v_sub_u32_e32 v19, 29, v21
	v_and_b32_e32 v18, 7, v18
	v_cmp_gt_u32_e32 vcc, 8, v3
	v_cndmask_b32_e32 v3, v20, v19, vcc
	v_cndmask_b32_e32 v16, v16, v18, vcc
	v_lshlrev_b32_e32 v2, 24, v2
	v_bfrev_b32_e32 v18, 60
	v_lshlrev_b32_e32 v16, 20, v16
	v_and_b32_e32 v2, 0x80000000, v2
	v_lshl_add_u32 v3, v3, 23, v18
	v_or3_b32 v2, v2, v3, v16
	v_lshrrev_b32_e32 v16, 16, v2
.LBB893_733:
	s_or_b64 exec, exec, s[10:11]
.LBB893_734:
	s_or_b64 exec, exec, s[8:9]
.LBB893_735:
	s_or_b64 exec, exec, s[2:3]
	s_mov_b32 s2, 0x5040100
	v_perm_b32 v3, v13, v14, s2
	v_perm_b32 v2, v11, v12, s2
	ds_read_b128 v[18:21], v48 offset:6144
	v_perm_b32 v13, v16, v17, s2
	v_perm_b32 v12, v10, v15, s2
	s_waitcnt lgkmcnt(0)
	v_mfma_f32_16x16x16bf16_1k v[6:9], v[2:3], v[18:19], v[6:9]
	v_mov_b32_e32 v3, 0
	v_cmp_ne_u16_sdwa s[8:9], v4, v3 src0_sel:BYTE_0 src1_sel:DWORD
	v_mov_b32_e32 v10, 0
	v_mfma_f32_16x16x16bf16_1k v[6:9], v[12:13], v[20:21], v[6:9]
	s_and_saveexec_b64 s[2:3], s[8:9]
	s_cbranch_execz .LBB893_741
; %bb.736:
	s_movk_i32 s7, 0x80
	v_cmp_ne_u16_sdwa s[10:11], v4, s7 src0_sel:BYTE_0 src1_sel:DWORD
	v_mov_b32_e32 v10, 0xffff8000
	s_and_saveexec_b64 s[8:9], s[10:11]
	s_cbranch_execz .LBB893_740
; %bb.737:
	s_movk_i32 s7, 0x7f
	v_and_b32_e32 v2, 0x7f, v4
	v_cmp_ne_u32_e32 vcc, s7, v2
	v_mov_b32_e32 v10, 0x7f80
	s_and_saveexec_b64 s[10:11], vcc
	s_cbranch_execz .LBB893_739
; %bb.738:
	v_and_b32_e32 v12, 7, v4
	v_ffbh_u32_e32 v10, v12
	v_min_u32_e32 v14, 32, v10
	v_subrev_u32_e32 v10, 28, v14
	v_lshlrev_b64 v[10:11], v10, v[4:5]
	v_lshrrev_b32_e32 v13, 3, v2
	v_sub_u32_e32 v11, 29, v14
	v_and_b32_e32 v10, 7, v10
	v_cmp_gt_u32_e32 vcc, 8, v2
	v_cndmask_b32_e32 v2, v13, v11, vcc
	v_cndmask_b32_e32 v10, v12, v10, vcc
	v_lshlrev_b32_e32 v11, 24, v4
	v_bfrev_b32_e32 v12, 60
	v_lshlrev_b32_e32 v10, 20, v10
	v_and_b32_e32 v11, 0x80000000, v11
	v_lshl_add_u32 v2, v2, 23, v12
	v_or3_b32 v2, v11, v2, v10
	v_lshrrev_b32_e32 v10, 16, v2
.LBB893_739:
	s_or_b64 exec, exec, s[10:11]
.LBB893_740:
	s_or_b64 exec, exec, s[8:9]
.LBB893_741:
	s_or_b64 exec, exec, s[2:3]
	v_lshrrev_b16_e32 v2, 8, v4
	v_cmp_ne_u16_e32 vcc, 0, v2
	s_and_saveexec_b64 s[2:3], vcc
	s_cbranch_execz .LBB893_747
; %bb.742:
	s_movk_i32 s7, 0x80
	v_cmp_ne_u16_e32 vcc, s7, v2
	v_mov_b32_e32 v3, 0xffff8000
	s_and_saveexec_b64 s[8:9], vcc
	s_cbranch_execz .LBB893_746
; %bb.743:
	s_movk_i32 s7, 0x7f
	v_and_b32_e32 v11, 0x7f, v2
	v_cmp_ne_u32_e32 vcc, s7, v11
	v_mov_b32_e32 v3, 0x7f80
	s_and_saveexec_b64 s[10:11], vcc
	s_cbranch_execz .LBB893_745
; %bb.744:
	v_and_b32_e32 v12, 7, v2
	v_ffbh_u32_e32 v3, v12
	v_min_u32_e32 v14, 32, v3
	v_subrev_u32_e32 v3, 28, v14
	v_lshlrev_b64 v[2:3], v3, v[2:3]
	v_lshrrev_b32_e32 v13, 3, v11
	v_sub_u32_e32 v3, 29, v14
	v_and_b32_e32 v2, 7, v2
	v_cmp_gt_u32_e32 vcc, 8, v11
	v_cndmask_b32_e32 v3, v13, v3, vcc
	v_cndmask_b32_e32 v2, v12, v2, vcc
	v_lshlrev_b32_e32 v11, 16, v4
	v_bfrev_b32_e32 v12, 60
	v_lshlrev_b32_e32 v2, 20, v2
	v_and_b32_e32 v11, 0x80000000, v11
	v_lshl_add_u32 v3, v3, 23, v12
	v_or3_b32 v2, v11, v3, v2
	v_lshrrev_b32_e32 v3, 16, v2
.LBB893_745:
	s_or_b64 exec, exec, s[10:11]
.LBB893_746:
	s_or_b64 exec, exec, s[8:9]
.LBB893_747:
	s_or_b64 exec, exec, s[2:3]
	s_movk_i32 s2, 0xff
	v_and_b32_sdwa v13, v4, s2 dst_sel:DWORD dst_unused:UNUSED_PAD src0_sel:WORD_1 src1_sel:DWORD
	v_lshrrev_b32_e32 v2, 16, v4
	v_cmp_ne_u16_e32 vcc, 0, v13
	v_mov_b32_e32 v11, 0
	v_mov_b32_e32 v12, 0
	s_and_saveexec_b64 s[2:3], vcc
	s_cbranch_execz .LBB893_753
; %bb.748:
	s_movk_i32 s7, 0x80
	v_cmp_ne_u16_e32 vcc, s7, v13
	v_mov_b32_e32 v12, 0xffff8000
	s_and_saveexec_b64 s[8:9], vcc
	s_cbranch_execz .LBB893_752
; %bb.749:
	v_bfe_u32 v13, v4, 16, 7
	s_movk_i32 s7, 0x7f
	v_cmp_ne_u32_e32 vcc, s7, v13
	v_mov_b32_e32 v12, 0x7f80
	s_and_saveexec_b64 s[10:11], vcc
	s_cbranch_execz .LBB893_751
; %bb.750:
	v_and_b32_e32 v12, 7, v2
	v_ffbh_u32_e32 v14, v12
	v_min_u32_e32 v17, 32, v14
	v_subrev_u32_e32 v14, 28, v17
	v_lshlrev_b64 v[14:15], v14, v[2:3]
	v_lshrrev_b32_e32 v16, 3, v13
	v_sub_u32_e32 v2, 29, v17
	v_and_b32_e32 v14, 7, v14
	v_cmp_gt_u32_e32 vcc, 8, v13
	v_mov_b32_e32 v13, 24
	v_cndmask_b32_e32 v2, v16, v2, vcc
	v_cndmask_b32_e32 v12, v12, v14, vcc
	v_lshlrev_b32_sdwa v13, v13, v4 dst_sel:DWORD dst_unused:UNUSED_PAD src0_sel:DWORD src1_sel:WORD_1
	v_bfrev_b32_e32 v14, 60
	v_lshlrev_b32_e32 v12, 20, v12
	v_and_b32_e32 v13, 0x80000000, v13
	v_lshl_add_u32 v2, v2, 23, v14
	v_or3_b32 v2, v13, v2, v12
	v_lshrrev_b32_e32 v12, 16, v2
.LBB893_751:
	s_or_b64 exec, exec, s[10:11]
.LBB893_752:
	s_or_b64 exec, exec, s[8:9]
.LBB893_753:
	s_or_b64 exec, exec, s[2:3]
	s_mov_b32 s2, 0xffffff
	v_cmp_lt_u32_e32 vcc, s2, v4
	s_and_saveexec_b64 s[2:3], vcc
	s_cbranch_execz .LBB893_759
; %bb.754:
	v_lshrrev_b32_e32 v2, 24, v4
	s_movk_i32 s7, 0x80
	v_cmp_ne_u32_e32 vcc, s7, v2
	v_mov_b32_e32 v11, 0xffff8000
	s_and_saveexec_b64 s[8:9], vcc
	s_cbranch_execz .LBB893_758
; %bb.755:
	v_bfe_u32 v4, v4, 24, 7
	s_movk_i32 s7, 0x7f
	v_cmp_ne_u32_e32 vcc, s7, v4
	v_mov_b32_e32 v11, 0x7f80
	s_and_saveexec_b64 s[10:11], vcc
	s_cbranch_execz .LBB893_757
; %bb.756:
	v_and_b32_e32 v11, 7, v2
	v_ffbh_u32_e32 v14, v11
	v_min_u32_e32 v16, 32, v14
	v_subrev_u32_e32 v14, 28, v16
	v_lshlrev_b64 v[14:15], v14, v[2:3]
	v_lshrrev_b32_e32 v13, 3, v4
	v_sub_u32_e32 v15, 29, v16
	v_and_b32_e32 v14, 7, v14
	v_cmp_gt_u32_e32 vcc, 8, v4
	v_cndmask_b32_e32 v4, v13, v15, vcc
	v_cndmask_b32_e32 v11, v11, v14, vcc
	v_lshlrev_b32_e32 v2, 24, v2
	v_bfrev_b32_e32 v13, 60
	v_lshlrev_b32_e32 v11, 20, v11
	v_and_b32_e32 v2, 0x80000000, v2
	v_lshl_add_u32 v4, v4, 23, v13
	v_or3_b32 v2, v2, v4, v11
	v_lshrrev_b32_e32 v11, 16, v2
.LBB893_757:
	s_or_b64 exec, exec, s[10:11]
.LBB893_758:
	s_or_b64 exec, exec, s[8:9]
.LBB893_759:
	s_or_b64 exec, exec, s[2:3]
	v_mov_b32_e32 v4, 0
	v_cmp_ne_u16_sdwa s[8:9], v5, v4 src0_sel:BYTE_0 src1_sel:DWORD
	v_mov_b32_e32 v13, 0
	s_and_saveexec_b64 s[2:3], s[8:9]
	s_cbranch_execz .LBB893_765
; %bb.760:
	s_movk_i32 s7, 0x80
	v_cmp_ne_u16_sdwa s[10:11], v5, s7 src0_sel:BYTE_0 src1_sel:DWORD
	v_mov_b32_e32 v13, 0xffff8000
	s_and_saveexec_b64 s[8:9], s[10:11]
	s_cbranch_execz .LBB893_764
; %bb.761:
	s_movk_i32 s7, 0x7f
	v_and_b32_e32 v2, 0x7f, v5
	v_cmp_ne_u32_e32 vcc, s7, v2
	v_mov_b32_e32 v13, 0x7f80
	s_and_saveexec_b64 s[10:11], vcc
	s_cbranch_execz .LBB893_763
; %bb.762:
	v_and_b32_e32 v13, 7, v5
	v_ffbh_u32_e32 v15, v13
	v_min_u32_e32 v17, 32, v15
	v_mov_b32_e32 v14, v5
	v_subrev_u32_e32 v15, 28, v17
	v_lshlrev_b64 v[14:15], v15, v[14:15]
	v_lshrrev_b32_e32 v16, 3, v2
	v_sub_u32_e32 v15, 29, v17
	v_and_b32_e32 v14, 7, v14
	v_cmp_gt_u32_e32 vcc, 8, v2
	v_cndmask_b32_e32 v2, v16, v15, vcc
	v_cndmask_b32_e32 v13, v13, v14, vcc
	v_lshlrev_b32_e32 v14, 24, v5
	v_bfrev_b32_e32 v15, 60
	v_lshlrev_b32_e32 v13, 20, v13
	v_and_b32_e32 v14, 0x80000000, v14
	v_lshl_add_u32 v2, v2, 23, v15
	v_or3_b32 v2, v14, v2, v13
	v_lshrrev_b32_e32 v13, 16, v2
.LBB893_763:
	s_or_b64 exec, exec, s[10:11]
.LBB893_764:
	s_or_b64 exec, exec, s[8:9]
.LBB893_765:
	s_or_b64 exec, exec, s[2:3]
	v_lshrrev_b16_e32 v2, 8, v5
	v_cmp_ne_u16_e32 vcc, 0, v2
	s_and_saveexec_b64 s[2:3], vcc
	s_cbranch_execz .LBB893_771
; %bb.766:
	s_movk_i32 s7, 0x80
	v_cmp_ne_u16_e32 vcc, s7, v2
	v_mov_b32_e32 v4, 0xffff8000
	s_and_saveexec_b64 s[8:9], vcc
	s_cbranch_execz .LBB893_770
; %bb.767:
	s_movk_i32 s7, 0x7f
	v_and_b32_e32 v14, 0x7f, v2
	v_cmp_ne_u32_e32 vcc, s7, v14
	v_mov_b32_e32 v4, 0x7f80
	s_and_saveexec_b64 s[10:11], vcc
	s_cbranch_execz .LBB893_769
; %bb.768:
	v_and_b32_e32 v4, 7, v2
	v_ffbh_u32_e32 v16, v4
	v_min_u32_e32 v18, 32, v16
	v_subrev_u32_e32 v16, 28, v18
	v_lshlrev_b64 v[16:17], v16, v[2:3]
	v_lshrrev_b32_e32 v15, 3, v14
	v_sub_u32_e32 v2, 29, v18
	v_and_b32_e32 v16, 7, v16
	v_cmp_gt_u32_e32 vcc, 8, v14
	v_cndmask_b32_e32 v2, v15, v2, vcc
	v_cndmask_b32_e32 v4, v4, v16, vcc
	v_lshlrev_b32_e32 v14, 16, v5
	v_bfrev_b32_e32 v15, 60
	v_lshlrev_b32_e32 v4, 20, v4
	v_and_b32_e32 v14, 0x80000000, v14
	v_lshl_add_u32 v2, v2, 23, v15
	v_or3_b32 v2, v14, v2, v4
	v_lshrrev_b32_e32 v4, 16, v2
.LBB893_769:
	s_or_b64 exec, exec, s[10:11]
.LBB893_770:
	s_or_b64 exec, exec, s[8:9]
.LBB893_771:
	s_or_b64 exec, exec, s[2:3]
	s_movk_i32 s2, 0xff
	v_and_b32_sdwa v16, v5, s2 dst_sel:DWORD dst_unused:UNUSED_PAD src0_sel:WORD_1 src1_sel:DWORD
	v_lshrrev_b32_e32 v2, 16, v5
	v_cmp_ne_u16_e32 vcc, 0, v16
	v_mov_b32_e32 v14, 0
	v_mov_b32_e32 v15, 0
	s_and_saveexec_b64 s[2:3], vcc
	s_cbranch_execz .LBB893_777
; %bb.772:
	s_movk_i32 s7, 0x80
	v_cmp_ne_u16_e32 vcc, s7, v16
	v_mov_b32_e32 v15, 0xffff8000
	s_and_saveexec_b64 s[8:9], vcc
	s_cbranch_execz .LBB893_776
; %bb.773:
	v_bfe_u32 v16, v5, 16, 7
	s_movk_i32 s7, 0x7f
	v_cmp_ne_u32_e32 vcc, s7, v16
	v_mov_b32_e32 v15, 0x7f80
	s_and_saveexec_b64 s[10:11], vcc
	s_cbranch_execz .LBB893_775
; %bb.774:
	v_and_b32_e32 v15, 7, v2
	v_ffbh_u32_e32 v18, v15
	v_min_u32_e32 v20, 32, v18
	v_subrev_u32_e32 v18, 28, v20
	v_lshlrev_b64 v[18:19], v18, v[2:3]
	v_lshrrev_b32_e32 v17, 3, v16
	v_sub_u32_e32 v2, 29, v20
	v_and_b32_e32 v18, 7, v18
	v_cmp_gt_u32_e32 vcc, 8, v16
	v_mov_b32_e32 v16, 24
	v_cndmask_b32_e32 v2, v17, v2, vcc
	v_cndmask_b32_e32 v15, v15, v18, vcc
	v_lshlrev_b32_sdwa v16, v16, v5 dst_sel:DWORD dst_unused:UNUSED_PAD src0_sel:DWORD src1_sel:WORD_1
	v_bfrev_b32_e32 v17, 60
	v_lshlrev_b32_e32 v15, 20, v15
	v_and_b32_e32 v16, 0x80000000, v16
	v_lshl_add_u32 v2, v2, 23, v17
	v_or3_b32 v2, v16, v2, v15
	v_lshrrev_b32_e32 v15, 16, v2
.LBB893_775:
	s_or_b64 exec, exec, s[10:11]
.LBB893_776:
	s_or_b64 exec, exec, s[8:9]
.LBB893_777:
	s_or_b64 exec, exec, s[2:3]
	s_mov_b32 s2, 0xffffff
	v_cmp_lt_u32_e32 vcc, s2, v5
	s_and_saveexec_b64 s[2:3], vcc
	s_cbranch_execz .LBB893_783
; %bb.778:
	v_lshrrev_b32_e32 v2, 24, v5
	s_movk_i32 s7, 0x80
	v_cmp_ne_u32_e32 vcc, s7, v2
	v_mov_b32_e32 v14, 0xffff8000
	s_and_saveexec_b64 s[8:9], vcc
	s_cbranch_execz .LBB893_782
; %bb.779:
	v_bfe_u32 v5, v5, 24, 7
	s_movk_i32 s7, 0x7f
	v_cmp_ne_u32_e32 vcc, s7, v5
	v_mov_b32_e32 v14, 0x7f80
	s_and_saveexec_b64 s[10:11], vcc
	s_cbranch_execz .LBB893_781
; %bb.780:
	v_and_b32_e32 v14, 7, v2
	v_ffbh_u32_e32 v16, v14
	v_min_u32_e32 v19, 32, v16
	v_subrev_u32_e32 v16, 28, v19
	v_lshlrev_b64 v[16:17], v16, v[2:3]
	v_lshrrev_b32_e32 v18, 3, v5
	v_sub_u32_e32 v17, 29, v19
	v_and_b32_e32 v16, 7, v16
	v_cmp_gt_u32_e32 vcc, 8, v5
	v_cndmask_b32_e32 v5, v18, v17, vcc
	v_cndmask_b32_e32 v14, v14, v16, vcc
	v_lshlrev_b32_e32 v2, 24, v2
	v_bfrev_b32_e32 v16, 60
	v_lshlrev_b32_e32 v14, 20, v14
	v_and_b32_e32 v2, 0x80000000, v2
	v_lshl_add_u32 v5, v5, 23, v16
	v_or3_b32 v2, v2, v5, v14
	v_lshrrev_b32_e32 v14, 16, v2
.LBB893_781:
	s_or_b64 exec, exec, s[10:11]
.LBB893_782:
	s_or_b64 exec, exec, s[8:9]
.LBB893_783:
	s_or_b64 exec, exec, s[2:3]
	s_mov_b32 s3, 0x5040100
	v_perm_b32 v11, v11, v12, s3
	ds_read_b128 v[16:19], v48 offset:6160
	v_perm_b32 v10, v3, v10, s3
	v_perm_b32 v3, v14, v15, s3
	;; [unrolled: 1-line block ×3, first 2 shown]
	s_waitcnt lgkmcnt(0)
	v_mfma_f32_16x16x16bf16_1k v[6:9], v[10:11], v[16:17], v[6:9]
	s_load_dword s2, s[42:43], 0x0
	s_mov_b32 s3, 0x7060302
	s_movk_i32 s7, 0x7fff
	v_cmp_gt_u32_e32 vcc, 64, v0
	s_and_b64 s[0:1], vcc, s[0:1]
	s_waitcnt lgkmcnt(0)
	s_barrier
	v_mfma_f32_16x16x16bf16_1k v[2:5], v[2:3], v[18:19], v[6:9]
	s_nop 7
	s_nop 2
	v_pk_mul_f32 v[4:5], v[4:5], s[2:3] op_sel_hi:[1,0]
	v_pk_mul_f32 v[2:3], v[2:3], s[2:3] op_sel_hi:[1,0]
	v_bfe_u32 v6, v3, 16, 1
	v_bfe_u32 v7, v2, 16, 1
	;; [unrolled: 1-line block ×4, first 2 shown]
	v_add3_u32 v2, v2, v7, s7
	v_add3_u32 v3, v3, v6, s7
	;; [unrolled: 1-line block ×4, first 2 shown]
	v_perm_b32 v2, v3, v2, s3
	v_perm_b32 v3, v5, v4, s3
	ds_write_b64 v28, v[2:3]
	s_waitcnt lgkmcnt(0)
	s_barrier
	s_and_saveexec_b64 s[2:3], s[0:1]
	s_cbranch_execz .LBB893_785
; %bb.784:
	s_load_dwordx2 s[0:1], s[4:5], 0x68
	s_lshl_b32 s4, s44, 6
	s_mul_i32 s2, s12, s6
	s_mul_hi_u32 s3, s2, s4
	s_mul_i32 s2, s2, s4
	s_lshl_b64 s[2:3], s[2:3], 1
	s_waitcnt lgkmcnt(0)
	s_add_u32 s2, s0, s2
	s_addc_u32 s3, s1, s3
	s_lshl_b32 s0, s24, 6
	s_mov_b32 s1, 0
	v_lshlrev_b32_e32 v0, 10, v0
	s_lshl_b64 s[0:1], s[0:1], 1
	v_and_b32_e32 v0, 0x1800, v0
	v_lshlrev_b32_e32 v2, 5, v1
	v_and_b32_e32 v3, 16, v47
	s_add_u32 s0, s2, s0
	v_or3_b32 v0, v0, v2, v3
	s_addc_u32 s1, s3, s1
	ds_read_b128 v[2:5], v0
	ds_read_b128 v[6:9], v0 offset:128
	ds_read_b128 v[10:13], v0 offset:256
	;; [unrolled: 1-line block ×3, first 2 shown]
	v_mov_b32_e32 v0, s1
	v_add_co_u32_e32 v18, vcc, s0, v46
	v_or_b32_e32 v20, s25, v1
	v_addc_co_u32_e32 v19, vcc, 0, v0, vcc
	v_mad_u64_u32 v[0:1], s[0:1], v20, s4, 0
	v_lshlrev_b64 v[0:1], 1, v[0:1]
	v_add_co_u32_e32 v0, vcc, v18, v0
	v_addc_co_u32_e32 v1, vcc, v19, v1, vcc
	s_waitcnt lgkmcnt(3)
	global_store_dwordx4 v[0:1], v[2:5], off
	v_or_b32_e32 v0, 4, v20
	v_mad_u64_u32 v[0:1], s[0:1], v0, s4, 0
	v_lshlrev_b64 v[0:1], 1, v[0:1]
	v_add_co_u32_e32 v0, vcc, v18, v0
	v_addc_co_u32_e32 v1, vcc, v19, v1, vcc
	s_waitcnt lgkmcnt(2)
	global_store_dwordx4 v[0:1], v[6:9], off
	v_or_b32_e32 v0, 8, v20
	;; [unrolled: 7-line block ×3, first 2 shown]
	v_mad_u64_u32 v[0:1], s[0:1], v0, s4, 0
	v_lshlrev_b64 v[0:1], 1, v[0:1]
	v_add_co_u32_e32 v0, vcc, v18, v0
	v_addc_co_u32_e32 v1, vcc, v19, v1, vcc
	s_waitcnt lgkmcnt(0)
	global_store_dwordx4 v[0:1], v[14:17], off
.LBB893_785:
	s_endpgm
	.section	.rodata,"a",@progbits
	.p2align	6, 0x0
	.amdhsa_kernel _Z39paged_attention_ll4mi_QKV_mfma16_kernelI14__hip_bfloat16hLN4vllm18Fp8KVCacheDataTypeE1ES0_Li32ELi64ELi256ELb0ELi16EL8MFMAType0EEvPKT_PKT0_S9_ifPKiSB_SB_iPKfiiiPfSE_PS4_PT2_iSD_SD_
		.amdhsa_group_segment_fixed_size 8192
		.amdhsa_private_segment_fixed_size 0
		.amdhsa_kernarg_size 400
		.amdhsa_user_sgpr_count 6
		.amdhsa_user_sgpr_private_segment_buffer 1
		.amdhsa_user_sgpr_dispatch_ptr 0
		.amdhsa_user_sgpr_queue_ptr 0
		.amdhsa_user_sgpr_kernarg_segment_ptr 1
		.amdhsa_user_sgpr_dispatch_id 0
		.amdhsa_user_sgpr_flat_scratch_init 0
		.amdhsa_user_sgpr_kernarg_preload_length 0
		.amdhsa_user_sgpr_kernarg_preload_offset 0
		.amdhsa_user_sgpr_private_segment_size 0
		.amdhsa_uses_dynamic_stack 0
		.amdhsa_system_sgpr_private_segment_wavefront_offset 0
		.amdhsa_system_sgpr_workgroup_id_x 1
		.amdhsa_system_sgpr_workgroup_id_y 1
		.amdhsa_system_sgpr_workgroup_id_z 1
		.amdhsa_system_sgpr_workgroup_info 0
		.amdhsa_system_vgpr_workitem_id 0
		.amdhsa_next_free_vgpr 63
		.amdhsa_next_free_sgpr 47
		.amdhsa_accum_offset 64
		.amdhsa_reserve_vcc 1
		.amdhsa_reserve_flat_scratch 0
		.amdhsa_float_round_mode_32 0
		.amdhsa_float_round_mode_16_64 0
		.amdhsa_float_denorm_mode_32 3
		.amdhsa_float_denorm_mode_16_64 3
		.amdhsa_dx10_clamp 1
		.amdhsa_ieee_mode 1
		.amdhsa_fp16_overflow 0
		.amdhsa_tg_split 0
		.amdhsa_exception_fp_ieee_invalid_op 0
		.amdhsa_exception_fp_denorm_src 0
		.amdhsa_exception_fp_ieee_div_zero 0
		.amdhsa_exception_fp_ieee_overflow 0
		.amdhsa_exception_fp_ieee_underflow 0
		.amdhsa_exception_fp_ieee_inexact 0
		.amdhsa_exception_int_div_zero 0
	.end_amdhsa_kernel
	.section	.text._Z39paged_attention_ll4mi_QKV_mfma16_kernelI14__hip_bfloat16hLN4vllm18Fp8KVCacheDataTypeE1ES0_Li32ELi64ELi256ELb0ELi16EL8MFMAType0EEvPKT_PKT0_S9_ifPKiSB_SB_iPKfiiiPfSE_PS4_PT2_iSD_SD_,"axG",@progbits,_Z39paged_attention_ll4mi_QKV_mfma16_kernelI14__hip_bfloat16hLN4vllm18Fp8KVCacheDataTypeE1ES0_Li32ELi64ELi256ELb0ELi16EL8MFMAType0EEvPKT_PKT0_S9_ifPKiSB_SB_iPKfiiiPfSE_PS4_PT2_iSD_SD_,comdat
.Lfunc_end893:
	.size	_Z39paged_attention_ll4mi_QKV_mfma16_kernelI14__hip_bfloat16hLN4vllm18Fp8KVCacheDataTypeE1ES0_Li32ELi64ELi256ELb0ELi16EL8MFMAType0EEvPKT_PKT0_S9_ifPKiSB_SB_iPKfiiiPfSE_PS4_PT2_iSD_SD_, .Lfunc_end893-_Z39paged_attention_ll4mi_QKV_mfma16_kernelI14__hip_bfloat16hLN4vllm18Fp8KVCacheDataTypeE1ES0_Li32ELi64ELi256ELb0ELi16EL8MFMAType0EEvPKT_PKT0_S9_ifPKiSB_SB_iPKfiiiPfSE_PS4_PT2_iSD_SD_
                                        ; -- End function
	.section	.AMDGPU.csdata,"",@progbits
; Kernel info:
; codeLenInByte = 28424
; NumSgprs: 51
; NumVgprs: 63
; NumAgprs: 0
; TotalNumVgprs: 63
; ScratchSize: 0
; MemoryBound: 0
; FloatMode: 240
; IeeeMode: 1
; LDSByteSize: 8192 bytes/workgroup (compile time only)
; SGPRBlocks: 6
; VGPRBlocks: 7
; NumSGPRsForWavesPerEU: 51
; NumVGPRsForWavesPerEU: 63
; AccumOffset: 64
; Occupancy: 8
; WaveLimiterHint : 1
; COMPUTE_PGM_RSRC2:SCRATCH_EN: 0
; COMPUTE_PGM_RSRC2:USER_SGPR: 6
; COMPUTE_PGM_RSRC2:TRAP_HANDLER: 0
; COMPUTE_PGM_RSRC2:TGID_X_EN: 1
; COMPUTE_PGM_RSRC2:TGID_Y_EN: 1
; COMPUTE_PGM_RSRC2:TGID_Z_EN: 1
; COMPUTE_PGM_RSRC2:TIDIG_COMP_CNT: 0
; COMPUTE_PGM_RSRC3_GFX90A:ACCUM_OFFSET: 15
; COMPUTE_PGM_RSRC3_GFX90A:TG_SPLIT: 0
	.section	.text._Z39paged_attention_ll4mi_QKV_mfma16_kernelI14__hip_bfloat16hLN4vllm18Fp8KVCacheDataTypeE1ES0_Li32ELi64ELi256ELb0ELi1EL8MFMAType0EEvPKT_PKT0_S9_ifPKiSB_SB_iPKfiiiPfSE_PS4_PT2_iSD_SD_,"axG",@progbits,_Z39paged_attention_ll4mi_QKV_mfma16_kernelI14__hip_bfloat16hLN4vllm18Fp8KVCacheDataTypeE1ES0_Li32ELi64ELi256ELb0ELi1EL8MFMAType0EEvPKT_PKT0_S9_ifPKiSB_SB_iPKfiiiPfSE_PS4_PT2_iSD_SD_,comdat
	.protected	_Z39paged_attention_ll4mi_QKV_mfma16_kernelI14__hip_bfloat16hLN4vllm18Fp8KVCacheDataTypeE1ES0_Li32ELi64ELi256ELb0ELi1EL8MFMAType0EEvPKT_PKT0_S9_ifPKiSB_SB_iPKfiiiPfSE_PS4_PT2_iSD_SD_ ; -- Begin function _Z39paged_attention_ll4mi_QKV_mfma16_kernelI14__hip_bfloat16hLN4vllm18Fp8KVCacheDataTypeE1ES0_Li32ELi64ELi256ELb0ELi1EL8MFMAType0EEvPKT_PKT0_S9_ifPKiSB_SB_iPKfiiiPfSE_PS4_PT2_iSD_SD_
	.globl	_Z39paged_attention_ll4mi_QKV_mfma16_kernelI14__hip_bfloat16hLN4vllm18Fp8KVCacheDataTypeE1ES0_Li32ELi64ELi256ELb0ELi1EL8MFMAType0EEvPKT_PKT0_S9_ifPKiSB_SB_iPKfiiiPfSE_PS4_PT2_iSD_SD_
	.p2align	8
	.type	_Z39paged_attention_ll4mi_QKV_mfma16_kernelI14__hip_bfloat16hLN4vllm18Fp8KVCacheDataTypeE1ES0_Li32ELi64ELi256ELb0ELi1EL8MFMAType0EEvPKT_PKT0_S9_ifPKiSB_SB_iPKfiiiPfSE_PS4_PT2_iSD_SD_,@function
_Z39paged_attention_ll4mi_QKV_mfma16_kernelI14__hip_bfloat16hLN4vllm18Fp8KVCacheDataTypeE1ES0_Li32ELi64ELi256ELb0ELi1EL8MFMAType0EEvPKT_PKT0_S9_ifPKiSB_SB_iPKfiiiPfSE_PS4_PT2_iSD_SD_: ; @_Z39paged_attention_ll4mi_QKV_mfma16_kernelI14__hip_bfloat16hLN4vllm18Fp8KVCacheDataTypeE1ES0_Li32ELi64ELi256ELb0ELi1EL8MFMAType0EEvPKT_PKT0_S9_ifPKiSB_SB_iPKfiiiPfSE_PS4_PT2_iSD_SD_
; %bb.0:
	s_load_dwordx2 s[0:1], s[4:5], 0x30
	s_mov_b32 s9, s7
	s_mov_b64 s[10:11], 0
	s_waitcnt lgkmcnt(0)
	s_cmp_lg_u64 s[0:1], 0
	s_cselect_b64 s[2:3], -1, 0
	s_and_b64 vcc, exec, s[2:3]
	s_cbranch_vccz .LBB894_7
; %bb.1:
	s_add_i32 s12, s6, 1
	s_mov_b32 s13, 0
	s_lshl_b64 s[14:15], s[12:13], 2
	s_add_u32 s14, s0, s14
	s_mov_b32 s7, s13
	s_addc_u32 s15, s1, s15
	s_lshl_b64 s[12:13], s[6:7], 2
	s_add_u32 s12, s0, s12
	s_addc_u32 s13, s1, s13
	s_load_dword s16, s[14:15], 0x0
	s_load_dword s17, s[12:13], 0x0
	s_waitcnt lgkmcnt(0)
	s_sub_i32 s12, s16, s17
	s_cmp_eq_u32 s12, 1
	s_cselect_b64 s[12:13], -1, 0
	s_andn2_b64 vcc, exec, s[10:11]
	s_cbranch_vccnz .LBB894_3
.LBB894_2:
	s_mov_b32 s7, 0
	s_mov_b64 s[12:13], -1
.LBB894_3:
	s_andn2_b64 vcc, exec, s[12:13]
	s_cbranch_vccnz .LBB894_785
; %bb.4:
	s_load_dwordx2 s[12:13], s[4:5], 0x28
	s_lshl_b64 s[10:11], s[6:7], 2
	s_waitcnt lgkmcnt(0)
	s_add_u32 s12, s12, s10
	s_addc_u32 s13, s13, s11
	s_load_dword s33, s[12:13], 0x0
	s_lshl_b32 s20, s9, 8
	s_waitcnt lgkmcnt(0)
	s_cmp_ge_i32 s20, s33
	s_cbranch_scc1 .LBB894_785
; %bb.5:
	s_add_i32 s15, s33, 31
	s_load_dwordx2 s[12:13], s[4:5], 0x20
	s_load_dword s14, s[4:5], 0x38
	s_ashr_i32 s16, s15, 31
	v_and_b32_e32 v1, 0xcf, v0
	s_lshr_b32 s16, s16, 27
	v_add_u32_e32 v1, s20, v1
	s_add_i32 s15, s15, s16
	v_ashrrev_i32_e32 v2, 31, v1
	s_ashr_i32 s23, s15, 5
	v_lshrrev_b32_e32 v4, 27, v2
	s_add_i32 s23, s23, -1
	v_add_u32_e32 v2, v1, v4
	s_waitcnt lgkmcnt(0)
	s_mul_i32 s14, s6, s14
	s_mov_b32 s15, 0
	v_ashrrev_i32_e32 v2, 5, v2
	v_mov_b32_e32 v5, s23
	v_cmp_gt_i32_e32 vcc, s33, v1
	s_lshl_b64 s[14:15], s[14:15], 2
	v_cndmask_b32_e32 v2, v5, v2, vcc
	s_add_u32 s21, s12, s14
	v_ashrrev_i32_e32 v3, 31, v2
	s_addc_u32 s22, s13, s15
	v_lshlrev_b64 v[2:3], 2, v[2:3]
	v_mov_b32_e32 v7, s22
	v_add_co_u32_e32 v6, vcc, s21, v2
	v_or_b32_e32 v2, 16, v1
	v_addc_co_u32_e32 v7, vcc, v7, v3, vcc
	v_add_u32_e32 v3, v2, v4
	v_ashrrev_i32_e32 v3, 5, v3
	v_cmp_gt_i32_e32 vcc, s33, v2
	v_cndmask_b32_e32 v2, v5, v3, vcc
	v_ashrrev_i32_e32 v3, 31, v2
	v_lshlrev_b64 v[2:3], 2, v[2:3]
	v_mov_b32_e32 v9, s22
	v_add_co_u32_e32 v8, vcc, s21, v2
	v_or_b32_e32 v2, 32, v1
	v_addc_co_u32_e32 v9, vcc, v9, v3, vcc
	v_add_u32_e32 v3, v2, v4
	v_ashrrev_i32_e32 v3, 5, v3
	v_cmp_gt_i32_e32 vcc, s33, v2
	v_cndmask_b32_e32 v2, v5, v3, vcc
	v_ashrrev_i32_e32 v3, 31, v2
	;; [unrolled: 10-line block ×3, first 2 shown]
	v_lshlrev_b64 v[2:3], 2, v[2:3]
	v_mov_b32_e32 v1, s22
	v_add_co_u32_e32 v12, vcc, s21, v2
	v_addc_co_u32_e32 v13, vcc, v1, v3, vcc
	global_load_dword v5, v[6:7], off
	global_load_dword v4, v[8:9], off
	;; [unrolled: 1-line block ×4, first 2 shown]
	s_load_dwordx4 s[12:15], s[4:5], 0x8
	s_andn2_b64 vcc, exec, s[2:3]
	s_cbranch_vccnz .LBB894_8
; %bb.6:
	s_add_u32 s0, s0, s10
	s_addc_u32 s1, s1, s11
	s_load_dword s10, s[0:1], 0x0
	s_branch .LBB894_9
.LBB894_7:
	s_mov_b64 s[12:13], 0
	s_branch .LBB894_2
.LBB894_8:
	s_mov_b32 s10, s6
.LBB894_9:
	s_load_dwordx4 s[16:19], s[4:5], 0x48
	v_lshrrev_b32_e32 v49, 6, v0
	v_bfe_u32 v46, v0, 4, 2
	v_lshl_or_b32 v1, v49, 2, v46
	v_and_b32_e32 v50, 15, v0
	v_lshlrev_b32_e32 v6, 3, v50
	v_cmp_eq_u32_e32 vcc, 0, v1
	v_cmp_gt_u32_e64 s[0:1], 8, v50
	s_and_b64 s[24:25], s[0:1], vcc
	v_lshlrev_b32_e32 v1, 1, v6
	v_lshlrev_b32_e32 v47, 4, v0
	s_and_saveexec_b64 s[2:3], s[24:25]
	s_cbranch_execz .LBB894_11
; %bb.10:
	s_load_dwordx2 s[24:25], s[4:5], 0x0
	s_waitcnt lgkmcnt(0)
	s_ashr_i32 s11, s16, 31
	s_mul_hi_u32 s19, s10, s16
	s_mul_i32 s11, s10, s11
	s_add_i32 s11, s19, s11
	s_mul_i32 s10, s10, s16
	s_lshl_b64 s[10:11], s[10:11], 1
	s_add_u32 s16, s24, s10
	s_addc_u32 s19, s25, s11
	s_lshl_b32 s10, s8, 6
	s_ashr_i32 s11, s10, 31
	s_lshl_b64 s[10:11], s[10:11], 1
	s_add_u32 s10, s16, s10
	s_addc_u32 s11, s19, s11
	global_load_dwordx4 v[6:9], v1, s[10:11]
	v_lshlrev_b32_e32 v10, 8, v50
	v_and_b32_e32 v11, 16, v47
	s_movk_i32 s10, 0xe00
	v_and_or_b32 v10, v10, s10, v11
	s_waitcnt vmcnt(0)
	ds_write_b128 v10, v[6:9]
.LBB894_11:
	s_or_b64 exec, exec, s[2:3]
	s_waitcnt lgkmcnt(0)
	s_mul_i32 s10, s8, s18
	s_add_u32 s2, s12, s10
	s_addc_u32 s3, s13, 0
	v_and_b32_e32 v12, 48, v0
	s_ashr_i32 s11, s20, 31
	v_or_b32_e32 v13, s20, v12
	s_lshr_b32 s11, s11, 27
	v_add_u32_e32 v6, s11, v13
	v_ashrrev_i32_e32 v6, 5, v6
	v_mov_b32_e32 v14, s23
	v_cmp_gt_i32_e32 vcc, s33, v13
	v_cndmask_b32_e32 v6, v14, v6, vcc
	v_ashrrev_i32_e32 v7, 31, v6
	v_lshlrev_b64 v[6:7], 2, v[6:7]
	v_mov_b32_e32 v8, s22
	v_add_co_u32_e32 v6, vcc, s21, v6
	v_addc_co_u32_e32 v7, vcc, v8, v7, vcc
	v_or_b32_e32 v8, 64, v13
	v_add_u32_e32 v9, s11, v8
	v_ashrrev_i32_e32 v9, 5, v9
	v_cmp_gt_i32_e32 vcc, s33, v8
	v_cndmask_b32_e32 v8, v14, v9, vcc
	v_ashrrev_i32_e32 v9, 31, v8
	v_lshlrev_b64 v[8:9], 2, v[8:9]
	v_mov_b32_e32 v10, s22
	v_add_co_u32_e32 v8, vcc, s21, v8
	v_addc_co_u32_e32 v9, vcc, v10, v9, vcc
	v_or_b32_e32 v10, 0x80, v13
	v_add_u32_e32 v11, s11, v10
	v_ashrrev_i32_e32 v11, 5, v11
	v_cmp_gt_i32_e32 vcc, s33, v10
	v_cndmask_b32_e32 v10, v14, v11, vcc
	v_ashrrev_i32_e32 v11, 31, v10
	v_lshlrev_b64 v[10:11], 2, v[10:11]
	v_mov_b32_e32 v15, s22
	v_add_co_u32_e32 v10, vcc, s21, v10
	s_load_dwordx2 s[44:45], s[4:5], 0x94
	s_load_dwordx4 s[40:43], s[4:5], 0x80
	s_waitcnt lgkmcnt(0)
	s_barrier
	v_addc_co_u32_e32 v11, vcc, v15, v11, vcc
	global_load_dword v15, v[6:7], off
	global_load_dword v16, v[8:9], off
	;; [unrolled: 1-line block ×3, first 2 shown]
	v_or_b32_e32 v6, 0xc0, v13
	v_add_u32_e32 v7, s11, v6
	v_ashrrev_i32_e32 v7, 5, v7
	v_cmp_gt_i32_e32 vcc, s33, v6
	v_cndmask_b32_e32 v6, v14, v7, vcc
	v_ashrrev_i32_e32 v7, 31, v6
	v_lshlrev_b64 v[6:7], 2, v[6:7]
	v_mov_b32_e32 v8, s22
	v_add_co_u32_e32 v6, vcc, s21, v6
	v_addc_co_u32_e32 v7, vcc, v8, v7, vcc
	global_load_dword v20, v[6:7], off
	v_pk_mov_b32 v[6:7], s[2:3], s[2:3] op_sel:[0,1]
	s_waitcnt vmcnt(7)
	v_mad_i64_i32 v[8:9], s[2:3], v5, s17, v[6:7]
	v_lshlrev_b32_e32 v11, 4, v50
	v_add_co_u32_e32 v5, vcc, v8, v11
	v_lshlrev_b32_e32 v10, 5, v12
	v_addc_co_u32_e32 v9, vcc, 0, v9, vcc
	v_add_co_u32_e32 v8, vcc, v5, v10
	v_addc_co_u32_e32 v9, vcc, 0, v9, vcc
	s_waitcnt vmcnt(6)
	v_mad_i64_i32 v[4:5], s[2:3], v4, s17, v[6:7]
	v_or_b32_e32 v12, 0x100, v11
	v_add_co_u32_e32 v4, vcc, v4, v12
	v_addc_co_u32_e32 v5, vcc, 0, v5, vcc
	v_add_co_u32_e32 v4, vcc, v4, v10
	v_addc_co_u32_e32 v5, vcc, 0, v5, vcc
	global_load_dwordx4 v[30:33], v[8:9], off
	global_load_dwordx4 v[38:41], v[4:5], off
	s_waitcnt vmcnt(7)
	v_mad_i64_i32 v[4:5], s[2:3], v3, s17, v[6:7]
	v_add_co_u32_e32 v3, vcc, v4, v11
	v_addc_co_u32_e32 v5, vcc, 0, v5, vcc
	v_add_co_u32_e32 v4, vcc, v3, v10
	v_addc_co_u32_e32 v5, vcc, 0, v5, vcc
	s_waitcnt vmcnt(6)
	v_mad_i64_i32 v[2:3], s[2:3], v2, s17, v[6:7]
	v_add_co_u32_e32 v2, vcc, v2, v12
	v_addc_co_u32_e32 v3, vcc, 0, v3, vcc
	v_add_co_u32_e32 v2, vcc, v2, v10
	s_add_u32 s2, s14, s10
	v_addc_co_u32_e32 v3, vcc, 0, v3, vcc
	global_load_dwordx4 v[34:37], v[4:5], off
	global_load_dwordx4 v[22:25], v[2:3], off
	s_addc_u32 s3, s15, 0
	v_and_b32_e32 v2, 16, v0
	v_mov_b32_e32 v3, s3
	v_add_co_u32_e32 v2, vcc, s2, v2
	v_lshlrev_b32_e32 v48, 5, v50
	v_addc_co_u32_e32 v3, vcc, 0, v3, vcc
	v_lshl_or_b32 v4, v49, 9, v48
	v_add_co_u32_e32 v2, vcc, v2, v4
	v_addc_co_u32_e32 v3, vcc, 0, v3, vcc
	v_mov_b32_e32 v44, 0
	v_mov_b32_e32 v43, 0
	s_movk_i32 s10, 0x80
	s_waitcnt vmcnt(7)
	v_mad_i64_i32 v[4:5], s[2:3], v15, s17, v[2:3]
	s_waitcnt vmcnt(6)
	v_mad_i64_i32 v[6:7], s[2:3], v16, s17, v[2:3]
	;; [unrolled: 2-line block ×3, first 2 shown]
	global_load_dwordx4 v[14:17], v[4:5], off
	global_load_dwordx4 v[10:13], v[6:7], off
	s_waitcnt vmcnt(6)
	v_mad_i64_i32 v[20:21], s[2:3], v20, s17, v[2:3]
	global_load_dwordx4 v[6:9], v[18:19], off
	global_load_dwordx4 v[2:5], v[20:21], off
	v_lshlrev_b32_e32 v18, 9, v46
	ds_read_b128 v[26:29], v18
	ds_read_b128 v[18:21], v18 offset:16
	s_load_dword s14, s[40:41], 0x0
	s_waitcnt vmcnt(7)
	v_cmp_ne_u16_sdwa s[12:13], v30, v44 src0_sel:BYTE_0 src1_sel:DWORD
	s_and_saveexec_b64 s[2:3], s[12:13]
	s_cbranch_execz .LBB894_17
; %bb.12:
	v_cmp_ne_u16_sdwa s[12:13], v30, s10 src0_sel:BYTE_0 src1_sel:DWORD
	v_mov_b32_e32 v43, 0xffff8000
	s_and_saveexec_b64 s[10:11], s[12:13]
	s_cbranch_execz .LBB894_16
; %bb.13:
	s_movk_i32 s12, 0x7f
	v_and_b32_e32 v42, 0x7f, v30
	v_cmp_ne_u32_e32 vcc, s12, v42
	v_mov_b32_e32 v43, 0x7f80
	s_and_saveexec_b64 s[12:13], vcc
	s_cbranch_execz .LBB894_15
; %bb.14:
	v_and_b32_e32 v43, 7, v30
	v_ffbh_u32_e32 v51, v43
	v_min_u32_e32 v51, 32, v51
	v_subrev_u32_e32 v52, 28, v51
	v_lshlrev_b64 v[52:53], v52, v[30:31]
	v_lshrrev_b32_e32 v45, 3, v42
	v_sub_u32_e32 v51, 29, v51
	v_and_b32_e32 v52, 7, v52
	v_cmp_gt_u32_e32 vcc, 8, v42
	v_cndmask_b32_e32 v42, v45, v51, vcc
	v_cndmask_b32_e32 v43, v43, v52, vcc
	v_lshlrev_b32_e32 v45, 24, v30
	v_bfrev_b32_e32 v51, 60
	v_lshlrev_b32_e32 v43, 20, v43
	v_and_b32_e32 v45, 0x80000000, v45
	v_lshl_add_u32 v42, v42, 23, v51
	v_or3_b32 v42, v45, v42, v43
	v_lshrrev_b32_e32 v43, 16, v42
.LBB894_15:
	s_or_b64 exec, exec, s[12:13]
.LBB894_16:
	s_or_b64 exec, exec, s[10:11]
.LBB894_17:
	s_or_b64 exec, exec, s[2:3]
	v_lshrrev_b16_e32 v42, 8, v30
	v_cmp_ne_u16_e32 vcc, 0, v42
	s_and_saveexec_b64 s[2:3], vcc
	s_cbranch_execz .LBB894_23
; %bb.18:
	s_movk_i32 s10, 0x80
	v_cmp_ne_u16_e32 vcc, s10, v42
	v_mov_b32_e32 v44, 0xffff8000
	s_and_saveexec_b64 s[10:11], vcc
	s_cbranch_execz .LBB894_22
; %bb.19:
	s_movk_i32 s12, 0x7f
	v_and_b32_e32 v45, 0x7f, v42
	v_cmp_ne_u32_e32 vcc, s12, v45
	v_mov_b32_e32 v44, 0x7f80
	s_and_saveexec_b64 s[12:13], vcc
	s_cbranch_execz .LBB894_21
; %bb.20:
	v_and_b32_e32 v44, 7, v42
	v_ffbh_u32_e32 v52, v44
	v_min_u32_e32 v54, 32, v52
	v_subrev_u32_e32 v52, 28, v54
	v_lshlrev_b64 v[52:53], v52, v[42:43]
	v_lshrrev_b32_e32 v51, 3, v45
	v_sub_u32_e32 v42, 29, v54
	v_and_b32_e32 v52, 7, v52
	v_cmp_gt_u32_e32 vcc, 8, v45
	v_cndmask_b32_e32 v42, v51, v42, vcc
	v_cndmask_b32_e32 v44, v44, v52, vcc
	v_lshlrev_b32_e32 v45, 16, v30
	v_bfrev_b32_e32 v51, 60
	v_lshlrev_b32_e32 v44, 20, v44
	v_and_b32_e32 v45, 0x80000000, v45
	v_lshl_add_u32 v42, v42, 23, v51
	v_or3_b32 v42, v45, v42, v44
	v_lshrrev_b32_e32 v44, 16, v42
.LBB894_21:
	s_or_b64 exec, exec, s[12:13]
.LBB894_22:
	s_or_b64 exec, exec, s[10:11]
.LBB894_23:
	s_or_b64 exec, exec, s[2:3]
	s_movk_i32 s2, 0xff
	v_and_b32_sdwa v52, v30, s2 dst_sel:DWORD dst_unused:UNUSED_PAD src0_sel:WORD_1 src1_sel:DWORD
	v_lshrrev_b32_e32 v42, 16, v30
	v_cmp_ne_u16_e32 vcc, 0, v52
	v_mov_b32_e32 v45, 0
	v_mov_b32_e32 v51, 0
	s_and_saveexec_b64 s[2:3], vcc
	s_cbranch_execz .LBB894_29
; %bb.24:
	s_movk_i32 s10, 0x80
	v_cmp_ne_u16_e32 vcc, s10, v52
	v_mov_b32_e32 v51, 0xffff8000
	s_and_saveexec_b64 s[10:11], vcc
	s_cbranch_execz .LBB894_28
; %bb.25:
	v_bfe_u32 v52, v30, 16, 7
	s_movk_i32 s12, 0x7f
	v_cmp_ne_u32_e32 vcc, s12, v52
	v_mov_b32_e32 v51, 0x7f80
	s_and_saveexec_b64 s[12:13], vcc
	s_cbranch_execz .LBB894_27
; %bb.26:
	v_and_b32_e32 v51, 7, v42
	v_ffbh_u32_e32 v54, v51
	v_min_u32_e32 v56, 32, v54
	v_subrev_u32_e32 v54, 28, v56
	v_lshlrev_b64 v[54:55], v54, v[42:43]
	v_lshrrev_b32_e32 v53, 3, v52
	v_sub_u32_e32 v42, 29, v56
	v_and_b32_e32 v54, 7, v54
	v_cmp_gt_u32_e32 vcc, 8, v52
	v_mov_b32_e32 v52, 24
	v_cndmask_b32_e32 v42, v53, v42, vcc
	v_cndmask_b32_e32 v51, v51, v54, vcc
	v_lshlrev_b32_sdwa v52, v52, v30 dst_sel:DWORD dst_unused:UNUSED_PAD src0_sel:DWORD src1_sel:WORD_1
	v_bfrev_b32_e32 v53, 60
	v_lshlrev_b32_e32 v51, 20, v51
	v_and_b32_e32 v52, 0x80000000, v52
	v_lshl_add_u32 v42, v42, 23, v53
	v_or3_b32 v42, v52, v42, v51
	v_lshrrev_b32_e32 v51, 16, v42
.LBB894_27:
	s_or_b64 exec, exec, s[12:13]
.LBB894_28:
	s_or_b64 exec, exec, s[10:11]
.LBB894_29:
	s_or_b64 exec, exec, s[2:3]
	s_mov_b32 s2, 0xffffff
	v_cmp_lt_u32_e32 vcc, s2, v30
	s_and_saveexec_b64 s[2:3], vcc
	s_cbranch_execz .LBB894_35
; %bb.30:
	v_lshrrev_b32_e32 v42, 24, v30
	s_movk_i32 s10, 0x80
	v_cmp_ne_u32_e32 vcc, s10, v42
	v_mov_b32_e32 v45, 0xffff8000
	s_and_saveexec_b64 s[10:11], vcc
	s_cbranch_execz .LBB894_34
; %bb.31:
	v_bfe_u32 v30, v30, 24, 7
	s_movk_i32 s12, 0x7f
	v_cmp_ne_u32_e32 vcc, s12, v30
	v_mov_b32_e32 v45, 0x7f80
	s_and_saveexec_b64 s[12:13], vcc
	s_cbranch_execz .LBB894_33
; %bb.32:
	v_and_b32_e32 v45, 7, v42
	v_ffbh_u32_e32 v52, v45
	v_min_u32_e32 v55, 32, v52
	v_subrev_u32_e32 v52, 28, v55
	v_lshlrev_b64 v[52:53], v52, v[42:43]
	v_lshrrev_b32_e32 v54, 3, v30
	v_sub_u32_e32 v53, 29, v55
	v_and_b32_e32 v52, 7, v52
	v_cmp_gt_u32_e32 vcc, 8, v30
	v_cndmask_b32_e32 v30, v54, v53, vcc
	v_cndmask_b32_e32 v45, v45, v52, vcc
	v_lshlrev_b32_e32 v42, 24, v42
	v_bfrev_b32_e32 v52, 60
	v_lshlrev_b32_e32 v45, 20, v45
	v_and_b32_e32 v42, 0x80000000, v42
	v_lshl_add_u32 v30, v30, 23, v52
	v_or3_b32 v30, v42, v30, v45
	v_lshrrev_b32_e32 v45, 16, v30
.LBB894_33:
	s_or_b64 exec, exec, s[12:13]
.LBB894_34:
	s_or_b64 exec, exec, s[10:11]
.LBB894_35:
	s_or_b64 exec, exec, s[2:3]
	v_mov_b32_e32 v42, 0
	v_cmp_ne_u16_sdwa s[10:11], v31, v42 src0_sel:BYTE_0 src1_sel:DWORD
	v_mov_b32_e32 v52, 0
	s_and_saveexec_b64 s[2:3], s[10:11]
	s_cbranch_execz .LBB894_41
; %bb.36:
	s_movk_i32 s10, 0x80
	v_cmp_ne_u16_sdwa s[12:13], v31, s10 src0_sel:BYTE_0 src1_sel:DWORD
	v_mov_b32_e32 v52, 0xffff8000
	s_and_saveexec_b64 s[10:11], s[12:13]
	s_cbranch_execz .LBB894_40
; %bb.37:
	s_movk_i32 s12, 0x7f
	v_and_b32_e32 v30, 0x7f, v31
	v_cmp_ne_u32_e32 vcc, s12, v30
	v_mov_b32_e32 v52, 0x7f80
	s_and_saveexec_b64 s[12:13], vcc
	s_cbranch_execz .LBB894_39
; %bb.38:
	v_and_b32_e32 v54, 7, v31
	v_ffbh_u32_e32 v53, v54
	v_min_u32_e32 v56, 32, v53
	v_mov_b32_e32 v52, v31
	v_subrev_u32_e32 v53, 28, v56
	v_lshlrev_b64 v[52:53], v53, v[52:53]
	v_lshrrev_b32_e32 v55, 3, v30
	v_sub_u32_e32 v53, 29, v56
	v_and_b32_e32 v52, 7, v52
	v_cmp_gt_u32_e32 vcc, 8, v30
	v_cndmask_b32_e32 v30, v55, v53, vcc
	v_cndmask_b32_e32 v52, v54, v52, vcc
	v_lshlrev_b32_e32 v53, 24, v31
	v_bfrev_b32_e32 v54, 60
	v_lshlrev_b32_e32 v52, 20, v52
	v_and_b32_e32 v53, 0x80000000, v53
	v_lshl_add_u32 v30, v30, 23, v54
	v_or3_b32 v30, v53, v30, v52
	v_lshrrev_b32_e32 v52, 16, v30
.LBB894_39:
	s_or_b64 exec, exec, s[12:13]
.LBB894_40:
	s_or_b64 exec, exec, s[10:11]
.LBB894_41:
	s_or_b64 exec, exec, s[2:3]
	v_lshrrev_b16_e32 v30, 8, v31
	v_cmp_ne_u16_e32 vcc, 0, v30
	s_and_saveexec_b64 s[2:3], vcc
	s_cbranch_execz .LBB894_47
; %bb.42:
	s_movk_i32 s10, 0x80
	v_cmp_ne_u16_e32 vcc, s10, v30
	v_mov_b32_e32 v42, 0xffff8000
	s_and_saveexec_b64 s[10:11], vcc
	s_cbranch_execz .LBB894_46
; %bb.43:
	s_movk_i32 s12, 0x7f
	v_and_b32_e32 v53, 0x7f, v30
	v_cmp_ne_u32_e32 vcc, s12, v53
	v_mov_b32_e32 v42, 0x7f80
	s_and_saveexec_b64 s[12:13], vcc
	s_cbranch_execz .LBB894_45
; %bb.44:
	v_and_b32_e32 v42, 7, v30
	v_ffbh_u32_e32 v54, v42
	v_min_u32_e32 v57, 32, v54
	v_subrev_u32_e32 v54, 28, v57
	v_lshlrev_b64 v[54:55], v54, v[30:31]
	v_lshrrev_b32_e32 v56, 3, v53
	v_sub_u32_e32 v30, 29, v57
	v_and_b32_e32 v54, 7, v54
	v_cmp_gt_u32_e32 vcc, 8, v53
	v_cndmask_b32_e32 v30, v56, v30, vcc
	v_cndmask_b32_e32 v42, v42, v54, vcc
	v_lshlrev_b32_e32 v53, 16, v31
	v_bfrev_b32_e32 v54, 60
	v_lshlrev_b32_e32 v42, 20, v42
	v_and_b32_e32 v53, 0x80000000, v53
	v_lshl_add_u32 v30, v30, 23, v54
	v_or3_b32 v30, v53, v30, v42
	v_lshrrev_b32_e32 v42, 16, v30
.LBB894_45:
	s_or_b64 exec, exec, s[12:13]
.LBB894_46:
	s_or_b64 exec, exec, s[10:11]
.LBB894_47:
	s_or_b64 exec, exec, s[2:3]
	s_movk_i32 s2, 0xff
	v_and_b32_sdwa v55, v31, s2 dst_sel:DWORD dst_unused:UNUSED_PAD src0_sel:WORD_1 src1_sel:DWORD
	v_lshrrev_b32_e32 v30, 16, v31
	v_cmp_ne_u16_e32 vcc, 0, v55
	v_mov_b32_e32 v53, 0
	v_mov_b32_e32 v54, 0
	s_and_saveexec_b64 s[2:3], vcc
	s_cbranch_execz .LBB894_53
; %bb.48:
	s_movk_i32 s10, 0x80
	v_cmp_ne_u16_e32 vcc, s10, v55
	v_mov_b32_e32 v54, 0xffff8000
	s_and_saveexec_b64 s[10:11], vcc
	s_cbranch_execz .LBB894_52
; %bb.49:
	v_bfe_u32 v55, v31, 16, 7
	s_movk_i32 s12, 0x7f
	v_cmp_ne_u32_e32 vcc, s12, v55
	v_mov_b32_e32 v54, 0x7f80
	s_and_saveexec_b64 s[12:13], vcc
	s_cbranch_execz .LBB894_51
; %bb.50:
	v_and_b32_e32 v54, 7, v30
	v_ffbh_u32_e32 v56, v54
	v_min_u32_e32 v59, 32, v56
	v_subrev_u32_e32 v56, 28, v59
	v_lshlrev_b64 v[56:57], v56, v[30:31]
	v_lshrrev_b32_e32 v58, 3, v55
	v_sub_u32_e32 v30, 29, v59
	v_and_b32_e32 v56, 7, v56
	v_cmp_gt_u32_e32 vcc, 8, v55
	v_mov_b32_e32 v55, 24
	v_cndmask_b32_e32 v30, v58, v30, vcc
	v_cndmask_b32_e32 v54, v54, v56, vcc
	v_lshlrev_b32_sdwa v55, v55, v31 dst_sel:DWORD dst_unused:UNUSED_PAD src0_sel:DWORD src1_sel:WORD_1
	v_bfrev_b32_e32 v56, 60
	v_lshlrev_b32_e32 v54, 20, v54
	v_and_b32_e32 v55, 0x80000000, v55
	v_lshl_add_u32 v30, v30, 23, v56
	v_or3_b32 v30, v55, v30, v54
	v_lshrrev_b32_e32 v54, 16, v30
.LBB894_51:
	s_or_b64 exec, exec, s[12:13]
.LBB894_52:
	s_or_b64 exec, exec, s[10:11]
.LBB894_53:
	s_or_b64 exec, exec, s[2:3]
	s_mov_b32 s2, 0xffffff
	v_cmp_lt_u32_e32 vcc, s2, v31
	s_and_saveexec_b64 s[2:3], vcc
	s_cbranch_execz .LBB894_59
; %bb.54:
	v_lshrrev_b32_e32 v30, 24, v31
	s_movk_i32 s10, 0x80
	v_cmp_ne_u32_e32 vcc, s10, v30
	v_mov_b32_e32 v53, 0xffff8000
	s_and_saveexec_b64 s[10:11], vcc
	s_cbranch_execz .LBB894_58
; %bb.55:
	v_bfe_u32 v31, v31, 24, 7
	s_movk_i32 s12, 0x7f
	v_cmp_ne_u32_e32 vcc, s12, v31
	v_mov_b32_e32 v53, 0x7f80
	s_and_saveexec_b64 s[12:13], vcc
	s_cbranch_execz .LBB894_57
; %bb.56:
	v_and_b32_e32 v53, 7, v30
	v_ffbh_u32_e32 v56, v53
	v_min_u32_e32 v58, 32, v56
	v_subrev_u32_e32 v56, 28, v58
	v_lshlrev_b64 v[56:57], v56, v[30:31]
	v_lshrrev_b32_e32 v55, 3, v31
	v_sub_u32_e32 v57, 29, v58
	v_and_b32_e32 v56, 7, v56
	v_cmp_gt_u32_e32 vcc, 8, v31
	v_cndmask_b32_e32 v31, v55, v57, vcc
	v_cndmask_b32_e32 v53, v53, v56, vcc
	v_lshlrev_b32_e32 v30, 24, v30
	v_bfrev_b32_e32 v55, 60
	v_lshlrev_b32_e32 v53, 20, v53
	v_and_b32_e32 v30, 0x80000000, v30
	v_lshl_add_u32 v31, v31, 23, v55
	v_or3_b32 v30, v30, v31, v53
	v_lshrrev_b32_e32 v53, 16, v30
.LBB894_57:
	s_or_b64 exec, exec, s[12:13]
.LBB894_58:
	s_or_b64 exec, exec, s[10:11]
.LBB894_59:
	s_or_b64 exec, exec, s[2:3]
	s_mov_b32 s2, 0x5040100
	v_perm_b32 v31, v45, v51, s2
	v_perm_b32 v30, v44, v43, s2
	;; [unrolled: 1-line block ×4, first 2 shown]
	v_mov_b32_e32 v51, 0
	s_waitcnt lgkmcnt(0)
	v_mfma_f32_16x16x16bf16_1k v[56:59], v[30:31], v[26:27], 0
	v_mov_b32_e32 v31, 0
	v_cmp_ne_u16_sdwa s[10:11], v32, v31 src0_sel:BYTE_0 src1_sel:DWORD
	v_mfma_f32_16x16x16bf16_1k v[42:45], v[42:43], v[28:29], v[56:59]
	s_and_saveexec_b64 s[2:3], s[10:11]
	s_cbranch_execz .LBB894_65
; %bb.60:
	s_movk_i32 s10, 0x80
	v_cmp_ne_u16_sdwa s[12:13], v32, s10 src0_sel:BYTE_0 src1_sel:DWORD
	v_mov_b32_e32 v51, 0xffff8000
	s_and_saveexec_b64 s[10:11], s[12:13]
	s_cbranch_execz .LBB894_64
; %bb.61:
	s_movk_i32 s12, 0x7f
	v_and_b32_e32 v30, 0x7f, v32
	v_cmp_ne_u32_e32 vcc, s12, v30
	v_mov_b32_e32 v51, 0x7f80
	s_and_saveexec_b64 s[12:13], vcc
	s_cbranch_execz .LBB894_63
; %bb.62:
	v_and_b32_e32 v51, 7, v32
	v_ffbh_u32_e32 v52, v51
	v_min_u32_e32 v55, 32, v52
	v_subrev_u32_e32 v52, 28, v55
	v_lshlrev_b64 v[52:53], v52, v[32:33]
	v_lshrrev_b32_e32 v54, 3, v30
	v_sub_u32_e32 v53, 29, v55
	v_and_b32_e32 v52, 7, v52
	v_cmp_gt_u32_e32 vcc, 8, v30
	v_cndmask_b32_e32 v30, v54, v53, vcc
	v_cndmask_b32_e32 v51, v51, v52, vcc
	v_lshlrev_b32_e32 v52, 24, v32
	v_bfrev_b32_e32 v53, 60
	v_lshlrev_b32_e32 v51, 20, v51
	v_and_b32_e32 v52, 0x80000000, v52
	v_lshl_add_u32 v30, v30, 23, v53
	v_or3_b32 v30, v52, v30, v51
	v_lshrrev_b32_e32 v51, 16, v30
.LBB894_63:
	s_or_b64 exec, exec, s[12:13]
.LBB894_64:
	s_or_b64 exec, exec, s[10:11]
.LBB894_65:
	s_or_b64 exec, exec, s[2:3]
	v_lshrrev_b16_e32 v30, 8, v32
	v_cmp_ne_u16_e32 vcc, 0, v30
	s_and_saveexec_b64 s[2:3], vcc
	s_cbranch_execz .LBB894_71
; %bb.66:
	s_movk_i32 s10, 0x80
	v_cmp_ne_u16_e32 vcc, s10, v30
	v_mov_b32_e32 v31, 0xffff8000
	s_and_saveexec_b64 s[10:11], vcc
	s_cbranch_execz .LBB894_70
; %bb.67:
	s_movk_i32 s12, 0x7f
	v_and_b32_e32 v52, 0x7f, v30
	v_cmp_ne_u32_e32 vcc, s12, v52
	v_mov_b32_e32 v31, 0x7f80
	s_and_saveexec_b64 s[12:13], vcc
	s_cbranch_execz .LBB894_69
; %bb.68:
	v_and_b32_e32 v53, 7, v30
	v_ffbh_u32_e32 v31, v53
	v_min_u32_e32 v55, 32, v31
	v_subrev_u32_e32 v31, 28, v55
	v_lshlrev_b64 v[30:31], v31, v[30:31]
	v_lshrrev_b32_e32 v54, 3, v52
	v_sub_u32_e32 v31, 29, v55
	v_and_b32_e32 v30, 7, v30
	v_cmp_gt_u32_e32 vcc, 8, v52
	v_cndmask_b32_e32 v31, v54, v31, vcc
	v_cndmask_b32_e32 v30, v53, v30, vcc
	v_lshlrev_b32_e32 v52, 16, v32
	v_bfrev_b32_e32 v53, 60
	v_lshlrev_b32_e32 v30, 20, v30
	v_and_b32_e32 v52, 0x80000000, v52
	v_lshl_add_u32 v31, v31, 23, v53
	v_or3_b32 v30, v52, v31, v30
	v_lshrrev_b32_e32 v31, 16, v30
.LBB894_69:
	s_or_b64 exec, exec, s[12:13]
.LBB894_70:
	s_or_b64 exec, exec, s[10:11]
.LBB894_71:
	s_or_b64 exec, exec, s[2:3]
	s_movk_i32 s2, 0xff
	v_and_b32_sdwa v54, v32, s2 dst_sel:DWORD dst_unused:UNUSED_PAD src0_sel:WORD_1 src1_sel:DWORD
	v_lshrrev_b32_e32 v30, 16, v32
	v_cmp_ne_u16_e32 vcc, 0, v54
	v_mov_b32_e32 v52, 0
	v_mov_b32_e32 v53, 0
	s_and_saveexec_b64 s[2:3], vcc
	s_cbranch_execz .LBB894_77
; %bb.72:
	s_movk_i32 s10, 0x80
	v_cmp_ne_u16_e32 vcc, s10, v54
	v_mov_b32_e32 v53, 0xffff8000
	s_and_saveexec_b64 s[10:11], vcc
	s_cbranch_execz .LBB894_76
; %bb.73:
	v_bfe_u32 v54, v32, 16, 7
	s_movk_i32 s12, 0x7f
	v_cmp_ne_u32_e32 vcc, s12, v54
	v_mov_b32_e32 v53, 0x7f80
	s_and_saveexec_b64 s[12:13], vcc
	s_cbranch_execz .LBB894_75
; %bb.74:
	v_and_b32_e32 v53, 7, v30
	v_ffbh_u32_e32 v56, v53
	v_min_u32_e32 v58, 32, v56
	v_subrev_u32_e32 v56, 28, v58
	v_lshlrev_b64 v[56:57], v56, v[30:31]
	v_lshrrev_b32_e32 v55, 3, v54
	v_sub_u32_e32 v30, 29, v58
	v_and_b32_e32 v56, 7, v56
	v_cmp_gt_u32_e32 vcc, 8, v54
	v_mov_b32_e32 v54, 24
	v_cndmask_b32_e32 v30, v55, v30, vcc
	v_cndmask_b32_e32 v53, v53, v56, vcc
	v_lshlrev_b32_sdwa v54, v54, v32 dst_sel:DWORD dst_unused:UNUSED_PAD src0_sel:DWORD src1_sel:WORD_1
	v_bfrev_b32_e32 v55, 60
	v_lshlrev_b32_e32 v53, 20, v53
	v_and_b32_e32 v54, 0x80000000, v54
	v_lshl_add_u32 v30, v30, 23, v55
	v_or3_b32 v30, v54, v30, v53
	v_lshrrev_b32_e32 v53, 16, v30
.LBB894_75:
	s_or_b64 exec, exec, s[12:13]
.LBB894_76:
	s_or_b64 exec, exec, s[10:11]
.LBB894_77:
	s_or_b64 exec, exec, s[2:3]
	s_mov_b32 s2, 0xffffff
	v_cmp_lt_u32_e32 vcc, s2, v32
	s_and_saveexec_b64 s[2:3], vcc
	s_cbranch_execz .LBB894_83
; %bb.78:
	v_lshrrev_b32_e32 v30, 24, v32
	s_movk_i32 s10, 0x80
	v_cmp_ne_u32_e32 vcc, s10, v30
	v_mov_b32_e32 v52, 0xffff8000
	s_and_saveexec_b64 s[10:11], vcc
	s_cbranch_execz .LBB894_82
; %bb.79:
	v_bfe_u32 v32, v32, 24, 7
	s_movk_i32 s12, 0x7f
	v_cmp_ne_u32_e32 vcc, s12, v32
	v_mov_b32_e32 v52, 0x7f80
	s_and_saveexec_b64 s[12:13], vcc
	s_cbranch_execz .LBB894_81
; %bb.80:
	v_and_b32_e32 v52, 7, v30
	v_ffbh_u32_e32 v54, v52
	v_min_u32_e32 v57, 32, v54
	v_subrev_u32_e32 v54, 28, v57
	v_lshlrev_b64 v[54:55], v54, v[30:31]
	v_lshrrev_b32_e32 v56, 3, v32
	v_sub_u32_e32 v55, 29, v57
	v_and_b32_e32 v54, 7, v54
	v_cmp_gt_u32_e32 vcc, 8, v32
	v_cndmask_b32_e32 v32, v56, v55, vcc
	v_cndmask_b32_e32 v52, v52, v54, vcc
	v_lshlrev_b32_e32 v30, 24, v30
	v_bfrev_b32_e32 v54, 60
	v_lshlrev_b32_e32 v52, 20, v52
	v_and_b32_e32 v30, 0x80000000, v30
	v_lshl_add_u32 v32, v32, 23, v54
	v_or3_b32 v30, v30, v32, v52
	v_lshrrev_b32_e32 v52, 16, v30
.LBB894_81:
	s_or_b64 exec, exec, s[12:13]
.LBB894_82:
	s_or_b64 exec, exec, s[10:11]
.LBB894_83:
	s_or_b64 exec, exec, s[2:3]
	v_mov_b32_e32 v32, 0
	v_cmp_ne_u16_sdwa s[10:11], v33, v32 src0_sel:BYTE_0 src1_sel:DWORD
	v_mov_b32_e32 v54, 0
	s_and_saveexec_b64 s[2:3], s[10:11]
	s_cbranch_execz .LBB894_89
; %bb.84:
	s_movk_i32 s10, 0x80
	v_cmp_ne_u16_sdwa s[12:13], v33, s10 src0_sel:BYTE_0 src1_sel:DWORD
	v_mov_b32_e32 v54, 0xffff8000
	s_and_saveexec_b64 s[10:11], s[12:13]
	s_cbranch_execz .LBB894_88
; %bb.85:
	s_movk_i32 s12, 0x7f
	v_and_b32_e32 v30, 0x7f, v33
	v_cmp_ne_u32_e32 vcc, s12, v30
	v_mov_b32_e32 v54, 0x7f80
	s_and_saveexec_b64 s[12:13], vcc
	s_cbranch_execz .LBB894_87
; %bb.86:
	v_and_b32_e32 v56, 7, v33
	v_ffbh_u32_e32 v55, v56
	v_min_u32_e32 v58, 32, v55
	v_mov_b32_e32 v54, v33
	v_subrev_u32_e32 v55, 28, v58
	v_lshlrev_b64 v[54:55], v55, v[54:55]
	v_lshrrev_b32_e32 v57, 3, v30
	v_sub_u32_e32 v55, 29, v58
	v_and_b32_e32 v54, 7, v54
	v_cmp_gt_u32_e32 vcc, 8, v30
	v_cndmask_b32_e32 v30, v57, v55, vcc
	v_cndmask_b32_e32 v54, v56, v54, vcc
	v_lshlrev_b32_e32 v55, 24, v33
	v_bfrev_b32_e32 v56, 60
	v_lshlrev_b32_e32 v54, 20, v54
	v_and_b32_e32 v55, 0x80000000, v55
	v_lshl_add_u32 v30, v30, 23, v56
	v_or3_b32 v30, v55, v30, v54
	v_lshrrev_b32_e32 v54, 16, v30
.LBB894_87:
	s_or_b64 exec, exec, s[12:13]
.LBB894_88:
	s_or_b64 exec, exec, s[10:11]
.LBB894_89:
	s_or_b64 exec, exec, s[2:3]
	v_lshrrev_b16_e32 v30, 8, v33
	v_cmp_ne_u16_e32 vcc, 0, v30
	s_and_saveexec_b64 s[2:3], vcc
	s_cbranch_execz .LBB894_95
; %bb.90:
	s_movk_i32 s10, 0x80
	v_cmp_ne_u16_e32 vcc, s10, v30
	v_mov_b32_e32 v32, 0xffff8000
	s_and_saveexec_b64 s[10:11], vcc
	s_cbranch_execz .LBB894_94
; %bb.91:
	s_movk_i32 s12, 0x7f
	v_and_b32_e32 v55, 0x7f, v30
	v_cmp_ne_u32_e32 vcc, s12, v55
	v_mov_b32_e32 v32, 0x7f80
	s_and_saveexec_b64 s[12:13], vcc
	s_cbranch_execz .LBB894_93
; %bb.92:
	v_and_b32_e32 v32, 7, v30
	v_ffbh_u32_e32 v56, v32
	v_min_u32_e32 v59, 32, v56
	v_subrev_u32_e32 v56, 28, v59
	v_lshlrev_b64 v[56:57], v56, v[30:31]
	v_lshrrev_b32_e32 v58, 3, v55
	v_sub_u32_e32 v30, 29, v59
	v_and_b32_e32 v56, 7, v56
	v_cmp_gt_u32_e32 vcc, 8, v55
	v_cndmask_b32_e32 v30, v58, v30, vcc
	v_cndmask_b32_e32 v32, v32, v56, vcc
	v_lshlrev_b32_e32 v55, 16, v33
	v_bfrev_b32_e32 v56, 60
	v_lshlrev_b32_e32 v32, 20, v32
	v_and_b32_e32 v55, 0x80000000, v55
	v_lshl_add_u32 v30, v30, 23, v56
	v_or3_b32 v30, v55, v30, v32
	v_lshrrev_b32_e32 v32, 16, v30
.LBB894_93:
	s_or_b64 exec, exec, s[12:13]
.LBB894_94:
	s_or_b64 exec, exec, s[10:11]
.LBB894_95:
	s_or_b64 exec, exec, s[2:3]
	s_movk_i32 s2, 0xff
	v_and_b32_sdwa v57, v33, s2 dst_sel:DWORD dst_unused:UNUSED_PAD src0_sel:WORD_1 src1_sel:DWORD
	v_lshrrev_b32_e32 v30, 16, v33
	v_cmp_ne_u16_e32 vcc, 0, v57
	v_mov_b32_e32 v55, 0
	v_mov_b32_e32 v56, 0
	s_and_saveexec_b64 s[2:3], vcc
	s_cbranch_execz .LBB894_101
; %bb.96:
	s_movk_i32 s10, 0x80
	v_cmp_ne_u16_e32 vcc, s10, v57
	v_mov_b32_e32 v56, 0xffff8000
	s_and_saveexec_b64 s[10:11], vcc
	s_cbranch_execz .LBB894_100
; %bb.97:
	v_bfe_u32 v57, v33, 16, 7
	s_movk_i32 s12, 0x7f
	v_cmp_ne_u32_e32 vcc, s12, v57
	v_mov_b32_e32 v56, 0x7f80
	s_and_saveexec_b64 s[12:13], vcc
	s_cbranch_execz .LBB894_99
; %bb.98:
	v_and_b32_e32 v56, 7, v30
	v_ffbh_u32_e32 v58, v56
	v_min_u32_e32 v61, 32, v58
	v_subrev_u32_e32 v58, 28, v61
	v_lshlrev_b64 v[58:59], v58, v[30:31]
	v_lshrrev_b32_e32 v60, 3, v57
	v_sub_u32_e32 v30, 29, v61
	v_and_b32_e32 v58, 7, v58
	v_cmp_gt_u32_e32 vcc, 8, v57
	v_mov_b32_e32 v57, 24
	v_cndmask_b32_e32 v30, v60, v30, vcc
	v_cndmask_b32_e32 v56, v56, v58, vcc
	v_lshlrev_b32_sdwa v57, v57, v33 dst_sel:DWORD dst_unused:UNUSED_PAD src0_sel:DWORD src1_sel:WORD_1
	v_bfrev_b32_e32 v58, 60
	v_lshlrev_b32_e32 v56, 20, v56
	v_and_b32_e32 v57, 0x80000000, v57
	v_lshl_add_u32 v30, v30, 23, v58
	v_or3_b32 v30, v57, v30, v56
	v_lshrrev_b32_e32 v56, 16, v30
.LBB894_99:
	s_or_b64 exec, exec, s[12:13]
.LBB894_100:
	s_or_b64 exec, exec, s[10:11]
.LBB894_101:
	s_or_b64 exec, exec, s[2:3]
	s_mov_b32 s2, 0xffffff
	v_cmp_lt_u32_e32 vcc, s2, v33
	s_and_saveexec_b64 s[2:3], vcc
	s_cbranch_execz .LBB894_107
; %bb.102:
	v_lshrrev_b32_e32 v30, 24, v33
	s_movk_i32 s10, 0x80
	v_cmp_ne_u32_e32 vcc, s10, v30
	v_mov_b32_e32 v55, 0xffff8000
	s_and_saveexec_b64 s[10:11], vcc
	s_cbranch_execz .LBB894_106
; %bb.103:
	v_bfe_u32 v33, v33, 24, 7
	s_movk_i32 s12, 0x7f
	v_cmp_ne_u32_e32 vcc, s12, v33
	v_mov_b32_e32 v55, 0x7f80
	s_and_saveexec_b64 s[12:13], vcc
	s_cbranch_execz .LBB894_105
; %bb.104:
	v_and_b32_e32 v55, 7, v30
	v_ffbh_u32_e32 v58, v55
	v_min_u32_e32 v60, 32, v58
	v_subrev_u32_e32 v58, 28, v60
	v_lshlrev_b64 v[58:59], v58, v[30:31]
	v_lshrrev_b32_e32 v57, 3, v33
	v_sub_u32_e32 v59, 29, v60
	v_and_b32_e32 v58, 7, v58
	v_cmp_gt_u32_e32 vcc, 8, v33
	v_cndmask_b32_e32 v33, v57, v59, vcc
	v_cndmask_b32_e32 v55, v55, v58, vcc
	v_lshlrev_b32_e32 v30, 24, v30
	v_bfrev_b32_e32 v57, 60
	v_lshlrev_b32_e32 v55, 20, v55
	v_and_b32_e32 v30, 0x80000000, v30
	v_lshl_add_u32 v33, v33, 23, v57
	v_or3_b32 v30, v30, v33, v55
	v_lshrrev_b32_e32 v55, 16, v30
.LBB894_105:
	s_or_b64 exec, exec, s[12:13]
.LBB894_106:
	s_or_b64 exec, exec, s[10:11]
.LBB894_107:
	s_or_b64 exec, exec, s[2:3]
	s_mov_b32 s2, 0x5040100
	v_perm_b32 v53, v52, v53, s2
	v_perm_b32 v52, v31, v51, s2
	;; [unrolled: 1-line block ×4, first 2 shown]
	v_mfma_f32_16x16x16bf16_1k v[58:61], v[52:53], v[18:19], v[42:45]
	s_nop 6
	v_mov_b32_e32 v43, 0
	s_waitcnt vmcnt(6)
	v_cmp_ne_u16_sdwa s[10:11], v38, v43 src0_sel:BYTE_0 src1_sel:DWORD
	v_mfma_f32_16x16x16bf16_1k v[30:33], v[30:31], v[20:21], v[58:61]
	v_mov_b32_e32 v44, 0
	s_and_saveexec_b64 s[2:3], s[10:11]
	s_cbranch_execz .LBB894_113
; %bb.108:
	s_movk_i32 s10, 0x80
	v_cmp_ne_u16_sdwa s[12:13], v38, s10 src0_sel:BYTE_0 src1_sel:DWORD
	v_mov_b32_e32 v44, 0xffff8000
	s_and_saveexec_b64 s[10:11], s[12:13]
	s_cbranch_execz .LBB894_112
; %bb.109:
	s_movk_i32 s12, 0x7f
	v_and_b32_e32 v42, 0x7f, v38
	v_cmp_ne_u32_e32 vcc, s12, v42
	v_mov_b32_e32 v44, 0x7f80
	s_and_saveexec_b64 s[12:13], vcc
	s_cbranch_execz .LBB894_111
; %bb.110:
	v_and_b32_e32 v51, 7, v38
	v_ffbh_u32_e32 v44, v51
	v_min_u32_e32 v53, 32, v44
	v_subrev_u32_e32 v44, 28, v53
	v_lshlrev_b64 v[44:45], v44, v[38:39]
	v_lshrrev_b32_e32 v52, 3, v42
	v_sub_u32_e32 v45, 29, v53
	v_and_b32_e32 v44, 7, v44
	v_cmp_gt_u32_e32 vcc, 8, v42
	v_cndmask_b32_e32 v42, v52, v45, vcc
	v_cndmask_b32_e32 v44, v51, v44, vcc
	v_lshlrev_b32_e32 v45, 24, v38
	v_bfrev_b32_e32 v51, 60
	v_lshlrev_b32_e32 v44, 20, v44
	v_and_b32_e32 v45, 0x80000000, v45
	v_lshl_add_u32 v42, v42, 23, v51
	v_or3_b32 v42, v45, v42, v44
	v_lshrrev_b32_e32 v44, 16, v42
.LBB894_111:
	s_or_b64 exec, exec, s[12:13]
.LBB894_112:
	s_or_b64 exec, exec, s[10:11]
.LBB894_113:
	s_or_b64 exec, exec, s[2:3]
	v_lshrrev_b16_e32 v42, 8, v38
	v_cmp_ne_u16_e32 vcc, 0, v42
	s_and_saveexec_b64 s[2:3], vcc
	s_cbranch_execz .LBB894_119
; %bb.114:
	s_movk_i32 s10, 0x80
	v_cmp_ne_u16_e32 vcc, s10, v42
	v_mov_b32_e32 v43, 0xffff8000
	s_and_saveexec_b64 s[10:11], vcc
	s_cbranch_execz .LBB894_118
; %bb.115:
	s_movk_i32 s12, 0x7f
	v_and_b32_e32 v45, 0x7f, v42
	v_cmp_ne_u32_e32 vcc, s12, v45
	v_mov_b32_e32 v43, 0x7f80
	s_and_saveexec_b64 s[12:13], vcc
	s_cbranch_execz .LBB894_117
; %bb.116:
	v_and_b32_e32 v51, 7, v42
	v_ffbh_u32_e32 v43, v51
	v_min_u32_e32 v53, 32, v43
	v_subrev_u32_e32 v43, 28, v53
	v_lshlrev_b64 v[42:43], v43, v[42:43]
	v_lshrrev_b32_e32 v52, 3, v45
	v_sub_u32_e32 v43, 29, v53
	v_and_b32_e32 v42, 7, v42
	v_cmp_gt_u32_e32 vcc, 8, v45
	v_cndmask_b32_e32 v43, v52, v43, vcc
	v_cndmask_b32_e32 v42, v51, v42, vcc
	v_lshlrev_b32_e32 v45, 16, v38
	v_bfrev_b32_e32 v51, 60
	v_lshlrev_b32_e32 v42, 20, v42
	v_and_b32_e32 v45, 0x80000000, v45
	v_lshl_add_u32 v43, v43, 23, v51
	v_or3_b32 v42, v45, v43, v42
	v_lshrrev_b32_e32 v43, 16, v42
.LBB894_117:
	s_or_b64 exec, exec, s[12:13]
.LBB894_118:
	s_or_b64 exec, exec, s[10:11]
.LBB894_119:
	s_or_b64 exec, exec, s[2:3]
	s_movk_i32 s2, 0xff
	v_and_b32_sdwa v52, v38, s2 dst_sel:DWORD dst_unused:UNUSED_PAD src0_sel:WORD_1 src1_sel:DWORD
	v_lshrrev_b32_e32 v42, 16, v38
	v_cmp_ne_u16_e32 vcc, 0, v52
	v_mov_b32_e32 v45, 0
	v_mov_b32_e32 v51, 0
	s_and_saveexec_b64 s[2:3], vcc
	s_cbranch_execz .LBB894_125
; %bb.120:
	s_movk_i32 s10, 0x80
	v_cmp_ne_u16_e32 vcc, s10, v52
	v_mov_b32_e32 v51, 0xffff8000
	s_and_saveexec_b64 s[10:11], vcc
	s_cbranch_execz .LBB894_124
; %bb.121:
	v_bfe_u32 v52, v38, 16, 7
	s_movk_i32 s12, 0x7f
	v_cmp_ne_u32_e32 vcc, s12, v52
	v_mov_b32_e32 v51, 0x7f80
	s_and_saveexec_b64 s[12:13], vcc
	s_cbranch_execz .LBB894_123
; %bb.122:
	v_and_b32_e32 v51, 7, v42
	v_ffbh_u32_e32 v54, v51
	v_min_u32_e32 v56, 32, v54
	v_subrev_u32_e32 v54, 28, v56
	v_lshlrev_b64 v[54:55], v54, v[42:43]
	v_lshrrev_b32_e32 v53, 3, v52
	v_sub_u32_e32 v42, 29, v56
	v_and_b32_e32 v54, 7, v54
	v_cmp_gt_u32_e32 vcc, 8, v52
	v_mov_b32_e32 v52, 24
	v_cndmask_b32_e32 v42, v53, v42, vcc
	v_cndmask_b32_e32 v51, v51, v54, vcc
	v_lshlrev_b32_sdwa v52, v52, v38 dst_sel:DWORD dst_unused:UNUSED_PAD src0_sel:DWORD src1_sel:WORD_1
	v_bfrev_b32_e32 v53, 60
	v_lshlrev_b32_e32 v51, 20, v51
	v_and_b32_e32 v52, 0x80000000, v52
	v_lshl_add_u32 v42, v42, 23, v53
	v_or3_b32 v42, v52, v42, v51
	v_lshrrev_b32_e32 v51, 16, v42
.LBB894_123:
	s_or_b64 exec, exec, s[12:13]
.LBB894_124:
	s_or_b64 exec, exec, s[10:11]
.LBB894_125:
	s_or_b64 exec, exec, s[2:3]
	s_mov_b32 s2, 0xffffff
	v_cmp_lt_u32_e32 vcc, s2, v38
	s_and_saveexec_b64 s[2:3], vcc
	s_cbranch_execz .LBB894_131
; %bb.126:
	v_lshrrev_b32_e32 v42, 24, v38
	s_movk_i32 s10, 0x80
	v_cmp_ne_u32_e32 vcc, s10, v42
	v_mov_b32_e32 v45, 0xffff8000
	s_and_saveexec_b64 s[10:11], vcc
	s_cbranch_execz .LBB894_130
; %bb.127:
	v_bfe_u32 v38, v38, 24, 7
	s_movk_i32 s12, 0x7f
	v_cmp_ne_u32_e32 vcc, s12, v38
	v_mov_b32_e32 v45, 0x7f80
	s_and_saveexec_b64 s[12:13], vcc
	s_cbranch_execz .LBB894_129
; %bb.128:
	v_and_b32_e32 v45, 7, v42
	v_ffbh_u32_e32 v52, v45
	v_min_u32_e32 v55, 32, v52
	v_subrev_u32_e32 v52, 28, v55
	v_lshlrev_b64 v[52:53], v52, v[42:43]
	v_lshrrev_b32_e32 v54, 3, v38
	v_sub_u32_e32 v53, 29, v55
	v_and_b32_e32 v52, 7, v52
	v_cmp_gt_u32_e32 vcc, 8, v38
	v_cndmask_b32_e32 v38, v54, v53, vcc
	v_cndmask_b32_e32 v45, v45, v52, vcc
	v_lshlrev_b32_e32 v42, 24, v42
	v_bfrev_b32_e32 v52, 60
	v_lshlrev_b32_e32 v45, 20, v45
	v_and_b32_e32 v42, 0x80000000, v42
	v_lshl_add_u32 v38, v38, 23, v52
	v_or3_b32 v38, v42, v38, v45
	v_lshrrev_b32_e32 v45, 16, v38
.LBB894_129:
	s_or_b64 exec, exec, s[12:13]
.LBB894_130:
	s_or_b64 exec, exec, s[10:11]
.LBB894_131:
	s_or_b64 exec, exec, s[2:3]
	v_mov_b32_e32 v42, 0
	v_cmp_ne_u16_sdwa s[10:11], v39, v42 src0_sel:BYTE_0 src1_sel:DWORD
	v_mov_b32_e32 v52, 0
	s_and_saveexec_b64 s[2:3], s[10:11]
	s_cbranch_execz .LBB894_137
; %bb.132:
	s_movk_i32 s10, 0x80
	v_cmp_ne_u16_sdwa s[12:13], v39, s10 src0_sel:BYTE_0 src1_sel:DWORD
	v_mov_b32_e32 v52, 0xffff8000
	s_and_saveexec_b64 s[10:11], s[12:13]
	s_cbranch_execz .LBB894_136
; %bb.133:
	s_movk_i32 s12, 0x7f
	v_and_b32_e32 v38, 0x7f, v39
	v_cmp_ne_u32_e32 vcc, s12, v38
	v_mov_b32_e32 v52, 0x7f80
	s_and_saveexec_b64 s[12:13], vcc
	s_cbranch_execz .LBB894_135
; %bb.134:
	v_and_b32_e32 v54, 7, v39
	v_ffbh_u32_e32 v53, v54
	v_min_u32_e32 v56, 32, v53
	v_mov_b32_e32 v52, v39
	v_subrev_u32_e32 v53, 28, v56
	v_lshlrev_b64 v[52:53], v53, v[52:53]
	v_lshrrev_b32_e32 v55, 3, v38
	v_sub_u32_e32 v53, 29, v56
	v_and_b32_e32 v52, 7, v52
	v_cmp_gt_u32_e32 vcc, 8, v38
	v_cndmask_b32_e32 v38, v55, v53, vcc
	v_cndmask_b32_e32 v52, v54, v52, vcc
	v_lshlrev_b32_e32 v53, 24, v39
	v_bfrev_b32_e32 v54, 60
	v_lshlrev_b32_e32 v52, 20, v52
	v_and_b32_e32 v53, 0x80000000, v53
	v_lshl_add_u32 v38, v38, 23, v54
	v_or3_b32 v38, v53, v38, v52
	v_lshrrev_b32_e32 v52, 16, v38
.LBB894_135:
	s_or_b64 exec, exec, s[12:13]
.LBB894_136:
	s_or_b64 exec, exec, s[10:11]
.LBB894_137:
	s_or_b64 exec, exec, s[2:3]
	v_lshrrev_b16_e32 v38, 8, v39
	v_cmp_ne_u16_e32 vcc, 0, v38
	s_and_saveexec_b64 s[2:3], vcc
	s_cbranch_execz .LBB894_143
; %bb.138:
	s_movk_i32 s10, 0x80
	v_cmp_ne_u16_e32 vcc, s10, v38
	v_mov_b32_e32 v42, 0xffff8000
	s_and_saveexec_b64 s[10:11], vcc
	s_cbranch_execz .LBB894_142
; %bb.139:
	s_movk_i32 s12, 0x7f
	v_and_b32_e32 v53, 0x7f, v38
	v_cmp_ne_u32_e32 vcc, s12, v53
	v_mov_b32_e32 v42, 0x7f80
	s_and_saveexec_b64 s[12:13], vcc
	s_cbranch_execz .LBB894_141
; %bb.140:
	v_and_b32_e32 v42, 7, v38
	v_ffbh_u32_e32 v54, v42
	v_min_u32_e32 v57, 32, v54
	v_subrev_u32_e32 v54, 28, v57
	v_lshlrev_b64 v[54:55], v54, v[38:39]
	v_lshrrev_b32_e32 v56, 3, v53
	v_sub_u32_e32 v38, 29, v57
	v_and_b32_e32 v54, 7, v54
	v_cmp_gt_u32_e32 vcc, 8, v53
	v_cndmask_b32_e32 v38, v56, v38, vcc
	v_cndmask_b32_e32 v42, v42, v54, vcc
	v_lshlrev_b32_e32 v53, 16, v39
	v_bfrev_b32_e32 v54, 60
	v_lshlrev_b32_e32 v42, 20, v42
	v_and_b32_e32 v53, 0x80000000, v53
	v_lshl_add_u32 v38, v38, 23, v54
	v_or3_b32 v38, v53, v38, v42
	v_lshrrev_b32_e32 v42, 16, v38
.LBB894_141:
	s_or_b64 exec, exec, s[12:13]
.LBB894_142:
	s_or_b64 exec, exec, s[10:11]
.LBB894_143:
	s_or_b64 exec, exec, s[2:3]
	s_movk_i32 s2, 0xff
	v_and_b32_sdwa v55, v39, s2 dst_sel:DWORD dst_unused:UNUSED_PAD src0_sel:WORD_1 src1_sel:DWORD
	v_lshrrev_b32_e32 v38, 16, v39
	v_cmp_ne_u16_e32 vcc, 0, v55
	v_mov_b32_e32 v53, 0
	v_mov_b32_e32 v54, 0
	s_and_saveexec_b64 s[2:3], vcc
	s_cbranch_execz .LBB894_149
; %bb.144:
	s_movk_i32 s10, 0x80
	v_cmp_ne_u16_e32 vcc, s10, v55
	v_mov_b32_e32 v54, 0xffff8000
	s_and_saveexec_b64 s[10:11], vcc
	s_cbranch_execz .LBB894_148
; %bb.145:
	v_bfe_u32 v55, v39, 16, 7
	s_movk_i32 s12, 0x7f
	v_cmp_ne_u32_e32 vcc, s12, v55
	v_mov_b32_e32 v54, 0x7f80
	s_and_saveexec_b64 s[12:13], vcc
	s_cbranch_execz .LBB894_147
; %bb.146:
	v_and_b32_e32 v54, 7, v38
	v_ffbh_u32_e32 v56, v54
	v_min_u32_e32 v59, 32, v56
	v_subrev_u32_e32 v56, 28, v59
	v_lshlrev_b64 v[56:57], v56, v[38:39]
	v_lshrrev_b32_e32 v58, 3, v55
	v_sub_u32_e32 v38, 29, v59
	v_and_b32_e32 v56, 7, v56
	v_cmp_gt_u32_e32 vcc, 8, v55
	v_mov_b32_e32 v55, 24
	v_cndmask_b32_e32 v38, v58, v38, vcc
	v_cndmask_b32_e32 v54, v54, v56, vcc
	v_lshlrev_b32_sdwa v55, v55, v39 dst_sel:DWORD dst_unused:UNUSED_PAD src0_sel:DWORD src1_sel:WORD_1
	v_bfrev_b32_e32 v56, 60
	v_lshlrev_b32_e32 v54, 20, v54
	v_and_b32_e32 v55, 0x80000000, v55
	v_lshl_add_u32 v38, v38, 23, v56
	v_or3_b32 v38, v55, v38, v54
	v_lshrrev_b32_e32 v54, 16, v38
.LBB894_147:
	s_or_b64 exec, exec, s[12:13]
.LBB894_148:
	s_or_b64 exec, exec, s[10:11]
.LBB894_149:
	s_or_b64 exec, exec, s[2:3]
	s_mov_b32 s2, 0xffffff
	v_cmp_lt_u32_e32 vcc, s2, v39
	s_and_saveexec_b64 s[2:3], vcc
	s_cbranch_execz .LBB894_155
; %bb.150:
	v_lshrrev_b32_e32 v38, 24, v39
	s_movk_i32 s10, 0x80
	v_cmp_ne_u32_e32 vcc, s10, v38
	v_mov_b32_e32 v53, 0xffff8000
	s_and_saveexec_b64 s[10:11], vcc
	s_cbranch_execz .LBB894_154
; %bb.151:
	v_bfe_u32 v39, v39, 24, 7
	s_movk_i32 s12, 0x7f
	v_cmp_ne_u32_e32 vcc, s12, v39
	v_mov_b32_e32 v53, 0x7f80
	s_and_saveexec_b64 s[12:13], vcc
	s_cbranch_execz .LBB894_153
; %bb.152:
	v_and_b32_e32 v53, 7, v38
	v_ffbh_u32_e32 v56, v53
	v_min_u32_e32 v58, 32, v56
	v_subrev_u32_e32 v56, 28, v58
	v_lshlrev_b64 v[56:57], v56, v[38:39]
	v_lshrrev_b32_e32 v55, 3, v39
	v_sub_u32_e32 v57, 29, v58
	v_and_b32_e32 v56, 7, v56
	v_cmp_gt_u32_e32 vcc, 8, v39
	v_cndmask_b32_e32 v39, v55, v57, vcc
	v_cndmask_b32_e32 v53, v53, v56, vcc
	v_lshlrev_b32_e32 v38, 24, v38
	v_bfrev_b32_e32 v55, 60
	v_lshlrev_b32_e32 v53, 20, v53
	v_and_b32_e32 v38, 0x80000000, v38
	v_lshl_add_u32 v39, v39, 23, v55
	v_or3_b32 v38, v38, v39, v53
	v_lshrrev_b32_e32 v53, 16, v38
.LBB894_153:
	s_or_b64 exec, exec, s[12:13]
.LBB894_154:
	s_or_b64 exec, exec, s[10:11]
.LBB894_155:
	s_or_b64 exec, exec, s[2:3]
	s_mov_b32 s2, 0x5040100
	v_perm_b32 v39, v45, v51, s2
	v_perm_b32 v38, v43, v44, s2
	;; [unrolled: 1-line block ×4, first 2 shown]
	v_mov_b32_e32 v51, 0
	v_mfma_f32_16x16x16bf16_1k v[56:59], v[38:39], v[26:27], 0
	v_mov_b32_e32 v39, 0
	v_cmp_ne_u16_sdwa s[10:11], v40, v39 src0_sel:BYTE_0 src1_sel:DWORD
	v_mfma_f32_16x16x16bf16_1k v[42:45], v[42:43], v[28:29], v[56:59]
	s_and_saveexec_b64 s[2:3], s[10:11]
	s_cbranch_execz .LBB894_161
; %bb.156:
	s_movk_i32 s10, 0x80
	v_cmp_ne_u16_sdwa s[12:13], v40, s10 src0_sel:BYTE_0 src1_sel:DWORD
	v_mov_b32_e32 v51, 0xffff8000
	s_and_saveexec_b64 s[10:11], s[12:13]
	s_cbranch_execz .LBB894_160
; %bb.157:
	s_movk_i32 s12, 0x7f
	v_and_b32_e32 v38, 0x7f, v40
	v_cmp_ne_u32_e32 vcc, s12, v38
	v_mov_b32_e32 v51, 0x7f80
	s_and_saveexec_b64 s[12:13], vcc
	s_cbranch_execz .LBB894_159
; %bb.158:
	v_and_b32_e32 v51, 7, v40
	v_ffbh_u32_e32 v52, v51
	v_min_u32_e32 v55, 32, v52
	v_subrev_u32_e32 v52, 28, v55
	v_lshlrev_b64 v[52:53], v52, v[40:41]
	v_lshrrev_b32_e32 v54, 3, v38
	v_sub_u32_e32 v53, 29, v55
	v_and_b32_e32 v52, 7, v52
	v_cmp_gt_u32_e32 vcc, 8, v38
	v_cndmask_b32_e32 v38, v54, v53, vcc
	v_cndmask_b32_e32 v51, v51, v52, vcc
	v_lshlrev_b32_e32 v52, 24, v40
	v_bfrev_b32_e32 v53, 60
	v_lshlrev_b32_e32 v51, 20, v51
	v_and_b32_e32 v52, 0x80000000, v52
	v_lshl_add_u32 v38, v38, 23, v53
	v_or3_b32 v38, v52, v38, v51
	v_lshrrev_b32_e32 v51, 16, v38
.LBB894_159:
	s_or_b64 exec, exec, s[12:13]
.LBB894_160:
	s_or_b64 exec, exec, s[10:11]
.LBB894_161:
	s_or_b64 exec, exec, s[2:3]
	v_lshrrev_b16_e32 v38, 8, v40
	v_cmp_ne_u16_e32 vcc, 0, v38
	s_and_saveexec_b64 s[2:3], vcc
	s_cbranch_execz .LBB894_167
; %bb.162:
	s_movk_i32 s10, 0x80
	v_cmp_ne_u16_e32 vcc, s10, v38
	v_mov_b32_e32 v39, 0xffff8000
	s_and_saveexec_b64 s[10:11], vcc
	s_cbranch_execz .LBB894_166
; %bb.163:
	s_movk_i32 s12, 0x7f
	v_and_b32_e32 v52, 0x7f, v38
	v_cmp_ne_u32_e32 vcc, s12, v52
	v_mov_b32_e32 v39, 0x7f80
	s_and_saveexec_b64 s[12:13], vcc
	s_cbranch_execz .LBB894_165
; %bb.164:
	v_and_b32_e32 v53, 7, v38
	v_ffbh_u32_e32 v39, v53
	v_min_u32_e32 v55, 32, v39
	v_subrev_u32_e32 v39, 28, v55
	v_lshlrev_b64 v[38:39], v39, v[38:39]
	v_lshrrev_b32_e32 v54, 3, v52
	v_sub_u32_e32 v39, 29, v55
	v_and_b32_e32 v38, 7, v38
	v_cmp_gt_u32_e32 vcc, 8, v52
	v_cndmask_b32_e32 v39, v54, v39, vcc
	v_cndmask_b32_e32 v38, v53, v38, vcc
	v_lshlrev_b32_e32 v52, 16, v40
	v_bfrev_b32_e32 v53, 60
	v_lshlrev_b32_e32 v38, 20, v38
	v_and_b32_e32 v52, 0x80000000, v52
	v_lshl_add_u32 v39, v39, 23, v53
	v_or3_b32 v38, v52, v39, v38
	v_lshrrev_b32_e32 v39, 16, v38
.LBB894_165:
	s_or_b64 exec, exec, s[12:13]
.LBB894_166:
	s_or_b64 exec, exec, s[10:11]
.LBB894_167:
	s_or_b64 exec, exec, s[2:3]
	s_movk_i32 s2, 0xff
	v_and_b32_sdwa v54, v40, s2 dst_sel:DWORD dst_unused:UNUSED_PAD src0_sel:WORD_1 src1_sel:DWORD
	v_lshrrev_b32_e32 v38, 16, v40
	v_cmp_ne_u16_e32 vcc, 0, v54
	v_mov_b32_e32 v52, 0
	v_mov_b32_e32 v53, 0
	s_and_saveexec_b64 s[2:3], vcc
	s_cbranch_execz .LBB894_173
; %bb.168:
	s_movk_i32 s10, 0x80
	v_cmp_ne_u16_e32 vcc, s10, v54
	v_mov_b32_e32 v53, 0xffff8000
	s_and_saveexec_b64 s[10:11], vcc
	s_cbranch_execz .LBB894_172
; %bb.169:
	v_bfe_u32 v54, v40, 16, 7
	s_movk_i32 s12, 0x7f
	v_cmp_ne_u32_e32 vcc, s12, v54
	v_mov_b32_e32 v53, 0x7f80
	s_and_saveexec_b64 s[12:13], vcc
	s_cbranch_execz .LBB894_171
; %bb.170:
	v_and_b32_e32 v53, 7, v38
	v_ffbh_u32_e32 v56, v53
	v_min_u32_e32 v58, 32, v56
	v_subrev_u32_e32 v56, 28, v58
	v_lshlrev_b64 v[56:57], v56, v[38:39]
	v_lshrrev_b32_e32 v55, 3, v54
	v_sub_u32_e32 v38, 29, v58
	v_and_b32_e32 v56, 7, v56
	v_cmp_gt_u32_e32 vcc, 8, v54
	v_mov_b32_e32 v54, 24
	v_cndmask_b32_e32 v38, v55, v38, vcc
	v_cndmask_b32_e32 v53, v53, v56, vcc
	v_lshlrev_b32_sdwa v54, v54, v40 dst_sel:DWORD dst_unused:UNUSED_PAD src0_sel:DWORD src1_sel:WORD_1
	v_bfrev_b32_e32 v55, 60
	v_lshlrev_b32_e32 v53, 20, v53
	v_and_b32_e32 v54, 0x80000000, v54
	v_lshl_add_u32 v38, v38, 23, v55
	v_or3_b32 v38, v54, v38, v53
	v_lshrrev_b32_e32 v53, 16, v38
.LBB894_171:
	s_or_b64 exec, exec, s[12:13]
.LBB894_172:
	s_or_b64 exec, exec, s[10:11]
.LBB894_173:
	s_or_b64 exec, exec, s[2:3]
	s_mov_b32 s2, 0xffffff
	v_cmp_lt_u32_e32 vcc, s2, v40
	s_and_saveexec_b64 s[2:3], vcc
	s_cbranch_execz .LBB894_179
; %bb.174:
	v_lshrrev_b32_e32 v38, 24, v40
	s_movk_i32 s10, 0x80
	v_cmp_ne_u32_e32 vcc, s10, v38
	v_mov_b32_e32 v52, 0xffff8000
	s_and_saveexec_b64 s[10:11], vcc
	s_cbranch_execz .LBB894_178
; %bb.175:
	v_bfe_u32 v40, v40, 24, 7
	s_movk_i32 s12, 0x7f
	v_cmp_ne_u32_e32 vcc, s12, v40
	v_mov_b32_e32 v52, 0x7f80
	s_and_saveexec_b64 s[12:13], vcc
	s_cbranch_execz .LBB894_177
; %bb.176:
	v_and_b32_e32 v52, 7, v38
	v_ffbh_u32_e32 v54, v52
	v_min_u32_e32 v57, 32, v54
	v_subrev_u32_e32 v54, 28, v57
	v_lshlrev_b64 v[54:55], v54, v[38:39]
	v_lshrrev_b32_e32 v56, 3, v40
	v_sub_u32_e32 v55, 29, v57
	v_and_b32_e32 v54, 7, v54
	v_cmp_gt_u32_e32 vcc, 8, v40
	v_cndmask_b32_e32 v40, v56, v55, vcc
	v_cndmask_b32_e32 v52, v52, v54, vcc
	v_lshlrev_b32_e32 v38, 24, v38
	v_bfrev_b32_e32 v54, 60
	v_lshlrev_b32_e32 v52, 20, v52
	v_and_b32_e32 v38, 0x80000000, v38
	v_lshl_add_u32 v40, v40, 23, v54
	v_or3_b32 v38, v38, v40, v52
	v_lshrrev_b32_e32 v52, 16, v38
.LBB894_177:
	s_or_b64 exec, exec, s[12:13]
.LBB894_178:
	s_or_b64 exec, exec, s[10:11]
.LBB894_179:
	s_or_b64 exec, exec, s[2:3]
	v_mov_b32_e32 v40, 0
	v_cmp_ne_u16_sdwa s[10:11], v41, v40 src0_sel:BYTE_0 src1_sel:DWORD
	v_mov_b32_e32 v54, 0
	s_and_saveexec_b64 s[2:3], s[10:11]
	s_cbranch_execz .LBB894_185
; %bb.180:
	s_movk_i32 s10, 0x80
	v_cmp_ne_u16_sdwa s[12:13], v41, s10 src0_sel:BYTE_0 src1_sel:DWORD
	v_mov_b32_e32 v54, 0xffff8000
	s_and_saveexec_b64 s[10:11], s[12:13]
	s_cbranch_execz .LBB894_184
; %bb.181:
	s_movk_i32 s12, 0x7f
	v_and_b32_e32 v38, 0x7f, v41
	v_cmp_ne_u32_e32 vcc, s12, v38
	v_mov_b32_e32 v54, 0x7f80
	s_and_saveexec_b64 s[12:13], vcc
	s_cbranch_execz .LBB894_183
; %bb.182:
	v_and_b32_e32 v56, 7, v41
	v_ffbh_u32_e32 v55, v56
	v_min_u32_e32 v58, 32, v55
	v_mov_b32_e32 v54, v41
	v_subrev_u32_e32 v55, 28, v58
	v_lshlrev_b64 v[54:55], v55, v[54:55]
	v_lshrrev_b32_e32 v57, 3, v38
	v_sub_u32_e32 v55, 29, v58
	v_and_b32_e32 v54, 7, v54
	v_cmp_gt_u32_e32 vcc, 8, v38
	v_cndmask_b32_e32 v38, v57, v55, vcc
	v_cndmask_b32_e32 v54, v56, v54, vcc
	v_lshlrev_b32_e32 v55, 24, v41
	v_bfrev_b32_e32 v56, 60
	v_lshlrev_b32_e32 v54, 20, v54
	v_and_b32_e32 v55, 0x80000000, v55
	v_lshl_add_u32 v38, v38, 23, v56
	v_or3_b32 v38, v55, v38, v54
	v_lshrrev_b32_e32 v54, 16, v38
.LBB894_183:
	s_or_b64 exec, exec, s[12:13]
.LBB894_184:
	s_or_b64 exec, exec, s[10:11]
.LBB894_185:
	s_or_b64 exec, exec, s[2:3]
	v_lshrrev_b16_e32 v38, 8, v41
	v_cmp_ne_u16_e32 vcc, 0, v38
	s_and_saveexec_b64 s[2:3], vcc
	s_cbranch_execz .LBB894_191
; %bb.186:
	s_movk_i32 s10, 0x80
	v_cmp_ne_u16_e32 vcc, s10, v38
	v_mov_b32_e32 v40, 0xffff8000
	s_and_saveexec_b64 s[10:11], vcc
	s_cbranch_execz .LBB894_190
; %bb.187:
	s_movk_i32 s12, 0x7f
	v_and_b32_e32 v55, 0x7f, v38
	v_cmp_ne_u32_e32 vcc, s12, v55
	v_mov_b32_e32 v40, 0x7f80
	s_and_saveexec_b64 s[12:13], vcc
	s_cbranch_execz .LBB894_189
; %bb.188:
	v_and_b32_e32 v40, 7, v38
	v_ffbh_u32_e32 v56, v40
	v_min_u32_e32 v59, 32, v56
	v_subrev_u32_e32 v56, 28, v59
	v_lshlrev_b64 v[56:57], v56, v[38:39]
	v_lshrrev_b32_e32 v58, 3, v55
	v_sub_u32_e32 v38, 29, v59
	v_and_b32_e32 v56, 7, v56
	v_cmp_gt_u32_e32 vcc, 8, v55
	v_cndmask_b32_e32 v38, v58, v38, vcc
	v_cndmask_b32_e32 v40, v40, v56, vcc
	v_lshlrev_b32_e32 v55, 16, v41
	v_bfrev_b32_e32 v56, 60
	v_lshlrev_b32_e32 v40, 20, v40
	v_and_b32_e32 v55, 0x80000000, v55
	v_lshl_add_u32 v38, v38, 23, v56
	v_or3_b32 v38, v55, v38, v40
	v_lshrrev_b32_e32 v40, 16, v38
.LBB894_189:
	s_or_b64 exec, exec, s[12:13]
.LBB894_190:
	s_or_b64 exec, exec, s[10:11]
.LBB894_191:
	s_or_b64 exec, exec, s[2:3]
	s_movk_i32 s2, 0xff
	v_and_b32_sdwa v57, v41, s2 dst_sel:DWORD dst_unused:UNUSED_PAD src0_sel:WORD_1 src1_sel:DWORD
	v_lshrrev_b32_e32 v38, 16, v41
	v_cmp_ne_u16_e32 vcc, 0, v57
	v_mov_b32_e32 v55, 0
	v_mov_b32_e32 v56, 0
	s_and_saveexec_b64 s[2:3], vcc
	s_cbranch_execz .LBB894_197
; %bb.192:
	s_movk_i32 s10, 0x80
	v_cmp_ne_u16_e32 vcc, s10, v57
	v_mov_b32_e32 v56, 0xffff8000
	s_and_saveexec_b64 s[10:11], vcc
	s_cbranch_execz .LBB894_196
; %bb.193:
	v_bfe_u32 v57, v41, 16, 7
	s_movk_i32 s12, 0x7f
	v_cmp_ne_u32_e32 vcc, s12, v57
	v_mov_b32_e32 v56, 0x7f80
	s_and_saveexec_b64 s[12:13], vcc
	s_cbranch_execz .LBB894_195
; %bb.194:
	v_and_b32_e32 v56, 7, v38
	v_ffbh_u32_e32 v58, v56
	v_min_u32_e32 v61, 32, v58
	v_subrev_u32_e32 v58, 28, v61
	v_lshlrev_b64 v[58:59], v58, v[38:39]
	v_lshrrev_b32_e32 v60, 3, v57
	v_sub_u32_e32 v38, 29, v61
	v_and_b32_e32 v58, 7, v58
	v_cmp_gt_u32_e32 vcc, 8, v57
	v_mov_b32_e32 v57, 24
	v_cndmask_b32_e32 v38, v60, v38, vcc
	v_cndmask_b32_e32 v56, v56, v58, vcc
	v_lshlrev_b32_sdwa v57, v57, v41 dst_sel:DWORD dst_unused:UNUSED_PAD src0_sel:DWORD src1_sel:WORD_1
	v_bfrev_b32_e32 v58, 60
	v_lshlrev_b32_e32 v56, 20, v56
	v_and_b32_e32 v57, 0x80000000, v57
	v_lshl_add_u32 v38, v38, 23, v58
	v_or3_b32 v38, v57, v38, v56
	v_lshrrev_b32_e32 v56, 16, v38
.LBB894_195:
	s_or_b64 exec, exec, s[12:13]
.LBB894_196:
	s_or_b64 exec, exec, s[10:11]
.LBB894_197:
	s_or_b64 exec, exec, s[2:3]
	s_mov_b32 s2, 0xffffff
	v_cmp_lt_u32_e32 vcc, s2, v41
	s_and_saveexec_b64 s[2:3], vcc
	s_cbranch_execz .LBB894_203
; %bb.198:
	v_lshrrev_b32_e32 v38, 24, v41
	s_movk_i32 s10, 0x80
	v_cmp_ne_u32_e32 vcc, s10, v38
	v_mov_b32_e32 v55, 0xffff8000
	s_and_saveexec_b64 s[10:11], vcc
	s_cbranch_execz .LBB894_202
; %bb.199:
	v_bfe_u32 v41, v41, 24, 7
	s_movk_i32 s12, 0x7f
	v_cmp_ne_u32_e32 vcc, s12, v41
	v_mov_b32_e32 v55, 0x7f80
	s_and_saveexec_b64 s[12:13], vcc
	s_cbranch_execz .LBB894_201
; %bb.200:
	v_and_b32_e32 v55, 7, v38
	v_ffbh_u32_e32 v58, v55
	v_min_u32_e32 v60, 32, v58
	v_subrev_u32_e32 v58, 28, v60
	v_lshlrev_b64 v[58:59], v58, v[38:39]
	v_lshrrev_b32_e32 v57, 3, v41
	v_sub_u32_e32 v59, 29, v60
	v_and_b32_e32 v58, 7, v58
	v_cmp_gt_u32_e32 vcc, 8, v41
	v_cndmask_b32_e32 v41, v57, v59, vcc
	v_cndmask_b32_e32 v55, v55, v58, vcc
	v_lshlrev_b32_e32 v38, 24, v38
	v_bfrev_b32_e32 v57, 60
	v_lshlrev_b32_e32 v55, 20, v55
	v_and_b32_e32 v38, 0x80000000, v38
	v_lshl_add_u32 v41, v41, 23, v57
	v_or3_b32 v38, v38, v41, v55
	v_lshrrev_b32_e32 v55, 16, v38
.LBB894_201:
	s_or_b64 exec, exec, s[12:13]
.LBB894_202:
	s_or_b64 exec, exec, s[10:11]
.LBB894_203:
	s_or_b64 exec, exec, s[2:3]
	s_mov_b32 s2, 0x5040100
	v_perm_b32 v53, v52, v53, s2
	v_perm_b32 v52, v39, v51, s2
	;; [unrolled: 1-line block ×4, first 2 shown]
	v_mfma_f32_16x16x16bf16_1k v[58:61], v[52:53], v[18:19], v[42:45]
	s_nop 6
	v_mov_b32_e32 v43, 0
	s_waitcnt vmcnt(5)
	v_cmp_ne_u16_sdwa s[10:11], v34, v43 src0_sel:BYTE_0 src1_sel:DWORD
	v_mfma_f32_16x16x16bf16_1k v[38:41], v[38:39], v[20:21], v[58:61]
	v_mov_b32_e32 v44, 0
	s_and_saveexec_b64 s[2:3], s[10:11]
	s_cbranch_execz .LBB894_209
; %bb.204:
	s_movk_i32 s10, 0x80
	v_cmp_ne_u16_sdwa s[12:13], v34, s10 src0_sel:BYTE_0 src1_sel:DWORD
	v_mov_b32_e32 v44, 0xffff8000
	s_and_saveexec_b64 s[10:11], s[12:13]
	s_cbranch_execz .LBB894_208
; %bb.205:
	s_movk_i32 s12, 0x7f
	v_and_b32_e32 v42, 0x7f, v34
	v_cmp_ne_u32_e32 vcc, s12, v42
	v_mov_b32_e32 v44, 0x7f80
	s_and_saveexec_b64 s[12:13], vcc
	s_cbranch_execz .LBB894_207
; %bb.206:
	v_and_b32_e32 v51, 7, v34
	v_ffbh_u32_e32 v44, v51
	v_min_u32_e32 v53, 32, v44
	v_subrev_u32_e32 v44, 28, v53
	v_lshlrev_b64 v[44:45], v44, v[34:35]
	v_lshrrev_b32_e32 v52, 3, v42
	v_sub_u32_e32 v45, 29, v53
	v_and_b32_e32 v44, 7, v44
	v_cmp_gt_u32_e32 vcc, 8, v42
	v_cndmask_b32_e32 v42, v52, v45, vcc
	v_cndmask_b32_e32 v44, v51, v44, vcc
	v_lshlrev_b32_e32 v45, 24, v34
	v_bfrev_b32_e32 v51, 60
	v_lshlrev_b32_e32 v44, 20, v44
	v_and_b32_e32 v45, 0x80000000, v45
	v_lshl_add_u32 v42, v42, 23, v51
	v_or3_b32 v42, v45, v42, v44
	v_lshrrev_b32_e32 v44, 16, v42
.LBB894_207:
	s_or_b64 exec, exec, s[12:13]
.LBB894_208:
	s_or_b64 exec, exec, s[10:11]
.LBB894_209:
	s_or_b64 exec, exec, s[2:3]
	v_lshrrev_b16_e32 v42, 8, v34
	v_cmp_ne_u16_e32 vcc, 0, v42
	s_and_saveexec_b64 s[2:3], vcc
	s_cbranch_execz .LBB894_215
; %bb.210:
	s_movk_i32 s10, 0x80
	v_cmp_ne_u16_e32 vcc, s10, v42
	v_mov_b32_e32 v43, 0xffff8000
	s_and_saveexec_b64 s[10:11], vcc
	s_cbranch_execz .LBB894_214
; %bb.211:
	s_movk_i32 s12, 0x7f
	v_and_b32_e32 v45, 0x7f, v42
	v_cmp_ne_u32_e32 vcc, s12, v45
	v_mov_b32_e32 v43, 0x7f80
	s_and_saveexec_b64 s[12:13], vcc
	s_cbranch_execz .LBB894_213
; %bb.212:
	v_and_b32_e32 v51, 7, v42
	v_ffbh_u32_e32 v43, v51
	v_min_u32_e32 v53, 32, v43
	v_subrev_u32_e32 v43, 28, v53
	v_lshlrev_b64 v[42:43], v43, v[42:43]
	v_lshrrev_b32_e32 v52, 3, v45
	v_sub_u32_e32 v43, 29, v53
	v_and_b32_e32 v42, 7, v42
	v_cmp_gt_u32_e32 vcc, 8, v45
	v_cndmask_b32_e32 v43, v52, v43, vcc
	v_cndmask_b32_e32 v42, v51, v42, vcc
	v_lshlrev_b32_e32 v45, 16, v34
	v_bfrev_b32_e32 v51, 60
	v_lshlrev_b32_e32 v42, 20, v42
	v_and_b32_e32 v45, 0x80000000, v45
	v_lshl_add_u32 v43, v43, 23, v51
	v_or3_b32 v42, v45, v43, v42
	v_lshrrev_b32_e32 v43, 16, v42
.LBB894_213:
	s_or_b64 exec, exec, s[12:13]
.LBB894_214:
	s_or_b64 exec, exec, s[10:11]
.LBB894_215:
	s_or_b64 exec, exec, s[2:3]
	s_movk_i32 s2, 0xff
	v_and_b32_sdwa v52, v34, s2 dst_sel:DWORD dst_unused:UNUSED_PAD src0_sel:WORD_1 src1_sel:DWORD
	v_lshrrev_b32_e32 v42, 16, v34
	v_cmp_ne_u16_e32 vcc, 0, v52
	v_mov_b32_e32 v45, 0
	v_mov_b32_e32 v51, 0
	s_and_saveexec_b64 s[2:3], vcc
	s_cbranch_execz .LBB894_221
; %bb.216:
	s_movk_i32 s10, 0x80
	v_cmp_ne_u16_e32 vcc, s10, v52
	v_mov_b32_e32 v51, 0xffff8000
	s_and_saveexec_b64 s[10:11], vcc
	s_cbranch_execz .LBB894_220
; %bb.217:
	v_bfe_u32 v52, v34, 16, 7
	s_movk_i32 s12, 0x7f
	v_cmp_ne_u32_e32 vcc, s12, v52
	v_mov_b32_e32 v51, 0x7f80
	s_and_saveexec_b64 s[12:13], vcc
	s_cbranch_execz .LBB894_219
; %bb.218:
	v_and_b32_e32 v51, 7, v42
	v_ffbh_u32_e32 v54, v51
	v_min_u32_e32 v56, 32, v54
	v_subrev_u32_e32 v54, 28, v56
	v_lshlrev_b64 v[54:55], v54, v[42:43]
	v_lshrrev_b32_e32 v53, 3, v52
	v_sub_u32_e32 v42, 29, v56
	v_and_b32_e32 v54, 7, v54
	v_cmp_gt_u32_e32 vcc, 8, v52
	v_mov_b32_e32 v52, 24
	v_cndmask_b32_e32 v42, v53, v42, vcc
	v_cndmask_b32_e32 v51, v51, v54, vcc
	v_lshlrev_b32_sdwa v52, v52, v34 dst_sel:DWORD dst_unused:UNUSED_PAD src0_sel:DWORD src1_sel:WORD_1
	v_bfrev_b32_e32 v53, 60
	v_lshlrev_b32_e32 v51, 20, v51
	v_and_b32_e32 v52, 0x80000000, v52
	v_lshl_add_u32 v42, v42, 23, v53
	v_or3_b32 v42, v52, v42, v51
	v_lshrrev_b32_e32 v51, 16, v42
.LBB894_219:
	s_or_b64 exec, exec, s[12:13]
.LBB894_220:
	s_or_b64 exec, exec, s[10:11]
.LBB894_221:
	s_or_b64 exec, exec, s[2:3]
	s_mov_b32 s2, 0xffffff
	v_cmp_lt_u32_e32 vcc, s2, v34
	s_and_saveexec_b64 s[2:3], vcc
	s_cbranch_execz .LBB894_227
; %bb.222:
	v_lshrrev_b32_e32 v42, 24, v34
	s_movk_i32 s10, 0x80
	v_cmp_ne_u32_e32 vcc, s10, v42
	v_mov_b32_e32 v45, 0xffff8000
	s_and_saveexec_b64 s[10:11], vcc
	s_cbranch_execz .LBB894_226
; %bb.223:
	v_bfe_u32 v34, v34, 24, 7
	s_movk_i32 s12, 0x7f
	v_cmp_ne_u32_e32 vcc, s12, v34
	v_mov_b32_e32 v45, 0x7f80
	s_and_saveexec_b64 s[12:13], vcc
	s_cbranch_execz .LBB894_225
; %bb.224:
	v_and_b32_e32 v45, 7, v42
	v_ffbh_u32_e32 v52, v45
	v_min_u32_e32 v55, 32, v52
	v_subrev_u32_e32 v52, 28, v55
	v_lshlrev_b64 v[52:53], v52, v[42:43]
	v_lshrrev_b32_e32 v54, 3, v34
	v_sub_u32_e32 v53, 29, v55
	v_and_b32_e32 v52, 7, v52
	v_cmp_gt_u32_e32 vcc, 8, v34
	v_cndmask_b32_e32 v34, v54, v53, vcc
	v_cndmask_b32_e32 v45, v45, v52, vcc
	v_lshlrev_b32_e32 v42, 24, v42
	v_bfrev_b32_e32 v52, 60
	v_lshlrev_b32_e32 v45, 20, v45
	v_and_b32_e32 v42, 0x80000000, v42
	v_lshl_add_u32 v34, v34, 23, v52
	v_or3_b32 v34, v42, v34, v45
	v_lshrrev_b32_e32 v45, 16, v34
.LBB894_225:
	s_or_b64 exec, exec, s[12:13]
.LBB894_226:
	s_or_b64 exec, exec, s[10:11]
.LBB894_227:
	s_or_b64 exec, exec, s[2:3]
	v_mov_b32_e32 v42, 0
	v_cmp_ne_u16_sdwa s[10:11], v35, v42 src0_sel:BYTE_0 src1_sel:DWORD
	v_mov_b32_e32 v52, 0
	s_and_saveexec_b64 s[2:3], s[10:11]
	s_cbranch_execz .LBB894_233
; %bb.228:
	s_movk_i32 s10, 0x80
	v_cmp_ne_u16_sdwa s[12:13], v35, s10 src0_sel:BYTE_0 src1_sel:DWORD
	v_mov_b32_e32 v52, 0xffff8000
	s_and_saveexec_b64 s[10:11], s[12:13]
	s_cbranch_execz .LBB894_232
; %bb.229:
	s_movk_i32 s12, 0x7f
	v_and_b32_e32 v34, 0x7f, v35
	v_cmp_ne_u32_e32 vcc, s12, v34
	v_mov_b32_e32 v52, 0x7f80
	s_and_saveexec_b64 s[12:13], vcc
	s_cbranch_execz .LBB894_231
; %bb.230:
	v_and_b32_e32 v54, 7, v35
	v_ffbh_u32_e32 v53, v54
	v_min_u32_e32 v56, 32, v53
	v_mov_b32_e32 v52, v35
	v_subrev_u32_e32 v53, 28, v56
	v_lshlrev_b64 v[52:53], v53, v[52:53]
	v_lshrrev_b32_e32 v55, 3, v34
	v_sub_u32_e32 v53, 29, v56
	v_and_b32_e32 v52, 7, v52
	v_cmp_gt_u32_e32 vcc, 8, v34
	v_cndmask_b32_e32 v34, v55, v53, vcc
	v_cndmask_b32_e32 v52, v54, v52, vcc
	v_lshlrev_b32_e32 v53, 24, v35
	v_bfrev_b32_e32 v54, 60
	v_lshlrev_b32_e32 v52, 20, v52
	v_and_b32_e32 v53, 0x80000000, v53
	v_lshl_add_u32 v34, v34, 23, v54
	v_or3_b32 v34, v53, v34, v52
	v_lshrrev_b32_e32 v52, 16, v34
.LBB894_231:
	s_or_b64 exec, exec, s[12:13]
.LBB894_232:
	s_or_b64 exec, exec, s[10:11]
.LBB894_233:
	s_or_b64 exec, exec, s[2:3]
	v_lshrrev_b16_e32 v34, 8, v35
	v_cmp_ne_u16_e32 vcc, 0, v34
	s_and_saveexec_b64 s[2:3], vcc
	s_cbranch_execz .LBB894_239
; %bb.234:
	s_movk_i32 s10, 0x80
	v_cmp_ne_u16_e32 vcc, s10, v34
	v_mov_b32_e32 v42, 0xffff8000
	s_and_saveexec_b64 s[10:11], vcc
	s_cbranch_execz .LBB894_238
; %bb.235:
	s_movk_i32 s12, 0x7f
	v_and_b32_e32 v53, 0x7f, v34
	v_cmp_ne_u32_e32 vcc, s12, v53
	v_mov_b32_e32 v42, 0x7f80
	s_and_saveexec_b64 s[12:13], vcc
	s_cbranch_execz .LBB894_237
; %bb.236:
	v_and_b32_e32 v42, 7, v34
	v_ffbh_u32_e32 v54, v42
	v_min_u32_e32 v57, 32, v54
	v_subrev_u32_e32 v54, 28, v57
	v_lshlrev_b64 v[54:55], v54, v[34:35]
	v_lshrrev_b32_e32 v56, 3, v53
	v_sub_u32_e32 v34, 29, v57
	v_and_b32_e32 v54, 7, v54
	v_cmp_gt_u32_e32 vcc, 8, v53
	v_cndmask_b32_e32 v34, v56, v34, vcc
	v_cndmask_b32_e32 v42, v42, v54, vcc
	v_lshlrev_b32_e32 v53, 16, v35
	v_bfrev_b32_e32 v54, 60
	v_lshlrev_b32_e32 v42, 20, v42
	v_and_b32_e32 v53, 0x80000000, v53
	v_lshl_add_u32 v34, v34, 23, v54
	v_or3_b32 v34, v53, v34, v42
	v_lshrrev_b32_e32 v42, 16, v34
.LBB894_237:
	s_or_b64 exec, exec, s[12:13]
.LBB894_238:
	s_or_b64 exec, exec, s[10:11]
.LBB894_239:
	s_or_b64 exec, exec, s[2:3]
	s_movk_i32 s2, 0xff
	v_and_b32_sdwa v55, v35, s2 dst_sel:DWORD dst_unused:UNUSED_PAD src0_sel:WORD_1 src1_sel:DWORD
	v_lshrrev_b32_e32 v34, 16, v35
	v_cmp_ne_u16_e32 vcc, 0, v55
	v_mov_b32_e32 v53, 0
	v_mov_b32_e32 v54, 0
	s_and_saveexec_b64 s[2:3], vcc
	s_cbranch_execz .LBB894_245
; %bb.240:
	s_movk_i32 s10, 0x80
	v_cmp_ne_u16_e32 vcc, s10, v55
	v_mov_b32_e32 v54, 0xffff8000
	s_and_saveexec_b64 s[10:11], vcc
	s_cbranch_execz .LBB894_244
; %bb.241:
	v_bfe_u32 v55, v35, 16, 7
	s_movk_i32 s12, 0x7f
	v_cmp_ne_u32_e32 vcc, s12, v55
	v_mov_b32_e32 v54, 0x7f80
	s_and_saveexec_b64 s[12:13], vcc
	s_cbranch_execz .LBB894_243
; %bb.242:
	v_and_b32_e32 v54, 7, v34
	v_ffbh_u32_e32 v56, v54
	v_min_u32_e32 v59, 32, v56
	v_subrev_u32_e32 v56, 28, v59
	v_lshlrev_b64 v[56:57], v56, v[34:35]
	v_lshrrev_b32_e32 v58, 3, v55
	v_sub_u32_e32 v34, 29, v59
	v_and_b32_e32 v56, 7, v56
	v_cmp_gt_u32_e32 vcc, 8, v55
	v_mov_b32_e32 v55, 24
	v_cndmask_b32_e32 v34, v58, v34, vcc
	v_cndmask_b32_e32 v54, v54, v56, vcc
	v_lshlrev_b32_sdwa v55, v55, v35 dst_sel:DWORD dst_unused:UNUSED_PAD src0_sel:DWORD src1_sel:WORD_1
	v_bfrev_b32_e32 v56, 60
	v_lshlrev_b32_e32 v54, 20, v54
	v_and_b32_e32 v55, 0x80000000, v55
	v_lshl_add_u32 v34, v34, 23, v56
	v_or3_b32 v34, v55, v34, v54
	v_lshrrev_b32_e32 v54, 16, v34
.LBB894_243:
	s_or_b64 exec, exec, s[12:13]
.LBB894_244:
	s_or_b64 exec, exec, s[10:11]
.LBB894_245:
	s_or_b64 exec, exec, s[2:3]
	s_mov_b32 s2, 0xffffff
	v_cmp_lt_u32_e32 vcc, s2, v35
	s_and_saveexec_b64 s[2:3], vcc
	s_cbranch_execz .LBB894_251
; %bb.246:
	v_lshrrev_b32_e32 v34, 24, v35
	s_movk_i32 s10, 0x80
	v_cmp_ne_u32_e32 vcc, s10, v34
	v_mov_b32_e32 v53, 0xffff8000
	s_and_saveexec_b64 s[10:11], vcc
	s_cbranch_execz .LBB894_250
; %bb.247:
	v_bfe_u32 v35, v35, 24, 7
	s_movk_i32 s12, 0x7f
	v_cmp_ne_u32_e32 vcc, s12, v35
	v_mov_b32_e32 v53, 0x7f80
	s_and_saveexec_b64 s[12:13], vcc
	s_cbranch_execz .LBB894_249
; %bb.248:
	v_and_b32_e32 v53, 7, v34
	v_ffbh_u32_e32 v56, v53
	v_min_u32_e32 v58, 32, v56
	v_subrev_u32_e32 v56, 28, v58
	v_lshlrev_b64 v[56:57], v56, v[34:35]
	v_lshrrev_b32_e32 v55, 3, v35
	v_sub_u32_e32 v57, 29, v58
	v_and_b32_e32 v56, 7, v56
	v_cmp_gt_u32_e32 vcc, 8, v35
	v_cndmask_b32_e32 v35, v55, v57, vcc
	v_cndmask_b32_e32 v53, v53, v56, vcc
	v_lshlrev_b32_e32 v34, 24, v34
	v_bfrev_b32_e32 v55, 60
	v_lshlrev_b32_e32 v53, 20, v53
	v_and_b32_e32 v34, 0x80000000, v34
	v_lshl_add_u32 v35, v35, 23, v55
	v_or3_b32 v34, v34, v35, v53
	v_lshrrev_b32_e32 v53, 16, v34
.LBB894_249:
	s_or_b64 exec, exec, s[12:13]
.LBB894_250:
	s_or_b64 exec, exec, s[10:11]
.LBB894_251:
	s_or_b64 exec, exec, s[2:3]
	s_mov_b32 s2, 0x5040100
	v_perm_b32 v35, v45, v51, s2
	v_perm_b32 v34, v43, v44, s2
	;; [unrolled: 1-line block ×4, first 2 shown]
	v_mov_b32_e32 v51, 0
	v_mfma_f32_16x16x16bf16_1k v[56:59], v[34:35], v[26:27], 0
	v_mov_b32_e32 v35, 0
	v_cmp_ne_u16_sdwa s[10:11], v36, v35 src0_sel:BYTE_0 src1_sel:DWORD
	v_mfma_f32_16x16x16bf16_1k v[42:45], v[42:43], v[28:29], v[56:59]
	s_and_saveexec_b64 s[2:3], s[10:11]
	s_cbranch_execz .LBB894_257
; %bb.252:
	s_movk_i32 s10, 0x80
	v_cmp_ne_u16_sdwa s[12:13], v36, s10 src0_sel:BYTE_0 src1_sel:DWORD
	v_mov_b32_e32 v51, 0xffff8000
	s_and_saveexec_b64 s[10:11], s[12:13]
	s_cbranch_execz .LBB894_256
; %bb.253:
	s_movk_i32 s12, 0x7f
	v_and_b32_e32 v34, 0x7f, v36
	v_cmp_ne_u32_e32 vcc, s12, v34
	v_mov_b32_e32 v51, 0x7f80
	s_and_saveexec_b64 s[12:13], vcc
	s_cbranch_execz .LBB894_255
; %bb.254:
	v_and_b32_e32 v51, 7, v36
	v_ffbh_u32_e32 v52, v51
	v_min_u32_e32 v55, 32, v52
	v_subrev_u32_e32 v52, 28, v55
	v_lshlrev_b64 v[52:53], v52, v[36:37]
	v_lshrrev_b32_e32 v54, 3, v34
	v_sub_u32_e32 v53, 29, v55
	v_and_b32_e32 v52, 7, v52
	v_cmp_gt_u32_e32 vcc, 8, v34
	v_cndmask_b32_e32 v34, v54, v53, vcc
	v_cndmask_b32_e32 v51, v51, v52, vcc
	v_lshlrev_b32_e32 v52, 24, v36
	v_bfrev_b32_e32 v53, 60
	v_lshlrev_b32_e32 v51, 20, v51
	v_and_b32_e32 v52, 0x80000000, v52
	v_lshl_add_u32 v34, v34, 23, v53
	v_or3_b32 v34, v52, v34, v51
	v_lshrrev_b32_e32 v51, 16, v34
.LBB894_255:
	s_or_b64 exec, exec, s[12:13]
.LBB894_256:
	s_or_b64 exec, exec, s[10:11]
.LBB894_257:
	s_or_b64 exec, exec, s[2:3]
	v_lshrrev_b16_e32 v34, 8, v36
	v_cmp_ne_u16_e32 vcc, 0, v34
	s_and_saveexec_b64 s[2:3], vcc
	s_cbranch_execz .LBB894_263
; %bb.258:
	s_movk_i32 s10, 0x80
	v_cmp_ne_u16_e32 vcc, s10, v34
	v_mov_b32_e32 v35, 0xffff8000
	s_and_saveexec_b64 s[10:11], vcc
	s_cbranch_execz .LBB894_262
; %bb.259:
	s_movk_i32 s12, 0x7f
	v_and_b32_e32 v52, 0x7f, v34
	v_cmp_ne_u32_e32 vcc, s12, v52
	v_mov_b32_e32 v35, 0x7f80
	s_and_saveexec_b64 s[12:13], vcc
	s_cbranch_execz .LBB894_261
; %bb.260:
	v_and_b32_e32 v53, 7, v34
	v_ffbh_u32_e32 v35, v53
	v_min_u32_e32 v55, 32, v35
	v_subrev_u32_e32 v35, 28, v55
	v_lshlrev_b64 v[34:35], v35, v[34:35]
	v_lshrrev_b32_e32 v54, 3, v52
	v_sub_u32_e32 v35, 29, v55
	v_and_b32_e32 v34, 7, v34
	v_cmp_gt_u32_e32 vcc, 8, v52
	v_cndmask_b32_e32 v35, v54, v35, vcc
	v_cndmask_b32_e32 v34, v53, v34, vcc
	v_lshlrev_b32_e32 v52, 16, v36
	v_bfrev_b32_e32 v53, 60
	v_lshlrev_b32_e32 v34, 20, v34
	v_and_b32_e32 v52, 0x80000000, v52
	v_lshl_add_u32 v35, v35, 23, v53
	v_or3_b32 v34, v52, v35, v34
	v_lshrrev_b32_e32 v35, 16, v34
.LBB894_261:
	s_or_b64 exec, exec, s[12:13]
.LBB894_262:
	s_or_b64 exec, exec, s[10:11]
.LBB894_263:
	s_or_b64 exec, exec, s[2:3]
	s_movk_i32 s2, 0xff
	v_and_b32_sdwa v54, v36, s2 dst_sel:DWORD dst_unused:UNUSED_PAD src0_sel:WORD_1 src1_sel:DWORD
	v_lshrrev_b32_e32 v34, 16, v36
	v_cmp_ne_u16_e32 vcc, 0, v54
	v_mov_b32_e32 v52, 0
	v_mov_b32_e32 v53, 0
	s_and_saveexec_b64 s[2:3], vcc
	s_cbranch_execz .LBB894_269
; %bb.264:
	s_movk_i32 s10, 0x80
	v_cmp_ne_u16_e32 vcc, s10, v54
	v_mov_b32_e32 v53, 0xffff8000
	s_and_saveexec_b64 s[10:11], vcc
	s_cbranch_execz .LBB894_268
; %bb.265:
	v_bfe_u32 v54, v36, 16, 7
	s_movk_i32 s12, 0x7f
	v_cmp_ne_u32_e32 vcc, s12, v54
	v_mov_b32_e32 v53, 0x7f80
	s_and_saveexec_b64 s[12:13], vcc
	s_cbranch_execz .LBB894_267
; %bb.266:
	v_and_b32_e32 v53, 7, v34
	v_ffbh_u32_e32 v56, v53
	v_min_u32_e32 v58, 32, v56
	v_subrev_u32_e32 v56, 28, v58
	v_lshlrev_b64 v[56:57], v56, v[34:35]
	v_lshrrev_b32_e32 v55, 3, v54
	v_sub_u32_e32 v34, 29, v58
	v_and_b32_e32 v56, 7, v56
	v_cmp_gt_u32_e32 vcc, 8, v54
	v_mov_b32_e32 v54, 24
	v_cndmask_b32_e32 v34, v55, v34, vcc
	v_cndmask_b32_e32 v53, v53, v56, vcc
	v_lshlrev_b32_sdwa v54, v54, v36 dst_sel:DWORD dst_unused:UNUSED_PAD src0_sel:DWORD src1_sel:WORD_1
	v_bfrev_b32_e32 v55, 60
	v_lshlrev_b32_e32 v53, 20, v53
	v_and_b32_e32 v54, 0x80000000, v54
	v_lshl_add_u32 v34, v34, 23, v55
	v_or3_b32 v34, v54, v34, v53
	v_lshrrev_b32_e32 v53, 16, v34
.LBB894_267:
	s_or_b64 exec, exec, s[12:13]
.LBB894_268:
	s_or_b64 exec, exec, s[10:11]
.LBB894_269:
	s_or_b64 exec, exec, s[2:3]
	s_mov_b32 s2, 0xffffff
	v_cmp_lt_u32_e32 vcc, s2, v36
	s_and_saveexec_b64 s[2:3], vcc
	s_cbranch_execz .LBB894_275
; %bb.270:
	v_lshrrev_b32_e32 v34, 24, v36
	s_movk_i32 s10, 0x80
	v_cmp_ne_u32_e32 vcc, s10, v34
	v_mov_b32_e32 v52, 0xffff8000
	s_and_saveexec_b64 s[10:11], vcc
	s_cbranch_execz .LBB894_274
; %bb.271:
	v_bfe_u32 v36, v36, 24, 7
	s_movk_i32 s12, 0x7f
	v_cmp_ne_u32_e32 vcc, s12, v36
	v_mov_b32_e32 v52, 0x7f80
	s_and_saveexec_b64 s[12:13], vcc
	s_cbranch_execz .LBB894_273
; %bb.272:
	v_and_b32_e32 v52, 7, v34
	v_ffbh_u32_e32 v54, v52
	v_min_u32_e32 v57, 32, v54
	v_subrev_u32_e32 v54, 28, v57
	v_lshlrev_b64 v[54:55], v54, v[34:35]
	v_lshrrev_b32_e32 v56, 3, v36
	v_sub_u32_e32 v55, 29, v57
	v_and_b32_e32 v54, 7, v54
	v_cmp_gt_u32_e32 vcc, 8, v36
	v_cndmask_b32_e32 v36, v56, v55, vcc
	v_cndmask_b32_e32 v52, v52, v54, vcc
	v_lshlrev_b32_e32 v34, 24, v34
	v_bfrev_b32_e32 v54, 60
	v_lshlrev_b32_e32 v52, 20, v52
	v_and_b32_e32 v34, 0x80000000, v34
	v_lshl_add_u32 v36, v36, 23, v54
	v_or3_b32 v34, v34, v36, v52
	v_lshrrev_b32_e32 v52, 16, v34
.LBB894_273:
	s_or_b64 exec, exec, s[12:13]
.LBB894_274:
	s_or_b64 exec, exec, s[10:11]
.LBB894_275:
	s_or_b64 exec, exec, s[2:3]
	v_mov_b32_e32 v36, 0
	v_cmp_ne_u16_sdwa s[10:11], v37, v36 src0_sel:BYTE_0 src1_sel:DWORD
	v_mov_b32_e32 v54, 0
	s_and_saveexec_b64 s[2:3], s[10:11]
	s_cbranch_execz .LBB894_281
; %bb.276:
	s_movk_i32 s10, 0x80
	v_cmp_ne_u16_sdwa s[12:13], v37, s10 src0_sel:BYTE_0 src1_sel:DWORD
	v_mov_b32_e32 v54, 0xffff8000
	s_and_saveexec_b64 s[10:11], s[12:13]
	s_cbranch_execz .LBB894_280
; %bb.277:
	s_movk_i32 s12, 0x7f
	v_and_b32_e32 v34, 0x7f, v37
	v_cmp_ne_u32_e32 vcc, s12, v34
	v_mov_b32_e32 v54, 0x7f80
	s_and_saveexec_b64 s[12:13], vcc
	s_cbranch_execz .LBB894_279
; %bb.278:
	v_and_b32_e32 v56, 7, v37
	v_ffbh_u32_e32 v55, v56
	v_min_u32_e32 v58, 32, v55
	v_mov_b32_e32 v54, v37
	v_subrev_u32_e32 v55, 28, v58
	v_lshlrev_b64 v[54:55], v55, v[54:55]
	v_lshrrev_b32_e32 v57, 3, v34
	v_sub_u32_e32 v55, 29, v58
	v_and_b32_e32 v54, 7, v54
	v_cmp_gt_u32_e32 vcc, 8, v34
	v_cndmask_b32_e32 v34, v57, v55, vcc
	v_cndmask_b32_e32 v54, v56, v54, vcc
	v_lshlrev_b32_e32 v55, 24, v37
	v_bfrev_b32_e32 v56, 60
	v_lshlrev_b32_e32 v54, 20, v54
	v_and_b32_e32 v55, 0x80000000, v55
	v_lshl_add_u32 v34, v34, 23, v56
	v_or3_b32 v34, v55, v34, v54
	v_lshrrev_b32_e32 v54, 16, v34
.LBB894_279:
	s_or_b64 exec, exec, s[12:13]
.LBB894_280:
	s_or_b64 exec, exec, s[10:11]
.LBB894_281:
	s_or_b64 exec, exec, s[2:3]
	v_lshrrev_b16_e32 v34, 8, v37
	v_cmp_ne_u16_e32 vcc, 0, v34
	s_and_saveexec_b64 s[2:3], vcc
	s_cbranch_execz .LBB894_287
; %bb.282:
	s_movk_i32 s10, 0x80
	v_cmp_ne_u16_e32 vcc, s10, v34
	v_mov_b32_e32 v36, 0xffff8000
	s_and_saveexec_b64 s[10:11], vcc
	s_cbranch_execz .LBB894_286
; %bb.283:
	s_movk_i32 s12, 0x7f
	v_and_b32_e32 v55, 0x7f, v34
	v_cmp_ne_u32_e32 vcc, s12, v55
	v_mov_b32_e32 v36, 0x7f80
	s_and_saveexec_b64 s[12:13], vcc
	s_cbranch_execz .LBB894_285
; %bb.284:
	v_and_b32_e32 v36, 7, v34
	v_ffbh_u32_e32 v56, v36
	v_min_u32_e32 v59, 32, v56
	v_subrev_u32_e32 v56, 28, v59
	v_lshlrev_b64 v[56:57], v56, v[34:35]
	v_lshrrev_b32_e32 v58, 3, v55
	v_sub_u32_e32 v34, 29, v59
	v_and_b32_e32 v56, 7, v56
	v_cmp_gt_u32_e32 vcc, 8, v55
	v_cndmask_b32_e32 v34, v58, v34, vcc
	v_cndmask_b32_e32 v36, v36, v56, vcc
	v_lshlrev_b32_e32 v55, 16, v37
	v_bfrev_b32_e32 v56, 60
	v_lshlrev_b32_e32 v36, 20, v36
	v_and_b32_e32 v55, 0x80000000, v55
	v_lshl_add_u32 v34, v34, 23, v56
	v_or3_b32 v34, v55, v34, v36
	v_lshrrev_b32_e32 v36, 16, v34
.LBB894_285:
	s_or_b64 exec, exec, s[12:13]
.LBB894_286:
	s_or_b64 exec, exec, s[10:11]
.LBB894_287:
	s_or_b64 exec, exec, s[2:3]
	s_movk_i32 s2, 0xff
	v_and_b32_sdwa v57, v37, s2 dst_sel:DWORD dst_unused:UNUSED_PAD src0_sel:WORD_1 src1_sel:DWORD
	v_lshrrev_b32_e32 v34, 16, v37
	v_cmp_ne_u16_e32 vcc, 0, v57
	v_mov_b32_e32 v55, 0
	v_mov_b32_e32 v56, 0
	s_and_saveexec_b64 s[2:3], vcc
	s_cbranch_execz .LBB894_293
; %bb.288:
	s_movk_i32 s10, 0x80
	v_cmp_ne_u16_e32 vcc, s10, v57
	v_mov_b32_e32 v56, 0xffff8000
	s_and_saveexec_b64 s[10:11], vcc
	s_cbranch_execz .LBB894_292
; %bb.289:
	v_bfe_u32 v57, v37, 16, 7
	s_movk_i32 s12, 0x7f
	v_cmp_ne_u32_e32 vcc, s12, v57
	v_mov_b32_e32 v56, 0x7f80
	s_and_saveexec_b64 s[12:13], vcc
	s_cbranch_execz .LBB894_291
; %bb.290:
	v_and_b32_e32 v56, 7, v34
	v_ffbh_u32_e32 v58, v56
	v_min_u32_e32 v61, 32, v58
	v_subrev_u32_e32 v58, 28, v61
	v_lshlrev_b64 v[58:59], v58, v[34:35]
	v_lshrrev_b32_e32 v60, 3, v57
	v_sub_u32_e32 v34, 29, v61
	v_and_b32_e32 v58, 7, v58
	v_cmp_gt_u32_e32 vcc, 8, v57
	v_mov_b32_e32 v57, 24
	v_cndmask_b32_e32 v34, v60, v34, vcc
	v_cndmask_b32_e32 v56, v56, v58, vcc
	v_lshlrev_b32_sdwa v57, v57, v37 dst_sel:DWORD dst_unused:UNUSED_PAD src0_sel:DWORD src1_sel:WORD_1
	v_bfrev_b32_e32 v58, 60
	v_lshlrev_b32_e32 v56, 20, v56
	v_and_b32_e32 v57, 0x80000000, v57
	v_lshl_add_u32 v34, v34, 23, v58
	v_or3_b32 v34, v57, v34, v56
	v_lshrrev_b32_e32 v56, 16, v34
.LBB894_291:
	s_or_b64 exec, exec, s[12:13]
.LBB894_292:
	s_or_b64 exec, exec, s[10:11]
.LBB894_293:
	s_or_b64 exec, exec, s[2:3]
	s_mov_b32 s2, 0xffffff
	v_cmp_lt_u32_e32 vcc, s2, v37
	s_and_saveexec_b64 s[2:3], vcc
	s_cbranch_execz .LBB894_299
; %bb.294:
	v_lshrrev_b32_e32 v34, 24, v37
	s_movk_i32 s10, 0x80
	v_cmp_ne_u32_e32 vcc, s10, v34
	v_mov_b32_e32 v55, 0xffff8000
	s_and_saveexec_b64 s[10:11], vcc
	s_cbranch_execz .LBB894_298
; %bb.295:
	v_bfe_u32 v37, v37, 24, 7
	s_movk_i32 s12, 0x7f
	v_cmp_ne_u32_e32 vcc, s12, v37
	v_mov_b32_e32 v55, 0x7f80
	s_and_saveexec_b64 s[12:13], vcc
	s_cbranch_execz .LBB894_297
; %bb.296:
	v_and_b32_e32 v55, 7, v34
	v_ffbh_u32_e32 v58, v55
	v_min_u32_e32 v60, 32, v58
	v_subrev_u32_e32 v58, 28, v60
	v_lshlrev_b64 v[58:59], v58, v[34:35]
	v_lshrrev_b32_e32 v57, 3, v37
	v_sub_u32_e32 v59, 29, v60
	v_and_b32_e32 v58, 7, v58
	v_cmp_gt_u32_e32 vcc, 8, v37
	v_cndmask_b32_e32 v37, v57, v59, vcc
	v_cndmask_b32_e32 v55, v55, v58, vcc
	v_lshlrev_b32_e32 v34, 24, v34
	v_bfrev_b32_e32 v57, 60
	v_lshlrev_b32_e32 v55, 20, v55
	v_and_b32_e32 v34, 0x80000000, v34
	v_lshl_add_u32 v37, v37, 23, v57
	v_or3_b32 v34, v34, v37, v55
	v_lshrrev_b32_e32 v55, 16, v34
.LBB894_297:
	s_or_b64 exec, exec, s[12:13]
.LBB894_298:
	s_or_b64 exec, exec, s[10:11]
.LBB894_299:
	s_or_b64 exec, exec, s[2:3]
	s_mov_b32 s2, 0x5040100
	v_perm_b32 v53, v52, v53, s2
	v_perm_b32 v52, v35, v51, s2
	;; [unrolled: 1-line block ×4, first 2 shown]
	v_mfma_f32_16x16x16bf16_1k v[58:61], v[52:53], v[18:19], v[42:45]
	s_nop 6
	v_mov_b32_e32 v43, 0
	s_waitcnt vmcnt(4)
	v_cmp_ne_u16_sdwa s[10:11], v22, v43 src0_sel:BYTE_0 src1_sel:DWORD
	v_mfma_f32_16x16x16bf16_1k v[34:37], v[34:35], v[20:21], v[58:61]
	v_mov_b32_e32 v44, 0
	s_and_saveexec_b64 s[2:3], s[10:11]
	s_cbranch_execz .LBB894_305
; %bb.300:
	s_movk_i32 s10, 0x80
	v_cmp_ne_u16_sdwa s[12:13], v22, s10 src0_sel:BYTE_0 src1_sel:DWORD
	v_mov_b32_e32 v44, 0xffff8000
	s_and_saveexec_b64 s[10:11], s[12:13]
	s_cbranch_execz .LBB894_304
; %bb.301:
	s_movk_i32 s12, 0x7f
	v_and_b32_e32 v42, 0x7f, v22
	v_cmp_ne_u32_e32 vcc, s12, v42
	v_mov_b32_e32 v44, 0x7f80
	s_and_saveexec_b64 s[12:13], vcc
	s_cbranch_execz .LBB894_303
; %bb.302:
	v_and_b32_e32 v51, 7, v22
	v_ffbh_u32_e32 v44, v51
	v_min_u32_e32 v53, 32, v44
	v_subrev_u32_e32 v44, 28, v53
	v_lshlrev_b64 v[44:45], v44, v[22:23]
	v_lshrrev_b32_e32 v52, 3, v42
	v_sub_u32_e32 v45, 29, v53
	v_and_b32_e32 v44, 7, v44
	v_cmp_gt_u32_e32 vcc, 8, v42
	v_cndmask_b32_e32 v42, v52, v45, vcc
	v_cndmask_b32_e32 v44, v51, v44, vcc
	v_lshlrev_b32_e32 v45, 24, v22
	v_bfrev_b32_e32 v51, 60
	v_lshlrev_b32_e32 v44, 20, v44
	v_and_b32_e32 v45, 0x80000000, v45
	v_lshl_add_u32 v42, v42, 23, v51
	v_or3_b32 v42, v45, v42, v44
	v_lshrrev_b32_e32 v44, 16, v42
.LBB894_303:
	s_or_b64 exec, exec, s[12:13]
.LBB894_304:
	s_or_b64 exec, exec, s[10:11]
.LBB894_305:
	s_or_b64 exec, exec, s[2:3]
	v_lshrrev_b16_e32 v42, 8, v22
	v_cmp_ne_u16_e32 vcc, 0, v42
	s_and_saveexec_b64 s[2:3], vcc
	s_cbranch_execz .LBB894_311
; %bb.306:
	s_movk_i32 s10, 0x80
	v_cmp_ne_u16_e32 vcc, s10, v42
	v_mov_b32_e32 v43, 0xffff8000
	s_and_saveexec_b64 s[10:11], vcc
	s_cbranch_execz .LBB894_310
; %bb.307:
	s_movk_i32 s12, 0x7f
	v_and_b32_e32 v45, 0x7f, v42
	v_cmp_ne_u32_e32 vcc, s12, v45
	v_mov_b32_e32 v43, 0x7f80
	s_and_saveexec_b64 s[12:13], vcc
	s_cbranch_execz .LBB894_309
; %bb.308:
	v_and_b32_e32 v51, 7, v42
	v_ffbh_u32_e32 v43, v51
	v_min_u32_e32 v53, 32, v43
	v_subrev_u32_e32 v43, 28, v53
	v_lshlrev_b64 v[42:43], v43, v[42:43]
	v_lshrrev_b32_e32 v52, 3, v45
	v_sub_u32_e32 v43, 29, v53
	v_and_b32_e32 v42, 7, v42
	v_cmp_gt_u32_e32 vcc, 8, v45
	v_cndmask_b32_e32 v43, v52, v43, vcc
	v_cndmask_b32_e32 v42, v51, v42, vcc
	v_lshlrev_b32_e32 v45, 16, v22
	v_bfrev_b32_e32 v51, 60
	v_lshlrev_b32_e32 v42, 20, v42
	v_and_b32_e32 v45, 0x80000000, v45
	v_lshl_add_u32 v43, v43, 23, v51
	v_or3_b32 v42, v45, v43, v42
	v_lshrrev_b32_e32 v43, 16, v42
.LBB894_309:
	s_or_b64 exec, exec, s[12:13]
.LBB894_310:
	s_or_b64 exec, exec, s[10:11]
.LBB894_311:
	s_or_b64 exec, exec, s[2:3]
	s_movk_i32 s2, 0xff
	v_and_b32_sdwa v52, v22, s2 dst_sel:DWORD dst_unused:UNUSED_PAD src0_sel:WORD_1 src1_sel:DWORD
	v_lshrrev_b32_e32 v42, 16, v22
	v_cmp_ne_u16_e32 vcc, 0, v52
	v_mov_b32_e32 v45, 0
	v_mov_b32_e32 v51, 0
	s_and_saveexec_b64 s[2:3], vcc
	s_cbranch_execz .LBB894_317
; %bb.312:
	s_movk_i32 s10, 0x80
	v_cmp_ne_u16_e32 vcc, s10, v52
	v_mov_b32_e32 v51, 0xffff8000
	s_and_saveexec_b64 s[10:11], vcc
	s_cbranch_execz .LBB894_316
; %bb.313:
	v_bfe_u32 v52, v22, 16, 7
	s_movk_i32 s12, 0x7f
	v_cmp_ne_u32_e32 vcc, s12, v52
	v_mov_b32_e32 v51, 0x7f80
	s_and_saveexec_b64 s[12:13], vcc
	s_cbranch_execz .LBB894_315
; %bb.314:
	v_and_b32_e32 v51, 7, v42
	v_ffbh_u32_e32 v54, v51
	v_min_u32_e32 v56, 32, v54
	v_subrev_u32_e32 v54, 28, v56
	v_lshlrev_b64 v[54:55], v54, v[42:43]
	v_lshrrev_b32_e32 v53, 3, v52
	v_sub_u32_e32 v42, 29, v56
	v_and_b32_e32 v54, 7, v54
	v_cmp_gt_u32_e32 vcc, 8, v52
	v_mov_b32_e32 v52, 24
	v_cndmask_b32_e32 v42, v53, v42, vcc
	v_cndmask_b32_e32 v51, v51, v54, vcc
	v_lshlrev_b32_sdwa v52, v52, v22 dst_sel:DWORD dst_unused:UNUSED_PAD src0_sel:DWORD src1_sel:WORD_1
	v_bfrev_b32_e32 v53, 60
	v_lshlrev_b32_e32 v51, 20, v51
	v_and_b32_e32 v52, 0x80000000, v52
	v_lshl_add_u32 v42, v42, 23, v53
	v_or3_b32 v42, v52, v42, v51
	v_lshrrev_b32_e32 v51, 16, v42
.LBB894_315:
	s_or_b64 exec, exec, s[12:13]
.LBB894_316:
	s_or_b64 exec, exec, s[10:11]
.LBB894_317:
	s_or_b64 exec, exec, s[2:3]
	s_mov_b32 s2, 0xffffff
	v_cmp_lt_u32_e32 vcc, s2, v22
	s_and_saveexec_b64 s[2:3], vcc
	s_cbranch_execz .LBB894_323
; %bb.318:
	v_lshrrev_b32_e32 v42, 24, v22
	s_movk_i32 s10, 0x80
	v_cmp_ne_u32_e32 vcc, s10, v42
	v_mov_b32_e32 v45, 0xffff8000
	s_and_saveexec_b64 s[10:11], vcc
	s_cbranch_execz .LBB894_322
; %bb.319:
	v_bfe_u32 v22, v22, 24, 7
	s_movk_i32 s12, 0x7f
	v_cmp_ne_u32_e32 vcc, s12, v22
	v_mov_b32_e32 v45, 0x7f80
	s_and_saveexec_b64 s[12:13], vcc
	s_cbranch_execz .LBB894_321
; %bb.320:
	v_and_b32_e32 v45, 7, v42
	v_ffbh_u32_e32 v52, v45
	v_min_u32_e32 v55, 32, v52
	v_subrev_u32_e32 v52, 28, v55
	v_lshlrev_b64 v[52:53], v52, v[42:43]
	v_lshrrev_b32_e32 v54, 3, v22
	v_sub_u32_e32 v53, 29, v55
	v_and_b32_e32 v52, 7, v52
	v_cmp_gt_u32_e32 vcc, 8, v22
	v_cndmask_b32_e32 v22, v54, v53, vcc
	v_cndmask_b32_e32 v45, v45, v52, vcc
	v_lshlrev_b32_e32 v42, 24, v42
	v_bfrev_b32_e32 v52, 60
	v_lshlrev_b32_e32 v45, 20, v45
	v_and_b32_e32 v42, 0x80000000, v42
	v_lshl_add_u32 v22, v22, 23, v52
	v_or3_b32 v22, v42, v22, v45
	v_lshrrev_b32_e32 v45, 16, v22
.LBB894_321:
	s_or_b64 exec, exec, s[12:13]
.LBB894_322:
	s_or_b64 exec, exec, s[10:11]
.LBB894_323:
	s_or_b64 exec, exec, s[2:3]
	v_mov_b32_e32 v42, 0
	v_cmp_ne_u16_sdwa s[10:11], v23, v42 src0_sel:BYTE_0 src1_sel:DWORD
	v_mov_b32_e32 v52, 0
	s_and_saveexec_b64 s[2:3], s[10:11]
	s_cbranch_execz .LBB894_329
; %bb.324:
	s_movk_i32 s10, 0x80
	v_cmp_ne_u16_sdwa s[12:13], v23, s10 src0_sel:BYTE_0 src1_sel:DWORD
	v_mov_b32_e32 v52, 0xffff8000
	s_and_saveexec_b64 s[10:11], s[12:13]
	s_cbranch_execz .LBB894_328
; %bb.325:
	s_movk_i32 s12, 0x7f
	v_and_b32_e32 v22, 0x7f, v23
	v_cmp_ne_u32_e32 vcc, s12, v22
	v_mov_b32_e32 v52, 0x7f80
	s_and_saveexec_b64 s[12:13], vcc
	s_cbranch_execz .LBB894_327
; %bb.326:
	v_and_b32_e32 v54, 7, v23
	v_ffbh_u32_e32 v53, v54
	v_min_u32_e32 v56, 32, v53
	v_mov_b32_e32 v52, v23
	v_subrev_u32_e32 v53, 28, v56
	v_lshlrev_b64 v[52:53], v53, v[52:53]
	v_lshrrev_b32_e32 v55, 3, v22
	v_sub_u32_e32 v53, 29, v56
	v_and_b32_e32 v52, 7, v52
	v_cmp_gt_u32_e32 vcc, 8, v22
	v_cndmask_b32_e32 v22, v55, v53, vcc
	v_cndmask_b32_e32 v52, v54, v52, vcc
	v_lshlrev_b32_e32 v53, 24, v23
	v_bfrev_b32_e32 v54, 60
	v_lshlrev_b32_e32 v52, 20, v52
	v_and_b32_e32 v53, 0x80000000, v53
	v_lshl_add_u32 v22, v22, 23, v54
	v_or3_b32 v22, v53, v22, v52
	v_lshrrev_b32_e32 v52, 16, v22
.LBB894_327:
	s_or_b64 exec, exec, s[12:13]
.LBB894_328:
	s_or_b64 exec, exec, s[10:11]
.LBB894_329:
	s_or_b64 exec, exec, s[2:3]
	v_lshrrev_b16_e32 v22, 8, v23
	v_cmp_ne_u16_e32 vcc, 0, v22
	s_and_saveexec_b64 s[2:3], vcc
	s_cbranch_execz .LBB894_335
; %bb.330:
	s_movk_i32 s10, 0x80
	v_cmp_ne_u16_e32 vcc, s10, v22
	v_mov_b32_e32 v42, 0xffff8000
	s_and_saveexec_b64 s[10:11], vcc
	s_cbranch_execz .LBB894_334
; %bb.331:
	s_movk_i32 s12, 0x7f
	v_and_b32_e32 v53, 0x7f, v22
	v_cmp_ne_u32_e32 vcc, s12, v53
	v_mov_b32_e32 v42, 0x7f80
	s_and_saveexec_b64 s[12:13], vcc
	s_cbranch_execz .LBB894_333
; %bb.332:
	v_and_b32_e32 v42, 7, v22
	v_ffbh_u32_e32 v54, v42
	v_min_u32_e32 v57, 32, v54
	v_subrev_u32_e32 v54, 28, v57
	v_lshlrev_b64 v[54:55], v54, v[22:23]
	v_lshrrev_b32_e32 v56, 3, v53
	v_sub_u32_e32 v22, 29, v57
	v_and_b32_e32 v54, 7, v54
	v_cmp_gt_u32_e32 vcc, 8, v53
	v_cndmask_b32_e32 v22, v56, v22, vcc
	v_cndmask_b32_e32 v42, v42, v54, vcc
	v_lshlrev_b32_e32 v53, 16, v23
	v_bfrev_b32_e32 v54, 60
	v_lshlrev_b32_e32 v42, 20, v42
	v_and_b32_e32 v53, 0x80000000, v53
	v_lshl_add_u32 v22, v22, 23, v54
	v_or3_b32 v22, v53, v22, v42
	v_lshrrev_b32_e32 v42, 16, v22
.LBB894_333:
	s_or_b64 exec, exec, s[12:13]
.LBB894_334:
	s_or_b64 exec, exec, s[10:11]
.LBB894_335:
	s_or_b64 exec, exec, s[2:3]
	s_movk_i32 s2, 0xff
	v_and_b32_sdwa v55, v23, s2 dst_sel:DWORD dst_unused:UNUSED_PAD src0_sel:WORD_1 src1_sel:DWORD
	v_lshrrev_b32_e32 v22, 16, v23
	v_cmp_ne_u16_e32 vcc, 0, v55
	v_mov_b32_e32 v53, 0
	v_mov_b32_e32 v54, 0
	s_and_saveexec_b64 s[2:3], vcc
	s_cbranch_execz .LBB894_341
; %bb.336:
	s_movk_i32 s10, 0x80
	v_cmp_ne_u16_e32 vcc, s10, v55
	v_mov_b32_e32 v54, 0xffff8000
	s_and_saveexec_b64 s[10:11], vcc
	s_cbranch_execz .LBB894_340
; %bb.337:
	v_bfe_u32 v55, v23, 16, 7
	s_movk_i32 s12, 0x7f
	v_cmp_ne_u32_e32 vcc, s12, v55
	v_mov_b32_e32 v54, 0x7f80
	s_and_saveexec_b64 s[12:13], vcc
	s_cbranch_execz .LBB894_339
; %bb.338:
	v_and_b32_e32 v54, 7, v22
	v_ffbh_u32_e32 v56, v54
	v_min_u32_e32 v59, 32, v56
	v_subrev_u32_e32 v56, 28, v59
	v_lshlrev_b64 v[56:57], v56, v[22:23]
	v_lshrrev_b32_e32 v58, 3, v55
	v_sub_u32_e32 v22, 29, v59
	v_and_b32_e32 v56, 7, v56
	v_cmp_gt_u32_e32 vcc, 8, v55
	v_mov_b32_e32 v55, 24
	v_cndmask_b32_e32 v22, v58, v22, vcc
	v_cndmask_b32_e32 v54, v54, v56, vcc
	v_lshlrev_b32_sdwa v55, v55, v23 dst_sel:DWORD dst_unused:UNUSED_PAD src0_sel:DWORD src1_sel:WORD_1
	v_bfrev_b32_e32 v56, 60
	v_lshlrev_b32_e32 v54, 20, v54
	v_and_b32_e32 v55, 0x80000000, v55
	v_lshl_add_u32 v22, v22, 23, v56
	v_or3_b32 v22, v55, v22, v54
	v_lshrrev_b32_e32 v54, 16, v22
.LBB894_339:
	s_or_b64 exec, exec, s[12:13]
.LBB894_340:
	s_or_b64 exec, exec, s[10:11]
.LBB894_341:
	s_or_b64 exec, exec, s[2:3]
	s_mov_b32 s2, 0xffffff
	v_cmp_lt_u32_e32 vcc, s2, v23
	s_and_saveexec_b64 s[2:3], vcc
	s_cbranch_execz .LBB894_347
; %bb.342:
	v_lshrrev_b32_e32 v22, 24, v23
	s_movk_i32 s10, 0x80
	v_cmp_ne_u32_e32 vcc, s10, v22
	v_mov_b32_e32 v53, 0xffff8000
	s_and_saveexec_b64 s[10:11], vcc
	s_cbranch_execz .LBB894_346
; %bb.343:
	v_bfe_u32 v23, v23, 24, 7
	s_movk_i32 s12, 0x7f
	v_cmp_ne_u32_e32 vcc, s12, v23
	v_mov_b32_e32 v53, 0x7f80
	s_and_saveexec_b64 s[12:13], vcc
	s_cbranch_execz .LBB894_345
; %bb.344:
	v_and_b32_e32 v53, 7, v22
	v_ffbh_u32_e32 v56, v53
	v_min_u32_e32 v58, 32, v56
	v_subrev_u32_e32 v56, 28, v58
	v_lshlrev_b64 v[56:57], v56, v[22:23]
	v_lshrrev_b32_e32 v55, 3, v23
	v_sub_u32_e32 v57, 29, v58
	v_and_b32_e32 v56, 7, v56
	v_cmp_gt_u32_e32 vcc, 8, v23
	v_cndmask_b32_e32 v23, v55, v57, vcc
	v_cndmask_b32_e32 v53, v53, v56, vcc
	v_lshlrev_b32_e32 v22, 24, v22
	v_bfrev_b32_e32 v55, 60
	v_lshlrev_b32_e32 v53, 20, v53
	v_and_b32_e32 v22, 0x80000000, v22
	v_lshl_add_u32 v23, v23, 23, v55
	v_or3_b32 v22, v22, v23, v53
	v_lshrrev_b32_e32 v53, 16, v22
.LBB894_345:
	s_or_b64 exec, exec, s[12:13]
.LBB894_346:
	s_or_b64 exec, exec, s[10:11]
.LBB894_347:
	s_or_b64 exec, exec, s[2:3]
	s_mov_b32 s2, 0x5040100
	v_perm_b32 v23, v45, v51, s2
	v_perm_b32 v22, v43, v44, s2
	s_nop 1
	v_mfma_f32_16x16x16bf16_1k v[56:59], v[22:23], v[26:27], 0
	v_perm_b32 v27, v53, v54, s2
	v_perm_b32 v26, v42, v52, s2
	v_mov_b32_e32 v23, 0
	v_cmp_ne_u16_sdwa s[10:11], v24, v23 src0_sel:BYTE_0 src1_sel:DWORD
	v_mov_b32_e32 v42, 0
	v_mfma_f32_16x16x16bf16_1k v[26:29], v[26:27], v[28:29], v[56:59]
	s_and_saveexec_b64 s[2:3], s[10:11]
	s_cbranch_execz .LBB894_353
; %bb.348:
	s_movk_i32 s10, 0x80
	v_cmp_ne_u16_sdwa s[12:13], v24, s10 src0_sel:BYTE_0 src1_sel:DWORD
	v_mov_b32_e32 v42, 0xffff8000
	s_and_saveexec_b64 s[10:11], s[12:13]
	s_cbranch_execz .LBB894_352
; %bb.349:
	s_movk_i32 s12, 0x7f
	v_and_b32_e32 v22, 0x7f, v24
	v_cmp_ne_u32_e32 vcc, s12, v22
	v_mov_b32_e32 v42, 0x7f80
	s_and_saveexec_b64 s[12:13], vcc
	s_cbranch_execz .LBB894_351
; %bb.350:
	v_and_b32_e32 v44, 7, v24
	v_ffbh_u32_e32 v42, v44
	v_min_u32_e32 v51, 32, v42
	v_subrev_u32_e32 v42, 28, v51
	v_lshlrev_b64 v[42:43], v42, v[24:25]
	v_lshrrev_b32_e32 v45, 3, v22
	v_sub_u32_e32 v43, 29, v51
	v_and_b32_e32 v42, 7, v42
	v_cmp_gt_u32_e32 vcc, 8, v22
	v_cndmask_b32_e32 v22, v45, v43, vcc
	v_cndmask_b32_e32 v42, v44, v42, vcc
	v_lshlrev_b32_e32 v43, 24, v24
	v_bfrev_b32_e32 v44, 60
	v_lshlrev_b32_e32 v42, 20, v42
	v_and_b32_e32 v43, 0x80000000, v43
	v_lshl_add_u32 v22, v22, 23, v44
	v_or3_b32 v22, v43, v22, v42
	v_lshrrev_b32_e32 v42, 16, v22
.LBB894_351:
	s_or_b64 exec, exec, s[12:13]
.LBB894_352:
	s_or_b64 exec, exec, s[10:11]
.LBB894_353:
	s_or_b64 exec, exec, s[2:3]
	v_lshrrev_b16_e32 v22, 8, v24
	v_cmp_ne_u16_e32 vcc, 0, v22
	s_and_saveexec_b64 s[2:3], vcc
	s_cbranch_execz .LBB894_359
; %bb.354:
	s_movk_i32 s10, 0x80
	v_cmp_ne_u16_e32 vcc, s10, v22
	v_mov_b32_e32 v23, 0xffff8000
	s_and_saveexec_b64 s[10:11], vcc
	s_cbranch_execz .LBB894_358
; %bb.355:
	s_movk_i32 s12, 0x7f
	v_and_b32_e32 v43, 0x7f, v22
	v_cmp_ne_u32_e32 vcc, s12, v43
	v_mov_b32_e32 v23, 0x7f80
	s_and_saveexec_b64 s[12:13], vcc
	s_cbranch_execz .LBB894_357
; %bb.356:
	v_and_b32_e32 v44, 7, v22
	v_ffbh_u32_e32 v23, v44
	v_min_u32_e32 v51, 32, v23
	v_subrev_u32_e32 v23, 28, v51
	v_lshlrev_b64 v[22:23], v23, v[22:23]
	v_lshrrev_b32_e32 v45, 3, v43
	v_sub_u32_e32 v23, 29, v51
	v_and_b32_e32 v22, 7, v22
	v_cmp_gt_u32_e32 vcc, 8, v43
	v_cndmask_b32_e32 v23, v45, v23, vcc
	v_cndmask_b32_e32 v22, v44, v22, vcc
	v_lshlrev_b32_e32 v43, 16, v24
	v_bfrev_b32_e32 v44, 60
	v_lshlrev_b32_e32 v22, 20, v22
	v_and_b32_e32 v43, 0x80000000, v43
	v_lshl_add_u32 v23, v23, 23, v44
	v_or3_b32 v22, v43, v23, v22
	v_lshrrev_b32_e32 v23, 16, v22
.LBB894_357:
	s_or_b64 exec, exec, s[12:13]
.LBB894_358:
	s_or_b64 exec, exec, s[10:11]
.LBB894_359:
	s_or_b64 exec, exec, s[2:3]
	s_movk_i32 s2, 0xff
	v_and_b32_sdwa v45, v24, s2 dst_sel:DWORD dst_unused:UNUSED_PAD src0_sel:WORD_1 src1_sel:DWORD
	v_lshrrev_b32_e32 v22, 16, v24
	v_cmp_ne_u16_e32 vcc, 0, v45
	v_mov_b32_e32 v43, 0
	v_mov_b32_e32 v44, 0
	s_and_saveexec_b64 s[2:3], vcc
	s_cbranch_execz .LBB894_365
; %bb.360:
	s_movk_i32 s10, 0x80
	v_cmp_ne_u16_e32 vcc, s10, v45
	v_mov_b32_e32 v44, 0xffff8000
	s_and_saveexec_b64 s[10:11], vcc
	s_cbranch_execz .LBB894_364
; %bb.361:
	v_bfe_u32 v45, v24, 16, 7
	s_movk_i32 s12, 0x7f
	v_cmp_ne_u32_e32 vcc, s12, v45
	v_mov_b32_e32 v44, 0x7f80
	s_and_saveexec_b64 s[12:13], vcc
	s_cbranch_execz .LBB894_363
; %bb.362:
	v_and_b32_e32 v44, 7, v22
	v_ffbh_u32_e32 v52, v44
	v_min_u32_e32 v54, 32, v52
	v_subrev_u32_e32 v52, 28, v54
	v_lshlrev_b64 v[52:53], v52, v[22:23]
	v_lshrrev_b32_e32 v51, 3, v45
	v_sub_u32_e32 v22, 29, v54
	v_and_b32_e32 v52, 7, v52
	v_cmp_gt_u32_e32 vcc, 8, v45
	v_mov_b32_e32 v45, 24
	v_cndmask_b32_e32 v22, v51, v22, vcc
	v_cndmask_b32_e32 v44, v44, v52, vcc
	v_lshlrev_b32_sdwa v45, v45, v24 dst_sel:DWORD dst_unused:UNUSED_PAD src0_sel:DWORD src1_sel:WORD_1
	v_bfrev_b32_e32 v51, 60
	v_lshlrev_b32_e32 v44, 20, v44
	v_and_b32_e32 v45, 0x80000000, v45
	v_lshl_add_u32 v22, v22, 23, v51
	v_or3_b32 v22, v45, v22, v44
	v_lshrrev_b32_e32 v44, 16, v22
.LBB894_363:
	s_or_b64 exec, exec, s[12:13]
.LBB894_364:
	s_or_b64 exec, exec, s[10:11]
.LBB894_365:
	s_or_b64 exec, exec, s[2:3]
	s_mov_b32 s2, 0xffffff
	v_cmp_lt_u32_e32 vcc, s2, v24
	s_and_saveexec_b64 s[2:3], vcc
	s_cbranch_execz .LBB894_371
; %bb.366:
	v_lshrrev_b32_e32 v22, 24, v24
	s_movk_i32 s10, 0x80
	v_cmp_ne_u32_e32 vcc, s10, v22
	v_mov_b32_e32 v43, 0xffff8000
	s_and_saveexec_b64 s[10:11], vcc
	s_cbranch_execz .LBB894_370
; %bb.367:
	v_bfe_u32 v24, v24, 24, 7
	s_movk_i32 s12, 0x7f
	v_cmp_ne_u32_e32 vcc, s12, v24
	v_mov_b32_e32 v43, 0x7f80
	s_and_saveexec_b64 s[12:13], vcc
	s_cbranch_execz .LBB894_369
; %bb.368:
	v_and_b32_e32 v43, 7, v22
	v_ffbh_u32_e32 v51, v43
	v_min_u32_e32 v51, 32, v51
	v_subrev_u32_e32 v52, 28, v51
	v_lshlrev_b64 v[52:53], v52, v[22:23]
	v_lshrrev_b32_e32 v45, 3, v24
	v_sub_u32_e32 v51, 29, v51
	v_and_b32_e32 v52, 7, v52
	v_cmp_gt_u32_e32 vcc, 8, v24
	v_cndmask_b32_e32 v24, v45, v51, vcc
	v_cndmask_b32_e32 v43, v43, v52, vcc
	v_lshlrev_b32_e32 v22, 24, v22
	v_bfrev_b32_e32 v45, 60
	v_lshlrev_b32_e32 v43, 20, v43
	v_and_b32_e32 v22, 0x80000000, v22
	v_lshl_add_u32 v24, v24, 23, v45
	v_or3_b32 v22, v22, v24, v43
	v_lshrrev_b32_e32 v43, 16, v22
.LBB894_369:
	s_or_b64 exec, exec, s[12:13]
.LBB894_370:
	s_or_b64 exec, exec, s[10:11]
.LBB894_371:
	s_or_b64 exec, exec, s[2:3]
	v_mov_b32_e32 v24, 0
	v_cmp_ne_u16_sdwa s[10:11], v25, v24 src0_sel:BYTE_0 src1_sel:DWORD
	v_mov_b32_e32 v51, 0
	s_and_saveexec_b64 s[2:3], s[10:11]
	s_cbranch_execz .LBB894_377
; %bb.372:
	s_movk_i32 s10, 0x80
	v_cmp_ne_u16_sdwa s[12:13], v25, s10 src0_sel:BYTE_0 src1_sel:DWORD
	v_mov_b32_e32 v51, 0xffff8000
	s_and_saveexec_b64 s[10:11], s[12:13]
	s_cbranch_execz .LBB894_376
; %bb.373:
	s_movk_i32 s12, 0x7f
	v_and_b32_e32 v22, 0x7f, v25
	v_cmp_ne_u32_e32 vcc, s12, v22
	v_mov_b32_e32 v51, 0x7f80
	s_and_saveexec_b64 s[12:13], vcc
	s_cbranch_execz .LBB894_375
; %bb.374:
	v_and_b32_e32 v45, 7, v25
	v_ffbh_u32_e32 v53, v45
	v_min_u32_e32 v54, 32, v53
	v_mov_b32_e32 v52, v25
	v_subrev_u32_e32 v53, 28, v54
	v_lshlrev_b64 v[52:53], v53, v[52:53]
	v_lshrrev_b32_e32 v51, 3, v22
	v_sub_u32_e32 v53, 29, v54
	v_and_b32_e32 v52, 7, v52
	v_cmp_gt_u32_e32 vcc, 8, v22
	v_cndmask_b32_e32 v22, v51, v53, vcc
	v_cndmask_b32_e32 v45, v45, v52, vcc
	v_lshlrev_b32_e32 v51, 24, v25
	v_bfrev_b32_e32 v52, 60
	v_lshlrev_b32_e32 v45, 20, v45
	v_and_b32_e32 v51, 0x80000000, v51
	v_lshl_add_u32 v22, v22, 23, v52
	v_or3_b32 v22, v51, v22, v45
	v_lshrrev_b32_e32 v51, 16, v22
.LBB894_375:
	s_or_b64 exec, exec, s[12:13]
.LBB894_376:
	s_or_b64 exec, exec, s[10:11]
.LBB894_377:
	s_or_b64 exec, exec, s[2:3]
	v_lshrrev_b16_e32 v22, 8, v25
	v_cmp_ne_u16_e32 vcc, 0, v22
	s_and_saveexec_b64 s[2:3], vcc
	s_cbranch_execz .LBB894_383
; %bb.378:
	s_movk_i32 s10, 0x80
	v_cmp_ne_u16_e32 vcc, s10, v22
	v_mov_b32_e32 v24, 0xffff8000
	s_and_saveexec_b64 s[10:11], vcc
	s_cbranch_execz .LBB894_382
; %bb.379:
	s_movk_i32 s12, 0x7f
	v_and_b32_e32 v45, 0x7f, v22
	v_cmp_ne_u32_e32 vcc, s12, v45
	v_mov_b32_e32 v24, 0x7f80
	s_and_saveexec_b64 s[12:13], vcc
	s_cbranch_execz .LBB894_381
; %bb.380:
	v_and_b32_e32 v24, 7, v22
	v_ffbh_u32_e32 v52, v24
	v_min_u32_e32 v55, 32, v52
	v_subrev_u32_e32 v52, 28, v55
	v_lshlrev_b64 v[52:53], v52, v[22:23]
	v_lshrrev_b32_e32 v54, 3, v45
	v_sub_u32_e32 v22, 29, v55
	v_and_b32_e32 v52, 7, v52
	v_cmp_gt_u32_e32 vcc, 8, v45
	v_cndmask_b32_e32 v22, v54, v22, vcc
	v_cndmask_b32_e32 v24, v24, v52, vcc
	v_lshlrev_b32_e32 v45, 16, v25
	v_bfrev_b32_e32 v52, 60
	v_lshlrev_b32_e32 v24, 20, v24
	v_and_b32_e32 v45, 0x80000000, v45
	v_lshl_add_u32 v22, v22, 23, v52
	v_or3_b32 v22, v45, v22, v24
	v_lshrrev_b32_e32 v24, 16, v22
.LBB894_381:
	s_or_b64 exec, exec, s[12:13]
.LBB894_382:
	s_or_b64 exec, exec, s[10:11]
.LBB894_383:
	s_or_b64 exec, exec, s[2:3]
	s_movk_i32 s2, 0xff
	v_and_b32_sdwa v45, v25, s2 dst_sel:DWORD dst_unused:UNUSED_PAD src0_sel:WORD_1 src1_sel:DWORD
	v_lshrrev_b32_e32 v22, 16, v25
	v_cmp_ne_u16_e32 vcc, 0, v45
	v_mov_b32_e32 v52, 0
	v_mov_b32_e32 v53, 0
	s_and_saveexec_b64 s[2:3], vcc
	s_cbranch_execz .LBB894_389
; %bb.384:
	s_movk_i32 s10, 0x80
	v_cmp_ne_u16_e32 vcc, s10, v45
	v_mov_b32_e32 v53, 0xffff8000
	s_and_saveexec_b64 s[10:11], vcc
	s_cbranch_execz .LBB894_388
; %bb.385:
	v_bfe_u32 v45, v25, 16, 7
	s_movk_i32 s12, 0x7f
	v_cmp_ne_u32_e32 vcc, s12, v45
	v_mov_b32_e32 v53, 0x7f80
	s_and_saveexec_b64 s[12:13], vcc
	s_cbranch_execz .LBB894_387
; %bb.386:
	v_and_b32_e32 v53, 7, v22
	v_ffbh_u32_e32 v54, v53
	v_min_u32_e32 v57, 32, v54
	v_subrev_u32_e32 v54, 28, v57
	v_lshlrev_b64 v[54:55], v54, v[22:23]
	v_and_b32_e32 v54, 7, v54
	v_cmp_gt_u32_e32 vcc, 8, v45
	v_lshrrev_b32_e32 v56, 3, v45
	v_sub_u32_e32 v22, 29, v57
	v_cndmask_b32_e32 v45, v53, v54, vcc
	v_mov_b32_e32 v53, 24
	v_cndmask_b32_e32 v22, v56, v22, vcc
	v_lshlrev_b32_sdwa v53, v53, v25 dst_sel:DWORD dst_unused:UNUSED_PAD src0_sel:DWORD src1_sel:WORD_1
	v_bfrev_b32_e32 v54, 60
	v_lshlrev_b32_e32 v45, 20, v45
	v_and_b32_e32 v53, 0x80000000, v53
	v_lshl_add_u32 v22, v22, 23, v54
	v_or3_b32 v22, v53, v22, v45
	v_lshrrev_b32_e32 v53, 16, v22
.LBB894_387:
	s_or_b64 exec, exec, s[12:13]
.LBB894_388:
	s_or_b64 exec, exec, s[10:11]
.LBB894_389:
	s_or_b64 exec, exec, s[2:3]
	s_mov_b32 s2, 0xffffff
	v_and_b32_e32 v45, 63, v0
	v_cmp_lt_u32_e32 vcc, s2, v25
	s_and_saveexec_b64 s[2:3], vcc
	s_cbranch_execz .LBB894_395
; %bb.390:
	v_lshrrev_b32_e32 v22, 24, v25
	s_movk_i32 s10, 0x80
	v_cmp_ne_u32_e32 vcc, s10, v22
	v_mov_b32_e32 v52, 0xffff8000
	s_and_saveexec_b64 s[10:11], vcc
	s_cbranch_execz .LBB894_394
; %bb.391:
	v_bfe_u32 v25, v25, 24, 7
	s_movk_i32 s12, 0x7f
	v_cmp_ne_u32_e32 vcc, s12, v25
	v_mov_b32_e32 v52, 0x7f80
	s_and_saveexec_b64 s[12:13], vcc
	s_cbranch_execz .LBB894_393
; %bb.392:
	v_and_b32_e32 v52, 7, v22
	v_ffbh_u32_e32 v54, v52
	v_min_u32_e32 v57, 32, v54
	v_subrev_u32_e32 v54, 28, v57
	v_lshlrev_b64 v[54:55], v54, v[22:23]
	v_lshrrev_b32_e32 v56, 3, v25
	v_sub_u32_e32 v55, 29, v57
	v_and_b32_e32 v54, 7, v54
	v_cmp_gt_u32_e32 vcc, 8, v25
	v_cndmask_b32_e32 v25, v56, v55, vcc
	v_cndmask_b32_e32 v52, v52, v54, vcc
	v_lshlrev_b32_e32 v22, 24, v22
	v_bfrev_b32_e32 v54, 60
	v_lshlrev_b32_e32 v52, 20, v52
	v_and_b32_e32 v22, 0x80000000, v22
	v_lshl_add_u32 v25, v25, 23, v54
	v_or3_b32 v22, v22, v25, v52
	v_lshrrev_b32_e32 v52, 16, v22
.LBB894_393:
	s_or_b64 exec, exec, s[12:13]
.LBB894_394:
	s_or_b64 exec, exec, s[10:11]
.LBB894_395:
	s_or_b64 exec, exec, s[2:3]
	s_mov_b32 s3, 0x5040100
	v_perm_b32 v43, v43, v44, s3
	v_perm_b32 v42, v23, v42, s3
	s_load_dword s2, s[4:5], 0x1c
	s_mov_b32 s46, 0xff7fffff
	s_waitcnt lgkmcnt(0)
	v_mfma_f32_16x16x16bf16_1k v[26:29], v[42:43], v[18:19], v[26:29]
	v_perm_b32 v19, v52, v53, s3
	v_perm_b32 v18, v24, v51, s3
	v_and_b32_e32 v24, 0xc0, v0
	v_mov_b32_e32 v22, s2
	v_add_u32_e32 v24, s20, v24
	v_mul_f32_e32 v44, s14, v22
	v_lshl_or_b32 v42, v46, 2, v24
	v_mfma_f32_16x16x16bf16_1k v[18:21], v[18:19], v[20:21], v[26:29]
	v_pk_mul_f32 v[22:23], v[44:45], v[36:37] op_sel_hi:[0,1]
	v_pk_mul_f32 v[36:37], v[44:45], v[40:41] op_sel_hi:[0,1]
	v_pk_mul_f32 v[40:41], v[44:45], v[32:33] op_sel_hi:[0,1]
	v_pk_mul_f32 v[30:31], v[44:45], v[30:31] op_sel_hi:[0,1]
	v_mov_b32_e32 v43, 0xff7fffff
	v_cmp_gt_i32_e64 s[26:27], s33, v42
	v_pk_mul_f32 v[38:39], v[44:45], v[38:39] op_sel_hi:[0,1]
	s_nop 3
	v_pk_mul_f32 v[32:33], v[44:45], v[18:19] op_sel_hi:[0,1]
	v_or_b32_e32 v19, 1, v42
	v_cmp_gt_i32_e64 s[28:29], s33, v19
	v_cndmask_b32_e64 v18, v43, v30, s[26:27]
	v_cndmask_b32_e64 v19, v43, v31, s[28:29]
	v_pk_mul_f32 v[24:25], v[44:45], v[20:21] op_sel_hi:[0,1]
	v_max3_f32 v18, v18, s46, v19
	v_or_b32_e32 v19, 2, v42
	v_or_b32_e32 v20, 3, v42
	v_cmp_gt_i32_e64 s[30:31], s33, v19
	v_cmp_gt_i32_e64 s[34:35], s33, v20
	v_cndmask_b32_e64 v19, v43, v40, s[30:31]
	v_cndmask_b32_e64 v20, v43, v41, s[34:35]
	v_max3_f32 v18, v18, v19, v20
	v_or_b32_e32 v19, 16, v42
	v_or_b32_e32 v20, 17, v42
	v_cmp_gt_i32_e64 s[36:37], s33, v19
	v_cmp_gt_i32_e64 s[38:39], s33, v20
	v_cndmask_b32_e64 v19, v43, v38, s[36:37]
	v_cndmask_b32_e64 v20, v43, v39, s[38:39]
	;; [unrolled: 7-line block ×3, first 2 shown]
	v_max3_f32 v18, v18, v19, v20
	v_or_b32_e32 v19, 32, v42
	v_or_b32_e32 v20, 33, v42
	v_pk_mul_f32 v[34:35], v[44:45], v[34:35] op_sel_hi:[0,1]
	v_cmp_gt_i32_e64 s[16:17], s33, v19
	v_cmp_gt_i32_e64 s[18:19], s33, v20
	v_cndmask_b32_e64 v19, v43, v34, s[16:17]
	v_cndmask_b32_e64 v20, v43, v35, s[18:19]
	v_max3_f32 v18, v18, v19, v20
	v_or_b32_e32 v19, 34, v42
	v_or_b32_e32 v20, 35, v42
	v_cmp_gt_i32_e64 s[12:13], s33, v19
	v_cmp_gt_i32_e64 s[14:15], s33, v20
	v_cndmask_b32_e64 v19, v43, v22, s[12:13]
	v_cndmask_b32_e64 v20, v43, v23, s[14:15]
	v_max3_f32 v18, v18, v19, v20
	v_or_b32_e32 v19, 48, v42
	v_or_b32_e32 v20, 49, v42
	;; [unrolled: 7-line block ×3, first 2 shown]
	v_cmp_gt_i32_e32 vcc, s33, v19
	v_cmp_gt_i32_e64 s[2:3], s33, v20
	v_cndmask_b32_e32 v19, v43, v24, vcc
	v_cndmask_b32_e64 v20, v43, v25, s[2:3]
	v_max3_f32 v18, v18, v19, v20
	v_mbcnt_lo_u32_b32 v19, -1, 0
	v_mbcnt_hi_u32_b32 v19, -1, v19
	v_and_b32_e32 v20, 64, v19
	v_add_u32_e32 v20, 64, v20
	v_xor_b32_e32 v21, 32, v19
	v_cmp_lt_i32_e64 s[40:41], v21, v20
	v_cndmask_b32_e64 v21, v19, v21, s[40:41]
	v_lshlrev_b32_e32 v43, 2, v21
	ds_bpermute_b32 v21, v43, v18
	s_barrier
	s_waitcnt lgkmcnt(0)
	v_max_f32_e32 v21, v21, v21
	v_max_f32_e32 v18, v18, v21
	v_xor_b32_e32 v21, 16, v19
	v_cmp_lt_i32_e64 s[40:41], v21, v20
	v_cndmask_b32_e64 v19, v19, v21, s[40:41]
	v_lshlrev_b32_e32 v44, 2, v19
	ds_bpermute_b32 v19, v44, v18
	s_waitcnt lgkmcnt(0)
	v_max_f32_e32 v19, v19, v19
	v_max_f32_e32 v42, v18, v19
	v_sub_f32_e32 v21, v40, v42
	v_sub_f32_e32 v26, v41, v42
	v_mul_f32_e32 v21, 0x3fb8aa3b, v21
	v_mul_f32_e32 v26, 0x3fb8aa3b, v26
	v_sub_f32_e32 v18, v30, v42
	v_exp_f32_e32 v21, v21
	v_exp_f32_e32 v26, v26
	v_mul_f32_e32 v18, 0x3fb8aa3b, v18
	v_sub_f32_e32 v19, v31, v42
	v_exp_f32_e32 v18, v18
	v_mul_f32_e32 v19, 0x3fb8aa3b, v19
	v_exp_f32_e32 v19, v19
	v_cndmask_b32_e64 v28, 0, v21, s[30:31]
	v_cndmask_b32_e64 v29, 0, v26, s[34:35]
	v_sub_f32_e32 v21, v38, v42
	v_sub_f32_e32 v26, v39, v42
	v_mul_f32_e32 v21, 0x3fb8aa3b, v21
	v_mul_f32_e32 v26, 0x3fb8aa3b, v26
	v_cndmask_b32_e64 v18, 0, v18, s[26:27]
	v_exp_f32_e32 v21, v21
	v_exp_f32_e32 v26, v26
	v_add_f32_e32 v20, 0, v18
	v_cndmask_b32_e64 v19, 0, v19, s[28:29]
	v_add_f32_e32 v20, v20, v19
	v_add_f32_e32 v20, v20, v28
	;; [unrolled: 1-line block ×3, first 2 shown]
	v_cndmask_b32_e64 v20, 0, v21, s[36:37]
	v_cndmask_b32_e64 v21, 0, v26, s[38:39]
	v_sub_f32_e32 v26, v36, v42
	v_mul_f32_e32 v26, 0x3fb8aa3b, v26
	v_exp_f32_e32 v26, v26
	v_sub_f32_e32 v30, v37, v42
	v_add_f32_e32 v27, v27, v20
	v_mul_f32_e32 v30, 0x3fb8aa3b, v30
	v_exp_f32_e32 v31, v30
	v_add_f32_e32 v27, v27, v21
	v_cndmask_b32_e64 v30, 0, v26, s[20:21]
	v_add_f32_e32 v26, v27, v30
	v_sub_f32_e32 v27, v34, v42
	v_mul_f32_e32 v27, 0x3fb8aa3b, v27
	v_sub_f32_e32 v34, v35, v42
	v_exp_f32_e32 v27, v27
	v_mul_f32_e32 v34, 0x3fb8aa3b, v34
	v_sub_f32_e32 v22, v22, v42
	v_exp_f32_e32 v34, v34
	;; [unrolled: 3-line block ×3, first 2 shown]
	v_mul_f32_e32 v23, 0x3fb8aa3b, v23
	v_cndmask_b32_e64 v31, 0, v31, s[22:23]
	v_exp_f32_e32 v23, v23
	v_add_f32_e32 v35, v26, v31
	v_cndmask_b32_e64 v26, 0, v27, s[16:17]
	v_add_f32_e32 v35, v35, v26
	v_cndmask_b32_e64 v27, 0, v34, s[18:19]
	;; [unrolled: 2-line block ×4, first 2 shown]
	v_sub_f32_e32 v23, v32, v42
	v_mul_f32_e32 v23, 0x3fb8aa3b, v23
	v_sub_f32_e32 v32, v33, v42
	v_exp_f32_e32 v23, v23
	v_mul_f32_e32 v32, 0x3fb8aa3b, v32
	v_sub_f32_e32 v24, v24, v42
	v_exp_f32_e32 v32, v32
	;; [unrolled: 3-line block ×3, first 2 shown]
	v_mul_f32_e32 v25, 0x3fb8aa3b, v25
	v_exp_f32_e32 v25, v25
	v_add_f32_e32 v33, v22, v35
	v_cndmask_b32_e64 v22, 0, v23, s[24:25]
	v_add_f32_e32 v33, v33, v22
	v_cndmask_b32_e64 v23, 0, v32, s[10:11]
	v_add_f32_e32 v32, v33, v23
	v_cndmask_b32_e32 v24, 0, v24, vcc
	v_add_f32_e32 v32, v32, v24
	v_cndmask_b32_e64 v25, 0, v25, s[2:3]
	v_add_f32_e32 v32, v32, v25
	ds_bpermute_b32 v33, v43, v32
	v_cmp_gt_u32_e64 s[2:3], 16, v45
	s_waitcnt lgkmcnt(0)
	v_add_f32_e32 v33, v32, v33
	ds_bpermute_b32 v36, v44, v33
	v_lshlrev_b32_e32 v32, 2, v50
	s_and_saveexec_b64 s[10:11], s[2:3]
	s_cbranch_execz .LBB894_397
; %bb.396:
	s_waitcnt lgkmcnt(0)
	v_add_f32_e32 v33, v33, v36
	v_lshl_or_b32 v36, v49, 6, v32
	ds_write2st64_b32 v36, v42, v33 offset1:1
.LBB894_397:
	s_or_b64 exec, exec, s[10:11]
	s_waitcnt lgkmcnt(0)
	s_barrier
	ds_read2_b32 v[36:37], v32 offset1:16
	ds_read2_b32 v[38:39], v32 offset0:32 offset1:48
	ds_read2_b32 v[40:41], v32 offset0:64 offset1:80
	;; [unrolled: 1-line block ×3, first 2 shown]
	s_waitcnt lgkmcnt(0)
	v_max3_f32 v33, v36, s46, v37
	v_max3_f32 v33, v33, v38, v39
	v_sub_f32_e32 v36, v36, v33
	v_mul_f32_e32 v36, 0x3fb8aa3b, v36
	v_exp_f32_e32 v44, v36
	v_sub_f32_e32 v36, v37, v33
	v_mul_f32_e32 v36, 0x3fb8aa3b, v36
	v_exp_f32_e32 v37, v36
	v_sub_f32_e32 v36, v38, v33
	v_mul_f32_e32 v36, 0x3fb8aa3b, v36
	v_sub_f32_e32 v32, v39, v33
	v_exp_f32_e32 v38, v36
	v_mul_f32_e32 v32, 0x3fb8aa3b, v32
	v_exp_f32_e32 v39, v32
	v_fma_f32 v36, v44, v40, 0
	v_fmac_f32_e32 v36, v37, v41
	v_fmac_f32_e32 v36, v38, v42
	;; [unrolled: 1-line block ×3, first 2 shown]
	v_add_f32_e32 v40, 0x358637bd, v36
	v_div_scale_f32 v41, s[10:11], v40, v40, 1.0
	v_rcp_f32_e32 v42, v41
	s_movk_i32 s10, 0x7fff
	s_mov_b32 s11, 0x7060302
	s_barrier
	v_fma_f32 v43, -v41, v42, 1.0
	v_fmac_f32_e32 v42, v43, v42
	v_div_scale_f32 v43, vcc, 1.0, v40, 1.0
	v_mul_f32_e32 v45, v43, v42
	v_fma_f32 v50, -v41, v45, v43
	v_fmac_f32_e32 v45, v50, v42
	v_fma_f32 v41, -v41, v45, v43
	v_div_fmas_f32 v41, v41, v42, v45
	v_cmp_eq_u32_e32 vcc, 1, v49
	v_cndmask_b32_e32 v37, v44, v37, vcc
	v_cmp_eq_u32_e32 vcc, 2, v49
	v_cndmask_b32_e32 v37, v37, v38, vcc
	v_cmp_eq_u32_e32 vcc, 3, v49
	v_div_fixup_f32 v40, v41, v40, 1.0
	v_cndmask_b32_e32 v37, v37, v39, vcc
	v_mul_f32_e32 v38, v37, v40
	v_pk_mul_f32 v[18:19], v[38:39], v[18:19] op_sel_hi:[0,1]
	v_pk_mul_f32 v[28:29], v[38:39], v[28:29] op_sel_hi:[0,1]
	v_bfe_u32 v37, v19, 16, 1
	v_bfe_u32 v39, v18, 16, 1
	v_add3_u32 v18, v18, v39, s10
	v_add3_u32 v19, v19, v37, s10
	v_perm_b32 v18, v19, v18, s11
	v_bfe_u32 v19, v29, 16, 1
	v_bfe_u32 v37, v28, 16, 1
	v_add3_u32 v28, v28, v37, s10
	v_add3_u32 v19, v29, v19, s10
	v_perm_b32 v19, v19, v28, s11
	v_lshlrev_b32_e32 v28, 3, v46
	v_lshlrev_b32_e32 v29, 11, v49
	v_pk_mul_f32 v[20:21], v[38:39], v[20:21] op_sel_hi:[0,1]
	v_or3_b32 v28, v29, v48, v28
	v_bfe_u32 v29, v21, 16, 1
	v_bfe_u32 v37, v20, 16, 1
	v_pk_mul_f32 v[30:31], v[38:39], v[30:31] op_sel_hi:[0,1]
	v_add3_u32 v20, v20, v37, s10
	v_add3_u32 v21, v21, v29, s10
	v_perm_b32 v20, v21, v20, s11
	v_bfe_u32 v21, v31, 16, 1
	v_bfe_u32 v29, v30, 16, 1
	v_add3_u32 v29, v30, v29, s10
	v_add3_u32 v21, v31, v21, s10
	v_perm_b32 v21, v21, v29, s11
	ds_write2st64_b64 v28, v[18:19], v[20:21] offset1:1
	v_pk_mul_f32 v[20:21], v[38:39], v[26:27] op_sel_hi:[0,1]
	v_bfe_u32 v26, v21, 16, 1
	v_bfe_u32 v27, v20, 16, 1
	v_pk_mul_f32 v[18:19], v[38:39], v[34:35] op_sel_hi:[0,1]
	v_add3_u32 v20, v20, v27, s10
	v_add3_u32 v21, v21, v26, s10
	v_perm_b32 v20, v21, v20, s11
	v_bfe_u32 v21, v19, 16, 1
	v_bfe_u32 v26, v18, 16, 1
	v_add3_u32 v18, v18, v26, s10
	v_add3_u32 v19, v19, v21, s10
	v_pk_mul_f32 v[22:23], v[38:39], v[22:23] op_sel_hi:[0,1]
	v_perm_b32 v21, v19, v18, s11
	v_pk_mul_f32 v[18:19], v[38:39], v[24:25] op_sel_hi:[0,1]
	v_bfe_u32 v24, v23, 16, 1
	v_bfe_u32 v25, v22, 16, 1
	v_add3_u32 v22, v22, v25, s10
	v_add3_u32 v23, v23, v24, s10
	v_perm_b32 v22, v23, v22, s11
	v_bfe_u32 v23, v19, 16, 1
	v_bfe_u32 v24, v18, 16, 1
	v_add3_u32 v18, v18, v24, s10
	v_add3_u32 v19, v19, v23, s10
	v_mov_b32_e32 v32, 0
	v_perm_b32 v23, v19, v18, s11
	v_cmp_eq_u32_e32 vcc, 0, v0
	ds_write2st64_b64 v28, v[20:21], v[22:23] offset0:2 offset1:3
	s_and_saveexec_b64 s[10:11], vcc
	s_cbranch_execz .LBB894_399
; %bb.398:
	s_mul_i32 s7, s7, s45
	s_mul_hi_u32 s16, s6, s45
	s_add_i32 s16, s16, s7
	s_mul_i32 s7, s6, s45
	s_add_u32 s7, s7, s8
	s_addc_u32 s16, s16, 0
	s_load_dwordx4 s[12:15], s[4:5], 0x58
	s_mul_i32 s16, s16, s44
	s_mul_hi_u32 s17, s7, s44
	s_add_i32 s17, s17, s16
	s_mul_i32 s7, s7, s44
	s_add_u32 s16, s7, s9
	s_addc_u32 s17, s17, 0
	s_lshl_b64 s[16:17], s[16:17], 2
	s_waitcnt lgkmcnt(0)
	s_add_u32 s14, s14, s16
	s_addc_u32 s15, s15, s17
	s_add_u32 s12, s12, s16
	s_addc_u32 s13, s13, s17
	global_store_dword v32, v33, s[14:15]
	global_store_dword v32, v36, s[12:13]
.LBB894_399:
	s_or_b64 exec, exec, s[10:11]
	s_waitcnt vmcnt(3)
	v_cmp_ne_u16_sdwa s[12:13], v14, v32 src0_sel:BYTE_0 src1_sel:DWORD
	s_waitcnt lgkmcnt(0)
	s_barrier
	s_and_saveexec_b64 s[10:11], s[12:13]
	s_cbranch_execz .LBB894_405
; %bb.400:
	s_movk_i32 s7, 0x80
	v_cmp_ne_u16_sdwa s[14:15], v14, s7 src0_sel:BYTE_0 src1_sel:DWORD
	v_mov_b32_e32 v32, 0xffff8000
	s_and_saveexec_b64 s[12:13], s[14:15]
	s_cbranch_execz .LBB894_404
; %bb.401:
	s_movk_i32 s7, 0x7f
	v_and_b32_e32 v18, 0x7f, v14
	v_cmp_ne_u32_e32 vcc, s7, v18
	v_mov_b32_e32 v32, 0x7f80
	s_and_saveexec_b64 s[14:15], vcc
	s_cbranch_execz .LBB894_403
; %bb.402:
	v_and_b32_e32 v19, 7, v14
	v_ffbh_u32_e32 v20, v19
	v_min_u32_e32 v23, 32, v20
	v_subrev_u32_e32 v20, 28, v23
	v_lshlrev_b64 v[20:21], v20, v[14:15]
	v_lshrrev_b32_e32 v22, 3, v18
	v_sub_u32_e32 v21, 29, v23
	v_and_b32_e32 v20, 7, v20
	v_cmp_gt_u32_e32 vcc, 8, v18
	v_cndmask_b32_e32 v18, v22, v21, vcc
	v_cndmask_b32_e32 v19, v19, v20, vcc
	v_lshlrev_b32_e32 v20, 24, v14
	v_bfrev_b32_e32 v21, 60
	v_lshlrev_b32_e32 v19, 20, v19
	v_and_b32_e32 v20, 0x80000000, v20
	v_lshl_add_u32 v18, v18, 23, v21
	v_or3_b32 v18, v20, v18, v19
	v_lshrrev_b32_e32 v32, 16, v18
.LBB894_403:
	s_or_b64 exec, exec, s[14:15]
.LBB894_404:
	s_or_b64 exec, exec, s[12:13]
.LBB894_405:
	s_or_b64 exec, exec, s[10:11]
	v_lshrrev_b16_e32 v18, 8, v14
	v_cmp_ne_u16_e32 vcc, 0, v18
	v_mov_b32_e32 v20, 0
	v_mov_b32_e32 v19, 0
	s_and_saveexec_b64 s[10:11], vcc
	s_cbranch_execz .LBB894_411
; %bb.406:
	s_movk_i32 s7, 0x80
	v_cmp_ne_u16_e32 vcc, s7, v18
	v_mov_b32_e32 v19, 0xffff8000
	s_and_saveexec_b64 s[12:13], vcc
	s_cbranch_execz .LBB894_410
; %bb.407:
	s_movk_i32 s7, 0x7f
	v_and_b32_e32 v21, 0x7f, v18
	v_cmp_ne_u32_e32 vcc, s7, v21
	v_mov_b32_e32 v19, 0x7f80
	s_and_saveexec_b64 s[14:15], vcc
	s_cbranch_execz .LBB894_409
; %bb.408:
	v_and_b32_e32 v22, 7, v18
	v_ffbh_u32_e32 v19, v22
	v_min_u32_e32 v24, 32, v19
	v_subrev_u32_e32 v19, 28, v24
	v_lshlrev_b64 v[18:19], v19, v[18:19]
	v_lshrrev_b32_e32 v23, 3, v21
	v_sub_u32_e32 v19, 29, v24
	v_and_b32_e32 v18, 7, v18
	v_cmp_gt_u32_e32 vcc, 8, v21
	v_cndmask_b32_e32 v19, v23, v19, vcc
	v_cndmask_b32_e32 v18, v22, v18, vcc
	v_lshlrev_b32_e32 v21, 16, v14
	v_bfrev_b32_e32 v22, 60
	v_lshlrev_b32_e32 v18, 20, v18
	v_and_b32_e32 v21, 0x80000000, v21
	v_lshl_add_u32 v19, v19, 23, v22
	v_or3_b32 v18, v21, v19, v18
	v_lshrrev_b32_e32 v19, 16, v18
.LBB894_409:
	s_or_b64 exec, exec, s[14:15]
.LBB894_410:
	s_or_b64 exec, exec, s[12:13]
.LBB894_411:
	s_or_b64 exec, exec, s[10:11]
	s_movk_i32 s7, 0xff
	v_and_b32_sdwa v21, v14, s7 dst_sel:DWORD dst_unused:UNUSED_PAD src0_sel:WORD_1 src1_sel:DWORD
	v_lshrrev_b32_e32 v18, 16, v14
	v_cmp_ne_u16_e32 vcc, 0, v21
	s_and_saveexec_b64 s[10:11], vcc
	s_cbranch_execz .LBB894_417
; %bb.412:
	s_movk_i32 s7, 0x80
	v_cmp_ne_u16_e32 vcc, s7, v21
	v_mov_b32_e32 v20, 0xffff8000
	s_and_saveexec_b64 s[12:13], vcc
	s_cbranch_execz .LBB894_416
; %bb.413:
	v_bfe_u32 v21, v14, 16, 7
	s_movk_i32 s7, 0x7f
	v_cmp_ne_u32_e32 vcc, s7, v21
	v_mov_b32_e32 v20, 0x7f80
	s_and_saveexec_b64 s[14:15], vcc
	s_cbranch_execz .LBB894_415
; %bb.414:
	v_and_b32_e32 v20, 7, v18
	v_ffbh_u32_e32 v22, v20
	v_min_u32_e32 v25, 32, v22
	v_subrev_u32_e32 v22, 28, v25
	v_lshlrev_b64 v[22:23], v22, v[18:19]
	v_lshrrev_b32_e32 v24, 3, v21
	v_sub_u32_e32 v18, 29, v25
	v_and_b32_e32 v22, 7, v22
	v_cmp_gt_u32_e32 vcc, 8, v21
	v_mov_b32_e32 v21, 24
	v_cndmask_b32_e32 v18, v24, v18, vcc
	v_cndmask_b32_e32 v20, v20, v22, vcc
	v_lshlrev_b32_sdwa v21, v21, v14 dst_sel:DWORD dst_unused:UNUSED_PAD src0_sel:DWORD src1_sel:WORD_1
	v_bfrev_b32_e32 v22, 60
	v_lshlrev_b32_e32 v20, 20, v20
	v_and_b32_e32 v21, 0x80000000, v21
	v_lshl_add_u32 v18, v18, 23, v22
	v_or3_b32 v18, v21, v18, v20
	v_lshrrev_b32_e32 v20, 16, v18
.LBB894_415:
	s_or_b64 exec, exec, s[14:15]
.LBB894_416:
	s_or_b64 exec, exec, s[12:13]
.LBB894_417:
	s_or_b64 exec, exec, s[10:11]
	s_mov_b32 s7, 0xffffff
	v_cmp_lt_u32_e32 vcc, s7, v14
	v_mov_b32_e32 v21, 0
	v_mov_b32_e32 v22, 0
	s_and_saveexec_b64 s[10:11], vcc
	s_cbranch_execz .LBB894_423
; %bb.418:
	v_lshrrev_b32_e32 v18, 24, v14
	s_movk_i32 s7, 0x80
	v_cmp_ne_u32_e32 vcc, s7, v18
	v_mov_b32_e32 v22, 0xffff8000
	s_and_saveexec_b64 s[12:13], vcc
	s_cbranch_execz .LBB894_422
; %bb.419:
	v_bfe_u32 v14, v14, 24, 7
	s_movk_i32 s7, 0x7f
	v_cmp_ne_u32_e32 vcc, s7, v14
	v_mov_b32_e32 v22, 0x7f80
	s_and_saveexec_b64 s[14:15], vcc
	s_cbranch_execz .LBB894_421
; %bb.420:
	v_and_b32_e32 v24, 7, v18
	v_ffbh_u32_e32 v22, v24
	v_min_u32_e32 v26, 32, v22
	v_subrev_u32_e32 v22, 28, v26
	v_lshlrev_b64 v[22:23], v22, v[18:19]
	v_lshrrev_b32_e32 v25, 3, v14
	v_sub_u32_e32 v23, 29, v26
	v_and_b32_e32 v22, 7, v22
	v_cmp_gt_u32_e32 vcc, 8, v14
	v_cndmask_b32_e32 v14, v25, v23, vcc
	v_cndmask_b32_e32 v22, v24, v22, vcc
	v_lshlrev_b32_e32 v18, 24, v18
	v_bfrev_b32_e32 v23, 60
	v_lshlrev_b32_e32 v22, 20, v22
	v_and_b32_e32 v18, 0x80000000, v18
	v_lshl_add_u32 v14, v14, 23, v23
	v_or3_b32 v14, v18, v14, v22
	v_lshrrev_b32_e32 v22, 16, v14
.LBB894_421:
	s_or_b64 exec, exec, s[14:15]
.LBB894_422:
	s_or_b64 exec, exec, s[12:13]
.LBB894_423:
	s_or_b64 exec, exec, s[10:11]
	v_cmp_ne_u16_sdwa s[12:13], v15, v21 src0_sel:BYTE_0 src1_sel:DWORD
	s_and_saveexec_b64 s[10:11], s[12:13]
	s_cbranch_execz .LBB894_429
; %bb.424:
	s_movk_i32 s7, 0x80
	v_cmp_ne_u16_sdwa s[14:15], v15, s7 src0_sel:BYTE_0 src1_sel:DWORD
	v_mov_b32_e32 v21, 0xffff8000
	s_and_saveexec_b64 s[12:13], s[14:15]
	s_cbranch_execz .LBB894_428
; %bb.425:
	s_movk_i32 s7, 0x7f
	v_and_b32_e32 v14, 0x7f, v15
	v_cmp_ne_u32_e32 vcc, s7, v14
	v_mov_b32_e32 v21, 0x7f80
	s_and_saveexec_b64 s[14:15], vcc
	s_cbranch_execz .LBB894_427
; %bb.426:
	v_and_b32_e32 v21, 7, v15
	v_ffbh_u32_e32 v24, v21
	v_min_u32_e32 v26, 32, v24
	v_mov_b32_e32 v18, v15
	v_subrev_u32_e32 v24, 28, v26
	v_lshlrev_b64 v[24:25], v24, v[18:19]
	v_lshrrev_b32_e32 v23, 3, v14
	v_sub_u32_e32 v18, 29, v26
	v_and_b32_e32 v24, 7, v24
	v_cmp_gt_u32_e32 vcc, 8, v14
	v_cndmask_b32_e32 v14, v23, v18, vcc
	v_cndmask_b32_e32 v18, v21, v24, vcc
	v_lshlrev_b32_e32 v21, 24, v15
	v_bfrev_b32_e32 v23, 60
	v_lshlrev_b32_e32 v18, 20, v18
	v_and_b32_e32 v21, 0x80000000, v21
	v_lshl_add_u32 v14, v14, 23, v23
	v_or3_b32 v14, v21, v14, v18
	v_lshrrev_b32_e32 v21, 16, v14
.LBB894_427:
	s_or_b64 exec, exec, s[14:15]
.LBB894_428:
	s_or_b64 exec, exec, s[12:13]
.LBB894_429:
	s_or_b64 exec, exec, s[10:11]
	v_lshrrev_b16_e32 v14, 8, v15
	v_cmp_ne_u16_e32 vcc, 0, v14
	v_mov_b32_e32 v24, 0
	v_mov_b32_e32 v18, 0
	s_and_saveexec_b64 s[10:11], vcc
	s_cbranch_execz .LBB894_435
; %bb.430:
	s_movk_i32 s7, 0x80
	v_cmp_ne_u16_e32 vcc, s7, v14
	v_mov_b32_e32 v18, 0xffff8000
	s_and_saveexec_b64 s[12:13], vcc
	s_cbranch_execz .LBB894_434
; %bb.431:
	s_movk_i32 s7, 0x7f
	v_and_b32_e32 v23, 0x7f, v14
	v_cmp_ne_u32_e32 vcc, s7, v23
	v_mov_b32_e32 v18, 0x7f80
	s_and_saveexec_b64 s[14:15], vcc
	s_cbranch_execz .LBB894_433
; %bb.432:
	v_and_b32_e32 v18, 7, v14
	v_ffbh_u32_e32 v26, v18
	v_min_u32_e32 v29, 32, v26
	v_subrev_u32_e32 v26, 28, v29
	v_lshlrev_b64 v[26:27], v26, v[14:15]
	v_lshrrev_b32_e32 v25, 3, v23
	v_sub_u32_e32 v14, 29, v29
	v_and_b32_e32 v26, 7, v26
	v_cmp_gt_u32_e32 vcc, 8, v23
	v_cndmask_b32_e32 v14, v25, v14, vcc
	v_cndmask_b32_e32 v18, v18, v26, vcc
	v_lshlrev_b32_e32 v23, 16, v15
	v_bfrev_b32_e32 v25, 60
	v_lshlrev_b32_e32 v18, 20, v18
	v_and_b32_e32 v23, 0x80000000, v23
	v_lshl_add_u32 v14, v14, 23, v25
	v_or3_b32 v14, v23, v14, v18
	v_lshrrev_b32_e32 v18, 16, v14
.LBB894_433:
	s_or_b64 exec, exec, s[14:15]
.LBB894_434:
	s_or_b64 exec, exec, s[12:13]
.LBB894_435:
	s_or_b64 exec, exec, s[10:11]
	s_movk_i32 s7, 0xff
	v_and_b32_sdwa v23, v15, s7 dst_sel:DWORD dst_unused:UNUSED_PAD src0_sel:WORD_1 src1_sel:DWORD
	v_lshrrev_b32_e32 v14, 16, v15
	v_cmp_ne_u16_e32 vcc, 0, v23
	s_and_saveexec_b64 s[10:11], vcc
	s_cbranch_execz .LBB894_441
; %bb.436:
	s_movk_i32 s7, 0x80
	v_cmp_ne_u16_e32 vcc, s7, v23
	v_mov_b32_e32 v24, 0xffff8000
	s_and_saveexec_b64 s[12:13], vcc
	s_cbranch_execz .LBB894_440
; %bb.437:
	v_bfe_u32 v23, v15, 16, 7
	s_movk_i32 s7, 0x7f
	v_cmp_ne_u32_e32 vcc, s7, v23
	v_mov_b32_e32 v24, 0x7f80
	s_and_saveexec_b64 s[14:15], vcc
	s_cbranch_execz .LBB894_439
; %bb.438:
	v_and_b32_e32 v26, 7, v14
	v_ffbh_u32_e32 v24, v26
	v_min_u32_e32 v29, 32, v24
	v_subrev_u32_e32 v24, 28, v29
	v_lshlrev_b64 v[24:25], v24, v[14:15]
	v_and_b32_e32 v24, 7, v24
	v_cmp_gt_u32_e32 vcc, 8, v23
	v_lshrrev_b32_e32 v27, 3, v23
	v_sub_u32_e32 v14, 29, v29
	v_cndmask_b32_e32 v23, v26, v24, vcc
	v_mov_b32_e32 v24, 24
	v_cndmask_b32_e32 v14, v27, v14, vcc
	v_lshlrev_b32_sdwa v24, v24, v15 dst_sel:DWORD dst_unused:UNUSED_PAD src0_sel:DWORD src1_sel:WORD_1
	v_bfrev_b32_e32 v25, 60
	v_lshlrev_b32_e32 v23, 20, v23
	v_and_b32_e32 v24, 0x80000000, v24
	v_lshl_add_u32 v14, v14, 23, v25
	v_or3_b32 v14, v24, v14, v23
	v_lshrrev_b32_e32 v24, 16, v14
.LBB894_439:
	s_or_b64 exec, exec, s[14:15]
.LBB894_440:
	s_or_b64 exec, exec, s[12:13]
.LBB894_441:
	s_or_b64 exec, exec, s[10:11]
	s_mov_b32 s7, 0xffffff
	v_cmp_lt_u32_e32 vcc, s7, v15
	v_mov_b32_e32 v23, 0
	v_mov_b32_e32 v25, 0
	s_and_saveexec_b64 s[10:11], vcc
	s_cbranch_execz .LBB894_447
; %bb.442:
	v_lshrrev_b32_e32 v14, 24, v15
	s_movk_i32 s7, 0x80
	v_cmp_ne_u32_e32 vcc, s7, v14
	v_mov_b32_e32 v25, 0xffff8000
	s_and_saveexec_b64 s[12:13], vcc
	s_cbranch_execz .LBB894_446
; %bb.443:
	v_bfe_u32 v15, v15, 24, 7
	s_movk_i32 s7, 0x7f
	v_cmp_ne_u32_e32 vcc, s7, v15
	v_mov_b32_e32 v25, 0x7f80
	s_and_saveexec_b64 s[14:15], vcc
	s_cbranch_execz .LBB894_445
; %bb.444:
	v_and_b32_e32 v25, 7, v14
	v_ffbh_u32_e32 v26, v25
	v_min_u32_e32 v30, 32, v26
	v_subrev_u32_e32 v26, 28, v30
	v_lshlrev_b64 v[26:27], v26, v[14:15]
	v_lshrrev_b32_e32 v29, 3, v15
	v_sub_u32_e32 v27, 29, v30
	v_and_b32_e32 v26, 7, v26
	v_cmp_gt_u32_e32 vcc, 8, v15
	v_cndmask_b32_e32 v15, v29, v27, vcc
	v_cndmask_b32_e32 v25, v25, v26, vcc
	v_lshlrev_b32_e32 v14, 24, v14
	v_bfrev_b32_e32 v26, 60
	v_lshlrev_b32_e32 v25, 20, v25
	v_and_b32_e32 v14, 0x80000000, v14
	v_lshl_add_u32 v15, v15, 23, v26
	v_or3_b32 v14, v14, v15, v25
	v_lshrrev_b32_e32 v25, 16, v14
.LBB894_445:
	s_or_b64 exec, exec, s[14:15]
.LBB894_446:
	s_or_b64 exec, exec, s[12:13]
.LBB894_447:
	s_or_b64 exec, exec, s[10:11]
	s_mov_b32 s7, 0x5040100
	v_perm_b32 v15, v22, v20, s7
	v_lshl_or_b32 v22, v46, 9, v48
	v_perm_b32 v14, v19, v32, s7
	ds_read_b128 v[30:33], v22
	v_cmp_ne_u16_sdwa s[12:13], v16, v23 src0_sel:BYTE_0 src1_sel:DWORD
	s_waitcnt lgkmcnt(0)
	v_mfma_f32_16x16x16bf16_1k v[34:37], v[14:15], v[30:31], 0
	v_perm_b32 v15, v25, v24, s7
	v_perm_b32 v14, v18, v21, s7
	s_nop 1
	v_mfma_f32_16x16x16bf16_1k v[18:21], v[14:15], v[32:33], v[34:37]
	s_and_saveexec_b64 s[10:11], s[12:13]
	s_cbranch_execz .LBB894_453
; %bb.448:
	s_movk_i32 s7, 0x80
	v_cmp_ne_u16_sdwa s[14:15], v16, s7 src0_sel:BYTE_0 src1_sel:DWORD
	v_mov_b32_e32 v23, 0xffff8000
	s_and_saveexec_b64 s[12:13], s[14:15]
	s_cbranch_execz .LBB894_452
; %bb.449:
	s_movk_i32 s7, 0x7f
	v_and_b32_e32 v14, 0x7f, v16
	v_cmp_ne_u32_e32 vcc, s7, v14
	v_mov_b32_e32 v23, 0x7f80
	s_and_saveexec_b64 s[14:15], vcc
	s_cbranch_execz .LBB894_451
; %bb.450:
	v_and_b32_e32 v15, 7, v16
	v_ffbh_u32_e32 v24, v15
	v_min_u32_e32 v26, 32, v24
	v_subrev_u32_e32 v24, 28, v26
	v_lshlrev_b64 v[24:25], v24, v[16:17]
	v_lshrrev_b32_e32 v23, 3, v14
	v_sub_u32_e32 v25, 29, v26
	v_and_b32_e32 v24, 7, v24
	v_cmp_gt_u32_e32 vcc, 8, v14
	v_cndmask_b32_e32 v14, v23, v25, vcc
	v_cndmask_b32_e32 v15, v15, v24, vcc
	v_lshlrev_b32_e32 v23, 24, v16
	v_bfrev_b32_e32 v24, 60
	v_lshlrev_b32_e32 v15, 20, v15
	v_and_b32_e32 v23, 0x80000000, v23
	v_lshl_add_u32 v14, v14, 23, v24
	v_or3_b32 v14, v23, v14, v15
	v_lshrrev_b32_e32 v23, 16, v14
.LBB894_451:
	s_or_b64 exec, exec, s[14:15]
.LBB894_452:
	s_or_b64 exec, exec, s[12:13]
.LBB894_453:
	s_or_b64 exec, exec, s[10:11]
	v_lshrrev_b16_e32 v14, 8, v16
	v_cmp_ne_u16_e32 vcc, 0, v14
	v_mov_b32_e32 v25, 0
	v_mov_b32_e32 v15, 0
	s_and_saveexec_b64 s[10:11], vcc
	s_cbranch_execz .LBB894_459
; %bb.454:
	s_movk_i32 s7, 0x80
	v_cmp_ne_u16_e32 vcc, s7, v14
	v_mov_b32_e32 v15, 0xffff8000
	s_and_saveexec_b64 s[12:13], vcc
	s_cbranch_execz .LBB894_458
; %bb.455:
	s_movk_i32 s7, 0x7f
	v_and_b32_e32 v24, 0x7f, v14
	v_cmp_ne_u32_e32 vcc, s7, v24
	v_mov_b32_e32 v15, 0x7f80
	s_and_saveexec_b64 s[14:15], vcc
	s_cbranch_execz .LBB894_457
; %bb.456:
	v_and_b32_e32 v26, 7, v14
	v_ffbh_u32_e32 v15, v26
	v_min_u32_e32 v29, 32, v15
	v_subrev_u32_e32 v15, 28, v29
	v_lshlrev_b64 v[14:15], v15, v[14:15]
	v_lshrrev_b32_e32 v27, 3, v24
	v_sub_u32_e32 v15, 29, v29
	v_and_b32_e32 v14, 7, v14
	v_cmp_gt_u32_e32 vcc, 8, v24
	v_cndmask_b32_e32 v15, v27, v15, vcc
	v_cndmask_b32_e32 v14, v26, v14, vcc
	v_lshlrev_b32_e32 v24, 16, v16
	v_bfrev_b32_e32 v26, 60
	v_lshlrev_b32_e32 v14, 20, v14
	v_and_b32_e32 v24, 0x80000000, v24
	v_lshl_add_u32 v15, v15, 23, v26
	v_or3_b32 v14, v24, v15, v14
	v_lshrrev_b32_e32 v15, 16, v14
.LBB894_457:
	s_or_b64 exec, exec, s[14:15]
.LBB894_458:
	s_or_b64 exec, exec, s[12:13]
.LBB894_459:
	s_or_b64 exec, exec, s[10:11]
	s_movk_i32 s7, 0xff
	v_and_b32_sdwa v24, v16, s7 dst_sel:DWORD dst_unused:UNUSED_PAD src0_sel:WORD_1 src1_sel:DWORD
	v_lshrrev_b32_e32 v14, 16, v16
	v_cmp_ne_u16_e32 vcc, 0, v24
	s_and_saveexec_b64 s[10:11], vcc
	s_cbranch_execz .LBB894_465
; %bb.460:
	s_movk_i32 s7, 0x80
	v_cmp_ne_u16_e32 vcc, s7, v24
	v_mov_b32_e32 v25, 0xffff8000
	s_and_saveexec_b64 s[12:13], vcc
	s_cbranch_execz .LBB894_464
; %bb.461:
	v_bfe_u32 v24, v16, 16, 7
	s_movk_i32 s7, 0x7f
	v_cmp_ne_u32_e32 vcc, s7, v24
	v_mov_b32_e32 v25, 0x7f80
	s_and_saveexec_b64 s[14:15], vcc
	s_cbranch_execz .LBB894_463
; %bb.462:
	v_and_b32_e32 v25, 7, v14
	v_ffbh_u32_e32 v26, v25
	v_min_u32_e32 v30, 32, v26
	v_subrev_u32_e32 v26, 28, v30
	v_lshlrev_b64 v[26:27], v26, v[14:15]
	v_and_b32_e32 v26, 7, v26
	v_cmp_gt_u32_e32 vcc, 8, v24
	v_lshrrev_b32_e32 v29, 3, v24
	v_sub_u32_e32 v14, 29, v30
	v_cndmask_b32_e32 v24, v25, v26, vcc
	v_mov_b32_e32 v25, 24
	v_cndmask_b32_e32 v14, v29, v14, vcc
	v_lshlrev_b32_sdwa v25, v25, v16 dst_sel:DWORD dst_unused:UNUSED_PAD src0_sel:DWORD src1_sel:WORD_1
	v_bfrev_b32_e32 v26, 60
	v_lshlrev_b32_e32 v24, 20, v24
	v_and_b32_e32 v25, 0x80000000, v25
	v_lshl_add_u32 v14, v14, 23, v26
	v_or3_b32 v14, v25, v14, v24
	v_lshrrev_b32_e32 v25, 16, v14
.LBB894_463:
	s_or_b64 exec, exec, s[14:15]
.LBB894_464:
	s_or_b64 exec, exec, s[12:13]
.LBB894_465:
	s_or_b64 exec, exec, s[10:11]
	s_mov_b32 s7, 0xffffff
	v_cmp_lt_u32_e32 vcc, s7, v16
	v_mov_b32_e32 v26, 0
	v_mov_b32_e32 v27, 0
	s_and_saveexec_b64 s[10:11], vcc
	s_cbranch_execz .LBB894_471
; %bb.466:
	v_lshrrev_b32_e32 v14, 24, v16
	s_movk_i32 s7, 0x80
	v_cmp_ne_u32_e32 vcc, s7, v14
	v_mov_b32_e32 v27, 0xffff8000
	s_and_saveexec_b64 s[12:13], vcc
	s_cbranch_execz .LBB894_470
; %bb.467:
	v_bfe_u32 v16, v16, 24, 7
	s_movk_i32 s7, 0x7f
	v_cmp_ne_u32_e32 vcc, s7, v16
	v_mov_b32_e32 v27, 0x7f80
	s_and_saveexec_b64 s[14:15], vcc
	s_cbranch_execz .LBB894_469
; %bb.468:
	v_and_b32_e32 v24, 7, v14
	v_ffbh_u32_e32 v29, v24
	v_min_u32_e32 v29, 32, v29
	v_subrev_u32_e32 v30, 28, v29
	v_lshlrev_b64 v[30:31], v30, v[14:15]
	v_lshrrev_b32_e32 v27, 3, v16
	v_sub_u32_e32 v29, 29, v29
	v_and_b32_e32 v30, 7, v30
	v_cmp_gt_u32_e32 vcc, 8, v16
	v_cndmask_b32_e32 v16, v27, v29, vcc
	v_cndmask_b32_e32 v24, v24, v30, vcc
	v_lshlrev_b32_e32 v14, 24, v14
	v_bfrev_b32_e32 v27, 60
	v_lshlrev_b32_e32 v24, 20, v24
	v_and_b32_e32 v14, 0x80000000, v14
	v_lshl_add_u32 v16, v16, 23, v27
	v_or3_b32 v14, v14, v16, v24
	v_lshrrev_b32_e32 v27, 16, v14
.LBB894_469:
	s_or_b64 exec, exec, s[14:15]
.LBB894_470:
	s_or_b64 exec, exec, s[12:13]
.LBB894_471:
	s_or_b64 exec, exec, s[10:11]
	v_cmp_ne_u16_sdwa s[12:13], v17, v26 src0_sel:BYTE_0 src1_sel:DWORD
	s_and_saveexec_b64 s[10:11], s[12:13]
	s_cbranch_execz .LBB894_477
; %bb.472:
	s_movk_i32 s7, 0x80
	v_cmp_ne_u16_sdwa s[14:15], v17, s7 src0_sel:BYTE_0 src1_sel:DWORD
	v_mov_b32_e32 v26, 0xffff8000
	s_and_saveexec_b64 s[12:13], s[14:15]
	s_cbranch_execz .LBB894_476
; %bb.473:
	s_movk_i32 s7, 0x7f
	v_and_b32_e32 v14, 0x7f, v17
	v_cmp_ne_u32_e32 vcc, s7, v14
	v_mov_b32_e32 v26, 0x7f80
	s_and_saveexec_b64 s[14:15], vcc
	s_cbranch_execz .LBB894_475
; %bb.474:
	v_and_b32_e32 v24, 7, v17
	v_ffbh_u32_e32 v29, v24
	v_min_u32_e32 v29, 32, v29
	v_mov_b32_e32 v16, v17
	v_subrev_u32_e32 v30, 28, v29
	v_lshlrev_b64 v[30:31], v30, v[16:17]
	v_lshrrev_b32_e32 v26, 3, v14
	v_sub_u32_e32 v16, 29, v29
	v_and_b32_e32 v29, 7, v30
	v_cmp_gt_u32_e32 vcc, 8, v14
	v_cndmask_b32_e32 v14, v26, v16, vcc
	v_cndmask_b32_e32 v16, v24, v29, vcc
	v_lshlrev_b32_e32 v24, 24, v17
	v_bfrev_b32_e32 v26, 60
	v_lshlrev_b32_e32 v16, 20, v16
	v_and_b32_e32 v24, 0x80000000, v24
	v_lshl_add_u32 v14, v14, 23, v26
	v_or3_b32 v14, v24, v14, v16
	v_lshrrev_b32_e32 v26, 16, v14
.LBB894_475:
	s_or_b64 exec, exec, s[14:15]
.LBB894_476:
	s_or_b64 exec, exec, s[12:13]
.LBB894_477:
	s_or_b64 exec, exec, s[10:11]
	v_lshrrev_b16_e32 v14, 8, v17
	v_cmp_ne_u16_e32 vcc, 0, v14
	v_mov_b32_e32 v29, 0
	v_mov_b32_e32 v16, 0
	s_and_saveexec_b64 s[10:11], vcc
	s_cbranch_execz .LBB894_483
; %bb.478:
	s_movk_i32 s7, 0x80
	v_cmp_ne_u16_e32 vcc, s7, v14
	v_mov_b32_e32 v16, 0xffff8000
	s_and_saveexec_b64 s[12:13], vcc
	s_cbranch_execz .LBB894_482
; %bb.479:
	s_movk_i32 s7, 0x7f
	v_and_b32_e32 v24, 0x7f, v14
	v_cmp_ne_u32_e32 vcc, s7, v24
	v_mov_b32_e32 v16, 0x7f80
	s_and_saveexec_b64 s[14:15], vcc
	s_cbranch_execz .LBB894_481
; %bb.480:
	v_and_b32_e32 v16, 7, v14
	v_ffbh_u32_e32 v30, v16
	v_min_u32_e32 v33, 32, v30
	v_subrev_u32_e32 v30, 28, v33
	v_lshlrev_b64 v[30:31], v30, v[14:15]
	v_lshrrev_b32_e32 v32, 3, v24
	v_sub_u32_e32 v14, 29, v33
	v_and_b32_e32 v30, 7, v30
	v_cmp_gt_u32_e32 vcc, 8, v24
	v_cndmask_b32_e32 v14, v32, v14, vcc
	v_cndmask_b32_e32 v16, v16, v30, vcc
	v_lshlrev_b32_e32 v24, 16, v17
	v_bfrev_b32_e32 v30, 60
	v_lshlrev_b32_e32 v16, 20, v16
	v_and_b32_e32 v24, 0x80000000, v24
	v_lshl_add_u32 v14, v14, 23, v30
	v_or3_b32 v14, v24, v14, v16
	v_lshrrev_b32_e32 v16, 16, v14
.LBB894_481:
	s_or_b64 exec, exec, s[14:15]
.LBB894_482:
	s_or_b64 exec, exec, s[12:13]
.LBB894_483:
	s_or_b64 exec, exec, s[10:11]
	s_movk_i32 s7, 0xff
	v_and_b32_sdwa v24, v17, s7 dst_sel:DWORD dst_unused:UNUSED_PAD src0_sel:WORD_1 src1_sel:DWORD
	v_lshrrev_b32_e32 v14, 16, v17
	v_cmp_ne_u16_e32 vcc, 0, v24
	s_and_saveexec_b64 s[10:11], vcc
	s_cbranch_execz .LBB894_489
; %bb.484:
	s_movk_i32 s7, 0x80
	v_cmp_ne_u16_e32 vcc, s7, v24
	v_mov_b32_e32 v29, 0xffff8000
	s_and_saveexec_b64 s[12:13], vcc
	s_cbranch_execz .LBB894_488
; %bb.485:
	v_bfe_u32 v24, v17, 16, 7
	s_movk_i32 s7, 0x7f
	v_cmp_ne_u32_e32 vcc, s7, v24
	v_mov_b32_e32 v29, 0x7f80
	s_and_saveexec_b64 s[14:15], vcc
	s_cbranch_execz .LBB894_487
; %bb.486:
	v_and_b32_e32 v29, 7, v14
	v_ffbh_u32_e32 v30, v29
	v_min_u32_e32 v33, 32, v30
	v_subrev_u32_e32 v30, 28, v33
	v_lshlrev_b64 v[30:31], v30, v[14:15]
	v_and_b32_e32 v30, 7, v30
	v_cmp_gt_u32_e32 vcc, 8, v24
	v_lshrrev_b32_e32 v32, 3, v24
	v_sub_u32_e32 v14, 29, v33
	v_cndmask_b32_e32 v24, v29, v30, vcc
	v_mov_b32_e32 v29, 24
	v_cndmask_b32_e32 v14, v32, v14, vcc
	v_lshlrev_b32_sdwa v29, v29, v17 dst_sel:DWORD dst_unused:UNUSED_PAD src0_sel:DWORD src1_sel:WORD_1
	v_bfrev_b32_e32 v30, 60
	v_lshlrev_b32_e32 v24, 20, v24
	v_and_b32_e32 v29, 0x80000000, v29
	v_lshl_add_u32 v14, v14, 23, v30
	v_or3_b32 v14, v29, v14, v24
	v_lshrrev_b32_e32 v29, 16, v14
.LBB894_487:
	s_or_b64 exec, exec, s[14:15]
.LBB894_488:
	s_or_b64 exec, exec, s[12:13]
.LBB894_489:
	s_or_b64 exec, exec, s[10:11]
	s_mov_b32 s7, 0xffffff
	v_cmp_lt_u32_e32 vcc, s7, v17
	v_mov_b32_e32 v24, 0
	v_mov_b32_e32 v30, 0
	s_and_saveexec_b64 s[10:11], vcc
	s_cbranch_execz .LBB894_495
; %bb.490:
	v_lshrrev_b32_e32 v14, 24, v17
	s_movk_i32 s7, 0x80
	v_cmp_ne_u32_e32 vcc, s7, v14
	v_mov_b32_e32 v30, 0xffff8000
	s_and_saveexec_b64 s[12:13], vcc
	s_cbranch_execz .LBB894_494
; %bb.491:
	v_bfe_u32 v17, v17, 24, 7
	s_movk_i32 s7, 0x7f
	v_cmp_ne_u32_e32 vcc, s7, v17
	v_mov_b32_e32 v30, 0x7f80
	s_and_saveexec_b64 s[14:15], vcc
	s_cbranch_execz .LBB894_493
; %bb.492:
	v_and_b32_e32 v32, 7, v14
	v_ffbh_u32_e32 v30, v32
	v_min_u32_e32 v34, 32, v30
	v_subrev_u32_e32 v30, 28, v34
	v_lshlrev_b64 v[30:31], v30, v[14:15]
	v_lshrrev_b32_e32 v33, 3, v17
	v_sub_u32_e32 v31, 29, v34
	v_and_b32_e32 v30, 7, v30
	v_cmp_gt_u32_e32 vcc, 8, v17
	v_cndmask_b32_e32 v17, v33, v31, vcc
	v_cndmask_b32_e32 v30, v32, v30, vcc
	v_lshlrev_b32_e32 v14, 24, v14
	v_bfrev_b32_e32 v31, 60
	v_lshlrev_b32_e32 v30, 20, v30
	v_and_b32_e32 v14, 0x80000000, v14
	v_lshl_add_u32 v17, v17, 23, v31
	v_or3_b32 v14, v14, v17, v30
	v_lshrrev_b32_e32 v30, 16, v14
.LBB894_493:
	s_or_b64 exec, exec, s[14:15]
.LBB894_494:
	s_or_b64 exec, exec, s[12:13]
.LBB894_495:
	s_or_b64 exec, exec, s[10:11]
	s_mov_b32 s7, 0x5040100
	v_perm_b32 v37, v27, v25, s7
	v_perm_b32 v36, v15, v23, s7
	ds_read_b128 v[32:35], v22 offset:16
	v_perm_b32 v15, v30, v29, s7
	v_perm_b32 v14, v16, v26, s7
	s_waitcnt lgkmcnt(0)
	v_mfma_f32_16x16x16bf16_1k v[18:21], v[36:37], v[32:33], v[18:21]
	s_waitcnt vmcnt(2)
	v_cmp_ne_u16_sdwa s[12:13], v10, v24 src0_sel:BYTE_0 src1_sel:DWORD
	v_mfma_f32_16x16x16bf16_1k v[14:17], v[14:15], v[34:35], v[18:21]
	s_and_saveexec_b64 s[10:11], s[12:13]
	s_cbranch_execz .LBB894_501
; %bb.496:
	s_movk_i32 s7, 0x80
	v_cmp_ne_u16_sdwa s[14:15], v10, s7 src0_sel:BYTE_0 src1_sel:DWORD
	v_mov_b32_e32 v24, 0xffff8000
	s_and_saveexec_b64 s[12:13], s[14:15]
	s_cbranch_execz .LBB894_500
; %bb.497:
	s_movk_i32 s7, 0x7f
	v_and_b32_e32 v18, 0x7f, v10
	v_cmp_ne_u32_e32 vcc, s7, v18
	v_mov_b32_e32 v24, 0x7f80
	s_and_saveexec_b64 s[14:15], vcc
	s_cbranch_execz .LBB894_499
; %bb.498:
	v_and_b32_e32 v19, 7, v10
	v_ffbh_u32_e32 v20, v19
	v_min_u32_e32 v24, 32, v20
	v_subrev_u32_e32 v20, 28, v24
	v_lshlrev_b64 v[20:21], v20, v[10:11]
	v_lshrrev_b32_e32 v23, 3, v18
	v_sub_u32_e32 v21, 29, v24
	v_and_b32_e32 v20, 7, v20
	v_cmp_gt_u32_e32 vcc, 8, v18
	v_cndmask_b32_e32 v18, v23, v21, vcc
	v_cndmask_b32_e32 v19, v19, v20, vcc
	v_lshlrev_b32_e32 v20, 24, v10
	v_bfrev_b32_e32 v21, 60
	v_lshlrev_b32_e32 v19, 20, v19
	v_and_b32_e32 v20, 0x80000000, v20
	v_lshl_add_u32 v18, v18, 23, v21
	v_or3_b32 v18, v20, v18, v19
	v_lshrrev_b32_e32 v24, 16, v18
.LBB894_499:
	s_or_b64 exec, exec, s[14:15]
.LBB894_500:
	s_or_b64 exec, exec, s[12:13]
.LBB894_501:
	s_or_b64 exec, exec, s[10:11]
	s_nop 4
	v_lshrrev_b16_e32 v18, 8, v10
	v_cmp_ne_u16_e32 vcc, 0, v18
	v_mov_b32_e32 v20, 0
	v_mov_b32_e32 v19, 0
	s_and_saveexec_b64 s[10:11], vcc
	s_cbranch_execz .LBB894_507
; %bb.502:
	s_movk_i32 s7, 0x80
	v_cmp_ne_u16_e32 vcc, s7, v18
	v_mov_b32_e32 v19, 0xffff8000
	s_and_saveexec_b64 s[12:13], vcc
	s_cbranch_execz .LBB894_506
; %bb.503:
	s_movk_i32 s7, 0x7f
	v_and_b32_e32 v21, 0x7f, v18
	v_cmp_ne_u32_e32 vcc, s7, v21
	v_mov_b32_e32 v19, 0x7f80
	s_and_saveexec_b64 s[14:15], vcc
	s_cbranch_execz .LBB894_505
; %bb.504:
	v_and_b32_e32 v23, 7, v18
	v_ffbh_u32_e32 v19, v23
	v_min_u32_e32 v26, 32, v19
	v_subrev_u32_e32 v19, 28, v26
	v_lshlrev_b64 v[18:19], v19, v[18:19]
	v_lshrrev_b32_e32 v25, 3, v21
	v_sub_u32_e32 v19, 29, v26
	v_and_b32_e32 v18, 7, v18
	v_cmp_gt_u32_e32 vcc, 8, v21
	v_cndmask_b32_e32 v19, v25, v19, vcc
	v_cndmask_b32_e32 v18, v23, v18, vcc
	v_lshlrev_b32_e32 v21, 16, v10
	v_bfrev_b32_e32 v23, 60
	v_lshlrev_b32_e32 v18, 20, v18
	v_and_b32_e32 v21, 0x80000000, v21
	v_lshl_add_u32 v19, v19, 23, v23
	v_or3_b32 v18, v21, v19, v18
	v_lshrrev_b32_e32 v19, 16, v18
.LBB894_505:
	s_or_b64 exec, exec, s[14:15]
.LBB894_506:
	s_or_b64 exec, exec, s[12:13]
.LBB894_507:
	s_or_b64 exec, exec, s[10:11]
	s_movk_i32 s7, 0xff
	v_and_b32_sdwa v21, v10, s7 dst_sel:DWORD dst_unused:UNUSED_PAD src0_sel:WORD_1 src1_sel:DWORD
	v_lshrrev_b32_e32 v18, 16, v10
	v_cmp_ne_u16_e32 vcc, 0, v21
	s_and_saveexec_b64 s[10:11], vcc
	s_cbranch_execz .LBB894_513
; %bb.508:
	s_movk_i32 s7, 0x80
	v_cmp_ne_u16_e32 vcc, s7, v21
	v_mov_b32_e32 v20, 0xffff8000
	s_and_saveexec_b64 s[12:13], vcc
	s_cbranch_execz .LBB894_512
; %bb.509:
	v_bfe_u32 v21, v10, 16, 7
	s_movk_i32 s7, 0x7f
	v_cmp_ne_u32_e32 vcc, s7, v21
	v_mov_b32_e32 v20, 0x7f80
	s_and_saveexec_b64 s[14:15], vcc
	s_cbranch_execz .LBB894_511
; %bb.510:
	v_and_b32_e32 v20, 7, v18
	v_ffbh_u32_e32 v25, v20
	v_min_u32_e32 v25, 32, v25
	v_subrev_u32_e32 v26, 28, v25
	v_lshlrev_b64 v[26:27], v26, v[18:19]
	v_lshrrev_b32_e32 v23, 3, v21
	v_sub_u32_e32 v18, 29, v25
	v_and_b32_e32 v25, 7, v26
	v_cmp_gt_u32_e32 vcc, 8, v21
	v_mov_b32_e32 v21, 24
	v_cndmask_b32_e32 v18, v23, v18, vcc
	v_cndmask_b32_e32 v20, v20, v25, vcc
	v_lshlrev_b32_sdwa v21, v21, v10 dst_sel:DWORD dst_unused:UNUSED_PAD src0_sel:DWORD src1_sel:WORD_1
	v_bfrev_b32_e32 v23, 60
	v_lshlrev_b32_e32 v20, 20, v20
	v_and_b32_e32 v21, 0x80000000, v21
	v_lshl_add_u32 v18, v18, 23, v23
	v_or3_b32 v18, v21, v18, v20
	v_lshrrev_b32_e32 v20, 16, v18
.LBB894_511:
	s_or_b64 exec, exec, s[14:15]
.LBB894_512:
	s_or_b64 exec, exec, s[12:13]
.LBB894_513:
	s_or_b64 exec, exec, s[10:11]
	s_mov_b32 s7, 0xffffff
	v_cmp_lt_u32_e32 vcc, s7, v10
	v_mov_b32_e32 v21, 0
	v_mov_b32_e32 v23, 0
	s_and_saveexec_b64 s[10:11], vcc
	s_cbranch_execz .LBB894_519
; %bb.514:
	v_lshrrev_b32_e32 v18, 24, v10
	s_movk_i32 s7, 0x80
	v_cmp_ne_u32_e32 vcc, s7, v18
	v_mov_b32_e32 v23, 0xffff8000
	s_and_saveexec_b64 s[12:13], vcc
	s_cbranch_execz .LBB894_518
; %bb.515:
	v_bfe_u32 v10, v10, 24, 7
	s_movk_i32 s7, 0x7f
	v_cmp_ne_u32_e32 vcc, s7, v10
	v_mov_b32_e32 v23, 0x7f80
	s_and_saveexec_b64 s[14:15], vcc
	s_cbranch_execz .LBB894_517
; %bb.516:
	v_and_b32_e32 v23, 7, v18
	v_ffbh_u32_e32 v26, v23
	v_min_u32_e32 v29, 32, v26
	v_subrev_u32_e32 v26, 28, v29
	v_lshlrev_b64 v[26:27], v26, v[18:19]
	v_lshrrev_b32_e32 v25, 3, v10
	v_sub_u32_e32 v27, 29, v29
	v_and_b32_e32 v26, 7, v26
	v_cmp_gt_u32_e32 vcc, 8, v10
	v_cndmask_b32_e32 v10, v25, v27, vcc
	v_cndmask_b32_e32 v23, v23, v26, vcc
	v_lshlrev_b32_e32 v18, 24, v18
	v_bfrev_b32_e32 v25, 60
	v_lshlrev_b32_e32 v23, 20, v23
	v_and_b32_e32 v18, 0x80000000, v18
	v_lshl_add_u32 v10, v10, 23, v25
	v_or3_b32 v10, v18, v10, v23
	v_lshrrev_b32_e32 v23, 16, v10
.LBB894_517:
	s_or_b64 exec, exec, s[14:15]
.LBB894_518:
	s_or_b64 exec, exec, s[12:13]
.LBB894_519:
	s_or_b64 exec, exec, s[10:11]
	v_cmp_ne_u16_sdwa s[12:13], v11, v21 src0_sel:BYTE_0 src1_sel:DWORD
	s_and_saveexec_b64 s[10:11], s[12:13]
	s_cbranch_execz .LBB894_525
; %bb.520:
	s_movk_i32 s7, 0x80
	v_cmp_ne_u16_sdwa s[14:15], v11, s7 src0_sel:BYTE_0 src1_sel:DWORD
	v_mov_b32_e32 v21, 0xffff8000
	s_and_saveexec_b64 s[12:13], s[14:15]
	s_cbranch_execz .LBB894_524
; %bb.521:
	s_movk_i32 s7, 0x7f
	v_and_b32_e32 v10, 0x7f, v11
	v_cmp_ne_u32_e32 vcc, s7, v10
	v_mov_b32_e32 v21, 0x7f80
	s_and_saveexec_b64 s[14:15], vcc
	s_cbranch_execz .LBB894_523
; %bb.522:
	v_and_b32_e32 v21, 7, v11
	v_ffbh_u32_e32 v26, v21
	v_min_u32_e32 v29, 32, v26
	v_mov_b32_e32 v18, v11
	v_subrev_u32_e32 v26, 28, v29
	v_lshlrev_b64 v[26:27], v26, v[18:19]
	v_lshrrev_b32_e32 v25, 3, v10
	v_sub_u32_e32 v18, 29, v29
	v_and_b32_e32 v26, 7, v26
	v_cmp_gt_u32_e32 vcc, 8, v10
	v_cndmask_b32_e32 v10, v25, v18, vcc
	v_cndmask_b32_e32 v18, v21, v26, vcc
	v_lshlrev_b32_e32 v21, 24, v11
	v_bfrev_b32_e32 v25, 60
	v_lshlrev_b32_e32 v18, 20, v18
	v_and_b32_e32 v21, 0x80000000, v21
	v_lshl_add_u32 v10, v10, 23, v25
	v_or3_b32 v10, v21, v10, v18
	v_lshrrev_b32_e32 v21, 16, v10
.LBB894_523:
	s_or_b64 exec, exec, s[14:15]
.LBB894_524:
	s_or_b64 exec, exec, s[12:13]
.LBB894_525:
	s_or_b64 exec, exec, s[10:11]
	v_lshrrev_b16_e32 v10, 8, v11
	v_cmp_ne_u16_e32 vcc, 0, v10
	v_mov_b32_e32 v26, 0
	v_mov_b32_e32 v25, 0
	s_and_saveexec_b64 s[10:11], vcc
	s_cbranch_execz .LBB894_531
; %bb.526:
	s_movk_i32 s7, 0x80
	v_cmp_ne_u16_e32 vcc, s7, v10
	v_mov_b32_e32 v25, 0xffff8000
	s_and_saveexec_b64 s[12:13], vcc
	s_cbranch_execz .LBB894_530
; %bb.527:
	s_movk_i32 s7, 0x7f
	v_and_b32_e32 v18, 0x7f, v10
	v_cmp_ne_u32_e32 vcc, s7, v18
	v_mov_b32_e32 v25, 0x7f80
	s_and_saveexec_b64 s[14:15], vcc
	s_cbranch_execz .LBB894_529
; %bb.528:
	v_and_b32_e32 v25, 7, v10
	v_ffbh_u32_e32 v29, v25
	v_min_u32_e32 v29, 32, v29
	v_subrev_u32_e32 v30, 28, v29
	v_lshlrev_b64 v[30:31], v30, v[10:11]
	v_lshrrev_b32_e32 v27, 3, v18
	v_sub_u32_e32 v10, 29, v29
	v_and_b32_e32 v29, 7, v30
	v_cmp_gt_u32_e32 vcc, 8, v18
	v_cndmask_b32_e32 v10, v27, v10, vcc
	v_cndmask_b32_e32 v18, v25, v29, vcc
	v_lshlrev_b32_e32 v25, 16, v11
	v_bfrev_b32_e32 v27, 60
	v_lshlrev_b32_e32 v18, 20, v18
	v_and_b32_e32 v25, 0x80000000, v25
	v_lshl_add_u32 v10, v10, 23, v27
	v_or3_b32 v10, v25, v10, v18
	v_lshrrev_b32_e32 v25, 16, v10
.LBB894_529:
	s_or_b64 exec, exec, s[14:15]
.LBB894_530:
	s_or_b64 exec, exec, s[12:13]
.LBB894_531:
	s_or_b64 exec, exec, s[10:11]
	s_movk_i32 s7, 0xff
	v_and_b32_sdwa v18, v11, s7 dst_sel:DWORD dst_unused:UNUSED_PAD src0_sel:WORD_1 src1_sel:DWORD
	v_lshrrev_b32_e32 v10, 16, v11
	v_cmp_ne_u16_e32 vcc, 0, v18
	s_and_saveexec_b64 s[10:11], vcc
	s_cbranch_execz .LBB894_537
; %bb.532:
	s_movk_i32 s7, 0x80
	v_cmp_ne_u16_e32 vcc, s7, v18
	v_mov_b32_e32 v26, 0xffff8000
	s_and_saveexec_b64 s[12:13], vcc
	s_cbranch_execz .LBB894_536
; %bb.533:
	v_bfe_u32 v18, v11, 16, 7
	s_movk_i32 s7, 0x7f
	v_cmp_ne_u32_e32 vcc, s7, v18
	v_mov_b32_e32 v26, 0x7f80
	s_and_saveexec_b64 s[14:15], vcc
	s_cbranch_execz .LBB894_535
; %bb.534:
	v_and_b32_e32 v29, 7, v10
	v_ffbh_u32_e32 v26, v29
	v_min_u32_e32 v31, 32, v26
	v_subrev_u32_e32 v26, 28, v31
	v_lshlrev_b64 v[26:27], v26, v[10:11]
	v_and_b32_e32 v26, 7, v26
	v_cmp_gt_u32_e32 vcc, 8, v18
	v_lshrrev_b32_e32 v30, 3, v18
	v_sub_u32_e32 v10, 29, v31
	v_cndmask_b32_e32 v18, v29, v26, vcc
	v_mov_b32_e32 v26, 24
	v_cndmask_b32_e32 v10, v30, v10, vcc
	v_lshlrev_b32_sdwa v26, v26, v11 dst_sel:DWORD dst_unused:UNUSED_PAD src0_sel:DWORD src1_sel:WORD_1
	v_bfrev_b32_e32 v27, 60
	v_lshlrev_b32_e32 v18, 20, v18
	v_and_b32_e32 v26, 0x80000000, v26
	v_lshl_add_u32 v10, v10, 23, v27
	v_or3_b32 v10, v26, v10, v18
	v_lshrrev_b32_e32 v26, 16, v10
.LBB894_535:
	s_or_b64 exec, exec, s[14:15]
.LBB894_536:
	s_or_b64 exec, exec, s[12:13]
.LBB894_537:
	s_or_b64 exec, exec, s[10:11]
	s_mov_b32 s7, 0xffffff
	v_cmp_lt_u32_e32 vcc, s7, v11
	v_mov_b32_e32 v18, 0
	v_mov_b32_e32 v27, 0
	s_and_saveexec_b64 s[10:11], vcc
	s_cbranch_execz .LBB894_543
; %bb.538:
	v_lshrrev_b32_e32 v10, 24, v11
	s_movk_i32 s7, 0x80
	v_cmp_ne_u32_e32 vcc, s7, v10
	v_mov_b32_e32 v27, 0xffff8000
	s_and_saveexec_b64 s[12:13], vcc
	s_cbranch_execz .LBB894_542
; %bb.539:
	v_bfe_u32 v11, v11, 24, 7
	s_movk_i32 s7, 0x7f
	v_cmp_ne_u32_e32 vcc, s7, v11
	v_mov_b32_e32 v27, 0x7f80
	s_and_saveexec_b64 s[14:15], vcc
	s_cbranch_execz .LBB894_541
; %bb.540:
	v_and_b32_e32 v27, 7, v10
	v_ffbh_u32_e32 v30, v27
	v_min_u32_e32 v32, 32, v30
	v_subrev_u32_e32 v30, 28, v32
	v_lshlrev_b64 v[30:31], v30, v[10:11]
	v_lshrrev_b32_e32 v29, 3, v11
	v_sub_u32_e32 v31, 29, v32
	v_and_b32_e32 v30, 7, v30
	v_cmp_gt_u32_e32 vcc, 8, v11
	v_cndmask_b32_e32 v11, v29, v31, vcc
	v_cndmask_b32_e32 v27, v27, v30, vcc
	v_lshlrev_b32_e32 v10, 24, v10
	v_bfrev_b32_e32 v29, 60
	v_lshlrev_b32_e32 v27, 20, v27
	v_and_b32_e32 v10, 0x80000000, v10
	v_lshl_add_u32 v11, v11, 23, v29
	v_or3_b32 v10, v10, v11, v27
	v_lshrrev_b32_e32 v27, 16, v10
.LBB894_541:
	s_or_b64 exec, exec, s[14:15]
.LBB894_542:
	s_or_b64 exec, exec, s[12:13]
.LBB894_543:
	s_or_b64 exec, exec, s[10:11]
	s_mov_b32 s7, 0x5040100
	v_perm_b32 v11, v23, v20, s7
	v_perm_b32 v10, v19, v24, s7
	ds_read_b128 v[30:33], v22 offset:2048
	v_cmp_ne_u16_sdwa s[12:13], v12, v18 src0_sel:BYTE_0 src1_sel:DWORD
	s_waitcnt lgkmcnt(0)
	v_mfma_f32_16x16x16bf16_1k v[14:17], v[10:11], v[30:31], v[14:17]
	v_perm_b32 v11, v27, v26, s7
	v_perm_b32 v10, v25, v21, s7
	s_nop 1
	v_mfma_f32_16x16x16bf16_1k v[14:17], v[10:11], v[32:33], v[14:17]
	s_and_saveexec_b64 s[10:11], s[12:13]
	s_cbranch_execz .LBB894_549
; %bb.544:
	s_movk_i32 s7, 0x80
	v_cmp_ne_u16_sdwa s[14:15], v12, s7 src0_sel:BYTE_0 src1_sel:DWORD
	v_mov_b32_e32 v18, 0xffff8000
	s_and_saveexec_b64 s[12:13], s[14:15]
	s_cbranch_execz .LBB894_548
; %bb.545:
	s_movk_i32 s7, 0x7f
	v_and_b32_e32 v10, 0x7f, v12
	v_cmp_ne_u32_e32 vcc, s7, v10
	v_mov_b32_e32 v18, 0x7f80
	s_and_saveexec_b64 s[14:15], vcc
	s_cbranch_execz .LBB894_547
; %bb.546:
	v_and_b32_e32 v11, 7, v12
	v_ffbh_u32_e32 v18, v11
	v_min_u32_e32 v21, 32, v18
	v_subrev_u32_e32 v18, 28, v21
	v_lshlrev_b64 v[18:19], v18, v[12:13]
	v_lshrrev_b32_e32 v20, 3, v10
	v_sub_u32_e32 v19, 29, v21
	v_and_b32_e32 v18, 7, v18
	v_cmp_gt_u32_e32 vcc, 8, v10
	v_cndmask_b32_e32 v10, v20, v19, vcc
	v_cndmask_b32_e32 v11, v11, v18, vcc
	v_lshlrev_b32_e32 v18, 24, v12
	v_bfrev_b32_e32 v19, 60
	v_lshlrev_b32_e32 v11, 20, v11
	v_and_b32_e32 v18, 0x80000000, v18
	v_lshl_add_u32 v10, v10, 23, v19
	v_or3_b32 v10, v18, v10, v11
	v_lshrrev_b32_e32 v18, 16, v10
.LBB894_547:
	s_or_b64 exec, exec, s[14:15]
.LBB894_548:
	s_or_b64 exec, exec, s[12:13]
.LBB894_549:
	s_or_b64 exec, exec, s[10:11]
	v_lshrrev_b16_e32 v10, 8, v12
	v_cmp_ne_u16_e32 vcc, 0, v10
	v_mov_b32_e32 v20, 0
	v_mov_b32_e32 v11, 0
	s_and_saveexec_b64 s[10:11], vcc
	s_cbranch_execz .LBB894_555
; %bb.550:
	s_movk_i32 s7, 0x80
	v_cmp_ne_u16_e32 vcc, s7, v10
	v_mov_b32_e32 v11, 0xffff8000
	s_and_saveexec_b64 s[12:13], vcc
	s_cbranch_execz .LBB894_554
; %bb.551:
	s_movk_i32 s7, 0x7f
	v_and_b32_e32 v19, 0x7f, v10
	v_cmp_ne_u32_e32 vcc, s7, v19
	v_mov_b32_e32 v11, 0x7f80
	s_and_saveexec_b64 s[14:15], vcc
	s_cbranch_execz .LBB894_553
; %bb.552:
	v_and_b32_e32 v21, 7, v10
	v_ffbh_u32_e32 v11, v21
	v_min_u32_e32 v24, 32, v11
	v_subrev_u32_e32 v11, 28, v24
	v_lshlrev_b64 v[10:11], v11, v[10:11]
	v_lshrrev_b32_e32 v23, 3, v19
	v_sub_u32_e32 v11, 29, v24
	v_and_b32_e32 v10, 7, v10
	v_cmp_gt_u32_e32 vcc, 8, v19
	v_cndmask_b32_e32 v11, v23, v11, vcc
	v_cndmask_b32_e32 v10, v21, v10, vcc
	v_lshlrev_b32_e32 v19, 16, v12
	v_bfrev_b32_e32 v21, 60
	v_lshlrev_b32_e32 v10, 20, v10
	v_and_b32_e32 v19, 0x80000000, v19
	v_lshl_add_u32 v11, v11, 23, v21
	v_or3_b32 v10, v19, v11, v10
	v_lshrrev_b32_e32 v11, 16, v10
.LBB894_553:
	s_or_b64 exec, exec, s[14:15]
.LBB894_554:
	s_or_b64 exec, exec, s[12:13]
.LBB894_555:
	s_or_b64 exec, exec, s[10:11]
	s_movk_i32 s7, 0xff
	v_and_b32_sdwa v19, v12, s7 dst_sel:DWORD dst_unused:UNUSED_PAD src0_sel:WORD_1 src1_sel:DWORD
	v_lshrrev_b32_e32 v10, 16, v12
	v_cmp_ne_u16_e32 vcc, 0, v19
	s_and_saveexec_b64 s[10:11], vcc
	s_cbranch_execz .LBB894_561
; %bb.556:
	s_movk_i32 s7, 0x80
	v_cmp_ne_u16_e32 vcc, s7, v19
	v_mov_b32_e32 v20, 0xffff8000
	s_and_saveexec_b64 s[12:13], vcc
	s_cbranch_execz .LBB894_560
; %bb.557:
	v_bfe_u32 v19, v12, 16, 7
	s_movk_i32 s7, 0x7f
	v_cmp_ne_u32_e32 vcc, s7, v19
	v_mov_b32_e32 v20, 0x7f80
	s_and_saveexec_b64 s[14:15], vcc
	s_cbranch_execz .LBB894_559
; %bb.558:
	v_and_b32_e32 v23, 7, v10
	v_ffbh_u32_e32 v20, v23
	v_min_u32_e32 v25, 32, v20
	v_subrev_u32_e32 v20, 28, v25
	v_lshlrev_b64 v[20:21], v20, v[10:11]
	v_and_b32_e32 v20, 7, v20
	v_cmp_gt_u32_e32 vcc, 8, v19
	v_lshrrev_b32_e32 v24, 3, v19
	v_sub_u32_e32 v10, 29, v25
	v_cndmask_b32_e32 v19, v23, v20, vcc
	v_mov_b32_e32 v20, 24
	v_cndmask_b32_e32 v10, v24, v10, vcc
	v_lshlrev_b32_sdwa v20, v20, v12 dst_sel:DWORD dst_unused:UNUSED_PAD src0_sel:DWORD src1_sel:WORD_1
	v_bfrev_b32_e32 v21, 60
	v_lshlrev_b32_e32 v19, 20, v19
	v_and_b32_e32 v20, 0x80000000, v20
	v_lshl_add_u32 v10, v10, 23, v21
	v_or3_b32 v10, v20, v10, v19
	v_lshrrev_b32_e32 v20, 16, v10
.LBB894_559:
	s_or_b64 exec, exec, s[14:15]
.LBB894_560:
	s_or_b64 exec, exec, s[12:13]
.LBB894_561:
	s_or_b64 exec, exec, s[10:11]
	s_mov_b32 s7, 0xffffff
	v_cmp_lt_u32_e32 vcc, s7, v12
	v_mov_b32_e32 v21, 0
	v_mov_b32_e32 v23, 0
	s_and_saveexec_b64 s[10:11], vcc
	s_cbranch_execz .LBB894_567
; %bb.562:
	v_lshrrev_b32_e32 v10, 24, v12
	s_movk_i32 s7, 0x80
	v_cmp_ne_u32_e32 vcc, s7, v10
	v_mov_b32_e32 v23, 0xffff8000
	s_and_saveexec_b64 s[12:13], vcc
	s_cbranch_execz .LBB894_566
; %bb.563:
	v_bfe_u32 v12, v12, 24, 7
	s_movk_i32 s7, 0x7f
	v_cmp_ne_u32_e32 vcc, s7, v12
	v_mov_b32_e32 v23, 0x7f80
	s_and_saveexec_b64 s[14:15], vcc
	s_cbranch_execz .LBB894_565
; %bb.564:
	v_and_b32_e32 v19, 7, v10
	v_ffbh_u32_e32 v24, v19
	v_min_u32_e32 v26, 32, v24
	v_subrev_u32_e32 v24, 28, v26
	v_lshlrev_b64 v[24:25], v24, v[10:11]
	v_lshrrev_b32_e32 v23, 3, v12
	v_sub_u32_e32 v25, 29, v26
	v_and_b32_e32 v24, 7, v24
	v_cmp_gt_u32_e32 vcc, 8, v12
	v_cndmask_b32_e32 v12, v23, v25, vcc
	v_cndmask_b32_e32 v19, v19, v24, vcc
	v_lshlrev_b32_e32 v10, 24, v10
	v_bfrev_b32_e32 v23, 60
	v_lshlrev_b32_e32 v19, 20, v19
	v_and_b32_e32 v10, 0x80000000, v10
	v_lshl_add_u32 v12, v12, 23, v23
	v_or3_b32 v10, v10, v12, v19
	v_lshrrev_b32_e32 v23, 16, v10
.LBB894_565:
	s_or_b64 exec, exec, s[14:15]
.LBB894_566:
	s_or_b64 exec, exec, s[12:13]
.LBB894_567:
	s_or_b64 exec, exec, s[10:11]
	v_cmp_ne_u16_sdwa s[12:13], v13, v21 src0_sel:BYTE_0 src1_sel:DWORD
	s_and_saveexec_b64 s[10:11], s[12:13]
	s_cbranch_execz .LBB894_573
; %bb.568:
	s_movk_i32 s7, 0x80
	v_cmp_ne_u16_sdwa s[14:15], v13, s7 src0_sel:BYTE_0 src1_sel:DWORD
	v_mov_b32_e32 v21, 0xffff8000
	s_and_saveexec_b64 s[12:13], s[14:15]
	s_cbranch_execz .LBB894_572
; %bb.569:
	s_movk_i32 s7, 0x7f
	v_and_b32_e32 v10, 0x7f, v13
	v_cmp_ne_u32_e32 vcc, s7, v10
	v_mov_b32_e32 v21, 0x7f80
	s_and_saveexec_b64 s[14:15], vcc
	s_cbranch_execz .LBB894_571
; %bb.570:
	v_and_b32_e32 v19, 7, v13
	v_ffbh_u32_e32 v24, v19
	v_min_u32_e32 v26, 32, v24
	v_mov_b32_e32 v12, v13
	v_subrev_u32_e32 v24, 28, v26
	v_lshlrev_b64 v[24:25], v24, v[12:13]
	v_lshrrev_b32_e32 v21, 3, v10
	v_sub_u32_e32 v12, 29, v26
	v_and_b32_e32 v24, 7, v24
	v_cmp_gt_u32_e32 vcc, 8, v10
	v_cndmask_b32_e32 v10, v21, v12, vcc
	v_cndmask_b32_e32 v12, v19, v24, vcc
	v_lshlrev_b32_e32 v19, 24, v13
	v_bfrev_b32_e32 v21, 60
	v_lshlrev_b32_e32 v12, 20, v12
	v_and_b32_e32 v19, 0x80000000, v19
	v_lshl_add_u32 v10, v10, 23, v21
	v_or3_b32 v10, v19, v10, v12
	v_lshrrev_b32_e32 v21, 16, v10
.LBB894_571:
	s_or_b64 exec, exec, s[14:15]
.LBB894_572:
	s_or_b64 exec, exec, s[12:13]
.LBB894_573:
	s_or_b64 exec, exec, s[10:11]
	v_lshrrev_b16_e32 v10, 8, v13
	v_cmp_ne_u16_e32 vcc, 0, v10
	v_mov_b32_e32 v24, 0
	v_mov_b32_e32 v12, 0
	s_and_saveexec_b64 s[10:11], vcc
	s_cbranch_execz .LBB894_579
; %bb.574:
	s_movk_i32 s7, 0x80
	v_cmp_ne_u16_e32 vcc, s7, v10
	v_mov_b32_e32 v12, 0xffff8000
	s_and_saveexec_b64 s[12:13], vcc
	s_cbranch_execz .LBB894_578
; %bb.575:
	s_movk_i32 s7, 0x7f
	v_and_b32_e32 v19, 0x7f, v10
	v_cmp_ne_u32_e32 vcc, s7, v19
	v_mov_b32_e32 v12, 0x7f80
	s_and_saveexec_b64 s[14:15], vcc
	s_cbranch_execz .LBB894_577
; %bb.576:
	v_and_b32_e32 v12, 7, v10
	v_ffbh_u32_e32 v26, v12
	v_min_u32_e32 v29, 32, v26
	v_subrev_u32_e32 v26, 28, v29
	v_lshlrev_b64 v[26:27], v26, v[10:11]
	v_lshrrev_b32_e32 v25, 3, v19
	v_sub_u32_e32 v10, 29, v29
	v_and_b32_e32 v26, 7, v26
	v_cmp_gt_u32_e32 vcc, 8, v19
	v_cndmask_b32_e32 v10, v25, v10, vcc
	v_cndmask_b32_e32 v12, v12, v26, vcc
	v_lshlrev_b32_e32 v19, 16, v13
	v_bfrev_b32_e32 v25, 60
	v_lshlrev_b32_e32 v12, 20, v12
	v_and_b32_e32 v19, 0x80000000, v19
	v_lshl_add_u32 v10, v10, 23, v25
	v_or3_b32 v10, v19, v10, v12
	v_lshrrev_b32_e32 v12, 16, v10
.LBB894_577:
	s_or_b64 exec, exec, s[14:15]
.LBB894_578:
	s_or_b64 exec, exec, s[12:13]
.LBB894_579:
	s_or_b64 exec, exec, s[10:11]
	s_movk_i32 s7, 0xff
	v_and_b32_sdwa v19, v13, s7 dst_sel:DWORD dst_unused:UNUSED_PAD src0_sel:WORD_1 src1_sel:DWORD
	v_lshrrev_b32_e32 v10, 16, v13
	v_cmp_ne_u16_e32 vcc, 0, v19
	s_and_saveexec_b64 s[10:11], vcc
	s_cbranch_execz .LBB894_585
; %bb.580:
	s_movk_i32 s7, 0x80
	v_cmp_ne_u16_e32 vcc, s7, v19
	v_mov_b32_e32 v24, 0xffff8000
	s_and_saveexec_b64 s[12:13], vcc
	s_cbranch_execz .LBB894_584
; %bb.581:
	v_bfe_u32 v19, v13, 16, 7
	s_movk_i32 s7, 0x7f
	v_cmp_ne_u32_e32 vcc, s7, v19
	v_mov_b32_e32 v24, 0x7f80
	s_and_saveexec_b64 s[14:15], vcc
	s_cbranch_execz .LBB894_583
; %bb.582:
	v_and_b32_e32 v26, 7, v10
	v_ffbh_u32_e32 v24, v26
	v_min_u32_e32 v29, 32, v24
	v_subrev_u32_e32 v24, 28, v29
	v_lshlrev_b64 v[24:25], v24, v[10:11]
	v_and_b32_e32 v24, 7, v24
	v_cmp_gt_u32_e32 vcc, 8, v19
	v_lshrrev_b32_e32 v27, 3, v19
	v_sub_u32_e32 v10, 29, v29
	v_cndmask_b32_e32 v19, v26, v24, vcc
	v_mov_b32_e32 v24, 24
	v_cndmask_b32_e32 v10, v27, v10, vcc
	v_lshlrev_b32_sdwa v24, v24, v13 dst_sel:DWORD dst_unused:UNUSED_PAD src0_sel:DWORD src1_sel:WORD_1
	v_bfrev_b32_e32 v25, 60
	v_lshlrev_b32_e32 v19, 20, v19
	v_and_b32_e32 v24, 0x80000000, v24
	v_lshl_add_u32 v10, v10, 23, v25
	v_or3_b32 v10, v24, v10, v19
	v_lshrrev_b32_e32 v24, 16, v10
.LBB894_583:
	s_or_b64 exec, exec, s[14:15]
.LBB894_584:
	s_or_b64 exec, exec, s[12:13]
.LBB894_585:
	s_or_b64 exec, exec, s[10:11]
	s_mov_b32 s7, 0xffffff
	v_cmp_lt_u32_e32 vcc, s7, v13
	v_mov_b32_e32 v19, 0
	v_mov_b32_e32 v25, 0
	s_and_saveexec_b64 s[10:11], vcc
	s_cbranch_execz .LBB894_591
; %bb.586:
	v_lshrrev_b32_e32 v10, 24, v13
	s_movk_i32 s7, 0x80
	v_cmp_ne_u32_e32 vcc, s7, v10
	v_mov_b32_e32 v25, 0xffff8000
	s_and_saveexec_b64 s[12:13], vcc
	s_cbranch_execz .LBB894_590
; %bb.587:
	v_bfe_u32 v13, v13, 24, 7
	s_movk_i32 s7, 0x7f
	v_cmp_ne_u32_e32 vcc, s7, v13
	v_mov_b32_e32 v25, 0x7f80
	s_and_saveexec_b64 s[14:15], vcc
	s_cbranch_execz .LBB894_589
; %bb.588:
	v_and_b32_e32 v25, 7, v10
	v_ffbh_u32_e32 v26, v25
	v_min_u32_e32 v30, 32, v26
	v_subrev_u32_e32 v26, 28, v30
	v_lshlrev_b64 v[26:27], v26, v[10:11]
	v_lshrrev_b32_e32 v29, 3, v13
	v_sub_u32_e32 v27, 29, v30
	v_and_b32_e32 v26, 7, v26
	v_cmp_gt_u32_e32 vcc, 8, v13
	v_cndmask_b32_e32 v13, v29, v27, vcc
	v_cndmask_b32_e32 v25, v25, v26, vcc
	v_lshlrev_b32_e32 v10, 24, v10
	v_bfrev_b32_e32 v26, 60
	v_lshlrev_b32_e32 v25, 20, v25
	v_and_b32_e32 v10, 0x80000000, v10
	v_lshl_add_u32 v13, v13, 23, v26
	v_or3_b32 v10, v10, v13, v25
	v_lshrrev_b32_e32 v25, 16, v10
.LBB894_589:
	s_or_b64 exec, exec, s[14:15]
.LBB894_590:
	s_or_b64 exec, exec, s[12:13]
.LBB894_591:
	s_or_b64 exec, exec, s[10:11]
	s_mov_b32 s7, 0x5040100
	v_perm_b32 v27, v23, v20, s7
	v_perm_b32 v26, v11, v18, s7
	ds_read_b128 v[30:33], v22 offset:2064
	v_perm_b32 v11, v25, v24, s7
	v_perm_b32 v10, v12, v21, s7
	s_waitcnt lgkmcnt(0)
	v_mfma_f32_16x16x16bf16_1k v[14:17], v[26:27], v[30:31], v[14:17]
	s_waitcnt vmcnt(1)
	v_cmp_ne_u16_sdwa s[12:13], v6, v19 src0_sel:BYTE_0 src1_sel:DWORD
	v_mfma_f32_16x16x16bf16_1k v[10:13], v[10:11], v[32:33], v[14:17]
	s_and_saveexec_b64 s[10:11], s[12:13]
	s_cbranch_execz .LBB894_597
; %bb.592:
	s_movk_i32 s7, 0x80
	v_cmp_ne_u16_sdwa s[14:15], v6, s7 src0_sel:BYTE_0 src1_sel:DWORD
	v_mov_b32_e32 v19, 0xffff8000
	s_and_saveexec_b64 s[12:13], s[14:15]
	s_cbranch_execz .LBB894_596
; %bb.593:
	s_movk_i32 s7, 0x7f
	v_and_b32_e32 v14, 0x7f, v6
	v_cmp_ne_u32_e32 vcc, s7, v14
	v_mov_b32_e32 v19, 0x7f80
	s_and_saveexec_b64 s[14:15], vcc
	s_cbranch_execz .LBB894_595
; %bb.594:
	v_and_b32_e32 v15, 7, v6
	v_ffbh_u32_e32 v16, v15
	v_min_u32_e32 v19, 32, v16
	v_subrev_u32_e32 v16, 28, v19
	v_lshlrev_b64 v[16:17], v16, v[6:7]
	v_lshrrev_b32_e32 v18, 3, v14
	v_sub_u32_e32 v17, 29, v19
	v_and_b32_e32 v16, 7, v16
	v_cmp_gt_u32_e32 vcc, 8, v14
	v_cndmask_b32_e32 v14, v18, v17, vcc
	v_cndmask_b32_e32 v15, v15, v16, vcc
	v_lshlrev_b32_e32 v16, 24, v6
	v_bfrev_b32_e32 v17, 60
	v_lshlrev_b32_e32 v15, 20, v15
	v_and_b32_e32 v16, 0x80000000, v16
	v_lshl_add_u32 v14, v14, 23, v17
	v_or3_b32 v14, v16, v14, v15
	v_lshrrev_b32_e32 v19, 16, v14
.LBB894_595:
	s_or_b64 exec, exec, s[14:15]
.LBB894_596:
	s_or_b64 exec, exec, s[12:13]
.LBB894_597:
	s_or_b64 exec, exec, s[10:11]
	s_nop 4
	v_lshrrev_b16_e32 v14, 8, v6
	v_cmp_ne_u16_e32 vcc, 0, v14
	v_mov_b32_e32 v16, 0
	v_mov_b32_e32 v15, 0
	s_and_saveexec_b64 s[10:11], vcc
	s_cbranch_execz .LBB894_603
; %bb.598:
	s_movk_i32 s7, 0x80
	v_cmp_ne_u16_e32 vcc, s7, v14
	v_mov_b32_e32 v15, 0xffff8000
	s_and_saveexec_b64 s[12:13], vcc
	s_cbranch_execz .LBB894_602
; %bb.599:
	s_movk_i32 s7, 0x7f
	v_and_b32_e32 v17, 0x7f, v14
	v_cmp_ne_u32_e32 vcc, s7, v17
	v_mov_b32_e32 v15, 0x7f80
	s_and_saveexec_b64 s[14:15], vcc
	s_cbranch_execz .LBB894_601
; %bb.600:
	v_and_b32_e32 v18, 7, v14
	v_ffbh_u32_e32 v15, v18
	v_min_u32_e32 v21, 32, v15
	v_subrev_u32_e32 v15, 28, v21
	v_lshlrev_b64 v[14:15], v15, v[14:15]
	v_lshrrev_b32_e32 v20, 3, v17
	v_sub_u32_e32 v15, 29, v21
	v_and_b32_e32 v14, 7, v14
	v_cmp_gt_u32_e32 vcc, 8, v17
	v_cndmask_b32_e32 v15, v20, v15, vcc
	v_cndmask_b32_e32 v14, v18, v14, vcc
	v_lshlrev_b32_e32 v17, 16, v6
	v_bfrev_b32_e32 v18, 60
	v_lshlrev_b32_e32 v14, 20, v14
	v_and_b32_e32 v17, 0x80000000, v17
	v_lshl_add_u32 v15, v15, 23, v18
	v_or3_b32 v14, v17, v15, v14
	v_lshrrev_b32_e32 v15, 16, v14
.LBB894_601:
	s_or_b64 exec, exec, s[14:15]
.LBB894_602:
	s_or_b64 exec, exec, s[12:13]
.LBB894_603:
	s_or_b64 exec, exec, s[10:11]
	s_movk_i32 s7, 0xff
	v_and_b32_sdwa v17, v6, s7 dst_sel:DWORD dst_unused:UNUSED_PAD src0_sel:WORD_1 src1_sel:DWORD
	v_lshrrev_b32_e32 v14, 16, v6
	v_cmp_ne_u16_e32 vcc, 0, v17
	s_and_saveexec_b64 s[10:11], vcc
	s_cbranch_execz .LBB894_609
; %bb.604:
	s_movk_i32 s7, 0x80
	v_cmp_ne_u16_e32 vcc, s7, v17
	v_mov_b32_e32 v16, 0xffff8000
	s_and_saveexec_b64 s[12:13], vcc
	s_cbranch_execz .LBB894_608
; %bb.605:
	v_bfe_u32 v17, v6, 16, 7
	s_movk_i32 s7, 0x7f
	v_cmp_ne_u32_e32 vcc, s7, v17
	v_mov_b32_e32 v16, 0x7f80
	s_and_saveexec_b64 s[14:15], vcc
	s_cbranch_execz .LBB894_607
; %bb.606:
	v_and_b32_e32 v16, 7, v14
	v_ffbh_u32_e32 v20, v16
	v_min_u32_e32 v23, 32, v20
	v_subrev_u32_e32 v20, 28, v23
	v_lshlrev_b64 v[20:21], v20, v[14:15]
	v_lshrrev_b32_e32 v18, 3, v17
	v_sub_u32_e32 v14, 29, v23
	v_and_b32_e32 v20, 7, v20
	v_cmp_gt_u32_e32 vcc, 8, v17
	v_mov_b32_e32 v17, 24
	v_cndmask_b32_e32 v14, v18, v14, vcc
	v_cndmask_b32_e32 v16, v16, v20, vcc
	v_lshlrev_b32_sdwa v17, v17, v6 dst_sel:DWORD dst_unused:UNUSED_PAD src0_sel:DWORD src1_sel:WORD_1
	v_bfrev_b32_e32 v18, 60
	v_lshlrev_b32_e32 v16, 20, v16
	v_and_b32_e32 v17, 0x80000000, v17
	v_lshl_add_u32 v14, v14, 23, v18
	v_or3_b32 v14, v17, v14, v16
	v_lshrrev_b32_e32 v16, 16, v14
.LBB894_607:
	s_or_b64 exec, exec, s[14:15]
.LBB894_608:
	s_or_b64 exec, exec, s[12:13]
.LBB894_609:
	s_or_b64 exec, exec, s[10:11]
	s_mov_b32 s7, 0xffffff
	v_cmp_lt_u32_e32 vcc, s7, v6
	v_mov_b32_e32 v17, 0
	v_mov_b32_e32 v18, 0
	s_and_saveexec_b64 s[10:11], vcc
	s_cbranch_execz .LBB894_615
; %bb.610:
	v_lshrrev_b32_e32 v14, 24, v6
	s_movk_i32 s7, 0x80
	v_cmp_ne_u32_e32 vcc, s7, v14
	v_mov_b32_e32 v18, 0xffff8000
	s_and_saveexec_b64 s[12:13], vcc
	s_cbranch_execz .LBB894_614
; %bb.611:
	v_bfe_u32 v6, v6, 24, 7
	s_movk_i32 s7, 0x7f
	v_cmp_ne_u32_e32 vcc, s7, v6
	v_mov_b32_e32 v18, 0x7f80
	s_and_saveexec_b64 s[14:15], vcc
	s_cbranch_execz .LBB894_613
; %bb.612:
	v_and_b32_e32 v18, 7, v14
	v_ffbh_u32_e32 v20, v18
	v_min_u32_e32 v24, 32, v20
	v_subrev_u32_e32 v20, 28, v24
	v_lshlrev_b64 v[20:21], v20, v[14:15]
	v_lshrrev_b32_e32 v23, 3, v6
	v_sub_u32_e32 v21, 29, v24
	v_and_b32_e32 v20, 7, v20
	v_cmp_gt_u32_e32 vcc, 8, v6
	v_cndmask_b32_e32 v6, v23, v21, vcc
	v_cndmask_b32_e32 v18, v18, v20, vcc
	v_lshlrev_b32_e32 v14, 24, v14
	v_bfrev_b32_e32 v20, 60
	v_lshlrev_b32_e32 v18, 20, v18
	v_and_b32_e32 v14, 0x80000000, v14
	v_lshl_add_u32 v6, v6, 23, v20
	v_or3_b32 v6, v14, v6, v18
	v_lshrrev_b32_e32 v18, 16, v6
.LBB894_613:
	s_or_b64 exec, exec, s[14:15]
.LBB894_614:
	s_or_b64 exec, exec, s[12:13]
.LBB894_615:
	s_or_b64 exec, exec, s[10:11]
	v_cmp_ne_u16_sdwa s[12:13], v7, v17 src0_sel:BYTE_0 src1_sel:DWORD
	s_and_saveexec_b64 s[10:11], s[12:13]
	s_cbranch_execz .LBB894_621
; %bb.616:
	s_movk_i32 s7, 0x80
	v_cmp_ne_u16_sdwa s[14:15], v7, s7 src0_sel:BYTE_0 src1_sel:DWORD
	v_mov_b32_e32 v17, 0xffff8000
	s_and_saveexec_b64 s[12:13], s[14:15]
	s_cbranch_execz .LBB894_620
; %bb.617:
	s_movk_i32 s7, 0x7f
	v_and_b32_e32 v6, 0x7f, v7
	v_cmp_ne_u32_e32 vcc, s7, v6
	v_mov_b32_e32 v17, 0x7f80
	s_and_saveexec_b64 s[14:15], vcc
	s_cbranch_execz .LBB894_619
; %bb.618:
	v_and_b32_e32 v17, 7, v7
	v_ffbh_u32_e32 v20, v17
	v_min_u32_e32 v24, 32, v20
	v_mov_b32_e32 v14, v7
	v_subrev_u32_e32 v20, 28, v24
	v_lshlrev_b64 v[20:21], v20, v[14:15]
	v_lshrrev_b32_e32 v23, 3, v6
	v_sub_u32_e32 v14, 29, v24
	v_and_b32_e32 v20, 7, v20
	v_cmp_gt_u32_e32 vcc, 8, v6
	v_cndmask_b32_e32 v6, v23, v14, vcc
	v_cndmask_b32_e32 v14, v17, v20, vcc
	v_lshlrev_b32_e32 v17, 24, v7
	v_bfrev_b32_e32 v20, 60
	v_lshlrev_b32_e32 v14, 20, v14
	v_and_b32_e32 v17, 0x80000000, v17
	v_lshl_add_u32 v6, v6, 23, v20
	v_or3_b32 v6, v17, v6, v14
	v_lshrrev_b32_e32 v17, 16, v6
.LBB894_619:
	s_or_b64 exec, exec, s[14:15]
.LBB894_620:
	s_or_b64 exec, exec, s[12:13]
.LBB894_621:
	s_or_b64 exec, exec, s[10:11]
	v_lshrrev_b16_e32 v6, 8, v7
	v_cmp_ne_u16_e32 vcc, 0, v6
	v_mov_b32_e32 v21, 0
	v_mov_b32_e32 v20, 0
	s_and_saveexec_b64 s[10:11], vcc
	s_cbranch_execz .LBB894_627
; %bb.622:
	s_movk_i32 s7, 0x80
	v_cmp_ne_u16_e32 vcc, s7, v6
	v_mov_b32_e32 v20, 0xffff8000
	s_and_saveexec_b64 s[12:13], vcc
	s_cbranch_execz .LBB894_626
; %bb.623:
	s_movk_i32 s7, 0x7f
	v_and_b32_e32 v14, 0x7f, v6
	v_cmp_ne_u32_e32 vcc, s7, v14
	v_mov_b32_e32 v20, 0x7f80
	s_and_saveexec_b64 s[14:15], vcc
	s_cbranch_execz .LBB894_625
; %bb.624:
	v_and_b32_e32 v20, 7, v6
	v_ffbh_u32_e32 v24, v20
	v_min_u32_e32 v26, 32, v24
	v_subrev_u32_e32 v24, 28, v26
	v_lshlrev_b64 v[24:25], v24, v[6:7]
	v_lshrrev_b32_e32 v23, 3, v14
	v_sub_u32_e32 v6, 29, v26
	v_and_b32_e32 v24, 7, v24
	v_cmp_gt_u32_e32 vcc, 8, v14
	v_cndmask_b32_e32 v6, v23, v6, vcc
	v_cndmask_b32_e32 v14, v20, v24, vcc
	v_lshlrev_b32_e32 v20, 16, v7
	v_bfrev_b32_e32 v23, 60
	v_lshlrev_b32_e32 v14, 20, v14
	v_and_b32_e32 v20, 0x80000000, v20
	v_lshl_add_u32 v6, v6, 23, v23
	v_or3_b32 v6, v20, v6, v14
	v_lshrrev_b32_e32 v20, 16, v6
.LBB894_625:
	s_or_b64 exec, exec, s[14:15]
.LBB894_626:
	s_or_b64 exec, exec, s[12:13]
.LBB894_627:
	s_or_b64 exec, exec, s[10:11]
	s_movk_i32 s7, 0xff
	v_and_b32_sdwa v14, v7, s7 dst_sel:DWORD dst_unused:UNUSED_PAD src0_sel:WORD_1 src1_sel:DWORD
	v_lshrrev_b32_e32 v6, 16, v7
	v_cmp_ne_u16_e32 vcc, 0, v14
	s_and_saveexec_b64 s[10:11], vcc
	s_cbranch_execz .LBB894_633
; %bb.628:
	s_movk_i32 s7, 0x80
	v_cmp_ne_u16_e32 vcc, s7, v14
	v_mov_b32_e32 v21, 0xffff8000
	s_and_saveexec_b64 s[12:13], vcc
	s_cbranch_execz .LBB894_632
; %bb.629:
	v_bfe_u32 v14, v7, 16, 7
	s_movk_i32 s7, 0x7f
	v_cmp_ne_u32_e32 vcc, s7, v14
	v_mov_b32_e32 v21, 0x7f80
	s_and_saveexec_b64 s[14:15], vcc
	s_cbranch_execz .LBB894_631
; %bb.630:
	v_and_b32_e32 v21, 7, v6
	v_ffbh_u32_e32 v24, v21
	v_min_u32_e32 v26, 32, v24
	v_subrev_u32_e32 v24, 28, v26
	v_lshlrev_b64 v[24:25], v24, v[6:7]
	v_and_b32_e32 v24, 7, v24
	v_cmp_gt_u32_e32 vcc, 8, v14
	v_lshrrev_b32_e32 v23, 3, v14
	v_sub_u32_e32 v6, 29, v26
	v_cndmask_b32_e32 v14, v21, v24, vcc
	v_mov_b32_e32 v21, 24
	v_cndmask_b32_e32 v6, v23, v6, vcc
	v_lshlrev_b32_sdwa v21, v21, v7 dst_sel:DWORD dst_unused:UNUSED_PAD src0_sel:DWORD src1_sel:WORD_1
	v_bfrev_b32_e32 v23, 60
	v_lshlrev_b32_e32 v14, 20, v14
	v_and_b32_e32 v21, 0x80000000, v21
	v_lshl_add_u32 v6, v6, 23, v23
	v_or3_b32 v6, v21, v6, v14
	v_lshrrev_b32_e32 v21, 16, v6
.LBB894_631:
	s_or_b64 exec, exec, s[14:15]
.LBB894_632:
	s_or_b64 exec, exec, s[12:13]
.LBB894_633:
	s_or_b64 exec, exec, s[10:11]
	s_mov_b32 s7, 0xffffff
	v_cmp_lt_u32_e32 vcc, s7, v7
	v_mov_b32_e32 v14, 0
	v_mov_b32_e32 v23, 0
	s_and_saveexec_b64 s[10:11], vcc
	s_cbranch_execz .LBB894_639
; %bb.634:
	v_lshrrev_b32_e32 v6, 24, v7
	s_movk_i32 s7, 0x80
	v_cmp_ne_u32_e32 vcc, s7, v6
	v_mov_b32_e32 v23, 0xffff8000
	s_and_saveexec_b64 s[12:13], vcc
	s_cbranch_execz .LBB894_638
; %bb.635:
	v_bfe_u32 v7, v7, 24, 7
	s_movk_i32 s7, 0x7f
	v_cmp_ne_u32_e32 vcc, s7, v7
	v_mov_b32_e32 v23, 0x7f80
	s_and_saveexec_b64 s[14:15], vcc
	s_cbranch_execz .LBB894_637
; %bb.636:
	v_and_b32_e32 v23, 7, v6
	v_ffbh_u32_e32 v24, v23
	v_min_u32_e32 v27, 32, v24
	v_subrev_u32_e32 v24, 28, v27
	v_lshlrev_b64 v[24:25], v24, v[6:7]
	v_lshrrev_b32_e32 v26, 3, v7
	v_sub_u32_e32 v25, 29, v27
	v_and_b32_e32 v24, 7, v24
	v_cmp_gt_u32_e32 vcc, 8, v7
	v_cndmask_b32_e32 v7, v26, v25, vcc
	v_cndmask_b32_e32 v23, v23, v24, vcc
	v_lshlrev_b32_e32 v6, 24, v6
	v_bfrev_b32_e32 v24, 60
	v_lshlrev_b32_e32 v23, 20, v23
	v_and_b32_e32 v6, 0x80000000, v6
	v_lshl_add_u32 v7, v7, 23, v24
	v_or3_b32 v6, v6, v7, v23
	v_lshrrev_b32_e32 v23, 16, v6
.LBB894_637:
	s_or_b64 exec, exec, s[14:15]
.LBB894_638:
	s_or_b64 exec, exec, s[12:13]
.LBB894_639:
	s_or_b64 exec, exec, s[10:11]
	s_mov_b32 s7, 0x5040100
	v_perm_b32 v7, v18, v16, s7
	v_perm_b32 v6, v15, v19, s7
	ds_read_b128 v[24:27], v22 offset:4096
	v_cmp_ne_u16_sdwa s[12:13], v8, v14 src0_sel:BYTE_0 src1_sel:DWORD
	s_waitcnt lgkmcnt(0)
	v_mfma_f32_16x16x16bf16_1k v[10:13], v[6:7], v[24:25], v[10:13]
	v_perm_b32 v7, v23, v21, s7
	v_perm_b32 v6, v20, v17, s7
	s_nop 1
	v_mfma_f32_16x16x16bf16_1k v[10:13], v[6:7], v[26:27], v[10:13]
	s_and_saveexec_b64 s[10:11], s[12:13]
	s_cbranch_execz .LBB894_645
; %bb.640:
	s_movk_i32 s7, 0x80
	v_cmp_ne_u16_sdwa s[14:15], v8, s7 src0_sel:BYTE_0 src1_sel:DWORD
	v_mov_b32_e32 v14, 0xffff8000
	s_and_saveexec_b64 s[12:13], s[14:15]
	s_cbranch_execz .LBB894_644
; %bb.641:
	s_movk_i32 s7, 0x7f
	v_and_b32_e32 v6, 0x7f, v8
	v_cmp_ne_u32_e32 vcc, s7, v6
	v_mov_b32_e32 v14, 0x7f80
	s_and_saveexec_b64 s[14:15], vcc
	s_cbranch_execz .LBB894_643
; %bb.642:
	v_and_b32_e32 v7, 7, v8
	v_ffbh_u32_e32 v14, v7
	v_min_u32_e32 v17, 32, v14
	v_subrev_u32_e32 v14, 28, v17
	v_lshlrev_b64 v[14:15], v14, v[8:9]
	v_lshrrev_b32_e32 v16, 3, v6
	v_sub_u32_e32 v15, 29, v17
	v_and_b32_e32 v14, 7, v14
	v_cmp_gt_u32_e32 vcc, 8, v6
	v_cndmask_b32_e32 v6, v16, v15, vcc
	v_cndmask_b32_e32 v7, v7, v14, vcc
	v_lshlrev_b32_e32 v14, 24, v8
	v_bfrev_b32_e32 v15, 60
	v_lshlrev_b32_e32 v7, 20, v7
	v_and_b32_e32 v14, 0x80000000, v14
	v_lshl_add_u32 v6, v6, 23, v15
	v_or3_b32 v6, v14, v6, v7
	v_lshrrev_b32_e32 v14, 16, v6
.LBB894_643:
	s_or_b64 exec, exec, s[14:15]
.LBB894_644:
	s_or_b64 exec, exec, s[12:13]
.LBB894_645:
	s_or_b64 exec, exec, s[10:11]
	v_lshrrev_b16_e32 v6, 8, v8
	v_cmp_ne_u16_e32 vcc, 0, v6
	v_mov_b32_e32 v16, 0
	v_mov_b32_e32 v7, 0
	s_and_saveexec_b64 s[10:11], vcc
	s_cbranch_execz .LBB894_651
; %bb.646:
	s_movk_i32 s7, 0x80
	v_cmp_ne_u16_e32 vcc, s7, v6
	v_mov_b32_e32 v7, 0xffff8000
	s_and_saveexec_b64 s[12:13], vcc
	s_cbranch_execz .LBB894_650
; %bb.647:
	s_movk_i32 s7, 0x7f
	v_and_b32_e32 v15, 0x7f, v6
	v_cmp_ne_u32_e32 vcc, s7, v15
	v_mov_b32_e32 v7, 0x7f80
	s_and_saveexec_b64 s[14:15], vcc
	s_cbranch_execz .LBB894_649
; %bb.648:
	v_and_b32_e32 v17, 7, v6
	v_ffbh_u32_e32 v7, v17
	v_min_u32_e32 v19, 32, v7
	v_subrev_u32_e32 v7, 28, v19
	v_lshlrev_b64 v[6:7], v7, v[6:7]
	v_lshrrev_b32_e32 v18, 3, v15
	v_sub_u32_e32 v7, 29, v19
	v_and_b32_e32 v6, 7, v6
	v_cmp_gt_u32_e32 vcc, 8, v15
	v_cndmask_b32_e32 v7, v18, v7, vcc
	v_cndmask_b32_e32 v6, v17, v6, vcc
	v_lshlrev_b32_e32 v15, 16, v8
	v_bfrev_b32_e32 v17, 60
	v_lshlrev_b32_e32 v6, 20, v6
	v_and_b32_e32 v15, 0x80000000, v15
	v_lshl_add_u32 v7, v7, 23, v17
	v_or3_b32 v6, v15, v7, v6
	v_lshrrev_b32_e32 v7, 16, v6
.LBB894_649:
	s_or_b64 exec, exec, s[14:15]
.LBB894_650:
	s_or_b64 exec, exec, s[12:13]
.LBB894_651:
	s_or_b64 exec, exec, s[10:11]
	s_movk_i32 s7, 0xff
	v_and_b32_sdwa v15, v8, s7 dst_sel:DWORD dst_unused:UNUSED_PAD src0_sel:WORD_1 src1_sel:DWORD
	v_lshrrev_b32_e32 v6, 16, v8
	v_cmp_ne_u16_e32 vcc, 0, v15
	s_and_saveexec_b64 s[10:11], vcc
	s_cbranch_execz .LBB894_657
; %bb.652:
	s_movk_i32 s7, 0x80
	v_cmp_ne_u16_e32 vcc, s7, v15
	v_mov_b32_e32 v16, 0xffff8000
	s_and_saveexec_b64 s[12:13], vcc
	s_cbranch_execz .LBB894_656
; %bb.653:
	v_bfe_u32 v15, v8, 16, 7
	s_movk_i32 s7, 0x7f
	v_cmp_ne_u32_e32 vcc, s7, v15
	v_mov_b32_e32 v16, 0x7f80
	s_and_saveexec_b64 s[14:15], vcc
	s_cbranch_execz .LBB894_655
; %bb.654:
	v_and_b32_e32 v18, 7, v6
	v_ffbh_u32_e32 v16, v18
	v_min_u32_e32 v20, 32, v16
	v_subrev_u32_e32 v16, 28, v20
	v_lshlrev_b64 v[16:17], v16, v[6:7]
	v_and_b32_e32 v16, 7, v16
	v_cmp_gt_u32_e32 vcc, 8, v15
	v_lshrrev_b32_e32 v19, 3, v15
	v_sub_u32_e32 v6, 29, v20
	v_cndmask_b32_e32 v15, v18, v16, vcc
	v_mov_b32_e32 v16, 24
	v_cndmask_b32_e32 v6, v19, v6, vcc
	v_lshlrev_b32_sdwa v16, v16, v8 dst_sel:DWORD dst_unused:UNUSED_PAD src0_sel:DWORD src1_sel:WORD_1
	v_bfrev_b32_e32 v17, 60
	v_lshlrev_b32_e32 v15, 20, v15
	v_and_b32_e32 v16, 0x80000000, v16
	v_lshl_add_u32 v6, v6, 23, v17
	v_or3_b32 v6, v16, v6, v15
	v_lshrrev_b32_e32 v16, 16, v6
.LBB894_655:
	s_or_b64 exec, exec, s[14:15]
.LBB894_656:
	s_or_b64 exec, exec, s[12:13]
.LBB894_657:
	s_or_b64 exec, exec, s[10:11]
	s_mov_b32 s7, 0xffffff
	v_cmp_lt_u32_e32 vcc, s7, v8
	v_mov_b32_e32 v17, 0
	v_mov_b32_e32 v18, 0
	s_and_saveexec_b64 s[10:11], vcc
	s_cbranch_execz .LBB894_663
; %bb.658:
	v_lshrrev_b32_e32 v6, 24, v8
	s_movk_i32 s7, 0x80
	v_cmp_ne_u32_e32 vcc, s7, v6
	v_mov_b32_e32 v18, 0xffff8000
	s_and_saveexec_b64 s[12:13], vcc
	s_cbranch_execz .LBB894_662
; %bb.659:
	v_bfe_u32 v8, v8, 24, 7
	s_movk_i32 s7, 0x7f
	v_cmp_ne_u32_e32 vcc, s7, v8
	v_mov_b32_e32 v18, 0x7f80
	s_and_saveexec_b64 s[14:15], vcc
	s_cbranch_execz .LBB894_661
; %bb.660:
	v_and_b32_e32 v15, 7, v6
	v_ffbh_u32_e32 v18, v15
	v_min_u32_e32 v21, 32, v18
	v_subrev_u32_e32 v18, 28, v21
	v_lshlrev_b64 v[18:19], v18, v[6:7]
	v_lshrrev_b32_e32 v20, 3, v8
	v_sub_u32_e32 v19, 29, v21
	v_and_b32_e32 v18, 7, v18
	v_cmp_gt_u32_e32 vcc, 8, v8
	v_cndmask_b32_e32 v8, v20, v19, vcc
	v_cndmask_b32_e32 v15, v15, v18, vcc
	v_lshlrev_b32_e32 v6, 24, v6
	v_bfrev_b32_e32 v18, 60
	v_lshlrev_b32_e32 v15, 20, v15
	v_and_b32_e32 v6, 0x80000000, v6
	v_lshl_add_u32 v8, v8, 23, v18
	v_or3_b32 v6, v6, v8, v15
	v_lshrrev_b32_e32 v18, 16, v6
.LBB894_661:
	s_or_b64 exec, exec, s[14:15]
.LBB894_662:
	s_or_b64 exec, exec, s[12:13]
.LBB894_663:
	s_or_b64 exec, exec, s[10:11]
	v_cmp_ne_u16_sdwa s[12:13], v9, v17 src0_sel:BYTE_0 src1_sel:DWORD
	s_and_saveexec_b64 s[10:11], s[12:13]
	s_cbranch_execz .LBB894_669
; %bb.664:
	s_movk_i32 s7, 0x80
	v_cmp_ne_u16_sdwa s[14:15], v9, s7 src0_sel:BYTE_0 src1_sel:DWORD
	v_mov_b32_e32 v17, 0xffff8000
	s_and_saveexec_b64 s[12:13], s[14:15]
	s_cbranch_execz .LBB894_668
; %bb.665:
	s_movk_i32 s7, 0x7f
	v_and_b32_e32 v6, 0x7f, v9
	v_cmp_ne_u32_e32 vcc, s7, v6
	v_mov_b32_e32 v17, 0x7f80
	s_and_saveexec_b64 s[14:15], vcc
	s_cbranch_execz .LBB894_667
; %bb.666:
	v_and_b32_e32 v15, 7, v9
	v_ffbh_u32_e32 v19, v15
	v_min_u32_e32 v19, 32, v19
	v_mov_b32_e32 v8, v9
	v_subrev_u32_e32 v20, 28, v19
	v_lshlrev_b64 v[20:21], v20, v[8:9]
	v_lshrrev_b32_e32 v17, 3, v6
	v_sub_u32_e32 v8, 29, v19
	v_and_b32_e32 v19, 7, v20
	v_cmp_gt_u32_e32 vcc, 8, v6
	v_cndmask_b32_e32 v6, v17, v8, vcc
	v_cndmask_b32_e32 v8, v15, v19, vcc
	v_lshlrev_b32_e32 v15, 24, v9
	v_bfrev_b32_e32 v17, 60
	v_lshlrev_b32_e32 v8, 20, v8
	v_and_b32_e32 v15, 0x80000000, v15
	v_lshl_add_u32 v6, v6, 23, v17
	v_or3_b32 v6, v15, v6, v8
	v_lshrrev_b32_e32 v17, 16, v6
.LBB894_667:
	s_or_b64 exec, exec, s[14:15]
.LBB894_668:
	s_or_b64 exec, exec, s[12:13]
.LBB894_669:
	s_or_b64 exec, exec, s[10:11]
	v_lshrrev_b16_e32 v6, 8, v9
	v_cmp_ne_u16_e32 vcc, 0, v6
	v_mov_b32_e32 v19, 0
	v_mov_b32_e32 v8, 0
	s_and_saveexec_b64 s[10:11], vcc
	s_cbranch_execz .LBB894_675
; %bb.670:
	s_movk_i32 s7, 0x80
	v_cmp_ne_u16_e32 vcc, s7, v6
	v_mov_b32_e32 v8, 0xffff8000
	s_and_saveexec_b64 s[12:13], vcc
	s_cbranch_execz .LBB894_674
; %bb.671:
	s_movk_i32 s7, 0x7f
	v_and_b32_e32 v15, 0x7f, v6
	v_cmp_ne_u32_e32 vcc, s7, v15
	v_mov_b32_e32 v8, 0x7f80
	s_and_saveexec_b64 s[14:15], vcc
	s_cbranch_execz .LBB894_673
; %bb.672:
	v_and_b32_e32 v8, 7, v6
	v_ffbh_u32_e32 v20, v8
	v_min_u32_e32 v24, 32, v20
	v_subrev_u32_e32 v20, 28, v24
	v_lshlrev_b64 v[20:21], v20, v[6:7]
	v_lshrrev_b32_e32 v23, 3, v15
	v_sub_u32_e32 v6, 29, v24
	v_and_b32_e32 v20, 7, v20
	v_cmp_gt_u32_e32 vcc, 8, v15
	v_cndmask_b32_e32 v6, v23, v6, vcc
	v_cndmask_b32_e32 v8, v8, v20, vcc
	v_lshlrev_b32_e32 v15, 16, v9
	v_bfrev_b32_e32 v20, 60
	v_lshlrev_b32_e32 v8, 20, v8
	v_and_b32_e32 v15, 0x80000000, v15
	v_lshl_add_u32 v6, v6, 23, v20
	v_or3_b32 v6, v15, v6, v8
	v_lshrrev_b32_e32 v8, 16, v6
.LBB894_673:
	s_or_b64 exec, exec, s[14:15]
.LBB894_674:
	s_or_b64 exec, exec, s[12:13]
.LBB894_675:
	s_or_b64 exec, exec, s[10:11]
	s_movk_i32 s7, 0xff
	v_and_b32_sdwa v15, v9, s7 dst_sel:DWORD dst_unused:UNUSED_PAD src0_sel:WORD_1 src1_sel:DWORD
	v_lshrrev_b32_e32 v6, 16, v9
	v_cmp_ne_u16_e32 vcc, 0, v15
	s_and_saveexec_b64 s[10:11], vcc
	s_cbranch_execz .LBB894_681
; %bb.676:
	s_movk_i32 s7, 0x80
	v_cmp_ne_u16_e32 vcc, s7, v15
	v_mov_b32_e32 v19, 0xffff8000
	s_and_saveexec_b64 s[12:13], vcc
	s_cbranch_execz .LBB894_680
; %bb.677:
	v_bfe_u32 v15, v9, 16, 7
	s_movk_i32 s7, 0x7f
	v_cmp_ne_u32_e32 vcc, s7, v15
	v_mov_b32_e32 v19, 0x7f80
	s_and_saveexec_b64 s[14:15], vcc
	s_cbranch_execz .LBB894_679
; %bb.678:
	v_and_b32_e32 v19, 7, v6
	v_ffbh_u32_e32 v20, v19
	v_min_u32_e32 v24, 32, v20
	v_subrev_u32_e32 v20, 28, v24
	v_lshlrev_b64 v[20:21], v20, v[6:7]
	v_and_b32_e32 v20, 7, v20
	v_cmp_gt_u32_e32 vcc, 8, v15
	v_lshrrev_b32_e32 v23, 3, v15
	v_sub_u32_e32 v6, 29, v24
	v_cndmask_b32_e32 v15, v19, v20, vcc
	v_mov_b32_e32 v19, 24
	v_cndmask_b32_e32 v6, v23, v6, vcc
	v_lshlrev_b32_sdwa v19, v19, v9 dst_sel:DWORD dst_unused:UNUSED_PAD src0_sel:DWORD src1_sel:WORD_1
	v_bfrev_b32_e32 v20, 60
	v_lshlrev_b32_e32 v15, 20, v15
	v_and_b32_e32 v19, 0x80000000, v19
	v_lshl_add_u32 v6, v6, 23, v20
	v_or3_b32 v6, v19, v6, v15
	v_lshrrev_b32_e32 v19, 16, v6
.LBB894_679:
	s_or_b64 exec, exec, s[14:15]
.LBB894_680:
	s_or_b64 exec, exec, s[12:13]
.LBB894_681:
	s_or_b64 exec, exec, s[10:11]
	s_mov_b32 s7, 0xffffff
	v_cmp_lt_u32_e32 vcc, s7, v9
	v_mov_b32_e32 v15, 0
	v_mov_b32_e32 v20, 0
	s_and_saveexec_b64 s[10:11], vcc
	s_cbranch_execz .LBB894_687
; %bb.682:
	v_lshrrev_b32_e32 v6, 24, v9
	s_movk_i32 s7, 0x80
	v_cmp_ne_u32_e32 vcc, s7, v6
	v_mov_b32_e32 v20, 0xffff8000
	s_and_saveexec_b64 s[12:13], vcc
	s_cbranch_execz .LBB894_686
; %bb.683:
	v_bfe_u32 v9, v9, 24, 7
	s_movk_i32 s7, 0x7f
	v_cmp_ne_u32_e32 vcc, s7, v9
	v_mov_b32_e32 v20, 0x7f80
	s_and_saveexec_b64 s[14:15], vcc
	s_cbranch_execz .LBB894_685
; %bb.684:
	v_and_b32_e32 v23, 7, v6
	v_ffbh_u32_e32 v20, v23
	v_min_u32_e32 v25, 32, v20
	v_subrev_u32_e32 v20, 28, v25
	v_lshlrev_b64 v[20:21], v20, v[6:7]
	v_lshrrev_b32_e32 v24, 3, v9
	v_sub_u32_e32 v21, 29, v25
	v_and_b32_e32 v20, 7, v20
	v_cmp_gt_u32_e32 vcc, 8, v9
	v_cndmask_b32_e32 v9, v24, v21, vcc
	v_cndmask_b32_e32 v20, v23, v20, vcc
	v_lshlrev_b32_e32 v6, 24, v6
	v_bfrev_b32_e32 v21, 60
	v_lshlrev_b32_e32 v20, 20, v20
	v_and_b32_e32 v6, 0x80000000, v6
	v_lshl_add_u32 v9, v9, 23, v21
	v_or3_b32 v6, v6, v9, v20
	v_lshrrev_b32_e32 v20, 16, v6
.LBB894_685:
	s_or_b64 exec, exec, s[14:15]
.LBB894_686:
	s_or_b64 exec, exec, s[12:13]
.LBB894_687:
	s_or_b64 exec, exec, s[10:11]
	s_mov_b32 s7, 0x5040100
	v_perm_b32 v31, v18, v16, s7
	v_perm_b32 v30, v7, v14, s7
	ds_read_b128 v[24:27], v22 offset:4112
	v_perm_b32 v7, v20, v19, s7
	v_perm_b32 v6, v8, v17, s7
	s_waitcnt lgkmcnt(0)
	v_mfma_f32_16x16x16bf16_1k v[10:13], v[30:31], v[24:25], v[10:13]
	s_waitcnt vmcnt(0)
	v_cmp_ne_u16_sdwa s[12:13], v2, v15 src0_sel:BYTE_0 src1_sel:DWORD
	v_mfma_f32_16x16x16bf16_1k v[6:9], v[6:7], v[26:27], v[10:13]
	s_and_saveexec_b64 s[10:11], s[12:13]
	s_cbranch_execz .LBB894_693
; %bb.688:
	s_movk_i32 s7, 0x80
	v_cmp_ne_u16_sdwa s[14:15], v2, s7 src0_sel:BYTE_0 src1_sel:DWORD
	v_mov_b32_e32 v15, 0xffff8000
	s_and_saveexec_b64 s[12:13], s[14:15]
	s_cbranch_execz .LBB894_692
; %bb.689:
	s_movk_i32 s7, 0x7f
	v_and_b32_e32 v10, 0x7f, v2
	v_cmp_ne_u32_e32 vcc, s7, v10
	v_mov_b32_e32 v15, 0x7f80
	s_and_saveexec_b64 s[14:15], vcc
	s_cbranch_execz .LBB894_691
; %bb.690:
	v_and_b32_e32 v11, 7, v2
	v_ffbh_u32_e32 v12, v11
	v_min_u32_e32 v15, 32, v12
	v_subrev_u32_e32 v12, 28, v15
	v_lshlrev_b64 v[12:13], v12, v[2:3]
	v_lshrrev_b32_e32 v14, 3, v10
	v_sub_u32_e32 v13, 29, v15
	v_and_b32_e32 v12, 7, v12
	v_cmp_gt_u32_e32 vcc, 8, v10
	v_cndmask_b32_e32 v10, v14, v13, vcc
	v_cndmask_b32_e32 v11, v11, v12, vcc
	v_lshlrev_b32_e32 v12, 24, v2
	v_bfrev_b32_e32 v13, 60
	v_lshlrev_b32_e32 v11, 20, v11
	v_and_b32_e32 v12, 0x80000000, v12
	v_lshl_add_u32 v10, v10, 23, v13
	v_or3_b32 v10, v12, v10, v11
	v_lshrrev_b32_e32 v15, 16, v10
.LBB894_691:
	s_or_b64 exec, exec, s[14:15]
.LBB894_692:
	s_or_b64 exec, exec, s[12:13]
.LBB894_693:
	s_or_b64 exec, exec, s[10:11]
	s_nop 4
	v_lshrrev_b16_e32 v10, 8, v2
	v_cmp_ne_u16_e32 vcc, 0, v10
	v_mov_b32_e32 v12, 0
	v_mov_b32_e32 v11, 0
	s_and_saveexec_b64 s[10:11], vcc
	s_cbranch_execz .LBB894_699
; %bb.694:
	s_movk_i32 s7, 0x80
	v_cmp_ne_u16_e32 vcc, s7, v10
	v_mov_b32_e32 v11, 0xffff8000
	s_and_saveexec_b64 s[12:13], vcc
	s_cbranch_execz .LBB894_698
; %bb.695:
	s_movk_i32 s7, 0x7f
	v_and_b32_e32 v13, 0x7f, v10
	v_cmp_ne_u32_e32 vcc, s7, v13
	v_mov_b32_e32 v11, 0x7f80
	s_and_saveexec_b64 s[14:15], vcc
	s_cbranch_execz .LBB894_697
; %bb.696:
	v_and_b32_e32 v14, 7, v10
	v_ffbh_u32_e32 v11, v14
	v_min_u32_e32 v17, 32, v11
	v_subrev_u32_e32 v11, 28, v17
	v_lshlrev_b64 v[10:11], v11, v[10:11]
	v_lshrrev_b32_e32 v16, 3, v13
	v_sub_u32_e32 v11, 29, v17
	v_and_b32_e32 v10, 7, v10
	v_cmp_gt_u32_e32 vcc, 8, v13
	v_cndmask_b32_e32 v11, v16, v11, vcc
	v_cndmask_b32_e32 v10, v14, v10, vcc
	v_lshlrev_b32_e32 v13, 16, v2
	v_bfrev_b32_e32 v14, 60
	v_lshlrev_b32_e32 v10, 20, v10
	v_and_b32_e32 v13, 0x80000000, v13
	v_lshl_add_u32 v11, v11, 23, v14
	v_or3_b32 v10, v13, v11, v10
	v_lshrrev_b32_e32 v11, 16, v10
.LBB894_697:
	s_or_b64 exec, exec, s[14:15]
.LBB894_698:
	s_or_b64 exec, exec, s[12:13]
.LBB894_699:
	s_or_b64 exec, exec, s[10:11]
	s_movk_i32 s7, 0xff
	v_and_b32_sdwa v13, v2, s7 dst_sel:DWORD dst_unused:UNUSED_PAD src0_sel:WORD_1 src1_sel:DWORD
	v_lshrrev_b32_e32 v10, 16, v2
	v_cmp_ne_u16_e32 vcc, 0, v13
	s_and_saveexec_b64 s[10:11], vcc
	s_cbranch_execz .LBB894_705
; %bb.700:
	s_movk_i32 s7, 0x80
	v_cmp_ne_u16_e32 vcc, s7, v13
	v_mov_b32_e32 v12, 0xffff8000
	s_and_saveexec_b64 s[12:13], vcc
	s_cbranch_execz .LBB894_704
; %bb.701:
	v_bfe_u32 v13, v2, 16, 7
	s_movk_i32 s7, 0x7f
	v_cmp_ne_u32_e32 vcc, s7, v13
	v_mov_b32_e32 v12, 0x7f80
	s_and_saveexec_b64 s[14:15], vcc
	s_cbranch_execz .LBB894_703
; %bb.702:
	v_and_b32_e32 v12, 7, v10
	v_ffbh_u32_e32 v16, v12
	v_min_u32_e32 v18, 32, v16
	v_subrev_u32_e32 v16, 28, v18
	v_lshlrev_b64 v[16:17], v16, v[10:11]
	v_lshrrev_b32_e32 v14, 3, v13
	v_sub_u32_e32 v10, 29, v18
	v_and_b32_e32 v16, 7, v16
	v_cmp_gt_u32_e32 vcc, 8, v13
	v_mov_b32_e32 v13, 24
	v_cndmask_b32_e32 v10, v14, v10, vcc
	v_cndmask_b32_e32 v12, v12, v16, vcc
	v_lshlrev_b32_sdwa v13, v13, v2 dst_sel:DWORD dst_unused:UNUSED_PAD src0_sel:DWORD src1_sel:WORD_1
	v_bfrev_b32_e32 v14, 60
	v_lshlrev_b32_e32 v12, 20, v12
	v_and_b32_e32 v13, 0x80000000, v13
	v_lshl_add_u32 v10, v10, 23, v14
	v_or3_b32 v10, v13, v10, v12
	v_lshrrev_b32_e32 v12, 16, v10
.LBB894_703:
	s_or_b64 exec, exec, s[14:15]
.LBB894_704:
	s_or_b64 exec, exec, s[12:13]
.LBB894_705:
	s_or_b64 exec, exec, s[10:11]
	s_mov_b32 s7, 0xffffff
	v_cmp_lt_u32_e32 vcc, s7, v2
	v_mov_b32_e32 v13, 0
	v_mov_b32_e32 v14, 0
	s_and_saveexec_b64 s[10:11], vcc
	s_cbranch_execz .LBB894_711
; %bb.706:
	v_lshrrev_b32_e32 v10, 24, v2
	s_movk_i32 s7, 0x80
	v_cmp_ne_u32_e32 vcc, s7, v10
	v_mov_b32_e32 v14, 0xffff8000
	s_and_saveexec_b64 s[12:13], vcc
	s_cbranch_execz .LBB894_710
; %bb.707:
	v_bfe_u32 v2, v2, 24, 7
	s_movk_i32 s7, 0x7f
	v_cmp_ne_u32_e32 vcc, s7, v2
	v_mov_b32_e32 v14, 0x7f80
	s_and_saveexec_b64 s[14:15], vcc
	s_cbranch_execz .LBB894_709
; %bb.708:
	v_and_b32_e32 v14, 7, v10
	v_ffbh_u32_e32 v16, v14
	v_min_u32_e32 v19, 32, v16
	v_subrev_u32_e32 v16, 28, v19
	v_lshlrev_b64 v[16:17], v16, v[10:11]
	v_lshrrev_b32_e32 v18, 3, v2
	v_sub_u32_e32 v17, 29, v19
	v_and_b32_e32 v16, 7, v16
	v_cmp_gt_u32_e32 vcc, 8, v2
	v_cndmask_b32_e32 v2, v18, v17, vcc
	v_cndmask_b32_e32 v14, v14, v16, vcc
	v_lshlrev_b32_e32 v10, 24, v10
	v_bfrev_b32_e32 v16, 60
	v_lshlrev_b32_e32 v14, 20, v14
	v_and_b32_e32 v10, 0x80000000, v10
	v_lshl_add_u32 v2, v2, 23, v16
	v_or3_b32 v2, v10, v2, v14
	v_lshrrev_b32_e32 v14, 16, v2
.LBB894_709:
	s_or_b64 exec, exec, s[14:15]
.LBB894_710:
	s_or_b64 exec, exec, s[12:13]
.LBB894_711:
	s_or_b64 exec, exec, s[10:11]
	v_cmp_ne_u16_sdwa s[12:13], v3, v13 src0_sel:BYTE_0 src1_sel:DWORD
	s_and_saveexec_b64 s[10:11], s[12:13]
	s_cbranch_execz .LBB894_717
; %bb.712:
	s_movk_i32 s7, 0x80
	v_cmp_ne_u16_sdwa s[14:15], v3, s7 src0_sel:BYTE_0 src1_sel:DWORD
	v_mov_b32_e32 v13, 0xffff8000
	s_and_saveexec_b64 s[12:13], s[14:15]
	s_cbranch_execz .LBB894_716
; %bb.713:
	s_movk_i32 s7, 0x7f
	v_and_b32_e32 v2, 0x7f, v3
	v_cmp_ne_u32_e32 vcc, s7, v2
	v_mov_b32_e32 v13, 0x7f80
	s_and_saveexec_b64 s[14:15], vcc
	s_cbranch_execz .LBB894_715
; %bb.714:
	v_and_b32_e32 v13, 7, v3
	v_ffbh_u32_e32 v16, v13
	v_min_u32_e32 v19, 32, v16
	v_mov_b32_e32 v10, v3
	v_subrev_u32_e32 v16, 28, v19
	v_lshlrev_b64 v[16:17], v16, v[10:11]
	v_lshrrev_b32_e32 v18, 3, v2
	v_sub_u32_e32 v10, 29, v19
	v_and_b32_e32 v16, 7, v16
	v_cmp_gt_u32_e32 vcc, 8, v2
	v_cndmask_b32_e32 v2, v18, v10, vcc
	v_cndmask_b32_e32 v10, v13, v16, vcc
	v_lshlrev_b32_e32 v13, 24, v3
	v_bfrev_b32_e32 v16, 60
	v_lshlrev_b32_e32 v10, 20, v10
	v_and_b32_e32 v13, 0x80000000, v13
	v_lshl_add_u32 v2, v2, 23, v16
	v_or3_b32 v2, v13, v2, v10
	v_lshrrev_b32_e32 v13, 16, v2
.LBB894_715:
	s_or_b64 exec, exec, s[14:15]
.LBB894_716:
	s_or_b64 exec, exec, s[12:13]
.LBB894_717:
	s_or_b64 exec, exec, s[10:11]
	v_lshrrev_b16_e32 v2, 8, v3
	v_cmp_ne_u16_e32 vcc, 0, v2
	v_mov_b32_e32 v17, 0
	v_mov_b32_e32 v16, 0
	s_and_saveexec_b64 s[10:11], vcc
	s_cbranch_execz .LBB894_723
; %bb.718:
	s_movk_i32 s7, 0x80
	v_cmp_ne_u16_e32 vcc, s7, v2
	v_mov_b32_e32 v16, 0xffff8000
	s_and_saveexec_b64 s[12:13], vcc
	s_cbranch_execz .LBB894_722
; %bb.719:
	s_movk_i32 s7, 0x7f
	v_and_b32_e32 v10, 0x7f, v2
	v_cmp_ne_u32_e32 vcc, s7, v10
	v_mov_b32_e32 v16, 0x7f80
	s_and_saveexec_b64 s[14:15], vcc
	s_cbranch_execz .LBB894_721
; %bb.720:
	v_and_b32_e32 v16, 7, v2
	v_ffbh_u32_e32 v18, v16
	v_min_u32_e32 v21, 32, v18
	v_subrev_u32_e32 v18, 28, v21
	v_lshlrev_b64 v[18:19], v18, v[2:3]
	v_lshrrev_b32_e32 v20, 3, v10
	v_sub_u32_e32 v2, 29, v21
	v_and_b32_e32 v18, 7, v18
	v_cmp_gt_u32_e32 vcc, 8, v10
	v_cndmask_b32_e32 v2, v20, v2, vcc
	v_cndmask_b32_e32 v10, v16, v18, vcc
	v_lshlrev_b32_e32 v16, 16, v3
	v_bfrev_b32_e32 v18, 60
	v_lshlrev_b32_e32 v10, 20, v10
	v_and_b32_e32 v16, 0x80000000, v16
	v_lshl_add_u32 v2, v2, 23, v18
	v_or3_b32 v2, v16, v2, v10
	v_lshrrev_b32_e32 v16, 16, v2
.LBB894_721:
	s_or_b64 exec, exec, s[14:15]
.LBB894_722:
	s_or_b64 exec, exec, s[12:13]
.LBB894_723:
	s_or_b64 exec, exec, s[10:11]
	s_movk_i32 s7, 0xff
	v_and_b32_sdwa v10, v3, s7 dst_sel:DWORD dst_unused:UNUSED_PAD src0_sel:WORD_1 src1_sel:DWORD
	v_lshrrev_b32_e32 v2, 16, v3
	v_cmp_ne_u16_e32 vcc, 0, v10
	s_and_saveexec_b64 s[10:11], vcc
	s_cbranch_execz .LBB894_729
; %bb.724:
	s_movk_i32 s7, 0x80
	v_cmp_ne_u16_e32 vcc, s7, v10
	v_mov_b32_e32 v17, 0xffff8000
	s_and_saveexec_b64 s[12:13], vcc
	s_cbranch_execz .LBB894_728
; %bb.725:
	v_bfe_u32 v10, v3, 16, 7
	s_movk_i32 s7, 0x7f
	v_cmp_ne_u32_e32 vcc, s7, v10
	v_mov_b32_e32 v17, 0x7f80
	s_and_saveexec_b64 s[14:15], vcc
	s_cbranch_execz .LBB894_727
; %bb.726:
	v_and_b32_e32 v17, 7, v2
	v_ffbh_u32_e32 v18, v17
	v_min_u32_e32 v21, 32, v18
	v_subrev_u32_e32 v18, 28, v21
	v_lshlrev_b64 v[18:19], v18, v[2:3]
	v_and_b32_e32 v18, 7, v18
	v_cmp_gt_u32_e32 vcc, 8, v10
	v_lshrrev_b32_e32 v20, 3, v10
	v_sub_u32_e32 v2, 29, v21
	v_cndmask_b32_e32 v10, v17, v18, vcc
	v_mov_b32_e32 v17, 24
	v_cndmask_b32_e32 v2, v20, v2, vcc
	v_lshlrev_b32_sdwa v17, v17, v3 dst_sel:DWORD dst_unused:UNUSED_PAD src0_sel:DWORD src1_sel:WORD_1
	v_bfrev_b32_e32 v18, 60
	v_lshlrev_b32_e32 v10, 20, v10
	v_and_b32_e32 v17, 0x80000000, v17
	v_lshl_add_u32 v2, v2, 23, v18
	v_or3_b32 v2, v17, v2, v10
	v_lshrrev_b32_e32 v17, 16, v2
.LBB894_727:
	s_or_b64 exec, exec, s[14:15]
.LBB894_728:
	s_or_b64 exec, exec, s[12:13]
.LBB894_729:
	s_or_b64 exec, exec, s[10:11]
	s_mov_b32 s7, 0xffffff
	v_cmp_lt_u32_e32 vcc, s7, v3
	v_mov_b32_e32 v10, 0
	v_mov_b32_e32 v18, 0
	s_and_saveexec_b64 s[10:11], vcc
	s_cbranch_execz .LBB894_735
; %bb.730:
	v_lshrrev_b32_e32 v2, 24, v3
	s_movk_i32 s7, 0x80
	v_cmp_ne_u32_e32 vcc, s7, v2
	v_mov_b32_e32 v18, 0xffff8000
	s_and_saveexec_b64 s[12:13], vcc
	s_cbranch_execz .LBB894_734
; %bb.731:
	v_bfe_u32 v3, v3, 24, 7
	s_movk_i32 s7, 0x7f
	v_cmp_ne_u32_e32 vcc, s7, v3
	v_mov_b32_e32 v18, 0x7f80
	s_and_saveexec_b64 s[14:15], vcc
	s_cbranch_execz .LBB894_733
; %bb.732:
	v_and_b32_e32 v20, 7, v2
	v_ffbh_u32_e32 v18, v20
	v_min_u32_e32 v23, 32, v18
	v_subrev_u32_e32 v18, 28, v23
	v_lshlrev_b64 v[18:19], v18, v[2:3]
	v_lshrrev_b32_e32 v21, 3, v3
	v_sub_u32_e32 v19, 29, v23
	v_and_b32_e32 v18, 7, v18
	v_cmp_gt_u32_e32 vcc, 8, v3
	v_cndmask_b32_e32 v3, v21, v19, vcc
	v_cndmask_b32_e32 v18, v20, v18, vcc
	v_lshlrev_b32_e32 v2, 24, v2
	v_bfrev_b32_e32 v19, 60
	v_lshlrev_b32_e32 v18, 20, v18
	v_and_b32_e32 v2, 0x80000000, v2
	v_lshl_add_u32 v3, v3, 23, v19
	v_or3_b32 v2, v2, v3, v18
	v_lshrrev_b32_e32 v18, 16, v2
.LBB894_733:
	s_or_b64 exec, exec, s[14:15]
.LBB894_734:
	s_or_b64 exec, exec, s[12:13]
.LBB894_735:
	s_or_b64 exec, exec, s[10:11]
	s_mov_b32 s7, 0x5040100
	v_perm_b32 v3, v14, v12, s7
	v_perm_b32 v2, v11, v15, s7
	ds_read_b128 v[24:27], v22 offset:6144
	v_cmp_ne_u16_sdwa s[12:13], v4, v10 src0_sel:BYTE_0 src1_sel:DWORD
	s_waitcnt lgkmcnt(0)
	v_mfma_f32_16x16x16bf16_1k v[6:9], v[2:3], v[24:25], v[6:9]
	v_perm_b32 v3, v18, v17, s7
	v_perm_b32 v2, v16, v13, s7
	s_nop 1
	v_mfma_f32_16x16x16bf16_1k v[6:9], v[2:3], v[26:27], v[6:9]
	s_and_saveexec_b64 s[10:11], s[12:13]
	s_cbranch_execz .LBB894_741
; %bb.736:
	s_movk_i32 s7, 0x80
	v_cmp_ne_u16_sdwa s[14:15], v4, s7 src0_sel:BYTE_0 src1_sel:DWORD
	v_mov_b32_e32 v10, 0xffff8000
	s_and_saveexec_b64 s[12:13], s[14:15]
	s_cbranch_execz .LBB894_740
; %bb.737:
	s_movk_i32 s7, 0x7f
	v_and_b32_e32 v2, 0x7f, v4
	v_cmp_ne_u32_e32 vcc, s7, v2
	v_mov_b32_e32 v10, 0x7f80
	s_and_saveexec_b64 s[14:15], vcc
	s_cbranch_execz .LBB894_739
; %bb.738:
	v_and_b32_e32 v3, 7, v4
	v_ffbh_u32_e32 v10, v3
	v_min_u32_e32 v13, 32, v10
	v_subrev_u32_e32 v10, 28, v13
	v_lshlrev_b64 v[10:11], v10, v[4:5]
	v_lshrrev_b32_e32 v12, 3, v2
	v_sub_u32_e32 v11, 29, v13
	v_and_b32_e32 v10, 7, v10
	v_cmp_gt_u32_e32 vcc, 8, v2
	v_cndmask_b32_e32 v2, v12, v11, vcc
	v_cndmask_b32_e32 v3, v3, v10, vcc
	v_lshlrev_b32_e32 v10, 24, v4
	v_bfrev_b32_e32 v11, 60
	v_lshlrev_b32_e32 v3, 20, v3
	v_and_b32_e32 v10, 0x80000000, v10
	v_lshl_add_u32 v2, v2, 23, v11
	v_or3_b32 v2, v10, v2, v3
	v_lshrrev_b32_e32 v10, 16, v2
.LBB894_739:
	s_or_b64 exec, exec, s[14:15]
.LBB894_740:
	s_or_b64 exec, exec, s[12:13]
.LBB894_741:
	s_or_b64 exec, exec, s[10:11]
	v_lshrrev_b16_e32 v2, 8, v4
	v_cmp_ne_u16_e32 vcc, 0, v2
	v_mov_b32_e32 v11, 0
	v_mov_b32_e32 v3, 0
	s_and_saveexec_b64 s[10:11], vcc
	s_cbranch_execz .LBB894_747
; %bb.742:
	s_movk_i32 s7, 0x80
	v_cmp_ne_u16_e32 vcc, s7, v2
	v_mov_b32_e32 v3, 0xffff8000
	s_and_saveexec_b64 s[12:13], vcc
	s_cbranch_execz .LBB894_746
; %bb.743:
	s_movk_i32 s7, 0x7f
	v_and_b32_e32 v12, 0x7f, v2
	v_cmp_ne_u32_e32 vcc, s7, v12
	v_mov_b32_e32 v3, 0x7f80
	s_and_saveexec_b64 s[14:15], vcc
	s_cbranch_execz .LBB894_745
; %bb.744:
	v_and_b32_e32 v13, 7, v2
	v_ffbh_u32_e32 v3, v13
	v_min_u32_e32 v15, 32, v3
	v_subrev_u32_e32 v3, 28, v15
	v_lshlrev_b64 v[2:3], v3, v[2:3]
	v_lshrrev_b32_e32 v14, 3, v12
	v_sub_u32_e32 v3, 29, v15
	v_and_b32_e32 v2, 7, v2
	v_cmp_gt_u32_e32 vcc, 8, v12
	v_cndmask_b32_e32 v3, v14, v3, vcc
	v_cndmask_b32_e32 v2, v13, v2, vcc
	v_lshlrev_b32_e32 v12, 16, v4
	v_bfrev_b32_e32 v13, 60
	v_lshlrev_b32_e32 v2, 20, v2
	v_and_b32_e32 v12, 0x80000000, v12
	v_lshl_add_u32 v3, v3, 23, v13
	v_or3_b32 v2, v12, v3, v2
	v_lshrrev_b32_e32 v3, 16, v2
.LBB894_745:
	s_or_b64 exec, exec, s[14:15]
.LBB894_746:
	s_or_b64 exec, exec, s[12:13]
.LBB894_747:
	s_or_b64 exec, exec, s[10:11]
	s_movk_i32 s7, 0xff
	v_and_b32_sdwa v12, v4, s7 dst_sel:DWORD dst_unused:UNUSED_PAD src0_sel:WORD_1 src1_sel:DWORD
	v_lshrrev_b32_e32 v2, 16, v4
	v_cmp_ne_u16_e32 vcc, 0, v12
	s_and_saveexec_b64 s[10:11], vcc
	s_cbranch_execz .LBB894_753
; %bb.748:
	s_movk_i32 s7, 0x80
	v_cmp_ne_u16_e32 vcc, s7, v12
	v_mov_b32_e32 v11, 0xffff8000
	s_and_saveexec_b64 s[12:13], vcc
	s_cbranch_execz .LBB894_752
; %bb.749:
	v_bfe_u32 v12, v4, 16, 7
	s_movk_i32 s7, 0x7f
	v_cmp_ne_u32_e32 vcc, s7, v12
	v_mov_b32_e32 v11, 0x7f80
	s_and_saveexec_b64 s[14:15], vcc
	s_cbranch_execz .LBB894_751
; %bb.750:
	v_and_b32_e32 v11, 7, v2
	v_ffbh_u32_e32 v14, v11
	v_min_u32_e32 v16, 32, v14
	v_subrev_u32_e32 v14, 28, v16
	v_lshlrev_b64 v[14:15], v14, v[2:3]
	v_lshrrev_b32_e32 v13, 3, v12
	v_sub_u32_e32 v2, 29, v16
	v_and_b32_e32 v14, 7, v14
	v_cmp_gt_u32_e32 vcc, 8, v12
	v_mov_b32_e32 v12, 24
	v_cndmask_b32_e32 v2, v13, v2, vcc
	v_cndmask_b32_e32 v11, v11, v14, vcc
	v_lshlrev_b32_sdwa v12, v12, v4 dst_sel:DWORD dst_unused:UNUSED_PAD src0_sel:DWORD src1_sel:WORD_1
	v_bfrev_b32_e32 v13, 60
	v_lshlrev_b32_e32 v11, 20, v11
	v_and_b32_e32 v12, 0x80000000, v12
	v_lshl_add_u32 v2, v2, 23, v13
	v_or3_b32 v2, v12, v2, v11
	v_lshrrev_b32_e32 v11, 16, v2
.LBB894_751:
	s_or_b64 exec, exec, s[14:15]
.LBB894_752:
	s_or_b64 exec, exec, s[12:13]
.LBB894_753:
	s_or_b64 exec, exec, s[10:11]
	s_mov_b32 s7, 0xffffff
	v_cmp_lt_u32_e32 vcc, s7, v4
	v_mov_b32_e32 v12, 0
	v_mov_b32_e32 v13, 0
	s_and_saveexec_b64 s[10:11], vcc
	s_cbranch_execz .LBB894_759
; %bb.754:
	v_lshrrev_b32_e32 v2, 24, v4
	s_movk_i32 s7, 0x80
	v_cmp_ne_u32_e32 vcc, s7, v2
	v_mov_b32_e32 v13, 0xffff8000
	s_and_saveexec_b64 s[12:13], vcc
	s_cbranch_execz .LBB894_758
; %bb.755:
	v_bfe_u32 v4, v4, 24, 7
	s_movk_i32 s7, 0x7f
	v_cmp_ne_u32_e32 vcc, s7, v4
	v_mov_b32_e32 v13, 0x7f80
	s_and_saveexec_b64 s[14:15], vcc
	s_cbranch_execz .LBB894_757
; %bb.756:
	v_and_b32_e32 v13, 7, v2
	v_ffbh_u32_e32 v14, v13
	v_min_u32_e32 v17, 32, v14
	v_subrev_u32_e32 v14, 28, v17
	v_lshlrev_b64 v[14:15], v14, v[2:3]
	v_lshrrev_b32_e32 v16, 3, v4
	v_sub_u32_e32 v15, 29, v17
	v_and_b32_e32 v14, 7, v14
	v_cmp_gt_u32_e32 vcc, 8, v4
	v_cndmask_b32_e32 v4, v16, v15, vcc
	v_cndmask_b32_e32 v13, v13, v14, vcc
	v_lshlrev_b32_e32 v2, 24, v2
	v_bfrev_b32_e32 v14, 60
	v_lshlrev_b32_e32 v13, 20, v13
	v_and_b32_e32 v2, 0x80000000, v2
	v_lshl_add_u32 v4, v4, 23, v14
	v_or3_b32 v2, v2, v4, v13
	v_lshrrev_b32_e32 v13, 16, v2
.LBB894_757:
	s_or_b64 exec, exec, s[14:15]
.LBB894_758:
	s_or_b64 exec, exec, s[12:13]
.LBB894_759:
	s_or_b64 exec, exec, s[10:11]
	v_cmp_ne_u16_sdwa s[12:13], v5, v12 src0_sel:BYTE_0 src1_sel:DWORD
	s_and_saveexec_b64 s[10:11], s[12:13]
	s_cbranch_execz .LBB894_765
; %bb.760:
	s_movk_i32 s7, 0x80
	v_cmp_ne_u16_sdwa s[14:15], v5, s7 src0_sel:BYTE_0 src1_sel:DWORD
	v_mov_b32_e32 v12, 0xffff8000
	s_and_saveexec_b64 s[12:13], s[14:15]
	s_cbranch_execz .LBB894_764
; %bb.761:
	s_movk_i32 s7, 0x7f
	v_and_b32_e32 v2, 0x7f, v5
	v_cmp_ne_u32_e32 vcc, s7, v2
	v_mov_b32_e32 v12, 0x7f80
	s_and_saveexec_b64 s[14:15], vcc
	s_cbranch_execz .LBB894_763
; %bb.762:
	v_and_b32_e32 v12, 7, v5
	v_ffbh_u32_e32 v14, v12
	v_min_u32_e32 v17, 32, v14
	v_mov_b32_e32 v4, v5
	v_subrev_u32_e32 v14, 28, v17
	v_lshlrev_b64 v[14:15], v14, v[4:5]
	v_lshrrev_b32_e32 v16, 3, v2
	v_sub_u32_e32 v4, 29, v17
	v_and_b32_e32 v14, 7, v14
	v_cmp_gt_u32_e32 vcc, 8, v2
	v_cndmask_b32_e32 v2, v16, v4, vcc
	v_cndmask_b32_e32 v4, v12, v14, vcc
	v_lshlrev_b32_e32 v12, 24, v5
	v_bfrev_b32_e32 v14, 60
	v_lshlrev_b32_e32 v4, 20, v4
	v_and_b32_e32 v12, 0x80000000, v12
	v_lshl_add_u32 v2, v2, 23, v14
	v_or3_b32 v2, v12, v2, v4
	v_lshrrev_b32_e32 v12, 16, v2
.LBB894_763:
	s_or_b64 exec, exec, s[14:15]
.LBB894_764:
	s_or_b64 exec, exec, s[12:13]
.LBB894_765:
	s_or_b64 exec, exec, s[10:11]
	v_lshrrev_b16_e32 v2, 8, v5
	v_cmp_ne_u16_e32 vcc, 0, v2
	v_mov_b32_e32 v14, 0
	v_mov_b32_e32 v4, 0
	s_and_saveexec_b64 s[10:11], vcc
	s_cbranch_execz .LBB894_771
; %bb.766:
	s_movk_i32 s7, 0x80
	v_cmp_ne_u16_e32 vcc, s7, v2
	v_mov_b32_e32 v4, 0xffff8000
	s_and_saveexec_b64 s[12:13], vcc
	s_cbranch_execz .LBB894_770
; %bb.767:
	s_movk_i32 s7, 0x7f
	v_and_b32_e32 v15, 0x7f, v2
	v_cmp_ne_u32_e32 vcc, s7, v15
	v_mov_b32_e32 v4, 0x7f80
	s_and_saveexec_b64 s[14:15], vcc
	s_cbranch_execz .LBB894_769
; %bb.768:
	v_and_b32_e32 v4, 7, v2
	v_ffbh_u32_e32 v16, v4
	v_min_u32_e32 v19, 32, v16
	v_subrev_u32_e32 v16, 28, v19
	v_lshlrev_b64 v[16:17], v16, v[2:3]
	v_lshrrev_b32_e32 v18, 3, v15
	v_sub_u32_e32 v2, 29, v19
	v_and_b32_e32 v16, 7, v16
	v_cmp_gt_u32_e32 vcc, 8, v15
	v_cndmask_b32_e32 v2, v18, v2, vcc
	v_cndmask_b32_e32 v4, v4, v16, vcc
	v_lshlrev_b32_e32 v15, 16, v5
	v_bfrev_b32_e32 v16, 60
	v_lshlrev_b32_e32 v4, 20, v4
	v_and_b32_e32 v15, 0x80000000, v15
	v_lshl_add_u32 v2, v2, 23, v16
	v_or3_b32 v2, v15, v2, v4
	v_lshrrev_b32_e32 v4, 16, v2
.LBB894_769:
	s_or_b64 exec, exec, s[14:15]
.LBB894_770:
	s_or_b64 exec, exec, s[12:13]
.LBB894_771:
	s_or_b64 exec, exec, s[10:11]
	s_movk_i32 s7, 0xff
	v_and_b32_sdwa v15, v5, s7 dst_sel:DWORD dst_unused:UNUSED_PAD src0_sel:WORD_1 src1_sel:DWORD
	v_lshrrev_b32_e32 v2, 16, v5
	v_cmp_ne_u16_e32 vcc, 0, v15
	s_and_saveexec_b64 s[10:11], vcc
	s_cbranch_execz .LBB894_777
; %bb.772:
	s_movk_i32 s7, 0x80
	v_cmp_ne_u16_e32 vcc, s7, v15
	v_mov_b32_e32 v14, 0xffff8000
	s_and_saveexec_b64 s[12:13], vcc
	s_cbranch_execz .LBB894_776
; %bb.773:
	v_bfe_u32 v15, v5, 16, 7
	s_movk_i32 s7, 0x7f
	v_cmp_ne_u32_e32 vcc, s7, v15
	v_mov_b32_e32 v14, 0x7f80
	s_and_saveexec_b64 s[14:15], vcc
	s_cbranch_execz .LBB894_775
; %bb.774:
	v_and_b32_e32 v14, 7, v2
	v_ffbh_u32_e32 v16, v14
	v_min_u32_e32 v19, 32, v16
	v_subrev_u32_e32 v16, 28, v19
	v_lshlrev_b64 v[16:17], v16, v[2:3]
	v_lshrrev_b32_e32 v18, 3, v15
	v_sub_u32_e32 v2, 29, v19
	v_and_b32_e32 v16, 7, v16
	v_cmp_gt_u32_e32 vcc, 8, v15
	v_mov_b32_e32 v15, 24
	v_cndmask_b32_e32 v2, v18, v2, vcc
	v_cndmask_b32_e32 v14, v14, v16, vcc
	v_lshlrev_b32_sdwa v15, v15, v5 dst_sel:DWORD dst_unused:UNUSED_PAD src0_sel:DWORD src1_sel:WORD_1
	v_bfrev_b32_e32 v16, 60
	v_lshlrev_b32_e32 v14, 20, v14
	v_and_b32_e32 v15, 0x80000000, v15
	v_lshl_add_u32 v2, v2, 23, v16
	v_or3_b32 v2, v15, v2, v14
	v_lshrrev_b32_e32 v14, 16, v2
.LBB894_775:
	s_or_b64 exec, exec, s[14:15]
.LBB894_776:
	s_or_b64 exec, exec, s[12:13]
.LBB894_777:
	s_or_b64 exec, exec, s[10:11]
	s_mov_b32 s7, 0xffffff
	v_cmp_lt_u32_e32 vcc, s7, v5
	v_mov_b32_e32 v15, 0
	s_and_saveexec_b64 s[10:11], vcc
	s_cbranch_execz .LBB894_783
; %bb.778:
	v_lshrrev_b32_e32 v2, 24, v5
	s_movk_i32 s7, 0x80
	v_cmp_ne_u32_e32 vcc, s7, v2
	v_mov_b32_e32 v15, 0xffff8000
	s_and_saveexec_b64 s[12:13], vcc
	s_cbranch_execz .LBB894_782
; %bb.779:
	v_bfe_u32 v5, v5, 24, 7
	s_movk_i32 s7, 0x7f
	v_cmp_ne_u32_e32 vcc, s7, v5
	v_mov_b32_e32 v15, 0x7f80
	s_and_saveexec_b64 s[14:15], vcc
	s_cbranch_execz .LBB894_781
; %bb.780:
	v_and_b32_e32 v15, 7, v2
	v_ffbh_u32_e32 v16, v15
	v_min_u32_e32 v19, 32, v16
	v_subrev_u32_e32 v16, 28, v19
	v_lshlrev_b64 v[16:17], v16, v[2:3]
	v_lshrrev_b32_e32 v18, 3, v5
	v_sub_u32_e32 v17, 29, v19
	v_and_b32_e32 v16, 7, v16
	v_cmp_gt_u32_e32 vcc, 8, v5
	v_cndmask_b32_e32 v5, v18, v17, vcc
	v_cndmask_b32_e32 v15, v15, v16, vcc
	v_lshlrev_b32_e32 v2, 24, v2
	v_bfrev_b32_e32 v16, 60
	v_lshlrev_b32_e32 v15, 20, v15
	v_and_b32_e32 v2, 0x80000000, v2
	v_lshl_add_u32 v5, v5, 23, v16
	v_or3_b32 v2, v2, v5, v15
	v_lshrrev_b32_e32 v15, 16, v2
.LBB894_781:
	s_or_b64 exec, exec, s[14:15]
.LBB894_782:
	s_or_b64 exec, exec, s[12:13]
.LBB894_783:
	s_or_b64 exec, exec, s[10:11]
	s_mov_b32 s7, 0x5040100
	v_perm_b32 v11, v13, v11, s7
	ds_read_b128 v[16:19], v22 offset:6160
	v_perm_b32 v10, v3, v10, s7
	v_perm_b32 v3, v15, v14, s7
	;; [unrolled: 1-line block ×3, first 2 shown]
	s_waitcnt lgkmcnt(0)
	v_mfma_f32_16x16x16bf16_1k v[6:9], v[10:11], v[16:17], v[6:9]
	s_load_dword s10, s[42:43], 0x0
	s_movk_i32 s11, 0x7fff
	v_cmp_gt_u32_e32 vcc, 64, v0
	s_mov_b32 s7, 0x7060302
	s_and_b64 s[0:1], s[0:1], vcc
	s_and_b64 s[0:1], s[0:1], s[2:3]
	s_waitcnt lgkmcnt(0)
	v_mfma_f32_16x16x16bf16_1k v[2:5], v[2:3], v[18:19], v[6:9]
	s_barrier
	s_nop 7
	s_nop 1
	v_pk_mul_f32 v[4:5], v[4:5], s[10:11] op_sel_hi:[1,0]
	v_pk_mul_f32 v[2:3], v[2:3], s[10:11] op_sel_hi:[1,0]
	v_bfe_u32 v6, v3, 16, 1
	v_bfe_u32 v7, v2, 16, 1
	;; [unrolled: 1-line block ×4, first 2 shown]
	v_add3_u32 v2, v2, v7, s11
	v_add3_u32 v3, v3, v6, s11
	;; [unrolled: 1-line block ×4, first 2 shown]
	v_perm_b32 v2, v3, v2, s7
	v_perm_b32 v3, v5, v4, s7
	ds_write_b64 v28, v[2:3]
	s_waitcnt lgkmcnt(0)
	s_barrier
	s_and_saveexec_b64 s[2:3], s[0:1]
	s_cbranch_execz .LBB894_785
; %bb.784:
	s_load_dwordx2 s[0:1], s[4:5], 0x68
	s_mul_i32 s2, s45, s6
	s_lshl_b32 s4, s44, 6
	s_mul_hi_u32 s3, s2, s4
	s_mul_i32 s2, s2, s4
	s_lshl_b64 s[2:3], s[2:3], 1
	v_lshlrev_b32_e32 v0, 10, v0
	s_waitcnt lgkmcnt(0)
	s_add_u32 s2, s0, s2
	v_and_b32_e32 v0, 0x1800, v0
	v_lshlrev_b32_e32 v2, 5, v46
	v_and_b32_e32 v3, 16, v47
	s_addc_u32 s3, s1, s3
	s_lshl_b32 s0, s9, 6
	s_mov_b32 s1, 0
	v_or3_b32 v0, v0, v2, v3
	s_lshl_b64 s[0:1], s[0:1], 1
	ds_read_b128 v[2:5], v0
	s_add_u32 s2, s2, s0
	s_addc_u32 s3, s3, s1
	s_mul_hi_u32 s1, s4, s8
	s_mul_i32 s0, s4, s8
	s_lshl_b64 s[0:1], s[0:1], 1
	s_add_u32 s0, s2, s0
	s_addc_u32 s1, s3, s1
	s_waitcnt lgkmcnt(0)
	global_store_dwordx4 v1, v[2:5], s[0:1]
.LBB894_785:
	s_endpgm
	.section	.rodata,"a",@progbits
	.p2align	6, 0x0
	.amdhsa_kernel _Z39paged_attention_ll4mi_QKV_mfma16_kernelI14__hip_bfloat16hLN4vllm18Fp8KVCacheDataTypeE1ES0_Li32ELi64ELi256ELb0ELi1EL8MFMAType0EEvPKT_PKT0_S9_ifPKiSB_SB_iPKfiiiPfSE_PS4_PT2_iSD_SD_
		.amdhsa_group_segment_fixed_size 8192
		.amdhsa_private_segment_fixed_size 0
		.amdhsa_kernarg_size 400
		.amdhsa_user_sgpr_count 6
		.amdhsa_user_sgpr_private_segment_buffer 1
		.amdhsa_user_sgpr_dispatch_ptr 0
		.amdhsa_user_sgpr_queue_ptr 0
		.amdhsa_user_sgpr_kernarg_segment_ptr 1
		.amdhsa_user_sgpr_dispatch_id 0
		.amdhsa_user_sgpr_flat_scratch_init 0
		.amdhsa_user_sgpr_kernarg_preload_length 0
		.amdhsa_user_sgpr_kernarg_preload_offset 0
		.amdhsa_user_sgpr_private_segment_size 0
		.amdhsa_uses_dynamic_stack 0
		.amdhsa_system_sgpr_private_segment_wavefront_offset 0
		.amdhsa_system_sgpr_workgroup_id_x 1
		.amdhsa_system_sgpr_workgroup_id_y 1
		.amdhsa_system_sgpr_workgroup_id_z 1
		.amdhsa_system_sgpr_workgroup_info 0
		.amdhsa_system_vgpr_workitem_id 0
		.amdhsa_next_free_vgpr 62
		.amdhsa_next_free_sgpr 47
		.amdhsa_accum_offset 64
		.amdhsa_reserve_vcc 1
		.amdhsa_reserve_flat_scratch 0
		.amdhsa_float_round_mode_32 0
		.amdhsa_float_round_mode_16_64 0
		.amdhsa_float_denorm_mode_32 3
		.amdhsa_float_denorm_mode_16_64 3
		.amdhsa_dx10_clamp 1
		.amdhsa_ieee_mode 1
		.amdhsa_fp16_overflow 0
		.amdhsa_tg_split 0
		.amdhsa_exception_fp_ieee_invalid_op 0
		.amdhsa_exception_fp_denorm_src 0
		.amdhsa_exception_fp_ieee_div_zero 0
		.amdhsa_exception_fp_ieee_overflow 0
		.amdhsa_exception_fp_ieee_underflow 0
		.amdhsa_exception_fp_ieee_inexact 0
		.amdhsa_exception_int_div_zero 0
	.end_amdhsa_kernel
	.section	.text._Z39paged_attention_ll4mi_QKV_mfma16_kernelI14__hip_bfloat16hLN4vllm18Fp8KVCacheDataTypeE1ES0_Li32ELi64ELi256ELb0ELi1EL8MFMAType0EEvPKT_PKT0_S9_ifPKiSB_SB_iPKfiiiPfSE_PS4_PT2_iSD_SD_,"axG",@progbits,_Z39paged_attention_ll4mi_QKV_mfma16_kernelI14__hip_bfloat16hLN4vllm18Fp8KVCacheDataTypeE1ES0_Li32ELi64ELi256ELb0ELi1EL8MFMAType0EEvPKT_PKT0_S9_ifPKiSB_SB_iPKfiiiPfSE_PS4_PT2_iSD_SD_,comdat
.Lfunc_end894:
	.size	_Z39paged_attention_ll4mi_QKV_mfma16_kernelI14__hip_bfloat16hLN4vllm18Fp8KVCacheDataTypeE1ES0_Li32ELi64ELi256ELb0ELi1EL8MFMAType0EEvPKT_PKT0_S9_ifPKiSB_SB_iPKfiiiPfSE_PS4_PT2_iSD_SD_, .Lfunc_end894-_Z39paged_attention_ll4mi_QKV_mfma16_kernelI14__hip_bfloat16hLN4vllm18Fp8KVCacheDataTypeE1ES0_Li32ELi64ELi256ELb0ELi1EL8MFMAType0EEvPKT_PKT0_S9_ifPKiSB_SB_iPKfiiiPfSE_PS4_PT2_iSD_SD_
                                        ; -- End function
	.section	.AMDGPU.csdata,"",@progbits
; Kernel info:
; codeLenInByte = 28216
; NumSgprs: 51
; NumVgprs: 62
; NumAgprs: 0
; TotalNumVgprs: 62
; ScratchSize: 0
; MemoryBound: 0
; FloatMode: 240
; IeeeMode: 1
; LDSByteSize: 8192 bytes/workgroup (compile time only)
; SGPRBlocks: 6
; VGPRBlocks: 7
; NumSGPRsForWavesPerEU: 51
; NumVGPRsForWavesPerEU: 62
; AccumOffset: 64
; Occupancy: 8
; WaveLimiterHint : 1
; COMPUTE_PGM_RSRC2:SCRATCH_EN: 0
; COMPUTE_PGM_RSRC2:USER_SGPR: 6
; COMPUTE_PGM_RSRC2:TRAP_HANDLER: 0
; COMPUTE_PGM_RSRC2:TGID_X_EN: 1
; COMPUTE_PGM_RSRC2:TGID_Y_EN: 1
; COMPUTE_PGM_RSRC2:TGID_Z_EN: 1
; COMPUTE_PGM_RSRC2:TIDIG_COMP_CNT: 0
; COMPUTE_PGM_RSRC3_GFX90A:ACCUM_OFFSET: 15
; COMPUTE_PGM_RSRC3_GFX90A:TG_SPLIT: 0
	.section	.text._Z39paged_attention_ll4mi_QKV_mfma16_kernelI14__hip_bfloat16hLN4vllm18Fp8KVCacheDataTypeE1ES0_Li32ELi64ELi256ELb0ELi2EL8MFMAType0EEvPKT_PKT0_S9_ifPKiSB_SB_iPKfiiiPfSE_PS4_PT2_iSD_SD_,"axG",@progbits,_Z39paged_attention_ll4mi_QKV_mfma16_kernelI14__hip_bfloat16hLN4vllm18Fp8KVCacheDataTypeE1ES0_Li32ELi64ELi256ELb0ELi2EL8MFMAType0EEvPKT_PKT0_S9_ifPKiSB_SB_iPKfiiiPfSE_PS4_PT2_iSD_SD_,comdat
	.protected	_Z39paged_attention_ll4mi_QKV_mfma16_kernelI14__hip_bfloat16hLN4vllm18Fp8KVCacheDataTypeE1ES0_Li32ELi64ELi256ELb0ELi2EL8MFMAType0EEvPKT_PKT0_S9_ifPKiSB_SB_iPKfiiiPfSE_PS4_PT2_iSD_SD_ ; -- Begin function _Z39paged_attention_ll4mi_QKV_mfma16_kernelI14__hip_bfloat16hLN4vllm18Fp8KVCacheDataTypeE1ES0_Li32ELi64ELi256ELb0ELi2EL8MFMAType0EEvPKT_PKT0_S9_ifPKiSB_SB_iPKfiiiPfSE_PS4_PT2_iSD_SD_
	.globl	_Z39paged_attention_ll4mi_QKV_mfma16_kernelI14__hip_bfloat16hLN4vllm18Fp8KVCacheDataTypeE1ES0_Li32ELi64ELi256ELb0ELi2EL8MFMAType0EEvPKT_PKT0_S9_ifPKiSB_SB_iPKfiiiPfSE_PS4_PT2_iSD_SD_
	.p2align	8
	.type	_Z39paged_attention_ll4mi_QKV_mfma16_kernelI14__hip_bfloat16hLN4vllm18Fp8KVCacheDataTypeE1ES0_Li32ELi64ELi256ELb0ELi2EL8MFMAType0EEvPKT_PKT0_S9_ifPKiSB_SB_iPKfiiiPfSE_PS4_PT2_iSD_SD_,@function
_Z39paged_attention_ll4mi_QKV_mfma16_kernelI14__hip_bfloat16hLN4vllm18Fp8KVCacheDataTypeE1ES0_Li32ELi64ELi256ELb0ELi2EL8MFMAType0EEvPKT_PKT0_S9_ifPKiSB_SB_iPKfiiiPfSE_PS4_PT2_iSD_SD_: ; @_Z39paged_attention_ll4mi_QKV_mfma16_kernelI14__hip_bfloat16hLN4vllm18Fp8KVCacheDataTypeE1ES0_Li32ELi64ELi256ELb0ELi2EL8MFMAType0EEvPKT_PKT0_S9_ifPKiSB_SB_iPKfiiiPfSE_PS4_PT2_iSD_SD_
; %bb.0:
	s_load_dwordx2 s[0:1], s[4:5], 0x30
	s_mov_b32 s24, s7
	s_mov_b64 s[10:11], 0
	s_waitcnt lgkmcnt(0)
	s_cmp_lg_u64 s[0:1], 0
	s_cselect_b64 s[2:3], -1, 0
	s_and_b64 vcc, exec, s[2:3]
	s_cbranch_vccz .LBB895_7
; %bb.1:
	s_add_i32 s12, s6, 1
	s_mov_b32 s13, 0
	s_lshl_b64 s[14:15], s[12:13], 2
	s_add_u32 s14, s0, s14
	s_mov_b32 s7, s13
	s_addc_u32 s15, s1, s15
	s_lshl_b64 s[12:13], s[6:7], 2
	s_add_u32 s12, s0, s12
	s_addc_u32 s13, s1, s13
	s_load_dword s9, s[14:15], 0x0
	s_load_dword s16, s[12:13], 0x0
	s_waitcnt lgkmcnt(0)
	s_sub_i32 s9, s9, s16
	s_cmp_eq_u32 s9, 1
	s_cselect_b64 s[12:13], -1, 0
	s_andn2_b64 vcc, exec, s[10:11]
	s_cbranch_vccnz .LBB895_3
.LBB895_2:
	s_mov_b32 s7, 0
	s_mov_b64 s[12:13], -1
.LBB895_3:
	s_andn2_b64 vcc, exec, s[12:13]
	s_cbranch_vccnz .LBB895_785
; %bb.4:
	s_load_dwordx2 s[12:13], s[4:5], 0x28
	s_lshl_b64 s[10:11], s[6:7], 2
	s_waitcnt lgkmcnt(0)
	s_add_u32 s12, s12, s10
	s_addc_u32 s13, s13, s11
	s_load_dword s33, s[12:13], 0x0
	s_lshl_b32 s20, s24, 8
	s_waitcnt lgkmcnt(0)
	s_cmp_ge_i32 s20, s33
	s_cbranch_scc1 .LBB895_785
; %bb.5:
	s_add_i32 s14, s33, 31
	s_load_dwordx2 s[12:13], s[4:5], 0x20
	s_load_dword s9, s[4:5], 0x38
	s_ashr_i32 s15, s14, 31
	v_and_b32_e32 v1, 0xcf, v0
	s_lshr_b32 s15, s15, 27
	v_add_u32_e32 v1, s20, v1
	s_add_i32 s14, s14, s15
	v_ashrrev_i32_e32 v2, 31, v1
	s_ashr_i32 s22, s14, 5
	v_lshrrev_b32_e32 v4, 27, v2
	s_add_i32 s22, s22, -1
	v_add_u32_e32 v2, v1, v4
	s_waitcnt lgkmcnt(0)
	s_mul_i32 s14, s6, s9
	s_mov_b32 s15, 0
	v_ashrrev_i32_e32 v2, 5, v2
	v_mov_b32_e32 v5, s22
	v_cmp_gt_i32_e32 vcc, s33, v1
	s_lshl_b64 s[14:15], s[14:15], 2
	v_cndmask_b32_e32 v2, v5, v2, vcc
	s_add_u32 s9, s12, s14
	v_ashrrev_i32_e32 v3, 31, v2
	s_addc_u32 s21, s13, s15
	v_lshlrev_b64 v[2:3], 2, v[2:3]
	v_mov_b32_e32 v7, s21
	v_add_co_u32_e32 v6, vcc, s9, v2
	v_or_b32_e32 v2, 16, v1
	v_addc_co_u32_e32 v7, vcc, v7, v3, vcc
	v_add_u32_e32 v3, v2, v4
	v_ashrrev_i32_e32 v3, 5, v3
	v_cmp_gt_i32_e32 vcc, s33, v2
	v_cndmask_b32_e32 v2, v5, v3, vcc
	v_ashrrev_i32_e32 v3, 31, v2
	v_lshlrev_b64 v[2:3], 2, v[2:3]
	v_mov_b32_e32 v9, s21
	v_add_co_u32_e32 v8, vcc, s9, v2
	v_or_b32_e32 v2, 32, v1
	v_addc_co_u32_e32 v9, vcc, v9, v3, vcc
	v_add_u32_e32 v3, v2, v4
	v_ashrrev_i32_e32 v3, 5, v3
	v_cmp_gt_i32_e32 vcc, s33, v2
	v_cndmask_b32_e32 v2, v5, v3, vcc
	v_ashrrev_i32_e32 v3, 31, v2
	;; [unrolled: 10-line block ×3, first 2 shown]
	v_lshlrev_b64 v[2:3], 2, v[2:3]
	v_mov_b32_e32 v1, s21
	v_add_co_u32_e32 v12, vcc, s9, v2
	v_addc_co_u32_e32 v13, vcc, v1, v3, vcc
	global_load_dword v5, v[6:7], off
	global_load_dword v4, v[8:9], off
	;; [unrolled: 1-line block ×4, first 2 shown]
	s_load_dwordx4 s[12:15], s[4:5], 0x8
	s_andn2_b64 vcc, exec, s[2:3]
	s_cbranch_vccnz .LBB895_8
; %bb.6:
	s_add_u32 s0, s0, s10
	s_addc_u32 s1, s1, s11
	s_load_dword s10, s[0:1], 0x0
	s_branch .LBB895_9
.LBB895_7:
	s_mov_b64 s[12:13], 0
	s_branch .LBB895_2
.LBB895_8:
	s_mov_b32 s10, s6
.LBB895_9:
	s_load_dwordx4 s[16:19], s[4:5], 0x48
	v_lshrrev_b32_e32 v49, 6, v0
	v_bfe_u32 v1, v0, 4, 2
	v_lshl_or_b32 v6, v49, 2, v1
	v_and_b32_e32 v50, 15, v0
	v_lshlrev_b32_e32 v7, 3, v50
	v_cmp_gt_u32_e32 vcc, 2, v6
	v_cmp_gt_u32_e64 s[0:1], 8, v50
	s_lshl_b32 s25, s8, 1
	s_and_b64 s[26:27], s[0:1], vcc
	v_lshlrev_b32_e32 v46, 1, v7
	v_lshlrev_b32_e32 v47, 4, v0
	s_and_saveexec_b64 s[2:3], s[26:27]
	s_cbranch_execz .LBB895_11
; %bb.10:
	s_load_dwordx2 s[26:27], s[4:5], 0x0
	s_waitcnt lgkmcnt(0)
	s_ashr_i32 s11, s16, 31
	s_mul_hi_u32 s19, s10, s16
	s_mul_i32 s11, s10, s11
	s_add_i32 s11, s19, s11
	s_mul_i32 s10, s10, s16
	s_lshl_b64 s[10:11], s[10:11], 1
	v_add_lshl_u32 v8, v1, s25, 6
	s_add_u32 s10, s26, s10
	v_ashrrev_i32_e32 v9, 31, v8
	s_addc_u32 s11, s27, s11
	v_lshlrev_b64 v[8:9], 1, v[8:9]
	v_mov_b32_e32 v7, s11
	v_add_co_u32_e32 v8, vcc, s10, v8
	v_addc_co_u32_e32 v7, vcc, v7, v9, vcc
	v_add_co_u32_e32 v8, vcc, v8, v46
	v_addc_co_u32_e32 v9, vcc, 0, v7, vcc
	global_load_dwordx4 v[8:11], v[8:9], off
	v_lshlrev_b32_e32 v12, 8, v50
	v_lshlrev_b32_e32 v6, 5, v6
	v_and_b32_e32 v7, 16, v47
	v_and_b32_e32 v12, 0xe00, v12
	v_or3_b32 v6, v12, v6, v7
	s_waitcnt vmcnt(0)
	ds_write_b128 v6, v[8:11]
.LBB895_11:
	s_or_b64 exec, exec, s[2:3]
	s_waitcnt lgkmcnt(0)
	s_mul_i32 s8, s8, s18
	s_add_u32 s2, s12, s8
	s_addc_u32 s3, s13, 0
	v_and_b32_e32 v12, 48, v0
	s_ashr_i32 s10, s20, 31
	v_or_b32_e32 v13, s20, v12
	s_lshr_b32 s10, s10, 27
	v_add_u32_e32 v6, s10, v13
	v_ashrrev_i32_e32 v6, 5, v6
	v_mov_b32_e32 v14, s22
	v_cmp_gt_i32_e32 vcc, s33, v13
	v_cndmask_b32_e32 v6, v14, v6, vcc
	v_ashrrev_i32_e32 v7, 31, v6
	v_lshlrev_b64 v[6:7], 2, v[6:7]
	v_mov_b32_e32 v8, s21
	v_add_co_u32_e32 v6, vcc, s9, v6
	v_addc_co_u32_e32 v7, vcc, v8, v7, vcc
	v_or_b32_e32 v8, 64, v13
	v_add_u32_e32 v9, s10, v8
	v_ashrrev_i32_e32 v9, 5, v9
	v_cmp_gt_i32_e32 vcc, s33, v8
	v_cndmask_b32_e32 v8, v14, v9, vcc
	v_ashrrev_i32_e32 v9, 31, v8
	v_lshlrev_b64 v[8:9], 2, v[8:9]
	v_mov_b32_e32 v10, s21
	v_add_co_u32_e32 v8, vcc, s9, v8
	v_addc_co_u32_e32 v9, vcc, v10, v9, vcc
	v_or_b32_e32 v10, 0x80, v13
	v_add_u32_e32 v11, s10, v10
	v_ashrrev_i32_e32 v11, 5, v11
	v_cmp_gt_i32_e32 vcc, s33, v10
	v_cndmask_b32_e32 v10, v14, v11, vcc
	v_ashrrev_i32_e32 v11, 31, v10
	v_lshlrev_b64 v[10:11], 2, v[10:11]
	v_mov_b32_e32 v15, s21
	v_add_co_u32_e32 v10, vcc, s9, v10
	s_load_dwordx2 s[44:45], s[4:5], 0x94
	s_load_dwordx4 s[40:43], s[4:5], 0x80
	s_waitcnt lgkmcnt(0)
	s_barrier
	v_addc_co_u32_e32 v11, vcc, v15, v11, vcc
	global_load_dword v15, v[6:7], off
	global_load_dword v16, v[8:9], off
	global_load_dword v18, v[10:11], off
	v_or_b32_e32 v6, 0xc0, v13
	v_add_u32_e32 v7, s10, v6
	v_ashrrev_i32_e32 v7, 5, v7
	v_cmp_gt_i32_e32 vcc, s33, v6
	v_cndmask_b32_e32 v6, v14, v7, vcc
	v_ashrrev_i32_e32 v7, 31, v6
	v_lshlrev_b64 v[6:7], 2, v[6:7]
	v_mov_b32_e32 v8, s21
	v_add_co_u32_e32 v6, vcc, s9, v6
	v_addc_co_u32_e32 v7, vcc, v8, v7, vcc
	global_load_dword v20, v[6:7], off
	v_pk_mov_b32 v[6:7], s[2:3], s[2:3] op_sel:[0,1]
	s_waitcnt vmcnt(7)
	v_mad_i64_i32 v[8:9], s[2:3], v5, s17, v[6:7]
	v_lshlrev_b32_e32 v11, 4, v50
	v_add_co_u32_e32 v5, vcc, v8, v11
	v_lshlrev_b32_e32 v10, 5, v12
	v_addc_co_u32_e32 v9, vcc, 0, v9, vcc
	v_add_co_u32_e32 v8, vcc, v5, v10
	v_addc_co_u32_e32 v9, vcc, 0, v9, vcc
	s_waitcnt vmcnt(6)
	v_mad_i64_i32 v[4:5], s[2:3], v4, s17, v[6:7]
	v_or_b32_e32 v12, 0x100, v11
	v_add_co_u32_e32 v4, vcc, v4, v12
	v_addc_co_u32_e32 v5, vcc, 0, v5, vcc
	v_add_co_u32_e32 v4, vcc, v4, v10
	v_addc_co_u32_e32 v5, vcc, 0, v5, vcc
	global_load_dwordx4 v[30:33], v[8:9], off
	global_load_dwordx4 v[38:41], v[4:5], off
	s_waitcnt vmcnt(7)
	v_mad_i64_i32 v[4:5], s[2:3], v3, s17, v[6:7]
	v_add_co_u32_e32 v3, vcc, v4, v11
	v_addc_co_u32_e32 v5, vcc, 0, v5, vcc
	v_add_co_u32_e32 v4, vcc, v3, v10
	v_addc_co_u32_e32 v5, vcc, 0, v5, vcc
	s_waitcnt vmcnt(6)
	v_mad_i64_i32 v[2:3], s[2:3], v2, s17, v[6:7]
	v_add_co_u32_e32 v2, vcc, v2, v12
	v_addc_co_u32_e32 v3, vcc, 0, v3, vcc
	v_add_co_u32_e32 v2, vcc, v2, v10
	s_add_u32 s2, s14, s8
	v_addc_co_u32_e32 v3, vcc, 0, v3, vcc
	global_load_dwordx4 v[34:37], v[4:5], off
	global_load_dwordx4 v[22:25], v[2:3], off
	s_addc_u32 s3, s15, 0
	v_and_b32_e32 v2, 16, v0
	v_mov_b32_e32 v3, s3
	v_add_co_u32_e32 v2, vcc, s2, v2
	v_lshlrev_b32_e32 v48, 5, v50
	v_addc_co_u32_e32 v3, vcc, 0, v3, vcc
	v_lshl_or_b32 v4, v49, 9, v48
	v_add_co_u32_e32 v2, vcc, v2, v4
	v_addc_co_u32_e32 v3, vcc, 0, v3, vcc
	v_mov_b32_e32 v44, 0
	v_mov_b32_e32 v43, 0
	s_movk_i32 s8, 0x80
	s_waitcnt vmcnt(7)
	v_mad_i64_i32 v[4:5], s[2:3], v15, s17, v[2:3]
	s_waitcnt vmcnt(6)
	v_mad_i64_i32 v[6:7], s[2:3], v16, s17, v[2:3]
	;; [unrolled: 2-line block ×3, first 2 shown]
	global_load_dwordx4 v[14:17], v[4:5], off
	global_load_dwordx4 v[10:13], v[6:7], off
	s_waitcnt vmcnt(6)
	v_mad_i64_i32 v[20:21], s[2:3], v20, s17, v[2:3]
	global_load_dwordx4 v[6:9], v[18:19], off
	global_load_dwordx4 v[2:5], v[20:21], off
	v_and_b32_e32 v18, 1, v0
	v_lshlrev_b32_e32 v18, 5, v18
	v_lshl_or_b32 v18, v1, 9, v18
	ds_read_b128 v[26:29], v18
	ds_read_b128 v[18:21], v18 offset:16
	s_load_dword s12, s[40:41], 0x0
	s_waitcnt vmcnt(7)
	v_cmp_ne_u16_sdwa s[10:11], v30, v44 src0_sel:BYTE_0 src1_sel:DWORD
	s_and_saveexec_b64 s[2:3], s[10:11]
	s_cbranch_execz .LBB895_17
; %bb.12:
	v_cmp_ne_u16_sdwa s[10:11], v30, s8 src0_sel:BYTE_0 src1_sel:DWORD
	v_mov_b32_e32 v43, 0xffff8000
	s_and_saveexec_b64 s[8:9], s[10:11]
	s_cbranch_execz .LBB895_16
; %bb.13:
	s_movk_i32 s10, 0x7f
	v_and_b32_e32 v42, 0x7f, v30
	v_cmp_ne_u32_e32 vcc, s10, v42
	v_mov_b32_e32 v43, 0x7f80
	s_and_saveexec_b64 s[10:11], vcc
	s_cbranch_execz .LBB895_15
; %bb.14:
	v_and_b32_e32 v43, 7, v30
	v_ffbh_u32_e32 v51, v43
	v_min_u32_e32 v51, 32, v51
	v_subrev_u32_e32 v52, 28, v51
	v_lshlrev_b64 v[52:53], v52, v[30:31]
	v_lshrrev_b32_e32 v45, 3, v42
	v_sub_u32_e32 v51, 29, v51
	v_and_b32_e32 v52, 7, v52
	v_cmp_gt_u32_e32 vcc, 8, v42
	v_cndmask_b32_e32 v42, v45, v51, vcc
	v_cndmask_b32_e32 v43, v43, v52, vcc
	v_lshlrev_b32_e32 v45, 24, v30
	v_bfrev_b32_e32 v51, 60
	v_lshlrev_b32_e32 v43, 20, v43
	v_and_b32_e32 v45, 0x80000000, v45
	v_lshl_add_u32 v42, v42, 23, v51
	v_or3_b32 v42, v45, v42, v43
	v_lshrrev_b32_e32 v43, 16, v42
.LBB895_15:
	s_or_b64 exec, exec, s[10:11]
.LBB895_16:
	s_or_b64 exec, exec, s[8:9]
.LBB895_17:
	s_or_b64 exec, exec, s[2:3]
	v_lshrrev_b16_e32 v42, 8, v30
	v_cmp_ne_u16_e32 vcc, 0, v42
	s_and_saveexec_b64 s[2:3], vcc
	s_cbranch_execz .LBB895_23
; %bb.18:
	s_movk_i32 s8, 0x80
	v_cmp_ne_u16_e32 vcc, s8, v42
	v_mov_b32_e32 v44, 0xffff8000
	s_and_saveexec_b64 s[8:9], vcc
	s_cbranch_execz .LBB895_22
; %bb.19:
	s_movk_i32 s10, 0x7f
	v_and_b32_e32 v45, 0x7f, v42
	v_cmp_ne_u32_e32 vcc, s10, v45
	v_mov_b32_e32 v44, 0x7f80
	s_and_saveexec_b64 s[10:11], vcc
	s_cbranch_execz .LBB895_21
; %bb.20:
	v_and_b32_e32 v44, 7, v42
	v_ffbh_u32_e32 v52, v44
	v_min_u32_e32 v54, 32, v52
	v_subrev_u32_e32 v52, 28, v54
	v_lshlrev_b64 v[52:53], v52, v[42:43]
	v_lshrrev_b32_e32 v51, 3, v45
	v_sub_u32_e32 v42, 29, v54
	v_and_b32_e32 v52, 7, v52
	v_cmp_gt_u32_e32 vcc, 8, v45
	v_cndmask_b32_e32 v42, v51, v42, vcc
	v_cndmask_b32_e32 v44, v44, v52, vcc
	v_lshlrev_b32_e32 v45, 16, v30
	v_bfrev_b32_e32 v51, 60
	v_lshlrev_b32_e32 v44, 20, v44
	v_and_b32_e32 v45, 0x80000000, v45
	v_lshl_add_u32 v42, v42, 23, v51
	v_or3_b32 v42, v45, v42, v44
	v_lshrrev_b32_e32 v44, 16, v42
.LBB895_21:
	s_or_b64 exec, exec, s[10:11]
.LBB895_22:
	s_or_b64 exec, exec, s[8:9]
.LBB895_23:
	s_or_b64 exec, exec, s[2:3]
	s_movk_i32 s2, 0xff
	v_and_b32_sdwa v52, v30, s2 dst_sel:DWORD dst_unused:UNUSED_PAD src0_sel:WORD_1 src1_sel:DWORD
	v_lshrrev_b32_e32 v42, 16, v30
	v_cmp_ne_u16_e32 vcc, 0, v52
	v_mov_b32_e32 v45, 0
	v_mov_b32_e32 v51, 0
	s_and_saveexec_b64 s[2:3], vcc
	s_cbranch_execz .LBB895_29
; %bb.24:
	s_movk_i32 s8, 0x80
	v_cmp_ne_u16_e32 vcc, s8, v52
	v_mov_b32_e32 v51, 0xffff8000
	s_and_saveexec_b64 s[8:9], vcc
	s_cbranch_execz .LBB895_28
; %bb.25:
	v_bfe_u32 v52, v30, 16, 7
	s_movk_i32 s10, 0x7f
	v_cmp_ne_u32_e32 vcc, s10, v52
	v_mov_b32_e32 v51, 0x7f80
	s_and_saveexec_b64 s[10:11], vcc
	s_cbranch_execz .LBB895_27
; %bb.26:
	v_and_b32_e32 v51, 7, v42
	v_ffbh_u32_e32 v54, v51
	v_min_u32_e32 v56, 32, v54
	v_subrev_u32_e32 v54, 28, v56
	v_lshlrev_b64 v[54:55], v54, v[42:43]
	v_lshrrev_b32_e32 v53, 3, v52
	v_sub_u32_e32 v42, 29, v56
	v_and_b32_e32 v54, 7, v54
	v_cmp_gt_u32_e32 vcc, 8, v52
	v_mov_b32_e32 v52, 24
	v_cndmask_b32_e32 v42, v53, v42, vcc
	v_cndmask_b32_e32 v51, v51, v54, vcc
	v_lshlrev_b32_sdwa v52, v52, v30 dst_sel:DWORD dst_unused:UNUSED_PAD src0_sel:DWORD src1_sel:WORD_1
	v_bfrev_b32_e32 v53, 60
	v_lshlrev_b32_e32 v51, 20, v51
	v_and_b32_e32 v52, 0x80000000, v52
	v_lshl_add_u32 v42, v42, 23, v53
	v_or3_b32 v42, v52, v42, v51
	v_lshrrev_b32_e32 v51, 16, v42
.LBB895_27:
	s_or_b64 exec, exec, s[10:11]
.LBB895_28:
	s_or_b64 exec, exec, s[8:9]
.LBB895_29:
	s_or_b64 exec, exec, s[2:3]
	s_mov_b32 s2, 0xffffff
	v_cmp_lt_u32_e32 vcc, s2, v30
	s_and_saveexec_b64 s[2:3], vcc
	s_cbranch_execz .LBB895_35
; %bb.30:
	v_lshrrev_b32_e32 v42, 24, v30
	s_movk_i32 s8, 0x80
	v_cmp_ne_u32_e32 vcc, s8, v42
	v_mov_b32_e32 v45, 0xffff8000
	s_and_saveexec_b64 s[8:9], vcc
	s_cbranch_execz .LBB895_34
; %bb.31:
	v_bfe_u32 v30, v30, 24, 7
	s_movk_i32 s10, 0x7f
	v_cmp_ne_u32_e32 vcc, s10, v30
	v_mov_b32_e32 v45, 0x7f80
	s_and_saveexec_b64 s[10:11], vcc
	s_cbranch_execz .LBB895_33
; %bb.32:
	v_and_b32_e32 v45, 7, v42
	v_ffbh_u32_e32 v52, v45
	v_min_u32_e32 v55, 32, v52
	v_subrev_u32_e32 v52, 28, v55
	v_lshlrev_b64 v[52:53], v52, v[42:43]
	v_lshrrev_b32_e32 v54, 3, v30
	v_sub_u32_e32 v53, 29, v55
	v_and_b32_e32 v52, 7, v52
	v_cmp_gt_u32_e32 vcc, 8, v30
	v_cndmask_b32_e32 v30, v54, v53, vcc
	v_cndmask_b32_e32 v45, v45, v52, vcc
	v_lshlrev_b32_e32 v42, 24, v42
	v_bfrev_b32_e32 v52, 60
	v_lshlrev_b32_e32 v45, 20, v45
	v_and_b32_e32 v42, 0x80000000, v42
	v_lshl_add_u32 v30, v30, 23, v52
	v_or3_b32 v30, v42, v30, v45
	v_lshrrev_b32_e32 v45, 16, v30
.LBB895_33:
	s_or_b64 exec, exec, s[10:11]
.LBB895_34:
	s_or_b64 exec, exec, s[8:9]
.LBB895_35:
	s_or_b64 exec, exec, s[2:3]
	v_mov_b32_e32 v42, 0
	v_cmp_ne_u16_sdwa s[8:9], v31, v42 src0_sel:BYTE_0 src1_sel:DWORD
	v_mov_b32_e32 v52, 0
	s_and_saveexec_b64 s[2:3], s[8:9]
	s_cbranch_execz .LBB895_41
; %bb.36:
	s_movk_i32 s8, 0x80
	v_cmp_ne_u16_sdwa s[10:11], v31, s8 src0_sel:BYTE_0 src1_sel:DWORD
	v_mov_b32_e32 v52, 0xffff8000
	s_and_saveexec_b64 s[8:9], s[10:11]
	s_cbranch_execz .LBB895_40
; %bb.37:
	s_movk_i32 s10, 0x7f
	v_and_b32_e32 v30, 0x7f, v31
	v_cmp_ne_u32_e32 vcc, s10, v30
	v_mov_b32_e32 v52, 0x7f80
	s_and_saveexec_b64 s[10:11], vcc
	s_cbranch_execz .LBB895_39
; %bb.38:
	v_and_b32_e32 v54, 7, v31
	v_ffbh_u32_e32 v53, v54
	v_min_u32_e32 v56, 32, v53
	v_mov_b32_e32 v52, v31
	v_subrev_u32_e32 v53, 28, v56
	v_lshlrev_b64 v[52:53], v53, v[52:53]
	v_lshrrev_b32_e32 v55, 3, v30
	v_sub_u32_e32 v53, 29, v56
	v_and_b32_e32 v52, 7, v52
	v_cmp_gt_u32_e32 vcc, 8, v30
	v_cndmask_b32_e32 v30, v55, v53, vcc
	v_cndmask_b32_e32 v52, v54, v52, vcc
	v_lshlrev_b32_e32 v53, 24, v31
	v_bfrev_b32_e32 v54, 60
	v_lshlrev_b32_e32 v52, 20, v52
	v_and_b32_e32 v53, 0x80000000, v53
	v_lshl_add_u32 v30, v30, 23, v54
	v_or3_b32 v30, v53, v30, v52
	v_lshrrev_b32_e32 v52, 16, v30
.LBB895_39:
	s_or_b64 exec, exec, s[10:11]
.LBB895_40:
	s_or_b64 exec, exec, s[8:9]
.LBB895_41:
	s_or_b64 exec, exec, s[2:3]
	v_lshrrev_b16_e32 v30, 8, v31
	v_cmp_ne_u16_e32 vcc, 0, v30
	s_and_saveexec_b64 s[2:3], vcc
	s_cbranch_execz .LBB895_47
; %bb.42:
	s_movk_i32 s8, 0x80
	v_cmp_ne_u16_e32 vcc, s8, v30
	v_mov_b32_e32 v42, 0xffff8000
	s_and_saveexec_b64 s[8:9], vcc
	s_cbranch_execz .LBB895_46
; %bb.43:
	s_movk_i32 s10, 0x7f
	v_and_b32_e32 v53, 0x7f, v30
	v_cmp_ne_u32_e32 vcc, s10, v53
	v_mov_b32_e32 v42, 0x7f80
	s_and_saveexec_b64 s[10:11], vcc
	s_cbranch_execz .LBB895_45
; %bb.44:
	v_and_b32_e32 v42, 7, v30
	v_ffbh_u32_e32 v54, v42
	v_min_u32_e32 v57, 32, v54
	v_subrev_u32_e32 v54, 28, v57
	v_lshlrev_b64 v[54:55], v54, v[30:31]
	v_lshrrev_b32_e32 v56, 3, v53
	v_sub_u32_e32 v30, 29, v57
	v_and_b32_e32 v54, 7, v54
	v_cmp_gt_u32_e32 vcc, 8, v53
	v_cndmask_b32_e32 v30, v56, v30, vcc
	v_cndmask_b32_e32 v42, v42, v54, vcc
	v_lshlrev_b32_e32 v53, 16, v31
	v_bfrev_b32_e32 v54, 60
	v_lshlrev_b32_e32 v42, 20, v42
	v_and_b32_e32 v53, 0x80000000, v53
	v_lshl_add_u32 v30, v30, 23, v54
	v_or3_b32 v30, v53, v30, v42
	v_lshrrev_b32_e32 v42, 16, v30
.LBB895_45:
	s_or_b64 exec, exec, s[10:11]
.LBB895_46:
	s_or_b64 exec, exec, s[8:9]
.LBB895_47:
	s_or_b64 exec, exec, s[2:3]
	s_movk_i32 s2, 0xff
	v_and_b32_sdwa v55, v31, s2 dst_sel:DWORD dst_unused:UNUSED_PAD src0_sel:WORD_1 src1_sel:DWORD
	v_lshrrev_b32_e32 v30, 16, v31
	v_cmp_ne_u16_e32 vcc, 0, v55
	v_mov_b32_e32 v53, 0
	v_mov_b32_e32 v54, 0
	s_and_saveexec_b64 s[2:3], vcc
	s_cbranch_execz .LBB895_53
; %bb.48:
	s_movk_i32 s8, 0x80
	v_cmp_ne_u16_e32 vcc, s8, v55
	v_mov_b32_e32 v54, 0xffff8000
	s_and_saveexec_b64 s[8:9], vcc
	s_cbranch_execz .LBB895_52
; %bb.49:
	v_bfe_u32 v55, v31, 16, 7
	s_movk_i32 s10, 0x7f
	v_cmp_ne_u32_e32 vcc, s10, v55
	v_mov_b32_e32 v54, 0x7f80
	s_and_saveexec_b64 s[10:11], vcc
	s_cbranch_execz .LBB895_51
; %bb.50:
	v_and_b32_e32 v54, 7, v30
	v_ffbh_u32_e32 v56, v54
	v_min_u32_e32 v59, 32, v56
	v_subrev_u32_e32 v56, 28, v59
	v_lshlrev_b64 v[56:57], v56, v[30:31]
	v_lshrrev_b32_e32 v58, 3, v55
	v_sub_u32_e32 v30, 29, v59
	v_and_b32_e32 v56, 7, v56
	v_cmp_gt_u32_e32 vcc, 8, v55
	v_mov_b32_e32 v55, 24
	v_cndmask_b32_e32 v30, v58, v30, vcc
	v_cndmask_b32_e32 v54, v54, v56, vcc
	v_lshlrev_b32_sdwa v55, v55, v31 dst_sel:DWORD dst_unused:UNUSED_PAD src0_sel:DWORD src1_sel:WORD_1
	v_bfrev_b32_e32 v56, 60
	v_lshlrev_b32_e32 v54, 20, v54
	v_and_b32_e32 v55, 0x80000000, v55
	v_lshl_add_u32 v30, v30, 23, v56
	v_or3_b32 v30, v55, v30, v54
	v_lshrrev_b32_e32 v54, 16, v30
.LBB895_51:
	s_or_b64 exec, exec, s[10:11]
.LBB895_52:
	s_or_b64 exec, exec, s[8:9]
.LBB895_53:
	s_or_b64 exec, exec, s[2:3]
	s_mov_b32 s2, 0xffffff
	v_cmp_lt_u32_e32 vcc, s2, v31
	s_and_saveexec_b64 s[2:3], vcc
	s_cbranch_execz .LBB895_59
; %bb.54:
	v_lshrrev_b32_e32 v30, 24, v31
	s_movk_i32 s8, 0x80
	v_cmp_ne_u32_e32 vcc, s8, v30
	v_mov_b32_e32 v53, 0xffff8000
	s_and_saveexec_b64 s[8:9], vcc
	s_cbranch_execz .LBB895_58
; %bb.55:
	v_bfe_u32 v31, v31, 24, 7
	s_movk_i32 s10, 0x7f
	v_cmp_ne_u32_e32 vcc, s10, v31
	v_mov_b32_e32 v53, 0x7f80
	s_and_saveexec_b64 s[10:11], vcc
	s_cbranch_execz .LBB895_57
; %bb.56:
	v_and_b32_e32 v53, 7, v30
	v_ffbh_u32_e32 v56, v53
	v_min_u32_e32 v58, 32, v56
	v_subrev_u32_e32 v56, 28, v58
	v_lshlrev_b64 v[56:57], v56, v[30:31]
	v_lshrrev_b32_e32 v55, 3, v31
	v_sub_u32_e32 v57, 29, v58
	v_and_b32_e32 v56, 7, v56
	v_cmp_gt_u32_e32 vcc, 8, v31
	v_cndmask_b32_e32 v31, v55, v57, vcc
	v_cndmask_b32_e32 v53, v53, v56, vcc
	v_lshlrev_b32_e32 v30, 24, v30
	v_bfrev_b32_e32 v55, 60
	v_lshlrev_b32_e32 v53, 20, v53
	v_and_b32_e32 v30, 0x80000000, v30
	v_lshl_add_u32 v31, v31, 23, v55
	v_or3_b32 v30, v30, v31, v53
	v_lshrrev_b32_e32 v53, 16, v30
.LBB895_57:
	s_or_b64 exec, exec, s[10:11]
.LBB895_58:
	s_or_b64 exec, exec, s[8:9]
.LBB895_59:
	s_or_b64 exec, exec, s[2:3]
	s_mov_b32 s2, 0x5040100
	v_perm_b32 v31, v45, v51, s2
	v_perm_b32 v30, v44, v43, s2
	;; [unrolled: 1-line block ×4, first 2 shown]
	v_mov_b32_e32 v51, 0
	s_waitcnt lgkmcnt(0)
	v_mfma_f32_16x16x16bf16_1k v[56:59], v[30:31], v[26:27], 0
	v_mov_b32_e32 v31, 0
	v_cmp_ne_u16_sdwa s[8:9], v32, v31 src0_sel:BYTE_0 src1_sel:DWORD
	v_mfma_f32_16x16x16bf16_1k v[42:45], v[42:43], v[28:29], v[56:59]
	s_and_saveexec_b64 s[2:3], s[8:9]
	s_cbranch_execz .LBB895_65
; %bb.60:
	s_movk_i32 s8, 0x80
	v_cmp_ne_u16_sdwa s[10:11], v32, s8 src0_sel:BYTE_0 src1_sel:DWORD
	v_mov_b32_e32 v51, 0xffff8000
	s_and_saveexec_b64 s[8:9], s[10:11]
	s_cbranch_execz .LBB895_64
; %bb.61:
	s_movk_i32 s10, 0x7f
	v_and_b32_e32 v30, 0x7f, v32
	v_cmp_ne_u32_e32 vcc, s10, v30
	v_mov_b32_e32 v51, 0x7f80
	s_and_saveexec_b64 s[10:11], vcc
	s_cbranch_execz .LBB895_63
; %bb.62:
	v_and_b32_e32 v51, 7, v32
	v_ffbh_u32_e32 v52, v51
	v_min_u32_e32 v55, 32, v52
	v_subrev_u32_e32 v52, 28, v55
	v_lshlrev_b64 v[52:53], v52, v[32:33]
	v_lshrrev_b32_e32 v54, 3, v30
	v_sub_u32_e32 v53, 29, v55
	v_and_b32_e32 v52, 7, v52
	v_cmp_gt_u32_e32 vcc, 8, v30
	v_cndmask_b32_e32 v30, v54, v53, vcc
	v_cndmask_b32_e32 v51, v51, v52, vcc
	v_lshlrev_b32_e32 v52, 24, v32
	v_bfrev_b32_e32 v53, 60
	v_lshlrev_b32_e32 v51, 20, v51
	v_and_b32_e32 v52, 0x80000000, v52
	v_lshl_add_u32 v30, v30, 23, v53
	v_or3_b32 v30, v52, v30, v51
	v_lshrrev_b32_e32 v51, 16, v30
.LBB895_63:
	s_or_b64 exec, exec, s[10:11]
.LBB895_64:
	s_or_b64 exec, exec, s[8:9]
.LBB895_65:
	s_or_b64 exec, exec, s[2:3]
	v_lshrrev_b16_e32 v30, 8, v32
	v_cmp_ne_u16_e32 vcc, 0, v30
	s_and_saveexec_b64 s[2:3], vcc
	s_cbranch_execz .LBB895_71
; %bb.66:
	s_movk_i32 s8, 0x80
	v_cmp_ne_u16_e32 vcc, s8, v30
	v_mov_b32_e32 v31, 0xffff8000
	s_and_saveexec_b64 s[8:9], vcc
	s_cbranch_execz .LBB895_70
; %bb.67:
	s_movk_i32 s10, 0x7f
	v_and_b32_e32 v52, 0x7f, v30
	v_cmp_ne_u32_e32 vcc, s10, v52
	v_mov_b32_e32 v31, 0x7f80
	s_and_saveexec_b64 s[10:11], vcc
	s_cbranch_execz .LBB895_69
; %bb.68:
	v_and_b32_e32 v53, 7, v30
	v_ffbh_u32_e32 v31, v53
	v_min_u32_e32 v55, 32, v31
	v_subrev_u32_e32 v31, 28, v55
	v_lshlrev_b64 v[30:31], v31, v[30:31]
	v_lshrrev_b32_e32 v54, 3, v52
	v_sub_u32_e32 v31, 29, v55
	v_and_b32_e32 v30, 7, v30
	v_cmp_gt_u32_e32 vcc, 8, v52
	v_cndmask_b32_e32 v31, v54, v31, vcc
	v_cndmask_b32_e32 v30, v53, v30, vcc
	v_lshlrev_b32_e32 v52, 16, v32
	v_bfrev_b32_e32 v53, 60
	v_lshlrev_b32_e32 v30, 20, v30
	v_and_b32_e32 v52, 0x80000000, v52
	v_lshl_add_u32 v31, v31, 23, v53
	v_or3_b32 v30, v52, v31, v30
	v_lshrrev_b32_e32 v31, 16, v30
.LBB895_69:
	s_or_b64 exec, exec, s[10:11]
.LBB895_70:
	s_or_b64 exec, exec, s[8:9]
.LBB895_71:
	s_or_b64 exec, exec, s[2:3]
	s_movk_i32 s2, 0xff
	v_and_b32_sdwa v54, v32, s2 dst_sel:DWORD dst_unused:UNUSED_PAD src0_sel:WORD_1 src1_sel:DWORD
	v_lshrrev_b32_e32 v30, 16, v32
	v_cmp_ne_u16_e32 vcc, 0, v54
	v_mov_b32_e32 v52, 0
	v_mov_b32_e32 v53, 0
	s_and_saveexec_b64 s[2:3], vcc
	s_cbranch_execz .LBB895_77
; %bb.72:
	s_movk_i32 s8, 0x80
	v_cmp_ne_u16_e32 vcc, s8, v54
	v_mov_b32_e32 v53, 0xffff8000
	s_and_saveexec_b64 s[8:9], vcc
	s_cbranch_execz .LBB895_76
; %bb.73:
	v_bfe_u32 v54, v32, 16, 7
	s_movk_i32 s10, 0x7f
	v_cmp_ne_u32_e32 vcc, s10, v54
	v_mov_b32_e32 v53, 0x7f80
	s_and_saveexec_b64 s[10:11], vcc
	s_cbranch_execz .LBB895_75
; %bb.74:
	v_and_b32_e32 v53, 7, v30
	v_ffbh_u32_e32 v56, v53
	v_min_u32_e32 v58, 32, v56
	v_subrev_u32_e32 v56, 28, v58
	v_lshlrev_b64 v[56:57], v56, v[30:31]
	v_lshrrev_b32_e32 v55, 3, v54
	v_sub_u32_e32 v30, 29, v58
	v_and_b32_e32 v56, 7, v56
	v_cmp_gt_u32_e32 vcc, 8, v54
	v_mov_b32_e32 v54, 24
	v_cndmask_b32_e32 v30, v55, v30, vcc
	v_cndmask_b32_e32 v53, v53, v56, vcc
	v_lshlrev_b32_sdwa v54, v54, v32 dst_sel:DWORD dst_unused:UNUSED_PAD src0_sel:DWORD src1_sel:WORD_1
	v_bfrev_b32_e32 v55, 60
	v_lshlrev_b32_e32 v53, 20, v53
	v_and_b32_e32 v54, 0x80000000, v54
	v_lshl_add_u32 v30, v30, 23, v55
	v_or3_b32 v30, v54, v30, v53
	v_lshrrev_b32_e32 v53, 16, v30
.LBB895_75:
	s_or_b64 exec, exec, s[10:11]
.LBB895_76:
	s_or_b64 exec, exec, s[8:9]
.LBB895_77:
	s_or_b64 exec, exec, s[2:3]
	s_mov_b32 s2, 0xffffff
	v_cmp_lt_u32_e32 vcc, s2, v32
	s_and_saveexec_b64 s[2:3], vcc
	s_cbranch_execz .LBB895_83
; %bb.78:
	v_lshrrev_b32_e32 v30, 24, v32
	s_movk_i32 s8, 0x80
	v_cmp_ne_u32_e32 vcc, s8, v30
	v_mov_b32_e32 v52, 0xffff8000
	s_and_saveexec_b64 s[8:9], vcc
	s_cbranch_execz .LBB895_82
; %bb.79:
	v_bfe_u32 v32, v32, 24, 7
	s_movk_i32 s10, 0x7f
	v_cmp_ne_u32_e32 vcc, s10, v32
	v_mov_b32_e32 v52, 0x7f80
	s_and_saveexec_b64 s[10:11], vcc
	s_cbranch_execz .LBB895_81
; %bb.80:
	v_and_b32_e32 v52, 7, v30
	v_ffbh_u32_e32 v54, v52
	v_min_u32_e32 v57, 32, v54
	v_subrev_u32_e32 v54, 28, v57
	v_lshlrev_b64 v[54:55], v54, v[30:31]
	v_lshrrev_b32_e32 v56, 3, v32
	v_sub_u32_e32 v55, 29, v57
	v_and_b32_e32 v54, 7, v54
	v_cmp_gt_u32_e32 vcc, 8, v32
	v_cndmask_b32_e32 v32, v56, v55, vcc
	v_cndmask_b32_e32 v52, v52, v54, vcc
	v_lshlrev_b32_e32 v30, 24, v30
	v_bfrev_b32_e32 v54, 60
	v_lshlrev_b32_e32 v52, 20, v52
	v_and_b32_e32 v30, 0x80000000, v30
	v_lshl_add_u32 v32, v32, 23, v54
	v_or3_b32 v30, v30, v32, v52
	v_lshrrev_b32_e32 v52, 16, v30
.LBB895_81:
	s_or_b64 exec, exec, s[10:11]
.LBB895_82:
	s_or_b64 exec, exec, s[8:9]
.LBB895_83:
	s_or_b64 exec, exec, s[2:3]
	v_mov_b32_e32 v32, 0
	v_cmp_ne_u16_sdwa s[8:9], v33, v32 src0_sel:BYTE_0 src1_sel:DWORD
	v_mov_b32_e32 v54, 0
	s_and_saveexec_b64 s[2:3], s[8:9]
	s_cbranch_execz .LBB895_89
; %bb.84:
	s_movk_i32 s8, 0x80
	v_cmp_ne_u16_sdwa s[10:11], v33, s8 src0_sel:BYTE_0 src1_sel:DWORD
	v_mov_b32_e32 v54, 0xffff8000
	s_and_saveexec_b64 s[8:9], s[10:11]
	s_cbranch_execz .LBB895_88
; %bb.85:
	s_movk_i32 s10, 0x7f
	v_and_b32_e32 v30, 0x7f, v33
	v_cmp_ne_u32_e32 vcc, s10, v30
	v_mov_b32_e32 v54, 0x7f80
	s_and_saveexec_b64 s[10:11], vcc
	s_cbranch_execz .LBB895_87
; %bb.86:
	v_and_b32_e32 v56, 7, v33
	v_ffbh_u32_e32 v55, v56
	v_min_u32_e32 v58, 32, v55
	v_mov_b32_e32 v54, v33
	v_subrev_u32_e32 v55, 28, v58
	v_lshlrev_b64 v[54:55], v55, v[54:55]
	v_lshrrev_b32_e32 v57, 3, v30
	v_sub_u32_e32 v55, 29, v58
	v_and_b32_e32 v54, 7, v54
	v_cmp_gt_u32_e32 vcc, 8, v30
	v_cndmask_b32_e32 v30, v57, v55, vcc
	v_cndmask_b32_e32 v54, v56, v54, vcc
	v_lshlrev_b32_e32 v55, 24, v33
	v_bfrev_b32_e32 v56, 60
	v_lshlrev_b32_e32 v54, 20, v54
	v_and_b32_e32 v55, 0x80000000, v55
	v_lshl_add_u32 v30, v30, 23, v56
	v_or3_b32 v30, v55, v30, v54
	v_lshrrev_b32_e32 v54, 16, v30
.LBB895_87:
	s_or_b64 exec, exec, s[10:11]
.LBB895_88:
	s_or_b64 exec, exec, s[8:9]
.LBB895_89:
	s_or_b64 exec, exec, s[2:3]
	v_lshrrev_b16_e32 v30, 8, v33
	v_cmp_ne_u16_e32 vcc, 0, v30
	s_and_saveexec_b64 s[2:3], vcc
	s_cbranch_execz .LBB895_95
; %bb.90:
	s_movk_i32 s8, 0x80
	v_cmp_ne_u16_e32 vcc, s8, v30
	v_mov_b32_e32 v32, 0xffff8000
	s_and_saveexec_b64 s[8:9], vcc
	s_cbranch_execz .LBB895_94
; %bb.91:
	s_movk_i32 s10, 0x7f
	v_and_b32_e32 v55, 0x7f, v30
	v_cmp_ne_u32_e32 vcc, s10, v55
	v_mov_b32_e32 v32, 0x7f80
	s_and_saveexec_b64 s[10:11], vcc
	s_cbranch_execz .LBB895_93
; %bb.92:
	v_and_b32_e32 v32, 7, v30
	v_ffbh_u32_e32 v56, v32
	v_min_u32_e32 v59, 32, v56
	v_subrev_u32_e32 v56, 28, v59
	v_lshlrev_b64 v[56:57], v56, v[30:31]
	v_lshrrev_b32_e32 v58, 3, v55
	v_sub_u32_e32 v30, 29, v59
	v_and_b32_e32 v56, 7, v56
	v_cmp_gt_u32_e32 vcc, 8, v55
	v_cndmask_b32_e32 v30, v58, v30, vcc
	v_cndmask_b32_e32 v32, v32, v56, vcc
	v_lshlrev_b32_e32 v55, 16, v33
	v_bfrev_b32_e32 v56, 60
	v_lshlrev_b32_e32 v32, 20, v32
	v_and_b32_e32 v55, 0x80000000, v55
	v_lshl_add_u32 v30, v30, 23, v56
	v_or3_b32 v30, v55, v30, v32
	v_lshrrev_b32_e32 v32, 16, v30
.LBB895_93:
	s_or_b64 exec, exec, s[10:11]
.LBB895_94:
	s_or_b64 exec, exec, s[8:9]
.LBB895_95:
	s_or_b64 exec, exec, s[2:3]
	s_movk_i32 s2, 0xff
	v_and_b32_sdwa v57, v33, s2 dst_sel:DWORD dst_unused:UNUSED_PAD src0_sel:WORD_1 src1_sel:DWORD
	v_lshrrev_b32_e32 v30, 16, v33
	v_cmp_ne_u16_e32 vcc, 0, v57
	v_mov_b32_e32 v55, 0
	v_mov_b32_e32 v56, 0
	s_and_saveexec_b64 s[2:3], vcc
	s_cbranch_execz .LBB895_101
; %bb.96:
	s_movk_i32 s8, 0x80
	v_cmp_ne_u16_e32 vcc, s8, v57
	v_mov_b32_e32 v56, 0xffff8000
	s_and_saveexec_b64 s[8:9], vcc
	s_cbranch_execz .LBB895_100
; %bb.97:
	v_bfe_u32 v57, v33, 16, 7
	s_movk_i32 s10, 0x7f
	v_cmp_ne_u32_e32 vcc, s10, v57
	v_mov_b32_e32 v56, 0x7f80
	s_and_saveexec_b64 s[10:11], vcc
	s_cbranch_execz .LBB895_99
; %bb.98:
	v_and_b32_e32 v56, 7, v30
	v_ffbh_u32_e32 v58, v56
	v_min_u32_e32 v61, 32, v58
	v_subrev_u32_e32 v58, 28, v61
	v_lshlrev_b64 v[58:59], v58, v[30:31]
	v_lshrrev_b32_e32 v60, 3, v57
	v_sub_u32_e32 v30, 29, v61
	v_and_b32_e32 v58, 7, v58
	v_cmp_gt_u32_e32 vcc, 8, v57
	v_mov_b32_e32 v57, 24
	v_cndmask_b32_e32 v30, v60, v30, vcc
	v_cndmask_b32_e32 v56, v56, v58, vcc
	v_lshlrev_b32_sdwa v57, v57, v33 dst_sel:DWORD dst_unused:UNUSED_PAD src0_sel:DWORD src1_sel:WORD_1
	v_bfrev_b32_e32 v58, 60
	v_lshlrev_b32_e32 v56, 20, v56
	v_and_b32_e32 v57, 0x80000000, v57
	v_lshl_add_u32 v30, v30, 23, v58
	v_or3_b32 v30, v57, v30, v56
	v_lshrrev_b32_e32 v56, 16, v30
.LBB895_99:
	s_or_b64 exec, exec, s[10:11]
.LBB895_100:
	s_or_b64 exec, exec, s[8:9]
.LBB895_101:
	s_or_b64 exec, exec, s[2:3]
	s_mov_b32 s2, 0xffffff
	v_cmp_lt_u32_e32 vcc, s2, v33
	s_and_saveexec_b64 s[2:3], vcc
	s_cbranch_execz .LBB895_107
; %bb.102:
	v_lshrrev_b32_e32 v30, 24, v33
	s_movk_i32 s8, 0x80
	v_cmp_ne_u32_e32 vcc, s8, v30
	v_mov_b32_e32 v55, 0xffff8000
	s_and_saveexec_b64 s[8:9], vcc
	s_cbranch_execz .LBB895_106
; %bb.103:
	v_bfe_u32 v33, v33, 24, 7
	s_movk_i32 s10, 0x7f
	v_cmp_ne_u32_e32 vcc, s10, v33
	v_mov_b32_e32 v55, 0x7f80
	s_and_saveexec_b64 s[10:11], vcc
	s_cbranch_execz .LBB895_105
; %bb.104:
	v_and_b32_e32 v55, 7, v30
	v_ffbh_u32_e32 v58, v55
	v_min_u32_e32 v60, 32, v58
	v_subrev_u32_e32 v58, 28, v60
	v_lshlrev_b64 v[58:59], v58, v[30:31]
	v_lshrrev_b32_e32 v57, 3, v33
	v_sub_u32_e32 v59, 29, v60
	v_and_b32_e32 v58, 7, v58
	v_cmp_gt_u32_e32 vcc, 8, v33
	v_cndmask_b32_e32 v33, v57, v59, vcc
	v_cndmask_b32_e32 v55, v55, v58, vcc
	v_lshlrev_b32_e32 v30, 24, v30
	v_bfrev_b32_e32 v57, 60
	v_lshlrev_b32_e32 v55, 20, v55
	v_and_b32_e32 v30, 0x80000000, v30
	v_lshl_add_u32 v33, v33, 23, v57
	v_or3_b32 v30, v30, v33, v55
	v_lshrrev_b32_e32 v55, 16, v30
.LBB895_105:
	s_or_b64 exec, exec, s[10:11]
.LBB895_106:
	s_or_b64 exec, exec, s[8:9]
.LBB895_107:
	s_or_b64 exec, exec, s[2:3]
	s_mov_b32 s2, 0x5040100
	v_perm_b32 v53, v52, v53, s2
	v_perm_b32 v52, v31, v51, s2
	;; [unrolled: 1-line block ×4, first 2 shown]
	v_mfma_f32_16x16x16bf16_1k v[58:61], v[52:53], v[18:19], v[42:45]
	s_nop 6
	v_mov_b32_e32 v43, 0
	s_waitcnt vmcnt(6)
	v_cmp_ne_u16_sdwa s[8:9], v38, v43 src0_sel:BYTE_0 src1_sel:DWORD
	v_mfma_f32_16x16x16bf16_1k v[30:33], v[30:31], v[20:21], v[58:61]
	v_mov_b32_e32 v44, 0
	s_and_saveexec_b64 s[2:3], s[8:9]
	s_cbranch_execz .LBB895_113
; %bb.108:
	s_movk_i32 s8, 0x80
	v_cmp_ne_u16_sdwa s[10:11], v38, s8 src0_sel:BYTE_0 src1_sel:DWORD
	v_mov_b32_e32 v44, 0xffff8000
	s_and_saveexec_b64 s[8:9], s[10:11]
	s_cbranch_execz .LBB895_112
; %bb.109:
	s_movk_i32 s10, 0x7f
	v_and_b32_e32 v42, 0x7f, v38
	v_cmp_ne_u32_e32 vcc, s10, v42
	v_mov_b32_e32 v44, 0x7f80
	s_and_saveexec_b64 s[10:11], vcc
	s_cbranch_execz .LBB895_111
; %bb.110:
	v_and_b32_e32 v51, 7, v38
	v_ffbh_u32_e32 v44, v51
	v_min_u32_e32 v53, 32, v44
	v_subrev_u32_e32 v44, 28, v53
	v_lshlrev_b64 v[44:45], v44, v[38:39]
	v_lshrrev_b32_e32 v52, 3, v42
	v_sub_u32_e32 v45, 29, v53
	v_and_b32_e32 v44, 7, v44
	v_cmp_gt_u32_e32 vcc, 8, v42
	v_cndmask_b32_e32 v42, v52, v45, vcc
	v_cndmask_b32_e32 v44, v51, v44, vcc
	v_lshlrev_b32_e32 v45, 24, v38
	v_bfrev_b32_e32 v51, 60
	v_lshlrev_b32_e32 v44, 20, v44
	v_and_b32_e32 v45, 0x80000000, v45
	v_lshl_add_u32 v42, v42, 23, v51
	v_or3_b32 v42, v45, v42, v44
	v_lshrrev_b32_e32 v44, 16, v42
.LBB895_111:
	s_or_b64 exec, exec, s[10:11]
.LBB895_112:
	s_or_b64 exec, exec, s[8:9]
.LBB895_113:
	s_or_b64 exec, exec, s[2:3]
	v_lshrrev_b16_e32 v42, 8, v38
	v_cmp_ne_u16_e32 vcc, 0, v42
	s_and_saveexec_b64 s[2:3], vcc
	s_cbranch_execz .LBB895_119
; %bb.114:
	s_movk_i32 s8, 0x80
	v_cmp_ne_u16_e32 vcc, s8, v42
	v_mov_b32_e32 v43, 0xffff8000
	s_and_saveexec_b64 s[8:9], vcc
	s_cbranch_execz .LBB895_118
; %bb.115:
	s_movk_i32 s10, 0x7f
	v_and_b32_e32 v45, 0x7f, v42
	v_cmp_ne_u32_e32 vcc, s10, v45
	v_mov_b32_e32 v43, 0x7f80
	s_and_saveexec_b64 s[10:11], vcc
	s_cbranch_execz .LBB895_117
; %bb.116:
	v_and_b32_e32 v51, 7, v42
	v_ffbh_u32_e32 v43, v51
	v_min_u32_e32 v53, 32, v43
	v_subrev_u32_e32 v43, 28, v53
	v_lshlrev_b64 v[42:43], v43, v[42:43]
	v_lshrrev_b32_e32 v52, 3, v45
	v_sub_u32_e32 v43, 29, v53
	v_and_b32_e32 v42, 7, v42
	v_cmp_gt_u32_e32 vcc, 8, v45
	v_cndmask_b32_e32 v43, v52, v43, vcc
	v_cndmask_b32_e32 v42, v51, v42, vcc
	v_lshlrev_b32_e32 v45, 16, v38
	v_bfrev_b32_e32 v51, 60
	v_lshlrev_b32_e32 v42, 20, v42
	v_and_b32_e32 v45, 0x80000000, v45
	v_lshl_add_u32 v43, v43, 23, v51
	v_or3_b32 v42, v45, v43, v42
	v_lshrrev_b32_e32 v43, 16, v42
.LBB895_117:
	s_or_b64 exec, exec, s[10:11]
.LBB895_118:
	s_or_b64 exec, exec, s[8:9]
.LBB895_119:
	s_or_b64 exec, exec, s[2:3]
	s_movk_i32 s2, 0xff
	v_and_b32_sdwa v52, v38, s2 dst_sel:DWORD dst_unused:UNUSED_PAD src0_sel:WORD_1 src1_sel:DWORD
	v_lshrrev_b32_e32 v42, 16, v38
	v_cmp_ne_u16_e32 vcc, 0, v52
	v_mov_b32_e32 v45, 0
	v_mov_b32_e32 v51, 0
	s_and_saveexec_b64 s[2:3], vcc
	s_cbranch_execz .LBB895_125
; %bb.120:
	s_movk_i32 s8, 0x80
	v_cmp_ne_u16_e32 vcc, s8, v52
	v_mov_b32_e32 v51, 0xffff8000
	s_and_saveexec_b64 s[8:9], vcc
	s_cbranch_execz .LBB895_124
; %bb.121:
	v_bfe_u32 v52, v38, 16, 7
	s_movk_i32 s10, 0x7f
	v_cmp_ne_u32_e32 vcc, s10, v52
	v_mov_b32_e32 v51, 0x7f80
	s_and_saveexec_b64 s[10:11], vcc
	s_cbranch_execz .LBB895_123
; %bb.122:
	v_and_b32_e32 v51, 7, v42
	v_ffbh_u32_e32 v54, v51
	v_min_u32_e32 v56, 32, v54
	v_subrev_u32_e32 v54, 28, v56
	v_lshlrev_b64 v[54:55], v54, v[42:43]
	v_lshrrev_b32_e32 v53, 3, v52
	v_sub_u32_e32 v42, 29, v56
	v_and_b32_e32 v54, 7, v54
	v_cmp_gt_u32_e32 vcc, 8, v52
	v_mov_b32_e32 v52, 24
	v_cndmask_b32_e32 v42, v53, v42, vcc
	v_cndmask_b32_e32 v51, v51, v54, vcc
	v_lshlrev_b32_sdwa v52, v52, v38 dst_sel:DWORD dst_unused:UNUSED_PAD src0_sel:DWORD src1_sel:WORD_1
	v_bfrev_b32_e32 v53, 60
	v_lshlrev_b32_e32 v51, 20, v51
	v_and_b32_e32 v52, 0x80000000, v52
	v_lshl_add_u32 v42, v42, 23, v53
	v_or3_b32 v42, v52, v42, v51
	v_lshrrev_b32_e32 v51, 16, v42
.LBB895_123:
	s_or_b64 exec, exec, s[10:11]
.LBB895_124:
	s_or_b64 exec, exec, s[8:9]
.LBB895_125:
	s_or_b64 exec, exec, s[2:3]
	s_mov_b32 s2, 0xffffff
	v_cmp_lt_u32_e32 vcc, s2, v38
	s_and_saveexec_b64 s[2:3], vcc
	s_cbranch_execz .LBB895_131
; %bb.126:
	v_lshrrev_b32_e32 v42, 24, v38
	s_movk_i32 s8, 0x80
	v_cmp_ne_u32_e32 vcc, s8, v42
	v_mov_b32_e32 v45, 0xffff8000
	s_and_saveexec_b64 s[8:9], vcc
	s_cbranch_execz .LBB895_130
; %bb.127:
	v_bfe_u32 v38, v38, 24, 7
	s_movk_i32 s10, 0x7f
	v_cmp_ne_u32_e32 vcc, s10, v38
	v_mov_b32_e32 v45, 0x7f80
	s_and_saveexec_b64 s[10:11], vcc
	s_cbranch_execz .LBB895_129
; %bb.128:
	v_and_b32_e32 v45, 7, v42
	v_ffbh_u32_e32 v52, v45
	v_min_u32_e32 v55, 32, v52
	v_subrev_u32_e32 v52, 28, v55
	v_lshlrev_b64 v[52:53], v52, v[42:43]
	v_lshrrev_b32_e32 v54, 3, v38
	v_sub_u32_e32 v53, 29, v55
	v_and_b32_e32 v52, 7, v52
	v_cmp_gt_u32_e32 vcc, 8, v38
	v_cndmask_b32_e32 v38, v54, v53, vcc
	v_cndmask_b32_e32 v45, v45, v52, vcc
	v_lshlrev_b32_e32 v42, 24, v42
	v_bfrev_b32_e32 v52, 60
	v_lshlrev_b32_e32 v45, 20, v45
	v_and_b32_e32 v42, 0x80000000, v42
	v_lshl_add_u32 v38, v38, 23, v52
	v_or3_b32 v38, v42, v38, v45
	v_lshrrev_b32_e32 v45, 16, v38
.LBB895_129:
	s_or_b64 exec, exec, s[10:11]
.LBB895_130:
	s_or_b64 exec, exec, s[8:9]
.LBB895_131:
	s_or_b64 exec, exec, s[2:3]
	v_mov_b32_e32 v42, 0
	v_cmp_ne_u16_sdwa s[8:9], v39, v42 src0_sel:BYTE_0 src1_sel:DWORD
	v_mov_b32_e32 v52, 0
	s_and_saveexec_b64 s[2:3], s[8:9]
	s_cbranch_execz .LBB895_137
; %bb.132:
	s_movk_i32 s8, 0x80
	v_cmp_ne_u16_sdwa s[10:11], v39, s8 src0_sel:BYTE_0 src1_sel:DWORD
	v_mov_b32_e32 v52, 0xffff8000
	s_and_saveexec_b64 s[8:9], s[10:11]
	s_cbranch_execz .LBB895_136
; %bb.133:
	s_movk_i32 s10, 0x7f
	v_and_b32_e32 v38, 0x7f, v39
	v_cmp_ne_u32_e32 vcc, s10, v38
	v_mov_b32_e32 v52, 0x7f80
	s_and_saveexec_b64 s[10:11], vcc
	s_cbranch_execz .LBB895_135
; %bb.134:
	v_and_b32_e32 v54, 7, v39
	v_ffbh_u32_e32 v53, v54
	v_min_u32_e32 v56, 32, v53
	v_mov_b32_e32 v52, v39
	v_subrev_u32_e32 v53, 28, v56
	v_lshlrev_b64 v[52:53], v53, v[52:53]
	v_lshrrev_b32_e32 v55, 3, v38
	v_sub_u32_e32 v53, 29, v56
	v_and_b32_e32 v52, 7, v52
	v_cmp_gt_u32_e32 vcc, 8, v38
	v_cndmask_b32_e32 v38, v55, v53, vcc
	v_cndmask_b32_e32 v52, v54, v52, vcc
	v_lshlrev_b32_e32 v53, 24, v39
	v_bfrev_b32_e32 v54, 60
	v_lshlrev_b32_e32 v52, 20, v52
	v_and_b32_e32 v53, 0x80000000, v53
	v_lshl_add_u32 v38, v38, 23, v54
	v_or3_b32 v38, v53, v38, v52
	v_lshrrev_b32_e32 v52, 16, v38
.LBB895_135:
	s_or_b64 exec, exec, s[10:11]
.LBB895_136:
	s_or_b64 exec, exec, s[8:9]
.LBB895_137:
	s_or_b64 exec, exec, s[2:3]
	v_lshrrev_b16_e32 v38, 8, v39
	v_cmp_ne_u16_e32 vcc, 0, v38
	s_and_saveexec_b64 s[2:3], vcc
	s_cbranch_execz .LBB895_143
; %bb.138:
	s_movk_i32 s8, 0x80
	v_cmp_ne_u16_e32 vcc, s8, v38
	v_mov_b32_e32 v42, 0xffff8000
	s_and_saveexec_b64 s[8:9], vcc
	s_cbranch_execz .LBB895_142
; %bb.139:
	s_movk_i32 s10, 0x7f
	v_and_b32_e32 v53, 0x7f, v38
	v_cmp_ne_u32_e32 vcc, s10, v53
	v_mov_b32_e32 v42, 0x7f80
	s_and_saveexec_b64 s[10:11], vcc
	s_cbranch_execz .LBB895_141
; %bb.140:
	v_and_b32_e32 v42, 7, v38
	v_ffbh_u32_e32 v54, v42
	v_min_u32_e32 v57, 32, v54
	v_subrev_u32_e32 v54, 28, v57
	v_lshlrev_b64 v[54:55], v54, v[38:39]
	v_lshrrev_b32_e32 v56, 3, v53
	v_sub_u32_e32 v38, 29, v57
	v_and_b32_e32 v54, 7, v54
	v_cmp_gt_u32_e32 vcc, 8, v53
	v_cndmask_b32_e32 v38, v56, v38, vcc
	v_cndmask_b32_e32 v42, v42, v54, vcc
	v_lshlrev_b32_e32 v53, 16, v39
	v_bfrev_b32_e32 v54, 60
	v_lshlrev_b32_e32 v42, 20, v42
	v_and_b32_e32 v53, 0x80000000, v53
	v_lshl_add_u32 v38, v38, 23, v54
	v_or3_b32 v38, v53, v38, v42
	v_lshrrev_b32_e32 v42, 16, v38
.LBB895_141:
	s_or_b64 exec, exec, s[10:11]
.LBB895_142:
	s_or_b64 exec, exec, s[8:9]
.LBB895_143:
	s_or_b64 exec, exec, s[2:3]
	s_movk_i32 s2, 0xff
	v_and_b32_sdwa v55, v39, s2 dst_sel:DWORD dst_unused:UNUSED_PAD src0_sel:WORD_1 src1_sel:DWORD
	v_lshrrev_b32_e32 v38, 16, v39
	v_cmp_ne_u16_e32 vcc, 0, v55
	v_mov_b32_e32 v53, 0
	v_mov_b32_e32 v54, 0
	s_and_saveexec_b64 s[2:3], vcc
	s_cbranch_execz .LBB895_149
; %bb.144:
	s_movk_i32 s8, 0x80
	v_cmp_ne_u16_e32 vcc, s8, v55
	v_mov_b32_e32 v54, 0xffff8000
	s_and_saveexec_b64 s[8:9], vcc
	s_cbranch_execz .LBB895_148
; %bb.145:
	v_bfe_u32 v55, v39, 16, 7
	s_movk_i32 s10, 0x7f
	v_cmp_ne_u32_e32 vcc, s10, v55
	v_mov_b32_e32 v54, 0x7f80
	s_and_saveexec_b64 s[10:11], vcc
	s_cbranch_execz .LBB895_147
; %bb.146:
	v_and_b32_e32 v54, 7, v38
	v_ffbh_u32_e32 v56, v54
	v_min_u32_e32 v59, 32, v56
	v_subrev_u32_e32 v56, 28, v59
	v_lshlrev_b64 v[56:57], v56, v[38:39]
	v_lshrrev_b32_e32 v58, 3, v55
	v_sub_u32_e32 v38, 29, v59
	v_and_b32_e32 v56, 7, v56
	v_cmp_gt_u32_e32 vcc, 8, v55
	v_mov_b32_e32 v55, 24
	v_cndmask_b32_e32 v38, v58, v38, vcc
	v_cndmask_b32_e32 v54, v54, v56, vcc
	v_lshlrev_b32_sdwa v55, v55, v39 dst_sel:DWORD dst_unused:UNUSED_PAD src0_sel:DWORD src1_sel:WORD_1
	v_bfrev_b32_e32 v56, 60
	v_lshlrev_b32_e32 v54, 20, v54
	v_and_b32_e32 v55, 0x80000000, v55
	v_lshl_add_u32 v38, v38, 23, v56
	v_or3_b32 v38, v55, v38, v54
	v_lshrrev_b32_e32 v54, 16, v38
.LBB895_147:
	s_or_b64 exec, exec, s[10:11]
.LBB895_148:
	s_or_b64 exec, exec, s[8:9]
.LBB895_149:
	s_or_b64 exec, exec, s[2:3]
	s_mov_b32 s2, 0xffffff
	v_cmp_lt_u32_e32 vcc, s2, v39
	s_and_saveexec_b64 s[2:3], vcc
	s_cbranch_execz .LBB895_155
; %bb.150:
	v_lshrrev_b32_e32 v38, 24, v39
	s_movk_i32 s8, 0x80
	v_cmp_ne_u32_e32 vcc, s8, v38
	v_mov_b32_e32 v53, 0xffff8000
	s_and_saveexec_b64 s[8:9], vcc
	s_cbranch_execz .LBB895_154
; %bb.151:
	v_bfe_u32 v39, v39, 24, 7
	s_movk_i32 s10, 0x7f
	v_cmp_ne_u32_e32 vcc, s10, v39
	v_mov_b32_e32 v53, 0x7f80
	s_and_saveexec_b64 s[10:11], vcc
	s_cbranch_execz .LBB895_153
; %bb.152:
	v_and_b32_e32 v53, 7, v38
	v_ffbh_u32_e32 v56, v53
	v_min_u32_e32 v58, 32, v56
	v_subrev_u32_e32 v56, 28, v58
	v_lshlrev_b64 v[56:57], v56, v[38:39]
	v_lshrrev_b32_e32 v55, 3, v39
	v_sub_u32_e32 v57, 29, v58
	v_and_b32_e32 v56, 7, v56
	v_cmp_gt_u32_e32 vcc, 8, v39
	v_cndmask_b32_e32 v39, v55, v57, vcc
	v_cndmask_b32_e32 v53, v53, v56, vcc
	v_lshlrev_b32_e32 v38, 24, v38
	v_bfrev_b32_e32 v55, 60
	v_lshlrev_b32_e32 v53, 20, v53
	v_and_b32_e32 v38, 0x80000000, v38
	v_lshl_add_u32 v39, v39, 23, v55
	v_or3_b32 v38, v38, v39, v53
	v_lshrrev_b32_e32 v53, 16, v38
.LBB895_153:
	s_or_b64 exec, exec, s[10:11]
.LBB895_154:
	s_or_b64 exec, exec, s[8:9]
.LBB895_155:
	s_or_b64 exec, exec, s[2:3]
	s_mov_b32 s2, 0x5040100
	v_perm_b32 v39, v45, v51, s2
	v_perm_b32 v38, v43, v44, s2
	;; [unrolled: 1-line block ×4, first 2 shown]
	v_mov_b32_e32 v51, 0
	v_mfma_f32_16x16x16bf16_1k v[56:59], v[38:39], v[26:27], 0
	v_mov_b32_e32 v39, 0
	v_cmp_ne_u16_sdwa s[8:9], v40, v39 src0_sel:BYTE_0 src1_sel:DWORD
	v_mfma_f32_16x16x16bf16_1k v[42:45], v[42:43], v[28:29], v[56:59]
	s_and_saveexec_b64 s[2:3], s[8:9]
	s_cbranch_execz .LBB895_161
; %bb.156:
	s_movk_i32 s8, 0x80
	v_cmp_ne_u16_sdwa s[10:11], v40, s8 src0_sel:BYTE_0 src1_sel:DWORD
	v_mov_b32_e32 v51, 0xffff8000
	s_and_saveexec_b64 s[8:9], s[10:11]
	s_cbranch_execz .LBB895_160
; %bb.157:
	s_movk_i32 s10, 0x7f
	v_and_b32_e32 v38, 0x7f, v40
	v_cmp_ne_u32_e32 vcc, s10, v38
	v_mov_b32_e32 v51, 0x7f80
	s_and_saveexec_b64 s[10:11], vcc
	s_cbranch_execz .LBB895_159
; %bb.158:
	v_and_b32_e32 v51, 7, v40
	v_ffbh_u32_e32 v52, v51
	v_min_u32_e32 v55, 32, v52
	v_subrev_u32_e32 v52, 28, v55
	v_lshlrev_b64 v[52:53], v52, v[40:41]
	v_lshrrev_b32_e32 v54, 3, v38
	v_sub_u32_e32 v53, 29, v55
	v_and_b32_e32 v52, 7, v52
	v_cmp_gt_u32_e32 vcc, 8, v38
	v_cndmask_b32_e32 v38, v54, v53, vcc
	v_cndmask_b32_e32 v51, v51, v52, vcc
	v_lshlrev_b32_e32 v52, 24, v40
	v_bfrev_b32_e32 v53, 60
	v_lshlrev_b32_e32 v51, 20, v51
	v_and_b32_e32 v52, 0x80000000, v52
	v_lshl_add_u32 v38, v38, 23, v53
	v_or3_b32 v38, v52, v38, v51
	v_lshrrev_b32_e32 v51, 16, v38
.LBB895_159:
	s_or_b64 exec, exec, s[10:11]
.LBB895_160:
	s_or_b64 exec, exec, s[8:9]
.LBB895_161:
	s_or_b64 exec, exec, s[2:3]
	v_lshrrev_b16_e32 v38, 8, v40
	v_cmp_ne_u16_e32 vcc, 0, v38
	s_and_saveexec_b64 s[2:3], vcc
	s_cbranch_execz .LBB895_167
; %bb.162:
	s_movk_i32 s8, 0x80
	v_cmp_ne_u16_e32 vcc, s8, v38
	v_mov_b32_e32 v39, 0xffff8000
	s_and_saveexec_b64 s[8:9], vcc
	s_cbranch_execz .LBB895_166
; %bb.163:
	s_movk_i32 s10, 0x7f
	v_and_b32_e32 v52, 0x7f, v38
	v_cmp_ne_u32_e32 vcc, s10, v52
	v_mov_b32_e32 v39, 0x7f80
	s_and_saveexec_b64 s[10:11], vcc
	s_cbranch_execz .LBB895_165
; %bb.164:
	v_and_b32_e32 v53, 7, v38
	v_ffbh_u32_e32 v39, v53
	v_min_u32_e32 v55, 32, v39
	v_subrev_u32_e32 v39, 28, v55
	v_lshlrev_b64 v[38:39], v39, v[38:39]
	v_lshrrev_b32_e32 v54, 3, v52
	v_sub_u32_e32 v39, 29, v55
	v_and_b32_e32 v38, 7, v38
	v_cmp_gt_u32_e32 vcc, 8, v52
	v_cndmask_b32_e32 v39, v54, v39, vcc
	v_cndmask_b32_e32 v38, v53, v38, vcc
	v_lshlrev_b32_e32 v52, 16, v40
	v_bfrev_b32_e32 v53, 60
	v_lshlrev_b32_e32 v38, 20, v38
	v_and_b32_e32 v52, 0x80000000, v52
	v_lshl_add_u32 v39, v39, 23, v53
	v_or3_b32 v38, v52, v39, v38
	v_lshrrev_b32_e32 v39, 16, v38
.LBB895_165:
	s_or_b64 exec, exec, s[10:11]
.LBB895_166:
	s_or_b64 exec, exec, s[8:9]
.LBB895_167:
	s_or_b64 exec, exec, s[2:3]
	s_movk_i32 s2, 0xff
	v_and_b32_sdwa v54, v40, s2 dst_sel:DWORD dst_unused:UNUSED_PAD src0_sel:WORD_1 src1_sel:DWORD
	v_lshrrev_b32_e32 v38, 16, v40
	v_cmp_ne_u16_e32 vcc, 0, v54
	v_mov_b32_e32 v52, 0
	v_mov_b32_e32 v53, 0
	s_and_saveexec_b64 s[2:3], vcc
	s_cbranch_execz .LBB895_173
; %bb.168:
	s_movk_i32 s8, 0x80
	v_cmp_ne_u16_e32 vcc, s8, v54
	v_mov_b32_e32 v53, 0xffff8000
	s_and_saveexec_b64 s[8:9], vcc
	s_cbranch_execz .LBB895_172
; %bb.169:
	v_bfe_u32 v54, v40, 16, 7
	s_movk_i32 s10, 0x7f
	v_cmp_ne_u32_e32 vcc, s10, v54
	v_mov_b32_e32 v53, 0x7f80
	s_and_saveexec_b64 s[10:11], vcc
	s_cbranch_execz .LBB895_171
; %bb.170:
	v_and_b32_e32 v53, 7, v38
	v_ffbh_u32_e32 v56, v53
	v_min_u32_e32 v58, 32, v56
	v_subrev_u32_e32 v56, 28, v58
	v_lshlrev_b64 v[56:57], v56, v[38:39]
	v_lshrrev_b32_e32 v55, 3, v54
	v_sub_u32_e32 v38, 29, v58
	v_and_b32_e32 v56, 7, v56
	v_cmp_gt_u32_e32 vcc, 8, v54
	v_mov_b32_e32 v54, 24
	v_cndmask_b32_e32 v38, v55, v38, vcc
	v_cndmask_b32_e32 v53, v53, v56, vcc
	v_lshlrev_b32_sdwa v54, v54, v40 dst_sel:DWORD dst_unused:UNUSED_PAD src0_sel:DWORD src1_sel:WORD_1
	v_bfrev_b32_e32 v55, 60
	v_lshlrev_b32_e32 v53, 20, v53
	v_and_b32_e32 v54, 0x80000000, v54
	v_lshl_add_u32 v38, v38, 23, v55
	v_or3_b32 v38, v54, v38, v53
	v_lshrrev_b32_e32 v53, 16, v38
.LBB895_171:
	s_or_b64 exec, exec, s[10:11]
.LBB895_172:
	s_or_b64 exec, exec, s[8:9]
.LBB895_173:
	s_or_b64 exec, exec, s[2:3]
	s_mov_b32 s2, 0xffffff
	v_cmp_lt_u32_e32 vcc, s2, v40
	s_and_saveexec_b64 s[2:3], vcc
	s_cbranch_execz .LBB895_179
; %bb.174:
	v_lshrrev_b32_e32 v38, 24, v40
	s_movk_i32 s8, 0x80
	v_cmp_ne_u32_e32 vcc, s8, v38
	v_mov_b32_e32 v52, 0xffff8000
	s_and_saveexec_b64 s[8:9], vcc
	s_cbranch_execz .LBB895_178
; %bb.175:
	v_bfe_u32 v40, v40, 24, 7
	s_movk_i32 s10, 0x7f
	v_cmp_ne_u32_e32 vcc, s10, v40
	v_mov_b32_e32 v52, 0x7f80
	s_and_saveexec_b64 s[10:11], vcc
	s_cbranch_execz .LBB895_177
; %bb.176:
	v_and_b32_e32 v52, 7, v38
	v_ffbh_u32_e32 v54, v52
	v_min_u32_e32 v57, 32, v54
	v_subrev_u32_e32 v54, 28, v57
	v_lshlrev_b64 v[54:55], v54, v[38:39]
	v_lshrrev_b32_e32 v56, 3, v40
	v_sub_u32_e32 v55, 29, v57
	v_and_b32_e32 v54, 7, v54
	v_cmp_gt_u32_e32 vcc, 8, v40
	v_cndmask_b32_e32 v40, v56, v55, vcc
	v_cndmask_b32_e32 v52, v52, v54, vcc
	v_lshlrev_b32_e32 v38, 24, v38
	v_bfrev_b32_e32 v54, 60
	v_lshlrev_b32_e32 v52, 20, v52
	v_and_b32_e32 v38, 0x80000000, v38
	v_lshl_add_u32 v40, v40, 23, v54
	v_or3_b32 v38, v38, v40, v52
	v_lshrrev_b32_e32 v52, 16, v38
.LBB895_177:
	s_or_b64 exec, exec, s[10:11]
.LBB895_178:
	s_or_b64 exec, exec, s[8:9]
.LBB895_179:
	s_or_b64 exec, exec, s[2:3]
	v_mov_b32_e32 v40, 0
	v_cmp_ne_u16_sdwa s[8:9], v41, v40 src0_sel:BYTE_0 src1_sel:DWORD
	v_mov_b32_e32 v54, 0
	s_and_saveexec_b64 s[2:3], s[8:9]
	s_cbranch_execz .LBB895_185
; %bb.180:
	s_movk_i32 s8, 0x80
	v_cmp_ne_u16_sdwa s[10:11], v41, s8 src0_sel:BYTE_0 src1_sel:DWORD
	v_mov_b32_e32 v54, 0xffff8000
	s_and_saveexec_b64 s[8:9], s[10:11]
	s_cbranch_execz .LBB895_184
; %bb.181:
	s_movk_i32 s10, 0x7f
	v_and_b32_e32 v38, 0x7f, v41
	v_cmp_ne_u32_e32 vcc, s10, v38
	v_mov_b32_e32 v54, 0x7f80
	s_and_saveexec_b64 s[10:11], vcc
	s_cbranch_execz .LBB895_183
; %bb.182:
	v_and_b32_e32 v56, 7, v41
	v_ffbh_u32_e32 v55, v56
	v_min_u32_e32 v58, 32, v55
	v_mov_b32_e32 v54, v41
	v_subrev_u32_e32 v55, 28, v58
	v_lshlrev_b64 v[54:55], v55, v[54:55]
	v_lshrrev_b32_e32 v57, 3, v38
	v_sub_u32_e32 v55, 29, v58
	v_and_b32_e32 v54, 7, v54
	v_cmp_gt_u32_e32 vcc, 8, v38
	v_cndmask_b32_e32 v38, v57, v55, vcc
	v_cndmask_b32_e32 v54, v56, v54, vcc
	v_lshlrev_b32_e32 v55, 24, v41
	v_bfrev_b32_e32 v56, 60
	v_lshlrev_b32_e32 v54, 20, v54
	v_and_b32_e32 v55, 0x80000000, v55
	v_lshl_add_u32 v38, v38, 23, v56
	v_or3_b32 v38, v55, v38, v54
	v_lshrrev_b32_e32 v54, 16, v38
.LBB895_183:
	s_or_b64 exec, exec, s[10:11]
.LBB895_184:
	s_or_b64 exec, exec, s[8:9]
.LBB895_185:
	s_or_b64 exec, exec, s[2:3]
	v_lshrrev_b16_e32 v38, 8, v41
	v_cmp_ne_u16_e32 vcc, 0, v38
	s_and_saveexec_b64 s[2:3], vcc
	s_cbranch_execz .LBB895_191
; %bb.186:
	s_movk_i32 s8, 0x80
	v_cmp_ne_u16_e32 vcc, s8, v38
	v_mov_b32_e32 v40, 0xffff8000
	s_and_saveexec_b64 s[8:9], vcc
	s_cbranch_execz .LBB895_190
; %bb.187:
	s_movk_i32 s10, 0x7f
	v_and_b32_e32 v55, 0x7f, v38
	v_cmp_ne_u32_e32 vcc, s10, v55
	v_mov_b32_e32 v40, 0x7f80
	s_and_saveexec_b64 s[10:11], vcc
	s_cbranch_execz .LBB895_189
; %bb.188:
	v_and_b32_e32 v40, 7, v38
	v_ffbh_u32_e32 v56, v40
	v_min_u32_e32 v59, 32, v56
	v_subrev_u32_e32 v56, 28, v59
	v_lshlrev_b64 v[56:57], v56, v[38:39]
	v_lshrrev_b32_e32 v58, 3, v55
	v_sub_u32_e32 v38, 29, v59
	v_and_b32_e32 v56, 7, v56
	v_cmp_gt_u32_e32 vcc, 8, v55
	v_cndmask_b32_e32 v38, v58, v38, vcc
	v_cndmask_b32_e32 v40, v40, v56, vcc
	v_lshlrev_b32_e32 v55, 16, v41
	v_bfrev_b32_e32 v56, 60
	v_lshlrev_b32_e32 v40, 20, v40
	v_and_b32_e32 v55, 0x80000000, v55
	v_lshl_add_u32 v38, v38, 23, v56
	v_or3_b32 v38, v55, v38, v40
	v_lshrrev_b32_e32 v40, 16, v38
.LBB895_189:
	s_or_b64 exec, exec, s[10:11]
.LBB895_190:
	s_or_b64 exec, exec, s[8:9]
.LBB895_191:
	s_or_b64 exec, exec, s[2:3]
	s_movk_i32 s2, 0xff
	v_and_b32_sdwa v57, v41, s2 dst_sel:DWORD dst_unused:UNUSED_PAD src0_sel:WORD_1 src1_sel:DWORD
	v_lshrrev_b32_e32 v38, 16, v41
	v_cmp_ne_u16_e32 vcc, 0, v57
	v_mov_b32_e32 v55, 0
	v_mov_b32_e32 v56, 0
	s_and_saveexec_b64 s[2:3], vcc
	s_cbranch_execz .LBB895_197
; %bb.192:
	s_movk_i32 s8, 0x80
	v_cmp_ne_u16_e32 vcc, s8, v57
	v_mov_b32_e32 v56, 0xffff8000
	s_and_saveexec_b64 s[8:9], vcc
	s_cbranch_execz .LBB895_196
; %bb.193:
	v_bfe_u32 v57, v41, 16, 7
	s_movk_i32 s10, 0x7f
	v_cmp_ne_u32_e32 vcc, s10, v57
	v_mov_b32_e32 v56, 0x7f80
	s_and_saveexec_b64 s[10:11], vcc
	s_cbranch_execz .LBB895_195
; %bb.194:
	v_and_b32_e32 v56, 7, v38
	v_ffbh_u32_e32 v58, v56
	v_min_u32_e32 v61, 32, v58
	v_subrev_u32_e32 v58, 28, v61
	v_lshlrev_b64 v[58:59], v58, v[38:39]
	v_lshrrev_b32_e32 v60, 3, v57
	v_sub_u32_e32 v38, 29, v61
	v_and_b32_e32 v58, 7, v58
	v_cmp_gt_u32_e32 vcc, 8, v57
	v_mov_b32_e32 v57, 24
	v_cndmask_b32_e32 v38, v60, v38, vcc
	v_cndmask_b32_e32 v56, v56, v58, vcc
	v_lshlrev_b32_sdwa v57, v57, v41 dst_sel:DWORD dst_unused:UNUSED_PAD src0_sel:DWORD src1_sel:WORD_1
	v_bfrev_b32_e32 v58, 60
	v_lshlrev_b32_e32 v56, 20, v56
	v_and_b32_e32 v57, 0x80000000, v57
	v_lshl_add_u32 v38, v38, 23, v58
	v_or3_b32 v38, v57, v38, v56
	v_lshrrev_b32_e32 v56, 16, v38
.LBB895_195:
	s_or_b64 exec, exec, s[10:11]
.LBB895_196:
	s_or_b64 exec, exec, s[8:9]
.LBB895_197:
	s_or_b64 exec, exec, s[2:3]
	s_mov_b32 s2, 0xffffff
	v_cmp_lt_u32_e32 vcc, s2, v41
	s_and_saveexec_b64 s[2:3], vcc
	s_cbranch_execz .LBB895_203
; %bb.198:
	v_lshrrev_b32_e32 v38, 24, v41
	s_movk_i32 s8, 0x80
	v_cmp_ne_u32_e32 vcc, s8, v38
	v_mov_b32_e32 v55, 0xffff8000
	s_and_saveexec_b64 s[8:9], vcc
	s_cbranch_execz .LBB895_202
; %bb.199:
	v_bfe_u32 v41, v41, 24, 7
	s_movk_i32 s10, 0x7f
	v_cmp_ne_u32_e32 vcc, s10, v41
	v_mov_b32_e32 v55, 0x7f80
	s_and_saveexec_b64 s[10:11], vcc
	s_cbranch_execz .LBB895_201
; %bb.200:
	v_and_b32_e32 v55, 7, v38
	v_ffbh_u32_e32 v58, v55
	v_min_u32_e32 v60, 32, v58
	v_subrev_u32_e32 v58, 28, v60
	v_lshlrev_b64 v[58:59], v58, v[38:39]
	v_lshrrev_b32_e32 v57, 3, v41
	v_sub_u32_e32 v59, 29, v60
	v_and_b32_e32 v58, 7, v58
	v_cmp_gt_u32_e32 vcc, 8, v41
	v_cndmask_b32_e32 v41, v57, v59, vcc
	v_cndmask_b32_e32 v55, v55, v58, vcc
	v_lshlrev_b32_e32 v38, 24, v38
	v_bfrev_b32_e32 v57, 60
	v_lshlrev_b32_e32 v55, 20, v55
	v_and_b32_e32 v38, 0x80000000, v38
	v_lshl_add_u32 v41, v41, 23, v57
	v_or3_b32 v38, v38, v41, v55
	v_lshrrev_b32_e32 v55, 16, v38
.LBB895_201:
	s_or_b64 exec, exec, s[10:11]
.LBB895_202:
	s_or_b64 exec, exec, s[8:9]
.LBB895_203:
	s_or_b64 exec, exec, s[2:3]
	s_mov_b32 s2, 0x5040100
	v_perm_b32 v53, v52, v53, s2
	v_perm_b32 v52, v39, v51, s2
	;; [unrolled: 1-line block ×4, first 2 shown]
	v_mfma_f32_16x16x16bf16_1k v[58:61], v[52:53], v[18:19], v[42:45]
	s_nop 6
	v_mov_b32_e32 v43, 0
	s_waitcnt vmcnt(5)
	v_cmp_ne_u16_sdwa s[8:9], v34, v43 src0_sel:BYTE_0 src1_sel:DWORD
	v_mfma_f32_16x16x16bf16_1k v[38:41], v[38:39], v[20:21], v[58:61]
	v_mov_b32_e32 v44, 0
	s_and_saveexec_b64 s[2:3], s[8:9]
	s_cbranch_execz .LBB895_209
; %bb.204:
	s_movk_i32 s8, 0x80
	v_cmp_ne_u16_sdwa s[10:11], v34, s8 src0_sel:BYTE_0 src1_sel:DWORD
	v_mov_b32_e32 v44, 0xffff8000
	s_and_saveexec_b64 s[8:9], s[10:11]
	s_cbranch_execz .LBB895_208
; %bb.205:
	s_movk_i32 s10, 0x7f
	v_and_b32_e32 v42, 0x7f, v34
	v_cmp_ne_u32_e32 vcc, s10, v42
	v_mov_b32_e32 v44, 0x7f80
	s_and_saveexec_b64 s[10:11], vcc
	s_cbranch_execz .LBB895_207
; %bb.206:
	v_and_b32_e32 v51, 7, v34
	v_ffbh_u32_e32 v44, v51
	v_min_u32_e32 v53, 32, v44
	v_subrev_u32_e32 v44, 28, v53
	v_lshlrev_b64 v[44:45], v44, v[34:35]
	v_lshrrev_b32_e32 v52, 3, v42
	v_sub_u32_e32 v45, 29, v53
	v_and_b32_e32 v44, 7, v44
	v_cmp_gt_u32_e32 vcc, 8, v42
	v_cndmask_b32_e32 v42, v52, v45, vcc
	v_cndmask_b32_e32 v44, v51, v44, vcc
	v_lshlrev_b32_e32 v45, 24, v34
	v_bfrev_b32_e32 v51, 60
	v_lshlrev_b32_e32 v44, 20, v44
	v_and_b32_e32 v45, 0x80000000, v45
	v_lshl_add_u32 v42, v42, 23, v51
	v_or3_b32 v42, v45, v42, v44
	v_lshrrev_b32_e32 v44, 16, v42
.LBB895_207:
	s_or_b64 exec, exec, s[10:11]
.LBB895_208:
	s_or_b64 exec, exec, s[8:9]
.LBB895_209:
	s_or_b64 exec, exec, s[2:3]
	v_lshrrev_b16_e32 v42, 8, v34
	v_cmp_ne_u16_e32 vcc, 0, v42
	s_and_saveexec_b64 s[2:3], vcc
	s_cbranch_execz .LBB895_215
; %bb.210:
	s_movk_i32 s8, 0x80
	v_cmp_ne_u16_e32 vcc, s8, v42
	v_mov_b32_e32 v43, 0xffff8000
	s_and_saveexec_b64 s[8:9], vcc
	s_cbranch_execz .LBB895_214
; %bb.211:
	s_movk_i32 s10, 0x7f
	v_and_b32_e32 v45, 0x7f, v42
	v_cmp_ne_u32_e32 vcc, s10, v45
	v_mov_b32_e32 v43, 0x7f80
	s_and_saveexec_b64 s[10:11], vcc
	s_cbranch_execz .LBB895_213
; %bb.212:
	v_and_b32_e32 v51, 7, v42
	v_ffbh_u32_e32 v43, v51
	v_min_u32_e32 v53, 32, v43
	v_subrev_u32_e32 v43, 28, v53
	v_lshlrev_b64 v[42:43], v43, v[42:43]
	v_lshrrev_b32_e32 v52, 3, v45
	v_sub_u32_e32 v43, 29, v53
	v_and_b32_e32 v42, 7, v42
	v_cmp_gt_u32_e32 vcc, 8, v45
	v_cndmask_b32_e32 v43, v52, v43, vcc
	v_cndmask_b32_e32 v42, v51, v42, vcc
	v_lshlrev_b32_e32 v45, 16, v34
	v_bfrev_b32_e32 v51, 60
	v_lshlrev_b32_e32 v42, 20, v42
	v_and_b32_e32 v45, 0x80000000, v45
	v_lshl_add_u32 v43, v43, 23, v51
	v_or3_b32 v42, v45, v43, v42
	v_lshrrev_b32_e32 v43, 16, v42
.LBB895_213:
	s_or_b64 exec, exec, s[10:11]
.LBB895_214:
	s_or_b64 exec, exec, s[8:9]
.LBB895_215:
	s_or_b64 exec, exec, s[2:3]
	s_movk_i32 s2, 0xff
	v_and_b32_sdwa v52, v34, s2 dst_sel:DWORD dst_unused:UNUSED_PAD src0_sel:WORD_1 src1_sel:DWORD
	v_lshrrev_b32_e32 v42, 16, v34
	v_cmp_ne_u16_e32 vcc, 0, v52
	v_mov_b32_e32 v45, 0
	v_mov_b32_e32 v51, 0
	s_and_saveexec_b64 s[2:3], vcc
	s_cbranch_execz .LBB895_221
; %bb.216:
	s_movk_i32 s8, 0x80
	v_cmp_ne_u16_e32 vcc, s8, v52
	v_mov_b32_e32 v51, 0xffff8000
	s_and_saveexec_b64 s[8:9], vcc
	s_cbranch_execz .LBB895_220
; %bb.217:
	v_bfe_u32 v52, v34, 16, 7
	s_movk_i32 s10, 0x7f
	v_cmp_ne_u32_e32 vcc, s10, v52
	v_mov_b32_e32 v51, 0x7f80
	s_and_saveexec_b64 s[10:11], vcc
	s_cbranch_execz .LBB895_219
; %bb.218:
	v_and_b32_e32 v51, 7, v42
	v_ffbh_u32_e32 v54, v51
	v_min_u32_e32 v56, 32, v54
	v_subrev_u32_e32 v54, 28, v56
	v_lshlrev_b64 v[54:55], v54, v[42:43]
	v_lshrrev_b32_e32 v53, 3, v52
	v_sub_u32_e32 v42, 29, v56
	v_and_b32_e32 v54, 7, v54
	v_cmp_gt_u32_e32 vcc, 8, v52
	v_mov_b32_e32 v52, 24
	v_cndmask_b32_e32 v42, v53, v42, vcc
	v_cndmask_b32_e32 v51, v51, v54, vcc
	v_lshlrev_b32_sdwa v52, v52, v34 dst_sel:DWORD dst_unused:UNUSED_PAD src0_sel:DWORD src1_sel:WORD_1
	v_bfrev_b32_e32 v53, 60
	v_lshlrev_b32_e32 v51, 20, v51
	v_and_b32_e32 v52, 0x80000000, v52
	v_lshl_add_u32 v42, v42, 23, v53
	v_or3_b32 v42, v52, v42, v51
	v_lshrrev_b32_e32 v51, 16, v42
.LBB895_219:
	s_or_b64 exec, exec, s[10:11]
.LBB895_220:
	s_or_b64 exec, exec, s[8:9]
.LBB895_221:
	s_or_b64 exec, exec, s[2:3]
	s_mov_b32 s2, 0xffffff
	v_cmp_lt_u32_e32 vcc, s2, v34
	s_and_saveexec_b64 s[2:3], vcc
	s_cbranch_execz .LBB895_227
; %bb.222:
	v_lshrrev_b32_e32 v42, 24, v34
	s_movk_i32 s8, 0x80
	v_cmp_ne_u32_e32 vcc, s8, v42
	v_mov_b32_e32 v45, 0xffff8000
	s_and_saveexec_b64 s[8:9], vcc
	s_cbranch_execz .LBB895_226
; %bb.223:
	v_bfe_u32 v34, v34, 24, 7
	s_movk_i32 s10, 0x7f
	v_cmp_ne_u32_e32 vcc, s10, v34
	v_mov_b32_e32 v45, 0x7f80
	s_and_saveexec_b64 s[10:11], vcc
	s_cbranch_execz .LBB895_225
; %bb.224:
	v_and_b32_e32 v45, 7, v42
	v_ffbh_u32_e32 v52, v45
	v_min_u32_e32 v55, 32, v52
	v_subrev_u32_e32 v52, 28, v55
	v_lshlrev_b64 v[52:53], v52, v[42:43]
	v_lshrrev_b32_e32 v54, 3, v34
	v_sub_u32_e32 v53, 29, v55
	v_and_b32_e32 v52, 7, v52
	v_cmp_gt_u32_e32 vcc, 8, v34
	v_cndmask_b32_e32 v34, v54, v53, vcc
	v_cndmask_b32_e32 v45, v45, v52, vcc
	v_lshlrev_b32_e32 v42, 24, v42
	v_bfrev_b32_e32 v52, 60
	v_lshlrev_b32_e32 v45, 20, v45
	v_and_b32_e32 v42, 0x80000000, v42
	v_lshl_add_u32 v34, v34, 23, v52
	v_or3_b32 v34, v42, v34, v45
	v_lshrrev_b32_e32 v45, 16, v34
.LBB895_225:
	s_or_b64 exec, exec, s[10:11]
.LBB895_226:
	s_or_b64 exec, exec, s[8:9]
.LBB895_227:
	s_or_b64 exec, exec, s[2:3]
	v_mov_b32_e32 v42, 0
	v_cmp_ne_u16_sdwa s[8:9], v35, v42 src0_sel:BYTE_0 src1_sel:DWORD
	v_mov_b32_e32 v52, 0
	s_and_saveexec_b64 s[2:3], s[8:9]
	s_cbranch_execz .LBB895_233
; %bb.228:
	s_movk_i32 s8, 0x80
	v_cmp_ne_u16_sdwa s[10:11], v35, s8 src0_sel:BYTE_0 src1_sel:DWORD
	v_mov_b32_e32 v52, 0xffff8000
	s_and_saveexec_b64 s[8:9], s[10:11]
	s_cbranch_execz .LBB895_232
; %bb.229:
	s_movk_i32 s10, 0x7f
	v_and_b32_e32 v34, 0x7f, v35
	v_cmp_ne_u32_e32 vcc, s10, v34
	v_mov_b32_e32 v52, 0x7f80
	s_and_saveexec_b64 s[10:11], vcc
	s_cbranch_execz .LBB895_231
; %bb.230:
	v_and_b32_e32 v54, 7, v35
	v_ffbh_u32_e32 v53, v54
	v_min_u32_e32 v56, 32, v53
	v_mov_b32_e32 v52, v35
	v_subrev_u32_e32 v53, 28, v56
	v_lshlrev_b64 v[52:53], v53, v[52:53]
	v_lshrrev_b32_e32 v55, 3, v34
	v_sub_u32_e32 v53, 29, v56
	v_and_b32_e32 v52, 7, v52
	v_cmp_gt_u32_e32 vcc, 8, v34
	v_cndmask_b32_e32 v34, v55, v53, vcc
	v_cndmask_b32_e32 v52, v54, v52, vcc
	v_lshlrev_b32_e32 v53, 24, v35
	v_bfrev_b32_e32 v54, 60
	v_lshlrev_b32_e32 v52, 20, v52
	v_and_b32_e32 v53, 0x80000000, v53
	v_lshl_add_u32 v34, v34, 23, v54
	v_or3_b32 v34, v53, v34, v52
	v_lshrrev_b32_e32 v52, 16, v34
.LBB895_231:
	s_or_b64 exec, exec, s[10:11]
.LBB895_232:
	s_or_b64 exec, exec, s[8:9]
.LBB895_233:
	s_or_b64 exec, exec, s[2:3]
	v_lshrrev_b16_e32 v34, 8, v35
	v_cmp_ne_u16_e32 vcc, 0, v34
	s_and_saveexec_b64 s[2:3], vcc
	s_cbranch_execz .LBB895_239
; %bb.234:
	s_movk_i32 s8, 0x80
	v_cmp_ne_u16_e32 vcc, s8, v34
	v_mov_b32_e32 v42, 0xffff8000
	s_and_saveexec_b64 s[8:9], vcc
	s_cbranch_execz .LBB895_238
; %bb.235:
	s_movk_i32 s10, 0x7f
	v_and_b32_e32 v53, 0x7f, v34
	v_cmp_ne_u32_e32 vcc, s10, v53
	v_mov_b32_e32 v42, 0x7f80
	s_and_saveexec_b64 s[10:11], vcc
	s_cbranch_execz .LBB895_237
; %bb.236:
	v_and_b32_e32 v42, 7, v34
	v_ffbh_u32_e32 v54, v42
	v_min_u32_e32 v57, 32, v54
	v_subrev_u32_e32 v54, 28, v57
	v_lshlrev_b64 v[54:55], v54, v[34:35]
	v_lshrrev_b32_e32 v56, 3, v53
	v_sub_u32_e32 v34, 29, v57
	v_and_b32_e32 v54, 7, v54
	v_cmp_gt_u32_e32 vcc, 8, v53
	v_cndmask_b32_e32 v34, v56, v34, vcc
	v_cndmask_b32_e32 v42, v42, v54, vcc
	v_lshlrev_b32_e32 v53, 16, v35
	v_bfrev_b32_e32 v54, 60
	v_lshlrev_b32_e32 v42, 20, v42
	v_and_b32_e32 v53, 0x80000000, v53
	v_lshl_add_u32 v34, v34, 23, v54
	v_or3_b32 v34, v53, v34, v42
	v_lshrrev_b32_e32 v42, 16, v34
.LBB895_237:
	s_or_b64 exec, exec, s[10:11]
.LBB895_238:
	s_or_b64 exec, exec, s[8:9]
.LBB895_239:
	s_or_b64 exec, exec, s[2:3]
	s_movk_i32 s2, 0xff
	v_and_b32_sdwa v55, v35, s2 dst_sel:DWORD dst_unused:UNUSED_PAD src0_sel:WORD_1 src1_sel:DWORD
	v_lshrrev_b32_e32 v34, 16, v35
	v_cmp_ne_u16_e32 vcc, 0, v55
	v_mov_b32_e32 v53, 0
	v_mov_b32_e32 v54, 0
	s_and_saveexec_b64 s[2:3], vcc
	s_cbranch_execz .LBB895_245
; %bb.240:
	s_movk_i32 s8, 0x80
	v_cmp_ne_u16_e32 vcc, s8, v55
	v_mov_b32_e32 v54, 0xffff8000
	s_and_saveexec_b64 s[8:9], vcc
	s_cbranch_execz .LBB895_244
; %bb.241:
	v_bfe_u32 v55, v35, 16, 7
	s_movk_i32 s10, 0x7f
	v_cmp_ne_u32_e32 vcc, s10, v55
	v_mov_b32_e32 v54, 0x7f80
	s_and_saveexec_b64 s[10:11], vcc
	s_cbranch_execz .LBB895_243
; %bb.242:
	v_and_b32_e32 v54, 7, v34
	v_ffbh_u32_e32 v56, v54
	v_min_u32_e32 v59, 32, v56
	v_subrev_u32_e32 v56, 28, v59
	v_lshlrev_b64 v[56:57], v56, v[34:35]
	v_lshrrev_b32_e32 v58, 3, v55
	v_sub_u32_e32 v34, 29, v59
	v_and_b32_e32 v56, 7, v56
	v_cmp_gt_u32_e32 vcc, 8, v55
	v_mov_b32_e32 v55, 24
	v_cndmask_b32_e32 v34, v58, v34, vcc
	v_cndmask_b32_e32 v54, v54, v56, vcc
	v_lshlrev_b32_sdwa v55, v55, v35 dst_sel:DWORD dst_unused:UNUSED_PAD src0_sel:DWORD src1_sel:WORD_1
	v_bfrev_b32_e32 v56, 60
	v_lshlrev_b32_e32 v54, 20, v54
	v_and_b32_e32 v55, 0x80000000, v55
	v_lshl_add_u32 v34, v34, 23, v56
	v_or3_b32 v34, v55, v34, v54
	v_lshrrev_b32_e32 v54, 16, v34
.LBB895_243:
	s_or_b64 exec, exec, s[10:11]
.LBB895_244:
	s_or_b64 exec, exec, s[8:9]
.LBB895_245:
	s_or_b64 exec, exec, s[2:3]
	s_mov_b32 s2, 0xffffff
	v_cmp_lt_u32_e32 vcc, s2, v35
	s_and_saveexec_b64 s[2:3], vcc
	s_cbranch_execz .LBB895_251
; %bb.246:
	v_lshrrev_b32_e32 v34, 24, v35
	s_movk_i32 s8, 0x80
	v_cmp_ne_u32_e32 vcc, s8, v34
	v_mov_b32_e32 v53, 0xffff8000
	s_and_saveexec_b64 s[8:9], vcc
	s_cbranch_execz .LBB895_250
; %bb.247:
	v_bfe_u32 v35, v35, 24, 7
	s_movk_i32 s10, 0x7f
	v_cmp_ne_u32_e32 vcc, s10, v35
	v_mov_b32_e32 v53, 0x7f80
	s_and_saveexec_b64 s[10:11], vcc
	s_cbranch_execz .LBB895_249
; %bb.248:
	v_and_b32_e32 v53, 7, v34
	v_ffbh_u32_e32 v56, v53
	v_min_u32_e32 v58, 32, v56
	v_subrev_u32_e32 v56, 28, v58
	v_lshlrev_b64 v[56:57], v56, v[34:35]
	v_lshrrev_b32_e32 v55, 3, v35
	v_sub_u32_e32 v57, 29, v58
	v_and_b32_e32 v56, 7, v56
	v_cmp_gt_u32_e32 vcc, 8, v35
	v_cndmask_b32_e32 v35, v55, v57, vcc
	v_cndmask_b32_e32 v53, v53, v56, vcc
	v_lshlrev_b32_e32 v34, 24, v34
	v_bfrev_b32_e32 v55, 60
	v_lshlrev_b32_e32 v53, 20, v53
	v_and_b32_e32 v34, 0x80000000, v34
	v_lshl_add_u32 v35, v35, 23, v55
	v_or3_b32 v34, v34, v35, v53
	v_lshrrev_b32_e32 v53, 16, v34
.LBB895_249:
	s_or_b64 exec, exec, s[10:11]
.LBB895_250:
	s_or_b64 exec, exec, s[8:9]
.LBB895_251:
	s_or_b64 exec, exec, s[2:3]
	s_mov_b32 s2, 0x5040100
	v_perm_b32 v35, v45, v51, s2
	v_perm_b32 v34, v43, v44, s2
	v_perm_b32 v43, v53, v54, s2
	v_perm_b32 v42, v42, v52, s2
	v_mov_b32_e32 v51, 0
	v_mfma_f32_16x16x16bf16_1k v[56:59], v[34:35], v[26:27], 0
	v_mov_b32_e32 v35, 0
	v_cmp_ne_u16_sdwa s[8:9], v36, v35 src0_sel:BYTE_0 src1_sel:DWORD
	v_mfma_f32_16x16x16bf16_1k v[42:45], v[42:43], v[28:29], v[56:59]
	s_and_saveexec_b64 s[2:3], s[8:9]
	s_cbranch_execz .LBB895_257
; %bb.252:
	s_movk_i32 s8, 0x80
	v_cmp_ne_u16_sdwa s[10:11], v36, s8 src0_sel:BYTE_0 src1_sel:DWORD
	v_mov_b32_e32 v51, 0xffff8000
	s_and_saveexec_b64 s[8:9], s[10:11]
	s_cbranch_execz .LBB895_256
; %bb.253:
	s_movk_i32 s10, 0x7f
	v_and_b32_e32 v34, 0x7f, v36
	v_cmp_ne_u32_e32 vcc, s10, v34
	v_mov_b32_e32 v51, 0x7f80
	s_and_saveexec_b64 s[10:11], vcc
	s_cbranch_execz .LBB895_255
; %bb.254:
	v_and_b32_e32 v51, 7, v36
	v_ffbh_u32_e32 v52, v51
	v_min_u32_e32 v55, 32, v52
	v_subrev_u32_e32 v52, 28, v55
	v_lshlrev_b64 v[52:53], v52, v[36:37]
	v_lshrrev_b32_e32 v54, 3, v34
	v_sub_u32_e32 v53, 29, v55
	v_and_b32_e32 v52, 7, v52
	v_cmp_gt_u32_e32 vcc, 8, v34
	v_cndmask_b32_e32 v34, v54, v53, vcc
	v_cndmask_b32_e32 v51, v51, v52, vcc
	v_lshlrev_b32_e32 v52, 24, v36
	v_bfrev_b32_e32 v53, 60
	v_lshlrev_b32_e32 v51, 20, v51
	v_and_b32_e32 v52, 0x80000000, v52
	v_lshl_add_u32 v34, v34, 23, v53
	v_or3_b32 v34, v52, v34, v51
	v_lshrrev_b32_e32 v51, 16, v34
.LBB895_255:
	s_or_b64 exec, exec, s[10:11]
.LBB895_256:
	s_or_b64 exec, exec, s[8:9]
.LBB895_257:
	s_or_b64 exec, exec, s[2:3]
	v_lshrrev_b16_e32 v34, 8, v36
	v_cmp_ne_u16_e32 vcc, 0, v34
	s_and_saveexec_b64 s[2:3], vcc
	s_cbranch_execz .LBB895_263
; %bb.258:
	s_movk_i32 s8, 0x80
	v_cmp_ne_u16_e32 vcc, s8, v34
	v_mov_b32_e32 v35, 0xffff8000
	s_and_saveexec_b64 s[8:9], vcc
	s_cbranch_execz .LBB895_262
; %bb.259:
	s_movk_i32 s10, 0x7f
	v_and_b32_e32 v52, 0x7f, v34
	v_cmp_ne_u32_e32 vcc, s10, v52
	v_mov_b32_e32 v35, 0x7f80
	s_and_saveexec_b64 s[10:11], vcc
	s_cbranch_execz .LBB895_261
; %bb.260:
	v_and_b32_e32 v53, 7, v34
	v_ffbh_u32_e32 v35, v53
	v_min_u32_e32 v55, 32, v35
	v_subrev_u32_e32 v35, 28, v55
	v_lshlrev_b64 v[34:35], v35, v[34:35]
	v_lshrrev_b32_e32 v54, 3, v52
	v_sub_u32_e32 v35, 29, v55
	v_and_b32_e32 v34, 7, v34
	v_cmp_gt_u32_e32 vcc, 8, v52
	v_cndmask_b32_e32 v35, v54, v35, vcc
	v_cndmask_b32_e32 v34, v53, v34, vcc
	v_lshlrev_b32_e32 v52, 16, v36
	v_bfrev_b32_e32 v53, 60
	v_lshlrev_b32_e32 v34, 20, v34
	v_and_b32_e32 v52, 0x80000000, v52
	v_lshl_add_u32 v35, v35, 23, v53
	v_or3_b32 v34, v52, v35, v34
	v_lshrrev_b32_e32 v35, 16, v34
.LBB895_261:
	s_or_b64 exec, exec, s[10:11]
.LBB895_262:
	s_or_b64 exec, exec, s[8:9]
.LBB895_263:
	s_or_b64 exec, exec, s[2:3]
	s_movk_i32 s2, 0xff
	v_and_b32_sdwa v54, v36, s2 dst_sel:DWORD dst_unused:UNUSED_PAD src0_sel:WORD_1 src1_sel:DWORD
	v_lshrrev_b32_e32 v34, 16, v36
	v_cmp_ne_u16_e32 vcc, 0, v54
	v_mov_b32_e32 v52, 0
	v_mov_b32_e32 v53, 0
	s_and_saveexec_b64 s[2:3], vcc
	s_cbranch_execz .LBB895_269
; %bb.264:
	s_movk_i32 s8, 0x80
	v_cmp_ne_u16_e32 vcc, s8, v54
	v_mov_b32_e32 v53, 0xffff8000
	s_and_saveexec_b64 s[8:9], vcc
	s_cbranch_execz .LBB895_268
; %bb.265:
	v_bfe_u32 v54, v36, 16, 7
	s_movk_i32 s10, 0x7f
	v_cmp_ne_u32_e32 vcc, s10, v54
	v_mov_b32_e32 v53, 0x7f80
	s_and_saveexec_b64 s[10:11], vcc
	s_cbranch_execz .LBB895_267
; %bb.266:
	v_and_b32_e32 v53, 7, v34
	v_ffbh_u32_e32 v56, v53
	v_min_u32_e32 v58, 32, v56
	v_subrev_u32_e32 v56, 28, v58
	v_lshlrev_b64 v[56:57], v56, v[34:35]
	v_lshrrev_b32_e32 v55, 3, v54
	v_sub_u32_e32 v34, 29, v58
	v_and_b32_e32 v56, 7, v56
	v_cmp_gt_u32_e32 vcc, 8, v54
	v_mov_b32_e32 v54, 24
	v_cndmask_b32_e32 v34, v55, v34, vcc
	v_cndmask_b32_e32 v53, v53, v56, vcc
	v_lshlrev_b32_sdwa v54, v54, v36 dst_sel:DWORD dst_unused:UNUSED_PAD src0_sel:DWORD src1_sel:WORD_1
	v_bfrev_b32_e32 v55, 60
	v_lshlrev_b32_e32 v53, 20, v53
	v_and_b32_e32 v54, 0x80000000, v54
	v_lshl_add_u32 v34, v34, 23, v55
	v_or3_b32 v34, v54, v34, v53
	v_lshrrev_b32_e32 v53, 16, v34
.LBB895_267:
	s_or_b64 exec, exec, s[10:11]
.LBB895_268:
	s_or_b64 exec, exec, s[8:9]
.LBB895_269:
	s_or_b64 exec, exec, s[2:3]
	s_mov_b32 s2, 0xffffff
	v_cmp_lt_u32_e32 vcc, s2, v36
	s_and_saveexec_b64 s[2:3], vcc
	s_cbranch_execz .LBB895_275
; %bb.270:
	v_lshrrev_b32_e32 v34, 24, v36
	s_movk_i32 s8, 0x80
	v_cmp_ne_u32_e32 vcc, s8, v34
	v_mov_b32_e32 v52, 0xffff8000
	s_and_saveexec_b64 s[8:9], vcc
	s_cbranch_execz .LBB895_274
; %bb.271:
	v_bfe_u32 v36, v36, 24, 7
	s_movk_i32 s10, 0x7f
	v_cmp_ne_u32_e32 vcc, s10, v36
	v_mov_b32_e32 v52, 0x7f80
	s_and_saveexec_b64 s[10:11], vcc
	s_cbranch_execz .LBB895_273
; %bb.272:
	v_and_b32_e32 v52, 7, v34
	v_ffbh_u32_e32 v54, v52
	v_min_u32_e32 v57, 32, v54
	v_subrev_u32_e32 v54, 28, v57
	v_lshlrev_b64 v[54:55], v54, v[34:35]
	v_lshrrev_b32_e32 v56, 3, v36
	v_sub_u32_e32 v55, 29, v57
	v_and_b32_e32 v54, 7, v54
	v_cmp_gt_u32_e32 vcc, 8, v36
	v_cndmask_b32_e32 v36, v56, v55, vcc
	v_cndmask_b32_e32 v52, v52, v54, vcc
	v_lshlrev_b32_e32 v34, 24, v34
	v_bfrev_b32_e32 v54, 60
	v_lshlrev_b32_e32 v52, 20, v52
	v_and_b32_e32 v34, 0x80000000, v34
	v_lshl_add_u32 v36, v36, 23, v54
	v_or3_b32 v34, v34, v36, v52
	v_lshrrev_b32_e32 v52, 16, v34
.LBB895_273:
	s_or_b64 exec, exec, s[10:11]
.LBB895_274:
	s_or_b64 exec, exec, s[8:9]
.LBB895_275:
	s_or_b64 exec, exec, s[2:3]
	v_mov_b32_e32 v36, 0
	v_cmp_ne_u16_sdwa s[8:9], v37, v36 src0_sel:BYTE_0 src1_sel:DWORD
	v_mov_b32_e32 v54, 0
	s_and_saveexec_b64 s[2:3], s[8:9]
	s_cbranch_execz .LBB895_281
; %bb.276:
	s_movk_i32 s8, 0x80
	v_cmp_ne_u16_sdwa s[10:11], v37, s8 src0_sel:BYTE_0 src1_sel:DWORD
	v_mov_b32_e32 v54, 0xffff8000
	s_and_saveexec_b64 s[8:9], s[10:11]
	s_cbranch_execz .LBB895_280
; %bb.277:
	s_movk_i32 s10, 0x7f
	v_and_b32_e32 v34, 0x7f, v37
	v_cmp_ne_u32_e32 vcc, s10, v34
	v_mov_b32_e32 v54, 0x7f80
	s_and_saveexec_b64 s[10:11], vcc
	s_cbranch_execz .LBB895_279
; %bb.278:
	v_and_b32_e32 v56, 7, v37
	v_ffbh_u32_e32 v55, v56
	v_min_u32_e32 v58, 32, v55
	v_mov_b32_e32 v54, v37
	v_subrev_u32_e32 v55, 28, v58
	v_lshlrev_b64 v[54:55], v55, v[54:55]
	v_lshrrev_b32_e32 v57, 3, v34
	v_sub_u32_e32 v55, 29, v58
	v_and_b32_e32 v54, 7, v54
	v_cmp_gt_u32_e32 vcc, 8, v34
	v_cndmask_b32_e32 v34, v57, v55, vcc
	v_cndmask_b32_e32 v54, v56, v54, vcc
	v_lshlrev_b32_e32 v55, 24, v37
	v_bfrev_b32_e32 v56, 60
	v_lshlrev_b32_e32 v54, 20, v54
	v_and_b32_e32 v55, 0x80000000, v55
	v_lshl_add_u32 v34, v34, 23, v56
	v_or3_b32 v34, v55, v34, v54
	v_lshrrev_b32_e32 v54, 16, v34
.LBB895_279:
	s_or_b64 exec, exec, s[10:11]
.LBB895_280:
	s_or_b64 exec, exec, s[8:9]
.LBB895_281:
	s_or_b64 exec, exec, s[2:3]
	v_lshrrev_b16_e32 v34, 8, v37
	v_cmp_ne_u16_e32 vcc, 0, v34
	s_and_saveexec_b64 s[2:3], vcc
	s_cbranch_execz .LBB895_287
; %bb.282:
	s_movk_i32 s8, 0x80
	v_cmp_ne_u16_e32 vcc, s8, v34
	v_mov_b32_e32 v36, 0xffff8000
	s_and_saveexec_b64 s[8:9], vcc
	s_cbranch_execz .LBB895_286
; %bb.283:
	s_movk_i32 s10, 0x7f
	v_and_b32_e32 v55, 0x7f, v34
	v_cmp_ne_u32_e32 vcc, s10, v55
	v_mov_b32_e32 v36, 0x7f80
	s_and_saveexec_b64 s[10:11], vcc
	s_cbranch_execz .LBB895_285
; %bb.284:
	v_and_b32_e32 v36, 7, v34
	v_ffbh_u32_e32 v56, v36
	v_min_u32_e32 v59, 32, v56
	v_subrev_u32_e32 v56, 28, v59
	v_lshlrev_b64 v[56:57], v56, v[34:35]
	v_lshrrev_b32_e32 v58, 3, v55
	v_sub_u32_e32 v34, 29, v59
	v_and_b32_e32 v56, 7, v56
	v_cmp_gt_u32_e32 vcc, 8, v55
	v_cndmask_b32_e32 v34, v58, v34, vcc
	v_cndmask_b32_e32 v36, v36, v56, vcc
	v_lshlrev_b32_e32 v55, 16, v37
	v_bfrev_b32_e32 v56, 60
	v_lshlrev_b32_e32 v36, 20, v36
	v_and_b32_e32 v55, 0x80000000, v55
	v_lshl_add_u32 v34, v34, 23, v56
	v_or3_b32 v34, v55, v34, v36
	v_lshrrev_b32_e32 v36, 16, v34
.LBB895_285:
	s_or_b64 exec, exec, s[10:11]
.LBB895_286:
	s_or_b64 exec, exec, s[8:9]
.LBB895_287:
	s_or_b64 exec, exec, s[2:3]
	s_movk_i32 s2, 0xff
	v_and_b32_sdwa v57, v37, s2 dst_sel:DWORD dst_unused:UNUSED_PAD src0_sel:WORD_1 src1_sel:DWORD
	v_lshrrev_b32_e32 v34, 16, v37
	v_cmp_ne_u16_e32 vcc, 0, v57
	v_mov_b32_e32 v55, 0
	v_mov_b32_e32 v56, 0
	s_and_saveexec_b64 s[2:3], vcc
	s_cbranch_execz .LBB895_293
; %bb.288:
	s_movk_i32 s8, 0x80
	v_cmp_ne_u16_e32 vcc, s8, v57
	v_mov_b32_e32 v56, 0xffff8000
	s_and_saveexec_b64 s[8:9], vcc
	s_cbranch_execz .LBB895_292
; %bb.289:
	v_bfe_u32 v57, v37, 16, 7
	s_movk_i32 s10, 0x7f
	v_cmp_ne_u32_e32 vcc, s10, v57
	v_mov_b32_e32 v56, 0x7f80
	s_and_saveexec_b64 s[10:11], vcc
	s_cbranch_execz .LBB895_291
; %bb.290:
	v_and_b32_e32 v56, 7, v34
	v_ffbh_u32_e32 v58, v56
	v_min_u32_e32 v61, 32, v58
	v_subrev_u32_e32 v58, 28, v61
	v_lshlrev_b64 v[58:59], v58, v[34:35]
	v_lshrrev_b32_e32 v60, 3, v57
	v_sub_u32_e32 v34, 29, v61
	v_and_b32_e32 v58, 7, v58
	v_cmp_gt_u32_e32 vcc, 8, v57
	v_mov_b32_e32 v57, 24
	v_cndmask_b32_e32 v34, v60, v34, vcc
	v_cndmask_b32_e32 v56, v56, v58, vcc
	v_lshlrev_b32_sdwa v57, v57, v37 dst_sel:DWORD dst_unused:UNUSED_PAD src0_sel:DWORD src1_sel:WORD_1
	v_bfrev_b32_e32 v58, 60
	v_lshlrev_b32_e32 v56, 20, v56
	v_and_b32_e32 v57, 0x80000000, v57
	v_lshl_add_u32 v34, v34, 23, v58
	v_or3_b32 v34, v57, v34, v56
	v_lshrrev_b32_e32 v56, 16, v34
.LBB895_291:
	s_or_b64 exec, exec, s[10:11]
.LBB895_292:
	s_or_b64 exec, exec, s[8:9]
.LBB895_293:
	s_or_b64 exec, exec, s[2:3]
	s_mov_b32 s2, 0xffffff
	v_cmp_lt_u32_e32 vcc, s2, v37
	s_and_saveexec_b64 s[2:3], vcc
	s_cbranch_execz .LBB895_299
; %bb.294:
	v_lshrrev_b32_e32 v34, 24, v37
	s_movk_i32 s8, 0x80
	v_cmp_ne_u32_e32 vcc, s8, v34
	v_mov_b32_e32 v55, 0xffff8000
	s_and_saveexec_b64 s[8:9], vcc
	s_cbranch_execz .LBB895_298
; %bb.295:
	v_bfe_u32 v37, v37, 24, 7
	s_movk_i32 s10, 0x7f
	v_cmp_ne_u32_e32 vcc, s10, v37
	v_mov_b32_e32 v55, 0x7f80
	s_and_saveexec_b64 s[10:11], vcc
	s_cbranch_execz .LBB895_297
; %bb.296:
	v_and_b32_e32 v55, 7, v34
	v_ffbh_u32_e32 v58, v55
	v_min_u32_e32 v60, 32, v58
	v_subrev_u32_e32 v58, 28, v60
	v_lshlrev_b64 v[58:59], v58, v[34:35]
	v_lshrrev_b32_e32 v57, 3, v37
	v_sub_u32_e32 v59, 29, v60
	v_and_b32_e32 v58, 7, v58
	v_cmp_gt_u32_e32 vcc, 8, v37
	v_cndmask_b32_e32 v37, v57, v59, vcc
	v_cndmask_b32_e32 v55, v55, v58, vcc
	v_lshlrev_b32_e32 v34, 24, v34
	v_bfrev_b32_e32 v57, 60
	v_lshlrev_b32_e32 v55, 20, v55
	v_and_b32_e32 v34, 0x80000000, v34
	v_lshl_add_u32 v37, v37, 23, v57
	v_or3_b32 v34, v34, v37, v55
	v_lshrrev_b32_e32 v55, 16, v34
.LBB895_297:
	s_or_b64 exec, exec, s[10:11]
.LBB895_298:
	s_or_b64 exec, exec, s[8:9]
.LBB895_299:
	s_or_b64 exec, exec, s[2:3]
	s_mov_b32 s2, 0x5040100
	v_perm_b32 v53, v52, v53, s2
	v_perm_b32 v52, v35, v51, s2
	;; [unrolled: 1-line block ×4, first 2 shown]
	v_mfma_f32_16x16x16bf16_1k v[58:61], v[52:53], v[18:19], v[42:45]
	s_nop 6
	v_mov_b32_e32 v43, 0
	s_waitcnt vmcnt(4)
	v_cmp_ne_u16_sdwa s[8:9], v22, v43 src0_sel:BYTE_0 src1_sel:DWORD
	v_mfma_f32_16x16x16bf16_1k v[34:37], v[34:35], v[20:21], v[58:61]
	v_mov_b32_e32 v44, 0
	s_and_saveexec_b64 s[2:3], s[8:9]
	s_cbranch_execz .LBB895_305
; %bb.300:
	s_movk_i32 s8, 0x80
	v_cmp_ne_u16_sdwa s[10:11], v22, s8 src0_sel:BYTE_0 src1_sel:DWORD
	v_mov_b32_e32 v44, 0xffff8000
	s_and_saveexec_b64 s[8:9], s[10:11]
	s_cbranch_execz .LBB895_304
; %bb.301:
	s_movk_i32 s10, 0x7f
	v_and_b32_e32 v42, 0x7f, v22
	v_cmp_ne_u32_e32 vcc, s10, v42
	v_mov_b32_e32 v44, 0x7f80
	s_and_saveexec_b64 s[10:11], vcc
	s_cbranch_execz .LBB895_303
; %bb.302:
	v_and_b32_e32 v51, 7, v22
	v_ffbh_u32_e32 v44, v51
	v_min_u32_e32 v53, 32, v44
	v_subrev_u32_e32 v44, 28, v53
	v_lshlrev_b64 v[44:45], v44, v[22:23]
	v_lshrrev_b32_e32 v52, 3, v42
	v_sub_u32_e32 v45, 29, v53
	v_and_b32_e32 v44, 7, v44
	v_cmp_gt_u32_e32 vcc, 8, v42
	v_cndmask_b32_e32 v42, v52, v45, vcc
	v_cndmask_b32_e32 v44, v51, v44, vcc
	v_lshlrev_b32_e32 v45, 24, v22
	v_bfrev_b32_e32 v51, 60
	v_lshlrev_b32_e32 v44, 20, v44
	v_and_b32_e32 v45, 0x80000000, v45
	v_lshl_add_u32 v42, v42, 23, v51
	v_or3_b32 v42, v45, v42, v44
	v_lshrrev_b32_e32 v44, 16, v42
.LBB895_303:
	s_or_b64 exec, exec, s[10:11]
.LBB895_304:
	s_or_b64 exec, exec, s[8:9]
.LBB895_305:
	s_or_b64 exec, exec, s[2:3]
	v_lshrrev_b16_e32 v42, 8, v22
	v_cmp_ne_u16_e32 vcc, 0, v42
	s_and_saveexec_b64 s[2:3], vcc
	s_cbranch_execz .LBB895_311
; %bb.306:
	s_movk_i32 s8, 0x80
	v_cmp_ne_u16_e32 vcc, s8, v42
	v_mov_b32_e32 v43, 0xffff8000
	s_and_saveexec_b64 s[8:9], vcc
	s_cbranch_execz .LBB895_310
; %bb.307:
	s_movk_i32 s10, 0x7f
	v_and_b32_e32 v45, 0x7f, v42
	v_cmp_ne_u32_e32 vcc, s10, v45
	v_mov_b32_e32 v43, 0x7f80
	s_and_saveexec_b64 s[10:11], vcc
	s_cbranch_execz .LBB895_309
; %bb.308:
	v_and_b32_e32 v51, 7, v42
	v_ffbh_u32_e32 v43, v51
	v_min_u32_e32 v53, 32, v43
	v_subrev_u32_e32 v43, 28, v53
	v_lshlrev_b64 v[42:43], v43, v[42:43]
	v_lshrrev_b32_e32 v52, 3, v45
	v_sub_u32_e32 v43, 29, v53
	v_and_b32_e32 v42, 7, v42
	v_cmp_gt_u32_e32 vcc, 8, v45
	v_cndmask_b32_e32 v43, v52, v43, vcc
	v_cndmask_b32_e32 v42, v51, v42, vcc
	v_lshlrev_b32_e32 v45, 16, v22
	v_bfrev_b32_e32 v51, 60
	v_lshlrev_b32_e32 v42, 20, v42
	v_and_b32_e32 v45, 0x80000000, v45
	v_lshl_add_u32 v43, v43, 23, v51
	v_or3_b32 v42, v45, v43, v42
	v_lshrrev_b32_e32 v43, 16, v42
.LBB895_309:
	s_or_b64 exec, exec, s[10:11]
.LBB895_310:
	s_or_b64 exec, exec, s[8:9]
.LBB895_311:
	s_or_b64 exec, exec, s[2:3]
	s_movk_i32 s2, 0xff
	v_and_b32_sdwa v52, v22, s2 dst_sel:DWORD dst_unused:UNUSED_PAD src0_sel:WORD_1 src1_sel:DWORD
	v_lshrrev_b32_e32 v42, 16, v22
	v_cmp_ne_u16_e32 vcc, 0, v52
	v_mov_b32_e32 v45, 0
	v_mov_b32_e32 v51, 0
	s_and_saveexec_b64 s[2:3], vcc
	s_cbranch_execz .LBB895_317
; %bb.312:
	s_movk_i32 s8, 0x80
	v_cmp_ne_u16_e32 vcc, s8, v52
	v_mov_b32_e32 v51, 0xffff8000
	s_and_saveexec_b64 s[8:9], vcc
	s_cbranch_execz .LBB895_316
; %bb.313:
	v_bfe_u32 v52, v22, 16, 7
	s_movk_i32 s10, 0x7f
	v_cmp_ne_u32_e32 vcc, s10, v52
	v_mov_b32_e32 v51, 0x7f80
	s_and_saveexec_b64 s[10:11], vcc
	s_cbranch_execz .LBB895_315
; %bb.314:
	v_and_b32_e32 v51, 7, v42
	v_ffbh_u32_e32 v54, v51
	v_min_u32_e32 v56, 32, v54
	v_subrev_u32_e32 v54, 28, v56
	v_lshlrev_b64 v[54:55], v54, v[42:43]
	v_lshrrev_b32_e32 v53, 3, v52
	v_sub_u32_e32 v42, 29, v56
	v_and_b32_e32 v54, 7, v54
	v_cmp_gt_u32_e32 vcc, 8, v52
	v_mov_b32_e32 v52, 24
	v_cndmask_b32_e32 v42, v53, v42, vcc
	v_cndmask_b32_e32 v51, v51, v54, vcc
	v_lshlrev_b32_sdwa v52, v52, v22 dst_sel:DWORD dst_unused:UNUSED_PAD src0_sel:DWORD src1_sel:WORD_1
	v_bfrev_b32_e32 v53, 60
	v_lshlrev_b32_e32 v51, 20, v51
	v_and_b32_e32 v52, 0x80000000, v52
	v_lshl_add_u32 v42, v42, 23, v53
	v_or3_b32 v42, v52, v42, v51
	v_lshrrev_b32_e32 v51, 16, v42
.LBB895_315:
	s_or_b64 exec, exec, s[10:11]
.LBB895_316:
	s_or_b64 exec, exec, s[8:9]
.LBB895_317:
	s_or_b64 exec, exec, s[2:3]
	s_mov_b32 s2, 0xffffff
	v_cmp_lt_u32_e32 vcc, s2, v22
	s_and_saveexec_b64 s[2:3], vcc
	s_cbranch_execz .LBB895_323
; %bb.318:
	v_lshrrev_b32_e32 v42, 24, v22
	s_movk_i32 s8, 0x80
	v_cmp_ne_u32_e32 vcc, s8, v42
	v_mov_b32_e32 v45, 0xffff8000
	s_and_saveexec_b64 s[8:9], vcc
	s_cbranch_execz .LBB895_322
; %bb.319:
	v_bfe_u32 v22, v22, 24, 7
	s_movk_i32 s10, 0x7f
	v_cmp_ne_u32_e32 vcc, s10, v22
	v_mov_b32_e32 v45, 0x7f80
	s_and_saveexec_b64 s[10:11], vcc
	s_cbranch_execz .LBB895_321
; %bb.320:
	v_and_b32_e32 v45, 7, v42
	v_ffbh_u32_e32 v52, v45
	v_min_u32_e32 v55, 32, v52
	v_subrev_u32_e32 v52, 28, v55
	v_lshlrev_b64 v[52:53], v52, v[42:43]
	v_lshrrev_b32_e32 v54, 3, v22
	v_sub_u32_e32 v53, 29, v55
	v_and_b32_e32 v52, 7, v52
	v_cmp_gt_u32_e32 vcc, 8, v22
	v_cndmask_b32_e32 v22, v54, v53, vcc
	v_cndmask_b32_e32 v45, v45, v52, vcc
	v_lshlrev_b32_e32 v42, 24, v42
	v_bfrev_b32_e32 v52, 60
	v_lshlrev_b32_e32 v45, 20, v45
	v_and_b32_e32 v42, 0x80000000, v42
	v_lshl_add_u32 v22, v22, 23, v52
	v_or3_b32 v22, v42, v22, v45
	v_lshrrev_b32_e32 v45, 16, v22
.LBB895_321:
	s_or_b64 exec, exec, s[10:11]
.LBB895_322:
	s_or_b64 exec, exec, s[8:9]
.LBB895_323:
	s_or_b64 exec, exec, s[2:3]
	v_mov_b32_e32 v42, 0
	v_cmp_ne_u16_sdwa s[8:9], v23, v42 src0_sel:BYTE_0 src1_sel:DWORD
	v_mov_b32_e32 v52, 0
	s_and_saveexec_b64 s[2:3], s[8:9]
	s_cbranch_execz .LBB895_329
; %bb.324:
	s_movk_i32 s8, 0x80
	v_cmp_ne_u16_sdwa s[10:11], v23, s8 src0_sel:BYTE_0 src1_sel:DWORD
	v_mov_b32_e32 v52, 0xffff8000
	s_and_saveexec_b64 s[8:9], s[10:11]
	s_cbranch_execz .LBB895_328
; %bb.325:
	s_movk_i32 s10, 0x7f
	v_and_b32_e32 v22, 0x7f, v23
	v_cmp_ne_u32_e32 vcc, s10, v22
	v_mov_b32_e32 v52, 0x7f80
	s_and_saveexec_b64 s[10:11], vcc
	s_cbranch_execz .LBB895_327
; %bb.326:
	v_and_b32_e32 v54, 7, v23
	v_ffbh_u32_e32 v53, v54
	v_min_u32_e32 v56, 32, v53
	v_mov_b32_e32 v52, v23
	v_subrev_u32_e32 v53, 28, v56
	v_lshlrev_b64 v[52:53], v53, v[52:53]
	v_lshrrev_b32_e32 v55, 3, v22
	v_sub_u32_e32 v53, 29, v56
	v_and_b32_e32 v52, 7, v52
	v_cmp_gt_u32_e32 vcc, 8, v22
	v_cndmask_b32_e32 v22, v55, v53, vcc
	v_cndmask_b32_e32 v52, v54, v52, vcc
	v_lshlrev_b32_e32 v53, 24, v23
	v_bfrev_b32_e32 v54, 60
	v_lshlrev_b32_e32 v52, 20, v52
	v_and_b32_e32 v53, 0x80000000, v53
	v_lshl_add_u32 v22, v22, 23, v54
	v_or3_b32 v22, v53, v22, v52
	v_lshrrev_b32_e32 v52, 16, v22
.LBB895_327:
	s_or_b64 exec, exec, s[10:11]
.LBB895_328:
	s_or_b64 exec, exec, s[8:9]
.LBB895_329:
	s_or_b64 exec, exec, s[2:3]
	v_lshrrev_b16_e32 v22, 8, v23
	v_cmp_ne_u16_e32 vcc, 0, v22
	s_and_saveexec_b64 s[2:3], vcc
	s_cbranch_execz .LBB895_335
; %bb.330:
	s_movk_i32 s8, 0x80
	v_cmp_ne_u16_e32 vcc, s8, v22
	v_mov_b32_e32 v42, 0xffff8000
	s_and_saveexec_b64 s[8:9], vcc
	s_cbranch_execz .LBB895_334
; %bb.331:
	s_movk_i32 s10, 0x7f
	v_and_b32_e32 v53, 0x7f, v22
	v_cmp_ne_u32_e32 vcc, s10, v53
	v_mov_b32_e32 v42, 0x7f80
	s_and_saveexec_b64 s[10:11], vcc
	s_cbranch_execz .LBB895_333
; %bb.332:
	v_and_b32_e32 v42, 7, v22
	v_ffbh_u32_e32 v54, v42
	v_min_u32_e32 v57, 32, v54
	v_subrev_u32_e32 v54, 28, v57
	v_lshlrev_b64 v[54:55], v54, v[22:23]
	v_lshrrev_b32_e32 v56, 3, v53
	v_sub_u32_e32 v22, 29, v57
	v_and_b32_e32 v54, 7, v54
	v_cmp_gt_u32_e32 vcc, 8, v53
	v_cndmask_b32_e32 v22, v56, v22, vcc
	v_cndmask_b32_e32 v42, v42, v54, vcc
	v_lshlrev_b32_e32 v53, 16, v23
	v_bfrev_b32_e32 v54, 60
	v_lshlrev_b32_e32 v42, 20, v42
	v_and_b32_e32 v53, 0x80000000, v53
	v_lshl_add_u32 v22, v22, 23, v54
	v_or3_b32 v22, v53, v22, v42
	v_lshrrev_b32_e32 v42, 16, v22
.LBB895_333:
	s_or_b64 exec, exec, s[10:11]
.LBB895_334:
	s_or_b64 exec, exec, s[8:9]
.LBB895_335:
	s_or_b64 exec, exec, s[2:3]
	s_movk_i32 s2, 0xff
	v_and_b32_sdwa v55, v23, s2 dst_sel:DWORD dst_unused:UNUSED_PAD src0_sel:WORD_1 src1_sel:DWORD
	v_lshrrev_b32_e32 v22, 16, v23
	v_cmp_ne_u16_e32 vcc, 0, v55
	v_mov_b32_e32 v53, 0
	v_mov_b32_e32 v54, 0
	s_and_saveexec_b64 s[2:3], vcc
	s_cbranch_execz .LBB895_341
; %bb.336:
	s_movk_i32 s8, 0x80
	v_cmp_ne_u16_e32 vcc, s8, v55
	v_mov_b32_e32 v54, 0xffff8000
	s_and_saveexec_b64 s[8:9], vcc
	s_cbranch_execz .LBB895_340
; %bb.337:
	v_bfe_u32 v55, v23, 16, 7
	s_movk_i32 s10, 0x7f
	v_cmp_ne_u32_e32 vcc, s10, v55
	v_mov_b32_e32 v54, 0x7f80
	s_and_saveexec_b64 s[10:11], vcc
	s_cbranch_execz .LBB895_339
; %bb.338:
	v_and_b32_e32 v54, 7, v22
	v_ffbh_u32_e32 v56, v54
	v_min_u32_e32 v59, 32, v56
	v_subrev_u32_e32 v56, 28, v59
	v_lshlrev_b64 v[56:57], v56, v[22:23]
	v_lshrrev_b32_e32 v58, 3, v55
	v_sub_u32_e32 v22, 29, v59
	v_and_b32_e32 v56, 7, v56
	v_cmp_gt_u32_e32 vcc, 8, v55
	v_mov_b32_e32 v55, 24
	v_cndmask_b32_e32 v22, v58, v22, vcc
	v_cndmask_b32_e32 v54, v54, v56, vcc
	v_lshlrev_b32_sdwa v55, v55, v23 dst_sel:DWORD dst_unused:UNUSED_PAD src0_sel:DWORD src1_sel:WORD_1
	v_bfrev_b32_e32 v56, 60
	v_lshlrev_b32_e32 v54, 20, v54
	v_and_b32_e32 v55, 0x80000000, v55
	v_lshl_add_u32 v22, v22, 23, v56
	v_or3_b32 v22, v55, v22, v54
	v_lshrrev_b32_e32 v54, 16, v22
.LBB895_339:
	s_or_b64 exec, exec, s[10:11]
.LBB895_340:
	s_or_b64 exec, exec, s[8:9]
.LBB895_341:
	s_or_b64 exec, exec, s[2:3]
	s_mov_b32 s2, 0xffffff
	v_cmp_lt_u32_e32 vcc, s2, v23
	s_and_saveexec_b64 s[2:3], vcc
	s_cbranch_execz .LBB895_347
; %bb.342:
	v_lshrrev_b32_e32 v22, 24, v23
	s_movk_i32 s8, 0x80
	v_cmp_ne_u32_e32 vcc, s8, v22
	v_mov_b32_e32 v53, 0xffff8000
	s_and_saveexec_b64 s[8:9], vcc
	s_cbranch_execz .LBB895_346
; %bb.343:
	v_bfe_u32 v23, v23, 24, 7
	s_movk_i32 s10, 0x7f
	v_cmp_ne_u32_e32 vcc, s10, v23
	v_mov_b32_e32 v53, 0x7f80
	s_and_saveexec_b64 s[10:11], vcc
	s_cbranch_execz .LBB895_345
; %bb.344:
	v_and_b32_e32 v53, 7, v22
	v_ffbh_u32_e32 v56, v53
	v_min_u32_e32 v58, 32, v56
	v_subrev_u32_e32 v56, 28, v58
	v_lshlrev_b64 v[56:57], v56, v[22:23]
	v_lshrrev_b32_e32 v55, 3, v23
	v_sub_u32_e32 v57, 29, v58
	v_and_b32_e32 v56, 7, v56
	v_cmp_gt_u32_e32 vcc, 8, v23
	v_cndmask_b32_e32 v23, v55, v57, vcc
	v_cndmask_b32_e32 v53, v53, v56, vcc
	v_lshlrev_b32_e32 v22, 24, v22
	v_bfrev_b32_e32 v55, 60
	v_lshlrev_b32_e32 v53, 20, v53
	v_and_b32_e32 v22, 0x80000000, v22
	v_lshl_add_u32 v23, v23, 23, v55
	v_or3_b32 v22, v22, v23, v53
	v_lshrrev_b32_e32 v53, 16, v22
.LBB895_345:
	s_or_b64 exec, exec, s[10:11]
.LBB895_346:
	s_or_b64 exec, exec, s[8:9]
.LBB895_347:
	s_or_b64 exec, exec, s[2:3]
	s_mov_b32 s2, 0x5040100
	v_perm_b32 v23, v45, v51, s2
	v_perm_b32 v22, v43, v44, s2
	v_mov_b32_e32 v43, 0
	s_nop 0
	v_mfma_f32_16x16x16bf16_1k v[56:59], v[22:23], v[26:27], 0
	v_perm_b32 v27, v53, v54, s2
	v_perm_b32 v26, v42, v52, s2
	v_mov_b32_e32 v23, 0
	v_cmp_ne_u16_sdwa s[8:9], v24, v23 src0_sel:BYTE_0 src1_sel:DWORD
	v_mfma_f32_16x16x16bf16_1k v[26:29], v[26:27], v[28:29], v[56:59]
	s_and_saveexec_b64 s[2:3], s[8:9]
	s_cbranch_execz .LBB895_353
; %bb.348:
	s_movk_i32 s8, 0x80
	v_cmp_ne_u16_sdwa s[10:11], v24, s8 src0_sel:BYTE_0 src1_sel:DWORD
	v_mov_b32_e32 v43, 0xffff8000
	s_and_saveexec_b64 s[8:9], s[10:11]
	s_cbranch_execz .LBB895_352
; %bb.349:
	s_movk_i32 s10, 0x7f
	v_and_b32_e32 v22, 0x7f, v24
	v_cmp_ne_u32_e32 vcc, s10, v22
	v_mov_b32_e32 v43, 0x7f80
	s_and_saveexec_b64 s[10:11], vcc
	s_cbranch_execz .LBB895_351
; %bb.350:
	v_and_b32_e32 v44, 7, v24
	v_ffbh_u32_e32 v42, v44
	v_min_u32_e32 v51, 32, v42
	v_subrev_u32_e32 v42, 28, v51
	v_lshlrev_b64 v[42:43], v42, v[24:25]
	v_lshrrev_b32_e32 v45, 3, v22
	v_sub_u32_e32 v43, 29, v51
	v_and_b32_e32 v42, 7, v42
	v_cmp_gt_u32_e32 vcc, 8, v22
	v_cndmask_b32_e32 v22, v45, v43, vcc
	v_cndmask_b32_e32 v42, v44, v42, vcc
	v_lshlrev_b32_e32 v43, 24, v24
	v_bfrev_b32_e32 v44, 60
	v_lshlrev_b32_e32 v42, 20, v42
	v_and_b32_e32 v43, 0x80000000, v43
	v_lshl_add_u32 v22, v22, 23, v44
	v_or3_b32 v22, v43, v22, v42
	v_lshrrev_b32_e32 v43, 16, v22
.LBB895_351:
	s_or_b64 exec, exec, s[10:11]
.LBB895_352:
	s_or_b64 exec, exec, s[8:9]
.LBB895_353:
	s_or_b64 exec, exec, s[2:3]
	v_lshrrev_b16_e32 v22, 8, v24
	v_cmp_ne_u16_e32 vcc, 0, v22
	s_and_saveexec_b64 s[2:3], vcc
	s_cbranch_execz .LBB895_359
; %bb.354:
	s_movk_i32 s8, 0x80
	v_cmp_ne_u16_e32 vcc, s8, v22
	v_mov_b32_e32 v23, 0xffff8000
	s_and_saveexec_b64 s[8:9], vcc
	s_cbranch_execz .LBB895_358
; %bb.355:
	s_movk_i32 s10, 0x7f
	v_and_b32_e32 v42, 0x7f, v22
	v_cmp_ne_u32_e32 vcc, s10, v42
	v_mov_b32_e32 v23, 0x7f80
	s_and_saveexec_b64 s[10:11], vcc
	s_cbranch_execz .LBB895_357
; %bb.356:
	v_and_b32_e32 v44, 7, v22
	v_ffbh_u32_e32 v23, v44
	v_min_u32_e32 v51, 32, v23
	v_subrev_u32_e32 v23, 28, v51
	v_lshlrev_b64 v[22:23], v23, v[22:23]
	v_lshrrev_b32_e32 v45, 3, v42
	v_sub_u32_e32 v23, 29, v51
	v_and_b32_e32 v22, 7, v22
	v_cmp_gt_u32_e32 vcc, 8, v42
	v_cndmask_b32_e32 v23, v45, v23, vcc
	v_cndmask_b32_e32 v22, v44, v22, vcc
	v_lshlrev_b32_e32 v42, 16, v24
	v_bfrev_b32_e32 v44, 60
	v_lshlrev_b32_e32 v22, 20, v22
	v_and_b32_e32 v42, 0x80000000, v42
	v_lshl_add_u32 v23, v23, 23, v44
	v_or3_b32 v22, v42, v23, v22
	v_lshrrev_b32_e32 v23, 16, v22
.LBB895_357:
	s_or_b64 exec, exec, s[10:11]
.LBB895_358:
	s_or_b64 exec, exec, s[8:9]
.LBB895_359:
	s_or_b64 exec, exec, s[2:3]
	s_movk_i32 s2, 0xff
	v_and_b32_sdwa v42, v24, s2 dst_sel:DWORD dst_unused:UNUSED_PAD src0_sel:WORD_1 src1_sel:DWORD
	v_lshrrev_b32_e32 v22, 16, v24
	v_cmp_ne_u16_e32 vcc, 0, v42
	v_mov_b32_e32 v44, 0
	v_mov_b32_e32 v45, 0
	s_and_saveexec_b64 s[2:3], vcc
	s_cbranch_execz .LBB895_365
; %bb.360:
	s_movk_i32 s8, 0x80
	v_cmp_ne_u16_e32 vcc, s8, v42
	v_mov_b32_e32 v45, 0xffff8000
	s_and_saveexec_b64 s[8:9], vcc
	s_cbranch_execz .LBB895_364
; %bb.361:
	v_bfe_u32 v42, v24, 16, 7
	s_movk_i32 s10, 0x7f
	v_cmp_ne_u32_e32 vcc, s10, v42
	v_mov_b32_e32 v45, 0x7f80
	s_and_saveexec_b64 s[10:11], vcc
	s_cbranch_execz .LBB895_363
; %bb.362:
	v_and_b32_e32 v45, 7, v22
	v_ffbh_u32_e32 v52, v45
	v_min_u32_e32 v54, 32, v52
	v_subrev_u32_e32 v52, 28, v54
	v_lshlrev_b64 v[52:53], v52, v[22:23]
	v_and_b32_e32 v52, 7, v52
	v_cmp_gt_u32_e32 vcc, 8, v42
	v_lshrrev_b32_e32 v51, 3, v42
	v_sub_u32_e32 v22, 29, v54
	v_cndmask_b32_e32 v42, v45, v52, vcc
	v_mov_b32_e32 v45, 24
	v_cndmask_b32_e32 v22, v51, v22, vcc
	v_lshlrev_b32_sdwa v45, v45, v24 dst_sel:DWORD dst_unused:UNUSED_PAD src0_sel:DWORD src1_sel:WORD_1
	v_bfrev_b32_e32 v51, 60
	v_lshlrev_b32_e32 v42, 20, v42
	v_and_b32_e32 v45, 0x80000000, v45
	v_lshl_add_u32 v22, v22, 23, v51
	v_or3_b32 v22, v45, v22, v42
	v_lshrrev_b32_e32 v45, 16, v22
.LBB895_363:
	s_or_b64 exec, exec, s[10:11]
.LBB895_364:
	s_or_b64 exec, exec, s[8:9]
.LBB895_365:
	s_or_b64 exec, exec, s[2:3]
	s_mov_b32 s2, 0xffffff
	v_cmp_lt_u32_e32 vcc, s2, v24
	s_and_saveexec_b64 s[2:3], vcc
	s_cbranch_execz .LBB895_371
; %bb.366:
	v_lshrrev_b32_e32 v22, 24, v24
	s_movk_i32 s8, 0x80
	v_cmp_ne_u32_e32 vcc, s8, v22
	v_mov_b32_e32 v44, 0xffff8000
	s_and_saveexec_b64 s[8:9], vcc
	s_cbranch_execz .LBB895_370
; %bb.367:
	v_bfe_u32 v24, v24, 24, 7
	s_movk_i32 s10, 0x7f
	v_cmp_ne_u32_e32 vcc, s10, v24
	v_mov_b32_e32 v44, 0x7f80
	s_and_saveexec_b64 s[10:11], vcc
	s_cbranch_execz .LBB895_369
; %bb.368:
	v_and_b32_e32 v42, 7, v22
	v_ffbh_u32_e32 v51, v42
	v_min_u32_e32 v51, 32, v51
	v_subrev_u32_e32 v52, 28, v51
	v_lshlrev_b64 v[52:53], v52, v[22:23]
	v_lshrrev_b32_e32 v44, 3, v24
	v_sub_u32_e32 v51, 29, v51
	v_and_b32_e32 v52, 7, v52
	v_cmp_gt_u32_e32 vcc, 8, v24
	v_cndmask_b32_e32 v24, v44, v51, vcc
	v_cndmask_b32_e32 v42, v42, v52, vcc
	v_lshlrev_b32_e32 v22, 24, v22
	v_bfrev_b32_e32 v44, 60
	v_lshlrev_b32_e32 v42, 20, v42
	v_and_b32_e32 v22, 0x80000000, v22
	v_lshl_add_u32 v24, v24, 23, v44
	v_or3_b32 v22, v22, v24, v42
	v_lshrrev_b32_e32 v44, 16, v22
.LBB895_369:
	s_or_b64 exec, exec, s[10:11]
.LBB895_370:
	s_or_b64 exec, exec, s[8:9]
.LBB895_371:
	s_or_b64 exec, exec, s[2:3]
	v_mov_b32_e32 v24, 0
	v_cmp_ne_u16_sdwa s[8:9], v25, v24 src0_sel:BYTE_0 src1_sel:DWORD
	v_mov_b32_e32 v51, 0
	s_and_saveexec_b64 s[2:3], s[8:9]
	s_cbranch_execz .LBB895_377
; %bb.372:
	s_movk_i32 s8, 0x80
	v_cmp_ne_u16_sdwa s[10:11], v25, s8 src0_sel:BYTE_0 src1_sel:DWORD
	v_mov_b32_e32 v51, 0xffff8000
	s_and_saveexec_b64 s[8:9], s[10:11]
	s_cbranch_execz .LBB895_376
; %bb.373:
	s_movk_i32 s10, 0x7f
	v_and_b32_e32 v22, 0x7f, v25
	v_cmp_ne_u32_e32 vcc, s10, v22
	v_mov_b32_e32 v51, 0x7f80
	s_and_saveexec_b64 s[10:11], vcc
	s_cbranch_execz .LBB895_375
; %bb.374:
	v_and_b32_e32 v51, 7, v25
	v_ffbh_u32_e32 v52, v51
	v_min_u32_e32 v55, 32, v52
	v_mov_b32_e32 v42, v25
	v_subrev_u32_e32 v52, 28, v55
	v_lshlrev_b64 v[52:53], v52, v[42:43]
	v_lshrrev_b32_e32 v54, 3, v22
	v_sub_u32_e32 v42, 29, v55
	v_and_b32_e32 v52, 7, v52
	v_cmp_gt_u32_e32 vcc, 8, v22
	v_cndmask_b32_e32 v22, v54, v42, vcc
	v_cndmask_b32_e32 v42, v51, v52, vcc
	v_lshlrev_b32_e32 v51, 24, v25
	v_bfrev_b32_e32 v52, 60
	v_lshlrev_b32_e32 v42, 20, v42
	v_and_b32_e32 v51, 0x80000000, v51
	v_lshl_add_u32 v22, v22, 23, v52
	v_or3_b32 v22, v51, v22, v42
	v_lshrrev_b32_e32 v51, 16, v22
.LBB895_375:
	s_or_b64 exec, exec, s[10:11]
.LBB895_376:
	s_or_b64 exec, exec, s[8:9]
.LBB895_377:
	s_or_b64 exec, exec, s[2:3]
	v_lshrrev_b16_e32 v22, 8, v25
	v_cmp_ne_u16_e32 vcc, 0, v22
	s_and_saveexec_b64 s[2:3], vcc
	s_cbranch_execz .LBB895_383
; %bb.378:
	s_movk_i32 s8, 0x80
	v_cmp_ne_u16_e32 vcc, s8, v22
	v_mov_b32_e32 v24, 0xffff8000
	s_and_saveexec_b64 s[8:9], vcc
	s_cbranch_execz .LBB895_382
; %bb.379:
	s_movk_i32 s10, 0x7f
	v_and_b32_e32 v42, 0x7f, v22
	v_cmp_ne_u32_e32 vcc, s10, v42
	v_mov_b32_e32 v24, 0x7f80
	s_and_saveexec_b64 s[10:11], vcc
	s_cbranch_execz .LBB895_381
; %bb.380:
	v_and_b32_e32 v24, 7, v22
	v_ffbh_u32_e32 v52, v24
	v_min_u32_e32 v55, 32, v52
	v_subrev_u32_e32 v52, 28, v55
	v_lshlrev_b64 v[52:53], v52, v[22:23]
	v_lshrrev_b32_e32 v54, 3, v42
	v_sub_u32_e32 v22, 29, v55
	v_and_b32_e32 v52, 7, v52
	v_cmp_gt_u32_e32 vcc, 8, v42
	v_cndmask_b32_e32 v22, v54, v22, vcc
	v_cndmask_b32_e32 v24, v24, v52, vcc
	v_lshlrev_b32_e32 v42, 16, v25
	v_bfrev_b32_e32 v52, 60
	v_lshlrev_b32_e32 v24, 20, v24
	v_and_b32_e32 v42, 0x80000000, v42
	v_lshl_add_u32 v22, v22, 23, v52
	v_or3_b32 v22, v42, v22, v24
	v_lshrrev_b32_e32 v24, 16, v22
.LBB895_381:
	s_or_b64 exec, exec, s[10:11]
.LBB895_382:
	s_or_b64 exec, exec, s[8:9]
.LBB895_383:
	s_or_b64 exec, exec, s[2:3]
	s_movk_i32 s2, 0xff
	v_and_b32_sdwa v42, v25, s2 dst_sel:DWORD dst_unused:UNUSED_PAD src0_sel:WORD_1 src1_sel:DWORD
	v_lshrrev_b32_e32 v22, 16, v25
	v_cmp_ne_u16_e32 vcc, 0, v42
	v_mov_b32_e32 v52, 0
	v_mov_b32_e32 v53, 0
	s_and_saveexec_b64 s[2:3], vcc
	s_cbranch_execz .LBB895_389
; %bb.384:
	s_movk_i32 s8, 0x80
	v_cmp_ne_u16_e32 vcc, s8, v42
	v_mov_b32_e32 v53, 0xffff8000
	s_and_saveexec_b64 s[8:9], vcc
	s_cbranch_execz .LBB895_388
; %bb.385:
	v_bfe_u32 v42, v25, 16, 7
	s_movk_i32 s10, 0x7f
	v_cmp_ne_u32_e32 vcc, s10, v42
	v_mov_b32_e32 v53, 0x7f80
	s_and_saveexec_b64 s[10:11], vcc
	s_cbranch_execz .LBB895_387
; %bb.386:
	v_and_b32_e32 v53, 7, v22
	v_ffbh_u32_e32 v54, v53
	v_min_u32_e32 v57, 32, v54
	v_subrev_u32_e32 v54, 28, v57
	v_lshlrev_b64 v[54:55], v54, v[22:23]
	v_and_b32_e32 v54, 7, v54
	v_cmp_gt_u32_e32 vcc, 8, v42
	v_lshrrev_b32_e32 v56, 3, v42
	v_sub_u32_e32 v22, 29, v57
	v_cndmask_b32_e32 v42, v53, v54, vcc
	v_mov_b32_e32 v53, 24
	v_cndmask_b32_e32 v22, v56, v22, vcc
	v_lshlrev_b32_sdwa v53, v53, v25 dst_sel:DWORD dst_unused:UNUSED_PAD src0_sel:DWORD src1_sel:WORD_1
	v_bfrev_b32_e32 v54, 60
	v_lshlrev_b32_e32 v42, 20, v42
	v_and_b32_e32 v53, 0x80000000, v53
	v_lshl_add_u32 v22, v22, 23, v54
	v_or3_b32 v22, v53, v22, v42
	v_lshrrev_b32_e32 v53, 16, v22
.LBB895_387:
	s_or_b64 exec, exec, s[10:11]
.LBB895_388:
	s_or_b64 exec, exec, s[8:9]
.LBB895_389:
	s_or_b64 exec, exec, s[2:3]
	s_mov_b32 s2, 0xffffff
	v_and_b32_e32 v42, 63, v0
	v_cmp_lt_u32_e32 vcc, s2, v25
	s_and_saveexec_b64 s[2:3], vcc
	s_cbranch_execz .LBB895_395
; %bb.390:
	v_lshrrev_b32_e32 v22, 24, v25
	s_movk_i32 s8, 0x80
	v_cmp_ne_u32_e32 vcc, s8, v22
	v_mov_b32_e32 v52, 0xffff8000
	s_and_saveexec_b64 s[8:9], vcc
	s_cbranch_execz .LBB895_394
; %bb.391:
	v_bfe_u32 v25, v25, 24, 7
	s_movk_i32 s10, 0x7f
	v_cmp_ne_u32_e32 vcc, s10, v25
	v_mov_b32_e32 v52, 0x7f80
	s_and_saveexec_b64 s[10:11], vcc
	s_cbranch_execz .LBB895_393
; %bb.392:
	v_and_b32_e32 v52, 7, v22
	v_ffbh_u32_e32 v54, v52
	v_min_u32_e32 v57, 32, v54
	v_subrev_u32_e32 v54, 28, v57
	v_lshlrev_b64 v[54:55], v54, v[22:23]
	v_lshrrev_b32_e32 v56, 3, v25
	v_sub_u32_e32 v55, 29, v57
	v_and_b32_e32 v54, 7, v54
	v_cmp_gt_u32_e32 vcc, 8, v25
	v_cndmask_b32_e32 v25, v56, v55, vcc
	v_cndmask_b32_e32 v52, v52, v54, vcc
	v_lshlrev_b32_e32 v22, 24, v22
	v_bfrev_b32_e32 v54, 60
	v_lshlrev_b32_e32 v52, 20, v52
	v_and_b32_e32 v22, 0x80000000, v22
	v_lshl_add_u32 v25, v25, 23, v54
	v_or3_b32 v22, v22, v25, v52
	v_lshrrev_b32_e32 v52, 16, v22
.LBB895_393:
	s_or_b64 exec, exec, s[10:11]
.LBB895_394:
	s_or_b64 exec, exec, s[8:9]
.LBB895_395:
	s_or_b64 exec, exec, s[2:3]
	s_mov_b32 s3, 0x5040100
	v_perm_b32 v45, v44, v45, s3
	v_perm_b32 v44, v23, v43, s3
	s_load_dword s2, s[4:5], 0x1c
	s_mov_b32 s46, 0xff7fffff
	s_waitcnt lgkmcnt(0)
	v_mfma_f32_16x16x16bf16_1k v[26:29], v[44:45], v[18:19], v[26:29]
	v_perm_b32 v19, v52, v53, s3
	v_perm_b32 v18, v24, v51, s3
	v_and_b32_e32 v24, 0xc0, v0
	v_mov_b32_e32 v22, s2
	v_add_u32_e32 v24, s20, v24
	v_mul_f32_e32 v54, s12, v22
	v_lshl_or_b32 v43, v1, 2, v24
	v_mfma_f32_16x16x16bf16_1k v[18:21], v[18:19], v[20:21], v[26:29]
	v_pk_mul_f32 v[22:23], v[54:55], v[36:37] op_sel_hi:[0,1]
	v_pk_mul_f32 v[36:37], v[54:55], v[40:41] op_sel_hi:[0,1]
	v_pk_mul_f32 v[40:41], v[54:55], v[32:33] op_sel_hi:[0,1]
	v_pk_mul_f32 v[30:31], v[54:55], v[30:31] op_sel_hi:[0,1]
	v_mov_b32_e32 v44, 0xff7fffff
	v_cmp_gt_i32_e64 s[26:27], s33, v43
	v_pk_mul_f32 v[38:39], v[54:55], v[38:39] op_sel_hi:[0,1]
	s_nop 3
	v_pk_mul_f32 v[32:33], v[54:55], v[18:19] op_sel_hi:[0,1]
	v_or_b32_e32 v19, 1, v43
	v_cmp_gt_i32_e64 s[28:29], s33, v19
	v_cndmask_b32_e64 v18, v44, v30, s[26:27]
	v_cndmask_b32_e64 v19, v44, v31, s[28:29]
	v_pk_mul_f32 v[24:25], v[54:55], v[20:21] op_sel_hi:[0,1]
	v_max3_f32 v18, v18, s46, v19
	v_or_b32_e32 v19, 2, v43
	v_or_b32_e32 v20, 3, v43
	v_cmp_gt_i32_e64 s[30:31], s33, v19
	v_cmp_gt_i32_e64 s[34:35], s33, v20
	v_cndmask_b32_e64 v19, v44, v40, s[30:31]
	v_cndmask_b32_e64 v20, v44, v41, s[34:35]
	v_max3_f32 v18, v18, v19, v20
	v_or_b32_e32 v19, 16, v43
	v_or_b32_e32 v20, 17, v43
	v_cmp_gt_i32_e64 s[36:37], s33, v19
	v_cmp_gt_i32_e64 s[38:39], s33, v20
	v_cndmask_b32_e64 v19, v44, v38, s[36:37]
	v_cndmask_b32_e64 v20, v44, v39, s[38:39]
	;; [unrolled: 7-line block ×3, first 2 shown]
	v_max3_f32 v18, v18, v19, v20
	v_or_b32_e32 v19, 32, v43
	v_or_b32_e32 v20, 33, v43
	v_pk_mul_f32 v[34:35], v[54:55], v[34:35] op_sel_hi:[0,1]
	v_cmp_gt_i32_e64 s[16:17], s33, v19
	v_cmp_gt_i32_e64 s[18:19], s33, v20
	v_cndmask_b32_e64 v19, v44, v34, s[16:17]
	v_cndmask_b32_e64 v20, v44, v35, s[18:19]
	v_max3_f32 v18, v18, v19, v20
	v_or_b32_e32 v19, 34, v43
	v_or_b32_e32 v20, 35, v43
	v_cmp_gt_i32_e64 s[12:13], s33, v19
	v_cmp_gt_i32_e64 s[14:15], s33, v20
	v_cndmask_b32_e64 v19, v44, v22, s[12:13]
	v_cndmask_b32_e64 v20, v44, v23, s[14:15]
	v_max3_f32 v18, v18, v19, v20
	v_or_b32_e32 v19, 48, v43
	v_or_b32_e32 v20, 49, v43
	;; [unrolled: 7-line block ×3, first 2 shown]
	v_cmp_gt_i32_e32 vcc, s33, v19
	v_cmp_gt_i32_e64 s[2:3], s33, v20
	v_cndmask_b32_e32 v19, v44, v24, vcc
	v_cndmask_b32_e64 v20, v44, v25, s[2:3]
	v_max3_f32 v18, v18, v19, v20
	v_mbcnt_lo_u32_b32 v19, -1, 0
	v_mbcnt_hi_u32_b32 v19, -1, v19
	v_and_b32_e32 v20, 64, v19
	v_add_u32_e32 v20, 64, v20
	v_xor_b32_e32 v21, 32, v19
	v_cmp_lt_i32_e64 s[40:41], v21, v20
	v_cndmask_b32_e64 v21, v19, v21, s[40:41]
	v_lshlrev_b32_e32 v44, 2, v21
	ds_bpermute_b32 v21, v44, v18
	s_barrier
	s_waitcnt lgkmcnt(0)
	v_max_f32_e32 v21, v21, v21
	v_max_f32_e32 v18, v18, v21
	v_xor_b32_e32 v21, 16, v19
	v_cmp_lt_i32_e64 s[40:41], v21, v20
	v_cndmask_b32_e64 v19, v19, v21, s[40:41]
	v_lshlrev_b32_e32 v45, 2, v19
	ds_bpermute_b32 v19, v45, v18
	s_waitcnt lgkmcnt(0)
	v_max_f32_e32 v19, v19, v19
	v_max_f32_e32 v43, v18, v19
	v_sub_f32_e32 v21, v40, v43
	v_sub_f32_e32 v26, v41, v43
	v_mul_f32_e32 v21, 0x3fb8aa3b, v21
	v_mul_f32_e32 v26, 0x3fb8aa3b, v26
	v_sub_f32_e32 v18, v30, v43
	v_exp_f32_e32 v21, v21
	v_exp_f32_e32 v26, v26
	v_mul_f32_e32 v18, 0x3fb8aa3b, v18
	v_sub_f32_e32 v19, v31, v43
	v_exp_f32_e32 v18, v18
	v_mul_f32_e32 v19, 0x3fb8aa3b, v19
	v_exp_f32_e32 v19, v19
	v_cndmask_b32_e64 v28, 0, v21, s[30:31]
	v_cndmask_b32_e64 v29, 0, v26, s[34:35]
	v_sub_f32_e32 v21, v38, v43
	v_sub_f32_e32 v26, v39, v43
	v_mul_f32_e32 v21, 0x3fb8aa3b, v21
	v_mul_f32_e32 v26, 0x3fb8aa3b, v26
	v_cndmask_b32_e64 v18, 0, v18, s[26:27]
	v_exp_f32_e32 v21, v21
	v_exp_f32_e32 v26, v26
	v_add_f32_e32 v20, 0, v18
	v_cndmask_b32_e64 v19, 0, v19, s[28:29]
	v_add_f32_e32 v20, v20, v19
	v_add_f32_e32 v20, v20, v28
	;; [unrolled: 1-line block ×3, first 2 shown]
	v_cndmask_b32_e64 v20, 0, v21, s[36:37]
	v_cndmask_b32_e64 v21, 0, v26, s[38:39]
	v_sub_f32_e32 v26, v36, v43
	v_mul_f32_e32 v26, 0x3fb8aa3b, v26
	v_exp_f32_e32 v26, v26
	v_sub_f32_e32 v30, v37, v43
	v_add_f32_e32 v27, v27, v20
	v_mul_f32_e32 v30, 0x3fb8aa3b, v30
	v_exp_f32_e32 v31, v30
	v_add_f32_e32 v27, v27, v21
	v_cndmask_b32_e64 v30, 0, v26, s[20:21]
	v_add_f32_e32 v26, v27, v30
	v_sub_f32_e32 v27, v34, v43
	v_mul_f32_e32 v27, 0x3fb8aa3b, v27
	v_sub_f32_e32 v34, v35, v43
	v_exp_f32_e32 v27, v27
	v_mul_f32_e32 v34, 0x3fb8aa3b, v34
	v_sub_f32_e32 v22, v22, v43
	v_exp_f32_e32 v34, v34
	;; [unrolled: 3-line block ×3, first 2 shown]
	v_mul_f32_e32 v23, 0x3fb8aa3b, v23
	v_cndmask_b32_e64 v31, 0, v31, s[22:23]
	v_exp_f32_e32 v23, v23
	v_add_f32_e32 v35, v26, v31
	v_cndmask_b32_e64 v26, 0, v27, s[16:17]
	v_add_f32_e32 v35, v35, v26
	v_cndmask_b32_e64 v27, 0, v34, s[18:19]
	;; [unrolled: 2-line block ×4, first 2 shown]
	v_sub_f32_e32 v23, v32, v43
	v_mul_f32_e32 v23, 0x3fb8aa3b, v23
	v_sub_f32_e32 v32, v33, v43
	v_exp_f32_e32 v23, v23
	v_mul_f32_e32 v32, 0x3fb8aa3b, v32
	v_sub_f32_e32 v24, v24, v43
	v_exp_f32_e32 v32, v32
	;; [unrolled: 3-line block ×3, first 2 shown]
	v_mul_f32_e32 v25, 0x3fb8aa3b, v25
	v_exp_f32_e32 v25, v25
	v_add_f32_e32 v33, v22, v35
	v_cndmask_b32_e64 v22, 0, v23, s[8:9]
	v_add_f32_e32 v33, v33, v22
	v_cndmask_b32_e64 v23, 0, v32, s[10:11]
	v_add_f32_e32 v32, v33, v23
	v_cndmask_b32_e32 v24, 0, v24, vcc
	v_add_f32_e32 v32, v32, v24
	v_cndmask_b32_e64 v25, 0, v25, s[2:3]
	v_add_f32_e32 v32, v32, v25
	ds_bpermute_b32 v33, v44, v32
	v_cmp_gt_u32_e32 vcc, 16, v42
	s_waitcnt lgkmcnt(0)
	v_add_f32_e32 v32, v32, v33
	ds_bpermute_b32 v36, v45, v32
	v_lshlrev_b32_e32 v33, 2, v50
	s_and_saveexec_b64 s[2:3], vcc
	s_cbranch_execz .LBB895_397
; %bb.396:
	s_waitcnt lgkmcnt(0)
	v_add_f32_e32 v32, v32, v36
	v_lshl_or_b32 v36, v49, 6, v33
	ds_write2st64_b32 v36, v43, v32 offset1:1
.LBB895_397:
	s_or_b64 exec, exec, s[2:3]
	s_waitcnt lgkmcnt(0)
	s_barrier
	ds_read2_b32 v[36:37], v33 offset1:16
	ds_read2_b32 v[38:39], v33 offset0:32 offset1:48
	ds_read2_b32 v[40:41], v33 offset0:64 offset1:80
	s_lshl_b32 s12, s45, 1
	s_waitcnt lgkmcnt(2)
	v_max3_f32 v32, v36, s46, v37
	s_waitcnt lgkmcnt(1)
	v_max3_f32 v32, v32, v38, v39
	v_sub_f32_e32 v36, v36, v32
	v_mul_f32_e32 v36, 0x3fb8aa3b, v36
	v_exp_f32_e32 v43, v36
	v_sub_f32_e32 v36, v37, v32
	v_mul_f32_e32 v36, 0x3fb8aa3b, v36
	v_exp_f32_e32 v44, v36
	;; [unrolled: 3-line block ×3, first 2 shown]
	ds_read2_b32 v[36:37], v33 offset0:96 offset1:112
	v_sub_f32_e32 v33, v39, v32
	v_mul_f32_e32 v33, 0x3fb8aa3b, v33
	v_exp_f32_e32 v39, v33
	s_waitcnt lgkmcnt(1)
	v_fma_f32 v33, v43, v40, 0
	v_fmac_f32_e32 v33, v44, v41
	s_waitcnt lgkmcnt(0)
	v_fmac_f32_e32 v33, v38, v36
	v_fmac_f32_e32 v33, v39, v37
	v_add_f32_e32 v36, 0x358637bd, v33
	v_div_scale_f32 v37, s[2:3], v36, v36, 1.0
	v_rcp_f32_e32 v40, v37
	s_movk_i32 s2, 0x7fff
	s_mov_b32 s3, 0x7060302
	v_fma_f32 v41, -v37, v40, 1.0
	v_fmac_f32_e32 v40, v41, v40
	v_div_scale_f32 v41, vcc, 1.0, v36, 1.0
	v_mul_f32_e32 v45, v41, v40
	v_fma_f32 v50, -v37, v45, v41
	v_fmac_f32_e32 v45, v50, v40
	v_fma_f32 v37, -v37, v45, v41
	v_div_fmas_f32 v37, v37, v40, v45
	v_cmp_eq_u32_e32 vcc, 1, v49
	v_div_fixup_f32 v36, v37, v36, 1.0
	v_cndmask_b32_e32 v37, v43, v44, vcc
	v_cmp_eq_u32_e32 vcc, 2, v49
	v_cndmask_b32_e32 v37, v37, v38, vcc
	v_cmp_eq_u32_e32 vcc, 3, v49
	v_cndmask_b32_e32 v37, v37, v39, vcc
	v_mul_f32_e32 v36, v37, v36
	v_pk_mul_f32 v[18:19], v[36:37], v[18:19] op_sel_hi:[0,1]
	v_pk_mul_f32 v[28:29], v[36:37], v[28:29] op_sel_hi:[0,1]
	v_bfe_u32 v37, v19, 16, 1
	v_bfe_u32 v38, v18, 16, 1
	v_add3_u32 v18, v18, v38, s2
	v_add3_u32 v19, v19, v37, s2
	v_perm_b32 v18, v19, v18, s3
	v_bfe_u32 v19, v29, 16, 1
	v_bfe_u32 v37, v28, 16, 1
	v_add3_u32 v28, v28, v37, s2
	v_add3_u32 v19, v29, v19, s2
	v_perm_b32 v19, v19, v28, s3
	v_lshlrev_b32_e32 v28, 3, v1
	v_lshlrev_b32_e32 v29, 11, v49
	v_pk_mul_f32 v[20:21], v[36:37], v[20:21] op_sel_hi:[0,1]
	v_or3_b32 v28, v29, v48, v28
	v_pk_mul_f32 v[30:31], v[36:37], v[30:31] op_sel_hi:[0,1]
	v_bfe_u32 v29, v21, 16, 1
	v_bfe_u32 v37, v20, 16, 1
	v_add3_u32 v20, v20, v37, s2
	v_add3_u32 v21, v21, v29, s2
	v_perm_b32 v20, v21, v20, s3
	v_bfe_u32 v21, v31, 16, 1
	v_bfe_u32 v29, v30, 16, 1
	v_add3_u32 v29, v30, v29, s2
	v_add3_u32 v21, v31, v21, s2
	v_perm_b32 v21, v21, v29, s3
	s_barrier
	ds_write2st64_b64 v28, v[18:19], v[20:21] offset1:1
	v_pk_mul_f32 v[20:21], v[36:37], v[26:27] op_sel_hi:[0,1]
	v_bfe_u32 v26, v21, 16, 1
	v_bfe_u32 v27, v20, 16, 1
	v_pk_mul_f32 v[18:19], v[36:37], v[34:35] op_sel_hi:[0,1]
	v_add3_u32 v20, v20, v27, s2
	v_add3_u32 v21, v21, v26, s2
	v_perm_b32 v20, v21, v20, s3
	v_bfe_u32 v21, v19, 16, 1
	v_bfe_u32 v26, v18, 16, 1
	v_add3_u32 v18, v18, v26, s2
	v_add3_u32 v19, v19, v21, s2
	v_pk_mul_f32 v[22:23], v[36:37], v[22:23] op_sel_hi:[0,1]
	v_perm_b32 v21, v19, v18, s3
	v_pk_mul_f32 v[18:19], v[36:37], v[24:25] op_sel_hi:[0,1]
	v_bfe_u32 v24, v23, 16, 1
	v_bfe_u32 v25, v22, 16, 1
	v_add3_u32 v22, v22, v25, s2
	v_add3_u32 v23, v23, v24, s2
	v_perm_b32 v22, v23, v22, s3
	v_bfe_u32 v23, v19, 16, 1
	v_bfe_u32 v24, v18, 16, 1
	v_add3_u32 v18, v18, v24, s2
	v_add3_u32 v19, v19, v23, s2
	v_perm_b32 v23, v19, v18, s3
	v_cmp_gt_u32_e32 vcc, 2, v0
	ds_write2st64_b64 v28, v[20:21], v[22:23] offset0:2 offset1:3
	s_and_saveexec_b64 s[2:3], vcc
	s_cbranch_execz .LBB895_399
; %bb.398:
	v_or_b32_e32 v18, s25, v0
	v_mov_b32_e32 v19, 0
	v_mov_b32_e32 v20, s12
	v_mad_u64_u32 v[20:21], s[14:15], s6, v20, v[18:19]
	v_mov_b32_e32 v18, s24
	s_load_dwordx4 s[8:11], s[4:5], 0x58
	s_mul_i32 s7, s7, s12
	v_mad_u64_u32 v[18:19], s[14:15], v20, s44, v[18:19]
	v_add_u32_e32 v21, s7, v21
	v_mov_b32_e32 v20, v19
	v_mad_u64_u32 v[20:21], s[14:15], v21, s44, v[20:21]
	v_mov_b32_e32 v19, v20
	v_lshlrev_b64 v[18:19], 2, v[18:19]
	s_waitcnt lgkmcnt(0)
	v_mov_b32_e32 v21, s11
	v_add_co_u32_e32 v20, vcc, s10, v18
	v_addc_co_u32_e32 v21, vcc, v21, v19, vcc
	global_store_dword v[20:21], v32, off
	v_mov_b32_e32 v20, s9
	v_add_co_u32_e32 v18, vcc, s8, v18
	v_addc_co_u32_e32 v19, vcc, v20, v19, vcc
	global_store_dword v[18:19], v33, off
.LBB895_399:
	s_or_b64 exec, exec, s[2:3]
	v_mov_b32_e32 v19, 0
	s_waitcnt vmcnt(3)
	v_cmp_ne_u16_sdwa s[8:9], v14, v19 src0_sel:BYTE_0 src1_sel:DWORD
	v_mov_b32_e32 v20, 0
	s_waitcnt lgkmcnt(0)
	s_barrier
	s_and_saveexec_b64 s[2:3], s[8:9]
	s_cbranch_execz .LBB895_405
; %bb.400:
	s_movk_i32 s7, 0x80
	v_cmp_ne_u16_sdwa s[10:11], v14, s7 src0_sel:BYTE_0 src1_sel:DWORD
	v_mov_b32_e32 v20, 0xffff8000
	s_and_saveexec_b64 s[8:9], s[10:11]
	s_cbranch_execz .LBB895_404
; %bb.401:
	s_movk_i32 s7, 0x7f
	v_and_b32_e32 v18, 0x7f, v14
	v_cmp_ne_u32_e32 vcc, s7, v18
	v_mov_b32_e32 v20, 0x7f80
	s_and_saveexec_b64 s[10:11], vcc
	s_cbranch_execz .LBB895_403
; %bb.402:
	v_and_b32_e32 v22, 7, v14
	v_ffbh_u32_e32 v20, v22
	v_min_u32_e32 v24, 32, v20
	v_subrev_u32_e32 v20, 28, v24
	v_lshlrev_b64 v[20:21], v20, v[14:15]
	v_lshrrev_b32_e32 v23, 3, v18
	v_sub_u32_e32 v21, 29, v24
	v_and_b32_e32 v20, 7, v20
	v_cmp_gt_u32_e32 vcc, 8, v18
	v_cndmask_b32_e32 v18, v23, v21, vcc
	v_cndmask_b32_e32 v20, v22, v20, vcc
	v_lshlrev_b32_e32 v21, 24, v14
	v_bfrev_b32_e32 v22, 60
	v_lshlrev_b32_e32 v20, 20, v20
	v_and_b32_e32 v21, 0x80000000, v21
	v_lshl_add_u32 v18, v18, 23, v22
	v_or3_b32 v18, v21, v18, v20
	v_lshrrev_b32_e32 v20, 16, v18
.LBB895_403:
	s_or_b64 exec, exec, s[10:11]
.LBB895_404:
	s_or_b64 exec, exec, s[8:9]
.LBB895_405:
	s_or_b64 exec, exec, s[2:3]
	v_lshrrev_b16_e32 v18, 8, v14
	v_cmp_ne_u16_e32 vcc, 0, v18
	s_and_saveexec_b64 s[2:3], vcc
	s_cbranch_execz .LBB895_411
; %bb.406:
	s_movk_i32 s7, 0x80
	v_cmp_ne_u16_e32 vcc, s7, v18
	v_mov_b32_e32 v19, 0xffff8000
	s_and_saveexec_b64 s[8:9], vcc
	s_cbranch_execz .LBB895_410
; %bb.407:
	s_movk_i32 s7, 0x7f
	v_and_b32_e32 v21, 0x7f, v18
	v_cmp_ne_u32_e32 vcc, s7, v21
	v_mov_b32_e32 v19, 0x7f80
	s_and_saveexec_b64 s[10:11], vcc
	s_cbranch_execz .LBB895_409
; %bb.408:
	v_and_b32_e32 v22, 7, v18
	v_ffbh_u32_e32 v19, v22
	v_min_u32_e32 v24, 32, v19
	v_subrev_u32_e32 v19, 28, v24
	v_lshlrev_b64 v[18:19], v19, v[18:19]
	v_lshrrev_b32_e32 v23, 3, v21
	v_sub_u32_e32 v19, 29, v24
	v_and_b32_e32 v18, 7, v18
	v_cmp_gt_u32_e32 vcc, 8, v21
	v_cndmask_b32_e32 v19, v23, v19, vcc
	v_cndmask_b32_e32 v18, v22, v18, vcc
	v_lshlrev_b32_e32 v21, 16, v14
	v_bfrev_b32_e32 v22, 60
	v_lshlrev_b32_e32 v18, 20, v18
	v_and_b32_e32 v21, 0x80000000, v21
	v_lshl_add_u32 v19, v19, 23, v22
	v_or3_b32 v18, v21, v19, v18
	v_lshrrev_b32_e32 v19, 16, v18
.LBB895_409:
	s_or_b64 exec, exec, s[10:11]
.LBB895_410:
	s_or_b64 exec, exec, s[8:9]
.LBB895_411:
	s_or_b64 exec, exec, s[2:3]
	s_movk_i32 s2, 0xff
	v_and_b32_sdwa v23, v14, s2 dst_sel:DWORD dst_unused:UNUSED_PAD src0_sel:WORD_1 src1_sel:DWORD
	v_lshrrev_b32_e32 v18, 16, v14
	v_cmp_ne_u16_e32 vcc, 0, v23
	v_mov_b32_e32 v21, 0
	v_mov_b32_e32 v22, 0
	s_and_saveexec_b64 s[2:3], vcc
	s_cbranch_execz .LBB895_417
; %bb.412:
	s_movk_i32 s7, 0x80
	v_cmp_ne_u16_e32 vcc, s7, v23
	v_mov_b32_e32 v22, 0xffff8000
	s_and_saveexec_b64 s[8:9], vcc
	s_cbranch_execz .LBB895_416
; %bb.413:
	v_bfe_u32 v23, v14, 16, 7
	s_movk_i32 s7, 0x7f
	v_cmp_ne_u32_e32 vcc, s7, v23
	v_mov_b32_e32 v22, 0x7f80
	s_and_saveexec_b64 s[10:11], vcc
	s_cbranch_execz .LBB895_415
; %bb.414:
	v_and_b32_e32 v22, 7, v18
	v_ffbh_u32_e32 v24, v22
	v_min_u32_e32 v27, 32, v24
	v_subrev_u32_e32 v24, 28, v27
	v_lshlrev_b64 v[24:25], v24, v[18:19]
	v_lshrrev_b32_e32 v26, 3, v23
	v_sub_u32_e32 v18, 29, v27
	v_and_b32_e32 v24, 7, v24
	v_cmp_gt_u32_e32 vcc, 8, v23
	v_mov_b32_e32 v23, 24
	v_cndmask_b32_e32 v18, v26, v18, vcc
	v_cndmask_b32_e32 v22, v22, v24, vcc
	v_lshlrev_b32_sdwa v23, v23, v14 dst_sel:DWORD dst_unused:UNUSED_PAD src0_sel:DWORD src1_sel:WORD_1
	v_bfrev_b32_e32 v24, 60
	v_lshlrev_b32_e32 v22, 20, v22
	v_and_b32_e32 v23, 0x80000000, v23
	v_lshl_add_u32 v18, v18, 23, v24
	v_or3_b32 v18, v23, v18, v22
	v_lshrrev_b32_e32 v22, 16, v18
.LBB895_415:
	s_or_b64 exec, exec, s[10:11]
.LBB895_416:
	s_or_b64 exec, exec, s[8:9]
.LBB895_417:
	s_or_b64 exec, exec, s[2:3]
	s_mov_b32 s2, 0xffffff
	v_cmp_lt_u32_e32 vcc, s2, v14
	s_and_saveexec_b64 s[2:3], vcc
	s_cbranch_execz .LBB895_423
; %bb.418:
	v_lshrrev_b32_e32 v18, 24, v14
	s_movk_i32 s7, 0x80
	v_cmp_ne_u32_e32 vcc, s7, v18
	v_mov_b32_e32 v21, 0xffff8000
	s_and_saveexec_b64 s[8:9], vcc
	s_cbranch_execz .LBB895_422
; %bb.419:
	v_bfe_u32 v14, v14, 24, 7
	s_movk_i32 s7, 0x7f
	v_cmp_ne_u32_e32 vcc, s7, v14
	v_mov_b32_e32 v21, 0x7f80
	s_and_saveexec_b64 s[10:11], vcc
	s_cbranch_execz .LBB895_421
; %bb.420:
	v_and_b32_e32 v21, 7, v18
	v_ffbh_u32_e32 v24, v21
	v_min_u32_e32 v26, 32, v24
	v_subrev_u32_e32 v24, 28, v26
	v_lshlrev_b64 v[24:25], v24, v[18:19]
	v_lshrrev_b32_e32 v23, 3, v14
	v_sub_u32_e32 v25, 29, v26
	v_and_b32_e32 v24, 7, v24
	v_cmp_gt_u32_e32 vcc, 8, v14
	v_cndmask_b32_e32 v14, v23, v25, vcc
	v_cndmask_b32_e32 v21, v21, v24, vcc
	v_lshlrev_b32_e32 v18, 24, v18
	v_bfrev_b32_e32 v23, 60
	v_lshlrev_b32_e32 v21, 20, v21
	v_and_b32_e32 v18, 0x80000000, v18
	v_lshl_add_u32 v14, v14, 23, v23
	v_or3_b32 v14, v18, v14, v21
	v_lshrrev_b32_e32 v21, 16, v14
.LBB895_421:
	s_or_b64 exec, exec, s[10:11]
.LBB895_422:
	s_or_b64 exec, exec, s[8:9]
.LBB895_423:
	s_or_b64 exec, exec, s[2:3]
	v_mov_b32_e32 v18, 0
	v_cmp_ne_u16_sdwa s[8:9], v15, v18 src0_sel:BYTE_0 src1_sel:DWORD
	v_mov_b32_e32 v23, 0
	s_and_saveexec_b64 s[2:3], s[8:9]
	s_cbranch_execz .LBB895_429
; %bb.424:
	s_movk_i32 s7, 0x80
	v_cmp_ne_u16_sdwa s[10:11], v15, s7 src0_sel:BYTE_0 src1_sel:DWORD
	v_mov_b32_e32 v23, 0xffff8000
	s_and_saveexec_b64 s[8:9], s[10:11]
	s_cbranch_execz .LBB895_428
; %bb.425:
	s_movk_i32 s7, 0x7f
	v_and_b32_e32 v14, 0x7f, v15
	v_cmp_ne_u32_e32 vcc, s7, v14
	v_mov_b32_e32 v23, 0x7f80
	s_and_saveexec_b64 s[10:11], vcc
	s_cbranch_execz .LBB895_427
; %bb.426:
	v_and_b32_e32 v23, 7, v15
	v_ffbh_u32_e32 v25, v23
	v_min_u32_e32 v27, 32, v25
	v_mov_b32_e32 v24, v15
	v_subrev_u32_e32 v25, 28, v27
	v_lshlrev_b64 v[24:25], v25, v[24:25]
	v_lshrrev_b32_e32 v26, 3, v14
	v_sub_u32_e32 v25, 29, v27
	v_and_b32_e32 v24, 7, v24
	v_cmp_gt_u32_e32 vcc, 8, v14
	v_cndmask_b32_e32 v14, v26, v25, vcc
	v_cndmask_b32_e32 v23, v23, v24, vcc
	v_lshlrev_b32_e32 v24, 24, v15
	v_bfrev_b32_e32 v25, 60
	v_lshlrev_b32_e32 v23, 20, v23
	v_and_b32_e32 v24, 0x80000000, v24
	v_lshl_add_u32 v14, v14, 23, v25
	v_or3_b32 v14, v24, v14, v23
	v_lshrrev_b32_e32 v23, 16, v14
.LBB895_427:
	s_or_b64 exec, exec, s[10:11]
.LBB895_428:
	s_or_b64 exec, exec, s[8:9]
.LBB895_429:
	s_or_b64 exec, exec, s[2:3]
	v_lshrrev_b16_e32 v14, 8, v15
	v_cmp_ne_u16_e32 vcc, 0, v14
	s_and_saveexec_b64 s[2:3], vcc
	s_cbranch_execz .LBB895_435
; %bb.430:
	s_movk_i32 s7, 0x80
	v_cmp_ne_u16_e32 vcc, s7, v14
	v_mov_b32_e32 v18, 0xffff8000
	s_and_saveexec_b64 s[8:9], vcc
	s_cbranch_execz .LBB895_434
; %bb.431:
	s_movk_i32 s7, 0x7f
	v_and_b32_e32 v24, 0x7f, v14
	v_cmp_ne_u32_e32 vcc, s7, v24
	v_mov_b32_e32 v18, 0x7f80
	s_and_saveexec_b64 s[10:11], vcc
	s_cbranch_execz .LBB895_433
; %bb.432:
	v_and_b32_e32 v18, 7, v14
	v_ffbh_u32_e32 v26, v18
	v_min_u32_e32 v29, 32, v26
	v_subrev_u32_e32 v26, 28, v29
	v_lshlrev_b64 v[26:27], v26, v[14:15]
	v_lshrrev_b32_e32 v25, 3, v24
	v_sub_u32_e32 v14, 29, v29
	v_and_b32_e32 v26, 7, v26
	v_cmp_gt_u32_e32 vcc, 8, v24
	v_cndmask_b32_e32 v14, v25, v14, vcc
	v_cndmask_b32_e32 v18, v18, v26, vcc
	v_lshlrev_b32_e32 v24, 16, v15
	v_bfrev_b32_e32 v25, 60
	v_lshlrev_b32_e32 v18, 20, v18
	v_and_b32_e32 v24, 0x80000000, v24
	v_lshl_add_u32 v14, v14, 23, v25
	v_or3_b32 v14, v24, v14, v18
	v_lshrrev_b32_e32 v18, 16, v14
.LBB895_433:
	s_or_b64 exec, exec, s[10:11]
.LBB895_434:
	s_or_b64 exec, exec, s[8:9]
.LBB895_435:
	s_or_b64 exec, exec, s[2:3]
	s_movk_i32 s2, 0xff
	v_and_b32_sdwa v26, v15, s2 dst_sel:DWORD dst_unused:UNUSED_PAD src0_sel:WORD_1 src1_sel:DWORD
	v_lshrrev_b32_e32 v14, 16, v15
	v_cmp_ne_u16_e32 vcc, 0, v26
	v_mov_b32_e32 v24, 0
	v_mov_b32_e32 v25, 0
	s_and_saveexec_b64 s[2:3], vcc
	s_cbranch_execz .LBB895_441
; %bb.436:
	s_movk_i32 s7, 0x80
	v_cmp_ne_u16_e32 vcc, s7, v26
	v_mov_b32_e32 v25, 0xffff8000
	s_and_saveexec_b64 s[8:9], vcc
	s_cbranch_execz .LBB895_440
; %bb.437:
	v_bfe_u32 v26, v15, 16, 7
	s_movk_i32 s7, 0x7f
	v_cmp_ne_u32_e32 vcc, s7, v26
	v_mov_b32_e32 v25, 0x7f80
	s_and_saveexec_b64 s[10:11], vcc
	s_cbranch_execz .LBB895_439
; %bb.438:
	v_and_b32_e32 v25, 7, v14
	v_ffbh_u32_e32 v29, v25
	v_min_u32_e32 v29, 32, v29
	v_subrev_u32_e32 v30, 28, v29
	v_lshlrev_b64 v[30:31], v30, v[14:15]
	v_lshrrev_b32_e32 v27, 3, v26
	v_sub_u32_e32 v14, 29, v29
	v_and_b32_e32 v29, 7, v30
	v_cmp_gt_u32_e32 vcc, 8, v26
	v_mov_b32_e32 v26, 24
	v_cndmask_b32_e32 v14, v27, v14, vcc
	v_cndmask_b32_e32 v25, v25, v29, vcc
	v_lshlrev_b32_sdwa v26, v26, v15 dst_sel:DWORD dst_unused:UNUSED_PAD src0_sel:DWORD src1_sel:WORD_1
	v_bfrev_b32_e32 v27, 60
	v_lshlrev_b32_e32 v25, 20, v25
	v_and_b32_e32 v26, 0x80000000, v26
	v_lshl_add_u32 v14, v14, 23, v27
	v_or3_b32 v14, v26, v14, v25
	v_lshrrev_b32_e32 v25, 16, v14
.LBB895_439:
	s_or_b64 exec, exec, s[10:11]
.LBB895_440:
	s_or_b64 exec, exec, s[8:9]
.LBB895_441:
	s_or_b64 exec, exec, s[2:3]
	s_mov_b32 s2, 0xffffff
	v_cmp_lt_u32_e32 vcc, s2, v15
	s_and_saveexec_b64 s[2:3], vcc
	s_cbranch_execz .LBB895_447
; %bb.442:
	v_lshrrev_b32_e32 v14, 24, v15
	s_movk_i32 s7, 0x80
	v_cmp_ne_u32_e32 vcc, s7, v14
	v_mov_b32_e32 v24, 0xffff8000
	s_and_saveexec_b64 s[8:9], vcc
	s_cbranch_execz .LBB895_446
; %bb.443:
	v_bfe_u32 v15, v15, 24, 7
	s_movk_i32 s7, 0x7f
	v_cmp_ne_u32_e32 vcc, s7, v15
	v_mov_b32_e32 v24, 0x7f80
	s_and_saveexec_b64 s[10:11], vcc
	s_cbranch_execz .LBB895_445
; %bb.444:
	v_and_b32_e32 v24, 7, v14
	v_ffbh_u32_e32 v26, v24
	v_min_u32_e32 v30, 32, v26
	v_subrev_u32_e32 v26, 28, v30
	v_lshlrev_b64 v[26:27], v26, v[14:15]
	v_lshrrev_b32_e32 v29, 3, v15
	v_sub_u32_e32 v27, 29, v30
	v_and_b32_e32 v26, 7, v26
	v_cmp_gt_u32_e32 vcc, 8, v15
	v_cndmask_b32_e32 v15, v29, v27, vcc
	v_cndmask_b32_e32 v24, v24, v26, vcc
	v_lshlrev_b32_e32 v14, 24, v14
	v_bfrev_b32_e32 v26, 60
	v_lshlrev_b32_e32 v24, 20, v24
	v_and_b32_e32 v14, 0x80000000, v14
	v_lshl_add_u32 v15, v15, 23, v26
	v_or3_b32 v14, v14, v15, v24
	v_lshrrev_b32_e32 v24, 16, v14
.LBB895_445:
	s_or_b64 exec, exec, s[10:11]
.LBB895_446:
	s_or_b64 exec, exec, s[8:9]
.LBB895_447:
	s_or_b64 exec, exec, s[2:3]
	s_mov_b32 s2, 0x5040100
	v_perm_b32 v15, v21, v22, s2
	v_lshl_or_b32 v22, v1, 9, v48
	v_perm_b32 v14, v19, v20, s2
	ds_read_b128 v[30:33], v22
	v_perm_b32 v19, v24, v25, s2
	v_perm_b32 v18, v18, v23, s2
	s_waitcnt lgkmcnt(0)
	v_mfma_f32_16x16x16bf16_1k v[34:37], v[14:15], v[30:31], 0
	v_mov_b32_e32 v15, 0
	v_cmp_ne_u16_sdwa s[8:9], v16, v15 src0_sel:BYTE_0 src1_sel:DWORD
	v_mov_b32_e32 v23, 0
	v_mfma_f32_16x16x16bf16_1k v[18:21], v[18:19], v[32:33], v[34:37]
	s_and_saveexec_b64 s[2:3], s[8:9]
	s_cbranch_execz .LBB895_453
; %bb.448:
	s_movk_i32 s7, 0x80
	v_cmp_ne_u16_sdwa s[10:11], v16, s7 src0_sel:BYTE_0 src1_sel:DWORD
	v_mov_b32_e32 v23, 0xffff8000
	s_and_saveexec_b64 s[8:9], s[10:11]
	s_cbranch_execz .LBB895_452
; %bb.449:
	s_movk_i32 s7, 0x7f
	v_and_b32_e32 v14, 0x7f, v16
	v_cmp_ne_u32_e32 vcc, s7, v14
	v_mov_b32_e32 v23, 0x7f80
	s_and_saveexec_b64 s[10:11], vcc
	s_cbranch_execz .LBB895_451
; %bb.450:
	v_and_b32_e32 v23, 7, v16
	v_ffbh_u32_e32 v24, v23
	v_min_u32_e32 v27, 32, v24
	v_subrev_u32_e32 v24, 28, v27
	v_lshlrev_b64 v[24:25], v24, v[16:17]
	v_lshrrev_b32_e32 v26, 3, v14
	v_sub_u32_e32 v25, 29, v27
	v_and_b32_e32 v24, 7, v24
	v_cmp_gt_u32_e32 vcc, 8, v14
	v_cndmask_b32_e32 v14, v26, v25, vcc
	v_cndmask_b32_e32 v23, v23, v24, vcc
	v_lshlrev_b32_e32 v24, 24, v16
	v_bfrev_b32_e32 v25, 60
	v_lshlrev_b32_e32 v23, 20, v23
	v_and_b32_e32 v24, 0x80000000, v24
	v_lshl_add_u32 v14, v14, 23, v25
	v_or3_b32 v14, v24, v14, v23
	v_lshrrev_b32_e32 v23, 16, v14
.LBB895_451:
	s_or_b64 exec, exec, s[10:11]
.LBB895_452:
	s_or_b64 exec, exec, s[8:9]
.LBB895_453:
	s_or_b64 exec, exec, s[2:3]
	v_lshrrev_b16_e32 v14, 8, v16
	v_cmp_ne_u16_e32 vcc, 0, v14
	s_and_saveexec_b64 s[2:3], vcc
	s_cbranch_execz .LBB895_459
; %bb.454:
	s_movk_i32 s7, 0x80
	v_cmp_ne_u16_e32 vcc, s7, v14
	v_mov_b32_e32 v15, 0xffff8000
	s_and_saveexec_b64 s[8:9], vcc
	s_cbranch_execz .LBB895_458
; %bb.455:
	s_movk_i32 s7, 0x7f
	v_and_b32_e32 v24, 0x7f, v14
	v_cmp_ne_u32_e32 vcc, s7, v24
	v_mov_b32_e32 v15, 0x7f80
	s_and_saveexec_b64 s[10:11], vcc
	s_cbranch_execz .LBB895_457
; %bb.456:
	v_and_b32_e32 v25, 7, v14
	v_ffbh_u32_e32 v15, v25
	v_min_u32_e32 v27, 32, v15
	v_subrev_u32_e32 v15, 28, v27
	v_lshlrev_b64 v[14:15], v15, v[14:15]
	v_lshrrev_b32_e32 v26, 3, v24
	v_sub_u32_e32 v15, 29, v27
	v_and_b32_e32 v14, 7, v14
	v_cmp_gt_u32_e32 vcc, 8, v24
	v_cndmask_b32_e32 v15, v26, v15, vcc
	v_cndmask_b32_e32 v14, v25, v14, vcc
	v_lshlrev_b32_e32 v24, 16, v16
	v_bfrev_b32_e32 v25, 60
	v_lshlrev_b32_e32 v14, 20, v14
	v_and_b32_e32 v24, 0x80000000, v24
	v_lshl_add_u32 v15, v15, 23, v25
	v_or3_b32 v14, v24, v15, v14
	v_lshrrev_b32_e32 v15, 16, v14
.LBB895_457:
	s_or_b64 exec, exec, s[10:11]
.LBB895_458:
	s_or_b64 exec, exec, s[8:9]
.LBB895_459:
	s_or_b64 exec, exec, s[2:3]
	s_movk_i32 s2, 0xff
	v_and_b32_sdwa v26, v16, s2 dst_sel:DWORD dst_unused:UNUSED_PAD src0_sel:WORD_1 src1_sel:DWORD
	v_lshrrev_b32_e32 v14, 16, v16
	v_cmp_ne_u16_e32 vcc, 0, v26
	v_mov_b32_e32 v24, 0
	v_mov_b32_e32 v25, 0
	s_and_saveexec_b64 s[2:3], vcc
	s_cbranch_execz .LBB895_465
; %bb.460:
	s_movk_i32 s7, 0x80
	v_cmp_ne_u16_e32 vcc, s7, v26
	v_mov_b32_e32 v25, 0xffff8000
	s_and_saveexec_b64 s[8:9], vcc
	s_cbranch_execz .LBB895_464
; %bb.461:
	v_bfe_u32 v26, v16, 16, 7
	s_movk_i32 s7, 0x7f
	v_cmp_ne_u32_e32 vcc, s7, v26
	v_mov_b32_e32 v25, 0x7f80
	s_and_saveexec_b64 s[10:11], vcc
	s_cbranch_execz .LBB895_463
; %bb.462:
	v_and_b32_e32 v25, 7, v14
	v_ffbh_u32_e32 v29, v25
	v_min_u32_e32 v29, 32, v29
	v_subrev_u32_e32 v30, 28, v29
	v_lshlrev_b64 v[30:31], v30, v[14:15]
	v_lshrrev_b32_e32 v27, 3, v26
	v_sub_u32_e32 v14, 29, v29
	v_and_b32_e32 v29, 7, v30
	v_cmp_gt_u32_e32 vcc, 8, v26
	v_mov_b32_e32 v26, 24
	v_cndmask_b32_e32 v14, v27, v14, vcc
	v_cndmask_b32_e32 v25, v25, v29, vcc
	v_lshlrev_b32_sdwa v26, v26, v16 dst_sel:DWORD dst_unused:UNUSED_PAD src0_sel:DWORD src1_sel:WORD_1
	v_bfrev_b32_e32 v27, 60
	v_lshlrev_b32_e32 v25, 20, v25
	v_and_b32_e32 v26, 0x80000000, v26
	v_lshl_add_u32 v14, v14, 23, v27
	v_or3_b32 v14, v26, v14, v25
	v_lshrrev_b32_e32 v25, 16, v14
.LBB895_463:
	s_or_b64 exec, exec, s[10:11]
.LBB895_464:
	s_or_b64 exec, exec, s[8:9]
.LBB895_465:
	s_or_b64 exec, exec, s[2:3]
	s_mov_b32 s2, 0xffffff
	v_cmp_lt_u32_e32 vcc, s2, v16
	s_and_saveexec_b64 s[2:3], vcc
	s_cbranch_execz .LBB895_471
; %bb.466:
	v_lshrrev_b32_e32 v14, 24, v16
	s_movk_i32 s7, 0x80
	v_cmp_ne_u32_e32 vcc, s7, v14
	v_mov_b32_e32 v24, 0xffff8000
	s_and_saveexec_b64 s[8:9], vcc
	s_cbranch_execz .LBB895_470
; %bb.467:
	v_bfe_u32 v16, v16, 24, 7
	s_movk_i32 s7, 0x7f
	v_cmp_ne_u32_e32 vcc, s7, v16
	v_mov_b32_e32 v24, 0x7f80
	s_and_saveexec_b64 s[10:11], vcc
	s_cbranch_execz .LBB895_469
; %bb.468:
	v_and_b32_e32 v24, 7, v14
	v_ffbh_u32_e32 v26, v24
	v_min_u32_e32 v30, 32, v26
	v_subrev_u32_e32 v26, 28, v30
	v_lshlrev_b64 v[26:27], v26, v[14:15]
	v_lshrrev_b32_e32 v29, 3, v16
	v_sub_u32_e32 v27, 29, v30
	v_and_b32_e32 v26, 7, v26
	v_cmp_gt_u32_e32 vcc, 8, v16
	v_cndmask_b32_e32 v16, v29, v27, vcc
	v_cndmask_b32_e32 v24, v24, v26, vcc
	v_lshlrev_b32_e32 v14, 24, v14
	v_bfrev_b32_e32 v26, 60
	v_lshlrev_b32_e32 v24, 20, v24
	v_and_b32_e32 v14, 0x80000000, v14
	v_lshl_add_u32 v16, v16, 23, v26
	v_or3_b32 v14, v14, v16, v24
	v_lshrrev_b32_e32 v24, 16, v14
.LBB895_469:
	s_or_b64 exec, exec, s[10:11]
.LBB895_470:
	s_or_b64 exec, exec, s[8:9]
.LBB895_471:
	s_or_b64 exec, exec, s[2:3]
	v_mov_b32_e32 v16, 0
	v_cmp_ne_u16_sdwa s[8:9], v17, v16 src0_sel:BYTE_0 src1_sel:DWORD
	v_mov_b32_e32 v26, 0
	s_and_saveexec_b64 s[2:3], s[8:9]
	s_cbranch_execz .LBB895_477
; %bb.472:
	s_movk_i32 s7, 0x80
	v_cmp_ne_u16_sdwa s[10:11], v17, s7 src0_sel:BYTE_0 src1_sel:DWORD
	v_mov_b32_e32 v26, 0xffff8000
	s_and_saveexec_b64 s[8:9], s[10:11]
	s_cbranch_execz .LBB895_476
; %bb.473:
	s_movk_i32 s7, 0x7f
	v_and_b32_e32 v14, 0x7f, v17
	v_cmp_ne_u32_e32 vcc, s7, v14
	v_mov_b32_e32 v26, 0x7f80
	s_and_saveexec_b64 s[10:11], vcc
	s_cbranch_execz .LBB895_475
; %bb.474:
	v_and_b32_e32 v29, 7, v17
	v_ffbh_u32_e32 v27, v29
	v_min_u32_e32 v31, 32, v27
	v_mov_b32_e32 v26, v17
	v_subrev_u32_e32 v27, 28, v31
	v_lshlrev_b64 v[26:27], v27, v[26:27]
	v_lshrrev_b32_e32 v30, 3, v14
	v_sub_u32_e32 v27, 29, v31
	v_and_b32_e32 v26, 7, v26
	v_cmp_gt_u32_e32 vcc, 8, v14
	v_cndmask_b32_e32 v14, v30, v27, vcc
	v_cndmask_b32_e32 v26, v29, v26, vcc
	v_lshlrev_b32_e32 v27, 24, v17
	v_bfrev_b32_e32 v29, 60
	v_lshlrev_b32_e32 v26, 20, v26
	v_and_b32_e32 v27, 0x80000000, v27
	v_lshl_add_u32 v14, v14, 23, v29
	v_or3_b32 v14, v27, v14, v26
	v_lshrrev_b32_e32 v26, 16, v14
.LBB895_475:
	s_or_b64 exec, exec, s[10:11]
.LBB895_476:
	s_or_b64 exec, exec, s[8:9]
.LBB895_477:
	s_or_b64 exec, exec, s[2:3]
	v_lshrrev_b16_e32 v14, 8, v17
	v_cmp_ne_u16_e32 vcc, 0, v14
	s_and_saveexec_b64 s[2:3], vcc
	s_cbranch_execz .LBB895_483
; %bb.478:
	s_movk_i32 s7, 0x80
	v_cmp_ne_u16_e32 vcc, s7, v14
	v_mov_b32_e32 v16, 0xffff8000
	s_and_saveexec_b64 s[8:9], vcc
	s_cbranch_execz .LBB895_482
; %bb.479:
	s_movk_i32 s7, 0x7f
	v_and_b32_e32 v27, 0x7f, v14
	v_cmp_ne_u32_e32 vcc, s7, v27
	v_mov_b32_e32 v16, 0x7f80
	s_and_saveexec_b64 s[10:11], vcc
	s_cbranch_execz .LBB895_481
; %bb.480:
	v_and_b32_e32 v16, 7, v14
	v_ffbh_u32_e32 v30, v16
	v_min_u32_e32 v32, 32, v30
	v_subrev_u32_e32 v30, 28, v32
	v_lshlrev_b64 v[30:31], v30, v[14:15]
	v_lshrrev_b32_e32 v29, 3, v27
	v_sub_u32_e32 v14, 29, v32
	v_and_b32_e32 v30, 7, v30
	v_cmp_gt_u32_e32 vcc, 8, v27
	v_cndmask_b32_e32 v14, v29, v14, vcc
	v_cndmask_b32_e32 v16, v16, v30, vcc
	v_lshlrev_b32_e32 v27, 16, v17
	v_bfrev_b32_e32 v29, 60
	v_lshlrev_b32_e32 v16, 20, v16
	v_and_b32_e32 v27, 0x80000000, v27
	v_lshl_add_u32 v14, v14, 23, v29
	v_or3_b32 v14, v27, v14, v16
	v_lshrrev_b32_e32 v16, 16, v14
.LBB895_481:
	s_or_b64 exec, exec, s[10:11]
.LBB895_482:
	s_or_b64 exec, exec, s[8:9]
.LBB895_483:
	s_or_b64 exec, exec, s[2:3]
	s_movk_i32 s2, 0xff
	v_and_b32_sdwa v30, v17, s2 dst_sel:DWORD dst_unused:UNUSED_PAD src0_sel:WORD_1 src1_sel:DWORD
	v_lshrrev_b32_e32 v14, 16, v17
	v_cmp_ne_u16_e32 vcc, 0, v30
	v_mov_b32_e32 v27, 0
	v_mov_b32_e32 v29, 0
	s_and_saveexec_b64 s[2:3], vcc
	s_cbranch_execz .LBB895_489
; %bb.484:
	s_movk_i32 s7, 0x80
	v_cmp_ne_u16_e32 vcc, s7, v30
	v_mov_b32_e32 v29, 0xffff8000
	s_and_saveexec_b64 s[8:9], vcc
	s_cbranch_execz .LBB895_488
; %bb.485:
	v_bfe_u32 v30, v17, 16, 7
	s_movk_i32 s7, 0x7f
	v_cmp_ne_u32_e32 vcc, s7, v30
	v_mov_b32_e32 v29, 0x7f80
	s_and_saveexec_b64 s[10:11], vcc
	s_cbranch_execz .LBB895_487
; %bb.486:
	v_and_b32_e32 v29, 7, v14
	v_ffbh_u32_e32 v32, v29
	v_min_u32_e32 v34, 32, v32
	v_subrev_u32_e32 v32, 28, v34
	v_lshlrev_b64 v[32:33], v32, v[14:15]
	v_lshrrev_b32_e32 v31, 3, v30
	v_sub_u32_e32 v14, 29, v34
	v_and_b32_e32 v32, 7, v32
	v_cmp_gt_u32_e32 vcc, 8, v30
	v_mov_b32_e32 v30, 24
	v_cndmask_b32_e32 v14, v31, v14, vcc
	v_cndmask_b32_e32 v29, v29, v32, vcc
	v_lshlrev_b32_sdwa v30, v30, v17 dst_sel:DWORD dst_unused:UNUSED_PAD src0_sel:DWORD src1_sel:WORD_1
	v_bfrev_b32_e32 v31, 60
	v_lshlrev_b32_e32 v29, 20, v29
	v_and_b32_e32 v30, 0x80000000, v30
	v_lshl_add_u32 v14, v14, 23, v31
	v_or3_b32 v14, v30, v14, v29
	v_lshrrev_b32_e32 v29, 16, v14
.LBB895_487:
	s_or_b64 exec, exec, s[10:11]
.LBB895_488:
	s_or_b64 exec, exec, s[8:9]
.LBB895_489:
	s_or_b64 exec, exec, s[2:3]
	s_mov_b32 s2, 0xffffff
	v_cmp_lt_u32_e32 vcc, s2, v17
	s_and_saveexec_b64 s[2:3], vcc
	s_cbranch_execz .LBB895_495
; %bb.490:
	v_lshrrev_b32_e32 v14, 24, v17
	s_movk_i32 s7, 0x80
	v_cmp_ne_u32_e32 vcc, s7, v14
	v_mov_b32_e32 v27, 0xffff8000
	s_and_saveexec_b64 s[8:9], vcc
	s_cbranch_execz .LBB895_494
; %bb.491:
	v_bfe_u32 v17, v17, 24, 7
	s_movk_i32 s7, 0x7f
	v_cmp_ne_u32_e32 vcc, s7, v17
	v_mov_b32_e32 v27, 0x7f80
	s_and_saveexec_b64 s[10:11], vcc
	s_cbranch_execz .LBB895_493
; %bb.492:
	v_and_b32_e32 v27, 7, v14
	v_ffbh_u32_e32 v30, v27
	v_min_u32_e32 v33, 32, v30
	v_subrev_u32_e32 v30, 28, v33
	v_lshlrev_b64 v[30:31], v30, v[14:15]
	v_lshrrev_b32_e32 v32, 3, v17
	v_sub_u32_e32 v31, 29, v33
	v_and_b32_e32 v30, 7, v30
	v_cmp_gt_u32_e32 vcc, 8, v17
	v_cndmask_b32_e32 v17, v32, v31, vcc
	v_cndmask_b32_e32 v27, v27, v30, vcc
	v_lshlrev_b32_e32 v14, 24, v14
	v_bfrev_b32_e32 v30, 60
	v_lshlrev_b32_e32 v27, 20, v27
	v_and_b32_e32 v14, 0x80000000, v14
	v_lshl_add_u32 v17, v17, 23, v30
	v_or3_b32 v14, v14, v17, v27
	v_lshrrev_b32_e32 v27, 16, v14
.LBB895_493:
	s_or_b64 exec, exec, s[10:11]
.LBB895_494:
	s_or_b64 exec, exec, s[8:9]
.LBB895_495:
	s_or_b64 exec, exec, s[2:3]
	s_mov_b32 s2, 0x5040100
	v_perm_b32 v25, v24, v25, s2
	v_perm_b32 v24, v15, v23, s2
	ds_read_b128 v[30:33], v22 offset:16
	v_perm_b32 v15, v27, v29, s2
	v_perm_b32 v14, v16, v26, s2
	s_waitcnt lgkmcnt(0)
	v_mfma_f32_16x16x16bf16_1k v[34:37], v[24:25], v[30:31], v[18:21]
	s_nop 6
	v_mov_b32_e32 v19, 0
	s_waitcnt vmcnt(2)
	v_cmp_ne_u16_sdwa s[8:9], v10, v19 src0_sel:BYTE_0 src1_sel:DWORD
	v_mfma_f32_16x16x16bf16_1k v[14:17], v[14:15], v[32:33], v[34:37]
	v_mov_b32_e32 v20, 0
	s_and_saveexec_b64 s[2:3], s[8:9]
	s_cbranch_execz .LBB895_501
; %bb.496:
	s_movk_i32 s7, 0x80
	v_cmp_ne_u16_sdwa s[10:11], v10, s7 src0_sel:BYTE_0 src1_sel:DWORD
	v_mov_b32_e32 v20, 0xffff8000
	s_and_saveexec_b64 s[8:9], s[10:11]
	s_cbranch_execz .LBB895_500
; %bb.497:
	s_movk_i32 s7, 0x7f
	v_and_b32_e32 v18, 0x7f, v10
	v_cmp_ne_u32_e32 vcc, s7, v18
	v_mov_b32_e32 v20, 0x7f80
	s_and_saveexec_b64 s[10:11], vcc
	s_cbranch_execz .LBB895_499
; %bb.498:
	v_and_b32_e32 v23, 7, v10
	v_ffbh_u32_e32 v20, v23
	v_min_u32_e32 v25, 32, v20
	v_subrev_u32_e32 v20, 28, v25
	v_lshlrev_b64 v[20:21], v20, v[10:11]
	v_lshrrev_b32_e32 v24, 3, v18
	v_sub_u32_e32 v21, 29, v25
	v_and_b32_e32 v20, 7, v20
	v_cmp_gt_u32_e32 vcc, 8, v18
	v_cndmask_b32_e32 v18, v24, v21, vcc
	v_cndmask_b32_e32 v20, v23, v20, vcc
	v_lshlrev_b32_e32 v21, 24, v10
	v_bfrev_b32_e32 v23, 60
	v_lshlrev_b32_e32 v20, 20, v20
	v_and_b32_e32 v21, 0x80000000, v21
	v_lshl_add_u32 v18, v18, 23, v23
	v_or3_b32 v18, v21, v18, v20
	v_lshrrev_b32_e32 v20, 16, v18
.LBB895_499:
	s_or_b64 exec, exec, s[10:11]
.LBB895_500:
	s_or_b64 exec, exec, s[8:9]
.LBB895_501:
	s_or_b64 exec, exec, s[2:3]
	v_lshrrev_b16_e32 v18, 8, v10
	v_cmp_ne_u16_e32 vcc, 0, v18
	s_and_saveexec_b64 s[2:3], vcc
	s_cbranch_execz .LBB895_507
; %bb.502:
	s_movk_i32 s7, 0x80
	v_cmp_ne_u16_e32 vcc, s7, v18
	v_mov_b32_e32 v19, 0xffff8000
	s_and_saveexec_b64 s[8:9], vcc
	s_cbranch_execz .LBB895_506
; %bb.503:
	s_movk_i32 s7, 0x7f
	v_and_b32_e32 v21, 0x7f, v18
	v_cmp_ne_u32_e32 vcc, s7, v21
	v_mov_b32_e32 v19, 0x7f80
	s_and_saveexec_b64 s[10:11], vcc
	s_cbranch_execz .LBB895_505
; %bb.504:
	v_and_b32_e32 v23, 7, v18
	v_ffbh_u32_e32 v19, v23
	v_min_u32_e32 v25, 32, v19
	v_subrev_u32_e32 v19, 28, v25
	v_lshlrev_b64 v[18:19], v19, v[18:19]
	v_lshrrev_b32_e32 v24, 3, v21
	v_sub_u32_e32 v19, 29, v25
	v_and_b32_e32 v18, 7, v18
	v_cmp_gt_u32_e32 vcc, 8, v21
	v_cndmask_b32_e32 v19, v24, v19, vcc
	v_cndmask_b32_e32 v18, v23, v18, vcc
	v_lshlrev_b32_e32 v21, 16, v10
	v_bfrev_b32_e32 v23, 60
	v_lshlrev_b32_e32 v18, 20, v18
	v_and_b32_e32 v21, 0x80000000, v21
	v_lshl_add_u32 v19, v19, 23, v23
	v_or3_b32 v18, v21, v19, v18
	v_lshrrev_b32_e32 v19, 16, v18
.LBB895_505:
	s_or_b64 exec, exec, s[10:11]
.LBB895_506:
	s_or_b64 exec, exec, s[8:9]
.LBB895_507:
	s_or_b64 exec, exec, s[2:3]
	s_movk_i32 s2, 0xff
	v_and_b32_sdwa v24, v10, s2 dst_sel:DWORD dst_unused:UNUSED_PAD src0_sel:WORD_1 src1_sel:DWORD
	v_lshrrev_b32_e32 v18, 16, v10
	v_cmp_ne_u16_e32 vcc, 0, v24
	v_mov_b32_e32 v21, 0
	v_mov_b32_e32 v23, 0
	s_and_saveexec_b64 s[2:3], vcc
	s_cbranch_execz .LBB895_513
; %bb.508:
	s_movk_i32 s7, 0x80
	v_cmp_ne_u16_e32 vcc, s7, v24
	v_mov_b32_e32 v23, 0xffff8000
	s_and_saveexec_b64 s[8:9], vcc
	s_cbranch_execz .LBB895_512
; %bb.509:
	v_bfe_u32 v24, v10, 16, 7
	s_movk_i32 s7, 0x7f
	v_cmp_ne_u32_e32 vcc, s7, v24
	v_mov_b32_e32 v23, 0x7f80
	s_and_saveexec_b64 s[10:11], vcc
	s_cbranch_execz .LBB895_511
; %bb.510:
	v_and_b32_e32 v23, 7, v18
	v_ffbh_u32_e32 v26, v23
	v_min_u32_e32 v29, 32, v26
	v_subrev_u32_e32 v26, 28, v29
	v_lshlrev_b64 v[26:27], v26, v[18:19]
	v_lshrrev_b32_e32 v25, 3, v24
	v_sub_u32_e32 v18, 29, v29
	v_and_b32_e32 v26, 7, v26
	v_cmp_gt_u32_e32 vcc, 8, v24
	v_mov_b32_e32 v24, 24
	v_cndmask_b32_e32 v18, v25, v18, vcc
	v_cndmask_b32_e32 v23, v23, v26, vcc
	v_lshlrev_b32_sdwa v24, v24, v10 dst_sel:DWORD dst_unused:UNUSED_PAD src0_sel:DWORD src1_sel:WORD_1
	v_bfrev_b32_e32 v25, 60
	v_lshlrev_b32_e32 v23, 20, v23
	v_and_b32_e32 v24, 0x80000000, v24
	v_lshl_add_u32 v18, v18, 23, v25
	v_or3_b32 v18, v24, v18, v23
	v_lshrrev_b32_e32 v23, 16, v18
.LBB895_511:
	s_or_b64 exec, exec, s[10:11]
.LBB895_512:
	s_or_b64 exec, exec, s[8:9]
.LBB895_513:
	s_or_b64 exec, exec, s[2:3]
	s_mov_b32 s2, 0xffffff
	v_cmp_lt_u32_e32 vcc, s2, v10
	s_and_saveexec_b64 s[2:3], vcc
	s_cbranch_execz .LBB895_519
; %bb.514:
	v_lshrrev_b32_e32 v18, 24, v10
	s_movk_i32 s7, 0x80
	v_cmp_ne_u32_e32 vcc, s7, v18
	v_mov_b32_e32 v21, 0xffff8000
	s_and_saveexec_b64 s[8:9], vcc
	s_cbranch_execz .LBB895_518
; %bb.515:
	v_bfe_u32 v10, v10, 24, 7
	s_movk_i32 s7, 0x7f
	v_cmp_ne_u32_e32 vcc, s7, v10
	v_mov_b32_e32 v21, 0x7f80
	s_and_saveexec_b64 s[10:11], vcc
	s_cbranch_execz .LBB895_517
; %bb.516:
	v_and_b32_e32 v21, 7, v18
	v_ffbh_u32_e32 v24, v21
	v_min_u32_e32 v27, 32, v24
	v_subrev_u32_e32 v24, 28, v27
	v_lshlrev_b64 v[24:25], v24, v[18:19]
	v_lshrrev_b32_e32 v26, 3, v10
	v_sub_u32_e32 v25, 29, v27
	v_and_b32_e32 v24, 7, v24
	v_cmp_gt_u32_e32 vcc, 8, v10
	v_cndmask_b32_e32 v10, v26, v25, vcc
	v_cndmask_b32_e32 v21, v21, v24, vcc
	v_lshlrev_b32_e32 v18, 24, v18
	v_bfrev_b32_e32 v24, 60
	v_lshlrev_b32_e32 v21, 20, v21
	v_and_b32_e32 v18, 0x80000000, v18
	v_lshl_add_u32 v10, v10, 23, v24
	v_or3_b32 v10, v18, v10, v21
	v_lshrrev_b32_e32 v21, 16, v10
.LBB895_517:
	s_or_b64 exec, exec, s[10:11]
.LBB895_518:
	s_or_b64 exec, exec, s[8:9]
.LBB895_519:
	s_or_b64 exec, exec, s[2:3]
	v_mov_b32_e32 v18, 0
	v_cmp_ne_u16_sdwa s[8:9], v11, v18 src0_sel:BYTE_0 src1_sel:DWORD
	v_mov_b32_e32 v24, 0
	s_and_saveexec_b64 s[2:3], s[8:9]
	s_cbranch_execz .LBB895_525
; %bb.520:
	s_movk_i32 s7, 0x80
	v_cmp_ne_u16_sdwa s[10:11], v11, s7 src0_sel:BYTE_0 src1_sel:DWORD
	v_mov_b32_e32 v24, 0xffff8000
	s_and_saveexec_b64 s[8:9], s[10:11]
	s_cbranch_execz .LBB895_524
; %bb.521:
	s_movk_i32 s7, 0x7f
	v_and_b32_e32 v10, 0x7f, v11
	v_cmp_ne_u32_e32 vcc, s7, v10
	v_mov_b32_e32 v24, 0x7f80
	s_and_saveexec_b64 s[10:11], vcc
	s_cbranch_execz .LBB895_523
; %bb.522:
	v_and_b32_e32 v26, 7, v11
	v_ffbh_u32_e32 v25, v26
	v_min_u32_e32 v29, 32, v25
	v_mov_b32_e32 v24, v11
	v_subrev_u32_e32 v25, 28, v29
	v_lshlrev_b64 v[24:25], v25, v[24:25]
	v_lshrrev_b32_e32 v27, 3, v10
	v_sub_u32_e32 v25, 29, v29
	v_and_b32_e32 v24, 7, v24
	v_cmp_gt_u32_e32 vcc, 8, v10
	v_cndmask_b32_e32 v10, v27, v25, vcc
	v_cndmask_b32_e32 v24, v26, v24, vcc
	v_lshlrev_b32_e32 v25, 24, v11
	v_bfrev_b32_e32 v26, 60
	v_lshlrev_b32_e32 v24, 20, v24
	v_and_b32_e32 v25, 0x80000000, v25
	v_lshl_add_u32 v10, v10, 23, v26
	v_or3_b32 v10, v25, v10, v24
	v_lshrrev_b32_e32 v24, 16, v10
.LBB895_523:
	s_or_b64 exec, exec, s[10:11]
.LBB895_524:
	s_or_b64 exec, exec, s[8:9]
.LBB895_525:
	s_or_b64 exec, exec, s[2:3]
	v_lshrrev_b16_e32 v10, 8, v11
	v_cmp_ne_u16_e32 vcc, 0, v10
	s_and_saveexec_b64 s[2:3], vcc
	s_cbranch_execz .LBB895_531
; %bb.526:
	s_movk_i32 s7, 0x80
	v_cmp_ne_u16_e32 vcc, s7, v10
	v_mov_b32_e32 v18, 0xffff8000
	s_and_saveexec_b64 s[8:9], vcc
	s_cbranch_execz .LBB895_530
; %bb.527:
	s_movk_i32 s7, 0x7f
	v_and_b32_e32 v25, 0x7f, v10
	v_cmp_ne_u32_e32 vcc, s7, v25
	v_mov_b32_e32 v18, 0x7f80
	s_and_saveexec_b64 s[10:11], vcc
	s_cbranch_execz .LBB895_529
; %bb.528:
	v_and_b32_e32 v18, 7, v10
	v_ffbh_u32_e32 v26, v18
	v_min_u32_e32 v30, 32, v26
	v_subrev_u32_e32 v26, 28, v30
	v_lshlrev_b64 v[26:27], v26, v[10:11]
	v_lshrrev_b32_e32 v29, 3, v25
	v_sub_u32_e32 v10, 29, v30
	v_and_b32_e32 v26, 7, v26
	v_cmp_gt_u32_e32 vcc, 8, v25
	v_cndmask_b32_e32 v10, v29, v10, vcc
	v_cndmask_b32_e32 v18, v18, v26, vcc
	v_lshlrev_b32_e32 v25, 16, v11
	v_bfrev_b32_e32 v26, 60
	v_lshlrev_b32_e32 v18, 20, v18
	v_and_b32_e32 v25, 0x80000000, v25
	v_lshl_add_u32 v10, v10, 23, v26
	v_or3_b32 v10, v25, v10, v18
	v_lshrrev_b32_e32 v18, 16, v10
.LBB895_529:
	s_or_b64 exec, exec, s[10:11]
.LBB895_530:
	s_or_b64 exec, exec, s[8:9]
.LBB895_531:
	s_or_b64 exec, exec, s[2:3]
	s_movk_i32 s2, 0xff
	v_and_b32_sdwa v27, v11, s2 dst_sel:DWORD dst_unused:UNUSED_PAD src0_sel:WORD_1 src1_sel:DWORD
	v_lshrrev_b32_e32 v10, 16, v11
	v_cmp_ne_u16_e32 vcc, 0, v27
	v_mov_b32_e32 v25, 0
	v_mov_b32_e32 v26, 0
	s_and_saveexec_b64 s[2:3], vcc
	s_cbranch_execz .LBB895_537
; %bb.532:
	s_movk_i32 s7, 0x80
	v_cmp_ne_u16_e32 vcc, s7, v27
	v_mov_b32_e32 v26, 0xffff8000
	s_and_saveexec_b64 s[8:9], vcc
	s_cbranch_execz .LBB895_536
; %bb.533:
	v_bfe_u32 v27, v11, 16, 7
	s_movk_i32 s7, 0x7f
	v_cmp_ne_u32_e32 vcc, s7, v27
	v_mov_b32_e32 v26, 0x7f80
	s_and_saveexec_b64 s[10:11], vcc
	s_cbranch_execz .LBB895_535
; %bb.534:
	v_and_b32_e32 v26, 7, v10
	v_ffbh_u32_e32 v30, v26
	v_min_u32_e32 v32, 32, v30
	v_subrev_u32_e32 v30, 28, v32
	v_lshlrev_b64 v[30:31], v30, v[10:11]
	v_lshrrev_b32_e32 v29, 3, v27
	v_sub_u32_e32 v10, 29, v32
	v_and_b32_e32 v30, 7, v30
	v_cmp_gt_u32_e32 vcc, 8, v27
	v_mov_b32_e32 v27, 24
	v_cndmask_b32_e32 v10, v29, v10, vcc
	v_cndmask_b32_e32 v26, v26, v30, vcc
	v_lshlrev_b32_sdwa v27, v27, v11 dst_sel:DWORD dst_unused:UNUSED_PAD src0_sel:DWORD src1_sel:WORD_1
	v_bfrev_b32_e32 v29, 60
	v_lshlrev_b32_e32 v26, 20, v26
	v_and_b32_e32 v27, 0x80000000, v27
	v_lshl_add_u32 v10, v10, 23, v29
	v_or3_b32 v10, v27, v10, v26
	v_lshrrev_b32_e32 v26, 16, v10
.LBB895_535:
	s_or_b64 exec, exec, s[10:11]
.LBB895_536:
	s_or_b64 exec, exec, s[8:9]
.LBB895_537:
	s_or_b64 exec, exec, s[2:3]
	s_mov_b32 s2, 0xffffff
	v_cmp_lt_u32_e32 vcc, s2, v11
	s_and_saveexec_b64 s[2:3], vcc
	s_cbranch_execz .LBB895_543
; %bb.538:
	v_lshrrev_b32_e32 v10, 24, v11
	s_movk_i32 s7, 0x80
	v_cmp_ne_u32_e32 vcc, s7, v10
	v_mov_b32_e32 v25, 0xffff8000
	s_and_saveexec_b64 s[8:9], vcc
	s_cbranch_execz .LBB895_542
; %bb.539:
	v_bfe_u32 v11, v11, 24, 7
	s_movk_i32 s7, 0x7f
	v_cmp_ne_u32_e32 vcc, s7, v11
	v_mov_b32_e32 v25, 0x7f80
	s_and_saveexec_b64 s[10:11], vcc
	s_cbranch_execz .LBB895_541
; %bb.540:
	v_and_b32_e32 v25, 7, v10
	v_ffbh_u32_e32 v29, v25
	v_min_u32_e32 v29, 32, v29
	v_subrev_u32_e32 v30, 28, v29
	v_lshlrev_b64 v[30:31], v30, v[10:11]
	v_lshrrev_b32_e32 v27, 3, v11
	v_sub_u32_e32 v29, 29, v29
	v_and_b32_e32 v30, 7, v30
	v_cmp_gt_u32_e32 vcc, 8, v11
	v_cndmask_b32_e32 v11, v27, v29, vcc
	v_cndmask_b32_e32 v25, v25, v30, vcc
	v_lshlrev_b32_e32 v10, 24, v10
	v_bfrev_b32_e32 v27, 60
	v_lshlrev_b32_e32 v25, 20, v25
	v_and_b32_e32 v10, 0x80000000, v10
	v_lshl_add_u32 v11, v11, 23, v27
	v_or3_b32 v10, v10, v11, v25
	v_lshrrev_b32_e32 v25, 16, v10
.LBB895_541:
	s_or_b64 exec, exec, s[10:11]
.LBB895_542:
	s_or_b64 exec, exec, s[8:9]
.LBB895_543:
	s_or_b64 exec, exec, s[2:3]
	s_mov_b32 s2, 0x5040100
	v_perm_b32 v11, v21, v23, s2
	v_perm_b32 v10, v19, v20, s2
	ds_read_b128 v[30:33], v22 offset:2048
	v_perm_b32 v21, v25, v26, s2
	v_perm_b32 v20, v18, v24, s2
	s_waitcnt lgkmcnt(0)
	v_mfma_f32_16x16x16bf16_1k v[14:17], v[10:11], v[30:31], v[14:17]
	v_mov_b32_e32 v11, 0
	v_cmp_ne_u16_sdwa s[8:9], v12, v11 src0_sel:BYTE_0 src1_sel:DWORD
	v_mov_b32_e32 v18, 0
	v_mfma_f32_16x16x16bf16_1k v[14:17], v[20:21], v[32:33], v[14:17]
	s_and_saveexec_b64 s[2:3], s[8:9]
	s_cbranch_execz .LBB895_549
; %bb.544:
	s_movk_i32 s7, 0x80
	v_cmp_ne_u16_sdwa s[10:11], v12, s7 src0_sel:BYTE_0 src1_sel:DWORD
	v_mov_b32_e32 v18, 0xffff8000
	s_and_saveexec_b64 s[8:9], s[10:11]
	s_cbranch_execz .LBB895_548
; %bb.545:
	s_movk_i32 s7, 0x7f
	v_and_b32_e32 v10, 0x7f, v12
	v_cmp_ne_u32_e32 vcc, s7, v10
	v_mov_b32_e32 v18, 0x7f80
	s_and_saveexec_b64 s[10:11], vcc
	s_cbranch_execz .LBB895_547
; %bb.546:
	v_and_b32_e32 v20, 7, v12
	v_ffbh_u32_e32 v18, v20
	v_min_u32_e32 v23, 32, v18
	v_subrev_u32_e32 v18, 28, v23
	v_lshlrev_b64 v[18:19], v18, v[12:13]
	v_lshrrev_b32_e32 v21, 3, v10
	v_sub_u32_e32 v19, 29, v23
	v_and_b32_e32 v18, 7, v18
	v_cmp_gt_u32_e32 vcc, 8, v10
	v_cndmask_b32_e32 v10, v21, v19, vcc
	v_cndmask_b32_e32 v18, v20, v18, vcc
	v_lshlrev_b32_e32 v19, 24, v12
	v_bfrev_b32_e32 v20, 60
	v_lshlrev_b32_e32 v18, 20, v18
	v_and_b32_e32 v19, 0x80000000, v19
	v_lshl_add_u32 v10, v10, 23, v20
	v_or3_b32 v10, v19, v10, v18
	v_lshrrev_b32_e32 v18, 16, v10
.LBB895_547:
	s_or_b64 exec, exec, s[10:11]
.LBB895_548:
	s_or_b64 exec, exec, s[8:9]
.LBB895_549:
	s_or_b64 exec, exec, s[2:3]
	v_lshrrev_b16_e32 v10, 8, v12
	v_cmp_ne_u16_e32 vcc, 0, v10
	s_and_saveexec_b64 s[2:3], vcc
	s_cbranch_execz .LBB895_555
; %bb.550:
	s_movk_i32 s7, 0x80
	v_cmp_ne_u16_e32 vcc, s7, v10
	v_mov_b32_e32 v11, 0xffff8000
	s_and_saveexec_b64 s[8:9], vcc
	s_cbranch_execz .LBB895_554
; %bb.551:
	s_movk_i32 s7, 0x7f
	v_and_b32_e32 v19, 0x7f, v10
	v_cmp_ne_u32_e32 vcc, s7, v19
	v_mov_b32_e32 v11, 0x7f80
	s_and_saveexec_b64 s[10:11], vcc
	s_cbranch_execz .LBB895_553
; %bb.552:
	v_and_b32_e32 v20, 7, v10
	v_ffbh_u32_e32 v11, v20
	v_min_u32_e32 v23, 32, v11
	v_subrev_u32_e32 v11, 28, v23
	v_lshlrev_b64 v[10:11], v11, v[10:11]
	v_lshrrev_b32_e32 v21, 3, v19
	v_sub_u32_e32 v11, 29, v23
	v_and_b32_e32 v10, 7, v10
	v_cmp_gt_u32_e32 vcc, 8, v19
	v_cndmask_b32_e32 v11, v21, v11, vcc
	v_cndmask_b32_e32 v10, v20, v10, vcc
	v_lshlrev_b32_e32 v19, 16, v12
	v_bfrev_b32_e32 v20, 60
	v_lshlrev_b32_e32 v10, 20, v10
	v_and_b32_e32 v19, 0x80000000, v19
	v_lshl_add_u32 v11, v11, 23, v20
	v_or3_b32 v10, v19, v11, v10
	v_lshrrev_b32_e32 v11, 16, v10
.LBB895_553:
	s_or_b64 exec, exec, s[10:11]
.LBB895_554:
	s_or_b64 exec, exec, s[8:9]
.LBB895_555:
	s_or_b64 exec, exec, s[2:3]
	s_movk_i32 s2, 0xff
	v_and_b32_sdwa v21, v12, s2 dst_sel:DWORD dst_unused:UNUSED_PAD src0_sel:WORD_1 src1_sel:DWORD
	v_lshrrev_b32_e32 v10, 16, v12
	v_cmp_ne_u16_e32 vcc, 0, v21
	v_mov_b32_e32 v19, 0
	v_mov_b32_e32 v20, 0
	s_and_saveexec_b64 s[2:3], vcc
	s_cbranch_execz .LBB895_561
; %bb.556:
	s_movk_i32 s7, 0x80
	v_cmp_ne_u16_e32 vcc, s7, v21
	v_mov_b32_e32 v20, 0xffff8000
	s_and_saveexec_b64 s[8:9], vcc
	s_cbranch_execz .LBB895_560
; %bb.557:
	v_bfe_u32 v21, v12, 16, 7
	s_movk_i32 s7, 0x7f
	v_cmp_ne_u32_e32 vcc, s7, v21
	v_mov_b32_e32 v20, 0x7f80
	s_and_saveexec_b64 s[10:11], vcc
	s_cbranch_execz .LBB895_559
; %bb.558:
	v_and_b32_e32 v20, 7, v10
	v_ffbh_u32_e32 v24, v20
	v_min_u32_e32 v26, 32, v24
	v_subrev_u32_e32 v24, 28, v26
	v_lshlrev_b64 v[24:25], v24, v[10:11]
	v_lshrrev_b32_e32 v23, 3, v21
	v_sub_u32_e32 v10, 29, v26
	v_and_b32_e32 v24, 7, v24
	v_cmp_gt_u32_e32 vcc, 8, v21
	v_mov_b32_e32 v21, 24
	v_cndmask_b32_e32 v10, v23, v10, vcc
	v_cndmask_b32_e32 v20, v20, v24, vcc
	v_lshlrev_b32_sdwa v21, v21, v12 dst_sel:DWORD dst_unused:UNUSED_PAD src0_sel:DWORD src1_sel:WORD_1
	v_bfrev_b32_e32 v23, 60
	v_lshlrev_b32_e32 v20, 20, v20
	v_and_b32_e32 v21, 0x80000000, v21
	v_lshl_add_u32 v10, v10, 23, v23
	v_or3_b32 v10, v21, v10, v20
	v_lshrrev_b32_e32 v20, 16, v10
.LBB895_559:
	s_or_b64 exec, exec, s[10:11]
.LBB895_560:
	s_or_b64 exec, exec, s[8:9]
.LBB895_561:
	s_or_b64 exec, exec, s[2:3]
	s_mov_b32 s2, 0xffffff
	v_cmp_lt_u32_e32 vcc, s2, v12
	s_and_saveexec_b64 s[2:3], vcc
	s_cbranch_execz .LBB895_567
; %bb.562:
	v_lshrrev_b32_e32 v10, 24, v12
	s_movk_i32 s7, 0x80
	v_cmp_ne_u32_e32 vcc, s7, v10
	v_mov_b32_e32 v19, 0xffff8000
	s_and_saveexec_b64 s[8:9], vcc
	s_cbranch_execz .LBB895_566
; %bb.563:
	v_bfe_u32 v12, v12, 24, 7
	s_movk_i32 s7, 0x7f
	v_cmp_ne_u32_e32 vcc, s7, v12
	v_mov_b32_e32 v19, 0x7f80
	s_and_saveexec_b64 s[10:11], vcc
	s_cbranch_execz .LBB895_565
; %bb.564:
	v_and_b32_e32 v19, 7, v10
	v_ffbh_u32_e32 v23, v19
	v_min_u32_e32 v23, 32, v23
	v_subrev_u32_e32 v24, 28, v23
	v_lshlrev_b64 v[24:25], v24, v[10:11]
	v_lshrrev_b32_e32 v21, 3, v12
	v_sub_u32_e32 v23, 29, v23
	v_and_b32_e32 v24, 7, v24
	v_cmp_gt_u32_e32 vcc, 8, v12
	v_cndmask_b32_e32 v12, v21, v23, vcc
	v_cndmask_b32_e32 v19, v19, v24, vcc
	v_lshlrev_b32_e32 v10, 24, v10
	v_bfrev_b32_e32 v21, 60
	v_lshlrev_b32_e32 v19, 20, v19
	v_and_b32_e32 v10, 0x80000000, v10
	v_lshl_add_u32 v12, v12, 23, v21
	v_or3_b32 v10, v10, v12, v19
	v_lshrrev_b32_e32 v19, 16, v10
.LBB895_565:
	s_or_b64 exec, exec, s[10:11]
.LBB895_566:
	s_or_b64 exec, exec, s[8:9]
.LBB895_567:
	s_or_b64 exec, exec, s[2:3]
	v_mov_b32_e32 v12, 0
	v_cmp_ne_u16_sdwa s[8:9], v13, v12 src0_sel:BYTE_0 src1_sel:DWORD
	v_mov_b32_e32 v21, 0
	s_and_saveexec_b64 s[2:3], s[8:9]
	s_cbranch_execz .LBB895_573
; %bb.568:
	s_movk_i32 s7, 0x80
	v_cmp_ne_u16_sdwa s[10:11], v13, s7 src0_sel:BYTE_0 src1_sel:DWORD
	v_mov_b32_e32 v21, 0xffff8000
	s_and_saveexec_b64 s[8:9], s[10:11]
	s_cbranch_execz .LBB895_572
; %bb.569:
	s_movk_i32 s7, 0x7f
	v_and_b32_e32 v10, 0x7f, v13
	v_cmp_ne_u32_e32 vcc, s7, v10
	v_mov_b32_e32 v21, 0x7f80
	s_and_saveexec_b64 s[10:11], vcc
	s_cbranch_execz .LBB895_571
; %bb.570:
	v_and_b32_e32 v21, 7, v13
	v_ffbh_u32_e32 v25, v21
	v_min_u32_e32 v26, 32, v25
	v_mov_b32_e32 v24, v13
	v_subrev_u32_e32 v25, 28, v26
	v_lshlrev_b64 v[24:25], v25, v[24:25]
	v_lshrrev_b32_e32 v23, 3, v10
	v_sub_u32_e32 v25, 29, v26
	v_and_b32_e32 v24, 7, v24
	v_cmp_gt_u32_e32 vcc, 8, v10
	v_cndmask_b32_e32 v10, v23, v25, vcc
	v_cndmask_b32_e32 v21, v21, v24, vcc
	v_lshlrev_b32_e32 v23, 24, v13
	v_bfrev_b32_e32 v24, 60
	v_lshlrev_b32_e32 v21, 20, v21
	v_and_b32_e32 v23, 0x80000000, v23
	v_lshl_add_u32 v10, v10, 23, v24
	v_or3_b32 v10, v23, v10, v21
	v_lshrrev_b32_e32 v21, 16, v10
.LBB895_571:
	s_or_b64 exec, exec, s[10:11]
.LBB895_572:
	s_or_b64 exec, exec, s[8:9]
.LBB895_573:
	s_or_b64 exec, exec, s[2:3]
	v_lshrrev_b16_e32 v10, 8, v13
	v_cmp_ne_u16_e32 vcc, 0, v10
	s_and_saveexec_b64 s[2:3], vcc
	s_cbranch_execz .LBB895_579
; %bb.574:
	s_movk_i32 s7, 0x80
	v_cmp_ne_u16_e32 vcc, s7, v10
	v_mov_b32_e32 v12, 0xffff8000
	s_and_saveexec_b64 s[8:9], vcc
	s_cbranch_execz .LBB895_578
; %bb.575:
	s_movk_i32 s7, 0x7f
	v_and_b32_e32 v23, 0x7f, v10
	v_cmp_ne_u32_e32 vcc, s7, v23
	v_mov_b32_e32 v12, 0x7f80
	s_and_saveexec_b64 s[10:11], vcc
	s_cbranch_execz .LBB895_577
; %bb.576:
	v_and_b32_e32 v12, 7, v10
	v_ffbh_u32_e32 v24, v12
	v_min_u32_e32 v27, 32, v24
	v_subrev_u32_e32 v24, 28, v27
	v_lshlrev_b64 v[24:25], v24, v[10:11]
	v_lshrrev_b32_e32 v26, 3, v23
	v_sub_u32_e32 v10, 29, v27
	v_and_b32_e32 v24, 7, v24
	v_cmp_gt_u32_e32 vcc, 8, v23
	v_cndmask_b32_e32 v10, v26, v10, vcc
	v_cndmask_b32_e32 v12, v12, v24, vcc
	v_lshlrev_b32_e32 v23, 16, v13
	v_bfrev_b32_e32 v24, 60
	v_lshlrev_b32_e32 v12, 20, v12
	v_and_b32_e32 v23, 0x80000000, v23
	v_lshl_add_u32 v10, v10, 23, v24
	v_or3_b32 v10, v23, v10, v12
	v_lshrrev_b32_e32 v12, 16, v10
.LBB895_577:
	s_or_b64 exec, exec, s[10:11]
.LBB895_578:
	s_or_b64 exec, exec, s[8:9]
.LBB895_579:
	s_or_b64 exec, exec, s[2:3]
	s_movk_i32 s2, 0xff
	v_and_b32_sdwa v25, v13, s2 dst_sel:DWORD dst_unused:UNUSED_PAD src0_sel:WORD_1 src1_sel:DWORD
	v_lshrrev_b32_e32 v10, 16, v13
	v_cmp_ne_u16_e32 vcc, 0, v25
	v_mov_b32_e32 v23, 0
	v_mov_b32_e32 v24, 0
	s_and_saveexec_b64 s[2:3], vcc
	s_cbranch_execz .LBB895_585
; %bb.580:
	s_movk_i32 s7, 0x80
	v_cmp_ne_u16_e32 vcc, s7, v25
	v_mov_b32_e32 v24, 0xffff8000
	s_and_saveexec_b64 s[8:9], vcc
	s_cbranch_execz .LBB895_584
; %bb.581:
	v_bfe_u32 v25, v13, 16, 7
	s_movk_i32 s7, 0x7f
	v_cmp_ne_u32_e32 vcc, s7, v25
	v_mov_b32_e32 v24, 0x7f80
	s_and_saveexec_b64 s[10:11], vcc
	s_cbranch_execz .LBB895_583
; %bb.582:
	v_and_b32_e32 v24, 7, v10
	v_ffbh_u32_e32 v26, v24
	v_min_u32_e32 v30, 32, v26
	v_subrev_u32_e32 v26, 28, v30
	v_lshlrev_b64 v[26:27], v26, v[10:11]
	v_lshrrev_b32_e32 v29, 3, v25
	v_sub_u32_e32 v10, 29, v30
	v_and_b32_e32 v26, 7, v26
	v_cmp_gt_u32_e32 vcc, 8, v25
	v_mov_b32_e32 v25, 24
	v_cndmask_b32_e32 v10, v29, v10, vcc
	v_cndmask_b32_e32 v24, v24, v26, vcc
	v_lshlrev_b32_sdwa v25, v25, v13 dst_sel:DWORD dst_unused:UNUSED_PAD src0_sel:DWORD src1_sel:WORD_1
	v_bfrev_b32_e32 v26, 60
	v_lshlrev_b32_e32 v24, 20, v24
	v_and_b32_e32 v25, 0x80000000, v25
	v_lshl_add_u32 v10, v10, 23, v26
	v_or3_b32 v10, v25, v10, v24
	v_lshrrev_b32_e32 v24, 16, v10
.LBB895_583:
	s_or_b64 exec, exec, s[10:11]
.LBB895_584:
	s_or_b64 exec, exec, s[8:9]
.LBB895_585:
	s_or_b64 exec, exec, s[2:3]
	s_mov_b32 s2, 0xffffff
	v_cmp_lt_u32_e32 vcc, s2, v13
	s_and_saveexec_b64 s[2:3], vcc
	s_cbranch_execz .LBB895_591
; %bb.586:
	v_lshrrev_b32_e32 v10, 24, v13
	s_movk_i32 s7, 0x80
	v_cmp_ne_u32_e32 vcc, s7, v10
	v_mov_b32_e32 v23, 0xffff8000
	s_and_saveexec_b64 s[8:9], vcc
	s_cbranch_execz .LBB895_590
; %bb.587:
	v_bfe_u32 v13, v13, 24, 7
	s_movk_i32 s7, 0x7f
	v_cmp_ne_u32_e32 vcc, s7, v13
	v_mov_b32_e32 v23, 0x7f80
	s_and_saveexec_b64 s[10:11], vcc
	s_cbranch_execz .LBB895_589
; %bb.588:
	v_and_b32_e32 v23, 7, v10
	v_ffbh_u32_e32 v26, v23
	v_min_u32_e32 v29, 32, v26
	v_subrev_u32_e32 v26, 28, v29
	v_lshlrev_b64 v[26:27], v26, v[10:11]
	v_lshrrev_b32_e32 v25, 3, v13
	v_sub_u32_e32 v27, 29, v29
	v_and_b32_e32 v26, 7, v26
	v_cmp_gt_u32_e32 vcc, 8, v13
	v_cndmask_b32_e32 v13, v25, v27, vcc
	v_cndmask_b32_e32 v23, v23, v26, vcc
	v_lshlrev_b32_e32 v10, 24, v10
	v_bfrev_b32_e32 v25, 60
	v_lshlrev_b32_e32 v23, 20, v23
	v_and_b32_e32 v10, 0x80000000, v10
	v_lshl_add_u32 v13, v13, 23, v25
	v_or3_b32 v10, v10, v13, v23
	v_lshrrev_b32_e32 v23, 16, v10
.LBB895_589:
	s_or_b64 exec, exec, s[10:11]
.LBB895_590:
	s_or_b64 exec, exec, s[8:9]
.LBB895_591:
	s_or_b64 exec, exec, s[2:3]
	s_mov_b32 s2, 0x5040100
	v_perm_b32 v19, v19, v20, s2
	v_perm_b32 v18, v11, v18, s2
	ds_read_b128 v[30:33], v22 offset:2064
	v_perm_b32 v11, v23, v24, s2
	v_perm_b32 v10, v12, v21, s2
	s_waitcnt lgkmcnt(0)
	v_mfma_f32_16x16x16bf16_1k v[34:37], v[18:19], v[30:31], v[14:17]
	s_nop 6
	v_mov_b32_e32 v15, 0
	s_waitcnt vmcnt(1)
	v_cmp_ne_u16_sdwa s[8:9], v6, v15 src0_sel:BYTE_0 src1_sel:DWORD
	v_mfma_f32_16x16x16bf16_1k v[10:13], v[10:11], v[32:33], v[34:37]
	v_mov_b32_e32 v16, 0
	s_and_saveexec_b64 s[2:3], s[8:9]
	s_cbranch_execz .LBB895_597
; %bb.592:
	s_movk_i32 s7, 0x80
	v_cmp_ne_u16_sdwa s[10:11], v6, s7 src0_sel:BYTE_0 src1_sel:DWORD
	v_mov_b32_e32 v16, 0xffff8000
	s_and_saveexec_b64 s[8:9], s[10:11]
	s_cbranch_execz .LBB895_596
; %bb.593:
	s_movk_i32 s7, 0x7f
	v_and_b32_e32 v14, 0x7f, v6
	v_cmp_ne_u32_e32 vcc, s7, v14
	v_mov_b32_e32 v16, 0x7f80
	s_and_saveexec_b64 s[10:11], vcc
	s_cbranch_execz .LBB895_595
; %bb.594:
	v_and_b32_e32 v18, 7, v6
	v_ffbh_u32_e32 v16, v18
	v_min_u32_e32 v20, 32, v16
	v_subrev_u32_e32 v16, 28, v20
	v_lshlrev_b64 v[16:17], v16, v[6:7]
	v_lshrrev_b32_e32 v19, 3, v14
	v_sub_u32_e32 v17, 29, v20
	v_and_b32_e32 v16, 7, v16
	v_cmp_gt_u32_e32 vcc, 8, v14
	v_cndmask_b32_e32 v14, v19, v17, vcc
	v_cndmask_b32_e32 v16, v18, v16, vcc
	v_lshlrev_b32_e32 v17, 24, v6
	v_bfrev_b32_e32 v18, 60
	v_lshlrev_b32_e32 v16, 20, v16
	v_and_b32_e32 v17, 0x80000000, v17
	v_lshl_add_u32 v14, v14, 23, v18
	v_or3_b32 v14, v17, v14, v16
	v_lshrrev_b32_e32 v16, 16, v14
.LBB895_595:
	s_or_b64 exec, exec, s[10:11]
.LBB895_596:
	s_or_b64 exec, exec, s[8:9]
.LBB895_597:
	s_or_b64 exec, exec, s[2:3]
	v_lshrrev_b16_e32 v14, 8, v6
	v_cmp_ne_u16_e32 vcc, 0, v14
	s_and_saveexec_b64 s[2:3], vcc
	s_cbranch_execz .LBB895_603
; %bb.598:
	s_movk_i32 s7, 0x80
	v_cmp_ne_u16_e32 vcc, s7, v14
	v_mov_b32_e32 v15, 0xffff8000
	s_and_saveexec_b64 s[8:9], vcc
	s_cbranch_execz .LBB895_602
; %bb.599:
	s_movk_i32 s7, 0x7f
	v_and_b32_e32 v17, 0x7f, v14
	v_cmp_ne_u32_e32 vcc, s7, v17
	v_mov_b32_e32 v15, 0x7f80
	s_and_saveexec_b64 s[10:11], vcc
	s_cbranch_execz .LBB895_601
; %bb.600:
	v_and_b32_e32 v18, 7, v14
	v_ffbh_u32_e32 v15, v18
	v_min_u32_e32 v20, 32, v15
	v_subrev_u32_e32 v15, 28, v20
	v_lshlrev_b64 v[14:15], v15, v[14:15]
	v_lshrrev_b32_e32 v19, 3, v17
	v_sub_u32_e32 v15, 29, v20
	v_and_b32_e32 v14, 7, v14
	v_cmp_gt_u32_e32 vcc, 8, v17
	v_cndmask_b32_e32 v15, v19, v15, vcc
	v_cndmask_b32_e32 v14, v18, v14, vcc
	v_lshlrev_b32_e32 v17, 16, v6
	v_bfrev_b32_e32 v18, 60
	v_lshlrev_b32_e32 v14, 20, v14
	v_and_b32_e32 v17, 0x80000000, v17
	v_lshl_add_u32 v15, v15, 23, v18
	v_or3_b32 v14, v17, v15, v14
	v_lshrrev_b32_e32 v15, 16, v14
.LBB895_601:
	s_or_b64 exec, exec, s[10:11]
.LBB895_602:
	s_or_b64 exec, exec, s[8:9]
.LBB895_603:
	s_or_b64 exec, exec, s[2:3]
	s_movk_i32 s2, 0xff
	v_and_b32_sdwa v19, v6, s2 dst_sel:DWORD dst_unused:UNUSED_PAD src0_sel:WORD_1 src1_sel:DWORD
	v_lshrrev_b32_e32 v14, 16, v6
	v_cmp_ne_u16_e32 vcc, 0, v19
	v_mov_b32_e32 v17, 0
	v_mov_b32_e32 v18, 0
	s_and_saveexec_b64 s[2:3], vcc
	s_cbranch_execz .LBB895_609
; %bb.604:
	s_movk_i32 s7, 0x80
	v_cmp_ne_u16_e32 vcc, s7, v19
	v_mov_b32_e32 v18, 0xffff8000
	s_and_saveexec_b64 s[8:9], vcc
	s_cbranch_execz .LBB895_608
; %bb.605:
	v_bfe_u32 v19, v6, 16, 7
	s_movk_i32 s7, 0x7f
	v_cmp_ne_u32_e32 vcc, s7, v19
	v_mov_b32_e32 v18, 0x7f80
	s_and_saveexec_b64 s[10:11], vcc
	s_cbranch_execz .LBB895_607
; %bb.606:
	v_and_b32_e32 v18, 7, v14
	v_ffbh_u32_e32 v20, v18
	v_min_u32_e32 v24, 32, v20
	v_subrev_u32_e32 v20, 28, v24
	v_lshlrev_b64 v[20:21], v20, v[14:15]
	v_lshrrev_b32_e32 v23, 3, v19
	v_sub_u32_e32 v14, 29, v24
	v_and_b32_e32 v20, 7, v20
	v_cmp_gt_u32_e32 vcc, 8, v19
	v_mov_b32_e32 v19, 24
	v_cndmask_b32_e32 v14, v23, v14, vcc
	v_cndmask_b32_e32 v18, v18, v20, vcc
	v_lshlrev_b32_sdwa v19, v19, v6 dst_sel:DWORD dst_unused:UNUSED_PAD src0_sel:DWORD src1_sel:WORD_1
	v_bfrev_b32_e32 v20, 60
	v_lshlrev_b32_e32 v18, 20, v18
	v_and_b32_e32 v19, 0x80000000, v19
	v_lshl_add_u32 v14, v14, 23, v20
	v_or3_b32 v14, v19, v14, v18
	v_lshrrev_b32_e32 v18, 16, v14
.LBB895_607:
	s_or_b64 exec, exec, s[10:11]
.LBB895_608:
	s_or_b64 exec, exec, s[8:9]
.LBB895_609:
	s_or_b64 exec, exec, s[2:3]
	s_mov_b32 s2, 0xffffff
	v_cmp_lt_u32_e32 vcc, s2, v6
	s_and_saveexec_b64 s[2:3], vcc
	s_cbranch_execz .LBB895_615
; %bb.610:
	v_lshrrev_b32_e32 v14, 24, v6
	s_movk_i32 s7, 0x80
	v_cmp_ne_u32_e32 vcc, s7, v14
	v_mov_b32_e32 v17, 0xffff8000
	s_and_saveexec_b64 s[8:9], vcc
	s_cbranch_execz .LBB895_614
; %bb.611:
	v_bfe_u32 v6, v6, 24, 7
	s_movk_i32 s7, 0x7f
	v_cmp_ne_u32_e32 vcc, s7, v6
	v_mov_b32_e32 v17, 0x7f80
	s_and_saveexec_b64 s[10:11], vcc
	s_cbranch_execz .LBB895_613
; %bb.612:
	v_and_b32_e32 v17, 7, v14
	v_ffbh_u32_e32 v20, v17
	v_min_u32_e32 v23, 32, v20
	v_subrev_u32_e32 v20, 28, v23
	v_lshlrev_b64 v[20:21], v20, v[14:15]
	v_lshrrev_b32_e32 v19, 3, v6
	v_sub_u32_e32 v21, 29, v23
	v_and_b32_e32 v20, 7, v20
	v_cmp_gt_u32_e32 vcc, 8, v6
	v_cndmask_b32_e32 v6, v19, v21, vcc
	v_cndmask_b32_e32 v17, v17, v20, vcc
	v_lshlrev_b32_e32 v14, 24, v14
	v_bfrev_b32_e32 v19, 60
	v_lshlrev_b32_e32 v17, 20, v17
	v_and_b32_e32 v14, 0x80000000, v14
	v_lshl_add_u32 v6, v6, 23, v19
	v_or3_b32 v6, v14, v6, v17
	v_lshrrev_b32_e32 v17, 16, v6
.LBB895_613:
	s_or_b64 exec, exec, s[10:11]
.LBB895_614:
	s_or_b64 exec, exec, s[8:9]
.LBB895_615:
	s_or_b64 exec, exec, s[2:3]
	v_mov_b32_e32 v14, 0
	v_cmp_ne_u16_sdwa s[8:9], v7, v14 src0_sel:BYTE_0 src1_sel:DWORD
	v_mov_b32_e32 v19, 0
	s_and_saveexec_b64 s[2:3], s[8:9]
	s_cbranch_execz .LBB895_621
; %bb.616:
	s_movk_i32 s7, 0x80
	v_cmp_ne_u16_sdwa s[10:11], v7, s7 src0_sel:BYTE_0 src1_sel:DWORD
	v_mov_b32_e32 v19, 0xffff8000
	s_and_saveexec_b64 s[8:9], s[10:11]
	s_cbranch_execz .LBB895_620
; %bb.617:
	s_movk_i32 s7, 0x7f
	v_and_b32_e32 v6, 0x7f, v7
	v_cmp_ne_u32_e32 vcc, s7, v6
	v_mov_b32_e32 v19, 0x7f80
	s_and_saveexec_b64 s[10:11], vcc
	s_cbranch_execz .LBB895_619
; %bb.618:
	v_and_b32_e32 v19, 7, v7
	v_ffbh_u32_e32 v21, v19
	v_min_u32_e32 v24, 32, v21
	v_mov_b32_e32 v20, v7
	v_subrev_u32_e32 v21, 28, v24
	v_lshlrev_b64 v[20:21], v21, v[20:21]
	v_lshrrev_b32_e32 v23, 3, v6
	v_sub_u32_e32 v21, 29, v24
	v_and_b32_e32 v20, 7, v20
	v_cmp_gt_u32_e32 vcc, 8, v6
	v_cndmask_b32_e32 v6, v23, v21, vcc
	v_cndmask_b32_e32 v19, v19, v20, vcc
	v_lshlrev_b32_e32 v20, 24, v7
	v_bfrev_b32_e32 v21, 60
	v_lshlrev_b32_e32 v19, 20, v19
	v_and_b32_e32 v20, 0x80000000, v20
	v_lshl_add_u32 v6, v6, 23, v21
	v_or3_b32 v6, v20, v6, v19
	v_lshrrev_b32_e32 v19, 16, v6
.LBB895_619:
	s_or_b64 exec, exec, s[10:11]
.LBB895_620:
	s_or_b64 exec, exec, s[8:9]
.LBB895_621:
	s_or_b64 exec, exec, s[2:3]
	v_lshrrev_b16_e32 v6, 8, v7
	v_cmp_ne_u16_e32 vcc, 0, v6
	s_and_saveexec_b64 s[2:3], vcc
	s_cbranch_execz .LBB895_627
; %bb.622:
	s_movk_i32 s7, 0x80
	v_cmp_ne_u16_e32 vcc, s7, v6
	v_mov_b32_e32 v14, 0xffff8000
	s_and_saveexec_b64 s[8:9], vcc
	s_cbranch_execz .LBB895_626
; %bb.623:
	s_movk_i32 s7, 0x7f
	v_and_b32_e32 v20, 0x7f, v6
	v_cmp_ne_u32_e32 vcc, s7, v20
	v_mov_b32_e32 v14, 0x7f80
	s_and_saveexec_b64 s[10:11], vcc
	s_cbranch_execz .LBB895_625
; %bb.624:
	v_and_b32_e32 v14, 7, v6
	v_ffbh_u32_e32 v23, v14
	v_min_u32_e32 v23, 32, v23
	v_subrev_u32_e32 v24, 28, v23
	v_lshlrev_b64 v[24:25], v24, v[6:7]
	v_lshrrev_b32_e32 v21, 3, v20
	v_sub_u32_e32 v6, 29, v23
	v_and_b32_e32 v23, 7, v24
	v_cmp_gt_u32_e32 vcc, 8, v20
	v_cndmask_b32_e32 v6, v21, v6, vcc
	v_cndmask_b32_e32 v14, v14, v23, vcc
	v_lshlrev_b32_e32 v20, 16, v7
	v_bfrev_b32_e32 v21, 60
	v_lshlrev_b32_e32 v14, 20, v14
	v_and_b32_e32 v20, 0x80000000, v20
	v_lshl_add_u32 v6, v6, 23, v21
	v_or3_b32 v6, v20, v6, v14
	v_lshrrev_b32_e32 v14, 16, v6
.LBB895_625:
	s_or_b64 exec, exec, s[10:11]
.LBB895_626:
	s_or_b64 exec, exec, s[8:9]
.LBB895_627:
	s_or_b64 exec, exec, s[2:3]
	s_movk_i32 s2, 0xff
	v_and_b32_sdwa v23, v7, s2 dst_sel:DWORD dst_unused:UNUSED_PAD src0_sel:WORD_1 src1_sel:DWORD
	v_lshrrev_b32_e32 v6, 16, v7
	v_cmp_ne_u16_e32 vcc, 0, v23
	v_mov_b32_e32 v20, 0
	v_mov_b32_e32 v21, 0
	s_and_saveexec_b64 s[2:3], vcc
	s_cbranch_execz .LBB895_633
; %bb.628:
	s_movk_i32 s7, 0x80
	v_cmp_ne_u16_e32 vcc, s7, v23
	v_mov_b32_e32 v21, 0xffff8000
	s_and_saveexec_b64 s[8:9], vcc
	s_cbranch_execz .LBB895_632
; %bb.629:
	v_bfe_u32 v23, v7, 16, 7
	s_movk_i32 s7, 0x7f
	v_cmp_ne_u32_e32 vcc, s7, v23
	v_mov_b32_e32 v21, 0x7f80
	s_and_saveexec_b64 s[10:11], vcc
	s_cbranch_execz .LBB895_631
; %bb.630:
	v_and_b32_e32 v21, 7, v6
	v_ffbh_u32_e32 v24, v21
	v_min_u32_e32 v27, 32, v24
	v_subrev_u32_e32 v24, 28, v27
	v_lshlrev_b64 v[24:25], v24, v[6:7]
	v_lshrrev_b32_e32 v26, 3, v23
	v_sub_u32_e32 v6, 29, v27
	v_and_b32_e32 v24, 7, v24
	v_cmp_gt_u32_e32 vcc, 8, v23
	v_mov_b32_e32 v23, 24
	v_cndmask_b32_e32 v6, v26, v6, vcc
	v_cndmask_b32_e32 v21, v21, v24, vcc
	v_lshlrev_b32_sdwa v23, v23, v7 dst_sel:DWORD dst_unused:UNUSED_PAD src0_sel:DWORD src1_sel:WORD_1
	v_bfrev_b32_e32 v24, 60
	v_lshlrev_b32_e32 v21, 20, v21
	v_and_b32_e32 v23, 0x80000000, v23
	v_lshl_add_u32 v6, v6, 23, v24
	v_or3_b32 v6, v23, v6, v21
	v_lshrrev_b32_e32 v21, 16, v6
.LBB895_631:
	s_or_b64 exec, exec, s[10:11]
.LBB895_632:
	s_or_b64 exec, exec, s[8:9]
.LBB895_633:
	s_or_b64 exec, exec, s[2:3]
	s_mov_b32 s2, 0xffffff
	v_cmp_lt_u32_e32 vcc, s2, v7
	s_and_saveexec_b64 s[2:3], vcc
	s_cbranch_execz .LBB895_639
; %bb.634:
	v_lshrrev_b32_e32 v6, 24, v7
	s_movk_i32 s7, 0x80
	v_cmp_ne_u32_e32 vcc, s7, v6
	v_mov_b32_e32 v20, 0xffff8000
	s_and_saveexec_b64 s[8:9], vcc
	s_cbranch_execz .LBB895_638
; %bb.635:
	v_bfe_u32 v7, v7, 24, 7
	s_movk_i32 s7, 0x7f
	v_cmp_ne_u32_e32 vcc, s7, v7
	v_mov_b32_e32 v20, 0x7f80
	s_and_saveexec_b64 s[10:11], vcc
	s_cbranch_execz .LBB895_637
; %bb.636:
	v_and_b32_e32 v20, 7, v6
	v_ffbh_u32_e32 v24, v20
	v_min_u32_e32 v26, 32, v24
	v_subrev_u32_e32 v24, 28, v26
	v_lshlrev_b64 v[24:25], v24, v[6:7]
	v_lshrrev_b32_e32 v23, 3, v7
	v_sub_u32_e32 v25, 29, v26
	v_and_b32_e32 v24, 7, v24
	v_cmp_gt_u32_e32 vcc, 8, v7
	v_cndmask_b32_e32 v7, v23, v25, vcc
	v_cndmask_b32_e32 v20, v20, v24, vcc
	v_lshlrev_b32_e32 v6, 24, v6
	v_bfrev_b32_e32 v23, 60
	v_lshlrev_b32_e32 v20, 20, v20
	v_and_b32_e32 v6, 0x80000000, v6
	v_lshl_add_u32 v7, v7, 23, v23
	v_or3_b32 v6, v6, v7, v20
	v_lshrrev_b32_e32 v20, 16, v6
.LBB895_637:
	s_or_b64 exec, exec, s[10:11]
.LBB895_638:
	s_or_b64 exec, exec, s[8:9]
.LBB895_639:
	s_or_b64 exec, exec, s[2:3]
	s_mov_b32 s2, 0x5040100
	v_perm_b32 v7, v17, v18, s2
	v_perm_b32 v6, v15, v16, s2
	ds_read_b128 v[24:27], v22 offset:4096
	v_perm_b32 v17, v20, v21, s2
	v_perm_b32 v16, v14, v19, s2
	s_waitcnt lgkmcnt(0)
	v_mfma_f32_16x16x16bf16_1k v[10:13], v[6:7], v[24:25], v[10:13]
	v_mov_b32_e32 v7, 0
	v_cmp_ne_u16_sdwa s[8:9], v8, v7 src0_sel:BYTE_0 src1_sel:DWORD
	v_mov_b32_e32 v14, 0
	v_mfma_f32_16x16x16bf16_1k v[10:13], v[16:17], v[26:27], v[10:13]
	s_and_saveexec_b64 s[2:3], s[8:9]
	s_cbranch_execz .LBB895_645
; %bb.640:
	s_movk_i32 s7, 0x80
	v_cmp_ne_u16_sdwa s[10:11], v8, s7 src0_sel:BYTE_0 src1_sel:DWORD
	v_mov_b32_e32 v14, 0xffff8000
	s_and_saveexec_b64 s[8:9], s[10:11]
	s_cbranch_execz .LBB895_644
; %bb.641:
	s_movk_i32 s7, 0x7f
	v_and_b32_e32 v6, 0x7f, v8
	v_cmp_ne_u32_e32 vcc, s7, v6
	v_mov_b32_e32 v14, 0x7f80
	s_and_saveexec_b64 s[10:11], vcc
	s_cbranch_execz .LBB895_643
; %bb.642:
	v_and_b32_e32 v16, 7, v8
	v_ffbh_u32_e32 v14, v16
	v_min_u32_e32 v18, 32, v14
	v_subrev_u32_e32 v14, 28, v18
	v_lshlrev_b64 v[14:15], v14, v[8:9]
	v_lshrrev_b32_e32 v17, 3, v6
	v_sub_u32_e32 v15, 29, v18
	v_and_b32_e32 v14, 7, v14
	v_cmp_gt_u32_e32 vcc, 8, v6
	v_cndmask_b32_e32 v6, v17, v15, vcc
	v_cndmask_b32_e32 v14, v16, v14, vcc
	v_lshlrev_b32_e32 v15, 24, v8
	v_bfrev_b32_e32 v16, 60
	v_lshlrev_b32_e32 v14, 20, v14
	v_and_b32_e32 v15, 0x80000000, v15
	v_lshl_add_u32 v6, v6, 23, v16
	v_or3_b32 v6, v15, v6, v14
	v_lshrrev_b32_e32 v14, 16, v6
.LBB895_643:
	s_or_b64 exec, exec, s[10:11]
.LBB895_644:
	s_or_b64 exec, exec, s[8:9]
.LBB895_645:
	s_or_b64 exec, exec, s[2:3]
	v_lshrrev_b16_e32 v6, 8, v8
	v_cmp_ne_u16_e32 vcc, 0, v6
	s_and_saveexec_b64 s[2:3], vcc
	s_cbranch_execz .LBB895_651
; %bb.646:
	s_movk_i32 s7, 0x80
	v_cmp_ne_u16_e32 vcc, s7, v6
	v_mov_b32_e32 v7, 0xffff8000
	s_and_saveexec_b64 s[8:9], vcc
	s_cbranch_execz .LBB895_650
; %bb.647:
	s_movk_i32 s7, 0x7f
	v_and_b32_e32 v15, 0x7f, v6
	v_cmp_ne_u32_e32 vcc, s7, v15
	v_mov_b32_e32 v7, 0x7f80
	s_and_saveexec_b64 s[10:11], vcc
	s_cbranch_execz .LBB895_649
; %bb.648:
	v_and_b32_e32 v16, 7, v6
	v_ffbh_u32_e32 v7, v16
	v_min_u32_e32 v18, 32, v7
	v_subrev_u32_e32 v7, 28, v18
	v_lshlrev_b64 v[6:7], v7, v[6:7]
	v_lshrrev_b32_e32 v17, 3, v15
	v_sub_u32_e32 v7, 29, v18
	v_and_b32_e32 v6, 7, v6
	v_cmp_gt_u32_e32 vcc, 8, v15
	v_cndmask_b32_e32 v7, v17, v7, vcc
	v_cndmask_b32_e32 v6, v16, v6, vcc
	v_lshlrev_b32_e32 v15, 16, v8
	v_bfrev_b32_e32 v16, 60
	v_lshlrev_b32_e32 v6, 20, v6
	v_and_b32_e32 v15, 0x80000000, v15
	v_lshl_add_u32 v7, v7, 23, v16
	v_or3_b32 v6, v15, v7, v6
	v_lshrrev_b32_e32 v7, 16, v6
.LBB895_649:
	s_or_b64 exec, exec, s[10:11]
.LBB895_650:
	s_or_b64 exec, exec, s[8:9]
.LBB895_651:
	s_or_b64 exec, exec, s[2:3]
	s_movk_i32 s2, 0xff
	v_and_b32_sdwa v17, v8, s2 dst_sel:DWORD dst_unused:UNUSED_PAD src0_sel:WORD_1 src1_sel:DWORD
	v_lshrrev_b32_e32 v6, 16, v8
	v_cmp_ne_u16_e32 vcc, 0, v17
	v_mov_b32_e32 v15, 0
	v_mov_b32_e32 v16, 0
	s_and_saveexec_b64 s[2:3], vcc
	s_cbranch_execz .LBB895_657
; %bb.652:
	s_movk_i32 s7, 0x80
	v_cmp_ne_u16_e32 vcc, s7, v17
	v_mov_b32_e32 v16, 0xffff8000
	s_and_saveexec_b64 s[8:9], vcc
	s_cbranch_execz .LBB895_656
; %bb.653:
	v_bfe_u32 v17, v8, 16, 7
	s_movk_i32 s7, 0x7f
	v_cmp_ne_u32_e32 vcc, s7, v17
	v_mov_b32_e32 v16, 0x7f80
	s_and_saveexec_b64 s[10:11], vcc
	s_cbranch_execz .LBB895_655
; %bb.654:
	v_and_b32_e32 v16, 7, v6
	v_ffbh_u32_e32 v18, v16
	v_min_u32_e32 v21, 32, v18
	v_subrev_u32_e32 v18, 28, v21
	v_lshlrev_b64 v[18:19], v18, v[6:7]
	v_lshrrev_b32_e32 v20, 3, v17
	v_sub_u32_e32 v6, 29, v21
	v_and_b32_e32 v18, 7, v18
	v_cmp_gt_u32_e32 vcc, 8, v17
	v_mov_b32_e32 v17, 24
	v_cndmask_b32_e32 v6, v20, v6, vcc
	v_cndmask_b32_e32 v16, v16, v18, vcc
	v_lshlrev_b32_sdwa v17, v17, v8 dst_sel:DWORD dst_unused:UNUSED_PAD src0_sel:DWORD src1_sel:WORD_1
	v_bfrev_b32_e32 v18, 60
	v_lshlrev_b32_e32 v16, 20, v16
	v_and_b32_e32 v17, 0x80000000, v17
	v_lshl_add_u32 v6, v6, 23, v18
	v_or3_b32 v6, v17, v6, v16
	v_lshrrev_b32_e32 v16, 16, v6
.LBB895_655:
	s_or_b64 exec, exec, s[10:11]
.LBB895_656:
	s_or_b64 exec, exec, s[8:9]
.LBB895_657:
	s_or_b64 exec, exec, s[2:3]
	s_mov_b32 s2, 0xffffff
	v_cmp_lt_u32_e32 vcc, s2, v8
	s_and_saveexec_b64 s[2:3], vcc
	s_cbranch_execz .LBB895_663
; %bb.658:
	v_lshrrev_b32_e32 v6, 24, v8
	s_movk_i32 s7, 0x80
	v_cmp_ne_u32_e32 vcc, s7, v6
	v_mov_b32_e32 v15, 0xffff8000
	s_and_saveexec_b64 s[8:9], vcc
	s_cbranch_execz .LBB895_662
; %bb.659:
	v_bfe_u32 v8, v8, 24, 7
	s_movk_i32 s7, 0x7f
	v_cmp_ne_u32_e32 vcc, s7, v8
	v_mov_b32_e32 v15, 0x7f80
	s_and_saveexec_b64 s[10:11], vcc
	s_cbranch_execz .LBB895_661
; %bb.660:
	v_and_b32_e32 v15, 7, v6
	v_ffbh_u32_e32 v18, v15
	v_min_u32_e32 v20, 32, v18
	v_subrev_u32_e32 v18, 28, v20
	v_lshlrev_b64 v[18:19], v18, v[6:7]
	v_lshrrev_b32_e32 v17, 3, v8
	v_sub_u32_e32 v19, 29, v20
	v_and_b32_e32 v18, 7, v18
	v_cmp_gt_u32_e32 vcc, 8, v8
	v_cndmask_b32_e32 v8, v17, v19, vcc
	v_cndmask_b32_e32 v15, v15, v18, vcc
	v_lshlrev_b32_e32 v6, 24, v6
	v_bfrev_b32_e32 v17, 60
	v_lshlrev_b32_e32 v15, 20, v15
	v_and_b32_e32 v6, 0x80000000, v6
	v_lshl_add_u32 v8, v8, 23, v17
	v_or3_b32 v6, v6, v8, v15
	v_lshrrev_b32_e32 v15, 16, v6
.LBB895_661:
	s_or_b64 exec, exec, s[10:11]
.LBB895_662:
	s_or_b64 exec, exec, s[8:9]
.LBB895_663:
	s_or_b64 exec, exec, s[2:3]
	v_mov_b32_e32 v8, 0
	v_cmp_ne_u16_sdwa s[8:9], v9, v8 src0_sel:BYTE_0 src1_sel:DWORD
	v_mov_b32_e32 v17, 0
	s_and_saveexec_b64 s[2:3], s[8:9]
	s_cbranch_execz .LBB895_669
; %bb.664:
	s_movk_i32 s7, 0x80
	v_cmp_ne_u16_sdwa s[10:11], v9, s7 src0_sel:BYTE_0 src1_sel:DWORD
	v_mov_b32_e32 v17, 0xffff8000
	s_and_saveexec_b64 s[8:9], s[10:11]
	s_cbranch_execz .LBB895_668
; %bb.665:
	s_movk_i32 s7, 0x7f
	v_and_b32_e32 v6, 0x7f, v9
	v_cmp_ne_u32_e32 vcc, s7, v6
	v_mov_b32_e32 v17, 0x7f80
	s_and_saveexec_b64 s[10:11], vcc
	s_cbranch_execz .LBB895_667
; %bb.666:
	v_and_b32_e32 v17, 7, v9
	v_ffbh_u32_e32 v19, v17
	v_min_u32_e32 v21, 32, v19
	v_mov_b32_e32 v18, v9
	v_subrev_u32_e32 v19, 28, v21
	v_lshlrev_b64 v[18:19], v19, v[18:19]
	v_lshrrev_b32_e32 v20, 3, v6
	v_sub_u32_e32 v19, 29, v21
	v_and_b32_e32 v18, 7, v18
	v_cmp_gt_u32_e32 vcc, 8, v6
	v_cndmask_b32_e32 v6, v20, v19, vcc
	v_cndmask_b32_e32 v17, v17, v18, vcc
	v_lshlrev_b32_e32 v18, 24, v9
	v_bfrev_b32_e32 v19, 60
	v_lshlrev_b32_e32 v17, 20, v17
	v_and_b32_e32 v18, 0x80000000, v18
	v_lshl_add_u32 v6, v6, 23, v19
	v_or3_b32 v6, v18, v6, v17
	v_lshrrev_b32_e32 v17, 16, v6
.LBB895_667:
	s_or_b64 exec, exec, s[10:11]
.LBB895_668:
	s_or_b64 exec, exec, s[8:9]
.LBB895_669:
	s_or_b64 exec, exec, s[2:3]
	v_lshrrev_b16_e32 v6, 8, v9
	v_cmp_ne_u16_e32 vcc, 0, v6
	s_and_saveexec_b64 s[2:3], vcc
	s_cbranch_execz .LBB895_675
; %bb.670:
	s_movk_i32 s7, 0x80
	v_cmp_ne_u16_e32 vcc, s7, v6
	v_mov_b32_e32 v8, 0xffff8000
	s_and_saveexec_b64 s[8:9], vcc
	s_cbranch_execz .LBB895_674
; %bb.671:
	s_movk_i32 s7, 0x7f
	v_and_b32_e32 v18, 0x7f, v6
	v_cmp_ne_u32_e32 vcc, s7, v18
	v_mov_b32_e32 v8, 0x7f80
	s_and_saveexec_b64 s[10:11], vcc
	s_cbranch_execz .LBB895_673
; %bb.672:
	v_and_b32_e32 v8, 7, v6
	v_ffbh_u32_e32 v20, v8
	v_min_u32_e32 v23, 32, v20
	v_subrev_u32_e32 v20, 28, v23
	v_lshlrev_b64 v[20:21], v20, v[6:7]
	v_lshrrev_b32_e32 v19, 3, v18
	v_sub_u32_e32 v6, 29, v23
	v_and_b32_e32 v20, 7, v20
	v_cmp_gt_u32_e32 vcc, 8, v18
	v_cndmask_b32_e32 v6, v19, v6, vcc
	v_cndmask_b32_e32 v8, v8, v20, vcc
	v_lshlrev_b32_e32 v18, 16, v9
	v_bfrev_b32_e32 v19, 60
	v_lshlrev_b32_e32 v8, 20, v8
	v_and_b32_e32 v18, 0x80000000, v18
	v_lshl_add_u32 v6, v6, 23, v19
	v_or3_b32 v6, v18, v6, v8
	v_lshrrev_b32_e32 v8, 16, v6
.LBB895_673:
	s_or_b64 exec, exec, s[10:11]
.LBB895_674:
	s_or_b64 exec, exec, s[8:9]
.LBB895_675:
	s_or_b64 exec, exec, s[2:3]
	s_movk_i32 s2, 0xff
	v_and_b32_sdwa v20, v9, s2 dst_sel:DWORD dst_unused:UNUSED_PAD src0_sel:WORD_1 src1_sel:DWORD
	v_lshrrev_b32_e32 v6, 16, v9
	v_cmp_ne_u16_e32 vcc, 0, v20
	v_mov_b32_e32 v18, 0
	v_mov_b32_e32 v19, 0
	s_and_saveexec_b64 s[2:3], vcc
	s_cbranch_execz .LBB895_681
; %bb.676:
	s_movk_i32 s7, 0x80
	v_cmp_ne_u16_e32 vcc, s7, v20
	v_mov_b32_e32 v19, 0xffff8000
	s_and_saveexec_b64 s[8:9], vcc
	s_cbranch_execz .LBB895_680
; %bb.677:
	v_bfe_u32 v20, v9, 16, 7
	s_movk_i32 s7, 0x7f
	v_cmp_ne_u32_e32 vcc, s7, v20
	v_mov_b32_e32 v19, 0x7f80
	s_and_saveexec_b64 s[10:11], vcc
	s_cbranch_execz .LBB895_679
; %bb.678:
	v_and_b32_e32 v19, 7, v6
	v_ffbh_u32_e32 v23, v19
	v_min_u32_e32 v23, 32, v23
	v_subrev_u32_e32 v24, 28, v23
	v_lshlrev_b64 v[24:25], v24, v[6:7]
	v_lshrrev_b32_e32 v21, 3, v20
	v_sub_u32_e32 v6, 29, v23
	v_and_b32_e32 v23, 7, v24
	v_cmp_gt_u32_e32 vcc, 8, v20
	v_mov_b32_e32 v20, 24
	v_cndmask_b32_e32 v6, v21, v6, vcc
	v_cndmask_b32_e32 v19, v19, v23, vcc
	v_lshlrev_b32_sdwa v20, v20, v9 dst_sel:DWORD dst_unused:UNUSED_PAD src0_sel:DWORD src1_sel:WORD_1
	v_bfrev_b32_e32 v21, 60
	v_lshlrev_b32_e32 v19, 20, v19
	v_and_b32_e32 v20, 0x80000000, v20
	v_lshl_add_u32 v6, v6, 23, v21
	v_or3_b32 v6, v20, v6, v19
	v_lshrrev_b32_e32 v19, 16, v6
.LBB895_679:
	s_or_b64 exec, exec, s[10:11]
.LBB895_680:
	s_or_b64 exec, exec, s[8:9]
.LBB895_681:
	s_or_b64 exec, exec, s[2:3]
	s_mov_b32 s2, 0xffffff
	v_cmp_lt_u32_e32 vcc, s2, v9
	s_and_saveexec_b64 s[2:3], vcc
	s_cbranch_execz .LBB895_687
; %bb.682:
	v_lshrrev_b32_e32 v6, 24, v9
	s_movk_i32 s7, 0x80
	v_cmp_ne_u32_e32 vcc, s7, v6
	v_mov_b32_e32 v18, 0xffff8000
	s_and_saveexec_b64 s[8:9], vcc
	s_cbranch_execz .LBB895_686
; %bb.683:
	v_bfe_u32 v9, v9, 24, 7
	s_movk_i32 s7, 0x7f
	v_cmp_ne_u32_e32 vcc, s7, v9
	v_mov_b32_e32 v18, 0x7f80
	s_and_saveexec_b64 s[10:11], vcc
	s_cbranch_execz .LBB895_685
; %bb.684:
	v_and_b32_e32 v18, 7, v6
	v_ffbh_u32_e32 v20, v18
	v_min_u32_e32 v24, 32, v20
	v_subrev_u32_e32 v20, 28, v24
	v_lshlrev_b64 v[20:21], v20, v[6:7]
	v_lshrrev_b32_e32 v23, 3, v9
	v_sub_u32_e32 v21, 29, v24
	v_and_b32_e32 v20, 7, v20
	v_cmp_gt_u32_e32 vcc, 8, v9
	v_cndmask_b32_e32 v9, v23, v21, vcc
	v_cndmask_b32_e32 v18, v18, v20, vcc
	v_lshlrev_b32_e32 v6, 24, v6
	v_bfrev_b32_e32 v20, 60
	v_lshlrev_b32_e32 v18, 20, v18
	v_and_b32_e32 v6, 0x80000000, v6
	v_lshl_add_u32 v9, v9, 23, v20
	v_or3_b32 v6, v6, v9, v18
	v_lshrrev_b32_e32 v18, 16, v6
.LBB895_685:
	s_or_b64 exec, exec, s[10:11]
.LBB895_686:
	s_or_b64 exec, exec, s[8:9]
.LBB895_687:
	s_or_b64 exec, exec, s[2:3]
	s_mov_b32 s2, 0x5040100
	v_perm_b32 v15, v15, v16, s2
	v_perm_b32 v14, v7, v14, s2
	ds_read_b128 v[24:27], v22 offset:4112
	v_perm_b32 v7, v18, v19, s2
	v_perm_b32 v6, v8, v17, s2
	s_waitcnt lgkmcnt(0)
	v_mfma_f32_16x16x16bf16_1k v[30:33], v[14:15], v[24:25], v[10:13]
	s_nop 6
	v_mov_b32_e32 v11, 0
	s_waitcnt vmcnt(0)
	v_cmp_ne_u16_sdwa s[8:9], v2, v11 src0_sel:BYTE_0 src1_sel:DWORD
	v_mfma_f32_16x16x16bf16_1k v[6:9], v[6:7], v[26:27], v[30:33]
	v_mov_b32_e32 v12, 0
	s_and_saveexec_b64 s[2:3], s[8:9]
	s_cbranch_execz .LBB895_693
; %bb.688:
	s_movk_i32 s7, 0x80
	v_cmp_ne_u16_sdwa s[10:11], v2, s7 src0_sel:BYTE_0 src1_sel:DWORD
	v_mov_b32_e32 v12, 0xffff8000
	s_and_saveexec_b64 s[8:9], s[10:11]
	s_cbranch_execz .LBB895_692
; %bb.689:
	s_movk_i32 s7, 0x7f
	v_and_b32_e32 v10, 0x7f, v2
	v_cmp_ne_u32_e32 vcc, s7, v10
	v_mov_b32_e32 v12, 0x7f80
	s_and_saveexec_b64 s[10:11], vcc
	s_cbranch_execz .LBB895_691
; %bb.690:
	v_and_b32_e32 v14, 7, v2
	v_ffbh_u32_e32 v12, v14
	v_min_u32_e32 v16, 32, v12
	v_subrev_u32_e32 v12, 28, v16
	v_lshlrev_b64 v[12:13], v12, v[2:3]
	v_lshrrev_b32_e32 v15, 3, v10
	v_sub_u32_e32 v13, 29, v16
	v_and_b32_e32 v12, 7, v12
	v_cmp_gt_u32_e32 vcc, 8, v10
	v_cndmask_b32_e32 v10, v15, v13, vcc
	v_cndmask_b32_e32 v12, v14, v12, vcc
	v_lshlrev_b32_e32 v13, 24, v2
	v_bfrev_b32_e32 v14, 60
	v_lshlrev_b32_e32 v12, 20, v12
	v_and_b32_e32 v13, 0x80000000, v13
	v_lshl_add_u32 v10, v10, 23, v14
	v_or3_b32 v10, v13, v10, v12
	v_lshrrev_b32_e32 v12, 16, v10
.LBB895_691:
	s_or_b64 exec, exec, s[10:11]
.LBB895_692:
	s_or_b64 exec, exec, s[8:9]
.LBB895_693:
	s_or_b64 exec, exec, s[2:3]
	v_lshrrev_b16_e32 v10, 8, v2
	v_cmp_ne_u16_e32 vcc, 0, v10
	s_and_saveexec_b64 s[2:3], vcc
	s_cbranch_execz .LBB895_699
; %bb.694:
	s_movk_i32 s7, 0x80
	v_cmp_ne_u16_e32 vcc, s7, v10
	v_mov_b32_e32 v11, 0xffff8000
	s_and_saveexec_b64 s[8:9], vcc
	s_cbranch_execz .LBB895_698
; %bb.695:
	s_movk_i32 s7, 0x7f
	v_and_b32_e32 v13, 0x7f, v10
	v_cmp_ne_u32_e32 vcc, s7, v13
	v_mov_b32_e32 v11, 0x7f80
	s_and_saveexec_b64 s[10:11], vcc
	s_cbranch_execz .LBB895_697
; %bb.696:
	v_and_b32_e32 v14, 7, v10
	v_ffbh_u32_e32 v11, v14
	v_min_u32_e32 v16, 32, v11
	v_subrev_u32_e32 v11, 28, v16
	v_lshlrev_b64 v[10:11], v11, v[10:11]
	v_lshrrev_b32_e32 v15, 3, v13
	v_sub_u32_e32 v11, 29, v16
	v_and_b32_e32 v10, 7, v10
	v_cmp_gt_u32_e32 vcc, 8, v13
	v_cndmask_b32_e32 v11, v15, v11, vcc
	v_cndmask_b32_e32 v10, v14, v10, vcc
	v_lshlrev_b32_e32 v13, 16, v2
	v_bfrev_b32_e32 v14, 60
	v_lshlrev_b32_e32 v10, 20, v10
	v_and_b32_e32 v13, 0x80000000, v13
	v_lshl_add_u32 v11, v11, 23, v14
	v_or3_b32 v10, v13, v11, v10
	v_lshrrev_b32_e32 v11, 16, v10
.LBB895_697:
	s_or_b64 exec, exec, s[10:11]
.LBB895_698:
	s_or_b64 exec, exec, s[8:9]
.LBB895_699:
	s_or_b64 exec, exec, s[2:3]
	s_movk_i32 s2, 0xff
	v_and_b32_sdwa v15, v2, s2 dst_sel:DWORD dst_unused:UNUSED_PAD src0_sel:WORD_1 src1_sel:DWORD
	v_lshrrev_b32_e32 v10, 16, v2
	v_cmp_ne_u16_e32 vcc, 0, v15
	v_mov_b32_e32 v13, 0
	v_mov_b32_e32 v14, 0
	s_and_saveexec_b64 s[2:3], vcc
	s_cbranch_execz .LBB895_705
; %bb.700:
	s_movk_i32 s7, 0x80
	v_cmp_ne_u16_e32 vcc, s7, v15
	v_mov_b32_e32 v14, 0xffff8000
	s_and_saveexec_b64 s[8:9], vcc
	s_cbranch_execz .LBB895_704
; %bb.701:
	v_bfe_u32 v15, v2, 16, 7
	s_movk_i32 s7, 0x7f
	v_cmp_ne_u32_e32 vcc, s7, v15
	v_mov_b32_e32 v14, 0x7f80
	s_and_saveexec_b64 s[10:11], vcc
	s_cbranch_execz .LBB895_703
; %bb.702:
	v_and_b32_e32 v14, 7, v10
	v_ffbh_u32_e32 v16, v14
	v_min_u32_e32 v19, 32, v16
	v_subrev_u32_e32 v16, 28, v19
	v_lshlrev_b64 v[16:17], v16, v[10:11]
	v_lshrrev_b32_e32 v18, 3, v15
	v_sub_u32_e32 v10, 29, v19
	v_and_b32_e32 v16, 7, v16
	v_cmp_gt_u32_e32 vcc, 8, v15
	v_mov_b32_e32 v15, 24
	v_cndmask_b32_e32 v10, v18, v10, vcc
	v_cndmask_b32_e32 v14, v14, v16, vcc
	v_lshlrev_b32_sdwa v15, v15, v2 dst_sel:DWORD dst_unused:UNUSED_PAD src0_sel:DWORD src1_sel:WORD_1
	v_bfrev_b32_e32 v16, 60
	v_lshlrev_b32_e32 v14, 20, v14
	v_and_b32_e32 v15, 0x80000000, v15
	v_lshl_add_u32 v10, v10, 23, v16
	v_or3_b32 v10, v15, v10, v14
	v_lshrrev_b32_e32 v14, 16, v10
.LBB895_703:
	s_or_b64 exec, exec, s[10:11]
.LBB895_704:
	s_or_b64 exec, exec, s[8:9]
.LBB895_705:
	s_or_b64 exec, exec, s[2:3]
	s_mov_b32 s2, 0xffffff
	v_cmp_lt_u32_e32 vcc, s2, v2
	s_and_saveexec_b64 s[2:3], vcc
	s_cbranch_execz .LBB895_711
; %bb.706:
	v_lshrrev_b32_e32 v10, 24, v2
	s_movk_i32 s7, 0x80
	v_cmp_ne_u32_e32 vcc, s7, v10
	v_mov_b32_e32 v13, 0xffff8000
	s_and_saveexec_b64 s[8:9], vcc
	s_cbranch_execz .LBB895_710
; %bb.707:
	v_bfe_u32 v2, v2, 24, 7
	s_movk_i32 s7, 0x7f
	v_cmp_ne_u32_e32 vcc, s7, v2
	v_mov_b32_e32 v13, 0x7f80
	s_and_saveexec_b64 s[10:11], vcc
	s_cbranch_execz .LBB895_709
; %bb.708:
	v_and_b32_e32 v13, 7, v10
	v_ffbh_u32_e32 v16, v13
	v_min_u32_e32 v18, 32, v16
	v_subrev_u32_e32 v16, 28, v18
	v_lshlrev_b64 v[16:17], v16, v[10:11]
	v_lshrrev_b32_e32 v15, 3, v2
	v_sub_u32_e32 v17, 29, v18
	v_and_b32_e32 v16, 7, v16
	v_cmp_gt_u32_e32 vcc, 8, v2
	v_cndmask_b32_e32 v2, v15, v17, vcc
	v_cndmask_b32_e32 v13, v13, v16, vcc
	v_lshlrev_b32_e32 v10, 24, v10
	v_bfrev_b32_e32 v15, 60
	v_lshlrev_b32_e32 v13, 20, v13
	v_and_b32_e32 v10, 0x80000000, v10
	v_lshl_add_u32 v2, v2, 23, v15
	v_or3_b32 v2, v10, v2, v13
	v_lshrrev_b32_e32 v13, 16, v2
.LBB895_709:
	s_or_b64 exec, exec, s[10:11]
.LBB895_710:
	s_or_b64 exec, exec, s[8:9]
.LBB895_711:
	s_or_b64 exec, exec, s[2:3]
	v_mov_b32_e32 v10, 0
	v_cmp_ne_u16_sdwa s[8:9], v3, v10 src0_sel:BYTE_0 src1_sel:DWORD
	v_mov_b32_e32 v15, 0
	s_and_saveexec_b64 s[2:3], s[8:9]
	s_cbranch_execz .LBB895_717
; %bb.712:
	s_movk_i32 s7, 0x80
	v_cmp_ne_u16_sdwa s[10:11], v3, s7 src0_sel:BYTE_0 src1_sel:DWORD
	v_mov_b32_e32 v15, 0xffff8000
	s_and_saveexec_b64 s[8:9], s[10:11]
	s_cbranch_execz .LBB895_716
; %bb.713:
	s_movk_i32 s7, 0x7f
	v_and_b32_e32 v2, 0x7f, v3
	v_cmp_ne_u32_e32 vcc, s7, v2
	v_mov_b32_e32 v15, 0x7f80
	s_and_saveexec_b64 s[10:11], vcc
	s_cbranch_execz .LBB895_715
; %bb.714:
	v_and_b32_e32 v15, 7, v3
	v_ffbh_u32_e32 v17, v15
	v_min_u32_e32 v19, 32, v17
	v_mov_b32_e32 v16, v3
	v_subrev_u32_e32 v17, 28, v19
	v_lshlrev_b64 v[16:17], v17, v[16:17]
	v_lshrrev_b32_e32 v18, 3, v2
	v_sub_u32_e32 v17, 29, v19
	v_and_b32_e32 v16, 7, v16
	v_cmp_gt_u32_e32 vcc, 8, v2
	v_cndmask_b32_e32 v2, v18, v17, vcc
	v_cndmask_b32_e32 v15, v15, v16, vcc
	v_lshlrev_b32_e32 v16, 24, v3
	v_bfrev_b32_e32 v17, 60
	v_lshlrev_b32_e32 v15, 20, v15
	v_and_b32_e32 v16, 0x80000000, v16
	v_lshl_add_u32 v2, v2, 23, v17
	v_or3_b32 v2, v16, v2, v15
	v_lshrrev_b32_e32 v15, 16, v2
.LBB895_715:
	s_or_b64 exec, exec, s[10:11]
.LBB895_716:
	s_or_b64 exec, exec, s[8:9]
.LBB895_717:
	s_or_b64 exec, exec, s[2:3]
	v_lshrrev_b16_e32 v2, 8, v3
	v_cmp_ne_u16_e32 vcc, 0, v2
	s_and_saveexec_b64 s[2:3], vcc
	s_cbranch_execz .LBB895_723
; %bb.718:
	s_movk_i32 s7, 0x80
	v_cmp_ne_u16_e32 vcc, s7, v2
	v_mov_b32_e32 v10, 0xffff8000
	s_and_saveexec_b64 s[8:9], vcc
	s_cbranch_execz .LBB895_722
; %bb.719:
	s_movk_i32 s7, 0x7f
	v_and_b32_e32 v16, 0x7f, v2
	v_cmp_ne_u32_e32 vcc, s7, v16
	v_mov_b32_e32 v10, 0x7f80
	s_and_saveexec_b64 s[10:11], vcc
	s_cbranch_execz .LBB895_721
; %bb.720:
	v_and_b32_e32 v10, 7, v2
	v_ffbh_u32_e32 v18, v10
	v_min_u32_e32 v20, 32, v18
	v_subrev_u32_e32 v18, 28, v20
	v_lshlrev_b64 v[18:19], v18, v[2:3]
	v_lshrrev_b32_e32 v17, 3, v16
	v_sub_u32_e32 v2, 29, v20
	v_and_b32_e32 v18, 7, v18
	v_cmp_gt_u32_e32 vcc, 8, v16
	v_cndmask_b32_e32 v2, v17, v2, vcc
	v_cndmask_b32_e32 v10, v10, v18, vcc
	v_lshlrev_b32_e32 v16, 16, v3
	v_bfrev_b32_e32 v17, 60
	v_lshlrev_b32_e32 v10, 20, v10
	v_and_b32_e32 v16, 0x80000000, v16
	v_lshl_add_u32 v2, v2, 23, v17
	v_or3_b32 v2, v16, v2, v10
	v_lshrrev_b32_e32 v10, 16, v2
.LBB895_721:
	s_or_b64 exec, exec, s[10:11]
.LBB895_722:
	s_or_b64 exec, exec, s[8:9]
.LBB895_723:
	s_or_b64 exec, exec, s[2:3]
	s_movk_i32 s2, 0xff
	v_and_b32_sdwa v18, v3, s2 dst_sel:DWORD dst_unused:UNUSED_PAD src0_sel:WORD_1 src1_sel:DWORD
	v_lshrrev_b32_e32 v2, 16, v3
	v_cmp_ne_u16_e32 vcc, 0, v18
	v_mov_b32_e32 v16, 0
	v_mov_b32_e32 v17, 0
	s_and_saveexec_b64 s[2:3], vcc
	s_cbranch_execz .LBB895_729
; %bb.724:
	s_movk_i32 s7, 0x80
	v_cmp_ne_u16_e32 vcc, s7, v18
	v_mov_b32_e32 v17, 0xffff8000
	s_and_saveexec_b64 s[8:9], vcc
	s_cbranch_execz .LBB895_728
; %bb.725:
	v_bfe_u32 v18, v3, 16, 7
	s_movk_i32 s7, 0x7f
	v_cmp_ne_u32_e32 vcc, s7, v18
	v_mov_b32_e32 v17, 0x7f80
	s_and_saveexec_b64 s[10:11], vcc
	s_cbranch_execz .LBB895_727
; %bb.726:
	v_and_b32_e32 v17, 7, v2
	v_ffbh_u32_e32 v20, v17
	v_min_u32_e32 v23, 32, v20
	v_subrev_u32_e32 v20, 28, v23
	v_lshlrev_b64 v[20:21], v20, v[2:3]
	v_lshrrev_b32_e32 v19, 3, v18
	v_sub_u32_e32 v2, 29, v23
	v_and_b32_e32 v20, 7, v20
	v_cmp_gt_u32_e32 vcc, 8, v18
	v_mov_b32_e32 v18, 24
	v_cndmask_b32_e32 v2, v19, v2, vcc
	v_cndmask_b32_e32 v17, v17, v20, vcc
	v_lshlrev_b32_sdwa v18, v18, v3 dst_sel:DWORD dst_unused:UNUSED_PAD src0_sel:DWORD src1_sel:WORD_1
	v_bfrev_b32_e32 v19, 60
	v_lshlrev_b32_e32 v17, 20, v17
	v_and_b32_e32 v18, 0x80000000, v18
	v_lshl_add_u32 v2, v2, 23, v19
	v_or3_b32 v2, v18, v2, v17
	v_lshrrev_b32_e32 v17, 16, v2
.LBB895_727:
	s_or_b64 exec, exec, s[10:11]
.LBB895_728:
	s_or_b64 exec, exec, s[8:9]
.LBB895_729:
	s_or_b64 exec, exec, s[2:3]
	s_mov_b32 s2, 0xffffff
	v_cmp_lt_u32_e32 vcc, s2, v3
	s_and_saveexec_b64 s[2:3], vcc
	s_cbranch_execz .LBB895_735
; %bb.730:
	v_lshrrev_b32_e32 v2, 24, v3
	s_movk_i32 s7, 0x80
	v_cmp_ne_u32_e32 vcc, s7, v2
	v_mov_b32_e32 v16, 0xffff8000
	s_and_saveexec_b64 s[8:9], vcc
	s_cbranch_execz .LBB895_734
; %bb.731:
	v_bfe_u32 v3, v3, 24, 7
	s_movk_i32 s7, 0x7f
	v_cmp_ne_u32_e32 vcc, s7, v3
	v_mov_b32_e32 v16, 0x7f80
	s_and_saveexec_b64 s[10:11], vcc
	s_cbranch_execz .LBB895_733
; %bb.732:
	v_and_b32_e32 v16, 7, v2
	v_ffbh_u32_e32 v18, v16
	v_min_u32_e32 v21, 32, v18
	v_subrev_u32_e32 v18, 28, v21
	v_lshlrev_b64 v[18:19], v18, v[2:3]
	v_lshrrev_b32_e32 v20, 3, v3
	v_sub_u32_e32 v19, 29, v21
	v_and_b32_e32 v18, 7, v18
	v_cmp_gt_u32_e32 vcc, 8, v3
	v_cndmask_b32_e32 v3, v20, v19, vcc
	v_cndmask_b32_e32 v16, v16, v18, vcc
	v_lshlrev_b32_e32 v2, 24, v2
	v_bfrev_b32_e32 v18, 60
	v_lshlrev_b32_e32 v16, 20, v16
	v_and_b32_e32 v2, 0x80000000, v2
	v_lshl_add_u32 v3, v3, 23, v18
	v_or3_b32 v2, v2, v3, v16
	v_lshrrev_b32_e32 v16, 16, v2
.LBB895_733:
	s_or_b64 exec, exec, s[10:11]
.LBB895_734:
	s_or_b64 exec, exec, s[8:9]
.LBB895_735:
	s_or_b64 exec, exec, s[2:3]
	s_mov_b32 s2, 0x5040100
	v_perm_b32 v3, v13, v14, s2
	v_perm_b32 v2, v11, v12, s2
	ds_read_b128 v[18:21], v22 offset:6144
	v_perm_b32 v13, v16, v17, s2
	v_perm_b32 v12, v10, v15, s2
	s_waitcnt lgkmcnt(0)
	v_mfma_f32_16x16x16bf16_1k v[6:9], v[2:3], v[18:19], v[6:9]
	v_mov_b32_e32 v3, 0
	v_cmp_ne_u16_sdwa s[8:9], v4, v3 src0_sel:BYTE_0 src1_sel:DWORD
	v_mov_b32_e32 v10, 0
	v_mfma_f32_16x16x16bf16_1k v[6:9], v[12:13], v[20:21], v[6:9]
	s_and_saveexec_b64 s[2:3], s[8:9]
	s_cbranch_execz .LBB895_741
; %bb.736:
	s_movk_i32 s7, 0x80
	v_cmp_ne_u16_sdwa s[10:11], v4, s7 src0_sel:BYTE_0 src1_sel:DWORD
	v_mov_b32_e32 v10, 0xffff8000
	s_and_saveexec_b64 s[8:9], s[10:11]
	s_cbranch_execz .LBB895_740
; %bb.737:
	s_movk_i32 s7, 0x7f
	v_and_b32_e32 v2, 0x7f, v4
	v_cmp_ne_u32_e32 vcc, s7, v2
	v_mov_b32_e32 v10, 0x7f80
	s_and_saveexec_b64 s[10:11], vcc
	s_cbranch_execz .LBB895_739
; %bb.738:
	v_and_b32_e32 v12, 7, v4
	v_ffbh_u32_e32 v10, v12
	v_min_u32_e32 v14, 32, v10
	v_subrev_u32_e32 v10, 28, v14
	v_lshlrev_b64 v[10:11], v10, v[4:5]
	v_lshrrev_b32_e32 v13, 3, v2
	v_sub_u32_e32 v11, 29, v14
	v_and_b32_e32 v10, 7, v10
	v_cmp_gt_u32_e32 vcc, 8, v2
	v_cndmask_b32_e32 v2, v13, v11, vcc
	v_cndmask_b32_e32 v10, v12, v10, vcc
	v_lshlrev_b32_e32 v11, 24, v4
	v_bfrev_b32_e32 v12, 60
	v_lshlrev_b32_e32 v10, 20, v10
	v_and_b32_e32 v11, 0x80000000, v11
	v_lshl_add_u32 v2, v2, 23, v12
	v_or3_b32 v2, v11, v2, v10
	v_lshrrev_b32_e32 v10, 16, v2
.LBB895_739:
	s_or_b64 exec, exec, s[10:11]
.LBB895_740:
	s_or_b64 exec, exec, s[8:9]
.LBB895_741:
	s_or_b64 exec, exec, s[2:3]
	v_lshrrev_b16_e32 v2, 8, v4
	v_cmp_ne_u16_e32 vcc, 0, v2
	s_and_saveexec_b64 s[2:3], vcc
	s_cbranch_execz .LBB895_747
; %bb.742:
	s_movk_i32 s7, 0x80
	v_cmp_ne_u16_e32 vcc, s7, v2
	v_mov_b32_e32 v3, 0xffff8000
	s_and_saveexec_b64 s[8:9], vcc
	s_cbranch_execz .LBB895_746
; %bb.743:
	s_movk_i32 s7, 0x7f
	v_and_b32_e32 v11, 0x7f, v2
	v_cmp_ne_u32_e32 vcc, s7, v11
	v_mov_b32_e32 v3, 0x7f80
	s_and_saveexec_b64 s[10:11], vcc
	s_cbranch_execz .LBB895_745
; %bb.744:
	v_and_b32_e32 v12, 7, v2
	v_ffbh_u32_e32 v3, v12
	v_min_u32_e32 v14, 32, v3
	v_subrev_u32_e32 v3, 28, v14
	v_lshlrev_b64 v[2:3], v3, v[2:3]
	v_lshrrev_b32_e32 v13, 3, v11
	v_sub_u32_e32 v3, 29, v14
	v_and_b32_e32 v2, 7, v2
	v_cmp_gt_u32_e32 vcc, 8, v11
	v_cndmask_b32_e32 v3, v13, v3, vcc
	v_cndmask_b32_e32 v2, v12, v2, vcc
	v_lshlrev_b32_e32 v11, 16, v4
	v_bfrev_b32_e32 v12, 60
	v_lshlrev_b32_e32 v2, 20, v2
	v_and_b32_e32 v11, 0x80000000, v11
	v_lshl_add_u32 v3, v3, 23, v12
	v_or3_b32 v2, v11, v3, v2
	v_lshrrev_b32_e32 v3, 16, v2
.LBB895_745:
	s_or_b64 exec, exec, s[10:11]
.LBB895_746:
	s_or_b64 exec, exec, s[8:9]
.LBB895_747:
	s_or_b64 exec, exec, s[2:3]
	s_movk_i32 s2, 0xff
	v_and_b32_sdwa v13, v4, s2 dst_sel:DWORD dst_unused:UNUSED_PAD src0_sel:WORD_1 src1_sel:DWORD
	v_lshrrev_b32_e32 v2, 16, v4
	v_cmp_ne_u16_e32 vcc, 0, v13
	v_mov_b32_e32 v11, 0
	v_mov_b32_e32 v12, 0
	s_and_saveexec_b64 s[2:3], vcc
	s_cbranch_execz .LBB895_753
; %bb.748:
	s_movk_i32 s7, 0x80
	v_cmp_ne_u16_e32 vcc, s7, v13
	v_mov_b32_e32 v12, 0xffff8000
	s_and_saveexec_b64 s[8:9], vcc
	s_cbranch_execz .LBB895_752
; %bb.749:
	v_bfe_u32 v13, v4, 16, 7
	s_movk_i32 s7, 0x7f
	v_cmp_ne_u32_e32 vcc, s7, v13
	v_mov_b32_e32 v12, 0x7f80
	s_and_saveexec_b64 s[10:11], vcc
	s_cbranch_execz .LBB895_751
; %bb.750:
	v_and_b32_e32 v12, 7, v2
	v_ffbh_u32_e32 v14, v12
	v_min_u32_e32 v17, 32, v14
	v_subrev_u32_e32 v14, 28, v17
	v_lshlrev_b64 v[14:15], v14, v[2:3]
	v_lshrrev_b32_e32 v16, 3, v13
	v_sub_u32_e32 v2, 29, v17
	v_and_b32_e32 v14, 7, v14
	v_cmp_gt_u32_e32 vcc, 8, v13
	v_mov_b32_e32 v13, 24
	v_cndmask_b32_e32 v2, v16, v2, vcc
	v_cndmask_b32_e32 v12, v12, v14, vcc
	v_lshlrev_b32_sdwa v13, v13, v4 dst_sel:DWORD dst_unused:UNUSED_PAD src0_sel:DWORD src1_sel:WORD_1
	v_bfrev_b32_e32 v14, 60
	v_lshlrev_b32_e32 v12, 20, v12
	v_and_b32_e32 v13, 0x80000000, v13
	v_lshl_add_u32 v2, v2, 23, v14
	v_or3_b32 v2, v13, v2, v12
	v_lshrrev_b32_e32 v12, 16, v2
.LBB895_751:
	s_or_b64 exec, exec, s[10:11]
.LBB895_752:
	s_or_b64 exec, exec, s[8:9]
.LBB895_753:
	s_or_b64 exec, exec, s[2:3]
	s_mov_b32 s2, 0xffffff
	v_cmp_lt_u32_e32 vcc, s2, v4
	s_and_saveexec_b64 s[2:3], vcc
	s_cbranch_execz .LBB895_759
; %bb.754:
	v_lshrrev_b32_e32 v2, 24, v4
	s_movk_i32 s7, 0x80
	v_cmp_ne_u32_e32 vcc, s7, v2
	v_mov_b32_e32 v11, 0xffff8000
	s_and_saveexec_b64 s[8:9], vcc
	s_cbranch_execz .LBB895_758
; %bb.755:
	v_bfe_u32 v4, v4, 24, 7
	s_movk_i32 s7, 0x7f
	v_cmp_ne_u32_e32 vcc, s7, v4
	v_mov_b32_e32 v11, 0x7f80
	s_and_saveexec_b64 s[10:11], vcc
	s_cbranch_execz .LBB895_757
; %bb.756:
	v_and_b32_e32 v11, 7, v2
	v_ffbh_u32_e32 v14, v11
	v_min_u32_e32 v16, 32, v14
	v_subrev_u32_e32 v14, 28, v16
	v_lshlrev_b64 v[14:15], v14, v[2:3]
	v_lshrrev_b32_e32 v13, 3, v4
	v_sub_u32_e32 v15, 29, v16
	v_and_b32_e32 v14, 7, v14
	v_cmp_gt_u32_e32 vcc, 8, v4
	v_cndmask_b32_e32 v4, v13, v15, vcc
	v_cndmask_b32_e32 v11, v11, v14, vcc
	v_lshlrev_b32_e32 v2, 24, v2
	v_bfrev_b32_e32 v13, 60
	v_lshlrev_b32_e32 v11, 20, v11
	v_and_b32_e32 v2, 0x80000000, v2
	v_lshl_add_u32 v4, v4, 23, v13
	v_or3_b32 v2, v2, v4, v11
	v_lshrrev_b32_e32 v11, 16, v2
.LBB895_757:
	s_or_b64 exec, exec, s[10:11]
.LBB895_758:
	s_or_b64 exec, exec, s[8:9]
.LBB895_759:
	s_or_b64 exec, exec, s[2:3]
	v_mov_b32_e32 v4, 0
	v_cmp_ne_u16_sdwa s[8:9], v5, v4 src0_sel:BYTE_0 src1_sel:DWORD
	v_mov_b32_e32 v13, 0
	s_and_saveexec_b64 s[2:3], s[8:9]
	s_cbranch_execz .LBB895_765
; %bb.760:
	s_movk_i32 s7, 0x80
	v_cmp_ne_u16_sdwa s[10:11], v5, s7 src0_sel:BYTE_0 src1_sel:DWORD
	v_mov_b32_e32 v13, 0xffff8000
	s_and_saveexec_b64 s[8:9], s[10:11]
	s_cbranch_execz .LBB895_764
; %bb.761:
	s_movk_i32 s7, 0x7f
	v_and_b32_e32 v2, 0x7f, v5
	v_cmp_ne_u32_e32 vcc, s7, v2
	v_mov_b32_e32 v13, 0x7f80
	s_and_saveexec_b64 s[10:11], vcc
	s_cbranch_execz .LBB895_763
; %bb.762:
	v_and_b32_e32 v13, 7, v5
	v_ffbh_u32_e32 v15, v13
	v_min_u32_e32 v17, 32, v15
	v_mov_b32_e32 v14, v5
	v_subrev_u32_e32 v15, 28, v17
	v_lshlrev_b64 v[14:15], v15, v[14:15]
	v_lshrrev_b32_e32 v16, 3, v2
	v_sub_u32_e32 v15, 29, v17
	v_and_b32_e32 v14, 7, v14
	v_cmp_gt_u32_e32 vcc, 8, v2
	v_cndmask_b32_e32 v2, v16, v15, vcc
	v_cndmask_b32_e32 v13, v13, v14, vcc
	v_lshlrev_b32_e32 v14, 24, v5
	v_bfrev_b32_e32 v15, 60
	v_lshlrev_b32_e32 v13, 20, v13
	v_and_b32_e32 v14, 0x80000000, v14
	v_lshl_add_u32 v2, v2, 23, v15
	v_or3_b32 v2, v14, v2, v13
	v_lshrrev_b32_e32 v13, 16, v2
.LBB895_763:
	s_or_b64 exec, exec, s[10:11]
.LBB895_764:
	s_or_b64 exec, exec, s[8:9]
.LBB895_765:
	s_or_b64 exec, exec, s[2:3]
	v_lshrrev_b16_e32 v2, 8, v5
	v_cmp_ne_u16_e32 vcc, 0, v2
	s_and_saveexec_b64 s[2:3], vcc
	s_cbranch_execz .LBB895_771
; %bb.766:
	s_movk_i32 s7, 0x80
	v_cmp_ne_u16_e32 vcc, s7, v2
	v_mov_b32_e32 v4, 0xffff8000
	s_and_saveexec_b64 s[8:9], vcc
	s_cbranch_execz .LBB895_770
; %bb.767:
	s_movk_i32 s7, 0x7f
	v_and_b32_e32 v14, 0x7f, v2
	v_cmp_ne_u32_e32 vcc, s7, v14
	v_mov_b32_e32 v4, 0x7f80
	s_and_saveexec_b64 s[10:11], vcc
	s_cbranch_execz .LBB895_769
; %bb.768:
	v_and_b32_e32 v4, 7, v2
	v_ffbh_u32_e32 v16, v4
	v_min_u32_e32 v18, 32, v16
	v_subrev_u32_e32 v16, 28, v18
	v_lshlrev_b64 v[16:17], v16, v[2:3]
	v_lshrrev_b32_e32 v15, 3, v14
	v_sub_u32_e32 v2, 29, v18
	v_and_b32_e32 v16, 7, v16
	v_cmp_gt_u32_e32 vcc, 8, v14
	v_cndmask_b32_e32 v2, v15, v2, vcc
	v_cndmask_b32_e32 v4, v4, v16, vcc
	v_lshlrev_b32_e32 v14, 16, v5
	v_bfrev_b32_e32 v15, 60
	v_lshlrev_b32_e32 v4, 20, v4
	v_and_b32_e32 v14, 0x80000000, v14
	v_lshl_add_u32 v2, v2, 23, v15
	v_or3_b32 v2, v14, v2, v4
	v_lshrrev_b32_e32 v4, 16, v2
.LBB895_769:
	s_or_b64 exec, exec, s[10:11]
.LBB895_770:
	s_or_b64 exec, exec, s[8:9]
.LBB895_771:
	s_or_b64 exec, exec, s[2:3]
	s_movk_i32 s2, 0xff
	v_and_b32_sdwa v16, v5, s2 dst_sel:DWORD dst_unused:UNUSED_PAD src0_sel:WORD_1 src1_sel:DWORD
	v_lshrrev_b32_e32 v2, 16, v5
	v_cmp_ne_u16_e32 vcc, 0, v16
	v_mov_b32_e32 v14, 0
	v_mov_b32_e32 v15, 0
	s_and_saveexec_b64 s[2:3], vcc
	s_cbranch_execz .LBB895_777
; %bb.772:
	s_movk_i32 s7, 0x80
	v_cmp_ne_u16_e32 vcc, s7, v16
	v_mov_b32_e32 v15, 0xffff8000
	s_and_saveexec_b64 s[8:9], vcc
	s_cbranch_execz .LBB895_776
; %bb.773:
	v_bfe_u32 v16, v5, 16, 7
	s_movk_i32 s7, 0x7f
	v_cmp_ne_u32_e32 vcc, s7, v16
	v_mov_b32_e32 v15, 0x7f80
	s_and_saveexec_b64 s[10:11], vcc
	s_cbranch_execz .LBB895_775
; %bb.774:
	v_and_b32_e32 v15, 7, v2
	v_ffbh_u32_e32 v18, v15
	v_min_u32_e32 v20, 32, v18
	v_subrev_u32_e32 v18, 28, v20
	v_lshlrev_b64 v[18:19], v18, v[2:3]
	v_lshrrev_b32_e32 v17, 3, v16
	v_sub_u32_e32 v2, 29, v20
	v_and_b32_e32 v18, 7, v18
	v_cmp_gt_u32_e32 vcc, 8, v16
	v_mov_b32_e32 v16, 24
	v_cndmask_b32_e32 v2, v17, v2, vcc
	v_cndmask_b32_e32 v15, v15, v18, vcc
	v_lshlrev_b32_sdwa v16, v16, v5 dst_sel:DWORD dst_unused:UNUSED_PAD src0_sel:DWORD src1_sel:WORD_1
	v_bfrev_b32_e32 v17, 60
	v_lshlrev_b32_e32 v15, 20, v15
	v_and_b32_e32 v16, 0x80000000, v16
	v_lshl_add_u32 v2, v2, 23, v17
	v_or3_b32 v2, v16, v2, v15
	v_lshrrev_b32_e32 v15, 16, v2
.LBB895_775:
	s_or_b64 exec, exec, s[10:11]
.LBB895_776:
	s_or_b64 exec, exec, s[8:9]
.LBB895_777:
	s_or_b64 exec, exec, s[2:3]
	s_mov_b32 s2, 0xffffff
	v_cmp_lt_u32_e32 vcc, s2, v5
	s_and_saveexec_b64 s[2:3], vcc
	s_cbranch_execz .LBB895_783
; %bb.778:
	v_lshrrev_b32_e32 v2, 24, v5
	s_movk_i32 s7, 0x80
	v_cmp_ne_u32_e32 vcc, s7, v2
	v_mov_b32_e32 v14, 0xffff8000
	s_and_saveexec_b64 s[8:9], vcc
	s_cbranch_execz .LBB895_782
; %bb.779:
	v_bfe_u32 v5, v5, 24, 7
	s_movk_i32 s7, 0x7f
	v_cmp_ne_u32_e32 vcc, s7, v5
	v_mov_b32_e32 v14, 0x7f80
	s_and_saveexec_b64 s[10:11], vcc
	s_cbranch_execz .LBB895_781
; %bb.780:
	v_and_b32_e32 v14, 7, v2
	v_ffbh_u32_e32 v16, v14
	v_min_u32_e32 v19, 32, v16
	v_subrev_u32_e32 v16, 28, v19
	v_lshlrev_b64 v[16:17], v16, v[2:3]
	v_lshrrev_b32_e32 v18, 3, v5
	v_sub_u32_e32 v17, 29, v19
	v_and_b32_e32 v16, 7, v16
	v_cmp_gt_u32_e32 vcc, 8, v5
	v_cndmask_b32_e32 v5, v18, v17, vcc
	v_cndmask_b32_e32 v14, v14, v16, vcc
	v_lshlrev_b32_e32 v2, 24, v2
	v_bfrev_b32_e32 v16, 60
	v_lshlrev_b32_e32 v14, 20, v14
	v_and_b32_e32 v2, 0x80000000, v2
	v_lshl_add_u32 v5, v5, 23, v16
	v_or3_b32 v2, v2, v5, v14
	v_lshrrev_b32_e32 v14, 16, v2
.LBB895_781:
	s_or_b64 exec, exec, s[10:11]
.LBB895_782:
	s_or_b64 exec, exec, s[8:9]
.LBB895_783:
	s_or_b64 exec, exec, s[2:3]
	s_mov_b32 s3, 0x5040100
	v_perm_b32 v11, v11, v12, s3
	ds_read_b128 v[16:19], v22 offset:6160
	v_perm_b32 v10, v3, v10, s3
	v_perm_b32 v3, v14, v15, s3
	;; [unrolled: 1-line block ×3, first 2 shown]
	s_waitcnt lgkmcnt(0)
	v_mfma_f32_16x16x16bf16_1k v[6:9], v[10:11], v[16:17], v[6:9]
	s_load_dword s2, s[42:43], 0x0
	s_mov_b32 s3, 0x7060302
	s_movk_i32 s7, 0x7fff
	v_cmp_gt_u32_e32 vcc, 64, v0
	s_waitcnt lgkmcnt(0)
	s_barrier
	v_mfma_f32_16x16x16bf16_1k v[2:5], v[2:3], v[18:19], v[6:9]
	s_nop 7
	s_nop 2
	v_pk_mul_f32 v[4:5], v[4:5], s[2:3] op_sel_hi:[1,0]
	v_pk_mul_f32 v[2:3], v[2:3], s[2:3] op_sel_hi:[1,0]
	v_bfe_u32 v6, v3, 16, 1
	v_bfe_u32 v7, v2, 16, 1
	;; [unrolled: 1-line block ×4, first 2 shown]
	v_add3_u32 v2, v2, v7, s7
	v_add3_u32 v3, v3, v6, s7
	;; [unrolled: 1-line block ×4, first 2 shown]
	v_perm_b32 v2, v3, v2, s3
	v_perm_b32 v3, v5, v4, s3
	v_cmp_gt_u32_e64 s[2:3], 32, v42
	s_and_b64 s[2:3], s[2:3], vcc
	s_and_b64 s[0:1], s[2:3], s[0:1]
	ds_write_b64 v28, v[2:3]
	s_waitcnt lgkmcnt(0)
	s_barrier
	s_and_saveexec_b64 s[2:3], s[0:1]
	s_cbranch_execz .LBB895_785
; %bb.784:
	s_load_dwordx2 s[0:1], s[4:5], 0x68
	s_mul_i32 s2, s12, s6
	s_lshl_b32 s4, s44, 6
	s_mul_hi_u32 s3, s2, s4
	s_mul_i32 s2, s2, s4
	s_lshl_b64 s[2:3], s[2:3], 1
	v_lshlrev_b32_e32 v0, 10, v0
	s_waitcnt lgkmcnt(0)
	s_add_u32 s2, s0, s2
	v_and_b32_e32 v0, 0x1800, v0
	v_lshlrev_b32_e32 v2, 5, v1
	v_and_b32_e32 v3, 16, v47
	s_addc_u32 s3, s1, s3
	s_lshl_b32 s0, s24, 6
	s_mov_b32 s1, 0
	v_or3_b32 v0, v0, v2, v3
	s_lshl_b64 s[0:1], s[0:1], 1
	ds_read_b128 v[2:5], v0
	s_add_u32 s2, s2, s0
	v_or_b32_e32 v0, s25, v1
	s_addc_u32 s3, s3, s1
	v_mad_u64_u32 v[0:1], s[0:1], s4, v0, 0
	v_lshlrev_b64 v[0:1], 1, v[0:1]
	v_mov_b32_e32 v6, s3
	v_add_co_u32_e32 v0, vcc, s2, v0
	v_addc_co_u32_e32 v1, vcc, v6, v1, vcc
	v_add_co_u32_e32 v0, vcc, v0, v46
	v_addc_co_u32_e32 v1, vcc, 0, v1, vcc
	s_waitcnt lgkmcnt(0)
	global_store_dwordx4 v[0:1], v[2:5], off
.LBB895_785:
	s_endpgm
	.section	.rodata,"a",@progbits
	.p2align	6, 0x0
	.amdhsa_kernel _Z39paged_attention_ll4mi_QKV_mfma16_kernelI14__hip_bfloat16hLN4vllm18Fp8KVCacheDataTypeE1ES0_Li32ELi64ELi256ELb0ELi2EL8MFMAType0EEvPKT_PKT0_S9_ifPKiSB_SB_iPKfiiiPfSE_PS4_PT2_iSD_SD_
		.amdhsa_group_segment_fixed_size 8192
		.amdhsa_private_segment_fixed_size 0
		.amdhsa_kernarg_size 400
		.amdhsa_user_sgpr_count 6
		.amdhsa_user_sgpr_private_segment_buffer 1
		.amdhsa_user_sgpr_dispatch_ptr 0
		.amdhsa_user_sgpr_queue_ptr 0
		.amdhsa_user_sgpr_kernarg_segment_ptr 1
		.amdhsa_user_sgpr_dispatch_id 0
		.amdhsa_user_sgpr_flat_scratch_init 0
		.amdhsa_user_sgpr_kernarg_preload_length 0
		.amdhsa_user_sgpr_kernarg_preload_offset 0
		.amdhsa_user_sgpr_private_segment_size 0
		.amdhsa_uses_dynamic_stack 0
		.amdhsa_system_sgpr_private_segment_wavefront_offset 0
		.amdhsa_system_sgpr_workgroup_id_x 1
		.amdhsa_system_sgpr_workgroup_id_y 1
		.amdhsa_system_sgpr_workgroup_id_z 1
		.amdhsa_system_sgpr_workgroup_info 0
		.amdhsa_system_vgpr_workitem_id 0
		.amdhsa_next_free_vgpr 62
		.amdhsa_next_free_sgpr 47
		.amdhsa_accum_offset 64
		.amdhsa_reserve_vcc 1
		.amdhsa_reserve_flat_scratch 0
		.amdhsa_float_round_mode_32 0
		.amdhsa_float_round_mode_16_64 0
		.amdhsa_float_denorm_mode_32 3
		.amdhsa_float_denorm_mode_16_64 3
		.amdhsa_dx10_clamp 1
		.amdhsa_ieee_mode 1
		.amdhsa_fp16_overflow 0
		.amdhsa_tg_split 0
		.amdhsa_exception_fp_ieee_invalid_op 0
		.amdhsa_exception_fp_denorm_src 0
		.amdhsa_exception_fp_ieee_div_zero 0
		.amdhsa_exception_fp_ieee_overflow 0
		.amdhsa_exception_fp_ieee_underflow 0
		.amdhsa_exception_fp_ieee_inexact 0
		.amdhsa_exception_int_div_zero 0
	.end_amdhsa_kernel
	.section	.text._Z39paged_attention_ll4mi_QKV_mfma16_kernelI14__hip_bfloat16hLN4vllm18Fp8KVCacheDataTypeE1ES0_Li32ELi64ELi256ELb0ELi2EL8MFMAType0EEvPKT_PKT0_S9_ifPKiSB_SB_iPKfiiiPfSE_PS4_PT2_iSD_SD_,"axG",@progbits,_Z39paged_attention_ll4mi_QKV_mfma16_kernelI14__hip_bfloat16hLN4vllm18Fp8KVCacheDataTypeE1ES0_Li32ELi64ELi256ELb0ELi2EL8MFMAType0EEvPKT_PKT0_S9_ifPKiSB_SB_iPKfiiiPfSE_PS4_PT2_iSD_SD_,comdat
.Lfunc_end895:
	.size	_Z39paged_attention_ll4mi_QKV_mfma16_kernelI14__hip_bfloat16hLN4vllm18Fp8KVCacheDataTypeE1ES0_Li32ELi64ELi256ELb0ELi2EL8MFMAType0EEvPKT_PKT0_S9_ifPKiSB_SB_iPKfiiiPfSE_PS4_PT2_iSD_SD_, .Lfunc_end895-_Z39paged_attention_ll4mi_QKV_mfma16_kernelI14__hip_bfloat16hLN4vllm18Fp8KVCacheDataTypeE1ES0_Li32ELi64ELi256ELb0ELi2EL8MFMAType0EEvPKT_PKT0_S9_ifPKiSB_SB_iPKfiiiPfSE_PS4_PT2_iSD_SD_
                                        ; -- End function
	.section	.AMDGPU.csdata,"",@progbits
; Kernel info:
; codeLenInByte = 28304
; NumSgprs: 51
; NumVgprs: 62
; NumAgprs: 0
; TotalNumVgprs: 62
; ScratchSize: 0
; MemoryBound: 0
; FloatMode: 240
; IeeeMode: 1
; LDSByteSize: 8192 bytes/workgroup (compile time only)
; SGPRBlocks: 6
; VGPRBlocks: 7
; NumSGPRsForWavesPerEU: 51
; NumVGPRsForWavesPerEU: 62
; AccumOffset: 64
; Occupancy: 8
; WaveLimiterHint : 1
; COMPUTE_PGM_RSRC2:SCRATCH_EN: 0
; COMPUTE_PGM_RSRC2:USER_SGPR: 6
; COMPUTE_PGM_RSRC2:TRAP_HANDLER: 0
; COMPUTE_PGM_RSRC2:TGID_X_EN: 1
; COMPUTE_PGM_RSRC2:TGID_Y_EN: 1
; COMPUTE_PGM_RSRC2:TGID_Z_EN: 1
; COMPUTE_PGM_RSRC2:TIDIG_COMP_CNT: 0
; COMPUTE_PGM_RSRC3_GFX90A:ACCUM_OFFSET: 15
; COMPUTE_PGM_RSRC3_GFX90A:TG_SPLIT: 0
	.section	.text._Z39paged_attention_ll4mi_QKV_mfma16_kernelI14__hip_bfloat16hLN4vllm18Fp8KVCacheDataTypeE1ES0_Li32ELi64ELi256ELb0ELi3EL8MFMAType0EEvPKT_PKT0_S9_ifPKiSB_SB_iPKfiiiPfSE_PS4_PT2_iSD_SD_,"axG",@progbits,_Z39paged_attention_ll4mi_QKV_mfma16_kernelI14__hip_bfloat16hLN4vllm18Fp8KVCacheDataTypeE1ES0_Li32ELi64ELi256ELb0ELi3EL8MFMAType0EEvPKT_PKT0_S9_ifPKiSB_SB_iPKfiiiPfSE_PS4_PT2_iSD_SD_,comdat
	.protected	_Z39paged_attention_ll4mi_QKV_mfma16_kernelI14__hip_bfloat16hLN4vllm18Fp8KVCacheDataTypeE1ES0_Li32ELi64ELi256ELb0ELi3EL8MFMAType0EEvPKT_PKT0_S9_ifPKiSB_SB_iPKfiiiPfSE_PS4_PT2_iSD_SD_ ; -- Begin function _Z39paged_attention_ll4mi_QKV_mfma16_kernelI14__hip_bfloat16hLN4vllm18Fp8KVCacheDataTypeE1ES0_Li32ELi64ELi256ELb0ELi3EL8MFMAType0EEvPKT_PKT0_S9_ifPKiSB_SB_iPKfiiiPfSE_PS4_PT2_iSD_SD_
	.globl	_Z39paged_attention_ll4mi_QKV_mfma16_kernelI14__hip_bfloat16hLN4vllm18Fp8KVCacheDataTypeE1ES0_Li32ELi64ELi256ELb0ELi3EL8MFMAType0EEvPKT_PKT0_S9_ifPKiSB_SB_iPKfiiiPfSE_PS4_PT2_iSD_SD_
	.p2align	8
	.type	_Z39paged_attention_ll4mi_QKV_mfma16_kernelI14__hip_bfloat16hLN4vllm18Fp8KVCacheDataTypeE1ES0_Li32ELi64ELi256ELb0ELi3EL8MFMAType0EEvPKT_PKT0_S9_ifPKiSB_SB_iPKfiiiPfSE_PS4_PT2_iSD_SD_,@function
_Z39paged_attention_ll4mi_QKV_mfma16_kernelI14__hip_bfloat16hLN4vllm18Fp8KVCacheDataTypeE1ES0_Li32ELi64ELi256ELb0ELi3EL8MFMAType0EEvPKT_PKT0_S9_ifPKiSB_SB_iPKfiiiPfSE_PS4_PT2_iSD_SD_: ; @_Z39paged_attention_ll4mi_QKV_mfma16_kernelI14__hip_bfloat16hLN4vllm18Fp8KVCacheDataTypeE1ES0_Li32ELi64ELi256ELb0ELi3EL8MFMAType0EEvPKT_PKT0_S9_ifPKiSB_SB_iPKfiiiPfSE_PS4_PT2_iSD_SD_
; %bb.0:
	s_load_dwordx2 s[0:1], s[4:5], 0x30
	s_mov_b32 s24, s7
	s_mov_b64 s[10:11], 0
	s_waitcnt lgkmcnt(0)
	s_cmp_lg_u64 s[0:1], 0
	s_cselect_b64 s[2:3], -1, 0
	s_and_b64 vcc, exec, s[2:3]
	s_cbranch_vccz .LBB896_7
; %bb.1:
	s_add_i32 s12, s6, 1
	s_mov_b32 s13, 0
	s_lshl_b64 s[14:15], s[12:13], 2
	s_add_u32 s14, s0, s14
	s_mov_b32 s7, s13
	s_addc_u32 s15, s1, s15
	s_lshl_b64 s[12:13], s[6:7], 2
	s_add_u32 s12, s0, s12
	s_addc_u32 s13, s1, s13
	s_load_dword s9, s[14:15], 0x0
	s_load_dword s16, s[12:13], 0x0
	s_waitcnt lgkmcnt(0)
	s_sub_i32 s9, s9, s16
	s_cmp_eq_u32 s9, 1
	s_cselect_b64 s[12:13], -1, 0
	s_andn2_b64 vcc, exec, s[10:11]
	s_cbranch_vccnz .LBB896_3
.LBB896_2:
	s_mov_b32 s7, 0
	s_mov_b64 s[12:13], -1
.LBB896_3:
	s_andn2_b64 vcc, exec, s[12:13]
	s_cbranch_vccnz .LBB896_785
; %bb.4:
	s_load_dwordx2 s[12:13], s[4:5], 0x28
	s_lshl_b64 s[10:11], s[6:7], 2
	s_waitcnt lgkmcnt(0)
	s_add_u32 s12, s12, s10
	s_addc_u32 s13, s13, s11
	s_load_dword s33, s[12:13], 0x0
	s_lshl_b32 s20, s24, 8
	s_waitcnt lgkmcnt(0)
	s_cmp_ge_i32 s20, s33
	s_cbranch_scc1 .LBB896_785
; %bb.5:
	s_add_i32 s14, s33, 31
	s_load_dwordx2 s[12:13], s[4:5], 0x20
	s_load_dword s9, s[4:5], 0x38
	s_ashr_i32 s15, s14, 31
	v_and_b32_e32 v1, 0xcf, v0
	s_lshr_b32 s15, s15, 27
	v_add_u32_e32 v1, s20, v1
	s_add_i32 s14, s14, s15
	v_ashrrev_i32_e32 v2, 31, v1
	s_ashr_i32 s22, s14, 5
	v_lshrrev_b32_e32 v4, 27, v2
	s_add_i32 s22, s22, -1
	v_add_u32_e32 v2, v1, v4
	s_waitcnt lgkmcnt(0)
	s_mul_i32 s14, s6, s9
	s_mov_b32 s15, 0
	v_ashrrev_i32_e32 v2, 5, v2
	v_mov_b32_e32 v5, s22
	v_cmp_gt_i32_e32 vcc, s33, v1
	s_lshl_b64 s[14:15], s[14:15], 2
	v_cndmask_b32_e32 v2, v5, v2, vcc
	s_add_u32 s9, s12, s14
	v_ashrrev_i32_e32 v3, 31, v2
	s_addc_u32 s21, s13, s15
	v_lshlrev_b64 v[2:3], 2, v[2:3]
	v_mov_b32_e32 v7, s21
	v_add_co_u32_e32 v6, vcc, s9, v2
	v_or_b32_e32 v2, 16, v1
	v_addc_co_u32_e32 v7, vcc, v7, v3, vcc
	v_add_u32_e32 v3, v2, v4
	v_ashrrev_i32_e32 v3, 5, v3
	v_cmp_gt_i32_e32 vcc, s33, v2
	v_cndmask_b32_e32 v2, v5, v3, vcc
	v_ashrrev_i32_e32 v3, 31, v2
	v_lshlrev_b64 v[2:3], 2, v[2:3]
	v_mov_b32_e32 v9, s21
	v_add_co_u32_e32 v8, vcc, s9, v2
	v_or_b32_e32 v2, 32, v1
	v_addc_co_u32_e32 v9, vcc, v9, v3, vcc
	v_add_u32_e32 v3, v2, v4
	v_ashrrev_i32_e32 v3, 5, v3
	v_cmp_gt_i32_e32 vcc, s33, v2
	v_cndmask_b32_e32 v2, v5, v3, vcc
	v_ashrrev_i32_e32 v3, 31, v2
	;; [unrolled: 10-line block ×3, first 2 shown]
	v_lshlrev_b64 v[2:3], 2, v[2:3]
	v_mov_b32_e32 v1, s21
	v_add_co_u32_e32 v12, vcc, s9, v2
	v_addc_co_u32_e32 v13, vcc, v1, v3, vcc
	global_load_dword v5, v[6:7], off
	global_load_dword v4, v[8:9], off
	;; [unrolled: 1-line block ×4, first 2 shown]
	s_load_dwordx4 s[12:15], s[4:5], 0x8
	s_andn2_b64 vcc, exec, s[2:3]
	s_cbranch_vccnz .LBB896_8
; %bb.6:
	s_add_u32 s0, s0, s10
	s_addc_u32 s1, s1, s11
	s_load_dword s10, s[0:1], 0x0
	s_branch .LBB896_9
.LBB896_7:
	s_mov_b64 s[12:13], 0
	s_branch .LBB896_2
.LBB896_8:
	s_mov_b32 s10, s6
.LBB896_9:
	s_load_dwordx4 s[16:19], s[4:5], 0x48
	v_lshrrev_b32_e32 v51, 6, v0
	v_bfe_u32 v47, v0, 4, 2
	v_lshl_or_b32 v6, v51, 2, v47
	v_and_b32_e32 v50, 15, v0
	s_mul_i32 s25, s8, 3
	v_lshlrev_b32_e32 v1, 3, v50
	v_cmp_gt_u32_e32 vcc, 3, v6
	v_cmp_gt_u32_e64 s[0:1], 8, v50
	v_add_u32_e32 v46, s25, v47
	s_and_b64 s[26:27], s[0:1], vcc
	v_lshlrev_b32_e32 v1, 1, v1
	v_lshlrev_b32_e32 v48, 4, v0
	s_and_saveexec_b64 s[2:3], s[26:27]
	s_cbranch_execz .LBB896_11
; %bb.10:
	s_load_dwordx2 s[26:27], s[4:5], 0x0
	s_waitcnt lgkmcnt(0)
	s_ashr_i32 s11, s16, 31
	s_mul_hi_u32 s19, s10, s16
	s_mul_i32 s11, s10, s11
	s_add_i32 s11, s19, s11
	s_mul_i32 s10, s10, s16
	s_lshl_b64 s[10:11], s[10:11], 1
	v_lshlrev_b32_e32 v8, 6, v46
	s_add_u32 s10, s26, s10
	v_ashrrev_i32_e32 v9, 31, v8
	s_addc_u32 s11, s27, s11
	v_lshlrev_b64 v[8:9], 1, v[8:9]
	v_mov_b32_e32 v7, s11
	v_add_co_u32_e32 v8, vcc, s10, v8
	v_addc_co_u32_e32 v7, vcc, v7, v9, vcc
	v_add_co_u32_e32 v8, vcc, v8, v1
	v_addc_co_u32_e32 v9, vcc, 0, v7, vcc
	global_load_dwordx4 v[8:11], v[8:9], off
	v_lshlrev_b32_e32 v12, 8, v50
	v_lshlrev_b32_e32 v6, 5, v6
	v_and_b32_e32 v7, 16, v48
	v_and_b32_e32 v12, 0xe00, v12
	v_or3_b32 v6, v12, v6, v7
	s_waitcnt vmcnt(0)
	ds_write_b128 v6, v[8:11]
.LBB896_11:
	s_or_b64 exec, exec, s[2:3]
	s_waitcnt lgkmcnt(0)
	s_mul_i32 s8, s8, s18
	s_add_u32 s2, s12, s8
	s_addc_u32 s3, s13, 0
	v_and_b32_e32 v12, 48, v0
	s_ashr_i32 s10, s20, 31
	v_or_b32_e32 v13, s20, v12
	s_lshr_b32 s10, s10, 27
	v_add_u32_e32 v6, s10, v13
	v_ashrrev_i32_e32 v6, 5, v6
	v_mov_b32_e32 v14, s22
	v_cmp_gt_i32_e32 vcc, s33, v13
	v_cndmask_b32_e32 v6, v14, v6, vcc
	v_ashrrev_i32_e32 v7, 31, v6
	v_lshlrev_b64 v[6:7], 2, v[6:7]
	v_mov_b32_e32 v8, s21
	v_add_co_u32_e32 v6, vcc, s9, v6
	v_addc_co_u32_e32 v7, vcc, v8, v7, vcc
	v_or_b32_e32 v8, 64, v13
	v_add_u32_e32 v9, s10, v8
	v_ashrrev_i32_e32 v9, 5, v9
	v_cmp_gt_i32_e32 vcc, s33, v8
	v_cndmask_b32_e32 v8, v14, v9, vcc
	v_ashrrev_i32_e32 v9, 31, v8
	v_lshlrev_b64 v[8:9], 2, v[8:9]
	v_mov_b32_e32 v10, s21
	v_add_co_u32_e32 v8, vcc, s9, v8
	v_addc_co_u32_e32 v9, vcc, v10, v9, vcc
	v_or_b32_e32 v10, 0x80, v13
	v_add_u32_e32 v11, s10, v10
	v_ashrrev_i32_e32 v11, 5, v11
	v_cmp_gt_i32_e32 vcc, s33, v10
	v_cndmask_b32_e32 v10, v14, v11, vcc
	v_ashrrev_i32_e32 v11, 31, v10
	v_lshlrev_b64 v[10:11], 2, v[10:11]
	v_mov_b32_e32 v15, s21
	v_add_co_u32_e32 v10, vcc, s9, v10
	s_load_dwordx2 s[44:45], s[4:5], 0x94
	s_load_dwordx4 s[40:43], s[4:5], 0x80
	s_waitcnt lgkmcnt(0)
	s_barrier
	v_addc_co_u32_e32 v11, vcc, v15, v11, vcc
	global_load_dword v15, v[6:7], off
	global_load_dword v16, v[8:9], off
	;; [unrolled: 1-line block ×3, first 2 shown]
	v_or_b32_e32 v6, 0xc0, v13
	v_add_u32_e32 v7, s10, v6
	v_ashrrev_i32_e32 v7, 5, v7
	v_cmp_gt_i32_e32 vcc, s33, v6
	v_cndmask_b32_e32 v6, v14, v7, vcc
	v_ashrrev_i32_e32 v7, 31, v6
	v_lshlrev_b64 v[6:7], 2, v[6:7]
	v_mov_b32_e32 v8, s21
	v_add_co_u32_e32 v6, vcc, s9, v6
	v_addc_co_u32_e32 v7, vcc, v8, v7, vcc
	global_load_dword v20, v[6:7], off
	v_pk_mov_b32 v[6:7], s[2:3], s[2:3] op_sel:[0,1]
	s_waitcnt vmcnt(7)
	v_mad_i64_i32 v[8:9], s[2:3], v5, s17, v[6:7]
	v_lshlrev_b32_e32 v11, 4, v50
	v_add_co_u32_e32 v5, vcc, v8, v11
	v_lshlrev_b32_e32 v10, 5, v12
	v_addc_co_u32_e32 v9, vcc, 0, v9, vcc
	v_add_co_u32_e32 v8, vcc, v5, v10
	v_addc_co_u32_e32 v9, vcc, 0, v9, vcc
	s_waitcnt vmcnt(6)
	v_mad_i64_i32 v[4:5], s[2:3], v4, s17, v[6:7]
	v_or_b32_e32 v12, 0x100, v11
	v_add_co_u32_e32 v4, vcc, v4, v12
	v_addc_co_u32_e32 v5, vcc, 0, v5, vcc
	v_add_co_u32_e32 v4, vcc, v4, v10
	v_addc_co_u32_e32 v5, vcc, 0, v5, vcc
	global_load_dwordx4 v[30:33], v[8:9], off
	global_load_dwordx4 v[38:41], v[4:5], off
	s_waitcnt vmcnt(7)
	v_mad_i64_i32 v[4:5], s[2:3], v3, s17, v[6:7]
	v_add_co_u32_e32 v3, vcc, v4, v11
	v_addc_co_u32_e32 v5, vcc, 0, v5, vcc
	v_add_co_u32_e32 v4, vcc, v3, v10
	v_addc_co_u32_e32 v5, vcc, 0, v5, vcc
	s_waitcnt vmcnt(6)
	v_mad_i64_i32 v[2:3], s[2:3], v2, s17, v[6:7]
	v_add_co_u32_e32 v2, vcc, v2, v12
	v_addc_co_u32_e32 v3, vcc, 0, v3, vcc
	v_add_co_u32_e32 v2, vcc, v2, v10
	s_add_u32 s2, s14, s8
	v_addc_co_u32_e32 v3, vcc, 0, v3, vcc
	global_load_dwordx4 v[34:37], v[4:5], off
	global_load_dwordx4 v[22:25], v[2:3], off
	s_addc_u32 s3, s15, 0
	v_and_b32_e32 v2, 16, v0
	v_mov_b32_e32 v3, s3
	v_add_co_u32_e32 v2, vcc, s2, v2
	v_lshlrev_b32_e32 v49, 5, v50
	v_addc_co_u32_e32 v3, vcc, 0, v3, vcc
	v_lshl_or_b32 v4, v51, 9, v49
	v_add_co_u32_e32 v2, vcc, v2, v4
	v_addc_co_u32_e32 v3, vcc, 0, v3, vcc
	v_mov_b32_e32 v44, 0
	v_mov_b32_e32 v43, 0
	s_movk_i32 s8, 0x80
	s_waitcnt vmcnt(7)
	v_mad_i64_i32 v[4:5], s[2:3], v15, s17, v[2:3]
	s_waitcnt vmcnt(6)
	v_mad_i64_i32 v[6:7], s[2:3], v16, s17, v[2:3]
	;; [unrolled: 2-line block ×3, first 2 shown]
	global_load_dwordx4 v[14:17], v[4:5], off
	global_load_dwordx4 v[10:13], v[6:7], off
	s_waitcnt vmcnt(6)
	v_mad_i64_i32 v[20:21], s[2:3], v20, s17, v[2:3]
	global_load_dwordx4 v[6:9], v[18:19], off
	global_load_dwordx4 v[2:5], v[20:21], off
	v_mul_lo_u16_e32 v18, 0x56, v50
	v_mov_b32_e32 v19, 3
	v_mul_lo_u16_sdwa v18, v18, v19 dst_sel:DWORD dst_unused:UNUSED_PAD src0_sel:BYTE_1 src1_sel:DWORD
	v_sub_u16_e32 v18, v50, v18
	v_mov_b32_e32 v19, 5
	v_lshlrev_b32_sdwa v18, v19, v18 dst_sel:DWORD dst_unused:UNUSED_PAD src0_sel:DWORD src1_sel:BYTE_0
	v_lshl_add_u32 v18, v47, 9, v18
	ds_read_b128 v[26:29], v18
	ds_read_b128 v[18:21], v18 offset:16
	s_load_dword s12, s[40:41], 0x0
	s_waitcnt vmcnt(7)
	v_cmp_ne_u16_sdwa s[10:11], v30, v44 src0_sel:BYTE_0 src1_sel:DWORD
	s_and_saveexec_b64 s[2:3], s[10:11]
	s_cbranch_execz .LBB896_17
; %bb.12:
	v_cmp_ne_u16_sdwa s[10:11], v30, s8 src0_sel:BYTE_0 src1_sel:DWORD
	v_mov_b32_e32 v43, 0xffff8000
	s_and_saveexec_b64 s[8:9], s[10:11]
	s_cbranch_execz .LBB896_16
; %bb.13:
	s_movk_i32 s10, 0x7f
	v_and_b32_e32 v42, 0x7f, v30
	v_cmp_ne_u32_e32 vcc, s10, v42
	v_mov_b32_e32 v43, 0x7f80
	s_and_saveexec_b64 s[10:11], vcc
	s_cbranch_execz .LBB896_15
; %bb.14:
	v_and_b32_e32 v43, 7, v30
	v_ffbh_u32_e32 v52, v43
	v_min_u32_e32 v54, 32, v52
	v_subrev_u32_e32 v52, 28, v54
	v_lshlrev_b64 v[52:53], v52, v[30:31]
	v_lshrrev_b32_e32 v45, 3, v42
	v_sub_u32_e32 v53, 29, v54
	v_and_b32_e32 v52, 7, v52
	v_cmp_gt_u32_e32 vcc, 8, v42
	v_cndmask_b32_e32 v42, v45, v53, vcc
	v_cndmask_b32_e32 v43, v43, v52, vcc
	v_lshlrev_b32_e32 v45, 24, v30
	v_bfrev_b32_e32 v52, 60
	v_lshlrev_b32_e32 v43, 20, v43
	v_and_b32_e32 v45, 0x80000000, v45
	v_lshl_add_u32 v42, v42, 23, v52
	v_or3_b32 v42, v45, v42, v43
	v_lshrrev_b32_e32 v43, 16, v42
.LBB896_15:
	s_or_b64 exec, exec, s[10:11]
.LBB896_16:
	s_or_b64 exec, exec, s[8:9]
.LBB896_17:
	s_or_b64 exec, exec, s[2:3]
	v_lshrrev_b16_e32 v42, 8, v30
	v_cmp_ne_u16_e32 vcc, 0, v42
	s_and_saveexec_b64 s[2:3], vcc
	s_cbranch_execz .LBB896_23
; %bb.18:
	s_movk_i32 s8, 0x80
	v_cmp_ne_u16_e32 vcc, s8, v42
	v_mov_b32_e32 v44, 0xffff8000
	s_and_saveexec_b64 s[8:9], vcc
	s_cbranch_execz .LBB896_22
; %bb.19:
	s_movk_i32 s10, 0x7f
	v_and_b32_e32 v45, 0x7f, v42
	v_cmp_ne_u32_e32 vcc, s10, v45
	v_mov_b32_e32 v44, 0x7f80
	s_and_saveexec_b64 s[10:11], vcc
	s_cbranch_execz .LBB896_21
; %bb.20:
	v_and_b32_e32 v44, 7, v42
	v_ffbh_u32_e32 v52, v44
	v_min_u32_e32 v55, 32, v52
	v_subrev_u32_e32 v52, 28, v55
	v_lshlrev_b64 v[52:53], v52, v[42:43]
	v_lshrrev_b32_e32 v54, 3, v45
	v_sub_u32_e32 v42, 29, v55
	v_and_b32_e32 v52, 7, v52
	v_cmp_gt_u32_e32 vcc, 8, v45
	v_cndmask_b32_e32 v42, v54, v42, vcc
	v_cndmask_b32_e32 v44, v44, v52, vcc
	v_lshlrev_b32_e32 v45, 16, v30
	v_bfrev_b32_e32 v52, 60
	v_lshlrev_b32_e32 v44, 20, v44
	v_and_b32_e32 v45, 0x80000000, v45
	v_lshl_add_u32 v42, v42, 23, v52
	v_or3_b32 v42, v45, v42, v44
	v_lshrrev_b32_e32 v44, 16, v42
.LBB896_21:
	s_or_b64 exec, exec, s[10:11]
.LBB896_22:
	s_or_b64 exec, exec, s[8:9]
.LBB896_23:
	s_or_b64 exec, exec, s[2:3]
	s_movk_i32 s2, 0xff
	v_and_b32_sdwa v53, v30, s2 dst_sel:DWORD dst_unused:UNUSED_PAD src0_sel:WORD_1 src1_sel:DWORD
	v_lshrrev_b32_e32 v42, 16, v30
	v_cmp_ne_u16_e32 vcc, 0, v53
	v_mov_b32_e32 v45, 0
	v_mov_b32_e32 v52, 0
	s_and_saveexec_b64 s[2:3], vcc
	s_cbranch_execz .LBB896_29
; %bb.24:
	s_movk_i32 s8, 0x80
	v_cmp_ne_u16_e32 vcc, s8, v53
	v_mov_b32_e32 v52, 0xffff8000
	s_and_saveexec_b64 s[8:9], vcc
	s_cbranch_execz .LBB896_28
; %bb.25:
	v_bfe_u32 v53, v30, 16, 7
	s_movk_i32 s10, 0x7f
	v_cmp_ne_u32_e32 vcc, s10, v53
	v_mov_b32_e32 v52, 0x7f80
	s_and_saveexec_b64 s[10:11], vcc
	s_cbranch_execz .LBB896_27
; %bb.26:
	v_and_b32_e32 v52, 7, v42
	v_ffbh_u32_e32 v54, v52
	v_min_u32_e32 v57, 32, v54
	v_subrev_u32_e32 v54, 28, v57
	v_lshlrev_b64 v[54:55], v54, v[42:43]
	v_lshrrev_b32_e32 v56, 3, v53
	v_sub_u32_e32 v42, 29, v57
	v_and_b32_e32 v54, 7, v54
	v_cmp_gt_u32_e32 vcc, 8, v53
	v_mov_b32_e32 v53, 24
	v_cndmask_b32_e32 v42, v56, v42, vcc
	v_cndmask_b32_e32 v52, v52, v54, vcc
	v_lshlrev_b32_sdwa v53, v53, v30 dst_sel:DWORD dst_unused:UNUSED_PAD src0_sel:DWORD src1_sel:WORD_1
	v_bfrev_b32_e32 v54, 60
	v_lshlrev_b32_e32 v52, 20, v52
	v_and_b32_e32 v53, 0x80000000, v53
	v_lshl_add_u32 v42, v42, 23, v54
	v_or3_b32 v42, v53, v42, v52
	v_lshrrev_b32_e32 v52, 16, v42
.LBB896_27:
	s_or_b64 exec, exec, s[10:11]
.LBB896_28:
	s_or_b64 exec, exec, s[8:9]
.LBB896_29:
	s_or_b64 exec, exec, s[2:3]
	s_mov_b32 s2, 0xffffff
	v_cmp_lt_u32_e32 vcc, s2, v30
	s_and_saveexec_b64 s[2:3], vcc
	s_cbranch_execz .LBB896_35
; %bb.30:
	v_lshrrev_b32_e32 v42, 24, v30
	s_movk_i32 s8, 0x80
	v_cmp_ne_u32_e32 vcc, s8, v42
	v_mov_b32_e32 v45, 0xffff8000
	s_and_saveexec_b64 s[8:9], vcc
	s_cbranch_execz .LBB896_34
; %bb.31:
	v_bfe_u32 v30, v30, 24, 7
	s_movk_i32 s10, 0x7f
	v_cmp_ne_u32_e32 vcc, s10, v30
	v_mov_b32_e32 v45, 0x7f80
	s_and_saveexec_b64 s[10:11], vcc
	s_cbranch_execz .LBB896_33
; %bb.32:
	v_and_b32_e32 v45, 7, v42
	v_ffbh_u32_e32 v54, v45
	v_min_u32_e32 v56, 32, v54
	v_subrev_u32_e32 v54, 28, v56
	v_lshlrev_b64 v[54:55], v54, v[42:43]
	v_lshrrev_b32_e32 v53, 3, v30
	v_sub_u32_e32 v55, 29, v56
	v_and_b32_e32 v54, 7, v54
	v_cmp_gt_u32_e32 vcc, 8, v30
	v_cndmask_b32_e32 v30, v53, v55, vcc
	v_cndmask_b32_e32 v45, v45, v54, vcc
	v_lshlrev_b32_e32 v42, 24, v42
	v_bfrev_b32_e32 v53, 60
	v_lshlrev_b32_e32 v45, 20, v45
	v_and_b32_e32 v42, 0x80000000, v42
	v_lshl_add_u32 v30, v30, 23, v53
	v_or3_b32 v30, v42, v30, v45
	v_lshrrev_b32_e32 v45, 16, v30
.LBB896_33:
	s_or_b64 exec, exec, s[10:11]
.LBB896_34:
	s_or_b64 exec, exec, s[8:9]
.LBB896_35:
	s_or_b64 exec, exec, s[2:3]
	v_mov_b32_e32 v42, 0
	v_cmp_ne_u16_sdwa s[8:9], v31, v42 src0_sel:BYTE_0 src1_sel:DWORD
	v_mov_b32_e32 v53, 0
	s_and_saveexec_b64 s[2:3], s[8:9]
	s_cbranch_execz .LBB896_41
; %bb.36:
	s_movk_i32 s8, 0x80
	v_cmp_ne_u16_sdwa s[10:11], v31, s8 src0_sel:BYTE_0 src1_sel:DWORD
	v_mov_b32_e32 v53, 0xffff8000
	s_and_saveexec_b64 s[8:9], s[10:11]
	s_cbranch_execz .LBB896_40
; %bb.37:
	s_movk_i32 s10, 0x7f
	v_and_b32_e32 v30, 0x7f, v31
	v_cmp_ne_u32_e32 vcc, s10, v30
	v_mov_b32_e32 v53, 0x7f80
	s_and_saveexec_b64 s[10:11], vcc
	s_cbranch_execz .LBB896_39
; %bb.38:
	v_and_b32_e32 v53, 7, v31
	v_ffbh_u32_e32 v55, v53
	v_min_u32_e32 v57, 32, v55
	v_mov_b32_e32 v54, v31
	v_subrev_u32_e32 v55, 28, v57
	v_lshlrev_b64 v[54:55], v55, v[54:55]
	v_lshrrev_b32_e32 v56, 3, v30
	v_sub_u32_e32 v55, 29, v57
	v_and_b32_e32 v54, 7, v54
	v_cmp_gt_u32_e32 vcc, 8, v30
	v_cndmask_b32_e32 v30, v56, v55, vcc
	v_cndmask_b32_e32 v53, v53, v54, vcc
	v_lshlrev_b32_e32 v54, 24, v31
	v_bfrev_b32_e32 v55, 60
	v_lshlrev_b32_e32 v53, 20, v53
	v_and_b32_e32 v54, 0x80000000, v54
	v_lshl_add_u32 v30, v30, 23, v55
	v_or3_b32 v30, v54, v30, v53
	v_lshrrev_b32_e32 v53, 16, v30
.LBB896_39:
	s_or_b64 exec, exec, s[10:11]
.LBB896_40:
	s_or_b64 exec, exec, s[8:9]
.LBB896_41:
	s_or_b64 exec, exec, s[2:3]
	v_lshrrev_b16_e32 v30, 8, v31
	v_cmp_ne_u16_e32 vcc, 0, v30
	s_and_saveexec_b64 s[2:3], vcc
	s_cbranch_execz .LBB896_47
; %bb.42:
	s_movk_i32 s8, 0x80
	v_cmp_ne_u16_e32 vcc, s8, v30
	v_mov_b32_e32 v42, 0xffff8000
	s_and_saveexec_b64 s[8:9], vcc
	s_cbranch_execz .LBB896_46
; %bb.43:
	s_movk_i32 s10, 0x7f
	v_and_b32_e32 v54, 0x7f, v30
	v_cmp_ne_u32_e32 vcc, s10, v54
	v_mov_b32_e32 v42, 0x7f80
	s_and_saveexec_b64 s[10:11], vcc
	s_cbranch_execz .LBB896_45
; %bb.44:
	v_and_b32_e32 v42, 7, v30
	v_ffbh_u32_e32 v56, v42
	v_min_u32_e32 v58, 32, v56
	v_subrev_u32_e32 v56, 28, v58
	v_lshlrev_b64 v[56:57], v56, v[30:31]
	v_lshrrev_b32_e32 v55, 3, v54
	v_sub_u32_e32 v30, 29, v58
	v_and_b32_e32 v56, 7, v56
	v_cmp_gt_u32_e32 vcc, 8, v54
	v_cndmask_b32_e32 v30, v55, v30, vcc
	v_cndmask_b32_e32 v42, v42, v56, vcc
	v_lshlrev_b32_e32 v54, 16, v31
	v_bfrev_b32_e32 v55, 60
	v_lshlrev_b32_e32 v42, 20, v42
	v_and_b32_e32 v54, 0x80000000, v54
	v_lshl_add_u32 v30, v30, 23, v55
	v_or3_b32 v30, v54, v30, v42
	v_lshrrev_b32_e32 v42, 16, v30
.LBB896_45:
	s_or_b64 exec, exec, s[10:11]
.LBB896_46:
	s_or_b64 exec, exec, s[8:9]
.LBB896_47:
	s_or_b64 exec, exec, s[2:3]
	s_movk_i32 s2, 0xff
	v_and_b32_sdwa v56, v31, s2 dst_sel:DWORD dst_unused:UNUSED_PAD src0_sel:WORD_1 src1_sel:DWORD
	v_lshrrev_b32_e32 v30, 16, v31
	v_cmp_ne_u16_e32 vcc, 0, v56
	v_mov_b32_e32 v54, 0
	v_mov_b32_e32 v55, 0
	s_and_saveexec_b64 s[2:3], vcc
	s_cbranch_execz .LBB896_53
; %bb.48:
	s_movk_i32 s8, 0x80
	v_cmp_ne_u16_e32 vcc, s8, v56
	v_mov_b32_e32 v55, 0xffff8000
	s_and_saveexec_b64 s[8:9], vcc
	s_cbranch_execz .LBB896_52
; %bb.49:
	v_bfe_u32 v56, v31, 16, 7
	s_movk_i32 s10, 0x7f
	v_cmp_ne_u32_e32 vcc, s10, v56
	v_mov_b32_e32 v55, 0x7f80
	s_and_saveexec_b64 s[10:11], vcc
	s_cbranch_execz .LBB896_51
; %bb.50:
	v_and_b32_e32 v55, 7, v30
	v_ffbh_u32_e32 v58, v55
	v_min_u32_e32 v60, 32, v58
	v_subrev_u32_e32 v58, 28, v60
	v_lshlrev_b64 v[58:59], v58, v[30:31]
	v_lshrrev_b32_e32 v57, 3, v56
	v_sub_u32_e32 v30, 29, v60
	v_and_b32_e32 v58, 7, v58
	v_cmp_gt_u32_e32 vcc, 8, v56
	v_mov_b32_e32 v56, 24
	v_cndmask_b32_e32 v30, v57, v30, vcc
	v_cndmask_b32_e32 v55, v55, v58, vcc
	v_lshlrev_b32_sdwa v56, v56, v31 dst_sel:DWORD dst_unused:UNUSED_PAD src0_sel:DWORD src1_sel:WORD_1
	v_bfrev_b32_e32 v57, 60
	v_lshlrev_b32_e32 v55, 20, v55
	v_and_b32_e32 v56, 0x80000000, v56
	v_lshl_add_u32 v30, v30, 23, v57
	v_or3_b32 v30, v56, v30, v55
	v_lshrrev_b32_e32 v55, 16, v30
.LBB896_51:
	s_or_b64 exec, exec, s[10:11]
.LBB896_52:
	s_or_b64 exec, exec, s[8:9]
.LBB896_53:
	s_or_b64 exec, exec, s[2:3]
	s_mov_b32 s2, 0xffffff
	v_cmp_lt_u32_e32 vcc, s2, v31
	s_and_saveexec_b64 s[2:3], vcc
	s_cbranch_execz .LBB896_59
; %bb.54:
	v_lshrrev_b32_e32 v30, 24, v31
	s_movk_i32 s8, 0x80
	v_cmp_ne_u32_e32 vcc, s8, v30
	v_mov_b32_e32 v54, 0xffff8000
	s_and_saveexec_b64 s[8:9], vcc
	s_cbranch_execz .LBB896_58
; %bb.55:
	v_bfe_u32 v31, v31, 24, 7
	s_movk_i32 s10, 0x7f
	v_cmp_ne_u32_e32 vcc, s10, v31
	v_mov_b32_e32 v54, 0x7f80
	s_and_saveexec_b64 s[10:11], vcc
	s_cbranch_execz .LBB896_57
; %bb.56:
	v_and_b32_e32 v54, 7, v30
	v_ffbh_u32_e32 v56, v54
	v_min_u32_e32 v59, 32, v56
	v_subrev_u32_e32 v56, 28, v59
	v_lshlrev_b64 v[56:57], v56, v[30:31]
	v_lshrrev_b32_e32 v58, 3, v31
	v_sub_u32_e32 v57, 29, v59
	v_and_b32_e32 v56, 7, v56
	v_cmp_gt_u32_e32 vcc, 8, v31
	v_cndmask_b32_e32 v31, v58, v57, vcc
	v_cndmask_b32_e32 v54, v54, v56, vcc
	v_lshlrev_b32_e32 v30, 24, v30
	v_bfrev_b32_e32 v56, 60
	v_lshlrev_b32_e32 v54, 20, v54
	v_and_b32_e32 v30, 0x80000000, v30
	v_lshl_add_u32 v31, v31, 23, v56
	v_or3_b32 v30, v30, v31, v54
	v_lshrrev_b32_e32 v54, 16, v30
.LBB896_57:
	s_or_b64 exec, exec, s[10:11]
.LBB896_58:
	s_or_b64 exec, exec, s[8:9]
.LBB896_59:
	s_or_b64 exec, exec, s[2:3]
	s_mov_b32 s2, 0x5040100
	v_perm_b32 v31, v45, v52, s2
	v_perm_b32 v30, v44, v43, s2
	;; [unrolled: 1-line block ×4, first 2 shown]
	v_mov_b32_e32 v52, 0
	s_waitcnt lgkmcnt(0)
	v_mfma_f32_16x16x16bf16_1k v[56:59], v[30:31], v[26:27], 0
	v_mov_b32_e32 v31, 0
	v_cmp_ne_u16_sdwa s[8:9], v32, v31 src0_sel:BYTE_0 src1_sel:DWORD
	v_mfma_f32_16x16x16bf16_1k v[42:45], v[42:43], v[28:29], v[56:59]
	s_and_saveexec_b64 s[2:3], s[8:9]
	s_cbranch_execz .LBB896_65
; %bb.60:
	s_movk_i32 s8, 0x80
	v_cmp_ne_u16_sdwa s[10:11], v32, s8 src0_sel:BYTE_0 src1_sel:DWORD
	v_mov_b32_e32 v52, 0xffff8000
	s_and_saveexec_b64 s[8:9], s[10:11]
	s_cbranch_execz .LBB896_64
; %bb.61:
	s_movk_i32 s10, 0x7f
	v_and_b32_e32 v30, 0x7f, v32
	v_cmp_ne_u32_e32 vcc, s10, v30
	v_mov_b32_e32 v52, 0x7f80
	s_and_saveexec_b64 s[10:11], vcc
	s_cbranch_execz .LBB896_63
; %bb.62:
	v_and_b32_e32 v54, 7, v32
	v_ffbh_u32_e32 v52, v54
	v_min_u32_e32 v56, 32, v52
	v_subrev_u32_e32 v52, 28, v56
	v_lshlrev_b64 v[52:53], v52, v[32:33]
	v_lshrrev_b32_e32 v55, 3, v30
	v_sub_u32_e32 v53, 29, v56
	v_and_b32_e32 v52, 7, v52
	v_cmp_gt_u32_e32 vcc, 8, v30
	v_cndmask_b32_e32 v30, v55, v53, vcc
	v_cndmask_b32_e32 v52, v54, v52, vcc
	v_lshlrev_b32_e32 v53, 24, v32
	v_bfrev_b32_e32 v54, 60
	v_lshlrev_b32_e32 v52, 20, v52
	v_and_b32_e32 v53, 0x80000000, v53
	v_lshl_add_u32 v30, v30, 23, v54
	v_or3_b32 v30, v53, v30, v52
	v_lshrrev_b32_e32 v52, 16, v30
.LBB896_63:
	s_or_b64 exec, exec, s[10:11]
.LBB896_64:
	s_or_b64 exec, exec, s[8:9]
.LBB896_65:
	s_or_b64 exec, exec, s[2:3]
	v_lshrrev_b16_e32 v30, 8, v32
	v_cmp_ne_u16_e32 vcc, 0, v30
	s_and_saveexec_b64 s[2:3], vcc
	s_cbranch_execz .LBB896_71
; %bb.66:
	s_movk_i32 s8, 0x80
	v_cmp_ne_u16_e32 vcc, s8, v30
	v_mov_b32_e32 v31, 0xffff8000
	s_and_saveexec_b64 s[8:9], vcc
	s_cbranch_execz .LBB896_70
; %bb.67:
	s_movk_i32 s10, 0x7f
	v_and_b32_e32 v53, 0x7f, v30
	v_cmp_ne_u32_e32 vcc, s10, v53
	v_mov_b32_e32 v31, 0x7f80
	s_and_saveexec_b64 s[10:11], vcc
	s_cbranch_execz .LBB896_69
; %bb.68:
	v_and_b32_e32 v54, 7, v30
	v_ffbh_u32_e32 v31, v54
	v_min_u32_e32 v56, 32, v31
	v_subrev_u32_e32 v31, 28, v56
	v_lshlrev_b64 v[30:31], v31, v[30:31]
	v_lshrrev_b32_e32 v55, 3, v53
	v_sub_u32_e32 v31, 29, v56
	v_and_b32_e32 v30, 7, v30
	v_cmp_gt_u32_e32 vcc, 8, v53
	v_cndmask_b32_e32 v31, v55, v31, vcc
	v_cndmask_b32_e32 v30, v54, v30, vcc
	v_lshlrev_b32_e32 v53, 16, v32
	v_bfrev_b32_e32 v54, 60
	v_lshlrev_b32_e32 v30, 20, v30
	v_and_b32_e32 v53, 0x80000000, v53
	v_lshl_add_u32 v31, v31, 23, v54
	v_or3_b32 v30, v53, v31, v30
	v_lshrrev_b32_e32 v31, 16, v30
.LBB896_69:
	s_or_b64 exec, exec, s[10:11]
.LBB896_70:
	s_or_b64 exec, exec, s[8:9]
.LBB896_71:
	s_or_b64 exec, exec, s[2:3]
	s_movk_i32 s2, 0xff
	v_and_b32_sdwa v55, v32, s2 dst_sel:DWORD dst_unused:UNUSED_PAD src0_sel:WORD_1 src1_sel:DWORD
	v_lshrrev_b32_e32 v30, 16, v32
	v_cmp_ne_u16_e32 vcc, 0, v55
	v_mov_b32_e32 v53, 0
	v_mov_b32_e32 v54, 0
	s_and_saveexec_b64 s[2:3], vcc
	s_cbranch_execz .LBB896_77
; %bb.72:
	s_movk_i32 s8, 0x80
	v_cmp_ne_u16_e32 vcc, s8, v55
	v_mov_b32_e32 v54, 0xffff8000
	s_and_saveexec_b64 s[8:9], vcc
	s_cbranch_execz .LBB896_76
; %bb.73:
	v_bfe_u32 v55, v32, 16, 7
	s_movk_i32 s10, 0x7f
	v_cmp_ne_u32_e32 vcc, s10, v55
	v_mov_b32_e32 v54, 0x7f80
	s_and_saveexec_b64 s[10:11], vcc
	s_cbranch_execz .LBB896_75
; %bb.74:
	v_and_b32_e32 v54, 7, v30
	v_ffbh_u32_e32 v56, v54
	v_min_u32_e32 v59, 32, v56
	v_subrev_u32_e32 v56, 28, v59
	v_lshlrev_b64 v[56:57], v56, v[30:31]
	v_lshrrev_b32_e32 v58, 3, v55
	v_sub_u32_e32 v30, 29, v59
	v_and_b32_e32 v56, 7, v56
	v_cmp_gt_u32_e32 vcc, 8, v55
	v_mov_b32_e32 v55, 24
	v_cndmask_b32_e32 v30, v58, v30, vcc
	v_cndmask_b32_e32 v54, v54, v56, vcc
	v_lshlrev_b32_sdwa v55, v55, v32 dst_sel:DWORD dst_unused:UNUSED_PAD src0_sel:DWORD src1_sel:WORD_1
	v_bfrev_b32_e32 v56, 60
	v_lshlrev_b32_e32 v54, 20, v54
	v_and_b32_e32 v55, 0x80000000, v55
	v_lshl_add_u32 v30, v30, 23, v56
	v_or3_b32 v30, v55, v30, v54
	v_lshrrev_b32_e32 v54, 16, v30
.LBB896_75:
	s_or_b64 exec, exec, s[10:11]
.LBB896_76:
	s_or_b64 exec, exec, s[8:9]
.LBB896_77:
	s_or_b64 exec, exec, s[2:3]
	s_mov_b32 s2, 0xffffff
	v_cmp_lt_u32_e32 vcc, s2, v32
	s_and_saveexec_b64 s[2:3], vcc
	s_cbranch_execz .LBB896_83
; %bb.78:
	v_lshrrev_b32_e32 v30, 24, v32
	s_movk_i32 s8, 0x80
	v_cmp_ne_u32_e32 vcc, s8, v30
	v_mov_b32_e32 v53, 0xffff8000
	s_and_saveexec_b64 s[8:9], vcc
	s_cbranch_execz .LBB896_82
; %bb.79:
	v_bfe_u32 v32, v32, 24, 7
	s_movk_i32 s10, 0x7f
	v_cmp_ne_u32_e32 vcc, s10, v32
	v_mov_b32_e32 v53, 0x7f80
	s_and_saveexec_b64 s[10:11], vcc
	s_cbranch_execz .LBB896_81
; %bb.80:
	v_and_b32_e32 v53, 7, v30
	v_ffbh_u32_e32 v56, v53
	v_min_u32_e32 v58, 32, v56
	v_subrev_u32_e32 v56, 28, v58
	v_lshlrev_b64 v[56:57], v56, v[30:31]
	v_lshrrev_b32_e32 v55, 3, v32
	v_sub_u32_e32 v57, 29, v58
	v_and_b32_e32 v56, 7, v56
	v_cmp_gt_u32_e32 vcc, 8, v32
	v_cndmask_b32_e32 v32, v55, v57, vcc
	v_cndmask_b32_e32 v53, v53, v56, vcc
	v_lshlrev_b32_e32 v30, 24, v30
	v_bfrev_b32_e32 v55, 60
	v_lshlrev_b32_e32 v53, 20, v53
	v_and_b32_e32 v30, 0x80000000, v30
	v_lshl_add_u32 v32, v32, 23, v55
	v_or3_b32 v30, v30, v32, v53
	v_lshrrev_b32_e32 v53, 16, v30
.LBB896_81:
	s_or_b64 exec, exec, s[10:11]
.LBB896_82:
	s_or_b64 exec, exec, s[8:9]
.LBB896_83:
	s_or_b64 exec, exec, s[2:3]
	v_mov_b32_e32 v32, 0
	v_cmp_ne_u16_sdwa s[8:9], v33, v32 src0_sel:BYTE_0 src1_sel:DWORD
	v_mov_b32_e32 v55, 0
	s_and_saveexec_b64 s[2:3], s[8:9]
	s_cbranch_execz .LBB896_89
; %bb.84:
	s_movk_i32 s8, 0x80
	v_cmp_ne_u16_sdwa s[10:11], v33, s8 src0_sel:BYTE_0 src1_sel:DWORD
	v_mov_b32_e32 v55, 0xffff8000
	s_and_saveexec_b64 s[8:9], s[10:11]
	s_cbranch_execz .LBB896_88
; %bb.85:
	s_movk_i32 s10, 0x7f
	v_and_b32_e32 v30, 0x7f, v33
	v_cmp_ne_u32_e32 vcc, s10, v30
	v_mov_b32_e32 v55, 0x7f80
	s_and_saveexec_b64 s[10:11], vcc
	s_cbranch_execz .LBB896_87
; %bb.86:
	v_and_b32_e32 v55, 7, v33
	v_ffbh_u32_e32 v57, v55
	v_min_u32_e32 v59, 32, v57
	v_mov_b32_e32 v56, v33
	v_subrev_u32_e32 v57, 28, v59
	v_lshlrev_b64 v[56:57], v57, v[56:57]
	v_lshrrev_b32_e32 v58, 3, v30
	v_sub_u32_e32 v57, 29, v59
	v_and_b32_e32 v56, 7, v56
	v_cmp_gt_u32_e32 vcc, 8, v30
	v_cndmask_b32_e32 v30, v58, v57, vcc
	v_cndmask_b32_e32 v55, v55, v56, vcc
	v_lshlrev_b32_e32 v56, 24, v33
	v_bfrev_b32_e32 v57, 60
	v_lshlrev_b32_e32 v55, 20, v55
	v_and_b32_e32 v56, 0x80000000, v56
	v_lshl_add_u32 v30, v30, 23, v57
	v_or3_b32 v30, v56, v30, v55
	v_lshrrev_b32_e32 v55, 16, v30
.LBB896_87:
	s_or_b64 exec, exec, s[10:11]
.LBB896_88:
	s_or_b64 exec, exec, s[8:9]
.LBB896_89:
	s_or_b64 exec, exec, s[2:3]
	v_lshrrev_b16_e32 v30, 8, v33
	v_cmp_ne_u16_e32 vcc, 0, v30
	s_and_saveexec_b64 s[2:3], vcc
	s_cbranch_execz .LBB896_95
; %bb.90:
	s_movk_i32 s8, 0x80
	v_cmp_ne_u16_e32 vcc, s8, v30
	v_mov_b32_e32 v32, 0xffff8000
	s_and_saveexec_b64 s[8:9], vcc
	s_cbranch_execz .LBB896_94
; %bb.91:
	s_movk_i32 s10, 0x7f
	v_and_b32_e32 v56, 0x7f, v30
	v_cmp_ne_u32_e32 vcc, s10, v56
	v_mov_b32_e32 v32, 0x7f80
	s_and_saveexec_b64 s[10:11], vcc
	s_cbranch_execz .LBB896_93
; %bb.92:
	v_and_b32_e32 v32, 7, v30
	v_ffbh_u32_e32 v58, v32
	v_min_u32_e32 v60, 32, v58
	v_subrev_u32_e32 v58, 28, v60
	v_lshlrev_b64 v[58:59], v58, v[30:31]
	v_lshrrev_b32_e32 v57, 3, v56
	v_sub_u32_e32 v30, 29, v60
	v_and_b32_e32 v58, 7, v58
	v_cmp_gt_u32_e32 vcc, 8, v56
	v_cndmask_b32_e32 v30, v57, v30, vcc
	v_cndmask_b32_e32 v32, v32, v58, vcc
	v_lshlrev_b32_e32 v56, 16, v33
	v_bfrev_b32_e32 v57, 60
	v_lshlrev_b32_e32 v32, 20, v32
	v_and_b32_e32 v56, 0x80000000, v56
	v_lshl_add_u32 v30, v30, 23, v57
	v_or3_b32 v30, v56, v30, v32
	v_lshrrev_b32_e32 v32, 16, v30
.LBB896_93:
	s_or_b64 exec, exec, s[10:11]
.LBB896_94:
	s_or_b64 exec, exec, s[8:9]
.LBB896_95:
	s_or_b64 exec, exec, s[2:3]
	s_movk_i32 s2, 0xff
	v_and_b32_sdwa v58, v33, s2 dst_sel:DWORD dst_unused:UNUSED_PAD src0_sel:WORD_1 src1_sel:DWORD
	v_lshrrev_b32_e32 v30, 16, v33
	v_cmp_ne_u16_e32 vcc, 0, v58
	v_mov_b32_e32 v56, 0
	v_mov_b32_e32 v57, 0
	s_and_saveexec_b64 s[2:3], vcc
	s_cbranch_execz .LBB896_101
; %bb.96:
	s_movk_i32 s8, 0x80
	v_cmp_ne_u16_e32 vcc, s8, v58
	v_mov_b32_e32 v57, 0xffff8000
	s_and_saveexec_b64 s[8:9], vcc
	s_cbranch_execz .LBB896_100
; %bb.97:
	v_bfe_u32 v58, v33, 16, 7
	s_movk_i32 s10, 0x7f
	v_cmp_ne_u32_e32 vcc, s10, v58
	v_mov_b32_e32 v57, 0x7f80
	s_and_saveexec_b64 s[10:11], vcc
	s_cbranch_execz .LBB896_99
; %bb.98:
	v_and_b32_e32 v57, 7, v30
	v_ffbh_u32_e32 v60, v57
	v_min_u32_e32 v62, 32, v60
	v_subrev_u32_e32 v60, 28, v62
	v_lshlrev_b64 v[60:61], v60, v[30:31]
	v_lshrrev_b32_e32 v59, 3, v58
	v_sub_u32_e32 v30, 29, v62
	v_and_b32_e32 v60, 7, v60
	v_cmp_gt_u32_e32 vcc, 8, v58
	v_mov_b32_e32 v58, 24
	v_cndmask_b32_e32 v30, v59, v30, vcc
	v_cndmask_b32_e32 v57, v57, v60, vcc
	v_lshlrev_b32_sdwa v58, v58, v33 dst_sel:DWORD dst_unused:UNUSED_PAD src0_sel:DWORD src1_sel:WORD_1
	v_bfrev_b32_e32 v59, 60
	v_lshlrev_b32_e32 v57, 20, v57
	v_and_b32_e32 v58, 0x80000000, v58
	v_lshl_add_u32 v30, v30, 23, v59
	v_or3_b32 v30, v58, v30, v57
	v_lshrrev_b32_e32 v57, 16, v30
.LBB896_99:
	s_or_b64 exec, exec, s[10:11]
.LBB896_100:
	s_or_b64 exec, exec, s[8:9]
.LBB896_101:
	s_or_b64 exec, exec, s[2:3]
	s_mov_b32 s2, 0xffffff
	v_cmp_lt_u32_e32 vcc, s2, v33
	s_and_saveexec_b64 s[2:3], vcc
	s_cbranch_execz .LBB896_107
; %bb.102:
	v_lshrrev_b32_e32 v30, 24, v33
	s_movk_i32 s8, 0x80
	v_cmp_ne_u32_e32 vcc, s8, v30
	v_mov_b32_e32 v56, 0xffff8000
	s_and_saveexec_b64 s[8:9], vcc
	s_cbranch_execz .LBB896_106
; %bb.103:
	v_bfe_u32 v33, v33, 24, 7
	s_movk_i32 s10, 0x7f
	v_cmp_ne_u32_e32 vcc, s10, v33
	v_mov_b32_e32 v56, 0x7f80
	s_and_saveexec_b64 s[10:11], vcc
	s_cbranch_execz .LBB896_105
; %bb.104:
	v_and_b32_e32 v56, 7, v30
	v_ffbh_u32_e32 v58, v56
	v_min_u32_e32 v61, 32, v58
	v_subrev_u32_e32 v58, 28, v61
	v_lshlrev_b64 v[58:59], v58, v[30:31]
	v_lshrrev_b32_e32 v60, 3, v33
	v_sub_u32_e32 v59, 29, v61
	v_and_b32_e32 v58, 7, v58
	v_cmp_gt_u32_e32 vcc, 8, v33
	v_cndmask_b32_e32 v33, v60, v59, vcc
	v_cndmask_b32_e32 v56, v56, v58, vcc
	v_lshlrev_b32_e32 v30, 24, v30
	v_bfrev_b32_e32 v58, 60
	v_lshlrev_b32_e32 v56, 20, v56
	v_and_b32_e32 v30, 0x80000000, v30
	v_lshl_add_u32 v33, v33, 23, v58
	v_or3_b32 v30, v30, v33, v56
	v_lshrrev_b32_e32 v56, 16, v30
.LBB896_105:
	s_or_b64 exec, exec, s[10:11]
.LBB896_106:
	s_or_b64 exec, exec, s[8:9]
.LBB896_107:
	s_or_b64 exec, exec, s[2:3]
	s_mov_b32 s2, 0x5040100
	v_perm_b32 v53, v53, v54, s2
	v_perm_b32 v52, v31, v52, s2
	;; [unrolled: 1-line block ×4, first 2 shown]
	v_mfma_f32_16x16x16bf16_1k v[58:61], v[52:53], v[18:19], v[42:45]
	s_nop 6
	v_mov_b32_e32 v43, 0
	s_waitcnt vmcnt(6)
	v_cmp_ne_u16_sdwa s[8:9], v38, v43 src0_sel:BYTE_0 src1_sel:DWORD
	v_mfma_f32_16x16x16bf16_1k v[30:33], v[30:31], v[20:21], v[58:61]
	v_mov_b32_e32 v44, 0
	s_and_saveexec_b64 s[2:3], s[8:9]
	s_cbranch_execz .LBB896_113
; %bb.108:
	s_movk_i32 s8, 0x80
	v_cmp_ne_u16_sdwa s[10:11], v38, s8 src0_sel:BYTE_0 src1_sel:DWORD
	v_mov_b32_e32 v44, 0xffff8000
	s_and_saveexec_b64 s[8:9], s[10:11]
	s_cbranch_execz .LBB896_112
; %bb.109:
	s_movk_i32 s10, 0x7f
	v_and_b32_e32 v42, 0x7f, v38
	v_cmp_ne_u32_e32 vcc, s10, v42
	v_mov_b32_e32 v44, 0x7f80
	s_and_saveexec_b64 s[10:11], vcc
	s_cbranch_execz .LBB896_111
; %bb.110:
	v_and_b32_e32 v52, 7, v38
	v_ffbh_u32_e32 v44, v52
	v_min_u32_e32 v54, 32, v44
	v_subrev_u32_e32 v44, 28, v54
	v_lshlrev_b64 v[44:45], v44, v[38:39]
	v_lshrrev_b32_e32 v53, 3, v42
	v_sub_u32_e32 v45, 29, v54
	v_and_b32_e32 v44, 7, v44
	v_cmp_gt_u32_e32 vcc, 8, v42
	v_cndmask_b32_e32 v42, v53, v45, vcc
	v_cndmask_b32_e32 v44, v52, v44, vcc
	v_lshlrev_b32_e32 v45, 24, v38
	v_bfrev_b32_e32 v52, 60
	v_lshlrev_b32_e32 v44, 20, v44
	v_and_b32_e32 v45, 0x80000000, v45
	v_lshl_add_u32 v42, v42, 23, v52
	v_or3_b32 v42, v45, v42, v44
	v_lshrrev_b32_e32 v44, 16, v42
.LBB896_111:
	s_or_b64 exec, exec, s[10:11]
.LBB896_112:
	s_or_b64 exec, exec, s[8:9]
.LBB896_113:
	s_or_b64 exec, exec, s[2:3]
	v_lshrrev_b16_e32 v42, 8, v38
	v_cmp_ne_u16_e32 vcc, 0, v42
	s_and_saveexec_b64 s[2:3], vcc
	s_cbranch_execz .LBB896_119
; %bb.114:
	s_movk_i32 s8, 0x80
	v_cmp_ne_u16_e32 vcc, s8, v42
	v_mov_b32_e32 v43, 0xffff8000
	s_and_saveexec_b64 s[8:9], vcc
	s_cbranch_execz .LBB896_118
; %bb.115:
	s_movk_i32 s10, 0x7f
	v_and_b32_e32 v45, 0x7f, v42
	v_cmp_ne_u32_e32 vcc, s10, v45
	v_mov_b32_e32 v43, 0x7f80
	s_and_saveexec_b64 s[10:11], vcc
	s_cbranch_execz .LBB896_117
; %bb.116:
	v_and_b32_e32 v52, 7, v42
	v_ffbh_u32_e32 v43, v52
	v_min_u32_e32 v54, 32, v43
	v_subrev_u32_e32 v43, 28, v54
	v_lshlrev_b64 v[42:43], v43, v[42:43]
	v_lshrrev_b32_e32 v53, 3, v45
	v_sub_u32_e32 v43, 29, v54
	v_and_b32_e32 v42, 7, v42
	v_cmp_gt_u32_e32 vcc, 8, v45
	v_cndmask_b32_e32 v43, v53, v43, vcc
	v_cndmask_b32_e32 v42, v52, v42, vcc
	v_lshlrev_b32_e32 v45, 16, v38
	v_bfrev_b32_e32 v52, 60
	v_lshlrev_b32_e32 v42, 20, v42
	v_and_b32_e32 v45, 0x80000000, v45
	v_lshl_add_u32 v43, v43, 23, v52
	v_or3_b32 v42, v45, v43, v42
	v_lshrrev_b32_e32 v43, 16, v42
.LBB896_117:
	s_or_b64 exec, exec, s[10:11]
.LBB896_118:
	s_or_b64 exec, exec, s[8:9]
.LBB896_119:
	s_or_b64 exec, exec, s[2:3]
	s_movk_i32 s2, 0xff
	v_and_b32_sdwa v53, v38, s2 dst_sel:DWORD dst_unused:UNUSED_PAD src0_sel:WORD_1 src1_sel:DWORD
	v_lshrrev_b32_e32 v42, 16, v38
	v_cmp_ne_u16_e32 vcc, 0, v53
	v_mov_b32_e32 v45, 0
	v_mov_b32_e32 v52, 0
	s_and_saveexec_b64 s[2:3], vcc
	s_cbranch_execz .LBB896_125
; %bb.120:
	s_movk_i32 s8, 0x80
	v_cmp_ne_u16_e32 vcc, s8, v53
	v_mov_b32_e32 v52, 0xffff8000
	s_and_saveexec_b64 s[8:9], vcc
	s_cbranch_execz .LBB896_124
; %bb.121:
	v_bfe_u32 v53, v38, 16, 7
	s_movk_i32 s10, 0x7f
	v_cmp_ne_u32_e32 vcc, s10, v53
	v_mov_b32_e32 v52, 0x7f80
	s_and_saveexec_b64 s[10:11], vcc
	s_cbranch_execz .LBB896_123
; %bb.122:
	v_and_b32_e32 v52, 7, v42
	v_ffbh_u32_e32 v54, v52
	v_min_u32_e32 v57, 32, v54
	v_subrev_u32_e32 v54, 28, v57
	v_lshlrev_b64 v[54:55], v54, v[42:43]
	v_lshrrev_b32_e32 v56, 3, v53
	v_sub_u32_e32 v42, 29, v57
	v_and_b32_e32 v54, 7, v54
	v_cmp_gt_u32_e32 vcc, 8, v53
	v_mov_b32_e32 v53, 24
	v_cndmask_b32_e32 v42, v56, v42, vcc
	v_cndmask_b32_e32 v52, v52, v54, vcc
	v_lshlrev_b32_sdwa v53, v53, v38 dst_sel:DWORD dst_unused:UNUSED_PAD src0_sel:DWORD src1_sel:WORD_1
	v_bfrev_b32_e32 v54, 60
	v_lshlrev_b32_e32 v52, 20, v52
	v_and_b32_e32 v53, 0x80000000, v53
	v_lshl_add_u32 v42, v42, 23, v54
	v_or3_b32 v42, v53, v42, v52
	v_lshrrev_b32_e32 v52, 16, v42
.LBB896_123:
	s_or_b64 exec, exec, s[10:11]
.LBB896_124:
	s_or_b64 exec, exec, s[8:9]
.LBB896_125:
	s_or_b64 exec, exec, s[2:3]
	s_mov_b32 s2, 0xffffff
	v_cmp_lt_u32_e32 vcc, s2, v38
	s_and_saveexec_b64 s[2:3], vcc
	s_cbranch_execz .LBB896_131
; %bb.126:
	v_lshrrev_b32_e32 v42, 24, v38
	s_movk_i32 s8, 0x80
	v_cmp_ne_u32_e32 vcc, s8, v42
	v_mov_b32_e32 v45, 0xffff8000
	s_and_saveexec_b64 s[8:9], vcc
	s_cbranch_execz .LBB896_130
; %bb.127:
	v_bfe_u32 v38, v38, 24, 7
	s_movk_i32 s10, 0x7f
	v_cmp_ne_u32_e32 vcc, s10, v38
	v_mov_b32_e32 v45, 0x7f80
	s_and_saveexec_b64 s[10:11], vcc
	s_cbranch_execz .LBB896_129
; %bb.128:
	v_and_b32_e32 v45, 7, v42
	v_ffbh_u32_e32 v54, v45
	v_min_u32_e32 v56, 32, v54
	v_subrev_u32_e32 v54, 28, v56
	v_lshlrev_b64 v[54:55], v54, v[42:43]
	v_lshrrev_b32_e32 v53, 3, v38
	v_sub_u32_e32 v55, 29, v56
	v_and_b32_e32 v54, 7, v54
	v_cmp_gt_u32_e32 vcc, 8, v38
	v_cndmask_b32_e32 v38, v53, v55, vcc
	v_cndmask_b32_e32 v45, v45, v54, vcc
	v_lshlrev_b32_e32 v42, 24, v42
	v_bfrev_b32_e32 v53, 60
	v_lshlrev_b32_e32 v45, 20, v45
	v_and_b32_e32 v42, 0x80000000, v42
	v_lshl_add_u32 v38, v38, 23, v53
	v_or3_b32 v38, v42, v38, v45
	v_lshrrev_b32_e32 v45, 16, v38
.LBB896_129:
	s_or_b64 exec, exec, s[10:11]
.LBB896_130:
	s_or_b64 exec, exec, s[8:9]
.LBB896_131:
	s_or_b64 exec, exec, s[2:3]
	v_mov_b32_e32 v42, 0
	v_cmp_ne_u16_sdwa s[8:9], v39, v42 src0_sel:BYTE_0 src1_sel:DWORD
	v_mov_b32_e32 v53, 0
	s_and_saveexec_b64 s[2:3], s[8:9]
	s_cbranch_execz .LBB896_137
; %bb.132:
	s_movk_i32 s8, 0x80
	v_cmp_ne_u16_sdwa s[10:11], v39, s8 src0_sel:BYTE_0 src1_sel:DWORD
	v_mov_b32_e32 v53, 0xffff8000
	s_and_saveexec_b64 s[8:9], s[10:11]
	s_cbranch_execz .LBB896_136
; %bb.133:
	s_movk_i32 s10, 0x7f
	v_and_b32_e32 v38, 0x7f, v39
	v_cmp_ne_u32_e32 vcc, s10, v38
	v_mov_b32_e32 v53, 0x7f80
	s_and_saveexec_b64 s[10:11], vcc
	s_cbranch_execz .LBB896_135
; %bb.134:
	v_and_b32_e32 v53, 7, v39
	v_ffbh_u32_e32 v55, v53
	v_min_u32_e32 v57, 32, v55
	v_mov_b32_e32 v54, v39
	v_subrev_u32_e32 v55, 28, v57
	v_lshlrev_b64 v[54:55], v55, v[54:55]
	v_lshrrev_b32_e32 v56, 3, v38
	v_sub_u32_e32 v55, 29, v57
	v_and_b32_e32 v54, 7, v54
	v_cmp_gt_u32_e32 vcc, 8, v38
	v_cndmask_b32_e32 v38, v56, v55, vcc
	v_cndmask_b32_e32 v53, v53, v54, vcc
	v_lshlrev_b32_e32 v54, 24, v39
	v_bfrev_b32_e32 v55, 60
	v_lshlrev_b32_e32 v53, 20, v53
	v_and_b32_e32 v54, 0x80000000, v54
	v_lshl_add_u32 v38, v38, 23, v55
	v_or3_b32 v38, v54, v38, v53
	v_lshrrev_b32_e32 v53, 16, v38
.LBB896_135:
	s_or_b64 exec, exec, s[10:11]
.LBB896_136:
	s_or_b64 exec, exec, s[8:9]
.LBB896_137:
	s_or_b64 exec, exec, s[2:3]
	v_lshrrev_b16_e32 v38, 8, v39
	v_cmp_ne_u16_e32 vcc, 0, v38
	s_and_saveexec_b64 s[2:3], vcc
	s_cbranch_execz .LBB896_143
; %bb.138:
	s_movk_i32 s8, 0x80
	v_cmp_ne_u16_e32 vcc, s8, v38
	v_mov_b32_e32 v42, 0xffff8000
	s_and_saveexec_b64 s[8:9], vcc
	s_cbranch_execz .LBB896_142
; %bb.139:
	s_movk_i32 s10, 0x7f
	v_and_b32_e32 v54, 0x7f, v38
	v_cmp_ne_u32_e32 vcc, s10, v54
	v_mov_b32_e32 v42, 0x7f80
	s_and_saveexec_b64 s[10:11], vcc
	s_cbranch_execz .LBB896_141
; %bb.140:
	v_and_b32_e32 v42, 7, v38
	v_ffbh_u32_e32 v56, v42
	v_min_u32_e32 v58, 32, v56
	v_subrev_u32_e32 v56, 28, v58
	v_lshlrev_b64 v[56:57], v56, v[38:39]
	v_lshrrev_b32_e32 v55, 3, v54
	v_sub_u32_e32 v38, 29, v58
	v_and_b32_e32 v56, 7, v56
	v_cmp_gt_u32_e32 vcc, 8, v54
	v_cndmask_b32_e32 v38, v55, v38, vcc
	v_cndmask_b32_e32 v42, v42, v56, vcc
	v_lshlrev_b32_e32 v54, 16, v39
	v_bfrev_b32_e32 v55, 60
	v_lshlrev_b32_e32 v42, 20, v42
	v_and_b32_e32 v54, 0x80000000, v54
	v_lshl_add_u32 v38, v38, 23, v55
	v_or3_b32 v38, v54, v38, v42
	v_lshrrev_b32_e32 v42, 16, v38
.LBB896_141:
	s_or_b64 exec, exec, s[10:11]
.LBB896_142:
	s_or_b64 exec, exec, s[8:9]
.LBB896_143:
	s_or_b64 exec, exec, s[2:3]
	s_movk_i32 s2, 0xff
	v_and_b32_sdwa v56, v39, s2 dst_sel:DWORD dst_unused:UNUSED_PAD src0_sel:WORD_1 src1_sel:DWORD
	v_lshrrev_b32_e32 v38, 16, v39
	v_cmp_ne_u16_e32 vcc, 0, v56
	v_mov_b32_e32 v54, 0
	v_mov_b32_e32 v55, 0
	s_and_saveexec_b64 s[2:3], vcc
	s_cbranch_execz .LBB896_149
; %bb.144:
	s_movk_i32 s8, 0x80
	v_cmp_ne_u16_e32 vcc, s8, v56
	v_mov_b32_e32 v55, 0xffff8000
	s_and_saveexec_b64 s[8:9], vcc
	s_cbranch_execz .LBB896_148
; %bb.145:
	v_bfe_u32 v56, v39, 16, 7
	s_movk_i32 s10, 0x7f
	v_cmp_ne_u32_e32 vcc, s10, v56
	v_mov_b32_e32 v55, 0x7f80
	s_and_saveexec_b64 s[10:11], vcc
	s_cbranch_execz .LBB896_147
; %bb.146:
	v_and_b32_e32 v55, 7, v38
	v_ffbh_u32_e32 v58, v55
	v_min_u32_e32 v60, 32, v58
	v_subrev_u32_e32 v58, 28, v60
	v_lshlrev_b64 v[58:59], v58, v[38:39]
	v_lshrrev_b32_e32 v57, 3, v56
	v_sub_u32_e32 v38, 29, v60
	v_and_b32_e32 v58, 7, v58
	v_cmp_gt_u32_e32 vcc, 8, v56
	v_mov_b32_e32 v56, 24
	v_cndmask_b32_e32 v38, v57, v38, vcc
	v_cndmask_b32_e32 v55, v55, v58, vcc
	v_lshlrev_b32_sdwa v56, v56, v39 dst_sel:DWORD dst_unused:UNUSED_PAD src0_sel:DWORD src1_sel:WORD_1
	v_bfrev_b32_e32 v57, 60
	v_lshlrev_b32_e32 v55, 20, v55
	v_and_b32_e32 v56, 0x80000000, v56
	v_lshl_add_u32 v38, v38, 23, v57
	v_or3_b32 v38, v56, v38, v55
	v_lshrrev_b32_e32 v55, 16, v38
.LBB896_147:
	s_or_b64 exec, exec, s[10:11]
.LBB896_148:
	s_or_b64 exec, exec, s[8:9]
.LBB896_149:
	s_or_b64 exec, exec, s[2:3]
	s_mov_b32 s2, 0xffffff
	v_cmp_lt_u32_e32 vcc, s2, v39
	s_and_saveexec_b64 s[2:3], vcc
	s_cbranch_execz .LBB896_155
; %bb.150:
	v_lshrrev_b32_e32 v38, 24, v39
	s_movk_i32 s8, 0x80
	v_cmp_ne_u32_e32 vcc, s8, v38
	v_mov_b32_e32 v54, 0xffff8000
	s_and_saveexec_b64 s[8:9], vcc
	s_cbranch_execz .LBB896_154
; %bb.151:
	v_bfe_u32 v39, v39, 24, 7
	s_movk_i32 s10, 0x7f
	v_cmp_ne_u32_e32 vcc, s10, v39
	v_mov_b32_e32 v54, 0x7f80
	s_and_saveexec_b64 s[10:11], vcc
	s_cbranch_execz .LBB896_153
; %bb.152:
	v_and_b32_e32 v54, 7, v38
	v_ffbh_u32_e32 v56, v54
	v_min_u32_e32 v59, 32, v56
	v_subrev_u32_e32 v56, 28, v59
	v_lshlrev_b64 v[56:57], v56, v[38:39]
	v_lshrrev_b32_e32 v58, 3, v39
	v_sub_u32_e32 v57, 29, v59
	v_and_b32_e32 v56, 7, v56
	v_cmp_gt_u32_e32 vcc, 8, v39
	v_cndmask_b32_e32 v39, v58, v57, vcc
	v_cndmask_b32_e32 v54, v54, v56, vcc
	v_lshlrev_b32_e32 v38, 24, v38
	v_bfrev_b32_e32 v56, 60
	v_lshlrev_b32_e32 v54, 20, v54
	v_and_b32_e32 v38, 0x80000000, v38
	v_lshl_add_u32 v39, v39, 23, v56
	v_or3_b32 v38, v38, v39, v54
	v_lshrrev_b32_e32 v54, 16, v38
.LBB896_153:
	s_or_b64 exec, exec, s[10:11]
.LBB896_154:
	s_or_b64 exec, exec, s[8:9]
.LBB896_155:
	s_or_b64 exec, exec, s[2:3]
	s_mov_b32 s2, 0x5040100
	v_perm_b32 v39, v45, v52, s2
	v_perm_b32 v38, v43, v44, s2
	;; [unrolled: 1-line block ×4, first 2 shown]
	v_mov_b32_e32 v52, 0
	v_mfma_f32_16x16x16bf16_1k v[56:59], v[38:39], v[26:27], 0
	v_mov_b32_e32 v39, 0
	v_cmp_ne_u16_sdwa s[8:9], v40, v39 src0_sel:BYTE_0 src1_sel:DWORD
	v_mfma_f32_16x16x16bf16_1k v[42:45], v[42:43], v[28:29], v[56:59]
	s_and_saveexec_b64 s[2:3], s[8:9]
	s_cbranch_execz .LBB896_161
; %bb.156:
	s_movk_i32 s8, 0x80
	v_cmp_ne_u16_sdwa s[10:11], v40, s8 src0_sel:BYTE_0 src1_sel:DWORD
	v_mov_b32_e32 v52, 0xffff8000
	s_and_saveexec_b64 s[8:9], s[10:11]
	s_cbranch_execz .LBB896_160
; %bb.157:
	s_movk_i32 s10, 0x7f
	v_and_b32_e32 v38, 0x7f, v40
	v_cmp_ne_u32_e32 vcc, s10, v38
	v_mov_b32_e32 v52, 0x7f80
	s_and_saveexec_b64 s[10:11], vcc
	s_cbranch_execz .LBB896_159
; %bb.158:
	v_and_b32_e32 v54, 7, v40
	v_ffbh_u32_e32 v52, v54
	v_min_u32_e32 v56, 32, v52
	v_subrev_u32_e32 v52, 28, v56
	v_lshlrev_b64 v[52:53], v52, v[40:41]
	v_lshrrev_b32_e32 v55, 3, v38
	v_sub_u32_e32 v53, 29, v56
	v_and_b32_e32 v52, 7, v52
	v_cmp_gt_u32_e32 vcc, 8, v38
	v_cndmask_b32_e32 v38, v55, v53, vcc
	v_cndmask_b32_e32 v52, v54, v52, vcc
	v_lshlrev_b32_e32 v53, 24, v40
	v_bfrev_b32_e32 v54, 60
	v_lshlrev_b32_e32 v52, 20, v52
	v_and_b32_e32 v53, 0x80000000, v53
	v_lshl_add_u32 v38, v38, 23, v54
	v_or3_b32 v38, v53, v38, v52
	v_lshrrev_b32_e32 v52, 16, v38
.LBB896_159:
	s_or_b64 exec, exec, s[10:11]
.LBB896_160:
	s_or_b64 exec, exec, s[8:9]
.LBB896_161:
	s_or_b64 exec, exec, s[2:3]
	v_lshrrev_b16_e32 v38, 8, v40
	v_cmp_ne_u16_e32 vcc, 0, v38
	s_and_saveexec_b64 s[2:3], vcc
	s_cbranch_execz .LBB896_167
; %bb.162:
	s_movk_i32 s8, 0x80
	v_cmp_ne_u16_e32 vcc, s8, v38
	v_mov_b32_e32 v39, 0xffff8000
	s_and_saveexec_b64 s[8:9], vcc
	s_cbranch_execz .LBB896_166
; %bb.163:
	s_movk_i32 s10, 0x7f
	v_and_b32_e32 v53, 0x7f, v38
	v_cmp_ne_u32_e32 vcc, s10, v53
	v_mov_b32_e32 v39, 0x7f80
	s_and_saveexec_b64 s[10:11], vcc
	s_cbranch_execz .LBB896_165
; %bb.164:
	v_and_b32_e32 v54, 7, v38
	v_ffbh_u32_e32 v39, v54
	v_min_u32_e32 v56, 32, v39
	v_subrev_u32_e32 v39, 28, v56
	v_lshlrev_b64 v[38:39], v39, v[38:39]
	v_lshrrev_b32_e32 v55, 3, v53
	v_sub_u32_e32 v39, 29, v56
	v_and_b32_e32 v38, 7, v38
	v_cmp_gt_u32_e32 vcc, 8, v53
	v_cndmask_b32_e32 v39, v55, v39, vcc
	v_cndmask_b32_e32 v38, v54, v38, vcc
	v_lshlrev_b32_e32 v53, 16, v40
	v_bfrev_b32_e32 v54, 60
	v_lshlrev_b32_e32 v38, 20, v38
	v_and_b32_e32 v53, 0x80000000, v53
	v_lshl_add_u32 v39, v39, 23, v54
	v_or3_b32 v38, v53, v39, v38
	v_lshrrev_b32_e32 v39, 16, v38
.LBB896_165:
	s_or_b64 exec, exec, s[10:11]
.LBB896_166:
	s_or_b64 exec, exec, s[8:9]
.LBB896_167:
	s_or_b64 exec, exec, s[2:3]
	s_movk_i32 s2, 0xff
	v_and_b32_sdwa v55, v40, s2 dst_sel:DWORD dst_unused:UNUSED_PAD src0_sel:WORD_1 src1_sel:DWORD
	v_lshrrev_b32_e32 v38, 16, v40
	v_cmp_ne_u16_e32 vcc, 0, v55
	v_mov_b32_e32 v53, 0
	v_mov_b32_e32 v54, 0
	s_and_saveexec_b64 s[2:3], vcc
	s_cbranch_execz .LBB896_173
; %bb.168:
	s_movk_i32 s8, 0x80
	v_cmp_ne_u16_e32 vcc, s8, v55
	v_mov_b32_e32 v54, 0xffff8000
	s_and_saveexec_b64 s[8:9], vcc
	s_cbranch_execz .LBB896_172
; %bb.169:
	v_bfe_u32 v55, v40, 16, 7
	s_movk_i32 s10, 0x7f
	v_cmp_ne_u32_e32 vcc, s10, v55
	v_mov_b32_e32 v54, 0x7f80
	s_and_saveexec_b64 s[10:11], vcc
	s_cbranch_execz .LBB896_171
; %bb.170:
	v_and_b32_e32 v54, 7, v38
	v_ffbh_u32_e32 v56, v54
	v_min_u32_e32 v59, 32, v56
	v_subrev_u32_e32 v56, 28, v59
	v_lshlrev_b64 v[56:57], v56, v[38:39]
	v_lshrrev_b32_e32 v58, 3, v55
	v_sub_u32_e32 v38, 29, v59
	v_and_b32_e32 v56, 7, v56
	v_cmp_gt_u32_e32 vcc, 8, v55
	v_mov_b32_e32 v55, 24
	v_cndmask_b32_e32 v38, v58, v38, vcc
	v_cndmask_b32_e32 v54, v54, v56, vcc
	v_lshlrev_b32_sdwa v55, v55, v40 dst_sel:DWORD dst_unused:UNUSED_PAD src0_sel:DWORD src1_sel:WORD_1
	v_bfrev_b32_e32 v56, 60
	v_lshlrev_b32_e32 v54, 20, v54
	v_and_b32_e32 v55, 0x80000000, v55
	v_lshl_add_u32 v38, v38, 23, v56
	v_or3_b32 v38, v55, v38, v54
	v_lshrrev_b32_e32 v54, 16, v38
.LBB896_171:
	s_or_b64 exec, exec, s[10:11]
.LBB896_172:
	s_or_b64 exec, exec, s[8:9]
.LBB896_173:
	s_or_b64 exec, exec, s[2:3]
	s_mov_b32 s2, 0xffffff
	v_cmp_lt_u32_e32 vcc, s2, v40
	s_and_saveexec_b64 s[2:3], vcc
	s_cbranch_execz .LBB896_179
; %bb.174:
	v_lshrrev_b32_e32 v38, 24, v40
	s_movk_i32 s8, 0x80
	v_cmp_ne_u32_e32 vcc, s8, v38
	v_mov_b32_e32 v53, 0xffff8000
	s_and_saveexec_b64 s[8:9], vcc
	s_cbranch_execz .LBB896_178
; %bb.175:
	v_bfe_u32 v40, v40, 24, 7
	s_movk_i32 s10, 0x7f
	v_cmp_ne_u32_e32 vcc, s10, v40
	v_mov_b32_e32 v53, 0x7f80
	s_and_saveexec_b64 s[10:11], vcc
	s_cbranch_execz .LBB896_177
; %bb.176:
	v_and_b32_e32 v53, 7, v38
	v_ffbh_u32_e32 v56, v53
	v_min_u32_e32 v58, 32, v56
	v_subrev_u32_e32 v56, 28, v58
	v_lshlrev_b64 v[56:57], v56, v[38:39]
	v_lshrrev_b32_e32 v55, 3, v40
	v_sub_u32_e32 v57, 29, v58
	v_and_b32_e32 v56, 7, v56
	v_cmp_gt_u32_e32 vcc, 8, v40
	v_cndmask_b32_e32 v40, v55, v57, vcc
	v_cndmask_b32_e32 v53, v53, v56, vcc
	v_lshlrev_b32_e32 v38, 24, v38
	v_bfrev_b32_e32 v55, 60
	v_lshlrev_b32_e32 v53, 20, v53
	v_and_b32_e32 v38, 0x80000000, v38
	v_lshl_add_u32 v40, v40, 23, v55
	v_or3_b32 v38, v38, v40, v53
	v_lshrrev_b32_e32 v53, 16, v38
.LBB896_177:
	s_or_b64 exec, exec, s[10:11]
.LBB896_178:
	s_or_b64 exec, exec, s[8:9]
.LBB896_179:
	s_or_b64 exec, exec, s[2:3]
	v_mov_b32_e32 v40, 0
	v_cmp_ne_u16_sdwa s[8:9], v41, v40 src0_sel:BYTE_0 src1_sel:DWORD
	v_mov_b32_e32 v55, 0
	s_and_saveexec_b64 s[2:3], s[8:9]
	s_cbranch_execz .LBB896_185
; %bb.180:
	s_movk_i32 s8, 0x80
	v_cmp_ne_u16_sdwa s[10:11], v41, s8 src0_sel:BYTE_0 src1_sel:DWORD
	v_mov_b32_e32 v55, 0xffff8000
	s_and_saveexec_b64 s[8:9], s[10:11]
	s_cbranch_execz .LBB896_184
; %bb.181:
	s_movk_i32 s10, 0x7f
	v_and_b32_e32 v38, 0x7f, v41
	v_cmp_ne_u32_e32 vcc, s10, v38
	v_mov_b32_e32 v55, 0x7f80
	s_and_saveexec_b64 s[10:11], vcc
	s_cbranch_execz .LBB896_183
; %bb.182:
	v_and_b32_e32 v55, 7, v41
	v_ffbh_u32_e32 v57, v55
	v_min_u32_e32 v59, 32, v57
	v_mov_b32_e32 v56, v41
	v_subrev_u32_e32 v57, 28, v59
	v_lshlrev_b64 v[56:57], v57, v[56:57]
	v_lshrrev_b32_e32 v58, 3, v38
	v_sub_u32_e32 v57, 29, v59
	v_and_b32_e32 v56, 7, v56
	v_cmp_gt_u32_e32 vcc, 8, v38
	v_cndmask_b32_e32 v38, v58, v57, vcc
	v_cndmask_b32_e32 v55, v55, v56, vcc
	v_lshlrev_b32_e32 v56, 24, v41
	v_bfrev_b32_e32 v57, 60
	v_lshlrev_b32_e32 v55, 20, v55
	v_and_b32_e32 v56, 0x80000000, v56
	v_lshl_add_u32 v38, v38, 23, v57
	v_or3_b32 v38, v56, v38, v55
	v_lshrrev_b32_e32 v55, 16, v38
.LBB896_183:
	s_or_b64 exec, exec, s[10:11]
.LBB896_184:
	s_or_b64 exec, exec, s[8:9]
.LBB896_185:
	s_or_b64 exec, exec, s[2:3]
	v_lshrrev_b16_e32 v38, 8, v41
	v_cmp_ne_u16_e32 vcc, 0, v38
	s_and_saveexec_b64 s[2:3], vcc
	s_cbranch_execz .LBB896_191
; %bb.186:
	s_movk_i32 s8, 0x80
	v_cmp_ne_u16_e32 vcc, s8, v38
	v_mov_b32_e32 v40, 0xffff8000
	s_and_saveexec_b64 s[8:9], vcc
	s_cbranch_execz .LBB896_190
; %bb.187:
	s_movk_i32 s10, 0x7f
	v_and_b32_e32 v56, 0x7f, v38
	v_cmp_ne_u32_e32 vcc, s10, v56
	v_mov_b32_e32 v40, 0x7f80
	s_and_saveexec_b64 s[10:11], vcc
	s_cbranch_execz .LBB896_189
; %bb.188:
	v_and_b32_e32 v40, 7, v38
	v_ffbh_u32_e32 v58, v40
	v_min_u32_e32 v60, 32, v58
	v_subrev_u32_e32 v58, 28, v60
	v_lshlrev_b64 v[58:59], v58, v[38:39]
	v_lshrrev_b32_e32 v57, 3, v56
	v_sub_u32_e32 v38, 29, v60
	v_and_b32_e32 v58, 7, v58
	v_cmp_gt_u32_e32 vcc, 8, v56
	v_cndmask_b32_e32 v38, v57, v38, vcc
	v_cndmask_b32_e32 v40, v40, v58, vcc
	v_lshlrev_b32_e32 v56, 16, v41
	v_bfrev_b32_e32 v57, 60
	v_lshlrev_b32_e32 v40, 20, v40
	v_and_b32_e32 v56, 0x80000000, v56
	v_lshl_add_u32 v38, v38, 23, v57
	v_or3_b32 v38, v56, v38, v40
	v_lshrrev_b32_e32 v40, 16, v38
.LBB896_189:
	s_or_b64 exec, exec, s[10:11]
.LBB896_190:
	s_or_b64 exec, exec, s[8:9]
.LBB896_191:
	s_or_b64 exec, exec, s[2:3]
	s_movk_i32 s2, 0xff
	v_and_b32_sdwa v58, v41, s2 dst_sel:DWORD dst_unused:UNUSED_PAD src0_sel:WORD_1 src1_sel:DWORD
	v_lshrrev_b32_e32 v38, 16, v41
	v_cmp_ne_u16_e32 vcc, 0, v58
	v_mov_b32_e32 v56, 0
	v_mov_b32_e32 v57, 0
	s_and_saveexec_b64 s[2:3], vcc
	s_cbranch_execz .LBB896_197
; %bb.192:
	s_movk_i32 s8, 0x80
	v_cmp_ne_u16_e32 vcc, s8, v58
	v_mov_b32_e32 v57, 0xffff8000
	s_and_saveexec_b64 s[8:9], vcc
	s_cbranch_execz .LBB896_196
; %bb.193:
	v_bfe_u32 v58, v41, 16, 7
	s_movk_i32 s10, 0x7f
	v_cmp_ne_u32_e32 vcc, s10, v58
	v_mov_b32_e32 v57, 0x7f80
	s_and_saveexec_b64 s[10:11], vcc
	s_cbranch_execz .LBB896_195
; %bb.194:
	v_and_b32_e32 v57, 7, v38
	v_ffbh_u32_e32 v60, v57
	v_min_u32_e32 v62, 32, v60
	v_subrev_u32_e32 v60, 28, v62
	v_lshlrev_b64 v[60:61], v60, v[38:39]
	v_lshrrev_b32_e32 v59, 3, v58
	v_sub_u32_e32 v38, 29, v62
	v_and_b32_e32 v60, 7, v60
	v_cmp_gt_u32_e32 vcc, 8, v58
	v_mov_b32_e32 v58, 24
	v_cndmask_b32_e32 v38, v59, v38, vcc
	v_cndmask_b32_e32 v57, v57, v60, vcc
	v_lshlrev_b32_sdwa v58, v58, v41 dst_sel:DWORD dst_unused:UNUSED_PAD src0_sel:DWORD src1_sel:WORD_1
	v_bfrev_b32_e32 v59, 60
	v_lshlrev_b32_e32 v57, 20, v57
	v_and_b32_e32 v58, 0x80000000, v58
	v_lshl_add_u32 v38, v38, 23, v59
	v_or3_b32 v38, v58, v38, v57
	v_lshrrev_b32_e32 v57, 16, v38
.LBB896_195:
	s_or_b64 exec, exec, s[10:11]
.LBB896_196:
	s_or_b64 exec, exec, s[8:9]
.LBB896_197:
	s_or_b64 exec, exec, s[2:3]
	s_mov_b32 s2, 0xffffff
	v_cmp_lt_u32_e32 vcc, s2, v41
	s_and_saveexec_b64 s[2:3], vcc
	s_cbranch_execz .LBB896_203
; %bb.198:
	v_lshrrev_b32_e32 v38, 24, v41
	s_movk_i32 s8, 0x80
	v_cmp_ne_u32_e32 vcc, s8, v38
	v_mov_b32_e32 v56, 0xffff8000
	s_and_saveexec_b64 s[8:9], vcc
	s_cbranch_execz .LBB896_202
; %bb.199:
	v_bfe_u32 v41, v41, 24, 7
	s_movk_i32 s10, 0x7f
	v_cmp_ne_u32_e32 vcc, s10, v41
	v_mov_b32_e32 v56, 0x7f80
	s_and_saveexec_b64 s[10:11], vcc
	s_cbranch_execz .LBB896_201
; %bb.200:
	v_and_b32_e32 v56, 7, v38
	v_ffbh_u32_e32 v58, v56
	v_min_u32_e32 v61, 32, v58
	v_subrev_u32_e32 v58, 28, v61
	v_lshlrev_b64 v[58:59], v58, v[38:39]
	v_lshrrev_b32_e32 v60, 3, v41
	v_sub_u32_e32 v59, 29, v61
	v_and_b32_e32 v58, 7, v58
	v_cmp_gt_u32_e32 vcc, 8, v41
	v_cndmask_b32_e32 v41, v60, v59, vcc
	v_cndmask_b32_e32 v56, v56, v58, vcc
	v_lshlrev_b32_e32 v38, 24, v38
	v_bfrev_b32_e32 v58, 60
	v_lshlrev_b32_e32 v56, 20, v56
	v_and_b32_e32 v38, 0x80000000, v38
	v_lshl_add_u32 v41, v41, 23, v58
	v_or3_b32 v38, v38, v41, v56
	v_lshrrev_b32_e32 v56, 16, v38
.LBB896_201:
	s_or_b64 exec, exec, s[10:11]
.LBB896_202:
	s_or_b64 exec, exec, s[8:9]
.LBB896_203:
	s_or_b64 exec, exec, s[2:3]
	s_mov_b32 s2, 0x5040100
	v_perm_b32 v53, v53, v54, s2
	v_perm_b32 v52, v39, v52, s2
	;; [unrolled: 1-line block ×4, first 2 shown]
	v_mfma_f32_16x16x16bf16_1k v[58:61], v[52:53], v[18:19], v[42:45]
	s_nop 6
	v_mov_b32_e32 v43, 0
	s_waitcnt vmcnt(5)
	v_cmp_ne_u16_sdwa s[8:9], v34, v43 src0_sel:BYTE_0 src1_sel:DWORD
	v_mfma_f32_16x16x16bf16_1k v[38:41], v[38:39], v[20:21], v[58:61]
	v_mov_b32_e32 v44, 0
	s_and_saveexec_b64 s[2:3], s[8:9]
	s_cbranch_execz .LBB896_209
; %bb.204:
	s_movk_i32 s8, 0x80
	v_cmp_ne_u16_sdwa s[10:11], v34, s8 src0_sel:BYTE_0 src1_sel:DWORD
	v_mov_b32_e32 v44, 0xffff8000
	s_and_saveexec_b64 s[8:9], s[10:11]
	s_cbranch_execz .LBB896_208
; %bb.205:
	s_movk_i32 s10, 0x7f
	v_and_b32_e32 v42, 0x7f, v34
	v_cmp_ne_u32_e32 vcc, s10, v42
	v_mov_b32_e32 v44, 0x7f80
	s_and_saveexec_b64 s[10:11], vcc
	s_cbranch_execz .LBB896_207
; %bb.206:
	v_and_b32_e32 v52, 7, v34
	v_ffbh_u32_e32 v44, v52
	v_min_u32_e32 v54, 32, v44
	v_subrev_u32_e32 v44, 28, v54
	v_lshlrev_b64 v[44:45], v44, v[34:35]
	v_lshrrev_b32_e32 v53, 3, v42
	v_sub_u32_e32 v45, 29, v54
	v_and_b32_e32 v44, 7, v44
	v_cmp_gt_u32_e32 vcc, 8, v42
	v_cndmask_b32_e32 v42, v53, v45, vcc
	v_cndmask_b32_e32 v44, v52, v44, vcc
	v_lshlrev_b32_e32 v45, 24, v34
	v_bfrev_b32_e32 v52, 60
	v_lshlrev_b32_e32 v44, 20, v44
	v_and_b32_e32 v45, 0x80000000, v45
	v_lshl_add_u32 v42, v42, 23, v52
	v_or3_b32 v42, v45, v42, v44
	v_lshrrev_b32_e32 v44, 16, v42
.LBB896_207:
	s_or_b64 exec, exec, s[10:11]
.LBB896_208:
	s_or_b64 exec, exec, s[8:9]
.LBB896_209:
	s_or_b64 exec, exec, s[2:3]
	v_lshrrev_b16_e32 v42, 8, v34
	v_cmp_ne_u16_e32 vcc, 0, v42
	s_and_saveexec_b64 s[2:3], vcc
	s_cbranch_execz .LBB896_215
; %bb.210:
	s_movk_i32 s8, 0x80
	v_cmp_ne_u16_e32 vcc, s8, v42
	v_mov_b32_e32 v43, 0xffff8000
	s_and_saveexec_b64 s[8:9], vcc
	s_cbranch_execz .LBB896_214
; %bb.211:
	s_movk_i32 s10, 0x7f
	v_and_b32_e32 v45, 0x7f, v42
	v_cmp_ne_u32_e32 vcc, s10, v45
	v_mov_b32_e32 v43, 0x7f80
	s_and_saveexec_b64 s[10:11], vcc
	s_cbranch_execz .LBB896_213
; %bb.212:
	v_and_b32_e32 v52, 7, v42
	v_ffbh_u32_e32 v43, v52
	v_min_u32_e32 v54, 32, v43
	v_subrev_u32_e32 v43, 28, v54
	v_lshlrev_b64 v[42:43], v43, v[42:43]
	v_lshrrev_b32_e32 v53, 3, v45
	v_sub_u32_e32 v43, 29, v54
	v_and_b32_e32 v42, 7, v42
	v_cmp_gt_u32_e32 vcc, 8, v45
	v_cndmask_b32_e32 v43, v53, v43, vcc
	v_cndmask_b32_e32 v42, v52, v42, vcc
	v_lshlrev_b32_e32 v45, 16, v34
	v_bfrev_b32_e32 v52, 60
	v_lshlrev_b32_e32 v42, 20, v42
	v_and_b32_e32 v45, 0x80000000, v45
	v_lshl_add_u32 v43, v43, 23, v52
	v_or3_b32 v42, v45, v43, v42
	v_lshrrev_b32_e32 v43, 16, v42
.LBB896_213:
	s_or_b64 exec, exec, s[10:11]
.LBB896_214:
	s_or_b64 exec, exec, s[8:9]
.LBB896_215:
	s_or_b64 exec, exec, s[2:3]
	s_movk_i32 s2, 0xff
	v_and_b32_sdwa v53, v34, s2 dst_sel:DWORD dst_unused:UNUSED_PAD src0_sel:WORD_1 src1_sel:DWORD
	v_lshrrev_b32_e32 v42, 16, v34
	v_cmp_ne_u16_e32 vcc, 0, v53
	v_mov_b32_e32 v45, 0
	v_mov_b32_e32 v52, 0
	s_and_saveexec_b64 s[2:3], vcc
	s_cbranch_execz .LBB896_221
; %bb.216:
	s_movk_i32 s8, 0x80
	v_cmp_ne_u16_e32 vcc, s8, v53
	v_mov_b32_e32 v52, 0xffff8000
	s_and_saveexec_b64 s[8:9], vcc
	s_cbranch_execz .LBB896_220
; %bb.217:
	v_bfe_u32 v53, v34, 16, 7
	s_movk_i32 s10, 0x7f
	v_cmp_ne_u32_e32 vcc, s10, v53
	v_mov_b32_e32 v52, 0x7f80
	s_and_saveexec_b64 s[10:11], vcc
	s_cbranch_execz .LBB896_219
; %bb.218:
	v_and_b32_e32 v52, 7, v42
	v_ffbh_u32_e32 v54, v52
	v_min_u32_e32 v57, 32, v54
	v_subrev_u32_e32 v54, 28, v57
	v_lshlrev_b64 v[54:55], v54, v[42:43]
	v_lshrrev_b32_e32 v56, 3, v53
	v_sub_u32_e32 v42, 29, v57
	v_and_b32_e32 v54, 7, v54
	v_cmp_gt_u32_e32 vcc, 8, v53
	v_mov_b32_e32 v53, 24
	v_cndmask_b32_e32 v42, v56, v42, vcc
	v_cndmask_b32_e32 v52, v52, v54, vcc
	v_lshlrev_b32_sdwa v53, v53, v34 dst_sel:DWORD dst_unused:UNUSED_PAD src0_sel:DWORD src1_sel:WORD_1
	v_bfrev_b32_e32 v54, 60
	v_lshlrev_b32_e32 v52, 20, v52
	v_and_b32_e32 v53, 0x80000000, v53
	v_lshl_add_u32 v42, v42, 23, v54
	v_or3_b32 v42, v53, v42, v52
	v_lshrrev_b32_e32 v52, 16, v42
.LBB896_219:
	s_or_b64 exec, exec, s[10:11]
.LBB896_220:
	s_or_b64 exec, exec, s[8:9]
.LBB896_221:
	s_or_b64 exec, exec, s[2:3]
	s_mov_b32 s2, 0xffffff
	v_cmp_lt_u32_e32 vcc, s2, v34
	s_and_saveexec_b64 s[2:3], vcc
	s_cbranch_execz .LBB896_227
; %bb.222:
	v_lshrrev_b32_e32 v42, 24, v34
	s_movk_i32 s8, 0x80
	v_cmp_ne_u32_e32 vcc, s8, v42
	v_mov_b32_e32 v45, 0xffff8000
	s_and_saveexec_b64 s[8:9], vcc
	s_cbranch_execz .LBB896_226
; %bb.223:
	v_bfe_u32 v34, v34, 24, 7
	s_movk_i32 s10, 0x7f
	v_cmp_ne_u32_e32 vcc, s10, v34
	v_mov_b32_e32 v45, 0x7f80
	s_and_saveexec_b64 s[10:11], vcc
	s_cbranch_execz .LBB896_225
; %bb.224:
	v_and_b32_e32 v45, 7, v42
	v_ffbh_u32_e32 v54, v45
	v_min_u32_e32 v56, 32, v54
	v_subrev_u32_e32 v54, 28, v56
	v_lshlrev_b64 v[54:55], v54, v[42:43]
	v_lshrrev_b32_e32 v53, 3, v34
	v_sub_u32_e32 v55, 29, v56
	v_and_b32_e32 v54, 7, v54
	v_cmp_gt_u32_e32 vcc, 8, v34
	v_cndmask_b32_e32 v34, v53, v55, vcc
	v_cndmask_b32_e32 v45, v45, v54, vcc
	v_lshlrev_b32_e32 v42, 24, v42
	v_bfrev_b32_e32 v53, 60
	v_lshlrev_b32_e32 v45, 20, v45
	v_and_b32_e32 v42, 0x80000000, v42
	v_lshl_add_u32 v34, v34, 23, v53
	v_or3_b32 v34, v42, v34, v45
	v_lshrrev_b32_e32 v45, 16, v34
.LBB896_225:
	s_or_b64 exec, exec, s[10:11]
.LBB896_226:
	s_or_b64 exec, exec, s[8:9]
.LBB896_227:
	s_or_b64 exec, exec, s[2:3]
	v_mov_b32_e32 v42, 0
	v_cmp_ne_u16_sdwa s[8:9], v35, v42 src0_sel:BYTE_0 src1_sel:DWORD
	v_mov_b32_e32 v53, 0
	s_and_saveexec_b64 s[2:3], s[8:9]
	s_cbranch_execz .LBB896_233
; %bb.228:
	s_movk_i32 s8, 0x80
	v_cmp_ne_u16_sdwa s[10:11], v35, s8 src0_sel:BYTE_0 src1_sel:DWORD
	v_mov_b32_e32 v53, 0xffff8000
	s_and_saveexec_b64 s[8:9], s[10:11]
	s_cbranch_execz .LBB896_232
; %bb.229:
	s_movk_i32 s10, 0x7f
	v_and_b32_e32 v34, 0x7f, v35
	v_cmp_ne_u32_e32 vcc, s10, v34
	v_mov_b32_e32 v53, 0x7f80
	s_and_saveexec_b64 s[10:11], vcc
	s_cbranch_execz .LBB896_231
; %bb.230:
	v_and_b32_e32 v53, 7, v35
	v_ffbh_u32_e32 v55, v53
	v_min_u32_e32 v57, 32, v55
	v_mov_b32_e32 v54, v35
	v_subrev_u32_e32 v55, 28, v57
	v_lshlrev_b64 v[54:55], v55, v[54:55]
	v_lshrrev_b32_e32 v56, 3, v34
	v_sub_u32_e32 v55, 29, v57
	v_and_b32_e32 v54, 7, v54
	v_cmp_gt_u32_e32 vcc, 8, v34
	v_cndmask_b32_e32 v34, v56, v55, vcc
	v_cndmask_b32_e32 v53, v53, v54, vcc
	v_lshlrev_b32_e32 v54, 24, v35
	v_bfrev_b32_e32 v55, 60
	v_lshlrev_b32_e32 v53, 20, v53
	v_and_b32_e32 v54, 0x80000000, v54
	v_lshl_add_u32 v34, v34, 23, v55
	v_or3_b32 v34, v54, v34, v53
	v_lshrrev_b32_e32 v53, 16, v34
.LBB896_231:
	s_or_b64 exec, exec, s[10:11]
.LBB896_232:
	s_or_b64 exec, exec, s[8:9]
.LBB896_233:
	s_or_b64 exec, exec, s[2:3]
	v_lshrrev_b16_e32 v34, 8, v35
	v_cmp_ne_u16_e32 vcc, 0, v34
	s_and_saveexec_b64 s[2:3], vcc
	s_cbranch_execz .LBB896_239
; %bb.234:
	s_movk_i32 s8, 0x80
	v_cmp_ne_u16_e32 vcc, s8, v34
	v_mov_b32_e32 v42, 0xffff8000
	s_and_saveexec_b64 s[8:9], vcc
	s_cbranch_execz .LBB896_238
; %bb.235:
	s_movk_i32 s10, 0x7f
	v_and_b32_e32 v54, 0x7f, v34
	v_cmp_ne_u32_e32 vcc, s10, v54
	v_mov_b32_e32 v42, 0x7f80
	s_and_saveexec_b64 s[10:11], vcc
	s_cbranch_execz .LBB896_237
; %bb.236:
	v_and_b32_e32 v42, 7, v34
	v_ffbh_u32_e32 v56, v42
	v_min_u32_e32 v58, 32, v56
	v_subrev_u32_e32 v56, 28, v58
	v_lshlrev_b64 v[56:57], v56, v[34:35]
	v_lshrrev_b32_e32 v55, 3, v54
	v_sub_u32_e32 v34, 29, v58
	v_and_b32_e32 v56, 7, v56
	v_cmp_gt_u32_e32 vcc, 8, v54
	v_cndmask_b32_e32 v34, v55, v34, vcc
	v_cndmask_b32_e32 v42, v42, v56, vcc
	v_lshlrev_b32_e32 v54, 16, v35
	v_bfrev_b32_e32 v55, 60
	v_lshlrev_b32_e32 v42, 20, v42
	v_and_b32_e32 v54, 0x80000000, v54
	v_lshl_add_u32 v34, v34, 23, v55
	v_or3_b32 v34, v54, v34, v42
	v_lshrrev_b32_e32 v42, 16, v34
.LBB896_237:
	s_or_b64 exec, exec, s[10:11]
.LBB896_238:
	s_or_b64 exec, exec, s[8:9]
.LBB896_239:
	s_or_b64 exec, exec, s[2:3]
	s_movk_i32 s2, 0xff
	v_and_b32_sdwa v56, v35, s2 dst_sel:DWORD dst_unused:UNUSED_PAD src0_sel:WORD_1 src1_sel:DWORD
	v_lshrrev_b32_e32 v34, 16, v35
	v_cmp_ne_u16_e32 vcc, 0, v56
	v_mov_b32_e32 v54, 0
	v_mov_b32_e32 v55, 0
	s_and_saveexec_b64 s[2:3], vcc
	s_cbranch_execz .LBB896_245
; %bb.240:
	s_movk_i32 s8, 0x80
	v_cmp_ne_u16_e32 vcc, s8, v56
	v_mov_b32_e32 v55, 0xffff8000
	s_and_saveexec_b64 s[8:9], vcc
	s_cbranch_execz .LBB896_244
; %bb.241:
	v_bfe_u32 v56, v35, 16, 7
	s_movk_i32 s10, 0x7f
	v_cmp_ne_u32_e32 vcc, s10, v56
	v_mov_b32_e32 v55, 0x7f80
	s_and_saveexec_b64 s[10:11], vcc
	s_cbranch_execz .LBB896_243
; %bb.242:
	v_and_b32_e32 v55, 7, v34
	v_ffbh_u32_e32 v58, v55
	v_min_u32_e32 v60, 32, v58
	v_subrev_u32_e32 v58, 28, v60
	v_lshlrev_b64 v[58:59], v58, v[34:35]
	v_lshrrev_b32_e32 v57, 3, v56
	v_sub_u32_e32 v34, 29, v60
	v_and_b32_e32 v58, 7, v58
	v_cmp_gt_u32_e32 vcc, 8, v56
	v_mov_b32_e32 v56, 24
	v_cndmask_b32_e32 v34, v57, v34, vcc
	v_cndmask_b32_e32 v55, v55, v58, vcc
	v_lshlrev_b32_sdwa v56, v56, v35 dst_sel:DWORD dst_unused:UNUSED_PAD src0_sel:DWORD src1_sel:WORD_1
	v_bfrev_b32_e32 v57, 60
	v_lshlrev_b32_e32 v55, 20, v55
	v_and_b32_e32 v56, 0x80000000, v56
	v_lshl_add_u32 v34, v34, 23, v57
	v_or3_b32 v34, v56, v34, v55
	v_lshrrev_b32_e32 v55, 16, v34
.LBB896_243:
	s_or_b64 exec, exec, s[10:11]
.LBB896_244:
	s_or_b64 exec, exec, s[8:9]
.LBB896_245:
	s_or_b64 exec, exec, s[2:3]
	s_mov_b32 s2, 0xffffff
	v_cmp_lt_u32_e32 vcc, s2, v35
	s_and_saveexec_b64 s[2:3], vcc
	s_cbranch_execz .LBB896_251
; %bb.246:
	v_lshrrev_b32_e32 v34, 24, v35
	s_movk_i32 s8, 0x80
	v_cmp_ne_u32_e32 vcc, s8, v34
	v_mov_b32_e32 v54, 0xffff8000
	s_and_saveexec_b64 s[8:9], vcc
	s_cbranch_execz .LBB896_250
; %bb.247:
	v_bfe_u32 v35, v35, 24, 7
	s_movk_i32 s10, 0x7f
	v_cmp_ne_u32_e32 vcc, s10, v35
	v_mov_b32_e32 v54, 0x7f80
	s_and_saveexec_b64 s[10:11], vcc
	s_cbranch_execz .LBB896_249
; %bb.248:
	v_and_b32_e32 v54, 7, v34
	v_ffbh_u32_e32 v56, v54
	v_min_u32_e32 v59, 32, v56
	v_subrev_u32_e32 v56, 28, v59
	v_lshlrev_b64 v[56:57], v56, v[34:35]
	v_lshrrev_b32_e32 v58, 3, v35
	v_sub_u32_e32 v57, 29, v59
	v_and_b32_e32 v56, 7, v56
	v_cmp_gt_u32_e32 vcc, 8, v35
	v_cndmask_b32_e32 v35, v58, v57, vcc
	v_cndmask_b32_e32 v54, v54, v56, vcc
	v_lshlrev_b32_e32 v34, 24, v34
	v_bfrev_b32_e32 v56, 60
	v_lshlrev_b32_e32 v54, 20, v54
	v_and_b32_e32 v34, 0x80000000, v34
	v_lshl_add_u32 v35, v35, 23, v56
	v_or3_b32 v34, v34, v35, v54
	v_lshrrev_b32_e32 v54, 16, v34
.LBB896_249:
	s_or_b64 exec, exec, s[10:11]
.LBB896_250:
	s_or_b64 exec, exec, s[8:9]
.LBB896_251:
	s_or_b64 exec, exec, s[2:3]
	s_mov_b32 s2, 0x5040100
	v_perm_b32 v35, v45, v52, s2
	v_perm_b32 v34, v43, v44, s2
	;; [unrolled: 1-line block ×4, first 2 shown]
	v_mov_b32_e32 v52, 0
	v_mfma_f32_16x16x16bf16_1k v[56:59], v[34:35], v[26:27], 0
	v_mov_b32_e32 v35, 0
	v_cmp_ne_u16_sdwa s[8:9], v36, v35 src0_sel:BYTE_0 src1_sel:DWORD
	v_mfma_f32_16x16x16bf16_1k v[42:45], v[42:43], v[28:29], v[56:59]
	s_and_saveexec_b64 s[2:3], s[8:9]
	s_cbranch_execz .LBB896_257
; %bb.252:
	s_movk_i32 s8, 0x80
	v_cmp_ne_u16_sdwa s[10:11], v36, s8 src0_sel:BYTE_0 src1_sel:DWORD
	v_mov_b32_e32 v52, 0xffff8000
	s_and_saveexec_b64 s[8:9], s[10:11]
	s_cbranch_execz .LBB896_256
; %bb.253:
	s_movk_i32 s10, 0x7f
	v_and_b32_e32 v34, 0x7f, v36
	v_cmp_ne_u32_e32 vcc, s10, v34
	v_mov_b32_e32 v52, 0x7f80
	s_and_saveexec_b64 s[10:11], vcc
	s_cbranch_execz .LBB896_255
; %bb.254:
	v_and_b32_e32 v54, 7, v36
	v_ffbh_u32_e32 v52, v54
	v_min_u32_e32 v56, 32, v52
	v_subrev_u32_e32 v52, 28, v56
	v_lshlrev_b64 v[52:53], v52, v[36:37]
	v_lshrrev_b32_e32 v55, 3, v34
	v_sub_u32_e32 v53, 29, v56
	v_and_b32_e32 v52, 7, v52
	v_cmp_gt_u32_e32 vcc, 8, v34
	v_cndmask_b32_e32 v34, v55, v53, vcc
	v_cndmask_b32_e32 v52, v54, v52, vcc
	v_lshlrev_b32_e32 v53, 24, v36
	v_bfrev_b32_e32 v54, 60
	v_lshlrev_b32_e32 v52, 20, v52
	v_and_b32_e32 v53, 0x80000000, v53
	v_lshl_add_u32 v34, v34, 23, v54
	v_or3_b32 v34, v53, v34, v52
	v_lshrrev_b32_e32 v52, 16, v34
.LBB896_255:
	s_or_b64 exec, exec, s[10:11]
.LBB896_256:
	s_or_b64 exec, exec, s[8:9]
.LBB896_257:
	s_or_b64 exec, exec, s[2:3]
	v_lshrrev_b16_e32 v34, 8, v36
	v_cmp_ne_u16_e32 vcc, 0, v34
	s_and_saveexec_b64 s[2:3], vcc
	s_cbranch_execz .LBB896_263
; %bb.258:
	s_movk_i32 s8, 0x80
	v_cmp_ne_u16_e32 vcc, s8, v34
	v_mov_b32_e32 v35, 0xffff8000
	s_and_saveexec_b64 s[8:9], vcc
	s_cbranch_execz .LBB896_262
; %bb.259:
	s_movk_i32 s10, 0x7f
	v_and_b32_e32 v53, 0x7f, v34
	v_cmp_ne_u32_e32 vcc, s10, v53
	v_mov_b32_e32 v35, 0x7f80
	s_and_saveexec_b64 s[10:11], vcc
	s_cbranch_execz .LBB896_261
; %bb.260:
	v_and_b32_e32 v54, 7, v34
	v_ffbh_u32_e32 v35, v54
	v_min_u32_e32 v56, 32, v35
	v_subrev_u32_e32 v35, 28, v56
	v_lshlrev_b64 v[34:35], v35, v[34:35]
	v_lshrrev_b32_e32 v55, 3, v53
	v_sub_u32_e32 v35, 29, v56
	v_and_b32_e32 v34, 7, v34
	v_cmp_gt_u32_e32 vcc, 8, v53
	v_cndmask_b32_e32 v35, v55, v35, vcc
	v_cndmask_b32_e32 v34, v54, v34, vcc
	v_lshlrev_b32_e32 v53, 16, v36
	v_bfrev_b32_e32 v54, 60
	v_lshlrev_b32_e32 v34, 20, v34
	v_and_b32_e32 v53, 0x80000000, v53
	v_lshl_add_u32 v35, v35, 23, v54
	v_or3_b32 v34, v53, v35, v34
	v_lshrrev_b32_e32 v35, 16, v34
.LBB896_261:
	s_or_b64 exec, exec, s[10:11]
.LBB896_262:
	s_or_b64 exec, exec, s[8:9]
.LBB896_263:
	s_or_b64 exec, exec, s[2:3]
	s_movk_i32 s2, 0xff
	v_and_b32_sdwa v55, v36, s2 dst_sel:DWORD dst_unused:UNUSED_PAD src0_sel:WORD_1 src1_sel:DWORD
	v_lshrrev_b32_e32 v34, 16, v36
	v_cmp_ne_u16_e32 vcc, 0, v55
	v_mov_b32_e32 v53, 0
	v_mov_b32_e32 v54, 0
	s_and_saveexec_b64 s[2:3], vcc
	s_cbranch_execz .LBB896_269
; %bb.264:
	s_movk_i32 s8, 0x80
	v_cmp_ne_u16_e32 vcc, s8, v55
	v_mov_b32_e32 v54, 0xffff8000
	s_and_saveexec_b64 s[8:9], vcc
	s_cbranch_execz .LBB896_268
; %bb.265:
	v_bfe_u32 v55, v36, 16, 7
	s_movk_i32 s10, 0x7f
	v_cmp_ne_u32_e32 vcc, s10, v55
	v_mov_b32_e32 v54, 0x7f80
	s_and_saveexec_b64 s[10:11], vcc
	s_cbranch_execz .LBB896_267
; %bb.266:
	v_and_b32_e32 v54, 7, v34
	v_ffbh_u32_e32 v56, v54
	v_min_u32_e32 v59, 32, v56
	v_subrev_u32_e32 v56, 28, v59
	v_lshlrev_b64 v[56:57], v56, v[34:35]
	v_lshrrev_b32_e32 v58, 3, v55
	v_sub_u32_e32 v34, 29, v59
	v_and_b32_e32 v56, 7, v56
	v_cmp_gt_u32_e32 vcc, 8, v55
	v_mov_b32_e32 v55, 24
	v_cndmask_b32_e32 v34, v58, v34, vcc
	v_cndmask_b32_e32 v54, v54, v56, vcc
	v_lshlrev_b32_sdwa v55, v55, v36 dst_sel:DWORD dst_unused:UNUSED_PAD src0_sel:DWORD src1_sel:WORD_1
	v_bfrev_b32_e32 v56, 60
	v_lshlrev_b32_e32 v54, 20, v54
	v_and_b32_e32 v55, 0x80000000, v55
	v_lshl_add_u32 v34, v34, 23, v56
	v_or3_b32 v34, v55, v34, v54
	v_lshrrev_b32_e32 v54, 16, v34
.LBB896_267:
	s_or_b64 exec, exec, s[10:11]
.LBB896_268:
	s_or_b64 exec, exec, s[8:9]
.LBB896_269:
	s_or_b64 exec, exec, s[2:3]
	s_mov_b32 s2, 0xffffff
	v_cmp_lt_u32_e32 vcc, s2, v36
	s_and_saveexec_b64 s[2:3], vcc
	s_cbranch_execz .LBB896_275
; %bb.270:
	v_lshrrev_b32_e32 v34, 24, v36
	s_movk_i32 s8, 0x80
	v_cmp_ne_u32_e32 vcc, s8, v34
	v_mov_b32_e32 v53, 0xffff8000
	s_and_saveexec_b64 s[8:9], vcc
	s_cbranch_execz .LBB896_274
; %bb.271:
	v_bfe_u32 v36, v36, 24, 7
	s_movk_i32 s10, 0x7f
	v_cmp_ne_u32_e32 vcc, s10, v36
	v_mov_b32_e32 v53, 0x7f80
	s_and_saveexec_b64 s[10:11], vcc
	s_cbranch_execz .LBB896_273
; %bb.272:
	v_and_b32_e32 v53, 7, v34
	v_ffbh_u32_e32 v56, v53
	v_min_u32_e32 v58, 32, v56
	v_subrev_u32_e32 v56, 28, v58
	v_lshlrev_b64 v[56:57], v56, v[34:35]
	v_lshrrev_b32_e32 v55, 3, v36
	v_sub_u32_e32 v57, 29, v58
	v_and_b32_e32 v56, 7, v56
	v_cmp_gt_u32_e32 vcc, 8, v36
	v_cndmask_b32_e32 v36, v55, v57, vcc
	v_cndmask_b32_e32 v53, v53, v56, vcc
	v_lshlrev_b32_e32 v34, 24, v34
	v_bfrev_b32_e32 v55, 60
	v_lshlrev_b32_e32 v53, 20, v53
	v_and_b32_e32 v34, 0x80000000, v34
	v_lshl_add_u32 v36, v36, 23, v55
	v_or3_b32 v34, v34, v36, v53
	v_lshrrev_b32_e32 v53, 16, v34
.LBB896_273:
	s_or_b64 exec, exec, s[10:11]
.LBB896_274:
	s_or_b64 exec, exec, s[8:9]
.LBB896_275:
	s_or_b64 exec, exec, s[2:3]
	v_mov_b32_e32 v36, 0
	v_cmp_ne_u16_sdwa s[8:9], v37, v36 src0_sel:BYTE_0 src1_sel:DWORD
	v_mov_b32_e32 v55, 0
	s_and_saveexec_b64 s[2:3], s[8:9]
	s_cbranch_execz .LBB896_281
; %bb.276:
	s_movk_i32 s8, 0x80
	v_cmp_ne_u16_sdwa s[10:11], v37, s8 src0_sel:BYTE_0 src1_sel:DWORD
	v_mov_b32_e32 v55, 0xffff8000
	s_and_saveexec_b64 s[8:9], s[10:11]
	s_cbranch_execz .LBB896_280
; %bb.277:
	s_movk_i32 s10, 0x7f
	v_and_b32_e32 v34, 0x7f, v37
	v_cmp_ne_u32_e32 vcc, s10, v34
	v_mov_b32_e32 v55, 0x7f80
	s_and_saveexec_b64 s[10:11], vcc
	s_cbranch_execz .LBB896_279
; %bb.278:
	v_and_b32_e32 v55, 7, v37
	v_ffbh_u32_e32 v57, v55
	v_min_u32_e32 v59, 32, v57
	v_mov_b32_e32 v56, v37
	v_subrev_u32_e32 v57, 28, v59
	v_lshlrev_b64 v[56:57], v57, v[56:57]
	v_lshrrev_b32_e32 v58, 3, v34
	v_sub_u32_e32 v57, 29, v59
	v_and_b32_e32 v56, 7, v56
	v_cmp_gt_u32_e32 vcc, 8, v34
	v_cndmask_b32_e32 v34, v58, v57, vcc
	v_cndmask_b32_e32 v55, v55, v56, vcc
	v_lshlrev_b32_e32 v56, 24, v37
	v_bfrev_b32_e32 v57, 60
	v_lshlrev_b32_e32 v55, 20, v55
	v_and_b32_e32 v56, 0x80000000, v56
	v_lshl_add_u32 v34, v34, 23, v57
	v_or3_b32 v34, v56, v34, v55
	v_lshrrev_b32_e32 v55, 16, v34
.LBB896_279:
	s_or_b64 exec, exec, s[10:11]
.LBB896_280:
	s_or_b64 exec, exec, s[8:9]
.LBB896_281:
	s_or_b64 exec, exec, s[2:3]
	v_lshrrev_b16_e32 v34, 8, v37
	v_cmp_ne_u16_e32 vcc, 0, v34
	s_and_saveexec_b64 s[2:3], vcc
	s_cbranch_execz .LBB896_287
; %bb.282:
	s_movk_i32 s8, 0x80
	v_cmp_ne_u16_e32 vcc, s8, v34
	v_mov_b32_e32 v36, 0xffff8000
	s_and_saveexec_b64 s[8:9], vcc
	s_cbranch_execz .LBB896_286
; %bb.283:
	s_movk_i32 s10, 0x7f
	v_and_b32_e32 v56, 0x7f, v34
	v_cmp_ne_u32_e32 vcc, s10, v56
	v_mov_b32_e32 v36, 0x7f80
	s_and_saveexec_b64 s[10:11], vcc
	s_cbranch_execz .LBB896_285
; %bb.284:
	v_and_b32_e32 v36, 7, v34
	v_ffbh_u32_e32 v58, v36
	v_min_u32_e32 v60, 32, v58
	v_subrev_u32_e32 v58, 28, v60
	v_lshlrev_b64 v[58:59], v58, v[34:35]
	v_lshrrev_b32_e32 v57, 3, v56
	v_sub_u32_e32 v34, 29, v60
	v_and_b32_e32 v58, 7, v58
	v_cmp_gt_u32_e32 vcc, 8, v56
	v_cndmask_b32_e32 v34, v57, v34, vcc
	v_cndmask_b32_e32 v36, v36, v58, vcc
	v_lshlrev_b32_e32 v56, 16, v37
	v_bfrev_b32_e32 v57, 60
	v_lshlrev_b32_e32 v36, 20, v36
	v_and_b32_e32 v56, 0x80000000, v56
	v_lshl_add_u32 v34, v34, 23, v57
	v_or3_b32 v34, v56, v34, v36
	v_lshrrev_b32_e32 v36, 16, v34
.LBB896_285:
	s_or_b64 exec, exec, s[10:11]
.LBB896_286:
	s_or_b64 exec, exec, s[8:9]
.LBB896_287:
	s_or_b64 exec, exec, s[2:3]
	s_movk_i32 s2, 0xff
	v_and_b32_sdwa v58, v37, s2 dst_sel:DWORD dst_unused:UNUSED_PAD src0_sel:WORD_1 src1_sel:DWORD
	v_lshrrev_b32_e32 v34, 16, v37
	v_cmp_ne_u16_e32 vcc, 0, v58
	v_mov_b32_e32 v56, 0
	v_mov_b32_e32 v57, 0
	s_and_saveexec_b64 s[2:3], vcc
	s_cbranch_execz .LBB896_293
; %bb.288:
	s_movk_i32 s8, 0x80
	v_cmp_ne_u16_e32 vcc, s8, v58
	v_mov_b32_e32 v57, 0xffff8000
	s_and_saveexec_b64 s[8:9], vcc
	s_cbranch_execz .LBB896_292
; %bb.289:
	v_bfe_u32 v58, v37, 16, 7
	s_movk_i32 s10, 0x7f
	v_cmp_ne_u32_e32 vcc, s10, v58
	v_mov_b32_e32 v57, 0x7f80
	s_and_saveexec_b64 s[10:11], vcc
	s_cbranch_execz .LBB896_291
; %bb.290:
	v_and_b32_e32 v57, 7, v34
	v_ffbh_u32_e32 v60, v57
	v_min_u32_e32 v62, 32, v60
	v_subrev_u32_e32 v60, 28, v62
	v_lshlrev_b64 v[60:61], v60, v[34:35]
	v_lshrrev_b32_e32 v59, 3, v58
	v_sub_u32_e32 v34, 29, v62
	v_and_b32_e32 v60, 7, v60
	v_cmp_gt_u32_e32 vcc, 8, v58
	v_mov_b32_e32 v58, 24
	v_cndmask_b32_e32 v34, v59, v34, vcc
	v_cndmask_b32_e32 v57, v57, v60, vcc
	v_lshlrev_b32_sdwa v58, v58, v37 dst_sel:DWORD dst_unused:UNUSED_PAD src0_sel:DWORD src1_sel:WORD_1
	v_bfrev_b32_e32 v59, 60
	v_lshlrev_b32_e32 v57, 20, v57
	v_and_b32_e32 v58, 0x80000000, v58
	v_lshl_add_u32 v34, v34, 23, v59
	v_or3_b32 v34, v58, v34, v57
	v_lshrrev_b32_e32 v57, 16, v34
.LBB896_291:
	s_or_b64 exec, exec, s[10:11]
.LBB896_292:
	s_or_b64 exec, exec, s[8:9]
.LBB896_293:
	s_or_b64 exec, exec, s[2:3]
	s_mov_b32 s2, 0xffffff
	v_cmp_lt_u32_e32 vcc, s2, v37
	s_and_saveexec_b64 s[2:3], vcc
	s_cbranch_execz .LBB896_299
; %bb.294:
	v_lshrrev_b32_e32 v34, 24, v37
	s_movk_i32 s8, 0x80
	v_cmp_ne_u32_e32 vcc, s8, v34
	v_mov_b32_e32 v56, 0xffff8000
	s_and_saveexec_b64 s[8:9], vcc
	s_cbranch_execz .LBB896_298
; %bb.295:
	v_bfe_u32 v37, v37, 24, 7
	s_movk_i32 s10, 0x7f
	v_cmp_ne_u32_e32 vcc, s10, v37
	v_mov_b32_e32 v56, 0x7f80
	s_and_saveexec_b64 s[10:11], vcc
	s_cbranch_execz .LBB896_297
; %bb.296:
	v_and_b32_e32 v56, 7, v34
	v_ffbh_u32_e32 v58, v56
	v_min_u32_e32 v61, 32, v58
	v_subrev_u32_e32 v58, 28, v61
	v_lshlrev_b64 v[58:59], v58, v[34:35]
	v_lshrrev_b32_e32 v60, 3, v37
	v_sub_u32_e32 v59, 29, v61
	v_and_b32_e32 v58, 7, v58
	v_cmp_gt_u32_e32 vcc, 8, v37
	v_cndmask_b32_e32 v37, v60, v59, vcc
	v_cndmask_b32_e32 v56, v56, v58, vcc
	v_lshlrev_b32_e32 v34, 24, v34
	v_bfrev_b32_e32 v58, 60
	v_lshlrev_b32_e32 v56, 20, v56
	v_and_b32_e32 v34, 0x80000000, v34
	v_lshl_add_u32 v37, v37, 23, v58
	v_or3_b32 v34, v34, v37, v56
	v_lshrrev_b32_e32 v56, 16, v34
.LBB896_297:
	s_or_b64 exec, exec, s[10:11]
.LBB896_298:
	s_or_b64 exec, exec, s[8:9]
.LBB896_299:
	s_or_b64 exec, exec, s[2:3]
	s_mov_b32 s2, 0x5040100
	v_perm_b32 v53, v53, v54, s2
	v_perm_b32 v52, v35, v52, s2
	;; [unrolled: 1-line block ×4, first 2 shown]
	v_mfma_f32_16x16x16bf16_1k v[58:61], v[52:53], v[18:19], v[42:45]
	s_nop 6
	v_mov_b32_e32 v43, 0
	s_waitcnt vmcnt(4)
	v_cmp_ne_u16_sdwa s[8:9], v22, v43 src0_sel:BYTE_0 src1_sel:DWORD
	v_mfma_f32_16x16x16bf16_1k v[34:37], v[34:35], v[20:21], v[58:61]
	v_mov_b32_e32 v44, 0
	s_and_saveexec_b64 s[2:3], s[8:9]
	s_cbranch_execz .LBB896_305
; %bb.300:
	s_movk_i32 s8, 0x80
	v_cmp_ne_u16_sdwa s[10:11], v22, s8 src0_sel:BYTE_0 src1_sel:DWORD
	v_mov_b32_e32 v44, 0xffff8000
	s_and_saveexec_b64 s[8:9], s[10:11]
	s_cbranch_execz .LBB896_304
; %bb.301:
	s_movk_i32 s10, 0x7f
	v_and_b32_e32 v42, 0x7f, v22
	v_cmp_ne_u32_e32 vcc, s10, v42
	v_mov_b32_e32 v44, 0x7f80
	s_and_saveexec_b64 s[10:11], vcc
	s_cbranch_execz .LBB896_303
; %bb.302:
	v_and_b32_e32 v52, 7, v22
	v_ffbh_u32_e32 v44, v52
	v_min_u32_e32 v54, 32, v44
	v_subrev_u32_e32 v44, 28, v54
	v_lshlrev_b64 v[44:45], v44, v[22:23]
	v_lshrrev_b32_e32 v53, 3, v42
	v_sub_u32_e32 v45, 29, v54
	v_and_b32_e32 v44, 7, v44
	v_cmp_gt_u32_e32 vcc, 8, v42
	v_cndmask_b32_e32 v42, v53, v45, vcc
	v_cndmask_b32_e32 v44, v52, v44, vcc
	v_lshlrev_b32_e32 v45, 24, v22
	v_bfrev_b32_e32 v52, 60
	v_lshlrev_b32_e32 v44, 20, v44
	v_and_b32_e32 v45, 0x80000000, v45
	v_lshl_add_u32 v42, v42, 23, v52
	v_or3_b32 v42, v45, v42, v44
	v_lshrrev_b32_e32 v44, 16, v42
.LBB896_303:
	s_or_b64 exec, exec, s[10:11]
.LBB896_304:
	s_or_b64 exec, exec, s[8:9]
.LBB896_305:
	s_or_b64 exec, exec, s[2:3]
	v_lshrrev_b16_e32 v42, 8, v22
	v_cmp_ne_u16_e32 vcc, 0, v42
	s_and_saveexec_b64 s[2:3], vcc
	s_cbranch_execz .LBB896_311
; %bb.306:
	s_movk_i32 s8, 0x80
	v_cmp_ne_u16_e32 vcc, s8, v42
	v_mov_b32_e32 v43, 0xffff8000
	s_and_saveexec_b64 s[8:9], vcc
	s_cbranch_execz .LBB896_310
; %bb.307:
	s_movk_i32 s10, 0x7f
	v_and_b32_e32 v45, 0x7f, v42
	v_cmp_ne_u32_e32 vcc, s10, v45
	v_mov_b32_e32 v43, 0x7f80
	s_and_saveexec_b64 s[10:11], vcc
	s_cbranch_execz .LBB896_309
; %bb.308:
	v_and_b32_e32 v52, 7, v42
	v_ffbh_u32_e32 v43, v52
	v_min_u32_e32 v54, 32, v43
	v_subrev_u32_e32 v43, 28, v54
	v_lshlrev_b64 v[42:43], v43, v[42:43]
	v_lshrrev_b32_e32 v53, 3, v45
	v_sub_u32_e32 v43, 29, v54
	v_and_b32_e32 v42, 7, v42
	v_cmp_gt_u32_e32 vcc, 8, v45
	v_cndmask_b32_e32 v43, v53, v43, vcc
	v_cndmask_b32_e32 v42, v52, v42, vcc
	v_lshlrev_b32_e32 v45, 16, v22
	v_bfrev_b32_e32 v52, 60
	v_lshlrev_b32_e32 v42, 20, v42
	v_and_b32_e32 v45, 0x80000000, v45
	v_lshl_add_u32 v43, v43, 23, v52
	v_or3_b32 v42, v45, v43, v42
	v_lshrrev_b32_e32 v43, 16, v42
.LBB896_309:
	s_or_b64 exec, exec, s[10:11]
.LBB896_310:
	s_or_b64 exec, exec, s[8:9]
.LBB896_311:
	s_or_b64 exec, exec, s[2:3]
	s_movk_i32 s2, 0xff
	v_and_b32_sdwa v53, v22, s2 dst_sel:DWORD dst_unused:UNUSED_PAD src0_sel:WORD_1 src1_sel:DWORD
	v_lshrrev_b32_e32 v42, 16, v22
	v_cmp_ne_u16_e32 vcc, 0, v53
	v_mov_b32_e32 v45, 0
	v_mov_b32_e32 v52, 0
	s_and_saveexec_b64 s[2:3], vcc
	s_cbranch_execz .LBB896_317
; %bb.312:
	s_movk_i32 s8, 0x80
	v_cmp_ne_u16_e32 vcc, s8, v53
	v_mov_b32_e32 v52, 0xffff8000
	s_and_saveexec_b64 s[8:9], vcc
	s_cbranch_execz .LBB896_316
; %bb.313:
	v_bfe_u32 v53, v22, 16, 7
	s_movk_i32 s10, 0x7f
	v_cmp_ne_u32_e32 vcc, s10, v53
	v_mov_b32_e32 v52, 0x7f80
	s_and_saveexec_b64 s[10:11], vcc
	s_cbranch_execz .LBB896_315
; %bb.314:
	v_and_b32_e32 v52, 7, v42
	v_ffbh_u32_e32 v54, v52
	v_min_u32_e32 v57, 32, v54
	v_subrev_u32_e32 v54, 28, v57
	v_lshlrev_b64 v[54:55], v54, v[42:43]
	v_lshrrev_b32_e32 v56, 3, v53
	v_sub_u32_e32 v42, 29, v57
	v_and_b32_e32 v54, 7, v54
	v_cmp_gt_u32_e32 vcc, 8, v53
	v_mov_b32_e32 v53, 24
	v_cndmask_b32_e32 v42, v56, v42, vcc
	v_cndmask_b32_e32 v52, v52, v54, vcc
	v_lshlrev_b32_sdwa v53, v53, v22 dst_sel:DWORD dst_unused:UNUSED_PAD src0_sel:DWORD src1_sel:WORD_1
	v_bfrev_b32_e32 v54, 60
	v_lshlrev_b32_e32 v52, 20, v52
	v_and_b32_e32 v53, 0x80000000, v53
	v_lshl_add_u32 v42, v42, 23, v54
	v_or3_b32 v42, v53, v42, v52
	v_lshrrev_b32_e32 v52, 16, v42
.LBB896_315:
	s_or_b64 exec, exec, s[10:11]
.LBB896_316:
	s_or_b64 exec, exec, s[8:9]
.LBB896_317:
	s_or_b64 exec, exec, s[2:3]
	s_mov_b32 s2, 0xffffff
	v_cmp_lt_u32_e32 vcc, s2, v22
	s_and_saveexec_b64 s[2:3], vcc
	s_cbranch_execz .LBB896_323
; %bb.318:
	v_lshrrev_b32_e32 v42, 24, v22
	s_movk_i32 s8, 0x80
	v_cmp_ne_u32_e32 vcc, s8, v42
	v_mov_b32_e32 v45, 0xffff8000
	s_and_saveexec_b64 s[8:9], vcc
	s_cbranch_execz .LBB896_322
; %bb.319:
	v_bfe_u32 v22, v22, 24, 7
	s_movk_i32 s10, 0x7f
	v_cmp_ne_u32_e32 vcc, s10, v22
	v_mov_b32_e32 v45, 0x7f80
	s_and_saveexec_b64 s[10:11], vcc
	s_cbranch_execz .LBB896_321
; %bb.320:
	v_and_b32_e32 v45, 7, v42
	v_ffbh_u32_e32 v54, v45
	v_min_u32_e32 v56, 32, v54
	v_subrev_u32_e32 v54, 28, v56
	v_lshlrev_b64 v[54:55], v54, v[42:43]
	v_lshrrev_b32_e32 v53, 3, v22
	v_sub_u32_e32 v55, 29, v56
	v_and_b32_e32 v54, 7, v54
	v_cmp_gt_u32_e32 vcc, 8, v22
	v_cndmask_b32_e32 v22, v53, v55, vcc
	v_cndmask_b32_e32 v45, v45, v54, vcc
	v_lshlrev_b32_e32 v42, 24, v42
	v_bfrev_b32_e32 v53, 60
	v_lshlrev_b32_e32 v45, 20, v45
	v_and_b32_e32 v42, 0x80000000, v42
	v_lshl_add_u32 v22, v22, 23, v53
	v_or3_b32 v22, v42, v22, v45
	v_lshrrev_b32_e32 v45, 16, v22
.LBB896_321:
	s_or_b64 exec, exec, s[10:11]
.LBB896_322:
	s_or_b64 exec, exec, s[8:9]
.LBB896_323:
	s_or_b64 exec, exec, s[2:3]
	v_mov_b32_e32 v42, 0
	v_cmp_ne_u16_sdwa s[8:9], v23, v42 src0_sel:BYTE_0 src1_sel:DWORD
	v_mov_b32_e32 v53, 0
	s_and_saveexec_b64 s[2:3], s[8:9]
	s_cbranch_execz .LBB896_329
; %bb.324:
	s_movk_i32 s8, 0x80
	v_cmp_ne_u16_sdwa s[10:11], v23, s8 src0_sel:BYTE_0 src1_sel:DWORD
	v_mov_b32_e32 v53, 0xffff8000
	s_and_saveexec_b64 s[8:9], s[10:11]
	s_cbranch_execz .LBB896_328
; %bb.325:
	s_movk_i32 s10, 0x7f
	v_and_b32_e32 v22, 0x7f, v23
	v_cmp_ne_u32_e32 vcc, s10, v22
	v_mov_b32_e32 v53, 0x7f80
	s_and_saveexec_b64 s[10:11], vcc
	s_cbranch_execz .LBB896_327
; %bb.326:
	v_and_b32_e32 v53, 7, v23
	v_ffbh_u32_e32 v55, v53
	v_min_u32_e32 v57, 32, v55
	v_mov_b32_e32 v54, v23
	v_subrev_u32_e32 v55, 28, v57
	v_lshlrev_b64 v[54:55], v55, v[54:55]
	v_lshrrev_b32_e32 v56, 3, v22
	v_sub_u32_e32 v55, 29, v57
	v_and_b32_e32 v54, 7, v54
	v_cmp_gt_u32_e32 vcc, 8, v22
	v_cndmask_b32_e32 v22, v56, v55, vcc
	v_cndmask_b32_e32 v53, v53, v54, vcc
	v_lshlrev_b32_e32 v54, 24, v23
	v_bfrev_b32_e32 v55, 60
	v_lshlrev_b32_e32 v53, 20, v53
	v_and_b32_e32 v54, 0x80000000, v54
	v_lshl_add_u32 v22, v22, 23, v55
	v_or3_b32 v22, v54, v22, v53
	v_lshrrev_b32_e32 v53, 16, v22
.LBB896_327:
	s_or_b64 exec, exec, s[10:11]
.LBB896_328:
	s_or_b64 exec, exec, s[8:9]
.LBB896_329:
	s_or_b64 exec, exec, s[2:3]
	v_lshrrev_b16_e32 v22, 8, v23
	v_cmp_ne_u16_e32 vcc, 0, v22
	s_and_saveexec_b64 s[2:3], vcc
	s_cbranch_execz .LBB896_335
; %bb.330:
	s_movk_i32 s8, 0x80
	v_cmp_ne_u16_e32 vcc, s8, v22
	v_mov_b32_e32 v42, 0xffff8000
	s_and_saveexec_b64 s[8:9], vcc
	s_cbranch_execz .LBB896_334
; %bb.331:
	s_movk_i32 s10, 0x7f
	v_and_b32_e32 v54, 0x7f, v22
	v_cmp_ne_u32_e32 vcc, s10, v54
	v_mov_b32_e32 v42, 0x7f80
	s_and_saveexec_b64 s[10:11], vcc
	s_cbranch_execz .LBB896_333
; %bb.332:
	v_and_b32_e32 v42, 7, v22
	v_ffbh_u32_e32 v56, v42
	v_min_u32_e32 v58, 32, v56
	v_subrev_u32_e32 v56, 28, v58
	v_lshlrev_b64 v[56:57], v56, v[22:23]
	v_lshrrev_b32_e32 v55, 3, v54
	v_sub_u32_e32 v22, 29, v58
	v_and_b32_e32 v56, 7, v56
	v_cmp_gt_u32_e32 vcc, 8, v54
	v_cndmask_b32_e32 v22, v55, v22, vcc
	v_cndmask_b32_e32 v42, v42, v56, vcc
	v_lshlrev_b32_e32 v54, 16, v23
	v_bfrev_b32_e32 v55, 60
	v_lshlrev_b32_e32 v42, 20, v42
	v_and_b32_e32 v54, 0x80000000, v54
	v_lshl_add_u32 v22, v22, 23, v55
	v_or3_b32 v22, v54, v22, v42
	v_lshrrev_b32_e32 v42, 16, v22
.LBB896_333:
	s_or_b64 exec, exec, s[10:11]
.LBB896_334:
	s_or_b64 exec, exec, s[8:9]
.LBB896_335:
	s_or_b64 exec, exec, s[2:3]
	s_movk_i32 s2, 0xff
	v_and_b32_sdwa v56, v23, s2 dst_sel:DWORD dst_unused:UNUSED_PAD src0_sel:WORD_1 src1_sel:DWORD
	v_lshrrev_b32_e32 v22, 16, v23
	v_cmp_ne_u16_e32 vcc, 0, v56
	v_mov_b32_e32 v54, 0
	v_mov_b32_e32 v55, 0
	s_and_saveexec_b64 s[2:3], vcc
	s_cbranch_execz .LBB896_341
; %bb.336:
	s_movk_i32 s8, 0x80
	v_cmp_ne_u16_e32 vcc, s8, v56
	v_mov_b32_e32 v55, 0xffff8000
	s_and_saveexec_b64 s[8:9], vcc
	s_cbranch_execz .LBB896_340
; %bb.337:
	v_bfe_u32 v56, v23, 16, 7
	s_movk_i32 s10, 0x7f
	v_cmp_ne_u32_e32 vcc, s10, v56
	v_mov_b32_e32 v55, 0x7f80
	s_and_saveexec_b64 s[10:11], vcc
	s_cbranch_execz .LBB896_339
; %bb.338:
	v_and_b32_e32 v55, 7, v22
	v_ffbh_u32_e32 v58, v55
	v_min_u32_e32 v60, 32, v58
	v_subrev_u32_e32 v58, 28, v60
	v_lshlrev_b64 v[58:59], v58, v[22:23]
	v_lshrrev_b32_e32 v57, 3, v56
	v_sub_u32_e32 v22, 29, v60
	v_and_b32_e32 v58, 7, v58
	v_cmp_gt_u32_e32 vcc, 8, v56
	v_mov_b32_e32 v56, 24
	v_cndmask_b32_e32 v22, v57, v22, vcc
	v_cndmask_b32_e32 v55, v55, v58, vcc
	v_lshlrev_b32_sdwa v56, v56, v23 dst_sel:DWORD dst_unused:UNUSED_PAD src0_sel:DWORD src1_sel:WORD_1
	v_bfrev_b32_e32 v57, 60
	v_lshlrev_b32_e32 v55, 20, v55
	v_and_b32_e32 v56, 0x80000000, v56
	v_lshl_add_u32 v22, v22, 23, v57
	v_or3_b32 v22, v56, v22, v55
	v_lshrrev_b32_e32 v55, 16, v22
.LBB896_339:
	s_or_b64 exec, exec, s[10:11]
.LBB896_340:
	s_or_b64 exec, exec, s[8:9]
.LBB896_341:
	s_or_b64 exec, exec, s[2:3]
	s_mov_b32 s2, 0xffffff
	v_cmp_lt_u32_e32 vcc, s2, v23
	s_and_saveexec_b64 s[2:3], vcc
	s_cbranch_execz .LBB896_347
; %bb.342:
	v_lshrrev_b32_e32 v22, 24, v23
	s_movk_i32 s8, 0x80
	v_cmp_ne_u32_e32 vcc, s8, v22
	v_mov_b32_e32 v54, 0xffff8000
	s_and_saveexec_b64 s[8:9], vcc
	s_cbranch_execz .LBB896_346
; %bb.343:
	v_bfe_u32 v23, v23, 24, 7
	s_movk_i32 s10, 0x7f
	v_cmp_ne_u32_e32 vcc, s10, v23
	v_mov_b32_e32 v54, 0x7f80
	s_and_saveexec_b64 s[10:11], vcc
	s_cbranch_execz .LBB896_345
; %bb.344:
	v_and_b32_e32 v54, 7, v22
	v_ffbh_u32_e32 v56, v54
	v_min_u32_e32 v59, 32, v56
	v_subrev_u32_e32 v56, 28, v59
	v_lshlrev_b64 v[56:57], v56, v[22:23]
	v_lshrrev_b32_e32 v58, 3, v23
	v_sub_u32_e32 v57, 29, v59
	v_and_b32_e32 v56, 7, v56
	v_cmp_gt_u32_e32 vcc, 8, v23
	v_cndmask_b32_e32 v23, v58, v57, vcc
	v_cndmask_b32_e32 v54, v54, v56, vcc
	v_lshlrev_b32_e32 v22, 24, v22
	v_bfrev_b32_e32 v56, 60
	v_lshlrev_b32_e32 v54, 20, v54
	v_and_b32_e32 v22, 0x80000000, v22
	v_lshl_add_u32 v23, v23, 23, v56
	v_or3_b32 v22, v22, v23, v54
	v_lshrrev_b32_e32 v54, 16, v22
.LBB896_345:
	s_or_b64 exec, exec, s[10:11]
.LBB896_346:
	s_or_b64 exec, exec, s[8:9]
.LBB896_347:
	s_or_b64 exec, exec, s[2:3]
	s_mov_b32 s2, 0x5040100
	v_perm_b32 v23, v45, v52, s2
	v_perm_b32 v22, v43, v44, s2
	s_nop 1
	v_mfma_f32_16x16x16bf16_1k v[56:59], v[22:23], v[26:27], 0
	v_perm_b32 v27, v54, v55, s2
	v_perm_b32 v26, v42, v53, s2
	v_mov_b32_e32 v23, 0
	v_cmp_ne_u16_sdwa s[8:9], v24, v23 src0_sel:BYTE_0 src1_sel:DWORD
	v_mov_b32_e32 v42, 0
	v_mfma_f32_16x16x16bf16_1k v[26:29], v[26:27], v[28:29], v[56:59]
	s_and_saveexec_b64 s[2:3], s[8:9]
	s_cbranch_execz .LBB896_353
; %bb.348:
	s_movk_i32 s8, 0x80
	v_cmp_ne_u16_sdwa s[10:11], v24, s8 src0_sel:BYTE_0 src1_sel:DWORD
	v_mov_b32_e32 v42, 0xffff8000
	s_and_saveexec_b64 s[8:9], s[10:11]
	s_cbranch_execz .LBB896_352
; %bb.349:
	s_movk_i32 s10, 0x7f
	v_and_b32_e32 v22, 0x7f, v24
	v_cmp_ne_u32_e32 vcc, s10, v22
	v_mov_b32_e32 v42, 0x7f80
	s_and_saveexec_b64 s[10:11], vcc
	s_cbranch_execz .LBB896_351
; %bb.350:
	v_and_b32_e32 v44, 7, v24
	v_ffbh_u32_e32 v42, v44
	v_min_u32_e32 v52, 32, v42
	v_subrev_u32_e32 v42, 28, v52
	v_lshlrev_b64 v[42:43], v42, v[24:25]
	v_lshrrev_b32_e32 v45, 3, v22
	v_sub_u32_e32 v43, 29, v52
	v_and_b32_e32 v42, 7, v42
	v_cmp_gt_u32_e32 vcc, 8, v22
	v_cndmask_b32_e32 v22, v45, v43, vcc
	v_cndmask_b32_e32 v42, v44, v42, vcc
	v_lshlrev_b32_e32 v43, 24, v24
	v_bfrev_b32_e32 v44, 60
	v_lshlrev_b32_e32 v42, 20, v42
	v_and_b32_e32 v43, 0x80000000, v43
	v_lshl_add_u32 v22, v22, 23, v44
	v_or3_b32 v22, v43, v22, v42
	v_lshrrev_b32_e32 v42, 16, v22
.LBB896_351:
	s_or_b64 exec, exec, s[10:11]
.LBB896_352:
	s_or_b64 exec, exec, s[8:9]
.LBB896_353:
	s_or_b64 exec, exec, s[2:3]
	v_lshrrev_b16_e32 v22, 8, v24
	v_cmp_ne_u16_e32 vcc, 0, v22
	s_and_saveexec_b64 s[2:3], vcc
	s_cbranch_execz .LBB896_359
; %bb.354:
	s_movk_i32 s8, 0x80
	v_cmp_ne_u16_e32 vcc, s8, v22
	v_mov_b32_e32 v23, 0xffff8000
	s_and_saveexec_b64 s[8:9], vcc
	s_cbranch_execz .LBB896_358
; %bb.355:
	s_movk_i32 s10, 0x7f
	v_and_b32_e32 v43, 0x7f, v22
	v_cmp_ne_u32_e32 vcc, s10, v43
	v_mov_b32_e32 v23, 0x7f80
	s_and_saveexec_b64 s[10:11], vcc
	s_cbranch_execz .LBB896_357
; %bb.356:
	v_and_b32_e32 v44, 7, v22
	v_ffbh_u32_e32 v23, v44
	v_min_u32_e32 v52, 32, v23
	v_subrev_u32_e32 v23, 28, v52
	v_lshlrev_b64 v[22:23], v23, v[22:23]
	v_lshrrev_b32_e32 v45, 3, v43
	v_sub_u32_e32 v23, 29, v52
	v_and_b32_e32 v22, 7, v22
	v_cmp_gt_u32_e32 vcc, 8, v43
	v_cndmask_b32_e32 v23, v45, v23, vcc
	v_cndmask_b32_e32 v22, v44, v22, vcc
	v_lshlrev_b32_e32 v43, 16, v24
	v_bfrev_b32_e32 v44, 60
	v_lshlrev_b32_e32 v22, 20, v22
	v_and_b32_e32 v43, 0x80000000, v43
	v_lshl_add_u32 v23, v23, 23, v44
	v_or3_b32 v22, v43, v23, v22
	v_lshrrev_b32_e32 v23, 16, v22
.LBB896_357:
	s_or_b64 exec, exec, s[10:11]
.LBB896_358:
	s_or_b64 exec, exec, s[8:9]
.LBB896_359:
	s_or_b64 exec, exec, s[2:3]
	s_movk_i32 s2, 0xff
	v_and_b32_sdwa v45, v24, s2 dst_sel:DWORD dst_unused:UNUSED_PAD src0_sel:WORD_1 src1_sel:DWORD
	v_lshrrev_b32_e32 v22, 16, v24
	v_cmp_ne_u16_e32 vcc, 0, v45
	v_mov_b32_e32 v43, 0
	v_mov_b32_e32 v44, 0
	s_and_saveexec_b64 s[2:3], vcc
	s_cbranch_execz .LBB896_365
; %bb.360:
	s_movk_i32 s8, 0x80
	v_cmp_ne_u16_e32 vcc, s8, v45
	v_mov_b32_e32 v44, 0xffff8000
	s_and_saveexec_b64 s[8:9], vcc
	s_cbranch_execz .LBB896_364
; %bb.361:
	v_bfe_u32 v45, v24, 16, 7
	s_movk_i32 s10, 0x7f
	v_cmp_ne_u32_e32 vcc, s10, v45
	v_mov_b32_e32 v44, 0x7f80
	s_and_saveexec_b64 s[10:11], vcc
	s_cbranch_execz .LBB896_363
; %bb.362:
	v_and_b32_e32 v44, 7, v22
	v_ffbh_u32_e32 v52, v44
	v_min_u32_e32 v55, 32, v52
	v_subrev_u32_e32 v52, 28, v55
	v_lshlrev_b64 v[52:53], v52, v[22:23]
	v_lshrrev_b32_e32 v54, 3, v45
	v_sub_u32_e32 v22, 29, v55
	v_and_b32_e32 v52, 7, v52
	v_cmp_gt_u32_e32 vcc, 8, v45
	v_mov_b32_e32 v45, 24
	v_cndmask_b32_e32 v22, v54, v22, vcc
	v_cndmask_b32_e32 v44, v44, v52, vcc
	v_lshlrev_b32_sdwa v45, v45, v24 dst_sel:DWORD dst_unused:UNUSED_PAD src0_sel:DWORD src1_sel:WORD_1
	v_bfrev_b32_e32 v52, 60
	v_lshlrev_b32_e32 v44, 20, v44
	v_and_b32_e32 v45, 0x80000000, v45
	v_lshl_add_u32 v22, v22, 23, v52
	v_or3_b32 v22, v45, v22, v44
	v_lshrrev_b32_e32 v44, 16, v22
.LBB896_363:
	s_or_b64 exec, exec, s[10:11]
.LBB896_364:
	s_or_b64 exec, exec, s[8:9]
.LBB896_365:
	s_or_b64 exec, exec, s[2:3]
	s_mov_b32 s2, 0xffffff
	v_cmp_lt_u32_e32 vcc, s2, v24
	s_and_saveexec_b64 s[2:3], vcc
	s_cbranch_execz .LBB896_371
; %bb.366:
	v_lshrrev_b32_e32 v22, 24, v24
	s_movk_i32 s8, 0x80
	v_cmp_ne_u32_e32 vcc, s8, v22
	v_mov_b32_e32 v43, 0xffff8000
	s_and_saveexec_b64 s[8:9], vcc
	s_cbranch_execz .LBB896_370
; %bb.367:
	v_bfe_u32 v24, v24, 24, 7
	s_movk_i32 s10, 0x7f
	v_cmp_ne_u32_e32 vcc, s10, v24
	v_mov_b32_e32 v43, 0x7f80
	s_and_saveexec_b64 s[10:11], vcc
	s_cbranch_execz .LBB896_369
; %bb.368:
	v_and_b32_e32 v43, 7, v22
	v_ffbh_u32_e32 v52, v43
	v_min_u32_e32 v54, 32, v52
	v_subrev_u32_e32 v52, 28, v54
	v_lshlrev_b64 v[52:53], v52, v[22:23]
	v_lshrrev_b32_e32 v45, 3, v24
	v_sub_u32_e32 v53, 29, v54
	v_and_b32_e32 v52, 7, v52
	v_cmp_gt_u32_e32 vcc, 8, v24
	v_cndmask_b32_e32 v24, v45, v53, vcc
	v_cndmask_b32_e32 v43, v43, v52, vcc
	v_lshlrev_b32_e32 v22, 24, v22
	v_bfrev_b32_e32 v45, 60
	v_lshlrev_b32_e32 v43, 20, v43
	v_and_b32_e32 v22, 0x80000000, v22
	v_lshl_add_u32 v24, v24, 23, v45
	v_or3_b32 v22, v22, v24, v43
	v_lshrrev_b32_e32 v43, 16, v22
.LBB896_369:
	s_or_b64 exec, exec, s[10:11]
.LBB896_370:
	s_or_b64 exec, exec, s[8:9]
.LBB896_371:
	s_or_b64 exec, exec, s[2:3]
	v_mov_b32_e32 v24, 0
	v_cmp_ne_u16_sdwa s[8:9], v25, v24 src0_sel:BYTE_0 src1_sel:DWORD
	v_mov_b32_e32 v52, 0
	s_and_saveexec_b64 s[2:3], s[8:9]
	s_cbranch_execz .LBB896_377
; %bb.372:
	s_movk_i32 s8, 0x80
	v_cmp_ne_u16_sdwa s[10:11], v25, s8 src0_sel:BYTE_0 src1_sel:DWORD
	v_mov_b32_e32 v52, 0xffff8000
	s_and_saveexec_b64 s[8:9], s[10:11]
	s_cbranch_execz .LBB896_376
; %bb.373:
	s_movk_i32 s10, 0x7f
	v_and_b32_e32 v22, 0x7f, v25
	v_cmp_ne_u32_e32 vcc, s10, v22
	v_mov_b32_e32 v52, 0x7f80
	s_and_saveexec_b64 s[10:11], vcc
	s_cbranch_execz .LBB896_375
; %bb.374:
	v_and_b32_e32 v45, 7, v25
	v_ffbh_u32_e32 v53, v45
	v_min_u32_e32 v55, 32, v53
	v_mov_b32_e32 v52, v25
	v_subrev_u32_e32 v53, 28, v55
	v_lshlrev_b64 v[52:53], v53, v[52:53]
	v_lshrrev_b32_e32 v54, 3, v22
	v_sub_u32_e32 v53, 29, v55
	v_and_b32_e32 v52, 7, v52
	v_cmp_gt_u32_e32 vcc, 8, v22
	v_cndmask_b32_e32 v22, v54, v53, vcc
	v_cndmask_b32_e32 v45, v45, v52, vcc
	v_lshlrev_b32_e32 v52, 24, v25
	v_bfrev_b32_e32 v53, 60
	v_lshlrev_b32_e32 v45, 20, v45
	v_and_b32_e32 v52, 0x80000000, v52
	v_lshl_add_u32 v22, v22, 23, v53
	v_or3_b32 v22, v52, v22, v45
	v_lshrrev_b32_e32 v52, 16, v22
.LBB896_375:
	s_or_b64 exec, exec, s[10:11]
.LBB896_376:
	s_or_b64 exec, exec, s[8:9]
.LBB896_377:
	s_or_b64 exec, exec, s[2:3]
	v_lshrrev_b16_e32 v22, 8, v25
	v_cmp_ne_u16_e32 vcc, 0, v22
	s_and_saveexec_b64 s[2:3], vcc
	s_cbranch_execz .LBB896_383
; %bb.378:
	s_movk_i32 s8, 0x80
	v_cmp_ne_u16_e32 vcc, s8, v22
	v_mov_b32_e32 v24, 0xffff8000
	s_and_saveexec_b64 s[8:9], vcc
	s_cbranch_execz .LBB896_382
; %bb.379:
	s_movk_i32 s10, 0x7f
	v_and_b32_e32 v45, 0x7f, v22
	v_cmp_ne_u32_e32 vcc, s10, v45
	v_mov_b32_e32 v24, 0x7f80
	s_and_saveexec_b64 s[10:11], vcc
	s_cbranch_execz .LBB896_381
; %bb.380:
	v_and_b32_e32 v24, 7, v22
	v_ffbh_u32_e32 v54, v24
	v_min_u32_e32 v56, 32, v54
	v_subrev_u32_e32 v54, 28, v56
	v_lshlrev_b64 v[54:55], v54, v[22:23]
	v_lshrrev_b32_e32 v53, 3, v45
	v_sub_u32_e32 v22, 29, v56
	v_and_b32_e32 v54, 7, v54
	v_cmp_gt_u32_e32 vcc, 8, v45
	v_cndmask_b32_e32 v22, v53, v22, vcc
	v_cndmask_b32_e32 v24, v24, v54, vcc
	v_lshlrev_b32_e32 v45, 16, v25
	v_bfrev_b32_e32 v53, 60
	v_lshlrev_b32_e32 v24, 20, v24
	v_and_b32_e32 v45, 0x80000000, v45
	v_lshl_add_u32 v22, v22, 23, v53
	v_or3_b32 v22, v45, v22, v24
	v_lshrrev_b32_e32 v24, 16, v22
.LBB896_381:
	s_or_b64 exec, exec, s[10:11]
.LBB896_382:
	s_or_b64 exec, exec, s[8:9]
.LBB896_383:
	s_or_b64 exec, exec, s[2:3]
	s_movk_i32 s2, 0xff
	v_and_b32_sdwa v45, v25, s2 dst_sel:DWORD dst_unused:UNUSED_PAD src0_sel:WORD_1 src1_sel:DWORD
	v_lshrrev_b32_e32 v22, 16, v25
	v_cmp_ne_u16_e32 vcc, 0, v45
	v_mov_b32_e32 v53, 0
	v_mov_b32_e32 v54, 0
	s_and_saveexec_b64 s[2:3], vcc
	s_cbranch_execz .LBB896_389
; %bb.384:
	s_movk_i32 s8, 0x80
	v_cmp_ne_u16_e32 vcc, s8, v45
	v_mov_b32_e32 v54, 0xffff8000
	s_and_saveexec_b64 s[8:9], vcc
	s_cbranch_execz .LBB896_388
; %bb.385:
	v_bfe_u32 v45, v25, 16, 7
	s_movk_i32 s10, 0x7f
	v_cmp_ne_u32_e32 vcc, s10, v45
	v_mov_b32_e32 v54, 0x7f80
	s_and_saveexec_b64 s[10:11], vcc
	s_cbranch_execz .LBB896_387
; %bb.386:
	v_and_b32_e32 v56, 7, v22
	v_ffbh_u32_e32 v54, v56
	v_min_u32_e32 v58, 32, v54
	v_subrev_u32_e32 v54, 28, v58
	v_lshlrev_b64 v[54:55], v54, v[22:23]
	v_and_b32_e32 v54, 7, v54
	v_cmp_gt_u32_e32 vcc, 8, v45
	v_lshrrev_b32_e32 v57, 3, v45
	v_sub_u32_e32 v22, 29, v58
	v_cndmask_b32_e32 v45, v56, v54, vcc
	v_mov_b32_e32 v54, 24
	v_cndmask_b32_e32 v22, v57, v22, vcc
	v_lshlrev_b32_sdwa v54, v54, v25 dst_sel:DWORD dst_unused:UNUSED_PAD src0_sel:DWORD src1_sel:WORD_1
	v_bfrev_b32_e32 v55, 60
	v_lshlrev_b32_e32 v45, 20, v45
	v_and_b32_e32 v54, 0x80000000, v54
	v_lshl_add_u32 v22, v22, 23, v55
	v_or3_b32 v22, v54, v22, v45
	v_lshrrev_b32_e32 v54, 16, v22
.LBB896_387:
	s_or_b64 exec, exec, s[10:11]
.LBB896_388:
	s_or_b64 exec, exec, s[8:9]
.LBB896_389:
	s_or_b64 exec, exec, s[2:3]
	s_mov_b32 s2, 0xffffff
	v_and_b32_e32 v45, 63, v0
	v_cmp_lt_u32_e32 vcc, s2, v25
	s_and_saveexec_b64 s[2:3], vcc
	s_cbranch_execz .LBB896_395
; %bb.390:
	v_lshrrev_b32_e32 v22, 24, v25
	s_movk_i32 s8, 0x80
	v_cmp_ne_u32_e32 vcc, s8, v22
	v_mov_b32_e32 v53, 0xffff8000
	s_and_saveexec_b64 s[8:9], vcc
	s_cbranch_execz .LBB896_394
; %bb.391:
	v_bfe_u32 v25, v25, 24, 7
	s_movk_i32 s10, 0x7f
	v_cmp_ne_u32_e32 vcc, s10, v25
	v_mov_b32_e32 v53, 0x7f80
	s_and_saveexec_b64 s[10:11], vcc
	s_cbranch_execz .LBB896_393
; %bb.392:
	v_and_b32_e32 v53, 7, v22
	v_ffbh_u32_e32 v56, v53
	v_min_u32_e32 v58, 32, v56
	v_subrev_u32_e32 v56, 28, v58
	v_lshlrev_b64 v[56:57], v56, v[22:23]
	v_lshrrev_b32_e32 v55, 3, v25
	v_sub_u32_e32 v57, 29, v58
	v_and_b32_e32 v56, 7, v56
	v_cmp_gt_u32_e32 vcc, 8, v25
	v_cndmask_b32_e32 v25, v55, v57, vcc
	v_cndmask_b32_e32 v53, v53, v56, vcc
	v_lshlrev_b32_e32 v22, 24, v22
	v_bfrev_b32_e32 v55, 60
	v_lshlrev_b32_e32 v53, 20, v53
	v_and_b32_e32 v22, 0x80000000, v22
	v_lshl_add_u32 v25, v25, 23, v55
	v_or3_b32 v22, v22, v25, v53
	v_lshrrev_b32_e32 v53, 16, v22
.LBB896_393:
	s_or_b64 exec, exec, s[10:11]
.LBB896_394:
	s_or_b64 exec, exec, s[8:9]
.LBB896_395:
	s_or_b64 exec, exec, s[2:3]
	s_mov_b32 s3, 0x5040100
	v_perm_b32 v43, v43, v44, s3
	v_perm_b32 v42, v23, v42, s3
	s_load_dword s2, s[4:5], 0x1c
	s_mov_b32 s46, 0xff7fffff
	s_waitcnt lgkmcnt(0)
	v_mfma_f32_16x16x16bf16_1k v[26:29], v[42:43], v[18:19], v[26:29]
	v_perm_b32 v19, v53, v54, s3
	v_perm_b32 v18, v24, v52, s3
	v_and_b32_e32 v24, 0xc0, v0
	v_mov_b32_e32 v22, s2
	v_add_u32_e32 v24, s20, v24
	v_mul_f32_e32 v44, s12, v22
	v_lshl_or_b32 v42, v47, 2, v24
	v_mfma_f32_16x16x16bf16_1k v[18:21], v[18:19], v[20:21], v[26:29]
	v_pk_mul_f32 v[22:23], v[44:45], v[36:37] op_sel_hi:[0,1]
	v_pk_mul_f32 v[36:37], v[44:45], v[40:41] op_sel_hi:[0,1]
	;; [unrolled: 1-line block ×4, first 2 shown]
	v_mov_b32_e32 v43, 0xff7fffff
	v_cmp_gt_i32_e64 s[26:27], s33, v42
	v_pk_mul_f32 v[38:39], v[44:45], v[38:39] op_sel_hi:[0,1]
	s_nop 3
	v_pk_mul_f32 v[32:33], v[44:45], v[18:19] op_sel_hi:[0,1]
	v_or_b32_e32 v19, 1, v42
	v_cmp_gt_i32_e64 s[28:29], s33, v19
	v_cndmask_b32_e64 v18, v43, v30, s[26:27]
	v_cndmask_b32_e64 v19, v43, v31, s[28:29]
	v_pk_mul_f32 v[24:25], v[44:45], v[20:21] op_sel_hi:[0,1]
	v_max3_f32 v18, v18, s46, v19
	v_or_b32_e32 v19, 2, v42
	v_or_b32_e32 v20, 3, v42
	v_cmp_gt_i32_e64 s[30:31], s33, v19
	v_cmp_gt_i32_e64 s[34:35], s33, v20
	v_cndmask_b32_e64 v19, v43, v40, s[30:31]
	v_cndmask_b32_e64 v20, v43, v41, s[34:35]
	v_max3_f32 v18, v18, v19, v20
	v_or_b32_e32 v19, 16, v42
	v_or_b32_e32 v20, 17, v42
	v_cmp_gt_i32_e64 s[36:37], s33, v19
	v_cmp_gt_i32_e64 s[38:39], s33, v20
	v_cndmask_b32_e64 v19, v43, v38, s[36:37]
	v_cndmask_b32_e64 v20, v43, v39, s[38:39]
	;; [unrolled: 7-line block ×3, first 2 shown]
	v_max3_f32 v18, v18, v19, v20
	v_or_b32_e32 v19, 32, v42
	v_or_b32_e32 v20, 33, v42
	v_pk_mul_f32 v[34:35], v[44:45], v[34:35] op_sel_hi:[0,1]
	v_cmp_gt_i32_e64 s[16:17], s33, v19
	v_cmp_gt_i32_e64 s[18:19], s33, v20
	v_cndmask_b32_e64 v19, v43, v34, s[16:17]
	v_cndmask_b32_e64 v20, v43, v35, s[18:19]
	v_max3_f32 v18, v18, v19, v20
	v_or_b32_e32 v19, 34, v42
	v_or_b32_e32 v20, 35, v42
	v_cmp_gt_i32_e64 s[12:13], s33, v19
	v_cmp_gt_i32_e64 s[14:15], s33, v20
	v_cndmask_b32_e64 v19, v43, v22, s[12:13]
	v_cndmask_b32_e64 v20, v43, v23, s[14:15]
	v_max3_f32 v18, v18, v19, v20
	v_or_b32_e32 v19, 48, v42
	v_or_b32_e32 v20, 49, v42
	;; [unrolled: 7-line block ×3, first 2 shown]
	v_cmp_gt_i32_e32 vcc, s33, v19
	v_cmp_gt_i32_e64 s[2:3], s33, v20
	v_cndmask_b32_e32 v19, v43, v24, vcc
	v_cndmask_b32_e64 v20, v43, v25, s[2:3]
	v_max3_f32 v18, v18, v19, v20
	v_mbcnt_lo_u32_b32 v19, -1, 0
	v_mbcnt_hi_u32_b32 v19, -1, v19
	v_and_b32_e32 v20, 64, v19
	v_add_u32_e32 v20, 64, v20
	v_xor_b32_e32 v21, 32, v19
	v_cmp_lt_i32_e64 s[40:41], v21, v20
	v_cndmask_b32_e64 v21, v19, v21, s[40:41]
	v_lshlrev_b32_e32 v43, 2, v21
	ds_bpermute_b32 v21, v43, v18
	s_barrier
	s_waitcnt lgkmcnt(0)
	v_max_f32_e32 v21, v21, v21
	v_max_f32_e32 v18, v18, v21
	v_xor_b32_e32 v21, 16, v19
	v_cmp_lt_i32_e64 s[40:41], v21, v20
	v_cndmask_b32_e64 v19, v19, v21, s[40:41]
	v_lshlrev_b32_e32 v44, 2, v19
	ds_bpermute_b32 v19, v44, v18
	s_waitcnt lgkmcnt(0)
	v_max_f32_e32 v19, v19, v19
	v_max_f32_e32 v42, v18, v19
	v_sub_f32_e32 v21, v40, v42
	v_sub_f32_e32 v26, v41, v42
	v_mul_f32_e32 v21, 0x3fb8aa3b, v21
	v_mul_f32_e32 v26, 0x3fb8aa3b, v26
	v_sub_f32_e32 v18, v30, v42
	v_exp_f32_e32 v21, v21
	v_exp_f32_e32 v26, v26
	v_mul_f32_e32 v18, 0x3fb8aa3b, v18
	v_sub_f32_e32 v19, v31, v42
	v_exp_f32_e32 v18, v18
	v_mul_f32_e32 v19, 0x3fb8aa3b, v19
	v_exp_f32_e32 v19, v19
	v_cndmask_b32_e64 v28, 0, v21, s[30:31]
	v_cndmask_b32_e64 v29, 0, v26, s[34:35]
	v_sub_f32_e32 v21, v38, v42
	v_sub_f32_e32 v26, v39, v42
	v_mul_f32_e32 v21, 0x3fb8aa3b, v21
	v_mul_f32_e32 v26, 0x3fb8aa3b, v26
	v_cndmask_b32_e64 v18, 0, v18, s[26:27]
	v_exp_f32_e32 v21, v21
	v_exp_f32_e32 v26, v26
	v_add_f32_e32 v20, 0, v18
	v_cndmask_b32_e64 v19, 0, v19, s[28:29]
	v_add_f32_e32 v20, v20, v19
	v_add_f32_e32 v20, v20, v28
	;; [unrolled: 1-line block ×3, first 2 shown]
	v_cndmask_b32_e64 v20, 0, v21, s[36:37]
	v_cndmask_b32_e64 v21, 0, v26, s[38:39]
	v_sub_f32_e32 v26, v36, v42
	v_mul_f32_e32 v26, 0x3fb8aa3b, v26
	v_exp_f32_e32 v26, v26
	v_sub_f32_e32 v30, v37, v42
	v_add_f32_e32 v27, v27, v20
	v_mul_f32_e32 v30, 0x3fb8aa3b, v30
	v_exp_f32_e32 v31, v30
	v_add_f32_e32 v27, v27, v21
	v_cndmask_b32_e64 v30, 0, v26, s[20:21]
	v_add_f32_e32 v26, v27, v30
	v_sub_f32_e32 v27, v34, v42
	v_mul_f32_e32 v27, 0x3fb8aa3b, v27
	v_sub_f32_e32 v34, v35, v42
	v_exp_f32_e32 v27, v27
	v_mul_f32_e32 v34, 0x3fb8aa3b, v34
	v_sub_f32_e32 v22, v22, v42
	v_exp_f32_e32 v34, v34
	;; [unrolled: 3-line block ×3, first 2 shown]
	v_mul_f32_e32 v23, 0x3fb8aa3b, v23
	v_cndmask_b32_e64 v31, 0, v31, s[22:23]
	v_exp_f32_e32 v23, v23
	v_add_f32_e32 v35, v26, v31
	v_cndmask_b32_e64 v26, 0, v27, s[16:17]
	v_add_f32_e32 v35, v35, v26
	v_cndmask_b32_e64 v27, 0, v34, s[18:19]
	;; [unrolled: 2-line block ×4, first 2 shown]
	v_sub_f32_e32 v23, v32, v42
	v_mul_f32_e32 v23, 0x3fb8aa3b, v23
	v_sub_f32_e32 v32, v33, v42
	v_exp_f32_e32 v23, v23
	v_mul_f32_e32 v32, 0x3fb8aa3b, v32
	v_sub_f32_e32 v24, v24, v42
	v_exp_f32_e32 v32, v32
	;; [unrolled: 3-line block ×3, first 2 shown]
	v_mul_f32_e32 v25, 0x3fb8aa3b, v25
	v_exp_f32_e32 v25, v25
	v_add_f32_e32 v33, v22, v35
	v_cndmask_b32_e64 v22, 0, v23, s[8:9]
	v_add_f32_e32 v33, v33, v22
	v_cndmask_b32_e64 v23, 0, v32, s[10:11]
	v_add_f32_e32 v32, v33, v23
	v_cndmask_b32_e32 v24, 0, v24, vcc
	v_add_f32_e32 v32, v32, v24
	v_cndmask_b32_e64 v25, 0, v25, s[2:3]
	v_add_f32_e32 v32, v32, v25
	ds_bpermute_b32 v33, v43, v32
	v_cmp_gt_u32_e32 vcc, 16, v45
	s_waitcnt lgkmcnt(0)
	v_add_f32_e32 v32, v32, v33
	ds_bpermute_b32 v36, v44, v32
	v_lshlrev_b32_e32 v33, 2, v50
	s_and_saveexec_b64 s[2:3], vcc
	s_cbranch_execz .LBB896_397
; %bb.396:
	s_waitcnt lgkmcnt(0)
	v_add_f32_e32 v32, v32, v36
	v_lshl_or_b32 v36, v51, 6, v33
	ds_write2st64_b32 v36, v42, v32 offset1:1
.LBB896_397:
	s_or_b64 exec, exec, s[2:3]
	s_waitcnt lgkmcnt(0)
	s_barrier
	ds_read2_b32 v[36:37], v33 offset1:16
	ds_read2_b32 v[38:39], v33 offset0:32 offset1:48
	ds_read2_b32 v[40:41], v33 offset0:64 offset1:80
	s_mul_i32 s12, s45, 3
	s_waitcnt lgkmcnt(2)
	v_max3_f32 v32, v36, s46, v37
	s_waitcnt lgkmcnt(1)
	v_max3_f32 v32, v32, v38, v39
	v_sub_f32_e32 v36, v36, v32
	v_mul_f32_e32 v36, 0x3fb8aa3b, v36
	v_exp_f32_e32 v42, v36
	v_sub_f32_e32 v36, v37, v32
	v_mul_f32_e32 v36, 0x3fb8aa3b, v36
	v_exp_f32_e32 v43, v36
	;; [unrolled: 3-line block ×3, first 2 shown]
	ds_read2_b32 v[36:37], v33 offset0:96 offset1:112
	v_sub_f32_e32 v33, v39, v32
	v_mul_f32_e32 v33, 0x3fb8aa3b, v33
	v_exp_f32_e32 v39, v33
	s_waitcnt lgkmcnt(1)
	v_fma_f32 v33, v42, v40, 0
	v_fmac_f32_e32 v33, v43, v41
	s_waitcnt lgkmcnt(0)
	v_fmac_f32_e32 v33, v38, v36
	v_fmac_f32_e32 v33, v39, v37
	v_add_f32_e32 v36, 0x358637bd, v33
	v_div_scale_f32 v37, s[2:3], v36, v36, 1.0
	v_rcp_f32_e32 v40, v37
	s_movk_i32 s2, 0x7fff
	s_mov_b32 s3, 0x7060302
	v_fma_f32 v41, -v37, v40, 1.0
	v_fmac_f32_e32 v40, v41, v40
	v_div_scale_f32 v41, vcc, 1.0, v36, 1.0
	v_mul_f32_e32 v44, v41, v40
	v_fma_f32 v45, -v37, v44, v41
	v_fmac_f32_e32 v44, v45, v40
	v_fma_f32 v37, -v37, v44, v41
	v_div_fmas_f32 v37, v37, v40, v44
	v_cmp_eq_u32_e32 vcc, 1, v51
	v_div_fixup_f32 v36, v37, v36, 1.0
	v_cndmask_b32_e32 v37, v42, v43, vcc
	v_cmp_eq_u32_e32 vcc, 2, v51
	v_cndmask_b32_e32 v37, v37, v38, vcc
	v_cmp_eq_u32_e32 vcc, 3, v51
	v_cndmask_b32_e32 v37, v37, v39, vcc
	v_mul_f32_e32 v36, v37, v36
	v_pk_mul_f32 v[18:19], v[36:37], v[18:19] op_sel_hi:[0,1]
	v_pk_mul_f32 v[28:29], v[36:37], v[28:29] op_sel_hi:[0,1]
	v_bfe_u32 v37, v19, 16, 1
	v_bfe_u32 v38, v18, 16, 1
	v_add3_u32 v18, v18, v38, s2
	v_add3_u32 v19, v19, v37, s2
	v_perm_b32 v18, v19, v18, s3
	v_bfe_u32 v19, v29, 16, 1
	v_bfe_u32 v37, v28, 16, 1
	v_add3_u32 v28, v28, v37, s2
	v_add3_u32 v19, v29, v19, s2
	v_perm_b32 v19, v19, v28, s3
	v_lshlrev_b32_e32 v28, 3, v47
	v_lshlrev_b32_e32 v29, 11, v51
	v_pk_mul_f32 v[20:21], v[36:37], v[20:21] op_sel_hi:[0,1]
	v_or3_b32 v28, v29, v49, v28
	v_pk_mul_f32 v[30:31], v[36:37], v[30:31] op_sel_hi:[0,1]
	v_bfe_u32 v29, v21, 16, 1
	v_bfe_u32 v37, v20, 16, 1
	v_add3_u32 v20, v20, v37, s2
	v_add3_u32 v21, v21, v29, s2
	v_perm_b32 v20, v21, v20, s3
	v_bfe_u32 v21, v31, 16, 1
	v_bfe_u32 v29, v30, 16, 1
	v_add3_u32 v29, v30, v29, s2
	v_add3_u32 v21, v31, v21, s2
	v_perm_b32 v21, v21, v29, s3
	s_barrier
	ds_write2st64_b64 v28, v[18:19], v[20:21] offset1:1
	v_pk_mul_f32 v[20:21], v[36:37], v[26:27] op_sel_hi:[0,1]
	v_bfe_u32 v26, v21, 16, 1
	v_bfe_u32 v27, v20, 16, 1
	v_pk_mul_f32 v[18:19], v[36:37], v[34:35] op_sel_hi:[0,1]
	v_add3_u32 v20, v20, v27, s2
	v_add3_u32 v21, v21, v26, s2
	v_perm_b32 v20, v21, v20, s3
	v_bfe_u32 v21, v19, 16, 1
	v_bfe_u32 v26, v18, 16, 1
	v_add3_u32 v18, v18, v26, s2
	v_add3_u32 v19, v19, v21, s2
	v_pk_mul_f32 v[22:23], v[36:37], v[22:23] op_sel_hi:[0,1]
	v_perm_b32 v21, v19, v18, s3
	v_pk_mul_f32 v[18:19], v[36:37], v[24:25] op_sel_hi:[0,1]
	v_bfe_u32 v24, v23, 16, 1
	v_bfe_u32 v25, v22, 16, 1
	v_add3_u32 v22, v22, v25, s2
	v_add3_u32 v23, v23, v24, s2
	v_perm_b32 v22, v23, v22, s3
	v_bfe_u32 v23, v19, 16, 1
	v_bfe_u32 v24, v18, 16, 1
	v_add3_u32 v18, v18, v24, s2
	v_add3_u32 v19, v19, v23, s2
	v_perm_b32 v23, v19, v18, s3
	v_cmp_gt_u32_e32 vcc, 3, v0
	ds_write2st64_b64 v28, v[20:21], v[22:23] offset0:2 offset1:3
	s_and_saveexec_b64 s[2:3], vcc
	s_cbranch_execz .LBB896_399
; %bb.398:
	v_add_co_u32_e32 v20, vcc, s25, v50
	v_addc_co_u32_e64 v21, s[14:15], 0, 0, vcc
	v_mov_b32_e32 v18, s12
	v_mov_b32_e32 v19, 0
	v_mad_u64_u32 v[20:21], s[14:15], s6, v18, v[20:21]
	v_mov_b32_e32 v18, s24
	s_load_dwordx4 s[8:11], s[4:5], 0x58
	s_mul_i32 s7, s7, s12
	v_mad_u64_u32 v[18:19], s[14:15], v20, s44, v[18:19]
	v_add_u32_e32 v21, s7, v21
	v_mov_b32_e32 v20, v19
	v_mad_u64_u32 v[20:21], s[14:15], v21, s44, v[20:21]
	v_mov_b32_e32 v19, v20
	v_lshlrev_b64 v[18:19], 2, v[18:19]
	s_waitcnt lgkmcnt(0)
	v_mov_b32_e32 v21, s11
	v_add_co_u32_e32 v20, vcc, s10, v18
	v_addc_co_u32_e32 v21, vcc, v21, v19, vcc
	global_store_dword v[20:21], v32, off
	v_mov_b32_e32 v20, s9
	v_add_co_u32_e32 v18, vcc, s8, v18
	v_addc_co_u32_e32 v19, vcc, v20, v19, vcc
	global_store_dword v[18:19], v33, off
.LBB896_399:
	s_or_b64 exec, exec, s[2:3]
	v_mov_b32_e32 v19, 0
	s_waitcnt vmcnt(3)
	v_cmp_ne_u16_sdwa s[8:9], v14, v19 src0_sel:BYTE_0 src1_sel:DWORD
	v_mov_b32_e32 v20, 0
	s_waitcnt lgkmcnt(0)
	s_barrier
	s_and_saveexec_b64 s[2:3], s[8:9]
	s_cbranch_execz .LBB896_405
; %bb.400:
	s_movk_i32 s7, 0x80
	v_cmp_ne_u16_sdwa s[10:11], v14, s7 src0_sel:BYTE_0 src1_sel:DWORD
	v_mov_b32_e32 v20, 0xffff8000
	s_and_saveexec_b64 s[8:9], s[10:11]
	s_cbranch_execz .LBB896_404
; %bb.401:
	s_movk_i32 s7, 0x7f
	v_and_b32_e32 v18, 0x7f, v14
	v_cmp_ne_u32_e32 vcc, s7, v18
	v_mov_b32_e32 v20, 0x7f80
	s_and_saveexec_b64 s[10:11], vcc
	s_cbranch_execz .LBB896_403
; %bb.402:
	v_and_b32_e32 v22, 7, v14
	v_ffbh_u32_e32 v20, v22
	v_min_u32_e32 v24, 32, v20
	v_subrev_u32_e32 v20, 28, v24
	v_lshlrev_b64 v[20:21], v20, v[14:15]
	v_lshrrev_b32_e32 v23, 3, v18
	v_sub_u32_e32 v21, 29, v24
	v_and_b32_e32 v20, 7, v20
	v_cmp_gt_u32_e32 vcc, 8, v18
	v_cndmask_b32_e32 v18, v23, v21, vcc
	v_cndmask_b32_e32 v20, v22, v20, vcc
	v_lshlrev_b32_e32 v21, 24, v14
	v_bfrev_b32_e32 v22, 60
	v_lshlrev_b32_e32 v20, 20, v20
	v_and_b32_e32 v21, 0x80000000, v21
	v_lshl_add_u32 v18, v18, 23, v22
	v_or3_b32 v18, v21, v18, v20
	v_lshrrev_b32_e32 v20, 16, v18
.LBB896_403:
	s_or_b64 exec, exec, s[10:11]
.LBB896_404:
	s_or_b64 exec, exec, s[8:9]
.LBB896_405:
	s_or_b64 exec, exec, s[2:3]
	v_lshrrev_b16_e32 v18, 8, v14
	v_cmp_ne_u16_e32 vcc, 0, v18
	s_and_saveexec_b64 s[2:3], vcc
	s_cbranch_execz .LBB896_411
; %bb.406:
	s_movk_i32 s7, 0x80
	v_cmp_ne_u16_e32 vcc, s7, v18
	v_mov_b32_e32 v19, 0xffff8000
	s_and_saveexec_b64 s[8:9], vcc
	s_cbranch_execz .LBB896_410
; %bb.407:
	s_movk_i32 s7, 0x7f
	v_and_b32_e32 v21, 0x7f, v18
	v_cmp_ne_u32_e32 vcc, s7, v21
	v_mov_b32_e32 v19, 0x7f80
	s_and_saveexec_b64 s[10:11], vcc
	s_cbranch_execz .LBB896_409
; %bb.408:
	v_and_b32_e32 v22, 7, v18
	v_ffbh_u32_e32 v19, v22
	v_min_u32_e32 v24, 32, v19
	v_subrev_u32_e32 v19, 28, v24
	v_lshlrev_b64 v[18:19], v19, v[18:19]
	v_lshrrev_b32_e32 v23, 3, v21
	v_sub_u32_e32 v19, 29, v24
	v_and_b32_e32 v18, 7, v18
	v_cmp_gt_u32_e32 vcc, 8, v21
	v_cndmask_b32_e32 v19, v23, v19, vcc
	v_cndmask_b32_e32 v18, v22, v18, vcc
	v_lshlrev_b32_e32 v21, 16, v14
	v_bfrev_b32_e32 v22, 60
	v_lshlrev_b32_e32 v18, 20, v18
	v_and_b32_e32 v21, 0x80000000, v21
	v_lshl_add_u32 v19, v19, 23, v22
	v_or3_b32 v18, v21, v19, v18
	v_lshrrev_b32_e32 v19, 16, v18
.LBB896_409:
	s_or_b64 exec, exec, s[10:11]
.LBB896_410:
	s_or_b64 exec, exec, s[8:9]
.LBB896_411:
	s_or_b64 exec, exec, s[2:3]
	s_movk_i32 s2, 0xff
	v_and_b32_sdwa v23, v14, s2 dst_sel:DWORD dst_unused:UNUSED_PAD src0_sel:WORD_1 src1_sel:DWORD
	v_lshrrev_b32_e32 v18, 16, v14
	v_cmp_ne_u16_e32 vcc, 0, v23
	v_mov_b32_e32 v21, 0
	v_mov_b32_e32 v22, 0
	s_and_saveexec_b64 s[2:3], vcc
	s_cbranch_execz .LBB896_417
; %bb.412:
	s_movk_i32 s7, 0x80
	v_cmp_ne_u16_e32 vcc, s7, v23
	v_mov_b32_e32 v22, 0xffff8000
	s_and_saveexec_b64 s[8:9], vcc
	s_cbranch_execz .LBB896_416
; %bb.413:
	v_bfe_u32 v23, v14, 16, 7
	s_movk_i32 s7, 0x7f
	v_cmp_ne_u32_e32 vcc, s7, v23
	v_mov_b32_e32 v22, 0x7f80
	s_and_saveexec_b64 s[10:11], vcc
	s_cbranch_execz .LBB896_415
; %bb.414:
	v_and_b32_e32 v22, 7, v18
	v_ffbh_u32_e32 v24, v22
	v_min_u32_e32 v27, 32, v24
	v_subrev_u32_e32 v24, 28, v27
	v_lshlrev_b64 v[24:25], v24, v[18:19]
	v_lshrrev_b32_e32 v26, 3, v23
	v_sub_u32_e32 v18, 29, v27
	v_and_b32_e32 v24, 7, v24
	v_cmp_gt_u32_e32 vcc, 8, v23
	v_mov_b32_e32 v23, 24
	v_cndmask_b32_e32 v18, v26, v18, vcc
	v_cndmask_b32_e32 v22, v22, v24, vcc
	v_lshlrev_b32_sdwa v23, v23, v14 dst_sel:DWORD dst_unused:UNUSED_PAD src0_sel:DWORD src1_sel:WORD_1
	v_bfrev_b32_e32 v24, 60
	v_lshlrev_b32_e32 v22, 20, v22
	v_and_b32_e32 v23, 0x80000000, v23
	v_lshl_add_u32 v18, v18, 23, v24
	v_or3_b32 v18, v23, v18, v22
	v_lshrrev_b32_e32 v22, 16, v18
.LBB896_415:
	s_or_b64 exec, exec, s[10:11]
.LBB896_416:
	s_or_b64 exec, exec, s[8:9]
.LBB896_417:
	s_or_b64 exec, exec, s[2:3]
	s_mov_b32 s2, 0xffffff
	v_cmp_lt_u32_e32 vcc, s2, v14
	s_and_saveexec_b64 s[2:3], vcc
	s_cbranch_execz .LBB896_423
; %bb.418:
	v_lshrrev_b32_e32 v18, 24, v14
	s_movk_i32 s7, 0x80
	v_cmp_ne_u32_e32 vcc, s7, v18
	v_mov_b32_e32 v21, 0xffff8000
	s_and_saveexec_b64 s[8:9], vcc
	s_cbranch_execz .LBB896_422
; %bb.419:
	v_bfe_u32 v14, v14, 24, 7
	s_movk_i32 s7, 0x7f
	v_cmp_ne_u32_e32 vcc, s7, v14
	v_mov_b32_e32 v21, 0x7f80
	s_and_saveexec_b64 s[10:11], vcc
	s_cbranch_execz .LBB896_421
; %bb.420:
	v_and_b32_e32 v21, 7, v18
	v_ffbh_u32_e32 v24, v21
	v_min_u32_e32 v26, 32, v24
	v_subrev_u32_e32 v24, 28, v26
	v_lshlrev_b64 v[24:25], v24, v[18:19]
	v_lshrrev_b32_e32 v23, 3, v14
	v_sub_u32_e32 v25, 29, v26
	v_and_b32_e32 v24, 7, v24
	v_cmp_gt_u32_e32 vcc, 8, v14
	v_cndmask_b32_e32 v14, v23, v25, vcc
	v_cndmask_b32_e32 v21, v21, v24, vcc
	v_lshlrev_b32_e32 v18, 24, v18
	v_bfrev_b32_e32 v23, 60
	v_lshlrev_b32_e32 v21, 20, v21
	v_and_b32_e32 v18, 0x80000000, v18
	v_lshl_add_u32 v14, v14, 23, v23
	v_or3_b32 v14, v18, v14, v21
	v_lshrrev_b32_e32 v21, 16, v14
.LBB896_421:
	s_or_b64 exec, exec, s[10:11]
.LBB896_422:
	s_or_b64 exec, exec, s[8:9]
.LBB896_423:
	s_or_b64 exec, exec, s[2:3]
	v_mov_b32_e32 v18, 0
	v_cmp_ne_u16_sdwa s[8:9], v15, v18 src0_sel:BYTE_0 src1_sel:DWORD
	v_mov_b32_e32 v23, 0
	s_and_saveexec_b64 s[2:3], s[8:9]
	s_cbranch_execz .LBB896_429
; %bb.424:
	s_movk_i32 s7, 0x80
	v_cmp_ne_u16_sdwa s[10:11], v15, s7 src0_sel:BYTE_0 src1_sel:DWORD
	v_mov_b32_e32 v23, 0xffff8000
	s_and_saveexec_b64 s[8:9], s[10:11]
	s_cbranch_execz .LBB896_428
; %bb.425:
	s_movk_i32 s7, 0x7f
	v_and_b32_e32 v14, 0x7f, v15
	v_cmp_ne_u32_e32 vcc, s7, v14
	v_mov_b32_e32 v23, 0x7f80
	s_and_saveexec_b64 s[10:11], vcc
	s_cbranch_execz .LBB896_427
; %bb.426:
	v_and_b32_e32 v23, 7, v15
	v_ffbh_u32_e32 v25, v23
	v_min_u32_e32 v27, 32, v25
	v_mov_b32_e32 v24, v15
	v_subrev_u32_e32 v25, 28, v27
	v_lshlrev_b64 v[24:25], v25, v[24:25]
	v_lshrrev_b32_e32 v26, 3, v14
	v_sub_u32_e32 v25, 29, v27
	v_and_b32_e32 v24, 7, v24
	v_cmp_gt_u32_e32 vcc, 8, v14
	v_cndmask_b32_e32 v14, v26, v25, vcc
	v_cndmask_b32_e32 v23, v23, v24, vcc
	v_lshlrev_b32_e32 v24, 24, v15
	v_bfrev_b32_e32 v25, 60
	v_lshlrev_b32_e32 v23, 20, v23
	v_and_b32_e32 v24, 0x80000000, v24
	v_lshl_add_u32 v14, v14, 23, v25
	v_or3_b32 v14, v24, v14, v23
	v_lshrrev_b32_e32 v23, 16, v14
.LBB896_427:
	s_or_b64 exec, exec, s[10:11]
.LBB896_428:
	s_or_b64 exec, exec, s[8:9]
.LBB896_429:
	s_or_b64 exec, exec, s[2:3]
	v_lshrrev_b16_e32 v14, 8, v15
	v_cmp_ne_u16_e32 vcc, 0, v14
	s_and_saveexec_b64 s[2:3], vcc
	s_cbranch_execz .LBB896_435
; %bb.430:
	s_movk_i32 s7, 0x80
	v_cmp_ne_u16_e32 vcc, s7, v14
	v_mov_b32_e32 v18, 0xffff8000
	s_and_saveexec_b64 s[8:9], vcc
	s_cbranch_execz .LBB896_434
; %bb.431:
	s_movk_i32 s7, 0x7f
	v_and_b32_e32 v24, 0x7f, v14
	v_cmp_ne_u32_e32 vcc, s7, v24
	v_mov_b32_e32 v18, 0x7f80
	s_and_saveexec_b64 s[10:11], vcc
	s_cbranch_execz .LBB896_433
; %bb.432:
	v_and_b32_e32 v18, 7, v14
	v_ffbh_u32_e32 v26, v18
	v_min_u32_e32 v29, 32, v26
	v_subrev_u32_e32 v26, 28, v29
	v_lshlrev_b64 v[26:27], v26, v[14:15]
	v_lshrrev_b32_e32 v25, 3, v24
	v_sub_u32_e32 v14, 29, v29
	v_and_b32_e32 v26, 7, v26
	v_cmp_gt_u32_e32 vcc, 8, v24
	v_cndmask_b32_e32 v14, v25, v14, vcc
	v_cndmask_b32_e32 v18, v18, v26, vcc
	v_lshlrev_b32_e32 v24, 16, v15
	v_bfrev_b32_e32 v25, 60
	v_lshlrev_b32_e32 v18, 20, v18
	v_and_b32_e32 v24, 0x80000000, v24
	v_lshl_add_u32 v14, v14, 23, v25
	v_or3_b32 v14, v24, v14, v18
	v_lshrrev_b32_e32 v18, 16, v14
.LBB896_433:
	s_or_b64 exec, exec, s[10:11]
.LBB896_434:
	s_or_b64 exec, exec, s[8:9]
.LBB896_435:
	s_or_b64 exec, exec, s[2:3]
	s_movk_i32 s2, 0xff
	v_and_b32_sdwa v26, v15, s2 dst_sel:DWORD dst_unused:UNUSED_PAD src0_sel:WORD_1 src1_sel:DWORD
	v_lshrrev_b32_e32 v14, 16, v15
	v_cmp_ne_u16_e32 vcc, 0, v26
	v_mov_b32_e32 v24, 0
	v_mov_b32_e32 v25, 0
	s_and_saveexec_b64 s[2:3], vcc
	s_cbranch_execz .LBB896_441
; %bb.436:
	s_movk_i32 s7, 0x80
	v_cmp_ne_u16_e32 vcc, s7, v26
	v_mov_b32_e32 v25, 0xffff8000
	s_and_saveexec_b64 s[8:9], vcc
	s_cbranch_execz .LBB896_440
; %bb.437:
	v_bfe_u32 v26, v15, 16, 7
	s_movk_i32 s7, 0x7f
	v_cmp_ne_u32_e32 vcc, s7, v26
	v_mov_b32_e32 v25, 0x7f80
	s_and_saveexec_b64 s[10:11], vcc
	s_cbranch_execz .LBB896_439
; %bb.438:
	v_and_b32_e32 v25, 7, v14
	v_ffbh_u32_e32 v29, v25
	v_min_u32_e32 v29, 32, v29
	v_subrev_u32_e32 v30, 28, v29
	v_lshlrev_b64 v[30:31], v30, v[14:15]
	v_lshrrev_b32_e32 v27, 3, v26
	v_sub_u32_e32 v14, 29, v29
	v_and_b32_e32 v29, 7, v30
	v_cmp_gt_u32_e32 vcc, 8, v26
	v_mov_b32_e32 v26, 24
	v_cndmask_b32_e32 v14, v27, v14, vcc
	v_cndmask_b32_e32 v25, v25, v29, vcc
	v_lshlrev_b32_sdwa v26, v26, v15 dst_sel:DWORD dst_unused:UNUSED_PAD src0_sel:DWORD src1_sel:WORD_1
	v_bfrev_b32_e32 v27, 60
	v_lshlrev_b32_e32 v25, 20, v25
	v_and_b32_e32 v26, 0x80000000, v26
	v_lshl_add_u32 v14, v14, 23, v27
	v_or3_b32 v14, v26, v14, v25
	v_lshrrev_b32_e32 v25, 16, v14
.LBB896_439:
	s_or_b64 exec, exec, s[10:11]
.LBB896_440:
	s_or_b64 exec, exec, s[8:9]
.LBB896_441:
	s_or_b64 exec, exec, s[2:3]
	s_mov_b32 s2, 0xffffff
	v_cmp_lt_u32_e32 vcc, s2, v15
	s_and_saveexec_b64 s[2:3], vcc
	s_cbranch_execz .LBB896_447
; %bb.442:
	v_lshrrev_b32_e32 v14, 24, v15
	s_movk_i32 s7, 0x80
	v_cmp_ne_u32_e32 vcc, s7, v14
	v_mov_b32_e32 v24, 0xffff8000
	s_and_saveexec_b64 s[8:9], vcc
	s_cbranch_execz .LBB896_446
; %bb.443:
	v_bfe_u32 v15, v15, 24, 7
	s_movk_i32 s7, 0x7f
	v_cmp_ne_u32_e32 vcc, s7, v15
	v_mov_b32_e32 v24, 0x7f80
	s_and_saveexec_b64 s[10:11], vcc
	s_cbranch_execz .LBB896_445
; %bb.444:
	v_and_b32_e32 v24, 7, v14
	v_ffbh_u32_e32 v26, v24
	v_min_u32_e32 v30, 32, v26
	v_subrev_u32_e32 v26, 28, v30
	v_lshlrev_b64 v[26:27], v26, v[14:15]
	v_lshrrev_b32_e32 v29, 3, v15
	v_sub_u32_e32 v27, 29, v30
	v_and_b32_e32 v26, 7, v26
	v_cmp_gt_u32_e32 vcc, 8, v15
	v_cndmask_b32_e32 v15, v29, v27, vcc
	v_cndmask_b32_e32 v24, v24, v26, vcc
	v_lshlrev_b32_e32 v14, 24, v14
	v_bfrev_b32_e32 v26, 60
	v_lshlrev_b32_e32 v24, 20, v24
	v_and_b32_e32 v14, 0x80000000, v14
	v_lshl_add_u32 v15, v15, 23, v26
	v_or3_b32 v14, v14, v15, v24
	v_lshrrev_b32_e32 v24, 16, v14
.LBB896_445:
	s_or_b64 exec, exec, s[10:11]
.LBB896_446:
	s_or_b64 exec, exec, s[8:9]
.LBB896_447:
	s_or_b64 exec, exec, s[2:3]
	s_mov_b32 s2, 0x5040100
	v_perm_b32 v15, v21, v22, s2
	v_lshl_or_b32 v22, v47, 9, v49
	v_perm_b32 v14, v19, v20, s2
	ds_read_b128 v[30:33], v22
	v_perm_b32 v19, v24, v25, s2
	v_perm_b32 v18, v18, v23, s2
	s_waitcnt lgkmcnt(0)
	v_mfma_f32_16x16x16bf16_1k v[34:37], v[14:15], v[30:31], 0
	v_mov_b32_e32 v15, 0
	v_cmp_ne_u16_sdwa s[8:9], v16, v15 src0_sel:BYTE_0 src1_sel:DWORD
	v_mov_b32_e32 v23, 0
	v_mfma_f32_16x16x16bf16_1k v[18:21], v[18:19], v[32:33], v[34:37]
	s_and_saveexec_b64 s[2:3], s[8:9]
	s_cbranch_execz .LBB896_453
; %bb.448:
	s_movk_i32 s7, 0x80
	v_cmp_ne_u16_sdwa s[10:11], v16, s7 src0_sel:BYTE_0 src1_sel:DWORD
	v_mov_b32_e32 v23, 0xffff8000
	s_and_saveexec_b64 s[8:9], s[10:11]
	s_cbranch_execz .LBB896_452
; %bb.449:
	s_movk_i32 s7, 0x7f
	v_and_b32_e32 v14, 0x7f, v16
	v_cmp_ne_u32_e32 vcc, s7, v14
	v_mov_b32_e32 v23, 0x7f80
	s_and_saveexec_b64 s[10:11], vcc
	s_cbranch_execz .LBB896_451
; %bb.450:
	v_and_b32_e32 v23, 7, v16
	v_ffbh_u32_e32 v24, v23
	v_min_u32_e32 v27, 32, v24
	v_subrev_u32_e32 v24, 28, v27
	v_lshlrev_b64 v[24:25], v24, v[16:17]
	v_lshrrev_b32_e32 v26, 3, v14
	v_sub_u32_e32 v25, 29, v27
	v_and_b32_e32 v24, 7, v24
	v_cmp_gt_u32_e32 vcc, 8, v14
	v_cndmask_b32_e32 v14, v26, v25, vcc
	v_cndmask_b32_e32 v23, v23, v24, vcc
	v_lshlrev_b32_e32 v24, 24, v16
	v_bfrev_b32_e32 v25, 60
	v_lshlrev_b32_e32 v23, 20, v23
	v_and_b32_e32 v24, 0x80000000, v24
	v_lshl_add_u32 v14, v14, 23, v25
	v_or3_b32 v14, v24, v14, v23
	v_lshrrev_b32_e32 v23, 16, v14
.LBB896_451:
	s_or_b64 exec, exec, s[10:11]
.LBB896_452:
	s_or_b64 exec, exec, s[8:9]
.LBB896_453:
	s_or_b64 exec, exec, s[2:3]
	v_lshrrev_b16_e32 v14, 8, v16
	v_cmp_ne_u16_e32 vcc, 0, v14
	s_and_saveexec_b64 s[2:3], vcc
	s_cbranch_execz .LBB896_459
; %bb.454:
	s_movk_i32 s7, 0x80
	v_cmp_ne_u16_e32 vcc, s7, v14
	v_mov_b32_e32 v15, 0xffff8000
	s_and_saveexec_b64 s[8:9], vcc
	s_cbranch_execz .LBB896_458
; %bb.455:
	s_movk_i32 s7, 0x7f
	v_and_b32_e32 v24, 0x7f, v14
	v_cmp_ne_u32_e32 vcc, s7, v24
	v_mov_b32_e32 v15, 0x7f80
	s_and_saveexec_b64 s[10:11], vcc
	s_cbranch_execz .LBB896_457
; %bb.456:
	v_and_b32_e32 v25, 7, v14
	v_ffbh_u32_e32 v15, v25
	v_min_u32_e32 v27, 32, v15
	v_subrev_u32_e32 v15, 28, v27
	v_lshlrev_b64 v[14:15], v15, v[14:15]
	v_lshrrev_b32_e32 v26, 3, v24
	v_sub_u32_e32 v15, 29, v27
	v_and_b32_e32 v14, 7, v14
	v_cmp_gt_u32_e32 vcc, 8, v24
	v_cndmask_b32_e32 v15, v26, v15, vcc
	v_cndmask_b32_e32 v14, v25, v14, vcc
	v_lshlrev_b32_e32 v24, 16, v16
	v_bfrev_b32_e32 v25, 60
	v_lshlrev_b32_e32 v14, 20, v14
	v_and_b32_e32 v24, 0x80000000, v24
	v_lshl_add_u32 v15, v15, 23, v25
	v_or3_b32 v14, v24, v15, v14
	v_lshrrev_b32_e32 v15, 16, v14
.LBB896_457:
	s_or_b64 exec, exec, s[10:11]
.LBB896_458:
	s_or_b64 exec, exec, s[8:9]
.LBB896_459:
	s_or_b64 exec, exec, s[2:3]
	s_movk_i32 s2, 0xff
	v_and_b32_sdwa v26, v16, s2 dst_sel:DWORD dst_unused:UNUSED_PAD src0_sel:WORD_1 src1_sel:DWORD
	v_lshrrev_b32_e32 v14, 16, v16
	v_cmp_ne_u16_e32 vcc, 0, v26
	v_mov_b32_e32 v24, 0
	v_mov_b32_e32 v25, 0
	s_and_saveexec_b64 s[2:3], vcc
	s_cbranch_execz .LBB896_465
; %bb.460:
	s_movk_i32 s7, 0x80
	v_cmp_ne_u16_e32 vcc, s7, v26
	v_mov_b32_e32 v25, 0xffff8000
	s_and_saveexec_b64 s[8:9], vcc
	s_cbranch_execz .LBB896_464
; %bb.461:
	v_bfe_u32 v26, v16, 16, 7
	s_movk_i32 s7, 0x7f
	v_cmp_ne_u32_e32 vcc, s7, v26
	v_mov_b32_e32 v25, 0x7f80
	s_and_saveexec_b64 s[10:11], vcc
	s_cbranch_execz .LBB896_463
; %bb.462:
	v_and_b32_e32 v25, 7, v14
	v_ffbh_u32_e32 v29, v25
	v_min_u32_e32 v29, 32, v29
	v_subrev_u32_e32 v30, 28, v29
	v_lshlrev_b64 v[30:31], v30, v[14:15]
	v_lshrrev_b32_e32 v27, 3, v26
	v_sub_u32_e32 v14, 29, v29
	v_and_b32_e32 v29, 7, v30
	v_cmp_gt_u32_e32 vcc, 8, v26
	v_mov_b32_e32 v26, 24
	v_cndmask_b32_e32 v14, v27, v14, vcc
	v_cndmask_b32_e32 v25, v25, v29, vcc
	v_lshlrev_b32_sdwa v26, v26, v16 dst_sel:DWORD dst_unused:UNUSED_PAD src0_sel:DWORD src1_sel:WORD_1
	v_bfrev_b32_e32 v27, 60
	v_lshlrev_b32_e32 v25, 20, v25
	v_and_b32_e32 v26, 0x80000000, v26
	v_lshl_add_u32 v14, v14, 23, v27
	v_or3_b32 v14, v26, v14, v25
	v_lshrrev_b32_e32 v25, 16, v14
.LBB896_463:
	s_or_b64 exec, exec, s[10:11]
.LBB896_464:
	s_or_b64 exec, exec, s[8:9]
.LBB896_465:
	s_or_b64 exec, exec, s[2:3]
	s_mov_b32 s2, 0xffffff
	v_cmp_lt_u32_e32 vcc, s2, v16
	s_and_saveexec_b64 s[2:3], vcc
	s_cbranch_execz .LBB896_471
; %bb.466:
	v_lshrrev_b32_e32 v14, 24, v16
	s_movk_i32 s7, 0x80
	v_cmp_ne_u32_e32 vcc, s7, v14
	v_mov_b32_e32 v24, 0xffff8000
	s_and_saveexec_b64 s[8:9], vcc
	s_cbranch_execz .LBB896_470
; %bb.467:
	v_bfe_u32 v16, v16, 24, 7
	s_movk_i32 s7, 0x7f
	v_cmp_ne_u32_e32 vcc, s7, v16
	v_mov_b32_e32 v24, 0x7f80
	s_and_saveexec_b64 s[10:11], vcc
	s_cbranch_execz .LBB896_469
; %bb.468:
	v_and_b32_e32 v24, 7, v14
	v_ffbh_u32_e32 v26, v24
	v_min_u32_e32 v30, 32, v26
	v_subrev_u32_e32 v26, 28, v30
	v_lshlrev_b64 v[26:27], v26, v[14:15]
	v_lshrrev_b32_e32 v29, 3, v16
	v_sub_u32_e32 v27, 29, v30
	v_and_b32_e32 v26, 7, v26
	v_cmp_gt_u32_e32 vcc, 8, v16
	v_cndmask_b32_e32 v16, v29, v27, vcc
	v_cndmask_b32_e32 v24, v24, v26, vcc
	v_lshlrev_b32_e32 v14, 24, v14
	v_bfrev_b32_e32 v26, 60
	v_lshlrev_b32_e32 v24, 20, v24
	v_and_b32_e32 v14, 0x80000000, v14
	v_lshl_add_u32 v16, v16, 23, v26
	v_or3_b32 v14, v14, v16, v24
	v_lshrrev_b32_e32 v24, 16, v14
.LBB896_469:
	s_or_b64 exec, exec, s[10:11]
.LBB896_470:
	s_or_b64 exec, exec, s[8:9]
.LBB896_471:
	s_or_b64 exec, exec, s[2:3]
	v_mov_b32_e32 v16, 0
	v_cmp_ne_u16_sdwa s[8:9], v17, v16 src0_sel:BYTE_0 src1_sel:DWORD
	v_mov_b32_e32 v26, 0
	s_and_saveexec_b64 s[2:3], s[8:9]
	s_cbranch_execz .LBB896_477
; %bb.472:
	s_movk_i32 s7, 0x80
	v_cmp_ne_u16_sdwa s[10:11], v17, s7 src0_sel:BYTE_0 src1_sel:DWORD
	v_mov_b32_e32 v26, 0xffff8000
	s_and_saveexec_b64 s[8:9], s[10:11]
	s_cbranch_execz .LBB896_476
; %bb.473:
	s_movk_i32 s7, 0x7f
	v_and_b32_e32 v14, 0x7f, v17
	v_cmp_ne_u32_e32 vcc, s7, v14
	v_mov_b32_e32 v26, 0x7f80
	s_and_saveexec_b64 s[10:11], vcc
	s_cbranch_execz .LBB896_475
; %bb.474:
	v_and_b32_e32 v29, 7, v17
	v_ffbh_u32_e32 v27, v29
	v_min_u32_e32 v31, 32, v27
	v_mov_b32_e32 v26, v17
	v_subrev_u32_e32 v27, 28, v31
	v_lshlrev_b64 v[26:27], v27, v[26:27]
	v_lshrrev_b32_e32 v30, 3, v14
	v_sub_u32_e32 v27, 29, v31
	v_and_b32_e32 v26, 7, v26
	v_cmp_gt_u32_e32 vcc, 8, v14
	v_cndmask_b32_e32 v14, v30, v27, vcc
	v_cndmask_b32_e32 v26, v29, v26, vcc
	v_lshlrev_b32_e32 v27, 24, v17
	v_bfrev_b32_e32 v29, 60
	v_lshlrev_b32_e32 v26, 20, v26
	v_and_b32_e32 v27, 0x80000000, v27
	v_lshl_add_u32 v14, v14, 23, v29
	v_or3_b32 v14, v27, v14, v26
	v_lshrrev_b32_e32 v26, 16, v14
.LBB896_475:
	s_or_b64 exec, exec, s[10:11]
.LBB896_476:
	s_or_b64 exec, exec, s[8:9]
.LBB896_477:
	s_or_b64 exec, exec, s[2:3]
	v_lshrrev_b16_e32 v14, 8, v17
	v_cmp_ne_u16_e32 vcc, 0, v14
	s_and_saveexec_b64 s[2:3], vcc
	s_cbranch_execz .LBB896_483
; %bb.478:
	s_movk_i32 s7, 0x80
	v_cmp_ne_u16_e32 vcc, s7, v14
	v_mov_b32_e32 v16, 0xffff8000
	s_and_saveexec_b64 s[8:9], vcc
	s_cbranch_execz .LBB896_482
; %bb.479:
	s_movk_i32 s7, 0x7f
	v_and_b32_e32 v27, 0x7f, v14
	v_cmp_ne_u32_e32 vcc, s7, v27
	v_mov_b32_e32 v16, 0x7f80
	s_and_saveexec_b64 s[10:11], vcc
	s_cbranch_execz .LBB896_481
; %bb.480:
	v_and_b32_e32 v16, 7, v14
	v_ffbh_u32_e32 v30, v16
	v_min_u32_e32 v32, 32, v30
	v_subrev_u32_e32 v30, 28, v32
	v_lshlrev_b64 v[30:31], v30, v[14:15]
	v_lshrrev_b32_e32 v29, 3, v27
	v_sub_u32_e32 v14, 29, v32
	v_and_b32_e32 v30, 7, v30
	v_cmp_gt_u32_e32 vcc, 8, v27
	v_cndmask_b32_e32 v14, v29, v14, vcc
	v_cndmask_b32_e32 v16, v16, v30, vcc
	v_lshlrev_b32_e32 v27, 16, v17
	v_bfrev_b32_e32 v29, 60
	v_lshlrev_b32_e32 v16, 20, v16
	v_and_b32_e32 v27, 0x80000000, v27
	v_lshl_add_u32 v14, v14, 23, v29
	v_or3_b32 v14, v27, v14, v16
	v_lshrrev_b32_e32 v16, 16, v14
.LBB896_481:
	s_or_b64 exec, exec, s[10:11]
.LBB896_482:
	s_or_b64 exec, exec, s[8:9]
.LBB896_483:
	s_or_b64 exec, exec, s[2:3]
	s_movk_i32 s2, 0xff
	v_and_b32_sdwa v30, v17, s2 dst_sel:DWORD dst_unused:UNUSED_PAD src0_sel:WORD_1 src1_sel:DWORD
	v_lshrrev_b32_e32 v14, 16, v17
	v_cmp_ne_u16_e32 vcc, 0, v30
	v_mov_b32_e32 v27, 0
	v_mov_b32_e32 v29, 0
	s_and_saveexec_b64 s[2:3], vcc
	s_cbranch_execz .LBB896_489
; %bb.484:
	s_movk_i32 s7, 0x80
	v_cmp_ne_u16_e32 vcc, s7, v30
	v_mov_b32_e32 v29, 0xffff8000
	s_and_saveexec_b64 s[8:9], vcc
	s_cbranch_execz .LBB896_488
; %bb.485:
	v_bfe_u32 v30, v17, 16, 7
	s_movk_i32 s7, 0x7f
	v_cmp_ne_u32_e32 vcc, s7, v30
	v_mov_b32_e32 v29, 0x7f80
	s_and_saveexec_b64 s[10:11], vcc
	s_cbranch_execz .LBB896_487
; %bb.486:
	v_and_b32_e32 v29, 7, v14
	v_ffbh_u32_e32 v32, v29
	v_min_u32_e32 v34, 32, v32
	v_subrev_u32_e32 v32, 28, v34
	v_lshlrev_b64 v[32:33], v32, v[14:15]
	v_lshrrev_b32_e32 v31, 3, v30
	v_sub_u32_e32 v14, 29, v34
	v_and_b32_e32 v32, 7, v32
	v_cmp_gt_u32_e32 vcc, 8, v30
	v_mov_b32_e32 v30, 24
	v_cndmask_b32_e32 v14, v31, v14, vcc
	v_cndmask_b32_e32 v29, v29, v32, vcc
	v_lshlrev_b32_sdwa v30, v30, v17 dst_sel:DWORD dst_unused:UNUSED_PAD src0_sel:DWORD src1_sel:WORD_1
	v_bfrev_b32_e32 v31, 60
	v_lshlrev_b32_e32 v29, 20, v29
	v_and_b32_e32 v30, 0x80000000, v30
	v_lshl_add_u32 v14, v14, 23, v31
	v_or3_b32 v14, v30, v14, v29
	v_lshrrev_b32_e32 v29, 16, v14
.LBB896_487:
	s_or_b64 exec, exec, s[10:11]
.LBB896_488:
	s_or_b64 exec, exec, s[8:9]
.LBB896_489:
	s_or_b64 exec, exec, s[2:3]
	s_mov_b32 s2, 0xffffff
	v_cmp_lt_u32_e32 vcc, s2, v17
	s_and_saveexec_b64 s[2:3], vcc
	s_cbranch_execz .LBB896_495
; %bb.490:
	v_lshrrev_b32_e32 v14, 24, v17
	s_movk_i32 s7, 0x80
	v_cmp_ne_u32_e32 vcc, s7, v14
	v_mov_b32_e32 v27, 0xffff8000
	s_and_saveexec_b64 s[8:9], vcc
	s_cbranch_execz .LBB896_494
; %bb.491:
	v_bfe_u32 v17, v17, 24, 7
	s_movk_i32 s7, 0x7f
	v_cmp_ne_u32_e32 vcc, s7, v17
	v_mov_b32_e32 v27, 0x7f80
	s_and_saveexec_b64 s[10:11], vcc
	s_cbranch_execz .LBB896_493
; %bb.492:
	v_and_b32_e32 v27, 7, v14
	v_ffbh_u32_e32 v30, v27
	v_min_u32_e32 v33, 32, v30
	v_subrev_u32_e32 v30, 28, v33
	v_lshlrev_b64 v[30:31], v30, v[14:15]
	v_lshrrev_b32_e32 v32, 3, v17
	v_sub_u32_e32 v31, 29, v33
	v_and_b32_e32 v30, 7, v30
	v_cmp_gt_u32_e32 vcc, 8, v17
	v_cndmask_b32_e32 v17, v32, v31, vcc
	v_cndmask_b32_e32 v27, v27, v30, vcc
	v_lshlrev_b32_e32 v14, 24, v14
	v_bfrev_b32_e32 v30, 60
	v_lshlrev_b32_e32 v27, 20, v27
	v_and_b32_e32 v14, 0x80000000, v14
	v_lshl_add_u32 v17, v17, 23, v30
	v_or3_b32 v14, v14, v17, v27
	v_lshrrev_b32_e32 v27, 16, v14
.LBB896_493:
	s_or_b64 exec, exec, s[10:11]
.LBB896_494:
	s_or_b64 exec, exec, s[8:9]
.LBB896_495:
	s_or_b64 exec, exec, s[2:3]
	s_mov_b32 s2, 0x5040100
	v_perm_b32 v25, v24, v25, s2
	v_perm_b32 v24, v15, v23, s2
	ds_read_b128 v[30:33], v22 offset:16
	v_perm_b32 v15, v27, v29, s2
	v_perm_b32 v14, v16, v26, s2
	s_waitcnt lgkmcnt(0)
	v_mfma_f32_16x16x16bf16_1k v[34:37], v[24:25], v[30:31], v[18:21]
	s_nop 6
	v_mov_b32_e32 v19, 0
	s_waitcnt vmcnt(2)
	v_cmp_ne_u16_sdwa s[8:9], v10, v19 src0_sel:BYTE_0 src1_sel:DWORD
	v_mfma_f32_16x16x16bf16_1k v[14:17], v[14:15], v[32:33], v[34:37]
	v_mov_b32_e32 v20, 0
	s_and_saveexec_b64 s[2:3], s[8:9]
	s_cbranch_execz .LBB896_501
; %bb.496:
	s_movk_i32 s7, 0x80
	v_cmp_ne_u16_sdwa s[10:11], v10, s7 src0_sel:BYTE_0 src1_sel:DWORD
	v_mov_b32_e32 v20, 0xffff8000
	s_and_saveexec_b64 s[8:9], s[10:11]
	s_cbranch_execz .LBB896_500
; %bb.497:
	s_movk_i32 s7, 0x7f
	v_and_b32_e32 v18, 0x7f, v10
	v_cmp_ne_u32_e32 vcc, s7, v18
	v_mov_b32_e32 v20, 0x7f80
	s_and_saveexec_b64 s[10:11], vcc
	s_cbranch_execz .LBB896_499
; %bb.498:
	v_and_b32_e32 v23, 7, v10
	v_ffbh_u32_e32 v20, v23
	v_min_u32_e32 v25, 32, v20
	v_subrev_u32_e32 v20, 28, v25
	v_lshlrev_b64 v[20:21], v20, v[10:11]
	v_lshrrev_b32_e32 v24, 3, v18
	v_sub_u32_e32 v21, 29, v25
	v_and_b32_e32 v20, 7, v20
	v_cmp_gt_u32_e32 vcc, 8, v18
	v_cndmask_b32_e32 v18, v24, v21, vcc
	v_cndmask_b32_e32 v20, v23, v20, vcc
	v_lshlrev_b32_e32 v21, 24, v10
	v_bfrev_b32_e32 v23, 60
	v_lshlrev_b32_e32 v20, 20, v20
	v_and_b32_e32 v21, 0x80000000, v21
	v_lshl_add_u32 v18, v18, 23, v23
	v_or3_b32 v18, v21, v18, v20
	v_lshrrev_b32_e32 v20, 16, v18
.LBB896_499:
	s_or_b64 exec, exec, s[10:11]
.LBB896_500:
	s_or_b64 exec, exec, s[8:9]
.LBB896_501:
	s_or_b64 exec, exec, s[2:3]
	v_lshrrev_b16_e32 v18, 8, v10
	v_cmp_ne_u16_e32 vcc, 0, v18
	s_and_saveexec_b64 s[2:3], vcc
	s_cbranch_execz .LBB896_507
; %bb.502:
	s_movk_i32 s7, 0x80
	v_cmp_ne_u16_e32 vcc, s7, v18
	v_mov_b32_e32 v19, 0xffff8000
	s_and_saveexec_b64 s[8:9], vcc
	s_cbranch_execz .LBB896_506
; %bb.503:
	s_movk_i32 s7, 0x7f
	v_and_b32_e32 v21, 0x7f, v18
	v_cmp_ne_u32_e32 vcc, s7, v21
	v_mov_b32_e32 v19, 0x7f80
	s_and_saveexec_b64 s[10:11], vcc
	s_cbranch_execz .LBB896_505
; %bb.504:
	v_and_b32_e32 v23, 7, v18
	v_ffbh_u32_e32 v19, v23
	v_min_u32_e32 v25, 32, v19
	v_subrev_u32_e32 v19, 28, v25
	v_lshlrev_b64 v[18:19], v19, v[18:19]
	v_lshrrev_b32_e32 v24, 3, v21
	v_sub_u32_e32 v19, 29, v25
	v_and_b32_e32 v18, 7, v18
	v_cmp_gt_u32_e32 vcc, 8, v21
	v_cndmask_b32_e32 v19, v24, v19, vcc
	v_cndmask_b32_e32 v18, v23, v18, vcc
	v_lshlrev_b32_e32 v21, 16, v10
	v_bfrev_b32_e32 v23, 60
	v_lshlrev_b32_e32 v18, 20, v18
	v_and_b32_e32 v21, 0x80000000, v21
	v_lshl_add_u32 v19, v19, 23, v23
	v_or3_b32 v18, v21, v19, v18
	v_lshrrev_b32_e32 v19, 16, v18
.LBB896_505:
	s_or_b64 exec, exec, s[10:11]
.LBB896_506:
	s_or_b64 exec, exec, s[8:9]
.LBB896_507:
	s_or_b64 exec, exec, s[2:3]
	s_movk_i32 s2, 0xff
	v_and_b32_sdwa v24, v10, s2 dst_sel:DWORD dst_unused:UNUSED_PAD src0_sel:WORD_1 src1_sel:DWORD
	v_lshrrev_b32_e32 v18, 16, v10
	v_cmp_ne_u16_e32 vcc, 0, v24
	v_mov_b32_e32 v21, 0
	v_mov_b32_e32 v23, 0
	s_and_saveexec_b64 s[2:3], vcc
	s_cbranch_execz .LBB896_513
; %bb.508:
	s_movk_i32 s7, 0x80
	v_cmp_ne_u16_e32 vcc, s7, v24
	v_mov_b32_e32 v23, 0xffff8000
	s_and_saveexec_b64 s[8:9], vcc
	s_cbranch_execz .LBB896_512
; %bb.509:
	v_bfe_u32 v24, v10, 16, 7
	s_movk_i32 s7, 0x7f
	v_cmp_ne_u32_e32 vcc, s7, v24
	v_mov_b32_e32 v23, 0x7f80
	s_and_saveexec_b64 s[10:11], vcc
	s_cbranch_execz .LBB896_511
; %bb.510:
	v_and_b32_e32 v23, 7, v18
	v_ffbh_u32_e32 v26, v23
	v_min_u32_e32 v29, 32, v26
	v_subrev_u32_e32 v26, 28, v29
	v_lshlrev_b64 v[26:27], v26, v[18:19]
	v_lshrrev_b32_e32 v25, 3, v24
	v_sub_u32_e32 v18, 29, v29
	v_and_b32_e32 v26, 7, v26
	v_cmp_gt_u32_e32 vcc, 8, v24
	v_mov_b32_e32 v24, 24
	v_cndmask_b32_e32 v18, v25, v18, vcc
	v_cndmask_b32_e32 v23, v23, v26, vcc
	v_lshlrev_b32_sdwa v24, v24, v10 dst_sel:DWORD dst_unused:UNUSED_PAD src0_sel:DWORD src1_sel:WORD_1
	v_bfrev_b32_e32 v25, 60
	v_lshlrev_b32_e32 v23, 20, v23
	v_and_b32_e32 v24, 0x80000000, v24
	v_lshl_add_u32 v18, v18, 23, v25
	v_or3_b32 v18, v24, v18, v23
	v_lshrrev_b32_e32 v23, 16, v18
.LBB896_511:
	s_or_b64 exec, exec, s[10:11]
.LBB896_512:
	s_or_b64 exec, exec, s[8:9]
.LBB896_513:
	s_or_b64 exec, exec, s[2:3]
	s_mov_b32 s2, 0xffffff
	v_cmp_lt_u32_e32 vcc, s2, v10
	s_and_saveexec_b64 s[2:3], vcc
	s_cbranch_execz .LBB896_519
; %bb.514:
	v_lshrrev_b32_e32 v18, 24, v10
	s_movk_i32 s7, 0x80
	v_cmp_ne_u32_e32 vcc, s7, v18
	v_mov_b32_e32 v21, 0xffff8000
	s_and_saveexec_b64 s[8:9], vcc
	s_cbranch_execz .LBB896_518
; %bb.515:
	v_bfe_u32 v10, v10, 24, 7
	s_movk_i32 s7, 0x7f
	v_cmp_ne_u32_e32 vcc, s7, v10
	v_mov_b32_e32 v21, 0x7f80
	s_and_saveexec_b64 s[10:11], vcc
	s_cbranch_execz .LBB896_517
; %bb.516:
	v_and_b32_e32 v21, 7, v18
	v_ffbh_u32_e32 v24, v21
	v_min_u32_e32 v27, 32, v24
	v_subrev_u32_e32 v24, 28, v27
	v_lshlrev_b64 v[24:25], v24, v[18:19]
	v_lshrrev_b32_e32 v26, 3, v10
	v_sub_u32_e32 v25, 29, v27
	v_and_b32_e32 v24, 7, v24
	v_cmp_gt_u32_e32 vcc, 8, v10
	v_cndmask_b32_e32 v10, v26, v25, vcc
	v_cndmask_b32_e32 v21, v21, v24, vcc
	v_lshlrev_b32_e32 v18, 24, v18
	v_bfrev_b32_e32 v24, 60
	v_lshlrev_b32_e32 v21, 20, v21
	v_and_b32_e32 v18, 0x80000000, v18
	v_lshl_add_u32 v10, v10, 23, v24
	v_or3_b32 v10, v18, v10, v21
	v_lshrrev_b32_e32 v21, 16, v10
.LBB896_517:
	s_or_b64 exec, exec, s[10:11]
.LBB896_518:
	s_or_b64 exec, exec, s[8:9]
.LBB896_519:
	s_or_b64 exec, exec, s[2:3]
	v_mov_b32_e32 v18, 0
	v_cmp_ne_u16_sdwa s[8:9], v11, v18 src0_sel:BYTE_0 src1_sel:DWORD
	v_mov_b32_e32 v24, 0
	s_and_saveexec_b64 s[2:3], s[8:9]
	s_cbranch_execz .LBB896_525
; %bb.520:
	s_movk_i32 s7, 0x80
	v_cmp_ne_u16_sdwa s[10:11], v11, s7 src0_sel:BYTE_0 src1_sel:DWORD
	v_mov_b32_e32 v24, 0xffff8000
	s_and_saveexec_b64 s[8:9], s[10:11]
	s_cbranch_execz .LBB896_524
; %bb.521:
	s_movk_i32 s7, 0x7f
	v_and_b32_e32 v10, 0x7f, v11
	v_cmp_ne_u32_e32 vcc, s7, v10
	v_mov_b32_e32 v24, 0x7f80
	s_and_saveexec_b64 s[10:11], vcc
	s_cbranch_execz .LBB896_523
; %bb.522:
	v_and_b32_e32 v26, 7, v11
	v_ffbh_u32_e32 v25, v26
	v_min_u32_e32 v29, 32, v25
	v_mov_b32_e32 v24, v11
	v_subrev_u32_e32 v25, 28, v29
	v_lshlrev_b64 v[24:25], v25, v[24:25]
	v_lshrrev_b32_e32 v27, 3, v10
	v_sub_u32_e32 v25, 29, v29
	v_and_b32_e32 v24, 7, v24
	v_cmp_gt_u32_e32 vcc, 8, v10
	v_cndmask_b32_e32 v10, v27, v25, vcc
	v_cndmask_b32_e32 v24, v26, v24, vcc
	v_lshlrev_b32_e32 v25, 24, v11
	v_bfrev_b32_e32 v26, 60
	v_lshlrev_b32_e32 v24, 20, v24
	v_and_b32_e32 v25, 0x80000000, v25
	v_lshl_add_u32 v10, v10, 23, v26
	v_or3_b32 v10, v25, v10, v24
	v_lshrrev_b32_e32 v24, 16, v10
.LBB896_523:
	s_or_b64 exec, exec, s[10:11]
.LBB896_524:
	s_or_b64 exec, exec, s[8:9]
.LBB896_525:
	s_or_b64 exec, exec, s[2:3]
	v_lshrrev_b16_e32 v10, 8, v11
	v_cmp_ne_u16_e32 vcc, 0, v10
	s_and_saveexec_b64 s[2:3], vcc
	s_cbranch_execz .LBB896_531
; %bb.526:
	s_movk_i32 s7, 0x80
	v_cmp_ne_u16_e32 vcc, s7, v10
	v_mov_b32_e32 v18, 0xffff8000
	s_and_saveexec_b64 s[8:9], vcc
	s_cbranch_execz .LBB896_530
; %bb.527:
	s_movk_i32 s7, 0x7f
	v_and_b32_e32 v25, 0x7f, v10
	v_cmp_ne_u32_e32 vcc, s7, v25
	v_mov_b32_e32 v18, 0x7f80
	s_and_saveexec_b64 s[10:11], vcc
	s_cbranch_execz .LBB896_529
; %bb.528:
	v_and_b32_e32 v18, 7, v10
	v_ffbh_u32_e32 v26, v18
	v_min_u32_e32 v30, 32, v26
	v_subrev_u32_e32 v26, 28, v30
	v_lshlrev_b64 v[26:27], v26, v[10:11]
	v_lshrrev_b32_e32 v29, 3, v25
	v_sub_u32_e32 v10, 29, v30
	v_and_b32_e32 v26, 7, v26
	v_cmp_gt_u32_e32 vcc, 8, v25
	v_cndmask_b32_e32 v10, v29, v10, vcc
	v_cndmask_b32_e32 v18, v18, v26, vcc
	v_lshlrev_b32_e32 v25, 16, v11
	v_bfrev_b32_e32 v26, 60
	v_lshlrev_b32_e32 v18, 20, v18
	v_and_b32_e32 v25, 0x80000000, v25
	v_lshl_add_u32 v10, v10, 23, v26
	v_or3_b32 v10, v25, v10, v18
	v_lshrrev_b32_e32 v18, 16, v10
.LBB896_529:
	s_or_b64 exec, exec, s[10:11]
.LBB896_530:
	s_or_b64 exec, exec, s[8:9]
.LBB896_531:
	s_or_b64 exec, exec, s[2:3]
	s_movk_i32 s2, 0xff
	v_and_b32_sdwa v27, v11, s2 dst_sel:DWORD dst_unused:UNUSED_PAD src0_sel:WORD_1 src1_sel:DWORD
	v_lshrrev_b32_e32 v10, 16, v11
	v_cmp_ne_u16_e32 vcc, 0, v27
	v_mov_b32_e32 v25, 0
	v_mov_b32_e32 v26, 0
	s_and_saveexec_b64 s[2:3], vcc
	s_cbranch_execz .LBB896_537
; %bb.532:
	s_movk_i32 s7, 0x80
	v_cmp_ne_u16_e32 vcc, s7, v27
	v_mov_b32_e32 v26, 0xffff8000
	s_and_saveexec_b64 s[8:9], vcc
	s_cbranch_execz .LBB896_536
; %bb.533:
	v_bfe_u32 v27, v11, 16, 7
	s_movk_i32 s7, 0x7f
	v_cmp_ne_u32_e32 vcc, s7, v27
	v_mov_b32_e32 v26, 0x7f80
	s_and_saveexec_b64 s[10:11], vcc
	s_cbranch_execz .LBB896_535
; %bb.534:
	v_and_b32_e32 v26, 7, v10
	v_ffbh_u32_e32 v30, v26
	v_min_u32_e32 v32, 32, v30
	v_subrev_u32_e32 v30, 28, v32
	v_lshlrev_b64 v[30:31], v30, v[10:11]
	v_lshrrev_b32_e32 v29, 3, v27
	v_sub_u32_e32 v10, 29, v32
	v_and_b32_e32 v30, 7, v30
	v_cmp_gt_u32_e32 vcc, 8, v27
	v_mov_b32_e32 v27, 24
	v_cndmask_b32_e32 v10, v29, v10, vcc
	v_cndmask_b32_e32 v26, v26, v30, vcc
	v_lshlrev_b32_sdwa v27, v27, v11 dst_sel:DWORD dst_unused:UNUSED_PAD src0_sel:DWORD src1_sel:WORD_1
	v_bfrev_b32_e32 v29, 60
	v_lshlrev_b32_e32 v26, 20, v26
	v_and_b32_e32 v27, 0x80000000, v27
	v_lshl_add_u32 v10, v10, 23, v29
	v_or3_b32 v10, v27, v10, v26
	v_lshrrev_b32_e32 v26, 16, v10
.LBB896_535:
	s_or_b64 exec, exec, s[10:11]
.LBB896_536:
	s_or_b64 exec, exec, s[8:9]
.LBB896_537:
	s_or_b64 exec, exec, s[2:3]
	s_mov_b32 s2, 0xffffff
	v_cmp_lt_u32_e32 vcc, s2, v11
	s_and_saveexec_b64 s[2:3], vcc
	s_cbranch_execz .LBB896_543
; %bb.538:
	v_lshrrev_b32_e32 v10, 24, v11
	s_movk_i32 s7, 0x80
	v_cmp_ne_u32_e32 vcc, s7, v10
	v_mov_b32_e32 v25, 0xffff8000
	s_and_saveexec_b64 s[8:9], vcc
	s_cbranch_execz .LBB896_542
; %bb.539:
	v_bfe_u32 v11, v11, 24, 7
	s_movk_i32 s7, 0x7f
	v_cmp_ne_u32_e32 vcc, s7, v11
	v_mov_b32_e32 v25, 0x7f80
	s_and_saveexec_b64 s[10:11], vcc
	s_cbranch_execz .LBB896_541
; %bb.540:
	v_and_b32_e32 v25, 7, v10
	v_ffbh_u32_e32 v29, v25
	v_min_u32_e32 v29, 32, v29
	v_subrev_u32_e32 v30, 28, v29
	v_lshlrev_b64 v[30:31], v30, v[10:11]
	v_lshrrev_b32_e32 v27, 3, v11
	v_sub_u32_e32 v29, 29, v29
	v_and_b32_e32 v30, 7, v30
	v_cmp_gt_u32_e32 vcc, 8, v11
	v_cndmask_b32_e32 v11, v27, v29, vcc
	v_cndmask_b32_e32 v25, v25, v30, vcc
	v_lshlrev_b32_e32 v10, 24, v10
	v_bfrev_b32_e32 v27, 60
	v_lshlrev_b32_e32 v25, 20, v25
	v_and_b32_e32 v10, 0x80000000, v10
	v_lshl_add_u32 v11, v11, 23, v27
	v_or3_b32 v10, v10, v11, v25
	v_lshrrev_b32_e32 v25, 16, v10
.LBB896_541:
	s_or_b64 exec, exec, s[10:11]
.LBB896_542:
	s_or_b64 exec, exec, s[8:9]
.LBB896_543:
	s_or_b64 exec, exec, s[2:3]
	s_mov_b32 s2, 0x5040100
	v_perm_b32 v11, v21, v23, s2
	v_perm_b32 v10, v19, v20, s2
	ds_read_b128 v[30:33], v22 offset:2048
	v_perm_b32 v21, v25, v26, s2
	v_perm_b32 v20, v18, v24, s2
	s_waitcnt lgkmcnt(0)
	v_mfma_f32_16x16x16bf16_1k v[14:17], v[10:11], v[30:31], v[14:17]
	v_mov_b32_e32 v11, 0
	v_cmp_ne_u16_sdwa s[8:9], v12, v11 src0_sel:BYTE_0 src1_sel:DWORD
	v_mov_b32_e32 v18, 0
	v_mfma_f32_16x16x16bf16_1k v[14:17], v[20:21], v[32:33], v[14:17]
	s_and_saveexec_b64 s[2:3], s[8:9]
	s_cbranch_execz .LBB896_549
; %bb.544:
	s_movk_i32 s7, 0x80
	v_cmp_ne_u16_sdwa s[10:11], v12, s7 src0_sel:BYTE_0 src1_sel:DWORD
	v_mov_b32_e32 v18, 0xffff8000
	s_and_saveexec_b64 s[8:9], s[10:11]
	s_cbranch_execz .LBB896_548
; %bb.545:
	s_movk_i32 s7, 0x7f
	v_and_b32_e32 v10, 0x7f, v12
	v_cmp_ne_u32_e32 vcc, s7, v10
	v_mov_b32_e32 v18, 0x7f80
	s_and_saveexec_b64 s[10:11], vcc
	s_cbranch_execz .LBB896_547
; %bb.546:
	v_and_b32_e32 v20, 7, v12
	v_ffbh_u32_e32 v18, v20
	v_min_u32_e32 v23, 32, v18
	v_subrev_u32_e32 v18, 28, v23
	v_lshlrev_b64 v[18:19], v18, v[12:13]
	v_lshrrev_b32_e32 v21, 3, v10
	v_sub_u32_e32 v19, 29, v23
	v_and_b32_e32 v18, 7, v18
	v_cmp_gt_u32_e32 vcc, 8, v10
	v_cndmask_b32_e32 v10, v21, v19, vcc
	v_cndmask_b32_e32 v18, v20, v18, vcc
	v_lshlrev_b32_e32 v19, 24, v12
	v_bfrev_b32_e32 v20, 60
	v_lshlrev_b32_e32 v18, 20, v18
	v_and_b32_e32 v19, 0x80000000, v19
	v_lshl_add_u32 v10, v10, 23, v20
	v_or3_b32 v10, v19, v10, v18
	v_lshrrev_b32_e32 v18, 16, v10
.LBB896_547:
	s_or_b64 exec, exec, s[10:11]
.LBB896_548:
	s_or_b64 exec, exec, s[8:9]
.LBB896_549:
	s_or_b64 exec, exec, s[2:3]
	v_lshrrev_b16_e32 v10, 8, v12
	v_cmp_ne_u16_e32 vcc, 0, v10
	s_and_saveexec_b64 s[2:3], vcc
	s_cbranch_execz .LBB896_555
; %bb.550:
	s_movk_i32 s7, 0x80
	v_cmp_ne_u16_e32 vcc, s7, v10
	v_mov_b32_e32 v11, 0xffff8000
	s_and_saveexec_b64 s[8:9], vcc
	s_cbranch_execz .LBB896_554
; %bb.551:
	s_movk_i32 s7, 0x7f
	v_and_b32_e32 v19, 0x7f, v10
	v_cmp_ne_u32_e32 vcc, s7, v19
	v_mov_b32_e32 v11, 0x7f80
	s_and_saveexec_b64 s[10:11], vcc
	s_cbranch_execz .LBB896_553
; %bb.552:
	v_and_b32_e32 v20, 7, v10
	v_ffbh_u32_e32 v11, v20
	v_min_u32_e32 v23, 32, v11
	v_subrev_u32_e32 v11, 28, v23
	v_lshlrev_b64 v[10:11], v11, v[10:11]
	v_lshrrev_b32_e32 v21, 3, v19
	v_sub_u32_e32 v11, 29, v23
	v_and_b32_e32 v10, 7, v10
	v_cmp_gt_u32_e32 vcc, 8, v19
	v_cndmask_b32_e32 v11, v21, v11, vcc
	v_cndmask_b32_e32 v10, v20, v10, vcc
	v_lshlrev_b32_e32 v19, 16, v12
	v_bfrev_b32_e32 v20, 60
	v_lshlrev_b32_e32 v10, 20, v10
	v_and_b32_e32 v19, 0x80000000, v19
	v_lshl_add_u32 v11, v11, 23, v20
	v_or3_b32 v10, v19, v11, v10
	v_lshrrev_b32_e32 v11, 16, v10
.LBB896_553:
	s_or_b64 exec, exec, s[10:11]
.LBB896_554:
	s_or_b64 exec, exec, s[8:9]
.LBB896_555:
	s_or_b64 exec, exec, s[2:3]
	s_movk_i32 s2, 0xff
	v_and_b32_sdwa v21, v12, s2 dst_sel:DWORD dst_unused:UNUSED_PAD src0_sel:WORD_1 src1_sel:DWORD
	v_lshrrev_b32_e32 v10, 16, v12
	v_cmp_ne_u16_e32 vcc, 0, v21
	v_mov_b32_e32 v19, 0
	v_mov_b32_e32 v20, 0
	s_and_saveexec_b64 s[2:3], vcc
	s_cbranch_execz .LBB896_561
; %bb.556:
	s_movk_i32 s7, 0x80
	v_cmp_ne_u16_e32 vcc, s7, v21
	v_mov_b32_e32 v20, 0xffff8000
	s_and_saveexec_b64 s[8:9], vcc
	s_cbranch_execz .LBB896_560
; %bb.557:
	v_bfe_u32 v21, v12, 16, 7
	s_movk_i32 s7, 0x7f
	v_cmp_ne_u32_e32 vcc, s7, v21
	v_mov_b32_e32 v20, 0x7f80
	s_and_saveexec_b64 s[10:11], vcc
	s_cbranch_execz .LBB896_559
; %bb.558:
	v_and_b32_e32 v20, 7, v10
	v_ffbh_u32_e32 v24, v20
	v_min_u32_e32 v26, 32, v24
	v_subrev_u32_e32 v24, 28, v26
	v_lshlrev_b64 v[24:25], v24, v[10:11]
	v_lshrrev_b32_e32 v23, 3, v21
	v_sub_u32_e32 v10, 29, v26
	v_and_b32_e32 v24, 7, v24
	v_cmp_gt_u32_e32 vcc, 8, v21
	v_mov_b32_e32 v21, 24
	v_cndmask_b32_e32 v10, v23, v10, vcc
	v_cndmask_b32_e32 v20, v20, v24, vcc
	v_lshlrev_b32_sdwa v21, v21, v12 dst_sel:DWORD dst_unused:UNUSED_PAD src0_sel:DWORD src1_sel:WORD_1
	v_bfrev_b32_e32 v23, 60
	v_lshlrev_b32_e32 v20, 20, v20
	v_and_b32_e32 v21, 0x80000000, v21
	v_lshl_add_u32 v10, v10, 23, v23
	v_or3_b32 v10, v21, v10, v20
	v_lshrrev_b32_e32 v20, 16, v10
.LBB896_559:
	s_or_b64 exec, exec, s[10:11]
.LBB896_560:
	s_or_b64 exec, exec, s[8:9]
.LBB896_561:
	s_or_b64 exec, exec, s[2:3]
	s_mov_b32 s2, 0xffffff
	v_cmp_lt_u32_e32 vcc, s2, v12
	s_and_saveexec_b64 s[2:3], vcc
	s_cbranch_execz .LBB896_567
; %bb.562:
	v_lshrrev_b32_e32 v10, 24, v12
	s_movk_i32 s7, 0x80
	v_cmp_ne_u32_e32 vcc, s7, v10
	v_mov_b32_e32 v19, 0xffff8000
	s_and_saveexec_b64 s[8:9], vcc
	s_cbranch_execz .LBB896_566
; %bb.563:
	v_bfe_u32 v12, v12, 24, 7
	s_movk_i32 s7, 0x7f
	v_cmp_ne_u32_e32 vcc, s7, v12
	v_mov_b32_e32 v19, 0x7f80
	s_and_saveexec_b64 s[10:11], vcc
	s_cbranch_execz .LBB896_565
; %bb.564:
	v_and_b32_e32 v19, 7, v10
	v_ffbh_u32_e32 v23, v19
	v_min_u32_e32 v23, 32, v23
	v_subrev_u32_e32 v24, 28, v23
	v_lshlrev_b64 v[24:25], v24, v[10:11]
	v_lshrrev_b32_e32 v21, 3, v12
	v_sub_u32_e32 v23, 29, v23
	v_and_b32_e32 v24, 7, v24
	v_cmp_gt_u32_e32 vcc, 8, v12
	v_cndmask_b32_e32 v12, v21, v23, vcc
	v_cndmask_b32_e32 v19, v19, v24, vcc
	v_lshlrev_b32_e32 v10, 24, v10
	v_bfrev_b32_e32 v21, 60
	v_lshlrev_b32_e32 v19, 20, v19
	v_and_b32_e32 v10, 0x80000000, v10
	v_lshl_add_u32 v12, v12, 23, v21
	v_or3_b32 v10, v10, v12, v19
	v_lshrrev_b32_e32 v19, 16, v10
.LBB896_565:
	s_or_b64 exec, exec, s[10:11]
.LBB896_566:
	s_or_b64 exec, exec, s[8:9]
.LBB896_567:
	s_or_b64 exec, exec, s[2:3]
	v_mov_b32_e32 v12, 0
	v_cmp_ne_u16_sdwa s[8:9], v13, v12 src0_sel:BYTE_0 src1_sel:DWORD
	v_mov_b32_e32 v21, 0
	s_and_saveexec_b64 s[2:3], s[8:9]
	s_cbranch_execz .LBB896_573
; %bb.568:
	s_movk_i32 s7, 0x80
	v_cmp_ne_u16_sdwa s[10:11], v13, s7 src0_sel:BYTE_0 src1_sel:DWORD
	v_mov_b32_e32 v21, 0xffff8000
	s_and_saveexec_b64 s[8:9], s[10:11]
	s_cbranch_execz .LBB896_572
; %bb.569:
	s_movk_i32 s7, 0x7f
	v_and_b32_e32 v10, 0x7f, v13
	v_cmp_ne_u32_e32 vcc, s7, v10
	v_mov_b32_e32 v21, 0x7f80
	s_and_saveexec_b64 s[10:11], vcc
	s_cbranch_execz .LBB896_571
; %bb.570:
	v_and_b32_e32 v21, 7, v13
	v_ffbh_u32_e32 v25, v21
	v_min_u32_e32 v26, 32, v25
	v_mov_b32_e32 v24, v13
	v_subrev_u32_e32 v25, 28, v26
	v_lshlrev_b64 v[24:25], v25, v[24:25]
	v_lshrrev_b32_e32 v23, 3, v10
	v_sub_u32_e32 v25, 29, v26
	v_and_b32_e32 v24, 7, v24
	v_cmp_gt_u32_e32 vcc, 8, v10
	v_cndmask_b32_e32 v10, v23, v25, vcc
	v_cndmask_b32_e32 v21, v21, v24, vcc
	v_lshlrev_b32_e32 v23, 24, v13
	v_bfrev_b32_e32 v24, 60
	v_lshlrev_b32_e32 v21, 20, v21
	v_and_b32_e32 v23, 0x80000000, v23
	v_lshl_add_u32 v10, v10, 23, v24
	v_or3_b32 v10, v23, v10, v21
	v_lshrrev_b32_e32 v21, 16, v10
.LBB896_571:
	s_or_b64 exec, exec, s[10:11]
.LBB896_572:
	s_or_b64 exec, exec, s[8:9]
.LBB896_573:
	s_or_b64 exec, exec, s[2:3]
	v_lshrrev_b16_e32 v10, 8, v13
	v_cmp_ne_u16_e32 vcc, 0, v10
	s_and_saveexec_b64 s[2:3], vcc
	s_cbranch_execz .LBB896_579
; %bb.574:
	s_movk_i32 s7, 0x80
	v_cmp_ne_u16_e32 vcc, s7, v10
	v_mov_b32_e32 v12, 0xffff8000
	s_and_saveexec_b64 s[8:9], vcc
	s_cbranch_execz .LBB896_578
; %bb.575:
	s_movk_i32 s7, 0x7f
	v_and_b32_e32 v23, 0x7f, v10
	v_cmp_ne_u32_e32 vcc, s7, v23
	v_mov_b32_e32 v12, 0x7f80
	s_and_saveexec_b64 s[10:11], vcc
	s_cbranch_execz .LBB896_577
; %bb.576:
	v_and_b32_e32 v12, 7, v10
	v_ffbh_u32_e32 v24, v12
	v_min_u32_e32 v27, 32, v24
	v_subrev_u32_e32 v24, 28, v27
	v_lshlrev_b64 v[24:25], v24, v[10:11]
	v_lshrrev_b32_e32 v26, 3, v23
	v_sub_u32_e32 v10, 29, v27
	v_and_b32_e32 v24, 7, v24
	v_cmp_gt_u32_e32 vcc, 8, v23
	v_cndmask_b32_e32 v10, v26, v10, vcc
	v_cndmask_b32_e32 v12, v12, v24, vcc
	v_lshlrev_b32_e32 v23, 16, v13
	v_bfrev_b32_e32 v24, 60
	v_lshlrev_b32_e32 v12, 20, v12
	v_and_b32_e32 v23, 0x80000000, v23
	v_lshl_add_u32 v10, v10, 23, v24
	v_or3_b32 v10, v23, v10, v12
	v_lshrrev_b32_e32 v12, 16, v10
.LBB896_577:
	s_or_b64 exec, exec, s[10:11]
.LBB896_578:
	s_or_b64 exec, exec, s[8:9]
.LBB896_579:
	s_or_b64 exec, exec, s[2:3]
	s_movk_i32 s2, 0xff
	v_and_b32_sdwa v25, v13, s2 dst_sel:DWORD dst_unused:UNUSED_PAD src0_sel:WORD_1 src1_sel:DWORD
	v_lshrrev_b32_e32 v10, 16, v13
	v_cmp_ne_u16_e32 vcc, 0, v25
	v_mov_b32_e32 v23, 0
	v_mov_b32_e32 v24, 0
	s_and_saveexec_b64 s[2:3], vcc
	s_cbranch_execz .LBB896_585
; %bb.580:
	s_movk_i32 s7, 0x80
	v_cmp_ne_u16_e32 vcc, s7, v25
	v_mov_b32_e32 v24, 0xffff8000
	s_and_saveexec_b64 s[8:9], vcc
	s_cbranch_execz .LBB896_584
; %bb.581:
	v_bfe_u32 v25, v13, 16, 7
	s_movk_i32 s7, 0x7f
	v_cmp_ne_u32_e32 vcc, s7, v25
	v_mov_b32_e32 v24, 0x7f80
	s_and_saveexec_b64 s[10:11], vcc
	s_cbranch_execz .LBB896_583
; %bb.582:
	v_and_b32_e32 v24, 7, v10
	v_ffbh_u32_e32 v26, v24
	v_min_u32_e32 v30, 32, v26
	v_subrev_u32_e32 v26, 28, v30
	v_lshlrev_b64 v[26:27], v26, v[10:11]
	v_lshrrev_b32_e32 v29, 3, v25
	v_sub_u32_e32 v10, 29, v30
	v_and_b32_e32 v26, 7, v26
	v_cmp_gt_u32_e32 vcc, 8, v25
	v_mov_b32_e32 v25, 24
	v_cndmask_b32_e32 v10, v29, v10, vcc
	v_cndmask_b32_e32 v24, v24, v26, vcc
	v_lshlrev_b32_sdwa v25, v25, v13 dst_sel:DWORD dst_unused:UNUSED_PAD src0_sel:DWORD src1_sel:WORD_1
	v_bfrev_b32_e32 v26, 60
	v_lshlrev_b32_e32 v24, 20, v24
	v_and_b32_e32 v25, 0x80000000, v25
	v_lshl_add_u32 v10, v10, 23, v26
	v_or3_b32 v10, v25, v10, v24
	v_lshrrev_b32_e32 v24, 16, v10
.LBB896_583:
	s_or_b64 exec, exec, s[10:11]
.LBB896_584:
	s_or_b64 exec, exec, s[8:9]
.LBB896_585:
	s_or_b64 exec, exec, s[2:3]
	s_mov_b32 s2, 0xffffff
	v_cmp_lt_u32_e32 vcc, s2, v13
	s_and_saveexec_b64 s[2:3], vcc
	s_cbranch_execz .LBB896_591
; %bb.586:
	v_lshrrev_b32_e32 v10, 24, v13
	s_movk_i32 s7, 0x80
	v_cmp_ne_u32_e32 vcc, s7, v10
	v_mov_b32_e32 v23, 0xffff8000
	s_and_saveexec_b64 s[8:9], vcc
	s_cbranch_execz .LBB896_590
; %bb.587:
	v_bfe_u32 v13, v13, 24, 7
	s_movk_i32 s7, 0x7f
	v_cmp_ne_u32_e32 vcc, s7, v13
	v_mov_b32_e32 v23, 0x7f80
	s_and_saveexec_b64 s[10:11], vcc
	s_cbranch_execz .LBB896_589
; %bb.588:
	v_and_b32_e32 v23, 7, v10
	v_ffbh_u32_e32 v26, v23
	v_min_u32_e32 v29, 32, v26
	v_subrev_u32_e32 v26, 28, v29
	v_lshlrev_b64 v[26:27], v26, v[10:11]
	v_lshrrev_b32_e32 v25, 3, v13
	v_sub_u32_e32 v27, 29, v29
	v_and_b32_e32 v26, 7, v26
	v_cmp_gt_u32_e32 vcc, 8, v13
	v_cndmask_b32_e32 v13, v25, v27, vcc
	v_cndmask_b32_e32 v23, v23, v26, vcc
	v_lshlrev_b32_e32 v10, 24, v10
	v_bfrev_b32_e32 v25, 60
	v_lshlrev_b32_e32 v23, 20, v23
	v_and_b32_e32 v10, 0x80000000, v10
	v_lshl_add_u32 v13, v13, 23, v25
	v_or3_b32 v10, v10, v13, v23
	v_lshrrev_b32_e32 v23, 16, v10
.LBB896_589:
	s_or_b64 exec, exec, s[10:11]
.LBB896_590:
	s_or_b64 exec, exec, s[8:9]
.LBB896_591:
	s_or_b64 exec, exec, s[2:3]
	s_mov_b32 s2, 0x5040100
	v_perm_b32 v19, v19, v20, s2
	v_perm_b32 v18, v11, v18, s2
	ds_read_b128 v[30:33], v22 offset:2064
	v_perm_b32 v11, v23, v24, s2
	v_perm_b32 v10, v12, v21, s2
	s_waitcnt lgkmcnt(0)
	v_mfma_f32_16x16x16bf16_1k v[34:37], v[18:19], v[30:31], v[14:17]
	s_nop 6
	v_mov_b32_e32 v15, 0
	s_waitcnt vmcnt(1)
	v_cmp_ne_u16_sdwa s[8:9], v6, v15 src0_sel:BYTE_0 src1_sel:DWORD
	v_mfma_f32_16x16x16bf16_1k v[10:13], v[10:11], v[32:33], v[34:37]
	v_mov_b32_e32 v16, 0
	s_and_saveexec_b64 s[2:3], s[8:9]
	s_cbranch_execz .LBB896_597
; %bb.592:
	s_movk_i32 s7, 0x80
	v_cmp_ne_u16_sdwa s[10:11], v6, s7 src0_sel:BYTE_0 src1_sel:DWORD
	v_mov_b32_e32 v16, 0xffff8000
	s_and_saveexec_b64 s[8:9], s[10:11]
	s_cbranch_execz .LBB896_596
; %bb.593:
	s_movk_i32 s7, 0x7f
	v_and_b32_e32 v14, 0x7f, v6
	v_cmp_ne_u32_e32 vcc, s7, v14
	v_mov_b32_e32 v16, 0x7f80
	s_and_saveexec_b64 s[10:11], vcc
	s_cbranch_execz .LBB896_595
; %bb.594:
	v_and_b32_e32 v18, 7, v6
	v_ffbh_u32_e32 v16, v18
	v_min_u32_e32 v20, 32, v16
	v_subrev_u32_e32 v16, 28, v20
	v_lshlrev_b64 v[16:17], v16, v[6:7]
	v_lshrrev_b32_e32 v19, 3, v14
	v_sub_u32_e32 v17, 29, v20
	v_and_b32_e32 v16, 7, v16
	v_cmp_gt_u32_e32 vcc, 8, v14
	v_cndmask_b32_e32 v14, v19, v17, vcc
	v_cndmask_b32_e32 v16, v18, v16, vcc
	v_lshlrev_b32_e32 v17, 24, v6
	v_bfrev_b32_e32 v18, 60
	v_lshlrev_b32_e32 v16, 20, v16
	v_and_b32_e32 v17, 0x80000000, v17
	v_lshl_add_u32 v14, v14, 23, v18
	v_or3_b32 v14, v17, v14, v16
	v_lshrrev_b32_e32 v16, 16, v14
.LBB896_595:
	s_or_b64 exec, exec, s[10:11]
.LBB896_596:
	s_or_b64 exec, exec, s[8:9]
.LBB896_597:
	s_or_b64 exec, exec, s[2:3]
	v_lshrrev_b16_e32 v14, 8, v6
	v_cmp_ne_u16_e32 vcc, 0, v14
	s_and_saveexec_b64 s[2:3], vcc
	s_cbranch_execz .LBB896_603
; %bb.598:
	s_movk_i32 s7, 0x80
	v_cmp_ne_u16_e32 vcc, s7, v14
	v_mov_b32_e32 v15, 0xffff8000
	s_and_saveexec_b64 s[8:9], vcc
	s_cbranch_execz .LBB896_602
; %bb.599:
	s_movk_i32 s7, 0x7f
	v_and_b32_e32 v17, 0x7f, v14
	v_cmp_ne_u32_e32 vcc, s7, v17
	v_mov_b32_e32 v15, 0x7f80
	s_and_saveexec_b64 s[10:11], vcc
	s_cbranch_execz .LBB896_601
; %bb.600:
	v_and_b32_e32 v18, 7, v14
	v_ffbh_u32_e32 v15, v18
	v_min_u32_e32 v20, 32, v15
	v_subrev_u32_e32 v15, 28, v20
	v_lshlrev_b64 v[14:15], v15, v[14:15]
	v_lshrrev_b32_e32 v19, 3, v17
	v_sub_u32_e32 v15, 29, v20
	v_and_b32_e32 v14, 7, v14
	v_cmp_gt_u32_e32 vcc, 8, v17
	v_cndmask_b32_e32 v15, v19, v15, vcc
	v_cndmask_b32_e32 v14, v18, v14, vcc
	v_lshlrev_b32_e32 v17, 16, v6
	v_bfrev_b32_e32 v18, 60
	v_lshlrev_b32_e32 v14, 20, v14
	v_and_b32_e32 v17, 0x80000000, v17
	v_lshl_add_u32 v15, v15, 23, v18
	v_or3_b32 v14, v17, v15, v14
	v_lshrrev_b32_e32 v15, 16, v14
.LBB896_601:
	s_or_b64 exec, exec, s[10:11]
.LBB896_602:
	s_or_b64 exec, exec, s[8:9]
.LBB896_603:
	s_or_b64 exec, exec, s[2:3]
	s_movk_i32 s2, 0xff
	v_and_b32_sdwa v19, v6, s2 dst_sel:DWORD dst_unused:UNUSED_PAD src0_sel:WORD_1 src1_sel:DWORD
	v_lshrrev_b32_e32 v14, 16, v6
	v_cmp_ne_u16_e32 vcc, 0, v19
	v_mov_b32_e32 v17, 0
	v_mov_b32_e32 v18, 0
	s_and_saveexec_b64 s[2:3], vcc
	s_cbranch_execz .LBB896_609
; %bb.604:
	s_movk_i32 s7, 0x80
	v_cmp_ne_u16_e32 vcc, s7, v19
	v_mov_b32_e32 v18, 0xffff8000
	s_and_saveexec_b64 s[8:9], vcc
	s_cbranch_execz .LBB896_608
; %bb.605:
	v_bfe_u32 v19, v6, 16, 7
	s_movk_i32 s7, 0x7f
	v_cmp_ne_u32_e32 vcc, s7, v19
	v_mov_b32_e32 v18, 0x7f80
	s_and_saveexec_b64 s[10:11], vcc
	s_cbranch_execz .LBB896_607
; %bb.606:
	v_and_b32_e32 v18, 7, v14
	v_ffbh_u32_e32 v20, v18
	v_min_u32_e32 v24, 32, v20
	v_subrev_u32_e32 v20, 28, v24
	v_lshlrev_b64 v[20:21], v20, v[14:15]
	v_lshrrev_b32_e32 v23, 3, v19
	v_sub_u32_e32 v14, 29, v24
	v_and_b32_e32 v20, 7, v20
	v_cmp_gt_u32_e32 vcc, 8, v19
	v_mov_b32_e32 v19, 24
	v_cndmask_b32_e32 v14, v23, v14, vcc
	v_cndmask_b32_e32 v18, v18, v20, vcc
	v_lshlrev_b32_sdwa v19, v19, v6 dst_sel:DWORD dst_unused:UNUSED_PAD src0_sel:DWORD src1_sel:WORD_1
	v_bfrev_b32_e32 v20, 60
	v_lshlrev_b32_e32 v18, 20, v18
	v_and_b32_e32 v19, 0x80000000, v19
	v_lshl_add_u32 v14, v14, 23, v20
	v_or3_b32 v14, v19, v14, v18
	v_lshrrev_b32_e32 v18, 16, v14
.LBB896_607:
	s_or_b64 exec, exec, s[10:11]
.LBB896_608:
	s_or_b64 exec, exec, s[8:9]
.LBB896_609:
	s_or_b64 exec, exec, s[2:3]
	s_mov_b32 s2, 0xffffff
	v_cmp_lt_u32_e32 vcc, s2, v6
	s_and_saveexec_b64 s[2:3], vcc
	s_cbranch_execz .LBB896_615
; %bb.610:
	v_lshrrev_b32_e32 v14, 24, v6
	s_movk_i32 s7, 0x80
	v_cmp_ne_u32_e32 vcc, s7, v14
	v_mov_b32_e32 v17, 0xffff8000
	s_and_saveexec_b64 s[8:9], vcc
	s_cbranch_execz .LBB896_614
; %bb.611:
	v_bfe_u32 v6, v6, 24, 7
	s_movk_i32 s7, 0x7f
	v_cmp_ne_u32_e32 vcc, s7, v6
	v_mov_b32_e32 v17, 0x7f80
	s_and_saveexec_b64 s[10:11], vcc
	s_cbranch_execz .LBB896_613
; %bb.612:
	v_and_b32_e32 v17, 7, v14
	v_ffbh_u32_e32 v20, v17
	v_min_u32_e32 v23, 32, v20
	v_subrev_u32_e32 v20, 28, v23
	v_lshlrev_b64 v[20:21], v20, v[14:15]
	v_lshrrev_b32_e32 v19, 3, v6
	v_sub_u32_e32 v21, 29, v23
	v_and_b32_e32 v20, 7, v20
	v_cmp_gt_u32_e32 vcc, 8, v6
	v_cndmask_b32_e32 v6, v19, v21, vcc
	v_cndmask_b32_e32 v17, v17, v20, vcc
	v_lshlrev_b32_e32 v14, 24, v14
	v_bfrev_b32_e32 v19, 60
	v_lshlrev_b32_e32 v17, 20, v17
	v_and_b32_e32 v14, 0x80000000, v14
	v_lshl_add_u32 v6, v6, 23, v19
	v_or3_b32 v6, v14, v6, v17
	v_lshrrev_b32_e32 v17, 16, v6
.LBB896_613:
	s_or_b64 exec, exec, s[10:11]
.LBB896_614:
	s_or_b64 exec, exec, s[8:9]
.LBB896_615:
	s_or_b64 exec, exec, s[2:3]
	v_mov_b32_e32 v14, 0
	v_cmp_ne_u16_sdwa s[8:9], v7, v14 src0_sel:BYTE_0 src1_sel:DWORD
	v_mov_b32_e32 v19, 0
	s_and_saveexec_b64 s[2:3], s[8:9]
	s_cbranch_execz .LBB896_621
; %bb.616:
	s_movk_i32 s7, 0x80
	v_cmp_ne_u16_sdwa s[10:11], v7, s7 src0_sel:BYTE_0 src1_sel:DWORD
	v_mov_b32_e32 v19, 0xffff8000
	s_and_saveexec_b64 s[8:9], s[10:11]
	s_cbranch_execz .LBB896_620
; %bb.617:
	s_movk_i32 s7, 0x7f
	v_and_b32_e32 v6, 0x7f, v7
	v_cmp_ne_u32_e32 vcc, s7, v6
	v_mov_b32_e32 v19, 0x7f80
	s_and_saveexec_b64 s[10:11], vcc
	s_cbranch_execz .LBB896_619
; %bb.618:
	v_and_b32_e32 v19, 7, v7
	v_ffbh_u32_e32 v21, v19
	v_min_u32_e32 v24, 32, v21
	v_mov_b32_e32 v20, v7
	v_subrev_u32_e32 v21, 28, v24
	v_lshlrev_b64 v[20:21], v21, v[20:21]
	v_lshrrev_b32_e32 v23, 3, v6
	v_sub_u32_e32 v21, 29, v24
	v_and_b32_e32 v20, 7, v20
	v_cmp_gt_u32_e32 vcc, 8, v6
	v_cndmask_b32_e32 v6, v23, v21, vcc
	v_cndmask_b32_e32 v19, v19, v20, vcc
	v_lshlrev_b32_e32 v20, 24, v7
	v_bfrev_b32_e32 v21, 60
	v_lshlrev_b32_e32 v19, 20, v19
	v_and_b32_e32 v20, 0x80000000, v20
	v_lshl_add_u32 v6, v6, 23, v21
	v_or3_b32 v6, v20, v6, v19
	v_lshrrev_b32_e32 v19, 16, v6
.LBB896_619:
	s_or_b64 exec, exec, s[10:11]
.LBB896_620:
	s_or_b64 exec, exec, s[8:9]
.LBB896_621:
	s_or_b64 exec, exec, s[2:3]
	v_lshrrev_b16_e32 v6, 8, v7
	v_cmp_ne_u16_e32 vcc, 0, v6
	s_and_saveexec_b64 s[2:3], vcc
	s_cbranch_execz .LBB896_627
; %bb.622:
	s_movk_i32 s7, 0x80
	v_cmp_ne_u16_e32 vcc, s7, v6
	v_mov_b32_e32 v14, 0xffff8000
	s_and_saveexec_b64 s[8:9], vcc
	s_cbranch_execz .LBB896_626
; %bb.623:
	s_movk_i32 s7, 0x7f
	v_and_b32_e32 v20, 0x7f, v6
	v_cmp_ne_u32_e32 vcc, s7, v20
	v_mov_b32_e32 v14, 0x7f80
	s_and_saveexec_b64 s[10:11], vcc
	s_cbranch_execz .LBB896_625
; %bb.624:
	v_and_b32_e32 v14, 7, v6
	v_ffbh_u32_e32 v23, v14
	v_min_u32_e32 v23, 32, v23
	v_subrev_u32_e32 v24, 28, v23
	v_lshlrev_b64 v[24:25], v24, v[6:7]
	v_lshrrev_b32_e32 v21, 3, v20
	v_sub_u32_e32 v6, 29, v23
	v_and_b32_e32 v23, 7, v24
	v_cmp_gt_u32_e32 vcc, 8, v20
	v_cndmask_b32_e32 v6, v21, v6, vcc
	v_cndmask_b32_e32 v14, v14, v23, vcc
	v_lshlrev_b32_e32 v20, 16, v7
	v_bfrev_b32_e32 v21, 60
	v_lshlrev_b32_e32 v14, 20, v14
	v_and_b32_e32 v20, 0x80000000, v20
	v_lshl_add_u32 v6, v6, 23, v21
	v_or3_b32 v6, v20, v6, v14
	v_lshrrev_b32_e32 v14, 16, v6
.LBB896_625:
	s_or_b64 exec, exec, s[10:11]
.LBB896_626:
	s_or_b64 exec, exec, s[8:9]
.LBB896_627:
	s_or_b64 exec, exec, s[2:3]
	s_movk_i32 s2, 0xff
	v_and_b32_sdwa v23, v7, s2 dst_sel:DWORD dst_unused:UNUSED_PAD src0_sel:WORD_1 src1_sel:DWORD
	v_lshrrev_b32_e32 v6, 16, v7
	v_cmp_ne_u16_e32 vcc, 0, v23
	v_mov_b32_e32 v20, 0
	v_mov_b32_e32 v21, 0
	s_and_saveexec_b64 s[2:3], vcc
	s_cbranch_execz .LBB896_633
; %bb.628:
	s_movk_i32 s7, 0x80
	v_cmp_ne_u16_e32 vcc, s7, v23
	v_mov_b32_e32 v21, 0xffff8000
	s_and_saveexec_b64 s[8:9], vcc
	s_cbranch_execz .LBB896_632
; %bb.629:
	v_bfe_u32 v23, v7, 16, 7
	s_movk_i32 s7, 0x7f
	v_cmp_ne_u32_e32 vcc, s7, v23
	v_mov_b32_e32 v21, 0x7f80
	s_and_saveexec_b64 s[10:11], vcc
	s_cbranch_execz .LBB896_631
; %bb.630:
	v_and_b32_e32 v21, 7, v6
	v_ffbh_u32_e32 v24, v21
	v_min_u32_e32 v27, 32, v24
	v_subrev_u32_e32 v24, 28, v27
	v_lshlrev_b64 v[24:25], v24, v[6:7]
	v_lshrrev_b32_e32 v26, 3, v23
	v_sub_u32_e32 v6, 29, v27
	v_and_b32_e32 v24, 7, v24
	v_cmp_gt_u32_e32 vcc, 8, v23
	v_mov_b32_e32 v23, 24
	v_cndmask_b32_e32 v6, v26, v6, vcc
	v_cndmask_b32_e32 v21, v21, v24, vcc
	v_lshlrev_b32_sdwa v23, v23, v7 dst_sel:DWORD dst_unused:UNUSED_PAD src0_sel:DWORD src1_sel:WORD_1
	v_bfrev_b32_e32 v24, 60
	v_lshlrev_b32_e32 v21, 20, v21
	v_and_b32_e32 v23, 0x80000000, v23
	v_lshl_add_u32 v6, v6, 23, v24
	v_or3_b32 v6, v23, v6, v21
	v_lshrrev_b32_e32 v21, 16, v6
.LBB896_631:
	s_or_b64 exec, exec, s[10:11]
.LBB896_632:
	s_or_b64 exec, exec, s[8:9]
.LBB896_633:
	s_or_b64 exec, exec, s[2:3]
	s_mov_b32 s2, 0xffffff
	v_cmp_lt_u32_e32 vcc, s2, v7
	s_and_saveexec_b64 s[2:3], vcc
	s_cbranch_execz .LBB896_639
; %bb.634:
	v_lshrrev_b32_e32 v6, 24, v7
	s_movk_i32 s7, 0x80
	v_cmp_ne_u32_e32 vcc, s7, v6
	v_mov_b32_e32 v20, 0xffff8000
	s_and_saveexec_b64 s[8:9], vcc
	s_cbranch_execz .LBB896_638
; %bb.635:
	v_bfe_u32 v7, v7, 24, 7
	s_movk_i32 s7, 0x7f
	v_cmp_ne_u32_e32 vcc, s7, v7
	v_mov_b32_e32 v20, 0x7f80
	s_and_saveexec_b64 s[10:11], vcc
	s_cbranch_execz .LBB896_637
; %bb.636:
	v_and_b32_e32 v20, 7, v6
	v_ffbh_u32_e32 v24, v20
	v_min_u32_e32 v26, 32, v24
	v_subrev_u32_e32 v24, 28, v26
	v_lshlrev_b64 v[24:25], v24, v[6:7]
	v_lshrrev_b32_e32 v23, 3, v7
	v_sub_u32_e32 v25, 29, v26
	v_and_b32_e32 v24, 7, v24
	v_cmp_gt_u32_e32 vcc, 8, v7
	v_cndmask_b32_e32 v7, v23, v25, vcc
	v_cndmask_b32_e32 v20, v20, v24, vcc
	v_lshlrev_b32_e32 v6, 24, v6
	v_bfrev_b32_e32 v23, 60
	v_lshlrev_b32_e32 v20, 20, v20
	v_and_b32_e32 v6, 0x80000000, v6
	v_lshl_add_u32 v7, v7, 23, v23
	v_or3_b32 v6, v6, v7, v20
	v_lshrrev_b32_e32 v20, 16, v6
.LBB896_637:
	s_or_b64 exec, exec, s[10:11]
.LBB896_638:
	s_or_b64 exec, exec, s[8:9]
.LBB896_639:
	s_or_b64 exec, exec, s[2:3]
	s_mov_b32 s2, 0x5040100
	v_perm_b32 v7, v17, v18, s2
	v_perm_b32 v6, v15, v16, s2
	ds_read_b128 v[24:27], v22 offset:4096
	v_perm_b32 v17, v20, v21, s2
	v_perm_b32 v16, v14, v19, s2
	s_waitcnt lgkmcnt(0)
	v_mfma_f32_16x16x16bf16_1k v[10:13], v[6:7], v[24:25], v[10:13]
	v_mov_b32_e32 v7, 0
	v_cmp_ne_u16_sdwa s[8:9], v8, v7 src0_sel:BYTE_0 src1_sel:DWORD
	v_mov_b32_e32 v14, 0
	v_mfma_f32_16x16x16bf16_1k v[10:13], v[16:17], v[26:27], v[10:13]
	s_and_saveexec_b64 s[2:3], s[8:9]
	s_cbranch_execz .LBB896_645
; %bb.640:
	s_movk_i32 s7, 0x80
	v_cmp_ne_u16_sdwa s[10:11], v8, s7 src0_sel:BYTE_0 src1_sel:DWORD
	v_mov_b32_e32 v14, 0xffff8000
	s_and_saveexec_b64 s[8:9], s[10:11]
	s_cbranch_execz .LBB896_644
; %bb.641:
	s_movk_i32 s7, 0x7f
	v_and_b32_e32 v6, 0x7f, v8
	v_cmp_ne_u32_e32 vcc, s7, v6
	v_mov_b32_e32 v14, 0x7f80
	s_and_saveexec_b64 s[10:11], vcc
	s_cbranch_execz .LBB896_643
; %bb.642:
	v_and_b32_e32 v16, 7, v8
	v_ffbh_u32_e32 v14, v16
	v_min_u32_e32 v18, 32, v14
	v_subrev_u32_e32 v14, 28, v18
	v_lshlrev_b64 v[14:15], v14, v[8:9]
	v_lshrrev_b32_e32 v17, 3, v6
	v_sub_u32_e32 v15, 29, v18
	v_and_b32_e32 v14, 7, v14
	v_cmp_gt_u32_e32 vcc, 8, v6
	v_cndmask_b32_e32 v6, v17, v15, vcc
	v_cndmask_b32_e32 v14, v16, v14, vcc
	v_lshlrev_b32_e32 v15, 24, v8
	v_bfrev_b32_e32 v16, 60
	v_lshlrev_b32_e32 v14, 20, v14
	v_and_b32_e32 v15, 0x80000000, v15
	v_lshl_add_u32 v6, v6, 23, v16
	v_or3_b32 v6, v15, v6, v14
	v_lshrrev_b32_e32 v14, 16, v6
.LBB896_643:
	s_or_b64 exec, exec, s[10:11]
.LBB896_644:
	s_or_b64 exec, exec, s[8:9]
.LBB896_645:
	s_or_b64 exec, exec, s[2:3]
	v_lshrrev_b16_e32 v6, 8, v8
	v_cmp_ne_u16_e32 vcc, 0, v6
	s_and_saveexec_b64 s[2:3], vcc
	s_cbranch_execz .LBB896_651
; %bb.646:
	s_movk_i32 s7, 0x80
	v_cmp_ne_u16_e32 vcc, s7, v6
	v_mov_b32_e32 v7, 0xffff8000
	s_and_saveexec_b64 s[8:9], vcc
	s_cbranch_execz .LBB896_650
; %bb.647:
	s_movk_i32 s7, 0x7f
	v_and_b32_e32 v15, 0x7f, v6
	v_cmp_ne_u32_e32 vcc, s7, v15
	v_mov_b32_e32 v7, 0x7f80
	s_and_saveexec_b64 s[10:11], vcc
	s_cbranch_execz .LBB896_649
; %bb.648:
	v_and_b32_e32 v16, 7, v6
	v_ffbh_u32_e32 v7, v16
	v_min_u32_e32 v18, 32, v7
	v_subrev_u32_e32 v7, 28, v18
	v_lshlrev_b64 v[6:7], v7, v[6:7]
	v_lshrrev_b32_e32 v17, 3, v15
	v_sub_u32_e32 v7, 29, v18
	v_and_b32_e32 v6, 7, v6
	v_cmp_gt_u32_e32 vcc, 8, v15
	v_cndmask_b32_e32 v7, v17, v7, vcc
	v_cndmask_b32_e32 v6, v16, v6, vcc
	v_lshlrev_b32_e32 v15, 16, v8
	v_bfrev_b32_e32 v16, 60
	v_lshlrev_b32_e32 v6, 20, v6
	v_and_b32_e32 v15, 0x80000000, v15
	v_lshl_add_u32 v7, v7, 23, v16
	v_or3_b32 v6, v15, v7, v6
	v_lshrrev_b32_e32 v7, 16, v6
.LBB896_649:
	s_or_b64 exec, exec, s[10:11]
.LBB896_650:
	s_or_b64 exec, exec, s[8:9]
.LBB896_651:
	s_or_b64 exec, exec, s[2:3]
	s_movk_i32 s2, 0xff
	v_and_b32_sdwa v17, v8, s2 dst_sel:DWORD dst_unused:UNUSED_PAD src0_sel:WORD_1 src1_sel:DWORD
	v_lshrrev_b32_e32 v6, 16, v8
	v_cmp_ne_u16_e32 vcc, 0, v17
	v_mov_b32_e32 v15, 0
	v_mov_b32_e32 v16, 0
	s_and_saveexec_b64 s[2:3], vcc
	s_cbranch_execz .LBB896_657
; %bb.652:
	s_movk_i32 s7, 0x80
	v_cmp_ne_u16_e32 vcc, s7, v17
	v_mov_b32_e32 v16, 0xffff8000
	s_and_saveexec_b64 s[8:9], vcc
	s_cbranch_execz .LBB896_656
; %bb.653:
	v_bfe_u32 v17, v8, 16, 7
	s_movk_i32 s7, 0x7f
	v_cmp_ne_u32_e32 vcc, s7, v17
	v_mov_b32_e32 v16, 0x7f80
	s_and_saveexec_b64 s[10:11], vcc
	s_cbranch_execz .LBB896_655
; %bb.654:
	v_and_b32_e32 v16, 7, v6
	v_ffbh_u32_e32 v18, v16
	v_min_u32_e32 v21, 32, v18
	v_subrev_u32_e32 v18, 28, v21
	v_lshlrev_b64 v[18:19], v18, v[6:7]
	v_lshrrev_b32_e32 v20, 3, v17
	v_sub_u32_e32 v6, 29, v21
	v_and_b32_e32 v18, 7, v18
	v_cmp_gt_u32_e32 vcc, 8, v17
	v_mov_b32_e32 v17, 24
	v_cndmask_b32_e32 v6, v20, v6, vcc
	v_cndmask_b32_e32 v16, v16, v18, vcc
	v_lshlrev_b32_sdwa v17, v17, v8 dst_sel:DWORD dst_unused:UNUSED_PAD src0_sel:DWORD src1_sel:WORD_1
	v_bfrev_b32_e32 v18, 60
	v_lshlrev_b32_e32 v16, 20, v16
	v_and_b32_e32 v17, 0x80000000, v17
	v_lshl_add_u32 v6, v6, 23, v18
	v_or3_b32 v6, v17, v6, v16
	v_lshrrev_b32_e32 v16, 16, v6
.LBB896_655:
	s_or_b64 exec, exec, s[10:11]
.LBB896_656:
	s_or_b64 exec, exec, s[8:9]
.LBB896_657:
	s_or_b64 exec, exec, s[2:3]
	s_mov_b32 s2, 0xffffff
	v_cmp_lt_u32_e32 vcc, s2, v8
	s_and_saveexec_b64 s[2:3], vcc
	s_cbranch_execz .LBB896_663
; %bb.658:
	v_lshrrev_b32_e32 v6, 24, v8
	s_movk_i32 s7, 0x80
	v_cmp_ne_u32_e32 vcc, s7, v6
	v_mov_b32_e32 v15, 0xffff8000
	s_and_saveexec_b64 s[8:9], vcc
	s_cbranch_execz .LBB896_662
; %bb.659:
	v_bfe_u32 v8, v8, 24, 7
	s_movk_i32 s7, 0x7f
	v_cmp_ne_u32_e32 vcc, s7, v8
	v_mov_b32_e32 v15, 0x7f80
	s_and_saveexec_b64 s[10:11], vcc
	s_cbranch_execz .LBB896_661
; %bb.660:
	v_and_b32_e32 v15, 7, v6
	v_ffbh_u32_e32 v18, v15
	v_min_u32_e32 v20, 32, v18
	v_subrev_u32_e32 v18, 28, v20
	v_lshlrev_b64 v[18:19], v18, v[6:7]
	v_lshrrev_b32_e32 v17, 3, v8
	v_sub_u32_e32 v19, 29, v20
	v_and_b32_e32 v18, 7, v18
	v_cmp_gt_u32_e32 vcc, 8, v8
	v_cndmask_b32_e32 v8, v17, v19, vcc
	v_cndmask_b32_e32 v15, v15, v18, vcc
	v_lshlrev_b32_e32 v6, 24, v6
	v_bfrev_b32_e32 v17, 60
	v_lshlrev_b32_e32 v15, 20, v15
	v_and_b32_e32 v6, 0x80000000, v6
	v_lshl_add_u32 v8, v8, 23, v17
	v_or3_b32 v6, v6, v8, v15
	v_lshrrev_b32_e32 v15, 16, v6
.LBB896_661:
	s_or_b64 exec, exec, s[10:11]
.LBB896_662:
	s_or_b64 exec, exec, s[8:9]
.LBB896_663:
	s_or_b64 exec, exec, s[2:3]
	v_mov_b32_e32 v8, 0
	v_cmp_ne_u16_sdwa s[8:9], v9, v8 src0_sel:BYTE_0 src1_sel:DWORD
	v_mov_b32_e32 v17, 0
	s_and_saveexec_b64 s[2:3], s[8:9]
	s_cbranch_execz .LBB896_669
; %bb.664:
	s_movk_i32 s7, 0x80
	v_cmp_ne_u16_sdwa s[10:11], v9, s7 src0_sel:BYTE_0 src1_sel:DWORD
	v_mov_b32_e32 v17, 0xffff8000
	s_and_saveexec_b64 s[8:9], s[10:11]
	s_cbranch_execz .LBB896_668
; %bb.665:
	s_movk_i32 s7, 0x7f
	v_and_b32_e32 v6, 0x7f, v9
	v_cmp_ne_u32_e32 vcc, s7, v6
	v_mov_b32_e32 v17, 0x7f80
	s_and_saveexec_b64 s[10:11], vcc
	s_cbranch_execz .LBB896_667
; %bb.666:
	v_and_b32_e32 v17, 7, v9
	v_ffbh_u32_e32 v19, v17
	v_min_u32_e32 v21, 32, v19
	v_mov_b32_e32 v18, v9
	v_subrev_u32_e32 v19, 28, v21
	v_lshlrev_b64 v[18:19], v19, v[18:19]
	v_lshrrev_b32_e32 v20, 3, v6
	v_sub_u32_e32 v19, 29, v21
	v_and_b32_e32 v18, 7, v18
	v_cmp_gt_u32_e32 vcc, 8, v6
	v_cndmask_b32_e32 v6, v20, v19, vcc
	v_cndmask_b32_e32 v17, v17, v18, vcc
	v_lshlrev_b32_e32 v18, 24, v9
	v_bfrev_b32_e32 v19, 60
	v_lshlrev_b32_e32 v17, 20, v17
	v_and_b32_e32 v18, 0x80000000, v18
	v_lshl_add_u32 v6, v6, 23, v19
	v_or3_b32 v6, v18, v6, v17
	v_lshrrev_b32_e32 v17, 16, v6
.LBB896_667:
	s_or_b64 exec, exec, s[10:11]
.LBB896_668:
	s_or_b64 exec, exec, s[8:9]
.LBB896_669:
	s_or_b64 exec, exec, s[2:3]
	v_lshrrev_b16_e32 v6, 8, v9
	v_cmp_ne_u16_e32 vcc, 0, v6
	s_and_saveexec_b64 s[2:3], vcc
	s_cbranch_execz .LBB896_675
; %bb.670:
	s_movk_i32 s7, 0x80
	v_cmp_ne_u16_e32 vcc, s7, v6
	v_mov_b32_e32 v8, 0xffff8000
	s_and_saveexec_b64 s[8:9], vcc
	s_cbranch_execz .LBB896_674
; %bb.671:
	s_movk_i32 s7, 0x7f
	v_and_b32_e32 v18, 0x7f, v6
	v_cmp_ne_u32_e32 vcc, s7, v18
	v_mov_b32_e32 v8, 0x7f80
	s_and_saveexec_b64 s[10:11], vcc
	s_cbranch_execz .LBB896_673
; %bb.672:
	v_and_b32_e32 v8, 7, v6
	v_ffbh_u32_e32 v20, v8
	v_min_u32_e32 v23, 32, v20
	v_subrev_u32_e32 v20, 28, v23
	v_lshlrev_b64 v[20:21], v20, v[6:7]
	v_lshrrev_b32_e32 v19, 3, v18
	v_sub_u32_e32 v6, 29, v23
	v_and_b32_e32 v20, 7, v20
	v_cmp_gt_u32_e32 vcc, 8, v18
	v_cndmask_b32_e32 v6, v19, v6, vcc
	v_cndmask_b32_e32 v8, v8, v20, vcc
	v_lshlrev_b32_e32 v18, 16, v9
	v_bfrev_b32_e32 v19, 60
	v_lshlrev_b32_e32 v8, 20, v8
	v_and_b32_e32 v18, 0x80000000, v18
	v_lshl_add_u32 v6, v6, 23, v19
	v_or3_b32 v6, v18, v6, v8
	v_lshrrev_b32_e32 v8, 16, v6
.LBB896_673:
	s_or_b64 exec, exec, s[10:11]
.LBB896_674:
	s_or_b64 exec, exec, s[8:9]
.LBB896_675:
	s_or_b64 exec, exec, s[2:3]
	s_movk_i32 s2, 0xff
	v_and_b32_sdwa v20, v9, s2 dst_sel:DWORD dst_unused:UNUSED_PAD src0_sel:WORD_1 src1_sel:DWORD
	v_lshrrev_b32_e32 v6, 16, v9
	v_cmp_ne_u16_e32 vcc, 0, v20
	v_mov_b32_e32 v18, 0
	v_mov_b32_e32 v19, 0
	s_and_saveexec_b64 s[2:3], vcc
	s_cbranch_execz .LBB896_681
; %bb.676:
	s_movk_i32 s7, 0x80
	v_cmp_ne_u16_e32 vcc, s7, v20
	v_mov_b32_e32 v19, 0xffff8000
	s_and_saveexec_b64 s[8:9], vcc
	s_cbranch_execz .LBB896_680
; %bb.677:
	v_bfe_u32 v20, v9, 16, 7
	s_movk_i32 s7, 0x7f
	v_cmp_ne_u32_e32 vcc, s7, v20
	v_mov_b32_e32 v19, 0x7f80
	s_and_saveexec_b64 s[10:11], vcc
	s_cbranch_execz .LBB896_679
; %bb.678:
	v_and_b32_e32 v19, 7, v6
	v_ffbh_u32_e32 v23, v19
	v_min_u32_e32 v23, 32, v23
	v_subrev_u32_e32 v24, 28, v23
	v_lshlrev_b64 v[24:25], v24, v[6:7]
	v_lshrrev_b32_e32 v21, 3, v20
	v_sub_u32_e32 v6, 29, v23
	v_and_b32_e32 v23, 7, v24
	v_cmp_gt_u32_e32 vcc, 8, v20
	v_mov_b32_e32 v20, 24
	v_cndmask_b32_e32 v6, v21, v6, vcc
	v_cndmask_b32_e32 v19, v19, v23, vcc
	v_lshlrev_b32_sdwa v20, v20, v9 dst_sel:DWORD dst_unused:UNUSED_PAD src0_sel:DWORD src1_sel:WORD_1
	v_bfrev_b32_e32 v21, 60
	v_lshlrev_b32_e32 v19, 20, v19
	v_and_b32_e32 v20, 0x80000000, v20
	v_lshl_add_u32 v6, v6, 23, v21
	v_or3_b32 v6, v20, v6, v19
	v_lshrrev_b32_e32 v19, 16, v6
.LBB896_679:
	s_or_b64 exec, exec, s[10:11]
.LBB896_680:
	s_or_b64 exec, exec, s[8:9]
.LBB896_681:
	s_or_b64 exec, exec, s[2:3]
	s_mov_b32 s2, 0xffffff
	v_cmp_lt_u32_e32 vcc, s2, v9
	s_and_saveexec_b64 s[2:3], vcc
	s_cbranch_execz .LBB896_687
; %bb.682:
	v_lshrrev_b32_e32 v6, 24, v9
	s_movk_i32 s7, 0x80
	v_cmp_ne_u32_e32 vcc, s7, v6
	v_mov_b32_e32 v18, 0xffff8000
	s_and_saveexec_b64 s[8:9], vcc
	s_cbranch_execz .LBB896_686
; %bb.683:
	v_bfe_u32 v9, v9, 24, 7
	s_movk_i32 s7, 0x7f
	v_cmp_ne_u32_e32 vcc, s7, v9
	v_mov_b32_e32 v18, 0x7f80
	s_and_saveexec_b64 s[10:11], vcc
	s_cbranch_execz .LBB896_685
; %bb.684:
	v_and_b32_e32 v18, 7, v6
	v_ffbh_u32_e32 v20, v18
	v_min_u32_e32 v24, 32, v20
	v_subrev_u32_e32 v20, 28, v24
	v_lshlrev_b64 v[20:21], v20, v[6:7]
	v_lshrrev_b32_e32 v23, 3, v9
	v_sub_u32_e32 v21, 29, v24
	v_and_b32_e32 v20, 7, v20
	v_cmp_gt_u32_e32 vcc, 8, v9
	v_cndmask_b32_e32 v9, v23, v21, vcc
	v_cndmask_b32_e32 v18, v18, v20, vcc
	v_lshlrev_b32_e32 v6, 24, v6
	v_bfrev_b32_e32 v20, 60
	v_lshlrev_b32_e32 v18, 20, v18
	v_and_b32_e32 v6, 0x80000000, v6
	v_lshl_add_u32 v9, v9, 23, v20
	v_or3_b32 v6, v6, v9, v18
	v_lshrrev_b32_e32 v18, 16, v6
.LBB896_685:
	s_or_b64 exec, exec, s[10:11]
.LBB896_686:
	s_or_b64 exec, exec, s[8:9]
.LBB896_687:
	s_or_b64 exec, exec, s[2:3]
	s_mov_b32 s2, 0x5040100
	v_perm_b32 v15, v15, v16, s2
	v_perm_b32 v14, v7, v14, s2
	ds_read_b128 v[24:27], v22 offset:4112
	v_perm_b32 v7, v18, v19, s2
	v_perm_b32 v6, v8, v17, s2
	s_waitcnt lgkmcnt(0)
	v_mfma_f32_16x16x16bf16_1k v[30:33], v[14:15], v[24:25], v[10:13]
	s_nop 6
	v_mov_b32_e32 v11, 0
	s_waitcnt vmcnt(0)
	v_cmp_ne_u16_sdwa s[8:9], v2, v11 src0_sel:BYTE_0 src1_sel:DWORD
	v_mfma_f32_16x16x16bf16_1k v[6:9], v[6:7], v[26:27], v[30:33]
	v_mov_b32_e32 v12, 0
	s_and_saveexec_b64 s[2:3], s[8:9]
	s_cbranch_execz .LBB896_693
; %bb.688:
	s_movk_i32 s7, 0x80
	v_cmp_ne_u16_sdwa s[10:11], v2, s7 src0_sel:BYTE_0 src1_sel:DWORD
	v_mov_b32_e32 v12, 0xffff8000
	s_and_saveexec_b64 s[8:9], s[10:11]
	s_cbranch_execz .LBB896_692
; %bb.689:
	s_movk_i32 s7, 0x7f
	v_and_b32_e32 v10, 0x7f, v2
	v_cmp_ne_u32_e32 vcc, s7, v10
	v_mov_b32_e32 v12, 0x7f80
	s_and_saveexec_b64 s[10:11], vcc
	s_cbranch_execz .LBB896_691
; %bb.690:
	v_and_b32_e32 v14, 7, v2
	v_ffbh_u32_e32 v12, v14
	v_min_u32_e32 v16, 32, v12
	v_subrev_u32_e32 v12, 28, v16
	v_lshlrev_b64 v[12:13], v12, v[2:3]
	v_lshrrev_b32_e32 v15, 3, v10
	v_sub_u32_e32 v13, 29, v16
	v_and_b32_e32 v12, 7, v12
	v_cmp_gt_u32_e32 vcc, 8, v10
	v_cndmask_b32_e32 v10, v15, v13, vcc
	v_cndmask_b32_e32 v12, v14, v12, vcc
	v_lshlrev_b32_e32 v13, 24, v2
	v_bfrev_b32_e32 v14, 60
	v_lshlrev_b32_e32 v12, 20, v12
	v_and_b32_e32 v13, 0x80000000, v13
	v_lshl_add_u32 v10, v10, 23, v14
	v_or3_b32 v10, v13, v10, v12
	v_lshrrev_b32_e32 v12, 16, v10
.LBB896_691:
	s_or_b64 exec, exec, s[10:11]
.LBB896_692:
	s_or_b64 exec, exec, s[8:9]
.LBB896_693:
	s_or_b64 exec, exec, s[2:3]
	v_lshrrev_b16_e32 v10, 8, v2
	v_cmp_ne_u16_e32 vcc, 0, v10
	s_and_saveexec_b64 s[2:3], vcc
	s_cbranch_execz .LBB896_699
; %bb.694:
	s_movk_i32 s7, 0x80
	v_cmp_ne_u16_e32 vcc, s7, v10
	v_mov_b32_e32 v11, 0xffff8000
	s_and_saveexec_b64 s[8:9], vcc
	s_cbranch_execz .LBB896_698
; %bb.695:
	s_movk_i32 s7, 0x7f
	v_and_b32_e32 v13, 0x7f, v10
	v_cmp_ne_u32_e32 vcc, s7, v13
	v_mov_b32_e32 v11, 0x7f80
	s_and_saveexec_b64 s[10:11], vcc
	s_cbranch_execz .LBB896_697
; %bb.696:
	v_and_b32_e32 v14, 7, v10
	v_ffbh_u32_e32 v11, v14
	v_min_u32_e32 v16, 32, v11
	v_subrev_u32_e32 v11, 28, v16
	v_lshlrev_b64 v[10:11], v11, v[10:11]
	v_lshrrev_b32_e32 v15, 3, v13
	v_sub_u32_e32 v11, 29, v16
	v_and_b32_e32 v10, 7, v10
	v_cmp_gt_u32_e32 vcc, 8, v13
	v_cndmask_b32_e32 v11, v15, v11, vcc
	v_cndmask_b32_e32 v10, v14, v10, vcc
	v_lshlrev_b32_e32 v13, 16, v2
	v_bfrev_b32_e32 v14, 60
	v_lshlrev_b32_e32 v10, 20, v10
	v_and_b32_e32 v13, 0x80000000, v13
	v_lshl_add_u32 v11, v11, 23, v14
	v_or3_b32 v10, v13, v11, v10
	v_lshrrev_b32_e32 v11, 16, v10
.LBB896_697:
	s_or_b64 exec, exec, s[10:11]
.LBB896_698:
	s_or_b64 exec, exec, s[8:9]
.LBB896_699:
	s_or_b64 exec, exec, s[2:3]
	s_movk_i32 s2, 0xff
	v_and_b32_sdwa v15, v2, s2 dst_sel:DWORD dst_unused:UNUSED_PAD src0_sel:WORD_1 src1_sel:DWORD
	v_lshrrev_b32_e32 v10, 16, v2
	v_cmp_ne_u16_e32 vcc, 0, v15
	v_mov_b32_e32 v13, 0
	v_mov_b32_e32 v14, 0
	s_and_saveexec_b64 s[2:3], vcc
	s_cbranch_execz .LBB896_705
; %bb.700:
	s_movk_i32 s7, 0x80
	v_cmp_ne_u16_e32 vcc, s7, v15
	v_mov_b32_e32 v14, 0xffff8000
	s_and_saveexec_b64 s[8:9], vcc
	s_cbranch_execz .LBB896_704
; %bb.701:
	v_bfe_u32 v15, v2, 16, 7
	s_movk_i32 s7, 0x7f
	v_cmp_ne_u32_e32 vcc, s7, v15
	v_mov_b32_e32 v14, 0x7f80
	s_and_saveexec_b64 s[10:11], vcc
	s_cbranch_execz .LBB896_703
; %bb.702:
	v_and_b32_e32 v14, 7, v10
	v_ffbh_u32_e32 v16, v14
	v_min_u32_e32 v19, 32, v16
	v_subrev_u32_e32 v16, 28, v19
	v_lshlrev_b64 v[16:17], v16, v[10:11]
	v_lshrrev_b32_e32 v18, 3, v15
	v_sub_u32_e32 v10, 29, v19
	v_and_b32_e32 v16, 7, v16
	v_cmp_gt_u32_e32 vcc, 8, v15
	v_mov_b32_e32 v15, 24
	v_cndmask_b32_e32 v10, v18, v10, vcc
	v_cndmask_b32_e32 v14, v14, v16, vcc
	v_lshlrev_b32_sdwa v15, v15, v2 dst_sel:DWORD dst_unused:UNUSED_PAD src0_sel:DWORD src1_sel:WORD_1
	v_bfrev_b32_e32 v16, 60
	v_lshlrev_b32_e32 v14, 20, v14
	v_and_b32_e32 v15, 0x80000000, v15
	v_lshl_add_u32 v10, v10, 23, v16
	v_or3_b32 v10, v15, v10, v14
	v_lshrrev_b32_e32 v14, 16, v10
.LBB896_703:
	s_or_b64 exec, exec, s[10:11]
.LBB896_704:
	s_or_b64 exec, exec, s[8:9]
.LBB896_705:
	s_or_b64 exec, exec, s[2:3]
	s_mov_b32 s2, 0xffffff
	v_cmp_lt_u32_e32 vcc, s2, v2
	s_and_saveexec_b64 s[2:3], vcc
	s_cbranch_execz .LBB896_711
; %bb.706:
	v_lshrrev_b32_e32 v10, 24, v2
	s_movk_i32 s7, 0x80
	v_cmp_ne_u32_e32 vcc, s7, v10
	v_mov_b32_e32 v13, 0xffff8000
	s_and_saveexec_b64 s[8:9], vcc
	s_cbranch_execz .LBB896_710
; %bb.707:
	v_bfe_u32 v2, v2, 24, 7
	s_movk_i32 s7, 0x7f
	v_cmp_ne_u32_e32 vcc, s7, v2
	v_mov_b32_e32 v13, 0x7f80
	s_and_saveexec_b64 s[10:11], vcc
	s_cbranch_execz .LBB896_709
; %bb.708:
	v_and_b32_e32 v13, 7, v10
	v_ffbh_u32_e32 v16, v13
	v_min_u32_e32 v18, 32, v16
	v_subrev_u32_e32 v16, 28, v18
	v_lshlrev_b64 v[16:17], v16, v[10:11]
	v_lshrrev_b32_e32 v15, 3, v2
	v_sub_u32_e32 v17, 29, v18
	v_and_b32_e32 v16, 7, v16
	v_cmp_gt_u32_e32 vcc, 8, v2
	v_cndmask_b32_e32 v2, v15, v17, vcc
	v_cndmask_b32_e32 v13, v13, v16, vcc
	v_lshlrev_b32_e32 v10, 24, v10
	v_bfrev_b32_e32 v15, 60
	v_lshlrev_b32_e32 v13, 20, v13
	v_and_b32_e32 v10, 0x80000000, v10
	v_lshl_add_u32 v2, v2, 23, v15
	v_or3_b32 v2, v10, v2, v13
	v_lshrrev_b32_e32 v13, 16, v2
.LBB896_709:
	s_or_b64 exec, exec, s[10:11]
.LBB896_710:
	s_or_b64 exec, exec, s[8:9]
.LBB896_711:
	s_or_b64 exec, exec, s[2:3]
	v_mov_b32_e32 v10, 0
	v_cmp_ne_u16_sdwa s[8:9], v3, v10 src0_sel:BYTE_0 src1_sel:DWORD
	v_mov_b32_e32 v15, 0
	s_and_saveexec_b64 s[2:3], s[8:9]
	s_cbranch_execz .LBB896_717
; %bb.712:
	s_movk_i32 s7, 0x80
	v_cmp_ne_u16_sdwa s[10:11], v3, s7 src0_sel:BYTE_0 src1_sel:DWORD
	v_mov_b32_e32 v15, 0xffff8000
	s_and_saveexec_b64 s[8:9], s[10:11]
	s_cbranch_execz .LBB896_716
; %bb.713:
	s_movk_i32 s7, 0x7f
	v_and_b32_e32 v2, 0x7f, v3
	v_cmp_ne_u32_e32 vcc, s7, v2
	v_mov_b32_e32 v15, 0x7f80
	s_and_saveexec_b64 s[10:11], vcc
	s_cbranch_execz .LBB896_715
; %bb.714:
	v_and_b32_e32 v15, 7, v3
	v_ffbh_u32_e32 v17, v15
	v_min_u32_e32 v19, 32, v17
	v_mov_b32_e32 v16, v3
	v_subrev_u32_e32 v17, 28, v19
	v_lshlrev_b64 v[16:17], v17, v[16:17]
	v_lshrrev_b32_e32 v18, 3, v2
	v_sub_u32_e32 v17, 29, v19
	v_and_b32_e32 v16, 7, v16
	v_cmp_gt_u32_e32 vcc, 8, v2
	v_cndmask_b32_e32 v2, v18, v17, vcc
	v_cndmask_b32_e32 v15, v15, v16, vcc
	v_lshlrev_b32_e32 v16, 24, v3
	v_bfrev_b32_e32 v17, 60
	v_lshlrev_b32_e32 v15, 20, v15
	v_and_b32_e32 v16, 0x80000000, v16
	v_lshl_add_u32 v2, v2, 23, v17
	v_or3_b32 v2, v16, v2, v15
	v_lshrrev_b32_e32 v15, 16, v2
.LBB896_715:
	s_or_b64 exec, exec, s[10:11]
.LBB896_716:
	s_or_b64 exec, exec, s[8:9]
.LBB896_717:
	s_or_b64 exec, exec, s[2:3]
	v_lshrrev_b16_e32 v2, 8, v3
	v_cmp_ne_u16_e32 vcc, 0, v2
	s_and_saveexec_b64 s[2:3], vcc
	s_cbranch_execz .LBB896_723
; %bb.718:
	s_movk_i32 s7, 0x80
	v_cmp_ne_u16_e32 vcc, s7, v2
	v_mov_b32_e32 v10, 0xffff8000
	s_and_saveexec_b64 s[8:9], vcc
	s_cbranch_execz .LBB896_722
; %bb.719:
	s_movk_i32 s7, 0x7f
	v_and_b32_e32 v16, 0x7f, v2
	v_cmp_ne_u32_e32 vcc, s7, v16
	v_mov_b32_e32 v10, 0x7f80
	s_and_saveexec_b64 s[10:11], vcc
	s_cbranch_execz .LBB896_721
; %bb.720:
	v_and_b32_e32 v10, 7, v2
	v_ffbh_u32_e32 v18, v10
	v_min_u32_e32 v20, 32, v18
	v_subrev_u32_e32 v18, 28, v20
	v_lshlrev_b64 v[18:19], v18, v[2:3]
	v_lshrrev_b32_e32 v17, 3, v16
	v_sub_u32_e32 v2, 29, v20
	v_and_b32_e32 v18, 7, v18
	v_cmp_gt_u32_e32 vcc, 8, v16
	v_cndmask_b32_e32 v2, v17, v2, vcc
	v_cndmask_b32_e32 v10, v10, v18, vcc
	v_lshlrev_b32_e32 v16, 16, v3
	v_bfrev_b32_e32 v17, 60
	v_lshlrev_b32_e32 v10, 20, v10
	v_and_b32_e32 v16, 0x80000000, v16
	v_lshl_add_u32 v2, v2, 23, v17
	v_or3_b32 v2, v16, v2, v10
	v_lshrrev_b32_e32 v10, 16, v2
.LBB896_721:
	s_or_b64 exec, exec, s[10:11]
.LBB896_722:
	s_or_b64 exec, exec, s[8:9]
.LBB896_723:
	s_or_b64 exec, exec, s[2:3]
	s_movk_i32 s2, 0xff
	v_and_b32_sdwa v18, v3, s2 dst_sel:DWORD dst_unused:UNUSED_PAD src0_sel:WORD_1 src1_sel:DWORD
	v_lshrrev_b32_e32 v2, 16, v3
	v_cmp_ne_u16_e32 vcc, 0, v18
	v_mov_b32_e32 v16, 0
	v_mov_b32_e32 v17, 0
	s_and_saveexec_b64 s[2:3], vcc
	s_cbranch_execz .LBB896_729
; %bb.724:
	s_movk_i32 s7, 0x80
	v_cmp_ne_u16_e32 vcc, s7, v18
	v_mov_b32_e32 v17, 0xffff8000
	s_and_saveexec_b64 s[8:9], vcc
	s_cbranch_execz .LBB896_728
; %bb.725:
	v_bfe_u32 v18, v3, 16, 7
	s_movk_i32 s7, 0x7f
	v_cmp_ne_u32_e32 vcc, s7, v18
	v_mov_b32_e32 v17, 0x7f80
	s_and_saveexec_b64 s[10:11], vcc
	s_cbranch_execz .LBB896_727
; %bb.726:
	v_and_b32_e32 v17, 7, v2
	v_ffbh_u32_e32 v20, v17
	v_min_u32_e32 v23, 32, v20
	v_subrev_u32_e32 v20, 28, v23
	v_lshlrev_b64 v[20:21], v20, v[2:3]
	v_lshrrev_b32_e32 v19, 3, v18
	v_sub_u32_e32 v2, 29, v23
	v_and_b32_e32 v20, 7, v20
	v_cmp_gt_u32_e32 vcc, 8, v18
	v_mov_b32_e32 v18, 24
	v_cndmask_b32_e32 v2, v19, v2, vcc
	v_cndmask_b32_e32 v17, v17, v20, vcc
	v_lshlrev_b32_sdwa v18, v18, v3 dst_sel:DWORD dst_unused:UNUSED_PAD src0_sel:DWORD src1_sel:WORD_1
	v_bfrev_b32_e32 v19, 60
	v_lshlrev_b32_e32 v17, 20, v17
	v_and_b32_e32 v18, 0x80000000, v18
	v_lshl_add_u32 v2, v2, 23, v19
	v_or3_b32 v2, v18, v2, v17
	v_lshrrev_b32_e32 v17, 16, v2
.LBB896_727:
	s_or_b64 exec, exec, s[10:11]
.LBB896_728:
	s_or_b64 exec, exec, s[8:9]
.LBB896_729:
	s_or_b64 exec, exec, s[2:3]
	s_mov_b32 s2, 0xffffff
	v_cmp_lt_u32_e32 vcc, s2, v3
	s_and_saveexec_b64 s[2:3], vcc
	s_cbranch_execz .LBB896_735
; %bb.730:
	v_lshrrev_b32_e32 v2, 24, v3
	s_movk_i32 s7, 0x80
	v_cmp_ne_u32_e32 vcc, s7, v2
	v_mov_b32_e32 v16, 0xffff8000
	s_and_saveexec_b64 s[8:9], vcc
	s_cbranch_execz .LBB896_734
; %bb.731:
	v_bfe_u32 v3, v3, 24, 7
	s_movk_i32 s7, 0x7f
	v_cmp_ne_u32_e32 vcc, s7, v3
	v_mov_b32_e32 v16, 0x7f80
	s_and_saveexec_b64 s[10:11], vcc
	s_cbranch_execz .LBB896_733
; %bb.732:
	v_and_b32_e32 v16, 7, v2
	v_ffbh_u32_e32 v18, v16
	v_min_u32_e32 v21, 32, v18
	v_subrev_u32_e32 v18, 28, v21
	v_lshlrev_b64 v[18:19], v18, v[2:3]
	v_lshrrev_b32_e32 v20, 3, v3
	v_sub_u32_e32 v19, 29, v21
	v_and_b32_e32 v18, 7, v18
	v_cmp_gt_u32_e32 vcc, 8, v3
	v_cndmask_b32_e32 v3, v20, v19, vcc
	v_cndmask_b32_e32 v16, v16, v18, vcc
	v_lshlrev_b32_e32 v2, 24, v2
	v_bfrev_b32_e32 v18, 60
	v_lshlrev_b32_e32 v16, 20, v16
	v_and_b32_e32 v2, 0x80000000, v2
	v_lshl_add_u32 v3, v3, 23, v18
	v_or3_b32 v2, v2, v3, v16
	v_lshrrev_b32_e32 v16, 16, v2
.LBB896_733:
	s_or_b64 exec, exec, s[10:11]
.LBB896_734:
	s_or_b64 exec, exec, s[8:9]
.LBB896_735:
	s_or_b64 exec, exec, s[2:3]
	s_mov_b32 s2, 0x5040100
	v_perm_b32 v3, v13, v14, s2
	v_perm_b32 v2, v11, v12, s2
	ds_read_b128 v[18:21], v22 offset:6144
	v_perm_b32 v13, v16, v17, s2
	v_perm_b32 v12, v10, v15, s2
	s_waitcnt lgkmcnt(0)
	v_mfma_f32_16x16x16bf16_1k v[6:9], v[2:3], v[18:19], v[6:9]
	v_mov_b32_e32 v3, 0
	v_cmp_ne_u16_sdwa s[8:9], v4, v3 src0_sel:BYTE_0 src1_sel:DWORD
	v_mov_b32_e32 v10, 0
	v_mfma_f32_16x16x16bf16_1k v[6:9], v[12:13], v[20:21], v[6:9]
	s_and_saveexec_b64 s[2:3], s[8:9]
	s_cbranch_execz .LBB896_741
; %bb.736:
	s_movk_i32 s7, 0x80
	v_cmp_ne_u16_sdwa s[10:11], v4, s7 src0_sel:BYTE_0 src1_sel:DWORD
	v_mov_b32_e32 v10, 0xffff8000
	s_and_saveexec_b64 s[8:9], s[10:11]
	s_cbranch_execz .LBB896_740
; %bb.737:
	s_movk_i32 s7, 0x7f
	v_and_b32_e32 v2, 0x7f, v4
	v_cmp_ne_u32_e32 vcc, s7, v2
	v_mov_b32_e32 v10, 0x7f80
	s_and_saveexec_b64 s[10:11], vcc
	s_cbranch_execz .LBB896_739
; %bb.738:
	v_and_b32_e32 v12, 7, v4
	v_ffbh_u32_e32 v10, v12
	v_min_u32_e32 v14, 32, v10
	v_subrev_u32_e32 v10, 28, v14
	v_lshlrev_b64 v[10:11], v10, v[4:5]
	v_lshrrev_b32_e32 v13, 3, v2
	v_sub_u32_e32 v11, 29, v14
	v_and_b32_e32 v10, 7, v10
	v_cmp_gt_u32_e32 vcc, 8, v2
	v_cndmask_b32_e32 v2, v13, v11, vcc
	v_cndmask_b32_e32 v10, v12, v10, vcc
	v_lshlrev_b32_e32 v11, 24, v4
	v_bfrev_b32_e32 v12, 60
	v_lshlrev_b32_e32 v10, 20, v10
	v_and_b32_e32 v11, 0x80000000, v11
	v_lshl_add_u32 v2, v2, 23, v12
	v_or3_b32 v2, v11, v2, v10
	v_lshrrev_b32_e32 v10, 16, v2
.LBB896_739:
	s_or_b64 exec, exec, s[10:11]
.LBB896_740:
	s_or_b64 exec, exec, s[8:9]
.LBB896_741:
	s_or_b64 exec, exec, s[2:3]
	v_lshrrev_b16_e32 v2, 8, v4
	v_cmp_ne_u16_e32 vcc, 0, v2
	s_and_saveexec_b64 s[2:3], vcc
	s_cbranch_execz .LBB896_747
; %bb.742:
	s_movk_i32 s7, 0x80
	v_cmp_ne_u16_e32 vcc, s7, v2
	v_mov_b32_e32 v3, 0xffff8000
	s_and_saveexec_b64 s[8:9], vcc
	s_cbranch_execz .LBB896_746
; %bb.743:
	s_movk_i32 s7, 0x7f
	v_and_b32_e32 v11, 0x7f, v2
	v_cmp_ne_u32_e32 vcc, s7, v11
	v_mov_b32_e32 v3, 0x7f80
	s_and_saveexec_b64 s[10:11], vcc
	s_cbranch_execz .LBB896_745
; %bb.744:
	v_and_b32_e32 v12, 7, v2
	v_ffbh_u32_e32 v3, v12
	v_min_u32_e32 v14, 32, v3
	v_subrev_u32_e32 v3, 28, v14
	v_lshlrev_b64 v[2:3], v3, v[2:3]
	v_lshrrev_b32_e32 v13, 3, v11
	v_sub_u32_e32 v3, 29, v14
	v_and_b32_e32 v2, 7, v2
	v_cmp_gt_u32_e32 vcc, 8, v11
	v_cndmask_b32_e32 v3, v13, v3, vcc
	v_cndmask_b32_e32 v2, v12, v2, vcc
	v_lshlrev_b32_e32 v11, 16, v4
	v_bfrev_b32_e32 v12, 60
	v_lshlrev_b32_e32 v2, 20, v2
	v_and_b32_e32 v11, 0x80000000, v11
	v_lshl_add_u32 v3, v3, 23, v12
	v_or3_b32 v2, v11, v3, v2
	v_lshrrev_b32_e32 v3, 16, v2
.LBB896_745:
	s_or_b64 exec, exec, s[10:11]
.LBB896_746:
	s_or_b64 exec, exec, s[8:9]
.LBB896_747:
	s_or_b64 exec, exec, s[2:3]
	s_movk_i32 s2, 0xff
	v_and_b32_sdwa v13, v4, s2 dst_sel:DWORD dst_unused:UNUSED_PAD src0_sel:WORD_1 src1_sel:DWORD
	v_lshrrev_b32_e32 v2, 16, v4
	v_cmp_ne_u16_e32 vcc, 0, v13
	v_mov_b32_e32 v11, 0
	v_mov_b32_e32 v12, 0
	s_and_saveexec_b64 s[2:3], vcc
	s_cbranch_execz .LBB896_753
; %bb.748:
	s_movk_i32 s7, 0x80
	v_cmp_ne_u16_e32 vcc, s7, v13
	v_mov_b32_e32 v12, 0xffff8000
	s_and_saveexec_b64 s[8:9], vcc
	s_cbranch_execz .LBB896_752
; %bb.749:
	v_bfe_u32 v13, v4, 16, 7
	s_movk_i32 s7, 0x7f
	v_cmp_ne_u32_e32 vcc, s7, v13
	v_mov_b32_e32 v12, 0x7f80
	s_and_saveexec_b64 s[10:11], vcc
	s_cbranch_execz .LBB896_751
; %bb.750:
	v_and_b32_e32 v12, 7, v2
	v_ffbh_u32_e32 v14, v12
	v_min_u32_e32 v17, 32, v14
	v_subrev_u32_e32 v14, 28, v17
	v_lshlrev_b64 v[14:15], v14, v[2:3]
	v_lshrrev_b32_e32 v16, 3, v13
	v_sub_u32_e32 v2, 29, v17
	v_and_b32_e32 v14, 7, v14
	v_cmp_gt_u32_e32 vcc, 8, v13
	v_mov_b32_e32 v13, 24
	v_cndmask_b32_e32 v2, v16, v2, vcc
	v_cndmask_b32_e32 v12, v12, v14, vcc
	v_lshlrev_b32_sdwa v13, v13, v4 dst_sel:DWORD dst_unused:UNUSED_PAD src0_sel:DWORD src1_sel:WORD_1
	v_bfrev_b32_e32 v14, 60
	v_lshlrev_b32_e32 v12, 20, v12
	v_and_b32_e32 v13, 0x80000000, v13
	v_lshl_add_u32 v2, v2, 23, v14
	v_or3_b32 v2, v13, v2, v12
	v_lshrrev_b32_e32 v12, 16, v2
.LBB896_751:
	s_or_b64 exec, exec, s[10:11]
.LBB896_752:
	s_or_b64 exec, exec, s[8:9]
.LBB896_753:
	s_or_b64 exec, exec, s[2:3]
	s_mov_b32 s2, 0xffffff
	v_cmp_lt_u32_e32 vcc, s2, v4
	s_and_saveexec_b64 s[2:3], vcc
	s_cbranch_execz .LBB896_759
; %bb.754:
	v_lshrrev_b32_e32 v2, 24, v4
	s_movk_i32 s7, 0x80
	v_cmp_ne_u32_e32 vcc, s7, v2
	v_mov_b32_e32 v11, 0xffff8000
	s_and_saveexec_b64 s[8:9], vcc
	s_cbranch_execz .LBB896_758
; %bb.755:
	v_bfe_u32 v4, v4, 24, 7
	s_movk_i32 s7, 0x7f
	v_cmp_ne_u32_e32 vcc, s7, v4
	v_mov_b32_e32 v11, 0x7f80
	s_and_saveexec_b64 s[10:11], vcc
	s_cbranch_execz .LBB896_757
; %bb.756:
	v_and_b32_e32 v11, 7, v2
	v_ffbh_u32_e32 v14, v11
	v_min_u32_e32 v16, 32, v14
	v_subrev_u32_e32 v14, 28, v16
	v_lshlrev_b64 v[14:15], v14, v[2:3]
	v_lshrrev_b32_e32 v13, 3, v4
	v_sub_u32_e32 v15, 29, v16
	v_and_b32_e32 v14, 7, v14
	v_cmp_gt_u32_e32 vcc, 8, v4
	v_cndmask_b32_e32 v4, v13, v15, vcc
	v_cndmask_b32_e32 v11, v11, v14, vcc
	v_lshlrev_b32_e32 v2, 24, v2
	v_bfrev_b32_e32 v13, 60
	v_lshlrev_b32_e32 v11, 20, v11
	v_and_b32_e32 v2, 0x80000000, v2
	v_lshl_add_u32 v4, v4, 23, v13
	v_or3_b32 v2, v2, v4, v11
	v_lshrrev_b32_e32 v11, 16, v2
.LBB896_757:
	s_or_b64 exec, exec, s[10:11]
.LBB896_758:
	s_or_b64 exec, exec, s[8:9]
.LBB896_759:
	s_or_b64 exec, exec, s[2:3]
	v_mov_b32_e32 v4, 0
	v_cmp_ne_u16_sdwa s[8:9], v5, v4 src0_sel:BYTE_0 src1_sel:DWORD
	v_mov_b32_e32 v13, 0
	s_and_saveexec_b64 s[2:3], s[8:9]
	s_cbranch_execz .LBB896_765
; %bb.760:
	s_movk_i32 s7, 0x80
	v_cmp_ne_u16_sdwa s[10:11], v5, s7 src0_sel:BYTE_0 src1_sel:DWORD
	v_mov_b32_e32 v13, 0xffff8000
	s_and_saveexec_b64 s[8:9], s[10:11]
	s_cbranch_execz .LBB896_764
; %bb.761:
	s_movk_i32 s7, 0x7f
	v_and_b32_e32 v2, 0x7f, v5
	v_cmp_ne_u32_e32 vcc, s7, v2
	v_mov_b32_e32 v13, 0x7f80
	s_and_saveexec_b64 s[10:11], vcc
	s_cbranch_execz .LBB896_763
; %bb.762:
	v_and_b32_e32 v13, 7, v5
	v_ffbh_u32_e32 v15, v13
	v_min_u32_e32 v17, 32, v15
	v_mov_b32_e32 v14, v5
	v_subrev_u32_e32 v15, 28, v17
	v_lshlrev_b64 v[14:15], v15, v[14:15]
	v_lshrrev_b32_e32 v16, 3, v2
	v_sub_u32_e32 v15, 29, v17
	v_and_b32_e32 v14, 7, v14
	v_cmp_gt_u32_e32 vcc, 8, v2
	v_cndmask_b32_e32 v2, v16, v15, vcc
	v_cndmask_b32_e32 v13, v13, v14, vcc
	v_lshlrev_b32_e32 v14, 24, v5
	v_bfrev_b32_e32 v15, 60
	v_lshlrev_b32_e32 v13, 20, v13
	v_and_b32_e32 v14, 0x80000000, v14
	v_lshl_add_u32 v2, v2, 23, v15
	v_or3_b32 v2, v14, v2, v13
	v_lshrrev_b32_e32 v13, 16, v2
.LBB896_763:
	s_or_b64 exec, exec, s[10:11]
.LBB896_764:
	s_or_b64 exec, exec, s[8:9]
.LBB896_765:
	s_or_b64 exec, exec, s[2:3]
	v_lshrrev_b16_e32 v2, 8, v5
	v_cmp_ne_u16_e32 vcc, 0, v2
	s_and_saveexec_b64 s[2:3], vcc
	s_cbranch_execz .LBB896_771
; %bb.766:
	s_movk_i32 s7, 0x80
	v_cmp_ne_u16_e32 vcc, s7, v2
	v_mov_b32_e32 v4, 0xffff8000
	s_and_saveexec_b64 s[8:9], vcc
	s_cbranch_execz .LBB896_770
; %bb.767:
	s_movk_i32 s7, 0x7f
	v_and_b32_e32 v14, 0x7f, v2
	v_cmp_ne_u32_e32 vcc, s7, v14
	v_mov_b32_e32 v4, 0x7f80
	s_and_saveexec_b64 s[10:11], vcc
	s_cbranch_execz .LBB896_769
; %bb.768:
	v_and_b32_e32 v4, 7, v2
	v_ffbh_u32_e32 v16, v4
	v_min_u32_e32 v18, 32, v16
	v_subrev_u32_e32 v16, 28, v18
	v_lshlrev_b64 v[16:17], v16, v[2:3]
	v_lshrrev_b32_e32 v15, 3, v14
	v_sub_u32_e32 v2, 29, v18
	v_and_b32_e32 v16, 7, v16
	v_cmp_gt_u32_e32 vcc, 8, v14
	v_cndmask_b32_e32 v2, v15, v2, vcc
	v_cndmask_b32_e32 v4, v4, v16, vcc
	v_lshlrev_b32_e32 v14, 16, v5
	v_bfrev_b32_e32 v15, 60
	v_lshlrev_b32_e32 v4, 20, v4
	v_and_b32_e32 v14, 0x80000000, v14
	v_lshl_add_u32 v2, v2, 23, v15
	v_or3_b32 v2, v14, v2, v4
	v_lshrrev_b32_e32 v4, 16, v2
.LBB896_769:
	s_or_b64 exec, exec, s[10:11]
.LBB896_770:
	s_or_b64 exec, exec, s[8:9]
.LBB896_771:
	s_or_b64 exec, exec, s[2:3]
	s_movk_i32 s2, 0xff
	v_and_b32_sdwa v16, v5, s2 dst_sel:DWORD dst_unused:UNUSED_PAD src0_sel:WORD_1 src1_sel:DWORD
	v_lshrrev_b32_e32 v2, 16, v5
	v_cmp_ne_u16_e32 vcc, 0, v16
	v_mov_b32_e32 v14, 0
	v_mov_b32_e32 v15, 0
	s_and_saveexec_b64 s[2:3], vcc
	s_cbranch_execz .LBB896_777
; %bb.772:
	s_movk_i32 s7, 0x80
	v_cmp_ne_u16_e32 vcc, s7, v16
	v_mov_b32_e32 v15, 0xffff8000
	s_and_saveexec_b64 s[8:9], vcc
	s_cbranch_execz .LBB896_776
; %bb.773:
	v_bfe_u32 v16, v5, 16, 7
	s_movk_i32 s7, 0x7f
	v_cmp_ne_u32_e32 vcc, s7, v16
	v_mov_b32_e32 v15, 0x7f80
	s_and_saveexec_b64 s[10:11], vcc
	s_cbranch_execz .LBB896_775
; %bb.774:
	v_and_b32_e32 v15, 7, v2
	v_ffbh_u32_e32 v18, v15
	v_min_u32_e32 v20, 32, v18
	v_subrev_u32_e32 v18, 28, v20
	v_lshlrev_b64 v[18:19], v18, v[2:3]
	v_lshrrev_b32_e32 v17, 3, v16
	v_sub_u32_e32 v2, 29, v20
	v_and_b32_e32 v18, 7, v18
	v_cmp_gt_u32_e32 vcc, 8, v16
	v_mov_b32_e32 v16, 24
	v_cndmask_b32_e32 v2, v17, v2, vcc
	v_cndmask_b32_e32 v15, v15, v18, vcc
	v_lshlrev_b32_sdwa v16, v16, v5 dst_sel:DWORD dst_unused:UNUSED_PAD src0_sel:DWORD src1_sel:WORD_1
	v_bfrev_b32_e32 v17, 60
	v_lshlrev_b32_e32 v15, 20, v15
	v_and_b32_e32 v16, 0x80000000, v16
	v_lshl_add_u32 v2, v2, 23, v17
	v_or3_b32 v2, v16, v2, v15
	v_lshrrev_b32_e32 v15, 16, v2
.LBB896_775:
	s_or_b64 exec, exec, s[10:11]
.LBB896_776:
	s_or_b64 exec, exec, s[8:9]
.LBB896_777:
	s_or_b64 exec, exec, s[2:3]
	s_mov_b32 s2, 0xffffff
	v_cmp_lt_u32_e32 vcc, s2, v5
	s_and_saveexec_b64 s[2:3], vcc
	s_cbranch_execz .LBB896_783
; %bb.778:
	v_lshrrev_b32_e32 v2, 24, v5
	s_movk_i32 s7, 0x80
	v_cmp_ne_u32_e32 vcc, s7, v2
	v_mov_b32_e32 v14, 0xffff8000
	s_and_saveexec_b64 s[8:9], vcc
	s_cbranch_execz .LBB896_782
; %bb.779:
	v_bfe_u32 v5, v5, 24, 7
	s_movk_i32 s7, 0x7f
	v_cmp_ne_u32_e32 vcc, s7, v5
	v_mov_b32_e32 v14, 0x7f80
	s_and_saveexec_b64 s[10:11], vcc
	s_cbranch_execz .LBB896_781
; %bb.780:
	v_and_b32_e32 v14, 7, v2
	v_ffbh_u32_e32 v16, v14
	v_min_u32_e32 v19, 32, v16
	v_subrev_u32_e32 v16, 28, v19
	v_lshlrev_b64 v[16:17], v16, v[2:3]
	v_lshrrev_b32_e32 v18, 3, v5
	v_sub_u32_e32 v17, 29, v19
	v_and_b32_e32 v16, 7, v16
	v_cmp_gt_u32_e32 vcc, 8, v5
	v_cndmask_b32_e32 v5, v18, v17, vcc
	v_cndmask_b32_e32 v14, v14, v16, vcc
	v_lshlrev_b32_e32 v2, 24, v2
	v_bfrev_b32_e32 v16, 60
	v_lshlrev_b32_e32 v14, 20, v14
	v_and_b32_e32 v2, 0x80000000, v2
	v_lshl_add_u32 v5, v5, 23, v16
	v_or3_b32 v2, v2, v5, v14
	v_lshrrev_b32_e32 v14, 16, v2
.LBB896_781:
	s_or_b64 exec, exec, s[10:11]
.LBB896_782:
	s_or_b64 exec, exec, s[8:9]
.LBB896_783:
	s_or_b64 exec, exec, s[2:3]
	s_mov_b32 s3, 0x5040100
	v_perm_b32 v11, v11, v12, s3
	ds_read_b128 v[16:19], v22 offset:6160
	v_perm_b32 v10, v3, v10, s3
	v_perm_b32 v3, v14, v15, s3
	;; [unrolled: 1-line block ×3, first 2 shown]
	s_waitcnt lgkmcnt(0)
	v_mfma_f32_16x16x16bf16_1k v[6:9], v[10:11], v[16:17], v[6:9]
	s_load_dword s2, s[42:43], 0x0
	s_mov_b32 s3, 0x7060302
	s_movk_i32 s7, 0x7fff
	v_cmp_gt_u32_e32 vcc, 64, v0
	s_waitcnt lgkmcnt(0)
	s_barrier
	v_mfma_f32_16x16x16bf16_1k v[2:5], v[2:3], v[18:19], v[6:9]
	s_nop 7
	s_nop 2
	v_pk_mul_f32 v[4:5], v[4:5], s[2:3] op_sel_hi:[1,0]
	v_pk_mul_f32 v[2:3], v[2:3], s[2:3] op_sel_hi:[1,0]
	v_bfe_u32 v6, v3, 16, 1
	v_bfe_u32 v7, v2, 16, 1
	v_bfe_u32 v8, v5, 16, 1
	v_bfe_u32 v9, v4, 16, 1
	v_add3_u32 v2, v2, v7, s7
	v_add3_u32 v3, v3, v6, s7
	;; [unrolled: 1-line block ×4, first 2 shown]
	v_perm_b32 v2, v3, v2, s3
	v_perm_b32 v3, v5, v4, s3
	v_cmp_ne_u32_e64 s[2:3], 3, v47
	s_and_b64 s[2:3], s[2:3], vcc
	s_and_b64 s[0:1], s[2:3], s[0:1]
	ds_write_b64 v28, v[2:3]
	s_waitcnt lgkmcnt(0)
	s_barrier
	s_and_saveexec_b64 s[2:3], s[0:1]
	s_cbranch_execz .LBB896_785
; %bb.784:
	s_load_dwordx2 s[0:1], s[4:5], 0x68
	s_mul_i32 s2, s12, s6
	s_lshl_b32 s4, s44, 6
	s_mul_hi_u32 s3, s2, s4
	s_mul_i32 s2, s2, s4
	s_lshl_b64 s[2:3], s[2:3], 1
	s_waitcnt lgkmcnt(0)
	s_add_u32 s2, s0, s2
	s_addc_u32 s3, s1, s3
	s_lshl_b32 s0, s24, 6
	s_mov_b32 s1, 0
	v_lshlrev_b32_e32 v0, 10, v0
	s_lshl_b64 s[0:1], s[0:1], 1
	v_and_b32_e32 v0, 0x1800, v0
	v_lshlrev_b32_e32 v2, 5, v47
	v_and_b32_e32 v3, 16, v48
	s_add_u32 s2, s2, s0
	v_or3_b32 v0, v0, v2, v3
	s_addc_u32 s3, s3, s1
	v_mad_u64_u32 v[6:7], s[0:1], s4, v46, 0
	ds_read_b128 v[2:5], v0
	v_lshlrev_b64 v[6:7], 1, v[6:7]
	v_mov_b32_e32 v0, s3
	v_add_co_u32_e32 v6, vcc, s2, v6
	v_addc_co_u32_e32 v7, vcc, v0, v7, vcc
	v_add_co_u32_e32 v0, vcc, v6, v1
	v_addc_co_u32_e32 v1, vcc, 0, v7, vcc
	s_waitcnt lgkmcnt(0)
	global_store_dwordx4 v[0:1], v[2:5], off
.LBB896_785:
	s_endpgm
	.section	.rodata,"a",@progbits
	.p2align	6, 0x0
	.amdhsa_kernel _Z39paged_attention_ll4mi_QKV_mfma16_kernelI14__hip_bfloat16hLN4vllm18Fp8KVCacheDataTypeE1ES0_Li32ELi64ELi256ELb0ELi3EL8MFMAType0EEvPKT_PKT0_S9_ifPKiSB_SB_iPKfiiiPfSE_PS4_PT2_iSD_SD_
		.amdhsa_group_segment_fixed_size 8192
		.amdhsa_private_segment_fixed_size 0
		.amdhsa_kernarg_size 400
		.amdhsa_user_sgpr_count 6
		.amdhsa_user_sgpr_private_segment_buffer 1
		.amdhsa_user_sgpr_dispatch_ptr 0
		.amdhsa_user_sgpr_queue_ptr 0
		.amdhsa_user_sgpr_kernarg_segment_ptr 1
		.amdhsa_user_sgpr_dispatch_id 0
		.amdhsa_user_sgpr_flat_scratch_init 0
		.amdhsa_user_sgpr_kernarg_preload_length 0
		.amdhsa_user_sgpr_kernarg_preload_offset 0
		.amdhsa_user_sgpr_private_segment_size 0
		.amdhsa_uses_dynamic_stack 0
		.amdhsa_system_sgpr_private_segment_wavefront_offset 0
		.amdhsa_system_sgpr_workgroup_id_x 1
		.amdhsa_system_sgpr_workgroup_id_y 1
		.amdhsa_system_sgpr_workgroup_id_z 1
		.amdhsa_system_sgpr_workgroup_info 0
		.amdhsa_system_vgpr_workitem_id 0
		.amdhsa_next_free_vgpr 63
		.amdhsa_next_free_sgpr 47
		.amdhsa_accum_offset 64
		.amdhsa_reserve_vcc 1
		.amdhsa_reserve_flat_scratch 0
		.amdhsa_float_round_mode_32 0
		.amdhsa_float_round_mode_16_64 0
		.amdhsa_float_denorm_mode_32 3
		.amdhsa_float_denorm_mode_16_64 3
		.amdhsa_dx10_clamp 1
		.amdhsa_ieee_mode 1
		.amdhsa_fp16_overflow 0
		.amdhsa_tg_split 0
		.amdhsa_exception_fp_ieee_invalid_op 0
		.amdhsa_exception_fp_denorm_src 0
		.amdhsa_exception_fp_ieee_div_zero 0
		.amdhsa_exception_fp_ieee_overflow 0
		.amdhsa_exception_fp_ieee_underflow 0
		.amdhsa_exception_fp_ieee_inexact 0
		.amdhsa_exception_int_div_zero 0
	.end_amdhsa_kernel
	.section	.text._Z39paged_attention_ll4mi_QKV_mfma16_kernelI14__hip_bfloat16hLN4vllm18Fp8KVCacheDataTypeE1ES0_Li32ELi64ELi256ELb0ELi3EL8MFMAType0EEvPKT_PKT0_S9_ifPKiSB_SB_iPKfiiiPfSE_PS4_PT2_iSD_SD_,"axG",@progbits,_Z39paged_attention_ll4mi_QKV_mfma16_kernelI14__hip_bfloat16hLN4vllm18Fp8KVCacheDataTypeE1ES0_Li32ELi64ELi256ELb0ELi3EL8MFMAType0EEvPKT_PKT0_S9_ifPKiSB_SB_iPKfiiiPfSE_PS4_PT2_iSD_SD_,comdat
.Lfunc_end896:
	.size	_Z39paged_attention_ll4mi_QKV_mfma16_kernelI14__hip_bfloat16hLN4vllm18Fp8KVCacheDataTypeE1ES0_Li32ELi64ELi256ELb0ELi3EL8MFMAType0EEvPKT_PKT0_S9_ifPKiSB_SB_iPKfiiiPfSE_PS4_PT2_iSD_SD_, .Lfunc_end896-_Z39paged_attention_ll4mi_QKV_mfma16_kernelI14__hip_bfloat16hLN4vllm18Fp8KVCacheDataTypeE1ES0_Li32ELi64ELi256ELb0ELi3EL8MFMAType0EEvPKT_PKT0_S9_ifPKiSB_SB_iPKfiiiPfSE_PS4_PT2_iSD_SD_
                                        ; -- End function
	.section	.AMDGPU.csdata,"",@progbits
; Kernel info:
; codeLenInByte = 28336
; NumSgprs: 51
; NumVgprs: 63
; NumAgprs: 0
; TotalNumVgprs: 63
; ScratchSize: 0
; MemoryBound: 0
; FloatMode: 240
; IeeeMode: 1
; LDSByteSize: 8192 bytes/workgroup (compile time only)
; SGPRBlocks: 6
; VGPRBlocks: 7
; NumSGPRsForWavesPerEU: 51
; NumVGPRsForWavesPerEU: 63
; AccumOffset: 64
; Occupancy: 8
; WaveLimiterHint : 1
; COMPUTE_PGM_RSRC2:SCRATCH_EN: 0
; COMPUTE_PGM_RSRC2:USER_SGPR: 6
; COMPUTE_PGM_RSRC2:TRAP_HANDLER: 0
; COMPUTE_PGM_RSRC2:TGID_X_EN: 1
; COMPUTE_PGM_RSRC2:TGID_Y_EN: 1
; COMPUTE_PGM_RSRC2:TGID_Z_EN: 1
; COMPUTE_PGM_RSRC2:TIDIG_COMP_CNT: 0
; COMPUTE_PGM_RSRC3_GFX90A:ACCUM_OFFSET: 15
; COMPUTE_PGM_RSRC3_GFX90A:TG_SPLIT: 0
	.section	.text._Z39paged_attention_ll4mi_QKV_mfma16_kernelI14__hip_bfloat16hLN4vllm18Fp8KVCacheDataTypeE1ES0_Li32ELi64ELi256ELb0ELi4EL8MFMAType0EEvPKT_PKT0_S9_ifPKiSB_SB_iPKfiiiPfSE_PS4_PT2_iSD_SD_,"axG",@progbits,_Z39paged_attention_ll4mi_QKV_mfma16_kernelI14__hip_bfloat16hLN4vllm18Fp8KVCacheDataTypeE1ES0_Li32ELi64ELi256ELb0ELi4EL8MFMAType0EEvPKT_PKT0_S9_ifPKiSB_SB_iPKfiiiPfSE_PS4_PT2_iSD_SD_,comdat
	.protected	_Z39paged_attention_ll4mi_QKV_mfma16_kernelI14__hip_bfloat16hLN4vllm18Fp8KVCacheDataTypeE1ES0_Li32ELi64ELi256ELb0ELi4EL8MFMAType0EEvPKT_PKT0_S9_ifPKiSB_SB_iPKfiiiPfSE_PS4_PT2_iSD_SD_ ; -- Begin function _Z39paged_attention_ll4mi_QKV_mfma16_kernelI14__hip_bfloat16hLN4vllm18Fp8KVCacheDataTypeE1ES0_Li32ELi64ELi256ELb0ELi4EL8MFMAType0EEvPKT_PKT0_S9_ifPKiSB_SB_iPKfiiiPfSE_PS4_PT2_iSD_SD_
	.globl	_Z39paged_attention_ll4mi_QKV_mfma16_kernelI14__hip_bfloat16hLN4vllm18Fp8KVCacheDataTypeE1ES0_Li32ELi64ELi256ELb0ELi4EL8MFMAType0EEvPKT_PKT0_S9_ifPKiSB_SB_iPKfiiiPfSE_PS4_PT2_iSD_SD_
	.p2align	8
	.type	_Z39paged_attention_ll4mi_QKV_mfma16_kernelI14__hip_bfloat16hLN4vllm18Fp8KVCacheDataTypeE1ES0_Li32ELi64ELi256ELb0ELi4EL8MFMAType0EEvPKT_PKT0_S9_ifPKiSB_SB_iPKfiiiPfSE_PS4_PT2_iSD_SD_,@function
_Z39paged_attention_ll4mi_QKV_mfma16_kernelI14__hip_bfloat16hLN4vllm18Fp8KVCacheDataTypeE1ES0_Li32ELi64ELi256ELb0ELi4EL8MFMAType0EEvPKT_PKT0_S9_ifPKiSB_SB_iPKfiiiPfSE_PS4_PT2_iSD_SD_: ; @_Z39paged_attention_ll4mi_QKV_mfma16_kernelI14__hip_bfloat16hLN4vllm18Fp8KVCacheDataTypeE1ES0_Li32ELi64ELi256ELb0ELi4EL8MFMAType0EEvPKT_PKT0_S9_ifPKiSB_SB_iPKfiiiPfSE_PS4_PT2_iSD_SD_
; %bb.0:
	s_load_dwordx2 s[0:1], s[4:5], 0x30
	s_mov_b32 s22, s7
	s_mov_b64 s[10:11], 0
	s_waitcnt lgkmcnt(0)
	s_cmp_lg_u64 s[0:1], 0
	s_cselect_b64 s[2:3], -1, 0
	s_and_b64 vcc, exec, s[2:3]
	s_cbranch_vccz .LBB897_7
; %bb.1:
	s_add_i32 s12, s6, 1
	s_mov_b32 s13, 0
	s_lshl_b64 s[14:15], s[12:13], 2
	s_add_u32 s14, s0, s14
	s_mov_b32 s7, s13
	s_addc_u32 s15, s1, s15
	s_lshl_b64 s[12:13], s[6:7], 2
	s_add_u32 s12, s0, s12
	s_addc_u32 s13, s1, s13
	s_load_dword s9, s[14:15], 0x0
	s_load_dword s16, s[12:13], 0x0
	s_waitcnt lgkmcnt(0)
	s_sub_i32 s9, s9, s16
	s_cmp_eq_u32 s9, 1
	s_cselect_b64 s[12:13], -1, 0
	s_andn2_b64 vcc, exec, s[10:11]
	s_cbranch_vccnz .LBB897_3
.LBB897_2:
	s_mov_b32 s7, 0
	s_mov_b64 s[12:13], -1
.LBB897_3:
	s_andn2_b64 vcc, exec, s[12:13]
	s_cbranch_vccnz .LBB897_785
; %bb.4:
	s_load_dwordx2 s[12:13], s[4:5], 0x28
	s_lshl_b64 s[10:11], s[6:7], 2
	s_waitcnt lgkmcnt(0)
	s_add_u32 s12, s12, s10
	s_addc_u32 s13, s13, s11
	s_load_dword s33, s[12:13], 0x0
	s_lshl_b32 s20, s22, 8
	s_waitcnt lgkmcnt(0)
	s_cmp_ge_i32 s20, s33
	s_cbranch_scc1 .LBB897_785
; %bb.5:
	s_add_i32 s14, s33, 31
	s_load_dwordx2 s[12:13], s[4:5], 0x20
	s_load_dword s9, s[4:5], 0x38
	s_ashr_i32 s15, s14, 31
	v_and_b32_e32 v1, 0xcf, v0
	s_lshr_b32 s15, s15, 27
	v_add_u32_e32 v1, s20, v1
	s_add_i32 s14, s14, s15
	v_ashrrev_i32_e32 v2, 31, v1
	s_ashr_i32 s24, s14, 5
	v_lshrrev_b32_e32 v4, 27, v2
	s_add_i32 s24, s24, -1
	v_add_u32_e32 v2, v1, v4
	s_waitcnt lgkmcnt(0)
	s_mul_i32 s14, s6, s9
	s_mov_b32 s15, 0
	v_ashrrev_i32_e32 v2, 5, v2
	v_mov_b32_e32 v5, s24
	v_cmp_gt_i32_e32 vcc, s33, v1
	s_lshl_b64 s[14:15], s[14:15], 2
	v_cndmask_b32_e32 v2, v5, v2, vcc
	s_add_u32 s9, s12, s14
	v_ashrrev_i32_e32 v3, 31, v2
	s_addc_u32 s21, s13, s15
	v_lshlrev_b64 v[2:3], 2, v[2:3]
	v_mov_b32_e32 v7, s21
	v_add_co_u32_e32 v6, vcc, s9, v2
	v_or_b32_e32 v2, 16, v1
	v_addc_co_u32_e32 v7, vcc, v7, v3, vcc
	v_add_u32_e32 v3, v2, v4
	v_ashrrev_i32_e32 v3, 5, v3
	v_cmp_gt_i32_e32 vcc, s33, v2
	v_cndmask_b32_e32 v2, v5, v3, vcc
	v_ashrrev_i32_e32 v3, 31, v2
	v_lshlrev_b64 v[2:3], 2, v[2:3]
	v_mov_b32_e32 v9, s21
	v_add_co_u32_e32 v8, vcc, s9, v2
	v_or_b32_e32 v2, 32, v1
	v_addc_co_u32_e32 v9, vcc, v9, v3, vcc
	v_add_u32_e32 v3, v2, v4
	v_ashrrev_i32_e32 v3, 5, v3
	v_cmp_gt_i32_e32 vcc, s33, v2
	v_cndmask_b32_e32 v2, v5, v3, vcc
	v_ashrrev_i32_e32 v3, 31, v2
	;; [unrolled: 10-line block ×3, first 2 shown]
	v_lshlrev_b64 v[2:3], 2, v[2:3]
	v_mov_b32_e32 v1, s21
	v_add_co_u32_e32 v12, vcc, s9, v2
	v_addc_co_u32_e32 v13, vcc, v1, v3, vcc
	global_load_dword v5, v[6:7], off
	global_load_dword v4, v[8:9], off
	;; [unrolled: 1-line block ×4, first 2 shown]
	s_load_dwordx4 s[12:15], s[4:5], 0x8
	s_andn2_b64 vcc, exec, s[2:3]
	s_cbranch_vccnz .LBB897_8
; %bb.6:
	s_add_u32 s0, s0, s10
	s_addc_u32 s1, s1, s11
	s_load_dword s2, s[0:1], 0x0
	s_branch .LBB897_9
.LBB897_7:
	s_mov_b64 s[12:13], 0
	s_branch .LBB897_2
.LBB897_8:
	s_mov_b32 s2, s6
.LBB897_9:
	s_load_dwordx4 s[16:19], s[4:5], 0x48
	v_and_b32_e32 v52, 15, v0
	v_bfe_u32 v49, v0, 4, 2
	s_lshl_b32 s23, s8, 2
	v_lshlrev_b32_e32 v1, 3, v52
	v_cmp_gt_u32_e32 vcc, 64, v0
	v_cmp_gt_u32_e64 s[0:1], 8, v52
	v_lshrrev_b32_e32 v51, 6, v0
	v_or_b32_e32 v46, s23, v49
	s_and_b64 s[44:45], vcc, s[0:1]
	v_lshlrev_b32_e32 v1, 1, v1
	v_lshlrev_b32_e32 v47, 5, v49
	v_lshlrev_b32_e32 v48, 4, v0
	s_and_saveexec_b64 s[0:1], s[44:45]
	s_cbranch_execz .LBB897_11
; %bb.10:
	s_load_dwordx2 s[10:11], s[4:5], 0x0
	s_waitcnt lgkmcnt(0)
	s_ashr_i32 s3, s16, 31
	s_mul_hi_u32 s19, s2, s16
	s_mul_i32 s3, s2, s3
	s_add_i32 s3, s19, s3
	s_mul_i32 s2, s2, s16
	s_lshl_b64 s[2:3], s[2:3], 1
	v_lshlrev_b32_e32 v6, 6, v46
	s_add_u32 s2, s10, s2
	v_ashrrev_i32_e32 v7, 31, v6
	s_addc_u32 s3, s11, s3
	v_lshlrev_b64 v[6:7], 1, v[6:7]
	v_mov_b32_e32 v8, s3
	v_add_co_u32_e32 v6, vcc, s2, v6
	v_addc_co_u32_e32 v7, vcc, v8, v7, vcc
	v_add_co_u32_e32 v6, vcc, v6, v1
	v_addc_co_u32_e32 v7, vcc, 0, v7, vcc
	global_load_dwordx4 v[6:9], v[6:7], off
	v_lshlrev_b32_e32 v12, 8, v52
	v_lshl_or_b32 v10, v51, 7, v47
	v_and_b32_e32 v11, 16, v48
	v_and_b32_e32 v12, 0xe00, v12
	v_or3_b32 v10, v12, v10, v11
	s_waitcnt vmcnt(0)
	ds_write_b128 v10, v[6:9]
.LBB897_11:
	s_or_b64 exec, exec, s[0:1]
	s_waitcnt lgkmcnt(0)
	s_mul_i32 s8, s8, s18
	s_add_u32 s0, s12, s8
	s_addc_u32 s1, s13, 0
	v_and_b32_e32 v12, 48, v0
	s_ashr_i32 s2, s20, 31
	v_or_b32_e32 v13, s20, v12
	s_lshr_b32 s2, s2, 27
	v_add_u32_e32 v6, s2, v13
	v_ashrrev_i32_e32 v6, 5, v6
	v_mov_b32_e32 v14, s24
	v_cmp_gt_i32_e32 vcc, s33, v13
	v_cndmask_b32_e32 v6, v14, v6, vcc
	v_ashrrev_i32_e32 v7, 31, v6
	v_lshlrev_b64 v[6:7], 2, v[6:7]
	v_mov_b32_e32 v8, s21
	v_add_co_u32_e32 v6, vcc, s9, v6
	v_addc_co_u32_e32 v7, vcc, v8, v7, vcc
	v_or_b32_e32 v8, 64, v13
	v_add_u32_e32 v9, s2, v8
	v_ashrrev_i32_e32 v9, 5, v9
	v_cmp_gt_i32_e32 vcc, s33, v8
	v_cndmask_b32_e32 v8, v14, v9, vcc
	v_ashrrev_i32_e32 v9, 31, v8
	v_lshlrev_b64 v[8:9], 2, v[8:9]
	v_mov_b32_e32 v10, s21
	v_add_co_u32_e32 v8, vcc, s9, v8
	v_addc_co_u32_e32 v9, vcc, v10, v9, vcc
	v_or_b32_e32 v10, 0x80, v13
	v_add_u32_e32 v11, s2, v10
	v_ashrrev_i32_e32 v11, 5, v11
	v_cmp_gt_i32_e32 vcc, s33, v10
	v_cndmask_b32_e32 v10, v14, v11, vcc
	v_ashrrev_i32_e32 v11, 31, v10
	v_lshlrev_b64 v[10:11], 2, v[10:11]
	v_mov_b32_e32 v15, s21
	v_add_co_u32_e32 v10, vcc, s9, v10
	s_load_dwordx2 s[46:47], s[4:5], 0x94
	s_load_dwordx4 s[40:43], s[4:5], 0x80
	s_waitcnt lgkmcnt(0)
	s_barrier
	v_addc_co_u32_e32 v11, vcc, v15, v11, vcc
	global_load_dword v15, v[6:7], off
	global_load_dword v16, v[8:9], off
	;; [unrolled: 1-line block ×3, first 2 shown]
	v_or_b32_e32 v6, 0xc0, v13
	v_add_u32_e32 v7, s2, v6
	v_ashrrev_i32_e32 v7, 5, v7
	v_cmp_gt_i32_e32 vcc, s33, v6
	v_cndmask_b32_e32 v6, v14, v7, vcc
	v_ashrrev_i32_e32 v7, 31, v6
	v_lshlrev_b64 v[6:7], 2, v[6:7]
	v_mov_b32_e32 v8, s21
	v_add_co_u32_e32 v6, vcc, s9, v6
	v_addc_co_u32_e32 v7, vcc, v8, v7, vcc
	global_load_dword v20, v[6:7], off
	v_pk_mov_b32 v[6:7], s[0:1], s[0:1] op_sel:[0,1]
	s_waitcnt vmcnt(7)
	v_mad_i64_i32 v[8:9], s[0:1], v5, s17, v[6:7]
	v_lshlrev_b32_e32 v11, 4, v52
	v_add_co_u32_e32 v5, vcc, v8, v11
	v_lshlrev_b32_e32 v10, 5, v12
	v_addc_co_u32_e32 v9, vcc, 0, v9, vcc
	v_add_co_u32_e32 v8, vcc, v5, v10
	v_addc_co_u32_e32 v9, vcc, 0, v9, vcc
	s_waitcnt vmcnt(6)
	v_mad_i64_i32 v[4:5], s[0:1], v4, s17, v[6:7]
	v_or_b32_e32 v12, 0x100, v11
	v_add_co_u32_e32 v4, vcc, v4, v12
	v_addc_co_u32_e32 v5, vcc, 0, v5, vcc
	v_add_co_u32_e32 v4, vcc, v4, v10
	v_addc_co_u32_e32 v5, vcc, 0, v5, vcc
	global_load_dwordx4 v[30:33], v[8:9], off
	global_load_dwordx4 v[38:41], v[4:5], off
	s_waitcnt vmcnt(7)
	v_mad_i64_i32 v[4:5], s[0:1], v3, s17, v[6:7]
	v_add_co_u32_e32 v3, vcc, v4, v11
	v_addc_co_u32_e32 v5, vcc, 0, v5, vcc
	v_add_co_u32_e32 v4, vcc, v3, v10
	v_addc_co_u32_e32 v5, vcc, 0, v5, vcc
	s_waitcnt vmcnt(6)
	v_mad_i64_i32 v[2:3], s[0:1], v2, s17, v[6:7]
	v_add_co_u32_e32 v2, vcc, v2, v12
	v_addc_co_u32_e32 v3, vcc, 0, v3, vcc
	v_add_co_u32_e32 v2, vcc, v2, v10
	s_add_u32 s0, s14, s8
	v_addc_co_u32_e32 v3, vcc, 0, v3, vcc
	global_load_dwordx4 v[34:37], v[4:5], off
	global_load_dwordx4 v[22:25], v[2:3], off
	s_addc_u32 s1, s15, 0
	v_and_b32_e32 v2, 16, v0
	v_mov_b32_e32 v3, s1
	v_add_co_u32_e32 v2, vcc, s0, v2
	v_lshlrev_b32_e32 v50, 5, v52
	v_addc_co_u32_e32 v3, vcc, 0, v3, vcc
	v_lshl_or_b32 v4, v51, 9, v50
	v_add_co_u32_e32 v2, vcc, v2, v4
	v_addc_co_u32_e32 v3, vcc, 0, v3, vcc
	v_mov_b32_e32 v44, 0
	v_mov_b32_e32 v43, 0
	s_movk_i32 s2, 0x80
	s_waitcnt vmcnt(7)
	v_mad_i64_i32 v[4:5], s[0:1], v15, s17, v[2:3]
	s_waitcnt vmcnt(6)
	v_mad_i64_i32 v[6:7], s[0:1], v16, s17, v[2:3]
	;; [unrolled: 2-line block ×3, first 2 shown]
	global_load_dwordx4 v[14:17], v[4:5], off
	global_load_dwordx4 v[10:13], v[6:7], off
	s_waitcnt vmcnt(6)
	v_mad_i64_i32 v[20:21], s[0:1], v20, s17, v[2:3]
	global_load_dwordx4 v[6:9], v[18:19], off
	global_load_dwordx4 v[2:5], v[20:21], off
	v_and_b32_e32 v18, 3, v0
	v_lshlrev_b32_e32 v18, 5, v18
	v_lshl_or_b32 v18, v49, 9, v18
	ds_read_b128 v[26:29], v18
	ds_read_b128 v[18:21], v18 offset:16
	s_load_dword s10, s[40:41], 0x0
	s_waitcnt vmcnt(7)
	v_cmp_ne_u16_sdwa s[8:9], v30, v44 src0_sel:BYTE_0 src1_sel:DWORD
	s_and_saveexec_b64 s[0:1], s[8:9]
	s_cbranch_execz .LBB897_17
; %bb.12:
	v_cmp_ne_u16_sdwa s[8:9], v30, s2 src0_sel:BYTE_0 src1_sel:DWORD
	v_mov_b32_e32 v43, 0xffff8000
	s_and_saveexec_b64 s[2:3], s[8:9]
	s_cbranch_execz .LBB897_16
; %bb.13:
	s_movk_i32 s8, 0x7f
	v_and_b32_e32 v42, 0x7f, v30
	v_cmp_ne_u32_e32 vcc, s8, v42
	v_mov_b32_e32 v43, 0x7f80
	s_and_saveexec_b64 s[8:9], vcc
	s_cbranch_execz .LBB897_15
; %bb.14:
	v_and_b32_e32 v43, 7, v30
	v_ffbh_u32_e32 v53, v43
	v_min_u32_e32 v53, 32, v53
	v_subrev_u32_e32 v54, 28, v53
	v_lshlrev_b64 v[54:55], v54, v[30:31]
	v_lshrrev_b32_e32 v45, 3, v42
	v_sub_u32_e32 v53, 29, v53
	v_and_b32_e32 v54, 7, v54
	v_cmp_gt_u32_e32 vcc, 8, v42
	v_cndmask_b32_e32 v42, v45, v53, vcc
	v_cndmask_b32_e32 v43, v43, v54, vcc
	v_lshlrev_b32_e32 v45, 24, v30
	v_bfrev_b32_e32 v53, 60
	v_lshlrev_b32_e32 v43, 20, v43
	v_and_b32_e32 v45, 0x80000000, v45
	v_lshl_add_u32 v42, v42, 23, v53
	v_or3_b32 v42, v45, v42, v43
	v_lshrrev_b32_e32 v43, 16, v42
.LBB897_15:
	s_or_b64 exec, exec, s[8:9]
.LBB897_16:
	s_or_b64 exec, exec, s[2:3]
.LBB897_17:
	s_or_b64 exec, exec, s[0:1]
	v_lshrrev_b16_e32 v42, 8, v30
	v_cmp_ne_u16_e32 vcc, 0, v42
	s_and_saveexec_b64 s[0:1], vcc
	s_cbranch_execz .LBB897_23
; %bb.18:
	s_movk_i32 s2, 0x80
	v_cmp_ne_u16_e32 vcc, s2, v42
	v_mov_b32_e32 v44, 0xffff8000
	s_and_saveexec_b64 s[2:3], vcc
	s_cbranch_execz .LBB897_22
; %bb.19:
	s_movk_i32 s8, 0x7f
	v_and_b32_e32 v45, 0x7f, v42
	v_cmp_ne_u32_e32 vcc, s8, v45
	v_mov_b32_e32 v44, 0x7f80
	s_and_saveexec_b64 s[8:9], vcc
	s_cbranch_execz .LBB897_21
; %bb.20:
	v_and_b32_e32 v44, 7, v42
	v_ffbh_u32_e32 v54, v44
	v_min_u32_e32 v56, 32, v54
	v_subrev_u32_e32 v54, 28, v56
	v_lshlrev_b64 v[54:55], v54, v[42:43]
	v_lshrrev_b32_e32 v53, 3, v45
	v_sub_u32_e32 v42, 29, v56
	v_and_b32_e32 v54, 7, v54
	v_cmp_gt_u32_e32 vcc, 8, v45
	v_cndmask_b32_e32 v42, v53, v42, vcc
	v_cndmask_b32_e32 v44, v44, v54, vcc
	v_lshlrev_b32_e32 v45, 16, v30
	v_bfrev_b32_e32 v53, 60
	v_lshlrev_b32_e32 v44, 20, v44
	v_and_b32_e32 v45, 0x80000000, v45
	v_lshl_add_u32 v42, v42, 23, v53
	v_or3_b32 v42, v45, v42, v44
	v_lshrrev_b32_e32 v44, 16, v42
.LBB897_21:
	s_or_b64 exec, exec, s[8:9]
.LBB897_22:
	s_or_b64 exec, exec, s[2:3]
.LBB897_23:
	s_or_b64 exec, exec, s[0:1]
	s_movk_i32 s0, 0xff
	v_and_b32_sdwa v54, v30, s0 dst_sel:DWORD dst_unused:UNUSED_PAD src0_sel:WORD_1 src1_sel:DWORD
	v_lshrrev_b32_e32 v42, 16, v30
	v_cmp_ne_u16_e32 vcc, 0, v54
	v_mov_b32_e32 v45, 0
	v_mov_b32_e32 v53, 0
	s_and_saveexec_b64 s[0:1], vcc
	s_cbranch_execz .LBB897_29
; %bb.24:
	s_movk_i32 s2, 0x80
	v_cmp_ne_u16_e32 vcc, s2, v54
	v_mov_b32_e32 v53, 0xffff8000
	s_and_saveexec_b64 s[2:3], vcc
	s_cbranch_execz .LBB897_28
; %bb.25:
	v_bfe_u32 v54, v30, 16, 7
	s_movk_i32 s8, 0x7f
	v_cmp_ne_u32_e32 vcc, s8, v54
	v_mov_b32_e32 v53, 0x7f80
	s_and_saveexec_b64 s[8:9], vcc
	s_cbranch_execz .LBB897_27
; %bb.26:
	v_and_b32_e32 v53, 7, v42
	v_ffbh_u32_e32 v56, v53
	v_min_u32_e32 v58, 32, v56
	v_subrev_u32_e32 v56, 28, v58
	v_lshlrev_b64 v[56:57], v56, v[42:43]
	v_lshrrev_b32_e32 v55, 3, v54
	v_sub_u32_e32 v42, 29, v58
	v_and_b32_e32 v56, 7, v56
	v_cmp_gt_u32_e32 vcc, 8, v54
	v_mov_b32_e32 v54, 24
	v_cndmask_b32_e32 v42, v55, v42, vcc
	v_cndmask_b32_e32 v53, v53, v56, vcc
	v_lshlrev_b32_sdwa v54, v54, v30 dst_sel:DWORD dst_unused:UNUSED_PAD src0_sel:DWORD src1_sel:WORD_1
	v_bfrev_b32_e32 v55, 60
	v_lshlrev_b32_e32 v53, 20, v53
	v_and_b32_e32 v54, 0x80000000, v54
	v_lshl_add_u32 v42, v42, 23, v55
	v_or3_b32 v42, v54, v42, v53
	v_lshrrev_b32_e32 v53, 16, v42
.LBB897_27:
	s_or_b64 exec, exec, s[8:9]
.LBB897_28:
	s_or_b64 exec, exec, s[2:3]
.LBB897_29:
	s_or_b64 exec, exec, s[0:1]
	s_mov_b32 s0, 0xffffff
	v_cmp_lt_u32_e32 vcc, s0, v30
	s_and_saveexec_b64 s[0:1], vcc
	s_cbranch_execz .LBB897_35
; %bb.30:
	v_lshrrev_b32_e32 v42, 24, v30
	s_movk_i32 s2, 0x80
	v_cmp_ne_u32_e32 vcc, s2, v42
	v_mov_b32_e32 v45, 0xffff8000
	s_and_saveexec_b64 s[2:3], vcc
	s_cbranch_execz .LBB897_34
; %bb.31:
	v_bfe_u32 v30, v30, 24, 7
	s_movk_i32 s8, 0x7f
	v_cmp_ne_u32_e32 vcc, s8, v30
	v_mov_b32_e32 v45, 0x7f80
	s_and_saveexec_b64 s[8:9], vcc
	s_cbranch_execz .LBB897_33
; %bb.32:
	v_and_b32_e32 v45, 7, v42
	v_ffbh_u32_e32 v54, v45
	v_min_u32_e32 v57, 32, v54
	v_subrev_u32_e32 v54, 28, v57
	v_lshlrev_b64 v[54:55], v54, v[42:43]
	v_lshrrev_b32_e32 v56, 3, v30
	v_sub_u32_e32 v55, 29, v57
	v_and_b32_e32 v54, 7, v54
	v_cmp_gt_u32_e32 vcc, 8, v30
	v_cndmask_b32_e32 v30, v56, v55, vcc
	v_cndmask_b32_e32 v45, v45, v54, vcc
	v_lshlrev_b32_e32 v42, 24, v42
	v_bfrev_b32_e32 v54, 60
	v_lshlrev_b32_e32 v45, 20, v45
	v_and_b32_e32 v42, 0x80000000, v42
	v_lshl_add_u32 v30, v30, 23, v54
	v_or3_b32 v30, v42, v30, v45
	v_lshrrev_b32_e32 v45, 16, v30
.LBB897_33:
	s_or_b64 exec, exec, s[8:9]
.LBB897_34:
	s_or_b64 exec, exec, s[2:3]
.LBB897_35:
	s_or_b64 exec, exec, s[0:1]
	v_mov_b32_e32 v42, 0
	v_cmp_ne_u16_sdwa s[2:3], v31, v42 src0_sel:BYTE_0 src1_sel:DWORD
	v_mov_b32_e32 v54, 0
	s_and_saveexec_b64 s[0:1], s[2:3]
	s_cbranch_execz .LBB897_41
; %bb.36:
	s_movk_i32 s2, 0x80
	v_cmp_ne_u16_sdwa s[8:9], v31, s2 src0_sel:BYTE_0 src1_sel:DWORD
	v_mov_b32_e32 v54, 0xffff8000
	s_and_saveexec_b64 s[2:3], s[8:9]
	s_cbranch_execz .LBB897_40
; %bb.37:
	s_movk_i32 s8, 0x7f
	v_and_b32_e32 v30, 0x7f, v31
	v_cmp_ne_u32_e32 vcc, s8, v30
	v_mov_b32_e32 v54, 0x7f80
	s_and_saveexec_b64 s[8:9], vcc
	s_cbranch_execz .LBB897_39
; %bb.38:
	v_and_b32_e32 v56, 7, v31
	v_ffbh_u32_e32 v55, v56
	v_min_u32_e32 v58, 32, v55
	v_mov_b32_e32 v54, v31
	v_subrev_u32_e32 v55, 28, v58
	v_lshlrev_b64 v[54:55], v55, v[54:55]
	v_lshrrev_b32_e32 v57, 3, v30
	v_sub_u32_e32 v55, 29, v58
	v_and_b32_e32 v54, 7, v54
	v_cmp_gt_u32_e32 vcc, 8, v30
	v_cndmask_b32_e32 v30, v57, v55, vcc
	v_cndmask_b32_e32 v54, v56, v54, vcc
	v_lshlrev_b32_e32 v55, 24, v31
	v_bfrev_b32_e32 v56, 60
	v_lshlrev_b32_e32 v54, 20, v54
	v_and_b32_e32 v55, 0x80000000, v55
	v_lshl_add_u32 v30, v30, 23, v56
	v_or3_b32 v30, v55, v30, v54
	v_lshrrev_b32_e32 v54, 16, v30
.LBB897_39:
	s_or_b64 exec, exec, s[8:9]
.LBB897_40:
	s_or_b64 exec, exec, s[2:3]
.LBB897_41:
	s_or_b64 exec, exec, s[0:1]
	v_lshrrev_b16_e32 v30, 8, v31
	v_cmp_ne_u16_e32 vcc, 0, v30
	s_and_saveexec_b64 s[0:1], vcc
	s_cbranch_execz .LBB897_47
; %bb.42:
	s_movk_i32 s2, 0x80
	v_cmp_ne_u16_e32 vcc, s2, v30
	v_mov_b32_e32 v42, 0xffff8000
	s_and_saveexec_b64 s[2:3], vcc
	s_cbranch_execz .LBB897_46
; %bb.43:
	s_movk_i32 s8, 0x7f
	v_and_b32_e32 v55, 0x7f, v30
	v_cmp_ne_u32_e32 vcc, s8, v55
	v_mov_b32_e32 v42, 0x7f80
	s_and_saveexec_b64 s[8:9], vcc
	s_cbranch_execz .LBB897_45
; %bb.44:
	v_and_b32_e32 v42, 7, v30
	v_ffbh_u32_e32 v56, v42
	v_min_u32_e32 v59, 32, v56
	v_subrev_u32_e32 v56, 28, v59
	v_lshlrev_b64 v[56:57], v56, v[30:31]
	v_lshrrev_b32_e32 v58, 3, v55
	v_sub_u32_e32 v30, 29, v59
	v_and_b32_e32 v56, 7, v56
	v_cmp_gt_u32_e32 vcc, 8, v55
	v_cndmask_b32_e32 v30, v58, v30, vcc
	v_cndmask_b32_e32 v42, v42, v56, vcc
	v_lshlrev_b32_e32 v55, 16, v31
	v_bfrev_b32_e32 v56, 60
	v_lshlrev_b32_e32 v42, 20, v42
	v_and_b32_e32 v55, 0x80000000, v55
	v_lshl_add_u32 v30, v30, 23, v56
	v_or3_b32 v30, v55, v30, v42
	v_lshrrev_b32_e32 v42, 16, v30
.LBB897_45:
	s_or_b64 exec, exec, s[8:9]
.LBB897_46:
	s_or_b64 exec, exec, s[2:3]
.LBB897_47:
	s_or_b64 exec, exec, s[0:1]
	s_movk_i32 s0, 0xff
	v_and_b32_sdwa v57, v31, s0 dst_sel:DWORD dst_unused:UNUSED_PAD src0_sel:WORD_1 src1_sel:DWORD
	v_lshrrev_b32_e32 v30, 16, v31
	v_cmp_ne_u16_e32 vcc, 0, v57
	v_mov_b32_e32 v55, 0
	v_mov_b32_e32 v56, 0
	s_and_saveexec_b64 s[0:1], vcc
	s_cbranch_execz .LBB897_53
; %bb.48:
	s_movk_i32 s2, 0x80
	v_cmp_ne_u16_e32 vcc, s2, v57
	v_mov_b32_e32 v56, 0xffff8000
	s_and_saveexec_b64 s[2:3], vcc
	s_cbranch_execz .LBB897_52
; %bb.49:
	v_bfe_u32 v57, v31, 16, 7
	s_movk_i32 s8, 0x7f
	v_cmp_ne_u32_e32 vcc, s8, v57
	v_mov_b32_e32 v56, 0x7f80
	s_and_saveexec_b64 s[8:9], vcc
	s_cbranch_execz .LBB897_51
; %bb.50:
	v_and_b32_e32 v56, 7, v30
	v_ffbh_u32_e32 v58, v56
	v_min_u32_e32 v61, 32, v58
	v_subrev_u32_e32 v58, 28, v61
	v_lshlrev_b64 v[58:59], v58, v[30:31]
	v_lshrrev_b32_e32 v60, 3, v57
	v_sub_u32_e32 v30, 29, v61
	v_and_b32_e32 v58, 7, v58
	v_cmp_gt_u32_e32 vcc, 8, v57
	v_mov_b32_e32 v57, 24
	v_cndmask_b32_e32 v30, v60, v30, vcc
	v_cndmask_b32_e32 v56, v56, v58, vcc
	v_lshlrev_b32_sdwa v57, v57, v31 dst_sel:DWORD dst_unused:UNUSED_PAD src0_sel:DWORD src1_sel:WORD_1
	v_bfrev_b32_e32 v58, 60
	v_lshlrev_b32_e32 v56, 20, v56
	v_and_b32_e32 v57, 0x80000000, v57
	v_lshl_add_u32 v30, v30, 23, v58
	v_or3_b32 v30, v57, v30, v56
	v_lshrrev_b32_e32 v56, 16, v30
.LBB897_51:
	s_or_b64 exec, exec, s[8:9]
.LBB897_52:
	s_or_b64 exec, exec, s[2:3]
.LBB897_53:
	s_or_b64 exec, exec, s[0:1]
	s_mov_b32 s0, 0xffffff
	v_cmp_lt_u32_e32 vcc, s0, v31
	s_and_saveexec_b64 s[0:1], vcc
	s_cbranch_execz .LBB897_59
; %bb.54:
	v_lshrrev_b32_e32 v30, 24, v31
	s_movk_i32 s2, 0x80
	v_cmp_ne_u32_e32 vcc, s2, v30
	v_mov_b32_e32 v55, 0xffff8000
	s_and_saveexec_b64 s[2:3], vcc
	s_cbranch_execz .LBB897_58
; %bb.55:
	v_bfe_u32 v31, v31, 24, 7
	s_movk_i32 s8, 0x7f
	v_cmp_ne_u32_e32 vcc, s8, v31
	v_mov_b32_e32 v55, 0x7f80
	s_and_saveexec_b64 s[8:9], vcc
	s_cbranch_execz .LBB897_57
; %bb.56:
	v_and_b32_e32 v55, 7, v30
	v_ffbh_u32_e32 v58, v55
	v_min_u32_e32 v60, 32, v58
	v_subrev_u32_e32 v58, 28, v60
	v_lshlrev_b64 v[58:59], v58, v[30:31]
	v_lshrrev_b32_e32 v57, 3, v31
	v_sub_u32_e32 v59, 29, v60
	v_and_b32_e32 v58, 7, v58
	v_cmp_gt_u32_e32 vcc, 8, v31
	v_cndmask_b32_e32 v31, v57, v59, vcc
	v_cndmask_b32_e32 v55, v55, v58, vcc
	v_lshlrev_b32_e32 v30, 24, v30
	v_bfrev_b32_e32 v57, 60
	v_lshlrev_b32_e32 v55, 20, v55
	v_and_b32_e32 v30, 0x80000000, v30
	v_lshl_add_u32 v31, v31, 23, v57
	v_or3_b32 v30, v30, v31, v55
	v_lshrrev_b32_e32 v55, 16, v30
.LBB897_57:
	s_or_b64 exec, exec, s[8:9]
.LBB897_58:
	s_or_b64 exec, exec, s[2:3]
.LBB897_59:
	s_or_b64 exec, exec, s[0:1]
	s_mov_b32 s0, 0x5040100
	v_perm_b32 v31, v45, v53, s0
	v_perm_b32 v30, v44, v43, s0
	;; [unrolled: 1-line block ×4, first 2 shown]
	v_mov_b32_e32 v53, 0
	s_waitcnt lgkmcnt(0)
	v_mfma_f32_16x16x16bf16_1k v[58:61], v[30:31], v[26:27], 0
	v_mov_b32_e32 v31, 0
	v_cmp_ne_u16_sdwa s[2:3], v32, v31 src0_sel:BYTE_0 src1_sel:DWORD
	v_mfma_f32_16x16x16bf16_1k v[42:45], v[42:43], v[28:29], v[58:61]
	s_and_saveexec_b64 s[0:1], s[2:3]
	s_cbranch_execz .LBB897_65
; %bb.60:
	s_movk_i32 s2, 0x80
	v_cmp_ne_u16_sdwa s[8:9], v32, s2 src0_sel:BYTE_0 src1_sel:DWORD
	v_mov_b32_e32 v53, 0xffff8000
	s_and_saveexec_b64 s[2:3], s[8:9]
	s_cbranch_execz .LBB897_64
; %bb.61:
	s_movk_i32 s8, 0x7f
	v_and_b32_e32 v30, 0x7f, v32
	v_cmp_ne_u32_e32 vcc, s8, v30
	v_mov_b32_e32 v53, 0x7f80
	s_and_saveexec_b64 s[8:9], vcc
	s_cbranch_execz .LBB897_63
; %bb.62:
	v_and_b32_e32 v53, 7, v32
	v_ffbh_u32_e32 v54, v53
	v_min_u32_e32 v57, 32, v54
	v_subrev_u32_e32 v54, 28, v57
	v_lshlrev_b64 v[54:55], v54, v[32:33]
	v_lshrrev_b32_e32 v56, 3, v30
	v_sub_u32_e32 v55, 29, v57
	v_and_b32_e32 v54, 7, v54
	v_cmp_gt_u32_e32 vcc, 8, v30
	v_cndmask_b32_e32 v30, v56, v55, vcc
	v_cndmask_b32_e32 v53, v53, v54, vcc
	v_lshlrev_b32_e32 v54, 24, v32
	v_bfrev_b32_e32 v55, 60
	v_lshlrev_b32_e32 v53, 20, v53
	v_and_b32_e32 v54, 0x80000000, v54
	v_lshl_add_u32 v30, v30, 23, v55
	v_or3_b32 v30, v54, v30, v53
	v_lshrrev_b32_e32 v53, 16, v30
.LBB897_63:
	s_or_b64 exec, exec, s[8:9]
.LBB897_64:
	s_or_b64 exec, exec, s[2:3]
.LBB897_65:
	s_or_b64 exec, exec, s[0:1]
	v_lshrrev_b16_e32 v30, 8, v32
	v_cmp_ne_u16_e32 vcc, 0, v30
	s_and_saveexec_b64 s[0:1], vcc
	s_cbranch_execz .LBB897_71
; %bb.66:
	s_movk_i32 s2, 0x80
	v_cmp_ne_u16_e32 vcc, s2, v30
	v_mov_b32_e32 v31, 0xffff8000
	s_and_saveexec_b64 s[2:3], vcc
	s_cbranch_execz .LBB897_70
; %bb.67:
	s_movk_i32 s8, 0x7f
	v_and_b32_e32 v54, 0x7f, v30
	v_cmp_ne_u32_e32 vcc, s8, v54
	v_mov_b32_e32 v31, 0x7f80
	s_and_saveexec_b64 s[8:9], vcc
	s_cbranch_execz .LBB897_69
; %bb.68:
	v_and_b32_e32 v55, 7, v30
	v_ffbh_u32_e32 v31, v55
	v_min_u32_e32 v57, 32, v31
	v_subrev_u32_e32 v31, 28, v57
	v_lshlrev_b64 v[30:31], v31, v[30:31]
	v_lshrrev_b32_e32 v56, 3, v54
	v_sub_u32_e32 v31, 29, v57
	v_and_b32_e32 v30, 7, v30
	v_cmp_gt_u32_e32 vcc, 8, v54
	v_cndmask_b32_e32 v31, v56, v31, vcc
	v_cndmask_b32_e32 v30, v55, v30, vcc
	v_lshlrev_b32_e32 v54, 16, v32
	v_bfrev_b32_e32 v55, 60
	v_lshlrev_b32_e32 v30, 20, v30
	v_and_b32_e32 v54, 0x80000000, v54
	v_lshl_add_u32 v31, v31, 23, v55
	v_or3_b32 v30, v54, v31, v30
	v_lshrrev_b32_e32 v31, 16, v30
.LBB897_69:
	s_or_b64 exec, exec, s[8:9]
.LBB897_70:
	s_or_b64 exec, exec, s[2:3]
.LBB897_71:
	s_or_b64 exec, exec, s[0:1]
	s_movk_i32 s0, 0xff
	v_and_b32_sdwa v56, v32, s0 dst_sel:DWORD dst_unused:UNUSED_PAD src0_sel:WORD_1 src1_sel:DWORD
	v_lshrrev_b32_e32 v30, 16, v32
	v_cmp_ne_u16_e32 vcc, 0, v56
	v_mov_b32_e32 v54, 0
	v_mov_b32_e32 v55, 0
	s_and_saveexec_b64 s[0:1], vcc
	s_cbranch_execz .LBB897_77
; %bb.72:
	s_movk_i32 s2, 0x80
	v_cmp_ne_u16_e32 vcc, s2, v56
	v_mov_b32_e32 v55, 0xffff8000
	s_and_saveexec_b64 s[2:3], vcc
	s_cbranch_execz .LBB897_76
; %bb.73:
	v_bfe_u32 v56, v32, 16, 7
	s_movk_i32 s8, 0x7f
	v_cmp_ne_u32_e32 vcc, s8, v56
	v_mov_b32_e32 v55, 0x7f80
	s_and_saveexec_b64 s[8:9], vcc
	s_cbranch_execz .LBB897_75
; %bb.74:
	v_and_b32_e32 v55, 7, v30
	v_ffbh_u32_e32 v58, v55
	v_min_u32_e32 v60, 32, v58
	v_subrev_u32_e32 v58, 28, v60
	v_lshlrev_b64 v[58:59], v58, v[30:31]
	v_lshrrev_b32_e32 v57, 3, v56
	v_sub_u32_e32 v30, 29, v60
	v_and_b32_e32 v58, 7, v58
	v_cmp_gt_u32_e32 vcc, 8, v56
	v_mov_b32_e32 v56, 24
	v_cndmask_b32_e32 v30, v57, v30, vcc
	v_cndmask_b32_e32 v55, v55, v58, vcc
	v_lshlrev_b32_sdwa v56, v56, v32 dst_sel:DWORD dst_unused:UNUSED_PAD src0_sel:DWORD src1_sel:WORD_1
	v_bfrev_b32_e32 v57, 60
	v_lshlrev_b32_e32 v55, 20, v55
	v_and_b32_e32 v56, 0x80000000, v56
	v_lshl_add_u32 v30, v30, 23, v57
	v_or3_b32 v30, v56, v30, v55
	v_lshrrev_b32_e32 v55, 16, v30
.LBB897_75:
	s_or_b64 exec, exec, s[8:9]
.LBB897_76:
	s_or_b64 exec, exec, s[2:3]
.LBB897_77:
	s_or_b64 exec, exec, s[0:1]
	s_mov_b32 s0, 0xffffff
	v_cmp_lt_u32_e32 vcc, s0, v32
	s_and_saveexec_b64 s[0:1], vcc
	s_cbranch_execz .LBB897_83
; %bb.78:
	v_lshrrev_b32_e32 v30, 24, v32
	s_movk_i32 s2, 0x80
	v_cmp_ne_u32_e32 vcc, s2, v30
	v_mov_b32_e32 v54, 0xffff8000
	s_and_saveexec_b64 s[2:3], vcc
	s_cbranch_execz .LBB897_82
; %bb.79:
	v_bfe_u32 v32, v32, 24, 7
	s_movk_i32 s8, 0x7f
	v_cmp_ne_u32_e32 vcc, s8, v32
	v_mov_b32_e32 v54, 0x7f80
	s_and_saveexec_b64 s[8:9], vcc
	s_cbranch_execz .LBB897_81
; %bb.80:
	v_and_b32_e32 v54, 7, v30
	v_ffbh_u32_e32 v56, v54
	v_min_u32_e32 v59, 32, v56
	v_subrev_u32_e32 v56, 28, v59
	v_lshlrev_b64 v[56:57], v56, v[30:31]
	v_lshrrev_b32_e32 v58, 3, v32
	v_sub_u32_e32 v57, 29, v59
	v_and_b32_e32 v56, 7, v56
	v_cmp_gt_u32_e32 vcc, 8, v32
	v_cndmask_b32_e32 v32, v58, v57, vcc
	v_cndmask_b32_e32 v54, v54, v56, vcc
	v_lshlrev_b32_e32 v30, 24, v30
	v_bfrev_b32_e32 v56, 60
	v_lshlrev_b32_e32 v54, 20, v54
	v_and_b32_e32 v30, 0x80000000, v30
	v_lshl_add_u32 v32, v32, 23, v56
	v_or3_b32 v30, v30, v32, v54
	v_lshrrev_b32_e32 v54, 16, v30
.LBB897_81:
	s_or_b64 exec, exec, s[8:9]
.LBB897_82:
	s_or_b64 exec, exec, s[2:3]
.LBB897_83:
	s_or_b64 exec, exec, s[0:1]
	v_mov_b32_e32 v32, 0
	v_cmp_ne_u16_sdwa s[2:3], v33, v32 src0_sel:BYTE_0 src1_sel:DWORD
	v_mov_b32_e32 v56, 0
	s_and_saveexec_b64 s[0:1], s[2:3]
	s_cbranch_execz .LBB897_89
; %bb.84:
	s_movk_i32 s2, 0x80
	v_cmp_ne_u16_sdwa s[8:9], v33, s2 src0_sel:BYTE_0 src1_sel:DWORD
	v_mov_b32_e32 v56, 0xffff8000
	s_and_saveexec_b64 s[2:3], s[8:9]
	s_cbranch_execz .LBB897_88
; %bb.85:
	s_movk_i32 s8, 0x7f
	v_and_b32_e32 v30, 0x7f, v33
	v_cmp_ne_u32_e32 vcc, s8, v30
	v_mov_b32_e32 v56, 0x7f80
	s_and_saveexec_b64 s[8:9], vcc
	s_cbranch_execz .LBB897_87
; %bb.86:
	v_and_b32_e32 v58, 7, v33
	v_ffbh_u32_e32 v57, v58
	v_min_u32_e32 v60, 32, v57
	v_mov_b32_e32 v56, v33
	v_subrev_u32_e32 v57, 28, v60
	v_lshlrev_b64 v[56:57], v57, v[56:57]
	v_lshrrev_b32_e32 v59, 3, v30
	v_sub_u32_e32 v57, 29, v60
	v_and_b32_e32 v56, 7, v56
	v_cmp_gt_u32_e32 vcc, 8, v30
	v_cndmask_b32_e32 v30, v59, v57, vcc
	v_cndmask_b32_e32 v56, v58, v56, vcc
	v_lshlrev_b32_e32 v57, 24, v33
	v_bfrev_b32_e32 v58, 60
	v_lshlrev_b32_e32 v56, 20, v56
	v_and_b32_e32 v57, 0x80000000, v57
	v_lshl_add_u32 v30, v30, 23, v58
	v_or3_b32 v30, v57, v30, v56
	v_lshrrev_b32_e32 v56, 16, v30
.LBB897_87:
	s_or_b64 exec, exec, s[8:9]
.LBB897_88:
	s_or_b64 exec, exec, s[2:3]
.LBB897_89:
	s_or_b64 exec, exec, s[0:1]
	v_lshrrev_b16_e32 v30, 8, v33
	v_cmp_ne_u16_e32 vcc, 0, v30
	s_and_saveexec_b64 s[0:1], vcc
	s_cbranch_execz .LBB897_95
; %bb.90:
	s_movk_i32 s2, 0x80
	v_cmp_ne_u16_e32 vcc, s2, v30
	v_mov_b32_e32 v32, 0xffff8000
	s_and_saveexec_b64 s[2:3], vcc
	s_cbranch_execz .LBB897_94
; %bb.91:
	s_movk_i32 s8, 0x7f
	v_and_b32_e32 v57, 0x7f, v30
	v_cmp_ne_u32_e32 vcc, s8, v57
	v_mov_b32_e32 v32, 0x7f80
	s_and_saveexec_b64 s[8:9], vcc
	s_cbranch_execz .LBB897_93
; %bb.92:
	v_and_b32_e32 v32, 7, v30
	v_ffbh_u32_e32 v58, v32
	v_min_u32_e32 v61, 32, v58
	v_subrev_u32_e32 v58, 28, v61
	v_lshlrev_b64 v[58:59], v58, v[30:31]
	v_lshrrev_b32_e32 v60, 3, v57
	v_sub_u32_e32 v30, 29, v61
	v_and_b32_e32 v58, 7, v58
	v_cmp_gt_u32_e32 vcc, 8, v57
	v_cndmask_b32_e32 v30, v60, v30, vcc
	v_cndmask_b32_e32 v32, v32, v58, vcc
	v_lshlrev_b32_e32 v57, 16, v33
	v_bfrev_b32_e32 v58, 60
	v_lshlrev_b32_e32 v32, 20, v32
	v_and_b32_e32 v57, 0x80000000, v57
	v_lshl_add_u32 v30, v30, 23, v58
	v_or3_b32 v30, v57, v30, v32
	v_lshrrev_b32_e32 v32, 16, v30
.LBB897_93:
	s_or_b64 exec, exec, s[8:9]
.LBB897_94:
	s_or_b64 exec, exec, s[2:3]
.LBB897_95:
	s_or_b64 exec, exec, s[0:1]
	s_movk_i32 s0, 0xff
	v_and_b32_sdwa v59, v33, s0 dst_sel:DWORD dst_unused:UNUSED_PAD src0_sel:WORD_1 src1_sel:DWORD
	v_lshrrev_b32_e32 v30, 16, v33
	v_cmp_ne_u16_e32 vcc, 0, v59
	v_mov_b32_e32 v57, 0
	v_mov_b32_e32 v58, 0
	s_and_saveexec_b64 s[0:1], vcc
	s_cbranch_execz .LBB897_101
; %bb.96:
	s_movk_i32 s2, 0x80
	v_cmp_ne_u16_e32 vcc, s2, v59
	v_mov_b32_e32 v58, 0xffff8000
	s_and_saveexec_b64 s[2:3], vcc
	s_cbranch_execz .LBB897_100
; %bb.97:
	v_bfe_u32 v59, v33, 16, 7
	s_movk_i32 s8, 0x7f
	v_cmp_ne_u32_e32 vcc, s8, v59
	v_mov_b32_e32 v58, 0x7f80
	s_and_saveexec_b64 s[8:9], vcc
	s_cbranch_execz .LBB897_99
; %bb.98:
	v_and_b32_e32 v58, 7, v30
	v_ffbh_u32_e32 v60, v58
	v_min_u32_e32 v63, 32, v60
	v_subrev_u32_e32 v60, 28, v63
	v_lshlrev_b64 v[60:61], v60, v[30:31]
	v_lshrrev_b32_e32 v62, 3, v59
	v_sub_u32_e32 v30, 29, v63
	v_and_b32_e32 v60, 7, v60
	v_cmp_gt_u32_e32 vcc, 8, v59
	v_mov_b32_e32 v59, 24
	v_cndmask_b32_e32 v30, v62, v30, vcc
	v_cndmask_b32_e32 v58, v58, v60, vcc
	v_lshlrev_b32_sdwa v59, v59, v33 dst_sel:DWORD dst_unused:UNUSED_PAD src0_sel:DWORD src1_sel:WORD_1
	v_bfrev_b32_e32 v60, 60
	v_lshlrev_b32_e32 v58, 20, v58
	v_and_b32_e32 v59, 0x80000000, v59
	v_lshl_add_u32 v30, v30, 23, v60
	v_or3_b32 v30, v59, v30, v58
	v_lshrrev_b32_e32 v58, 16, v30
.LBB897_99:
	s_or_b64 exec, exec, s[8:9]
.LBB897_100:
	s_or_b64 exec, exec, s[2:3]
.LBB897_101:
	s_or_b64 exec, exec, s[0:1]
	s_mov_b32 s0, 0xffffff
	v_cmp_lt_u32_e32 vcc, s0, v33
	s_and_saveexec_b64 s[0:1], vcc
	s_cbranch_execz .LBB897_107
; %bb.102:
	v_lshrrev_b32_e32 v30, 24, v33
	s_movk_i32 s2, 0x80
	v_cmp_ne_u32_e32 vcc, s2, v30
	v_mov_b32_e32 v57, 0xffff8000
	s_and_saveexec_b64 s[2:3], vcc
	s_cbranch_execz .LBB897_106
; %bb.103:
	v_bfe_u32 v33, v33, 24, 7
	s_movk_i32 s8, 0x7f
	v_cmp_ne_u32_e32 vcc, s8, v33
	v_mov_b32_e32 v57, 0x7f80
	s_and_saveexec_b64 s[8:9], vcc
	s_cbranch_execz .LBB897_105
; %bb.104:
	v_and_b32_e32 v57, 7, v30
	v_ffbh_u32_e32 v60, v57
	v_min_u32_e32 v62, 32, v60
	v_subrev_u32_e32 v60, 28, v62
	v_lshlrev_b64 v[60:61], v60, v[30:31]
	v_lshrrev_b32_e32 v59, 3, v33
	v_sub_u32_e32 v61, 29, v62
	v_and_b32_e32 v60, 7, v60
	v_cmp_gt_u32_e32 vcc, 8, v33
	v_cndmask_b32_e32 v33, v59, v61, vcc
	v_cndmask_b32_e32 v57, v57, v60, vcc
	v_lshlrev_b32_e32 v30, 24, v30
	v_bfrev_b32_e32 v59, 60
	v_lshlrev_b32_e32 v57, 20, v57
	v_and_b32_e32 v30, 0x80000000, v30
	v_lshl_add_u32 v33, v33, 23, v59
	v_or3_b32 v30, v30, v33, v57
	v_lshrrev_b32_e32 v57, 16, v30
.LBB897_105:
	s_or_b64 exec, exec, s[8:9]
.LBB897_106:
	s_or_b64 exec, exec, s[2:3]
.LBB897_107:
	s_or_b64 exec, exec, s[0:1]
	s_mov_b32 s0, 0x5040100
	v_perm_b32 v55, v54, v55, s0
	v_perm_b32 v54, v31, v53, s0
	v_perm_b32 v31, v57, v58, s0
	v_perm_b32 v30, v32, v56, s0
	v_mfma_f32_16x16x16bf16_1k v[60:63], v[54:55], v[18:19], v[42:45]
	s_nop 6
	v_mov_b32_e32 v43, 0
	s_waitcnt vmcnt(6)
	v_cmp_ne_u16_sdwa s[2:3], v38, v43 src0_sel:BYTE_0 src1_sel:DWORD
	v_mfma_f32_16x16x16bf16_1k v[30:33], v[30:31], v[20:21], v[60:63]
	v_mov_b32_e32 v44, 0
	s_and_saveexec_b64 s[0:1], s[2:3]
	s_cbranch_execz .LBB897_113
; %bb.108:
	s_movk_i32 s2, 0x80
	v_cmp_ne_u16_sdwa s[8:9], v38, s2 src0_sel:BYTE_0 src1_sel:DWORD
	v_mov_b32_e32 v44, 0xffff8000
	s_and_saveexec_b64 s[2:3], s[8:9]
	s_cbranch_execz .LBB897_112
; %bb.109:
	s_movk_i32 s8, 0x7f
	v_and_b32_e32 v42, 0x7f, v38
	v_cmp_ne_u32_e32 vcc, s8, v42
	v_mov_b32_e32 v44, 0x7f80
	s_and_saveexec_b64 s[8:9], vcc
	s_cbranch_execz .LBB897_111
; %bb.110:
	v_and_b32_e32 v53, 7, v38
	v_ffbh_u32_e32 v44, v53
	v_min_u32_e32 v55, 32, v44
	v_subrev_u32_e32 v44, 28, v55
	v_lshlrev_b64 v[44:45], v44, v[38:39]
	v_lshrrev_b32_e32 v54, 3, v42
	v_sub_u32_e32 v45, 29, v55
	v_and_b32_e32 v44, 7, v44
	v_cmp_gt_u32_e32 vcc, 8, v42
	v_cndmask_b32_e32 v42, v54, v45, vcc
	v_cndmask_b32_e32 v44, v53, v44, vcc
	v_lshlrev_b32_e32 v45, 24, v38
	v_bfrev_b32_e32 v53, 60
	v_lshlrev_b32_e32 v44, 20, v44
	v_and_b32_e32 v45, 0x80000000, v45
	v_lshl_add_u32 v42, v42, 23, v53
	v_or3_b32 v42, v45, v42, v44
	v_lshrrev_b32_e32 v44, 16, v42
.LBB897_111:
	s_or_b64 exec, exec, s[8:9]
.LBB897_112:
	s_or_b64 exec, exec, s[2:3]
.LBB897_113:
	s_or_b64 exec, exec, s[0:1]
	v_lshrrev_b16_e32 v42, 8, v38
	v_cmp_ne_u16_e32 vcc, 0, v42
	s_and_saveexec_b64 s[0:1], vcc
	s_cbranch_execz .LBB897_119
; %bb.114:
	s_movk_i32 s2, 0x80
	v_cmp_ne_u16_e32 vcc, s2, v42
	v_mov_b32_e32 v43, 0xffff8000
	s_and_saveexec_b64 s[2:3], vcc
	s_cbranch_execz .LBB897_118
; %bb.115:
	s_movk_i32 s8, 0x7f
	v_and_b32_e32 v45, 0x7f, v42
	v_cmp_ne_u32_e32 vcc, s8, v45
	v_mov_b32_e32 v43, 0x7f80
	s_and_saveexec_b64 s[8:9], vcc
	s_cbranch_execz .LBB897_117
; %bb.116:
	v_and_b32_e32 v53, 7, v42
	v_ffbh_u32_e32 v43, v53
	v_min_u32_e32 v55, 32, v43
	v_subrev_u32_e32 v43, 28, v55
	v_lshlrev_b64 v[42:43], v43, v[42:43]
	v_lshrrev_b32_e32 v54, 3, v45
	v_sub_u32_e32 v43, 29, v55
	v_and_b32_e32 v42, 7, v42
	v_cmp_gt_u32_e32 vcc, 8, v45
	v_cndmask_b32_e32 v43, v54, v43, vcc
	v_cndmask_b32_e32 v42, v53, v42, vcc
	v_lshlrev_b32_e32 v45, 16, v38
	v_bfrev_b32_e32 v53, 60
	v_lshlrev_b32_e32 v42, 20, v42
	v_and_b32_e32 v45, 0x80000000, v45
	v_lshl_add_u32 v43, v43, 23, v53
	v_or3_b32 v42, v45, v43, v42
	v_lshrrev_b32_e32 v43, 16, v42
.LBB897_117:
	s_or_b64 exec, exec, s[8:9]
.LBB897_118:
	s_or_b64 exec, exec, s[2:3]
.LBB897_119:
	s_or_b64 exec, exec, s[0:1]
	s_movk_i32 s0, 0xff
	v_and_b32_sdwa v54, v38, s0 dst_sel:DWORD dst_unused:UNUSED_PAD src0_sel:WORD_1 src1_sel:DWORD
	v_lshrrev_b32_e32 v42, 16, v38
	v_cmp_ne_u16_e32 vcc, 0, v54
	v_mov_b32_e32 v45, 0
	v_mov_b32_e32 v53, 0
	s_and_saveexec_b64 s[0:1], vcc
	s_cbranch_execz .LBB897_125
; %bb.120:
	s_movk_i32 s2, 0x80
	v_cmp_ne_u16_e32 vcc, s2, v54
	v_mov_b32_e32 v53, 0xffff8000
	s_and_saveexec_b64 s[2:3], vcc
	s_cbranch_execz .LBB897_124
; %bb.121:
	v_bfe_u32 v54, v38, 16, 7
	s_movk_i32 s8, 0x7f
	v_cmp_ne_u32_e32 vcc, s8, v54
	v_mov_b32_e32 v53, 0x7f80
	s_and_saveexec_b64 s[8:9], vcc
	s_cbranch_execz .LBB897_123
; %bb.122:
	v_and_b32_e32 v53, 7, v42
	v_ffbh_u32_e32 v56, v53
	v_min_u32_e32 v58, 32, v56
	v_subrev_u32_e32 v56, 28, v58
	v_lshlrev_b64 v[56:57], v56, v[42:43]
	v_lshrrev_b32_e32 v55, 3, v54
	v_sub_u32_e32 v42, 29, v58
	v_and_b32_e32 v56, 7, v56
	v_cmp_gt_u32_e32 vcc, 8, v54
	v_mov_b32_e32 v54, 24
	v_cndmask_b32_e32 v42, v55, v42, vcc
	v_cndmask_b32_e32 v53, v53, v56, vcc
	v_lshlrev_b32_sdwa v54, v54, v38 dst_sel:DWORD dst_unused:UNUSED_PAD src0_sel:DWORD src1_sel:WORD_1
	v_bfrev_b32_e32 v55, 60
	v_lshlrev_b32_e32 v53, 20, v53
	v_and_b32_e32 v54, 0x80000000, v54
	v_lshl_add_u32 v42, v42, 23, v55
	v_or3_b32 v42, v54, v42, v53
	v_lshrrev_b32_e32 v53, 16, v42
.LBB897_123:
	s_or_b64 exec, exec, s[8:9]
.LBB897_124:
	s_or_b64 exec, exec, s[2:3]
.LBB897_125:
	s_or_b64 exec, exec, s[0:1]
	s_mov_b32 s0, 0xffffff
	v_cmp_lt_u32_e32 vcc, s0, v38
	s_and_saveexec_b64 s[0:1], vcc
	s_cbranch_execz .LBB897_131
; %bb.126:
	v_lshrrev_b32_e32 v42, 24, v38
	s_movk_i32 s2, 0x80
	v_cmp_ne_u32_e32 vcc, s2, v42
	v_mov_b32_e32 v45, 0xffff8000
	s_and_saveexec_b64 s[2:3], vcc
	s_cbranch_execz .LBB897_130
; %bb.127:
	v_bfe_u32 v38, v38, 24, 7
	s_movk_i32 s8, 0x7f
	v_cmp_ne_u32_e32 vcc, s8, v38
	v_mov_b32_e32 v45, 0x7f80
	s_and_saveexec_b64 s[8:9], vcc
	s_cbranch_execz .LBB897_129
; %bb.128:
	v_and_b32_e32 v45, 7, v42
	v_ffbh_u32_e32 v54, v45
	v_min_u32_e32 v57, 32, v54
	v_subrev_u32_e32 v54, 28, v57
	v_lshlrev_b64 v[54:55], v54, v[42:43]
	v_lshrrev_b32_e32 v56, 3, v38
	v_sub_u32_e32 v55, 29, v57
	v_and_b32_e32 v54, 7, v54
	v_cmp_gt_u32_e32 vcc, 8, v38
	v_cndmask_b32_e32 v38, v56, v55, vcc
	v_cndmask_b32_e32 v45, v45, v54, vcc
	v_lshlrev_b32_e32 v42, 24, v42
	v_bfrev_b32_e32 v54, 60
	v_lshlrev_b32_e32 v45, 20, v45
	v_and_b32_e32 v42, 0x80000000, v42
	v_lshl_add_u32 v38, v38, 23, v54
	v_or3_b32 v38, v42, v38, v45
	v_lshrrev_b32_e32 v45, 16, v38
.LBB897_129:
	s_or_b64 exec, exec, s[8:9]
.LBB897_130:
	s_or_b64 exec, exec, s[2:3]
.LBB897_131:
	s_or_b64 exec, exec, s[0:1]
	v_mov_b32_e32 v42, 0
	v_cmp_ne_u16_sdwa s[2:3], v39, v42 src0_sel:BYTE_0 src1_sel:DWORD
	v_mov_b32_e32 v54, 0
	s_and_saveexec_b64 s[0:1], s[2:3]
	s_cbranch_execz .LBB897_137
; %bb.132:
	s_movk_i32 s2, 0x80
	v_cmp_ne_u16_sdwa s[8:9], v39, s2 src0_sel:BYTE_0 src1_sel:DWORD
	v_mov_b32_e32 v54, 0xffff8000
	s_and_saveexec_b64 s[2:3], s[8:9]
	s_cbranch_execz .LBB897_136
; %bb.133:
	s_movk_i32 s8, 0x7f
	v_and_b32_e32 v38, 0x7f, v39
	v_cmp_ne_u32_e32 vcc, s8, v38
	v_mov_b32_e32 v54, 0x7f80
	s_and_saveexec_b64 s[8:9], vcc
	s_cbranch_execz .LBB897_135
; %bb.134:
	v_and_b32_e32 v56, 7, v39
	v_ffbh_u32_e32 v55, v56
	v_min_u32_e32 v58, 32, v55
	v_mov_b32_e32 v54, v39
	v_subrev_u32_e32 v55, 28, v58
	v_lshlrev_b64 v[54:55], v55, v[54:55]
	v_lshrrev_b32_e32 v57, 3, v38
	v_sub_u32_e32 v55, 29, v58
	v_and_b32_e32 v54, 7, v54
	v_cmp_gt_u32_e32 vcc, 8, v38
	v_cndmask_b32_e32 v38, v57, v55, vcc
	v_cndmask_b32_e32 v54, v56, v54, vcc
	v_lshlrev_b32_e32 v55, 24, v39
	v_bfrev_b32_e32 v56, 60
	v_lshlrev_b32_e32 v54, 20, v54
	v_and_b32_e32 v55, 0x80000000, v55
	v_lshl_add_u32 v38, v38, 23, v56
	v_or3_b32 v38, v55, v38, v54
	v_lshrrev_b32_e32 v54, 16, v38
.LBB897_135:
	s_or_b64 exec, exec, s[8:9]
.LBB897_136:
	s_or_b64 exec, exec, s[2:3]
.LBB897_137:
	s_or_b64 exec, exec, s[0:1]
	v_lshrrev_b16_e32 v38, 8, v39
	v_cmp_ne_u16_e32 vcc, 0, v38
	s_and_saveexec_b64 s[0:1], vcc
	s_cbranch_execz .LBB897_143
; %bb.138:
	s_movk_i32 s2, 0x80
	v_cmp_ne_u16_e32 vcc, s2, v38
	v_mov_b32_e32 v42, 0xffff8000
	s_and_saveexec_b64 s[2:3], vcc
	s_cbranch_execz .LBB897_142
; %bb.139:
	s_movk_i32 s8, 0x7f
	v_and_b32_e32 v55, 0x7f, v38
	v_cmp_ne_u32_e32 vcc, s8, v55
	v_mov_b32_e32 v42, 0x7f80
	s_and_saveexec_b64 s[8:9], vcc
	s_cbranch_execz .LBB897_141
; %bb.140:
	v_and_b32_e32 v42, 7, v38
	v_ffbh_u32_e32 v56, v42
	v_min_u32_e32 v59, 32, v56
	v_subrev_u32_e32 v56, 28, v59
	v_lshlrev_b64 v[56:57], v56, v[38:39]
	v_lshrrev_b32_e32 v58, 3, v55
	v_sub_u32_e32 v38, 29, v59
	v_and_b32_e32 v56, 7, v56
	v_cmp_gt_u32_e32 vcc, 8, v55
	v_cndmask_b32_e32 v38, v58, v38, vcc
	v_cndmask_b32_e32 v42, v42, v56, vcc
	v_lshlrev_b32_e32 v55, 16, v39
	v_bfrev_b32_e32 v56, 60
	v_lshlrev_b32_e32 v42, 20, v42
	v_and_b32_e32 v55, 0x80000000, v55
	v_lshl_add_u32 v38, v38, 23, v56
	v_or3_b32 v38, v55, v38, v42
	v_lshrrev_b32_e32 v42, 16, v38
.LBB897_141:
	s_or_b64 exec, exec, s[8:9]
.LBB897_142:
	s_or_b64 exec, exec, s[2:3]
.LBB897_143:
	s_or_b64 exec, exec, s[0:1]
	s_movk_i32 s0, 0xff
	v_and_b32_sdwa v57, v39, s0 dst_sel:DWORD dst_unused:UNUSED_PAD src0_sel:WORD_1 src1_sel:DWORD
	v_lshrrev_b32_e32 v38, 16, v39
	v_cmp_ne_u16_e32 vcc, 0, v57
	v_mov_b32_e32 v55, 0
	v_mov_b32_e32 v56, 0
	s_and_saveexec_b64 s[0:1], vcc
	s_cbranch_execz .LBB897_149
; %bb.144:
	s_movk_i32 s2, 0x80
	v_cmp_ne_u16_e32 vcc, s2, v57
	v_mov_b32_e32 v56, 0xffff8000
	s_and_saveexec_b64 s[2:3], vcc
	s_cbranch_execz .LBB897_148
; %bb.145:
	v_bfe_u32 v57, v39, 16, 7
	s_movk_i32 s8, 0x7f
	v_cmp_ne_u32_e32 vcc, s8, v57
	v_mov_b32_e32 v56, 0x7f80
	s_and_saveexec_b64 s[8:9], vcc
	s_cbranch_execz .LBB897_147
; %bb.146:
	v_and_b32_e32 v56, 7, v38
	v_ffbh_u32_e32 v58, v56
	v_min_u32_e32 v61, 32, v58
	v_subrev_u32_e32 v58, 28, v61
	v_lshlrev_b64 v[58:59], v58, v[38:39]
	v_lshrrev_b32_e32 v60, 3, v57
	v_sub_u32_e32 v38, 29, v61
	v_and_b32_e32 v58, 7, v58
	v_cmp_gt_u32_e32 vcc, 8, v57
	v_mov_b32_e32 v57, 24
	v_cndmask_b32_e32 v38, v60, v38, vcc
	v_cndmask_b32_e32 v56, v56, v58, vcc
	v_lshlrev_b32_sdwa v57, v57, v39 dst_sel:DWORD dst_unused:UNUSED_PAD src0_sel:DWORD src1_sel:WORD_1
	v_bfrev_b32_e32 v58, 60
	v_lshlrev_b32_e32 v56, 20, v56
	v_and_b32_e32 v57, 0x80000000, v57
	v_lshl_add_u32 v38, v38, 23, v58
	v_or3_b32 v38, v57, v38, v56
	v_lshrrev_b32_e32 v56, 16, v38
.LBB897_147:
	s_or_b64 exec, exec, s[8:9]
.LBB897_148:
	s_or_b64 exec, exec, s[2:3]
.LBB897_149:
	s_or_b64 exec, exec, s[0:1]
	s_mov_b32 s0, 0xffffff
	v_cmp_lt_u32_e32 vcc, s0, v39
	s_and_saveexec_b64 s[0:1], vcc
	s_cbranch_execz .LBB897_155
; %bb.150:
	v_lshrrev_b32_e32 v38, 24, v39
	s_movk_i32 s2, 0x80
	v_cmp_ne_u32_e32 vcc, s2, v38
	v_mov_b32_e32 v55, 0xffff8000
	s_and_saveexec_b64 s[2:3], vcc
	s_cbranch_execz .LBB897_154
; %bb.151:
	v_bfe_u32 v39, v39, 24, 7
	s_movk_i32 s8, 0x7f
	v_cmp_ne_u32_e32 vcc, s8, v39
	v_mov_b32_e32 v55, 0x7f80
	s_and_saveexec_b64 s[8:9], vcc
	s_cbranch_execz .LBB897_153
; %bb.152:
	v_and_b32_e32 v55, 7, v38
	v_ffbh_u32_e32 v58, v55
	v_min_u32_e32 v60, 32, v58
	v_subrev_u32_e32 v58, 28, v60
	v_lshlrev_b64 v[58:59], v58, v[38:39]
	v_lshrrev_b32_e32 v57, 3, v39
	v_sub_u32_e32 v59, 29, v60
	v_and_b32_e32 v58, 7, v58
	v_cmp_gt_u32_e32 vcc, 8, v39
	v_cndmask_b32_e32 v39, v57, v59, vcc
	v_cndmask_b32_e32 v55, v55, v58, vcc
	v_lshlrev_b32_e32 v38, 24, v38
	v_bfrev_b32_e32 v57, 60
	v_lshlrev_b32_e32 v55, 20, v55
	v_and_b32_e32 v38, 0x80000000, v38
	v_lshl_add_u32 v39, v39, 23, v57
	v_or3_b32 v38, v38, v39, v55
	v_lshrrev_b32_e32 v55, 16, v38
.LBB897_153:
	s_or_b64 exec, exec, s[8:9]
.LBB897_154:
	s_or_b64 exec, exec, s[2:3]
.LBB897_155:
	s_or_b64 exec, exec, s[0:1]
	s_mov_b32 s0, 0x5040100
	v_perm_b32 v39, v45, v53, s0
	v_perm_b32 v38, v43, v44, s0
	;; [unrolled: 1-line block ×4, first 2 shown]
	v_mov_b32_e32 v53, 0
	v_mfma_f32_16x16x16bf16_1k v[58:61], v[38:39], v[26:27], 0
	v_mov_b32_e32 v39, 0
	v_cmp_ne_u16_sdwa s[2:3], v40, v39 src0_sel:BYTE_0 src1_sel:DWORD
	v_mfma_f32_16x16x16bf16_1k v[42:45], v[42:43], v[28:29], v[58:61]
	s_and_saveexec_b64 s[0:1], s[2:3]
	s_cbranch_execz .LBB897_161
; %bb.156:
	s_movk_i32 s2, 0x80
	v_cmp_ne_u16_sdwa s[8:9], v40, s2 src0_sel:BYTE_0 src1_sel:DWORD
	v_mov_b32_e32 v53, 0xffff8000
	s_and_saveexec_b64 s[2:3], s[8:9]
	s_cbranch_execz .LBB897_160
; %bb.157:
	s_movk_i32 s8, 0x7f
	v_and_b32_e32 v38, 0x7f, v40
	v_cmp_ne_u32_e32 vcc, s8, v38
	v_mov_b32_e32 v53, 0x7f80
	s_and_saveexec_b64 s[8:9], vcc
	s_cbranch_execz .LBB897_159
; %bb.158:
	v_and_b32_e32 v53, 7, v40
	v_ffbh_u32_e32 v54, v53
	v_min_u32_e32 v57, 32, v54
	v_subrev_u32_e32 v54, 28, v57
	v_lshlrev_b64 v[54:55], v54, v[40:41]
	v_lshrrev_b32_e32 v56, 3, v38
	v_sub_u32_e32 v55, 29, v57
	v_and_b32_e32 v54, 7, v54
	v_cmp_gt_u32_e32 vcc, 8, v38
	v_cndmask_b32_e32 v38, v56, v55, vcc
	v_cndmask_b32_e32 v53, v53, v54, vcc
	v_lshlrev_b32_e32 v54, 24, v40
	v_bfrev_b32_e32 v55, 60
	v_lshlrev_b32_e32 v53, 20, v53
	v_and_b32_e32 v54, 0x80000000, v54
	v_lshl_add_u32 v38, v38, 23, v55
	v_or3_b32 v38, v54, v38, v53
	v_lshrrev_b32_e32 v53, 16, v38
.LBB897_159:
	s_or_b64 exec, exec, s[8:9]
.LBB897_160:
	s_or_b64 exec, exec, s[2:3]
.LBB897_161:
	s_or_b64 exec, exec, s[0:1]
	v_lshrrev_b16_e32 v38, 8, v40
	v_cmp_ne_u16_e32 vcc, 0, v38
	s_and_saveexec_b64 s[0:1], vcc
	s_cbranch_execz .LBB897_167
; %bb.162:
	s_movk_i32 s2, 0x80
	v_cmp_ne_u16_e32 vcc, s2, v38
	v_mov_b32_e32 v39, 0xffff8000
	s_and_saveexec_b64 s[2:3], vcc
	s_cbranch_execz .LBB897_166
; %bb.163:
	s_movk_i32 s8, 0x7f
	v_and_b32_e32 v54, 0x7f, v38
	v_cmp_ne_u32_e32 vcc, s8, v54
	v_mov_b32_e32 v39, 0x7f80
	s_and_saveexec_b64 s[8:9], vcc
	s_cbranch_execz .LBB897_165
; %bb.164:
	v_and_b32_e32 v55, 7, v38
	v_ffbh_u32_e32 v39, v55
	v_min_u32_e32 v57, 32, v39
	v_subrev_u32_e32 v39, 28, v57
	v_lshlrev_b64 v[38:39], v39, v[38:39]
	v_lshrrev_b32_e32 v56, 3, v54
	v_sub_u32_e32 v39, 29, v57
	v_and_b32_e32 v38, 7, v38
	v_cmp_gt_u32_e32 vcc, 8, v54
	v_cndmask_b32_e32 v39, v56, v39, vcc
	v_cndmask_b32_e32 v38, v55, v38, vcc
	v_lshlrev_b32_e32 v54, 16, v40
	v_bfrev_b32_e32 v55, 60
	v_lshlrev_b32_e32 v38, 20, v38
	v_and_b32_e32 v54, 0x80000000, v54
	v_lshl_add_u32 v39, v39, 23, v55
	v_or3_b32 v38, v54, v39, v38
	v_lshrrev_b32_e32 v39, 16, v38
.LBB897_165:
	s_or_b64 exec, exec, s[8:9]
.LBB897_166:
	s_or_b64 exec, exec, s[2:3]
.LBB897_167:
	s_or_b64 exec, exec, s[0:1]
	s_movk_i32 s0, 0xff
	v_and_b32_sdwa v56, v40, s0 dst_sel:DWORD dst_unused:UNUSED_PAD src0_sel:WORD_1 src1_sel:DWORD
	v_lshrrev_b32_e32 v38, 16, v40
	v_cmp_ne_u16_e32 vcc, 0, v56
	v_mov_b32_e32 v54, 0
	v_mov_b32_e32 v55, 0
	s_and_saveexec_b64 s[0:1], vcc
	s_cbranch_execz .LBB897_173
; %bb.168:
	s_movk_i32 s2, 0x80
	v_cmp_ne_u16_e32 vcc, s2, v56
	v_mov_b32_e32 v55, 0xffff8000
	s_and_saveexec_b64 s[2:3], vcc
	s_cbranch_execz .LBB897_172
; %bb.169:
	v_bfe_u32 v56, v40, 16, 7
	s_movk_i32 s8, 0x7f
	v_cmp_ne_u32_e32 vcc, s8, v56
	v_mov_b32_e32 v55, 0x7f80
	s_and_saveexec_b64 s[8:9], vcc
	s_cbranch_execz .LBB897_171
; %bb.170:
	v_and_b32_e32 v55, 7, v38
	v_ffbh_u32_e32 v58, v55
	v_min_u32_e32 v60, 32, v58
	v_subrev_u32_e32 v58, 28, v60
	v_lshlrev_b64 v[58:59], v58, v[38:39]
	v_lshrrev_b32_e32 v57, 3, v56
	v_sub_u32_e32 v38, 29, v60
	v_and_b32_e32 v58, 7, v58
	v_cmp_gt_u32_e32 vcc, 8, v56
	v_mov_b32_e32 v56, 24
	v_cndmask_b32_e32 v38, v57, v38, vcc
	v_cndmask_b32_e32 v55, v55, v58, vcc
	v_lshlrev_b32_sdwa v56, v56, v40 dst_sel:DWORD dst_unused:UNUSED_PAD src0_sel:DWORD src1_sel:WORD_1
	v_bfrev_b32_e32 v57, 60
	v_lshlrev_b32_e32 v55, 20, v55
	v_and_b32_e32 v56, 0x80000000, v56
	v_lshl_add_u32 v38, v38, 23, v57
	v_or3_b32 v38, v56, v38, v55
	v_lshrrev_b32_e32 v55, 16, v38
.LBB897_171:
	s_or_b64 exec, exec, s[8:9]
.LBB897_172:
	s_or_b64 exec, exec, s[2:3]
.LBB897_173:
	s_or_b64 exec, exec, s[0:1]
	s_mov_b32 s0, 0xffffff
	v_cmp_lt_u32_e32 vcc, s0, v40
	s_and_saveexec_b64 s[0:1], vcc
	s_cbranch_execz .LBB897_179
; %bb.174:
	v_lshrrev_b32_e32 v38, 24, v40
	s_movk_i32 s2, 0x80
	v_cmp_ne_u32_e32 vcc, s2, v38
	v_mov_b32_e32 v54, 0xffff8000
	s_and_saveexec_b64 s[2:3], vcc
	s_cbranch_execz .LBB897_178
; %bb.175:
	v_bfe_u32 v40, v40, 24, 7
	s_movk_i32 s8, 0x7f
	v_cmp_ne_u32_e32 vcc, s8, v40
	v_mov_b32_e32 v54, 0x7f80
	s_and_saveexec_b64 s[8:9], vcc
	s_cbranch_execz .LBB897_177
; %bb.176:
	v_and_b32_e32 v54, 7, v38
	v_ffbh_u32_e32 v56, v54
	v_min_u32_e32 v59, 32, v56
	v_subrev_u32_e32 v56, 28, v59
	v_lshlrev_b64 v[56:57], v56, v[38:39]
	v_lshrrev_b32_e32 v58, 3, v40
	v_sub_u32_e32 v57, 29, v59
	v_and_b32_e32 v56, 7, v56
	v_cmp_gt_u32_e32 vcc, 8, v40
	v_cndmask_b32_e32 v40, v58, v57, vcc
	v_cndmask_b32_e32 v54, v54, v56, vcc
	v_lshlrev_b32_e32 v38, 24, v38
	v_bfrev_b32_e32 v56, 60
	v_lshlrev_b32_e32 v54, 20, v54
	v_and_b32_e32 v38, 0x80000000, v38
	v_lshl_add_u32 v40, v40, 23, v56
	v_or3_b32 v38, v38, v40, v54
	v_lshrrev_b32_e32 v54, 16, v38
.LBB897_177:
	s_or_b64 exec, exec, s[8:9]
.LBB897_178:
	s_or_b64 exec, exec, s[2:3]
.LBB897_179:
	s_or_b64 exec, exec, s[0:1]
	v_mov_b32_e32 v40, 0
	v_cmp_ne_u16_sdwa s[2:3], v41, v40 src0_sel:BYTE_0 src1_sel:DWORD
	v_mov_b32_e32 v56, 0
	s_and_saveexec_b64 s[0:1], s[2:3]
	s_cbranch_execz .LBB897_185
; %bb.180:
	s_movk_i32 s2, 0x80
	v_cmp_ne_u16_sdwa s[8:9], v41, s2 src0_sel:BYTE_0 src1_sel:DWORD
	v_mov_b32_e32 v56, 0xffff8000
	s_and_saveexec_b64 s[2:3], s[8:9]
	s_cbranch_execz .LBB897_184
; %bb.181:
	s_movk_i32 s8, 0x7f
	v_and_b32_e32 v38, 0x7f, v41
	v_cmp_ne_u32_e32 vcc, s8, v38
	v_mov_b32_e32 v56, 0x7f80
	s_and_saveexec_b64 s[8:9], vcc
	s_cbranch_execz .LBB897_183
; %bb.182:
	v_and_b32_e32 v58, 7, v41
	v_ffbh_u32_e32 v57, v58
	v_min_u32_e32 v60, 32, v57
	v_mov_b32_e32 v56, v41
	v_subrev_u32_e32 v57, 28, v60
	v_lshlrev_b64 v[56:57], v57, v[56:57]
	v_lshrrev_b32_e32 v59, 3, v38
	v_sub_u32_e32 v57, 29, v60
	v_and_b32_e32 v56, 7, v56
	v_cmp_gt_u32_e32 vcc, 8, v38
	v_cndmask_b32_e32 v38, v59, v57, vcc
	v_cndmask_b32_e32 v56, v58, v56, vcc
	v_lshlrev_b32_e32 v57, 24, v41
	v_bfrev_b32_e32 v58, 60
	v_lshlrev_b32_e32 v56, 20, v56
	v_and_b32_e32 v57, 0x80000000, v57
	v_lshl_add_u32 v38, v38, 23, v58
	v_or3_b32 v38, v57, v38, v56
	v_lshrrev_b32_e32 v56, 16, v38
.LBB897_183:
	s_or_b64 exec, exec, s[8:9]
.LBB897_184:
	s_or_b64 exec, exec, s[2:3]
.LBB897_185:
	s_or_b64 exec, exec, s[0:1]
	v_lshrrev_b16_e32 v38, 8, v41
	v_cmp_ne_u16_e32 vcc, 0, v38
	s_and_saveexec_b64 s[0:1], vcc
	s_cbranch_execz .LBB897_191
; %bb.186:
	s_movk_i32 s2, 0x80
	v_cmp_ne_u16_e32 vcc, s2, v38
	v_mov_b32_e32 v40, 0xffff8000
	s_and_saveexec_b64 s[2:3], vcc
	s_cbranch_execz .LBB897_190
; %bb.187:
	s_movk_i32 s8, 0x7f
	v_and_b32_e32 v57, 0x7f, v38
	v_cmp_ne_u32_e32 vcc, s8, v57
	v_mov_b32_e32 v40, 0x7f80
	s_and_saveexec_b64 s[8:9], vcc
	s_cbranch_execz .LBB897_189
; %bb.188:
	v_and_b32_e32 v40, 7, v38
	v_ffbh_u32_e32 v58, v40
	v_min_u32_e32 v61, 32, v58
	v_subrev_u32_e32 v58, 28, v61
	v_lshlrev_b64 v[58:59], v58, v[38:39]
	v_lshrrev_b32_e32 v60, 3, v57
	v_sub_u32_e32 v38, 29, v61
	v_and_b32_e32 v58, 7, v58
	v_cmp_gt_u32_e32 vcc, 8, v57
	v_cndmask_b32_e32 v38, v60, v38, vcc
	v_cndmask_b32_e32 v40, v40, v58, vcc
	v_lshlrev_b32_e32 v57, 16, v41
	v_bfrev_b32_e32 v58, 60
	v_lshlrev_b32_e32 v40, 20, v40
	v_and_b32_e32 v57, 0x80000000, v57
	v_lshl_add_u32 v38, v38, 23, v58
	v_or3_b32 v38, v57, v38, v40
	v_lshrrev_b32_e32 v40, 16, v38
.LBB897_189:
	s_or_b64 exec, exec, s[8:9]
.LBB897_190:
	s_or_b64 exec, exec, s[2:3]
.LBB897_191:
	s_or_b64 exec, exec, s[0:1]
	s_movk_i32 s0, 0xff
	v_and_b32_sdwa v59, v41, s0 dst_sel:DWORD dst_unused:UNUSED_PAD src0_sel:WORD_1 src1_sel:DWORD
	v_lshrrev_b32_e32 v38, 16, v41
	v_cmp_ne_u16_e32 vcc, 0, v59
	v_mov_b32_e32 v57, 0
	v_mov_b32_e32 v58, 0
	s_and_saveexec_b64 s[0:1], vcc
	s_cbranch_execz .LBB897_197
; %bb.192:
	s_movk_i32 s2, 0x80
	v_cmp_ne_u16_e32 vcc, s2, v59
	v_mov_b32_e32 v58, 0xffff8000
	s_and_saveexec_b64 s[2:3], vcc
	s_cbranch_execz .LBB897_196
; %bb.193:
	v_bfe_u32 v59, v41, 16, 7
	s_movk_i32 s8, 0x7f
	v_cmp_ne_u32_e32 vcc, s8, v59
	v_mov_b32_e32 v58, 0x7f80
	s_and_saveexec_b64 s[8:9], vcc
	s_cbranch_execz .LBB897_195
; %bb.194:
	v_and_b32_e32 v58, 7, v38
	v_ffbh_u32_e32 v60, v58
	v_min_u32_e32 v63, 32, v60
	v_subrev_u32_e32 v60, 28, v63
	v_lshlrev_b64 v[60:61], v60, v[38:39]
	v_lshrrev_b32_e32 v62, 3, v59
	v_sub_u32_e32 v38, 29, v63
	v_and_b32_e32 v60, 7, v60
	v_cmp_gt_u32_e32 vcc, 8, v59
	v_mov_b32_e32 v59, 24
	v_cndmask_b32_e32 v38, v62, v38, vcc
	v_cndmask_b32_e32 v58, v58, v60, vcc
	v_lshlrev_b32_sdwa v59, v59, v41 dst_sel:DWORD dst_unused:UNUSED_PAD src0_sel:DWORD src1_sel:WORD_1
	v_bfrev_b32_e32 v60, 60
	v_lshlrev_b32_e32 v58, 20, v58
	v_and_b32_e32 v59, 0x80000000, v59
	v_lshl_add_u32 v38, v38, 23, v60
	v_or3_b32 v38, v59, v38, v58
	v_lshrrev_b32_e32 v58, 16, v38
.LBB897_195:
	s_or_b64 exec, exec, s[8:9]
.LBB897_196:
	s_or_b64 exec, exec, s[2:3]
.LBB897_197:
	s_or_b64 exec, exec, s[0:1]
	s_mov_b32 s0, 0xffffff
	v_cmp_lt_u32_e32 vcc, s0, v41
	s_and_saveexec_b64 s[0:1], vcc
	s_cbranch_execz .LBB897_203
; %bb.198:
	v_lshrrev_b32_e32 v38, 24, v41
	s_movk_i32 s2, 0x80
	v_cmp_ne_u32_e32 vcc, s2, v38
	v_mov_b32_e32 v57, 0xffff8000
	s_and_saveexec_b64 s[2:3], vcc
	s_cbranch_execz .LBB897_202
; %bb.199:
	v_bfe_u32 v41, v41, 24, 7
	s_movk_i32 s8, 0x7f
	v_cmp_ne_u32_e32 vcc, s8, v41
	v_mov_b32_e32 v57, 0x7f80
	s_and_saveexec_b64 s[8:9], vcc
	s_cbranch_execz .LBB897_201
; %bb.200:
	v_and_b32_e32 v57, 7, v38
	v_ffbh_u32_e32 v60, v57
	v_min_u32_e32 v62, 32, v60
	v_subrev_u32_e32 v60, 28, v62
	v_lshlrev_b64 v[60:61], v60, v[38:39]
	v_lshrrev_b32_e32 v59, 3, v41
	v_sub_u32_e32 v61, 29, v62
	v_and_b32_e32 v60, 7, v60
	v_cmp_gt_u32_e32 vcc, 8, v41
	v_cndmask_b32_e32 v41, v59, v61, vcc
	v_cndmask_b32_e32 v57, v57, v60, vcc
	v_lshlrev_b32_e32 v38, 24, v38
	v_bfrev_b32_e32 v59, 60
	v_lshlrev_b32_e32 v57, 20, v57
	v_and_b32_e32 v38, 0x80000000, v38
	v_lshl_add_u32 v41, v41, 23, v59
	v_or3_b32 v38, v38, v41, v57
	v_lshrrev_b32_e32 v57, 16, v38
.LBB897_201:
	s_or_b64 exec, exec, s[8:9]
.LBB897_202:
	s_or_b64 exec, exec, s[2:3]
.LBB897_203:
	s_or_b64 exec, exec, s[0:1]
	s_mov_b32 s0, 0x5040100
	v_perm_b32 v55, v54, v55, s0
	v_perm_b32 v54, v39, v53, s0
	;; [unrolled: 1-line block ×4, first 2 shown]
	v_mfma_f32_16x16x16bf16_1k v[60:63], v[54:55], v[18:19], v[42:45]
	s_nop 6
	v_mov_b32_e32 v43, 0
	s_waitcnt vmcnt(5)
	v_cmp_ne_u16_sdwa s[2:3], v34, v43 src0_sel:BYTE_0 src1_sel:DWORD
	v_mfma_f32_16x16x16bf16_1k v[38:41], v[38:39], v[20:21], v[60:63]
	v_mov_b32_e32 v44, 0
	s_and_saveexec_b64 s[0:1], s[2:3]
	s_cbranch_execz .LBB897_209
; %bb.204:
	s_movk_i32 s2, 0x80
	v_cmp_ne_u16_sdwa s[8:9], v34, s2 src0_sel:BYTE_0 src1_sel:DWORD
	v_mov_b32_e32 v44, 0xffff8000
	s_and_saveexec_b64 s[2:3], s[8:9]
	s_cbranch_execz .LBB897_208
; %bb.205:
	s_movk_i32 s8, 0x7f
	v_and_b32_e32 v42, 0x7f, v34
	v_cmp_ne_u32_e32 vcc, s8, v42
	v_mov_b32_e32 v44, 0x7f80
	s_and_saveexec_b64 s[8:9], vcc
	s_cbranch_execz .LBB897_207
; %bb.206:
	v_and_b32_e32 v53, 7, v34
	v_ffbh_u32_e32 v44, v53
	v_min_u32_e32 v55, 32, v44
	v_subrev_u32_e32 v44, 28, v55
	v_lshlrev_b64 v[44:45], v44, v[34:35]
	v_lshrrev_b32_e32 v54, 3, v42
	v_sub_u32_e32 v45, 29, v55
	v_and_b32_e32 v44, 7, v44
	v_cmp_gt_u32_e32 vcc, 8, v42
	v_cndmask_b32_e32 v42, v54, v45, vcc
	v_cndmask_b32_e32 v44, v53, v44, vcc
	v_lshlrev_b32_e32 v45, 24, v34
	v_bfrev_b32_e32 v53, 60
	v_lshlrev_b32_e32 v44, 20, v44
	v_and_b32_e32 v45, 0x80000000, v45
	v_lshl_add_u32 v42, v42, 23, v53
	v_or3_b32 v42, v45, v42, v44
	v_lshrrev_b32_e32 v44, 16, v42
.LBB897_207:
	s_or_b64 exec, exec, s[8:9]
.LBB897_208:
	s_or_b64 exec, exec, s[2:3]
.LBB897_209:
	s_or_b64 exec, exec, s[0:1]
	v_lshrrev_b16_e32 v42, 8, v34
	v_cmp_ne_u16_e32 vcc, 0, v42
	s_and_saveexec_b64 s[0:1], vcc
	s_cbranch_execz .LBB897_215
; %bb.210:
	s_movk_i32 s2, 0x80
	v_cmp_ne_u16_e32 vcc, s2, v42
	v_mov_b32_e32 v43, 0xffff8000
	s_and_saveexec_b64 s[2:3], vcc
	s_cbranch_execz .LBB897_214
; %bb.211:
	s_movk_i32 s8, 0x7f
	v_and_b32_e32 v45, 0x7f, v42
	v_cmp_ne_u32_e32 vcc, s8, v45
	v_mov_b32_e32 v43, 0x7f80
	s_and_saveexec_b64 s[8:9], vcc
	s_cbranch_execz .LBB897_213
; %bb.212:
	v_and_b32_e32 v53, 7, v42
	v_ffbh_u32_e32 v43, v53
	v_min_u32_e32 v55, 32, v43
	v_subrev_u32_e32 v43, 28, v55
	v_lshlrev_b64 v[42:43], v43, v[42:43]
	v_lshrrev_b32_e32 v54, 3, v45
	v_sub_u32_e32 v43, 29, v55
	v_and_b32_e32 v42, 7, v42
	v_cmp_gt_u32_e32 vcc, 8, v45
	v_cndmask_b32_e32 v43, v54, v43, vcc
	v_cndmask_b32_e32 v42, v53, v42, vcc
	v_lshlrev_b32_e32 v45, 16, v34
	v_bfrev_b32_e32 v53, 60
	v_lshlrev_b32_e32 v42, 20, v42
	v_and_b32_e32 v45, 0x80000000, v45
	v_lshl_add_u32 v43, v43, 23, v53
	v_or3_b32 v42, v45, v43, v42
	v_lshrrev_b32_e32 v43, 16, v42
.LBB897_213:
	s_or_b64 exec, exec, s[8:9]
.LBB897_214:
	s_or_b64 exec, exec, s[2:3]
.LBB897_215:
	s_or_b64 exec, exec, s[0:1]
	s_movk_i32 s0, 0xff
	v_and_b32_sdwa v54, v34, s0 dst_sel:DWORD dst_unused:UNUSED_PAD src0_sel:WORD_1 src1_sel:DWORD
	v_lshrrev_b32_e32 v42, 16, v34
	v_cmp_ne_u16_e32 vcc, 0, v54
	v_mov_b32_e32 v45, 0
	v_mov_b32_e32 v53, 0
	s_and_saveexec_b64 s[0:1], vcc
	s_cbranch_execz .LBB897_221
; %bb.216:
	s_movk_i32 s2, 0x80
	v_cmp_ne_u16_e32 vcc, s2, v54
	v_mov_b32_e32 v53, 0xffff8000
	s_and_saveexec_b64 s[2:3], vcc
	s_cbranch_execz .LBB897_220
; %bb.217:
	v_bfe_u32 v54, v34, 16, 7
	s_movk_i32 s8, 0x7f
	v_cmp_ne_u32_e32 vcc, s8, v54
	v_mov_b32_e32 v53, 0x7f80
	s_and_saveexec_b64 s[8:9], vcc
	s_cbranch_execz .LBB897_219
; %bb.218:
	v_and_b32_e32 v53, 7, v42
	v_ffbh_u32_e32 v56, v53
	v_min_u32_e32 v58, 32, v56
	v_subrev_u32_e32 v56, 28, v58
	v_lshlrev_b64 v[56:57], v56, v[42:43]
	v_lshrrev_b32_e32 v55, 3, v54
	v_sub_u32_e32 v42, 29, v58
	v_and_b32_e32 v56, 7, v56
	v_cmp_gt_u32_e32 vcc, 8, v54
	v_mov_b32_e32 v54, 24
	v_cndmask_b32_e32 v42, v55, v42, vcc
	v_cndmask_b32_e32 v53, v53, v56, vcc
	v_lshlrev_b32_sdwa v54, v54, v34 dst_sel:DWORD dst_unused:UNUSED_PAD src0_sel:DWORD src1_sel:WORD_1
	v_bfrev_b32_e32 v55, 60
	v_lshlrev_b32_e32 v53, 20, v53
	v_and_b32_e32 v54, 0x80000000, v54
	v_lshl_add_u32 v42, v42, 23, v55
	v_or3_b32 v42, v54, v42, v53
	v_lshrrev_b32_e32 v53, 16, v42
.LBB897_219:
	s_or_b64 exec, exec, s[8:9]
.LBB897_220:
	s_or_b64 exec, exec, s[2:3]
.LBB897_221:
	s_or_b64 exec, exec, s[0:1]
	s_mov_b32 s0, 0xffffff
	v_cmp_lt_u32_e32 vcc, s0, v34
	s_and_saveexec_b64 s[0:1], vcc
	s_cbranch_execz .LBB897_227
; %bb.222:
	v_lshrrev_b32_e32 v42, 24, v34
	s_movk_i32 s2, 0x80
	v_cmp_ne_u32_e32 vcc, s2, v42
	v_mov_b32_e32 v45, 0xffff8000
	s_and_saveexec_b64 s[2:3], vcc
	s_cbranch_execz .LBB897_226
; %bb.223:
	v_bfe_u32 v34, v34, 24, 7
	s_movk_i32 s8, 0x7f
	v_cmp_ne_u32_e32 vcc, s8, v34
	v_mov_b32_e32 v45, 0x7f80
	s_and_saveexec_b64 s[8:9], vcc
	s_cbranch_execz .LBB897_225
; %bb.224:
	v_and_b32_e32 v45, 7, v42
	v_ffbh_u32_e32 v54, v45
	v_min_u32_e32 v57, 32, v54
	v_subrev_u32_e32 v54, 28, v57
	v_lshlrev_b64 v[54:55], v54, v[42:43]
	v_lshrrev_b32_e32 v56, 3, v34
	v_sub_u32_e32 v55, 29, v57
	v_and_b32_e32 v54, 7, v54
	v_cmp_gt_u32_e32 vcc, 8, v34
	v_cndmask_b32_e32 v34, v56, v55, vcc
	v_cndmask_b32_e32 v45, v45, v54, vcc
	v_lshlrev_b32_e32 v42, 24, v42
	v_bfrev_b32_e32 v54, 60
	v_lshlrev_b32_e32 v45, 20, v45
	v_and_b32_e32 v42, 0x80000000, v42
	v_lshl_add_u32 v34, v34, 23, v54
	v_or3_b32 v34, v42, v34, v45
	v_lshrrev_b32_e32 v45, 16, v34
.LBB897_225:
	s_or_b64 exec, exec, s[8:9]
.LBB897_226:
	s_or_b64 exec, exec, s[2:3]
.LBB897_227:
	s_or_b64 exec, exec, s[0:1]
	v_mov_b32_e32 v42, 0
	v_cmp_ne_u16_sdwa s[2:3], v35, v42 src0_sel:BYTE_0 src1_sel:DWORD
	v_mov_b32_e32 v54, 0
	s_and_saveexec_b64 s[0:1], s[2:3]
	s_cbranch_execz .LBB897_233
; %bb.228:
	s_movk_i32 s2, 0x80
	v_cmp_ne_u16_sdwa s[8:9], v35, s2 src0_sel:BYTE_0 src1_sel:DWORD
	v_mov_b32_e32 v54, 0xffff8000
	s_and_saveexec_b64 s[2:3], s[8:9]
	s_cbranch_execz .LBB897_232
; %bb.229:
	s_movk_i32 s8, 0x7f
	v_and_b32_e32 v34, 0x7f, v35
	v_cmp_ne_u32_e32 vcc, s8, v34
	v_mov_b32_e32 v54, 0x7f80
	s_and_saveexec_b64 s[8:9], vcc
	s_cbranch_execz .LBB897_231
; %bb.230:
	v_and_b32_e32 v56, 7, v35
	v_ffbh_u32_e32 v55, v56
	v_min_u32_e32 v58, 32, v55
	v_mov_b32_e32 v54, v35
	v_subrev_u32_e32 v55, 28, v58
	v_lshlrev_b64 v[54:55], v55, v[54:55]
	v_lshrrev_b32_e32 v57, 3, v34
	v_sub_u32_e32 v55, 29, v58
	v_and_b32_e32 v54, 7, v54
	v_cmp_gt_u32_e32 vcc, 8, v34
	v_cndmask_b32_e32 v34, v57, v55, vcc
	v_cndmask_b32_e32 v54, v56, v54, vcc
	v_lshlrev_b32_e32 v55, 24, v35
	v_bfrev_b32_e32 v56, 60
	v_lshlrev_b32_e32 v54, 20, v54
	v_and_b32_e32 v55, 0x80000000, v55
	v_lshl_add_u32 v34, v34, 23, v56
	v_or3_b32 v34, v55, v34, v54
	v_lshrrev_b32_e32 v54, 16, v34
.LBB897_231:
	s_or_b64 exec, exec, s[8:9]
.LBB897_232:
	s_or_b64 exec, exec, s[2:3]
.LBB897_233:
	s_or_b64 exec, exec, s[0:1]
	v_lshrrev_b16_e32 v34, 8, v35
	v_cmp_ne_u16_e32 vcc, 0, v34
	s_and_saveexec_b64 s[0:1], vcc
	s_cbranch_execz .LBB897_239
; %bb.234:
	s_movk_i32 s2, 0x80
	v_cmp_ne_u16_e32 vcc, s2, v34
	v_mov_b32_e32 v42, 0xffff8000
	s_and_saveexec_b64 s[2:3], vcc
	s_cbranch_execz .LBB897_238
; %bb.235:
	s_movk_i32 s8, 0x7f
	v_and_b32_e32 v55, 0x7f, v34
	v_cmp_ne_u32_e32 vcc, s8, v55
	v_mov_b32_e32 v42, 0x7f80
	s_and_saveexec_b64 s[8:9], vcc
	s_cbranch_execz .LBB897_237
; %bb.236:
	v_and_b32_e32 v42, 7, v34
	v_ffbh_u32_e32 v56, v42
	v_min_u32_e32 v59, 32, v56
	v_subrev_u32_e32 v56, 28, v59
	v_lshlrev_b64 v[56:57], v56, v[34:35]
	v_lshrrev_b32_e32 v58, 3, v55
	v_sub_u32_e32 v34, 29, v59
	v_and_b32_e32 v56, 7, v56
	v_cmp_gt_u32_e32 vcc, 8, v55
	v_cndmask_b32_e32 v34, v58, v34, vcc
	v_cndmask_b32_e32 v42, v42, v56, vcc
	v_lshlrev_b32_e32 v55, 16, v35
	v_bfrev_b32_e32 v56, 60
	v_lshlrev_b32_e32 v42, 20, v42
	v_and_b32_e32 v55, 0x80000000, v55
	v_lshl_add_u32 v34, v34, 23, v56
	v_or3_b32 v34, v55, v34, v42
	v_lshrrev_b32_e32 v42, 16, v34
.LBB897_237:
	s_or_b64 exec, exec, s[8:9]
.LBB897_238:
	s_or_b64 exec, exec, s[2:3]
.LBB897_239:
	s_or_b64 exec, exec, s[0:1]
	s_movk_i32 s0, 0xff
	v_and_b32_sdwa v57, v35, s0 dst_sel:DWORD dst_unused:UNUSED_PAD src0_sel:WORD_1 src1_sel:DWORD
	v_lshrrev_b32_e32 v34, 16, v35
	v_cmp_ne_u16_e32 vcc, 0, v57
	v_mov_b32_e32 v55, 0
	v_mov_b32_e32 v56, 0
	s_and_saveexec_b64 s[0:1], vcc
	s_cbranch_execz .LBB897_245
; %bb.240:
	s_movk_i32 s2, 0x80
	v_cmp_ne_u16_e32 vcc, s2, v57
	v_mov_b32_e32 v56, 0xffff8000
	s_and_saveexec_b64 s[2:3], vcc
	s_cbranch_execz .LBB897_244
; %bb.241:
	v_bfe_u32 v57, v35, 16, 7
	s_movk_i32 s8, 0x7f
	v_cmp_ne_u32_e32 vcc, s8, v57
	v_mov_b32_e32 v56, 0x7f80
	s_and_saveexec_b64 s[8:9], vcc
	s_cbranch_execz .LBB897_243
; %bb.242:
	v_and_b32_e32 v56, 7, v34
	v_ffbh_u32_e32 v58, v56
	v_min_u32_e32 v61, 32, v58
	v_subrev_u32_e32 v58, 28, v61
	v_lshlrev_b64 v[58:59], v58, v[34:35]
	v_lshrrev_b32_e32 v60, 3, v57
	v_sub_u32_e32 v34, 29, v61
	v_and_b32_e32 v58, 7, v58
	v_cmp_gt_u32_e32 vcc, 8, v57
	v_mov_b32_e32 v57, 24
	v_cndmask_b32_e32 v34, v60, v34, vcc
	v_cndmask_b32_e32 v56, v56, v58, vcc
	v_lshlrev_b32_sdwa v57, v57, v35 dst_sel:DWORD dst_unused:UNUSED_PAD src0_sel:DWORD src1_sel:WORD_1
	v_bfrev_b32_e32 v58, 60
	v_lshlrev_b32_e32 v56, 20, v56
	v_and_b32_e32 v57, 0x80000000, v57
	v_lshl_add_u32 v34, v34, 23, v58
	v_or3_b32 v34, v57, v34, v56
	v_lshrrev_b32_e32 v56, 16, v34
.LBB897_243:
	s_or_b64 exec, exec, s[8:9]
.LBB897_244:
	s_or_b64 exec, exec, s[2:3]
.LBB897_245:
	s_or_b64 exec, exec, s[0:1]
	s_mov_b32 s0, 0xffffff
	v_cmp_lt_u32_e32 vcc, s0, v35
	s_and_saveexec_b64 s[0:1], vcc
	s_cbranch_execz .LBB897_251
; %bb.246:
	v_lshrrev_b32_e32 v34, 24, v35
	s_movk_i32 s2, 0x80
	v_cmp_ne_u32_e32 vcc, s2, v34
	v_mov_b32_e32 v55, 0xffff8000
	s_and_saveexec_b64 s[2:3], vcc
	s_cbranch_execz .LBB897_250
; %bb.247:
	v_bfe_u32 v35, v35, 24, 7
	s_movk_i32 s8, 0x7f
	v_cmp_ne_u32_e32 vcc, s8, v35
	v_mov_b32_e32 v55, 0x7f80
	s_and_saveexec_b64 s[8:9], vcc
	s_cbranch_execz .LBB897_249
; %bb.248:
	v_and_b32_e32 v55, 7, v34
	v_ffbh_u32_e32 v58, v55
	v_min_u32_e32 v60, 32, v58
	v_subrev_u32_e32 v58, 28, v60
	v_lshlrev_b64 v[58:59], v58, v[34:35]
	v_lshrrev_b32_e32 v57, 3, v35
	v_sub_u32_e32 v59, 29, v60
	v_and_b32_e32 v58, 7, v58
	v_cmp_gt_u32_e32 vcc, 8, v35
	v_cndmask_b32_e32 v35, v57, v59, vcc
	v_cndmask_b32_e32 v55, v55, v58, vcc
	v_lshlrev_b32_e32 v34, 24, v34
	v_bfrev_b32_e32 v57, 60
	v_lshlrev_b32_e32 v55, 20, v55
	v_and_b32_e32 v34, 0x80000000, v34
	v_lshl_add_u32 v35, v35, 23, v57
	v_or3_b32 v34, v34, v35, v55
	v_lshrrev_b32_e32 v55, 16, v34
.LBB897_249:
	s_or_b64 exec, exec, s[8:9]
.LBB897_250:
	s_or_b64 exec, exec, s[2:3]
.LBB897_251:
	s_or_b64 exec, exec, s[0:1]
	s_mov_b32 s0, 0x5040100
	v_perm_b32 v35, v45, v53, s0
	v_perm_b32 v34, v43, v44, s0
	;; [unrolled: 1-line block ×4, first 2 shown]
	v_mov_b32_e32 v53, 0
	v_mfma_f32_16x16x16bf16_1k v[58:61], v[34:35], v[26:27], 0
	v_mov_b32_e32 v35, 0
	v_cmp_ne_u16_sdwa s[2:3], v36, v35 src0_sel:BYTE_0 src1_sel:DWORD
	v_mfma_f32_16x16x16bf16_1k v[42:45], v[42:43], v[28:29], v[58:61]
	s_and_saveexec_b64 s[0:1], s[2:3]
	s_cbranch_execz .LBB897_257
; %bb.252:
	s_movk_i32 s2, 0x80
	v_cmp_ne_u16_sdwa s[8:9], v36, s2 src0_sel:BYTE_0 src1_sel:DWORD
	v_mov_b32_e32 v53, 0xffff8000
	s_and_saveexec_b64 s[2:3], s[8:9]
	s_cbranch_execz .LBB897_256
; %bb.253:
	s_movk_i32 s8, 0x7f
	v_and_b32_e32 v34, 0x7f, v36
	v_cmp_ne_u32_e32 vcc, s8, v34
	v_mov_b32_e32 v53, 0x7f80
	s_and_saveexec_b64 s[8:9], vcc
	s_cbranch_execz .LBB897_255
; %bb.254:
	v_and_b32_e32 v53, 7, v36
	v_ffbh_u32_e32 v54, v53
	v_min_u32_e32 v57, 32, v54
	v_subrev_u32_e32 v54, 28, v57
	v_lshlrev_b64 v[54:55], v54, v[36:37]
	v_lshrrev_b32_e32 v56, 3, v34
	v_sub_u32_e32 v55, 29, v57
	v_and_b32_e32 v54, 7, v54
	v_cmp_gt_u32_e32 vcc, 8, v34
	v_cndmask_b32_e32 v34, v56, v55, vcc
	v_cndmask_b32_e32 v53, v53, v54, vcc
	v_lshlrev_b32_e32 v54, 24, v36
	v_bfrev_b32_e32 v55, 60
	v_lshlrev_b32_e32 v53, 20, v53
	v_and_b32_e32 v54, 0x80000000, v54
	v_lshl_add_u32 v34, v34, 23, v55
	v_or3_b32 v34, v54, v34, v53
	v_lshrrev_b32_e32 v53, 16, v34
.LBB897_255:
	s_or_b64 exec, exec, s[8:9]
.LBB897_256:
	s_or_b64 exec, exec, s[2:3]
.LBB897_257:
	s_or_b64 exec, exec, s[0:1]
	v_lshrrev_b16_e32 v34, 8, v36
	v_cmp_ne_u16_e32 vcc, 0, v34
	s_and_saveexec_b64 s[0:1], vcc
	s_cbranch_execz .LBB897_263
; %bb.258:
	s_movk_i32 s2, 0x80
	v_cmp_ne_u16_e32 vcc, s2, v34
	v_mov_b32_e32 v35, 0xffff8000
	s_and_saveexec_b64 s[2:3], vcc
	s_cbranch_execz .LBB897_262
; %bb.259:
	s_movk_i32 s8, 0x7f
	v_and_b32_e32 v54, 0x7f, v34
	v_cmp_ne_u32_e32 vcc, s8, v54
	v_mov_b32_e32 v35, 0x7f80
	s_and_saveexec_b64 s[8:9], vcc
	s_cbranch_execz .LBB897_261
; %bb.260:
	v_and_b32_e32 v55, 7, v34
	v_ffbh_u32_e32 v35, v55
	v_min_u32_e32 v57, 32, v35
	v_subrev_u32_e32 v35, 28, v57
	v_lshlrev_b64 v[34:35], v35, v[34:35]
	v_lshrrev_b32_e32 v56, 3, v54
	v_sub_u32_e32 v35, 29, v57
	v_and_b32_e32 v34, 7, v34
	v_cmp_gt_u32_e32 vcc, 8, v54
	v_cndmask_b32_e32 v35, v56, v35, vcc
	v_cndmask_b32_e32 v34, v55, v34, vcc
	v_lshlrev_b32_e32 v54, 16, v36
	v_bfrev_b32_e32 v55, 60
	v_lshlrev_b32_e32 v34, 20, v34
	v_and_b32_e32 v54, 0x80000000, v54
	v_lshl_add_u32 v35, v35, 23, v55
	v_or3_b32 v34, v54, v35, v34
	v_lshrrev_b32_e32 v35, 16, v34
.LBB897_261:
	s_or_b64 exec, exec, s[8:9]
.LBB897_262:
	s_or_b64 exec, exec, s[2:3]
.LBB897_263:
	s_or_b64 exec, exec, s[0:1]
	s_movk_i32 s0, 0xff
	v_and_b32_sdwa v56, v36, s0 dst_sel:DWORD dst_unused:UNUSED_PAD src0_sel:WORD_1 src1_sel:DWORD
	v_lshrrev_b32_e32 v34, 16, v36
	v_cmp_ne_u16_e32 vcc, 0, v56
	v_mov_b32_e32 v54, 0
	v_mov_b32_e32 v55, 0
	s_and_saveexec_b64 s[0:1], vcc
	s_cbranch_execz .LBB897_269
; %bb.264:
	s_movk_i32 s2, 0x80
	v_cmp_ne_u16_e32 vcc, s2, v56
	v_mov_b32_e32 v55, 0xffff8000
	s_and_saveexec_b64 s[2:3], vcc
	s_cbranch_execz .LBB897_268
; %bb.265:
	v_bfe_u32 v56, v36, 16, 7
	s_movk_i32 s8, 0x7f
	v_cmp_ne_u32_e32 vcc, s8, v56
	v_mov_b32_e32 v55, 0x7f80
	s_and_saveexec_b64 s[8:9], vcc
	s_cbranch_execz .LBB897_267
; %bb.266:
	v_and_b32_e32 v55, 7, v34
	v_ffbh_u32_e32 v58, v55
	v_min_u32_e32 v60, 32, v58
	v_subrev_u32_e32 v58, 28, v60
	v_lshlrev_b64 v[58:59], v58, v[34:35]
	v_lshrrev_b32_e32 v57, 3, v56
	v_sub_u32_e32 v34, 29, v60
	v_and_b32_e32 v58, 7, v58
	v_cmp_gt_u32_e32 vcc, 8, v56
	v_mov_b32_e32 v56, 24
	v_cndmask_b32_e32 v34, v57, v34, vcc
	v_cndmask_b32_e32 v55, v55, v58, vcc
	v_lshlrev_b32_sdwa v56, v56, v36 dst_sel:DWORD dst_unused:UNUSED_PAD src0_sel:DWORD src1_sel:WORD_1
	v_bfrev_b32_e32 v57, 60
	v_lshlrev_b32_e32 v55, 20, v55
	v_and_b32_e32 v56, 0x80000000, v56
	v_lshl_add_u32 v34, v34, 23, v57
	v_or3_b32 v34, v56, v34, v55
	v_lshrrev_b32_e32 v55, 16, v34
.LBB897_267:
	s_or_b64 exec, exec, s[8:9]
.LBB897_268:
	s_or_b64 exec, exec, s[2:3]
.LBB897_269:
	s_or_b64 exec, exec, s[0:1]
	s_mov_b32 s0, 0xffffff
	v_cmp_lt_u32_e32 vcc, s0, v36
	s_and_saveexec_b64 s[0:1], vcc
	s_cbranch_execz .LBB897_275
; %bb.270:
	v_lshrrev_b32_e32 v34, 24, v36
	s_movk_i32 s2, 0x80
	v_cmp_ne_u32_e32 vcc, s2, v34
	v_mov_b32_e32 v54, 0xffff8000
	s_and_saveexec_b64 s[2:3], vcc
	s_cbranch_execz .LBB897_274
; %bb.271:
	v_bfe_u32 v36, v36, 24, 7
	s_movk_i32 s8, 0x7f
	v_cmp_ne_u32_e32 vcc, s8, v36
	v_mov_b32_e32 v54, 0x7f80
	s_and_saveexec_b64 s[8:9], vcc
	s_cbranch_execz .LBB897_273
; %bb.272:
	v_and_b32_e32 v54, 7, v34
	v_ffbh_u32_e32 v56, v54
	v_min_u32_e32 v59, 32, v56
	v_subrev_u32_e32 v56, 28, v59
	v_lshlrev_b64 v[56:57], v56, v[34:35]
	v_lshrrev_b32_e32 v58, 3, v36
	v_sub_u32_e32 v57, 29, v59
	v_and_b32_e32 v56, 7, v56
	v_cmp_gt_u32_e32 vcc, 8, v36
	v_cndmask_b32_e32 v36, v58, v57, vcc
	v_cndmask_b32_e32 v54, v54, v56, vcc
	v_lshlrev_b32_e32 v34, 24, v34
	v_bfrev_b32_e32 v56, 60
	v_lshlrev_b32_e32 v54, 20, v54
	v_and_b32_e32 v34, 0x80000000, v34
	v_lshl_add_u32 v36, v36, 23, v56
	v_or3_b32 v34, v34, v36, v54
	v_lshrrev_b32_e32 v54, 16, v34
.LBB897_273:
	s_or_b64 exec, exec, s[8:9]
.LBB897_274:
	s_or_b64 exec, exec, s[2:3]
.LBB897_275:
	s_or_b64 exec, exec, s[0:1]
	v_mov_b32_e32 v36, 0
	v_cmp_ne_u16_sdwa s[2:3], v37, v36 src0_sel:BYTE_0 src1_sel:DWORD
	v_mov_b32_e32 v56, 0
	s_and_saveexec_b64 s[0:1], s[2:3]
	s_cbranch_execz .LBB897_281
; %bb.276:
	s_movk_i32 s2, 0x80
	v_cmp_ne_u16_sdwa s[8:9], v37, s2 src0_sel:BYTE_0 src1_sel:DWORD
	v_mov_b32_e32 v56, 0xffff8000
	s_and_saveexec_b64 s[2:3], s[8:9]
	s_cbranch_execz .LBB897_280
; %bb.277:
	s_movk_i32 s8, 0x7f
	v_and_b32_e32 v34, 0x7f, v37
	v_cmp_ne_u32_e32 vcc, s8, v34
	v_mov_b32_e32 v56, 0x7f80
	s_and_saveexec_b64 s[8:9], vcc
	s_cbranch_execz .LBB897_279
; %bb.278:
	v_and_b32_e32 v58, 7, v37
	v_ffbh_u32_e32 v57, v58
	v_min_u32_e32 v60, 32, v57
	v_mov_b32_e32 v56, v37
	v_subrev_u32_e32 v57, 28, v60
	v_lshlrev_b64 v[56:57], v57, v[56:57]
	v_lshrrev_b32_e32 v59, 3, v34
	v_sub_u32_e32 v57, 29, v60
	v_and_b32_e32 v56, 7, v56
	v_cmp_gt_u32_e32 vcc, 8, v34
	v_cndmask_b32_e32 v34, v59, v57, vcc
	v_cndmask_b32_e32 v56, v58, v56, vcc
	v_lshlrev_b32_e32 v57, 24, v37
	v_bfrev_b32_e32 v58, 60
	v_lshlrev_b32_e32 v56, 20, v56
	v_and_b32_e32 v57, 0x80000000, v57
	v_lshl_add_u32 v34, v34, 23, v58
	v_or3_b32 v34, v57, v34, v56
	v_lshrrev_b32_e32 v56, 16, v34
.LBB897_279:
	s_or_b64 exec, exec, s[8:9]
.LBB897_280:
	s_or_b64 exec, exec, s[2:3]
.LBB897_281:
	s_or_b64 exec, exec, s[0:1]
	v_lshrrev_b16_e32 v34, 8, v37
	v_cmp_ne_u16_e32 vcc, 0, v34
	s_and_saveexec_b64 s[0:1], vcc
	s_cbranch_execz .LBB897_287
; %bb.282:
	s_movk_i32 s2, 0x80
	v_cmp_ne_u16_e32 vcc, s2, v34
	v_mov_b32_e32 v36, 0xffff8000
	s_and_saveexec_b64 s[2:3], vcc
	s_cbranch_execz .LBB897_286
; %bb.283:
	s_movk_i32 s8, 0x7f
	v_and_b32_e32 v57, 0x7f, v34
	v_cmp_ne_u32_e32 vcc, s8, v57
	v_mov_b32_e32 v36, 0x7f80
	s_and_saveexec_b64 s[8:9], vcc
	s_cbranch_execz .LBB897_285
; %bb.284:
	v_and_b32_e32 v36, 7, v34
	v_ffbh_u32_e32 v58, v36
	v_min_u32_e32 v61, 32, v58
	v_subrev_u32_e32 v58, 28, v61
	v_lshlrev_b64 v[58:59], v58, v[34:35]
	v_lshrrev_b32_e32 v60, 3, v57
	v_sub_u32_e32 v34, 29, v61
	v_and_b32_e32 v58, 7, v58
	v_cmp_gt_u32_e32 vcc, 8, v57
	v_cndmask_b32_e32 v34, v60, v34, vcc
	v_cndmask_b32_e32 v36, v36, v58, vcc
	v_lshlrev_b32_e32 v57, 16, v37
	v_bfrev_b32_e32 v58, 60
	v_lshlrev_b32_e32 v36, 20, v36
	v_and_b32_e32 v57, 0x80000000, v57
	v_lshl_add_u32 v34, v34, 23, v58
	v_or3_b32 v34, v57, v34, v36
	v_lshrrev_b32_e32 v36, 16, v34
.LBB897_285:
	s_or_b64 exec, exec, s[8:9]
.LBB897_286:
	s_or_b64 exec, exec, s[2:3]
.LBB897_287:
	s_or_b64 exec, exec, s[0:1]
	s_movk_i32 s0, 0xff
	v_and_b32_sdwa v59, v37, s0 dst_sel:DWORD dst_unused:UNUSED_PAD src0_sel:WORD_1 src1_sel:DWORD
	v_lshrrev_b32_e32 v34, 16, v37
	v_cmp_ne_u16_e32 vcc, 0, v59
	v_mov_b32_e32 v57, 0
	v_mov_b32_e32 v58, 0
	s_and_saveexec_b64 s[0:1], vcc
	s_cbranch_execz .LBB897_293
; %bb.288:
	s_movk_i32 s2, 0x80
	v_cmp_ne_u16_e32 vcc, s2, v59
	v_mov_b32_e32 v58, 0xffff8000
	s_and_saveexec_b64 s[2:3], vcc
	s_cbranch_execz .LBB897_292
; %bb.289:
	v_bfe_u32 v59, v37, 16, 7
	s_movk_i32 s8, 0x7f
	v_cmp_ne_u32_e32 vcc, s8, v59
	v_mov_b32_e32 v58, 0x7f80
	s_and_saveexec_b64 s[8:9], vcc
	s_cbranch_execz .LBB897_291
; %bb.290:
	v_and_b32_e32 v58, 7, v34
	v_ffbh_u32_e32 v60, v58
	v_min_u32_e32 v63, 32, v60
	v_subrev_u32_e32 v60, 28, v63
	v_lshlrev_b64 v[60:61], v60, v[34:35]
	v_lshrrev_b32_e32 v62, 3, v59
	v_sub_u32_e32 v34, 29, v63
	v_and_b32_e32 v60, 7, v60
	v_cmp_gt_u32_e32 vcc, 8, v59
	v_mov_b32_e32 v59, 24
	v_cndmask_b32_e32 v34, v62, v34, vcc
	v_cndmask_b32_e32 v58, v58, v60, vcc
	v_lshlrev_b32_sdwa v59, v59, v37 dst_sel:DWORD dst_unused:UNUSED_PAD src0_sel:DWORD src1_sel:WORD_1
	v_bfrev_b32_e32 v60, 60
	v_lshlrev_b32_e32 v58, 20, v58
	v_and_b32_e32 v59, 0x80000000, v59
	v_lshl_add_u32 v34, v34, 23, v60
	v_or3_b32 v34, v59, v34, v58
	v_lshrrev_b32_e32 v58, 16, v34
.LBB897_291:
	s_or_b64 exec, exec, s[8:9]
.LBB897_292:
	s_or_b64 exec, exec, s[2:3]
.LBB897_293:
	s_or_b64 exec, exec, s[0:1]
	s_mov_b32 s0, 0xffffff
	v_cmp_lt_u32_e32 vcc, s0, v37
	s_and_saveexec_b64 s[0:1], vcc
	s_cbranch_execz .LBB897_299
; %bb.294:
	v_lshrrev_b32_e32 v34, 24, v37
	s_movk_i32 s2, 0x80
	v_cmp_ne_u32_e32 vcc, s2, v34
	v_mov_b32_e32 v57, 0xffff8000
	s_and_saveexec_b64 s[2:3], vcc
	s_cbranch_execz .LBB897_298
; %bb.295:
	v_bfe_u32 v37, v37, 24, 7
	s_movk_i32 s8, 0x7f
	v_cmp_ne_u32_e32 vcc, s8, v37
	v_mov_b32_e32 v57, 0x7f80
	s_and_saveexec_b64 s[8:9], vcc
	s_cbranch_execz .LBB897_297
; %bb.296:
	v_and_b32_e32 v57, 7, v34
	v_ffbh_u32_e32 v60, v57
	v_min_u32_e32 v62, 32, v60
	v_subrev_u32_e32 v60, 28, v62
	v_lshlrev_b64 v[60:61], v60, v[34:35]
	v_lshrrev_b32_e32 v59, 3, v37
	v_sub_u32_e32 v61, 29, v62
	v_and_b32_e32 v60, 7, v60
	v_cmp_gt_u32_e32 vcc, 8, v37
	v_cndmask_b32_e32 v37, v59, v61, vcc
	v_cndmask_b32_e32 v57, v57, v60, vcc
	v_lshlrev_b32_e32 v34, 24, v34
	v_bfrev_b32_e32 v59, 60
	v_lshlrev_b32_e32 v57, 20, v57
	v_and_b32_e32 v34, 0x80000000, v34
	v_lshl_add_u32 v37, v37, 23, v59
	v_or3_b32 v34, v34, v37, v57
	v_lshrrev_b32_e32 v57, 16, v34
.LBB897_297:
	s_or_b64 exec, exec, s[8:9]
.LBB897_298:
	s_or_b64 exec, exec, s[2:3]
.LBB897_299:
	s_or_b64 exec, exec, s[0:1]
	s_mov_b32 s0, 0x5040100
	v_perm_b32 v55, v54, v55, s0
	v_perm_b32 v54, v35, v53, s0
	;; [unrolled: 1-line block ×4, first 2 shown]
	v_mfma_f32_16x16x16bf16_1k v[60:63], v[54:55], v[18:19], v[42:45]
	s_nop 6
	v_mov_b32_e32 v43, 0
	s_waitcnt vmcnt(4)
	v_cmp_ne_u16_sdwa s[2:3], v22, v43 src0_sel:BYTE_0 src1_sel:DWORD
	v_mfma_f32_16x16x16bf16_1k v[34:37], v[34:35], v[20:21], v[60:63]
	v_mov_b32_e32 v44, 0
	s_and_saveexec_b64 s[0:1], s[2:3]
	s_cbranch_execz .LBB897_305
; %bb.300:
	s_movk_i32 s2, 0x80
	v_cmp_ne_u16_sdwa s[8:9], v22, s2 src0_sel:BYTE_0 src1_sel:DWORD
	v_mov_b32_e32 v44, 0xffff8000
	s_and_saveexec_b64 s[2:3], s[8:9]
	s_cbranch_execz .LBB897_304
; %bb.301:
	s_movk_i32 s8, 0x7f
	v_and_b32_e32 v42, 0x7f, v22
	v_cmp_ne_u32_e32 vcc, s8, v42
	v_mov_b32_e32 v44, 0x7f80
	s_and_saveexec_b64 s[8:9], vcc
	s_cbranch_execz .LBB897_303
; %bb.302:
	v_and_b32_e32 v53, 7, v22
	v_ffbh_u32_e32 v44, v53
	v_min_u32_e32 v55, 32, v44
	v_subrev_u32_e32 v44, 28, v55
	v_lshlrev_b64 v[44:45], v44, v[22:23]
	v_lshrrev_b32_e32 v54, 3, v42
	v_sub_u32_e32 v45, 29, v55
	v_and_b32_e32 v44, 7, v44
	v_cmp_gt_u32_e32 vcc, 8, v42
	v_cndmask_b32_e32 v42, v54, v45, vcc
	v_cndmask_b32_e32 v44, v53, v44, vcc
	v_lshlrev_b32_e32 v45, 24, v22
	v_bfrev_b32_e32 v53, 60
	v_lshlrev_b32_e32 v44, 20, v44
	v_and_b32_e32 v45, 0x80000000, v45
	v_lshl_add_u32 v42, v42, 23, v53
	v_or3_b32 v42, v45, v42, v44
	v_lshrrev_b32_e32 v44, 16, v42
.LBB897_303:
	s_or_b64 exec, exec, s[8:9]
.LBB897_304:
	s_or_b64 exec, exec, s[2:3]
.LBB897_305:
	s_or_b64 exec, exec, s[0:1]
	v_lshrrev_b16_e32 v42, 8, v22
	v_cmp_ne_u16_e32 vcc, 0, v42
	s_and_saveexec_b64 s[0:1], vcc
	s_cbranch_execz .LBB897_311
; %bb.306:
	s_movk_i32 s2, 0x80
	v_cmp_ne_u16_e32 vcc, s2, v42
	v_mov_b32_e32 v43, 0xffff8000
	s_and_saveexec_b64 s[2:3], vcc
	s_cbranch_execz .LBB897_310
; %bb.307:
	s_movk_i32 s8, 0x7f
	v_and_b32_e32 v45, 0x7f, v42
	v_cmp_ne_u32_e32 vcc, s8, v45
	v_mov_b32_e32 v43, 0x7f80
	s_and_saveexec_b64 s[8:9], vcc
	s_cbranch_execz .LBB897_309
; %bb.308:
	v_and_b32_e32 v53, 7, v42
	v_ffbh_u32_e32 v43, v53
	v_min_u32_e32 v55, 32, v43
	v_subrev_u32_e32 v43, 28, v55
	v_lshlrev_b64 v[42:43], v43, v[42:43]
	v_lshrrev_b32_e32 v54, 3, v45
	v_sub_u32_e32 v43, 29, v55
	v_and_b32_e32 v42, 7, v42
	v_cmp_gt_u32_e32 vcc, 8, v45
	v_cndmask_b32_e32 v43, v54, v43, vcc
	v_cndmask_b32_e32 v42, v53, v42, vcc
	v_lshlrev_b32_e32 v45, 16, v22
	v_bfrev_b32_e32 v53, 60
	v_lshlrev_b32_e32 v42, 20, v42
	v_and_b32_e32 v45, 0x80000000, v45
	v_lshl_add_u32 v43, v43, 23, v53
	v_or3_b32 v42, v45, v43, v42
	v_lshrrev_b32_e32 v43, 16, v42
.LBB897_309:
	s_or_b64 exec, exec, s[8:9]
.LBB897_310:
	s_or_b64 exec, exec, s[2:3]
.LBB897_311:
	s_or_b64 exec, exec, s[0:1]
	s_movk_i32 s0, 0xff
	v_and_b32_sdwa v54, v22, s0 dst_sel:DWORD dst_unused:UNUSED_PAD src0_sel:WORD_1 src1_sel:DWORD
	v_lshrrev_b32_e32 v42, 16, v22
	v_cmp_ne_u16_e32 vcc, 0, v54
	v_mov_b32_e32 v45, 0
	v_mov_b32_e32 v53, 0
	s_and_saveexec_b64 s[0:1], vcc
	s_cbranch_execz .LBB897_317
; %bb.312:
	s_movk_i32 s2, 0x80
	v_cmp_ne_u16_e32 vcc, s2, v54
	v_mov_b32_e32 v53, 0xffff8000
	s_and_saveexec_b64 s[2:3], vcc
	s_cbranch_execz .LBB897_316
; %bb.313:
	v_bfe_u32 v54, v22, 16, 7
	s_movk_i32 s8, 0x7f
	v_cmp_ne_u32_e32 vcc, s8, v54
	v_mov_b32_e32 v53, 0x7f80
	s_and_saveexec_b64 s[8:9], vcc
	s_cbranch_execz .LBB897_315
; %bb.314:
	v_and_b32_e32 v53, 7, v42
	v_ffbh_u32_e32 v56, v53
	v_min_u32_e32 v58, 32, v56
	v_subrev_u32_e32 v56, 28, v58
	v_lshlrev_b64 v[56:57], v56, v[42:43]
	v_lshrrev_b32_e32 v55, 3, v54
	v_sub_u32_e32 v42, 29, v58
	v_and_b32_e32 v56, 7, v56
	v_cmp_gt_u32_e32 vcc, 8, v54
	v_mov_b32_e32 v54, 24
	v_cndmask_b32_e32 v42, v55, v42, vcc
	v_cndmask_b32_e32 v53, v53, v56, vcc
	v_lshlrev_b32_sdwa v54, v54, v22 dst_sel:DWORD dst_unused:UNUSED_PAD src0_sel:DWORD src1_sel:WORD_1
	v_bfrev_b32_e32 v55, 60
	v_lshlrev_b32_e32 v53, 20, v53
	v_and_b32_e32 v54, 0x80000000, v54
	v_lshl_add_u32 v42, v42, 23, v55
	v_or3_b32 v42, v54, v42, v53
	v_lshrrev_b32_e32 v53, 16, v42
.LBB897_315:
	s_or_b64 exec, exec, s[8:9]
.LBB897_316:
	s_or_b64 exec, exec, s[2:3]
.LBB897_317:
	s_or_b64 exec, exec, s[0:1]
	s_mov_b32 s0, 0xffffff
	v_cmp_lt_u32_e32 vcc, s0, v22
	s_and_saveexec_b64 s[0:1], vcc
	s_cbranch_execz .LBB897_323
; %bb.318:
	v_lshrrev_b32_e32 v42, 24, v22
	s_movk_i32 s2, 0x80
	v_cmp_ne_u32_e32 vcc, s2, v42
	v_mov_b32_e32 v45, 0xffff8000
	s_and_saveexec_b64 s[2:3], vcc
	s_cbranch_execz .LBB897_322
; %bb.319:
	v_bfe_u32 v22, v22, 24, 7
	s_movk_i32 s8, 0x7f
	v_cmp_ne_u32_e32 vcc, s8, v22
	v_mov_b32_e32 v45, 0x7f80
	s_and_saveexec_b64 s[8:9], vcc
	s_cbranch_execz .LBB897_321
; %bb.320:
	v_and_b32_e32 v45, 7, v42
	v_ffbh_u32_e32 v54, v45
	v_min_u32_e32 v57, 32, v54
	v_subrev_u32_e32 v54, 28, v57
	v_lshlrev_b64 v[54:55], v54, v[42:43]
	v_lshrrev_b32_e32 v56, 3, v22
	v_sub_u32_e32 v55, 29, v57
	v_and_b32_e32 v54, 7, v54
	v_cmp_gt_u32_e32 vcc, 8, v22
	v_cndmask_b32_e32 v22, v56, v55, vcc
	v_cndmask_b32_e32 v45, v45, v54, vcc
	v_lshlrev_b32_e32 v42, 24, v42
	v_bfrev_b32_e32 v54, 60
	v_lshlrev_b32_e32 v45, 20, v45
	v_and_b32_e32 v42, 0x80000000, v42
	v_lshl_add_u32 v22, v22, 23, v54
	v_or3_b32 v22, v42, v22, v45
	v_lshrrev_b32_e32 v45, 16, v22
.LBB897_321:
	s_or_b64 exec, exec, s[8:9]
.LBB897_322:
	s_or_b64 exec, exec, s[2:3]
.LBB897_323:
	s_or_b64 exec, exec, s[0:1]
	v_mov_b32_e32 v42, 0
	v_cmp_ne_u16_sdwa s[2:3], v23, v42 src0_sel:BYTE_0 src1_sel:DWORD
	v_mov_b32_e32 v54, 0
	s_and_saveexec_b64 s[0:1], s[2:3]
	s_cbranch_execz .LBB897_329
; %bb.324:
	s_movk_i32 s2, 0x80
	v_cmp_ne_u16_sdwa s[8:9], v23, s2 src0_sel:BYTE_0 src1_sel:DWORD
	v_mov_b32_e32 v54, 0xffff8000
	s_and_saveexec_b64 s[2:3], s[8:9]
	s_cbranch_execz .LBB897_328
; %bb.325:
	s_movk_i32 s8, 0x7f
	v_and_b32_e32 v22, 0x7f, v23
	v_cmp_ne_u32_e32 vcc, s8, v22
	v_mov_b32_e32 v54, 0x7f80
	s_and_saveexec_b64 s[8:9], vcc
	s_cbranch_execz .LBB897_327
; %bb.326:
	v_and_b32_e32 v56, 7, v23
	v_ffbh_u32_e32 v55, v56
	v_min_u32_e32 v58, 32, v55
	v_mov_b32_e32 v54, v23
	v_subrev_u32_e32 v55, 28, v58
	v_lshlrev_b64 v[54:55], v55, v[54:55]
	v_lshrrev_b32_e32 v57, 3, v22
	v_sub_u32_e32 v55, 29, v58
	v_and_b32_e32 v54, 7, v54
	v_cmp_gt_u32_e32 vcc, 8, v22
	v_cndmask_b32_e32 v22, v57, v55, vcc
	v_cndmask_b32_e32 v54, v56, v54, vcc
	v_lshlrev_b32_e32 v55, 24, v23
	v_bfrev_b32_e32 v56, 60
	v_lshlrev_b32_e32 v54, 20, v54
	v_and_b32_e32 v55, 0x80000000, v55
	v_lshl_add_u32 v22, v22, 23, v56
	v_or3_b32 v22, v55, v22, v54
	v_lshrrev_b32_e32 v54, 16, v22
.LBB897_327:
	s_or_b64 exec, exec, s[8:9]
.LBB897_328:
	s_or_b64 exec, exec, s[2:3]
.LBB897_329:
	s_or_b64 exec, exec, s[0:1]
	v_lshrrev_b16_e32 v22, 8, v23
	v_cmp_ne_u16_e32 vcc, 0, v22
	s_and_saveexec_b64 s[0:1], vcc
	s_cbranch_execz .LBB897_335
; %bb.330:
	s_movk_i32 s2, 0x80
	v_cmp_ne_u16_e32 vcc, s2, v22
	v_mov_b32_e32 v42, 0xffff8000
	s_and_saveexec_b64 s[2:3], vcc
	s_cbranch_execz .LBB897_334
; %bb.331:
	s_movk_i32 s8, 0x7f
	v_and_b32_e32 v55, 0x7f, v22
	v_cmp_ne_u32_e32 vcc, s8, v55
	v_mov_b32_e32 v42, 0x7f80
	s_and_saveexec_b64 s[8:9], vcc
	s_cbranch_execz .LBB897_333
; %bb.332:
	v_and_b32_e32 v42, 7, v22
	v_ffbh_u32_e32 v56, v42
	v_min_u32_e32 v59, 32, v56
	v_subrev_u32_e32 v56, 28, v59
	v_lshlrev_b64 v[56:57], v56, v[22:23]
	v_lshrrev_b32_e32 v58, 3, v55
	v_sub_u32_e32 v22, 29, v59
	v_and_b32_e32 v56, 7, v56
	v_cmp_gt_u32_e32 vcc, 8, v55
	v_cndmask_b32_e32 v22, v58, v22, vcc
	v_cndmask_b32_e32 v42, v42, v56, vcc
	v_lshlrev_b32_e32 v55, 16, v23
	v_bfrev_b32_e32 v56, 60
	v_lshlrev_b32_e32 v42, 20, v42
	v_and_b32_e32 v55, 0x80000000, v55
	v_lshl_add_u32 v22, v22, 23, v56
	v_or3_b32 v22, v55, v22, v42
	v_lshrrev_b32_e32 v42, 16, v22
.LBB897_333:
	s_or_b64 exec, exec, s[8:9]
.LBB897_334:
	s_or_b64 exec, exec, s[2:3]
.LBB897_335:
	s_or_b64 exec, exec, s[0:1]
	s_movk_i32 s0, 0xff
	v_and_b32_sdwa v57, v23, s0 dst_sel:DWORD dst_unused:UNUSED_PAD src0_sel:WORD_1 src1_sel:DWORD
	v_lshrrev_b32_e32 v22, 16, v23
	v_cmp_ne_u16_e32 vcc, 0, v57
	v_mov_b32_e32 v55, 0
	v_mov_b32_e32 v56, 0
	s_and_saveexec_b64 s[0:1], vcc
	s_cbranch_execz .LBB897_341
; %bb.336:
	s_movk_i32 s2, 0x80
	v_cmp_ne_u16_e32 vcc, s2, v57
	v_mov_b32_e32 v56, 0xffff8000
	s_and_saveexec_b64 s[2:3], vcc
	s_cbranch_execz .LBB897_340
; %bb.337:
	v_bfe_u32 v57, v23, 16, 7
	s_movk_i32 s8, 0x7f
	v_cmp_ne_u32_e32 vcc, s8, v57
	v_mov_b32_e32 v56, 0x7f80
	s_and_saveexec_b64 s[8:9], vcc
	s_cbranch_execz .LBB897_339
; %bb.338:
	v_and_b32_e32 v56, 7, v22
	v_ffbh_u32_e32 v58, v56
	v_min_u32_e32 v61, 32, v58
	v_subrev_u32_e32 v58, 28, v61
	v_lshlrev_b64 v[58:59], v58, v[22:23]
	v_lshrrev_b32_e32 v60, 3, v57
	v_sub_u32_e32 v22, 29, v61
	v_and_b32_e32 v58, 7, v58
	v_cmp_gt_u32_e32 vcc, 8, v57
	v_mov_b32_e32 v57, 24
	v_cndmask_b32_e32 v22, v60, v22, vcc
	v_cndmask_b32_e32 v56, v56, v58, vcc
	v_lshlrev_b32_sdwa v57, v57, v23 dst_sel:DWORD dst_unused:UNUSED_PAD src0_sel:DWORD src1_sel:WORD_1
	v_bfrev_b32_e32 v58, 60
	v_lshlrev_b32_e32 v56, 20, v56
	v_and_b32_e32 v57, 0x80000000, v57
	v_lshl_add_u32 v22, v22, 23, v58
	v_or3_b32 v22, v57, v22, v56
	v_lshrrev_b32_e32 v56, 16, v22
.LBB897_339:
	s_or_b64 exec, exec, s[8:9]
.LBB897_340:
	s_or_b64 exec, exec, s[2:3]
.LBB897_341:
	s_or_b64 exec, exec, s[0:1]
	s_mov_b32 s0, 0xffffff
	v_cmp_lt_u32_e32 vcc, s0, v23
	s_and_saveexec_b64 s[0:1], vcc
	s_cbranch_execz .LBB897_347
; %bb.342:
	v_lshrrev_b32_e32 v22, 24, v23
	s_movk_i32 s2, 0x80
	v_cmp_ne_u32_e32 vcc, s2, v22
	v_mov_b32_e32 v55, 0xffff8000
	s_and_saveexec_b64 s[2:3], vcc
	s_cbranch_execz .LBB897_346
; %bb.343:
	v_bfe_u32 v23, v23, 24, 7
	s_movk_i32 s8, 0x7f
	v_cmp_ne_u32_e32 vcc, s8, v23
	v_mov_b32_e32 v55, 0x7f80
	s_and_saveexec_b64 s[8:9], vcc
	s_cbranch_execz .LBB897_345
; %bb.344:
	v_and_b32_e32 v55, 7, v22
	v_ffbh_u32_e32 v58, v55
	v_min_u32_e32 v60, 32, v58
	v_subrev_u32_e32 v58, 28, v60
	v_lshlrev_b64 v[58:59], v58, v[22:23]
	v_lshrrev_b32_e32 v57, 3, v23
	v_sub_u32_e32 v59, 29, v60
	v_and_b32_e32 v58, 7, v58
	v_cmp_gt_u32_e32 vcc, 8, v23
	v_cndmask_b32_e32 v23, v57, v59, vcc
	v_cndmask_b32_e32 v55, v55, v58, vcc
	v_lshlrev_b32_e32 v22, 24, v22
	v_bfrev_b32_e32 v57, 60
	v_lshlrev_b32_e32 v55, 20, v55
	v_and_b32_e32 v22, 0x80000000, v22
	v_lshl_add_u32 v23, v23, 23, v57
	v_or3_b32 v22, v22, v23, v55
	v_lshrrev_b32_e32 v55, 16, v22
.LBB897_345:
	s_or_b64 exec, exec, s[8:9]
.LBB897_346:
	s_or_b64 exec, exec, s[2:3]
.LBB897_347:
	s_or_b64 exec, exec, s[0:1]
	s_mov_b32 s0, 0x5040100
	v_perm_b32 v23, v45, v53, s0
	v_perm_b32 v22, v43, v44, s0
	s_nop 1
	v_mfma_f32_16x16x16bf16_1k v[58:61], v[22:23], v[26:27], 0
	v_perm_b32 v27, v55, v56, s0
	v_perm_b32 v26, v42, v54, s0
	v_mov_b32_e32 v23, 0
	v_cmp_ne_u16_sdwa s[2:3], v24, v23 src0_sel:BYTE_0 src1_sel:DWORD
	v_mov_b32_e32 v42, 0
	v_mfma_f32_16x16x16bf16_1k v[26:29], v[26:27], v[28:29], v[58:61]
	s_and_saveexec_b64 s[0:1], s[2:3]
	s_cbranch_execz .LBB897_353
; %bb.348:
	s_movk_i32 s2, 0x80
	v_cmp_ne_u16_sdwa s[8:9], v24, s2 src0_sel:BYTE_0 src1_sel:DWORD
	v_mov_b32_e32 v42, 0xffff8000
	s_and_saveexec_b64 s[2:3], s[8:9]
	s_cbranch_execz .LBB897_352
; %bb.349:
	s_movk_i32 s8, 0x7f
	v_and_b32_e32 v22, 0x7f, v24
	v_cmp_ne_u32_e32 vcc, s8, v22
	v_mov_b32_e32 v42, 0x7f80
	s_and_saveexec_b64 s[8:9], vcc
	s_cbranch_execz .LBB897_351
; %bb.350:
	v_and_b32_e32 v44, 7, v24
	v_ffbh_u32_e32 v42, v44
	v_min_u32_e32 v53, 32, v42
	v_subrev_u32_e32 v42, 28, v53
	v_lshlrev_b64 v[42:43], v42, v[24:25]
	v_lshrrev_b32_e32 v45, 3, v22
	v_sub_u32_e32 v43, 29, v53
	v_and_b32_e32 v42, 7, v42
	v_cmp_gt_u32_e32 vcc, 8, v22
	v_cndmask_b32_e32 v22, v45, v43, vcc
	v_cndmask_b32_e32 v42, v44, v42, vcc
	v_lshlrev_b32_e32 v43, 24, v24
	v_bfrev_b32_e32 v44, 60
	v_lshlrev_b32_e32 v42, 20, v42
	v_and_b32_e32 v43, 0x80000000, v43
	v_lshl_add_u32 v22, v22, 23, v44
	v_or3_b32 v22, v43, v22, v42
	v_lshrrev_b32_e32 v42, 16, v22
.LBB897_351:
	s_or_b64 exec, exec, s[8:9]
.LBB897_352:
	s_or_b64 exec, exec, s[2:3]
.LBB897_353:
	s_or_b64 exec, exec, s[0:1]
	v_lshrrev_b16_e32 v22, 8, v24
	v_cmp_ne_u16_e32 vcc, 0, v22
	s_and_saveexec_b64 s[0:1], vcc
	s_cbranch_execz .LBB897_359
; %bb.354:
	s_movk_i32 s2, 0x80
	v_cmp_ne_u16_e32 vcc, s2, v22
	v_mov_b32_e32 v23, 0xffff8000
	s_and_saveexec_b64 s[2:3], vcc
	s_cbranch_execz .LBB897_358
; %bb.355:
	s_movk_i32 s8, 0x7f
	v_and_b32_e32 v43, 0x7f, v22
	v_cmp_ne_u32_e32 vcc, s8, v43
	v_mov_b32_e32 v23, 0x7f80
	s_and_saveexec_b64 s[8:9], vcc
	s_cbranch_execz .LBB897_357
; %bb.356:
	v_and_b32_e32 v44, 7, v22
	v_ffbh_u32_e32 v23, v44
	v_min_u32_e32 v53, 32, v23
	v_subrev_u32_e32 v23, 28, v53
	v_lshlrev_b64 v[22:23], v23, v[22:23]
	v_lshrrev_b32_e32 v45, 3, v43
	v_sub_u32_e32 v23, 29, v53
	v_and_b32_e32 v22, 7, v22
	v_cmp_gt_u32_e32 vcc, 8, v43
	v_cndmask_b32_e32 v23, v45, v23, vcc
	v_cndmask_b32_e32 v22, v44, v22, vcc
	v_lshlrev_b32_e32 v43, 16, v24
	v_bfrev_b32_e32 v44, 60
	v_lshlrev_b32_e32 v22, 20, v22
	v_and_b32_e32 v43, 0x80000000, v43
	v_lshl_add_u32 v23, v23, 23, v44
	v_or3_b32 v22, v43, v23, v22
	v_lshrrev_b32_e32 v23, 16, v22
.LBB897_357:
	s_or_b64 exec, exec, s[8:9]
.LBB897_358:
	s_or_b64 exec, exec, s[2:3]
.LBB897_359:
	s_or_b64 exec, exec, s[0:1]
	s_movk_i32 s0, 0xff
	v_and_b32_sdwa v45, v24, s0 dst_sel:DWORD dst_unused:UNUSED_PAD src0_sel:WORD_1 src1_sel:DWORD
	v_lshrrev_b32_e32 v22, 16, v24
	v_cmp_ne_u16_e32 vcc, 0, v45
	v_mov_b32_e32 v43, 0
	v_mov_b32_e32 v44, 0
	s_and_saveexec_b64 s[0:1], vcc
	s_cbranch_execz .LBB897_365
; %bb.360:
	s_movk_i32 s2, 0x80
	v_cmp_ne_u16_e32 vcc, s2, v45
	v_mov_b32_e32 v44, 0xffff8000
	s_and_saveexec_b64 s[2:3], vcc
	s_cbranch_execz .LBB897_364
; %bb.361:
	v_bfe_u32 v45, v24, 16, 7
	s_movk_i32 s8, 0x7f
	v_cmp_ne_u32_e32 vcc, s8, v45
	v_mov_b32_e32 v44, 0x7f80
	s_and_saveexec_b64 s[8:9], vcc
	s_cbranch_execz .LBB897_363
; %bb.362:
	v_and_b32_e32 v44, 7, v22
	v_ffbh_u32_e32 v54, v44
	v_min_u32_e32 v56, 32, v54
	v_subrev_u32_e32 v54, 28, v56
	v_lshlrev_b64 v[54:55], v54, v[22:23]
	v_lshrrev_b32_e32 v53, 3, v45
	v_sub_u32_e32 v22, 29, v56
	v_and_b32_e32 v54, 7, v54
	v_cmp_gt_u32_e32 vcc, 8, v45
	v_mov_b32_e32 v45, 24
	v_cndmask_b32_e32 v22, v53, v22, vcc
	v_cndmask_b32_e32 v44, v44, v54, vcc
	v_lshlrev_b32_sdwa v45, v45, v24 dst_sel:DWORD dst_unused:UNUSED_PAD src0_sel:DWORD src1_sel:WORD_1
	v_bfrev_b32_e32 v53, 60
	v_lshlrev_b32_e32 v44, 20, v44
	v_and_b32_e32 v45, 0x80000000, v45
	v_lshl_add_u32 v22, v22, 23, v53
	v_or3_b32 v22, v45, v22, v44
	v_lshrrev_b32_e32 v44, 16, v22
.LBB897_363:
	s_or_b64 exec, exec, s[8:9]
.LBB897_364:
	s_or_b64 exec, exec, s[2:3]
.LBB897_365:
	s_or_b64 exec, exec, s[0:1]
	s_mov_b32 s0, 0xffffff
	v_cmp_lt_u32_e32 vcc, s0, v24
	s_and_saveexec_b64 s[0:1], vcc
	s_cbranch_execz .LBB897_371
; %bb.366:
	v_lshrrev_b32_e32 v22, 24, v24
	s_movk_i32 s2, 0x80
	v_cmp_ne_u32_e32 vcc, s2, v22
	v_mov_b32_e32 v43, 0xffff8000
	s_and_saveexec_b64 s[2:3], vcc
	s_cbranch_execz .LBB897_370
; %bb.367:
	v_bfe_u32 v24, v24, 24, 7
	s_movk_i32 s8, 0x7f
	v_cmp_ne_u32_e32 vcc, s8, v24
	v_mov_b32_e32 v43, 0x7f80
	s_and_saveexec_b64 s[8:9], vcc
	s_cbranch_execz .LBB897_369
; %bb.368:
	v_and_b32_e32 v43, 7, v22
	v_ffbh_u32_e32 v53, v43
	v_min_u32_e32 v53, 32, v53
	v_subrev_u32_e32 v54, 28, v53
	v_lshlrev_b64 v[54:55], v54, v[22:23]
	v_lshrrev_b32_e32 v45, 3, v24
	v_sub_u32_e32 v53, 29, v53
	v_and_b32_e32 v54, 7, v54
	v_cmp_gt_u32_e32 vcc, 8, v24
	v_cndmask_b32_e32 v24, v45, v53, vcc
	v_cndmask_b32_e32 v43, v43, v54, vcc
	v_lshlrev_b32_e32 v22, 24, v22
	v_bfrev_b32_e32 v45, 60
	v_lshlrev_b32_e32 v43, 20, v43
	v_and_b32_e32 v22, 0x80000000, v22
	v_lshl_add_u32 v24, v24, 23, v45
	v_or3_b32 v22, v22, v24, v43
	v_lshrrev_b32_e32 v43, 16, v22
.LBB897_369:
	s_or_b64 exec, exec, s[8:9]
.LBB897_370:
	s_or_b64 exec, exec, s[2:3]
.LBB897_371:
	s_or_b64 exec, exec, s[0:1]
	v_mov_b32_e32 v24, 0
	v_cmp_ne_u16_sdwa s[2:3], v25, v24 src0_sel:BYTE_0 src1_sel:DWORD
	v_mov_b32_e32 v53, 0
	s_and_saveexec_b64 s[0:1], s[2:3]
	s_cbranch_execz .LBB897_377
; %bb.372:
	s_movk_i32 s2, 0x80
	v_cmp_ne_u16_sdwa s[8:9], v25, s2 src0_sel:BYTE_0 src1_sel:DWORD
	v_mov_b32_e32 v53, 0xffff8000
	s_and_saveexec_b64 s[2:3], s[8:9]
	s_cbranch_execz .LBB897_376
; %bb.373:
	s_movk_i32 s8, 0x7f
	v_and_b32_e32 v22, 0x7f, v25
	v_cmp_ne_u32_e32 vcc, s8, v22
	v_mov_b32_e32 v53, 0x7f80
	s_and_saveexec_b64 s[8:9], vcc
	s_cbranch_execz .LBB897_375
; %bb.374:
	v_and_b32_e32 v45, 7, v25
	v_ffbh_u32_e32 v55, v45
	v_min_u32_e32 v56, 32, v55
	v_mov_b32_e32 v54, v25
	v_subrev_u32_e32 v55, 28, v56
	v_lshlrev_b64 v[54:55], v55, v[54:55]
	v_lshrrev_b32_e32 v53, 3, v22
	v_sub_u32_e32 v55, 29, v56
	v_and_b32_e32 v54, 7, v54
	v_cmp_gt_u32_e32 vcc, 8, v22
	v_cndmask_b32_e32 v22, v53, v55, vcc
	v_cndmask_b32_e32 v45, v45, v54, vcc
	v_lshlrev_b32_e32 v53, 24, v25
	v_bfrev_b32_e32 v54, 60
	v_lshlrev_b32_e32 v45, 20, v45
	v_and_b32_e32 v53, 0x80000000, v53
	v_lshl_add_u32 v22, v22, 23, v54
	v_or3_b32 v22, v53, v22, v45
	v_lshrrev_b32_e32 v53, 16, v22
.LBB897_375:
	s_or_b64 exec, exec, s[8:9]
.LBB897_376:
	s_or_b64 exec, exec, s[2:3]
.LBB897_377:
	s_or_b64 exec, exec, s[0:1]
	v_lshrrev_b16_e32 v22, 8, v25
	v_cmp_ne_u16_e32 vcc, 0, v22
	s_and_saveexec_b64 s[0:1], vcc
	s_cbranch_execz .LBB897_383
; %bb.378:
	s_movk_i32 s2, 0x80
	v_cmp_ne_u16_e32 vcc, s2, v22
	v_mov_b32_e32 v24, 0xffff8000
	s_and_saveexec_b64 s[2:3], vcc
	s_cbranch_execz .LBB897_382
; %bb.379:
	s_movk_i32 s8, 0x7f
	v_and_b32_e32 v45, 0x7f, v22
	v_cmp_ne_u32_e32 vcc, s8, v45
	v_mov_b32_e32 v24, 0x7f80
	s_and_saveexec_b64 s[8:9], vcc
	s_cbranch_execz .LBB897_381
; %bb.380:
	v_and_b32_e32 v24, 7, v22
	v_ffbh_u32_e32 v54, v24
	v_min_u32_e32 v57, 32, v54
	v_subrev_u32_e32 v54, 28, v57
	v_lshlrev_b64 v[54:55], v54, v[22:23]
	v_lshrrev_b32_e32 v56, 3, v45
	v_sub_u32_e32 v22, 29, v57
	v_and_b32_e32 v54, 7, v54
	v_cmp_gt_u32_e32 vcc, 8, v45
	v_cndmask_b32_e32 v22, v56, v22, vcc
	v_cndmask_b32_e32 v24, v24, v54, vcc
	v_lshlrev_b32_e32 v45, 16, v25
	v_bfrev_b32_e32 v54, 60
	v_lshlrev_b32_e32 v24, 20, v24
	v_and_b32_e32 v45, 0x80000000, v45
	v_lshl_add_u32 v22, v22, 23, v54
	v_or3_b32 v22, v45, v22, v24
	v_lshrrev_b32_e32 v24, 16, v22
.LBB897_381:
	s_or_b64 exec, exec, s[8:9]
.LBB897_382:
	s_or_b64 exec, exec, s[2:3]
.LBB897_383:
	s_or_b64 exec, exec, s[0:1]
	s_movk_i32 s0, 0xff
	v_and_b32_sdwa v45, v25, s0 dst_sel:DWORD dst_unused:UNUSED_PAD src0_sel:WORD_1 src1_sel:DWORD
	v_lshrrev_b32_e32 v22, 16, v25
	v_cmp_ne_u16_e32 vcc, 0, v45
	v_mov_b32_e32 v54, 0
	v_mov_b32_e32 v55, 0
	s_and_saveexec_b64 s[0:1], vcc
	s_cbranch_execz .LBB897_389
; %bb.384:
	s_movk_i32 s2, 0x80
	v_cmp_ne_u16_e32 vcc, s2, v45
	v_mov_b32_e32 v55, 0xffff8000
	s_and_saveexec_b64 s[2:3], vcc
	s_cbranch_execz .LBB897_388
; %bb.385:
	v_bfe_u32 v45, v25, 16, 7
	s_movk_i32 s8, 0x7f
	v_cmp_ne_u32_e32 vcc, s8, v45
	v_mov_b32_e32 v55, 0x7f80
	s_and_saveexec_b64 s[8:9], vcc
	s_cbranch_execz .LBB897_387
; %bb.386:
	v_and_b32_e32 v55, 7, v22
	v_ffbh_u32_e32 v56, v55
	v_min_u32_e32 v59, 32, v56
	v_subrev_u32_e32 v56, 28, v59
	v_lshlrev_b64 v[56:57], v56, v[22:23]
	v_and_b32_e32 v56, 7, v56
	v_cmp_gt_u32_e32 vcc, 8, v45
	v_lshrrev_b32_e32 v58, 3, v45
	v_sub_u32_e32 v22, 29, v59
	v_cndmask_b32_e32 v45, v55, v56, vcc
	v_mov_b32_e32 v55, 24
	v_cndmask_b32_e32 v22, v58, v22, vcc
	v_lshlrev_b32_sdwa v55, v55, v25 dst_sel:DWORD dst_unused:UNUSED_PAD src0_sel:DWORD src1_sel:WORD_1
	v_bfrev_b32_e32 v56, 60
	v_lshlrev_b32_e32 v45, 20, v45
	v_and_b32_e32 v55, 0x80000000, v55
	v_lshl_add_u32 v22, v22, 23, v56
	v_or3_b32 v22, v55, v22, v45
	v_lshrrev_b32_e32 v55, 16, v22
.LBB897_387:
	s_or_b64 exec, exec, s[8:9]
.LBB897_388:
	s_or_b64 exec, exec, s[2:3]
.LBB897_389:
	s_or_b64 exec, exec, s[0:1]
	s_mov_b32 s0, 0xffffff
	v_and_b32_e32 v45, 63, v0
	v_cmp_lt_u32_e32 vcc, s0, v25
	s_and_saveexec_b64 s[0:1], vcc
	s_cbranch_execz .LBB897_395
; %bb.390:
	v_lshrrev_b32_e32 v22, 24, v25
	s_movk_i32 s2, 0x80
	v_cmp_ne_u32_e32 vcc, s2, v22
	v_mov_b32_e32 v54, 0xffff8000
	s_and_saveexec_b64 s[2:3], vcc
	s_cbranch_execz .LBB897_394
; %bb.391:
	v_bfe_u32 v25, v25, 24, 7
	s_movk_i32 s8, 0x7f
	v_cmp_ne_u32_e32 vcc, s8, v25
	v_mov_b32_e32 v54, 0x7f80
	s_and_saveexec_b64 s[8:9], vcc
	s_cbranch_execz .LBB897_393
; %bb.392:
	v_and_b32_e32 v54, 7, v22
	v_ffbh_u32_e32 v56, v54
	v_min_u32_e32 v59, 32, v56
	v_subrev_u32_e32 v56, 28, v59
	v_lshlrev_b64 v[56:57], v56, v[22:23]
	v_lshrrev_b32_e32 v58, 3, v25
	v_sub_u32_e32 v57, 29, v59
	v_and_b32_e32 v56, 7, v56
	v_cmp_gt_u32_e32 vcc, 8, v25
	v_cndmask_b32_e32 v25, v58, v57, vcc
	v_cndmask_b32_e32 v54, v54, v56, vcc
	v_lshlrev_b32_e32 v22, 24, v22
	v_bfrev_b32_e32 v56, 60
	v_lshlrev_b32_e32 v54, 20, v54
	v_and_b32_e32 v22, 0x80000000, v22
	v_lshl_add_u32 v25, v25, 23, v56
	v_or3_b32 v22, v22, v25, v54
	v_lshrrev_b32_e32 v54, 16, v22
.LBB897_393:
	s_or_b64 exec, exec, s[8:9]
.LBB897_394:
	s_or_b64 exec, exec, s[2:3]
.LBB897_395:
	s_or_b64 exec, exec, s[0:1]
	s_mov_b32 s1, 0x5040100
	v_perm_b32 v43, v43, v44, s1
	v_perm_b32 v42, v23, v42, s1
	s_load_dword s0, s[4:5], 0x1c
	s_mov_b32 s40, 0xff7fffff
	s_waitcnt lgkmcnt(0)
	v_mfma_f32_16x16x16bf16_1k v[26:29], v[42:43], v[18:19], v[26:29]
	v_perm_b32 v19, v54, v55, s1
	v_perm_b32 v18, v24, v53, s1
	v_and_b32_e32 v24, 0xc0, v0
	v_mov_b32_e32 v22, s0
	v_add_u32_e32 v24, s20, v24
	v_mul_f32_e32 v44, s10, v22
	v_lshl_or_b32 v42, v49, 2, v24
	v_mfma_f32_16x16x16bf16_1k v[18:21], v[18:19], v[20:21], v[26:29]
	v_pk_mul_f32 v[22:23], v[44:45], v[36:37] op_sel_hi:[0,1]
	v_pk_mul_f32 v[36:37], v[44:45], v[40:41] op_sel_hi:[0,1]
	;; [unrolled: 1-line block ×4, first 2 shown]
	v_mov_b32_e32 v43, 0xff7fffff
	v_cmp_gt_i32_e64 s[24:25], s33, v42
	v_pk_mul_f32 v[38:39], v[44:45], v[38:39] op_sel_hi:[0,1]
	s_nop 3
	v_pk_mul_f32 v[32:33], v[44:45], v[18:19] op_sel_hi:[0,1]
	v_or_b32_e32 v19, 1, v42
	v_cmp_gt_i32_e64 s[26:27], s33, v19
	v_cndmask_b32_e64 v18, v43, v30, s[24:25]
	v_cndmask_b32_e64 v19, v43, v31, s[26:27]
	v_pk_mul_f32 v[24:25], v[44:45], v[20:21] op_sel_hi:[0,1]
	v_max3_f32 v18, v18, s40, v19
	v_or_b32_e32 v19, 2, v42
	v_or_b32_e32 v20, 3, v42
	v_cmp_gt_i32_e64 s[28:29], s33, v19
	v_cmp_gt_i32_e64 s[30:31], s33, v20
	v_cndmask_b32_e64 v19, v43, v40, s[28:29]
	v_cndmask_b32_e64 v20, v43, v41, s[30:31]
	v_max3_f32 v18, v18, v19, v20
	v_or_b32_e32 v19, 16, v42
	v_or_b32_e32 v20, 17, v42
	v_cmp_gt_i32_e64 s[34:35], s33, v19
	v_cmp_gt_i32_e64 s[36:37], s33, v20
	v_cndmask_b32_e64 v19, v43, v38, s[34:35]
	v_cndmask_b32_e64 v20, v43, v39, s[36:37]
	;; [unrolled: 7-line block ×3, first 2 shown]
	v_max3_f32 v18, v18, v19, v20
	v_or_b32_e32 v19, 32, v42
	v_or_b32_e32 v20, 33, v42
	v_pk_mul_f32 v[34:35], v[44:45], v[34:35] op_sel_hi:[0,1]
	v_cmp_gt_i32_e64 s[14:15], s33, v19
	v_cmp_gt_i32_e64 s[16:17], s33, v20
	v_cndmask_b32_e64 v19, v43, v34, s[14:15]
	v_cndmask_b32_e64 v20, v43, v35, s[16:17]
	v_max3_f32 v18, v18, v19, v20
	v_or_b32_e32 v19, 34, v42
	v_or_b32_e32 v20, 35, v42
	v_cmp_gt_i32_e64 s[10:11], s33, v19
	v_cmp_gt_i32_e64 s[12:13], s33, v20
	v_cndmask_b32_e64 v19, v43, v22, s[10:11]
	v_cndmask_b32_e64 v20, v43, v23, s[12:13]
	v_max3_f32 v18, v18, v19, v20
	v_or_b32_e32 v19, 48, v42
	v_or_b32_e32 v20, 49, v42
	;; [unrolled: 7-line block ×3, first 2 shown]
	v_cmp_gt_i32_e32 vcc, s33, v19
	v_cmp_gt_i32_e64 s[0:1], s33, v20
	v_cndmask_b32_e32 v19, v43, v24, vcc
	v_cndmask_b32_e64 v20, v43, v25, s[0:1]
	v_max3_f32 v18, v18, v19, v20
	v_mbcnt_lo_u32_b32 v19, -1, 0
	v_mbcnt_hi_u32_b32 v19, -1, v19
	v_and_b32_e32 v20, 64, v19
	v_add_u32_e32 v20, 64, v20
	v_xor_b32_e32 v21, 32, v19
	v_cmp_lt_i32_e64 s[38:39], v21, v20
	v_cndmask_b32_e64 v21, v19, v21, s[38:39]
	v_lshlrev_b32_e32 v43, 2, v21
	ds_bpermute_b32 v21, v43, v18
	s_barrier
	s_waitcnt lgkmcnt(0)
	v_max_f32_e32 v21, v21, v21
	v_max_f32_e32 v18, v18, v21
	v_xor_b32_e32 v21, 16, v19
	v_cmp_lt_i32_e64 s[38:39], v21, v20
	v_cndmask_b32_e64 v19, v19, v21, s[38:39]
	v_lshlrev_b32_e32 v44, 2, v19
	ds_bpermute_b32 v19, v44, v18
	s_waitcnt lgkmcnt(0)
	v_max_f32_e32 v19, v19, v19
	v_max_f32_e32 v42, v18, v19
	v_sub_f32_e32 v21, v40, v42
	v_sub_f32_e32 v26, v41, v42
	v_mul_f32_e32 v21, 0x3fb8aa3b, v21
	v_mul_f32_e32 v26, 0x3fb8aa3b, v26
	v_sub_f32_e32 v18, v30, v42
	v_exp_f32_e32 v21, v21
	v_exp_f32_e32 v26, v26
	v_mul_f32_e32 v18, 0x3fb8aa3b, v18
	v_sub_f32_e32 v19, v31, v42
	v_exp_f32_e32 v18, v18
	v_mul_f32_e32 v19, 0x3fb8aa3b, v19
	v_exp_f32_e32 v19, v19
	v_cndmask_b32_e64 v28, 0, v21, s[28:29]
	v_cndmask_b32_e64 v29, 0, v26, s[30:31]
	v_sub_f32_e32 v21, v38, v42
	v_sub_f32_e32 v26, v39, v42
	v_mul_f32_e32 v21, 0x3fb8aa3b, v21
	v_mul_f32_e32 v26, 0x3fb8aa3b, v26
	v_cndmask_b32_e64 v18, 0, v18, s[24:25]
	v_exp_f32_e32 v21, v21
	v_exp_f32_e32 v26, v26
	v_add_f32_e32 v20, 0, v18
	v_cndmask_b32_e64 v19, 0, v19, s[26:27]
	v_add_f32_e32 v20, v20, v19
	v_add_f32_e32 v20, v20, v28
	;; [unrolled: 1-line block ×3, first 2 shown]
	v_cndmask_b32_e64 v20, 0, v21, s[34:35]
	v_cndmask_b32_e64 v21, 0, v26, s[36:37]
	v_sub_f32_e32 v26, v36, v42
	v_mul_f32_e32 v26, 0x3fb8aa3b, v26
	v_exp_f32_e32 v26, v26
	v_sub_f32_e32 v30, v37, v42
	v_add_f32_e32 v27, v27, v20
	v_mul_f32_e32 v30, 0x3fb8aa3b, v30
	v_exp_f32_e32 v31, v30
	v_add_f32_e32 v27, v27, v21
	v_cndmask_b32_e64 v30, 0, v26, s[18:19]
	v_add_f32_e32 v26, v27, v30
	v_sub_f32_e32 v27, v34, v42
	v_mul_f32_e32 v27, 0x3fb8aa3b, v27
	v_sub_f32_e32 v34, v35, v42
	v_exp_f32_e32 v27, v27
	v_mul_f32_e32 v34, 0x3fb8aa3b, v34
	v_sub_f32_e32 v22, v22, v42
	v_exp_f32_e32 v34, v34
	v_mul_f32_e32 v22, 0x3fb8aa3b, v22
	v_sub_f32_e32 v23, v23, v42
	v_exp_f32_e32 v22, v22
	v_mul_f32_e32 v23, 0x3fb8aa3b, v23
	v_cndmask_b32_e64 v31, 0, v31, s[20:21]
	v_exp_f32_e32 v23, v23
	v_add_f32_e32 v35, v26, v31
	v_cndmask_b32_e64 v26, 0, v27, s[14:15]
	v_add_f32_e32 v35, v35, v26
	v_cndmask_b32_e64 v27, 0, v34, s[16:17]
	;; [unrolled: 2-line block ×4, first 2 shown]
	v_sub_f32_e32 v23, v32, v42
	v_mul_f32_e32 v23, 0x3fb8aa3b, v23
	v_sub_f32_e32 v32, v33, v42
	v_exp_f32_e32 v23, v23
	v_mul_f32_e32 v32, 0x3fb8aa3b, v32
	v_sub_f32_e32 v24, v24, v42
	v_exp_f32_e32 v32, v32
	;; [unrolled: 3-line block ×3, first 2 shown]
	v_mul_f32_e32 v25, 0x3fb8aa3b, v25
	v_exp_f32_e32 v25, v25
	v_add_f32_e32 v33, v22, v35
	v_cndmask_b32_e64 v22, 0, v23, s[2:3]
	v_add_f32_e32 v33, v33, v22
	v_cndmask_b32_e64 v23, 0, v32, s[8:9]
	v_add_f32_e32 v32, v33, v23
	v_cndmask_b32_e32 v24, 0, v24, vcc
	v_add_f32_e32 v32, v32, v24
	v_cndmask_b32_e64 v25, 0, v25, s[0:1]
	v_add_f32_e32 v32, v32, v25
	ds_bpermute_b32 v33, v43, v32
	v_cmp_gt_u32_e32 vcc, 16, v45
	s_waitcnt lgkmcnt(0)
	v_add_f32_e32 v32, v32, v33
	ds_bpermute_b32 v36, v44, v32
	v_lshlrev_b32_e32 v33, 2, v52
	s_and_saveexec_b64 s[0:1], vcc
	s_cbranch_execz .LBB897_397
; %bb.396:
	s_waitcnt lgkmcnt(0)
	v_add_f32_e32 v32, v32, v36
	v_lshl_or_b32 v36, v51, 6, v33
	ds_write2st64_b32 v36, v42, v32 offset1:1
.LBB897_397:
	s_or_b64 exec, exec, s[0:1]
	s_waitcnt lgkmcnt(0)
	s_barrier
	ds_read2_b32 v[36:37], v33 offset1:16
	ds_read2_b32 v[38:39], v33 offset0:32 offset1:48
	ds_read2_b32 v[40:41], v33 offset0:64 offset1:80
	s_lshl_b32 s10, s47, 2
	s_waitcnt lgkmcnt(2)
	v_max3_f32 v32, v36, s40, v37
	s_waitcnt lgkmcnt(1)
	v_max3_f32 v32, v32, v38, v39
	v_sub_f32_e32 v36, v36, v32
	v_mul_f32_e32 v36, 0x3fb8aa3b, v36
	v_exp_f32_e32 v42, v36
	v_sub_f32_e32 v36, v37, v32
	v_mul_f32_e32 v36, 0x3fb8aa3b, v36
	v_exp_f32_e32 v43, v36
	;; [unrolled: 3-line block ×3, first 2 shown]
	ds_read2_b32 v[36:37], v33 offset0:96 offset1:112
	v_sub_f32_e32 v33, v39, v32
	v_mul_f32_e32 v33, 0x3fb8aa3b, v33
	v_exp_f32_e32 v39, v33
	s_waitcnt lgkmcnt(1)
	v_fma_f32 v33, v42, v40, 0
	v_fmac_f32_e32 v33, v43, v41
	s_waitcnt lgkmcnt(0)
	v_fmac_f32_e32 v33, v38, v36
	v_fmac_f32_e32 v33, v39, v37
	v_add_f32_e32 v36, 0x358637bd, v33
	v_div_scale_f32 v37, s[0:1], v36, v36, 1.0
	v_rcp_f32_e32 v40, v37
	s_movk_i32 s0, 0x7fff
	s_mov_b32 s1, 0x7060302
	v_fma_f32 v41, -v37, v40, 1.0
	v_fmac_f32_e32 v40, v41, v40
	v_div_scale_f32 v41, vcc, 1.0, v36, 1.0
	v_mul_f32_e32 v44, v41, v40
	v_fma_f32 v45, -v37, v44, v41
	v_fmac_f32_e32 v44, v45, v40
	v_fma_f32 v37, -v37, v44, v41
	v_div_fmas_f32 v37, v37, v40, v44
	v_cmp_eq_u32_e32 vcc, 1, v51
	v_div_fixup_f32 v36, v37, v36, 1.0
	v_cndmask_b32_e32 v37, v42, v43, vcc
	v_cmp_eq_u32_e32 vcc, 2, v51
	v_cndmask_b32_e32 v37, v37, v38, vcc
	v_cmp_eq_u32_e32 vcc, 3, v51
	v_cndmask_b32_e32 v37, v37, v39, vcc
	v_mul_f32_e32 v36, v37, v36
	v_pk_mul_f32 v[18:19], v[36:37], v[18:19] op_sel_hi:[0,1]
	v_pk_mul_f32 v[28:29], v[36:37], v[28:29] op_sel_hi:[0,1]
	v_bfe_u32 v37, v19, 16, 1
	v_bfe_u32 v38, v18, 16, 1
	v_add3_u32 v18, v18, v38, s0
	v_add3_u32 v19, v19, v37, s0
	v_perm_b32 v18, v19, v18, s1
	v_bfe_u32 v19, v29, 16, 1
	v_bfe_u32 v37, v28, 16, 1
	v_add3_u32 v28, v28, v37, s0
	v_add3_u32 v19, v29, v19, s0
	v_perm_b32 v19, v19, v28, s1
	v_lshlrev_b32_e32 v28, 3, v49
	v_lshlrev_b32_e32 v29, 11, v51
	v_pk_mul_f32 v[20:21], v[36:37], v[20:21] op_sel_hi:[0,1]
	v_or3_b32 v28, v29, v50, v28
	v_pk_mul_f32 v[30:31], v[36:37], v[30:31] op_sel_hi:[0,1]
	v_bfe_u32 v29, v21, 16, 1
	v_bfe_u32 v37, v20, 16, 1
	v_add3_u32 v20, v20, v37, s0
	v_add3_u32 v21, v21, v29, s0
	v_perm_b32 v20, v21, v20, s1
	v_bfe_u32 v21, v31, 16, 1
	v_bfe_u32 v29, v30, 16, 1
	v_add3_u32 v29, v30, v29, s0
	v_add3_u32 v21, v31, v21, s0
	v_perm_b32 v21, v21, v29, s1
	s_barrier
	ds_write2st64_b64 v28, v[18:19], v[20:21] offset1:1
	v_pk_mul_f32 v[20:21], v[36:37], v[26:27] op_sel_hi:[0,1]
	v_bfe_u32 v26, v21, 16, 1
	v_bfe_u32 v27, v20, 16, 1
	v_pk_mul_f32 v[18:19], v[36:37], v[34:35] op_sel_hi:[0,1]
	v_add3_u32 v20, v20, v27, s0
	v_add3_u32 v21, v21, v26, s0
	v_perm_b32 v20, v21, v20, s1
	v_bfe_u32 v21, v19, 16, 1
	v_bfe_u32 v26, v18, 16, 1
	v_add3_u32 v18, v18, v26, s0
	v_add3_u32 v19, v19, v21, s0
	v_pk_mul_f32 v[22:23], v[36:37], v[22:23] op_sel_hi:[0,1]
	v_perm_b32 v21, v19, v18, s1
	v_pk_mul_f32 v[18:19], v[36:37], v[24:25] op_sel_hi:[0,1]
	v_bfe_u32 v24, v23, 16, 1
	v_bfe_u32 v25, v22, 16, 1
	v_add3_u32 v22, v22, v25, s0
	v_add3_u32 v23, v23, v24, s0
	v_perm_b32 v22, v23, v22, s1
	v_bfe_u32 v23, v19, 16, 1
	v_bfe_u32 v24, v18, 16, 1
	v_add3_u32 v18, v18, v24, s0
	v_add3_u32 v19, v19, v23, s0
	v_perm_b32 v23, v19, v18, s1
	v_cmp_gt_u32_e32 vcc, 4, v0
	ds_write2st64_b64 v28, v[20:21], v[22:23] offset0:2 offset1:3
	s_and_saveexec_b64 s[0:1], vcc
	s_cbranch_execz .LBB897_399
; %bb.398:
	v_or_b32_e32 v18, s23, v0
	v_mov_b32_e32 v19, 0
	v_mov_b32_e32 v20, s10
	v_mad_u64_u32 v[20:21], s[2:3], s6, v20, v[18:19]
	v_mov_b32_e32 v18, s22
	s_load_dwordx4 s[12:15], s[4:5], 0x58
	s_mul_i32 s7, s7, s10
	v_mad_u64_u32 v[18:19], s[2:3], v20, s46, v[18:19]
	v_add_u32_e32 v21, s7, v21
	v_mov_b32_e32 v20, v19
	v_mad_u64_u32 v[20:21], s[2:3], v21, s46, v[20:21]
	v_mov_b32_e32 v19, v20
	v_lshlrev_b64 v[18:19], 2, v[18:19]
	s_waitcnt lgkmcnt(0)
	v_mov_b32_e32 v21, s15
	v_add_co_u32_e32 v20, vcc, s14, v18
	v_addc_co_u32_e32 v21, vcc, v21, v19, vcc
	global_store_dword v[20:21], v32, off
	v_mov_b32_e32 v20, s13
	v_add_co_u32_e32 v18, vcc, s12, v18
	v_addc_co_u32_e32 v19, vcc, v20, v19, vcc
	global_store_dword v[18:19], v33, off
.LBB897_399:
	s_or_b64 exec, exec, s[0:1]
	v_mov_b32_e32 v19, 0
	s_waitcnt vmcnt(3)
	v_cmp_ne_u16_sdwa s[2:3], v14, v19 src0_sel:BYTE_0 src1_sel:DWORD
	v_mov_b32_e32 v20, 0
	s_waitcnt lgkmcnt(0)
	s_barrier
	s_and_saveexec_b64 s[0:1], s[2:3]
	s_cbranch_execz .LBB897_405
; %bb.400:
	s_movk_i32 s2, 0x80
	v_cmp_ne_u16_sdwa s[8:9], v14, s2 src0_sel:BYTE_0 src1_sel:DWORD
	v_mov_b32_e32 v20, 0xffff8000
	s_and_saveexec_b64 s[2:3], s[8:9]
	s_cbranch_execz .LBB897_404
; %bb.401:
	s_movk_i32 s7, 0x7f
	v_and_b32_e32 v18, 0x7f, v14
	v_cmp_ne_u32_e32 vcc, s7, v18
	v_mov_b32_e32 v20, 0x7f80
	s_and_saveexec_b64 s[8:9], vcc
	s_cbranch_execz .LBB897_403
; %bb.402:
	v_and_b32_e32 v22, 7, v14
	v_ffbh_u32_e32 v20, v22
	v_min_u32_e32 v24, 32, v20
	v_subrev_u32_e32 v20, 28, v24
	v_lshlrev_b64 v[20:21], v20, v[14:15]
	v_lshrrev_b32_e32 v23, 3, v18
	v_sub_u32_e32 v21, 29, v24
	v_and_b32_e32 v20, 7, v20
	v_cmp_gt_u32_e32 vcc, 8, v18
	v_cndmask_b32_e32 v18, v23, v21, vcc
	v_cndmask_b32_e32 v20, v22, v20, vcc
	v_lshlrev_b32_e32 v21, 24, v14
	v_bfrev_b32_e32 v22, 60
	v_lshlrev_b32_e32 v20, 20, v20
	v_and_b32_e32 v21, 0x80000000, v21
	v_lshl_add_u32 v18, v18, 23, v22
	v_or3_b32 v18, v21, v18, v20
	v_lshrrev_b32_e32 v20, 16, v18
.LBB897_403:
	s_or_b64 exec, exec, s[8:9]
.LBB897_404:
	s_or_b64 exec, exec, s[2:3]
.LBB897_405:
	s_or_b64 exec, exec, s[0:1]
	v_lshrrev_b16_e32 v18, 8, v14
	v_cmp_ne_u16_e32 vcc, 0, v18
	s_and_saveexec_b64 s[0:1], vcc
	s_cbranch_execz .LBB897_411
; %bb.406:
	s_movk_i32 s2, 0x80
	v_cmp_ne_u16_e32 vcc, s2, v18
	v_mov_b32_e32 v19, 0xffff8000
	s_and_saveexec_b64 s[2:3], vcc
	s_cbranch_execz .LBB897_410
; %bb.407:
	s_movk_i32 s7, 0x7f
	v_and_b32_e32 v21, 0x7f, v18
	v_cmp_ne_u32_e32 vcc, s7, v21
	v_mov_b32_e32 v19, 0x7f80
	s_and_saveexec_b64 s[8:9], vcc
	s_cbranch_execz .LBB897_409
; %bb.408:
	v_and_b32_e32 v22, 7, v18
	v_ffbh_u32_e32 v19, v22
	v_min_u32_e32 v24, 32, v19
	v_subrev_u32_e32 v19, 28, v24
	v_lshlrev_b64 v[18:19], v19, v[18:19]
	v_lshrrev_b32_e32 v23, 3, v21
	v_sub_u32_e32 v19, 29, v24
	v_and_b32_e32 v18, 7, v18
	v_cmp_gt_u32_e32 vcc, 8, v21
	v_cndmask_b32_e32 v19, v23, v19, vcc
	v_cndmask_b32_e32 v18, v22, v18, vcc
	v_lshlrev_b32_e32 v21, 16, v14
	v_bfrev_b32_e32 v22, 60
	v_lshlrev_b32_e32 v18, 20, v18
	v_and_b32_e32 v21, 0x80000000, v21
	v_lshl_add_u32 v19, v19, 23, v22
	v_or3_b32 v18, v21, v19, v18
	v_lshrrev_b32_e32 v19, 16, v18
.LBB897_409:
	s_or_b64 exec, exec, s[8:9]
.LBB897_410:
	s_or_b64 exec, exec, s[2:3]
.LBB897_411:
	s_or_b64 exec, exec, s[0:1]
	s_movk_i32 s0, 0xff
	v_and_b32_sdwa v23, v14, s0 dst_sel:DWORD dst_unused:UNUSED_PAD src0_sel:WORD_1 src1_sel:DWORD
	v_lshrrev_b32_e32 v18, 16, v14
	v_cmp_ne_u16_e32 vcc, 0, v23
	v_mov_b32_e32 v21, 0
	v_mov_b32_e32 v22, 0
	s_and_saveexec_b64 s[0:1], vcc
	s_cbranch_execz .LBB897_417
; %bb.412:
	s_movk_i32 s2, 0x80
	v_cmp_ne_u16_e32 vcc, s2, v23
	v_mov_b32_e32 v22, 0xffff8000
	s_and_saveexec_b64 s[2:3], vcc
	s_cbranch_execz .LBB897_416
; %bb.413:
	v_bfe_u32 v23, v14, 16, 7
	s_movk_i32 s7, 0x7f
	v_cmp_ne_u32_e32 vcc, s7, v23
	v_mov_b32_e32 v22, 0x7f80
	s_and_saveexec_b64 s[8:9], vcc
	s_cbranch_execz .LBB897_415
; %bb.414:
	v_and_b32_e32 v22, 7, v18
	v_ffbh_u32_e32 v24, v22
	v_min_u32_e32 v27, 32, v24
	v_subrev_u32_e32 v24, 28, v27
	v_lshlrev_b64 v[24:25], v24, v[18:19]
	v_lshrrev_b32_e32 v26, 3, v23
	v_sub_u32_e32 v18, 29, v27
	v_and_b32_e32 v24, 7, v24
	v_cmp_gt_u32_e32 vcc, 8, v23
	v_mov_b32_e32 v23, 24
	v_cndmask_b32_e32 v18, v26, v18, vcc
	v_cndmask_b32_e32 v22, v22, v24, vcc
	v_lshlrev_b32_sdwa v23, v23, v14 dst_sel:DWORD dst_unused:UNUSED_PAD src0_sel:DWORD src1_sel:WORD_1
	v_bfrev_b32_e32 v24, 60
	v_lshlrev_b32_e32 v22, 20, v22
	v_and_b32_e32 v23, 0x80000000, v23
	v_lshl_add_u32 v18, v18, 23, v24
	v_or3_b32 v18, v23, v18, v22
	v_lshrrev_b32_e32 v22, 16, v18
.LBB897_415:
	s_or_b64 exec, exec, s[8:9]
.LBB897_416:
	s_or_b64 exec, exec, s[2:3]
.LBB897_417:
	s_or_b64 exec, exec, s[0:1]
	s_mov_b32 s0, 0xffffff
	v_cmp_lt_u32_e32 vcc, s0, v14
	s_and_saveexec_b64 s[0:1], vcc
	s_cbranch_execz .LBB897_423
; %bb.418:
	v_lshrrev_b32_e32 v18, 24, v14
	s_movk_i32 s2, 0x80
	v_cmp_ne_u32_e32 vcc, s2, v18
	v_mov_b32_e32 v21, 0xffff8000
	s_and_saveexec_b64 s[2:3], vcc
	s_cbranch_execz .LBB897_422
; %bb.419:
	v_bfe_u32 v14, v14, 24, 7
	s_movk_i32 s7, 0x7f
	v_cmp_ne_u32_e32 vcc, s7, v14
	v_mov_b32_e32 v21, 0x7f80
	s_and_saveexec_b64 s[8:9], vcc
	s_cbranch_execz .LBB897_421
; %bb.420:
	v_and_b32_e32 v21, 7, v18
	v_ffbh_u32_e32 v24, v21
	v_min_u32_e32 v26, 32, v24
	v_subrev_u32_e32 v24, 28, v26
	v_lshlrev_b64 v[24:25], v24, v[18:19]
	v_lshrrev_b32_e32 v23, 3, v14
	v_sub_u32_e32 v25, 29, v26
	v_and_b32_e32 v24, 7, v24
	v_cmp_gt_u32_e32 vcc, 8, v14
	v_cndmask_b32_e32 v14, v23, v25, vcc
	v_cndmask_b32_e32 v21, v21, v24, vcc
	v_lshlrev_b32_e32 v18, 24, v18
	v_bfrev_b32_e32 v23, 60
	v_lshlrev_b32_e32 v21, 20, v21
	v_and_b32_e32 v18, 0x80000000, v18
	v_lshl_add_u32 v14, v14, 23, v23
	v_or3_b32 v14, v18, v14, v21
	v_lshrrev_b32_e32 v21, 16, v14
.LBB897_421:
	s_or_b64 exec, exec, s[8:9]
.LBB897_422:
	s_or_b64 exec, exec, s[2:3]
.LBB897_423:
	s_or_b64 exec, exec, s[0:1]
	v_mov_b32_e32 v18, 0
	v_cmp_ne_u16_sdwa s[2:3], v15, v18 src0_sel:BYTE_0 src1_sel:DWORD
	v_mov_b32_e32 v23, 0
	s_and_saveexec_b64 s[0:1], s[2:3]
	s_cbranch_execz .LBB897_429
; %bb.424:
	s_movk_i32 s2, 0x80
	v_cmp_ne_u16_sdwa s[8:9], v15, s2 src0_sel:BYTE_0 src1_sel:DWORD
	v_mov_b32_e32 v23, 0xffff8000
	s_and_saveexec_b64 s[2:3], s[8:9]
	s_cbranch_execz .LBB897_428
; %bb.425:
	s_movk_i32 s7, 0x7f
	v_and_b32_e32 v14, 0x7f, v15
	v_cmp_ne_u32_e32 vcc, s7, v14
	v_mov_b32_e32 v23, 0x7f80
	s_and_saveexec_b64 s[8:9], vcc
	s_cbranch_execz .LBB897_427
; %bb.426:
	v_and_b32_e32 v23, 7, v15
	v_ffbh_u32_e32 v25, v23
	v_min_u32_e32 v27, 32, v25
	v_mov_b32_e32 v24, v15
	v_subrev_u32_e32 v25, 28, v27
	v_lshlrev_b64 v[24:25], v25, v[24:25]
	v_lshrrev_b32_e32 v26, 3, v14
	v_sub_u32_e32 v25, 29, v27
	v_and_b32_e32 v24, 7, v24
	v_cmp_gt_u32_e32 vcc, 8, v14
	v_cndmask_b32_e32 v14, v26, v25, vcc
	v_cndmask_b32_e32 v23, v23, v24, vcc
	v_lshlrev_b32_e32 v24, 24, v15
	v_bfrev_b32_e32 v25, 60
	v_lshlrev_b32_e32 v23, 20, v23
	v_and_b32_e32 v24, 0x80000000, v24
	v_lshl_add_u32 v14, v14, 23, v25
	v_or3_b32 v14, v24, v14, v23
	v_lshrrev_b32_e32 v23, 16, v14
.LBB897_427:
	s_or_b64 exec, exec, s[8:9]
.LBB897_428:
	s_or_b64 exec, exec, s[2:3]
.LBB897_429:
	s_or_b64 exec, exec, s[0:1]
	v_lshrrev_b16_e32 v14, 8, v15
	v_cmp_ne_u16_e32 vcc, 0, v14
	s_and_saveexec_b64 s[0:1], vcc
	s_cbranch_execz .LBB897_435
; %bb.430:
	s_movk_i32 s2, 0x80
	v_cmp_ne_u16_e32 vcc, s2, v14
	v_mov_b32_e32 v18, 0xffff8000
	s_and_saveexec_b64 s[2:3], vcc
	s_cbranch_execz .LBB897_434
; %bb.431:
	s_movk_i32 s7, 0x7f
	v_and_b32_e32 v24, 0x7f, v14
	v_cmp_ne_u32_e32 vcc, s7, v24
	v_mov_b32_e32 v18, 0x7f80
	s_and_saveexec_b64 s[8:9], vcc
	s_cbranch_execz .LBB897_433
; %bb.432:
	v_and_b32_e32 v18, 7, v14
	v_ffbh_u32_e32 v26, v18
	v_min_u32_e32 v29, 32, v26
	v_subrev_u32_e32 v26, 28, v29
	v_lshlrev_b64 v[26:27], v26, v[14:15]
	v_lshrrev_b32_e32 v25, 3, v24
	v_sub_u32_e32 v14, 29, v29
	v_and_b32_e32 v26, 7, v26
	v_cmp_gt_u32_e32 vcc, 8, v24
	v_cndmask_b32_e32 v14, v25, v14, vcc
	v_cndmask_b32_e32 v18, v18, v26, vcc
	v_lshlrev_b32_e32 v24, 16, v15
	v_bfrev_b32_e32 v25, 60
	v_lshlrev_b32_e32 v18, 20, v18
	v_and_b32_e32 v24, 0x80000000, v24
	v_lshl_add_u32 v14, v14, 23, v25
	v_or3_b32 v14, v24, v14, v18
	v_lshrrev_b32_e32 v18, 16, v14
.LBB897_433:
	s_or_b64 exec, exec, s[8:9]
.LBB897_434:
	s_or_b64 exec, exec, s[2:3]
.LBB897_435:
	s_or_b64 exec, exec, s[0:1]
	s_movk_i32 s0, 0xff
	v_and_b32_sdwa v26, v15, s0 dst_sel:DWORD dst_unused:UNUSED_PAD src0_sel:WORD_1 src1_sel:DWORD
	v_lshrrev_b32_e32 v14, 16, v15
	v_cmp_ne_u16_e32 vcc, 0, v26
	v_mov_b32_e32 v24, 0
	v_mov_b32_e32 v25, 0
	s_and_saveexec_b64 s[0:1], vcc
	s_cbranch_execz .LBB897_441
; %bb.436:
	s_movk_i32 s2, 0x80
	v_cmp_ne_u16_e32 vcc, s2, v26
	v_mov_b32_e32 v25, 0xffff8000
	s_and_saveexec_b64 s[2:3], vcc
	s_cbranch_execz .LBB897_440
; %bb.437:
	v_bfe_u32 v26, v15, 16, 7
	s_movk_i32 s7, 0x7f
	v_cmp_ne_u32_e32 vcc, s7, v26
	v_mov_b32_e32 v25, 0x7f80
	s_and_saveexec_b64 s[8:9], vcc
	s_cbranch_execz .LBB897_439
; %bb.438:
	v_and_b32_e32 v25, 7, v14
	v_ffbh_u32_e32 v29, v25
	v_min_u32_e32 v29, 32, v29
	v_subrev_u32_e32 v30, 28, v29
	v_lshlrev_b64 v[30:31], v30, v[14:15]
	v_lshrrev_b32_e32 v27, 3, v26
	v_sub_u32_e32 v14, 29, v29
	v_and_b32_e32 v29, 7, v30
	v_cmp_gt_u32_e32 vcc, 8, v26
	v_mov_b32_e32 v26, 24
	v_cndmask_b32_e32 v14, v27, v14, vcc
	v_cndmask_b32_e32 v25, v25, v29, vcc
	v_lshlrev_b32_sdwa v26, v26, v15 dst_sel:DWORD dst_unused:UNUSED_PAD src0_sel:DWORD src1_sel:WORD_1
	v_bfrev_b32_e32 v27, 60
	v_lshlrev_b32_e32 v25, 20, v25
	v_and_b32_e32 v26, 0x80000000, v26
	v_lshl_add_u32 v14, v14, 23, v27
	v_or3_b32 v14, v26, v14, v25
	v_lshrrev_b32_e32 v25, 16, v14
.LBB897_439:
	s_or_b64 exec, exec, s[8:9]
.LBB897_440:
	s_or_b64 exec, exec, s[2:3]
.LBB897_441:
	s_or_b64 exec, exec, s[0:1]
	s_mov_b32 s0, 0xffffff
	v_cmp_lt_u32_e32 vcc, s0, v15
	s_and_saveexec_b64 s[0:1], vcc
	s_cbranch_execz .LBB897_447
; %bb.442:
	v_lshrrev_b32_e32 v14, 24, v15
	s_movk_i32 s2, 0x80
	v_cmp_ne_u32_e32 vcc, s2, v14
	v_mov_b32_e32 v24, 0xffff8000
	s_and_saveexec_b64 s[2:3], vcc
	s_cbranch_execz .LBB897_446
; %bb.443:
	v_bfe_u32 v15, v15, 24, 7
	s_movk_i32 s7, 0x7f
	v_cmp_ne_u32_e32 vcc, s7, v15
	v_mov_b32_e32 v24, 0x7f80
	s_and_saveexec_b64 s[8:9], vcc
	s_cbranch_execz .LBB897_445
; %bb.444:
	v_and_b32_e32 v24, 7, v14
	v_ffbh_u32_e32 v26, v24
	v_min_u32_e32 v30, 32, v26
	v_subrev_u32_e32 v26, 28, v30
	v_lshlrev_b64 v[26:27], v26, v[14:15]
	v_lshrrev_b32_e32 v29, 3, v15
	v_sub_u32_e32 v27, 29, v30
	v_and_b32_e32 v26, 7, v26
	v_cmp_gt_u32_e32 vcc, 8, v15
	v_cndmask_b32_e32 v15, v29, v27, vcc
	v_cndmask_b32_e32 v24, v24, v26, vcc
	v_lshlrev_b32_e32 v14, 24, v14
	v_bfrev_b32_e32 v26, 60
	v_lshlrev_b32_e32 v24, 20, v24
	v_and_b32_e32 v14, 0x80000000, v14
	v_lshl_add_u32 v15, v15, 23, v26
	v_or3_b32 v14, v14, v15, v24
	v_lshrrev_b32_e32 v24, 16, v14
.LBB897_445:
	s_or_b64 exec, exec, s[8:9]
.LBB897_446:
	s_or_b64 exec, exec, s[2:3]
.LBB897_447:
	s_or_b64 exec, exec, s[0:1]
	s_mov_b32 s0, 0x5040100
	v_perm_b32 v15, v21, v22, s0
	v_lshl_or_b32 v22, v49, 9, v50
	v_perm_b32 v14, v19, v20, s0
	ds_read_b128 v[30:33], v22
	v_perm_b32 v19, v24, v25, s0
	v_perm_b32 v18, v18, v23, s0
	s_waitcnt lgkmcnt(0)
	v_mfma_f32_16x16x16bf16_1k v[34:37], v[14:15], v[30:31], 0
	v_mov_b32_e32 v15, 0
	v_cmp_ne_u16_sdwa s[2:3], v16, v15 src0_sel:BYTE_0 src1_sel:DWORD
	v_mov_b32_e32 v23, 0
	v_mfma_f32_16x16x16bf16_1k v[18:21], v[18:19], v[32:33], v[34:37]
	s_and_saveexec_b64 s[0:1], s[2:3]
	s_cbranch_execz .LBB897_453
; %bb.448:
	s_movk_i32 s2, 0x80
	v_cmp_ne_u16_sdwa s[8:9], v16, s2 src0_sel:BYTE_0 src1_sel:DWORD
	v_mov_b32_e32 v23, 0xffff8000
	s_and_saveexec_b64 s[2:3], s[8:9]
	s_cbranch_execz .LBB897_452
; %bb.449:
	s_movk_i32 s7, 0x7f
	v_and_b32_e32 v14, 0x7f, v16
	v_cmp_ne_u32_e32 vcc, s7, v14
	v_mov_b32_e32 v23, 0x7f80
	s_and_saveexec_b64 s[8:9], vcc
	s_cbranch_execz .LBB897_451
; %bb.450:
	v_and_b32_e32 v23, 7, v16
	v_ffbh_u32_e32 v24, v23
	v_min_u32_e32 v27, 32, v24
	v_subrev_u32_e32 v24, 28, v27
	v_lshlrev_b64 v[24:25], v24, v[16:17]
	v_lshrrev_b32_e32 v26, 3, v14
	v_sub_u32_e32 v25, 29, v27
	v_and_b32_e32 v24, 7, v24
	v_cmp_gt_u32_e32 vcc, 8, v14
	v_cndmask_b32_e32 v14, v26, v25, vcc
	v_cndmask_b32_e32 v23, v23, v24, vcc
	v_lshlrev_b32_e32 v24, 24, v16
	v_bfrev_b32_e32 v25, 60
	v_lshlrev_b32_e32 v23, 20, v23
	v_and_b32_e32 v24, 0x80000000, v24
	v_lshl_add_u32 v14, v14, 23, v25
	v_or3_b32 v14, v24, v14, v23
	v_lshrrev_b32_e32 v23, 16, v14
.LBB897_451:
	s_or_b64 exec, exec, s[8:9]
.LBB897_452:
	s_or_b64 exec, exec, s[2:3]
.LBB897_453:
	s_or_b64 exec, exec, s[0:1]
	v_lshrrev_b16_e32 v14, 8, v16
	v_cmp_ne_u16_e32 vcc, 0, v14
	s_and_saveexec_b64 s[0:1], vcc
	s_cbranch_execz .LBB897_459
; %bb.454:
	s_movk_i32 s2, 0x80
	v_cmp_ne_u16_e32 vcc, s2, v14
	v_mov_b32_e32 v15, 0xffff8000
	s_and_saveexec_b64 s[2:3], vcc
	s_cbranch_execz .LBB897_458
; %bb.455:
	s_movk_i32 s7, 0x7f
	v_and_b32_e32 v24, 0x7f, v14
	v_cmp_ne_u32_e32 vcc, s7, v24
	v_mov_b32_e32 v15, 0x7f80
	s_and_saveexec_b64 s[8:9], vcc
	s_cbranch_execz .LBB897_457
; %bb.456:
	v_and_b32_e32 v25, 7, v14
	v_ffbh_u32_e32 v15, v25
	v_min_u32_e32 v27, 32, v15
	v_subrev_u32_e32 v15, 28, v27
	v_lshlrev_b64 v[14:15], v15, v[14:15]
	v_lshrrev_b32_e32 v26, 3, v24
	v_sub_u32_e32 v15, 29, v27
	v_and_b32_e32 v14, 7, v14
	v_cmp_gt_u32_e32 vcc, 8, v24
	v_cndmask_b32_e32 v15, v26, v15, vcc
	v_cndmask_b32_e32 v14, v25, v14, vcc
	v_lshlrev_b32_e32 v24, 16, v16
	v_bfrev_b32_e32 v25, 60
	v_lshlrev_b32_e32 v14, 20, v14
	v_and_b32_e32 v24, 0x80000000, v24
	v_lshl_add_u32 v15, v15, 23, v25
	v_or3_b32 v14, v24, v15, v14
	v_lshrrev_b32_e32 v15, 16, v14
.LBB897_457:
	s_or_b64 exec, exec, s[8:9]
.LBB897_458:
	s_or_b64 exec, exec, s[2:3]
.LBB897_459:
	s_or_b64 exec, exec, s[0:1]
	s_movk_i32 s0, 0xff
	v_and_b32_sdwa v26, v16, s0 dst_sel:DWORD dst_unused:UNUSED_PAD src0_sel:WORD_1 src1_sel:DWORD
	v_lshrrev_b32_e32 v14, 16, v16
	v_cmp_ne_u16_e32 vcc, 0, v26
	v_mov_b32_e32 v24, 0
	v_mov_b32_e32 v25, 0
	s_and_saveexec_b64 s[0:1], vcc
	s_cbranch_execz .LBB897_465
; %bb.460:
	s_movk_i32 s2, 0x80
	v_cmp_ne_u16_e32 vcc, s2, v26
	v_mov_b32_e32 v25, 0xffff8000
	s_and_saveexec_b64 s[2:3], vcc
	s_cbranch_execz .LBB897_464
; %bb.461:
	v_bfe_u32 v26, v16, 16, 7
	s_movk_i32 s7, 0x7f
	v_cmp_ne_u32_e32 vcc, s7, v26
	v_mov_b32_e32 v25, 0x7f80
	s_and_saveexec_b64 s[8:9], vcc
	s_cbranch_execz .LBB897_463
; %bb.462:
	v_and_b32_e32 v25, 7, v14
	v_ffbh_u32_e32 v29, v25
	v_min_u32_e32 v29, 32, v29
	v_subrev_u32_e32 v30, 28, v29
	v_lshlrev_b64 v[30:31], v30, v[14:15]
	v_lshrrev_b32_e32 v27, 3, v26
	v_sub_u32_e32 v14, 29, v29
	v_and_b32_e32 v29, 7, v30
	v_cmp_gt_u32_e32 vcc, 8, v26
	v_mov_b32_e32 v26, 24
	v_cndmask_b32_e32 v14, v27, v14, vcc
	v_cndmask_b32_e32 v25, v25, v29, vcc
	v_lshlrev_b32_sdwa v26, v26, v16 dst_sel:DWORD dst_unused:UNUSED_PAD src0_sel:DWORD src1_sel:WORD_1
	v_bfrev_b32_e32 v27, 60
	v_lshlrev_b32_e32 v25, 20, v25
	v_and_b32_e32 v26, 0x80000000, v26
	v_lshl_add_u32 v14, v14, 23, v27
	v_or3_b32 v14, v26, v14, v25
	v_lshrrev_b32_e32 v25, 16, v14
.LBB897_463:
	s_or_b64 exec, exec, s[8:9]
.LBB897_464:
	s_or_b64 exec, exec, s[2:3]
.LBB897_465:
	s_or_b64 exec, exec, s[0:1]
	s_mov_b32 s0, 0xffffff
	v_cmp_lt_u32_e32 vcc, s0, v16
	s_and_saveexec_b64 s[0:1], vcc
	s_cbranch_execz .LBB897_471
; %bb.466:
	v_lshrrev_b32_e32 v14, 24, v16
	s_movk_i32 s2, 0x80
	v_cmp_ne_u32_e32 vcc, s2, v14
	v_mov_b32_e32 v24, 0xffff8000
	s_and_saveexec_b64 s[2:3], vcc
	s_cbranch_execz .LBB897_470
; %bb.467:
	v_bfe_u32 v16, v16, 24, 7
	s_movk_i32 s7, 0x7f
	v_cmp_ne_u32_e32 vcc, s7, v16
	v_mov_b32_e32 v24, 0x7f80
	s_and_saveexec_b64 s[8:9], vcc
	s_cbranch_execz .LBB897_469
; %bb.468:
	v_and_b32_e32 v24, 7, v14
	v_ffbh_u32_e32 v26, v24
	v_min_u32_e32 v30, 32, v26
	v_subrev_u32_e32 v26, 28, v30
	v_lshlrev_b64 v[26:27], v26, v[14:15]
	v_lshrrev_b32_e32 v29, 3, v16
	v_sub_u32_e32 v27, 29, v30
	v_and_b32_e32 v26, 7, v26
	v_cmp_gt_u32_e32 vcc, 8, v16
	v_cndmask_b32_e32 v16, v29, v27, vcc
	v_cndmask_b32_e32 v24, v24, v26, vcc
	v_lshlrev_b32_e32 v14, 24, v14
	v_bfrev_b32_e32 v26, 60
	v_lshlrev_b32_e32 v24, 20, v24
	v_and_b32_e32 v14, 0x80000000, v14
	v_lshl_add_u32 v16, v16, 23, v26
	v_or3_b32 v14, v14, v16, v24
	v_lshrrev_b32_e32 v24, 16, v14
.LBB897_469:
	s_or_b64 exec, exec, s[8:9]
.LBB897_470:
	s_or_b64 exec, exec, s[2:3]
.LBB897_471:
	s_or_b64 exec, exec, s[0:1]
	v_mov_b32_e32 v16, 0
	v_cmp_ne_u16_sdwa s[2:3], v17, v16 src0_sel:BYTE_0 src1_sel:DWORD
	v_mov_b32_e32 v26, 0
	s_and_saveexec_b64 s[0:1], s[2:3]
	s_cbranch_execz .LBB897_477
; %bb.472:
	s_movk_i32 s2, 0x80
	v_cmp_ne_u16_sdwa s[8:9], v17, s2 src0_sel:BYTE_0 src1_sel:DWORD
	v_mov_b32_e32 v26, 0xffff8000
	s_and_saveexec_b64 s[2:3], s[8:9]
	s_cbranch_execz .LBB897_476
; %bb.473:
	s_movk_i32 s7, 0x7f
	v_and_b32_e32 v14, 0x7f, v17
	v_cmp_ne_u32_e32 vcc, s7, v14
	v_mov_b32_e32 v26, 0x7f80
	s_and_saveexec_b64 s[8:9], vcc
	s_cbranch_execz .LBB897_475
; %bb.474:
	v_and_b32_e32 v29, 7, v17
	v_ffbh_u32_e32 v27, v29
	v_min_u32_e32 v31, 32, v27
	v_mov_b32_e32 v26, v17
	v_subrev_u32_e32 v27, 28, v31
	v_lshlrev_b64 v[26:27], v27, v[26:27]
	v_lshrrev_b32_e32 v30, 3, v14
	v_sub_u32_e32 v27, 29, v31
	v_and_b32_e32 v26, 7, v26
	v_cmp_gt_u32_e32 vcc, 8, v14
	v_cndmask_b32_e32 v14, v30, v27, vcc
	v_cndmask_b32_e32 v26, v29, v26, vcc
	v_lshlrev_b32_e32 v27, 24, v17
	v_bfrev_b32_e32 v29, 60
	v_lshlrev_b32_e32 v26, 20, v26
	v_and_b32_e32 v27, 0x80000000, v27
	v_lshl_add_u32 v14, v14, 23, v29
	v_or3_b32 v14, v27, v14, v26
	v_lshrrev_b32_e32 v26, 16, v14
.LBB897_475:
	s_or_b64 exec, exec, s[8:9]
.LBB897_476:
	s_or_b64 exec, exec, s[2:3]
.LBB897_477:
	s_or_b64 exec, exec, s[0:1]
	v_lshrrev_b16_e32 v14, 8, v17
	v_cmp_ne_u16_e32 vcc, 0, v14
	s_and_saveexec_b64 s[0:1], vcc
	s_cbranch_execz .LBB897_483
; %bb.478:
	s_movk_i32 s2, 0x80
	v_cmp_ne_u16_e32 vcc, s2, v14
	v_mov_b32_e32 v16, 0xffff8000
	s_and_saveexec_b64 s[2:3], vcc
	s_cbranch_execz .LBB897_482
; %bb.479:
	s_movk_i32 s7, 0x7f
	v_and_b32_e32 v27, 0x7f, v14
	v_cmp_ne_u32_e32 vcc, s7, v27
	v_mov_b32_e32 v16, 0x7f80
	s_and_saveexec_b64 s[8:9], vcc
	s_cbranch_execz .LBB897_481
; %bb.480:
	v_and_b32_e32 v16, 7, v14
	v_ffbh_u32_e32 v30, v16
	v_min_u32_e32 v32, 32, v30
	v_subrev_u32_e32 v30, 28, v32
	v_lshlrev_b64 v[30:31], v30, v[14:15]
	v_lshrrev_b32_e32 v29, 3, v27
	v_sub_u32_e32 v14, 29, v32
	v_and_b32_e32 v30, 7, v30
	v_cmp_gt_u32_e32 vcc, 8, v27
	v_cndmask_b32_e32 v14, v29, v14, vcc
	v_cndmask_b32_e32 v16, v16, v30, vcc
	v_lshlrev_b32_e32 v27, 16, v17
	v_bfrev_b32_e32 v29, 60
	v_lshlrev_b32_e32 v16, 20, v16
	v_and_b32_e32 v27, 0x80000000, v27
	v_lshl_add_u32 v14, v14, 23, v29
	v_or3_b32 v14, v27, v14, v16
	v_lshrrev_b32_e32 v16, 16, v14
.LBB897_481:
	s_or_b64 exec, exec, s[8:9]
.LBB897_482:
	s_or_b64 exec, exec, s[2:3]
.LBB897_483:
	s_or_b64 exec, exec, s[0:1]
	s_movk_i32 s0, 0xff
	v_and_b32_sdwa v30, v17, s0 dst_sel:DWORD dst_unused:UNUSED_PAD src0_sel:WORD_1 src1_sel:DWORD
	v_lshrrev_b32_e32 v14, 16, v17
	v_cmp_ne_u16_e32 vcc, 0, v30
	v_mov_b32_e32 v27, 0
	v_mov_b32_e32 v29, 0
	s_and_saveexec_b64 s[0:1], vcc
	s_cbranch_execz .LBB897_489
; %bb.484:
	s_movk_i32 s2, 0x80
	v_cmp_ne_u16_e32 vcc, s2, v30
	v_mov_b32_e32 v29, 0xffff8000
	s_and_saveexec_b64 s[2:3], vcc
	s_cbranch_execz .LBB897_488
; %bb.485:
	v_bfe_u32 v30, v17, 16, 7
	s_movk_i32 s7, 0x7f
	v_cmp_ne_u32_e32 vcc, s7, v30
	v_mov_b32_e32 v29, 0x7f80
	s_and_saveexec_b64 s[8:9], vcc
	s_cbranch_execz .LBB897_487
; %bb.486:
	v_and_b32_e32 v29, 7, v14
	v_ffbh_u32_e32 v32, v29
	v_min_u32_e32 v34, 32, v32
	v_subrev_u32_e32 v32, 28, v34
	v_lshlrev_b64 v[32:33], v32, v[14:15]
	v_lshrrev_b32_e32 v31, 3, v30
	v_sub_u32_e32 v14, 29, v34
	v_and_b32_e32 v32, 7, v32
	v_cmp_gt_u32_e32 vcc, 8, v30
	v_mov_b32_e32 v30, 24
	v_cndmask_b32_e32 v14, v31, v14, vcc
	v_cndmask_b32_e32 v29, v29, v32, vcc
	v_lshlrev_b32_sdwa v30, v30, v17 dst_sel:DWORD dst_unused:UNUSED_PAD src0_sel:DWORD src1_sel:WORD_1
	v_bfrev_b32_e32 v31, 60
	v_lshlrev_b32_e32 v29, 20, v29
	v_and_b32_e32 v30, 0x80000000, v30
	v_lshl_add_u32 v14, v14, 23, v31
	v_or3_b32 v14, v30, v14, v29
	v_lshrrev_b32_e32 v29, 16, v14
.LBB897_487:
	s_or_b64 exec, exec, s[8:9]
.LBB897_488:
	s_or_b64 exec, exec, s[2:3]
.LBB897_489:
	s_or_b64 exec, exec, s[0:1]
	s_mov_b32 s0, 0xffffff
	v_cmp_lt_u32_e32 vcc, s0, v17
	s_and_saveexec_b64 s[0:1], vcc
	s_cbranch_execz .LBB897_495
; %bb.490:
	v_lshrrev_b32_e32 v14, 24, v17
	s_movk_i32 s2, 0x80
	v_cmp_ne_u32_e32 vcc, s2, v14
	v_mov_b32_e32 v27, 0xffff8000
	s_and_saveexec_b64 s[2:3], vcc
	s_cbranch_execz .LBB897_494
; %bb.491:
	v_bfe_u32 v17, v17, 24, 7
	s_movk_i32 s7, 0x7f
	v_cmp_ne_u32_e32 vcc, s7, v17
	v_mov_b32_e32 v27, 0x7f80
	s_and_saveexec_b64 s[8:9], vcc
	s_cbranch_execz .LBB897_493
; %bb.492:
	v_and_b32_e32 v27, 7, v14
	v_ffbh_u32_e32 v30, v27
	v_min_u32_e32 v33, 32, v30
	v_subrev_u32_e32 v30, 28, v33
	v_lshlrev_b64 v[30:31], v30, v[14:15]
	v_lshrrev_b32_e32 v32, 3, v17
	v_sub_u32_e32 v31, 29, v33
	v_and_b32_e32 v30, 7, v30
	v_cmp_gt_u32_e32 vcc, 8, v17
	v_cndmask_b32_e32 v17, v32, v31, vcc
	v_cndmask_b32_e32 v27, v27, v30, vcc
	v_lshlrev_b32_e32 v14, 24, v14
	v_bfrev_b32_e32 v30, 60
	v_lshlrev_b32_e32 v27, 20, v27
	v_and_b32_e32 v14, 0x80000000, v14
	v_lshl_add_u32 v17, v17, 23, v30
	v_or3_b32 v14, v14, v17, v27
	v_lshrrev_b32_e32 v27, 16, v14
.LBB897_493:
	s_or_b64 exec, exec, s[8:9]
.LBB897_494:
	s_or_b64 exec, exec, s[2:3]
.LBB897_495:
	s_or_b64 exec, exec, s[0:1]
	s_mov_b32 s0, 0x5040100
	v_perm_b32 v25, v24, v25, s0
	v_perm_b32 v24, v15, v23, s0
	ds_read_b128 v[30:33], v22 offset:16
	v_perm_b32 v15, v27, v29, s0
	v_perm_b32 v14, v16, v26, s0
	s_waitcnt lgkmcnt(0)
	v_mfma_f32_16x16x16bf16_1k v[34:37], v[24:25], v[30:31], v[18:21]
	s_nop 6
	v_mov_b32_e32 v19, 0
	s_waitcnt vmcnt(2)
	v_cmp_ne_u16_sdwa s[2:3], v10, v19 src0_sel:BYTE_0 src1_sel:DWORD
	v_mfma_f32_16x16x16bf16_1k v[14:17], v[14:15], v[32:33], v[34:37]
	v_mov_b32_e32 v20, 0
	s_and_saveexec_b64 s[0:1], s[2:3]
	s_cbranch_execz .LBB897_501
; %bb.496:
	s_movk_i32 s2, 0x80
	v_cmp_ne_u16_sdwa s[8:9], v10, s2 src0_sel:BYTE_0 src1_sel:DWORD
	v_mov_b32_e32 v20, 0xffff8000
	s_and_saveexec_b64 s[2:3], s[8:9]
	s_cbranch_execz .LBB897_500
; %bb.497:
	s_movk_i32 s7, 0x7f
	v_and_b32_e32 v18, 0x7f, v10
	v_cmp_ne_u32_e32 vcc, s7, v18
	v_mov_b32_e32 v20, 0x7f80
	s_and_saveexec_b64 s[8:9], vcc
	s_cbranch_execz .LBB897_499
; %bb.498:
	v_and_b32_e32 v23, 7, v10
	v_ffbh_u32_e32 v20, v23
	v_min_u32_e32 v25, 32, v20
	v_subrev_u32_e32 v20, 28, v25
	v_lshlrev_b64 v[20:21], v20, v[10:11]
	v_lshrrev_b32_e32 v24, 3, v18
	v_sub_u32_e32 v21, 29, v25
	v_and_b32_e32 v20, 7, v20
	v_cmp_gt_u32_e32 vcc, 8, v18
	v_cndmask_b32_e32 v18, v24, v21, vcc
	v_cndmask_b32_e32 v20, v23, v20, vcc
	v_lshlrev_b32_e32 v21, 24, v10
	v_bfrev_b32_e32 v23, 60
	v_lshlrev_b32_e32 v20, 20, v20
	v_and_b32_e32 v21, 0x80000000, v21
	v_lshl_add_u32 v18, v18, 23, v23
	v_or3_b32 v18, v21, v18, v20
	v_lshrrev_b32_e32 v20, 16, v18
.LBB897_499:
	s_or_b64 exec, exec, s[8:9]
.LBB897_500:
	s_or_b64 exec, exec, s[2:3]
.LBB897_501:
	s_or_b64 exec, exec, s[0:1]
	v_lshrrev_b16_e32 v18, 8, v10
	v_cmp_ne_u16_e32 vcc, 0, v18
	s_and_saveexec_b64 s[0:1], vcc
	s_cbranch_execz .LBB897_507
; %bb.502:
	s_movk_i32 s2, 0x80
	v_cmp_ne_u16_e32 vcc, s2, v18
	v_mov_b32_e32 v19, 0xffff8000
	s_and_saveexec_b64 s[2:3], vcc
	s_cbranch_execz .LBB897_506
; %bb.503:
	s_movk_i32 s7, 0x7f
	v_and_b32_e32 v21, 0x7f, v18
	v_cmp_ne_u32_e32 vcc, s7, v21
	v_mov_b32_e32 v19, 0x7f80
	s_and_saveexec_b64 s[8:9], vcc
	s_cbranch_execz .LBB897_505
; %bb.504:
	v_and_b32_e32 v23, 7, v18
	v_ffbh_u32_e32 v19, v23
	v_min_u32_e32 v25, 32, v19
	v_subrev_u32_e32 v19, 28, v25
	v_lshlrev_b64 v[18:19], v19, v[18:19]
	v_lshrrev_b32_e32 v24, 3, v21
	v_sub_u32_e32 v19, 29, v25
	v_and_b32_e32 v18, 7, v18
	v_cmp_gt_u32_e32 vcc, 8, v21
	v_cndmask_b32_e32 v19, v24, v19, vcc
	v_cndmask_b32_e32 v18, v23, v18, vcc
	v_lshlrev_b32_e32 v21, 16, v10
	v_bfrev_b32_e32 v23, 60
	v_lshlrev_b32_e32 v18, 20, v18
	v_and_b32_e32 v21, 0x80000000, v21
	v_lshl_add_u32 v19, v19, 23, v23
	v_or3_b32 v18, v21, v19, v18
	v_lshrrev_b32_e32 v19, 16, v18
.LBB897_505:
	s_or_b64 exec, exec, s[8:9]
.LBB897_506:
	s_or_b64 exec, exec, s[2:3]
.LBB897_507:
	s_or_b64 exec, exec, s[0:1]
	s_movk_i32 s0, 0xff
	v_and_b32_sdwa v24, v10, s0 dst_sel:DWORD dst_unused:UNUSED_PAD src0_sel:WORD_1 src1_sel:DWORD
	v_lshrrev_b32_e32 v18, 16, v10
	v_cmp_ne_u16_e32 vcc, 0, v24
	v_mov_b32_e32 v21, 0
	v_mov_b32_e32 v23, 0
	s_and_saveexec_b64 s[0:1], vcc
	s_cbranch_execz .LBB897_513
; %bb.508:
	s_movk_i32 s2, 0x80
	v_cmp_ne_u16_e32 vcc, s2, v24
	v_mov_b32_e32 v23, 0xffff8000
	s_and_saveexec_b64 s[2:3], vcc
	s_cbranch_execz .LBB897_512
; %bb.509:
	v_bfe_u32 v24, v10, 16, 7
	s_movk_i32 s7, 0x7f
	v_cmp_ne_u32_e32 vcc, s7, v24
	v_mov_b32_e32 v23, 0x7f80
	s_and_saveexec_b64 s[8:9], vcc
	s_cbranch_execz .LBB897_511
; %bb.510:
	v_and_b32_e32 v23, 7, v18
	v_ffbh_u32_e32 v26, v23
	v_min_u32_e32 v29, 32, v26
	v_subrev_u32_e32 v26, 28, v29
	v_lshlrev_b64 v[26:27], v26, v[18:19]
	v_lshrrev_b32_e32 v25, 3, v24
	v_sub_u32_e32 v18, 29, v29
	v_and_b32_e32 v26, 7, v26
	v_cmp_gt_u32_e32 vcc, 8, v24
	v_mov_b32_e32 v24, 24
	v_cndmask_b32_e32 v18, v25, v18, vcc
	v_cndmask_b32_e32 v23, v23, v26, vcc
	v_lshlrev_b32_sdwa v24, v24, v10 dst_sel:DWORD dst_unused:UNUSED_PAD src0_sel:DWORD src1_sel:WORD_1
	v_bfrev_b32_e32 v25, 60
	v_lshlrev_b32_e32 v23, 20, v23
	v_and_b32_e32 v24, 0x80000000, v24
	v_lshl_add_u32 v18, v18, 23, v25
	v_or3_b32 v18, v24, v18, v23
	v_lshrrev_b32_e32 v23, 16, v18
.LBB897_511:
	s_or_b64 exec, exec, s[8:9]
.LBB897_512:
	s_or_b64 exec, exec, s[2:3]
.LBB897_513:
	s_or_b64 exec, exec, s[0:1]
	s_mov_b32 s0, 0xffffff
	v_cmp_lt_u32_e32 vcc, s0, v10
	s_and_saveexec_b64 s[0:1], vcc
	s_cbranch_execz .LBB897_519
; %bb.514:
	v_lshrrev_b32_e32 v18, 24, v10
	s_movk_i32 s2, 0x80
	v_cmp_ne_u32_e32 vcc, s2, v18
	v_mov_b32_e32 v21, 0xffff8000
	s_and_saveexec_b64 s[2:3], vcc
	s_cbranch_execz .LBB897_518
; %bb.515:
	v_bfe_u32 v10, v10, 24, 7
	s_movk_i32 s7, 0x7f
	v_cmp_ne_u32_e32 vcc, s7, v10
	v_mov_b32_e32 v21, 0x7f80
	s_and_saveexec_b64 s[8:9], vcc
	s_cbranch_execz .LBB897_517
; %bb.516:
	v_and_b32_e32 v21, 7, v18
	v_ffbh_u32_e32 v24, v21
	v_min_u32_e32 v27, 32, v24
	v_subrev_u32_e32 v24, 28, v27
	v_lshlrev_b64 v[24:25], v24, v[18:19]
	v_lshrrev_b32_e32 v26, 3, v10
	v_sub_u32_e32 v25, 29, v27
	v_and_b32_e32 v24, 7, v24
	v_cmp_gt_u32_e32 vcc, 8, v10
	v_cndmask_b32_e32 v10, v26, v25, vcc
	v_cndmask_b32_e32 v21, v21, v24, vcc
	v_lshlrev_b32_e32 v18, 24, v18
	v_bfrev_b32_e32 v24, 60
	v_lshlrev_b32_e32 v21, 20, v21
	v_and_b32_e32 v18, 0x80000000, v18
	v_lshl_add_u32 v10, v10, 23, v24
	v_or3_b32 v10, v18, v10, v21
	v_lshrrev_b32_e32 v21, 16, v10
.LBB897_517:
	s_or_b64 exec, exec, s[8:9]
.LBB897_518:
	s_or_b64 exec, exec, s[2:3]
.LBB897_519:
	s_or_b64 exec, exec, s[0:1]
	v_mov_b32_e32 v18, 0
	v_cmp_ne_u16_sdwa s[2:3], v11, v18 src0_sel:BYTE_0 src1_sel:DWORD
	v_mov_b32_e32 v24, 0
	s_and_saveexec_b64 s[0:1], s[2:3]
	s_cbranch_execz .LBB897_525
; %bb.520:
	s_movk_i32 s2, 0x80
	v_cmp_ne_u16_sdwa s[8:9], v11, s2 src0_sel:BYTE_0 src1_sel:DWORD
	v_mov_b32_e32 v24, 0xffff8000
	s_and_saveexec_b64 s[2:3], s[8:9]
	s_cbranch_execz .LBB897_524
; %bb.521:
	s_movk_i32 s7, 0x7f
	v_and_b32_e32 v10, 0x7f, v11
	v_cmp_ne_u32_e32 vcc, s7, v10
	v_mov_b32_e32 v24, 0x7f80
	s_and_saveexec_b64 s[8:9], vcc
	s_cbranch_execz .LBB897_523
; %bb.522:
	v_and_b32_e32 v26, 7, v11
	v_ffbh_u32_e32 v25, v26
	v_min_u32_e32 v29, 32, v25
	v_mov_b32_e32 v24, v11
	v_subrev_u32_e32 v25, 28, v29
	v_lshlrev_b64 v[24:25], v25, v[24:25]
	v_lshrrev_b32_e32 v27, 3, v10
	v_sub_u32_e32 v25, 29, v29
	v_and_b32_e32 v24, 7, v24
	v_cmp_gt_u32_e32 vcc, 8, v10
	v_cndmask_b32_e32 v10, v27, v25, vcc
	v_cndmask_b32_e32 v24, v26, v24, vcc
	v_lshlrev_b32_e32 v25, 24, v11
	v_bfrev_b32_e32 v26, 60
	v_lshlrev_b32_e32 v24, 20, v24
	v_and_b32_e32 v25, 0x80000000, v25
	v_lshl_add_u32 v10, v10, 23, v26
	v_or3_b32 v10, v25, v10, v24
	v_lshrrev_b32_e32 v24, 16, v10
.LBB897_523:
	s_or_b64 exec, exec, s[8:9]
.LBB897_524:
	s_or_b64 exec, exec, s[2:3]
.LBB897_525:
	s_or_b64 exec, exec, s[0:1]
	v_lshrrev_b16_e32 v10, 8, v11
	v_cmp_ne_u16_e32 vcc, 0, v10
	s_and_saveexec_b64 s[0:1], vcc
	s_cbranch_execz .LBB897_531
; %bb.526:
	s_movk_i32 s2, 0x80
	v_cmp_ne_u16_e32 vcc, s2, v10
	v_mov_b32_e32 v18, 0xffff8000
	s_and_saveexec_b64 s[2:3], vcc
	s_cbranch_execz .LBB897_530
; %bb.527:
	s_movk_i32 s7, 0x7f
	v_and_b32_e32 v25, 0x7f, v10
	v_cmp_ne_u32_e32 vcc, s7, v25
	v_mov_b32_e32 v18, 0x7f80
	s_and_saveexec_b64 s[8:9], vcc
	s_cbranch_execz .LBB897_529
; %bb.528:
	v_and_b32_e32 v18, 7, v10
	v_ffbh_u32_e32 v26, v18
	v_min_u32_e32 v30, 32, v26
	v_subrev_u32_e32 v26, 28, v30
	v_lshlrev_b64 v[26:27], v26, v[10:11]
	v_lshrrev_b32_e32 v29, 3, v25
	v_sub_u32_e32 v10, 29, v30
	v_and_b32_e32 v26, 7, v26
	v_cmp_gt_u32_e32 vcc, 8, v25
	v_cndmask_b32_e32 v10, v29, v10, vcc
	v_cndmask_b32_e32 v18, v18, v26, vcc
	v_lshlrev_b32_e32 v25, 16, v11
	v_bfrev_b32_e32 v26, 60
	v_lshlrev_b32_e32 v18, 20, v18
	v_and_b32_e32 v25, 0x80000000, v25
	v_lshl_add_u32 v10, v10, 23, v26
	v_or3_b32 v10, v25, v10, v18
	v_lshrrev_b32_e32 v18, 16, v10
.LBB897_529:
	s_or_b64 exec, exec, s[8:9]
.LBB897_530:
	s_or_b64 exec, exec, s[2:3]
.LBB897_531:
	s_or_b64 exec, exec, s[0:1]
	s_movk_i32 s0, 0xff
	v_and_b32_sdwa v27, v11, s0 dst_sel:DWORD dst_unused:UNUSED_PAD src0_sel:WORD_1 src1_sel:DWORD
	v_lshrrev_b32_e32 v10, 16, v11
	v_cmp_ne_u16_e32 vcc, 0, v27
	v_mov_b32_e32 v25, 0
	v_mov_b32_e32 v26, 0
	s_and_saveexec_b64 s[0:1], vcc
	s_cbranch_execz .LBB897_537
; %bb.532:
	s_movk_i32 s2, 0x80
	v_cmp_ne_u16_e32 vcc, s2, v27
	v_mov_b32_e32 v26, 0xffff8000
	s_and_saveexec_b64 s[2:3], vcc
	s_cbranch_execz .LBB897_536
; %bb.533:
	v_bfe_u32 v27, v11, 16, 7
	s_movk_i32 s7, 0x7f
	v_cmp_ne_u32_e32 vcc, s7, v27
	v_mov_b32_e32 v26, 0x7f80
	s_and_saveexec_b64 s[8:9], vcc
	s_cbranch_execz .LBB897_535
; %bb.534:
	v_and_b32_e32 v26, 7, v10
	v_ffbh_u32_e32 v30, v26
	v_min_u32_e32 v32, 32, v30
	v_subrev_u32_e32 v30, 28, v32
	v_lshlrev_b64 v[30:31], v30, v[10:11]
	v_lshrrev_b32_e32 v29, 3, v27
	v_sub_u32_e32 v10, 29, v32
	v_and_b32_e32 v30, 7, v30
	v_cmp_gt_u32_e32 vcc, 8, v27
	v_mov_b32_e32 v27, 24
	v_cndmask_b32_e32 v10, v29, v10, vcc
	v_cndmask_b32_e32 v26, v26, v30, vcc
	v_lshlrev_b32_sdwa v27, v27, v11 dst_sel:DWORD dst_unused:UNUSED_PAD src0_sel:DWORD src1_sel:WORD_1
	v_bfrev_b32_e32 v29, 60
	v_lshlrev_b32_e32 v26, 20, v26
	v_and_b32_e32 v27, 0x80000000, v27
	v_lshl_add_u32 v10, v10, 23, v29
	v_or3_b32 v10, v27, v10, v26
	v_lshrrev_b32_e32 v26, 16, v10
.LBB897_535:
	s_or_b64 exec, exec, s[8:9]
.LBB897_536:
	s_or_b64 exec, exec, s[2:3]
.LBB897_537:
	s_or_b64 exec, exec, s[0:1]
	s_mov_b32 s0, 0xffffff
	v_cmp_lt_u32_e32 vcc, s0, v11
	s_and_saveexec_b64 s[0:1], vcc
	s_cbranch_execz .LBB897_543
; %bb.538:
	v_lshrrev_b32_e32 v10, 24, v11
	s_movk_i32 s2, 0x80
	v_cmp_ne_u32_e32 vcc, s2, v10
	v_mov_b32_e32 v25, 0xffff8000
	s_and_saveexec_b64 s[2:3], vcc
	s_cbranch_execz .LBB897_542
; %bb.539:
	v_bfe_u32 v11, v11, 24, 7
	s_movk_i32 s7, 0x7f
	v_cmp_ne_u32_e32 vcc, s7, v11
	v_mov_b32_e32 v25, 0x7f80
	s_and_saveexec_b64 s[8:9], vcc
	s_cbranch_execz .LBB897_541
; %bb.540:
	v_and_b32_e32 v25, 7, v10
	v_ffbh_u32_e32 v29, v25
	v_min_u32_e32 v29, 32, v29
	v_subrev_u32_e32 v30, 28, v29
	v_lshlrev_b64 v[30:31], v30, v[10:11]
	v_lshrrev_b32_e32 v27, 3, v11
	v_sub_u32_e32 v29, 29, v29
	v_and_b32_e32 v30, 7, v30
	v_cmp_gt_u32_e32 vcc, 8, v11
	v_cndmask_b32_e32 v11, v27, v29, vcc
	v_cndmask_b32_e32 v25, v25, v30, vcc
	v_lshlrev_b32_e32 v10, 24, v10
	v_bfrev_b32_e32 v27, 60
	v_lshlrev_b32_e32 v25, 20, v25
	v_and_b32_e32 v10, 0x80000000, v10
	v_lshl_add_u32 v11, v11, 23, v27
	v_or3_b32 v10, v10, v11, v25
	v_lshrrev_b32_e32 v25, 16, v10
.LBB897_541:
	s_or_b64 exec, exec, s[8:9]
.LBB897_542:
	s_or_b64 exec, exec, s[2:3]
.LBB897_543:
	s_or_b64 exec, exec, s[0:1]
	s_mov_b32 s0, 0x5040100
	v_perm_b32 v11, v21, v23, s0
	v_perm_b32 v10, v19, v20, s0
	ds_read_b128 v[30:33], v22 offset:2048
	v_perm_b32 v21, v25, v26, s0
	v_perm_b32 v20, v18, v24, s0
	s_waitcnt lgkmcnt(0)
	v_mfma_f32_16x16x16bf16_1k v[14:17], v[10:11], v[30:31], v[14:17]
	v_mov_b32_e32 v11, 0
	v_cmp_ne_u16_sdwa s[2:3], v12, v11 src0_sel:BYTE_0 src1_sel:DWORD
	v_mov_b32_e32 v18, 0
	v_mfma_f32_16x16x16bf16_1k v[14:17], v[20:21], v[32:33], v[14:17]
	s_and_saveexec_b64 s[0:1], s[2:3]
	s_cbranch_execz .LBB897_549
; %bb.544:
	s_movk_i32 s2, 0x80
	v_cmp_ne_u16_sdwa s[8:9], v12, s2 src0_sel:BYTE_0 src1_sel:DWORD
	v_mov_b32_e32 v18, 0xffff8000
	s_and_saveexec_b64 s[2:3], s[8:9]
	s_cbranch_execz .LBB897_548
; %bb.545:
	s_movk_i32 s7, 0x7f
	v_and_b32_e32 v10, 0x7f, v12
	v_cmp_ne_u32_e32 vcc, s7, v10
	v_mov_b32_e32 v18, 0x7f80
	s_and_saveexec_b64 s[8:9], vcc
	s_cbranch_execz .LBB897_547
; %bb.546:
	v_and_b32_e32 v20, 7, v12
	v_ffbh_u32_e32 v18, v20
	v_min_u32_e32 v23, 32, v18
	v_subrev_u32_e32 v18, 28, v23
	v_lshlrev_b64 v[18:19], v18, v[12:13]
	v_lshrrev_b32_e32 v21, 3, v10
	v_sub_u32_e32 v19, 29, v23
	v_and_b32_e32 v18, 7, v18
	v_cmp_gt_u32_e32 vcc, 8, v10
	v_cndmask_b32_e32 v10, v21, v19, vcc
	v_cndmask_b32_e32 v18, v20, v18, vcc
	v_lshlrev_b32_e32 v19, 24, v12
	v_bfrev_b32_e32 v20, 60
	v_lshlrev_b32_e32 v18, 20, v18
	v_and_b32_e32 v19, 0x80000000, v19
	v_lshl_add_u32 v10, v10, 23, v20
	v_or3_b32 v10, v19, v10, v18
	v_lshrrev_b32_e32 v18, 16, v10
.LBB897_547:
	s_or_b64 exec, exec, s[8:9]
.LBB897_548:
	s_or_b64 exec, exec, s[2:3]
.LBB897_549:
	s_or_b64 exec, exec, s[0:1]
	v_lshrrev_b16_e32 v10, 8, v12
	v_cmp_ne_u16_e32 vcc, 0, v10
	s_and_saveexec_b64 s[0:1], vcc
	s_cbranch_execz .LBB897_555
; %bb.550:
	s_movk_i32 s2, 0x80
	v_cmp_ne_u16_e32 vcc, s2, v10
	v_mov_b32_e32 v11, 0xffff8000
	s_and_saveexec_b64 s[2:3], vcc
	s_cbranch_execz .LBB897_554
; %bb.551:
	s_movk_i32 s7, 0x7f
	v_and_b32_e32 v19, 0x7f, v10
	v_cmp_ne_u32_e32 vcc, s7, v19
	v_mov_b32_e32 v11, 0x7f80
	s_and_saveexec_b64 s[8:9], vcc
	s_cbranch_execz .LBB897_553
; %bb.552:
	v_and_b32_e32 v20, 7, v10
	v_ffbh_u32_e32 v11, v20
	v_min_u32_e32 v23, 32, v11
	v_subrev_u32_e32 v11, 28, v23
	v_lshlrev_b64 v[10:11], v11, v[10:11]
	v_lshrrev_b32_e32 v21, 3, v19
	v_sub_u32_e32 v11, 29, v23
	v_and_b32_e32 v10, 7, v10
	v_cmp_gt_u32_e32 vcc, 8, v19
	v_cndmask_b32_e32 v11, v21, v11, vcc
	v_cndmask_b32_e32 v10, v20, v10, vcc
	v_lshlrev_b32_e32 v19, 16, v12
	v_bfrev_b32_e32 v20, 60
	v_lshlrev_b32_e32 v10, 20, v10
	v_and_b32_e32 v19, 0x80000000, v19
	v_lshl_add_u32 v11, v11, 23, v20
	v_or3_b32 v10, v19, v11, v10
	v_lshrrev_b32_e32 v11, 16, v10
.LBB897_553:
	s_or_b64 exec, exec, s[8:9]
.LBB897_554:
	s_or_b64 exec, exec, s[2:3]
.LBB897_555:
	s_or_b64 exec, exec, s[0:1]
	s_movk_i32 s0, 0xff
	v_and_b32_sdwa v21, v12, s0 dst_sel:DWORD dst_unused:UNUSED_PAD src0_sel:WORD_1 src1_sel:DWORD
	v_lshrrev_b32_e32 v10, 16, v12
	v_cmp_ne_u16_e32 vcc, 0, v21
	v_mov_b32_e32 v19, 0
	v_mov_b32_e32 v20, 0
	s_and_saveexec_b64 s[0:1], vcc
	s_cbranch_execz .LBB897_561
; %bb.556:
	s_movk_i32 s2, 0x80
	v_cmp_ne_u16_e32 vcc, s2, v21
	v_mov_b32_e32 v20, 0xffff8000
	s_and_saveexec_b64 s[2:3], vcc
	s_cbranch_execz .LBB897_560
; %bb.557:
	v_bfe_u32 v21, v12, 16, 7
	s_movk_i32 s7, 0x7f
	v_cmp_ne_u32_e32 vcc, s7, v21
	v_mov_b32_e32 v20, 0x7f80
	s_and_saveexec_b64 s[8:9], vcc
	s_cbranch_execz .LBB897_559
; %bb.558:
	v_and_b32_e32 v20, 7, v10
	v_ffbh_u32_e32 v24, v20
	v_min_u32_e32 v26, 32, v24
	v_subrev_u32_e32 v24, 28, v26
	v_lshlrev_b64 v[24:25], v24, v[10:11]
	v_lshrrev_b32_e32 v23, 3, v21
	v_sub_u32_e32 v10, 29, v26
	v_and_b32_e32 v24, 7, v24
	v_cmp_gt_u32_e32 vcc, 8, v21
	v_mov_b32_e32 v21, 24
	v_cndmask_b32_e32 v10, v23, v10, vcc
	v_cndmask_b32_e32 v20, v20, v24, vcc
	v_lshlrev_b32_sdwa v21, v21, v12 dst_sel:DWORD dst_unused:UNUSED_PAD src0_sel:DWORD src1_sel:WORD_1
	v_bfrev_b32_e32 v23, 60
	v_lshlrev_b32_e32 v20, 20, v20
	v_and_b32_e32 v21, 0x80000000, v21
	v_lshl_add_u32 v10, v10, 23, v23
	v_or3_b32 v10, v21, v10, v20
	v_lshrrev_b32_e32 v20, 16, v10
.LBB897_559:
	s_or_b64 exec, exec, s[8:9]
.LBB897_560:
	s_or_b64 exec, exec, s[2:3]
.LBB897_561:
	s_or_b64 exec, exec, s[0:1]
	s_mov_b32 s0, 0xffffff
	v_cmp_lt_u32_e32 vcc, s0, v12
	s_and_saveexec_b64 s[0:1], vcc
	s_cbranch_execz .LBB897_567
; %bb.562:
	v_lshrrev_b32_e32 v10, 24, v12
	s_movk_i32 s2, 0x80
	v_cmp_ne_u32_e32 vcc, s2, v10
	v_mov_b32_e32 v19, 0xffff8000
	s_and_saveexec_b64 s[2:3], vcc
	s_cbranch_execz .LBB897_566
; %bb.563:
	v_bfe_u32 v12, v12, 24, 7
	s_movk_i32 s7, 0x7f
	v_cmp_ne_u32_e32 vcc, s7, v12
	v_mov_b32_e32 v19, 0x7f80
	s_and_saveexec_b64 s[8:9], vcc
	s_cbranch_execz .LBB897_565
; %bb.564:
	v_and_b32_e32 v19, 7, v10
	v_ffbh_u32_e32 v23, v19
	v_min_u32_e32 v23, 32, v23
	v_subrev_u32_e32 v24, 28, v23
	v_lshlrev_b64 v[24:25], v24, v[10:11]
	v_lshrrev_b32_e32 v21, 3, v12
	v_sub_u32_e32 v23, 29, v23
	v_and_b32_e32 v24, 7, v24
	v_cmp_gt_u32_e32 vcc, 8, v12
	v_cndmask_b32_e32 v12, v21, v23, vcc
	v_cndmask_b32_e32 v19, v19, v24, vcc
	v_lshlrev_b32_e32 v10, 24, v10
	v_bfrev_b32_e32 v21, 60
	v_lshlrev_b32_e32 v19, 20, v19
	v_and_b32_e32 v10, 0x80000000, v10
	v_lshl_add_u32 v12, v12, 23, v21
	v_or3_b32 v10, v10, v12, v19
	v_lshrrev_b32_e32 v19, 16, v10
.LBB897_565:
	s_or_b64 exec, exec, s[8:9]
.LBB897_566:
	s_or_b64 exec, exec, s[2:3]
.LBB897_567:
	s_or_b64 exec, exec, s[0:1]
	v_mov_b32_e32 v12, 0
	v_cmp_ne_u16_sdwa s[2:3], v13, v12 src0_sel:BYTE_0 src1_sel:DWORD
	v_mov_b32_e32 v21, 0
	s_and_saveexec_b64 s[0:1], s[2:3]
	s_cbranch_execz .LBB897_573
; %bb.568:
	s_movk_i32 s2, 0x80
	v_cmp_ne_u16_sdwa s[8:9], v13, s2 src0_sel:BYTE_0 src1_sel:DWORD
	v_mov_b32_e32 v21, 0xffff8000
	s_and_saveexec_b64 s[2:3], s[8:9]
	s_cbranch_execz .LBB897_572
; %bb.569:
	s_movk_i32 s7, 0x7f
	v_and_b32_e32 v10, 0x7f, v13
	v_cmp_ne_u32_e32 vcc, s7, v10
	v_mov_b32_e32 v21, 0x7f80
	s_and_saveexec_b64 s[8:9], vcc
	s_cbranch_execz .LBB897_571
; %bb.570:
	v_and_b32_e32 v21, 7, v13
	v_ffbh_u32_e32 v25, v21
	v_min_u32_e32 v26, 32, v25
	v_mov_b32_e32 v24, v13
	v_subrev_u32_e32 v25, 28, v26
	v_lshlrev_b64 v[24:25], v25, v[24:25]
	v_lshrrev_b32_e32 v23, 3, v10
	v_sub_u32_e32 v25, 29, v26
	v_and_b32_e32 v24, 7, v24
	v_cmp_gt_u32_e32 vcc, 8, v10
	v_cndmask_b32_e32 v10, v23, v25, vcc
	v_cndmask_b32_e32 v21, v21, v24, vcc
	v_lshlrev_b32_e32 v23, 24, v13
	v_bfrev_b32_e32 v24, 60
	v_lshlrev_b32_e32 v21, 20, v21
	v_and_b32_e32 v23, 0x80000000, v23
	v_lshl_add_u32 v10, v10, 23, v24
	v_or3_b32 v10, v23, v10, v21
	v_lshrrev_b32_e32 v21, 16, v10
.LBB897_571:
	s_or_b64 exec, exec, s[8:9]
.LBB897_572:
	s_or_b64 exec, exec, s[2:3]
.LBB897_573:
	s_or_b64 exec, exec, s[0:1]
	v_lshrrev_b16_e32 v10, 8, v13
	v_cmp_ne_u16_e32 vcc, 0, v10
	s_and_saveexec_b64 s[0:1], vcc
	s_cbranch_execz .LBB897_579
; %bb.574:
	s_movk_i32 s2, 0x80
	v_cmp_ne_u16_e32 vcc, s2, v10
	v_mov_b32_e32 v12, 0xffff8000
	s_and_saveexec_b64 s[2:3], vcc
	s_cbranch_execz .LBB897_578
; %bb.575:
	s_movk_i32 s7, 0x7f
	v_and_b32_e32 v23, 0x7f, v10
	v_cmp_ne_u32_e32 vcc, s7, v23
	v_mov_b32_e32 v12, 0x7f80
	s_and_saveexec_b64 s[8:9], vcc
	s_cbranch_execz .LBB897_577
; %bb.576:
	v_and_b32_e32 v12, 7, v10
	v_ffbh_u32_e32 v24, v12
	v_min_u32_e32 v27, 32, v24
	v_subrev_u32_e32 v24, 28, v27
	v_lshlrev_b64 v[24:25], v24, v[10:11]
	v_lshrrev_b32_e32 v26, 3, v23
	v_sub_u32_e32 v10, 29, v27
	v_and_b32_e32 v24, 7, v24
	v_cmp_gt_u32_e32 vcc, 8, v23
	v_cndmask_b32_e32 v10, v26, v10, vcc
	v_cndmask_b32_e32 v12, v12, v24, vcc
	v_lshlrev_b32_e32 v23, 16, v13
	v_bfrev_b32_e32 v24, 60
	v_lshlrev_b32_e32 v12, 20, v12
	v_and_b32_e32 v23, 0x80000000, v23
	v_lshl_add_u32 v10, v10, 23, v24
	v_or3_b32 v10, v23, v10, v12
	v_lshrrev_b32_e32 v12, 16, v10
.LBB897_577:
	s_or_b64 exec, exec, s[8:9]
.LBB897_578:
	s_or_b64 exec, exec, s[2:3]
.LBB897_579:
	s_or_b64 exec, exec, s[0:1]
	s_movk_i32 s0, 0xff
	v_and_b32_sdwa v25, v13, s0 dst_sel:DWORD dst_unused:UNUSED_PAD src0_sel:WORD_1 src1_sel:DWORD
	v_lshrrev_b32_e32 v10, 16, v13
	v_cmp_ne_u16_e32 vcc, 0, v25
	v_mov_b32_e32 v23, 0
	v_mov_b32_e32 v24, 0
	s_and_saveexec_b64 s[0:1], vcc
	s_cbranch_execz .LBB897_585
; %bb.580:
	s_movk_i32 s2, 0x80
	v_cmp_ne_u16_e32 vcc, s2, v25
	v_mov_b32_e32 v24, 0xffff8000
	s_and_saveexec_b64 s[2:3], vcc
	s_cbranch_execz .LBB897_584
; %bb.581:
	v_bfe_u32 v25, v13, 16, 7
	s_movk_i32 s7, 0x7f
	v_cmp_ne_u32_e32 vcc, s7, v25
	v_mov_b32_e32 v24, 0x7f80
	s_and_saveexec_b64 s[8:9], vcc
	s_cbranch_execz .LBB897_583
; %bb.582:
	v_and_b32_e32 v24, 7, v10
	v_ffbh_u32_e32 v26, v24
	v_min_u32_e32 v30, 32, v26
	v_subrev_u32_e32 v26, 28, v30
	v_lshlrev_b64 v[26:27], v26, v[10:11]
	v_lshrrev_b32_e32 v29, 3, v25
	v_sub_u32_e32 v10, 29, v30
	v_and_b32_e32 v26, 7, v26
	v_cmp_gt_u32_e32 vcc, 8, v25
	v_mov_b32_e32 v25, 24
	v_cndmask_b32_e32 v10, v29, v10, vcc
	v_cndmask_b32_e32 v24, v24, v26, vcc
	v_lshlrev_b32_sdwa v25, v25, v13 dst_sel:DWORD dst_unused:UNUSED_PAD src0_sel:DWORD src1_sel:WORD_1
	v_bfrev_b32_e32 v26, 60
	v_lshlrev_b32_e32 v24, 20, v24
	v_and_b32_e32 v25, 0x80000000, v25
	v_lshl_add_u32 v10, v10, 23, v26
	v_or3_b32 v10, v25, v10, v24
	v_lshrrev_b32_e32 v24, 16, v10
.LBB897_583:
	s_or_b64 exec, exec, s[8:9]
.LBB897_584:
	s_or_b64 exec, exec, s[2:3]
.LBB897_585:
	s_or_b64 exec, exec, s[0:1]
	s_mov_b32 s0, 0xffffff
	v_cmp_lt_u32_e32 vcc, s0, v13
	s_and_saveexec_b64 s[0:1], vcc
	s_cbranch_execz .LBB897_591
; %bb.586:
	v_lshrrev_b32_e32 v10, 24, v13
	s_movk_i32 s2, 0x80
	v_cmp_ne_u32_e32 vcc, s2, v10
	v_mov_b32_e32 v23, 0xffff8000
	s_and_saveexec_b64 s[2:3], vcc
	s_cbranch_execz .LBB897_590
; %bb.587:
	v_bfe_u32 v13, v13, 24, 7
	s_movk_i32 s7, 0x7f
	v_cmp_ne_u32_e32 vcc, s7, v13
	v_mov_b32_e32 v23, 0x7f80
	s_and_saveexec_b64 s[8:9], vcc
	s_cbranch_execz .LBB897_589
; %bb.588:
	v_and_b32_e32 v23, 7, v10
	v_ffbh_u32_e32 v26, v23
	v_min_u32_e32 v29, 32, v26
	v_subrev_u32_e32 v26, 28, v29
	v_lshlrev_b64 v[26:27], v26, v[10:11]
	v_lshrrev_b32_e32 v25, 3, v13
	v_sub_u32_e32 v27, 29, v29
	v_and_b32_e32 v26, 7, v26
	v_cmp_gt_u32_e32 vcc, 8, v13
	v_cndmask_b32_e32 v13, v25, v27, vcc
	v_cndmask_b32_e32 v23, v23, v26, vcc
	v_lshlrev_b32_e32 v10, 24, v10
	v_bfrev_b32_e32 v25, 60
	v_lshlrev_b32_e32 v23, 20, v23
	v_and_b32_e32 v10, 0x80000000, v10
	v_lshl_add_u32 v13, v13, 23, v25
	v_or3_b32 v10, v10, v13, v23
	v_lshrrev_b32_e32 v23, 16, v10
.LBB897_589:
	s_or_b64 exec, exec, s[8:9]
.LBB897_590:
	s_or_b64 exec, exec, s[2:3]
.LBB897_591:
	s_or_b64 exec, exec, s[0:1]
	s_mov_b32 s0, 0x5040100
	v_perm_b32 v19, v19, v20, s0
	v_perm_b32 v18, v11, v18, s0
	ds_read_b128 v[30:33], v22 offset:2064
	v_perm_b32 v11, v23, v24, s0
	v_perm_b32 v10, v12, v21, s0
	s_waitcnt lgkmcnt(0)
	v_mfma_f32_16x16x16bf16_1k v[34:37], v[18:19], v[30:31], v[14:17]
	s_nop 6
	v_mov_b32_e32 v15, 0
	s_waitcnt vmcnt(1)
	v_cmp_ne_u16_sdwa s[2:3], v6, v15 src0_sel:BYTE_0 src1_sel:DWORD
	v_mfma_f32_16x16x16bf16_1k v[10:13], v[10:11], v[32:33], v[34:37]
	v_mov_b32_e32 v16, 0
	s_and_saveexec_b64 s[0:1], s[2:3]
	s_cbranch_execz .LBB897_597
; %bb.592:
	s_movk_i32 s2, 0x80
	v_cmp_ne_u16_sdwa s[8:9], v6, s2 src0_sel:BYTE_0 src1_sel:DWORD
	v_mov_b32_e32 v16, 0xffff8000
	s_and_saveexec_b64 s[2:3], s[8:9]
	s_cbranch_execz .LBB897_596
; %bb.593:
	s_movk_i32 s7, 0x7f
	v_and_b32_e32 v14, 0x7f, v6
	v_cmp_ne_u32_e32 vcc, s7, v14
	v_mov_b32_e32 v16, 0x7f80
	s_and_saveexec_b64 s[8:9], vcc
	s_cbranch_execz .LBB897_595
; %bb.594:
	v_and_b32_e32 v18, 7, v6
	v_ffbh_u32_e32 v16, v18
	v_min_u32_e32 v20, 32, v16
	v_subrev_u32_e32 v16, 28, v20
	v_lshlrev_b64 v[16:17], v16, v[6:7]
	v_lshrrev_b32_e32 v19, 3, v14
	v_sub_u32_e32 v17, 29, v20
	v_and_b32_e32 v16, 7, v16
	v_cmp_gt_u32_e32 vcc, 8, v14
	v_cndmask_b32_e32 v14, v19, v17, vcc
	v_cndmask_b32_e32 v16, v18, v16, vcc
	v_lshlrev_b32_e32 v17, 24, v6
	v_bfrev_b32_e32 v18, 60
	v_lshlrev_b32_e32 v16, 20, v16
	v_and_b32_e32 v17, 0x80000000, v17
	v_lshl_add_u32 v14, v14, 23, v18
	v_or3_b32 v14, v17, v14, v16
	v_lshrrev_b32_e32 v16, 16, v14
.LBB897_595:
	s_or_b64 exec, exec, s[8:9]
.LBB897_596:
	s_or_b64 exec, exec, s[2:3]
.LBB897_597:
	s_or_b64 exec, exec, s[0:1]
	v_lshrrev_b16_e32 v14, 8, v6
	v_cmp_ne_u16_e32 vcc, 0, v14
	s_and_saveexec_b64 s[0:1], vcc
	s_cbranch_execz .LBB897_603
; %bb.598:
	s_movk_i32 s2, 0x80
	v_cmp_ne_u16_e32 vcc, s2, v14
	v_mov_b32_e32 v15, 0xffff8000
	s_and_saveexec_b64 s[2:3], vcc
	s_cbranch_execz .LBB897_602
; %bb.599:
	s_movk_i32 s7, 0x7f
	v_and_b32_e32 v17, 0x7f, v14
	v_cmp_ne_u32_e32 vcc, s7, v17
	v_mov_b32_e32 v15, 0x7f80
	s_and_saveexec_b64 s[8:9], vcc
	s_cbranch_execz .LBB897_601
; %bb.600:
	v_and_b32_e32 v18, 7, v14
	v_ffbh_u32_e32 v15, v18
	v_min_u32_e32 v20, 32, v15
	v_subrev_u32_e32 v15, 28, v20
	v_lshlrev_b64 v[14:15], v15, v[14:15]
	v_lshrrev_b32_e32 v19, 3, v17
	v_sub_u32_e32 v15, 29, v20
	v_and_b32_e32 v14, 7, v14
	v_cmp_gt_u32_e32 vcc, 8, v17
	v_cndmask_b32_e32 v15, v19, v15, vcc
	v_cndmask_b32_e32 v14, v18, v14, vcc
	v_lshlrev_b32_e32 v17, 16, v6
	v_bfrev_b32_e32 v18, 60
	v_lshlrev_b32_e32 v14, 20, v14
	v_and_b32_e32 v17, 0x80000000, v17
	v_lshl_add_u32 v15, v15, 23, v18
	v_or3_b32 v14, v17, v15, v14
	v_lshrrev_b32_e32 v15, 16, v14
.LBB897_601:
	s_or_b64 exec, exec, s[8:9]
.LBB897_602:
	s_or_b64 exec, exec, s[2:3]
.LBB897_603:
	s_or_b64 exec, exec, s[0:1]
	s_movk_i32 s0, 0xff
	v_and_b32_sdwa v19, v6, s0 dst_sel:DWORD dst_unused:UNUSED_PAD src0_sel:WORD_1 src1_sel:DWORD
	v_lshrrev_b32_e32 v14, 16, v6
	v_cmp_ne_u16_e32 vcc, 0, v19
	v_mov_b32_e32 v17, 0
	v_mov_b32_e32 v18, 0
	s_and_saveexec_b64 s[0:1], vcc
	s_cbranch_execz .LBB897_609
; %bb.604:
	s_movk_i32 s2, 0x80
	v_cmp_ne_u16_e32 vcc, s2, v19
	v_mov_b32_e32 v18, 0xffff8000
	s_and_saveexec_b64 s[2:3], vcc
	s_cbranch_execz .LBB897_608
; %bb.605:
	v_bfe_u32 v19, v6, 16, 7
	s_movk_i32 s7, 0x7f
	v_cmp_ne_u32_e32 vcc, s7, v19
	v_mov_b32_e32 v18, 0x7f80
	s_and_saveexec_b64 s[8:9], vcc
	s_cbranch_execz .LBB897_607
; %bb.606:
	v_and_b32_e32 v18, 7, v14
	v_ffbh_u32_e32 v20, v18
	v_min_u32_e32 v24, 32, v20
	v_subrev_u32_e32 v20, 28, v24
	v_lshlrev_b64 v[20:21], v20, v[14:15]
	v_lshrrev_b32_e32 v23, 3, v19
	v_sub_u32_e32 v14, 29, v24
	v_and_b32_e32 v20, 7, v20
	v_cmp_gt_u32_e32 vcc, 8, v19
	v_mov_b32_e32 v19, 24
	v_cndmask_b32_e32 v14, v23, v14, vcc
	v_cndmask_b32_e32 v18, v18, v20, vcc
	v_lshlrev_b32_sdwa v19, v19, v6 dst_sel:DWORD dst_unused:UNUSED_PAD src0_sel:DWORD src1_sel:WORD_1
	v_bfrev_b32_e32 v20, 60
	v_lshlrev_b32_e32 v18, 20, v18
	v_and_b32_e32 v19, 0x80000000, v19
	v_lshl_add_u32 v14, v14, 23, v20
	v_or3_b32 v14, v19, v14, v18
	v_lshrrev_b32_e32 v18, 16, v14
.LBB897_607:
	s_or_b64 exec, exec, s[8:9]
.LBB897_608:
	s_or_b64 exec, exec, s[2:3]
.LBB897_609:
	s_or_b64 exec, exec, s[0:1]
	s_mov_b32 s0, 0xffffff
	v_cmp_lt_u32_e32 vcc, s0, v6
	s_and_saveexec_b64 s[0:1], vcc
	s_cbranch_execz .LBB897_615
; %bb.610:
	v_lshrrev_b32_e32 v14, 24, v6
	s_movk_i32 s2, 0x80
	v_cmp_ne_u32_e32 vcc, s2, v14
	v_mov_b32_e32 v17, 0xffff8000
	s_and_saveexec_b64 s[2:3], vcc
	s_cbranch_execz .LBB897_614
; %bb.611:
	v_bfe_u32 v6, v6, 24, 7
	s_movk_i32 s7, 0x7f
	v_cmp_ne_u32_e32 vcc, s7, v6
	v_mov_b32_e32 v17, 0x7f80
	s_and_saveexec_b64 s[8:9], vcc
	s_cbranch_execz .LBB897_613
; %bb.612:
	v_and_b32_e32 v17, 7, v14
	v_ffbh_u32_e32 v20, v17
	v_min_u32_e32 v23, 32, v20
	v_subrev_u32_e32 v20, 28, v23
	v_lshlrev_b64 v[20:21], v20, v[14:15]
	v_lshrrev_b32_e32 v19, 3, v6
	v_sub_u32_e32 v21, 29, v23
	v_and_b32_e32 v20, 7, v20
	v_cmp_gt_u32_e32 vcc, 8, v6
	v_cndmask_b32_e32 v6, v19, v21, vcc
	v_cndmask_b32_e32 v17, v17, v20, vcc
	v_lshlrev_b32_e32 v14, 24, v14
	v_bfrev_b32_e32 v19, 60
	v_lshlrev_b32_e32 v17, 20, v17
	v_and_b32_e32 v14, 0x80000000, v14
	v_lshl_add_u32 v6, v6, 23, v19
	v_or3_b32 v6, v14, v6, v17
	v_lshrrev_b32_e32 v17, 16, v6
.LBB897_613:
	s_or_b64 exec, exec, s[8:9]
.LBB897_614:
	s_or_b64 exec, exec, s[2:3]
.LBB897_615:
	s_or_b64 exec, exec, s[0:1]
	v_mov_b32_e32 v14, 0
	v_cmp_ne_u16_sdwa s[2:3], v7, v14 src0_sel:BYTE_0 src1_sel:DWORD
	v_mov_b32_e32 v19, 0
	s_and_saveexec_b64 s[0:1], s[2:3]
	s_cbranch_execz .LBB897_621
; %bb.616:
	s_movk_i32 s2, 0x80
	v_cmp_ne_u16_sdwa s[8:9], v7, s2 src0_sel:BYTE_0 src1_sel:DWORD
	v_mov_b32_e32 v19, 0xffff8000
	s_and_saveexec_b64 s[2:3], s[8:9]
	s_cbranch_execz .LBB897_620
; %bb.617:
	s_movk_i32 s7, 0x7f
	v_and_b32_e32 v6, 0x7f, v7
	v_cmp_ne_u32_e32 vcc, s7, v6
	v_mov_b32_e32 v19, 0x7f80
	s_and_saveexec_b64 s[8:9], vcc
	s_cbranch_execz .LBB897_619
; %bb.618:
	v_and_b32_e32 v19, 7, v7
	v_ffbh_u32_e32 v21, v19
	v_min_u32_e32 v24, 32, v21
	v_mov_b32_e32 v20, v7
	v_subrev_u32_e32 v21, 28, v24
	v_lshlrev_b64 v[20:21], v21, v[20:21]
	v_lshrrev_b32_e32 v23, 3, v6
	v_sub_u32_e32 v21, 29, v24
	v_and_b32_e32 v20, 7, v20
	v_cmp_gt_u32_e32 vcc, 8, v6
	v_cndmask_b32_e32 v6, v23, v21, vcc
	v_cndmask_b32_e32 v19, v19, v20, vcc
	v_lshlrev_b32_e32 v20, 24, v7
	v_bfrev_b32_e32 v21, 60
	v_lshlrev_b32_e32 v19, 20, v19
	v_and_b32_e32 v20, 0x80000000, v20
	v_lshl_add_u32 v6, v6, 23, v21
	v_or3_b32 v6, v20, v6, v19
	v_lshrrev_b32_e32 v19, 16, v6
.LBB897_619:
	s_or_b64 exec, exec, s[8:9]
.LBB897_620:
	s_or_b64 exec, exec, s[2:3]
.LBB897_621:
	s_or_b64 exec, exec, s[0:1]
	v_lshrrev_b16_e32 v6, 8, v7
	v_cmp_ne_u16_e32 vcc, 0, v6
	s_and_saveexec_b64 s[0:1], vcc
	s_cbranch_execz .LBB897_627
; %bb.622:
	s_movk_i32 s2, 0x80
	v_cmp_ne_u16_e32 vcc, s2, v6
	v_mov_b32_e32 v14, 0xffff8000
	s_and_saveexec_b64 s[2:3], vcc
	s_cbranch_execz .LBB897_626
; %bb.623:
	s_movk_i32 s7, 0x7f
	v_and_b32_e32 v20, 0x7f, v6
	v_cmp_ne_u32_e32 vcc, s7, v20
	v_mov_b32_e32 v14, 0x7f80
	s_and_saveexec_b64 s[8:9], vcc
	s_cbranch_execz .LBB897_625
; %bb.624:
	v_and_b32_e32 v14, 7, v6
	v_ffbh_u32_e32 v23, v14
	v_min_u32_e32 v23, 32, v23
	v_subrev_u32_e32 v24, 28, v23
	v_lshlrev_b64 v[24:25], v24, v[6:7]
	v_lshrrev_b32_e32 v21, 3, v20
	v_sub_u32_e32 v6, 29, v23
	v_and_b32_e32 v23, 7, v24
	v_cmp_gt_u32_e32 vcc, 8, v20
	v_cndmask_b32_e32 v6, v21, v6, vcc
	v_cndmask_b32_e32 v14, v14, v23, vcc
	v_lshlrev_b32_e32 v20, 16, v7
	v_bfrev_b32_e32 v21, 60
	v_lshlrev_b32_e32 v14, 20, v14
	v_and_b32_e32 v20, 0x80000000, v20
	v_lshl_add_u32 v6, v6, 23, v21
	v_or3_b32 v6, v20, v6, v14
	v_lshrrev_b32_e32 v14, 16, v6
.LBB897_625:
	s_or_b64 exec, exec, s[8:9]
.LBB897_626:
	s_or_b64 exec, exec, s[2:3]
.LBB897_627:
	s_or_b64 exec, exec, s[0:1]
	s_movk_i32 s0, 0xff
	v_and_b32_sdwa v23, v7, s0 dst_sel:DWORD dst_unused:UNUSED_PAD src0_sel:WORD_1 src1_sel:DWORD
	v_lshrrev_b32_e32 v6, 16, v7
	v_cmp_ne_u16_e32 vcc, 0, v23
	v_mov_b32_e32 v20, 0
	v_mov_b32_e32 v21, 0
	s_and_saveexec_b64 s[0:1], vcc
	s_cbranch_execz .LBB897_633
; %bb.628:
	s_movk_i32 s2, 0x80
	v_cmp_ne_u16_e32 vcc, s2, v23
	v_mov_b32_e32 v21, 0xffff8000
	s_and_saveexec_b64 s[2:3], vcc
	s_cbranch_execz .LBB897_632
; %bb.629:
	v_bfe_u32 v23, v7, 16, 7
	s_movk_i32 s7, 0x7f
	v_cmp_ne_u32_e32 vcc, s7, v23
	v_mov_b32_e32 v21, 0x7f80
	s_and_saveexec_b64 s[8:9], vcc
	s_cbranch_execz .LBB897_631
; %bb.630:
	v_and_b32_e32 v21, 7, v6
	v_ffbh_u32_e32 v24, v21
	v_min_u32_e32 v27, 32, v24
	v_subrev_u32_e32 v24, 28, v27
	v_lshlrev_b64 v[24:25], v24, v[6:7]
	v_lshrrev_b32_e32 v26, 3, v23
	v_sub_u32_e32 v6, 29, v27
	v_and_b32_e32 v24, 7, v24
	v_cmp_gt_u32_e32 vcc, 8, v23
	v_mov_b32_e32 v23, 24
	v_cndmask_b32_e32 v6, v26, v6, vcc
	v_cndmask_b32_e32 v21, v21, v24, vcc
	v_lshlrev_b32_sdwa v23, v23, v7 dst_sel:DWORD dst_unused:UNUSED_PAD src0_sel:DWORD src1_sel:WORD_1
	v_bfrev_b32_e32 v24, 60
	v_lshlrev_b32_e32 v21, 20, v21
	v_and_b32_e32 v23, 0x80000000, v23
	v_lshl_add_u32 v6, v6, 23, v24
	v_or3_b32 v6, v23, v6, v21
	v_lshrrev_b32_e32 v21, 16, v6
.LBB897_631:
	s_or_b64 exec, exec, s[8:9]
.LBB897_632:
	s_or_b64 exec, exec, s[2:3]
.LBB897_633:
	s_or_b64 exec, exec, s[0:1]
	s_mov_b32 s0, 0xffffff
	v_cmp_lt_u32_e32 vcc, s0, v7
	s_and_saveexec_b64 s[0:1], vcc
	s_cbranch_execz .LBB897_639
; %bb.634:
	v_lshrrev_b32_e32 v6, 24, v7
	s_movk_i32 s2, 0x80
	v_cmp_ne_u32_e32 vcc, s2, v6
	v_mov_b32_e32 v20, 0xffff8000
	s_and_saveexec_b64 s[2:3], vcc
	s_cbranch_execz .LBB897_638
; %bb.635:
	v_bfe_u32 v7, v7, 24, 7
	s_movk_i32 s7, 0x7f
	v_cmp_ne_u32_e32 vcc, s7, v7
	v_mov_b32_e32 v20, 0x7f80
	s_and_saveexec_b64 s[8:9], vcc
	s_cbranch_execz .LBB897_637
; %bb.636:
	v_and_b32_e32 v20, 7, v6
	v_ffbh_u32_e32 v24, v20
	v_min_u32_e32 v26, 32, v24
	v_subrev_u32_e32 v24, 28, v26
	v_lshlrev_b64 v[24:25], v24, v[6:7]
	v_lshrrev_b32_e32 v23, 3, v7
	v_sub_u32_e32 v25, 29, v26
	v_and_b32_e32 v24, 7, v24
	v_cmp_gt_u32_e32 vcc, 8, v7
	v_cndmask_b32_e32 v7, v23, v25, vcc
	v_cndmask_b32_e32 v20, v20, v24, vcc
	v_lshlrev_b32_e32 v6, 24, v6
	v_bfrev_b32_e32 v23, 60
	v_lshlrev_b32_e32 v20, 20, v20
	v_and_b32_e32 v6, 0x80000000, v6
	v_lshl_add_u32 v7, v7, 23, v23
	v_or3_b32 v6, v6, v7, v20
	v_lshrrev_b32_e32 v20, 16, v6
.LBB897_637:
	s_or_b64 exec, exec, s[8:9]
.LBB897_638:
	s_or_b64 exec, exec, s[2:3]
.LBB897_639:
	s_or_b64 exec, exec, s[0:1]
	s_mov_b32 s0, 0x5040100
	v_perm_b32 v7, v17, v18, s0
	v_perm_b32 v6, v15, v16, s0
	ds_read_b128 v[24:27], v22 offset:4096
	v_perm_b32 v17, v20, v21, s0
	v_perm_b32 v16, v14, v19, s0
	s_waitcnt lgkmcnt(0)
	v_mfma_f32_16x16x16bf16_1k v[10:13], v[6:7], v[24:25], v[10:13]
	v_mov_b32_e32 v7, 0
	v_cmp_ne_u16_sdwa s[2:3], v8, v7 src0_sel:BYTE_0 src1_sel:DWORD
	v_mov_b32_e32 v14, 0
	v_mfma_f32_16x16x16bf16_1k v[10:13], v[16:17], v[26:27], v[10:13]
	s_and_saveexec_b64 s[0:1], s[2:3]
	s_cbranch_execz .LBB897_645
; %bb.640:
	s_movk_i32 s2, 0x80
	v_cmp_ne_u16_sdwa s[8:9], v8, s2 src0_sel:BYTE_0 src1_sel:DWORD
	v_mov_b32_e32 v14, 0xffff8000
	s_and_saveexec_b64 s[2:3], s[8:9]
	s_cbranch_execz .LBB897_644
; %bb.641:
	s_movk_i32 s7, 0x7f
	v_and_b32_e32 v6, 0x7f, v8
	v_cmp_ne_u32_e32 vcc, s7, v6
	v_mov_b32_e32 v14, 0x7f80
	s_and_saveexec_b64 s[8:9], vcc
	s_cbranch_execz .LBB897_643
; %bb.642:
	v_and_b32_e32 v16, 7, v8
	v_ffbh_u32_e32 v14, v16
	v_min_u32_e32 v18, 32, v14
	v_subrev_u32_e32 v14, 28, v18
	v_lshlrev_b64 v[14:15], v14, v[8:9]
	v_lshrrev_b32_e32 v17, 3, v6
	v_sub_u32_e32 v15, 29, v18
	v_and_b32_e32 v14, 7, v14
	v_cmp_gt_u32_e32 vcc, 8, v6
	v_cndmask_b32_e32 v6, v17, v15, vcc
	v_cndmask_b32_e32 v14, v16, v14, vcc
	v_lshlrev_b32_e32 v15, 24, v8
	v_bfrev_b32_e32 v16, 60
	v_lshlrev_b32_e32 v14, 20, v14
	v_and_b32_e32 v15, 0x80000000, v15
	v_lshl_add_u32 v6, v6, 23, v16
	v_or3_b32 v6, v15, v6, v14
	v_lshrrev_b32_e32 v14, 16, v6
.LBB897_643:
	s_or_b64 exec, exec, s[8:9]
.LBB897_644:
	s_or_b64 exec, exec, s[2:3]
.LBB897_645:
	s_or_b64 exec, exec, s[0:1]
	v_lshrrev_b16_e32 v6, 8, v8
	v_cmp_ne_u16_e32 vcc, 0, v6
	s_and_saveexec_b64 s[0:1], vcc
	s_cbranch_execz .LBB897_651
; %bb.646:
	s_movk_i32 s2, 0x80
	v_cmp_ne_u16_e32 vcc, s2, v6
	v_mov_b32_e32 v7, 0xffff8000
	s_and_saveexec_b64 s[2:3], vcc
	s_cbranch_execz .LBB897_650
; %bb.647:
	s_movk_i32 s7, 0x7f
	v_and_b32_e32 v15, 0x7f, v6
	v_cmp_ne_u32_e32 vcc, s7, v15
	v_mov_b32_e32 v7, 0x7f80
	s_and_saveexec_b64 s[8:9], vcc
	s_cbranch_execz .LBB897_649
; %bb.648:
	v_and_b32_e32 v16, 7, v6
	v_ffbh_u32_e32 v7, v16
	v_min_u32_e32 v18, 32, v7
	v_subrev_u32_e32 v7, 28, v18
	v_lshlrev_b64 v[6:7], v7, v[6:7]
	v_lshrrev_b32_e32 v17, 3, v15
	v_sub_u32_e32 v7, 29, v18
	v_and_b32_e32 v6, 7, v6
	v_cmp_gt_u32_e32 vcc, 8, v15
	v_cndmask_b32_e32 v7, v17, v7, vcc
	v_cndmask_b32_e32 v6, v16, v6, vcc
	v_lshlrev_b32_e32 v15, 16, v8
	v_bfrev_b32_e32 v16, 60
	v_lshlrev_b32_e32 v6, 20, v6
	v_and_b32_e32 v15, 0x80000000, v15
	v_lshl_add_u32 v7, v7, 23, v16
	v_or3_b32 v6, v15, v7, v6
	v_lshrrev_b32_e32 v7, 16, v6
.LBB897_649:
	s_or_b64 exec, exec, s[8:9]
.LBB897_650:
	s_or_b64 exec, exec, s[2:3]
.LBB897_651:
	s_or_b64 exec, exec, s[0:1]
	s_movk_i32 s0, 0xff
	v_and_b32_sdwa v17, v8, s0 dst_sel:DWORD dst_unused:UNUSED_PAD src0_sel:WORD_1 src1_sel:DWORD
	v_lshrrev_b32_e32 v6, 16, v8
	v_cmp_ne_u16_e32 vcc, 0, v17
	v_mov_b32_e32 v15, 0
	v_mov_b32_e32 v16, 0
	s_and_saveexec_b64 s[0:1], vcc
	s_cbranch_execz .LBB897_657
; %bb.652:
	s_movk_i32 s2, 0x80
	v_cmp_ne_u16_e32 vcc, s2, v17
	v_mov_b32_e32 v16, 0xffff8000
	s_and_saveexec_b64 s[2:3], vcc
	s_cbranch_execz .LBB897_656
; %bb.653:
	v_bfe_u32 v17, v8, 16, 7
	s_movk_i32 s7, 0x7f
	v_cmp_ne_u32_e32 vcc, s7, v17
	v_mov_b32_e32 v16, 0x7f80
	s_and_saveexec_b64 s[8:9], vcc
	s_cbranch_execz .LBB897_655
; %bb.654:
	v_and_b32_e32 v16, 7, v6
	v_ffbh_u32_e32 v18, v16
	v_min_u32_e32 v21, 32, v18
	v_subrev_u32_e32 v18, 28, v21
	v_lshlrev_b64 v[18:19], v18, v[6:7]
	v_lshrrev_b32_e32 v20, 3, v17
	v_sub_u32_e32 v6, 29, v21
	v_and_b32_e32 v18, 7, v18
	v_cmp_gt_u32_e32 vcc, 8, v17
	v_mov_b32_e32 v17, 24
	v_cndmask_b32_e32 v6, v20, v6, vcc
	v_cndmask_b32_e32 v16, v16, v18, vcc
	v_lshlrev_b32_sdwa v17, v17, v8 dst_sel:DWORD dst_unused:UNUSED_PAD src0_sel:DWORD src1_sel:WORD_1
	v_bfrev_b32_e32 v18, 60
	v_lshlrev_b32_e32 v16, 20, v16
	v_and_b32_e32 v17, 0x80000000, v17
	v_lshl_add_u32 v6, v6, 23, v18
	v_or3_b32 v6, v17, v6, v16
	v_lshrrev_b32_e32 v16, 16, v6
.LBB897_655:
	s_or_b64 exec, exec, s[8:9]
.LBB897_656:
	s_or_b64 exec, exec, s[2:3]
.LBB897_657:
	s_or_b64 exec, exec, s[0:1]
	s_mov_b32 s0, 0xffffff
	v_cmp_lt_u32_e32 vcc, s0, v8
	s_and_saveexec_b64 s[0:1], vcc
	s_cbranch_execz .LBB897_663
; %bb.658:
	v_lshrrev_b32_e32 v6, 24, v8
	s_movk_i32 s2, 0x80
	v_cmp_ne_u32_e32 vcc, s2, v6
	v_mov_b32_e32 v15, 0xffff8000
	s_and_saveexec_b64 s[2:3], vcc
	s_cbranch_execz .LBB897_662
; %bb.659:
	v_bfe_u32 v8, v8, 24, 7
	s_movk_i32 s7, 0x7f
	v_cmp_ne_u32_e32 vcc, s7, v8
	v_mov_b32_e32 v15, 0x7f80
	s_and_saveexec_b64 s[8:9], vcc
	s_cbranch_execz .LBB897_661
; %bb.660:
	v_and_b32_e32 v15, 7, v6
	v_ffbh_u32_e32 v18, v15
	v_min_u32_e32 v20, 32, v18
	v_subrev_u32_e32 v18, 28, v20
	v_lshlrev_b64 v[18:19], v18, v[6:7]
	v_lshrrev_b32_e32 v17, 3, v8
	v_sub_u32_e32 v19, 29, v20
	v_and_b32_e32 v18, 7, v18
	v_cmp_gt_u32_e32 vcc, 8, v8
	v_cndmask_b32_e32 v8, v17, v19, vcc
	v_cndmask_b32_e32 v15, v15, v18, vcc
	v_lshlrev_b32_e32 v6, 24, v6
	v_bfrev_b32_e32 v17, 60
	v_lshlrev_b32_e32 v15, 20, v15
	v_and_b32_e32 v6, 0x80000000, v6
	v_lshl_add_u32 v8, v8, 23, v17
	v_or3_b32 v6, v6, v8, v15
	v_lshrrev_b32_e32 v15, 16, v6
.LBB897_661:
	s_or_b64 exec, exec, s[8:9]
.LBB897_662:
	s_or_b64 exec, exec, s[2:3]
.LBB897_663:
	s_or_b64 exec, exec, s[0:1]
	v_mov_b32_e32 v8, 0
	v_cmp_ne_u16_sdwa s[2:3], v9, v8 src0_sel:BYTE_0 src1_sel:DWORD
	v_mov_b32_e32 v17, 0
	s_and_saveexec_b64 s[0:1], s[2:3]
	s_cbranch_execz .LBB897_669
; %bb.664:
	s_movk_i32 s2, 0x80
	v_cmp_ne_u16_sdwa s[8:9], v9, s2 src0_sel:BYTE_0 src1_sel:DWORD
	v_mov_b32_e32 v17, 0xffff8000
	s_and_saveexec_b64 s[2:3], s[8:9]
	s_cbranch_execz .LBB897_668
; %bb.665:
	s_movk_i32 s7, 0x7f
	v_and_b32_e32 v6, 0x7f, v9
	v_cmp_ne_u32_e32 vcc, s7, v6
	v_mov_b32_e32 v17, 0x7f80
	s_and_saveexec_b64 s[8:9], vcc
	s_cbranch_execz .LBB897_667
; %bb.666:
	v_and_b32_e32 v17, 7, v9
	v_ffbh_u32_e32 v19, v17
	v_min_u32_e32 v21, 32, v19
	v_mov_b32_e32 v18, v9
	v_subrev_u32_e32 v19, 28, v21
	v_lshlrev_b64 v[18:19], v19, v[18:19]
	v_lshrrev_b32_e32 v20, 3, v6
	v_sub_u32_e32 v19, 29, v21
	v_and_b32_e32 v18, 7, v18
	v_cmp_gt_u32_e32 vcc, 8, v6
	v_cndmask_b32_e32 v6, v20, v19, vcc
	v_cndmask_b32_e32 v17, v17, v18, vcc
	v_lshlrev_b32_e32 v18, 24, v9
	v_bfrev_b32_e32 v19, 60
	v_lshlrev_b32_e32 v17, 20, v17
	v_and_b32_e32 v18, 0x80000000, v18
	v_lshl_add_u32 v6, v6, 23, v19
	v_or3_b32 v6, v18, v6, v17
	v_lshrrev_b32_e32 v17, 16, v6
.LBB897_667:
	s_or_b64 exec, exec, s[8:9]
.LBB897_668:
	s_or_b64 exec, exec, s[2:3]
.LBB897_669:
	s_or_b64 exec, exec, s[0:1]
	v_lshrrev_b16_e32 v6, 8, v9
	v_cmp_ne_u16_e32 vcc, 0, v6
	s_and_saveexec_b64 s[0:1], vcc
	s_cbranch_execz .LBB897_675
; %bb.670:
	s_movk_i32 s2, 0x80
	v_cmp_ne_u16_e32 vcc, s2, v6
	v_mov_b32_e32 v8, 0xffff8000
	s_and_saveexec_b64 s[2:3], vcc
	s_cbranch_execz .LBB897_674
; %bb.671:
	s_movk_i32 s7, 0x7f
	v_and_b32_e32 v18, 0x7f, v6
	v_cmp_ne_u32_e32 vcc, s7, v18
	v_mov_b32_e32 v8, 0x7f80
	s_and_saveexec_b64 s[8:9], vcc
	s_cbranch_execz .LBB897_673
; %bb.672:
	v_and_b32_e32 v8, 7, v6
	v_ffbh_u32_e32 v20, v8
	v_min_u32_e32 v23, 32, v20
	v_subrev_u32_e32 v20, 28, v23
	v_lshlrev_b64 v[20:21], v20, v[6:7]
	v_lshrrev_b32_e32 v19, 3, v18
	v_sub_u32_e32 v6, 29, v23
	v_and_b32_e32 v20, 7, v20
	v_cmp_gt_u32_e32 vcc, 8, v18
	v_cndmask_b32_e32 v6, v19, v6, vcc
	v_cndmask_b32_e32 v8, v8, v20, vcc
	v_lshlrev_b32_e32 v18, 16, v9
	v_bfrev_b32_e32 v19, 60
	v_lshlrev_b32_e32 v8, 20, v8
	v_and_b32_e32 v18, 0x80000000, v18
	v_lshl_add_u32 v6, v6, 23, v19
	v_or3_b32 v6, v18, v6, v8
	v_lshrrev_b32_e32 v8, 16, v6
.LBB897_673:
	s_or_b64 exec, exec, s[8:9]
.LBB897_674:
	s_or_b64 exec, exec, s[2:3]
.LBB897_675:
	s_or_b64 exec, exec, s[0:1]
	s_movk_i32 s0, 0xff
	v_and_b32_sdwa v20, v9, s0 dst_sel:DWORD dst_unused:UNUSED_PAD src0_sel:WORD_1 src1_sel:DWORD
	v_lshrrev_b32_e32 v6, 16, v9
	v_cmp_ne_u16_e32 vcc, 0, v20
	v_mov_b32_e32 v18, 0
	v_mov_b32_e32 v19, 0
	s_and_saveexec_b64 s[0:1], vcc
	s_cbranch_execz .LBB897_681
; %bb.676:
	s_movk_i32 s2, 0x80
	v_cmp_ne_u16_e32 vcc, s2, v20
	v_mov_b32_e32 v19, 0xffff8000
	s_and_saveexec_b64 s[2:3], vcc
	s_cbranch_execz .LBB897_680
; %bb.677:
	v_bfe_u32 v20, v9, 16, 7
	s_movk_i32 s7, 0x7f
	v_cmp_ne_u32_e32 vcc, s7, v20
	v_mov_b32_e32 v19, 0x7f80
	s_and_saveexec_b64 s[8:9], vcc
	s_cbranch_execz .LBB897_679
; %bb.678:
	v_and_b32_e32 v19, 7, v6
	v_ffbh_u32_e32 v23, v19
	v_min_u32_e32 v23, 32, v23
	v_subrev_u32_e32 v24, 28, v23
	v_lshlrev_b64 v[24:25], v24, v[6:7]
	v_lshrrev_b32_e32 v21, 3, v20
	v_sub_u32_e32 v6, 29, v23
	v_and_b32_e32 v23, 7, v24
	v_cmp_gt_u32_e32 vcc, 8, v20
	v_mov_b32_e32 v20, 24
	v_cndmask_b32_e32 v6, v21, v6, vcc
	v_cndmask_b32_e32 v19, v19, v23, vcc
	v_lshlrev_b32_sdwa v20, v20, v9 dst_sel:DWORD dst_unused:UNUSED_PAD src0_sel:DWORD src1_sel:WORD_1
	v_bfrev_b32_e32 v21, 60
	v_lshlrev_b32_e32 v19, 20, v19
	v_and_b32_e32 v20, 0x80000000, v20
	v_lshl_add_u32 v6, v6, 23, v21
	v_or3_b32 v6, v20, v6, v19
	v_lshrrev_b32_e32 v19, 16, v6
.LBB897_679:
	s_or_b64 exec, exec, s[8:9]
.LBB897_680:
	s_or_b64 exec, exec, s[2:3]
.LBB897_681:
	s_or_b64 exec, exec, s[0:1]
	s_mov_b32 s0, 0xffffff
	v_cmp_lt_u32_e32 vcc, s0, v9
	s_and_saveexec_b64 s[0:1], vcc
	s_cbranch_execz .LBB897_687
; %bb.682:
	v_lshrrev_b32_e32 v6, 24, v9
	s_movk_i32 s2, 0x80
	v_cmp_ne_u32_e32 vcc, s2, v6
	v_mov_b32_e32 v18, 0xffff8000
	s_and_saveexec_b64 s[2:3], vcc
	s_cbranch_execz .LBB897_686
; %bb.683:
	v_bfe_u32 v9, v9, 24, 7
	s_movk_i32 s7, 0x7f
	v_cmp_ne_u32_e32 vcc, s7, v9
	v_mov_b32_e32 v18, 0x7f80
	s_and_saveexec_b64 s[8:9], vcc
	s_cbranch_execz .LBB897_685
; %bb.684:
	v_and_b32_e32 v18, 7, v6
	v_ffbh_u32_e32 v20, v18
	v_min_u32_e32 v24, 32, v20
	v_subrev_u32_e32 v20, 28, v24
	v_lshlrev_b64 v[20:21], v20, v[6:7]
	v_lshrrev_b32_e32 v23, 3, v9
	v_sub_u32_e32 v21, 29, v24
	v_and_b32_e32 v20, 7, v20
	v_cmp_gt_u32_e32 vcc, 8, v9
	v_cndmask_b32_e32 v9, v23, v21, vcc
	v_cndmask_b32_e32 v18, v18, v20, vcc
	v_lshlrev_b32_e32 v6, 24, v6
	v_bfrev_b32_e32 v20, 60
	v_lshlrev_b32_e32 v18, 20, v18
	v_and_b32_e32 v6, 0x80000000, v6
	v_lshl_add_u32 v9, v9, 23, v20
	v_or3_b32 v6, v6, v9, v18
	v_lshrrev_b32_e32 v18, 16, v6
.LBB897_685:
	s_or_b64 exec, exec, s[8:9]
.LBB897_686:
	s_or_b64 exec, exec, s[2:3]
.LBB897_687:
	s_or_b64 exec, exec, s[0:1]
	s_mov_b32 s0, 0x5040100
	v_perm_b32 v15, v15, v16, s0
	v_perm_b32 v14, v7, v14, s0
	ds_read_b128 v[24:27], v22 offset:4112
	v_perm_b32 v7, v18, v19, s0
	v_perm_b32 v6, v8, v17, s0
	s_waitcnt lgkmcnt(0)
	v_mfma_f32_16x16x16bf16_1k v[30:33], v[14:15], v[24:25], v[10:13]
	s_nop 6
	v_mov_b32_e32 v11, 0
	s_waitcnt vmcnt(0)
	v_cmp_ne_u16_sdwa s[2:3], v2, v11 src0_sel:BYTE_0 src1_sel:DWORD
	v_mfma_f32_16x16x16bf16_1k v[6:9], v[6:7], v[26:27], v[30:33]
	v_mov_b32_e32 v12, 0
	s_and_saveexec_b64 s[0:1], s[2:3]
	s_cbranch_execz .LBB897_693
; %bb.688:
	s_movk_i32 s2, 0x80
	v_cmp_ne_u16_sdwa s[8:9], v2, s2 src0_sel:BYTE_0 src1_sel:DWORD
	v_mov_b32_e32 v12, 0xffff8000
	s_and_saveexec_b64 s[2:3], s[8:9]
	s_cbranch_execz .LBB897_692
; %bb.689:
	s_movk_i32 s7, 0x7f
	v_and_b32_e32 v10, 0x7f, v2
	v_cmp_ne_u32_e32 vcc, s7, v10
	v_mov_b32_e32 v12, 0x7f80
	s_and_saveexec_b64 s[8:9], vcc
	s_cbranch_execz .LBB897_691
; %bb.690:
	v_and_b32_e32 v14, 7, v2
	v_ffbh_u32_e32 v12, v14
	v_min_u32_e32 v16, 32, v12
	v_subrev_u32_e32 v12, 28, v16
	v_lshlrev_b64 v[12:13], v12, v[2:3]
	v_lshrrev_b32_e32 v15, 3, v10
	v_sub_u32_e32 v13, 29, v16
	v_and_b32_e32 v12, 7, v12
	v_cmp_gt_u32_e32 vcc, 8, v10
	v_cndmask_b32_e32 v10, v15, v13, vcc
	v_cndmask_b32_e32 v12, v14, v12, vcc
	v_lshlrev_b32_e32 v13, 24, v2
	v_bfrev_b32_e32 v14, 60
	v_lshlrev_b32_e32 v12, 20, v12
	v_and_b32_e32 v13, 0x80000000, v13
	v_lshl_add_u32 v10, v10, 23, v14
	v_or3_b32 v10, v13, v10, v12
	v_lshrrev_b32_e32 v12, 16, v10
.LBB897_691:
	s_or_b64 exec, exec, s[8:9]
.LBB897_692:
	s_or_b64 exec, exec, s[2:3]
.LBB897_693:
	s_or_b64 exec, exec, s[0:1]
	v_lshrrev_b16_e32 v10, 8, v2
	v_cmp_ne_u16_e32 vcc, 0, v10
	s_and_saveexec_b64 s[0:1], vcc
	s_cbranch_execz .LBB897_699
; %bb.694:
	s_movk_i32 s2, 0x80
	v_cmp_ne_u16_e32 vcc, s2, v10
	v_mov_b32_e32 v11, 0xffff8000
	s_and_saveexec_b64 s[2:3], vcc
	s_cbranch_execz .LBB897_698
; %bb.695:
	s_movk_i32 s7, 0x7f
	v_and_b32_e32 v13, 0x7f, v10
	v_cmp_ne_u32_e32 vcc, s7, v13
	v_mov_b32_e32 v11, 0x7f80
	s_and_saveexec_b64 s[8:9], vcc
	s_cbranch_execz .LBB897_697
; %bb.696:
	v_and_b32_e32 v14, 7, v10
	v_ffbh_u32_e32 v11, v14
	v_min_u32_e32 v16, 32, v11
	v_subrev_u32_e32 v11, 28, v16
	v_lshlrev_b64 v[10:11], v11, v[10:11]
	v_lshrrev_b32_e32 v15, 3, v13
	v_sub_u32_e32 v11, 29, v16
	v_and_b32_e32 v10, 7, v10
	v_cmp_gt_u32_e32 vcc, 8, v13
	v_cndmask_b32_e32 v11, v15, v11, vcc
	v_cndmask_b32_e32 v10, v14, v10, vcc
	v_lshlrev_b32_e32 v13, 16, v2
	v_bfrev_b32_e32 v14, 60
	v_lshlrev_b32_e32 v10, 20, v10
	v_and_b32_e32 v13, 0x80000000, v13
	v_lshl_add_u32 v11, v11, 23, v14
	v_or3_b32 v10, v13, v11, v10
	v_lshrrev_b32_e32 v11, 16, v10
.LBB897_697:
	s_or_b64 exec, exec, s[8:9]
.LBB897_698:
	s_or_b64 exec, exec, s[2:3]
.LBB897_699:
	s_or_b64 exec, exec, s[0:1]
	s_movk_i32 s0, 0xff
	v_and_b32_sdwa v15, v2, s0 dst_sel:DWORD dst_unused:UNUSED_PAD src0_sel:WORD_1 src1_sel:DWORD
	v_lshrrev_b32_e32 v10, 16, v2
	v_cmp_ne_u16_e32 vcc, 0, v15
	v_mov_b32_e32 v13, 0
	v_mov_b32_e32 v14, 0
	s_and_saveexec_b64 s[0:1], vcc
	s_cbranch_execz .LBB897_705
; %bb.700:
	s_movk_i32 s2, 0x80
	v_cmp_ne_u16_e32 vcc, s2, v15
	v_mov_b32_e32 v14, 0xffff8000
	s_and_saveexec_b64 s[2:3], vcc
	s_cbranch_execz .LBB897_704
; %bb.701:
	v_bfe_u32 v15, v2, 16, 7
	s_movk_i32 s7, 0x7f
	v_cmp_ne_u32_e32 vcc, s7, v15
	v_mov_b32_e32 v14, 0x7f80
	s_and_saveexec_b64 s[8:9], vcc
	s_cbranch_execz .LBB897_703
; %bb.702:
	v_and_b32_e32 v14, 7, v10
	v_ffbh_u32_e32 v16, v14
	v_min_u32_e32 v19, 32, v16
	v_subrev_u32_e32 v16, 28, v19
	v_lshlrev_b64 v[16:17], v16, v[10:11]
	v_lshrrev_b32_e32 v18, 3, v15
	v_sub_u32_e32 v10, 29, v19
	v_and_b32_e32 v16, 7, v16
	v_cmp_gt_u32_e32 vcc, 8, v15
	v_mov_b32_e32 v15, 24
	v_cndmask_b32_e32 v10, v18, v10, vcc
	v_cndmask_b32_e32 v14, v14, v16, vcc
	v_lshlrev_b32_sdwa v15, v15, v2 dst_sel:DWORD dst_unused:UNUSED_PAD src0_sel:DWORD src1_sel:WORD_1
	v_bfrev_b32_e32 v16, 60
	v_lshlrev_b32_e32 v14, 20, v14
	v_and_b32_e32 v15, 0x80000000, v15
	v_lshl_add_u32 v10, v10, 23, v16
	v_or3_b32 v10, v15, v10, v14
	v_lshrrev_b32_e32 v14, 16, v10
.LBB897_703:
	s_or_b64 exec, exec, s[8:9]
.LBB897_704:
	s_or_b64 exec, exec, s[2:3]
.LBB897_705:
	s_or_b64 exec, exec, s[0:1]
	s_mov_b32 s0, 0xffffff
	v_cmp_lt_u32_e32 vcc, s0, v2
	s_and_saveexec_b64 s[0:1], vcc
	s_cbranch_execz .LBB897_711
; %bb.706:
	v_lshrrev_b32_e32 v10, 24, v2
	s_movk_i32 s2, 0x80
	v_cmp_ne_u32_e32 vcc, s2, v10
	v_mov_b32_e32 v13, 0xffff8000
	s_and_saveexec_b64 s[2:3], vcc
	s_cbranch_execz .LBB897_710
; %bb.707:
	v_bfe_u32 v2, v2, 24, 7
	s_movk_i32 s7, 0x7f
	v_cmp_ne_u32_e32 vcc, s7, v2
	v_mov_b32_e32 v13, 0x7f80
	s_and_saveexec_b64 s[8:9], vcc
	s_cbranch_execz .LBB897_709
; %bb.708:
	v_and_b32_e32 v13, 7, v10
	v_ffbh_u32_e32 v16, v13
	v_min_u32_e32 v18, 32, v16
	v_subrev_u32_e32 v16, 28, v18
	v_lshlrev_b64 v[16:17], v16, v[10:11]
	v_lshrrev_b32_e32 v15, 3, v2
	v_sub_u32_e32 v17, 29, v18
	v_and_b32_e32 v16, 7, v16
	v_cmp_gt_u32_e32 vcc, 8, v2
	v_cndmask_b32_e32 v2, v15, v17, vcc
	v_cndmask_b32_e32 v13, v13, v16, vcc
	v_lshlrev_b32_e32 v10, 24, v10
	v_bfrev_b32_e32 v15, 60
	v_lshlrev_b32_e32 v13, 20, v13
	v_and_b32_e32 v10, 0x80000000, v10
	v_lshl_add_u32 v2, v2, 23, v15
	v_or3_b32 v2, v10, v2, v13
	v_lshrrev_b32_e32 v13, 16, v2
.LBB897_709:
	s_or_b64 exec, exec, s[8:9]
.LBB897_710:
	s_or_b64 exec, exec, s[2:3]
.LBB897_711:
	s_or_b64 exec, exec, s[0:1]
	v_mov_b32_e32 v10, 0
	v_cmp_ne_u16_sdwa s[2:3], v3, v10 src0_sel:BYTE_0 src1_sel:DWORD
	v_mov_b32_e32 v15, 0
	s_and_saveexec_b64 s[0:1], s[2:3]
	s_cbranch_execz .LBB897_717
; %bb.712:
	s_movk_i32 s2, 0x80
	v_cmp_ne_u16_sdwa s[8:9], v3, s2 src0_sel:BYTE_0 src1_sel:DWORD
	v_mov_b32_e32 v15, 0xffff8000
	s_and_saveexec_b64 s[2:3], s[8:9]
	s_cbranch_execz .LBB897_716
; %bb.713:
	s_movk_i32 s7, 0x7f
	v_and_b32_e32 v2, 0x7f, v3
	v_cmp_ne_u32_e32 vcc, s7, v2
	v_mov_b32_e32 v15, 0x7f80
	s_and_saveexec_b64 s[8:9], vcc
	s_cbranch_execz .LBB897_715
; %bb.714:
	v_and_b32_e32 v15, 7, v3
	v_ffbh_u32_e32 v17, v15
	v_min_u32_e32 v19, 32, v17
	v_mov_b32_e32 v16, v3
	v_subrev_u32_e32 v17, 28, v19
	v_lshlrev_b64 v[16:17], v17, v[16:17]
	v_lshrrev_b32_e32 v18, 3, v2
	v_sub_u32_e32 v17, 29, v19
	v_and_b32_e32 v16, 7, v16
	v_cmp_gt_u32_e32 vcc, 8, v2
	v_cndmask_b32_e32 v2, v18, v17, vcc
	v_cndmask_b32_e32 v15, v15, v16, vcc
	v_lshlrev_b32_e32 v16, 24, v3
	v_bfrev_b32_e32 v17, 60
	v_lshlrev_b32_e32 v15, 20, v15
	v_and_b32_e32 v16, 0x80000000, v16
	v_lshl_add_u32 v2, v2, 23, v17
	v_or3_b32 v2, v16, v2, v15
	v_lshrrev_b32_e32 v15, 16, v2
.LBB897_715:
	s_or_b64 exec, exec, s[8:9]
.LBB897_716:
	s_or_b64 exec, exec, s[2:3]
.LBB897_717:
	s_or_b64 exec, exec, s[0:1]
	v_lshrrev_b16_e32 v2, 8, v3
	v_cmp_ne_u16_e32 vcc, 0, v2
	s_and_saveexec_b64 s[0:1], vcc
	s_cbranch_execz .LBB897_723
; %bb.718:
	s_movk_i32 s2, 0x80
	v_cmp_ne_u16_e32 vcc, s2, v2
	v_mov_b32_e32 v10, 0xffff8000
	s_and_saveexec_b64 s[2:3], vcc
	s_cbranch_execz .LBB897_722
; %bb.719:
	s_movk_i32 s7, 0x7f
	v_and_b32_e32 v16, 0x7f, v2
	v_cmp_ne_u32_e32 vcc, s7, v16
	v_mov_b32_e32 v10, 0x7f80
	s_and_saveexec_b64 s[8:9], vcc
	s_cbranch_execz .LBB897_721
; %bb.720:
	v_and_b32_e32 v10, 7, v2
	v_ffbh_u32_e32 v18, v10
	v_min_u32_e32 v20, 32, v18
	v_subrev_u32_e32 v18, 28, v20
	v_lshlrev_b64 v[18:19], v18, v[2:3]
	v_lshrrev_b32_e32 v17, 3, v16
	v_sub_u32_e32 v2, 29, v20
	v_and_b32_e32 v18, 7, v18
	v_cmp_gt_u32_e32 vcc, 8, v16
	v_cndmask_b32_e32 v2, v17, v2, vcc
	v_cndmask_b32_e32 v10, v10, v18, vcc
	v_lshlrev_b32_e32 v16, 16, v3
	v_bfrev_b32_e32 v17, 60
	v_lshlrev_b32_e32 v10, 20, v10
	v_and_b32_e32 v16, 0x80000000, v16
	v_lshl_add_u32 v2, v2, 23, v17
	v_or3_b32 v2, v16, v2, v10
	v_lshrrev_b32_e32 v10, 16, v2
.LBB897_721:
	s_or_b64 exec, exec, s[8:9]
.LBB897_722:
	s_or_b64 exec, exec, s[2:3]
.LBB897_723:
	s_or_b64 exec, exec, s[0:1]
	s_movk_i32 s0, 0xff
	v_and_b32_sdwa v18, v3, s0 dst_sel:DWORD dst_unused:UNUSED_PAD src0_sel:WORD_1 src1_sel:DWORD
	v_lshrrev_b32_e32 v2, 16, v3
	v_cmp_ne_u16_e32 vcc, 0, v18
	v_mov_b32_e32 v16, 0
	v_mov_b32_e32 v17, 0
	s_and_saveexec_b64 s[0:1], vcc
	s_cbranch_execz .LBB897_729
; %bb.724:
	s_movk_i32 s2, 0x80
	v_cmp_ne_u16_e32 vcc, s2, v18
	v_mov_b32_e32 v17, 0xffff8000
	s_and_saveexec_b64 s[2:3], vcc
	s_cbranch_execz .LBB897_728
; %bb.725:
	v_bfe_u32 v18, v3, 16, 7
	s_movk_i32 s7, 0x7f
	v_cmp_ne_u32_e32 vcc, s7, v18
	v_mov_b32_e32 v17, 0x7f80
	s_and_saveexec_b64 s[8:9], vcc
	s_cbranch_execz .LBB897_727
; %bb.726:
	v_and_b32_e32 v17, 7, v2
	v_ffbh_u32_e32 v20, v17
	v_min_u32_e32 v23, 32, v20
	v_subrev_u32_e32 v20, 28, v23
	v_lshlrev_b64 v[20:21], v20, v[2:3]
	v_lshrrev_b32_e32 v19, 3, v18
	v_sub_u32_e32 v2, 29, v23
	v_and_b32_e32 v20, 7, v20
	v_cmp_gt_u32_e32 vcc, 8, v18
	v_mov_b32_e32 v18, 24
	v_cndmask_b32_e32 v2, v19, v2, vcc
	v_cndmask_b32_e32 v17, v17, v20, vcc
	v_lshlrev_b32_sdwa v18, v18, v3 dst_sel:DWORD dst_unused:UNUSED_PAD src0_sel:DWORD src1_sel:WORD_1
	v_bfrev_b32_e32 v19, 60
	v_lshlrev_b32_e32 v17, 20, v17
	v_and_b32_e32 v18, 0x80000000, v18
	v_lshl_add_u32 v2, v2, 23, v19
	v_or3_b32 v2, v18, v2, v17
	v_lshrrev_b32_e32 v17, 16, v2
.LBB897_727:
	s_or_b64 exec, exec, s[8:9]
.LBB897_728:
	s_or_b64 exec, exec, s[2:3]
.LBB897_729:
	s_or_b64 exec, exec, s[0:1]
	s_mov_b32 s0, 0xffffff
	v_cmp_lt_u32_e32 vcc, s0, v3
	s_and_saveexec_b64 s[0:1], vcc
	s_cbranch_execz .LBB897_735
; %bb.730:
	v_lshrrev_b32_e32 v2, 24, v3
	s_movk_i32 s2, 0x80
	v_cmp_ne_u32_e32 vcc, s2, v2
	v_mov_b32_e32 v16, 0xffff8000
	s_and_saveexec_b64 s[2:3], vcc
	s_cbranch_execz .LBB897_734
; %bb.731:
	v_bfe_u32 v3, v3, 24, 7
	s_movk_i32 s7, 0x7f
	v_cmp_ne_u32_e32 vcc, s7, v3
	v_mov_b32_e32 v16, 0x7f80
	s_and_saveexec_b64 s[8:9], vcc
	s_cbranch_execz .LBB897_733
; %bb.732:
	v_and_b32_e32 v16, 7, v2
	v_ffbh_u32_e32 v18, v16
	v_min_u32_e32 v21, 32, v18
	v_subrev_u32_e32 v18, 28, v21
	v_lshlrev_b64 v[18:19], v18, v[2:3]
	v_lshrrev_b32_e32 v20, 3, v3
	v_sub_u32_e32 v19, 29, v21
	v_and_b32_e32 v18, 7, v18
	v_cmp_gt_u32_e32 vcc, 8, v3
	v_cndmask_b32_e32 v3, v20, v19, vcc
	v_cndmask_b32_e32 v16, v16, v18, vcc
	v_lshlrev_b32_e32 v2, 24, v2
	v_bfrev_b32_e32 v18, 60
	v_lshlrev_b32_e32 v16, 20, v16
	v_and_b32_e32 v2, 0x80000000, v2
	v_lshl_add_u32 v3, v3, 23, v18
	v_or3_b32 v2, v2, v3, v16
	v_lshrrev_b32_e32 v16, 16, v2
.LBB897_733:
	s_or_b64 exec, exec, s[8:9]
.LBB897_734:
	s_or_b64 exec, exec, s[2:3]
.LBB897_735:
	s_or_b64 exec, exec, s[0:1]
	s_mov_b32 s0, 0x5040100
	v_perm_b32 v3, v13, v14, s0
	v_perm_b32 v2, v11, v12, s0
	ds_read_b128 v[18:21], v22 offset:6144
	v_perm_b32 v13, v16, v17, s0
	v_perm_b32 v12, v10, v15, s0
	s_waitcnt lgkmcnt(0)
	v_mfma_f32_16x16x16bf16_1k v[6:9], v[2:3], v[18:19], v[6:9]
	v_mov_b32_e32 v3, 0
	v_cmp_ne_u16_sdwa s[2:3], v4, v3 src0_sel:BYTE_0 src1_sel:DWORD
	v_mov_b32_e32 v10, 0
	v_mfma_f32_16x16x16bf16_1k v[6:9], v[12:13], v[20:21], v[6:9]
	s_and_saveexec_b64 s[0:1], s[2:3]
	s_cbranch_execz .LBB897_741
; %bb.736:
	s_movk_i32 s2, 0x80
	v_cmp_ne_u16_sdwa s[8:9], v4, s2 src0_sel:BYTE_0 src1_sel:DWORD
	v_mov_b32_e32 v10, 0xffff8000
	s_and_saveexec_b64 s[2:3], s[8:9]
	s_cbranch_execz .LBB897_740
; %bb.737:
	s_movk_i32 s7, 0x7f
	v_and_b32_e32 v2, 0x7f, v4
	v_cmp_ne_u32_e32 vcc, s7, v2
	v_mov_b32_e32 v10, 0x7f80
	s_and_saveexec_b64 s[8:9], vcc
	s_cbranch_execz .LBB897_739
; %bb.738:
	v_and_b32_e32 v12, 7, v4
	v_ffbh_u32_e32 v10, v12
	v_min_u32_e32 v14, 32, v10
	v_subrev_u32_e32 v10, 28, v14
	v_lshlrev_b64 v[10:11], v10, v[4:5]
	v_lshrrev_b32_e32 v13, 3, v2
	v_sub_u32_e32 v11, 29, v14
	v_and_b32_e32 v10, 7, v10
	v_cmp_gt_u32_e32 vcc, 8, v2
	v_cndmask_b32_e32 v2, v13, v11, vcc
	v_cndmask_b32_e32 v10, v12, v10, vcc
	v_lshlrev_b32_e32 v11, 24, v4
	v_bfrev_b32_e32 v12, 60
	v_lshlrev_b32_e32 v10, 20, v10
	v_and_b32_e32 v11, 0x80000000, v11
	v_lshl_add_u32 v2, v2, 23, v12
	v_or3_b32 v2, v11, v2, v10
	v_lshrrev_b32_e32 v10, 16, v2
.LBB897_739:
	s_or_b64 exec, exec, s[8:9]
.LBB897_740:
	s_or_b64 exec, exec, s[2:3]
.LBB897_741:
	s_or_b64 exec, exec, s[0:1]
	v_lshrrev_b16_e32 v2, 8, v4
	v_cmp_ne_u16_e32 vcc, 0, v2
	s_and_saveexec_b64 s[0:1], vcc
	s_cbranch_execz .LBB897_747
; %bb.742:
	s_movk_i32 s2, 0x80
	v_cmp_ne_u16_e32 vcc, s2, v2
	v_mov_b32_e32 v3, 0xffff8000
	s_and_saveexec_b64 s[2:3], vcc
	s_cbranch_execz .LBB897_746
; %bb.743:
	s_movk_i32 s7, 0x7f
	v_and_b32_e32 v11, 0x7f, v2
	v_cmp_ne_u32_e32 vcc, s7, v11
	v_mov_b32_e32 v3, 0x7f80
	s_and_saveexec_b64 s[8:9], vcc
	s_cbranch_execz .LBB897_745
; %bb.744:
	v_and_b32_e32 v12, 7, v2
	v_ffbh_u32_e32 v3, v12
	v_min_u32_e32 v14, 32, v3
	v_subrev_u32_e32 v3, 28, v14
	v_lshlrev_b64 v[2:3], v3, v[2:3]
	v_lshrrev_b32_e32 v13, 3, v11
	v_sub_u32_e32 v3, 29, v14
	v_and_b32_e32 v2, 7, v2
	v_cmp_gt_u32_e32 vcc, 8, v11
	v_cndmask_b32_e32 v3, v13, v3, vcc
	v_cndmask_b32_e32 v2, v12, v2, vcc
	v_lshlrev_b32_e32 v11, 16, v4
	v_bfrev_b32_e32 v12, 60
	v_lshlrev_b32_e32 v2, 20, v2
	v_and_b32_e32 v11, 0x80000000, v11
	v_lshl_add_u32 v3, v3, 23, v12
	v_or3_b32 v2, v11, v3, v2
	v_lshrrev_b32_e32 v3, 16, v2
.LBB897_745:
	s_or_b64 exec, exec, s[8:9]
.LBB897_746:
	s_or_b64 exec, exec, s[2:3]
.LBB897_747:
	s_or_b64 exec, exec, s[0:1]
	s_movk_i32 s0, 0xff
	v_and_b32_sdwa v13, v4, s0 dst_sel:DWORD dst_unused:UNUSED_PAD src0_sel:WORD_1 src1_sel:DWORD
	v_lshrrev_b32_e32 v2, 16, v4
	v_cmp_ne_u16_e32 vcc, 0, v13
	v_mov_b32_e32 v11, 0
	v_mov_b32_e32 v12, 0
	s_and_saveexec_b64 s[0:1], vcc
	s_cbranch_execz .LBB897_753
; %bb.748:
	s_movk_i32 s2, 0x80
	v_cmp_ne_u16_e32 vcc, s2, v13
	v_mov_b32_e32 v12, 0xffff8000
	s_and_saveexec_b64 s[2:3], vcc
	s_cbranch_execz .LBB897_752
; %bb.749:
	v_bfe_u32 v13, v4, 16, 7
	s_movk_i32 s7, 0x7f
	v_cmp_ne_u32_e32 vcc, s7, v13
	v_mov_b32_e32 v12, 0x7f80
	s_and_saveexec_b64 s[8:9], vcc
	s_cbranch_execz .LBB897_751
; %bb.750:
	v_and_b32_e32 v12, 7, v2
	v_ffbh_u32_e32 v14, v12
	v_min_u32_e32 v17, 32, v14
	v_subrev_u32_e32 v14, 28, v17
	v_lshlrev_b64 v[14:15], v14, v[2:3]
	v_lshrrev_b32_e32 v16, 3, v13
	v_sub_u32_e32 v2, 29, v17
	v_and_b32_e32 v14, 7, v14
	v_cmp_gt_u32_e32 vcc, 8, v13
	v_mov_b32_e32 v13, 24
	v_cndmask_b32_e32 v2, v16, v2, vcc
	v_cndmask_b32_e32 v12, v12, v14, vcc
	v_lshlrev_b32_sdwa v13, v13, v4 dst_sel:DWORD dst_unused:UNUSED_PAD src0_sel:DWORD src1_sel:WORD_1
	v_bfrev_b32_e32 v14, 60
	v_lshlrev_b32_e32 v12, 20, v12
	v_and_b32_e32 v13, 0x80000000, v13
	v_lshl_add_u32 v2, v2, 23, v14
	v_or3_b32 v2, v13, v2, v12
	v_lshrrev_b32_e32 v12, 16, v2
.LBB897_751:
	s_or_b64 exec, exec, s[8:9]
.LBB897_752:
	s_or_b64 exec, exec, s[2:3]
.LBB897_753:
	s_or_b64 exec, exec, s[0:1]
	s_mov_b32 s0, 0xffffff
	v_cmp_lt_u32_e32 vcc, s0, v4
	s_and_saveexec_b64 s[0:1], vcc
	s_cbranch_execz .LBB897_759
; %bb.754:
	v_lshrrev_b32_e32 v2, 24, v4
	s_movk_i32 s2, 0x80
	v_cmp_ne_u32_e32 vcc, s2, v2
	v_mov_b32_e32 v11, 0xffff8000
	s_and_saveexec_b64 s[2:3], vcc
	s_cbranch_execz .LBB897_758
; %bb.755:
	v_bfe_u32 v4, v4, 24, 7
	s_movk_i32 s7, 0x7f
	v_cmp_ne_u32_e32 vcc, s7, v4
	v_mov_b32_e32 v11, 0x7f80
	s_and_saveexec_b64 s[8:9], vcc
	s_cbranch_execz .LBB897_757
; %bb.756:
	v_and_b32_e32 v11, 7, v2
	v_ffbh_u32_e32 v14, v11
	v_min_u32_e32 v16, 32, v14
	v_subrev_u32_e32 v14, 28, v16
	v_lshlrev_b64 v[14:15], v14, v[2:3]
	v_lshrrev_b32_e32 v13, 3, v4
	v_sub_u32_e32 v15, 29, v16
	v_and_b32_e32 v14, 7, v14
	v_cmp_gt_u32_e32 vcc, 8, v4
	v_cndmask_b32_e32 v4, v13, v15, vcc
	v_cndmask_b32_e32 v11, v11, v14, vcc
	v_lshlrev_b32_e32 v2, 24, v2
	v_bfrev_b32_e32 v13, 60
	v_lshlrev_b32_e32 v11, 20, v11
	v_and_b32_e32 v2, 0x80000000, v2
	v_lshl_add_u32 v4, v4, 23, v13
	v_or3_b32 v2, v2, v4, v11
	v_lshrrev_b32_e32 v11, 16, v2
.LBB897_757:
	s_or_b64 exec, exec, s[8:9]
.LBB897_758:
	s_or_b64 exec, exec, s[2:3]
.LBB897_759:
	s_or_b64 exec, exec, s[0:1]
	v_mov_b32_e32 v4, 0
	v_cmp_ne_u16_sdwa s[2:3], v5, v4 src0_sel:BYTE_0 src1_sel:DWORD
	v_mov_b32_e32 v13, 0
	s_and_saveexec_b64 s[0:1], s[2:3]
	s_cbranch_execz .LBB897_765
; %bb.760:
	s_movk_i32 s2, 0x80
	v_cmp_ne_u16_sdwa s[8:9], v5, s2 src0_sel:BYTE_0 src1_sel:DWORD
	v_mov_b32_e32 v13, 0xffff8000
	s_and_saveexec_b64 s[2:3], s[8:9]
	s_cbranch_execz .LBB897_764
; %bb.761:
	s_movk_i32 s7, 0x7f
	v_and_b32_e32 v2, 0x7f, v5
	v_cmp_ne_u32_e32 vcc, s7, v2
	v_mov_b32_e32 v13, 0x7f80
	s_and_saveexec_b64 s[8:9], vcc
	s_cbranch_execz .LBB897_763
; %bb.762:
	v_and_b32_e32 v13, 7, v5
	v_ffbh_u32_e32 v15, v13
	v_min_u32_e32 v17, 32, v15
	v_mov_b32_e32 v14, v5
	v_subrev_u32_e32 v15, 28, v17
	v_lshlrev_b64 v[14:15], v15, v[14:15]
	v_lshrrev_b32_e32 v16, 3, v2
	v_sub_u32_e32 v15, 29, v17
	v_and_b32_e32 v14, 7, v14
	v_cmp_gt_u32_e32 vcc, 8, v2
	v_cndmask_b32_e32 v2, v16, v15, vcc
	v_cndmask_b32_e32 v13, v13, v14, vcc
	v_lshlrev_b32_e32 v14, 24, v5
	v_bfrev_b32_e32 v15, 60
	v_lshlrev_b32_e32 v13, 20, v13
	v_and_b32_e32 v14, 0x80000000, v14
	v_lshl_add_u32 v2, v2, 23, v15
	v_or3_b32 v2, v14, v2, v13
	v_lshrrev_b32_e32 v13, 16, v2
.LBB897_763:
	s_or_b64 exec, exec, s[8:9]
.LBB897_764:
	s_or_b64 exec, exec, s[2:3]
.LBB897_765:
	s_or_b64 exec, exec, s[0:1]
	v_lshrrev_b16_e32 v2, 8, v5
	v_cmp_ne_u16_e32 vcc, 0, v2
	s_and_saveexec_b64 s[0:1], vcc
	s_cbranch_execz .LBB897_771
; %bb.766:
	s_movk_i32 s2, 0x80
	v_cmp_ne_u16_e32 vcc, s2, v2
	v_mov_b32_e32 v4, 0xffff8000
	s_and_saveexec_b64 s[2:3], vcc
	s_cbranch_execz .LBB897_770
; %bb.767:
	s_movk_i32 s7, 0x7f
	v_and_b32_e32 v14, 0x7f, v2
	v_cmp_ne_u32_e32 vcc, s7, v14
	v_mov_b32_e32 v4, 0x7f80
	s_and_saveexec_b64 s[8:9], vcc
	s_cbranch_execz .LBB897_769
; %bb.768:
	v_and_b32_e32 v4, 7, v2
	v_ffbh_u32_e32 v16, v4
	v_min_u32_e32 v18, 32, v16
	v_subrev_u32_e32 v16, 28, v18
	v_lshlrev_b64 v[16:17], v16, v[2:3]
	v_lshrrev_b32_e32 v15, 3, v14
	v_sub_u32_e32 v2, 29, v18
	v_and_b32_e32 v16, 7, v16
	v_cmp_gt_u32_e32 vcc, 8, v14
	v_cndmask_b32_e32 v2, v15, v2, vcc
	v_cndmask_b32_e32 v4, v4, v16, vcc
	v_lshlrev_b32_e32 v14, 16, v5
	v_bfrev_b32_e32 v15, 60
	v_lshlrev_b32_e32 v4, 20, v4
	v_and_b32_e32 v14, 0x80000000, v14
	v_lshl_add_u32 v2, v2, 23, v15
	v_or3_b32 v2, v14, v2, v4
	v_lshrrev_b32_e32 v4, 16, v2
.LBB897_769:
	s_or_b64 exec, exec, s[8:9]
.LBB897_770:
	s_or_b64 exec, exec, s[2:3]
.LBB897_771:
	s_or_b64 exec, exec, s[0:1]
	s_movk_i32 s0, 0xff
	v_and_b32_sdwa v16, v5, s0 dst_sel:DWORD dst_unused:UNUSED_PAD src0_sel:WORD_1 src1_sel:DWORD
	v_lshrrev_b32_e32 v2, 16, v5
	v_cmp_ne_u16_e32 vcc, 0, v16
	v_mov_b32_e32 v14, 0
	v_mov_b32_e32 v15, 0
	s_and_saveexec_b64 s[0:1], vcc
	s_cbranch_execz .LBB897_777
; %bb.772:
	s_movk_i32 s2, 0x80
	v_cmp_ne_u16_e32 vcc, s2, v16
	v_mov_b32_e32 v15, 0xffff8000
	s_and_saveexec_b64 s[2:3], vcc
	s_cbranch_execz .LBB897_776
; %bb.773:
	v_bfe_u32 v16, v5, 16, 7
	s_movk_i32 s7, 0x7f
	v_cmp_ne_u32_e32 vcc, s7, v16
	v_mov_b32_e32 v15, 0x7f80
	s_and_saveexec_b64 s[8:9], vcc
	s_cbranch_execz .LBB897_775
; %bb.774:
	v_and_b32_e32 v15, 7, v2
	v_ffbh_u32_e32 v18, v15
	v_min_u32_e32 v20, 32, v18
	v_subrev_u32_e32 v18, 28, v20
	v_lshlrev_b64 v[18:19], v18, v[2:3]
	v_lshrrev_b32_e32 v17, 3, v16
	v_sub_u32_e32 v2, 29, v20
	v_and_b32_e32 v18, 7, v18
	v_cmp_gt_u32_e32 vcc, 8, v16
	v_mov_b32_e32 v16, 24
	v_cndmask_b32_e32 v2, v17, v2, vcc
	v_cndmask_b32_e32 v15, v15, v18, vcc
	v_lshlrev_b32_sdwa v16, v16, v5 dst_sel:DWORD dst_unused:UNUSED_PAD src0_sel:DWORD src1_sel:WORD_1
	v_bfrev_b32_e32 v17, 60
	v_lshlrev_b32_e32 v15, 20, v15
	v_and_b32_e32 v16, 0x80000000, v16
	v_lshl_add_u32 v2, v2, 23, v17
	v_or3_b32 v2, v16, v2, v15
	v_lshrrev_b32_e32 v15, 16, v2
.LBB897_775:
	s_or_b64 exec, exec, s[8:9]
.LBB897_776:
	s_or_b64 exec, exec, s[2:3]
.LBB897_777:
	s_or_b64 exec, exec, s[0:1]
	s_mov_b32 s0, 0xffffff
	v_cmp_lt_u32_e32 vcc, s0, v5
	s_and_saveexec_b64 s[0:1], vcc
	s_cbranch_execz .LBB897_783
; %bb.778:
	v_lshrrev_b32_e32 v2, 24, v5
	s_movk_i32 s2, 0x80
	v_cmp_ne_u32_e32 vcc, s2, v2
	v_mov_b32_e32 v14, 0xffff8000
	s_and_saveexec_b64 s[2:3], vcc
	s_cbranch_execz .LBB897_782
; %bb.779:
	v_bfe_u32 v5, v5, 24, 7
	s_movk_i32 s7, 0x7f
	v_cmp_ne_u32_e32 vcc, s7, v5
	v_mov_b32_e32 v14, 0x7f80
	s_and_saveexec_b64 s[8:9], vcc
	s_cbranch_execz .LBB897_781
; %bb.780:
	v_and_b32_e32 v14, 7, v2
	v_ffbh_u32_e32 v16, v14
	v_min_u32_e32 v19, 32, v16
	v_subrev_u32_e32 v16, 28, v19
	v_lshlrev_b64 v[16:17], v16, v[2:3]
	v_lshrrev_b32_e32 v18, 3, v5
	v_sub_u32_e32 v17, 29, v19
	v_and_b32_e32 v16, 7, v16
	v_cmp_gt_u32_e32 vcc, 8, v5
	v_cndmask_b32_e32 v5, v18, v17, vcc
	v_cndmask_b32_e32 v14, v14, v16, vcc
	v_lshlrev_b32_e32 v2, 24, v2
	v_bfrev_b32_e32 v16, 60
	v_lshlrev_b32_e32 v14, 20, v14
	v_and_b32_e32 v2, 0x80000000, v2
	v_lshl_add_u32 v5, v5, 23, v16
	v_or3_b32 v2, v2, v5, v14
	v_lshrrev_b32_e32 v14, 16, v2
.LBB897_781:
	s_or_b64 exec, exec, s[8:9]
.LBB897_782:
	s_or_b64 exec, exec, s[2:3]
.LBB897_783:
	s_or_b64 exec, exec, s[0:1]
	s_mov_b32 s1, 0x5040100
	v_perm_b32 v11, v11, v12, s1
	ds_read_b128 v[16:19], v22 offset:6160
	v_perm_b32 v10, v3, v10, s1
	v_perm_b32 v3, v14, v15, s1
	;; [unrolled: 1-line block ×3, first 2 shown]
	s_waitcnt lgkmcnt(0)
	v_mfma_f32_16x16x16bf16_1k v[6:9], v[10:11], v[16:17], v[6:9]
	s_load_dword s0, s[42:43], 0x0
	s_mov_b32 s1, 0x7060302
	s_movk_i32 s2, 0x7fff
	s_waitcnt lgkmcnt(0)
	s_barrier
	v_mfma_f32_16x16x16bf16_1k v[2:5], v[2:3], v[18:19], v[6:9]
	s_nop 7
	s_nop 2
	v_pk_mul_f32 v[4:5], v[4:5], s[0:1] op_sel_hi:[1,0]
	v_pk_mul_f32 v[2:3], v[2:3], s[0:1] op_sel_hi:[1,0]
	v_bfe_u32 v6, v3, 16, 1
	v_bfe_u32 v7, v2, 16, 1
	v_bfe_u32 v8, v5, 16, 1
	v_bfe_u32 v9, v4, 16, 1
	v_add3_u32 v2, v2, v7, s2
	v_add3_u32 v3, v3, v6, s2
	;; [unrolled: 1-line block ×4, first 2 shown]
	v_perm_b32 v2, v3, v2, s1
	v_perm_b32 v3, v5, v4, s1
	ds_write_b64 v28, v[2:3]
	s_waitcnt lgkmcnt(0)
	s_barrier
	s_and_saveexec_b64 s[0:1], s[44:45]
	s_cbranch_execz .LBB897_785
; %bb.784:
	s_load_dwordx2 s[0:1], s[4:5], 0x68
	s_lshl_b32 s4, s46, 6
	s_mul_i32 s2, s10, s6
	s_mul_hi_u32 s3, s2, s4
	s_mul_i32 s2, s2, s4
	s_lshl_b64 s[2:3], s[2:3], 1
	s_waitcnt lgkmcnt(0)
	s_add_u32 s2, s0, s2
	s_addc_u32 s3, s1, s3
	s_lshl_b32 s0, s22, 6
	s_mov_b32 s1, 0
	v_lshlrev_b32_e32 v0, 10, v0
	s_lshl_b64 s[0:1], s[0:1], 1
	v_and_b32_e32 v0, 0x1800, v0
	v_and_b32_e32 v2, 16, v48
	s_add_u32 s2, s2, s0
	v_or3_b32 v0, v0, v47, v2
	s_addc_u32 s3, s3, s1
	v_mad_u64_u32 v[6:7], s[0:1], s4, v46, 0
	ds_read_b128 v[2:5], v0
	v_lshlrev_b64 v[6:7], 1, v[6:7]
	v_mov_b32_e32 v0, s3
	v_add_co_u32_e32 v6, vcc, s2, v6
	v_addc_co_u32_e32 v7, vcc, v0, v7, vcc
	v_add_co_u32_e32 v0, vcc, v6, v1
	v_addc_co_u32_e32 v1, vcc, 0, v7, vcc
	s_waitcnt lgkmcnt(0)
	global_store_dwordx4 v[0:1], v[2:5], off
.LBB897_785:
	s_endpgm
	.section	.rodata,"a",@progbits
	.p2align	6, 0x0
	.amdhsa_kernel _Z39paged_attention_ll4mi_QKV_mfma16_kernelI14__hip_bfloat16hLN4vllm18Fp8KVCacheDataTypeE1ES0_Li32ELi64ELi256ELb0ELi4EL8MFMAType0EEvPKT_PKT0_S9_ifPKiSB_SB_iPKfiiiPfSE_PS4_PT2_iSD_SD_
		.amdhsa_group_segment_fixed_size 8192
		.amdhsa_private_segment_fixed_size 0
		.amdhsa_kernarg_size 400
		.amdhsa_user_sgpr_count 6
		.amdhsa_user_sgpr_private_segment_buffer 1
		.amdhsa_user_sgpr_dispatch_ptr 0
		.amdhsa_user_sgpr_queue_ptr 0
		.amdhsa_user_sgpr_kernarg_segment_ptr 1
		.amdhsa_user_sgpr_dispatch_id 0
		.amdhsa_user_sgpr_flat_scratch_init 0
		.amdhsa_user_sgpr_kernarg_preload_length 0
		.amdhsa_user_sgpr_kernarg_preload_offset 0
		.amdhsa_user_sgpr_private_segment_size 0
		.amdhsa_uses_dynamic_stack 0
		.amdhsa_system_sgpr_private_segment_wavefront_offset 0
		.amdhsa_system_sgpr_workgroup_id_x 1
		.amdhsa_system_sgpr_workgroup_id_y 1
		.amdhsa_system_sgpr_workgroup_id_z 1
		.amdhsa_system_sgpr_workgroup_info 0
		.amdhsa_system_vgpr_workitem_id 0
		.amdhsa_next_free_vgpr 64
		.amdhsa_next_free_sgpr 48
		.amdhsa_accum_offset 64
		.amdhsa_reserve_vcc 1
		.amdhsa_reserve_flat_scratch 0
		.amdhsa_float_round_mode_32 0
		.amdhsa_float_round_mode_16_64 0
		.amdhsa_float_denorm_mode_32 3
		.amdhsa_float_denorm_mode_16_64 3
		.amdhsa_dx10_clamp 1
		.amdhsa_ieee_mode 1
		.amdhsa_fp16_overflow 0
		.amdhsa_tg_split 0
		.amdhsa_exception_fp_ieee_invalid_op 0
		.amdhsa_exception_fp_denorm_src 0
		.amdhsa_exception_fp_ieee_div_zero 0
		.amdhsa_exception_fp_ieee_overflow 0
		.amdhsa_exception_fp_ieee_underflow 0
		.amdhsa_exception_fp_ieee_inexact 0
		.amdhsa_exception_int_div_zero 0
	.end_amdhsa_kernel
	.section	.text._Z39paged_attention_ll4mi_QKV_mfma16_kernelI14__hip_bfloat16hLN4vllm18Fp8KVCacheDataTypeE1ES0_Li32ELi64ELi256ELb0ELi4EL8MFMAType0EEvPKT_PKT0_S9_ifPKiSB_SB_iPKfiiiPfSE_PS4_PT2_iSD_SD_,"axG",@progbits,_Z39paged_attention_ll4mi_QKV_mfma16_kernelI14__hip_bfloat16hLN4vllm18Fp8KVCacheDataTypeE1ES0_Li32ELi64ELi256ELb0ELi4EL8MFMAType0EEvPKT_PKT0_S9_ifPKiSB_SB_iPKfiiiPfSE_PS4_PT2_iSD_SD_,comdat
.Lfunc_end897:
	.size	_Z39paged_attention_ll4mi_QKV_mfma16_kernelI14__hip_bfloat16hLN4vllm18Fp8KVCacheDataTypeE1ES0_Li32ELi64ELi256ELb0ELi4EL8MFMAType0EEvPKT_PKT0_S9_ifPKiSB_SB_iPKfiiiPfSE_PS4_PT2_iSD_SD_, .Lfunc_end897-_Z39paged_attention_ll4mi_QKV_mfma16_kernelI14__hip_bfloat16hLN4vllm18Fp8KVCacheDataTypeE1ES0_Li32ELi64ELi256ELb0ELi4EL8MFMAType0EEvPKT_PKT0_S9_ifPKiSB_SB_iPKfiiiPfSE_PS4_PT2_iSD_SD_
                                        ; -- End function
	.section	.AMDGPU.csdata,"",@progbits
; Kernel info:
; codeLenInByte = 28276
; NumSgprs: 52
; NumVgprs: 64
; NumAgprs: 0
; TotalNumVgprs: 64
; ScratchSize: 0
; MemoryBound: 0
; FloatMode: 240
; IeeeMode: 1
; LDSByteSize: 8192 bytes/workgroup (compile time only)
; SGPRBlocks: 6
; VGPRBlocks: 7
; NumSGPRsForWavesPerEU: 52
; NumVGPRsForWavesPerEU: 64
; AccumOffset: 64
; Occupancy: 8
; WaveLimiterHint : 1
; COMPUTE_PGM_RSRC2:SCRATCH_EN: 0
; COMPUTE_PGM_RSRC2:USER_SGPR: 6
; COMPUTE_PGM_RSRC2:TRAP_HANDLER: 0
; COMPUTE_PGM_RSRC2:TGID_X_EN: 1
; COMPUTE_PGM_RSRC2:TGID_Y_EN: 1
; COMPUTE_PGM_RSRC2:TGID_Z_EN: 1
; COMPUTE_PGM_RSRC2:TIDIG_COMP_CNT: 0
; COMPUTE_PGM_RSRC3_GFX90A:ACCUM_OFFSET: 15
; COMPUTE_PGM_RSRC3_GFX90A:TG_SPLIT: 0
	.section	.text._Z39paged_attention_ll4mi_QKV_mfma16_kernelI14__hip_bfloat16hLN4vllm18Fp8KVCacheDataTypeE1ES0_Li16ELi128ELi256ELb1ELi5EL8MFMAType0EEvPKT_PKT0_S9_ifPKiSB_SB_iPKfiiiPfSE_PS4_PT2_iSD_SD_,"axG",@progbits,_Z39paged_attention_ll4mi_QKV_mfma16_kernelI14__hip_bfloat16hLN4vllm18Fp8KVCacheDataTypeE1ES0_Li16ELi128ELi256ELb1ELi5EL8MFMAType0EEvPKT_PKT0_S9_ifPKiSB_SB_iPKfiiiPfSE_PS4_PT2_iSD_SD_,comdat
	.protected	_Z39paged_attention_ll4mi_QKV_mfma16_kernelI14__hip_bfloat16hLN4vllm18Fp8KVCacheDataTypeE1ES0_Li16ELi128ELi256ELb1ELi5EL8MFMAType0EEvPKT_PKT0_S9_ifPKiSB_SB_iPKfiiiPfSE_PS4_PT2_iSD_SD_ ; -- Begin function _Z39paged_attention_ll4mi_QKV_mfma16_kernelI14__hip_bfloat16hLN4vllm18Fp8KVCacheDataTypeE1ES0_Li16ELi128ELi256ELb1ELi5EL8MFMAType0EEvPKT_PKT0_S9_ifPKiSB_SB_iPKfiiiPfSE_PS4_PT2_iSD_SD_
	.globl	_Z39paged_attention_ll4mi_QKV_mfma16_kernelI14__hip_bfloat16hLN4vllm18Fp8KVCacheDataTypeE1ES0_Li16ELi128ELi256ELb1ELi5EL8MFMAType0EEvPKT_PKT0_S9_ifPKiSB_SB_iPKfiiiPfSE_PS4_PT2_iSD_SD_
	.p2align	8
	.type	_Z39paged_attention_ll4mi_QKV_mfma16_kernelI14__hip_bfloat16hLN4vllm18Fp8KVCacheDataTypeE1ES0_Li16ELi128ELi256ELb1ELi5EL8MFMAType0EEvPKT_PKT0_S9_ifPKiSB_SB_iPKfiiiPfSE_PS4_PT2_iSD_SD_,@function
_Z39paged_attention_ll4mi_QKV_mfma16_kernelI14__hip_bfloat16hLN4vllm18Fp8KVCacheDataTypeE1ES0_Li16ELi128ELi256ELb1ELi5EL8MFMAType0EEvPKT_PKT0_S9_ifPKiSB_SB_iPKfiiiPfSE_PS4_PT2_iSD_SD_: ; @_Z39paged_attention_ll4mi_QKV_mfma16_kernelI14__hip_bfloat16hLN4vllm18Fp8KVCacheDataTypeE1ES0_Li16ELi128ELi256ELb1ELi5EL8MFMAType0EEvPKT_PKT0_S9_ifPKiSB_SB_iPKfiiiPfSE_PS4_PT2_iSD_SD_
; %bb.0:
	s_load_dwordx2 s[6:7], s[4:5], 0x30
	s_add_u32 s0, s0, s11
	s_addc_u32 s1, s1, 0
	s_mov_b32 s26, s9
	s_mov_b64 s[14:15], 0
	s_waitcnt lgkmcnt(0)
	s_cmp_lg_u64 s[6:7], 0
	s_cselect_b64 s[12:13], -1, 0
	s_and_b64 vcc, exec, s[12:13]
	s_cbranch_vccz .LBB898_7
; %bb.1:
	s_add_i32 s16, s8, 1
	s_mov_b32 s17, 0
	s_lshl_b64 s[18:19], s[16:17], 2
	s_add_u32 s18, s6, s18
	s_mov_b32 s9, s17
	s_addc_u32 s19, s7, s19
	s_lshl_b64 s[16:17], s[8:9], 2
	s_add_u32 s16, s6, s16
	s_addc_u32 s17, s7, s17
	s_load_dword s11, s[18:19], 0x0
	s_load_dword s20, s[16:17], 0x0
	s_waitcnt lgkmcnt(0)
	s_sub_i32 s11, s11, s20
	s_cmp_eq_u32 s11, 1
	s_cselect_b64 s[16:17], -1, 0
	s_andn2_b64 vcc, exec, s[14:15]
	s_cbranch_vccnz .LBB898_3
.LBB898_2:
	s_mov_b32 s9, 0
	s_mov_b64 s[16:17], -1
.LBB898_3:
	s_andn2_b64 vcc, exec, s[16:17]
	s_cbranch_vccnz .LBB898_600
; %bb.4:
	s_load_dwordx2 s[16:17], s[4:5], 0x28
	s_lshl_b64 s[14:15], s[8:9], 2
	s_waitcnt lgkmcnt(0)
	s_add_u32 s16, s16, s14
	s_addc_u32 s17, s17, s15
	s_load_dword s33, s[16:17], 0x0
	s_lshl_b32 s20, s26, 8
	s_waitcnt lgkmcnt(0)
	s_cmp_ge_i32 s20, s33
	s_cbranch_scc1 .LBB898_600
; %bb.5:
	s_add_i32 s18, s33, 15
	s_load_dwordx2 s[16:17], s[4:5], 0x20
	s_load_dword s11, s[4:5], 0x38
	s_ashr_i32 s19, s18, 31
	v_and_b32_e32 v1, 0xcf, v0
	s_lshr_b32 s19, s19, 28
	v_add_u32_e32 v1, s20, v1
	s_add_i32 s18, s18, s19
	v_ashrrev_i32_e32 v2, 31, v1
	s_ashr_i32 s23, s18, 4
	v_lshrrev_b32_e32 v4, 28, v2
	s_add_i32 s23, s23, -1
	v_add_u32_e32 v2, v1, v4
	s_waitcnt lgkmcnt(0)
	s_mul_i32 s18, s8, s11
	s_mov_b32 s19, 0
	v_ashrrev_i32_e32 v2, 4, v2
	v_mov_b32_e32 v5, s23
	v_cmp_gt_i32_e32 vcc, s33, v1
	s_lshl_b64 s[18:19], s[18:19], 2
	v_cndmask_b32_e32 v2, v5, v2, vcc
	s_add_u32 s21, s16, s18
	v_ashrrev_i32_e32 v3, 31, v2
	s_addc_u32 s22, s17, s19
	v_lshlrev_b64 v[2:3], 2, v[2:3]
	v_mov_b32_e32 v7, s22
	v_add_co_u32_e32 v6, vcc, s21, v2
	v_or_b32_e32 v2, 16, v1
	v_addc_co_u32_e32 v7, vcc, v7, v3, vcc
	v_add_u32_e32 v3, v2, v4
	v_ashrrev_i32_e32 v3, 4, v3
	v_cmp_gt_i32_e32 vcc, s33, v2
	v_cndmask_b32_e32 v2, v5, v3, vcc
	v_ashrrev_i32_e32 v3, 31, v2
	v_lshlrev_b64 v[2:3], 2, v[2:3]
	v_mov_b32_e32 v9, s22
	v_add_co_u32_e32 v8, vcc, s21, v2
	v_or_b32_e32 v2, 32, v1
	v_addc_co_u32_e32 v9, vcc, v9, v3, vcc
	v_add_u32_e32 v3, v2, v4
	v_ashrrev_i32_e32 v3, 4, v3
	v_cmp_gt_i32_e32 vcc, s33, v2
	v_cndmask_b32_e32 v2, v5, v3, vcc
	v_ashrrev_i32_e32 v3, 31, v2
	;; [unrolled: 10-line block ×3, first 2 shown]
	v_lshlrev_b64 v[2:3], 2, v[2:3]
	v_mov_b32_e32 v1, s22
	v_add_co_u32_e32 v12, vcc, s21, v2
	v_addc_co_u32_e32 v13, vcc, v1, v3, vcc
	global_load_dword v5, v[6:7], off
	global_load_dword v4, v[8:9], off
	global_load_dword v3, v[10:11], off
	global_load_dword v2, v[12:13], off
	s_load_dwordx2 s[16:17], s[4:5], 0x8
	s_andn2_b64 vcc, exec, s[12:13]
	s_cbranch_vccnz .LBB898_8
; %bb.6:
	s_add_u32 s6, s6, s14
	s_addc_u32 s7, s7, s15
	s_load_dword s11, s[6:7], 0x0
	s_branch .LBB898_9
.LBB898_7:
	s_mov_b64 s[16:17], 0
	s_branch .LBB898_2
.LBB898_8:
	s_mov_b32 s11, s8
.LBB898_9:
	s_load_dwordx2 s[6:7], s[4:5], 0x10
	s_load_dwordx4 s[12:15], s[4:5], 0x48
	v_lshrrev_b32_e32 v27, 6, v0
	v_bfe_u32 v1, v0, 4, 2
	v_and_b32_e32 v41, 15, v0
	v_lshl_or_b32 v6, v27, 2, v1
	v_lshlrev_b32_e32 v7, 3, v41
	s_mul_i32 s27, s10, 5
	v_cmp_gt_u32_e32 vcc, 5, v6
	v_lshlrev_b32_e32 v39, 1, v7
	v_lshlrev_b32_e32 v43, 4, v0
	s_and_saveexec_b64 s[18:19], vcc
	s_cbranch_execz .LBB898_11
; %bb.10:
	s_load_dwordx2 s[24:25], s[4:5], 0x0
	s_waitcnt lgkmcnt(0)
	s_ashr_i32 s15, s12, 31
	s_mul_hi_u32 s28, s11, s12
	s_mul_i32 s15, s11, s15
	s_add_i32 s29, s28, s15
	s_mul_i32 s28, s11, s12
	s_lshl_b64 s[28:29], s[28:29], 1
	v_add_lshl_u32 v8, v6, s27, 7
	s_add_u32 s11, s24, s28
	v_ashrrev_i32_e32 v9, 31, v8
	s_addc_u32 s12, s25, s29
	v_lshlrev_b64 v[8:9], 1, v[8:9]
	v_mov_b32_e32 v7, s12
	v_add_co_u32_e32 v8, vcc, s11, v8
	v_addc_co_u32_e32 v7, vcc, v7, v9, vcc
	v_add_co_u32_e32 v8, vcc, v8, v39
	v_addc_co_u32_e32 v9, vcc, 0, v7, vcc
	global_load_dwordx4 v[8:11], v[8:9], off
	v_lshlrev_b32_e32 v12, 8, v0
	v_lshlrev_b32_e32 v7, 8, v41
	v_and_b32_e32 v12, 0x600, v12
	s_movk_i32 s11, 0x800
	v_and_or_b32 v7, v7, s11, v12
	v_lshlrev_b32_e32 v6, 5, v6
	v_and_b32_e32 v12, 16, v43
	v_or3_b32 v6, v7, v6, v12
	s_waitcnt vmcnt(0)
	ds_write_b128 v6, v[8:11]
.LBB898_11:
	s_or_b64 exec, exec, s[18:19]
	s_waitcnt lgkmcnt(0)
	s_mul_i32 s14, s10, s14
	s_add_u32 s10, s16, s14
	s_addc_u32 s11, s17, 0
	v_and_b32_e32 v6, 0xf0, v43
	v_mov_b32_e32 v7, s11
	v_add_co_u32_e32 v6, vcc, s10, v6
	v_and_b32_e32 v18, 48, v0
	v_addc_co_u32_e32 v7, vcc, 0, v7, vcc
	v_lshlrev_b32_e32 v10, 4, v18
	s_waitcnt vmcnt(3)
	v_mad_i64_i32 v[8:9], s[10:11], v5, s13, v[6:7]
	v_add_co_u32_e32 v8, vcc, v8, v10
	v_addc_co_u32_e32 v9, vcc, 0, v9, vcc
	s_waitcnt vmcnt(2)
	v_mad_i64_i32 v[4:5], s[10:11], v4, s13, v[6:7]
	v_add_co_u32_e32 v4, vcc, v4, v10
	v_addc_co_u32_e32 v5, vcc, 0, v5, vcc
	s_load_dwordx2 s[48:49], s[4:5], 0x94
	s_waitcnt lgkmcnt(0)
	s_barrier
	global_load_dwordx4 v[20:23], v[8:9], off
	global_load_dwordx4 v[28:31], v[8:9], off offset:1024
	global_load_dwordx4 v[32:35], v[4:5], off
	global_load_dwordx4 v[44:47], v[4:5], off offset:1024
	s_waitcnt vmcnt(5)
	v_mad_i64_i32 v[4:5], s[10:11], v3, s13, v[6:7]
	v_add_co_u32_e32 v4, vcc, v4, v10
	v_addc_co_u32_e32 v5, vcc, 0, v5, vcc
	s_waitcnt vmcnt(4)
	v_mad_i64_i32 v[2:3], s[10:11], v2, s13, v[6:7]
	v_add_co_u32_e32 v2, vcc, v2, v10
	v_addc_co_u32_e32 v3, vcc, 0, v3, vcc
	global_load_dwordx4 v[48:51], v[4:5], off
	global_load_dwordx4 v[52:55], v[4:5], off offset:1024
	global_load_dwordx4 v[56:59], v[2:3], off
	global_load_dwordx4 v[60:63], v[2:3], off offset:1024
	v_mul_lo_u16_e32 v2, 52, v41
	v_mov_b32_e32 v3, 5
	v_mul_lo_u16_sdwa v2, v2, v3 dst_sel:DWORD dst_unused:UNUSED_PAD src0_sel:BYTE_1 src1_sel:DWORD
	v_sub_u16_e32 v2, v41, v2
	v_lshlrev_b32_sdwa v2, v3, v2 dst_sel:DWORD dst_unused:UNUSED_PAD src0_sel:DWORD src1_sel:BYTE_0
	v_lshl_add_u32 v14, v1, 9, v2
	s_load_dwordx2 s[50:51], s[4:5], 0x68
	s_load_dwordx4 s[44:47], s[4:5], 0x58
	ds_read_b128 v[2:5], v14
	ds_read_b128 v[6:9], v14 offset:16
	ds_read_b128 v[10:13], v14 offset:2048
	;; [unrolled: 1-line block ×3, first 2 shown]
	s_mov_b32 s12, 0
	v_cmp_gt_u32_e32 vcc, 5, v41
	s_waitcnt vmcnt(7)
	buffer_store_dword v23, off, s[0:3], 0 offset:12
	buffer_store_dword v22, off, s[0:3], 0 offset:8
	;; [unrolled: 1-line block ×3, first 2 shown]
	buffer_store_dword v20, off, s[0:3], 0
	s_waitcnt vmcnt(10)
	buffer_store_dword v31, off, s[0:3], 0 offset:28
	buffer_store_dword v30, off, s[0:3], 0 offset:24
	buffer_store_dword v29, off, s[0:3], 0 offset:20
	buffer_store_dword v28, off, s[0:3], 0 offset:16
	s_waitcnt vmcnt(13)
	buffer_store_dword v35, off, s[0:3], 0 offset:44
	buffer_store_dword v34, off, s[0:3], 0 offset:40
	buffer_store_dword v33, off, s[0:3], 0 offset:36
	buffer_store_dword v32, off, s[0:3], 0 offset:32
	;; [unrolled: 5-line block ×7, first 2 shown]
	v_mov_b32_e32 v35, 0
	v_mov_b32_e32 v31, 0
	s_and_saveexec_b64 s[10:11], vcc
	s_cbranch_execz .LBB898_13
; %bb.12:
	s_load_dwordx2 s[16:17], s[4:5], 0x40
	v_add_u32_e32 v20, s27, v41
	v_ashrrev_i32_e32 v21, 31, v20
	v_lshlrev_b64 v[20:21], 2, v[20:21]
	s_waitcnt lgkmcnt(0)
	v_mov_b32_e32 v19, s17
	v_add_co_u32_e32 v20, vcc, s16, v20
	v_addc_co_u32_e32 v21, vcc, v19, v21, vcc
	global_load_dword v31, v[20:21], off
.LBB898_13:
	s_or_b64 exec, exec, s[10:11]
	v_or_b32_e32 v22, s20, v18
	v_ashrrev_i32_e32 v18, 4, v22
	v_mov_b32_e32 v23, s23
	v_cmp_gt_i32_e32 vcc, s33, v22
	v_cndmask_b32_e32 v18, v23, v18, vcc
	v_ashrrev_i32_e32 v19, 31, v18
	v_lshlrev_b64 v[18:19], 2, v[18:19]
	v_mov_b32_e32 v20, s22
	v_add_co_u32_e32 v18, vcc, s21, v18
	v_addc_co_u32_e32 v19, vcc, v20, v19, vcc
	global_load_dword v26, v[18:19], off
	v_or_b32_e32 v18, 64, v22
	v_ashrrev_i32_e32 v19, 4, v18
	v_cmp_gt_i32_e32 vcc, s33, v18
	v_cndmask_b32_e32 v18, v23, v19, vcc
	v_ashrrev_i32_e32 v19, 31, v18
	v_lshlrev_b64 v[18:19], 2, v[18:19]
	v_add_co_u32_e32 v18, vcc, s21, v18
	v_addc_co_u32_e32 v19, vcc, v20, v19, vcc
	v_or_b32_e32 v20, 0x80, v22
	v_ashrrev_i32_e32 v21, 4, v20
	v_cmp_gt_i32_e32 vcc, s33, v20
	v_cndmask_b32_e32 v20, v23, v21, vcc
	v_ashrrev_i32_e32 v21, 31, v20
	v_lshlrev_b64 v[20:21], 2, v[20:21]
	v_mov_b32_e32 v24, s22
	v_add_co_u32_e32 v20, vcc, s21, v20
	v_addc_co_u32_e32 v21, vcc, v24, v21, vcc
	global_load_dword v28, v[18:19], off
	global_load_dword v30, v[20:21], off
	v_or_b32_e32 v18, 0xc0, v22
	v_ashrrev_i32_e32 v19, 4, v18
	v_cmp_gt_i32_e32 vcc, s33, v18
	v_cndmask_b32_e32 v18, v23, v19, vcc
	v_ashrrev_i32_e32 v19, 31, v18
	v_lshlrev_b64 v[18:19], 2, v[18:19]
	v_mov_b32_e32 v20, s22
	v_add_co_u32_e32 v18, vcc, s21, v18
	v_addc_co_u32_e32 v19, vcc, v20, v19, vcc
	global_load_dword v34, v[18:19], off
	s_add_u32 s10, s6, s14
	v_lshl_or_b32 v29, v27, 4, v41
	s_addc_u32 s6, s7, 0
	v_lshlrev_b32_e32 v18, 4, v29
	v_mov_b32_e32 v19, s6
	v_add_co_u32_e32 v22, vcc, s10, v18
	v_addc_co_u32_e32 v23, vcc, 0, v19, vcc
	v_or_b32_e32 v24, 0x400, v18
	v_mov_b32_e32 v25, s6
	v_add_co_u32_e32 v24, vcc, s10, v24
	v_addc_co_u32_e32 v25, vcc, 0, v25, vcc
	v_mov_b32_e32 v36, 0
	s_movk_i32 s14, 0x7f
	s_mov_b32 s15, 0xffffff
	s_mov_b32 s16, 0x5040100
	v_mov_b32_e32 v37, 0x100
	v_bfrev_b32_e32 v38, 60
	s_waitcnt vmcnt(3)
	v_mad_i64_i32 v[18:19], s[6:7], v26, s13, v[22:23]
	global_load_dwordx4 v[18:21], v[18:19], off
	v_mad_i64_i32 v[32:33], s[6:7], v26, s13, v[24:25]
	global_load_dwordx4 v[52:55], v[32:33], off
	s_waitcnt vmcnt(4)
	v_mad_i64_i32 v[32:33], s[6:7], v28, s13, v[22:23]
	global_load_dwordx4 v[56:59], v[32:33], off
	s_waitcnt vmcnt(4)
	;; [unrolled: 3-line block ×3, first 2 shown]
	v_mad_i64_i32 v[22:23], s[6:7], v34, s13, v[22:23]
	global_load_dwordx4 v[64:67], v[22:23], off
	v_mad_i64_i32 v[22:23], s[6:7], v28, s13, v[24:25]
	global_load_dwordx4 v[68:71], v[22:23], off
	;; [unrolled: 2-line block ×4, first 2 shown]
	s_load_dword s6, s[4:5], 0x1c
	s_load_dwordx4 s[40:43], s[4:5], 0x80
	v_mov_b32_e32 v22, 0x80
	v_add_u32_e32 v45, 16, v22
	v_add_u32_e32 v46, 32, v22
	;; [unrolled: 1-line block ×3, first 2 shown]
	s_waitcnt lgkmcnt(0)
	s_load_dword s4, s[40:41], 0x0
	v_add_u32_e32 v51, 64, v22
	v_add_u32_e32 v48, 0x50, v22
	;; [unrolled: 1-line block ×4, first 2 shown]
	v_mov_b32_e32 v22, s6
	s_waitcnt lgkmcnt(0)
	v_mul_f32_e32 v22, s4, v22
	v_and_b32_e32 v33, 63, v0
	s_movk_i32 s13, 0x80
	v_mov_b32_e32 v24, v22
	v_mov_b32_e32 v25, v22
	s_waitcnt vmcnt(7)
	buffer_store_dword v21, off, s[0:3], 0 offset:140
	buffer_store_dword v20, off, s[0:3], 0 offset:136
	buffer_store_dword v19, off, s[0:3], 0 offset:132
	buffer_store_dword v18, off, s[0:3], 0 offset:128
	s_waitcnt vmcnt(10)
	buffer_store_dword v55, off, s[0:3], 0 offset:156
	buffer_store_dword v54, off, s[0:3], 0 offset:152
	buffer_store_dword v53, off, s[0:3], 0 offset:148
	buffer_store_dword v52, off, s[0:3], 0 offset:144
	;; [unrolled: 5-line block ×8, first 2 shown]
	s_branch .LBB898_17
.LBB898_14:                             ;   in Loop: Header=BB898_17 Depth=1
	s_or_b64 exec, exec, s[10:11]
.LBB898_15:                             ;   in Loop: Header=BB898_17 Depth=1
	s_or_b64 exec, exec, s[6:7]
.LBB898_16:                             ;   in Loop: Header=BB898_17 Depth=1
	s_or_b64 exec, exec, s[4:5]
	v_perm_b32 v55, v40, v34, s16
	v_perm_b32 v54, v23, v32, s16
	;; [unrolled: 1-line block ×4, first 2 shown]
	v_add_u32_e32 v26, s12, v37
	v_mfma_f32_16x16x16bf16_1k v[18:21], v[54:55], v[14:15], v[18:21]
	s_add_i32 s12, s12, 16
	v_mov_b32_e32 v23, v22
	s_cmp_eq_u32 s12, 64
	v_add_u32_e32 v36, 32, v36
	v_mfma_f32_16x16x16bf16_1k v[18:21], v[52:53], v[16:17], v[18:21]
	s_nop 7
	s_nop 2
	v_pk_mul_f32 v[18:19], v[24:25], v[18:19]
	v_pk_mul_f32 v[20:21], v[22:23], v[20:21]
	buffer_store_dword v19, v26, s[0:3], 0 offen offset:4
	buffer_store_dword v18, v26, s[0:3], 0 offen
	buffer_store_dword v21, v26, s[0:3], 0 offen offset:12
	buffer_store_dword v20, v26, s[0:3], 0 offen offset:8
	s_cbranch_scc1 .LBB898_207
.LBB898_17:                             ; =>This Inner Loop Header: Depth=1
	buffer_load_dword v20, v36, s[0:3], 0 offen
	buffer_load_dword v18, v36, s[0:3], 0 offen offset:4
	buffer_load_dword v28, v36, s[0:3], 0 offen offset:8
	;; [unrolled: 1-line block ×3, first 2 shown]
	v_mov_b32_e32 v19, 0
	v_mov_b32_e32 v21, 0
	s_waitcnt vmcnt(3)
	v_cmp_ne_u16_sdwa s[6:7], v20, v35 src0_sel:BYTE_0 src1_sel:DWORD
	s_and_saveexec_b64 s[4:5], s[6:7]
	s_cbranch_execz .LBB898_23
; %bb.18:                               ;   in Loop: Header=BB898_17 Depth=1
	v_cmp_ne_u16_sdwa s[10:11], v20, s13 src0_sel:BYTE_0 src1_sel:DWORD
	v_mov_b32_e32 v21, 0xffff8000
	s_and_saveexec_b64 s[6:7], s[10:11]
	s_cbranch_execz .LBB898_22
; %bb.19:                               ;   in Loop: Header=BB898_17 Depth=1
	v_and_b32_e32 v23, 0x7f, v20
	v_cmp_ne_u32_e32 vcc, s14, v23
	v_mov_b32_e32 v21, 0x7f80
	s_and_saveexec_b64 s[10:11], vcc
	s_cbranch_execz .LBB898_21
; %bb.20:                               ;   in Loop: Header=BB898_17 Depth=1
	v_and_b32_e32 v21, 7, v20
	v_ffbh_u32_e32 v32, v21
	v_min_u32_e32 v32, 32, v32
	v_subrev_u32_e32 v34, 28, v32
	v_lshlrev_b64 v[52:53], v34, v[20:21]
	v_lshrrev_b32_e32 v30, 3, v23
	v_sub_u32_e32 v32, 29, v32
	v_and_b32_e32 v34, 7, v52
	v_cmp_gt_u32_e32 vcc, 8, v23
	v_cndmask_b32_e32 v23, v30, v32, vcc
	v_cndmask_b32_e32 v21, v21, v34, vcc
	v_lshlrev_b32_e32 v30, 24, v20
	v_lshlrev_b32_e32 v21, 20, v21
	v_and_b32_e32 v30, 0x80000000, v30
	v_lshl_add_u32 v23, v23, 23, v38
	v_or3_b32 v21, v30, v23, v21
	v_lshrrev_b32_e32 v21, 16, v21
.LBB898_21:                             ;   in Loop: Header=BB898_17 Depth=1
	s_or_b64 exec, exec, s[10:11]
.LBB898_22:                             ;   in Loop: Header=BB898_17 Depth=1
	s_or_b64 exec, exec, s[6:7]
.LBB898_23:                             ;   in Loop: Header=BB898_17 Depth=1
	s_or_b64 exec, exec, s[4:5]
	v_lshrrev_b16_e32 v30, 8, v20
	v_cmp_ne_u16_e32 vcc, 0, v30
	s_and_saveexec_b64 s[4:5], vcc
	s_cbranch_execz .LBB898_29
; %bb.24:                               ;   in Loop: Header=BB898_17 Depth=1
	v_cmp_ne_u16_e32 vcc, s13, v30
	v_mov_b32_e32 v19, 0xffff8000
	s_and_saveexec_b64 s[6:7], vcc
	s_cbranch_execz .LBB898_28
; %bb.25:                               ;   in Loop: Header=BB898_17 Depth=1
	v_and_b32_e32 v23, 0x7f, v30
	v_cmp_ne_u32_e32 vcc, s14, v23
	v_mov_b32_e32 v19, 0x7f80
	s_and_saveexec_b64 s[10:11], vcc
	s_cbranch_execz .LBB898_27
; %bb.26:                               ;   in Loop: Header=BB898_17 Depth=1
	v_and_b32_e32 v19, 7, v30
	v_ffbh_u32_e32 v34, v19
	v_min_u32_e32 v34, 32, v34
	v_subrev_u32_e32 v40, 28, v34
	v_lshlrev_b64 v[52:53], v40, v[30:31]
	v_lshrrev_b32_e32 v32, 3, v23
	v_sub_u32_e32 v30, 29, v34
	v_and_b32_e32 v34, 7, v52
	v_cmp_gt_u32_e32 vcc, 8, v23
	v_cndmask_b32_e32 v23, v32, v30, vcc
	v_cndmask_b32_e32 v19, v19, v34, vcc
	v_lshlrev_b32_e32 v30, 16, v20
	v_lshlrev_b32_e32 v19, 20, v19
	v_and_b32_e32 v30, 0x80000000, v30
	v_lshl_add_u32 v23, v23, 23, v38
	v_or3_b32 v19, v30, v23, v19
	v_lshrrev_b32_e32 v19, 16, v19
.LBB898_27:                             ;   in Loop: Header=BB898_17 Depth=1
	s_or_b64 exec, exec, s[10:11]
.LBB898_28:                             ;   in Loop: Header=BB898_17 Depth=1
	s_or_b64 exec, exec, s[6:7]
.LBB898_29:                             ;   in Loop: Header=BB898_17 Depth=1
	s_or_b64 exec, exec, s[4:5]
	v_lshrrev_b32_e32 v30, 16, v20
	v_cmp_ne_u16_sdwa s[6:7], v30, v35 src0_sel:BYTE_0 src1_sel:DWORD
	v_mov_b32_e32 v32, 0
	v_mov_b32_e32 v23, 0
	s_and_saveexec_b64 s[4:5], s[6:7]
	s_cbranch_execz .LBB898_35
; %bb.30:                               ;   in Loop: Header=BB898_17 Depth=1
	v_cmp_ne_u16_sdwa s[10:11], v30, s13 src0_sel:BYTE_0 src1_sel:DWORD
	v_mov_b32_e32 v23, 0xffff8000
	s_and_saveexec_b64 s[6:7], s[10:11]
	s_cbranch_execz .LBB898_34
; %bb.31:                               ;   in Loop: Header=BB898_17 Depth=1
	v_bfe_u32 v34, v20, 16, 7
	v_cmp_ne_u32_e32 vcc, s14, v34
	v_mov_b32_e32 v23, 0x7f80
	s_and_saveexec_b64 s[10:11], vcc
	s_cbranch_execz .LBB898_33
; %bb.32:                               ;   in Loop: Header=BB898_17 Depth=1
	v_and_b32_e32 v23, 7, v30
	v_ffbh_u32_e32 v42, v23
	v_min_u32_e32 v42, 32, v42
	v_subrev_u32_e32 v44, 28, v42
	v_lshlrev_b64 v[52:53], v44, v[30:31]
	v_lshrrev_b32_e32 v40, 3, v34
	v_sub_u32_e32 v42, 29, v42
	v_and_b32_e32 v44, 7, v52
	v_cmp_gt_u32_e32 vcc, 8, v34
	v_cndmask_b32_e32 v34, v40, v42, vcc
	v_cndmask_b32_e32 v23, v23, v44, vcc
	v_lshlrev_b32_e32 v30, 24, v30
	v_lshlrev_b32_e32 v23, 20, v23
	v_and_b32_e32 v30, 0x80000000, v30
	v_lshl_add_u32 v34, v34, 23, v38
	v_or3_b32 v23, v30, v34, v23
	v_lshrrev_b32_e32 v23, 16, v23
.LBB898_33:                             ;   in Loop: Header=BB898_17 Depth=1
	s_or_b64 exec, exec, s[10:11]
.LBB898_34:                             ;   in Loop: Header=BB898_17 Depth=1
	s_or_b64 exec, exec, s[6:7]
.LBB898_35:                             ;   in Loop: Header=BB898_17 Depth=1
	s_or_b64 exec, exec, s[4:5]
	v_cmp_lt_u32_e32 vcc, s15, v20
	s_and_saveexec_b64 s[4:5], vcc
	s_cbranch_execz .LBB898_41
; %bb.36:                               ;   in Loop: Header=BB898_17 Depth=1
	v_lshrrev_b32_e32 v30, 24, v20
	v_cmp_ne_u32_e32 vcc, s13, v30
	v_mov_b32_e32 v32, 0xffff8000
	s_and_saveexec_b64 s[6:7], vcc
	s_cbranch_execz .LBB898_40
; %bb.37:                               ;   in Loop: Header=BB898_17 Depth=1
	v_bfe_u32 v20, v20, 24, 7
	v_cmp_ne_u32_e32 vcc, s14, v20
	v_mov_b32_e32 v32, 0x7f80
	s_and_saveexec_b64 s[10:11], vcc
	s_cbranch_execz .LBB898_39
; %bb.38:                               ;   in Loop: Header=BB898_17 Depth=1
	v_and_b32_e32 v32, 7, v30
	v_ffbh_u32_e32 v40, v32
	v_min_u32_e32 v40, 32, v40
	v_subrev_u32_e32 v42, 28, v40
	v_lshlrev_b64 v[52:53], v42, v[30:31]
	v_lshrrev_b32_e32 v34, 3, v20
	v_sub_u32_e32 v40, 29, v40
	v_and_b32_e32 v42, 7, v52
	v_cmp_gt_u32_e32 vcc, 8, v20
	v_cndmask_b32_e32 v20, v34, v40, vcc
	v_cndmask_b32_e32 v32, v32, v42, vcc
	v_lshlrev_b32_e32 v30, 24, v30
	v_lshlrev_b32_e32 v32, 20, v32
	v_and_b32_e32 v30, 0x80000000, v30
	v_lshl_add_u32 v20, v20, 23, v38
	v_or3_b32 v20, v30, v20, v32
	v_lshrrev_b32_e32 v32, 16, v20
.LBB898_39:                             ;   in Loop: Header=BB898_17 Depth=1
	s_or_b64 exec, exec, s[10:11]
.LBB898_40:                             ;   in Loop: Header=BB898_17 Depth=1
	s_or_b64 exec, exec, s[6:7]
.LBB898_41:                             ;   in Loop: Header=BB898_17 Depth=1
	s_or_b64 exec, exec, s[4:5]
	s_waitcnt vmcnt(2)
	v_cmp_ne_u16_sdwa s[6:7], v18, v35 src0_sel:BYTE_0 src1_sel:DWORD
	v_mov_b32_e32 v30, 0
	v_mov_b32_e32 v34, 0
	s_and_saveexec_b64 s[4:5], s[6:7]
	s_cbranch_execz .LBB898_47
; %bb.42:                               ;   in Loop: Header=BB898_17 Depth=1
	v_cmp_ne_u16_sdwa s[10:11], v18, s13 src0_sel:BYTE_0 src1_sel:DWORD
	v_mov_b32_e32 v34, 0xffff8000
	s_and_saveexec_b64 s[6:7], s[10:11]
	s_cbranch_execz .LBB898_46
; %bb.43:                               ;   in Loop: Header=BB898_17 Depth=1
	v_and_b32_e32 v20, 0x7f, v18
	v_cmp_ne_u32_e32 vcc, s14, v20
	v_mov_b32_e32 v34, 0x7f80
	s_and_saveexec_b64 s[10:11], vcc
	s_cbranch_execz .LBB898_45
; %bb.44:                               ;   in Loop: Header=BB898_17 Depth=1
	v_and_b32_e32 v34, 7, v18
	v_ffbh_u32_e32 v42, v34
	v_min_u32_e32 v42, 32, v42
	v_subrev_u32_e32 v44, 28, v42
	v_lshlrev_b64 v[52:53], v44, v[18:19]
	v_lshrrev_b32_e32 v40, 3, v20
	v_sub_u32_e32 v42, 29, v42
	v_and_b32_e32 v44, 7, v52
	v_cmp_gt_u32_e32 vcc, 8, v20
	v_cndmask_b32_e32 v20, v40, v42, vcc
	v_cndmask_b32_e32 v34, v34, v44, vcc
	v_lshlrev_b32_e32 v40, 24, v18
	v_lshlrev_b32_e32 v34, 20, v34
	v_and_b32_e32 v40, 0x80000000, v40
	v_lshl_add_u32 v20, v20, 23, v38
	v_or3_b32 v20, v40, v20, v34
	v_lshrrev_b32_e32 v34, 16, v20
.LBB898_45:                             ;   in Loop: Header=BB898_17 Depth=1
	s_or_b64 exec, exec, s[10:11]
.LBB898_46:                             ;   in Loop: Header=BB898_17 Depth=1
	s_or_b64 exec, exec, s[6:7]
.LBB898_47:                             ;   in Loop: Header=BB898_17 Depth=1
	s_or_b64 exec, exec, s[4:5]
	v_lshrrev_b16_e32 v20, 8, v18
	v_cmp_ne_u16_e32 vcc, 0, v20
	s_and_saveexec_b64 s[4:5], vcc
	s_cbranch_execz .LBB898_53
; %bb.48:                               ;   in Loop: Header=BB898_17 Depth=1
	v_cmp_ne_u16_e32 vcc, s13, v20
	v_mov_b32_e32 v30, 0xffff8000
	s_and_saveexec_b64 s[6:7], vcc
	s_cbranch_execz .LBB898_52
; %bb.49:                               ;   in Loop: Header=BB898_17 Depth=1
	v_and_b32_e32 v40, 0x7f, v20
	v_cmp_ne_u32_e32 vcc, s14, v40
	v_mov_b32_e32 v30, 0x7f80
	s_and_saveexec_b64 s[10:11], vcc
	s_cbranch_execz .LBB898_51
; %bb.50:                               ;   in Loop: Header=BB898_17 Depth=1
	v_and_b32_e32 v30, 7, v20
	v_ffbh_u32_e32 v44, v30
	v_min_u32_e32 v44, 32, v44
	v_subrev_u32_e32 v52, 28, v44
	v_lshlrev_b64 v[52:53], v52, v[20:21]
	v_lshrrev_b32_e32 v42, 3, v40
	v_sub_u32_e32 v20, 29, v44
	v_and_b32_e32 v44, 7, v52
	v_cmp_gt_u32_e32 vcc, 8, v40
	v_cndmask_b32_e32 v20, v42, v20, vcc
	v_cndmask_b32_e32 v30, v30, v44, vcc
	v_lshlrev_b32_e32 v40, 16, v18
	v_lshlrev_b32_e32 v30, 20, v30
	v_and_b32_e32 v40, 0x80000000, v40
	v_lshl_add_u32 v20, v20, 23, v38
	v_or3_b32 v20, v40, v20, v30
	v_lshrrev_b32_e32 v30, 16, v20
.LBB898_51:                             ;   in Loop: Header=BB898_17 Depth=1
	s_or_b64 exec, exec, s[10:11]
.LBB898_52:                             ;   in Loop: Header=BB898_17 Depth=1
	s_or_b64 exec, exec, s[6:7]
.LBB898_53:                             ;   in Loop: Header=BB898_17 Depth=1
	s_or_b64 exec, exec, s[4:5]
	v_lshrrev_b32_e32 v20, 16, v18
	v_cmp_ne_u16_sdwa s[6:7], v20, v35 src0_sel:BYTE_0 src1_sel:DWORD
	v_mov_b32_e32 v42, 0
	v_mov_b32_e32 v40, 0
	s_and_saveexec_b64 s[4:5], s[6:7]
	s_cbranch_execz .LBB898_59
; %bb.54:                               ;   in Loop: Header=BB898_17 Depth=1
	v_cmp_ne_u16_sdwa s[10:11], v20, s13 src0_sel:BYTE_0 src1_sel:DWORD
	v_mov_b32_e32 v40, 0xffff8000
	s_and_saveexec_b64 s[6:7], s[10:11]
	s_cbranch_execz .LBB898_58
; %bb.55:                               ;   in Loop: Header=BB898_17 Depth=1
	v_bfe_u32 v44, v18, 16, 7
	v_cmp_ne_u32_e32 vcc, s14, v44
	v_mov_b32_e32 v40, 0x7f80
	s_and_saveexec_b64 s[10:11], vcc
	s_cbranch_execz .LBB898_57
; %bb.56:                               ;   in Loop: Header=BB898_17 Depth=1
	v_and_b32_e32 v40, 7, v20
	v_ffbh_u32_e32 v52, v40
	v_min_u32_e32 v55, 32, v52
	v_subrev_u32_e32 v52, 28, v55
	v_lshlrev_b64 v[52:53], v52, v[20:21]
	v_lshrrev_b32_e32 v54, 3, v44
	v_sub_u32_e32 v53, 29, v55
	v_and_b32_e32 v52, 7, v52
	v_cmp_gt_u32_e32 vcc, 8, v44
	v_cndmask_b32_e32 v44, v54, v53, vcc
	v_cndmask_b32_e32 v40, v40, v52, vcc
	v_lshlrev_b32_e32 v20, 24, v20
	v_lshlrev_b32_e32 v40, 20, v40
	v_and_b32_e32 v20, 0x80000000, v20
	v_lshl_add_u32 v44, v44, 23, v38
	v_or3_b32 v20, v20, v44, v40
	v_lshrrev_b32_e32 v40, 16, v20
.LBB898_57:                             ;   in Loop: Header=BB898_17 Depth=1
	s_or_b64 exec, exec, s[10:11]
.LBB898_58:                             ;   in Loop: Header=BB898_17 Depth=1
	s_or_b64 exec, exec, s[6:7]
.LBB898_59:                             ;   in Loop: Header=BB898_17 Depth=1
	s_or_b64 exec, exec, s[4:5]
	v_cmp_lt_u32_e32 vcc, s15, v18
	s_and_saveexec_b64 s[4:5], vcc
	s_cbranch_execz .LBB898_65
; %bb.60:                               ;   in Loop: Header=BB898_17 Depth=1
	v_lshrrev_b32_e32 v20, 24, v18
	v_cmp_ne_u32_e32 vcc, s13, v20
	v_mov_b32_e32 v42, 0xffff8000
	s_and_saveexec_b64 s[6:7], vcc
	s_cbranch_execz .LBB898_64
; %bb.61:                               ;   in Loop: Header=BB898_17 Depth=1
	v_bfe_u32 v18, v18, 24, 7
	v_cmp_ne_u32_e32 vcc, s14, v18
	v_mov_b32_e32 v42, 0x7f80
	s_and_saveexec_b64 s[10:11], vcc
	s_cbranch_execz .LBB898_63
; %bb.62:                               ;   in Loop: Header=BB898_17 Depth=1
	v_and_b32_e32 v42, 7, v20
	v_ffbh_u32_e32 v52, v42
	v_min_u32_e32 v54, 32, v52
	v_subrev_u32_e32 v52, 28, v54
	v_lshlrev_b64 v[52:53], v52, v[20:21]
	v_lshrrev_b32_e32 v44, 3, v18
	v_sub_u32_e32 v53, 29, v54
	v_and_b32_e32 v52, 7, v52
	v_cmp_gt_u32_e32 vcc, 8, v18
	v_cndmask_b32_e32 v18, v44, v53, vcc
	v_cndmask_b32_e32 v42, v42, v52, vcc
	v_lshlrev_b32_e32 v20, 24, v20
	v_lshlrev_b32_e32 v42, 20, v42
	v_and_b32_e32 v20, 0x80000000, v20
	v_lshl_add_u32 v18, v18, 23, v38
	v_or3_b32 v18, v20, v18, v42
	v_lshrrev_b32_e32 v42, 16, v18
.LBB898_63:                             ;   in Loop: Header=BB898_17 Depth=1
	s_or_b64 exec, exec, s[10:11]
.LBB898_64:                             ;   in Loop: Header=BB898_17 Depth=1
	s_or_b64 exec, exec, s[6:7]
.LBB898_65:                             ;   in Loop: Header=BB898_17 Depth=1
	s_or_b64 exec, exec, s[4:5]
	v_perm_b32 v53, v32, v23, s16
	v_perm_b32 v52, v19, v21, s16
	s_waitcnt vmcnt(1)
	v_cmp_ne_u16_sdwa s[6:7], v28, v35 src0_sel:BYTE_0 src1_sel:DWORD
	v_mov_b32_e32 v23, 0
	v_mov_b32_e32 v32, 0
	v_mfma_f32_16x16x16bf16_1k v[18:21], v[52:53], v[2:3], 0
	v_perm_b32 v53, v42, v40, s16
	v_perm_b32 v52, v30, v34, s16
	s_nop 1
	v_mfma_f32_16x16x16bf16_1k v[18:21], v[52:53], v[4:5], v[18:21]
	s_and_saveexec_b64 s[4:5], s[6:7]
	s_cbranch_execz .LBB898_71
; %bb.66:                               ;   in Loop: Header=BB898_17 Depth=1
	v_cmp_ne_u16_sdwa s[10:11], v28, s13 src0_sel:BYTE_0 src1_sel:DWORD
	v_mov_b32_e32 v32, 0xffff8000
	s_and_saveexec_b64 s[6:7], s[10:11]
	s_cbranch_execz .LBB898_70
; %bb.67:                               ;   in Loop: Header=BB898_17 Depth=1
	v_and_b32_e32 v30, 0x7f, v28
	v_cmp_ne_u32_e32 vcc, s14, v30
	v_mov_b32_e32 v32, 0x7f80
	s_and_saveexec_b64 s[10:11], vcc
	s_cbranch_execz .LBB898_69
; %bb.68:                               ;   in Loop: Header=BB898_17 Depth=1
	v_and_b32_e32 v32, 7, v28
	v_ffbh_u32_e32 v40, v32
	v_min_u32_e32 v40, 32, v40
	v_subrev_u32_e32 v42, 28, v40
	v_lshlrev_b64 v[52:53], v42, v[28:29]
	v_lshrrev_b32_e32 v34, 3, v30
	v_sub_u32_e32 v40, 29, v40
	v_and_b32_e32 v42, 7, v52
	v_cmp_gt_u32_e32 vcc, 8, v30
	v_cndmask_b32_e32 v30, v34, v40, vcc
	v_cndmask_b32_e32 v32, v32, v42, vcc
	v_lshlrev_b32_e32 v34, 24, v28
	v_lshlrev_b32_e32 v32, 20, v32
	v_and_b32_e32 v34, 0x80000000, v34
	v_lshl_add_u32 v30, v30, 23, v38
	v_or3_b32 v30, v34, v30, v32
	v_lshrrev_b32_e32 v32, 16, v30
.LBB898_69:                             ;   in Loop: Header=BB898_17 Depth=1
	s_or_b64 exec, exec, s[10:11]
.LBB898_70:                             ;   in Loop: Header=BB898_17 Depth=1
	s_or_b64 exec, exec, s[6:7]
.LBB898_71:                             ;   in Loop: Header=BB898_17 Depth=1
	s_or_b64 exec, exec, s[4:5]
	v_lshrrev_b16_e32 v30, 8, v28
	v_cmp_ne_u16_e32 vcc, 0, v30
	s_and_saveexec_b64 s[4:5], vcc
	s_cbranch_execz .LBB898_77
; %bb.72:                               ;   in Loop: Header=BB898_17 Depth=1
	v_cmp_ne_u16_e32 vcc, s13, v30
	v_mov_b32_e32 v23, 0xffff8000
	s_and_saveexec_b64 s[6:7], vcc
	s_cbranch_execz .LBB898_76
; %bb.73:                               ;   in Loop: Header=BB898_17 Depth=1
	v_and_b32_e32 v34, 0x7f, v30
	v_cmp_ne_u32_e32 vcc, s14, v34
	v_mov_b32_e32 v23, 0x7f80
	s_and_saveexec_b64 s[10:11], vcc
	s_cbranch_execz .LBB898_75
; %bb.74:                               ;   in Loop: Header=BB898_17 Depth=1
	v_and_b32_e32 v23, 7, v30
	v_ffbh_u32_e32 v42, v23
	v_min_u32_e32 v42, 32, v42
	v_subrev_u32_e32 v44, 28, v42
	v_lshlrev_b64 v[52:53], v44, v[30:31]
	v_lshrrev_b32_e32 v40, 3, v34
	v_sub_u32_e32 v30, 29, v42
	v_and_b32_e32 v42, 7, v52
	v_cmp_gt_u32_e32 vcc, 8, v34
	v_cndmask_b32_e32 v30, v40, v30, vcc
	v_cndmask_b32_e32 v23, v23, v42, vcc
	v_lshlrev_b32_e32 v34, 16, v28
	v_lshlrev_b32_e32 v23, 20, v23
	v_and_b32_e32 v34, 0x80000000, v34
	v_lshl_add_u32 v30, v30, 23, v38
	v_or3_b32 v23, v34, v30, v23
	v_lshrrev_b32_e32 v23, 16, v23
.LBB898_75:                             ;   in Loop: Header=BB898_17 Depth=1
	s_or_b64 exec, exec, s[10:11]
.LBB898_76:                             ;   in Loop: Header=BB898_17 Depth=1
	s_or_b64 exec, exec, s[6:7]
.LBB898_77:                             ;   in Loop: Header=BB898_17 Depth=1
	s_or_b64 exec, exec, s[4:5]
	v_lshrrev_b32_e32 v30, 16, v28
	v_cmp_ne_u16_sdwa s[6:7], v30, v35 src0_sel:BYTE_0 src1_sel:DWORD
	v_mov_b32_e32 v40, 0
	v_mov_b32_e32 v34, 0
	s_and_saveexec_b64 s[4:5], s[6:7]
	s_cbranch_execz .LBB898_83
; %bb.78:                               ;   in Loop: Header=BB898_17 Depth=1
	v_cmp_ne_u16_sdwa s[10:11], v30, s13 src0_sel:BYTE_0 src1_sel:DWORD
	v_mov_b32_e32 v34, 0xffff8000
	s_and_saveexec_b64 s[6:7], s[10:11]
	s_cbranch_execz .LBB898_82
; %bb.79:                               ;   in Loop: Header=BB898_17 Depth=1
	v_bfe_u32 v42, v28, 16, 7
	v_cmp_ne_u32_e32 vcc, s14, v42
	v_mov_b32_e32 v34, 0x7f80
	s_and_saveexec_b64 s[10:11], vcc
	s_cbranch_execz .LBB898_81
; %bb.80:                               ;   in Loop: Header=BB898_17 Depth=1
	v_and_b32_e32 v34, 7, v30
	v_ffbh_u32_e32 v52, v34
	v_min_u32_e32 v54, 32, v52
	v_subrev_u32_e32 v52, 28, v54
	v_lshlrev_b64 v[52:53], v52, v[30:31]
	v_lshrrev_b32_e32 v44, 3, v42
	v_sub_u32_e32 v53, 29, v54
	v_and_b32_e32 v52, 7, v52
	v_cmp_gt_u32_e32 vcc, 8, v42
	v_cndmask_b32_e32 v42, v44, v53, vcc
	v_cndmask_b32_e32 v34, v34, v52, vcc
	v_lshlrev_b32_e32 v30, 24, v30
	v_lshlrev_b32_e32 v34, 20, v34
	v_and_b32_e32 v30, 0x80000000, v30
	v_lshl_add_u32 v42, v42, 23, v38
	v_or3_b32 v30, v30, v42, v34
	v_lshrrev_b32_e32 v34, 16, v30
.LBB898_81:                             ;   in Loop: Header=BB898_17 Depth=1
	s_or_b64 exec, exec, s[10:11]
.LBB898_82:                             ;   in Loop: Header=BB898_17 Depth=1
	s_or_b64 exec, exec, s[6:7]
.LBB898_83:                             ;   in Loop: Header=BB898_17 Depth=1
	s_or_b64 exec, exec, s[4:5]
	v_cmp_lt_u32_e32 vcc, s15, v28
	s_and_saveexec_b64 s[4:5], vcc
	s_cbranch_execz .LBB898_89
; %bb.84:                               ;   in Loop: Header=BB898_17 Depth=1
	v_lshrrev_b32_e32 v30, 24, v28
	v_cmp_ne_u32_e32 vcc, s13, v30
	v_mov_b32_e32 v40, 0xffff8000
	s_and_saveexec_b64 s[6:7], vcc
	s_cbranch_execz .LBB898_88
; %bb.85:                               ;   in Loop: Header=BB898_17 Depth=1
	v_bfe_u32 v28, v28, 24, 7
	v_cmp_ne_u32_e32 vcc, s14, v28
	v_mov_b32_e32 v40, 0x7f80
	s_and_saveexec_b64 s[10:11], vcc
	s_cbranch_execz .LBB898_87
; %bb.86:                               ;   in Loop: Header=BB898_17 Depth=1
	v_and_b32_e32 v40, 7, v30
	v_ffbh_u32_e32 v44, v40
	v_min_u32_e32 v44, 32, v44
	v_subrev_u32_e32 v52, 28, v44
	v_lshlrev_b64 v[52:53], v52, v[30:31]
	v_lshrrev_b32_e32 v42, 3, v28
	v_sub_u32_e32 v44, 29, v44
	v_and_b32_e32 v52, 7, v52
	v_cmp_gt_u32_e32 vcc, 8, v28
	v_cndmask_b32_e32 v28, v42, v44, vcc
	v_cndmask_b32_e32 v40, v40, v52, vcc
	v_lshlrev_b32_e32 v30, 24, v30
	v_lshlrev_b32_e32 v40, 20, v40
	v_and_b32_e32 v30, 0x80000000, v30
	v_lshl_add_u32 v28, v28, 23, v38
	v_or3_b32 v28, v30, v28, v40
	v_lshrrev_b32_e32 v40, 16, v28
.LBB898_87:                             ;   in Loop: Header=BB898_17 Depth=1
	s_or_b64 exec, exec, s[10:11]
.LBB898_88:                             ;   in Loop: Header=BB898_17 Depth=1
	s_or_b64 exec, exec, s[6:7]
.LBB898_89:                             ;   in Loop: Header=BB898_17 Depth=1
	s_or_b64 exec, exec, s[4:5]
	s_waitcnt vmcnt(0)
	v_cmp_ne_u16_sdwa s[6:7], v26, v35 src0_sel:BYTE_0 src1_sel:DWORD
	v_mov_b32_e32 v42, 0
	v_mov_b32_e32 v44, 0
	s_and_saveexec_b64 s[4:5], s[6:7]
	s_cbranch_execz .LBB898_95
; %bb.90:                               ;   in Loop: Header=BB898_17 Depth=1
	v_cmp_ne_u16_sdwa s[10:11], v26, s13 src0_sel:BYTE_0 src1_sel:DWORD
	v_mov_b32_e32 v44, 0xffff8000
	s_and_saveexec_b64 s[6:7], s[10:11]
	s_cbranch_execz .LBB898_94
; %bb.91:                               ;   in Loop: Header=BB898_17 Depth=1
	v_and_b32_e32 v28, 0x7f, v26
	v_cmp_ne_u32_e32 vcc, s14, v28
	v_mov_b32_e32 v44, 0x7f80
	s_and_saveexec_b64 s[10:11], vcc
	s_cbranch_execz .LBB898_93
; %bb.92:                               ;   in Loop: Header=BB898_17 Depth=1
	v_and_b32_e32 v30, 7, v26
	v_ffbh_u32_e32 v52, v30
	v_min_u32_e32 v54, 32, v52
	v_subrev_u32_e32 v52, 28, v54
	v_lshlrev_b64 v[52:53], v52, v[26:27]
	v_lshrrev_b32_e32 v44, 3, v28
	v_sub_u32_e32 v53, 29, v54
	v_and_b32_e32 v52, 7, v52
	v_cmp_gt_u32_e32 vcc, 8, v28
	v_cndmask_b32_e32 v28, v44, v53, vcc
	v_cndmask_b32_e32 v30, v30, v52, vcc
	v_lshlrev_b32_e32 v44, 24, v26
	v_lshlrev_b32_e32 v30, 20, v30
	v_and_b32_e32 v44, 0x80000000, v44
	v_lshl_add_u32 v28, v28, 23, v38
	v_or3_b32 v28, v44, v28, v30
	v_lshrrev_b32_e32 v44, 16, v28
.LBB898_93:                             ;   in Loop: Header=BB898_17 Depth=1
	s_or_b64 exec, exec, s[10:11]
.LBB898_94:                             ;   in Loop: Header=BB898_17 Depth=1
	s_or_b64 exec, exec, s[6:7]
.LBB898_95:                             ;   in Loop: Header=BB898_17 Depth=1
	s_or_b64 exec, exec, s[4:5]
	v_lshrrev_b16_e32 v28, 8, v26
	v_cmp_ne_u16_e32 vcc, 0, v28
	s_and_saveexec_b64 s[4:5], vcc
	s_cbranch_execz .LBB898_101
; %bb.96:                               ;   in Loop: Header=BB898_17 Depth=1
	v_cmp_ne_u16_e32 vcc, s13, v28
	v_mov_b32_e32 v42, 0xffff8000
	s_and_saveexec_b64 s[6:7], vcc
	s_cbranch_execz .LBB898_100
; %bb.97:                               ;   in Loop: Header=BB898_17 Depth=1
	v_and_b32_e32 v30, 0x7f, v28
	v_cmp_ne_u32_e32 vcc, s14, v30
	v_mov_b32_e32 v42, 0x7f80
	s_and_saveexec_b64 s[10:11], vcc
	s_cbranch_execz .LBB898_99
; %bb.98:                               ;   in Loop: Header=BB898_17 Depth=1
	v_and_b32_e32 v42, 7, v28
	v_ffbh_u32_e32 v52, v42
	v_min_u32_e32 v55, 32, v52
	v_subrev_u32_e32 v52, 28, v55
	v_lshlrev_b64 v[52:53], v52, v[28:29]
	v_lshrrev_b32_e32 v54, 3, v30
	v_sub_u32_e32 v28, 29, v55
	v_and_b32_e32 v52, 7, v52
	v_cmp_gt_u32_e32 vcc, 8, v30
	v_cndmask_b32_e32 v28, v54, v28, vcc
	v_cndmask_b32_e32 v30, v42, v52, vcc
	v_lshlrev_b32_e32 v42, 16, v26
	v_lshlrev_b32_e32 v30, 20, v30
	v_and_b32_e32 v42, 0x80000000, v42
	v_lshl_add_u32 v28, v28, 23, v38
	v_or3_b32 v28, v42, v28, v30
	v_lshrrev_b32_e32 v42, 16, v28
.LBB898_99:                             ;   in Loop: Header=BB898_17 Depth=1
	s_or_b64 exec, exec, s[10:11]
.LBB898_100:                            ;   in Loop: Header=BB898_17 Depth=1
	s_or_b64 exec, exec, s[6:7]
.LBB898_101:                            ;   in Loop: Header=BB898_17 Depth=1
	s_or_b64 exec, exec, s[4:5]
	v_lshrrev_b32_e32 v28, 16, v26
	v_cmp_ne_u16_sdwa s[6:7], v28, v35 src0_sel:BYTE_0 src1_sel:DWORD
	v_mov_b32_e32 v53, 0
	v_mov_b32_e32 v52, 0
	s_and_saveexec_b64 s[4:5], s[6:7]
	s_cbranch_execz .LBB898_107
; %bb.102:                              ;   in Loop: Header=BB898_17 Depth=1
	v_cmp_ne_u16_sdwa s[10:11], v28, s13 src0_sel:BYTE_0 src1_sel:DWORD
	v_mov_b32_e32 v52, 0xffff8000
	s_and_saveexec_b64 s[6:7], s[10:11]
	s_cbranch_execz .LBB898_106
; %bb.103:                              ;   in Loop: Header=BB898_17 Depth=1
	v_bfe_u32 v30, v26, 16, 7
	v_cmp_ne_u32_e32 vcc, s14, v30
	v_mov_b32_e32 v52, 0x7f80
	s_and_saveexec_b64 s[10:11], vcc
	s_cbranch_execz .LBB898_105
; %bb.104:                              ;   in Loop: Header=BB898_17 Depth=1
	v_and_b32_e32 v52, 7, v28
	v_ffbh_u32_e32 v54, v52
	v_min_u32_e32 v57, 32, v54
	v_subrev_u32_e32 v54, 28, v57
	v_lshlrev_b64 v[54:55], v54, v[28:29]
	v_lshrrev_b32_e32 v56, 3, v30
	v_sub_u32_e32 v55, 29, v57
	v_and_b32_e32 v54, 7, v54
	v_cmp_gt_u32_e32 vcc, 8, v30
	v_cndmask_b32_e32 v30, v56, v55, vcc
	v_cndmask_b32_e32 v52, v52, v54, vcc
	v_lshlrev_b32_e32 v28, 24, v28
	v_lshlrev_b32_e32 v52, 20, v52
	v_and_b32_e32 v28, 0x80000000, v28
	v_lshl_add_u32 v30, v30, 23, v38
	v_or3_b32 v28, v28, v30, v52
	v_lshrrev_b32_e32 v52, 16, v28
.LBB898_105:                            ;   in Loop: Header=BB898_17 Depth=1
	s_or_b64 exec, exec, s[10:11]
.LBB898_106:                            ;   in Loop: Header=BB898_17 Depth=1
	s_or_b64 exec, exec, s[6:7]
.LBB898_107:                            ;   in Loop: Header=BB898_17 Depth=1
	s_or_b64 exec, exec, s[4:5]
	v_cmp_lt_u32_e32 vcc, s15, v26
	s_and_saveexec_b64 s[4:5], vcc
	s_cbranch_execz .LBB898_113
; %bb.108:                              ;   in Loop: Header=BB898_17 Depth=1
	v_lshrrev_b32_e32 v28, 24, v26
	v_cmp_ne_u32_e32 vcc, s13, v28
	v_mov_b32_e32 v53, 0xffff8000
	s_and_saveexec_b64 s[6:7], vcc
	s_cbranch_execz .LBB898_112
; %bb.109:                              ;   in Loop: Header=BB898_17 Depth=1
	v_bfe_u32 v26, v26, 24, 7
	v_cmp_ne_u32_e32 vcc, s14, v26
	v_mov_b32_e32 v53, 0x7f80
	s_and_saveexec_b64 s[10:11], vcc
	s_cbranch_execz .LBB898_111
; %bb.110:                              ;   in Loop: Header=BB898_17 Depth=1
	v_and_b32_e32 v30, 7, v28
	v_ffbh_u32_e32 v54, v30
	v_min_u32_e32 v56, 32, v54
	v_subrev_u32_e32 v54, 28, v56
	v_lshlrev_b64 v[54:55], v54, v[28:29]
	v_lshrrev_b32_e32 v53, 3, v26
	v_sub_u32_e32 v55, 29, v56
	v_and_b32_e32 v54, 7, v54
	v_cmp_gt_u32_e32 vcc, 8, v26
	v_cndmask_b32_e32 v26, v53, v55, vcc
	v_cndmask_b32_e32 v30, v30, v54, vcc
	v_lshlrev_b32_e32 v28, 24, v28
	v_lshlrev_b32_e32 v30, 20, v30
	v_and_b32_e32 v28, 0x80000000, v28
	v_lshl_add_u32 v26, v26, 23, v38
	v_or3_b32 v26, v28, v26, v30
	v_lshrrev_b32_e32 v53, 16, v26
.LBB898_111:                            ;   in Loop: Header=BB898_17 Depth=1
	s_or_b64 exec, exec, s[10:11]
.LBB898_112:                            ;   in Loop: Header=BB898_17 Depth=1
	s_or_b64 exec, exec, s[6:7]
.LBB898_113:                            ;   in Loop: Header=BB898_17 Depth=1
	s_or_b64 exec, exec, s[4:5]
	v_perm_b32 v54, v23, v32, s16
	buffer_load_dword v32, v36, s[0:3], 0 offen offset:16
	buffer_load_dword v30, v36, s[0:3], 0 offen offset:20
	;; [unrolled: 1-line block ×4, first 2 shown]
	v_perm_b32 v55, v40, v34, s16
	v_perm_b32 v53, v53, v52, s16
	;; [unrolled: 1-line block ×3, first 2 shown]
	v_mfma_f32_16x16x16bf16_1k v[18:21], v[54:55], v[6:7], v[18:21]
	v_mov_b32_e32 v23, 0
	v_mov_b32_e32 v40, 0
	s_waitcnt vmcnt(3)
	v_cmp_ne_u16_sdwa s[6:7], v32, v35 src0_sel:BYTE_0 src1_sel:DWORD
	v_mfma_f32_16x16x16bf16_1k v[18:21], v[52:53], v[8:9], v[18:21]
	s_and_saveexec_b64 s[4:5], s[6:7]
	s_cbranch_execz .LBB898_119
; %bb.114:                              ;   in Loop: Header=BB898_17 Depth=1
	v_cmp_ne_u16_sdwa s[10:11], v32, s13 src0_sel:BYTE_0 src1_sel:DWORD
	v_mov_b32_e32 v40, 0xffff8000
	s_and_saveexec_b64 s[6:7], s[10:11]
	s_cbranch_execz .LBB898_118
; %bb.115:                              ;   in Loop: Header=BB898_17 Depth=1
	v_and_b32_e32 v34, 0x7f, v32
	v_cmp_ne_u32_e32 vcc, s14, v34
	v_mov_b32_e32 v40, 0x7f80
	s_and_saveexec_b64 s[10:11], vcc
	s_cbranch_execz .LBB898_117
; %bb.116:                              ;   in Loop: Header=BB898_17 Depth=1
	v_and_b32_e32 v40, 7, v32
	v_ffbh_u32_e32 v44, v40
	v_min_u32_e32 v44, 32, v44
	v_subrev_u32_e32 v52, 28, v44
	v_lshlrev_b64 v[52:53], v52, v[32:33]
	v_lshrrev_b32_e32 v42, 3, v34
	v_sub_u32_e32 v44, 29, v44
	v_and_b32_e32 v52, 7, v52
	v_cmp_gt_u32_e32 vcc, 8, v34
	v_cndmask_b32_e32 v34, v42, v44, vcc
	v_cndmask_b32_e32 v40, v40, v52, vcc
	v_lshlrev_b32_e32 v42, 24, v32
	v_lshlrev_b32_e32 v40, 20, v40
	v_and_b32_e32 v42, 0x80000000, v42
	v_lshl_add_u32 v34, v34, 23, v38
	v_or3_b32 v34, v42, v34, v40
	v_lshrrev_b32_e32 v40, 16, v34
.LBB898_117:                            ;   in Loop: Header=BB898_17 Depth=1
	s_or_b64 exec, exec, s[10:11]
.LBB898_118:                            ;   in Loop: Header=BB898_17 Depth=1
	s_or_b64 exec, exec, s[6:7]
.LBB898_119:                            ;   in Loop: Header=BB898_17 Depth=1
	s_or_b64 exec, exec, s[4:5]
	v_lshrrev_b16_e32 v34, 8, v32
	v_cmp_ne_u16_e32 vcc, 0, v34
	s_and_saveexec_b64 s[4:5], vcc
	s_cbranch_execz .LBB898_125
; %bb.120:                              ;   in Loop: Header=BB898_17 Depth=1
	v_cmp_ne_u16_e32 vcc, s13, v34
	v_mov_b32_e32 v23, 0xffff8000
	s_and_saveexec_b64 s[6:7], vcc
	s_cbranch_execz .LBB898_124
; %bb.121:                              ;   in Loop: Header=BB898_17 Depth=1
	v_and_b32_e32 v42, 0x7f, v34
	v_cmp_ne_u32_e32 vcc, s14, v42
	v_mov_b32_e32 v23, 0x7f80
	s_and_saveexec_b64 s[10:11], vcc
	s_cbranch_execz .LBB898_123
; %bb.122:                              ;   in Loop: Header=BB898_17 Depth=1
	v_and_b32_e32 v23, 7, v34
	v_ffbh_u32_e32 v52, v23
	v_min_u32_e32 v54, 32, v52
	v_subrev_u32_e32 v52, 28, v54
	v_lshlrev_b64 v[52:53], v52, v[34:35]
	v_lshrrev_b32_e32 v44, 3, v42
	v_sub_u32_e32 v34, 29, v54
	v_and_b32_e32 v52, 7, v52
	v_cmp_gt_u32_e32 vcc, 8, v42
	v_cndmask_b32_e32 v34, v44, v34, vcc
	v_cndmask_b32_e32 v23, v23, v52, vcc
	v_lshlrev_b32_e32 v42, 16, v32
	v_lshlrev_b32_e32 v23, 20, v23
	v_and_b32_e32 v42, 0x80000000, v42
	v_lshl_add_u32 v34, v34, 23, v38
	v_or3_b32 v23, v42, v34, v23
	v_lshrrev_b32_e32 v23, 16, v23
.LBB898_123:                            ;   in Loop: Header=BB898_17 Depth=1
	s_or_b64 exec, exec, s[10:11]
.LBB898_124:                            ;   in Loop: Header=BB898_17 Depth=1
	s_or_b64 exec, exec, s[6:7]
.LBB898_125:                            ;   in Loop: Header=BB898_17 Depth=1
	s_or_b64 exec, exec, s[4:5]
	v_lshrrev_b32_e32 v34, 16, v32
	v_cmp_ne_u16_sdwa s[6:7], v34, v35 src0_sel:BYTE_0 src1_sel:DWORD
	v_mov_b32_e32 v44, 0
	v_mov_b32_e32 v42, 0
	s_and_saveexec_b64 s[4:5], s[6:7]
	s_cbranch_execz .LBB898_131
; %bb.126:                              ;   in Loop: Header=BB898_17 Depth=1
	v_cmp_ne_u16_sdwa s[10:11], v34, s13 src0_sel:BYTE_0 src1_sel:DWORD
	v_mov_b32_e32 v42, 0xffff8000
	s_and_saveexec_b64 s[6:7], s[10:11]
	s_cbranch_execz .LBB898_130
; %bb.127:                              ;   in Loop: Header=BB898_17 Depth=1
	v_bfe_u32 v52, v32, 16, 7
	v_cmp_ne_u32_e32 vcc, s14, v52
	v_mov_b32_e32 v42, 0x7f80
	s_and_saveexec_b64 s[10:11], vcc
	s_cbranch_execz .LBB898_129
; %bb.128:                              ;   in Loop: Header=BB898_17 Depth=1
	v_and_b32_e32 v42, 7, v34
	v_ffbh_u32_e32 v54, v42
	v_min_u32_e32 v56, 32, v54
	v_subrev_u32_e32 v54, 28, v56
	v_lshlrev_b64 v[54:55], v54, v[34:35]
	v_lshrrev_b32_e32 v53, 3, v52
	v_sub_u32_e32 v55, 29, v56
	v_and_b32_e32 v54, 7, v54
	v_cmp_gt_u32_e32 vcc, 8, v52
	v_cndmask_b32_e32 v52, v53, v55, vcc
	v_cndmask_b32_e32 v42, v42, v54, vcc
	v_lshlrev_b32_e32 v34, 24, v34
	v_lshlrev_b32_e32 v42, 20, v42
	v_and_b32_e32 v34, 0x80000000, v34
	v_lshl_add_u32 v52, v52, 23, v38
	v_or3_b32 v34, v34, v52, v42
	v_lshrrev_b32_e32 v42, 16, v34
.LBB898_129:                            ;   in Loop: Header=BB898_17 Depth=1
	s_or_b64 exec, exec, s[10:11]
.LBB898_130:                            ;   in Loop: Header=BB898_17 Depth=1
	s_or_b64 exec, exec, s[6:7]
.LBB898_131:                            ;   in Loop: Header=BB898_17 Depth=1
	s_or_b64 exec, exec, s[4:5]
	v_cmp_lt_u32_e32 vcc, s15, v32
	s_and_saveexec_b64 s[4:5], vcc
	s_cbranch_execz .LBB898_137
; %bb.132:                              ;   in Loop: Header=BB898_17 Depth=1
	v_lshrrev_b32_e32 v34, 24, v32
	v_cmp_ne_u32_e32 vcc, s13, v34
	v_mov_b32_e32 v44, 0xffff8000
	s_and_saveexec_b64 s[6:7], vcc
	s_cbranch_execz .LBB898_136
; %bb.133:                              ;   in Loop: Header=BB898_17 Depth=1
	v_bfe_u32 v32, v32, 24, 7
	v_cmp_ne_u32_e32 vcc, s14, v32
	v_mov_b32_e32 v44, 0x7f80
	s_and_saveexec_b64 s[10:11], vcc
	s_cbranch_execz .LBB898_135
; %bb.134:                              ;   in Loop: Header=BB898_17 Depth=1
	v_and_b32_e32 v44, 7, v34
	v_ffbh_u32_e32 v52, v44
	v_min_u32_e32 v55, 32, v52
	v_subrev_u32_e32 v52, 28, v55
	v_lshlrev_b64 v[52:53], v52, v[34:35]
	v_lshrrev_b32_e32 v54, 3, v32
	v_sub_u32_e32 v53, 29, v55
	v_and_b32_e32 v52, 7, v52
	v_cmp_gt_u32_e32 vcc, 8, v32
	v_cndmask_b32_e32 v32, v54, v53, vcc
	v_cndmask_b32_e32 v44, v44, v52, vcc
	v_lshlrev_b32_e32 v34, 24, v34
	v_lshlrev_b32_e32 v44, 20, v44
	v_and_b32_e32 v34, 0x80000000, v34
	v_lshl_add_u32 v32, v32, 23, v38
	v_or3_b32 v32, v34, v32, v44
	v_lshrrev_b32_e32 v44, 16, v32
.LBB898_135:                            ;   in Loop: Header=BB898_17 Depth=1
	s_or_b64 exec, exec, s[10:11]
.LBB898_136:                            ;   in Loop: Header=BB898_17 Depth=1
	s_or_b64 exec, exec, s[6:7]
.LBB898_137:                            ;   in Loop: Header=BB898_17 Depth=1
	s_or_b64 exec, exec, s[4:5]
	s_waitcnt vmcnt(2)
	v_cmp_ne_u16_sdwa s[6:7], v30, v35 src0_sel:BYTE_0 src1_sel:DWORD
	v_mov_b32_e32 v34, 0
	v_mov_b32_e32 v52, 0
	s_and_saveexec_b64 s[4:5], s[6:7]
	s_cbranch_execz .LBB898_143
; %bb.138:                              ;   in Loop: Header=BB898_17 Depth=1
	v_cmp_ne_u16_sdwa s[10:11], v30, s13 src0_sel:BYTE_0 src1_sel:DWORD
	v_mov_b32_e32 v52, 0xffff8000
	s_and_saveexec_b64 s[6:7], s[10:11]
	s_cbranch_execz .LBB898_142
; %bb.139:                              ;   in Loop: Header=BB898_17 Depth=1
	v_and_b32_e32 v32, 0x7f, v30
	v_cmp_ne_u32_e32 vcc, s14, v32
	v_mov_b32_e32 v52, 0x7f80
	s_and_saveexec_b64 s[10:11], vcc
	s_cbranch_execz .LBB898_141
; %bb.140:                              ;   in Loop: Header=BB898_17 Depth=1
	v_and_b32_e32 v54, 7, v30
	v_ffbh_u32_e32 v52, v54
	v_min_u32_e32 v56, 32, v52
	v_subrev_u32_e32 v52, 28, v56
	v_lshlrev_b64 v[52:53], v52, v[30:31]
	v_lshrrev_b32_e32 v55, 3, v32
	v_sub_u32_e32 v53, 29, v56
	v_and_b32_e32 v52, 7, v52
	v_cmp_gt_u32_e32 vcc, 8, v32
	v_cndmask_b32_e32 v32, v55, v53, vcc
	v_cndmask_b32_e32 v52, v54, v52, vcc
	v_lshlrev_b32_e32 v53, 24, v30
	v_lshlrev_b32_e32 v52, 20, v52
	v_and_b32_e32 v53, 0x80000000, v53
	v_lshl_add_u32 v32, v32, 23, v38
	v_or3_b32 v32, v53, v32, v52
	v_lshrrev_b32_e32 v52, 16, v32
.LBB898_141:                            ;   in Loop: Header=BB898_17 Depth=1
	s_or_b64 exec, exec, s[10:11]
.LBB898_142:                            ;   in Loop: Header=BB898_17 Depth=1
	s_or_b64 exec, exec, s[6:7]
.LBB898_143:                            ;   in Loop: Header=BB898_17 Depth=1
	s_or_b64 exec, exec, s[4:5]
	v_lshrrev_b16_e32 v32, 8, v30
	v_cmp_ne_u16_e32 vcc, 0, v32
	s_and_saveexec_b64 s[4:5], vcc
	s_cbranch_execz .LBB898_149
; %bb.144:                              ;   in Loop: Header=BB898_17 Depth=1
	v_cmp_ne_u16_e32 vcc, s13, v32
	v_mov_b32_e32 v34, 0xffff8000
	s_and_saveexec_b64 s[6:7], vcc
	s_cbranch_execz .LBB898_148
; %bb.145:                              ;   in Loop: Header=BB898_17 Depth=1
	v_and_b32_e32 v53, 0x7f, v32
	v_cmp_ne_u32_e32 vcc, s14, v53
	v_mov_b32_e32 v34, 0x7f80
	s_and_saveexec_b64 s[10:11], vcc
	s_cbranch_execz .LBB898_147
; %bb.146:                              ;   in Loop: Header=BB898_17 Depth=1
	v_and_b32_e32 v34, 7, v32
	v_ffbh_u32_e32 v54, v34
	v_min_u32_e32 v57, 32, v54
	v_subrev_u32_e32 v54, 28, v57
	v_lshlrev_b64 v[54:55], v54, v[32:33]
	v_lshrrev_b32_e32 v56, 3, v53
	v_sub_u32_e32 v32, 29, v57
	v_and_b32_e32 v54, 7, v54
	v_cmp_gt_u32_e32 vcc, 8, v53
	v_cndmask_b32_e32 v32, v56, v32, vcc
	v_cndmask_b32_e32 v34, v34, v54, vcc
	v_lshlrev_b32_e32 v53, 16, v30
	v_lshlrev_b32_e32 v34, 20, v34
	v_and_b32_e32 v53, 0x80000000, v53
	v_lshl_add_u32 v32, v32, 23, v38
	v_or3_b32 v32, v53, v32, v34
	v_lshrrev_b32_e32 v34, 16, v32
.LBB898_147:                            ;   in Loop: Header=BB898_17 Depth=1
	s_or_b64 exec, exec, s[10:11]
.LBB898_148:                            ;   in Loop: Header=BB898_17 Depth=1
	s_or_b64 exec, exec, s[6:7]
.LBB898_149:                            ;   in Loop: Header=BB898_17 Depth=1
	s_or_b64 exec, exec, s[4:5]
	v_lshrrev_b32_e32 v32, 16, v30
	v_cmp_ne_u16_sdwa s[6:7], v32, v35 src0_sel:BYTE_0 src1_sel:DWORD
	v_mov_b32_e32 v54, 0
	v_mov_b32_e32 v53, 0
	s_and_saveexec_b64 s[4:5], s[6:7]
	s_cbranch_execz .LBB898_155
; %bb.150:                              ;   in Loop: Header=BB898_17 Depth=1
	v_cmp_ne_u16_sdwa s[10:11], v32, s13 src0_sel:BYTE_0 src1_sel:DWORD
	v_mov_b32_e32 v53, 0xffff8000
	s_and_saveexec_b64 s[6:7], s[10:11]
	s_cbranch_execz .LBB898_154
; %bb.151:                              ;   in Loop: Header=BB898_17 Depth=1
	v_bfe_u32 v55, v30, 16, 7
	v_cmp_ne_u32_e32 vcc, s14, v55
	v_mov_b32_e32 v53, 0x7f80
	s_and_saveexec_b64 s[10:11], vcc
	s_cbranch_execz .LBB898_153
; %bb.152:                              ;   in Loop: Header=BB898_17 Depth=1
	v_and_b32_e32 v53, 7, v32
	v_ffbh_u32_e32 v56, v53
	v_min_u32_e32 v59, 32, v56
	v_subrev_u32_e32 v56, 28, v59
	v_lshlrev_b64 v[56:57], v56, v[32:33]
	v_lshrrev_b32_e32 v58, 3, v55
	v_sub_u32_e32 v57, 29, v59
	v_and_b32_e32 v56, 7, v56
	v_cmp_gt_u32_e32 vcc, 8, v55
	v_cndmask_b32_e32 v55, v58, v57, vcc
	v_cndmask_b32_e32 v53, v53, v56, vcc
	v_lshlrev_b32_e32 v32, 24, v32
	v_lshlrev_b32_e32 v53, 20, v53
	v_and_b32_e32 v32, 0x80000000, v32
	v_lshl_add_u32 v55, v55, 23, v38
	v_or3_b32 v32, v32, v55, v53
	v_lshrrev_b32_e32 v53, 16, v32
.LBB898_153:                            ;   in Loop: Header=BB898_17 Depth=1
	s_or_b64 exec, exec, s[10:11]
.LBB898_154:                            ;   in Loop: Header=BB898_17 Depth=1
	s_or_b64 exec, exec, s[6:7]
.LBB898_155:                            ;   in Loop: Header=BB898_17 Depth=1
	s_or_b64 exec, exec, s[4:5]
	v_cmp_lt_u32_e32 vcc, s15, v30
	s_and_saveexec_b64 s[4:5], vcc
	s_cbranch_execz .LBB898_161
; %bb.156:                              ;   in Loop: Header=BB898_17 Depth=1
	v_lshrrev_b32_e32 v32, 24, v30
	v_cmp_ne_u32_e32 vcc, s13, v32
	v_mov_b32_e32 v54, 0xffff8000
	s_and_saveexec_b64 s[6:7], vcc
	s_cbranch_execz .LBB898_160
; %bb.157:                              ;   in Loop: Header=BB898_17 Depth=1
	v_bfe_u32 v30, v30, 24, 7
	v_cmp_ne_u32_e32 vcc, s14, v30
	v_mov_b32_e32 v54, 0x7f80
	s_and_saveexec_b64 s[10:11], vcc
	s_cbranch_execz .LBB898_159
; %bb.158:                              ;   in Loop: Header=BB898_17 Depth=1
	v_and_b32_e32 v56, 7, v32
	v_ffbh_u32_e32 v54, v56
	v_min_u32_e32 v58, 32, v54
	v_subrev_u32_e32 v54, 28, v58
	v_lshlrev_b64 v[54:55], v54, v[32:33]
	v_lshrrev_b32_e32 v57, 3, v30
	v_sub_u32_e32 v55, 29, v58
	v_and_b32_e32 v54, 7, v54
	v_cmp_gt_u32_e32 vcc, 8, v30
	v_cndmask_b32_e32 v30, v57, v55, vcc
	v_cndmask_b32_e32 v54, v56, v54, vcc
	v_lshlrev_b32_e32 v32, 24, v32
	v_lshlrev_b32_e32 v54, 20, v54
	v_and_b32_e32 v32, 0x80000000, v32
	v_lshl_add_u32 v30, v30, 23, v38
	v_or3_b32 v30, v32, v30, v54
	v_lshrrev_b32_e32 v54, 16, v30
.LBB898_159:                            ;   in Loop: Header=BB898_17 Depth=1
	s_or_b64 exec, exec, s[10:11]
.LBB898_160:                            ;   in Loop: Header=BB898_17 Depth=1
	s_or_b64 exec, exec, s[6:7]
.LBB898_161:                            ;   in Loop: Header=BB898_17 Depth=1
	s_or_b64 exec, exec, s[4:5]
	v_perm_b32 v57, v44, v42, s16
	v_perm_b32 v56, v23, v40, s16
	v_perm_b32 v53, v54, v53, s16
	v_perm_b32 v52, v34, v52, s16
	s_waitcnt vmcnt(1)
	v_cmp_ne_u16_sdwa s[6:7], v28, v35 src0_sel:BYTE_0 src1_sel:DWORD
	v_mfma_f32_16x16x16bf16_1k v[18:21], v[56:57], v[10:11], v[18:21]
	v_mov_b32_e32 v23, 0
	v_mov_b32_e32 v32, 0
	v_mfma_f32_16x16x16bf16_1k v[18:21], v[52:53], v[12:13], v[18:21]
	s_and_saveexec_b64 s[4:5], s[6:7]
	s_cbranch_execz .LBB898_167
; %bb.162:                              ;   in Loop: Header=BB898_17 Depth=1
	v_cmp_ne_u16_sdwa s[10:11], v28, s13 src0_sel:BYTE_0 src1_sel:DWORD
	v_mov_b32_e32 v32, 0xffff8000
	s_and_saveexec_b64 s[6:7], s[10:11]
	s_cbranch_execz .LBB898_166
; %bb.163:                              ;   in Loop: Header=BB898_17 Depth=1
	v_and_b32_e32 v30, 0x7f, v28
	v_cmp_ne_u32_e32 vcc, s14, v30
	v_mov_b32_e32 v32, 0x7f80
	s_and_saveexec_b64 s[10:11], vcc
	s_cbranch_execz .LBB898_165
; %bb.164:                              ;   in Loop: Header=BB898_17 Depth=1
	v_and_b32_e32 v32, 7, v28
	v_ffbh_u32_e32 v40, v32
	v_min_u32_e32 v40, 32, v40
	v_subrev_u32_e32 v42, 28, v40
	v_lshlrev_b64 v[52:53], v42, v[28:29]
	v_lshrrev_b32_e32 v34, 3, v30
	v_sub_u32_e32 v40, 29, v40
	v_and_b32_e32 v42, 7, v52
	v_cmp_gt_u32_e32 vcc, 8, v30
	v_cndmask_b32_e32 v30, v34, v40, vcc
	v_cndmask_b32_e32 v32, v32, v42, vcc
	v_lshlrev_b32_e32 v34, 24, v28
	v_lshlrev_b32_e32 v32, 20, v32
	v_and_b32_e32 v34, 0x80000000, v34
	v_lshl_add_u32 v30, v30, 23, v38
	v_or3_b32 v30, v34, v30, v32
	v_lshrrev_b32_e32 v32, 16, v30
.LBB898_165:                            ;   in Loop: Header=BB898_17 Depth=1
	s_or_b64 exec, exec, s[10:11]
.LBB898_166:                            ;   in Loop: Header=BB898_17 Depth=1
	s_or_b64 exec, exec, s[6:7]
.LBB898_167:                            ;   in Loop: Header=BB898_17 Depth=1
	s_or_b64 exec, exec, s[4:5]
	v_lshrrev_b16_e32 v30, 8, v28
	v_cmp_ne_u16_e32 vcc, 0, v30
	s_and_saveexec_b64 s[4:5], vcc
	s_cbranch_execz .LBB898_173
; %bb.168:                              ;   in Loop: Header=BB898_17 Depth=1
	v_cmp_ne_u16_e32 vcc, s13, v30
	v_mov_b32_e32 v23, 0xffff8000
	s_and_saveexec_b64 s[6:7], vcc
	s_cbranch_execz .LBB898_172
; %bb.169:                              ;   in Loop: Header=BB898_17 Depth=1
	v_and_b32_e32 v34, 0x7f, v30
	v_cmp_ne_u32_e32 vcc, s14, v34
	v_mov_b32_e32 v23, 0x7f80
	s_and_saveexec_b64 s[10:11], vcc
	s_cbranch_execz .LBB898_171
; %bb.170:                              ;   in Loop: Header=BB898_17 Depth=1
	v_and_b32_e32 v23, 7, v30
	v_ffbh_u32_e32 v42, v23
	v_min_u32_e32 v42, 32, v42
	v_subrev_u32_e32 v44, 28, v42
	v_lshlrev_b64 v[52:53], v44, v[30:31]
	v_lshrrev_b32_e32 v40, 3, v34
	v_sub_u32_e32 v30, 29, v42
	v_and_b32_e32 v42, 7, v52
	v_cmp_gt_u32_e32 vcc, 8, v34
	v_cndmask_b32_e32 v30, v40, v30, vcc
	v_cndmask_b32_e32 v23, v23, v42, vcc
	v_lshlrev_b32_e32 v34, 16, v28
	v_lshlrev_b32_e32 v23, 20, v23
	v_and_b32_e32 v34, 0x80000000, v34
	v_lshl_add_u32 v30, v30, 23, v38
	v_or3_b32 v23, v34, v30, v23
	v_lshrrev_b32_e32 v23, 16, v23
.LBB898_171:                            ;   in Loop: Header=BB898_17 Depth=1
	s_or_b64 exec, exec, s[10:11]
.LBB898_172:                            ;   in Loop: Header=BB898_17 Depth=1
	s_or_b64 exec, exec, s[6:7]
.LBB898_173:                            ;   in Loop: Header=BB898_17 Depth=1
	s_or_b64 exec, exec, s[4:5]
	v_lshrrev_b32_e32 v30, 16, v28
	v_cmp_ne_u16_sdwa s[6:7], v30, v35 src0_sel:BYTE_0 src1_sel:DWORD
	v_mov_b32_e32 v40, 0
	v_mov_b32_e32 v34, 0
	s_and_saveexec_b64 s[4:5], s[6:7]
	s_cbranch_execz .LBB898_179
; %bb.174:                              ;   in Loop: Header=BB898_17 Depth=1
	v_cmp_ne_u16_sdwa s[10:11], v30, s13 src0_sel:BYTE_0 src1_sel:DWORD
	v_mov_b32_e32 v34, 0xffff8000
	s_and_saveexec_b64 s[6:7], s[10:11]
	s_cbranch_execz .LBB898_178
; %bb.175:                              ;   in Loop: Header=BB898_17 Depth=1
	v_bfe_u32 v42, v28, 16, 7
	v_cmp_ne_u32_e32 vcc, s14, v42
	v_mov_b32_e32 v34, 0x7f80
	s_and_saveexec_b64 s[10:11], vcc
	s_cbranch_execz .LBB898_177
; %bb.176:                              ;   in Loop: Header=BB898_17 Depth=1
	v_and_b32_e32 v34, 7, v30
	v_ffbh_u32_e32 v52, v34
	v_min_u32_e32 v54, 32, v52
	v_subrev_u32_e32 v52, 28, v54
	v_lshlrev_b64 v[52:53], v52, v[30:31]
	v_lshrrev_b32_e32 v44, 3, v42
	v_sub_u32_e32 v53, 29, v54
	v_and_b32_e32 v52, 7, v52
	v_cmp_gt_u32_e32 vcc, 8, v42
	v_cndmask_b32_e32 v42, v44, v53, vcc
	v_cndmask_b32_e32 v34, v34, v52, vcc
	v_lshlrev_b32_e32 v30, 24, v30
	v_lshlrev_b32_e32 v34, 20, v34
	v_and_b32_e32 v30, 0x80000000, v30
	v_lshl_add_u32 v42, v42, 23, v38
	v_or3_b32 v30, v30, v42, v34
	v_lshrrev_b32_e32 v34, 16, v30
.LBB898_177:                            ;   in Loop: Header=BB898_17 Depth=1
	s_or_b64 exec, exec, s[10:11]
.LBB898_178:                            ;   in Loop: Header=BB898_17 Depth=1
	s_or_b64 exec, exec, s[6:7]
.LBB898_179:                            ;   in Loop: Header=BB898_17 Depth=1
	s_or_b64 exec, exec, s[4:5]
	v_cmp_lt_u32_e32 vcc, s15, v28
	s_and_saveexec_b64 s[4:5], vcc
	s_cbranch_execz .LBB898_185
; %bb.180:                              ;   in Loop: Header=BB898_17 Depth=1
	v_lshrrev_b32_e32 v30, 24, v28
	v_cmp_ne_u32_e32 vcc, s13, v30
	v_mov_b32_e32 v40, 0xffff8000
	s_and_saveexec_b64 s[6:7], vcc
	s_cbranch_execz .LBB898_184
; %bb.181:                              ;   in Loop: Header=BB898_17 Depth=1
	v_bfe_u32 v28, v28, 24, 7
	v_cmp_ne_u32_e32 vcc, s14, v28
	v_mov_b32_e32 v40, 0x7f80
	s_and_saveexec_b64 s[10:11], vcc
	s_cbranch_execz .LBB898_183
; %bb.182:                              ;   in Loop: Header=BB898_17 Depth=1
	v_and_b32_e32 v40, 7, v30
	v_ffbh_u32_e32 v44, v40
	v_min_u32_e32 v44, 32, v44
	v_subrev_u32_e32 v52, 28, v44
	v_lshlrev_b64 v[52:53], v52, v[30:31]
	v_lshrrev_b32_e32 v42, 3, v28
	v_sub_u32_e32 v44, 29, v44
	v_and_b32_e32 v52, 7, v52
	v_cmp_gt_u32_e32 vcc, 8, v28
	v_cndmask_b32_e32 v28, v42, v44, vcc
	v_cndmask_b32_e32 v40, v40, v52, vcc
	v_lshlrev_b32_e32 v30, 24, v30
	v_lshlrev_b32_e32 v40, 20, v40
	v_and_b32_e32 v30, 0x80000000, v30
	v_lshl_add_u32 v28, v28, 23, v38
	v_or3_b32 v28, v30, v28, v40
	v_lshrrev_b32_e32 v40, 16, v28
.LBB898_183:                            ;   in Loop: Header=BB898_17 Depth=1
	s_or_b64 exec, exec, s[10:11]
.LBB898_184:                            ;   in Loop: Header=BB898_17 Depth=1
	s_or_b64 exec, exec, s[6:7]
.LBB898_185:                            ;   in Loop: Header=BB898_17 Depth=1
	s_or_b64 exec, exec, s[4:5]
	s_waitcnt vmcnt(0)
	v_cmp_ne_u16_sdwa s[6:7], v26, v35 src0_sel:BYTE_0 src1_sel:DWORD
	v_mov_b32_e32 v30, 0
	v_mov_b32_e32 v42, 0
	s_and_saveexec_b64 s[4:5], s[6:7]
	s_cbranch_execz .LBB898_191
; %bb.186:                              ;   in Loop: Header=BB898_17 Depth=1
	v_cmp_ne_u16_sdwa s[10:11], v26, s13 src0_sel:BYTE_0 src1_sel:DWORD
	v_mov_b32_e32 v42, 0xffff8000
	s_and_saveexec_b64 s[6:7], s[10:11]
	s_cbranch_execz .LBB898_190
; %bb.187:                              ;   in Loop: Header=BB898_17 Depth=1
	v_and_b32_e32 v28, 0x7f, v26
	v_cmp_ne_u32_e32 vcc, s14, v28
	v_mov_b32_e32 v42, 0x7f80
	s_and_saveexec_b64 s[10:11], vcc
	s_cbranch_execz .LBB898_189
; %bb.188:                              ;   in Loop: Header=BB898_17 Depth=1
	v_and_b32_e32 v42, 7, v26
	v_ffbh_u32_e32 v52, v42
	v_min_u32_e32 v54, 32, v52
	v_subrev_u32_e32 v52, 28, v54
	v_lshlrev_b64 v[52:53], v52, v[26:27]
	v_lshrrev_b32_e32 v44, 3, v28
	v_sub_u32_e32 v53, 29, v54
	v_and_b32_e32 v52, 7, v52
	v_cmp_gt_u32_e32 vcc, 8, v28
	v_cndmask_b32_e32 v28, v44, v53, vcc
	v_cndmask_b32_e32 v42, v42, v52, vcc
	v_lshlrev_b32_e32 v44, 24, v26
	v_lshlrev_b32_e32 v42, 20, v42
	v_and_b32_e32 v44, 0x80000000, v44
	v_lshl_add_u32 v28, v28, 23, v38
	v_or3_b32 v28, v44, v28, v42
	v_lshrrev_b32_e32 v42, 16, v28
.LBB898_189:                            ;   in Loop: Header=BB898_17 Depth=1
	s_or_b64 exec, exec, s[10:11]
.LBB898_190:                            ;   in Loop: Header=BB898_17 Depth=1
	s_or_b64 exec, exec, s[6:7]
.LBB898_191:                            ;   in Loop: Header=BB898_17 Depth=1
	s_or_b64 exec, exec, s[4:5]
	v_lshrrev_b16_e32 v28, 8, v26
	v_cmp_ne_u16_e32 vcc, 0, v28
	s_and_saveexec_b64 s[4:5], vcc
	s_cbranch_execz .LBB898_197
; %bb.192:                              ;   in Loop: Header=BB898_17 Depth=1
	v_cmp_ne_u16_e32 vcc, s13, v28
	v_mov_b32_e32 v30, 0xffff8000
	s_and_saveexec_b64 s[6:7], vcc
	s_cbranch_execz .LBB898_196
; %bb.193:                              ;   in Loop: Header=BB898_17 Depth=1
	v_and_b32_e32 v44, 0x7f, v28
	v_cmp_ne_u32_e32 vcc, s14, v44
	v_mov_b32_e32 v30, 0x7f80
	s_and_saveexec_b64 s[10:11], vcc
	s_cbranch_execz .LBB898_195
; %bb.194:                              ;   in Loop: Header=BB898_17 Depth=1
	v_and_b32_e32 v30, 7, v28
	v_ffbh_u32_e32 v52, v30
	v_min_u32_e32 v55, 32, v52
	v_subrev_u32_e32 v52, 28, v55
	v_lshlrev_b64 v[52:53], v52, v[28:29]
	v_lshrrev_b32_e32 v54, 3, v44
	v_sub_u32_e32 v28, 29, v55
	v_and_b32_e32 v52, 7, v52
	v_cmp_gt_u32_e32 vcc, 8, v44
	v_cndmask_b32_e32 v28, v54, v28, vcc
	v_cndmask_b32_e32 v30, v30, v52, vcc
	v_lshlrev_b32_e32 v44, 16, v26
	v_lshlrev_b32_e32 v30, 20, v30
	v_and_b32_e32 v44, 0x80000000, v44
	v_lshl_add_u32 v28, v28, 23, v38
	v_or3_b32 v28, v44, v28, v30
	v_lshrrev_b32_e32 v30, 16, v28
.LBB898_195:                            ;   in Loop: Header=BB898_17 Depth=1
	s_or_b64 exec, exec, s[10:11]
.LBB898_196:                            ;   in Loop: Header=BB898_17 Depth=1
	s_or_b64 exec, exec, s[6:7]
.LBB898_197:                            ;   in Loop: Header=BB898_17 Depth=1
	s_or_b64 exec, exec, s[4:5]
	v_lshrrev_b32_e32 v28, 16, v26
	v_cmp_ne_u16_sdwa s[6:7], v28, v35 src0_sel:BYTE_0 src1_sel:DWORD
	v_mov_b32_e32 v52, 0
	v_mov_b32_e32 v44, 0
	s_and_saveexec_b64 s[4:5], s[6:7]
	s_cbranch_execz .LBB898_203
; %bb.198:                              ;   in Loop: Header=BB898_17 Depth=1
	v_cmp_ne_u16_sdwa s[10:11], v28, s13 src0_sel:BYTE_0 src1_sel:DWORD
	v_mov_b32_e32 v44, 0xffff8000
	s_and_saveexec_b64 s[6:7], s[10:11]
	s_cbranch_execz .LBB898_202
; %bb.199:                              ;   in Loop: Header=BB898_17 Depth=1
	v_bfe_u32 v53, v26, 16, 7
	v_cmp_ne_u32_e32 vcc, s14, v53
	v_mov_b32_e32 v44, 0x7f80
	s_and_saveexec_b64 s[10:11], vcc
	s_cbranch_execz .LBB898_201
; %bb.200:                              ;   in Loop: Header=BB898_17 Depth=1
	v_and_b32_e32 v44, 7, v28
	v_ffbh_u32_e32 v54, v44
	v_min_u32_e32 v57, 32, v54
	v_subrev_u32_e32 v54, 28, v57
	v_lshlrev_b64 v[54:55], v54, v[28:29]
	v_lshrrev_b32_e32 v56, 3, v53
	v_sub_u32_e32 v55, 29, v57
	v_and_b32_e32 v54, 7, v54
	v_cmp_gt_u32_e32 vcc, 8, v53
	v_cndmask_b32_e32 v53, v56, v55, vcc
	v_cndmask_b32_e32 v44, v44, v54, vcc
	v_lshlrev_b32_e32 v28, 24, v28
	v_lshlrev_b32_e32 v44, 20, v44
	v_and_b32_e32 v28, 0x80000000, v28
	v_lshl_add_u32 v53, v53, 23, v38
	v_or3_b32 v28, v28, v53, v44
	v_lshrrev_b32_e32 v44, 16, v28
.LBB898_201:                            ;   in Loop: Header=BB898_17 Depth=1
	s_or_b64 exec, exec, s[10:11]
.LBB898_202:                            ;   in Loop: Header=BB898_17 Depth=1
	s_or_b64 exec, exec, s[6:7]
.LBB898_203:                            ;   in Loop: Header=BB898_17 Depth=1
	s_or_b64 exec, exec, s[4:5]
	v_cmp_lt_u32_e32 vcc, s15, v26
	s_and_saveexec_b64 s[4:5], vcc
	s_cbranch_execz .LBB898_16
; %bb.204:                              ;   in Loop: Header=BB898_17 Depth=1
	v_lshrrev_b32_e32 v28, 24, v26
	v_cmp_ne_u32_e32 vcc, s13, v28
	v_mov_b32_e32 v52, 0xffff8000
	s_and_saveexec_b64 s[6:7], vcc
	s_cbranch_execz .LBB898_15
; %bb.205:                              ;   in Loop: Header=BB898_17 Depth=1
	v_bfe_u32 v26, v26, 24, 7
	v_cmp_ne_u32_e32 vcc, s14, v26
	v_mov_b32_e32 v52, 0x7f80
	s_and_saveexec_b64 s[10:11], vcc
	s_cbranch_execz .LBB898_14
; %bb.206:                              ;   in Loop: Header=BB898_17 Depth=1
	v_and_b32_e32 v54, 7, v28
	v_ffbh_u32_e32 v52, v54
	v_min_u32_e32 v56, 32, v52
	v_subrev_u32_e32 v52, 28, v56
	v_lshlrev_b64 v[52:53], v52, v[28:29]
	v_lshrrev_b32_e32 v55, 3, v26
	v_sub_u32_e32 v53, 29, v56
	v_and_b32_e32 v52, 7, v52
	v_cmp_gt_u32_e32 vcc, 8, v26
	v_cndmask_b32_e32 v26, v55, v53, vcc
	v_cndmask_b32_e32 v52, v54, v52, vcc
	v_lshlrev_b32_e32 v28, 24, v28
	v_lshlrev_b32_e32 v52, 20, v52
	v_and_b32_e32 v28, 0x80000000, v28
	v_lshl_add_u32 v26, v26, 23, v38
	v_or3_b32 v26, v28, v26, v52
	v_lshrrev_b32_e32 v52, 16, v26
	s_branch .LBB898_14
.LBB898_207:
	buffer_load_dword v17, off, s[0:3], 0 offset:256
	buffer_load_dword v16, off, s[0:3], 0 offset:260
	;; [unrolled: 1-line block ×16, first 2 shown]
	v_and_b32_e32 v18, 0xc0, v0
	v_add_u32_e32 v18, s20, v18
	v_lshl_or_b32 v18, v1, 2, v18
	v_or_b32_e32 v20, 1, v18
	v_subrev_u32_e32 v24, s33, v20
	v_add_u32_e32 v26, 1, v24
	v_cvt_f32_i32_e32 v25, v24
	v_add_u32_e32 v28, 2, v24
	v_add_u32_e32 v30, 3, v24
	;; [unrolled: 1-line block ×14, first 2 shown]
	v_cvt_f32_i32_e32 v26, v26
	v_cvt_f32_i32_e32 v28, v28
	;; [unrolled: 1-line block ×4, first 2 shown]
	v_mov_b32_e32 v19, 0xff7fffff
	v_or_b32_e32 v21, 2, v18
	v_or_b32_e32 v22, 3, v18
	v_cvt_f32_i32_e32 v32, v32
	v_cvt_f32_i32_e32 v34, v34
	v_cmp_gt_i32_e64 s[28:29], s33, v18
	v_cmp_gt_i32_e64 s[30:31], s33, v20
	s_mov_b32 s52, 0xff7fffff
	v_cmp_gt_i32_e64 s[34:35], s33, v21
	v_cmp_gt_i32_e64 s[36:37], s33, v22
	v_or_b32_e32 v23, 16, v18
	v_cvt_f32_i32_e32 v35, v35
	v_cvt_f32_i32_e32 v36, v36
	v_cmp_gt_i32_e64 s[24:25], s33, v23
	v_cvt_f32_i32_e32 v37, v37
	v_cvt_f32_i32_e32 v38, v38
	;; [unrolled: 1-line block ×7, first 2 shown]
	s_waitcnt vmcnt(15)
	v_fmac_f32_e32 v17, v31, v25
	s_waitcnt vmcnt(14)
	v_fmac_f32_e32 v16, v31, v26
	;; [unrolled: 2-line block ×4, first 2 shown]
	v_cndmask_b32_e64 v20, v19, v16, s[30:31]
	v_cndmask_b32_e64 v21, v19, v15, s[34:35]
	;; [unrolled: 1-line block ×3, first 2 shown]
	s_waitcnt vmcnt(11)
	v_fmac_f32_e32 v13, v31, v32
	s_waitcnt vmcnt(10)
	v_fmac_f32_e32 v12, v31, v34
	;; [unrolled: 2-line block ×9, first 2 shown]
	v_cndmask_b32_e64 v24, v19, v17, s[28:29]
	v_max3_f32 v20, v24, s52, v20
	v_max3_f32 v20, v20, v21, v22
	v_or_b32_e32 v22, 17, v18
	v_cmp_gt_i32_e64 s[38:39], s33, v22
	v_cndmask_b32_e64 v21, v19, v13, s[24:25]
	v_cndmask_b32_e64 v22, v19, v12, s[38:39]
	v_max3_f32 v20, v20, v21, v22
	v_or_b32_e32 v21, 18, v18
	v_or_b32_e32 v22, 19, v18
	v_cmp_gt_i32_e64 s[20:21], s33, v21
	v_cmp_gt_i32_e64 s[22:23], s33, v22
	v_cndmask_b32_e64 v21, v19, v11, s[20:21]
	v_cndmask_b32_e64 v22, v19, v10, s[22:23]
	v_max3_f32 v20, v20, v21, v22
	v_or_b32_e32 v21, 32, v18
	v_or_b32_e32 v22, 33, v18
	v_cmp_gt_i32_e64 s[16:17], s33, v21
	;; [unrolled: 7-line block ×3, first 2 shown]
	v_cmp_gt_i32_e64 s[14:15], s33, v22
	v_cndmask_b32_e64 v21, v19, v7, s[12:13]
	v_cndmask_b32_e64 v22, v19, v6, s[14:15]
	v_max3_f32 v20, v20, v21, v22
	v_or_b32_e32 v21, 48, v18
	v_or_b32_e32 v22, 49, v18
	v_fmac_f32_e32 v5, v31, v44
	v_fmac_f32_e32 v4, v31, v52
	v_cmp_gt_i32_e64 s[6:7], s33, v21
	v_cmp_gt_i32_e64 s[10:11], s33, v22
	v_cndmask_b32_e64 v21, v19, v5, s[6:7]
	v_cndmask_b32_e64 v22, v19, v4, s[10:11]
	v_max3_f32 v20, v20, v21, v22
	v_or_b32_e32 v21, 50, v18
	v_or_b32_e32 v18, 51, v18
	v_fmac_f32_e32 v3, v31, v53
	v_cmp_gt_i32_e32 vcc, s33, v21
	v_cmp_gt_i32_e64 s[4:5], s33, v18
	v_cndmask_b32_e32 v21, v19, v3, vcc
	v_cndmask_b32_e64 v18, v19, v2, s[4:5]
	v_mbcnt_lo_u32_b32 v19, -1, 0
	v_mbcnt_hi_u32_b32 v19, -1, v19
	v_max3_f32 v18, v20, v21, v18
	v_and_b32_e32 v20, 64, v19
	v_add_u32_e32 v20, 64, v20
	v_xor_b32_e32 v21, 32, v19
	v_cmp_lt_i32_e64 s[40:41], v21, v20
	v_cndmask_b32_e64 v21, v19, v21, s[40:41]
	v_lshlrev_b32_e32 v21, 2, v21
	ds_bpermute_b32 v22, v21, v18
	s_waitcnt lgkmcnt(0)
	v_max_f32_e32 v22, v22, v22
	v_max_f32_e32 v18, v18, v22
	v_xor_b32_e32 v22, 16, v19
	v_cmp_lt_i32_e64 s[40:41], v22, v20
	v_cndmask_b32_e64 v19, v19, v22, s[40:41]
	v_lshlrev_b32_e32 v19, 2, v19
	ds_bpermute_b32 v20, v19, v18
	s_waitcnt lgkmcnt(0)
	v_max_f32_e32 v20, v20, v20
	v_max_f32_e32 v18, v18, v20
	v_sub_f32_e32 v17, v17, v18
	v_mul_f32_e32 v17, 0x3fb8aa3b, v17
	v_sub_f32_e32 v16, v16, v18
	v_exp_f32_e32 v17, v17
	v_mul_f32_e32 v16, 0x3fb8aa3b, v16
	v_sub_f32_e32 v15, v15, v18
	v_exp_f32_e32 v16, v16
	;; [unrolled: 3-line block ×4, first 2 shown]
	v_mul_f32_e32 v13, 0x3fb8aa3b, v13
	v_sub_f32_e32 v12, v12, v18
	v_cndmask_b32_e64 v17, 0, v17, s[28:29]
	v_exp_f32_e32 v13, v13
	v_mul_f32_e32 v12, 0x3fb8aa3b, v12
	v_sub_f32_e32 v11, v11, v18
	v_add_f32_e32 v20, 0, v17
	v_cndmask_b32_e64 v16, 0, v16, s[30:31]
	v_exp_f32_e32 v12, v12
	v_mul_f32_e32 v11, 0x3fb8aa3b, v11
	v_sub_f32_e32 v10, v10, v18
	v_add_f32_e32 v20, v20, v16
	;; [unrolled: 5-line block ×4, first 2 shown]
	v_cndmask_b32_e64 v13, 0, v13, s[24:25]
	v_exp_f32_e32 v9, v9
	v_mul_f32_e32 v8, 0x3fb8aa3b, v8
	v_sub_f32_e32 v7, v7, v18
	buffer_store_dword v17, off, s[0:3], 0 offset:256
	buffer_store_dword v16, off, s[0:3], 0 offset:260
	;; [unrolled: 1-line block ×4, first 2 shown]
	v_add_f32_e32 v14, v20, v13
	v_cndmask_b32_e64 v12, 0, v12, s[38:39]
	v_exp_f32_e32 v8, v8
	v_mul_f32_e32 v7, 0x3fb8aa3b, v7
	v_sub_f32_e32 v6, v6, v18
	v_add_f32_e32 v14, v14, v12
	v_cndmask_b32_e64 v11, 0, v11, s[20:21]
	v_exp_f32_e32 v7, v7
	v_mul_f32_e32 v6, 0x3fb8aa3b, v6
	v_sub_f32_e32 v5, v5, v18
	;; [unrolled: 5-line block ×4, first 2 shown]
	buffer_store_dword v13, off, s[0:3], 0 offset:272
	buffer_store_dword v12, off, s[0:3], 0 offset:276
	;; [unrolled: 1-line block ×4, first 2 shown]
	v_add_f32_e32 v10, v14, v9
	v_cndmask_b32_e64 v8, 0, v8, s[18:19]
	v_exp_f32_e32 v4, v4
	v_mul_f32_e32 v3, 0x3fb8aa3b, v3
	v_sub_f32_e32 v2, v2, v18
	v_add_f32_e32 v10, v10, v8
	v_cndmask_b32_e64 v7, 0, v7, s[12:13]
	v_exp_f32_e32 v3, v3
	v_mul_f32_e32 v2, 0x3fb8aa3b, v2
	v_add_f32_e32 v10, v10, v7
	v_cndmask_b32_e64 v6, 0, v6, s[14:15]
	v_exp_f32_e32 v2, v2
	v_add_f32_e32 v10, v10, v6
	v_cndmask_b32_e64 v5, 0, v5, s[6:7]
	buffer_store_dword v9, off, s[0:3], 0 offset:288
	buffer_store_dword v8, off, s[0:3], 0 offset:292
	;; [unrolled: 1-line block ×4, first 2 shown]
	v_add_f32_e32 v6, v10, v5
	v_cndmask_b32_e64 v4, 0, v4, s[10:11]
	v_add_f32_e32 v6, v6, v4
	v_cndmask_b32_e32 v3, 0, v3, vcc
	v_add_f32_e32 v6, v6, v3
	v_cndmask_b32_e64 v2, 0, v2, s[4:5]
	v_add_f32_e32 v6, v6, v2
	ds_bpermute_b32 v7, v21, v6
	buffer_store_dword v5, off, s[0:3], 0 offset:304
	buffer_store_dword v4, off, s[0:3], 0 offset:308
	;; [unrolled: 1-line block ×4, first 2 shown]
	v_cmp_gt_u32_e64 s[4:5], 16, v33
	s_waitcnt lgkmcnt(0)
	s_barrier
	v_add_f32_e32 v2, v6, v7
	ds_bpermute_b32 v3, v19, v2
	s_waitcnt lgkmcnt(0)
	s_and_saveexec_b64 s[6:7], s[4:5]
	s_cbranch_execz .LBB898_209
; %bb.208:
	v_add_f32_e32 v2, v2, v3
	v_lshlrev_b32_e32 v3, 2, v29
	ds_write2st64_b32 v3, v18, v2 offset1:1
.LBB898_209:
	s_or_b64 exec, exec, s[6:7]
	v_lshlrev_b32_e32 v2, 2, v41
	s_waitcnt lgkmcnt(0)
	s_barrier
	ds_read2_b32 v[14:15], v2 offset1:16
	ds_read2_b32 v[16:17], v2 offset0:32 offset1:48
	ds_read2_b32 v[6:7], v2 offset0:64 offset1:80
	;; [unrolled: 1-line block ×3, first 2 shown]
	s_waitcnt lgkmcnt(0)
	s_barrier
	buffer_load_dword v22, off, s[0:3], 0 offset:264
	buffer_load_dword v23, off, s[0:3], 0 offset:268
	;; [unrolled: 1-line block ×16, first 2 shown]
	v_max3_f32 v20, v14, s52, v15
	v_max3_f32 v20, v20, v16, v17
	v_sub_f32_e32 v14, v14, v20
	v_sub_f32_e32 v15, v15, v20
	v_mul_f32_e32 v14, 0x3fb8aa3b, v14
	v_sub_f32_e32 v16, v16, v20
	v_mul_f32_e32 v15, 0x3fb8aa3b, v15
	v_exp_f32_e32 v14, v14
	v_sub_f32_e32 v17, v17, v20
	v_mul_f32_e32 v16, 0x3fb8aa3b, v16
	v_exp_f32_e32 v15, v15
	v_mul_f32_e32 v17, 0x3fb8aa3b, v17
	v_exp_f32_e32 v16, v16
	v_exp_f32_e32 v17, v17
	v_fma_f32 v6, v14, v6, 0
	v_fmac_f32_e32 v6, v15, v7
	v_fmac_f32_e32 v6, v16, v12
	;; [unrolled: 1-line block ×3, first 2 shown]
	v_cmp_eq_u32_e32 vcc, 1, v27
	v_add_f32_e32 v12, 0x358637bd, v6
	v_cndmask_b32_e32 v14, v14, v15, vcc
	v_cmp_eq_u32_e32 vcc, 2, v27
	v_div_scale_f32 v13, s[6:7], v12, v12, 1.0
	v_cndmask_b32_e32 v7, v14, v16, vcc
	v_rcp_f32_e32 v14, v13
	v_cmp_eq_u32_e32 vcc, 3, v27
	v_cndmask_b32_e32 v7, v7, v17, vcc
	v_div_scale_f32 v15, vcc, 1.0, v12, 1.0
	v_fma_f32 v16, -v13, v14, 1.0
	v_fmac_f32_e32 v14, v16, v14
	v_mul_f32_e32 v16, v15, v14
	v_fma_f32 v17, -v13, v16, v15
	v_fmac_f32_e32 v16, v17, v14
	v_fma_f32 v13, -v13, v16, v15
	v_div_fmas_f32 v13, v13, v14, v16
	v_div_fixup_f32 v12, v13, v12, 1.0
	v_mul_f32_e32 v12, v7, v12
	s_movk_i32 s21, 0x7fff
	s_mov_b32 s22, 0x7060302
	s_mul_i32 s20, s49, 5
	v_cmp_gt_u32_e32 vcc, 5, v0
	s_waitcnt vmcnt(14)
	v_pk_mul_f32 v[14:15], v[12:13], v[22:23] op_sel_hi:[0,1]
	v_bfe_u32 v21, v15, 16, 1
	s_waitcnt vmcnt(12)
	v_pk_mul_f32 v[16:17], v[12:13], v[24:25] op_sel_hi:[0,1]
	v_bfe_u32 v7, v17, 16, 1
	v_bfe_u32 v13, v16, 16, 1
	;; [unrolled: 1-line block ×3, first 2 shown]
	v_add3_u32 v13, v16, v13, s21
	v_add3_u32 v7, v17, v7, s21
	buffer_store_dword v16, off, s[0:3], 0 offset:256
	buffer_store_dword v17, off, s[0:3], 0 offset:260
	buffer_store_dword v14, off, s[0:3], 0 offset:264
	buffer_store_dword v15, off, s[0:3], 0 offset:268
	v_add3_u32 v16, v14, v22, s21
	v_add3_u32 v15, v15, v21, s21
	v_perm_b32 v14, v7, v13, s22
	v_lshlrev_b32_e32 v13, 3, v1
	v_perm_b32 v15, v15, v16, s22
	v_lshlrev_b32_e32 v7, 5, v41
	v_lshlrev_b32_e32 v16, 11, v27
	s_waitcnt vmcnt(12)
	v_pk_mul_f32 v[8:9], v[12:13], v[8:9] op_sel_hi:[0,1]
	v_or3_b32 v52, v16, v7, v13
	v_pk_mul_f32 v[10:11], v[12:13], v[10:11] op_sel_hi:[0,1]
	v_bfe_u32 v13, v9, 16, 1
	v_bfe_u32 v16, v8, 16, 1
	buffer_store_dword v8, off, s[0:3], 0 offset:272
	buffer_store_dword v9, off, s[0:3], 0 offset:276
	;; [unrolled: 1-line block ×4, first 2 shown]
	v_add3_u32 v8, v8, v16, s21
	v_add3_u32 v9, v9, v13, s21
	v_perm_b32 v8, v9, v8, s22
	v_bfe_u32 v9, v11, 16, 1
	v_bfe_u32 v13, v10, 16, 1
	v_add3_u32 v10, v10, v13, s21
	v_add3_u32 v9, v11, v9, s21
	v_perm_b32 v9, v9, v10, s22
	s_waitcnt vmcnt(14)
	v_pk_mul_f32 v[10:11], v[12:13], v[18:19] op_sel_hi:[0,1]
	ds_write2st64_b64 v52, v[14:15], v[8:9] offset1:1
	s_waitcnt vmcnt(12)
	v_pk_mul_f32 v[8:9], v[12:13], v[28:29] op_sel_hi:[0,1]
	v_bfe_u32 v13, v11, 16, 1
	v_bfe_u32 v14, v10, 16, 1
	buffer_store_dword v10, off, s[0:3], 0 offset:288
	buffer_store_dword v11, off, s[0:3], 0 offset:292
	;; [unrolled: 1-line block ×4, first 2 shown]
	v_add3_u32 v10, v10, v14, s21
	v_add3_u32 v11, v11, v13, s21
	v_perm_b32 v10, v11, v10, s22
	v_bfe_u32 v11, v9, 16, 1
	v_bfe_u32 v13, v8, 16, 1
	v_add3_u32 v8, v8, v13, s21
	v_add3_u32 v9, v9, v11, s21
	s_waitcnt vmcnt(14)
	v_pk_mul_f32 v[2:3], v[12:13], v[2:3] op_sel_hi:[0,1]
	v_perm_b32 v11, v9, v8, s22
	v_bfe_u32 v8, v3, 16, 1
	v_bfe_u32 v9, v2, 16, 1
	s_waitcnt vmcnt(12)
	v_pk_mul_f32 v[4:5], v[12:13], v[4:5] op_sel_hi:[0,1]
	buffer_store_dword v2, off, s[0:3], 0 offset:304
	buffer_store_dword v3, off, s[0:3], 0 offset:308
	;; [unrolled: 1-line block ×4, first 2 shown]
	v_add3_u32 v2, v2, v9, s21
	v_add3_u32 v3, v3, v8, s21
	v_perm_b32 v2, v3, v2, s22
	v_bfe_u32 v3, v5, 16, 1
	v_bfe_u32 v8, v4, 16, 1
	v_add3_u32 v4, v4, v8, s21
	v_add3_u32 v3, v5, v3, s21
	v_perm_b32 v3, v3, v4, s22
	ds_write2st64_b64 v52, v[10:11], v[2:3] offset0:2 offset1:3
	s_and_saveexec_b64 s[6:7], vcc
	s_cbranch_execz .LBB898_211
; %bb.210:
	v_add_co_u32_e32 v4, vcc, s27, v41
	v_addc_co_u32_e64 v5, s[10:11], 0, 0, vcc
	v_mov_b32_e32 v2, s20
	v_mov_b32_e32 v3, 0
	v_mad_u64_u32 v[4:5], s[10:11], s8, v2, v[4:5]
	v_mov_b32_e32 v2, s26
	s_mul_i32 s9, s9, s20
	v_mad_u64_u32 v[2:3], s[10:11], v4, s48, v[2:3]
	v_add_u32_e32 v5, s9, v5
	v_mov_b32_e32 v4, v3
	v_mad_u64_u32 v[4:5], s[10:11], v5, s48, v[4:5]
	v_mov_b32_e32 v3, v4
	v_lshlrev_b64 v[2:3], 2, v[2:3]
	v_mov_b32_e32 v5, s47
	v_add_co_u32_e32 v4, vcc, s46, v2
	v_addc_co_u32_e32 v5, vcc, v5, v3, vcc
	global_store_dword v[4:5], v20, off
	v_mov_b32_e32 v4, s45
	v_add_co_u32_e32 v2, vcc, s44, v2
	v_addc_co_u32_e32 v3, vcc, v4, v3, vcc
	global_store_dword v[2:3], v6, off
.LBB898_211:
	s_or_b64 exec, exec, s[6:7]
	v_lshl_or_b32 v30, v1, 9, v7
	s_waitcnt lgkmcnt(0)
	s_barrier
	s_load_dword s6, s[42:43], 0x0
	ds_read_b128 v[2:5], v30
	ds_read_b128 v[6:9], v30 offset:16
	ds_read_b128 v[10:13], v30 offset:2048
	;; [unrolled: 1-line block ×7, first 2 shown]
	v_mov_b32_e32 v35, 0x80
	v_mov_b32_e32 v53, 0x140
	s_mov_b64 s[12:13], -1
	s_waitcnt lgkmcnt(0)
	s_mov_b32 s7, s6
	s_mov_b32 s10, s6
	;; [unrolled: 1-line block ×3, first 2 shown]
	s_movk_i32 s9, 0x80
	s_movk_i32 s23, 0x7f
	s_mov_b32 s24, 0xffffff
	s_mov_b32 s25, 0x5040100
	v_mov_b32_e32 v54, 0
	v_bfrev_b32_e32 v55, 60
	s_branch .LBB898_215
.LBB898_212:                            ;   in Loop: Header=BB898_215 Depth=1
	s_or_b64 exec, exec, s[18:19]
.LBB898_213:                            ;   in Loop: Header=BB898_215 Depth=1
	s_or_b64 exec, exec, s[16:17]
.LBB898_214:                            ;   in Loop: Header=BB898_215 Depth=1
	s_or_b64 exec, exec, s[14:15]
	v_perm_b32 v61, v56, v50, s25
	v_perm_b32 v60, v44, v46, s25
	s_xor_b64 s[14:15], s[12:13], -1
	s_mov_b64 s[12:13], 0
	v_mov_b32_e32 v46, v47
	v_mfma_f32_16x16x16bf16_1k v[60:63], v[60:61], v[30:31], v[34:37]
	s_and_b64 vcc, exec, s[14:15]
	s_nop 5
	v_perm_b32 v37, v58, v57, s25
	v_perm_b32 v36, v42, v51, s25
	v_mov_b32_e32 v35, v45
	s_nop 0
	v_mfma_f32_16x16x16bf16_1k v[56:59], v[36:37], v[32:33], v[60:63]
	s_nop 7
	s_nop 2
	v_pk_mul_f32 v[50:51], v[56:57], s[6:7]
	v_pk_mul_f32 v[36:37], v[58:59], s[10:11]
	v_bfe_u32 v34, v51, 16, 1
	v_bfe_u32 v38, v50, 16, 1
	;; [unrolled: 1-line block ×4, first 2 shown]
	v_add3_u32 v38, v50, v38, s21
	v_add3_u32 v34, v51, v34, s21
	;; [unrolled: 1-line block ×4, first 2 shown]
	v_perm_b32 v34, v34, v38, s22
	v_perm_b32 v36, v37, v36, s22
	buffer_store_dword v34, v53, s[0:3], 0 offen
	buffer_store_dword v36, v53, s[0:3], 0 offen offset:4
	v_mov_b32_e32 v53, 0x148
	v_mov_b32_e32 v51, v48
	;; [unrolled: 1-line block ×3, first 2 shown]
	s_cbranch_vccnz .LBB898_597
.LBB898_215:                            ; =>This Inner Loop Header: Depth=1
	buffer_load_dword v36, v35, s[0:3], 0 offen
	buffer_load_dword v34, v35, s[0:3], 0 offen offset:4
	buffer_load_dword v40, v35, s[0:3], 0 offen offset:8
	;; [unrolled: 1-line block ×3, first 2 shown]
	v_mov_b32_e32 v35, 0
	s_waitcnt vmcnt(3)
	v_cmp_ne_u16_sdwa s[16:17], v36, v54 src0_sel:BYTE_0 src1_sel:DWORD
	s_and_saveexec_b64 s[14:15], s[16:17]
	s_cbranch_execz .LBB898_221
; %bb.216:                              ;   in Loop: Header=BB898_215 Depth=1
	v_cmp_ne_u16_sdwa s[18:19], v36, s9 src0_sel:BYTE_0 src1_sel:DWORD
	v_mov_b32_e32 v35, 0xffff8000
	s_and_saveexec_b64 s[16:17], s[18:19]
	s_cbranch_execz .LBB898_220
; %bb.217:                              ;   in Loop: Header=BB898_215 Depth=1
	v_and_b32_e32 v37, 0x7f, v36
	v_cmp_ne_u32_e32 vcc, s23, v37
	v_mov_b32_e32 v35, 0x7f80
	s_and_saveexec_b64 s[18:19], vcc
	s_cbranch_execz .LBB898_219
; %bb.218:                              ;   in Loop: Header=BB898_215 Depth=1
	v_and_b32_e32 v35, 7, v36
	v_ffbh_u32_e32 v44, v35
	v_min_u32_e32 v44, 32, v44
	v_subrev_u32_e32 v56, 28, v44
	v_lshlrev_b64 v[56:57], v56, v[36:37]
	v_lshrrev_b32_e32 v42, 3, v37
	v_sub_u32_e32 v44, 29, v44
	v_and_b32_e32 v56, 7, v56
	v_cmp_gt_u32_e32 vcc, 8, v37
	v_cndmask_b32_e32 v37, v42, v44, vcc
	v_cndmask_b32_e32 v35, v35, v56, vcc
	v_lshlrev_b32_e32 v42, 24, v36
	v_lshlrev_b32_e32 v35, 20, v35
	v_and_b32_e32 v42, 0x80000000, v42
	v_lshl_add_u32 v37, v37, 23, v55
	v_or3_b32 v35, v42, v37, v35
	v_lshrrev_b32_e32 v35, 16, v35
.LBB898_219:                            ;   in Loop: Header=BB898_215 Depth=1
	s_or_b64 exec, exec, s[18:19]
.LBB898_220:                            ;   in Loop: Header=BB898_215 Depth=1
	s_or_b64 exec, exec, s[16:17]
.LBB898_221:                            ;   in Loop: Header=BB898_215 Depth=1
	s_or_b64 exec, exec, s[14:15]
	v_lshrrev_b16_e32 v42, 8, v36
	v_cmp_ne_u16_e32 vcc, 0, v42
	v_mov_b32_e32 v56, 0
	v_mov_b32_e32 v37, 0
	s_and_saveexec_b64 s[14:15], vcc
	s_cbranch_execz .LBB898_227
; %bb.222:                              ;   in Loop: Header=BB898_215 Depth=1
	v_cmp_ne_u16_e32 vcc, s9, v42
	v_mov_b32_e32 v37, 0xffff8000
	s_and_saveexec_b64 s[16:17], vcc
	s_cbranch_execz .LBB898_226
; %bb.223:                              ;   in Loop: Header=BB898_215 Depth=1
	v_and_b32_e32 v44, 0x7f, v42
	v_cmp_ne_u32_e32 vcc, s23, v44
	v_mov_b32_e32 v37, 0x7f80
	s_and_saveexec_b64 s[18:19], vcc
	s_cbranch_execz .LBB898_225
; %bb.224:                              ;   in Loop: Header=BB898_215 Depth=1
	v_and_b32_e32 v37, 7, v42
	v_ffbh_u32_e32 v58, v37
	v_min_u32_e32 v60, 32, v58
	v_subrev_u32_e32 v58, 28, v60
	v_lshlrev_b64 v[58:59], v58, v[42:43]
	v_lshrrev_b32_e32 v57, 3, v44
	v_sub_u32_e32 v42, 29, v60
	v_and_b32_e32 v58, 7, v58
	v_cmp_gt_u32_e32 vcc, 8, v44
	v_cndmask_b32_e32 v42, v57, v42, vcc
	v_cndmask_b32_e32 v37, v37, v58, vcc
	v_lshlrev_b32_e32 v44, 16, v36
	v_lshlrev_b32_e32 v37, 20, v37
	v_and_b32_e32 v44, 0x80000000, v44
	v_lshl_add_u32 v42, v42, 23, v55
	v_or3_b32 v37, v44, v42, v37
	v_lshrrev_b32_e32 v37, 16, v37
.LBB898_225:                            ;   in Loop: Header=BB898_215 Depth=1
	s_or_b64 exec, exec, s[18:19]
.LBB898_226:                            ;   in Loop: Header=BB898_215 Depth=1
	s_or_b64 exec, exec, s[16:17]
.LBB898_227:                            ;   in Loop: Header=BB898_215 Depth=1
	s_or_b64 exec, exec, s[14:15]
	v_lshrrev_b32_e32 v42, 16, v36
	v_cmp_ne_u16_sdwa s[16:17], v42, v54 src0_sel:BYTE_0 src1_sel:DWORD
	s_and_saveexec_b64 s[14:15], s[16:17]
	s_cbranch_execz .LBB898_233
; %bb.228:                              ;   in Loop: Header=BB898_215 Depth=1
	v_cmp_ne_u16_sdwa s[18:19], v42, s9 src0_sel:BYTE_0 src1_sel:DWORD
	v_mov_b32_e32 v56, 0xffff8000
	s_and_saveexec_b64 s[16:17], s[18:19]
	s_cbranch_execz .LBB898_232
; %bb.229:                              ;   in Loop: Header=BB898_215 Depth=1
	v_bfe_u32 v44, v36, 16, 7
	v_cmp_ne_u32_e32 vcc, s23, v44
	v_mov_b32_e32 v56, 0x7f80
	s_and_saveexec_b64 s[18:19], vcc
	s_cbranch_execz .LBB898_231
; %bb.230:                              ;   in Loop: Header=BB898_215 Depth=1
	v_and_b32_e32 v58, 7, v42
	v_ffbh_u32_e32 v56, v58
	v_min_u32_e32 v60, 32, v56
	v_subrev_u32_e32 v56, 28, v60
	v_lshlrev_b64 v[56:57], v56, v[42:43]
	v_lshrrev_b32_e32 v59, 3, v44
	v_sub_u32_e32 v57, 29, v60
	v_and_b32_e32 v56, 7, v56
	v_cmp_gt_u32_e32 vcc, 8, v44
	v_cndmask_b32_e32 v44, v59, v57, vcc
	v_cndmask_b32_e32 v56, v58, v56, vcc
	v_lshlrev_b32_e32 v42, 24, v42
	v_lshlrev_b32_e32 v56, 20, v56
	v_and_b32_e32 v42, 0x80000000, v42
	v_lshl_add_u32 v44, v44, 23, v55
	v_or3_b32 v42, v42, v44, v56
	v_lshrrev_b32_e32 v56, 16, v42
.LBB898_231:                            ;   in Loop: Header=BB898_215 Depth=1
	s_or_b64 exec, exec, s[18:19]
.LBB898_232:                            ;   in Loop: Header=BB898_215 Depth=1
	s_or_b64 exec, exec, s[16:17]
.LBB898_233:                            ;   in Loop: Header=BB898_215 Depth=1
	s_or_b64 exec, exec, s[14:15]
	v_cmp_lt_u32_e32 vcc, s24, v36
	v_mov_b32_e32 v57, 0
	v_mov_b32_e32 v58, 0
	s_and_saveexec_b64 s[14:15], vcc
	s_cbranch_execz .LBB898_239
; %bb.234:                              ;   in Loop: Header=BB898_215 Depth=1
	v_lshrrev_b32_e32 v42, 24, v36
	v_cmp_ne_u32_e32 vcc, s9, v42
	v_mov_b32_e32 v58, 0xffff8000
	s_and_saveexec_b64 s[16:17], vcc
	s_cbranch_execz .LBB898_238
; %bb.235:                              ;   in Loop: Header=BB898_215 Depth=1
	v_bfe_u32 v36, v36, 24, 7
	v_cmp_ne_u32_e32 vcc, s23, v36
	v_mov_b32_e32 v58, 0x7f80
	s_and_saveexec_b64 s[18:19], vcc
	s_cbranch_execz .LBB898_237
; %bb.236:                              ;   in Loop: Header=BB898_215 Depth=1
	v_and_b32_e32 v44, 7, v42
	v_ffbh_u32_e32 v58, v44
	v_min_u32_e32 v61, 32, v58
	v_subrev_u32_e32 v58, 28, v61
	v_lshlrev_b64 v[58:59], v58, v[42:43]
	v_lshrrev_b32_e32 v60, 3, v36
	v_sub_u32_e32 v59, 29, v61
	v_and_b32_e32 v58, 7, v58
	v_cmp_gt_u32_e32 vcc, 8, v36
	v_cndmask_b32_e32 v36, v60, v59, vcc
	v_cndmask_b32_e32 v44, v44, v58, vcc
	v_lshlrev_b32_e32 v42, 24, v42
	v_lshlrev_b32_e32 v44, 20, v44
	v_and_b32_e32 v42, 0x80000000, v42
	v_lshl_add_u32 v36, v36, 23, v55
	v_or3_b32 v36, v42, v36, v44
	v_lshrrev_b32_e32 v58, 16, v36
.LBB898_237:                            ;   in Loop: Header=BB898_215 Depth=1
	s_or_b64 exec, exec, s[18:19]
.LBB898_238:                            ;   in Loop: Header=BB898_215 Depth=1
	s_or_b64 exec, exec, s[16:17]
.LBB898_239:                            ;   in Loop: Header=BB898_215 Depth=1
	s_or_b64 exec, exec, s[14:15]
	s_waitcnt vmcnt(2)
	v_cmp_ne_u16_sdwa s[16:17], v34, v54 src0_sel:BYTE_0 src1_sel:DWORD
	s_and_saveexec_b64 s[14:15], s[16:17]
	s_cbranch_execz .LBB898_245
; %bb.240:                              ;   in Loop: Header=BB898_215 Depth=1
	v_cmp_ne_u16_sdwa s[18:19], v34, s9 src0_sel:BYTE_0 src1_sel:DWORD
	v_mov_b32_e32 v57, 0xffff8000
	s_and_saveexec_b64 s[16:17], s[18:19]
	s_cbranch_execz .LBB898_244
; %bb.241:                              ;   in Loop: Header=BB898_215 Depth=1
	v_and_b32_e32 v36, 0x7f, v34
	v_cmp_ne_u32_e32 vcc, s23, v36
	v_mov_b32_e32 v57, 0x7f80
	s_and_saveexec_b64 s[18:19], vcc
	s_cbranch_execz .LBB898_243
; %bb.242:                              ;   in Loop: Header=BB898_215 Depth=1
	v_and_b32_e32 v42, 7, v34
	v_ffbh_u32_e32 v57, v42
	v_min_u32_e32 v57, 32, v57
	v_subrev_u32_e32 v59, 28, v57
	v_lshlrev_b64 v[60:61], v59, v[34:35]
	v_lshrrev_b32_e32 v44, 3, v36
	v_sub_u32_e32 v57, 29, v57
	v_and_b32_e32 v59, 7, v60
	v_cmp_gt_u32_e32 vcc, 8, v36
	v_cndmask_b32_e32 v36, v44, v57, vcc
	v_cndmask_b32_e32 v42, v42, v59, vcc
	v_lshlrev_b32_e32 v44, 24, v34
	v_lshlrev_b32_e32 v42, 20, v42
	v_and_b32_e32 v44, 0x80000000, v44
	v_lshl_add_u32 v36, v36, 23, v55
	v_or3_b32 v36, v44, v36, v42
	v_lshrrev_b32_e32 v57, 16, v36
.LBB898_243:                            ;   in Loop: Header=BB898_215 Depth=1
	s_or_b64 exec, exec, s[18:19]
.LBB898_244:                            ;   in Loop: Header=BB898_215 Depth=1
	s_or_b64 exec, exec, s[16:17]
.LBB898_245:                            ;   in Loop: Header=BB898_215 Depth=1
	s_or_b64 exec, exec, s[14:15]
	v_lshrrev_b16_e32 v36, 8, v34
	v_cmp_ne_u16_e32 vcc, 0, v36
	v_mov_b32_e32 v59, 0
	v_mov_b32_e32 v42, 0
	s_and_saveexec_b64 s[14:15], vcc
	s_cbranch_execz .LBB898_251
; %bb.246:                              ;   in Loop: Header=BB898_215 Depth=1
	v_cmp_ne_u16_e32 vcc, s9, v36
	v_mov_b32_e32 v42, 0xffff8000
	s_and_saveexec_b64 s[16:17], vcc
	s_cbranch_execz .LBB898_250
; %bb.247:                              ;   in Loop: Header=BB898_215 Depth=1
	v_and_b32_e32 v44, 0x7f, v36
	v_cmp_ne_u32_e32 vcc, s23, v44
	v_mov_b32_e32 v42, 0x7f80
	s_and_saveexec_b64 s[18:19], vcc
	s_cbranch_execz .LBB898_249
; %bb.248:                              ;   in Loop: Header=BB898_215 Depth=1
	v_and_b32_e32 v42, 7, v36
	v_ffbh_u32_e32 v60, v42
	v_min_u32_e32 v63, 32, v60
	v_subrev_u32_e32 v60, 28, v63
	v_lshlrev_b64 v[60:61], v60, v[36:37]
	v_lshrrev_b32_e32 v62, 3, v44
	v_sub_u32_e32 v36, 29, v63
	v_and_b32_e32 v60, 7, v60
	v_cmp_gt_u32_e32 vcc, 8, v44
	v_cndmask_b32_e32 v36, v62, v36, vcc
	v_cndmask_b32_e32 v42, v42, v60, vcc
	v_lshlrev_b32_e32 v44, 16, v34
	v_lshlrev_b32_e32 v42, 20, v42
	v_and_b32_e32 v44, 0x80000000, v44
	v_lshl_add_u32 v36, v36, 23, v55
	v_or3_b32 v36, v44, v36, v42
	v_lshrrev_b32_e32 v42, 16, v36
.LBB898_249:                            ;   in Loop: Header=BB898_215 Depth=1
	s_or_b64 exec, exec, s[18:19]
.LBB898_250:                            ;   in Loop: Header=BB898_215 Depth=1
	s_or_b64 exec, exec, s[16:17]
.LBB898_251:                            ;   in Loop: Header=BB898_215 Depth=1
	s_or_b64 exec, exec, s[14:15]
	v_lshrrev_b32_e32 v36, 16, v34
	v_cmp_ne_u16_sdwa s[16:17], v36, v54 src0_sel:BYTE_0 src1_sel:DWORD
	s_and_saveexec_b64 s[14:15], s[16:17]
	s_cbranch_execz .LBB898_257
; %bb.252:                              ;   in Loop: Header=BB898_215 Depth=1
	v_cmp_ne_u16_sdwa s[18:19], v36, s9 src0_sel:BYTE_0 src1_sel:DWORD
	v_mov_b32_e32 v59, 0xffff8000
	s_and_saveexec_b64 s[16:17], s[18:19]
	s_cbranch_execz .LBB898_256
; %bb.253:                              ;   in Loop: Header=BB898_215 Depth=1
	v_bfe_u32 v44, v34, 16, 7
	v_cmp_ne_u32_e32 vcc, s23, v44
	v_mov_b32_e32 v59, 0x7f80
	s_and_saveexec_b64 s[18:19], vcc
	s_cbranch_execz .LBB898_255
; %bb.254:                              ;   in Loop: Header=BB898_215 Depth=1
	v_and_b32_e32 v59, 7, v36
	v_ffbh_u32_e32 v60, v59
	v_min_u32_e32 v63, 32, v60
	v_subrev_u32_e32 v60, 28, v63
	v_lshlrev_b64 v[60:61], v60, v[36:37]
	v_lshrrev_b32_e32 v62, 3, v44
	v_sub_u32_e32 v61, 29, v63
	v_and_b32_e32 v60, 7, v60
	v_cmp_gt_u32_e32 vcc, 8, v44
	v_cndmask_b32_e32 v44, v62, v61, vcc
	v_cndmask_b32_e32 v59, v59, v60, vcc
	v_lshlrev_b32_e32 v36, 24, v36
	v_lshlrev_b32_e32 v59, 20, v59
	v_and_b32_e32 v36, 0x80000000, v36
	v_lshl_add_u32 v44, v44, 23, v55
	v_or3_b32 v36, v36, v44, v59
	v_lshrrev_b32_e32 v59, 16, v36
.LBB898_255:                            ;   in Loop: Header=BB898_215 Depth=1
	s_or_b64 exec, exec, s[18:19]
.LBB898_256:                            ;   in Loop: Header=BB898_215 Depth=1
	s_or_b64 exec, exec, s[16:17]
.LBB898_257:                            ;   in Loop: Header=BB898_215 Depth=1
	s_or_b64 exec, exec, s[14:15]
	v_cmp_lt_u32_e32 vcc, s24, v34
	v_mov_b32_e32 v44, 0
	v_mov_b32_e32 v60, 0
	s_and_saveexec_b64 s[14:15], vcc
	s_cbranch_execz .LBB898_263
; %bb.258:                              ;   in Loop: Header=BB898_215 Depth=1
	v_lshrrev_b32_e32 v36, 24, v34
	v_cmp_ne_u32_e32 vcc, s9, v36
	v_mov_b32_e32 v60, 0xffff8000
	s_and_saveexec_b64 s[16:17], vcc
	s_cbranch_execz .LBB898_262
; %bb.259:                              ;   in Loop: Header=BB898_215 Depth=1
	v_bfe_u32 v34, v34, 24, 7
	v_cmp_ne_u32_e32 vcc, s23, v34
	v_mov_b32_e32 v60, 0x7f80
	s_and_saveexec_b64 s[18:19], vcc
	s_cbranch_execz .LBB898_261
; %bb.260:                              ;   in Loop: Header=BB898_215 Depth=1
	v_and_b32_e32 v62, 7, v36
	v_ffbh_u32_e32 v60, v62
	v_min_u32_e32 v64, 32, v60
	v_subrev_u32_e32 v60, 28, v64
	v_lshlrev_b64 v[60:61], v60, v[36:37]
	v_lshrrev_b32_e32 v63, 3, v34
	v_sub_u32_e32 v61, 29, v64
	v_and_b32_e32 v60, 7, v60
	v_cmp_gt_u32_e32 vcc, 8, v34
	v_cndmask_b32_e32 v34, v63, v61, vcc
	v_cndmask_b32_e32 v60, v62, v60, vcc
	v_lshlrev_b32_e32 v36, 24, v36
	v_lshlrev_b32_e32 v60, 20, v60
	v_and_b32_e32 v36, 0x80000000, v36
	v_lshl_add_u32 v34, v34, 23, v55
	v_or3_b32 v34, v36, v34, v60
	v_lshrrev_b32_e32 v60, 16, v34
.LBB898_261:                            ;   in Loop: Header=BB898_215 Depth=1
	s_or_b64 exec, exec, s[18:19]
.LBB898_262:                            ;   in Loop: Header=BB898_215 Depth=1
	s_or_b64 exec, exec, s[16:17]
.LBB898_263:                            ;   in Loop: Header=BB898_215 Depth=1
	s_or_b64 exec, exec, s[14:15]
	v_perm_b32 v63, v58, v56, s25
	v_perm_b32 v62, v37, v35, s25
	;; [unrolled: 1-line block ×4, first 2 shown]
	s_waitcnt vmcnt(1)
	v_cmp_ne_u16_sdwa s[16:17], v40, v54 src0_sel:BYTE_0 src1_sel:DWORD
	v_mfma_f32_16x16x16bf16_1k v[34:37], v[62:63], v[2:3], 0
	v_mfma_f32_16x16x16bf16_1k v[34:37], v[58:59], v[4:5], v[34:37]
	s_and_saveexec_b64 s[14:15], s[16:17]
	s_cbranch_execz .LBB898_269
; %bb.264:                              ;   in Loop: Header=BB898_215 Depth=1
	v_cmp_ne_u16_sdwa s[18:19], v40, s9 src0_sel:BYTE_0 src1_sel:DWORD
	v_mov_b32_e32 v44, 0xffff8000
	s_and_saveexec_b64 s[16:17], s[18:19]
	s_cbranch_execz .LBB898_268
; %bb.265:                              ;   in Loop: Header=BB898_215 Depth=1
	v_and_b32_e32 v42, 0x7f, v40
	v_cmp_ne_u32_e32 vcc, s23, v42
	v_mov_b32_e32 v44, 0x7f80
	s_and_saveexec_b64 s[18:19], vcc
	s_cbranch_execz .LBB898_267
; %bb.266:                              ;   in Loop: Header=BB898_215 Depth=1
	v_and_b32_e32 v44, 7, v40
	v_ffbh_u32_e32 v56, v44
	v_min_u32_e32 v59, 32, v56
	v_subrev_u32_e32 v56, 28, v59
	v_lshlrev_b64 v[56:57], v56, v[40:41]
	v_lshrrev_b32_e32 v58, 3, v42
	v_sub_u32_e32 v57, 29, v59
	v_and_b32_e32 v56, 7, v56
	v_cmp_gt_u32_e32 vcc, 8, v42
	v_cndmask_b32_e32 v42, v58, v57, vcc
	v_cndmask_b32_e32 v44, v44, v56, vcc
	v_lshlrev_b32_e32 v56, 24, v40
	v_lshlrev_b32_e32 v44, 20, v44
	v_and_b32_e32 v56, 0x80000000, v56
	v_lshl_add_u32 v42, v42, 23, v55
	v_or3_b32 v42, v56, v42, v44
	v_lshrrev_b32_e32 v44, 16, v42
.LBB898_267:                            ;   in Loop: Header=BB898_215 Depth=1
	s_or_b64 exec, exec, s[18:19]
.LBB898_268:                            ;   in Loop: Header=BB898_215 Depth=1
	s_or_b64 exec, exec, s[16:17]
.LBB898_269:                            ;   in Loop: Header=BB898_215 Depth=1
	s_or_b64 exec, exec, s[14:15]
	v_lshrrev_b16_e32 v42, 8, v40
	v_cmp_ne_u16_e32 vcc, 0, v42
	v_mov_b32_e32 v58, 0
	v_mov_b32_e32 v57, 0
	s_and_saveexec_b64 s[14:15], vcc
	s_cbranch_execz .LBB898_275
; %bb.270:                              ;   in Loop: Header=BB898_215 Depth=1
	v_cmp_ne_u16_e32 vcc, s9, v42
	v_mov_b32_e32 v57, 0xffff8000
	s_and_saveexec_b64 s[16:17], vcc
	s_cbranch_execz .LBB898_274
; %bb.271:                              ;   in Loop: Header=BB898_215 Depth=1
	v_and_b32_e32 v56, 0x7f, v42
	v_cmp_ne_u32_e32 vcc, s23, v56
	v_mov_b32_e32 v57, 0x7f80
	s_and_saveexec_b64 s[18:19], vcc
	s_cbranch_execz .LBB898_273
; %bb.272:                              ;   in Loop: Header=BB898_215 Depth=1
	v_and_b32_e32 v57, 7, v42
	v_ffbh_u32_e32 v60, v57
	v_min_u32_e32 v62, 32, v60
	v_subrev_u32_e32 v60, 28, v62
	v_lshlrev_b64 v[60:61], v60, v[42:43]
	v_lshrrev_b32_e32 v59, 3, v56
	v_sub_u32_e32 v42, 29, v62
	v_and_b32_e32 v60, 7, v60
	v_cmp_gt_u32_e32 vcc, 8, v56
	v_cndmask_b32_e32 v42, v59, v42, vcc
	v_cndmask_b32_e32 v56, v57, v60, vcc
	v_lshlrev_b32_e32 v57, 16, v40
	v_lshlrev_b32_e32 v56, 20, v56
	v_and_b32_e32 v57, 0x80000000, v57
	v_lshl_add_u32 v42, v42, 23, v55
	v_or3_b32 v42, v57, v42, v56
	v_lshrrev_b32_e32 v57, 16, v42
.LBB898_273:                            ;   in Loop: Header=BB898_215 Depth=1
	s_or_b64 exec, exec, s[18:19]
.LBB898_274:                            ;   in Loop: Header=BB898_215 Depth=1
	s_or_b64 exec, exec, s[16:17]
.LBB898_275:                            ;   in Loop: Header=BB898_215 Depth=1
	s_or_b64 exec, exec, s[14:15]
	v_lshrrev_b32_e32 v42, 16, v40
	v_cmp_ne_u16_sdwa s[16:17], v42, v54 src0_sel:BYTE_0 src1_sel:DWORD
	s_and_saveexec_b64 s[14:15], s[16:17]
	s_cbranch_execz .LBB898_281
; %bb.276:                              ;   in Loop: Header=BB898_215 Depth=1
	v_cmp_ne_u16_sdwa s[18:19], v42, s9 src0_sel:BYTE_0 src1_sel:DWORD
	v_mov_b32_e32 v58, 0xffff8000
	s_and_saveexec_b64 s[16:17], s[18:19]
	s_cbranch_execz .LBB898_280
; %bb.277:                              ;   in Loop: Header=BB898_215 Depth=1
	v_bfe_u32 v56, v40, 16, 7
	v_cmp_ne_u32_e32 vcc, s23, v56
	v_mov_b32_e32 v58, 0x7f80
	s_and_saveexec_b64 s[18:19], vcc
	s_cbranch_execz .LBB898_279
; %bb.278:                              ;   in Loop: Header=BB898_215 Depth=1
	v_and_b32_e32 v60, 7, v42
	v_ffbh_u32_e32 v58, v60
	v_min_u32_e32 v62, 32, v58
	v_subrev_u32_e32 v58, 28, v62
	v_lshlrev_b64 v[58:59], v58, v[42:43]
	v_lshrrev_b32_e32 v61, 3, v56
	v_sub_u32_e32 v59, 29, v62
	v_and_b32_e32 v58, 7, v58
	v_cmp_gt_u32_e32 vcc, 8, v56
	v_cndmask_b32_e32 v56, v61, v59, vcc
	v_cndmask_b32_e32 v58, v60, v58, vcc
	v_lshlrev_b32_e32 v42, 24, v42
	v_lshlrev_b32_e32 v58, 20, v58
	v_and_b32_e32 v42, 0x80000000, v42
	v_lshl_add_u32 v56, v56, 23, v55
	v_or3_b32 v42, v42, v56, v58
	v_lshrrev_b32_e32 v58, 16, v42
.LBB898_279:                            ;   in Loop: Header=BB898_215 Depth=1
	s_or_b64 exec, exec, s[18:19]
.LBB898_280:                            ;   in Loop: Header=BB898_215 Depth=1
	s_or_b64 exec, exec, s[16:17]
.LBB898_281:                            ;   in Loop: Header=BB898_215 Depth=1
	s_or_b64 exec, exec, s[14:15]
	v_cmp_lt_u32_e32 vcc, s24, v40
	v_mov_b32_e32 v59, 0
	v_mov_b32_e32 v60, 0
	s_and_saveexec_b64 s[14:15], vcc
	s_cbranch_execz .LBB898_287
; %bb.282:                              ;   in Loop: Header=BB898_215 Depth=1
	v_lshrrev_b32_e32 v42, 24, v40
	v_cmp_ne_u32_e32 vcc, s9, v42
	v_mov_b32_e32 v60, 0xffff8000
	s_and_saveexec_b64 s[16:17], vcc
	s_cbranch_execz .LBB898_286
; %bb.283:                              ;   in Loop: Header=BB898_215 Depth=1
	v_bfe_u32 v40, v40, 24, 7
	v_cmp_ne_u32_e32 vcc, s23, v40
	v_mov_b32_e32 v60, 0x7f80
	s_and_saveexec_b64 s[18:19], vcc
	s_cbranch_execz .LBB898_285
; %bb.284:                              ;   in Loop: Header=BB898_215 Depth=1
	v_and_b32_e32 v56, 7, v42
	v_ffbh_u32_e32 v60, v56
	v_min_u32_e32 v63, 32, v60
	v_subrev_u32_e32 v60, 28, v63
	v_lshlrev_b64 v[60:61], v60, v[42:43]
	v_lshrrev_b32_e32 v62, 3, v40
	v_sub_u32_e32 v61, 29, v63
	v_and_b32_e32 v60, 7, v60
	v_cmp_gt_u32_e32 vcc, 8, v40
	v_cndmask_b32_e32 v40, v62, v61, vcc
	v_cndmask_b32_e32 v56, v56, v60, vcc
	v_lshlrev_b32_e32 v42, 24, v42
	v_lshlrev_b32_e32 v56, 20, v56
	v_and_b32_e32 v42, 0x80000000, v42
	v_lshl_add_u32 v40, v40, 23, v55
	v_or3_b32 v40, v42, v40, v56
	v_lshrrev_b32_e32 v60, 16, v40
.LBB898_285:                            ;   in Loop: Header=BB898_215 Depth=1
	s_or_b64 exec, exec, s[18:19]
.LBB898_286:                            ;   in Loop: Header=BB898_215 Depth=1
	s_or_b64 exec, exec, s[16:17]
.LBB898_287:                            ;   in Loop: Header=BB898_215 Depth=1
	s_or_b64 exec, exec, s[14:15]
	s_waitcnt vmcnt(0)
	v_cmp_ne_u16_sdwa s[16:17], v38, v54 src0_sel:BYTE_0 src1_sel:DWORD
	s_and_saveexec_b64 s[14:15], s[16:17]
	s_cbranch_execz .LBB898_293
; %bb.288:                              ;   in Loop: Header=BB898_215 Depth=1
	v_cmp_ne_u16_sdwa s[18:19], v38, s9 src0_sel:BYTE_0 src1_sel:DWORD
	v_mov_b32_e32 v59, 0xffff8000
	s_and_saveexec_b64 s[16:17], s[18:19]
	s_cbranch_execz .LBB898_292
; %bb.289:                              ;   in Loop: Header=BB898_215 Depth=1
	v_and_b32_e32 v40, 0x7f, v38
	v_cmp_ne_u32_e32 vcc, s23, v40
	v_mov_b32_e32 v59, 0x7f80
	s_and_saveexec_b64 s[18:19], vcc
	s_cbranch_execz .LBB898_291
; %bb.290:                              ;   in Loop: Header=BB898_215 Depth=1
	v_and_b32_e32 v42, 7, v38
	v_ffbh_u32_e32 v59, v42
	v_min_u32_e32 v59, 32, v59
	v_subrev_u32_e32 v61, 28, v59
	v_lshlrev_b64 v[62:63], v61, v[38:39]
	v_lshrrev_b32_e32 v56, 3, v40
	v_sub_u32_e32 v59, 29, v59
	v_and_b32_e32 v61, 7, v62
	v_cmp_gt_u32_e32 vcc, 8, v40
	v_cndmask_b32_e32 v40, v56, v59, vcc
	v_cndmask_b32_e32 v42, v42, v61, vcc
	v_lshlrev_b32_e32 v56, 24, v38
	v_lshlrev_b32_e32 v42, 20, v42
	v_and_b32_e32 v56, 0x80000000, v56
	v_lshl_add_u32 v40, v40, 23, v55
	v_or3_b32 v40, v56, v40, v42
	v_lshrrev_b32_e32 v59, 16, v40
.LBB898_291:                            ;   in Loop: Header=BB898_215 Depth=1
	s_or_b64 exec, exec, s[18:19]
.LBB898_292:                            ;   in Loop: Header=BB898_215 Depth=1
	s_or_b64 exec, exec, s[16:17]
.LBB898_293:                            ;   in Loop: Header=BB898_215 Depth=1
	s_or_b64 exec, exec, s[14:15]
	v_lshrrev_b16_e32 v40, 8, v38
	v_cmp_ne_u16_e32 vcc, 0, v40
	v_mov_b32_e32 v62, 0
	v_mov_b32_e32 v61, 0
	s_and_saveexec_b64 s[14:15], vcc
	s_cbranch_execz .LBB898_299
; %bb.294:                              ;   in Loop: Header=BB898_215 Depth=1
	v_cmp_ne_u16_e32 vcc, s9, v40
	v_mov_b32_e32 v61, 0xffff8000
	s_and_saveexec_b64 s[16:17], vcc
	s_cbranch_execz .LBB898_298
; %bb.295:                              ;   in Loop: Header=BB898_215 Depth=1
	v_and_b32_e32 v42, 0x7f, v40
	v_cmp_ne_u32_e32 vcc, s23, v42
	v_mov_b32_e32 v61, 0x7f80
	s_and_saveexec_b64 s[18:19], vcc
	s_cbranch_execz .LBB898_297
; %bb.296:                              ;   in Loop: Header=BB898_215 Depth=1
	v_and_b32_e32 v56, 7, v40
	v_ffbh_u32_e32 v63, v56
	v_min_u32_e32 v63, 32, v63
	v_subrev_u32_e32 v64, 28, v63
	v_lshlrev_b64 v[64:65], v64, v[40:41]
	v_lshrrev_b32_e32 v61, 3, v42
	v_sub_u32_e32 v40, 29, v63
	v_and_b32_e32 v63, 7, v64
	v_cmp_gt_u32_e32 vcc, 8, v42
	v_cndmask_b32_e32 v40, v61, v40, vcc
	v_cndmask_b32_e32 v42, v56, v63, vcc
	v_lshlrev_b32_e32 v56, 16, v38
	v_lshlrev_b32_e32 v42, 20, v42
	v_and_b32_e32 v56, 0x80000000, v56
	v_lshl_add_u32 v40, v40, 23, v55
	v_or3_b32 v40, v56, v40, v42
	v_lshrrev_b32_e32 v61, 16, v40
.LBB898_297:                            ;   in Loop: Header=BB898_215 Depth=1
	s_or_b64 exec, exec, s[18:19]
.LBB898_298:                            ;   in Loop: Header=BB898_215 Depth=1
	s_or_b64 exec, exec, s[16:17]
.LBB898_299:                            ;   in Loop: Header=BB898_215 Depth=1
	s_or_b64 exec, exec, s[14:15]
	v_lshrrev_b32_e32 v40, 16, v38
	v_cmp_ne_u16_sdwa s[16:17], v40, v54 src0_sel:BYTE_0 src1_sel:DWORD
	s_and_saveexec_b64 s[14:15], s[16:17]
	s_cbranch_execz .LBB898_305
; %bb.300:                              ;   in Loop: Header=BB898_215 Depth=1
	v_cmp_ne_u16_sdwa s[18:19], v40, s9 src0_sel:BYTE_0 src1_sel:DWORD
	v_mov_b32_e32 v62, 0xffff8000
	s_and_saveexec_b64 s[16:17], s[18:19]
	s_cbranch_execz .LBB898_304
; %bb.301:                              ;   in Loop: Header=BB898_215 Depth=1
	v_bfe_u32 v42, v38, 16, 7
	v_cmp_ne_u32_e32 vcc, s23, v42
	v_mov_b32_e32 v62, 0x7f80
	s_and_saveexec_b64 s[18:19], vcc
	s_cbranch_execz .LBB898_303
; %bb.302:                              ;   in Loop: Header=BB898_215 Depth=1
	v_and_b32_e32 v56, 7, v40
	v_ffbh_u32_e32 v62, v56
	v_min_u32_e32 v65, 32, v62
	v_subrev_u32_e32 v62, 28, v65
	v_lshlrev_b64 v[62:63], v62, v[40:41]
	v_lshrrev_b32_e32 v64, 3, v42
	v_sub_u32_e32 v63, 29, v65
	v_and_b32_e32 v62, 7, v62
	v_cmp_gt_u32_e32 vcc, 8, v42
	v_cndmask_b32_e32 v42, v64, v63, vcc
	v_cndmask_b32_e32 v56, v56, v62, vcc
	v_lshlrev_b32_e32 v40, 24, v40
	v_lshlrev_b32_e32 v56, 20, v56
	v_and_b32_e32 v40, 0x80000000, v40
	v_lshl_add_u32 v42, v42, 23, v55
	v_or3_b32 v40, v40, v42, v56
	v_lshrrev_b32_e32 v62, 16, v40
.LBB898_303:                            ;   in Loop: Header=BB898_215 Depth=1
	s_or_b64 exec, exec, s[18:19]
.LBB898_304:                            ;   in Loop: Header=BB898_215 Depth=1
	s_or_b64 exec, exec, s[16:17]
.LBB898_305:                            ;   in Loop: Header=BB898_215 Depth=1
	s_or_b64 exec, exec, s[14:15]
	v_cmp_lt_u32_e32 vcc, s24, v38
	v_mov_b32_e32 v56, 0
	v_mov_b32_e32 v63, 0
	s_and_saveexec_b64 s[14:15], vcc
	s_cbranch_execz .LBB898_311
; %bb.306:                              ;   in Loop: Header=BB898_215 Depth=1
	v_lshrrev_b32_e32 v40, 24, v38
	v_cmp_ne_u32_e32 vcc, s9, v40
	v_mov_b32_e32 v63, 0xffff8000
	s_and_saveexec_b64 s[16:17], vcc
	s_cbranch_execz .LBB898_310
; %bb.307:                              ;   in Loop: Header=BB898_215 Depth=1
	v_bfe_u32 v38, v38, 24, 7
	v_cmp_ne_u32_e32 vcc, s23, v38
	v_mov_b32_e32 v63, 0x7f80
	s_and_saveexec_b64 s[18:19], vcc
	s_cbranch_execz .LBB898_309
; %bb.308:                              ;   in Loop: Header=BB898_215 Depth=1
	v_and_b32_e32 v42, 7, v40
	v_ffbh_u32_e32 v64, v42
	v_min_u32_e32 v66, 32, v64
	v_subrev_u32_e32 v64, 28, v66
	v_lshlrev_b64 v[64:65], v64, v[40:41]
	v_lshrrev_b32_e32 v63, 3, v38
	v_sub_u32_e32 v65, 29, v66
	v_and_b32_e32 v64, 7, v64
	v_cmp_gt_u32_e32 vcc, 8, v38
	v_cndmask_b32_e32 v38, v63, v65, vcc
	v_cndmask_b32_e32 v42, v42, v64, vcc
	v_lshlrev_b32_e32 v40, 24, v40
	v_lshlrev_b32_e32 v42, 20, v42
	v_and_b32_e32 v40, 0x80000000, v40
	v_lshl_add_u32 v38, v38, 23, v55
	v_or3_b32 v38, v40, v38, v42
	v_lshrrev_b32_e32 v63, 16, v38
.LBB898_309:                            ;   in Loop: Header=BB898_215 Depth=1
	s_or_b64 exec, exec, s[18:19]
.LBB898_310:                            ;   in Loop: Header=BB898_215 Depth=1
	s_or_b64 exec, exec, s[16:17]
.LBB898_311:                            ;   in Loop: Header=BB898_215 Depth=1
	s_or_b64 exec, exec, s[14:15]
	v_perm_b32 v64, v57, v44, s25
	buffer_load_dword v44, v46, s[0:3], 0 offen
	buffer_load_dword v42, v46, s[0:3], 0 offen offset:4
	buffer_load_dword v40, v46, s[0:3], 0 offen offset:8
	;; [unrolled: 1-line block ×3, first 2 shown]
	v_perm_b32 v65, v60, v58, s25
	v_perm_b32 v63, v63, v62, s25
	;; [unrolled: 1-line block ×3, first 2 shown]
	v_mfma_f32_16x16x16bf16_1k v[34:37], v[64:65], v[6:7], v[34:37]
	s_waitcnt vmcnt(3)
	v_cmp_ne_u16_sdwa s[16:17], v44, v54 src0_sel:BYTE_0 src1_sel:DWORD
	v_mfma_f32_16x16x16bf16_1k v[34:37], v[62:63], v[8:9], v[34:37]
	s_and_saveexec_b64 s[14:15], s[16:17]
	s_cbranch_execz .LBB898_317
; %bb.312:                              ;   in Loop: Header=BB898_215 Depth=1
	v_cmp_ne_u16_sdwa s[18:19], v44, s9 src0_sel:BYTE_0 src1_sel:DWORD
	v_mov_b32_e32 v56, 0xffff8000
	s_and_saveexec_b64 s[16:17], s[18:19]
	s_cbranch_execz .LBB898_316
; %bb.313:                              ;   in Loop: Header=BB898_215 Depth=1
	v_and_b32_e32 v46, 0x7f, v44
	v_cmp_ne_u32_e32 vcc, s23, v46
	v_mov_b32_e32 v56, 0x7f80
	s_and_saveexec_b64 s[18:19], vcc
	s_cbranch_execz .LBB898_315
; %bb.314:                              ;   in Loop: Header=BB898_215 Depth=1
	v_and_b32_e32 v58, 7, v44
	v_ffbh_u32_e32 v56, v58
	v_min_u32_e32 v60, 32, v56
	v_subrev_u32_e32 v56, 28, v60
	v_lshlrev_b64 v[56:57], v56, v[44:45]
	v_lshrrev_b32_e32 v59, 3, v46
	v_sub_u32_e32 v57, 29, v60
	v_and_b32_e32 v56, 7, v56
	v_cmp_gt_u32_e32 vcc, 8, v46
	v_cndmask_b32_e32 v46, v59, v57, vcc
	v_cndmask_b32_e32 v56, v58, v56, vcc
	v_lshlrev_b32_e32 v57, 24, v44
	v_lshlrev_b32_e32 v56, 20, v56
	v_and_b32_e32 v57, 0x80000000, v57
	v_lshl_add_u32 v46, v46, 23, v55
	v_or3_b32 v46, v57, v46, v56
	v_lshrrev_b32_e32 v56, 16, v46
.LBB898_315:                            ;   in Loop: Header=BB898_215 Depth=1
	s_or_b64 exec, exec, s[18:19]
.LBB898_316:                            ;   in Loop: Header=BB898_215 Depth=1
	s_or_b64 exec, exec, s[16:17]
.LBB898_317:                            ;   in Loop: Header=BB898_215 Depth=1
	s_or_b64 exec, exec, s[14:15]
	v_lshrrev_b16_e32 v46, 8, v44
	v_cmp_ne_u16_e32 vcc, 0, v46
	v_mov_b32_e32 v58, 0
	v_mov_b32_e32 v57, 0
	s_and_saveexec_b64 s[14:15], vcc
	s_cbranch_execz .LBB898_323
; %bb.318:                              ;   in Loop: Header=BB898_215 Depth=1
	v_cmp_ne_u16_e32 vcc, s9, v46
	v_mov_b32_e32 v57, 0xffff8000
	s_and_saveexec_b64 s[16:17], vcc
	s_cbranch_execz .LBB898_322
; %bb.319:                              ;   in Loop: Header=BB898_215 Depth=1
	v_and_b32_e32 v59, 0x7f, v46
	v_cmp_ne_u32_e32 vcc, s23, v59
	v_mov_b32_e32 v57, 0x7f80
	s_and_saveexec_b64 s[18:19], vcc
	s_cbranch_execz .LBB898_321
; %bb.320:                              ;   in Loop: Header=BB898_215 Depth=1
	v_and_b32_e32 v57, 7, v46
	v_ffbh_u32_e32 v60, v57
	v_min_u32_e32 v63, 32, v60
	v_subrev_u32_e32 v60, 28, v63
	v_lshlrev_b64 v[60:61], v60, v[46:47]
	v_lshrrev_b32_e32 v62, 3, v59
	v_sub_u32_e32 v46, 29, v63
	v_and_b32_e32 v60, 7, v60
	v_cmp_gt_u32_e32 vcc, 8, v59
	v_cndmask_b32_e32 v46, v62, v46, vcc
	v_cndmask_b32_e32 v57, v57, v60, vcc
	v_lshlrev_b32_e32 v59, 16, v44
	v_lshlrev_b32_e32 v57, 20, v57
	v_and_b32_e32 v59, 0x80000000, v59
	v_lshl_add_u32 v46, v46, 23, v55
	v_or3_b32 v46, v59, v46, v57
	v_lshrrev_b32_e32 v57, 16, v46
.LBB898_321:                            ;   in Loop: Header=BB898_215 Depth=1
	s_or_b64 exec, exec, s[18:19]
.LBB898_322:                            ;   in Loop: Header=BB898_215 Depth=1
	s_or_b64 exec, exec, s[16:17]
.LBB898_323:                            ;   in Loop: Header=BB898_215 Depth=1
	s_or_b64 exec, exec, s[14:15]
	v_lshrrev_b32_e32 v46, 16, v44
	v_cmp_ne_u16_sdwa s[16:17], v46, v54 src0_sel:BYTE_0 src1_sel:DWORD
	s_and_saveexec_b64 s[14:15], s[16:17]
	s_cbranch_execz .LBB898_329
; %bb.324:                              ;   in Loop: Header=BB898_215 Depth=1
	v_cmp_ne_u16_sdwa s[18:19], v46, s9 src0_sel:BYTE_0 src1_sel:DWORD
	v_mov_b32_e32 v58, 0xffff8000
	s_and_saveexec_b64 s[16:17], s[18:19]
	s_cbranch_execz .LBB898_328
; %bb.325:                              ;   in Loop: Header=BB898_215 Depth=1
	v_bfe_u32 v59, v44, 16, 7
	v_cmp_ne_u32_e32 vcc, s23, v59
	v_mov_b32_e32 v58, 0x7f80
	s_and_saveexec_b64 s[18:19], vcc
	s_cbranch_execz .LBB898_327
; %bb.326:                              ;   in Loop: Header=BB898_215 Depth=1
	v_and_b32_e32 v58, 7, v46
	v_ffbh_u32_e32 v60, v58
	v_min_u32_e32 v63, 32, v60
	v_subrev_u32_e32 v60, 28, v63
	v_lshlrev_b64 v[60:61], v60, v[46:47]
	v_lshrrev_b32_e32 v62, 3, v59
	v_sub_u32_e32 v61, 29, v63
	v_and_b32_e32 v60, 7, v60
	v_cmp_gt_u32_e32 vcc, 8, v59
	v_cndmask_b32_e32 v59, v62, v61, vcc
	v_cndmask_b32_e32 v58, v58, v60, vcc
	v_lshlrev_b32_e32 v46, 24, v46
	v_lshlrev_b32_e32 v58, 20, v58
	v_and_b32_e32 v46, 0x80000000, v46
	v_lshl_add_u32 v59, v59, 23, v55
	v_or3_b32 v46, v46, v59, v58
	v_lshrrev_b32_e32 v58, 16, v46
.LBB898_327:                            ;   in Loop: Header=BB898_215 Depth=1
	s_or_b64 exec, exec, s[18:19]
.LBB898_328:                            ;   in Loop: Header=BB898_215 Depth=1
	s_or_b64 exec, exec, s[16:17]
.LBB898_329:                            ;   in Loop: Header=BB898_215 Depth=1
	s_or_b64 exec, exec, s[14:15]
	v_cmp_lt_u32_e32 vcc, s24, v44
	v_mov_b32_e32 v59, 0
	v_mov_b32_e32 v60, 0
	s_and_saveexec_b64 s[14:15], vcc
	s_cbranch_execz .LBB898_335
; %bb.330:                              ;   in Loop: Header=BB898_215 Depth=1
	v_lshrrev_b32_e32 v46, 24, v44
	v_cmp_ne_u32_e32 vcc, s9, v46
	v_mov_b32_e32 v60, 0xffff8000
	s_and_saveexec_b64 s[16:17], vcc
	s_cbranch_execz .LBB898_334
; %bb.331:                              ;   in Loop: Header=BB898_215 Depth=1
	v_bfe_u32 v44, v44, 24, 7
	v_cmp_ne_u32_e32 vcc, s23, v44
	v_mov_b32_e32 v60, 0x7f80
	s_and_saveexec_b64 s[18:19], vcc
	s_cbranch_execz .LBB898_333
; %bb.332:                              ;   in Loop: Header=BB898_215 Depth=1
	v_and_b32_e32 v62, 7, v46
	v_ffbh_u32_e32 v60, v62
	v_min_u32_e32 v64, 32, v60
	v_subrev_u32_e32 v60, 28, v64
	v_lshlrev_b64 v[60:61], v60, v[46:47]
	v_lshrrev_b32_e32 v63, 3, v44
	v_sub_u32_e32 v61, 29, v64
	v_and_b32_e32 v60, 7, v60
	v_cmp_gt_u32_e32 vcc, 8, v44
	v_cndmask_b32_e32 v44, v63, v61, vcc
	v_cndmask_b32_e32 v60, v62, v60, vcc
	v_lshlrev_b32_e32 v46, 24, v46
	v_lshlrev_b32_e32 v60, 20, v60
	v_and_b32_e32 v46, 0x80000000, v46
	v_lshl_add_u32 v44, v44, 23, v55
	v_or3_b32 v44, v46, v44, v60
	v_lshrrev_b32_e32 v60, 16, v44
.LBB898_333:                            ;   in Loop: Header=BB898_215 Depth=1
	s_or_b64 exec, exec, s[18:19]
.LBB898_334:                            ;   in Loop: Header=BB898_215 Depth=1
	s_or_b64 exec, exec, s[16:17]
.LBB898_335:                            ;   in Loop: Header=BB898_215 Depth=1
	s_or_b64 exec, exec, s[14:15]
	s_waitcnt vmcnt(2)
	v_cmp_ne_u16_sdwa s[16:17], v42, v54 src0_sel:BYTE_0 src1_sel:DWORD
	s_and_saveexec_b64 s[14:15], s[16:17]
	s_cbranch_execz .LBB898_341
; %bb.336:                              ;   in Loop: Header=BB898_215 Depth=1
	v_cmp_ne_u16_sdwa s[18:19], v42, s9 src0_sel:BYTE_0 src1_sel:DWORD
	v_mov_b32_e32 v59, 0xffff8000
	s_and_saveexec_b64 s[16:17], s[18:19]
	s_cbranch_execz .LBB898_340
; %bb.337:                              ;   in Loop: Header=BB898_215 Depth=1
	v_and_b32_e32 v44, 0x7f, v42
	v_cmp_ne_u32_e32 vcc, s23, v44
	v_mov_b32_e32 v59, 0x7f80
	s_and_saveexec_b64 s[18:19], vcc
	s_cbranch_execz .LBB898_339
; %bb.338:                              ;   in Loop: Header=BB898_215 Depth=1
	v_and_b32_e32 v46, 7, v42
	v_ffbh_u32_e32 v61, v46
	v_min_u32_e32 v61, 32, v61
	v_subrev_u32_e32 v62, 28, v61
	v_lshlrev_b64 v[62:63], v62, v[42:43]
	v_lshrrev_b32_e32 v59, 3, v44
	v_sub_u32_e32 v61, 29, v61
	v_and_b32_e32 v62, 7, v62
	v_cmp_gt_u32_e32 vcc, 8, v44
	v_cndmask_b32_e32 v44, v59, v61, vcc
	v_cndmask_b32_e32 v46, v46, v62, vcc
	v_lshlrev_b32_e32 v59, 24, v42
	v_lshlrev_b32_e32 v46, 20, v46
	v_and_b32_e32 v59, 0x80000000, v59
	v_lshl_add_u32 v44, v44, 23, v55
	v_or3_b32 v44, v59, v44, v46
	v_lshrrev_b32_e32 v59, 16, v44
.LBB898_339:                            ;   in Loop: Header=BB898_215 Depth=1
	s_or_b64 exec, exec, s[18:19]
.LBB898_340:                            ;   in Loop: Header=BB898_215 Depth=1
	s_or_b64 exec, exec, s[16:17]
.LBB898_341:                            ;   in Loop: Header=BB898_215 Depth=1
	s_or_b64 exec, exec, s[14:15]
	v_lshrrev_b16_e32 v44, 8, v42
	v_cmp_ne_u16_e32 vcc, 0, v44
	v_mov_b32_e32 v62, 0
	v_mov_b32_e32 v61, 0
	s_and_saveexec_b64 s[14:15], vcc
	s_cbranch_execz .LBB898_347
; %bb.342:                              ;   in Loop: Header=BB898_215 Depth=1
	v_cmp_ne_u16_e32 vcc, s9, v44
	v_mov_b32_e32 v61, 0xffff8000
	s_and_saveexec_b64 s[16:17], vcc
	s_cbranch_execz .LBB898_346
; %bb.343:                              ;   in Loop: Header=BB898_215 Depth=1
	v_and_b32_e32 v46, 0x7f, v44
	v_cmp_ne_u32_e32 vcc, s23, v46
	v_mov_b32_e32 v61, 0x7f80
	s_and_saveexec_b64 s[18:19], vcc
	s_cbranch_execz .LBB898_345
; %bb.344:                              ;   in Loop: Header=BB898_215 Depth=1
	v_and_b32_e32 v61, 7, v44
	v_ffbh_u32_e32 v64, v61
	v_min_u32_e32 v66, 32, v64
	v_subrev_u32_e32 v64, 28, v66
	v_lshlrev_b64 v[64:65], v64, v[44:45]
	v_lshrrev_b32_e32 v63, 3, v46
	v_sub_u32_e32 v44, 29, v66
	v_and_b32_e32 v64, 7, v64
	v_cmp_gt_u32_e32 vcc, 8, v46
	v_cndmask_b32_e32 v44, v63, v44, vcc
	v_cndmask_b32_e32 v46, v61, v64, vcc
	v_lshlrev_b32_e32 v61, 16, v42
	v_lshlrev_b32_e32 v46, 20, v46
	v_and_b32_e32 v61, 0x80000000, v61
	v_lshl_add_u32 v44, v44, 23, v55
	v_or3_b32 v44, v61, v44, v46
	v_lshrrev_b32_e32 v61, 16, v44
.LBB898_345:                            ;   in Loop: Header=BB898_215 Depth=1
	s_or_b64 exec, exec, s[18:19]
.LBB898_346:                            ;   in Loop: Header=BB898_215 Depth=1
	s_or_b64 exec, exec, s[16:17]
.LBB898_347:                            ;   in Loop: Header=BB898_215 Depth=1
	s_or_b64 exec, exec, s[14:15]
	v_lshrrev_b32_e32 v44, 16, v42
	v_cmp_ne_u16_sdwa s[16:17], v44, v54 src0_sel:BYTE_0 src1_sel:DWORD
	s_and_saveexec_b64 s[14:15], s[16:17]
	s_cbranch_execz .LBB898_353
; %bb.348:                              ;   in Loop: Header=BB898_215 Depth=1
	v_cmp_ne_u16_sdwa s[18:19], v44, s9 src0_sel:BYTE_0 src1_sel:DWORD
	v_mov_b32_e32 v62, 0xffff8000
	s_and_saveexec_b64 s[16:17], s[18:19]
	s_cbranch_execz .LBB898_352
; %bb.349:                              ;   in Loop: Header=BB898_215 Depth=1
	v_bfe_u32 v46, v42, 16, 7
	v_cmp_ne_u32_e32 vcc, s23, v46
	v_mov_b32_e32 v62, 0x7f80
	s_and_saveexec_b64 s[18:19], vcc
	s_cbranch_execz .LBB898_351
; %bb.350:                              ;   in Loop: Header=BB898_215 Depth=1
	v_and_b32_e32 v64, 7, v44
	v_ffbh_u32_e32 v62, v64
	v_min_u32_e32 v66, 32, v62
	v_subrev_u32_e32 v62, 28, v66
	v_lshlrev_b64 v[62:63], v62, v[44:45]
	v_lshrrev_b32_e32 v65, 3, v46
	v_sub_u32_e32 v63, 29, v66
	v_and_b32_e32 v62, 7, v62
	v_cmp_gt_u32_e32 vcc, 8, v46
	v_cndmask_b32_e32 v46, v65, v63, vcc
	v_cndmask_b32_e32 v62, v64, v62, vcc
	v_lshlrev_b32_e32 v44, 24, v44
	v_lshlrev_b32_e32 v62, 20, v62
	v_and_b32_e32 v44, 0x80000000, v44
	v_lshl_add_u32 v46, v46, 23, v55
	v_or3_b32 v44, v44, v46, v62
	v_lshrrev_b32_e32 v62, 16, v44
.LBB898_351:                            ;   in Loop: Header=BB898_215 Depth=1
	s_or_b64 exec, exec, s[18:19]
.LBB898_352:                            ;   in Loop: Header=BB898_215 Depth=1
	s_or_b64 exec, exec, s[16:17]
.LBB898_353:                            ;   in Loop: Header=BB898_215 Depth=1
	s_or_b64 exec, exec, s[14:15]
	v_cmp_lt_u32_e32 vcc, s24, v42
	v_mov_b32_e32 v46, 0
	v_mov_b32_e32 v63, 0
	s_and_saveexec_b64 s[14:15], vcc
	s_cbranch_execz .LBB898_359
; %bb.354:                              ;   in Loop: Header=BB898_215 Depth=1
	v_lshrrev_b32_e32 v44, 24, v42
	v_cmp_ne_u32_e32 vcc, s9, v44
	v_mov_b32_e32 v63, 0xffff8000
	s_and_saveexec_b64 s[16:17], vcc
	s_cbranch_execz .LBB898_358
; %bb.355:                              ;   in Loop: Header=BB898_215 Depth=1
	v_bfe_u32 v42, v42, 24, 7
	v_cmp_ne_u32_e32 vcc, s23, v42
	v_mov_b32_e32 v63, 0x7f80
	s_and_saveexec_b64 s[18:19], vcc
	s_cbranch_execz .LBB898_357
; %bb.356:                              ;   in Loop: Header=BB898_215 Depth=1
	v_and_b32_e32 v63, 7, v44
	v_ffbh_u32_e32 v64, v63
	v_min_u32_e32 v67, 32, v64
	v_subrev_u32_e32 v64, 28, v67
	v_lshlrev_b64 v[64:65], v64, v[44:45]
	v_lshrrev_b32_e32 v66, 3, v42
	v_sub_u32_e32 v65, 29, v67
	v_and_b32_e32 v64, 7, v64
	v_cmp_gt_u32_e32 vcc, 8, v42
	v_cndmask_b32_e32 v42, v66, v65, vcc
	v_cndmask_b32_e32 v63, v63, v64, vcc
	v_lshlrev_b32_e32 v44, 24, v44
	v_lshlrev_b32_e32 v63, 20, v63
	v_and_b32_e32 v44, 0x80000000, v44
	v_lshl_add_u32 v42, v42, 23, v55
	v_or3_b32 v42, v44, v42, v63
	v_lshrrev_b32_e32 v63, 16, v42
.LBB898_357:                            ;   in Loop: Header=BB898_215 Depth=1
	s_or_b64 exec, exec, s[18:19]
.LBB898_358:                            ;   in Loop: Header=BB898_215 Depth=1
	s_or_b64 exec, exec, s[16:17]
.LBB898_359:                            ;   in Loop: Header=BB898_215 Depth=1
	s_or_b64 exec, exec, s[14:15]
	v_perm_b32 v65, v60, v58, s25
	v_perm_b32 v64, v57, v56, s25
	;; [unrolled: 1-line block ×4, first 2 shown]
	s_waitcnt vmcnt(1)
	v_cmp_ne_u16_sdwa s[16:17], v40, v54 src0_sel:BYTE_0 src1_sel:DWORD
	v_mfma_f32_16x16x16bf16_1k v[34:37], v[64:65], v[10:11], v[34:37]
	v_mfma_f32_16x16x16bf16_1k v[34:37], v[56:57], v[12:13], v[34:37]
	s_and_saveexec_b64 s[14:15], s[16:17]
	s_cbranch_execz .LBB898_365
; %bb.360:                              ;   in Loop: Header=BB898_215 Depth=1
	v_cmp_ne_u16_sdwa s[18:19], v40, s9 src0_sel:BYTE_0 src1_sel:DWORD
	v_mov_b32_e32 v46, 0xffff8000
	s_and_saveexec_b64 s[16:17], s[18:19]
	s_cbranch_execz .LBB898_364
; %bb.361:                              ;   in Loop: Header=BB898_215 Depth=1
	v_and_b32_e32 v42, 0x7f, v40
	v_cmp_ne_u32_e32 vcc, s23, v42
	v_mov_b32_e32 v46, 0x7f80
	s_and_saveexec_b64 s[18:19], vcc
	s_cbranch_execz .LBB898_363
; %bb.362:                              ;   in Loop: Header=BB898_215 Depth=1
	v_and_b32_e32 v44, 7, v40
	v_ffbh_u32_e32 v56, v44
	v_min_u32_e32 v58, 32, v56
	v_subrev_u32_e32 v56, 28, v58
	v_lshlrev_b64 v[56:57], v56, v[40:41]
	v_lshrrev_b32_e32 v46, 3, v42
	v_sub_u32_e32 v57, 29, v58
	v_and_b32_e32 v56, 7, v56
	v_cmp_gt_u32_e32 vcc, 8, v42
	v_cndmask_b32_e32 v42, v46, v57, vcc
	v_cndmask_b32_e32 v44, v44, v56, vcc
	v_lshlrev_b32_e32 v46, 24, v40
	v_lshlrev_b32_e32 v44, 20, v44
	v_and_b32_e32 v46, 0x80000000, v46
	v_lshl_add_u32 v42, v42, 23, v55
	v_or3_b32 v42, v46, v42, v44
	v_lshrrev_b32_e32 v46, 16, v42
.LBB898_363:                            ;   in Loop: Header=BB898_215 Depth=1
	s_or_b64 exec, exec, s[18:19]
.LBB898_364:                            ;   in Loop: Header=BB898_215 Depth=1
	s_or_b64 exec, exec, s[16:17]
.LBB898_365:                            ;   in Loop: Header=BB898_215 Depth=1
	s_or_b64 exec, exec, s[14:15]
	v_lshrrev_b16_e32 v42, 8, v40
	v_cmp_ne_u16_e32 vcc, 0, v42
	v_mov_b32_e32 v57, 0
	v_mov_b32_e32 v44, 0
	s_and_saveexec_b64 s[14:15], vcc
	s_cbranch_execz .LBB898_371
; %bb.366:                              ;   in Loop: Header=BB898_215 Depth=1
	v_cmp_ne_u16_e32 vcc, s9, v42
	v_mov_b32_e32 v44, 0xffff8000
	s_and_saveexec_b64 s[16:17], vcc
	s_cbranch_execz .LBB898_370
; %bb.367:                              ;   in Loop: Header=BB898_215 Depth=1
	v_and_b32_e32 v56, 0x7f, v42
	v_cmp_ne_u32_e32 vcc, s23, v56
	v_mov_b32_e32 v44, 0x7f80
	s_and_saveexec_b64 s[18:19], vcc
	s_cbranch_execz .LBB898_369
; %bb.368:                              ;   in Loop: Header=BB898_215 Depth=1
	v_and_b32_e32 v44, 7, v42
	v_ffbh_u32_e32 v58, v44
	v_min_u32_e32 v61, 32, v58
	v_subrev_u32_e32 v58, 28, v61
	v_lshlrev_b64 v[58:59], v58, v[42:43]
	v_lshrrev_b32_e32 v60, 3, v56
	v_sub_u32_e32 v42, 29, v61
	v_and_b32_e32 v58, 7, v58
	v_cmp_gt_u32_e32 vcc, 8, v56
	v_cndmask_b32_e32 v42, v60, v42, vcc
	v_cndmask_b32_e32 v44, v44, v58, vcc
	v_lshlrev_b32_e32 v56, 16, v40
	v_lshlrev_b32_e32 v44, 20, v44
	v_and_b32_e32 v56, 0x80000000, v56
	v_lshl_add_u32 v42, v42, 23, v55
	v_or3_b32 v42, v56, v42, v44
	v_lshrrev_b32_e32 v44, 16, v42
.LBB898_369:                            ;   in Loop: Header=BB898_215 Depth=1
	s_or_b64 exec, exec, s[18:19]
.LBB898_370:                            ;   in Loop: Header=BB898_215 Depth=1
	s_or_b64 exec, exec, s[16:17]
.LBB898_371:                            ;   in Loop: Header=BB898_215 Depth=1
	s_or_b64 exec, exec, s[14:15]
	v_lshrrev_b32_e32 v42, 16, v40
	v_cmp_ne_u16_sdwa s[16:17], v42, v54 src0_sel:BYTE_0 src1_sel:DWORD
	s_and_saveexec_b64 s[14:15], s[16:17]
	s_cbranch_execz .LBB898_377
; %bb.372:                              ;   in Loop: Header=BB898_215 Depth=1
	v_cmp_ne_u16_sdwa s[18:19], v42, s9 src0_sel:BYTE_0 src1_sel:DWORD
	v_mov_b32_e32 v57, 0xffff8000
	s_and_saveexec_b64 s[16:17], s[18:19]
	s_cbranch_execz .LBB898_376
; %bb.373:                              ;   in Loop: Header=BB898_215 Depth=1
	v_bfe_u32 v56, v40, 16, 7
	v_cmp_ne_u32_e32 vcc, s23, v56
	v_mov_b32_e32 v57, 0x7f80
	s_and_saveexec_b64 s[18:19], vcc
	s_cbranch_execz .LBB898_375
; %bb.374:                              ;   in Loop: Header=BB898_215 Depth=1
	v_and_b32_e32 v57, 7, v42
	v_ffbh_u32_e32 v58, v57
	v_min_u32_e32 v61, 32, v58
	v_subrev_u32_e32 v58, 28, v61
	v_lshlrev_b64 v[58:59], v58, v[42:43]
	v_lshrrev_b32_e32 v60, 3, v56
	v_sub_u32_e32 v59, 29, v61
	v_and_b32_e32 v58, 7, v58
	v_cmp_gt_u32_e32 vcc, 8, v56
	v_cndmask_b32_e32 v56, v60, v59, vcc
	v_cndmask_b32_e32 v57, v57, v58, vcc
	v_lshlrev_b32_e32 v42, 24, v42
	v_lshlrev_b32_e32 v57, 20, v57
	v_and_b32_e32 v42, 0x80000000, v42
	v_lshl_add_u32 v56, v56, 23, v55
	v_or3_b32 v42, v42, v56, v57
	v_lshrrev_b32_e32 v57, 16, v42
.LBB898_375:                            ;   in Loop: Header=BB898_215 Depth=1
	s_or_b64 exec, exec, s[18:19]
.LBB898_376:                            ;   in Loop: Header=BB898_215 Depth=1
	s_or_b64 exec, exec, s[16:17]
.LBB898_377:                            ;   in Loop: Header=BB898_215 Depth=1
	s_or_b64 exec, exec, s[14:15]
	v_cmp_lt_u32_e32 vcc, s24, v40
	v_mov_b32_e32 v58, 0
	v_mov_b32_e32 v59, 0
	s_and_saveexec_b64 s[14:15], vcc
	s_cbranch_execz .LBB898_383
; %bb.378:                              ;   in Loop: Header=BB898_215 Depth=1
	v_lshrrev_b32_e32 v42, 24, v40
	v_cmp_ne_u32_e32 vcc, s9, v42
	v_mov_b32_e32 v59, 0xffff8000
	s_and_saveexec_b64 s[16:17], vcc
	s_cbranch_execz .LBB898_382
; %bb.379:                              ;   in Loop: Header=BB898_215 Depth=1
	v_bfe_u32 v40, v40, 24, 7
	v_cmp_ne_u32_e32 vcc, s23, v40
	v_mov_b32_e32 v59, 0x7f80
	s_and_saveexec_b64 s[18:19], vcc
	s_cbranch_execz .LBB898_381
; %bb.380:                              ;   in Loop: Header=BB898_215 Depth=1
	v_and_b32_e32 v56, 7, v42
	v_ffbh_u32_e32 v60, v56
	v_min_u32_e32 v62, 32, v60
	v_subrev_u32_e32 v60, 28, v62
	v_lshlrev_b64 v[60:61], v60, v[42:43]
	v_lshrrev_b32_e32 v59, 3, v40
	v_sub_u32_e32 v61, 29, v62
	v_and_b32_e32 v60, 7, v60
	v_cmp_gt_u32_e32 vcc, 8, v40
	v_cndmask_b32_e32 v40, v59, v61, vcc
	v_cndmask_b32_e32 v56, v56, v60, vcc
	v_lshlrev_b32_e32 v42, 24, v42
	v_lshlrev_b32_e32 v56, 20, v56
	v_and_b32_e32 v42, 0x80000000, v42
	v_lshl_add_u32 v40, v40, 23, v55
	v_or3_b32 v40, v42, v40, v56
	v_lshrrev_b32_e32 v59, 16, v40
.LBB898_381:                            ;   in Loop: Header=BB898_215 Depth=1
	s_or_b64 exec, exec, s[18:19]
.LBB898_382:                            ;   in Loop: Header=BB898_215 Depth=1
	s_or_b64 exec, exec, s[16:17]
.LBB898_383:                            ;   in Loop: Header=BB898_215 Depth=1
	s_or_b64 exec, exec, s[14:15]
	s_waitcnt vmcnt(0)
	v_cmp_ne_u16_sdwa s[16:17], v38, v54 src0_sel:BYTE_0 src1_sel:DWORD
	s_and_saveexec_b64 s[14:15], s[16:17]
	s_cbranch_execz .LBB898_389
; %bb.384:                              ;   in Loop: Header=BB898_215 Depth=1
	v_cmp_ne_u16_sdwa s[18:19], v38, s9 src0_sel:BYTE_0 src1_sel:DWORD
	v_mov_b32_e32 v58, 0xffff8000
	s_and_saveexec_b64 s[16:17], s[18:19]
	s_cbranch_execz .LBB898_388
; %bb.385:                              ;   in Loop: Header=BB898_215 Depth=1
	v_and_b32_e32 v40, 0x7f, v38
	v_cmp_ne_u32_e32 vcc, s23, v40
	v_mov_b32_e32 v58, 0x7f80
	s_and_saveexec_b64 s[18:19], vcc
	s_cbranch_execz .LBB898_387
; %bb.386:                              ;   in Loop: Header=BB898_215 Depth=1
	v_and_b32_e32 v42, 7, v38
	v_ffbh_u32_e32 v58, v42
	v_min_u32_e32 v58, 32, v58
	v_subrev_u32_e32 v60, 28, v58
	v_lshlrev_b64 v[60:61], v60, v[38:39]
	v_lshrrev_b32_e32 v56, 3, v40
	v_sub_u32_e32 v58, 29, v58
	v_and_b32_e32 v60, 7, v60
	v_cmp_gt_u32_e32 vcc, 8, v40
	v_cndmask_b32_e32 v40, v56, v58, vcc
	v_cndmask_b32_e32 v42, v42, v60, vcc
	v_lshlrev_b32_e32 v56, 24, v38
	v_lshlrev_b32_e32 v42, 20, v42
	v_and_b32_e32 v56, 0x80000000, v56
	v_lshl_add_u32 v40, v40, 23, v55
	v_or3_b32 v40, v56, v40, v42
	v_lshrrev_b32_e32 v58, 16, v40
.LBB898_387:                            ;   in Loop: Header=BB898_215 Depth=1
	s_or_b64 exec, exec, s[18:19]
.LBB898_388:                            ;   in Loop: Header=BB898_215 Depth=1
	s_or_b64 exec, exec, s[16:17]
.LBB898_389:                            ;   in Loop: Header=BB898_215 Depth=1
	s_or_b64 exec, exec, s[14:15]
	v_lshrrev_b16_e32 v40, 8, v38
	v_cmp_ne_u16_e32 vcc, 0, v40
	v_mov_b32_e32 v61, 0
	v_mov_b32_e32 v60, 0
	s_and_saveexec_b64 s[14:15], vcc
	s_cbranch_execz .LBB898_395
; %bb.390:                              ;   in Loop: Header=BB898_215 Depth=1
	v_cmp_ne_u16_e32 vcc, s9, v40
	v_mov_b32_e32 v60, 0xffff8000
	s_and_saveexec_b64 s[16:17], vcc
	s_cbranch_execz .LBB898_394
; %bb.391:                              ;   in Loop: Header=BB898_215 Depth=1
	v_and_b32_e32 v42, 0x7f, v40
	v_cmp_ne_u32_e32 vcc, s23, v42
	v_mov_b32_e32 v60, 0x7f80
	s_and_saveexec_b64 s[18:19], vcc
	s_cbranch_execz .LBB898_393
; %bb.392:                              ;   in Loop: Header=BB898_215 Depth=1
	v_and_b32_e32 v56, 7, v40
	v_ffbh_u32_e32 v62, v56
	v_min_u32_e32 v64, 32, v62
	v_subrev_u32_e32 v62, 28, v64
	v_lshlrev_b64 v[62:63], v62, v[40:41]
	v_lshrrev_b32_e32 v60, 3, v42
	v_sub_u32_e32 v40, 29, v64
	v_and_b32_e32 v62, 7, v62
	v_cmp_gt_u32_e32 vcc, 8, v42
	v_cndmask_b32_e32 v40, v60, v40, vcc
	v_cndmask_b32_e32 v42, v56, v62, vcc
	v_lshlrev_b32_e32 v56, 16, v38
	v_lshlrev_b32_e32 v42, 20, v42
	v_and_b32_e32 v56, 0x80000000, v56
	v_lshl_add_u32 v40, v40, 23, v55
	v_or3_b32 v40, v56, v40, v42
	v_lshrrev_b32_e32 v60, 16, v40
.LBB898_393:                            ;   in Loop: Header=BB898_215 Depth=1
	s_or_b64 exec, exec, s[18:19]
.LBB898_394:                            ;   in Loop: Header=BB898_215 Depth=1
	s_or_b64 exec, exec, s[16:17]
.LBB898_395:                            ;   in Loop: Header=BB898_215 Depth=1
	s_or_b64 exec, exec, s[14:15]
	v_lshrrev_b32_e32 v40, 16, v38
	v_cmp_ne_u16_sdwa s[16:17], v40, v54 src0_sel:BYTE_0 src1_sel:DWORD
	s_and_saveexec_b64 s[14:15], s[16:17]
	s_cbranch_execz .LBB898_401
; %bb.396:                              ;   in Loop: Header=BB898_215 Depth=1
	v_cmp_ne_u16_sdwa s[18:19], v40, s9 src0_sel:BYTE_0 src1_sel:DWORD
	v_mov_b32_e32 v61, 0xffff8000
	s_and_saveexec_b64 s[16:17], s[18:19]
	s_cbranch_execz .LBB898_400
; %bb.397:                              ;   in Loop: Header=BB898_215 Depth=1
	v_bfe_u32 v42, v38, 16, 7
	v_cmp_ne_u32_e32 vcc, s23, v42
	v_mov_b32_e32 v61, 0x7f80
	s_and_saveexec_b64 s[18:19], vcc
	s_cbranch_execz .LBB898_399
; %bb.398:                              ;   in Loop: Header=BB898_215 Depth=1
	v_and_b32_e32 v56, 7, v40
	v_ffbh_u32_e32 v62, v56
	v_min_u32_e32 v64, 32, v62
	v_subrev_u32_e32 v62, 28, v64
	v_lshlrev_b64 v[62:63], v62, v[40:41]
	v_lshrrev_b32_e32 v61, 3, v42
	v_sub_u32_e32 v63, 29, v64
	v_and_b32_e32 v62, 7, v62
	v_cmp_gt_u32_e32 vcc, 8, v42
	v_cndmask_b32_e32 v42, v61, v63, vcc
	v_cndmask_b32_e32 v56, v56, v62, vcc
	v_lshlrev_b32_e32 v40, 24, v40
	v_lshlrev_b32_e32 v56, 20, v56
	v_and_b32_e32 v40, 0x80000000, v40
	v_lshl_add_u32 v42, v42, 23, v55
	v_or3_b32 v40, v40, v42, v56
	v_lshrrev_b32_e32 v61, 16, v40
.LBB898_399:                            ;   in Loop: Header=BB898_215 Depth=1
	s_or_b64 exec, exec, s[18:19]
.LBB898_400:                            ;   in Loop: Header=BB898_215 Depth=1
	s_or_b64 exec, exec, s[16:17]
.LBB898_401:                            ;   in Loop: Header=BB898_215 Depth=1
	s_or_b64 exec, exec, s[14:15]
	v_cmp_lt_u32_e32 vcc, s24, v38
	v_mov_b32_e32 v56, 0
	v_mov_b32_e32 v62, 0
	s_and_saveexec_b64 s[14:15], vcc
	s_cbranch_execz .LBB898_407
; %bb.402:                              ;   in Loop: Header=BB898_215 Depth=1
	v_lshrrev_b32_e32 v40, 24, v38
	v_cmp_ne_u32_e32 vcc, s9, v40
	v_mov_b32_e32 v62, 0xffff8000
	s_and_saveexec_b64 s[16:17], vcc
	s_cbranch_execz .LBB898_406
; %bb.403:                              ;   in Loop: Header=BB898_215 Depth=1
	v_bfe_u32 v38, v38, 24, 7
	v_cmp_ne_u32_e32 vcc, s23, v38
	v_mov_b32_e32 v62, 0x7f80
	s_and_saveexec_b64 s[18:19], vcc
	s_cbranch_execz .LBB898_405
; %bb.404:                              ;   in Loop: Header=BB898_215 Depth=1
	v_and_b32_e32 v42, 7, v40
	v_ffbh_u32_e32 v62, v42
	v_min_u32_e32 v65, 32, v62
	v_subrev_u32_e32 v62, 28, v65
	v_lshlrev_b64 v[62:63], v62, v[40:41]
	v_lshrrev_b32_e32 v64, 3, v38
	v_sub_u32_e32 v63, 29, v65
	v_and_b32_e32 v62, 7, v62
	v_cmp_gt_u32_e32 vcc, 8, v38
	v_cndmask_b32_e32 v38, v64, v63, vcc
	v_cndmask_b32_e32 v42, v42, v62, vcc
	v_lshlrev_b32_e32 v40, 24, v40
	v_lshlrev_b32_e32 v42, 20, v42
	v_and_b32_e32 v40, 0x80000000, v40
	v_lshl_add_u32 v38, v38, 23, v55
	v_or3_b32 v38, v40, v38, v42
	v_lshrrev_b32_e32 v62, 16, v38
.LBB898_405:                            ;   in Loop: Header=BB898_215 Depth=1
	s_or_b64 exec, exec, s[18:19]
.LBB898_406:                            ;   in Loop: Header=BB898_215 Depth=1
	s_or_b64 exec, exec, s[16:17]
.LBB898_407:                            ;   in Loop: Header=BB898_215 Depth=1
	s_or_b64 exec, exec, s[14:15]
	v_perm_b32 v64, v44, v46, s25
	buffer_load_dword v44, v51, s[0:3], 0 offen
	buffer_load_dword v42, v51, s[0:3], 0 offen offset:4
	buffer_load_dword v40, v51, s[0:3], 0 offen offset:8
	;; [unrolled: 1-line block ×3, first 2 shown]
	v_perm_b32 v65, v59, v57, s25
	v_perm_b32 v59, v62, v61, s25
	;; [unrolled: 1-line block ×3, first 2 shown]
	v_mfma_f32_16x16x16bf16_1k v[34:37], v[64:65], v[14:15], v[34:37]
	s_waitcnt vmcnt(3)
	v_cmp_ne_u16_sdwa s[16:17], v44, v54 src0_sel:BYTE_0 src1_sel:DWORD
	v_mfma_f32_16x16x16bf16_1k v[34:37], v[58:59], v[16:17], v[34:37]
	s_and_saveexec_b64 s[14:15], s[16:17]
	s_cbranch_execz .LBB898_413
; %bb.408:                              ;   in Loop: Header=BB898_215 Depth=1
	v_cmp_ne_u16_sdwa s[18:19], v44, s9 src0_sel:BYTE_0 src1_sel:DWORD
	v_mov_b32_e32 v56, 0xffff8000
	s_and_saveexec_b64 s[16:17], s[18:19]
	s_cbranch_execz .LBB898_412
; %bb.409:                              ;   in Loop: Header=BB898_215 Depth=1
	v_and_b32_e32 v46, 0x7f, v44
	v_cmp_ne_u32_e32 vcc, s23, v46
	v_mov_b32_e32 v56, 0x7f80
	s_and_saveexec_b64 s[18:19], vcc
	s_cbranch_execz .LBB898_411
; %bb.410:                              ;   in Loop: Header=BB898_215 Depth=1
	v_and_b32_e32 v51, 7, v44
	v_ffbh_u32_e32 v56, v51
	v_min_u32_e32 v59, 32, v56
	v_subrev_u32_e32 v56, 28, v59
	v_lshlrev_b64 v[56:57], v56, v[44:45]
	v_lshrrev_b32_e32 v58, 3, v46
	v_sub_u32_e32 v57, 29, v59
	v_and_b32_e32 v56, 7, v56
	v_cmp_gt_u32_e32 vcc, 8, v46
	v_cndmask_b32_e32 v46, v58, v57, vcc
	v_cndmask_b32_e32 v51, v51, v56, vcc
	v_lshlrev_b32_e32 v56, 24, v44
	v_lshlrev_b32_e32 v51, 20, v51
	v_and_b32_e32 v56, 0x80000000, v56
	v_lshl_add_u32 v46, v46, 23, v55
	v_or3_b32 v46, v56, v46, v51
	v_lshrrev_b32_e32 v56, 16, v46
.LBB898_411:                            ;   in Loop: Header=BB898_215 Depth=1
	s_or_b64 exec, exec, s[18:19]
.LBB898_412:                            ;   in Loop: Header=BB898_215 Depth=1
	s_or_b64 exec, exec, s[16:17]
.LBB898_413:                            ;   in Loop: Header=BB898_215 Depth=1
	s_or_b64 exec, exec, s[14:15]
	v_lshrrev_b16_e32 v46, 8, v44
	v_cmp_ne_u16_e32 vcc, 0, v46
	v_mov_b32_e32 v57, 0
	v_mov_b32_e32 v51, 0
	s_and_saveexec_b64 s[14:15], vcc
	s_cbranch_execz .LBB898_419
; %bb.414:                              ;   in Loop: Header=BB898_215 Depth=1
	v_cmp_ne_u16_e32 vcc, s9, v46
	v_mov_b32_e32 v51, 0xffff8000
	s_and_saveexec_b64 s[16:17], vcc
	s_cbranch_execz .LBB898_418
; %bb.415:                              ;   in Loop: Header=BB898_215 Depth=1
	v_and_b32_e32 v58, 0x7f, v46
	v_cmp_ne_u32_e32 vcc, s23, v58
	v_mov_b32_e32 v51, 0x7f80
	s_and_saveexec_b64 s[18:19], vcc
	s_cbranch_execz .LBB898_417
; %bb.416:                              ;   in Loop: Header=BB898_215 Depth=1
	v_and_b32_e32 v51, 7, v46
	v_ffbh_u32_e32 v60, v51
	v_min_u32_e32 v62, 32, v60
	v_subrev_u32_e32 v60, 28, v62
	v_lshlrev_b64 v[60:61], v60, v[46:47]
	v_lshrrev_b32_e32 v59, 3, v58
	v_sub_u32_e32 v46, 29, v62
	v_and_b32_e32 v60, 7, v60
	v_cmp_gt_u32_e32 vcc, 8, v58
	v_cndmask_b32_e32 v46, v59, v46, vcc
	v_cndmask_b32_e32 v51, v51, v60, vcc
	v_lshlrev_b32_e32 v58, 16, v44
	v_lshlrev_b32_e32 v51, 20, v51
	v_and_b32_e32 v58, 0x80000000, v58
	v_lshl_add_u32 v46, v46, 23, v55
	v_or3_b32 v46, v58, v46, v51
	v_lshrrev_b32_e32 v51, 16, v46
.LBB898_417:                            ;   in Loop: Header=BB898_215 Depth=1
	s_or_b64 exec, exec, s[18:19]
.LBB898_418:                            ;   in Loop: Header=BB898_215 Depth=1
	s_or_b64 exec, exec, s[16:17]
.LBB898_419:                            ;   in Loop: Header=BB898_215 Depth=1
	s_or_b64 exec, exec, s[14:15]
	v_lshrrev_b32_e32 v46, 16, v44
	v_cmp_ne_u16_sdwa s[16:17], v46, v54 src0_sel:BYTE_0 src1_sel:DWORD
	s_and_saveexec_b64 s[14:15], s[16:17]
	s_cbranch_execz .LBB898_425
; %bb.420:                              ;   in Loop: Header=BB898_215 Depth=1
	v_cmp_ne_u16_sdwa s[18:19], v46, s9 src0_sel:BYTE_0 src1_sel:DWORD
	v_mov_b32_e32 v57, 0xffff8000
	s_and_saveexec_b64 s[16:17], s[18:19]
	s_cbranch_execz .LBB898_424
; %bb.421:                              ;   in Loop: Header=BB898_215 Depth=1
	v_bfe_u32 v58, v44, 16, 7
	v_cmp_ne_u32_e32 vcc, s23, v58
	v_mov_b32_e32 v57, 0x7f80
	s_and_saveexec_b64 s[18:19], vcc
	s_cbranch_execz .LBB898_423
; %bb.422:                              ;   in Loop: Header=BB898_215 Depth=1
	v_and_b32_e32 v57, 7, v46
	v_ffbh_u32_e32 v60, v57
	v_min_u32_e32 v62, 32, v60
	v_subrev_u32_e32 v60, 28, v62
	v_lshlrev_b64 v[60:61], v60, v[46:47]
	v_lshrrev_b32_e32 v59, 3, v58
	v_sub_u32_e32 v61, 29, v62
	v_and_b32_e32 v60, 7, v60
	v_cmp_gt_u32_e32 vcc, 8, v58
	v_cndmask_b32_e32 v58, v59, v61, vcc
	v_cndmask_b32_e32 v57, v57, v60, vcc
	v_lshlrev_b32_e32 v46, 24, v46
	v_lshlrev_b32_e32 v57, 20, v57
	v_and_b32_e32 v46, 0x80000000, v46
	v_lshl_add_u32 v58, v58, 23, v55
	v_or3_b32 v46, v46, v58, v57
	v_lshrrev_b32_e32 v57, 16, v46
.LBB898_423:                            ;   in Loop: Header=BB898_215 Depth=1
	s_or_b64 exec, exec, s[18:19]
.LBB898_424:                            ;   in Loop: Header=BB898_215 Depth=1
	s_or_b64 exec, exec, s[16:17]
.LBB898_425:                            ;   in Loop: Header=BB898_215 Depth=1
	s_or_b64 exec, exec, s[14:15]
	v_cmp_lt_u32_e32 vcc, s24, v44
	v_mov_b32_e32 v58, 0
	v_mov_b32_e32 v59, 0
	s_and_saveexec_b64 s[14:15], vcc
	s_cbranch_execz .LBB898_431
; %bb.426:                              ;   in Loop: Header=BB898_215 Depth=1
	v_lshrrev_b32_e32 v46, 24, v44
	v_cmp_ne_u32_e32 vcc, s9, v46
	v_mov_b32_e32 v59, 0xffff8000
	s_and_saveexec_b64 s[16:17], vcc
	s_cbranch_execz .LBB898_430
; %bb.427:                              ;   in Loop: Header=BB898_215 Depth=1
	v_bfe_u32 v44, v44, 24, 7
	v_cmp_ne_u32_e32 vcc, s23, v44
	v_mov_b32_e32 v59, 0x7f80
	s_and_saveexec_b64 s[18:19], vcc
	s_cbranch_execz .LBB898_429
; %bb.428:                              ;   in Loop: Header=BB898_215 Depth=1
	v_and_b32_e32 v59, 7, v46
	v_ffbh_u32_e32 v60, v59
	v_min_u32_e32 v63, 32, v60
	v_subrev_u32_e32 v60, 28, v63
	v_lshlrev_b64 v[60:61], v60, v[46:47]
	v_lshrrev_b32_e32 v62, 3, v44
	v_sub_u32_e32 v61, 29, v63
	v_and_b32_e32 v60, 7, v60
	v_cmp_gt_u32_e32 vcc, 8, v44
	v_cndmask_b32_e32 v44, v62, v61, vcc
	v_cndmask_b32_e32 v59, v59, v60, vcc
	v_lshlrev_b32_e32 v46, 24, v46
	v_lshlrev_b32_e32 v59, 20, v59
	v_and_b32_e32 v46, 0x80000000, v46
	v_lshl_add_u32 v44, v44, 23, v55
	v_or3_b32 v44, v46, v44, v59
	v_lshrrev_b32_e32 v59, 16, v44
.LBB898_429:                            ;   in Loop: Header=BB898_215 Depth=1
	s_or_b64 exec, exec, s[18:19]
.LBB898_430:                            ;   in Loop: Header=BB898_215 Depth=1
	s_or_b64 exec, exec, s[16:17]
.LBB898_431:                            ;   in Loop: Header=BB898_215 Depth=1
	s_or_b64 exec, exec, s[14:15]
	s_waitcnt vmcnt(2)
	v_cmp_ne_u16_sdwa s[16:17], v42, v54 src0_sel:BYTE_0 src1_sel:DWORD
	s_and_saveexec_b64 s[14:15], s[16:17]
	s_cbranch_execz .LBB898_437
; %bb.432:                              ;   in Loop: Header=BB898_215 Depth=1
	v_cmp_ne_u16_sdwa s[18:19], v42, s9 src0_sel:BYTE_0 src1_sel:DWORD
	v_mov_b32_e32 v58, 0xffff8000
	s_and_saveexec_b64 s[16:17], s[18:19]
	s_cbranch_execz .LBB898_436
; %bb.433:                              ;   in Loop: Header=BB898_215 Depth=1
	v_and_b32_e32 v44, 0x7f, v42
	v_cmp_ne_u32_e32 vcc, s23, v44
	v_mov_b32_e32 v58, 0x7f80
	s_and_saveexec_b64 s[18:19], vcc
	s_cbranch_execz .LBB898_435
; %bb.434:                              ;   in Loop: Header=BB898_215 Depth=1
	v_and_b32_e32 v46, 7, v42
	v_ffbh_u32_e32 v60, v46
	v_min_u32_e32 v62, 32, v60
	v_subrev_u32_e32 v60, 28, v62
	v_lshlrev_b64 v[60:61], v60, v[42:43]
	v_lshrrev_b32_e32 v58, 3, v44
	v_sub_u32_e32 v61, 29, v62
	v_and_b32_e32 v60, 7, v60
	v_cmp_gt_u32_e32 vcc, 8, v44
	v_cndmask_b32_e32 v44, v58, v61, vcc
	v_cndmask_b32_e32 v46, v46, v60, vcc
	v_lshlrev_b32_e32 v58, 24, v42
	v_lshlrev_b32_e32 v46, 20, v46
	v_and_b32_e32 v58, 0x80000000, v58
	v_lshl_add_u32 v44, v44, 23, v55
	v_or3_b32 v44, v58, v44, v46
	v_lshrrev_b32_e32 v58, 16, v44
.LBB898_435:                            ;   in Loop: Header=BB898_215 Depth=1
	s_or_b64 exec, exec, s[18:19]
.LBB898_436:                            ;   in Loop: Header=BB898_215 Depth=1
	s_or_b64 exec, exec, s[16:17]
.LBB898_437:                            ;   in Loop: Header=BB898_215 Depth=1
	s_or_b64 exec, exec, s[14:15]
	v_lshrrev_b16_e32 v44, 8, v42
	v_cmp_ne_u16_e32 vcc, 0, v44
	v_mov_b32_e32 v61, 0
	v_mov_b32_e32 v60, 0
	s_and_saveexec_b64 s[14:15], vcc
	s_cbranch_execz .LBB898_443
; %bb.438:                              ;   in Loop: Header=BB898_215 Depth=1
	v_cmp_ne_u16_e32 vcc, s9, v44
	v_mov_b32_e32 v60, 0xffff8000
	s_and_saveexec_b64 s[16:17], vcc
	s_cbranch_execz .LBB898_442
; %bb.439:                              ;   in Loop: Header=BB898_215 Depth=1
	v_and_b32_e32 v46, 0x7f, v44
	v_cmp_ne_u32_e32 vcc, s23, v46
	v_mov_b32_e32 v60, 0x7f80
	s_and_saveexec_b64 s[18:19], vcc
	s_cbranch_execz .LBB898_441
; %bb.440:                              ;   in Loop: Header=BB898_215 Depth=1
	v_and_b32_e32 v60, 7, v44
	v_ffbh_u32_e32 v62, v60
	v_min_u32_e32 v65, 32, v62
	v_subrev_u32_e32 v62, 28, v65
	v_lshlrev_b64 v[62:63], v62, v[44:45]
	v_lshrrev_b32_e32 v64, 3, v46
	v_sub_u32_e32 v44, 29, v65
	v_and_b32_e32 v62, 7, v62
	v_cmp_gt_u32_e32 vcc, 8, v46
	v_cndmask_b32_e32 v44, v64, v44, vcc
	v_cndmask_b32_e32 v46, v60, v62, vcc
	v_lshlrev_b32_e32 v60, 16, v42
	v_lshlrev_b32_e32 v46, 20, v46
	v_and_b32_e32 v60, 0x80000000, v60
	v_lshl_add_u32 v44, v44, 23, v55
	v_or3_b32 v44, v60, v44, v46
	v_lshrrev_b32_e32 v60, 16, v44
.LBB898_441:                            ;   in Loop: Header=BB898_215 Depth=1
	s_or_b64 exec, exec, s[18:19]
.LBB898_442:                            ;   in Loop: Header=BB898_215 Depth=1
	s_or_b64 exec, exec, s[16:17]
.LBB898_443:                            ;   in Loop: Header=BB898_215 Depth=1
	s_or_b64 exec, exec, s[14:15]
	v_lshrrev_b32_e32 v44, 16, v42
	v_cmp_ne_u16_sdwa s[16:17], v44, v54 src0_sel:BYTE_0 src1_sel:DWORD
	s_and_saveexec_b64 s[14:15], s[16:17]
	s_cbranch_execz .LBB898_449
; %bb.444:                              ;   in Loop: Header=BB898_215 Depth=1
	v_cmp_ne_u16_sdwa s[18:19], v44, s9 src0_sel:BYTE_0 src1_sel:DWORD
	v_mov_b32_e32 v61, 0xffff8000
	s_and_saveexec_b64 s[16:17], s[18:19]
	s_cbranch_execz .LBB898_448
; %bb.445:                              ;   in Loop: Header=BB898_215 Depth=1
	v_bfe_u32 v46, v42, 16, 7
	v_cmp_ne_u32_e32 vcc, s23, v46
	v_mov_b32_e32 v61, 0x7f80
	s_and_saveexec_b64 s[18:19], vcc
	s_cbranch_execz .LBB898_447
; %bb.446:                              ;   in Loop: Header=BB898_215 Depth=1
	v_and_b32_e32 v61, 7, v44
	v_ffbh_u32_e32 v62, v61
	v_min_u32_e32 v65, 32, v62
	v_subrev_u32_e32 v62, 28, v65
	v_lshlrev_b64 v[62:63], v62, v[44:45]
	v_lshrrev_b32_e32 v64, 3, v46
	v_sub_u32_e32 v63, 29, v65
	v_and_b32_e32 v62, 7, v62
	v_cmp_gt_u32_e32 vcc, 8, v46
	v_cndmask_b32_e32 v46, v64, v63, vcc
	v_cndmask_b32_e32 v61, v61, v62, vcc
	v_lshlrev_b32_e32 v44, 24, v44
	v_lshlrev_b32_e32 v61, 20, v61
	v_and_b32_e32 v44, 0x80000000, v44
	v_lshl_add_u32 v46, v46, 23, v55
	v_or3_b32 v44, v44, v46, v61
	v_lshrrev_b32_e32 v61, 16, v44
.LBB898_447:                            ;   in Loop: Header=BB898_215 Depth=1
	s_or_b64 exec, exec, s[18:19]
.LBB898_448:                            ;   in Loop: Header=BB898_215 Depth=1
	s_or_b64 exec, exec, s[16:17]
.LBB898_449:                            ;   in Loop: Header=BB898_215 Depth=1
	s_or_b64 exec, exec, s[14:15]
	v_cmp_lt_u32_e32 vcc, s24, v42
	v_mov_b32_e32 v46, 0
	v_mov_b32_e32 v62, 0
	s_and_saveexec_b64 s[14:15], vcc
	s_cbranch_execz .LBB898_455
; %bb.450:                              ;   in Loop: Header=BB898_215 Depth=1
	v_lshrrev_b32_e32 v44, 24, v42
	v_cmp_ne_u32_e32 vcc, s9, v44
	v_mov_b32_e32 v62, 0xffff8000
	s_and_saveexec_b64 s[16:17], vcc
	s_cbranch_execz .LBB898_454
; %bb.451:                              ;   in Loop: Header=BB898_215 Depth=1
	v_bfe_u32 v42, v42, 24, 7
	v_cmp_ne_u32_e32 vcc, s23, v42
	v_mov_b32_e32 v62, 0x7f80
	s_and_saveexec_b64 s[18:19], vcc
	s_cbranch_execz .LBB898_453
; %bb.452:                              ;   in Loop: Header=BB898_215 Depth=1
	v_and_b32_e32 v64, 7, v44
	v_ffbh_u32_e32 v62, v64
	v_min_u32_e32 v66, 32, v62
	v_subrev_u32_e32 v62, 28, v66
	v_lshlrev_b64 v[62:63], v62, v[44:45]
	v_lshrrev_b32_e32 v65, 3, v42
	v_sub_u32_e32 v63, 29, v66
	v_and_b32_e32 v62, 7, v62
	v_cmp_gt_u32_e32 vcc, 8, v42
	v_cndmask_b32_e32 v42, v65, v63, vcc
	v_cndmask_b32_e32 v62, v64, v62, vcc
	v_lshlrev_b32_e32 v44, 24, v44
	v_lshlrev_b32_e32 v62, 20, v62
	v_and_b32_e32 v44, 0x80000000, v44
	v_lshl_add_u32 v42, v42, 23, v55
	v_or3_b32 v42, v44, v42, v62
	v_lshrrev_b32_e32 v62, 16, v42
.LBB898_453:                            ;   in Loop: Header=BB898_215 Depth=1
	s_or_b64 exec, exec, s[18:19]
.LBB898_454:                            ;   in Loop: Header=BB898_215 Depth=1
	s_or_b64 exec, exec, s[16:17]
.LBB898_455:                            ;   in Loop: Header=BB898_215 Depth=1
	s_or_b64 exec, exec, s[14:15]
	v_perm_b32 v57, v59, v57, s25
	v_perm_b32 v56, v51, v56, s25
	s_waitcnt vmcnt(1)
	v_cmp_ne_u16_sdwa s[16:17], v40, v54 src0_sel:BYTE_0 src1_sel:DWORD
	v_mfma_f32_16x16x16bf16_1k v[34:37], v[56:57], v[18:19], v[34:37]
	v_perm_b32 v57, v62, v61, s25
	v_perm_b32 v56, v60, v58, s25
	s_nop 1
	v_mfma_f32_16x16x16bf16_1k v[34:37], v[56:57], v[20:21], v[34:37]
	s_and_saveexec_b64 s[14:15], s[16:17]
	s_cbranch_execz .LBB898_461
; %bb.456:                              ;   in Loop: Header=BB898_215 Depth=1
	v_cmp_ne_u16_sdwa s[18:19], v40, s9 src0_sel:BYTE_0 src1_sel:DWORD
	v_mov_b32_e32 v46, 0xffff8000
	s_and_saveexec_b64 s[16:17], s[18:19]
	s_cbranch_execz .LBB898_460
; %bb.457:                              ;   in Loop: Header=BB898_215 Depth=1
	v_and_b32_e32 v42, 0x7f, v40
	v_cmp_ne_u32_e32 vcc, s23, v42
	v_mov_b32_e32 v46, 0x7f80
	s_and_saveexec_b64 s[18:19], vcc
	s_cbranch_execz .LBB898_459
; %bb.458:                              ;   in Loop: Header=BB898_215 Depth=1
	v_and_b32_e32 v44, 7, v40
	v_ffbh_u32_e32 v51, v44
	v_min_u32_e32 v51, 32, v51
	v_subrev_u32_e32 v56, 28, v51
	v_lshlrev_b64 v[56:57], v56, v[40:41]
	v_lshrrev_b32_e32 v46, 3, v42
	v_sub_u32_e32 v51, 29, v51
	v_and_b32_e32 v56, 7, v56
	v_cmp_gt_u32_e32 vcc, 8, v42
	v_cndmask_b32_e32 v42, v46, v51, vcc
	v_cndmask_b32_e32 v44, v44, v56, vcc
	v_lshlrev_b32_e32 v46, 24, v40
	v_lshlrev_b32_e32 v44, 20, v44
	v_and_b32_e32 v46, 0x80000000, v46
	v_lshl_add_u32 v42, v42, 23, v55
	v_or3_b32 v42, v46, v42, v44
	v_lshrrev_b32_e32 v46, 16, v42
.LBB898_459:                            ;   in Loop: Header=BB898_215 Depth=1
	s_or_b64 exec, exec, s[18:19]
.LBB898_460:                            ;   in Loop: Header=BB898_215 Depth=1
	s_or_b64 exec, exec, s[16:17]
.LBB898_461:                            ;   in Loop: Header=BB898_215 Depth=1
	s_or_b64 exec, exec, s[14:15]
	v_lshrrev_b16_e32 v42, 8, v40
	v_cmp_ne_u16_e32 vcc, 0, v42
	v_mov_b32_e32 v56, 0
	v_mov_b32_e32 v44, 0
	s_and_saveexec_b64 s[14:15], vcc
	s_cbranch_execz .LBB898_467
; %bb.462:                              ;   in Loop: Header=BB898_215 Depth=1
	v_cmp_ne_u16_e32 vcc, s9, v42
	v_mov_b32_e32 v44, 0xffff8000
	s_and_saveexec_b64 s[16:17], vcc
	s_cbranch_execz .LBB898_466
; %bb.463:                              ;   in Loop: Header=BB898_215 Depth=1
	v_and_b32_e32 v51, 0x7f, v42
	v_cmp_ne_u32_e32 vcc, s23, v51
	v_mov_b32_e32 v44, 0x7f80
	s_and_saveexec_b64 s[18:19], vcc
	s_cbranch_execz .LBB898_465
; %bb.464:                              ;   in Loop: Header=BB898_215 Depth=1
	v_and_b32_e32 v44, 7, v42
	v_ffbh_u32_e32 v58, v44
	v_min_u32_e32 v60, 32, v58
	v_subrev_u32_e32 v58, 28, v60
	v_lshlrev_b64 v[58:59], v58, v[42:43]
	v_lshrrev_b32_e32 v57, 3, v51
	v_sub_u32_e32 v42, 29, v60
	v_and_b32_e32 v58, 7, v58
	v_cmp_gt_u32_e32 vcc, 8, v51
	v_cndmask_b32_e32 v42, v57, v42, vcc
	v_cndmask_b32_e32 v44, v44, v58, vcc
	v_lshlrev_b32_e32 v51, 16, v40
	v_lshlrev_b32_e32 v44, 20, v44
	v_and_b32_e32 v51, 0x80000000, v51
	v_lshl_add_u32 v42, v42, 23, v55
	v_or3_b32 v42, v51, v42, v44
	v_lshrrev_b32_e32 v44, 16, v42
.LBB898_465:                            ;   in Loop: Header=BB898_215 Depth=1
	s_or_b64 exec, exec, s[18:19]
.LBB898_466:                            ;   in Loop: Header=BB898_215 Depth=1
	s_or_b64 exec, exec, s[16:17]
.LBB898_467:                            ;   in Loop: Header=BB898_215 Depth=1
	s_or_b64 exec, exec, s[14:15]
	v_lshrrev_b32_e32 v42, 16, v40
	v_cmp_ne_u16_sdwa s[16:17], v42, v54 src0_sel:BYTE_0 src1_sel:DWORD
	s_and_saveexec_b64 s[14:15], s[16:17]
	s_cbranch_execz .LBB898_473
; %bb.468:                              ;   in Loop: Header=BB898_215 Depth=1
	v_cmp_ne_u16_sdwa s[18:19], v42, s9 src0_sel:BYTE_0 src1_sel:DWORD
	v_mov_b32_e32 v56, 0xffff8000
	s_and_saveexec_b64 s[16:17], s[18:19]
	s_cbranch_execz .LBB898_472
; %bb.469:                              ;   in Loop: Header=BB898_215 Depth=1
	v_bfe_u32 v51, v40, 16, 7
	v_cmp_ne_u32_e32 vcc, s23, v51
	v_mov_b32_e32 v56, 0x7f80
	s_and_saveexec_b64 s[18:19], vcc
	s_cbranch_execz .LBB898_471
; %bb.470:                              ;   in Loop: Header=BB898_215 Depth=1
	v_and_b32_e32 v58, 7, v42
	v_ffbh_u32_e32 v56, v58
	v_min_u32_e32 v60, 32, v56
	v_subrev_u32_e32 v56, 28, v60
	v_lshlrev_b64 v[56:57], v56, v[42:43]
	v_lshrrev_b32_e32 v59, 3, v51
	v_sub_u32_e32 v57, 29, v60
	v_and_b32_e32 v56, 7, v56
	v_cmp_gt_u32_e32 vcc, 8, v51
	v_cndmask_b32_e32 v51, v59, v57, vcc
	v_cndmask_b32_e32 v56, v58, v56, vcc
	v_lshlrev_b32_e32 v42, 24, v42
	v_lshlrev_b32_e32 v56, 20, v56
	v_and_b32_e32 v42, 0x80000000, v42
	v_lshl_add_u32 v51, v51, 23, v55
	v_or3_b32 v42, v42, v51, v56
	v_lshrrev_b32_e32 v56, 16, v42
.LBB898_471:                            ;   in Loop: Header=BB898_215 Depth=1
	s_or_b64 exec, exec, s[18:19]
.LBB898_472:                            ;   in Loop: Header=BB898_215 Depth=1
	s_or_b64 exec, exec, s[16:17]
.LBB898_473:                            ;   in Loop: Header=BB898_215 Depth=1
	s_or_b64 exec, exec, s[14:15]
	v_cmp_lt_u32_e32 vcc, s24, v40
	v_mov_b32_e32 v57, 0
	v_mov_b32_e32 v58, 0
	s_and_saveexec_b64 s[14:15], vcc
	s_cbranch_execz .LBB898_479
; %bb.474:                              ;   in Loop: Header=BB898_215 Depth=1
	v_lshrrev_b32_e32 v42, 24, v40
	v_cmp_ne_u32_e32 vcc, s9, v42
	v_mov_b32_e32 v58, 0xffff8000
	s_and_saveexec_b64 s[16:17], vcc
	s_cbranch_execz .LBB898_478
; %bb.475:                              ;   in Loop: Header=BB898_215 Depth=1
	v_bfe_u32 v40, v40, 24, 7
	v_cmp_ne_u32_e32 vcc, s23, v40
	v_mov_b32_e32 v58, 0x7f80
	s_and_saveexec_b64 s[18:19], vcc
	s_cbranch_execz .LBB898_477
; %bb.476:                              ;   in Loop: Header=BB898_215 Depth=1
	v_and_b32_e32 v51, 7, v42
	v_ffbh_u32_e32 v58, v51
	v_min_u32_e32 v61, 32, v58
	v_subrev_u32_e32 v58, 28, v61
	v_lshlrev_b64 v[58:59], v58, v[42:43]
	v_lshrrev_b32_e32 v60, 3, v40
	v_sub_u32_e32 v59, 29, v61
	v_and_b32_e32 v58, 7, v58
	v_cmp_gt_u32_e32 vcc, 8, v40
	v_cndmask_b32_e32 v40, v60, v59, vcc
	v_cndmask_b32_e32 v51, v51, v58, vcc
	v_lshlrev_b32_e32 v42, 24, v42
	v_lshlrev_b32_e32 v51, 20, v51
	v_and_b32_e32 v42, 0x80000000, v42
	v_lshl_add_u32 v40, v40, 23, v55
	v_or3_b32 v40, v42, v40, v51
	v_lshrrev_b32_e32 v58, 16, v40
.LBB898_477:                            ;   in Loop: Header=BB898_215 Depth=1
	s_or_b64 exec, exec, s[18:19]
.LBB898_478:                            ;   in Loop: Header=BB898_215 Depth=1
	s_or_b64 exec, exec, s[16:17]
.LBB898_479:                            ;   in Loop: Header=BB898_215 Depth=1
	s_or_b64 exec, exec, s[14:15]
	s_waitcnt vmcnt(0)
	v_cmp_ne_u16_sdwa s[16:17], v38, v54 src0_sel:BYTE_0 src1_sel:DWORD
	s_and_saveexec_b64 s[14:15], s[16:17]
	s_cbranch_execz .LBB898_485
; %bb.480:                              ;   in Loop: Header=BB898_215 Depth=1
	v_cmp_ne_u16_sdwa s[18:19], v38, s9 src0_sel:BYTE_0 src1_sel:DWORD
	v_mov_b32_e32 v57, 0xffff8000
	s_and_saveexec_b64 s[16:17], s[18:19]
	s_cbranch_execz .LBB898_484
; %bb.481:                              ;   in Loop: Header=BB898_215 Depth=1
	v_and_b32_e32 v40, 0x7f, v38
	v_cmp_ne_u32_e32 vcc, s23, v40
	v_mov_b32_e32 v57, 0x7f80
	s_and_saveexec_b64 s[18:19], vcc
	s_cbranch_execz .LBB898_483
; %bb.482:                              ;   in Loop: Header=BB898_215 Depth=1
	v_and_b32_e32 v42, 7, v38
	v_ffbh_u32_e32 v57, v42
	v_min_u32_e32 v57, 32, v57
	v_subrev_u32_e32 v59, 28, v57
	v_lshlrev_b64 v[60:61], v59, v[38:39]
	v_lshrrev_b32_e32 v51, 3, v40
	v_sub_u32_e32 v57, 29, v57
	v_and_b32_e32 v59, 7, v60
	v_cmp_gt_u32_e32 vcc, 8, v40
	v_cndmask_b32_e32 v40, v51, v57, vcc
	v_cndmask_b32_e32 v42, v42, v59, vcc
	v_lshlrev_b32_e32 v51, 24, v38
	v_lshlrev_b32_e32 v42, 20, v42
	v_and_b32_e32 v51, 0x80000000, v51
	v_lshl_add_u32 v40, v40, 23, v55
	v_or3_b32 v40, v51, v40, v42
	v_lshrrev_b32_e32 v57, 16, v40
.LBB898_483:                            ;   in Loop: Header=BB898_215 Depth=1
	s_or_b64 exec, exec, s[18:19]
.LBB898_484:                            ;   in Loop: Header=BB898_215 Depth=1
	s_or_b64 exec, exec, s[16:17]
.LBB898_485:                            ;   in Loop: Header=BB898_215 Depth=1
	s_or_b64 exec, exec, s[14:15]
	v_lshrrev_b16_e32 v40, 8, v38
	v_cmp_ne_u16_e32 vcc, 0, v40
	v_mov_b32_e32 v60, 0
	v_mov_b32_e32 v59, 0
	s_and_saveexec_b64 s[14:15], vcc
	s_cbranch_execz .LBB898_491
; %bb.486:                              ;   in Loop: Header=BB898_215 Depth=1
	v_cmp_ne_u16_e32 vcc, s9, v40
	v_mov_b32_e32 v59, 0xffff8000
	s_and_saveexec_b64 s[16:17], vcc
	s_cbranch_execz .LBB898_490
; %bb.487:                              ;   in Loop: Header=BB898_215 Depth=1
	v_and_b32_e32 v42, 0x7f, v40
	v_cmp_ne_u32_e32 vcc, s23, v42
	v_mov_b32_e32 v59, 0x7f80
	s_and_saveexec_b64 s[18:19], vcc
	s_cbranch_execz .LBB898_489
; %bb.488:                              ;   in Loop: Header=BB898_215 Depth=1
	v_and_b32_e32 v51, 7, v40
	v_ffbh_u32_e32 v61, v51
	v_min_u32_e32 v61, 32, v61
	v_subrev_u32_e32 v62, 28, v61
	v_lshlrev_b64 v[62:63], v62, v[40:41]
	v_lshrrev_b32_e32 v59, 3, v42
	v_sub_u32_e32 v40, 29, v61
	v_and_b32_e32 v61, 7, v62
	v_cmp_gt_u32_e32 vcc, 8, v42
	v_cndmask_b32_e32 v40, v59, v40, vcc
	v_cndmask_b32_e32 v42, v51, v61, vcc
	v_lshlrev_b32_e32 v51, 16, v38
	v_lshlrev_b32_e32 v42, 20, v42
	v_and_b32_e32 v51, 0x80000000, v51
	v_lshl_add_u32 v40, v40, 23, v55
	v_or3_b32 v40, v51, v40, v42
	v_lshrrev_b32_e32 v59, 16, v40
.LBB898_489:                            ;   in Loop: Header=BB898_215 Depth=1
	s_or_b64 exec, exec, s[18:19]
.LBB898_490:                            ;   in Loop: Header=BB898_215 Depth=1
	s_or_b64 exec, exec, s[16:17]
.LBB898_491:                            ;   in Loop: Header=BB898_215 Depth=1
	s_or_b64 exec, exec, s[14:15]
	v_lshrrev_b32_e32 v40, 16, v38
	v_cmp_ne_u16_sdwa s[16:17], v40, v54 src0_sel:BYTE_0 src1_sel:DWORD
	s_and_saveexec_b64 s[14:15], s[16:17]
	s_cbranch_execz .LBB898_497
; %bb.492:                              ;   in Loop: Header=BB898_215 Depth=1
	v_cmp_ne_u16_sdwa s[18:19], v40, s9 src0_sel:BYTE_0 src1_sel:DWORD
	v_mov_b32_e32 v60, 0xffff8000
	s_and_saveexec_b64 s[16:17], s[18:19]
	s_cbranch_execz .LBB898_496
; %bb.493:                              ;   in Loop: Header=BB898_215 Depth=1
	v_bfe_u32 v42, v38, 16, 7
	v_cmp_ne_u32_e32 vcc, s23, v42
	v_mov_b32_e32 v60, 0x7f80
	s_and_saveexec_b64 s[18:19], vcc
	s_cbranch_execz .LBB898_495
; %bb.494:                              ;   in Loop: Header=BB898_215 Depth=1
	v_and_b32_e32 v51, 7, v40
	v_ffbh_u32_e32 v60, v51
	v_min_u32_e32 v63, 32, v60
	v_subrev_u32_e32 v60, 28, v63
	v_lshlrev_b64 v[60:61], v60, v[40:41]
	v_lshrrev_b32_e32 v62, 3, v42
	v_sub_u32_e32 v61, 29, v63
	v_and_b32_e32 v60, 7, v60
	v_cmp_gt_u32_e32 vcc, 8, v42
	v_cndmask_b32_e32 v42, v62, v61, vcc
	v_cndmask_b32_e32 v51, v51, v60, vcc
	v_lshlrev_b32_e32 v40, 24, v40
	v_lshlrev_b32_e32 v51, 20, v51
	v_and_b32_e32 v40, 0x80000000, v40
	v_lshl_add_u32 v42, v42, 23, v55
	v_or3_b32 v40, v40, v42, v51
	v_lshrrev_b32_e32 v60, 16, v40
.LBB898_495:                            ;   in Loop: Header=BB898_215 Depth=1
	s_or_b64 exec, exec, s[18:19]
.LBB898_496:                            ;   in Loop: Header=BB898_215 Depth=1
	s_or_b64 exec, exec, s[16:17]
.LBB898_497:                            ;   in Loop: Header=BB898_215 Depth=1
	s_or_b64 exec, exec, s[14:15]
	v_cmp_lt_u32_e32 vcc, s24, v38
	v_mov_b32_e32 v51, 0
	v_mov_b32_e32 v61, 0
	s_and_saveexec_b64 s[14:15], vcc
	s_cbranch_execz .LBB898_503
; %bb.498:                              ;   in Loop: Header=BB898_215 Depth=1
	v_lshrrev_b32_e32 v40, 24, v38
	v_cmp_ne_u32_e32 vcc, s9, v40
	v_mov_b32_e32 v61, 0xffff8000
	s_and_saveexec_b64 s[16:17], vcc
	s_cbranch_execz .LBB898_502
; %bb.499:                              ;   in Loop: Header=BB898_215 Depth=1
	v_bfe_u32 v38, v38, 24, 7
	v_cmp_ne_u32_e32 vcc, s23, v38
	v_mov_b32_e32 v61, 0x7f80
	s_and_saveexec_b64 s[18:19], vcc
	s_cbranch_execz .LBB898_501
; %bb.500:                              ;   in Loop: Header=BB898_215 Depth=1
	v_and_b32_e32 v42, 7, v40
	v_ffbh_u32_e32 v62, v42
	v_min_u32_e32 v64, 32, v62
	v_subrev_u32_e32 v62, 28, v64
	v_lshlrev_b64 v[62:63], v62, v[40:41]
	v_lshrrev_b32_e32 v61, 3, v38
	v_sub_u32_e32 v63, 29, v64
	v_and_b32_e32 v62, 7, v62
	v_cmp_gt_u32_e32 vcc, 8, v38
	v_cndmask_b32_e32 v38, v61, v63, vcc
	v_cndmask_b32_e32 v42, v42, v62, vcc
	v_lshlrev_b32_e32 v40, 24, v40
	v_lshlrev_b32_e32 v42, 20, v42
	v_and_b32_e32 v40, 0x80000000, v40
	v_lshl_add_u32 v38, v38, 23, v55
	v_or3_b32 v38, v40, v38, v42
	v_lshrrev_b32_e32 v61, 16, v38
.LBB898_501:                            ;   in Loop: Header=BB898_215 Depth=1
	s_or_b64 exec, exec, s[18:19]
.LBB898_502:                            ;   in Loop: Header=BB898_215 Depth=1
	s_or_b64 exec, exec, s[16:17]
.LBB898_503:                            ;   in Loop: Header=BB898_215 Depth=1
	s_or_b64 exec, exec, s[14:15]
	v_perm_b32 v62, v44, v46, s25
	buffer_load_dword v44, v50, s[0:3], 0 offen
	buffer_load_dword v42, v50, s[0:3], 0 offen offset:4
	buffer_load_dword v40, v50, s[0:3], 0 offen offset:8
	buffer_load_dword v38, v50, s[0:3], 0 offen offset:12
	v_perm_b32 v63, v58, v56, s25
	v_perm_b32 v61, v61, v60, s25
	;; [unrolled: 1-line block ×3, first 2 shown]
	v_mfma_f32_16x16x16bf16_1k v[34:37], v[62:63], v[22:23], v[34:37]
	s_waitcnt vmcnt(3)
	v_cmp_ne_u16_sdwa s[16:17], v44, v54 src0_sel:BYTE_0 src1_sel:DWORD
	v_mfma_f32_16x16x16bf16_1k v[34:37], v[60:61], v[24:25], v[34:37]
	s_and_saveexec_b64 s[14:15], s[16:17]
	s_cbranch_execz .LBB898_509
; %bb.504:                              ;   in Loop: Header=BB898_215 Depth=1
	v_cmp_ne_u16_sdwa s[18:19], v44, s9 src0_sel:BYTE_0 src1_sel:DWORD
	v_mov_b32_e32 v51, 0xffff8000
	s_and_saveexec_b64 s[16:17], s[18:19]
	s_cbranch_execz .LBB898_508
; %bb.505:                              ;   in Loop: Header=BB898_215 Depth=1
	v_and_b32_e32 v46, 0x7f, v44
	v_cmp_ne_u32_e32 vcc, s23, v46
	v_mov_b32_e32 v51, 0x7f80
	s_and_saveexec_b64 s[18:19], vcc
	s_cbranch_execz .LBB898_507
; %bb.506:                              ;   in Loop: Header=BB898_215 Depth=1
	v_and_b32_e32 v56, 7, v44
	v_ffbh_u32_e32 v50, v56
	v_min_u32_e32 v58, 32, v50
	v_subrev_u32_e32 v50, 28, v58
	v_lshlrev_b64 v[50:51], v50, v[44:45]
	v_lshrrev_b32_e32 v57, 3, v46
	v_sub_u32_e32 v51, 29, v58
	v_and_b32_e32 v50, 7, v50
	v_cmp_gt_u32_e32 vcc, 8, v46
	v_cndmask_b32_e32 v46, v57, v51, vcc
	v_cndmask_b32_e32 v50, v56, v50, vcc
	v_lshlrev_b32_e32 v51, 24, v44
	v_lshlrev_b32_e32 v50, 20, v50
	v_and_b32_e32 v51, 0x80000000, v51
	v_lshl_add_u32 v46, v46, 23, v55
	v_or3_b32 v46, v51, v46, v50
	v_lshrrev_b32_e32 v51, 16, v46
.LBB898_507:                            ;   in Loop: Header=BB898_215 Depth=1
	s_or_b64 exec, exec, s[18:19]
.LBB898_508:                            ;   in Loop: Header=BB898_215 Depth=1
	s_or_b64 exec, exec, s[16:17]
.LBB898_509:                            ;   in Loop: Header=BB898_215 Depth=1
	s_or_b64 exec, exec, s[14:15]
	v_lshrrev_b16_e32 v46, 8, v44
	v_cmp_ne_u16_e32 vcc, 0, v46
	v_mov_b32_e32 v56, 0
	v_mov_b32_e32 v50, 0
	s_and_saveexec_b64 s[14:15], vcc
	s_cbranch_execz .LBB898_515
; %bb.510:                              ;   in Loop: Header=BB898_215 Depth=1
	v_cmp_ne_u16_e32 vcc, s9, v46
	v_mov_b32_e32 v50, 0xffff8000
	s_and_saveexec_b64 s[16:17], vcc
	s_cbranch_execz .LBB898_514
; %bb.511:                              ;   in Loop: Header=BB898_215 Depth=1
	v_and_b32_e32 v57, 0x7f, v46
	v_cmp_ne_u32_e32 vcc, s23, v57
	v_mov_b32_e32 v50, 0x7f80
	s_and_saveexec_b64 s[18:19], vcc
	s_cbranch_execz .LBB898_513
; %bb.512:                              ;   in Loop: Header=BB898_215 Depth=1
	v_and_b32_e32 v50, 7, v46
	v_ffbh_u32_e32 v58, v50
	v_min_u32_e32 v61, 32, v58
	v_subrev_u32_e32 v58, 28, v61
	v_lshlrev_b64 v[58:59], v58, v[46:47]
	v_lshrrev_b32_e32 v60, 3, v57
	v_sub_u32_e32 v46, 29, v61
	v_and_b32_e32 v58, 7, v58
	v_cmp_gt_u32_e32 vcc, 8, v57
	v_cndmask_b32_e32 v46, v60, v46, vcc
	v_cndmask_b32_e32 v50, v50, v58, vcc
	v_lshlrev_b32_e32 v57, 16, v44
	v_lshlrev_b32_e32 v50, 20, v50
	v_and_b32_e32 v57, 0x80000000, v57
	v_lshl_add_u32 v46, v46, 23, v55
	v_or3_b32 v46, v57, v46, v50
	v_lshrrev_b32_e32 v50, 16, v46
.LBB898_513:                            ;   in Loop: Header=BB898_215 Depth=1
	s_or_b64 exec, exec, s[18:19]
.LBB898_514:                            ;   in Loop: Header=BB898_215 Depth=1
	s_or_b64 exec, exec, s[16:17]
.LBB898_515:                            ;   in Loop: Header=BB898_215 Depth=1
	s_or_b64 exec, exec, s[14:15]
	v_lshrrev_b32_e32 v46, 16, v44
	v_cmp_ne_u16_sdwa s[16:17], v46, v54 src0_sel:BYTE_0 src1_sel:DWORD
	s_and_saveexec_b64 s[14:15], s[16:17]
	s_cbranch_execz .LBB898_521
; %bb.516:                              ;   in Loop: Header=BB898_215 Depth=1
	v_cmp_ne_u16_sdwa s[18:19], v46, s9 src0_sel:BYTE_0 src1_sel:DWORD
	v_mov_b32_e32 v56, 0xffff8000
	s_and_saveexec_b64 s[16:17], s[18:19]
	s_cbranch_execz .LBB898_520
; %bb.517:                              ;   in Loop: Header=BB898_215 Depth=1
	v_bfe_u32 v57, v44, 16, 7
	v_cmp_ne_u32_e32 vcc, s23, v57
	v_mov_b32_e32 v56, 0x7f80
	s_and_saveexec_b64 s[18:19], vcc
	s_cbranch_execz .LBB898_519
; %bb.518:                              ;   in Loop: Header=BB898_215 Depth=1
	v_and_b32_e32 v56, 7, v46
	v_ffbh_u32_e32 v58, v56
	v_min_u32_e32 v61, 32, v58
	v_subrev_u32_e32 v58, 28, v61
	v_lshlrev_b64 v[58:59], v58, v[46:47]
	v_lshrrev_b32_e32 v60, 3, v57
	v_sub_u32_e32 v59, 29, v61
	v_and_b32_e32 v58, 7, v58
	v_cmp_gt_u32_e32 vcc, 8, v57
	v_cndmask_b32_e32 v57, v60, v59, vcc
	v_cndmask_b32_e32 v56, v56, v58, vcc
	v_lshlrev_b32_e32 v46, 24, v46
	v_lshlrev_b32_e32 v56, 20, v56
	v_and_b32_e32 v46, 0x80000000, v46
	v_lshl_add_u32 v57, v57, 23, v55
	v_or3_b32 v46, v46, v57, v56
	v_lshrrev_b32_e32 v56, 16, v46
.LBB898_519:                            ;   in Loop: Header=BB898_215 Depth=1
	s_or_b64 exec, exec, s[18:19]
.LBB898_520:                            ;   in Loop: Header=BB898_215 Depth=1
	s_or_b64 exec, exec, s[16:17]
.LBB898_521:                            ;   in Loop: Header=BB898_215 Depth=1
	s_or_b64 exec, exec, s[14:15]
	v_cmp_lt_u32_e32 vcc, s24, v44
	v_mov_b32_e32 v57, 0
	v_mov_b32_e32 v58, 0
	s_and_saveexec_b64 s[14:15], vcc
	s_cbranch_execz .LBB898_527
; %bb.522:                              ;   in Loop: Header=BB898_215 Depth=1
	v_lshrrev_b32_e32 v46, 24, v44
	v_cmp_ne_u32_e32 vcc, s9, v46
	v_mov_b32_e32 v58, 0xffff8000
	s_and_saveexec_b64 s[16:17], vcc
	s_cbranch_execz .LBB898_526
; %bb.523:                              ;   in Loop: Header=BB898_215 Depth=1
	v_bfe_u32 v44, v44, 24, 7
	v_cmp_ne_u32_e32 vcc, s23, v44
	v_mov_b32_e32 v58, 0x7f80
	s_and_saveexec_b64 s[18:19], vcc
	s_cbranch_execz .LBB898_525
; %bb.524:                              ;   in Loop: Header=BB898_215 Depth=1
	v_and_b32_e32 v60, 7, v46
	v_ffbh_u32_e32 v58, v60
	v_min_u32_e32 v62, 32, v58
	v_subrev_u32_e32 v58, 28, v62
	v_lshlrev_b64 v[58:59], v58, v[46:47]
	v_lshrrev_b32_e32 v61, 3, v44
	v_sub_u32_e32 v59, 29, v62
	v_and_b32_e32 v58, 7, v58
	v_cmp_gt_u32_e32 vcc, 8, v44
	v_cndmask_b32_e32 v44, v61, v59, vcc
	v_cndmask_b32_e32 v58, v60, v58, vcc
	v_lshlrev_b32_e32 v46, 24, v46
	v_lshlrev_b32_e32 v58, 20, v58
	v_and_b32_e32 v46, 0x80000000, v46
	v_lshl_add_u32 v44, v44, 23, v55
	v_or3_b32 v44, v46, v44, v58
	v_lshrrev_b32_e32 v58, 16, v44
.LBB898_525:                            ;   in Loop: Header=BB898_215 Depth=1
	s_or_b64 exec, exec, s[18:19]
.LBB898_526:                            ;   in Loop: Header=BB898_215 Depth=1
	s_or_b64 exec, exec, s[16:17]
.LBB898_527:                            ;   in Loop: Header=BB898_215 Depth=1
	s_or_b64 exec, exec, s[14:15]
	s_waitcnt vmcnt(2)
	v_cmp_ne_u16_sdwa s[16:17], v42, v54 src0_sel:BYTE_0 src1_sel:DWORD
	s_and_saveexec_b64 s[14:15], s[16:17]
	s_cbranch_execz .LBB898_533
; %bb.528:                              ;   in Loop: Header=BB898_215 Depth=1
	v_cmp_ne_u16_sdwa s[18:19], v42, s9 src0_sel:BYTE_0 src1_sel:DWORD
	v_mov_b32_e32 v57, 0xffff8000
	s_and_saveexec_b64 s[16:17], s[18:19]
	s_cbranch_execz .LBB898_532
; %bb.529:                              ;   in Loop: Header=BB898_215 Depth=1
	v_and_b32_e32 v44, 0x7f, v42
	v_cmp_ne_u32_e32 vcc, s23, v44
	v_mov_b32_e32 v57, 0x7f80
	s_and_saveexec_b64 s[18:19], vcc
	s_cbranch_execz .LBB898_531
; %bb.530:                              ;   in Loop: Header=BB898_215 Depth=1
	v_and_b32_e32 v46, 7, v42
	v_ffbh_u32_e32 v59, v46
	v_min_u32_e32 v59, 32, v59
	v_subrev_u32_e32 v60, 28, v59
	v_lshlrev_b64 v[60:61], v60, v[42:43]
	v_lshrrev_b32_e32 v57, 3, v44
	v_sub_u32_e32 v59, 29, v59
	v_and_b32_e32 v60, 7, v60
	v_cmp_gt_u32_e32 vcc, 8, v44
	v_cndmask_b32_e32 v44, v57, v59, vcc
	v_cndmask_b32_e32 v46, v46, v60, vcc
	v_lshlrev_b32_e32 v57, 24, v42
	v_lshlrev_b32_e32 v46, 20, v46
	v_and_b32_e32 v57, 0x80000000, v57
	v_lshl_add_u32 v44, v44, 23, v55
	v_or3_b32 v44, v57, v44, v46
	v_lshrrev_b32_e32 v57, 16, v44
.LBB898_531:                            ;   in Loop: Header=BB898_215 Depth=1
	s_or_b64 exec, exec, s[18:19]
.LBB898_532:                            ;   in Loop: Header=BB898_215 Depth=1
	s_or_b64 exec, exec, s[16:17]
.LBB898_533:                            ;   in Loop: Header=BB898_215 Depth=1
	s_or_b64 exec, exec, s[14:15]
	v_lshrrev_b16_e32 v44, 8, v42
	v_cmp_ne_u16_e32 vcc, 0, v44
	v_mov_b32_e32 v60, 0
	v_mov_b32_e32 v59, 0
	s_and_saveexec_b64 s[14:15], vcc
	s_cbranch_execz .LBB898_539
; %bb.534:                              ;   in Loop: Header=BB898_215 Depth=1
	v_cmp_ne_u16_e32 vcc, s9, v44
	v_mov_b32_e32 v59, 0xffff8000
	s_and_saveexec_b64 s[16:17], vcc
	s_cbranch_execz .LBB898_538
; %bb.535:                              ;   in Loop: Header=BB898_215 Depth=1
	v_and_b32_e32 v46, 0x7f, v44
	v_cmp_ne_u32_e32 vcc, s23, v46
	v_mov_b32_e32 v59, 0x7f80
	s_and_saveexec_b64 s[18:19], vcc
	s_cbranch_execz .LBB898_537
; %bb.536:                              ;   in Loop: Header=BB898_215 Depth=1
	v_and_b32_e32 v59, 7, v44
	v_ffbh_u32_e32 v62, v59
	v_min_u32_e32 v64, 32, v62
	v_subrev_u32_e32 v62, 28, v64
	v_lshlrev_b64 v[62:63], v62, v[44:45]
	v_lshrrev_b32_e32 v61, 3, v46
	v_sub_u32_e32 v44, 29, v64
	v_and_b32_e32 v62, 7, v62
	v_cmp_gt_u32_e32 vcc, 8, v46
	v_cndmask_b32_e32 v44, v61, v44, vcc
	v_cndmask_b32_e32 v46, v59, v62, vcc
	v_lshlrev_b32_e32 v59, 16, v42
	v_lshlrev_b32_e32 v46, 20, v46
	v_and_b32_e32 v59, 0x80000000, v59
	v_lshl_add_u32 v44, v44, 23, v55
	v_or3_b32 v44, v59, v44, v46
	v_lshrrev_b32_e32 v59, 16, v44
.LBB898_537:                            ;   in Loop: Header=BB898_215 Depth=1
	s_or_b64 exec, exec, s[18:19]
.LBB898_538:                            ;   in Loop: Header=BB898_215 Depth=1
	s_or_b64 exec, exec, s[16:17]
.LBB898_539:                            ;   in Loop: Header=BB898_215 Depth=1
	s_or_b64 exec, exec, s[14:15]
	v_lshrrev_b32_e32 v44, 16, v42
	v_cmp_ne_u16_sdwa s[16:17], v44, v54 src0_sel:BYTE_0 src1_sel:DWORD
	s_and_saveexec_b64 s[14:15], s[16:17]
	s_cbranch_execz .LBB898_545
; %bb.540:                              ;   in Loop: Header=BB898_215 Depth=1
	v_cmp_ne_u16_sdwa s[18:19], v44, s9 src0_sel:BYTE_0 src1_sel:DWORD
	v_mov_b32_e32 v60, 0xffff8000
	s_and_saveexec_b64 s[16:17], s[18:19]
	s_cbranch_execz .LBB898_544
; %bb.541:                              ;   in Loop: Header=BB898_215 Depth=1
	v_bfe_u32 v46, v42, 16, 7
	v_cmp_ne_u32_e32 vcc, s23, v46
	v_mov_b32_e32 v60, 0x7f80
	s_and_saveexec_b64 s[18:19], vcc
	s_cbranch_execz .LBB898_543
; %bb.542:                              ;   in Loop: Header=BB898_215 Depth=1
	v_and_b32_e32 v62, 7, v44
	v_ffbh_u32_e32 v60, v62
	v_min_u32_e32 v64, 32, v60
	v_subrev_u32_e32 v60, 28, v64
	v_lshlrev_b64 v[60:61], v60, v[44:45]
	v_lshrrev_b32_e32 v63, 3, v46
	v_sub_u32_e32 v61, 29, v64
	v_and_b32_e32 v60, 7, v60
	v_cmp_gt_u32_e32 vcc, 8, v46
	v_cndmask_b32_e32 v46, v63, v61, vcc
	v_cndmask_b32_e32 v60, v62, v60, vcc
	v_lshlrev_b32_e32 v44, 24, v44
	v_lshlrev_b32_e32 v60, 20, v60
	v_and_b32_e32 v44, 0x80000000, v44
	v_lshl_add_u32 v46, v46, 23, v55
	v_or3_b32 v44, v44, v46, v60
	v_lshrrev_b32_e32 v60, 16, v44
.LBB898_543:                            ;   in Loop: Header=BB898_215 Depth=1
	s_or_b64 exec, exec, s[18:19]
.LBB898_544:                            ;   in Loop: Header=BB898_215 Depth=1
	s_or_b64 exec, exec, s[16:17]
.LBB898_545:                            ;   in Loop: Header=BB898_215 Depth=1
	s_or_b64 exec, exec, s[14:15]
	v_cmp_lt_u32_e32 vcc, s24, v42
	v_mov_b32_e32 v46, 0
	v_mov_b32_e32 v61, 0
	s_and_saveexec_b64 s[14:15], vcc
	s_cbranch_execz .LBB898_551
; %bb.546:                              ;   in Loop: Header=BB898_215 Depth=1
	v_lshrrev_b32_e32 v44, 24, v42
	v_cmp_ne_u32_e32 vcc, s9, v44
	v_mov_b32_e32 v61, 0xffff8000
	s_and_saveexec_b64 s[16:17], vcc
	s_cbranch_execz .LBB898_550
; %bb.547:                              ;   in Loop: Header=BB898_215 Depth=1
	v_bfe_u32 v42, v42, 24, 7
	v_cmp_ne_u32_e32 vcc, s23, v42
	v_mov_b32_e32 v61, 0x7f80
	s_and_saveexec_b64 s[18:19], vcc
	s_cbranch_execz .LBB898_549
; %bb.548:                              ;   in Loop: Header=BB898_215 Depth=1
	v_and_b32_e32 v61, 7, v44
	v_ffbh_u32_e32 v62, v61
	v_min_u32_e32 v65, 32, v62
	v_subrev_u32_e32 v62, 28, v65
	v_lshlrev_b64 v[62:63], v62, v[44:45]
	v_lshrrev_b32_e32 v64, 3, v42
	v_sub_u32_e32 v63, 29, v65
	v_and_b32_e32 v62, 7, v62
	v_cmp_gt_u32_e32 vcc, 8, v42
	v_cndmask_b32_e32 v42, v64, v63, vcc
	v_cndmask_b32_e32 v61, v61, v62, vcc
	v_lshlrev_b32_e32 v44, 24, v44
	v_lshlrev_b32_e32 v61, 20, v61
	v_and_b32_e32 v44, 0x80000000, v44
	v_lshl_add_u32 v42, v42, 23, v55
	v_or3_b32 v42, v44, v42, v61
	v_lshrrev_b32_e32 v61, 16, v42
.LBB898_549:                            ;   in Loop: Header=BB898_215 Depth=1
	s_or_b64 exec, exec, s[18:19]
.LBB898_550:                            ;   in Loop: Header=BB898_215 Depth=1
	s_or_b64 exec, exec, s[16:17]
.LBB898_551:                            ;   in Loop: Header=BB898_215 Depth=1
	s_or_b64 exec, exec, s[14:15]
	v_perm_b32 v63, v58, v56, s25
	v_perm_b32 v62, v50, v51, s25
	;; [unrolled: 1-line block ×4, first 2 shown]
	s_waitcnt vmcnt(1)
	v_cmp_ne_u16_sdwa s[16:17], v40, v54 src0_sel:BYTE_0 src1_sel:DWORD
	v_mfma_f32_16x16x16bf16_1k v[34:37], v[62:63], v[26:27], v[34:37]
	v_mfma_f32_16x16x16bf16_1k v[34:37], v[50:51], v[28:29], v[34:37]
	s_and_saveexec_b64 s[14:15], s[16:17]
	s_cbranch_execz .LBB898_557
; %bb.552:                              ;   in Loop: Header=BB898_215 Depth=1
	v_cmp_ne_u16_sdwa s[18:19], v40, s9 src0_sel:BYTE_0 src1_sel:DWORD
	v_mov_b32_e32 v46, 0xffff8000
	s_and_saveexec_b64 s[16:17], s[18:19]
	s_cbranch_execz .LBB898_556
; %bb.553:                              ;   in Loop: Header=BB898_215 Depth=1
	v_and_b32_e32 v42, 0x7f, v40
	v_cmp_ne_u32_e32 vcc, s23, v42
	v_mov_b32_e32 v46, 0x7f80
	s_and_saveexec_b64 s[18:19], vcc
	s_cbranch_execz .LBB898_555
; %bb.554:                              ;   in Loop: Header=BB898_215 Depth=1
	v_and_b32_e32 v44, 7, v40
	v_ffbh_u32_e32 v50, v44
	v_min_u32_e32 v56, 32, v50
	v_subrev_u32_e32 v50, 28, v56
	v_lshlrev_b64 v[50:51], v50, v[40:41]
	v_lshrrev_b32_e32 v46, 3, v42
	v_sub_u32_e32 v51, 29, v56
	v_and_b32_e32 v50, 7, v50
	v_cmp_gt_u32_e32 vcc, 8, v42
	v_cndmask_b32_e32 v42, v46, v51, vcc
	v_cndmask_b32_e32 v44, v44, v50, vcc
	v_lshlrev_b32_e32 v46, 24, v40
	v_lshlrev_b32_e32 v44, 20, v44
	v_and_b32_e32 v46, 0x80000000, v46
	v_lshl_add_u32 v42, v42, 23, v55
	v_or3_b32 v42, v46, v42, v44
	v_lshrrev_b32_e32 v46, 16, v42
.LBB898_555:                            ;   in Loop: Header=BB898_215 Depth=1
	s_or_b64 exec, exec, s[18:19]
.LBB898_556:                            ;   in Loop: Header=BB898_215 Depth=1
	s_or_b64 exec, exec, s[16:17]
.LBB898_557:                            ;   in Loop: Header=BB898_215 Depth=1
	s_or_b64 exec, exec, s[14:15]
	v_lshrrev_b16_e32 v42, 8, v40
	v_cmp_ne_u16_e32 vcc, 0, v42
	v_mov_b32_e32 v50, 0
	v_mov_b32_e32 v44, 0
	s_and_saveexec_b64 s[14:15], vcc
	s_cbranch_execz .LBB898_563
; %bb.558:                              ;   in Loop: Header=BB898_215 Depth=1
	v_cmp_ne_u16_e32 vcc, s9, v42
	v_mov_b32_e32 v44, 0xffff8000
	s_and_saveexec_b64 s[16:17], vcc
	s_cbranch_execz .LBB898_562
; %bb.559:                              ;   in Loop: Header=BB898_215 Depth=1
	v_and_b32_e32 v51, 0x7f, v42
	v_cmp_ne_u32_e32 vcc, s23, v51
	v_mov_b32_e32 v44, 0x7f80
	s_and_saveexec_b64 s[18:19], vcc
	s_cbranch_execz .LBB898_561
; %bb.560:                              ;   in Loop: Header=BB898_215 Depth=1
	v_and_b32_e32 v44, 7, v42
	v_ffbh_u32_e32 v56, v44
	v_min_u32_e32 v59, 32, v56
	v_subrev_u32_e32 v56, 28, v59
	v_lshlrev_b64 v[56:57], v56, v[42:43]
	v_lshrrev_b32_e32 v58, 3, v51
	v_sub_u32_e32 v42, 29, v59
	v_and_b32_e32 v56, 7, v56
	v_cmp_gt_u32_e32 vcc, 8, v51
	v_cndmask_b32_e32 v42, v58, v42, vcc
	v_cndmask_b32_e32 v44, v44, v56, vcc
	v_lshlrev_b32_e32 v51, 16, v40
	v_lshlrev_b32_e32 v44, 20, v44
	v_and_b32_e32 v51, 0x80000000, v51
	v_lshl_add_u32 v42, v42, 23, v55
	v_or3_b32 v42, v51, v42, v44
	v_lshrrev_b32_e32 v44, 16, v42
.LBB898_561:                            ;   in Loop: Header=BB898_215 Depth=1
	s_or_b64 exec, exec, s[18:19]
.LBB898_562:                            ;   in Loop: Header=BB898_215 Depth=1
	s_or_b64 exec, exec, s[16:17]
.LBB898_563:                            ;   in Loop: Header=BB898_215 Depth=1
	s_or_b64 exec, exec, s[14:15]
	v_lshrrev_b32_e32 v42, 16, v40
	v_cmp_ne_u16_sdwa s[16:17], v42, v54 src0_sel:BYTE_0 src1_sel:DWORD
	s_and_saveexec_b64 s[14:15], s[16:17]
	s_cbranch_execz .LBB898_569
; %bb.564:                              ;   in Loop: Header=BB898_215 Depth=1
	v_cmp_ne_u16_sdwa s[18:19], v42, s9 src0_sel:BYTE_0 src1_sel:DWORD
	v_mov_b32_e32 v50, 0xffff8000
	s_and_saveexec_b64 s[16:17], s[18:19]
	s_cbranch_execz .LBB898_568
; %bb.565:                              ;   in Loop: Header=BB898_215 Depth=1
	v_bfe_u32 v51, v40, 16, 7
	v_cmp_ne_u32_e32 vcc, s23, v51
	v_mov_b32_e32 v50, 0x7f80
	s_and_saveexec_b64 s[18:19], vcc
	s_cbranch_execz .LBB898_567
; %bb.566:                              ;   in Loop: Header=BB898_215 Depth=1
	v_and_b32_e32 v50, 7, v42
	v_ffbh_u32_e32 v56, v50
	v_min_u32_e32 v59, 32, v56
	v_subrev_u32_e32 v56, 28, v59
	v_lshlrev_b64 v[56:57], v56, v[42:43]
	v_lshrrev_b32_e32 v58, 3, v51
	v_sub_u32_e32 v57, 29, v59
	v_and_b32_e32 v56, 7, v56
	v_cmp_gt_u32_e32 vcc, 8, v51
	v_cndmask_b32_e32 v51, v58, v57, vcc
	v_cndmask_b32_e32 v50, v50, v56, vcc
	v_lshlrev_b32_e32 v42, 24, v42
	v_lshlrev_b32_e32 v50, 20, v50
	v_and_b32_e32 v42, 0x80000000, v42
	v_lshl_add_u32 v51, v51, 23, v55
	v_or3_b32 v42, v42, v51, v50
	v_lshrrev_b32_e32 v50, 16, v42
.LBB898_567:                            ;   in Loop: Header=BB898_215 Depth=1
	s_or_b64 exec, exec, s[18:19]
.LBB898_568:                            ;   in Loop: Header=BB898_215 Depth=1
	s_or_b64 exec, exec, s[16:17]
.LBB898_569:                            ;   in Loop: Header=BB898_215 Depth=1
	s_or_b64 exec, exec, s[14:15]
	v_cmp_lt_u32_e32 vcc, s24, v40
	v_mov_b32_e32 v51, 0
	v_mov_b32_e32 v56, 0
	s_and_saveexec_b64 s[14:15], vcc
	s_cbranch_execz .LBB898_575
; %bb.570:                              ;   in Loop: Header=BB898_215 Depth=1
	v_lshrrev_b32_e32 v42, 24, v40
	v_cmp_ne_u32_e32 vcc, s9, v42
	v_mov_b32_e32 v56, 0xffff8000
	s_and_saveexec_b64 s[16:17], vcc
	s_cbranch_execz .LBB898_574
; %bb.571:                              ;   in Loop: Header=BB898_215 Depth=1
	v_bfe_u32 v40, v40, 24, 7
	v_cmp_ne_u32_e32 vcc, s23, v40
	v_mov_b32_e32 v56, 0x7f80
	s_and_saveexec_b64 s[18:19], vcc
	s_cbranch_execz .LBB898_573
; %bb.572:                              ;   in Loop: Header=BB898_215 Depth=1
	v_and_b32_e32 v58, 7, v42
	v_ffbh_u32_e32 v56, v58
	v_min_u32_e32 v60, 32, v56
	v_subrev_u32_e32 v56, 28, v60
	v_lshlrev_b64 v[56:57], v56, v[42:43]
	v_lshrrev_b32_e32 v59, 3, v40
	v_sub_u32_e32 v57, 29, v60
	v_and_b32_e32 v56, 7, v56
	v_cmp_gt_u32_e32 vcc, 8, v40
	v_cndmask_b32_e32 v40, v59, v57, vcc
	v_cndmask_b32_e32 v56, v58, v56, vcc
	v_lshlrev_b32_e32 v42, 24, v42
	v_lshlrev_b32_e32 v56, 20, v56
	v_and_b32_e32 v42, 0x80000000, v42
	v_lshl_add_u32 v40, v40, 23, v55
	v_or3_b32 v40, v42, v40, v56
	v_lshrrev_b32_e32 v56, 16, v40
.LBB898_573:                            ;   in Loop: Header=BB898_215 Depth=1
	s_or_b64 exec, exec, s[18:19]
.LBB898_574:                            ;   in Loop: Header=BB898_215 Depth=1
	s_or_b64 exec, exec, s[16:17]
.LBB898_575:                            ;   in Loop: Header=BB898_215 Depth=1
	s_or_b64 exec, exec, s[14:15]
	s_waitcnt vmcnt(0)
	v_cmp_ne_u16_sdwa s[16:17], v38, v54 src0_sel:BYTE_0 src1_sel:DWORD
	s_and_saveexec_b64 s[14:15], s[16:17]
	s_cbranch_execz .LBB898_581
; %bb.576:                              ;   in Loop: Header=BB898_215 Depth=1
	v_cmp_ne_u16_sdwa s[18:19], v38, s9 src0_sel:BYTE_0 src1_sel:DWORD
	v_mov_b32_e32 v51, 0xffff8000
	s_and_saveexec_b64 s[16:17], s[18:19]
	s_cbranch_execz .LBB898_580
; %bb.577:                              ;   in Loop: Header=BB898_215 Depth=1
	v_and_b32_e32 v40, 0x7f, v38
	v_cmp_ne_u32_e32 vcc, s23, v40
	v_mov_b32_e32 v51, 0x7f80
	s_and_saveexec_b64 s[18:19], vcc
	s_cbranch_execz .LBB898_579
; %bb.578:                              ;   in Loop: Header=BB898_215 Depth=1
	v_and_b32_e32 v42, 7, v38
	v_ffbh_u32_e32 v57, v42
	v_min_u32_e32 v57, 32, v57
	v_subrev_u32_e32 v58, 28, v57
	v_lshlrev_b64 v[58:59], v58, v[38:39]
	v_lshrrev_b32_e32 v51, 3, v40
	v_sub_u32_e32 v57, 29, v57
	v_and_b32_e32 v58, 7, v58
	v_cmp_gt_u32_e32 vcc, 8, v40
	v_cndmask_b32_e32 v40, v51, v57, vcc
	v_cndmask_b32_e32 v42, v42, v58, vcc
	v_lshlrev_b32_e32 v51, 24, v38
	v_lshlrev_b32_e32 v42, 20, v42
	v_and_b32_e32 v51, 0x80000000, v51
	v_lshl_add_u32 v40, v40, 23, v55
	v_or3_b32 v40, v51, v40, v42
	v_lshrrev_b32_e32 v51, 16, v40
.LBB898_579:                            ;   in Loop: Header=BB898_215 Depth=1
	s_or_b64 exec, exec, s[18:19]
.LBB898_580:                            ;   in Loop: Header=BB898_215 Depth=1
	s_or_b64 exec, exec, s[16:17]
.LBB898_581:                            ;   in Loop: Header=BB898_215 Depth=1
	s_or_b64 exec, exec, s[14:15]
	v_lshrrev_b16_e32 v40, 8, v38
	v_cmp_ne_u16_e32 vcc, 0, v40
	v_mov_b32_e32 v57, 0
	v_mov_b32_e32 v42, 0
	s_and_saveexec_b64 s[14:15], vcc
	s_cbranch_execz .LBB898_587
; %bb.582:                              ;   in Loop: Header=BB898_215 Depth=1
	v_cmp_ne_u16_e32 vcc, s9, v40
	v_mov_b32_e32 v42, 0xffff8000
	s_and_saveexec_b64 s[16:17], vcc
	s_cbranch_execz .LBB898_586
; %bb.583:                              ;   in Loop: Header=BB898_215 Depth=1
	v_and_b32_e32 v58, 0x7f, v40
	v_cmp_ne_u32_e32 vcc, s23, v58
	v_mov_b32_e32 v42, 0x7f80
	s_and_saveexec_b64 s[18:19], vcc
	s_cbranch_execz .LBB898_585
; %bb.584:                              ;   in Loop: Header=BB898_215 Depth=1
	v_and_b32_e32 v42, 7, v40
	v_ffbh_u32_e32 v60, v42
	v_min_u32_e32 v62, 32, v60
	v_subrev_u32_e32 v60, 28, v62
	v_lshlrev_b64 v[60:61], v60, v[40:41]
	v_lshrrev_b32_e32 v59, 3, v58
	v_sub_u32_e32 v40, 29, v62
	v_and_b32_e32 v60, 7, v60
	v_cmp_gt_u32_e32 vcc, 8, v58
	v_cndmask_b32_e32 v40, v59, v40, vcc
	v_cndmask_b32_e32 v42, v42, v60, vcc
	v_lshlrev_b32_e32 v58, 16, v38
	v_lshlrev_b32_e32 v42, 20, v42
	v_and_b32_e32 v58, 0x80000000, v58
	v_lshl_add_u32 v40, v40, 23, v55
	v_or3_b32 v40, v58, v40, v42
	v_lshrrev_b32_e32 v42, 16, v40
.LBB898_585:                            ;   in Loop: Header=BB898_215 Depth=1
	s_or_b64 exec, exec, s[18:19]
.LBB898_586:                            ;   in Loop: Header=BB898_215 Depth=1
	s_or_b64 exec, exec, s[16:17]
.LBB898_587:                            ;   in Loop: Header=BB898_215 Depth=1
	s_or_b64 exec, exec, s[14:15]
	v_lshrrev_b32_e32 v40, 16, v38
	v_cmp_ne_u16_sdwa s[16:17], v40, v54 src0_sel:BYTE_0 src1_sel:DWORD
	s_and_saveexec_b64 s[14:15], s[16:17]
	s_cbranch_execz .LBB898_593
; %bb.588:                              ;   in Loop: Header=BB898_215 Depth=1
	v_cmp_ne_u16_sdwa s[18:19], v40, s9 src0_sel:BYTE_0 src1_sel:DWORD
	v_mov_b32_e32 v57, 0xffff8000
	s_and_saveexec_b64 s[16:17], s[18:19]
	s_cbranch_execz .LBB898_592
; %bb.589:                              ;   in Loop: Header=BB898_215 Depth=1
	v_bfe_u32 v58, v38, 16, 7
	v_cmp_ne_u32_e32 vcc, s23, v58
	v_mov_b32_e32 v57, 0x7f80
	s_and_saveexec_b64 s[18:19], vcc
	s_cbranch_execz .LBB898_591
; %bb.590:                              ;   in Loop: Header=BB898_215 Depth=1
	v_and_b32_e32 v57, 7, v40
	v_ffbh_u32_e32 v60, v57
	v_min_u32_e32 v62, 32, v60
	v_subrev_u32_e32 v60, 28, v62
	v_lshlrev_b64 v[60:61], v60, v[40:41]
	v_lshrrev_b32_e32 v59, 3, v58
	v_sub_u32_e32 v61, 29, v62
	v_and_b32_e32 v60, 7, v60
	v_cmp_gt_u32_e32 vcc, 8, v58
	v_cndmask_b32_e32 v58, v59, v61, vcc
	v_cndmask_b32_e32 v57, v57, v60, vcc
	v_lshlrev_b32_e32 v40, 24, v40
	v_lshlrev_b32_e32 v57, 20, v57
	v_and_b32_e32 v40, 0x80000000, v40
	v_lshl_add_u32 v58, v58, 23, v55
	v_or3_b32 v40, v40, v58, v57
	v_lshrrev_b32_e32 v57, 16, v40
.LBB898_591:                            ;   in Loop: Header=BB898_215 Depth=1
	s_or_b64 exec, exec, s[18:19]
.LBB898_592:                            ;   in Loop: Header=BB898_215 Depth=1
	s_or_b64 exec, exec, s[16:17]
.LBB898_593:                            ;   in Loop: Header=BB898_215 Depth=1
	s_or_b64 exec, exec, s[14:15]
	v_cmp_lt_u32_e32 vcc, s24, v38
	v_mov_b32_e32 v58, 0
	s_and_saveexec_b64 s[14:15], vcc
	s_cbranch_execz .LBB898_214
; %bb.594:                              ;   in Loop: Header=BB898_215 Depth=1
	v_lshrrev_b32_e32 v40, 24, v38
	v_cmp_ne_u32_e32 vcc, s9, v40
	v_mov_b32_e32 v58, 0xffff8000
	s_and_saveexec_b64 s[16:17], vcc
	s_cbranch_execz .LBB898_213
; %bb.595:                              ;   in Loop: Header=BB898_215 Depth=1
	v_bfe_u32 v38, v38, 24, 7
	v_cmp_ne_u32_e32 vcc, s23, v38
	v_mov_b32_e32 v58, 0x7f80
	s_and_saveexec_b64 s[18:19], vcc
	s_cbranch_execz .LBB898_212
; %bb.596:                              ;   in Loop: Header=BB898_215 Depth=1
	v_and_b32_e32 v60, 7, v40
	v_ffbh_u32_e32 v58, v60
	v_min_u32_e32 v62, 32, v58
	v_subrev_u32_e32 v58, 28, v62
	v_lshlrev_b64 v[58:59], v58, v[40:41]
	v_lshrrev_b32_e32 v61, 3, v38
	v_sub_u32_e32 v59, 29, v62
	v_and_b32_e32 v58, 7, v58
	v_cmp_gt_u32_e32 vcc, 8, v38
	v_cndmask_b32_e32 v38, v61, v59, vcc
	v_cndmask_b32_e32 v58, v60, v58, vcc
	v_lshlrev_b32_e32 v40, 24, v40
	v_lshlrev_b32_e32 v58, 20, v58
	v_and_b32_e32 v40, 0x80000000, v40
	v_lshl_add_u32 v38, v38, 23, v55
	v_or3_b32 v38, v40, v38, v58
	v_lshrrev_b32_e32 v58, 16, v38
	s_branch .LBB898_212
.LBB898_597:
	s_barrier
	buffer_load_dword v2, off, s[0:3], 0 offset:320
	buffer_load_dword v5, off, s[0:3], 0 offset:332
	;; [unrolled: 1-line block ×4, first 2 shown]
	v_cmp_gt_u32_e32 vcc, 64, v0
	s_waitcnt vmcnt(0)
	ds_write2st64_b64 v52, v[2:3], v[4:5] offset1:1
	s_waitcnt lgkmcnt(0)
	s_barrier
	s_and_saveexec_b64 s[6:7], vcc
	s_cbranch_execz .LBB898_600
; %bb.598:
	s_lshl_b32 s6, s48, 7
	s_mul_i32 s7, s20, s8
	s_mul_hi_u32 s11, s7, s6
	s_mul_i32 s10, s7, s6
	s_lshl_b64 s[10:11], s[10:11], 1
	v_lshlrev_b32_e32 v4, 6, v41
	s_add_u32 s7, s50, s10
	v_lshl_or_b32 v0, v0, 10, v4
	s_mov_b32 s9, 0
	s_addc_u32 s10, s51, s11
	s_lshl_b32 s8, s26, 7
	v_lshlrev_b32_e32 v2, 5, v1
	v_and_b32_e32 v3, 16, v43
	v_and_b32_e32 v0, 0x1a00, v0
	s_lshl_b64 s[8:9], s[8:9], 1
	v_or3_b32 v0, v0, v2, v3
	s_add_u32 s7, s7, s8
	s_addc_u32 s8, s10, s9
	ds_read_b128 v[4:7], v0
	v_add_u32_e32 v8, s27, v1
	v_mov_b32_e32 v3, s8
	v_add_co_u32_e32 v2, vcc, s7, v39
	v_mad_u64_u32 v[8:9], s[8:9], v8, s6, 0
	v_addc_co_u32_e32 v3, vcc, 0, v3, vcc
	v_lshlrev_b64 v[8:9], 1, v[8:9]
	v_add_co_u32_e32 v8, vcc, v2, v8
	v_addc_co_u32_e32 v9, vcc, v3, v9, vcc
	s_waitcnt lgkmcnt(0)
	global_store_dwordx4 v[8:9], v[4:7], off
	s_and_b64 exec, exec, s[4:5]
	s_cbranch_execz .LBB898_600
; %bb.599:
	ds_read_b128 v[4:7], v0 offset:128
	v_add3_u32 v0, s27, v1, 4
	v_mad_u64_u32 v[0:1], s[4:5], v0, s6, 0
	v_lshlrev_b64 v[0:1], 1, v[0:1]
	v_add_co_u32_e32 v0, vcc, v2, v0
	v_addc_co_u32_e32 v1, vcc, v3, v1, vcc
	s_waitcnt lgkmcnt(0)
	global_store_dwordx4 v[0:1], v[4:7], off
.LBB898_600:
	s_endpgm
	.section	.rodata,"a",@progbits
	.p2align	6, 0x0
	.amdhsa_kernel _Z39paged_attention_ll4mi_QKV_mfma16_kernelI14__hip_bfloat16hLN4vllm18Fp8KVCacheDataTypeE1ES0_Li16ELi128ELi256ELb1ELi5EL8MFMAType0EEvPKT_PKT0_S9_ifPKiSB_SB_iPKfiiiPfSE_PS4_PT2_iSD_SD_
		.amdhsa_group_segment_fixed_size 8192
		.amdhsa_private_segment_fixed_size 352
		.amdhsa_kernarg_size 400
		.amdhsa_user_sgpr_count 8
		.amdhsa_user_sgpr_private_segment_buffer 1
		.amdhsa_user_sgpr_dispatch_ptr 0
		.amdhsa_user_sgpr_queue_ptr 0
		.amdhsa_user_sgpr_kernarg_segment_ptr 1
		.amdhsa_user_sgpr_dispatch_id 0
		.amdhsa_user_sgpr_flat_scratch_init 1
		.amdhsa_user_sgpr_kernarg_preload_length 0
		.amdhsa_user_sgpr_kernarg_preload_offset 0
		.amdhsa_user_sgpr_private_segment_size 0
		.amdhsa_uses_dynamic_stack 0
		.amdhsa_system_sgpr_private_segment_wavefront_offset 1
		.amdhsa_system_sgpr_workgroup_id_x 1
		.amdhsa_system_sgpr_workgroup_id_y 1
		.amdhsa_system_sgpr_workgroup_id_z 1
		.amdhsa_system_sgpr_workgroup_info 0
		.amdhsa_system_vgpr_workitem_id 0
		.amdhsa_next_free_vgpr 80
		.amdhsa_next_free_sgpr 53
		.amdhsa_accum_offset 80
		.amdhsa_reserve_vcc 1
		.amdhsa_reserve_flat_scratch 0
		.amdhsa_float_round_mode_32 0
		.amdhsa_float_round_mode_16_64 0
		.amdhsa_float_denorm_mode_32 3
		.amdhsa_float_denorm_mode_16_64 3
		.amdhsa_dx10_clamp 1
		.amdhsa_ieee_mode 1
		.amdhsa_fp16_overflow 0
		.amdhsa_tg_split 0
		.amdhsa_exception_fp_ieee_invalid_op 0
		.amdhsa_exception_fp_denorm_src 0
		.amdhsa_exception_fp_ieee_div_zero 0
		.amdhsa_exception_fp_ieee_overflow 0
		.amdhsa_exception_fp_ieee_underflow 0
		.amdhsa_exception_fp_ieee_inexact 0
		.amdhsa_exception_int_div_zero 0
	.end_amdhsa_kernel
	.section	.text._Z39paged_attention_ll4mi_QKV_mfma16_kernelI14__hip_bfloat16hLN4vllm18Fp8KVCacheDataTypeE1ES0_Li16ELi128ELi256ELb1ELi5EL8MFMAType0EEvPKT_PKT0_S9_ifPKiSB_SB_iPKfiiiPfSE_PS4_PT2_iSD_SD_,"axG",@progbits,_Z39paged_attention_ll4mi_QKV_mfma16_kernelI14__hip_bfloat16hLN4vllm18Fp8KVCacheDataTypeE1ES0_Li16ELi128ELi256ELb1ELi5EL8MFMAType0EEvPKT_PKT0_S9_ifPKiSB_SB_iPKfiiiPfSE_PS4_PT2_iSD_SD_,comdat
.Lfunc_end898:
	.size	_Z39paged_attention_ll4mi_QKV_mfma16_kernelI14__hip_bfloat16hLN4vllm18Fp8KVCacheDataTypeE1ES0_Li16ELi128ELi256ELb1ELi5EL8MFMAType0EEvPKT_PKT0_S9_ifPKiSB_SB_iPKfiiiPfSE_PS4_PT2_iSD_SD_, .Lfunc_end898-_Z39paged_attention_ll4mi_QKV_mfma16_kernelI14__hip_bfloat16hLN4vllm18Fp8KVCacheDataTypeE1ES0_Li16ELi128ELi256ELb1ELi5EL8MFMAType0EEvPKT_PKT0_S9_ifPKiSB_SB_iPKfiiiPfSE_PS4_PT2_iSD_SD_
                                        ; -- End function
	.section	.AMDGPU.csdata,"",@progbits
; Kernel info:
; codeLenInByte = 22460
; NumSgprs: 57
; NumVgprs: 80
; NumAgprs: 0
; TotalNumVgprs: 80
; ScratchSize: 352
; MemoryBound: 0
; FloatMode: 240
; IeeeMode: 1
; LDSByteSize: 8192 bytes/workgroup (compile time only)
; SGPRBlocks: 7
; VGPRBlocks: 9
; NumSGPRsForWavesPerEU: 57
; NumVGPRsForWavesPerEU: 80
; AccumOffset: 80
; Occupancy: 6
; WaveLimiterHint : 1
; COMPUTE_PGM_RSRC2:SCRATCH_EN: 1
; COMPUTE_PGM_RSRC2:USER_SGPR: 8
; COMPUTE_PGM_RSRC2:TRAP_HANDLER: 0
; COMPUTE_PGM_RSRC2:TGID_X_EN: 1
; COMPUTE_PGM_RSRC2:TGID_Y_EN: 1
; COMPUTE_PGM_RSRC2:TGID_Z_EN: 1
; COMPUTE_PGM_RSRC2:TIDIG_COMP_CNT: 0
; COMPUTE_PGM_RSRC3_GFX90A:ACCUM_OFFSET: 19
; COMPUTE_PGM_RSRC3_GFX90A:TG_SPLIT: 0
	.section	.text._Z39paged_attention_ll4mi_QKV_mfma16_kernelI14__hip_bfloat16hLN4vllm18Fp8KVCacheDataTypeE1ES0_Li16ELi128ELi256ELb1ELi6EL8MFMAType0EEvPKT_PKT0_S9_ifPKiSB_SB_iPKfiiiPfSE_PS4_PT2_iSD_SD_,"axG",@progbits,_Z39paged_attention_ll4mi_QKV_mfma16_kernelI14__hip_bfloat16hLN4vllm18Fp8KVCacheDataTypeE1ES0_Li16ELi128ELi256ELb1ELi6EL8MFMAType0EEvPKT_PKT0_S9_ifPKiSB_SB_iPKfiiiPfSE_PS4_PT2_iSD_SD_,comdat
	.protected	_Z39paged_attention_ll4mi_QKV_mfma16_kernelI14__hip_bfloat16hLN4vllm18Fp8KVCacheDataTypeE1ES0_Li16ELi128ELi256ELb1ELi6EL8MFMAType0EEvPKT_PKT0_S9_ifPKiSB_SB_iPKfiiiPfSE_PS4_PT2_iSD_SD_ ; -- Begin function _Z39paged_attention_ll4mi_QKV_mfma16_kernelI14__hip_bfloat16hLN4vllm18Fp8KVCacheDataTypeE1ES0_Li16ELi128ELi256ELb1ELi6EL8MFMAType0EEvPKT_PKT0_S9_ifPKiSB_SB_iPKfiiiPfSE_PS4_PT2_iSD_SD_
	.globl	_Z39paged_attention_ll4mi_QKV_mfma16_kernelI14__hip_bfloat16hLN4vllm18Fp8KVCacheDataTypeE1ES0_Li16ELi128ELi256ELb1ELi6EL8MFMAType0EEvPKT_PKT0_S9_ifPKiSB_SB_iPKfiiiPfSE_PS4_PT2_iSD_SD_
	.p2align	8
	.type	_Z39paged_attention_ll4mi_QKV_mfma16_kernelI14__hip_bfloat16hLN4vllm18Fp8KVCacheDataTypeE1ES0_Li16ELi128ELi256ELb1ELi6EL8MFMAType0EEvPKT_PKT0_S9_ifPKiSB_SB_iPKfiiiPfSE_PS4_PT2_iSD_SD_,@function
_Z39paged_attention_ll4mi_QKV_mfma16_kernelI14__hip_bfloat16hLN4vllm18Fp8KVCacheDataTypeE1ES0_Li16ELi128ELi256ELb1ELi6EL8MFMAType0EEvPKT_PKT0_S9_ifPKiSB_SB_iPKfiiiPfSE_PS4_PT2_iSD_SD_: ; @_Z39paged_attention_ll4mi_QKV_mfma16_kernelI14__hip_bfloat16hLN4vllm18Fp8KVCacheDataTypeE1ES0_Li16ELi128ELi256ELb1ELi6EL8MFMAType0EEvPKT_PKT0_S9_ifPKiSB_SB_iPKfiiiPfSE_PS4_PT2_iSD_SD_
; %bb.0:
	s_load_dwordx2 s[6:7], s[4:5], 0x30
	s_add_u32 s0, s0, s11
	s_addc_u32 s1, s1, 0
	s_mov_b32 s26, s9
	s_mov_b64 s[14:15], 0
	s_waitcnt lgkmcnt(0)
	s_cmp_lg_u64 s[6:7], 0
	s_cselect_b64 s[12:13], -1, 0
	s_and_b64 vcc, exec, s[12:13]
	s_cbranch_vccz .LBB899_7
; %bb.1:
	s_add_i32 s16, s8, 1
	s_mov_b32 s17, 0
	s_lshl_b64 s[18:19], s[16:17], 2
	s_add_u32 s18, s6, s18
	s_mov_b32 s9, s17
	s_addc_u32 s19, s7, s19
	s_lshl_b64 s[16:17], s[8:9], 2
	s_add_u32 s16, s6, s16
	s_addc_u32 s17, s7, s17
	s_load_dword s11, s[18:19], 0x0
	s_load_dword s20, s[16:17], 0x0
	s_waitcnt lgkmcnt(0)
	s_sub_i32 s11, s11, s20
	s_cmp_eq_u32 s11, 1
	s_cselect_b64 s[16:17], -1, 0
	s_andn2_b64 vcc, exec, s[14:15]
	s_cbranch_vccnz .LBB899_3
.LBB899_2:
	s_mov_b32 s9, 0
	s_mov_b64 s[16:17], -1
.LBB899_3:
	s_andn2_b64 vcc, exec, s[16:17]
	s_cbranch_vccnz .LBB899_600
; %bb.4:
	s_load_dwordx2 s[16:17], s[4:5], 0x28
	s_lshl_b64 s[14:15], s[8:9], 2
	s_waitcnt lgkmcnt(0)
	s_add_u32 s16, s16, s14
	s_addc_u32 s17, s17, s15
	s_load_dword s33, s[16:17], 0x0
	s_lshl_b32 s20, s26, 8
	s_waitcnt lgkmcnt(0)
	s_cmp_ge_i32 s20, s33
	s_cbranch_scc1 .LBB899_600
; %bb.5:
	s_add_i32 s18, s33, 15
	s_load_dwordx2 s[16:17], s[4:5], 0x20
	s_load_dword s11, s[4:5], 0x38
	s_ashr_i32 s19, s18, 31
	v_and_b32_e32 v1, 0xcf, v0
	s_lshr_b32 s19, s19, 28
	v_add_u32_e32 v1, s20, v1
	s_add_i32 s18, s18, s19
	v_ashrrev_i32_e32 v2, 31, v1
	s_ashr_i32 s23, s18, 4
	v_lshrrev_b32_e32 v4, 28, v2
	s_add_i32 s23, s23, -1
	v_add_u32_e32 v2, v1, v4
	s_waitcnt lgkmcnt(0)
	s_mul_i32 s18, s8, s11
	s_mov_b32 s19, 0
	v_ashrrev_i32_e32 v2, 4, v2
	v_mov_b32_e32 v5, s23
	v_cmp_gt_i32_e32 vcc, s33, v1
	s_lshl_b64 s[18:19], s[18:19], 2
	v_cndmask_b32_e32 v2, v5, v2, vcc
	s_add_u32 s21, s16, s18
	v_ashrrev_i32_e32 v3, 31, v2
	s_addc_u32 s22, s17, s19
	v_lshlrev_b64 v[2:3], 2, v[2:3]
	v_mov_b32_e32 v7, s22
	v_add_co_u32_e32 v6, vcc, s21, v2
	v_or_b32_e32 v2, 16, v1
	v_addc_co_u32_e32 v7, vcc, v7, v3, vcc
	v_add_u32_e32 v3, v2, v4
	v_ashrrev_i32_e32 v3, 4, v3
	v_cmp_gt_i32_e32 vcc, s33, v2
	v_cndmask_b32_e32 v2, v5, v3, vcc
	v_ashrrev_i32_e32 v3, 31, v2
	v_lshlrev_b64 v[2:3], 2, v[2:3]
	v_mov_b32_e32 v9, s22
	v_add_co_u32_e32 v8, vcc, s21, v2
	v_or_b32_e32 v2, 32, v1
	v_addc_co_u32_e32 v9, vcc, v9, v3, vcc
	v_add_u32_e32 v3, v2, v4
	v_ashrrev_i32_e32 v3, 4, v3
	v_cmp_gt_i32_e32 vcc, s33, v2
	v_cndmask_b32_e32 v2, v5, v3, vcc
	v_ashrrev_i32_e32 v3, 31, v2
	;; [unrolled: 10-line block ×3, first 2 shown]
	v_lshlrev_b64 v[2:3], 2, v[2:3]
	v_mov_b32_e32 v1, s22
	v_add_co_u32_e32 v12, vcc, s21, v2
	v_addc_co_u32_e32 v13, vcc, v1, v3, vcc
	global_load_dword v5, v[6:7], off
	global_load_dword v4, v[8:9], off
	;; [unrolled: 1-line block ×4, first 2 shown]
	s_load_dwordx2 s[16:17], s[4:5], 0x8
	s_andn2_b64 vcc, exec, s[12:13]
	s_cbranch_vccnz .LBB899_8
; %bb.6:
	s_add_u32 s6, s6, s14
	s_addc_u32 s7, s7, s15
	s_load_dword s11, s[6:7], 0x0
	s_branch .LBB899_9
.LBB899_7:
	s_mov_b64 s[16:17], 0
	s_branch .LBB899_2
.LBB899_8:
	s_mov_b32 s11, s8
.LBB899_9:
	s_load_dwordx2 s[6:7], s[4:5], 0x10
	s_load_dwordx4 s[12:15], s[4:5], 0x48
	v_lshrrev_b32_e32 v27, 6, v0
	v_bfe_u32 v1, v0, 4, 2
	v_and_b32_e32 v41, 15, v0
	v_lshl_or_b32 v6, v27, 2, v1
	v_lshlrev_b32_e32 v7, 3, v41
	s_mul_i32 s27, s10, 6
	v_cmp_gt_u32_e32 vcc, 6, v6
	v_lshlrev_b32_e32 v39, 1, v7
	v_lshlrev_b32_e32 v43, 4, v0
	s_and_saveexec_b64 s[18:19], vcc
	s_cbranch_execz .LBB899_11
; %bb.10:
	s_load_dwordx2 s[24:25], s[4:5], 0x0
	s_waitcnt lgkmcnt(0)
	s_ashr_i32 s15, s12, 31
	s_mul_hi_u32 s28, s11, s12
	s_mul_i32 s15, s11, s15
	s_add_i32 s29, s28, s15
	s_mul_i32 s28, s11, s12
	s_lshl_b64 s[28:29], s[28:29], 1
	v_add_lshl_u32 v8, v6, s27, 7
	s_add_u32 s11, s24, s28
	v_ashrrev_i32_e32 v9, 31, v8
	s_addc_u32 s12, s25, s29
	v_lshlrev_b64 v[8:9], 1, v[8:9]
	v_mov_b32_e32 v7, s12
	v_add_co_u32_e32 v8, vcc, s11, v8
	v_addc_co_u32_e32 v7, vcc, v7, v9, vcc
	v_add_co_u32_e32 v8, vcc, v8, v39
	v_addc_co_u32_e32 v9, vcc, 0, v7, vcc
	global_load_dwordx4 v[8:11], v[8:9], off
	v_lshlrev_b32_e32 v12, 8, v0
	v_lshlrev_b32_e32 v7, 8, v41
	v_and_b32_e32 v12, 0x600, v12
	s_movk_i32 s11, 0x800
	v_and_or_b32 v7, v7, s11, v12
	v_lshlrev_b32_e32 v6, 5, v6
	v_and_b32_e32 v12, 16, v43
	v_or3_b32 v6, v7, v6, v12
	s_waitcnt vmcnt(0)
	ds_write_b128 v6, v[8:11]
.LBB899_11:
	s_or_b64 exec, exec, s[18:19]
	s_waitcnt lgkmcnt(0)
	s_mul_i32 s14, s10, s14
	s_add_u32 s10, s16, s14
	s_addc_u32 s11, s17, 0
	v_and_b32_e32 v6, 0xf0, v43
	v_mov_b32_e32 v7, s11
	v_add_co_u32_e32 v6, vcc, s10, v6
	v_and_b32_e32 v18, 48, v0
	v_addc_co_u32_e32 v7, vcc, 0, v7, vcc
	v_lshlrev_b32_e32 v10, 4, v18
	s_waitcnt vmcnt(3)
	v_mad_i64_i32 v[8:9], s[10:11], v5, s13, v[6:7]
	v_add_co_u32_e32 v8, vcc, v8, v10
	v_addc_co_u32_e32 v9, vcc, 0, v9, vcc
	s_waitcnt vmcnt(2)
	v_mad_i64_i32 v[4:5], s[10:11], v4, s13, v[6:7]
	v_add_co_u32_e32 v4, vcc, v4, v10
	v_addc_co_u32_e32 v5, vcc, 0, v5, vcc
	s_load_dwordx2 s[48:49], s[4:5], 0x94
	s_waitcnt lgkmcnt(0)
	s_barrier
	global_load_dwordx4 v[20:23], v[8:9], off
	global_load_dwordx4 v[28:31], v[8:9], off offset:1024
	global_load_dwordx4 v[32:35], v[4:5], off
	global_load_dwordx4 v[44:47], v[4:5], off offset:1024
	s_waitcnt vmcnt(5)
	v_mad_i64_i32 v[4:5], s[10:11], v3, s13, v[6:7]
	v_add_co_u32_e32 v4, vcc, v4, v10
	v_addc_co_u32_e32 v5, vcc, 0, v5, vcc
	s_waitcnt vmcnt(4)
	v_mad_i64_i32 v[2:3], s[10:11], v2, s13, v[6:7]
	v_add_co_u32_e32 v2, vcc, v2, v10
	v_addc_co_u32_e32 v3, vcc, 0, v3, vcc
	global_load_dwordx4 v[48:51], v[4:5], off
	global_load_dwordx4 v[52:55], v[4:5], off offset:1024
	global_load_dwordx4 v[56:59], v[2:3], off
	global_load_dwordx4 v[60:63], v[2:3], off offset:1024
	v_mul_lo_u16_e32 v2, 43, v41
	v_mov_b32_e32 v3, 6
	v_mul_lo_u16_sdwa v2, v2, v3 dst_sel:DWORD dst_unused:UNUSED_PAD src0_sel:BYTE_1 src1_sel:DWORD
	v_mov_b32_e32 v4, 5
	v_sub_u16_e32 v2, v41, v2
	v_lshlrev_b32_sdwa v2, v4, v2 dst_sel:DWORD dst_unused:UNUSED_PAD src0_sel:DWORD src1_sel:BYTE_0
	v_lshl_add_u32 v14, v1, 9, v2
	s_load_dwordx2 s[50:51], s[4:5], 0x68
	s_load_dwordx4 s[44:47], s[4:5], 0x58
	ds_read_b128 v[2:5], v14
	ds_read_b128 v[6:9], v14 offset:16
	ds_read_b128 v[10:13], v14 offset:2048
	;; [unrolled: 1-line block ×3, first 2 shown]
	s_mov_b32 s12, 0
	v_cmp_gt_u32_e32 vcc, 6, v41
	s_waitcnt vmcnt(7)
	buffer_store_dword v23, off, s[0:3], 0 offset:12
	buffer_store_dword v22, off, s[0:3], 0 offset:8
	buffer_store_dword v21, off, s[0:3], 0 offset:4
	buffer_store_dword v20, off, s[0:3], 0
	s_waitcnt vmcnt(10)
	buffer_store_dword v31, off, s[0:3], 0 offset:28
	buffer_store_dword v30, off, s[0:3], 0 offset:24
	buffer_store_dword v29, off, s[0:3], 0 offset:20
	buffer_store_dword v28, off, s[0:3], 0 offset:16
	s_waitcnt vmcnt(13)
	buffer_store_dword v35, off, s[0:3], 0 offset:44
	buffer_store_dword v34, off, s[0:3], 0 offset:40
	buffer_store_dword v33, off, s[0:3], 0 offset:36
	buffer_store_dword v32, off, s[0:3], 0 offset:32
	s_waitcnt vmcnt(16)
	buffer_store_dword v47, off, s[0:3], 0 offset:60
	buffer_store_dword v46, off, s[0:3], 0 offset:56
	buffer_store_dword v45, off, s[0:3], 0 offset:52
	buffer_store_dword v44, off, s[0:3], 0 offset:48
	s_waitcnt vmcnt(19)
	buffer_store_dword v51, off, s[0:3], 0 offset:76
	buffer_store_dword v50, off, s[0:3], 0 offset:72
	buffer_store_dword v49, off, s[0:3], 0 offset:68
	buffer_store_dword v48, off, s[0:3], 0 offset:64
	s_waitcnt vmcnt(22)
	buffer_store_dword v55, off, s[0:3], 0 offset:92
	buffer_store_dword v54, off, s[0:3], 0 offset:88
	buffer_store_dword v53, off, s[0:3], 0 offset:84
	buffer_store_dword v52, off, s[0:3], 0 offset:80
	s_waitcnt vmcnt(25)
	buffer_store_dword v59, off, s[0:3], 0 offset:108
	buffer_store_dword v58, off, s[0:3], 0 offset:104
	buffer_store_dword v57, off, s[0:3], 0 offset:100
	buffer_store_dword v56, off, s[0:3], 0 offset:96
	s_waitcnt vmcnt(28)
	buffer_store_dword v63, off, s[0:3], 0 offset:124
	buffer_store_dword v62, off, s[0:3], 0 offset:120
	buffer_store_dword v61, off, s[0:3], 0 offset:116
	buffer_store_dword v60, off, s[0:3], 0 offset:112
	v_mov_b32_e32 v35, 0
	v_mov_b32_e32 v31, 0
	s_and_saveexec_b64 s[10:11], vcc
	s_cbranch_execz .LBB899_13
; %bb.12:
	s_load_dwordx2 s[16:17], s[4:5], 0x40
	v_add_u32_e32 v20, s27, v41
	v_ashrrev_i32_e32 v21, 31, v20
	v_lshlrev_b64 v[20:21], 2, v[20:21]
	s_waitcnt lgkmcnt(0)
	v_mov_b32_e32 v19, s17
	v_add_co_u32_e32 v20, vcc, s16, v20
	v_addc_co_u32_e32 v21, vcc, v19, v21, vcc
	global_load_dword v31, v[20:21], off
.LBB899_13:
	s_or_b64 exec, exec, s[10:11]
	v_or_b32_e32 v22, s20, v18
	v_ashrrev_i32_e32 v18, 4, v22
	v_mov_b32_e32 v23, s23
	v_cmp_gt_i32_e32 vcc, s33, v22
	v_cndmask_b32_e32 v18, v23, v18, vcc
	v_ashrrev_i32_e32 v19, 31, v18
	v_lshlrev_b64 v[18:19], 2, v[18:19]
	v_mov_b32_e32 v20, s22
	v_add_co_u32_e32 v18, vcc, s21, v18
	v_addc_co_u32_e32 v19, vcc, v20, v19, vcc
	global_load_dword v26, v[18:19], off
	v_or_b32_e32 v18, 64, v22
	v_ashrrev_i32_e32 v19, 4, v18
	v_cmp_gt_i32_e32 vcc, s33, v18
	v_cndmask_b32_e32 v18, v23, v19, vcc
	v_ashrrev_i32_e32 v19, 31, v18
	v_lshlrev_b64 v[18:19], 2, v[18:19]
	v_add_co_u32_e32 v18, vcc, s21, v18
	v_addc_co_u32_e32 v19, vcc, v20, v19, vcc
	v_or_b32_e32 v20, 0x80, v22
	v_ashrrev_i32_e32 v21, 4, v20
	v_cmp_gt_i32_e32 vcc, s33, v20
	v_cndmask_b32_e32 v20, v23, v21, vcc
	v_ashrrev_i32_e32 v21, 31, v20
	v_lshlrev_b64 v[20:21], 2, v[20:21]
	v_mov_b32_e32 v24, s22
	v_add_co_u32_e32 v20, vcc, s21, v20
	v_addc_co_u32_e32 v21, vcc, v24, v21, vcc
	global_load_dword v28, v[18:19], off
	global_load_dword v30, v[20:21], off
	v_or_b32_e32 v18, 0xc0, v22
	v_ashrrev_i32_e32 v19, 4, v18
	v_cmp_gt_i32_e32 vcc, s33, v18
	v_cndmask_b32_e32 v18, v23, v19, vcc
	v_ashrrev_i32_e32 v19, 31, v18
	v_lshlrev_b64 v[18:19], 2, v[18:19]
	v_mov_b32_e32 v20, s22
	v_add_co_u32_e32 v18, vcc, s21, v18
	v_addc_co_u32_e32 v19, vcc, v20, v19, vcc
	global_load_dword v34, v[18:19], off
	s_add_u32 s10, s6, s14
	v_lshl_or_b32 v29, v27, 4, v41
	s_addc_u32 s6, s7, 0
	v_lshlrev_b32_e32 v18, 4, v29
	v_mov_b32_e32 v19, s6
	v_add_co_u32_e32 v22, vcc, s10, v18
	v_addc_co_u32_e32 v23, vcc, 0, v19, vcc
	v_or_b32_e32 v24, 0x400, v18
	v_mov_b32_e32 v25, s6
	v_add_co_u32_e32 v24, vcc, s10, v24
	v_addc_co_u32_e32 v25, vcc, 0, v25, vcc
	v_mov_b32_e32 v36, 0
	s_movk_i32 s14, 0x7f
	s_mov_b32 s15, 0xffffff
	s_mov_b32 s16, 0x5040100
	v_mov_b32_e32 v37, 0x100
	v_bfrev_b32_e32 v38, 60
	s_waitcnt vmcnt(3)
	v_mad_i64_i32 v[18:19], s[6:7], v26, s13, v[22:23]
	global_load_dwordx4 v[18:21], v[18:19], off
	v_mad_i64_i32 v[32:33], s[6:7], v26, s13, v[24:25]
	global_load_dwordx4 v[52:55], v[32:33], off
	s_waitcnt vmcnt(4)
	v_mad_i64_i32 v[32:33], s[6:7], v28, s13, v[22:23]
	global_load_dwordx4 v[56:59], v[32:33], off
	s_waitcnt vmcnt(4)
	;; [unrolled: 3-line block ×3, first 2 shown]
	v_mad_i64_i32 v[22:23], s[6:7], v34, s13, v[22:23]
	global_load_dwordx4 v[64:67], v[22:23], off
	v_mad_i64_i32 v[22:23], s[6:7], v28, s13, v[24:25]
	global_load_dwordx4 v[68:71], v[22:23], off
	;; [unrolled: 2-line block ×4, first 2 shown]
	s_load_dword s6, s[4:5], 0x1c
	s_load_dwordx4 s[40:43], s[4:5], 0x80
	v_mov_b32_e32 v22, 0x80
	v_add_u32_e32 v45, 16, v22
	v_add_u32_e32 v46, 32, v22
	;; [unrolled: 1-line block ×3, first 2 shown]
	s_waitcnt lgkmcnt(0)
	s_load_dword s4, s[40:41], 0x0
	v_add_u32_e32 v51, 64, v22
	v_add_u32_e32 v48, 0x50, v22
	;; [unrolled: 1-line block ×4, first 2 shown]
	v_mov_b32_e32 v22, s6
	s_waitcnt lgkmcnt(0)
	v_mul_f32_e32 v22, s4, v22
	v_and_b32_e32 v33, 63, v0
	s_movk_i32 s13, 0x80
	v_mov_b32_e32 v24, v22
	v_mov_b32_e32 v25, v22
	s_waitcnt vmcnt(7)
	buffer_store_dword v21, off, s[0:3], 0 offset:140
	buffer_store_dword v20, off, s[0:3], 0 offset:136
	buffer_store_dword v19, off, s[0:3], 0 offset:132
	buffer_store_dword v18, off, s[0:3], 0 offset:128
	s_waitcnt vmcnt(10)
	buffer_store_dword v55, off, s[0:3], 0 offset:156
	buffer_store_dword v54, off, s[0:3], 0 offset:152
	buffer_store_dword v53, off, s[0:3], 0 offset:148
	buffer_store_dword v52, off, s[0:3], 0 offset:144
	s_waitcnt vmcnt(13)
	buffer_store_dword v59, off, s[0:3], 0 offset:172
	buffer_store_dword v58, off, s[0:3], 0 offset:168
	buffer_store_dword v57, off, s[0:3], 0 offset:164
	buffer_store_dword v56, off, s[0:3], 0 offset:160
	s_waitcnt vmcnt(16)
	buffer_store_dword v63, off, s[0:3], 0 offset:204
	buffer_store_dword v62, off, s[0:3], 0 offset:200
	buffer_store_dword v61, off, s[0:3], 0 offset:196
	buffer_store_dword v60, off, s[0:3], 0 offset:192
	s_waitcnt vmcnt(19)
	buffer_store_dword v67, off, s[0:3], 0 offset:236
	buffer_store_dword v66, off, s[0:3], 0 offset:232
	buffer_store_dword v65, off, s[0:3], 0 offset:228
	buffer_store_dword v64, off, s[0:3], 0 offset:224
	s_waitcnt vmcnt(22)
	buffer_store_dword v71, off, s[0:3], 0 offset:188
	buffer_store_dword v70, off, s[0:3], 0 offset:184
	buffer_store_dword v69, off, s[0:3], 0 offset:180
	buffer_store_dword v68, off, s[0:3], 0 offset:176
	s_waitcnt vmcnt(25)
	buffer_store_dword v75, off, s[0:3], 0 offset:220
	buffer_store_dword v74, off, s[0:3], 0 offset:216
	buffer_store_dword v73, off, s[0:3], 0 offset:212
	buffer_store_dword v72, off, s[0:3], 0 offset:208
	s_waitcnt vmcnt(28)
	buffer_store_dword v79, off, s[0:3], 0 offset:252
	buffer_store_dword v78, off, s[0:3], 0 offset:248
	buffer_store_dword v77, off, s[0:3], 0 offset:244
	buffer_store_dword v76, off, s[0:3], 0 offset:240
	s_branch .LBB899_17
.LBB899_14:                             ;   in Loop: Header=BB899_17 Depth=1
	s_or_b64 exec, exec, s[10:11]
.LBB899_15:                             ;   in Loop: Header=BB899_17 Depth=1
	s_or_b64 exec, exec, s[6:7]
.LBB899_16:                             ;   in Loop: Header=BB899_17 Depth=1
	s_or_b64 exec, exec, s[4:5]
	v_perm_b32 v55, v40, v34, s16
	v_perm_b32 v54, v23, v32, s16
	;; [unrolled: 1-line block ×4, first 2 shown]
	v_add_u32_e32 v26, s12, v37
	v_mfma_f32_16x16x16bf16_1k v[18:21], v[54:55], v[14:15], v[18:21]
	s_add_i32 s12, s12, 16
	v_mov_b32_e32 v23, v22
	s_cmp_eq_u32 s12, 64
	v_add_u32_e32 v36, 32, v36
	v_mfma_f32_16x16x16bf16_1k v[18:21], v[52:53], v[16:17], v[18:21]
	s_nop 7
	s_nop 2
	v_pk_mul_f32 v[18:19], v[24:25], v[18:19]
	v_pk_mul_f32 v[20:21], v[22:23], v[20:21]
	buffer_store_dword v19, v26, s[0:3], 0 offen offset:4
	buffer_store_dword v18, v26, s[0:3], 0 offen
	buffer_store_dword v21, v26, s[0:3], 0 offen offset:12
	buffer_store_dword v20, v26, s[0:3], 0 offen offset:8
	s_cbranch_scc1 .LBB899_207
.LBB899_17:                             ; =>This Inner Loop Header: Depth=1
	buffer_load_dword v20, v36, s[0:3], 0 offen
	buffer_load_dword v18, v36, s[0:3], 0 offen offset:4
	buffer_load_dword v28, v36, s[0:3], 0 offen offset:8
	;; [unrolled: 1-line block ×3, first 2 shown]
	v_mov_b32_e32 v19, 0
	v_mov_b32_e32 v21, 0
	s_waitcnt vmcnt(3)
	v_cmp_ne_u16_sdwa s[6:7], v20, v35 src0_sel:BYTE_0 src1_sel:DWORD
	s_and_saveexec_b64 s[4:5], s[6:7]
	s_cbranch_execz .LBB899_23
; %bb.18:                               ;   in Loop: Header=BB899_17 Depth=1
	v_cmp_ne_u16_sdwa s[10:11], v20, s13 src0_sel:BYTE_0 src1_sel:DWORD
	v_mov_b32_e32 v21, 0xffff8000
	s_and_saveexec_b64 s[6:7], s[10:11]
	s_cbranch_execz .LBB899_22
; %bb.19:                               ;   in Loop: Header=BB899_17 Depth=1
	v_and_b32_e32 v23, 0x7f, v20
	v_cmp_ne_u32_e32 vcc, s14, v23
	v_mov_b32_e32 v21, 0x7f80
	s_and_saveexec_b64 s[10:11], vcc
	s_cbranch_execz .LBB899_21
; %bb.20:                               ;   in Loop: Header=BB899_17 Depth=1
	v_and_b32_e32 v21, 7, v20
	v_ffbh_u32_e32 v32, v21
	v_min_u32_e32 v32, 32, v32
	v_subrev_u32_e32 v34, 28, v32
	v_lshlrev_b64 v[52:53], v34, v[20:21]
	v_lshrrev_b32_e32 v30, 3, v23
	v_sub_u32_e32 v32, 29, v32
	v_and_b32_e32 v34, 7, v52
	v_cmp_gt_u32_e32 vcc, 8, v23
	v_cndmask_b32_e32 v23, v30, v32, vcc
	v_cndmask_b32_e32 v21, v21, v34, vcc
	v_lshlrev_b32_e32 v30, 24, v20
	v_lshlrev_b32_e32 v21, 20, v21
	v_and_b32_e32 v30, 0x80000000, v30
	v_lshl_add_u32 v23, v23, 23, v38
	v_or3_b32 v21, v30, v23, v21
	v_lshrrev_b32_e32 v21, 16, v21
.LBB899_21:                             ;   in Loop: Header=BB899_17 Depth=1
	s_or_b64 exec, exec, s[10:11]
.LBB899_22:                             ;   in Loop: Header=BB899_17 Depth=1
	s_or_b64 exec, exec, s[6:7]
.LBB899_23:                             ;   in Loop: Header=BB899_17 Depth=1
	s_or_b64 exec, exec, s[4:5]
	v_lshrrev_b16_e32 v30, 8, v20
	v_cmp_ne_u16_e32 vcc, 0, v30
	s_and_saveexec_b64 s[4:5], vcc
	s_cbranch_execz .LBB899_29
; %bb.24:                               ;   in Loop: Header=BB899_17 Depth=1
	v_cmp_ne_u16_e32 vcc, s13, v30
	v_mov_b32_e32 v19, 0xffff8000
	s_and_saveexec_b64 s[6:7], vcc
	s_cbranch_execz .LBB899_28
; %bb.25:                               ;   in Loop: Header=BB899_17 Depth=1
	v_and_b32_e32 v23, 0x7f, v30
	v_cmp_ne_u32_e32 vcc, s14, v23
	v_mov_b32_e32 v19, 0x7f80
	s_and_saveexec_b64 s[10:11], vcc
	s_cbranch_execz .LBB899_27
; %bb.26:                               ;   in Loop: Header=BB899_17 Depth=1
	v_and_b32_e32 v19, 7, v30
	v_ffbh_u32_e32 v34, v19
	v_min_u32_e32 v34, 32, v34
	v_subrev_u32_e32 v40, 28, v34
	v_lshlrev_b64 v[52:53], v40, v[30:31]
	v_lshrrev_b32_e32 v32, 3, v23
	v_sub_u32_e32 v30, 29, v34
	v_and_b32_e32 v34, 7, v52
	v_cmp_gt_u32_e32 vcc, 8, v23
	v_cndmask_b32_e32 v23, v32, v30, vcc
	v_cndmask_b32_e32 v19, v19, v34, vcc
	v_lshlrev_b32_e32 v30, 16, v20
	v_lshlrev_b32_e32 v19, 20, v19
	v_and_b32_e32 v30, 0x80000000, v30
	v_lshl_add_u32 v23, v23, 23, v38
	v_or3_b32 v19, v30, v23, v19
	v_lshrrev_b32_e32 v19, 16, v19
.LBB899_27:                             ;   in Loop: Header=BB899_17 Depth=1
	s_or_b64 exec, exec, s[10:11]
.LBB899_28:                             ;   in Loop: Header=BB899_17 Depth=1
	s_or_b64 exec, exec, s[6:7]
.LBB899_29:                             ;   in Loop: Header=BB899_17 Depth=1
	s_or_b64 exec, exec, s[4:5]
	v_lshrrev_b32_e32 v30, 16, v20
	v_cmp_ne_u16_sdwa s[6:7], v30, v35 src0_sel:BYTE_0 src1_sel:DWORD
	v_mov_b32_e32 v32, 0
	v_mov_b32_e32 v23, 0
	s_and_saveexec_b64 s[4:5], s[6:7]
	s_cbranch_execz .LBB899_35
; %bb.30:                               ;   in Loop: Header=BB899_17 Depth=1
	v_cmp_ne_u16_sdwa s[10:11], v30, s13 src0_sel:BYTE_0 src1_sel:DWORD
	v_mov_b32_e32 v23, 0xffff8000
	s_and_saveexec_b64 s[6:7], s[10:11]
	s_cbranch_execz .LBB899_34
; %bb.31:                               ;   in Loop: Header=BB899_17 Depth=1
	v_bfe_u32 v34, v20, 16, 7
	v_cmp_ne_u32_e32 vcc, s14, v34
	v_mov_b32_e32 v23, 0x7f80
	s_and_saveexec_b64 s[10:11], vcc
	s_cbranch_execz .LBB899_33
; %bb.32:                               ;   in Loop: Header=BB899_17 Depth=1
	v_and_b32_e32 v23, 7, v30
	v_ffbh_u32_e32 v42, v23
	v_min_u32_e32 v42, 32, v42
	v_subrev_u32_e32 v44, 28, v42
	v_lshlrev_b64 v[52:53], v44, v[30:31]
	v_lshrrev_b32_e32 v40, 3, v34
	v_sub_u32_e32 v42, 29, v42
	v_and_b32_e32 v44, 7, v52
	v_cmp_gt_u32_e32 vcc, 8, v34
	v_cndmask_b32_e32 v34, v40, v42, vcc
	v_cndmask_b32_e32 v23, v23, v44, vcc
	v_lshlrev_b32_e32 v30, 24, v30
	v_lshlrev_b32_e32 v23, 20, v23
	v_and_b32_e32 v30, 0x80000000, v30
	v_lshl_add_u32 v34, v34, 23, v38
	v_or3_b32 v23, v30, v34, v23
	v_lshrrev_b32_e32 v23, 16, v23
.LBB899_33:                             ;   in Loop: Header=BB899_17 Depth=1
	s_or_b64 exec, exec, s[10:11]
.LBB899_34:                             ;   in Loop: Header=BB899_17 Depth=1
	s_or_b64 exec, exec, s[6:7]
.LBB899_35:                             ;   in Loop: Header=BB899_17 Depth=1
	s_or_b64 exec, exec, s[4:5]
	v_cmp_lt_u32_e32 vcc, s15, v20
	s_and_saveexec_b64 s[4:5], vcc
	s_cbranch_execz .LBB899_41
; %bb.36:                               ;   in Loop: Header=BB899_17 Depth=1
	v_lshrrev_b32_e32 v30, 24, v20
	v_cmp_ne_u32_e32 vcc, s13, v30
	v_mov_b32_e32 v32, 0xffff8000
	s_and_saveexec_b64 s[6:7], vcc
	s_cbranch_execz .LBB899_40
; %bb.37:                               ;   in Loop: Header=BB899_17 Depth=1
	v_bfe_u32 v20, v20, 24, 7
	v_cmp_ne_u32_e32 vcc, s14, v20
	v_mov_b32_e32 v32, 0x7f80
	s_and_saveexec_b64 s[10:11], vcc
	s_cbranch_execz .LBB899_39
; %bb.38:                               ;   in Loop: Header=BB899_17 Depth=1
	v_and_b32_e32 v32, 7, v30
	v_ffbh_u32_e32 v40, v32
	v_min_u32_e32 v40, 32, v40
	v_subrev_u32_e32 v42, 28, v40
	v_lshlrev_b64 v[52:53], v42, v[30:31]
	v_lshrrev_b32_e32 v34, 3, v20
	v_sub_u32_e32 v40, 29, v40
	v_and_b32_e32 v42, 7, v52
	v_cmp_gt_u32_e32 vcc, 8, v20
	v_cndmask_b32_e32 v20, v34, v40, vcc
	v_cndmask_b32_e32 v32, v32, v42, vcc
	v_lshlrev_b32_e32 v30, 24, v30
	v_lshlrev_b32_e32 v32, 20, v32
	v_and_b32_e32 v30, 0x80000000, v30
	v_lshl_add_u32 v20, v20, 23, v38
	v_or3_b32 v20, v30, v20, v32
	v_lshrrev_b32_e32 v32, 16, v20
.LBB899_39:                             ;   in Loop: Header=BB899_17 Depth=1
	s_or_b64 exec, exec, s[10:11]
.LBB899_40:                             ;   in Loop: Header=BB899_17 Depth=1
	s_or_b64 exec, exec, s[6:7]
.LBB899_41:                             ;   in Loop: Header=BB899_17 Depth=1
	s_or_b64 exec, exec, s[4:5]
	s_waitcnt vmcnt(2)
	v_cmp_ne_u16_sdwa s[6:7], v18, v35 src0_sel:BYTE_0 src1_sel:DWORD
	v_mov_b32_e32 v30, 0
	v_mov_b32_e32 v34, 0
	s_and_saveexec_b64 s[4:5], s[6:7]
	s_cbranch_execz .LBB899_47
; %bb.42:                               ;   in Loop: Header=BB899_17 Depth=1
	v_cmp_ne_u16_sdwa s[10:11], v18, s13 src0_sel:BYTE_0 src1_sel:DWORD
	v_mov_b32_e32 v34, 0xffff8000
	s_and_saveexec_b64 s[6:7], s[10:11]
	s_cbranch_execz .LBB899_46
; %bb.43:                               ;   in Loop: Header=BB899_17 Depth=1
	v_and_b32_e32 v20, 0x7f, v18
	v_cmp_ne_u32_e32 vcc, s14, v20
	v_mov_b32_e32 v34, 0x7f80
	s_and_saveexec_b64 s[10:11], vcc
	s_cbranch_execz .LBB899_45
; %bb.44:                               ;   in Loop: Header=BB899_17 Depth=1
	v_and_b32_e32 v34, 7, v18
	v_ffbh_u32_e32 v42, v34
	v_min_u32_e32 v42, 32, v42
	v_subrev_u32_e32 v44, 28, v42
	v_lshlrev_b64 v[52:53], v44, v[18:19]
	v_lshrrev_b32_e32 v40, 3, v20
	v_sub_u32_e32 v42, 29, v42
	v_and_b32_e32 v44, 7, v52
	v_cmp_gt_u32_e32 vcc, 8, v20
	v_cndmask_b32_e32 v20, v40, v42, vcc
	v_cndmask_b32_e32 v34, v34, v44, vcc
	v_lshlrev_b32_e32 v40, 24, v18
	v_lshlrev_b32_e32 v34, 20, v34
	v_and_b32_e32 v40, 0x80000000, v40
	v_lshl_add_u32 v20, v20, 23, v38
	v_or3_b32 v20, v40, v20, v34
	v_lshrrev_b32_e32 v34, 16, v20
.LBB899_45:                             ;   in Loop: Header=BB899_17 Depth=1
	s_or_b64 exec, exec, s[10:11]
.LBB899_46:                             ;   in Loop: Header=BB899_17 Depth=1
	s_or_b64 exec, exec, s[6:7]
.LBB899_47:                             ;   in Loop: Header=BB899_17 Depth=1
	s_or_b64 exec, exec, s[4:5]
	v_lshrrev_b16_e32 v20, 8, v18
	v_cmp_ne_u16_e32 vcc, 0, v20
	s_and_saveexec_b64 s[4:5], vcc
	s_cbranch_execz .LBB899_53
; %bb.48:                               ;   in Loop: Header=BB899_17 Depth=1
	v_cmp_ne_u16_e32 vcc, s13, v20
	v_mov_b32_e32 v30, 0xffff8000
	s_and_saveexec_b64 s[6:7], vcc
	s_cbranch_execz .LBB899_52
; %bb.49:                               ;   in Loop: Header=BB899_17 Depth=1
	v_and_b32_e32 v40, 0x7f, v20
	v_cmp_ne_u32_e32 vcc, s14, v40
	v_mov_b32_e32 v30, 0x7f80
	s_and_saveexec_b64 s[10:11], vcc
	s_cbranch_execz .LBB899_51
; %bb.50:                               ;   in Loop: Header=BB899_17 Depth=1
	v_and_b32_e32 v30, 7, v20
	v_ffbh_u32_e32 v44, v30
	v_min_u32_e32 v44, 32, v44
	v_subrev_u32_e32 v52, 28, v44
	v_lshlrev_b64 v[52:53], v52, v[20:21]
	v_lshrrev_b32_e32 v42, 3, v40
	v_sub_u32_e32 v20, 29, v44
	v_and_b32_e32 v44, 7, v52
	v_cmp_gt_u32_e32 vcc, 8, v40
	v_cndmask_b32_e32 v20, v42, v20, vcc
	v_cndmask_b32_e32 v30, v30, v44, vcc
	v_lshlrev_b32_e32 v40, 16, v18
	v_lshlrev_b32_e32 v30, 20, v30
	v_and_b32_e32 v40, 0x80000000, v40
	v_lshl_add_u32 v20, v20, 23, v38
	v_or3_b32 v20, v40, v20, v30
	v_lshrrev_b32_e32 v30, 16, v20
.LBB899_51:                             ;   in Loop: Header=BB899_17 Depth=1
	s_or_b64 exec, exec, s[10:11]
.LBB899_52:                             ;   in Loop: Header=BB899_17 Depth=1
	s_or_b64 exec, exec, s[6:7]
.LBB899_53:                             ;   in Loop: Header=BB899_17 Depth=1
	s_or_b64 exec, exec, s[4:5]
	v_lshrrev_b32_e32 v20, 16, v18
	v_cmp_ne_u16_sdwa s[6:7], v20, v35 src0_sel:BYTE_0 src1_sel:DWORD
	v_mov_b32_e32 v42, 0
	v_mov_b32_e32 v40, 0
	s_and_saveexec_b64 s[4:5], s[6:7]
	s_cbranch_execz .LBB899_59
; %bb.54:                               ;   in Loop: Header=BB899_17 Depth=1
	v_cmp_ne_u16_sdwa s[10:11], v20, s13 src0_sel:BYTE_0 src1_sel:DWORD
	v_mov_b32_e32 v40, 0xffff8000
	s_and_saveexec_b64 s[6:7], s[10:11]
	s_cbranch_execz .LBB899_58
; %bb.55:                               ;   in Loop: Header=BB899_17 Depth=1
	v_bfe_u32 v44, v18, 16, 7
	v_cmp_ne_u32_e32 vcc, s14, v44
	v_mov_b32_e32 v40, 0x7f80
	s_and_saveexec_b64 s[10:11], vcc
	s_cbranch_execz .LBB899_57
; %bb.56:                               ;   in Loop: Header=BB899_17 Depth=1
	v_and_b32_e32 v40, 7, v20
	v_ffbh_u32_e32 v52, v40
	v_min_u32_e32 v55, 32, v52
	v_subrev_u32_e32 v52, 28, v55
	v_lshlrev_b64 v[52:53], v52, v[20:21]
	v_lshrrev_b32_e32 v54, 3, v44
	v_sub_u32_e32 v53, 29, v55
	v_and_b32_e32 v52, 7, v52
	v_cmp_gt_u32_e32 vcc, 8, v44
	v_cndmask_b32_e32 v44, v54, v53, vcc
	v_cndmask_b32_e32 v40, v40, v52, vcc
	v_lshlrev_b32_e32 v20, 24, v20
	v_lshlrev_b32_e32 v40, 20, v40
	v_and_b32_e32 v20, 0x80000000, v20
	v_lshl_add_u32 v44, v44, 23, v38
	v_or3_b32 v20, v20, v44, v40
	v_lshrrev_b32_e32 v40, 16, v20
.LBB899_57:                             ;   in Loop: Header=BB899_17 Depth=1
	s_or_b64 exec, exec, s[10:11]
.LBB899_58:                             ;   in Loop: Header=BB899_17 Depth=1
	s_or_b64 exec, exec, s[6:7]
.LBB899_59:                             ;   in Loop: Header=BB899_17 Depth=1
	s_or_b64 exec, exec, s[4:5]
	v_cmp_lt_u32_e32 vcc, s15, v18
	s_and_saveexec_b64 s[4:5], vcc
	s_cbranch_execz .LBB899_65
; %bb.60:                               ;   in Loop: Header=BB899_17 Depth=1
	v_lshrrev_b32_e32 v20, 24, v18
	v_cmp_ne_u32_e32 vcc, s13, v20
	v_mov_b32_e32 v42, 0xffff8000
	s_and_saveexec_b64 s[6:7], vcc
	s_cbranch_execz .LBB899_64
; %bb.61:                               ;   in Loop: Header=BB899_17 Depth=1
	v_bfe_u32 v18, v18, 24, 7
	v_cmp_ne_u32_e32 vcc, s14, v18
	v_mov_b32_e32 v42, 0x7f80
	s_and_saveexec_b64 s[10:11], vcc
	s_cbranch_execz .LBB899_63
; %bb.62:                               ;   in Loop: Header=BB899_17 Depth=1
	v_and_b32_e32 v42, 7, v20
	v_ffbh_u32_e32 v52, v42
	v_min_u32_e32 v54, 32, v52
	v_subrev_u32_e32 v52, 28, v54
	v_lshlrev_b64 v[52:53], v52, v[20:21]
	v_lshrrev_b32_e32 v44, 3, v18
	v_sub_u32_e32 v53, 29, v54
	v_and_b32_e32 v52, 7, v52
	v_cmp_gt_u32_e32 vcc, 8, v18
	v_cndmask_b32_e32 v18, v44, v53, vcc
	v_cndmask_b32_e32 v42, v42, v52, vcc
	v_lshlrev_b32_e32 v20, 24, v20
	v_lshlrev_b32_e32 v42, 20, v42
	v_and_b32_e32 v20, 0x80000000, v20
	v_lshl_add_u32 v18, v18, 23, v38
	v_or3_b32 v18, v20, v18, v42
	v_lshrrev_b32_e32 v42, 16, v18
.LBB899_63:                             ;   in Loop: Header=BB899_17 Depth=1
	s_or_b64 exec, exec, s[10:11]
.LBB899_64:                             ;   in Loop: Header=BB899_17 Depth=1
	s_or_b64 exec, exec, s[6:7]
.LBB899_65:                             ;   in Loop: Header=BB899_17 Depth=1
	s_or_b64 exec, exec, s[4:5]
	v_perm_b32 v53, v32, v23, s16
	v_perm_b32 v52, v19, v21, s16
	s_waitcnt vmcnt(1)
	v_cmp_ne_u16_sdwa s[6:7], v28, v35 src0_sel:BYTE_0 src1_sel:DWORD
	v_mov_b32_e32 v23, 0
	v_mov_b32_e32 v32, 0
	v_mfma_f32_16x16x16bf16_1k v[18:21], v[52:53], v[2:3], 0
	v_perm_b32 v53, v42, v40, s16
	v_perm_b32 v52, v30, v34, s16
	s_nop 1
	v_mfma_f32_16x16x16bf16_1k v[18:21], v[52:53], v[4:5], v[18:21]
	s_and_saveexec_b64 s[4:5], s[6:7]
	s_cbranch_execz .LBB899_71
; %bb.66:                               ;   in Loop: Header=BB899_17 Depth=1
	v_cmp_ne_u16_sdwa s[10:11], v28, s13 src0_sel:BYTE_0 src1_sel:DWORD
	v_mov_b32_e32 v32, 0xffff8000
	s_and_saveexec_b64 s[6:7], s[10:11]
	s_cbranch_execz .LBB899_70
; %bb.67:                               ;   in Loop: Header=BB899_17 Depth=1
	v_and_b32_e32 v30, 0x7f, v28
	v_cmp_ne_u32_e32 vcc, s14, v30
	v_mov_b32_e32 v32, 0x7f80
	s_and_saveexec_b64 s[10:11], vcc
	s_cbranch_execz .LBB899_69
; %bb.68:                               ;   in Loop: Header=BB899_17 Depth=1
	v_and_b32_e32 v32, 7, v28
	v_ffbh_u32_e32 v40, v32
	v_min_u32_e32 v40, 32, v40
	v_subrev_u32_e32 v42, 28, v40
	v_lshlrev_b64 v[52:53], v42, v[28:29]
	v_lshrrev_b32_e32 v34, 3, v30
	v_sub_u32_e32 v40, 29, v40
	v_and_b32_e32 v42, 7, v52
	v_cmp_gt_u32_e32 vcc, 8, v30
	v_cndmask_b32_e32 v30, v34, v40, vcc
	v_cndmask_b32_e32 v32, v32, v42, vcc
	v_lshlrev_b32_e32 v34, 24, v28
	v_lshlrev_b32_e32 v32, 20, v32
	v_and_b32_e32 v34, 0x80000000, v34
	v_lshl_add_u32 v30, v30, 23, v38
	v_or3_b32 v30, v34, v30, v32
	v_lshrrev_b32_e32 v32, 16, v30
.LBB899_69:                             ;   in Loop: Header=BB899_17 Depth=1
	s_or_b64 exec, exec, s[10:11]
.LBB899_70:                             ;   in Loop: Header=BB899_17 Depth=1
	s_or_b64 exec, exec, s[6:7]
.LBB899_71:                             ;   in Loop: Header=BB899_17 Depth=1
	s_or_b64 exec, exec, s[4:5]
	v_lshrrev_b16_e32 v30, 8, v28
	v_cmp_ne_u16_e32 vcc, 0, v30
	s_and_saveexec_b64 s[4:5], vcc
	s_cbranch_execz .LBB899_77
; %bb.72:                               ;   in Loop: Header=BB899_17 Depth=1
	v_cmp_ne_u16_e32 vcc, s13, v30
	v_mov_b32_e32 v23, 0xffff8000
	s_and_saveexec_b64 s[6:7], vcc
	s_cbranch_execz .LBB899_76
; %bb.73:                               ;   in Loop: Header=BB899_17 Depth=1
	v_and_b32_e32 v34, 0x7f, v30
	v_cmp_ne_u32_e32 vcc, s14, v34
	v_mov_b32_e32 v23, 0x7f80
	s_and_saveexec_b64 s[10:11], vcc
	s_cbranch_execz .LBB899_75
; %bb.74:                               ;   in Loop: Header=BB899_17 Depth=1
	v_and_b32_e32 v23, 7, v30
	v_ffbh_u32_e32 v42, v23
	v_min_u32_e32 v42, 32, v42
	v_subrev_u32_e32 v44, 28, v42
	v_lshlrev_b64 v[52:53], v44, v[30:31]
	v_lshrrev_b32_e32 v40, 3, v34
	v_sub_u32_e32 v30, 29, v42
	v_and_b32_e32 v42, 7, v52
	v_cmp_gt_u32_e32 vcc, 8, v34
	v_cndmask_b32_e32 v30, v40, v30, vcc
	v_cndmask_b32_e32 v23, v23, v42, vcc
	v_lshlrev_b32_e32 v34, 16, v28
	v_lshlrev_b32_e32 v23, 20, v23
	v_and_b32_e32 v34, 0x80000000, v34
	v_lshl_add_u32 v30, v30, 23, v38
	v_or3_b32 v23, v34, v30, v23
	v_lshrrev_b32_e32 v23, 16, v23
.LBB899_75:                             ;   in Loop: Header=BB899_17 Depth=1
	s_or_b64 exec, exec, s[10:11]
.LBB899_76:                             ;   in Loop: Header=BB899_17 Depth=1
	s_or_b64 exec, exec, s[6:7]
.LBB899_77:                             ;   in Loop: Header=BB899_17 Depth=1
	s_or_b64 exec, exec, s[4:5]
	v_lshrrev_b32_e32 v30, 16, v28
	v_cmp_ne_u16_sdwa s[6:7], v30, v35 src0_sel:BYTE_0 src1_sel:DWORD
	v_mov_b32_e32 v40, 0
	v_mov_b32_e32 v34, 0
	s_and_saveexec_b64 s[4:5], s[6:7]
	s_cbranch_execz .LBB899_83
; %bb.78:                               ;   in Loop: Header=BB899_17 Depth=1
	v_cmp_ne_u16_sdwa s[10:11], v30, s13 src0_sel:BYTE_0 src1_sel:DWORD
	v_mov_b32_e32 v34, 0xffff8000
	s_and_saveexec_b64 s[6:7], s[10:11]
	s_cbranch_execz .LBB899_82
; %bb.79:                               ;   in Loop: Header=BB899_17 Depth=1
	v_bfe_u32 v42, v28, 16, 7
	v_cmp_ne_u32_e32 vcc, s14, v42
	v_mov_b32_e32 v34, 0x7f80
	s_and_saveexec_b64 s[10:11], vcc
	s_cbranch_execz .LBB899_81
; %bb.80:                               ;   in Loop: Header=BB899_17 Depth=1
	v_and_b32_e32 v34, 7, v30
	v_ffbh_u32_e32 v52, v34
	v_min_u32_e32 v54, 32, v52
	v_subrev_u32_e32 v52, 28, v54
	v_lshlrev_b64 v[52:53], v52, v[30:31]
	v_lshrrev_b32_e32 v44, 3, v42
	v_sub_u32_e32 v53, 29, v54
	v_and_b32_e32 v52, 7, v52
	v_cmp_gt_u32_e32 vcc, 8, v42
	v_cndmask_b32_e32 v42, v44, v53, vcc
	v_cndmask_b32_e32 v34, v34, v52, vcc
	v_lshlrev_b32_e32 v30, 24, v30
	v_lshlrev_b32_e32 v34, 20, v34
	v_and_b32_e32 v30, 0x80000000, v30
	v_lshl_add_u32 v42, v42, 23, v38
	v_or3_b32 v30, v30, v42, v34
	v_lshrrev_b32_e32 v34, 16, v30
.LBB899_81:                             ;   in Loop: Header=BB899_17 Depth=1
	s_or_b64 exec, exec, s[10:11]
.LBB899_82:                             ;   in Loop: Header=BB899_17 Depth=1
	s_or_b64 exec, exec, s[6:7]
.LBB899_83:                             ;   in Loop: Header=BB899_17 Depth=1
	s_or_b64 exec, exec, s[4:5]
	v_cmp_lt_u32_e32 vcc, s15, v28
	s_and_saveexec_b64 s[4:5], vcc
	s_cbranch_execz .LBB899_89
; %bb.84:                               ;   in Loop: Header=BB899_17 Depth=1
	v_lshrrev_b32_e32 v30, 24, v28
	v_cmp_ne_u32_e32 vcc, s13, v30
	v_mov_b32_e32 v40, 0xffff8000
	s_and_saveexec_b64 s[6:7], vcc
	s_cbranch_execz .LBB899_88
; %bb.85:                               ;   in Loop: Header=BB899_17 Depth=1
	v_bfe_u32 v28, v28, 24, 7
	v_cmp_ne_u32_e32 vcc, s14, v28
	v_mov_b32_e32 v40, 0x7f80
	s_and_saveexec_b64 s[10:11], vcc
	s_cbranch_execz .LBB899_87
; %bb.86:                               ;   in Loop: Header=BB899_17 Depth=1
	v_and_b32_e32 v40, 7, v30
	v_ffbh_u32_e32 v44, v40
	v_min_u32_e32 v44, 32, v44
	v_subrev_u32_e32 v52, 28, v44
	v_lshlrev_b64 v[52:53], v52, v[30:31]
	v_lshrrev_b32_e32 v42, 3, v28
	v_sub_u32_e32 v44, 29, v44
	v_and_b32_e32 v52, 7, v52
	v_cmp_gt_u32_e32 vcc, 8, v28
	v_cndmask_b32_e32 v28, v42, v44, vcc
	v_cndmask_b32_e32 v40, v40, v52, vcc
	v_lshlrev_b32_e32 v30, 24, v30
	v_lshlrev_b32_e32 v40, 20, v40
	v_and_b32_e32 v30, 0x80000000, v30
	v_lshl_add_u32 v28, v28, 23, v38
	v_or3_b32 v28, v30, v28, v40
	v_lshrrev_b32_e32 v40, 16, v28
.LBB899_87:                             ;   in Loop: Header=BB899_17 Depth=1
	s_or_b64 exec, exec, s[10:11]
.LBB899_88:                             ;   in Loop: Header=BB899_17 Depth=1
	s_or_b64 exec, exec, s[6:7]
.LBB899_89:                             ;   in Loop: Header=BB899_17 Depth=1
	s_or_b64 exec, exec, s[4:5]
	s_waitcnt vmcnt(0)
	v_cmp_ne_u16_sdwa s[6:7], v26, v35 src0_sel:BYTE_0 src1_sel:DWORD
	v_mov_b32_e32 v42, 0
	v_mov_b32_e32 v44, 0
	s_and_saveexec_b64 s[4:5], s[6:7]
	s_cbranch_execz .LBB899_95
; %bb.90:                               ;   in Loop: Header=BB899_17 Depth=1
	v_cmp_ne_u16_sdwa s[10:11], v26, s13 src0_sel:BYTE_0 src1_sel:DWORD
	v_mov_b32_e32 v44, 0xffff8000
	s_and_saveexec_b64 s[6:7], s[10:11]
	s_cbranch_execz .LBB899_94
; %bb.91:                               ;   in Loop: Header=BB899_17 Depth=1
	v_and_b32_e32 v28, 0x7f, v26
	v_cmp_ne_u32_e32 vcc, s14, v28
	v_mov_b32_e32 v44, 0x7f80
	s_and_saveexec_b64 s[10:11], vcc
	s_cbranch_execz .LBB899_93
; %bb.92:                               ;   in Loop: Header=BB899_17 Depth=1
	v_and_b32_e32 v30, 7, v26
	v_ffbh_u32_e32 v52, v30
	v_min_u32_e32 v54, 32, v52
	v_subrev_u32_e32 v52, 28, v54
	v_lshlrev_b64 v[52:53], v52, v[26:27]
	v_lshrrev_b32_e32 v44, 3, v28
	v_sub_u32_e32 v53, 29, v54
	v_and_b32_e32 v52, 7, v52
	v_cmp_gt_u32_e32 vcc, 8, v28
	v_cndmask_b32_e32 v28, v44, v53, vcc
	v_cndmask_b32_e32 v30, v30, v52, vcc
	v_lshlrev_b32_e32 v44, 24, v26
	v_lshlrev_b32_e32 v30, 20, v30
	v_and_b32_e32 v44, 0x80000000, v44
	v_lshl_add_u32 v28, v28, 23, v38
	v_or3_b32 v28, v44, v28, v30
	v_lshrrev_b32_e32 v44, 16, v28
.LBB899_93:                             ;   in Loop: Header=BB899_17 Depth=1
	s_or_b64 exec, exec, s[10:11]
.LBB899_94:                             ;   in Loop: Header=BB899_17 Depth=1
	s_or_b64 exec, exec, s[6:7]
.LBB899_95:                             ;   in Loop: Header=BB899_17 Depth=1
	s_or_b64 exec, exec, s[4:5]
	v_lshrrev_b16_e32 v28, 8, v26
	v_cmp_ne_u16_e32 vcc, 0, v28
	s_and_saveexec_b64 s[4:5], vcc
	s_cbranch_execz .LBB899_101
; %bb.96:                               ;   in Loop: Header=BB899_17 Depth=1
	v_cmp_ne_u16_e32 vcc, s13, v28
	v_mov_b32_e32 v42, 0xffff8000
	s_and_saveexec_b64 s[6:7], vcc
	s_cbranch_execz .LBB899_100
; %bb.97:                               ;   in Loop: Header=BB899_17 Depth=1
	v_and_b32_e32 v30, 0x7f, v28
	v_cmp_ne_u32_e32 vcc, s14, v30
	v_mov_b32_e32 v42, 0x7f80
	s_and_saveexec_b64 s[10:11], vcc
	s_cbranch_execz .LBB899_99
; %bb.98:                               ;   in Loop: Header=BB899_17 Depth=1
	v_and_b32_e32 v42, 7, v28
	v_ffbh_u32_e32 v52, v42
	v_min_u32_e32 v55, 32, v52
	v_subrev_u32_e32 v52, 28, v55
	v_lshlrev_b64 v[52:53], v52, v[28:29]
	v_lshrrev_b32_e32 v54, 3, v30
	v_sub_u32_e32 v28, 29, v55
	v_and_b32_e32 v52, 7, v52
	v_cmp_gt_u32_e32 vcc, 8, v30
	v_cndmask_b32_e32 v28, v54, v28, vcc
	v_cndmask_b32_e32 v30, v42, v52, vcc
	v_lshlrev_b32_e32 v42, 16, v26
	v_lshlrev_b32_e32 v30, 20, v30
	v_and_b32_e32 v42, 0x80000000, v42
	v_lshl_add_u32 v28, v28, 23, v38
	v_or3_b32 v28, v42, v28, v30
	v_lshrrev_b32_e32 v42, 16, v28
.LBB899_99:                             ;   in Loop: Header=BB899_17 Depth=1
	s_or_b64 exec, exec, s[10:11]
.LBB899_100:                            ;   in Loop: Header=BB899_17 Depth=1
	s_or_b64 exec, exec, s[6:7]
.LBB899_101:                            ;   in Loop: Header=BB899_17 Depth=1
	s_or_b64 exec, exec, s[4:5]
	v_lshrrev_b32_e32 v28, 16, v26
	v_cmp_ne_u16_sdwa s[6:7], v28, v35 src0_sel:BYTE_0 src1_sel:DWORD
	v_mov_b32_e32 v53, 0
	v_mov_b32_e32 v52, 0
	s_and_saveexec_b64 s[4:5], s[6:7]
	s_cbranch_execz .LBB899_107
; %bb.102:                              ;   in Loop: Header=BB899_17 Depth=1
	v_cmp_ne_u16_sdwa s[10:11], v28, s13 src0_sel:BYTE_0 src1_sel:DWORD
	v_mov_b32_e32 v52, 0xffff8000
	s_and_saveexec_b64 s[6:7], s[10:11]
	s_cbranch_execz .LBB899_106
; %bb.103:                              ;   in Loop: Header=BB899_17 Depth=1
	v_bfe_u32 v30, v26, 16, 7
	v_cmp_ne_u32_e32 vcc, s14, v30
	v_mov_b32_e32 v52, 0x7f80
	s_and_saveexec_b64 s[10:11], vcc
	s_cbranch_execz .LBB899_105
; %bb.104:                              ;   in Loop: Header=BB899_17 Depth=1
	v_and_b32_e32 v52, 7, v28
	v_ffbh_u32_e32 v54, v52
	v_min_u32_e32 v57, 32, v54
	v_subrev_u32_e32 v54, 28, v57
	v_lshlrev_b64 v[54:55], v54, v[28:29]
	v_lshrrev_b32_e32 v56, 3, v30
	v_sub_u32_e32 v55, 29, v57
	v_and_b32_e32 v54, 7, v54
	v_cmp_gt_u32_e32 vcc, 8, v30
	v_cndmask_b32_e32 v30, v56, v55, vcc
	v_cndmask_b32_e32 v52, v52, v54, vcc
	v_lshlrev_b32_e32 v28, 24, v28
	v_lshlrev_b32_e32 v52, 20, v52
	v_and_b32_e32 v28, 0x80000000, v28
	v_lshl_add_u32 v30, v30, 23, v38
	v_or3_b32 v28, v28, v30, v52
	v_lshrrev_b32_e32 v52, 16, v28
.LBB899_105:                            ;   in Loop: Header=BB899_17 Depth=1
	s_or_b64 exec, exec, s[10:11]
.LBB899_106:                            ;   in Loop: Header=BB899_17 Depth=1
	s_or_b64 exec, exec, s[6:7]
.LBB899_107:                            ;   in Loop: Header=BB899_17 Depth=1
	s_or_b64 exec, exec, s[4:5]
	v_cmp_lt_u32_e32 vcc, s15, v26
	s_and_saveexec_b64 s[4:5], vcc
	s_cbranch_execz .LBB899_113
; %bb.108:                              ;   in Loop: Header=BB899_17 Depth=1
	v_lshrrev_b32_e32 v28, 24, v26
	v_cmp_ne_u32_e32 vcc, s13, v28
	v_mov_b32_e32 v53, 0xffff8000
	s_and_saveexec_b64 s[6:7], vcc
	s_cbranch_execz .LBB899_112
; %bb.109:                              ;   in Loop: Header=BB899_17 Depth=1
	v_bfe_u32 v26, v26, 24, 7
	v_cmp_ne_u32_e32 vcc, s14, v26
	v_mov_b32_e32 v53, 0x7f80
	s_and_saveexec_b64 s[10:11], vcc
	s_cbranch_execz .LBB899_111
; %bb.110:                              ;   in Loop: Header=BB899_17 Depth=1
	v_and_b32_e32 v30, 7, v28
	v_ffbh_u32_e32 v54, v30
	v_min_u32_e32 v56, 32, v54
	v_subrev_u32_e32 v54, 28, v56
	v_lshlrev_b64 v[54:55], v54, v[28:29]
	v_lshrrev_b32_e32 v53, 3, v26
	v_sub_u32_e32 v55, 29, v56
	v_and_b32_e32 v54, 7, v54
	v_cmp_gt_u32_e32 vcc, 8, v26
	v_cndmask_b32_e32 v26, v53, v55, vcc
	v_cndmask_b32_e32 v30, v30, v54, vcc
	v_lshlrev_b32_e32 v28, 24, v28
	v_lshlrev_b32_e32 v30, 20, v30
	v_and_b32_e32 v28, 0x80000000, v28
	v_lshl_add_u32 v26, v26, 23, v38
	v_or3_b32 v26, v28, v26, v30
	v_lshrrev_b32_e32 v53, 16, v26
.LBB899_111:                            ;   in Loop: Header=BB899_17 Depth=1
	s_or_b64 exec, exec, s[10:11]
.LBB899_112:                            ;   in Loop: Header=BB899_17 Depth=1
	s_or_b64 exec, exec, s[6:7]
.LBB899_113:                            ;   in Loop: Header=BB899_17 Depth=1
	s_or_b64 exec, exec, s[4:5]
	v_perm_b32 v54, v23, v32, s16
	buffer_load_dword v32, v36, s[0:3], 0 offen offset:16
	buffer_load_dword v30, v36, s[0:3], 0 offen offset:20
	;; [unrolled: 1-line block ×4, first 2 shown]
	v_perm_b32 v55, v40, v34, s16
	v_perm_b32 v53, v53, v52, s16
	;; [unrolled: 1-line block ×3, first 2 shown]
	v_mfma_f32_16x16x16bf16_1k v[18:21], v[54:55], v[6:7], v[18:21]
	v_mov_b32_e32 v23, 0
	v_mov_b32_e32 v40, 0
	s_waitcnt vmcnt(3)
	v_cmp_ne_u16_sdwa s[6:7], v32, v35 src0_sel:BYTE_0 src1_sel:DWORD
	v_mfma_f32_16x16x16bf16_1k v[18:21], v[52:53], v[8:9], v[18:21]
	s_and_saveexec_b64 s[4:5], s[6:7]
	s_cbranch_execz .LBB899_119
; %bb.114:                              ;   in Loop: Header=BB899_17 Depth=1
	v_cmp_ne_u16_sdwa s[10:11], v32, s13 src0_sel:BYTE_0 src1_sel:DWORD
	v_mov_b32_e32 v40, 0xffff8000
	s_and_saveexec_b64 s[6:7], s[10:11]
	s_cbranch_execz .LBB899_118
; %bb.115:                              ;   in Loop: Header=BB899_17 Depth=1
	v_and_b32_e32 v34, 0x7f, v32
	v_cmp_ne_u32_e32 vcc, s14, v34
	v_mov_b32_e32 v40, 0x7f80
	s_and_saveexec_b64 s[10:11], vcc
	s_cbranch_execz .LBB899_117
; %bb.116:                              ;   in Loop: Header=BB899_17 Depth=1
	v_and_b32_e32 v40, 7, v32
	v_ffbh_u32_e32 v44, v40
	v_min_u32_e32 v44, 32, v44
	v_subrev_u32_e32 v52, 28, v44
	v_lshlrev_b64 v[52:53], v52, v[32:33]
	v_lshrrev_b32_e32 v42, 3, v34
	v_sub_u32_e32 v44, 29, v44
	v_and_b32_e32 v52, 7, v52
	v_cmp_gt_u32_e32 vcc, 8, v34
	v_cndmask_b32_e32 v34, v42, v44, vcc
	v_cndmask_b32_e32 v40, v40, v52, vcc
	v_lshlrev_b32_e32 v42, 24, v32
	v_lshlrev_b32_e32 v40, 20, v40
	v_and_b32_e32 v42, 0x80000000, v42
	v_lshl_add_u32 v34, v34, 23, v38
	v_or3_b32 v34, v42, v34, v40
	v_lshrrev_b32_e32 v40, 16, v34
.LBB899_117:                            ;   in Loop: Header=BB899_17 Depth=1
	s_or_b64 exec, exec, s[10:11]
.LBB899_118:                            ;   in Loop: Header=BB899_17 Depth=1
	s_or_b64 exec, exec, s[6:7]
.LBB899_119:                            ;   in Loop: Header=BB899_17 Depth=1
	s_or_b64 exec, exec, s[4:5]
	v_lshrrev_b16_e32 v34, 8, v32
	v_cmp_ne_u16_e32 vcc, 0, v34
	s_and_saveexec_b64 s[4:5], vcc
	s_cbranch_execz .LBB899_125
; %bb.120:                              ;   in Loop: Header=BB899_17 Depth=1
	v_cmp_ne_u16_e32 vcc, s13, v34
	v_mov_b32_e32 v23, 0xffff8000
	s_and_saveexec_b64 s[6:7], vcc
	s_cbranch_execz .LBB899_124
; %bb.121:                              ;   in Loop: Header=BB899_17 Depth=1
	v_and_b32_e32 v42, 0x7f, v34
	v_cmp_ne_u32_e32 vcc, s14, v42
	v_mov_b32_e32 v23, 0x7f80
	s_and_saveexec_b64 s[10:11], vcc
	s_cbranch_execz .LBB899_123
; %bb.122:                              ;   in Loop: Header=BB899_17 Depth=1
	v_and_b32_e32 v23, 7, v34
	v_ffbh_u32_e32 v52, v23
	v_min_u32_e32 v54, 32, v52
	v_subrev_u32_e32 v52, 28, v54
	v_lshlrev_b64 v[52:53], v52, v[34:35]
	v_lshrrev_b32_e32 v44, 3, v42
	v_sub_u32_e32 v34, 29, v54
	v_and_b32_e32 v52, 7, v52
	v_cmp_gt_u32_e32 vcc, 8, v42
	v_cndmask_b32_e32 v34, v44, v34, vcc
	v_cndmask_b32_e32 v23, v23, v52, vcc
	v_lshlrev_b32_e32 v42, 16, v32
	v_lshlrev_b32_e32 v23, 20, v23
	v_and_b32_e32 v42, 0x80000000, v42
	v_lshl_add_u32 v34, v34, 23, v38
	v_or3_b32 v23, v42, v34, v23
	v_lshrrev_b32_e32 v23, 16, v23
.LBB899_123:                            ;   in Loop: Header=BB899_17 Depth=1
	s_or_b64 exec, exec, s[10:11]
.LBB899_124:                            ;   in Loop: Header=BB899_17 Depth=1
	s_or_b64 exec, exec, s[6:7]
.LBB899_125:                            ;   in Loop: Header=BB899_17 Depth=1
	s_or_b64 exec, exec, s[4:5]
	v_lshrrev_b32_e32 v34, 16, v32
	v_cmp_ne_u16_sdwa s[6:7], v34, v35 src0_sel:BYTE_0 src1_sel:DWORD
	v_mov_b32_e32 v44, 0
	v_mov_b32_e32 v42, 0
	s_and_saveexec_b64 s[4:5], s[6:7]
	s_cbranch_execz .LBB899_131
; %bb.126:                              ;   in Loop: Header=BB899_17 Depth=1
	v_cmp_ne_u16_sdwa s[10:11], v34, s13 src0_sel:BYTE_0 src1_sel:DWORD
	v_mov_b32_e32 v42, 0xffff8000
	s_and_saveexec_b64 s[6:7], s[10:11]
	s_cbranch_execz .LBB899_130
; %bb.127:                              ;   in Loop: Header=BB899_17 Depth=1
	v_bfe_u32 v52, v32, 16, 7
	v_cmp_ne_u32_e32 vcc, s14, v52
	v_mov_b32_e32 v42, 0x7f80
	s_and_saveexec_b64 s[10:11], vcc
	s_cbranch_execz .LBB899_129
; %bb.128:                              ;   in Loop: Header=BB899_17 Depth=1
	v_and_b32_e32 v42, 7, v34
	v_ffbh_u32_e32 v54, v42
	v_min_u32_e32 v56, 32, v54
	v_subrev_u32_e32 v54, 28, v56
	v_lshlrev_b64 v[54:55], v54, v[34:35]
	v_lshrrev_b32_e32 v53, 3, v52
	v_sub_u32_e32 v55, 29, v56
	v_and_b32_e32 v54, 7, v54
	v_cmp_gt_u32_e32 vcc, 8, v52
	v_cndmask_b32_e32 v52, v53, v55, vcc
	v_cndmask_b32_e32 v42, v42, v54, vcc
	v_lshlrev_b32_e32 v34, 24, v34
	v_lshlrev_b32_e32 v42, 20, v42
	v_and_b32_e32 v34, 0x80000000, v34
	v_lshl_add_u32 v52, v52, 23, v38
	v_or3_b32 v34, v34, v52, v42
	v_lshrrev_b32_e32 v42, 16, v34
.LBB899_129:                            ;   in Loop: Header=BB899_17 Depth=1
	s_or_b64 exec, exec, s[10:11]
.LBB899_130:                            ;   in Loop: Header=BB899_17 Depth=1
	s_or_b64 exec, exec, s[6:7]
.LBB899_131:                            ;   in Loop: Header=BB899_17 Depth=1
	s_or_b64 exec, exec, s[4:5]
	v_cmp_lt_u32_e32 vcc, s15, v32
	s_and_saveexec_b64 s[4:5], vcc
	s_cbranch_execz .LBB899_137
; %bb.132:                              ;   in Loop: Header=BB899_17 Depth=1
	v_lshrrev_b32_e32 v34, 24, v32
	v_cmp_ne_u32_e32 vcc, s13, v34
	v_mov_b32_e32 v44, 0xffff8000
	s_and_saveexec_b64 s[6:7], vcc
	s_cbranch_execz .LBB899_136
; %bb.133:                              ;   in Loop: Header=BB899_17 Depth=1
	v_bfe_u32 v32, v32, 24, 7
	v_cmp_ne_u32_e32 vcc, s14, v32
	v_mov_b32_e32 v44, 0x7f80
	s_and_saveexec_b64 s[10:11], vcc
	s_cbranch_execz .LBB899_135
; %bb.134:                              ;   in Loop: Header=BB899_17 Depth=1
	v_and_b32_e32 v44, 7, v34
	v_ffbh_u32_e32 v52, v44
	v_min_u32_e32 v55, 32, v52
	v_subrev_u32_e32 v52, 28, v55
	v_lshlrev_b64 v[52:53], v52, v[34:35]
	v_lshrrev_b32_e32 v54, 3, v32
	v_sub_u32_e32 v53, 29, v55
	v_and_b32_e32 v52, 7, v52
	v_cmp_gt_u32_e32 vcc, 8, v32
	v_cndmask_b32_e32 v32, v54, v53, vcc
	v_cndmask_b32_e32 v44, v44, v52, vcc
	v_lshlrev_b32_e32 v34, 24, v34
	v_lshlrev_b32_e32 v44, 20, v44
	v_and_b32_e32 v34, 0x80000000, v34
	v_lshl_add_u32 v32, v32, 23, v38
	v_or3_b32 v32, v34, v32, v44
	v_lshrrev_b32_e32 v44, 16, v32
.LBB899_135:                            ;   in Loop: Header=BB899_17 Depth=1
	s_or_b64 exec, exec, s[10:11]
.LBB899_136:                            ;   in Loop: Header=BB899_17 Depth=1
	s_or_b64 exec, exec, s[6:7]
.LBB899_137:                            ;   in Loop: Header=BB899_17 Depth=1
	s_or_b64 exec, exec, s[4:5]
	s_waitcnt vmcnt(2)
	v_cmp_ne_u16_sdwa s[6:7], v30, v35 src0_sel:BYTE_0 src1_sel:DWORD
	v_mov_b32_e32 v34, 0
	v_mov_b32_e32 v52, 0
	s_and_saveexec_b64 s[4:5], s[6:7]
	s_cbranch_execz .LBB899_143
; %bb.138:                              ;   in Loop: Header=BB899_17 Depth=1
	v_cmp_ne_u16_sdwa s[10:11], v30, s13 src0_sel:BYTE_0 src1_sel:DWORD
	v_mov_b32_e32 v52, 0xffff8000
	s_and_saveexec_b64 s[6:7], s[10:11]
	s_cbranch_execz .LBB899_142
; %bb.139:                              ;   in Loop: Header=BB899_17 Depth=1
	v_and_b32_e32 v32, 0x7f, v30
	v_cmp_ne_u32_e32 vcc, s14, v32
	v_mov_b32_e32 v52, 0x7f80
	s_and_saveexec_b64 s[10:11], vcc
	s_cbranch_execz .LBB899_141
; %bb.140:                              ;   in Loop: Header=BB899_17 Depth=1
	v_and_b32_e32 v54, 7, v30
	v_ffbh_u32_e32 v52, v54
	v_min_u32_e32 v56, 32, v52
	v_subrev_u32_e32 v52, 28, v56
	v_lshlrev_b64 v[52:53], v52, v[30:31]
	v_lshrrev_b32_e32 v55, 3, v32
	v_sub_u32_e32 v53, 29, v56
	v_and_b32_e32 v52, 7, v52
	v_cmp_gt_u32_e32 vcc, 8, v32
	v_cndmask_b32_e32 v32, v55, v53, vcc
	v_cndmask_b32_e32 v52, v54, v52, vcc
	v_lshlrev_b32_e32 v53, 24, v30
	v_lshlrev_b32_e32 v52, 20, v52
	v_and_b32_e32 v53, 0x80000000, v53
	v_lshl_add_u32 v32, v32, 23, v38
	v_or3_b32 v32, v53, v32, v52
	v_lshrrev_b32_e32 v52, 16, v32
.LBB899_141:                            ;   in Loop: Header=BB899_17 Depth=1
	s_or_b64 exec, exec, s[10:11]
.LBB899_142:                            ;   in Loop: Header=BB899_17 Depth=1
	s_or_b64 exec, exec, s[6:7]
.LBB899_143:                            ;   in Loop: Header=BB899_17 Depth=1
	s_or_b64 exec, exec, s[4:5]
	v_lshrrev_b16_e32 v32, 8, v30
	v_cmp_ne_u16_e32 vcc, 0, v32
	s_and_saveexec_b64 s[4:5], vcc
	s_cbranch_execz .LBB899_149
; %bb.144:                              ;   in Loop: Header=BB899_17 Depth=1
	v_cmp_ne_u16_e32 vcc, s13, v32
	v_mov_b32_e32 v34, 0xffff8000
	s_and_saveexec_b64 s[6:7], vcc
	s_cbranch_execz .LBB899_148
; %bb.145:                              ;   in Loop: Header=BB899_17 Depth=1
	v_and_b32_e32 v53, 0x7f, v32
	v_cmp_ne_u32_e32 vcc, s14, v53
	v_mov_b32_e32 v34, 0x7f80
	s_and_saveexec_b64 s[10:11], vcc
	s_cbranch_execz .LBB899_147
; %bb.146:                              ;   in Loop: Header=BB899_17 Depth=1
	v_and_b32_e32 v34, 7, v32
	v_ffbh_u32_e32 v54, v34
	v_min_u32_e32 v57, 32, v54
	v_subrev_u32_e32 v54, 28, v57
	v_lshlrev_b64 v[54:55], v54, v[32:33]
	v_lshrrev_b32_e32 v56, 3, v53
	v_sub_u32_e32 v32, 29, v57
	v_and_b32_e32 v54, 7, v54
	v_cmp_gt_u32_e32 vcc, 8, v53
	v_cndmask_b32_e32 v32, v56, v32, vcc
	v_cndmask_b32_e32 v34, v34, v54, vcc
	v_lshlrev_b32_e32 v53, 16, v30
	v_lshlrev_b32_e32 v34, 20, v34
	v_and_b32_e32 v53, 0x80000000, v53
	v_lshl_add_u32 v32, v32, 23, v38
	v_or3_b32 v32, v53, v32, v34
	v_lshrrev_b32_e32 v34, 16, v32
.LBB899_147:                            ;   in Loop: Header=BB899_17 Depth=1
	s_or_b64 exec, exec, s[10:11]
.LBB899_148:                            ;   in Loop: Header=BB899_17 Depth=1
	s_or_b64 exec, exec, s[6:7]
.LBB899_149:                            ;   in Loop: Header=BB899_17 Depth=1
	s_or_b64 exec, exec, s[4:5]
	v_lshrrev_b32_e32 v32, 16, v30
	v_cmp_ne_u16_sdwa s[6:7], v32, v35 src0_sel:BYTE_0 src1_sel:DWORD
	v_mov_b32_e32 v54, 0
	v_mov_b32_e32 v53, 0
	s_and_saveexec_b64 s[4:5], s[6:7]
	s_cbranch_execz .LBB899_155
; %bb.150:                              ;   in Loop: Header=BB899_17 Depth=1
	v_cmp_ne_u16_sdwa s[10:11], v32, s13 src0_sel:BYTE_0 src1_sel:DWORD
	v_mov_b32_e32 v53, 0xffff8000
	s_and_saveexec_b64 s[6:7], s[10:11]
	s_cbranch_execz .LBB899_154
; %bb.151:                              ;   in Loop: Header=BB899_17 Depth=1
	v_bfe_u32 v55, v30, 16, 7
	v_cmp_ne_u32_e32 vcc, s14, v55
	v_mov_b32_e32 v53, 0x7f80
	s_and_saveexec_b64 s[10:11], vcc
	s_cbranch_execz .LBB899_153
; %bb.152:                              ;   in Loop: Header=BB899_17 Depth=1
	v_and_b32_e32 v53, 7, v32
	v_ffbh_u32_e32 v56, v53
	v_min_u32_e32 v59, 32, v56
	v_subrev_u32_e32 v56, 28, v59
	v_lshlrev_b64 v[56:57], v56, v[32:33]
	v_lshrrev_b32_e32 v58, 3, v55
	v_sub_u32_e32 v57, 29, v59
	v_and_b32_e32 v56, 7, v56
	v_cmp_gt_u32_e32 vcc, 8, v55
	v_cndmask_b32_e32 v55, v58, v57, vcc
	v_cndmask_b32_e32 v53, v53, v56, vcc
	v_lshlrev_b32_e32 v32, 24, v32
	v_lshlrev_b32_e32 v53, 20, v53
	v_and_b32_e32 v32, 0x80000000, v32
	v_lshl_add_u32 v55, v55, 23, v38
	v_or3_b32 v32, v32, v55, v53
	v_lshrrev_b32_e32 v53, 16, v32
.LBB899_153:                            ;   in Loop: Header=BB899_17 Depth=1
	s_or_b64 exec, exec, s[10:11]
.LBB899_154:                            ;   in Loop: Header=BB899_17 Depth=1
	s_or_b64 exec, exec, s[6:7]
.LBB899_155:                            ;   in Loop: Header=BB899_17 Depth=1
	s_or_b64 exec, exec, s[4:5]
	v_cmp_lt_u32_e32 vcc, s15, v30
	s_and_saveexec_b64 s[4:5], vcc
	s_cbranch_execz .LBB899_161
; %bb.156:                              ;   in Loop: Header=BB899_17 Depth=1
	v_lshrrev_b32_e32 v32, 24, v30
	v_cmp_ne_u32_e32 vcc, s13, v32
	v_mov_b32_e32 v54, 0xffff8000
	s_and_saveexec_b64 s[6:7], vcc
	s_cbranch_execz .LBB899_160
; %bb.157:                              ;   in Loop: Header=BB899_17 Depth=1
	v_bfe_u32 v30, v30, 24, 7
	v_cmp_ne_u32_e32 vcc, s14, v30
	v_mov_b32_e32 v54, 0x7f80
	s_and_saveexec_b64 s[10:11], vcc
	s_cbranch_execz .LBB899_159
; %bb.158:                              ;   in Loop: Header=BB899_17 Depth=1
	v_and_b32_e32 v56, 7, v32
	v_ffbh_u32_e32 v54, v56
	v_min_u32_e32 v58, 32, v54
	v_subrev_u32_e32 v54, 28, v58
	v_lshlrev_b64 v[54:55], v54, v[32:33]
	v_lshrrev_b32_e32 v57, 3, v30
	v_sub_u32_e32 v55, 29, v58
	v_and_b32_e32 v54, 7, v54
	v_cmp_gt_u32_e32 vcc, 8, v30
	v_cndmask_b32_e32 v30, v57, v55, vcc
	v_cndmask_b32_e32 v54, v56, v54, vcc
	v_lshlrev_b32_e32 v32, 24, v32
	v_lshlrev_b32_e32 v54, 20, v54
	v_and_b32_e32 v32, 0x80000000, v32
	v_lshl_add_u32 v30, v30, 23, v38
	v_or3_b32 v30, v32, v30, v54
	v_lshrrev_b32_e32 v54, 16, v30
.LBB899_159:                            ;   in Loop: Header=BB899_17 Depth=1
	s_or_b64 exec, exec, s[10:11]
.LBB899_160:                            ;   in Loop: Header=BB899_17 Depth=1
	s_or_b64 exec, exec, s[6:7]
.LBB899_161:                            ;   in Loop: Header=BB899_17 Depth=1
	s_or_b64 exec, exec, s[4:5]
	v_perm_b32 v57, v44, v42, s16
	v_perm_b32 v56, v23, v40, s16
	;; [unrolled: 1-line block ×4, first 2 shown]
	s_waitcnt vmcnt(1)
	v_cmp_ne_u16_sdwa s[6:7], v28, v35 src0_sel:BYTE_0 src1_sel:DWORD
	v_mfma_f32_16x16x16bf16_1k v[18:21], v[56:57], v[10:11], v[18:21]
	v_mov_b32_e32 v23, 0
	v_mov_b32_e32 v32, 0
	v_mfma_f32_16x16x16bf16_1k v[18:21], v[52:53], v[12:13], v[18:21]
	s_and_saveexec_b64 s[4:5], s[6:7]
	s_cbranch_execz .LBB899_167
; %bb.162:                              ;   in Loop: Header=BB899_17 Depth=1
	v_cmp_ne_u16_sdwa s[10:11], v28, s13 src0_sel:BYTE_0 src1_sel:DWORD
	v_mov_b32_e32 v32, 0xffff8000
	s_and_saveexec_b64 s[6:7], s[10:11]
	s_cbranch_execz .LBB899_166
; %bb.163:                              ;   in Loop: Header=BB899_17 Depth=1
	v_and_b32_e32 v30, 0x7f, v28
	v_cmp_ne_u32_e32 vcc, s14, v30
	v_mov_b32_e32 v32, 0x7f80
	s_and_saveexec_b64 s[10:11], vcc
	s_cbranch_execz .LBB899_165
; %bb.164:                              ;   in Loop: Header=BB899_17 Depth=1
	v_and_b32_e32 v32, 7, v28
	v_ffbh_u32_e32 v40, v32
	v_min_u32_e32 v40, 32, v40
	v_subrev_u32_e32 v42, 28, v40
	v_lshlrev_b64 v[52:53], v42, v[28:29]
	v_lshrrev_b32_e32 v34, 3, v30
	v_sub_u32_e32 v40, 29, v40
	v_and_b32_e32 v42, 7, v52
	v_cmp_gt_u32_e32 vcc, 8, v30
	v_cndmask_b32_e32 v30, v34, v40, vcc
	v_cndmask_b32_e32 v32, v32, v42, vcc
	v_lshlrev_b32_e32 v34, 24, v28
	v_lshlrev_b32_e32 v32, 20, v32
	v_and_b32_e32 v34, 0x80000000, v34
	v_lshl_add_u32 v30, v30, 23, v38
	v_or3_b32 v30, v34, v30, v32
	v_lshrrev_b32_e32 v32, 16, v30
.LBB899_165:                            ;   in Loop: Header=BB899_17 Depth=1
	s_or_b64 exec, exec, s[10:11]
.LBB899_166:                            ;   in Loop: Header=BB899_17 Depth=1
	s_or_b64 exec, exec, s[6:7]
.LBB899_167:                            ;   in Loop: Header=BB899_17 Depth=1
	s_or_b64 exec, exec, s[4:5]
	v_lshrrev_b16_e32 v30, 8, v28
	v_cmp_ne_u16_e32 vcc, 0, v30
	s_and_saveexec_b64 s[4:5], vcc
	s_cbranch_execz .LBB899_173
; %bb.168:                              ;   in Loop: Header=BB899_17 Depth=1
	v_cmp_ne_u16_e32 vcc, s13, v30
	v_mov_b32_e32 v23, 0xffff8000
	s_and_saveexec_b64 s[6:7], vcc
	s_cbranch_execz .LBB899_172
; %bb.169:                              ;   in Loop: Header=BB899_17 Depth=1
	v_and_b32_e32 v34, 0x7f, v30
	v_cmp_ne_u32_e32 vcc, s14, v34
	v_mov_b32_e32 v23, 0x7f80
	s_and_saveexec_b64 s[10:11], vcc
	s_cbranch_execz .LBB899_171
; %bb.170:                              ;   in Loop: Header=BB899_17 Depth=1
	v_and_b32_e32 v23, 7, v30
	v_ffbh_u32_e32 v42, v23
	v_min_u32_e32 v42, 32, v42
	v_subrev_u32_e32 v44, 28, v42
	v_lshlrev_b64 v[52:53], v44, v[30:31]
	v_lshrrev_b32_e32 v40, 3, v34
	v_sub_u32_e32 v30, 29, v42
	v_and_b32_e32 v42, 7, v52
	v_cmp_gt_u32_e32 vcc, 8, v34
	v_cndmask_b32_e32 v30, v40, v30, vcc
	v_cndmask_b32_e32 v23, v23, v42, vcc
	v_lshlrev_b32_e32 v34, 16, v28
	v_lshlrev_b32_e32 v23, 20, v23
	v_and_b32_e32 v34, 0x80000000, v34
	v_lshl_add_u32 v30, v30, 23, v38
	v_or3_b32 v23, v34, v30, v23
	v_lshrrev_b32_e32 v23, 16, v23
.LBB899_171:                            ;   in Loop: Header=BB899_17 Depth=1
	s_or_b64 exec, exec, s[10:11]
.LBB899_172:                            ;   in Loop: Header=BB899_17 Depth=1
	s_or_b64 exec, exec, s[6:7]
.LBB899_173:                            ;   in Loop: Header=BB899_17 Depth=1
	s_or_b64 exec, exec, s[4:5]
	v_lshrrev_b32_e32 v30, 16, v28
	v_cmp_ne_u16_sdwa s[6:7], v30, v35 src0_sel:BYTE_0 src1_sel:DWORD
	v_mov_b32_e32 v40, 0
	v_mov_b32_e32 v34, 0
	s_and_saveexec_b64 s[4:5], s[6:7]
	s_cbranch_execz .LBB899_179
; %bb.174:                              ;   in Loop: Header=BB899_17 Depth=1
	v_cmp_ne_u16_sdwa s[10:11], v30, s13 src0_sel:BYTE_0 src1_sel:DWORD
	v_mov_b32_e32 v34, 0xffff8000
	s_and_saveexec_b64 s[6:7], s[10:11]
	s_cbranch_execz .LBB899_178
; %bb.175:                              ;   in Loop: Header=BB899_17 Depth=1
	v_bfe_u32 v42, v28, 16, 7
	v_cmp_ne_u32_e32 vcc, s14, v42
	v_mov_b32_e32 v34, 0x7f80
	s_and_saveexec_b64 s[10:11], vcc
	s_cbranch_execz .LBB899_177
; %bb.176:                              ;   in Loop: Header=BB899_17 Depth=1
	v_and_b32_e32 v34, 7, v30
	v_ffbh_u32_e32 v52, v34
	v_min_u32_e32 v54, 32, v52
	v_subrev_u32_e32 v52, 28, v54
	v_lshlrev_b64 v[52:53], v52, v[30:31]
	v_lshrrev_b32_e32 v44, 3, v42
	v_sub_u32_e32 v53, 29, v54
	v_and_b32_e32 v52, 7, v52
	v_cmp_gt_u32_e32 vcc, 8, v42
	v_cndmask_b32_e32 v42, v44, v53, vcc
	v_cndmask_b32_e32 v34, v34, v52, vcc
	v_lshlrev_b32_e32 v30, 24, v30
	v_lshlrev_b32_e32 v34, 20, v34
	v_and_b32_e32 v30, 0x80000000, v30
	v_lshl_add_u32 v42, v42, 23, v38
	v_or3_b32 v30, v30, v42, v34
	v_lshrrev_b32_e32 v34, 16, v30
.LBB899_177:                            ;   in Loop: Header=BB899_17 Depth=1
	s_or_b64 exec, exec, s[10:11]
.LBB899_178:                            ;   in Loop: Header=BB899_17 Depth=1
	s_or_b64 exec, exec, s[6:7]
.LBB899_179:                            ;   in Loop: Header=BB899_17 Depth=1
	s_or_b64 exec, exec, s[4:5]
	v_cmp_lt_u32_e32 vcc, s15, v28
	s_and_saveexec_b64 s[4:5], vcc
	s_cbranch_execz .LBB899_185
; %bb.180:                              ;   in Loop: Header=BB899_17 Depth=1
	v_lshrrev_b32_e32 v30, 24, v28
	v_cmp_ne_u32_e32 vcc, s13, v30
	v_mov_b32_e32 v40, 0xffff8000
	s_and_saveexec_b64 s[6:7], vcc
	s_cbranch_execz .LBB899_184
; %bb.181:                              ;   in Loop: Header=BB899_17 Depth=1
	v_bfe_u32 v28, v28, 24, 7
	v_cmp_ne_u32_e32 vcc, s14, v28
	v_mov_b32_e32 v40, 0x7f80
	s_and_saveexec_b64 s[10:11], vcc
	s_cbranch_execz .LBB899_183
; %bb.182:                              ;   in Loop: Header=BB899_17 Depth=1
	v_and_b32_e32 v40, 7, v30
	v_ffbh_u32_e32 v44, v40
	v_min_u32_e32 v44, 32, v44
	v_subrev_u32_e32 v52, 28, v44
	v_lshlrev_b64 v[52:53], v52, v[30:31]
	v_lshrrev_b32_e32 v42, 3, v28
	v_sub_u32_e32 v44, 29, v44
	v_and_b32_e32 v52, 7, v52
	v_cmp_gt_u32_e32 vcc, 8, v28
	v_cndmask_b32_e32 v28, v42, v44, vcc
	v_cndmask_b32_e32 v40, v40, v52, vcc
	v_lshlrev_b32_e32 v30, 24, v30
	v_lshlrev_b32_e32 v40, 20, v40
	v_and_b32_e32 v30, 0x80000000, v30
	v_lshl_add_u32 v28, v28, 23, v38
	v_or3_b32 v28, v30, v28, v40
	v_lshrrev_b32_e32 v40, 16, v28
.LBB899_183:                            ;   in Loop: Header=BB899_17 Depth=1
	s_or_b64 exec, exec, s[10:11]
.LBB899_184:                            ;   in Loop: Header=BB899_17 Depth=1
	s_or_b64 exec, exec, s[6:7]
.LBB899_185:                            ;   in Loop: Header=BB899_17 Depth=1
	s_or_b64 exec, exec, s[4:5]
	s_waitcnt vmcnt(0)
	v_cmp_ne_u16_sdwa s[6:7], v26, v35 src0_sel:BYTE_0 src1_sel:DWORD
	v_mov_b32_e32 v30, 0
	v_mov_b32_e32 v42, 0
	s_and_saveexec_b64 s[4:5], s[6:7]
	s_cbranch_execz .LBB899_191
; %bb.186:                              ;   in Loop: Header=BB899_17 Depth=1
	v_cmp_ne_u16_sdwa s[10:11], v26, s13 src0_sel:BYTE_0 src1_sel:DWORD
	v_mov_b32_e32 v42, 0xffff8000
	s_and_saveexec_b64 s[6:7], s[10:11]
	s_cbranch_execz .LBB899_190
; %bb.187:                              ;   in Loop: Header=BB899_17 Depth=1
	v_and_b32_e32 v28, 0x7f, v26
	v_cmp_ne_u32_e32 vcc, s14, v28
	v_mov_b32_e32 v42, 0x7f80
	s_and_saveexec_b64 s[10:11], vcc
	s_cbranch_execz .LBB899_189
; %bb.188:                              ;   in Loop: Header=BB899_17 Depth=1
	v_and_b32_e32 v42, 7, v26
	v_ffbh_u32_e32 v52, v42
	v_min_u32_e32 v54, 32, v52
	v_subrev_u32_e32 v52, 28, v54
	v_lshlrev_b64 v[52:53], v52, v[26:27]
	v_lshrrev_b32_e32 v44, 3, v28
	v_sub_u32_e32 v53, 29, v54
	v_and_b32_e32 v52, 7, v52
	v_cmp_gt_u32_e32 vcc, 8, v28
	v_cndmask_b32_e32 v28, v44, v53, vcc
	v_cndmask_b32_e32 v42, v42, v52, vcc
	v_lshlrev_b32_e32 v44, 24, v26
	v_lshlrev_b32_e32 v42, 20, v42
	v_and_b32_e32 v44, 0x80000000, v44
	v_lshl_add_u32 v28, v28, 23, v38
	v_or3_b32 v28, v44, v28, v42
	v_lshrrev_b32_e32 v42, 16, v28
.LBB899_189:                            ;   in Loop: Header=BB899_17 Depth=1
	s_or_b64 exec, exec, s[10:11]
.LBB899_190:                            ;   in Loop: Header=BB899_17 Depth=1
	s_or_b64 exec, exec, s[6:7]
.LBB899_191:                            ;   in Loop: Header=BB899_17 Depth=1
	s_or_b64 exec, exec, s[4:5]
	v_lshrrev_b16_e32 v28, 8, v26
	v_cmp_ne_u16_e32 vcc, 0, v28
	s_and_saveexec_b64 s[4:5], vcc
	s_cbranch_execz .LBB899_197
; %bb.192:                              ;   in Loop: Header=BB899_17 Depth=1
	v_cmp_ne_u16_e32 vcc, s13, v28
	v_mov_b32_e32 v30, 0xffff8000
	s_and_saveexec_b64 s[6:7], vcc
	s_cbranch_execz .LBB899_196
; %bb.193:                              ;   in Loop: Header=BB899_17 Depth=1
	v_and_b32_e32 v44, 0x7f, v28
	v_cmp_ne_u32_e32 vcc, s14, v44
	v_mov_b32_e32 v30, 0x7f80
	s_and_saveexec_b64 s[10:11], vcc
	s_cbranch_execz .LBB899_195
; %bb.194:                              ;   in Loop: Header=BB899_17 Depth=1
	v_and_b32_e32 v30, 7, v28
	v_ffbh_u32_e32 v52, v30
	v_min_u32_e32 v55, 32, v52
	v_subrev_u32_e32 v52, 28, v55
	v_lshlrev_b64 v[52:53], v52, v[28:29]
	v_lshrrev_b32_e32 v54, 3, v44
	v_sub_u32_e32 v28, 29, v55
	v_and_b32_e32 v52, 7, v52
	v_cmp_gt_u32_e32 vcc, 8, v44
	v_cndmask_b32_e32 v28, v54, v28, vcc
	v_cndmask_b32_e32 v30, v30, v52, vcc
	v_lshlrev_b32_e32 v44, 16, v26
	v_lshlrev_b32_e32 v30, 20, v30
	v_and_b32_e32 v44, 0x80000000, v44
	v_lshl_add_u32 v28, v28, 23, v38
	v_or3_b32 v28, v44, v28, v30
	v_lshrrev_b32_e32 v30, 16, v28
.LBB899_195:                            ;   in Loop: Header=BB899_17 Depth=1
	s_or_b64 exec, exec, s[10:11]
.LBB899_196:                            ;   in Loop: Header=BB899_17 Depth=1
	s_or_b64 exec, exec, s[6:7]
.LBB899_197:                            ;   in Loop: Header=BB899_17 Depth=1
	s_or_b64 exec, exec, s[4:5]
	v_lshrrev_b32_e32 v28, 16, v26
	v_cmp_ne_u16_sdwa s[6:7], v28, v35 src0_sel:BYTE_0 src1_sel:DWORD
	v_mov_b32_e32 v52, 0
	v_mov_b32_e32 v44, 0
	s_and_saveexec_b64 s[4:5], s[6:7]
	s_cbranch_execz .LBB899_203
; %bb.198:                              ;   in Loop: Header=BB899_17 Depth=1
	v_cmp_ne_u16_sdwa s[10:11], v28, s13 src0_sel:BYTE_0 src1_sel:DWORD
	v_mov_b32_e32 v44, 0xffff8000
	s_and_saveexec_b64 s[6:7], s[10:11]
	s_cbranch_execz .LBB899_202
; %bb.199:                              ;   in Loop: Header=BB899_17 Depth=1
	v_bfe_u32 v53, v26, 16, 7
	v_cmp_ne_u32_e32 vcc, s14, v53
	v_mov_b32_e32 v44, 0x7f80
	s_and_saveexec_b64 s[10:11], vcc
	s_cbranch_execz .LBB899_201
; %bb.200:                              ;   in Loop: Header=BB899_17 Depth=1
	v_and_b32_e32 v44, 7, v28
	v_ffbh_u32_e32 v54, v44
	v_min_u32_e32 v57, 32, v54
	v_subrev_u32_e32 v54, 28, v57
	v_lshlrev_b64 v[54:55], v54, v[28:29]
	v_lshrrev_b32_e32 v56, 3, v53
	v_sub_u32_e32 v55, 29, v57
	v_and_b32_e32 v54, 7, v54
	v_cmp_gt_u32_e32 vcc, 8, v53
	v_cndmask_b32_e32 v53, v56, v55, vcc
	v_cndmask_b32_e32 v44, v44, v54, vcc
	v_lshlrev_b32_e32 v28, 24, v28
	v_lshlrev_b32_e32 v44, 20, v44
	v_and_b32_e32 v28, 0x80000000, v28
	v_lshl_add_u32 v53, v53, 23, v38
	v_or3_b32 v28, v28, v53, v44
	v_lshrrev_b32_e32 v44, 16, v28
.LBB899_201:                            ;   in Loop: Header=BB899_17 Depth=1
	s_or_b64 exec, exec, s[10:11]
.LBB899_202:                            ;   in Loop: Header=BB899_17 Depth=1
	s_or_b64 exec, exec, s[6:7]
.LBB899_203:                            ;   in Loop: Header=BB899_17 Depth=1
	s_or_b64 exec, exec, s[4:5]
	v_cmp_lt_u32_e32 vcc, s15, v26
	s_and_saveexec_b64 s[4:5], vcc
	s_cbranch_execz .LBB899_16
; %bb.204:                              ;   in Loop: Header=BB899_17 Depth=1
	v_lshrrev_b32_e32 v28, 24, v26
	v_cmp_ne_u32_e32 vcc, s13, v28
	v_mov_b32_e32 v52, 0xffff8000
	s_and_saveexec_b64 s[6:7], vcc
	s_cbranch_execz .LBB899_15
; %bb.205:                              ;   in Loop: Header=BB899_17 Depth=1
	v_bfe_u32 v26, v26, 24, 7
	v_cmp_ne_u32_e32 vcc, s14, v26
	v_mov_b32_e32 v52, 0x7f80
	s_and_saveexec_b64 s[10:11], vcc
	s_cbranch_execz .LBB899_14
; %bb.206:                              ;   in Loop: Header=BB899_17 Depth=1
	v_and_b32_e32 v54, 7, v28
	v_ffbh_u32_e32 v52, v54
	v_min_u32_e32 v56, 32, v52
	v_subrev_u32_e32 v52, 28, v56
	v_lshlrev_b64 v[52:53], v52, v[28:29]
	v_lshrrev_b32_e32 v55, 3, v26
	v_sub_u32_e32 v53, 29, v56
	v_and_b32_e32 v52, 7, v52
	v_cmp_gt_u32_e32 vcc, 8, v26
	v_cndmask_b32_e32 v26, v55, v53, vcc
	v_cndmask_b32_e32 v52, v54, v52, vcc
	v_lshlrev_b32_e32 v28, 24, v28
	v_lshlrev_b32_e32 v52, 20, v52
	v_and_b32_e32 v28, 0x80000000, v28
	v_lshl_add_u32 v26, v26, 23, v38
	v_or3_b32 v26, v28, v26, v52
	v_lshrrev_b32_e32 v52, 16, v26
	s_branch .LBB899_14
.LBB899_207:
	buffer_load_dword v17, off, s[0:3], 0 offset:256
	buffer_load_dword v16, off, s[0:3], 0 offset:260
	;; [unrolled: 1-line block ×16, first 2 shown]
	v_and_b32_e32 v18, 0xc0, v0
	v_add_u32_e32 v18, s20, v18
	v_lshl_or_b32 v18, v1, 2, v18
	v_or_b32_e32 v20, 1, v18
	v_subrev_u32_e32 v24, s33, v20
	v_add_u32_e32 v26, 1, v24
	v_cvt_f32_i32_e32 v25, v24
	v_add_u32_e32 v28, 2, v24
	v_add_u32_e32 v30, 3, v24
	;; [unrolled: 1-line block ×14, first 2 shown]
	v_cvt_f32_i32_e32 v26, v26
	v_cvt_f32_i32_e32 v28, v28
	;; [unrolled: 1-line block ×4, first 2 shown]
	v_mov_b32_e32 v19, 0xff7fffff
	v_or_b32_e32 v21, 2, v18
	v_or_b32_e32 v22, 3, v18
	v_cvt_f32_i32_e32 v32, v32
	v_cvt_f32_i32_e32 v34, v34
	v_cmp_gt_i32_e64 s[28:29], s33, v18
	v_cmp_gt_i32_e64 s[30:31], s33, v20
	s_mov_b32 s52, 0xff7fffff
	v_cmp_gt_i32_e64 s[34:35], s33, v21
	v_cmp_gt_i32_e64 s[36:37], s33, v22
	v_or_b32_e32 v23, 16, v18
	v_cvt_f32_i32_e32 v35, v35
	v_cvt_f32_i32_e32 v36, v36
	v_cmp_gt_i32_e64 s[24:25], s33, v23
	v_cvt_f32_i32_e32 v37, v37
	v_cvt_f32_i32_e32 v38, v38
	v_cvt_f32_i32_e32 v40, v40
	v_cvt_f32_i32_e32 v42, v42
	v_cvt_f32_i32_e32 v44, v44
	v_cvt_f32_i32_e32 v52, v52
	v_cvt_f32_i32_e32 v53, v53
	s_waitcnt vmcnt(15)
	v_fmac_f32_e32 v17, v31, v25
	s_waitcnt vmcnt(14)
	v_fmac_f32_e32 v16, v31, v26
	;; [unrolled: 2-line block ×4, first 2 shown]
	v_cndmask_b32_e64 v20, v19, v16, s[30:31]
	v_cndmask_b32_e64 v21, v19, v15, s[34:35]
	;; [unrolled: 1-line block ×3, first 2 shown]
	s_waitcnt vmcnt(11)
	v_fmac_f32_e32 v13, v31, v32
	s_waitcnt vmcnt(10)
	v_fmac_f32_e32 v12, v31, v34
	;; [unrolled: 2-line block ×9, first 2 shown]
	v_cndmask_b32_e64 v24, v19, v17, s[28:29]
	v_max3_f32 v20, v24, s52, v20
	v_max3_f32 v20, v20, v21, v22
	v_or_b32_e32 v22, 17, v18
	v_cmp_gt_i32_e64 s[38:39], s33, v22
	v_cndmask_b32_e64 v21, v19, v13, s[24:25]
	v_cndmask_b32_e64 v22, v19, v12, s[38:39]
	v_max3_f32 v20, v20, v21, v22
	v_or_b32_e32 v21, 18, v18
	v_or_b32_e32 v22, 19, v18
	v_cmp_gt_i32_e64 s[20:21], s33, v21
	v_cmp_gt_i32_e64 s[22:23], s33, v22
	v_cndmask_b32_e64 v21, v19, v11, s[20:21]
	v_cndmask_b32_e64 v22, v19, v10, s[22:23]
	v_max3_f32 v20, v20, v21, v22
	v_or_b32_e32 v21, 32, v18
	v_or_b32_e32 v22, 33, v18
	v_cmp_gt_i32_e64 s[16:17], s33, v21
	;; [unrolled: 7-line block ×3, first 2 shown]
	v_cmp_gt_i32_e64 s[14:15], s33, v22
	v_cndmask_b32_e64 v21, v19, v7, s[12:13]
	v_cndmask_b32_e64 v22, v19, v6, s[14:15]
	v_max3_f32 v20, v20, v21, v22
	v_or_b32_e32 v21, 48, v18
	v_or_b32_e32 v22, 49, v18
	v_fmac_f32_e32 v5, v31, v44
	v_fmac_f32_e32 v4, v31, v52
	v_cmp_gt_i32_e64 s[6:7], s33, v21
	v_cmp_gt_i32_e64 s[10:11], s33, v22
	v_cndmask_b32_e64 v21, v19, v5, s[6:7]
	v_cndmask_b32_e64 v22, v19, v4, s[10:11]
	v_max3_f32 v20, v20, v21, v22
	v_or_b32_e32 v21, 50, v18
	v_or_b32_e32 v18, 51, v18
	v_fmac_f32_e32 v3, v31, v53
	v_cmp_gt_i32_e32 vcc, s33, v21
	v_cmp_gt_i32_e64 s[4:5], s33, v18
	v_cndmask_b32_e32 v21, v19, v3, vcc
	v_cndmask_b32_e64 v18, v19, v2, s[4:5]
	v_mbcnt_lo_u32_b32 v19, -1, 0
	v_mbcnt_hi_u32_b32 v19, -1, v19
	v_max3_f32 v18, v20, v21, v18
	v_and_b32_e32 v20, 64, v19
	v_add_u32_e32 v20, 64, v20
	v_xor_b32_e32 v21, 32, v19
	v_cmp_lt_i32_e64 s[40:41], v21, v20
	v_cndmask_b32_e64 v21, v19, v21, s[40:41]
	v_lshlrev_b32_e32 v21, 2, v21
	ds_bpermute_b32 v22, v21, v18
	s_waitcnt lgkmcnt(0)
	v_max_f32_e32 v22, v22, v22
	v_max_f32_e32 v18, v18, v22
	v_xor_b32_e32 v22, 16, v19
	v_cmp_lt_i32_e64 s[40:41], v22, v20
	v_cndmask_b32_e64 v19, v19, v22, s[40:41]
	v_lshlrev_b32_e32 v19, 2, v19
	ds_bpermute_b32 v20, v19, v18
	s_waitcnt lgkmcnt(0)
	v_max_f32_e32 v20, v20, v20
	v_max_f32_e32 v18, v18, v20
	v_sub_f32_e32 v17, v17, v18
	v_mul_f32_e32 v17, 0x3fb8aa3b, v17
	v_sub_f32_e32 v16, v16, v18
	v_exp_f32_e32 v17, v17
	v_mul_f32_e32 v16, 0x3fb8aa3b, v16
	v_sub_f32_e32 v15, v15, v18
	v_exp_f32_e32 v16, v16
	;; [unrolled: 3-line block ×4, first 2 shown]
	v_mul_f32_e32 v13, 0x3fb8aa3b, v13
	v_sub_f32_e32 v12, v12, v18
	v_cndmask_b32_e64 v17, 0, v17, s[28:29]
	v_exp_f32_e32 v13, v13
	v_mul_f32_e32 v12, 0x3fb8aa3b, v12
	v_sub_f32_e32 v11, v11, v18
	v_add_f32_e32 v20, 0, v17
	v_cndmask_b32_e64 v16, 0, v16, s[30:31]
	v_exp_f32_e32 v12, v12
	v_mul_f32_e32 v11, 0x3fb8aa3b, v11
	v_sub_f32_e32 v10, v10, v18
	v_add_f32_e32 v20, v20, v16
	;; [unrolled: 5-line block ×4, first 2 shown]
	v_cndmask_b32_e64 v13, 0, v13, s[24:25]
	v_exp_f32_e32 v9, v9
	v_mul_f32_e32 v8, 0x3fb8aa3b, v8
	v_sub_f32_e32 v7, v7, v18
	buffer_store_dword v17, off, s[0:3], 0 offset:256
	buffer_store_dword v16, off, s[0:3], 0 offset:260
	;; [unrolled: 1-line block ×4, first 2 shown]
	v_add_f32_e32 v14, v20, v13
	v_cndmask_b32_e64 v12, 0, v12, s[38:39]
	v_exp_f32_e32 v8, v8
	v_mul_f32_e32 v7, 0x3fb8aa3b, v7
	v_sub_f32_e32 v6, v6, v18
	v_add_f32_e32 v14, v14, v12
	v_cndmask_b32_e64 v11, 0, v11, s[20:21]
	v_exp_f32_e32 v7, v7
	v_mul_f32_e32 v6, 0x3fb8aa3b, v6
	v_sub_f32_e32 v5, v5, v18
	;; [unrolled: 5-line block ×4, first 2 shown]
	buffer_store_dword v13, off, s[0:3], 0 offset:272
	buffer_store_dword v12, off, s[0:3], 0 offset:276
	;; [unrolled: 1-line block ×4, first 2 shown]
	v_add_f32_e32 v10, v14, v9
	v_cndmask_b32_e64 v8, 0, v8, s[18:19]
	v_exp_f32_e32 v4, v4
	v_mul_f32_e32 v3, 0x3fb8aa3b, v3
	v_sub_f32_e32 v2, v2, v18
	v_add_f32_e32 v10, v10, v8
	v_cndmask_b32_e64 v7, 0, v7, s[12:13]
	v_exp_f32_e32 v3, v3
	v_mul_f32_e32 v2, 0x3fb8aa3b, v2
	v_add_f32_e32 v10, v10, v7
	v_cndmask_b32_e64 v6, 0, v6, s[14:15]
	v_exp_f32_e32 v2, v2
	v_add_f32_e32 v10, v10, v6
	v_cndmask_b32_e64 v5, 0, v5, s[6:7]
	buffer_store_dword v9, off, s[0:3], 0 offset:288
	buffer_store_dword v8, off, s[0:3], 0 offset:292
	;; [unrolled: 1-line block ×4, first 2 shown]
	v_add_f32_e32 v6, v10, v5
	v_cndmask_b32_e64 v4, 0, v4, s[10:11]
	v_add_f32_e32 v6, v6, v4
	v_cndmask_b32_e32 v3, 0, v3, vcc
	v_add_f32_e32 v6, v6, v3
	v_cndmask_b32_e64 v2, 0, v2, s[4:5]
	v_add_f32_e32 v6, v6, v2
	ds_bpermute_b32 v7, v21, v6
	buffer_store_dword v5, off, s[0:3], 0 offset:304
	buffer_store_dword v4, off, s[0:3], 0 offset:308
	;; [unrolled: 1-line block ×4, first 2 shown]
	v_cmp_gt_u32_e32 vcc, 16, v33
	s_waitcnt lgkmcnt(0)
	s_barrier
	v_add_f32_e32 v2, v6, v7
	ds_bpermute_b32 v3, v19, v2
	s_waitcnt lgkmcnt(0)
	s_and_saveexec_b64 s[4:5], vcc
	s_cbranch_execz .LBB899_209
; %bb.208:
	v_add_f32_e32 v2, v2, v3
	v_lshlrev_b32_e32 v3, 2, v29
	ds_write2st64_b32 v3, v18, v2 offset1:1
.LBB899_209:
	s_or_b64 exec, exec, s[4:5]
	v_lshlrev_b32_e32 v2, 2, v41
	s_waitcnt lgkmcnt(0)
	s_barrier
	ds_read2_b32 v[14:15], v2 offset1:16
	ds_read2_b32 v[16:17], v2 offset0:32 offset1:48
	ds_read2_b32 v[6:7], v2 offset0:64 offset1:80
	;; [unrolled: 1-line block ×3, first 2 shown]
	s_waitcnt lgkmcnt(0)
	s_barrier
	buffer_load_dword v22, off, s[0:3], 0 offset:264
	buffer_load_dword v23, off, s[0:3], 0 offset:268
	;; [unrolled: 1-line block ×16, first 2 shown]
	v_max3_f32 v20, v14, s52, v15
	v_max3_f32 v20, v20, v16, v17
	v_sub_f32_e32 v14, v14, v20
	v_sub_f32_e32 v15, v15, v20
	v_mul_f32_e32 v14, 0x3fb8aa3b, v14
	v_sub_f32_e32 v16, v16, v20
	v_mul_f32_e32 v15, 0x3fb8aa3b, v15
	v_exp_f32_e32 v14, v14
	v_sub_f32_e32 v17, v17, v20
	v_mul_f32_e32 v16, 0x3fb8aa3b, v16
	v_exp_f32_e32 v15, v15
	v_mul_f32_e32 v17, 0x3fb8aa3b, v17
	v_exp_f32_e32 v16, v16
	v_exp_f32_e32 v17, v17
	v_fma_f32 v6, v14, v6, 0
	v_fmac_f32_e32 v6, v15, v7
	v_fmac_f32_e32 v6, v16, v12
	;; [unrolled: 1-line block ×3, first 2 shown]
	v_cmp_eq_u32_e32 vcc, 1, v27
	v_add_f32_e32 v12, 0x358637bd, v6
	v_cndmask_b32_e32 v14, v14, v15, vcc
	v_cmp_eq_u32_e32 vcc, 2, v27
	v_div_scale_f32 v13, s[4:5], v12, v12, 1.0
	v_cndmask_b32_e32 v7, v14, v16, vcc
	v_rcp_f32_e32 v14, v13
	v_cmp_eq_u32_e32 vcc, 3, v27
	v_cndmask_b32_e32 v7, v7, v17, vcc
	v_div_scale_f32 v15, vcc, 1.0, v12, 1.0
	v_fma_f32 v16, -v13, v14, 1.0
	v_fmac_f32_e32 v14, v16, v14
	v_mul_f32_e32 v16, v15, v14
	v_fma_f32 v17, -v13, v16, v15
	v_fmac_f32_e32 v16, v17, v14
	v_fma_f32 v13, -v13, v16, v15
	v_div_fmas_f32 v13, v13, v14, v16
	v_div_fixup_f32 v12, v13, v12, 1.0
	v_mul_f32_e32 v12, v7, v12
	s_movk_i32 s19, 0x7fff
	s_mov_b32 s20, 0x7060302
	s_mul_i32 s18, s49, 6
	v_cmp_gt_u32_e32 vcc, 6, v0
	s_waitcnt vmcnt(14)
	v_pk_mul_f32 v[14:15], v[12:13], v[22:23] op_sel_hi:[0,1]
	v_bfe_u32 v21, v15, 16, 1
	s_waitcnt vmcnt(12)
	v_pk_mul_f32 v[16:17], v[12:13], v[24:25] op_sel_hi:[0,1]
	v_bfe_u32 v7, v17, 16, 1
	v_bfe_u32 v13, v16, 16, 1
	;; [unrolled: 1-line block ×3, first 2 shown]
	v_add3_u32 v13, v16, v13, s19
	v_add3_u32 v7, v17, v7, s19
	buffer_store_dword v16, off, s[0:3], 0 offset:256
	buffer_store_dword v17, off, s[0:3], 0 offset:260
	;; [unrolled: 1-line block ×4, first 2 shown]
	v_add3_u32 v16, v14, v22, s19
	v_add3_u32 v15, v15, v21, s19
	v_perm_b32 v14, v7, v13, s20
	v_lshlrev_b32_e32 v13, 3, v1
	v_perm_b32 v15, v15, v16, s20
	v_lshlrev_b32_e32 v7, 5, v41
	v_lshlrev_b32_e32 v16, 11, v27
	s_waitcnt vmcnt(12)
	v_pk_mul_f32 v[8:9], v[12:13], v[8:9] op_sel_hi:[0,1]
	v_or3_b32 v52, v16, v7, v13
	v_pk_mul_f32 v[10:11], v[12:13], v[10:11] op_sel_hi:[0,1]
	v_bfe_u32 v13, v9, 16, 1
	v_bfe_u32 v16, v8, 16, 1
	buffer_store_dword v8, off, s[0:3], 0 offset:272
	buffer_store_dword v9, off, s[0:3], 0 offset:276
	;; [unrolled: 1-line block ×4, first 2 shown]
	v_add3_u32 v8, v8, v16, s19
	v_add3_u32 v9, v9, v13, s19
	v_perm_b32 v8, v9, v8, s20
	v_bfe_u32 v9, v11, 16, 1
	v_bfe_u32 v13, v10, 16, 1
	v_add3_u32 v10, v10, v13, s19
	v_add3_u32 v9, v11, v9, s19
	v_perm_b32 v9, v9, v10, s20
	s_waitcnt vmcnt(14)
	v_pk_mul_f32 v[10:11], v[12:13], v[18:19] op_sel_hi:[0,1]
	ds_write2st64_b64 v52, v[14:15], v[8:9] offset1:1
	s_waitcnt vmcnt(12)
	v_pk_mul_f32 v[8:9], v[12:13], v[28:29] op_sel_hi:[0,1]
	v_bfe_u32 v13, v11, 16, 1
	v_bfe_u32 v14, v10, 16, 1
	buffer_store_dword v10, off, s[0:3], 0 offset:288
	buffer_store_dword v11, off, s[0:3], 0 offset:292
	;; [unrolled: 1-line block ×4, first 2 shown]
	v_add3_u32 v10, v10, v14, s19
	v_add3_u32 v11, v11, v13, s19
	v_perm_b32 v10, v11, v10, s20
	v_bfe_u32 v11, v9, 16, 1
	v_bfe_u32 v13, v8, 16, 1
	v_add3_u32 v8, v8, v13, s19
	v_add3_u32 v9, v9, v11, s19
	s_waitcnt vmcnt(14)
	v_pk_mul_f32 v[2:3], v[12:13], v[2:3] op_sel_hi:[0,1]
	v_perm_b32 v11, v9, v8, s20
	v_bfe_u32 v8, v3, 16, 1
	v_bfe_u32 v9, v2, 16, 1
	s_waitcnt vmcnt(12)
	v_pk_mul_f32 v[4:5], v[12:13], v[4:5] op_sel_hi:[0,1]
	buffer_store_dword v2, off, s[0:3], 0 offset:304
	buffer_store_dword v3, off, s[0:3], 0 offset:308
	;; [unrolled: 1-line block ×4, first 2 shown]
	v_add3_u32 v2, v2, v9, s19
	v_add3_u32 v3, v3, v8, s19
	v_perm_b32 v2, v3, v2, s20
	v_bfe_u32 v3, v5, 16, 1
	v_bfe_u32 v8, v4, 16, 1
	v_add3_u32 v4, v4, v8, s19
	v_add3_u32 v3, v5, v3, s19
	v_perm_b32 v3, v3, v4, s20
	ds_write2st64_b64 v52, v[10:11], v[2:3] offset0:2 offset1:3
	s_and_saveexec_b64 s[4:5], vcc
	s_cbranch_execz .LBB899_211
; %bb.210:
	v_add_co_u32_e32 v4, vcc, s27, v41
	v_addc_co_u32_e64 v5, s[6:7], 0, 0, vcc
	v_mov_b32_e32 v2, s18
	v_mad_u64_u32 v[4:5], s[6:7], s8, v2, v[4:5]
	v_mov_b32_e32 v3, 0
	s_mul_i32 s6, s9, s18
	v_mov_b32_e32 v2, s26
	v_add_u32_e32 v5, s6, v5
	v_mad_u64_u32 v[2:3], s[6:7], v4, s48, v[2:3]
	v_mov_b32_e32 v4, v3
	v_mad_u64_u32 v[4:5], s[6:7], v5, s48, v[4:5]
	v_mov_b32_e32 v3, v4
	v_lshlrev_b64 v[2:3], 2, v[2:3]
	v_mov_b32_e32 v5, s47
	v_add_co_u32_e32 v4, vcc, s46, v2
	v_addc_co_u32_e32 v5, vcc, v5, v3, vcc
	global_store_dword v[4:5], v20, off
	v_mov_b32_e32 v4, s45
	v_add_co_u32_e32 v2, vcc, s44, v2
	v_addc_co_u32_e32 v3, vcc, v4, v3, vcc
	global_store_dword v[2:3], v6, off
.LBB899_211:
	s_or_b64 exec, exec, s[4:5]
	v_lshl_or_b32 v30, v1, 9, v7
	s_waitcnt lgkmcnt(0)
	s_barrier
	s_load_dword s4, s[42:43], 0x0
	ds_read_b128 v[2:5], v30
	ds_read_b128 v[6:9], v30 offset:16
	ds_read_b128 v[10:13], v30 offset:2048
	;; [unrolled: 1-line block ×7, first 2 shown]
	v_mov_b32_e32 v35, 0x80
	v_mov_b32_e32 v53, 0x140
	s_mov_b64 s[10:11], -1
	s_waitcnt lgkmcnt(0)
	s_mov_b32 s5, s4
	s_mov_b32 s6, s4
	;; [unrolled: 1-line block ×3, first 2 shown]
	s_movk_i32 s9, 0x80
	s_movk_i32 s21, 0x7f
	s_mov_b32 s22, 0xffffff
	s_mov_b32 s23, 0x5040100
	v_mov_b32_e32 v54, 0
	v_bfrev_b32_e32 v55, 60
	s_branch .LBB899_215
.LBB899_212:                            ;   in Loop: Header=BB899_215 Depth=1
	s_or_b64 exec, exec, s[16:17]
.LBB899_213:                            ;   in Loop: Header=BB899_215 Depth=1
	s_or_b64 exec, exec, s[14:15]
.LBB899_214:                            ;   in Loop: Header=BB899_215 Depth=1
	s_or_b64 exec, exec, s[12:13]
	v_perm_b32 v61, v56, v50, s23
	v_perm_b32 v60, v44, v46, s23
	s_xor_b64 s[12:13], s[10:11], -1
	s_mov_b64 s[10:11], 0
	v_mov_b32_e32 v46, v47
	v_mfma_f32_16x16x16bf16_1k v[60:63], v[60:61], v[30:31], v[34:37]
	s_and_b64 vcc, exec, s[12:13]
	s_nop 5
	v_perm_b32 v37, v58, v57, s23
	v_perm_b32 v36, v42, v51, s23
	v_mov_b32_e32 v35, v45
	s_nop 0
	v_mfma_f32_16x16x16bf16_1k v[56:59], v[36:37], v[32:33], v[60:63]
	s_nop 7
	s_nop 2
	v_pk_mul_f32 v[50:51], v[56:57], s[4:5]
	v_pk_mul_f32 v[36:37], v[58:59], s[6:7]
	v_bfe_u32 v34, v51, 16, 1
	v_bfe_u32 v38, v50, 16, 1
	;; [unrolled: 1-line block ×4, first 2 shown]
	v_add3_u32 v38, v50, v38, s19
	v_add3_u32 v34, v51, v34, s19
	;; [unrolled: 1-line block ×4, first 2 shown]
	v_perm_b32 v34, v34, v38, s20
	v_perm_b32 v36, v37, v36, s20
	buffer_store_dword v34, v53, s[0:3], 0 offen
	buffer_store_dword v36, v53, s[0:3], 0 offen offset:4
	v_mov_b32_e32 v53, 0x148
	v_mov_b32_e32 v51, v48
	;; [unrolled: 1-line block ×3, first 2 shown]
	s_cbranch_vccnz .LBB899_597
.LBB899_215:                            ; =>This Inner Loop Header: Depth=1
	buffer_load_dword v36, v35, s[0:3], 0 offen
	buffer_load_dword v34, v35, s[0:3], 0 offen offset:4
	buffer_load_dword v40, v35, s[0:3], 0 offen offset:8
	;; [unrolled: 1-line block ×3, first 2 shown]
	v_mov_b32_e32 v35, 0
	s_waitcnt vmcnt(3)
	v_cmp_ne_u16_sdwa s[14:15], v36, v54 src0_sel:BYTE_0 src1_sel:DWORD
	s_and_saveexec_b64 s[12:13], s[14:15]
	s_cbranch_execz .LBB899_221
; %bb.216:                              ;   in Loop: Header=BB899_215 Depth=1
	v_cmp_ne_u16_sdwa s[16:17], v36, s9 src0_sel:BYTE_0 src1_sel:DWORD
	v_mov_b32_e32 v35, 0xffff8000
	s_and_saveexec_b64 s[14:15], s[16:17]
	s_cbranch_execz .LBB899_220
; %bb.217:                              ;   in Loop: Header=BB899_215 Depth=1
	v_and_b32_e32 v37, 0x7f, v36
	v_cmp_ne_u32_e32 vcc, s21, v37
	v_mov_b32_e32 v35, 0x7f80
	s_and_saveexec_b64 s[16:17], vcc
	s_cbranch_execz .LBB899_219
; %bb.218:                              ;   in Loop: Header=BB899_215 Depth=1
	v_and_b32_e32 v35, 7, v36
	v_ffbh_u32_e32 v44, v35
	v_min_u32_e32 v44, 32, v44
	v_subrev_u32_e32 v56, 28, v44
	v_lshlrev_b64 v[56:57], v56, v[36:37]
	v_lshrrev_b32_e32 v42, 3, v37
	v_sub_u32_e32 v44, 29, v44
	v_and_b32_e32 v56, 7, v56
	v_cmp_gt_u32_e32 vcc, 8, v37
	v_cndmask_b32_e32 v37, v42, v44, vcc
	v_cndmask_b32_e32 v35, v35, v56, vcc
	v_lshlrev_b32_e32 v42, 24, v36
	v_lshlrev_b32_e32 v35, 20, v35
	v_and_b32_e32 v42, 0x80000000, v42
	v_lshl_add_u32 v37, v37, 23, v55
	v_or3_b32 v35, v42, v37, v35
	v_lshrrev_b32_e32 v35, 16, v35
.LBB899_219:                            ;   in Loop: Header=BB899_215 Depth=1
	s_or_b64 exec, exec, s[16:17]
.LBB899_220:                            ;   in Loop: Header=BB899_215 Depth=1
	s_or_b64 exec, exec, s[14:15]
.LBB899_221:                            ;   in Loop: Header=BB899_215 Depth=1
	s_or_b64 exec, exec, s[12:13]
	v_lshrrev_b16_e32 v42, 8, v36
	v_cmp_ne_u16_e32 vcc, 0, v42
	v_mov_b32_e32 v56, 0
	v_mov_b32_e32 v37, 0
	s_and_saveexec_b64 s[12:13], vcc
	s_cbranch_execz .LBB899_227
; %bb.222:                              ;   in Loop: Header=BB899_215 Depth=1
	v_cmp_ne_u16_e32 vcc, s9, v42
	v_mov_b32_e32 v37, 0xffff8000
	s_and_saveexec_b64 s[14:15], vcc
	s_cbranch_execz .LBB899_226
; %bb.223:                              ;   in Loop: Header=BB899_215 Depth=1
	v_and_b32_e32 v44, 0x7f, v42
	v_cmp_ne_u32_e32 vcc, s21, v44
	v_mov_b32_e32 v37, 0x7f80
	s_and_saveexec_b64 s[16:17], vcc
	s_cbranch_execz .LBB899_225
; %bb.224:                              ;   in Loop: Header=BB899_215 Depth=1
	v_and_b32_e32 v37, 7, v42
	v_ffbh_u32_e32 v58, v37
	v_min_u32_e32 v60, 32, v58
	v_subrev_u32_e32 v58, 28, v60
	v_lshlrev_b64 v[58:59], v58, v[42:43]
	v_lshrrev_b32_e32 v57, 3, v44
	v_sub_u32_e32 v42, 29, v60
	v_and_b32_e32 v58, 7, v58
	v_cmp_gt_u32_e32 vcc, 8, v44
	v_cndmask_b32_e32 v42, v57, v42, vcc
	v_cndmask_b32_e32 v37, v37, v58, vcc
	v_lshlrev_b32_e32 v44, 16, v36
	v_lshlrev_b32_e32 v37, 20, v37
	v_and_b32_e32 v44, 0x80000000, v44
	v_lshl_add_u32 v42, v42, 23, v55
	v_or3_b32 v37, v44, v42, v37
	v_lshrrev_b32_e32 v37, 16, v37
.LBB899_225:                            ;   in Loop: Header=BB899_215 Depth=1
	s_or_b64 exec, exec, s[16:17]
.LBB899_226:                            ;   in Loop: Header=BB899_215 Depth=1
	s_or_b64 exec, exec, s[14:15]
.LBB899_227:                            ;   in Loop: Header=BB899_215 Depth=1
	s_or_b64 exec, exec, s[12:13]
	v_lshrrev_b32_e32 v42, 16, v36
	v_cmp_ne_u16_sdwa s[14:15], v42, v54 src0_sel:BYTE_0 src1_sel:DWORD
	s_and_saveexec_b64 s[12:13], s[14:15]
	s_cbranch_execz .LBB899_233
; %bb.228:                              ;   in Loop: Header=BB899_215 Depth=1
	v_cmp_ne_u16_sdwa s[16:17], v42, s9 src0_sel:BYTE_0 src1_sel:DWORD
	v_mov_b32_e32 v56, 0xffff8000
	s_and_saveexec_b64 s[14:15], s[16:17]
	s_cbranch_execz .LBB899_232
; %bb.229:                              ;   in Loop: Header=BB899_215 Depth=1
	v_bfe_u32 v44, v36, 16, 7
	v_cmp_ne_u32_e32 vcc, s21, v44
	v_mov_b32_e32 v56, 0x7f80
	s_and_saveexec_b64 s[16:17], vcc
	s_cbranch_execz .LBB899_231
; %bb.230:                              ;   in Loop: Header=BB899_215 Depth=1
	v_and_b32_e32 v58, 7, v42
	v_ffbh_u32_e32 v56, v58
	v_min_u32_e32 v60, 32, v56
	v_subrev_u32_e32 v56, 28, v60
	v_lshlrev_b64 v[56:57], v56, v[42:43]
	v_lshrrev_b32_e32 v59, 3, v44
	v_sub_u32_e32 v57, 29, v60
	v_and_b32_e32 v56, 7, v56
	v_cmp_gt_u32_e32 vcc, 8, v44
	v_cndmask_b32_e32 v44, v59, v57, vcc
	v_cndmask_b32_e32 v56, v58, v56, vcc
	v_lshlrev_b32_e32 v42, 24, v42
	v_lshlrev_b32_e32 v56, 20, v56
	v_and_b32_e32 v42, 0x80000000, v42
	v_lshl_add_u32 v44, v44, 23, v55
	v_or3_b32 v42, v42, v44, v56
	v_lshrrev_b32_e32 v56, 16, v42
.LBB899_231:                            ;   in Loop: Header=BB899_215 Depth=1
	s_or_b64 exec, exec, s[16:17]
.LBB899_232:                            ;   in Loop: Header=BB899_215 Depth=1
	s_or_b64 exec, exec, s[14:15]
.LBB899_233:                            ;   in Loop: Header=BB899_215 Depth=1
	s_or_b64 exec, exec, s[12:13]
	v_cmp_lt_u32_e32 vcc, s22, v36
	v_mov_b32_e32 v57, 0
	v_mov_b32_e32 v58, 0
	s_and_saveexec_b64 s[12:13], vcc
	s_cbranch_execz .LBB899_239
; %bb.234:                              ;   in Loop: Header=BB899_215 Depth=1
	v_lshrrev_b32_e32 v42, 24, v36
	v_cmp_ne_u32_e32 vcc, s9, v42
	v_mov_b32_e32 v58, 0xffff8000
	s_and_saveexec_b64 s[14:15], vcc
	s_cbranch_execz .LBB899_238
; %bb.235:                              ;   in Loop: Header=BB899_215 Depth=1
	v_bfe_u32 v36, v36, 24, 7
	v_cmp_ne_u32_e32 vcc, s21, v36
	v_mov_b32_e32 v58, 0x7f80
	s_and_saveexec_b64 s[16:17], vcc
	s_cbranch_execz .LBB899_237
; %bb.236:                              ;   in Loop: Header=BB899_215 Depth=1
	v_and_b32_e32 v44, 7, v42
	v_ffbh_u32_e32 v58, v44
	v_min_u32_e32 v61, 32, v58
	v_subrev_u32_e32 v58, 28, v61
	v_lshlrev_b64 v[58:59], v58, v[42:43]
	v_lshrrev_b32_e32 v60, 3, v36
	v_sub_u32_e32 v59, 29, v61
	v_and_b32_e32 v58, 7, v58
	v_cmp_gt_u32_e32 vcc, 8, v36
	v_cndmask_b32_e32 v36, v60, v59, vcc
	v_cndmask_b32_e32 v44, v44, v58, vcc
	v_lshlrev_b32_e32 v42, 24, v42
	v_lshlrev_b32_e32 v44, 20, v44
	v_and_b32_e32 v42, 0x80000000, v42
	v_lshl_add_u32 v36, v36, 23, v55
	v_or3_b32 v36, v42, v36, v44
	v_lshrrev_b32_e32 v58, 16, v36
.LBB899_237:                            ;   in Loop: Header=BB899_215 Depth=1
	s_or_b64 exec, exec, s[16:17]
.LBB899_238:                            ;   in Loop: Header=BB899_215 Depth=1
	s_or_b64 exec, exec, s[14:15]
.LBB899_239:                            ;   in Loop: Header=BB899_215 Depth=1
	s_or_b64 exec, exec, s[12:13]
	s_waitcnt vmcnt(2)
	v_cmp_ne_u16_sdwa s[14:15], v34, v54 src0_sel:BYTE_0 src1_sel:DWORD
	s_and_saveexec_b64 s[12:13], s[14:15]
	s_cbranch_execz .LBB899_245
; %bb.240:                              ;   in Loop: Header=BB899_215 Depth=1
	v_cmp_ne_u16_sdwa s[16:17], v34, s9 src0_sel:BYTE_0 src1_sel:DWORD
	v_mov_b32_e32 v57, 0xffff8000
	s_and_saveexec_b64 s[14:15], s[16:17]
	s_cbranch_execz .LBB899_244
; %bb.241:                              ;   in Loop: Header=BB899_215 Depth=1
	v_and_b32_e32 v36, 0x7f, v34
	v_cmp_ne_u32_e32 vcc, s21, v36
	v_mov_b32_e32 v57, 0x7f80
	s_and_saveexec_b64 s[16:17], vcc
	s_cbranch_execz .LBB899_243
; %bb.242:                              ;   in Loop: Header=BB899_215 Depth=1
	v_and_b32_e32 v42, 7, v34
	v_ffbh_u32_e32 v57, v42
	v_min_u32_e32 v57, 32, v57
	v_subrev_u32_e32 v59, 28, v57
	v_lshlrev_b64 v[60:61], v59, v[34:35]
	v_lshrrev_b32_e32 v44, 3, v36
	v_sub_u32_e32 v57, 29, v57
	v_and_b32_e32 v59, 7, v60
	v_cmp_gt_u32_e32 vcc, 8, v36
	v_cndmask_b32_e32 v36, v44, v57, vcc
	v_cndmask_b32_e32 v42, v42, v59, vcc
	v_lshlrev_b32_e32 v44, 24, v34
	v_lshlrev_b32_e32 v42, 20, v42
	v_and_b32_e32 v44, 0x80000000, v44
	v_lshl_add_u32 v36, v36, 23, v55
	v_or3_b32 v36, v44, v36, v42
	v_lshrrev_b32_e32 v57, 16, v36
.LBB899_243:                            ;   in Loop: Header=BB899_215 Depth=1
	s_or_b64 exec, exec, s[16:17]
.LBB899_244:                            ;   in Loop: Header=BB899_215 Depth=1
	s_or_b64 exec, exec, s[14:15]
.LBB899_245:                            ;   in Loop: Header=BB899_215 Depth=1
	s_or_b64 exec, exec, s[12:13]
	v_lshrrev_b16_e32 v36, 8, v34
	v_cmp_ne_u16_e32 vcc, 0, v36
	v_mov_b32_e32 v59, 0
	v_mov_b32_e32 v42, 0
	s_and_saveexec_b64 s[12:13], vcc
	s_cbranch_execz .LBB899_251
; %bb.246:                              ;   in Loop: Header=BB899_215 Depth=1
	v_cmp_ne_u16_e32 vcc, s9, v36
	v_mov_b32_e32 v42, 0xffff8000
	s_and_saveexec_b64 s[14:15], vcc
	s_cbranch_execz .LBB899_250
; %bb.247:                              ;   in Loop: Header=BB899_215 Depth=1
	v_and_b32_e32 v44, 0x7f, v36
	v_cmp_ne_u32_e32 vcc, s21, v44
	v_mov_b32_e32 v42, 0x7f80
	s_and_saveexec_b64 s[16:17], vcc
	s_cbranch_execz .LBB899_249
; %bb.248:                              ;   in Loop: Header=BB899_215 Depth=1
	v_and_b32_e32 v42, 7, v36
	v_ffbh_u32_e32 v60, v42
	v_min_u32_e32 v63, 32, v60
	v_subrev_u32_e32 v60, 28, v63
	v_lshlrev_b64 v[60:61], v60, v[36:37]
	v_lshrrev_b32_e32 v62, 3, v44
	v_sub_u32_e32 v36, 29, v63
	v_and_b32_e32 v60, 7, v60
	v_cmp_gt_u32_e32 vcc, 8, v44
	v_cndmask_b32_e32 v36, v62, v36, vcc
	v_cndmask_b32_e32 v42, v42, v60, vcc
	v_lshlrev_b32_e32 v44, 16, v34
	v_lshlrev_b32_e32 v42, 20, v42
	v_and_b32_e32 v44, 0x80000000, v44
	v_lshl_add_u32 v36, v36, 23, v55
	v_or3_b32 v36, v44, v36, v42
	v_lshrrev_b32_e32 v42, 16, v36
.LBB899_249:                            ;   in Loop: Header=BB899_215 Depth=1
	s_or_b64 exec, exec, s[16:17]
.LBB899_250:                            ;   in Loop: Header=BB899_215 Depth=1
	s_or_b64 exec, exec, s[14:15]
.LBB899_251:                            ;   in Loop: Header=BB899_215 Depth=1
	s_or_b64 exec, exec, s[12:13]
	v_lshrrev_b32_e32 v36, 16, v34
	v_cmp_ne_u16_sdwa s[14:15], v36, v54 src0_sel:BYTE_0 src1_sel:DWORD
	s_and_saveexec_b64 s[12:13], s[14:15]
	s_cbranch_execz .LBB899_257
; %bb.252:                              ;   in Loop: Header=BB899_215 Depth=1
	v_cmp_ne_u16_sdwa s[16:17], v36, s9 src0_sel:BYTE_0 src1_sel:DWORD
	v_mov_b32_e32 v59, 0xffff8000
	s_and_saveexec_b64 s[14:15], s[16:17]
	s_cbranch_execz .LBB899_256
; %bb.253:                              ;   in Loop: Header=BB899_215 Depth=1
	v_bfe_u32 v44, v34, 16, 7
	v_cmp_ne_u32_e32 vcc, s21, v44
	v_mov_b32_e32 v59, 0x7f80
	s_and_saveexec_b64 s[16:17], vcc
	s_cbranch_execz .LBB899_255
; %bb.254:                              ;   in Loop: Header=BB899_215 Depth=1
	v_and_b32_e32 v59, 7, v36
	v_ffbh_u32_e32 v60, v59
	v_min_u32_e32 v63, 32, v60
	v_subrev_u32_e32 v60, 28, v63
	v_lshlrev_b64 v[60:61], v60, v[36:37]
	v_lshrrev_b32_e32 v62, 3, v44
	v_sub_u32_e32 v61, 29, v63
	v_and_b32_e32 v60, 7, v60
	v_cmp_gt_u32_e32 vcc, 8, v44
	v_cndmask_b32_e32 v44, v62, v61, vcc
	v_cndmask_b32_e32 v59, v59, v60, vcc
	v_lshlrev_b32_e32 v36, 24, v36
	v_lshlrev_b32_e32 v59, 20, v59
	v_and_b32_e32 v36, 0x80000000, v36
	v_lshl_add_u32 v44, v44, 23, v55
	v_or3_b32 v36, v36, v44, v59
	v_lshrrev_b32_e32 v59, 16, v36
.LBB899_255:                            ;   in Loop: Header=BB899_215 Depth=1
	s_or_b64 exec, exec, s[16:17]
.LBB899_256:                            ;   in Loop: Header=BB899_215 Depth=1
	s_or_b64 exec, exec, s[14:15]
.LBB899_257:                            ;   in Loop: Header=BB899_215 Depth=1
	s_or_b64 exec, exec, s[12:13]
	v_cmp_lt_u32_e32 vcc, s22, v34
	v_mov_b32_e32 v44, 0
	v_mov_b32_e32 v60, 0
	s_and_saveexec_b64 s[12:13], vcc
	s_cbranch_execz .LBB899_263
; %bb.258:                              ;   in Loop: Header=BB899_215 Depth=1
	v_lshrrev_b32_e32 v36, 24, v34
	v_cmp_ne_u32_e32 vcc, s9, v36
	v_mov_b32_e32 v60, 0xffff8000
	s_and_saveexec_b64 s[14:15], vcc
	s_cbranch_execz .LBB899_262
; %bb.259:                              ;   in Loop: Header=BB899_215 Depth=1
	v_bfe_u32 v34, v34, 24, 7
	v_cmp_ne_u32_e32 vcc, s21, v34
	v_mov_b32_e32 v60, 0x7f80
	s_and_saveexec_b64 s[16:17], vcc
	s_cbranch_execz .LBB899_261
; %bb.260:                              ;   in Loop: Header=BB899_215 Depth=1
	v_and_b32_e32 v62, 7, v36
	v_ffbh_u32_e32 v60, v62
	v_min_u32_e32 v64, 32, v60
	v_subrev_u32_e32 v60, 28, v64
	v_lshlrev_b64 v[60:61], v60, v[36:37]
	v_lshrrev_b32_e32 v63, 3, v34
	v_sub_u32_e32 v61, 29, v64
	v_and_b32_e32 v60, 7, v60
	v_cmp_gt_u32_e32 vcc, 8, v34
	v_cndmask_b32_e32 v34, v63, v61, vcc
	v_cndmask_b32_e32 v60, v62, v60, vcc
	v_lshlrev_b32_e32 v36, 24, v36
	v_lshlrev_b32_e32 v60, 20, v60
	v_and_b32_e32 v36, 0x80000000, v36
	v_lshl_add_u32 v34, v34, 23, v55
	v_or3_b32 v34, v36, v34, v60
	v_lshrrev_b32_e32 v60, 16, v34
.LBB899_261:                            ;   in Loop: Header=BB899_215 Depth=1
	s_or_b64 exec, exec, s[16:17]
.LBB899_262:                            ;   in Loop: Header=BB899_215 Depth=1
	s_or_b64 exec, exec, s[14:15]
.LBB899_263:                            ;   in Loop: Header=BB899_215 Depth=1
	s_or_b64 exec, exec, s[12:13]
	v_perm_b32 v63, v58, v56, s23
	v_perm_b32 v62, v37, v35, s23
	;; [unrolled: 1-line block ×4, first 2 shown]
	s_waitcnt vmcnt(1)
	v_cmp_ne_u16_sdwa s[14:15], v40, v54 src0_sel:BYTE_0 src1_sel:DWORD
	v_mfma_f32_16x16x16bf16_1k v[34:37], v[62:63], v[2:3], 0
	v_mfma_f32_16x16x16bf16_1k v[34:37], v[58:59], v[4:5], v[34:37]
	s_and_saveexec_b64 s[12:13], s[14:15]
	s_cbranch_execz .LBB899_269
; %bb.264:                              ;   in Loop: Header=BB899_215 Depth=1
	v_cmp_ne_u16_sdwa s[16:17], v40, s9 src0_sel:BYTE_0 src1_sel:DWORD
	v_mov_b32_e32 v44, 0xffff8000
	s_and_saveexec_b64 s[14:15], s[16:17]
	s_cbranch_execz .LBB899_268
; %bb.265:                              ;   in Loop: Header=BB899_215 Depth=1
	v_and_b32_e32 v42, 0x7f, v40
	v_cmp_ne_u32_e32 vcc, s21, v42
	v_mov_b32_e32 v44, 0x7f80
	s_and_saveexec_b64 s[16:17], vcc
	s_cbranch_execz .LBB899_267
; %bb.266:                              ;   in Loop: Header=BB899_215 Depth=1
	v_and_b32_e32 v44, 7, v40
	v_ffbh_u32_e32 v56, v44
	v_min_u32_e32 v59, 32, v56
	v_subrev_u32_e32 v56, 28, v59
	v_lshlrev_b64 v[56:57], v56, v[40:41]
	v_lshrrev_b32_e32 v58, 3, v42
	v_sub_u32_e32 v57, 29, v59
	v_and_b32_e32 v56, 7, v56
	v_cmp_gt_u32_e32 vcc, 8, v42
	v_cndmask_b32_e32 v42, v58, v57, vcc
	v_cndmask_b32_e32 v44, v44, v56, vcc
	v_lshlrev_b32_e32 v56, 24, v40
	v_lshlrev_b32_e32 v44, 20, v44
	v_and_b32_e32 v56, 0x80000000, v56
	v_lshl_add_u32 v42, v42, 23, v55
	v_or3_b32 v42, v56, v42, v44
	v_lshrrev_b32_e32 v44, 16, v42
.LBB899_267:                            ;   in Loop: Header=BB899_215 Depth=1
	s_or_b64 exec, exec, s[16:17]
.LBB899_268:                            ;   in Loop: Header=BB899_215 Depth=1
	s_or_b64 exec, exec, s[14:15]
.LBB899_269:                            ;   in Loop: Header=BB899_215 Depth=1
	s_or_b64 exec, exec, s[12:13]
	v_lshrrev_b16_e32 v42, 8, v40
	v_cmp_ne_u16_e32 vcc, 0, v42
	v_mov_b32_e32 v58, 0
	v_mov_b32_e32 v57, 0
	s_and_saveexec_b64 s[12:13], vcc
	s_cbranch_execz .LBB899_275
; %bb.270:                              ;   in Loop: Header=BB899_215 Depth=1
	v_cmp_ne_u16_e32 vcc, s9, v42
	v_mov_b32_e32 v57, 0xffff8000
	s_and_saveexec_b64 s[14:15], vcc
	s_cbranch_execz .LBB899_274
; %bb.271:                              ;   in Loop: Header=BB899_215 Depth=1
	v_and_b32_e32 v56, 0x7f, v42
	v_cmp_ne_u32_e32 vcc, s21, v56
	v_mov_b32_e32 v57, 0x7f80
	s_and_saveexec_b64 s[16:17], vcc
	s_cbranch_execz .LBB899_273
; %bb.272:                              ;   in Loop: Header=BB899_215 Depth=1
	v_and_b32_e32 v57, 7, v42
	v_ffbh_u32_e32 v60, v57
	v_min_u32_e32 v62, 32, v60
	v_subrev_u32_e32 v60, 28, v62
	v_lshlrev_b64 v[60:61], v60, v[42:43]
	v_lshrrev_b32_e32 v59, 3, v56
	v_sub_u32_e32 v42, 29, v62
	v_and_b32_e32 v60, 7, v60
	v_cmp_gt_u32_e32 vcc, 8, v56
	v_cndmask_b32_e32 v42, v59, v42, vcc
	v_cndmask_b32_e32 v56, v57, v60, vcc
	v_lshlrev_b32_e32 v57, 16, v40
	v_lshlrev_b32_e32 v56, 20, v56
	v_and_b32_e32 v57, 0x80000000, v57
	v_lshl_add_u32 v42, v42, 23, v55
	v_or3_b32 v42, v57, v42, v56
	v_lshrrev_b32_e32 v57, 16, v42
.LBB899_273:                            ;   in Loop: Header=BB899_215 Depth=1
	s_or_b64 exec, exec, s[16:17]
.LBB899_274:                            ;   in Loop: Header=BB899_215 Depth=1
	s_or_b64 exec, exec, s[14:15]
.LBB899_275:                            ;   in Loop: Header=BB899_215 Depth=1
	s_or_b64 exec, exec, s[12:13]
	v_lshrrev_b32_e32 v42, 16, v40
	v_cmp_ne_u16_sdwa s[14:15], v42, v54 src0_sel:BYTE_0 src1_sel:DWORD
	s_and_saveexec_b64 s[12:13], s[14:15]
	s_cbranch_execz .LBB899_281
; %bb.276:                              ;   in Loop: Header=BB899_215 Depth=1
	v_cmp_ne_u16_sdwa s[16:17], v42, s9 src0_sel:BYTE_0 src1_sel:DWORD
	v_mov_b32_e32 v58, 0xffff8000
	s_and_saveexec_b64 s[14:15], s[16:17]
	s_cbranch_execz .LBB899_280
; %bb.277:                              ;   in Loop: Header=BB899_215 Depth=1
	v_bfe_u32 v56, v40, 16, 7
	v_cmp_ne_u32_e32 vcc, s21, v56
	v_mov_b32_e32 v58, 0x7f80
	s_and_saveexec_b64 s[16:17], vcc
	s_cbranch_execz .LBB899_279
; %bb.278:                              ;   in Loop: Header=BB899_215 Depth=1
	v_and_b32_e32 v60, 7, v42
	v_ffbh_u32_e32 v58, v60
	v_min_u32_e32 v62, 32, v58
	v_subrev_u32_e32 v58, 28, v62
	v_lshlrev_b64 v[58:59], v58, v[42:43]
	v_lshrrev_b32_e32 v61, 3, v56
	v_sub_u32_e32 v59, 29, v62
	v_and_b32_e32 v58, 7, v58
	v_cmp_gt_u32_e32 vcc, 8, v56
	v_cndmask_b32_e32 v56, v61, v59, vcc
	v_cndmask_b32_e32 v58, v60, v58, vcc
	v_lshlrev_b32_e32 v42, 24, v42
	v_lshlrev_b32_e32 v58, 20, v58
	v_and_b32_e32 v42, 0x80000000, v42
	v_lshl_add_u32 v56, v56, 23, v55
	v_or3_b32 v42, v42, v56, v58
	v_lshrrev_b32_e32 v58, 16, v42
.LBB899_279:                            ;   in Loop: Header=BB899_215 Depth=1
	s_or_b64 exec, exec, s[16:17]
.LBB899_280:                            ;   in Loop: Header=BB899_215 Depth=1
	s_or_b64 exec, exec, s[14:15]
.LBB899_281:                            ;   in Loop: Header=BB899_215 Depth=1
	s_or_b64 exec, exec, s[12:13]
	v_cmp_lt_u32_e32 vcc, s22, v40
	v_mov_b32_e32 v59, 0
	v_mov_b32_e32 v60, 0
	s_and_saveexec_b64 s[12:13], vcc
	s_cbranch_execz .LBB899_287
; %bb.282:                              ;   in Loop: Header=BB899_215 Depth=1
	v_lshrrev_b32_e32 v42, 24, v40
	v_cmp_ne_u32_e32 vcc, s9, v42
	v_mov_b32_e32 v60, 0xffff8000
	s_and_saveexec_b64 s[14:15], vcc
	s_cbranch_execz .LBB899_286
; %bb.283:                              ;   in Loop: Header=BB899_215 Depth=1
	v_bfe_u32 v40, v40, 24, 7
	v_cmp_ne_u32_e32 vcc, s21, v40
	v_mov_b32_e32 v60, 0x7f80
	s_and_saveexec_b64 s[16:17], vcc
	s_cbranch_execz .LBB899_285
; %bb.284:                              ;   in Loop: Header=BB899_215 Depth=1
	v_and_b32_e32 v56, 7, v42
	v_ffbh_u32_e32 v60, v56
	v_min_u32_e32 v63, 32, v60
	v_subrev_u32_e32 v60, 28, v63
	v_lshlrev_b64 v[60:61], v60, v[42:43]
	v_lshrrev_b32_e32 v62, 3, v40
	v_sub_u32_e32 v61, 29, v63
	v_and_b32_e32 v60, 7, v60
	v_cmp_gt_u32_e32 vcc, 8, v40
	v_cndmask_b32_e32 v40, v62, v61, vcc
	v_cndmask_b32_e32 v56, v56, v60, vcc
	v_lshlrev_b32_e32 v42, 24, v42
	v_lshlrev_b32_e32 v56, 20, v56
	v_and_b32_e32 v42, 0x80000000, v42
	v_lshl_add_u32 v40, v40, 23, v55
	v_or3_b32 v40, v42, v40, v56
	v_lshrrev_b32_e32 v60, 16, v40
.LBB899_285:                            ;   in Loop: Header=BB899_215 Depth=1
	s_or_b64 exec, exec, s[16:17]
.LBB899_286:                            ;   in Loop: Header=BB899_215 Depth=1
	s_or_b64 exec, exec, s[14:15]
.LBB899_287:                            ;   in Loop: Header=BB899_215 Depth=1
	s_or_b64 exec, exec, s[12:13]
	s_waitcnt vmcnt(0)
	v_cmp_ne_u16_sdwa s[14:15], v38, v54 src0_sel:BYTE_0 src1_sel:DWORD
	s_and_saveexec_b64 s[12:13], s[14:15]
	s_cbranch_execz .LBB899_293
; %bb.288:                              ;   in Loop: Header=BB899_215 Depth=1
	v_cmp_ne_u16_sdwa s[16:17], v38, s9 src0_sel:BYTE_0 src1_sel:DWORD
	v_mov_b32_e32 v59, 0xffff8000
	s_and_saveexec_b64 s[14:15], s[16:17]
	s_cbranch_execz .LBB899_292
; %bb.289:                              ;   in Loop: Header=BB899_215 Depth=1
	v_and_b32_e32 v40, 0x7f, v38
	v_cmp_ne_u32_e32 vcc, s21, v40
	v_mov_b32_e32 v59, 0x7f80
	s_and_saveexec_b64 s[16:17], vcc
	s_cbranch_execz .LBB899_291
; %bb.290:                              ;   in Loop: Header=BB899_215 Depth=1
	v_and_b32_e32 v42, 7, v38
	v_ffbh_u32_e32 v59, v42
	v_min_u32_e32 v59, 32, v59
	v_subrev_u32_e32 v61, 28, v59
	v_lshlrev_b64 v[62:63], v61, v[38:39]
	v_lshrrev_b32_e32 v56, 3, v40
	v_sub_u32_e32 v59, 29, v59
	v_and_b32_e32 v61, 7, v62
	v_cmp_gt_u32_e32 vcc, 8, v40
	v_cndmask_b32_e32 v40, v56, v59, vcc
	v_cndmask_b32_e32 v42, v42, v61, vcc
	v_lshlrev_b32_e32 v56, 24, v38
	v_lshlrev_b32_e32 v42, 20, v42
	v_and_b32_e32 v56, 0x80000000, v56
	v_lshl_add_u32 v40, v40, 23, v55
	v_or3_b32 v40, v56, v40, v42
	v_lshrrev_b32_e32 v59, 16, v40
.LBB899_291:                            ;   in Loop: Header=BB899_215 Depth=1
	s_or_b64 exec, exec, s[16:17]
.LBB899_292:                            ;   in Loop: Header=BB899_215 Depth=1
	s_or_b64 exec, exec, s[14:15]
.LBB899_293:                            ;   in Loop: Header=BB899_215 Depth=1
	s_or_b64 exec, exec, s[12:13]
	v_lshrrev_b16_e32 v40, 8, v38
	v_cmp_ne_u16_e32 vcc, 0, v40
	v_mov_b32_e32 v62, 0
	v_mov_b32_e32 v61, 0
	s_and_saveexec_b64 s[12:13], vcc
	s_cbranch_execz .LBB899_299
; %bb.294:                              ;   in Loop: Header=BB899_215 Depth=1
	v_cmp_ne_u16_e32 vcc, s9, v40
	v_mov_b32_e32 v61, 0xffff8000
	s_and_saveexec_b64 s[14:15], vcc
	s_cbranch_execz .LBB899_298
; %bb.295:                              ;   in Loop: Header=BB899_215 Depth=1
	v_and_b32_e32 v42, 0x7f, v40
	v_cmp_ne_u32_e32 vcc, s21, v42
	v_mov_b32_e32 v61, 0x7f80
	s_and_saveexec_b64 s[16:17], vcc
	s_cbranch_execz .LBB899_297
; %bb.296:                              ;   in Loop: Header=BB899_215 Depth=1
	v_and_b32_e32 v56, 7, v40
	v_ffbh_u32_e32 v63, v56
	v_min_u32_e32 v63, 32, v63
	v_subrev_u32_e32 v64, 28, v63
	v_lshlrev_b64 v[64:65], v64, v[40:41]
	v_lshrrev_b32_e32 v61, 3, v42
	v_sub_u32_e32 v40, 29, v63
	v_and_b32_e32 v63, 7, v64
	v_cmp_gt_u32_e32 vcc, 8, v42
	v_cndmask_b32_e32 v40, v61, v40, vcc
	v_cndmask_b32_e32 v42, v56, v63, vcc
	v_lshlrev_b32_e32 v56, 16, v38
	v_lshlrev_b32_e32 v42, 20, v42
	v_and_b32_e32 v56, 0x80000000, v56
	v_lshl_add_u32 v40, v40, 23, v55
	v_or3_b32 v40, v56, v40, v42
	v_lshrrev_b32_e32 v61, 16, v40
.LBB899_297:                            ;   in Loop: Header=BB899_215 Depth=1
	s_or_b64 exec, exec, s[16:17]
.LBB899_298:                            ;   in Loop: Header=BB899_215 Depth=1
	s_or_b64 exec, exec, s[14:15]
.LBB899_299:                            ;   in Loop: Header=BB899_215 Depth=1
	s_or_b64 exec, exec, s[12:13]
	v_lshrrev_b32_e32 v40, 16, v38
	v_cmp_ne_u16_sdwa s[14:15], v40, v54 src0_sel:BYTE_0 src1_sel:DWORD
	s_and_saveexec_b64 s[12:13], s[14:15]
	s_cbranch_execz .LBB899_305
; %bb.300:                              ;   in Loop: Header=BB899_215 Depth=1
	v_cmp_ne_u16_sdwa s[16:17], v40, s9 src0_sel:BYTE_0 src1_sel:DWORD
	v_mov_b32_e32 v62, 0xffff8000
	s_and_saveexec_b64 s[14:15], s[16:17]
	s_cbranch_execz .LBB899_304
; %bb.301:                              ;   in Loop: Header=BB899_215 Depth=1
	v_bfe_u32 v42, v38, 16, 7
	v_cmp_ne_u32_e32 vcc, s21, v42
	v_mov_b32_e32 v62, 0x7f80
	s_and_saveexec_b64 s[16:17], vcc
	s_cbranch_execz .LBB899_303
; %bb.302:                              ;   in Loop: Header=BB899_215 Depth=1
	v_and_b32_e32 v56, 7, v40
	v_ffbh_u32_e32 v62, v56
	v_min_u32_e32 v65, 32, v62
	v_subrev_u32_e32 v62, 28, v65
	v_lshlrev_b64 v[62:63], v62, v[40:41]
	v_lshrrev_b32_e32 v64, 3, v42
	v_sub_u32_e32 v63, 29, v65
	v_and_b32_e32 v62, 7, v62
	v_cmp_gt_u32_e32 vcc, 8, v42
	v_cndmask_b32_e32 v42, v64, v63, vcc
	v_cndmask_b32_e32 v56, v56, v62, vcc
	v_lshlrev_b32_e32 v40, 24, v40
	v_lshlrev_b32_e32 v56, 20, v56
	v_and_b32_e32 v40, 0x80000000, v40
	v_lshl_add_u32 v42, v42, 23, v55
	v_or3_b32 v40, v40, v42, v56
	v_lshrrev_b32_e32 v62, 16, v40
.LBB899_303:                            ;   in Loop: Header=BB899_215 Depth=1
	s_or_b64 exec, exec, s[16:17]
.LBB899_304:                            ;   in Loop: Header=BB899_215 Depth=1
	s_or_b64 exec, exec, s[14:15]
.LBB899_305:                            ;   in Loop: Header=BB899_215 Depth=1
	s_or_b64 exec, exec, s[12:13]
	v_cmp_lt_u32_e32 vcc, s22, v38
	v_mov_b32_e32 v56, 0
	v_mov_b32_e32 v63, 0
	s_and_saveexec_b64 s[12:13], vcc
	s_cbranch_execz .LBB899_311
; %bb.306:                              ;   in Loop: Header=BB899_215 Depth=1
	v_lshrrev_b32_e32 v40, 24, v38
	v_cmp_ne_u32_e32 vcc, s9, v40
	v_mov_b32_e32 v63, 0xffff8000
	s_and_saveexec_b64 s[14:15], vcc
	s_cbranch_execz .LBB899_310
; %bb.307:                              ;   in Loop: Header=BB899_215 Depth=1
	v_bfe_u32 v38, v38, 24, 7
	v_cmp_ne_u32_e32 vcc, s21, v38
	v_mov_b32_e32 v63, 0x7f80
	s_and_saveexec_b64 s[16:17], vcc
	s_cbranch_execz .LBB899_309
; %bb.308:                              ;   in Loop: Header=BB899_215 Depth=1
	v_and_b32_e32 v42, 7, v40
	v_ffbh_u32_e32 v64, v42
	v_min_u32_e32 v66, 32, v64
	v_subrev_u32_e32 v64, 28, v66
	v_lshlrev_b64 v[64:65], v64, v[40:41]
	v_lshrrev_b32_e32 v63, 3, v38
	v_sub_u32_e32 v65, 29, v66
	v_and_b32_e32 v64, 7, v64
	v_cmp_gt_u32_e32 vcc, 8, v38
	v_cndmask_b32_e32 v38, v63, v65, vcc
	v_cndmask_b32_e32 v42, v42, v64, vcc
	v_lshlrev_b32_e32 v40, 24, v40
	v_lshlrev_b32_e32 v42, 20, v42
	v_and_b32_e32 v40, 0x80000000, v40
	v_lshl_add_u32 v38, v38, 23, v55
	v_or3_b32 v38, v40, v38, v42
	v_lshrrev_b32_e32 v63, 16, v38
.LBB899_309:                            ;   in Loop: Header=BB899_215 Depth=1
	s_or_b64 exec, exec, s[16:17]
.LBB899_310:                            ;   in Loop: Header=BB899_215 Depth=1
	s_or_b64 exec, exec, s[14:15]
.LBB899_311:                            ;   in Loop: Header=BB899_215 Depth=1
	s_or_b64 exec, exec, s[12:13]
	v_perm_b32 v64, v57, v44, s23
	buffer_load_dword v44, v46, s[0:3], 0 offen
	buffer_load_dword v42, v46, s[0:3], 0 offen offset:4
	buffer_load_dword v40, v46, s[0:3], 0 offen offset:8
	;; [unrolled: 1-line block ×3, first 2 shown]
	v_perm_b32 v65, v60, v58, s23
	v_perm_b32 v63, v63, v62, s23
	;; [unrolled: 1-line block ×3, first 2 shown]
	v_mfma_f32_16x16x16bf16_1k v[34:37], v[64:65], v[6:7], v[34:37]
	s_waitcnt vmcnt(3)
	v_cmp_ne_u16_sdwa s[14:15], v44, v54 src0_sel:BYTE_0 src1_sel:DWORD
	v_mfma_f32_16x16x16bf16_1k v[34:37], v[62:63], v[8:9], v[34:37]
	s_and_saveexec_b64 s[12:13], s[14:15]
	s_cbranch_execz .LBB899_317
; %bb.312:                              ;   in Loop: Header=BB899_215 Depth=1
	v_cmp_ne_u16_sdwa s[16:17], v44, s9 src0_sel:BYTE_0 src1_sel:DWORD
	v_mov_b32_e32 v56, 0xffff8000
	s_and_saveexec_b64 s[14:15], s[16:17]
	s_cbranch_execz .LBB899_316
; %bb.313:                              ;   in Loop: Header=BB899_215 Depth=1
	v_and_b32_e32 v46, 0x7f, v44
	v_cmp_ne_u32_e32 vcc, s21, v46
	v_mov_b32_e32 v56, 0x7f80
	s_and_saveexec_b64 s[16:17], vcc
	s_cbranch_execz .LBB899_315
; %bb.314:                              ;   in Loop: Header=BB899_215 Depth=1
	v_and_b32_e32 v58, 7, v44
	v_ffbh_u32_e32 v56, v58
	v_min_u32_e32 v60, 32, v56
	v_subrev_u32_e32 v56, 28, v60
	v_lshlrev_b64 v[56:57], v56, v[44:45]
	v_lshrrev_b32_e32 v59, 3, v46
	v_sub_u32_e32 v57, 29, v60
	v_and_b32_e32 v56, 7, v56
	v_cmp_gt_u32_e32 vcc, 8, v46
	v_cndmask_b32_e32 v46, v59, v57, vcc
	v_cndmask_b32_e32 v56, v58, v56, vcc
	v_lshlrev_b32_e32 v57, 24, v44
	v_lshlrev_b32_e32 v56, 20, v56
	v_and_b32_e32 v57, 0x80000000, v57
	v_lshl_add_u32 v46, v46, 23, v55
	v_or3_b32 v46, v57, v46, v56
	v_lshrrev_b32_e32 v56, 16, v46
.LBB899_315:                            ;   in Loop: Header=BB899_215 Depth=1
	s_or_b64 exec, exec, s[16:17]
.LBB899_316:                            ;   in Loop: Header=BB899_215 Depth=1
	s_or_b64 exec, exec, s[14:15]
.LBB899_317:                            ;   in Loop: Header=BB899_215 Depth=1
	s_or_b64 exec, exec, s[12:13]
	v_lshrrev_b16_e32 v46, 8, v44
	v_cmp_ne_u16_e32 vcc, 0, v46
	v_mov_b32_e32 v58, 0
	v_mov_b32_e32 v57, 0
	s_and_saveexec_b64 s[12:13], vcc
	s_cbranch_execz .LBB899_323
; %bb.318:                              ;   in Loop: Header=BB899_215 Depth=1
	v_cmp_ne_u16_e32 vcc, s9, v46
	v_mov_b32_e32 v57, 0xffff8000
	s_and_saveexec_b64 s[14:15], vcc
	s_cbranch_execz .LBB899_322
; %bb.319:                              ;   in Loop: Header=BB899_215 Depth=1
	v_and_b32_e32 v59, 0x7f, v46
	v_cmp_ne_u32_e32 vcc, s21, v59
	v_mov_b32_e32 v57, 0x7f80
	s_and_saveexec_b64 s[16:17], vcc
	s_cbranch_execz .LBB899_321
; %bb.320:                              ;   in Loop: Header=BB899_215 Depth=1
	v_and_b32_e32 v57, 7, v46
	v_ffbh_u32_e32 v60, v57
	v_min_u32_e32 v63, 32, v60
	v_subrev_u32_e32 v60, 28, v63
	v_lshlrev_b64 v[60:61], v60, v[46:47]
	v_lshrrev_b32_e32 v62, 3, v59
	v_sub_u32_e32 v46, 29, v63
	v_and_b32_e32 v60, 7, v60
	v_cmp_gt_u32_e32 vcc, 8, v59
	v_cndmask_b32_e32 v46, v62, v46, vcc
	v_cndmask_b32_e32 v57, v57, v60, vcc
	v_lshlrev_b32_e32 v59, 16, v44
	v_lshlrev_b32_e32 v57, 20, v57
	v_and_b32_e32 v59, 0x80000000, v59
	v_lshl_add_u32 v46, v46, 23, v55
	v_or3_b32 v46, v59, v46, v57
	v_lshrrev_b32_e32 v57, 16, v46
.LBB899_321:                            ;   in Loop: Header=BB899_215 Depth=1
	s_or_b64 exec, exec, s[16:17]
.LBB899_322:                            ;   in Loop: Header=BB899_215 Depth=1
	s_or_b64 exec, exec, s[14:15]
.LBB899_323:                            ;   in Loop: Header=BB899_215 Depth=1
	s_or_b64 exec, exec, s[12:13]
	v_lshrrev_b32_e32 v46, 16, v44
	v_cmp_ne_u16_sdwa s[14:15], v46, v54 src0_sel:BYTE_0 src1_sel:DWORD
	s_and_saveexec_b64 s[12:13], s[14:15]
	s_cbranch_execz .LBB899_329
; %bb.324:                              ;   in Loop: Header=BB899_215 Depth=1
	v_cmp_ne_u16_sdwa s[16:17], v46, s9 src0_sel:BYTE_0 src1_sel:DWORD
	v_mov_b32_e32 v58, 0xffff8000
	s_and_saveexec_b64 s[14:15], s[16:17]
	s_cbranch_execz .LBB899_328
; %bb.325:                              ;   in Loop: Header=BB899_215 Depth=1
	v_bfe_u32 v59, v44, 16, 7
	v_cmp_ne_u32_e32 vcc, s21, v59
	v_mov_b32_e32 v58, 0x7f80
	s_and_saveexec_b64 s[16:17], vcc
	s_cbranch_execz .LBB899_327
; %bb.326:                              ;   in Loop: Header=BB899_215 Depth=1
	v_and_b32_e32 v58, 7, v46
	v_ffbh_u32_e32 v60, v58
	v_min_u32_e32 v63, 32, v60
	v_subrev_u32_e32 v60, 28, v63
	v_lshlrev_b64 v[60:61], v60, v[46:47]
	v_lshrrev_b32_e32 v62, 3, v59
	v_sub_u32_e32 v61, 29, v63
	v_and_b32_e32 v60, 7, v60
	v_cmp_gt_u32_e32 vcc, 8, v59
	v_cndmask_b32_e32 v59, v62, v61, vcc
	v_cndmask_b32_e32 v58, v58, v60, vcc
	v_lshlrev_b32_e32 v46, 24, v46
	v_lshlrev_b32_e32 v58, 20, v58
	v_and_b32_e32 v46, 0x80000000, v46
	v_lshl_add_u32 v59, v59, 23, v55
	v_or3_b32 v46, v46, v59, v58
	v_lshrrev_b32_e32 v58, 16, v46
.LBB899_327:                            ;   in Loop: Header=BB899_215 Depth=1
	s_or_b64 exec, exec, s[16:17]
.LBB899_328:                            ;   in Loop: Header=BB899_215 Depth=1
	s_or_b64 exec, exec, s[14:15]
.LBB899_329:                            ;   in Loop: Header=BB899_215 Depth=1
	s_or_b64 exec, exec, s[12:13]
	v_cmp_lt_u32_e32 vcc, s22, v44
	v_mov_b32_e32 v59, 0
	v_mov_b32_e32 v60, 0
	s_and_saveexec_b64 s[12:13], vcc
	s_cbranch_execz .LBB899_335
; %bb.330:                              ;   in Loop: Header=BB899_215 Depth=1
	v_lshrrev_b32_e32 v46, 24, v44
	v_cmp_ne_u32_e32 vcc, s9, v46
	v_mov_b32_e32 v60, 0xffff8000
	s_and_saveexec_b64 s[14:15], vcc
	s_cbranch_execz .LBB899_334
; %bb.331:                              ;   in Loop: Header=BB899_215 Depth=1
	v_bfe_u32 v44, v44, 24, 7
	v_cmp_ne_u32_e32 vcc, s21, v44
	v_mov_b32_e32 v60, 0x7f80
	s_and_saveexec_b64 s[16:17], vcc
	s_cbranch_execz .LBB899_333
; %bb.332:                              ;   in Loop: Header=BB899_215 Depth=1
	v_and_b32_e32 v62, 7, v46
	v_ffbh_u32_e32 v60, v62
	v_min_u32_e32 v64, 32, v60
	v_subrev_u32_e32 v60, 28, v64
	v_lshlrev_b64 v[60:61], v60, v[46:47]
	v_lshrrev_b32_e32 v63, 3, v44
	v_sub_u32_e32 v61, 29, v64
	v_and_b32_e32 v60, 7, v60
	v_cmp_gt_u32_e32 vcc, 8, v44
	v_cndmask_b32_e32 v44, v63, v61, vcc
	v_cndmask_b32_e32 v60, v62, v60, vcc
	v_lshlrev_b32_e32 v46, 24, v46
	v_lshlrev_b32_e32 v60, 20, v60
	v_and_b32_e32 v46, 0x80000000, v46
	v_lshl_add_u32 v44, v44, 23, v55
	v_or3_b32 v44, v46, v44, v60
	v_lshrrev_b32_e32 v60, 16, v44
.LBB899_333:                            ;   in Loop: Header=BB899_215 Depth=1
	s_or_b64 exec, exec, s[16:17]
.LBB899_334:                            ;   in Loop: Header=BB899_215 Depth=1
	s_or_b64 exec, exec, s[14:15]
.LBB899_335:                            ;   in Loop: Header=BB899_215 Depth=1
	s_or_b64 exec, exec, s[12:13]
	s_waitcnt vmcnt(2)
	v_cmp_ne_u16_sdwa s[14:15], v42, v54 src0_sel:BYTE_0 src1_sel:DWORD
	s_and_saveexec_b64 s[12:13], s[14:15]
	s_cbranch_execz .LBB899_341
; %bb.336:                              ;   in Loop: Header=BB899_215 Depth=1
	v_cmp_ne_u16_sdwa s[16:17], v42, s9 src0_sel:BYTE_0 src1_sel:DWORD
	v_mov_b32_e32 v59, 0xffff8000
	s_and_saveexec_b64 s[14:15], s[16:17]
	s_cbranch_execz .LBB899_340
; %bb.337:                              ;   in Loop: Header=BB899_215 Depth=1
	v_and_b32_e32 v44, 0x7f, v42
	v_cmp_ne_u32_e32 vcc, s21, v44
	v_mov_b32_e32 v59, 0x7f80
	s_and_saveexec_b64 s[16:17], vcc
	s_cbranch_execz .LBB899_339
; %bb.338:                              ;   in Loop: Header=BB899_215 Depth=1
	v_and_b32_e32 v46, 7, v42
	v_ffbh_u32_e32 v61, v46
	v_min_u32_e32 v61, 32, v61
	v_subrev_u32_e32 v62, 28, v61
	v_lshlrev_b64 v[62:63], v62, v[42:43]
	v_lshrrev_b32_e32 v59, 3, v44
	v_sub_u32_e32 v61, 29, v61
	v_and_b32_e32 v62, 7, v62
	v_cmp_gt_u32_e32 vcc, 8, v44
	v_cndmask_b32_e32 v44, v59, v61, vcc
	v_cndmask_b32_e32 v46, v46, v62, vcc
	v_lshlrev_b32_e32 v59, 24, v42
	v_lshlrev_b32_e32 v46, 20, v46
	v_and_b32_e32 v59, 0x80000000, v59
	v_lshl_add_u32 v44, v44, 23, v55
	v_or3_b32 v44, v59, v44, v46
	v_lshrrev_b32_e32 v59, 16, v44
.LBB899_339:                            ;   in Loop: Header=BB899_215 Depth=1
	s_or_b64 exec, exec, s[16:17]
.LBB899_340:                            ;   in Loop: Header=BB899_215 Depth=1
	s_or_b64 exec, exec, s[14:15]
.LBB899_341:                            ;   in Loop: Header=BB899_215 Depth=1
	s_or_b64 exec, exec, s[12:13]
	v_lshrrev_b16_e32 v44, 8, v42
	v_cmp_ne_u16_e32 vcc, 0, v44
	v_mov_b32_e32 v62, 0
	v_mov_b32_e32 v61, 0
	s_and_saveexec_b64 s[12:13], vcc
	s_cbranch_execz .LBB899_347
; %bb.342:                              ;   in Loop: Header=BB899_215 Depth=1
	v_cmp_ne_u16_e32 vcc, s9, v44
	v_mov_b32_e32 v61, 0xffff8000
	s_and_saveexec_b64 s[14:15], vcc
	s_cbranch_execz .LBB899_346
; %bb.343:                              ;   in Loop: Header=BB899_215 Depth=1
	v_and_b32_e32 v46, 0x7f, v44
	v_cmp_ne_u32_e32 vcc, s21, v46
	v_mov_b32_e32 v61, 0x7f80
	s_and_saveexec_b64 s[16:17], vcc
	s_cbranch_execz .LBB899_345
; %bb.344:                              ;   in Loop: Header=BB899_215 Depth=1
	v_and_b32_e32 v61, 7, v44
	v_ffbh_u32_e32 v64, v61
	v_min_u32_e32 v66, 32, v64
	v_subrev_u32_e32 v64, 28, v66
	v_lshlrev_b64 v[64:65], v64, v[44:45]
	v_lshrrev_b32_e32 v63, 3, v46
	v_sub_u32_e32 v44, 29, v66
	v_and_b32_e32 v64, 7, v64
	v_cmp_gt_u32_e32 vcc, 8, v46
	v_cndmask_b32_e32 v44, v63, v44, vcc
	v_cndmask_b32_e32 v46, v61, v64, vcc
	v_lshlrev_b32_e32 v61, 16, v42
	v_lshlrev_b32_e32 v46, 20, v46
	v_and_b32_e32 v61, 0x80000000, v61
	v_lshl_add_u32 v44, v44, 23, v55
	v_or3_b32 v44, v61, v44, v46
	v_lshrrev_b32_e32 v61, 16, v44
.LBB899_345:                            ;   in Loop: Header=BB899_215 Depth=1
	s_or_b64 exec, exec, s[16:17]
.LBB899_346:                            ;   in Loop: Header=BB899_215 Depth=1
	s_or_b64 exec, exec, s[14:15]
.LBB899_347:                            ;   in Loop: Header=BB899_215 Depth=1
	s_or_b64 exec, exec, s[12:13]
	v_lshrrev_b32_e32 v44, 16, v42
	v_cmp_ne_u16_sdwa s[14:15], v44, v54 src0_sel:BYTE_0 src1_sel:DWORD
	s_and_saveexec_b64 s[12:13], s[14:15]
	s_cbranch_execz .LBB899_353
; %bb.348:                              ;   in Loop: Header=BB899_215 Depth=1
	v_cmp_ne_u16_sdwa s[16:17], v44, s9 src0_sel:BYTE_0 src1_sel:DWORD
	v_mov_b32_e32 v62, 0xffff8000
	s_and_saveexec_b64 s[14:15], s[16:17]
	s_cbranch_execz .LBB899_352
; %bb.349:                              ;   in Loop: Header=BB899_215 Depth=1
	v_bfe_u32 v46, v42, 16, 7
	v_cmp_ne_u32_e32 vcc, s21, v46
	v_mov_b32_e32 v62, 0x7f80
	s_and_saveexec_b64 s[16:17], vcc
	s_cbranch_execz .LBB899_351
; %bb.350:                              ;   in Loop: Header=BB899_215 Depth=1
	v_and_b32_e32 v64, 7, v44
	v_ffbh_u32_e32 v62, v64
	v_min_u32_e32 v66, 32, v62
	v_subrev_u32_e32 v62, 28, v66
	v_lshlrev_b64 v[62:63], v62, v[44:45]
	v_lshrrev_b32_e32 v65, 3, v46
	v_sub_u32_e32 v63, 29, v66
	v_and_b32_e32 v62, 7, v62
	v_cmp_gt_u32_e32 vcc, 8, v46
	v_cndmask_b32_e32 v46, v65, v63, vcc
	v_cndmask_b32_e32 v62, v64, v62, vcc
	v_lshlrev_b32_e32 v44, 24, v44
	v_lshlrev_b32_e32 v62, 20, v62
	v_and_b32_e32 v44, 0x80000000, v44
	v_lshl_add_u32 v46, v46, 23, v55
	v_or3_b32 v44, v44, v46, v62
	v_lshrrev_b32_e32 v62, 16, v44
.LBB899_351:                            ;   in Loop: Header=BB899_215 Depth=1
	s_or_b64 exec, exec, s[16:17]
.LBB899_352:                            ;   in Loop: Header=BB899_215 Depth=1
	s_or_b64 exec, exec, s[14:15]
.LBB899_353:                            ;   in Loop: Header=BB899_215 Depth=1
	s_or_b64 exec, exec, s[12:13]
	v_cmp_lt_u32_e32 vcc, s22, v42
	v_mov_b32_e32 v46, 0
	v_mov_b32_e32 v63, 0
	s_and_saveexec_b64 s[12:13], vcc
	s_cbranch_execz .LBB899_359
; %bb.354:                              ;   in Loop: Header=BB899_215 Depth=1
	v_lshrrev_b32_e32 v44, 24, v42
	v_cmp_ne_u32_e32 vcc, s9, v44
	v_mov_b32_e32 v63, 0xffff8000
	s_and_saveexec_b64 s[14:15], vcc
	s_cbranch_execz .LBB899_358
; %bb.355:                              ;   in Loop: Header=BB899_215 Depth=1
	v_bfe_u32 v42, v42, 24, 7
	v_cmp_ne_u32_e32 vcc, s21, v42
	v_mov_b32_e32 v63, 0x7f80
	s_and_saveexec_b64 s[16:17], vcc
	s_cbranch_execz .LBB899_357
; %bb.356:                              ;   in Loop: Header=BB899_215 Depth=1
	v_and_b32_e32 v63, 7, v44
	v_ffbh_u32_e32 v64, v63
	v_min_u32_e32 v67, 32, v64
	v_subrev_u32_e32 v64, 28, v67
	v_lshlrev_b64 v[64:65], v64, v[44:45]
	v_lshrrev_b32_e32 v66, 3, v42
	v_sub_u32_e32 v65, 29, v67
	v_and_b32_e32 v64, 7, v64
	v_cmp_gt_u32_e32 vcc, 8, v42
	v_cndmask_b32_e32 v42, v66, v65, vcc
	v_cndmask_b32_e32 v63, v63, v64, vcc
	v_lshlrev_b32_e32 v44, 24, v44
	v_lshlrev_b32_e32 v63, 20, v63
	v_and_b32_e32 v44, 0x80000000, v44
	v_lshl_add_u32 v42, v42, 23, v55
	v_or3_b32 v42, v44, v42, v63
	v_lshrrev_b32_e32 v63, 16, v42
.LBB899_357:                            ;   in Loop: Header=BB899_215 Depth=1
	s_or_b64 exec, exec, s[16:17]
.LBB899_358:                            ;   in Loop: Header=BB899_215 Depth=1
	s_or_b64 exec, exec, s[14:15]
.LBB899_359:                            ;   in Loop: Header=BB899_215 Depth=1
	s_or_b64 exec, exec, s[12:13]
	v_perm_b32 v65, v60, v58, s23
	v_perm_b32 v64, v57, v56, s23
	;; [unrolled: 1-line block ×4, first 2 shown]
	s_waitcnt vmcnt(1)
	v_cmp_ne_u16_sdwa s[14:15], v40, v54 src0_sel:BYTE_0 src1_sel:DWORD
	v_mfma_f32_16x16x16bf16_1k v[34:37], v[64:65], v[10:11], v[34:37]
	v_mfma_f32_16x16x16bf16_1k v[34:37], v[56:57], v[12:13], v[34:37]
	s_and_saveexec_b64 s[12:13], s[14:15]
	s_cbranch_execz .LBB899_365
; %bb.360:                              ;   in Loop: Header=BB899_215 Depth=1
	v_cmp_ne_u16_sdwa s[16:17], v40, s9 src0_sel:BYTE_0 src1_sel:DWORD
	v_mov_b32_e32 v46, 0xffff8000
	s_and_saveexec_b64 s[14:15], s[16:17]
	s_cbranch_execz .LBB899_364
; %bb.361:                              ;   in Loop: Header=BB899_215 Depth=1
	v_and_b32_e32 v42, 0x7f, v40
	v_cmp_ne_u32_e32 vcc, s21, v42
	v_mov_b32_e32 v46, 0x7f80
	s_and_saveexec_b64 s[16:17], vcc
	s_cbranch_execz .LBB899_363
; %bb.362:                              ;   in Loop: Header=BB899_215 Depth=1
	v_and_b32_e32 v44, 7, v40
	v_ffbh_u32_e32 v56, v44
	v_min_u32_e32 v58, 32, v56
	v_subrev_u32_e32 v56, 28, v58
	v_lshlrev_b64 v[56:57], v56, v[40:41]
	v_lshrrev_b32_e32 v46, 3, v42
	v_sub_u32_e32 v57, 29, v58
	v_and_b32_e32 v56, 7, v56
	v_cmp_gt_u32_e32 vcc, 8, v42
	v_cndmask_b32_e32 v42, v46, v57, vcc
	v_cndmask_b32_e32 v44, v44, v56, vcc
	v_lshlrev_b32_e32 v46, 24, v40
	v_lshlrev_b32_e32 v44, 20, v44
	v_and_b32_e32 v46, 0x80000000, v46
	v_lshl_add_u32 v42, v42, 23, v55
	v_or3_b32 v42, v46, v42, v44
	v_lshrrev_b32_e32 v46, 16, v42
.LBB899_363:                            ;   in Loop: Header=BB899_215 Depth=1
	s_or_b64 exec, exec, s[16:17]
.LBB899_364:                            ;   in Loop: Header=BB899_215 Depth=1
	s_or_b64 exec, exec, s[14:15]
.LBB899_365:                            ;   in Loop: Header=BB899_215 Depth=1
	s_or_b64 exec, exec, s[12:13]
	v_lshrrev_b16_e32 v42, 8, v40
	v_cmp_ne_u16_e32 vcc, 0, v42
	v_mov_b32_e32 v57, 0
	v_mov_b32_e32 v44, 0
	s_and_saveexec_b64 s[12:13], vcc
	s_cbranch_execz .LBB899_371
; %bb.366:                              ;   in Loop: Header=BB899_215 Depth=1
	v_cmp_ne_u16_e32 vcc, s9, v42
	v_mov_b32_e32 v44, 0xffff8000
	s_and_saveexec_b64 s[14:15], vcc
	s_cbranch_execz .LBB899_370
; %bb.367:                              ;   in Loop: Header=BB899_215 Depth=1
	v_and_b32_e32 v56, 0x7f, v42
	v_cmp_ne_u32_e32 vcc, s21, v56
	v_mov_b32_e32 v44, 0x7f80
	s_and_saveexec_b64 s[16:17], vcc
	s_cbranch_execz .LBB899_369
; %bb.368:                              ;   in Loop: Header=BB899_215 Depth=1
	v_and_b32_e32 v44, 7, v42
	v_ffbh_u32_e32 v58, v44
	v_min_u32_e32 v61, 32, v58
	v_subrev_u32_e32 v58, 28, v61
	v_lshlrev_b64 v[58:59], v58, v[42:43]
	v_lshrrev_b32_e32 v60, 3, v56
	v_sub_u32_e32 v42, 29, v61
	v_and_b32_e32 v58, 7, v58
	v_cmp_gt_u32_e32 vcc, 8, v56
	v_cndmask_b32_e32 v42, v60, v42, vcc
	v_cndmask_b32_e32 v44, v44, v58, vcc
	v_lshlrev_b32_e32 v56, 16, v40
	v_lshlrev_b32_e32 v44, 20, v44
	v_and_b32_e32 v56, 0x80000000, v56
	v_lshl_add_u32 v42, v42, 23, v55
	v_or3_b32 v42, v56, v42, v44
	v_lshrrev_b32_e32 v44, 16, v42
.LBB899_369:                            ;   in Loop: Header=BB899_215 Depth=1
	s_or_b64 exec, exec, s[16:17]
.LBB899_370:                            ;   in Loop: Header=BB899_215 Depth=1
	s_or_b64 exec, exec, s[14:15]
.LBB899_371:                            ;   in Loop: Header=BB899_215 Depth=1
	s_or_b64 exec, exec, s[12:13]
	v_lshrrev_b32_e32 v42, 16, v40
	v_cmp_ne_u16_sdwa s[14:15], v42, v54 src0_sel:BYTE_0 src1_sel:DWORD
	s_and_saveexec_b64 s[12:13], s[14:15]
	s_cbranch_execz .LBB899_377
; %bb.372:                              ;   in Loop: Header=BB899_215 Depth=1
	v_cmp_ne_u16_sdwa s[16:17], v42, s9 src0_sel:BYTE_0 src1_sel:DWORD
	v_mov_b32_e32 v57, 0xffff8000
	s_and_saveexec_b64 s[14:15], s[16:17]
	s_cbranch_execz .LBB899_376
; %bb.373:                              ;   in Loop: Header=BB899_215 Depth=1
	v_bfe_u32 v56, v40, 16, 7
	v_cmp_ne_u32_e32 vcc, s21, v56
	v_mov_b32_e32 v57, 0x7f80
	s_and_saveexec_b64 s[16:17], vcc
	s_cbranch_execz .LBB899_375
; %bb.374:                              ;   in Loop: Header=BB899_215 Depth=1
	v_and_b32_e32 v57, 7, v42
	v_ffbh_u32_e32 v58, v57
	v_min_u32_e32 v61, 32, v58
	v_subrev_u32_e32 v58, 28, v61
	v_lshlrev_b64 v[58:59], v58, v[42:43]
	v_lshrrev_b32_e32 v60, 3, v56
	v_sub_u32_e32 v59, 29, v61
	v_and_b32_e32 v58, 7, v58
	v_cmp_gt_u32_e32 vcc, 8, v56
	v_cndmask_b32_e32 v56, v60, v59, vcc
	v_cndmask_b32_e32 v57, v57, v58, vcc
	v_lshlrev_b32_e32 v42, 24, v42
	v_lshlrev_b32_e32 v57, 20, v57
	v_and_b32_e32 v42, 0x80000000, v42
	v_lshl_add_u32 v56, v56, 23, v55
	v_or3_b32 v42, v42, v56, v57
	v_lshrrev_b32_e32 v57, 16, v42
.LBB899_375:                            ;   in Loop: Header=BB899_215 Depth=1
	s_or_b64 exec, exec, s[16:17]
.LBB899_376:                            ;   in Loop: Header=BB899_215 Depth=1
	s_or_b64 exec, exec, s[14:15]
.LBB899_377:                            ;   in Loop: Header=BB899_215 Depth=1
	s_or_b64 exec, exec, s[12:13]
	v_cmp_lt_u32_e32 vcc, s22, v40
	v_mov_b32_e32 v58, 0
	v_mov_b32_e32 v59, 0
	s_and_saveexec_b64 s[12:13], vcc
	s_cbranch_execz .LBB899_383
; %bb.378:                              ;   in Loop: Header=BB899_215 Depth=1
	v_lshrrev_b32_e32 v42, 24, v40
	v_cmp_ne_u32_e32 vcc, s9, v42
	v_mov_b32_e32 v59, 0xffff8000
	s_and_saveexec_b64 s[14:15], vcc
	s_cbranch_execz .LBB899_382
; %bb.379:                              ;   in Loop: Header=BB899_215 Depth=1
	v_bfe_u32 v40, v40, 24, 7
	v_cmp_ne_u32_e32 vcc, s21, v40
	v_mov_b32_e32 v59, 0x7f80
	s_and_saveexec_b64 s[16:17], vcc
	s_cbranch_execz .LBB899_381
; %bb.380:                              ;   in Loop: Header=BB899_215 Depth=1
	v_and_b32_e32 v56, 7, v42
	v_ffbh_u32_e32 v60, v56
	v_min_u32_e32 v62, 32, v60
	v_subrev_u32_e32 v60, 28, v62
	v_lshlrev_b64 v[60:61], v60, v[42:43]
	v_lshrrev_b32_e32 v59, 3, v40
	v_sub_u32_e32 v61, 29, v62
	v_and_b32_e32 v60, 7, v60
	v_cmp_gt_u32_e32 vcc, 8, v40
	v_cndmask_b32_e32 v40, v59, v61, vcc
	v_cndmask_b32_e32 v56, v56, v60, vcc
	v_lshlrev_b32_e32 v42, 24, v42
	v_lshlrev_b32_e32 v56, 20, v56
	v_and_b32_e32 v42, 0x80000000, v42
	v_lshl_add_u32 v40, v40, 23, v55
	v_or3_b32 v40, v42, v40, v56
	v_lshrrev_b32_e32 v59, 16, v40
.LBB899_381:                            ;   in Loop: Header=BB899_215 Depth=1
	s_or_b64 exec, exec, s[16:17]
.LBB899_382:                            ;   in Loop: Header=BB899_215 Depth=1
	s_or_b64 exec, exec, s[14:15]
.LBB899_383:                            ;   in Loop: Header=BB899_215 Depth=1
	s_or_b64 exec, exec, s[12:13]
	s_waitcnt vmcnt(0)
	v_cmp_ne_u16_sdwa s[14:15], v38, v54 src0_sel:BYTE_0 src1_sel:DWORD
	s_and_saveexec_b64 s[12:13], s[14:15]
	s_cbranch_execz .LBB899_389
; %bb.384:                              ;   in Loop: Header=BB899_215 Depth=1
	v_cmp_ne_u16_sdwa s[16:17], v38, s9 src0_sel:BYTE_0 src1_sel:DWORD
	v_mov_b32_e32 v58, 0xffff8000
	s_and_saveexec_b64 s[14:15], s[16:17]
	s_cbranch_execz .LBB899_388
; %bb.385:                              ;   in Loop: Header=BB899_215 Depth=1
	v_and_b32_e32 v40, 0x7f, v38
	v_cmp_ne_u32_e32 vcc, s21, v40
	v_mov_b32_e32 v58, 0x7f80
	s_and_saveexec_b64 s[16:17], vcc
	s_cbranch_execz .LBB899_387
; %bb.386:                              ;   in Loop: Header=BB899_215 Depth=1
	v_and_b32_e32 v42, 7, v38
	v_ffbh_u32_e32 v58, v42
	v_min_u32_e32 v58, 32, v58
	v_subrev_u32_e32 v60, 28, v58
	v_lshlrev_b64 v[60:61], v60, v[38:39]
	v_lshrrev_b32_e32 v56, 3, v40
	v_sub_u32_e32 v58, 29, v58
	v_and_b32_e32 v60, 7, v60
	v_cmp_gt_u32_e32 vcc, 8, v40
	v_cndmask_b32_e32 v40, v56, v58, vcc
	v_cndmask_b32_e32 v42, v42, v60, vcc
	v_lshlrev_b32_e32 v56, 24, v38
	v_lshlrev_b32_e32 v42, 20, v42
	v_and_b32_e32 v56, 0x80000000, v56
	v_lshl_add_u32 v40, v40, 23, v55
	v_or3_b32 v40, v56, v40, v42
	v_lshrrev_b32_e32 v58, 16, v40
.LBB899_387:                            ;   in Loop: Header=BB899_215 Depth=1
	s_or_b64 exec, exec, s[16:17]
.LBB899_388:                            ;   in Loop: Header=BB899_215 Depth=1
	s_or_b64 exec, exec, s[14:15]
.LBB899_389:                            ;   in Loop: Header=BB899_215 Depth=1
	s_or_b64 exec, exec, s[12:13]
	v_lshrrev_b16_e32 v40, 8, v38
	v_cmp_ne_u16_e32 vcc, 0, v40
	v_mov_b32_e32 v61, 0
	v_mov_b32_e32 v60, 0
	s_and_saveexec_b64 s[12:13], vcc
	s_cbranch_execz .LBB899_395
; %bb.390:                              ;   in Loop: Header=BB899_215 Depth=1
	v_cmp_ne_u16_e32 vcc, s9, v40
	v_mov_b32_e32 v60, 0xffff8000
	s_and_saveexec_b64 s[14:15], vcc
	s_cbranch_execz .LBB899_394
; %bb.391:                              ;   in Loop: Header=BB899_215 Depth=1
	v_and_b32_e32 v42, 0x7f, v40
	v_cmp_ne_u32_e32 vcc, s21, v42
	v_mov_b32_e32 v60, 0x7f80
	s_and_saveexec_b64 s[16:17], vcc
	s_cbranch_execz .LBB899_393
; %bb.392:                              ;   in Loop: Header=BB899_215 Depth=1
	v_and_b32_e32 v56, 7, v40
	v_ffbh_u32_e32 v62, v56
	v_min_u32_e32 v64, 32, v62
	v_subrev_u32_e32 v62, 28, v64
	v_lshlrev_b64 v[62:63], v62, v[40:41]
	v_lshrrev_b32_e32 v60, 3, v42
	v_sub_u32_e32 v40, 29, v64
	v_and_b32_e32 v62, 7, v62
	v_cmp_gt_u32_e32 vcc, 8, v42
	v_cndmask_b32_e32 v40, v60, v40, vcc
	v_cndmask_b32_e32 v42, v56, v62, vcc
	v_lshlrev_b32_e32 v56, 16, v38
	v_lshlrev_b32_e32 v42, 20, v42
	v_and_b32_e32 v56, 0x80000000, v56
	v_lshl_add_u32 v40, v40, 23, v55
	v_or3_b32 v40, v56, v40, v42
	v_lshrrev_b32_e32 v60, 16, v40
.LBB899_393:                            ;   in Loop: Header=BB899_215 Depth=1
	s_or_b64 exec, exec, s[16:17]
.LBB899_394:                            ;   in Loop: Header=BB899_215 Depth=1
	s_or_b64 exec, exec, s[14:15]
.LBB899_395:                            ;   in Loop: Header=BB899_215 Depth=1
	s_or_b64 exec, exec, s[12:13]
	v_lshrrev_b32_e32 v40, 16, v38
	v_cmp_ne_u16_sdwa s[14:15], v40, v54 src0_sel:BYTE_0 src1_sel:DWORD
	s_and_saveexec_b64 s[12:13], s[14:15]
	s_cbranch_execz .LBB899_401
; %bb.396:                              ;   in Loop: Header=BB899_215 Depth=1
	v_cmp_ne_u16_sdwa s[16:17], v40, s9 src0_sel:BYTE_0 src1_sel:DWORD
	v_mov_b32_e32 v61, 0xffff8000
	s_and_saveexec_b64 s[14:15], s[16:17]
	s_cbranch_execz .LBB899_400
; %bb.397:                              ;   in Loop: Header=BB899_215 Depth=1
	v_bfe_u32 v42, v38, 16, 7
	v_cmp_ne_u32_e32 vcc, s21, v42
	v_mov_b32_e32 v61, 0x7f80
	s_and_saveexec_b64 s[16:17], vcc
	s_cbranch_execz .LBB899_399
; %bb.398:                              ;   in Loop: Header=BB899_215 Depth=1
	v_and_b32_e32 v56, 7, v40
	v_ffbh_u32_e32 v62, v56
	v_min_u32_e32 v64, 32, v62
	v_subrev_u32_e32 v62, 28, v64
	v_lshlrev_b64 v[62:63], v62, v[40:41]
	v_lshrrev_b32_e32 v61, 3, v42
	v_sub_u32_e32 v63, 29, v64
	v_and_b32_e32 v62, 7, v62
	v_cmp_gt_u32_e32 vcc, 8, v42
	v_cndmask_b32_e32 v42, v61, v63, vcc
	v_cndmask_b32_e32 v56, v56, v62, vcc
	v_lshlrev_b32_e32 v40, 24, v40
	v_lshlrev_b32_e32 v56, 20, v56
	v_and_b32_e32 v40, 0x80000000, v40
	v_lshl_add_u32 v42, v42, 23, v55
	v_or3_b32 v40, v40, v42, v56
	v_lshrrev_b32_e32 v61, 16, v40
.LBB899_399:                            ;   in Loop: Header=BB899_215 Depth=1
	s_or_b64 exec, exec, s[16:17]
.LBB899_400:                            ;   in Loop: Header=BB899_215 Depth=1
	s_or_b64 exec, exec, s[14:15]
.LBB899_401:                            ;   in Loop: Header=BB899_215 Depth=1
	s_or_b64 exec, exec, s[12:13]
	v_cmp_lt_u32_e32 vcc, s22, v38
	v_mov_b32_e32 v56, 0
	v_mov_b32_e32 v62, 0
	s_and_saveexec_b64 s[12:13], vcc
	s_cbranch_execz .LBB899_407
; %bb.402:                              ;   in Loop: Header=BB899_215 Depth=1
	v_lshrrev_b32_e32 v40, 24, v38
	v_cmp_ne_u32_e32 vcc, s9, v40
	v_mov_b32_e32 v62, 0xffff8000
	s_and_saveexec_b64 s[14:15], vcc
	s_cbranch_execz .LBB899_406
; %bb.403:                              ;   in Loop: Header=BB899_215 Depth=1
	v_bfe_u32 v38, v38, 24, 7
	v_cmp_ne_u32_e32 vcc, s21, v38
	v_mov_b32_e32 v62, 0x7f80
	s_and_saveexec_b64 s[16:17], vcc
	s_cbranch_execz .LBB899_405
; %bb.404:                              ;   in Loop: Header=BB899_215 Depth=1
	v_and_b32_e32 v42, 7, v40
	v_ffbh_u32_e32 v62, v42
	v_min_u32_e32 v65, 32, v62
	v_subrev_u32_e32 v62, 28, v65
	v_lshlrev_b64 v[62:63], v62, v[40:41]
	v_lshrrev_b32_e32 v64, 3, v38
	v_sub_u32_e32 v63, 29, v65
	v_and_b32_e32 v62, 7, v62
	v_cmp_gt_u32_e32 vcc, 8, v38
	v_cndmask_b32_e32 v38, v64, v63, vcc
	v_cndmask_b32_e32 v42, v42, v62, vcc
	v_lshlrev_b32_e32 v40, 24, v40
	v_lshlrev_b32_e32 v42, 20, v42
	v_and_b32_e32 v40, 0x80000000, v40
	v_lshl_add_u32 v38, v38, 23, v55
	v_or3_b32 v38, v40, v38, v42
	v_lshrrev_b32_e32 v62, 16, v38
.LBB899_405:                            ;   in Loop: Header=BB899_215 Depth=1
	s_or_b64 exec, exec, s[16:17]
.LBB899_406:                            ;   in Loop: Header=BB899_215 Depth=1
	s_or_b64 exec, exec, s[14:15]
.LBB899_407:                            ;   in Loop: Header=BB899_215 Depth=1
	s_or_b64 exec, exec, s[12:13]
	v_perm_b32 v64, v44, v46, s23
	buffer_load_dword v44, v51, s[0:3], 0 offen
	buffer_load_dword v42, v51, s[0:3], 0 offen offset:4
	buffer_load_dword v40, v51, s[0:3], 0 offen offset:8
	;; [unrolled: 1-line block ×3, first 2 shown]
	v_perm_b32 v65, v59, v57, s23
	v_perm_b32 v59, v62, v61, s23
	;; [unrolled: 1-line block ×3, first 2 shown]
	v_mfma_f32_16x16x16bf16_1k v[34:37], v[64:65], v[14:15], v[34:37]
	s_waitcnt vmcnt(3)
	v_cmp_ne_u16_sdwa s[14:15], v44, v54 src0_sel:BYTE_0 src1_sel:DWORD
	v_mfma_f32_16x16x16bf16_1k v[34:37], v[58:59], v[16:17], v[34:37]
	s_and_saveexec_b64 s[12:13], s[14:15]
	s_cbranch_execz .LBB899_413
; %bb.408:                              ;   in Loop: Header=BB899_215 Depth=1
	v_cmp_ne_u16_sdwa s[16:17], v44, s9 src0_sel:BYTE_0 src1_sel:DWORD
	v_mov_b32_e32 v56, 0xffff8000
	s_and_saveexec_b64 s[14:15], s[16:17]
	s_cbranch_execz .LBB899_412
; %bb.409:                              ;   in Loop: Header=BB899_215 Depth=1
	v_and_b32_e32 v46, 0x7f, v44
	v_cmp_ne_u32_e32 vcc, s21, v46
	v_mov_b32_e32 v56, 0x7f80
	s_and_saveexec_b64 s[16:17], vcc
	s_cbranch_execz .LBB899_411
; %bb.410:                              ;   in Loop: Header=BB899_215 Depth=1
	v_and_b32_e32 v51, 7, v44
	v_ffbh_u32_e32 v56, v51
	v_min_u32_e32 v59, 32, v56
	v_subrev_u32_e32 v56, 28, v59
	v_lshlrev_b64 v[56:57], v56, v[44:45]
	v_lshrrev_b32_e32 v58, 3, v46
	v_sub_u32_e32 v57, 29, v59
	v_and_b32_e32 v56, 7, v56
	v_cmp_gt_u32_e32 vcc, 8, v46
	v_cndmask_b32_e32 v46, v58, v57, vcc
	v_cndmask_b32_e32 v51, v51, v56, vcc
	v_lshlrev_b32_e32 v56, 24, v44
	v_lshlrev_b32_e32 v51, 20, v51
	v_and_b32_e32 v56, 0x80000000, v56
	v_lshl_add_u32 v46, v46, 23, v55
	v_or3_b32 v46, v56, v46, v51
	v_lshrrev_b32_e32 v56, 16, v46
.LBB899_411:                            ;   in Loop: Header=BB899_215 Depth=1
	s_or_b64 exec, exec, s[16:17]
.LBB899_412:                            ;   in Loop: Header=BB899_215 Depth=1
	s_or_b64 exec, exec, s[14:15]
.LBB899_413:                            ;   in Loop: Header=BB899_215 Depth=1
	s_or_b64 exec, exec, s[12:13]
	v_lshrrev_b16_e32 v46, 8, v44
	v_cmp_ne_u16_e32 vcc, 0, v46
	v_mov_b32_e32 v57, 0
	v_mov_b32_e32 v51, 0
	s_and_saveexec_b64 s[12:13], vcc
	s_cbranch_execz .LBB899_419
; %bb.414:                              ;   in Loop: Header=BB899_215 Depth=1
	v_cmp_ne_u16_e32 vcc, s9, v46
	v_mov_b32_e32 v51, 0xffff8000
	s_and_saveexec_b64 s[14:15], vcc
	s_cbranch_execz .LBB899_418
; %bb.415:                              ;   in Loop: Header=BB899_215 Depth=1
	v_and_b32_e32 v58, 0x7f, v46
	v_cmp_ne_u32_e32 vcc, s21, v58
	v_mov_b32_e32 v51, 0x7f80
	s_and_saveexec_b64 s[16:17], vcc
	s_cbranch_execz .LBB899_417
; %bb.416:                              ;   in Loop: Header=BB899_215 Depth=1
	v_and_b32_e32 v51, 7, v46
	v_ffbh_u32_e32 v60, v51
	v_min_u32_e32 v62, 32, v60
	v_subrev_u32_e32 v60, 28, v62
	v_lshlrev_b64 v[60:61], v60, v[46:47]
	v_lshrrev_b32_e32 v59, 3, v58
	v_sub_u32_e32 v46, 29, v62
	v_and_b32_e32 v60, 7, v60
	v_cmp_gt_u32_e32 vcc, 8, v58
	v_cndmask_b32_e32 v46, v59, v46, vcc
	v_cndmask_b32_e32 v51, v51, v60, vcc
	v_lshlrev_b32_e32 v58, 16, v44
	v_lshlrev_b32_e32 v51, 20, v51
	v_and_b32_e32 v58, 0x80000000, v58
	v_lshl_add_u32 v46, v46, 23, v55
	v_or3_b32 v46, v58, v46, v51
	v_lshrrev_b32_e32 v51, 16, v46
.LBB899_417:                            ;   in Loop: Header=BB899_215 Depth=1
	s_or_b64 exec, exec, s[16:17]
.LBB899_418:                            ;   in Loop: Header=BB899_215 Depth=1
	s_or_b64 exec, exec, s[14:15]
.LBB899_419:                            ;   in Loop: Header=BB899_215 Depth=1
	s_or_b64 exec, exec, s[12:13]
	v_lshrrev_b32_e32 v46, 16, v44
	v_cmp_ne_u16_sdwa s[14:15], v46, v54 src0_sel:BYTE_0 src1_sel:DWORD
	s_and_saveexec_b64 s[12:13], s[14:15]
	s_cbranch_execz .LBB899_425
; %bb.420:                              ;   in Loop: Header=BB899_215 Depth=1
	v_cmp_ne_u16_sdwa s[16:17], v46, s9 src0_sel:BYTE_0 src1_sel:DWORD
	v_mov_b32_e32 v57, 0xffff8000
	s_and_saveexec_b64 s[14:15], s[16:17]
	s_cbranch_execz .LBB899_424
; %bb.421:                              ;   in Loop: Header=BB899_215 Depth=1
	v_bfe_u32 v58, v44, 16, 7
	v_cmp_ne_u32_e32 vcc, s21, v58
	v_mov_b32_e32 v57, 0x7f80
	s_and_saveexec_b64 s[16:17], vcc
	s_cbranch_execz .LBB899_423
; %bb.422:                              ;   in Loop: Header=BB899_215 Depth=1
	v_and_b32_e32 v57, 7, v46
	v_ffbh_u32_e32 v60, v57
	v_min_u32_e32 v62, 32, v60
	v_subrev_u32_e32 v60, 28, v62
	v_lshlrev_b64 v[60:61], v60, v[46:47]
	v_lshrrev_b32_e32 v59, 3, v58
	v_sub_u32_e32 v61, 29, v62
	v_and_b32_e32 v60, 7, v60
	v_cmp_gt_u32_e32 vcc, 8, v58
	v_cndmask_b32_e32 v58, v59, v61, vcc
	v_cndmask_b32_e32 v57, v57, v60, vcc
	v_lshlrev_b32_e32 v46, 24, v46
	v_lshlrev_b32_e32 v57, 20, v57
	v_and_b32_e32 v46, 0x80000000, v46
	v_lshl_add_u32 v58, v58, 23, v55
	v_or3_b32 v46, v46, v58, v57
	v_lshrrev_b32_e32 v57, 16, v46
.LBB899_423:                            ;   in Loop: Header=BB899_215 Depth=1
	s_or_b64 exec, exec, s[16:17]
.LBB899_424:                            ;   in Loop: Header=BB899_215 Depth=1
	s_or_b64 exec, exec, s[14:15]
.LBB899_425:                            ;   in Loop: Header=BB899_215 Depth=1
	s_or_b64 exec, exec, s[12:13]
	v_cmp_lt_u32_e32 vcc, s22, v44
	v_mov_b32_e32 v58, 0
	v_mov_b32_e32 v59, 0
	s_and_saveexec_b64 s[12:13], vcc
	s_cbranch_execz .LBB899_431
; %bb.426:                              ;   in Loop: Header=BB899_215 Depth=1
	v_lshrrev_b32_e32 v46, 24, v44
	v_cmp_ne_u32_e32 vcc, s9, v46
	v_mov_b32_e32 v59, 0xffff8000
	s_and_saveexec_b64 s[14:15], vcc
	s_cbranch_execz .LBB899_430
; %bb.427:                              ;   in Loop: Header=BB899_215 Depth=1
	v_bfe_u32 v44, v44, 24, 7
	v_cmp_ne_u32_e32 vcc, s21, v44
	v_mov_b32_e32 v59, 0x7f80
	s_and_saveexec_b64 s[16:17], vcc
	s_cbranch_execz .LBB899_429
; %bb.428:                              ;   in Loop: Header=BB899_215 Depth=1
	v_and_b32_e32 v59, 7, v46
	v_ffbh_u32_e32 v60, v59
	v_min_u32_e32 v63, 32, v60
	v_subrev_u32_e32 v60, 28, v63
	v_lshlrev_b64 v[60:61], v60, v[46:47]
	v_lshrrev_b32_e32 v62, 3, v44
	v_sub_u32_e32 v61, 29, v63
	v_and_b32_e32 v60, 7, v60
	v_cmp_gt_u32_e32 vcc, 8, v44
	v_cndmask_b32_e32 v44, v62, v61, vcc
	v_cndmask_b32_e32 v59, v59, v60, vcc
	v_lshlrev_b32_e32 v46, 24, v46
	v_lshlrev_b32_e32 v59, 20, v59
	v_and_b32_e32 v46, 0x80000000, v46
	v_lshl_add_u32 v44, v44, 23, v55
	v_or3_b32 v44, v46, v44, v59
	v_lshrrev_b32_e32 v59, 16, v44
.LBB899_429:                            ;   in Loop: Header=BB899_215 Depth=1
	s_or_b64 exec, exec, s[16:17]
.LBB899_430:                            ;   in Loop: Header=BB899_215 Depth=1
	s_or_b64 exec, exec, s[14:15]
.LBB899_431:                            ;   in Loop: Header=BB899_215 Depth=1
	s_or_b64 exec, exec, s[12:13]
	s_waitcnt vmcnt(2)
	v_cmp_ne_u16_sdwa s[14:15], v42, v54 src0_sel:BYTE_0 src1_sel:DWORD
	s_and_saveexec_b64 s[12:13], s[14:15]
	s_cbranch_execz .LBB899_437
; %bb.432:                              ;   in Loop: Header=BB899_215 Depth=1
	v_cmp_ne_u16_sdwa s[16:17], v42, s9 src0_sel:BYTE_0 src1_sel:DWORD
	v_mov_b32_e32 v58, 0xffff8000
	s_and_saveexec_b64 s[14:15], s[16:17]
	s_cbranch_execz .LBB899_436
; %bb.433:                              ;   in Loop: Header=BB899_215 Depth=1
	v_and_b32_e32 v44, 0x7f, v42
	v_cmp_ne_u32_e32 vcc, s21, v44
	v_mov_b32_e32 v58, 0x7f80
	s_and_saveexec_b64 s[16:17], vcc
	s_cbranch_execz .LBB899_435
; %bb.434:                              ;   in Loop: Header=BB899_215 Depth=1
	v_and_b32_e32 v46, 7, v42
	v_ffbh_u32_e32 v60, v46
	v_min_u32_e32 v62, 32, v60
	v_subrev_u32_e32 v60, 28, v62
	v_lshlrev_b64 v[60:61], v60, v[42:43]
	v_lshrrev_b32_e32 v58, 3, v44
	v_sub_u32_e32 v61, 29, v62
	v_and_b32_e32 v60, 7, v60
	v_cmp_gt_u32_e32 vcc, 8, v44
	v_cndmask_b32_e32 v44, v58, v61, vcc
	v_cndmask_b32_e32 v46, v46, v60, vcc
	v_lshlrev_b32_e32 v58, 24, v42
	v_lshlrev_b32_e32 v46, 20, v46
	v_and_b32_e32 v58, 0x80000000, v58
	v_lshl_add_u32 v44, v44, 23, v55
	v_or3_b32 v44, v58, v44, v46
	v_lshrrev_b32_e32 v58, 16, v44
.LBB899_435:                            ;   in Loop: Header=BB899_215 Depth=1
	s_or_b64 exec, exec, s[16:17]
.LBB899_436:                            ;   in Loop: Header=BB899_215 Depth=1
	s_or_b64 exec, exec, s[14:15]
.LBB899_437:                            ;   in Loop: Header=BB899_215 Depth=1
	s_or_b64 exec, exec, s[12:13]
	v_lshrrev_b16_e32 v44, 8, v42
	v_cmp_ne_u16_e32 vcc, 0, v44
	v_mov_b32_e32 v61, 0
	v_mov_b32_e32 v60, 0
	s_and_saveexec_b64 s[12:13], vcc
	s_cbranch_execz .LBB899_443
; %bb.438:                              ;   in Loop: Header=BB899_215 Depth=1
	v_cmp_ne_u16_e32 vcc, s9, v44
	v_mov_b32_e32 v60, 0xffff8000
	s_and_saveexec_b64 s[14:15], vcc
	s_cbranch_execz .LBB899_442
; %bb.439:                              ;   in Loop: Header=BB899_215 Depth=1
	v_and_b32_e32 v46, 0x7f, v44
	v_cmp_ne_u32_e32 vcc, s21, v46
	v_mov_b32_e32 v60, 0x7f80
	s_and_saveexec_b64 s[16:17], vcc
	s_cbranch_execz .LBB899_441
; %bb.440:                              ;   in Loop: Header=BB899_215 Depth=1
	v_and_b32_e32 v60, 7, v44
	v_ffbh_u32_e32 v62, v60
	v_min_u32_e32 v65, 32, v62
	v_subrev_u32_e32 v62, 28, v65
	v_lshlrev_b64 v[62:63], v62, v[44:45]
	v_lshrrev_b32_e32 v64, 3, v46
	v_sub_u32_e32 v44, 29, v65
	v_and_b32_e32 v62, 7, v62
	v_cmp_gt_u32_e32 vcc, 8, v46
	v_cndmask_b32_e32 v44, v64, v44, vcc
	v_cndmask_b32_e32 v46, v60, v62, vcc
	v_lshlrev_b32_e32 v60, 16, v42
	v_lshlrev_b32_e32 v46, 20, v46
	v_and_b32_e32 v60, 0x80000000, v60
	v_lshl_add_u32 v44, v44, 23, v55
	v_or3_b32 v44, v60, v44, v46
	v_lshrrev_b32_e32 v60, 16, v44
.LBB899_441:                            ;   in Loop: Header=BB899_215 Depth=1
	s_or_b64 exec, exec, s[16:17]
.LBB899_442:                            ;   in Loop: Header=BB899_215 Depth=1
	s_or_b64 exec, exec, s[14:15]
.LBB899_443:                            ;   in Loop: Header=BB899_215 Depth=1
	s_or_b64 exec, exec, s[12:13]
	v_lshrrev_b32_e32 v44, 16, v42
	v_cmp_ne_u16_sdwa s[14:15], v44, v54 src0_sel:BYTE_0 src1_sel:DWORD
	s_and_saveexec_b64 s[12:13], s[14:15]
	s_cbranch_execz .LBB899_449
; %bb.444:                              ;   in Loop: Header=BB899_215 Depth=1
	v_cmp_ne_u16_sdwa s[16:17], v44, s9 src0_sel:BYTE_0 src1_sel:DWORD
	v_mov_b32_e32 v61, 0xffff8000
	s_and_saveexec_b64 s[14:15], s[16:17]
	s_cbranch_execz .LBB899_448
; %bb.445:                              ;   in Loop: Header=BB899_215 Depth=1
	v_bfe_u32 v46, v42, 16, 7
	v_cmp_ne_u32_e32 vcc, s21, v46
	v_mov_b32_e32 v61, 0x7f80
	s_and_saveexec_b64 s[16:17], vcc
	s_cbranch_execz .LBB899_447
; %bb.446:                              ;   in Loop: Header=BB899_215 Depth=1
	v_and_b32_e32 v61, 7, v44
	v_ffbh_u32_e32 v62, v61
	v_min_u32_e32 v65, 32, v62
	v_subrev_u32_e32 v62, 28, v65
	v_lshlrev_b64 v[62:63], v62, v[44:45]
	v_lshrrev_b32_e32 v64, 3, v46
	v_sub_u32_e32 v63, 29, v65
	v_and_b32_e32 v62, 7, v62
	v_cmp_gt_u32_e32 vcc, 8, v46
	v_cndmask_b32_e32 v46, v64, v63, vcc
	v_cndmask_b32_e32 v61, v61, v62, vcc
	v_lshlrev_b32_e32 v44, 24, v44
	v_lshlrev_b32_e32 v61, 20, v61
	v_and_b32_e32 v44, 0x80000000, v44
	v_lshl_add_u32 v46, v46, 23, v55
	v_or3_b32 v44, v44, v46, v61
	v_lshrrev_b32_e32 v61, 16, v44
.LBB899_447:                            ;   in Loop: Header=BB899_215 Depth=1
	s_or_b64 exec, exec, s[16:17]
.LBB899_448:                            ;   in Loop: Header=BB899_215 Depth=1
	s_or_b64 exec, exec, s[14:15]
.LBB899_449:                            ;   in Loop: Header=BB899_215 Depth=1
	s_or_b64 exec, exec, s[12:13]
	v_cmp_lt_u32_e32 vcc, s22, v42
	v_mov_b32_e32 v46, 0
	v_mov_b32_e32 v62, 0
	s_and_saveexec_b64 s[12:13], vcc
	s_cbranch_execz .LBB899_455
; %bb.450:                              ;   in Loop: Header=BB899_215 Depth=1
	v_lshrrev_b32_e32 v44, 24, v42
	v_cmp_ne_u32_e32 vcc, s9, v44
	v_mov_b32_e32 v62, 0xffff8000
	s_and_saveexec_b64 s[14:15], vcc
	s_cbranch_execz .LBB899_454
; %bb.451:                              ;   in Loop: Header=BB899_215 Depth=1
	v_bfe_u32 v42, v42, 24, 7
	v_cmp_ne_u32_e32 vcc, s21, v42
	v_mov_b32_e32 v62, 0x7f80
	s_and_saveexec_b64 s[16:17], vcc
	s_cbranch_execz .LBB899_453
; %bb.452:                              ;   in Loop: Header=BB899_215 Depth=1
	v_and_b32_e32 v64, 7, v44
	v_ffbh_u32_e32 v62, v64
	v_min_u32_e32 v66, 32, v62
	v_subrev_u32_e32 v62, 28, v66
	v_lshlrev_b64 v[62:63], v62, v[44:45]
	v_lshrrev_b32_e32 v65, 3, v42
	v_sub_u32_e32 v63, 29, v66
	v_and_b32_e32 v62, 7, v62
	v_cmp_gt_u32_e32 vcc, 8, v42
	v_cndmask_b32_e32 v42, v65, v63, vcc
	v_cndmask_b32_e32 v62, v64, v62, vcc
	v_lshlrev_b32_e32 v44, 24, v44
	v_lshlrev_b32_e32 v62, 20, v62
	v_and_b32_e32 v44, 0x80000000, v44
	v_lshl_add_u32 v42, v42, 23, v55
	v_or3_b32 v42, v44, v42, v62
	v_lshrrev_b32_e32 v62, 16, v42
.LBB899_453:                            ;   in Loop: Header=BB899_215 Depth=1
	s_or_b64 exec, exec, s[16:17]
.LBB899_454:                            ;   in Loop: Header=BB899_215 Depth=1
	s_or_b64 exec, exec, s[14:15]
.LBB899_455:                            ;   in Loop: Header=BB899_215 Depth=1
	s_or_b64 exec, exec, s[12:13]
	v_perm_b32 v57, v59, v57, s23
	v_perm_b32 v56, v51, v56, s23
	s_waitcnt vmcnt(1)
	v_cmp_ne_u16_sdwa s[14:15], v40, v54 src0_sel:BYTE_0 src1_sel:DWORD
	v_mfma_f32_16x16x16bf16_1k v[34:37], v[56:57], v[18:19], v[34:37]
	v_perm_b32 v57, v62, v61, s23
	v_perm_b32 v56, v60, v58, s23
	s_nop 1
	v_mfma_f32_16x16x16bf16_1k v[34:37], v[56:57], v[20:21], v[34:37]
	s_and_saveexec_b64 s[12:13], s[14:15]
	s_cbranch_execz .LBB899_461
; %bb.456:                              ;   in Loop: Header=BB899_215 Depth=1
	v_cmp_ne_u16_sdwa s[16:17], v40, s9 src0_sel:BYTE_0 src1_sel:DWORD
	v_mov_b32_e32 v46, 0xffff8000
	s_and_saveexec_b64 s[14:15], s[16:17]
	s_cbranch_execz .LBB899_460
; %bb.457:                              ;   in Loop: Header=BB899_215 Depth=1
	v_and_b32_e32 v42, 0x7f, v40
	v_cmp_ne_u32_e32 vcc, s21, v42
	v_mov_b32_e32 v46, 0x7f80
	s_and_saveexec_b64 s[16:17], vcc
	s_cbranch_execz .LBB899_459
; %bb.458:                              ;   in Loop: Header=BB899_215 Depth=1
	v_and_b32_e32 v44, 7, v40
	v_ffbh_u32_e32 v51, v44
	v_min_u32_e32 v51, 32, v51
	v_subrev_u32_e32 v56, 28, v51
	v_lshlrev_b64 v[56:57], v56, v[40:41]
	v_lshrrev_b32_e32 v46, 3, v42
	v_sub_u32_e32 v51, 29, v51
	v_and_b32_e32 v56, 7, v56
	v_cmp_gt_u32_e32 vcc, 8, v42
	v_cndmask_b32_e32 v42, v46, v51, vcc
	v_cndmask_b32_e32 v44, v44, v56, vcc
	v_lshlrev_b32_e32 v46, 24, v40
	v_lshlrev_b32_e32 v44, 20, v44
	v_and_b32_e32 v46, 0x80000000, v46
	v_lshl_add_u32 v42, v42, 23, v55
	v_or3_b32 v42, v46, v42, v44
	v_lshrrev_b32_e32 v46, 16, v42
.LBB899_459:                            ;   in Loop: Header=BB899_215 Depth=1
	s_or_b64 exec, exec, s[16:17]
.LBB899_460:                            ;   in Loop: Header=BB899_215 Depth=1
	s_or_b64 exec, exec, s[14:15]
.LBB899_461:                            ;   in Loop: Header=BB899_215 Depth=1
	s_or_b64 exec, exec, s[12:13]
	v_lshrrev_b16_e32 v42, 8, v40
	v_cmp_ne_u16_e32 vcc, 0, v42
	v_mov_b32_e32 v56, 0
	v_mov_b32_e32 v44, 0
	s_and_saveexec_b64 s[12:13], vcc
	s_cbranch_execz .LBB899_467
; %bb.462:                              ;   in Loop: Header=BB899_215 Depth=1
	v_cmp_ne_u16_e32 vcc, s9, v42
	v_mov_b32_e32 v44, 0xffff8000
	s_and_saveexec_b64 s[14:15], vcc
	s_cbranch_execz .LBB899_466
; %bb.463:                              ;   in Loop: Header=BB899_215 Depth=1
	v_and_b32_e32 v51, 0x7f, v42
	v_cmp_ne_u32_e32 vcc, s21, v51
	v_mov_b32_e32 v44, 0x7f80
	s_and_saveexec_b64 s[16:17], vcc
	s_cbranch_execz .LBB899_465
; %bb.464:                              ;   in Loop: Header=BB899_215 Depth=1
	v_and_b32_e32 v44, 7, v42
	v_ffbh_u32_e32 v58, v44
	v_min_u32_e32 v60, 32, v58
	v_subrev_u32_e32 v58, 28, v60
	v_lshlrev_b64 v[58:59], v58, v[42:43]
	v_lshrrev_b32_e32 v57, 3, v51
	v_sub_u32_e32 v42, 29, v60
	v_and_b32_e32 v58, 7, v58
	v_cmp_gt_u32_e32 vcc, 8, v51
	v_cndmask_b32_e32 v42, v57, v42, vcc
	v_cndmask_b32_e32 v44, v44, v58, vcc
	v_lshlrev_b32_e32 v51, 16, v40
	v_lshlrev_b32_e32 v44, 20, v44
	v_and_b32_e32 v51, 0x80000000, v51
	v_lshl_add_u32 v42, v42, 23, v55
	v_or3_b32 v42, v51, v42, v44
	v_lshrrev_b32_e32 v44, 16, v42
.LBB899_465:                            ;   in Loop: Header=BB899_215 Depth=1
	s_or_b64 exec, exec, s[16:17]
.LBB899_466:                            ;   in Loop: Header=BB899_215 Depth=1
	s_or_b64 exec, exec, s[14:15]
.LBB899_467:                            ;   in Loop: Header=BB899_215 Depth=1
	s_or_b64 exec, exec, s[12:13]
	v_lshrrev_b32_e32 v42, 16, v40
	v_cmp_ne_u16_sdwa s[14:15], v42, v54 src0_sel:BYTE_0 src1_sel:DWORD
	s_and_saveexec_b64 s[12:13], s[14:15]
	s_cbranch_execz .LBB899_473
; %bb.468:                              ;   in Loop: Header=BB899_215 Depth=1
	v_cmp_ne_u16_sdwa s[16:17], v42, s9 src0_sel:BYTE_0 src1_sel:DWORD
	v_mov_b32_e32 v56, 0xffff8000
	s_and_saveexec_b64 s[14:15], s[16:17]
	s_cbranch_execz .LBB899_472
; %bb.469:                              ;   in Loop: Header=BB899_215 Depth=1
	v_bfe_u32 v51, v40, 16, 7
	v_cmp_ne_u32_e32 vcc, s21, v51
	v_mov_b32_e32 v56, 0x7f80
	s_and_saveexec_b64 s[16:17], vcc
	s_cbranch_execz .LBB899_471
; %bb.470:                              ;   in Loop: Header=BB899_215 Depth=1
	v_and_b32_e32 v58, 7, v42
	v_ffbh_u32_e32 v56, v58
	v_min_u32_e32 v60, 32, v56
	v_subrev_u32_e32 v56, 28, v60
	v_lshlrev_b64 v[56:57], v56, v[42:43]
	v_lshrrev_b32_e32 v59, 3, v51
	v_sub_u32_e32 v57, 29, v60
	v_and_b32_e32 v56, 7, v56
	v_cmp_gt_u32_e32 vcc, 8, v51
	v_cndmask_b32_e32 v51, v59, v57, vcc
	v_cndmask_b32_e32 v56, v58, v56, vcc
	v_lshlrev_b32_e32 v42, 24, v42
	v_lshlrev_b32_e32 v56, 20, v56
	v_and_b32_e32 v42, 0x80000000, v42
	v_lshl_add_u32 v51, v51, 23, v55
	v_or3_b32 v42, v42, v51, v56
	v_lshrrev_b32_e32 v56, 16, v42
.LBB899_471:                            ;   in Loop: Header=BB899_215 Depth=1
	s_or_b64 exec, exec, s[16:17]
.LBB899_472:                            ;   in Loop: Header=BB899_215 Depth=1
	s_or_b64 exec, exec, s[14:15]
.LBB899_473:                            ;   in Loop: Header=BB899_215 Depth=1
	s_or_b64 exec, exec, s[12:13]
	v_cmp_lt_u32_e32 vcc, s22, v40
	v_mov_b32_e32 v57, 0
	v_mov_b32_e32 v58, 0
	s_and_saveexec_b64 s[12:13], vcc
	s_cbranch_execz .LBB899_479
; %bb.474:                              ;   in Loop: Header=BB899_215 Depth=1
	v_lshrrev_b32_e32 v42, 24, v40
	v_cmp_ne_u32_e32 vcc, s9, v42
	v_mov_b32_e32 v58, 0xffff8000
	s_and_saveexec_b64 s[14:15], vcc
	s_cbranch_execz .LBB899_478
; %bb.475:                              ;   in Loop: Header=BB899_215 Depth=1
	v_bfe_u32 v40, v40, 24, 7
	v_cmp_ne_u32_e32 vcc, s21, v40
	v_mov_b32_e32 v58, 0x7f80
	s_and_saveexec_b64 s[16:17], vcc
	s_cbranch_execz .LBB899_477
; %bb.476:                              ;   in Loop: Header=BB899_215 Depth=1
	v_and_b32_e32 v51, 7, v42
	v_ffbh_u32_e32 v58, v51
	v_min_u32_e32 v61, 32, v58
	v_subrev_u32_e32 v58, 28, v61
	v_lshlrev_b64 v[58:59], v58, v[42:43]
	v_lshrrev_b32_e32 v60, 3, v40
	v_sub_u32_e32 v59, 29, v61
	v_and_b32_e32 v58, 7, v58
	v_cmp_gt_u32_e32 vcc, 8, v40
	v_cndmask_b32_e32 v40, v60, v59, vcc
	v_cndmask_b32_e32 v51, v51, v58, vcc
	v_lshlrev_b32_e32 v42, 24, v42
	v_lshlrev_b32_e32 v51, 20, v51
	v_and_b32_e32 v42, 0x80000000, v42
	v_lshl_add_u32 v40, v40, 23, v55
	v_or3_b32 v40, v42, v40, v51
	v_lshrrev_b32_e32 v58, 16, v40
.LBB899_477:                            ;   in Loop: Header=BB899_215 Depth=1
	s_or_b64 exec, exec, s[16:17]
.LBB899_478:                            ;   in Loop: Header=BB899_215 Depth=1
	s_or_b64 exec, exec, s[14:15]
.LBB899_479:                            ;   in Loop: Header=BB899_215 Depth=1
	s_or_b64 exec, exec, s[12:13]
	s_waitcnt vmcnt(0)
	v_cmp_ne_u16_sdwa s[14:15], v38, v54 src0_sel:BYTE_0 src1_sel:DWORD
	s_and_saveexec_b64 s[12:13], s[14:15]
	s_cbranch_execz .LBB899_485
; %bb.480:                              ;   in Loop: Header=BB899_215 Depth=1
	v_cmp_ne_u16_sdwa s[16:17], v38, s9 src0_sel:BYTE_0 src1_sel:DWORD
	v_mov_b32_e32 v57, 0xffff8000
	s_and_saveexec_b64 s[14:15], s[16:17]
	s_cbranch_execz .LBB899_484
; %bb.481:                              ;   in Loop: Header=BB899_215 Depth=1
	v_and_b32_e32 v40, 0x7f, v38
	v_cmp_ne_u32_e32 vcc, s21, v40
	v_mov_b32_e32 v57, 0x7f80
	s_and_saveexec_b64 s[16:17], vcc
	s_cbranch_execz .LBB899_483
; %bb.482:                              ;   in Loop: Header=BB899_215 Depth=1
	v_and_b32_e32 v42, 7, v38
	v_ffbh_u32_e32 v57, v42
	v_min_u32_e32 v57, 32, v57
	v_subrev_u32_e32 v59, 28, v57
	v_lshlrev_b64 v[60:61], v59, v[38:39]
	v_lshrrev_b32_e32 v51, 3, v40
	v_sub_u32_e32 v57, 29, v57
	v_and_b32_e32 v59, 7, v60
	v_cmp_gt_u32_e32 vcc, 8, v40
	v_cndmask_b32_e32 v40, v51, v57, vcc
	v_cndmask_b32_e32 v42, v42, v59, vcc
	v_lshlrev_b32_e32 v51, 24, v38
	v_lshlrev_b32_e32 v42, 20, v42
	v_and_b32_e32 v51, 0x80000000, v51
	v_lshl_add_u32 v40, v40, 23, v55
	v_or3_b32 v40, v51, v40, v42
	v_lshrrev_b32_e32 v57, 16, v40
.LBB899_483:                            ;   in Loop: Header=BB899_215 Depth=1
	s_or_b64 exec, exec, s[16:17]
.LBB899_484:                            ;   in Loop: Header=BB899_215 Depth=1
	s_or_b64 exec, exec, s[14:15]
.LBB899_485:                            ;   in Loop: Header=BB899_215 Depth=1
	s_or_b64 exec, exec, s[12:13]
	v_lshrrev_b16_e32 v40, 8, v38
	v_cmp_ne_u16_e32 vcc, 0, v40
	v_mov_b32_e32 v60, 0
	v_mov_b32_e32 v59, 0
	s_and_saveexec_b64 s[12:13], vcc
	s_cbranch_execz .LBB899_491
; %bb.486:                              ;   in Loop: Header=BB899_215 Depth=1
	v_cmp_ne_u16_e32 vcc, s9, v40
	v_mov_b32_e32 v59, 0xffff8000
	s_and_saveexec_b64 s[14:15], vcc
	s_cbranch_execz .LBB899_490
; %bb.487:                              ;   in Loop: Header=BB899_215 Depth=1
	v_and_b32_e32 v42, 0x7f, v40
	v_cmp_ne_u32_e32 vcc, s21, v42
	v_mov_b32_e32 v59, 0x7f80
	s_and_saveexec_b64 s[16:17], vcc
	s_cbranch_execz .LBB899_489
; %bb.488:                              ;   in Loop: Header=BB899_215 Depth=1
	v_and_b32_e32 v51, 7, v40
	v_ffbh_u32_e32 v61, v51
	v_min_u32_e32 v61, 32, v61
	v_subrev_u32_e32 v62, 28, v61
	v_lshlrev_b64 v[62:63], v62, v[40:41]
	v_lshrrev_b32_e32 v59, 3, v42
	v_sub_u32_e32 v40, 29, v61
	v_and_b32_e32 v61, 7, v62
	v_cmp_gt_u32_e32 vcc, 8, v42
	v_cndmask_b32_e32 v40, v59, v40, vcc
	v_cndmask_b32_e32 v42, v51, v61, vcc
	v_lshlrev_b32_e32 v51, 16, v38
	v_lshlrev_b32_e32 v42, 20, v42
	v_and_b32_e32 v51, 0x80000000, v51
	v_lshl_add_u32 v40, v40, 23, v55
	v_or3_b32 v40, v51, v40, v42
	v_lshrrev_b32_e32 v59, 16, v40
.LBB899_489:                            ;   in Loop: Header=BB899_215 Depth=1
	s_or_b64 exec, exec, s[16:17]
.LBB899_490:                            ;   in Loop: Header=BB899_215 Depth=1
	s_or_b64 exec, exec, s[14:15]
.LBB899_491:                            ;   in Loop: Header=BB899_215 Depth=1
	s_or_b64 exec, exec, s[12:13]
	v_lshrrev_b32_e32 v40, 16, v38
	v_cmp_ne_u16_sdwa s[14:15], v40, v54 src0_sel:BYTE_0 src1_sel:DWORD
	s_and_saveexec_b64 s[12:13], s[14:15]
	s_cbranch_execz .LBB899_497
; %bb.492:                              ;   in Loop: Header=BB899_215 Depth=1
	v_cmp_ne_u16_sdwa s[16:17], v40, s9 src0_sel:BYTE_0 src1_sel:DWORD
	v_mov_b32_e32 v60, 0xffff8000
	s_and_saveexec_b64 s[14:15], s[16:17]
	s_cbranch_execz .LBB899_496
; %bb.493:                              ;   in Loop: Header=BB899_215 Depth=1
	v_bfe_u32 v42, v38, 16, 7
	v_cmp_ne_u32_e32 vcc, s21, v42
	v_mov_b32_e32 v60, 0x7f80
	s_and_saveexec_b64 s[16:17], vcc
	s_cbranch_execz .LBB899_495
; %bb.494:                              ;   in Loop: Header=BB899_215 Depth=1
	v_and_b32_e32 v51, 7, v40
	v_ffbh_u32_e32 v60, v51
	v_min_u32_e32 v63, 32, v60
	v_subrev_u32_e32 v60, 28, v63
	v_lshlrev_b64 v[60:61], v60, v[40:41]
	v_lshrrev_b32_e32 v62, 3, v42
	v_sub_u32_e32 v61, 29, v63
	v_and_b32_e32 v60, 7, v60
	v_cmp_gt_u32_e32 vcc, 8, v42
	v_cndmask_b32_e32 v42, v62, v61, vcc
	v_cndmask_b32_e32 v51, v51, v60, vcc
	v_lshlrev_b32_e32 v40, 24, v40
	v_lshlrev_b32_e32 v51, 20, v51
	v_and_b32_e32 v40, 0x80000000, v40
	v_lshl_add_u32 v42, v42, 23, v55
	v_or3_b32 v40, v40, v42, v51
	v_lshrrev_b32_e32 v60, 16, v40
.LBB899_495:                            ;   in Loop: Header=BB899_215 Depth=1
	s_or_b64 exec, exec, s[16:17]
.LBB899_496:                            ;   in Loop: Header=BB899_215 Depth=1
	s_or_b64 exec, exec, s[14:15]
.LBB899_497:                            ;   in Loop: Header=BB899_215 Depth=1
	s_or_b64 exec, exec, s[12:13]
	v_cmp_lt_u32_e32 vcc, s22, v38
	v_mov_b32_e32 v51, 0
	v_mov_b32_e32 v61, 0
	s_and_saveexec_b64 s[12:13], vcc
	s_cbranch_execz .LBB899_503
; %bb.498:                              ;   in Loop: Header=BB899_215 Depth=1
	v_lshrrev_b32_e32 v40, 24, v38
	v_cmp_ne_u32_e32 vcc, s9, v40
	v_mov_b32_e32 v61, 0xffff8000
	s_and_saveexec_b64 s[14:15], vcc
	s_cbranch_execz .LBB899_502
; %bb.499:                              ;   in Loop: Header=BB899_215 Depth=1
	v_bfe_u32 v38, v38, 24, 7
	v_cmp_ne_u32_e32 vcc, s21, v38
	v_mov_b32_e32 v61, 0x7f80
	s_and_saveexec_b64 s[16:17], vcc
	s_cbranch_execz .LBB899_501
; %bb.500:                              ;   in Loop: Header=BB899_215 Depth=1
	v_and_b32_e32 v42, 7, v40
	v_ffbh_u32_e32 v62, v42
	v_min_u32_e32 v64, 32, v62
	v_subrev_u32_e32 v62, 28, v64
	v_lshlrev_b64 v[62:63], v62, v[40:41]
	v_lshrrev_b32_e32 v61, 3, v38
	v_sub_u32_e32 v63, 29, v64
	v_and_b32_e32 v62, 7, v62
	v_cmp_gt_u32_e32 vcc, 8, v38
	v_cndmask_b32_e32 v38, v61, v63, vcc
	v_cndmask_b32_e32 v42, v42, v62, vcc
	v_lshlrev_b32_e32 v40, 24, v40
	v_lshlrev_b32_e32 v42, 20, v42
	v_and_b32_e32 v40, 0x80000000, v40
	v_lshl_add_u32 v38, v38, 23, v55
	v_or3_b32 v38, v40, v38, v42
	v_lshrrev_b32_e32 v61, 16, v38
.LBB899_501:                            ;   in Loop: Header=BB899_215 Depth=1
	s_or_b64 exec, exec, s[16:17]
.LBB899_502:                            ;   in Loop: Header=BB899_215 Depth=1
	s_or_b64 exec, exec, s[14:15]
.LBB899_503:                            ;   in Loop: Header=BB899_215 Depth=1
	s_or_b64 exec, exec, s[12:13]
	v_perm_b32 v62, v44, v46, s23
	buffer_load_dword v44, v50, s[0:3], 0 offen
	buffer_load_dword v42, v50, s[0:3], 0 offen offset:4
	buffer_load_dword v40, v50, s[0:3], 0 offen offset:8
	;; [unrolled: 1-line block ×3, first 2 shown]
	v_perm_b32 v63, v58, v56, s23
	v_perm_b32 v61, v61, v60, s23
	;; [unrolled: 1-line block ×3, first 2 shown]
	v_mfma_f32_16x16x16bf16_1k v[34:37], v[62:63], v[22:23], v[34:37]
	s_waitcnt vmcnt(3)
	v_cmp_ne_u16_sdwa s[14:15], v44, v54 src0_sel:BYTE_0 src1_sel:DWORD
	v_mfma_f32_16x16x16bf16_1k v[34:37], v[60:61], v[24:25], v[34:37]
	s_and_saveexec_b64 s[12:13], s[14:15]
	s_cbranch_execz .LBB899_509
; %bb.504:                              ;   in Loop: Header=BB899_215 Depth=1
	v_cmp_ne_u16_sdwa s[16:17], v44, s9 src0_sel:BYTE_0 src1_sel:DWORD
	v_mov_b32_e32 v51, 0xffff8000
	s_and_saveexec_b64 s[14:15], s[16:17]
	s_cbranch_execz .LBB899_508
; %bb.505:                              ;   in Loop: Header=BB899_215 Depth=1
	v_and_b32_e32 v46, 0x7f, v44
	v_cmp_ne_u32_e32 vcc, s21, v46
	v_mov_b32_e32 v51, 0x7f80
	s_and_saveexec_b64 s[16:17], vcc
	s_cbranch_execz .LBB899_507
; %bb.506:                              ;   in Loop: Header=BB899_215 Depth=1
	v_and_b32_e32 v56, 7, v44
	v_ffbh_u32_e32 v50, v56
	v_min_u32_e32 v58, 32, v50
	v_subrev_u32_e32 v50, 28, v58
	v_lshlrev_b64 v[50:51], v50, v[44:45]
	v_lshrrev_b32_e32 v57, 3, v46
	v_sub_u32_e32 v51, 29, v58
	v_and_b32_e32 v50, 7, v50
	v_cmp_gt_u32_e32 vcc, 8, v46
	v_cndmask_b32_e32 v46, v57, v51, vcc
	v_cndmask_b32_e32 v50, v56, v50, vcc
	v_lshlrev_b32_e32 v51, 24, v44
	v_lshlrev_b32_e32 v50, 20, v50
	v_and_b32_e32 v51, 0x80000000, v51
	v_lshl_add_u32 v46, v46, 23, v55
	v_or3_b32 v46, v51, v46, v50
	v_lshrrev_b32_e32 v51, 16, v46
.LBB899_507:                            ;   in Loop: Header=BB899_215 Depth=1
	s_or_b64 exec, exec, s[16:17]
.LBB899_508:                            ;   in Loop: Header=BB899_215 Depth=1
	s_or_b64 exec, exec, s[14:15]
.LBB899_509:                            ;   in Loop: Header=BB899_215 Depth=1
	s_or_b64 exec, exec, s[12:13]
	v_lshrrev_b16_e32 v46, 8, v44
	v_cmp_ne_u16_e32 vcc, 0, v46
	v_mov_b32_e32 v56, 0
	v_mov_b32_e32 v50, 0
	s_and_saveexec_b64 s[12:13], vcc
	s_cbranch_execz .LBB899_515
; %bb.510:                              ;   in Loop: Header=BB899_215 Depth=1
	v_cmp_ne_u16_e32 vcc, s9, v46
	v_mov_b32_e32 v50, 0xffff8000
	s_and_saveexec_b64 s[14:15], vcc
	s_cbranch_execz .LBB899_514
; %bb.511:                              ;   in Loop: Header=BB899_215 Depth=1
	v_and_b32_e32 v57, 0x7f, v46
	v_cmp_ne_u32_e32 vcc, s21, v57
	v_mov_b32_e32 v50, 0x7f80
	s_and_saveexec_b64 s[16:17], vcc
	s_cbranch_execz .LBB899_513
; %bb.512:                              ;   in Loop: Header=BB899_215 Depth=1
	v_and_b32_e32 v50, 7, v46
	v_ffbh_u32_e32 v58, v50
	v_min_u32_e32 v61, 32, v58
	v_subrev_u32_e32 v58, 28, v61
	v_lshlrev_b64 v[58:59], v58, v[46:47]
	v_lshrrev_b32_e32 v60, 3, v57
	v_sub_u32_e32 v46, 29, v61
	v_and_b32_e32 v58, 7, v58
	v_cmp_gt_u32_e32 vcc, 8, v57
	v_cndmask_b32_e32 v46, v60, v46, vcc
	v_cndmask_b32_e32 v50, v50, v58, vcc
	v_lshlrev_b32_e32 v57, 16, v44
	v_lshlrev_b32_e32 v50, 20, v50
	v_and_b32_e32 v57, 0x80000000, v57
	v_lshl_add_u32 v46, v46, 23, v55
	v_or3_b32 v46, v57, v46, v50
	v_lshrrev_b32_e32 v50, 16, v46
.LBB899_513:                            ;   in Loop: Header=BB899_215 Depth=1
	s_or_b64 exec, exec, s[16:17]
.LBB899_514:                            ;   in Loop: Header=BB899_215 Depth=1
	s_or_b64 exec, exec, s[14:15]
.LBB899_515:                            ;   in Loop: Header=BB899_215 Depth=1
	s_or_b64 exec, exec, s[12:13]
	v_lshrrev_b32_e32 v46, 16, v44
	v_cmp_ne_u16_sdwa s[14:15], v46, v54 src0_sel:BYTE_0 src1_sel:DWORD
	s_and_saveexec_b64 s[12:13], s[14:15]
	s_cbranch_execz .LBB899_521
; %bb.516:                              ;   in Loop: Header=BB899_215 Depth=1
	v_cmp_ne_u16_sdwa s[16:17], v46, s9 src0_sel:BYTE_0 src1_sel:DWORD
	v_mov_b32_e32 v56, 0xffff8000
	s_and_saveexec_b64 s[14:15], s[16:17]
	s_cbranch_execz .LBB899_520
; %bb.517:                              ;   in Loop: Header=BB899_215 Depth=1
	v_bfe_u32 v57, v44, 16, 7
	v_cmp_ne_u32_e32 vcc, s21, v57
	v_mov_b32_e32 v56, 0x7f80
	s_and_saveexec_b64 s[16:17], vcc
	s_cbranch_execz .LBB899_519
; %bb.518:                              ;   in Loop: Header=BB899_215 Depth=1
	v_and_b32_e32 v56, 7, v46
	v_ffbh_u32_e32 v58, v56
	v_min_u32_e32 v61, 32, v58
	v_subrev_u32_e32 v58, 28, v61
	v_lshlrev_b64 v[58:59], v58, v[46:47]
	v_lshrrev_b32_e32 v60, 3, v57
	v_sub_u32_e32 v59, 29, v61
	v_and_b32_e32 v58, 7, v58
	v_cmp_gt_u32_e32 vcc, 8, v57
	v_cndmask_b32_e32 v57, v60, v59, vcc
	v_cndmask_b32_e32 v56, v56, v58, vcc
	v_lshlrev_b32_e32 v46, 24, v46
	v_lshlrev_b32_e32 v56, 20, v56
	v_and_b32_e32 v46, 0x80000000, v46
	v_lshl_add_u32 v57, v57, 23, v55
	v_or3_b32 v46, v46, v57, v56
	v_lshrrev_b32_e32 v56, 16, v46
.LBB899_519:                            ;   in Loop: Header=BB899_215 Depth=1
	s_or_b64 exec, exec, s[16:17]
.LBB899_520:                            ;   in Loop: Header=BB899_215 Depth=1
	s_or_b64 exec, exec, s[14:15]
.LBB899_521:                            ;   in Loop: Header=BB899_215 Depth=1
	s_or_b64 exec, exec, s[12:13]
	v_cmp_lt_u32_e32 vcc, s22, v44
	v_mov_b32_e32 v57, 0
	v_mov_b32_e32 v58, 0
	s_and_saveexec_b64 s[12:13], vcc
	s_cbranch_execz .LBB899_527
; %bb.522:                              ;   in Loop: Header=BB899_215 Depth=1
	v_lshrrev_b32_e32 v46, 24, v44
	v_cmp_ne_u32_e32 vcc, s9, v46
	v_mov_b32_e32 v58, 0xffff8000
	s_and_saveexec_b64 s[14:15], vcc
	s_cbranch_execz .LBB899_526
; %bb.523:                              ;   in Loop: Header=BB899_215 Depth=1
	v_bfe_u32 v44, v44, 24, 7
	v_cmp_ne_u32_e32 vcc, s21, v44
	v_mov_b32_e32 v58, 0x7f80
	s_and_saveexec_b64 s[16:17], vcc
	s_cbranch_execz .LBB899_525
; %bb.524:                              ;   in Loop: Header=BB899_215 Depth=1
	v_and_b32_e32 v60, 7, v46
	v_ffbh_u32_e32 v58, v60
	v_min_u32_e32 v62, 32, v58
	v_subrev_u32_e32 v58, 28, v62
	v_lshlrev_b64 v[58:59], v58, v[46:47]
	v_lshrrev_b32_e32 v61, 3, v44
	v_sub_u32_e32 v59, 29, v62
	v_and_b32_e32 v58, 7, v58
	v_cmp_gt_u32_e32 vcc, 8, v44
	v_cndmask_b32_e32 v44, v61, v59, vcc
	v_cndmask_b32_e32 v58, v60, v58, vcc
	v_lshlrev_b32_e32 v46, 24, v46
	v_lshlrev_b32_e32 v58, 20, v58
	v_and_b32_e32 v46, 0x80000000, v46
	v_lshl_add_u32 v44, v44, 23, v55
	v_or3_b32 v44, v46, v44, v58
	v_lshrrev_b32_e32 v58, 16, v44
.LBB899_525:                            ;   in Loop: Header=BB899_215 Depth=1
	s_or_b64 exec, exec, s[16:17]
.LBB899_526:                            ;   in Loop: Header=BB899_215 Depth=1
	s_or_b64 exec, exec, s[14:15]
.LBB899_527:                            ;   in Loop: Header=BB899_215 Depth=1
	s_or_b64 exec, exec, s[12:13]
	s_waitcnt vmcnt(2)
	v_cmp_ne_u16_sdwa s[14:15], v42, v54 src0_sel:BYTE_0 src1_sel:DWORD
	s_and_saveexec_b64 s[12:13], s[14:15]
	s_cbranch_execz .LBB899_533
; %bb.528:                              ;   in Loop: Header=BB899_215 Depth=1
	v_cmp_ne_u16_sdwa s[16:17], v42, s9 src0_sel:BYTE_0 src1_sel:DWORD
	v_mov_b32_e32 v57, 0xffff8000
	s_and_saveexec_b64 s[14:15], s[16:17]
	s_cbranch_execz .LBB899_532
; %bb.529:                              ;   in Loop: Header=BB899_215 Depth=1
	v_and_b32_e32 v44, 0x7f, v42
	v_cmp_ne_u32_e32 vcc, s21, v44
	v_mov_b32_e32 v57, 0x7f80
	s_and_saveexec_b64 s[16:17], vcc
	s_cbranch_execz .LBB899_531
; %bb.530:                              ;   in Loop: Header=BB899_215 Depth=1
	v_and_b32_e32 v46, 7, v42
	v_ffbh_u32_e32 v59, v46
	v_min_u32_e32 v59, 32, v59
	v_subrev_u32_e32 v60, 28, v59
	v_lshlrev_b64 v[60:61], v60, v[42:43]
	v_lshrrev_b32_e32 v57, 3, v44
	v_sub_u32_e32 v59, 29, v59
	v_and_b32_e32 v60, 7, v60
	v_cmp_gt_u32_e32 vcc, 8, v44
	v_cndmask_b32_e32 v44, v57, v59, vcc
	v_cndmask_b32_e32 v46, v46, v60, vcc
	v_lshlrev_b32_e32 v57, 24, v42
	v_lshlrev_b32_e32 v46, 20, v46
	v_and_b32_e32 v57, 0x80000000, v57
	v_lshl_add_u32 v44, v44, 23, v55
	v_or3_b32 v44, v57, v44, v46
	v_lshrrev_b32_e32 v57, 16, v44
.LBB899_531:                            ;   in Loop: Header=BB899_215 Depth=1
	s_or_b64 exec, exec, s[16:17]
.LBB899_532:                            ;   in Loop: Header=BB899_215 Depth=1
	s_or_b64 exec, exec, s[14:15]
.LBB899_533:                            ;   in Loop: Header=BB899_215 Depth=1
	s_or_b64 exec, exec, s[12:13]
	v_lshrrev_b16_e32 v44, 8, v42
	v_cmp_ne_u16_e32 vcc, 0, v44
	v_mov_b32_e32 v60, 0
	v_mov_b32_e32 v59, 0
	s_and_saveexec_b64 s[12:13], vcc
	s_cbranch_execz .LBB899_539
; %bb.534:                              ;   in Loop: Header=BB899_215 Depth=1
	v_cmp_ne_u16_e32 vcc, s9, v44
	v_mov_b32_e32 v59, 0xffff8000
	s_and_saveexec_b64 s[14:15], vcc
	s_cbranch_execz .LBB899_538
; %bb.535:                              ;   in Loop: Header=BB899_215 Depth=1
	v_and_b32_e32 v46, 0x7f, v44
	v_cmp_ne_u32_e32 vcc, s21, v46
	v_mov_b32_e32 v59, 0x7f80
	s_and_saveexec_b64 s[16:17], vcc
	s_cbranch_execz .LBB899_537
; %bb.536:                              ;   in Loop: Header=BB899_215 Depth=1
	v_and_b32_e32 v59, 7, v44
	v_ffbh_u32_e32 v62, v59
	v_min_u32_e32 v64, 32, v62
	v_subrev_u32_e32 v62, 28, v64
	v_lshlrev_b64 v[62:63], v62, v[44:45]
	v_lshrrev_b32_e32 v61, 3, v46
	v_sub_u32_e32 v44, 29, v64
	v_and_b32_e32 v62, 7, v62
	v_cmp_gt_u32_e32 vcc, 8, v46
	v_cndmask_b32_e32 v44, v61, v44, vcc
	v_cndmask_b32_e32 v46, v59, v62, vcc
	v_lshlrev_b32_e32 v59, 16, v42
	v_lshlrev_b32_e32 v46, 20, v46
	v_and_b32_e32 v59, 0x80000000, v59
	v_lshl_add_u32 v44, v44, 23, v55
	v_or3_b32 v44, v59, v44, v46
	v_lshrrev_b32_e32 v59, 16, v44
.LBB899_537:                            ;   in Loop: Header=BB899_215 Depth=1
	s_or_b64 exec, exec, s[16:17]
.LBB899_538:                            ;   in Loop: Header=BB899_215 Depth=1
	s_or_b64 exec, exec, s[14:15]
.LBB899_539:                            ;   in Loop: Header=BB899_215 Depth=1
	s_or_b64 exec, exec, s[12:13]
	v_lshrrev_b32_e32 v44, 16, v42
	v_cmp_ne_u16_sdwa s[14:15], v44, v54 src0_sel:BYTE_0 src1_sel:DWORD
	s_and_saveexec_b64 s[12:13], s[14:15]
	s_cbranch_execz .LBB899_545
; %bb.540:                              ;   in Loop: Header=BB899_215 Depth=1
	v_cmp_ne_u16_sdwa s[16:17], v44, s9 src0_sel:BYTE_0 src1_sel:DWORD
	v_mov_b32_e32 v60, 0xffff8000
	s_and_saveexec_b64 s[14:15], s[16:17]
	s_cbranch_execz .LBB899_544
; %bb.541:                              ;   in Loop: Header=BB899_215 Depth=1
	v_bfe_u32 v46, v42, 16, 7
	v_cmp_ne_u32_e32 vcc, s21, v46
	v_mov_b32_e32 v60, 0x7f80
	s_and_saveexec_b64 s[16:17], vcc
	s_cbranch_execz .LBB899_543
; %bb.542:                              ;   in Loop: Header=BB899_215 Depth=1
	v_and_b32_e32 v62, 7, v44
	v_ffbh_u32_e32 v60, v62
	v_min_u32_e32 v64, 32, v60
	v_subrev_u32_e32 v60, 28, v64
	v_lshlrev_b64 v[60:61], v60, v[44:45]
	v_lshrrev_b32_e32 v63, 3, v46
	v_sub_u32_e32 v61, 29, v64
	v_and_b32_e32 v60, 7, v60
	v_cmp_gt_u32_e32 vcc, 8, v46
	v_cndmask_b32_e32 v46, v63, v61, vcc
	v_cndmask_b32_e32 v60, v62, v60, vcc
	v_lshlrev_b32_e32 v44, 24, v44
	v_lshlrev_b32_e32 v60, 20, v60
	v_and_b32_e32 v44, 0x80000000, v44
	v_lshl_add_u32 v46, v46, 23, v55
	v_or3_b32 v44, v44, v46, v60
	v_lshrrev_b32_e32 v60, 16, v44
.LBB899_543:                            ;   in Loop: Header=BB899_215 Depth=1
	s_or_b64 exec, exec, s[16:17]
.LBB899_544:                            ;   in Loop: Header=BB899_215 Depth=1
	s_or_b64 exec, exec, s[14:15]
.LBB899_545:                            ;   in Loop: Header=BB899_215 Depth=1
	s_or_b64 exec, exec, s[12:13]
	v_cmp_lt_u32_e32 vcc, s22, v42
	v_mov_b32_e32 v46, 0
	v_mov_b32_e32 v61, 0
	s_and_saveexec_b64 s[12:13], vcc
	s_cbranch_execz .LBB899_551
; %bb.546:                              ;   in Loop: Header=BB899_215 Depth=1
	v_lshrrev_b32_e32 v44, 24, v42
	v_cmp_ne_u32_e32 vcc, s9, v44
	v_mov_b32_e32 v61, 0xffff8000
	s_and_saveexec_b64 s[14:15], vcc
	s_cbranch_execz .LBB899_550
; %bb.547:                              ;   in Loop: Header=BB899_215 Depth=1
	v_bfe_u32 v42, v42, 24, 7
	v_cmp_ne_u32_e32 vcc, s21, v42
	v_mov_b32_e32 v61, 0x7f80
	s_and_saveexec_b64 s[16:17], vcc
	s_cbranch_execz .LBB899_549
; %bb.548:                              ;   in Loop: Header=BB899_215 Depth=1
	v_and_b32_e32 v61, 7, v44
	v_ffbh_u32_e32 v62, v61
	v_min_u32_e32 v65, 32, v62
	v_subrev_u32_e32 v62, 28, v65
	v_lshlrev_b64 v[62:63], v62, v[44:45]
	v_lshrrev_b32_e32 v64, 3, v42
	v_sub_u32_e32 v63, 29, v65
	v_and_b32_e32 v62, 7, v62
	v_cmp_gt_u32_e32 vcc, 8, v42
	v_cndmask_b32_e32 v42, v64, v63, vcc
	v_cndmask_b32_e32 v61, v61, v62, vcc
	v_lshlrev_b32_e32 v44, 24, v44
	v_lshlrev_b32_e32 v61, 20, v61
	v_and_b32_e32 v44, 0x80000000, v44
	v_lshl_add_u32 v42, v42, 23, v55
	v_or3_b32 v42, v44, v42, v61
	v_lshrrev_b32_e32 v61, 16, v42
.LBB899_549:                            ;   in Loop: Header=BB899_215 Depth=1
	s_or_b64 exec, exec, s[16:17]
.LBB899_550:                            ;   in Loop: Header=BB899_215 Depth=1
	s_or_b64 exec, exec, s[14:15]
.LBB899_551:                            ;   in Loop: Header=BB899_215 Depth=1
	s_or_b64 exec, exec, s[12:13]
	v_perm_b32 v63, v58, v56, s23
	v_perm_b32 v62, v50, v51, s23
	v_perm_b32 v51, v61, v60, s23
	v_perm_b32 v50, v59, v57, s23
	s_waitcnt vmcnt(1)
	v_cmp_ne_u16_sdwa s[14:15], v40, v54 src0_sel:BYTE_0 src1_sel:DWORD
	v_mfma_f32_16x16x16bf16_1k v[34:37], v[62:63], v[26:27], v[34:37]
	v_mfma_f32_16x16x16bf16_1k v[34:37], v[50:51], v[28:29], v[34:37]
	s_and_saveexec_b64 s[12:13], s[14:15]
	s_cbranch_execz .LBB899_557
; %bb.552:                              ;   in Loop: Header=BB899_215 Depth=1
	v_cmp_ne_u16_sdwa s[16:17], v40, s9 src0_sel:BYTE_0 src1_sel:DWORD
	v_mov_b32_e32 v46, 0xffff8000
	s_and_saveexec_b64 s[14:15], s[16:17]
	s_cbranch_execz .LBB899_556
; %bb.553:                              ;   in Loop: Header=BB899_215 Depth=1
	v_and_b32_e32 v42, 0x7f, v40
	v_cmp_ne_u32_e32 vcc, s21, v42
	v_mov_b32_e32 v46, 0x7f80
	s_and_saveexec_b64 s[16:17], vcc
	s_cbranch_execz .LBB899_555
; %bb.554:                              ;   in Loop: Header=BB899_215 Depth=1
	v_and_b32_e32 v44, 7, v40
	v_ffbh_u32_e32 v50, v44
	v_min_u32_e32 v56, 32, v50
	v_subrev_u32_e32 v50, 28, v56
	v_lshlrev_b64 v[50:51], v50, v[40:41]
	v_lshrrev_b32_e32 v46, 3, v42
	v_sub_u32_e32 v51, 29, v56
	v_and_b32_e32 v50, 7, v50
	v_cmp_gt_u32_e32 vcc, 8, v42
	v_cndmask_b32_e32 v42, v46, v51, vcc
	v_cndmask_b32_e32 v44, v44, v50, vcc
	v_lshlrev_b32_e32 v46, 24, v40
	v_lshlrev_b32_e32 v44, 20, v44
	v_and_b32_e32 v46, 0x80000000, v46
	v_lshl_add_u32 v42, v42, 23, v55
	v_or3_b32 v42, v46, v42, v44
	v_lshrrev_b32_e32 v46, 16, v42
.LBB899_555:                            ;   in Loop: Header=BB899_215 Depth=1
	s_or_b64 exec, exec, s[16:17]
.LBB899_556:                            ;   in Loop: Header=BB899_215 Depth=1
	s_or_b64 exec, exec, s[14:15]
.LBB899_557:                            ;   in Loop: Header=BB899_215 Depth=1
	s_or_b64 exec, exec, s[12:13]
	v_lshrrev_b16_e32 v42, 8, v40
	v_cmp_ne_u16_e32 vcc, 0, v42
	v_mov_b32_e32 v50, 0
	v_mov_b32_e32 v44, 0
	s_and_saveexec_b64 s[12:13], vcc
	s_cbranch_execz .LBB899_563
; %bb.558:                              ;   in Loop: Header=BB899_215 Depth=1
	v_cmp_ne_u16_e32 vcc, s9, v42
	v_mov_b32_e32 v44, 0xffff8000
	s_and_saveexec_b64 s[14:15], vcc
	s_cbranch_execz .LBB899_562
; %bb.559:                              ;   in Loop: Header=BB899_215 Depth=1
	v_and_b32_e32 v51, 0x7f, v42
	v_cmp_ne_u32_e32 vcc, s21, v51
	v_mov_b32_e32 v44, 0x7f80
	s_and_saveexec_b64 s[16:17], vcc
	s_cbranch_execz .LBB899_561
; %bb.560:                              ;   in Loop: Header=BB899_215 Depth=1
	v_and_b32_e32 v44, 7, v42
	v_ffbh_u32_e32 v56, v44
	v_min_u32_e32 v59, 32, v56
	v_subrev_u32_e32 v56, 28, v59
	v_lshlrev_b64 v[56:57], v56, v[42:43]
	v_lshrrev_b32_e32 v58, 3, v51
	v_sub_u32_e32 v42, 29, v59
	v_and_b32_e32 v56, 7, v56
	v_cmp_gt_u32_e32 vcc, 8, v51
	v_cndmask_b32_e32 v42, v58, v42, vcc
	v_cndmask_b32_e32 v44, v44, v56, vcc
	v_lshlrev_b32_e32 v51, 16, v40
	v_lshlrev_b32_e32 v44, 20, v44
	v_and_b32_e32 v51, 0x80000000, v51
	v_lshl_add_u32 v42, v42, 23, v55
	v_or3_b32 v42, v51, v42, v44
	v_lshrrev_b32_e32 v44, 16, v42
.LBB899_561:                            ;   in Loop: Header=BB899_215 Depth=1
	s_or_b64 exec, exec, s[16:17]
.LBB899_562:                            ;   in Loop: Header=BB899_215 Depth=1
	s_or_b64 exec, exec, s[14:15]
.LBB899_563:                            ;   in Loop: Header=BB899_215 Depth=1
	s_or_b64 exec, exec, s[12:13]
	v_lshrrev_b32_e32 v42, 16, v40
	v_cmp_ne_u16_sdwa s[14:15], v42, v54 src0_sel:BYTE_0 src1_sel:DWORD
	s_and_saveexec_b64 s[12:13], s[14:15]
	s_cbranch_execz .LBB899_569
; %bb.564:                              ;   in Loop: Header=BB899_215 Depth=1
	v_cmp_ne_u16_sdwa s[16:17], v42, s9 src0_sel:BYTE_0 src1_sel:DWORD
	v_mov_b32_e32 v50, 0xffff8000
	s_and_saveexec_b64 s[14:15], s[16:17]
	s_cbranch_execz .LBB899_568
; %bb.565:                              ;   in Loop: Header=BB899_215 Depth=1
	v_bfe_u32 v51, v40, 16, 7
	v_cmp_ne_u32_e32 vcc, s21, v51
	v_mov_b32_e32 v50, 0x7f80
	s_and_saveexec_b64 s[16:17], vcc
	s_cbranch_execz .LBB899_567
; %bb.566:                              ;   in Loop: Header=BB899_215 Depth=1
	v_and_b32_e32 v50, 7, v42
	v_ffbh_u32_e32 v56, v50
	v_min_u32_e32 v59, 32, v56
	v_subrev_u32_e32 v56, 28, v59
	v_lshlrev_b64 v[56:57], v56, v[42:43]
	v_lshrrev_b32_e32 v58, 3, v51
	v_sub_u32_e32 v57, 29, v59
	v_and_b32_e32 v56, 7, v56
	v_cmp_gt_u32_e32 vcc, 8, v51
	v_cndmask_b32_e32 v51, v58, v57, vcc
	v_cndmask_b32_e32 v50, v50, v56, vcc
	v_lshlrev_b32_e32 v42, 24, v42
	v_lshlrev_b32_e32 v50, 20, v50
	v_and_b32_e32 v42, 0x80000000, v42
	v_lshl_add_u32 v51, v51, 23, v55
	v_or3_b32 v42, v42, v51, v50
	v_lshrrev_b32_e32 v50, 16, v42
.LBB899_567:                            ;   in Loop: Header=BB899_215 Depth=1
	s_or_b64 exec, exec, s[16:17]
.LBB899_568:                            ;   in Loop: Header=BB899_215 Depth=1
	s_or_b64 exec, exec, s[14:15]
.LBB899_569:                            ;   in Loop: Header=BB899_215 Depth=1
	s_or_b64 exec, exec, s[12:13]
	v_cmp_lt_u32_e32 vcc, s22, v40
	v_mov_b32_e32 v51, 0
	v_mov_b32_e32 v56, 0
	s_and_saveexec_b64 s[12:13], vcc
	s_cbranch_execz .LBB899_575
; %bb.570:                              ;   in Loop: Header=BB899_215 Depth=1
	v_lshrrev_b32_e32 v42, 24, v40
	v_cmp_ne_u32_e32 vcc, s9, v42
	v_mov_b32_e32 v56, 0xffff8000
	s_and_saveexec_b64 s[14:15], vcc
	s_cbranch_execz .LBB899_574
; %bb.571:                              ;   in Loop: Header=BB899_215 Depth=1
	v_bfe_u32 v40, v40, 24, 7
	v_cmp_ne_u32_e32 vcc, s21, v40
	v_mov_b32_e32 v56, 0x7f80
	s_and_saveexec_b64 s[16:17], vcc
	s_cbranch_execz .LBB899_573
; %bb.572:                              ;   in Loop: Header=BB899_215 Depth=1
	v_and_b32_e32 v58, 7, v42
	v_ffbh_u32_e32 v56, v58
	v_min_u32_e32 v60, 32, v56
	v_subrev_u32_e32 v56, 28, v60
	v_lshlrev_b64 v[56:57], v56, v[42:43]
	v_lshrrev_b32_e32 v59, 3, v40
	v_sub_u32_e32 v57, 29, v60
	v_and_b32_e32 v56, 7, v56
	v_cmp_gt_u32_e32 vcc, 8, v40
	v_cndmask_b32_e32 v40, v59, v57, vcc
	v_cndmask_b32_e32 v56, v58, v56, vcc
	v_lshlrev_b32_e32 v42, 24, v42
	v_lshlrev_b32_e32 v56, 20, v56
	v_and_b32_e32 v42, 0x80000000, v42
	v_lshl_add_u32 v40, v40, 23, v55
	v_or3_b32 v40, v42, v40, v56
	v_lshrrev_b32_e32 v56, 16, v40
.LBB899_573:                            ;   in Loop: Header=BB899_215 Depth=1
	s_or_b64 exec, exec, s[16:17]
.LBB899_574:                            ;   in Loop: Header=BB899_215 Depth=1
	s_or_b64 exec, exec, s[14:15]
.LBB899_575:                            ;   in Loop: Header=BB899_215 Depth=1
	s_or_b64 exec, exec, s[12:13]
	s_waitcnt vmcnt(0)
	v_cmp_ne_u16_sdwa s[14:15], v38, v54 src0_sel:BYTE_0 src1_sel:DWORD
	s_and_saveexec_b64 s[12:13], s[14:15]
	s_cbranch_execz .LBB899_581
; %bb.576:                              ;   in Loop: Header=BB899_215 Depth=1
	v_cmp_ne_u16_sdwa s[16:17], v38, s9 src0_sel:BYTE_0 src1_sel:DWORD
	v_mov_b32_e32 v51, 0xffff8000
	s_and_saveexec_b64 s[14:15], s[16:17]
	s_cbranch_execz .LBB899_580
; %bb.577:                              ;   in Loop: Header=BB899_215 Depth=1
	v_and_b32_e32 v40, 0x7f, v38
	v_cmp_ne_u32_e32 vcc, s21, v40
	v_mov_b32_e32 v51, 0x7f80
	s_and_saveexec_b64 s[16:17], vcc
	s_cbranch_execz .LBB899_579
; %bb.578:                              ;   in Loop: Header=BB899_215 Depth=1
	v_and_b32_e32 v42, 7, v38
	v_ffbh_u32_e32 v57, v42
	v_min_u32_e32 v57, 32, v57
	v_subrev_u32_e32 v58, 28, v57
	v_lshlrev_b64 v[58:59], v58, v[38:39]
	v_lshrrev_b32_e32 v51, 3, v40
	v_sub_u32_e32 v57, 29, v57
	v_and_b32_e32 v58, 7, v58
	v_cmp_gt_u32_e32 vcc, 8, v40
	v_cndmask_b32_e32 v40, v51, v57, vcc
	v_cndmask_b32_e32 v42, v42, v58, vcc
	v_lshlrev_b32_e32 v51, 24, v38
	v_lshlrev_b32_e32 v42, 20, v42
	v_and_b32_e32 v51, 0x80000000, v51
	v_lshl_add_u32 v40, v40, 23, v55
	v_or3_b32 v40, v51, v40, v42
	v_lshrrev_b32_e32 v51, 16, v40
.LBB899_579:                            ;   in Loop: Header=BB899_215 Depth=1
	s_or_b64 exec, exec, s[16:17]
.LBB899_580:                            ;   in Loop: Header=BB899_215 Depth=1
	s_or_b64 exec, exec, s[14:15]
.LBB899_581:                            ;   in Loop: Header=BB899_215 Depth=1
	s_or_b64 exec, exec, s[12:13]
	v_lshrrev_b16_e32 v40, 8, v38
	v_cmp_ne_u16_e32 vcc, 0, v40
	v_mov_b32_e32 v57, 0
	v_mov_b32_e32 v42, 0
	s_and_saveexec_b64 s[12:13], vcc
	s_cbranch_execz .LBB899_587
; %bb.582:                              ;   in Loop: Header=BB899_215 Depth=1
	v_cmp_ne_u16_e32 vcc, s9, v40
	v_mov_b32_e32 v42, 0xffff8000
	s_and_saveexec_b64 s[14:15], vcc
	s_cbranch_execz .LBB899_586
; %bb.583:                              ;   in Loop: Header=BB899_215 Depth=1
	v_and_b32_e32 v58, 0x7f, v40
	v_cmp_ne_u32_e32 vcc, s21, v58
	v_mov_b32_e32 v42, 0x7f80
	s_and_saveexec_b64 s[16:17], vcc
	s_cbranch_execz .LBB899_585
; %bb.584:                              ;   in Loop: Header=BB899_215 Depth=1
	v_and_b32_e32 v42, 7, v40
	v_ffbh_u32_e32 v60, v42
	v_min_u32_e32 v62, 32, v60
	v_subrev_u32_e32 v60, 28, v62
	v_lshlrev_b64 v[60:61], v60, v[40:41]
	v_lshrrev_b32_e32 v59, 3, v58
	v_sub_u32_e32 v40, 29, v62
	v_and_b32_e32 v60, 7, v60
	v_cmp_gt_u32_e32 vcc, 8, v58
	v_cndmask_b32_e32 v40, v59, v40, vcc
	v_cndmask_b32_e32 v42, v42, v60, vcc
	v_lshlrev_b32_e32 v58, 16, v38
	v_lshlrev_b32_e32 v42, 20, v42
	v_and_b32_e32 v58, 0x80000000, v58
	v_lshl_add_u32 v40, v40, 23, v55
	v_or3_b32 v40, v58, v40, v42
	v_lshrrev_b32_e32 v42, 16, v40
.LBB899_585:                            ;   in Loop: Header=BB899_215 Depth=1
	s_or_b64 exec, exec, s[16:17]
.LBB899_586:                            ;   in Loop: Header=BB899_215 Depth=1
	s_or_b64 exec, exec, s[14:15]
.LBB899_587:                            ;   in Loop: Header=BB899_215 Depth=1
	s_or_b64 exec, exec, s[12:13]
	v_lshrrev_b32_e32 v40, 16, v38
	v_cmp_ne_u16_sdwa s[14:15], v40, v54 src0_sel:BYTE_0 src1_sel:DWORD
	s_and_saveexec_b64 s[12:13], s[14:15]
	s_cbranch_execz .LBB899_593
; %bb.588:                              ;   in Loop: Header=BB899_215 Depth=1
	v_cmp_ne_u16_sdwa s[16:17], v40, s9 src0_sel:BYTE_0 src1_sel:DWORD
	v_mov_b32_e32 v57, 0xffff8000
	s_and_saveexec_b64 s[14:15], s[16:17]
	s_cbranch_execz .LBB899_592
; %bb.589:                              ;   in Loop: Header=BB899_215 Depth=1
	v_bfe_u32 v58, v38, 16, 7
	v_cmp_ne_u32_e32 vcc, s21, v58
	v_mov_b32_e32 v57, 0x7f80
	s_and_saveexec_b64 s[16:17], vcc
	s_cbranch_execz .LBB899_591
; %bb.590:                              ;   in Loop: Header=BB899_215 Depth=1
	v_and_b32_e32 v57, 7, v40
	v_ffbh_u32_e32 v60, v57
	v_min_u32_e32 v62, 32, v60
	v_subrev_u32_e32 v60, 28, v62
	v_lshlrev_b64 v[60:61], v60, v[40:41]
	v_lshrrev_b32_e32 v59, 3, v58
	v_sub_u32_e32 v61, 29, v62
	v_and_b32_e32 v60, 7, v60
	v_cmp_gt_u32_e32 vcc, 8, v58
	v_cndmask_b32_e32 v58, v59, v61, vcc
	v_cndmask_b32_e32 v57, v57, v60, vcc
	v_lshlrev_b32_e32 v40, 24, v40
	v_lshlrev_b32_e32 v57, 20, v57
	v_and_b32_e32 v40, 0x80000000, v40
	v_lshl_add_u32 v58, v58, 23, v55
	v_or3_b32 v40, v40, v58, v57
	v_lshrrev_b32_e32 v57, 16, v40
.LBB899_591:                            ;   in Loop: Header=BB899_215 Depth=1
	s_or_b64 exec, exec, s[16:17]
.LBB899_592:                            ;   in Loop: Header=BB899_215 Depth=1
	s_or_b64 exec, exec, s[14:15]
.LBB899_593:                            ;   in Loop: Header=BB899_215 Depth=1
	s_or_b64 exec, exec, s[12:13]
	v_cmp_lt_u32_e32 vcc, s22, v38
	v_mov_b32_e32 v58, 0
	s_and_saveexec_b64 s[12:13], vcc
	s_cbranch_execz .LBB899_214
; %bb.594:                              ;   in Loop: Header=BB899_215 Depth=1
	v_lshrrev_b32_e32 v40, 24, v38
	v_cmp_ne_u32_e32 vcc, s9, v40
	v_mov_b32_e32 v58, 0xffff8000
	s_and_saveexec_b64 s[14:15], vcc
	s_cbranch_execz .LBB899_213
; %bb.595:                              ;   in Loop: Header=BB899_215 Depth=1
	v_bfe_u32 v38, v38, 24, 7
	v_cmp_ne_u32_e32 vcc, s21, v38
	v_mov_b32_e32 v58, 0x7f80
	s_and_saveexec_b64 s[16:17], vcc
	s_cbranch_execz .LBB899_212
; %bb.596:                              ;   in Loop: Header=BB899_215 Depth=1
	v_and_b32_e32 v60, 7, v40
	v_ffbh_u32_e32 v58, v60
	v_min_u32_e32 v62, 32, v58
	v_subrev_u32_e32 v58, 28, v62
	v_lshlrev_b64 v[58:59], v58, v[40:41]
	v_lshrrev_b32_e32 v61, 3, v38
	v_sub_u32_e32 v59, 29, v62
	v_and_b32_e32 v58, 7, v58
	v_cmp_gt_u32_e32 vcc, 8, v38
	v_cndmask_b32_e32 v38, v61, v59, vcc
	v_cndmask_b32_e32 v58, v60, v58, vcc
	v_lshlrev_b32_e32 v40, 24, v40
	v_lshlrev_b32_e32 v58, 20, v58
	v_and_b32_e32 v40, 0x80000000, v40
	v_lshl_add_u32 v38, v38, 23, v55
	v_or3_b32 v38, v40, v38, v58
	v_lshrrev_b32_e32 v58, 16, v38
	s_branch .LBB899_212
.LBB899_597:
	s_barrier
	buffer_load_dword v2, off, s[0:3], 0 offset:320
	buffer_load_dword v5, off, s[0:3], 0 offset:332
	;; [unrolled: 1-line block ×4, first 2 shown]
	v_cmp_gt_u32_e32 vcc, 64, v0
	s_waitcnt vmcnt(0)
	ds_write2st64_b64 v52, v[2:3], v[4:5] offset1:1
	s_waitcnt lgkmcnt(0)
	s_barrier
	s_and_saveexec_b64 s[4:5], vcc
	s_cbranch_execz .LBB899_600
; %bb.598:
	s_lshl_b32 s4, s48, 7
	s_mul_i32 s5, s18, s8
	s_mul_hi_u32 s9, s5, s4
	s_mul_i32 s8, s5, s4
	s_lshl_b64 s[8:9], s[8:9], 1
	s_add_u32 s5, s50, s8
	v_lshlrev_b32_e32 v5, 6, v41
	s_mov_b32 s7, 0
	s_addc_u32 s8, s51, s9
	s_lshl_b32 s6, s26, 7
	v_lshl_or_b32 v0, v0, 10, v5
	s_lshl_b64 s[6:7], s[6:7], 1
	v_lshlrev_b32_e32 v3, 5, v1
	v_and_b32_e32 v4, 16, v43
	v_and_b32_e32 v0, 0x1a00, v0
	s_add_u32 s5, s5, s6
	v_or_b32_e32 v2, 4, v1
	v_or3_b32 v0, v0, v3, v4
	s_addc_u32 s6, s8, s7
	v_add_u32_e32 v1, s27, v1
	v_mov_b32_e32 v4, s6
	v_add_co_u32_e32 v3, vcc, s5, v39
	ds_read_b128 v[6:9], v0
	v_mad_u64_u32 v[10:11], s[6:7], v1, s4, 0
	v_addc_co_u32_e32 v4, vcc, 0, v4, vcc
	v_lshlrev_b64 v[10:11], 1, v[10:11]
	v_add_co_u32_e32 v10, vcc, v3, v10
	v_addc_co_u32_e32 v11, vcc, v4, v11, vcc
	v_cmp_gt_u32_e32 vcc, 6, v2
	s_waitcnt lgkmcnt(0)
	global_store_dwordx4 v[10:11], v[6:9], off
	s_and_b64 exec, exec, vcc
	s_cbranch_execz .LBB899_600
; %bb.599:
	ds_read_b128 v[6:9], v0 offset:128
	v_add_u32_e32 v0, s27, v2
	v_mad_u64_u32 v[0:1], s[4:5], v0, s4, 0
	v_lshlrev_b64 v[0:1], 1, v[0:1]
	v_add_co_u32_e32 v0, vcc, v3, v0
	v_addc_co_u32_e32 v1, vcc, v4, v1, vcc
	s_waitcnt lgkmcnt(0)
	global_store_dwordx4 v[0:1], v[6:9], off
.LBB899_600:
	s_endpgm
	.section	.rodata,"a",@progbits
	.p2align	6, 0x0
	.amdhsa_kernel _Z39paged_attention_ll4mi_QKV_mfma16_kernelI14__hip_bfloat16hLN4vllm18Fp8KVCacheDataTypeE1ES0_Li16ELi128ELi256ELb1ELi6EL8MFMAType0EEvPKT_PKT0_S9_ifPKiSB_SB_iPKfiiiPfSE_PS4_PT2_iSD_SD_
		.amdhsa_group_segment_fixed_size 8192
		.amdhsa_private_segment_fixed_size 352
		.amdhsa_kernarg_size 400
		.amdhsa_user_sgpr_count 8
		.amdhsa_user_sgpr_private_segment_buffer 1
		.amdhsa_user_sgpr_dispatch_ptr 0
		.amdhsa_user_sgpr_queue_ptr 0
		.amdhsa_user_sgpr_kernarg_segment_ptr 1
		.amdhsa_user_sgpr_dispatch_id 0
		.amdhsa_user_sgpr_flat_scratch_init 1
		.amdhsa_user_sgpr_kernarg_preload_length 0
		.amdhsa_user_sgpr_kernarg_preload_offset 0
		.amdhsa_user_sgpr_private_segment_size 0
		.amdhsa_uses_dynamic_stack 0
		.amdhsa_system_sgpr_private_segment_wavefront_offset 1
		.amdhsa_system_sgpr_workgroup_id_x 1
		.amdhsa_system_sgpr_workgroup_id_y 1
		.amdhsa_system_sgpr_workgroup_id_z 1
		.amdhsa_system_sgpr_workgroup_info 0
		.amdhsa_system_vgpr_workitem_id 0
		.amdhsa_next_free_vgpr 80
		.amdhsa_next_free_sgpr 53
		.amdhsa_accum_offset 80
		.amdhsa_reserve_vcc 1
		.amdhsa_reserve_flat_scratch 0
		.amdhsa_float_round_mode_32 0
		.amdhsa_float_round_mode_16_64 0
		.amdhsa_float_denorm_mode_32 3
		.amdhsa_float_denorm_mode_16_64 3
		.amdhsa_dx10_clamp 1
		.amdhsa_ieee_mode 1
		.amdhsa_fp16_overflow 0
		.amdhsa_tg_split 0
		.amdhsa_exception_fp_ieee_invalid_op 0
		.amdhsa_exception_fp_denorm_src 0
		.amdhsa_exception_fp_ieee_div_zero 0
		.amdhsa_exception_fp_ieee_overflow 0
		.amdhsa_exception_fp_ieee_underflow 0
		.amdhsa_exception_fp_ieee_inexact 0
		.amdhsa_exception_int_div_zero 0
	.end_amdhsa_kernel
	.section	.text._Z39paged_attention_ll4mi_QKV_mfma16_kernelI14__hip_bfloat16hLN4vllm18Fp8KVCacheDataTypeE1ES0_Li16ELi128ELi256ELb1ELi6EL8MFMAType0EEvPKT_PKT0_S9_ifPKiSB_SB_iPKfiiiPfSE_PS4_PT2_iSD_SD_,"axG",@progbits,_Z39paged_attention_ll4mi_QKV_mfma16_kernelI14__hip_bfloat16hLN4vllm18Fp8KVCacheDataTypeE1ES0_Li16ELi128ELi256ELb1ELi6EL8MFMAType0EEvPKT_PKT0_S9_ifPKiSB_SB_iPKfiiiPfSE_PS4_PT2_iSD_SD_,comdat
.Lfunc_end899:
	.size	_Z39paged_attention_ll4mi_QKV_mfma16_kernelI14__hip_bfloat16hLN4vllm18Fp8KVCacheDataTypeE1ES0_Li16ELi128ELi256ELb1ELi6EL8MFMAType0EEvPKT_PKT0_S9_ifPKiSB_SB_iPKfiiiPfSE_PS4_PT2_iSD_SD_, .Lfunc_end899-_Z39paged_attention_ll4mi_QKV_mfma16_kernelI14__hip_bfloat16hLN4vllm18Fp8KVCacheDataTypeE1ES0_Li16ELi128ELi256ELb1ELi6EL8MFMAType0EEvPKT_PKT0_S9_ifPKiSB_SB_iPKfiiiPfSE_PS4_PT2_iSD_SD_
                                        ; -- End function
	.section	.AMDGPU.csdata,"",@progbits
; Kernel info:
; codeLenInByte = 22464
; NumSgprs: 57
; NumVgprs: 80
; NumAgprs: 0
; TotalNumVgprs: 80
; ScratchSize: 352
; MemoryBound: 0
; FloatMode: 240
; IeeeMode: 1
; LDSByteSize: 8192 bytes/workgroup (compile time only)
; SGPRBlocks: 7
; VGPRBlocks: 9
; NumSGPRsForWavesPerEU: 57
; NumVGPRsForWavesPerEU: 80
; AccumOffset: 80
; Occupancy: 6
; WaveLimiterHint : 1
; COMPUTE_PGM_RSRC2:SCRATCH_EN: 1
; COMPUTE_PGM_RSRC2:USER_SGPR: 8
; COMPUTE_PGM_RSRC2:TRAP_HANDLER: 0
; COMPUTE_PGM_RSRC2:TGID_X_EN: 1
; COMPUTE_PGM_RSRC2:TGID_Y_EN: 1
; COMPUTE_PGM_RSRC2:TGID_Z_EN: 1
; COMPUTE_PGM_RSRC2:TIDIG_COMP_CNT: 0
; COMPUTE_PGM_RSRC3_GFX90A:ACCUM_OFFSET: 19
; COMPUTE_PGM_RSRC3_GFX90A:TG_SPLIT: 0
	.section	.text._Z39paged_attention_ll4mi_QKV_mfma16_kernelI14__hip_bfloat16hLN4vllm18Fp8KVCacheDataTypeE1ES0_Li16ELi128ELi256ELb1ELi7EL8MFMAType0EEvPKT_PKT0_S9_ifPKiSB_SB_iPKfiiiPfSE_PS4_PT2_iSD_SD_,"axG",@progbits,_Z39paged_attention_ll4mi_QKV_mfma16_kernelI14__hip_bfloat16hLN4vllm18Fp8KVCacheDataTypeE1ES0_Li16ELi128ELi256ELb1ELi7EL8MFMAType0EEvPKT_PKT0_S9_ifPKiSB_SB_iPKfiiiPfSE_PS4_PT2_iSD_SD_,comdat
	.protected	_Z39paged_attention_ll4mi_QKV_mfma16_kernelI14__hip_bfloat16hLN4vllm18Fp8KVCacheDataTypeE1ES0_Li16ELi128ELi256ELb1ELi7EL8MFMAType0EEvPKT_PKT0_S9_ifPKiSB_SB_iPKfiiiPfSE_PS4_PT2_iSD_SD_ ; -- Begin function _Z39paged_attention_ll4mi_QKV_mfma16_kernelI14__hip_bfloat16hLN4vllm18Fp8KVCacheDataTypeE1ES0_Li16ELi128ELi256ELb1ELi7EL8MFMAType0EEvPKT_PKT0_S9_ifPKiSB_SB_iPKfiiiPfSE_PS4_PT2_iSD_SD_
	.globl	_Z39paged_attention_ll4mi_QKV_mfma16_kernelI14__hip_bfloat16hLN4vllm18Fp8KVCacheDataTypeE1ES0_Li16ELi128ELi256ELb1ELi7EL8MFMAType0EEvPKT_PKT0_S9_ifPKiSB_SB_iPKfiiiPfSE_PS4_PT2_iSD_SD_
	.p2align	8
	.type	_Z39paged_attention_ll4mi_QKV_mfma16_kernelI14__hip_bfloat16hLN4vllm18Fp8KVCacheDataTypeE1ES0_Li16ELi128ELi256ELb1ELi7EL8MFMAType0EEvPKT_PKT0_S9_ifPKiSB_SB_iPKfiiiPfSE_PS4_PT2_iSD_SD_,@function
_Z39paged_attention_ll4mi_QKV_mfma16_kernelI14__hip_bfloat16hLN4vllm18Fp8KVCacheDataTypeE1ES0_Li16ELi128ELi256ELb1ELi7EL8MFMAType0EEvPKT_PKT0_S9_ifPKiSB_SB_iPKfiiiPfSE_PS4_PT2_iSD_SD_: ; @_Z39paged_attention_ll4mi_QKV_mfma16_kernelI14__hip_bfloat16hLN4vllm18Fp8KVCacheDataTypeE1ES0_Li16ELi128ELi256ELb1ELi7EL8MFMAType0EEvPKT_PKT0_S9_ifPKiSB_SB_iPKfiiiPfSE_PS4_PT2_iSD_SD_
; %bb.0:
	s_load_dwordx2 s[6:7], s[4:5], 0x30
	s_add_u32 s0, s0, s11
	s_addc_u32 s1, s1, 0
	s_mov_b32 s26, s9
	s_mov_b64 s[14:15], 0
	s_waitcnt lgkmcnt(0)
	s_cmp_lg_u64 s[6:7], 0
	s_cselect_b64 s[12:13], -1, 0
	s_and_b64 vcc, exec, s[12:13]
	s_cbranch_vccz .LBB900_7
; %bb.1:
	s_add_i32 s16, s8, 1
	s_mov_b32 s17, 0
	s_lshl_b64 s[18:19], s[16:17], 2
	s_add_u32 s18, s6, s18
	s_mov_b32 s9, s17
	s_addc_u32 s19, s7, s19
	s_lshl_b64 s[16:17], s[8:9], 2
	s_add_u32 s16, s6, s16
	s_addc_u32 s17, s7, s17
	s_load_dword s11, s[18:19], 0x0
	s_load_dword s20, s[16:17], 0x0
	s_waitcnt lgkmcnt(0)
	s_sub_i32 s11, s11, s20
	s_cmp_eq_u32 s11, 1
	s_cselect_b64 s[16:17], -1, 0
	s_andn2_b64 vcc, exec, s[14:15]
	s_cbranch_vccnz .LBB900_3
.LBB900_2:
	s_mov_b32 s9, 0
	s_mov_b64 s[16:17], -1
.LBB900_3:
	s_andn2_b64 vcc, exec, s[16:17]
	s_cbranch_vccnz .LBB900_600
; %bb.4:
	s_load_dwordx2 s[16:17], s[4:5], 0x28
	s_lshl_b64 s[14:15], s[8:9], 2
	s_waitcnt lgkmcnt(0)
	s_add_u32 s16, s16, s14
	s_addc_u32 s17, s17, s15
	s_load_dword s33, s[16:17], 0x0
	s_lshl_b32 s20, s26, 8
	s_waitcnt lgkmcnt(0)
	s_cmp_ge_i32 s20, s33
	s_cbranch_scc1 .LBB900_600
; %bb.5:
	s_add_i32 s18, s33, 15
	s_load_dwordx2 s[16:17], s[4:5], 0x20
	s_load_dword s11, s[4:5], 0x38
	s_ashr_i32 s19, s18, 31
	v_and_b32_e32 v1, 0xcf, v0
	s_lshr_b32 s19, s19, 28
	v_add_u32_e32 v1, s20, v1
	s_add_i32 s18, s18, s19
	v_ashrrev_i32_e32 v2, 31, v1
	s_ashr_i32 s23, s18, 4
	v_lshrrev_b32_e32 v4, 28, v2
	s_add_i32 s23, s23, -1
	v_add_u32_e32 v2, v1, v4
	s_waitcnt lgkmcnt(0)
	s_mul_i32 s18, s8, s11
	s_mov_b32 s19, 0
	v_ashrrev_i32_e32 v2, 4, v2
	v_mov_b32_e32 v5, s23
	v_cmp_gt_i32_e32 vcc, s33, v1
	s_lshl_b64 s[18:19], s[18:19], 2
	v_cndmask_b32_e32 v2, v5, v2, vcc
	s_add_u32 s21, s16, s18
	v_ashrrev_i32_e32 v3, 31, v2
	s_addc_u32 s22, s17, s19
	v_lshlrev_b64 v[2:3], 2, v[2:3]
	v_mov_b32_e32 v7, s22
	v_add_co_u32_e32 v6, vcc, s21, v2
	v_or_b32_e32 v2, 16, v1
	v_addc_co_u32_e32 v7, vcc, v7, v3, vcc
	v_add_u32_e32 v3, v2, v4
	v_ashrrev_i32_e32 v3, 4, v3
	v_cmp_gt_i32_e32 vcc, s33, v2
	v_cndmask_b32_e32 v2, v5, v3, vcc
	v_ashrrev_i32_e32 v3, 31, v2
	v_lshlrev_b64 v[2:3], 2, v[2:3]
	v_mov_b32_e32 v9, s22
	v_add_co_u32_e32 v8, vcc, s21, v2
	v_or_b32_e32 v2, 32, v1
	v_addc_co_u32_e32 v9, vcc, v9, v3, vcc
	v_add_u32_e32 v3, v2, v4
	v_ashrrev_i32_e32 v3, 4, v3
	v_cmp_gt_i32_e32 vcc, s33, v2
	v_cndmask_b32_e32 v2, v5, v3, vcc
	v_ashrrev_i32_e32 v3, 31, v2
	;; [unrolled: 10-line block ×3, first 2 shown]
	v_lshlrev_b64 v[2:3], 2, v[2:3]
	v_mov_b32_e32 v1, s22
	v_add_co_u32_e32 v12, vcc, s21, v2
	v_addc_co_u32_e32 v13, vcc, v1, v3, vcc
	global_load_dword v5, v[6:7], off
	global_load_dword v4, v[8:9], off
	;; [unrolled: 1-line block ×4, first 2 shown]
	s_load_dwordx2 s[16:17], s[4:5], 0x8
	s_andn2_b64 vcc, exec, s[12:13]
	s_cbranch_vccnz .LBB900_8
; %bb.6:
	s_add_u32 s6, s6, s14
	s_addc_u32 s7, s7, s15
	s_load_dword s11, s[6:7], 0x0
	s_branch .LBB900_9
.LBB900_7:
	s_mov_b64 s[16:17], 0
	s_branch .LBB900_2
.LBB900_8:
	s_mov_b32 s11, s8
.LBB900_9:
	s_load_dwordx2 s[6:7], s[4:5], 0x10
	s_load_dwordx4 s[12:15], s[4:5], 0x48
	v_lshrrev_b32_e32 v27, 6, v0
	v_bfe_u32 v1, v0, 4, 2
	v_and_b32_e32 v41, 15, v0
	v_lshl_or_b32 v6, v27, 2, v1
	v_lshlrev_b32_e32 v7, 3, v41
	s_mul_i32 s27, s10, 7
	v_cmp_gt_u32_e32 vcc, 7, v6
	v_lshlrev_b32_e32 v39, 1, v7
	v_lshlrev_b32_e32 v43, 4, v0
	s_and_saveexec_b64 s[18:19], vcc
	s_cbranch_execz .LBB900_11
; %bb.10:
	s_load_dwordx2 s[24:25], s[4:5], 0x0
	s_waitcnt lgkmcnt(0)
	s_ashr_i32 s15, s12, 31
	s_mul_hi_u32 s28, s11, s12
	s_mul_i32 s15, s11, s15
	s_add_i32 s29, s28, s15
	s_mul_i32 s28, s11, s12
	s_lshl_b64 s[28:29], s[28:29], 1
	v_add_lshl_u32 v8, v6, s27, 7
	s_add_u32 s11, s24, s28
	v_ashrrev_i32_e32 v9, 31, v8
	s_addc_u32 s12, s25, s29
	v_lshlrev_b64 v[8:9], 1, v[8:9]
	v_mov_b32_e32 v7, s12
	v_add_co_u32_e32 v8, vcc, s11, v8
	v_addc_co_u32_e32 v7, vcc, v7, v9, vcc
	v_add_co_u32_e32 v8, vcc, v8, v39
	v_addc_co_u32_e32 v9, vcc, 0, v7, vcc
	global_load_dwordx4 v[8:11], v[8:9], off
	v_lshlrev_b32_e32 v12, 8, v0
	v_lshlrev_b32_e32 v7, 8, v41
	v_and_b32_e32 v12, 0x600, v12
	s_movk_i32 s11, 0x800
	v_and_or_b32 v7, v7, s11, v12
	v_lshlrev_b32_e32 v6, 5, v6
	v_and_b32_e32 v12, 16, v43
	v_or3_b32 v6, v7, v6, v12
	s_waitcnt vmcnt(0)
	ds_write_b128 v6, v[8:11]
.LBB900_11:
	s_or_b64 exec, exec, s[18:19]
	s_waitcnt lgkmcnt(0)
	s_mul_i32 s14, s10, s14
	s_add_u32 s10, s16, s14
	s_addc_u32 s11, s17, 0
	v_and_b32_e32 v6, 0xf0, v43
	v_mov_b32_e32 v7, s11
	v_add_co_u32_e32 v6, vcc, s10, v6
	v_and_b32_e32 v18, 48, v0
	v_addc_co_u32_e32 v7, vcc, 0, v7, vcc
	v_lshlrev_b32_e32 v10, 4, v18
	s_waitcnt vmcnt(3)
	v_mad_i64_i32 v[8:9], s[10:11], v5, s13, v[6:7]
	v_add_co_u32_e32 v8, vcc, v8, v10
	v_addc_co_u32_e32 v9, vcc, 0, v9, vcc
	s_waitcnt vmcnt(2)
	v_mad_i64_i32 v[4:5], s[10:11], v4, s13, v[6:7]
	v_add_co_u32_e32 v4, vcc, v4, v10
	v_addc_co_u32_e32 v5, vcc, 0, v5, vcc
	s_load_dwordx2 s[48:49], s[4:5], 0x94
	s_waitcnt lgkmcnt(0)
	s_barrier
	global_load_dwordx4 v[20:23], v[8:9], off
	global_load_dwordx4 v[28:31], v[8:9], off offset:1024
	global_load_dwordx4 v[32:35], v[4:5], off
	global_load_dwordx4 v[44:47], v[4:5], off offset:1024
	s_waitcnt vmcnt(5)
	v_mad_i64_i32 v[4:5], s[10:11], v3, s13, v[6:7]
	v_add_co_u32_e32 v4, vcc, v4, v10
	v_addc_co_u32_e32 v5, vcc, 0, v5, vcc
	s_waitcnt vmcnt(4)
	v_mad_i64_i32 v[2:3], s[10:11], v2, s13, v[6:7]
	v_add_co_u32_e32 v2, vcc, v2, v10
	v_addc_co_u32_e32 v3, vcc, 0, v3, vcc
	global_load_dwordx4 v[48:51], v[4:5], off
	global_load_dwordx4 v[52:55], v[4:5], off offset:1024
	global_load_dwordx4 v[56:59], v[2:3], off
	global_load_dwordx4 v[60:63], v[2:3], off offset:1024
	v_mul_lo_u16_e32 v2, 37, v41
	v_mov_b32_e32 v3, 7
	v_mul_lo_u16_sdwa v2, v2, v3 dst_sel:DWORD dst_unused:UNUSED_PAD src0_sel:BYTE_1 src1_sel:DWORD
	v_mov_b32_e32 v4, 5
	v_sub_u16_e32 v2, v41, v2
	v_lshlrev_b32_sdwa v2, v4, v2 dst_sel:DWORD dst_unused:UNUSED_PAD src0_sel:DWORD src1_sel:BYTE_0
	v_lshl_add_u32 v14, v1, 9, v2
	s_load_dwordx2 s[50:51], s[4:5], 0x68
	s_load_dwordx4 s[44:47], s[4:5], 0x58
	ds_read_b128 v[2:5], v14
	ds_read_b128 v[6:9], v14 offset:16
	ds_read_b128 v[10:13], v14 offset:2048
	;; [unrolled: 1-line block ×3, first 2 shown]
	s_mov_b32 s12, 0
	v_cmp_gt_u32_e32 vcc, 7, v41
	s_waitcnt vmcnt(7)
	buffer_store_dword v23, off, s[0:3], 0 offset:12
	buffer_store_dword v22, off, s[0:3], 0 offset:8
	;; [unrolled: 1-line block ×3, first 2 shown]
	buffer_store_dword v20, off, s[0:3], 0
	s_waitcnt vmcnt(10)
	buffer_store_dword v31, off, s[0:3], 0 offset:28
	buffer_store_dword v30, off, s[0:3], 0 offset:24
	buffer_store_dword v29, off, s[0:3], 0 offset:20
	buffer_store_dword v28, off, s[0:3], 0 offset:16
	s_waitcnt vmcnt(13)
	buffer_store_dword v35, off, s[0:3], 0 offset:44
	buffer_store_dword v34, off, s[0:3], 0 offset:40
	buffer_store_dword v33, off, s[0:3], 0 offset:36
	buffer_store_dword v32, off, s[0:3], 0 offset:32
	;; [unrolled: 5-line block ×7, first 2 shown]
	v_mov_b32_e32 v35, 0
	v_mov_b32_e32 v31, 0
	s_and_saveexec_b64 s[10:11], vcc
	s_cbranch_execz .LBB900_13
; %bb.12:
	s_load_dwordx2 s[16:17], s[4:5], 0x40
	v_add_u32_e32 v20, s27, v41
	v_ashrrev_i32_e32 v21, 31, v20
	v_lshlrev_b64 v[20:21], 2, v[20:21]
	s_waitcnt lgkmcnt(0)
	v_mov_b32_e32 v19, s17
	v_add_co_u32_e32 v20, vcc, s16, v20
	v_addc_co_u32_e32 v21, vcc, v19, v21, vcc
	global_load_dword v31, v[20:21], off
.LBB900_13:
	s_or_b64 exec, exec, s[10:11]
	v_or_b32_e32 v22, s20, v18
	v_ashrrev_i32_e32 v18, 4, v22
	v_mov_b32_e32 v23, s23
	v_cmp_gt_i32_e32 vcc, s33, v22
	v_cndmask_b32_e32 v18, v23, v18, vcc
	v_ashrrev_i32_e32 v19, 31, v18
	v_lshlrev_b64 v[18:19], 2, v[18:19]
	v_mov_b32_e32 v20, s22
	v_add_co_u32_e32 v18, vcc, s21, v18
	v_addc_co_u32_e32 v19, vcc, v20, v19, vcc
	global_load_dword v26, v[18:19], off
	v_or_b32_e32 v18, 64, v22
	v_ashrrev_i32_e32 v19, 4, v18
	v_cmp_gt_i32_e32 vcc, s33, v18
	v_cndmask_b32_e32 v18, v23, v19, vcc
	v_ashrrev_i32_e32 v19, 31, v18
	v_lshlrev_b64 v[18:19], 2, v[18:19]
	v_add_co_u32_e32 v18, vcc, s21, v18
	v_addc_co_u32_e32 v19, vcc, v20, v19, vcc
	v_or_b32_e32 v20, 0x80, v22
	v_ashrrev_i32_e32 v21, 4, v20
	v_cmp_gt_i32_e32 vcc, s33, v20
	v_cndmask_b32_e32 v20, v23, v21, vcc
	v_ashrrev_i32_e32 v21, 31, v20
	v_lshlrev_b64 v[20:21], 2, v[20:21]
	v_mov_b32_e32 v24, s22
	v_add_co_u32_e32 v20, vcc, s21, v20
	v_addc_co_u32_e32 v21, vcc, v24, v21, vcc
	global_load_dword v28, v[18:19], off
	global_load_dword v30, v[20:21], off
	v_or_b32_e32 v18, 0xc0, v22
	v_ashrrev_i32_e32 v19, 4, v18
	v_cmp_gt_i32_e32 vcc, s33, v18
	v_cndmask_b32_e32 v18, v23, v19, vcc
	v_ashrrev_i32_e32 v19, 31, v18
	v_lshlrev_b64 v[18:19], 2, v[18:19]
	v_mov_b32_e32 v20, s22
	v_add_co_u32_e32 v18, vcc, s21, v18
	v_addc_co_u32_e32 v19, vcc, v20, v19, vcc
	global_load_dword v34, v[18:19], off
	s_add_u32 s10, s6, s14
	v_lshl_or_b32 v29, v27, 4, v41
	s_addc_u32 s6, s7, 0
	v_lshlrev_b32_e32 v18, 4, v29
	v_mov_b32_e32 v19, s6
	v_add_co_u32_e32 v22, vcc, s10, v18
	v_addc_co_u32_e32 v23, vcc, 0, v19, vcc
	v_or_b32_e32 v24, 0x400, v18
	v_mov_b32_e32 v25, s6
	v_add_co_u32_e32 v24, vcc, s10, v24
	v_addc_co_u32_e32 v25, vcc, 0, v25, vcc
	v_mov_b32_e32 v36, 0
	s_movk_i32 s14, 0x7f
	s_mov_b32 s15, 0xffffff
	s_mov_b32 s16, 0x5040100
	v_mov_b32_e32 v37, 0x100
	v_bfrev_b32_e32 v38, 60
	s_waitcnt vmcnt(3)
	v_mad_i64_i32 v[18:19], s[6:7], v26, s13, v[22:23]
	global_load_dwordx4 v[18:21], v[18:19], off
	v_mad_i64_i32 v[32:33], s[6:7], v26, s13, v[24:25]
	global_load_dwordx4 v[52:55], v[32:33], off
	s_waitcnt vmcnt(4)
	v_mad_i64_i32 v[32:33], s[6:7], v28, s13, v[22:23]
	global_load_dwordx4 v[56:59], v[32:33], off
	s_waitcnt vmcnt(4)
	v_mad_i64_i32 v[32:33], s[6:7], v30, s13, v[22:23]
	global_load_dwordx4 v[60:63], v[32:33], off
	s_waitcnt vmcnt(4)
	v_mad_i64_i32 v[22:23], s[6:7], v34, s13, v[22:23]
	global_load_dwordx4 v[64:67], v[22:23], off
	v_mad_i64_i32 v[22:23], s[6:7], v28, s13, v[24:25]
	global_load_dwordx4 v[68:71], v[22:23], off
	;; [unrolled: 2-line block ×4, first 2 shown]
	s_load_dword s6, s[4:5], 0x1c
	s_load_dwordx4 s[40:43], s[4:5], 0x80
	v_mov_b32_e32 v22, 0x80
	v_add_u32_e32 v45, 16, v22
	v_add_u32_e32 v46, 32, v22
	;; [unrolled: 1-line block ×3, first 2 shown]
	s_waitcnt lgkmcnt(0)
	s_load_dword s4, s[40:41], 0x0
	v_add_u32_e32 v51, 64, v22
	v_add_u32_e32 v48, 0x50, v22
	;; [unrolled: 1-line block ×4, first 2 shown]
	v_mov_b32_e32 v22, s6
	s_waitcnt lgkmcnt(0)
	v_mul_f32_e32 v22, s4, v22
	v_and_b32_e32 v33, 63, v0
	s_movk_i32 s13, 0x80
	v_mov_b32_e32 v24, v22
	v_mov_b32_e32 v25, v22
	s_waitcnt vmcnt(7)
	buffer_store_dword v21, off, s[0:3], 0 offset:140
	buffer_store_dword v20, off, s[0:3], 0 offset:136
	buffer_store_dword v19, off, s[0:3], 0 offset:132
	buffer_store_dword v18, off, s[0:3], 0 offset:128
	s_waitcnt vmcnt(10)
	buffer_store_dword v55, off, s[0:3], 0 offset:156
	buffer_store_dword v54, off, s[0:3], 0 offset:152
	buffer_store_dword v53, off, s[0:3], 0 offset:148
	buffer_store_dword v52, off, s[0:3], 0 offset:144
	;; [unrolled: 5-line block ×8, first 2 shown]
	s_branch .LBB900_17
.LBB900_14:                             ;   in Loop: Header=BB900_17 Depth=1
	s_or_b64 exec, exec, s[10:11]
.LBB900_15:                             ;   in Loop: Header=BB900_17 Depth=1
	s_or_b64 exec, exec, s[6:7]
.LBB900_16:                             ;   in Loop: Header=BB900_17 Depth=1
	s_or_b64 exec, exec, s[4:5]
	v_perm_b32 v55, v40, v34, s16
	v_perm_b32 v54, v23, v32, s16
	;; [unrolled: 1-line block ×4, first 2 shown]
	v_add_u32_e32 v26, s12, v37
	v_mfma_f32_16x16x16bf16_1k v[18:21], v[54:55], v[14:15], v[18:21]
	s_add_i32 s12, s12, 16
	v_mov_b32_e32 v23, v22
	s_cmp_eq_u32 s12, 64
	v_add_u32_e32 v36, 32, v36
	v_mfma_f32_16x16x16bf16_1k v[18:21], v[52:53], v[16:17], v[18:21]
	s_nop 7
	s_nop 2
	v_pk_mul_f32 v[18:19], v[24:25], v[18:19]
	v_pk_mul_f32 v[20:21], v[22:23], v[20:21]
	buffer_store_dword v19, v26, s[0:3], 0 offen offset:4
	buffer_store_dword v18, v26, s[0:3], 0 offen
	buffer_store_dword v21, v26, s[0:3], 0 offen offset:12
	buffer_store_dword v20, v26, s[0:3], 0 offen offset:8
	s_cbranch_scc1 .LBB900_207
.LBB900_17:                             ; =>This Inner Loop Header: Depth=1
	buffer_load_dword v20, v36, s[0:3], 0 offen
	buffer_load_dword v18, v36, s[0:3], 0 offen offset:4
	buffer_load_dword v28, v36, s[0:3], 0 offen offset:8
	;; [unrolled: 1-line block ×3, first 2 shown]
	v_mov_b32_e32 v19, 0
	v_mov_b32_e32 v21, 0
	s_waitcnt vmcnt(3)
	v_cmp_ne_u16_sdwa s[6:7], v20, v35 src0_sel:BYTE_0 src1_sel:DWORD
	s_and_saveexec_b64 s[4:5], s[6:7]
	s_cbranch_execz .LBB900_23
; %bb.18:                               ;   in Loop: Header=BB900_17 Depth=1
	v_cmp_ne_u16_sdwa s[10:11], v20, s13 src0_sel:BYTE_0 src1_sel:DWORD
	v_mov_b32_e32 v21, 0xffff8000
	s_and_saveexec_b64 s[6:7], s[10:11]
	s_cbranch_execz .LBB900_22
; %bb.19:                               ;   in Loop: Header=BB900_17 Depth=1
	v_and_b32_e32 v23, 0x7f, v20
	v_cmp_ne_u32_e32 vcc, s14, v23
	v_mov_b32_e32 v21, 0x7f80
	s_and_saveexec_b64 s[10:11], vcc
	s_cbranch_execz .LBB900_21
; %bb.20:                               ;   in Loop: Header=BB900_17 Depth=1
	v_and_b32_e32 v21, 7, v20
	v_ffbh_u32_e32 v32, v21
	v_min_u32_e32 v32, 32, v32
	v_subrev_u32_e32 v34, 28, v32
	v_lshlrev_b64 v[52:53], v34, v[20:21]
	v_lshrrev_b32_e32 v30, 3, v23
	v_sub_u32_e32 v32, 29, v32
	v_and_b32_e32 v34, 7, v52
	v_cmp_gt_u32_e32 vcc, 8, v23
	v_cndmask_b32_e32 v23, v30, v32, vcc
	v_cndmask_b32_e32 v21, v21, v34, vcc
	v_lshlrev_b32_e32 v30, 24, v20
	v_lshlrev_b32_e32 v21, 20, v21
	v_and_b32_e32 v30, 0x80000000, v30
	v_lshl_add_u32 v23, v23, 23, v38
	v_or3_b32 v21, v30, v23, v21
	v_lshrrev_b32_e32 v21, 16, v21
.LBB900_21:                             ;   in Loop: Header=BB900_17 Depth=1
	s_or_b64 exec, exec, s[10:11]
.LBB900_22:                             ;   in Loop: Header=BB900_17 Depth=1
	s_or_b64 exec, exec, s[6:7]
.LBB900_23:                             ;   in Loop: Header=BB900_17 Depth=1
	s_or_b64 exec, exec, s[4:5]
	v_lshrrev_b16_e32 v30, 8, v20
	v_cmp_ne_u16_e32 vcc, 0, v30
	s_and_saveexec_b64 s[4:5], vcc
	s_cbranch_execz .LBB900_29
; %bb.24:                               ;   in Loop: Header=BB900_17 Depth=1
	v_cmp_ne_u16_e32 vcc, s13, v30
	v_mov_b32_e32 v19, 0xffff8000
	s_and_saveexec_b64 s[6:7], vcc
	s_cbranch_execz .LBB900_28
; %bb.25:                               ;   in Loop: Header=BB900_17 Depth=1
	v_and_b32_e32 v23, 0x7f, v30
	v_cmp_ne_u32_e32 vcc, s14, v23
	v_mov_b32_e32 v19, 0x7f80
	s_and_saveexec_b64 s[10:11], vcc
	s_cbranch_execz .LBB900_27
; %bb.26:                               ;   in Loop: Header=BB900_17 Depth=1
	v_and_b32_e32 v19, 7, v30
	v_ffbh_u32_e32 v34, v19
	v_min_u32_e32 v34, 32, v34
	v_subrev_u32_e32 v40, 28, v34
	v_lshlrev_b64 v[52:53], v40, v[30:31]
	v_lshrrev_b32_e32 v32, 3, v23
	v_sub_u32_e32 v30, 29, v34
	v_and_b32_e32 v34, 7, v52
	v_cmp_gt_u32_e32 vcc, 8, v23
	v_cndmask_b32_e32 v23, v32, v30, vcc
	v_cndmask_b32_e32 v19, v19, v34, vcc
	v_lshlrev_b32_e32 v30, 16, v20
	v_lshlrev_b32_e32 v19, 20, v19
	v_and_b32_e32 v30, 0x80000000, v30
	v_lshl_add_u32 v23, v23, 23, v38
	v_or3_b32 v19, v30, v23, v19
	v_lshrrev_b32_e32 v19, 16, v19
.LBB900_27:                             ;   in Loop: Header=BB900_17 Depth=1
	s_or_b64 exec, exec, s[10:11]
.LBB900_28:                             ;   in Loop: Header=BB900_17 Depth=1
	s_or_b64 exec, exec, s[6:7]
.LBB900_29:                             ;   in Loop: Header=BB900_17 Depth=1
	s_or_b64 exec, exec, s[4:5]
	v_lshrrev_b32_e32 v30, 16, v20
	v_cmp_ne_u16_sdwa s[6:7], v30, v35 src0_sel:BYTE_0 src1_sel:DWORD
	v_mov_b32_e32 v32, 0
	v_mov_b32_e32 v23, 0
	s_and_saveexec_b64 s[4:5], s[6:7]
	s_cbranch_execz .LBB900_35
; %bb.30:                               ;   in Loop: Header=BB900_17 Depth=1
	v_cmp_ne_u16_sdwa s[10:11], v30, s13 src0_sel:BYTE_0 src1_sel:DWORD
	v_mov_b32_e32 v23, 0xffff8000
	s_and_saveexec_b64 s[6:7], s[10:11]
	s_cbranch_execz .LBB900_34
; %bb.31:                               ;   in Loop: Header=BB900_17 Depth=1
	v_bfe_u32 v34, v20, 16, 7
	v_cmp_ne_u32_e32 vcc, s14, v34
	v_mov_b32_e32 v23, 0x7f80
	s_and_saveexec_b64 s[10:11], vcc
	s_cbranch_execz .LBB900_33
; %bb.32:                               ;   in Loop: Header=BB900_17 Depth=1
	v_and_b32_e32 v23, 7, v30
	v_ffbh_u32_e32 v42, v23
	v_min_u32_e32 v42, 32, v42
	v_subrev_u32_e32 v44, 28, v42
	v_lshlrev_b64 v[52:53], v44, v[30:31]
	v_lshrrev_b32_e32 v40, 3, v34
	v_sub_u32_e32 v42, 29, v42
	v_and_b32_e32 v44, 7, v52
	v_cmp_gt_u32_e32 vcc, 8, v34
	v_cndmask_b32_e32 v34, v40, v42, vcc
	v_cndmask_b32_e32 v23, v23, v44, vcc
	v_lshlrev_b32_e32 v30, 24, v30
	v_lshlrev_b32_e32 v23, 20, v23
	v_and_b32_e32 v30, 0x80000000, v30
	v_lshl_add_u32 v34, v34, 23, v38
	v_or3_b32 v23, v30, v34, v23
	v_lshrrev_b32_e32 v23, 16, v23
.LBB900_33:                             ;   in Loop: Header=BB900_17 Depth=1
	s_or_b64 exec, exec, s[10:11]
.LBB900_34:                             ;   in Loop: Header=BB900_17 Depth=1
	s_or_b64 exec, exec, s[6:7]
.LBB900_35:                             ;   in Loop: Header=BB900_17 Depth=1
	s_or_b64 exec, exec, s[4:5]
	v_cmp_lt_u32_e32 vcc, s15, v20
	s_and_saveexec_b64 s[4:5], vcc
	s_cbranch_execz .LBB900_41
; %bb.36:                               ;   in Loop: Header=BB900_17 Depth=1
	v_lshrrev_b32_e32 v30, 24, v20
	v_cmp_ne_u32_e32 vcc, s13, v30
	v_mov_b32_e32 v32, 0xffff8000
	s_and_saveexec_b64 s[6:7], vcc
	s_cbranch_execz .LBB900_40
; %bb.37:                               ;   in Loop: Header=BB900_17 Depth=1
	v_bfe_u32 v20, v20, 24, 7
	v_cmp_ne_u32_e32 vcc, s14, v20
	v_mov_b32_e32 v32, 0x7f80
	s_and_saveexec_b64 s[10:11], vcc
	s_cbranch_execz .LBB900_39
; %bb.38:                               ;   in Loop: Header=BB900_17 Depth=1
	v_and_b32_e32 v32, 7, v30
	v_ffbh_u32_e32 v40, v32
	v_min_u32_e32 v40, 32, v40
	v_subrev_u32_e32 v42, 28, v40
	v_lshlrev_b64 v[52:53], v42, v[30:31]
	v_lshrrev_b32_e32 v34, 3, v20
	v_sub_u32_e32 v40, 29, v40
	v_and_b32_e32 v42, 7, v52
	v_cmp_gt_u32_e32 vcc, 8, v20
	v_cndmask_b32_e32 v20, v34, v40, vcc
	v_cndmask_b32_e32 v32, v32, v42, vcc
	v_lshlrev_b32_e32 v30, 24, v30
	v_lshlrev_b32_e32 v32, 20, v32
	v_and_b32_e32 v30, 0x80000000, v30
	v_lshl_add_u32 v20, v20, 23, v38
	v_or3_b32 v20, v30, v20, v32
	v_lshrrev_b32_e32 v32, 16, v20
.LBB900_39:                             ;   in Loop: Header=BB900_17 Depth=1
	s_or_b64 exec, exec, s[10:11]
.LBB900_40:                             ;   in Loop: Header=BB900_17 Depth=1
	s_or_b64 exec, exec, s[6:7]
.LBB900_41:                             ;   in Loop: Header=BB900_17 Depth=1
	s_or_b64 exec, exec, s[4:5]
	s_waitcnt vmcnt(2)
	v_cmp_ne_u16_sdwa s[6:7], v18, v35 src0_sel:BYTE_0 src1_sel:DWORD
	v_mov_b32_e32 v30, 0
	v_mov_b32_e32 v34, 0
	s_and_saveexec_b64 s[4:5], s[6:7]
	s_cbranch_execz .LBB900_47
; %bb.42:                               ;   in Loop: Header=BB900_17 Depth=1
	v_cmp_ne_u16_sdwa s[10:11], v18, s13 src0_sel:BYTE_0 src1_sel:DWORD
	v_mov_b32_e32 v34, 0xffff8000
	s_and_saveexec_b64 s[6:7], s[10:11]
	s_cbranch_execz .LBB900_46
; %bb.43:                               ;   in Loop: Header=BB900_17 Depth=1
	v_and_b32_e32 v20, 0x7f, v18
	v_cmp_ne_u32_e32 vcc, s14, v20
	v_mov_b32_e32 v34, 0x7f80
	s_and_saveexec_b64 s[10:11], vcc
	s_cbranch_execz .LBB900_45
; %bb.44:                               ;   in Loop: Header=BB900_17 Depth=1
	v_and_b32_e32 v34, 7, v18
	v_ffbh_u32_e32 v42, v34
	v_min_u32_e32 v42, 32, v42
	v_subrev_u32_e32 v44, 28, v42
	v_lshlrev_b64 v[52:53], v44, v[18:19]
	v_lshrrev_b32_e32 v40, 3, v20
	v_sub_u32_e32 v42, 29, v42
	v_and_b32_e32 v44, 7, v52
	v_cmp_gt_u32_e32 vcc, 8, v20
	v_cndmask_b32_e32 v20, v40, v42, vcc
	v_cndmask_b32_e32 v34, v34, v44, vcc
	v_lshlrev_b32_e32 v40, 24, v18
	v_lshlrev_b32_e32 v34, 20, v34
	v_and_b32_e32 v40, 0x80000000, v40
	v_lshl_add_u32 v20, v20, 23, v38
	v_or3_b32 v20, v40, v20, v34
	v_lshrrev_b32_e32 v34, 16, v20
.LBB900_45:                             ;   in Loop: Header=BB900_17 Depth=1
	s_or_b64 exec, exec, s[10:11]
.LBB900_46:                             ;   in Loop: Header=BB900_17 Depth=1
	s_or_b64 exec, exec, s[6:7]
.LBB900_47:                             ;   in Loop: Header=BB900_17 Depth=1
	s_or_b64 exec, exec, s[4:5]
	v_lshrrev_b16_e32 v20, 8, v18
	v_cmp_ne_u16_e32 vcc, 0, v20
	s_and_saveexec_b64 s[4:5], vcc
	s_cbranch_execz .LBB900_53
; %bb.48:                               ;   in Loop: Header=BB900_17 Depth=1
	v_cmp_ne_u16_e32 vcc, s13, v20
	v_mov_b32_e32 v30, 0xffff8000
	s_and_saveexec_b64 s[6:7], vcc
	s_cbranch_execz .LBB900_52
; %bb.49:                               ;   in Loop: Header=BB900_17 Depth=1
	v_and_b32_e32 v40, 0x7f, v20
	v_cmp_ne_u32_e32 vcc, s14, v40
	v_mov_b32_e32 v30, 0x7f80
	s_and_saveexec_b64 s[10:11], vcc
	s_cbranch_execz .LBB900_51
; %bb.50:                               ;   in Loop: Header=BB900_17 Depth=1
	v_and_b32_e32 v30, 7, v20
	v_ffbh_u32_e32 v44, v30
	v_min_u32_e32 v44, 32, v44
	v_subrev_u32_e32 v52, 28, v44
	v_lshlrev_b64 v[52:53], v52, v[20:21]
	v_lshrrev_b32_e32 v42, 3, v40
	v_sub_u32_e32 v20, 29, v44
	v_and_b32_e32 v44, 7, v52
	v_cmp_gt_u32_e32 vcc, 8, v40
	v_cndmask_b32_e32 v20, v42, v20, vcc
	v_cndmask_b32_e32 v30, v30, v44, vcc
	v_lshlrev_b32_e32 v40, 16, v18
	v_lshlrev_b32_e32 v30, 20, v30
	v_and_b32_e32 v40, 0x80000000, v40
	v_lshl_add_u32 v20, v20, 23, v38
	v_or3_b32 v20, v40, v20, v30
	v_lshrrev_b32_e32 v30, 16, v20
.LBB900_51:                             ;   in Loop: Header=BB900_17 Depth=1
	s_or_b64 exec, exec, s[10:11]
.LBB900_52:                             ;   in Loop: Header=BB900_17 Depth=1
	s_or_b64 exec, exec, s[6:7]
.LBB900_53:                             ;   in Loop: Header=BB900_17 Depth=1
	s_or_b64 exec, exec, s[4:5]
	v_lshrrev_b32_e32 v20, 16, v18
	v_cmp_ne_u16_sdwa s[6:7], v20, v35 src0_sel:BYTE_0 src1_sel:DWORD
	v_mov_b32_e32 v42, 0
	v_mov_b32_e32 v40, 0
	s_and_saveexec_b64 s[4:5], s[6:7]
	s_cbranch_execz .LBB900_59
; %bb.54:                               ;   in Loop: Header=BB900_17 Depth=1
	v_cmp_ne_u16_sdwa s[10:11], v20, s13 src0_sel:BYTE_0 src1_sel:DWORD
	v_mov_b32_e32 v40, 0xffff8000
	s_and_saveexec_b64 s[6:7], s[10:11]
	s_cbranch_execz .LBB900_58
; %bb.55:                               ;   in Loop: Header=BB900_17 Depth=1
	v_bfe_u32 v44, v18, 16, 7
	v_cmp_ne_u32_e32 vcc, s14, v44
	v_mov_b32_e32 v40, 0x7f80
	s_and_saveexec_b64 s[10:11], vcc
	s_cbranch_execz .LBB900_57
; %bb.56:                               ;   in Loop: Header=BB900_17 Depth=1
	v_and_b32_e32 v40, 7, v20
	v_ffbh_u32_e32 v52, v40
	v_min_u32_e32 v55, 32, v52
	v_subrev_u32_e32 v52, 28, v55
	v_lshlrev_b64 v[52:53], v52, v[20:21]
	v_lshrrev_b32_e32 v54, 3, v44
	v_sub_u32_e32 v53, 29, v55
	v_and_b32_e32 v52, 7, v52
	v_cmp_gt_u32_e32 vcc, 8, v44
	v_cndmask_b32_e32 v44, v54, v53, vcc
	v_cndmask_b32_e32 v40, v40, v52, vcc
	v_lshlrev_b32_e32 v20, 24, v20
	v_lshlrev_b32_e32 v40, 20, v40
	v_and_b32_e32 v20, 0x80000000, v20
	v_lshl_add_u32 v44, v44, 23, v38
	v_or3_b32 v20, v20, v44, v40
	v_lshrrev_b32_e32 v40, 16, v20
.LBB900_57:                             ;   in Loop: Header=BB900_17 Depth=1
	s_or_b64 exec, exec, s[10:11]
.LBB900_58:                             ;   in Loop: Header=BB900_17 Depth=1
	s_or_b64 exec, exec, s[6:7]
.LBB900_59:                             ;   in Loop: Header=BB900_17 Depth=1
	s_or_b64 exec, exec, s[4:5]
	v_cmp_lt_u32_e32 vcc, s15, v18
	s_and_saveexec_b64 s[4:5], vcc
	s_cbranch_execz .LBB900_65
; %bb.60:                               ;   in Loop: Header=BB900_17 Depth=1
	v_lshrrev_b32_e32 v20, 24, v18
	v_cmp_ne_u32_e32 vcc, s13, v20
	v_mov_b32_e32 v42, 0xffff8000
	s_and_saveexec_b64 s[6:7], vcc
	s_cbranch_execz .LBB900_64
; %bb.61:                               ;   in Loop: Header=BB900_17 Depth=1
	v_bfe_u32 v18, v18, 24, 7
	v_cmp_ne_u32_e32 vcc, s14, v18
	v_mov_b32_e32 v42, 0x7f80
	s_and_saveexec_b64 s[10:11], vcc
	s_cbranch_execz .LBB900_63
; %bb.62:                               ;   in Loop: Header=BB900_17 Depth=1
	v_and_b32_e32 v42, 7, v20
	v_ffbh_u32_e32 v52, v42
	v_min_u32_e32 v54, 32, v52
	v_subrev_u32_e32 v52, 28, v54
	v_lshlrev_b64 v[52:53], v52, v[20:21]
	v_lshrrev_b32_e32 v44, 3, v18
	v_sub_u32_e32 v53, 29, v54
	v_and_b32_e32 v52, 7, v52
	v_cmp_gt_u32_e32 vcc, 8, v18
	v_cndmask_b32_e32 v18, v44, v53, vcc
	v_cndmask_b32_e32 v42, v42, v52, vcc
	v_lshlrev_b32_e32 v20, 24, v20
	v_lshlrev_b32_e32 v42, 20, v42
	v_and_b32_e32 v20, 0x80000000, v20
	v_lshl_add_u32 v18, v18, 23, v38
	v_or3_b32 v18, v20, v18, v42
	v_lshrrev_b32_e32 v42, 16, v18
.LBB900_63:                             ;   in Loop: Header=BB900_17 Depth=1
	s_or_b64 exec, exec, s[10:11]
.LBB900_64:                             ;   in Loop: Header=BB900_17 Depth=1
	s_or_b64 exec, exec, s[6:7]
.LBB900_65:                             ;   in Loop: Header=BB900_17 Depth=1
	s_or_b64 exec, exec, s[4:5]
	v_perm_b32 v53, v32, v23, s16
	v_perm_b32 v52, v19, v21, s16
	s_waitcnt vmcnt(1)
	v_cmp_ne_u16_sdwa s[6:7], v28, v35 src0_sel:BYTE_0 src1_sel:DWORD
	v_mov_b32_e32 v23, 0
	v_mov_b32_e32 v32, 0
	v_mfma_f32_16x16x16bf16_1k v[18:21], v[52:53], v[2:3], 0
	v_perm_b32 v53, v42, v40, s16
	v_perm_b32 v52, v30, v34, s16
	s_nop 1
	v_mfma_f32_16x16x16bf16_1k v[18:21], v[52:53], v[4:5], v[18:21]
	s_and_saveexec_b64 s[4:5], s[6:7]
	s_cbranch_execz .LBB900_71
; %bb.66:                               ;   in Loop: Header=BB900_17 Depth=1
	v_cmp_ne_u16_sdwa s[10:11], v28, s13 src0_sel:BYTE_0 src1_sel:DWORD
	v_mov_b32_e32 v32, 0xffff8000
	s_and_saveexec_b64 s[6:7], s[10:11]
	s_cbranch_execz .LBB900_70
; %bb.67:                               ;   in Loop: Header=BB900_17 Depth=1
	v_and_b32_e32 v30, 0x7f, v28
	v_cmp_ne_u32_e32 vcc, s14, v30
	v_mov_b32_e32 v32, 0x7f80
	s_and_saveexec_b64 s[10:11], vcc
	s_cbranch_execz .LBB900_69
; %bb.68:                               ;   in Loop: Header=BB900_17 Depth=1
	v_and_b32_e32 v32, 7, v28
	v_ffbh_u32_e32 v40, v32
	v_min_u32_e32 v40, 32, v40
	v_subrev_u32_e32 v42, 28, v40
	v_lshlrev_b64 v[52:53], v42, v[28:29]
	v_lshrrev_b32_e32 v34, 3, v30
	v_sub_u32_e32 v40, 29, v40
	v_and_b32_e32 v42, 7, v52
	v_cmp_gt_u32_e32 vcc, 8, v30
	v_cndmask_b32_e32 v30, v34, v40, vcc
	v_cndmask_b32_e32 v32, v32, v42, vcc
	v_lshlrev_b32_e32 v34, 24, v28
	v_lshlrev_b32_e32 v32, 20, v32
	v_and_b32_e32 v34, 0x80000000, v34
	v_lshl_add_u32 v30, v30, 23, v38
	v_or3_b32 v30, v34, v30, v32
	v_lshrrev_b32_e32 v32, 16, v30
.LBB900_69:                             ;   in Loop: Header=BB900_17 Depth=1
	s_or_b64 exec, exec, s[10:11]
.LBB900_70:                             ;   in Loop: Header=BB900_17 Depth=1
	s_or_b64 exec, exec, s[6:7]
.LBB900_71:                             ;   in Loop: Header=BB900_17 Depth=1
	s_or_b64 exec, exec, s[4:5]
	v_lshrrev_b16_e32 v30, 8, v28
	v_cmp_ne_u16_e32 vcc, 0, v30
	s_and_saveexec_b64 s[4:5], vcc
	s_cbranch_execz .LBB900_77
; %bb.72:                               ;   in Loop: Header=BB900_17 Depth=1
	v_cmp_ne_u16_e32 vcc, s13, v30
	v_mov_b32_e32 v23, 0xffff8000
	s_and_saveexec_b64 s[6:7], vcc
	s_cbranch_execz .LBB900_76
; %bb.73:                               ;   in Loop: Header=BB900_17 Depth=1
	v_and_b32_e32 v34, 0x7f, v30
	v_cmp_ne_u32_e32 vcc, s14, v34
	v_mov_b32_e32 v23, 0x7f80
	s_and_saveexec_b64 s[10:11], vcc
	s_cbranch_execz .LBB900_75
; %bb.74:                               ;   in Loop: Header=BB900_17 Depth=1
	v_and_b32_e32 v23, 7, v30
	v_ffbh_u32_e32 v42, v23
	v_min_u32_e32 v42, 32, v42
	v_subrev_u32_e32 v44, 28, v42
	v_lshlrev_b64 v[52:53], v44, v[30:31]
	v_lshrrev_b32_e32 v40, 3, v34
	v_sub_u32_e32 v30, 29, v42
	v_and_b32_e32 v42, 7, v52
	v_cmp_gt_u32_e32 vcc, 8, v34
	v_cndmask_b32_e32 v30, v40, v30, vcc
	v_cndmask_b32_e32 v23, v23, v42, vcc
	v_lshlrev_b32_e32 v34, 16, v28
	v_lshlrev_b32_e32 v23, 20, v23
	v_and_b32_e32 v34, 0x80000000, v34
	v_lshl_add_u32 v30, v30, 23, v38
	v_or3_b32 v23, v34, v30, v23
	v_lshrrev_b32_e32 v23, 16, v23
.LBB900_75:                             ;   in Loop: Header=BB900_17 Depth=1
	s_or_b64 exec, exec, s[10:11]
.LBB900_76:                             ;   in Loop: Header=BB900_17 Depth=1
	s_or_b64 exec, exec, s[6:7]
.LBB900_77:                             ;   in Loop: Header=BB900_17 Depth=1
	s_or_b64 exec, exec, s[4:5]
	v_lshrrev_b32_e32 v30, 16, v28
	v_cmp_ne_u16_sdwa s[6:7], v30, v35 src0_sel:BYTE_0 src1_sel:DWORD
	v_mov_b32_e32 v40, 0
	v_mov_b32_e32 v34, 0
	s_and_saveexec_b64 s[4:5], s[6:7]
	s_cbranch_execz .LBB900_83
; %bb.78:                               ;   in Loop: Header=BB900_17 Depth=1
	v_cmp_ne_u16_sdwa s[10:11], v30, s13 src0_sel:BYTE_0 src1_sel:DWORD
	v_mov_b32_e32 v34, 0xffff8000
	s_and_saveexec_b64 s[6:7], s[10:11]
	s_cbranch_execz .LBB900_82
; %bb.79:                               ;   in Loop: Header=BB900_17 Depth=1
	v_bfe_u32 v42, v28, 16, 7
	v_cmp_ne_u32_e32 vcc, s14, v42
	v_mov_b32_e32 v34, 0x7f80
	s_and_saveexec_b64 s[10:11], vcc
	s_cbranch_execz .LBB900_81
; %bb.80:                               ;   in Loop: Header=BB900_17 Depth=1
	v_and_b32_e32 v34, 7, v30
	v_ffbh_u32_e32 v52, v34
	v_min_u32_e32 v54, 32, v52
	v_subrev_u32_e32 v52, 28, v54
	v_lshlrev_b64 v[52:53], v52, v[30:31]
	v_lshrrev_b32_e32 v44, 3, v42
	v_sub_u32_e32 v53, 29, v54
	v_and_b32_e32 v52, 7, v52
	v_cmp_gt_u32_e32 vcc, 8, v42
	v_cndmask_b32_e32 v42, v44, v53, vcc
	v_cndmask_b32_e32 v34, v34, v52, vcc
	v_lshlrev_b32_e32 v30, 24, v30
	v_lshlrev_b32_e32 v34, 20, v34
	v_and_b32_e32 v30, 0x80000000, v30
	v_lshl_add_u32 v42, v42, 23, v38
	v_or3_b32 v30, v30, v42, v34
	v_lshrrev_b32_e32 v34, 16, v30
.LBB900_81:                             ;   in Loop: Header=BB900_17 Depth=1
	s_or_b64 exec, exec, s[10:11]
.LBB900_82:                             ;   in Loop: Header=BB900_17 Depth=1
	s_or_b64 exec, exec, s[6:7]
.LBB900_83:                             ;   in Loop: Header=BB900_17 Depth=1
	s_or_b64 exec, exec, s[4:5]
	v_cmp_lt_u32_e32 vcc, s15, v28
	s_and_saveexec_b64 s[4:5], vcc
	s_cbranch_execz .LBB900_89
; %bb.84:                               ;   in Loop: Header=BB900_17 Depth=1
	v_lshrrev_b32_e32 v30, 24, v28
	v_cmp_ne_u32_e32 vcc, s13, v30
	v_mov_b32_e32 v40, 0xffff8000
	s_and_saveexec_b64 s[6:7], vcc
	s_cbranch_execz .LBB900_88
; %bb.85:                               ;   in Loop: Header=BB900_17 Depth=1
	v_bfe_u32 v28, v28, 24, 7
	v_cmp_ne_u32_e32 vcc, s14, v28
	v_mov_b32_e32 v40, 0x7f80
	s_and_saveexec_b64 s[10:11], vcc
	s_cbranch_execz .LBB900_87
; %bb.86:                               ;   in Loop: Header=BB900_17 Depth=1
	v_and_b32_e32 v40, 7, v30
	v_ffbh_u32_e32 v44, v40
	v_min_u32_e32 v44, 32, v44
	v_subrev_u32_e32 v52, 28, v44
	v_lshlrev_b64 v[52:53], v52, v[30:31]
	v_lshrrev_b32_e32 v42, 3, v28
	v_sub_u32_e32 v44, 29, v44
	v_and_b32_e32 v52, 7, v52
	v_cmp_gt_u32_e32 vcc, 8, v28
	v_cndmask_b32_e32 v28, v42, v44, vcc
	v_cndmask_b32_e32 v40, v40, v52, vcc
	v_lshlrev_b32_e32 v30, 24, v30
	v_lshlrev_b32_e32 v40, 20, v40
	v_and_b32_e32 v30, 0x80000000, v30
	v_lshl_add_u32 v28, v28, 23, v38
	v_or3_b32 v28, v30, v28, v40
	v_lshrrev_b32_e32 v40, 16, v28
.LBB900_87:                             ;   in Loop: Header=BB900_17 Depth=1
	s_or_b64 exec, exec, s[10:11]
.LBB900_88:                             ;   in Loop: Header=BB900_17 Depth=1
	s_or_b64 exec, exec, s[6:7]
.LBB900_89:                             ;   in Loop: Header=BB900_17 Depth=1
	s_or_b64 exec, exec, s[4:5]
	s_waitcnt vmcnt(0)
	v_cmp_ne_u16_sdwa s[6:7], v26, v35 src0_sel:BYTE_0 src1_sel:DWORD
	v_mov_b32_e32 v42, 0
	v_mov_b32_e32 v44, 0
	s_and_saveexec_b64 s[4:5], s[6:7]
	s_cbranch_execz .LBB900_95
; %bb.90:                               ;   in Loop: Header=BB900_17 Depth=1
	v_cmp_ne_u16_sdwa s[10:11], v26, s13 src0_sel:BYTE_0 src1_sel:DWORD
	v_mov_b32_e32 v44, 0xffff8000
	s_and_saveexec_b64 s[6:7], s[10:11]
	s_cbranch_execz .LBB900_94
; %bb.91:                               ;   in Loop: Header=BB900_17 Depth=1
	v_and_b32_e32 v28, 0x7f, v26
	v_cmp_ne_u32_e32 vcc, s14, v28
	v_mov_b32_e32 v44, 0x7f80
	s_and_saveexec_b64 s[10:11], vcc
	s_cbranch_execz .LBB900_93
; %bb.92:                               ;   in Loop: Header=BB900_17 Depth=1
	v_and_b32_e32 v30, 7, v26
	v_ffbh_u32_e32 v52, v30
	v_min_u32_e32 v54, 32, v52
	v_subrev_u32_e32 v52, 28, v54
	v_lshlrev_b64 v[52:53], v52, v[26:27]
	v_lshrrev_b32_e32 v44, 3, v28
	v_sub_u32_e32 v53, 29, v54
	v_and_b32_e32 v52, 7, v52
	v_cmp_gt_u32_e32 vcc, 8, v28
	v_cndmask_b32_e32 v28, v44, v53, vcc
	v_cndmask_b32_e32 v30, v30, v52, vcc
	v_lshlrev_b32_e32 v44, 24, v26
	v_lshlrev_b32_e32 v30, 20, v30
	v_and_b32_e32 v44, 0x80000000, v44
	v_lshl_add_u32 v28, v28, 23, v38
	v_or3_b32 v28, v44, v28, v30
	v_lshrrev_b32_e32 v44, 16, v28
.LBB900_93:                             ;   in Loop: Header=BB900_17 Depth=1
	s_or_b64 exec, exec, s[10:11]
.LBB900_94:                             ;   in Loop: Header=BB900_17 Depth=1
	s_or_b64 exec, exec, s[6:7]
.LBB900_95:                             ;   in Loop: Header=BB900_17 Depth=1
	s_or_b64 exec, exec, s[4:5]
	v_lshrrev_b16_e32 v28, 8, v26
	v_cmp_ne_u16_e32 vcc, 0, v28
	s_and_saveexec_b64 s[4:5], vcc
	s_cbranch_execz .LBB900_101
; %bb.96:                               ;   in Loop: Header=BB900_17 Depth=1
	v_cmp_ne_u16_e32 vcc, s13, v28
	v_mov_b32_e32 v42, 0xffff8000
	s_and_saveexec_b64 s[6:7], vcc
	s_cbranch_execz .LBB900_100
; %bb.97:                               ;   in Loop: Header=BB900_17 Depth=1
	v_and_b32_e32 v30, 0x7f, v28
	v_cmp_ne_u32_e32 vcc, s14, v30
	v_mov_b32_e32 v42, 0x7f80
	s_and_saveexec_b64 s[10:11], vcc
	s_cbranch_execz .LBB900_99
; %bb.98:                               ;   in Loop: Header=BB900_17 Depth=1
	v_and_b32_e32 v42, 7, v28
	v_ffbh_u32_e32 v52, v42
	v_min_u32_e32 v55, 32, v52
	v_subrev_u32_e32 v52, 28, v55
	v_lshlrev_b64 v[52:53], v52, v[28:29]
	v_lshrrev_b32_e32 v54, 3, v30
	v_sub_u32_e32 v28, 29, v55
	v_and_b32_e32 v52, 7, v52
	v_cmp_gt_u32_e32 vcc, 8, v30
	v_cndmask_b32_e32 v28, v54, v28, vcc
	v_cndmask_b32_e32 v30, v42, v52, vcc
	v_lshlrev_b32_e32 v42, 16, v26
	v_lshlrev_b32_e32 v30, 20, v30
	v_and_b32_e32 v42, 0x80000000, v42
	v_lshl_add_u32 v28, v28, 23, v38
	v_or3_b32 v28, v42, v28, v30
	v_lshrrev_b32_e32 v42, 16, v28
.LBB900_99:                             ;   in Loop: Header=BB900_17 Depth=1
	s_or_b64 exec, exec, s[10:11]
.LBB900_100:                            ;   in Loop: Header=BB900_17 Depth=1
	s_or_b64 exec, exec, s[6:7]
.LBB900_101:                            ;   in Loop: Header=BB900_17 Depth=1
	s_or_b64 exec, exec, s[4:5]
	v_lshrrev_b32_e32 v28, 16, v26
	v_cmp_ne_u16_sdwa s[6:7], v28, v35 src0_sel:BYTE_0 src1_sel:DWORD
	v_mov_b32_e32 v53, 0
	v_mov_b32_e32 v52, 0
	s_and_saveexec_b64 s[4:5], s[6:7]
	s_cbranch_execz .LBB900_107
; %bb.102:                              ;   in Loop: Header=BB900_17 Depth=1
	v_cmp_ne_u16_sdwa s[10:11], v28, s13 src0_sel:BYTE_0 src1_sel:DWORD
	v_mov_b32_e32 v52, 0xffff8000
	s_and_saveexec_b64 s[6:7], s[10:11]
	s_cbranch_execz .LBB900_106
; %bb.103:                              ;   in Loop: Header=BB900_17 Depth=1
	v_bfe_u32 v30, v26, 16, 7
	v_cmp_ne_u32_e32 vcc, s14, v30
	v_mov_b32_e32 v52, 0x7f80
	s_and_saveexec_b64 s[10:11], vcc
	s_cbranch_execz .LBB900_105
; %bb.104:                              ;   in Loop: Header=BB900_17 Depth=1
	v_and_b32_e32 v52, 7, v28
	v_ffbh_u32_e32 v54, v52
	v_min_u32_e32 v57, 32, v54
	v_subrev_u32_e32 v54, 28, v57
	v_lshlrev_b64 v[54:55], v54, v[28:29]
	v_lshrrev_b32_e32 v56, 3, v30
	v_sub_u32_e32 v55, 29, v57
	v_and_b32_e32 v54, 7, v54
	v_cmp_gt_u32_e32 vcc, 8, v30
	v_cndmask_b32_e32 v30, v56, v55, vcc
	v_cndmask_b32_e32 v52, v52, v54, vcc
	v_lshlrev_b32_e32 v28, 24, v28
	v_lshlrev_b32_e32 v52, 20, v52
	v_and_b32_e32 v28, 0x80000000, v28
	v_lshl_add_u32 v30, v30, 23, v38
	v_or3_b32 v28, v28, v30, v52
	v_lshrrev_b32_e32 v52, 16, v28
.LBB900_105:                            ;   in Loop: Header=BB900_17 Depth=1
	s_or_b64 exec, exec, s[10:11]
.LBB900_106:                            ;   in Loop: Header=BB900_17 Depth=1
	s_or_b64 exec, exec, s[6:7]
.LBB900_107:                            ;   in Loop: Header=BB900_17 Depth=1
	s_or_b64 exec, exec, s[4:5]
	v_cmp_lt_u32_e32 vcc, s15, v26
	s_and_saveexec_b64 s[4:5], vcc
	s_cbranch_execz .LBB900_113
; %bb.108:                              ;   in Loop: Header=BB900_17 Depth=1
	v_lshrrev_b32_e32 v28, 24, v26
	v_cmp_ne_u32_e32 vcc, s13, v28
	v_mov_b32_e32 v53, 0xffff8000
	s_and_saveexec_b64 s[6:7], vcc
	s_cbranch_execz .LBB900_112
; %bb.109:                              ;   in Loop: Header=BB900_17 Depth=1
	v_bfe_u32 v26, v26, 24, 7
	v_cmp_ne_u32_e32 vcc, s14, v26
	v_mov_b32_e32 v53, 0x7f80
	s_and_saveexec_b64 s[10:11], vcc
	s_cbranch_execz .LBB900_111
; %bb.110:                              ;   in Loop: Header=BB900_17 Depth=1
	v_and_b32_e32 v30, 7, v28
	v_ffbh_u32_e32 v54, v30
	v_min_u32_e32 v56, 32, v54
	v_subrev_u32_e32 v54, 28, v56
	v_lshlrev_b64 v[54:55], v54, v[28:29]
	v_lshrrev_b32_e32 v53, 3, v26
	v_sub_u32_e32 v55, 29, v56
	v_and_b32_e32 v54, 7, v54
	v_cmp_gt_u32_e32 vcc, 8, v26
	v_cndmask_b32_e32 v26, v53, v55, vcc
	v_cndmask_b32_e32 v30, v30, v54, vcc
	v_lshlrev_b32_e32 v28, 24, v28
	v_lshlrev_b32_e32 v30, 20, v30
	v_and_b32_e32 v28, 0x80000000, v28
	v_lshl_add_u32 v26, v26, 23, v38
	v_or3_b32 v26, v28, v26, v30
	v_lshrrev_b32_e32 v53, 16, v26
.LBB900_111:                            ;   in Loop: Header=BB900_17 Depth=1
	s_or_b64 exec, exec, s[10:11]
.LBB900_112:                            ;   in Loop: Header=BB900_17 Depth=1
	s_or_b64 exec, exec, s[6:7]
.LBB900_113:                            ;   in Loop: Header=BB900_17 Depth=1
	s_or_b64 exec, exec, s[4:5]
	v_perm_b32 v54, v23, v32, s16
	buffer_load_dword v32, v36, s[0:3], 0 offen offset:16
	buffer_load_dword v30, v36, s[0:3], 0 offen offset:20
	;; [unrolled: 1-line block ×4, first 2 shown]
	v_perm_b32 v55, v40, v34, s16
	v_perm_b32 v53, v53, v52, s16
	;; [unrolled: 1-line block ×3, first 2 shown]
	v_mfma_f32_16x16x16bf16_1k v[18:21], v[54:55], v[6:7], v[18:21]
	v_mov_b32_e32 v23, 0
	v_mov_b32_e32 v40, 0
	s_waitcnt vmcnt(3)
	v_cmp_ne_u16_sdwa s[6:7], v32, v35 src0_sel:BYTE_0 src1_sel:DWORD
	v_mfma_f32_16x16x16bf16_1k v[18:21], v[52:53], v[8:9], v[18:21]
	s_and_saveexec_b64 s[4:5], s[6:7]
	s_cbranch_execz .LBB900_119
; %bb.114:                              ;   in Loop: Header=BB900_17 Depth=1
	v_cmp_ne_u16_sdwa s[10:11], v32, s13 src0_sel:BYTE_0 src1_sel:DWORD
	v_mov_b32_e32 v40, 0xffff8000
	s_and_saveexec_b64 s[6:7], s[10:11]
	s_cbranch_execz .LBB900_118
; %bb.115:                              ;   in Loop: Header=BB900_17 Depth=1
	v_and_b32_e32 v34, 0x7f, v32
	v_cmp_ne_u32_e32 vcc, s14, v34
	v_mov_b32_e32 v40, 0x7f80
	s_and_saveexec_b64 s[10:11], vcc
	s_cbranch_execz .LBB900_117
; %bb.116:                              ;   in Loop: Header=BB900_17 Depth=1
	v_and_b32_e32 v40, 7, v32
	v_ffbh_u32_e32 v44, v40
	v_min_u32_e32 v44, 32, v44
	v_subrev_u32_e32 v52, 28, v44
	v_lshlrev_b64 v[52:53], v52, v[32:33]
	v_lshrrev_b32_e32 v42, 3, v34
	v_sub_u32_e32 v44, 29, v44
	v_and_b32_e32 v52, 7, v52
	v_cmp_gt_u32_e32 vcc, 8, v34
	v_cndmask_b32_e32 v34, v42, v44, vcc
	v_cndmask_b32_e32 v40, v40, v52, vcc
	v_lshlrev_b32_e32 v42, 24, v32
	v_lshlrev_b32_e32 v40, 20, v40
	v_and_b32_e32 v42, 0x80000000, v42
	v_lshl_add_u32 v34, v34, 23, v38
	v_or3_b32 v34, v42, v34, v40
	v_lshrrev_b32_e32 v40, 16, v34
.LBB900_117:                            ;   in Loop: Header=BB900_17 Depth=1
	s_or_b64 exec, exec, s[10:11]
.LBB900_118:                            ;   in Loop: Header=BB900_17 Depth=1
	s_or_b64 exec, exec, s[6:7]
.LBB900_119:                            ;   in Loop: Header=BB900_17 Depth=1
	s_or_b64 exec, exec, s[4:5]
	v_lshrrev_b16_e32 v34, 8, v32
	v_cmp_ne_u16_e32 vcc, 0, v34
	s_and_saveexec_b64 s[4:5], vcc
	s_cbranch_execz .LBB900_125
; %bb.120:                              ;   in Loop: Header=BB900_17 Depth=1
	v_cmp_ne_u16_e32 vcc, s13, v34
	v_mov_b32_e32 v23, 0xffff8000
	s_and_saveexec_b64 s[6:7], vcc
	s_cbranch_execz .LBB900_124
; %bb.121:                              ;   in Loop: Header=BB900_17 Depth=1
	v_and_b32_e32 v42, 0x7f, v34
	v_cmp_ne_u32_e32 vcc, s14, v42
	v_mov_b32_e32 v23, 0x7f80
	s_and_saveexec_b64 s[10:11], vcc
	s_cbranch_execz .LBB900_123
; %bb.122:                              ;   in Loop: Header=BB900_17 Depth=1
	v_and_b32_e32 v23, 7, v34
	v_ffbh_u32_e32 v52, v23
	v_min_u32_e32 v54, 32, v52
	v_subrev_u32_e32 v52, 28, v54
	v_lshlrev_b64 v[52:53], v52, v[34:35]
	v_lshrrev_b32_e32 v44, 3, v42
	v_sub_u32_e32 v34, 29, v54
	v_and_b32_e32 v52, 7, v52
	v_cmp_gt_u32_e32 vcc, 8, v42
	v_cndmask_b32_e32 v34, v44, v34, vcc
	v_cndmask_b32_e32 v23, v23, v52, vcc
	v_lshlrev_b32_e32 v42, 16, v32
	v_lshlrev_b32_e32 v23, 20, v23
	v_and_b32_e32 v42, 0x80000000, v42
	v_lshl_add_u32 v34, v34, 23, v38
	v_or3_b32 v23, v42, v34, v23
	v_lshrrev_b32_e32 v23, 16, v23
.LBB900_123:                            ;   in Loop: Header=BB900_17 Depth=1
	s_or_b64 exec, exec, s[10:11]
.LBB900_124:                            ;   in Loop: Header=BB900_17 Depth=1
	s_or_b64 exec, exec, s[6:7]
.LBB900_125:                            ;   in Loop: Header=BB900_17 Depth=1
	s_or_b64 exec, exec, s[4:5]
	v_lshrrev_b32_e32 v34, 16, v32
	v_cmp_ne_u16_sdwa s[6:7], v34, v35 src0_sel:BYTE_0 src1_sel:DWORD
	v_mov_b32_e32 v44, 0
	v_mov_b32_e32 v42, 0
	s_and_saveexec_b64 s[4:5], s[6:7]
	s_cbranch_execz .LBB900_131
; %bb.126:                              ;   in Loop: Header=BB900_17 Depth=1
	v_cmp_ne_u16_sdwa s[10:11], v34, s13 src0_sel:BYTE_0 src1_sel:DWORD
	v_mov_b32_e32 v42, 0xffff8000
	s_and_saveexec_b64 s[6:7], s[10:11]
	s_cbranch_execz .LBB900_130
; %bb.127:                              ;   in Loop: Header=BB900_17 Depth=1
	v_bfe_u32 v52, v32, 16, 7
	v_cmp_ne_u32_e32 vcc, s14, v52
	v_mov_b32_e32 v42, 0x7f80
	s_and_saveexec_b64 s[10:11], vcc
	s_cbranch_execz .LBB900_129
; %bb.128:                              ;   in Loop: Header=BB900_17 Depth=1
	v_and_b32_e32 v42, 7, v34
	v_ffbh_u32_e32 v54, v42
	v_min_u32_e32 v56, 32, v54
	v_subrev_u32_e32 v54, 28, v56
	v_lshlrev_b64 v[54:55], v54, v[34:35]
	v_lshrrev_b32_e32 v53, 3, v52
	v_sub_u32_e32 v55, 29, v56
	v_and_b32_e32 v54, 7, v54
	v_cmp_gt_u32_e32 vcc, 8, v52
	v_cndmask_b32_e32 v52, v53, v55, vcc
	v_cndmask_b32_e32 v42, v42, v54, vcc
	v_lshlrev_b32_e32 v34, 24, v34
	v_lshlrev_b32_e32 v42, 20, v42
	v_and_b32_e32 v34, 0x80000000, v34
	v_lshl_add_u32 v52, v52, 23, v38
	v_or3_b32 v34, v34, v52, v42
	v_lshrrev_b32_e32 v42, 16, v34
.LBB900_129:                            ;   in Loop: Header=BB900_17 Depth=1
	s_or_b64 exec, exec, s[10:11]
.LBB900_130:                            ;   in Loop: Header=BB900_17 Depth=1
	s_or_b64 exec, exec, s[6:7]
.LBB900_131:                            ;   in Loop: Header=BB900_17 Depth=1
	s_or_b64 exec, exec, s[4:5]
	v_cmp_lt_u32_e32 vcc, s15, v32
	s_and_saveexec_b64 s[4:5], vcc
	s_cbranch_execz .LBB900_137
; %bb.132:                              ;   in Loop: Header=BB900_17 Depth=1
	v_lshrrev_b32_e32 v34, 24, v32
	v_cmp_ne_u32_e32 vcc, s13, v34
	v_mov_b32_e32 v44, 0xffff8000
	s_and_saveexec_b64 s[6:7], vcc
	s_cbranch_execz .LBB900_136
; %bb.133:                              ;   in Loop: Header=BB900_17 Depth=1
	v_bfe_u32 v32, v32, 24, 7
	v_cmp_ne_u32_e32 vcc, s14, v32
	v_mov_b32_e32 v44, 0x7f80
	s_and_saveexec_b64 s[10:11], vcc
	s_cbranch_execz .LBB900_135
; %bb.134:                              ;   in Loop: Header=BB900_17 Depth=1
	v_and_b32_e32 v44, 7, v34
	v_ffbh_u32_e32 v52, v44
	v_min_u32_e32 v55, 32, v52
	v_subrev_u32_e32 v52, 28, v55
	v_lshlrev_b64 v[52:53], v52, v[34:35]
	v_lshrrev_b32_e32 v54, 3, v32
	v_sub_u32_e32 v53, 29, v55
	v_and_b32_e32 v52, 7, v52
	v_cmp_gt_u32_e32 vcc, 8, v32
	v_cndmask_b32_e32 v32, v54, v53, vcc
	v_cndmask_b32_e32 v44, v44, v52, vcc
	v_lshlrev_b32_e32 v34, 24, v34
	v_lshlrev_b32_e32 v44, 20, v44
	v_and_b32_e32 v34, 0x80000000, v34
	v_lshl_add_u32 v32, v32, 23, v38
	v_or3_b32 v32, v34, v32, v44
	v_lshrrev_b32_e32 v44, 16, v32
.LBB900_135:                            ;   in Loop: Header=BB900_17 Depth=1
	s_or_b64 exec, exec, s[10:11]
.LBB900_136:                            ;   in Loop: Header=BB900_17 Depth=1
	s_or_b64 exec, exec, s[6:7]
.LBB900_137:                            ;   in Loop: Header=BB900_17 Depth=1
	s_or_b64 exec, exec, s[4:5]
	s_waitcnt vmcnt(2)
	v_cmp_ne_u16_sdwa s[6:7], v30, v35 src0_sel:BYTE_0 src1_sel:DWORD
	v_mov_b32_e32 v34, 0
	v_mov_b32_e32 v52, 0
	s_and_saveexec_b64 s[4:5], s[6:7]
	s_cbranch_execz .LBB900_143
; %bb.138:                              ;   in Loop: Header=BB900_17 Depth=1
	v_cmp_ne_u16_sdwa s[10:11], v30, s13 src0_sel:BYTE_0 src1_sel:DWORD
	v_mov_b32_e32 v52, 0xffff8000
	s_and_saveexec_b64 s[6:7], s[10:11]
	s_cbranch_execz .LBB900_142
; %bb.139:                              ;   in Loop: Header=BB900_17 Depth=1
	v_and_b32_e32 v32, 0x7f, v30
	v_cmp_ne_u32_e32 vcc, s14, v32
	v_mov_b32_e32 v52, 0x7f80
	s_and_saveexec_b64 s[10:11], vcc
	s_cbranch_execz .LBB900_141
; %bb.140:                              ;   in Loop: Header=BB900_17 Depth=1
	v_and_b32_e32 v54, 7, v30
	v_ffbh_u32_e32 v52, v54
	v_min_u32_e32 v56, 32, v52
	v_subrev_u32_e32 v52, 28, v56
	v_lshlrev_b64 v[52:53], v52, v[30:31]
	v_lshrrev_b32_e32 v55, 3, v32
	v_sub_u32_e32 v53, 29, v56
	v_and_b32_e32 v52, 7, v52
	v_cmp_gt_u32_e32 vcc, 8, v32
	v_cndmask_b32_e32 v32, v55, v53, vcc
	v_cndmask_b32_e32 v52, v54, v52, vcc
	v_lshlrev_b32_e32 v53, 24, v30
	v_lshlrev_b32_e32 v52, 20, v52
	v_and_b32_e32 v53, 0x80000000, v53
	v_lshl_add_u32 v32, v32, 23, v38
	v_or3_b32 v32, v53, v32, v52
	v_lshrrev_b32_e32 v52, 16, v32
.LBB900_141:                            ;   in Loop: Header=BB900_17 Depth=1
	s_or_b64 exec, exec, s[10:11]
.LBB900_142:                            ;   in Loop: Header=BB900_17 Depth=1
	s_or_b64 exec, exec, s[6:7]
.LBB900_143:                            ;   in Loop: Header=BB900_17 Depth=1
	s_or_b64 exec, exec, s[4:5]
	v_lshrrev_b16_e32 v32, 8, v30
	v_cmp_ne_u16_e32 vcc, 0, v32
	s_and_saveexec_b64 s[4:5], vcc
	s_cbranch_execz .LBB900_149
; %bb.144:                              ;   in Loop: Header=BB900_17 Depth=1
	v_cmp_ne_u16_e32 vcc, s13, v32
	v_mov_b32_e32 v34, 0xffff8000
	s_and_saveexec_b64 s[6:7], vcc
	s_cbranch_execz .LBB900_148
; %bb.145:                              ;   in Loop: Header=BB900_17 Depth=1
	v_and_b32_e32 v53, 0x7f, v32
	v_cmp_ne_u32_e32 vcc, s14, v53
	v_mov_b32_e32 v34, 0x7f80
	s_and_saveexec_b64 s[10:11], vcc
	s_cbranch_execz .LBB900_147
; %bb.146:                              ;   in Loop: Header=BB900_17 Depth=1
	v_and_b32_e32 v34, 7, v32
	v_ffbh_u32_e32 v54, v34
	v_min_u32_e32 v57, 32, v54
	v_subrev_u32_e32 v54, 28, v57
	v_lshlrev_b64 v[54:55], v54, v[32:33]
	v_lshrrev_b32_e32 v56, 3, v53
	v_sub_u32_e32 v32, 29, v57
	v_and_b32_e32 v54, 7, v54
	v_cmp_gt_u32_e32 vcc, 8, v53
	v_cndmask_b32_e32 v32, v56, v32, vcc
	v_cndmask_b32_e32 v34, v34, v54, vcc
	v_lshlrev_b32_e32 v53, 16, v30
	v_lshlrev_b32_e32 v34, 20, v34
	v_and_b32_e32 v53, 0x80000000, v53
	v_lshl_add_u32 v32, v32, 23, v38
	v_or3_b32 v32, v53, v32, v34
	v_lshrrev_b32_e32 v34, 16, v32
.LBB900_147:                            ;   in Loop: Header=BB900_17 Depth=1
	s_or_b64 exec, exec, s[10:11]
.LBB900_148:                            ;   in Loop: Header=BB900_17 Depth=1
	s_or_b64 exec, exec, s[6:7]
.LBB900_149:                            ;   in Loop: Header=BB900_17 Depth=1
	s_or_b64 exec, exec, s[4:5]
	v_lshrrev_b32_e32 v32, 16, v30
	v_cmp_ne_u16_sdwa s[6:7], v32, v35 src0_sel:BYTE_0 src1_sel:DWORD
	v_mov_b32_e32 v54, 0
	v_mov_b32_e32 v53, 0
	s_and_saveexec_b64 s[4:5], s[6:7]
	s_cbranch_execz .LBB900_155
; %bb.150:                              ;   in Loop: Header=BB900_17 Depth=1
	v_cmp_ne_u16_sdwa s[10:11], v32, s13 src0_sel:BYTE_0 src1_sel:DWORD
	v_mov_b32_e32 v53, 0xffff8000
	s_and_saveexec_b64 s[6:7], s[10:11]
	s_cbranch_execz .LBB900_154
; %bb.151:                              ;   in Loop: Header=BB900_17 Depth=1
	v_bfe_u32 v55, v30, 16, 7
	v_cmp_ne_u32_e32 vcc, s14, v55
	v_mov_b32_e32 v53, 0x7f80
	s_and_saveexec_b64 s[10:11], vcc
	s_cbranch_execz .LBB900_153
; %bb.152:                              ;   in Loop: Header=BB900_17 Depth=1
	v_and_b32_e32 v53, 7, v32
	v_ffbh_u32_e32 v56, v53
	v_min_u32_e32 v59, 32, v56
	v_subrev_u32_e32 v56, 28, v59
	v_lshlrev_b64 v[56:57], v56, v[32:33]
	v_lshrrev_b32_e32 v58, 3, v55
	v_sub_u32_e32 v57, 29, v59
	v_and_b32_e32 v56, 7, v56
	v_cmp_gt_u32_e32 vcc, 8, v55
	v_cndmask_b32_e32 v55, v58, v57, vcc
	v_cndmask_b32_e32 v53, v53, v56, vcc
	v_lshlrev_b32_e32 v32, 24, v32
	v_lshlrev_b32_e32 v53, 20, v53
	v_and_b32_e32 v32, 0x80000000, v32
	v_lshl_add_u32 v55, v55, 23, v38
	v_or3_b32 v32, v32, v55, v53
	v_lshrrev_b32_e32 v53, 16, v32
.LBB900_153:                            ;   in Loop: Header=BB900_17 Depth=1
	s_or_b64 exec, exec, s[10:11]
.LBB900_154:                            ;   in Loop: Header=BB900_17 Depth=1
	s_or_b64 exec, exec, s[6:7]
.LBB900_155:                            ;   in Loop: Header=BB900_17 Depth=1
	s_or_b64 exec, exec, s[4:5]
	v_cmp_lt_u32_e32 vcc, s15, v30
	s_and_saveexec_b64 s[4:5], vcc
	s_cbranch_execz .LBB900_161
; %bb.156:                              ;   in Loop: Header=BB900_17 Depth=1
	v_lshrrev_b32_e32 v32, 24, v30
	v_cmp_ne_u32_e32 vcc, s13, v32
	v_mov_b32_e32 v54, 0xffff8000
	s_and_saveexec_b64 s[6:7], vcc
	s_cbranch_execz .LBB900_160
; %bb.157:                              ;   in Loop: Header=BB900_17 Depth=1
	v_bfe_u32 v30, v30, 24, 7
	v_cmp_ne_u32_e32 vcc, s14, v30
	v_mov_b32_e32 v54, 0x7f80
	s_and_saveexec_b64 s[10:11], vcc
	s_cbranch_execz .LBB900_159
; %bb.158:                              ;   in Loop: Header=BB900_17 Depth=1
	v_and_b32_e32 v56, 7, v32
	v_ffbh_u32_e32 v54, v56
	v_min_u32_e32 v58, 32, v54
	v_subrev_u32_e32 v54, 28, v58
	v_lshlrev_b64 v[54:55], v54, v[32:33]
	v_lshrrev_b32_e32 v57, 3, v30
	v_sub_u32_e32 v55, 29, v58
	v_and_b32_e32 v54, 7, v54
	v_cmp_gt_u32_e32 vcc, 8, v30
	v_cndmask_b32_e32 v30, v57, v55, vcc
	v_cndmask_b32_e32 v54, v56, v54, vcc
	v_lshlrev_b32_e32 v32, 24, v32
	v_lshlrev_b32_e32 v54, 20, v54
	v_and_b32_e32 v32, 0x80000000, v32
	v_lshl_add_u32 v30, v30, 23, v38
	v_or3_b32 v30, v32, v30, v54
	v_lshrrev_b32_e32 v54, 16, v30
.LBB900_159:                            ;   in Loop: Header=BB900_17 Depth=1
	s_or_b64 exec, exec, s[10:11]
.LBB900_160:                            ;   in Loop: Header=BB900_17 Depth=1
	s_or_b64 exec, exec, s[6:7]
.LBB900_161:                            ;   in Loop: Header=BB900_17 Depth=1
	s_or_b64 exec, exec, s[4:5]
	v_perm_b32 v57, v44, v42, s16
	v_perm_b32 v56, v23, v40, s16
	;; [unrolled: 1-line block ×4, first 2 shown]
	s_waitcnt vmcnt(1)
	v_cmp_ne_u16_sdwa s[6:7], v28, v35 src0_sel:BYTE_0 src1_sel:DWORD
	v_mfma_f32_16x16x16bf16_1k v[18:21], v[56:57], v[10:11], v[18:21]
	v_mov_b32_e32 v23, 0
	v_mov_b32_e32 v32, 0
	v_mfma_f32_16x16x16bf16_1k v[18:21], v[52:53], v[12:13], v[18:21]
	s_and_saveexec_b64 s[4:5], s[6:7]
	s_cbranch_execz .LBB900_167
; %bb.162:                              ;   in Loop: Header=BB900_17 Depth=1
	v_cmp_ne_u16_sdwa s[10:11], v28, s13 src0_sel:BYTE_0 src1_sel:DWORD
	v_mov_b32_e32 v32, 0xffff8000
	s_and_saveexec_b64 s[6:7], s[10:11]
	s_cbranch_execz .LBB900_166
; %bb.163:                              ;   in Loop: Header=BB900_17 Depth=1
	v_and_b32_e32 v30, 0x7f, v28
	v_cmp_ne_u32_e32 vcc, s14, v30
	v_mov_b32_e32 v32, 0x7f80
	s_and_saveexec_b64 s[10:11], vcc
	s_cbranch_execz .LBB900_165
; %bb.164:                              ;   in Loop: Header=BB900_17 Depth=1
	v_and_b32_e32 v32, 7, v28
	v_ffbh_u32_e32 v40, v32
	v_min_u32_e32 v40, 32, v40
	v_subrev_u32_e32 v42, 28, v40
	v_lshlrev_b64 v[52:53], v42, v[28:29]
	v_lshrrev_b32_e32 v34, 3, v30
	v_sub_u32_e32 v40, 29, v40
	v_and_b32_e32 v42, 7, v52
	v_cmp_gt_u32_e32 vcc, 8, v30
	v_cndmask_b32_e32 v30, v34, v40, vcc
	v_cndmask_b32_e32 v32, v32, v42, vcc
	v_lshlrev_b32_e32 v34, 24, v28
	v_lshlrev_b32_e32 v32, 20, v32
	v_and_b32_e32 v34, 0x80000000, v34
	v_lshl_add_u32 v30, v30, 23, v38
	v_or3_b32 v30, v34, v30, v32
	v_lshrrev_b32_e32 v32, 16, v30
.LBB900_165:                            ;   in Loop: Header=BB900_17 Depth=1
	s_or_b64 exec, exec, s[10:11]
.LBB900_166:                            ;   in Loop: Header=BB900_17 Depth=1
	s_or_b64 exec, exec, s[6:7]
.LBB900_167:                            ;   in Loop: Header=BB900_17 Depth=1
	s_or_b64 exec, exec, s[4:5]
	v_lshrrev_b16_e32 v30, 8, v28
	v_cmp_ne_u16_e32 vcc, 0, v30
	s_and_saveexec_b64 s[4:5], vcc
	s_cbranch_execz .LBB900_173
; %bb.168:                              ;   in Loop: Header=BB900_17 Depth=1
	v_cmp_ne_u16_e32 vcc, s13, v30
	v_mov_b32_e32 v23, 0xffff8000
	s_and_saveexec_b64 s[6:7], vcc
	s_cbranch_execz .LBB900_172
; %bb.169:                              ;   in Loop: Header=BB900_17 Depth=1
	v_and_b32_e32 v34, 0x7f, v30
	v_cmp_ne_u32_e32 vcc, s14, v34
	v_mov_b32_e32 v23, 0x7f80
	s_and_saveexec_b64 s[10:11], vcc
	s_cbranch_execz .LBB900_171
; %bb.170:                              ;   in Loop: Header=BB900_17 Depth=1
	v_and_b32_e32 v23, 7, v30
	v_ffbh_u32_e32 v42, v23
	v_min_u32_e32 v42, 32, v42
	v_subrev_u32_e32 v44, 28, v42
	v_lshlrev_b64 v[52:53], v44, v[30:31]
	v_lshrrev_b32_e32 v40, 3, v34
	v_sub_u32_e32 v30, 29, v42
	v_and_b32_e32 v42, 7, v52
	v_cmp_gt_u32_e32 vcc, 8, v34
	v_cndmask_b32_e32 v30, v40, v30, vcc
	v_cndmask_b32_e32 v23, v23, v42, vcc
	v_lshlrev_b32_e32 v34, 16, v28
	v_lshlrev_b32_e32 v23, 20, v23
	v_and_b32_e32 v34, 0x80000000, v34
	v_lshl_add_u32 v30, v30, 23, v38
	v_or3_b32 v23, v34, v30, v23
	v_lshrrev_b32_e32 v23, 16, v23
.LBB900_171:                            ;   in Loop: Header=BB900_17 Depth=1
	s_or_b64 exec, exec, s[10:11]
.LBB900_172:                            ;   in Loop: Header=BB900_17 Depth=1
	s_or_b64 exec, exec, s[6:7]
.LBB900_173:                            ;   in Loop: Header=BB900_17 Depth=1
	s_or_b64 exec, exec, s[4:5]
	v_lshrrev_b32_e32 v30, 16, v28
	v_cmp_ne_u16_sdwa s[6:7], v30, v35 src0_sel:BYTE_0 src1_sel:DWORD
	v_mov_b32_e32 v40, 0
	v_mov_b32_e32 v34, 0
	s_and_saveexec_b64 s[4:5], s[6:7]
	s_cbranch_execz .LBB900_179
; %bb.174:                              ;   in Loop: Header=BB900_17 Depth=1
	v_cmp_ne_u16_sdwa s[10:11], v30, s13 src0_sel:BYTE_0 src1_sel:DWORD
	v_mov_b32_e32 v34, 0xffff8000
	s_and_saveexec_b64 s[6:7], s[10:11]
	s_cbranch_execz .LBB900_178
; %bb.175:                              ;   in Loop: Header=BB900_17 Depth=1
	v_bfe_u32 v42, v28, 16, 7
	v_cmp_ne_u32_e32 vcc, s14, v42
	v_mov_b32_e32 v34, 0x7f80
	s_and_saveexec_b64 s[10:11], vcc
	s_cbranch_execz .LBB900_177
; %bb.176:                              ;   in Loop: Header=BB900_17 Depth=1
	v_and_b32_e32 v34, 7, v30
	v_ffbh_u32_e32 v52, v34
	v_min_u32_e32 v54, 32, v52
	v_subrev_u32_e32 v52, 28, v54
	v_lshlrev_b64 v[52:53], v52, v[30:31]
	v_lshrrev_b32_e32 v44, 3, v42
	v_sub_u32_e32 v53, 29, v54
	v_and_b32_e32 v52, 7, v52
	v_cmp_gt_u32_e32 vcc, 8, v42
	v_cndmask_b32_e32 v42, v44, v53, vcc
	v_cndmask_b32_e32 v34, v34, v52, vcc
	v_lshlrev_b32_e32 v30, 24, v30
	v_lshlrev_b32_e32 v34, 20, v34
	v_and_b32_e32 v30, 0x80000000, v30
	v_lshl_add_u32 v42, v42, 23, v38
	v_or3_b32 v30, v30, v42, v34
	v_lshrrev_b32_e32 v34, 16, v30
.LBB900_177:                            ;   in Loop: Header=BB900_17 Depth=1
	s_or_b64 exec, exec, s[10:11]
.LBB900_178:                            ;   in Loop: Header=BB900_17 Depth=1
	s_or_b64 exec, exec, s[6:7]
.LBB900_179:                            ;   in Loop: Header=BB900_17 Depth=1
	s_or_b64 exec, exec, s[4:5]
	v_cmp_lt_u32_e32 vcc, s15, v28
	s_and_saveexec_b64 s[4:5], vcc
	s_cbranch_execz .LBB900_185
; %bb.180:                              ;   in Loop: Header=BB900_17 Depth=1
	v_lshrrev_b32_e32 v30, 24, v28
	v_cmp_ne_u32_e32 vcc, s13, v30
	v_mov_b32_e32 v40, 0xffff8000
	s_and_saveexec_b64 s[6:7], vcc
	s_cbranch_execz .LBB900_184
; %bb.181:                              ;   in Loop: Header=BB900_17 Depth=1
	v_bfe_u32 v28, v28, 24, 7
	v_cmp_ne_u32_e32 vcc, s14, v28
	v_mov_b32_e32 v40, 0x7f80
	s_and_saveexec_b64 s[10:11], vcc
	s_cbranch_execz .LBB900_183
; %bb.182:                              ;   in Loop: Header=BB900_17 Depth=1
	v_and_b32_e32 v40, 7, v30
	v_ffbh_u32_e32 v44, v40
	v_min_u32_e32 v44, 32, v44
	v_subrev_u32_e32 v52, 28, v44
	v_lshlrev_b64 v[52:53], v52, v[30:31]
	v_lshrrev_b32_e32 v42, 3, v28
	v_sub_u32_e32 v44, 29, v44
	v_and_b32_e32 v52, 7, v52
	v_cmp_gt_u32_e32 vcc, 8, v28
	v_cndmask_b32_e32 v28, v42, v44, vcc
	v_cndmask_b32_e32 v40, v40, v52, vcc
	v_lshlrev_b32_e32 v30, 24, v30
	v_lshlrev_b32_e32 v40, 20, v40
	v_and_b32_e32 v30, 0x80000000, v30
	v_lshl_add_u32 v28, v28, 23, v38
	v_or3_b32 v28, v30, v28, v40
	v_lshrrev_b32_e32 v40, 16, v28
.LBB900_183:                            ;   in Loop: Header=BB900_17 Depth=1
	s_or_b64 exec, exec, s[10:11]
.LBB900_184:                            ;   in Loop: Header=BB900_17 Depth=1
	s_or_b64 exec, exec, s[6:7]
.LBB900_185:                            ;   in Loop: Header=BB900_17 Depth=1
	s_or_b64 exec, exec, s[4:5]
	s_waitcnt vmcnt(0)
	v_cmp_ne_u16_sdwa s[6:7], v26, v35 src0_sel:BYTE_0 src1_sel:DWORD
	v_mov_b32_e32 v30, 0
	v_mov_b32_e32 v42, 0
	s_and_saveexec_b64 s[4:5], s[6:7]
	s_cbranch_execz .LBB900_191
; %bb.186:                              ;   in Loop: Header=BB900_17 Depth=1
	v_cmp_ne_u16_sdwa s[10:11], v26, s13 src0_sel:BYTE_0 src1_sel:DWORD
	v_mov_b32_e32 v42, 0xffff8000
	s_and_saveexec_b64 s[6:7], s[10:11]
	s_cbranch_execz .LBB900_190
; %bb.187:                              ;   in Loop: Header=BB900_17 Depth=1
	v_and_b32_e32 v28, 0x7f, v26
	v_cmp_ne_u32_e32 vcc, s14, v28
	v_mov_b32_e32 v42, 0x7f80
	s_and_saveexec_b64 s[10:11], vcc
	s_cbranch_execz .LBB900_189
; %bb.188:                              ;   in Loop: Header=BB900_17 Depth=1
	v_and_b32_e32 v42, 7, v26
	v_ffbh_u32_e32 v52, v42
	v_min_u32_e32 v54, 32, v52
	v_subrev_u32_e32 v52, 28, v54
	v_lshlrev_b64 v[52:53], v52, v[26:27]
	v_lshrrev_b32_e32 v44, 3, v28
	v_sub_u32_e32 v53, 29, v54
	v_and_b32_e32 v52, 7, v52
	v_cmp_gt_u32_e32 vcc, 8, v28
	v_cndmask_b32_e32 v28, v44, v53, vcc
	v_cndmask_b32_e32 v42, v42, v52, vcc
	v_lshlrev_b32_e32 v44, 24, v26
	v_lshlrev_b32_e32 v42, 20, v42
	v_and_b32_e32 v44, 0x80000000, v44
	v_lshl_add_u32 v28, v28, 23, v38
	v_or3_b32 v28, v44, v28, v42
	v_lshrrev_b32_e32 v42, 16, v28
.LBB900_189:                            ;   in Loop: Header=BB900_17 Depth=1
	s_or_b64 exec, exec, s[10:11]
.LBB900_190:                            ;   in Loop: Header=BB900_17 Depth=1
	s_or_b64 exec, exec, s[6:7]
.LBB900_191:                            ;   in Loop: Header=BB900_17 Depth=1
	s_or_b64 exec, exec, s[4:5]
	v_lshrrev_b16_e32 v28, 8, v26
	v_cmp_ne_u16_e32 vcc, 0, v28
	s_and_saveexec_b64 s[4:5], vcc
	s_cbranch_execz .LBB900_197
; %bb.192:                              ;   in Loop: Header=BB900_17 Depth=1
	v_cmp_ne_u16_e32 vcc, s13, v28
	v_mov_b32_e32 v30, 0xffff8000
	s_and_saveexec_b64 s[6:7], vcc
	s_cbranch_execz .LBB900_196
; %bb.193:                              ;   in Loop: Header=BB900_17 Depth=1
	v_and_b32_e32 v44, 0x7f, v28
	v_cmp_ne_u32_e32 vcc, s14, v44
	v_mov_b32_e32 v30, 0x7f80
	s_and_saveexec_b64 s[10:11], vcc
	s_cbranch_execz .LBB900_195
; %bb.194:                              ;   in Loop: Header=BB900_17 Depth=1
	v_and_b32_e32 v30, 7, v28
	v_ffbh_u32_e32 v52, v30
	v_min_u32_e32 v55, 32, v52
	v_subrev_u32_e32 v52, 28, v55
	v_lshlrev_b64 v[52:53], v52, v[28:29]
	v_lshrrev_b32_e32 v54, 3, v44
	v_sub_u32_e32 v28, 29, v55
	v_and_b32_e32 v52, 7, v52
	v_cmp_gt_u32_e32 vcc, 8, v44
	v_cndmask_b32_e32 v28, v54, v28, vcc
	v_cndmask_b32_e32 v30, v30, v52, vcc
	v_lshlrev_b32_e32 v44, 16, v26
	v_lshlrev_b32_e32 v30, 20, v30
	v_and_b32_e32 v44, 0x80000000, v44
	v_lshl_add_u32 v28, v28, 23, v38
	v_or3_b32 v28, v44, v28, v30
	v_lshrrev_b32_e32 v30, 16, v28
.LBB900_195:                            ;   in Loop: Header=BB900_17 Depth=1
	s_or_b64 exec, exec, s[10:11]
.LBB900_196:                            ;   in Loop: Header=BB900_17 Depth=1
	s_or_b64 exec, exec, s[6:7]
.LBB900_197:                            ;   in Loop: Header=BB900_17 Depth=1
	s_or_b64 exec, exec, s[4:5]
	v_lshrrev_b32_e32 v28, 16, v26
	v_cmp_ne_u16_sdwa s[6:7], v28, v35 src0_sel:BYTE_0 src1_sel:DWORD
	v_mov_b32_e32 v52, 0
	v_mov_b32_e32 v44, 0
	s_and_saveexec_b64 s[4:5], s[6:7]
	s_cbranch_execz .LBB900_203
; %bb.198:                              ;   in Loop: Header=BB900_17 Depth=1
	v_cmp_ne_u16_sdwa s[10:11], v28, s13 src0_sel:BYTE_0 src1_sel:DWORD
	v_mov_b32_e32 v44, 0xffff8000
	s_and_saveexec_b64 s[6:7], s[10:11]
	s_cbranch_execz .LBB900_202
; %bb.199:                              ;   in Loop: Header=BB900_17 Depth=1
	v_bfe_u32 v53, v26, 16, 7
	v_cmp_ne_u32_e32 vcc, s14, v53
	v_mov_b32_e32 v44, 0x7f80
	s_and_saveexec_b64 s[10:11], vcc
	s_cbranch_execz .LBB900_201
; %bb.200:                              ;   in Loop: Header=BB900_17 Depth=1
	v_and_b32_e32 v44, 7, v28
	v_ffbh_u32_e32 v54, v44
	v_min_u32_e32 v57, 32, v54
	v_subrev_u32_e32 v54, 28, v57
	v_lshlrev_b64 v[54:55], v54, v[28:29]
	v_lshrrev_b32_e32 v56, 3, v53
	v_sub_u32_e32 v55, 29, v57
	v_and_b32_e32 v54, 7, v54
	v_cmp_gt_u32_e32 vcc, 8, v53
	v_cndmask_b32_e32 v53, v56, v55, vcc
	v_cndmask_b32_e32 v44, v44, v54, vcc
	v_lshlrev_b32_e32 v28, 24, v28
	v_lshlrev_b32_e32 v44, 20, v44
	v_and_b32_e32 v28, 0x80000000, v28
	v_lshl_add_u32 v53, v53, 23, v38
	v_or3_b32 v28, v28, v53, v44
	v_lshrrev_b32_e32 v44, 16, v28
.LBB900_201:                            ;   in Loop: Header=BB900_17 Depth=1
	s_or_b64 exec, exec, s[10:11]
.LBB900_202:                            ;   in Loop: Header=BB900_17 Depth=1
	s_or_b64 exec, exec, s[6:7]
.LBB900_203:                            ;   in Loop: Header=BB900_17 Depth=1
	s_or_b64 exec, exec, s[4:5]
	v_cmp_lt_u32_e32 vcc, s15, v26
	s_and_saveexec_b64 s[4:5], vcc
	s_cbranch_execz .LBB900_16
; %bb.204:                              ;   in Loop: Header=BB900_17 Depth=1
	v_lshrrev_b32_e32 v28, 24, v26
	v_cmp_ne_u32_e32 vcc, s13, v28
	v_mov_b32_e32 v52, 0xffff8000
	s_and_saveexec_b64 s[6:7], vcc
	s_cbranch_execz .LBB900_15
; %bb.205:                              ;   in Loop: Header=BB900_17 Depth=1
	v_bfe_u32 v26, v26, 24, 7
	v_cmp_ne_u32_e32 vcc, s14, v26
	v_mov_b32_e32 v52, 0x7f80
	s_and_saveexec_b64 s[10:11], vcc
	s_cbranch_execz .LBB900_14
; %bb.206:                              ;   in Loop: Header=BB900_17 Depth=1
	v_and_b32_e32 v54, 7, v28
	v_ffbh_u32_e32 v52, v54
	v_min_u32_e32 v56, 32, v52
	v_subrev_u32_e32 v52, 28, v56
	v_lshlrev_b64 v[52:53], v52, v[28:29]
	v_lshrrev_b32_e32 v55, 3, v26
	v_sub_u32_e32 v53, 29, v56
	v_and_b32_e32 v52, 7, v52
	v_cmp_gt_u32_e32 vcc, 8, v26
	v_cndmask_b32_e32 v26, v55, v53, vcc
	v_cndmask_b32_e32 v52, v54, v52, vcc
	v_lshlrev_b32_e32 v28, 24, v28
	v_lshlrev_b32_e32 v52, 20, v52
	v_and_b32_e32 v28, 0x80000000, v28
	v_lshl_add_u32 v26, v26, 23, v38
	v_or3_b32 v26, v28, v26, v52
	v_lshrrev_b32_e32 v52, 16, v26
	s_branch .LBB900_14
.LBB900_207:
	buffer_load_dword v17, off, s[0:3], 0 offset:256
	buffer_load_dword v16, off, s[0:3], 0 offset:260
	;; [unrolled: 1-line block ×16, first 2 shown]
	v_and_b32_e32 v18, 0xc0, v0
	v_add_u32_e32 v18, s20, v18
	v_lshl_or_b32 v18, v1, 2, v18
	v_or_b32_e32 v20, 1, v18
	v_subrev_u32_e32 v24, s33, v20
	v_add_u32_e32 v26, 1, v24
	v_cvt_f32_i32_e32 v25, v24
	v_add_u32_e32 v28, 2, v24
	v_add_u32_e32 v30, 3, v24
	;; [unrolled: 1-line block ×14, first 2 shown]
	v_cvt_f32_i32_e32 v26, v26
	v_cvt_f32_i32_e32 v28, v28
	;; [unrolled: 1-line block ×4, first 2 shown]
	v_mov_b32_e32 v19, 0xff7fffff
	v_or_b32_e32 v21, 2, v18
	v_or_b32_e32 v22, 3, v18
	v_cvt_f32_i32_e32 v32, v32
	v_cvt_f32_i32_e32 v34, v34
	v_cmp_gt_i32_e64 s[28:29], s33, v18
	v_cmp_gt_i32_e64 s[30:31], s33, v20
	s_mov_b32 s52, 0xff7fffff
	v_cmp_gt_i32_e64 s[34:35], s33, v21
	v_cmp_gt_i32_e64 s[36:37], s33, v22
	v_or_b32_e32 v23, 16, v18
	v_cvt_f32_i32_e32 v35, v35
	v_cvt_f32_i32_e32 v36, v36
	v_cmp_gt_i32_e64 s[24:25], s33, v23
	v_cvt_f32_i32_e32 v37, v37
	v_cvt_f32_i32_e32 v38, v38
	;; [unrolled: 1-line block ×7, first 2 shown]
	s_waitcnt vmcnt(15)
	v_fmac_f32_e32 v17, v31, v25
	s_waitcnt vmcnt(14)
	v_fmac_f32_e32 v16, v31, v26
	;; [unrolled: 2-line block ×4, first 2 shown]
	v_cndmask_b32_e64 v20, v19, v16, s[30:31]
	v_cndmask_b32_e64 v21, v19, v15, s[34:35]
	;; [unrolled: 1-line block ×3, first 2 shown]
	s_waitcnt vmcnt(11)
	v_fmac_f32_e32 v13, v31, v32
	s_waitcnt vmcnt(10)
	v_fmac_f32_e32 v12, v31, v34
	;; [unrolled: 2-line block ×9, first 2 shown]
	v_cndmask_b32_e64 v24, v19, v17, s[28:29]
	v_max3_f32 v20, v24, s52, v20
	v_max3_f32 v20, v20, v21, v22
	v_or_b32_e32 v22, 17, v18
	v_cmp_gt_i32_e64 s[38:39], s33, v22
	v_cndmask_b32_e64 v21, v19, v13, s[24:25]
	v_cndmask_b32_e64 v22, v19, v12, s[38:39]
	v_max3_f32 v20, v20, v21, v22
	v_or_b32_e32 v21, 18, v18
	v_or_b32_e32 v22, 19, v18
	v_cmp_gt_i32_e64 s[20:21], s33, v21
	v_cmp_gt_i32_e64 s[22:23], s33, v22
	v_cndmask_b32_e64 v21, v19, v11, s[20:21]
	v_cndmask_b32_e64 v22, v19, v10, s[22:23]
	v_max3_f32 v20, v20, v21, v22
	v_or_b32_e32 v21, 32, v18
	v_or_b32_e32 v22, 33, v18
	v_cmp_gt_i32_e64 s[16:17], s33, v21
	;; [unrolled: 7-line block ×3, first 2 shown]
	v_cmp_gt_i32_e64 s[14:15], s33, v22
	v_cndmask_b32_e64 v21, v19, v7, s[12:13]
	v_cndmask_b32_e64 v22, v19, v6, s[14:15]
	v_max3_f32 v20, v20, v21, v22
	v_or_b32_e32 v21, 48, v18
	v_or_b32_e32 v22, 49, v18
	v_fmac_f32_e32 v5, v31, v44
	v_fmac_f32_e32 v4, v31, v52
	v_cmp_gt_i32_e64 s[6:7], s33, v21
	v_cmp_gt_i32_e64 s[10:11], s33, v22
	v_cndmask_b32_e64 v21, v19, v5, s[6:7]
	v_cndmask_b32_e64 v22, v19, v4, s[10:11]
	v_max3_f32 v20, v20, v21, v22
	v_or_b32_e32 v21, 50, v18
	v_or_b32_e32 v18, 51, v18
	v_fmac_f32_e32 v3, v31, v53
	v_cmp_gt_i32_e32 vcc, s33, v21
	v_cmp_gt_i32_e64 s[4:5], s33, v18
	v_cndmask_b32_e32 v21, v19, v3, vcc
	v_cndmask_b32_e64 v18, v19, v2, s[4:5]
	v_mbcnt_lo_u32_b32 v19, -1, 0
	v_mbcnt_hi_u32_b32 v19, -1, v19
	v_max3_f32 v18, v20, v21, v18
	v_and_b32_e32 v20, 64, v19
	v_add_u32_e32 v20, 64, v20
	v_xor_b32_e32 v21, 32, v19
	v_cmp_lt_i32_e64 s[40:41], v21, v20
	v_cndmask_b32_e64 v21, v19, v21, s[40:41]
	v_lshlrev_b32_e32 v21, 2, v21
	ds_bpermute_b32 v22, v21, v18
	s_waitcnt lgkmcnt(0)
	v_max_f32_e32 v22, v22, v22
	v_max_f32_e32 v18, v18, v22
	v_xor_b32_e32 v22, 16, v19
	v_cmp_lt_i32_e64 s[40:41], v22, v20
	v_cndmask_b32_e64 v19, v19, v22, s[40:41]
	v_lshlrev_b32_e32 v19, 2, v19
	ds_bpermute_b32 v20, v19, v18
	s_waitcnt lgkmcnt(0)
	v_max_f32_e32 v20, v20, v20
	v_max_f32_e32 v18, v18, v20
	v_sub_f32_e32 v17, v17, v18
	v_mul_f32_e32 v17, 0x3fb8aa3b, v17
	v_sub_f32_e32 v16, v16, v18
	v_exp_f32_e32 v17, v17
	v_mul_f32_e32 v16, 0x3fb8aa3b, v16
	v_sub_f32_e32 v15, v15, v18
	v_exp_f32_e32 v16, v16
	;; [unrolled: 3-line block ×4, first 2 shown]
	v_mul_f32_e32 v13, 0x3fb8aa3b, v13
	v_sub_f32_e32 v12, v12, v18
	v_cndmask_b32_e64 v17, 0, v17, s[28:29]
	v_exp_f32_e32 v13, v13
	v_mul_f32_e32 v12, 0x3fb8aa3b, v12
	v_sub_f32_e32 v11, v11, v18
	v_add_f32_e32 v20, 0, v17
	v_cndmask_b32_e64 v16, 0, v16, s[30:31]
	v_exp_f32_e32 v12, v12
	v_mul_f32_e32 v11, 0x3fb8aa3b, v11
	v_sub_f32_e32 v10, v10, v18
	v_add_f32_e32 v20, v20, v16
	;; [unrolled: 5-line block ×4, first 2 shown]
	v_cndmask_b32_e64 v13, 0, v13, s[24:25]
	v_exp_f32_e32 v9, v9
	v_mul_f32_e32 v8, 0x3fb8aa3b, v8
	v_sub_f32_e32 v7, v7, v18
	buffer_store_dword v17, off, s[0:3], 0 offset:256
	buffer_store_dword v16, off, s[0:3], 0 offset:260
	buffer_store_dword v15, off, s[0:3], 0 offset:264
	buffer_store_dword v14, off, s[0:3], 0 offset:268
	v_add_f32_e32 v14, v20, v13
	v_cndmask_b32_e64 v12, 0, v12, s[38:39]
	v_exp_f32_e32 v8, v8
	v_mul_f32_e32 v7, 0x3fb8aa3b, v7
	v_sub_f32_e32 v6, v6, v18
	v_add_f32_e32 v14, v14, v12
	v_cndmask_b32_e64 v11, 0, v11, s[20:21]
	v_exp_f32_e32 v7, v7
	v_mul_f32_e32 v6, 0x3fb8aa3b, v6
	v_sub_f32_e32 v5, v5, v18
	;; [unrolled: 5-line block ×4, first 2 shown]
	buffer_store_dword v13, off, s[0:3], 0 offset:272
	buffer_store_dword v12, off, s[0:3], 0 offset:276
	;; [unrolled: 1-line block ×4, first 2 shown]
	v_add_f32_e32 v10, v14, v9
	v_cndmask_b32_e64 v8, 0, v8, s[18:19]
	v_exp_f32_e32 v4, v4
	v_mul_f32_e32 v3, 0x3fb8aa3b, v3
	v_sub_f32_e32 v2, v2, v18
	v_add_f32_e32 v10, v10, v8
	v_cndmask_b32_e64 v7, 0, v7, s[12:13]
	v_exp_f32_e32 v3, v3
	v_mul_f32_e32 v2, 0x3fb8aa3b, v2
	v_add_f32_e32 v10, v10, v7
	v_cndmask_b32_e64 v6, 0, v6, s[14:15]
	v_exp_f32_e32 v2, v2
	v_add_f32_e32 v10, v10, v6
	v_cndmask_b32_e64 v5, 0, v5, s[6:7]
	buffer_store_dword v9, off, s[0:3], 0 offset:288
	buffer_store_dword v8, off, s[0:3], 0 offset:292
	;; [unrolled: 1-line block ×4, first 2 shown]
	v_add_f32_e32 v6, v10, v5
	v_cndmask_b32_e64 v4, 0, v4, s[10:11]
	v_add_f32_e32 v6, v6, v4
	v_cndmask_b32_e32 v3, 0, v3, vcc
	v_add_f32_e32 v6, v6, v3
	v_cndmask_b32_e64 v2, 0, v2, s[4:5]
	v_add_f32_e32 v6, v6, v2
	ds_bpermute_b32 v7, v21, v6
	buffer_store_dword v5, off, s[0:3], 0 offset:304
	buffer_store_dword v4, off, s[0:3], 0 offset:308
	;; [unrolled: 1-line block ×4, first 2 shown]
	v_cmp_gt_u32_e32 vcc, 16, v33
	s_waitcnt lgkmcnt(0)
	s_barrier
	v_add_f32_e32 v2, v6, v7
	ds_bpermute_b32 v3, v19, v2
	s_waitcnt lgkmcnt(0)
	s_and_saveexec_b64 s[4:5], vcc
	s_cbranch_execz .LBB900_209
; %bb.208:
	v_add_f32_e32 v2, v2, v3
	v_lshlrev_b32_e32 v3, 2, v29
	ds_write2st64_b32 v3, v18, v2 offset1:1
.LBB900_209:
	s_or_b64 exec, exec, s[4:5]
	v_lshlrev_b32_e32 v2, 2, v41
	s_waitcnt lgkmcnt(0)
	s_barrier
	ds_read2_b32 v[14:15], v2 offset1:16
	ds_read2_b32 v[16:17], v2 offset0:32 offset1:48
	ds_read2_b32 v[6:7], v2 offset0:64 offset1:80
	;; [unrolled: 1-line block ×3, first 2 shown]
	s_waitcnt lgkmcnt(0)
	s_barrier
	buffer_load_dword v22, off, s[0:3], 0 offset:264
	buffer_load_dword v23, off, s[0:3], 0 offset:268
	buffer_load_dword v24, off, s[0:3], 0 offset:256
	buffer_load_dword v25, off, s[0:3], 0 offset:260
	buffer_load_dword v10, off, s[0:3], 0 offset:280
	buffer_load_dword v11, off, s[0:3], 0 offset:284
	buffer_load_dword v8, off, s[0:3], 0 offset:272
	buffer_load_dword v9, off, s[0:3], 0 offset:276
	buffer_load_dword v18, off, s[0:3], 0 offset:288
	buffer_load_dword v19, off, s[0:3], 0 offset:292
	buffer_load_dword v28, off, s[0:3], 0 offset:296
	buffer_load_dword v29, off, s[0:3], 0 offset:300
	buffer_load_dword v2, off, s[0:3], 0 offset:304
	buffer_load_dword v3, off, s[0:3], 0 offset:308
	buffer_load_dword v4, off, s[0:3], 0 offset:312
	buffer_load_dword v5, off, s[0:3], 0 offset:316
	v_max3_f32 v20, v14, s52, v15
	v_max3_f32 v20, v20, v16, v17
	v_sub_f32_e32 v14, v14, v20
	v_sub_f32_e32 v15, v15, v20
	v_mul_f32_e32 v14, 0x3fb8aa3b, v14
	v_sub_f32_e32 v16, v16, v20
	v_mul_f32_e32 v15, 0x3fb8aa3b, v15
	v_exp_f32_e32 v14, v14
	v_sub_f32_e32 v17, v17, v20
	v_mul_f32_e32 v16, 0x3fb8aa3b, v16
	v_exp_f32_e32 v15, v15
	v_mul_f32_e32 v17, 0x3fb8aa3b, v17
	v_exp_f32_e32 v16, v16
	v_exp_f32_e32 v17, v17
	v_fma_f32 v6, v14, v6, 0
	v_fmac_f32_e32 v6, v15, v7
	v_fmac_f32_e32 v6, v16, v12
	;; [unrolled: 1-line block ×3, first 2 shown]
	v_cmp_eq_u32_e32 vcc, 1, v27
	v_add_f32_e32 v12, 0x358637bd, v6
	v_cndmask_b32_e32 v14, v14, v15, vcc
	v_cmp_eq_u32_e32 vcc, 2, v27
	v_div_scale_f32 v13, s[4:5], v12, v12, 1.0
	v_cndmask_b32_e32 v7, v14, v16, vcc
	v_rcp_f32_e32 v14, v13
	v_cmp_eq_u32_e32 vcc, 3, v27
	v_cndmask_b32_e32 v7, v7, v17, vcc
	v_div_scale_f32 v15, vcc, 1.0, v12, 1.0
	v_fma_f32 v16, -v13, v14, 1.0
	v_fmac_f32_e32 v14, v16, v14
	v_mul_f32_e32 v16, v15, v14
	v_fma_f32 v17, -v13, v16, v15
	v_fmac_f32_e32 v16, v17, v14
	v_fma_f32 v13, -v13, v16, v15
	v_div_fmas_f32 v13, v13, v14, v16
	v_div_fixup_f32 v12, v13, v12, 1.0
	v_mul_f32_e32 v12, v7, v12
	s_movk_i32 s19, 0x7fff
	s_mov_b32 s20, 0x7060302
	s_mul_i32 s18, s49, 7
	v_cmp_gt_u32_e32 vcc, 7, v0
	s_waitcnt vmcnt(14)
	v_pk_mul_f32 v[14:15], v[12:13], v[22:23] op_sel_hi:[0,1]
	v_bfe_u32 v21, v15, 16, 1
	s_waitcnt vmcnt(12)
	v_pk_mul_f32 v[16:17], v[12:13], v[24:25] op_sel_hi:[0,1]
	v_bfe_u32 v7, v17, 16, 1
	v_bfe_u32 v13, v16, 16, 1
	;; [unrolled: 1-line block ×3, first 2 shown]
	v_add3_u32 v13, v16, v13, s19
	v_add3_u32 v7, v17, v7, s19
	buffer_store_dword v16, off, s[0:3], 0 offset:256
	buffer_store_dword v17, off, s[0:3], 0 offset:260
	;; [unrolled: 1-line block ×4, first 2 shown]
	v_add3_u32 v16, v14, v22, s19
	v_add3_u32 v15, v15, v21, s19
	v_perm_b32 v14, v7, v13, s20
	v_lshlrev_b32_e32 v13, 3, v1
	v_perm_b32 v15, v15, v16, s20
	v_lshlrev_b32_e32 v7, 5, v41
	v_lshlrev_b32_e32 v16, 11, v27
	s_waitcnt vmcnt(12)
	v_pk_mul_f32 v[8:9], v[12:13], v[8:9] op_sel_hi:[0,1]
	v_or3_b32 v52, v16, v7, v13
	v_pk_mul_f32 v[10:11], v[12:13], v[10:11] op_sel_hi:[0,1]
	v_bfe_u32 v13, v9, 16, 1
	v_bfe_u32 v16, v8, 16, 1
	buffer_store_dword v8, off, s[0:3], 0 offset:272
	buffer_store_dword v9, off, s[0:3], 0 offset:276
	;; [unrolled: 1-line block ×4, first 2 shown]
	v_add3_u32 v8, v8, v16, s19
	v_add3_u32 v9, v9, v13, s19
	v_perm_b32 v8, v9, v8, s20
	v_bfe_u32 v9, v11, 16, 1
	v_bfe_u32 v13, v10, 16, 1
	v_add3_u32 v10, v10, v13, s19
	v_add3_u32 v9, v11, v9, s19
	v_perm_b32 v9, v9, v10, s20
	s_waitcnt vmcnt(14)
	v_pk_mul_f32 v[10:11], v[12:13], v[18:19] op_sel_hi:[0,1]
	ds_write2st64_b64 v52, v[14:15], v[8:9] offset1:1
	s_waitcnt vmcnt(12)
	v_pk_mul_f32 v[8:9], v[12:13], v[28:29] op_sel_hi:[0,1]
	v_bfe_u32 v13, v11, 16, 1
	v_bfe_u32 v14, v10, 16, 1
	buffer_store_dword v10, off, s[0:3], 0 offset:288
	buffer_store_dword v11, off, s[0:3], 0 offset:292
	;; [unrolled: 1-line block ×4, first 2 shown]
	v_add3_u32 v10, v10, v14, s19
	v_add3_u32 v11, v11, v13, s19
	v_perm_b32 v10, v11, v10, s20
	v_bfe_u32 v11, v9, 16, 1
	v_bfe_u32 v13, v8, 16, 1
	v_add3_u32 v8, v8, v13, s19
	v_add3_u32 v9, v9, v11, s19
	s_waitcnt vmcnt(14)
	v_pk_mul_f32 v[2:3], v[12:13], v[2:3] op_sel_hi:[0,1]
	v_perm_b32 v11, v9, v8, s20
	v_bfe_u32 v8, v3, 16, 1
	v_bfe_u32 v9, v2, 16, 1
	s_waitcnt vmcnt(12)
	v_pk_mul_f32 v[4:5], v[12:13], v[4:5] op_sel_hi:[0,1]
	buffer_store_dword v2, off, s[0:3], 0 offset:304
	buffer_store_dword v3, off, s[0:3], 0 offset:308
	;; [unrolled: 1-line block ×4, first 2 shown]
	v_add3_u32 v2, v2, v9, s19
	v_add3_u32 v3, v3, v8, s19
	v_perm_b32 v2, v3, v2, s20
	v_bfe_u32 v3, v5, 16, 1
	v_bfe_u32 v8, v4, 16, 1
	v_add3_u32 v4, v4, v8, s19
	v_add3_u32 v3, v5, v3, s19
	v_perm_b32 v3, v3, v4, s20
	ds_write2st64_b64 v52, v[10:11], v[2:3] offset0:2 offset1:3
	s_and_saveexec_b64 s[4:5], vcc
	s_cbranch_execz .LBB900_211
; %bb.210:
	v_add_co_u32_e32 v4, vcc, s27, v41
	v_addc_co_u32_e64 v5, s[6:7], 0, 0, vcc
	v_mov_b32_e32 v2, s18
	v_mad_u64_u32 v[4:5], s[6:7], s8, v2, v[4:5]
	v_mov_b32_e32 v3, 0
	s_mul_i32 s6, s9, s18
	v_mov_b32_e32 v2, s26
	v_add_u32_e32 v5, s6, v5
	v_mad_u64_u32 v[2:3], s[6:7], v4, s48, v[2:3]
	v_mov_b32_e32 v4, v3
	v_mad_u64_u32 v[4:5], s[6:7], v5, s48, v[4:5]
	v_mov_b32_e32 v3, v4
	v_lshlrev_b64 v[2:3], 2, v[2:3]
	v_mov_b32_e32 v5, s47
	v_add_co_u32_e32 v4, vcc, s46, v2
	v_addc_co_u32_e32 v5, vcc, v5, v3, vcc
	global_store_dword v[4:5], v20, off
	v_mov_b32_e32 v4, s45
	v_add_co_u32_e32 v2, vcc, s44, v2
	v_addc_co_u32_e32 v3, vcc, v4, v3, vcc
	global_store_dword v[2:3], v6, off
.LBB900_211:
	s_or_b64 exec, exec, s[4:5]
	v_lshl_or_b32 v30, v1, 9, v7
	s_waitcnt lgkmcnt(0)
	s_barrier
	s_load_dword s4, s[42:43], 0x0
	ds_read_b128 v[2:5], v30
	ds_read_b128 v[6:9], v30 offset:16
	ds_read_b128 v[10:13], v30 offset:2048
	;; [unrolled: 1-line block ×7, first 2 shown]
	v_mov_b32_e32 v35, 0x80
	v_mov_b32_e32 v53, 0x140
	s_mov_b64 s[10:11], -1
	s_waitcnt lgkmcnt(0)
	s_mov_b32 s5, s4
	s_mov_b32 s6, s4
	;; [unrolled: 1-line block ×3, first 2 shown]
	s_movk_i32 s9, 0x80
	s_movk_i32 s21, 0x7f
	s_mov_b32 s22, 0xffffff
	s_mov_b32 s23, 0x5040100
	v_mov_b32_e32 v54, 0
	v_bfrev_b32_e32 v55, 60
	s_branch .LBB900_215
.LBB900_212:                            ;   in Loop: Header=BB900_215 Depth=1
	s_or_b64 exec, exec, s[16:17]
.LBB900_213:                            ;   in Loop: Header=BB900_215 Depth=1
	s_or_b64 exec, exec, s[14:15]
.LBB900_214:                            ;   in Loop: Header=BB900_215 Depth=1
	s_or_b64 exec, exec, s[12:13]
	v_perm_b32 v61, v56, v50, s23
	v_perm_b32 v60, v44, v46, s23
	s_xor_b64 s[12:13], s[10:11], -1
	s_mov_b64 s[10:11], 0
	v_mov_b32_e32 v46, v47
	v_mfma_f32_16x16x16bf16_1k v[60:63], v[60:61], v[30:31], v[34:37]
	s_and_b64 vcc, exec, s[12:13]
	s_nop 5
	v_perm_b32 v37, v58, v57, s23
	v_perm_b32 v36, v42, v51, s23
	v_mov_b32_e32 v35, v45
	s_nop 0
	v_mfma_f32_16x16x16bf16_1k v[56:59], v[36:37], v[32:33], v[60:63]
	s_nop 7
	s_nop 2
	v_pk_mul_f32 v[50:51], v[56:57], s[4:5]
	v_pk_mul_f32 v[36:37], v[58:59], s[6:7]
	v_bfe_u32 v34, v51, 16, 1
	v_bfe_u32 v38, v50, 16, 1
	;; [unrolled: 1-line block ×4, first 2 shown]
	v_add3_u32 v38, v50, v38, s19
	v_add3_u32 v34, v51, v34, s19
	;; [unrolled: 1-line block ×4, first 2 shown]
	v_perm_b32 v34, v34, v38, s20
	v_perm_b32 v36, v37, v36, s20
	buffer_store_dword v34, v53, s[0:3], 0 offen
	buffer_store_dword v36, v53, s[0:3], 0 offen offset:4
	v_mov_b32_e32 v53, 0x148
	v_mov_b32_e32 v51, v48
	;; [unrolled: 1-line block ×3, first 2 shown]
	s_cbranch_vccnz .LBB900_597
.LBB900_215:                            ; =>This Inner Loop Header: Depth=1
	buffer_load_dword v36, v35, s[0:3], 0 offen
	buffer_load_dword v34, v35, s[0:3], 0 offen offset:4
	buffer_load_dword v40, v35, s[0:3], 0 offen offset:8
	;; [unrolled: 1-line block ×3, first 2 shown]
	v_mov_b32_e32 v35, 0
	s_waitcnt vmcnt(3)
	v_cmp_ne_u16_sdwa s[14:15], v36, v54 src0_sel:BYTE_0 src1_sel:DWORD
	s_and_saveexec_b64 s[12:13], s[14:15]
	s_cbranch_execz .LBB900_221
; %bb.216:                              ;   in Loop: Header=BB900_215 Depth=1
	v_cmp_ne_u16_sdwa s[16:17], v36, s9 src0_sel:BYTE_0 src1_sel:DWORD
	v_mov_b32_e32 v35, 0xffff8000
	s_and_saveexec_b64 s[14:15], s[16:17]
	s_cbranch_execz .LBB900_220
; %bb.217:                              ;   in Loop: Header=BB900_215 Depth=1
	v_and_b32_e32 v37, 0x7f, v36
	v_cmp_ne_u32_e32 vcc, s21, v37
	v_mov_b32_e32 v35, 0x7f80
	s_and_saveexec_b64 s[16:17], vcc
	s_cbranch_execz .LBB900_219
; %bb.218:                              ;   in Loop: Header=BB900_215 Depth=1
	v_and_b32_e32 v35, 7, v36
	v_ffbh_u32_e32 v44, v35
	v_min_u32_e32 v44, 32, v44
	v_subrev_u32_e32 v56, 28, v44
	v_lshlrev_b64 v[56:57], v56, v[36:37]
	v_lshrrev_b32_e32 v42, 3, v37
	v_sub_u32_e32 v44, 29, v44
	v_and_b32_e32 v56, 7, v56
	v_cmp_gt_u32_e32 vcc, 8, v37
	v_cndmask_b32_e32 v37, v42, v44, vcc
	v_cndmask_b32_e32 v35, v35, v56, vcc
	v_lshlrev_b32_e32 v42, 24, v36
	v_lshlrev_b32_e32 v35, 20, v35
	v_and_b32_e32 v42, 0x80000000, v42
	v_lshl_add_u32 v37, v37, 23, v55
	v_or3_b32 v35, v42, v37, v35
	v_lshrrev_b32_e32 v35, 16, v35
.LBB900_219:                            ;   in Loop: Header=BB900_215 Depth=1
	s_or_b64 exec, exec, s[16:17]
.LBB900_220:                            ;   in Loop: Header=BB900_215 Depth=1
	s_or_b64 exec, exec, s[14:15]
.LBB900_221:                            ;   in Loop: Header=BB900_215 Depth=1
	s_or_b64 exec, exec, s[12:13]
	v_lshrrev_b16_e32 v42, 8, v36
	v_cmp_ne_u16_e32 vcc, 0, v42
	v_mov_b32_e32 v56, 0
	v_mov_b32_e32 v37, 0
	s_and_saveexec_b64 s[12:13], vcc
	s_cbranch_execz .LBB900_227
; %bb.222:                              ;   in Loop: Header=BB900_215 Depth=1
	v_cmp_ne_u16_e32 vcc, s9, v42
	v_mov_b32_e32 v37, 0xffff8000
	s_and_saveexec_b64 s[14:15], vcc
	s_cbranch_execz .LBB900_226
; %bb.223:                              ;   in Loop: Header=BB900_215 Depth=1
	v_and_b32_e32 v44, 0x7f, v42
	v_cmp_ne_u32_e32 vcc, s21, v44
	v_mov_b32_e32 v37, 0x7f80
	s_and_saveexec_b64 s[16:17], vcc
	s_cbranch_execz .LBB900_225
; %bb.224:                              ;   in Loop: Header=BB900_215 Depth=1
	v_and_b32_e32 v37, 7, v42
	v_ffbh_u32_e32 v58, v37
	v_min_u32_e32 v60, 32, v58
	v_subrev_u32_e32 v58, 28, v60
	v_lshlrev_b64 v[58:59], v58, v[42:43]
	v_lshrrev_b32_e32 v57, 3, v44
	v_sub_u32_e32 v42, 29, v60
	v_and_b32_e32 v58, 7, v58
	v_cmp_gt_u32_e32 vcc, 8, v44
	v_cndmask_b32_e32 v42, v57, v42, vcc
	v_cndmask_b32_e32 v37, v37, v58, vcc
	v_lshlrev_b32_e32 v44, 16, v36
	v_lshlrev_b32_e32 v37, 20, v37
	v_and_b32_e32 v44, 0x80000000, v44
	v_lshl_add_u32 v42, v42, 23, v55
	v_or3_b32 v37, v44, v42, v37
	v_lshrrev_b32_e32 v37, 16, v37
.LBB900_225:                            ;   in Loop: Header=BB900_215 Depth=1
	s_or_b64 exec, exec, s[16:17]
.LBB900_226:                            ;   in Loop: Header=BB900_215 Depth=1
	s_or_b64 exec, exec, s[14:15]
.LBB900_227:                            ;   in Loop: Header=BB900_215 Depth=1
	s_or_b64 exec, exec, s[12:13]
	v_lshrrev_b32_e32 v42, 16, v36
	v_cmp_ne_u16_sdwa s[14:15], v42, v54 src0_sel:BYTE_0 src1_sel:DWORD
	s_and_saveexec_b64 s[12:13], s[14:15]
	s_cbranch_execz .LBB900_233
; %bb.228:                              ;   in Loop: Header=BB900_215 Depth=1
	v_cmp_ne_u16_sdwa s[16:17], v42, s9 src0_sel:BYTE_0 src1_sel:DWORD
	v_mov_b32_e32 v56, 0xffff8000
	s_and_saveexec_b64 s[14:15], s[16:17]
	s_cbranch_execz .LBB900_232
; %bb.229:                              ;   in Loop: Header=BB900_215 Depth=1
	v_bfe_u32 v44, v36, 16, 7
	v_cmp_ne_u32_e32 vcc, s21, v44
	v_mov_b32_e32 v56, 0x7f80
	s_and_saveexec_b64 s[16:17], vcc
	s_cbranch_execz .LBB900_231
; %bb.230:                              ;   in Loop: Header=BB900_215 Depth=1
	v_and_b32_e32 v58, 7, v42
	v_ffbh_u32_e32 v56, v58
	v_min_u32_e32 v60, 32, v56
	v_subrev_u32_e32 v56, 28, v60
	v_lshlrev_b64 v[56:57], v56, v[42:43]
	v_lshrrev_b32_e32 v59, 3, v44
	v_sub_u32_e32 v57, 29, v60
	v_and_b32_e32 v56, 7, v56
	v_cmp_gt_u32_e32 vcc, 8, v44
	v_cndmask_b32_e32 v44, v59, v57, vcc
	v_cndmask_b32_e32 v56, v58, v56, vcc
	v_lshlrev_b32_e32 v42, 24, v42
	v_lshlrev_b32_e32 v56, 20, v56
	v_and_b32_e32 v42, 0x80000000, v42
	v_lshl_add_u32 v44, v44, 23, v55
	v_or3_b32 v42, v42, v44, v56
	v_lshrrev_b32_e32 v56, 16, v42
.LBB900_231:                            ;   in Loop: Header=BB900_215 Depth=1
	s_or_b64 exec, exec, s[16:17]
.LBB900_232:                            ;   in Loop: Header=BB900_215 Depth=1
	s_or_b64 exec, exec, s[14:15]
.LBB900_233:                            ;   in Loop: Header=BB900_215 Depth=1
	s_or_b64 exec, exec, s[12:13]
	v_cmp_lt_u32_e32 vcc, s22, v36
	v_mov_b32_e32 v57, 0
	v_mov_b32_e32 v58, 0
	s_and_saveexec_b64 s[12:13], vcc
	s_cbranch_execz .LBB900_239
; %bb.234:                              ;   in Loop: Header=BB900_215 Depth=1
	v_lshrrev_b32_e32 v42, 24, v36
	v_cmp_ne_u32_e32 vcc, s9, v42
	v_mov_b32_e32 v58, 0xffff8000
	s_and_saveexec_b64 s[14:15], vcc
	s_cbranch_execz .LBB900_238
; %bb.235:                              ;   in Loop: Header=BB900_215 Depth=1
	v_bfe_u32 v36, v36, 24, 7
	v_cmp_ne_u32_e32 vcc, s21, v36
	v_mov_b32_e32 v58, 0x7f80
	s_and_saveexec_b64 s[16:17], vcc
	s_cbranch_execz .LBB900_237
; %bb.236:                              ;   in Loop: Header=BB900_215 Depth=1
	v_and_b32_e32 v44, 7, v42
	v_ffbh_u32_e32 v58, v44
	v_min_u32_e32 v61, 32, v58
	v_subrev_u32_e32 v58, 28, v61
	v_lshlrev_b64 v[58:59], v58, v[42:43]
	v_lshrrev_b32_e32 v60, 3, v36
	v_sub_u32_e32 v59, 29, v61
	v_and_b32_e32 v58, 7, v58
	v_cmp_gt_u32_e32 vcc, 8, v36
	v_cndmask_b32_e32 v36, v60, v59, vcc
	v_cndmask_b32_e32 v44, v44, v58, vcc
	v_lshlrev_b32_e32 v42, 24, v42
	v_lshlrev_b32_e32 v44, 20, v44
	v_and_b32_e32 v42, 0x80000000, v42
	v_lshl_add_u32 v36, v36, 23, v55
	v_or3_b32 v36, v42, v36, v44
	v_lshrrev_b32_e32 v58, 16, v36
.LBB900_237:                            ;   in Loop: Header=BB900_215 Depth=1
	s_or_b64 exec, exec, s[16:17]
.LBB900_238:                            ;   in Loop: Header=BB900_215 Depth=1
	s_or_b64 exec, exec, s[14:15]
.LBB900_239:                            ;   in Loop: Header=BB900_215 Depth=1
	s_or_b64 exec, exec, s[12:13]
	s_waitcnt vmcnt(2)
	v_cmp_ne_u16_sdwa s[14:15], v34, v54 src0_sel:BYTE_0 src1_sel:DWORD
	s_and_saveexec_b64 s[12:13], s[14:15]
	s_cbranch_execz .LBB900_245
; %bb.240:                              ;   in Loop: Header=BB900_215 Depth=1
	v_cmp_ne_u16_sdwa s[16:17], v34, s9 src0_sel:BYTE_0 src1_sel:DWORD
	v_mov_b32_e32 v57, 0xffff8000
	s_and_saveexec_b64 s[14:15], s[16:17]
	s_cbranch_execz .LBB900_244
; %bb.241:                              ;   in Loop: Header=BB900_215 Depth=1
	v_and_b32_e32 v36, 0x7f, v34
	v_cmp_ne_u32_e32 vcc, s21, v36
	v_mov_b32_e32 v57, 0x7f80
	s_and_saveexec_b64 s[16:17], vcc
	s_cbranch_execz .LBB900_243
; %bb.242:                              ;   in Loop: Header=BB900_215 Depth=1
	v_and_b32_e32 v42, 7, v34
	v_ffbh_u32_e32 v57, v42
	v_min_u32_e32 v57, 32, v57
	v_subrev_u32_e32 v59, 28, v57
	v_lshlrev_b64 v[60:61], v59, v[34:35]
	v_lshrrev_b32_e32 v44, 3, v36
	v_sub_u32_e32 v57, 29, v57
	v_and_b32_e32 v59, 7, v60
	v_cmp_gt_u32_e32 vcc, 8, v36
	v_cndmask_b32_e32 v36, v44, v57, vcc
	v_cndmask_b32_e32 v42, v42, v59, vcc
	v_lshlrev_b32_e32 v44, 24, v34
	v_lshlrev_b32_e32 v42, 20, v42
	v_and_b32_e32 v44, 0x80000000, v44
	v_lshl_add_u32 v36, v36, 23, v55
	v_or3_b32 v36, v44, v36, v42
	v_lshrrev_b32_e32 v57, 16, v36
.LBB900_243:                            ;   in Loop: Header=BB900_215 Depth=1
	s_or_b64 exec, exec, s[16:17]
.LBB900_244:                            ;   in Loop: Header=BB900_215 Depth=1
	s_or_b64 exec, exec, s[14:15]
.LBB900_245:                            ;   in Loop: Header=BB900_215 Depth=1
	s_or_b64 exec, exec, s[12:13]
	v_lshrrev_b16_e32 v36, 8, v34
	v_cmp_ne_u16_e32 vcc, 0, v36
	v_mov_b32_e32 v59, 0
	v_mov_b32_e32 v42, 0
	s_and_saveexec_b64 s[12:13], vcc
	s_cbranch_execz .LBB900_251
; %bb.246:                              ;   in Loop: Header=BB900_215 Depth=1
	v_cmp_ne_u16_e32 vcc, s9, v36
	v_mov_b32_e32 v42, 0xffff8000
	s_and_saveexec_b64 s[14:15], vcc
	s_cbranch_execz .LBB900_250
; %bb.247:                              ;   in Loop: Header=BB900_215 Depth=1
	v_and_b32_e32 v44, 0x7f, v36
	v_cmp_ne_u32_e32 vcc, s21, v44
	v_mov_b32_e32 v42, 0x7f80
	s_and_saveexec_b64 s[16:17], vcc
	s_cbranch_execz .LBB900_249
; %bb.248:                              ;   in Loop: Header=BB900_215 Depth=1
	v_and_b32_e32 v42, 7, v36
	v_ffbh_u32_e32 v60, v42
	v_min_u32_e32 v63, 32, v60
	v_subrev_u32_e32 v60, 28, v63
	v_lshlrev_b64 v[60:61], v60, v[36:37]
	v_lshrrev_b32_e32 v62, 3, v44
	v_sub_u32_e32 v36, 29, v63
	v_and_b32_e32 v60, 7, v60
	v_cmp_gt_u32_e32 vcc, 8, v44
	v_cndmask_b32_e32 v36, v62, v36, vcc
	v_cndmask_b32_e32 v42, v42, v60, vcc
	v_lshlrev_b32_e32 v44, 16, v34
	v_lshlrev_b32_e32 v42, 20, v42
	v_and_b32_e32 v44, 0x80000000, v44
	v_lshl_add_u32 v36, v36, 23, v55
	v_or3_b32 v36, v44, v36, v42
	v_lshrrev_b32_e32 v42, 16, v36
.LBB900_249:                            ;   in Loop: Header=BB900_215 Depth=1
	s_or_b64 exec, exec, s[16:17]
.LBB900_250:                            ;   in Loop: Header=BB900_215 Depth=1
	s_or_b64 exec, exec, s[14:15]
.LBB900_251:                            ;   in Loop: Header=BB900_215 Depth=1
	s_or_b64 exec, exec, s[12:13]
	v_lshrrev_b32_e32 v36, 16, v34
	v_cmp_ne_u16_sdwa s[14:15], v36, v54 src0_sel:BYTE_0 src1_sel:DWORD
	s_and_saveexec_b64 s[12:13], s[14:15]
	s_cbranch_execz .LBB900_257
; %bb.252:                              ;   in Loop: Header=BB900_215 Depth=1
	v_cmp_ne_u16_sdwa s[16:17], v36, s9 src0_sel:BYTE_0 src1_sel:DWORD
	v_mov_b32_e32 v59, 0xffff8000
	s_and_saveexec_b64 s[14:15], s[16:17]
	s_cbranch_execz .LBB900_256
; %bb.253:                              ;   in Loop: Header=BB900_215 Depth=1
	v_bfe_u32 v44, v34, 16, 7
	v_cmp_ne_u32_e32 vcc, s21, v44
	v_mov_b32_e32 v59, 0x7f80
	s_and_saveexec_b64 s[16:17], vcc
	s_cbranch_execz .LBB900_255
; %bb.254:                              ;   in Loop: Header=BB900_215 Depth=1
	v_and_b32_e32 v59, 7, v36
	v_ffbh_u32_e32 v60, v59
	v_min_u32_e32 v63, 32, v60
	v_subrev_u32_e32 v60, 28, v63
	v_lshlrev_b64 v[60:61], v60, v[36:37]
	v_lshrrev_b32_e32 v62, 3, v44
	v_sub_u32_e32 v61, 29, v63
	v_and_b32_e32 v60, 7, v60
	v_cmp_gt_u32_e32 vcc, 8, v44
	v_cndmask_b32_e32 v44, v62, v61, vcc
	v_cndmask_b32_e32 v59, v59, v60, vcc
	v_lshlrev_b32_e32 v36, 24, v36
	v_lshlrev_b32_e32 v59, 20, v59
	v_and_b32_e32 v36, 0x80000000, v36
	v_lshl_add_u32 v44, v44, 23, v55
	v_or3_b32 v36, v36, v44, v59
	v_lshrrev_b32_e32 v59, 16, v36
.LBB900_255:                            ;   in Loop: Header=BB900_215 Depth=1
	s_or_b64 exec, exec, s[16:17]
.LBB900_256:                            ;   in Loop: Header=BB900_215 Depth=1
	s_or_b64 exec, exec, s[14:15]
.LBB900_257:                            ;   in Loop: Header=BB900_215 Depth=1
	s_or_b64 exec, exec, s[12:13]
	v_cmp_lt_u32_e32 vcc, s22, v34
	v_mov_b32_e32 v44, 0
	v_mov_b32_e32 v60, 0
	s_and_saveexec_b64 s[12:13], vcc
	s_cbranch_execz .LBB900_263
; %bb.258:                              ;   in Loop: Header=BB900_215 Depth=1
	v_lshrrev_b32_e32 v36, 24, v34
	v_cmp_ne_u32_e32 vcc, s9, v36
	v_mov_b32_e32 v60, 0xffff8000
	s_and_saveexec_b64 s[14:15], vcc
	s_cbranch_execz .LBB900_262
; %bb.259:                              ;   in Loop: Header=BB900_215 Depth=1
	v_bfe_u32 v34, v34, 24, 7
	v_cmp_ne_u32_e32 vcc, s21, v34
	v_mov_b32_e32 v60, 0x7f80
	s_and_saveexec_b64 s[16:17], vcc
	s_cbranch_execz .LBB900_261
; %bb.260:                              ;   in Loop: Header=BB900_215 Depth=1
	v_and_b32_e32 v62, 7, v36
	v_ffbh_u32_e32 v60, v62
	v_min_u32_e32 v64, 32, v60
	v_subrev_u32_e32 v60, 28, v64
	v_lshlrev_b64 v[60:61], v60, v[36:37]
	v_lshrrev_b32_e32 v63, 3, v34
	v_sub_u32_e32 v61, 29, v64
	v_and_b32_e32 v60, 7, v60
	v_cmp_gt_u32_e32 vcc, 8, v34
	v_cndmask_b32_e32 v34, v63, v61, vcc
	v_cndmask_b32_e32 v60, v62, v60, vcc
	v_lshlrev_b32_e32 v36, 24, v36
	v_lshlrev_b32_e32 v60, 20, v60
	v_and_b32_e32 v36, 0x80000000, v36
	v_lshl_add_u32 v34, v34, 23, v55
	v_or3_b32 v34, v36, v34, v60
	v_lshrrev_b32_e32 v60, 16, v34
.LBB900_261:                            ;   in Loop: Header=BB900_215 Depth=1
	s_or_b64 exec, exec, s[16:17]
.LBB900_262:                            ;   in Loop: Header=BB900_215 Depth=1
	s_or_b64 exec, exec, s[14:15]
.LBB900_263:                            ;   in Loop: Header=BB900_215 Depth=1
	s_or_b64 exec, exec, s[12:13]
	v_perm_b32 v63, v58, v56, s23
	v_perm_b32 v62, v37, v35, s23
	;; [unrolled: 1-line block ×4, first 2 shown]
	s_waitcnt vmcnt(1)
	v_cmp_ne_u16_sdwa s[14:15], v40, v54 src0_sel:BYTE_0 src1_sel:DWORD
	v_mfma_f32_16x16x16bf16_1k v[34:37], v[62:63], v[2:3], 0
	v_mfma_f32_16x16x16bf16_1k v[34:37], v[58:59], v[4:5], v[34:37]
	s_and_saveexec_b64 s[12:13], s[14:15]
	s_cbranch_execz .LBB900_269
; %bb.264:                              ;   in Loop: Header=BB900_215 Depth=1
	v_cmp_ne_u16_sdwa s[16:17], v40, s9 src0_sel:BYTE_0 src1_sel:DWORD
	v_mov_b32_e32 v44, 0xffff8000
	s_and_saveexec_b64 s[14:15], s[16:17]
	s_cbranch_execz .LBB900_268
; %bb.265:                              ;   in Loop: Header=BB900_215 Depth=1
	v_and_b32_e32 v42, 0x7f, v40
	v_cmp_ne_u32_e32 vcc, s21, v42
	v_mov_b32_e32 v44, 0x7f80
	s_and_saveexec_b64 s[16:17], vcc
	s_cbranch_execz .LBB900_267
; %bb.266:                              ;   in Loop: Header=BB900_215 Depth=1
	v_and_b32_e32 v44, 7, v40
	v_ffbh_u32_e32 v56, v44
	v_min_u32_e32 v59, 32, v56
	v_subrev_u32_e32 v56, 28, v59
	v_lshlrev_b64 v[56:57], v56, v[40:41]
	v_lshrrev_b32_e32 v58, 3, v42
	v_sub_u32_e32 v57, 29, v59
	v_and_b32_e32 v56, 7, v56
	v_cmp_gt_u32_e32 vcc, 8, v42
	v_cndmask_b32_e32 v42, v58, v57, vcc
	v_cndmask_b32_e32 v44, v44, v56, vcc
	v_lshlrev_b32_e32 v56, 24, v40
	v_lshlrev_b32_e32 v44, 20, v44
	v_and_b32_e32 v56, 0x80000000, v56
	v_lshl_add_u32 v42, v42, 23, v55
	v_or3_b32 v42, v56, v42, v44
	v_lshrrev_b32_e32 v44, 16, v42
.LBB900_267:                            ;   in Loop: Header=BB900_215 Depth=1
	s_or_b64 exec, exec, s[16:17]
.LBB900_268:                            ;   in Loop: Header=BB900_215 Depth=1
	s_or_b64 exec, exec, s[14:15]
.LBB900_269:                            ;   in Loop: Header=BB900_215 Depth=1
	s_or_b64 exec, exec, s[12:13]
	v_lshrrev_b16_e32 v42, 8, v40
	v_cmp_ne_u16_e32 vcc, 0, v42
	v_mov_b32_e32 v58, 0
	v_mov_b32_e32 v57, 0
	s_and_saveexec_b64 s[12:13], vcc
	s_cbranch_execz .LBB900_275
; %bb.270:                              ;   in Loop: Header=BB900_215 Depth=1
	v_cmp_ne_u16_e32 vcc, s9, v42
	v_mov_b32_e32 v57, 0xffff8000
	s_and_saveexec_b64 s[14:15], vcc
	s_cbranch_execz .LBB900_274
; %bb.271:                              ;   in Loop: Header=BB900_215 Depth=1
	v_and_b32_e32 v56, 0x7f, v42
	v_cmp_ne_u32_e32 vcc, s21, v56
	v_mov_b32_e32 v57, 0x7f80
	s_and_saveexec_b64 s[16:17], vcc
	s_cbranch_execz .LBB900_273
; %bb.272:                              ;   in Loop: Header=BB900_215 Depth=1
	v_and_b32_e32 v57, 7, v42
	v_ffbh_u32_e32 v60, v57
	v_min_u32_e32 v62, 32, v60
	v_subrev_u32_e32 v60, 28, v62
	v_lshlrev_b64 v[60:61], v60, v[42:43]
	v_lshrrev_b32_e32 v59, 3, v56
	v_sub_u32_e32 v42, 29, v62
	v_and_b32_e32 v60, 7, v60
	v_cmp_gt_u32_e32 vcc, 8, v56
	v_cndmask_b32_e32 v42, v59, v42, vcc
	v_cndmask_b32_e32 v56, v57, v60, vcc
	v_lshlrev_b32_e32 v57, 16, v40
	v_lshlrev_b32_e32 v56, 20, v56
	v_and_b32_e32 v57, 0x80000000, v57
	v_lshl_add_u32 v42, v42, 23, v55
	v_or3_b32 v42, v57, v42, v56
	v_lshrrev_b32_e32 v57, 16, v42
.LBB900_273:                            ;   in Loop: Header=BB900_215 Depth=1
	s_or_b64 exec, exec, s[16:17]
.LBB900_274:                            ;   in Loop: Header=BB900_215 Depth=1
	s_or_b64 exec, exec, s[14:15]
.LBB900_275:                            ;   in Loop: Header=BB900_215 Depth=1
	s_or_b64 exec, exec, s[12:13]
	v_lshrrev_b32_e32 v42, 16, v40
	v_cmp_ne_u16_sdwa s[14:15], v42, v54 src0_sel:BYTE_0 src1_sel:DWORD
	s_and_saveexec_b64 s[12:13], s[14:15]
	s_cbranch_execz .LBB900_281
; %bb.276:                              ;   in Loop: Header=BB900_215 Depth=1
	v_cmp_ne_u16_sdwa s[16:17], v42, s9 src0_sel:BYTE_0 src1_sel:DWORD
	v_mov_b32_e32 v58, 0xffff8000
	s_and_saveexec_b64 s[14:15], s[16:17]
	s_cbranch_execz .LBB900_280
; %bb.277:                              ;   in Loop: Header=BB900_215 Depth=1
	v_bfe_u32 v56, v40, 16, 7
	v_cmp_ne_u32_e32 vcc, s21, v56
	v_mov_b32_e32 v58, 0x7f80
	s_and_saveexec_b64 s[16:17], vcc
	s_cbranch_execz .LBB900_279
; %bb.278:                              ;   in Loop: Header=BB900_215 Depth=1
	v_and_b32_e32 v60, 7, v42
	v_ffbh_u32_e32 v58, v60
	v_min_u32_e32 v62, 32, v58
	v_subrev_u32_e32 v58, 28, v62
	v_lshlrev_b64 v[58:59], v58, v[42:43]
	v_lshrrev_b32_e32 v61, 3, v56
	v_sub_u32_e32 v59, 29, v62
	v_and_b32_e32 v58, 7, v58
	v_cmp_gt_u32_e32 vcc, 8, v56
	v_cndmask_b32_e32 v56, v61, v59, vcc
	v_cndmask_b32_e32 v58, v60, v58, vcc
	v_lshlrev_b32_e32 v42, 24, v42
	v_lshlrev_b32_e32 v58, 20, v58
	v_and_b32_e32 v42, 0x80000000, v42
	v_lshl_add_u32 v56, v56, 23, v55
	v_or3_b32 v42, v42, v56, v58
	v_lshrrev_b32_e32 v58, 16, v42
.LBB900_279:                            ;   in Loop: Header=BB900_215 Depth=1
	s_or_b64 exec, exec, s[16:17]
.LBB900_280:                            ;   in Loop: Header=BB900_215 Depth=1
	s_or_b64 exec, exec, s[14:15]
.LBB900_281:                            ;   in Loop: Header=BB900_215 Depth=1
	s_or_b64 exec, exec, s[12:13]
	v_cmp_lt_u32_e32 vcc, s22, v40
	v_mov_b32_e32 v59, 0
	v_mov_b32_e32 v60, 0
	s_and_saveexec_b64 s[12:13], vcc
	s_cbranch_execz .LBB900_287
; %bb.282:                              ;   in Loop: Header=BB900_215 Depth=1
	v_lshrrev_b32_e32 v42, 24, v40
	v_cmp_ne_u32_e32 vcc, s9, v42
	v_mov_b32_e32 v60, 0xffff8000
	s_and_saveexec_b64 s[14:15], vcc
	s_cbranch_execz .LBB900_286
; %bb.283:                              ;   in Loop: Header=BB900_215 Depth=1
	v_bfe_u32 v40, v40, 24, 7
	v_cmp_ne_u32_e32 vcc, s21, v40
	v_mov_b32_e32 v60, 0x7f80
	s_and_saveexec_b64 s[16:17], vcc
	s_cbranch_execz .LBB900_285
; %bb.284:                              ;   in Loop: Header=BB900_215 Depth=1
	v_and_b32_e32 v56, 7, v42
	v_ffbh_u32_e32 v60, v56
	v_min_u32_e32 v63, 32, v60
	v_subrev_u32_e32 v60, 28, v63
	v_lshlrev_b64 v[60:61], v60, v[42:43]
	v_lshrrev_b32_e32 v62, 3, v40
	v_sub_u32_e32 v61, 29, v63
	v_and_b32_e32 v60, 7, v60
	v_cmp_gt_u32_e32 vcc, 8, v40
	v_cndmask_b32_e32 v40, v62, v61, vcc
	v_cndmask_b32_e32 v56, v56, v60, vcc
	v_lshlrev_b32_e32 v42, 24, v42
	v_lshlrev_b32_e32 v56, 20, v56
	v_and_b32_e32 v42, 0x80000000, v42
	v_lshl_add_u32 v40, v40, 23, v55
	v_or3_b32 v40, v42, v40, v56
	v_lshrrev_b32_e32 v60, 16, v40
.LBB900_285:                            ;   in Loop: Header=BB900_215 Depth=1
	s_or_b64 exec, exec, s[16:17]
.LBB900_286:                            ;   in Loop: Header=BB900_215 Depth=1
	s_or_b64 exec, exec, s[14:15]
.LBB900_287:                            ;   in Loop: Header=BB900_215 Depth=1
	s_or_b64 exec, exec, s[12:13]
	s_waitcnt vmcnt(0)
	v_cmp_ne_u16_sdwa s[14:15], v38, v54 src0_sel:BYTE_0 src1_sel:DWORD
	s_and_saveexec_b64 s[12:13], s[14:15]
	s_cbranch_execz .LBB900_293
; %bb.288:                              ;   in Loop: Header=BB900_215 Depth=1
	v_cmp_ne_u16_sdwa s[16:17], v38, s9 src0_sel:BYTE_0 src1_sel:DWORD
	v_mov_b32_e32 v59, 0xffff8000
	s_and_saveexec_b64 s[14:15], s[16:17]
	s_cbranch_execz .LBB900_292
; %bb.289:                              ;   in Loop: Header=BB900_215 Depth=1
	v_and_b32_e32 v40, 0x7f, v38
	v_cmp_ne_u32_e32 vcc, s21, v40
	v_mov_b32_e32 v59, 0x7f80
	s_and_saveexec_b64 s[16:17], vcc
	s_cbranch_execz .LBB900_291
; %bb.290:                              ;   in Loop: Header=BB900_215 Depth=1
	v_and_b32_e32 v42, 7, v38
	v_ffbh_u32_e32 v59, v42
	v_min_u32_e32 v59, 32, v59
	v_subrev_u32_e32 v61, 28, v59
	v_lshlrev_b64 v[62:63], v61, v[38:39]
	v_lshrrev_b32_e32 v56, 3, v40
	v_sub_u32_e32 v59, 29, v59
	v_and_b32_e32 v61, 7, v62
	v_cmp_gt_u32_e32 vcc, 8, v40
	v_cndmask_b32_e32 v40, v56, v59, vcc
	v_cndmask_b32_e32 v42, v42, v61, vcc
	v_lshlrev_b32_e32 v56, 24, v38
	v_lshlrev_b32_e32 v42, 20, v42
	v_and_b32_e32 v56, 0x80000000, v56
	v_lshl_add_u32 v40, v40, 23, v55
	v_or3_b32 v40, v56, v40, v42
	v_lshrrev_b32_e32 v59, 16, v40
.LBB900_291:                            ;   in Loop: Header=BB900_215 Depth=1
	s_or_b64 exec, exec, s[16:17]
.LBB900_292:                            ;   in Loop: Header=BB900_215 Depth=1
	s_or_b64 exec, exec, s[14:15]
.LBB900_293:                            ;   in Loop: Header=BB900_215 Depth=1
	s_or_b64 exec, exec, s[12:13]
	v_lshrrev_b16_e32 v40, 8, v38
	v_cmp_ne_u16_e32 vcc, 0, v40
	v_mov_b32_e32 v62, 0
	v_mov_b32_e32 v61, 0
	s_and_saveexec_b64 s[12:13], vcc
	s_cbranch_execz .LBB900_299
; %bb.294:                              ;   in Loop: Header=BB900_215 Depth=1
	v_cmp_ne_u16_e32 vcc, s9, v40
	v_mov_b32_e32 v61, 0xffff8000
	s_and_saveexec_b64 s[14:15], vcc
	s_cbranch_execz .LBB900_298
; %bb.295:                              ;   in Loop: Header=BB900_215 Depth=1
	v_and_b32_e32 v42, 0x7f, v40
	v_cmp_ne_u32_e32 vcc, s21, v42
	v_mov_b32_e32 v61, 0x7f80
	s_and_saveexec_b64 s[16:17], vcc
	s_cbranch_execz .LBB900_297
; %bb.296:                              ;   in Loop: Header=BB900_215 Depth=1
	v_and_b32_e32 v56, 7, v40
	v_ffbh_u32_e32 v63, v56
	v_min_u32_e32 v63, 32, v63
	v_subrev_u32_e32 v64, 28, v63
	v_lshlrev_b64 v[64:65], v64, v[40:41]
	v_lshrrev_b32_e32 v61, 3, v42
	v_sub_u32_e32 v40, 29, v63
	v_and_b32_e32 v63, 7, v64
	v_cmp_gt_u32_e32 vcc, 8, v42
	v_cndmask_b32_e32 v40, v61, v40, vcc
	v_cndmask_b32_e32 v42, v56, v63, vcc
	v_lshlrev_b32_e32 v56, 16, v38
	v_lshlrev_b32_e32 v42, 20, v42
	v_and_b32_e32 v56, 0x80000000, v56
	v_lshl_add_u32 v40, v40, 23, v55
	v_or3_b32 v40, v56, v40, v42
	v_lshrrev_b32_e32 v61, 16, v40
.LBB900_297:                            ;   in Loop: Header=BB900_215 Depth=1
	s_or_b64 exec, exec, s[16:17]
.LBB900_298:                            ;   in Loop: Header=BB900_215 Depth=1
	s_or_b64 exec, exec, s[14:15]
.LBB900_299:                            ;   in Loop: Header=BB900_215 Depth=1
	s_or_b64 exec, exec, s[12:13]
	v_lshrrev_b32_e32 v40, 16, v38
	v_cmp_ne_u16_sdwa s[14:15], v40, v54 src0_sel:BYTE_0 src1_sel:DWORD
	s_and_saveexec_b64 s[12:13], s[14:15]
	s_cbranch_execz .LBB900_305
; %bb.300:                              ;   in Loop: Header=BB900_215 Depth=1
	v_cmp_ne_u16_sdwa s[16:17], v40, s9 src0_sel:BYTE_0 src1_sel:DWORD
	v_mov_b32_e32 v62, 0xffff8000
	s_and_saveexec_b64 s[14:15], s[16:17]
	s_cbranch_execz .LBB900_304
; %bb.301:                              ;   in Loop: Header=BB900_215 Depth=1
	v_bfe_u32 v42, v38, 16, 7
	v_cmp_ne_u32_e32 vcc, s21, v42
	v_mov_b32_e32 v62, 0x7f80
	s_and_saveexec_b64 s[16:17], vcc
	s_cbranch_execz .LBB900_303
; %bb.302:                              ;   in Loop: Header=BB900_215 Depth=1
	v_and_b32_e32 v56, 7, v40
	v_ffbh_u32_e32 v62, v56
	v_min_u32_e32 v65, 32, v62
	v_subrev_u32_e32 v62, 28, v65
	v_lshlrev_b64 v[62:63], v62, v[40:41]
	v_lshrrev_b32_e32 v64, 3, v42
	v_sub_u32_e32 v63, 29, v65
	v_and_b32_e32 v62, 7, v62
	v_cmp_gt_u32_e32 vcc, 8, v42
	v_cndmask_b32_e32 v42, v64, v63, vcc
	v_cndmask_b32_e32 v56, v56, v62, vcc
	v_lshlrev_b32_e32 v40, 24, v40
	v_lshlrev_b32_e32 v56, 20, v56
	v_and_b32_e32 v40, 0x80000000, v40
	v_lshl_add_u32 v42, v42, 23, v55
	v_or3_b32 v40, v40, v42, v56
	v_lshrrev_b32_e32 v62, 16, v40
.LBB900_303:                            ;   in Loop: Header=BB900_215 Depth=1
	s_or_b64 exec, exec, s[16:17]
.LBB900_304:                            ;   in Loop: Header=BB900_215 Depth=1
	s_or_b64 exec, exec, s[14:15]
.LBB900_305:                            ;   in Loop: Header=BB900_215 Depth=1
	s_or_b64 exec, exec, s[12:13]
	v_cmp_lt_u32_e32 vcc, s22, v38
	v_mov_b32_e32 v56, 0
	v_mov_b32_e32 v63, 0
	s_and_saveexec_b64 s[12:13], vcc
	s_cbranch_execz .LBB900_311
; %bb.306:                              ;   in Loop: Header=BB900_215 Depth=1
	v_lshrrev_b32_e32 v40, 24, v38
	v_cmp_ne_u32_e32 vcc, s9, v40
	v_mov_b32_e32 v63, 0xffff8000
	s_and_saveexec_b64 s[14:15], vcc
	s_cbranch_execz .LBB900_310
; %bb.307:                              ;   in Loop: Header=BB900_215 Depth=1
	v_bfe_u32 v38, v38, 24, 7
	v_cmp_ne_u32_e32 vcc, s21, v38
	v_mov_b32_e32 v63, 0x7f80
	s_and_saveexec_b64 s[16:17], vcc
	s_cbranch_execz .LBB900_309
; %bb.308:                              ;   in Loop: Header=BB900_215 Depth=1
	v_and_b32_e32 v42, 7, v40
	v_ffbh_u32_e32 v64, v42
	v_min_u32_e32 v66, 32, v64
	v_subrev_u32_e32 v64, 28, v66
	v_lshlrev_b64 v[64:65], v64, v[40:41]
	v_lshrrev_b32_e32 v63, 3, v38
	v_sub_u32_e32 v65, 29, v66
	v_and_b32_e32 v64, 7, v64
	v_cmp_gt_u32_e32 vcc, 8, v38
	v_cndmask_b32_e32 v38, v63, v65, vcc
	v_cndmask_b32_e32 v42, v42, v64, vcc
	v_lshlrev_b32_e32 v40, 24, v40
	v_lshlrev_b32_e32 v42, 20, v42
	v_and_b32_e32 v40, 0x80000000, v40
	v_lshl_add_u32 v38, v38, 23, v55
	v_or3_b32 v38, v40, v38, v42
	v_lshrrev_b32_e32 v63, 16, v38
.LBB900_309:                            ;   in Loop: Header=BB900_215 Depth=1
	s_or_b64 exec, exec, s[16:17]
.LBB900_310:                            ;   in Loop: Header=BB900_215 Depth=1
	s_or_b64 exec, exec, s[14:15]
.LBB900_311:                            ;   in Loop: Header=BB900_215 Depth=1
	s_or_b64 exec, exec, s[12:13]
	v_perm_b32 v64, v57, v44, s23
	buffer_load_dword v44, v46, s[0:3], 0 offen
	buffer_load_dword v42, v46, s[0:3], 0 offen offset:4
	buffer_load_dword v40, v46, s[0:3], 0 offen offset:8
	buffer_load_dword v38, v46, s[0:3], 0 offen offset:12
	v_perm_b32 v65, v60, v58, s23
	v_perm_b32 v63, v63, v62, s23
	;; [unrolled: 1-line block ×3, first 2 shown]
	v_mfma_f32_16x16x16bf16_1k v[34:37], v[64:65], v[6:7], v[34:37]
	s_waitcnt vmcnt(3)
	v_cmp_ne_u16_sdwa s[14:15], v44, v54 src0_sel:BYTE_0 src1_sel:DWORD
	v_mfma_f32_16x16x16bf16_1k v[34:37], v[62:63], v[8:9], v[34:37]
	s_and_saveexec_b64 s[12:13], s[14:15]
	s_cbranch_execz .LBB900_317
; %bb.312:                              ;   in Loop: Header=BB900_215 Depth=1
	v_cmp_ne_u16_sdwa s[16:17], v44, s9 src0_sel:BYTE_0 src1_sel:DWORD
	v_mov_b32_e32 v56, 0xffff8000
	s_and_saveexec_b64 s[14:15], s[16:17]
	s_cbranch_execz .LBB900_316
; %bb.313:                              ;   in Loop: Header=BB900_215 Depth=1
	v_and_b32_e32 v46, 0x7f, v44
	v_cmp_ne_u32_e32 vcc, s21, v46
	v_mov_b32_e32 v56, 0x7f80
	s_and_saveexec_b64 s[16:17], vcc
	s_cbranch_execz .LBB900_315
; %bb.314:                              ;   in Loop: Header=BB900_215 Depth=1
	v_and_b32_e32 v58, 7, v44
	v_ffbh_u32_e32 v56, v58
	v_min_u32_e32 v60, 32, v56
	v_subrev_u32_e32 v56, 28, v60
	v_lshlrev_b64 v[56:57], v56, v[44:45]
	v_lshrrev_b32_e32 v59, 3, v46
	v_sub_u32_e32 v57, 29, v60
	v_and_b32_e32 v56, 7, v56
	v_cmp_gt_u32_e32 vcc, 8, v46
	v_cndmask_b32_e32 v46, v59, v57, vcc
	v_cndmask_b32_e32 v56, v58, v56, vcc
	v_lshlrev_b32_e32 v57, 24, v44
	v_lshlrev_b32_e32 v56, 20, v56
	v_and_b32_e32 v57, 0x80000000, v57
	v_lshl_add_u32 v46, v46, 23, v55
	v_or3_b32 v46, v57, v46, v56
	v_lshrrev_b32_e32 v56, 16, v46
.LBB900_315:                            ;   in Loop: Header=BB900_215 Depth=1
	s_or_b64 exec, exec, s[16:17]
.LBB900_316:                            ;   in Loop: Header=BB900_215 Depth=1
	s_or_b64 exec, exec, s[14:15]
.LBB900_317:                            ;   in Loop: Header=BB900_215 Depth=1
	s_or_b64 exec, exec, s[12:13]
	v_lshrrev_b16_e32 v46, 8, v44
	v_cmp_ne_u16_e32 vcc, 0, v46
	v_mov_b32_e32 v58, 0
	v_mov_b32_e32 v57, 0
	s_and_saveexec_b64 s[12:13], vcc
	s_cbranch_execz .LBB900_323
; %bb.318:                              ;   in Loop: Header=BB900_215 Depth=1
	v_cmp_ne_u16_e32 vcc, s9, v46
	v_mov_b32_e32 v57, 0xffff8000
	s_and_saveexec_b64 s[14:15], vcc
	s_cbranch_execz .LBB900_322
; %bb.319:                              ;   in Loop: Header=BB900_215 Depth=1
	v_and_b32_e32 v59, 0x7f, v46
	v_cmp_ne_u32_e32 vcc, s21, v59
	v_mov_b32_e32 v57, 0x7f80
	s_and_saveexec_b64 s[16:17], vcc
	s_cbranch_execz .LBB900_321
; %bb.320:                              ;   in Loop: Header=BB900_215 Depth=1
	v_and_b32_e32 v57, 7, v46
	v_ffbh_u32_e32 v60, v57
	v_min_u32_e32 v63, 32, v60
	v_subrev_u32_e32 v60, 28, v63
	v_lshlrev_b64 v[60:61], v60, v[46:47]
	v_lshrrev_b32_e32 v62, 3, v59
	v_sub_u32_e32 v46, 29, v63
	v_and_b32_e32 v60, 7, v60
	v_cmp_gt_u32_e32 vcc, 8, v59
	v_cndmask_b32_e32 v46, v62, v46, vcc
	v_cndmask_b32_e32 v57, v57, v60, vcc
	v_lshlrev_b32_e32 v59, 16, v44
	v_lshlrev_b32_e32 v57, 20, v57
	v_and_b32_e32 v59, 0x80000000, v59
	v_lshl_add_u32 v46, v46, 23, v55
	v_or3_b32 v46, v59, v46, v57
	v_lshrrev_b32_e32 v57, 16, v46
.LBB900_321:                            ;   in Loop: Header=BB900_215 Depth=1
	s_or_b64 exec, exec, s[16:17]
.LBB900_322:                            ;   in Loop: Header=BB900_215 Depth=1
	s_or_b64 exec, exec, s[14:15]
.LBB900_323:                            ;   in Loop: Header=BB900_215 Depth=1
	s_or_b64 exec, exec, s[12:13]
	v_lshrrev_b32_e32 v46, 16, v44
	v_cmp_ne_u16_sdwa s[14:15], v46, v54 src0_sel:BYTE_0 src1_sel:DWORD
	s_and_saveexec_b64 s[12:13], s[14:15]
	s_cbranch_execz .LBB900_329
; %bb.324:                              ;   in Loop: Header=BB900_215 Depth=1
	v_cmp_ne_u16_sdwa s[16:17], v46, s9 src0_sel:BYTE_0 src1_sel:DWORD
	v_mov_b32_e32 v58, 0xffff8000
	s_and_saveexec_b64 s[14:15], s[16:17]
	s_cbranch_execz .LBB900_328
; %bb.325:                              ;   in Loop: Header=BB900_215 Depth=1
	v_bfe_u32 v59, v44, 16, 7
	v_cmp_ne_u32_e32 vcc, s21, v59
	v_mov_b32_e32 v58, 0x7f80
	s_and_saveexec_b64 s[16:17], vcc
	s_cbranch_execz .LBB900_327
; %bb.326:                              ;   in Loop: Header=BB900_215 Depth=1
	v_and_b32_e32 v58, 7, v46
	v_ffbh_u32_e32 v60, v58
	v_min_u32_e32 v63, 32, v60
	v_subrev_u32_e32 v60, 28, v63
	v_lshlrev_b64 v[60:61], v60, v[46:47]
	v_lshrrev_b32_e32 v62, 3, v59
	v_sub_u32_e32 v61, 29, v63
	v_and_b32_e32 v60, 7, v60
	v_cmp_gt_u32_e32 vcc, 8, v59
	v_cndmask_b32_e32 v59, v62, v61, vcc
	v_cndmask_b32_e32 v58, v58, v60, vcc
	v_lshlrev_b32_e32 v46, 24, v46
	v_lshlrev_b32_e32 v58, 20, v58
	v_and_b32_e32 v46, 0x80000000, v46
	v_lshl_add_u32 v59, v59, 23, v55
	v_or3_b32 v46, v46, v59, v58
	v_lshrrev_b32_e32 v58, 16, v46
.LBB900_327:                            ;   in Loop: Header=BB900_215 Depth=1
	s_or_b64 exec, exec, s[16:17]
.LBB900_328:                            ;   in Loop: Header=BB900_215 Depth=1
	s_or_b64 exec, exec, s[14:15]
.LBB900_329:                            ;   in Loop: Header=BB900_215 Depth=1
	s_or_b64 exec, exec, s[12:13]
	v_cmp_lt_u32_e32 vcc, s22, v44
	v_mov_b32_e32 v59, 0
	v_mov_b32_e32 v60, 0
	s_and_saveexec_b64 s[12:13], vcc
	s_cbranch_execz .LBB900_335
; %bb.330:                              ;   in Loop: Header=BB900_215 Depth=1
	v_lshrrev_b32_e32 v46, 24, v44
	v_cmp_ne_u32_e32 vcc, s9, v46
	v_mov_b32_e32 v60, 0xffff8000
	s_and_saveexec_b64 s[14:15], vcc
	s_cbranch_execz .LBB900_334
; %bb.331:                              ;   in Loop: Header=BB900_215 Depth=1
	v_bfe_u32 v44, v44, 24, 7
	v_cmp_ne_u32_e32 vcc, s21, v44
	v_mov_b32_e32 v60, 0x7f80
	s_and_saveexec_b64 s[16:17], vcc
	s_cbranch_execz .LBB900_333
; %bb.332:                              ;   in Loop: Header=BB900_215 Depth=1
	v_and_b32_e32 v62, 7, v46
	v_ffbh_u32_e32 v60, v62
	v_min_u32_e32 v64, 32, v60
	v_subrev_u32_e32 v60, 28, v64
	v_lshlrev_b64 v[60:61], v60, v[46:47]
	v_lshrrev_b32_e32 v63, 3, v44
	v_sub_u32_e32 v61, 29, v64
	v_and_b32_e32 v60, 7, v60
	v_cmp_gt_u32_e32 vcc, 8, v44
	v_cndmask_b32_e32 v44, v63, v61, vcc
	v_cndmask_b32_e32 v60, v62, v60, vcc
	v_lshlrev_b32_e32 v46, 24, v46
	v_lshlrev_b32_e32 v60, 20, v60
	v_and_b32_e32 v46, 0x80000000, v46
	v_lshl_add_u32 v44, v44, 23, v55
	v_or3_b32 v44, v46, v44, v60
	v_lshrrev_b32_e32 v60, 16, v44
.LBB900_333:                            ;   in Loop: Header=BB900_215 Depth=1
	s_or_b64 exec, exec, s[16:17]
.LBB900_334:                            ;   in Loop: Header=BB900_215 Depth=1
	s_or_b64 exec, exec, s[14:15]
.LBB900_335:                            ;   in Loop: Header=BB900_215 Depth=1
	s_or_b64 exec, exec, s[12:13]
	s_waitcnt vmcnt(2)
	v_cmp_ne_u16_sdwa s[14:15], v42, v54 src0_sel:BYTE_0 src1_sel:DWORD
	s_and_saveexec_b64 s[12:13], s[14:15]
	s_cbranch_execz .LBB900_341
; %bb.336:                              ;   in Loop: Header=BB900_215 Depth=1
	v_cmp_ne_u16_sdwa s[16:17], v42, s9 src0_sel:BYTE_0 src1_sel:DWORD
	v_mov_b32_e32 v59, 0xffff8000
	s_and_saveexec_b64 s[14:15], s[16:17]
	s_cbranch_execz .LBB900_340
; %bb.337:                              ;   in Loop: Header=BB900_215 Depth=1
	v_and_b32_e32 v44, 0x7f, v42
	v_cmp_ne_u32_e32 vcc, s21, v44
	v_mov_b32_e32 v59, 0x7f80
	s_and_saveexec_b64 s[16:17], vcc
	s_cbranch_execz .LBB900_339
; %bb.338:                              ;   in Loop: Header=BB900_215 Depth=1
	v_and_b32_e32 v46, 7, v42
	v_ffbh_u32_e32 v61, v46
	v_min_u32_e32 v61, 32, v61
	v_subrev_u32_e32 v62, 28, v61
	v_lshlrev_b64 v[62:63], v62, v[42:43]
	v_lshrrev_b32_e32 v59, 3, v44
	v_sub_u32_e32 v61, 29, v61
	v_and_b32_e32 v62, 7, v62
	v_cmp_gt_u32_e32 vcc, 8, v44
	v_cndmask_b32_e32 v44, v59, v61, vcc
	v_cndmask_b32_e32 v46, v46, v62, vcc
	v_lshlrev_b32_e32 v59, 24, v42
	v_lshlrev_b32_e32 v46, 20, v46
	v_and_b32_e32 v59, 0x80000000, v59
	v_lshl_add_u32 v44, v44, 23, v55
	v_or3_b32 v44, v59, v44, v46
	v_lshrrev_b32_e32 v59, 16, v44
.LBB900_339:                            ;   in Loop: Header=BB900_215 Depth=1
	s_or_b64 exec, exec, s[16:17]
.LBB900_340:                            ;   in Loop: Header=BB900_215 Depth=1
	s_or_b64 exec, exec, s[14:15]
.LBB900_341:                            ;   in Loop: Header=BB900_215 Depth=1
	s_or_b64 exec, exec, s[12:13]
	v_lshrrev_b16_e32 v44, 8, v42
	v_cmp_ne_u16_e32 vcc, 0, v44
	v_mov_b32_e32 v62, 0
	v_mov_b32_e32 v61, 0
	s_and_saveexec_b64 s[12:13], vcc
	s_cbranch_execz .LBB900_347
; %bb.342:                              ;   in Loop: Header=BB900_215 Depth=1
	v_cmp_ne_u16_e32 vcc, s9, v44
	v_mov_b32_e32 v61, 0xffff8000
	s_and_saveexec_b64 s[14:15], vcc
	s_cbranch_execz .LBB900_346
; %bb.343:                              ;   in Loop: Header=BB900_215 Depth=1
	v_and_b32_e32 v46, 0x7f, v44
	v_cmp_ne_u32_e32 vcc, s21, v46
	v_mov_b32_e32 v61, 0x7f80
	s_and_saveexec_b64 s[16:17], vcc
	s_cbranch_execz .LBB900_345
; %bb.344:                              ;   in Loop: Header=BB900_215 Depth=1
	v_and_b32_e32 v61, 7, v44
	v_ffbh_u32_e32 v64, v61
	v_min_u32_e32 v66, 32, v64
	v_subrev_u32_e32 v64, 28, v66
	v_lshlrev_b64 v[64:65], v64, v[44:45]
	v_lshrrev_b32_e32 v63, 3, v46
	v_sub_u32_e32 v44, 29, v66
	v_and_b32_e32 v64, 7, v64
	v_cmp_gt_u32_e32 vcc, 8, v46
	v_cndmask_b32_e32 v44, v63, v44, vcc
	v_cndmask_b32_e32 v46, v61, v64, vcc
	v_lshlrev_b32_e32 v61, 16, v42
	v_lshlrev_b32_e32 v46, 20, v46
	v_and_b32_e32 v61, 0x80000000, v61
	v_lshl_add_u32 v44, v44, 23, v55
	v_or3_b32 v44, v61, v44, v46
	v_lshrrev_b32_e32 v61, 16, v44
.LBB900_345:                            ;   in Loop: Header=BB900_215 Depth=1
	s_or_b64 exec, exec, s[16:17]
.LBB900_346:                            ;   in Loop: Header=BB900_215 Depth=1
	s_or_b64 exec, exec, s[14:15]
.LBB900_347:                            ;   in Loop: Header=BB900_215 Depth=1
	s_or_b64 exec, exec, s[12:13]
	v_lshrrev_b32_e32 v44, 16, v42
	v_cmp_ne_u16_sdwa s[14:15], v44, v54 src0_sel:BYTE_0 src1_sel:DWORD
	s_and_saveexec_b64 s[12:13], s[14:15]
	s_cbranch_execz .LBB900_353
; %bb.348:                              ;   in Loop: Header=BB900_215 Depth=1
	v_cmp_ne_u16_sdwa s[16:17], v44, s9 src0_sel:BYTE_0 src1_sel:DWORD
	v_mov_b32_e32 v62, 0xffff8000
	s_and_saveexec_b64 s[14:15], s[16:17]
	s_cbranch_execz .LBB900_352
; %bb.349:                              ;   in Loop: Header=BB900_215 Depth=1
	v_bfe_u32 v46, v42, 16, 7
	v_cmp_ne_u32_e32 vcc, s21, v46
	v_mov_b32_e32 v62, 0x7f80
	s_and_saveexec_b64 s[16:17], vcc
	s_cbranch_execz .LBB900_351
; %bb.350:                              ;   in Loop: Header=BB900_215 Depth=1
	v_and_b32_e32 v64, 7, v44
	v_ffbh_u32_e32 v62, v64
	v_min_u32_e32 v66, 32, v62
	v_subrev_u32_e32 v62, 28, v66
	v_lshlrev_b64 v[62:63], v62, v[44:45]
	v_lshrrev_b32_e32 v65, 3, v46
	v_sub_u32_e32 v63, 29, v66
	v_and_b32_e32 v62, 7, v62
	v_cmp_gt_u32_e32 vcc, 8, v46
	v_cndmask_b32_e32 v46, v65, v63, vcc
	v_cndmask_b32_e32 v62, v64, v62, vcc
	v_lshlrev_b32_e32 v44, 24, v44
	v_lshlrev_b32_e32 v62, 20, v62
	v_and_b32_e32 v44, 0x80000000, v44
	v_lshl_add_u32 v46, v46, 23, v55
	v_or3_b32 v44, v44, v46, v62
	v_lshrrev_b32_e32 v62, 16, v44
.LBB900_351:                            ;   in Loop: Header=BB900_215 Depth=1
	s_or_b64 exec, exec, s[16:17]
.LBB900_352:                            ;   in Loop: Header=BB900_215 Depth=1
	s_or_b64 exec, exec, s[14:15]
.LBB900_353:                            ;   in Loop: Header=BB900_215 Depth=1
	s_or_b64 exec, exec, s[12:13]
	v_cmp_lt_u32_e32 vcc, s22, v42
	v_mov_b32_e32 v46, 0
	v_mov_b32_e32 v63, 0
	s_and_saveexec_b64 s[12:13], vcc
	s_cbranch_execz .LBB900_359
; %bb.354:                              ;   in Loop: Header=BB900_215 Depth=1
	v_lshrrev_b32_e32 v44, 24, v42
	v_cmp_ne_u32_e32 vcc, s9, v44
	v_mov_b32_e32 v63, 0xffff8000
	s_and_saveexec_b64 s[14:15], vcc
	s_cbranch_execz .LBB900_358
; %bb.355:                              ;   in Loop: Header=BB900_215 Depth=1
	v_bfe_u32 v42, v42, 24, 7
	v_cmp_ne_u32_e32 vcc, s21, v42
	v_mov_b32_e32 v63, 0x7f80
	s_and_saveexec_b64 s[16:17], vcc
	s_cbranch_execz .LBB900_357
; %bb.356:                              ;   in Loop: Header=BB900_215 Depth=1
	v_and_b32_e32 v63, 7, v44
	v_ffbh_u32_e32 v64, v63
	v_min_u32_e32 v67, 32, v64
	v_subrev_u32_e32 v64, 28, v67
	v_lshlrev_b64 v[64:65], v64, v[44:45]
	v_lshrrev_b32_e32 v66, 3, v42
	v_sub_u32_e32 v65, 29, v67
	v_and_b32_e32 v64, 7, v64
	v_cmp_gt_u32_e32 vcc, 8, v42
	v_cndmask_b32_e32 v42, v66, v65, vcc
	v_cndmask_b32_e32 v63, v63, v64, vcc
	v_lshlrev_b32_e32 v44, 24, v44
	v_lshlrev_b32_e32 v63, 20, v63
	v_and_b32_e32 v44, 0x80000000, v44
	v_lshl_add_u32 v42, v42, 23, v55
	v_or3_b32 v42, v44, v42, v63
	v_lshrrev_b32_e32 v63, 16, v42
.LBB900_357:                            ;   in Loop: Header=BB900_215 Depth=1
	s_or_b64 exec, exec, s[16:17]
.LBB900_358:                            ;   in Loop: Header=BB900_215 Depth=1
	s_or_b64 exec, exec, s[14:15]
.LBB900_359:                            ;   in Loop: Header=BB900_215 Depth=1
	s_or_b64 exec, exec, s[12:13]
	v_perm_b32 v65, v60, v58, s23
	v_perm_b32 v64, v57, v56, s23
	;; [unrolled: 1-line block ×4, first 2 shown]
	s_waitcnt vmcnt(1)
	v_cmp_ne_u16_sdwa s[14:15], v40, v54 src0_sel:BYTE_0 src1_sel:DWORD
	v_mfma_f32_16x16x16bf16_1k v[34:37], v[64:65], v[10:11], v[34:37]
	v_mfma_f32_16x16x16bf16_1k v[34:37], v[56:57], v[12:13], v[34:37]
	s_and_saveexec_b64 s[12:13], s[14:15]
	s_cbranch_execz .LBB900_365
; %bb.360:                              ;   in Loop: Header=BB900_215 Depth=1
	v_cmp_ne_u16_sdwa s[16:17], v40, s9 src0_sel:BYTE_0 src1_sel:DWORD
	v_mov_b32_e32 v46, 0xffff8000
	s_and_saveexec_b64 s[14:15], s[16:17]
	s_cbranch_execz .LBB900_364
; %bb.361:                              ;   in Loop: Header=BB900_215 Depth=1
	v_and_b32_e32 v42, 0x7f, v40
	v_cmp_ne_u32_e32 vcc, s21, v42
	v_mov_b32_e32 v46, 0x7f80
	s_and_saveexec_b64 s[16:17], vcc
	s_cbranch_execz .LBB900_363
; %bb.362:                              ;   in Loop: Header=BB900_215 Depth=1
	v_and_b32_e32 v44, 7, v40
	v_ffbh_u32_e32 v56, v44
	v_min_u32_e32 v58, 32, v56
	v_subrev_u32_e32 v56, 28, v58
	v_lshlrev_b64 v[56:57], v56, v[40:41]
	v_lshrrev_b32_e32 v46, 3, v42
	v_sub_u32_e32 v57, 29, v58
	v_and_b32_e32 v56, 7, v56
	v_cmp_gt_u32_e32 vcc, 8, v42
	v_cndmask_b32_e32 v42, v46, v57, vcc
	v_cndmask_b32_e32 v44, v44, v56, vcc
	v_lshlrev_b32_e32 v46, 24, v40
	v_lshlrev_b32_e32 v44, 20, v44
	v_and_b32_e32 v46, 0x80000000, v46
	v_lshl_add_u32 v42, v42, 23, v55
	v_or3_b32 v42, v46, v42, v44
	v_lshrrev_b32_e32 v46, 16, v42
.LBB900_363:                            ;   in Loop: Header=BB900_215 Depth=1
	s_or_b64 exec, exec, s[16:17]
.LBB900_364:                            ;   in Loop: Header=BB900_215 Depth=1
	s_or_b64 exec, exec, s[14:15]
.LBB900_365:                            ;   in Loop: Header=BB900_215 Depth=1
	s_or_b64 exec, exec, s[12:13]
	v_lshrrev_b16_e32 v42, 8, v40
	v_cmp_ne_u16_e32 vcc, 0, v42
	v_mov_b32_e32 v57, 0
	v_mov_b32_e32 v44, 0
	s_and_saveexec_b64 s[12:13], vcc
	s_cbranch_execz .LBB900_371
; %bb.366:                              ;   in Loop: Header=BB900_215 Depth=1
	v_cmp_ne_u16_e32 vcc, s9, v42
	v_mov_b32_e32 v44, 0xffff8000
	s_and_saveexec_b64 s[14:15], vcc
	s_cbranch_execz .LBB900_370
; %bb.367:                              ;   in Loop: Header=BB900_215 Depth=1
	v_and_b32_e32 v56, 0x7f, v42
	v_cmp_ne_u32_e32 vcc, s21, v56
	v_mov_b32_e32 v44, 0x7f80
	s_and_saveexec_b64 s[16:17], vcc
	s_cbranch_execz .LBB900_369
; %bb.368:                              ;   in Loop: Header=BB900_215 Depth=1
	v_and_b32_e32 v44, 7, v42
	v_ffbh_u32_e32 v58, v44
	v_min_u32_e32 v61, 32, v58
	v_subrev_u32_e32 v58, 28, v61
	v_lshlrev_b64 v[58:59], v58, v[42:43]
	v_lshrrev_b32_e32 v60, 3, v56
	v_sub_u32_e32 v42, 29, v61
	v_and_b32_e32 v58, 7, v58
	v_cmp_gt_u32_e32 vcc, 8, v56
	v_cndmask_b32_e32 v42, v60, v42, vcc
	v_cndmask_b32_e32 v44, v44, v58, vcc
	v_lshlrev_b32_e32 v56, 16, v40
	v_lshlrev_b32_e32 v44, 20, v44
	v_and_b32_e32 v56, 0x80000000, v56
	v_lshl_add_u32 v42, v42, 23, v55
	v_or3_b32 v42, v56, v42, v44
	v_lshrrev_b32_e32 v44, 16, v42
.LBB900_369:                            ;   in Loop: Header=BB900_215 Depth=1
	s_or_b64 exec, exec, s[16:17]
.LBB900_370:                            ;   in Loop: Header=BB900_215 Depth=1
	s_or_b64 exec, exec, s[14:15]
.LBB900_371:                            ;   in Loop: Header=BB900_215 Depth=1
	s_or_b64 exec, exec, s[12:13]
	v_lshrrev_b32_e32 v42, 16, v40
	v_cmp_ne_u16_sdwa s[14:15], v42, v54 src0_sel:BYTE_0 src1_sel:DWORD
	s_and_saveexec_b64 s[12:13], s[14:15]
	s_cbranch_execz .LBB900_377
; %bb.372:                              ;   in Loop: Header=BB900_215 Depth=1
	v_cmp_ne_u16_sdwa s[16:17], v42, s9 src0_sel:BYTE_0 src1_sel:DWORD
	v_mov_b32_e32 v57, 0xffff8000
	s_and_saveexec_b64 s[14:15], s[16:17]
	s_cbranch_execz .LBB900_376
; %bb.373:                              ;   in Loop: Header=BB900_215 Depth=1
	v_bfe_u32 v56, v40, 16, 7
	v_cmp_ne_u32_e32 vcc, s21, v56
	v_mov_b32_e32 v57, 0x7f80
	s_and_saveexec_b64 s[16:17], vcc
	s_cbranch_execz .LBB900_375
; %bb.374:                              ;   in Loop: Header=BB900_215 Depth=1
	v_and_b32_e32 v57, 7, v42
	v_ffbh_u32_e32 v58, v57
	v_min_u32_e32 v61, 32, v58
	v_subrev_u32_e32 v58, 28, v61
	v_lshlrev_b64 v[58:59], v58, v[42:43]
	v_lshrrev_b32_e32 v60, 3, v56
	v_sub_u32_e32 v59, 29, v61
	v_and_b32_e32 v58, 7, v58
	v_cmp_gt_u32_e32 vcc, 8, v56
	v_cndmask_b32_e32 v56, v60, v59, vcc
	v_cndmask_b32_e32 v57, v57, v58, vcc
	v_lshlrev_b32_e32 v42, 24, v42
	v_lshlrev_b32_e32 v57, 20, v57
	v_and_b32_e32 v42, 0x80000000, v42
	v_lshl_add_u32 v56, v56, 23, v55
	v_or3_b32 v42, v42, v56, v57
	v_lshrrev_b32_e32 v57, 16, v42
.LBB900_375:                            ;   in Loop: Header=BB900_215 Depth=1
	s_or_b64 exec, exec, s[16:17]
.LBB900_376:                            ;   in Loop: Header=BB900_215 Depth=1
	s_or_b64 exec, exec, s[14:15]
.LBB900_377:                            ;   in Loop: Header=BB900_215 Depth=1
	s_or_b64 exec, exec, s[12:13]
	v_cmp_lt_u32_e32 vcc, s22, v40
	v_mov_b32_e32 v58, 0
	v_mov_b32_e32 v59, 0
	s_and_saveexec_b64 s[12:13], vcc
	s_cbranch_execz .LBB900_383
; %bb.378:                              ;   in Loop: Header=BB900_215 Depth=1
	v_lshrrev_b32_e32 v42, 24, v40
	v_cmp_ne_u32_e32 vcc, s9, v42
	v_mov_b32_e32 v59, 0xffff8000
	s_and_saveexec_b64 s[14:15], vcc
	s_cbranch_execz .LBB900_382
; %bb.379:                              ;   in Loop: Header=BB900_215 Depth=1
	v_bfe_u32 v40, v40, 24, 7
	v_cmp_ne_u32_e32 vcc, s21, v40
	v_mov_b32_e32 v59, 0x7f80
	s_and_saveexec_b64 s[16:17], vcc
	s_cbranch_execz .LBB900_381
; %bb.380:                              ;   in Loop: Header=BB900_215 Depth=1
	v_and_b32_e32 v56, 7, v42
	v_ffbh_u32_e32 v60, v56
	v_min_u32_e32 v62, 32, v60
	v_subrev_u32_e32 v60, 28, v62
	v_lshlrev_b64 v[60:61], v60, v[42:43]
	v_lshrrev_b32_e32 v59, 3, v40
	v_sub_u32_e32 v61, 29, v62
	v_and_b32_e32 v60, 7, v60
	v_cmp_gt_u32_e32 vcc, 8, v40
	v_cndmask_b32_e32 v40, v59, v61, vcc
	v_cndmask_b32_e32 v56, v56, v60, vcc
	v_lshlrev_b32_e32 v42, 24, v42
	v_lshlrev_b32_e32 v56, 20, v56
	v_and_b32_e32 v42, 0x80000000, v42
	v_lshl_add_u32 v40, v40, 23, v55
	v_or3_b32 v40, v42, v40, v56
	v_lshrrev_b32_e32 v59, 16, v40
.LBB900_381:                            ;   in Loop: Header=BB900_215 Depth=1
	s_or_b64 exec, exec, s[16:17]
.LBB900_382:                            ;   in Loop: Header=BB900_215 Depth=1
	s_or_b64 exec, exec, s[14:15]
.LBB900_383:                            ;   in Loop: Header=BB900_215 Depth=1
	s_or_b64 exec, exec, s[12:13]
	s_waitcnt vmcnt(0)
	v_cmp_ne_u16_sdwa s[14:15], v38, v54 src0_sel:BYTE_0 src1_sel:DWORD
	s_and_saveexec_b64 s[12:13], s[14:15]
	s_cbranch_execz .LBB900_389
; %bb.384:                              ;   in Loop: Header=BB900_215 Depth=1
	v_cmp_ne_u16_sdwa s[16:17], v38, s9 src0_sel:BYTE_0 src1_sel:DWORD
	v_mov_b32_e32 v58, 0xffff8000
	s_and_saveexec_b64 s[14:15], s[16:17]
	s_cbranch_execz .LBB900_388
; %bb.385:                              ;   in Loop: Header=BB900_215 Depth=1
	v_and_b32_e32 v40, 0x7f, v38
	v_cmp_ne_u32_e32 vcc, s21, v40
	v_mov_b32_e32 v58, 0x7f80
	s_and_saveexec_b64 s[16:17], vcc
	s_cbranch_execz .LBB900_387
; %bb.386:                              ;   in Loop: Header=BB900_215 Depth=1
	v_and_b32_e32 v42, 7, v38
	v_ffbh_u32_e32 v58, v42
	v_min_u32_e32 v58, 32, v58
	v_subrev_u32_e32 v60, 28, v58
	v_lshlrev_b64 v[60:61], v60, v[38:39]
	v_lshrrev_b32_e32 v56, 3, v40
	v_sub_u32_e32 v58, 29, v58
	v_and_b32_e32 v60, 7, v60
	v_cmp_gt_u32_e32 vcc, 8, v40
	v_cndmask_b32_e32 v40, v56, v58, vcc
	v_cndmask_b32_e32 v42, v42, v60, vcc
	v_lshlrev_b32_e32 v56, 24, v38
	v_lshlrev_b32_e32 v42, 20, v42
	v_and_b32_e32 v56, 0x80000000, v56
	v_lshl_add_u32 v40, v40, 23, v55
	v_or3_b32 v40, v56, v40, v42
	v_lshrrev_b32_e32 v58, 16, v40
.LBB900_387:                            ;   in Loop: Header=BB900_215 Depth=1
	s_or_b64 exec, exec, s[16:17]
.LBB900_388:                            ;   in Loop: Header=BB900_215 Depth=1
	s_or_b64 exec, exec, s[14:15]
.LBB900_389:                            ;   in Loop: Header=BB900_215 Depth=1
	s_or_b64 exec, exec, s[12:13]
	v_lshrrev_b16_e32 v40, 8, v38
	v_cmp_ne_u16_e32 vcc, 0, v40
	v_mov_b32_e32 v61, 0
	v_mov_b32_e32 v60, 0
	s_and_saveexec_b64 s[12:13], vcc
	s_cbranch_execz .LBB900_395
; %bb.390:                              ;   in Loop: Header=BB900_215 Depth=1
	v_cmp_ne_u16_e32 vcc, s9, v40
	v_mov_b32_e32 v60, 0xffff8000
	s_and_saveexec_b64 s[14:15], vcc
	s_cbranch_execz .LBB900_394
; %bb.391:                              ;   in Loop: Header=BB900_215 Depth=1
	v_and_b32_e32 v42, 0x7f, v40
	v_cmp_ne_u32_e32 vcc, s21, v42
	v_mov_b32_e32 v60, 0x7f80
	s_and_saveexec_b64 s[16:17], vcc
	s_cbranch_execz .LBB900_393
; %bb.392:                              ;   in Loop: Header=BB900_215 Depth=1
	v_and_b32_e32 v56, 7, v40
	v_ffbh_u32_e32 v62, v56
	v_min_u32_e32 v64, 32, v62
	v_subrev_u32_e32 v62, 28, v64
	v_lshlrev_b64 v[62:63], v62, v[40:41]
	v_lshrrev_b32_e32 v60, 3, v42
	v_sub_u32_e32 v40, 29, v64
	v_and_b32_e32 v62, 7, v62
	v_cmp_gt_u32_e32 vcc, 8, v42
	v_cndmask_b32_e32 v40, v60, v40, vcc
	v_cndmask_b32_e32 v42, v56, v62, vcc
	v_lshlrev_b32_e32 v56, 16, v38
	v_lshlrev_b32_e32 v42, 20, v42
	v_and_b32_e32 v56, 0x80000000, v56
	v_lshl_add_u32 v40, v40, 23, v55
	v_or3_b32 v40, v56, v40, v42
	v_lshrrev_b32_e32 v60, 16, v40
.LBB900_393:                            ;   in Loop: Header=BB900_215 Depth=1
	s_or_b64 exec, exec, s[16:17]
.LBB900_394:                            ;   in Loop: Header=BB900_215 Depth=1
	s_or_b64 exec, exec, s[14:15]
.LBB900_395:                            ;   in Loop: Header=BB900_215 Depth=1
	s_or_b64 exec, exec, s[12:13]
	v_lshrrev_b32_e32 v40, 16, v38
	v_cmp_ne_u16_sdwa s[14:15], v40, v54 src0_sel:BYTE_0 src1_sel:DWORD
	s_and_saveexec_b64 s[12:13], s[14:15]
	s_cbranch_execz .LBB900_401
; %bb.396:                              ;   in Loop: Header=BB900_215 Depth=1
	v_cmp_ne_u16_sdwa s[16:17], v40, s9 src0_sel:BYTE_0 src1_sel:DWORD
	v_mov_b32_e32 v61, 0xffff8000
	s_and_saveexec_b64 s[14:15], s[16:17]
	s_cbranch_execz .LBB900_400
; %bb.397:                              ;   in Loop: Header=BB900_215 Depth=1
	v_bfe_u32 v42, v38, 16, 7
	v_cmp_ne_u32_e32 vcc, s21, v42
	v_mov_b32_e32 v61, 0x7f80
	s_and_saveexec_b64 s[16:17], vcc
	s_cbranch_execz .LBB900_399
; %bb.398:                              ;   in Loop: Header=BB900_215 Depth=1
	v_and_b32_e32 v56, 7, v40
	v_ffbh_u32_e32 v62, v56
	v_min_u32_e32 v64, 32, v62
	v_subrev_u32_e32 v62, 28, v64
	v_lshlrev_b64 v[62:63], v62, v[40:41]
	v_lshrrev_b32_e32 v61, 3, v42
	v_sub_u32_e32 v63, 29, v64
	v_and_b32_e32 v62, 7, v62
	v_cmp_gt_u32_e32 vcc, 8, v42
	v_cndmask_b32_e32 v42, v61, v63, vcc
	v_cndmask_b32_e32 v56, v56, v62, vcc
	v_lshlrev_b32_e32 v40, 24, v40
	v_lshlrev_b32_e32 v56, 20, v56
	v_and_b32_e32 v40, 0x80000000, v40
	v_lshl_add_u32 v42, v42, 23, v55
	v_or3_b32 v40, v40, v42, v56
	v_lshrrev_b32_e32 v61, 16, v40
.LBB900_399:                            ;   in Loop: Header=BB900_215 Depth=1
	s_or_b64 exec, exec, s[16:17]
.LBB900_400:                            ;   in Loop: Header=BB900_215 Depth=1
	s_or_b64 exec, exec, s[14:15]
.LBB900_401:                            ;   in Loop: Header=BB900_215 Depth=1
	s_or_b64 exec, exec, s[12:13]
	v_cmp_lt_u32_e32 vcc, s22, v38
	v_mov_b32_e32 v56, 0
	v_mov_b32_e32 v62, 0
	s_and_saveexec_b64 s[12:13], vcc
	s_cbranch_execz .LBB900_407
; %bb.402:                              ;   in Loop: Header=BB900_215 Depth=1
	v_lshrrev_b32_e32 v40, 24, v38
	v_cmp_ne_u32_e32 vcc, s9, v40
	v_mov_b32_e32 v62, 0xffff8000
	s_and_saveexec_b64 s[14:15], vcc
	s_cbranch_execz .LBB900_406
; %bb.403:                              ;   in Loop: Header=BB900_215 Depth=1
	v_bfe_u32 v38, v38, 24, 7
	v_cmp_ne_u32_e32 vcc, s21, v38
	v_mov_b32_e32 v62, 0x7f80
	s_and_saveexec_b64 s[16:17], vcc
	s_cbranch_execz .LBB900_405
; %bb.404:                              ;   in Loop: Header=BB900_215 Depth=1
	v_and_b32_e32 v42, 7, v40
	v_ffbh_u32_e32 v62, v42
	v_min_u32_e32 v65, 32, v62
	v_subrev_u32_e32 v62, 28, v65
	v_lshlrev_b64 v[62:63], v62, v[40:41]
	v_lshrrev_b32_e32 v64, 3, v38
	v_sub_u32_e32 v63, 29, v65
	v_and_b32_e32 v62, 7, v62
	v_cmp_gt_u32_e32 vcc, 8, v38
	v_cndmask_b32_e32 v38, v64, v63, vcc
	v_cndmask_b32_e32 v42, v42, v62, vcc
	v_lshlrev_b32_e32 v40, 24, v40
	v_lshlrev_b32_e32 v42, 20, v42
	v_and_b32_e32 v40, 0x80000000, v40
	v_lshl_add_u32 v38, v38, 23, v55
	v_or3_b32 v38, v40, v38, v42
	v_lshrrev_b32_e32 v62, 16, v38
.LBB900_405:                            ;   in Loop: Header=BB900_215 Depth=1
	s_or_b64 exec, exec, s[16:17]
.LBB900_406:                            ;   in Loop: Header=BB900_215 Depth=1
	s_or_b64 exec, exec, s[14:15]
.LBB900_407:                            ;   in Loop: Header=BB900_215 Depth=1
	s_or_b64 exec, exec, s[12:13]
	v_perm_b32 v64, v44, v46, s23
	buffer_load_dword v44, v51, s[0:3], 0 offen
	buffer_load_dword v42, v51, s[0:3], 0 offen offset:4
	buffer_load_dword v40, v51, s[0:3], 0 offen offset:8
	;; [unrolled: 1-line block ×3, first 2 shown]
	v_perm_b32 v65, v59, v57, s23
	v_perm_b32 v59, v62, v61, s23
	;; [unrolled: 1-line block ×3, first 2 shown]
	v_mfma_f32_16x16x16bf16_1k v[34:37], v[64:65], v[14:15], v[34:37]
	s_waitcnt vmcnt(3)
	v_cmp_ne_u16_sdwa s[14:15], v44, v54 src0_sel:BYTE_0 src1_sel:DWORD
	v_mfma_f32_16x16x16bf16_1k v[34:37], v[58:59], v[16:17], v[34:37]
	s_and_saveexec_b64 s[12:13], s[14:15]
	s_cbranch_execz .LBB900_413
; %bb.408:                              ;   in Loop: Header=BB900_215 Depth=1
	v_cmp_ne_u16_sdwa s[16:17], v44, s9 src0_sel:BYTE_0 src1_sel:DWORD
	v_mov_b32_e32 v56, 0xffff8000
	s_and_saveexec_b64 s[14:15], s[16:17]
	s_cbranch_execz .LBB900_412
; %bb.409:                              ;   in Loop: Header=BB900_215 Depth=1
	v_and_b32_e32 v46, 0x7f, v44
	v_cmp_ne_u32_e32 vcc, s21, v46
	v_mov_b32_e32 v56, 0x7f80
	s_and_saveexec_b64 s[16:17], vcc
	s_cbranch_execz .LBB900_411
; %bb.410:                              ;   in Loop: Header=BB900_215 Depth=1
	v_and_b32_e32 v51, 7, v44
	v_ffbh_u32_e32 v56, v51
	v_min_u32_e32 v59, 32, v56
	v_subrev_u32_e32 v56, 28, v59
	v_lshlrev_b64 v[56:57], v56, v[44:45]
	v_lshrrev_b32_e32 v58, 3, v46
	v_sub_u32_e32 v57, 29, v59
	v_and_b32_e32 v56, 7, v56
	v_cmp_gt_u32_e32 vcc, 8, v46
	v_cndmask_b32_e32 v46, v58, v57, vcc
	v_cndmask_b32_e32 v51, v51, v56, vcc
	v_lshlrev_b32_e32 v56, 24, v44
	v_lshlrev_b32_e32 v51, 20, v51
	v_and_b32_e32 v56, 0x80000000, v56
	v_lshl_add_u32 v46, v46, 23, v55
	v_or3_b32 v46, v56, v46, v51
	v_lshrrev_b32_e32 v56, 16, v46
.LBB900_411:                            ;   in Loop: Header=BB900_215 Depth=1
	s_or_b64 exec, exec, s[16:17]
.LBB900_412:                            ;   in Loop: Header=BB900_215 Depth=1
	s_or_b64 exec, exec, s[14:15]
.LBB900_413:                            ;   in Loop: Header=BB900_215 Depth=1
	s_or_b64 exec, exec, s[12:13]
	v_lshrrev_b16_e32 v46, 8, v44
	v_cmp_ne_u16_e32 vcc, 0, v46
	v_mov_b32_e32 v57, 0
	v_mov_b32_e32 v51, 0
	s_and_saveexec_b64 s[12:13], vcc
	s_cbranch_execz .LBB900_419
; %bb.414:                              ;   in Loop: Header=BB900_215 Depth=1
	v_cmp_ne_u16_e32 vcc, s9, v46
	v_mov_b32_e32 v51, 0xffff8000
	s_and_saveexec_b64 s[14:15], vcc
	s_cbranch_execz .LBB900_418
; %bb.415:                              ;   in Loop: Header=BB900_215 Depth=1
	v_and_b32_e32 v58, 0x7f, v46
	v_cmp_ne_u32_e32 vcc, s21, v58
	v_mov_b32_e32 v51, 0x7f80
	s_and_saveexec_b64 s[16:17], vcc
	s_cbranch_execz .LBB900_417
; %bb.416:                              ;   in Loop: Header=BB900_215 Depth=1
	v_and_b32_e32 v51, 7, v46
	v_ffbh_u32_e32 v60, v51
	v_min_u32_e32 v62, 32, v60
	v_subrev_u32_e32 v60, 28, v62
	v_lshlrev_b64 v[60:61], v60, v[46:47]
	v_lshrrev_b32_e32 v59, 3, v58
	v_sub_u32_e32 v46, 29, v62
	v_and_b32_e32 v60, 7, v60
	v_cmp_gt_u32_e32 vcc, 8, v58
	v_cndmask_b32_e32 v46, v59, v46, vcc
	v_cndmask_b32_e32 v51, v51, v60, vcc
	v_lshlrev_b32_e32 v58, 16, v44
	v_lshlrev_b32_e32 v51, 20, v51
	v_and_b32_e32 v58, 0x80000000, v58
	v_lshl_add_u32 v46, v46, 23, v55
	v_or3_b32 v46, v58, v46, v51
	v_lshrrev_b32_e32 v51, 16, v46
.LBB900_417:                            ;   in Loop: Header=BB900_215 Depth=1
	s_or_b64 exec, exec, s[16:17]
.LBB900_418:                            ;   in Loop: Header=BB900_215 Depth=1
	s_or_b64 exec, exec, s[14:15]
.LBB900_419:                            ;   in Loop: Header=BB900_215 Depth=1
	s_or_b64 exec, exec, s[12:13]
	v_lshrrev_b32_e32 v46, 16, v44
	v_cmp_ne_u16_sdwa s[14:15], v46, v54 src0_sel:BYTE_0 src1_sel:DWORD
	s_and_saveexec_b64 s[12:13], s[14:15]
	s_cbranch_execz .LBB900_425
; %bb.420:                              ;   in Loop: Header=BB900_215 Depth=1
	v_cmp_ne_u16_sdwa s[16:17], v46, s9 src0_sel:BYTE_0 src1_sel:DWORD
	v_mov_b32_e32 v57, 0xffff8000
	s_and_saveexec_b64 s[14:15], s[16:17]
	s_cbranch_execz .LBB900_424
; %bb.421:                              ;   in Loop: Header=BB900_215 Depth=1
	v_bfe_u32 v58, v44, 16, 7
	v_cmp_ne_u32_e32 vcc, s21, v58
	v_mov_b32_e32 v57, 0x7f80
	s_and_saveexec_b64 s[16:17], vcc
	s_cbranch_execz .LBB900_423
; %bb.422:                              ;   in Loop: Header=BB900_215 Depth=1
	v_and_b32_e32 v57, 7, v46
	v_ffbh_u32_e32 v60, v57
	v_min_u32_e32 v62, 32, v60
	v_subrev_u32_e32 v60, 28, v62
	v_lshlrev_b64 v[60:61], v60, v[46:47]
	v_lshrrev_b32_e32 v59, 3, v58
	v_sub_u32_e32 v61, 29, v62
	v_and_b32_e32 v60, 7, v60
	v_cmp_gt_u32_e32 vcc, 8, v58
	v_cndmask_b32_e32 v58, v59, v61, vcc
	v_cndmask_b32_e32 v57, v57, v60, vcc
	v_lshlrev_b32_e32 v46, 24, v46
	v_lshlrev_b32_e32 v57, 20, v57
	v_and_b32_e32 v46, 0x80000000, v46
	v_lshl_add_u32 v58, v58, 23, v55
	v_or3_b32 v46, v46, v58, v57
	v_lshrrev_b32_e32 v57, 16, v46
.LBB900_423:                            ;   in Loop: Header=BB900_215 Depth=1
	s_or_b64 exec, exec, s[16:17]
.LBB900_424:                            ;   in Loop: Header=BB900_215 Depth=1
	s_or_b64 exec, exec, s[14:15]
.LBB900_425:                            ;   in Loop: Header=BB900_215 Depth=1
	s_or_b64 exec, exec, s[12:13]
	v_cmp_lt_u32_e32 vcc, s22, v44
	v_mov_b32_e32 v58, 0
	v_mov_b32_e32 v59, 0
	s_and_saveexec_b64 s[12:13], vcc
	s_cbranch_execz .LBB900_431
; %bb.426:                              ;   in Loop: Header=BB900_215 Depth=1
	v_lshrrev_b32_e32 v46, 24, v44
	v_cmp_ne_u32_e32 vcc, s9, v46
	v_mov_b32_e32 v59, 0xffff8000
	s_and_saveexec_b64 s[14:15], vcc
	s_cbranch_execz .LBB900_430
; %bb.427:                              ;   in Loop: Header=BB900_215 Depth=1
	v_bfe_u32 v44, v44, 24, 7
	v_cmp_ne_u32_e32 vcc, s21, v44
	v_mov_b32_e32 v59, 0x7f80
	s_and_saveexec_b64 s[16:17], vcc
	s_cbranch_execz .LBB900_429
; %bb.428:                              ;   in Loop: Header=BB900_215 Depth=1
	v_and_b32_e32 v59, 7, v46
	v_ffbh_u32_e32 v60, v59
	v_min_u32_e32 v63, 32, v60
	v_subrev_u32_e32 v60, 28, v63
	v_lshlrev_b64 v[60:61], v60, v[46:47]
	v_lshrrev_b32_e32 v62, 3, v44
	v_sub_u32_e32 v61, 29, v63
	v_and_b32_e32 v60, 7, v60
	v_cmp_gt_u32_e32 vcc, 8, v44
	v_cndmask_b32_e32 v44, v62, v61, vcc
	v_cndmask_b32_e32 v59, v59, v60, vcc
	v_lshlrev_b32_e32 v46, 24, v46
	v_lshlrev_b32_e32 v59, 20, v59
	v_and_b32_e32 v46, 0x80000000, v46
	v_lshl_add_u32 v44, v44, 23, v55
	v_or3_b32 v44, v46, v44, v59
	v_lshrrev_b32_e32 v59, 16, v44
.LBB900_429:                            ;   in Loop: Header=BB900_215 Depth=1
	s_or_b64 exec, exec, s[16:17]
.LBB900_430:                            ;   in Loop: Header=BB900_215 Depth=1
	s_or_b64 exec, exec, s[14:15]
.LBB900_431:                            ;   in Loop: Header=BB900_215 Depth=1
	s_or_b64 exec, exec, s[12:13]
	s_waitcnt vmcnt(2)
	v_cmp_ne_u16_sdwa s[14:15], v42, v54 src0_sel:BYTE_0 src1_sel:DWORD
	s_and_saveexec_b64 s[12:13], s[14:15]
	s_cbranch_execz .LBB900_437
; %bb.432:                              ;   in Loop: Header=BB900_215 Depth=1
	v_cmp_ne_u16_sdwa s[16:17], v42, s9 src0_sel:BYTE_0 src1_sel:DWORD
	v_mov_b32_e32 v58, 0xffff8000
	s_and_saveexec_b64 s[14:15], s[16:17]
	s_cbranch_execz .LBB900_436
; %bb.433:                              ;   in Loop: Header=BB900_215 Depth=1
	v_and_b32_e32 v44, 0x7f, v42
	v_cmp_ne_u32_e32 vcc, s21, v44
	v_mov_b32_e32 v58, 0x7f80
	s_and_saveexec_b64 s[16:17], vcc
	s_cbranch_execz .LBB900_435
; %bb.434:                              ;   in Loop: Header=BB900_215 Depth=1
	v_and_b32_e32 v46, 7, v42
	v_ffbh_u32_e32 v60, v46
	v_min_u32_e32 v62, 32, v60
	v_subrev_u32_e32 v60, 28, v62
	v_lshlrev_b64 v[60:61], v60, v[42:43]
	v_lshrrev_b32_e32 v58, 3, v44
	v_sub_u32_e32 v61, 29, v62
	v_and_b32_e32 v60, 7, v60
	v_cmp_gt_u32_e32 vcc, 8, v44
	v_cndmask_b32_e32 v44, v58, v61, vcc
	v_cndmask_b32_e32 v46, v46, v60, vcc
	v_lshlrev_b32_e32 v58, 24, v42
	v_lshlrev_b32_e32 v46, 20, v46
	v_and_b32_e32 v58, 0x80000000, v58
	v_lshl_add_u32 v44, v44, 23, v55
	v_or3_b32 v44, v58, v44, v46
	v_lshrrev_b32_e32 v58, 16, v44
.LBB900_435:                            ;   in Loop: Header=BB900_215 Depth=1
	s_or_b64 exec, exec, s[16:17]
.LBB900_436:                            ;   in Loop: Header=BB900_215 Depth=1
	s_or_b64 exec, exec, s[14:15]
.LBB900_437:                            ;   in Loop: Header=BB900_215 Depth=1
	s_or_b64 exec, exec, s[12:13]
	v_lshrrev_b16_e32 v44, 8, v42
	v_cmp_ne_u16_e32 vcc, 0, v44
	v_mov_b32_e32 v61, 0
	v_mov_b32_e32 v60, 0
	s_and_saveexec_b64 s[12:13], vcc
	s_cbranch_execz .LBB900_443
; %bb.438:                              ;   in Loop: Header=BB900_215 Depth=1
	v_cmp_ne_u16_e32 vcc, s9, v44
	v_mov_b32_e32 v60, 0xffff8000
	s_and_saveexec_b64 s[14:15], vcc
	s_cbranch_execz .LBB900_442
; %bb.439:                              ;   in Loop: Header=BB900_215 Depth=1
	v_and_b32_e32 v46, 0x7f, v44
	v_cmp_ne_u32_e32 vcc, s21, v46
	v_mov_b32_e32 v60, 0x7f80
	s_and_saveexec_b64 s[16:17], vcc
	s_cbranch_execz .LBB900_441
; %bb.440:                              ;   in Loop: Header=BB900_215 Depth=1
	v_and_b32_e32 v60, 7, v44
	v_ffbh_u32_e32 v62, v60
	v_min_u32_e32 v65, 32, v62
	v_subrev_u32_e32 v62, 28, v65
	v_lshlrev_b64 v[62:63], v62, v[44:45]
	v_lshrrev_b32_e32 v64, 3, v46
	v_sub_u32_e32 v44, 29, v65
	v_and_b32_e32 v62, 7, v62
	v_cmp_gt_u32_e32 vcc, 8, v46
	v_cndmask_b32_e32 v44, v64, v44, vcc
	v_cndmask_b32_e32 v46, v60, v62, vcc
	v_lshlrev_b32_e32 v60, 16, v42
	v_lshlrev_b32_e32 v46, 20, v46
	v_and_b32_e32 v60, 0x80000000, v60
	v_lshl_add_u32 v44, v44, 23, v55
	v_or3_b32 v44, v60, v44, v46
	v_lshrrev_b32_e32 v60, 16, v44
.LBB900_441:                            ;   in Loop: Header=BB900_215 Depth=1
	s_or_b64 exec, exec, s[16:17]
.LBB900_442:                            ;   in Loop: Header=BB900_215 Depth=1
	s_or_b64 exec, exec, s[14:15]
.LBB900_443:                            ;   in Loop: Header=BB900_215 Depth=1
	s_or_b64 exec, exec, s[12:13]
	v_lshrrev_b32_e32 v44, 16, v42
	v_cmp_ne_u16_sdwa s[14:15], v44, v54 src0_sel:BYTE_0 src1_sel:DWORD
	s_and_saveexec_b64 s[12:13], s[14:15]
	s_cbranch_execz .LBB900_449
; %bb.444:                              ;   in Loop: Header=BB900_215 Depth=1
	v_cmp_ne_u16_sdwa s[16:17], v44, s9 src0_sel:BYTE_0 src1_sel:DWORD
	v_mov_b32_e32 v61, 0xffff8000
	s_and_saveexec_b64 s[14:15], s[16:17]
	s_cbranch_execz .LBB900_448
; %bb.445:                              ;   in Loop: Header=BB900_215 Depth=1
	v_bfe_u32 v46, v42, 16, 7
	v_cmp_ne_u32_e32 vcc, s21, v46
	v_mov_b32_e32 v61, 0x7f80
	s_and_saveexec_b64 s[16:17], vcc
	s_cbranch_execz .LBB900_447
; %bb.446:                              ;   in Loop: Header=BB900_215 Depth=1
	v_and_b32_e32 v61, 7, v44
	v_ffbh_u32_e32 v62, v61
	v_min_u32_e32 v65, 32, v62
	v_subrev_u32_e32 v62, 28, v65
	v_lshlrev_b64 v[62:63], v62, v[44:45]
	v_lshrrev_b32_e32 v64, 3, v46
	v_sub_u32_e32 v63, 29, v65
	v_and_b32_e32 v62, 7, v62
	v_cmp_gt_u32_e32 vcc, 8, v46
	v_cndmask_b32_e32 v46, v64, v63, vcc
	v_cndmask_b32_e32 v61, v61, v62, vcc
	v_lshlrev_b32_e32 v44, 24, v44
	v_lshlrev_b32_e32 v61, 20, v61
	v_and_b32_e32 v44, 0x80000000, v44
	v_lshl_add_u32 v46, v46, 23, v55
	v_or3_b32 v44, v44, v46, v61
	v_lshrrev_b32_e32 v61, 16, v44
.LBB900_447:                            ;   in Loop: Header=BB900_215 Depth=1
	s_or_b64 exec, exec, s[16:17]
.LBB900_448:                            ;   in Loop: Header=BB900_215 Depth=1
	s_or_b64 exec, exec, s[14:15]
.LBB900_449:                            ;   in Loop: Header=BB900_215 Depth=1
	s_or_b64 exec, exec, s[12:13]
	v_cmp_lt_u32_e32 vcc, s22, v42
	v_mov_b32_e32 v46, 0
	v_mov_b32_e32 v62, 0
	s_and_saveexec_b64 s[12:13], vcc
	s_cbranch_execz .LBB900_455
; %bb.450:                              ;   in Loop: Header=BB900_215 Depth=1
	v_lshrrev_b32_e32 v44, 24, v42
	v_cmp_ne_u32_e32 vcc, s9, v44
	v_mov_b32_e32 v62, 0xffff8000
	s_and_saveexec_b64 s[14:15], vcc
	s_cbranch_execz .LBB900_454
; %bb.451:                              ;   in Loop: Header=BB900_215 Depth=1
	v_bfe_u32 v42, v42, 24, 7
	v_cmp_ne_u32_e32 vcc, s21, v42
	v_mov_b32_e32 v62, 0x7f80
	s_and_saveexec_b64 s[16:17], vcc
	s_cbranch_execz .LBB900_453
; %bb.452:                              ;   in Loop: Header=BB900_215 Depth=1
	v_and_b32_e32 v64, 7, v44
	v_ffbh_u32_e32 v62, v64
	v_min_u32_e32 v66, 32, v62
	v_subrev_u32_e32 v62, 28, v66
	v_lshlrev_b64 v[62:63], v62, v[44:45]
	v_lshrrev_b32_e32 v65, 3, v42
	v_sub_u32_e32 v63, 29, v66
	v_and_b32_e32 v62, 7, v62
	v_cmp_gt_u32_e32 vcc, 8, v42
	v_cndmask_b32_e32 v42, v65, v63, vcc
	v_cndmask_b32_e32 v62, v64, v62, vcc
	v_lshlrev_b32_e32 v44, 24, v44
	v_lshlrev_b32_e32 v62, 20, v62
	v_and_b32_e32 v44, 0x80000000, v44
	v_lshl_add_u32 v42, v42, 23, v55
	v_or3_b32 v42, v44, v42, v62
	v_lshrrev_b32_e32 v62, 16, v42
.LBB900_453:                            ;   in Loop: Header=BB900_215 Depth=1
	s_or_b64 exec, exec, s[16:17]
.LBB900_454:                            ;   in Loop: Header=BB900_215 Depth=1
	s_or_b64 exec, exec, s[14:15]
.LBB900_455:                            ;   in Loop: Header=BB900_215 Depth=1
	s_or_b64 exec, exec, s[12:13]
	v_perm_b32 v57, v59, v57, s23
	v_perm_b32 v56, v51, v56, s23
	s_waitcnt vmcnt(1)
	v_cmp_ne_u16_sdwa s[14:15], v40, v54 src0_sel:BYTE_0 src1_sel:DWORD
	v_mfma_f32_16x16x16bf16_1k v[34:37], v[56:57], v[18:19], v[34:37]
	v_perm_b32 v57, v62, v61, s23
	v_perm_b32 v56, v60, v58, s23
	s_nop 1
	v_mfma_f32_16x16x16bf16_1k v[34:37], v[56:57], v[20:21], v[34:37]
	s_and_saveexec_b64 s[12:13], s[14:15]
	s_cbranch_execz .LBB900_461
; %bb.456:                              ;   in Loop: Header=BB900_215 Depth=1
	v_cmp_ne_u16_sdwa s[16:17], v40, s9 src0_sel:BYTE_0 src1_sel:DWORD
	v_mov_b32_e32 v46, 0xffff8000
	s_and_saveexec_b64 s[14:15], s[16:17]
	s_cbranch_execz .LBB900_460
; %bb.457:                              ;   in Loop: Header=BB900_215 Depth=1
	v_and_b32_e32 v42, 0x7f, v40
	v_cmp_ne_u32_e32 vcc, s21, v42
	v_mov_b32_e32 v46, 0x7f80
	s_and_saveexec_b64 s[16:17], vcc
	s_cbranch_execz .LBB900_459
; %bb.458:                              ;   in Loop: Header=BB900_215 Depth=1
	v_and_b32_e32 v44, 7, v40
	v_ffbh_u32_e32 v51, v44
	v_min_u32_e32 v51, 32, v51
	v_subrev_u32_e32 v56, 28, v51
	v_lshlrev_b64 v[56:57], v56, v[40:41]
	v_lshrrev_b32_e32 v46, 3, v42
	v_sub_u32_e32 v51, 29, v51
	v_and_b32_e32 v56, 7, v56
	v_cmp_gt_u32_e32 vcc, 8, v42
	v_cndmask_b32_e32 v42, v46, v51, vcc
	v_cndmask_b32_e32 v44, v44, v56, vcc
	v_lshlrev_b32_e32 v46, 24, v40
	v_lshlrev_b32_e32 v44, 20, v44
	v_and_b32_e32 v46, 0x80000000, v46
	v_lshl_add_u32 v42, v42, 23, v55
	v_or3_b32 v42, v46, v42, v44
	v_lshrrev_b32_e32 v46, 16, v42
.LBB900_459:                            ;   in Loop: Header=BB900_215 Depth=1
	s_or_b64 exec, exec, s[16:17]
.LBB900_460:                            ;   in Loop: Header=BB900_215 Depth=1
	s_or_b64 exec, exec, s[14:15]
.LBB900_461:                            ;   in Loop: Header=BB900_215 Depth=1
	s_or_b64 exec, exec, s[12:13]
	v_lshrrev_b16_e32 v42, 8, v40
	v_cmp_ne_u16_e32 vcc, 0, v42
	v_mov_b32_e32 v56, 0
	v_mov_b32_e32 v44, 0
	s_and_saveexec_b64 s[12:13], vcc
	s_cbranch_execz .LBB900_467
; %bb.462:                              ;   in Loop: Header=BB900_215 Depth=1
	v_cmp_ne_u16_e32 vcc, s9, v42
	v_mov_b32_e32 v44, 0xffff8000
	s_and_saveexec_b64 s[14:15], vcc
	s_cbranch_execz .LBB900_466
; %bb.463:                              ;   in Loop: Header=BB900_215 Depth=1
	v_and_b32_e32 v51, 0x7f, v42
	v_cmp_ne_u32_e32 vcc, s21, v51
	v_mov_b32_e32 v44, 0x7f80
	s_and_saveexec_b64 s[16:17], vcc
	s_cbranch_execz .LBB900_465
; %bb.464:                              ;   in Loop: Header=BB900_215 Depth=1
	v_and_b32_e32 v44, 7, v42
	v_ffbh_u32_e32 v58, v44
	v_min_u32_e32 v60, 32, v58
	v_subrev_u32_e32 v58, 28, v60
	v_lshlrev_b64 v[58:59], v58, v[42:43]
	v_lshrrev_b32_e32 v57, 3, v51
	v_sub_u32_e32 v42, 29, v60
	v_and_b32_e32 v58, 7, v58
	v_cmp_gt_u32_e32 vcc, 8, v51
	v_cndmask_b32_e32 v42, v57, v42, vcc
	v_cndmask_b32_e32 v44, v44, v58, vcc
	v_lshlrev_b32_e32 v51, 16, v40
	v_lshlrev_b32_e32 v44, 20, v44
	v_and_b32_e32 v51, 0x80000000, v51
	v_lshl_add_u32 v42, v42, 23, v55
	v_or3_b32 v42, v51, v42, v44
	v_lshrrev_b32_e32 v44, 16, v42
.LBB900_465:                            ;   in Loop: Header=BB900_215 Depth=1
	s_or_b64 exec, exec, s[16:17]
.LBB900_466:                            ;   in Loop: Header=BB900_215 Depth=1
	s_or_b64 exec, exec, s[14:15]
.LBB900_467:                            ;   in Loop: Header=BB900_215 Depth=1
	s_or_b64 exec, exec, s[12:13]
	v_lshrrev_b32_e32 v42, 16, v40
	v_cmp_ne_u16_sdwa s[14:15], v42, v54 src0_sel:BYTE_0 src1_sel:DWORD
	s_and_saveexec_b64 s[12:13], s[14:15]
	s_cbranch_execz .LBB900_473
; %bb.468:                              ;   in Loop: Header=BB900_215 Depth=1
	v_cmp_ne_u16_sdwa s[16:17], v42, s9 src0_sel:BYTE_0 src1_sel:DWORD
	v_mov_b32_e32 v56, 0xffff8000
	s_and_saveexec_b64 s[14:15], s[16:17]
	s_cbranch_execz .LBB900_472
; %bb.469:                              ;   in Loop: Header=BB900_215 Depth=1
	v_bfe_u32 v51, v40, 16, 7
	v_cmp_ne_u32_e32 vcc, s21, v51
	v_mov_b32_e32 v56, 0x7f80
	s_and_saveexec_b64 s[16:17], vcc
	s_cbranch_execz .LBB900_471
; %bb.470:                              ;   in Loop: Header=BB900_215 Depth=1
	v_and_b32_e32 v58, 7, v42
	v_ffbh_u32_e32 v56, v58
	v_min_u32_e32 v60, 32, v56
	v_subrev_u32_e32 v56, 28, v60
	v_lshlrev_b64 v[56:57], v56, v[42:43]
	v_lshrrev_b32_e32 v59, 3, v51
	v_sub_u32_e32 v57, 29, v60
	v_and_b32_e32 v56, 7, v56
	v_cmp_gt_u32_e32 vcc, 8, v51
	v_cndmask_b32_e32 v51, v59, v57, vcc
	v_cndmask_b32_e32 v56, v58, v56, vcc
	v_lshlrev_b32_e32 v42, 24, v42
	v_lshlrev_b32_e32 v56, 20, v56
	v_and_b32_e32 v42, 0x80000000, v42
	v_lshl_add_u32 v51, v51, 23, v55
	v_or3_b32 v42, v42, v51, v56
	v_lshrrev_b32_e32 v56, 16, v42
.LBB900_471:                            ;   in Loop: Header=BB900_215 Depth=1
	s_or_b64 exec, exec, s[16:17]
.LBB900_472:                            ;   in Loop: Header=BB900_215 Depth=1
	s_or_b64 exec, exec, s[14:15]
.LBB900_473:                            ;   in Loop: Header=BB900_215 Depth=1
	s_or_b64 exec, exec, s[12:13]
	v_cmp_lt_u32_e32 vcc, s22, v40
	v_mov_b32_e32 v57, 0
	v_mov_b32_e32 v58, 0
	s_and_saveexec_b64 s[12:13], vcc
	s_cbranch_execz .LBB900_479
; %bb.474:                              ;   in Loop: Header=BB900_215 Depth=1
	v_lshrrev_b32_e32 v42, 24, v40
	v_cmp_ne_u32_e32 vcc, s9, v42
	v_mov_b32_e32 v58, 0xffff8000
	s_and_saveexec_b64 s[14:15], vcc
	s_cbranch_execz .LBB900_478
; %bb.475:                              ;   in Loop: Header=BB900_215 Depth=1
	v_bfe_u32 v40, v40, 24, 7
	v_cmp_ne_u32_e32 vcc, s21, v40
	v_mov_b32_e32 v58, 0x7f80
	s_and_saveexec_b64 s[16:17], vcc
	s_cbranch_execz .LBB900_477
; %bb.476:                              ;   in Loop: Header=BB900_215 Depth=1
	v_and_b32_e32 v51, 7, v42
	v_ffbh_u32_e32 v58, v51
	v_min_u32_e32 v61, 32, v58
	v_subrev_u32_e32 v58, 28, v61
	v_lshlrev_b64 v[58:59], v58, v[42:43]
	v_lshrrev_b32_e32 v60, 3, v40
	v_sub_u32_e32 v59, 29, v61
	v_and_b32_e32 v58, 7, v58
	v_cmp_gt_u32_e32 vcc, 8, v40
	v_cndmask_b32_e32 v40, v60, v59, vcc
	v_cndmask_b32_e32 v51, v51, v58, vcc
	v_lshlrev_b32_e32 v42, 24, v42
	v_lshlrev_b32_e32 v51, 20, v51
	v_and_b32_e32 v42, 0x80000000, v42
	v_lshl_add_u32 v40, v40, 23, v55
	v_or3_b32 v40, v42, v40, v51
	v_lshrrev_b32_e32 v58, 16, v40
.LBB900_477:                            ;   in Loop: Header=BB900_215 Depth=1
	s_or_b64 exec, exec, s[16:17]
.LBB900_478:                            ;   in Loop: Header=BB900_215 Depth=1
	s_or_b64 exec, exec, s[14:15]
.LBB900_479:                            ;   in Loop: Header=BB900_215 Depth=1
	s_or_b64 exec, exec, s[12:13]
	s_waitcnt vmcnt(0)
	v_cmp_ne_u16_sdwa s[14:15], v38, v54 src0_sel:BYTE_0 src1_sel:DWORD
	s_and_saveexec_b64 s[12:13], s[14:15]
	s_cbranch_execz .LBB900_485
; %bb.480:                              ;   in Loop: Header=BB900_215 Depth=1
	v_cmp_ne_u16_sdwa s[16:17], v38, s9 src0_sel:BYTE_0 src1_sel:DWORD
	v_mov_b32_e32 v57, 0xffff8000
	s_and_saveexec_b64 s[14:15], s[16:17]
	s_cbranch_execz .LBB900_484
; %bb.481:                              ;   in Loop: Header=BB900_215 Depth=1
	v_and_b32_e32 v40, 0x7f, v38
	v_cmp_ne_u32_e32 vcc, s21, v40
	v_mov_b32_e32 v57, 0x7f80
	s_and_saveexec_b64 s[16:17], vcc
	s_cbranch_execz .LBB900_483
; %bb.482:                              ;   in Loop: Header=BB900_215 Depth=1
	v_and_b32_e32 v42, 7, v38
	v_ffbh_u32_e32 v57, v42
	v_min_u32_e32 v57, 32, v57
	v_subrev_u32_e32 v59, 28, v57
	v_lshlrev_b64 v[60:61], v59, v[38:39]
	v_lshrrev_b32_e32 v51, 3, v40
	v_sub_u32_e32 v57, 29, v57
	v_and_b32_e32 v59, 7, v60
	v_cmp_gt_u32_e32 vcc, 8, v40
	v_cndmask_b32_e32 v40, v51, v57, vcc
	v_cndmask_b32_e32 v42, v42, v59, vcc
	v_lshlrev_b32_e32 v51, 24, v38
	v_lshlrev_b32_e32 v42, 20, v42
	v_and_b32_e32 v51, 0x80000000, v51
	v_lshl_add_u32 v40, v40, 23, v55
	v_or3_b32 v40, v51, v40, v42
	v_lshrrev_b32_e32 v57, 16, v40
.LBB900_483:                            ;   in Loop: Header=BB900_215 Depth=1
	s_or_b64 exec, exec, s[16:17]
.LBB900_484:                            ;   in Loop: Header=BB900_215 Depth=1
	s_or_b64 exec, exec, s[14:15]
.LBB900_485:                            ;   in Loop: Header=BB900_215 Depth=1
	s_or_b64 exec, exec, s[12:13]
	v_lshrrev_b16_e32 v40, 8, v38
	v_cmp_ne_u16_e32 vcc, 0, v40
	v_mov_b32_e32 v60, 0
	v_mov_b32_e32 v59, 0
	s_and_saveexec_b64 s[12:13], vcc
	s_cbranch_execz .LBB900_491
; %bb.486:                              ;   in Loop: Header=BB900_215 Depth=1
	v_cmp_ne_u16_e32 vcc, s9, v40
	v_mov_b32_e32 v59, 0xffff8000
	s_and_saveexec_b64 s[14:15], vcc
	s_cbranch_execz .LBB900_490
; %bb.487:                              ;   in Loop: Header=BB900_215 Depth=1
	v_and_b32_e32 v42, 0x7f, v40
	v_cmp_ne_u32_e32 vcc, s21, v42
	v_mov_b32_e32 v59, 0x7f80
	s_and_saveexec_b64 s[16:17], vcc
	s_cbranch_execz .LBB900_489
; %bb.488:                              ;   in Loop: Header=BB900_215 Depth=1
	v_and_b32_e32 v51, 7, v40
	v_ffbh_u32_e32 v61, v51
	v_min_u32_e32 v61, 32, v61
	v_subrev_u32_e32 v62, 28, v61
	v_lshlrev_b64 v[62:63], v62, v[40:41]
	v_lshrrev_b32_e32 v59, 3, v42
	v_sub_u32_e32 v40, 29, v61
	v_and_b32_e32 v61, 7, v62
	v_cmp_gt_u32_e32 vcc, 8, v42
	v_cndmask_b32_e32 v40, v59, v40, vcc
	v_cndmask_b32_e32 v42, v51, v61, vcc
	v_lshlrev_b32_e32 v51, 16, v38
	v_lshlrev_b32_e32 v42, 20, v42
	v_and_b32_e32 v51, 0x80000000, v51
	v_lshl_add_u32 v40, v40, 23, v55
	v_or3_b32 v40, v51, v40, v42
	v_lshrrev_b32_e32 v59, 16, v40
.LBB900_489:                            ;   in Loop: Header=BB900_215 Depth=1
	s_or_b64 exec, exec, s[16:17]
.LBB900_490:                            ;   in Loop: Header=BB900_215 Depth=1
	s_or_b64 exec, exec, s[14:15]
.LBB900_491:                            ;   in Loop: Header=BB900_215 Depth=1
	s_or_b64 exec, exec, s[12:13]
	v_lshrrev_b32_e32 v40, 16, v38
	v_cmp_ne_u16_sdwa s[14:15], v40, v54 src0_sel:BYTE_0 src1_sel:DWORD
	s_and_saveexec_b64 s[12:13], s[14:15]
	s_cbranch_execz .LBB900_497
; %bb.492:                              ;   in Loop: Header=BB900_215 Depth=1
	v_cmp_ne_u16_sdwa s[16:17], v40, s9 src0_sel:BYTE_0 src1_sel:DWORD
	v_mov_b32_e32 v60, 0xffff8000
	s_and_saveexec_b64 s[14:15], s[16:17]
	s_cbranch_execz .LBB900_496
; %bb.493:                              ;   in Loop: Header=BB900_215 Depth=1
	v_bfe_u32 v42, v38, 16, 7
	v_cmp_ne_u32_e32 vcc, s21, v42
	v_mov_b32_e32 v60, 0x7f80
	s_and_saveexec_b64 s[16:17], vcc
	s_cbranch_execz .LBB900_495
; %bb.494:                              ;   in Loop: Header=BB900_215 Depth=1
	v_and_b32_e32 v51, 7, v40
	v_ffbh_u32_e32 v60, v51
	v_min_u32_e32 v63, 32, v60
	v_subrev_u32_e32 v60, 28, v63
	v_lshlrev_b64 v[60:61], v60, v[40:41]
	v_lshrrev_b32_e32 v62, 3, v42
	v_sub_u32_e32 v61, 29, v63
	v_and_b32_e32 v60, 7, v60
	v_cmp_gt_u32_e32 vcc, 8, v42
	v_cndmask_b32_e32 v42, v62, v61, vcc
	v_cndmask_b32_e32 v51, v51, v60, vcc
	v_lshlrev_b32_e32 v40, 24, v40
	v_lshlrev_b32_e32 v51, 20, v51
	v_and_b32_e32 v40, 0x80000000, v40
	v_lshl_add_u32 v42, v42, 23, v55
	v_or3_b32 v40, v40, v42, v51
	v_lshrrev_b32_e32 v60, 16, v40
.LBB900_495:                            ;   in Loop: Header=BB900_215 Depth=1
	s_or_b64 exec, exec, s[16:17]
.LBB900_496:                            ;   in Loop: Header=BB900_215 Depth=1
	s_or_b64 exec, exec, s[14:15]
.LBB900_497:                            ;   in Loop: Header=BB900_215 Depth=1
	s_or_b64 exec, exec, s[12:13]
	v_cmp_lt_u32_e32 vcc, s22, v38
	v_mov_b32_e32 v51, 0
	v_mov_b32_e32 v61, 0
	s_and_saveexec_b64 s[12:13], vcc
	s_cbranch_execz .LBB900_503
; %bb.498:                              ;   in Loop: Header=BB900_215 Depth=1
	v_lshrrev_b32_e32 v40, 24, v38
	v_cmp_ne_u32_e32 vcc, s9, v40
	v_mov_b32_e32 v61, 0xffff8000
	s_and_saveexec_b64 s[14:15], vcc
	s_cbranch_execz .LBB900_502
; %bb.499:                              ;   in Loop: Header=BB900_215 Depth=1
	v_bfe_u32 v38, v38, 24, 7
	v_cmp_ne_u32_e32 vcc, s21, v38
	v_mov_b32_e32 v61, 0x7f80
	s_and_saveexec_b64 s[16:17], vcc
	s_cbranch_execz .LBB900_501
; %bb.500:                              ;   in Loop: Header=BB900_215 Depth=1
	v_and_b32_e32 v42, 7, v40
	v_ffbh_u32_e32 v62, v42
	v_min_u32_e32 v64, 32, v62
	v_subrev_u32_e32 v62, 28, v64
	v_lshlrev_b64 v[62:63], v62, v[40:41]
	v_lshrrev_b32_e32 v61, 3, v38
	v_sub_u32_e32 v63, 29, v64
	v_and_b32_e32 v62, 7, v62
	v_cmp_gt_u32_e32 vcc, 8, v38
	v_cndmask_b32_e32 v38, v61, v63, vcc
	v_cndmask_b32_e32 v42, v42, v62, vcc
	v_lshlrev_b32_e32 v40, 24, v40
	v_lshlrev_b32_e32 v42, 20, v42
	v_and_b32_e32 v40, 0x80000000, v40
	v_lshl_add_u32 v38, v38, 23, v55
	v_or3_b32 v38, v40, v38, v42
	v_lshrrev_b32_e32 v61, 16, v38
.LBB900_501:                            ;   in Loop: Header=BB900_215 Depth=1
	s_or_b64 exec, exec, s[16:17]
.LBB900_502:                            ;   in Loop: Header=BB900_215 Depth=1
	s_or_b64 exec, exec, s[14:15]
.LBB900_503:                            ;   in Loop: Header=BB900_215 Depth=1
	s_or_b64 exec, exec, s[12:13]
	v_perm_b32 v62, v44, v46, s23
	buffer_load_dword v44, v50, s[0:3], 0 offen
	buffer_load_dword v42, v50, s[0:3], 0 offen offset:4
	buffer_load_dword v40, v50, s[0:3], 0 offen offset:8
	;; [unrolled: 1-line block ×3, first 2 shown]
	v_perm_b32 v63, v58, v56, s23
	v_perm_b32 v61, v61, v60, s23
	;; [unrolled: 1-line block ×3, first 2 shown]
	v_mfma_f32_16x16x16bf16_1k v[34:37], v[62:63], v[22:23], v[34:37]
	s_waitcnt vmcnt(3)
	v_cmp_ne_u16_sdwa s[14:15], v44, v54 src0_sel:BYTE_0 src1_sel:DWORD
	v_mfma_f32_16x16x16bf16_1k v[34:37], v[60:61], v[24:25], v[34:37]
	s_and_saveexec_b64 s[12:13], s[14:15]
	s_cbranch_execz .LBB900_509
; %bb.504:                              ;   in Loop: Header=BB900_215 Depth=1
	v_cmp_ne_u16_sdwa s[16:17], v44, s9 src0_sel:BYTE_0 src1_sel:DWORD
	v_mov_b32_e32 v51, 0xffff8000
	s_and_saveexec_b64 s[14:15], s[16:17]
	s_cbranch_execz .LBB900_508
; %bb.505:                              ;   in Loop: Header=BB900_215 Depth=1
	v_and_b32_e32 v46, 0x7f, v44
	v_cmp_ne_u32_e32 vcc, s21, v46
	v_mov_b32_e32 v51, 0x7f80
	s_and_saveexec_b64 s[16:17], vcc
	s_cbranch_execz .LBB900_507
; %bb.506:                              ;   in Loop: Header=BB900_215 Depth=1
	v_and_b32_e32 v56, 7, v44
	v_ffbh_u32_e32 v50, v56
	v_min_u32_e32 v58, 32, v50
	v_subrev_u32_e32 v50, 28, v58
	v_lshlrev_b64 v[50:51], v50, v[44:45]
	v_lshrrev_b32_e32 v57, 3, v46
	v_sub_u32_e32 v51, 29, v58
	v_and_b32_e32 v50, 7, v50
	v_cmp_gt_u32_e32 vcc, 8, v46
	v_cndmask_b32_e32 v46, v57, v51, vcc
	v_cndmask_b32_e32 v50, v56, v50, vcc
	v_lshlrev_b32_e32 v51, 24, v44
	v_lshlrev_b32_e32 v50, 20, v50
	v_and_b32_e32 v51, 0x80000000, v51
	v_lshl_add_u32 v46, v46, 23, v55
	v_or3_b32 v46, v51, v46, v50
	v_lshrrev_b32_e32 v51, 16, v46
.LBB900_507:                            ;   in Loop: Header=BB900_215 Depth=1
	s_or_b64 exec, exec, s[16:17]
.LBB900_508:                            ;   in Loop: Header=BB900_215 Depth=1
	s_or_b64 exec, exec, s[14:15]
.LBB900_509:                            ;   in Loop: Header=BB900_215 Depth=1
	s_or_b64 exec, exec, s[12:13]
	v_lshrrev_b16_e32 v46, 8, v44
	v_cmp_ne_u16_e32 vcc, 0, v46
	v_mov_b32_e32 v56, 0
	v_mov_b32_e32 v50, 0
	s_and_saveexec_b64 s[12:13], vcc
	s_cbranch_execz .LBB900_515
; %bb.510:                              ;   in Loop: Header=BB900_215 Depth=1
	v_cmp_ne_u16_e32 vcc, s9, v46
	v_mov_b32_e32 v50, 0xffff8000
	s_and_saveexec_b64 s[14:15], vcc
	s_cbranch_execz .LBB900_514
; %bb.511:                              ;   in Loop: Header=BB900_215 Depth=1
	v_and_b32_e32 v57, 0x7f, v46
	v_cmp_ne_u32_e32 vcc, s21, v57
	v_mov_b32_e32 v50, 0x7f80
	s_and_saveexec_b64 s[16:17], vcc
	s_cbranch_execz .LBB900_513
; %bb.512:                              ;   in Loop: Header=BB900_215 Depth=1
	v_and_b32_e32 v50, 7, v46
	v_ffbh_u32_e32 v58, v50
	v_min_u32_e32 v61, 32, v58
	v_subrev_u32_e32 v58, 28, v61
	v_lshlrev_b64 v[58:59], v58, v[46:47]
	v_lshrrev_b32_e32 v60, 3, v57
	v_sub_u32_e32 v46, 29, v61
	v_and_b32_e32 v58, 7, v58
	v_cmp_gt_u32_e32 vcc, 8, v57
	v_cndmask_b32_e32 v46, v60, v46, vcc
	v_cndmask_b32_e32 v50, v50, v58, vcc
	v_lshlrev_b32_e32 v57, 16, v44
	v_lshlrev_b32_e32 v50, 20, v50
	v_and_b32_e32 v57, 0x80000000, v57
	v_lshl_add_u32 v46, v46, 23, v55
	v_or3_b32 v46, v57, v46, v50
	v_lshrrev_b32_e32 v50, 16, v46
.LBB900_513:                            ;   in Loop: Header=BB900_215 Depth=1
	s_or_b64 exec, exec, s[16:17]
.LBB900_514:                            ;   in Loop: Header=BB900_215 Depth=1
	s_or_b64 exec, exec, s[14:15]
.LBB900_515:                            ;   in Loop: Header=BB900_215 Depth=1
	s_or_b64 exec, exec, s[12:13]
	v_lshrrev_b32_e32 v46, 16, v44
	v_cmp_ne_u16_sdwa s[14:15], v46, v54 src0_sel:BYTE_0 src1_sel:DWORD
	s_and_saveexec_b64 s[12:13], s[14:15]
	s_cbranch_execz .LBB900_521
; %bb.516:                              ;   in Loop: Header=BB900_215 Depth=1
	v_cmp_ne_u16_sdwa s[16:17], v46, s9 src0_sel:BYTE_0 src1_sel:DWORD
	v_mov_b32_e32 v56, 0xffff8000
	s_and_saveexec_b64 s[14:15], s[16:17]
	s_cbranch_execz .LBB900_520
; %bb.517:                              ;   in Loop: Header=BB900_215 Depth=1
	v_bfe_u32 v57, v44, 16, 7
	v_cmp_ne_u32_e32 vcc, s21, v57
	v_mov_b32_e32 v56, 0x7f80
	s_and_saveexec_b64 s[16:17], vcc
	s_cbranch_execz .LBB900_519
; %bb.518:                              ;   in Loop: Header=BB900_215 Depth=1
	v_and_b32_e32 v56, 7, v46
	v_ffbh_u32_e32 v58, v56
	v_min_u32_e32 v61, 32, v58
	v_subrev_u32_e32 v58, 28, v61
	v_lshlrev_b64 v[58:59], v58, v[46:47]
	v_lshrrev_b32_e32 v60, 3, v57
	v_sub_u32_e32 v59, 29, v61
	v_and_b32_e32 v58, 7, v58
	v_cmp_gt_u32_e32 vcc, 8, v57
	v_cndmask_b32_e32 v57, v60, v59, vcc
	v_cndmask_b32_e32 v56, v56, v58, vcc
	v_lshlrev_b32_e32 v46, 24, v46
	v_lshlrev_b32_e32 v56, 20, v56
	v_and_b32_e32 v46, 0x80000000, v46
	v_lshl_add_u32 v57, v57, 23, v55
	v_or3_b32 v46, v46, v57, v56
	v_lshrrev_b32_e32 v56, 16, v46
.LBB900_519:                            ;   in Loop: Header=BB900_215 Depth=1
	s_or_b64 exec, exec, s[16:17]
.LBB900_520:                            ;   in Loop: Header=BB900_215 Depth=1
	s_or_b64 exec, exec, s[14:15]
.LBB900_521:                            ;   in Loop: Header=BB900_215 Depth=1
	s_or_b64 exec, exec, s[12:13]
	v_cmp_lt_u32_e32 vcc, s22, v44
	v_mov_b32_e32 v57, 0
	v_mov_b32_e32 v58, 0
	s_and_saveexec_b64 s[12:13], vcc
	s_cbranch_execz .LBB900_527
; %bb.522:                              ;   in Loop: Header=BB900_215 Depth=1
	v_lshrrev_b32_e32 v46, 24, v44
	v_cmp_ne_u32_e32 vcc, s9, v46
	v_mov_b32_e32 v58, 0xffff8000
	s_and_saveexec_b64 s[14:15], vcc
	s_cbranch_execz .LBB900_526
; %bb.523:                              ;   in Loop: Header=BB900_215 Depth=1
	v_bfe_u32 v44, v44, 24, 7
	v_cmp_ne_u32_e32 vcc, s21, v44
	v_mov_b32_e32 v58, 0x7f80
	s_and_saveexec_b64 s[16:17], vcc
	s_cbranch_execz .LBB900_525
; %bb.524:                              ;   in Loop: Header=BB900_215 Depth=1
	v_and_b32_e32 v60, 7, v46
	v_ffbh_u32_e32 v58, v60
	v_min_u32_e32 v62, 32, v58
	v_subrev_u32_e32 v58, 28, v62
	v_lshlrev_b64 v[58:59], v58, v[46:47]
	v_lshrrev_b32_e32 v61, 3, v44
	v_sub_u32_e32 v59, 29, v62
	v_and_b32_e32 v58, 7, v58
	v_cmp_gt_u32_e32 vcc, 8, v44
	v_cndmask_b32_e32 v44, v61, v59, vcc
	v_cndmask_b32_e32 v58, v60, v58, vcc
	v_lshlrev_b32_e32 v46, 24, v46
	v_lshlrev_b32_e32 v58, 20, v58
	v_and_b32_e32 v46, 0x80000000, v46
	v_lshl_add_u32 v44, v44, 23, v55
	v_or3_b32 v44, v46, v44, v58
	v_lshrrev_b32_e32 v58, 16, v44
.LBB900_525:                            ;   in Loop: Header=BB900_215 Depth=1
	s_or_b64 exec, exec, s[16:17]
.LBB900_526:                            ;   in Loop: Header=BB900_215 Depth=1
	s_or_b64 exec, exec, s[14:15]
.LBB900_527:                            ;   in Loop: Header=BB900_215 Depth=1
	s_or_b64 exec, exec, s[12:13]
	s_waitcnt vmcnt(2)
	v_cmp_ne_u16_sdwa s[14:15], v42, v54 src0_sel:BYTE_0 src1_sel:DWORD
	s_and_saveexec_b64 s[12:13], s[14:15]
	s_cbranch_execz .LBB900_533
; %bb.528:                              ;   in Loop: Header=BB900_215 Depth=1
	v_cmp_ne_u16_sdwa s[16:17], v42, s9 src0_sel:BYTE_0 src1_sel:DWORD
	v_mov_b32_e32 v57, 0xffff8000
	s_and_saveexec_b64 s[14:15], s[16:17]
	s_cbranch_execz .LBB900_532
; %bb.529:                              ;   in Loop: Header=BB900_215 Depth=1
	v_and_b32_e32 v44, 0x7f, v42
	v_cmp_ne_u32_e32 vcc, s21, v44
	v_mov_b32_e32 v57, 0x7f80
	s_and_saveexec_b64 s[16:17], vcc
	s_cbranch_execz .LBB900_531
; %bb.530:                              ;   in Loop: Header=BB900_215 Depth=1
	v_and_b32_e32 v46, 7, v42
	v_ffbh_u32_e32 v59, v46
	v_min_u32_e32 v59, 32, v59
	v_subrev_u32_e32 v60, 28, v59
	v_lshlrev_b64 v[60:61], v60, v[42:43]
	v_lshrrev_b32_e32 v57, 3, v44
	v_sub_u32_e32 v59, 29, v59
	v_and_b32_e32 v60, 7, v60
	v_cmp_gt_u32_e32 vcc, 8, v44
	v_cndmask_b32_e32 v44, v57, v59, vcc
	v_cndmask_b32_e32 v46, v46, v60, vcc
	v_lshlrev_b32_e32 v57, 24, v42
	v_lshlrev_b32_e32 v46, 20, v46
	v_and_b32_e32 v57, 0x80000000, v57
	v_lshl_add_u32 v44, v44, 23, v55
	v_or3_b32 v44, v57, v44, v46
	v_lshrrev_b32_e32 v57, 16, v44
.LBB900_531:                            ;   in Loop: Header=BB900_215 Depth=1
	s_or_b64 exec, exec, s[16:17]
.LBB900_532:                            ;   in Loop: Header=BB900_215 Depth=1
	s_or_b64 exec, exec, s[14:15]
.LBB900_533:                            ;   in Loop: Header=BB900_215 Depth=1
	s_or_b64 exec, exec, s[12:13]
	v_lshrrev_b16_e32 v44, 8, v42
	v_cmp_ne_u16_e32 vcc, 0, v44
	v_mov_b32_e32 v60, 0
	v_mov_b32_e32 v59, 0
	s_and_saveexec_b64 s[12:13], vcc
	s_cbranch_execz .LBB900_539
; %bb.534:                              ;   in Loop: Header=BB900_215 Depth=1
	v_cmp_ne_u16_e32 vcc, s9, v44
	v_mov_b32_e32 v59, 0xffff8000
	s_and_saveexec_b64 s[14:15], vcc
	s_cbranch_execz .LBB900_538
; %bb.535:                              ;   in Loop: Header=BB900_215 Depth=1
	v_and_b32_e32 v46, 0x7f, v44
	v_cmp_ne_u32_e32 vcc, s21, v46
	v_mov_b32_e32 v59, 0x7f80
	s_and_saveexec_b64 s[16:17], vcc
	s_cbranch_execz .LBB900_537
; %bb.536:                              ;   in Loop: Header=BB900_215 Depth=1
	v_and_b32_e32 v59, 7, v44
	v_ffbh_u32_e32 v62, v59
	v_min_u32_e32 v64, 32, v62
	v_subrev_u32_e32 v62, 28, v64
	v_lshlrev_b64 v[62:63], v62, v[44:45]
	v_lshrrev_b32_e32 v61, 3, v46
	v_sub_u32_e32 v44, 29, v64
	v_and_b32_e32 v62, 7, v62
	v_cmp_gt_u32_e32 vcc, 8, v46
	v_cndmask_b32_e32 v44, v61, v44, vcc
	v_cndmask_b32_e32 v46, v59, v62, vcc
	v_lshlrev_b32_e32 v59, 16, v42
	v_lshlrev_b32_e32 v46, 20, v46
	v_and_b32_e32 v59, 0x80000000, v59
	v_lshl_add_u32 v44, v44, 23, v55
	v_or3_b32 v44, v59, v44, v46
	v_lshrrev_b32_e32 v59, 16, v44
.LBB900_537:                            ;   in Loop: Header=BB900_215 Depth=1
	s_or_b64 exec, exec, s[16:17]
.LBB900_538:                            ;   in Loop: Header=BB900_215 Depth=1
	s_or_b64 exec, exec, s[14:15]
.LBB900_539:                            ;   in Loop: Header=BB900_215 Depth=1
	s_or_b64 exec, exec, s[12:13]
	v_lshrrev_b32_e32 v44, 16, v42
	v_cmp_ne_u16_sdwa s[14:15], v44, v54 src0_sel:BYTE_0 src1_sel:DWORD
	s_and_saveexec_b64 s[12:13], s[14:15]
	s_cbranch_execz .LBB900_545
; %bb.540:                              ;   in Loop: Header=BB900_215 Depth=1
	v_cmp_ne_u16_sdwa s[16:17], v44, s9 src0_sel:BYTE_0 src1_sel:DWORD
	v_mov_b32_e32 v60, 0xffff8000
	s_and_saveexec_b64 s[14:15], s[16:17]
	s_cbranch_execz .LBB900_544
; %bb.541:                              ;   in Loop: Header=BB900_215 Depth=1
	v_bfe_u32 v46, v42, 16, 7
	v_cmp_ne_u32_e32 vcc, s21, v46
	v_mov_b32_e32 v60, 0x7f80
	s_and_saveexec_b64 s[16:17], vcc
	s_cbranch_execz .LBB900_543
; %bb.542:                              ;   in Loop: Header=BB900_215 Depth=1
	v_and_b32_e32 v62, 7, v44
	v_ffbh_u32_e32 v60, v62
	v_min_u32_e32 v64, 32, v60
	v_subrev_u32_e32 v60, 28, v64
	v_lshlrev_b64 v[60:61], v60, v[44:45]
	v_lshrrev_b32_e32 v63, 3, v46
	v_sub_u32_e32 v61, 29, v64
	v_and_b32_e32 v60, 7, v60
	v_cmp_gt_u32_e32 vcc, 8, v46
	v_cndmask_b32_e32 v46, v63, v61, vcc
	v_cndmask_b32_e32 v60, v62, v60, vcc
	v_lshlrev_b32_e32 v44, 24, v44
	v_lshlrev_b32_e32 v60, 20, v60
	v_and_b32_e32 v44, 0x80000000, v44
	v_lshl_add_u32 v46, v46, 23, v55
	v_or3_b32 v44, v44, v46, v60
	v_lshrrev_b32_e32 v60, 16, v44
.LBB900_543:                            ;   in Loop: Header=BB900_215 Depth=1
	s_or_b64 exec, exec, s[16:17]
.LBB900_544:                            ;   in Loop: Header=BB900_215 Depth=1
	s_or_b64 exec, exec, s[14:15]
.LBB900_545:                            ;   in Loop: Header=BB900_215 Depth=1
	s_or_b64 exec, exec, s[12:13]
	v_cmp_lt_u32_e32 vcc, s22, v42
	v_mov_b32_e32 v46, 0
	v_mov_b32_e32 v61, 0
	s_and_saveexec_b64 s[12:13], vcc
	s_cbranch_execz .LBB900_551
; %bb.546:                              ;   in Loop: Header=BB900_215 Depth=1
	v_lshrrev_b32_e32 v44, 24, v42
	v_cmp_ne_u32_e32 vcc, s9, v44
	v_mov_b32_e32 v61, 0xffff8000
	s_and_saveexec_b64 s[14:15], vcc
	s_cbranch_execz .LBB900_550
; %bb.547:                              ;   in Loop: Header=BB900_215 Depth=1
	v_bfe_u32 v42, v42, 24, 7
	v_cmp_ne_u32_e32 vcc, s21, v42
	v_mov_b32_e32 v61, 0x7f80
	s_and_saveexec_b64 s[16:17], vcc
	s_cbranch_execz .LBB900_549
; %bb.548:                              ;   in Loop: Header=BB900_215 Depth=1
	v_and_b32_e32 v61, 7, v44
	v_ffbh_u32_e32 v62, v61
	v_min_u32_e32 v65, 32, v62
	v_subrev_u32_e32 v62, 28, v65
	v_lshlrev_b64 v[62:63], v62, v[44:45]
	v_lshrrev_b32_e32 v64, 3, v42
	v_sub_u32_e32 v63, 29, v65
	v_and_b32_e32 v62, 7, v62
	v_cmp_gt_u32_e32 vcc, 8, v42
	v_cndmask_b32_e32 v42, v64, v63, vcc
	v_cndmask_b32_e32 v61, v61, v62, vcc
	v_lshlrev_b32_e32 v44, 24, v44
	v_lshlrev_b32_e32 v61, 20, v61
	v_and_b32_e32 v44, 0x80000000, v44
	v_lshl_add_u32 v42, v42, 23, v55
	v_or3_b32 v42, v44, v42, v61
	v_lshrrev_b32_e32 v61, 16, v42
.LBB900_549:                            ;   in Loop: Header=BB900_215 Depth=1
	s_or_b64 exec, exec, s[16:17]
.LBB900_550:                            ;   in Loop: Header=BB900_215 Depth=1
	s_or_b64 exec, exec, s[14:15]
.LBB900_551:                            ;   in Loop: Header=BB900_215 Depth=1
	s_or_b64 exec, exec, s[12:13]
	v_perm_b32 v63, v58, v56, s23
	v_perm_b32 v62, v50, v51, s23
	;; [unrolled: 1-line block ×4, first 2 shown]
	s_waitcnt vmcnt(1)
	v_cmp_ne_u16_sdwa s[14:15], v40, v54 src0_sel:BYTE_0 src1_sel:DWORD
	v_mfma_f32_16x16x16bf16_1k v[34:37], v[62:63], v[26:27], v[34:37]
	v_mfma_f32_16x16x16bf16_1k v[34:37], v[50:51], v[28:29], v[34:37]
	s_and_saveexec_b64 s[12:13], s[14:15]
	s_cbranch_execz .LBB900_557
; %bb.552:                              ;   in Loop: Header=BB900_215 Depth=1
	v_cmp_ne_u16_sdwa s[16:17], v40, s9 src0_sel:BYTE_0 src1_sel:DWORD
	v_mov_b32_e32 v46, 0xffff8000
	s_and_saveexec_b64 s[14:15], s[16:17]
	s_cbranch_execz .LBB900_556
; %bb.553:                              ;   in Loop: Header=BB900_215 Depth=1
	v_and_b32_e32 v42, 0x7f, v40
	v_cmp_ne_u32_e32 vcc, s21, v42
	v_mov_b32_e32 v46, 0x7f80
	s_and_saveexec_b64 s[16:17], vcc
	s_cbranch_execz .LBB900_555
; %bb.554:                              ;   in Loop: Header=BB900_215 Depth=1
	v_and_b32_e32 v44, 7, v40
	v_ffbh_u32_e32 v50, v44
	v_min_u32_e32 v56, 32, v50
	v_subrev_u32_e32 v50, 28, v56
	v_lshlrev_b64 v[50:51], v50, v[40:41]
	v_lshrrev_b32_e32 v46, 3, v42
	v_sub_u32_e32 v51, 29, v56
	v_and_b32_e32 v50, 7, v50
	v_cmp_gt_u32_e32 vcc, 8, v42
	v_cndmask_b32_e32 v42, v46, v51, vcc
	v_cndmask_b32_e32 v44, v44, v50, vcc
	v_lshlrev_b32_e32 v46, 24, v40
	v_lshlrev_b32_e32 v44, 20, v44
	v_and_b32_e32 v46, 0x80000000, v46
	v_lshl_add_u32 v42, v42, 23, v55
	v_or3_b32 v42, v46, v42, v44
	v_lshrrev_b32_e32 v46, 16, v42
.LBB900_555:                            ;   in Loop: Header=BB900_215 Depth=1
	s_or_b64 exec, exec, s[16:17]
.LBB900_556:                            ;   in Loop: Header=BB900_215 Depth=1
	s_or_b64 exec, exec, s[14:15]
.LBB900_557:                            ;   in Loop: Header=BB900_215 Depth=1
	s_or_b64 exec, exec, s[12:13]
	v_lshrrev_b16_e32 v42, 8, v40
	v_cmp_ne_u16_e32 vcc, 0, v42
	v_mov_b32_e32 v50, 0
	v_mov_b32_e32 v44, 0
	s_and_saveexec_b64 s[12:13], vcc
	s_cbranch_execz .LBB900_563
; %bb.558:                              ;   in Loop: Header=BB900_215 Depth=1
	v_cmp_ne_u16_e32 vcc, s9, v42
	v_mov_b32_e32 v44, 0xffff8000
	s_and_saveexec_b64 s[14:15], vcc
	s_cbranch_execz .LBB900_562
; %bb.559:                              ;   in Loop: Header=BB900_215 Depth=1
	v_and_b32_e32 v51, 0x7f, v42
	v_cmp_ne_u32_e32 vcc, s21, v51
	v_mov_b32_e32 v44, 0x7f80
	s_and_saveexec_b64 s[16:17], vcc
	s_cbranch_execz .LBB900_561
; %bb.560:                              ;   in Loop: Header=BB900_215 Depth=1
	v_and_b32_e32 v44, 7, v42
	v_ffbh_u32_e32 v56, v44
	v_min_u32_e32 v59, 32, v56
	v_subrev_u32_e32 v56, 28, v59
	v_lshlrev_b64 v[56:57], v56, v[42:43]
	v_lshrrev_b32_e32 v58, 3, v51
	v_sub_u32_e32 v42, 29, v59
	v_and_b32_e32 v56, 7, v56
	v_cmp_gt_u32_e32 vcc, 8, v51
	v_cndmask_b32_e32 v42, v58, v42, vcc
	v_cndmask_b32_e32 v44, v44, v56, vcc
	v_lshlrev_b32_e32 v51, 16, v40
	v_lshlrev_b32_e32 v44, 20, v44
	v_and_b32_e32 v51, 0x80000000, v51
	v_lshl_add_u32 v42, v42, 23, v55
	v_or3_b32 v42, v51, v42, v44
	v_lshrrev_b32_e32 v44, 16, v42
.LBB900_561:                            ;   in Loop: Header=BB900_215 Depth=1
	s_or_b64 exec, exec, s[16:17]
.LBB900_562:                            ;   in Loop: Header=BB900_215 Depth=1
	s_or_b64 exec, exec, s[14:15]
.LBB900_563:                            ;   in Loop: Header=BB900_215 Depth=1
	s_or_b64 exec, exec, s[12:13]
	v_lshrrev_b32_e32 v42, 16, v40
	v_cmp_ne_u16_sdwa s[14:15], v42, v54 src0_sel:BYTE_0 src1_sel:DWORD
	s_and_saveexec_b64 s[12:13], s[14:15]
	s_cbranch_execz .LBB900_569
; %bb.564:                              ;   in Loop: Header=BB900_215 Depth=1
	v_cmp_ne_u16_sdwa s[16:17], v42, s9 src0_sel:BYTE_0 src1_sel:DWORD
	v_mov_b32_e32 v50, 0xffff8000
	s_and_saveexec_b64 s[14:15], s[16:17]
	s_cbranch_execz .LBB900_568
; %bb.565:                              ;   in Loop: Header=BB900_215 Depth=1
	v_bfe_u32 v51, v40, 16, 7
	v_cmp_ne_u32_e32 vcc, s21, v51
	v_mov_b32_e32 v50, 0x7f80
	s_and_saveexec_b64 s[16:17], vcc
	s_cbranch_execz .LBB900_567
; %bb.566:                              ;   in Loop: Header=BB900_215 Depth=1
	v_and_b32_e32 v50, 7, v42
	v_ffbh_u32_e32 v56, v50
	v_min_u32_e32 v59, 32, v56
	v_subrev_u32_e32 v56, 28, v59
	v_lshlrev_b64 v[56:57], v56, v[42:43]
	v_lshrrev_b32_e32 v58, 3, v51
	v_sub_u32_e32 v57, 29, v59
	v_and_b32_e32 v56, 7, v56
	v_cmp_gt_u32_e32 vcc, 8, v51
	v_cndmask_b32_e32 v51, v58, v57, vcc
	v_cndmask_b32_e32 v50, v50, v56, vcc
	v_lshlrev_b32_e32 v42, 24, v42
	v_lshlrev_b32_e32 v50, 20, v50
	v_and_b32_e32 v42, 0x80000000, v42
	v_lshl_add_u32 v51, v51, 23, v55
	v_or3_b32 v42, v42, v51, v50
	v_lshrrev_b32_e32 v50, 16, v42
.LBB900_567:                            ;   in Loop: Header=BB900_215 Depth=1
	s_or_b64 exec, exec, s[16:17]
.LBB900_568:                            ;   in Loop: Header=BB900_215 Depth=1
	s_or_b64 exec, exec, s[14:15]
.LBB900_569:                            ;   in Loop: Header=BB900_215 Depth=1
	s_or_b64 exec, exec, s[12:13]
	v_cmp_lt_u32_e32 vcc, s22, v40
	v_mov_b32_e32 v51, 0
	v_mov_b32_e32 v56, 0
	s_and_saveexec_b64 s[12:13], vcc
	s_cbranch_execz .LBB900_575
; %bb.570:                              ;   in Loop: Header=BB900_215 Depth=1
	v_lshrrev_b32_e32 v42, 24, v40
	v_cmp_ne_u32_e32 vcc, s9, v42
	v_mov_b32_e32 v56, 0xffff8000
	s_and_saveexec_b64 s[14:15], vcc
	s_cbranch_execz .LBB900_574
; %bb.571:                              ;   in Loop: Header=BB900_215 Depth=1
	v_bfe_u32 v40, v40, 24, 7
	v_cmp_ne_u32_e32 vcc, s21, v40
	v_mov_b32_e32 v56, 0x7f80
	s_and_saveexec_b64 s[16:17], vcc
	s_cbranch_execz .LBB900_573
; %bb.572:                              ;   in Loop: Header=BB900_215 Depth=1
	v_and_b32_e32 v58, 7, v42
	v_ffbh_u32_e32 v56, v58
	v_min_u32_e32 v60, 32, v56
	v_subrev_u32_e32 v56, 28, v60
	v_lshlrev_b64 v[56:57], v56, v[42:43]
	v_lshrrev_b32_e32 v59, 3, v40
	v_sub_u32_e32 v57, 29, v60
	v_and_b32_e32 v56, 7, v56
	v_cmp_gt_u32_e32 vcc, 8, v40
	v_cndmask_b32_e32 v40, v59, v57, vcc
	v_cndmask_b32_e32 v56, v58, v56, vcc
	v_lshlrev_b32_e32 v42, 24, v42
	v_lshlrev_b32_e32 v56, 20, v56
	v_and_b32_e32 v42, 0x80000000, v42
	v_lshl_add_u32 v40, v40, 23, v55
	v_or3_b32 v40, v42, v40, v56
	v_lshrrev_b32_e32 v56, 16, v40
.LBB900_573:                            ;   in Loop: Header=BB900_215 Depth=1
	s_or_b64 exec, exec, s[16:17]
.LBB900_574:                            ;   in Loop: Header=BB900_215 Depth=1
	s_or_b64 exec, exec, s[14:15]
.LBB900_575:                            ;   in Loop: Header=BB900_215 Depth=1
	s_or_b64 exec, exec, s[12:13]
	s_waitcnt vmcnt(0)
	v_cmp_ne_u16_sdwa s[14:15], v38, v54 src0_sel:BYTE_0 src1_sel:DWORD
	s_and_saveexec_b64 s[12:13], s[14:15]
	s_cbranch_execz .LBB900_581
; %bb.576:                              ;   in Loop: Header=BB900_215 Depth=1
	v_cmp_ne_u16_sdwa s[16:17], v38, s9 src0_sel:BYTE_0 src1_sel:DWORD
	v_mov_b32_e32 v51, 0xffff8000
	s_and_saveexec_b64 s[14:15], s[16:17]
	s_cbranch_execz .LBB900_580
; %bb.577:                              ;   in Loop: Header=BB900_215 Depth=1
	v_and_b32_e32 v40, 0x7f, v38
	v_cmp_ne_u32_e32 vcc, s21, v40
	v_mov_b32_e32 v51, 0x7f80
	s_and_saveexec_b64 s[16:17], vcc
	s_cbranch_execz .LBB900_579
; %bb.578:                              ;   in Loop: Header=BB900_215 Depth=1
	v_and_b32_e32 v42, 7, v38
	v_ffbh_u32_e32 v57, v42
	v_min_u32_e32 v57, 32, v57
	v_subrev_u32_e32 v58, 28, v57
	v_lshlrev_b64 v[58:59], v58, v[38:39]
	v_lshrrev_b32_e32 v51, 3, v40
	v_sub_u32_e32 v57, 29, v57
	v_and_b32_e32 v58, 7, v58
	v_cmp_gt_u32_e32 vcc, 8, v40
	v_cndmask_b32_e32 v40, v51, v57, vcc
	v_cndmask_b32_e32 v42, v42, v58, vcc
	v_lshlrev_b32_e32 v51, 24, v38
	v_lshlrev_b32_e32 v42, 20, v42
	v_and_b32_e32 v51, 0x80000000, v51
	v_lshl_add_u32 v40, v40, 23, v55
	v_or3_b32 v40, v51, v40, v42
	v_lshrrev_b32_e32 v51, 16, v40
.LBB900_579:                            ;   in Loop: Header=BB900_215 Depth=1
	s_or_b64 exec, exec, s[16:17]
.LBB900_580:                            ;   in Loop: Header=BB900_215 Depth=1
	s_or_b64 exec, exec, s[14:15]
.LBB900_581:                            ;   in Loop: Header=BB900_215 Depth=1
	s_or_b64 exec, exec, s[12:13]
	v_lshrrev_b16_e32 v40, 8, v38
	v_cmp_ne_u16_e32 vcc, 0, v40
	v_mov_b32_e32 v57, 0
	v_mov_b32_e32 v42, 0
	s_and_saveexec_b64 s[12:13], vcc
	s_cbranch_execz .LBB900_587
; %bb.582:                              ;   in Loop: Header=BB900_215 Depth=1
	v_cmp_ne_u16_e32 vcc, s9, v40
	v_mov_b32_e32 v42, 0xffff8000
	s_and_saveexec_b64 s[14:15], vcc
	s_cbranch_execz .LBB900_586
; %bb.583:                              ;   in Loop: Header=BB900_215 Depth=1
	v_and_b32_e32 v58, 0x7f, v40
	v_cmp_ne_u32_e32 vcc, s21, v58
	v_mov_b32_e32 v42, 0x7f80
	s_and_saveexec_b64 s[16:17], vcc
	s_cbranch_execz .LBB900_585
; %bb.584:                              ;   in Loop: Header=BB900_215 Depth=1
	v_and_b32_e32 v42, 7, v40
	v_ffbh_u32_e32 v60, v42
	v_min_u32_e32 v62, 32, v60
	v_subrev_u32_e32 v60, 28, v62
	v_lshlrev_b64 v[60:61], v60, v[40:41]
	v_lshrrev_b32_e32 v59, 3, v58
	v_sub_u32_e32 v40, 29, v62
	v_and_b32_e32 v60, 7, v60
	v_cmp_gt_u32_e32 vcc, 8, v58
	v_cndmask_b32_e32 v40, v59, v40, vcc
	v_cndmask_b32_e32 v42, v42, v60, vcc
	v_lshlrev_b32_e32 v58, 16, v38
	v_lshlrev_b32_e32 v42, 20, v42
	v_and_b32_e32 v58, 0x80000000, v58
	v_lshl_add_u32 v40, v40, 23, v55
	v_or3_b32 v40, v58, v40, v42
	v_lshrrev_b32_e32 v42, 16, v40
.LBB900_585:                            ;   in Loop: Header=BB900_215 Depth=1
	s_or_b64 exec, exec, s[16:17]
.LBB900_586:                            ;   in Loop: Header=BB900_215 Depth=1
	s_or_b64 exec, exec, s[14:15]
.LBB900_587:                            ;   in Loop: Header=BB900_215 Depth=1
	s_or_b64 exec, exec, s[12:13]
	v_lshrrev_b32_e32 v40, 16, v38
	v_cmp_ne_u16_sdwa s[14:15], v40, v54 src0_sel:BYTE_0 src1_sel:DWORD
	s_and_saveexec_b64 s[12:13], s[14:15]
	s_cbranch_execz .LBB900_593
; %bb.588:                              ;   in Loop: Header=BB900_215 Depth=1
	v_cmp_ne_u16_sdwa s[16:17], v40, s9 src0_sel:BYTE_0 src1_sel:DWORD
	v_mov_b32_e32 v57, 0xffff8000
	s_and_saveexec_b64 s[14:15], s[16:17]
	s_cbranch_execz .LBB900_592
; %bb.589:                              ;   in Loop: Header=BB900_215 Depth=1
	v_bfe_u32 v58, v38, 16, 7
	v_cmp_ne_u32_e32 vcc, s21, v58
	v_mov_b32_e32 v57, 0x7f80
	s_and_saveexec_b64 s[16:17], vcc
	s_cbranch_execz .LBB900_591
; %bb.590:                              ;   in Loop: Header=BB900_215 Depth=1
	v_and_b32_e32 v57, 7, v40
	v_ffbh_u32_e32 v60, v57
	v_min_u32_e32 v62, 32, v60
	v_subrev_u32_e32 v60, 28, v62
	v_lshlrev_b64 v[60:61], v60, v[40:41]
	v_lshrrev_b32_e32 v59, 3, v58
	v_sub_u32_e32 v61, 29, v62
	v_and_b32_e32 v60, 7, v60
	v_cmp_gt_u32_e32 vcc, 8, v58
	v_cndmask_b32_e32 v58, v59, v61, vcc
	v_cndmask_b32_e32 v57, v57, v60, vcc
	v_lshlrev_b32_e32 v40, 24, v40
	v_lshlrev_b32_e32 v57, 20, v57
	v_and_b32_e32 v40, 0x80000000, v40
	v_lshl_add_u32 v58, v58, 23, v55
	v_or3_b32 v40, v40, v58, v57
	v_lshrrev_b32_e32 v57, 16, v40
.LBB900_591:                            ;   in Loop: Header=BB900_215 Depth=1
	s_or_b64 exec, exec, s[16:17]
.LBB900_592:                            ;   in Loop: Header=BB900_215 Depth=1
	s_or_b64 exec, exec, s[14:15]
.LBB900_593:                            ;   in Loop: Header=BB900_215 Depth=1
	s_or_b64 exec, exec, s[12:13]
	v_cmp_lt_u32_e32 vcc, s22, v38
	v_mov_b32_e32 v58, 0
	s_and_saveexec_b64 s[12:13], vcc
	s_cbranch_execz .LBB900_214
; %bb.594:                              ;   in Loop: Header=BB900_215 Depth=1
	v_lshrrev_b32_e32 v40, 24, v38
	v_cmp_ne_u32_e32 vcc, s9, v40
	v_mov_b32_e32 v58, 0xffff8000
	s_and_saveexec_b64 s[14:15], vcc
	s_cbranch_execz .LBB900_213
; %bb.595:                              ;   in Loop: Header=BB900_215 Depth=1
	v_bfe_u32 v38, v38, 24, 7
	v_cmp_ne_u32_e32 vcc, s21, v38
	v_mov_b32_e32 v58, 0x7f80
	s_and_saveexec_b64 s[16:17], vcc
	s_cbranch_execz .LBB900_212
; %bb.596:                              ;   in Loop: Header=BB900_215 Depth=1
	v_and_b32_e32 v60, 7, v40
	v_ffbh_u32_e32 v58, v60
	v_min_u32_e32 v62, 32, v58
	v_subrev_u32_e32 v58, 28, v62
	v_lshlrev_b64 v[58:59], v58, v[40:41]
	v_lshrrev_b32_e32 v61, 3, v38
	v_sub_u32_e32 v59, 29, v62
	v_and_b32_e32 v58, 7, v58
	v_cmp_gt_u32_e32 vcc, 8, v38
	v_cndmask_b32_e32 v38, v61, v59, vcc
	v_cndmask_b32_e32 v58, v60, v58, vcc
	v_lshlrev_b32_e32 v40, 24, v40
	v_lshlrev_b32_e32 v58, 20, v58
	v_and_b32_e32 v40, 0x80000000, v40
	v_lshl_add_u32 v38, v38, 23, v55
	v_or3_b32 v38, v40, v38, v58
	v_lshrrev_b32_e32 v58, 16, v38
	s_branch .LBB900_212
.LBB900_597:
	s_barrier
	buffer_load_dword v2, off, s[0:3], 0 offset:320
	buffer_load_dword v5, off, s[0:3], 0 offset:332
	;; [unrolled: 1-line block ×4, first 2 shown]
	v_cmp_gt_u32_e32 vcc, 64, v0
	s_waitcnt vmcnt(0)
	ds_write2st64_b64 v52, v[2:3], v[4:5] offset1:1
	s_waitcnt lgkmcnt(0)
	s_barrier
	s_and_saveexec_b64 s[4:5], vcc
	s_cbranch_execz .LBB900_600
; %bb.598:
	s_lshl_b32 s4, s48, 7
	s_mul_i32 s5, s18, s8
	s_mul_hi_u32 s9, s5, s4
	s_mul_i32 s8, s5, s4
	s_lshl_b64 s[8:9], s[8:9], 1
	s_add_u32 s5, s50, s8
	v_lshlrev_b32_e32 v4, 6, v41
	s_mov_b32 s7, 0
	s_addc_u32 s8, s51, s9
	s_lshl_b32 s6, s26, 7
	v_lshl_or_b32 v0, v0, 10, v4
	s_lshl_b64 s[6:7], s[6:7], 1
	v_lshlrev_b32_e32 v2, 5, v1
	v_and_b32_e32 v3, 16, v43
	v_and_b32_e32 v0, 0x1a00, v0
	s_add_u32 s5, s5, s6
	v_or3_b32 v0, v0, v2, v3
	s_addc_u32 s6, s8, s7
	v_add_u32_e32 v8, s27, v1
	v_mov_b32_e32 v3, s6
	v_add_co_u32_e32 v2, vcc, s5, v39
	ds_read_b128 v[4:7], v0
	v_mad_u64_u32 v[8:9], s[6:7], v8, s4, 0
	v_addc_co_u32_e32 v3, vcc, 0, v3, vcc
	v_lshlrev_b64 v[8:9], 1, v[8:9]
	v_add_co_u32_e32 v8, vcc, v2, v8
	v_addc_co_u32_e32 v9, vcc, v3, v9, vcc
	v_cmp_ne_u32_e32 vcc, 3, v1
	s_waitcnt lgkmcnt(0)
	global_store_dwordx4 v[8:9], v[4:7], off
	s_and_b64 exec, exec, vcc
	s_cbranch_execz .LBB900_600
; %bb.599:
	ds_read_b128 v[4:7], v0 offset:128
	v_add3_u32 v0, s27, v1, 4
	v_mad_u64_u32 v[0:1], s[4:5], v0, s4, 0
	v_lshlrev_b64 v[0:1], 1, v[0:1]
	v_add_co_u32_e32 v0, vcc, v2, v0
	v_addc_co_u32_e32 v1, vcc, v3, v1, vcc
	s_waitcnt lgkmcnt(0)
	global_store_dwordx4 v[0:1], v[4:7], off
.LBB900_600:
	s_endpgm
	.section	.rodata,"a",@progbits
	.p2align	6, 0x0
	.amdhsa_kernel _Z39paged_attention_ll4mi_QKV_mfma16_kernelI14__hip_bfloat16hLN4vllm18Fp8KVCacheDataTypeE1ES0_Li16ELi128ELi256ELb1ELi7EL8MFMAType0EEvPKT_PKT0_S9_ifPKiSB_SB_iPKfiiiPfSE_PS4_PT2_iSD_SD_
		.amdhsa_group_segment_fixed_size 8192
		.amdhsa_private_segment_fixed_size 352
		.amdhsa_kernarg_size 400
		.amdhsa_user_sgpr_count 8
		.amdhsa_user_sgpr_private_segment_buffer 1
		.amdhsa_user_sgpr_dispatch_ptr 0
		.amdhsa_user_sgpr_queue_ptr 0
		.amdhsa_user_sgpr_kernarg_segment_ptr 1
		.amdhsa_user_sgpr_dispatch_id 0
		.amdhsa_user_sgpr_flat_scratch_init 1
		.amdhsa_user_sgpr_kernarg_preload_length 0
		.amdhsa_user_sgpr_kernarg_preload_offset 0
		.amdhsa_user_sgpr_private_segment_size 0
		.amdhsa_uses_dynamic_stack 0
		.amdhsa_system_sgpr_private_segment_wavefront_offset 1
		.amdhsa_system_sgpr_workgroup_id_x 1
		.amdhsa_system_sgpr_workgroup_id_y 1
		.amdhsa_system_sgpr_workgroup_id_z 1
		.amdhsa_system_sgpr_workgroup_info 0
		.amdhsa_system_vgpr_workitem_id 0
		.amdhsa_next_free_vgpr 80
		.amdhsa_next_free_sgpr 53
		.amdhsa_accum_offset 80
		.amdhsa_reserve_vcc 1
		.amdhsa_reserve_flat_scratch 0
		.amdhsa_float_round_mode_32 0
		.amdhsa_float_round_mode_16_64 0
		.amdhsa_float_denorm_mode_32 3
		.amdhsa_float_denorm_mode_16_64 3
		.amdhsa_dx10_clamp 1
		.amdhsa_ieee_mode 1
		.amdhsa_fp16_overflow 0
		.amdhsa_tg_split 0
		.amdhsa_exception_fp_ieee_invalid_op 0
		.amdhsa_exception_fp_denorm_src 0
		.amdhsa_exception_fp_ieee_div_zero 0
		.amdhsa_exception_fp_ieee_overflow 0
		.amdhsa_exception_fp_ieee_underflow 0
		.amdhsa_exception_fp_ieee_inexact 0
		.amdhsa_exception_int_div_zero 0
	.end_amdhsa_kernel
	.section	.text._Z39paged_attention_ll4mi_QKV_mfma16_kernelI14__hip_bfloat16hLN4vllm18Fp8KVCacheDataTypeE1ES0_Li16ELi128ELi256ELb1ELi7EL8MFMAType0EEvPKT_PKT0_S9_ifPKiSB_SB_iPKfiiiPfSE_PS4_PT2_iSD_SD_,"axG",@progbits,_Z39paged_attention_ll4mi_QKV_mfma16_kernelI14__hip_bfloat16hLN4vllm18Fp8KVCacheDataTypeE1ES0_Li16ELi128ELi256ELb1ELi7EL8MFMAType0EEvPKT_PKT0_S9_ifPKiSB_SB_iPKfiiiPfSE_PS4_PT2_iSD_SD_,comdat
.Lfunc_end900:
	.size	_Z39paged_attention_ll4mi_QKV_mfma16_kernelI14__hip_bfloat16hLN4vllm18Fp8KVCacheDataTypeE1ES0_Li16ELi128ELi256ELb1ELi7EL8MFMAType0EEvPKT_PKT0_S9_ifPKiSB_SB_iPKfiiiPfSE_PS4_PT2_iSD_SD_, .Lfunc_end900-_Z39paged_attention_ll4mi_QKV_mfma16_kernelI14__hip_bfloat16hLN4vllm18Fp8KVCacheDataTypeE1ES0_Li16ELi128ELi256ELb1ELi7EL8MFMAType0EEvPKT_PKT0_S9_ifPKiSB_SB_iPKfiiiPfSE_PS4_PT2_iSD_SD_
                                        ; -- End function
	.section	.AMDGPU.csdata,"",@progbits
; Kernel info:
; codeLenInByte = 22464
; NumSgprs: 57
; NumVgprs: 80
; NumAgprs: 0
; TotalNumVgprs: 80
; ScratchSize: 352
; MemoryBound: 0
; FloatMode: 240
; IeeeMode: 1
; LDSByteSize: 8192 bytes/workgroup (compile time only)
; SGPRBlocks: 7
; VGPRBlocks: 9
; NumSGPRsForWavesPerEU: 57
; NumVGPRsForWavesPerEU: 80
; AccumOffset: 80
; Occupancy: 6
; WaveLimiterHint : 1
; COMPUTE_PGM_RSRC2:SCRATCH_EN: 1
; COMPUTE_PGM_RSRC2:USER_SGPR: 8
; COMPUTE_PGM_RSRC2:TRAP_HANDLER: 0
; COMPUTE_PGM_RSRC2:TGID_X_EN: 1
; COMPUTE_PGM_RSRC2:TGID_Y_EN: 1
; COMPUTE_PGM_RSRC2:TGID_Z_EN: 1
; COMPUTE_PGM_RSRC2:TIDIG_COMP_CNT: 0
; COMPUTE_PGM_RSRC3_GFX90A:ACCUM_OFFSET: 19
; COMPUTE_PGM_RSRC3_GFX90A:TG_SPLIT: 0
	.section	.text._Z39paged_attention_ll4mi_QKV_mfma16_kernelI14__hip_bfloat16hLN4vllm18Fp8KVCacheDataTypeE1ES0_Li16ELi128ELi256ELb1ELi8EL8MFMAType0EEvPKT_PKT0_S9_ifPKiSB_SB_iPKfiiiPfSE_PS4_PT2_iSD_SD_,"axG",@progbits,_Z39paged_attention_ll4mi_QKV_mfma16_kernelI14__hip_bfloat16hLN4vllm18Fp8KVCacheDataTypeE1ES0_Li16ELi128ELi256ELb1ELi8EL8MFMAType0EEvPKT_PKT0_S9_ifPKiSB_SB_iPKfiiiPfSE_PS4_PT2_iSD_SD_,comdat
	.protected	_Z39paged_attention_ll4mi_QKV_mfma16_kernelI14__hip_bfloat16hLN4vllm18Fp8KVCacheDataTypeE1ES0_Li16ELi128ELi256ELb1ELi8EL8MFMAType0EEvPKT_PKT0_S9_ifPKiSB_SB_iPKfiiiPfSE_PS4_PT2_iSD_SD_ ; -- Begin function _Z39paged_attention_ll4mi_QKV_mfma16_kernelI14__hip_bfloat16hLN4vllm18Fp8KVCacheDataTypeE1ES0_Li16ELi128ELi256ELb1ELi8EL8MFMAType0EEvPKT_PKT0_S9_ifPKiSB_SB_iPKfiiiPfSE_PS4_PT2_iSD_SD_
	.globl	_Z39paged_attention_ll4mi_QKV_mfma16_kernelI14__hip_bfloat16hLN4vllm18Fp8KVCacheDataTypeE1ES0_Li16ELi128ELi256ELb1ELi8EL8MFMAType0EEvPKT_PKT0_S9_ifPKiSB_SB_iPKfiiiPfSE_PS4_PT2_iSD_SD_
	.p2align	8
	.type	_Z39paged_attention_ll4mi_QKV_mfma16_kernelI14__hip_bfloat16hLN4vllm18Fp8KVCacheDataTypeE1ES0_Li16ELi128ELi256ELb1ELi8EL8MFMAType0EEvPKT_PKT0_S9_ifPKiSB_SB_iPKfiiiPfSE_PS4_PT2_iSD_SD_,@function
_Z39paged_attention_ll4mi_QKV_mfma16_kernelI14__hip_bfloat16hLN4vllm18Fp8KVCacheDataTypeE1ES0_Li16ELi128ELi256ELb1ELi8EL8MFMAType0EEvPKT_PKT0_S9_ifPKiSB_SB_iPKfiiiPfSE_PS4_PT2_iSD_SD_: ; @_Z39paged_attention_ll4mi_QKV_mfma16_kernelI14__hip_bfloat16hLN4vllm18Fp8KVCacheDataTypeE1ES0_Li16ELi128ELi256ELb1ELi8EL8MFMAType0EEvPKT_PKT0_S9_ifPKiSB_SB_iPKfiiiPfSE_PS4_PT2_iSD_SD_
; %bb.0:
	s_load_dwordx2 s[6:7], s[4:5], 0x30
	s_add_u32 s0, s0, s11
	s_addc_u32 s1, s1, 0
	s_mov_b32 s26, s9
	s_mov_b64 s[14:15], 0
	s_waitcnt lgkmcnt(0)
	s_cmp_lg_u64 s[6:7], 0
	s_cselect_b64 s[12:13], -1, 0
	s_and_b64 vcc, exec, s[12:13]
	s_cbranch_vccz .LBB901_7
; %bb.1:
	s_add_i32 s16, s8, 1
	s_mov_b32 s17, 0
	s_lshl_b64 s[18:19], s[16:17], 2
	s_add_u32 s18, s6, s18
	s_mov_b32 s9, s17
	s_addc_u32 s19, s7, s19
	s_lshl_b64 s[16:17], s[8:9], 2
	s_add_u32 s16, s6, s16
	s_addc_u32 s17, s7, s17
	s_load_dword s11, s[18:19], 0x0
	s_load_dword s20, s[16:17], 0x0
	s_waitcnt lgkmcnt(0)
	s_sub_i32 s11, s11, s20
	s_cmp_eq_u32 s11, 1
	s_cselect_b64 s[16:17], -1, 0
	s_andn2_b64 vcc, exec, s[14:15]
	s_cbranch_vccnz .LBB901_3
.LBB901_2:
	s_mov_b32 s9, 0
	s_mov_b64 s[16:17], -1
.LBB901_3:
	s_andn2_b64 vcc, exec, s[16:17]
	s_cbranch_vccnz .LBB901_599
; %bb.4:
	s_load_dwordx2 s[16:17], s[4:5], 0x28
	s_lshl_b64 s[14:15], s[8:9], 2
	s_waitcnt lgkmcnt(0)
	s_add_u32 s16, s16, s14
	s_addc_u32 s17, s17, s15
	s_load_dword s33, s[16:17], 0x0
	s_lshl_b32 s20, s26, 8
	s_waitcnt lgkmcnt(0)
	s_cmp_ge_i32 s20, s33
	s_cbranch_scc1 .LBB901_599
; %bb.5:
	s_add_i32 s18, s33, 15
	s_load_dwordx2 s[16:17], s[4:5], 0x20
	s_load_dword s11, s[4:5], 0x38
	s_ashr_i32 s19, s18, 31
	v_and_b32_e32 v1, 0xcf, v0
	s_lshr_b32 s19, s19, 28
	v_add_u32_e32 v1, s20, v1
	s_add_i32 s18, s18, s19
	v_ashrrev_i32_e32 v2, 31, v1
	s_ashr_i32 s23, s18, 4
	v_lshrrev_b32_e32 v4, 28, v2
	s_add_i32 s23, s23, -1
	v_add_u32_e32 v2, v1, v4
	s_waitcnt lgkmcnt(0)
	s_mul_i32 s18, s8, s11
	s_mov_b32 s19, 0
	v_ashrrev_i32_e32 v2, 4, v2
	v_mov_b32_e32 v5, s23
	v_cmp_gt_i32_e32 vcc, s33, v1
	s_lshl_b64 s[18:19], s[18:19], 2
	v_cndmask_b32_e32 v2, v5, v2, vcc
	s_add_u32 s21, s16, s18
	v_ashrrev_i32_e32 v3, 31, v2
	s_addc_u32 s22, s17, s19
	v_lshlrev_b64 v[2:3], 2, v[2:3]
	v_mov_b32_e32 v7, s22
	v_add_co_u32_e32 v6, vcc, s21, v2
	v_or_b32_e32 v2, 16, v1
	v_addc_co_u32_e32 v7, vcc, v7, v3, vcc
	v_add_u32_e32 v3, v2, v4
	v_ashrrev_i32_e32 v3, 4, v3
	v_cmp_gt_i32_e32 vcc, s33, v2
	v_cndmask_b32_e32 v2, v5, v3, vcc
	v_ashrrev_i32_e32 v3, 31, v2
	v_lshlrev_b64 v[2:3], 2, v[2:3]
	v_mov_b32_e32 v9, s22
	v_add_co_u32_e32 v8, vcc, s21, v2
	v_or_b32_e32 v2, 32, v1
	v_addc_co_u32_e32 v9, vcc, v9, v3, vcc
	v_add_u32_e32 v3, v2, v4
	v_ashrrev_i32_e32 v3, 4, v3
	v_cmp_gt_i32_e32 vcc, s33, v2
	v_cndmask_b32_e32 v2, v5, v3, vcc
	v_ashrrev_i32_e32 v3, 31, v2
	v_lshlrev_b64 v[2:3], 2, v[2:3]
	v_mov_b32_e32 v11, s22
	v_add_co_u32_e32 v10, vcc, s21, v2
	v_or_b32_e32 v1, 48, v1
	v_addc_co_u32_e32 v11, vcc, v11, v3, vcc
	v_add_u32_e32 v2, v1, v4
	v_ashrrev_i32_e32 v2, 4, v2
	v_cmp_gt_i32_e32 vcc, s33, v1
	v_cndmask_b32_e32 v2, v5, v2, vcc
	v_ashrrev_i32_e32 v3, 31, v2
	v_lshlrev_b64 v[2:3], 2, v[2:3]
	v_mov_b32_e32 v1, s22
	v_add_co_u32_e32 v12, vcc, s21, v2
	v_addc_co_u32_e32 v13, vcc, v1, v3, vcc
	global_load_dword v5, v[6:7], off
	global_load_dword v4, v[8:9], off
	;; [unrolled: 1-line block ×4, first 2 shown]
	s_load_dwordx2 s[16:17], s[4:5], 0x8
	s_andn2_b64 vcc, exec, s[12:13]
	s_cbranch_vccnz .LBB901_8
; %bb.6:
	s_add_u32 s6, s6, s14
	s_addc_u32 s7, s7, s15
	s_load_dword s11, s[6:7], 0x0
	s_branch .LBB901_9
.LBB901_7:
	s_mov_b64 s[16:17], 0
	s_branch .LBB901_2
.LBB901_8:
	s_mov_b32 s11, s8
.LBB901_9:
	s_load_dwordx2 s[6:7], s[4:5], 0x10
	s_load_dwordx4 s[12:15], s[4:5], 0x48
	v_and_b32_e32 v41, 15, v0
	v_lshlrev_b32_e32 v6, 3, v41
	s_waitcnt lgkmcnt(0)
	s_movk_i32 s15, 0x80
	v_lshrrev_b32_e32 v27, 6, v0
	v_bfe_u32 v1, v0, 4, 2
	s_lshl_b32 s27, s10, 3
	v_cmp_gt_u32_e32 vcc, s15, v0
	v_lshlrev_b32_e32 v39, 1, v6
	v_lshlrev_b32_e32 v43, 4, v0
	s_and_saveexec_b64 s[18:19], vcc
	s_cbranch_execz .LBB901_11
; %bb.10:
	s_load_dwordx2 s[24:25], s[4:5], 0x0
	s_ashr_i32 s15, s12, 31
	s_mul_hi_u32 s28, s11, s12
	s_mul_i32 s15, s11, s15
	v_lshl_or_b32 v10, v27, 2, v1
	s_add_i32 s29, s28, s15
	s_mul_i32 s28, s11, s12
	s_lshl_b64 s[28:29], s[28:29], 1
	v_add_lshl_u32 v6, v10, s27, 7
	s_waitcnt lgkmcnt(0)
	s_add_u32 s11, s24, s28
	v_ashrrev_i32_e32 v7, 31, v6
	s_addc_u32 s12, s25, s29
	v_lshlrev_b64 v[6:7], 1, v[6:7]
	v_mov_b32_e32 v8, s12
	v_add_co_u32_e32 v6, vcc, s11, v6
	v_addc_co_u32_e32 v7, vcc, v8, v7, vcc
	v_add_co_u32_e32 v6, vcc, v6, v39
	v_addc_co_u32_e32 v7, vcc, 0, v7, vcc
	global_load_dwordx4 v[6:9], v[6:7], off
	v_lshlrev_b32_e32 v12, 8, v0
	v_lshlrev_b32_e32 v11, 8, v41
	v_and_b32_e32 v12, 0x600, v12
	s_movk_i32 s11, 0x800
	v_and_or_b32 v11, v11, s11, v12
	v_lshlrev_b32_e32 v10, 5, v10
	v_and_b32_e32 v12, 16, v43
	v_or3_b32 v10, v11, v10, v12
	s_waitcnt vmcnt(0)
	ds_write_b128 v10, v[6:9]
.LBB901_11:
	s_or_b64 exec, exec, s[18:19]
	s_mul_i32 s14, s10, s14
	s_add_u32 s10, s16, s14
	s_addc_u32 s11, s17, 0
	v_and_b32_e32 v6, 0xf0, v43
	v_mov_b32_e32 v7, s11
	v_add_co_u32_e32 v6, vcc, s10, v6
	v_and_b32_e32 v18, 48, v0
	v_addc_co_u32_e32 v7, vcc, 0, v7, vcc
	v_lshlrev_b32_e32 v10, 4, v18
	s_waitcnt vmcnt(3)
	v_mad_i64_i32 v[8:9], s[10:11], v5, s13, v[6:7]
	v_add_co_u32_e32 v8, vcc, v8, v10
	v_addc_co_u32_e32 v9, vcc, 0, v9, vcc
	s_waitcnt vmcnt(2)
	v_mad_i64_i32 v[4:5], s[10:11], v4, s13, v[6:7]
	v_add_co_u32_e32 v4, vcc, v4, v10
	v_addc_co_u32_e32 v5, vcc, 0, v5, vcc
	s_load_dwordx2 s[48:49], s[4:5], 0x94
	s_waitcnt lgkmcnt(0)
	s_barrier
	global_load_dwordx4 v[20:23], v[8:9], off
	global_load_dwordx4 v[28:31], v[8:9], off offset:1024
	global_load_dwordx4 v[32:35], v[4:5], off
	global_load_dwordx4 v[44:47], v[4:5], off offset:1024
	s_waitcnt vmcnt(5)
	v_mad_i64_i32 v[4:5], s[10:11], v3, s13, v[6:7]
	v_add_co_u32_e32 v4, vcc, v4, v10
	v_addc_co_u32_e32 v5, vcc, 0, v5, vcc
	s_waitcnt vmcnt(4)
	v_mad_i64_i32 v[2:3], s[10:11], v2, s13, v[6:7]
	v_add_co_u32_e32 v2, vcc, v2, v10
	v_addc_co_u32_e32 v3, vcc, 0, v3, vcc
	global_load_dwordx4 v[48:51], v[4:5], off
	global_load_dwordx4 v[52:55], v[4:5], off offset:1024
	global_load_dwordx4 v[56:59], v[2:3], off
	global_load_dwordx4 v[60:63], v[2:3], off offset:1024
	v_and_b32_e32 v2, 7, v0
	v_lshlrev_b32_e32 v2, 5, v2
	v_lshl_or_b32 v14, v1, 9, v2
	s_load_dwordx2 s[50:51], s[4:5], 0x68
	s_load_dwordx4 s[44:47], s[4:5], 0x58
	ds_read_b128 v[2:5], v14
	ds_read_b128 v[6:9], v14 offset:16
	ds_read_b128 v[10:13], v14 offset:2048
	;; [unrolled: 1-line block ×3, first 2 shown]
	s_mov_b32 s12, 0
	v_cmp_gt_u32_e32 vcc, 8, v41
	s_waitcnt vmcnt(7)
	buffer_store_dword v23, off, s[0:3], 0 offset:12
	buffer_store_dword v22, off, s[0:3], 0 offset:8
	;; [unrolled: 1-line block ×3, first 2 shown]
	buffer_store_dword v20, off, s[0:3], 0
	s_waitcnt vmcnt(10)
	buffer_store_dword v31, off, s[0:3], 0 offset:28
	buffer_store_dword v30, off, s[0:3], 0 offset:24
	buffer_store_dword v29, off, s[0:3], 0 offset:20
	buffer_store_dword v28, off, s[0:3], 0 offset:16
	s_waitcnt vmcnt(13)
	buffer_store_dword v35, off, s[0:3], 0 offset:44
	buffer_store_dword v34, off, s[0:3], 0 offset:40
	buffer_store_dword v33, off, s[0:3], 0 offset:36
	buffer_store_dword v32, off, s[0:3], 0 offset:32
	;; [unrolled: 5-line block ×7, first 2 shown]
	v_mov_b32_e32 v35, 0
	v_mov_b32_e32 v31, 0
	s_and_saveexec_b64 s[10:11], vcc
	s_cbranch_execz .LBB901_13
; %bb.12:
	s_load_dwordx2 s[16:17], s[4:5], 0x40
	v_or_b32_e32 v20, s27, v41
	v_ashrrev_i32_e32 v21, 31, v20
	v_lshlrev_b64 v[20:21], 2, v[20:21]
	s_waitcnt lgkmcnt(0)
	v_mov_b32_e32 v19, s17
	v_add_co_u32_e32 v20, vcc, s16, v20
	v_addc_co_u32_e32 v21, vcc, v19, v21, vcc
	global_load_dword v31, v[20:21], off
.LBB901_13:
	s_or_b64 exec, exec, s[10:11]
	v_or_b32_e32 v22, s20, v18
	v_ashrrev_i32_e32 v18, 4, v22
	v_mov_b32_e32 v23, s23
	v_cmp_gt_i32_e32 vcc, s33, v22
	v_cndmask_b32_e32 v18, v23, v18, vcc
	v_ashrrev_i32_e32 v19, 31, v18
	v_lshlrev_b64 v[18:19], 2, v[18:19]
	v_mov_b32_e32 v20, s22
	v_add_co_u32_e32 v18, vcc, s21, v18
	v_addc_co_u32_e32 v19, vcc, v20, v19, vcc
	global_load_dword v26, v[18:19], off
	v_or_b32_e32 v18, 64, v22
	v_ashrrev_i32_e32 v19, 4, v18
	v_cmp_gt_i32_e32 vcc, s33, v18
	v_cndmask_b32_e32 v18, v23, v19, vcc
	v_ashrrev_i32_e32 v19, 31, v18
	v_lshlrev_b64 v[18:19], 2, v[18:19]
	v_add_co_u32_e32 v18, vcc, s21, v18
	v_addc_co_u32_e32 v19, vcc, v20, v19, vcc
	v_or_b32_e32 v20, 0x80, v22
	v_ashrrev_i32_e32 v21, 4, v20
	v_cmp_gt_i32_e32 vcc, s33, v20
	v_cndmask_b32_e32 v20, v23, v21, vcc
	v_ashrrev_i32_e32 v21, 31, v20
	v_lshlrev_b64 v[20:21], 2, v[20:21]
	v_mov_b32_e32 v24, s22
	v_add_co_u32_e32 v20, vcc, s21, v20
	v_addc_co_u32_e32 v21, vcc, v24, v21, vcc
	global_load_dword v28, v[18:19], off
	global_load_dword v30, v[20:21], off
	v_or_b32_e32 v18, 0xc0, v22
	v_ashrrev_i32_e32 v19, 4, v18
	v_cmp_gt_i32_e32 vcc, s33, v18
	v_cndmask_b32_e32 v18, v23, v19, vcc
	v_ashrrev_i32_e32 v19, 31, v18
	v_lshlrev_b64 v[18:19], 2, v[18:19]
	v_mov_b32_e32 v20, s22
	v_add_co_u32_e32 v18, vcc, s21, v18
	v_addc_co_u32_e32 v19, vcc, v20, v19, vcc
	global_load_dword v34, v[18:19], off
	s_add_u32 s10, s6, s14
	v_lshl_or_b32 v29, v27, 4, v41
	s_addc_u32 s6, s7, 0
	v_lshlrev_b32_e32 v18, 4, v29
	v_mov_b32_e32 v19, s6
	v_add_co_u32_e32 v22, vcc, s10, v18
	v_addc_co_u32_e32 v23, vcc, 0, v19, vcc
	v_or_b32_e32 v24, 0x400, v18
	v_mov_b32_e32 v25, s6
	v_add_co_u32_e32 v24, vcc, s10, v24
	v_addc_co_u32_e32 v25, vcc, 0, v25, vcc
	v_mov_b32_e32 v36, 0
	s_movk_i32 s14, 0x7f
	s_mov_b32 s15, 0xffffff
	s_mov_b32 s16, 0x5040100
	v_mov_b32_e32 v37, 0x100
	v_bfrev_b32_e32 v38, 60
	s_waitcnt vmcnt(3)
	v_mad_i64_i32 v[18:19], s[6:7], v26, s13, v[22:23]
	global_load_dwordx4 v[18:21], v[18:19], off
	v_mad_i64_i32 v[32:33], s[6:7], v26, s13, v[24:25]
	global_load_dwordx4 v[52:55], v[32:33], off
	s_waitcnt vmcnt(4)
	v_mad_i64_i32 v[32:33], s[6:7], v28, s13, v[22:23]
	global_load_dwordx4 v[56:59], v[32:33], off
	s_waitcnt vmcnt(4)
	;; [unrolled: 3-line block ×3, first 2 shown]
	v_mad_i64_i32 v[22:23], s[6:7], v34, s13, v[22:23]
	global_load_dwordx4 v[64:67], v[22:23], off
	v_mad_i64_i32 v[22:23], s[6:7], v28, s13, v[24:25]
	global_load_dwordx4 v[68:71], v[22:23], off
	;; [unrolled: 2-line block ×4, first 2 shown]
	s_load_dword s6, s[4:5], 0x1c
	s_load_dwordx4 s[40:43], s[4:5], 0x80
	v_mov_b32_e32 v22, 0x80
	v_add_u32_e32 v45, 16, v22
	v_add_u32_e32 v46, 32, v22
	;; [unrolled: 1-line block ×3, first 2 shown]
	s_waitcnt lgkmcnt(0)
	s_load_dword s4, s[40:41], 0x0
	v_add_u32_e32 v51, 64, v22
	v_add_u32_e32 v48, 0x50, v22
	;; [unrolled: 1-line block ×4, first 2 shown]
	v_mov_b32_e32 v22, s6
	s_waitcnt lgkmcnt(0)
	v_mul_f32_e32 v22, s4, v22
	v_and_b32_e32 v33, 63, v0
	s_movk_i32 s13, 0x80
	v_mov_b32_e32 v24, v22
	v_mov_b32_e32 v25, v22
	s_waitcnt vmcnt(7)
	buffer_store_dword v21, off, s[0:3], 0 offset:140
	buffer_store_dword v20, off, s[0:3], 0 offset:136
	buffer_store_dword v19, off, s[0:3], 0 offset:132
	buffer_store_dword v18, off, s[0:3], 0 offset:128
	s_waitcnt vmcnt(10)
	buffer_store_dword v55, off, s[0:3], 0 offset:156
	buffer_store_dword v54, off, s[0:3], 0 offset:152
	buffer_store_dword v53, off, s[0:3], 0 offset:148
	buffer_store_dword v52, off, s[0:3], 0 offset:144
	;; [unrolled: 5-line block ×8, first 2 shown]
	s_branch .LBB901_17
.LBB901_14:                             ;   in Loop: Header=BB901_17 Depth=1
	s_or_b64 exec, exec, s[10:11]
.LBB901_15:                             ;   in Loop: Header=BB901_17 Depth=1
	s_or_b64 exec, exec, s[6:7]
.LBB901_16:                             ;   in Loop: Header=BB901_17 Depth=1
	s_or_b64 exec, exec, s[4:5]
	v_perm_b32 v55, v40, v34, s16
	v_perm_b32 v54, v23, v32, s16
	;; [unrolled: 1-line block ×4, first 2 shown]
	v_add_u32_e32 v26, s12, v37
	v_mfma_f32_16x16x16bf16_1k v[18:21], v[54:55], v[14:15], v[18:21]
	s_add_i32 s12, s12, 16
	v_mov_b32_e32 v23, v22
	s_cmp_eq_u32 s12, 64
	v_add_u32_e32 v36, 32, v36
	v_mfma_f32_16x16x16bf16_1k v[18:21], v[52:53], v[16:17], v[18:21]
	s_nop 7
	s_nop 2
	v_pk_mul_f32 v[18:19], v[24:25], v[18:19]
	v_pk_mul_f32 v[20:21], v[22:23], v[20:21]
	buffer_store_dword v19, v26, s[0:3], 0 offen offset:4
	buffer_store_dword v18, v26, s[0:3], 0 offen
	buffer_store_dword v21, v26, s[0:3], 0 offen offset:12
	buffer_store_dword v20, v26, s[0:3], 0 offen offset:8
	s_cbranch_scc1 .LBB901_207
.LBB901_17:                             ; =>This Inner Loop Header: Depth=1
	buffer_load_dword v20, v36, s[0:3], 0 offen
	buffer_load_dword v18, v36, s[0:3], 0 offen offset:4
	buffer_load_dword v28, v36, s[0:3], 0 offen offset:8
	;; [unrolled: 1-line block ×3, first 2 shown]
	v_mov_b32_e32 v19, 0
	v_mov_b32_e32 v21, 0
	s_waitcnt vmcnt(3)
	v_cmp_ne_u16_sdwa s[6:7], v20, v35 src0_sel:BYTE_0 src1_sel:DWORD
	s_and_saveexec_b64 s[4:5], s[6:7]
	s_cbranch_execz .LBB901_23
; %bb.18:                               ;   in Loop: Header=BB901_17 Depth=1
	v_cmp_ne_u16_sdwa s[10:11], v20, s13 src0_sel:BYTE_0 src1_sel:DWORD
	v_mov_b32_e32 v21, 0xffff8000
	s_and_saveexec_b64 s[6:7], s[10:11]
	s_cbranch_execz .LBB901_22
; %bb.19:                               ;   in Loop: Header=BB901_17 Depth=1
	v_and_b32_e32 v23, 0x7f, v20
	v_cmp_ne_u32_e32 vcc, s14, v23
	v_mov_b32_e32 v21, 0x7f80
	s_and_saveexec_b64 s[10:11], vcc
	s_cbranch_execz .LBB901_21
; %bb.20:                               ;   in Loop: Header=BB901_17 Depth=1
	v_and_b32_e32 v21, 7, v20
	v_ffbh_u32_e32 v32, v21
	v_min_u32_e32 v32, 32, v32
	v_subrev_u32_e32 v34, 28, v32
	v_lshlrev_b64 v[52:53], v34, v[20:21]
	v_lshrrev_b32_e32 v30, 3, v23
	v_sub_u32_e32 v32, 29, v32
	v_and_b32_e32 v34, 7, v52
	v_cmp_gt_u32_e32 vcc, 8, v23
	v_cndmask_b32_e32 v23, v30, v32, vcc
	v_cndmask_b32_e32 v21, v21, v34, vcc
	v_lshlrev_b32_e32 v30, 24, v20
	v_lshlrev_b32_e32 v21, 20, v21
	v_and_b32_e32 v30, 0x80000000, v30
	v_lshl_add_u32 v23, v23, 23, v38
	v_or3_b32 v21, v30, v23, v21
	v_lshrrev_b32_e32 v21, 16, v21
.LBB901_21:                             ;   in Loop: Header=BB901_17 Depth=1
	s_or_b64 exec, exec, s[10:11]
.LBB901_22:                             ;   in Loop: Header=BB901_17 Depth=1
	s_or_b64 exec, exec, s[6:7]
.LBB901_23:                             ;   in Loop: Header=BB901_17 Depth=1
	s_or_b64 exec, exec, s[4:5]
	v_lshrrev_b16_e32 v30, 8, v20
	v_cmp_ne_u16_e32 vcc, 0, v30
	s_and_saveexec_b64 s[4:5], vcc
	s_cbranch_execz .LBB901_29
; %bb.24:                               ;   in Loop: Header=BB901_17 Depth=1
	v_cmp_ne_u16_e32 vcc, s13, v30
	v_mov_b32_e32 v19, 0xffff8000
	s_and_saveexec_b64 s[6:7], vcc
	s_cbranch_execz .LBB901_28
; %bb.25:                               ;   in Loop: Header=BB901_17 Depth=1
	v_and_b32_e32 v23, 0x7f, v30
	v_cmp_ne_u32_e32 vcc, s14, v23
	v_mov_b32_e32 v19, 0x7f80
	s_and_saveexec_b64 s[10:11], vcc
	s_cbranch_execz .LBB901_27
; %bb.26:                               ;   in Loop: Header=BB901_17 Depth=1
	v_and_b32_e32 v19, 7, v30
	v_ffbh_u32_e32 v34, v19
	v_min_u32_e32 v34, 32, v34
	v_subrev_u32_e32 v40, 28, v34
	v_lshlrev_b64 v[52:53], v40, v[30:31]
	v_lshrrev_b32_e32 v32, 3, v23
	v_sub_u32_e32 v30, 29, v34
	v_and_b32_e32 v34, 7, v52
	v_cmp_gt_u32_e32 vcc, 8, v23
	v_cndmask_b32_e32 v23, v32, v30, vcc
	v_cndmask_b32_e32 v19, v19, v34, vcc
	v_lshlrev_b32_e32 v30, 16, v20
	v_lshlrev_b32_e32 v19, 20, v19
	v_and_b32_e32 v30, 0x80000000, v30
	v_lshl_add_u32 v23, v23, 23, v38
	v_or3_b32 v19, v30, v23, v19
	v_lshrrev_b32_e32 v19, 16, v19
.LBB901_27:                             ;   in Loop: Header=BB901_17 Depth=1
	s_or_b64 exec, exec, s[10:11]
.LBB901_28:                             ;   in Loop: Header=BB901_17 Depth=1
	s_or_b64 exec, exec, s[6:7]
.LBB901_29:                             ;   in Loop: Header=BB901_17 Depth=1
	s_or_b64 exec, exec, s[4:5]
	v_lshrrev_b32_e32 v30, 16, v20
	v_cmp_ne_u16_sdwa s[6:7], v30, v35 src0_sel:BYTE_0 src1_sel:DWORD
	v_mov_b32_e32 v32, 0
	v_mov_b32_e32 v23, 0
	s_and_saveexec_b64 s[4:5], s[6:7]
	s_cbranch_execz .LBB901_35
; %bb.30:                               ;   in Loop: Header=BB901_17 Depth=1
	v_cmp_ne_u16_sdwa s[10:11], v30, s13 src0_sel:BYTE_0 src1_sel:DWORD
	v_mov_b32_e32 v23, 0xffff8000
	s_and_saveexec_b64 s[6:7], s[10:11]
	s_cbranch_execz .LBB901_34
; %bb.31:                               ;   in Loop: Header=BB901_17 Depth=1
	v_bfe_u32 v34, v20, 16, 7
	v_cmp_ne_u32_e32 vcc, s14, v34
	v_mov_b32_e32 v23, 0x7f80
	s_and_saveexec_b64 s[10:11], vcc
	s_cbranch_execz .LBB901_33
; %bb.32:                               ;   in Loop: Header=BB901_17 Depth=1
	v_and_b32_e32 v23, 7, v30
	v_ffbh_u32_e32 v42, v23
	v_min_u32_e32 v42, 32, v42
	v_subrev_u32_e32 v44, 28, v42
	v_lshlrev_b64 v[52:53], v44, v[30:31]
	v_lshrrev_b32_e32 v40, 3, v34
	v_sub_u32_e32 v42, 29, v42
	v_and_b32_e32 v44, 7, v52
	v_cmp_gt_u32_e32 vcc, 8, v34
	v_cndmask_b32_e32 v34, v40, v42, vcc
	v_cndmask_b32_e32 v23, v23, v44, vcc
	v_lshlrev_b32_e32 v30, 24, v30
	v_lshlrev_b32_e32 v23, 20, v23
	v_and_b32_e32 v30, 0x80000000, v30
	v_lshl_add_u32 v34, v34, 23, v38
	v_or3_b32 v23, v30, v34, v23
	v_lshrrev_b32_e32 v23, 16, v23
.LBB901_33:                             ;   in Loop: Header=BB901_17 Depth=1
	s_or_b64 exec, exec, s[10:11]
.LBB901_34:                             ;   in Loop: Header=BB901_17 Depth=1
	s_or_b64 exec, exec, s[6:7]
.LBB901_35:                             ;   in Loop: Header=BB901_17 Depth=1
	s_or_b64 exec, exec, s[4:5]
	v_cmp_lt_u32_e32 vcc, s15, v20
	s_and_saveexec_b64 s[4:5], vcc
	s_cbranch_execz .LBB901_41
; %bb.36:                               ;   in Loop: Header=BB901_17 Depth=1
	v_lshrrev_b32_e32 v30, 24, v20
	v_cmp_ne_u32_e32 vcc, s13, v30
	v_mov_b32_e32 v32, 0xffff8000
	s_and_saveexec_b64 s[6:7], vcc
	s_cbranch_execz .LBB901_40
; %bb.37:                               ;   in Loop: Header=BB901_17 Depth=1
	v_bfe_u32 v20, v20, 24, 7
	v_cmp_ne_u32_e32 vcc, s14, v20
	v_mov_b32_e32 v32, 0x7f80
	s_and_saveexec_b64 s[10:11], vcc
	s_cbranch_execz .LBB901_39
; %bb.38:                               ;   in Loop: Header=BB901_17 Depth=1
	v_and_b32_e32 v32, 7, v30
	v_ffbh_u32_e32 v40, v32
	v_min_u32_e32 v40, 32, v40
	v_subrev_u32_e32 v42, 28, v40
	v_lshlrev_b64 v[52:53], v42, v[30:31]
	v_lshrrev_b32_e32 v34, 3, v20
	v_sub_u32_e32 v40, 29, v40
	v_and_b32_e32 v42, 7, v52
	v_cmp_gt_u32_e32 vcc, 8, v20
	v_cndmask_b32_e32 v20, v34, v40, vcc
	v_cndmask_b32_e32 v32, v32, v42, vcc
	v_lshlrev_b32_e32 v30, 24, v30
	v_lshlrev_b32_e32 v32, 20, v32
	v_and_b32_e32 v30, 0x80000000, v30
	v_lshl_add_u32 v20, v20, 23, v38
	v_or3_b32 v20, v30, v20, v32
	v_lshrrev_b32_e32 v32, 16, v20
.LBB901_39:                             ;   in Loop: Header=BB901_17 Depth=1
	s_or_b64 exec, exec, s[10:11]
.LBB901_40:                             ;   in Loop: Header=BB901_17 Depth=1
	s_or_b64 exec, exec, s[6:7]
.LBB901_41:                             ;   in Loop: Header=BB901_17 Depth=1
	s_or_b64 exec, exec, s[4:5]
	s_waitcnt vmcnt(2)
	v_cmp_ne_u16_sdwa s[6:7], v18, v35 src0_sel:BYTE_0 src1_sel:DWORD
	v_mov_b32_e32 v30, 0
	v_mov_b32_e32 v34, 0
	s_and_saveexec_b64 s[4:5], s[6:7]
	s_cbranch_execz .LBB901_47
; %bb.42:                               ;   in Loop: Header=BB901_17 Depth=1
	v_cmp_ne_u16_sdwa s[10:11], v18, s13 src0_sel:BYTE_0 src1_sel:DWORD
	v_mov_b32_e32 v34, 0xffff8000
	s_and_saveexec_b64 s[6:7], s[10:11]
	s_cbranch_execz .LBB901_46
; %bb.43:                               ;   in Loop: Header=BB901_17 Depth=1
	v_and_b32_e32 v20, 0x7f, v18
	v_cmp_ne_u32_e32 vcc, s14, v20
	v_mov_b32_e32 v34, 0x7f80
	s_and_saveexec_b64 s[10:11], vcc
	s_cbranch_execz .LBB901_45
; %bb.44:                               ;   in Loop: Header=BB901_17 Depth=1
	v_and_b32_e32 v34, 7, v18
	v_ffbh_u32_e32 v42, v34
	v_min_u32_e32 v42, 32, v42
	v_subrev_u32_e32 v44, 28, v42
	v_lshlrev_b64 v[52:53], v44, v[18:19]
	v_lshrrev_b32_e32 v40, 3, v20
	v_sub_u32_e32 v42, 29, v42
	v_and_b32_e32 v44, 7, v52
	v_cmp_gt_u32_e32 vcc, 8, v20
	v_cndmask_b32_e32 v20, v40, v42, vcc
	v_cndmask_b32_e32 v34, v34, v44, vcc
	v_lshlrev_b32_e32 v40, 24, v18
	v_lshlrev_b32_e32 v34, 20, v34
	v_and_b32_e32 v40, 0x80000000, v40
	v_lshl_add_u32 v20, v20, 23, v38
	v_or3_b32 v20, v40, v20, v34
	v_lshrrev_b32_e32 v34, 16, v20
.LBB901_45:                             ;   in Loop: Header=BB901_17 Depth=1
	s_or_b64 exec, exec, s[10:11]
.LBB901_46:                             ;   in Loop: Header=BB901_17 Depth=1
	s_or_b64 exec, exec, s[6:7]
.LBB901_47:                             ;   in Loop: Header=BB901_17 Depth=1
	s_or_b64 exec, exec, s[4:5]
	v_lshrrev_b16_e32 v20, 8, v18
	v_cmp_ne_u16_e32 vcc, 0, v20
	s_and_saveexec_b64 s[4:5], vcc
	s_cbranch_execz .LBB901_53
; %bb.48:                               ;   in Loop: Header=BB901_17 Depth=1
	v_cmp_ne_u16_e32 vcc, s13, v20
	v_mov_b32_e32 v30, 0xffff8000
	s_and_saveexec_b64 s[6:7], vcc
	s_cbranch_execz .LBB901_52
; %bb.49:                               ;   in Loop: Header=BB901_17 Depth=1
	v_and_b32_e32 v40, 0x7f, v20
	v_cmp_ne_u32_e32 vcc, s14, v40
	v_mov_b32_e32 v30, 0x7f80
	s_and_saveexec_b64 s[10:11], vcc
	s_cbranch_execz .LBB901_51
; %bb.50:                               ;   in Loop: Header=BB901_17 Depth=1
	v_and_b32_e32 v30, 7, v20
	v_ffbh_u32_e32 v44, v30
	v_min_u32_e32 v44, 32, v44
	v_subrev_u32_e32 v52, 28, v44
	v_lshlrev_b64 v[52:53], v52, v[20:21]
	v_lshrrev_b32_e32 v42, 3, v40
	v_sub_u32_e32 v20, 29, v44
	v_and_b32_e32 v44, 7, v52
	v_cmp_gt_u32_e32 vcc, 8, v40
	v_cndmask_b32_e32 v20, v42, v20, vcc
	v_cndmask_b32_e32 v30, v30, v44, vcc
	v_lshlrev_b32_e32 v40, 16, v18
	v_lshlrev_b32_e32 v30, 20, v30
	v_and_b32_e32 v40, 0x80000000, v40
	v_lshl_add_u32 v20, v20, 23, v38
	v_or3_b32 v20, v40, v20, v30
	v_lshrrev_b32_e32 v30, 16, v20
.LBB901_51:                             ;   in Loop: Header=BB901_17 Depth=1
	s_or_b64 exec, exec, s[10:11]
.LBB901_52:                             ;   in Loop: Header=BB901_17 Depth=1
	s_or_b64 exec, exec, s[6:7]
.LBB901_53:                             ;   in Loop: Header=BB901_17 Depth=1
	s_or_b64 exec, exec, s[4:5]
	v_lshrrev_b32_e32 v20, 16, v18
	v_cmp_ne_u16_sdwa s[6:7], v20, v35 src0_sel:BYTE_0 src1_sel:DWORD
	v_mov_b32_e32 v42, 0
	v_mov_b32_e32 v40, 0
	s_and_saveexec_b64 s[4:5], s[6:7]
	s_cbranch_execz .LBB901_59
; %bb.54:                               ;   in Loop: Header=BB901_17 Depth=1
	v_cmp_ne_u16_sdwa s[10:11], v20, s13 src0_sel:BYTE_0 src1_sel:DWORD
	v_mov_b32_e32 v40, 0xffff8000
	s_and_saveexec_b64 s[6:7], s[10:11]
	s_cbranch_execz .LBB901_58
; %bb.55:                               ;   in Loop: Header=BB901_17 Depth=1
	v_bfe_u32 v44, v18, 16, 7
	v_cmp_ne_u32_e32 vcc, s14, v44
	v_mov_b32_e32 v40, 0x7f80
	s_and_saveexec_b64 s[10:11], vcc
	s_cbranch_execz .LBB901_57
; %bb.56:                               ;   in Loop: Header=BB901_17 Depth=1
	v_and_b32_e32 v40, 7, v20
	v_ffbh_u32_e32 v52, v40
	v_min_u32_e32 v55, 32, v52
	v_subrev_u32_e32 v52, 28, v55
	v_lshlrev_b64 v[52:53], v52, v[20:21]
	v_lshrrev_b32_e32 v54, 3, v44
	v_sub_u32_e32 v53, 29, v55
	v_and_b32_e32 v52, 7, v52
	v_cmp_gt_u32_e32 vcc, 8, v44
	v_cndmask_b32_e32 v44, v54, v53, vcc
	v_cndmask_b32_e32 v40, v40, v52, vcc
	v_lshlrev_b32_e32 v20, 24, v20
	v_lshlrev_b32_e32 v40, 20, v40
	v_and_b32_e32 v20, 0x80000000, v20
	v_lshl_add_u32 v44, v44, 23, v38
	v_or3_b32 v20, v20, v44, v40
	v_lshrrev_b32_e32 v40, 16, v20
.LBB901_57:                             ;   in Loop: Header=BB901_17 Depth=1
	s_or_b64 exec, exec, s[10:11]
.LBB901_58:                             ;   in Loop: Header=BB901_17 Depth=1
	s_or_b64 exec, exec, s[6:7]
.LBB901_59:                             ;   in Loop: Header=BB901_17 Depth=1
	s_or_b64 exec, exec, s[4:5]
	v_cmp_lt_u32_e32 vcc, s15, v18
	s_and_saveexec_b64 s[4:5], vcc
	s_cbranch_execz .LBB901_65
; %bb.60:                               ;   in Loop: Header=BB901_17 Depth=1
	v_lshrrev_b32_e32 v20, 24, v18
	v_cmp_ne_u32_e32 vcc, s13, v20
	v_mov_b32_e32 v42, 0xffff8000
	s_and_saveexec_b64 s[6:7], vcc
	s_cbranch_execz .LBB901_64
; %bb.61:                               ;   in Loop: Header=BB901_17 Depth=1
	v_bfe_u32 v18, v18, 24, 7
	v_cmp_ne_u32_e32 vcc, s14, v18
	v_mov_b32_e32 v42, 0x7f80
	s_and_saveexec_b64 s[10:11], vcc
	s_cbranch_execz .LBB901_63
; %bb.62:                               ;   in Loop: Header=BB901_17 Depth=1
	v_and_b32_e32 v42, 7, v20
	v_ffbh_u32_e32 v52, v42
	v_min_u32_e32 v54, 32, v52
	v_subrev_u32_e32 v52, 28, v54
	v_lshlrev_b64 v[52:53], v52, v[20:21]
	v_lshrrev_b32_e32 v44, 3, v18
	v_sub_u32_e32 v53, 29, v54
	v_and_b32_e32 v52, 7, v52
	v_cmp_gt_u32_e32 vcc, 8, v18
	v_cndmask_b32_e32 v18, v44, v53, vcc
	v_cndmask_b32_e32 v42, v42, v52, vcc
	v_lshlrev_b32_e32 v20, 24, v20
	v_lshlrev_b32_e32 v42, 20, v42
	v_and_b32_e32 v20, 0x80000000, v20
	v_lshl_add_u32 v18, v18, 23, v38
	v_or3_b32 v18, v20, v18, v42
	v_lshrrev_b32_e32 v42, 16, v18
.LBB901_63:                             ;   in Loop: Header=BB901_17 Depth=1
	s_or_b64 exec, exec, s[10:11]
.LBB901_64:                             ;   in Loop: Header=BB901_17 Depth=1
	s_or_b64 exec, exec, s[6:7]
.LBB901_65:                             ;   in Loop: Header=BB901_17 Depth=1
	s_or_b64 exec, exec, s[4:5]
	v_perm_b32 v53, v32, v23, s16
	v_perm_b32 v52, v19, v21, s16
	s_waitcnt vmcnt(1)
	v_cmp_ne_u16_sdwa s[6:7], v28, v35 src0_sel:BYTE_0 src1_sel:DWORD
	v_mov_b32_e32 v23, 0
	v_mov_b32_e32 v32, 0
	v_mfma_f32_16x16x16bf16_1k v[18:21], v[52:53], v[2:3], 0
	v_perm_b32 v53, v42, v40, s16
	v_perm_b32 v52, v30, v34, s16
	s_nop 1
	v_mfma_f32_16x16x16bf16_1k v[18:21], v[52:53], v[4:5], v[18:21]
	s_and_saveexec_b64 s[4:5], s[6:7]
	s_cbranch_execz .LBB901_71
; %bb.66:                               ;   in Loop: Header=BB901_17 Depth=1
	v_cmp_ne_u16_sdwa s[10:11], v28, s13 src0_sel:BYTE_0 src1_sel:DWORD
	v_mov_b32_e32 v32, 0xffff8000
	s_and_saveexec_b64 s[6:7], s[10:11]
	s_cbranch_execz .LBB901_70
; %bb.67:                               ;   in Loop: Header=BB901_17 Depth=1
	v_and_b32_e32 v30, 0x7f, v28
	v_cmp_ne_u32_e32 vcc, s14, v30
	v_mov_b32_e32 v32, 0x7f80
	s_and_saveexec_b64 s[10:11], vcc
	s_cbranch_execz .LBB901_69
; %bb.68:                               ;   in Loop: Header=BB901_17 Depth=1
	v_and_b32_e32 v32, 7, v28
	v_ffbh_u32_e32 v40, v32
	v_min_u32_e32 v40, 32, v40
	v_subrev_u32_e32 v42, 28, v40
	v_lshlrev_b64 v[52:53], v42, v[28:29]
	v_lshrrev_b32_e32 v34, 3, v30
	v_sub_u32_e32 v40, 29, v40
	v_and_b32_e32 v42, 7, v52
	v_cmp_gt_u32_e32 vcc, 8, v30
	v_cndmask_b32_e32 v30, v34, v40, vcc
	v_cndmask_b32_e32 v32, v32, v42, vcc
	v_lshlrev_b32_e32 v34, 24, v28
	v_lshlrev_b32_e32 v32, 20, v32
	v_and_b32_e32 v34, 0x80000000, v34
	v_lshl_add_u32 v30, v30, 23, v38
	v_or3_b32 v30, v34, v30, v32
	v_lshrrev_b32_e32 v32, 16, v30
.LBB901_69:                             ;   in Loop: Header=BB901_17 Depth=1
	s_or_b64 exec, exec, s[10:11]
.LBB901_70:                             ;   in Loop: Header=BB901_17 Depth=1
	s_or_b64 exec, exec, s[6:7]
.LBB901_71:                             ;   in Loop: Header=BB901_17 Depth=1
	s_or_b64 exec, exec, s[4:5]
	v_lshrrev_b16_e32 v30, 8, v28
	v_cmp_ne_u16_e32 vcc, 0, v30
	s_and_saveexec_b64 s[4:5], vcc
	s_cbranch_execz .LBB901_77
; %bb.72:                               ;   in Loop: Header=BB901_17 Depth=1
	v_cmp_ne_u16_e32 vcc, s13, v30
	v_mov_b32_e32 v23, 0xffff8000
	s_and_saveexec_b64 s[6:7], vcc
	s_cbranch_execz .LBB901_76
; %bb.73:                               ;   in Loop: Header=BB901_17 Depth=1
	v_and_b32_e32 v34, 0x7f, v30
	v_cmp_ne_u32_e32 vcc, s14, v34
	v_mov_b32_e32 v23, 0x7f80
	s_and_saveexec_b64 s[10:11], vcc
	s_cbranch_execz .LBB901_75
; %bb.74:                               ;   in Loop: Header=BB901_17 Depth=1
	v_and_b32_e32 v23, 7, v30
	v_ffbh_u32_e32 v42, v23
	v_min_u32_e32 v42, 32, v42
	v_subrev_u32_e32 v44, 28, v42
	v_lshlrev_b64 v[52:53], v44, v[30:31]
	v_lshrrev_b32_e32 v40, 3, v34
	v_sub_u32_e32 v30, 29, v42
	v_and_b32_e32 v42, 7, v52
	v_cmp_gt_u32_e32 vcc, 8, v34
	v_cndmask_b32_e32 v30, v40, v30, vcc
	v_cndmask_b32_e32 v23, v23, v42, vcc
	v_lshlrev_b32_e32 v34, 16, v28
	v_lshlrev_b32_e32 v23, 20, v23
	v_and_b32_e32 v34, 0x80000000, v34
	v_lshl_add_u32 v30, v30, 23, v38
	v_or3_b32 v23, v34, v30, v23
	v_lshrrev_b32_e32 v23, 16, v23
.LBB901_75:                             ;   in Loop: Header=BB901_17 Depth=1
	s_or_b64 exec, exec, s[10:11]
.LBB901_76:                             ;   in Loop: Header=BB901_17 Depth=1
	s_or_b64 exec, exec, s[6:7]
.LBB901_77:                             ;   in Loop: Header=BB901_17 Depth=1
	s_or_b64 exec, exec, s[4:5]
	v_lshrrev_b32_e32 v30, 16, v28
	v_cmp_ne_u16_sdwa s[6:7], v30, v35 src0_sel:BYTE_0 src1_sel:DWORD
	v_mov_b32_e32 v40, 0
	v_mov_b32_e32 v34, 0
	s_and_saveexec_b64 s[4:5], s[6:7]
	s_cbranch_execz .LBB901_83
; %bb.78:                               ;   in Loop: Header=BB901_17 Depth=1
	v_cmp_ne_u16_sdwa s[10:11], v30, s13 src0_sel:BYTE_0 src1_sel:DWORD
	v_mov_b32_e32 v34, 0xffff8000
	s_and_saveexec_b64 s[6:7], s[10:11]
	s_cbranch_execz .LBB901_82
; %bb.79:                               ;   in Loop: Header=BB901_17 Depth=1
	v_bfe_u32 v42, v28, 16, 7
	v_cmp_ne_u32_e32 vcc, s14, v42
	v_mov_b32_e32 v34, 0x7f80
	s_and_saveexec_b64 s[10:11], vcc
	s_cbranch_execz .LBB901_81
; %bb.80:                               ;   in Loop: Header=BB901_17 Depth=1
	v_and_b32_e32 v34, 7, v30
	v_ffbh_u32_e32 v52, v34
	v_min_u32_e32 v54, 32, v52
	v_subrev_u32_e32 v52, 28, v54
	v_lshlrev_b64 v[52:53], v52, v[30:31]
	v_lshrrev_b32_e32 v44, 3, v42
	v_sub_u32_e32 v53, 29, v54
	v_and_b32_e32 v52, 7, v52
	v_cmp_gt_u32_e32 vcc, 8, v42
	v_cndmask_b32_e32 v42, v44, v53, vcc
	v_cndmask_b32_e32 v34, v34, v52, vcc
	v_lshlrev_b32_e32 v30, 24, v30
	v_lshlrev_b32_e32 v34, 20, v34
	v_and_b32_e32 v30, 0x80000000, v30
	v_lshl_add_u32 v42, v42, 23, v38
	v_or3_b32 v30, v30, v42, v34
	v_lshrrev_b32_e32 v34, 16, v30
.LBB901_81:                             ;   in Loop: Header=BB901_17 Depth=1
	s_or_b64 exec, exec, s[10:11]
.LBB901_82:                             ;   in Loop: Header=BB901_17 Depth=1
	s_or_b64 exec, exec, s[6:7]
.LBB901_83:                             ;   in Loop: Header=BB901_17 Depth=1
	s_or_b64 exec, exec, s[4:5]
	v_cmp_lt_u32_e32 vcc, s15, v28
	s_and_saveexec_b64 s[4:5], vcc
	s_cbranch_execz .LBB901_89
; %bb.84:                               ;   in Loop: Header=BB901_17 Depth=1
	v_lshrrev_b32_e32 v30, 24, v28
	v_cmp_ne_u32_e32 vcc, s13, v30
	v_mov_b32_e32 v40, 0xffff8000
	s_and_saveexec_b64 s[6:7], vcc
	s_cbranch_execz .LBB901_88
; %bb.85:                               ;   in Loop: Header=BB901_17 Depth=1
	v_bfe_u32 v28, v28, 24, 7
	v_cmp_ne_u32_e32 vcc, s14, v28
	v_mov_b32_e32 v40, 0x7f80
	s_and_saveexec_b64 s[10:11], vcc
	s_cbranch_execz .LBB901_87
; %bb.86:                               ;   in Loop: Header=BB901_17 Depth=1
	v_and_b32_e32 v40, 7, v30
	v_ffbh_u32_e32 v44, v40
	v_min_u32_e32 v44, 32, v44
	v_subrev_u32_e32 v52, 28, v44
	v_lshlrev_b64 v[52:53], v52, v[30:31]
	v_lshrrev_b32_e32 v42, 3, v28
	v_sub_u32_e32 v44, 29, v44
	v_and_b32_e32 v52, 7, v52
	v_cmp_gt_u32_e32 vcc, 8, v28
	v_cndmask_b32_e32 v28, v42, v44, vcc
	v_cndmask_b32_e32 v40, v40, v52, vcc
	v_lshlrev_b32_e32 v30, 24, v30
	v_lshlrev_b32_e32 v40, 20, v40
	v_and_b32_e32 v30, 0x80000000, v30
	v_lshl_add_u32 v28, v28, 23, v38
	v_or3_b32 v28, v30, v28, v40
	v_lshrrev_b32_e32 v40, 16, v28
.LBB901_87:                             ;   in Loop: Header=BB901_17 Depth=1
	s_or_b64 exec, exec, s[10:11]
.LBB901_88:                             ;   in Loop: Header=BB901_17 Depth=1
	s_or_b64 exec, exec, s[6:7]
.LBB901_89:                             ;   in Loop: Header=BB901_17 Depth=1
	s_or_b64 exec, exec, s[4:5]
	s_waitcnt vmcnt(0)
	v_cmp_ne_u16_sdwa s[6:7], v26, v35 src0_sel:BYTE_0 src1_sel:DWORD
	v_mov_b32_e32 v42, 0
	v_mov_b32_e32 v44, 0
	s_and_saveexec_b64 s[4:5], s[6:7]
	s_cbranch_execz .LBB901_95
; %bb.90:                               ;   in Loop: Header=BB901_17 Depth=1
	v_cmp_ne_u16_sdwa s[10:11], v26, s13 src0_sel:BYTE_0 src1_sel:DWORD
	v_mov_b32_e32 v44, 0xffff8000
	s_and_saveexec_b64 s[6:7], s[10:11]
	s_cbranch_execz .LBB901_94
; %bb.91:                               ;   in Loop: Header=BB901_17 Depth=1
	v_and_b32_e32 v28, 0x7f, v26
	v_cmp_ne_u32_e32 vcc, s14, v28
	v_mov_b32_e32 v44, 0x7f80
	s_and_saveexec_b64 s[10:11], vcc
	s_cbranch_execz .LBB901_93
; %bb.92:                               ;   in Loop: Header=BB901_17 Depth=1
	v_and_b32_e32 v30, 7, v26
	v_ffbh_u32_e32 v52, v30
	v_min_u32_e32 v54, 32, v52
	v_subrev_u32_e32 v52, 28, v54
	v_lshlrev_b64 v[52:53], v52, v[26:27]
	v_lshrrev_b32_e32 v44, 3, v28
	v_sub_u32_e32 v53, 29, v54
	v_and_b32_e32 v52, 7, v52
	v_cmp_gt_u32_e32 vcc, 8, v28
	v_cndmask_b32_e32 v28, v44, v53, vcc
	v_cndmask_b32_e32 v30, v30, v52, vcc
	v_lshlrev_b32_e32 v44, 24, v26
	v_lshlrev_b32_e32 v30, 20, v30
	v_and_b32_e32 v44, 0x80000000, v44
	v_lshl_add_u32 v28, v28, 23, v38
	v_or3_b32 v28, v44, v28, v30
	v_lshrrev_b32_e32 v44, 16, v28
.LBB901_93:                             ;   in Loop: Header=BB901_17 Depth=1
	s_or_b64 exec, exec, s[10:11]
.LBB901_94:                             ;   in Loop: Header=BB901_17 Depth=1
	s_or_b64 exec, exec, s[6:7]
.LBB901_95:                             ;   in Loop: Header=BB901_17 Depth=1
	s_or_b64 exec, exec, s[4:5]
	v_lshrrev_b16_e32 v28, 8, v26
	v_cmp_ne_u16_e32 vcc, 0, v28
	s_and_saveexec_b64 s[4:5], vcc
	s_cbranch_execz .LBB901_101
; %bb.96:                               ;   in Loop: Header=BB901_17 Depth=1
	v_cmp_ne_u16_e32 vcc, s13, v28
	v_mov_b32_e32 v42, 0xffff8000
	s_and_saveexec_b64 s[6:7], vcc
	s_cbranch_execz .LBB901_100
; %bb.97:                               ;   in Loop: Header=BB901_17 Depth=1
	v_and_b32_e32 v30, 0x7f, v28
	v_cmp_ne_u32_e32 vcc, s14, v30
	v_mov_b32_e32 v42, 0x7f80
	s_and_saveexec_b64 s[10:11], vcc
	s_cbranch_execz .LBB901_99
; %bb.98:                               ;   in Loop: Header=BB901_17 Depth=1
	v_and_b32_e32 v42, 7, v28
	v_ffbh_u32_e32 v52, v42
	v_min_u32_e32 v55, 32, v52
	v_subrev_u32_e32 v52, 28, v55
	v_lshlrev_b64 v[52:53], v52, v[28:29]
	v_lshrrev_b32_e32 v54, 3, v30
	v_sub_u32_e32 v28, 29, v55
	v_and_b32_e32 v52, 7, v52
	v_cmp_gt_u32_e32 vcc, 8, v30
	v_cndmask_b32_e32 v28, v54, v28, vcc
	v_cndmask_b32_e32 v30, v42, v52, vcc
	v_lshlrev_b32_e32 v42, 16, v26
	v_lshlrev_b32_e32 v30, 20, v30
	v_and_b32_e32 v42, 0x80000000, v42
	v_lshl_add_u32 v28, v28, 23, v38
	v_or3_b32 v28, v42, v28, v30
	v_lshrrev_b32_e32 v42, 16, v28
.LBB901_99:                             ;   in Loop: Header=BB901_17 Depth=1
	s_or_b64 exec, exec, s[10:11]
.LBB901_100:                            ;   in Loop: Header=BB901_17 Depth=1
	s_or_b64 exec, exec, s[6:7]
.LBB901_101:                            ;   in Loop: Header=BB901_17 Depth=1
	s_or_b64 exec, exec, s[4:5]
	v_lshrrev_b32_e32 v28, 16, v26
	v_cmp_ne_u16_sdwa s[6:7], v28, v35 src0_sel:BYTE_0 src1_sel:DWORD
	v_mov_b32_e32 v53, 0
	v_mov_b32_e32 v52, 0
	s_and_saveexec_b64 s[4:5], s[6:7]
	s_cbranch_execz .LBB901_107
; %bb.102:                              ;   in Loop: Header=BB901_17 Depth=1
	v_cmp_ne_u16_sdwa s[10:11], v28, s13 src0_sel:BYTE_0 src1_sel:DWORD
	v_mov_b32_e32 v52, 0xffff8000
	s_and_saveexec_b64 s[6:7], s[10:11]
	s_cbranch_execz .LBB901_106
; %bb.103:                              ;   in Loop: Header=BB901_17 Depth=1
	v_bfe_u32 v30, v26, 16, 7
	v_cmp_ne_u32_e32 vcc, s14, v30
	v_mov_b32_e32 v52, 0x7f80
	s_and_saveexec_b64 s[10:11], vcc
	s_cbranch_execz .LBB901_105
; %bb.104:                              ;   in Loop: Header=BB901_17 Depth=1
	v_and_b32_e32 v52, 7, v28
	v_ffbh_u32_e32 v54, v52
	v_min_u32_e32 v57, 32, v54
	v_subrev_u32_e32 v54, 28, v57
	v_lshlrev_b64 v[54:55], v54, v[28:29]
	v_lshrrev_b32_e32 v56, 3, v30
	v_sub_u32_e32 v55, 29, v57
	v_and_b32_e32 v54, 7, v54
	v_cmp_gt_u32_e32 vcc, 8, v30
	v_cndmask_b32_e32 v30, v56, v55, vcc
	v_cndmask_b32_e32 v52, v52, v54, vcc
	v_lshlrev_b32_e32 v28, 24, v28
	v_lshlrev_b32_e32 v52, 20, v52
	v_and_b32_e32 v28, 0x80000000, v28
	v_lshl_add_u32 v30, v30, 23, v38
	v_or3_b32 v28, v28, v30, v52
	v_lshrrev_b32_e32 v52, 16, v28
.LBB901_105:                            ;   in Loop: Header=BB901_17 Depth=1
	s_or_b64 exec, exec, s[10:11]
.LBB901_106:                            ;   in Loop: Header=BB901_17 Depth=1
	s_or_b64 exec, exec, s[6:7]
.LBB901_107:                            ;   in Loop: Header=BB901_17 Depth=1
	s_or_b64 exec, exec, s[4:5]
	v_cmp_lt_u32_e32 vcc, s15, v26
	s_and_saveexec_b64 s[4:5], vcc
	s_cbranch_execz .LBB901_113
; %bb.108:                              ;   in Loop: Header=BB901_17 Depth=1
	v_lshrrev_b32_e32 v28, 24, v26
	v_cmp_ne_u32_e32 vcc, s13, v28
	v_mov_b32_e32 v53, 0xffff8000
	s_and_saveexec_b64 s[6:7], vcc
	s_cbranch_execz .LBB901_112
; %bb.109:                              ;   in Loop: Header=BB901_17 Depth=1
	v_bfe_u32 v26, v26, 24, 7
	v_cmp_ne_u32_e32 vcc, s14, v26
	v_mov_b32_e32 v53, 0x7f80
	s_and_saveexec_b64 s[10:11], vcc
	s_cbranch_execz .LBB901_111
; %bb.110:                              ;   in Loop: Header=BB901_17 Depth=1
	v_and_b32_e32 v30, 7, v28
	v_ffbh_u32_e32 v54, v30
	v_min_u32_e32 v56, 32, v54
	v_subrev_u32_e32 v54, 28, v56
	v_lshlrev_b64 v[54:55], v54, v[28:29]
	v_lshrrev_b32_e32 v53, 3, v26
	v_sub_u32_e32 v55, 29, v56
	v_and_b32_e32 v54, 7, v54
	v_cmp_gt_u32_e32 vcc, 8, v26
	v_cndmask_b32_e32 v26, v53, v55, vcc
	v_cndmask_b32_e32 v30, v30, v54, vcc
	v_lshlrev_b32_e32 v28, 24, v28
	v_lshlrev_b32_e32 v30, 20, v30
	v_and_b32_e32 v28, 0x80000000, v28
	v_lshl_add_u32 v26, v26, 23, v38
	v_or3_b32 v26, v28, v26, v30
	v_lshrrev_b32_e32 v53, 16, v26
.LBB901_111:                            ;   in Loop: Header=BB901_17 Depth=1
	s_or_b64 exec, exec, s[10:11]
.LBB901_112:                            ;   in Loop: Header=BB901_17 Depth=1
	s_or_b64 exec, exec, s[6:7]
.LBB901_113:                            ;   in Loop: Header=BB901_17 Depth=1
	s_or_b64 exec, exec, s[4:5]
	v_perm_b32 v54, v23, v32, s16
	buffer_load_dword v32, v36, s[0:3], 0 offen offset:16
	buffer_load_dword v30, v36, s[0:3], 0 offen offset:20
	;; [unrolled: 1-line block ×4, first 2 shown]
	v_perm_b32 v55, v40, v34, s16
	v_perm_b32 v53, v53, v52, s16
	;; [unrolled: 1-line block ×3, first 2 shown]
	v_mfma_f32_16x16x16bf16_1k v[18:21], v[54:55], v[6:7], v[18:21]
	v_mov_b32_e32 v23, 0
	v_mov_b32_e32 v40, 0
	s_waitcnt vmcnt(3)
	v_cmp_ne_u16_sdwa s[6:7], v32, v35 src0_sel:BYTE_0 src1_sel:DWORD
	v_mfma_f32_16x16x16bf16_1k v[18:21], v[52:53], v[8:9], v[18:21]
	s_and_saveexec_b64 s[4:5], s[6:7]
	s_cbranch_execz .LBB901_119
; %bb.114:                              ;   in Loop: Header=BB901_17 Depth=1
	v_cmp_ne_u16_sdwa s[10:11], v32, s13 src0_sel:BYTE_0 src1_sel:DWORD
	v_mov_b32_e32 v40, 0xffff8000
	s_and_saveexec_b64 s[6:7], s[10:11]
	s_cbranch_execz .LBB901_118
; %bb.115:                              ;   in Loop: Header=BB901_17 Depth=1
	v_and_b32_e32 v34, 0x7f, v32
	v_cmp_ne_u32_e32 vcc, s14, v34
	v_mov_b32_e32 v40, 0x7f80
	s_and_saveexec_b64 s[10:11], vcc
	s_cbranch_execz .LBB901_117
; %bb.116:                              ;   in Loop: Header=BB901_17 Depth=1
	v_and_b32_e32 v40, 7, v32
	v_ffbh_u32_e32 v44, v40
	v_min_u32_e32 v44, 32, v44
	v_subrev_u32_e32 v52, 28, v44
	v_lshlrev_b64 v[52:53], v52, v[32:33]
	v_lshrrev_b32_e32 v42, 3, v34
	v_sub_u32_e32 v44, 29, v44
	v_and_b32_e32 v52, 7, v52
	v_cmp_gt_u32_e32 vcc, 8, v34
	v_cndmask_b32_e32 v34, v42, v44, vcc
	v_cndmask_b32_e32 v40, v40, v52, vcc
	v_lshlrev_b32_e32 v42, 24, v32
	v_lshlrev_b32_e32 v40, 20, v40
	v_and_b32_e32 v42, 0x80000000, v42
	v_lshl_add_u32 v34, v34, 23, v38
	v_or3_b32 v34, v42, v34, v40
	v_lshrrev_b32_e32 v40, 16, v34
.LBB901_117:                            ;   in Loop: Header=BB901_17 Depth=1
	s_or_b64 exec, exec, s[10:11]
.LBB901_118:                            ;   in Loop: Header=BB901_17 Depth=1
	s_or_b64 exec, exec, s[6:7]
.LBB901_119:                            ;   in Loop: Header=BB901_17 Depth=1
	s_or_b64 exec, exec, s[4:5]
	v_lshrrev_b16_e32 v34, 8, v32
	v_cmp_ne_u16_e32 vcc, 0, v34
	s_and_saveexec_b64 s[4:5], vcc
	s_cbranch_execz .LBB901_125
; %bb.120:                              ;   in Loop: Header=BB901_17 Depth=1
	v_cmp_ne_u16_e32 vcc, s13, v34
	v_mov_b32_e32 v23, 0xffff8000
	s_and_saveexec_b64 s[6:7], vcc
	s_cbranch_execz .LBB901_124
; %bb.121:                              ;   in Loop: Header=BB901_17 Depth=1
	v_and_b32_e32 v42, 0x7f, v34
	v_cmp_ne_u32_e32 vcc, s14, v42
	v_mov_b32_e32 v23, 0x7f80
	s_and_saveexec_b64 s[10:11], vcc
	s_cbranch_execz .LBB901_123
; %bb.122:                              ;   in Loop: Header=BB901_17 Depth=1
	v_and_b32_e32 v23, 7, v34
	v_ffbh_u32_e32 v52, v23
	v_min_u32_e32 v54, 32, v52
	v_subrev_u32_e32 v52, 28, v54
	v_lshlrev_b64 v[52:53], v52, v[34:35]
	v_lshrrev_b32_e32 v44, 3, v42
	v_sub_u32_e32 v34, 29, v54
	v_and_b32_e32 v52, 7, v52
	v_cmp_gt_u32_e32 vcc, 8, v42
	v_cndmask_b32_e32 v34, v44, v34, vcc
	v_cndmask_b32_e32 v23, v23, v52, vcc
	v_lshlrev_b32_e32 v42, 16, v32
	v_lshlrev_b32_e32 v23, 20, v23
	v_and_b32_e32 v42, 0x80000000, v42
	v_lshl_add_u32 v34, v34, 23, v38
	v_or3_b32 v23, v42, v34, v23
	v_lshrrev_b32_e32 v23, 16, v23
.LBB901_123:                            ;   in Loop: Header=BB901_17 Depth=1
	s_or_b64 exec, exec, s[10:11]
.LBB901_124:                            ;   in Loop: Header=BB901_17 Depth=1
	s_or_b64 exec, exec, s[6:7]
.LBB901_125:                            ;   in Loop: Header=BB901_17 Depth=1
	s_or_b64 exec, exec, s[4:5]
	v_lshrrev_b32_e32 v34, 16, v32
	v_cmp_ne_u16_sdwa s[6:7], v34, v35 src0_sel:BYTE_0 src1_sel:DWORD
	v_mov_b32_e32 v44, 0
	v_mov_b32_e32 v42, 0
	s_and_saveexec_b64 s[4:5], s[6:7]
	s_cbranch_execz .LBB901_131
; %bb.126:                              ;   in Loop: Header=BB901_17 Depth=1
	v_cmp_ne_u16_sdwa s[10:11], v34, s13 src0_sel:BYTE_0 src1_sel:DWORD
	v_mov_b32_e32 v42, 0xffff8000
	s_and_saveexec_b64 s[6:7], s[10:11]
	s_cbranch_execz .LBB901_130
; %bb.127:                              ;   in Loop: Header=BB901_17 Depth=1
	v_bfe_u32 v52, v32, 16, 7
	v_cmp_ne_u32_e32 vcc, s14, v52
	v_mov_b32_e32 v42, 0x7f80
	s_and_saveexec_b64 s[10:11], vcc
	s_cbranch_execz .LBB901_129
; %bb.128:                              ;   in Loop: Header=BB901_17 Depth=1
	v_and_b32_e32 v42, 7, v34
	v_ffbh_u32_e32 v54, v42
	v_min_u32_e32 v56, 32, v54
	v_subrev_u32_e32 v54, 28, v56
	v_lshlrev_b64 v[54:55], v54, v[34:35]
	v_lshrrev_b32_e32 v53, 3, v52
	v_sub_u32_e32 v55, 29, v56
	v_and_b32_e32 v54, 7, v54
	v_cmp_gt_u32_e32 vcc, 8, v52
	v_cndmask_b32_e32 v52, v53, v55, vcc
	v_cndmask_b32_e32 v42, v42, v54, vcc
	v_lshlrev_b32_e32 v34, 24, v34
	v_lshlrev_b32_e32 v42, 20, v42
	v_and_b32_e32 v34, 0x80000000, v34
	v_lshl_add_u32 v52, v52, 23, v38
	v_or3_b32 v34, v34, v52, v42
	v_lshrrev_b32_e32 v42, 16, v34
.LBB901_129:                            ;   in Loop: Header=BB901_17 Depth=1
	s_or_b64 exec, exec, s[10:11]
.LBB901_130:                            ;   in Loop: Header=BB901_17 Depth=1
	s_or_b64 exec, exec, s[6:7]
.LBB901_131:                            ;   in Loop: Header=BB901_17 Depth=1
	s_or_b64 exec, exec, s[4:5]
	v_cmp_lt_u32_e32 vcc, s15, v32
	s_and_saveexec_b64 s[4:5], vcc
	s_cbranch_execz .LBB901_137
; %bb.132:                              ;   in Loop: Header=BB901_17 Depth=1
	v_lshrrev_b32_e32 v34, 24, v32
	v_cmp_ne_u32_e32 vcc, s13, v34
	v_mov_b32_e32 v44, 0xffff8000
	s_and_saveexec_b64 s[6:7], vcc
	s_cbranch_execz .LBB901_136
; %bb.133:                              ;   in Loop: Header=BB901_17 Depth=1
	v_bfe_u32 v32, v32, 24, 7
	v_cmp_ne_u32_e32 vcc, s14, v32
	v_mov_b32_e32 v44, 0x7f80
	s_and_saveexec_b64 s[10:11], vcc
	s_cbranch_execz .LBB901_135
; %bb.134:                              ;   in Loop: Header=BB901_17 Depth=1
	v_and_b32_e32 v44, 7, v34
	v_ffbh_u32_e32 v52, v44
	v_min_u32_e32 v55, 32, v52
	v_subrev_u32_e32 v52, 28, v55
	v_lshlrev_b64 v[52:53], v52, v[34:35]
	v_lshrrev_b32_e32 v54, 3, v32
	v_sub_u32_e32 v53, 29, v55
	v_and_b32_e32 v52, 7, v52
	v_cmp_gt_u32_e32 vcc, 8, v32
	v_cndmask_b32_e32 v32, v54, v53, vcc
	v_cndmask_b32_e32 v44, v44, v52, vcc
	v_lshlrev_b32_e32 v34, 24, v34
	v_lshlrev_b32_e32 v44, 20, v44
	v_and_b32_e32 v34, 0x80000000, v34
	v_lshl_add_u32 v32, v32, 23, v38
	v_or3_b32 v32, v34, v32, v44
	v_lshrrev_b32_e32 v44, 16, v32
.LBB901_135:                            ;   in Loop: Header=BB901_17 Depth=1
	s_or_b64 exec, exec, s[10:11]
.LBB901_136:                            ;   in Loop: Header=BB901_17 Depth=1
	s_or_b64 exec, exec, s[6:7]
.LBB901_137:                            ;   in Loop: Header=BB901_17 Depth=1
	s_or_b64 exec, exec, s[4:5]
	s_waitcnt vmcnt(2)
	v_cmp_ne_u16_sdwa s[6:7], v30, v35 src0_sel:BYTE_0 src1_sel:DWORD
	v_mov_b32_e32 v34, 0
	v_mov_b32_e32 v52, 0
	s_and_saveexec_b64 s[4:5], s[6:7]
	s_cbranch_execz .LBB901_143
; %bb.138:                              ;   in Loop: Header=BB901_17 Depth=1
	v_cmp_ne_u16_sdwa s[10:11], v30, s13 src0_sel:BYTE_0 src1_sel:DWORD
	v_mov_b32_e32 v52, 0xffff8000
	s_and_saveexec_b64 s[6:7], s[10:11]
	s_cbranch_execz .LBB901_142
; %bb.139:                              ;   in Loop: Header=BB901_17 Depth=1
	v_and_b32_e32 v32, 0x7f, v30
	v_cmp_ne_u32_e32 vcc, s14, v32
	v_mov_b32_e32 v52, 0x7f80
	s_and_saveexec_b64 s[10:11], vcc
	s_cbranch_execz .LBB901_141
; %bb.140:                              ;   in Loop: Header=BB901_17 Depth=1
	v_and_b32_e32 v54, 7, v30
	v_ffbh_u32_e32 v52, v54
	v_min_u32_e32 v56, 32, v52
	v_subrev_u32_e32 v52, 28, v56
	v_lshlrev_b64 v[52:53], v52, v[30:31]
	v_lshrrev_b32_e32 v55, 3, v32
	v_sub_u32_e32 v53, 29, v56
	v_and_b32_e32 v52, 7, v52
	v_cmp_gt_u32_e32 vcc, 8, v32
	v_cndmask_b32_e32 v32, v55, v53, vcc
	v_cndmask_b32_e32 v52, v54, v52, vcc
	v_lshlrev_b32_e32 v53, 24, v30
	v_lshlrev_b32_e32 v52, 20, v52
	v_and_b32_e32 v53, 0x80000000, v53
	v_lshl_add_u32 v32, v32, 23, v38
	v_or3_b32 v32, v53, v32, v52
	v_lshrrev_b32_e32 v52, 16, v32
.LBB901_141:                            ;   in Loop: Header=BB901_17 Depth=1
	s_or_b64 exec, exec, s[10:11]
.LBB901_142:                            ;   in Loop: Header=BB901_17 Depth=1
	s_or_b64 exec, exec, s[6:7]
.LBB901_143:                            ;   in Loop: Header=BB901_17 Depth=1
	s_or_b64 exec, exec, s[4:5]
	v_lshrrev_b16_e32 v32, 8, v30
	v_cmp_ne_u16_e32 vcc, 0, v32
	s_and_saveexec_b64 s[4:5], vcc
	s_cbranch_execz .LBB901_149
; %bb.144:                              ;   in Loop: Header=BB901_17 Depth=1
	v_cmp_ne_u16_e32 vcc, s13, v32
	v_mov_b32_e32 v34, 0xffff8000
	s_and_saveexec_b64 s[6:7], vcc
	s_cbranch_execz .LBB901_148
; %bb.145:                              ;   in Loop: Header=BB901_17 Depth=1
	v_and_b32_e32 v53, 0x7f, v32
	v_cmp_ne_u32_e32 vcc, s14, v53
	v_mov_b32_e32 v34, 0x7f80
	s_and_saveexec_b64 s[10:11], vcc
	s_cbranch_execz .LBB901_147
; %bb.146:                              ;   in Loop: Header=BB901_17 Depth=1
	v_and_b32_e32 v34, 7, v32
	v_ffbh_u32_e32 v54, v34
	v_min_u32_e32 v57, 32, v54
	v_subrev_u32_e32 v54, 28, v57
	v_lshlrev_b64 v[54:55], v54, v[32:33]
	v_lshrrev_b32_e32 v56, 3, v53
	v_sub_u32_e32 v32, 29, v57
	v_and_b32_e32 v54, 7, v54
	v_cmp_gt_u32_e32 vcc, 8, v53
	v_cndmask_b32_e32 v32, v56, v32, vcc
	v_cndmask_b32_e32 v34, v34, v54, vcc
	v_lshlrev_b32_e32 v53, 16, v30
	v_lshlrev_b32_e32 v34, 20, v34
	v_and_b32_e32 v53, 0x80000000, v53
	v_lshl_add_u32 v32, v32, 23, v38
	v_or3_b32 v32, v53, v32, v34
	v_lshrrev_b32_e32 v34, 16, v32
.LBB901_147:                            ;   in Loop: Header=BB901_17 Depth=1
	s_or_b64 exec, exec, s[10:11]
.LBB901_148:                            ;   in Loop: Header=BB901_17 Depth=1
	s_or_b64 exec, exec, s[6:7]
.LBB901_149:                            ;   in Loop: Header=BB901_17 Depth=1
	s_or_b64 exec, exec, s[4:5]
	v_lshrrev_b32_e32 v32, 16, v30
	v_cmp_ne_u16_sdwa s[6:7], v32, v35 src0_sel:BYTE_0 src1_sel:DWORD
	v_mov_b32_e32 v54, 0
	v_mov_b32_e32 v53, 0
	s_and_saveexec_b64 s[4:5], s[6:7]
	s_cbranch_execz .LBB901_155
; %bb.150:                              ;   in Loop: Header=BB901_17 Depth=1
	v_cmp_ne_u16_sdwa s[10:11], v32, s13 src0_sel:BYTE_0 src1_sel:DWORD
	v_mov_b32_e32 v53, 0xffff8000
	s_and_saveexec_b64 s[6:7], s[10:11]
	s_cbranch_execz .LBB901_154
; %bb.151:                              ;   in Loop: Header=BB901_17 Depth=1
	v_bfe_u32 v55, v30, 16, 7
	v_cmp_ne_u32_e32 vcc, s14, v55
	v_mov_b32_e32 v53, 0x7f80
	s_and_saveexec_b64 s[10:11], vcc
	s_cbranch_execz .LBB901_153
; %bb.152:                              ;   in Loop: Header=BB901_17 Depth=1
	v_and_b32_e32 v53, 7, v32
	v_ffbh_u32_e32 v56, v53
	v_min_u32_e32 v59, 32, v56
	v_subrev_u32_e32 v56, 28, v59
	v_lshlrev_b64 v[56:57], v56, v[32:33]
	v_lshrrev_b32_e32 v58, 3, v55
	v_sub_u32_e32 v57, 29, v59
	v_and_b32_e32 v56, 7, v56
	v_cmp_gt_u32_e32 vcc, 8, v55
	v_cndmask_b32_e32 v55, v58, v57, vcc
	v_cndmask_b32_e32 v53, v53, v56, vcc
	v_lshlrev_b32_e32 v32, 24, v32
	v_lshlrev_b32_e32 v53, 20, v53
	v_and_b32_e32 v32, 0x80000000, v32
	v_lshl_add_u32 v55, v55, 23, v38
	v_or3_b32 v32, v32, v55, v53
	v_lshrrev_b32_e32 v53, 16, v32
.LBB901_153:                            ;   in Loop: Header=BB901_17 Depth=1
	s_or_b64 exec, exec, s[10:11]
.LBB901_154:                            ;   in Loop: Header=BB901_17 Depth=1
	s_or_b64 exec, exec, s[6:7]
.LBB901_155:                            ;   in Loop: Header=BB901_17 Depth=1
	s_or_b64 exec, exec, s[4:5]
	v_cmp_lt_u32_e32 vcc, s15, v30
	s_and_saveexec_b64 s[4:5], vcc
	s_cbranch_execz .LBB901_161
; %bb.156:                              ;   in Loop: Header=BB901_17 Depth=1
	v_lshrrev_b32_e32 v32, 24, v30
	v_cmp_ne_u32_e32 vcc, s13, v32
	v_mov_b32_e32 v54, 0xffff8000
	s_and_saveexec_b64 s[6:7], vcc
	s_cbranch_execz .LBB901_160
; %bb.157:                              ;   in Loop: Header=BB901_17 Depth=1
	v_bfe_u32 v30, v30, 24, 7
	v_cmp_ne_u32_e32 vcc, s14, v30
	v_mov_b32_e32 v54, 0x7f80
	s_and_saveexec_b64 s[10:11], vcc
	s_cbranch_execz .LBB901_159
; %bb.158:                              ;   in Loop: Header=BB901_17 Depth=1
	v_and_b32_e32 v56, 7, v32
	v_ffbh_u32_e32 v54, v56
	v_min_u32_e32 v58, 32, v54
	v_subrev_u32_e32 v54, 28, v58
	v_lshlrev_b64 v[54:55], v54, v[32:33]
	v_lshrrev_b32_e32 v57, 3, v30
	v_sub_u32_e32 v55, 29, v58
	v_and_b32_e32 v54, 7, v54
	v_cmp_gt_u32_e32 vcc, 8, v30
	v_cndmask_b32_e32 v30, v57, v55, vcc
	v_cndmask_b32_e32 v54, v56, v54, vcc
	v_lshlrev_b32_e32 v32, 24, v32
	v_lshlrev_b32_e32 v54, 20, v54
	v_and_b32_e32 v32, 0x80000000, v32
	v_lshl_add_u32 v30, v30, 23, v38
	v_or3_b32 v30, v32, v30, v54
	v_lshrrev_b32_e32 v54, 16, v30
.LBB901_159:                            ;   in Loop: Header=BB901_17 Depth=1
	s_or_b64 exec, exec, s[10:11]
.LBB901_160:                            ;   in Loop: Header=BB901_17 Depth=1
	s_or_b64 exec, exec, s[6:7]
.LBB901_161:                            ;   in Loop: Header=BB901_17 Depth=1
	s_or_b64 exec, exec, s[4:5]
	v_perm_b32 v57, v44, v42, s16
	v_perm_b32 v56, v23, v40, s16
	;; [unrolled: 1-line block ×4, first 2 shown]
	s_waitcnt vmcnt(1)
	v_cmp_ne_u16_sdwa s[6:7], v28, v35 src0_sel:BYTE_0 src1_sel:DWORD
	v_mfma_f32_16x16x16bf16_1k v[18:21], v[56:57], v[10:11], v[18:21]
	v_mov_b32_e32 v23, 0
	v_mov_b32_e32 v32, 0
	v_mfma_f32_16x16x16bf16_1k v[18:21], v[52:53], v[12:13], v[18:21]
	s_and_saveexec_b64 s[4:5], s[6:7]
	s_cbranch_execz .LBB901_167
; %bb.162:                              ;   in Loop: Header=BB901_17 Depth=1
	v_cmp_ne_u16_sdwa s[10:11], v28, s13 src0_sel:BYTE_0 src1_sel:DWORD
	v_mov_b32_e32 v32, 0xffff8000
	s_and_saveexec_b64 s[6:7], s[10:11]
	s_cbranch_execz .LBB901_166
; %bb.163:                              ;   in Loop: Header=BB901_17 Depth=1
	v_and_b32_e32 v30, 0x7f, v28
	v_cmp_ne_u32_e32 vcc, s14, v30
	v_mov_b32_e32 v32, 0x7f80
	s_and_saveexec_b64 s[10:11], vcc
	s_cbranch_execz .LBB901_165
; %bb.164:                              ;   in Loop: Header=BB901_17 Depth=1
	v_and_b32_e32 v32, 7, v28
	v_ffbh_u32_e32 v40, v32
	v_min_u32_e32 v40, 32, v40
	v_subrev_u32_e32 v42, 28, v40
	v_lshlrev_b64 v[52:53], v42, v[28:29]
	v_lshrrev_b32_e32 v34, 3, v30
	v_sub_u32_e32 v40, 29, v40
	v_and_b32_e32 v42, 7, v52
	v_cmp_gt_u32_e32 vcc, 8, v30
	v_cndmask_b32_e32 v30, v34, v40, vcc
	v_cndmask_b32_e32 v32, v32, v42, vcc
	v_lshlrev_b32_e32 v34, 24, v28
	v_lshlrev_b32_e32 v32, 20, v32
	v_and_b32_e32 v34, 0x80000000, v34
	v_lshl_add_u32 v30, v30, 23, v38
	v_or3_b32 v30, v34, v30, v32
	v_lshrrev_b32_e32 v32, 16, v30
.LBB901_165:                            ;   in Loop: Header=BB901_17 Depth=1
	s_or_b64 exec, exec, s[10:11]
.LBB901_166:                            ;   in Loop: Header=BB901_17 Depth=1
	s_or_b64 exec, exec, s[6:7]
.LBB901_167:                            ;   in Loop: Header=BB901_17 Depth=1
	s_or_b64 exec, exec, s[4:5]
	v_lshrrev_b16_e32 v30, 8, v28
	v_cmp_ne_u16_e32 vcc, 0, v30
	s_and_saveexec_b64 s[4:5], vcc
	s_cbranch_execz .LBB901_173
; %bb.168:                              ;   in Loop: Header=BB901_17 Depth=1
	v_cmp_ne_u16_e32 vcc, s13, v30
	v_mov_b32_e32 v23, 0xffff8000
	s_and_saveexec_b64 s[6:7], vcc
	s_cbranch_execz .LBB901_172
; %bb.169:                              ;   in Loop: Header=BB901_17 Depth=1
	v_and_b32_e32 v34, 0x7f, v30
	v_cmp_ne_u32_e32 vcc, s14, v34
	v_mov_b32_e32 v23, 0x7f80
	s_and_saveexec_b64 s[10:11], vcc
	s_cbranch_execz .LBB901_171
; %bb.170:                              ;   in Loop: Header=BB901_17 Depth=1
	v_and_b32_e32 v23, 7, v30
	v_ffbh_u32_e32 v42, v23
	v_min_u32_e32 v42, 32, v42
	v_subrev_u32_e32 v44, 28, v42
	v_lshlrev_b64 v[52:53], v44, v[30:31]
	v_lshrrev_b32_e32 v40, 3, v34
	v_sub_u32_e32 v30, 29, v42
	v_and_b32_e32 v42, 7, v52
	v_cmp_gt_u32_e32 vcc, 8, v34
	v_cndmask_b32_e32 v30, v40, v30, vcc
	v_cndmask_b32_e32 v23, v23, v42, vcc
	v_lshlrev_b32_e32 v34, 16, v28
	v_lshlrev_b32_e32 v23, 20, v23
	v_and_b32_e32 v34, 0x80000000, v34
	v_lshl_add_u32 v30, v30, 23, v38
	v_or3_b32 v23, v34, v30, v23
	v_lshrrev_b32_e32 v23, 16, v23
.LBB901_171:                            ;   in Loop: Header=BB901_17 Depth=1
	s_or_b64 exec, exec, s[10:11]
.LBB901_172:                            ;   in Loop: Header=BB901_17 Depth=1
	s_or_b64 exec, exec, s[6:7]
.LBB901_173:                            ;   in Loop: Header=BB901_17 Depth=1
	s_or_b64 exec, exec, s[4:5]
	v_lshrrev_b32_e32 v30, 16, v28
	v_cmp_ne_u16_sdwa s[6:7], v30, v35 src0_sel:BYTE_0 src1_sel:DWORD
	v_mov_b32_e32 v40, 0
	v_mov_b32_e32 v34, 0
	s_and_saveexec_b64 s[4:5], s[6:7]
	s_cbranch_execz .LBB901_179
; %bb.174:                              ;   in Loop: Header=BB901_17 Depth=1
	v_cmp_ne_u16_sdwa s[10:11], v30, s13 src0_sel:BYTE_0 src1_sel:DWORD
	v_mov_b32_e32 v34, 0xffff8000
	s_and_saveexec_b64 s[6:7], s[10:11]
	s_cbranch_execz .LBB901_178
; %bb.175:                              ;   in Loop: Header=BB901_17 Depth=1
	v_bfe_u32 v42, v28, 16, 7
	v_cmp_ne_u32_e32 vcc, s14, v42
	v_mov_b32_e32 v34, 0x7f80
	s_and_saveexec_b64 s[10:11], vcc
	s_cbranch_execz .LBB901_177
; %bb.176:                              ;   in Loop: Header=BB901_17 Depth=1
	v_and_b32_e32 v34, 7, v30
	v_ffbh_u32_e32 v52, v34
	v_min_u32_e32 v54, 32, v52
	v_subrev_u32_e32 v52, 28, v54
	v_lshlrev_b64 v[52:53], v52, v[30:31]
	v_lshrrev_b32_e32 v44, 3, v42
	v_sub_u32_e32 v53, 29, v54
	v_and_b32_e32 v52, 7, v52
	v_cmp_gt_u32_e32 vcc, 8, v42
	v_cndmask_b32_e32 v42, v44, v53, vcc
	v_cndmask_b32_e32 v34, v34, v52, vcc
	v_lshlrev_b32_e32 v30, 24, v30
	v_lshlrev_b32_e32 v34, 20, v34
	v_and_b32_e32 v30, 0x80000000, v30
	v_lshl_add_u32 v42, v42, 23, v38
	v_or3_b32 v30, v30, v42, v34
	v_lshrrev_b32_e32 v34, 16, v30
.LBB901_177:                            ;   in Loop: Header=BB901_17 Depth=1
	s_or_b64 exec, exec, s[10:11]
.LBB901_178:                            ;   in Loop: Header=BB901_17 Depth=1
	s_or_b64 exec, exec, s[6:7]
.LBB901_179:                            ;   in Loop: Header=BB901_17 Depth=1
	s_or_b64 exec, exec, s[4:5]
	v_cmp_lt_u32_e32 vcc, s15, v28
	s_and_saveexec_b64 s[4:5], vcc
	s_cbranch_execz .LBB901_185
; %bb.180:                              ;   in Loop: Header=BB901_17 Depth=1
	v_lshrrev_b32_e32 v30, 24, v28
	v_cmp_ne_u32_e32 vcc, s13, v30
	v_mov_b32_e32 v40, 0xffff8000
	s_and_saveexec_b64 s[6:7], vcc
	s_cbranch_execz .LBB901_184
; %bb.181:                              ;   in Loop: Header=BB901_17 Depth=1
	v_bfe_u32 v28, v28, 24, 7
	v_cmp_ne_u32_e32 vcc, s14, v28
	v_mov_b32_e32 v40, 0x7f80
	s_and_saveexec_b64 s[10:11], vcc
	s_cbranch_execz .LBB901_183
; %bb.182:                              ;   in Loop: Header=BB901_17 Depth=1
	v_and_b32_e32 v40, 7, v30
	v_ffbh_u32_e32 v44, v40
	v_min_u32_e32 v44, 32, v44
	v_subrev_u32_e32 v52, 28, v44
	v_lshlrev_b64 v[52:53], v52, v[30:31]
	v_lshrrev_b32_e32 v42, 3, v28
	v_sub_u32_e32 v44, 29, v44
	v_and_b32_e32 v52, 7, v52
	v_cmp_gt_u32_e32 vcc, 8, v28
	v_cndmask_b32_e32 v28, v42, v44, vcc
	v_cndmask_b32_e32 v40, v40, v52, vcc
	v_lshlrev_b32_e32 v30, 24, v30
	v_lshlrev_b32_e32 v40, 20, v40
	v_and_b32_e32 v30, 0x80000000, v30
	v_lshl_add_u32 v28, v28, 23, v38
	v_or3_b32 v28, v30, v28, v40
	v_lshrrev_b32_e32 v40, 16, v28
.LBB901_183:                            ;   in Loop: Header=BB901_17 Depth=1
	s_or_b64 exec, exec, s[10:11]
.LBB901_184:                            ;   in Loop: Header=BB901_17 Depth=1
	s_or_b64 exec, exec, s[6:7]
.LBB901_185:                            ;   in Loop: Header=BB901_17 Depth=1
	s_or_b64 exec, exec, s[4:5]
	s_waitcnt vmcnt(0)
	v_cmp_ne_u16_sdwa s[6:7], v26, v35 src0_sel:BYTE_0 src1_sel:DWORD
	v_mov_b32_e32 v30, 0
	v_mov_b32_e32 v42, 0
	s_and_saveexec_b64 s[4:5], s[6:7]
	s_cbranch_execz .LBB901_191
; %bb.186:                              ;   in Loop: Header=BB901_17 Depth=1
	v_cmp_ne_u16_sdwa s[10:11], v26, s13 src0_sel:BYTE_0 src1_sel:DWORD
	v_mov_b32_e32 v42, 0xffff8000
	s_and_saveexec_b64 s[6:7], s[10:11]
	s_cbranch_execz .LBB901_190
; %bb.187:                              ;   in Loop: Header=BB901_17 Depth=1
	v_and_b32_e32 v28, 0x7f, v26
	v_cmp_ne_u32_e32 vcc, s14, v28
	v_mov_b32_e32 v42, 0x7f80
	s_and_saveexec_b64 s[10:11], vcc
	s_cbranch_execz .LBB901_189
; %bb.188:                              ;   in Loop: Header=BB901_17 Depth=1
	v_and_b32_e32 v42, 7, v26
	v_ffbh_u32_e32 v52, v42
	v_min_u32_e32 v54, 32, v52
	v_subrev_u32_e32 v52, 28, v54
	v_lshlrev_b64 v[52:53], v52, v[26:27]
	v_lshrrev_b32_e32 v44, 3, v28
	v_sub_u32_e32 v53, 29, v54
	v_and_b32_e32 v52, 7, v52
	v_cmp_gt_u32_e32 vcc, 8, v28
	v_cndmask_b32_e32 v28, v44, v53, vcc
	v_cndmask_b32_e32 v42, v42, v52, vcc
	v_lshlrev_b32_e32 v44, 24, v26
	v_lshlrev_b32_e32 v42, 20, v42
	v_and_b32_e32 v44, 0x80000000, v44
	v_lshl_add_u32 v28, v28, 23, v38
	v_or3_b32 v28, v44, v28, v42
	v_lshrrev_b32_e32 v42, 16, v28
.LBB901_189:                            ;   in Loop: Header=BB901_17 Depth=1
	s_or_b64 exec, exec, s[10:11]
.LBB901_190:                            ;   in Loop: Header=BB901_17 Depth=1
	s_or_b64 exec, exec, s[6:7]
.LBB901_191:                            ;   in Loop: Header=BB901_17 Depth=1
	s_or_b64 exec, exec, s[4:5]
	v_lshrrev_b16_e32 v28, 8, v26
	v_cmp_ne_u16_e32 vcc, 0, v28
	s_and_saveexec_b64 s[4:5], vcc
	s_cbranch_execz .LBB901_197
; %bb.192:                              ;   in Loop: Header=BB901_17 Depth=1
	v_cmp_ne_u16_e32 vcc, s13, v28
	v_mov_b32_e32 v30, 0xffff8000
	s_and_saveexec_b64 s[6:7], vcc
	s_cbranch_execz .LBB901_196
; %bb.193:                              ;   in Loop: Header=BB901_17 Depth=1
	v_and_b32_e32 v44, 0x7f, v28
	v_cmp_ne_u32_e32 vcc, s14, v44
	v_mov_b32_e32 v30, 0x7f80
	s_and_saveexec_b64 s[10:11], vcc
	s_cbranch_execz .LBB901_195
; %bb.194:                              ;   in Loop: Header=BB901_17 Depth=1
	v_and_b32_e32 v30, 7, v28
	v_ffbh_u32_e32 v52, v30
	v_min_u32_e32 v55, 32, v52
	v_subrev_u32_e32 v52, 28, v55
	v_lshlrev_b64 v[52:53], v52, v[28:29]
	v_lshrrev_b32_e32 v54, 3, v44
	v_sub_u32_e32 v28, 29, v55
	v_and_b32_e32 v52, 7, v52
	v_cmp_gt_u32_e32 vcc, 8, v44
	v_cndmask_b32_e32 v28, v54, v28, vcc
	v_cndmask_b32_e32 v30, v30, v52, vcc
	v_lshlrev_b32_e32 v44, 16, v26
	v_lshlrev_b32_e32 v30, 20, v30
	v_and_b32_e32 v44, 0x80000000, v44
	v_lshl_add_u32 v28, v28, 23, v38
	v_or3_b32 v28, v44, v28, v30
	v_lshrrev_b32_e32 v30, 16, v28
.LBB901_195:                            ;   in Loop: Header=BB901_17 Depth=1
	s_or_b64 exec, exec, s[10:11]
.LBB901_196:                            ;   in Loop: Header=BB901_17 Depth=1
	s_or_b64 exec, exec, s[6:7]
.LBB901_197:                            ;   in Loop: Header=BB901_17 Depth=1
	s_or_b64 exec, exec, s[4:5]
	v_lshrrev_b32_e32 v28, 16, v26
	v_cmp_ne_u16_sdwa s[6:7], v28, v35 src0_sel:BYTE_0 src1_sel:DWORD
	v_mov_b32_e32 v52, 0
	v_mov_b32_e32 v44, 0
	s_and_saveexec_b64 s[4:5], s[6:7]
	s_cbranch_execz .LBB901_203
; %bb.198:                              ;   in Loop: Header=BB901_17 Depth=1
	v_cmp_ne_u16_sdwa s[10:11], v28, s13 src0_sel:BYTE_0 src1_sel:DWORD
	v_mov_b32_e32 v44, 0xffff8000
	s_and_saveexec_b64 s[6:7], s[10:11]
	s_cbranch_execz .LBB901_202
; %bb.199:                              ;   in Loop: Header=BB901_17 Depth=1
	v_bfe_u32 v53, v26, 16, 7
	v_cmp_ne_u32_e32 vcc, s14, v53
	v_mov_b32_e32 v44, 0x7f80
	s_and_saveexec_b64 s[10:11], vcc
	s_cbranch_execz .LBB901_201
; %bb.200:                              ;   in Loop: Header=BB901_17 Depth=1
	v_and_b32_e32 v44, 7, v28
	v_ffbh_u32_e32 v54, v44
	v_min_u32_e32 v57, 32, v54
	v_subrev_u32_e32 v54, 28, v57
	v_lshlrev_b64 v[54:55], v54, v[28:29]
	v_lshrrev_b32_e32 v56, 3, v53
	v_sub_u32_e32 v55, 29, v57
	v_and_b32_e32 v54, 7, v54
	v_cmp_gt_u32_e32 vcc, 8, v53
	v_cndmask_b32_e32 v53, v56, v55, vcc
	v_cndmask_b32_e32 v44, v44, v54, vcc
	v_lshlrev_b32_e32 v28, 24, v28
	v_lshlrev_b32_e32 v44, 20, v44
	v_and_b32_e32 v28, 0x80000000, v28
	v_lshl_add_u32 v53, v53, 23, v38
	v_or3_b32 v28, v28, v53, v44
	v_lshrrev_b32_e32 v44, 16, v28
.LBB901_201:                            ;   in Loop: Header=BB901_17 Depth=1
	s_or_b64 exec, exec, s[10:11]
.LBB901_202:                            ;   in Loop: Header=BB901_17 Depth=1
	s_or_b64 exec, exec, s[6:7]
.LBB901_203:                            ;   in Loop: Header=BB901_17 Depth=1
	s_or_b64 exec, exec, s[4:5]
	v_cmp_lt_u32_e32 vcc, s15, v26
	s_and_saveexec_b64 s[4:5], vcc
	s_cbranch_execz .LBB901_16
; %bb.204:                              ;   in Loop: Header=BB901_17 Depth=1
	v_lshrrev_b32_e32 v28, 24, v26
	v_cmp_ne_u32_e32 vcc, s13, v28
	v_mov_b32_e32 v52, 0xffff8000
	s_and_saveexec_b64 s[6:7], vcc
	s_cbranch_execz .LBB901_15
; %bb.205:                              ;   in Loop: Header=BB901_17 Depth=1
	v_bfe_u32 v26, v26, 24, 7
	v_cmp_ne_u32_e32 vcc, s14, v26
	v_mov_b32_e32 v52, 0x7f80
	s_and_saveexec_b64 s[10:11], vcc
	s_cbranch_execz .LBB901_14
; %bb.206:                              ;   in Loop: Header=BB901_17 Depth=1
	v_and_b32_e32 v54, 7, v28
	v_ffbh_u32_e32 v52, v54
	v_min_u32_e32 v56, 32, v52
	v_subrev_u32_e32 v52, 28, v56
	v_lshlrev_b64 v[52:53], v52, v[28:29]
	v_lshrrev_b32_e32 v55, 3, v26
	v_sub_u32_e32 v53, 29, v56
	v_and_b32_e32 v52, 7, v52
	v_cmp_gt_u32_e32 vcc, 8, v26
	v_cndmask_b32_e32 v26, v55, v53, vcc
	v_cndmask_b32_e32 v52, v54, v52, vcc
	v_lshlrev_b32_e32 v28, 24, v28
	v_lshlrev_b32_e32 v52, 20, v52
	v_and_b32_e32 v28, 0x80000000, v28
	v_lshl_add_u32 v26, v26, 23, v38
	v_or3_b32 v26, v28, v26, v52
	v_lshrrev_b32_e32 v52, 16, v26
	s_branch .LBB901_14
.LBB901_207:
	buffer_load_dword v17, off, s[0:3], 0 offset:256
	buffer_load_dword v16, off, s[0:3], 0 offset:260
	;; [unrolled: 1-line block ×16, first 2 shown]
	v_and_b32_e32 v18, 0xc0, v0
	v_add_u32_e32 v18, s20, v18
	v_lshl_or_b32 v18, v1, 2, v18
	v_or_b32_e32 v20, 1, v18
	v_subrev_u32_e32 v24, s33, v20
	v_add_u32_e32 v26, 1, v24
	v_cvt_f32_i32_e32 v25, v24
	v_add_u32_e32 v28, 2, v24
	v_add_u32_e32 v30, 3, v24
	;; [unrolled: 1-line block ×14, first 2 shown]
	v_cvt_f32_i32_e32 v26, v26
	v_cvt_f32_i32_e32 v28, v28
	;; [unrolled: 1-line block ×4, first 2 shown]
	v_mov_b32_e32 v19, 0xff7fffff
	v_or_b32_e32 v21, 2, v18
	v_or_b32_e32 v22, 3, v18
	v_cvt_f32_i32_e32 v32, v32
	v_cvt_f32_i32_e32 v34, v34
	v_cmp_gt_i32_e64 s[28:29], s33, v18
	v_cmp_gt_i32_e64 s[30:31], s33, v20
	s_mov_b32 s52, 0xff7fffff
	v_cmp_gt_i32_e64 s[34:35], s33, v21
	v_cmp_gt_i32_e64 s[36:37], s33, v22
	v_or_b32_e32 v23, 16, v18
	v_cvt_f32_i32_e32 v35, v35
	v_cvt_f32_i32_e32 v36, v36
	v_cmp_gt_i32_e64 s[24:25], s33, v23
	v_cvt_f32_i32_e32 v37, v37
	v_cvt_f32_i32_e32 v38, v38
	;; [unrolled: 1-line block ×7, first 2 shown]
	s_waitcnt vmcnt(15)
	v_fmac_f32_e32 v17, v31, v25
	s_waitcnt vmcnt(14)
	v_fmac_f32_e32 v16, v31, v26
	;; [unrolled: 2-line block ×4, first 2 shown]
	v_cndmask_b32_e64 v20, v19, v16, s[30:31]
	v_cndmask_b32_e64 v21, v19, v15, s[34:35]
	;; [unrolled: 1-line block ×3, first 2 shown]
	s_waitcnt vmcnt(11)
	v_fmac_f32_e32 v13, v31, v32
	s_waitcnt vmcnt(10)
	v_fmac_f32_e32 v12, v31, v34
	;; [unrolled: 2-line block ×9, first 2 shown]
	v_cndmask_b32_e64 v24, v19, v17, s[28:29]
	v_max3_f32 v20, v24, s52, v20
	v_max3_f32 v20, v20, v21, v22
	v_or_b32_e32 v22, 17, v18
	v_cmp_gt_i32_e64 s[38:39], s33, v22
	v_cndmask_b32_e64 v21, v19, v13, s[24:25]
	v_cndmask_b32_e64 v22, v19, v12, s[38:39]
	v_max3_f32 v20, v20, v21, v22
	v_or_b32_e32 v21, 18, v18
	v_or_b32_e32 v22, 19, v18
	v_cmp_gt_i32_e64 s[20:21], s33, v21
	v_cmp_gt_i32_e64 s[22:23], s33, v22
	v_cndmask_b32_e64 v21, v19, v11, s[20:21]
	v_cndmask_b32_e64 v22, v19, v10, s[22:23]
	v_max3_f32 v20, v20, v21, v22
	v_or_b32_e32 v21, 32, v18
	v_or_b32_e32 v22, 33, v18
	v_cmp_gt_i32_e64 s[16:17], s33, v21
	;; [unrolled: 7-line block ×3, first 2 shown]
	v_cmp_gt_i32_e64 s[14:15], s33, v22
	v_cndmask_b32_e64 v21, v19, v7, s[12:13]
	v_cndmask_b32_e64 v22, v19, v6, s[14:15]
	v_max3_f32 v20, v20, v21, v22
	v_or_b32_e32 v21, 48, v18
	v_or_b32_e32 v22, 49, v18
	v_fmac_f32_e32 v5, v31, v44
	v_fmac_f32_e32 v4, v31, v52
	v_cmp_gt_i32_e64 s[6:7], s33, v21
	v_cmp_gt_i32_e64 s[10:11], s33, v22
	v_cndmask_b32_e64 v21, v19, v5, s[6:7]
	v_cndmask_b32_e64 v22, v19, v4, s[10:11]
	v_max3_f32 v20, v20, v21, v22
	v_or_b32_e32 v21, 50, v18
	v_or_b32_e32 v18, 51, v18
	v_fmac_f32_e32 v3, v31, v53
	v_cmp_gt_i32_e32 vcc, s33, v21
	v_cmp_gt_i32_e64 s[4:5], s33, v18
	v_cndmask_b32_e32 v21, v19, v3, vcc
	v_cndmask_b32_e64 v18, v19, v2, s[4:5]
	v_mbcnt_lo_u32_b32 v19, -1, 0
	v_mbcnt_hi_u32_b32 v19, -1, v19
	v_max3_f32 v18, v20, v21, v18
	v_and_b32_e32 v20, 64, v19
	v_add_u32_e32 v20, 64, v20
	v_xor_b32_e32 v21, 32, v19
	v_cmp_lt_i32_e64 s[40:41], v21, v20
	v_cndmask_b32_e64 v21, v19, v21, s[40:41]
	v_lshlrev_b32_e32 v21, 2, v21
	ds_bpermute_b32 v22, v21, v18
	s_waitcnt lgkmcnt(0)
	v_max_f32_e32 v22, v22, v22
	v_max_f32_e32 v18, v18, v22
	v_xor_b32_e32 v22, 16, v19
	v_cmp_lt_i32_e64 s[40:41], v22, v20
	v_cndmask_b32_e64 v19, v19, v22, s[40:41]
	v_lshlrev_b32_e32 v19, 2, v19
	ds_bpermute_b32 v20, v19, v18
	s_waitcnt lgkmcnt(0)
	v_max_f32_e32 v20, v20, v20
	v_max_f32_e32 v18, v18, v20
	v_sub_f32_e32 v17, v17, v18
	v_mul_f32_e32 v17, 0x3fb8aa3b, v17
	v_sub_f32_e32 v16, v16, v18
	v_exp_f32_e32 v17, v17
	v_mul_f32_e32 v16, 0x3fb8aa3b, v16
	v_sub_f32_e32 v15, v15, v18
	v_exp_f32_e32 v16, v16
	;; [unrolled: 3-line block ×4, first 2 shown]
	v_mul_f32_e32 v13, 0x3fb8aa3b, v13
	v_sub_f32_e32 v12, v12, v18
	v_cndmask_b32_e64 v17, 0, v17, s[28:29]
	v_exp_f32_e32 v13, v13
	v_mul_f32_e32 v12, 0x3fb8aa3b, v12
	v_sub_f32_e32 v11, v11, v18
	v_add_f32_e32 v20, 0, v17
	v_cndmask_b32_e64 v16, 0, v16, s[30:31]
	v_exp_f32_e32 v12, v12
	v_mul_f32_e32 v11, 0x3fb8aa3b, v11
	v_sub_f32_e32 v10, v10, v18
	v_add_f32_e32 v20, v20, v16
	;; [unrolled: 5-line block ×4, first 2 shown]
	v_cndmask_b32_e64 v13, 0, v13, s[24:25]
	v_exp_f32_e32 v9, v9
	v_mul_f32_e32 v8, 0x3fb8aa3b, v8
	v_sub_f32_e32 v7, v7, v18
	buffer_store_dword v17, off, s[0:3], 0 offset:256
	buffer_store_dword v16, off, s[0:3], 0 offset:260
	;; [unrolled: 1-line block ×4, first 2 shown]
	v_add_f32_e32 v14, v20, v13
	v_cndmask_b32_e64 v12, 0, v12, s[38:39]
	v_exp_f32_e32 v8, v8
	v_mul_f32_e32 v7, 0x3fb8aa3b, v7
	v_sub_f32_e32 v6, v6, v18
	v_add_f32_e32 v14, v14, v12
	v_cndmask_b32_e64 v11, 0, v11, s[20:21]
	v_exp_f32_e32 v7, v7
	v_mul_f32_e32 v6, 0x3fb8aa3b, v6
	v_sub_f32_e32 v5, v5, v18
	;; [unrolled: 5-line block ×4, first 2 shown]
	buffer_store_dword v13, off, s[0:3], 0 offset:272
	buffer_store_dword v12, off, s[0:3], 0 offset:276
	;; [unrolled: 1-line block ×4, first 2 shown]
	v_add_f32_e32 v10, v14, v9
	v_cndmask_b32_e64 v8, 0, v8, s[18:19]
	v_exp_f32_e32 v4, v4
	v_mul_f32_e32 v3, 0x3fb8aa3b, v3
	v_sub_f32_e32 v2, v2, v18
	v_add_f32_e32 v10, v10, v8
	v_cndmask_b32_e64 v7, 0, v7, s[12:13]
	v_exp_f32_e32 v3, v3
	v_mul_f32_e32 v2, 0x3fb8aa3b, v2
	v_add_f32_e32 v10, v10, v7
	v_cndmask_b32_e64 v6, 0, v6, s[14:15]
	v_exp_f32_e32 v2, v2
	v_add_f32_e32 v10, v10, v6
	v_cndmask_b32_e64 v5, 0, v5, s[6:7]
	buffer_store_dword v9, off, s[0:3], 0 offset:288
	buffer_store_dword v8, off, s[0:3], 0 offset:292
	;; [unrolled: 1-line block ×4, first 2 shown]
	v_add_f32_e32 v6, v10, v5
	v_cndmask_b32_e64 v4, 0, v4, s[10:11]
	v_add_f32_e32 v6, v6, v4
	v_cndmask_b32_e32 v3, 0, v3, vcc
	v_add_f32_e32 v6, v6, v3
	v_cndmask_b32_e64 v2, 0, v2, s[4:5]
	v_add_f32_e32 v6, v6, v2
	ds_bpermute_b32 v7, v21, v6
	buffer_store_dword v5, off, s[0:3], 0 offset:304
	buffer_store_dword v4, off, s[0:3], 0 offset:308
	;; [unrolled: 1-line block ×4, first 2 shown]
	v_cmp_gt_u32_e32 vcc, 16, v33
	s_waitcnt lgkmcnt(0)
	s_barrier
	v_add_f32_e32 v2, v6, v7
	ds_bpermute_b32 v3, v19, v2
	s_waitcnt lgkmcnt(0)
	s_and_saveexec_b64 s[4:5], vcc
	s_cbranch_execz .LBB901_209
; %bb.208:
	v_add_f32_e32 v2, v2, v3
	v_lshlrev_b32_e32 v3, 2, v29
	ds_write2st64_b32 v3, v18, v2 offset1:1
.LBB901_209:
	s_or_b64 exec, exec, s[4:5]
	v_lshlrev_b32_e32 v2, 2, v41
	s_waitcnt lgkmcnt(0)
	s_barrier
	ds_read2_b32 v[14:15], v2 offset1:16
	ds_read2_b32 v[16:17], v2 offset0:32 offset1:48
	ds_read2_b32 v[6:7], v2 offset0:64 offset1:80
	;; [unrolled: 1-line block ×3, first 2 shown]
	s_waitcnt lgkmcnt(0)
	s_barrier
	buffer_load_dword v22, off, s[0:3], 0 offset:264
	buffer_load_dword v23, off, s[0:3], 0 offset:268
	;; [unrolled: 1-line block ×16, first 2 shown]
	v_max3_f32 v20, v14, s52, v15
	v_max3_f32 v20, v20, v16, v17
	v_sub_f32_e32 v14, v14, v20
	v_sub_f32_e32 v15, v15, v20
	v_mul_f32_e32 v14, 0x3fb8aa3b, v14
	v_sub_f32_e32 v16, v16, v20
	v_mul_f32_e32 v15, 0x3fb8aa3b, v15
	v_exp_f32_e32 v14, v14
	v_sub_f32_e32 v17, v17, v20
	v_mul_f32_e32 v16, 0x3fb8aa3b, v16
	v_exp_f32_e32 v15, v15
	v_mul_f32_e32 v17, 0x3fb8aa3b, v17
	v_exp_f32_e32 v16, v16
	v_exp_f32_e32 v17, v17
	v_fma_f32 v6, v14, v6, 0
	v_fmac_f32_e32 v6, v15, v7
	v_fmac_f32_e32 v6, v16, v12
	;; [unrolled: 1-line block ×3, first 2 shown]
	v_cmp_eq_u32_e32 vcc, 1, v27
	v_add_f32_e32 v12, 0x358637bd, v6
	v_cndmask_b32_e32 v14, v14, v15, vcc
	v_cmp_eq_u32_e32 vcc, 2, v27
	v_div_scale_f32 v13, s[4:5], v12, v12, 1.0
	v_cndmask_b32_e32 v7, v14, v16, vcc
	v_rcp_f32_e32 v14, v13
	v_cmp_eq_u32_e32 vcc, 3, v27
	v_cndmask_b32_e32 v7, v7, v17, vcc
	v_div_scale_f32 v15, vcc, 1.0, v12, 1.0
	v_fma_f32 v16, -v13, v14, 1.0
	v_fmac_f32_e32 v14, v16, v14
	v_mul_f32_e32 v16, v15, v14
	v_fma_f32 v17, -v13, v16, v15
	v_fmac_f32_e32 v16, v17, v14
	v_fma_f32 v13, -v13, v16, v15
	v_div_fmas_f32 v13, v13, v14, v16
	v_div_fixup_f32 v12, v13, v12, 1.0
	v_mul_f32_e32 v12, v7, v12
	s_movk_i32 s19, 0x7fff
	s_mov_b32 s20, 0x7060302
	s_lshl_b32 s18, s49, 3
	v_cmp_gt_u32_e32 vcc, 8, v0
	s_waitcnt vmcnt(14)
	v_pk_mul_f32 v[14:15], v[12:13], v[22:23] op_sel_hi:[0,1]
	v_bfe_u32 v21, v15, 16, 1
	s_waitcnt vmcnt(12)
	v_pk_mul_f32 v[16:17], v[12:13], v[24:25] op_sel_hi:[0,1]
	v_bfe_u32 v7, v17, 16, 1
	v_bfe_u32 v13, v16, 16, 1
	;; [unrolled: 1-line block ×3, first 2 shown]
	v_add3_u32 v13, v16, v13, s19
	v_add3_u32 v7, v17, v7, s19
	buffer_store_dword v16, off, s[0:3], 0 offset:256
	buffer_store_dword v17, off, s[0:3], 0 offset:260
	;; [unrolled: 1-line block ×4, first 2 shown]
	v_add3_u32 v16, v14, v22, s19
	v_add3_u32 v15, v15, v21, s19
	v_perm_b32 v14, v7, v13, s20
	v_lshlrev_b32_e32 v13, 3, v1
	v_perm_b32 v15, v15, v16, s20
	v_lshlrev_b32_e32 v7, 5, v41
	v_lshlrev_b32_e32 v16, 11, v27
	s_waitcnt vmcnt(12)
	v_pk_mul_f32 v[8:9], v[12:13], v[8:9] op_sel_hi:[0,1]
	v_or3_b32 v52, v16, v7, v13
	v_pk_mul_f32 v[10:11], v[12:13], v[10:11] op_sel_hi:[0,1]
	v_bfe_u32 v13, v9, 16, 1
	v_bfe_u32 v16, v8, 16, 1
	buffer_store_dword v8, off, s[0:3], 0 offset:272
	buffer_store_dword v9, off, s[0:3], 0 offset:276
	;; [unrolled: 1-line block ×4, first 2 shown]
	v_add3_u32 v8, v8, v16, s19
	v_add3_u32 v9, v9, v13, s19
	v_perm_b32 v8, v9, v8, s20
	v_bfe_u32 v9, v11, 16, 1
	v_bfe_u32 v13, v10, 16, 1
	v_add3_u32 v10, v10, v13, s19
	v_add3_u32 v9, v11, v9, s19
	v_perm_b32 v9, v9, v10, s20
	s_waitcnt vmcnt(14)
	v_pk_mul_f32 v[10:11], v[12:13], v[18:19] op_sel_hi:[0,1]
	ds_write2st64_b64 v52, v[14:15], v[8:9] offset1:1
	s_waitcnt vmcnt(12)
	v_pk_mul_f32 v[8:9], v[12:13], v[28:29] op_sel_hi:[0,1]
	v_bfe_u32 v13, v11, 16, 1
	v_bfe_u32 v14, v10, 16, 1
	buffer_store_dword v10, off, s[0:3], 0 offset:288
	buffer_store_dword v11, off, s[0:3], 0 offset:292
	;; [unrolled: 1-line block ×4, first 2 shown]
	v_add3_u32 v10, v10, v14, s19
	v_add3_u32 v11, v11, v13, s19
	v_perm_b32 v10, v11, v10, s20
	v_bfe_u32 v11, v9, 16, 1
	v_bfe_u32 v13, v8, 16, 1
	v_add3_u32 v8, v8, v13, s19
	v_add3_u32 v9, v9, v11, s19
	s_waitcnt vmcnt(14)
	v_pk_mul_f32 v[2:3], v[12:13], v[2:3] op_sel_hi:[0,1]
	v_perm_b32 v11, v9, v8, s20
	v_bfe_u32 v8, v3, 16, 1
	v_bfe_u32 v9, v2, 16, 1
	s_waitcnt vmcnt(12)
	v_pk_mul_f32 v[4:5], v[12:13], v[4:5] op_sel_hi:[0,1]
	buffer_store_dword v2, off, s[0:3], 0 offset:304
	buffer_store_dword v3, off, s[0:3], 0 offset:308
	;; [unrolled: 1-line block ×4, first 2 shown]
	v_add3_u32 v2, v2, v9, s19
	v_add3_u32 v3, v3, v8, s19
	v_perm_b32 v2, v3, v2, s20
	v_bfe_u32 v3, v5, 16, 1
	v_bfe_u32 v8, v4, 16, 1
	v_add3_u32 v4, v4, v8, s19
	v_add3_u32 v3, v5, v3, s19
	v_perm_b32 v3, v3, v4, s20
	ds_write2st64_b64 v52, v[10:11], v[2:3] offset0:2 offset1:3
	s_and_saveexec_b64 s[4:5], vcc
	s_cbranch_execz .LBB901_211
; %bb.210:
	v_or_b32_e32 v2, s27, v0
	v_mov_b32_e32 v3, 0
	v_mov_b32_e32 v4, s18
	v_mad_u64_u32 v[4:5], s[6:7], s8, v4, v[2:3]
	v_mov_b32_e32 v2, s26
	s_mul_i32 s9, s9, s18
	v_mad_u64_u32 v[2:3], s[6:7], v4, s48, v[2:3]
	v_add_u32_e32 v5, s9, v5
	v_mov_b32_e32 v4, v3
	v_mad_u64_u32 v[4:5], s[6:7], v5, s48, v[4:5]
	v_mov_b32_e32 v3, v4
	v_lshlrev_b64 v[2:3], 2, v[2:3]
	v_mov_b32_e32 v5, s47
	v_add_co_u32_e32 v4, vcc, s46, v2
	v_addc_co_u32_e32 v5, vcc, v5, v3, vcc
	global_store_dword v[4:5], v20, off
	v_mov_b32_e32 v4, s45
	v_add_co_u32_e32 v2, vcc, s44, v2
	v_addc_co_u32_e32 v3, vcc, v4, v3, vcc
	global_store_dword v[2:3], v6, off
.LBB901_211:
	s_or_b64 exec, exec, s[4:5]
	v_lshl_or_b32 v30, v1, 9, v7
	s_waitcnt lgkmcnt(0)
	s_barrier
	s_load_dword s4, s[42:43], 0x0
	ds_read_b128 v[2:5], v30
	ds_read_b128 v[6:9], v30 offset:16
	ds_read_b128 v[10:13], v30 offset:2048
	ds_read_b128 v[14:17], v30 offset:2064
	ds_read_b128 v[18:21], v30 offset:4096
	ds_read_b128 v[22:25], v30 offset:4112
	ds_read_b128 v[26:29], v30 offset:6144
	ds_read_b128 v[30:33], v30 offset:6160
	v_mov_b32_e32 v35, 0x80
	v_mov_b32_e32 v53, 0x140
	s_mov_b64 s[10:11], -1
	s_waitcnt lgkmcnt(0)
	s_mov_b32 s5, s4
	s_mov_b32 s6, s4
	;; [unrolled: 1-line block ×3, first 2 shown]
	s_movk_i32 s9, 0x80
	s_movk_i32 s21, 0x7f
	s_mov_b32 s22, 0xffffff
	s_mov_b32 s23, 0x5040100
	v_mov_b32_e32 v54, 0
	v_bfrev_b32_e32 v55, 60
	s_branch .LBB901_215
.LBB901_212:                            ;   in Loop: Header=BB901_215 Depth=1
	s_or_b64 exec, exec, s[16:17]
.LBB901_213:                            ;   in Loop: Header=BB901_215 Depth=1
	s_or_b64 exec, exec, s[14:15]
.LBB901_214:                            ;   in Loop: Header=BB901_215 Depth=1
	s_or_b64 exec, exec, s[12:13]
	v_perm_b32 v61, v56, v50, s23
	v_perm_b32 v60, v44, v46, s23
	s_xor_b64 s[12:13], s[10:11], -1
	s_mov_b64 s[10:11], 0
	v_mov_b32_e32 v46, v47
	v_mfma_f32_16x16x16bf16_1k v[60:63], v[60:61], v[30:31], v[34:37]
	s_and_b64 vcc, exec, s[12:13]
	s_nop 5
	v_perm_b32 v37, v58, v57, s23
	v_perm_b32 v36, v42, v51, s23
	v_mov_b32_e32 v35, v45
	s_nop 0
	v_mfma_f32_16x16x16bf16_1k v[56:59], v[36:37], v[32:33], v[60:63]
	s_nop 7
	s_nop 2
	v_pk_mul_f32 v[50:51], v[56:57], s[4:5]
	v_pk_mul_f32 v[36:37], v[58:59], s[6:7]
	v_bfe_u32 v34, v51, 16, 1
	v_bfe_u32 v38, v50, 16, 1
	;; [unrolled: 1-line block ×4, first 2 shown]
	v_add3_u32 v38, v50, v38, s19
	v_add3_u32 v34, v51, v34, s19
	;; [unrolled: 1-line block ×4, first 2 shown]
	v_perm_b32 v34, v34, v38, s20
	v_perm_b32 v36, v37, v36, s20
	buffer_store_dword v34, v53, s[0:3], 0 offen
	buffer_store_dword v36, v53, s[0:3], 0 offen offset:4
	v_mov_b32_e32 v53, 0x148
	v_mov_b32_e32 v51, v48
	;; [unrolled: 1-line block ×3, first 2 shown]
	s_cbranch_vccnz .LBB901_597
.LBB901_215:                            ; =>This Inner Loop Header: Depth=1
	buffer_load_dword v36, v35, s[0:3], 0 offen
	buffer_load_dword v34, v35, s[0:3], 0 offen offset:4
	buffer_load_dword v40, v35, s[0:3], 0 offen offset:8
	;; [unrolled: 1-line block ×3, first 2 shown]
	v_mov_b32_e32 v35, 0
	s_waitcnt vmcnt(3)
	v_cmp_ne_u16_sdwa s[14:15], v36, v54 src0_sel:BYTE_0 src1_sel:DWORD
	s_and_saveexec_b64 s[12:13], s[14:15]
	s_cbranch_execz .LBB901_221
; %bb.216:                              ;   in Loop: Header=BB901_215 Depth=1
	v_cmp_ne_u16_sdwa s[16:17], v36, s9 src0_sel:BYTE_0 src1_sel:DWORD
	v_mov_b32_e32 v35, 0xffff8000
	s_and_saveexec_b64 s[14:15], s[16:17]
	s_cbranch_execz .LBB901_220
; %bb.217:                              ;   in Loop: Header=BB901_215 Depth=1
	v_and_b32_e32 v37, 0x7f, v36
	v_cmp_ne_u32_e32 vcc, s21, v37
	v_mov_b32_e32 v35, 0x7f80
	s_and_saveexec_b64 s[16:17], vcc
	s_cbranch_execz .LBB901_219
; %bb.218:                              ;   in Loop: Header=BB901_215 Depth=1
	v_and_b32_e32 v35, 7, v36
	v_ffbh_u32_e32 v44, v35
	v_min_u32_e32 v44, 32, v44
	v_subrev_u32_e32 v56, 28, v44
	v_lshlrev_b64 v[56:57], v56, v[36:37]
	v_lshrrev_b32_e32 v42, 3, v37
	v_sub_u32_e32 v44, 29, v44
	v_and_b32_e32 v56, 7, v56
	v_cmp_gt_u32_e32 vcc, 8, v37
	v_cndmask_b32_e32 v37, v42, v44, vcc
	v_cndmask_b32_e32 v35, v35, v56, vcc
	v_lshlrev_b32_e32 v42, 24, v36
	v_lshlrev_b32_e32 v35, 20, v35
	v_and_b32_e32 v42, 0x80000000, v42
	v_lshl_add_u32 v37, v37, 23, v55
	v_or3_b32 v35, v42, v37, v35
	v_lshrrev_b32_e32 v35, 16, v35
.LBB901_219:                            ;   in Loop: Header=BB901_215 Depth=1
	s_or_b64 exec, exec, s[16:17]
.LBB901_220:                            ;   in Loop: Header=BB901_215 Depth=1
	s_or_b64 exec, exec, s[14:15]
.LBB901_221:                            ;   in Loop: Header=BB901_215 Depth=1
	s_or_b64 exec, exec, s[12:13]
	v_lshrrev_b16_e32 v42, 8, v36
	v_cmp_ne_u16_e32 vcc, 0, v42
	v_mov_b32_e32 v56, 0
	v_mov_b32_e32 v37, 0
	s_and_saveexec_b64 s[12:13], vcc
	s_cbranch_execz .LBB901_227
; %bb.222:                              ;   in Loop: Header=BB901_215 Depth=1
	v_cmp_ne_u16_e32 vcc, s9, v42
	v_mov_b32_e32 v37, 0xffff8000
	s_and_saveexec_b64 s[14:15], vcc
	s_cbranch_execz .LBB901_226
; %bb.223:                              ;   in Loop: Header=BB901_215 Depth=1
	v_and_b32_e32 v44, 0x7f, v42
	v_cmp_ne_u32_e32 vcc, s21, v44
	v_mov_b32_e32 v37, 0x7f80
	s_and_saveexec_b64 s[16:17], vcc
	s_cbranch_execz .LBB901_225
; %bb.224:                              ;   in Loop: Header=BB901_215 Depth=1
	v_and_b32_e32 v37, 7, v42
	v_ffbh_u32_e32 v58, v37
	v_min_u32_e32 v60, 32, v58
	v_subrev_u32_e32 v58, 28, v60
	v_lshlrev_b64 v[58:59], v58, v[42:43]
	v_lshrrev_b32_e32 v57, 3, v44
	v_sub_u32_e32 v42, 29, v60
	v_and_b32_e32 v58, 7, v58
	v_cmp_gt_u32_e32 vcc, 8, v44
	v_cndmask_b32_e32 v42, v57, v42, vcc
	v_cndmask_b32_e32 v37, v37, v58, vcc
	v_lshlrev_b32_e32 v44, 16, v36
	v_lshlrev_b32_e32 v37, 20, v37
	v_and_b32_e32 v44, 0x80000000, v44
	v_lshl_add_u32 v42, v42, 23, v55
	v_or3_b32 v37, v44, v42, v37
	v_lshrrev_b32_e32 v37, 16, v37
.LBB901_225:                            ;   in Loop: Header=BB901_215 Depth=1
	s_or_b64 exec, exec, s[16:17]
.LBB901_226:                            ;   in Loop: Header=BB901_215 Depth=1
	s_or_b64 exec, exec, s[14:15]
.LBB901_227:                            ;   in Loop: Header=BB901_215 Depth=1
	s_or_b64 exec, exec, s[12:13]
	v_lshrrev_b32_e32 v42, 16, v36
	v_cmp_ne_u16_sdwa s[14:15], v42, v54 src0_sel:BYTE_0 src1_sel:DWORD
	s_and_saveexec_b64 s[12:13], s[14:15]
	s_cbranch_execz .LBB901_233
; %bb.228:                              ;   in Loop: Header=BB901_215 Depth=1
	v_cmp_ne_u16_sdwa s[16:17], v42, s9 src0_sel:BYTE_0 src1_sel:DWORD
	v_mov_b32_e32 v56, 0xffff8000
	s_and_saveexec_b64 s[14:15], s[16:17]
	s_cbranch_execz .LBB901_232
; %bb.229:                              ;   in Loop: Header=BB901_215 Depth=1
	v_bfe_u32 v44, v36, 16, 7
	v_cmp_ne_u32_e32 vcc, s21, v44
	v_mov_b32_e32 v56, 0x7f80
	s_and_saveexec_b64 s[16:17], vcc
	s_cbranch_execz .LBB901_231
; %bb.230:                              ;   in Loop: Header=BB901_215 Depth=1
	v_and_b32_e32 v58, 7, v42
	v_ffbh_u32_e32 v56, v58
	v_min_u32_e32 v60, 32, v56
	v_subrev_u32_e32 v56, 28, v60
	v_lshlrev_b64 v[56:57], v56, v[42:43]
	v_lshrrev_b32_e32 v59, 3, v44
	v_sub_u32_e32 v57, 29, v60
	v_and_b32_e32 v56, 7, v56
	v_cmp_gt_u32_e32 vcc, 8, v44
	v_cndmask_b32_e32 v44, v59, v57, vcc
	v_cndmask_b32_e32 v56, v58, v56, vcc
	v_lshlrev_b32_e32 v42, 24, v42
	v_lshlrev_b32_e32 v56, 20, v56
	v_and_b32_e32 v42, 0x80000000, v42
	v_lshl_add_u32 v44, v44, 23, v55
	v_or3_b32 v42, v42, v44, v56
	v_lshrrev_b32_e32 v56, 16, v42
.LBB901_231:                            ;   in Loop: Header=BB901_215 Depth=1
	s_or_b64 exec, exec, s[16:17]
.LBB901_232:                            ;   in Loop: Header=BB901_215 Depth=1
	s_or_b64 exec, exec, s[14:15]
.LBB901_233:                            ;   in Loop: Header=BB901_215 Depth=1
	s_or_b64 exec, exec, s[12:13]
	v_cmp_lt_u32_e32 vcc, s22, v36
	v_mov_b32_e32 v57, 0
	v_mov_b32_e32 v58, 0
	s_and_saveexec_b64 s[12:13], vcc
	s_cbranch_execz .LBB901_239
; %bb.234:                              ;   in Loop: Header=BB901_215 Depth=1
	v_lshrrev_b32_e32 v42, 24, v36
	v_cmp_ne_u32_e32 vcc, s9, v42
	v_mov_b32_e32 v58, 0xffff8000
	s_and_saveexec_b64 s[14:15], vcc
	s_cbranch_execz .LBB901_238
; %bb.235:                              ;   in Loop: Header=BB901_215 Depth=1
	v_bfe_u32 v36, v36, 24, 7
	v_cmp_ne_u32_e32 vcc, s21, v36
	v_mov_b32_e32 v58, 0x7f80
	s_and_saveexec_b64 s[16:17], vcc
	s_cbranch_execz .LBB901_237
; %bb.236:                              ;   in Loop: Header=BB901_215 Depth=1
	v_and_b32_e32 v44, 7, v42
	v_ffbh_u32_e32 v58, v44
	v_min_u32_e32 v61, 32, v58
	v_subrev_u32_e32 v58, 28, v61
	v_lshlrev_b64 v[58:59], v58, v[42:43]
	v_lshrrev_b32_e32 v60, 3, v36
	v_sub_u32_e32 v59, 29, v61
	v_and_b32_e32 v58, 7, v58
	v_cmp_gt_u32_e32 vcc, 8, v36
	v_cndmask_b32_e32 v36, v60, v59, vcc
	v_cndmask_b32_e32 v44, v44, v58, vcc
	v_lshlrev_b32_e32 v42, 24, v42
	v_lshlrev_b32_e32 v44, 20, v44
	v_and_b32_e32 v42, 0x80000000, v42
	v_lshl_add_u32 v36, v36, 23, v55
	v_or3_b32 v36, v42, v36, v44
	v_lshrrev_b32_e32 v58, 16, v36
.LBB901_237:                            ;   in Loop: Header=BB901_215 Depth=1
	s_or_b64 exec, exec, s[16:17]
.LBB901_238:                            ;   in Loop: Header=BB901_215 Depth=1
	s_or_b64 exec, exec, s[14:15]
.LBB901_239:                            ;   in Loop: Header=BB901_215 Depth=1
	s_or_b64 exec, exec, s[12:13]
	s_waitcnt vmcnt(2)
	v_cmp_ne_u16_sdwa s[14:15], v34, v54 src0_sel:BYTE_0 src1_sel:DWORD
	s_and_saveexec_b64 s[12:13], s[14:15]
	s_cbranch_execz .LBB901_245
; %bb.240:                              ;   in Loop: Header=BB901_215 Depth=1
	v_cmp_ne_u16_sdwa s[16:17], v34, s9 src0_sel:BYTE_0 src1_sel:DWORD
	v_mov_b32_e32 v57, 0xffff8000
	s_and_saveexec_b64 s[14:15], s[16:17]
	s_cbranch_execz .LBB901_244
; %bb.241:                              ;   in Loop: Header=BB901_215 Depth=1
	v_and_b32_e32 v36, 0x7f, v34
	v_cmp_ne_u32_e32 vcc, s21, v36
	v_mov_b32_e32 v57, 0x7f80
	s_and_saveexec_b64 s[16:17], vcc
	s_cbranch_execz .LBB901_243
; %bb.242:                              ;   in Loop: Header=BB901_215 Depth=1
	v_and_b32_e32 v42, 7, v34
	v_ffbh_u32_e32 v57, v42
	v_min_u32_e32 v57, 32, v57
	v_subrev_u32_e32 v59, 28, v57
	v_lshlrev_b64 v[60:61], v59, v[34:35]
	v_lshrrev_b32_e32 v44, 3, v36
	v_sub_u32_e32 v57, 29, v57
	v_and_b32_e32 v59, 7, v60
	v_cmp_gt_u32_e32 vcc, 8, v36
	v_cndmask_b32_e32 v36, v44, v57, vcc
	v_cndmask_b32_e32 v42, v42, v59, vcc
	v_lshlrev_b32_e32 v44, 24, v34
	v_lshlrev_b32_e32 v42, 20, v42
	v_and_b32_e32 v44, 0x80000000, v44
	v_lshl_add_u32 v36, v36, 23, v55
	v_or3_b32 v36, v44, v36, v42
	v_lshrrev_b32_e32 v57, 16, v36
.LBB901_243:                            ;   in Loop: Header=BB901_215 Depth=1
	s_or_b64 exec, exec, s[16:17]
.LBB901_244:                            ;   in Loop: Header=BB901_215 Depth=1
	s_or_b64 exec, exec, s[14:15]
.LBB901_245:                            ;   in Loop: Header=BB901_215 Depth=1
	s_or_b64 exec, exec, s[12:13]
	v_lshrrev_b16_e32 v36, 8, v34
	v_cmp_ne_u16_e32 vcc, 0, v36
	v_mov_b32_e32 v59, 0
	v_mov_b32_e32 v42, 0
	s_and_saveexec_b64 s[12:13], vcc
	s_cbranch_execz .LBB901_251
; %bb.246:                              ;   in Loop: Header=BB901_215 Depth=1
	v_cmp_ne_u16_e32 vcc, s9, v36
	v_mov_b32_e32 v42, 0xffff8000
	s_and_saveexec_b64 s[14:15], vcc
	s_cbranch_execz .LBB901_250
; %bb.247:                              ;   in Loop: Header=BB901_215 Depth=1
	v_and_b32_e32 v44, 0x7f, v36
	v_cmp_ne_u32_e32 vcc, s21, v44
	v_mov_b32_e32 v42, 0x7f80
	s_and_saveexec_b64 s[16:17], vcc
	s_cbranch_execz .LBB901_249
; %bb.248:                              ;   in Loop: Header=BB901_215 Depth=1
	v_and_b32_e32 v42, 7, v36
	v_ffbh_u32_e32 v60, v42
	v_min_u32_e32 v63, 32, v60
	v_subrev_u32_e32 v60, 28, v63
	v_lshlrev_b64 v[60:61], v60, v[36:37]
	v_lshrrev_b32_e32 v62, 3, v44
	v_sub_u32_e32 v36, 29, v63
	v_and_b32_e32 v60, 7, v60
	v_cmp_gt_u32_e32 vcc, 8, v44
	v_cndmask_b32_e32 v36, v62, v36, vcc
	v_cndmask_b32_e32 v42, v42, v60, vcc
	v_lshlrev_b32_e32 v44, 16, v34
	v_lshlrev_b32_e32 v42, 20, v42
	v_and_b32_e32 v44, 0x80000000, v44
	v_lshl_add_u32 v36, v36, 23, v55
	v_or3_b32 v36, v44, v36, v42
	v_lshrrev_b32_e32 v42, 16, v36
.LBB901_249:                            ;   in Loop: Header=BB901_215 Depth=1
	s_or_b64 exec, exec, s[16:17]
.LBB901_250:                            ;   in Loop: Header=BB901_215 Depth=1
	s_or_b64 exec, exec, s[14:15]
.LBB901_251:                            ;   in Loop: Header=BB901_215 Depth=1
	s_or_b64 exec, exec, s[12:13]
	v_lshrrev_b32_e32 v36, 16, v34
	v_cmp_ne_u16_sdwa s[14:15], v36, v54 src0_sel:BYTE_0 src1_sel:DWORD
	s_and_saveexec_b64 s[12:13], s[14:15]
	s_cbranch_execz .LBB901_257
; %bb.252:                              ;   in Loop: Header=BB901_215 Depth=1
	v_cmp_ne_u16_sdwa s[16:17], v36, s9 src0_sel:BYTE_0 src1_sel:DWORD
	v_mov_b32_e32 v59, 0xffff8000
	s_and_saveexec_b64 s[14:15], s[16:17]
	s_cbranch_execz .LBB901_256
; %bb.253:                              ;   in Loop: Header=BB901_215 Depth=1
	v_bfe_u32 v44, v34, 16, 7
	v_cmp_ne_u32_e32 vcc, s21, v44
	v_mov_b32_e32 v59, 0x7f80
	s_and_saveexec_b64 s[16:17], vcc
	s_cbranch_execz .LBB901_255
; %bb.254:                              ;   in Loop: Header=BB901_215 Depth=1
	v_and_b32_e32 v59, 7, v36
	v_ffbh_u32_e32 v60, v59
	v_min_u32_e32 v63, 32, v60
	v_subrev_u32_e32 v60, 28, v63
	v_lshlrev_b64 v[60:61], v60, v[36:37]
	v_lshrrev_b32_e32 v62, 3, v44
	v_sub_u32_e32 v61, 29, v63
	v_and_b32_e32 v60, 7, v60
	v_cmp_gt_u32_e32 vcc, 8, v44
	v_cndmask_b32_e32 v44, v62, v61, vcc
	v_cndmask_b32_e32 v59, v59, v60, vcc
	v_lshlrev_b32_e32 v36, 24, v36
	v_lshlrev_b32_e32 v59, 20, v59
	v_and_b32_e32 v36, 0x80000000, v36
	v_lshl_add_u32 v44, v44, 23, v55
	v_or3_b32 v36, v36, v44, v59
	v_lshrrev_b32_e32 v59, 16, v36
.LBB901_255:                            ;   in Loop: Header=BB901_215 Depth=1
	s_or_b64 exec, exec, s[16:17]
.LBB901_256:                            ;   in Loop: Header=BB901_215 Depth=1
	s_or_b64 exec, exec, s[14:15]
.LBB901_257:                            ;   in Loop: Header=BB901_215 Depth=1
	s_or_b64 exec, exec, s[12:13]
	v_cmp_lt_u32_e32 vcc, s22, v34
	v_mov_b32_e32 v44, 0
	v_mov_b32_e32 v60, 0
	s_and_saveexec_b64 s[12:13], vcc
	s_cbranch_execz .LBB901_263
; %bb.258:                              ;   in Loop: Header=BB901_215 Depth=1
	v_lshrrev_b32_e32 v36, 24, v34
	v_cmp_ne_u32_e32 vcc, s9, v36
	v_mov_b32_e32 v60, 0xffff8000
	s_and_saveexec_b64 s[14:15], vcc
	s_cbranch_execz .LBB901_262
; %bb.259:                              ;   in Loop: Header=BB901_215 Depth=1
	v_bfe_u32 v34, v34, 24, 7
	v_cmp_ne_u32_e32 vcc, s21, v34
	v_mov_b32_e32 v60, 0x7f80
	s_and_saveexec_b64 s[16:17], vcc
	s_cbranch_execz .LBB901_261
; %bb.260:                              ;   in Loop: Header=BB901_215 Depth=1
	v_and_b32_e32 v62, 7, v36
	v_ffbh_u32_e32 v60, v62
	v_min_u32_e32 v64, 32, v60
	v_subrev_u32_e32 v60, 28, v64
	v_lshlrev_b64 v[60:61], v60, v[36:37]
	v_lshrrev_b32_e32 v63, 3, v34
	v_sub_u32_e32 v61, 29, v64
	v_and_b32_e32 v60, 7, v60
	v_cmp_gt_u32_e32 vcc, 8, v34
	v_cndmask_b32_e32 v34, v63, v61, vcc
	v_cndmask_b32_e32 v60, v62, v60, vcc
	v_lshlrev_b32_e32 v36, 24, v36
	v_lshlrev_b32_e32 v60, 20, v60
	v_and_b32_e32 v36, 0x80000000, v36
	v_lshl_add_u32 v34, v34, 23, v55
	v_or3_b32 v34, v36, v34, v60
	v_lshrrev_b32_e32 v60, 16, v34
.LBB901_261:                            ;   in Loop: Header=BB901_215 Depth=1
	s_or_b64 exec, exec, s[16:17]
.LBB901_262:                            ;   in Loop: Header=BB901_215 Depth=1
	s_or_b64 exec, exec, s[14:15]
.LBB901_263:                            ;   in Loop: Header=BB901_215 Depth=1
	s_or_b64 exec, exec, s[12:13]
	v_perm_b32 v63, v58, v56, s23
	v_perm_b32 v62, v37, v35, s23
	;; [unrolled: 1-line block ×4, first 2 shown]
	s_waitcnt vmcnt(1)
	v_cmp_ne_u16_sdwa s[14:15], v40, v54 src0_sel:BYTE_0 src1_sel:DWORD
	v_mfma_f32_16x16x16bf16_1k v[34:37], v[62:63], v[2:3], 0
	v_mfma_f32_16x16x16bf16_1k v[34:37], v[58:59], v[4:5], v[34:37]
	s_and_saveexec_b64 s[12:13], s[14:15]
	s_cbranch_execz .LBB901_269
; %bb.264:                              ;   in Loop: Header=BB901_215 Depth=1
	v_cmp_ne_u16_sdwa s[16:17], v40, s9 src0_sel:BYTE_0 src1_sel:DWORD
	v_mov_b32_e32 v44, 0xffff8000
	s_and_saveexec_b64 s[14:15], s[16:17]
	s_cbranch_execz .LBB901_268
; %bb.265:                              ;   in Loop: Header=BB901_215 Depth=1
	v_and_b32_e32 v42, 0x7f, v40
	v_cmp_ne_u32_e32 vcc, s21, v42
	v_mov_b32_e32 v44, 0x7f80
	s_and_saveexec_b64 s[16:17], vcc
	s_cbranch_execz .LBB901_267
; %bb.266:                              ;   in Loop: Header=BB901_215 Depth=1
	v_and_b32_e32 v44, 7, v40
	v_ffbh_u32_e32 v56, v44
	v_min_u32_e32 v59, 32, v56
	v_subrev_u32_e32 v56, 28, v59
	v_lshlrev_b64 v[56:57], v56, v[40:41]
	v_lshrrev_b32_e32 v58, 3, v42
	v_sub_u32_e32 v57, 29, v59
	v_and_b32_e32 v56, 7, v56
	v_cmp_gt_u32_e32 vcc, 8, v42
	v_cndmask_b32_e32 v42, v58, v57, vcc
	v_cndmask_b32_e32 v44, v44, v56, vcc
	v_lshlrev_b32_e32 v56, 24, v40
	v_lshlrev_b32_e32 v44, 20, v44
	v_and_b32_e32 v56, 0x80000000, v56
	v_lshl_add_u32 v42, v42, 23, v55
	v_or3_b32 v42, v56, v42, v44
	v_lshrrev_b32_e32 v44, 16, v42
.LBB901_267:                            ;   in Loop: Header=BB901_215 Depth=1
	s_or_b64 exec, exec, s[16:17]
.LBB901_268:                            ;   in Loop: Header=BB901_215 Depth=1
	s_or_b64 exec, exec, s[14:15]
.LBB901_269:                            ;   in Loop: Header=BB901_215 Depth=1
	s_or_b64 exec, exec, s[12:13]
	v_lshrrev_b16_e32 v42, 8, v40
	v_cmp_ne_u16_e32 vcc, 0, v42
	v_mov_b32_e32 v58, 0
	v_mov_b32_e32 v57, 0
	s_and_saveexec_b64 s[12:13], vcc
	s_cbranch_execz .LBB901_275
; %bb.270:                              ;   in Loop: Header=BB901_215 Depth=1
	v_cmp_ne_u16_e32 vcc, s9, v42
	v_mov_b32_e32 v57, 0xffff8000
	s_and_saveexec_b64 s[14:15], vcc
	s_cbranch_execz .LBB901_274
; %bb.271:                              ;   in Loop: Header=BB901_215 Depth=1
	v_and_b32_e32 v56, 0x7f, v42
	v_cmp_ne_u32_e32 vcc, s21, v56
	v_mov_b32_e32 v57, 0x7f80
	s_and_saveexec_b64 s[16:17], vcc
	s_cbranch_execz .LBB901_273
; %bb.272:                              ;   in Loop: Header=BB901_215 Depth=1
	v_and_b32_e32 v57, 7, v42
	v_ffbh_u32_e32 v60, v57
	v_min_u32_e32 v62, 32, v60
	v_subrev_u32_e32 v60, 28, v62
	v_lshlrev_b64 v[60:61], v60, v[42:43]
	v_lshrrev_b32_e32 v59, 3, v56
	v_sub_u32_e32 v42, 29, v62
	v_and_b32_e32 v60, 7, v60
	v_cmp_gt_u32_e32 vcc, 8, v56
	v_cndmask_b32_e32 v42, v59, v42, vcc
	v_cndmask_b32_e32 v56, v57, v60, vcc
	v_lshlrev_b32_e32 v57, 16, v40
	v_lshlrev_b32_e32 v56, 20, v56
	v_and_b32_e32 v57, 0x80000000, v57
	v_lshl_add_u32 v42, v42, 23, v55
	v_or3_b32 v42, v57, v42, v56
	v_lshrrev_b32_e32 v57, 16, v42
.LBB901_273:                            ;   in Loop: Header=BB901_215 Depth=1
	s_or_b64 exec, exec, s[16:17]
.LBB901_274:                            ;   in Loop: Header=BB901_215 Depth=1
	s_or_b64 exec, exec, s[14:15]
.LBB901_275:                            ;   in Loop: Header=BB901_215 Depth=1
	s_or_b64 exec, exec, s[12:13]
	v_lshrrev_b32_e32 v42, 16, v40
	v_cmp_ne_u16_sdwa s[14:15], v42, v54 src0_sel:BYTE_0 src1_sel:DWORD
	s_and_saveexec_b64 s[12:13], s[14:15]
	s_cbranch_execz .LBB901_281
; %bb.276:                              ;   in Loop: Header=BB901_215 Depth=1
	v_cmp_ne_u16_sdwa s[16:17], v42, s9 src0_sel:BYTE_0 src1_sel:DWORD
	v_mov_b32_e32 v58, 0xffff8000
	s_and_saveexec_b64 s[14:15], s[16:17]
	s_cbranch_execz .LBB901_280
; %bb.277:                              ;   in Loop: Header=BB901_215 Depth=1
	v_bfe_u32 v56, v40, 16, 7
	v_cmp_ne_u32_e32 vcc, s21, v56
	v_mov_b32_e32 v58, 0x7f80
	s_and_saveexec_b64 s[16:17], vcc
	s_cbranch_execz .LBB901_279
; %bb.278:                              ;   in Loop: Header=BB901_215 Depth=1
	v_and_b32_e32 v60, 7, v42
	v_ffbh_u32_e32 v58, v60
	v_min_u32_e32 v62, 32, v58
	v_subrev_u32_e32 v58, 28, v62
	v_lshlrev_b64 v[58:59], v58, v[42:43]
	v_lshrrev_b32_e32 v61, 3, v56
	v_sub_u32_e32 v59, 29, v62
	v_and_b32_e32 v58, 7, v58
	v_cmp_gt_u32_e32 vcc, 8, v56
	v_cndmask_b32_e32 v56, v61, v59, vcc
	v_cndmask_b32_e32 v58, v60, v58, vcc
	v_lshlrev_b32_e32 v42, 24, v42
	v_lshlrev_b32_e32 v58, 20, v58
	v_and_b32_e32 v42, 0x80000000, v42
	v_lshl_add_u32 v56, v56, 23, v55
	v_or3_b32 v42, v42, v56, v58
	v_lshrrev_b32_e32 v58, 16, v42
.LBB901_279:                            ;   in Loop: Header=BB901_215 Depth=1
	s_or_b64 exec, exec, s[16:17]
.LBB901_280:                            ;   in Loop: Header=BB901_215 Depth=1
	s_or_b64 exec, exec, s[14:15]
.LBB901_281:                            ;   in Loop: Header=BB901_215 Depth=1
	s_or_b64 exec, exec, s[12:13]
	v_cmp_lt_u32_e32 vcc, s22, v40
	v_mov_b32_e32 v59, 0
	v_mov_b32_e32 v60, 0
	s_and_saveexec_b64 s[12:13], vcc
	s_cbranch_execz .LBB901_287
; %bb.282:                              ;   in Loop: Header=BB901_215 Depth=1
	v_lshrrev_b32_e32 v42, 24, v40
	v_cmp_ne_u32_e32 vcc, s9, v42
	v_mov_b32_e32 v60, 0xffff8000
	s_and_saveexec_b64 s[14:15], vcc
	s_cbranch_execz .LBB901_286
; %bb.283:                              ;   in Loop: Header=BB901_215 Depth=1
	v_bfe_u32 v40, v40, 24, 7
	v_cmp_ne_u32_e32 vcc, s21, v40
	v_mov_b32_e32 v60, 0x7f80
	s_and_saveexec_b64 s[16:17], vcc
	s_cbranch_execz .LBB901_285
; %bb.284:                              ;   in Loop: Header=BB901_215 Depth=1
	v_and_b32_e32 v56, 7, v42
	v_ffbh_u32_e32 v60, v56
	v_min_u32_e32 v63, 32, v60
	v_subrev_u32_e32 v60, 28, v63
	v_lshlrev_b64 v[60:61], v60, v[42:43]
	v_lshrrev_b32_e32 v62, 3, v40
	v_sub_u32_e32 v61, 29, v63
	v_and_b32_e32 v60, 7, v60
	v_cmp_gt_u32_e32 vcc, 8, v40
	v_cndmask_b32_e32 v40, v62, v61, vcc
	v_cndmask_b32_e32 v56, v56, v60, vcc
	v_lshlrev_b32_e32 v42, 24, v42
	v_lshlrev_b32_e32 v56, 20, v56
	v_and_b32_e32 v42, 0x80000000, v42
	v_lshl_add_u32 v40, v40, 23, v55
	v_or3_b32 v40, v42, v40, v56
	v_lshrrev_b32_e32 v60, 16, v40
.LBB901_285:                            ;   in Loop: Header=BB901_215 Depth=1
	s_or_b64 exec, exec, s[16:17]
.LBB901_286:                            ;   in Loop: Header=BB901_215 Depth=1
	s_or_b64 exec, exec, s[14:15]
.LBB901_287:                            ;   in Loop: Header=BB901_215 Depth=1
	s_or_b64 exec, exec, s[12:13]
	s_waitcnt vmcnt(0)
	v_cmp_ne_u16_sdwa s[14:15], v38, v54 src0_sel:BYTE_0 src1_sel:DWORD
	s_and_saveexec_b64 s[12:13], s[14:15]
	s_cbranch_execz .LBB901_293
; %bb.288:                              ;   in Loop: Header=BB901_215 Depth=1
	v_cmp_ne_u16_sdwa s[16:17], v38, s9 src0_sel:BYTE_0 src1_sel:DWORD
	v_mov_b32_e32 v59, 0xffff8000
	s_and_saveexec_b64 s[14:15], s[16:17]
	s_cbranch_execz .LBB901_292
; %bb.289:                              ;   in Loop: Header=BB901_215 Depth=1
	v_and_b32_e32 v40, 0x7f, v38
	v_cmp_ne_u32_e32 vcc, s21, v40
	v_mov_b32_e32 v59, 0x7f80
	s_and_saveexec_b64 s[16:17], vcc
	s_cbranch_execz .LBB901_291
; %bb.290:                              ;   in Loop: Header=BB901_215 Depth=1
	v_and_b32_e32 v42, 7, v38
	v_ffbh_u32_e32 v59, v42
	v_min_u32_e32 v59, 32, v59
	v_subrev_u32_e32 v61, 28, v59
	v_lshlrev_b64 v[62:63], v61, v[38:39]
	v_lshrrev_b32_e32 v56, 3, v40
	v_sub_u32_e32 v59, 29, v59
	v_and_b32_e32 v61, 7, v62
	v_cmp_gt_u32_e32 vcc, 8, v40
	v_cndmask_b32_e32 v40, v56, v59, vcc
	v_cndmask_b32_e32 v42, v42, v61, vcc
	v_lshlrev_b32_e32 v56, 24, v38
	v_lshlrev_b32_e32 v42, 20, v42
	v_and_b32_e32 v56, 0x80000000, v56
	v_lshl_add_u32 v40, v40, 23, v55
	v_or3_b32 v40, v56, v40, v42
	v_lshrrev_b32_e32 v59, 16, v40
.LBB901_291:                            ;   in Loop: Header=BB901_215 Depth=1
	s_or_b64 exec, exec, s[16:17]
.LBB901_292:                            ;   in Loop: Header=BB901_215 Depth=1
	s_or_b64 exec, exec, s[14:15]
.LBB901_293:                            ;   in Loop: Header=BB901_215 Depth=1
	s_or_b64 exec, exec, s[12:13]
	v_lshrrev_b16_e32 v40, 8, v38
	v_cmp_ne_u16_e32 vcc, 0, v40
	v_mov_b32_e32 v62, 0
	v_mov_b32_e32 v61, 0
	s_and_saveexec_b64 s[12:13], vcc
	s_cbranch_execz .LBB901_299
; %bb.294:                              ;   in Loop: Header=BB901_215 Depth=1
	v_cmp_ne_u16_e32 vcc, s9, v40
	v_mov_b32_e32 v61, 0xffff8000
	s_and_saveexec_b64 s[14:15], vcc
	s_cbranch_execz .LBB901_298
; %bb.295:                              ;   in Loop: Header=BB901_215 Depth=1
	v_and_b32_e32 v42, 0x7f, v40
	v_cmp_ne_u32_e32 vcc, s21, v42
	v_mov_b32_e32 v61, 0x7f80
	s_and_saveexec_b64 s[16:17], vcc
	s_cbranch_execz .LBB901_297
; %bb.296:                              ;   in Loop: Header=BB901_215 Depth=1
	v_and_b32_e32 v56, 7, v40
	v_ffbh_u32_e32 v63, v56
	v_min_u32_e32 v63, 32, v63
	v_subrev_u32_e32 v64, 28, v63
	v_lshlrev_b64 v[64:65], v64, v[40:41]
	v_lshrrev_b32_e32 v61, 3, v42
	v_sub_u32_e32 v40, 29, v63
	v_and_b32_e32 v63, 7, v64
	v_cmp_gt_u32_e32 vcc, 8, v42
	v_cndmask_b32_e32 v40, v61, v40, vcc
	v_cndmask_b32_e32 v42, v56, v63, vcc
	v_lshlrev_b32_e32 v56, 16, v38
	v_lshlrev_b32_e32 v42, 20, v42
	v_and_b32_e32 v56, 0x80000000, v56
	v_lshl_add_u32 v40, v40, 23, v55
	v_or3_b32 v40, v56, v40, v42
	v_lshrrev_b32_e32 v61, 16, v40
.LBB901_297:                            ;   in Loop: Header=BB901_215 Depth=1
	s_or_b64 exec, exec, s[16:17]
.LBB901_298:                            ;   in Loop: Header=BB901_215 Depth=1
	s_or_b64 exec, exec, s[14:15]
.LBB901_299:                            ;   in Loop: Header=BB901_215 Depth=1
	s_or_b64 exec, exec, s[12:13]
	v_lshrrev_b32_e32 v40, 16, v38
	v_cmp_ne_u16_sdwa s[14:15], v40, v54 src0_sel:BYTE_0 src1_sel:DWORD
	s_and_saveexec_b64 s[12:13], s[14:15]
	s_cbranch_execz .LBB901_305
; %bb.300:                              ;   in Loop: Header=BB901_215 Depth=1
	v_cmp_ne_u16_sdwa s[16:17], v40, s9 src0_sel:BYTE_0 src1_sel:DWORD
	v_mov_b32_e32 v62, 0xffff8000
	s_and_saveexec_b64 s[14:15], s[16:17]
	s_cbranch_execz .LBB901_304
; %bb.301:                              ;   in Loop: Header=BB901_215 Depth=1
	v_bfe_u32 v42, v38, 16, 7
	v_cmp_ne_u32_e32 vcc, s21, v42
	v_mov_b32_e32 v62, 0x7f80
	s_and_saveexec_b64 s[16:17], vcc
	s_cbranch_execz .LBB901_303
; %bb.302:                              ;   in Loop: Header=BB901_215 Depth=1
	v_and_b32_e32 v56, 7, v40
	v_ffbh_u32_e32 v62, v56
	v_min_u32_e32 v65, 32, v62
	v_subrev_u32_e32 v62, 28, v65
	v_lshlrev_b64 v[62:63], v62, v[40:41]
	v_lshrrev_b32_e32 v64, 3, v42
	v_sub_u32_e32 v63, 29, v65
	v_and_b32_e32 v62, 7, v62
	v_cmp_gt_u32_e32 vcc, 8, v42
	v_cndmask_b32_e32 v42, v64, v63, vcc
	v_cndmask_b32_e32 v56, v56, v62, vcc
	v_lshlrev_b32_e32 v40, 24, v40
	v_lshlrev_b32_e32 v56, 20, v56
	v_and_b32_e32 v40, 0x80000000, v40
	v_lshl_add_u32 v42, v42, 23, v55
	v_or3_b32 v40, v40, v42, v56
	v_lshrrev_b32_e32 v62, 16, v40
.LBB901_303:                            ;   in Loop: Header=BB901_215 Depth=1
	s_or_b64 exec, exec, s[16:17]
.LBB901_304:                            ;   in Loop: Header=BB901_215 Depth=1
	s_or_b64 exec, exec, s[14:15]
.LBB901_305:                            ;   in Loop: Header=BB901_215 Depth=1
	s_or_b64 exec, exec, s[12:13]
	v_cmp_lt_u32_e32 vcc, s22, v38
	v_mov_b32_e32 v56, 0
	v_mov_b32_e32 v63, 0
	s_and_saveexec_b64 s[12:13], vcc
	s_cbranch_execz .LBB901_311
; %bb.306:                              ;   in Loop: Header=BB901_215 Depth=1
	v_lshrrev_b32_e32 v40, 24, v38
	v_cmp_ne_u32_e32 vcc, s9, v40
	v_mov_b32_e32 v63, 0xffff8000
	s_and_saveexec_b64 s[14:15], vcc
	s_cbranch_execz .LBB901_310
; %bb.307:                              ;   in Loop: Header=BB901_215 Depth=1
	v_bfe_u32 v38, v38, 24, 7
	v_cmp_ne_u32_e32 vcc, s21, v38
	v_mov_b32_e32 v63, 0x7f80
	s_and_saveexec_b64 s[16:17], vcc
	s_cbranch_execz .LBB901_309
; %bb.308:                              ;   in Loop: Header=BB901_215 Depth=1
	v_and_b32_e32 v42, 7, v40
	v_ffbh_u32_e32 v64, v42
	v_min_u32_e32 v66, 32, v64
	v_subrev_u32_e32 v64, 28, v66
	v_lshlrev_b64 v[64:65], v64, v[40:41]
	v_lshrrev_b32_e32 v63, 3, v38
	v_sub_u32_e32 v65, 29, v66
	v_and_b32_e32 v64, 7, v64
	v_cmp_gt_u32_e32 vcc, 8, v38
	v_cndmask_b32_e32 v38, v63, v65, vcc
	v_cndmask_b32_e32 v42, v42, v64, vcc
	v_lshlrev_b32_e32 v40, 24, v40
	v_lshlrev_b32_e32 v42, 20, v42
	v_and_b32_e32 v40, 0x80000000, v40
	v_lshl_add_u32 v38, v38, 23, v55
	v_or3_b32 v38, v40, v38, v42
	v_lshrrev_b32_e32 v63, 16, v38
.LBB901_309:                            ;   in Loop: Header=BB901_215 Depth=1
	s_or_b64 exec, exec, s[16:17]
.LBB901_310:                            ;   in Loop: Header=BB901_215 Depth=1
	s_or_b64 exec, exec, s[14:15]
.LBB901_311:                            ;   in Loop: Header=BB901_215 Depth=1
	s_or_b64 exec, exec, s[12:13]
	v_perm_b32 v64, v57, v44, s23
	buffer_load_dword v44, v46, s[0:3], 0 offen
	buffer_load_dword v42, v46, s[0:3], 0 offen offset:4
	buffer_load_dword v40, v46, s[0:3], 0 offen offset:8
	buffer_load_dword v38, v46, s[0:3], 0 offen offset:12
	v_perm_b32 v65, v60, v58, s23
	v_perm_b32 v63, v63, v62, s23
	;; [unrolled: 1-line block ×3, first 2 shown]
	v_mfma_f32_16x16x16bf16_1k v[34:37], v[64:65], v[6:7], v[34:37]
	s_waitcnt vmcnt(3)
	v_cmp_ne_u16_sdwa s[14:15], v44, v54 src0_sel:BYTE_0 src1_sel:DWORD
	v_mfma_f32_16x16x16bf16_1k v[34:37], v[62:63], v[8:9], v[34:37]
	s_and_saveexec_b64 s[12:13], s[14:15]
	s_cbranch_execz .LBB901_317
; %bb.312:                              ;   in Loop: Header=BB901_215 Depth=1
	v_cmp_ne_u16_sdwa s[16:17], v44, s9 src0_sel:BYTE_0 src1_sel:DWORD
	v_mov_b32_e32 v56, 0xffff8000
	s_and_saveexec_b64 s[14:15], s[16:17]
	s_cbranch_execz .LBB901_316
; %bb.313:                              ;   in Loop: Header=BB901_215 Depth=1
	v_and_b32_e32 v46, 0x7f, v44
	v_cmp_ne_u32_e32 vcc, s21, v46
	v_mov_b32_e32 v56, 0x7f80
	s_and_saveexec_b64 s[16:17], vcc
	s_cbranch_execz .LBB901_315
; %bb.314:                              ;   in Loop: Header=BB901_215 Depth=1
	v_and_b32_e32 v58, 7, v44
	v_ffbh_u32_e32 v56, v58
	v_min_u32_e32 v60, 32, v56
	v_subrev_u32_e32 v56, 28, v60
	v_lshlrev_b64 v[56:57], v56, v[44:45]
	v_lshrrev_b32_e32 v59, 3, v46
	v_sub_u32_e32 v57, 29, v60
	v_and_b32_e32 v56, 7, v56
	v_cmp_gt_u32_e32 vcc, 8, v46
	v_cndmask_b32_e32 v46, v59, v57, vcc
	v_cndmask_b32_e32 v56, v58, v56, vcc
	v_lshlrev_b32_e32 v57, 24, v44
	v_lshlrev_b32_e32 v56, 20, v56
	v_and_b32_e32 v57, 0x80000000, v57
	v_lshl_add_u32 v46, v46, 23, v55
	v_or3_b32 v46, v57, v46, v56
	v_lshrrev_b32_e32 v56, 16, v46
.LBB901_315:                            ;   in Loop: Header=BB901_215 Depth=1
	s_or_b64 exec, exec, s[16:17]
.LBB901_316:                            ;   in Loop: Header=BB901_215 Depth=1
	s_or_b64 exec, exec, s[14:15]
.LBB901_317:                            ;   in Loop: Header=BB901_215 Depth=1
	s_or_b64 exec, exec, s[12:13]
	v_lshrrev_b16_e32 v46, 8, v44
	v_cmp_ne_u16_e32 vcc, 0, v46
	v_mov_b32_e32 v58, 0
	v_mov_b32_e32 v57, 0
	s_and_saveexec_b64 s[12:13], vcc
	s_cbranch_execz .LBB901_323
; %bb.318:                              ;   in Loop: Header=BB901_215 Depth=1
	v_cmp_ne_u16_e32 vcc, s9, v46
	v_mov_b32_e32 v57, 0xffff8000
	s_and_saveexec_b64 s[14:15], vcc
	s_cbranch_execz .LBB901_322
; %bb.319:                              ;   in Loop: Header=BB901_215 Depth=1
	v_and_b32_e32 v59, 0x7f, v46
	v_cmp_ne_u32_e32 vcc, s21, v59
	v_mov_b32_e32 v57, 0x7f80
	s_and_saveexec_b64 s[16:17], vcc
	s_cbranch_execz .LBB901_321
; %bb.320:                              ;   in Loop: Header=BB901_215 Depth=1
	v_and_b32_e32 v57, 7, v46
	v_ffbh_u32_e32 v60, v57
	v_min_u32_e32 v63, 32, v60
	v_subrev_u32_e32 v60, 28, v63
	v_lshlrev_b64 v[60:61], v60, v[46:47]
	v_lshrrev_b32_e32 v62, 3, v59
	v_sub_u32_e32 v46, 29, v63
	v_and_b32_e32 v60, 7, v60
	v_cmp_gt_u32_e32 vcc, 8, v59
	v_cndmask_b32_e32 v46, v62, v46, vcc
	v_cndmask_b32_e32 v57, v57, v60, vcc
	v_lshlrev_b32_e32 v59, 16, v44
	v_lshlrev_b32_e32 v57, 20, v57
	v_and_b32_e32 v59, 0x80000000, v59
	v_lshl_add_u32 v46, v46, 23, v55
	v_or3_b32 v46, v59, v46, v57
	v_lshrrev_b32_e32 v57, 16, v46
.LBB901_321:                            ;   in Loop: Header=BB901_215 Depth=1
	s_or_b64 exec, exec, s[16:17]
.LBB901_322:                            ;   in Loop: Header=BB901_215 Depth=1
	s_or_b64 exec, exec, s[14:15]
.LBB901_323:                            ;   in Loop: Header=BB901_215 Depth=1
	s_or_b64 exec, exec, s[12:13]
	v_lshrrev_b32_e32 v46, 16, v44
	v_cmp_ne_u16_sdwa s[14:15], v46, v54 src0_sel:BYTE_0 src1_sel:DWORD
	s_and_saveexec_b64 s[12:13], s[14:15]
	s_cbranch_execz .LBB901_329
; %bb.324:                              ;   in Loop: Header=BB901_215 Depth=1
	v_cmp_ne_u16_sdwa s[16:17], v46, s9 src0_sel:BYTE_0 src1_sel:DWORD
	v_mov_b32_e32 v58, 0xffff8000
	s_and_saveexec_b64 s[14:15], s[16:17]
	s_cbranch_execz .LBB901_328
; %bb.325:                              ;   in Loop: Header=BB901_215 Depth=1
	v_bfe_u32 v59, v44, 16, 7
	v_cmp_ne_u32_e32 vcc, s21, v59
	v_mov_b32_e32 v58, 0x7f80
	s_and_saveexec_b64 s[16:17], vcc
	s_cbranch_execz .LBB901_327
; %bb.326:                              ;   in Loop: Header=BB901_215 Depth=1
	v_and_b32_e32 v58, 7, v46
	v_ffbh_u32_e32 v60, v58
	v_min_u32_e32 v63, 32, v60
	v_subrev_u32_e32 v60, 28, v63
	v_lshlrev_b64 v[60:61], v60, v[46:47]
	v_lshrrev_b32_e32 v62, 3, v59
	v_sub_u32_e32 v61, 29, v63
	v_and_b32_e32 v60, 7, v60
	v_cmp_gt_u32_e32 vcc, 8, v59
	v_cndmask_b32_e32 v59, v62, v61, vcc
	v_cndmask_b32_e32 v58, v58, v60, vcc
	v_lshlrev_b32_e32 v46, 24, v46
	v_lshlrev_b32_e32 v58, 20, v58
	v_and_b32_e32 v46, 0x80000000, v46
	v_lshl_add_u32 v59, v59, 23, v55
	v_or3_b32 v46, v46, v59, v58
	v_lshrrev_b32_e32 v58, 16, v46
.LBB901_327:                            ;   in Loop: Header=BB901_215 Depth=1
	s_or_b64 exec, exec, s[16:17]
.LBB901_328:                            ;   in Loop: Header=BB901_215 Depth=1
	s_or_b64 exec, exec, s[14:15]
.LBB901_329:                            ;   in Loop: Header=BB901_215 Depth=1
	s_or_b64 exec, exec, s[12:13]
	v_cmp_lt_u32_e32 vcc, s22, v44
	v_mov_b32_e32 v59, 0
	v_mov_b32_e32 v60, 0
	s_and_saveexec_b64 s[12:13], vcc
	s_cbranch_execz .LBB901_335
; %bb.330:                              ;   in Loop: Header=BB901_215 Depth=1
	v_lshrrev_b32_e32 v46, 24, v44
	v_cmp_ne_u32_e32 vcc, s9, v46
	v_mov_b32_e32 v60, 0xffff8000
	s_and_saveexec_b64 s[14:15], vcc
	s_cbranch_execz .LBB901_334
; %bb.331:                              ;   in Loop: Header=BB901_215 Depth=1
	v_bfe_u32 v44, v44, 24, 7
	v_cmp_ne_u32_e32 vcc, s21, v44
	v_mov_b32_e32 v60, 0x7f80
	s_and_saveexec_b64 s[16:17], vcc
	s_cbranch_execz .LBB901_333
; %bb.332:                              ;   in Loop: Header=BB901_215 Depth=1
	v_and_b32_e32 v62, 7, v46
	v_ffbh_u32_e32 v60, v62
	v_min_u32_e32 v64, 32, v60
	v_subrev_u32_e32 v60, 28, v64
	v_lshlrev_b64 v[60:61], v60, v[46:47]
	v_lshrrev_b32_e32 v63, 3, v44
	v_sub_u32_e32 v61, 29, v64
	v_and_b32_e32 v60, 7, v60
	v_cmp_gt_u32_e32 vcc, 8, v44
	v_cndmask_b32_e32 v44, v63, v61, vcc
	v_cndmask_b32_e32 v60, v62, v60, vcc
	v_lshlrev_b32_e32 v46, 24, v46
	v_lshlrev_b32_e32 v60, 20, v60
	v_and_b32_e32 v46, 0x80000000, v46
	v_lshl_add_u32 v44, v44, 23, v55
	v_or3_b32 v44, v46, v44, v60
	v_lshrrev_b32_e32 v60, 16, v44
.LBB901_333:                            ;   in Loop: Header=BB901_215 Depth=1
	s_or_b64 exec, exec, s[16:17]
.LBB901_334:                            ;   in Loop: Header=BB901_215 Depth=1
	s_or_b64 exec, exec, s[14:15]
.LBB901_335:                            ;   in Loop: Header=BB901_215 Depth=1
	s_or_b64 exec, exec, s[12:13]
	s_waitcnt vmcnt(2)
	v_cmp_ne_u16_sdwa s[14:15], v42, v54 src0_sel:BYTE_0 src1_sel:DWORD
	s_and_saveexec_b64 s[12:13], s[14:15]
	s_cbranch_execz .LBB901_341
; %bb.336:                              ;   in Loop: Header=BB901_215 Depth=1
	v_cmp_ne_u16_sdwa s[16:17], v42, s9 src0_sel:BYTE_0 src1_sel:DWORD
	v_mov_b32_e32 v59, 0xffff8000
	s_and_saveexec_b64 s[14:15], s[16:17]
	s_cbranch_execz .LBB901_340
; %bb.337:                              ;   in Loop: Header=BB901_215 Depth=1
	v_and_b32_e32 v44, 0x7f, v42
	v_cmp_ne_u32_e32 vcc, s21, v44
	v_mov_b32_e32 v59, 0x7f80
	s_and_saveexec_b64 s[16:17], vcc
	s_cbranch_execz .LBB901_339
; %bb.338:                              ;   in Loop: Header=BB901_215 Depth=1
	v_and_b32_e32 v46, 7, v42
	v_ffbh_u32_e32 v61, v46
	v_min_u32_e32 v61, 32, v61
	v_subrev_u32_e32 v62, 28, v61
	v_lshlrev_b64 v[62:63], v62, v[42:43]
	v_lshrrev_b32_e32 v59, 3, v44
	v_sub_u32_e32 v61, 29, v61
	v_and_b32_e32 v62, 7, v62
	v_cmp_gt_u32_e32 vcc, 8, v44
	v_cndmask_b32_e32 v44, v59, v61, vcc
	v_cndmask_b32_e32 v46, v46, v62, vcc
	v_lshlrev_b32_e32 v59, 24, v42
	v_lshlrev_b32_e32 v46, 20, v46
	v_and_b32_e32 v59, 0x80000000, v59
	v_lshl_add_u32 v44, v44, 23, v55
	v_or3_b32 v44, v59, v44, v46
	v_lshrrev_b32_e32 v59, 16, v44
.LBB901_339:                            ;   in Loop: Header=BB901_215 Depth=1
	s_or_b64 exec, exec, s[16:17]
.LBB901_340:                            ;   in Loop: Header=BB901_215 Depth=1
	s_or_b64 exec, exec, s[14:15]
.LBB901_341:                            ;   in Loop: Header=BB901_215 Depth=1
	s_or_b64 exec, exec, s[12:13]
	v_lshrrev_b16_e32 v44, 8, v42
	v_cmp_ne_u16_e32 vcc, 0, v44
	v_mov_b32_e32 v62, 0
	v_mov_b32_e32 v61, 0
	s_and_saveexec_b64 s[12:13], vcc
	s_cbranch_execz .LBB901_347
; %bb.342:                              ;   in Loop: Header=BB901_215 Depth=1
	v_cmp_ne_u16_e32 vcc, s9, v44
	v_mov_b32_e32 v61, 0xffff8000
	s_and_saveexec_b64 s[14:15], vcc
	s_cbranch_execz .LBB901_346
; %bb.343:                              ;   in Loop: Header=BB901_215 Depth=1
	v_and_b32_e32 v46, 0x7f, v44
	v_cmp_ne_u32_e32 vcc, s21, v46
	v_mov_b32_e32 v61, 0x7f80
	s_and_saveexec_b64 s[16:17], vcc
	s_cbranch_execz .LBB901_345
; %bb.344:                              ;   in Loop: Header=BB901_215 Depth=1
	v_and_b32_e32 v61, 7, v44
	v_ffbh_u32_e32 v64, v61
	v_min_u32_e32 v66, 32, v64
	v_subrev_u32_e32 v64, 28, v66
	v_lshlrev_b64 v[64:65], v64, v[44:45]
	v_lshrrev_b32_e32 v63, 3, v46
	v_sub_u32_e32 v44, 29, v66
	v_and_b32_e32 v64, 7, v64
	v_cmp_gt_u32_e32 vcc, 8, v46
	v_cndmask_b32_e32 v44, v63, v44, vcc
	v_cndmask_b32_e32 v46, v61, v64, vcc
	v_lshlrev_b32_e32 v61, 16, v42
	v_lshlrev_b32_e32 v46, 20, v46
	v_and_b32_e32 v61, 0x80000000, v61
	v_lshl_add_u32 v44, v44, 23, v55
	v_or3_b32 v44, v61, v44, v46
	v_lshrrev_b32_e32 v61, 16, v44
.LBB901_345:                            ;   in Loop: Header=BB901_215 Depth=1
	s_or_b64 exec, exec, s[16:17]
.LBB901_346:                            ;   in Loop: Header=BB901_215 Depth=1
	s_or_b64 exec, exec, s[14:15]
.LBB901_347:                            ;   in Loop: Header=BB901_215 Depth=1
	s_or_b64 exec, exec, s[12:13]
	v_lshrrev_b32_e32 v44, 16, v42
	v_cmp_ne_u16_sdwa s[14:15], v44, v54 src0_sel:BYTE_0 src1_sel:DWORD
	s_and_saveexec_b64 s[12:13], s[14:15]
	s_cbranch_execz .LBB901_353
; %bb.348:                              ;   in Loop: Header=BB901_215 Depth=1
	v_cmp_ne_u16_sdwa s[16:17], v44, s9 src0_sel:BYTE_0 src1_sel:DWORD
	v_mov_b32_e32 v62, 0xffff8000
	s_and_saveexec_b64 s[14:15], s[16:17]
	s_cbranch_execz .LBB901_352
; %bb.349:                              ;   in Loop: Header=BB901_215 Depth=1
	v_bfe_u32 v46, v42, 16, 7
	v_cmp_ne_u32_e32 vcc, s21, v46
	v_mov_b32_e32 v62, 0x7f80
	s_and_saveexec_b64 s[16:17], vcc
	s_cbranch_execz .LBB901_351
; %bb.350:                              ;   in Loop: Header=BB901_215 Depth=1
	v_and_b32_e32 v64, 7, v44
	v_ffbh_u32_e32 v62, v64
	v_min_u32_e32 v66, 32, v62
	v_subrev_u32_e32 v62, 28, v66
	v_lshlrev_b64 v[62:63], v62, v[44:45]
	v_lshrrev_b32_e32 v65, 3, v46
	v_sub_u32_e32 v63, 29, v66
	v_and_b32_e32 v62, 7, v62
	v_cmp_gt_u32_e32 vcc, 8, v46
	v_cndmask_b32_e32 v46, v65, v63, vcc
	v_cndmask_b32_e32 v62, v64, v62, vcc
	v_lshlrev_b32_e32 v44, 24, v44
	v_lshlrev_b32_e32 v62, 20, v62
	v_and_b32_e32 v44, 0x80000000, v44
	v_lshl_add_u32 v46, v46, 23, v55
	v_or3_b32 v44, v44, v46, v62
	v_lshrrev_b32_e32 v62, 16, v44
.LBB901_351:                            ;   in Loop: Header=BB901_215 Depth=1
	s_or_b64 exec, exec, s[16:17]
.LBB901_352:                            ;   in Loop: Header=BB901_215 Depth=1
	s_or_b64 exec, exec, s[14:15]
.LBB901_353:                            ;   in Loop: Header=BB901_215 Depth=1
	s_or_b64 exec, exec, s[12:13]
	v_cmp_lt_u32_e32 vcc, s22, v42
	v_mov_b32_e32 v46, 0
	v_mov_b32_e32 v63, 0
	s_and_saveexec_b64 s[12:13], vcc
	s_cbranch_execz .LBB901_359
; %bb.354:                              ;   in Loop: Header=BB901_215 Depth=1
	v_lshrrev_b32_e32 v44, 24, v42
	v_cmp_ne_u32_e32 vcc, s9, v44
	v_mov_b32_e32 v63, 0xffff8000
	s_and_saveexec_b64 s[14:15], vcc
	s_cbranch_execz .LBB901_358
; %bb.355:                              ;   in Loop: Header=BB901_215 Depth=1
	v_bfe_u32 v42, v42, 24, 7
	v_cmp_ne_u32_e32 vcc, s21, v42
	v_mov_b32_e32 v63, 0x7f80
	s_and_saveexec_b64 s[16:17], vcc
	s_cbranch_execz .LBB901_357
; %bb.356:                              ;   in Loop: Header=BB901_215 Depth=1
	v_and_b32_e32 v63, 7, v44
	v_ffbh_u32_e32 v64, v63
	v_min_u32_e32 v67, 32, v64
	v_subrev_u32_e32 v64, 28, v67
	v_lshlrev_b64 v[64:65], v64, v[44:45]
	v_lshrrev_b32_e32 v66, 3, v42
	v_sub_u32_e32 v65, 29, v67
	v_and_b32_e32 v64, 7, v64
	v_cmp_gt_u32_e32 vcc, 8, v42
	v_cndmask_b32_e32 v42, v66, v65, vcc
	v_cndmask_b32_e32 v63, v63, v64, vcc
	v_lshlrev_b32_e32 v44, 24, v44
	v_lshlrev_b32_e32 v63, 20, v63
	v_and_b32_e32 v44, 0x80000000, v44
	v_lshl_add_u32 v42, v42, 23, v55
	v_or3_b32 v42, v44, v42, v63
	v_lshrrev_b32_e32 v63, 16, v42
.LBB901_357:                            ;   in Loop: Header=BB901_215 Depth=1
	s_or_b64 exec, exec, s[16:17]
.LBB901_358:                            ;   in Loop: Header=BB901_215 Depth=1
	s_or_b64 exec, exec, s[14:15]
.LBB901_359:                            ;   in Loop: Header=BB901_215 Depth=1
	s_or_b64 exec, exec, s[12:13]
	v_perm_b32 v65, v60, v58, s23
	v_perm_b32 v64, v57, v56, s23
	;; [unrolled: 1-line block ×4, first 2 shown]
	s_waitcnt vmcnt(1)
	v_cmp_ne_u16_sdwa s[14:15], v40, v54 src0_sel:BYTE_0 src1_sel:DWORD
	v_mfma_f32_16x16x16bf16_1k v[34:37], v[64:65], v[10:11], v[34:37]
	v_mfma_f32_16x16x16bf16_1k v[34:37], v[56:57], v[12:13], v[34:37]
	s_and_saveexec_b64 s[12:13], s[14:15]
	s_cbranch_execz .LBB901_365
; %bb.360:                              ;   in Loop: Header=BB901_215 Depth=1
	v_cmp_ne_u16_sdwa s[16:17], v40, s9 src0_sel:BYTE_0 src1_sel:DWORD
	v_mov_b32_e32 v46, 0xffff8000
	s_and_saveexec_b64 s[14:15], s[16:17]
	s_cbranch_execz .LBB901_364
; %bb.361:                              ;   in Loop: Header=BB901_215 Depth=1
	v_and_b32_e32 v42, 0x7f, v40
	v_cmp_ne_u32_e32 vcc, s21, v42
	v_mov_b32_e32 v46, 0x7f80
	s_and_saveexec_b64 s[16:17], vcc
	s_cbranch_execz .LBB901_363
; %bb.362:                              ;   in Loop: Header=BB901_215 Depth=1
	v_and_b32_e32 v44, 7, v40
	v_ffbh_u32_e32 v56, v44
	v_min_u32_e32 v58, 32, v56
	v_subrev_u32_e32 v56, 28, v58
	v_lshlrev_b64 v[56:57], v56, v[40:41]
	v_lshrrev_b32_e32 v46, 3, v42
	v_sub_u32_e32 v57, 29, v58
	v_and_b32_e32 v56, 7, v56
	v_cmp_gt_u32_e32 vcc, 8, v42
	v_cndmask_b32_e32 v42, v46, v57, vcc
	v_cndmask_b32_e32 v44, v44, v56, vcc
	v_lshlrev_b32_e32 v46, 24, v40
	v_lshlrev_b32_e32 v44, 20, v44
	v_and_b32_e32 v46, 0x80000000, v46
	v_lshl_add_u32 v42, v42, 23, v55
	v_or3_b32 v42, v46, v42, v44
	v_lshrrev_b32_e32 v46, 16, v42
.LBB901_363:                            ;   in Loop: Header=BB901_215 Depth=1
	s_or_b64 exec, exec, s[16:17]
.LBB901_364:                            ;   in Loop: Header=BB901_215 Depth=1
	s_or_b64 exec, exec, s[14:15]
.LBB901_365:                            ;   in Loop: Header=BB901_215 Depth=1
	s_or_b64 exec, exec, s[12:13]
	v_lshrrev_b16_e32 v42, 8, v40
	v_cmp_ne_u16_e32 vcc, 0, v42
	v_mov_b32_e32 v57, 0
	v_mov_b32_e32 v44, 0
	s_and_saveexec_b64 s[12:13], vcc
	s_cbranch_execz .LBB901_371
; %bb.366:                              ;   in Loop: Header=BB901_215 Depth=1
	v_cmp_ne_u16_e32 vcc, s9, v42
	v_mov_b32_e32 v44, 0xffff8000
	s_and_saveexec_b64 s[14:15], vcc
	s_cbranch_execz .LBB901_370
; %bb.367:                              ;   in Loop: Header=BB901_215 Depth=1
	v_and_b32_e32 v56, 0x7f, v42
	v_cmp_ne_u32_e32 vcc, s21, v56
	v_mov_b32_e32 v44, 0x7f80
	s_and_saveexec_b64 s[16:17], vcc
	s_cbranch_execz .LBB901_369
; %bb.368:                              ;   in Loop: Header=BB901_215 Depth=1
	v_and_b32_e32 v44, 7, v42
	v_ffbh_u32_e32 v58, v44
	v_min_u32_e32 v61, 32, v58
	v_subrev_u32_e32 v58, 28, v61
	v_lshlrev_b64 v[58:59], v58, v[42:43]
	v_lshrrev_b32_e32 v60, 3, v56
	v_sub_u32_e32 v42, 29, v61
	v_and_b32_e32 v58, 7, v58
	v_cmp_gt_u32_e32 vcc, 8, v56
	v_cndmask_b32_e32 v42, v60, v42, vcc
	v_cndmask_b32_e32 v44, v44, v58, vcc
	v_lshlrev_b32_e32 v56, 16, v40
	v_lshlrev_b32_e32 v44, 20, v44
	v_and_b32_e32 v56, 0x80000000, v56
	v_lshl_add_u32 v42, v42, 23, v55
	v_or3_b32 v42, v56, v42, v44
	v_lshrrev_b32_e32 v44, 16, v42
.LBB901_369:                            ;   in Loop: Header=BB901_215 Depth=1
	s_or_b64 exec, exec, s[16:17]
.LBB901_370:                            ;   in Loop: Header=BB901_215 Depth=1
	s_or_b64 exec, exec, s[14:15]
.LBB901_371:                            ;   in Loop: Header=BB901_215 Depth=1
	s_or_b64 exec, exec, s[12:13]
	v_lshrrev_b32_e32 v42, 16, v40
	v_cmp_ne_u16_sdwa s[14:15], v42, v54 src0_sel:BYTE_0 src1_sel:DWORD
	s_and_saveexec_b64 s[12:13], s[14:15]
	s_cbranch_execz .LBB901_377
; %bb.372:                              ;   in Loop: Header=BB901_215 Depth=1
	v_cmp_ne_u16_sdwa s[16:17], v42, s9 src0_sel:BYTE_0 src1_sel:DWORD
	v_mov_b32_e32 v57, 0xffff8000
	s_and_saveexec_b64 s[14:15], s[16:17]
	s_cbranch_execz .LBB901_376
; %bb.373:                              ;   in Loop: Header=BB901_215 Depth=1
	v_bfe_u32 v56, v40, 16, 7
	v_cmp_ne_u32_e32 vcc, s21, v56
	v_mov_b32_e32 v57, 0x7f80
	s_and_saveexec_b64 s[16:17], vcc
	s_cbranch_execz .LBB901_375
; %bb.374:                              ;   in Loop: Header=BB901_215 Depth=1
	v_and_b32_e32 v57, 7, v42
	v_ffbh_u32_e32 v58, v57
	v_min_u32_e32 v61, 32, v58
	v_subrev_u32_e32 v58, 28, v61
	v_lshlrev_b64 v[58:59], v58, v[42:43]
	v_lshrrev_b32_e32 v60, 3, v56
	v_sub_u32_e32 v59, 29, v61
	v_and_b32_e32 v58, 7, v58
	v_cmp_gt_u32_e32 vcc, 8, v56
	v_cndmask_b32_e32 v56, v60, v59, vcc
	v_cndmask_b32_e32 v57, v57, v58, vcc
	v_lshlrev_b32_e32 v42, 24, v42
	v_lshlrev_b32_e32 v57, 20, v57
	v_and_b32_e32 v42, 0x80000000, v42
	v_lshl_add_u32 v56, v56, 23, v55
	v_or3_b32 v42, v42, v56, v57
	v_lshrrev_b32_e32 v57, 16, v42
.LBB901_375:                            ;   in Loop: Header=BB901_215 Depth=1
	s_or_b64 exec, exec, s[16:17]
.LBB901_376:                            ;   in Loop: Header=BB901_215 Depth=1
	s_or_b64 exec, exec, s[14:15]
.LBB901_377:                            ;   in Loop: Header=BB901_215 Depth=1
	s_or_b64 exec, exec, s[12:13]
	v_cmp_lt_u32_e32 vcc, s22, v40
	v_mov_b32_e32 v58, 0
	v_mov_b32_e32 v59, 0
	s_and_saveexec_b64 s[12:13], vcc
	s_cbranch_execz .LBB901_383
; %bb.378:                              ;   in Loop: Header=BB901_215 Depth=1
	v_lshrrev_b32_e32 v42, 24, v40
	v_cmp_ne_u32_e32 vcc, s9, v42
	v_mov_b32_e32 v59, 0xffff8000
	s_and_saveexec_b64 s[14:15], vcc
	s_cbranch_execz .LBB901_382
; %bb.379:                              ;   in Loop: Header=BB901_215 Depth=1
	v_bfe_u32 v40, v40, 24, 7
	v_cmp_ne_u32_e32 vcc, s21, v40
	v_mov_b32_e32 v59, 0x7f80
	s_and_saveexec_b64 s[16:17], vcc
	s_cbranch_execz .LBB901_381
; %bb.380:                              ;   in Loop: Header=BB901_215 Depth=1
	v_and_b32_e32 v56, 7, v42
	v_ffbh_u32_e32 v60, v56
	v_min_u32_e32 v62, 32, v60
	v_subrev_u32_e32 v60, 28, v62
	v_lshlrev_b64 v[60:61], v60, v[42:43]
	v_lshrrev_b32_e32 v59, 3, v40
	v_sub_u32_e32 v61, 29, v62
	v_and_b32_e32 v60, 7, v60
	v_cmp_gt_u32_e32 vcc, 8, v40
	v_cndmask_b32_e32 v40, v59, v61, vcc
	v_cndmask_b32_e32 v56, v56, v60, vcc
	v_lshlrev_b32_e32 v42, 24, v42
	v_lshlrev_b32_e32 v56, 20, v56
	v_and_b32_e32 v42, 0x80000000, v42
	v_lshl_add_u32 v40, v40, 23, v55
	v_or3_b32 v40, v42, v40, v56
	v_lshrrev_b32_e32 v59, 16, v40
.LBB901_381:                            ;   in Loop: Header=BB901_215 Depth=1
	s_or_b64 exec, exec, s[16:17]
.LBB901_382:                            ;   in Loop: Header=BB901_215 Depth=1
	s_or_b64 exec, exec, s[14:15]
.LBB901_383:                            ;   in Loop: Header=BB901_215 Depth=1
	s_or_b64 exec, exec, s[12:13]
	s_waitcnt vmcnt(0)
	v_cmp_ne_u16_sdwa s[14:15], v38, v54 src0_sel:BYTE_0 src1_sel:DWORD
	s_and_saveexec_b64 s[12:13], s[14:15]
	s_cbranch_execz .LBB901_389
; %bb.384:                              ;   in Loop: Header=BB901_215 Depth=1
	v_cmp_ne_u16_sdwa s[16:17], v38, s9 src0_sel:BYTE_0 src1_sel:DWORD
	v_mov_b32_e32 v58, 0xffff8000
	s_and_saveexec_b64 s[14:15], s[16:17]
	s_cbranch_execz .LBB901_388
; %bb.385:                              ;   in Loop: Header=BB901_215 Depth=1
	v_and_b32_e32 v40, 0x7f, v38
	v_cmp_ne_u32_e32 vcc, s21, v40
	v_mov_b32_e32 v58, 0x7f80
	s_and_saveexec_b64 s[16:17], vcc
	s_cbranch_execz .LBB901_387
; %bb.386:                              ;   in Loop: Header=BB901_215 Depth=1
	v_and_b32_e32 v42, 7, v38
	v_ffbh_u32_e32 v58, v42
	v_min_u32_e32 v58, 32, v58
	v_subrev_u32_e32 v60, 28, v58
	v_lshlrev_b64 v[60:61], v60, v[38:39]
	v_lshrrev_b32_e32 v56, 3, v40
	v_sub_u32_e32 v58, 29, v58
	v_and_b32_e32 v60, 7, v60
	v_cmp_gt_u32_e32 vcc, 8, v40
	v_cndmask_b32_e32 v40, v56, v58, vcc
	v_cndmask_b32_e32 v42, v42, v60, vcc
	v_lshlrev_b32_e32 v56, 24, v38
	v_lshlrev_b32_e32 v42, 20, v42
	v_and_b32_e32 v56, 0x80000000, v56
	v_lshl_add_u32 v40, v40, 23, v55
	v_or3_b32 v40, v56, v40, v42
	v_lshrrev_b32_e32 v58, 16, v40
.LBB901_387:                            ;   in Loop: Header=BB901_215 Depth=1
	s_or_b64 exec, exec, s[16:17]
.LBB901_388:                            ;   in Loop: Header=BB901_215 Depth=1
	s_or_b64 exec, exec, s[14:15]
.LBB901_389:                            ;   in Loop: Header=BB901_215 Depth=1
	s_or_b64 exec, exec, s[12:13]
	v_lshrrev_b16_e32 v40, 8, v38
	v_cmp_ne_u16_e32 vcc, 0, v40
	v_mov_b32_e32 v61, 0
	v_mov_b32_e32 v60, 0
	s_and_saveexec_b64 s[12:13], vcc
	s_cbranch_execz .LBB901_395
; %bb.390:                              ;   in Loop: Header=BB901_215 Depth=1
	v_cmp_ne_u16_e32 vcc, s9, v40
	v_mov_b32_e32 v60, 0xffff8000
	s_and_saveexec_b64 s[14:15], vcc
	s_cbranch_execz .LBB901_394
; %bb.391:                              ;   in Loop: Header=BB901_215 Depth=1
	v_and_b32_e32 v42, 0x7f, v40
	v_cmp_ne_u32_e32 vcc, s21, v42
	v_mov_b32_e32 v60, 0x7f80
	s_and_saveexec_b64 s[16:17], vcc
	s_cbranch_execz .LBB901_393
; %bb.392:                              ;   in Loop: Header=BB901_215 Depth=1
	v_and_b32_e32 v56, 7, v40
	v_ffbh_u32_e32 v62, v56
	v_min_u32_e32 v64, 32, v62
	v_subrev_u32_e32 v62, 28, v64
	v_lshlrev_b64 v[62:63], v62, v[40:41]
	v_lshrrev_b32_e32 v60, 3, v42
	v_sub_u32_e32 v40, 29, v64
	v_and_b32_e32 v62, 7, v62
	v_cmp_gt_u32_e32 vcc, 8, v42
	v_cndmask_b32_e32 v40, v60, v40, vcc
	v_cndmask_b32_e32 v42, v56, v62, vcc
	v_lshlrev_b32_e32 v56, 16, v38
	v_lshlrev_b32_e32 v42, 20, v42
	v_and_b32_e32 v56, 0x80000000, v56
	v_lshl_add_u32 v40, v40, 23, v55
	v_or3_b32 v40, v56, v40, v42
	v_lshrrev_b32_e32 v60, 16, v40
.LBB901_393:                            ;   in Loop: Header=BB901_215 Depth=1
	s_or_b64 exec, exec, s[16:17]
.LBB901_394:                            ;   in Loop: Header=BB901_215 Depth=1
	s_or_b64 exec, exec, s[14:15]
.LBB901_395:                            ;   in Loop: Header=BB901_215 Depth=1
	s_or_b64 exec, exec, s[12:13]
	v_lshrrev_b32_e32 v40, 16, v38
	v_cmp_ne_u16_sdwa s[14:15], v40, v54 src0_sel:BYTE_0 src1_sel:DWORD
	s_and_saveexec_b64 s[12:13], s[14:15]
	s_cbranch_execz .LBB901_401
; %bb.396:                              ;   in Loop: Header=BB901_215 Depth=1
	v_cmp_ne_u16_sdwa s[16:17], v40, s9 src0_sel:BYTE_0 src1_sel:DWORD
	v_mov_b32_e32 v61, 0xffff8000
	s_and_saveexec_b64 s[14:15], s[16:17]
	s_cbranch_execz .LBB901_400
; %bb.397:                              ;   in Loop: Header=BB901_215 Depth=1
	v_bfe_u32 v42, v38, 16, 7
	v_cmp_ne_u32_e32 vcc, s21, v42
	v_mov_b32_e32 v61, 0x7f80
	s_and_saveexec_b64 s[16:17], vcc
	s_cbranch_execz .LBB901_399
; %bb.398:                              ;   in Loop: Header=BB901_215 Depth=1
	v_and_b32_e32 v56, 7, v40
	v_ffbh_u32_e32 v62, v56
	v_min_u32_e32 v64, 32, v62
	v_subrev_u32_e32 v62, 28, v64
	v_lshlrev_b64 v[62:63], v62, v[40:41]
	v_lshrrev_b32_e32 v61, 3, v42
	v_sub_u32_e32 v63, 29, v64
	v_and_b32_e32 v62, 7, v62
	v_cmp_gt_u32_e32 vcc, 8, v42
	v_cndmask_b32_e32 v42, v61, v63, vcc
	v_cndmask_b32_e32 v56, v56, v62, vcc
	v_lshlrev_b32_e32 v40, 24, v40
	v_lshlrev_b32_e32 v56, 20, v56
	v_and_b32_e32 v40, 0x80000000, v40
	v_lshl_add_u32 v42, v42, 23, v55
	v_or3_b32 v40, v40, v42, v56
	v_lshrrev_b32_e32 v61, 16, v40
.LBB901_399:                            ;   in Loop: Header=BB901_215 Depth=1
	s_or_b64 exec, exec, s[16:17]
.LBB901_400:                            ;   in Loop: Header=BB901_215 Depth=1
	s_or_b64 exec, exec, s[14:15]
.LBB901_401:                            ;   in Loop: Header=BB901_215 Depth=1
	s_or_b64 exec, exec, s[12:13]
	v_cmp_lt_u32_e32 vcc, s22, v38
	v_mov_b32_e32 v56, 0
	v_mov_b32_e32 v62, 0
	s_and_saveexec_b64 s[12:13], vcc
	s_cbranch_execz .LBB901_407
; %bb.402:                              ;   in Loop: Header=BB901_215 Depth=1
	v_lshrrev_b32_e32 v40, 24, v38
	v_cmp_ne_u32_e32 vcc, s9, v40
	v_mov_b32_e32 v62, 0xffff8000
	s_and_saveexec_b64 s[14:15], vcc
	s_cbranch_execz .LBB901_406
; %bb.403:                              ;   in Loop: Header=BB901_215 Depth=1
	v_bfe_u32 v38, v38, 24, 7
	v_cmp_ne_u32_e32 vcc, s21, v38
	v_mov_b32_e32 v62, 0x7f80
	s_and_saveexec_b64 s[16:17], vcc
	s_cbranch_execz .LBB901_405
; %bb.404:                              ;   in Loop: Header=BB901_215 Depth=1
	v_and_b32_e32 v42, 7, v40
	v_ffbh_u32_e32 v62, v42
	v_min_u32_e32 v65, 32, v62
	v_subrev_u32_e32 v62, 28, v65
	v_lshlrev_b64 v[62:63], v62, v[40:41]
	v_lshrrev_b32_e32 v64, 3, v38
	v_sub_u32_e32 v63, 29, v65
	v_and_b32_e32 v62, 7, v62
	v_cmp_gt_u32_e32 vcc, 8, v38
	v_cndmask_b32_e32 v38, v64, v63, vcc
	v_cndmask_b32_e32 v42, v42, v62, vcc
	v_lshlrev_b32_e32 v40, 24, v40
	v_lshlrev_b32_e32 v42, 20, v42
	v_and_b32_e32 v40, 0x80000000, v40
	v_lshl_add_u32 v38, v38, 23, v55
	v_or3_b32 v38, v40, v38, v42
	v_lshrrev_b32_e32 v62, 16, v38
.LBB901_405:                            ;   in Loop: Header=BB901_215 Depth=1
	s_or_b64 exec, exec, s[16:17]
.LBB901_406:                            ;   in Loop: Header=BB901_215 Depth=1
	s_or_b64 exec, exec, s[14:15]
.LBB901_407:                            ;   in Loop: Header=BB901_215 Depth=1
	s_or_b64 exec, exec, s[12:13]
	v_perm_b32 v64, v44, v46, s23
	buffer_load_dword v44, v51, s[0:3], 0 offen
	buffer_load_dword v42, v51, s[0:3], 0 offen offset:4
	buffer_load_dword v40, v51, s[0:3], 0 offen offset:8
	;; [unrolled: 1-line block ×3, first 2 shown]
	v_perm_b32 v65, v59, v57, s23
	v_perm_b32 v59, v62, v61, s23
	;; [unrolled: 1-line block ×3, first 2 shown]
	v_mfma_f32_16x16x16bf16_1k v[34:37], v[64:65], v[14:15], v[34:37]
	s_waitcnt vmcnt(3)
	v_cmp_ne_u16_sdwa s[14:15], v44, v54 src0_sel:BYTE_0 src1_sel:DWORD
	v_mfma_f32_16x16x16bf16_1k v[34:37], v[58:59], v[16:17], v[34:37]
	s_and_saveexec_b64 s[12:13], s[14:15]
	s_cbranch_execz .LBB901_413
; %bb.408:                              ;   in Loop: Header=BB901_215 Depth=1
	v_cmp_ne_u16_sdwa s[16:17], v44, s9 src0_sel:BYTE_0 src1_sel:DWORD
	v_mov_b32_e32 v56, 0xffff8000
	s_and_saveexec_b64 s[14:15], s[16:17]
	s_cbranch_execz .LBB901_412
; %bb.409:                              ;   in Loop: Header=BB901_215 Depth=1
	v_and_b32_e32 v46, 0x7f, v44
	v_cmp_ne_u32_e32 vcc, s21, v46
	v_mov_b32_e32 v56, 0x7f80
	s_and_saveexec_b64 s[16:17], vcc
	s_cbranch_execz .LBB901_411
; %bb.410:                              ;   in Loop: Header=BB901_215 Depth=1
	v_and_b32_e32 v51, 7, v44
	v_ffbh_u32_e32 v56, v51
	v_min_u32_e32 v59, 32, v56
	v_subrev_u32_e32 v56, 28, v59
	v_lshlrev_b64 v[56:57], v56, v[44:45]
	v_lshrrev_b32_e32 v58, 3, v46
	v_sub_u32_e32 v57, 29, v59
	v_and_b32_e32 v56, 7, v56
	v_cmp_gt_u32_e32 vcc, 8, v46
	v_cndmask_b32_e32 v46, v58, v57, vcc
	v_cndmask_b32_e32 v51, v51, v56, vcc
	v_lshlrev_b32_e32 v56, 24, v44
	v_lshlrev_b32_e32 v51, 20, v51
	v_and_b32_e32 v56, 0x80000000, v56
	v_lshl_add_u32 v46, v46, 23, v55
	v_or3_b32 v46, v56, v46, v51
	v_lshrrev_b32_e32 v56, 16, v46
.LBB901_411:                            ;   in Loop: Header=BB901_215 Depth=1
	s_or_b64 exec, exec, s[16:17]
.LBB901_412:                            ;   in Loop: Header=BB901_215 Depth=1
	s_or_b64 exec, exec, s[14:15]
.LBB901_413:                            ;   in Loop: Header=BB901_215 Depth=1
	s_or_b64 exec, exec, s[12:13]
	v_lshrrev_b16_e32 v46, 8, v44
	v_cmp_ne_u16_e32 vcc, 0, v46
	v_mov_b32_e32 v57, 0
	v_mov_b32_e32 v51, 0
	s_and_saveexec_b64 s[12:13], vcc
	s_cbranch_execz .LBB901_419
; %bb.414:                              ;   in Loop: Header=BB901_215 Depth=1
	v_cmp_ne_u16_e32 vcc, s9, v46
	v_mov_b32_e32 v51, 0xffff8000
	s_and_saveexec_b64 s[14:15], vcc
	s_cbranch_execz .LBB901_418
; %bb.415:                              ;   in Loop: Header=BB901_215 Depth=1
	v_and_b32_e32 v58, 0x7f, v46
	v_cmp_ne_u32_e32 vcc, s21, v58
	v_mov_b32_e32 v51, 0x7f80
	s_and_saveexec_b64 s[16:17], vcc
	s_cbranch_execz .LBB901_417
; %bb.416:                              ;   in Loop: Header=BB901_215 Depth=1
	v_and_b32_e32 v51, 7, v46
	v_ffbh_u32_e32 v60, v51
	v_min_u32_e32 v62, 32, v60
	v_subrev_u32_e32 v60, 28, v62
	v_lshlrev_b64 v[60:61], v60, v[46:47]
	v_lshrrev_b32_e32 v59, 3, v58
	v_sub_u32_e32 v46, 29, v62
	v_and_b32_e32 v60, 7, v60
	v_cmp_gt_u32_e32 vcc, 8, v58
	v_cndmask_b32_e32 v46, v59, v46, vcc
	v_cndmask_b32_e32 v51, v51, v60, vcc
	v_lshlrev_b32_e32 v58, 16, v44
	v_lshlrev_b32_e32 v51, 20, v51
	v_and_b32_e32 v58, 0x80000000, v58
	v_lshl_add_u32 v46, v46, 23, v55
	v_or3_b32 v46, v58, v46, v51
	v_lshrrev_b32_e32 v51, 16, v46
.LBB901_417:                            ;   in Loop: Header=BB901_215 Depth=1
	s_or_b64 exec, exec, s[16:17]
.LBB901_418:                            ;   in Loop: Header=BB901_215 Depth=1
	s_or_b64 exec, exec, s[14:15]
.LBB901_419:                            ;   in Loop: Header=BB901_215 Depth=1
	s_or_b64 exec, exec, s[12:13]
	v_lshrrev_b32_e32 v46, 16, v44
	v_cmp_ne_u16_sdwa s[14:15], v46, v54 src0_sel:BYTE_0 src1_sel:DWORD
	s_and_saveexec_b64 s[12:13], s[14:15]
	s_cbranch_execz .LBB901_425
; %bb.420:                              ;   in Loop: Header=BB901_215 Depth=1
	v_cmp_ne_u16_sdwa s[16:17], v46, s9 src0_sel:BYTE_0 src1_sel:DWORD
	v_mov_b32_e32 v57, 0xffff8000
	s_and_saveexec_b64 s[14:15], s[16:17]
	s_cbranch_execz .LBB901_424
; %bb.421:                              ;   in Loop: Header=BB901_215 Depth=1
	v_bfe_u32 v58, v44, 16, 7
	v_cmp_ne_u32_e32 vcc, s21, v58
	v_mov_b32_e32 v57, 0x7f80
	s_and_saveexec_b64 s[16:17], vcc
	s_cbranch_execz .LBB901_423
; %bb.422:                              ;   in Loop: Header=BB901_215 Depth=1
	v_and_b32_e32 v57, 7, v46
	v_ffbh_u32_e32 v60, v57
	v_min_u32_e32 v62, 32, v60
	v_subrev_u32_e32 v60, 28, v62
	v_lshlrev_b64 v[60:61], v60, v[46:47]
	v_lshrrev_b32_e32 v59, 3, v58
	v_sub_u32_e32 v61, 29, v62
	v_and_b32_e32 v60, 7, v60
	v_cmp_gt_u32_e32 vcc, 8, v58
	v_cndmask_b32_e32 v58, v59, v61, vcc
	v_cndmask_b32_e32 v57, v57, v60, vcc
	v_lshlrev_b32_e32 v46, 24, v46
	v_lshlrev_b32_e32 v57, 20, v57
	v_and_b32_e32 v46, 0x80000000, v46
	v_lshl_add_u32 v58, v58, 23, v55
	v_or3_b32 v46, v46, v58, v57
	v_lshrrev_b32_e32 v57, 16, v46
.LBB901_423:                            ;   in Loop: Header=BB901_215 Depth=1
	s_or_b64 exec, exec, s[16:17]
.LBB901_424:                            ;   in Loop: Header=BB901_215 Depth=1
	s_or_b64 exec, exec, s[14:15]
.LBB901_425:                            ;   in Loop: Header=BB901_215 Depth=1
	s_or_b64 exec, exec, s[12:13]
	v_cmp_lt_u32_e32 vcc, s22, v44
	v_mov_b32_e32 v58, 0
	v_mov_b32_e32 v59, 0
	s_and_saveexec_b64 s[12:13], vcc
	s_cbranch_execz .LBB901_431
; %bb.426:                              ;   in Loop: Header=BB901_215 Depth=1
	v_lshrrev_b32_e32 v46, 24, v44
	v_cmp_ne_u32_e32 vcc, s9, v46
	v_mov_b32_e32 v59, 0xffff8000
	s_and_saveexec_b64 s[14:15], vcc
	s_cbranch_execz .LBB901_430
; %bb.427:                              ;   in Loop: Header=BB901_215 Depth=1
	v_bfe_u32 v44, v44, 24, 7
	v_cmp_ne_u32_e32 vcc, s21, v44
	v_mov_b32_e32 v59, 0x7f80
	s_and_saveexec_b64 s[16:17], vcc
	s_cbranch_execz .LBB901_429
; %bb.428:                              ;   in Loop: Header=BB901_215 Depth=1
	v_and_b32_e32 v59, 7, v46
	v_ffbh_u32_e32 v60, v59
	v_min_u32_e32 v63, 32, v60
	v_subrev_u32_e32 v60, 28, v63
	v_lshlrev_b64 v[60:61], v60, v[46:47]
	v_lshrrev_b32_e32 v62, 3, v44
	v_sub_u32_e32 v61, 29, v63
	v_and_b32_e32 v60, 7, v60
	v_cmp_gt_u32_e32 vcc, 8, v44
	v_cndmask_b32_e32 v44, v62, v61, vcc
	v_cndmask_b32_e32 v59, v59, v60, vcc
	v_lshlrev_b32_e32 v46, 24, v46
	v_lshlrev_b32_e32 v59, 20, v59
	v_and_b32_e32 v46, 0x80000000, v46
	v_lshl_add_u32 v44, v44, 23, v55
	v_or3_b32 v44, v46, v44, v59
	v_lshrrev_b32_e32 v59, 16, v44
.LBB901_429:                            ;   in Loop: Header=BB901_215 Depth=1
	s_or_b64 exec, exec, s[16:17]
.LBB901_430:                            ;   in Loop: Header=BB901_215 Depth=1
	s_or_b64 exec, exec, s[14:15]
.LBB901_431:                            ;   in Loop: Header=BB901_215 Depth=1
	s_or_b64 exec, exec, s[12:13]
	s_waitcnt vmcnt(2)
	v_cmp_ne_u16_sdwa s[14:15], v42, v54 src0_sel:BYTE_0 src1_sel:DWORD
	s_and_saveexec_b64 s[12:13], s[14:15]
	s_cbranch_execz .LBB901_437
; %bb.432:                              ;   in Loop: Header=BB901_215 Depth=1
	v_cmp_ne_u16_sdwa s[16:17], v42, s9 src0_sel:BYTE_0 src1_sel:DWORD
	v_mov_b32_e32 v58, 0xffff8000
	s_and_saveexec_b64 s[14:15], s[16:17]
	s_cbranch_execz .LBB901_436
; %bb.433:                              ;   in Loop: Header=BB901_215 Depth=1
	v_and_b32_e32 v44, 0x7f, v42
	v_cmp_ne_u32_e32 vcc, s21, v44
	v_mov_b32_e32 v58, 0x7f80
	s_and_saveexec_b64 s[16:17], vcc
	s_cbranch_execz .LBB901_435
; %bb.434:                              ;   in Loop: Header=BB901_215 Depth=1
	v_and_b32_e32 v46, 7, v42
	v_ffbh_u32_e32 v60, v46
	v_min_u32_e32 v62, 32, v60
	v_subrev_u32_e32 v60, 28, v62
	v_lshlrev_b64 v[60:61], v60, v[42:43]
	v_lshrrev_b32_e32 v58, 3, v44
	v_sub_u32_e32 v61, 29, v62
	v_and_b32_e32 v60, 7, v60
	v_cmp_gt_u32_e32 vcc, 8, v44
	v_cndmask_b32_e32 v44, v58, v61, vcc
	v_cndmask_b32_e32 v46, v46, v60, vcc
	v_lshlrev_b32_e32 v58, 24, v42
	v_lshlrev_b32_e32 v46, 20, v46
	v_and_b32_e32 v58, 0x80000000, v58
	v_lshl_add_u32 v44, v44, 23, v55
	v_or3_b32 v44, v58, v44, v46
	v_lshrrev_b32_e32 v58, 16, v44
.LBB901_435:                            ;   in Loop: Header=BB901_215 Depth=1
	s_or_b64 exec, exec, s[16:17]
.LBB901_436:                            ;   in Loop: Header=BB901_215 Depth=1
	s_or_b64 exec, exec, s[14:15]
.LBB901_437:                            ;   in Loop: Header=BB901_215 Depth=1
	s_or_b64 exec, exec, s[12:13]
	v_lshrrev_b16_e32 v44, 8, v42
	v_cmp_ne_u16_e32 vcc, 0, v44
	v_mov_b32_e32 v61, 0
	v_mov_b32_e32 v60, 0
	s_and_saveexec_b64 s[12:13], vcc
	s_cbranch_execz .LBB901_443
; %bb.438:                              ;   in Loop: Header=BB901_215 Depth=1
	v_cmp_ne_u16_e32 vcc, s9, v44
	v_mov_b32_e32 v60, 0xffff8000
	s_and_saveexec_b64 s[14:15], vcc
	s_cbranch_execz .LBB901_442
; %bb.439:                              ;   in Loop: Header=BB901_215 Depth=1
	v_and_b32_e32 v46, 0x7f, v44
	v_cmp_ne_u32_e32 vcc, s21, v46
	v_mov_b32_e32 v60, 0x7f80
	s_and_saveexec_b64 s[16:17], vcc
	s_cbranch_execz .LBB901_441
; %bb.440:                              ;   in Loop: Header=BB901_215 Depth=1
	v_and_b32_e32 v60, 7, v44
	v_ffbh_u32_e32 v62, v60
	v_min_u32_e32 v65, 32, v62
	v_subrev_u32_e32 v62, 28, v65
	v_lshlrev_b64 v[62:63], v62, v[44:45]
	v_lshrrev_b32_e32 v64, 3, v46
	v_sub_u32_e32 v44, 29, v65
	v_and_b32_e32 v62, 7, v62
	v_cmp_gt_u32_e32 vcc, 8, v46
	v_cndmask_b32_e32 v44, v64, v44, vcc
	v_cndmask_b32_e32 v46, v60, v62, vcc
	v_lshlrev_b32_e32 v60, 16, v42
	v_lshlrev_b32_e32 v46, 20, v46
	v_and_b32_e32 v60, 0x80000000, v60
	v_lshl_add_u32 v44, v44, 23, v55
	v_or3_b32 v44, v60, v44, v46
	v_lshrrev_b32_e32 v60, 16, v44
.LBB901_441:                            ;   in Loop: Header=BB901_215 Depth=1
	s_or_b64 exec, exec, s[16:17]
.LBB901_442:                            ;   in Loop: Header=BB901_215 Depth=1
	s_or_b64 exec, exec, s[14:15]
.LBB901_443:                            ;   in Loop: Header=BB901_215 Depth=1
	s_or_b64 exec, exec, s[12:13]
	v_lshrrev_b32_e32 v44, 16, v42
	v_cmp_ne_u16_sdwa s[14:15], v44, v54 src0_sel:BYTE_0 src1_sel:DWORD
	s_and_saveexec_b64 s[12:13], s[14:15]
	s_cbranch_execz .LBB901_449
; %bb.444:                              ;   in Loop: Header=BB901_215 Depth=1
	v_cmp_ne_u16_sdwa s[16:17], v44, s9 src0_sel:BYTE_0 src1_sel:DWORD
	v_mov_b32_e32 v61, 0xffff8000
	s_and_saveexec_b64 s[14:15], s[16:17]
	s_cbranch_execz .LBB901_448
; %bb.445:                              ;   in Loop: Header=BB901_215 Depth=1
	v_bfe_u32 v46, v42, 16, 7
	v_cmp_ne_u32_e32 vcc, s21, v46
	v_mov_b32_e32 v61, 0x7f80
	s_and_saveexec_b64 s[16:17], vcc
	s_cbranch_execz .LBB901_447
; %bb.446:                              ;   in Loop: Header=BB901_215 Depth=1
	v_and_b32_e32 v61, 7, v44
	v_ffbh_u32_e32 v62, v61
	v_min_u32_e32 v65, 32, v62
	v_subrev_u32_e32 v62, 28, v65
	v_lshlrev_b64 v[62:63], v62, v[44:45]
	v_lshrrev_b32_e32 v64, 3, v46
	v_sub_u32_e32 v63, 29, v65
	v_and_b32_e32 v62, 7, v62
	v_cmp_gt_u32_e32 vcc, 8, v46
	v_cndmask_b32_e32 v46, v64, v63, vcc
	v_cndmask_b32_e32 v61, v61, v62, vcc
	v_lshlrev_b32_e32 v44, 24, v44
	v_lshlrev_b32_e32 v61, 20, v61
	v_and_b32_e32 v44, 0x80000000, v44
	v_lshl_add_u32 v46, v46, 23, v55
	v_or3_b32 v44, v44, v46, v61
	v_lshrrev_b32_e32 v61, 16, v44
.LBB901_447:                            ;   in Loop: Header=BB901_215 Depth=1
	s_or_b64 exec, exec, s[16:17]
.LBB901_448:                            ;   in Loop: Header=BB901_215 Depth=1
	s_or_b64 exec, exec, s[14:15]
.LBB901_449:                            ;   in Loop: Header=BB901_215 Depth=1
	s_or_b64 exec, exec, s[12:13]
	v_cmp_lt_u32_e32 vcc, s22, v42
	v_mov_b32_e32 v46, 0
	v_mov_b32_e32 v62, 0
	s_and_saveexec_b64 s[12:13], vcc
	s_cbranch_execz .LBB901_455
; %bb.450:                              ;   in Loop: Header=BB901_215 Depth=1
	v_lshrrev_b32_e32 v44, 24, v42
	v_cmp_ne_u32_e32 vcc, s9, v44
	v_mov_b32_e32 v62, 0xffff8000
	s_and_saveexec_b64 s[14:15], vcc
	s_cbranch_execz .LBB901_454
; %bb.451:                              ;   in Loop: Header=BB901_215 Depth=1
	v_bfe_u32 v42, v42, 24, 7
	v_cmp_ne_u32_e32 vcc, s21, v42
	v_mov_b32_e32 v62, 0x7f80
	s_and_saveexec_b64 s[16:17], vcc
	s_cbranch_execz .LBB901_453
; %bb.452:                              ;   in Loop: Header=BB901_215 Depth=1
	v_and_b32_e32 v64, 7, v44
	v_ffbh_u32_e32 v62, v64
	v_min_u32_e32 v66, 32, v62
	v_subrev_u32_e32 v62, 28, v66
	v_lshlrev_b64 v[62:63], v62, v[44:45]
	v_lshrrev_b32_e32 v65, 3, v42
	v_sub_u32_e32 v63, 29, v66
	v_and_b32_e32 v62, 7, v62
	v_cmp_gt_u32_e32 vcc, 8, v42
	v_cndmask_b32_e32 v42, v65, v63, vcc
	v_cndmask_b32_e32 v62, v64, v62, vcc
	v_lshlrev_b32_e32 v44, 24, v44
	v_lshlrev_b32_e32 v62, 20, v62
	v_and_b32_e32 v44, 0x80000000, v44
	v_lshl_add_u32 v42, v42, 23, v55
	v_or3_b32 v42, v44, v42, v62
	v_lshrrev_b32_e32 v62, 16, v42
.LBB901_453:                            ;   in Loop: Header=BB901_215 Depth=1
	s_or_b64 exec, exec, s[16:17]
.LBB901_454:                            ;   in Loop: Header=BB901_215 Depth=1
	s_or_b64 exec, exec, s[14:15]
.LBB901_455:                            ;   in Loop: Header=BB901_215 Depth=1
	s_or_b64 exec, exec, s[12:13]
	v_perm_b32 v57, v59, v57, s23
	v_perm_b32 v56, v51, v56, s23
	s_waitcnt vmcnt(1)
	v_cmp_ne_u16_sdwa s[14:15], v40, v54 src0_sel:BYTE_0 src1_sel:DWORD
	v_mfma_f32_16x16x16bf16_1k v[34:37], v[56:57], v[18:19], v[34:37]
	v_perm_b32 v57, v62, v61, s23
	v_perm_b32 v56, v60, v58, s23
	s_nop 1
	v_mfma_f32_16x16x16bf16_1k v[34:37], v[56:57], v[20:21], v[34:37]
	s_and_saveexec_b64 s[12:13], s[14:15]
	s_cbranch_execz .LBB901_461
; %bb.456:                              ;   in Loop: Header=BB901_215 Depth=1
	v_cmp_ne_u16_sdwa s[16:17], v40, s9 src0_sel:BYTE_0 src1_sel:DWORD
	v_mov_b32_e32 v46, 0xffff8000
	s_and_saveexec_b64 s[14:15], s[16:17]
	s_cbranch_execz .LBB901_460
; %bb.457:                              ;   in Loop: Header=BB901_215 Depth=1
	v_and_b32_e32 v42, 0x7f, v40
	v_cmp_ne_u32_e32 vcc, s21, v42
	v_mov_b32_e32 v46, 0x7f80
	s_and_saveexec_b64 s[16:17], vcc
	s_cbranch_execz .LBB901_459
; %bb.458:                              ;   in Loop: Header=BB901_215 Depth=1
	v_and_b32_e32 v44, 7, v40
	v_ffbh_u32_e32 v51, v44
	v_min_u32_e32 v51, 32, v51
	v_subrev_u32_e32 v56, 28, v51
	v_lshlrev_b64 v[56:57], v56, v[40:41]
	v_lshrrev_b32_e32 v46, 3, v42
	v_sub_u32_e32 v51, 29, v51
	v_and_b32_e32 v56, 7, v56
	v_cmp_gt_u32_e32 vcc, 8, v42
	v_cndmask_b32_e32 v42, v46, v51, vcc
	v_cndmask_b32_e32 v44, v44, v56, vcc
	v_lshlrev_b32_e32 v46, 24, v40
	v_lshlrev_b32_e32 v44, 20, v44
	v_and_b32_e32 v46, 0x80000000, v46
	v_lshl_add_u32 v42, v42, 23, v55
	v_or3_b32 v42, v46, v42, v44
	v_lshrrev_b32_e32 v46, 16, v42
.LBB901_459:                            ;   in Loop: Header=BB901_215 Depth=1
	s_or_b64 exec, exec, s[16:17]
.LBB901_460:                            ;   in Loop: Header=BB901_215 Depth=1
	s_or_b64 exec, exec, s[14:15]
.LBB901_461:                            ;   in Loop: Header=BB901_215 Depth=1
	s_or_b64 exec, exec, s[12:13]
	v_lshrrev_b16_e32 v42, 8, v40
	v_cmp_ne_u16_e32 vcc, 0, v42
	v_mov_b32_e32 v56, 0
	v_mov_b32_e32 v44, 0
	s_and_saveexec_b64 s[12:13], vcc
	s_cbranch_execz .LBB901_467
; %bb.462:                              ;   in Loop: Header=BB901_215 Depth=1
	v_cmp_ne_u16_e32 vcc, s9, v42
	v_mov_b32_e32 v44, 0xffff8000
	s_and_saveexec_b64 s[14:15], vcc
	s_cbranch_execz .LBB901_466
; %bb.463:                              ;   in Loop: Header=BB901_215 Depth=1
	v_and_b32_e32 v51, 0x7f, v42
	v_cmp_ne_u32_e32 vcc, s21, v51
	v_mov_b32_e32 v44, 0x7f80
	s_and_saveexec_b64 s[16:17], vcc
	s_cbranch_execz .LBB901_465
; %bb.464:                              ;   in Loop: Header=BB901_215 Depth=1
	v_and_b32_e32 v44, 7, v42
	v_ffbh_u32_e32 v58, v44
	v_min_u32_e32 v60, 32, v58
	v_subrev_u32_e32 v58, 28, v60
	v_lshlrev_b64 v[58:59], v58, v[42:43]
	v_lshrrev_b32_e32 v57, 3, v51
	v_sub_u32_e32 v42, 29, v60
	v_and_b32_e32 v58, 7, v58
	v_cmp_gt_u32_e32 vcc, 8, v51
	v_cndmask_b32_e32 v42, v57, v42, vcc
	v_cndmask_b32_e32 v44, v44, v58, vcc
	v_lshlrev_b32_e32 v51, 16, v40
	v_lshlrev_b32_e32 v44, 20, v44
	v_and_b32_e32 v51, 0x80000000, v51
	v_lshl_add_u32 v42, v42, 23, v55
	v_or3_b32 v42, v51, v42, v44
	v_lshrrev_b32_e32 v44, 16, v42
.LBB901_465:                            ;   in Loop: Header=BB901_215 Depth=1
	s_or_b64 exec, exec, s[16:17]
.LBB901_466:                            ;   in Loop: Header=BB901_215 Depth=1
	s_or_b64 exec, exec, s[14:15]
.LBB901_467:                            ;   in Loop: Header=BB901_215 Depth=1
	s_or_b64 exec, exec, s[12:13]
	v_lshrrev_b32_e32 v42, 16, v40
	v_cmp_ne_u16_sdwa s[14:15], v42, v54 src0_sel:BYTE_0 src1_sel:DWORD
	s_and_saveexec_b64 s[12:13], s[14:15]
	s_cbranch_execz .LBB901_473
; %bb.468:                              ;   in Loop: Header=BB901_215 Depth=1
	v_cmp_ne_u16_sdwa s[16:17], v42, s9 src0_sel:BYTE_0 src1_sel:DWORD
	v_mov_b32_e32 v56, 0xffff8000
	s_and_saveexec_b64 s[14:15], s[16:17]
	s_cbranch_execz .LBB901_472
; %bb.469:                              ;   in Loop: Header=BB901_215 Depth=1
	v_bfe_u32 v51, v40, 16, 7
	v_cmp_ne_u32_e32 vcc, s21, v51
	v_mov_b32_e32 v56, 0x7f80
	s_and_saveexec_b64 s[16:17], vcc
	s_cbranch_execz .LBB901_471
; %bb.470:                              ;   in Loop: Header=BB901_215 Depth=1
	v_and_b32_e32 v58, 7, v42
	v_ffbh_u32_e32 v56, v58
	v_min_u32_e32 v60, 32, v56
	v_subrev_u32_e32 v56, 28, v60
	v_lshlrev_b64 v[56:57], v56, v[42:43]
	v_lshrrev_b32_e32 v59, 3, v51
	v_sub_u32_e32 v57, 29, v60
	v_and_b32_e32 v56, 7, v56
	v_cmp_gt_u32_e32 vcc, 8, v51
	v_cndmask_b32_e32 v51, v59, v57, vcc
	v_cndmask_b32_e32 v56, v58, v56, vcc
	v_lshlrev_b32_e32 v42, 24, v42
	v_lshlrev_b32_e32 v56, 20, v56
	v_and_b32_e32 v42, 0x80000000, v42
	v_lshl_add_u32 v51, v51, 23, v55
	v_or3_b32 v42, v42, v51, v56
	v_lshrrev_b32_e32 v56, 16, v42
.LBB901_471:                            ;   in Loop: Header=BB901_215 Depth=1
	s_or_b64 exec, exec, s[16:17]
.LBB901_472:                            ;   in Loop: Header=BB901_215 Depth=1
	s_or_b64 exec, exec, s[14:15]
.LBB901_473:                            ;   in Loop: Header=BB901_215 Depth=1
	s_or_b64 exec, exec, s[12:13]
	v_cmp_lt_u32_e32 vcc, s22, v40
	v_mov_b32_e32 v57, 0
	v_mov_b32_e32 v58, 0
	s_and_saveexec_b64 s[12:13], vcc
	s_cbranch_execz .LBB901_479
; %bb.474:                              ;   in Loop: Header=BB901_215 Depth=1
	v_lshrrev_b32_e32 v42, 24, v40
	v_cmp_ne_u32_e32 vcc, s9, v42
	v_mov_b32_e32 v58, 0xffff8000
	s_and_saveexec_b64 s[14:15], vcc
	s_cbranch_execz .LBB901_478
; %bb.475:                              ;   in Loop: Header=BB901_215 Depth=1
	v_bfe_u32 v40, v40, 24, 7
	v_cmp_ne_u32_e32 vcc, s21, v40
	v_mov_b32_e32 v58, 0x7f80
	s_and_saveexec_b64 s[16:17], vcc
	s_cbranch_execz .LBB901_477
; %bb.476:                              ;   in Loop: Header=BB901_215 Depth=1
	v_and_b32_e32 v51, 7, v42
	v_ffbh_u32_e32 v58, v51
	v_min_u32_e32 v61, 32, v58
	v_subrev_u32_e32 v58, 28, v61
	v_lshlrev_b64 v[58:59], v58, v[42:43]
	v_lshrrev_b32_e32 v60, 3, v40
	v_sub_u32_e32 v59, 29, v61
	v_and_b32_e32 v58, 7, v58
	v_cmp_gt_u32_e32 vcc, 8, v40
	v_cndmask_b32_e32 v40, v60, v59, vcc
	v_cndmask_b32_e32 v51, v51, v58, vcc
	v_lshlrev_b32_e32 v42, 24, v42
	v_lshlrev_b32_e32 v51, 20, v51
	v_and_b32_e32 v42, 0x80000000, v42
	v_lshl_add_u32 v40, v40, 23, v55
	v_or3_b32 v40, v42, v40, v51
	v_lshrrev_b32_e32 v58, 16, v40
.LBB901_477:                            ;   in Loop: Header=BB901_215 Depth=1
	s_or_b64 exec, exec, s[16:17]
.LBB901_478:                            ;   in Loop: Header=BB901_215 Depth=1
	s_or_b64 exec, exec, s[14:15]
.LBB901_479:                            ;   in Loop: Header=BB901_215 Depth=1
	s_or_b64 exec, exec, s[12:13]
	s_waitcnt vmcnt(0)
	v_cmp_ne_u16_sdwa s[14:15], v38, v54 src0_sel:BYTE_0 src1_sel:DWORD
	s_and_saveexec_b64 s[12:13], s[14:15]
	s_cbranch_execz .LBB901_485
; %bb.480:                              ;   in Loop: Header=BB901_215 Depth=1
	v_cmp_ne_u16_sdwa s[16:17], v38, s9 src0_sel:BYTE_0 src1_sel:DWORD
	v_mov_b32_e32 v57, 0xffff8000
	s_and_saveexec_b64 s[14:15], s[16:17]
	s_cbranch_execz .LBB901_484
; %bb.481:                              ;   in Loop: Header=BB901_215 Depth=1
	v_and_b32_e32 v40, 0x7f, v38
	v_cmp_ne_u32_e32 vcc, s21, v40
	v_mov_b32_e32 v57, 0x7f80
	s_and_saveexec_b64 s[16:17], vcc
	s_cbranch_execz .LBB901_483
; %bb.482:                              ;   in Loop: Header=BB901_215 Depth=1
	v_and_b32_e32 v42, 7, v38
	v_ffbh_u32_e32 v57, v42
	v_min_u32_e32 v57, 32, v57
	v_subrev_u32_e32 v59, 28, v57
	v_lshlrev_b64 v[60:61], v59, v[38:39]
	v_lshrrev_b32_e32 v51, 3, v40
	v_sub_u32_e32 v57, 29, v57
	v_and_b32_e32 v59, 7, v60
	v_cmp_gt_u32_e32 vcc, 8, v40
	v_cndmask_b32_e32 v40, v51, v57, vcc
	v_cndmask_b32_e32 v42, v42, v59, vcc
	v_lshlrev_b32_e32 v51, 24, v38
	v_lshlrev_b32_e32 v42, 20, v42
	v_and_b32_e32 v51, 0x80000000, v51
	v_lshl_add_u32 v40, v40, 23, v55
	v_or3_b32 v40, v51, v40, v42
	v_lshrrev_b32_e32 v57, 16, v40
.LBB901_483:                            ;   in Loop: Header=BB901_215 Depth=1
	s_or_b64 exec, exec, s[16:17]
.LBB901_484:                            ;   in Loop: Header=BB901_215 Depth=1
	s_or_b64 exec, exec, s[14:15]
.LBB901_485:                            ;   in Loop: Header=BB901_215 Depth=1
	s_or_b64 exec, exec, s[12:13]
	v_lshrrev_b16_e32 v40, 8, v38
	v_cmp_ne_u16_e32 vcc, 0, v40
	v_mov_b32_e32 v60, 0
	v_mov_b32_e32 v59, 0
	s_and_saveexec_b64 s[12:13], vcc
	s_cbranch_execz .LBB901_491
; %bb.486:                              ;   in Loop: Header=BB901_215 Depth=1
	v_cmp_ne_u16_e32 vcc, s9, v40
	v_mov_b32_e32 v59, 0xffff8000
	s_and_saveexec_b64 s[14:15], vcc
	s_cbranch_execz .LBB901_490
; %bb.487:                              ;   in Loop: Header=BB901_215 Depth=1
	v_and_b32_e32 v42, 0x7f, v40
	v_cmp_ne_u32_e32 vcc, s21, v42
	v_mov_b32_e32 v59, 0x7f80
	s_and_saveexec_b64 s[16:17], vcc
	s_cbranch_execz .LBB901_489
; %bb.488:                              ;   in Loop: Header=BB901_215 Depth=1
	v_and_b32_e32 v51, 7, v40
	v_ffbh_u32_e32 v61, v51
	v_min_u32_e32 v61, 32, v61
	v_subrev_u32_e32 v62, 28, v61
	v_lshlrev_b64 v[62:63], v62, v[40:41]
	v_lshrrev_b32_e32 v59, 3, v42
	v_sub_u32_e32 v40, 29, v61
	v_and_b32_e32 v61, 7, v62
	v_cmp_gt_u32_e32 vcc, 8, v42
	v_cndmask_b32_e32 v40, v59, v40, vcc
	v_cndmask_b32_e32 v42, v51, v61, vcc
	v_lshlrev_b32_e32 v51, 16, v38
	v_lshlrev_b32_e32 v42, 20, v42
	v_and_b32_e32 v51, 0x80000000, v51
	v_lshl_add_u32 v40, v40, 23, v55
	v_or3_b32 v40, v51, v40, v42
	v_lshrrev_b32_e32 v59, 16, v40
.LBB901_489:                            ;   in Loop: Header=BB901_215 Depth=1
	s_or_b64 exec, exec, s[16:17]
.LBB901_490:                            ;   in Loop: Header=BB901_215 Depth=1
	s_or_b64 exec, exec, s[14:15]
.LBB901_491:                            ;   in Loop: Header=BB901_215 Depth=1
	s_or_b64 exec, exec, s[12:13]
	v_lshrrev_b32_e32 v40, 16, v38
	v_cmp_ne_u16_sdwa s[14:15], v40, v54 src0_sel:BYTE_0 src1_sel:DWORD
	s_and_saveexec_b64 s[12:13], s[14:15]
	s_cbranch_execz .LBB901_497
; %bb.492:                              ;   in Loop: Header=BB901_215 Depth=1
	v_cmp_ne_u16_sdwa s[16:17], v40, s9 src0_sel:BYTE_0 src1_sel:DWORD
	v_mov_b32_e32 v60, 0xffff8000
	s_and_saveexec_b64 s[14:15], s[16:17]
	s_cbranch_execz .LBB901_496
; %bb.493:                              ;   in Loop: Header=BB901_215 Depth=1
	v_bfe_u32 v42, v38, 16, 7
	v_cmp_ne_u32_e32 vcc, s21, v42
	v_mov_b32_e32 v60, 0x7f80
	s_and_saveexec_b64 s[16:17], vcc
	s_cbranch_execz .LBB901_495
; %bb.494:                              ;   in Loop: Header=BB901_215 Depth=1
	v_and_b32_e32 v51, 7, v40
	v_ffbh_u32_e32 v60, v51
	v_min_u32_e32 v63, 32, v60
	v_subrev_u32_e32 v60, 28, v63
	v_lshlrev_b64 v[60:61], v60, v[40:41]
	v_lshrrev_b32_e32 v62, 3, v42
	v_sub_u32_e32 v61, 29, v63
	v_and_b32_e32 v60, 7, v60
	v_cmp_gt_u32_e32 vcc, 8, v42
	v_cndmask_b32_e32 v42, v62, v61, vcc
	v_cndmask_b32_e32 v51, v51, v60, vcc
	v_lshlrev_b32_e32 v40, 24, v40
	v_lshlrev_b32_e32 v51, 20, v51
	v_and_b32_e32 v40, 0x80000000, v40
	v_lshl_add_u32 v42, v42, 23, v55
	v_or3_b32 v40, v40, v42, v51
	v_lshrrev_b32_e32 v60, 16, v40
.LBB901_495:                            ;   in Loop: Header=BB901_215 Depth=1
	s_or_b64 exec, exec, s[16:17]
.LBB901_496:                            ;   in Loop: Header=BB901_215 Depth=1
	s_or_b64 exec, exec, s[14:15]
.LBB901_497:                            ;   in Loop: Header=BB901_215 Depth=1
	s_or_b64 exec, exec, s[12:13]
	v_cmp_lt_u32_e32 vcc, s22, v38
	v_mov_b32_e32 v51, 0
	v_mov_b32_e32 v61, 0
	s_and_saveexec_b64 s[12:13], vcc
	s_cbranch_execz .LBB901_503
; %bb.498:                              ;   in Loop: Header=BB901_215 Depth=1
	v_lshrrev_b32_e32 v40, 24, v38
	v_cmp_ne_u32_e32 vcc, s9, v40
	v_mov_b32_e32 v61, 0xffff8000
	s_and_saveexec_b64 s[14:15], vcc
	s_cbranch_execz .LBB901_502
; %bb.499:                              ;   in Loop: Header=BB901_215 Depth=1
	v_bfe_u32 v38, v38, 24, 7
	v_cmp_ne_u32_e32 vcc, s21, v38
	v_mov_b32_e32 v61, 0x7f80
	s_and_saveexec_b64 s[16:17], vcc
	s_cbranch_execz .LBB901_501
; %bb.500:                              ;   in Loop: Header=BB901_215 Depth=1
	v_and_b32_e32 v42, 7, v40
	v_ffbh_u32_e32 v62, v42
	v_min_u32_e32 v64, 32, v62
	v_subrev_u32_e32 v62, 28, v64
	v_lshlrev_b64 v[62:63], v62, v[40:41]
	v_lshrrev_b32_e32 v61, 3, v38
	v_sub_u32_e32 v63, 29, v64
	v_and_b32_e32 v62, 7, v62
	v_cmp_gt_u32_e32 vcc, 8, v38
	v_cndmask_b32_e32 v38, v61, v63, vcc
	v_cndmask_b32_e32 v42, v42, v62, vcc
	v_lshlrev_b32_e32 v40, 24, v40
	v_lshlrev_b32_e32 v42, 20, v42
	v_and_b32_e32 v40, 0x80000000, v40
	v_lshl_add_u32 v38, v38, 23, v55
	v_or3_b32 v38, v40, v38, v42
	v_lshrrev_b32_e32 v61, 16, v38
.LBB901_501:                            ;   in Loop: Header=BB901_215 Depth=1
	s_or_b64 exec, exec, s[16:17]
.LBB901_502:                            ;   in Loop: Header=BB901_215 Depth=1
	s_or_b64 exec, exec, s[14:15]
.LBB901_503:                            ;   in Loop: Header=BB901_215 Depth=1
	s_or_b64 exec, exec, s[12:13]
	v_perm_b32 v62, v44, v46, s23
	buffer_load_dword v44, v50, s[0:3], 0 offen
	buffer_load_dword v42, v50, s[0:3], 0 offen offset:4
	buffer_load_dword v40, v50, s[0:3], 0 offen offset:8
	;; [unrolled: 1-line block ×3, first 2 shown]
	v_perm_b32 v63, v58, v56, s23
	v_perm_b32 v61, v61, v60, s23
	;; [unrolled: 1-line block ×3, first 2 shown]
	v_mfma_f32_16x16x16bf16_1k v[34:37], v[62:63], v[22:23], v[34:37]
	s_waitcnt vmcnt(3)
	v_cmp_ne_u16_sdwa s[14:15], v44, v54 src0_sel:BYTE_0 src1_sel:DWORD
	v_mfma_f32_16x16x16bf16_1k v[34:37], v[60:61], v[24:25], v[34:37]
	s_and_saveexec_b64 s[12:13], s[14:15]
	s_cbranch_execz .LBB901_509
; %bb.504:                              ;   in Loop: Header=BB901_215 Depth=1
	v_cmp_ne_u16_sdwa s[16:17], v44, s9 src0_sel:BYTE_0 src1_sel:DWORD
	v_mov_b32_e32 v51, 0xffff8000
	s_and_saveexec_b64 s[14:15], s[16:17]
	s_cbranch_execz .LBB901_508
; %bb.505:                              ;   in Loop: Header=BB901_215 Depth=1
	v_and_b32_e32 v46, 0x7f, v44
	v_cmp_ne_u32_e32 vcc, s21, v46
	v_mov_b32_e32 v51, 0x7f80
	s_and_saveexec_b64 s[16:17], vcc
	s_cbranch_execz .LBB901_507
; %bb.506:                              ;   in Loop: Header=BB901_215 Depth=1
	v_and_b32_e32 v56, 7, v44
	v_ffbh_u32_e32 v50, v56
	v_min_u32_e32 v58, 32, v50
	v_subrev_u32_e32 v50, 28, v58
	v_lshlrev_b64 v[50:51], v50, v[44:45]
	v_lshrrev_b32_e32 v57, 3, v46
	v_sub_u32_e32 v51, 29, v58
	v_and_b32_e32 v50, 7, v50
	v_cmp_gt_u32_e32 vcc, 8, v46
	v_cndmask_b32_e32 v46, v57, v51, vcc
	v_cndmask_b32_e32 v50, v56, v50, vcc
	v_lshlrev_b32_e32 v51, 24, v44
	v_lshlrev_b32_e32 v50, 20, v50
	v_and_b32_e32 v51, 0x80000000, v51
	v_lshl_add_u32 v46, v46, 23, v55
	v_or3_b32 v46, v51, v46, v50
	v_lshrrev_b32_e32 v51, 16, v46
.LBB901_507:                            ;   in Loop: Header=BB901_215 Depth=1
	s_or_b64 exec, exec, s[16:17]
.LBB901_508:                            ;   in Loop: Header=BB901_215 Depth=1
	s_or_b64 exec, exec, s[14:15]
.LBB901_509:                            ;   in Loop: Header=BB901_215 Depth=1
	s_or_b64 exec, exec, s[12:13]
	v_lshrrev_b16_e32 v46, 8, v44
	v_cmp_ne_u16_e32 vcc, 0, v46
	v_mov_b32_e32 v56, 0
	v_mov_b32_e32 v50, 0
	s_and_saveexec_b64 s[12:13], vcc
	s_cbranch_execz .LBB901_515
; %bb.510:                              ;   in Loop: Header=BB901_215 Depth=1
	v_cmp_ne_u16_e32 vcc, s9, v46
	v_mov_b32_e32 v50, 0xffff8000
	s_and_saveexec_b64 s[14:15], vcc
	s_cbranch_execz .LBB901_514
; %bb.511:                              ;   in Loop: Header=BB901_215 Depth=1
	v_and_b32_e32 v57, 0x7f, v46
	v_cmp_ne_u32_e32 vcc, s21, v57
	v_mov_b32_e32 v50, 0x7f80
	s_and_saveexec_b64 s[16:17], vcc
	s_cbranch_execz .LBB901_513
; %bb.512:                              ;   in Loop: Header=BB901_215 Depth=1
	v_and_b32_e32 v50, 7, v46
	v_ffbh_u32_e32 v58, v50
	v_min_u32_e32 v61, 32, v58
	v_subrev_u32_e32 v58, 28, v61
	v_lshlrev_b64 v[58:59], v58, v[46:47]
	v_lshrrev_b32_e32 v60, 3, v57
	v_sub_u32_e32 v46, 29, v61
	v_and_b32_e32 v58, 7, v58
	v_cmp_gt_u32_e32 vcc, 8, v57
	v_cndmask_b32_e32 v46, v60, v46, vcc
	v_cndmask_b32_e32 v50, v50, v58, vcc
	v_lshlrev_b32_e32 v57, 16, v44
	v_lshlrev_b32_e32 v50, 20, v50
	v_and_b32_e32 v57, 0x80000000, v57
	v_lshl_add_u32 v46, v46, 23, v55
	v_or3_b32 v46, v57, v46, v50
	v_lshrrev_b32_e32 v50, 16, v46
.LBB901_513:                            ;   in Loop: Header=BB901_215 Depth=1
	s_or_b64 exec, exec, s[16:17]
.LBB901_514:                            ;   in Loop: Header=BB901_215 Depth=1
	s_or_b64 exec, exec, s[14:15]
.LBB901_515:                            ;   in Loop: Header=BB901_215 Depth=1
	s_or_b64 exec, exec, s[12:13]
	v_lshrrev_b32_e32 v46, 16, v44
	v_cmp_ne_u16_sdwa s[14:15], v46, v54 src0_sel:BYTE_0 src1_sel:DWORD
	s_and_saveexec_b64 s[12:13], s[14:15]
	s_cbranch_execz .LBB901_521
; %bb.516:                              ;   in Loop: Header=BB901_215 Depth=1
	v_cmp_ne_u16_sdwa s[16:17], v46, s9 src0_sel:BYTE_0 src1_sel:DWORD
	v_mov_b32_e32 v56, 0xffff8000
	s_and_saveexec_b64 s[14:15], s[16:17]
	s_cbranch_execz .LBB901_520
; %bb.517:                              ;   in Loop: Header=BB901_215 Depth=1
	v_bfe_u32 v57, v44, 16, 7
	v_cmp_ne_u32_e32 vcc, s21, v57
	v_mov_b32_e32 v56, 0x7f80
	s_and_saveexec_b64 s[16:17], vcc
	s_cbranch_execz .LBB901_519
; %bb.518:                              ;   in Loop: Header=BB901_215 Depth=1
	v_and_b32_e32 v56, 7, v46
	v_ffbh_u32_e32 v58, v56
	v_min_u32_e32 v61, 32, v58
	v_subrev_u32_e32 v58, 28, v61
	v_lshlrev_b64 v[58:59], v58, v[46:47]
	v_lshrrev_b32_e32 v60, 3, v57
	v_sub_u32_e32 v59, 29, v61
	v_and_b32_e32 v58, 7, v58
	v_cmp_gt_u32_e32 vcc, 8, v57
	v_cndmask_b32_e32 v57, v60, v59, vcc
	v_cndmask_b32_e32 v56, v56, v58, vcc
	v_lshlrev_b32_e32 v46, 24, v46
	v_lshlrev_b32_e32 v56, 20, v56
	v_and_b32_e32 v46, 0x80000000, v46
	v_lshl_add_u32 v57, v57, 23, v55
	v_or3_b32 v46, v46, v57, v56
	v_lshrrev_b32_e32 v56, 16, v46
.LBB901_519:                            ;   in Loop: Header=BB901_215 Depth=1
	s_or_b64 exec, exec, s[16:17]
.LBB901_520:                            ;   in Loop: Header=BB901_215 Depth=1
	s_or_b64 exec, exec, s[14:15]
.LBB901_521:                            ;   in Loop: Header=BB901_215 Depth=1
	s_or_b64 exec, exec, s[12:13]
	v_cmp_lt_u32_e32 vcc, s22, v44
	v_mov_b32_e32 v57, 0
	v_mov_b32_e32 v58, 0
	s_and_saveexec_b64 s[12:13], vcc
	s_cbranch_execz .LBB901_527
; %bb.522:                              ;   in Loop: Header=BB901_215 Depth=1
	v_lshrrev_b32_e32 v46, 24, v44
	v_cmp_ne_u32_e32 vcc, s9, v46
	v_mov_b32_e32 v58, 0xffff8000
	s_and_saveexec_b64 s[14:15], vcc
	s_cbranch_execz .LBB901_526
; %bb.523:                              ;   in Loop: Header=BB901_215 Depth=1
	v_bfe_u32 v44, v44, 24, 7
	v_cmp_ne_u32_e32 vcc, s21, v44
	v_mov_b32_e32 v58, 0x7f80
	s_and_saveexec_b64 s[16:17], vcc
	s_cbranch_execz .LBB901_525
; %bb.524:                              ;   in Loop: Header=BB901_215 Depth=1
	v_and_b32_e32 v60, 7, v46
	v_ffbh_u32_e32 v58, v60
	v_min_u32_e32 v62, 32, v58
	v_subrev_u32_e32 v58, 28, v62
	v_lshlrev_b64 v[58:59], v58, v[46:47]
	v_lshrrev_b32_e32 v61, 3, v44
	v_sub_u32_e32 v59, 29, v62
	v_and_b32_e32 v58, 7, v58
	v_cmp_gt_u32_e32 vcc, 8, v44
	v_cndmask_b32_e32 v44, v61, v59, vcc
	v_cndmask_b32_e32 v58, v60, v58, vcc
	v_lshlrev_b32_e32 v46, 24, v46
	v_lshlrev_b32_e32 v58, 20, v58
	v_and_b32_e32 v46, 0x80000000, v46
	v_lshl_add_u32 v44, v44, 23, v55
	v_or3_b32 v44, v46, v44, v58
	v_lshrrev_b32_e32 v58, 16, v44
.LBB901_525:                            ;   in Loop: Header=BB901_215 Depth=1
	s_or_b64 exec, exec, s[16:17]
.LBB901_526:                            ;   in Loop: Header=BB901_215 Depth=1
	s_or_b64 exec, exec, s[14:15]
.LBB901_527:                            ;   in Loop: Header=BB901_215 Depth=1
	s_or_b64 exec, exec, s[12:13]
	s_waitcnt vmcnt(2)
	v_cmp_ne_u16_sdwa s[14:15], v42, v54 src0_sel:BYTE_0 src1_sel:DWORD
	s_and_saveexec_b64 s[12:13], s[14:15]
	s_cbranch_execz .LBB901_533
; %bb.528:                              ;   in Loop: Header=BB901_215 Depth=1
	v_cmp_ne_u16_sdwa s[16:17], v42, s9 src0_sel:BYTE_0 src1_sel:DWORD
	v_mov_b32_e32 v57, 0xffff8000
	s_and_saveexec_b64 s[14:15], s[16:17]
	s_cbranch_execz .LBB901_532
; %bb.529:                              ;   in Loop: Header=BB901_215 Depth=1
	v_and_b32_e32 v44, 0x7f, v42
	v_cmp_ne_u32_e32 vcc, s21, v44
	v_mov_b32_e32 v57, 0x7f80
	s_and_saveexec_b64 s[16:17], vcc
	s_cbranch_execz .LBB901_531
; %bb.530:                              ;   in Loop: Header=BB901_215 Depth=1
	v_and_b32_e32 v46, 7, v42
	v_ffbh_u32_e32 v59, v46
	v_min_u32_e32 v59, 32, v59
	v_subrev_u32_e32 v60, 28, v59
	v_lshlrev_b64 v[60:61], v60, v[42:43]
	v_lshrrev_b32_e32 v57, 3, v44
	v_sub_u32_e32 v59, 29, v59
	v_and_b32_e32 v60, 7, v60
	v_cmp_gt_u32_e32 vcc, 8, v44
	v_cndmask_b32_e32 v44, v57, v59, vcc
	v_cndmask_b32_e32 v46, v46, v60, vcc
	v_lshlrev_b32_e32 v57, 24, v42
	v_lshlrev_b32_e32 v46, 20, v46
	v_and_b32_e32 v57, 0x80000000, v57
	v_lshl_add_u32 v44, v44, 23, v55
	v_or3_b32 v44, v57, v44, v46
	v_lshrrev_b32_e32 v57, 16, v44
.LBB901_531:                            ;   in Loop: Header=BB901_215 Depth=1
	s_or_b64 exec, exec, s[16:17]
.LBB901_532:                            ;   in Loop: Header=BB901_215 Depth=1
	s_or_b64 exec, exec, s[14:15]
.LBB901_533:                            ;   in Loop: Header=BB901_215 Depth=1
	s_or_b64 exec, exec, s[12:13]
	v_lshrrev_b16_e32 v44, 8, v42
	v_cmp_ne_u16_e32 vcc, 0, v44
	v_mov_b32_e32 v60, 0
	v_mov_b32_e32 v59, 0
	s_and_saveexec_b64 s[12:13], vcc
	s_cbranch_execz .LBB901_539
; %bb.534:                              ;   in Loop: Header=BB901_215 Depth=1
	v_cmp_ne_u16_e32 vcc, s9, v44
	v_mov_b32_e32 v59, 0xffff8000
	s_and_saveexec_b64 s[14:15], vcc
	s_cbranch_execz .LBB901_538
; %bb.535:                              ;   in Loop: Header=BB901_215 Depth=1
	v_and_b32_e32 v46, 0x7f, v44
	v_cmp_ne_u32_e32 vcc, s21, v46
	v_mov_b32_e32 v59, 0x7f80
	s_and_saveexec_b64 s[16:17], vcc
	s_cbranch_execz .LBB901_537
; %bb.536:                              ;   in Loop: Header=BB901_215 Depth=1
	v_and_b32_e32 v59, 7, v44
	v_ffbh_u32_e32 v62, v59
	v_min_u32_e32 v64, 32, v62
	v_subrev_u32_e32 v62, 28, v64
	v_lshlrev_b64 v[62:63], v62, v[44:45]
	v_lshrrev_b32_e32 v61, 3, v46
	v_sub_u32_e32 v44, 29, v64
	v_and_b32_e32 v62, 7, v62
	v_cmp_gt_u32_e32 vcc, 8, v46
	v_cndmask_b32_e32 v44, v61, v44, vcc
	v_cndmask_b32_e32 v46, v59, v62, vcc
	v_lshlrev_b32_e32 v59, 16, v42
	v_lshlrev_b32_e32 v46, 20, v46
	v_and_b32_e32 v59, 0x80000000, v59
	v_lshl_add_u32 v44, v44, 23, v55
	v_or3_b32 v44, v59, v44, v46
	v_lshrrev_b32_e32 v59, 16, v44
.LBB901_537:                            ;   in Loop: Header=BB901_215 Depth=1
	s_or_b64 exec, exec, s[16:17]
.LBB901_538:                            ;   in Loop: Header=BB901_215 Depth=1
	s_or_b64 exec, exec, s[14:15]
.LBB901_539:                            ;   in Loop: Header=BB901_215 Depth=1
	s_or_b64 exec, exec, s[12:13]
	v_lshrrev_b32_e32 v44, 16, v42
	v_cmp_ne_u16_sdwa s[14:15], v44, v54 src0_sel:BYTE_0 src1_sel:DWORD
	s_and_saveexec_b64 s[12:13], s[14:15]
	s_cbranch_execz .LBB901_545
; %bb.540:                              ;   in Loop: Header=BB901_215 Depth=1
	v_cmp_ne_u16_sdwa s[16:17], v44, s9 src0_sel:BYTE_0 src1_sel:DWORD
	v_mov_b32_e32 v60, 0xffff8000
	s_and_saveexec_b64 s[14:15], s[16:17]
	s_cbranch_execz .LBB901_544
; %bb.541:                              ;   in Loop: Header=BB901_215 Depth=1
	v_bfe_u32 v46, v42, 16, 7
	v_cmp_ne_u32_e32 vcc, s21, v46
	v_mov_b32_e32 v60, 0x7f80
	s_and_saveexec_b64 s[16:17], vcc
	s_cbranch_execz .LBB901_543
; %bb.542:                              ;   in Loop: Header=BB901_215 Depth=1
	v_and_b32_e32 v62, 7, v44
	v_ffbh_u32_e32 v60, v62
	v_min_u32_e32 v64, 32, v60
	v_subrev_u32_e32 v60, 28, v64
	v_lshlrev_b64 v[60:61], v60, v[44:45]
	v_lshrrev_b32_e32 v63, 3, v46
	v_sub_u32_e32 v61, 29, v64
	v_and_b32_e32 v60, 7, v60
	v_cmp_gt_u32_e32 vcc, 8, v46
	v_cndmask_b32_e32 v46, v63, v61, vcc
	v_cndmask_b32_e32 v60, v62, v60, vcc
	v_lshlrev_b32_e32 v44, 24, v44
	v_lshlrev_b32_e32 v60, 20, v60
	v_and_b32_e32 v44, 0x80000000, v44
	v_lshl_add_u32 v46, v46, 23, v55
	v_or3_b32 v44, v44, v46, v60
	v_lshrrev_b32_e32 v60, 16, v44
.LBB901_543:                            ;   in Loop: Header=BB901_215 Depth=1
	s_or_b64 exec, exec, s[16:17]
.LBB901_544:                            ;   in Loop: Header=BB901_215 Depth=1
	s_or_b64 exec, exec, s[14:15]
.LBB901_545:                            ;   in Loop: Header=BB901_215 Depth=1
	s_or_b64 exec, exec, s[12:13]
	v_cmp_lt_u32_e32 vcc, s22, v42
	v_mov_b32_e32 v46, 0
	v_mov_b32_e32 v61, 0
	s_and_saveexec_b64 s[12:13], vcc
	s_cbranch_execz .LBB901_551
; %bb.546:                              ;   in Loop: Header=BB901_215 Depth=1
	v_lshrrev_b32_e32 v44, 24, v42
	v_cmp_ne_u32_e32 vcc, s9, v44
	v_mov_b32_e32 v61, 0xffff8000
	s_and_saveexec_b64 s[14:15], vcc
	s_cbranch_execz .LBB901_550
; %bb.547:                              ;   in Loop: Header=BB901_215 Depth=1
	v_bfe_u32 v42, v42, 24, 7
	v_cmp_ne_u32_e32 vcc, s21, v42
	v_mov_b32_e32 v61, 0x7f80
	s_and_saveexec_b64 s[16:17], vcc
	s_cbranch_execz .LBB901_549
; %bb.548:                              ;   in Loop: Header=BB901_215 Depth=1
	v_and_b32_e32 v61, 7, v44
	v_ffbh_u32_e32 v62, v61
	v_min_u32_e32 v65, 32, v62
	v_subrev_u32_e32 v62, 28, v65
	v_lshlrev_b64 v[62:63], v62, v[44:45]
	v_lshrrev_b32_e32 v64, 3, v42
	v_sub_u32_e32 v63, 29, v65
	v_and_b32_e32 v62, 7, v62
	v_cmp_gt_u32_e32 vcc, 8, v42
	v_cndmask_b32_e32 v42, v64, v63, vcc
	v_cndmask_b32_e32 v61, v61, v62, vcc
	v_lshlrev_b32_e32 v44, 24, v44
	v_lshlrev_b32_e32 v61, 20, v61
	v_and_b32_e32 v44, 0x80000000, v44
	v_lshl_add_u32 v42, v42, 23, v55
	v_or3_b32 v42, v44, v42, v61
	v_lshrrev_b32_e32 v61, 16, v42
.LBB901_549:                            ;   in Loop: Header=BB901_215 Depth=1
	s_or_b64 exec, exec, s[16:17]
.LBB901_550:                            ;   in Loop: Header=BB901_215 Depth=1
	s_or_b64 exec, exec, s[14:15]
.LBB901_551:                            ;   in Loop: Header=BB901_215 Depth=1
	s_or_b64 exec, exec, s[12:13]
	v_perm_b32 v63, v58, v56, s23
	v_perm_b32 v62, v50, v51, s23
	;; [unrolled: 1-line block ×4, first 2 shown]
	s_waitcnt vmcnt(1)
	v_cmp_ne_u16_sdwa s[14:15], v40, v54 src0_sel:BYTE_0 src1_sel:DWORD
	v_mfma_f32_16x16x16bf16_1k v[34:37], v[62:63], v[26:27], v[34:37]
	v_mfma_f32_16x16x16bf16_1k v[34:37], v[50:51], v[28:29], v[34:37]
	s_and_saveexec_b64 s[12:13], s[14:15]
	s_cbranch_execz .LBB901_557
; %bb.552:                              ;   in Loop: Header=BB901_215 Depth=1
	v_cmp_ne_u16_sdwa s[16:17], v40, s9 src0_sel:BYTE_0 src1_sel:DWORD
	v_mov_b32_e32 v46, 0xffff8000
	s_and_saveexec_b64 s[14:15], s[16:17]
	s_cbranch_execz .LBB901_556
; %bb.553:                              ;   in Loop: Header=BB901_215 Depth=1
	v_and_b32_e32 v42, 0x7f, v40
	v_cmp_ne_u32_e32 vcc, s21, v42
	v_mov_b32_e32 v46, 0x7f80
	s_and_saveexec_b64 s[16:17], vcc
	s_cbranch_execz .LBB901_555
; %bb.554:                              ;   in Loop: Header=BB901_215 Depth=1
	v_and_b32_e32 v44, 7, v40
	v_ffbh_u32_e32 v50, v44
	v_min_u32_e32 v56, 32, v50
	v_subrev_u32_e32 v50, 28, v56
	v_lshlrev_b64 v[50:51], v50, v[40:41]
	v_lshrrev_b32_e32 v46, 3, v42
	v_sub_u32_e32 v51, 29, v56
	v_and_b32_e32 v50, 7, v50
	v_cmp_gt_u32_e32 vcc, 8, v42
	v_cndmask_b32_e32 v42, v46, v51, vcc
	v_cndmask_b32_e32 v44, v44, v50, vcc
	v_lshlrev_b32_e32 v46, 24, v40
	v_lshlrev_b32_e32 v44, 20, v44
	v_and_b32_e32 v46, 0x80000000, v46
	v_lshl_add_u32 v42, v42, 23, v55
	v_or3_b32 v42, v46, v42, v44
	v_lshrrev_b32_e32 v46, 16, v42
.LBB901_555:                            ;   in Loop: Header=BB901_215 Depth=1
	s_or_b64 exec, exec, s[16:17]
.LBB901_556:                            ;   in Loop: Header=BB901_215 Depth=1
	s_or_b64 exec, exec, s[14:15]
.LBB901_557:                            ;   in Loop: Header=BB901_215 Depth=1
	s_or_b64 exec, exec, s[12:13]
	v_lshrrev_b16_e32 v42, 8, v40
	v_cmp_ne_u16_e32 vcc, 0, v42
	v_mov_b32_e32 v50, 0
	v_mov_b32_e32 v44, 0
	s_and_saveexec_b64 s[12:13], vcc
	s_cbranch_execz .LBB901_563
; %bb.558:                              ;   in Loop: Header=BB901_215 Depth=1
	v_cmp_ne_u16_e32 vcc, s9, v42
	v_mov_b32_e32 v44, 0xffff8000
	s_and_saveexec_b64 s[14:15], vcc
	s_cbranch_execz .LBB901_562
; %bb.559:                              ;   in Loop: Header=BB901_215 Depth=1
	v_and_b32_e32 v51, 0x7f, v42
	v_cmp_ne_u32_e32 vcc, s21, v51
	v_mov_b32_e32 v44, 0x7f80
	s_and_saveexec_b64 s[16:17], vcc
	s_cbranch_execz .LBB901_561
; %bb.560:                              ;   in Loop: Header=BB901_215 Depth=1
	v_and_b32_e32 v44, 7, v42
	v_ffbh_u32_e32 v56, v44
	v_min_u32_e32 v59, 32, v56
	v_subrev_u32_e32 v56, 28, v59
	v_lshlrev_b64 v[56:57], v56, v[42:43]
	v_lshrrev_b32_e32 v58, 3, v51
	v_sub_u32_e32 v42, 29, v59
	v_and_b32_e32 v56, 7, v56
	v_cmp_gt_u32_e32 vcc, 8, v51
	v_cndmask_b32_e32 v42, v58, v42, vcc
	v_cndmask_b32_e32 v44, v44, v56, vcc
	v_lshlrev_b32_e32 v51, 16, v40
	v_lshlrev_b32_e32 v44, 20, v44
	v_and_b32_e32 v51, 0x80000000, v51
	v_lshl_add_u32 v42, v42, 23, v55
	v_or3_b32 v42, v51, v42, v44
	v_lshrrev_b32_e32 v44, 16, v42
.LBB901_561:                            ;   in Loop: Header=BB901_215 Depth=1
	s_or_b64 exec, exec, s[16:17]
.LBB901_562:                            ;   in Loop: Header=BB901_215 Depth=1
	s_or_b64 exec, exec, s[14:15]
.LBB901_563:                            ;   in Loop: Header=BB901_215 Depth=1
	s_or_b64 exec, exec, s[12:13]
	v_lshrrev_b32_e32 v42, 16, v40
	v_cmp_ne_u16_sdwa s[14:15], v42, v54 src0_sel:BYTE_0 src1_sel:DWORD
	s_and_saveexec_b64 s[12:13], s[14:15]
	s_cbranch_execz .LBB901_569
; %bb.564:                              ;   in Loop: Header=BB901_215 Depth=1
	v_cmp_ne_u16_sdwa s[16:17], v42, s9 src0_sel:BYTE_0 src1_sel:DWORD
	v_mov_b32_e32 v50, 0xffff8000
	s_and_saveexec_b64 s[14:15], s[16:17]
	s_cbranch_execz .LBB901_568
; %bb.565:                              ;   in Loop: Header=BB901_215 Depth=1
	v_bfe_u32 v51, v40, 16, 7
	v_cmp_ne_u32_e32 vcc, s21, v51
	v_mov_b32_e32 v50, 0x7f80
	s_and_saveexec_b64 s[16:17], vcc
	s_cbranch_execz .LBB901_567
; %bb.566:                              ;   in Loop: Header=BB901_215 Depth=1
	v_and_b32_e32 v50, 7, v42
	v_ffbh_u32_e32 v56, v50
	v_min_u32_e32 v59, 32, v56
	v_subrev_u32_e32 v56, 28, v59
	v_lshlrev_b64 v[56:57], v56, v[42:43]
	v_lshrrev_b32_e32 v58, 3, v51
	v_sub_u32_e32 v57, 29, v59
	v_and_b32_e32 v56, 7, v56
	v_cmp_gt_u32_e32 vcc, 8, v51
	v_cndmask_b32_e32 v51, v58, v57, vcc
	v_cndmask_b32_e32 v50, v50, v56, vcc
	v_lshlrev_b32_e32 v42, 24, v42
	v_lshlrev_b32_e32 v50, 20, v50
	v_and_b32_e32 v42, 0x80000000, v42
	v_lshl_add_u32 v51, v51, 23, v55
	v_or3_b32 v42, v42, v51, v50
	v_lshrrev_b32_e32 v50, 16, v42
.LBB901_567:                            ;   in Loop: Header=BB901_215 Depth=1
	s_or_b64 exec, exec, s[16:17]
.LBB901_568:                            ;   in Loop: Header=BB901_215 Depth=1
	s_or_b64 exec, exec, s[14:15]
.LBB901_569:                            ;   in Loop: Header=BB901_215 Depth=1
	s_or_b64 exec, exec, s[12:13]
	v_cmp_lt_u32_e32 vcc, s22, v40
	v_mov_b32_e32 v51, 0
	v_mov_b32_e32 v56, 0
	s_and_saveexec_b64 s[12:13], vcc
	s_cbranch_execz .LBB901_575
; %bb.570:                              ;   in Loop: Header=BB901_215 Depth=1
	v_lshrrev_b32_e32 v42, 24, v40
	v_cmp_ne_u32_e32 vcc, s9, v42
	v_mov_b32_e32 v56, 0xffff8000
	s_and_saveexec_b64 s[14:15], vcc
	s_cbranch_execz .LBB901_574
; %bb.571:                              ;   in Loop: Header=BB901_215 Depth=1
	v_bfe_u32 v40, v40, 24, 7
	v_cmp_ne_u32_e32 vcc, s21, v40
	v_mov_b32_e32 v56, 0x7f80
	s_and_saveexec_b64 s[16:17], vcc
	s_cbranch_execz .LBB901_573
; %bb.572:                              ;   in Loop: Header=BB901_215 Depth=1
	v_and_b32_e32 v58, 7, v42
	v_ffbh_u32_e32 v56, v58
	v_min_u32_e32 v60, 32, v56
	v_subrev_u32_e32 v56, 28, v60
	v_lshlrev_b64 v[56:57], v56, v[42:43]
	v_lshrrev_b32_e32 v59, 3, v40
	v_sub_u32_e32 v57, 29, v60
	v_and_b32_e32 v56, 7, v56
	v_cmp_gt_u32_e32 vcc, 8, v40
	v_cndmask_b32_e32 v40, v59, v57, vcc
	v_cndmask_b32_e32 v56, v58, v56, vcc
	v_lshlrev_b32_e32 v42, 24, v42
	v_lshlrev_b32_e32 v56, 20, v56
	v_and_b32_e32 v42, 0x80000000, v42
	v_lshl_add_u32 v40, v40, 23, v55
	v_or3_b32 v40, v42, v40, v56
	v_lshrrev_b32_e32 v56, 16, v40
.LBB901_573:                            ;   in Loop: Header=BB901_215 Depth=1
	s_or_b64 exec, exec, s[16:17]
.LBB901_574:                            ;   in Loop: Header=BB901_215 Depth=1
	s_or_b64 exec, exec, s[14:15]
.LBB901_575:                            ;   in Loop: Header=BB901_215 Depth=1
	s_or_b64 exec, exec, s[12:13]
	s_waitcnt vmcnt(0)
	v_cmp_ne_u16_sdwa s[14:15], v38, v54 src0_sel:BYTE_0 src1_sel:DWORD
	s_and_saveexec_b64 s[12:13], s[14:15]
	s_cbranch_execz .LBB901_581
; %bb.576:                              ;   in Loop: Header=BB901_215 Depth=1
	v_cmp_ne_u16_sdwa s[16:17], v38, s9 src0_sel:BYTE_0 src1_sel:DWORD
	v_mov_b32_e32 v51, 0xffff8000
	s_and_saveexec_b64 s[14:15], s[16:17]
	s_cbranch_execz .LBB901_580
; %bb.577:                              ;   in Loop: Header=BB901_215 Depth=1
	v_and_b32_e32 v40, 0x7f, v38
	v_cmp_ne_u32_e32 vcc, s21, v40
	v_mov_b32_e32 v51, 0x7f80
	s_and_saveexec_b64 s[16:17], vcc
	s_cbranch_execz .LBB901_579
; %bb.578:                              ;   in Loop: Header=BB901_215 Depth=1
	v_and_b32_e32 v42, 7, v38
	v_ffbh_u32_e32 v57, v42
	v_min_u32_e32 v57, 32, v57
	v_subrev_u32_e32 v58, 28, v57
	v_lshlrev_b64 v[58:59], v58, v[38:39]
	v_lshrrev_b32_e32 v51, 3, v40
	v_sub_u32_e32 v57, 29, v57
	v_and_b32_e32 v58, 7, v58
	v_cmp_gt_u32_e32 vcc, 8, v40
	v_cndmask_b32_e32 v40, v51, v57, vcc
	v_cndmask_b32_e32 v42, v42, v58, vcc
	v_lshlrev_b32_e32 v51, 24, v38
	v_lshlrev_b32_e32 v42, 20, v42
	v_and_b32_e32 v51, 0x80000000, v51
	v_lshl_add_u32 v40, v40, 23, v55
	v_or3_b32 v40, v51, v40, v42
	v_lshrrev_b32_e32 v51, 16, v40
.LBB901_579:                            ;   in Loop: Header=BB901_215 Depth=1
	s_or_b64 exec, exec, s[16:17]
.LBB901_580:                            ;   in Loop: Header=BB901_215 Depth=1
	s_or_b64 exec, exec, s[14:15]
.LBB901_581:                            ;   in Loop: Header=BB901_215 Depth=1
	s_or_b64 exec, exec, s[12:13]
	v_lshrrev_b16_e32 v40, 8, v38
	v_cmp_ne_u16_e32 vcc, 0, v40
	v_mov_b32_e32 v57, 0
	v_mov_b32_e32 v42, 0
	s_and_saveexec_b64 s[12:13], vcc
	s_cbranch_execz .LBB901_587
; %bb.582:                              ;   in Loop: Header=BB901_215 Depth=1
	v_cmp_ne_u16_e32 vcc, s9, v40
	v_mov_b32_e32 v42, 0xffff8000
	s_and_saveexec_b64 s[14:15], vcc
	s_cbranch_execz .LBB901_586
; %bb.583:                              ;   in Loop: Header=BB901_215 Depth=1
	v_and_b32_e32 v58, 0x7f, v40
	v_cmp_ne_u32_e32 vcc, s21, v58
	v_mov_b32_e32 v42, 0x7f80
	s_and_saveexec_b64 s[16:17], vcc
	s_cbranch_execz .LBB901_585
; %bb.584:                              ;   in Loop: Header=BB901_215 Depth=1
	v_and_b32_e32 v42, 7, v40
	v_ffbh_u32_e32 v60, v42
	v_min_u32_e32 v62, 32, v60
	v_subrev_u32_e32 v60, 28, v62
	v_lshlrev_b64 v[60:61], v60, v[40:41]
	v_lshrrev_b32_e32 v59, 3, v58
	v_sub_u32_e32 v40, 29, v62
	v_and_b32_e32 v60, 7, v60
	v_cmp_gt_u32_e32 vcc, 8, v58
	v_cndmask_b32_e32 v40, v59, v40, vcc
	v_cndmask_b32_e32 v42, v42, v60, vcc
	v_lshlrev_b32_e32 v58, 16, v38
	v_lshlrev_b32_e32 v42, 20, v42
	v_and_b32_e32 v58, 0x80000000, v58
	v_lshl_add_u32 v40, v40, 23, v55
	v_or3_b32 v40, v58, v40, v42
	v_lshrrev_b32_e32 v42, 16, v40
.LBB901_585:                            ;   in Loop: Header=BB901_215 Depth=1
	s_or_b64 exec, exec, s[16:17]
.LBB901_586:                            ;   in Loop: Header=BB901_215 Depth=1
	s_or_b64 exec, exec, s[14:15]
.LBB901_587:                            ;   in Loop: Header=BB901_215 Depth=1
	s_or_b64 exec, exec, s[12:13]
	v_lshrrev_b32_e32 v40, 16, v38
	v_cmp_ne_u16_sdwa s[14:15], v40, v54 src0_sel:BYTE_0 src1_sel:DWORD
	s_and_saveexec_b64 s[12:13], s[14:15]
	s_cbranch_execz .LBB901_593
; %bb.588:                              ;   in Loop: Header=BB901_215 Depth=1
	v_cmp_ne_u16_sdwa s[16:17], v40, s9 src0_sel:BYTE_0 src1_sel:DWORD
	v_mov_b32_e32 v57, 0xffff8000
	s_and_saveexec_b64 s[14:15], s[16:17]
	s_cbranch_execz .LBB901_592
; %bb.589:                              ;   in Loop: Header=BB901_215 Depth=1
	v_bfe_u32 v58, v38, 16, 7
	v_cmp_ne_u32_e32 vcc, s21, v58
	v_mov_b32_e32 v57, 0x7f80
	s_and_saveexec_b64 s[16:17], vcc
	s_cbranch_execz .LBB901_591
; %bb.590:                              ;   in Loop: Header=BB901_215 Depth=1
	v_and_b32_e32 v57, 7, v40
	v_ffbh_u32_e32 v60, v57
	v_min_u32_e32 v62, 32, v60
	v_subrev_u32_e32 v60, 28, v62
	v_lshlrev_b64 v[60:61], v60, v[40:41]
	v_lshrrev_b32_e32 v59, 3, v58
	v_sub_u32_e32 v61, 29, v62
	v_and_b32_e32 v60, 7, v60
	v_cmp_gt_u32_e32 vcc, 8, v58
	v_cndmask_b32_e32 v58, v59, v61, vcc
	v_cndmask_b32_e32 v57, v57, v60, vcc
	v_lshlrev_b32_e32 v40, 24, v40
	v_lshlrev_b32_e32 v57, 20, v57
	v_and_b32_e32 v40, 0x80000000, v40
	v_lshl_add_u32 v58, v58, 23, v55
	v_or3_b32 v40, v40, v58, v57
	v_lshrrev_b32_e32 v57, 16, v40
.LBB901_591:                            ;   in Loop: Header=BB901_215 Depth=1
	s_or_b64 exec, exec, s[16:17]
.LBB901_592:                            ;   in Loop: Header=BB901_215 Depth=1
	s_or_b64 exec, exec, s[14:15]
.LBB901_593:                            ;   in Loop: Header=BB901_215 Depth=1
	s_or_b64 exec, exec, s[12:13]
	v_cmp_lt_u32_e32 vcc, s22, v38
	v_mov_b32_e32 v58, 0
	s_and_saveexec_b64 s[12:13], vcc
	s_cbranch_execz .LBB901_214
; %bb.594:                              ;   in Loop: Header=BB901_215 Depth=1
	v_lshrrev_b32_e32 v40, 24, v38
	v_cmp_ne_u32_e32 vcc, s9, v40
	v_mov_b32_e32 v58, 0xffff8000
	s_and_saveexec_b64 s[14:15], vcc
	s_cbranch_execz .LBB901_213
; %bb.595:                              ;   in Loop: Header=BB901_215 Depth=1
	v_bfe_u32 v38, v38, 24, 7
	v_cmp_ne_u32_e32 vcc, s21, v38
	v_mov_b32_e32 v58, 0x7f80
	s_and_saveexec_b64 s[16:17], vcc
	s_cbranch_execz .LBB901_212
; %bb.596:                              ;   in Loop: Header=BB901_215 Depth=1
	v_and_b32_e32 v60, 7, v40
	v_ffbh_u32_e32 v58, v60
	v_min_u32_e32 v62, 32, v58
	v_subrev_u32_e32 v58, 28, v62
	v_lshlrev_b64 v[58:59], v58, v[40:41]
	v_lshrrev_b32_e32 v61, 3, v38
	v_sub_u32_e32 v59, 29, v62
	v_and_b32_e32 v58, 7, v58
	v_cmp_gt_u32_e32 vcc, 8, v38
	v_cndmask_b32_e32 v38, v61, v59, vcc
	v_cndmask_b32_e32 v58, v60, v58, vcc
	v_lshlrev_b32_e32 v40, 24, v40
	v_lshlrev_b32_e32 v58, 20, v58
	v_and_b32_e32 v40, 0x80000000, v40
	v_lshl_add_u32 v38, v38, 23, v55
	v_or3_b32 v38, v40, v38, v58
	v_lshrrev_b32_e32 v58, 16, v38
	s_branch .LBB901_212
.LBB901_597:
	s_barrier
	buffer_load_dword v2, off, s[0:3], 0 offset:320
	buffer_load_dword v5, off, s[0:3], 0 offset:332
	;; [unrolled: 1-line block ×4, first 2 shown]
	v_cmp_gt_u32_e32 vcc, 64, v0
	s_waitcnt vmcnt(0)
	ds_write2st64_b64 v52, v[2:3], v[4:5] offset1:1
	s_waitcnt lgkmcnt(0)
	s_barrier
	s_and_saveexec_b64 s[4:5], vcc
	s_cbranch_execz .LBB901_599
; %bb.598:
	s_lshl_b32 s6, s48, 7
	s_mul_i32 s4, s18, s8
	s_mul_hi_u32 s5, s4, s6
	s_mul_i32 s4, s4, s6
	s_lshl_b64 s[4:5], s[4:5], 1
	s_add_u32 s7, s50, s4
	v_lshlrev_b32_e32 v4, 6, v41
	s_addc_u32 s8, s51, s5
	s_lshl_b32 s4, s26, 7
	s_mov_b32 s5, 0
	v_lshl_or_b32 v0, v0, 10, v4
	s_lshl_b64 s[4:5], s[4:5], 1
	v_lshlrev_b32_e32 v2, 5, v1
	v_and_b32_e32 v3, 16, v43
	v_and_b32_e32 v0, 0x1a00, v0
	s_add_u32 s4, s7, s4
	v_or3_b32 v0, v0, v2, v3
	s_addc_u32 s5, s8, s5
	ds_read_b128 v[2:5], v0
	ds_read_b128 v[6:9], v0 offset:128
	v_mov_b32_e32 v0, s5
	v_add_co_u32_e32 v10, vcc, s4, v39
	v_or_b32_e32 v12, s27, v1
	v_addc_co_u32_e32 v11, vcc, 0, v0, vcc
	v_mad_u64_u32 v[0:1], s[4:5], v12, s6, 0
	v_lshlrev_b64 v[0:1], 1, v[0:1]
	v_add_co_u32_e32 v0, vcc, v10, v0
	v_addc_co_u32_e32 v1, vcc, v11, v1, vcc
	s_waitcnt lgkmcnt(1)
	global_store_dwordx4 v[0:1], v[2:5], off
	v_or_b32_e32 v0, 4, v12
	v_mad_u64_u32 v[0:1], s[4:5], v0, s6, 0
	v_lshlrev_b64 v[0:1], 1, v[0:1]
	v_add_co_u32_e32 v0, vcc, v10, v0
	v_addc_co_u32_e32 v1, vcc, v11, v1, vcc
	s_waitcnt lgkmcnt(0)
	global_store_dwordx4 v[0:1], v[6:9], off
.LBB901_599:
	s_endpgm
	.section	.rodata,"a",@progbits
	.p2align	6, 0x0
	.amdhsa_kernel _Z39paged_attention_ll4mi_QKV_mfma16_kernelI14__hip_bfloat16hLN4vllm18Fp8KVCacheDataTypeE1ES0_Li16ELi128ELi256ELb1ELi8EL8MFMAType0EEvPKT_PKT0_S9_ifPKiSB_SB_iPKfiiiPfSE_PS4_PT2_iSD_SD_
		.amdhsa_group_segment_fixed_size 8192
		.amdhsa_private_segment_fixed_size 352
		.amdhsa_kernarg_size 400
		.amdhsa_user_sgpr_count 8
		.amdhsa_user_sgpr_private_segment_buffer 1
		.amdhsa_user_sgpr_dispatch_ptr 0
		.amdhsa_user_sgpr_queue_ptr 0
		.amdhsa_user_sgpr_kernarg_segment_ptr 1
		.amdhsa_user_sgpr_dispatch_id 0
		.amdhsa_user_sgpr_flat_scratch_init 1
		.amdhsa_user_sgpr_kernarg_preload_length 0
		.amdhsa_user_sgpr_kernarg_preload_offset 0
		.amdhsa_user_sgpr_private_segment_size 0
		.amdhsa_uses_dynamic_stack 0
		.amdhsa_system_sgpr_private_segment_wavefront_offset 1
		.amdhsa_system_sgpr_workgroup_id_x 1
		.amdhsa_system_sgpr_workgroup_id_y 1
		.amdhsa_system_sgpr_workgroup_id_z 1
		.amdhsa_system_sgpr_workgroup_info 0
		.amdhsa_system_vgpr_workitem_id 0
		.amdhsa_next_free_vgpr 80
		.amdhsa_next_free_sgpr 53
		.amdhsa_accum_offset 80
		.amdhsa_reserve_vcc 1
		.amdhsa_reserve_flat_scratch 0
		.amdhsa_float_round_mode_32 0
		.amdhsa_float_round_mode_16_64 0
		.amdhsa_float_denorm_mode_32 3
		.amdhsa_float_denorm_mode_16_64 3
		.amdhsa_dx10_clamp 1
		.amdhsa_ieee_mode 1
		.amdhsa_fp16_overflow 0
		.amdhsa_tg_split 0
		.amdhsa_exception_fp_ieee_invalid_op 0
		.amdhsa_exception_fp_denorm_src 0
		.amdhsa_exception_fp_ieee_div_zero 0
		.amdhsa_exception_fp_ieee_overflow 0
		.amdhsa_exception_fp_ieee_underflow 0
		.amdhsa_exception_fp_ieee_inexact 0
		.amdhsa_exception_int_div_zero 0
	.end_amdhsa_kernel
	.section	.text._Z39paged_attention_ll4mi_QKV_mfma16_kernelI14__hip_bfloat16hLN4vllm18Fp8KVCacheDataTypeE1ES0_Li16ELi128ELi256ELb1ELi8EL8MFMAType0EEvPKT_PKT0_S9_ifPKiSB_SB_iPKfiiiPfSE_PS4_PT2_iSD_SD_,"axG",@progbits,_Z39paged_attention_ll4mi_QKV_mfma16_kernelI14__hip_bfloat16hLN4vllm18Fp8KVCacheDataTypeE1ES0_Li16ELi128ELi256ELb1ELi8EL8MFMAType0EEvPKT_PKT0_S9_ifPKiSB_SB_iPKfiiiPfSE_PS4_PT2_iSD_SD_,comdat
.Lfunc_end901:
	.size	_Z39paged_attention_ll4mi_QKV_mfma16_kernelI14__hip_bfloat16hLN4vllm18Fp8KVCacheDataTypeE1ES0_Li16ELi128ELi256ELb1ELi8EL8MFMAType0EEvPKT_PKT0_S9_ifPKiSB_SB_iPKfiiiPfSE_PS4_PT2_iSD_SD_, .Lfunc_end901-_Z39paged_attention_ll4mi_QKV_mfma16_kernelI14__hip_bfloat16hLN4vllm18Fp8KVCacheDataTypeE1ES0_Li16ELi128ELi256ELb1ELi8EL8MFMAType0EEvPKT_PKT0_S9_ifPKiSB_SB_iPKfiiiPfSE_PS4_PT2_iSD_SD_
                                        ; -- End function
	.section	.AMDGPU.csdata,"",@progbits
; Kernel info:
; codeLenInByte = 22420
; NumSgprs: 57
; NumVgprs: 80
; NumAgprs: 0
; TotalNumVgprs: 80
; ScratchSize: 352
; MemoryBound: 0
; FloatMode: 240
; IeeeMode: 1
; LDSByteSize: 8192 bytes/workgroup (compile time only)
; SGPRBlocks: 7
; VGPRBlocks: 9
; NumSGPRsForWavesPerEU: 57
; NumVGPRsForWavesPerEU: 80
; AccumOffset: 80
; Occupancy: 6
; WaveLimiterHint : 1
; COMPUTE_PGM_RSRC2:SCRATCH_EN: 1
; COMPUTE_PGM_RSRC2:USER_SGPR: 8
; COMPUTE_PGM_RSRC2:TRAP_HANDLER: 0
; COMPUTE_PGM_RSRC2:TGID_X_EN: 1
; COMPUTE_PGM_RSRC2:TGID_Y_EN: 1
; COMPUTE_PGM_RSRC2:TGID_Z_EN: 1
; COMPUTE_PGM_RSRC2:TIDIG_COMP_CNT: 0
; COMPUTE_PGM_RSRC3_GFX90A:ACCUM_OFFSET: 19
; COMPUTE_PGM_RSRC3_GFX90A:TG_SPLIT: 0
	.section	.text._Z39paged_attention_ll4mi_QKV_mfma16_kernelI14__hip_bfloat16hLN4vllm18Fp8KVCacheDataTypeE1ES0_Li16ELi128ELi256ELb1ELi9EL8MFMAType0EEvPKT_PKT0_S9_ifPKiSB_SB_iPKfiiiPfSE_PS4_PT2_iSD_SD_,"axG",@progbits,_Z39paged_attention_ll4mi_QKV_mfma16_kernelI14__hip_bfloat16hLN4vllm18Fp8KVCacheDataTypeE1ES0_Li16ELi128ELi256ELb1ELi9EL8MFMAType0EEvPKT_PKT0_S9_ifPKiSB_SB_iPKfiiiPfSE_PS4_PT2_iSD_SD_,comdat
	.protected	_Z39paged_attention_ll4mi_QKV_mfma16_kernelI14__hip_bfloat16hLN4vllm18Fp8KVCacheDataTypeE1ES0_Li16ELi128ELi256ELb1ELi9EL8MFMAType0EEvPKT_PKT0_S9_ifPKiSB_SB_iPKfiiiPfSE_PS4_PT2_iSD_SD_ ; -- Begin function _Z39paged_attention_ll4mi_QKV_mfma16_kernelI14__hip_bfloat16hLN4vllm18Fp8KVCacheDataTypeE1ES0_Li16ELi128ELi256ELb1ELi9EL8MFMAType0EEvPKT_PKT0_S9_ifPKiSB_SB_iPKfiiiPfSE_PS4_PT2_iSD_SD_
	.globl	_Z39paged_attention_ll4mi_QKV_mfma16_kernelI14__hip_bfloat16hLN4vllm18Fp8KVCacheDataTypeE1ES0_Li16ELi128ELi256ELb1ELi9EL8MFMAType0EEvPKT_PKT0_S9_ifPKiSB_SB_iPKfiiiPfSE_PS4_PT2_iSD_SD_
	.p2align	8
	.type	_Z39paged_attention_ll4mi_QKV_mfma16_kernelI14__hip_bfloat16hLN4vllm18Fp8KVCacheDataTypeE1ES0_Li16ELi128ELi256ELb1ELi9EL8MFMAType0EEvPKT_PKT0_S9_ifPKiSB_SB_iPKfiiiPfSE_PS4_PT2_iSD_SD_,@function
_Z39paged_attention_ll4mi_QKV_mfma16_kernelI14__hip_bfloat16hLN4vllm18Fp8KVCacheDataTypeE1ES0_Li16ELi128ELi256ELb1ELi9EL8MFMAType0EEvPKT_PKT0_S9_ifPKiSB_SB_iPKfiiiPfSE_PS4_PT2_iSD_SD_: ; @_Z39paged_attention_ll4mi_QKV_mfma16_kernelI14__hip_bfloat16hLN4vllm18Fp8KVCacheDataTypeE1ES0_Li16ELi128ELi256ELb1ELi9EL8MFMAType0EEvPKT_PKT0_S9_ifPKiSB_SB_iPKfiiiPfSE_PS4_PT2_iSD_SD_
; %bb.0:
	s_load_dwordx2 s[6:7], s[4:5], 0x30
	s_add_u32 s0, s0, s11
	s_addc_u32 s1, s1, 0
	s_mov_b32 s26, s9
	s_mov_b64 s[14:15], 0
	s_waitcnt lgkmcnt(0)
	s_cmp_lg_u64 s[6:7], 0
	s_cselect_b64 s[12:13], -1, 0
	s_and_b64 vcc, exec, s[12:13]
	s_cbranch_vccz .LBB902_7
; %bb.1:
	s_add_i32 s16, s8, 1
	s_mov_b32 s17, 0
	s_lshl_b64 s[18:19], s[16:17], 2
	s_add_u32 s18, s6, s18
	s_mov_b32 s9, s17
	s_addc_u32 s19, s7, s19
	s_lshl_b64 s[16:17], s[8:9], 2
	s_add_u32 s16, s6, s16
	s_addc_u32 s17, s7, s17
	s_load_dword s11, s[18:19], 0x0
	s_load_dword s20, s[16:17], 0x0
	s_waitcnt lgkmcnt(0)
	s_sub_i32 s11, s11, s20
	s_cmp_eq_u32 s11, 1
	s_cselect_b64 s[16:17], -1, 0
	s_andn2_b64 vcc, exec, s[14:15]
	s_cbranch_vccnz .LBB902_3
.LBB902_2:
	s_mov_b32 s9, 0
	s_mov_b64 s[16:17], -1
.LBB902_3:
	s_andn2_b64 vcc, exec, s[16:17]
	s_cbranch_vccnz .LBB902_600
; %bb.4:
	s_load_dwordx2 s[16:17], s[4:5], 0x28
	s_lshl_b64 s[14:15], s[8:9], 2
	s_waitcnt lgkmcnt(0)
	s_add_u32 s16, s16, s14
	s_addc_u32 s17, s17, s15
	s_load_dword s33, s[16:17], 0x0
	s_lshl_b32 s20, s26, 8
	s_waitcnt lgkmcnt(0)
	s_cmp_ge_i32 s20, s33
	s_cbranch_scc1 .LBB902_600
; %bb.5:
	s_add_i32 s18, s33, 15
	s_load_dwordx2 s[16:17], s[4:5], 0x20
	s_load_dword s11, s[4:5], 0x38
	s_ashr_i32 s19, s18, 31
	v_and_b32_e32 v1, 0xcf, v0
	s_lshr_b32 s19, s19, 28
	v_add_u32_e32 v1, s20, v1
	s_add_i32 s18, s18, s19
	v_ashrrev_i32_e32 v2, 31, v1
	s_ashr_i32 s23, s18, 4
	v_lshrrev_b32_e32 v4, 28, v2
	s_add_i32 s23, s23, -1
	v_add_u32_e32 v2, v1, v4
	s_waitcnt lgkmcnt(0)
	s_mul_i32 s18, s8, s11
	s_mov_b32 s19, 0
	v_ashrrev_i32_e32 v2, 4, v2
	v_mov_b32_e32 v5, s23
	v_cmp_gt_i32_e32 vcc, s33, v1
	s_lshl_b64 s[18:19], s[18:19], 2
	v_cndmask_b32_e32 v2, v5, v2, vcc
	s_add_u32 s21, s16, s18
	v_ashrrev_i32_e32 v3, 31, v2
	s_addc_u32 s22, s17, s19
	v_lshlrev_b64 v[2:3], 2, v[2:3]
	v_mov_b32_e32 v7, s22
	v_add_co_u32_e32 v6, vcc, s21, v2
	v_or_b32_e32 v2, 16, v1
	v_addc_co_u32_e32 v7, vcc, v7, v3, vcc
	v_add_u32_e32 v3, v2, v4
	v_ashrrev_i32_e32 v3, 4, v3
	v_cmp_gt_i32_e32 vcc, s33, v2
	v_cndmask_b32_e32 v2, v5, v3, vcc
	v_ashrrev_i32_e32 v3, 31, v2
	v_lshlrev_b64 v[2:3], 2, v[2:3]
	v_mov_b32_e32 v9, s22
	v_add_co_u32_e32 v8, vcc, s21, v2
	v_or_b32_e32 v2, 32, v1
	v_addc_co_u32_e32 v9, vcc, v9, v3, vcc
	v_add_u32_e32 v3, v2, v4
	v_ashrrev_i32_e32 v3, 4, v3
	v_cmp_gt_i32_e32 vcc, s33, v2
	v_cndmask_b32_e32 v2, v5, v3, vcc
	v_ashrrev_i32_e32 v3, 31, v2
	;; [unrolled: 10-line block ×3, first 2 shown]
	v_lshlrev_b64 v[2:3], 2, v[2:3]
	v_mov_b32_e32 v1, s22
	v_add_co_u32_e32 v12, vcc, s21, v2
	v_addc_co_u32_e32 v13, vcc, v1, v3, vcc
	global_load_dword v5, v[6:7], off
	global_load_dword v4, v[8:9], off
	;; [unrolled: 1-line block ×4, first 2 shown]
	s_load_dwordx2 s[16:17], s[4:5], 0x8
	s_andn2_b64 vcc, exec, s[12:13]
	s_cbranch_vccnz .LBB902_8
; %bb.6:
	s_add_u32 s6, s6, s14
	s_addc_u32 s7, s7, s15
	s_load_dword s11, s[6:7], 0x0
	s_branch .LBB902_9
.LBB902_7:
	s_mov_b64 s[16:17], 0
	s_branch .LBB902_2
.LBB902_8:
	s_mov_b32 s11, s8
.LBB902_9:
	s_load_dwordx2 s[6:7], s[4:5], 0x10
	s_load_dwordx4 s[12:15], s[4:5], 0x48
	v_lshrrev_b32_e32 v27, 6, v0
	v_bfe_u32 v1, v0, 4, 2
	v_and_b32_e32 v41, 15, v0
	v_lshl_or_b32 v6, v27, 2, v1
	v_lshlrev_b32_e32 v7, 3, v41
	s_mul_i32 s27, s10, 9
	v_cmp_gt_u32_e32 vcc, 9, v6
	v_lshlrev_b32_e32 v39, 1, v7
	v_lshlrev_b32_e32 v43, 4, v0
	s_and_saveexec_b64 s[18:19], vcc
	s_cbranch_execz .LBB902_11
; %bb.10:
	s_load_dwordx2 s[24:25], s[4:5], 0x0
	s_waitcnt lgkmcnt(0)
	s_ashr_i32 s15, s12, 31
	s_mul_hi_u32 s28, s11, s12
	s_mul_i32 s15, s11, s15
	s_add_i32 s29, s28, s15
	s_mul_i32 s28, s11, s12
	s_lshl_b64 s[28:29], s[28:29], 1
	v_add_lshl_u32 v8, v6, s27, 7
	s_add_u32 s11, s24, s28
	v_ashrrev_i32_e32 v9, 31, v8
	s_addc_u32 s12, s25, s29
	v_lshlrev_b64 v[8:9], 1, v[8:9]
	v_mov_b32_e32 v7, s12
	v_add_co_u32_e32 v8, vcc, s11, v8
	v_addc_co_u32_e32 v7, vcc, v7, v9, vcc
	v_add_co_u32_e32 v8, vcc, v8, v39
	v_addc_co_u32_e32 v9, vcc, 0, v7, vcc
	global_load_dwordx4 v[8:11], v[8:9], off
	v_lshlrev_b32_e32 v12, 8, v0
	v_lshlrev_b32_e32 v7, 8, v41
	v_and_b32_e32 v12, 0x600, v12
	s_movk_i32 s11, 0x800
	v_and_or_b32 v7, v7, s11, v12
	v_lshlrev_b32_e32 v6, 5, v6
	v_and_b32_e32 v12, 16, v43
	v_or3_b32 v6, v7, v6, v12
	s_waitcnt vmcnt(0)
	ds_write_b128 v6, v[8:11]
.LBB902_11:
	s_or_b64 exec, exec, s[18:19]
	s_waitcnt lgkmcnt(0)
	s_mul_i32 s14, s10, s14
	s_add_u32 s10, s16, s14
	s_addc_u32 s11, s17, 0
	v_and_b32_e32 v6, 0xf0, v43
	v_mov_b32_e32 v7, s11
	v_add_co_u32_e32 v6, vcc, s10, v6
	v_and_b32_e32 v18, 48, v0
	v_addc_co_u32_e32 v7, vcc, 0, v7, vcc
	v_lshlrev_b32_e32 v10, 4, v18
	s_waitcnt vmcnt(3)
	v_mad_i64_i32 v[8:9], s[10:11], v5, s13, v[6:7]
	v_add_co_u32_e32 v8, vcc, v8, v10
	v_addc_co_u32_e32 v9, vcc, 0, v9, vcc
	s_waitcnt vmcnt(2)
	v_mad_i64_i32 v[4:5], s[10:11], v4, s13, v[6:7]
	v_add_co_u32_e32 v4, vcc, v4, v10
	v_addc_co_u32_e32 v5, vcc, 0, v5, vcc
	s_load_dwordx2 s[48:49], s[4:5], 0x94
	s_waitcnt lgkmcnt(0)
	s_barrier
	global_load_dwordx4 v[20:23], v[8:9], off
	global_load_dwordx4 v[28:31], v[8:9], off offset:1024
	global_load_dwordx4 v[32:35], v[4:5], off
	global_load_dwordx4 v[44:47], v[4:5], off offset:1024
	s_waitcnt vmcnt(5)
	v_mad_i64_i32 v[4:5], s[10:11], v3, s13, v[6:7]
	v_add_co_u32_e32 v4, vcc, v4, v10
	v_addc_co_u32_e32 v5, vcc, 0, v5, vcc
	s_waitcnt vmcnt(4)
	v_mad_i64_i32 v[2:3], s[10:11], v2, s13, v[6:7]
	v_add_co_u32_e32 v2, vcc, v2, v10
	v_addc_co_u32_e32 v3, vcc, 0, v3, vcc
	global_load_dwordx4 v[48:51], v[4:5], off
	global_load_dwordx4 v[52:55], v[4:5], off offset:1024
	global_load_dwordx4 v[56:59], v[2:3], off
	global_load_dwordx4 v[60:63], v[2:3], off offset:1024
	v_add_u32_e32 v2, -9, v41
	v_cmp_gt_u32_e32 vcc, 9, v41
	v_cndmask_b32_e32 v2, v2, v41, vcc
	v_lshlrev_b32_e32 v2, 5, v2
	v_lshl_add_u32 v14, v1, 9, v2
	s_load_dwordx2 s[50:51], s[4:5], 0x68
	s_load_dwordx4 s[44:47], s[4:5], 0x58
	ds_read_b128 v[2:5], v14
	ds_read_b128 v[6:9], v14 offset:16
	ds_read_b128 v[10:13], v14 offset:2048
	ds_read_b128 v[14:17], v14 offset:2064
	s_mov_b32 s12, 0
	s_waitcnt vmcnt(7)
	buffer_store_dword v23, off, s[0:3], 0 offset:12
	buffer_store_dword v22, off, s[0:3], 0 offset:8
	;; [unrolled: 1-line block ×3, first 2 shown]
	buffer_store_dword v20, off, s[0:3], 0
	s_waitcnt vmcnt(10)
	buffer_store_dword v31, off, s[0:3], 0 offset:28
	buffer_store_dword v30, off, s[0:3], 0 offset:24
	buffer_store_dword v29, off, s[0:3], 0 offset:20
	buffer_store_dword v28, off, s[0:3], 0 offset:16
	s_waitcnt vmcnt(13)
	buffer_store_dword v35, off, s[0:3], 0 offset:44
	buffer_store_dword v34, off, s[0:3], 0 offset:40
	buffer_store_dword v33, off, s[0:3], 0 offset:36
	buffer_store_dword v32, off, s[0:3], 0 offset:32
	;; [unrolled: 5-line block ×7, first 2 shown]
	v_mov_b32_e32 v35, 0
	v_mov_b32_e32 v31, 0
	s_and_saveexec_b64 s[10:11], vcc
	s_cbranch_execz .LBB902_13
; %bb.12:
	s_load_dwordx2 s[16:17], s[4:5], 0x40
	v_add_u32_e32 v20, s27, v41
	v_ashrrev_i32_e32 v21, 31, v20
	v_lshlrev_b64 v[20:21], 2, v[20:21]
	s_waitcnt lgkmcnt(0)
	v_mov_b32_e32 v19, s17
	v_add_co_u32_e32 v20, vcc, s16, v20
	v_addc_co_u32_e32 v21, vcc, v19, v21, vcc
	global_load_dword v31, v[20:21], off
.LBB902_13:
	s_or_b64 exec, exec, s[10:11]
	v_or_b32_e32 v22, s20, v18
	v_ashrrev_i32_e32 v18, 4, v22
	v_mov_b32_e32 v23, s23
	v_cmp_gt_i32_e32 vcc, s33, v22
	v_cndmask_b32_e32 v18, v23, v18, vcc
	v_ashrrev_i32_e32 v19, 31, v18
	v_lshlrev_b64 v[18:19], 2, v[18:19]
	v_mov_b32_e32 v20, s22
	v_add_co_u32_e32 v18, vcc, s21, v18
	v_addc_co_u32_e32 v19, vcc, v20, v19, vcc
	global_load_dword v26, v[18:19], off
	v_or_b32_e32 v18, 64, v22
	v_ashrrev_i32_e32 v19, 4, v18
	v_cmp_gt_i32_e32 vcc, s33, v18
	v_cndmask_b32_e32 v18, v23, v19, vcc
	v_ashrrev_i32_e32 v19, 31, v18
	v_lshlrev_b64 v[18:19], 2, v[18:19]
	v_add_co_u32_e32 v18, vcc, s21, v18
	v_addc_co_u32_e32 v19, vcc, v20, v19, vcc
	v_or_b32_e32 v20, 0x80, v22
	v_ashrrev_i32_e32 v21, 4, v20
	v_cmp_gt_i32_e32 vcc, s33, v20
	v_cndmask_b32_e32 v20, v23, v21, vcc
	v_ashrrev_i32_e32 v21, 31, v20
	v_lshlrev_b64 v[20:21], 2, v[20:21]
	v_mov_b32_e32 v24, s22
	v_add_co_u32_e32 v20, vcc, s21, v20
	v_addc_co_u32_e32 v21, vcc, v24, v21, vcc
	global_load_dword v28, v[18:19], off
	global_load_dword v30, v[20:21], off
	v_or_b32_e32 v18, 0xc0, v22
	v_ashrrev_i32_e32 v19, 4, v18
	v_cmp_gt_i32_e32 vcc, s33, v18
	v_cndmask_b32_e32 v18, v23, v19, vcc
	v_ashrrev_i32_e32 v19, 31, v18
	v_lshlrev_b64 v[18:19], 2, v[18:19]
	v_mov_b32_e32 v20, s22
	v_add_co_u32_e32 v18, vcc, s21, v18
	v_addc_co_u32_e32 v19, vcc, v20, v19, vcc
	global_load_dword v34, v[18:19], off
	s_add_u32 s10, s6, s14
	v_lshl_or_b32 v29, v27, 4, v41
	s_addc_u32 s6, s7, 0
	v_lshlrev_b32_e32 v18, 4, v29
	v_mov_b32_e32 v19, s6
	v_add_co_u32_e32 v22, vcc, s10, v18
	v_addc_co_u32_e32 v23, vcc, 0, v19, vcc
	v_or_b32_e32 v24, 0x400, v18
	v_mov_b32_e32 v25, s6
	v_add_co_u32_e32 v24, vcc, s10, v24
	v_addc_co_u32_e32 v25, vcc, 0, v25, vcc
	v_mov_b32_e32 v36, 0
	s_movk_i32 s14, 0x7f
	s_mov_b32 s15, 0xffffff
	s_mov_b32 s16, 0x5040100
	v_mov_b32_e32 v37, 0x100
	v_bfrev_b32_e32 v38, 60
	s_waitcnt vmcnt(3)
	v_mad_i64_i32 v[18:19], s[6:7], v26, s13, v[22:23]
	global_load_dwordx4 v[18:21], v[18:19], off
	v_mad_i64_i32 v[32:33], s[6:7], v26, s13, v[24:25]
	global_load_dwordx4 v[52:55], v[32:33], off
	s_waitcnt vmcnt(4)
	v_mad_i64_i32 v[32:33], s[6:7], v28, s13, v[22:23]
	global_load_dwordx4 v[56:59], v[32:33], off
	s_waitcnt vmcnt(4)
	;; [unrolled: 3-line block ×3, first 2 shown]
	v_mad_i64_i32 v[22:23], s[6:7], v34, s13, v[22:23]
	global_load_dwordx4 v[64:67], v[22:23], off
	v_mad_i64_i32 v[22:23], s[6:7], v28, s13, v[24:25]
	global_load_dwordx4 v[68:71], v[22:23], off
	;; [unrolled: 2-line block ×4, first 2 shown]
	s_load_dword s6, s[4:5], 0x1c
	s_load_dwordx4 s[40:43], s[4:5], 0x80
	v_mov_b32_e32 v22, 0x80
	v_add_u32_e32 v45, 16, v22
	v_add_u32_e32 v46, 32, v22
	;; [unrolled: 1-line block ×3, first 2 shown]
	s_waitcnt lgkmcnt(0)
	s_load_dword s4, s[40:41], 0x0
	v_add_u32_e32 v51, 64, v22
	v_add_u32_e32 v48, 0x50, v22
	;; [unrolled: 1-line block ×4, first 2 shown]
	v_mov_b32_e32 v22, s6
	s_waitcnt lgkmcnt(0)
	v_mul_f32_e32 v22, s4, v22
	v_and_b32_e32 v33, 63, v0
	s_movk_i32 s13, 0x80
	v_mov_b32_e32 v24, v22
	v_mov_b32_e32 v25, v22
	s_waitcnt vmcnt(7)
	buffer_store_dword v21, off, s[0:3], 0 offset:140
	buffer_store_dword v20, off, s[0:3], 0 offset:136
	buffer_store_dword v19, off, s[0:3], 0 offset:132
	buffer_store_dword v18, off, s[0:3], 0 offset:128
	s_waitcnt vmcnt(10)
	buffer_store_dword v55, off, s[0:3], 0 offset:156
	buffer_store_dword v54, off, s[0:3], 0 offset:152
	buffer_store_dword v53, off, s[0:3], 0 offset:148
	buffer_store_dword v52, off, s[0:3], 0 offset:144
	;; [unrolled: 5-line block ×8, first 2 shown]
	s_branch .LBB902_17
.LBB902_14:                             ;   in Loop: Header=BB902_17 Depth=1
	s_or_b64 exec, exec, s[10:11]
.LBB902_15:                             ;   in Loop: Header=BB902_17 Depth=1
	s_or_b64 exec, exec, s[6:7]
.LBB902_16:                             ;   in Loop: Header=BB902_17 Depth=1
	s_or_b64 exec, exec, s[4:5]
	v_perm_b32 v55, v40, v34, s16
	v_perm_b32 v54, v23, v32, s16
	;; [unrolled: 1-line block ×4, first 2 shown]
	v_add_u32_e32 v26, s12, v37
	v_mfma_f32_16x16x16bf16_1k v[18:21], v[54:55], v[14:15], v[18:21]
	s_add_i32 s12, s12, 16
	v_mov_b32_e32 v23, v22
	s_cmp_eq_u32 s12, 64
	v_add_u32_e32 v36, 32, v36
	v_mfma_f32_16x16x16bf16_1k v[18:21], v[52:53], v[16:17], v[18:21]
	s_nop 7
	s_nop 2
	v_pk_mul_f32 v[18:19], v[24:25], v[18:19]
	v_pk_mul_f32 v[20:21], v[22:23], v[20:21]
	buffer_store_dword v19, v26, s[0:3], 0 offen offset:4
	buffer_store_dword v18, v26, s[0:3], 0 offen
	buffer_store_dword v21, v26, s[0:3], 0 offen offset:12
	buffer_store_dword v20, v26, s[0:3], 0 offen offset:8
	s_cbranch_scc1 .LBB902_207
.LBB902_17:                             ; =>This Inner Loop Header: Depth=1
	buffer_load_dword v20, v36, s[0:3], 0 offen
	buffer_load_dword v18, v36, s[0:3], 0 offen offset:4
	buffer_load_dword v28, v36, s[0:3], 0 offen offset:8
	buffer_load_dword v26, v36, s[0:3], 0 offen offset:12
	v_mov_b32_e32 v19, 0
	v_mov_b32_e32 v21, 0
	s_waitcnt vmcnt(3)
	v_cmp_ne_u16_sdwa s[6:7], v20, v35 src0_sel:BYTE_0 src1_sel:DWORD
	s_and_saveexec_b64 s[4:5], s[6:7]
	s_cbranch_execz .LBB902_23
; %bb.18:                               ;   in Loop: Header=BB902_17 Depth=1
	v_cmp_ne_u16_sdwa s[10:11], v20, s13 src0_sel:BYTE_0 src1_sel:DWORD
	v_mov_b32_e32 v21, 0xffff8000
	s_and_saveexec_b64 s[6:7], s[10:11]
	s_cbranch_execz .LBB902_22
; %bb.19:                               ;   in Loop: Header=BB902_17 Depth=1
	v_and_b32_e32 v23, 0x7f, v20
	v_cmp_ne_u32_e32 vcc, s14, v23
	v_mov_b32_e32 v21, 0x7f80
	s_and_saveexec_b64 s[10:11], vcc
	s_cbranch_execz .LBB902_21
; %bb.20:                               ;   in Loop: Header=BB902_17 Depth=1
	v_and_b32_e32 v21, 7, v20
	v_ffbh_u32_e32 v32, v21
	v_min_u32_e32 v32, 32, v32
	v_subrev_u32_e32 v34, 28, v32
	v_lshlrev_b64 v[52:53], v34, v[20:21]
	v_lshrrev_b32_e32 v30, 3, v23
	v_sub_u32_e32 v32, 29, v32
	v_and_b32_e32 v34, 7, v52
	v_cmp_gt_u32_e32 vcc, 8, v23
	v_cndmask_b32_e32 v23, v30, v32, vcc
	v_cndmask_b32_e32 v21, v21, v34, vcc
	v_lshlrev_b32_e32 v30, 24, v20
	v_lshlrev_b32_e32 v21, 20, v21
	v_and_b32_e32 v30, 0x80000000, v30
	v_lshl_add_u32 v23, v23, 23, v38
	v_or3_b32 v21, v30, v23, v21
	v_lshrrev_b32_e32 v21, 16, v21
.LBB902_21:                             ;   in Loop: Header=BB902_17 Depth=1
	s_or_b64 exec, exec, s[10:11]
.LBB902_22:                             ;   in Loop: Header=BB902_17 Depth=1
	s_or_b64 exec, exec, s[6:7]
.LBB902_23:                             ;   in Loop: Header=BB902_17 Depth=1
	s_or_b64 exec, exec, s[4:5]
	v_lshrrev_b16_e32 v30, 8, v20
	v_cmp_ne_u16_e32 vcc, 0, v30
	s_and_saveexec_b64 s[4:5], vcc
	s_cbranch_execz .LBB902_29
; %bb.24:                               ;   in Loop: Header=BB902_17 Depth=1
	v_cmp_ne_u16_e32 vcc, s13, v30
	v_mov_b32_e32 v19, 0xffff8000
	s_and_saveexec_b64 s[6:7], vcc
	s_cbranch_execz .LBB902_28
; %bb.25:                               ;   in Loop: Header=BB902_17 Depth=1
	v_and_b32_e32 v23, 0x7f, v30
	v_cmp_ne_u32_e32 vcc, s14, v23
	v_mov_b32_e32 v19, 0x7f80
	s_and_saveexec_b64 s[10:11], vcc
	s_cbranch_execz .LBB902_27
; %bb.26:                               ;   in Loop: Header=BB902_17 Depth=1
	v_and_b32_e32 v19, 7, v30
	v_ffbh_u32_e32 v34, v19
	v_min_u32_e32 v34, 32, v34
	v_subrev_u32_e32 v40, 28, v34
	v_lshlrev_b64 v[52:53], v40, v[30:31]
	v_lshrrev_b32_e32 v32, 3, v23
	v_sub_u32_e32 v30, 29, v34
	v_and_b32_e32 v34, 7, v52
	v_cmp_gt_u32_e32 vcc, 8, v23
	v_cndmask_b32_e32 v23, v32, v30, vcc
	v_cndmask_b32_e32 v19, v19, v34, vcc
	v_lshlrev_b32_e32 v30, 16, v20
	v_lshlrev_b32_e32 v19, 20, v19
	v_and_b32_e32 v30, 0x80000000, v30
	v_lshl_add_u32 v23, v23, 23, v38
	v_or3_b32 v19, v30, v23, v19
	v_lshrrev_b32_e32 v19, 16, v19
.LBB902_27:                             ;   in Loop: Header=BB902_17 Depth=1
	s_or_b64 exec, exec, s[10:11]
.LBB902_28:                             ;   in Loop: Header=BB902_17 Depth=1
	s_or_b64 exec, exec, s[6:7]
.LBB902_29:                             ;   in Loop: Header=BB902_17 Depth=1
	s_or_b64 exec, exec, s[4:5]
	v_lshrrev_b32_e32 v30, 16, v20
	v_cmp_ne_u16_sdwa s[6:7], v30, v35 src0_sel:BYTE_0 src1_sel:DWORD
	v_mov_b32_e32 v32, 0
	v_mov_b32_e32 v23, 0
	s_and_saveexec_b64 s[4:5], s[6:7]
	s_cbranch_execz .LBB902_35
; %bb.30:                               ;   in Loop: Header=BB902_17 Depth=1
	v_cmp_ne_u16_sdwa s[10:11], v30, s13 src0_sel:BYTE_0 src1_sel:DWORD
	v_mov_b32_e32 v23, 0xffff8000
	s_and_saveexec_b64 s[6:7], s[10:11]
	s_cbranch_execz .LBB902_34
; %bb.31:                               ;   in Loop: Header=BB902_17 Depth=1
	v_bfe_u32 v34, v20, 16, 7
	v_cmp_ne_u32_e32 vcc, s14, v34
	v_mov_b32_e32 v23, 0x7f80
	s_and_saveexec_b64 s[10:11], vcc
	s_cbranch_execz .LBB902_33
; %bb.32:                               ;   in Loop: Header=BB902_17 Depth=1
	v_and_b32_e32 v23, 7, v30
	v_ffbh_u32_e32 v42, v23
	v_min_u32_e32 v42, 32, v42
	v_subrev_u32_e32 v44, 28, v42
	v_lshlrev_b64 v[52:53], v44, v[30:31]
	v_lshrrev_b32_e32 v40, 3, v34
	v_sub_u32_e32 v42, 29, v42
	v_and_b32_e32 v44, 7, v52
	v_cmp_gt_u32_e32 vcc, 8, v34
	v_cndmask_b32_e32 v34, v40, v42, vcc
	v_cndmask_b32_e32 v23, v23, v44, vcc
	v_lshlrev_b32_e32 v30, 24, v30
	v_lshlrev_b32_e32 v23, 20, v23
	v_and_b32_e32 v30, 0x80000000, v30
	v_lshl_add_u32 v34, v34, 23, v38
	v_or3_b32 v23, v30, v34, v23
	v_lshrrev_b32_e32 v23, 16, v23
.LBB902_33:                             ;   in Loop: Header=BB902_17 Depth=1
	s_or_b64 exec, exec, s[10:11]
.LBB902_34:                             ;   in Loop: Header=BB902_17 Depth=1
	s_or_b64 exec, exec, s[6:7]
.LBB902_35:                             ;   in Loop: Header=BB902_17 Depth=1
	s_or_b64 exec, exec, s[4:5]
	v_cmp_lt_u32_e32 vcc, s15, v20
	s_and_saveexec_b64 s[4:5], vcc
	s_cbranch_execz .LBB902_41
; %bb.36:                               ;   in Loop: Header=BB902_17 Depth=1
	v_lshrrev_b32_e32 v30, 24, v20
	v_cmp_ne_u32_e32 vcc, s13, v30
	v_mov_b32_e32 v32, 0xffff8000
	s_and_saveexec_b64 s[6:7], vcc
	s_cbranch_execz .LBB902_40
; %bb.37:                               ;   in Loop: Header=BB902_17 Depth=1
	v_bfe_u32 v20, v20, 24, 7
	v_cmp_ne_u32_e32 vcc, s14, v20
	v_mov_b32_e32 v32, 0x7f80
	s_and_saveexec_b64 s[10:11], vcc
	s_cbranch_execz .LBB902_39
; %bb.38:                               ;   in Loop: Header=BB902_17 Depth=1
	v_and_b32_e32 v32, 7, v30
	v_ffbh_u32_e32 v40, v32
	v_min_u32_e32 v40, 32, v40
	v_subrev_u32_e32 v42, 28, v40
	v_lshlrev_b64 v[52:53], v42, v[30:31]
	v_lshrrev_b32_e32 v34, 3, v20
	v_sub_u32_e32 v40, 29, v40
	v_and_b32_e32 v42, 7, v52
	v_cmp_gt_u32_e32 vcc, 8, v20
	v_cndmask_b32_e32 v20, v34, v40, vcc
	v_cndmask_b32_e32 v32, v32, v42, vcc
	v_lshlrev_b32_e32 v30, 24, v30
	v_lshlrev_b32_e32 v32, 20, v32
	v_and_b32_e32 v30, 0x80000000, v30
	v_lshl_add_u32 v20, v20, 23, v38
	v_or3_b32 v20, v30, v20, v32
	v_lshrrev_b32_e32 v32, 16, v20
.LBB902_39:                             ;   in Loop: Header=BB902_17 Depth=1
	s_or_b64 exec, exec, s[10:11]
.LBB902_40:                             ;   in Loop: Header=BB902_17 Depth=1
	s_or_b64 exec, exec, s[6:7]
.LBB902_41:                             ;   in Loop: Header=BB902_17 Depth=1
	s_or_b64 exec, exec, s[4:5]
	s_waitcnt vmcnt(2)
	v_cmp_ne_u16_sdwa s[6:7], v18, v35 src0_sel:BYTE_0 src1_sel:DWORD
	v_mov_b32_e32 v30, 0
	v_mov_b32_e32 v34, 0
	s_and_saveexec_b64 s[4:5], s[6:7]
	s_cbranch_execz .LBB902_47
; %bb.42:                               ;   in Loop: Header=BB902_17 Depth=1
	v_cmp_ne_u16_sdwa s[10:11], v18, s13 src0_sel:BYTE_0 src1_sel:DWORD
	v_mov_b32_e32 v34, 0xffff8000
	s_and_saveexec_b64 s[6:7], s[10:11]
	s_cbranch_execz .LBB902_46
; %bb.43:                               ;   in Loop: Header=BB902_17 Depth=1
	v_and_b32_e32 v20, 0x7f, v18
	v_cmp_ne_u32_e32 vcc, s14, v20
	v_mov_b32_e32 v34, 0x7f80
	s_and_saveexec_b64 s[10:11], vcc
	s_cbranch_execz .LBB902_45
; %bb.44:                               ;   in Loop: Header=BB902_17 Depth=1
	v_and_b32_e32 v34, 7, v18
	v_ffbh_u32_e32 v42, v34
	v_min_u32_e32 v42, 32, v42
	v_subrev_u32_e32 v44, 28, v42
	v_lshlrev_b64 v[52:53], v44, v[18:19]
	v_lshrrev_b32_e32 v40, 3, v20
	v_sub_u32_e32 v42, 29, v42
	v_and_b32_e32 v44, 7, v52
	v_cmp_gt_u32_e32 vcc, 8, v20
	v_cndmask_b32_e32 v20, v40, v42, vcc
	v_cndmask_b32_e32 v34, v34, v44, vcc
	v_lshlrev_b32_e32 v40, 24, v18
	v_lshlrev_b32_e32 v34, 20, v34
	v_and_b32_e32 v40, 0x80000000, v40
	v_lshl_add_u32 v20, v20, 23, v38
	v_or3_b32 v20, v40, v20, v34
	v_lshrrev_b32_e32 v34, 16, v20
.LBB902_45:                             ;   in Loop: Header=BB902_17 Depth=1
	s_or_b64 exec, exec, s[10:11]
.LBB902_46:                             ;   in Loop: Header=BB902_17 Depth=1
	s_or_b64 exec, exec, s[6:7]
.LBB902_47:                             ;   in Loop: Header=BB902_17 Depth=1
	s_or_b64 exec, exec, s[4:5]
	v_lshrrev_b16_e32 v20, 8, v18
	v_cmp_ne_u16_e32 vcc, 0, v20
	s_and_saveexec_b64 s[4:5], vcc
	s_cbranch_execz .LBB902_53
; %bb.48:                               ;   in Loop: Header=BB902_17 Depth=1
	v_cmp_ne_u16_e32 vcc, s13, v20
	v_mov_b32_e32 v30, 0xffff8000
	s_and_saveexec_b64 s[6:7], vcc
	s_cbranch_execz .LBB902_52
; %bb.49:                               ;   in Loop: Header=BB902_17 Depth=1
	v_and_b32_e32 v40, 0x7f, v20
	v_cmp_ne_u32_e32 vcc, s14, v40
	v_mov_b32_e32 v30, 0x7f80
	s_and_saveexec_b64 s[10:11], vcc
	s_cbranch_execz .LBB902_51
; %bb.50:                               ;   in Loop: Header=BB902_17 Depth=1
	v_and_b32_e32 v30, 7, v20
	v_ffbh_u32_e32 v44, v30
	v_min_u32_e32 v44, 32, v44
	v_subrev_u32_e32 v52, 28, v44
	v_lshlrev_b64 v[52:53], v52, v[20:21]
	v_lshrrev_b32_e32 v42, 3, v40
	v_sub_u32_e32 v20, 29, v44
	v_and_b32_e32 v44, 7, v52
	v_cmp_gt_u32_e32 vcc, 8, v40
	v_cndmask_b32_e32 v20, v42, v20, vcc
	v_cndmask_b32_e32 v30, v30, v44, vcc
	v_lshlrev_b32_e32 v40, 16, v18
	v_lshlrev_b32_e32 v30, 20, v30
	v_and_b32_e32 v40, 0x80000000, v40
	v_lshl_add_u32 v20, v20, 23, v38
	v_or3_b32 v20, v40, v20, v30
	v_lshrrev_b32_e32 v30, 16, v20
.LBB902_51:                             ;   in Loop: Header=BB902_17 Depth=1
	s_or_b64 exec, exec, s[10:11]
.LBB902_52:                             ;   in Loop: Header=BB902_17 Depth=1
	s_or_b64 exec, exec, s[6:7]
.LBB902_53:                             ;   in Loop: Header=BB902_17 Depth=1
	s_or_b64 exec, exec, s[4:5]
	v_lshrrev_b32_e32 v20, 16, v18
	v_cmp_ne_u16_sdwa s[6:7], v20, v35 src0_sel:BYTE_0 src1_sel:DWORD
	v_mov_b32_e32 v42, 0
	v_mov_b32_e32 v40, 0
	s_and_saveexec_b64 s[4:5], s[6:7]
	s_cbranch_execz .LBB902_59
; %bb.54:                               ;   in Loop: Header=BB902_17 Depth=1
	v_cmp_ne_u16_sdwa s[10:11], v20, s13 src0_sel:BYTE_0 src1_sel:DWORD
	v_mov_b32_e32 v40, 0xffff8000
	s_and_saveexec_b64 s[6:7], s[10:11]
	s_cbranch_execz .LBB902_58
; %bb.55:                               ;   in Loop: Header=BB902_17 Depth=1
	v_bfe_u32 v44, v18, 16, 7
	v_cmp_ne_u32_e32 vcc, s14, v44
	v_mov_b32_e32 v40, 0x7f80
	s_and_saveexec_b64 s[10:11], vcc
	s_cbranch_execz .LBB902_57
; %bb.56:                               ;   in Loop: Header=BB902_17 Depth=1
	v_and_b32_e32 v40, 7, v20
	v_ffbh_u32_e32 v52, v40
	v_min_u32_e32 v55, 32, v52
	v_subrev_u32_e32 v52, 28, v55
	v_lshlrev_b64 v[52:53], v52, v[20:21]
	v_lshrrev_b32_e32 v54, 3, v44
	v_sub_u32_e32 v53, 29, v55
	v_and_b32_e32 v52, 7, v52
	v_cmp_gt_u32_e32 vcc, 8, v44
	v_cndmask_b32_e32 v44, v54, v53, vcc
	v_cndmask_b32_e32 v40, v40, v52, vcc
	v_lshlrev_b32_e32 v20, 24, v20
	v_lshlrev_b32_e32 v40, 20, v40
	v_and_b32_e32 v20, 0x80000000, v20
	v_lshl_add_u32 v44, v44, 23, v38
	v_or3_b32 v20, v20, v44, v40
	v_lshrrev_b32_e32 v40, 16, v20
.LBB902_57:                             ;   in Loop: Header=BB902_17 Depth=1
	s_or_b64 exec, exec, s[10:11]
.LBB902_58:                             ;   in Loop: Header=BB902_17 Depth=1
	s_or_b64 exec, exec, s[6:7]
.LBB902_59:                             ;   in Loop: Header=BB902_17 Depth=1
	s_or_b64 exec, exec, s[4:5]
	v_cmp_lt_u32_e32 vcc, s15, v18
	s_and_saveexec_b64 s[4:5], vcc
	s_cbranch_execz .LBB902_65
; %bb.60:                               ;   in Loop: Header=BB902_17 Depth=1
	v_lshrrev_b32_e32 v20, 24, v18
	v_cmp_ne_u32_e32 vcc, s13, v20
	v_mov_b32_e32 v42, 0xffff8000
	s_and_saveexec_b64 s[6:7], vcc
	s_cbranch_execz .LBB902_64
; %bb.61:                               ;   in Loop: Header=BB902_17 Depth=1
	v_bfe_u32 v18, v18, 24, 7
	v_cmp_ne_u32_e32 vcc, s14, v18
	v_mov_b32_e32 v42, 0x7f80
	s_and_saveexec_b64 s[10:11], vcc
	s_cbranch_execz .LBB902_63
; %bb.62:                               ;   in Loop: Header=BB902_17 Depth=1
	v_and_b32_e32 v42, 7, v20
	v_ffbh_u32_e32 v52, v42
	v_min_u32_e32 v54, 32, v52
	v_subrev_u32_e32 v52, 28, v54
	v_lshlrev_b64 v[52:53], v52, v[20:21]
	v_lshrrev_b32_e32 v44, 3, v18
	v_sub_u32_e32 v53, 29, v54
	v_and_b32_e32 v52, 7, v52
	v_cmp_gt_u32_e32 vcc, 8, v18
	v_cndmask_b32_e32 v18, v44, v53, vcc
	v_cndmask_b32_e32 v42, v42, v52, vcc
	v_lshlrev_b32_e32 v20, 24, v20
	v_lshlrev_b32_e32 v42, 20, v42
	v_and_b32_e32 v20, 0x80000000, v20
	v_lshl_add_u32 v18, v18, 23, v38
	v_or3_b32 v18, v20, v18, v42
	v_lshrrev_b32_e32 v42, 16, v18
.LBB902_63:                             ;   in Loop: Header=BB902_17 Depth=1
	s_or_b64 exec, exec, s[10:11]
.LBB902_64:                             ;   in Loop: Header=BB902_17 Depth=1
	s_or_b64 exec, exec, s[6:7]
.LBB902_65:                             ;   in Loop: Header=BB902_17 Depth=1
	s_or_b64 exec, exec, s[4:5]
	v_perm_b32 v53, v32, v23, s16
	v_perm_b32 v52, v19, v21, s16
	s_waitcnt vmcnt(1)
	v_cmp_ne_u16_sdwa s[6:7], v28, v35 src0_sel:BYTE_0 src1_sel:DWORD
	v_mov_b32_e32 v23, 0
	v_mov_b32_e32 v32, 0
	v_mfma_f32_16x16x16bf16_1k v[18:21], v[52:53], v[2:3], 0
	v_perm_b32 v53, v42, v40, s16
	v_perm_b32 v52, v30, v34, s16
	s_nop 1
	v_mfma_f32_16x16x16bf16_1k v[18:21], v[52:53], v[4:5], v[18:21]
	s_and_saveexec_b64 s[4:5], s[6:7]
	s_cbranch_execz .LBB902_71
; %bb.66:                               ;   in Loop: Header=BB902_17 Depth=1
	v_cmp_ne_u16_sdwa s[10:11], v28, s13 src0_sel:BYTE_0 src1_sel:DWORD
	v_mov_b32_e32 v32, 0xffff8000
	s_and_saveexec_b64 s[6:7], s[10:11]
	s_cbranch_execz .LBB902_70
; %bb.67:                               ;   in Loop: Header=BB902_17 Depth=1
	v_and_b32_e32 v30, 0x7f, v28
	v_cmp_ne_u32_e32 vcc, s14, v30
	v_mov_b32_e32 v32, 0x7f80
	s_and_saveexec_b64 s[10:11], vcc
	s_cbranch_execz .LBB902_69
; %bb.68:                               ;   in Loop: Header=BB902_17 Depth=1
	v_and_b32_e32 v32, 7, v28
	v_ffbh_u32_e32 v40, v32
	v_min_u32_e32 v40, 32, v40
	v_subrev_u32_e32 v42, 28, v40
	v_lshlrev_b64 v[52:53], v42, v[28:29]
	v_lshrrev_b32_e32 v34, 3, v30
	v_sub_u32_e32 v40, 29, v40
	v_and_b32_e32 v42, 7, v52
	v_cmp_gt_u32_e32 vcc, 8, v30
	v_cndmask_b32_e32 v30, v34, v40, vcc
	v_cndmask_b32_e32 v32, v32, v42, vcc
	v_lshlrev_b32_e32 v34, 24, v28
	v_lshlrev_b32_e32 v32, 20, v32
	v_and_b32_e32 v34, 0x80000000, v34
	v_lshl_add_u32 v30, v30, 23, v38
	v_or3_b32 v30, v34, v30, v32
	v_lshrrev_b32_e32 v32, 16, v30
.LBB902_69:                             ;   in Loop: Header=BB902_17 Depth=1
	s_or_b64 exec, exec, s[10:11]
.LBB902_70:                             ;   in Loop: Header=BB902_17 Depth=1
	s_or_b64 exec, exec, s[6:7]
.LBB902_71:                             ;   in Loop: Header=BB902_17 Depth=1
	s_or_b64 exec, exec, s[4:5]
	v_lshrrev_b16_e32 v30, 8, v28
	v_cmp_ne_u16_e32 vcc, 0, v30
	s_and_saveexec_b64 s[4:5], vcc
	s_cbranch_execz .LBB902_77
; %bb.72:                               ;   in Loop: Header=BB902_17 Depth=1
	v_cmp_ne_u16_e32 vcc, s13, v30
	v_mov_b32_e32 v23, 0xffff8000
	s_and_saveexec_b64 s[6:7], vcc
	s_cbranch_execz .LBB902_76
; %bb.73:                               ;   in Loop: Header=BB902_17 Depth=1
	v_and_b32_e32 v34, 0x7f, v30
	v_cmp_ne_u32_e32 vcc, s14, v34
	v_mov_b32_e32 v23, 0x7f80
	s_and_saveexec_b64 s[10:11], vcc
	s_cbranch_execz .LBB902_75
; %bb.74:                               ;   in Loop: Header=BB902_17 Depth=1
	v_and_b32_e32 v23, 7, v30
	v_ffbh_u32_e32 v42, v23
	v_min_u32_e32 v42, 32, v42
	v_subrev_u32_e32 v44, 28, v42
	v_lshlrev_b64 v[52:53], v44, v[30:31]
	v_lshrrev_b32_e32 v40, 3, v34
	v_sub_u32_e32 v30, 29, v42
	v_and_b32_e32 v42, 7, v52
	v_cmp_gt_u32_e32 vcc, 8, v34
	v_cndmask_b32_e32 v30, v40, v30, vcc
	v_cndmask_b32_e32 v23, v23, v42, vcc
	v_lshlrev_b32_e32 v34, 16, v28
	v_lshlrev_b32_e32 v23, 20, v23
	v_and_b32_e32 v34, 0x80000000, v34
	v_lshl_add_u32 v30, v30, 23, v38
	v_or3_b32 v23, v34, v30, v23
	v_lshrrev_b32_e32 v23, 16, v23
.LBB902_75:                             ;   in Loop: Header=BB902_17 Depth=1
	s_or_b64 exec, exec, s[10:11]
.LBB902_76:                             ;   in Loop: Header=BB902_17 Depth=1
	s_or_b64 exec, exec, s[6:7]
.LBB902_77:                             ;   in Loop: Header=BB902_17 Depth=1
	s_or_b64 exec, exec, s[4:5]
	v_lshrrev_b32_e32 v30, 16, v28
	v_cmp_ne_u16_sdwa s[6:7], v30, v35 src0_sel:BYTE_0 src1_sel:DWORD
	v_mov_b32_e32 v40, 0
	v_mov_b32_e32 v34, 0
	s_and_saveexec_b64 s[4:5], s[6:7]
	s_cbranch_execz .LBB902_83
; %bb.78:                               ;   in Loop: Header=BB902_17 Depth=1
	v_cmp_ne_u16_sdwa s[10:11], v30, s13 src0_sel:BYTE_0 src1_sel:DWORD
	v_mov_b32_e32 v34, 0xffff8000
	s_and_saveexec_b64 s[6:7], s[10:11]
	s_cbranch_execz .LBB902_82
; %bb.79:                               ;   in Loop: Header=BB902_17 Depth=1
	v_bfe_u32 v42, v28, 16, 7
	v_cmp_ne_u32_e32 vcc, s14, v42
	v_mov_b32_e32 v34, 0x7f80
	s_and_saveexec_b64 s[10:11], vcc
	s_cbranch_execz .LBB902_81
; %bb.80:                               ;   in Loop: Header=BB902_17 Depth=1
	v_and_b32_e32 v34, 7, v30
	v_ffbh_u32_e32 v52, v34
	v_min_u32_e32 v54, 32, v52
	v_subrev_u32_e32 v52, 28, v54
	v_lshlrev_b64 v[52:53], v52, v[30:31]
	v_lshrrev_b32_e32 v44, 3, v42
	v_sub_u32_e32 v53, 29, v54
	v_and_b32_e32 v52, 7, v52
	v_cmp_gt_u32_e32 vcc, 8, v42
	v_cndmask_b32_e32 v42, v44, v53, vcc
	v_cndmask_b32_e32 v34, v34, v52, vcc
	v_lshlrev_b32_e32 v30, 24, v30
	v_lshlrev_b32_e32 v34, 20, v34
	v_and_b32_e32 v30, 0x80000000, v30
	v_lshl_add_u32 v42, v42, 23, v38
	v_or3_b32 v30, v30, v42, v34
	v_lshrrev_b32_e32 v34, 16, v30
.LBB902_81:                             ;   in Loop: Header=BB902_17 Depth=1
	s_or_b64 exec, exec, s[10:11]
.LBB902_82:                             ;   in Loop: Header=BB902_17 Depth=1
	s_or_b64 exec, exec, s[6:7]
.LBB902_83:                             ;   in Loop: Header=BB902_17 Depth=1
	s_or_b64 exec, exec, s[4:5]
	v_cmp_lt_u32_e32 vcc, s15, v28
	s_and_saveexec_b64 s[4:5], vcc
	s_cbranch_execz .LBB902_89
; %bb.84:                               ;   in Loop: Header=BB902_17 Depth=1
	v_lshrrev_b32_e32 v30, 24, v28
	v_cmp_ne_u32_e32 vcc, s13, v30
	v_mov_b32_e32 v40, 0xffff8000
	s_and_saveexec_b64 s[6:7], vcc
	s_cbranch_execz .LBB902_88
; %bb.85:                               ;   in Loop: Header=BB902_17 Depth=1
	v_bfe_u32 v28, v28, 24, 7
	v_cmp_ne_u32_e32 vcc, s14, v28
	v_mov_b32_e32 v40, 0x7f80
	s_and_saveexec_b64 s[10:11], vcc
	s_cbranch_execz .LBB902_87
; %bb.86:                               ;   in Loop: Header=BB902_17 Depth=1
	v_and_b32_e32 v40, 7, v30
	v_ffbh_u32_e32 v44, v40
	v_min_u32_e32 v44, 32, v44
	v_subrev_u32_e32 v52, 28, v44
	v_lshlrev_b64 v[52:53], v52, v[30:31]
	v_lshrrev_b32_e32 v42, 3, v28
	v_sub_u32_e32 v44, 29, v44
	v_and_b32_e32 v52, 7, v52
	v_cmp_gt_u32_e32 vcc, 8, v28
	v_cndmask_b32_e32 v28, v42, v44, vcc
	v_cndmask_b32_e32 v40, v40, v52, vcc
	v_lshlrev_b32_e32 v30, 24, v30
	v_lshlrev_b32_e32 v40, 20, v40
	v_and_b32_e32 v30, 0x80000000, v30
	v_lshl_add_u32 v28, v28, 23, v38
	v_or3_b32 v28, v30, v28, v40
	v_lshrrev_b32_e32 v40, 16, v28
.LBB902_87:                             ;   in Loop: Header=BB902_17 Depth=1
	s_or_b64 exec, exec, s[10:11]
.LBB902_88:                             ;   in Loop: Header=BB902_17 Depth=1
	s_or_b64 exec, exec, s[6:7]
.LBB902_89:                             ;   in Loop: Header=BB902_17 Depth=1
	s_or_b64 exec, exec, s[4:5]
	s_waitcnt vmcnt(0)
	v_cmp_ne_u16_sdwa s[6:7], v26, v35 src0_sel:BYTE_0 src1_sel:DWORD
	v_mov_b32_e32 v42, 0
	v_mov_b32_e32 v44, 0
	s_and_saveexec_b64 s[4:5], s[6:7]
	s_cbranch_execz .LBB902_95
; %bb.90:                               ;   in Loop: Header=BB902_17 Depth=1
	v_cmp_ne_u16_sdwa s[10:11], v26, s13 src0_sel:BYTE_0 src1_sel:DWORD
	v_mov_b32_e32 v44, 0xffff8000
	s_and_saveexec_b64 s[6:7], s[10:11]
	s_cbranch_execz .LBB902_94
; %bb.91:                               ;   in Loop: Header=BB902_17 Depth=1
	v_and_b32_e32 v28, 0x7f, v26
	v_cmp_ne_u32_e32 vcc, s14, v28
	v_mov_b32_e32 v44, 0x7f80
	s_and_saveexec_b64 s[10:11], vcc
	s_cbranch_execz .LBB902_93
; %bb.92:                               ;   in Loop: Header=BB902_17 Depth=1
	v_and_b32_e32 v30, 7, v26
	v_ffbh_u32_e32 v52, v30
	v_min_u32_e32 v54, 32, v52
	v_subrev_u32_e32 v52, 28, v54
	v_lshlrev_b64 v[52:53], v52, v[26:27]
	v_lshrrev_b32_e32 v44, 3, v28
	v_sub_u32_e32 v53, 29, v54
	v_and_b32_e32 v52, 7, v52
	v_cmp_gt_u32_e32 vcc, 8, v28
	v_cndmask_b32_e32 v28, v44, v53, vcc
	v_cndmask_b32_e32 v30, v30, v52, vcc
	v_lshlrev_b32_e32 v44, 24, v26
	v_lshlrev_b32_e32 v30, 20, v30
	v_and_b32_e32 v44, 0x80000000, v44
	v_lshl_add_u32 v28, v28, 23, v38
	v_or3_b32 v28, v44, v28, v30
	v_lshrrev_b32_e32 v44, 16, v28
.LBB902_93:                             ;   in Loop: Header=BB902_17 Depth=1
	s_or_b64 exec, exec, s[10:11]
.LBB902_94:                             ;   in Loop: Header=BB902_17 Depth=1
	s_or_b64 exec, exec, s[6:7]
.LBB902_95:                             ;   in Loop: Header=BB902_17 Depth=1
	s_or_b64 exec, exec, s[4:5]
	v_lshrrev_b16_e32 v28, 8, v26
	v_cmp_ne_u16_e32 vcc, 0, v28
	s_and_saveexec_b64 s[4:5], vcc
	s_cbranch_execz .LBB902_101
; %bb.96:                               ;   in Loop: Header=BB902_17 Depth=1
	v_cmp_ne_u16_e32 vcc, s13, v28
	v_mov_b32_e32 v42, 0xffff8000
	s_and_saveexec_b64 s[6:7], vcc
	s_cbranch_execz .LBB902_100
; %bb.97:                               ;   in Loop: Header=BB902_17 Depth=1
	v_and_b32_e32 v30, 0x7f, v28
	v_cmp_ne_u32_e32 vcc, s14, v30
	v_mov_b32_e32 v42, 0x7f80
	s_and_saveexec_b64 s[10:11], vcc
	s_cbranch_execz .LBB902_99
; %bb.98:                               ;   in Loop: Header=BB902_17 Depth=1
	v_and_b32_e32 v42, 7, v28
	v_ffbh_u32_e32 v52, v42
	v_min_u32_e32 v55, 32, v52
	v_subrev_u32_e32 v52, 28, v55
	v_lshlrev_b64 v[52:53], v52, v[28:29]
	v_lshrrev_b32_e32 v54, 3, v30
	v_sub_u32_e32 v28, 29, v55
	v_and_b32_e32 v52, 7, v52
	v_cmp_gt_u32_e32 vcc, 8, v30
	v_cndmask_b32_e32 v28, v54, v28, vcc
	v_cndmask_b32_e32 v30, v42, v52, vcc
	v_lshlrev_b32_e32 v42, 16, v26
	v_lshlrev_b32_e32 v30, 20, v30
	v_and_b32_e32 v42, 0x80000000, v42
	v_lshl_add_u32 v28, v28, 23, v38
	v_or3_b32 v28, v42, v28, v30
	v_lshrrev_b32_e32 v42, 16, v28
.LBB902_99:                             ;   in Loop: Header=BB902_17 Depth=1
	s_or_b64 exec, exec, s[10:11]
.LBB902_100:                            ;   in Loop: Header=BB902_17 Depth=1
	s_or_b64 exec, exec, s[6:7]
.LBB902_101:                            ;   in Loop: Header=BB902_17 Depth=1
	s_or_b64 exec, exec, s[4:5]
	v_lshrrev_b32_e32 v28, 16, v26
	v_cmp_ne_u16_sdwa s[6:7], v28, v35 src0_sel:BYTE_0 src1_sel:DWORD
	v_mov_b32_e32 v53, 0
	v_mov_b32_e32 v52, 0
	s_and_saveexec_b64 s[4:5], s[6:7]
	s_cbranch_execz .LBB902_107
; %bb.102:                              ;   in Loop: Header=BB902_17 Depth=1
	v_cmp_ne_u16_sdwa s[10:11], v28, s13 src0_sel:BYTE_0 src1_sel:DWORD
	v_mov_b32_e32 v52, 0xffff8000
	s_and_saveexec_b64 s[6:7], s[10:11]
	s_cbranch_execz .LBB902_106
; %bb.103:                              ;   in Loop: Header=BB902_17 Depth=1
	v_bfe_u32 v30, v26, 16, 7
	v_cmp_ne_u32_e32 vcc, s14, v30
	v_mov_b32_e32 v52, 0x7f80
	s_and_saveexec_b64 s[10:11], vcc
	s_cbranch_execz .LBB902_105
; %bb.104:                              ;   in Loop: Header=BB902_17 Depth=1
	v_and_b32_e32 v52, 7, v28
	v_ffbh_u32_e32 v54, v52
	v_min_u32_e32 v57, 32, v54
	v_subrev_u32_e32 v54, 28, v57
	v_lshlrev_b64 v[54:55], v54, v[28:29]
	v_lshrrev_b32_e32 v56, 3, v30
	v_sub_u32_e32 v55, 29, v57
	v_and_b32_e32 v54, 7, v54
	v_cmp_gt_u32_e32 vcc, 8, v30
	v_cndmask_b32_e32 v30, v56, v55, vcc
	v_cndmask_b32_e32 v52, v52, v54, vcc
	v_lshlrev_b32_e32 v28, 24, v28
	v_lshlrev_b32_e32 v52, 20, v52
	v_and_b32_e32 v28, 0x80000000, v28
	v_lshl_add_u32 v30, v30, 23, v38
	v_or3_b32 v28, v28, v30, v52
	v_lshrrev_b32_e32 v52, 16, v28
.LBB902_105:                            ;   in Loop: Header=BB902_17 Depth=1
	s_or_b64 exec, exec, s[10:11]
.LBB902_106:                            ;   in Loop: Header=BB902_17 Depth=1
	s_or_b64 exec, exec, s[6:7]
.LBB902_107:                            ;   in Loop: Header=BB902_17 Depth=1
	s_or_b64 exec, exec, s[4:5]
	v_cmp_lt_u32_e32 vcc, s15, v26
	s_and_saveexec_b64 s[4:5], vcc
	s_cbranch_execz .LBB902_113
; %bb.108:                              ;   in Loop: Header=BB902_17 Depth=1
	v_lshrrev_b32_e32 v28, 24, v26
	v_cmp_ne_u32_e32 vcc, s13, v28
	v_mov_b32_e32 v53, 0xffff8000
	s_and_saveexec_b64 s[6:7], vcc
	s_cbranch_execz .LBB902_112
; %bb.109:                              ;   in Loop: Header=BB902_17 Depth=1
	v_bfe_u32 v26, v26, 24, 7
	v_cmp_ne_u32_e32 vcc, s14, v26
	v_mov_b32_e32 v53, 0x7f80
	s_and_saveexec_b64 s[10:11], vcc
	s_cbranch_execz .LBB902_111
; %bb.110:                              ;   in Loop: Header=BB902_17 Depth=1
	v_and_b32_e32 v30, 7, v28
	v_ffbh_u32_e32 v54, v30
	v_min_u32_e32 v56, 32, v54
	v_subrev_u32_e32 v54, 28, v56
	v_lshlrev_b64 v[54:55], v54, v[28:29]
	v_lshrrev_b32_e32 v53, 3, v26
	v_sub_u32_e32 v55, 29, v56
	v_and_b32_e32 v54, 7, v54
	v_cmp_gt_u32_e32 vcc, 8, v26
	v_cndmask_b32_e32 v26, v53, v55, vcc
	v_cndmask_b32_e32 v30, v30, v54, vcc
	v_lshlrev_b32_e32 v28, 24, v28
	v_lshlrev_b32_e32 v30, 20, v30
	v_and_b32_e32 v28, 0x80000000, v28
	v_lshl_add_u32 v26, v26, 23, v38
	v_or3_b32 v26, v28, v26, v30
	v_lshrrev_b32_e32 v53, 16, v26
.LBB902_111:                            ;   in Loop: Header=BB902_17 Depth=1
	s_or_b64 exec, exec, s[10:11]
.LBB902_112:                            ;   in Loop: Header=BB902_17 Depth=1
	s_or_b64 exec, exec, s[6:7]
.LBB902_113:                            ;   in Loop: Header=BB902_17 Depth=1
	s_or_b64 exec, exec, s[4:5]
	v_perm_b32 v54, v23, v32, s16
	buffer_load_dword v32, v36, s[0:3], 0 offen offset:16
	buffer_load_dword v30, v36, s[0:3], 0 offen offset:20
	;; [unrolled: 1-line block ×4, first 2 shown]
	v_perm_b32 v55, v40, v34, s16
	v_perm_b32 v53, v53, v52, s16
	;; [unrolled: 1-line block ×3, first 2 shown]
	v_mfma_f32_16x16x16bf16_1k v[18:21], v[54:55], v[6:7], v[18:21]
	v_mov_b32_e32 v23, 0
	v_mov_b32_e32 v40, 0
	s_waitcnt vmcnt(3)
	v_cmp_ne_u16_sdwa s[6:7], v32, v35 src0_sel:BYTE_0 src1_sel:DWORD
	v_mfma_f32_16x16x16bf16_1k v[18:21], v[52:53], v[8:9], v[18:21]
	s_and_saveexec_b64 s[4:5], s[6:7]
	s_cbranch_execz .LBB902_119
; %bb.114:                              ;   in Loop: Header=BB902_17 Depth=1
	v_cmp_ne_u16_sdwa s[10:11], v32, s13 src0_sel:BYTE_0 src1_sel:DWORD
	v_mov_b32_e32 v40, 0xffff8000
	s_and_saveexec_b64 s[6:7], s[10:11]
	s_cbranch_execz .LBB902_118
; %bb.115:                              ;   in Loop: Header=BB902_17 Depth=1
	v_and_b32_e32 v34, 0x7f, v32
	v_cmp_ne_u32_e32 vcc, s14, v34
	v_mov_b32_e32 v40, 0x7f80
	s_and_saveexec_b64 s[10:11], vcc
	s_cbranch_execz .LBB902_117
; %bb.116:                              ;   in Loop: Header=BB902_17 Depth=1
	v_and_b32_e32 v40, 7, v32
	v_ffbh_u32_e32 v44, v40
	v_min_u32_e32 v44, 32, v44
	v_subrev_u32_e32 v52, 28, v44
	v_lshlrev_b64 v[52:53], v52, v[32:33]
	v_lshrrev_b32_e32 v42, 3, v34
	v_sub_u32_e32 v44, 29, v44
	v_and_b32_e32 v52, 7, v52
	v_cmp_gt_u32_e32 vcc, 8, v34
	v_cndmask_b32_e32 v34, v42, v44, vcc
	v_cndmask_b32_e32 v40, v40, v52, vcc
	v_lshlrev_b32_e32 v42, 24, v32
	v_lshlrev_b32_e32 v40, 20, v40
	v_and_b32_e32 v42, 0x80000000, v42
	v_lshl_add_u32 v34, v34, 23, v38
	v_or3_b32 v34, v42, v34, v40
	v_lshrrev_b32_e32 v40, 16, v34
.LBB902_117:                            ;   in Loop: Header=BB902_17 Depth=1
	s_or_b64 exec, exec, s[10:11]
.LBB902_118:                            ;   in Loop: Header=BB902_17 Depth=1
	s_or_b64 exec, exec, s[6:7]
.LBB902_119:                            ;   in Loop: Header=BB902_17 Depth=1
	s_or_b64 exec, exec, s[4:5]
	v_lshrrev_b16_e32 v34, 8, v32
	v_cmp_ne_u16_e32 vcc, 0, v34
	s_and_saveexec_b64 s[4:5], vcc
	s_cbranch_execz .LBB902_125
; %bb.120:                              ;   in Loop: Header=BB902_17 Depth=1
	v_cmp_ne_u16_e32 vcc, s13, v34
	v_mov_b32_e32 v23, 0xffff8000
	s_and_saveexec_b64 s[6:7], vcc
	s_cbranch_execz .LBB902_124
; %bb.121:                              ;   in Loop: Header=BB902_17 Depth=1
	v_and_b32_e32 v42, 0x7f, v34
	v_cmp_ne_u32_e32 vcc, s14, v42
	v_mov_b32_e32 v23, 0x7f80
	s_and_saveexec_b64 s[10:11], vcc
	s_cbranch_execz .LBB902_123
; %bb.122:                              ;   in Loop: Header=BB902_17 Depth=1
	v_and_b32_e32 v23, 7, v34
	v_ffbh_u32_e32 v52, v23
	v_min_u32_e32 v54, 32, v52
	v_subrev_u32_e32 v52, 28, v54
	v_lshlrev_b64 v[52:53], v52, v[34:35]
	v_lshrrev_b32_e32 v44, 3, v42
	v_sub_u32_e32 v34, 29, v54
	v_and_b32_e32 v52, 7, v52
	v_cmp_gt_u32_e32 vcc, 8, v42
	v_cndmask_b32_e32 v34, v44, v34, vcc
	v_cndmask_b32_e32 v23, v23, v52, vcc
	v_lshlrev_b32_e32 v42, 16, v32
	v_lshlrev_b32_e32 v23, 20, v23
	v_and_b32_e32 v42, 0x80000000, v42
	v_lshl_add_u32 v34, v34, 23, v38
	v_or3_b32 v23, v42, v34, v23
	v_lshrrev_b32_e32 v23, 16, v23
.LBB902_123:                            ;   in Loop: Header=BB902_17 Depth=1
	s_or_b64 exec, exec, s[10:11]
.LBB902_124:                            ;   in Loop: Header=BB902_17 Depth=1
	s_or_b64 exec, exec, s[6:7]
.LBB902_125:                            ;   in Loop: Header=BB902_17 Depth=1
	s_or_b64 exec, exec, s[4:5]
	v_lshrrev_b32_e32 v34, 16, v32
	v_cmp_ne_u16_sdwa s[6:7], v34, v35 src0_sel:BYTE_0 src1_sel:DWORD
	v_mov_b32_e32 v44, 0
	v_mov_b32_e32 v42, 0
	s_and_saveexec_b64 s[4:5], s[6:7]
	s_cbranch_execz .LBB902_131
; %bb.126:                              ;   in Loop: Header=BB902_17 Depth=1
	v_cmp_ne_u16_sdwa s[10:11], v34, s13 src0_sel:BYTE_0 src1_sel:DWORD
	v_mov_b32_e32 v42, 0xffff8000
	s_and_saveexec_b64 s[6:7], s[10:11]
	s_cbranch_execz .LBB902_130
; %bb.127:                              ;   in Loop: Header=BB902_17 Depth=1
	v_bfe_u32 v52, v32, 16, 7
	v_cmp_ne_u32_e32 vcc, s14, v52
	v_mov_b32_e32 v42, 0x7f80
	s_and_saveexec_b64 s[10:11], vcc
	s_cbranch_execz .LBB902_129
; %bb.128:                              ;   in Loop: Header=BB902_17 Depth=1
	v_and_b32_e32 v42, 7, v34
	v_ffbh_u32_e32 v54, v42
	v_min_u32_e32 v56, 32, v54
	v_subrev_u32_e32 v54, 28, v56
	v_lshlrev_b64 v[54:55], v54, v[34:35]
	v_lshrrev_b32_e32 v53, 3, v52
	v_sub_u32_e32 v55, 29, v56
	v_and_b32_e32 v54, 7, v54
	v_cmp_gt_u32_e32 vcc, 8, v52
	v_cndmask_b32_e32 v52, v53, v55, vcc
	v_cndmask_b32_e32 v42, v42, v54, vcc
	v_lshlrev_b32_e32 v34, 24, v34
	v_lshlrev_b32_e32 v42, 20, v42
	v_and_b32_e32 v34, 0x80000000, v34
	v_lshl_add_u32 v52, v52, 23, v38
	v_or3_b32 v34, v34, v52, v42
	v_lshrrev_b32_e32 v42, 16, v34
.LBB902_129:                            ;   in Loop: Header=BB902_17 Depth=1
	s_or_b64 exec, exec, s[10:11]
.LBB902_130:                            ;   in Loop: Header=BB902_17 Depth=1
	s_or_b64 exec, exec, s[6:7]
.LBB902_131:                            ;   in Loop: Header=BB902_17 Depth=1
	s_or_b64 exec, exec, s[4:5]
	v_cmp_lt_u32_e32 vcc, s15, v32
	s_and_saveexec_b64 s[4:5], vcc
	s_cbranch_execz .LBB902_137
; %bb.132:                              ;   in Loop: Header=BB902_17 Depth=1
	v_lshrrev_b32_e32 v34, 24, v32
	v_cmp_ne_u32_e32 vcc, s13, v34
	v_mov_b32_e32 v44, 0xffff8000
	s_and_saveexec_b64 s[6:7], vcc
	s_cbranch_execz .LBB902_136
; %bb.133:                              ;   in Loop: Header=BB902_17 Depth=1
	v_bfe_u32 v32, v32, 24, 7
	v_cmp_ne_u32_e32 vcc, s14, v32
	v_mov_b32_e32 v44, 0x7f80
	s_and_saveexec_b64 s[10:11], vcc
	s_cbranch_execz .LBB902_135
; %bb.134:                              ;   in Loop: Header=BB902_17 Depth=1
	v_and_b32_e32 v44, 7, v34
	v_ffbh_u32_e32 v52, v44
	v_min_u32_e32 v55, 32, v52
	v_subrev_u32_e32 v52, 28, v55
	v_lshlrev_b64 v[52:53], v52, v[34:35]
	v_lshrrev_b32_e32 v54, 3, v32
	v_sub_u32_e32 v53, 29, v55
	v_and_b32_e32 v52, 7, v52
	v_cmp_gt_u32_e32 vcc, 8, v32
	v_cndmask_b32_e32 v32, v54, v53, vcc
	v_cndmask_b32_e32 v44, v44, v52, vcc
	v_lshlrev_b32_e32 v34, 24, v34
	v_lshlrev_b32_e32 v44, 20, v44
	v_and_b32_e32 v34, 0x80000000, v34
	v_lshl_add_u32 v32, v32, 23, v38
	v_or3_b32 v32, v34, v32, v44
	v_lshrrev_b32_e32 v44, 16, v32
.LBB902_135:                            ;   in Loop: Header=BB902_17 Depth=1
	s_or_b64 exec, exec, s[10:11]
.LBB902_136:                            ;   in Loop: Header=BB902_17 Depth=1
	s_or_b64 exec, exec, s[6:7]
.LBB902_137:                            ;   in Loop: Header=BB902_17 Depth=1
	s_or_b64 exec, exec, s[4:5]
	s_waitcnt vmcnt(2)
	v_cmp_ne_u16_sdwa s[6:7], v30, v35 src0_sel:BYTE_0 src1_sel:DWORD
	v_mov_b32_e32 v34, 0
	v_mov_b32_e32 v52, 0
	s_and_saveexec_b64 s[4:5], s[6:7]
	s_cbranch_execz .LBB902_143
; %bb.138:                              ;   in Loop: Header=BB902_17 Depth=1
	v_cmp_ne_u16_sdwa s[10:11], v30, s13 src0_sel:BYTE_0 src1_sel:DWORD
	v_mov_b32_e32 v52, 0xffff8000
	s_and_saveexec_b64 s[6:7], s[10:11]
	s_cbranch_execz .LBB902_142
; %bb.139:                              ;   in Loop: Header=BB902_17 Depth=1
	v_and_b32_e32 v32, 0x7f, v30
	v_cmp_ne_u32_e32 vcc, s14, v32
	v_mov_b32_e32 v52, 0x7f80
	s_and_saveexec_b64 s[10:11], vcc
	s_cbranch_execz .LBB902_141
; %bb.140:                              ;   in Loop: Header=BB902_17 Depth=1
	v_and_b32_e32 v54, 7, v30
	v_ffbh_u32_e32 v52, v54
	v_min_u32_e32 v56, 32, v52
	v_subrev_u32_e32 v52, 28, v56
	v_lshlrev_b64 v[52:53], v52, v[30:31]
	v_lshrrev_b32_e32 v55, 3, v32
	v_sub_u32_e32 v53, 29, v56
	v_and_b32_e32 v52, 7, v52
	v_cmp_gt_u32_e32 vcc, 8, v32
	v_cndmask_b32_e32 v32, v55, v53, vcc
	v_cndmask_b32_e32 v52, v54, v52, vcc
	v_lshlrev_b32_e32 v53, 24, v30
	v_lshlrev_b32_e32 v52, 20, v52
	v_and_b32_e32 v53, 0x80000000, v53
	v_lshl_add_u32 v32, v32, 23, v38
	v_or3_b32 v32, v53, v32, v52
	v_lshrrev_b32_e32 v52, 16, v32
.LBB902_141:                            ;   in Loop: Header=BB902_17 Depth=1
	s_or_b64 exec, exec, s[10:11]
.LBB902_142:                            ;   in Loop: Header=BB902_17 Depth=1
	s_or_b64 exec, exec, s[6:7]
.LBB902_143:                            ;   in Loop: Header=BB902_17 Depth=1
	s_or_b64 exec, exec, s[4:5]
	v_lshrrev_b16_e32 v32, 8, v30
	v_cmp_ne_u16_e32 vcc, 0, v32
	s_and_saveexec_b64 s[4:5], vcc
	s_cbranch_execz .LBB902_149
; %bb.144:                              ;   in Loop: Header=BB902_17 Depth=1
	v_cmp_ne_u16_e32 vcc, s13, v32
	v_mov_b32_e32 v34, 0xffff8000
	s_and_saveexec_b64 s[6:7], vcc
	s_cbranch_execz .LBB902_148
; %bb.145:                              ;   in Loop: Header=BB902_17 Depth=1
	v_and_b32_e32 v53, 0x7f, v32
	v_cmp_ne_u32_e32 vcc, s14, v53
	v_mov_b32_e32 v34, 0x7f80
	s_and_saveexec_b64 s[10:11], vcc
	s_cbranch_execz .LBB902_147
; %bb.146:                              ;   in Loop: Header=BB902_17 Depth=1
	v_and_b32_e32 v34, 7, v32
	v_ffbh_u32_e32 v54, v34
	v_min_u32_e32 v57, 32, v54
	v_subrev_u32_e32 v54, 28, v57
	v_lshlrev_b64 v[54:55], v54, v[32:33]
	v_lshrrev_b32_e32 v56, 3, v53
	v_sub_u32_e32 v32, 29, v57
	v_and_b32_e32 v54, 7, v54
	v_cmp_gt_u32_e32 vcc, 8, v53
	v_cndmask_b32_e32 v32, v56, v32, vcc
	v_cndmask_b32_e32 v34, v34, v54, vcc
	v_lshlrev_b32_e32 v53, 16, v30
	v_lshlrev_b32_e32 v34, 20, v34
	v_and_b32_e32 v53, 0x80000000, v53
	v_lshl_add_u32 v32, v32, 23, v38
	v_or3_b32 v32, v53, v32, v34
	v_lshrrev_b32_e32 v34, 16, v32
.LBB902_147:                            ;   in Loop: Header=BB902_17 Depth=1
	s_or_b64 exec, exec, s[10:11]
.LBB902_148:                            ;   in Loop: Header=BB902_17 Depth=1
	s_or_b64 exec, exec, s[6:7]
.LBB902_149:                            ;   in Loop: Header=BB902_17 Depth=1
	s_or_b64 exec, exec, s[4:5]
	v_lshrrev_b32_e32 v32, 16, v30
	v_cmp_ne_u16_sdwa s[6:7], v32, v35 src0_sel:BYTE_0 src1_sel:DWORD
	v_mov_b32_e32 v54, 0
	v_mov_b32_e32 v53, 0
	s_and_saveexec_b64 s[4:5], s[6:7]
	s_cbranch_execz .LBB902_155
; %bb.150:                              ;   in Loop: Header=BB902_17 Depth=1
	v_cmp_ne_u16_sdwa s[10:11], v32, s13 src0_sel:BYTE_0 src1_sel:DWORD
	v_mov_b32_e32 v53, 0xffff8000
	s_and_saveexec_b64 s[6:7], s[10:11]
	s_cbranch_execz .LBB902_154
; %bb.151:                              ;   in Loop: Header=BB902_17 Depth=1
	v_bfe_u32 v55, v30, 16, 7
	v_cmp_ne_u32_e32 vcc, s14, v55
	v_mov_b32_e32 v53, 0x7f80
	s_and_saveexec_b64 s[10:11], vcc
	s_cbranch_execz .LBB902_153
; %bb.152:                              ;   in Loop: Header=BB902_17 Depth=1
	v_and_b32_e32 v53, 7, v32
	v_ffbh_u32_e32 v56, v53
	v_min_u32_e32 v59, 32, v56
	v_subrev_u32_e32 v56, 28, v59
	v_lshlrev_b64 v[56:57], v56, v[32:33]
	v_lshrrev_b32_e32 v58, 3, v55
	v_sub_u32_e32 v57, 29, v59
	v_and_b32_e32 v56, 7, v56
	v_cmp_gt_u32_e32 vcc, 8, v55
	v_cndmask_b32_e32 v55, v58, v57, vcc
	v_cndmask_b32_e32 v53, v53, v56, vcc
	v_lshlrev_b32_e32 v32, 24, v32
	v_lshlrev_b32_e32 v53, 20, v53
	v_and_b32_e32 v32, 0x80000000, v32
	v_lshl_add_u32 v55, v55, 23, v38
	v_or3_b32 v32, v32, v55, v53
	v_lshrrev_b32_e32 v53, 16, v32
.LBB902_153:                            ;   in Loop: Header=BB902_17 Depth=1
	s_or_b64 exec, exec, s[10:11]
.LBB902_154:                            ;   in Loop: Header=BB902_17 Depth=1
	s_or_b64 exec, exec, s[6:7]
.LBB902_155:                            ;   in Loop: Header=BB902_17 Depth=1
	s_or_b64 exec, exec, s[4:5]
	v_cmp_lt_u32_e32 vcc, s15, v30
	s_and_saveexec_b64 s[4:5], vcc
	s_cbranch_execz .LBB902_161
; %bb.156:                              ;   in Loop: Header=BB902_17 Depth=1
	v_lshrrev_b32_e32 v32, 24, v30
	v_cmp_ne_u32_e32 vcc, s13, v32
	v_mov_b32_e32 v54, 0xffff8000
	s_and_saveexec_b64 s[6:7], vcc
	s_cbranch_execz .LBB902_160
; %bb.157:                              ;   in Loop: Header=BB902_17 Depth=1
	v_bfe_u32 v30, v30, 24, 7
	v_cmp_ne_u32_e32 vcc, s14, v30
	v_mov_b32_e32 v54, 0x7f80
	s_and_saveexec_b64 s[10:11], vcc
	s_cbranch_execz .LBB902_159
; %bb.158:                              ;   in Loop: Header=BB902_17 Depth=1
	v_and_b32_e32 v56, 7, v32
	v_ffbh_u32_e32 v54, v56
	v_min_u32_e32 v58, 32, v54
	v_subrev_u32_e32 v54, 28, v58
	v_lshlrev_b64 v[54:55], v54, v[32:33]
	v_lshrrev_b32_e32 v57, 3, v30
	v_sub_u32_e32 v55, 29, v58
	v_and_b32_e32 v54, 7, v54
	v_cmp_gt_u32_e32 vcc, 8, v30
	v_cndmask_b32_e32 v30, v57, v55, vcc
	v_cndmask_b32_e32 v54, v56, v54, vcc
	v_lshlrev_b32_e32 v32, 24, v32
	v_lshlrev_b32_e32 v54, 20, v54
	v_and_b32_e32 v32, 0x80000000, v32
	v_lshl_add_u32 v30, v30, 23, v38
	v_or3_b32 v30, v32, v30, v54
	v_lshrrev_b32_e32 v54, 16, v30
.LBB902_159:                            ;   in Loop: Header=BB902_17 Depth=1
	s_or_b64 exec, exec, s[10:11]
.LBB902_160:                            ;   in Loop: Header=BB902_17 Depth=1
	s_or_b64 exec, exec, s[6:7]
.LBB902_161:                            ;   in Loop: Header=BB902_17 Depth=1
	s_or_b64 exec, exec, s[4:5]
	v_perm_b32 v57, v44, v42, s16
	v_perm_b32 v56, v23, v40, s16
	;; [unrolled: 1-line block ×4, first 2 shown]
	s_waitcnt vmcnt(1)
	v_cmp_ne_u16_sdwa s[6:7], v28, v35 src0_sel:BYTE_0 src1_sel:DWORD
	v_mfma_f32_16x16x16bf16_1k v[18:21], v[56:57], v[10:11], v[18:21]
	v_mov_b32_e32 v23, 0
	v_mov_b32_e32 v32, 0
	v_mfma_f32_16x16x16bf16_1k v[18:21], v[52:53], v[12:13], v[18:21]
	s_and_saveexec_b64 s[4:5], s[6:7]
	s_cbranch_execz .LBB902_167
; %bb.162:                              ;   in Loop: Header=BB902_17 Depth=1
	v_cmp_ne_u16_sdwa s[10:11], v28, s13 src0_sel:BYTE_0 src1_sel:DWORD
	v_mov_b32_e32 v32, 0xffff8000
	s_and_saveexec_b64 s[6:7], s[10:11]
	s_cbranch_execz .LBB902_166
; %bb.163:                              ;   in Loop: Header=BB902_17 Depth=1
	v_and_b32_e32 v30, 0x7f, v28
	v_cmp_ne_u32_e32 vcc, s14, v30
	v_mov_b32_e32 v32, 0x7f80
	s_and_saveexec_b64 s[10:11], vcc
	s_cbranch_execz .LBB902_165
; %bb.164:                              ;   in Loop: Header=BB902_17 Depth=1
	v_and_b32_e32 v32, 7, v28
	v_ffbh_u32_e32 v40, v32
	v_min_u32_e32 v40, 32, v40
	v_subrev_u32_e32 v42, 28, v40
	v_lshlrev_b64 v[52:53], v42, v[28:29]
	v_lshrrev_b32_e32 v34, 3, v30
	v_sub_u32_e32 v40, 29, v40
	v_and_b32_e32 v42, 7, v52
	v_cmp_gt_u32_e32 vcc, 8, v30
	v_cndmask_b32_e32 v30, v34, v40, vcc
	v_cndmask_b32_e32 v32, v32, v42, vcc
	v_lshlrev_b32_e32 v34, 24, v28
	v_lshlrev_b32_e32 v32, 20, v32
	v_and_b32_e32 v34, 0x80000000, v34
	v_lshl_add_u32 v30, v30, 23, v38
	v_or3_b32 v30, v34, v30, v32
	v_lshrrev_b32_e32 v32, 16, v30
.LBB902_165:                            ;   in Loop: Header=BB902_17 Depth=1
	s_or_b64 exec, exec, s[10:11]
.LBB902_166:                            ;   in Loop: Header=BB902_17 Depth=1
	s_or_b64 exec, exec, s[6:7]
.LBB902_167:                            ;   in Loop: Header=BB902_17 Depth=1
	s_or_b64 exec, exec, s[4:5]
	v_lshrrev_b16_e32 v30, 8, v28
	v_cmp_ne_u16_e32 vcc, 0, v30
	s_and_saveexec_b64 s[4:5], vcc
	s_cbranch_execz .LBB902_173
; %bb.168:                              ;   in Loop: Header=BB902_17 Depth=1
	v_cmp_ne_u16_e32 vcc, s13, v30
	v_mov_b32_e32 v23, 0xffff8000
	s_and_saveexec_b64 s[6:7], vcc
	s_cbranch_execz .LBB902_172
; %bb.169:                              ;   in Loop: Header=BB902_17 Depth=1
	v_and_b32_e32 v34, 0x7f, v30
	v_cmp_ne_u32_e32 vcc, s14, v34
	v_mov_b32_e32 v23, 0x7f80
	s_and_saveexec_b64 s[10:11], vcc
	s_cbranch_execz .LBB902_171
; %bb.170:                              ;   in Loop: Header=BB902_17 Depth=1
	v_and_b32_e32 v23, 7, v30
	v_ffbh_u32_e32 v42, v23
	v_min_u32_e32 v42, 32, v42
	v_subrev_u32_e32 v44, 28, v42
	v_lshlrev_b64 v[52:53], v44, v[30:31]
	v_lshrrev_b32_e32 v40, 3, v34
	v_sub_u32_e32 v30, 29, v42
	v_and_b32_e32 v42, 7, v52
	v_cmp_gt_u32_e32 vcc, 8, v34
	v_cndmask_b32_e32 v30, v40, v30, vcc
	v_cndmask_b32_e32 v23, v23, v42, vcc
	v_lshlrev_b32_e32 v34, 16, v28
	v_lshlrev_b32_e32 v23, 20, v23
	v_and_b32_e32 v34, 0x80000000, v34
	v_lshl_add_u32 v30, v30, 23, v38
	v_or3_b32 v23, v34, v30, v23
	v_lshrrev_b32_e32 v23, 16, v23
.LBB902_171:                            ;   in Loop: Header=BB902_17 Depth=1
	s_or_b64 exec, exec, s[10:11]
.LBB902_172:                            ;   in Loop: Header=BB902_17 Depth=1
	s_or_b64 exec, exec, s[6:7]
.LBB902_173:                            ;   in Loop: Header=BB902_17 Depth=1
	s_or_b64 exec, exec, s[4:5]
	v_lshrrev_b32_e32 v30, 16, v28
	v_cmp_ne_u16_sdwa s[6:7], v30, v35 src0_sel:BYTE_0 src1_sel:DWORD
	v_mov_b32_e32 v40, 0
	v_mov_b32_e32 v34, 0
	s_and_saveexec_b64 s[4:5], s[6:7]
	s_cbranch_execz .LBB902_179
; %bb.174:                              ;   in Loop: Header=BB902_17 Depth=1
	v_cmp_ne_u16_sdwa s[10:11], v30, s13 src0_sel:BYTE_0 src1_sel:DWORD
	v_mov_b32_e32 v34, 0xffff8000
	s_and_saveexec_b64 s[6:7], s[10:11]
	s_cbranch_execz .LBB902_178
; %bb.175:                              ;   in Loop: Header=BB902_17 Depth=1
	v_bfe_u32 v42, v28, 16, 7
	v_cmp_ne_u32_e32 vcc, s14, v42
	v_mov_b32_e32 v34, 0x7f80
	s_and_saveexec_b64 s[10:11], vcc
	s_cbranch_execz .LBB902_177
; %bb.176:                              ;   in Loop: Header=BB902_17 Depth=1
	v_and_b32_e32 v34, 7, v30
	v_ffbh_u32_e32 v52, v34
	v_min_u32_e32 v54, 32, v52
	v_subrev_u32_e32 v52, 28, v54
	v_lshlrev_b64 v[52:53], v52, v[30:31]
	v_lshrrev_b32_e32 v44, 3, v42
	v_sub_u32_e32 v53, 29, v54
	v_and_b32_e32 v52, 7, v52
	v_cmp_gt_u32_e32 vcc, 8, v42
	v_cndmask_b32_e32 v42, v44, v53, vcc
	v_cndmask_b32_e32 v34, v34, v52, vcc
	v_lshlrev_b32_e32 v30, 24, v30
	v_lshlrev_b32_e32 v34, 20, v34
	v_and_b32_e32 v30, 0x80000000, v30
	v_lshl_add_u32 v42, v42, 23, v38
	v_or3_b32 v30, v30, v42, v34
	v_lshrrev_b32_e32 v34, 16, v30
.LBB902_177:                            ;   in Loop: Header=BB902_17 Depth=1
	s_or_b64 exec, exec, s[10:11]
.LBB902_178:                            ;   in Loop: Header=BB902_17 Depth=1
	s_or_b64 exec, exec, s[6:7]
.LBB902_179:                            ;   in Loop: Header=BB902_17 Depth=1
	s_or_b64 exec, exec, s[4:5]
	v_cmp_lt_u32_e32 vcc, s15, v28
	s_and_saveexec_b64 s[4:5], vcc
	s_cbranch_execz .LBB902_185
; %bb.180:                              ;   in Loop: Header=BB902_17 Depth=1
	v_lshrrev_b32_e32 v30, 24, v28
	v_cmp_ne_u32_e32 vcc, s13, v30
	v_mov_b32_e32 v40, 0xffff8000
	s_and_saveexec_b64 s[6:7], vcc
	s_cbranch_execz .LBB902_184
; %bb.181:                              ;   in Loop: Header=BB902_17 Depth=1
	v_bfe_u32 v28, v28, 24, 7
	v_cmp_ne_u32_e32 vcc, s14, v28
	v_mov_b32_e32 v40, 0x7f80
	s_and_saveexec_b64 s[10:11], vcc
	s_cbranch_execz .LBB902_183
; %bb.182:                              ;   in Loop: Header=BB902_17 Depth=1
	v_and_b32_e32 v40, 7, v30
	v_ffbh_u32_e32 v44, v40
	v_min_u32_e32 v44, 32, v44
	v_subrev_u32_e32 v52, 28, v44
	v_lshlrev_b64 v[52:53], v52, v[30:31]
	v_lshrrev_b32_e32 v42, 3, v28
	v_sub_u32_e32 v44, 29, v44
	v_and_b32_e32 v52, 7, v52
	v_cmp_gt_u32_e32 vcc, 8, v28
	v_cndmask_b32_e32 v28, v42, v44, vcc
	v_cndmask_b32_e32 v40, v40, v52, vcc
	v_lshlrev_b32_e32 v30, 24, v30
	v_lshlrev_b32_e32 v40, 20, v40
	v_and_b32_e32 v30, 0x80000000, v30
	v_lshl_add_u32 v28, v28, 23, v38
	v_or3_b32 v28, v30, v28, v40
	v_lshrrev_b32_e32 v40, 16, v28
.LBB902_183:                            ;   in Loop: Header=BB902_17 Depth=1
	s_or_b64 exec, exec, s[10:11]
.LBB902_184:                            ;   in Loop: Header=BB902_17 Depth=1
	s_or_b64 exec, exec, s[6:7]
.LBB902_185:                            ;   in Loop: Header=BB902_17 Depth=1
	s_or_b64 exec, exec, s[4:5]
	s_waitcnt vmcnt(0)
	v_cmp_ne_u16_sdwa s[6:7], v26, v35 src0_sel:BYTE_0 src1_sel:DWORD
	v_mov_b32_e32 v30, 0
	v_mov_b32_e32 v42, 0
	s_and_saveexec_b64 s[4:5], s[6:7]
	s_cbranch_execz .LBB902_191
; %bb.186:                              ;   in Loop: Header=BB902_17 Depth=1
	v_cmp_ne_u16_sdwa s[10:11], v26, s13 src0_sel:BYTE_0 src1_sel:DWORD
	v_mov_b32_e32 v42, 0xffff8000
	s_and_saveexec_b64 s[6:7], s[10:11]
	s_cbranch_execz .LBB902_190
; %bb.187:                              ;   in Loop: Header=BB902_17 Depth=1
	v_and_b32_e32 v28, 0x7f, v26
	v_cmp_ne_u32_e32 vcc, s14, v28
	v_mov_b32_e32 v42, 0x7f80
	s_and_saveexec_b64 s[10:11], vcc
	s_cbranch_execz .LBB902_189
; %bb.188:                              ;   in Loop: Header=BB902_17 Depth=1
	v_and_b32_e32 v42, 7, v26
	v_ffbh_u32_e32 v52, v42
	v_min_u32_e32 v54, 32, v52
	v_subrev_u32_e32 v52, 28, v54
	v_lshlrev_b64 v[52:53], v52, v[26:27]
	v_lshrrev_b32_e32 v44, 3, v28
	v_sub_u32_e32 v53, 29, v54
	v_and_b32_e32 v52, 7, v52
	v_cmp_gt_u32_e32 vcc, 8, v28
	v_cndmask_b32_e32 v28, v44, v53, vcc
	v_cndmask_b32_e32 v42, v42, v52, vcc
	v_lshlrev_b32_e32 v44, 24, v26
	v_lshlrev_b32_e32 v42, 20, v42
	v_and_b32_e32 v44, 0x80000000, v44
	v_lshl_add_u32 v28, v28, 23, v38
	v_or3_b32 v28, v44, v28, v42
	v_lshrrev_b32_e32 v42, 16, v28
.LBB902_189:                            ;   in Loop: Header=BB902_17 Depth=1
	s_or_b64 exec, exec, s[10:11]
.LBB902_190:                            ;   in Loop: Header=BB902_17 Depth=1
	s_or_b64 exec, exec, s[6:7]
.LBB902_191:                            ;   in Loop: Header=BB902_17 Depth=1
	s_or_b64 exec, exec, s[4:5]
	v_lshrrev_b16_e32 v28, 8, v26
	v_cmp_ne_u16_e32 vcc, 0, v28
	s_and_saveexec_b64 s[4:5], vcc
	s_cbranch_execz .LBB902_197
; %bb.192:                              ;   in Loop: Header=BB902_17 Depth=1
	v_cmp_ne_u16_e32 vcc, s13, v28
	v_mov_b32_e32 v30, 0xffff8000
	s_and_saveexec_b64 s[6:7], vcc
	s_cbranch_execz .LBB902_196
; %bb.193:                              ;   in Loop: Header=BB902_17 Depth=1
	v_and_b32_e32 v44, 0x7f, v28
	v_cmp_ne_u32_e32 vcc, s14, v44
	v_mov_b32_e32 v30, 0x7f80
	s_and_saveexec_b64 s[10:11], vcc
	s_cbranch_execz .LBB902_195
; %bb.194:                              ;   in Loop: Header=BB902_17 Depth=1
	v_and_b32_e32 v30, 7, v28
	v_ffbh_u32_e32 v52, v30
	v_min_u32_e32 v55, 32, v52
	v_subrev_u32_e32 v52, 28, v55
	v_lshlrev_b64 v[52:53], v52, v[28:29]
	v_lshrrev_b32_e32 v54, 3, v44
	v_sub_u32_e32 v28, 29, v55
	v_and_b32_e32 v52, 7, v52
	v_cmp_gt_u32_e32 vcc, 8, v44
	v_cndmask_b32_e32 v28, v54, v28, vcc
	v_cndmask_b32_e32 v30, v30, v52, vcc
	v_lshlrev_b32_e32 v44, 16, v26
	v_lshlrev_b32_e32 v30, 20, v30
	v_and_b32_e32 v44, 0x80000000, v44
	v_lshl_add_u32 v28, v28, 23, v38
	v_or3_b32 v28, v44, v28, v30
	v_lshrrev_b32_e32 v30, 16, v28
.LBB902_195:                            ;   in Loop: Header=BB902_17 Depth=1
	s_or_b64 exec, exec, s[10:11]
.LBB902_196:                            ;   in Loop: Header=BB902_17 Depth=1
	s_or_b64 exec, exec, s[6:7]
.LBB902_197:                            ;   in Loop: Header=BB902_17 Depth=1
	s_or_b64 exec, exec, s[4:5]
	v_lshrrev_b32_e32 v28, 16, v26
	v_cmp_ne_u16_sdwa s[6:7], v28, v35 src0_sel:BYTE_0 src1_sel:DWORD
	v_mov_b32_e32 v52, 0
	v_mov_b32_e32 v44, 0
	s_and_saveexec_b64 s[4:5], s[6:7]
	s_cbranch_execz .LBB902_203
; %bb.198:                              ;   in Loop: Header=BB902_17 Depth=1
	v_cmp_ne_u16_sdwa s[10:11], v28, s13 src0_sel:BYTE_0 src1_sel:DWORD
	v_mov_b32_e32 v44, 0xffff8000
	s_and_saveexec_b64 s[6:7], s[10:11]
	s_cbranch_execz .LBB902_202
; %bb.199:                              ;   in Loop: Header=BB902_17 Depth=1
	v_bfe_u32 v53, v26, 16, 7
	v_cmp_ne_u32_e32 vcc, s14, v53
	v_mov_b32_e32 v44, 0x7f80
	s_and_saveexec_b64 s[10:11], vcc
	s_cbranch_execz .LBB902_201
; %bb.200:                              ;   in Loop: Header=BB902_17 Depth=1
	v_and_b32_e32 v44, 7, v28
	v_ffbh_u32_e32 v54, v44
	v_min_u32_e32 v57, 32, v54
	v_subrev_u32_e32 v54, 28, v57
	v_lshlrev_b64 v[54:55], v54, v[28:29]
	v_lshrrev_b32_e32 v56, 3, v53
	v_sub_u32_e32 v55, 29, v57
	v_and_b32_e32 v54, 7, v54
	v_cmp_gt_u32_e32 vcc, 8, v53
	v_cndmask_b32_e32 v53, v56, v55, vcc
	v_cndmask_b32_e32 v44, v44, v54, vcc
	v_lshlrev_b32_e32 v28, 24, v28
	v_lshlrev_b32_e32 v44, 20, v44
	v_and_b32_e32 v28, 0x80000000, v28
	v_lshl_add_u32 v53, v53, 23, v38
	v_or3_b32 v28, v28, v53, v44
	v_lshrrev_b32_e32 v44, 16, v28
.LBB902_201:                            ;   in Loop: Header=BB902_17 Depth=1
	s_or_b64 exec, exec, s[10:11]
.LBB902_202:                            ;   in Loop: Header=BB902_17 Depth=1
	s_or_b64 exec, exec, s[6:7]
.LBB902_203:                            ;   in Loop: Header=BB902_17 Depth=1
	s_or_b64 exec, exec, s[4:5]
	v_cmp_lt_u32_e32 vcc, s15, v26
	s_and_saveexec_b64 s[4:5], vcc
	s_cbranch_execz .LBB902_16
; %bb.204:                              ;   in Loop: Header=BB902_17 Depth=1
	v_lshrrev_b32_e32 v28, 24, v26
	v_cmp_ne_u32_e32 vcc, s13, v28
	v_mov_b32_e32 v52, 0xffff8000
	s_and_saveexec_b64 s[6:7], vcc
	s_cbranch_execz .LBB902_15
; %bb.205:                              ;   in Loop: Header=BB902_17 Depth=1
	v_bfe_u32 v26, v26, 24, 7
	v_cmp_ne_u32_e32 vcc, s14, v26
	v_mov_b32_e32 v52, 0x7f80
	s_and_saveexec_b64 s[10:11], vcc
	s_cbranch_execz .LBB902_14
; %bb.206:                              ;   in Loop: Header=BB902_17 Depth=1
	v_and_b32_e32 v54, 7, v28
	v_ffbh_u32_e32 v52, v54
	v_min_u32_e32 v56, 32, v52
	v_subrev_u32_e32 v52, 28, v56
	v_lshlrev_b64 v[52:53], v52, v[28:29]
	v_lshrrev_b32_e32 v55, 3, v26
	v_sub_u32_e32 v53, 29, v56
	v_and_b32_e32 v52, 7, v52
	v_cmp_gt_u32_e32 vcc, 8, v26
	v_cndmask_b32_e32 v26, v55, v53, vcc
	v_cndmask_b32_e32 v52, v54, v52, vcc
	v_lshlrev_b32_e32 v28, 24, v28
	v_lshlrev_b32_e32 v52, 20, v52
	v_and_b32_e32 v28, 0x80000000, v28
	v_lshl_add_u32 v26, v26, 23, v38
	v_or3_b32 v26, v28, v26, v52
	v_lshrrev_b32_e32 v52, 16, v26
	s_branch .LBB902_14
.LBB902_207:
	buffer_load_dword v17, off, s[0:3], 0 offset:256
	buffer_load_dword v16, off, s[0:3], 0 offset:260
	;; [unrolled: 1-line block ×16, first 2 shown]
	v_and_b32_e32 v18, 0xc0, v0
	v_add_u32_e32 v18, s20, v18
	v_lshl_or_b32 v18, v1, 2, v18
	v_or_b32_e32 v20, 1, v18
	v_subrev_u32_e32 v24, s33, v20
	v_add_u32_e32 v26, 1, v24
	v_cvt_f32_i32_e32 v25, v24
	v_add_u32_e32 v28, 2, v24
	v_add_u32_e32 v30, 3, v24
	;; [unrolled: 1-line block ×14, first 2 shown]
	v_cvt_f32_i32_e32 v26, v26
	v_cvt_f32_i32_e32 v28, v28
	;; [unrolled: 1-line block ×4, first 2 shown]
	v_mov_b32_e32 v19, 0xff7fffff
	v_or_b32_e32 v21, 2, v18
	v_or_b32_e32 v22, 3, v18
	v_cvt_f32_i32_e32 v32, v32
	v_cvt_f32_i32_e32 v34, v34
	v_cmp_gt_i32_e64 s[28:29], s33, v18
	v_cmp_gt_i32_e64 s[30:31], s33, v20
	s_mov_b32 s52, 0xff7fffff
	v_cmp_gt_i32_e64 s[34:35], s33, v21
	v_cmp_gt_i32_e64 s[36:37], s33, v22
	v_or_b32_e32 v23, 16, v18
	v_cvt_f32_i32_e32 v35, v35
	v_cvt_f32_i32_e32 v36, v36
	v_cmp_gt_i32_e64 s[24:25], s33, v23
	v_cvt_f32_i32_e32 v37, v37
	v_cvt_f32_i32_e32 v38, v38
	;; [unrolled: 1-line block ×7, first 2 shown]
	s_waitcnt vmcnt(15)
	v_fmac_f32_e32 v17, v31, v25
	s_waitcnt vmcnt(14)
	v_fmac_f32_e32 v16, v31, v26
	;; [unrolled: 2-line block ×4, first 2 shown]
	v_cndmask_b32_e64 v20, v19, v16, s[30:31]
	v_cndmask_b32_e64 v21, v19, v15, s[34:35]
	;; [unrolled: 1-line block ×3, first 2 shown]
	s_waitcnt vmcnt(11)
	v_fmac_f32_e32 v13, v31, v32
	s_waitcnt vmcnt(10)
	v_fmac_f32_e32 v12, v31, v34
	s_waitcnt vmcnt(9)
	v_fmac_f32_e32 v11, v31, v35
	s_waitcnt vmcnt(8)
	v_fmac_f32_e32 v10, v31, v36
	s_waitcnt vmcnt(7)
	v_fmac_f32_e32 v9, v31, v37
	s_waitcnt vmcnt(6)
	v_fmac_f32_e32 v8, v31, v38
	s_waitcnt vmcnt(5)
	v_fmac_f32_e32 v7, v31, v40
	s_waitcnt vmcnt(4)
	v_fmac_f32_e32 v6, v31, v42
	s_waitcnt vmcnt(0)
	v_fmac_f32_e32 v2, v31, v24
	v_cndmask_b32_e64 v24, v19, v17, s[28:29]
	v_max3_f32 v20, v24, s52, v20
	v_max3_f32 v20, v20, v21, v22
	v_or_b32_e32 v22, 17, v18
	v_cmp_gt_i32_e64 s[38:39], s33, v22
	v_cndmask_b32_e64 v21, v19, v13, s[24:25]
	v_cndmask_b32_e64 v22, v19, v12, s[38:39]
	v_max3_f32 v20, v20, v21, v22
	v_or_b32_e32 v21, 18, v18
	v_or_b32_e32 v22, 19, v18
	v_cmp_gt_i32_e64 s[20:21], s33, v21
	v_cmp_gt_i32_e64 s[22:23], s33, v22
	v_cndmask_b32_e64 v21, v19, v11, s[20:21]
	v_cndmask_b32_e64 v22, v19, v10, s[22:23]
	v_max3_f32 v20, v20, v21, v22
	v_or_b32_e32 v21, 32, v18
	v_or_b32_e32 v22, 33, v18
	v_cmp_gt_i32_e64 s[16:17], s33, v21
	;; [unrolled: 7-line block ×3, first 2 shown]
	v_cmp_gt_i32_e64 s[14:15], s33, v22
	v_cndmask_b32_e64 v21, v19, v7, s[12:13]
	v_cndmask_b32_e64 v22, v19, v6, s[14:15]
	v_max3_f32 v20, v20, v21, v22
	v_or_b32_e32 v21, 48, v18
	v_or_b32_e32 v22, 49, v18
	v_fmac_f32_e32 v5, v31, v44
	v_fmac_f32_e32 v4, v31, v52
	v_cmp_gt_i32_e64 s[6:7], s33, v21
	v_cmp_gt_i32_e64 s[10:11], s33, v22
	v_cndmask_b32_e64 v21, v19, v5, s[6:7]
	v_cndmask_b32_e64 v22, v19, v4, s[10:11]
	v_max3_f32 v20, v20, v21, v22
	v_or_b32_e32 v21, 50, v18
	v_or_b32_e32 v18, 51, v18
	v_fmac_f32_e32 v3, v31, v53
	v_cmp_gt_i32_e32 vcc, s33, v21
	v_cmp_gt_i32_e64 s[4:5], s33, v18
	v_cndmask_b32_e32 v21, v19, v3, vcc
	v_cndmask_b32_e64 v18, v19, v2, s[4:5]
	v_mbcnt_lo_u32_b32 v19, -1, 0
	v_mbcnt_hi_u32_b32 v19, -1, v19
	v_max3_f32 v18, v20, v21, v18
	v_and_b32_e32 v20, 64, v19
	v_add_u32_e32 v20, 64, v20
	v_xor_b32_e32 v21, 32, v19
	v_cmp_lt_i32_e64 s[40:41], v21, v20
	v_cndmask_b32_e64 v21, v19, v21, s[40:41]
	v_lshlrev_b32_e32 v21, 2, v21
	ds_bpermute_b32 v22, v21, v18
	s_waitcnt lgkmcnt(0)
	v_max_f32_e32 v22, v22, v22
	v_max_f32_e32 v18, v18, v22
	v_xor_b32_e32 v22, 16, v19
	v_cmp_lt_i32_e64 s[40:41], v22, v20
	v_cndmask_b32_e64 v19, v19, v22, s[40:41]
	v_lshlrev_b32_e32 v19, 2, v19
	ds_bpermute_b32 v20, v19, v18
	s_waitcnt lgkmcnt(0)
	v_max_f32_e32 v20, v20, v20
	v_max_f32_e32 v18, v18, v20
	v_sub_f32_e32 v17, v17, v18
	v_mul_f32_e32 v17, 0x3fb8aa3b, v17
	v_sub_f32_e32 v16, v16, v18
	v_exp_f32_e32 v17, v17
	v_mul_f32_e32 v16, 0x3fb8aa3b, v16
	v_sub_f32_e32 v15, v15, v18
	v_exp_f32_e32 v16, v16
	;; [unrolled: 3-line block ×4, first 2 shown]
	v_mul_f32_e32 v13, 0x3fb8aa3b, v13
	v_sub_f32_e32 v12, v12, v18
	v_cndmask_b32_e64 v17, 0, v17, s[28:29]
	v_exp_f32_e32 v13, v13
	v_mul_f32_e32 v12, 0x3fb8aa3b, v12
	v_sub_f32_e32 v11, v11, v18
	v_add_f32_e32 v20, 0, v17
	v_cndmask_b32_e64 v16, 0, v16, s[30:31]
	v_exp_f32_e32 v12, v12
	v_mul_f32_e32 v11, 0x3fb8aa3b, v11
	v_sub_f32_e32 v10, v10, v18
	v_add_f32_e32 v20, v20, v16
	;; [unrolled: 5-line block ×4, first 2 shown]
	v_cndmask_b32_e64 v13, 0, v13, s[24:25]
	v_exp_f32_e32 v9, v9
	v_mul_f32_e32 v8, 0x3fb8aa3b, v8
	v_sub_f32_e32 v7, v7, v18
	buffer_store_dword v17, off, s[0:3], 0 offset:256
	buffer_store_dword v16, off, s[0:3], 0 offset:260
	;; [unrolled: 1-line block ×4, first 2 shown]
	v_add_f32_e32 v14, v20, v13
	v_cndmask_b32_e64 v12, 0, v12, s[38:39]
	v_exp_f32_e32 v8, v8
	v_mul_f32_e32 v7, 0x3fb8aa3b, v7
	v_sub_f32_e32 v6, v6, v18
	v_add_f32_e32 v14, v14, v12
	v_cndmask_b32_e64 v11, 0, v11, s[20:21]
	v_exp_f32_e32 v7, v7
	v_mul_f32_e32 v6, 0x3fb8aa3b, v6
	v_sub_f32_e32 v5, v5, v18
	v_add_f32_e32 v14, v14, v11
	v_cndmask_b32_e64 v10, 0, v10, s[22:23]
	v_exp_f32_e32 v6, v6
	v_mul_f32_e32 v5, 0x3fb8aa3b, v5
	v_sub_f32_e32 v4, v4, v18
	v_add_f32_e32 v14, v14, v10
	v_cndmask_b32_e64 v9, 0, v9, s[16:17]
	v_exp_f32_e32 v5, v5
	v_mul_f32_e32 v4, 0x3fb8aa3b, v4
	v_sub_f32_e32 v3, v3, v18
	buffer_store_dword v13, off, s[0:3], 0 offset:272
	buffer_store_dword v12, off, s[0:3], 0 offset:276
	;; [unrolled: 1-line block ×4, first 2 shown]
	v_add_f32_e32 v10, v14, v9
	v_cndmask_b32_e64 v8, 0, v8, s[18:19]
	v_exp_f32_e32 v4, v4
	v_mul_f32_e32 v3, 0x3fb8aa3b, v3
	v_sub_f32_e32 v2, v2, v18
	v_add_f32_e32 v10, v10, v8
	v_cndmask_b32_e64 v7, 0, v7, s[12:13]
	v_exp_f32_e32 v3, v3
	v_mul_f32_e32 v2, 0x3fb8aa3b, v2
	v_add_f32_e32 v10, v10, v7
	v_cndmask_b32_e64 v6, 0, v6, s[14:15]
	v_exp_f32_e32 v2, v2
	v_add_f32_e32 v10, v10, v6
	v_cndmask_b32_e64 v5, 0, v5, s[6:7]
	buffer_store_dword v9, off, s[0:3], 0 offset:288
	buffer_store_dword v8, off, s[0:3], 0 offset:292
	;; [unrolled: 1-line block ×4, first 2 shown]
	v_add_f32_e32 v6, v10, v5
	v_cndmask_b32_e64 v4, 0, v4, s[10:11]
	v_add_f32_e32 v6, v6, v4
	v_cndmask_b32_e32 v3, 0, v3, vcc
	v_add_f32_e32 v6, v6, v3
	v_cndmask_b32_e64 v2, 0, v2, s[4:5]
	v_add_f32_e32 v6, v6, v2
	ds_bpermute_b32 v7, v21, v6
	buffer_store_dword v5, off, s[0:3], 0 offset:304
	buffer_store_dword v4, off, s[0:3], 0 offset:308
	;; [unrolled: 1-line block ×4, first 2 shown]
	v_cmp_gt_u32_e64 s[4:5], 16, v33
	s_waitcnt lgkmcnt(0)
	s_barrier
	v_add_f32_e32 v2, v6, v7
	ds_bpermute_b32 v3, v19, v2
	s_waitcnt lgkmcnt(0)
	s_and_saveexec_b64 s[6:7], s[4:5]
	s_cbranch_execz .LBB902_209
; %bb.208:
	v_add_f32_e32 v2, v2, v3
	v_lshlrev_b32_e32 v3, 2, v29
	ds_write2st64_b32 v3, v18, v2 offset1:1
.LBB902_209:
	s_or_b64 exec, exec, s[6:7]
	v_lshlrev_b32_e32 v2, 2, v41
	s_waitcnt lgkmcnt(0)
	s_barrier
	ds_read2_b32 v[14:15], v2 offset1:16
	ds_read2_b32 v[16:17], v2 offset0:32 offset1:48
	ds_read2_b32 v[6:7], v2 offset0:64 offset1:80
	;; [unrolled: 1-line block ×3, first 2 shown]
	s_waitcnt lgkmcnt(0)
	s_barrier
	buffer_load_dword v22, off, s[0:3], 0 offset:264
	buffer_load_dword v23, off, s[0:3], 0 offset:268
	;; [unrolled: 1-line block ×16, first 2 shown]
	v_max3_f32 v20, v14, s52, v15
	v_max3_f32 v20, v20, v16, v17
	v_sub_f32_e32 v14, v14, v20
	v_sub_f32_e32 v15, v15, v20
	v_mul_f32_e32 v14, 0x3fb8aa3b, v14
	v_sub_f32_e32 v16, v16, v20
	v_mul_f32_e32 v15, 0x3fb8aa3b, v15
	v_exp_f32_e32 v14, v14
	v_sub_f32_e32 v17, v17, v20
	v_mul_f32_e32 v16, 0x3fb8aa3b, v16
	v_exp_f32_e32 v15, v15
	v_mul_f32_e32 v17, 0x3fb8aa3b, v17
	v_exp_f32_e32 v16, v16
	v_exp_f32_e32 v17, v17
	v_fma_f32 v6, v14, v6, 0
	v_fmac_f32_e32 v6, v15, v7
	v_fmac_f32_e32 v6, v16, v12
	;; [unrolled: 1-line block ×3, first 2 shown]
	v_cmp_eq_u32_e32 vcc, 1, v27
	v_add_f32_e32 v12, 0x358637bd, v6
	v_cndmask_b32_e32 v14, v14, v15, vcc
	v_cmp_eq_u32_e32 vcc, 2, v27
	v_div_scale_f32 v13, s[6:7], v12, v12, 1.0
	v_cndmask_b32_e32 v7, v14, v16, vcc
	v_rcp_f32_e32 v14, v13
	v_cmp_eq_u32_e32 vcc, 3, v27
	v_cndmask_b32_e32 v7, v7, v17, vcc
	v_div_scale_f32 v15, vcc, 1.0, v12, 1.0
	v_fma_f32 v16, -v13, v14, 1.0
	v_fmac_f32_e32 v14, v16, v14
	v_mul_f32_e32 v16, v15, v14
	v_fma_f32 v17, -v13, v16, v15
	v_fmac_f32_e32 v16, v17, v14
	v_fma_f32 v13, -v13, v16, v15
	v_div_fmas_f32 v13, v13, v14, v16
	v_div_fixup_f32 v12, v13, v12, 1.0
	v_mul_f32_e32 v12, v7, v12
	s_movk_i32 s21, 0x7fff
	s_mov_b32 s22, 0x7060302
	s_mul_i32 s20, s49, 9
	v_cmp_gt_u32_e32 vcc, 9, v0
	s_waitcnt vmcnt(14)
	v_pk_mul_f32 v[14:15], v[12:13], v[22:23] op_sel_hi:[0,1]
	v_bfe_u32 v21, v15, 16, 1
	s_waitcnt vmcnt(12)
	v_pk_mul_f32 v[16:17], v[12:13], v[24:25] op_sel_hi:[0,1]
	v_bfe_u32 v7, v17, 16, 1
	v_bfe_u32 v13, v16, 16, 1
	;; [unrolled: 1-line block ×3, first 2 shown]
	v_add3_u32 v13, v16, v13, s21
	v_add3_u32 v7, v17, v7, s21
	buffer_store_dword v16, off, s[0:3], 0 offset:256
	buffer_store_dword v17, off, s[0:3], 0 offset:260
	;; [unrolled: 1-line block ×4, first 2 shown]
	v_add3_u32 v16, v14, v22, s21
	v_add3_u32 v15, v15, v21, s21
	v_perm_b32 v14, v7, v13, s22
	v_lshlrev_b32_e32 v13, 3, v1
	v_perm_b32 v15, v15, v16, s22
	v_lshlrev_b32_e32 v7, 5, v41
	v_lshlrev_b32_e32 v16, 11, v27
	s_waitcnt vmcnt(12)
	v_pk_mul_f32 v[8:9], v[12:13], v[8:9] op_sel_hi:[0,1]
	v_or3_b32 v52, v16, v7, v13
	v_pk_mul_f32 v[10:11], v[12:13], v[10:11] op_sel_hi:[0,1]
	v_bfe_u32 v13, v9, 16, 1
	v_bfe_u32 v16, v8, 16, 1
	buffer_store_dword v8, off, s[0:3], 0 offset:272
	buffer_store_dword v9, off, s[0:3], 0 offset:276
	;; [unrolled: 1-line block ×4, first 2 shown]
	v_add3_u32 v8, v8, v16, s21
	v_add3_u32 v9, v9, v13, s21
	v_perm_b32 v8, v9, v8, s22
	v_bfe_u32 v9, v11, 16, 1
	v_bfe_u32 v13, v10, 16, 1
	v_add3_u32 v10, v10, v13, s21
	v_add3_u32 v9, v11, v9, s21
	v_perm_b32 v9, v9, v10, s22
	s_waitcnt vmcnt(14)
	v_pk_mul_f32 v[10:11], v[12:13], v[18:19] op_sel_hi:[0,1]
	ds_write2st64_b64 v52, v[14:15], v[8:9] offset1:1
	s_waitcnt vmcnt(12)
	v_pk_mul_f32 v[8:9], v[12:13], v[28:29] op_sel_hi:[0,1]
	v_bfe_u32 v13, v11, 16, 1
	v_bfe_u32 v14, v10, 16, 1
	buffer_store_dword v10, off, s[0:3], 0 offset:288
	buffer_store_dword v11, off, s[0:3], 0 offset:292
	;; [unrolled: 1-line block ×4, first 2 shown]
	v_add3_u32 v10, v10, v14, s21
	v_add3_u32 v11, v11, v13, s21
	v_perm_b32 v10, v11, v10, s22
	v_bfe_u32 v11, v9, 16, 1
	v_bfe_u32 v13, v8, 16, 1
	v_add3_u32 v8, v8, v13, s21
	v_add3_u32 v9, v9, v11, s21
	s_waitcnt vmcnt(14)
	v_pk_mul_f32 v[2:3], v[12:13], v[2:3] op_sel_hi:[0,1]
	v_perm_b32 v11, v9, v8, s22
	v_bfe_u32 v8, v3, 16, 1
	v_bfe_u32 v9, v2, 16, 1
	s_waitcnt vmcnt(12)
	v_pk_mul_f32 v[4:5], v[12:13], v[4:5] op_sel_hi:[0,1]
	buffer_store_dword v2, off, s[0:3], 0 offset:304
	buffer_store_dword v3, off, s[0:3], 0 offset:308
	;; [unrolled: 1-line block ×4, first 2 shown]
	v_add3_u32 v2, v2, v9, s21
	v_add3_u32 v3, v3, v8, s21
	v_perm_b32 v2, v3, v2, s22
	v_bfe_u32 v3, v5, 16, 1
	v_bfe_u32 v8, v4, 16, 1
	v_add3_u32 v4, v4, v8, s21
	v_add3_u32 v3, v5, v3, s21
	v_perm_b32 v3, v3, v4, s22
	ds_write2st64_b64 v52, v[10:11], v[2:3] offset0:2 offset1:3
	s_and_saveexec_b64 s[6:7], vcc
	s_cbranch_execz .LBB902_211
; %bb.210:
	v_add_co_u32_e32 v4, vcc, s27, v41
	v_addc_co_u32_e64 v5, s[10:11], 0, 0, vcc
	v_mov_b32_e32 v2, s20
	v_mov_b32_e32 v3, 0
	v_mad_u64_u32 v[4:5], s[10:11], s8, v2, v[4:5]
	v_mov_b32_e32 v2, s26
	s_mul_i32 s9, s9, s20
	v_mad_u64_u32 v[2:3], s[10:11], v4, s48, v[2:3]
	v_add_u32_e32 v5, s9, v5
	v_mov_b32_e32 v4, v3
	v_mad_u64_u32 v[4:5], s[10:11], v5, s48, v[4:5]
	v_mov_b32_e32 v3, v4
	v_lshlrev_b64 v[2:3], 2, v[2:3]
	v_mov_b32_e32 v5, s47
	v_add_co_u32_e32 v4, vcc, s46, v2
	v_addc_co_u32_e32 v5, vcc, v5, v3, vcc
	global_store_dword v[4:5], v20, off
	v_mov_b32_e32 v4, s45
	v_add_co_u32_e32 v2, vcc, s44, v2
	v_addc_co_u32_e32 v3, vcc, v4, v3, vcc
	global_store_dword v[2:3], v6, off
.LBB902_211:
	s_or_b64 exec, exec, s[6:7]
	v_lshl_or_b32 v30, v1, 9, v7
	s_waitcnt lgkmcnt(0)
	s_barrier
	s_load_dword s6, s[42:43], 0x0
	ds_read_b128 v[2:5], v30
	ds_read_b128 v[6:9], v30 offset:16
	ds_read_b128 v[10:13], v30 offset:2048
	;; [unrolled: 1-line block ×7, first 2 shown]
	v_mov_b32_e32 v35, 0x80
	v_mov_b32_e32 v53, 0x140
	s_mov_b64 s[12:13], -1
	s_waitcnt lgkmcnt(0)
	s_mov_b32 s7, s6
	s_mov_b32 s10, s6
	;; [unrolled: 1-line block ×3, first 2 shown]
	s_movk_i32 s9, 0x80
	s_movk_i32 s23, 0x7f
	s_mov_b32 s24, 0xffffff
	s_mov_b32 s25, 0x5040100
	v_mov_b32_e32 v54, 0
	v_bfrev_b32_e32 v55, 60
	s_branch .LBB902_215
.LBB902_212:                            ;   in Loop: Header=BB902_215 Depth=1
	s_or_b64 exec, exec, s[18:19]
.LBB902_213:                            ;   in Loop: Header=BB902_215 Depth=1
	s_or_b64 exec, exec, s[16:17]
.LBB902_214:                            ;   in Loop: Header=BB902_215 Depth=1
	s_or_b64 exec, exec, s[14:15]
	v_perm_b32 v61, v56, v50, s25
	v_perm_b32 v60, v44, v46, s25
	s_xor_b64 s[14:15], s[12:13], -1
	s_mov_b64 s[12:13], 0
	v_mov_b32_e32 v46, v47
	v_mfma_f32_16x16x16bf16_1k v[60:63], v[60:61], v[30:31], v[34:37]
	s_and_b64 vcc, exec, s[14:15]
	s_nop 5
	v_perm_b32 v37, v58, v57, s25
	v_perm_b32 v36, v42, v51, s25
	v_mov_b32_e32 v35, v45
	s_nop 0
	v_mfma_f32_16x16x16bf16_1k v[56:59], v[36:37], v[32:33], v[60:63]
	s_nop 7
	s_nop 2
	v_pk_mul_f32 v[50:51], v[56:57], s[6:7]
	v_pk_mul_f32 v[36:37], v[58:59], s[10:11]
	v_bfe_u32 v34, v51, 16, 1
	v_bfe_u32 v38, v50, 16, 1
	;; [unrolled: 1-line block ×4, first 2 shown]
	v_add3_u32 v38, v50, v38, s21
	v_add3_u32 v34, v51, v34, s21
	;; [unrolled: 1-line block ×4, first 2 shown]
	v_perm_b32 v34, v34, v38, s22
	v_perm_b32 v36, v37, v36, s22
	buffer_store_dword v34, v53, s[0:3], 0 offen
	buffer_store_dword v36, v53, s[0:3], 0 offen offset:4
	v_mov_b32_e32 v53, 0x148
	v_mov_b32_e32 v51, v48
	;; [unrolled: 1-line block ×3, first 2 shown]
	s_cbranch_vccnz .LBB902_597
.LBB902_215:                            ; =>This Inner Loop Header: Depth=1
	buffer_load_dword v36, v35, s[0:3], 0 offen
	buffer_load_dword v34, v35, s[0:3], 0 offen offset:4
	buffer_load_dword v40, v35, s[0:3], 0 offen offset:8
	;; [unrolled: 1-line block ×3, first 2 shown]
	v_mov_b32_e32 v35, 0
	s_waitcnt vmcnt(3)
	v_cmp_ne_u16_sdwa s[16:17], v36, v54 src0_sel:BYTE_0 src1_sel:DWORD
	s_and_saveexec_b64 s[14:15], s[16:17]
	s_cbranch_execz .LBB902_221
; %bb.216:                              ;   in Loop: Header=BB902_215 Depth=1
	v_cmp_ne_u16_sdwa s[18:19], v36, s9 src0_sel:BYTE_0 src1_sel:DWORD
	v_mov_b32_e32 v35, 0xffff8000
	s_and_saveexec_b64 s[16:17], s[18:19]
	s_cbranch_execz .LBB902_220
; %bb.217:                              ;   in Loop: Header=BB902_215 Depth=1
	v_and_b32_e32 v37, 0x7f, v36
	v_cmp_ne_u32_e32 vcc, s23, v37
	v_mov_b32_e32 v35, 0x7f80
	s_and_saveexec_b64 s[18:19], vcc
	s_cbranch_execz .LBB902_219
; %bb.218:                              ;   in Loop: Header=BB902_215 Depth=1
	v_and_b32_e32 v35, 7, v36
	v_ffbh_u32_e32 v44, v35
	v_min_u32_e32 v44, 32, v44
	v_subrev_u32_e32 v56, 28, v44
	v_lshlrev_b64 v[56:57], v56, v[36:37]
	v_lshrrev_b32_e32 v42, 3, v37
	v_sub_u32_e32 v44, 29, v44
	v_and_b32_e32 v56, 7, v56
	v_cmp_gt_u32_e32 vcc, 8, v37
	v_cndmask_b32_e32 v37, v42, v44, vcc
	v_cndmask_b32_e32 v35, v35, v56, vcc
	v_lshlrev_b32_e32 v42, 24, v36
	v_lshlrev_b32_e32 v35, 20, v35
	v_and_b32_e32 v42, 0x80000000, v42
	v_lshl_add_u32 v37, v37, 23, v55
	v_or3_b32 v35, v42, v37, v35
	v_lshrrev_b32_e32 v35, 16, v35
.LBB902_219:                            ;   in Loop: Header=BB902_215 Depth=1
	s_or_b64 exec, exec, s[18:19]
.LBB902_220:                            ;   in Loop: Header=BB902_215 Depth=1
	s_or_b64 exec, exec, s[16:17]
.LBB902_221:                            ;   in Loop: Header=BB902_215 Depth=1
	s_or_b64 exec, exec, s[14:15]
	v_lshrrev_b16_e32 v42, 8, v36
	v_cmp_ne_u16_e32 vcc, 0, v42
	v_mov_b32_e32 v56, 0
	v_mov_b32_e32 v37, 0
	s_and_saveexec_b64 s[14:15], vcc
	s_cbranch_execz .LBB902_227
; %bb.222:                              ;   in Loop: Header=BB902_215 Depth=1
	v_cmp_ne_u16_e32 vcc, s9, v42
	v_mov_b32_e32 v37, 0xffff8000
	s_and_saveexec_b64 s[16:17], vcc
	s_cbranch_execz .LBB902_226
; %bb.223:                              ;   in Loop: Header=BB902_215 Depth=1
	v_and_b32_e32 v44, 0x7f, v42
	v_cmp_ne_u32_e32 vcc, s23, v44
	v_mov_b32_e32 v37, 0x7f80
	s_and_saveexec_b64 s[18:19], vcc
	s_cbranch_execz .LBB902_225
; %bb.224:                              ;   in Loop: Header=BB902_215 Depth=1
	v_and_b32_e32 v37, 7, v42
	v_ffbh_u32_e32 v58, v37
	v_min_u32_e32 v60, 32, v58
	v_subrev_u32_e32 v58, 28, v60
	v_lshlrev_b64 v[58:59], v58, v[42:43]
	v_lshrrev_b32_e32 v57, 3, v44
	v_sub_u32_e32 v42, 29, v60
	v_and_b32_e32 v58, 7, v58
	v_cmp_gt_u32_e32 vcc, 8, v44
	v_cndmask_b32_e32 v42, v57, v42, vcc
	v_cndmask_b32_e32 v37, v37, v58, vcc
	v_lshlrev_b32_e32 v44, 16, v36
	v_lshlrev_b32_e32 v37, 20, v37
	v_and_b32_e32 v44, 0x80000000, v44
	v_lshl_add_u32 v42, v42, 23, v55
	v_or3_b32 v37, v44, v42, v37
	v_lshrrev_b32_e32 v37, 16, v37
.LBB902_225:                            ;   in Loop: Header=BB902_215 Depth=1
	s_or_b64 exec, exec, s[18:19]
.LBB902_226:                            ;   in Loop: Header=BB902_215 Depth=1
	s_or_b64 exec, exec, s[16:17]
.LBB902_227:                            ;   in Loop: Header=BB902_215 Depth=1
	s_or_b64 exec, exec, s[14:15]
	v_lshrrev_b32_e32 v42, 16, v36
	v_cmp_ne_u16_sdwa s[16:17], v42, v54 src0_sel:BYTE_0 src1_sel:DWORD
	s_and_saveexec_b64 s[14:15], s[16:17]
	s_cbranch_execz .LBB902_233
; %bb.228:                              ;   in Loop: Header=BB902_215 Depth=1
	v_cmp_ne_u16_sdwa s[18:19], v42, s9 src0_sel:BYTE_0 src1_sel:DWORD
	v_mov_b32_e32 v56, 0xffff8000
	s_and_saveexec_b64 s[16:17], s[18:19]
	s_cbranch_execz .LBB902_232
; %bb.229:                              ;   in Loop: Header=BB902_215 Depth=1
	v_bfe_u32 v44, v36, 16, 7
	v_cmp_ne_u32_e32 vcc, s23, v44
	v_mov_b32_e32 v56, 0x7f80
	s_and_saveexec_b64 s[18:19], vcc
	s_cbranch_execz .LBB902_231
; %bb.230:                              ;   in Loop: Header=BB902_215 Depth=1
	v_and_b32_e32 v58, 7, v42
	v_ffbh_u32_e32 v56, v58
	v_min_u32_e32 v60, 32, v56
	v_subrev_u32_e32 v56, 28, v60
	v_lshlrev_b64 v[56:57], v56, v[42:43]
	v_lshrrev_b32_e32 v59, 3, v44
	v_sub_u32_e32 v57, 29, v60
	v_and_b32_e32 v56, 7, v56
	v_cmp_gt_u32_e32 vcc, 8, v44
	v_cndmask_b32_e32 v44, v59, v57, vcc
	v_cndmask_b32_e32 v56, v58, v56, vcc
	v_lshlrev_b32_e32 v42, 24, v42
	v_lshlrev_b32_e32 v56, 20, v56
	v_and_b32_e32 v42, 0x80000000, v42
	v_lshl_add_u32 v44, v44, 23, v55
	v_or3_b32 v42, v42, v44, v56
	v_lshrrev_b32_e32 v56, 16, v42
.LBB902_231:                            ;   in Loop: Header=BB902_215 Depth=1
	s_or_b64 exec, exec, s[18:19]
.LBB902_232:                            ;   in Loop: Header=BB902_215 Depth=1
	s_or_b64 exec, exec, s[16:17]
.LBB902_233:                            ;   in Loop: Header=BB902_215 Depth=1
	s_or_b64 exec, exec, s[14:15]
	v_cmp_lt_u32_e32 vcc, s24, v36
	v_mov_b32_e32 v57, 0
	v_mov_b32_e32 v58, 0
	s_and_saveexec_b64 s[14:15], vcc
	s_cbranch_execz .LBB902_239
; %bb.234:                              ;   in Loop: Header=BB902_215 Depth=1
	v_lshrrev_b32_e32 v42, 24, v36
	v_cmp_ne_u32_e32 vcc, s9, v42
	v_mov_b32_e32 v58, 0xffff8000
	s_and_saveexec_b64 s[16:17], vcc
	s_cbranch_execz .LBB902_238
; %bb.235:                              ;   in Loop: Header=BB902_215 Depth=1
	v_bfe_u32 v36, v36, 24, 7
	v_cmp_ne_u32_e32 vcc, s23, v36
	v_mov_b32_e32 v58, 0x7f80
	s_and_saveexec_b64 s[18:19], vcc
	s_cbranch_execz .LBB902_237
; %bb.236:                              ;   in Loop: Header=BB902_215 Depth=1
	v_and_b32_e32 v44, 7, v42
	v_ffbh_u32_e32 v58, v44
	v_min_u32_e32 v61, 32, v58
	v_subrev_u32_e32 v58, 28, v61
	v_lshlrev_b64 v[58:59], v58, v[42:43]
	v_lshrrev_b32_e32 v60, 3, v36
	v_sub_u32_e32 v59, 29, v61
	v_and_b32_e32 v58, 7, v58
	v_cmp_gt_u32_e32 vcc, 8, v36
	v_cndmask_b32_e32 v36, v60, v59, vcc
	v_cndmask_b32_e32 v44, v44, v58, vcc
	v_lshlrev_b32_e32 v42, 24, v42
	v_lshlrev_b32_e32 v44, 20, v44
	v_and_b32_e32 v42, 0x80000000, v42
	v_lshl_add_u32 v36, v36, 23, v55
	v_or3_b32 v36, v42, v36, v44
	v_lshrrev_b32_e32 v58, 16, v36
.LBB902_237:                            ;   in Loop: Header=BB902_215 Depth=1
	s_or_b64 exec, exec, s[18:19]
.LBB902_238:                            ;   in Loop: Header=BB902_215 Depth=1
	s_or_b64 exec, exec, s[16:17]
.LBB902_239:                            ;   in Loop: Header=BB902_215 Depth=1
	s_or_b64 exec, exec, s[14:15]
	s_waitcnt vmcnt(2)
	v_cmp_ne_u16_sdwa s[16:17], v34, v54 src0_sel:BYTE_0 src1_sel:DWORD
	s_and_saveexec_b64 s[14:15], s[16:17]
	s_cbranch_execz .LBB902_245
; %bb.240:                              ;   in Loop: Header=BB902_215 Depth=1
	v_cmp_ne_u16_sdwa s[18:19], v34, s9 src0_sel:BYTE_0 src1_sel:DWORD
	v_mov_b32_e32 v57, 0xffff8000
	s_and_saveexec_b64 s[16:17], s[18:19]
	s_cbranch_execz .LBB902_244
; %bb.241:                              ;   in Loop: Header=BB902_215 Depth=1
	v_and_b32_e32 v36, 0x7f, v34
	v_cmp_ne_u32_e32 vcc, s23, v36
	v_mov_b32_e32 v57, 0x7f80
	s_and_saveexec_b64 s[18:19], vcc
	s_cbranch_execz .LBB902_243
; %bb.242:                              ;   in Loop: Header=BB902_215 Depth=1
	v_and_b32_e32 v42, 7, v34
	v_ffbh_u32_e32 v57, v42
	v_min_u32_e32 v57, 32, v57
	v_subrev_u32_e32 v59, 28, v57
	v_lshlrev_b64 v[60:61], v59, v[34:35]
	v_lshrrev_b32_e32 v44, 3, v36
	v_sub_u32_e32 v57, 29, v57
	v_and_b32_e32 v59, 7, v60
	v_cmp_gt_u32_e32 vcc, 8, v36
	v_cndmask_b32_e32 v36, v44, v57, vcc
	v_cndmask_b32_e32 v42, v42, v59, vcc
	v_lshlrev_b32_e32 v44, 24, v34
	v_lshlrev_b32_e32 v42, 20, v42
	v_and_b32_e32 v44, 0x80000000, v44
	v_lshl_add_u32 v36, v36, 23, v55
	v_or3_b32 v36, v44, v36, v42
	v_lshrrev_b32_e32 v57, 16, v36
.LBB902_243:                            ;   in Loop: Header=BB902_215 Depth=1
	s_or_b64 exec, exec, s[18:19]
.LBB902_244:                            ;   in Loop: Header=BB902_215 Depth=1
	s_or_b64 exec, exec, s[16:17]
.LBB902_245:                            ;   in Loop: Header=BB902_215 Depth=1
	s_or_b64 exec, exec, s[14:15]
	v_lshrrev_b16_e32 v36, 8, v34
	v_cmp_ne_u16_e32 vcc, 0, v36
	v_mov_b32_e32 v59, 0
	v_mov_b32_e32 v42, 0
	s_and_saveexec_b64 s[14:15], vcc
	s_cbranch_execz .LBB902_251
; %bb.246:                              ;   in Loop: Header=BB902_215 Depth=1
	v_cmp_ne_u16_e32 vcc, s9, v36
	v_mov_b32_e32 v42, 0xffff8000
	s_and_saveexec_b64 s[16:17], vcc
	s_cbranch_execz .LBB902_250
; %bb.247:                              ;   in Loop: Header=BB902_215 Depth=1
	v_and_b32_e32 v44, 0x7f, v36
	v_cmp_ne_u32_e32 vcc, s23, v44
	v_mov_b32_e32 v42, 0x7f80
	s_and_saveexec_b64 s[18:19], vcc
	s_cbranch_execz .LBB902_249
; %bb.248:                              ;   in Loop: Header=BB902_215 Depth=1
	v_and_b32_e32 v42, 7, v36
	v_ffbh_u32_e32 v60, v42
	v_min_u32_e32 v63, 32, v60
	v_subrev_u32_e32 v60, 28, v63
	v_lshlrev_b64 v[60:61], v60, v[36:37]
	v_lshrrev_b32_e32 v62, 3, v44
	v_sub_u32_e32 v36, 29, v63
	v_and_b32_e32 v60, 7, v60
	v_cmp_gt_u32_e32 vcc, 8, v44
	v_cndmask_b32_e32 v36, v62, v36, vcc
	v_cndmask_b32_e32 v42, v42, v60, vcc
	v_lshlrev_b32_e32 v44, 16, v34
	v_lshlrev_b32_e32 v42, 20, v42
	v_and_b32_e32 v44, 0x80000000, v44
	v_lshl_add_u32 v36, v36, 23, v55
	v_or3_b32 v36, v44, v36, v42
	v_lshrrev_b32_e32 v42, 16, v36
.LBB902_249:                            ;   in Loop: Header=BB902_215 Depth=1
	s_or_b64 exec, exec, s[18:19]
.LBB902_250:                            ;   in Loop: Header=BB902_215 Depth=1
	s_or_b64 exec, exec, s[16:17]
.LBB902_251:                            ;   in Loop: Header=BB902_215 Depth=1
	s_or_b64 exec, exec, s[14:15]
	v_lshrrev_b32_e32 v36, 16, v34
	v_cmp_ne_u16_sdwa s[16:17], v36, v54 src0_sel:BYTE_0 src1_sel:DWORD
	s_and_saveexec_b64 s[14:15], s[16:17]
	s_cbranch_execz .LBB902_257
; %bb.252:                              ;   in Loop: Header=BB902_215 Depth=1
	v_cmp_ne_u16_sdwa s[18:19], v36, s9 src0_sel:BYTE_0 src1_sel:DWORD
	v_mov_b32_e32 v59, 0xffff8000
	s_and_saveexec_b64 s[16:17], s[18:19]
	s_cbranch_execz .LBB902_256
; %bb.253:                              ;   in Loop: Header=BB902_215 Depth=1
	v_bfe_u32 v44, v34, 16, 7
	v_cmp_ne_u32_e32 vcc, s23, v44
	v_mov_b32_e32 v59, 0x7f80
	s_and_saveexec_b64 s[18:19], vcc
	s_cbranch_execz .LBB902_255
; %bb.254:                              ;   in Loop: Header=BB902_215 Depth=1
	v_and_b32_e32 v59, 7, v36
	v_ffbh_u32_e32 v60, v59
	v_min_u32_e32 v63, 32, v60
	v_subrev_u32_e32 v60, 28, v63
	v_lshlrev_b64 v[60:61], v60, v[36:37]
	v_lshrrev_b32_e32 v62, 3, v44
	v_sub_u32_e32 v61, 29, v63
	v_and_b32_e32 v60, 7, v60
	v_cmp_gt_u32_e32 vcc, 8, v44
	v_cndmask_b32_e32 v44, v62, v61, vcc
	v_cndmask_b32_e32 v59, v59, v60, vcc
	v_lshlrev_b32_e32 v36, 24, v36
	v_lshlrev_b32_e32 v59, 20, v59
	v_and_b32_e32 v36, 0x80000000, v36
	v_lshl_add_u32 v44, v44, 23, v55
	v_or3_b32 v36, v36, v44, v59
	v_lshrrev_b32_e32 v59, 16, v36
.LBB902_255:                            ;   in Loop: Header=BB902_215 Depth=1
	s_or_b64 exec, exec, s[18:19]
.LBB902_256:                            ;   in Loop: Header=BB902_215 Depth=1
	s_or_b64 exec, exec, s[16:17]
.LBB902_257:                            ;   in Loop: Header=BB902_215 Depth=1
	s_or_b64 exec, exec, s[14:15]
	v_cmp_lt_u32_e32 vcc, s24, v34
	v_mov_b32_e32 v44, 0
	v_mov_b32_e32 v60, 0
	s_and_saveexec_b64 s[14:15], vcc
	s_cbranch_execz .LBB902_263
; %bb.258:                              ;   in Loop: Header=BB902_215 Depth=1
	v_lshrrev_b32_e32 v36, 24, v34
	v_cmp_ne_u32_e32 vcc, s9, v36
	v_mov_b32_e32 v60, 0xffff8000
	s_and_saveexec_b64 s[16:17], vcc
	s_cbranch_execz .LBB902_262
; %bb.259:                              ;   in Loop: Header=BB902_215 Depth=1
	v_bfe_u32 v34, v34, 24, 7
	v_cmp_ne_u32_e32 vcc, s23, v34
	v_mov_b32_e32 v60, 0x7f80
	s_and_saveexec_b64 s[18:19], vcc
	s_cbranch_execz .LBB902_261
; %bb.260:                              ;   in Loop: Header=BB902_215 Depth=1
	v_and_b32_e32 v62, 7, v36
	v_ffbh_u32_e32 v60, v62
	v_min_u32_e32 v64, 32, v60
	v_subrev_u32_e32 v60, 28, v64
	v_lshlrev_b64 v[60:61], v60, v[36:37]
	v_lshrrev_b32_e32 v63, 3, v34
	v_sub_u32_e32 v61, 29, v64
	v_and_b32_e32 v60, 7, v60
	v_cmp_gt_u32_e32 vcc, 8, v34
	v_cndmask_b32_e32 v34, v63, v61, vcc
	v_cndmask_b32_e32 v60, v62, v60, vcc
	v_lshlrev_b32_e32 v36, 24, v36
	v_lshlrev_b32_e32 v60, 20, v60
	v_and_b32_e32 v36, 0x80000000, v36
	v_lshl_add_u32 v34, v34, 23, v55
	v_or3_b32 v34, v36, v34, v60
	v_lshrrev_b32_e32 v60, 16, v34
.LBB902_261:                            ;   in Loop: Header=BB902_215 Depth=1
	s_or_b64 exec, exec, s[18:19]
.LBB902_262:                            ;   in Loop: Header=BB902_215 Depth=1
	s_or_b64 exec, exec, s[16:17]
.LBB902_263:                            ;   in Loop: Header=BB902_215 Depth=1
	s_or_b64 exec, exec, s[14:15]
	v_perm_b32 v63, v58, v56, s25
	v_perm_b32 v62, v37, v35, s25
	v_perm_b32 v59, v60, v59, s25
	v_perm_b32 v58, v42, v57, s25
	s_waitcnt vmcnt(1)
	v_cmp_ne_u16_sdwa s[16:17], v40, v54 src0_sel:BYTE_0 src1_sel:DWORD
	v_mfma_f32_16x16x16bf16_1k v[34:37], v[62:63], v[2:3], 0
	v_mfma_f32_16x16x16bf16_1k v[34:37], v[58:59], v[4:5], v[34:37]
	s_and_saveexec_b64 s[14:15], s[16:17]
	s_cbranch_execz .LBB902_269
; %bb.264:                              ;   in Loop: Header=BB902_215 Depth=1
	v_cmp_ne_u16_sdwa s[18:19], v40, s9 src0_sel:BYTE_0 src1_sel:DWORD
	v_mov_b32_e32 v44, 0xffff8000
	s_and_saveexec_b64 s[16:17], s[18:19]
	s_cbranch_execz .LBB902_268
; %bb.265:                              ;   in Loop: Header=BB902_215 Depth=1
	v_and_b32_e32 v42, 0x7f, v40
	v_cmp_ne_u32_e32 vcc, s23, v42
	v_mov_b32_e32 v44, 0x7f80
	s_and_saveexec_b64 s[18:19], vcc
	s_cbranch_execz .LBB902_267
; %bb.266:                              ;   in Loop: Header=BB902_215 Depth=1
	v_and_b32_e32 v44, 7, v40
	v_ffbh_u32_e32 v56, v44
	v_min_u32_e32 v59, 32, v56
	v_subrev_u32_e32 v56, 28, v59
	v_lshlrev_b64 v[56:57], v56, v[40:41]
	v_lshrrev_b32_e32 v58, 3, v42
	v_sub_u32_e32 v57, 29, v59
	v_and_b32_e32 v56, 7, v56
	v_cmp_gt_u32_e32 vcc, 8, v42
	v_cndmask_b32_e32 v42, v58, v57, vcc
	v_cndmask_b32_e32 v44, v44, v56, vcc
	v_lshlrev_b32_e32 v56, 24, v40
	v_lshlrev_b32_e32 v44, 20, v44
	v_and_b32_e32 v56, 0x80000000, v56
	v_lshl_add_u32 v42, v42, 23, v55
	v_or3_b32 v42, v56, v42, v44
	v_lshrrev_b32_e32 v44, 16, v42
.LBB902_267:                            ;   in Loop: Header=BB902_215 Depth=1
	s_or_b64 exec, exec, s[18:19]
.LBB902_268:                            ;   in Loop: Header=BB902_215 Depth=1
	s_or_b64 exec, exec, s[16:17]
.LBB902_269:                            ;   in Loop: Header=BB902_215 Depth=1
	s_or_b64 exec, exec, s[14:15]
	v_lshrrev_b16_e32 v42, 8, v40
	v_cmp_ne_u16_e32 vcc, 0, v42
	v_mov_b32_e32 v58, 0
	v_mov_b32_e32 v57, 0
	s_and_saveexec_b64 s[14:15], vcc
	s_cbranch_execz .LBB902_275
; %bb.270:                              ;   in Loop: Header=BB902_215 Depth=1
	v_cmp_ne_u16_e32 vcc, s9, v42
	v_mov_b32_e32 v57, 0xffff8000
	s_and_saveexec_b64 s[16:17], vcc
	s_cbranch_execz .LBB902_274
; %bb.271:                              ;   in Loop: Header=BB902_215 Depth=1
	v_and_b32_e32 v56, 0x7f, v42
	v_cmp_ne_u32_e32 vcc, s23, v56
	v_mov_b32_e32 v57, 0x7f80
	s_and_saveexec_b64 s[18:19], vcc
	s_cbranch_execz .LBB902_273
; %bb.272:                              ;   in Loop: Header=BB902_215 Depth=1
	v_and_b32_e32 v57, 7, v42
	v_ffbh_u32_e32 v60, v57
	v_min_u32_e32 v62, 32, v60
	v_subrev_u32_e32 v60, 28, v62
	v_lshlrev_b64 v[60:61], v60, v[42:43]
	v_lshrrev_b32_e32 v59, 3, v56
	v_sub_u32_e32 v42, 29, v62
	v_and_b32_e32 v60, 7, v60
	v_cmp_gt_u32_e32 vcc, 8, v56
	v_cndmask_b32_e32 v42, v59, v42, vcc
	v_cndmask_b32_e32 v56, v57, v60, vcc
	v_lshlrev_b32_e32 v57, 16, v40
	v_lshlrev_b32_e32 v56, 20, v56
	v_and_b32_e32 v57, 0x80000000, v57
	v_lshl_add_u32 v42, v42, 23, v55
	v_or3_b32 v42, v57, v42, v56
	v_lshrrev_b32_e32 v57, 16, v42
.LBB902_273:                            ;   in Loop: Header=BB902_215 Depth=1
	s_or_b64 exec, exec, s[18:19]
.LBB902_274:                            ;   in Loop: Header=BB902_215 Depth=1
	s_or_b64 exec, exec, s[16:17]
.LBB902_275:                            ;   in Loop: Header=BB902_215 Depth=1
	s_or_b64 exec, exec, s[14:15]
	v_lshrrev_b32_e32 v42, 16, v40
	v_cmp_ne_u16_sdwa s[16:17], v42, v54 src0_sel:BYTE_0 src1_sel:DWORD
	s_and_saveexec_b64 s[14:15], s[16:17]
	s_cbranch_execz .LBB902_281
; %bb.276:                              ;   in Loop: Header=BB902_215 Depth=1
	v_cmp_ne_u16_sdwa s[18:19], v42, s9 src0_sel:BYTE_0 src1_sel:DWORD
	v_mov_b32_e32 v58, 0xffff8000
	s_and_saveexec_b64 s[16:17], s[18:19]
	s_cbranch_execz .LBB902_280
; %bb.277:                              ;   in Loop: Header=BB902_215 Depth=1
	v_bfe_u32 v56, v40, 16, 7
	v_cmp_ne_u32_e32 vcc, s23, v56
	v_mov_b32_e32 v58, 0x7f80
	s_and_saveexec_b64 s[18:19], vcc
	s_cbranch_execz .LBB902_279
; %bb.278:                              ;   in Loop: Header=BB902_215 Depth=1
	v_and_b32_e32 v60, 7, v42
	v_ffbh_u32_e32 v58, v60
	v_min_u32_e32 v62, 32, v58
	v_subrev_u32_e32 v58, 28, v62
	v_lshlrev_b64 v[58:59], v58, v[42:43]
	v_lshrrev_b32_e32 v61, 3, v56
	v_sub_u32_e32 v59, 29, v62
	v_and_b32_e32 v58, 7, v58
	v_cmp_gt_u32_e32 vcc, 8, v56
	v_cndmask_b32_e32 v56, v61, v59, vcc
	v_cndmask_b32_e32 v58, v60, v58, vcc
	v_lshlrev_b32_e32 v42, 24, v42
	v_lshlrev_b32_e32 v58, 20, v58
	v_and_b32_e32 v42, 0x80000000, v42
	v_lshl_add_u32 v56, v56, 23, v55
	v_or3_b32 v42, v42, v56, v58
	v_lshrrev_b32_e32 v58, 16, v42
.LBB902_279:                            ;   in Loop: Header=BB902_215 Depth=1
	s_or_b64 exec, exec, s[18:19]
.LBB902_280:                            ;   in Loop: Header=BB902_215 Depth=1
	s_or_b64 exec, exec, s[16:17]
.LBB902_281:                            ;   in Loop: Header=BB902_215 Depth=1
	s_or_b64 exec, exec, s[14:15]
	v_cmp_lt_u32_e32 vcc, s24, v40
	v_mov_b32_e32 v59, 0
	v_mov_b32_e32 v60, 0
	s_and_saveexec_b64 s[14:15], vcc
	s_cbranch_execz .LBB902_287
; %bb.282:                              ;   in Loop: Header=BB902_215 Depth=1
	v_lshrrev_b32_e32 v42, 24, v40
	v_cmp_ne_u32_e32 vcc, s9, v42
	v_mov_b32_e32 v60, 0xffff8000
	s_and_saveexec_b64 s[16:17], vcc
	s_cbranch_execz .LBB902_286
; %bb.283:                              ;   in Loop: Header=BB902_215 Depth=1
	v_bfe_u32 v40, v40, 24, 7
	v_cmp_ne_u32_e32 vcc, s23, v40
	v_mov_b32_e32 v60, 0x7f80
	s_and_saveexec_b64 s[18:19], vcc
	s_cbranch_execz .LBB902_285
; %bb.284:                              ;   in Loop: Header=BB902_215 Depth=1
	v_and_b32_e32 v56, 7, v42
	v_ffbh_u32_e32 v60, v56
	v_min_u32_e32 v63, 32, v60
	v_subrev_u32_e32 v60, 28, v63
	v_lshlrev_b64 v[60:61], v60, v[42:43]
	v_lshrrev_b32_e32 v62, 3, v40
	v_sub_u32_e32 v61, 29, v63
	v_and_b32_e32 v60, 7, v60
	v_cmp_gt_u32_e32 vcc, 8, v40
	v_cndmask_b32_e32 v40, v62, v61, vcc
	v_cndmask_b32_e32 v56, v56, v60, vcc
	v_lshlrev_b32_e32 v42, 24, v42
	v_lshlrev_b32_e32 v56, 20, v56
	v_and_b32_e32 v42, 0x80000000, v42
	v_lshl_add_u32 v40, v40, 23, v55
	v_or3_b32 v40, v42, v40, v56
	v_lshrrev_b32_e32 v60, 16, v40
.LBB902_285:                            ;   in Loop: Header=BB902_215 Depth=1
	s_or_b64 exec, exec, s[18:19]
.LBB902_286:                            ;   in Loop: Header=BB902_215 Depth=1
	s_or_b64 exec, exec, s[16:17]
.LBB902_287:                            ;   in Loop: Header=BB902_215 Depth=1
	s_or_b64 exec, exec, s[14:15]
	s_waitcnt vmcnt(0)
	v_cmp_ne_u16_sdwa s[16:17], v38, v54 src0_sel:BYTE_0 src1_sel:DWORD
	s_and_saveexec_b64 s[14:15], s[16:17]
	s_cbranch_execz .LBB902_293
; %bb.288:                              ;   in Loop: Header=BB902_215 Depth=1
	v_cmp_ne_u16_sdwa s[18:19], v38, s9 src0_sel:BYTE_0 src1_sel:DWORD
	v_mov_b32_e32 v59, 0xffff8000
	s_and_saveexec_b64 s[16:17], s[18:19]
	s_cbranch_execz .LBB902_292
; %bb.289:                              ;   in Loop: Header=BB902_215 Depth=1
	v_and_b32_e32 v40, 0x7f, v38
	v_cmp_ne_u32_e32 vcc, s23, v40
	v_mov_b32_e32 v59, 0x7f80
	s_and_saveexec_b64 s[18:19], vcc
	s_cbranch_execz .LBB902_291
; %bb.290:                              ;   in Loop: Header=BB902_215 Depth=1
	v_and_b32_e32 v42, 7, v38
	v_ffbh_u32_e32 v59, v42
	v_min_u32_e32 v59, 32, v59
	v_subrev_u32_e32 v61, 28, v59
	v_lshlrev_b64 v[62:63], v61, v[38:39]
	v_lshrrev_b32_e32 v56, 3, v40
	v_sub_u32_e32 v59, 29, v59
	v_and_b32_e32 v61, 7, v62
	v_cmp_gt_u32_e32 vcc, 8, v40
	v_cndmask_b32_e32 v40, v56, v59, vcc
	v_cndmask_b32_e32 v42, v42, v61, vcc
	v_lshlrev_b32_e32 v56, 24, v38
	v_lshlrev_b32_e32 v42, 20, v42
	v_and_b32_e32 v56, 0x80000000, v56
	v_lshl_add_u32 v40, v40, 23, v55
	v_or3_b32 v40, v56, v40, v42
	v_lshrrev_b32_e32 v59, 16, v40
.LBB902_291:                            ;   in Loop: Header=BB902_215 Depth=1
	s_or_b64 exec, exec, s[18:19]
.LBB902_292:                            ;   in Loop: Header=BB902_215 Depth=1
	s_or_b64 exec, exec, s[16:17]
.LBB902_293:                            ;   in Loop: Header=BB902_215 Depth=1
	s_or_b64 exec, exec, s[14:15]
	v_lshrrev_b16_e32 v40, 8, v38
	v_cmp_ne_u16_e32 vcc, 0, v40
	v_mov_b32_e32 v62, 0
	v_mov_b32_e32 v61, 0
	s_and_saveexec_b64 s[14:15], vcc
	s_cbranch_execz .LBB902_299
; %bb.294:                              ;   in Loop: Header=BB902_215 Depth=1
	v_cmp_ne_u16_e32 vcc, s9, v40
	v_mov_b32_e32 v61, 0xffff8000
	s_and_saveexec_b64 s[16:17], vcc
	s_cbranch_execz .LBB902_298
; %bb.295:                              ;   in Loop: Header=BB902_215 Depth=1
	v_and_b32_e32 v42, 0x7f, v40
	v_cmp_ne_u32_e32 vcc, s23, v42
	v_mov_b32_e32 v61, 0x7f80
	s_and_saveexec_b64 s[18:19], vcc
	s_cbranch_execz .LBB902_297
; %bb.296:                              ;   in Loop: Header=BB902_215 Depth=1
	v_and_b32_e32 v56, 7, v40
	v_ffbh_u32_e32 v63, v56
	v_min_u32_e32 v63, 32, v63
	v_subrev_u32_e32 v64, 28, v63
	v_lshlrev_b64 v[64:65], v64, v[40:41]
	v_lshrrev_b32_e32 v61, 3, v42
	v_sub_u32_e32 v40, 29, v63
	v_and_b32_e32 v63, 7, v64
	v_cmp_gt_u32_e32 vcc, 8, v42
	v_cndmask_b32_e32 v40, v61, v40, vcc
	v_cndmask_b32_e32 v42, v56, v63, vcc
	v_lshlrev_b32_e32 v56, 16, v38
	v_lshlrev_b32_e32 v42, 20, v42
	v_and_b32_e32 v56, 0x80000000, v56
	v_lshl_add_u32 v40, v40, 23, v55
	v_or3_b32 v40, v56, v40, v42
	v_lshrrev_b32_e32 v61, 16, v40
.LBB902_297:                            ;   in Loop: Header=BB902_215 Depth=1
	s_or_b64 exec, exec, s[18:19]
.LBB902_298:                            ;   in Loop: Header=BB902_215 Depth=1
	s_or_b64 exec, exec, s[16:17]
.LBB902_299:                            ;   in Loop: Header=BB902_215 Depth=1
	s_or_b64 exec, exec, s[14:15]
	v_lshrrev_b32_e32 v40, 16, v38
	v_cmp_ne_u16_sdwa s[16:17], v40, v54 src0_sel:BYTE_0 src1_sel:DWORD
	s_and_saveexec_b64 s[14:15], s[16:17]
	s_cbranch_execz .LBB902_305
; %bb.300:                              ;   in Loop: Header=BB902_215 Depth=1
	v_cmp_ne_u16_sdwa s[18:19], v40, s9 src0_sel:BYTE_0 src1_sel:DWORD
	v_mov_b32_e32 v62, 0xffff8000
	s_and_saveexec_b64 s[16:17], s[18:19]
	s_cbranch_execz .LBB902_304
; %bb.301:                              ;   in Loop: Header=BB902_215 Depth=1
	v_bfe_u32 v42, v38, 16, 7
	v_cmp_ne_u32_e32 vcc, s23, v42
	v_mov_b32_e32 v62, 0x7f80
	s_and_saveexec_b64 s[18:19], vcc
	s_cbranch_execz .LBB902_303
; %bb.302:                              ;   in Loop: Header=BB902_215 Depth=1
	v_and_b32_e32 v56, 7, v40
	v_ffbh_u32_e32 v62, v56
	v_min_u32_e32 v65, 32, v62
	v_subrev_u32_e32 v62, 28, v65
	v_lshlrev_b64 v[62:63], v62, v[40:41]
	v_lshrrev_b32_e32 v64, 3, v42
	v_sub_u32_e32 v63, 29, v65
	v_and_b32_e32 v62, 7, v62
	v_cmp_gt_u32_e32 vcc, 8, v42
	v_cndmask_b32_e32 v42, v64, v63, vcc
	v_cndmask_b32_e32 v56, v56, v62, vcc
	v_lshlrev_b32_e32 v40, 24, v40
	v_lshlrev_b32_e32 v56, 20, v56
	v_and_b32_e32 v40, 0x80000000, v40
	v_lshl_add_u32 v42, v42, 23, v55
	v_or3_b32 v40, v40, v42, v56
	v_lshrrev_b32_e32 v62, 16, v40
.LBB902_303:                            ;   in Loop: Header=BB902_215 Depth=1
	s_or_b64 exec, exec, s[18:19]
.LBB902_304:                            ;   in Loop: Header=BB902_215 Depth=1
	s_or_b64 exec, exec, s[16:17]
.LBB902_305:                            ;   in Loop: Header=BB902_215 Depth=1
	s_or_b64 exec, exec, s[14:15]
	v_cmp_lt_u32_e32 vcc, s24, v38
	v_mov_b32_e32 v56, 0
	v_mov_b32_e32 v63, 0
	s_and_saveexec_b64 s[14:15], vcc
	s_cbranch_execz .LBB902_311
; %bb.306:                              ;   in Loop: Header=BB902_215 Depth=1
	v_lshrrev_b32_e32 v40, 24, v38
	v_cmp_ne_u32_e32 vcc, s9, v40
	v_mov_b32_e32 v63, 0xffff8000
	s_and_saveexec_b64 s[16:17], vcc
	s_cbranch_execz .LBB902_310
; %bb.307:                              ;   in Loop: Header=BB902_215 Depth=1
	v_bfe_u32 v38, v38, 24, 7
	v_cmp_ne_u32_e32 vcc, s23, v38
	v_mov_b32_e32 v63, 0x7f80
	s_and_saveexec_b64 s[18:19], vcc
	s_cbranch_execz .LBB902_309
; %bb.308:                              ;   in Loop: Header=BB902_215 Depth=1
	v_and_b32_e32 v42, 7, v40
	v_ffbh_u32_e32 v64, v42
	v_min_u32_e32 v66, 32, v64
	v_subrev_u32_e32 v64, 28, v66
	v_lshlrev_b64 v[64:65], v64, v[40:41]
	v_lshrrev_b32_e32 v63, 3, v38
	v_sub_u32_e32 v65, 29, v66
	v_and_b32_e32 v64, 7, v64
	v_cmp_gt_u32_e32 vcc, 8, v38
	v_cndmask_b32_e32 v38, v63, v65, vcc
	v_cndmask_b32_e32 v42, v42, v64, vcc
	v_lshlrev_b32_e32 v40, 24, v40
	v_lshlrev_b32_e32 v42, 20, v42
	v_and_b32_e32 v40, 0x80000000, v40
	v_lshl_add_u32 v38, v38, 23, v55
	v_or3_b32 v38, v40, v38, v42
	v_lshrrev_b32_e32 v63, 16, v38
.LBB902_309:                            ;   in Loop: Header=BB902_215 Depth=1
	s_or_b64 exec, exec, s[18:19]
.LBB902_310:                            ;   in Loop: Header=BB902_215 Depth=1
	s_or_b64 exec, exec, s[16:17]
.LBB902_311:                            ;   in Loop: Header=BB902_215 Depth=1
	s_or_b64 exec, exec, s[14:15]
	v_perm_b32 v64, v57, v44, s25
	buffer_load_dword v44, v46, s[0:3], 0 offen
	buffer_load_dword v42, v46, s[0:3], 0 offen offset:4
	buffer_load_dword v40, v46, s[0:3], 0 offen offset:8
	;; [unrolled: 1-line block ×3, first 2 shown]
	v_perm_b32 v65, v60, v58, s25
	v_perm_b32 v63, v63, v62, s25
	;; [unrolled: 1-line block ×3, first 2 shown]
	v_mfma_f32_16x16x16bf16_1k v[34:37], v[64:65], v[6:7], v[34:37]
	s_waitcnt vmcnt(3)
	v_cmp_ne_u16_sdwa s[16:17], v44, v54 src0_sel:BYTE_0 src1_sel:DWORD
	v_mfma_f32_16x16x16bf16_1k v[34:37], v[62:63], v[8:9], v[34:37]
	s_and_saveexec_b64 s[14:15], s[16:17]
	s_cbranch_execz .LBB902_317
; %bb.312:                              ;   in Loop: Header=BB902_215 Depth=1
	v_cmp_ne_u16_sdwa s[18:19], v44, s9 src0_sel:BYTE_0 src1_sel:DWORD
	v_mov_b32_e32 v56, 0xffff8000
	s_and_saveexec_b64 s[16:17], s[18:19]
	s_cbranch_execz .LBB902_316
; %bb.313:                              ;   in Loop: Header=BB902_215 Depth=1
	v_and_b32_e32 v46, 0x7f, v44
	v_cmp_ne_u32_e32 vcc, s23, v46
	v_mov_b32_e32 v56, 0x7f80
	s_and_saveexec_b64 s[18:19], vcc
	s_cbranch_execz .LBB902_315
; %bb.314:                              ;   in Loop: Header=BB902_215 Depth=1
	v_and_b32_e32 v58, 7, v44
	v_ffbh_u32_e32 v56, v58
	v_min_u32_e32 v60, 32, v56
	v_subrev_u32_e32 v56, 28, v60
	v_lshlrev_b64 v[56:57], v56, v[44:45]
	v_lshrrev_b32_e32 v59, 3, v46
	v_sub_u32_e32 v57, 29, v60
	v_and_b32_e32 v56, 7, v56
	v_cmp_gt_u32_e32 vcc, 8, v46
	v_cndmask_b32_e32 v46, v59, v57, vcc
	v_cndmask_b32_e32 v56, v58, v56, vcc
	v_lshlrev_b32_e32 v57, 24, v44
	v_lshlrev_b32_e32 v56, 20, v56
	v_and_b32_e32 v57, 0x80000000, v57
	v_lshl_add_u32 v46, v46, 23, v55
	v_or3_b32 v46, v57, v46, v56
	v_lshrrev_b32_e32 v56, 16, v46
.LBB902_315:                            ;   in Loop: Header=BB902_215 Depth=1
	s_or_b64 exec, exec, s[18:19]
.LBB902_316:                            ;   in Loop: Header=BB902_215 Depth=1
	s_or_b64 exec, exec, s[16:17]
.LBB902_317:                            ;   in Loop: Header=BB902_215 Depth=1
	s_or_b64 exec, exec, s[14:15]
	v_lshrrev_b16_e32 v46, 8, v44
	v_cmp_ne_u16_e32 vcc, 0, v46
	v_mov_b32_e32 v58, 0
	v_mov_b32_e32 v57, 0
	s_and_saveexec_b64 s[14:15], vcc
	s_cbranch_execz .LBB902_323
; %bb.318:                              ;   in Loop: Header=BB902_215 Depth=1
	v_cmp_ne_u16_e32 vcc, s9, v46
	v_mov_b32_e32 v57, 0xffff8000
	s_and_saveexec_b64 s[16:17], vcc
	s_cbranch_execz .LBB902_322
; %bb.319:                              ;   in Loop: Header=BB902_215 Depth=1
	v_and_b32_e32 v59, 0x7f, v46
	v_cmp_ne_u32_e32 vcc, s23, v59
	v_mov_b32_e32 v57, 0x7f80
	s_and_saveexec_b64 s[18:19], vcc
	s_cbranch_execz .LBB902_321
; %bb.320:                              ;   in Loop: Header=BB902_215 Depth=1
	v_and_b32_e32 v57, 7, v46
	v_ffbh_u32_e32 v60, v57
	v_min_u32_e32 v63, 32, v60
	v_subrev_u32_e32 v60, 28, v63
	v_lshlrev_b64 v[60:61], v60, v[46:47]
	v_lshrrev_b32_e32 v62, 3, v59
	v_sub_u32_e32 v46, 29, v63
	v_and_b32_e32 v60, 7, v60
	v_cmp_gt_u32_e32 vcc, 8, v59
	v_cndmask_b32_e32 v46, v62, v46, vcc
	v_cndmask_b32_e32 v57, v57, v60, vcc
	v_lshlrev_b32_e32 v59, 16, v44
	v_lshlrev_b32_e32 v57, 20, v57
	v_and_b32_e32 v59, 0x80000000, v59
	v_lshl_add_u32 v46, v46, 23, v55
	v_or3_b32 v46, v59, v46, v57
	v_lshrrev_b32_e32 v57, 16, v46
.LBB902_321:                            ;   in Loop: Header=BB902_215 Depth=1
	s_or_b64 exec, exec, s[18:19]
.LBB902_322:                            ;   in Loop: Header=BB902_215 Depth=1
	s_or_b64 exec, exec, s[16:17]
.LBB902_323:                            ;   in Loop: Header=BB902_215 Depth=1
	s_or_b64 exec, exec, s[14:15]
	v_lshrrev_b32_e32 v46, 16, v44
	v_cmp_ne_u16_sdwa s[16:17], v46, v54 src0_sel:BYTE_0 src1_sel:DWORD
	s_and_saveexec_b64 s[14:15], s[16:17]
	s_cbranch_execz .LBB902_329
; %bb.324:                              ;   in Loop: Header=BB902_215 Depth=1
	v_cmp_ne_u16_sdwa s[18:19], v46, s9 src0_sel:BYTE_0 src1_sel:DWORD
	v_mov_b32_e32 v58, 0xffff8000
	s_and_saveexec_b64 s[16:17], s[18:19]
	s_cbranch_execz .LBB902_328
; %bb.325:                              ;   in Loop: Header=BB902_215 Depth=1
	v_bfe_u32 v59, v44, 16, 7
	v_cmp_ne_u32_e32 vcc, s23, v59
	v_mov_b32_e32 v58, 0x7f80
	s_and_saveexec_b64 s[18:19], vcc
	s_cbranch_execz .LBB902_327
; %bb.326:                              ;   in Loop: Header=BB902_215 Depth=1
	v_and_b32_e32 v58, 7, v46
	v_ffbh_u32_e32 v60, v58
	v_min_u32_e32 v63, 32, v60
	v_subrev_u32_e32 v60, 28, v63
	v_lshlrev_b64 v[60:61], v60, v[46:47]
	v_lshrrev_b32_e32 v62, 3, v59
	v_sub_u32_e32 v61, 29, v63
	v_and_b32_e32 v60, 7, v60
	v_cmp_gt_u32_e32 vcc, 8, v59
	v_cndmask_b32_e32 v59, v62, v61, vcc
	v_cndmask_b32_e32 v58, v58, v60, vcc
	v_lshlrev_b32_e32 v46, 24, v46
	v_lshlrev_b32_e32 v58, 20, v58
	v_and_b32_e32 v46, 0x80000000, v46
	v_lshl_add_u32 v59, v59, 23, v55
	v_or3_b32 v46, v46, v59, v58
	v_lshrrev_b32_e32 v58, 16, v46
.LBB902_327:                            ;   in Loop: Header=BB902_215 Depth=1
	s_or_b64 exec, exec, s[18:19]
.LBB902_328:                            ;   in Loop: Header=BB902_215 Depth=1
	s_or_b64 exec, exec, s[16:17]
.LBB902_329:                            ;   in Loop: Header=BB902_215 Depth=1
	s_or_b64 exec, exec, s[14:15]
	v_cmp_lt_u32_e32 vcc, s24, v44
	v_mov_b32_e32 v59, 0
	v_mov_b32_e32 v60, 0
	s_and_saveexec_b64 s[14:15], vcc
	s_cbranch_execz .LBB902_335
; %bb.330:                              ;   in Loop: Header=BB902_215 Depth=1
	v_lshrrev_b32_e32 v46, 24, v44
	v_cmp_ne_u32_e32 vcc, s9, v46
	v_mov_b32_e32 v60, 0xffff8000
	s_and_saveexec_b64 s[16:17], vcc
	s_cbranch_execz .LBB902_334
; %bb.331:                              ;   in Loop: Header=BB902_215 Depth=1
	v_bfe_u32 v44, v44, 24, 7
	v_cmp_ne_u32_e32 vcc, s23, v44
	v_mov_b32_e32 v60, 0x7f80
	s_and_saveexec_b64 s[18:19], vcc
	s_cbranch_execz .LBB902_333
; %bb.332:                              ;   in Loop: Header=BB902_215 Depth=1
	v_and_b32_e32 v62, 7, v46
	v_ffbh_u32_e32 v60, v62
	v_min_u32_e32 v64, 32, v60
	v_subrev_u32_e32 v60, 28, v64
	v_lshlrev_b64 v[60:61], v60, v[46:47]
	v_lshrrev_b32_e32 v63, 3, v44
	v_sub_u32_e32 v61, 29, v64
	v_and_b32_e32 v60, 7, v60
	v_cmp_gt_u32_e32 vcc, 8, v44
	v_cndmask_b32_e32 v44, v63, v61, vcc
	v_cndmask_b32_e32 v60, v62, v60, vcc
	v_lshlrev_b32_e32 v46, 24, v46
	v_lshlrev_b32_e32 v60, 20, v60
	v_and_b32_e32 v46, 0x80000000, v46
	v_lshl_add_u32 v44, v44, 23, v55
	v_or3_b32 v44, v46, v44, v60
	v_lshrrev_b32_e32 v60, 16, v44
.LBB902_333:                            ;   in Loop: Header=BB902_215 Depth=1
	s_or_b64 exec, exec, s[18:19]
.LBB902_334:                            ;   in Loop: Header=BB902_215 Depth=1
	s_or_b64 exec, exec, s[16:17]
.LBB902_335:                            ;   in Loop: Header=BB902_215 Depth=1
	s_or_b64 exec, exec, s[14:15]
	s_waitcnt vmcnt(2)
	v_cmp_ne_u16_sdwa s[16:17], v42, v54 src0_sel:BYTE_0 src1_sel:DWORD
	s_and_saveexec_b64 s[14:15], s[16:17]
	s_cbranch_execz .LBB902_341
; %bb.336:                              ;   in Loop: Header=BB902_215 Depth=1
	v_cmp_ne_u16_sdwa s[18:19], v42, s9 src0_sel:BYTE_0 src1_sel:DWORD
	v_mov_b32_e32 v59, 0xffff8000
	s_and_saveexec_b64 s[16:17], s[18:19]
	s_cbranch_execz .LBB902_340
; %bb.337:                              ;   in Loop: Header=BB902_215 Depth=1
	v_and_b32_e32 v44, 0x7f, v42
	v_cmp_ne_u32_e32 vcc, s23, v44
	v_mov_b32_e32 v59, 0x7f80
	s_and_saveexec_b64 s[18:19], vcc
	s_cbranch_execz .LBB902_339
; %bb.338:                              ;   in Loop: Header=BB902_215 Depth=1
	v_and_b32_e32 v46, 7, v42
	v_ffbh_u32_e32 v61, v46
	v_min_u32_e32 v61, 32, v61
	v_subrev_u32_e32 v62, 28, v61
	v_lshlrev_b64 v[62:63], v62, v[42:43]
	v_lshrrev_b32_e32 v59, 3, v44
	v_sub_u32_e32 v61, 29, v61
	v_and_b32_e32 v62, 7, v62
	v_cmp_gt_u32_e32 vcc, 8, v44
	v_cndmask_b32_e32 v44, v59, v61, vcc
	v_cndmask_b32_e32 v46, v46, v62, vcc
	v_lshlrev_b32_e32 v59, 24, v42
	v_lshlrev_b32_e32 v46, 20, v46
	v_and_b32_e32 v59, 0x80000000, v59
	v_lshl_add_u32 v44, v44, 23, v55
	v_or3_b32 v44, v59, v44, v46
	v_lshrrev_b32_e32 v59, 16, v44
.LBB902_339:                            ;   in Loop: Header=BB902_215 Depth=1
	s_or_b64 exec, exec, s[18:19]
.LBB902_340:                            ;   in Loop: Header=BB902_215 Depth=1
	s_or_b64 exec, exec, s[16:17]
.LBB902_341:                            ;   in Loop: Header=BB902_215 Depth=1
	s_or_b64 exec, exec, s[14:15]
	v_lshrrev_b16_e32 v44, 8, v42
	v_cmp_ne_u16_e32 vcc, 0, v44
	v_mov_b32_e32 v62, 0
	v_mov_b32_e32 v61, 0
	s_and_saveexec_b64 s[14:15], vcc
	s_cbranch_execz .LBB902_347
; %bb.342:                              ;   in Loop: Header=BB902_215 Depth=1
	v_cmp_ne_u16_e32 vcc, s9, v44
	v_mov_b32_e32 v61, 0xffff8000
	s_and_saveexec_b64 s[16:17], vcc
	s_cbranch_execz .LBB902_346
; %bb.343:                              ;   in Loop: Header=BB902_215 Depth=1
	v_and_b32_e32 v46, 0x7f, v44
	v_cmp_ne_u32_e32 vcc, s23, v46
	v_mov_b32_e32 v61, 0x7f80
	s_and_saveexec_b64 s[18:19], vcc
	s_cbranch_execz .LBB902_345
; %bb.344:                              ;   in Loop: Header=BB902_215 Depth=1
	v_and_b32_e32 v61, 7, v44
	v_ffbh_u32_e32 v64, v61
	v_min_u32_e32 v66, 32, v64
	v_subrev_u32_e32 v64, 28, v66
	v_lshlrev_b64 v[64:65], v64, v[44:45]
	v_lshrrev_b32_e32 v63, 3, v46
	v_sub_u32_e32 v44, 29, v66
	v_and_b32_e32 v64, 7, v64
	v_cmp_gt_u32_e32 vcc, 8, v46
	v_cndmask_b32_e32 v44, v63, v44, vcc
	v_cndmask_b32_e32 v46, v61, v64, vcc
	v_lshlrev_b32_e32 v61, 16, v42
	v_lshlrev_b32_e32 v46, 20, v46
	v_and_b32_e32 v61, 0x80000000, v61
	v_lshl_add_u32 v44, v44, 23, v55
	v_or3_b32 v44, v61, v44, v46
	v_lshrrev_b32_e32 v61, 16, v44
.LBB902_345:                            ;   in Loop: Header=BB902_215 Depth=1
	s_or_b64 exec, exec, s[18:19]
.LBB902_346:                            ;   in Loop: Header=BB902_215 Depth=1
	s_or_b64 exec, exec, s[16:17]
.LBB902_347:                            ;   in Loop: Header=BB902_215 Depth=1
	s_or_b64 exec, exec, s[14:15]
	v_lshrrev_b32_e32 v44, 16, v42
	v_cmp_ne_u16_sdwa s[16:17], v44, v54 src0_sel:BYTE_0 src1_sel:DWORD
	s_and_saveexec_b64 s[14:15], s[16:17]
	s_cbranch_execz .LBB902_353
; %bb.348:                              ;   in Loop: Header=BB902_215 Depth=1
	v_cmp_ne_u16_sdwa s[18:19], v44, s9 src0_sel:BYTE_0 src1_sel:DWORD
	v_mov_b32_e32 v62, 0xffff8000
	s_and_saveexec_b64 s[16:17], s[18:19]
	s_cbranch_execz .LBB902_352
; %bb.349:                              ;   in Loop: Header=BB902_215 Depth=1
	v_bfe_u32 v46, v42, 16, 7
	v_cmp_ne_u32_e32 vcc, s23, v46
	v_mov_b32_e32 v62, 0x7f80
	s_and_saveexec_b64 s[18:19], vcc
	s_cbranch_execz .LBB902_351
; %bb.350:                              ;   in Loop: Header=BB902_215 Depth=1
	v_and_b32_e32 v64, 7, v44
	v_ffbh_u32_e32 v62, v64
	v_min_u32_e32 v66, 32, v62
	v_subrev_u32_e32 v62, 28, v66
	v_lshlrev_b64 v[62:63], v62, v[44:45]
	v_lshrrev_b32_e32 v65, 3, v46
	v_sub_u32_e32 v63, 29, v66
	v_and_b32_e32 v62, 7, v62
	v_cmp_gt_u32_e32 vcc, 8, v46
	v_cndmask_b32_e32 v46, v65, v63, vcc
	v_cndmask_b32_e32 v62, v64, v62, vcc
	v_lshlrev_b32_e32 v44, 24, v44
	v_lshlrev_b32_e32 v62, 20, v62
	v_and_b32_e32 v44, 0x80000000, v44
	v_lshl_add_u32 v46, v46, 23, v55
	v_or3_b32 v44, v44, v46, v62
	v_lshrrev_b32_e32 v62, 16, v44
.LBB902_351:                            ;   in Loop: Header=BB902_215 Depth=1
	s_or_b64 exec, exec, s[18:19]
.LBB902_352:                            ;   in Loop: Header=BB902_215 Depth=1
	s_or_b64 exec, exec, s[16:17]
.LBB902_353:                            ;   in Loop: Header=BB902_215 Depth=1
	s_or_b64 exec, exec, s[14:15]
	v_cmp_lt_u32_e32 vcc, s24, v42
	v_mov_b32_e32 v46, 0
	v_mov_b32_e32 v63, 0
	s_and_saveexec_b64 s[14:15], vcc
	s_cbranch_execz .LBB902_359
; %bb.354:                              ;   in Loop: Header=BB902_215 Depth=1
	v_lshrrev_b32_e32 v44, 24, v42
	v_cmp_ne_u32_e32 vcc, s9, v44
	v_mov_b32_e32 v63, 0xffff8000
	s_and_saveexec_b64 s[16:17], vcc
	s_cbranch_execz .LBB902_358
; %bb.355:                              ;   in Loop: Header=BB902_215 Depth=1
	v_bfe_u32 v42, v42, 24, 7
	v_cmp_ne_u32_e32 vcc, s23, v42
	v_mov_b32_e32 v63, 0x7f80
	s_and_saveexec_b64 s[18:19], vcc
	s_cbranch_execz .LBB902_357
; %bb.356:                              ;   in Loop: Header=BB902_215 Depth=1
	v_and_b32_e32 v63, 7, v44
	v_ffbh_u32_e32 v64, v63
	v_min_u32_e32 v67, 32, v64
	v_subrev_u32_e32 v64, 28, v67
	v_lshlrev_b64 v[64:65], v64, v[44:45]
	v_lshrrev_b32_e32 v66, 3, v42
	v_sub_u32_e32 v65, 29, v67
	v_and_b32_e32 v64, 7, v64
	v_cmp_gt_u32_e32 vcc, 8, v42
	v_cndmask_b32_e32 v42, v66, v65, vcc
	v_cndmask_b32_e32 v63, v63, v64, vcc
	v_lshlrev_b32_e32 v44, 24, v44
	v_lshlrev_b32_e32 v63, 20, v63
	v_and_b32_e32 v44, 0x80000000, v44
	v_lshl_add_u32 v42, v42, 23, v55
	v_or3_b32 v42, v44, v42, v63
	v_lshrrev_b32_e32 v63, 16, v42
.LBB902_357:                            ;   in Loop: Header=BB902_215 Depth=1
	s_or_b64 exec, exec, s[18:19]
.LBB902_358:                            ;   in Loop: Header=BB902_215 Depth=1
	s_or_b64 exec, exec, s[16:17]
.LBB902_359:                            ;   in Loop: Header=BB902_215 Depth=1
	s_or_b64 exec, exec, s[14:15]
	v_perm_b32 v65, v60, v58, s25
	v_perm_b32 v64, v57, v56, s25
	;; [unrolled: 1-line block ×4, first 2 shown]
	s_waitcnt vmcnt(1)
	v_cmp_ne_u16_sdwa s[16:17], v40, v54 src0_sel:BYTE_0 src1_sel:DWORD
	v_mfma_f32_16x16x16bf16_1k v[34:37], v[64:65], v[10:11], v[34:37]
	v_mfma_f32_16x16x16bf16_1k v[34:37], v[56:57], v[12:13], v[34:37]
	s_and_saveexec_b64 s[14:15], s[16:17]
	s_cbranch_execz .LBB902_365
; %bb.360:                              ;   in Loop: Header=BB902_215 Depth=1
	v_cmp_ne_u16_sdwa s[18:19], v40, s9 src0_sel:BYTE_0 src1_sel:DWORD
	v_mov_b32_e32 v46, 0xffff8000
	s_and_saveexec_b64 s[16:17], s[18:19]
	s_cbranch_execz .LBB902_364
; %bb.361:                              ;   in Loop: Header=BB902_215 Depth=1
	v_and_b32_e32 v42, 0x7f, v40
	v_cmp_ne_u32_e32 vcc, s23, v42
	v_mov_b32_e32 v46, 0x7f80
	s_and_saveexec_b64 s[18:19], vcc
	s_cbranch_execz .LBB902_363
; %bb.362:                              ;   in Loop: Header=BB902_215 Depth=1
	v_and_b32_e32 v44, 7, v40
	v_ffbh_u32_e32 v56, v44
	v_min_u32_e32 v58, 32, v56
	v_subrev_u32_e32 v56, 28, v58
	v_lshlrev_b64 v[56:57], v56, v[40:41]
	v_lshrrev_b32_e32 v46, 3, v42
	v_sub_u32_e32 v57, 29, v58
	v_and_b32_e32 v56, 7, v56
	v_cmp_gt_u32_e32 vcc, 8, v42
	v_cndmask_b32_e32 v42, v46, v57, vcc
	v_cndmask_b32_e32 v44, v44, v56, vcc
	v_lshlrev_b32_e32 v46, 24, v40
	v_lshlrev_b32_e32 v44, 20, v44
	v_and_b32_e32 v46, 0x80000000, v46
	v_lshl_add_u32 v42, v42, 23, v55
	v_or3_b32 v42, v46, v42, v44
	v_lshrrev_b32_e32 v46, 16, v42
.LBB902_363:                            ;   in Loop: Header=BB902_215 Depth=1
	s_or_b64 exec, exec, s[18:19]
.LBB902_364:                            ;   in Loop: Header=BB902_215 Depth=1
	s_or_b64 exec, exec, s[16:17]
.LBB902_365:                            ;   in Loop: Header=BB902_215 Depth=1
	s_or_b64 exec, exec, s[14:15]
	v_lshrrev_b16_e32 v42, 8, v40
	v_cmp_ne_u16_e32 vcc, 0, v42
	v_mov_b32_e32 v57, 0
	v_mov_b32_e32 v44, 0
	s_and_saveexec_b64 s[14:15], vcc
	s_cbranch_execz .LBB902_371
; %bb.366:                              ;   in Loop: Header=BB902_215 Depth=1
	v_cmp_ne_u16_e32 vcc, s9, v42
	v_mov_b32_e32 v44, 0xffff8000
	s_and_saveexec_b64 s[16:17], vcc
	s_cbranch_execz .LBB902_370
; %bb.367:                              ;   in Loop: Header=BB902_215 Depth=1
	v_and_b32_e32 v56, 0x7f, v42
	v_cmp_ne_u32_e32 vcc, s23, v56
	v_mov_b32_e32 v44, 0x7f80
	s_and_saveexec_b64 s[18:19], vcc
	s_cbranch_execz .LBB902_369
; %bb.368:                              ;   in Loop: Header=BB902_215 Depth=1
	v_and_b32_e32 v44, 7, v42
	v_ffbh_u32_e32 v58, v44
	v_min_u32_e32 v61, 32, v58
	v_subrev_u32_e32 v58, 28, v61
	v_lshlrev_b64 v[58:59], v58, v[42:43]
	v_lshrrev_b32_e32 v60, 3, v56
	v_sub_u32_e32 v42, 29, v61
	v_and_b32_e32 v58, 7, v58
	v_cmp_gt_u32_e32 vcc, 8, v56
	v_cndmask_b32_e32 v42, v60, v42, vcc
	v_cndmask_b32_e32 v44, v44, v58, vcc
	v_lshlrev_b32_e32 v56, 16, v40
	v_lshlrev_b32_e32 v44, 20, v44
	v_and_b32_e32 v56, 0x80000000, v56
	v_lshl_add_u32 v42, v42, 23, v55
	v_or3_b32 v42, v56, v42, v44
	v_lshrrev_b32_e32 v44, 16, v42
.LBB902_369:                            ;   in Loop: Header=BB902_215 Depth=1
	s_or_b64 exec, exec, s[18:19]
.LBB902_370:                            ;   in Loop: Header=BB902_215 Depth=1
	s_or_b64 exec, exec, s[16:17]
.LBB902_371:                            ;   in Loop: Header=BB902_215 Depth=1
	s_or_b64 exec, exec, s[14:15]
	v_lshrrev_b32_e32 v42, 16, v40
	v_cmp_ne_u16_sdwa s[16:17], v42, v54 src0_sel:BYTE_0 src1_sel:DWORD
	s_and_saveexec_b64 s[14:15], s[16:17]
	s_cbranch_execz .LBB902_377
; %bb.372:                              ;   in Loop: Header=BB902_215 Depth=1
	v_cmp_ne_u16_sdwa s[18:19], v42, s9 src0_sel:BYTE_0 src1_sel:DWORD
	v_mov_b32_e32 v57, 0xffff8000
	s_and_saveexec_b64 s[16:17], s[18:19]
	s_cbranch_execz .LBB902_376
; %bb.373:                              ;   in Loop: Header=BB902_215 Depth=1
	v_bfe_u32 v56, v40, 16, 7
	v_cmp_ne_u32_e32 vcc, s23, v56
	v_mov_b32_e32 v57, 0x7f80
	s_and_saveexec_b64 s[18:19], vcc
	s_cbranch_execz .LBB902_375
; %bb.374:                              ;   in Loop: Header=BB902_215 Depth=1
	v_and_b32_e32 v57, 7, v42
	v_ffbh_u32_e32 v58, v57
	v_min_u32_e32 v61, 32, v58
	v_subrev_u32_e32 v58, 28, v61
	v_lshlrev_b64 v[58:59], v58, v[42:43]
	v_lshrrev_b32_e32 v60, 3, v56
	v_sub_u32_e32 v59, 29, v61
	v_and_b32_e32 v58, 7, v58
	v_cmp_gt_u32_e32 vcc, 8, v56
	v_cndmask_b32_e32 v56, v60, v59, vcc
	v_cndmask_b32_e32 v57, v57, v58, vcc
	v_lshlrev_b32_e32 v42, 24, v42
	v_lshlrev_b32_e32 v57, 20, v57
	v_and_b32_e32 v42, 0x80000000, v42
	v_lshl_add_u32 v56, v56, 23, v55
	v_or3_b32 v42, v42, v56, v57
	v_lshrrev_b32_e32 v57, 16, v42
.LBB902_375:                            ;   in Loop: Header=BB902_215 Depth=1
	s_or_b64 exec, exec, s[18:19]
.LBB902_376:                            ;   in Loop: Header=BB902_215 Depth=1
	s_or_b64 exec, exec, s[16:17]
.LBB902_377:                            ;   in Loop: Header=BB902_215 Depth=1
	s_or_b64 exec, exec, s[14:15]
	v_cmp_lt_u32_e32 vcc, s24, v40
	v_mov_b32_e32 v58, 0
	v_mov_b32_e32 v59, 0
	s_and_saveexec_b64 s[14:15], vcc
	s_cbranch_execz .LBB902_383
; %bb.378:                              ;   in Loop: Header=BB902_215 Depth=1
	v_lshrrev_b32_e32 v42, 24, v40
	v_cmp_ne_u32_e32 vcc, s9, v42
	v_mov_b32_e32 v59, 0xffff8000
	s_and_saveexec_b64 s[16:17], vcc
	s_cbranch_execz .LBB902_382
; %bb.379:                              ;   in Loop: Header=BB902_215 Depth=1
	v_bfe_u32 v40, v40, 24, 7
	v_cmp_ne_u32_e32 vcc, s23, v40
	v_mov_b32_e32 v59, 0x7f80
	s_and_saveexec_b64 s[18:19], vcc
	s_cbranch_execz .LBB902_381
; %bb.380:                              ;   in Loop: Header=BB902_215 Depth=1
	v_and_b32_e32 v56, 7, v42
	v_ffbh_u32_e32 v60, v56
	v_min_u32_e32 v62, 32, v60
	v_subrev_u32_e32 v60, 28, v62
	v_lshlrev_b64 v[60:61], v60, v[42:43]
	v_lshrrev_b32_e32 v59, 3, v40
	v_sub_u32_e32 v61, 29, v62
	v_and_b32_e32 v60, 7, v60
	v_cmp_gt_u32_e32 vcc, 8, v40
	v_cndmask_b32_e32 v40, v59, v61, vcc
	v_cndmask_b32_e32 v56, v56, v60, vcc
	v_lshlrev_b32_e32 v42, 24, v42
	v_lshlrev_b32_e32 v56, 20, v56
	v_and_b32_e32 v42, 0x80000000, v42
	v_lshl_add_u32 v40, v40, 23, v55
	v_or3_b32 v40, v42, v40, v56
	v_lshrrev_b32_e32 v59, 16, v40
.LBB902_381:                            ;   in Loop: Header=BB902_215 Depth=1
	s_or_b64 exec, exec, s[18:19]
.LBB902_382:                            ;   in Loop: Header=BB902_215 Depth=1
	s_or_b64 exec, exec, s[16:17]
.LBB902_383:                            ;   in Loop: Header=BB902_215 Depth=1
	s_or_b64 exec, exec, s[14:15]
	s_waitcnt vmcnt(0)
	v_cmp_ne_u16_sdwa s[16:17], v38, v54 src0_sel:BYTE_0 src1_sel:DWORD
	s_and_saveexec_b64 s[14:15], s[16:17]
	s_cbranch_execz .LBB902_389
; %bb.384:                              ;   in Loop: Header=BB902_215 Depth=1
	v_cmp_ne_u16_sdwa s[18:19], v38, s9 src0_sel:BYTE_0 src1_sel:DWORD
	v_mov_b32_e32 v58, 0xffff8000
	s_and_saveexec_b64 s[16:17], s[18:19]
	s_cbranch_execz .LBB902_388
; %bb.385:                              ;   in Loop: Header=BB902_215 Depth=1
	v_and_b32_e32 v40, 0x7f, v38
	v_cmp_ne_u32_e32 vcc, s23, v40
	v_mov_b32_e32 v58, 0x7f80
	s_and_saveexec_b64 s[18:19], vcc
	s_cbranch_execz .LBB902_387
; %bb.386:                              ;   in Loop: Header=BB902_215 Depth=1
	v_and_b32_e32 v42, 7, v38
	v_ffbh_u32_e32 v58, v42
	v_min_u32_e32 v58, 32, v58
	v_subrev_u32_e32 v60, 28, v58
	v_lshlrev_b64 v[60:61], v60, v[38:39]
	v_lshrrev_b32_e32 v56, 3, v40
	v_sub_u32_e32 v58, 29, v58
	v_and_b32_e32 v60, 7, v60
	v_cmp_gt_u32_e32 vcc, 8, v40
	v_cndmask_b32_e32 v40, v56, v58, vcc
	v_cndmask_b32_e32 v42, v42, v60, vcc
	v_lshlrev_b32_e32 v56, 24, v38
	v_lshlrev_b32_e32 v42, 20, v42
	v_and_b32_e32 v56, 0x80000000, v56
	v_lshl_add_u32 v40, v40, 23, v55
	v_or3_b32 v40, v56, v40, v42
	v_lshrrev_b32_e32 v58, 16, v40
.LBB902_387:                            ;   in Loop: Header=BB902_215 Depth=1
	s_or_b64 exec, exec, s[18:19]
.LBB902_388:                            ;   in Loop: Header=BB902_215 Depth=1
	s_or_b64 exec, exec, s[16:17]
.LBB902_389:                            ;   in Loop: Header=BB902_215 Depth=1
	s_or_b64 exec, exec, s[14:15]
	v_lshrrev_b16_e32 v40, 8, v38
	v_cmp_ne_u16_e32 vcc, 0, v40
	v_mov_b32_e32 v61, 0
	v_mov_b32_e32 v60, 0
	s_and_saveexec_b64 s[14:15], vcc
	s_cbranch_execz .LBB902_395
; %bb.390:                              ;   in Loop: Header=BB902_215 Depth=1
	v_cmp_ne_u16_e32 vcc, s9, v40
	v_mov_b32_e32 v60, 0xffff8000
	s_and_saveexec_b64 s[16:17], vcc
	s_cbranch_execz .LBB902_394
; %bb.391:                              ;   in Loop: Header=BB902_215 Depth=1
	v_and_b32_e32 v42, 0x7f, v40
	v_cmp_ne_u32_e32 vcc, s23, v42
	v_mov_b32_e32 v60, 0x7f80
	s_and_saveexec_b64 s[18:19], vcc
	s_cbranch_execz .LBB902_393
; %bb.392:                              ;   in Loop: Header=BB902_215 Depth=1
	v_and_b32_e32 v56, 7, v40
	v_ffbh_u32_e32 v62, v56
	v_min_u32_e32 v64, 32, v62
	v_subrev_u32_e32 v62, 28, v64
	v_lshlrev_b64 v[62:63], v62, v[40:41]
	v_lshrrev_b32_e32 v60, 3, v42
	v_sub_u32_e32 v40, 29, v64
	v_and_b32_e32 v62, 7, v62
	v_cmp_gt_u32_e32 vcc, 8, v42
	v_cndmask_b32_e32 v40, v60, v40, vcc
	v_cndmask_b32_e32 v42, v56, v62, vcc
	v_lshlrev_b32_e32 v56, 16, v38
	v_lshlrev_b32_e32 v42, 20, v42
	v_and_b32_e32 v56, 0x80000000, v56
	v_lshl_add_u32 v40, v40, 23, v55
	v_or3_b32 v40, v56, v40, v42
	v_lshrrev_b32_e32 v60, 16, v40
.LBB902_393:                            ;   in Loop: Header=BB902_215 Depth=1
	s_or_b64 exec, exec, s[18:19]
.LBB902_394:                            ;   in Loop: Header=BB902_215 Depth=1
	s_or_b64 exec, exec, s[16:17]
.LBB902_395:                            ;   in Loop: Header=BB902_215 Depth=1
	s_or_b64 exec, exec, s[14:15]
	v_lshrrev_b32_e32 v40, 16, v38
	v_cmp_ne_u16_sdwa s[16:17], v40, v54 src0_sel:BYTE_0 src1_sel:DWORD
	s_and_saveexec_b64 s[14:15], s[16:17]
	s_cbranch_execz .LBB902_401
; %bb.396:                              ;   in Loop: Header=BB902_215 Depth=1
	v_cmp_ne_u16_sdwa s[18:19], v40, s9 src0_sel:BYTE_0 src1_sel:DWORD
	v_mov_b32_e32 v61, 0xffff8000
	s_and_saveexec_b64 s[16:17], s[18:19]
	s_cbranch_execz .LBB902_400
; %bb.397:                              ;   in Loop: Header=BB902_215 Depth=1
	v_bfe_u32 v42, v38, 16, 7
	v_cmp_ne_u32_e32 vcc, s23, v42
	v_mov_b32_e32 v61, 0x7f80
	s_and_saveexec_b64 s[18:19], vcc
	s_cbranch_execz .LBB902_399
; %bb.398:                              ;   in Loop: Header=BB902_215 Depth=1
	v_and_b32_e32 v56, 7, v40
	v_ffbh_u32_e32 v62, v56
	v_min_u32_e32 v64, 32, v62
	v_subrev_u32_e32 v62, 28, v64
	v_lshlrev_b64 v[62:63], v62, v[40:41]
	v_lshrrev_b32_e32 v61, 3, v42
	v_sub_u32_e32 v63, 29, v64
	v_and_b32_e32 v62, 7, v62
	v_cmp_gt_u32_e32 vcc, 8, v42
	v_cndmask_b32_e32 v42, v61, v63, vcc
	v_cndmask_b32_e32 v56, v56, v62, vcc
	v_lshlrev_b32_e32 v40, 24, v40
	v_lshlrev_b32_e32 v56, 20, v56
	v_and_b32_e32 v40, 0x80000000, v40
	v_lshl_add_u32 v42, v42, 23, v55
	v_or3_b32 v40, v40, v42, v56
	v_lshrrev_b32_e32 v61, 16, v40
.LBB902_399:                            ;   in Loop: Header=BB902_215 Depth=1
	s_or_b64 exec, exec, s[18:19]
.LBB902_400:                            ;   in Loop: Header=BB902_215 Depth=1
	s_or_b64 exec, exec, s[16:17]
.LBB902_401:                            ;   in Loop: Header=BB902_215 Depth=1
	s_or_b64 exec, exec, s[14:15]
	v_cmp_lt_u32_e32 vcc, s24, v38
	v_mov_b32_e32 v56, 0
	v_mov_b32_e32 v62, 0
	s_and_saveexec_b64 s[14:15], vcc
	s_cbranch_execz .LBB902_407
; %bb.402:                              ;   in Loop: Header=BB902_215 Depth=1
	v_lshrrev_b32_e32 v40, 24, v38
	v_cmp_ne_u32_e32 vcc, s9, v40
	v_mov_b32_e32 v62, 0xffff8000
	s_and_saveexec_b64 s[16:17], vcc
	s_cbranch_execz .LBB902_406
; %bb.403:                              ;   in Loop: Header=BB902_215 Depth=1
	v_bfe_u32 v38, v38, 24, 7
	v_cmp_ne_u32_e32 vcc, s23, v38
	v_mov_b32_e32 v62, 0x7f80
	s_and_saveexec_b64 s[18:19], vcc
	s_cbranch_execz .LBB902_405
; %bb.404:                              ;   in Loop: Header=BB902_215 Depth=1
	v_and_b32_e32 v42, 7, v40
	v_ffbh_u32_e32 v62, v42
	v_min_u32_e32 v65, 32, v62
	v_subrev_u32_e32 v62, 28, v65
	v_lshlrev_b64 v[62:63], v62, v[40:41]
	v_lshrrev_b32_e32 v64, 3, v38
	v_sub_u32_e32 v63, 29, v65
	v_and_b32_e32 v62, 7, v62
	v_cmp_gt_u32_e32 vcc, 8, v38
	v_cndmask_b32_e32 v38, v64, v63, vcc
	v_cndmask_b32_e32 v42, v42, v62, vcc
	v_lshlrev_b32_e32 v40, 24, v40
	v_lshlrev_b32_e32 v42, 20, v42
	v_and_b32_e32 v40, 0x80000000, v40
	v_lshl_add_u32 v38, v38, 23, v55
	v_or3_b32 v38, v40, v38, v42
	v_lshrrev_b32_e32 v62, 16, v38
.LBB902_405:                            ;   in Loop: Header=BB902_215 Depth=1
	s_or_b64 exec, exec, s[18:19]
.LBB902_406:                            ;   in Loop: Header=BB902_215 Depth=1
	s_or_b64 exec, exec, s[16:17]
.LBB902_407:                            ;   in Loop: Header=BB902_215 Depth=1
	s_or_b64 exec, exec, s[14:15]
	v_perm_b32 v64, v44, v46, s25
	buffer_load_dword v44, v51, s[0:3], 0 offen
	buffer_load_dword v42, v51, s[0:3], 0 offen offset:4
	buffer_load_dword v40, v51, s[0:3], 0 offen offset:8
	;; [unrolled: 1-line block ×3, first 2 shown]
	v_perm_b32 v65, v59, v57, s25
	v_perm_b32 v59, v62, v61, s25
	;; [unrolled: 1-line block ×3, first 2 shown]
	v_mfma_f32_16x16x16bf16_1k v[34:37], v[64:65], v[14:15], v[34:37]
	s_waitcnt vmcnt(3)
	v_cmp_ne_u16_sdwa s[16:17], v44, v54 src0_sel:BYTE_0 src1_sel:DWORD
	v_mfma_f32_16x16x16bf16_1k v[34:37], v[58:59], v[16:17], v[34:37]
	s_and_saveexec_b64 s[14:15], s[16:17]
	s_cbranch_execz .LBB902_413
; %bb.408:                              ;   in Loop: Header=BB902_215 Depth=1
	v_cmp_ne_u16_sdwa s[18:19], v44, s9 src0_sel:BYTE_0 src1_sel:DWORD
	v_mov_b32_e32 v56, 0xffff8000
	s_and_saveexec_b64 s[16:17], s[18:19]
	s_cbranch_execz .LBB902_412
; %bb.409:                              ;   in Loop: Header=BB902_215 Depth=1
	v_and_b32_e32 v46, 0x7f, v44
	v_cmp_ne_u32_e32 vcc, s23, v46
	v_mov_b32_e32 v56, 0x7f80
	s_and_saveexec_b64 s[18:19], vcc
	s_cbranch_execz .LBB902_411
; %bb.410:                              ;   in Loop: Header=BB902_215 Depth=1
	v_and_b32_e32 v51, 7, v44
	v_ffbh_u32_e32 v56, v51
	v_min_u32_e32 v59, 32, v56
	v_subrev_u32_e32 v56, 28, v59
	v_lshlrev_b64 v[56:57], v56, v[44:45]
	v_lshrrev_b32_e32 v58, 3, v46
	v_sub_u32_e32 v57, 29, v59
	v_and_b32_e32 v56, 7, v56
	v_cmp_gt_u32_e32 vcc, 8, v46
	v_cndmask_b32_e32 v46, v58, v57, vcc
	v_cndmask_b32_e32 v51, v51, v56, vcc
	v_lshlrev_b32_e32 v56, 24, v44
	v_lshlrev_b32_e32 v51, 20, v51
	v_and_b32_e32 v56, 0x80000000, v56
	v_lshl_add_u32 v46, v46, 23, v55
	v_or3_b32 v46, v56, v46, v51
	v_lshrrev_b32_e32 v56, 16, v46
.LBB902_411:                            ;   in Loop: Header=BB902_215 Depth=1
	s_or_b64 exec, exec, s[18:19]
.LBB902_412:                            ;   in Loop: Header=BB902_215 Depth=1
	s_or_b64 exec, exec, s[16:17]
.LBB902_413:                            ;   in Loop: Header=BB902_215 Depth=1
	s_or_b64 exec, exec, s[14:15]
	v_lshrrev_b16_e32 v46, 8, v44
	v_cmp_ne_u16_e32 vcc, 0, v46
	v_mov_b32_e32 v57, 0
	v_mov_b32_e32 v51, 0
	s_and_saveexec_b64 s[14:15], vcc
	s_cbranch_execz .LBB902_419
; %bb.414:                              ;   in Loop: Header=BB902_215 Depth=1
	v_cmp_ne_u16_e32 vcc, s9, v46
	v_mov_b32_e32 v51, 0xffff8000
	s_and_saveexec_b64 s[16:17], vcc
	s_cbranch_execz .LBB902_418
; %bb.415:                              ;   in Loop: Header=BB902_215 Depth=1
	v_and_b32_e32 v58, 0x7f, v46
	v_cmp_ne_u32_e32 vcc, s23, v58
	v_mov_b32_e32 v51, 0x7f80
	s_and_saveexec_b64 s[18:19], vcc
	s_cbranch_execz .LBB902_417
; %bb.416:                              ;   in Loop: Header=BB902_215 Depth=1
	v_and_b32_e32 v51, 7, v46
	v_ffbh_u32_e32 v60, v51
	v_min_u32_e32 v62, 32, v60
	v_subrev_u32_e32 v60, 28, v62
	v_lshlrev_b64 v[60:61], v60, v[46:47]
	v_lshrrev_b32_e32 v59, 3, v58
	v_sub_u32_e32 v46, 29, v62
	v_and_b32_e32 v60, 7, v60
	v_cmp_gt_u32_e32 vcc, 8, v58
	v_cndmask_b32_e32 v46, v59, v46, vcc
	v_cndmask_b32_e32 v51, v51, v60, vcc
	v_lshlrev_b32_e32 v58, 16, v44
	v_lshlrev_b32_e32 v51, 20, v51
	v_and_b32_e32 v58, 0x80000000, v58
	v_lshl_add_u32 v46, v46, 23, v55
	v_or3_b32 v46, v58, v46, v51
	v_lshrrev_b32_e32 v51, 16, v46
.LBB902_417:                            ;   in Loop: Header=BB902_215 Depth=1
	s_or_b64 exec, exec, s[18:19]
.LBB902_418:                            ;   in Loop: Header=BB902_215 Depth=1
	s_or_b64 exec, exec, s[16:17]
.LBB902_419:                            ;   in Loop: Header=BB902_215 Depth=1
	s_or_b64 exec, exec, s[14:15]
	v_lshrrev_b32_e32 v46, 16, v44
	v_cmp_ne_u16_sdwa s[16:17], v46, v54 src0_sel:BYTE_0 src1_sel:DWORD
	s_and_saveexec_b64 s[14:15], s[16:17]
	s_cbranch_execz .LBB902_425
; %bb.420:                              ;   in Loop: Header=BB902_215 Depth=1
	v_cmp_ne_u16_sdwa s[18:19], v46, s9 src0_sel:BYTE_0 src1_sel:DWORD
	v_mov_b32_e32 v57, 0xffff8000
	s_and_saveexec_b64 s[16:17], s[18:19]
	s_cbranch_execz .LBB902_424
; %bb.421:                              ;   in Loop: Header=BB902_215 Depth=1
	v_bfe_u32 v58, v44, 16, 7
	v_cmp_ne_u32_e32 vcc, s23, v58
	v_mov_b32_e32 v57, 0x7f80
	s_and_saveexec_b64 s[18:19], vcc
	s_cbranch_execz .LBB902_423
; %bb.422:                              ;   in Loop: Header=BB902_215 Depth=1
	v_and_b32_e32 v57, 7, v46
	v_ffbh_u32_e32 v60, v57
	v_min_u32_e32 v62, 32, v60
	v_subrev_u32_e32 v60, 28, v62
	v_lshlrev_b64 v[60:61], v60, v[46:47]
	v_lshrrev_b32_e32 v59, 3, v58
	v_sub_u32_e32 v61, 29, v62
	v_and_b32_e32 v60, 7, v60
	v_cmp_gt_u32_e32 vcc, 8, v58
	v_cndmask_b32_e32 v58, v59, v61, vcc
	v_cndmask_b32_e32 v57, v57, v60, vcc
	v_lshlrev_b32_e32 v46, 24, v46
	v_lshlrev_b32_e32 v57, 20, v57
	v_and_b32_e32 v46, 0x80000000, v46
	v_lshl_add_u32 v58, v58, 23, v55
	v_or3_b32 v46, v46, v58, v57
	v_lshrrev_b32_e32 v57, 16, v46
.LBB902_423:                            ;   in Loop: Header=BB902_215 Depth=1
	s_or_b64 exec, exec, s[18:19]
.LBB902_424:                            ;   in Loop: Header=BB902_215 Depth=1
	s_or_b64 exec, exec, s[16:17]
.LBB902_425:                            ;   in Loop: Header=BB902_215 Depth=1
	s_or_b64 exec, exec, s[14:15]
	v_cmp_lt_u32_e32 vcc, s24, v44
	v_mov_b32_e32 v58, 0
	v_mov_b32_e32 v59, 0
	s_and_saveexec_b64 s[14:15], vcc
	s_cbranch_execz .LBB902_431
; %bb.426:                              ;   in Loop: Header=BB902_215 Depth=1
	v_lshrrev_b32_e32 v46, 24, v44
	v_cmp_ne_u32_e32 vcc, s9, v46
	v_mov_b32_e32 v59, 0xffff8000
	s_and_saveexec_b64 s[16:17], vcc
	s_cbranch_execz .LBB902_430
; %bb.427:                              ;   in Loop: Header=BB902_215 Depth=1
	v_bfe_u32 v44, v44, 24, 7
	v_cmp_ne_u32_e32 vcc, s23, v44
	v_mov_b32_e32 v59, 0x7f80
	s_and_saveexec_b64 s[18:19], vcc
	s_cbranch_execz .LBB902_429
; %bb.428:                              ;   in Loop: Header=BB902_215 Depth=1
	v_and_b32_e32 v59, 7, v46
	v_ffbh_u32_e32 v60, v59
	v_min_u32_e32 v63, 32, v60
	v_subrev_u32_e32 v60, 28, v63
	v_lshlrev_b64 v[60:61], v60, v[46:47]
	v_lshrrev_b32_e32 v62, 3, v44
	v_sub_u32_e32 v61, 29, v63
	v_and_b32_e32 v60, 7, v60
	v_cmp_gt_u32_e32 vcc, 8, v44
	v_cndmask_b32_e32 v44, v62, v61, vcc
	v_cndmask_b32_e32 v59, v59, v60, vcc
	v_lshlrev_b32_e32 v46, 24, v46
	v_lshlrev_b32_e32 v59, 20, v59
	v_and_b32_e32 v46, 0x80000000, v46
	v_lshl_add_u32 v44, v44, 23, v55
	v_or3_b32 v44, v46, v44, v59
	v_lshrrev_b32_e32 v59, 16, v44
.LBB902_429:                            ;   in Loop: Header=BB902_215 Depth=1
	s_or_b64 exec, exec, s[18:19]
.LBB902_430:                            ;   in Loop: Header=BB902_215 Depth=1
	s_or_b64 exec, exec, s[16:17]
.LBB902_431:                            ;   in Loop: Header=BB902_215 Depth=1
	s_or_b64 exec, exec, s[14:15]
	s_waitcnt vmcnt(2)
	v_cmp_ne_u16_sdwa s[16:17], v42, v54 src0_sel:BYTE_0 src1_sel:DWORD
	s_and_saveexec_b64 s[14:15], s[16:17]
	s_cbranch_execz .LBB902_437
; %bb.432:                              ;   in Loop: Header=BB902_215 Depth=1
	v_cmp_ne_u16_sdwa s[18:19], v42, s9 src0_sel:BYTE_0 src1_sel:DWORD
	v_mov_b32_e32 v58, 0xffff8000
	s_and_saveexec_b64 s[16:17], s[18:19]
	s_cbranch_execz .LBB902_436
; %bb.433:                              ;   in Loop: Header=BB902_215 Depth=1
	v_and_b32_e32 v44, 0x7f, v42
	v_cmp_ne_u32_e32 vcc, s23, v44
	v_mov_b32_e32 v58, 0x7f80
	s_and_saveexec_b64 s[18:19], vcc
	s_cbranch_execz .LBB902_435
; %bb.434:                              ;   in Loop: Header=BB902_215 Depth=1
	v_and_b32_e32 v46, 7, v42
	v_ffbh_u32_e32 v60, v46
	v_min_u32_e32 v62, 32, v60
	v_subrev_u32_e32 v60, 28, v62
	v_lshlrev_b64 v[60:61], v60, v[42:43]
	v_lshrrev_b32_e32 v58, 3, v44
	v_sub_u32_e32 v61, 29, v62
	v_and_b32_e32 v60, 7, v60
	v_cmp_gt_u32_e32 vcc, 8, v44
	v_cndmask_b32_e32 v44, v58, v61, vcc
	v_cndmask_b32_e32 v46, v46, v60, vcc
	v_lshlrev_b32_e32 v58, 24, v42
	v_lshlrev_b32_e32 v46, 20, v46
	v_and_b32_e32 v58, 0x80000000, v58
	v_lshl_add_u32 v44, v44, 23, v55
	v_or3_b32 v44, v58, v44, v46
	v_lshrrev_b32_e32 v58, 16, v44
.LBB902_435:                            ;   in Loop: Header=BB902_215 Depth=1
	s_or_b64 exec, exec, s[18:19]
.LBB902_436:                            ;   in Loop: Header=BB902_215 Depth=1
	s_or_b64 exec, exec, s[16:17]
.LBB902_437:                            ;   in Loop: Header=BB902_215 Depth=1
	s_or_b64 exec, exec, s[14:15]
	v_lshrrev_b16_e32 v44, 8, v42
	v_cmp_ne_u16_e32 vcc, 0, v44
	v_mov_b32_e32 v61, 0
	v_mov_b32_e32 v60, 0
	s_and_saveexec_b64 s[14:15], vcc
	s_cbranch_execz .LBB902_443
; %bb.438:                              ;   in Loop: Header=BB902_215 Depth=1
	v_cmp_ne_u16_e32 vcc, s9, v44
	v_mov_b32_e32 v60, 0xffff8000
	s_and_saveexec_b64 s[16:17], vcc
	s_cbranch_execz .LBB902_442
; %bb.439:                              ;   in Loop: Header=BB902_215 Depth=1
	v_and_b32_e32 v46, 0x7f, v44
	v_cmp_ne_u32_e32 vcc, s23, v46
	v_mov_b32_e32 v60, 0x7f80
	s_and_saveexec_b64 s[18:19], vcc
	s_cbranch_execz .LBB902_441
; %bb.440:                              ;   in Loop: Header=BB902_215 Depth=1
	v_and_b32_e32 v60, 7, v44
	v_ffbh_u32_e32 v62, v60
	v_min_u32_e32 v65, 32, v62
	v_subrev_u32_e32 v62, 28, v65
	v_lshlrev_b64 v[62:63], v62, v[44:45]
	v_lshrrev_b32_e32 v64, 3, v46
	v_sub_u32_e32 v44, 29, v65
	v_and_b32_e32 v62, 7, v62
	v_cmp_gt_u32_e32 vcc, 8, v46
	v_cndmask_b32_e32 v44, v64, v44, vcc
	v_cndmask_b32_e32 v46, v60, v62, vcc
	v_lshlrev_b32_e32 v60, 16, v42
	v_lshlrev_b32_e32 v46, 20, v46
	v_and_b32_e32 v60, 0x80000000, v60
	v_lshl_add_u32 v44, v44, 23, v55
	v_or3_b32 v44, v60, v44, v46
	v_lshrrev_b32_e32 v60, 16, v44
.LBB902_441:                            ;   in Loop: Header=BB902_215 Depth=1
	s_or_b64 exec, exec, s[18:19]
.LBB902_442:                            ;   in Loop: Header=BB902_215 Depth=1
	s_or_b64 exec, exec, s[16:17]
.LBB902_443:                            ;   in Loop: Header=BB902_215 Depth=1
	s_or_b64 exec, exec, s[14:15]
	v_lshrrev_b32_e32 v44, 16, v42
	v_cmp_ne_u16_sdwa s[16:17], v44, v54 src0_sel:BYTE_0 src1_sel:DWORD
	s_and_saveexec_b64 s[14:15], s[16:17]
	s_cbranch_execz .LBB902_449
; %bb.444:                              ;   in Loop: Header=BB902_215 Depth=1
	v_cmp_ne_u16_sdwa s[18:19], v44, s9 src0_sel:BYTE_0 src1_sel:DWORD
	v_mov_b32_e32 v61, 0xffff8000
	s_and_saveexec_b64 s[16:17], s[18:19]
	s_cbranch_execz .LBB902_448
; %bb.445:                              ;   in Loop: Header=BB902_215 Depth=1
	v_bfe_u32 v46, v42, 16, 7
	v_cmp_ne_u32_e32 vcc, s23, v46
	v_mov_b32_e32 v61, 0x7f80
	s_and_saveexec_b64 s[18:19], vcc
	s_cbranch_execz .LBB902_447
; %bb.446:                              ;   in Loop: Header=BB902_215 Depth=1
	v_and_b32_e32 v61, 7, v44
	v_ffbh_u32_e32 v62, v61
	v_min_u32_e32 v65, 32, v62
	v_subrev_u32_e32 v62, 28, v65
	v_lshlrev_b64 v[62:63], v62, v[44:45]
	v_lshrrev_b32_e32 v64, 3, v46
	v_sub_u32_e32 v63, 29, v65
	v_and_b32_e32 v62, 7, v62
	v_cmp_gt_u32_e32 vcc, 8, v46
	v_cndmask_b32_e32 v46, v64, v63, vcc
	v_cndmask_b32_e32 v61, v61, v62, vcc
	v_lshlrev_b32_e32 v44, 24, v44
	v_lshlrev_b32_e32 v61, 20, v61
	v_and_b32_e32 v44, 0x80000000, v44
	v_lshl_add_u32 v46, v46, 23, v55
	v_or3_b32 v44, v44, v46, v61
	v_lshrrev_b32_e32 v61, 16, v44
.LBB902_447:                            ;   in Loop: Header=BB902_215 Depth=1
	s_or_b64 exec, exec, s[18:19]
.LBB902_448:                            ;   in Loop: Header=BB902_215 Depth=1
	s_or_b64 exec, exec, s[16:17]
.LBB902_449:                            ;   in Loop: Header=BB902_215 Depth=1
	s_or_b64 exec, exec, s[14:15]
	v_cmp_lt_u32_e32 vcc, s24, v42
	v_mov_b32_e32 v46, 0
	v_mov_b32_e32 v62, 0
	s_and_saveexec_b64 s[14:15], vcc
	s_cbranch_execz .LBB902_455
; %bb.450:                              ;   in Loop: Header=BB902_215 Depth=1
	v_lshrrev_b32_e32 v44, 24, v42
	v_cmp_ne_u32_e32 vcc, s9, v44
	v_mov_b32_e32 v62, 0xffff8000
	s_and_saveexec_b64 s[16:17], vcc
	s_cbranch_execz .LBB902_454
; %bb.451:                              ;   in Loop: Header=BB902_215 Depth=1
	v_bfe_u32 v42, v42, 24, 7
	v_cmp_ne_u32_e32 vcc, s23, v42
	v_mov_b32_e32 v62, 0x7f80
	s_and_saveexec_b64 s[18:19], vcc
	s_cbranch_execz .LBB902_453
; %bb.452:                              ;   in Loop: Header=BB902_215 Depth=1
	v_and_b32_e32 v64, 7, v44
	v_ffbh_u32_e32 v62, v64
	v_min_u32_e32 v66, 32, v62
	v_subrev_u32_e32 v62, 28, v66
	v_lshlrev_b64 v[62:63], v62, v[44:45]
	v_lshrrev_b32_e32 v65, 3, v42
	v_sub_u32_e32 v63, 29, v66
	v_and_b32_e32 v62, 7, v62
	v_cmp_gt_u32_e32 vcc, 8, v42
	v_cndmask_b32_e32 v42, v65, v63, vcc
	v_cndmask_b32_e32 v62, v64, v62, vcc
	v_lshlrev_b32_e32 v44, 24, v44
	v_lshlrev_b32_e32 v62, 20, v62
	v_and_b32_e32 v44, 0x80000000, v44
	v_lshl_add_u32 v42, v42, 23, v55
	v_or3_b32 v42, v44, v42, v62
	v_lshrrev_b32_e32 v62, 16, v42
.LBB902_453:                            ;   in Loop: Header=BB902_215 Depth=1
	s_or_b64 exec, exec, s[18:19]
.LBB902_454:                            ;   in Loop: Header=BB902_215 Depth=1
	s_or_b64 exec, exec, s[16:17]
.LBB902_455:                            ;   in Loop: Header=BB902_215 Depth=1
	s_or_b64 exec, exec, s[14:15]
	v_perm_b32 v57, v59, v57, s25
	v_perm_b32 v56, v51, v56, s25
	s_waitcnt vmcnt(1)
	v_cmp_ne_u16_sdwa s[16:17], v40, v54 src0_sel:BYTE_0 src1_sel:DWORD
	v_mfma_f32_16x16x16bf16_1k v[34:37], v[56:57], v[18:19], v[34:37]
	v_perm_b32 v57, v62, v61, s25
	v_perm_b32 v56, v60, v58, s25
	s_nop 1
	v_mfma_f32_16x16x16bf16_1k v[34:37], v[56:57], v[20:21], v[34:37]
	s_and_saveexec_b64 s[14:15], s[16:17]
	s_cbranch_execz .LBB902_461
; %bb.456:                              ;   in Loop: Header=BB902_215 Depth=1
	v_cmp_ne_u16_sdwa s[18:19], v40, s9 src0_sel:BYTE_0 src1_sel:DWORD
	v_mov_b32_e32 v46, 0xffff8000
	s_and_saveexec_b64 s[16:17], s[18:19]
	s_cbranch_execz .LBB902_460
; %bb.457:                              ;   in Loop: Header=BB902_215 Depth=1
	v_and_b32_e32 v42, 0x7f, v40
	v_cmp_ne_u32_e32 vcc, s23, v42
	v_mov_b32_e32 v46, 0x7f80
	s_and_saveexec_b64 s[18:19], vcc
	s_cbranch_execz .LBB902_459
; %bb.458:                              ;   in Loop: Header=BB902_215 Depth=1
	v_and_b32_e32 v44, 7, v40
	v_ffbh_u32_e32 v51, v44
	v_min_u32_e32 v51, 32, v51
	v_subrev_u32_e32 v56, 28, v51
	v_lshlrev_b64 v[56:57], v56, v[40:41]
	v_lshrrev_b32_e32 v46, 3, v42
	v_sub_u32_e32 v51, 29, v51
	v_and_b32_e32 v56, 7, v56
	v_cmp_gt_u32_e32 vcc, 8, v42
	v_cndmask_b32_e32 v42, v46, v51, vcc
	v_cndmask_b32_e32 v44, v44, v56, vcc
	v_lshlrev_b32_e32 v46, 24, v40
	v_lshlrev_b32_e32 v44, 20, v44
	v_and_b32_e32 v46, 0x80000000, v46
	v_lshl_add_u32 v42, v42, 23, v55
	v_or3_b32 v42, v46, v42, v44
	v_lshrrev_b32_e32 v46, 16, v42
.LBB902_459:                            ;   in Loop: Header=BB902_215 Depth=1
	s_or_b64 exec, exec, s[18:19]
.LBB902_460:                            ;   in Loop: Header=BB902_215 Depth=1
	s_or_b64 exec, exec, s[16:17]
.LBB902_461:                            ;   in Loop: Header=BB902_215 Depth=1
	s_or_b64 exec, exec, s[14:15]
	v_lshrrev_b16_e32 v42, 8, v40
	v_cmp_ne_u16_e32 vcc, 0, v42
	v_mov_b32_e32 v56, 0
	v_mov_b32_e32 v44, 0
	s_and_saveexec_b64 s[14:15], vcc
	s_cbranch_execz .LBB902_467
; %bb.462:                              ;   in Loop: Header=BB902_215 Depth=1
	v_cmp_ne_u16_e32 vcc, s9, v42
	v_mov_b32_e32 v44, 0xffff8000
	s_and_saveexec_b64 s[16:17], vcc
	s_cbranch_execz .LBB902_466
; %bb.463:                              ;   in Loop: Header=BB902_215 Depth=1
	v_and_b32_e32 v51, 0x7f, v42
	v_cmp_ne_u32_e32 vcc, s23, v51
	v_mov_b32_e32 v44, 0x7f80
	s_and_saveexec_b64 s[18:19], vcc
	s_cbranch_execz .LBB902_465
; %bb.464:                              ;   in Loop: Header=BB902_215 Depth=1
	v_and_b32_e32 v44, 7, v42
	v_ffbh_u32_e32 v58, v44
	v_min_u32_e32 v60, 32, v58
	v_subrev_u32_e32 v58, 28, v60
	v_lshlrev_b64 v[58:59], v58, v[42:43]
	v_lshrrev_b32_e32 v57, 3, v51
	v_sub_u32_e32 v42, 29, v60
	v_and_b32_e32 v58, 7, v58
	v_cmp_gt_u32_e32 vcc, 8, v51
	v_cndmask_b32_e32 v42, v57, v42, vcc
	v_cndmask_b32_e32 v44, v44, v58, vcc
	v_lshlrev_b32_e32 v51, 16, v40
	v_lshlrev_b32_e32 v44, 20, v44
	v_and_b32_e32 v51, 0x80000000, v51
	v_lshl_add_u32 v42, v42, 23, v55
	v_or3_b32 v42, v51, v42, v44
	v_lshrrev_b32_e32 v44, 16, v42
.LBB902_465:                            ;   in Loop: Header=BB902_215 Depth=1
	s_or_b64 exec, exec, s[18:19]
.LBB902_466:                            ;   in Loop: Header=BB902_215 Depth=1
	s_or_b64 exec, exec, s[16:17]
.LBB902_467:                            ;   in Loop: Header=BB902_215 Depth=1
	s_or_b64 exec, exec, s[14:15]
	v_lshrrev_b32_e32 v42, 16, v40
	v_cmp_ne_u16_sdwa s[16:17], v42, v54 src0_sel:BYTE_0 src1_sel:DWORD
	s_and_saveexec_b64 s[14:15], s[16:17]
	s_cbranch_execz .LBB902_473
; %bb.468:                              ;   in Loop: Header=BB902_215 Depth=1
	v_cmp_ne_u16_sdwa s[18:19], v42, s9 src0_sel:BYTE_0 src1_sel:DWORD
	v_mov_b32_e32 v56, 0xffff8000
	s_and_saveexec_b64 s[16:17], s[18:19]
	s_cbranch_execz .LBB902_472
; %bb.469:                              ;   in Loop: Header=BB902_215 Depth=1
	v_bfe_u32 v51, v40, 16, 7
	v_cmp_ne_u32_e32 vcc, s23, v51
	v_mov_b32_e32 v56, 0x7f80
	s_and_saveexec_b64 s[18:19], vcc
	s_cbranch_execz .LBB902_471
; %bb.470:                              ;   in Loop: Header=BB902_215 Depth=1
	v_and_b32_e32 v58, 7, v42
	v_ffbh_u32_e32 v56, v58
	v_min_u32_e32 v60, 32, v56
	v_subrev_u32_e32 v56, 28, v60
	v_lshlrev_b64 v[56:57], v56, v[42:43]
	v_lshrrev_b32_e32 v59, 3, v51
	v_sub_u32_e32 v57, 29, v60
	v_and_b32_e32 v56, 7, v56
	v_cmp_gt_u32_e32 vcc, 8, v51
	v_cndmask_b32_e32 v51, v59, v57, vcc
	v_cndmask_b32_e32 v56, v58, v56, vcc
	v_lshlrev_b32_e32 v42, 24, v42
	v_lshlrev_b32_e32 v56, 20, v56
	v_and_b32_e32 v42, 0x80000000, v42
	v_lshl_add_u32 v51, v51, 23, v55
	v_or3_b32 v42, v42, v51, v56
	v_lshrrev_b32_e32 v56, 16, v42
.LBB902_471:                            ;   in Loop: Header=BB902_215 Depth=1
	s_or_b64 exec, exec, s[18:19]
.LBB902_472:                            ;   in Loop: Header=BB902_215 Depth=1
	s_or_b64 exec, exec, s[16:17]
.LBB902_473:                            ;   in Loop: Header=BB902_215 Depth=1
	s_or_b64 exec, exec, s[14:15]
	v_cmp_lt_u32_e32 vcc, s24, v40
	v_mov_b32_e32 v57, 0
	v_mov_b32_e32 v58, 0
	s_and_saveexec_b64 s[14:15], vcc
	s_cbranch_execz .LBB902_479
; %bb.474:                              ;   in Loop: Header=BB902_215 Depth=1
	v_lshrrev_b32_e32 v42, 24, v40
	v_cmp_ne_u32_e32 vcc, s9, v42
	v_mov_b32_e32 v58, 0xffff8000
	s_and_saveexec_b64 s[16:17], vcc
	s_cbranch_execz .LBB902_478
; %bb.475:                              ;   in Loop: Header=BB902_215 Depth=1
	v_bfe_u32 v40, v40, 24, 7
	v_cmp_ne_u32_e32 vcc, s23, v40
	v_mov_b32_e32 v58, 0x7f80
	s_and_saveexec_b64 s[18:19], vcc
	s_cbranch_execz .LBB902_477
; %bb.476:                              ;   in Loop: Header=BB902_215 Depth=1
	v_and_b32_e32 v51, 7, v42
	v_ffbh_u32_e32 v58, v51
	v_min_u32_e32 v61, 32, v58
	v_subrev_u32_e32 v58, 28, v61
	v_lshlrev_b64 v[58:59], v58, v[42:43]
	v_lshrrev_b32_e32 v60, 3, v40
	v_sub_u32_e32 v59, 29, v61
	v_and_b32_e32 v58, 7, v58
	v_cmp_gt_u32_e32 vcc, 8, v40
	v_cndmask_b32_e32 v40, v60, v59, vcc
	v_cndmask_b32_e32 v51, v51, v58, vcc
	v_lshlrev_b32_e32 v42, 24, v42
	v_lshlrev_b32_e32 v51, 20, v51
	v_and_b32_e32 v42, 0x80000000, v42
	v_lshl_add_u32 v40, v40, 23, v55
	v_or3_b32 v40, v42, v40, v51
	v_lshrrev_b32_e32 v58, 16, v40
.LBB902_477:                            ;   in Loop: Header=BB902_215 Depth=1
	s_or_b64 exec, exec, s[18:19]
.LBB902_478:                            ;   in Loop: Header=BB902_215 Depth=1
	s_or_b64 exec, exec, s[16:17]
.LBB902_479:                            ;   in Loop: Header=BB902_215 Depth=1
	s_or_b64 exec, exec, s[14:15]
	s_waitcnt vmcnt(0)
	v_cmp_ne_u16_sdwa s[16:17], v38, v54 src0_sel:BYTE_0 src1_sel:DWORD
	s_and_saveexec_b64 s[14:15], s[16:17]
	s_cbranch_execz .LBB902_485
; %bb.480:                              ;   in Loop: Header=BB902_215 Depth=1
	v_cmp_ne_u16_sdwa s[18:19], v38, s9 src0_sel:BYTE_0 src1_sel:DWORD
	v_mov_b32_e32 v57, 0xffff8000
	s_and_saveexec_b64 s[16:17], s[18:19]
	s_cbranch_execz .LBB902_484
; %bb.481:                              ;   in Loop: Header=BB902_215 Depth=1
	v_and_b32_e32 v40, 0x7f, v38
	v_cmp_ne_u32_e32 vcc, s23, v40
	v_mov_b32_e32 v57, 0x7f80
	s_and_saveexec_b64 s[18:19], vcc
	s_cbranch_execz .LBB902_483
; %bb.482:                              ;   in Loop: Header=BB902_215 Depth=1
	v_and_b32_e32 v42, 7, v38
	v_ffbh_u32_e32 v57, v42
	v_min_u32_e32 v57, 32, v57
	v_subrev_u32_e32 v59, 28, v57
	v_lshlrev_b64 v[60:61], v59, v[38:39]
	v_lshrrev_b32_e32 v51, 3, v40
	v_sub_u32_e32 v57, 29, v57
	v_and_b32_e32 v59, 7, v60
	v_cmp_gt_u32_e32 vcc, 8, v40
	v_cndmask_b32_e32 v40, v51, v57, vcc
	v_cndmask_b32_e32 v42, v42, v59, vcc
	v_lshlrev_b32_e32 v51, 24, v38
	v_lshlrev_b32_e32 v42, 20, v42
	v_and_b32_e32 v51, 0x80000000, v51
	v_lshl_add_u32 v40, v40, 23, v55
	v_or3_b32 v40, v51, v40, v42
	v_lshrrev_b32_e32 v57, 16, v40
.LBB902_483:                            ;   in Loop: Header=BB902_215 Depth=1
	s_or_b64 exec, exec, s[18:19]
.LBB902_484:                            ;   in Loop: Header=BB902_215 Depth=1
	s_or_b64 exec, exec, s[16:17]
.LBB902_485:                            ;   in Loop: Header=BB902_215 Depth=1
	s_or_b64 exec, exec, s[14:15]
	v_lshrrev_b16_e32 v40, 8, v38
	v_cmp_ne_u16_e32 vcc, 0, v40
	v_mov_b32_e32 v60, 0
	v_mov_b32_e32 v59, 0
	s_and_saveexec_b64 s[14:15], vcc
	s_cbranch_execz .LBB902_491
; %bb.486:                              ;   in Loop: Header=BB902_215 Depth=1
	v_cmp_ne_u16_e32 vcc, s9, v40
	v_mov_b32_e32 v59, 0xffff8000
	s_and_saveexec_b64 s[16:17], vcc
	s_cbranch_execz .LBB902_490
; %bb.487:                              ;   in Loop: Header=BB902_215 Depth=1
	v_and_b32_e32 v42, 0x7f, v40
	v_cmp_ne_u32_e32 vcc, s23, v42
	v_mov_b32_e32 v59, 0x7f80
	s_and_saveexec_b64 s[18:19], vcc
	s_cbranch_execz .LBB902_489
; %bb.488:                              ;   in Loop: Header=BB902_215 Depth=1
	v_and_b32_e32 v51, 7, v40
	v_ffbh_u32_e32 v61, v51
	v_min_u32_e32 v61, 32, v61
	v_subrev_u32_e32 v62, 28, v61
	v_lshlrev_b64 v[62:63], v62, v[40:41]
	v_lshrrev_b32_e32 v59, 3, v42
	v_sub_u32_e32 v40, 29, v61
	v_and_b32_e32 v61, 7, v62
	v_cmp_gt_u32_e32 vcc, 8, v42
	v_cndmask_b32_e32 v40, v59, v40, vcc
	v_cndmask_b32_e32 v42, v51, v61, vcc
	v_lshlrev_b32_e32 v51, 16, v38
	v_lshlrev_b32_e32 v42, 20, v42
	v_and_b32_e32 v51, 0x80000000, v51
	v_lshl_add_u32 v40, v40, 23, v55
	v_or3_b32 v40, v51, v40, v42
	v_lshrrev_b32_e32 v59, 16, v40
.LBB902_489:                            ;   in Loop: Header=BB902_215 Depth=1
	s_or_b64 exec, exec, s[18:19]
.LBB902_490:                            ;   in Loop: Header=BB902_215 Depth=1
	s_or_b64 exec, exec, s[16:17]
.LBB902_491:                            ;   in Loop: Header=BB902_215 Depth=1
	s_or_b64 exec, exec, s[14:15]
	v_lshrrev_b32_e32 v40, 16, v38
	v_cmp_ne_u16_sdwa s[16:17], v40, v54 src0_sel:BYTE_0 src1_sel:DWORD
	s_and_saveexec_b64 s[14:15], s[16:17]
	s_cbranch_execz .LBB902_497
; %bb.492:                              ;   in Loop: Header=BB902_215 Depth=1
	v_cmp_ne_u16_sdwa s[18:19], v40, s9 src0_sel:BYTE_0 src1_sel:DWORD
	v_mov_b32_e32 v60, 0xffff8000
	s_and_saveexec_b64 s[16:17], s[18:19]
	s_cbranch_execz .LBB902_496
; %bb.493:                              ;   in Loop: Header=BB902_215 Depth=1
	v_bfe_u32 v42, v38, 16, 7
	v_cmp_ne_u32_e32 vcc, s23, v42
	v_mov_b32_e32 v60, 0x7f80
	s_and_saveexec_b64 s[18:19], vcc
	s_cbranch_execz .LBB902_495
; %bb.494:                              ;   in Loop: Header=BB902_215 Depth=1
	v_and_b32_e32 v51, 7, v40
	v_ffbh_u32_e32 v60, v51
	v_min_u32_e32 v63, 32, v60
	v_subrev_u32_e32 v60, 28, v63
	v_lshlrev_b64 v[60:61], v60, v[40:41]
	v_lshrrev_b32_e32 v62, 3, v42
	v_sub_u32_e32 v61, 29, v63
	v_and_b32_e32 v60, 7, v60
	v_cmp_gt_u32_e32 vcc, 8, v42
	v_cndmask_b32_e32 v42, v62, v61, vcc
	v_cndmask_b32_e32 v51, v51, v60, vcc
	v_lshlrev_b32_e32 v40, 24, v40
	v_lshlrev_b32_e32 v51, 20, v51
	v_and_b32_e32 v40, 0x80000000, v40
	v_lshl_add_u32 v42, v42, 23, v55
	v_or3_b32 v40, v40, v42, v51
	v_lshrrev_b32_e32 v60, 16, v40
.LBB902_495:                            ;   in Loop: Header=BB902_215 Depth=1
	s_or_b64 exec, exec, s[18:19]
.LBB902_496:                            ;   in Loop: Header=BB902_215 Depth=1
	s_or_b64 exec, exec, s[16:17]
.LBB902_497:                            ;   in Loop: Header=BB902_215 Depth=1
	s_or_b64 exec, exec, s[14:15]
	v_cmp_lt_u32_e32 vcc, s24, v38
	v_mov_b32_e32 v51, 0
	v_mov_b32_e32 v61, 0
	s_and_saveexec_b64 s[14:15], vcc
	s_cbranch_execz .LBB902_503
; %bb.498:                              ;   in Loop: Header=BB902_215 Depth=1
	v_lshrrev_b32_e32 v40, 24, v38
	v_cmp_ne_u32_e32 vcc, s9, v40
	v_mov_b32_e32 v61, 0xffff8000
	s_and_saveexec_b64 s[16:17], vcc
	s_cbranch_execz .LBB902_502
; %bb.499:                              ;   in Loop: Header=BB902_215 Depth=1
	v_bfe_u32 v38, v38, 24, 7
	v_cmp_ne_u32_e32 vcc, s23, v38
	v_mov_b32_e32 v61, 0x7f80
	s_and_saveexec_b64 s[18:19], vcc
	s_cbranch_execz .LBB902_501
; %bb.500:                              ;   in Loop: Header=BB902_215 Depth=1
	v_and_b32_e32 v42, 7, v40
	v_ffbh_u32_e32 v62, v42
	v_min_u32_e32 v64, 32, v62
	v_subrev_u32_e32 v62, 28, v64
	v_lshlrev_b64 v[62:63], v62, v[40:41]
	v_lshrrev_b32_e32 v61, 3, v38
	v_sub_u32_e32 v63, 29, v64
	v_and_b32_e32 v62, 7, v62
	v_cmp_gt_u32_e32 vcc, 8, v38
	v_cndmask_b32_e32 v38, v61, v63, vcc
	v_cndmask_b32_e32 v42, v42, v62, vcc
	v_lshlrev_b32_e32 v40, 24, v40
	v_lshlrev_b32_e32 v42, 20, v42
	v_and_b32_e32 v40, 0x80000000, v40
	v_lshl_add_u32 v38, v38, 23, v55
	v_or3_b32 v38, v40, v38, v42
	v_lshrrev_b32_e32 v61, 16, v38
.LBB902_501:                            ;   in Loop: Header=BB902_215 Depth=1
	s_or_b64 exec, exec, s[18:19]
.LBB902_502:                            ;   in Loop: Header=BB902_215 Depth=1
	s_or_b64 exec, exec, s[16:17]
.LBB902_503:                            ;   in Loop: Header=BB902_215 Depth=1
	s_or_b64 exec, exec, s[14:15]
	v_perm_b32 v62, v44, v46, s25
	buffer_load_dword v44, v50, s[0:3], 0 offen
	buffer_load_dword v42, v50, s[0:3], 0 offen offset:4
	buffer_load_dword v40, v50, s[0:3], 0 offen offset:8
	;; [unrolled: 1-line block ×3, first 2 shown]
	v_perm_b32 v63, v58, v56, s25
	v_perm_b32 v61, v61, v60, s25
	;; [unrolled: 1-line block ×3, first 2 shown]
	v_mfma_f32_16x16x16bf16_1k v[34:37], v[62:63], v[22:23], v[34:37]
	s_waitcnt vmcnt(3)
	v_cmp_ne_u16_sdwa s[16:17], v44, v54 src0_sel:BYTE_0 src1_sel:DWORD
	v_mfma_f32_16x16x16bf16_1k v[34:37], v[60:61], v[24:25], v[34:37]
	s_and_saveexec_b64 s[14:15], s[16:17]
	s_cbranch_execz .LBB902_509
; %bb.504:                              ;   in Loop: Header=BB902_215 Depth=1
	v_cmp_ne_u16_sdwa s[18:19], v44, s9 src0_sel:BYTE_0 src1_sel:DWORD
	v_mov_b32_e32 v51, 0xffff8000
	s_and_saveexec_b64 s[16:17], s[18:19]
	s_cbranch_execz .LBB902_508
; %bb.505:                              ;   in Loop: Header=BB902_215 Depth=1
	v_and_b32_e32 v46, 0x7f, v44
	v_cmp_ne_u32_e32 vcc, s23, v46
	v_mov_b32_e32 v51, 0x7f80
	s_and_saveexec_b64 s[18:19], vcc
	s_cbranch_execz .LBB902_507
; %bb.506:                              ;   in Loop: Header=BB902_215 Depth=1
	v_and_b32_e32 v56, 7, v44
	v_ffbh_u32_e32 v50, v56
	v_min_u32_e32 v58, 32, v50
	v_subrev_u32_e32 v50, 28, v58
	v_lshlrev_b64 v[50:51], v50, v[44:45]
	v_lshrrev_b32_e32 v57, 3, v46
	v_sub_u32_e32 v51, 29, v58
	v_and_b32_e32 v50, 7, v50
	v_cmp_gt_u32_e32 vcc, 8, v46
	v_cndmask_b32_e32 v46, v57, v51, vcc
	v_cndmask_b32_e32 v50, v56, v50, vcc
	v_lshlrev_b32_e32 v51, 24, v44
	v_lshlrev_b32_e32 v50, 20, v50
	v_and_b32_e32 v51, 0x80000000, v51
	v_lshl_add_u32 v46, v46, 23, v55
	v_or3_b32 v46, v51, v46, v50
	v_lshrrev_b32_e32 v51, 16, v46
.LBB902_507:                            ;   in Loop: Header=BB902_215 Depth=1
	s_or_b64 exec, exec, s[18:19]
.LBB902_508:                            ;   in Loop: Header=BB902_215 Depth=1
	s_or_b64 exec, exec, s[16:17]
.LBB902_509:                            ;   in Loop: Header=BB902_215 Depth=1
	s_or_b64 exec, exec, s[14:15]
	v_lshrrev_b16_e32 v46, 8, v44
	v_cmp_ne_u16_e32 vcc, 0, v46
	v_mov_b32_e32 v56, 0
	v_mov_b32_e32 v50, 0
	s_and_saveexec_b64 s[14:15], vcc
	s_cbranch_execz .LBB902_515
; %bb.510:                              ;   in Loop: Header=BB902_215 Depth=1
	v_cmp_ne_u16_e32 vcc, s9, v46
	v_mov_b32_e32 v50, 0xffff8000
	s_and_saveexec_b64 s[16:17], vcc
	s_cbranch_execz .LBB902_514
; %bb.511:                              ;   in Loop: Header=BB902_215 Depth=1
	v_and_b32_e32 v57, 0x7f, v46
	v_cmp_ne_u32_e32 vcc, s23, v57
	v_mov_b32_e32 v50, 0x7f80
	s_and_saveexec_b64 s[18:19], vcc
	s_cbranch_execz .LBB902_513
; %bb.512:                              ;   in Loop: Header=BB902_215 Depth=1
	v_and_b32_e32 v50, 7, v46
	v_ffbh_u32_e32 v58, v50
	v_min_u32_e32 v61, 32, v58
	v_subrev_u32_e32 v58, 28, v61
	v_lshlrev_b64 v[58:59], v58, v[46:47]
	v_lshrrev_b32_e32 v60, 3, v57
	v_sub_u32_e32 v46, 29, v61
	v_and_b32_e32 v58, 7, v58
	v_cmp_gt_u32_e32 vcc, 8, v57
	v_cndmask_b32_e32 v46, v60, v46, vcc
	v_cndmask_b32_e32 v50, v50, v58, vcc
	v_lshlrev_b32_e32 v57, 16, v44
	v_lshlrev_b32_e32 v50, 20, v50
	v_and_b32_e32 v57, 0x80000000, v57
	v_lshl_add_u32 v46, v46, 23, v55
	v_or3_b32 v46, v57, v46, v50
	v_lshrrev_b32_e32 v50, 16, v46
.LBB902_513:                            ;   in Loop: Header=BB902_215 Depth=1
	s_or_b64 exec, exec, s[18:19]
.LBB902_514:                            ;   in Loop: Header=BB902_215 Depth=1
	s_or_b64 exec, exec, s[16:17]
.LBB902_515:                            ;   in Loop: Header=BB902_215 Depth=1
	s_or_b64 exec, exec, s[14:15]
	v_lshrrev_b32_e32 v46, 16, v44
	v_cmp_ne_u16_sdwa s[16:17], v46, v54 src0_sel:BYTE_0 src1_sel:DWORD
	s_and_saveexec_b64 s[14:15], s[16:17]
	s_cbranch_execz .LBB902_521
; %bb.516:                              ;   in Loop: Header=BB902_215 Depth=1
	v_cmp_ne_u16_sdwa s[18:19], v46, s9 src0_sel:BYTE_0 src1_sel:DWORD
	v_mov_b32_e32 v56, 0xffff8000
	s_and_saveexec_b64 s[16:17], s[18:19]
	s_cbranch_execz .LBB902_520
; %bb.517:                              ;   in Loop: Header=BB902_215 Depth=1
	v_bfe_u32 v57, v44, 16, 7
	v_cmp_ne_u32_e32 vcc, s23, v57
	v_mov_b32_e32 v56, 0x7f80
	s_and_saveexec_b64 s[18:19], vcc
	s_cbranch_execz .LBB902_519
; %bb.518:                              ;   in Loop: Header=BB902_215 Depth=1
	v_and_b32_e32 v56, 7, v46
	v_ffbh_u32_e32 v58, v56
	v_min_u32_e32 v61, 32, v58
	v_subrev_u32_e32 v58, 28, v61
	v_lshlrev_b64 v[58:59], v58, v[46:47]
	v_lshrrev_b32_e32 v60, 3, v57
	v_sub_u32_e32 v59, 29, v61
	v_and_b32_e32 v58, 7, v58
	v_cmp_gt_u32_e32 vcc, 8, v57
	v_cndmask_b32_e32 v57, v60, v59, vcc
	v_cndmask_b32_e32 v56, v56, v58, vcc
	v_lshlrev_b32_e32 v46, 24, v46
	v_lshlrev_b32_e32 v56, 20, v56
	v_and_b32_e32 v46, 0x80000000, v46
	v_lshl_add_u32 v57, v57, 23, v55
	v_or3_b32 v46, v46, v57, v56
	v_lshrrev_b32_e32 v56, 16, v46
.LBB902_519:                            ;   in Loop: Header=BB902_215 Depth=1
	s_or_b64 exec, exec, s[18:19]
.LBB902_520:                            ;   in Loop: Header=BB902_215 Depth=1
	s_or_b64 exec, exec, s[16:17]
.LBB902_521:                            ;   in Loop: Header=BB902_215 Depth=1
	s_or_b64 exec, exec, s[14:15]
	v_cmp_lt_u32_e32 vcc, s24, v44
	v_mov_b32_e32 v57, 0
	v_mov_b32_e32 v58, 0
	s_and_saveexec_b64 s[14:15], vcc
	s_cbranch_execz .LBB902_527
; %bb.522:                              ;   in Loop: Header=BB902_215 Depth=1
	v_lshrrev_b32_e32 v46, 24, v44
	v_cmp_ne_u32_e32 vcc, s9, v46
	v_mov_b32_e32 v58, 0xffff8000
	s_and_saveexec_b64 s[16:17], vcc
	s_cbranch_execz .LBB902_526
; %bb.523:                              ;   in Loop: Header=BB902_215 Depth=1
	v_bfe_u32 v44, v44, 24, 7
	v_cmp_ne_u32_e32 vcc, s23, v44
	v_mov_b32_e32 v58, 0x7f80
	s_and_saveexec_b64 s[18:19], vcc
	s_cbranch_execz .LBB902_525
; %bb.524:                              ;   in Loop: Header=BB902_215 Depth=1
	v_and_b32_e32 v60, 7, v46
	v_ffbh_u32_e32 v58, v60
	v_min_u32_e32 v62, 32, v58
	v_subrev_u32_e32 v58, 28, v62
	v_lshlrev_b64 v[58:59], v58, v[46:47]
	v_lshrrev_b32_e32 v61, 3, v44
	v_sub_u32_e32 v59, 29, v62
	v_and_b32_e32 v58, 7, v58
	v_cmp_gt_u32_e32 vcc, 8, v44
	v_cndmask_b32_e32 v44, v61, v59, vcc
	v_cndmask_b32_e32 v58, v60, v58, vcc
	v_lshlrev_b32_e32 v46, 24, v46
	v_lshlrev_b32_e32 v58, 20, v58
	v_and_b32_e32 v46, 0x80000000, v46
	v_lshl_add_u32 v44, v44, 23, v55
	v_or3_b32 v44, v46, v44, v58
	v_lshrrev_b32_e32 v58, 16, v44
.LBB902_525:                            ;   in Loop: Header=BB902_215 Depth=1
	s_or_b64 exec, exec, s[18:19]
.LBB902_526:                            ;   in Loop: Header=BB902_215 Depth=1
	s_or_b64 exec, exec, s[16:17]
.LBB902_527:                            ;   in Loop: Header=BB902_215 Depth=1
	s_or_b64 exec, exec, s[14:15]
	s_waitcnt vmcnt(2)
	v_cmp_ne_u16_sdwa s[16:17], v42, v54 src0_sel:BYTE_0 src1_sel:DWORD
	s_and_saveexec_b64 s[14:15], s[16:17]
	s_cbranch_execz .LBB902_533
; %bb.528:                              ;   in Loop: Header=BB902_215 Depth=1
	v_cmp_ne_u16_sdwa s[18:19], v42, s9 src0_sel:BYTE_0 src1_sel:DWORD
	v_mov_b32_e32 v57, 0xffff8000
	s_and_saveexec_b64 s[16:17], s[18:19]
	s_cbranch_execz .LBB902_532
; %bb.529:                              ;   in Loop: Header=BB902_215 Depth=1
	v_and_b32_e32 v44, 0x7f, v42
	v_cmp_ne_u32_e32 vcc, s23, v44
	v_mov_b32_e32 v57, 0x7f80
	s_and_saveexec_b64 s[18:19], vcc
	s_cbranch_execz .LBB902_531
; %bb.530:                              ;   in Loop: Header=BB902_215 Depth=1
	v_and_b32_e32 v46, 7, v42
	v_ffbh_u32_e32 v59, v46
	v_min_u32_e32 v59, 32, v59
	v_subrev_u32_e32 v60, 28, v59
	v_lshlrev_b64 v[60:61], v60, v[42:43]
	v_lshrrev_b32_e32 v57, 3, v44
	v_sub_u32_e32 v59, 29, v59
	v_and_b32_e32 v60, 7, v60
	v_cmp_gt_u32_e32 vcc, 8, v44
	v_cndmask_b32_e32 v44, v57, v59, vcc
	v_cndmask_b32_e32 v46, v46, v60, vcc
	v_lshlrev_b32_e32 v57, 24, v42
	v_lshlrev_b32_e32 v46, 20, v46
	v_and_b32_e32 v57, 0x80000000, v57
	v_lshl_add_u32 v44, v44, 23, v55
	v_or3_b32 v44, v57, v44, v46
	v_lshrrev_b32_e32 v57, 16, v44
.LBB902_531:                            ;   in Loop: Header=BB902_215 Depth=1
	s_or_b64 exec, exec, s[18:19]
.LBB902_532:                            ;   in Loop: Header=BB902_215 Depth=1
	s_or_b64 exec, exec, s[16:17]
.LBB902_533:                            ;   in Loop: Header=BB902_215 Depth=1
	s_or_b64 exec, exec, s[14:15]
	v_lshrrev_b16_e32 v44, 8, v42
	v_cmp_ne_u16_e32 vcc, 0, v44
	v_mov_b32_e32 v60, 0
	v_mov_b32_e32 v59, 0
	s_and_saveexec_b64 s[14:15], vcc
	s_cbranch_execz .LBB902_539
; %bb.534:                              ;   in Loop: Header=BB902_215 Depth=1
	v_cmp_ne_u16_e32 vcc, s9, v44
	v_mov_b32_e32 v59, 0xffff8000
	s_and_saveexec_b64 s[16:17], vcc
	s_cbranch_execz .LBB902_538
; %bb.535:                              ;   in Loop: Header=BB902_215 Depth=1
	v_and_b32_e32 v46, 0x7f, v44
	v_cmp_ne_u32_e32 vcc, s23, v46
	v_mov_b32_e32 v59, 0x7f80
	s_and_saveexec_b64 s[18:19], vcc
	s_cbranch_execz .LBB902_537
; %bb.536:                              ;   in Loop: Header=BB902_215 Depth=1
	v_and_b32_e32 v59, 7, v44
	v_ffbh_u32_e32 v62, v59
	v_min_u32_e32 v64, 32, v62
	v_subrev_u32_e32 v62, 28, v64
	v_lshlrev_b64 v[62:63], v62, v[44:45]
	v_lshrrev_b32_e32 v61, 3, v46
	v_sub_u32_e32 v44, 29, v64
	v_and_b32_e32 v62, 7, v62
	v_cmp_gt_u32_e32 vcc, 8, v46
	v_cndmask_b32_e32 v44, v61, v44, vcc
	v_cndmask_b32_e32 v46, v59, v62, vcc
	v_lshlrev_b32_e32 v59, 16, v42
	v_lshlrev_b32_e32 v46, 20, v46
	v_and_b32_e32 v59, 0x80000000, v59
	v_lshl_add_u32 v44, v44, 23, v55
	v_or3_b32 v44, v59, v44, v46
	v_lshrrev_b32_e32 v59, 16, v44
.LBB902_537:                            ;   in Loop: Header=BB902_215 Depth=1
	s_or_b64 exec, exec, s[18:19]
.LBB902_538:                            ;   in Loop: Header=BB902_215 Depth=1
	s_or_b64 exec, exec, s[16:17]
.LBB902_539:                            ;   in Loop: Header=BB902_215 Depth=1
	s_or_b64 exec, exec, s[14:15]
	v_lshrrev_b32_e32 v44, 16, v42
	v_cmp_ne_u16_sdwa s[16:17], v44, v54 src0_sel:BYTE_0 src1_sel:DWORD
	s_and_saveexec_b64 s[14:15], s[16:17]
	s_cbranch_execz .LBB902_545
; %bb.540:                              ;   in Loop: Header=BB902_215 Depth=1
	v_cmp_ne_u16_sdwa s[18:19], v44, s9 src0_sel:BYTE_0 src1_sel:DWORD
	v_mov_b32_e32 v60, 0xffff8000
	s_and_saveexec_b64 s[16:17], s[18:19]
	s_cbranch_execz .LBB902_544
; %bb.541:                              ;   in Loop: Header=BB902_215 Depth=1
	v_bfe_u32 v46, v42, 16, 7
	v_cmp_ne_u32_e32 vcc, s23, v46
	v_mov_b32_e32 v60, 0x7f80
	s_and_saveexec_b64 s[18:19], vcc
	s_cbranch_execz .LBB902_543
; %bb.542:                              ;   in Loop: Header=BB902_215 Depth=1
	v_and_b32_e32 v62, 7, v44
	v_ffbh_u32_e32 v60, v62
	v_min_u32_e32 v64, 32, v60
	v_subrev_u32_e32 v60, 28, v64
	v_lshlrev_b64 v[60:61], v60, v[44:45]
	v_lshrrev_b32_e32 v63, 3, v46
	v_sub_u32_e32 v61, 29, v64
	v_and_b32_e32 v60, 7, v60
	v_cmp_gt_u32_e32 vcc, 8, v46
	v_cndmask_b32_e32 v46, v63, v61, vcc
	v_cndmask_b32_e32 v60, v62, v60, vcc
	v_lshlrev_b32_e32 v44, 24, v44
	v_lshlrev_b32_e32 v60, 20, v60
	v_and_b32_e32 v44, 0x80000000, v44
	v_lshl_add_u32 v46, v46, 23, v55
	v_or3_b32 v44, v44, v46, v60
	v_lshrrev_b32_e32 v60, 16, v44
.LBB902_543:                            ;   in Loop: Header=BB902_215 Depth=1
	s_or_b64 exec, exec, s[18:19]
.LBB902_544:                            ;   in Loop: Header=BB902_215 Depth=1
	s_or_b64 exec, exec, s[16:17]
.LBB902_545:                            ;   in Loop: Header=BB902_215 Depth=1
	s_or_b64 exec, exec, s[14:15]
	v_cmp_lt_u32_e32 vcc, s24, v42
	v_mov_b32_e32 v46, 0
	v_mov_b32_e32 v61, 0
	s_and_saveexec_b64 s[14:15], vcc
	s_cbranch_execz .LBB902_551
; %bb.546:                              ;   in Loop: Header=BB902_215 Depth=1
	v_lshrrev_b32_e32 v44, 24, v42
	v_cmp_ne_u32_e32 vcc, s9, v44
	v_mov_b32_e32 v61, 0xffff8000
	s_and_saveexec_b64 s[16:17], vcc
	s_cbranch_execz .LBB902_550
; %bb.547:                              ;   in Loop: Header=BB902_215 Depth=1
	v_bfe_u32 v42, v42, 24, 7
	v_cmp_ne_u32_e32 vcc, s23, v42
	v_mov_b32_e32 v61, 0x7f80
	s_and_saveexec_b64 s[18:19], vcc
	s_cbranch_execz .LBB902_549
; %bb.548:                              ;   in Loop: Header=BB902_215 Depth=1
	v_and_b32_e32 v61, 7, v44
	v_ffbh_u32_e32 v62, v61
	v_min_u32_e32 v65, 32, v62
	v_subrev_u32_e32 v62, 28, v65
	v_lshlrev_b64 v[62:63], v62, v[44:45]
	v_lshrrev_b32_e32 v64, 3, v42
	v_sub_u32_e32 v63, 29, v65
	v_and_b32_e32 v62, 7, v62
	v_cmp_gt_u32_e32 vcc, 8, v42
	v_cndmask_b32_e32 v42, v64, v63, vcc
	v_cndmask_b32_e32 v61, v61, v62, vcc
	v_lshlrev_b32_e32 v44, 24, v44
	v_lshlrev_b32_e32 v61, 20, v61
	v_and_b32_e32 v44, 0x80000000, v44
	v_lshl_add_u32 v42, v42, 23, v55
	v_or3_b32 v42, v44, v42, v61
	v_lshrrev_b32_e32 v61, 16, v42
.LBB902_549:                            ;   in Loop: Header=BB902_215 Depth=1
	s_or_b64 exec, exec, s[18:19]
.LBB902_550:                            ;   in Loop: Header=BB902_215 Depth=1
	s_or_b64 exec, exec, s[16:17]
.LBB902_551:                            ;   in Loop: Header=BB902_215 Depth=1
	s_or_b64 exec, exec, s[14:15]
	v_perm_b32 v63, v58, v56, s25
	v_perm_b32 v62, v50, v51, s25
	;; [unrolled: 1-line block ×4, first 2 shown]
	s_waitcnt vmcnt(1)
	v_cmp_ne_u16_sdwa s[16:17], v40, v54 src0_sel:BYTE_0 src1_sel:DWORD
	v_mfma_f32_16x16x16bf16_1k v[34:37], v[62:63], v[26:27], v[34:37]
	v_mfma_f32_16x16x16bf16_1k v[34:37], v[50:51], v[28:29], v[34:37]
	s_and_saveexec_b64 s[14:15], s[16:17]
	s_cbranch_execz .LBB902_557
; %bb.552:                              ;   in Loop: Header=BB902_215 Depth=1
	v_cmp_ne_u16_sdwa s[18:19], v40, s9 src0_sel:BYTE_0 src1_sel:DWORD
	v_mov_b32_e32 v46, 0xffff8000
	s_and_saveexec_b64 s[16:17], s[18:19]
	s_cbranch_execz .LBB902_556
; %bb.553:                              ;   in Loop: Header=BB902_215 Depth=1
	v_and_b32_e32 v42, 0x7f, v40
	v_cmp_ne_u32_e32 vcc, s23, v42
	v_mov_b32_e32 v46, 0x7f80
	s_and_saveexec_b64 s[18:19], vcc
	s_cbranch_execz .LBB902_555
; %bb.554:                              ;   in Loop: Header=BB902_215 Depth=1
	v_and_b32_e32 v44, 7, v40
	v_ffbh_u32_e32 v50, v44
	v_min_u32_e32 v56, 32, v50
	v_subrev_u32_e32 v50, 28, v56
	v_lshlrev_b64 v[50:51], v50, v[40:41]
	v_lshrrev_b32_e32 v46, 3, v42
	v_sub_u32_e32 v51, 29, v56
	v_and_b32_e32 v50, 7, v50
	v_cmp_gt_u32_e32 vcc, 8, v42
	v_cndmask_b32_e32 v42, v46, v51, vcc
	v_cndmask_b32_e32 v44, v44, v50, vcc
	v_lshlrev_b32_e32 v46, 24, v40
	v_lshlrev_b32_e32 v44, 20, v44
	v_and_b32_e32 v46, 0x80000000, v46
	v_lshl_add_u32 v42, v42, 23, v55
	v_or3_b32 v42, v46, v42, v44
	v_lshrrev_b32_e32 v46, 16, v42
.LBB902_555:                            ;   in Loop: Header=BB902_215 Depth=1
	s_or_b64 exec, exec, s[18:19]
.LBB902_556:                            ;   in Loop: Header=BB902_215 Depth=1
	s_or_b64 exec, exec, s[16:17]
.LBB902_557:                            ;   in Loop: Header=BB902_215 Depth=1
	s_or_b64 exec, exec, s[14:15]
	v_lshrrev_b16_e32 v42, 8, v40
	v_cmp_ne_u16_e32 vcc, 0, v42
	v_mov_b32_e32 v50, 0
	v_mov_b32_e32 v44, 0
	s_and_saveexec_b64 s[14:15], vcc
	s_cbranch_execz .LBB902_563
; %bb.558:                              ;   in Loop: Header=BB902_215 Depth=1
	v_cmp_ne_u16_e32 vcc, s9, v42
	v_mov_b32_e32 v44, 0xffff8000
	s_and_saveexec_b64 s[16:17], vcc
	s_cbranch_execz .LBB902_562
; %bb.559:                              ;   in Loop: Header=BB902_215 Depth=1
	v_and_b32_e32 v51, 0x7f, v42
	v_cmp_ne_u32_e32 vcc, s23, v51
	v_mov_b32_e32 v44, 0x7f80
	s_and_saveexec_b64 s[18:19], vcc
	s_cbranch_execz .LBB902_561
; %bb.560:                              ;   in Loop: Header=BB902_215 Depth=1
	v_and_b32_e32 v44, 7, v42
	v_ffbh_u32_e32 v56, v44
	v_min_u32_e32 v59, 32, v56
	v_subrev_u32_e32 v56, 28, v59
	v_lshlrev_b64 v[56:57], v56, v[42:43]
	v_lshrrev_b32_e32 v58, 3, v51
	v_sub_u32_e32 v42, 29, v59
	v_and_b32_e32 v56, 7, v56
	v_cmp_gt_u32_e32 vcc, 8, v51
	v_cndmask_b32_e32 v42, v58, v42, vcc
	v_cndmask_b32_e32 v44, v44, v56, vcc
	v_lshlrev_b32_e32 v51, 16, v40
	v_lshlrev_b32_e32 v44, 20, v44
	v_and_b32_e32 v51, 0x80000000, v51
	v_lshl_add_u32 v42, v42, 23, v55
	v_or3_b32 v42, v51, v42, v44
	v_lshrrev_b32_e32 v44, 16, v42
.LBB902_561:                            ;   in Loop: Header=BB902_215 Depth=1
	s_or_b64 exec, exec, s[18:19]
.LBB902_562:                            ;   in Loop: Header=BB902_215 Depth=1
	s_or_b64 exec, exec, s[16:17]
.LBB902_563:                            ;   in Loop: Header=BB902_215 Depth=1
	s_or_b64 exec, exec, s[14:15]
	v_lshrrev_b32_e32 v42, 16, v40
	v_cmp_ne_u16_sdwa s[16:17], v42, v54 src0_sel:BYTE_0 src1_sel:DWORD
	s_and_saveexec_b64 s[14:15], s[16:17]
	s_cbranch_execz .LBB902_569
; %bb.564:                              ;   in Loop: Header=BB902_215 Depth=1
	v_cmp_ne_u16_sdwa s[18:19], v42, s9 src0_sel:BYTE_0 src1_sel:DWORD
	v_mov_b32_e32 v50, 0xffff8000
	s_and_saveexec_b64 s[16:17], s[18:19]
	s_cbranch_execz .LBB902_568
; %bb.565:                              ;   in Loop: Header=BB902_215 Depth=1
	v_bfe_u32 v51, v40, 16, 7
	v_cmp_ne_u32_e32 vcc, s23, v51
	v_mov_b32_e32 v50, 0x7f80
	s_and_saveexec_b64 s[18:19], vcc
	s_cbranch_execz .LBB902_567
; %bb.566:                              ;   in Loop: Header=BB902_215 Depth=1
	v_and_b32_e32 v50, 7, v42
	v_ffbh_u32_e32 v56, v50
	v_min_u32_e32 v59, 32, v56
	v_subrev_u32_e32 v56, 28, v59
	v_lshlrev_b64 v[56:57], v56, v[42:43]
	v_lshrrev_b32_e32 v58, 3, v51
	v_sub_u32_e32 v57, 29, v59
	v_and_b32_e32 v56, 7, v56
	v_cmp_gt_u32_e32 vcc, 8, v51
	v_cndmask_b32_e32 v51, v58, v57, vcc
	v_cndmask_b32_e32 v50, v50, v56, vcc
	v_lshlrev_b32_e32 v42, 24, v42
	v_lshlrev_b32_e32 v50, 20, v50
	v_and_b32_e32 v42, 0x80000000, v42
	v_lshl_add_u32 v51, v51, 23, v55
	v_or3_b32 v42, v42, v51, v50
	v_lshrrev_b32_e32 v50, 16, v42
.LBB902_567:                            ;   in Loop: Header=BB902_215 Depth=1
	s_or_b64 exec, exec, s[18:19]
.LBB902_568:                            ;   in Loop: Header=BB902_215 Depth=1
	s_or_b64 exec, exec, s[16:17]
.LBB902_569:                            ;   in Loop: Header=BB902_215 Depth=1
	s_or_b64 exec, exec, s[14:15]
	v_cmp_lt_u32_e32 vcc, s24, v40
	v_mov_b32_e32 v51, 0
	v_mov_b32_e32 v56, 0
	s_and_saveexec_b64 s[14:15], vcc
	s_cbranch_execz .LBB902_575
; %bb.570:                              ;   in Loop: Header=BB902_215 Depth=1
	v_lshrrev_b32_e32 v42, 24, v40
	v_cmp_ne_u32_e32 vcc, s9, v42
	v_mov_b32_e32 v56, 0xffff8000
	s_and_saveexec_b64 s[16:17], vcc
	s_cbranch_execz .LBB902_574
; %bb.571:                              ;   in Loop: Header=BB902_215 Depth=1
	v_bfe_u32 v40, v40, 24, 7
	v_cmp_ne_u32_e32 vcc, s23, v40
	v_mov_b32_e32 v56, 0x7f80
	s_and_saveexec_b64 s[18:19], vcc
	s_cbranch_execz .LBB902_573
; %bb.572:                              ;   in Loop: Header=BB902_215 Depth=1
	v_and_b32_e32 v58, 7, v42
	v_ffbh_u32_e32 v56, v58
	v_min_u32_e32 v60, 32, v56
	v_subrev_u32_e32 v56, 28, v60
	v_lshlrev_b64 v[56:57], v56, v[42:43]
	v_lshrrev_b32_e32 v59, 3, v40
	v_sub_u32_e32 v57, 29, v60
	v_and_b32_e32 v56, 7, v56
	v_cmp_gt_u32_e32 vcc, 8, v40
	v_cndmask_b32_e32 v40, v59, v57, vcc
	v_cndmask_b32_e32 v56, v58, v56, vcc
	v_lshlrev_b32_e32 v42, 24, v42
	v_lshlrev_b32_e32 v56, 20, v56
	v_and_b32_e32 v42, 0x80000000, v42
	v_lshl_add_u32 v40, v40, 23, v55
	v_or3_b32 v40, v42, v40, v56
	v_lshrrev_b32_e32 v56, 16, v40
.LBB902_573:                            ;   in Loop: Header=BB902_215 Depth=1
	s_or_b64 exec, exec, s[18:19]
.LBB902_574:                            ;   in Loop: Header=BB902_215 Depth=1
	s_or_b64 exec, exec, s[16:17]
.LBB902_575:                            ;   in Loop: Header=BB902_215 Depth=1
	s_or_b64 exec, exec, s[14:15]
	s_waitcnt vmcnt(0)
	v_cmp_ne_u16_sdwa s[16:17], v38, v54 src0_sel:BYTE_0 src1_sel:DWORD
	s_and_saveexec_b64 s[14:15], s[16:17]
	s_cbranch_execz .LBB902_581
; %bb.576:                              ;   in Loop: Header=BB902_215 Depth=1
	v_cmp_ne_u16_sdwa s[18:19], v38, s9 src0_sel:BYTE_0 src1_sel:DWORD
	v_mov_b32_e32 v51, 0xffff8000
	s_and_saveexec_b64 s[16:17], s[18:19]
	s_cbranch_execz .LBB902_580
; %bb.577:                              ;   in Loop: Header=BB902_215 Depth=1
	v_and_b32_e32 v40, 0x7f, v38
	v_cmp_ne_u32_e32 vcc, s23, v40
	v_mov_b32_e32 v51, 0x7f80
	s_and_saveexec_b64 s[18:19], vcc
	s_cbranch_execz .LBB902_579
; %bb.578:                              ;   in Loop: Header=BB902_215 Depth=1
	v_and_b32_e32 v42, 7, v38
	v_ffbh_u32_e32 v57, v42
	v_min_u32_e32 v57, 32, v57
	v_subrev_u32_e32 v58, 28, v57
	v_lshlrev_b64 v[58:59], v58, v[38:39]
	v_lshrrev_b32_e32 v51, 3, v40
	v_sub_u32_e32 v57, 29, v57
	v_and_b32_e32 v58, 7, v58
	v_cmp_gt_u32_e32 vcc, 8, v40
	v_cndmask_b32_e32 v40, v51, v57, vcc
	v_cndmask_b32_e32 v42, v42, v58, vcc
	v_lshlrev_b32_e32 v51, 24, v38
	v_lshlrev_b32_e32 v42, 20, v42
	v_and_b32_e32 v51, 0x80000000, v51
	v_lshl_add_u32 v40, v40, 23, v55
	v_or3_b32 v40, v51, v40, v42
	v_lshrrev_b32_e32 v51, 16, v40
.LBB902_579:                            ;   in Loop: Header=BB902_215 Depth=1
	s_or_b64 exec, exec, s[18:19]
.LBB902_580:                            ;   in Loop: Header=BB902_215 Depth=1
	s_or_b64 exec, exec, s[16:17]
.LBB902_581:                            ;   in Loop: Header=BB902_215 Depth=1
	s_or_b64 exec, exec, s[14:15]
	v_lshrrev_b16_e32 v40, 8, v38
	v_cmp_ne_u16_e32 vcc, 0, v40
	v_mov_b32_e32 v57, 0
	v_mov_b32_e32 v42, 0
	s_and_saveexec_b64 s[14:15], vcc
	s_cbranch_execz .LBB902_587
; %bb.582:                              ;   in Loop: Header=BB902_215 Depth=1
	v_cmp_ne_u16_e32 vcc, s9, v40
	v_mov_b32_e32 v42, 0xffff8000
	s_and_saveexec_b64 s[16:17], vcc
	s_cbranch_execz .LBB902_586
; %bb.583:                              ;   in Loop: Header=BB902_215 Depth=1
	v_and_b32_e32 v58, 0x7f, v40
	v_cmp_ne_u32_e32 vcc, s23, v58
	v_mov_b32_e32 v42, 0x7f80
	s_and_saveexec_b64 s[18:19], vcc
	s_cbranch_execz .LBB902_585
; %bb.584:                              ;   in Loop: Header=BB902_215 Depth=1
	v_and_b32_e32 v42, 7, v40
	v_ffbh_u32_e32 v60, v42
	v_min_u32_e32 v62, 32, v60
	v_subrev_u32_e32 v60, 28, v62
	v_lshlrev_b64 v[60:61], v60, v[40:41]
	v_lshrrev_b32_e32 v59, 3, v58
	v_sub_u32_e32 v40, 29, v62
	v_and_b32_e32 v60, 7, v60
	v_cmp_gt_u32_e32 vcc, 8, v58
	v_cndmask_b32_e32 v40, v59, v40, vcc
	v_cndmask_b32_e32 v42, v42, v60, vcc
	v_lshlrev_b32_e32 v58, 16, v38
	v_lshlrev_b32_e32 v42, 20, v42
	v_and_b32_e32 v58, 0x80000000, v58
	v_lshl_add_u32 v40, v40, 23, v55
	v_or3_b32 v40, v58, v40, v42
	v_lshrrev_b32_e32 v42, 16, v40
.LBB902_585:                            ;   in Loop: Header=BB902_215 Depth=1
	s_or_b64 exec, exec, s[18:19]
.LBB902_586:                            ;   in Loop: Header=BB902_215 Depth=1
	s_or_b64 exec, exec, s[16:17]
.LBB902_587:                            ;   in Loop: Header=BB902_215 Depth=1
	s_or_b64 exec, exec, s[14:15]
	v_lshrrev_b32_e32 v40, 16, v38
	v_cmp_ne_u16_sdwa s[16:17], v40, v54 src0_sel:BYTE_0 src1_sel:DWORD
	s_and_saveexec_b64 s[14:15], s[16:17]
	s_cbranch_execz .LBB902_593
; %bb.588:                              ;   in Loop: Header=BB902_215 Depth=1
	v_cmp_ne_u16_sdwa s[18:19], v40, s9 src0_sel:BYTE_0 src1_sel:DWORD
	v_mov_b32_e32 v57, 0xffff8000
	s_and_saveexec_b64 s[16:17], s[18:19]
	s_cbranch_execz .LBB902_592
; %bb.589:                              ;   in Loop: Header=BB902_215 Depth=1
	v_bfe_u32 v58, v38, 16, 7
	v_cmp_ne_u32_e32 vcc, s23, v58
	v_mov_b32_e32 v57, 0x7f80
	s_and_saveexec_b64 s[18:19], vcc
	s_cbranch_execz .LBB902_591
; %bb.590:                              ;   in Loop: Header=BB902_215 Depth=1
	v_and_b32_e32 v57, 7, v40
	v_ffbh_u32_e32 v60, v57
	v_min_u32_e32 v62, 32, v60
	v_subrev_u32_e32 v60, 28, v62
	v_lshlrev_b64 v[60:61], v60, v[40:41]
	v_lshrrev_b32_e32 v59, 3, v58
	v_sub_u32_e32 v61, 29, v62
	v_and_b32_e32 v60, 7, v60
	v_cmp_gt_u32_e32 vcc, 8, v58
	v_cndmask_b32_e32 v58, v59, v61, vcc
	v_cndmask_b32_e32 v57, v57, v60, vcc
	v_lshlrev_b32_e32 v40, 24, v40
	v_lshlrev_b32_e32 v57, 20, v57
	v_and_b32_e32 v40, 0x80000000, v40
	v_lshl_add_u32 v58, v58, 23, v55
	v_or3_b32 v40, v40, v58, v57
	v_lshrrev_b32_e32 v57, 16, v40
.LBB902_591:                            ;   in Loop: Header=BB902_215 Depth=1
	s_or_b64 exec, exec, s[18:19]
.LBB902_592:                            ;   in Loop: Header=BB902_215 Depth=1
	s_or_b64 exec, exec, s[16:17]
.LBB902_593:                            ;   in Loop: Header=BB902_215 Depth=1
	s_or_b64 exec, exec, s[14:15]
	v_cmp_lt_u32_e32 vcc, s24, v38
	v_mov_b32_e32 v58, 0
	s_and_saveexec_b64 s[14:15], vcc
	s_cbranch_execz .LBB902_214
; %bb.594:                              ;   in Loop: Header=BB902_215 Depth=1
	v_lshrrev_b32_e32 v40, 24, v38
	v_cmp_ne_u32_e32 vcc, s9, v40
	v_mov_b32_e32 v58, 0xffff8000
	s_and_saveexec_b64 s[16:17], vcc
	s_cbranch_execz .LBB902_213
; %bb.595:                              ;   in Loop: Header=BB902_215 Depth=1
	v_bfe_u32 v38, v38, 24, 7
	v_cmp_ne_u32_e32 vcc, s23, v38
	v_mov_b32_e32 v58, 0x7f80
	s_and_saveexec_b64 s[18:19], vcc
	s_cbranch_execz .LBB902_212
; %bb.596:                              ;   in Loop: Header=BB902_215 Depth=1
	v_and_b32_e32 v60, 7, v40
	v_ffbh_u32_e32 v58, v60
	v_min_u32_e32 v62, 32, v58
	v_subrev_u32_e32 v58, 28, v62
	v_lshlrev_b64 v[58:59], v58, v[40:41]
	v_lshrrev_b32_e32 v61, 3, v38
	v_sub_u32_e32 v59, 29, v62
	v_and_b32_e32 v58, 7, v58
	v_cmp_gt_u32_e32 vcc, 8, v38
	v_cndmask_b32_e32 v38, v61, v59, vcc
	v_cndmask_b32_e32 v58, v60, v58, vcc
	v_lshlrev_b32_e32 v40, 24, v40
	v_lshlrev_b32_e32 v58, 20, v58
	v_and_b32_e32 v40, 0x80000000, v40
	v_lshl_add_u32 v38, v38, 23, v55
	v_or3_b32 v38, v40, v38, v58
	v_lshrrev_b32_e32 v58, 16, v38
	s_branch .LBB902_212
.LBB902_597:
	s_barrier
	buffer_load_dword v2, off, s[0:3], 0 offset:320
	buffer_load_dword v5, off, s[0:3], 0 offset:332
	;; [unrolled: 1-line block ×4, first 2 shown]
	v_cmp_gt_u32_e32 vcc, 64, v0
	s_waitcnt vmcnt(0)
	ds_write2st64_b64 v52, v[2:3], v[4:5] offset1:1
	s_waitcnt lgkmcnt(0)
	s_barrier
	s_and_saveexec_b64 s[6:7], vcc
	s_cbranch_execz .LBB902_600
; %bb.598:
	s_lshl_b32 s6, s48, 7
	s_mul_i32 s7, s20, s8
	s_mul_hi_u32 s11, s7, s6
	s_mul_i32 s10, s7, s6
	s_lshl_b64 s[10:11], s[10:11], 1
	v_lshlrev_b32_e32 v4, 6, v41
	s_add_u32 s7, s50, s10
	v_lshl_or_b32 v0, v0, 10, v4
	s_mov_b32 s9, 0
	s_addc_u32 s10, s51, s11
	s_lshl_b32 s8, s26, 7
	v_lshlrev_b32_e32 v2, 5, v1
	v_and_b32_e32 v3, 16, v43
	v_and_b32_e32 v0, 0x1a00, v0
	s_lshl_b64 s[8:9], s[8:9], 1
	v_or3_b32 v0, v0, v2, v3
	s_add_u32 s7, s7, s8
	s_addc_u32 s8, s10, s9
	ds_read_b128 v[4:7], v0 offset:128
	ds_read_b128 v[8:11], v0
	v_add_u32_e32 v14, s27, v1
	v_mov_b32_e32 v3, s8
	v_add_co_u32_e32 v2, vcc, s7, v39
	v_mad_u64_u32 v[12:13], s[8:9], v14, s6, 0
	v_addc_co_u32_e32 v3, vcc, 0, v3, vcc
	v_lshlrev_b64 v[12:13], 1, v[12:13]
	v_add_co_u32_e32 v12, vcc, v2, v12
	v_addc_co_u32_e32 v13, vcc, v3, v13, vcc
	s_waitcnt lgkmcnt(0)
	global_store_dwordx4 v[12:13], v[8:11], off
	s_nop 0
	v_add_u32_e32 v8, 4, v14
	v_mad_u64_u32 v[8:9], s[8:9], v8, s6, 0
	v_lshlrev_b64 v[8:9], 1, v[8:9]
	v_add_co_u32_e32 v8, vcc, v2, v8
	v_addc_co_u32_e32 v9, vcc, v3, v9, vcc
	global_store_dwordx4 v[8:9], v[4:7], off
	s_and_b64 exec, exec, s[4:5]
	s_cbranch_execz .LBB902_600
; %bb.599:
	ds_read_b128 v[4:7], v0 offset:256
	v_add3_u32 v0, s27, v1, 8
	v_mad_u64_u32 v[0:1], s[4:5], v0, s6, 0
	v_lshlrev_b64 v[0:1], 1, v[0:1]
	v_add_co_u32_e32 v0, vcc, v2, v0
	v_addc_co_u32_e32 v1, vcc, v3, v1, vcc
	s_waitcnt lgkmcnt(0)
	global_store_dwordx4 v[0:1], v[4:7], off
.LBB902_600:
	s_endpgm
	.section	.rodata,"a",@progbits
	.p2align	6, 0x0
	.amdhsa_kernel _Z39paged_attention_ll4mi_QKV_mfma16_kernelI14__hip_bfloat16hLN4vllm18Fp8KVCacheDataTypeE1ES0_Li16ELi128ELi256ELb1ELi9EL8MFMAType0EEvPKT_PKT0_S9_ifPKiSB_SB_iPKfiiiPfSE_PS4_PT2_iSD_SD_
		.amdhsa_group_segment_fixed_size 8192
		.amdhsa_private_segment_fixed_size 352
		.amdhsa_kernarg_size 400
		.amdhsa_user_sgpr_count 8
		.amdhsa_user_sgpr_private_segment_buffer 1
		.amdhsa_user_sgpr_dispatch_ptr 0
		.amdhsa_user_sgpr_queue_ptr 0
		.amdhsa_user_sgpr_kernarg_segment_ptr 1
		.amdhsa_user_sgpr_dispatch_id 0
		.amdhsa_user_sgpr_flat_scratch_init 1
		.amdhsa_user_sgpr_kernarg_preload_length 0
		.amdhsa_user_sgpr_kernarg_preload_offset 0
		.amdhsa_user_sgpr_private_segment_size 0
		.amdhsa_uses_dynamic_stack 0
		.amdhsa_system_sgpr_private_segment_wavefront_offset 1
		.amdhsa_system_sgpr_workgroup_id_x 1
		.amdhsa_system_sgpr_workgroup_id_y 1
		.amdhsa_system_sgpr_workgroup_id_z 1
		.amdhsa_system_sgpr_workgroup_info 0
		.amdhsa_system_vgpr_workitem_id 0
		.amdhsa_next_free_vgpr 80
		.amdhsa_next_free_sgpr 53
		.amdhsa_accum_offset 80
		.amdhsa_reserve_vcc 1
		.amdhsa_reserve_flat_scratch 0
		.amdhsa_float_round_mode_32 0
		.amdhsa_float_round_mode_16_64 0
		.amdhsa_float_denorm_mode_32 3
		.amdhsa_float_denorm_mode_16_64 3
		.amdhsa_dx10_clamp 1
		.amdhsa_ieee_mode 1
		.amdhsa_fp16_overflow 0
		.amdhsa_tg_split 0
		.amdhsa_exception_fp_ieee_invalid_op 0
		.amdhsa_exception_fp_denorm_src 0
		.amdhsa_exception_fp_ieee_div_zero 0
		.amdhsa_exception_fp_ieee_overflow 0
		.amdhsa_exception_fp_ieee_underflow 0
		.amdhsa_exception_fp_ieee_inexact 0
		.amdhsa_exception_int_div_zero 0
	.end_amdhsa_kernel
	.section	.text._Z39paged_attention_ll4mi_QKV_mfma16_kernelI14__hip_bfloat16hLN4vllm18Fp8KVCacheDataTypeE1ES0_Li16ELi128ELi256ELb1ELi9EL8MFMAType0EEvPKT_PKT0_S9_ifPKiSB_SB_iPKfiiiPfSE_PS4_PT2_iSD_SD_,"axG",@progbits,_Z39paged_attention_ll4mi_QKV_mfma16_kernelI14__hip_bfloat16hLN4vllm18Fp8KVCacheDataTypeE1ES0_Li16ELi128ELi256ELb1ELi9EL8MFMAType0EEvPKT_PKT0_S9_ifPKiSB_SB_iPKfiiiPfSE_PS4_PT2_iSD_SD_,comdat
.Lfunc_end902:
	.size	_Z39paged_attention_ll4mi_QKV_mfma16_kernelI14__hip_bfloat16hLN4vllm18Fp8KVCacheDataTypeE1ES0_Li16ELi128ELi256ELb1ELi9EL8MFMAType0EEvPKT_PKT0_S9_ifPKiSB_SB_iPKfiiiPfSE_PS4_PT2_iSD_SD_, .Lfunc_end902-_Z39paged_attention_ll4mi_QKV_mfma16_kernelI14__hip_bfloat16hLN4vllm18Fp8KVCacheDataTypeE1ES0_Li16ELi128ELi256ELb1ELi9EL8MFMAType0EEvPKT_PKT0_S9_ifPKiSB_SB_iPKfiiiPfSE_PS4_PT2_iSD_SD_
                                        ; -- End function
	.section	.AMDGPU.csdata,"",@progbits
; Kernel info:
; codeLenInByte = 22492
; NumSgprs: 57
; NumVgprs: 80
; NumAgprs: 0
; TotalNumVgprs: 80
; ScratchSize: 352
; MemoryBound: 0
; FloatMode: 240
; IeeeMode: 1
; LDSByteSize: 8192 bytes/workgroup (compile time only)
; SGPRBlocks: 7
; VGPRBlocks: 9
; NumSGPRsForWavesPerEU: 57
; NumVGPRsForWavesPerEU: 80
; AccumOffset: 80
; Occupancy: 6
; WaveLimiterHint : 1
; COMPUTE_PGM_RSRC2:SCRATCH_EN: 1
; COMPUTE_PGM_RSRC2:USER_SGPR: 8
; COMPUTE_PGM_RSRC2:TRAP_HANDLER: 0
; COMPUTE_PGM_RSRC2:TGID_X_EN: 1
; COMPUTE_PGM_RSRC2:TGID_Y_EN: 1
; COMPUTE_PGM_RSRC2:TGID_Z_EN: 1
; COMPUTE_PGM_RSRC2:TIDIG_COMP_CNT: 0
; COMPUTE_PGM_RSRC3_GFX90A:ACCUM_OFFSET: 19
; COMPUTE_PGM_RSRC3_GFX90A:TG_SPLIT: 0
	.section	.text._Z39paged_attention_ll4mi_QKV_mfma16_kernelI14__hip_bfloat16hLN4vllm18Fp8KVCacheDataTypeE1ES0_Li16ELi128ELi256ELb1ELi10EL8MFMAType0EEvPKT_PKT0_S9_ifPKiSB_SB_iPKfiiiPfSE_PS4_PT2_iSD_SD_,"axG",@progbits,_Z39paged_attention_ll4mi_QKV_mfma16_kernelI14__hip_bfloat16hLN4vllm18Fp8KVCacheDataTypeE1ES0_Li16ELi128ELi256ELb1ELi10EL8MFMAType0EEvPKT_PKT0_S9_ifPKiSB_SB_iPKfiiiPfSE_PS4_PT2_iSD_SD_,comdat
	.protected	_Z39paged_attention_ll4mi_QKV_mfma16_kernelI14__hip_bfloat16hLN4vllm18Fp8KVCacheDataTypeE1ES0_Li16ELi128ELi256ELb1ELi10EL8MFMAType0EEvPKT_PKT0_S9_ifPKiSB_SB_iPKfiiiPfSE_PS4_PT2_iSD_SD_ ; -- Begin function _Z39paged_attention_ll4mi_QKV_mfma16_kernelI14__hip_bfloat16hLN4vllm18Fp8KVCacheDataTypeE1ES0_Li16ELi128ELi256ELb1ELi10EL8MFMAType0EEvPKT_PKT0_S9_ifPKiSB_SB_iPKfiiiPfSE_PS4_PT2_iSD_SD_
	.globl	_Z39paged_attention_ll4mi_QKV_mfma16_kernelI14__hip_bfloat16hLN4vllm18Fp8KVCacheDataTypeE1ES0_Li16ELi128ELi256ELb1ELi10EL8MFMAType0EEvPKT_PKT0_S9_ifPKiSB_SB_iPKfiiiPfSE_PS4_PT2_iSD_SD_
	.p2align	8
	.type	_Z39paged_attention_ll4mi_QKV_mfma16_kernelI14__hip_bfloat16hLN4vllm18Fp8KVCacheDataTypeE1ES0_Li16ELi128ELi256ELb1ELi10EL8MFMAType0EEvPKT_PKT0_S9_ifPKiSB_SB_iPKfiiiPfSE_PS4_PT2_iSD_SD_,@function
_Z39paged_attention_ll4mi_QKV_mfma16_kernelI14__hip_bfloat16hLN4vllm18Fp8KVCacheDataTypeE1ES0_Li16ELi128ELi256ELb1ELi10EL8MFMAType0EEvPKT_PKT0_S9_ifPKiSB_SB_iPKfiiiPfSE_PS4_PT2_iSD_SD_: ; @_Z39paged_attention_ll4mi_QKV_mfma16_kernelI14__hip_bfloat16hLN4vllm18Fp8KVCacheDataTypeE1ES0_Li16ELi128ELi256ELb1ELi10EL8MFMAType0EEvPKT_PKT0_S9_ifPKiSB_SB_iPKfiiiPfSE_PS4_PT2_iSD_SD_
; %bb.0:
	s_load_dwordx2 s[6:7], s[4:5], 0x30
	s_add_u32 s0, s0, s11
	s_addc_u32 s1, s1, 0
	s_mov_b32 s26, s9
	s_mov_b64 s[14:15], 0
	s_waitcnt lgkmcnt(0)
	s_cmp_lg_u64 s[6:7], 0
	s_cselect_b64 s[12:13], -1, 0
	s_and_b64 vcc, exec, s[12:13]
	s_cbranch_vccz .LBB903_7
; %bb.1:
	s_add_i32 s16, s8, 1
	s_mov_b32 s17, 0
	s_lshl_b64 s[18:19], s[16:17], 2
	s_add_u32 s18, s6, s18
	s_mov_b32 s9, s17
	s_addc_u32 s19, s7, s19
	s_lshl_b64 s[16:17], s[8:9], 2
	s_add_u32 s16, s6, s16
	s_addc_u32 s17, s7, s17
	s_load_dword s11, s[18:19], 0x0
	s_load_dword s20, s[16:17], 0x0
	s_waitcnt lgkmcnt(0)
	s_sub_i32 s11, s11, s20
	s_cmp_eq_u32 s11, 1
	s_cselect_b64 s[16:17], -1, 0
	s_andn2_b64 vcc, exec, s[14:15]
	s_cbranch_vccnz .LBB903_3
.LBB903_2:
	s_mov_b32 s9, 0
	s_mov_b64 s[16:17], -1
.LBB903_3:
	s_andn2_b64 vcc, exec, s[16:17]
	s_cbranch_vccnz .LBB903_600
; %bb.4:
	s_load_dwordx2 s[16:17], s[4:5], 0x28
	s_lshl_b64 s[14:15], s[8:9], 2
	s_waitcnt lgkmcnt(0)
	s_add_u32 s16, s16, s14
	s_addc_u32 s17, s17, s15
	s_load_dword s33, s[16:17], 0x0
	s_lshl_b32 s20, s26, 8
	s_waitcnt lgkmcnt(0)
	s_cmp_ge_i32 s20, s33
	s_cbranch_scc1 .LBB903_600
; %bb.5:
	s_add_i32 s18, s33, 15
	s_load_dwordx2 s[16:17], s[4:5], 0x20
	s_load_dword s11, s[4:5], 0x38
	s_ashr_i32 s19, s18, 31
	v_and_b32_e32 v1, 0xcf, v0
	s_lshr_b32 s19, s19, 28
	v_add_u32_e32 v1, s20, v1
	s_add_i32 s18, s18, s19
	v_ashrrev_i32_e32 v2, 31, v1
	s_ashr_i32 s23, s18, 4
	v_lshrrev_b32_e32 v4, 28, v2
	s_add_i32 s23, s23, -1
	v_add_u32_e32 v2, v1, v4
	s_waitcnt lgkmcnt(0)
	s_mul_i32 s18, s8, s11
	s_mov_b32 s19, 0
	v_ashrrev_i32_e32 v2, 4, v2
	v_mov_b32_e32 v5, s23
	v_cmp_gt_i32_e32 vcc, s33, v1
	s_lshl_b64 s[18:19], s[18:19], 2
	v_cndmask_b32_e32 v2, v5, v2, vcc
	s_add_u32 s21, s16, s18
	v_ashrrev_i32_e32 v3, 31, v2
	s_addc_u32 s22, s17, s19
	v_lshlrev_b64 v[2:3], 2, v[2:3]
	v_mov_b32_e32 v7, s22
	v_add_co_u32_e32 v6, vcc, s21, v2
	v_or_b32_e32 v2, 16, v1
	v_addc_co_u32_e32 v7, vcc, v7, v3, vcc
	v_add_u32_e32 v3, v2, v4
	v_ashrrev_i32_e32 v3, 4, v3
	v_cmp_gt_i32_e32 vcc, s33, v2
	v_cndmask_b32_e32 v2, v5, v3, vcc
	v_ashrrev_i32_e32 v3, 31, v2
	v_lshlrev_b64 v[2:3], 2, v[2:3]
	v_mov_b32_e32 v9, s22
	v_add_co_u32_e32 v8, vcc, s21, v2
	v_or_b32_e32 v2, 32, v1
	v_addc_co_u32_e32 v9, vcc, v9, v3, vcc
	v_add_u32_e32 v3, v2, v4
	v_ashrrev_i32_e32 v3, 4, v3
	v_cmp_gt_i32_e32 vcc, s33, v2
	v_cndmask_b32_e32 v2, v5, v3, vcc
	v_ashrrev_i32_e32 v3, 31, v2
	;; [unrolled: 10-line block ×3, first 2 shown]
	v_lshlrev_b64 v[2:3], 2, v[2:3]
	v_mov_b32_e32 v1, s22
	v_add_co_u32_e32 v12, vcc, s21, v2
	v_addc_co_u32_e32 v13, vcc, v1, v3, vcc
	global_load_dword v5, v[6:7], off
	global_load_dword v4, v[8:9], off
	global_load_dword v3, v[10:11], off
	global_load_dword v2, v[12:13], off
	s_load_dwordx2 s[16:17], s[4:5], 0x8
	s_andn2_b64 vcc, exec, s[12:13]
	s_cbranch_vccnz .LBB903_8
; %bb.6:
	s_add_u32 s6, s6, s14
	s_addc_u32 s7, s7, s15
	s_load_dword s11, s[6:7], 0x0
	s_branch .LBB903_9
.LBB903_7:
	s_mov_b64 s[16:17], 0
	s_branch .LBB903_2
.LBB903_8:
	s_mov_b32 s11, s8
.LBB903_9:
	s_load_dwordx2 s[6:7], s[4:5], 0x10
	s_load_dwordx4 s[12:15], s[4:5], 0x48
	v_lshrrev_b32_e32 v27, 6, v0
	v_bfe_u32 v1, v0, 4, 2
	v_and_b32_e32 v41, 15, v0
	v_lshl_or_b32 v6, v27, 2, v1
	v_lshlrev_b32_e32 v7, 3, v41
	s_mul_i32 s27, s10, 10
	v_cmp_gt_u32_e32 vcc, 10, v6
	v_lshlrev_b32_e32 v39, 1, v7
	v_lshlrev_b32_e32 v43, 4, v0
	s_and_saveexec_b64 s[18:19], vcc
	s_cbranch_execz .LBB903_11
; %bb.10:
	s_load_dwordx2 s[24:25], s[4:5], 0x0
	s_waitcnt lgkmcnt(0)
	s_ashr_i32 s15, s12, 31
	s_mul_hi_u32 s28, s11, s12
	s_mul_i32 s15, s11, s15
	s_add_i32 s29, s28, s15
	s_mul_i32 s28, s11, s12
	s_lshl_b64 s[28:29], s[28:29], 1
	v_add_lshl_u32 v8, v6, s27, 7
	s_add_u32 s11, s24, s28
	v_ashrrev_i32_e32 v9, 31, v8
	s_addc_u32 s12, s25, s29
	v_lshlrev_b64 v[8:9], 1, v[8:9]
	v_mov_b32_e32 v7, s12
	v_add_co_u32_e32 v8, vcc, s11, v8
	v_addc_co_u32_e32 v7, vcc, v7, v9, vcc
	v_add_co_u32_e32 v8, vcc, v8, v39
	v_addc_co_u32_e32 v9, vcc, 0, v7, vcc
	global_load_dwordx4 v[8:11], v[8:9], off
	v_lshlrev_b32_e32 v12, 8, v0
	v_lshlrev_b32_e32 v7, 8, v41
	v_and_b32_e32 v12, 0x600, v12
	s_movk_i32 s11, 0x800
	v_and_or_b32 v7, v7, s11, v12
	v_lshlrev_b32_e32 v6, 5, v6
	v_and_b32_e32 v12, 16, v43
	v_or3_b32 v6, v7, v6, v12
	s_waitcnt vmcnt(0)
	ds_write_b128 v6, v[8:11]
.LBB903_11:
	s_or_b64 exec, exec, s[18:19]
	s_waitcnt lgkmcnt(0)
	s_mul_i32 s14, s10, s14
	s_add_u32 s10, s16, s14
	s_addc_u32 s11, s17, 0
	v_and_b32_e32 v6, 0xf0, v43
	v_mov_b32_e32 v7, s11
	v_add_co_u32_e32 v6, vcc, s10, v6
	v_and_b32_e32 v18, 48, v0
	v_addc_co_u32_e32 v7, vcc, 0, v7, vcc
	v_lshlrev_b32_e32 v10, 4, v18
	s_waitcnt vmcnt(3)
	v_mad_i64_i32 v[8:9], s[10:11], v5, s13, v[6:7]
	v_add_co_u32_e32 v8, vcc, v8, v10
	v_addc_co_u32_e32 v9, vcc, 0, v9, vcc
	s_waitcnt vmcnt(2)
	v_mad_i64_i32 v[4:5], s[10:11], v4, s13, v[6:7]
	v_add_co_u32_e32 v4, vcc, v4, v10
	v_addc_co_u32_e32 v5, vcc, 0, v5, vcc
	s_load_dwordx2 s[48:49], s[4:5], 0x94
	s_waitcnt lgkmcnt(0)
	s_barrier
	global_load_dwordx4 v[20:23], v[8:9], off
	global_load_dwordx4 v[28:31], v[8:9], off offset:1024
	global_load_dwordx4 v[32:35], v[4:5], off
	global_load_dwordx4 v[44:47], v[4:5], off offset:1024
	s_waitcnt vmcnt(5)
	v_mad_i64_i32 v[4:5], s[10:11], v3, s13, v[6:7]
	v_add_co_u32_e32 v4, vcc, v4, v10
	v_addc_co_u32_e32 v5, vcc, 0, v5, vcc
	s_waitcnt vmcnt(4)
	v_mad_i64_i32 v[2:3], s[10:11], v2, s13, v[6:7]
	v_add_co_u32_e32 v2, vcc, v2, v10
	v_addc_co_u32_e32 v3, vcc, 0, v3, vcc
	global_load_dwordx4 v[48:51], v[4:5], off
	global_load_dwordx4 v[52:55], v[4:5], off offset:1024
	global_load_dwordx4 v[56:59], v[2:3], off
	global_load_dwordx4 v[60:63], v[2:3], off offset:1024
	v_add_u32_e32 v2, -10, v41
	v_cmp_gt_u32_e32 vcc, 10, v41
	v_cndmask_b32_e32 v2, v2, v41, vcc
	v_lshlrev_b32_e32 v2, 5, v2
	v_lshl_add_u32 v14, v1, 9, v2
	s_load_dwordx2 s[50:51], s[4:5], 0x68
	s_load_dwordx4 s[44:47], s[4:5], 0x58
	ds_read_b128 v[2:5], v14
	ds_read_b128 v[6:9], v14 offset:16
	ds_read_b128 v[10:13], v14 offset:2048
	;; [unrolled: 1-line block ×3, first 2 shown]
	s_mov_b32 s12, 0
	s_waitcnt vmcnt(7)
	buffer_store_dword v23, off, s[0:3], 0 offset:12
	buffer_store_dword v22, off, s[0:3], 0 offset:8
	;; [unrolled: 1-line block ×3, first 2 shown]
	buffer_store_dword v20, off, s[0:3], 0
	s_waitcnt vmcnt(10)
	buffer_store_dword v31, off, s[0:3], 0 offset:28
	buffer_store_dword v30, off, s[0:3], 0 offset:24
	buffer_store_dword v29, off, s[0:3], 0 offset:20
	buffer_store_dword v28, off, s[0:3], 0 offset:16
	s_waitcnt vmcnt(13)
	buffer_store_dword v35, off, s[0:3], 0 offset:44
	buffer_store_dword v34, off, s[0:3], 0 offset:40
	buffer_store_dword v33, off, s[0:3], 0 offset:36
	buffer_store_dword v32, off, s[0:3], 0 offset:32
	s_waitcnt vmcnt(16)
	buffer_store_dword v47, off, s[0:3], 0 offset:60
	buffer_store_dword v46, off, s[0:3], 0 offset:56
	buffer_store_dword v45, off, s[0:3], 0 offset:52
	buffer_store_dword v44, off, s[0:3], 0 offset:48
	s_waitcnt vmcnt(19)
	buffer_store_dword v51, off, s[0:3], 0 offset:76
	buffer_store_dword v50, off, s[0:3], 0 offset:72
	buffer_store_dword v49, off, s[0:3], 0 offset:68
	buffer_store_dword v48, off, s[0:3], 0 offset:64
	s_waitcnt vmcnt(22)
	buffer_store_dword v55, off, s[0:3], 0 offset:92
	buffer_store_dword v54, off, s[0:3], 0 offset:88
	buffer_store_dword v53, off, s[0:3], 0 offset:84
	buffer_store_dword v52, off, s[0:3], 0 offset:80
	s_waitcnt vmcnt(25)
	buffer_store_dword v59, off, s[0:3], 0 offset:108
	buffer_store_dword v58, off, s[0:3], 0 offset:104
	buffer_store_dword v57, off, s[0:3], 0 offset:100
	buffer_store_dword v56, off, s[0:3], 0 offset:96
	s_waitcnt vmcnt(28)
	buffer_store_dword v60, off, s[0:3], 0 offset:112
	buffer_store_dword v61, off, s[0:3], 0 offset:116
	buffer_store_dword v62, off, s[0:3], 0 offset:120
	buffer_store_dword v63, off, s[0:3], 0 offset:124
	v_mov_b32_e32 v35, 0
	v_mov_b32_e32 v31, 0
	s_and_saveexec_b64 s[10:11], vcc
	s_cbranch_execz .LBB903_13
; %bb.12:
	s_load_dwordx2 s[16:17], s[4:5], 0x40
	v_add_u32_e32 v20, s27, v41
	v_ashrrev_i32_e32 v21, 31, v20
	v_lshlrev_b64 v[20:21], 2, v[20:21]
	s_waitcnt lgkmcnt(0)
	v_mov_b32_e32 v19, s17
	v_add_co_u32_e32 v20, vcc, s16, v20
	v_addc_co_u32_e32 v21, vcc, v19, v21, vcc
	global_load_dword v31, v[20:21], off
.LBB903_13:
	s_or_b64 exec, exec, s[10:11]
	v_or_b32_e32 v22, s20, v18
	v_ashrrev_i32_e32 v18, 4, v22
	v_mov_b32_e32 v23, s23
	v_cmp_gt_i32_e32 vcc, s33, v22
	v_cndmask_b32_e32 v18, v23, v18, vcc
	v_ashrrev_i32_e32 v19, 31, v18
	v_lshlrev_b64 v[18:19], 2, v[18:19]
	v_mov_b32_e32 v20, s22
	v_add_co_u32_e32 v18, vcc, s21, v18
	v_addc_co_u32_e32 v19, vcc, v20, v19, vcc
	global_load_dword v26, v[18:19], off
	v_or_b32_e32 v18, 64, v22
	v_ashrrev_i32_e32 v19, 4, v18
	v_cmp_gt_i32_e32 vcc, s33, v18
	v_cndmask_b32_e32 v18, v23, v19, vcc
	v_ashrrev_i32_e32 v19, 31, v18
	v_lshlrev_b64 v[18:19], 2, v[18:19]
	v_add_co_u32_e32 v18, vcc, s21, v18
	v_addc_co_u32_e32 v19, vcc, v20, v19, vcc
	v_or_b32_e32 v20, 0x80, v22
	v_ashrrev_i32_e32 v21, 4, v20
	v_cmp_gt_i32_e32 vcc, s33, v20
	v_cndmask_b32_e32 v20, v23, v21, vcc
	v_ashrrev_i32_e32 v21, 31, v20
	v_lshlrev_b64 v[20:21], 2, v[20:21]
	v_mov_b32_e32 v24, s22
	v_add_co_u32_e32 v20, vcc, s21, v20
	v_addc_co_u32_e32 v21, vcc, v24, v21, vcc
	global_load_dword v28, v[18:19], off
	global_load_dword v30, v[20:21], off
	v_or_b32_e32 v18, 0xc0, v22
	v_ashrrev_i32_e32 v19, 4, v18
	v_cmp_gt_i32_e32 vcc, s33, v18
	v_cndmask_b32_e32 v18, v23, v19, vcc
	v_ashrrev_i32_e32 v19, 31, v18
	v_lshlrev_b64 v[18:19], 2, v[18:19]
	v_mov_b32_e32 v20, s22
	v_add_co_u32_e32 v18, vcc, s21, v18
	v_addc_co_u32_e32 v19, vcc, v20, v19, vcc
	global_load_dword v34, v[18:19], off
	s_add_u32 s10, s6, s14
	v_lshl_or_b32 v29, v27, 4, v41
	s_addc_u32 s6, s7, 0
	v_lshlrev_b32_e32 v18, 4, v29
	v_mov_b32_e32 v19, s6
	v_add_co_u32_e32 v22, vcc, s10, v18
	v_addc_co_u32_e32 v23, vcc, 0, v19, vcc
	v_or_b32_e32 v24, 0x400, v18
	v_mov_b32_e32 v25, s6
	v_add_co_u32_e32 v24, vcc, s10, v24
	v_addc_co_u32_e32 v25, vcc, 0, v25, vcc
	v_mov_b32_e32 v36, 0
	s_movk_i32 s14, 0x7f
	s_mov_b32 s15, 0xffffff
	s_mov_b32 s16, 0x5040100
	v_mov_b32_e32 v37, 0x100
	v_bfrev_b32_e32 v38, 60
	s_waitcnt vmcnt(3)
	v_mad_i64_i32 v[18:19], s[6:7], v26, s13, v[22:23]
	global_load_dwordx4 v[18:21], v[18:19], off
	v_mad_i64_i32 v[32:33], s[6:7], v26, s13, v[24:25]
	global_load_dwordx4 v[52:55], v[32:33], off
	s_waitcnt vmcnt(4)
	v_mad_i64_i32 v[32:33], s[6:7], v28, s13, v[22:23]
	global_load_dwordx4 v[56:59], v[32:33], off
	s_waitcnt vmcnt(4)
	;; [unrolled: 3-line block ×3, first 2 shown]
	v_mad_i64_i32 v[22:23], s[6:7], v34, s13, v[22:23]
	global_load_dwordx4 v[64:67], v[22:23], off
	v_mad_i64_i32 v[22:23], s[6:7], v28, s13, v[24:25]
	global_load_dwordx4 v[68:71], v[22:23], off
	v_mad_i64_i32 v[22:23], s[6:7], v30, s13, v[24:25]
	global_load_dwordx4 v[72:75], v[22:23], off
	v_mad_i64_i32 v[22:23], s[6:7], v34, s13, v[24:25]
	global_load_dwordx4 v[76:79], v[22:23], off
	s_load_dword s6, s[4:5], 0x1c
	s_load_dwordx4 s[40:43], s[4:5], 0x80
	v_mov_b32_e32 v22, 0x80
	v_add_u32_e32 v45, 16, v22
	v_add_u32_e32 v46, 32, v22
	;; [unrolled: 1-line block ×3, first 2 shown]
	s_waitcnt lgkmcnt(0)
	s_load_dword s4, s[40:41], 0x0
	v_add_u32_e32 v51, 64, v22
	v_add_u32_e32 v48, 0x50, v22
	;; [unrolled: 1-line block ×4, first 2 shown]
	v_mov_b32_e32 v22, s6
	s_waitcnt lgkmcnt(0)
	v_mul_f32_e32 v22, s4, v22
	v_and_b32_e32 v33, 63, v0
	s_movk_i32 s13, 0x80
	v_mov_b32_e32 v24, v22
	v_mov_b32_e32 v25, v22
	s_waitcnt vmcnt(7)
	buffer_store_dword v21, off, s[0:3], 0 offset:140
	buffer_store_dword v20, off, s[0:3], 0 offset:136
	buffer_store_dword v19, off, s[0:3], 0 offset:132
	buffer_store_dword v18, off, s[0:3], 0 offset:128
	s_waitcnt vmcnt(10)
	buffer_store_dword v55, off, s[0:3], 0 offset:156
	buffer_store_dword v54, off, s[0:3], 0 offset:152
	buffer_store_dword v53, off, s[0:3], 0 offset:148
	buffer_store_dword v52, off, s[0:3], 0 offset:144
	;; [unrolled: 5-line block ×8, first 2 shown]
	s_branch .LBB903_17
.LBB903_14:                             ;   in Loop: Header=BB903_17 Depth=1
	s_or_b64 exec, exec, s[10:11]
.LBB903_15:                             ;   in Loop: Header=BB903_17 Depth=1
	s_or_b64 exec, exec, s[6:7]
.LBB903_16:                             ;   in Loop: Header=BB903_17 Depth=1
	s_or_b64 exec, exec, s[4:5]
	v_perm_b32 v55, v40, v34, s16
	v_perm_b32 v54, v23, v32, s16
	;; [unrolled: 1-line block ×4, first 2 shown]
	v_add_u32_e32 v26, s12, v37
	v_mfma_f32_16x16x16bf16_1k v[18:21], v[54:55], v[14:15], v[18:21]
	s_add_i32 s12, s12, 16
	v_mov_b32_e32 v23, v22
	s_cmp_eq_u32 s12, 64
	v_add_u32_e32 v36, 32, v36
	v_mfma_f32_16x16x16bf16_1k v[18:21], v[52:53], v[16:17], v[18:21]
	s_nop 7
	s_nop 2
	v_pk_mul_f32 v[18:19], v[24:25], v[18:19]
	v_pk_mul_f32 v[20:21], v[22:23], v[20:21]
	buffer_store_dword v19, v26, s[0:3], 0 offen offset:4
	buffer_store_dword v18, v26, s[0:3], 0 offen
	buffer_store_dword v21, v26, s[0:3], 0 offen offset:12
	buffer_store_dword v20, v26, s[0:3], 0 offen offset:8
	s_cbranch_scc1 .LBB903_207
.LBB903_17:                             ; =>This Inner Loop Header: Depth=1
	buffer_load_dword v20, v36, s[0:3], 0 offen
	buffer_load_dword v18, v36, s[0:3], 0 offen offset:4
	buffer_load_dword v28, v36, s[0:3], 0 offen offset:8
	;; [unrolled: 1-line block ×3, first 2 shown]
	v_mov_b32_e32 v19, 0
	v_mov_b32_e32 v21, 0
	s_waitcnt vmcnt(3)
	v_cmp_ne_u16_sdwa s[6:7], v20, v35 src0_sel:BYTE_0 src1_sel:DWORD
	s_and_saveexec_b64 s[4:5], s[6:7]
	s_cbranch_execz .LBB903_23
; %bb.18:                               ;   in Loop: Header=BB903_17 Depth=1
	v_cmp_ne_u16_sdwa s[10:11], v20, s13 src0_sel:BYTE_0 src1_sel:DWORD
	v_mov_b32_e32 v21, 0xffff8000
	s_and_saveexec_b64 s[6:7], s[10:11]
	s_cbranch_execz .LBB903_22
; %bb.19:                               ;   in Loop: Header=BB903_17 Depth=1
	v_and_b32_e32 v23, 0x7f, v20
	v_cmp_ne_u32_e32 vcc, s14, v23
	v_mov_b32_e32 v21, 0x7f80
	s_and_saveexec_b64 s[10:11], vcc
	s_cbranch_execz .LBB903_21
; %bb.20:                               ;   in Loop: Header=BB903_17 Depth=1
	v_and_b32_e32 v21, 7, v20
	v_ffbh_u32_e32 v32, v21
	v_min_u32_e32 v32, 32, v32
	v_subrev_u32_e32 v34, 28, v32
	v_lshlrev_b64 v[52:53], v34, v[20:21]
	v_lshrrev_b32_e32 v30, 3, v23
	v_sub_u32_e32 v32, 29, v32
	v_and_b32_e32 v34, 7, v52
	v_cmp_gt_u32_e32 vcc, 8, v23
	v_cndmask_b32_e32 v23, v30, v32, vcc
	v_cndmask_b32_e32 v21, v21, v34, vcc
	v_lshlrev_b32_e32 v30, 24, v20
	v_lshlrev_b32_e32 v21, 20, v21
	v_and_b32_e32 v30, 0x80000000, v30
	v_lshl_add_u32 v23, v23, 23, v38
	v_or3_b32 v21, v30, v23, v21
	v_lshrrev_b32_e32 v21, 16, v21
.LBB903_21:                             ;   in Loop: Header=BB903_17 Depth=1
	s_or_b64 exec, exec, s[10:11]
.LBB903_22:                             ;   in Loop: Header=BB903_17 Depth=1
	s_or_b64 exec, exec, s[6:7]
.LBB903_23:                             ;   in Loop: Header=BB903_17 Depth=1
	s_or_b64 exec, exec, s[4:5]
	v_lshrrev_b16_e32 v30, 8, v20
	v_cmp_ne_u16_e32 vcc, 0, v30
	s_and_saveexec_b64 s[4:5], vcc
	s_cbranch_execz .LBB903_29
; %bb.24:                               ;   in Loop: Header=BB903_17 Depth=1
	v_cmp_ne_u16_e32 vcc, s13, v30
	v_mov_b32_e32 v19, 0xffff8000
	s_and_saveexec_b64 s[6:7], vcc
	s_cbranch_execz .LBB903_28
; %bb.25:                               ;   in Loop: Header=BB903_17 Depth=1
	v_and_b32_e32 v23, 0x7f, v30
	v_cmp_ne_u32_e32 vcc, s14, v23
	v_mov_b32_e32 v19, 0x7f80
	s_and_saveexec_b64 s[10:11], vcc
	s_cbranch_execz .LBB903_27
; %bb.26:                               ;   in Loop: Header=BB903_17 Depth=1
	v_and_b32_e32 v19, 7, v30
	v_ffbh_u32_e32 v34, v19
	v_min_u32_e32 v34, 32, v34
	v_subrev_u32_e32 v40, 28, v34
	v_lshlrev_b64 v[52:53], v40, v[30:31]
	v_lshrrev_b32_e32 v32, 3, v23
	v_sub_u32_e32 v30, 29, v34
	v_and_b32_e32 v34, 7, v52
	v_cmp_gt_u32_e32 vcc, 8, v23
	v_cndmask_b32_e32 v23, v32, v30, vcc
	v_cndmask_b32_e32 v19, v19, v34, vcc
	v_lshlrev_b32_e32 v30, 16, v20
	v_lshlrev_b32_e32 v19, 20, v19
	v_and_b32_e32 v30, 0x80000000, v30
	v_lshl_add_u32 v23, v23, 23, v38
	v_or3_b32 v19, v30, v23, v19
	v_lshrrev_b32_e32 v19, 16, v19
.LBB903_27:                             ;   in Loop: Header=BB903_17 Depth=1
	s_or_b64 exec, exec, s[10:11]
.LBB903_28:                             ;   in Loop: Header=BB903_17 Depth=1
	s_or_b64 exec, exec, s[6:7]
.LBB903_29:                             ;   in Loop: Header=BB903_17 Depth=1
	s_or_b64 exec, exec, s[4:5]
	v_lshrrev_b32_e32 v30, 16, v20
	v_cmp_ne_u16_sdwa s[6:7], v30, v35 src0_sel:BYTE_0 src1_sel:DWORD
	v_mov_b32_e32 v32, 0
	v_mov_b32_e32 v23, 0
	s_and_saveexec_b64 s[4:5], s[6:7]
	s_cbranch_execz .LBB903_35
; %bb.30:                               ;   in Loop: Header=BB903_17 Depth=1
	v_cmp_ne_u16_sdwa s[10:11], v30, s13 src0_sel:BYTE_0 src1_sel:DWORD
	v_mov_b32_e32 v23, 0xffff8000
	s_and_saveexec_b64 s[6:7], s[10:11]
	s_cbranch_execz .LBB903_34
; %bb.31:                               ;   in Loop: Header=BB903_17 Depth=1
	v_bfe_u32 v34, v20, 16, 7
	v_cmp_ne_u32_e32 vcc, s14, v34
	v_mov_b32_e32 v23, 0x7f80
	s_and_saveexec_b64 s[10:11], vcc
	s_cbranch_execz .LBB903_33
; %bb.32:                               ;   in Loop: Header=BB903_17 Depth=1
	v_and_b32_e32 v23, 7, v30
	v_ffbh_u32_e32 v42, v23
	v_min_u32_e32 v42, 32, v42
	v_subrev_u32_e32 v44, 28, v42
	v_lshlrev_b64 v[52:53], v44, v[30:31]
	v_lshrrev_b32_e32 v40, 3, v34
	v_sub_u32_e32 v42, 29, v42
	v_and_b32_e32 v44, 7, v52
	v_cmp_gt_u32_e32 vcc, 8, v34
	v_cndmask_b32_e32 v34, v40, v42, vcc
	v_cndmask_b32_e32 v23, v23, v44, vcc
	v_lshlrev_b32_e32 v30, 24, v30
	v_lshlrev_b32_e32 v23, 20, v23
	v_and_b32_e32 v30, 0x80000000, v30
	v_lshl_add_u32 v34, v34, 23, v38
	v_or3_b32 v23, v30, v34, v23
	v_lshrrev_b32_e32 v23, 16, v23
.LBB903_33:                             ;   in Loop: Header=BB903_17 Depth=1
	s_or_b64 exec, exec, s[10:11]
.LBB903_34:                             ;   in Loop: Header=BB903_17 Depth=1
	s_or_b64 exec, exec, s[6:7]
.LBB903_35:                             ;   in Loop: Header=BB903_17 Depth=1
	s_or_b64 exec, exec, s[4:5]
	v_cmp_lt_u32_e32 vcc, s15, v20
	s_and_saveexec_b64 s[4:5], vcc
	s_cbranch_execz .LBB903_41
; %bb.36:                               ;   in Loop: Header=BB903_17 Depth=1
	v_lshrrev_b32_e32 v30, 24, v20
	v_cmp_ne_u32_e32 vcc, s13, v30
	v_mov_b32_e32 v32, 0xffff8000
	s_and_saveexec_b64 s[6:7], vcc
	s_cbranch_execz .LBB903_40
; %bb.37:                               ;   in Loop: Header=BB903_17 Depth=1
	v_bfe_u32 v20, v20, 24, 7
	v_cmp_ne_u32_e32 vcc, s14, v20
	v_mov_b32_e32 v32, 0x7f80
	s_and_saveexec_b64 s[10:11], vcc
	s_cbranch_execz .LBB903_39
; %bb.38:                               ;   in Loop: Header=BB903_17 Depth=1
	v_and_b32_e32 v32, 7, v30
	v_ffbh_u32_e32 v40, v32
	v_min_u32_e32 v40, 32, v40
	v_subrev_u32_e32 v42, 28, v40
	v_lshlrev_b64 v[52:53], v42, v[30:31]
	v_lshrrev_b32_e32 v34, 3, v20
	v_sub_u32_e32 v40, 29, v40
	v_and_b32_e32 v42, 7, v52
	v_cmp_gt_u32_e32 vcc, 8, v20
	v_cndmask_b32_e32 v20, v34, v40, vcc
	v_cndmask_b32_e32 v32, v32, v42, vcc
	v_lshlrev_b32_e32 v30, 24, v30
	v_lshlrev_b32_e32 v32, 20, v32
	v_and_b32_e32 v30, 0x80000000, v30
	v_lshl_add_u32 v20, v20, 23, v38
	v_or3_b32 v20, v30, v20, v32
	v_lshrrev_b32_e32 v32, 16, v20
.LBB903_39:                             ;   in Loop: Header=BB903_17 Depth=1
	s_or_b64 exec, exec, s[10:11]
.LBB903_40:                             ;   in Loop: Header=BB903_17 Depth=1
	s_or_b64 exec, exec, s[6:7]
.LBB903_41:                             ;   in Loop: Header=BB903_17 Depth=1
	s_or_b64 exec, exec, s[4:5]
	s_waitcnt vmcnt(2)
	v_cmp_ne_u16_sdwa s[6:7], v18, v35 src0_sel:BYTE_0 src1_sel:DWORD
	v_mov_b32_e32 v30, 0
	v_mov_b32_e32 v34, 0
	s_and_saveexec_b64 s[4:5], s[6:7]
	s_cbranch_execz .LBB903_47
; %bb.42:                               ;   in Loop: Header=BB903_17 Depth=1
	v_cmp_ne_u16_sdwa s[10:11], v18, s13 src0_sel:BYTE_0 src1_sel:DWORD
	v_mov_b32_e32 v34, 0xffff8000
	s_and_saveexec_b64 s[6:7], s[10:11]
	s_cbranch_execz .LBB903_46
; %bb.43:                               ;   in Loop: Header=BB903_17 Depth=1
	v_and_b32_e32 v20, 0x7f, v18
	v_cmp_ne_u32_e32 vcc, s14, v20
	v_mov_b32_e32 v34, 0x7f80
	s_and_saveexec_b64 s[10:11], vcc
	s_cbranch_execz .LBB903_45
; %bb.44:                               ;   in Loop: Header=BB903_17 Depth=1
	v_and_b32_e32 v34, 7, v18
	v_ffbh_u32_e32 v42, v34
	v_min_u32_e32 v42, 32, v42
	v_subrev_u32_e32 v44, 28, v42
	v_lshlrev_b64 v[52:53], v44, v[18:19]
	v_lshrrev_b32_e32 v40, 3, v20
	v_sub_u32_e32 v42, 29, v42
	v_and_b32_e32 v44, 7, v52
	v_cmp_gt_u32_e32 vcc, 8, v20
	v_cndmask_b32_e32 v20, v40, v42, vcc
	v_cndmask_b32_e32 v34, v34, v44, vcc
	v_lshlrev_b32_e32 v40, 24, v18
	v_lshlrev_b32_e32 v34, 20, v34
	v_and_b32_e32 v40, 0x80000000, v40
	v_lshl_add_u32 v20, v20, 23, v38
	v_or3_b32 v20, v40, v20, v34
	v_lshrrev_b32_e32 v34, 16, v20
.LBB903_45:                             ;   in Loop: Header=BB903_17 Depth=1
	s_or_b64 exec, exec, s[10:11]
.LBB903_46:                             ;   in Loop: Header=BB903_17 Depth=1
	s_or_b64 exec, exec, s[6:7]
.LBB903_47:                             ;   in Loop: Header=BB903_17 Depth=1
	s_or_b64 exec, exec, s[4:5]
	v_lshrrev_b16_e32 v20, 8, v18
	v_cmp_ne_u16_e32 vcc, 0, v20
	s_and_saveexec_b64 s[4:5], vcc
	s_cbranch_execz .LBB903_53
; %bb.48:                               ;   in Loop: Header=BB903_17 Depth=1
	v_cmp_ne_u16_e32 vcc, s13, v20
	v_mov_b32_e32 v30, 0xffff8000
	s_and_saveexec_b64 s[6:7], vcc
	s_cbranch_execz .LBB903_52
; %bb.49:                               ;   in Loop: Header=BB903_17 Depth=1
	v_and_b32_e32 v40, 0x7f, v20
	v_cmp_ne_u32_e32 vcc, s14, v40
	v_mov_b32_e32 v30, 0x7f80
	s_and_saveexec_b64 s[10:11], vcc
	s_cbranch_execz .LBB903_51
; %bb.50:                               ;   in Loop: Header=BB903_17 Depth=1
	v_and_b32_e32 v30, 7, v20
	v_ffbh_u32_e32 v44, v30
	v_min_u32_e32 v44, 32, v44
	v_subrev_u32_e32 v52, 28, v44
	v_lshlrev_b64 v[52:53], v52, v[20:21]
	v_lshrrev_b32_e32 v42, 3, v40
	v_sub_u32_e32 v20, 29, v44
	v_and_b32_e32 v44, 7, v52
	v_cmp_gt_u32_e32 vcc, 8, v40
	v_cndmask_b32_e32 v20, v42, v20, vcc
	v_cndmask_b32_e32 v30, v30, v44, vcc
	v_lshlrev_b32_e32 v40, 16, v18
	v_lshlrev_b32_e32 v30, 20, v30
	v_and_b32_e32 v40, 0x80000000, v40
	v_lshl_add_u32 v20, v20, 23, v38
	v_or3_b32 v20, v40, v20, v30
	v_lshrrev_b32_e32 v30, 16, v20
.LBB903_51:                             ;   in Loop: Header=BB903_17 Depth=1
	s_or_b64 exec, exec, s[10:11]
.LBB903_52:                             ;   in Loop: Header=BB903_17 Depth=1
	s_or_b64 exec, exec, s[6:7]
.LBB903_53:                             ;   in Loop: Header=BB903_17 Depth=1
	s_or_b64 exec, exec, s[4:5]
	v_lshrrev_b32_e32 v20, 16, v18
	v_cmp_ne_u16_sdwa s[6:7], v20, v35 src0_sel:BYTE_0 src1_sel:DWORD
	v_mov_b32_e32 v42, 0
	v_mov_b32_e32 v40, 0
	s_and_saveexec_b64 s[4:5], s[6:7]
	s_cbranch_execz .LBB903_59
; %bb.54:                               ;   in Loop: Header=BB903_17 Depth=1
	v_cmp_ne_u16_sdwa s[10:11], v20, s13 src0_sel:BYTE_0 src1_sel:DWORD
	v_mov_b32_e32 v40, 0xffff8000
	s_and_saveexec_b64 s[6:7], s[10:11]
	s_cbranch_execz .LBB903_58
; %bb.55:                               ;   in Loop: Header=BB903_17 Depth=1
	v_bfe_u32 v44, v18, 16, 7
	v_cmp_ne_u32_e32 vcc, s14, v44
	v_mov_b32_e32 v40, 0x7f80
	s_and_saveexec_b64 s[10:11], vcc
	s_cbranch_execz .LBB903_57
; %bb.56:                               ;   in Loop: Header=BB903_17 Depth=1
	v_and_b32_e32 v40, 7, v20
	v_ffbh_u32_e32 v52, v40
	v_min_u32_e32 v55, 32, v52
	v_subrev_u32_e32 v52, 28, v55
	v_lshlrev_b64 v[52:53], v52, v[20:21]
	v_lshrrev_b32_e32 v54, 3, v44
	v_sub_u32_e32 v53, 29, v55
	v_and_b32_e32 v52, 7, v52
	v_cmp_gt_u32_e32 vcc, 8, v44
	v_cndmask_b32_e32 v44, v54, v53, vcc
	v_cndmask_b32_e32 v40, v40, v52, vcc
	v_lshlrev_b32_e32 v20, 24, v20
	v_lshlrev_b32_e32 v40, 20, v40
	v_and_b32_e32 v20, 0x80000000, v20
	v_lshl_add_u32 v44, v44, 23, v38
	v_or3_b32 v20, v20, v44, v40
	v_lshrrev_b32_e32 v40, 16, v20
.LBB903_57:                             ;   in Loop: Header=BB903_17 Depth=1
	s_or_b64 exec, exec, s[10:11]
.LBB903_58:                             ;   in Loop: Header=BB903_17 Depth=1
	s_or_b64 exec, exec, s[6:7]
.LBB903_59:                             ;   in Loop: Header=BB903_17 Depth=1
	s_or_b64 exec, exec, s[4:5]
	v_cmp_lt_u32_e32 vcc, s15, v18
	s_and_saveexec_b64 s[4:5], vcc
	s_cbranch_execz .LBB903_65
; %bb.60:                               ;   in Loop: Header=BB903_17 Depth=1
	v_lshrrev_b32_e32 v20, 24, v18
	v_cmp_ne_u32_e32 vcc, s13, v20
	v_mov_b32_e32 v42, 0xffff8000
	s_and_saveexec_b64 s[6:7], vcc
	s_cbranch_execz .LBB903_64
; %bb.61:                               ;   in Loop: Header=BB903_17 Depth=1
	v_bfe_u32 v18, v18, 24, 7
	v_cmp_ne_u32_e32 vcc, s14, v18
	v_mov_b32_e32 v42, 0x7f80
	s_and_saveexec_b64 s[10:11], vcc
	s_cbranch_execz .LBB903_63
; %bb.62:                               ;   in Loop: Header=BB903_17 Depth=1
	v_and_b32_e32 v42, 7, v20
	v_ffbh_u32_e32 v52, v42
	v_min_u32_e32 v54, 32, v52
	v_subrev_u32_e32 v52, 28, v54
	v_lshlrev_b64 v[52:53], v52, v[20:21]
	v_lshrrev_b32_e32 v44, 3, v18
	v_sub_u32_e32 v53, 29, v54
	v_and_b32_e32 v52, 7, v52
	v_cmp_gt_u32_e32 vcc, 8, v18
	v_cndmask_b32_e32 v18, v44, v53, vcc
	v_cndmask_b32_e32 v42, v42, v52, vcc
	v_lshlrev_b32_e32 v20, 24, v20
	v_lshlrev_b32_e32 v42, 20, v42
	v_and_b32_e32 v20, 0x80000000, v20
	v_lshl_add_u32 v18, v18, 23, v38
	v_or3_b32 v18, v20, v18, v42
	v_lshrrev_b32_e32 v42, 16, v18
.LBB903_63:                             ;   in Loop: Header=BB903_17 Depth=1
	s_or_b64 exec, exec, s[10:11]
.LBB903_64:                             ;   in Loop: Header=BB903_17 Depth=1
	s_or_b64 exec, exec, s[6:7]
.LBB903_65:                             ;   in Loop: Header=BB903_17 Depth=1
	s_or_b64 exec, exec, s[4:5]
	v_perm_b32 v53, v32, v23, s16
	v_perm_b32 v52, v19, v21, s16
	s_waitcnt vmcnt(1)
	v_cmp_ne_u16_sdwa s[6:7], v28, v35 src0_sel:BYTE_0 src1_sel:DWORD
	v_mov_b32_e32 v23, 0
	v_mov_b32_e32 v32, 0
	v_mfma_f32_16x16x16bf16_1k v[18:21], v[52:53], v[2:3], 0
	v_perm_b32 v53, v42, v40, s16
	v_perm_b32 v52, v30, v34, s16
	s_nop 1
	v_mfma_f32_16x16x16bf16_1k v[18:21], v[52:53], v[4:5], v[18:21]
	s_and_saveexec_b64 s[4:5], s[6:7]
	s_cbranch_execz .LBB903_71
; %bb.66:                               ;   in Loop: Header=BB903_17 Depth=1
	v_cmp_ne_u16_sdwa s[10:11], v28, s13 src0_sel:BYTE_0 src1_sel:DWORD
	v_mov_b32_e32 v32, 0xffff8000
	s_and_saveexec_b64 s[6:7], s[10:11]
	s_cbranch_execz .LBB903_70
; %bb.67:                               ;   in Loop: Header=BB903_17 Depth=1
	v_and_b32_e32 v30, 0x7f, v28
	v_cmp_ne_u32_e32 vcc, s14, v30
	v_mov_b32_e32 v32, 0x7f80
	s_and_saveexec_b64 s[10:11], vcc
	s_cbranch_execz .LBB903_69
; %bb.68:                               ;   in Loop: Header=BB903_17 Depth=1
	v_and_b32_e32 v32, 7, v28
	v_ffbh_u32_e32 v40, v32
	v_min_u32_e32 v40, 32, v40
	v_subrev_u32_e32 v42, 28, v40
	v_lshlrev_b64 v[52:53], v42, v[28:29]
	v_lshrrev_b32_e32 v34, 3, v30
	v_sub_u32_e32 v40, 29, v40
	v_and_b32_e32 v42, 7, v52
	v_cmp_gt_u32_e32 vcc, 8, v30
	v_cndmask_b32_e32 v30, v34, v40, vcc
	v_cndmask_b32_e32 v32, v32, v42, vcc
	v_lshlrev_b32_e32 v34, 24, v28
	v_lshlrev_b32_e32 v32, 20, v32
	v_and_b32_e32 v34, 0x80000000, v34
	v_lshl_add_u32 v30, v30, 23, v38
	v_or3_b32 v30, v34, v30, v32
	v_lshrrev_b32_e32 v32, 16, v30
.LBB903_69:                             ;   in Loop: Header=BB903_17 Depth=1
	s_or_b64 exec, exec, s[10:11]
.LBB903_70:                             ;   in Loop: Header=BB903_17 Depth=1
	s_or_b64 exec, exec, s[6:7]
.LBB903_71:                             ;   in Loop: Header=BB903_17 Depth=1
	s_or_b64 exec, exec, s[4:5]
	v_lshrrev_b16_e32 v30, 8, v28
	v_cmp_ne_u16_e32 vcc, 0, v30
	s_and_saveexec_b64 s[4:5], vcc
	s_cbranch_execz .LBB903_77
; %bb.72:                               ;   in Loop: Header=BB903_17 Depth=1
	v_cmp_ne_u16_e32 vcc, s13, v30
	v_mov_b32_e32 v23, 0xffff8000
	s_and_saveexec_b64 s[6:7], vcc
	s_cbranch_execz .LBB903_76
; %bb.73:                               ;   in Loop: Header=BB903_17 Depth=1
	v_and_b32_e32 v34, 0x7f, v30
	v_cmp_ne_u32_e32 vcc, s14, v34
	v_mov_b32_e32 v23, 0x7f80
	s_and_saveexec_b64 s[10:11], vcc
	s_cbranch_execz .LBB903_75
; %bb.74:                               ;   in Loop: Header=BB903_17 Depth=1
	v_and_b32_e32 v23, 7, v30
	v_ffbh_u32_e32 v42, v23
	v_min_u32_e32 v42, 32, v42
	v_subrev_u32_e32 v44, 28, v42
	v_lshlrev_b64 v[52:53], v44, v[30:31]
	v_lshrrev_b32_e32 v40, 3, v34
	v_sub_u32_e32 v30, 29, v42
	v_and_b32_e32 v42, 7, v52
	v_cmp_gt_u32_e32 vcc, 8, v34
	v_cndmask_b32_e32 v30, v40, v30, vcc
	v_cndmask_b32_e32 v23, v23, v42, vcc
	v_lshlrev_b32_e32 v34, 16, v28
	v_lshlrev_b32_e32 v23, 20, v23
	v_and_b32_e32 v34, 0x80000000, v34
	v_lshl_add_u32 v30, v30, 23, v38
	v_or3_b32 v23, v34, v30, v23
	v_lshrrev_b32_e32 v23, 16, v23
.LBB903_75:                             ;   in Loop: Header=BB903_17 Depth=1
	s_or_b64 exec, exec, s[10:11]
.LBB903_76:                             ;   in Loop: Header=BB903_17 Depth=1
	s_or_b64 exec, exec, s[6:7]
.LBB903_77:                             ;   in Loop: Header=BB903_17 Depth=1
	s_or_b64 exec, exec, s[4:5]
	v_lshrrev_b32_e32 v30, 16, v28
	v_cmp_ne_u16_sdwa s[6:7], v30, v35 src0_sel:BYTE_0 src1_sel:DWORD
	v_mov_b32_e32 v40, 0
	v_mov_b32_e32 v34, 0
	s_and_saveexec_b64 s[4:5], s[6:7]
	s_cbranch_execz .LBB903_83
; %bb.78:                               ;   in Loop: Header=BB903_17 Depth=1
	v_cmp_ne_u16_sdwa s[10:11], v30, s13 src0_sel:BYTE_0 src1_sel:DWORD
	v_mov_b32_e32 v34, 0xffff8000
	s_and_saveexec_b64 s[6:7], s[10:11]
	s_cbranch_execz .LBB903_82
; %bb.79:                               ;   in Loop: Header=BB903_17 Depth=1
	v_bfe_u32 v42, v28, 16, 7
	v_cmp_ne_u32_e32 vcc, s14, v42
	v_mov_b32_e32 v34, 0x7f80
	s_and_saveexec_b64 s[10:11], vcc
	s_cbranch_execz .LBB903_81
; %bb.80:                               ;   in Loop: Header=BB903_17 Depth=1
	v_and_b32_e32 v34, 7, v30
	v_ffbh_u32_e32 v52, v34
	v_min_u32_e32 v54, 32, v52
	v_subrev_u32_e32 v52, 28, v54
	v_lshlrev_b64 v[52:53], v52, v[30:31]
	v_lshrrev_b32_e32 v44, 3, v42
	v_sub_u32_e32 v53, 29, v54
	v_and_b32_e32 v52, 7, v52
	v_cmp_gt_u32_e32 vcc, 8, v42
	v_cndmask_b32_e32 v42, v44, v53, vcc
	v_cndmask_b32_e32 v34, v34, v52, vcc
	v_lshlrev_b32_e32 v30, 24, v30
	v_lshlrev_b32_e32 v34, 20, v34
	v_and_b32_e32 v30, 0x80000000, v30
	v_lshl_add_u32 v42, v42, 23, v38
	v_or3_b32 v30, v30, v42, v34
	v_lshrrev_b32_e32 v34, 16, v30
.LBB903_81:                             ;   in Loop: Header=BB903_17 Depth=1
	s_or_b64 exec, exec, s[10:11]
.LBB903_82:                             ;   in Loop: Header=BB903_17 Depth=1
	s_or_b64 exec, exec, s[6:7]
.LBB903_83:                             ;   in Loop: Header=BB903_17 Depth=1
	s_or_b64 exec, exec, s[4:5]
	v_cmp_lt_u32_e32 vcc, s15, v28
	s_and_saveexec_b64 s[4:5], vcc
	s_cbranch_execz .LBB903_89
; %bb.84:                               ;   in Loop: Header=BB903_17 Depth=1
	v_lshrrev_b32_e32 v30, 24, v28
	v_cmp_ne_u32_e32 vcc, s13, v30
	v_mov_b32_e32 v40, 0xffff8000
	s_and_saveexec_b64 s[6:7], vcc
	s_cbranch_execz .LBB903_88
; %bb.85:                               ;   in Loop: Header=BB903_17 Depth=1
	v_bfe_u32 v28, v28, 24, 7
	v_cmp_ne_u32_e32 vcc, s14, v28
	v_mov_b32_e32 v40, 0x7f80
	s_and_saveexec_b64 s[10:11], vcc
	s_cbranch_execz .LBB903_87
; %bb.86:                               ;   in Loop: Header=BB903_17 Depth=1
	v_and_b32_e32 v40, 7, v30
	v_ffbh_u32_e32 v44, v40
	v_min_u32_e32 v44, 32, v44
	v_subrev_u32_e32 v52, 28, v44
	v_lshlrev_b64 v[52:53], v52, v[30:31]
	v_lshrrev_b32_e32 v42, 3, v28
	v_sub_u32_e32 v44, 29, v44
	v_and_b32_e32 v52, 7, v52
	v_cmp_gt_u32_e32 vcc, 8, v28
	v_cndmask_b32_e32 v28, v42, v44, vcc
	v_cndmask_b32_e32 v40, v40, v52, vcc
	v_lshlrev_b32_e32 v30, 24, v30
	v_lshlrev_b32_e32 v40, 20, v40
	v_and_b32_e32 v30, 0x80000000, v30
	v_lshl_add_u32 v28, v28, 23, v38
	v_or3_b32 v28, v30, v28, v40
	v_lshrrev_b32_e32 v40, 16, v28
.LBB903_87:                             ;   in Loop: Header=BB903_17 Depth=1
	s_or_b64 exec, exec, s[10:11]
.LBB903_88:                             ;   in Loop: Header=BB903_17 Depth=1
	s_or_b64 exec, exec, s[6:7]
.LBB903_89:                             ;   in Loop: Header=BB903_17 Depth=1
	s_or_b64 exec, exec, s[4:5]
	s_waitcnt vmcnt(0)
	v_cmp_ne_u16_sdwa s[6:7], v26, v35 src0_sel:BYTE_0 src1_sel:DWORD
	v_mov_b32_e32 v42, 0
	v_mov_b32_e32 v44, 0
	s_and_saveexec_b64 s[4:5], s[6:7]
	s_cbranch_execz .LBB903_95
; %bb.90:                               ;   in Loop: Header=BB903_17 Depth=1
	v_cmp_ne_u16_sdwa s[10:11], v26, s13 src0_sel:BYTE_0 src1_sel:DWORD
	v_mov_b32_e32 v44, 0xffff8000
	s_and_saveexec_b64 s[6:7], s[10:11]
	s_cbranch_execz .LBB903_94
; %bb.91:                               ;   in Loop: Header=BB903_17 Depth=1
	v_and_b32_e32 v28, 0x7f, v26
	v_cmp_ne_u32_e32 vcc, s14, v28
	v_mov_b32_e32 v44, 0x7f80
	s_and_saveexec_b64 s[10:11], vcc
	s_cbranch_execz .LBB903_93
; %bb.92:                               ;   in Loop: Header=BB903_17 Depth=1
	v_and_b32_e32 v30, 7, v26
	v_ffbh_u32_e32 v52, v30
	v_min_u32_e32 v54, 32, v52
	v_subrev_u32_e32 v52, 28, v54
	v_lshlrev_b64 v[52:53], v52, v[26:27]
	v_lshrrev_b32_e32 v44, 3, v28
	v_sub_u32_e32 v53, 29, v54
	v_and_b32_e32 v52, 7, v52
	v_cmp_gt_u32_e32 vcc, 8, v28
	v_cndmask_b32_e32 v28, v44, v53, vcc
	v_cndmask_b32_e32 v30, v30, v52, vcc
	v_lshlrev_b32_e32 v44, 24, v26
	v_lshlrev_b32_e32 v30, 20, v30
	v_and_b32_e32 v44, 0x80000000, v44
	v_lshl_add_u32 v28, v28, 23, v38
	v_or3_b32 v28, v44, v28, v30
	v_lshrrev_b32_e32 v44, 16, v28
.LBB903_93:                             ;   in Loop: Header=BB903_17 Depth=1
	s_or_b64 exec, exec, s[10:11]
.LBB903_94:                             ;   in Loop: Header=BB903_17 Depth=1
	s_or_b64 exec, exec, s[6:7]
.LBB903_95:                             ;   in Loop: Header=BB903_17 Depth=1
	s_or_b64 exec, exec, s[4:5]
	v_lshrrev_b16_e32 v28, 8, v26
	v_cmp_ne_u16_e32 vcc, 0, v28
	s_and_saveexec_b64 s[4:5], vcc
	s_cbranch_execz .LBB903_101
; %bb.96:                               ;   in Loop: Header=BB903_17 Depth=1
	v_cmp_ne_u16_e32 vcc, s13, v28
	v_mov_b32_e32 v42, 0xffff8000
	s_and_saveexec_b64 s[6:7], vcc
	s_cbranch_execz .LBB903_100
; %bb.97:                               ;   in Loop: Header=BB903_17 Depth=1
	v_and_b32_e32 v30, 0x7f, v28
	v_cmp_ne_u32_e32 vcc, s14, v30
	v_mov_b32_e32 v42, 0x7f80
	s_and_saveexec_b64 s[10:11], vcc
	s_cbranch_execz .LBB903_99
; %bb.98:                               ;   in Loop: Header=BB903_17 Depth=1
	v_and_b32_e32 v42, 7, v28
	v_ffbh_u32_e32 v52, v42
	v_min_u32_e32 v55, 32, v52
	v_subrev_u32_e32 v52, 28, v55
	v_lshlrev_b64 v[52:53], v52, v[28:29]
	v_lshrrev_b32_e32 v54, 3, v30
	v_sub_u32_e32 v28, 29, v55
	v_and_b32_e32 v52, 7, v52
	v_cmp_gt_u32_e32 vcc, 8, v30
	v_cndmask_b32_e32 v28, v54, v28, vcc
	v_cndmask_b32_e32 v30, v42, v52, vcc
	v_lshlrev_b32_e32 v42, 16, v26
	v_lshlrev_b32_e32 v30, 20, v30
	v_and_b32_e32 v42, 0x80000000, v42
	v_lshl_add_u32 v28, v28, 23, v38
	v_or3_b32 v28, v42, v28, v30
	v_lshrrev_b32_e32 v42, 16, v28
.LBB903_99:                             ;   in Loop: Header=BB903_17 Depth=1
	s_or_b64 exec, exec, s[10:11]
.LBB903_100:                            ;   in Loop: Header=BB903_17 Depth=1
	s_or_b64 exec, exec, s[6:7]
.LBB903_101:                            ;   in Loop: Header=BB903_17 Depth=1
	s_or_b64 exec, exec, s[4:5]
	v_lshrrev_b32_e32 v28, 16, v26
	v_cmp_ne_u16_sdwa s[6:7], v28, v35 src0_sel:BYTE_0 src1_sel:DWORD
	v_mov_b32_e32 v53, 0
	v_mov_b32_e32 v52, 0
	s_and_saveexec_b64 s[4:5], s[6:7]
	s_cbranch_execz .LBB903_107
; %bb.102:                              ;   in Loop: Header=BB903_17 Depth=1
	v_cmp_ne_u16_sdwa s[10:11], v28, s13 src0_sel:BYTE_0 src1_sel:DWORD
	v_mov_b32_e32 v52, 0xffff8000
	s_and_saveexec_b64 s[6:7], s[10:11]
	s_cbranch_execz .LBB903_106
; %bb.103:                              ;   in Loop: Header=BB903_17 Depth=1
	v_bfe_u32 v30, v26, 16, 7
	v_cmp_ne_u32_e32 vcc, s14, v30
	v_mov_b32_e32 v52, 0x7f80
	s_and_saveexec_b64 s[10:11], vcc
	s_cbranch_execz .LBB903_105
; %bb.104:                              ;   in Loop: Header=BB903_17 Depth=1
	v_and_b32_e32 v52, 7, v28
	v_ffbh_u32_e32 v54, v52
	v_min_u32_e32 v57, 32, v54
	v_subrev_u32_e32 v54, 28, v57
	v_lshlrev_b64 v[54:55], v54, v[28:29]
	v_lshrrev_b32_e32 v56, 3, v30
	v_sub_u32_e32 v55, 29, v57
	v_and_b32_e32 v54, 7, v54
	v_cmp_gt_u32_e32 vcc, 8, v30
	v_cndmask_b32_e32 v30, v56, v55, vcc
	v_cndmask_b32_e32 v52, v52, v54, vcc
	v_lshlrev_b32_e32 v28, 24, v28
	v_lshlrev_b32_e32 v52, 20, v52
	v_and_b32_e32 v28, 0x80000000, v28
	v_lshl_add_u32 v30, v30, 23, v38
	v_or3_b32 v28, v28, v30, v52
	v_lshrrev_b32_e32 v52, 16, v28
.LBB903_105:                            ;   in Loop: Header=BB903_17 Depth=1
	s_or_b64 exec, exec, s[10:11]
.LBB903_106:                            ;   in Loop: Header=BB903_17 Depth=1
	s_or_b64 exec, exec, s[6:7]
.LBB903_107:                            ;   in Loop: Header=BB903_17 Depth=1
	s_or_b64 exec, exec, s[4:5]
	v_cmp_lt_u32_e32 vcc, s15, v26
	s_and_saveexec_b64 s[4:5], vcc
	s_cbranch_execz .LBB903_113
; %bb.108:                              ;   in Loop: Header=BB903_17 Depth=1
	v_lshrrev_b32_e32 v28, 24, v26
	v_cmp_ne_u32_e32 vcc, s13, v28
	v_mov_b32_e32 v53, 0xffff8000
	s_and_saveexec_b64 s[6:7], vcc
	s_cbranch_execz .LBB903_112
; %bb.109:                              ;   in Loop: Header=BB903_17 Depth=1
	v_bfe_u32 v26, v26, 24, 7
	v_cmp_ne_u32_e32 vcc, s14, v26
	v_mov_b32_e32 v53, 0x7f80
	s_and_saveexec_b64 s[10:11], vcc
	s_cbranch_execz .LBB903_111
; %bb.110:                              ;   in Loop: Header=BB903_17 Depth=1
	v_and_b32_e32 v30, 7, v28
	v_ffbh_u32_e32 v54, v30
	v_min_u32_e32 v56, 32, v54
	v_subrev_u32_e32 v54, 28, v56
	v_lshlrev_b64 v[54:55], v54, v[28:29]
	v_lshrrev_b32_e32 v53, 3, v26
	v_sub_u32_e32 v55, 29, v56
	v_and_b32_e32 v54, 7, v54
	v_cmp_gt_u32_e32 vcc, 8, v26
	v_cndmask_b32_e32 v26, v53, v55, vcc
	v_cndmask_b32_e32 v30, v30, v54, vcc
	v_lshlrev_b32_e32 v28, 24, v28
	v_lshlrev_b32_e32 v30, 20, v30
	v_and_b32_e32 v28, 0x80000000, v28
	v_lshl_add_u32 v26, v26, 23, v38
	v_or3_b32 v26, v28, v26, v30
	v_lshrrev_b32_e32 v53, 16, v26
.LBB903_111:                            ;   in Loop: Header=BB903_17 Depth=1
	s_or_b64 exec, exec, s[10:11]
.LBB903_112:                            ;   in Loop: Header=BB903_17 Depth=1
	s_or_b64 exec, exec, s[6:7]
.LBB903_113:                            ;   in Loop: Header=BB903_17 Depth=1
	s_or_b64 exec, exec, s[4:5]
	v_perm_b32 v54, v23, v32, s16
	buffer_load_dword v32, v36, s[0:3], 0 offen offset:16
	buffer_load_dword v30, v36, s[0:3], 0 offen offset:20
	;; [unrolled: 1-line block ×4, first 2 shown]
	v_perm_b32 v55, v40, v34, s16
	v_perm_b32 v53, v53, v52, s16
	;; [unrolled: 1-line block ×3, first 2 shown]
	v_mfma_f32_16x16x16bf16_1k v[18:21], v[54:55], v[6:7], v[18:21]
	v_mov_b32_e32 v23, 0
	v_mov_b32_e32 v40, 0
	s_waitcnt vmcnt(3)
	v_cmp_ne_u16_sdwa s[6:7], v32, v35 src0_sel:BYTE_0 src1_sel:DWORD
	v_mfma_f32_16x16x16bf16_1k v[18:21], v[52:53], v[8:9], v[18:21]
	s_and_saveexec_b64 s[4:5], s[6:7]
	s_cbranch_execz .LBB903_119
; %bb.114:                              ;   in Loop: Header=BB903_17 Depth=1
	v_cmp_ne_u16_sdwa s[10:11], v32, s13 src0_sel:BYTE_0 src1_sel:DWORD
	v_mov_b32_e32 v40, 0xffff8000
	s_and_saveexec_b64 s[6:7], s[10:11]
	s_cbranch_execz .LBB903_118
; %bb.115:                              ;   in Loop: Header=BB903_17 Depth=1
	v_and_b32_e32 v34, 0x7f, v32
	v_cmp_ne_u32_e32 vcc, s14, v34
	v_mov_b32_e32 v40, 0x7f80
	s_and_saveexec_b64 s[10:11], vcc
	s_cbranch_execz .LBB903_117
; %bb.116:                              ;   in Loop: Header=BB903_17 Depth=1
	v_and_b32_e32 v40, 7, v32
	v_ffbh_u32_e32 v44, v40
	v_min_u32_e32 v44, 32, v44
	v_subrev_u32_e32 v52, 28, v44
	v_lshlrev_b64 v[52:53], v52, v[32:33]
	v_lshrrev_b32_e32 v42, 3, v34
	v_sub_u32_e32 v44, 29, v44
	v_and_b32_e32 v52, 7, v52
	v_cmp_gt_u32_e32 vcc, 8, v34
	v_cndmask_b32_e32 v34, v42, v44, vcc
	v_cndmask_b32_e32 v40, v40, v52, vcc
	v_lshlrev_b32_e32 v42, 24, v32
	v_lshlrev_b32_e32 v40, 20, v40
	v_and_b32_e32 v42, 0x80000000, v42
	v_lshl_add_u32 v34, v34, 23, v38
	v_or3_b32 v34, v42, v34, v40
	v_lshrrev_b32_e32 v40, 16, v34
.LBB903_117:                            ;   in Loop: Header=BB903_17 Depth=1
	s_or_b64 exec, exec, s[10:11]
.LBB903_118:                            ;   in Loop: Header=BB903_17 Depth=1
	s_or_b64 exec, exec, s[6:7]
.LBB903_119:                            ;   in Loop: Header=BB903_17 Depth=1
	s_or_b64 exec, exec, s[4:5]
	v_lshrrev_b16_e32 v34, 8, v32
	v_cmp_ne_u16_e32 vcc, 0, v34
	s_and_saveexec_b64 s[4:5], vcc
	s_cbranch_execz .LBB903_125
; %bb.120:                              ;   in Loop: Header=BB903_17 Depth=1
	v_cmp_ne_u16_e32 vcc, s13, v34
	v_mov_b32_e32 v23, 0xffff8000
	s_and_saveexec_b64 s[6:7], vcc
	s_cbranch_execz .LBB903_124
; %bb.121:                              ;   in Loop: Header=BB903_17 Depth=1
	v_and_b32_e32 v42, 0x7f, v34
	v_cmp_ne_u32_e32 vcc, s14, v42
	v_mov_b32_e32 v23, 0x7f80
	s_and_saveexec_b64 s[10:11], vcc
	s_cbranch_execz .LBB903_123
; %bb.122:                              ;   in Loop: Header=BB903_17 Depth=1
	v_and_b32_e32 v23, 7, v34
	v_ffbh_u32_e32 v52, v23
	v_min_u32_e32 v54, 32, v52
	v_subrev_u32_e32 v52, 28, v54
	v_lshlrev_b64 v[52:53], v52, v[34:35]
	v_lshrrev_b32_e32 v44, 3, v42
	v_sub_u32_e32 v34, 29, v54
	v_and_b32_e32 v52, 7, v52
	v_cmp_gt_u32_e32 vcc, 8, v42
	v_cndmask_b32_e32 v34, v44, v34, vcc
	v_cndmask_b32_e32 v23, v23, v52, vcc
	v_lshlrev_b32_e32 v42, 16, v32
	v_lshlrev_b32_e32 v23, 20, v23
	v_and_b32_e32 v42, 0x80000000, v42
	v_lshl_add_u32 v34, v34, 23, v38
	v_or3_b32 v23, v42, v34, v23
	v_lshrrev_b32_e32 v23, 16, v23
.LBB903_123:                            ;   in Loop: Header=BB903_17 Depth=1
	s_or_b64 exec, exec, s[10:11]
.LBB903_124:                            ;   in Loop: Header=BB903_17 Depth=1
	s_or_b64 exec, exec, s[6:7]
.LBB903_125:                            ;   in Loop: Header=BB903_17 Depth=1
	s_or_b64 exec, exec, s[4:5]
	v_lshrrev_b32_e32 v34, 16, v32
	v_cmp_ne_u16_sdwa s[6:7], v34, v35 src0_sel:BYTE_0 src1_sel:DWORD
	v_mov_b32_e32 v44, 0
	v_mov_b32_e32 v42, 0
	s_and_saveexec_b64 s[4:5], s[6:7]
	s_cbranch_execz .LBB903_131
; %bb.126:                              ;   in Loop: Header=BB903_17 Depth=1
	v_cmp_ne_u16_sdwa s[10:11], v34, s13 src0_sel:BYTE_0 src1_sel:DWORD
	v_mov_b32_e32 v42, 0xffff8000
	s_and_saveexec_b64 s[6:7], s[10:11]
	s_cbranch_execz .LBB903_130
; %bb.127:                              ;   in Loop: Header=BB903_17 Depth=1
	v_bfe_u32 v52, v32, 16, 7
	v_cmp_ne_u32_e32 vcc, s14, v52
	v_mov_b32_e32 v42, 0x7f80
	s_and_saveexec_b64 s[10:11], vcc
	s_cbranch_execz .LBB903_129
; %bb.128:                              ;   in Loop: Header=BB903_17 Depth=1
	v_and_b32_e32 v42, 7, v34
	v_ffbh_u32_e32 v54, v42
	v_min_u32_e32 v56, 32, v54
	v_subrev_u32_e32 v54, 28, v56
	v_lshlrev_b64 v[54:55], v54, v[34:35]
	v_lshrrev_b32_e32 v53, 3, v52
	v_sub_u32_e32 v55, 29, v56
	v_and_b32_e32 v54, 7, v54
	v_cmp_gt_u32_e32 vcc, 8, v52
	v_cndmask_b32_e32 v52, v53, v55, vcc
	v_cndmask_b32_e32 v42, v42, v54, vcc
	v_lshlrev_b32_e32 v34, 24, v34
	v_lshlrev_b32_e32 v42, 20, v42
	v_and_b32_e32 v34, 0x80000000, v34
	v_lshl_add_u32 v52, v52, 23, v38
	v_or3_b32 v34, v34, v52, v42
	v_lshrrev_b32_e32 v42, 16, v34
.LBB903_129:                            ;   in Loop: Header=BB903_17 Depth=1
	s_or_b64 exec, exec, s[10:11]
.LBB903_130:                            ;   in Loop: Header=BB903_17 Depth=1
	s_or_b64 exec, exec, s[6:7]
.LBB903_131:                            ;   in Loop: Header=BB903_17 Depth=1
	s_or_b64 exec, exec, s[4:5]
	v_cmp_lt_u32_e32 vcc, s15, v32
	s_and_saveexec_b64 s[4:5], vcc
	s_cbranch_execz .LBB903_137
; %bb.132:                              ;   in Loop: Header=BB903_17 Depth=1
	v_lshrrev_b32_e32 v34, 24, v32
	v_cmp_ne_u32_e32 vcc, s13, v34
	v_mov_b32_e32 v44, 0xffff8000
	s_and_saveexec_b64 s[6:7], vcc
	s_cbranch_execz .LBB903_136
; %bb.133:                              ;   in Loop: Header=BB903_17 Depth=1
	v_bfe_u32 v32, v32, 24, 7
	v_cmp_ne_u32_e32 vcc, s14, v32
	v_mov_b32_e32 v44, 0x7f80
	s_and_saveexec_b64 s[10:11], vcc
	s_cbranch_execz .LBB903_135
; %bb.134:                              ;   in Loop: Header=BB903_17 Depth=1
	v_and_b32_e32 v44, 7, v34
	v_ffbh_u32_e32 v52, v44
	v_min_u32_e32 v55, 32, v52
	v_subrev_u32_e32 v52, 28, v55
	v_lshlrev_b64 v[52:53], v52, v[34:35]
	v_lshrrev_b32_e32 v54, 3, v32
	v_sub_u32_e32 v53, 29, v55
	v_and_b32_e32 v52, 7, v52
	v_cmp_gt_u32_e32 vcc, 8, v32
	v_cndmask_b32_e32 v32, v54, v53, vcc
	v_cndmask_b32_e32 v44, v44, v52, vcc
	v_lshlrev_b32_e32 v34, 24, v34
	v_lshlrev_b32_e32 v44, 20, v44
	v_and_b32_e32 v34, 0x80000000, v34
	v_lshl_add_u32 v32, v32, 23, v38
	v_or3_b32 v32, v34, v32, v44
	v_lshrrev_b32_e32 v44, 16, v32
.LBB903_135:                            ;   in Loop: Header=BB903_17 Depth=1
	s_or_b64 exec, exec, s[10:11]
.LBB903_136:                            ;   in Loop: Header=BB903_17 Depth=1
	s_or_b64 exec, exec, s[6:7]
.LBB903_137:                            ;   in Loop: Header=BB903_17 Depth=1
	s_or_b64 exec, exec, s[4:5]
	s_waitcnt vmcnt(2)
	v_cmp_ne_u16_sdwa s[6:7], v30, v35 src0_sel:BYTE_0 src1_sel:DWORD
	v_mov_b32_e32 v34, 0
	v_mov_b32_e32 v52, 0
	s_and_saveexec_b64 s[4:5], s[6:7]
	s_cbranch_execz .LBB903_143
; %bb.138:                              ;   in Loop: Header=BB903_17 Depth=1
	v_cmp_ne_u16_sdwa s[10:11], v30, s13 src0_sel:BYTE_0 src1_sel:DWORD
	v_mov_b32_e32 v52, 0xffff8000
	s_and_saveexec_b64 s[6:7], s[10:11]
	s_cbranch_execz .LBB903_142
; %bb.139:                              ;   in Loop: Header=BB903_17 Depth=1
	v_and_b32_e32 v32, 0x7f, v30
	v_cmp_ne_u32_e32 vcc, s14, v32
	v_mov_b32_e32 v52, 0x7f80
	s_and_saveexec_b64 s[10:11], vcc
	s_cbranch_execz .LBB903_141
; %bb.140:                              ;   in Loop: Header=BB903_17 Depth=1
	v_and_b32_e32 v54, 7, v30
	v_ffbh_u32_e32 v52, v54
	v_min_u32_e32 v56, 32, v52
	v_subrev_u32_e32 v52, 28, v56
	v_lshlrev_b64 v[52:53], v52, v[30:31]
	v_lshrrev_b32_e32 v55, 3, v32
	v_sub_u32_e32 v53, 29, v56
	v_and_b32_e32 v52, 7, v52
	v_cmp_gt_u32_e32 vcc, 8, v32
	v_cndmask_b32_e32 v32, v55, v53, vcc
	v_cndmask_b32_e32 v52, v54, v52, vcc
	v_lshlrev_b32_e32 v53, 24, v30
	v_lshlrev_b32_e32 v52, 20, v52
	v_and_b32_e32 v53, 0x80000000, v53
	v_lshl_add_u32 v32, v32, 23, v38
	v_or3_b32 v32, v53, v32, v52
	v_lshrrev_b32_e32 v52, 16, v32
.LBB903_141:                            ;   in Loop: Header=BB903_17 Depth=1
	s_or_b64 exec, exec, s[10:11]
.LBB903_142:                            ;   in Loop: Header=BB903_17 Depth=1
	s_or_b64 exec, exec, s[6:7]
.LBB903_143:                            ;   in Loop: Header=BB903_17 Depth=1
	s_or_b64 exec, exec, s[4:5]
	v_lshrrev_b16_e32 v32, 8, v30
	v_cmp_ne_u16_e32 vcc, 0, v32
	s_and_saveexec_b64 s[4:5], vcc
	s_cbranch_execz .LBB903_149
; %bb.144:                              ;   in Loop: Header=BB903_17 Depth=1
	v_cmp_ne_u16_e32 vcc, s13, v32
	v_mov_b32_e32 v34, 0xffff8000
	s_and_saveexec_b64 s[6:7], vcc
	s_cbranch_execz .LBB903_148
; %bb.145:                              ;   in Loop: Header=BB903_17 Depth=1
	v_and_b32_e32 v53, 0x7f, v32
	v_cmp_ne_u32_e32 vcc, s14, v53
	v_mov_b32_e32 v34, 0x7f80
	s_and_saveexec_b64 s[10:11], vcc
	s_cbranch_execz .LBB903_147
; %bb.146:                              ;   in Loop: Header=BB903_17 Depth=1
	v_and_b32_e32 v34, 7, v32
	v_ffbh_u32_e32 v54, v34
	v_min_u32_e32 v57, 32, v54
	v_subrev_u32_e32 v54, 28, v57
	v_lshlrev_b64 v[54:55], v54, v[32:33]
	v_lshrrev_b32_e32 v56, 3, v53
	v_sub_u32_e32 v32, 29, v57
	v_and_b32_e32 v54, 7, v54
	v_cmp_gt_u32_e32 vcc, 8, v53
	v_cndmask_b32_e32 v32, v56, v32, vcc
	v_cndmask_b32_e32 v34, v34, v54, vcc
	v_lshlrev_b32_e32 v53, 16, v30
	v_lshlrev_b32_e32 v34, 20, v34
	v_and_b32_e32 v53, 0x80000000, v53
	v_lshl_add_u32 v32, v32, 23, v38
	v_or3_b32 v32, v53, v32, v34
	v_lshrrev_b32_e32 v34, 16, v32
.LBB903_147:                            ;   in Loop: Header=BB903_17 Depth=1
	s_or_b64 exec, exec, s[10:11]
.LBB903_148:                            ;   in Loop: Header=BB903_17 Depth=1
	s_or_b64 exec, exec, s[6:7]
.LBB903_149:                            ;   in Loop: Header=BB903_17 Depth=1
	s_or_b64 exec, exec, s[4:5]
	v_lshrrev_b32_e32 v32, 16, v30
	v_cmp_ne_u16_sdwa s[6:7], v32, v35 src0_sel:BYTE_0 src1_sel:DWORD
	v_mov_b32_e32 v54, 0
	v_mov_b32_e32 v53, 0
	s_and_saveexec_b64 s[4:5], s[6:7]
	s_cbranch_execz .LBB903_155
; %bb.150:                              ;   in Loop: Header=BB903_17 Depth=1
	v_cmp_ne_u16_sdwa s[10:11], v32, s13 src0_sel:BYTE_0 src1_sel:DWORD
	v_mov_b32_e32 v53, 0xffff8000
	s_and_saveexec_b64 s[6:7], s[10:11]
	s_cbranch_execz .LBB903_154
; %bb.151:                              ;   in Loop: Header=BB903_17 Depth=1
	v_bfe_u32 v55, v30, 16, 7
	v_cmp_ne_u32_e32 vcc, s14, v55
	v_mov_b32_e32 v53, 0x7f80
	s_and_saveexec_b64 s[10:11], vcc
	s_cbranch_execz .LBB903_153
; %bb.152:                              ;   in Loop: Header=BB903_17 Depth=1
	v_and_b32_e32 v53, 7, v32
	v_ffbh_u32_e32 v56, v53
	v_min_u32_e32 v59, 32, v56
	v_subrev_u32_e32 v56, 28, v59
	v_lshlrev_b64 v[56:57], v56, v[32:33]
	v_lshrrev_b32_e32 v58, 3, v55
	v_sub_u32_e32 v57, 29, v59
	v_and_b32_e32 v56, 7, v56
	v_cmp_gt_u32_e32 vcc, 8, v55
	v_cndmask_b32_e32 v55, v58, v57, vcc
	v_cndmask_b32_e32 v53, v53, v56, vcc
	v_lshlrev_b32_e32 v32, 24, v32
	v_lshlrev_b32_e32 v53, 20, v53
	v_and_b32_e32 v32, 0x80000000, v32
	v_lshl_add_u32 v55, v55, 23, v38
	v_or3_b32 v32, v32, v55, v53
	v_lshrrev_b32_e32 v53, 16, v32
.LBB903_153:                            ;   in Loop: Header=BB903_17 Depth=1
	s_or_b64 exec, exec, s[10:11]
.LBB903_154:                            ;   in Loop: Header=BB903_17 Depth=1
	s_or_b64 exec, exec, s[6:7]
.LBB903_155:                            ;   in Loop: Header=BB903_17 Depth=1
	s_or_b64 exec, exec, s[4:5]
	v_cmp_lt_u32_e32 vcc, s15, v30
	s_and_saveexec_b64 s[4:5], vcc
	s_cbranch_execz .LBB903_161
; %bb.156:                              ;   in Loop: Header=BB903_17 Depth=1
	v_lshrrev_b32_e32 v32, 24, v30
	v_cmp_ne_u32_e32 vcc, s13, v32
	v_mov_b32_e32 v54, 0xffff8000
	s_and_saveexec_b64 s[6:7], vcc
	s_cbranch_execz .LBB903_160
; %bb.157:                              ;   in Loop: Header=BB903_17 Depth=1
	v_bfe_u32 v30, v30, 24, 7
	v_cmp_ne_u32_e32 vcc, s14, v30
	v_mov_b32_e32 v54, 0x7f80
	s_and_saveexec_b64 s[10:11], vcc
	s_cbranch_execz .LBB903_159
; %bb.158:                              ;   in Loop: Header=BB903_17 Depth=1
	v_and_b32_e32 v56, 7, v32
	v_ffbh_u32_e32 v54, v56
	v_min_u32_e32 v58, 32, v54
	v_subrev_u32_e32 v54, 28, v58
	v_lshlrev_b64 v[54:55], v54, v[32:33]
	v_lshrrev_b32_e32 v57, 3, v30
	v_sub_u32_e32 v55, 29, v58
	v_and_b32_e32 v54, 7, v54
	v_cmp_gt_u32_e32 vcc, 8, v30
	v_cndmask_b32_e32 v30, v57, v55, vcc
	v_cndmask_b32_e32 v54, v56, v54, vcc
	v_lshlrev_b32_e32 v32, 24, v32
	v_lshlrev_b32_e32 v54, 20, v54
	v_and_b32_e32 v32, 0x80000000, v32
	v_lshl_add_u32 v30, v30, 23, v38
	v_or3_b32 v30, v32, v30, v54
	v_lshrrev_b32_e32 v54, 16, v30
.LBB903_159:                            ;   in Loop: Header=BB903_17 Depth=1
	s_or_b64 exec, exec, s[10:11]
.LBB903_160:                            ;   in Loop: Header=BB903_17 Depth=1
	s_or_b64 exec, exec, s[6:7]
.LBB903_161:                            ;   in Loop: Header=BB903_17 Depth=1
	s_or_b64 exec, exec, s[4:5]
	v_perm_b32 v57, v44, v42, s16
	v_perm_b32 v56, v23, v40, s16
	;; [unrolled: 1-line block ×4, first 2 shown]
	s_waitcnt vmcnt(1)
	v_cmp_ne_u16_sdwa s[6:7], v28, v35 src0_sel:BYTE_0 src1_sel:DWORD
	v_mfma_f32_16x16x16bf16_1k v[18:21], v[56:57], v[10:11], v[18:21]
	v_mov_b32_e32 v23, 0
	v_mov_b32_e32 v32, 0
	v_mfma_f32_16x16x16bf16_1k v[18:21], v[52:53], v[12:13], v[18:21]
	s_and_saveexec_b64 s[4:5], s[6:7]
	s_cbranch_execz .LBB903_167
; %bb.162:                              ;   in Loop: Header=BB903_17 Depth=1
	v_cmp_ne_u16_sdwa s[10:11], v28, s13 src0_sel:BYTE_0 src1_sel:DWORD
	v_mov_b32_e32 v32, 0xffff8000
	s_and_saveexec_b64 s[6:7], s[10:11]
	s_cbranch_execz .LBB903_166
; %bb.163:                              ;   in Loop: Header=BB903_17 Depth=1
	v_and_b32_e32 v30, 0x7f, v28
	v_cmp_ne_u32_e32 vcc, s14, v30
	v_mov_b32_e32 v32, 0x7f80
	s_and_saveexec_b64 s[10:11], vcc
	s_cbranch_execz .LBB903_165
; %bb.164:                              ;   in Loop: Header=BB903_17 Depth=1
	v_and_b32_e32 v32, 7, v28
	v_ffbh_u32_e32 v40, v32
	v_min_u32_e32 v40, 32, v40
	v_subrev_u32_e32 v42, 28, v40
	v_lshlrev_b64 v[52:53], v42, v[28:29]
	v_lshrrev_b32_e32 v34, 3, v30
	v_sub_u32_e32 v40, 29, v40
	v_and_b32_e32 v42, 7, v52
	v_cmp_gt_u32_e32 vcc, 8, v30
	v_cndmask_b32_e32 v30, v34, v40, vcc
	v_cndmask_b32_e32 v32, v32, v42, vcc
	v_lshlrev_b32_e32 v34, 24, v28
	v_lshlrev_b32_e32 v32, 20, v32
	v_and_b32_e32 v34, 0x80000000, v34
	v_lshl_add_u32 v30, v30, 23, v38
	v_or3_b32 v30, v34, v30, v32
	v_lshrrev_b32_e32 v32, 16, v30
.LBB903_165:                            ;   in Loop: Header=BB903_17 Depth=1
	s_or_b64 exec, exec, s[10:11]
.LBB903_166:                            ;   in Loop: Header=BB903_17 Depth=1
	s_or_b64 exec, exec, s[6:7]
.LBB903_167:                            ;   in Loop: Header=BB903_17 Depth=1
	s_or_b64 exec, exec, s[4:5]
	v_lshrrev_b16_e32 v30, 8, v28
	v_cmp_ne_u16_e32 vcc, 0, v30
	s_and_saveexec_b64 s[4:5], vcc
	s_cbranch_execz .LBB903_173
; %bb.168:                              ;   in Loop: Header=BB903_17 Depth=1
	v_cmp_ne_u16_e32 vcc, s13, v30
	v_mov_b32_e32 v23, 0xffff8000
	s_and_saveexec_b64 s[6:7], vcc
	s_cbranch_execz .LBB903_172
; %bb.169:                              ;   in Loop: Header=BB903_17 Depth=1
	v_and_b32_e32 v34, 0x7f, v30
	v_cmp_ne_u32_e32 vcc, s14, v34
	v_mov_b32_e32 v23, 0x7f80
	s_and_saveexec_b64 s[10:11], vcc
	s_cbranch_execz .LBB903_171
; %bb.170:                              ;   in Loop: Header=BB903_17 Depth=1
	v_and_b32_e32 v23, 7, v30
	v_ffbh_u32_e32 v42, v23
	v_min_u32_e32 v42, 32, v42
	v_subrev_u32_e32 v44, 28, v42
	v_lshlrev_b64 v[52:53], v44, v[30:31]
	v_lshrrev_b32_e32 v40, 3, v34
	v_sub_u32_e32 v30, 29, v42
	v_and_b32_e32 v42, 7, v52
	v_cmp_gt_u32_e32 vcc, 8, v34
	v_cndmask_b32_e32 v30, v40, v30, vcc
	v_cndmask_b32_e32 v23, v23, v42, vcc
	v_lshlrev_b32_e32 v34, 16, v28
	v_lshlrev_b32_e32 v23, 20, v23
	v_and_b32_e32 v34, 0x80000000, v34
	v_lshl_add_u32 v30, v30, 23, v38
	v_or3_b32 v23, v34, v30, v23
	v_lshrrev_b32_e32 v23, 16, v23
.LBB903_171:                            ;   in Loop: Header=BB903_17 Depth=1
	s_or_b64 exec, exec, s[10:11]
.LBB903_172:                            ;   in Loop: Header=BB903_17 Depth=1
	s_or_b64 exec, exec, s[6:7]
.LBB903_173:                            ;   in Loop: Header=BB903_17 Depth=1
	s_or_b64 exec, exec, s[4:5]
	v_lshrrev_b32_e32 v30, 16, v28
	v_cmp_ne_u16_sdwa s[6:7], v30, v35 src0_sel:BYTE_0 src1_sel:DWORD
	v_mov_b32_e32 v40, 0
	v_mov_b32_e32 v34, 0
	s_and_saveexec_b64 s[4:5], s[6:7]
	s_cbranch_execz .LBB903_179
; %bb.174:                              ;   in Loop: Header=BB903_17 Depth=1
	v_cmp_ne_u16_sdwa s[10:11], v30, s13 src0_sel:BYTE_0 src1_sel:DWORD
	v_mov_b32_e32 v34, 0xffff8000
	s_and_saveexec_b64 s[6:7], s[10:11]
	s_cbranch_execz .LBB903_178
; %bb.175:                              ;   in Loop: Header=BB903_17 Depth=1
	v_bfe_u32 v42, v28, 16, 7
	v_cmp_ne_u32_e32 vcc, s14, v42
	v_mov_b32_e32 v34, 0x7f80
	s_and_saveexec_b64 s[10:11], vcc
	s_cbranch_execz .LBB903_177
; %bb.176:                              ;   in Loop: Header=BB903_17 Depth=1
	v_and_b32_e32 v34, 7, v30
	v_ffbh_u32_e32 v52, v34
	v_min_u32_e32 v54, 32, v52
	v_subrev_u32_e32 v52, 28, v54
	v_lshlrev_b64 v[52:53], v52, v[30:31]
	v_lshrrev_b32_e32 v44, 3, v42
	v_sub_u32_e32 v53, 29, v54
	v_and_b32_e32 v52, 7, v52
	v_cmp_gt_u32_e32 vcc, 8, v42
	v_cndmask_b32_e32 v42, v44, v53, vcc
	v_cndmask_b32_e32 v34, v34, v52, vcc
	v_lshlrev_b32_e32 v30, 24, v30
	v_lshlrev_b32_e32 v34, 20, v34
	v_and_b32_e32 v30, 0x80000000, v30
	v_lshl_add_u32 v42, v42, 23, v38
	v_or3_b32 v30, v30, v42, v34
	v_lshrrev_b32_e32 v34, 16, v30
.LBB903_177:                            ;   in Loop: Header=BB903_17 Depth=1
	s_or_b64 exec, exec, s[10:11]
.LBB903_178:                            ;   in Loop: Header=BB903_17 Depth=1
	s_or_b64 exec, exec, s[6:7]
.LBB903_179:                            ;   in Loop: Header=BB903_17 Depth=1
	s_or_b64 exec, exec, s[4:5]
	v_cmp_lt_u32_e32 vcc, s15, v28
	s_and_saveexec_b64 s[4:5], vcc
	s_cbranch_execz .LBB903_185
; %bb.180:                              ;   in Loop: Header=BB903_17 Depth=1
	v_lshrrev_b32_e32 v30, 24, v28
	v_cmp_ne_u32_e32 vcc, s13, v30
	v_mov_b32_e32 v40, 0xffff8000
	s_and_saveexec_b64 s[6:7], vcc
	s_cbranch_execz .LBB903_184
; %bb.181:                              ;   in Loop: Header=BB903_17 Depth=1
	v_bfe_u32 v28, v28, 24, 7
	v_cmp_ne_u32_e32 vcc, s14, v28
	v_mov_b32_e32 v40, 0x7f80
	s_and_saveexec_b64 s[10:11], vcc
	s_cbranch_execz .LBB903_183
; %bb.182:                              ;   in Loop: Header=BB903_17 Depth=1
	v_and_b32_e32 v40, 7, v30
	v_ffbh_u32_e32 v44, v40
	v_min_u32_e32 v44, 32, v44
	v_subrev_u32_e32 v52, 28, v44
	v_lshlrev_b64 v[52:53], v52, v[30:31]
	v_lshrrev_b32_e32 v42, 3, v28
	v_sub_u32_e32 v44, 29, v44
	v_and_b32_e32 v52, 7, v52
	v_cmp_gt_u32_e32 vcc, 8, v28
	v_cndmask_b32_e32 v28, v42, v44, vcc
	v_cndmask_b32_e32 v40, v40, v52, vcc
	v_lshlrev_b32_e32 v30, 24, v30
	v_lshlrev_b32_e32 v40, 20, v40
	v_and_b32_e32 v30, 0x80000000, v30
	v_lshl_add_u32 v28, v28, 23, v38
	v_or3_b32 v28, v30, v28, v40
	v_lshrrev_b32_e32 v40, 16, v28
.LBB903_183:                            ;   in Loop: Header=BB903_17 Depth=1
	s_or_b64 exec, exec, s[10:11]
.LBB903_184:                            ;   in Loop: Header=BB903_17 Depth=1
	s_or_b64 exec, exec, s[6:7]
.LBB903_185:                            ;   in Loop: Header=BB903_17 Depth=1
	s_or_b64 exec, exec, s[4:5]
	s_waitcnt vmcnt(0)
	v_cmp_ne_u16_sdwa s[6:7], v26, v35 src0_sel:BYTE_0 src1_sel:DWORD
	v_mov_b32_e32 v30, 0
	v_mov_b32_e32 v42, 0
	s_and_saveexec_b64 s[4:5], s[6:7]
	s_cbranch_execz .LBB903_191
; %bb.186:                              ;   in Loop: Header=BB903_17 Depth=1
	v_cmp_ne_u16_sdwa s[10:11], v26, s13 src0_sel:BYTE_0 src1_sel:DWORD
	v_mov_b32_e32 v42, 0xffff8000
	s_and_saveexec_b64 s[6:7], s[10:11]
	s_cbranch_execz .LBB903_190
; %bb.187:                              ;   in Loop: Header=BB903_17 Depth=1
	v_and_b32_e32 v28, 0x7f, v26
	v_cmp_ne_u32_e32 vcc, s14, v28
	v_mov_b32_e32 v42, 0x7f80
	s_and_saveexec_b64 s[10:11], vcc
	s_cbranch_execz .LBB903_189
; %bb.188:                              ;   in Loop: Header=BB903_17 Depth=1
	v_and_b32_e32 v42, 7, v26
	v_ffbh_u32_e32 v52, v42
	v_min_u32_e32 v54, 32, v52
	v_subrev_u32_e32 v52, 28, v54
	v_lshlrev_b64 v[52:53], v52, v[26:27]
	v_lshrrev_b32_e32 v44, 3, v28
	v_sub_u32_e32 v53, 29, v54
	v_and_b32_e32 v52, 7, v52
	v_cmp_gt_u32_e32 vcc, 8, v28
	v_cndmask_b32_e32 v28, v44, v53, vcc
	v_cndmask_b32_e32 v42, v42, v52, vcc
	v_lshlrev_b32_e32 v44, 24, v26
	v_lshlrev_b32_e32 v42, 20, v42
	v_and_b32_e32 v44, 0x80000000, v44
	v_lshl_add_u32 v28, v28, 23, v38
	v_or3_b32 v28, v44, v28, v42
	v_lshrrev_b32_e32 v42, 16, v28
.LBB903_189:                            ;   in Loop: Header=BB903_17 Depth=1
	s_or_b64 exec, exec, s[10:11]
.LBB903_190:                            ;   in Loop: Header=BB903_17 Depth=1
	s_or_b64 exec, exec, s[6:7]
.LBB903_191:                            ;   in Loop: Header=BB903_17 Depth=1
	s_or_b64 exec, exec, s[4:5]
	v_lshrrev_b16_e32 v28, 8, v26
	v_cmp_ne_u16_e32 vcc, 0, v28
	s_and_saveexec_b64 s[4:5], vcc
	s_cbranch_execz .LBB903_197
; %bb.192:                              ;   in Loop: Header=BB903_17 Depth=1
	v_cmp_ne_u16_e32 vcc, s13, v28
	v_mov_b32_e32 v30, 0xffff8000
	s_and_saveexec_b64 s[6:7], vcc
	s_cbranch_execz .LBB903_196
; %bb.193:                              ;   in Loop: Header=BB903_17 Depth=1
	v_and_b32_e32 v44, 0x7f, v28
	v_cmp_ne_u32_e32 vcc, s14, v44
	v_mov_b32_e32 v30, 0x7f80
	s_and_saveexec_b64 s[10:11], vcc
	s_cbranch_execz .LBB903_195
; %bb.194:                              ;   in Loop: Header=BB903_17 Depth=1
	v_and_b32_e32 v30, 7, v28
	v_ffbh_u32_e32 v52, v30
	v_min_u32_e32 v55, 32, v52
	v_subrev_u32_e32 v52, 28, v55
	v_lshlrev_b64 v[52:53], v52, v[28:29]
	v_lshrrev_b32_e32 v54, 3, v44
	v_sub_u32_e32 v28, 29, v55
	v_and_b32_e32 v52, 7, v52
	v_cmp_gt_u32_e32 vcc, 8, v44
	v_cndmask_b32_e32 v28, v54, v28, vcc
	v_cndmask_b32_e32 v30, v30, v52, vcc
	v_lshlrev_b32_e32 v44, 16, v26
	v_lshlrev_b32_e32 v30, 20, v30
	v_and_b32_e32 v44, 0x80000000, v44
	v_lshl_add_u32 v28, v28, 23, v38
	v_or3_b32 v28, v44, v28, v30
	v_lshrrev_b32_e32 v30, 16, v28
.LBB903_195:                            ;   in Loop: Header=BB903_17 Depth=1
	s_or_b64 exec, exec, s[10:11]
.LBB903_196:                            ;   in Loop: Header=BB903_17 Depth=1
	s_or_b64 exec, exec, s[6:7]
.LBB903_197:                            ;   in Loop: Header=BB903_17 Depth=1
	s_or_b64 exec, exec, s[4:5]
	v_lshrrev_b32_e32 v28, 16, v26
	v_cmp_ne_u16_sdwa s[6:7], v28, v35 src0_sel:BYTE_0 src1_sel:DWORD
	v_mov_b32_e32 v52, 0
	v_mov_b32_e32 v44, 0
	s_and_saveexec_b64 s[4:5], s[6:7]
	s_cbranch_execz .LBB903_203
; %bb.198:                              ;   in Loop: Header=BB903_17 Depth=1
	v_cmp_ne_u16_sdwa s[10:11], v28, s13 src0_sel:BYTE_0 src1_sel:DWORD
	v_mov_b32_e32 v44, 0xffff8000
	s_and_saveexec_b64 s[6:7], s[10:11]
	s_cbranch_execz .LBB903_202
; %bb.199:                              ;   in Loop: Header=BB903_17 Depth=1
	v_bfe_u32 v53, v26, 16, 7
	v_cmp_ne_u32_e32 vcc, s14, v53
	v_mov_b32_e32 v44, 0x7f80
	s_and_saveexec_b64 s[10:11], vcc
	s_cbranch_execz .LBB903_201
; %bb.200:                              ;   in Loop: Header=BB903_17 Depth=1
	v_and_b32_e32 v44, 7, v28
	v_ffbh_u32_e32 v54, v44
	v_min_u32_e32 v57, 32, v54
	v_subrev_u32_e32 v54, 28, v57
	v_lshlrev_b64 v[54:55], v54, v[28:29]
	v_lshrrev_b32_e32 v56, 3, v53
	v_sub_u32_e32 v55, 29, v57
	v_and_b32_e32 v54, 7, v54
	v_cmp_gt_u32_e32 vcc, 8, v53
	v_cndmask_b32_e32 v53, v56, v55, vcc
	v_cndmask_b32_e32 v44, v44, v54, vcc
	v_lshlrev_b32_e32 v28, 24, v28
	v_lshlrev_b32_e32 v44, 20, v44
	v_and_b32_e32 v28, 0x80000000, v28
	v_lshl_add_u32 v53, v53, 23, v38
	v_or3_b32 v28, v28, v53, v44
	v_lshrrev_b32_e32 v44, 16, v28
.LBB903_201:                            ;   in Loop: Header=BB903_17 Depth=1
	s_or_b64 exec, exec, s[10:11]
.LBB903_202:                            ;   in Loop: Header=BB903_17 Depth=1
	s_or_b64 exec, exec, s[6:7]
.LBB903_203:                            ;   in Loop: Header=BB903_17 Depth=1
	s_or_b64 exec, exec, s[4:5]
	v_cmp_lt_u32_e32 vcc, s15, v26
	s_and_saveexec_b64 s[4:5], vcc
	s_cbranch_execz .LBB903_16
; %bb.204:                              ;   in Loop: Header=BB903_17 Depth=1
	v_lshrrev_b32_e32 v28, 24, v26
	v_cmp_ne_u32_e32 vcc, s13, v28
	v_mov_b32_e32 v52, 0xffff8000
	s_and_saveexec_b64 s[6:7], vcc
	s_cbranch_execz .LBB903_15
; %bb.205:                              ;   in Loop: Header=BB903_17 Depth=1
	v_bfe_u32 v26, v26, 24, 7
	v_cmp_ne_u32_e32 vcc, s14, v26
	v_mov_b32_e32 v52, 0x7f80
	s_and_saveexec_b64 s[10:11], vcc
	s_cbranch_execz .LBB903_14
; %bb.206:                              ;   in Loop: Header=BB903_17 Depth=1
	v_and_b32_e32 v54, 7, v28
	v_ffbh_u32_e32 v52, v54
	v_min_u32_e32 v56, 32, v52
	v_subrev_u32_e32 v52, 28, v56
	v_lshlrev_b64 v[52:53], v52, v[28:29]
	v_lshrrev_b32_e32 v55, 3, v26
	v_sub_u32_e32 v53, 29, v56
	v_and_b32_e32 v52, 7, v52
	v_cmp_gt_u32_e32 vcc, 8, v26
	v_cndmask_b32_e32 v26, v55, v53, vcc
	v_cndmask_b32_e32 v52, v54, v52, vcc
	v_lshlrev_b32_e32 v28, 24, v28
	v_lshlrev_b32_e32 v52, 20, v52
	v_and_b32_e32 v28, 0x80000000, v28
	v_lshl_add_u32 v26, v26, 23, v38
	v_or3_b32 v26, v28, v26, v52
	v_lshrrev_b32_e32 v52, 16, v26
	s_branch .LBB903_14
.LBB903_207:
	buffer_load_dword v17, off, s[0:3], 0 offset:256
	buffer_load_dword v16, off, s[0:3], 0 offset:260
	;; [unrolled: 1-line block ×16, first 2 shown]
	v_and_b32_e32 v18, 0xc0, v0
	v_add_u32_e32 v18, s20, v18
	v_lshl_or_b32 v18, v1, 2, v18
	v_or_b32_e32 v20, 1, v18
	v_subrev_u32_e32 v24, s33, v20
	v_add_u32_e32 v26, 1, v24
	v_cvt_f32_i32_e32 v25, v24
	v_add_u32_e32 v28, 2, v24
	v_add_u32_e32 v30, 3, v24
	;; [unrolled: 1-line block ×14, first 2 shown]
	v_cvt_f32_i32_e32 v26, v26
	v_cvt_f32_i32_e32 v28, v28
	;; [unrolled: 1-line block ×4, first 2 shown]
	v_mov_b32_e32 v19, 0xff7fffff
	v_or_b32_e32 v21, 2, v18
	v_or_b32_e32 v22, 3, v18
	v_cvt_f32_i32_e32 v32, v32
	v_cvt_f32_i32_e32 v34, v34
	v_cmp_gt_i32_e64 s[28:29], s33, v18
	v_cmp_gt_i32_e64 s[30:31], s33, v20
	s_mov_b32 s52, 0xff7fffff
	v_cmp_gt_i32_e64 s[34:35], s33, v21
	v_cmp_gt_i32_e64 s[36:37], s33, v22
	v_or_b32_e32 v23, 16, v18
	v_cvt_f32_i32_e32 v35, v35
	v_cvt_f32_i32_e32 v36, v36
	v_cmp_gt_i32_e64 s[24:25], s33, v23
	v_cvt_f32_i32_e32 v37, v37
	v_cvt_f32_i32_e32 v38, v38
	;; [unrolled: 1-line block ×7, first 2 shown]
	s_waitcnt vmcnt(15)
	v_fmac_f32_e32 v17, v31, v25
	s_waitcnt vmcnt(14)
	v_fmac_f32_e32 v16, v31, v26
	s_waitcnt vmcnt(13)
	v_fmac_f32_e32 v15, v31, v28
	s_waitcnt vmcnt(12)
	v_fmac_f32_e32 v14, v31, v30
	v_cndmask_b32_e64 v20, v19, v16, s[30:31]
	v_cndmask_b32_e64 v21, v19, v15, s[34:35]
	;; [unrolled: 1-line block ×3, first 2 shown]
	s_waitcnt vmcnt(11)
	v_fmac_f32_e32 v13, v31, v32
	s_waitcnt vmcnt(10)
	v_fmac_f32_e32 v12, v31, v34
	;; [unrolled: 2-line block ×9, first 2 shown]
	v_cndmask_b32_e64 v24, v19, v17, s[28:29]
	v_max3_f32 v20, v24, s52, v20
	v_max3_f32 v20, v20, v21, v22
	v_or_b32_e32 v22, 17, v18
	v_cmp_gt_i32_e64 s[38:39], s33, v22
	v_cndmask_b32_e64 v21, v19, v13, s[24:25]
	v_cndmask_b32_e64 v22, v19, v12, s[38:39]
	v_max3_f32 v20, v20, v21, v22
	v_or_b32_e32 v21, 18, v18
	v_or_b32_e32 v22, 19, v18
	v_cmp_gt_i32_e64 s[20:21], s33, v21
	v_cmp_gt_i32_e64 s[22:23], s33, v22
	v_cndmask_b32_e64 v21, v19, v11, s[20:21]
	v_cndmask_b32_e64 v22, v19, v10, s[22:23]
	v_max3_f32 v20, v20, v21, v22
	v_or_b32_e32 v21, 32, v18
	v_or_b32_e32 v22, 33, v18
	v_cmp_gt_i32_e64 s[16:17], s33, v21
	;; [unrolled: 7-line block ×3, first 2 shown]
	v_cmp_gt_i32_e64 s[14:15], s33, v22
	v_cndmask_b32_e64 v21, v19, v7, s[12:13]
	v_cndmask_b32_e64 v22, v19, v6, s[14:15]
	v_max3_f32 v20, v20, v21, v22
	v_or_b32_e32 v21, 48, v18
	v_or_b32_e32 v22, 49, v18
	v_fmac_f32_e32 v5, v31, v44
	v_fmac_f32_e32 v4, v31, v52
	v_cmp_gt_i32_e64 s[6:7], s33, v21
	v_cmp_gt_i32_e64 s[10:11], s33, v22
	v_cndmask_b32_e64 v21, v19, v5, s[6:7]
	v_cndmask_b32_e64 v22, v19, v4, s[10:11]
	v_max3_f32 v20, v20, v21, v22
	v_or_b32_e32 v21, 50, v18
	v_or_b32_e32 v18, 51, v18
	v_fmac_f32_e32 v3, v31, v53
	v_cmp_gt_i32_e32 vcc, s33, v21
	v_cmp_gt_i32_e64 s[4:5], s33, v18
	v_cndmask_b32_e32 v21, v19, v3, vcc
	v_cndmask_b32_e64 v18, v19, v2, s[4:5]
	v_mbcnt_lo_u32_b32 v19, -1, 0
	v_mbcnt_hi_u32_b32 v19, -1, v19
	v_max3_f32 v18, v20, v21, v18
	v_and_b32_e32 v20, 64, v19
	v_add_u32_e32 v20, 64, v20
	v_xor_b32_e32 v21, 32, v19
	v_cmp_lt_i32_e64 s[40:41], v21, v20
	v_cndmask_b32_e64 v21, v19, v21, s[40:41]
	v_lshlrev_b32_e32 v21, 2, v21
	ds_bpermute_b32 v22, v21, v18
	s_waitcnt lgkmcnt(0)
	v_max_f32_e32 v22, v22, v22
	v_max_f32_e32 v18, v18, v22
	v_xor_b32_e32 v22, 16, v19
	v_cmp_lt_i32_e64 s[40:41], v22, v20
	v_cndmask_b32_e64 v19, v19, v22, s[40:41]
	v_lshlrev_b32_e32 v19, 2, v19
	ds_bpermute_b32 v20, v19, v18
	s_waitcnt lgkmcnt(0)
	v_max_f32_e32 v20, v20, v20
	v_max_f32_e32 v18, v18, v20
	v_sub_f32_e32 v17, v17, v18
	v_mul_f32_e32 v17, 0x3fb8aa3b, v17
	v_sub_f32_e32 v16, v16, v18
	v_exp_f32_e32 v17, v17
	v_mul_f32_e32 v16, 0x3fb8aa3b, v16
	v_sub_f32_e32 v15, v15, v18
	v_exp_f32_e32 v16, v16
	;; [unrolled: 3-line block ×4, first 2 shown]
	v_mul_f32_e32 v13, 0x3fb8aa3b, v13
	v_sub_f32_e32 v12, v12, v18
	v_cndmask_b32_e64 v17, 0, v17, s[28:29]
	v_exp_f32_e32 v13, v13
	v_mul_f32_e32 v12, 0x3fb8aa3b, v12
	v_sub_f32_e32 v11, v11, v18
	v_add_f32_e32 v20, 0, v17
	v_cndmask_b32_e64 v16, 0, v16, s[30:31]
	v_exp_f32_e32 v12, v12
	v_mul_f32_e32 v11, 0x3fb8aa3b, v11
	v_sub_f32_e32 v10, v10, v18
	v_add_f32_e32 v20, v20, v16
	;; [unrolled: 5-line block ×4, first 2 shown]
	v_cndmask_b32_e64 v13, 0, v13, s[24:25]
	v_exp_f32_e32 v9, v9
	v_mul_f32_e32 v8, 0x3fb8aa3b, v8
	v_sub_f32_e32 v7, v7, v18
	buffer_store_dword v17, off, s[0:3], 0 offset:256
	buffer_store_dword v16, off, s[0:3], 0 offset:260
	;; [unrolled: 1-line block ×4, first 2 shown]
	v_add_f32_e32 v14, v20, v13
	v_cndmask_b32_e64 v12, 0, v12, s[38:39]
	v_exp_f32_e32 v8, v8
	v_mul_f32_e32 v7, 0x3fb8aa3b, v7
	v_sub_f32_e32 v6, v6, v18
	v_add_f32_e32 v14, v14, v12
	v_cndmask_b32_e64 v11, 0, v11, s[20:21]
	v_exp_f32_e32 v7, v7
	v_mul_f32_e32 v6, 0x3fb8aa3b, v6
	v_sub_f32_e32 v5, v5, v18
	v_add_f32_e32 v14, v14, v11
	v_cndmask_b32_e64 v10, 0, v10, s[22:23]
	v_exp_f32_e32 v6, v6
	v_mul_f32_e32 v5, 0x3fb8aa3b, v5
	v_sub_f32_e32 v4, v4, v18
	v_add_f32_e32 v14, v14, v10
	v_cndmask_b32_e64 v9, 0, v9, s[16:17]
	v_exp_f32_e32 v5, v5
	v_mul_f32_e32 v4, 0x3fb8aa3b, v4
	v_sub_f32_e32 v3, v3, v18
	buffer_store_dword v13, off, s[0:3], 0 offset:272
	buffer_store_dword v12, off, s[0:3], 0 offset:276
	;; [unrolled: 1-line block ×4, first 2 shown]
	v_add_f32_e32 v10, v14, v9
	v_cndmask_b32_e64 v8, 0, v8, s[18:19]
	v_exp_f32_e32 v4, v4
	v_mul_f32_e32 v3, 0x3fb8aa3b, v3
	v_sub_f32_e32 v2, v2, v18
	v_add_f32_e32 v10, v10, v8
	v_cndmask_b32_e64 v7, 0, v7, s[12:13]
	v_exp_f32_e32 v3, v3
	v_mul_f32_e32 v2, 0x3fb8aa3b, v2
	v_add_f32_e32 v10, v10, v7
	v_cndmask_b32_e64 v6, 0, v6, s[14:15]
	v_exp_f32_e32 v2, v2
	v_add_f32_e32 v10, v10, v6
	v_cndmask_b32_e64 v5, 0, v5, s[6:7]
	buffer_store_dword v9, off, s[0:3], 0 offset:288
	buffer_store_dword v8, off, s[0:3], 0 offset:292
	;; [unrolled: 1-line block ×4, first 2 shown]
	v_add_f32_e32 v6, v10, v5
	v_cndmask_b32_e64 v4, 0, v4, s[10:11]
	v_add_f32_e32 v6, v6, v4
	v_cndmask_b32_e32 v3, 0, v3, vcc
	v_add_f32_e32 v6, v6, v3
	v_cndmask_b32_e64 v2, 0, v2, s[4:5]
	v_add_f32_e32 v6, v6, v2
	ds_bpermute_b32 v7, v21, v6
	buffer_store_dword v5, off, s[0:3], 0 offset:304
	buffer_store_dword v4, off, s[0:3], 0 offset:308
	;; [unrolled: 1-line block ×4, first 2 shown]
	v_cmp_gt_u32_e32 vcc, 16, v33
	s_waitcnt lgkmcnt(0)
	s_barrier
	v_add_f32_e32 v2, v6, v7
	ds_bpermute_b32 v3, v19, v2
	s_waitcnt lgkmcnt(0)
	s_and_saveexec_b64 s[4:5], vcc
	s_cbranch_execz .LBB903_209
; %bb.208:
	v_add_f32_e32 v2, v2, v3
	v_lshlrev_b32_e32 v3, 2, v29
	ds_write2st64_b32 v3, v18, v2 offset1:1
.LBB903_209:
	s_or_b64 exec, exec, s[4:5]
	v_lshlrev_b32_e32 v2, 2, v41
	s_waitcnt lgkmcnt(0)
	s_barrier
	ds_read2_b32 v[14:15], v2 offset1:16
	ds_read2_b32 v[16:17], v2 offset0:32 offset1:48
	ds_read2_b32 v[6:7], v2 offset0:64 offset1:80
	;; [unrolled: 1-line block ×3, first 2 shown]
	s_waitcnt lgkmcnt(0)
	s_barrier
	buffer_load_dword v22, off, s[0:3], 0 offset:264
	buffer_load_dword v23, off, s[0:3], 0 offset:268
	;; [unrolled: 1-line block ×16, first 2 shown]
	v_max3_f32 v20, v14, s52, v15
	v_max3_f32 v20, v20, v16, v17
	v_sub_f32_e32 v14, v14, v20
	v_sub_f32_e32 v15, v15, v20
	v_mul_f32_e32 v14, 0x3fb8aa3b, v14
	v_sub_f32_e32 v16, v16, v20
	v_mul_f32_e32 v15, 0x3fb8aa3b, v15
	v_exp_f32_e32 v14, v14
	v_sub_f32_e32 v17, v17, v20
	v_mul_f32_e32 v16, 0x3fb8aa3b, v16
	v_exp_f32_e32 v15, v15
	v_mul_f32_e32 v17, 0x3fb8aa3b, v17
	v_exp_f32_e32 v16, v16
	v_exp_f32_e32 v17, v17
	v_fma_f32 v6, v14, v6, 0
	v_fmac_f32_e32 v6, v15, v7
	v_fmac_f32_e32 v6, v16, v12
	;; [unrolled: 1-line block ×3, first 2 shown]
	v_cmp_eq_u32_e32 vcc, 1, v27
	v_add_f32_e32 v12, 0x358637bd, v6
	v_cndmask_b32_e32 v14, v14, v15, vcc
	v_cmp_eq_u32_e32 vcc, 2, v27
	v_div_scale_f32 v13, s[4:5], v12, v12, 1.0
	v_cndmask_b32_e32 v7, v14, v16, vcc
	v_rcp_f32_e32 v14, v13
	v_cmp_eq_u32_e32 vcc, 3, v27
	v_cndmask_b32_e32 v7, v7, v17, vcc
	v_div_scale_f32 v15, vcc, 1.0, v12, 1.0
	v_fma_f32 v16, -v13, v14, 1.0
	v_fmac_f32_e32 v14, v16, v14
	v_mul_f32_e32 v16, v15, v14
	v_fma_f32 v17, -v13, v16, v15
	v_fmac_f32_e32 v16, v17, v14
	v_fma_f32 v13, -v13, v16, v15
	v_div_fmas_f32 v13, v13, v14, v16
	v_div_fixup_f32 v12, v13, v12, 1.0
	v_mul_f32_e32 v12, v7, v12
	s_movk_i32 s19, 0x7fff
	s_mov_b32 s20, 0x7060302
	s_mul_i32 s18, s49, 10
	v_cmp_gt_u32_e32 vcc, 10, v0
	s_waitcnt vmcnt(14)
	v_pk_mul_f32 v[14:15], v[12:13], v[22:23] op_sel_hi:[0,1]
	v_bfe_u32 v21, v15, 16, 1
	s_waitcnt vmcnt(12)
	v_pk_mul_f32 v[16:17], v[12:13], v[24:25] op_sel_hi:[0,1]
	v_bfe_u32 v7, v17, 16, 1
	v_bfe_u32 v13, v16, 16, 1
	;; [unrolled: 1-line block ×3, first 2 shown]
	v_add3_u32 v13, v16, v13, s19
	v_add3_u32 v7, v17, v7, s19
	buffer_store_dword v16, off, s[0:3], 0 offset:256
	buffer_store_dword v17, off, s[0:3], 0 offset:260
	;; [unrolled: 1-line block ×4, first 2 shown]
	v_add3_u32 v16, v14, v22, s19
	v_add3_u32 v15, v15, v21, s19
	v_perm_b32 v14, v7, v13, s20
	v_lshlrev_b32_e32 v13, 3, v1
	v_perm_b32 v15, v15, v16, s20
	v_lshlrev_b32_e32 v7, 5, v41
	v_lshlrev_b32_e32 v16, 11, v27
	s_waitcnt vmcnt(12)
	v_pk_mul_f32 v[8:9], v[12:13], v[8:9] op_sel_hi:[0,1]
	v_or3_b32 v52, v16, v7, v13
	v_pk_mul_f32 v[10:11], v[12:13], v[10:11] op_sel_hi:[0,1]
	v_bfe_u32 v13, v9, 16, 1
	v_bfe_u32 v16, v8, 16, 1
	buffer_store_dword v8, off, s[0:3], 0 offset:272
	buffer_store_dword v9, off, s[0:3], 0 offset:276
	;; [unrolled: 1-line block ×4, first 2 shown]
	v_add3_u32 v8, v8, v16, s19
	v_add3_u32 v9, v9, v13, s19
	v_perm_b32 v8, v9, v8, s20
	v_bfe_u32 v9, v11, 16, 1
	v_bfe_u32 v13, v10, 16, 1
	v_add3_u32 v10, v10, v13, s19
	v_add3_u32 v9, v11, v9, s19
	v_perm_b32 v9, v9, v10, s20
	s_waitcnt vmcnt(14)
	v_pk_mul_f32 v[10:11], v[12:13], v[18:19] op_sel_hi:[0,1]
	ds_write2st64_b64 v52, v[14:15], v[8:9] offset1:1
	s_waitcnt vmcnt(12)
	v_pk_mul_f32 v[8:9], v[12:13], v[28:29] op_sel_hi:[0,1]
	v_bfe_u32 v13, v11, 16, 1
	v_bfe_u32 v14, v10, 16, 1
	buffer_store_dword v10, off, s[0:3], 0 offset:288
	buffer_store_dword v11, off, s[0:3], 0 offset:292
	;; [unrolled: 1-line block ×4, first 2 shown]
	v_add3_u32 v10, v10, v14, s19
	v_add3_u32 v11, v11, v13, s19
	v_perm_b32 v10, v11, v10, s20
	v_bfe_u32 v11, v9, 16, 1
	v_bfe_u32 v13, v8, 16, 1
	v_add3_u32 v8, v8, v13, s19
	v_add3_u32 v9, v9, v11, s19
	s_waitcnt vmcnt(14)
	v_pk_mul_f32 v[2:3], v[12:13], v[2:3] op_sel_hi:[0,1]
	v_perm_b32 v11, v9, v8, s20
	v_bfe_u32 v8, v3, 16, 1
	v_bfe_u32 v9, v2, 16, 1
	s_waitcnt vmcnt(12)
	v_pk_mul_f32 v[4:5], v[12:13], v[4:5] op_sel_hi:[0,1]
	buffer_store_dword v2, off, s[0:3], 0 offset:304
	buffer_store_dword v3, off, s[0:3], 0 offset:308
	;; [unrolled: 1-line block ×4, first 2 shown]
	v_add3_u32 v2, v2, v9, s19
	v_add3_u32 v3, v3, v8, s19
	v_perm_b32 v2, v3, v2, s20
	v_bfe_u32 v3, v5, 16, 1
	v_bfe_u32 v8, v4, 16, 1
	v_add3_u32 v4, v4, v8, s19
	v_add3_u32 v3, v5, v3, s19
	v_perm_b32 v3, v3, v4, s20
	ds_write2st64_b64 v52, v[10:11], v[2:3] offset0:2 offset1:3
	s_and_saveexec_b64 s[4:5], vcc
	s_cbranch_execz .LBB903_211
; %bb.210:
	v_add_co_u32_e32 v4, vcc, s27, v41
	v_addc_co_u32_e64 v5, s[6:7], 0, 0, vcc
	v_mov_b32_e32 v2, s18
	v_mad_u64_u32 v[4:5], s[6:7], s8, v2, v[4:5]
	v_mov_b32_e32 v3, 0
	s_mul_i32 s6, s9, s18
	v_mov_b32_e32 v2, s26
	v_add_u32_e32 v5, s6, v5
	v_mad_u64_u32 v[2:3], s[6:7], v4, s48, v[2:3]
	v_mov_b32_e32 v4, v3
	v_mad_u64_u32 v[4:5], s[6:7], v5, s48, v[4:5]
	v_mov_b32_e32 v3, v4
	v_lshlrev_b64 v[2:3], 2, v[2:3]
	v_mov_b32_e32 v5, s47
	v_add_co_u32_e32 v4, vcc, s46, v2
	v_addc_co_u32_e32 v5, vcc, v5, v3, vcc
	global_store_dword v[4:5], v20, off
	v_mov_b32_e32 v4, s45
	v_add_co_u32_e32 v2, vcc, s44, v2
	v_addc_co_u32_e32 v3, vcc, v4, v3, vcc
	global_store_dword v[2:3], v6, off
.LBB903_211:
	s_or_b64 exec, exec, s[4:5]
	v_lshl_or_b32 v30, v1, 9, v7
	s_waitcnt lgkmcnt(0)
	s_barrier
	s_load_dword s4, s[42:43], 0x0
	ds_read_b128 v[2:5], v30
	ds_read_b128 v[6:9], v30 offset:16
	ds_read_b128 v[10:13], v30 offset:2048
	;; [unrolled: 1-line block ×7, first 2 shown]
	v_mov_b32_e32 v35, 0x80
	v_mov_b32_e32 v53, 0x140
	s_mov_b64 s[10:11], -1
	s_waitcnt lgkmcnt(0)
	s_mov_b32 s5, s4
	s_mov_b32 s6, s4
	;; [unrolled: 1-line block ×3, first 2 shown]
	s_movk_i32 s9, 0x80
	s_movk_i32 s21, 0x7f
	s_mov_b32 s22, 0xffffff
	s_mov_b32 s23, 0x5040100
	v_mov_b32_e32 v54, 0
	v_bfrev_b32_e32 v55, 60
	s_branch .LBB903_215
.LBB903_212:                            ;   in Loop: Header=BB903_215 Depth=1
	s_or_b64 exec, exec, s[16:17]
.LBB903_213:                            ;   in Loop: Header=BB903_215 Depth=1
	s_or_b64 exec, exec, s[14:15]
.LBB903_214:                            ;   in Loop: Header=BB903_215 Depth=1
	s_or_b64 exec, exec, s[12:13]
	v_perm_b32 v61, v56, v50, s23
	v_perm_b32 v60, v44, v46, s23
	s_xor_b64 s[12:13], s[10:11], -1
	s_mov_b64 s[10:11], 0
	v_mov_b32_e32 v46, v47
	v_mfma_f32_16x16x16bf16_1k v[60:63], v[60:61], v[30:31], v[34:37]
	s_and_b64 vcc, exec, s[12:13]
	s_nop 5
	v_perm_b32 v37, v58, v57, s23
	v_perm_b32 v36, v42, v51, s23
	v_mov_b32_e32 v35, v45
	s_nop 0
	v_mfma_f32_16x16x16bf16_1k v[56:59], v[36:37], v[32:33], v[60:63]
	s_nop 7
	s_nop 2
	v_pk_mul_f32 v[50:51], v[56:57], s[4:5]
	v_pk_mul_f32 v[36:37], v[58:59], s[6:7]
	v_bfe_u32 v34, v51, 16, 1
	v_bfe_u32 v38, v50, 16, 1
	;; [unrolled: 1-line block ×4, first 2 shown]
	v_add3_u32 v38, v50, v38, s19
	v_add3_u32 v34, v51, v34, s19
	;; [unrolled: 1-line block ×4, first 2 shown]
	v_perm_b32 v34, v34, v38, s20
	v_perm_b32 v36, v37, v36, s20
	buffer_store_dword v34, v53, s[0:3], 0 offen
	buffer_store_dword v36, v53, s[0:3], 0 offen offset:4
	v_mov_b32_e32 v53, 0x148
	v_mov_b32_e32 v51, v48
	;; [unrolled: 1-line block ×3, first 2 shown]
	s_cbranch_vccnz .LBB903_597
.LBB903_215:                            ; =>This Inner Loop Header: Depth=1
	buffer_load_dword v36, v35, s[0:3], 0 offen
	buffer_load_dword v34, v35, s[0:3], 0 offen offset:4
	buffer_load_dword v40, v35, s[0:3], 0 offen offset:8
	;; [unrolled: 1-line block ×3, first 2 shown]
	v_mov_b32_e32 v35, 0
	s_waitcnt vmcnt(3)
	v_cmp_ne_u16_sdwa s[14:15], v36, v54 src0_sel:BYTE_0 src1_sel:DWORD
	s_and_saveexec_b64 s[12:13], s[14:15]
	s_cbranch_execz .LBB903_221
; %bb.216:                              ;   in Loop: Header=BB903_215 Depth=1
	v_cmp_ne_u16_sdwa s[16:17], v36, s9 src0_sel:BYTE_0 src1_sel:DWORD
	v_mov_b32_e32 v35, 0xffff8000
	s_and_saveexec_b64 s[14:15], s[16:17]
	s_cbranch_execz .LBB903_220
; %bb.217:                              ;   in Loop: Header=BB903_215 Depth=1
	v_and_b32_e32 v37, 0x7f, v36
	v_cmp_ne_u32_e32 vcc, s21, v37
	v_mov_b32_e32 v35, 0x7f80
	s_and_saveexec_b64 s[16:17], vcc
	s_cbranch_execz .LBB903_219
; %bb.218:                              ;   in Loop: Header=BB903_215 Depth=1
	v_and_b32_e32 v35, 7, v36
	v_ffbh_u32_e32 v44, v35
	v_min_u32_e32 v44, 32, v44
	v_subrev_u32_e32 v56, 28, v44
	v_lshlrev_b64 v[56:57], v56, v[36:37]
	v_lshrrev_b32_e32 v42, 3, v37
	v_sub_u32_e32 v44, 29, v44
	v_and_b32_e32 v56, 7, v56
	v_cmp_gt_u32_e32 vcc, 8, v37
	v_cndmask_b32_e32 v37, v42, v44, vcc
	v_cndmask_b32_e32 v35, v35, v56, vcc
	v_lshlrev_b32_e32 v42, 24, v36
	v_lshlrev_b32_e32 v35, 20, v35
	v_and_b32_e32 v42, 0x80000000, v42
	v_lshl_add_u32 v37, v37, 23, v55
	v_or3_b32 v35, v42, v37, v35
	v_lshrrev_b32_e32 v35, 16, v35
.LBB903_219:                            ;   in Loop: Header=BB903_215 Depth=1
	s_or_b64 exec, exec, s[16:17]
.LBB903_220:                            ;   in Loop: Header=BB903_215 Depth=1
	s_or_b64 exec, exec, s[14:15]
.LBB903_221:                            ;   in Loop: Header=BB903_215 Depth=1
	s_or_b64 exec, exec, s[12:13]
	v_lshrrev_b16_e32 v42, 8, v36
	v_cmp_ne_u16_e32 vcc, 0, v42
	v_mov_b32_e32 v56, 0
	v_mov_b32_e32 v37, 0
	s_and_saveexec_b64 s[12:13], vcc
	s_cbranch_execz .LBB903_227
; %bb.222:                              ;   in Loop: Header=BB903_215 Depth=1
	v_cmp_ne_u16_e32 vcc, s9, v42
	v_mov_b32_e32 v37, 0xffff8000
	s_and_saveexec_b64 s[14:15], vcc
	s_cbranch_execz .LBB903_226
; %bb.223:                              ;   in Loop: Header=BB903_215 Depth=1
	v_and_b32_e32 v44, 0x7f, v42
	v_cmp_ne_u32_e32 vcc, s21, v44
	v_mov_b32_e32 v37, 0x7f80
	s_and_saveexec_b64 s[16:17], vcc
	s_cbranch_execz .LBB903_225
; %bb.224:                              ;   in Loop: Header=BB903_215 Depth=1
	v_and_b32_e32 v37, 7, v42
	v_ffbh_u32_e32 v58, v37
	v_min_u32_e32 v60, 32, v58
	v_subrev_u32_e32 v58, 28, v60
	v_lshlrev_b64 v[58:59], v58, v[42:43]
	v_lshrrev_b32_e32 v57, 3, v44
	v_sub_u32_e32 v42, 29, v60
	v_and_b32_e32 v58, 7, v58
	v_cmp_gt_u32_e32 vcc, 8, v44
	v_cndmask_b32_e32 v42, v57, v42, vcc
	v_cndmask_b32_e32 v37, v37, v58, vcc
	v_lshlrev_b32_e32 v44, 16, v36
	v_lshlrev_b32_e32 v37, 20, v37
	v_and_b32_e32 v44, 0x80000000, v44
	v_lshl_add_u32 v42, v42, 23, v55
	v_or3_b32 v37, v44, v42, v37
	v_lshrrev_b32_e32 v37, 16, v37
.LBB903_225:                            ;   in Loop: Header=BB903_215 Depth=1
	s_or_b64 exec, exec, s[16:17]
.LBB903_226:                            ;   in Loop: Header=BB903_215 Depth=1
	s_or_b64 exec, exec, s[14:15]
.LBB903_227:                            ;   in Loop: Header=BB903_215 Depth=1
	s_or_b64 exec, exec, s[12:13]
	v_lshrrev_b32_e32 v42, 16, v36
	v_cmp_ne_u16_sdwa s[14:15], v42, v54 src0_sel:BYTE_0 src1_sel:DWORD
	s_and_saveexec_b64 s[12:13], s[14:15]
	s_cbranch_execz .LBB903_233
; %bb.228:                              ;   in Loop: Header=BB903_215 Depth=1
	v_cmp_ne_u16_sdwa s[16:17], v42, s9 src0_sel:BYTE_0 src1_sel:DWORD
	v_mov_b32_e32 v56, 0xffff8000
	s_and_saveexec_b64 s[14:15], s[16:17]
	s_cbranch_execz .LBB903_232
; %bb.229:                              ;   in Loop: Header=BB903_215 Depth=1
	v_bfe_u32 v44, v36, 16, 7
	v_cmp_ne_u32_e32 vcc, s21, v44
	v_mov_b32_e32 v56, 0x7f80
	s_and_saveexec_b64 s[16:17], vcc
	s_cbranch_execz .LBB903_231
; %bb.230:                              ;   in Loop: Header=BB903_215 Depth=1
	v_and_b32_e32 v58, 7, v42
	v_ffbh_u32_e32 v56, v58
	v_min_u32_e32 v60, 32, v56
	v_subrev_u32_e32 v56, 28, v60
	v_lshlrev_b64 v[56:57], v56, v[42:43]
	v_lshrrev_b32_e32 v59, 3, v44
	v_sub_u32_e32 v57, 29, v60
	v_and_b32_e32 v56, 7, v56
	v_cmp_gt_u32_e32 vcc, 8, v44
	v_cndmask_b32_e32 v44, v59, v57, vcc
	v_cndmask_b32_e32 v56, v58, v56, vcc
	v_lshlrev_b32_e32 v42, 24, v42
	v_lshlrev_b32_e32 v56, 20, v56
	v_and_b32_e32 v42, 0x80000000, v42
	v_lshl_add_u32 v44, v44, 23, v55
	v_or3_b32 v42, v42, v44, v56
	v_lshrrev_b32_e32 v56, 16, v42
.LBB903_231:                            ;   in Loop: Header=BB903_215 Depth=1
	s_or_b64 exec, exec, s[16:17]
.LBB903_232:                            ;   in Loop: Header=BB903_215 Depth=1
	s_or_b64 exec, exec, s[14:15]
.LBB903_233:                            ;   in Loop: Header=BB903_215 Depth=1
	s_or_b64 exec, exec, s[12:13]
	v_cmp_lt_u32_e32 vcc, s22, v36
	v_mov_b32_e32 v57, 0
	v_mov_b32_e32 v58, 0
	s_and_saveexec_b64 s[12:13], vcc
	s_cbranch_execz .LBB903_239
; %bb.234:                              ;   in Loop: Header=BB903_215 Depth=1
	v_lshrrev_b32_e32 v42, 24, v36
	v_cmp_ne_u32_e32 vcc, s9, v42
	v_mov_b32_e32 v58, 0xffff8000
	s_and_saveexec_b64 s[14:15], vcc
	s_cbranch_execz .LBB903_238
; %bb.235:                              ;   in Loop: Header=BB903_215 Depth=1
	v_bfe_u32 v36, v36, 24, 7
	v_cmp_ne_u32_e32 vcc, s21, v36
	v_mov_b32_e32 v58, 0x7f80
	s_and_saveexec_b64 s[16:17], vcc
	s_cbranch_execz .LBB903_237
; %bb.236:                              ;   in Loop: Header=BB903_215 Depth=1
	v_and_b32_e32 v44, 7, v42
	v_ffbh_u32_e32 v58, v44
	v_min_u32_e32 v61, 32, v58
	v_subrev_u32_e32 v58, 28, v61
	v_lshlrev_b64 v[58:59], v58, v[42:43]
	v_lshrrev_b32_e32 v60, 3, v36
	v_sub_u32_e32 v59, 29, v61
	v_and_b32_e32 v58, 7, v58
	v_cmp_gt_u32_e32 vcc, 8, v36
	v_cndmask_b32_e32 v36, v60, v59, vcc
	v_cndmask_b32_e32 v44, v44, v58, vcc
	v_lshlrev_b32_e32 v42, 24, v42
	v_lshlrev_b32_e32 v44, 20, v44
	v_and_b32_e32 v42, 0x80000000, v42
	v_lshl_add_u32 v36, v36, 23, v55
	v_or3_b32 v36, v42, v36, v44
	v_lshrrev_b32_e32 v58, 16, v36
.LBB903_237:                            ;   in Loop: Header=BB903_215 Depth=1
	s_or_b64 exec, exec, s[16:17]
.LBB903_238:                            ;   in Loop: Header=BB903_215 Depth=1
	s_or_b64 exec, exec, s[14:15]
.LBB903_239:                            ;   in Loop: Header=BB903_215 Depth=1
	s_or_b64 exec, exec, s[12:13]
	s_waitcnt vmcnt(2)
	v_cmp_ne_u16_sdwa s[14:15], v34, v54 src0_sel:BYTE_0 src1_sel:DWORD
	s_and_saveexec_b64 s[12:13], s[14:15]
	s_cbranch_execz .LBB903_245
; %bb.240:                              ;   in Loop: Header=BB903_215 Depth=1
	v_cmp_ne_u16_sdwa s[16:17], v34, s9 src0_sel:BYTE_0 src1_sel:DWORD
	v_mov_b32_e32 v57, 0xffff8000
	s_and_saveexec_b64 s[14:15], s[16:17]
	s_cbranch_execz .LBB903_244
; %bb.241:                              ;   in Loop: Header=BB903_215 Depth=1
	v_and_b32_e32 v36, 0x7f, v34
	v_cmp_ne_u32_e32 vcc, s21, v36
	v_mov_b32_e32 v57, 0x7f80
	s_and_saveexec_b64 s[16:17], vcc
	s_cbranch_execz .LBB903_243
; %bb.242:                              ;   in Loop: Header=BB903_215 Depth=1
	v_and_b32_e32 v42, 7, v34
	v_ffbh_u32_e32 v57, v42
	v_min_u32_e32 v57, 32, v57
	v_subrev_u32_e32 v59, 28, v57
	v_lshlrev_b64 v[60:61], v59, v[34:35]
	v_lshrrev_b32_e32 v44, 3, v36
	v_sub_u32_e32 v57, 29, v57
	v_and_b32_e32 v59, 7, v60
	v_cmp_gt_u32_e32 vcc, 8, v36
	v_cndmask_b32_e32 v36, v44, v57, vcc
	v_cndmask_b32_e32 v42, v42, v59, vcc
	v_lshlrev_b32_e32 v44, 24, v34
	v_lshlrev_b32_e32 v42, 20, v42
	v_and_b32_e32 v44, 0x80000000, v44
	v_lshl_add_u32 v36, v36, 23, v55
	v_or3_b32 v36, v44, v36, v42
	v_lshrrev_b32_e32 v57, 16, v36
.LBB903_243:                            ;   in Loop: Header=BB903_215 Depth=1
	s_or_b64 exec, exec, s[16:17]
.LBB903_244:                            ;   in Loop: Header=BB903_215 Depth=1
	s_or_b64 exec, exec, s[14:15]
.LBB903_245:                            ;   in Loop: Header=BB903_215 Depth=1
	s_or_b64 exec, exec, s[12:13]
	v_lshrrev_b16_e32 v36, 8, v34
	v_cmp_ne_u16_e32 vcc, 0, v36
	v_mov_b32_e32 v59, 0
	v_mov_b32_e32 v42, 0
	s_and_saveexec_b64 s[12:13], vcc
	s_cbranch_execz .LBB903_251
; %bb.246:                              ;   in Loop: Header=BB903_215 Depth=1
	v_cmp_ne_u16_e32 vcc, s9, v36
	v_mov_b32_e32 v42, 0xffff8000
	s_and_saveexec_b64 s[14:15], vcc
	s_cbranch_execz .LBB903_250
; %bb.247:                              ;   in Loop: Header=BB903_215 Depth=1
	v_and_b32_e32 v44, 0x7f, v36
	v_cmp_ne_u32_e32 vcc, s21, v44
	v_mov_b32_e32 v42, 0x7f80
	s_and_saveexec_b64 s[16:17], vcc
	s_cbranch_execz .LBB903_249
; %bb.248:                              ;   in Loop: Header=BB903_215 Depth=1
	v_and_b32_e32 v42, 7, v36
	v_ffbh_u32_e32 v60, v42
	v_min_u32_e32 v63, 32, v60
	v_subrev_u32_e32 v60, 28, v63
	v_lshlrev_b64 v[60:61], v60, v[36:37]
	v_lshrrev_b32_e32 v62, 3, v44
	v_sub_u32_e32 v36, 29, v63
	v_and_b32_e32 v60, 7, v60
	v_cmp_gt_u32_e32 vcc, 8, v44
	v_cndmask_b32_e32 v36, v62, v36, vcc
	v_cndmask_b32_e32 v42, v42, v60, vcc
	v_lshlrev_b32_e32 v44, 16, v34
	v_lshlrev_b32_e32 v42, 20, v42
	v_and_b32_e32 v44, 0x80000000, v44
	v_lshl_add_u32 v36, v36, 23, v55
	v_or3_b32 v36, v44, v36, v42
	v_lshrrev_b32_e32 v42, 16, v36
.LBB903_249:                            ;   in Loop: Header=BB903_215 Depth=1
	s_or_b64 exec, exec, s[16:17]
.LBB903_250:                            ;   in Loop: Header=BB903_215 Depth=1
	s_or_b64 exec, exec, s[14:15]
.LBB903_251:                            ;   in Loop: Header=BB903_215 Depth=1
	s_or_b64 exec, exec, s[12:13]
	v_lshrrev_b32_e32 v36, 16, v34
	v_cmp_ne_u16_sdwa s[14:15], v36, v54 src0_sel:BYTE_0 src1_sel:DWORD
	s_and_saveexec_b64 s[12:13], s[14:15]
	s_cbranch_execz .LBB903_257
; %bb.252:                              ;   in Loop: Header=BB903_215 Depth=1
	v_cmp_ne_u16_sdwa s[16:17], v36, s9 src0_sel:BYTE_0 src1_sel:DWORD
	v_mov_b32_e32 v59, 0xffff8000
	s_and_saveexec_b64 s[14:15], s[16:17]
	s_cbranch_execz .LBB903_256
; %bb.253:                              ;   in Loop: Header=BB903_215 Depth=1
	v_bfe_u32 v44, v34, 16, 7
	v_cmp_ne_u32_e32 vcc, s21, v44
	v_mov_b32_e32 v59, 0x7f80
	s_and_saveexec_b64 s[16:17], vcc
	s_cbranch_execz .LBB903_255
; %bb.254:                              ;   in Loop: Header=BB903_215 Depth=1
	v_and_b32_e32 v59, 7, v36
	v_ffbh_u32_e32 v60, v59
	v_min_u32_e32 v63, 32, v60
	v_subrev_u32_e32 v60, 28, v63
	v_lshlrev_b64 v[60:61], v60, v[36:37]
	v_lshrrev_b32_e32 v62, 3, v44
	v_sub_u32_e32 v61, 29, v63
	v_and_b32_e32 v60, 7, v60
	v_cmp_gt_u32_e32 vcc, 8, v44
	v_cndmask_b32_e32 v44, v62, v61, vcc
	v_cndmask_b32_e32 v59, v59, v60, vcc
	v_lshlrev_b32_e32 v36, 24, v36
	v_lshlrev_b32_e32 v59, 20, v59
	v_and_b32_e32 v36, 0x80000000, v36
	v_lshl_add_u32 v44, v44, 23, v55
	v_or3_b32 v36, v36, v44, v59
	v_lshrrev_b32_e32 v59, 16, v36
.LBB903_255:                            ;   in Loop: Header=BB903_215 Depth=1
	s_or_b64 exec, exec, s[16:17]
.LBB903_256:                            ;   in Loop: Header=BB903_215 Depth=1
	s_or_b64 exec, exec, s[14:15]
.LBB903_257:                            ;   in Loop: Header=BB903_215 Depth=1
	s_or_b64 exec, exec, s[12:13]
	v_cmp_lt_u32_e32 vcc, s22, v34
	v_mov_b32_e32 v44, 0
	v_mov_b32_e32 v60, 0
	s_and_saveexec_b64 s[12:13], vcc
	s_cbranch_execz .LBB903_263
; %bb.258:                              ;   in Loop: Header=BB903_215 Depth=1
	v_lshrrev_b32_e32 v36, 24, v34
	v_cmp_ne_u32_e32 vcc, s9, v36
	v_mov_b32_e32 v60, 0xffff8000
	s_and_saveexec_b64 s[14:15], vcc
	s_cbranch_execz .LBB903_262
; %bb.259:                              ;   in Loop: Header=BB903_215 Depth=1
	v_bfe_u32 v34, v34, 24, 7
	v_cmp_ne_u32_e32 vcc, s21, v34
	v_mov_b32_e32 v60, 0x7f80
	s_and_saveexec_b64 s[16:17], vcc
	s_cbranch_execz .LBB903_261
; %bb.260:                              ;   in Loop: Header=BB903_215 Depth=1
	v_and_b32_e32 v62, 7, v36
	v_ffbh_u32_e32 v60, v62
	v_min_u32_e32 v64, 32, v60
	v_subrev_u32_e32 v60, 28, v64
	v_lshlrev_b64 v[60:61], v60, v[36:37]
	v_lshrrev_b32_e32 v63, 3, v34
	v_sub_u32_e32 v61, 29, v64
	v_and_b32_e32 v60, 7, v60
	v_cmp_gt_u32_e32 vcc, 8, v34
	v_cndmask_b32_e32 v34, v63, v61, vcc
	v_cndmask_b32_e32 v60, v62, v60, vcc
	v_lshlrev_b32_e32 v36, 24, v36
	v_lshlrev_b32_e32 v60, 20, v60
	v_and_b32_e32 v36, 0x80000000, v36
	v_lshl_add_u32 v34, v34, 23, v55
	v_or3_b32 v34, v36, v34, v60
	v_lshrrev_b32_e32 v60, 16, v34
.LBB903_261:                            ;   in Loop: Header=BB903_215 Depth=1
	s_or_b64 exec, exec, s[16:17]
.LBB903_262:                            ;   in Loop: Header=BB903_215 Depth=1
	s_or_b64 exec, exec, s[14:15]
.LBB903_263:                            ;   in Loop: Header=BB903_215 Depth=1
	s_or_b64 exec, exec, s[12:13]
	v_perm_b32 v63, v58, v56, s23
	v_perm_b32 v62, v37, v35, s23
	;; [unrolled: 1-line block ×4, first 2 shown]
	s_waitcnt vmcnt(1)
	v_cmp_ne_u16_sdwa s[14:15], v40, v54 src0_sel:BYTE_0 src1_sel:DWORD
	v_mfma_f32_16x16x16bf16_1k v[34:37], v[62:63], v[2:3], 0
	v_mfma_f32_16x16x16bf16_1k v[34:37], v[58:59], v[4:5], v[34:37]
	s_and_saveexec_b64 s[12:13], s[14:15]
	s_cbranch_execz .LBB903_269
; %bb.264:                              ;   in Loop: Header=BB903_215 Depth=1
	v_cmp_ne_u16_sdwa s[16:17], v40, s9 src0_sel:BYTE_0 src1_sel:DWORD
	v_mov_b32_e32 v44, 0xffff8000
	s_and_saveexec_b64 s[14:15], s[16:17]
	s_cbranch_execz .LBB903_268
; %bb.265:                              ;   in Loop: Header=BB903_215 Depth=1
	v_and_b32_e32 v42, 0x7f, v40
	v_cmp_ne_u32_e32 vcc, s21, v42
	v_mov_b32_e32 v44, 0x7f80
	s_and_saveexec_b64 s[16:17], vcc
	s_cbranch_execz .LBB903_267
; %bb.266:                              ;   in Loop: Header=BB903_215 Depth=1
	v_and_b32_e32 v44, 7, v40
	v_ffbh_u32_e32 v56, v44
	v_min_u32_e32 v59, 32, v56
	v_subrev_u32_e32 v56, 28, v59
	v_lshlrev_b64 v[56:57], v56, v[40:41]
	v_lshrrev_b32_e32 v58, 3, v42
	v_sub_u32_e32 v57, 29, v59
	v_and_b32_e32 v56, 7, v56
	v_cmp_gt_u32_e32 vcc, 8, v42
	v_cndmask_b32_e32 v42, v58, v57, vcc
	v_cndmask_b32_e32 v44, v44, v56, vcc
	v_lshlrev_b32_e32 v56, 24, v40
	v_lshlrev_b32_e32 v44, 20, v44
	v_and_b32_e32 v56, 0x80000000, v56
	v_lshl_add_u32 v42, v42, 23, v55
	v_or3_b32 v42, v56, v42, v44
	v_lshrrev_b32_e32 v44, 16, v42
.LBB903_267:                            ;   in Loop: Header=BB903_215 Depth=1
	s_or_b64 exec, exec, s[16:17]
.LBB903_268:                            ;   in Loop: Header=BB903_215 Depth=1
	s_or_b64 exec, exec, s[14:15]
.LBB903_269:                            ;   in Loop: Header=BB903_215 Depth=1
	s_or_b64 exec, exec, s[12:13]
	v_lshrrev_b16_e32 v42, 8, v40
	v_cmp_ne_u16_e32 vcc, 0, v42
	v_mov_b32_e32 v58, 0
	v_mov_b32_e32 v57, 0
	s_and_saveexec_b64 s[12:13], vcc
	s_cbranch_execz .LBB903_275
; %bb.270:                              ;   in Loop: Header=BB903_215 Depth=1
	v_cmp_ne_u16_e32 vcc, s9, v42
	v_mov_b32_e32 v57, 0xffff8000
	s_and_saveexec_b64 s[14:15], vcc
	s_cbranch_execz .LBB903_274
; %bb.271:                              ;   in Loop: Header=BB903_215 Depth=1
	v_and_b32_e32 v56, 0x7f, v42
	v_cmp_ne_u32_e32 vcc, s21, v56
	v_mov_b32_e32 v57, 0x7f80
	s_and_saveexec_b64 s[16:17], vcc
	s_cbranch_execz .LBB903_273
; %bb.272:                              ;   in Loop: Header=BB903_215 Depth=1
	v_and_b32_e32 v57, 7, v42
	v_ffbh_u32_e32 v60, v57
	v_min_u32_e32 v62, 32, v60
	v_subrev_u32_e32 v60, 28, v62
	v_lshlrev_b64 v[60:61], v60, v[42:43]
	v_lshrrev_b32_e32 v59, 3, v56
	v_sub_u32_e32 v42, 29, v62
	v_and_b32_e32 v60, 7, v60
	v_cmp_gt_u32_e32 vcc, 8, v56
	v_cndmask_b32_e32 v42, v59, v42, vcc
	v_cndmask_b32_e32 v56, v57, v60, vcc
	v_lshlrev_b32_e32 v57, 16, v40
	v_lshlrev_b32_e32 v56, 20, v56
	v_and_b32_e32 v57, 0x80000000, v57
	v_lshl_add_u32 v42, v42, 23, v55
	v_or3_b32 v42, v57, v42, v56
	v_lshrrev_b32_e32 v57, 16, v42
.LBB903_273:                            ;   in Loop: Header=BB903_215 Depth=1
	s_or_b64 exec, exec, s[16:17]
.LBB903_274:                            ;   in Loop: Header=BB903_215 Depth=1
	s_or_b64 exec, exec, s[14:15]
.LBB903_275:                            ;   in Loop: Header=BB903_215 Depth=1
	s_or_b64 exec, exec, s[12:13]
	v_lshrrev_b32_e32 v42, 16, v40
	v_cmp_ne_u16_sdwa s[14:15], v42, v54 src0_sel:BYTE_0 src1_sel:DWORD
	s_and_saveexec_b64 s[12:13], s[14:15]
	s_cbranch_execz .LBB903_281
; %bb.276:                              ;   in Loop: Header=BB903_215 Depth=1
	v_cmp_ne_u16_sdwa s[16:17], v42, s9 src0_sel:BYTE_0 src1_sel:DWORD
	v_mov_b32_e32 v58, 0xffff8000
	s_and_saveexec_b64 s[14:15], s[16:17]
	s_cbranch_execz .LBB903_280
; %bb.277:                              ;   in Loop: Header=BB903_215 Depth=1
	v_bfe_u32 v56, v40, 16, 7
	v_cmp_ne_u32_e32 vcc, s21, v56
	v_mov_b32_e32 v58, 0x7f80
	s_and_saveexec_b64 s[16:17], vcc
	s_cbranch_execz .LBB903_279
; %bb.278:                              ;   in Loop: Header=BB903_215 Depth=1
	v_and_b32_e32 v60, 7, v42
	v_ffbh_u32_e32 v58, v60
	v_min_u32_e32 v62, 32, v58
	v_subrev_u32_e32 v58, 28, v62
	v_lshlrev_b64 v[58:59], v58, v[42:43]
	v_lshrrev_b32_e32 v61, 3, v56
	v_sub_u32_e32 v59, 29, v62
	v_and_b32_e32 v58, 7, v58
	v_cmp_gt_u32_e32 vcc, 8, v56
	v_cndmask_b32_e32 v56, v61, v59, vcc
	v_cndmask_b32_e32 v58, v60, v58, vcc
	v_lshlrev_b32_e32 v42, 24, v42
	v_lshlrev_b32_e32 v58, 20, v58
	v_and_b32_e32 v42, 0x80000000, v42
	v_lshl_add_u32 v56, v56, 23, v55
	v_or3_b32 v42, v42, v56, v58
	v_lshrrev_b32_e32 v58, 16, v42
.LBB903_279:                            ;   in Loop: Header=BB903_215 Depth=1
	s_or_b64 exec, exec, s[16:17]
.LBB903_280:                            ;   in Loop: Header=BB903_215 Depth=1
	s_or_b64 exec, exec, s[14:15]
.LBB903_281:                            ;   in Loop: Header=BB903_215 Depth=1
	s_or_b64 exec, exec, s[12:13]
	v_cmp_lt_u32_e32 vcc, s22, v40
	v_mov_b32_e32 v59, 0
	v_mov_b32_e32 v60, 0
	s_and_saveexec_b64 s[12:13], vcc
	s_cbranch_execz .LBB903_287
; %bb.282:                              ;   in Loop: Header=BB903_215 Depth=1
	v_lshrrev_b32_e32 v42, 24, v40
	v_cmp_ne_u32_e32 vcc, s9, v42
	v_mov_b32_e32 v60, 0xffff8000
	s_and_saveexec_b64 s[14:15], vcc
	s_cbranch_execz .LBB903_286
; %bb.283:                              ;   in Loop: Header=BB903_215 Depth=1
	v_bfe_u32 v40, v40, 24, 7
	v_cmp_ne_u32_e32 vcc, s21, v40
	v_mov_b32_e32 v60, 0x7f80
	s_and_saveexec_b64 s[16:17], vcc
	s_cbranch_execz .LBB903_285
; %bb.284:                              ;   in Loop: Header=BB903_215 Depth=1
	v_and_b32_e32 v56, 7, v42
	v_ffbh_u32_e32 v60, v56
	v_min_u32_e32 v63, 32, v60
	v_subrev_u32_e32 v60, 28, v63
	v_lshlrev_b64 v[60:61], v60, v[42:43]
	v_lshrrev_b32_e32 v62, 3, v40
	v_sub_u32_e32 v61, 29, v63
	v_and_b32_e32 v60, 7, v60
	v_cmp_gt_u32_e32 vcc, 8, v40
	v_cndmask_b32_e32 v40, v62, v61, vcc
	v_cndmask_b32_e32 v56, v56, v60, vcc
	v_lshlrev_b32_e32 v42, 24, v42
	v_lshlrev_b32_e32 v56, 20, v56
	v_and_b32_e32 v42, 0x80000000, v42
	v_lshl_add_u32 v40, v40, 23, v55
	v_or3_b32 v40, v42, v40, v56
	v_lshrrev_b32_e32 v60, 16, v40
.LBB903_285:                            ;   in Loop: Header=BB903_215 Depth=1
	s_or_b64 exec, exec, s[16:17]
.LBB903_286:                            ;   in Loop: Header=BB903_215 Depth=1
	s_or_b64 exec, exec, s[14:15]
.LBB903_287:                            ;   in Loop: Header=BB903_215 Depth=1
	s_or_b64 exec, exec, s[12:13]
	s_waitcnt vmcnt(0)
	v_cmp_ne_u16_sdwa s[14:15], v38, v54 src0_sel:BYTE_0 src1_sel:DWORD
	s_and_saveexec_b64 s[12:13], s[14:15]
	s_cbranch_execz .LBB903_293
; %bb.288:                              ;   in Loop: Header=BB903_215 Depth=1
	v_cmp_ne_u16_sdwa s[16:17], v38, s9 src0_sel:BYTE_0 src1_sel:DWORD
	v_mov_b32_e32 v59, 0xffff8000
	s_and_saveexec_b64 s[14:15], s[16:17]
	s_cbranch_execz .LBB903_292
; %bb.289:                              ;   in Loop: Header=BB903_215 Depth=1
	v_and_b32_e32 v40, 0x7f, v38
	v_cmp_ne_u32_e32 vcc, s21, v40
	v_mov_b32_e32 v59, 0x7f80
	s_and_saveexec_b64 s[16:17], vcc
	s_cbranch_execz .LBB903_291
; %bb.290:                              ;   in Loop: Header=BB903_215 Depth=1
	v_and_b32_e32 v42, 7, v38
	v_ffbh_u32_e32 v59, v42
	v_min_u32_e32 v59, 32, v59
	v_subrev_u32_e32 v61, 28, v59
	v_lshlrev_b64 v[62:63], v61, v[38:39]
	v_lshrrev_b32_e32 v56, 3, v40
	v_sub_u32_e32 v59, 29, v59
	v_and_b32_e32 v61, 7, v62
	v_cmp_gt_u32_e32 vcc, 8, v40
	v_cndmask_b32_e32 v40, v56, v59, vcc
	v_cndmask_b32_e32 v42, v42, v61, vcc
	v_lshlrev_b32_e32 v56, 24, v38
	v_lshlrev_b32_e32 v42, 20, v42
	v_and_b32_e32 v56, 0x80000000, v56
	v_lshl_add_u32 v40, v40, 23, v55
	v_or3_b32 v40, v56, v40, v42
	v_lshrrev_b32_e32 v59, 16, v40
.LBB903_291:                            ;   in Loop: Header=BB903_215 Depth=1
	s_or_b64 exec, exec, s[16:17]
.LBB903_292:                            ;   in Loop: Header=BB903_215 Depth=1
	s_or_b64 exec, exec, s[14:15]
.LBB903_293:                            ;   in Loop: Header=BB903_215 Depth=1
	s_or_b64 exec, exec, s[12:13]
	v_lshrrev_b16_e32 v40, 8, v38
	v_cmp_ne_u16_e32 vcc, 0, v40
	v_mov_b32_e32 v62, 0
	v_mov_b32_e32 v61, 0
	s_and_saveexec_b64 s[12:13], vcc
	s_cbranch_execz .LBB903_299
; %bb.294:                              ;   in Loop: Header=BB903_215 Depth=1
	v_cmp_ne_u16_e32 vcc, s9, v40
	v_mov_b32_e32 v61, 0xffff8000
	s_and_saveexec_b64 s[14:15], vcc
	s_cbranch_execz .LBB903_298
; %bb.295:                              ;   in Loop: Header=BB903_215 Depth=1
	v_and_b32_e32 v42, 0x7f, v40
	v_cmp_ne_u32_e32 vcc, s21, v42
	v_mov_b32_e32 v61, 0x7f80
	s_and_saveexec_b64 s[16:17], vcc
	s_cbranch_execz .LBB903_297
; %bb.296:                              ;   in Loop: Header=BB903_215 Depth=1
	v_and_b32_e32 v56, 7, v40
	v_ffbh_u32_e32 v63, v56
	v_min_u32_e32 v63, 32, v63
	v_subrev_u32_e32 v64, 28, v63
	v_lshlrev_b64 v[64:65], v64, v[40:41]
	v_lshrrev_b32_e32 v61, 3, v42
	v_sub_u32_e32 v40, 29, v63
	v_and_b32_e32 v63, 7, v64
	v_cmp_gt_u32_e32 vcc, 8, v42
	v_cndmask_b32_e32 v40, v61, v40, vcc
	v_cndmask_b32_e32 v42, v56, v63, vcc
	v_lshlrev_b32_e32 v56, 16, v38
	v_lshlrev_b32_e32 v42, 20, v42
	v_and_b32_e32 v56, 0x80000000, v56
	v_lshl_add_u32 v40, v40, 23, v55
	v_or3_b32 v40, v56, v40, v42
	v_lshrrev_b32_e32 v61, 16, v40
.LBB903_297:                            ;   in Loop: Header=BB903_215 Depth=1
	s_or_b64 exec, exec, s[16:17]
.LBB903_298:                            ;   in Loop: Header=BB903_215 Depth=1
	s_or_b64 exec, exec, s[14:15]
.LBB903_299:                            ;   in Loop: Header=BB903_215 Depth=1
	s_or_b64 exec, exec, s[12:13]
	v_lshrrev_b32_e32 v40, 16, v38
	v_cmp_ne_u16_sdwa s[14:15], v40, v54 src0_sel:BYTE_0 src1_sel:DWORD
	s_and_saveexec_b64 s[12:13], s[14:15]
	s_cbranch_execz .LBB903_305
; %bb.300:                              ;   in Loop: Header=BB903_215 Depth=1
	v_cmp_ne_u16_sdwa s[16:17], v40, s9 src0_sel:BYTE_0 src1_sel:DWORD
	v_mov_b32_e32 v62, 0xffff8000
	s_and_saveexec_b64 s[14:15], s[16:17]
	s_cbranch_execz .LBB903_304
; %bb.301:                              ;   in Loop: Header=BB903_215 Depth=1
	v_bfe_u32 v42, v38, 16, 7
	v_cmp_ne_u32_e32 vcc, s21, v42
	v_mov_b32_e32 v62, 0x7f80
	s_and_saveexec_b64 s[16:17], vcc
	s_cbranch_execz .LBB903_303
; %bb.302:                              ;   in Loop: Header=BB903_215 Depth=1
	v_and_b32_e32 v56, 7, v40
	v_ffbh_u32_e32 v62, v56
	v_min_u32_e32 v65, 32, v62
	v_subrev_u32_e32 v62, 28, v65
	v_lshlrev_b64 v[62:63], v62, v[40:41]
	v_lshrrev_b32_e32 v64, 3, v42
	v_sub_u32_e32 v63, 29, v65
	v_and_b32_e32 v62, 7, v62
	v_cmp_gt_u32_e32 vcc, 8, v42
	v_cndmask_b32_e32 v42, v64, v63, vcc
	v_cndmask_b32_e32 v56, v56, v62, vcc
	v_lshlrev_b32_e32 v40, 24, v40
	v_lshlrev_b32_e32 v56, 20, v56
	v_and_b32_e32 v40, 0x80000000, v40
	v_lshl_add_u32 v42, v42, 23, v55
	v_or3_b32 v40, v40, v42, v56
	v_lshrrev_b32_e32 v62, 16, v40
.LBB903_303:                            ;   in Loop: Header=BB903_215 Depth=1
	s_or_b64 exec, exec, s[16:17]
.LBB903_304:                            ;   in Loop: Header=BB903_215 Depth=1
	s_or_b64 exec, exec, s[14:15]
.LBB903_305:                            ;   in Loop: Header=BB903_215 Depth=1
	s_or_b64 exec, exec, s[12:13]
	v_cmp_lt_u32_e32 vcc, s22, v38
	v_mov_b32_e32 v56, 0
	v_mov_b32_e32 v63, 0
	s_and_saveexec_b64 s[12:13], vcc
	s_cbranch_execz .LBB903_311
; %bb.306:                              ;   in Loop: Header=BB903_215 Depth=1
	v_lshrrev_b32_e32 v40, 24, v38
	v_cmp_ne_u32_e32 vcc, s9, v40
	v_mov_b32_e32 v63, 0xffff8000
	s_and_saveexec_b64 s[14:15], vcc
	s_cbranch_execz .LBB903_310
; %bb.307:                              ;   in Loop: Header=BB903_215 Depth=1
	v_bfe_u32 v38, v38, 24, 7
	v_cmp_ne_u32_e32 vcc, s21, v38
	v_mov_b32_e32 v63, 0x7f80
	s_and_saveexec_b64 s[16:17], vcc
	s_cbranch_execz .LBB903_309
; %bb.308:                              ;   in Loop: Header=BB903_215 Depth=1
	v_and_b32_e32 v42, 7, v40
	v_ffbh_u32_e32 v64, v42
	v_min_u32_e32 v66, 32, v64
	v_subrev_u32_e32 v64, 28, v66
	v_lshlrev_b64 v[64:65], v64, v[40:41]
	v_lshrrev_b32_e32 v63, 3, v38
	v_sub_u32_e32 v65, 29, v66
	v_and_b32_e32 v64, 7, v64
	v_cmp_gt_u32_e32 vcc, 8, v38
	v_cndmask_b32_e32 v38, v63, v65, vcc
	v_cndmask_b32_e32 v42, v42, v64, vcc
	v_lshlrev_b32_e32 v40, 24, v40
	v_lshlrev_b32_e32 v42, 20, v42
	v_and_b32_e32 v40, 0x80000000, v40
	v_lshl_add_u32 v38, v38, 23, v55
	v_or3_b32 v38, v40, v38, v42
	v_lshrrev_b32_e32 v63, 16, v38
.LBB903_309:                            ;   in Loop: Header=BB903_215 Depth=1
	s_or_b64 exec, exec, s[16:17]
.LBB903_310:                            ;   in Loop: Header=BB903_215 Depth=1
	s_or_b64 exec, exec, s[14:15]
.LBB903_311:                            ;   in Loop: Header=BB903_215 Depth=1
	s_or_b64 exec, exec, s[12:13]
	v_perm_b32 v64, v57, v44, s23
	buffer_load_dword v44, v46, s[0:3], 0 offen
	buffer_load_dword v42, v46, s[0:3], 0 offen offset:4
	buffer_load_dword v40, v46, s[0:3], 0 offen offset:8
	;; [unrolled: 1-line block ×3, first 2 shown]
	v_perm_b32 v65, v60, v58, s23
	v_perm_b32 v63, v63, v62, s23
	;; [unrolled: 1-line block ×3, first 2 shown]
	v_mfma_f32_16x16x16bf16_1k v[34:37], v[64:65], v[6:7], v[34:37]
	s_waitcnt vmcnt(3)
	v_cmp_ne_u16_sdwa s[14:15], v44, v54 src0_sel:BYTE_0 src1_sel:DWORD
	v_mfma_f32_16x16x16bf16_1k v[34:37], v[62:63], v[8:9], v[34:37]
	s_and_saveexec_b64 s[12:13], s[14:15]
	s_cbranch_execz .LBB903_317
; %bb.312:                              ;   in Loop: Header=BB903_215 Depth=1
	v_cmp_ne_u16_sdwa s[16:17], v44, s9 src0_sel:BYTE_0 src1_sel:DWORD
	v_mov_b32_e32 v56, 0xffff8000
	s_and_saveexec_b64 s[14:15], s[16:17]
	s_cbranch_execz .LBB903_316
; %bb.313:                              ;   in Loop: Header=BB903_215 Depth=1
	v_and_b32_e32 v46, 0x7f, v44
	v_cmp_ne_u32_e32 vcc, s21, v46
	v_mov_b32_e32 v56, 0x7f80
	s_and_saveexec_b64 s[16:17], vcc
	s_cbranch_execz .LBB903_315
; %bb.314:                              ;   in Loop: Header=BB903_215 Depth=1
	v_and_b32_e32 v58, 7, v44
	v_ffbh_u32_e32 v56, v58
	v_min_u32_e32 v60, 32, v56
	v_subrev_u32_e32 v56, 28, v60
	v_lshlrev_b64 v[56:57], v56, v[44:45]
	v_lshrrev_b32_e32 v59, 3, v46
	v_sub_u32_e32 v57, 29, v60
	v_and_b32_e32 v56, 7, v56
	v_cmp_gt_u32_e32 vcc, 8, v46
	v_cndmask_b32_e32 v46, v59, v57, vcc
	v_cndmask_b32_e32 v56, v58, v56, vcc
	v_lshlrev_b32_e32 v57, 24, v44
	v_lshlrev_b32_e32 v56, 20, v56
	v_and_b32_e32 v57, 0x80000000, v57
	v_lshl_add_u32 v46, v46, 23, v55
	v_or3_b32 v46, v57, v46, v56
	v_lshrrev_b32_e32 v56, 16, v46
.LBB903_315:                            ;   in Loop: Header=BB903_215 Depth=1
	s_or_b64 exec, exec, s[16:17]
.LBB903_316:                            ;   in Loop: Header=BB903_215 Depth=1
	s_or_b64 exec, exec, s[14:15]
.LBB903_317:                            ;   in Loop: Header=BB903_215 Depth=1
	s_or_b64 exec, exec, s[12:13]
	v_lshrrev_b16_e32 v46, 8, v44
	v_cmp_ne_u16_e32 vcc, 0, v46
	v_mov_b32_e32 v58, 0
	v_mov_b32_e32 v57, 0
	s_and_saveexec_b64 s[12:13], vcc
	s_cbranch_execz .LBB903_323
; %bb.318:                              ;   in Loop: Header=BB903_215 Depth=1
	v_cmp_ne_u16_e32 vcc, s9, v46
	v_mov_b32_e32 v57, 0xffff8000
	s_and_saveexec_b64 s[14:15], vcc
	s_cbranch_execz .LBB903_322
; %bb.319:                              ;   in Loop: Header=BB903_215 Depth=1
	v_and_b32_e32 v59, 0x7f, v46
	v_cmp_ne_u32_e32 vcc, s21, v59
	v_mov_b32_e32 v57, 0x7f80
	s_and_saveexec_b64 s[16:17], vcc
	s_cbranch_execz .LBB903_321
; %bb.320:                              ;   in Loop: Header=BB903_215 Depth=1
	v_and_b32_e32 v57, 7, v46
	v_ffbh_u32_e32 v60, v57
	v_min_u32_e32 v63, 32, v60
	v_subrev_u32_e32 v60, 28, v63
	v_lshlrev_b64 v[60:61], v60, v[46:47]
	v_lshrrev_b32_e32 v62, 3, v59
	v_sub_u32_e32 v46, 29, v63
	v_and_b32_e32 v60, 7, v60
	v_cmp_gt_u32_e32 vcc, 8, v59
	v_cndmask_b32_e32 v46, v62, v46, vcc
	v_cndmask_b32_e32 v57, v57, v60, vcc
	v_lshlrev_b32_e32 v59, 16, v44
	v_lshlrev_b32_e32 v57, 20, v57
	v_and_b32_e32 v59, 0x80000000, v59
	v_lshl_add_u32 v46, v46, 23, v55
	v_or3_b32 v46, v59, v46, v57
	v_lshrrev_b32_e32 v57, 16, v46
.LBB903_321:                            ;   in Loop: Header=BB903_215 Depth=1
	s_or_b64 exec, exec, s[16:17]
.LBB903_322:                            ;   in Loop: Header=BB903_215 Depth=1
	s_or_b64 exec, exec, s[14:15]
.LBB903_323:                            ;   in Loop: Header=BB903_215 Depth=1
	s_or_b64 exec, exec, s[12:13]
	v_lshrrev_b32_e32 v46, 16, v44
	v_cmp_ne_u16_sdwa s[14:15], v46, v54 src0_sel:BYTE_0 src1_sel:DWORD
	s_and_saveexec_b64 s[12:13], s[14:15]
	s_cbranch_execz .LBB903_329
; %bb.324:                              ;   in Loop: Header=BB903_215 Depth=1
	v_cmp_ne_u16_sdwa s[16:17], v46, s9 src0_sel:BYTE_0 src1_sel:DWORD
	v_mov_b32_e32 v58, 0xffff8000
	s_and_saveexec_b64 s[14:15], s[16:17]
	s_cbranch_execz .LBB903_328
; %bb.325:                              ;   in Loop: Header=BB903_215 Depth=1
	v_bfe_u32 v59, v44, 16, 7
	v_cmp_ne_u32_e32 vcc, s21, v59
	v_mov_b32_e32 v58, 0x7f80
	s_and_saveexec_b64 s[16:17], vcc
	s_cbranch_execz .LBB903_327
; %bb.326:                              ;   in Loop: Header=BB903_215 Depth=1
	v_and_b32_e32 v58, 7, v46
	v_ffbh_u32_e32 v60, v58
	v_min_u32_e32 v63, 32, v60
	v_subrev_u32_e32 v60, 28, v63
	v_lshlrev_b64 v[60:61], v60, v[46:47]
	v_lshrrev_b32_e32 v62, 3, v59
	v_sub_u32_e32 v61, 29, v63
	v_and_b32_e32 v60, 7, v60
	v_cmp_gt_u32_e32 vcc, 8, v59
	v_cndmask_b32_e32 v59, v62, v61, vcc
	v_cndmask_b32_e32 v58, v58, v60, vcc
	v_lshlrev_b32_e32 v46, 24, v46
	v_lshlrev_b32_e32 v58, 20, v58
	v_and_b32_e32 v46, 0x80000000, v46
	v_lshl_add_u32 v59, v59, 23, v55
	v_or3_b32 v46, v46, v59, v58
	v_lshrrev_b32_e32 v58, 16, v46
.LBB903_327:                            ;   in Loop: Header=BB903_215 Depth=1
	s_or_b64 exec, exec, s[16:17]
.LBB903_328:                            ;   in Loop: Header=BB903_215 Depth=1
	s_or_b64 exec, exec, s[14:15]
.LBB903_329:                            ;   in Loop: Header=BB903_215 Depth=1
	s_or_b64 exec, exec, s[12:13]
	v_cmp_lt_u32_e32 vcc, s22, v44
	v_mov_b32_e32 v59, 0
	v_mov_b32_e32 v60, 0
	s_and_saveexec_b64 s[12:13], vcc
	s_cbranch_execz .LBB903_335
; %bb.330:                              ;   in Loop: Header=BB903_215 Depth=1
	v_lshrrev_b32_e32 v46, 24, v44
	v_cmp_ne_u32_e32 vcc, s9, v46
	v_mov_b32_e32 v60, 0xffff8000
	s_and_saveexec_b64 s[14:15], vcc
	s_cbranch_execz .LBB903_334
; %bb.331:                              ;   in Loop: Header=BB903_215 Depth=1
	v_bfe_u32 v44, v44, 24, 7
	v_cmp_ne_u32_e32 vcc, s21, v44
	v_mov_b32_e32 v60, 0x7f80
	s_and_saveexec_b64 s[16:17], vcc
	s_cbranch_execz .LBB903_333
; %bb.332:                              ;   in Loop: Header=BB903_215 Depth=1
	v_and_b32_e32 v62, 7, v46
	v_ffbh_u32_e32 v60, v62
	v_min_u32_e32 v64, 32, v60
	v_subrev_u32_e32 v60, 28, v64
	v_lshlrev_b64 v[60:61], v60, v[46:47]
	v_lshrrev_b32_e32 v63, 3, v44
	v_sub_u32_e32 v61, 29, v64
	v_and_b32_e32 v60, 7, v60
	v_cmp_gt_u32_e32 vcc, 8, v44
	v_cndmask_b32_e32 v44, v63, v61, vcc
	v_cndmask_b32_e32 v60, v62, v60, vcc
	v_lshlrev_b32_e32 v46, 24, v46
	v_lshlrev_b32_e32 v60, 20, v60
	v_and_b32_e32 v46, 0x80000000, v46
	v_lshl_add_u32 v44, v44, 23, v55
	v_or3_b32 v44, v46, v44, v60
	v_lshrrev_b32_e32 v60, 16, v44
.LBB903_333:                            ;   in Loop: Header=BB903_215 Depth=1
	s_or_b64 exec, exec, s[16:17]
.LBB903_334:                            ;   in Loop: Header=BB903_215 Depth=1
	s_or_b64 exec, exec, s[14:15]
.LBB903_335:                            ;   in Loop: Header=BB903_215 Depth=1
	s_or_b64 exec, exec, s[12:13]
	s_waitcnt vmcnt(2)
	v_cmp_ne_u16_sdwa s[14:15], v42, v54 src0_sel:BYTE_0 src1_sel:DWORD
	s_and_saveexec_b64 s[12:13], s[14:15]
	s_cbranch_execz .LBB903_341
; %bb.336:                              ;   in Loop: Header=BB903_215 Depth=1
	v_cmp_ne_u16_sdwa s[16:17], v42, s9 src0_sel:BYTE_0 src1_sel:DWORD
	v_mov_b32_e32 v59, 0xffff8000
	s_and_saveexec_b64 s[14:15], s[16:17]
	s_cbranch_execz .LBB903_340
; %bb.337:                              ;   in Loop: Header=BB903_215 Depth=1
	v_and_b32_e32 v44, 0x7f, v42
	v_cmp_ne_u32_e32 vcc, s21, v44
	v_mov_b32_e32 v59, 0x7f80
	s_and_saveexec_b64 s[16:17], vcc
	s_cbranch_execz .LBB903_339
; %bb.338:                              ;   in Loop: Header=BB903_215 Depth=1
	v_and_b32_e32 v46, 7, v42
	v_ffbh_u32_e32 v61, v46
	v_min_u32_e32 v61, 32, v61
	v_subrev_u32_e32 v62, 28, v61
	v_lshlrev_b64 v[62:63], v62, v[42:43]
	v_lshrrev_b32_e32 v59, 3, v44
	v_sub_u32_e32 v61, 29, v61
	v_and_b32_e32 v62, 7, v62
	v_cmp_gt_u32_e32 vcc, 8, v44
	v_cndmask_b32_e32 v44, v59, v61, vcc
	v_cndmask_b32_e32 v46, v46, v62, vcc
	v_lshlrev_b32_e32 v59, 24, v42
	v_lshlrev_b32_e32 v46, 20, v46
	v_and_b32_e32 v59, 0x80000000, v59
	v_lshl_add_u32 v44, v44, 23, v55
	v_or3_b32 v44, v59, v44, v46
	v_lshrrev_b32_e32 v59, 16, v44
.LBB903_339:                            ;   in Loop: Header=BB903_215 Depth=1
	s_or_b64 exec, exec, s[16:17]
.LBB903_340:                            ;   in Loop: Header=BB903_215 Depth=1
	s_or_b64 exec, exec, s[14:15]
.LBB903_341:                            ;   in Loop: Header=BB903_215 Depth=1
	s_or_b64 exec, exec, s[12:13]
	v_lshrrev_b16_e32 v44, 8, v42
	v_cmp_ne_u16_e32 vcc, 0, v44
	v_mov_b32_e32 v62, 0
	v_mov_b32_e32 v61, 0
	s_and_saveexec_b64 s[12:13], vcc
	s_cbranch_execz .LBB903_347
; %bb.342:                              ;   in Loop: Header=BB903_215 Depth=1
	v_cmp_ne_u16_e32 vcc, s9, v44
	v_mov_b32_e32 v61, 0xffff8000
	s_and_saveexec_b64 s[14:15], vcc
	s_cbranch_execz .LBB903_346
; %bb.343:                              ;   in Loop: Header=BB903_215 Depth=1
	v_and_b32_e32 v46, 0x7f, v44
	v_cmp_ne_u32_e32 vcc, s21, v46
	v_mov_b32_e32 v61, 0x7f80
	s_and_saveexec_b64 s[16:17], vcc
	s_cbranch_execz .LBB903_345
; %bb.344:                              ;   in Loop: Header=BB903_215 Depth=1
	v_and_b32_e32 v61, 7, v44
	v_ffbh_u32_e32 v64, v61
	v_min_u32_e32 v66, 32, v64
	v_subrev_u32_e32 v64, 28, v66
	v_lshlrev_b64 v[64:65], v64, v[44:45]
	v_lshrrev_b32_e32 v63, 3, v46
	v_sub_u32_e32 v44, 29, v66
	v_and_b32_e32 v64, 7, v64
	v_cmp_gt_u32_e32 vcc, 8, v46
	v_cndmask_b32_e32 v44, v63, v44, vcc
	v_cndmask_b32_e32 v46, v61, v64, vcc
	v_lshlrev_b32_e32 v61, 16, v42
	v_lshlrev_b32_e32 v46, 20, v46
	v_and_b32_e32 v61, 0x80000000, v61
	v_lshl_add_u32 v44, v44, 23, v55
	v_or3_b32 v44, v61, v44, v46
	v_lshrrev_b32_e32 v61, 16, v44
.LBB903_345:                            ;   in Loop: Header=BB903_215 Depth=1
	s_or_b64 exec, exec, s[16:17]
.LBB903_346:                            ;   in Loop: Header=BB903_215 Depth=1
	s_or_b64 exec, exec, s[14:15]
.LBB903_347:                            ;   in Loop: Header=BB903_215 Depth=1
	s_or_b64 exec, exec, s[12:13]
	v_lshrrev_b32_e32 v44, 16, v42
	v_cmp_ne_u16_sdwa s[14:15], v44, v54 src0_sel:BYTE_0 src1_sel:DWORD
	s_and_saveexec_b64 s[12:13], s[14:15]
	s_cbranch_execz .LBB903_353
; %bb.348:                              ;   in Loop: Header=BB903_215 Depth=1
	v_cmp_ne_u16_sdwa s[16:17], v44, s9 src0_sel:BYTE_0 src1_sel:DWORD
	v_mov_b32_e32 v62, 0xffff8000
	s_and_saveexec_b64 s[14:15], s[16:17]
	s_cbranch_execz .LBB903_352
; %bb.349:                              ;   in Loop: Header=BB903_215 Depth=1
	v_bfe_u32 v46, v42, 16, 7
	v_cmp_ne_u32_e32 vcc, s21, v46
	v_mov_b32_e32 v62, 0x7f80
	s_and_saveexec_b64 s[16:17], vcc
	s_cbranch_execz .LBB903_351
; %bb.350:                              ;   in Loop: Header=BB903_215 Depth=1
	v_and_b32_e32 v64, 7, v44
	v_ffbh_u32_e32 v62, v64
	v_min_u32_e32 v66, 32, v62
	v_subrev_u32_e32 v62, 28, v66
	v_lshlrev_b64 v[62:63], v62, v[44:45]
	v_lshrrev_b32_e32 v65, 3, v46
	v_sub_u32_e32 v63, 29, v66
	v_and_b32_e32 v62, 7, v62
	v_cmp_gt_u32_e32 vcc, 8, v46
	v_cndmask_b32_e32 v46, v65, v63, vcc
	v_cndmask_b32_e32 v62, v64, v62, vcc
	v_lshlrev_b32_e32 v44, 24, v44
	v_lshlrev_b32_e32 v62, 20, v62
	v_and_b32_e32 v44, 0x80000000, v44
	v_lshl_add_u32 v46, v46, 23, v55
	v_or3_b32 v44, v44, v46, v62
	v_lshrrev_b32_e32 v62, 16, v44
.LBB903_351:                            ;   in Loop: Header=BB903_215 Depth=1
	s_or_b64 exec, exec, s[16:17]
.LBB903_352:                            ;   in Loop: Header=BB903_215 Depth=1
	s_or_b64 exec, exec, s[14:15]
.LBB903_353:                            ;   in Loop: Header=BB903_215 Depth=1
	s_or_b64 exec, exec, s[12:13]
	v_cmp_lt_u32_e32 vcc, s22, v42
	v_mov_b32_e32 v46, 0
	v_mov_b32_e32 v63, 0
	s_and_saveexec_b64 s[12:13], vcc
	s_cbranch_execz .LBB903_359
; %bb.354:                              ;   in Loop: Header=BB903_215 Depth=1
	v_lshrrev_b32_e32 v44, 24, v42
	v_cmp_ne_u32_e32 vcc, s9, v44
	v_mov_b32_e32 v63, 0xffff8000
	s_and_saveexec_b64 s[14:15], vcc
	s_cbranch_execz .LBB903_358
; %bb.355:                              ;   in Loop: Header=BB903_215 Depth=1
	v_bfe_u32 v42, v42, 24, 7
	v_cmp_ne_u32_e32 vcc, s21, v42
	v_mov_b32_e32 v63, 0x7f80
	s_and_saveexec_b64 s[16:17], vcc
	s_cbranch_execz .LBB903_357
; %bb.356:                              ;   in Loop: Header=BB903_215 Depth=1
	v_and_b32_e32 v63, 7, v44
	v_ffbh_u32_e32 v64, v63
	v_min_u32_e32 v67, 32, v64
	v_subrev_u32_e32 v64, 28, v67
	v_lshlrev_b64 v[64:65], v64, v[44:45]
	v_lshrrev_b32_e32 v66, 3, v42
	v_sub_u32_e32 v65, 29, v67
	v_and_b32_e32 v64, 7, v64
	v_cmp_gt_u32_e32 vcc, 8, v42
	v_cndmask_b32_e32 v42, v66, v65, vcc
	v_cndmask_b32_e32 v63, v63, v64, vcc
	v_lshlrev_b32_e32 v44, 24, v44
	v_lshlrev_b32_e32 v63, 20, v63
	v_and_b32_e32 v44, 0x80000000, v44
	v_lshl_add_u32 v42, v42, 23, v55
	v_or3_b32 v42, v44, v42, v63
	v_lshrrev_b32_e32 v63, 16, v42
.LBB903_357:                            ;   in Loop: Header=BB903_215 Depth=1
	s_or_b64 exec, exec, s[16:17]
.LBB903_358:                            ;   in Loop: Header=BB903_215 Depth=1
	s_or_b64 exec, exec, s[14:15]
.LBB903_359:                            ;   in Loop: Header=BB903_215 Depth=1
	s_or_b64 exec, exec, s[12:13]
	v_perm_b32 v65, v60, v58, s23
	v_perm_b32 v64, v57, v56, s23
	;; [unrolled: 1-line block ×4, first 2 shown]
	s_waitcnt vmcnt(1)
	v_cmp_ne_u16_sdwa s[14:15], v40, v54 src0_sel:BYTE_0 src1_sel:DWORD
	v_mfma_f32_16x16x16bf16_1k v[34:37], v[64:65], v[10:11], v[34:37]
	v_mfma_f32_16x16x16bf16_1k v[34:37], v[56:57], v[12:13], v[34:37]
	s_and_saveexec_b64 s[12:13], s[14:15]
	s_cbranch_execz .LBB903_365
; %bb.360:                              ;   in Loop: Header=BB903_215 Depth=1
	v_cmp_ne_u16_sdwa s[16:17], v40, s9 src0_sel:BYTE_0 src1_sel:DWORD
	v_mov_b32_e32 v46, 0xffff8000
	s_and_saveexec_b64 s[14:15], s[16:17]
	s_cbranch_execz .LBB903_364
; %bb.361:                              ;   in Loop: Header=BB903_215 Depth=1
	v_and_b32_e32 v42, 0x7f, v40
	v_cmp_ne_u32_e32 vcc, s21, v42
	v_mov_b32_e32 v46, 0x7f80
	s_and_saveexec_b64 s[16:17], vcc
	s_cbranch_execz .LBB903_363
; %bb.362:                              ;   in Loop: Header=BB903_215 Depth=1
	v_and_b32_e32 v44, 7, v40
	v_ffbh_u32_e32 v56, v44
	v_min_u32_e32 v58, 32, v56
	v_subrev_u32_e32 v56, 28, v58
	v_lshlrev_b64 v[56:57], v56, v[40:41]
	v_lshrrev_b32_e32 v46, 3, v42
	v_sub_u32_e32 v57, 29, v58
	v_and_b32_e32 v56, 7, v56
	v_cmp_gt_u32_e32 vcc, 8, v42
	v_cndmask_b32_e32 v42, v46, v57, vcc
	v_cndmask_b32_e32 v44, v44, v56, vcc
	v_lshlrev_b32_e32 v46, 24, v40
	v_lshlrev_b32_e32 v44, 20, v44
	v_and_b32_e32 v46, 0x80000000, v46
	v_lshl_add_u32 v42, v42, 23, v55
	v_or3_b32 v42, v46, v42, v44
	v_lshrrev_b32_e32 v46, 16, v42
.LBB903_363:                            ;   in Loop: Header=BB903_215 Depth=1
	s_or_b64 exec, exec, s[16:17]
.LBB903_364:                            ;   in Loop: Header=BB903_215 Depth=1
	s_or_b64 exec, exec, s[14:15]
.LBB903_365:                            ;   in Loop: Header=BB903_215 Depth=1
	s_or_b64 exec, exec, s[12:13]
	v_lshrrev_b16_e32 v42, 8, v40
	v_cmp_ne_u16_e32 vcc, 0, v42
	v_mov_b32_e32 v57, 0
	v_mov_b32_e32 v44, 0
	s_and_saveexec_b64 s[12:13], vcc
	s_cbranch_execz .LBB903_371
; %bb.366:                              ;   in Loop: Header=BB903_215 Depth=1
	v_cmp_ne_u16_e32 vcc, s9, v42
	v_mov_b32_e32 v44, 0xffff8000
	s_and_saveexec_b64 s[14:15], vcc
	s_cbranch_execz .LBB903_370
; %bb.367:                              ;   in Loop: Header=BB903_215 Depth=1
	v_and_b32_e32 v56, 0x7f, v42
	v_cmp_ne_u32_e32 vcc, s21, v56
	v_mov_b32_e32 v44, 0x7f80
	s_and_saveexec_b64 s[16:17], vcc
	s_cbranch_execz .LBB903_369
; %bb.368:                              ;   in Loop: Header=BB903_215 Depth=1
	v_and_b32_e32 v44, 7, v42
	v_ffbh_u32_e32 v58, v44
	v_min_u32_e32 v61, 32, v58
	v_subrev_u32_e32 v58, 28, v61
	v_lshlrev_b64 v[58:59], v58, v[42:43]
	v_lshrrev_b32_e32 v60, 3, v56
	v_sub_u32_e32 v42, 29, v61
	v_and_b32_e32 v58, 7, v58
	v_cmp_gt_u32_e32 vcc, 8, v56
	v_cndmask_b32_e32 v42, v60, v42, vcc
	v_cndmask_b32_e32 v44, v44, v58, vcc
	v_lshlrev_b32_e32 v56, 16, v40
	v_lshlrev_b32_e32 v44, 20, v44
	v_and_b32_e32 v56, 0x80000000, v56
	v_lshl_add_u32 v42, v42, 23, v55
	v_or3_b32 v42, v56, v42, v44
	v_lshrrev_b32_e32 v44, 16, v42
.LBB903_369:                            ;   in Loop: Header=BB903_215 Depth=1
	s_or_b64 exec, exec, s[16:17]
.LBB903_370:                            ;   in Loop: Header=BB903_215 Depth=1
	s_or_b64 exec, exec, s[14:15]
.LBB903_371:                            ;   in Loop: Header=BB903_215 Depth=1
	s_or_b64 exec, exec, s[12:13]
	v_lshrrev_b32_e32 v42, 16, v40
	v_cmp_ne_u16_sdwa s[14:15], v42, v54 src0_sel:BYTE_0 src1_sel:DWORD
	s_and_saveexec_b64 s[12:13], s[14:15]
	s_cbranch_execz .LBB903_377
; %bb.372:                              ;   in Loop: Header=BB903_215 Depth=1
	v_cmp_ne_u16_sdwa s[16:17], v42, s9 src0_sel:BYTE_0 src1_sel:DWORD
	v_mov_b32_e32 v57, 0xffff8000
	s_and_saveexec_b64 s[14:15], s[16:17]
	s_cbranch_execz .LBB903_376
; %bb.373:                              ;   in Loop: Header=BB903_215 Depth=1
	v_bfe_u32 v56, v40, 16, 7
	v_cmp_ne_u32_e32 vcc, s21, v56
	v_mov_b32_e32 v57, 0x7f80
	s_and_saveexec_b64 s[16:17], vcc
	s_cbranch_execz .LBB903_375
; %bb.374:                              ;   in Loop: Header=BB903_215 Depth=1
	v_and_b32_e32 v57, 7, v42
	v_ffbh_u32_e32 v58, v57
	v_min_u32_e32 v61, 32, v58
	v_subrev_u32_e32 v58, 28, v61
	v_lshlrev_b64 v[58:59], v58, v[42:43]
	v_lshrrev_b32_e32 v60, 3, v56
	v_sub_u32_e32 v59, 29, v61
	v_and_b32_e32 v58, 7, v58
	v_cmp_gt_u32_e32 vcc, 8, v56
	v_cndmask_b32_e32 v56, v60, v59, vcc
	v_cndmask_b32_e32 v57, v57, v58, vcc
	v_lshlrev_b32_e32 v42, 24, v42
	v_lshlrev_b32_e32 v57, 20, v57
	v_and_b32_e32 v42, 0x80000000, v42
	v_lshl_add_u32 v56, v56, 23, v55
	v_or3_b32 v42, v42, v56, v57
	v_lshrrev_b32_e32 v57, 16, v42
.LBB903_375:                            ;   in Loop: Header=BB903_215 Depth=1
	s_or_b64 exec, exec, s[16:17]
.LBB903_376:                            ;   in Loop: Header=BB903_215 Depth=1
	s_or_b64 exec, exec, s[14:15]
.LBB903_377:                            ;   in Loop: Header=BB903_215 Depth=1
	s_or_b64 exec, exec, s[12:13]
	v_cmp_lt_u32_e32 vcc, s22, v40
	v_mov_b32_e32 v58, 0
	v_mov_b32_e32 v59, 0
	s_and_saveexec_b64 s[12:13], vcc
	s_cbranch_execz .LBB903_383
; %bb.378:                              ;   in Loop: Header=BB903_215 Depth=1
	v_lshrrev_b32_e32 v42, 24, v40
	v_cmp_ne_u32_e32 vcc, s9, v42
	v_mov_b32_e32 v59, 0xffff8000
	s_and_saveexec_b64 s[14:15], vcc
	s_cbranch_execz .LBB903_382
; %bb.379:                              ;   in Loop: Header=BB903_215 Depth=1
	v_bfe_u32 v40, v40, 24, 7
	v_cmp_ne_u32_e32 vcc, s21, v40
	v_mov_b32_e32 v59, 0x7f80
	s_and_saveexec_b64 s[16:17], vcc
	s_cbranch_execz .LBB903_381
; %bb.380:                              ;   in Loop: Header=BB903_215 Depth=1
	v_and_b32_e32 v56, 7, v42
	v_ffbh_u32_e32 v60, v56
	v_min_u32_e32 v62, 32, v60
	v_subrev_u32_e32 v60, 28, v62
	v_lshlrev_b64 v[60:61], v60, v[42:43]
	v_lshrrev_b32_e32 v59, 3, v40
	v_sub_u32_e32 v61, 29, v62
	v_and_b32_e32 v60, 7, v60
	v_cmp_gt_u32_e32 vcc, 8, v40
	v_cndmask_b32_e32 v40, v59, v61, vcc
	v_cndmask_b32_e32 v56, v56, v60, vcc
	v_lshlrev_b32_e32 v42, 24, v42
	v_lshlrev_b32_e32 v56, 20, v56
	v_and_b32_e32 v42, 0x80000000, v42
	v_lshl_add_u32 v40, v40, 23, v55
	v_or3_b32 v40, v42, v40, v56
	v_lshrrev_b32_e32 v59, 16, v40
.LBB903_381:                            ;   in Loop: Header=BB903_215 Depth=1
	s_or_b64 exec, exec, s[16:17]
.LBB903_382:                            ;   in Loop: Header=BB903_215 Depth=1
	s_or_b64 exec, exec, s[14:15]
.LBB903_383:                            ;   in Loop: Header=BB903_215 Depth=1
	s_or_b64 exec, exec, s[12:13]
	s_waitcnt vmcnt(0)
	v_cmp_ne_u16_sdwa s[14:15], v38, v54 src0_sel:BYTE_0 src1_sel:DWORD
	s_and_saveexec_b64 s[12:13], s[14:15]
	s_cbranch_execz .LBB903_389
; %bb.384:                              ;   in Loop: Header=BB903_215 Depth=1
	v_cmp_ne_u16_sdwa s[16:17], v38, s9 src0_sel:BYTE_0 src1_sel:DWORD
	v_mov_b32_e32 v58, 0xffff8000
	s_and_saveexec_b64 s[14:15], s[16:17]
	s_cbranch_execz .LBB903_388
; %bb.385:                              ;   in Loop: Header=BB903_215 Depth=1
	v_and_b32_e32 v40, 0x7f, v38
	v_cmp_ne_u32_e32 vcc, s21, v40
	v_mov_b32_e32 v58, 0x7f80
	s_and_saveexec_b64 s[16:17], vcc
	s_cbranch_execz .LBB903_387
; %bb.386:                              ;   in Loop: Header=BB903_215 Depth=1
	v_and_b32_e32 v42, 7, v38
	v_ffbh_u32_e32 v58, v42
	v_min_u32_e32 v58, 32, v58
	v_subrev_u32_e32 v60, 28, v58
	v_lshlrev_b64 v[60:61], v60, v[38:39]
	v_lshrrev_b32_e32 v56, 3, v40
	v_sub_u32_e32 v58, 29, v58
	v_and_b32_e32 v60, 7, v60
	v_cmp_gt_u32_e32 vcc, 8, v40
	v_cndmask_b32_e32 v40, v56, v58, vcc
	v_cndmask_b32_e32 v42, v42, v60, vcc
	v_lshlrev_b32_e32 v56, 24, v38
	v_lshlrev_b32_e32 v42, 20, v42
	v_and_b32_e32 v56, 0x80000000, v56
	v_lshl_add_u32 v40, v40, 23, v55
	v_or3_b32 v40, v56, v40, v42
	v_lshrrev_b32_e32 v58, 16, v40
.LBB903_387:                            ;   in Loop: Header=BB903_215 Depth=1
	s_or_b64 exec, exec, s[16:17]
.LBB903_388:                            ;   in Loop: Header=BB903_215 Depth=1
	s_or_b64 exec, exec, s[14:15]
.LBB903_389:                            ;   in Loop: Header=BB903_215 Depth=1
	s_or_b64 exec, exec, s[12:13]
	v_lshrrev_b16_e32 v40, 8, v38
	v_cmp_ne_u16_e32 vcc, 0, v40
	v_mov_b32_e32 v61, 0
	v_mov_b32_e32 v60, 0
	s_and_saveexec_b64 s[12:13], vcc
	s_cbranch_execz .LBB903_395
; %bb.390:                              ;   in Loop: Header=BB903_215 Depth=1
	v_cmp_ne_u16_e32 vcc, s9, v40
	v_mov_b32_e32 v60, 0xffff8000
	s_and_saveexec_b64 s[14:15], vcc
	s_cbranch_execz .LBB903_394
; %bb.391:                              ;   in Loop: Header=BB903_215 Depth=1
	v_and_b32_e32 v42, 0x7f, v40
	v_cmp_ne_u32_e32 vcc, s21, v42
	v_mov_b32_e32 v60, 0x7f80
	s_and_saveexec_b64 s[16:17], vcc
	s_cbranch_execz .LBB903_393
; %bb.392:                              ;   in Loop: Header=BB903_215 Depth=1
	v_and_b32_e32 v56, 7, v40
	v_ffbh_u32_e32 v62, v56
	v_min_u32_e32 v64, 32, v62
	v_subrev_u32_e32 v62, 28, v64
	v_lshlrev_b64 v[62:63], v62, v[40:41]
	v_lshrrev_b32_e32 v60, 3, v42
	v_sub_u32_e32 v40, 29, v64
	v_and_b32_e32 v62, 7, v62
	v_cmp_gt_u32_e32 vcc, 8, v42
	v_cndmask_b32_e32 v40, v60, v40, vcc
	v_cndmask_b32_e32 v42, v56, v62, vcc
	v_lshlrev_b32_e32 v56, 16, v38
	v_lshlrev_b32_e32 v42, 20, v42
	v_and_b32_e32 v56, 0x80000000, v56
	v_lshl_add_u32 v40, v40, 23, v55
	v_or3_b32 v40, v56, v40, v42
	v_lshrrev_b32_e32 v60, 16, v40
.LBB903_393:                            ;   in Loop: Header=BB903_215 Depth=1
	s_or_b64 exec, exec, s[16:17]
.LBB903_394:                            ;   in Loop: Header=BB903_215 Depth=1
	s_or_b64 exec, exec, s[14:15]
.LBB903_395:                            ;   in Loop: Header=BB903_215 Depth=1
	s_or_b64 exec, exec, s[12:13]
	v_lshrrev_b32_e32 v40, 16, v38
	v_cmp_ne_u16_sdwa s[14:15], v40, v54 src0_sel:BYTE_0 src1_sel:DWORD
	s_and_saveexec_b64 s[12:13], s[14:15]
	s_cbranch_execz .LBB903_401
; %bb.396:                              ;   in Loop: Header=BB903_215 Depth=1
	v_cmp_ne_u16_sdwa s[16:17], v40, s9 src0_sel:BYTE_0 src1_sel:DWORD
	v_mov_b32_e32 v61, 0xffff8000
	s_and_saveexec_b64 s[14:15], s[16:17]
	s_cbranch_execz .LBB903_400
; %bb.397:                              ;   in Loop: Header=BB903_215 Depth=1
	v_bfe_u32 v42, v38, 16, 7
	v_cmp_ne_u32_e32 vcc, s21, v42
	v_mov_b32_e32 v61, 0x7f80
	s_and_saveexec_b64 s[16:17], vcc
	s_cbranch_execz .LBB903_399
; %bb.398:                              ;   in Loop: Header=BB903_215 Depth=1
	v_and_b32_e32 v56, 7, v40
	v_ffbh_u32_e32 v62, v56
	v_min_u32_e32 v64, 32, v62
	v_subrev_u32_e32 v62, 28, v64
	v_lshlrev_b64 v[62:63], v62, v[40:41]
	v_lshrrev_b32_e32 v61, 3, v42
	v_sub_u32_e32 v63, 29, v64
	v_and_b32_e32 v62, 7, v62
	v_cmp_gt_u32_e32 vcc, 8, v42
	v_cndmask_b32_e32 v42, v61, v63, vcc
	v_cndmask_b32_e32 v56, v56, v62, vcc
	v_lshlrev_b32_e32 v40, 24, v40
	v_lshlrev_b32_e32 v56, 20, v56
	v_and_b32_e32 v40, 0x80000000, v40
	v_lshl_add_u32 v42, v42, 23, v55
	v_or3_b32 v40, v40, v42, v56
	v_lshrrev_b32_e32 v61, 16, v40
.LBB903_399:                            ;   in Loop: Header=BB903_215 Depth=1
	s_or_b64 exec, exec, s[16:17]
.LBB903_400:                            ;   in Loop: Header=BB903_215 Depth=1
	s_or_b64 exec, exec, s[14:15]
.LBB903_401:                            ;   in Loop: Header=BB903_215 Depth=1
	s_or_b64 exec, exec, s[12:13]
	v_cmp_lt_u32_e32 vcc, s22, v38
	v_mov_b32_e32 v56, 0
	v_mov_b32_e32 v62, 0
	s_and_saveexec_b64 s[12:13], vcc
	s_cbranch_execz .LBB903_407
; %bb.402:                              ;   in Loop: Header=BB903_215 Depth=1
	v_lshrrev_b32_e32 v40, 24, v38
	v_cmp_ne_u32_e32 vcc, s9, v40
	v_mov_b32_e32 v62, 0xffff8000
	s_and_saveexec_b64 s[14:15], vcc
	s_cbranch_execz .LBB903_406
; %bb.403:                              ;   in Loop: Header=BB903_215 Depth=1
	v_bfe_u32 v38, v38, 24, 7
	v_cmp_ne_u32_e32 vcc, s21, v38
	v_mov_b32_e32 v62, 0x7f80
	s_and_saveexec_b64 s[16:17], vcc
	s_cbranch_execz .LBB903_405
; %bb.404:                              ;   in Loop: Header=BB903_215 Depth=1
	v_and_b32_e32 v42, 7, v40
	v_ffbh_u32_e32 v62, v42
	v_min_u32_e32 v65, 32, v62
	v_subrev_u32_e32 v62, 28, v65
	v_lshlrev_b64 v[62:63], v62, v[40:41]
	v_lshrrev_b32_e32 v64, 3, v38
	v_sub_u32_e32 v63, 29, v65
	v_and_b32_e32 v62, 7, v62
	v_cmp_gt_u32_e32 vcc, 8, v38
	v_cndmask_b32_e32 v38, v64, v63, vcc
	v_cndmask_b32_e32 v42, v42, v62, vcc
	v_lshlrev_b32_e32 v40, 24, v40
	v_lshlrev_b32_e32 v42, 20, v42
	v_and_b32_e32 v40, 0x80000000, v40
	v_lshl_add_u32 v38, v38, 23, v55
	v_or3_b32 v38, v40, v38, v42
	v_lshrrev_b32_e32 v62, 16, v38
.LBB903_405:                            ;   in Loop: Header=BB903_215 Depth=1
	s_or_b64 exec, exec, s[16:17]
.LBB903_406:                            ;   in Loop: Header=BB903_215 Depth=1
	s_or_b64 exec, exec, s[14:15]
.LBB903_407:                            ;   in Loop: Header=BB903_215 Depth=1
	s_or_b64 exec, exec, s[12:13]
	v_perm_b32 v64, v44, v46, s23
	buffer_load_dword v44, v51, s[0:3], 0 offen
	buffer_load_dword v42, v51, s[0:3], 0 offen offset:4
	buffer_load_dword v40, v51, s[0:3], 0 offen offset:8
	;; [unrolled: 1-line block ×3, first 2 shown]
	v_perm_b32 v65, v59, v57, s23
	v_perm_b32 v59, v62, v61, s23
	;; [unrolled: 1-line block ×3, first 2 shown]
	v_mfma_f32_16x16x16bf16_1k v[34:37], v[64:65], v[14:15], v[34:37]
	s_waitcnt vmcnt(3)
	v_cmp_ne_u16_sdwa s[14:15], v44, v54 src0_sel:BYTE_0 src1_sel:DWORD
	v_mfma_f32_16x16x16bf16_1k v[34:37], v[58:59], v[16:17], v[34:37]
	s_and_saveexec_b64 s[12:13], s[14:15]
	s_cbranch_execz .LBB903_413
; %bb.408:                              ;   in Loop: Header=BB903_215 Depth=1
	v_cmp_ne_u16_sdwa s[16:17], v44, s9 src0_sel:BYTE_0 src1_sel:DWORD
	v_mov_b32_e32 v56, 0xffff8000
	s_and_saveexec_b64 s[14:15], s[16:17]
	s_cbranch_execz .LBB903_412
; %bb.409:                              ;   in Loop: Header=BB903_215 Depth=1
	v_and_b32_e32 v46, 0x7f, v44
	v_cmp_ne_u32_e32 vcc, s21, v46
	v_mov_b32_e32 v56, 0x7f80
	s_and_saveexec_b64 s[16:17], vcc
	s_cbranch_execz .LBB903_411
; %bb.410:                              ;   in Loop: Header=BB903_215 Depth=1
	v_and_b32_e32 v51, 7, v44
	v_ffbh_u32_e32 v56, v51
	v_min_u32_e32 v59, 32, v56
	v_subrev_u32_e32 v56, 28, v59
	v_lshlrev_b64 v[56:57], v56, v[44:45]
	v_lshrrev_b32_e32 v58, 3, v46
	v_sub_u32_e32 v57, 29, v59
	v_and_b32_e32 v56, 7, v56
	v_cmp_gt_u32_e32 vcc, 8, v46
	v_cndmask_b32_e32 v46, v58, v57, vcc
	v_cndmask_b32_e32 v51, v51, v56, vcc
	v_lshlrev_b32_e32 v56, 24, v44
	v_lshlrev_b32_e32 v51, 20, v51
	v_and_b32_e32 v56, 0x80000000, v56
	v_lshl_add_u32 v46, v46, 23, v55
	v_or3_b32 v46, v56, v46, v51
	v_lshrrev_b32_e32 v56, 16, v46
.LBB903_411:                            ;   in Loop: Header=BB903_215 Depth=1
	s_or_b64 exec, exec, s[16:17]
.LBB903_412:                            ;   in Loop: Header=BB903_215 Depth=1
	s_or_b64 exec, exec, s[14:15]
.LBB903_413:                            ;   in Loop: Header=BB903_215 Depth=1
	s_or_b64 exec, exec, s[12:13]
	v_lshrrev_b16_e32 v46, 8, v44
	v_cmp_ne_u16_e32 vcc, 0, v46
	v_mov_b32_e32 v57, 0
	v_mov_b32_e32 v51, 0
	s_and_saveexec_b64 s[12:13], vcc
	s_cbranch_execz .LBB903_419
; %bb.414:                              ;   in Loop: Header=BB903_215 Depth=1
	v_cmp_ne_u16_e32 vcc, s9, v46
	v_mov_b32_e32 v51, 0xffff8000
	s_and_saveexec_b64 s[14:15], vcc
	s_cbranch_execz .LBB903_418
; %bb.415:                              ;   in Loop: Header=BB903_215 Depth=1
	v_and_b32_e32 v58, 0x7f, v46
	v_cmp_ne_u32_e32 vcc, s21, v58
	v_mov_b32_e32 v51, 0x7f80
	s_and_saveexec_b64 s[16:17], vcc
	s_cbranch_execz .LBB903_417
; %bb.416:                              ;   in Loop: Header=BB903_215 Depth=1
	v_and_b32_e32 v51, 7, v46
	v_ffbh_u32_e32 v60, v51
	v_min_u32_e32 v62, 32, v60
	v_subrev_u32_e32 v60, 28, v62
	v_lshlrev_b64 v[60:61], v60, v[46:47]
	v_lshrrev_b32_e32 v59, 3, v58
	v_sub_u32_e32 v46, 29, v62
	v_and_b32_e32 v60, 7, v60
	v_cmp_gt_u32_e32 vcc, 8, v58
	v_cndmask_b32_e32 v46, v59, v46, vcc
	v_cndmask_b32_e32 v51, v51, v60, vcc
	v_lshlrev_b32_e32 v58, 16, v44
	v_lshlrev_b32_e32 v51, 20, v51
	v_and_b32_e32 v58, 0x80000000, v58
	v_lshl_add_u32 v46, v46, 23, v55
	v_or3_b32 v46, v58, v46, v51
	v_lshrrev_b32_e32 v51, 16, v46
.LBB903_417:                            ;   in Loop: Header=BB903_215 Depth=1
	s_or_b64 exec, exec, s[16:17]
.LBB903_418:                            ;   in Loop: Header=BB903_215 Depth=1
	s_or_b64 exec, exec, s[14:15]
.LBB903_419:                            ;   in Loop: Header=BB903_215 Depth=1
	s_or_b64 exec, exec, s[12:13]
	v_lshrrev_b32_e32 v46, 16, v44
	v_cmp_ne_u16_sdwa s[14:15], v46, v54 src0_sel:BYTE_0 src1_sel:DWORD
	s_and_saveexec_b64 s[12:13], s[14:15]
	s_cbranch_execz .LBB903_425
; %bb.420:                              ;   in Loop: Header=BB903_215 Depth=1
	v_cmp_ne_u16_sdwa s[16:17], v46, s9 src0_sel:BYTE_0 src1_sel:DWORD
	v_mov_b32_e32 v57, 0xffff8000
	s_and_saveexec_b64 s[14:15], s[16:17]
	s_cbranch_execz .LBB903_424
; %bb.421:                              ;   in Loop: Header=BB903_215 Depth=1
	v_bfe_u32 v58, v44, 16, 7
	v_cmp_ne_u32_e32 vcc, s21, v58
	v_mov_b32_e32 v57, 0x7f80
	s_and_saveexec_b64 s[16:17], vcc
	s_cbranch_execz .LBB903_423
; %bb.422:                              ;   in Loop: Header=BB903_215 Depth=1
	v_and_b32_e32 v57, 7, v46
	v_ffbh_u32_e32 v60, v57
	v_min_u32_e32 v62, 32, v60
	v_subrev_u32_e32 v60, 28, v62
	v_lshlrev_b64 v[60:61], v60, v[46:47]
	v_lshrrev_b32_e32 v59, 3, v58
	v_sub_u32_e32 v61, 29, v62
	v_and_b32_e32 v60, 7, v60
	v_cmp_gt_u32_e32 vcc, 8, v58
	v_cndmask_b32_e32 v58, v59, v61, vcc
	v_cndmask_b32_e32 v57, v57, v60, vcc
	v_lshlrev_b32_e32 v46, 24, v46
	v_lshlrev_b32_e32 v57, 20, v57
	v_and_b32_e32 v46, 0x80000000, v46
	v_lshl_add_u32 v58, v58, 23, v55
	v_or3_b32 v46, v46, v58, v57
	v_lshrrev_b32_e32 v57, 16, v46
.LBB903_423:                            ;   in Loop: Header=BB903_215 Depth=1
	s_or_b64 exec, exec, s[16:17]
.LBB903_424:                            ;   in Loop: Header=BB903_215 Depth=1
	s_or_b64 exec, exec, s[14:15]
.LBB903_425:                            ;   in Loop: Header=BB903_215 Depth=1
	s_or_b64 exec, exec, s[12:13]
	v_cmp_lt_u32_e32 vcc, s22, v44
	v_mov_b32_e32 v58, 0
	v_mov_b32_e32 v59, 0
	s_and_saveexec_b64 s[12:13], vcc
	s_cbranch_execz .LBB903_431
; %bb.426:                              ;   in Loop: Header=BB903_215 Depth=1
	v_lshrrev_b32_e32 v46, 24, v44
	v_cmp_ne_u32_e32 vcc, s9, v46
	v_mov_b32_e32 v59, 0xffff8000
	s_and_saveexec_b64 s[14:15], vcc
	s_cbranch_execz .LBB903_430
; %bb.427:                              ;   in Loop: Header=BB903_215 Depth=1
	v_bfe_u32 v44, v44, 24, 7
	v_cmp_ne_u32_e32 vcc, s21, v44
	v_mov_b32_e32 v59, 0x7f80
	s_and_saveexec_b64 s[16:17], vcc
	s_cbranch_execz .LBB903_429
; %bb.428:                              ;   in Loop: Header=BB903_215 Depth=1
	v_and_b32_e32 v59, 7, v46
	v_ffbh_u32_e32 v60, v59
	v_min_u32_e32 v63, 32, v60
	v_subrev_u32_e32 v60, 28, v63
	v_lshlrev_b64 v[60:61], v60, v[46:47]
	v_lshrrev_b32_e32 v62, 3, v44
	v_sub_u32_e32 v61, 29, v63
	v_and_b32_e32 v60, 7, v60
	v_cmp_gt_u32_e32 vcc, 8, v44
	v_cndmask_b32_e32 v44, v62, v61, vcc
	v_cndmask_b32_e32 v59, v59, v60, vcc
	v_lshlrev_b32_e32 v46, 24, v46
	v_lshlrev_b32_e32 v59, 20, v59
	v_and_b32_e32 v46, 0x80000000, v46
	v_lshl_add_u32 v44, v44, 23, v55
	v_or3_b32 v44, v46, v44, v59
	v_lshrrev_b32_e32 v59, 16, v44
.LBB903_429:                            ;   in Loop: Header=BB903_215 Depth=1
	s_or_b64 exec, exec, s[16:17]
.LBB903_430:                            ;   in Loop: Header=BB903_215 Depth=1
	s_or_b64 exec, exec, s[14:15]
.LBB903_431:                            ;   in Loop: Header=BB903_215 Depth=1
	s_or_b64 exec, exec, s[12:13]
	s_waitcnt vmcnt(2)
	v_cmp_ne_u16_sdwa s[14:15], v42, v54 src0_sel:BYTE_0 src1_sel:DWORD
	s_and_saveexec_b64 s[12:13], s[14:15]
	s_cbranch_execz .LBB903_437
; %bb.432:                              ;   in Loop: Header=BB903_215 Depth=1
	v_cmp_ne_u16_sdwa s[16:17], v42, s9 src0_sel:BYTE_0 src1_sel:DWORD
	v_mov_b32_e32 v58, 0xffff8000
	s_and_saveexec_b64 s[14:15], s[16:17]
	s_cbranch_execz .LBB903_436
; %bb.433:                              ;   in Loop: Header=BB903_215 Depth=1
	v_and_b32_e32 v44, 0x7f, v42
	v_cmp_ne_u32_e32 vcc, s21, v44
	v_mov_b32_e32 v58, 0x7f80
	s_and_saveexec_b64 s[16:17], vcc
	s_cbranch_execz .LBB903_435
; %bb.434:                              ;   in Loop: Header=BB903_215 Depth=1
	v_and_b32_e32 v46, 7, v42
	v_ffbh_u32_e32 v60, v46
	v_min_u32_e32 v62, 32, v60
	v_subrev_u32_e32 v60, 28, v62
	v_lshlrev_b64 v[60:61], v60, v[42:43]
	v_lshrrev_b32_e32 v58, 3, v44
	v_sub_u32_e32 v61, 29, v62
	v_and_b32_e32 v60, 7, v60
	v_cmp_gt_u32_e32 vcc, 8, v44
	v_cndmask_b32_e32 v44, v58, v61, vcc
	v_cndmask_b32_e32 v46, v46, v60, vcc
	v_lshlrev_b32_e32 v58, 24, v42
	v_lshlrev_b32_e32 v46, 20, v46
	v_and_b32_e32 v58, 0x80000000, v58
	v_lshl_add_u32 v44, v44, 23, v55
	v_or3_b32 v44, v58, v44, v46
	v_lshrrev_b32_e32 v58, 16, v44
.LBB903_435:                            ;   in Loop: Header=BB903_215 Depth=1
	s_or_b64 exec, exec, s[16:17]
.LBB903_436:                            ;   in Loop: Header=BB903_215 Depth=1
	s_or_b64 exec, exec, s[14:15]
.LBB903_437:                            ;   in Loop: Header=BB903_215 Depth=1
	s_or_b64 exec, exec, s[12:13]
	v_lshrrev_b16_e32 v44, 8, v42
	v_cmp_ne_u16_e32 vcc, 0, v44
	v_mov_b32_e32 v61, 0
	v_mov_b32_e32 v60, 0
	s_and_saveexec_b64 s[12:13], vcc
	s_cbranch_execz .LBB903_443
; %bb.438:                              ;   in Loop: Header=BB903_215 Depth=1
	v_cmp_ne_u16_e32 vcc, s9, v44
	v_mov_b32_e32 v60, 0xffff8000
	s_and_saveexec_b64 s[14:15], vcc
	s_cbranch_execz .LBB903_442
; %bb.439:                              ;   in Loop: Header=BB903_215 Depth=1
	v_and_b32_e32 v46, 0x7f, v44
	v_cmp_ne_u32_e32 vcc, s21, v46
	v_mov_b32_e32 v60, 0x7f80
	s_and_saveexec_b64 s[16:17], vcc
	s_cbranch_execz .LBB903_441
; %bb.440:                              ;   in Loop: Header=BB903_215 Depth=1
	v_and_b32_e32 v60, 7, v44
	v_ffbh_u32_e32 v62, v60
	v_min_u32_e32 v65, 32, v62
	v_subrev_u32_e32 v62, 28, v65
	v_lshlrev_b64 v[62:63], v62, v[44:45]
	v_lshrrev_b32_e32 v64, 3, v46
	v_sub_u32_e32 v44, 29, v65
	v_and_b32_e32 v62, 7, v62
	v_cmp_gt_u32_e32 vcc, 8, v46
	v_cndmask_b32_e32 v44, v64, v44, vcc
	v_cndmask_b32_e32 v46, v60, v62, vcc
	v_lshlrev_b32_e32 v60, 16, v42
	v_lshlrev_b32_e32 v46, 20, v46
	v_and_b32_e32 v60, 0x80000000, v60
	v_lshl_add_u32 v44, v44, 23, v55
	v_or3_b32 v44, v60, v44, v46
	v_lshrrev_b32_e32 v60, 16, v44
.LBB903_441:                            ;   in Loop: Header=BB903_215 Depth=1
	s_or_b64 exec, exec, s[16:17]
.LBB903_442:                            ;   in Loop: Header=BB903_215 Depth=1
	s_or_b64 exec, exec, s[14:15]
.LBB903_443:                            ;   in Loop: Header=BB903_215 Depth=1
	s_or_b64 exec, exec, s[12:13]
	v_lshrrev_b32_e32 v44, 16, v42
	v_cmp_ne_u16_sdwa s[14:15], v44, v54 src0_sel:BYTE_0 src1_sel:DWORD
	s_and_saveexec_b64 s[12:13], s[14:15]
	s_cbranch_execz .LBB903_449
; %bb.444:                              ;   in Loop: Header=BB903_215 Depth=1
	v_cmp_ne_u16_sdwa s[16:17], v44, s9 src0_sel:BYTE_0 src1_sel:DWORD
	v_mov_b32_e32 v61, 0xffff8000
	s_and_saveexec_b64 s[14:15], s[16:17]
	s_cbranch_execz .LBB903_448
; %bb.445:                              ;   in Loop: Header=BB903_215 Depth=1
	v_bfe_u32 v46, v42, 16, 7
	v_cmp_ne_u32_e32 vcc, s21, v46
	v_mov_b32_e32 v61, 0x7f80
	s_and_saveexec_b64 s[16:17], vcc
	s_cbranch_execz .LBB903_447
; %bb.446:                              ;   in Loop: Header=BB903_215 Depth=1
	v_and_b32_e32 v61, 7, v44
	v_ffbh_u32_e32 v62, v61
	v_min_u32_e32 v65, 32, v62
	v_subrev_u32_e32 v62, 28, v65
	v_lshlrev_b64 v[62:63], v62, v[44:45]
	v_lshrrev_b32_e32 v64, 3, v46
	v_sub_u32_e32 v63, 29, v65
	v_and_b32_e32 v62, 7, v62
	v_cmp_gt_u32_e32 vcc, 8, v46
	v_cndmask_b32_e32 v46, v64, v63, vcc
	v_cndmask_b32_e32 v61, v61, v62, vcc
	v_lshlrev_b32_e32 v44, 24, v44
	v_lshlrev_b32_e32 v61, 20, v61
	v_and_b32_e32 v44, 0x80000000, v44
	v_lshl_add_u32 v46, v46, 23, v55
	v_or3_b32 v44, v44, v46, v61
	v_lshrrev_b32_e32 v61, 16, v44
.LBB903_447:                            ;   in Loop: Header=BB903_215 Depth=1
	s_or_b64 exec, exec, s[16:17]
.LBB903_448:                            ;   in Loop: Header=BB903_215 Depth=1
	s_or_b64 exec, exec, s[14:15]
.LBB903_449:                            ;   in Loop: Header=BB903_215 Depth=1
	s_or_b64 exec, exec, s[12:13]
	v_cmp_lt_u32_e32 vcc, s22, v42
	v_mov_b32_e32 v46, 0
	v_mov_b32_e32 v62, 0
	s_and_saveexec_b64 s[12:13], vcc
	s_cbranch_execz .LBB903_455
; %bb.450:                              ;   in Loop: Header=BB903_215 Depth=1
	v_lshrrev_b32_e32 v44, 24, v42
	v_cmp_ne_u32_e32 vcc, s9, v44
	v_mov_b32_e32 v62, 0xffff8000
	s_and_saveexec_b64 s[14:15], vcc
	s_cbranch_execz .LBB903_454
; %bb.451:                              ;   in Loop: Header=BB903_215 Depth=1
	v_bfe_u32 v42, v42, 24, 7
	v_cmp_ne_u32_e32 vcc, s21, v42
	v_mov_b32_e32 v62, 0x7f80
	s_and_saveexec_b64 s[16:17], vcc
	s_cbranch_execz .LBB903_453
; %bb.452:                              ;   in Loop: Header=BB903_215 Depth=1
	v_and_b32_e32 v64, 7, v44
	v_ffbh_u32_e32 v62, v64
	v_min_u32_e32 v66, 32, v62
	v_subrev_u32_e32 v62, 28, v66
	v_lshlrev_b64 v[62:63], v62, v[44:45]
	v_lshrrev_b32_e32 v65, 3, v42
	v_sub_u32_e32 v63, 29, v66
	v_and_b32_e32 v62, 7, v62
	v_cmp_gt_u32_e32 vcc, 8, v42
	v_cndmask_b32_e32 v42, v65, v63, vcc
	v_cndmask_b32_e32 v62, v64, v62, vcc
	v_lshlrev_b32_e32 v44, 24, v44
	v_lshlrev_b32_e32 v62, 20, v62
	v_and_b32_e32 v44, 0x80000000, v44
	v_lshl_add_u32 v42, v42, 23, v55
	v_or3_b32 v42, v44, v42, v62
	v_lshrrev_b32_e32 v62, 16, v42
.LBB903_453:                            ;   in Loop: Header=BB903_215 Depth=1
	s_or_b64 exec, exec, s[16:17]
.LBB903_454:                            ;   in Loop: Header=BB903_215 Depth=1
	s_or_b64 exec, exec, s[14:15]
.LBB903_455:                            ;   in Loop: Header=BB903_215 Depth=1
	s_or_b64 exec, exec, s[12:13]
	v_perm_b32 v57, v59, v57, s23
	v_perm_b32 v56, v51, v56, s23
	s_waitcnt vmcnt(1)
	v_cmp_ne_u16_sdwa s[14:15], v40, v54 src0_sel:BYTE_0 src1_sel:DWORD
	v_mfma_f32_16x16x16bf16_1k v[34:37], v[56:57], v[18:19], v[34:37]
	v_perm_b32 v57, v62, v61, s23
	v_perm_b32 v56, v60, v58, s23
	s_nop 1
	v_mfma_f32_16x16x16bf16_1k v[34:37], v[56:57], v[20:21], v[34:37]
	s_and_saveexec_b64 s[12:13], s[14:15]
	s_cbranch_execz .LBB903_461
; %bb.456:                              ;   in Loop: Header=BB903_215 Depth=1
	v_cmp_ne_u16_sdwa s[16:17], v40, s9 src0_sel:BYTE_0 src1_sel:DWORD
	v_mov_b32_e32 v46, 0xffff8000
	s_and_saveexec_b64 s[14:15], s[16:17]
	s_cbranch_execz .LBB903_460
; %bb.457:                              ;   in Loop: Header=BB903_215 Depth=1
	v_and_b32_e32 v42, 0x7f, v40
	v_cmp_ne_u32_e32 vcc, s21, v42
	v_mov_b32_e32 v46, 0x7f80
	s_and_saveexec_b64 s[16:17], vcc
	s_cbranch_execz .LBB903_459
; %bb.458:                              ;   in Loop: Header=BB903_215 Depth=1
	v_and_b32_e32 v44, 7, v40
	v_ffbh_u32_e32 v51, v44
	v_min_u32_e32 v51, 32, v51
	v_subrev_u32_e32 v56, 28, v51
	v_lshlrev_b64 v[56:57], v56, v[40:41]
	v_lshrrev_b32_e32 v46, 3, v42
	v_sub_u32_e32 v51, 29, v51
	v_and_b32_e32 v56, 7, v56
	v_cmp_gt_u32_e32 vcc, 8, v42
	v_cndmask_b32_e32 v42, v46, v51, vcc
	v_cndmask_b32_e32 v44, v44, v56, vcc
	v_lshlrev_b32_e32 v46, 24, v40
	v_lshlrev_b32_e32 v44, 20, v44
	v_and_b32_e32 v46, 0x80000000, v46
	v_lshl_add_u32 v42, v42, 23, v55
	v_or3_b32 v42, v46, v42, v44
	v_lshrrev_b32_e32 v46, 16, v42
.LBB903_459:                            ;   in Loop: Header=BB903_215 Depth=1
	s_or_b64 exec, exec, s[16:17]
.LBB903_460:                            ;   in Loop: Header=BB903_215 Depth=1
	s_or_b64 exec, exec, s[14:15]
.LBB903_461:                            ;   in Loop: Header=BB903_215 Depth=1
	s_or_b64 exec, exec, s[12:13]
	v_lshrrev_b16_e32 v42, 8, v40
	v_cmp_ne_u16_e32 vcc, 0, v42
	v_mov_b32_e32 v56, 0
	v_mov_b32_e32 v44, 0
	s_and_saveexec_b64 s[12:13], vcc
	s_cbranch_execz .LBB903_467
; %bb.462:                              ;   in Loop: Header=BB903_215 Depth=1
	v_cmp_ne_u16_e32 vcc, s9, v42
	v_mov_b32_e32 v44, 0xffff8000
	s_and_saveexec_b64 s[14:15], vcc
	s_cbranch_execz .LBB903_466
; %bb.463:                              ;   in Loop: Header=BB903_215 Depth=1
	v_and_b32_e32 v51, 0x7f, v42
	v_cmp_ne_u32_e32 vcc, s21, v51
	v_mov_b32_e32 v44, 0x7f80
	s_and_saveexec_b64 s[16:17], vcc
	s_cbranch_execz .LBB903_465
; %bb.464:                              ;   in Loop: Header=BB903_215 Depth=1
	v_and_b32_e32 v44, 7, v42
	v_ffbh_u32_e32 v58, v44
	v_min_u32_e32 v60, 32, v58
	v_subrev_u32_e32 v58, 28, v60
	v_lshlrev_b64 v[58:59], v58, v[42:43]
	v_lshrrev_b32_e32 v57, 3, v51
	v_sub_u32_e32 v42, 29, v60
	v_and_b32_e32 v58, 7, v58
	v_cmp_gt_u32_e32 vcc, 8, v51
	v_cndmask_b32_e32 v42, v57, v42, vcc
	v_cndmask_b32_e32 v44, v44, v58, vcc
	v_lshlrev_b32_e32 v51, 16, v40
	v_lshlrev_b32_e32 v44, 20, v44
	v_and_b32_e32 v51, 0x80000000, v51
	v_lshl_add_u32 v42, v42, 23, v55
	v_or3_b32 v42, v51, v42, v44
	v_lshrrev_b32_e32 v44, 16, v42
.LBB903_465:                            ;   in Loop: Header=BB903_215 Depth=1
	s_or_b64 exec, exec, s[16:17]
.LBB903_466:                            ;   in Loop: Header=BB903_215 Depth=1
	s_or_b64 exec, exec, s[14:15]
.LBB903_467:                            ;   in Loop: Header=BB903_215 Depth=1
	s_or_b64 exec, exec, s[12:13]
	v_lshrrev_b32_e32 v42, 16, v40
	v_cmp_ne_u16_sdwa s[14:15], v42, v54 src0_sel:BYTE_0 src1_sel:DWORD
	s_and_saveexec_b64 s[12:13], s[14:15]
	s_cbranch_execz .LBB903_473
; %bb.468:                              ;   in Loop: Header=BB903_215 Depth=1
	v_cmp_ne_u16_sdwa s[16:17], v42, s9 src0_sel:BYTE_0 src1_sel:DWORD
	v_mov_b32_e32 v56, 0xffff8000
	s_and_saveexec_b64 s[14:15], s[16:17]
	s_cbranch_execz .LBB903_472
; %bb.469:                              ;   in Loop: Header=BB903_215 Depth=1
	v_bfe_u32 v51, v40, 16, 7
	v_cmp_ne_u32_e32 vcc, s21, v51
	v_mov_b32_e32 v56, 0x7f80
	s_and_saveexec_b64 s[16:17], vcc
	s_cbranch_execz .LBB903_471
; %bb.470:                              ;   in Loop: Header=BB903_215 Depth=1
	v_and_b32_e32 v58, 7, v42
	v_ffbh_u32_e32 v56, v58
	v_min_u32_e32 v60, 32, v56
	v_subrev_u32_e32 v56, 28, v60
	v_lshlrev_b64 v[56:57], v56, v[42:43]
	v_lshrrev_b32_e32 v59, 3, v51
	v_sub_u32_e32 v57, 29, v60
	v_and_b32_e32 v56, 7, v56
	v_cmp_gt_u32_e32 vcc, 8, v51
	v_cndmask_b32_e32 v51, v59, v57, vcc
	v_cndmask_b32_e32 v56, v58, v56, vcc
	v_lshlrev_b32_e32 v42, 24, v42
	v_lshlrev_b32_e32 v56, 20, v56
	v_and_b32_e32 v42, 0x80000000, v42
	v_lshl_add_u32 v51, v51, 23, v55
	v_or3_b32 v42, v42, v51, v56
	v_lshrrev_b32_e32 v56, 16, v42
.LBB903_471:                            ;   in Loop: Header=BB903_215 Depth=1
	s_or_b64 exec, exec, s[16:17]
.LBB903_472:                            ;   in Loop: Header=BB903_215 Depth=1
	s_or_b64 exec, exec, s[14:15]
.LBB903_473:                            ;   in Loop: Header=BB903_215 Depth=1
	s_or_b64 exec, exec, s[12:13]
	v_cmp_lt_u32_e32 vcc, s22, v40
	v_mov_b32_e32 v57, 0
	v_mov_b32_e32 v58, 0
	s_and_saveexec_b64 s[12:13], vcc
	s_cbranch_execz .LBB903_479
; %bb.474:                              ;   in Loop: Header=BB903_215 Depth=1
	v_lshrrev_b32_e32 v42, 24, v40
	v_cmp_ne_u32_e32 vcc, s9, v42
	v_mov_b32_e32 v58, 0xffff8000
	s_and_saveexec_b64 s[14:15], vcc
	s_cbranch_execz .LBB903_478
; %bb.475:                              ;   in Loop: Header=BB903_215 Depth=1
	v_bfe_u32 v40, v40, 24, 7
	v_cmp_ne_u32_e32 vcc, s21, v40
	v_mov_b32_e32 v58, 0x7f80
	s_and_saveexec_b64 s[16:17], vcc
	s_cbranch_execz .LBB903_477
; %bb.476:                              ;   in Loop: Header=BB903_215 Depth=1
	v_and_b32_e32 v51, 7, v42
	v_ffbh_u32_e32 v58, v51
	v_min_u32_e32 v61, 32, v58
	v_subrev_u32_e32 v58, 28, v61
	v_lshlrev_b64 v[58:59], v58, v[42:43]
	v_lshrrev_b32_e32 v60, 3, v40
	v_sub_u32_e32 v59, 29, v61
	v_and_b32_e32 v58, 7, v58
	v_cmp_gt_u32_e32 vcc, 8, v40
	v_cndmask_b32_e32 v40, v60, v59, vcc
	v_cndmask_b32_e32 v51, v51, v58, vcc
	v_lshlrev_b32_e32 v42, 24, v42
	v_lshlrev_b32_e32 v51, 20, v51
	v_and_b32_e32 v42, 0x80000000, v42
	v_lshl_add_u32 v40, v40, 23, v55
	v_or3_b32 v40, v42, v40, v51
	v_lshrrev_b32_e32 v58, 16, v40
.LBB903_477:                            ;   in Loop: Header=BB903_215 Depth=1
	s_or_b64 exec, exec, s[16:17]
.LBB903_478:                            ;   in Loop: Header=BB903_215 Depth=1
	s_or_b64 exec, exec, s[14:15]
.LBB903_479:                            ;   in Loop: Header=BB903_215 Depth=1
	s_or_b64 exec, exec, s[12:13]
	s_waitcnt vmcnt(0)
	v_cmp_ne_u16_sdwa s[14:15], v38, v54 src0_sel:BYTE_0 src1_sel:DWORD
	s_and_saveexec_b64 s[12:13], s[14:15]
	s_cbranch_execz .LBB903_485
; %bb.480:                              ;   in Loop: Header=BB903_215 Depth=1
	v_cmp_ne_u16_sdwa s[16:17], v38, s9 src0_sel:BYTE_0 src1_sel:DWORD
	v_mov_b32_e32 v57, 0xffff8000
	s_and_saveexec_b64 s[14:15], s[16:17]
	s_cbranch_execz .LBB903_484
; %bb.481:                              ;   in Loop: Header=BB903_215 Depth=1
	v_and_b32_e32 v40, 0x7f, v38
	v_cmp_ne_u32_e32 vcc, s21, v40
	v_mov_b32_e32 v57, 0x7f80
	s_and_saveexec_b64 s[16:17], vcc
	s_cbranch_execz .LBB903_483
; %bb.482:                              ;   in Loop: Header=BB903_215 Depth=1
	v_and_b32_e32 v42, 7, v38
	v_ffbh_u32_e32 v57, v42
	v_min_u32_e32 v57, 32, v57
	v_subrev_u32_e32 v59, 28, v57
	v_lshlrev_b64 v[60:61], v59, v[38:39]
	v_lshrrev_b32_e32 v51, 3, v40
	v_sub_u32_e32 v57, 29, v57
	v_and_b32_e32 v59, 7, v60
	v_cmp_gt_u32_e32 vcc, 8, v40
	v_cndmask_b32_e32 v40, v51, v57, vcc
	v_cndmask_b32_e32 v42, v42, v59, vcc
	v_lshlrev_b32_e32 v51, 24, v38
	v_lshlrev_b32_e32 v42, 20, v42
	v_and_b32_e32 v51, 0x80000000, v51
	v_lshl_add_u32 v40, v40, 23, v55
	v_or3_b32 v40, v51, v40, v42
	v_lshrrev_b32_e32 v57, 16, v40
.LBB903_483:                            ;   in Loop: Header=BB903_215 Depth=1
	s_or_b64 exec, exec, s[16:17]
.LBB903_484:                            ;   in Loop: Header=BB903_215 Depth=1
	s_or_b64 exec, exec, s[14:15]
.LBB903_485:                            ;   in Loop: Header=BB903_215 Depth=1
	s_or_b64 exec, exec, s[12:13]
	v_lshrrev_b16_e32 v40, 8, v38
	v_cmp_ne_u16_e32 vcc, 0, v40
	v_mov_b32_e32 v60, 0
	v_mov_b32_e32 v59, 0
	s_and_saveexec_b64 s[12:13], vcc
	s_cbranch_execz .LBB903_491
; %bb.486:                              ;   in Loop: Header=BB903_215 Depth=1
	v_cmp_ne_u16_e32 vcc, s9, v40
	v_mov_b32_e32 v59, 0xffff8000
	s_and_saveexec_b64 s[14:15], vcc
	s_cbranch_execz .LBB903_490
; %bb.487:                              ;   in Loop: Header=BB903_215 Depth=1
	v_and_b32_e32 v42, 0x7f, v40
	v_cmp_ne_u32_e32 vcc, s21, v42
	v_mov_b32_e32 v59, 0x7f80
	s_and_saveexec_b64 s[16:17], vcc
	s_cbranch_execz .LBB903_489
; %bb.488:                              ;   in Loop: Header=BB903_215 Depth=1
	v_and_b32_e32 v51, 7, v40
	v_ffbh_u32_e32 v61, v51
	v_min_u32_e32 v61, 32, v61
	v_subrev_u32_e32 v62, 28, v61
	v_lshlrev_b64 v[62:63], v62, v[40:41]
	v_lshrrev_b32_e32 v59, 3, v42
	v_sub_u32_e32 v40, 29, v61
	v_and_b32_e32 v61, 7, v62
	v_cmp_gt_u32_e32 vcc, 8, v42
	v_cndmask_b32_e32 v40, v59, v40, vcc
	v_cndmask_b32_e32 v42, v51, v61, vcc
	v_lshlrev_b32_e32 v51, 16, v38
	v_lshlrev_b32_e32 v42, 20, v42
	v_and_b32_e32 v51, 0x80000000, v51
	v_lshl_add_u32 v40, v40, 23, v55
	v_or3_b32 v40, v51, v40, v42
	v_lshrrev_b32_e32 v59, 16, v40
.LBB903_489:                            ;   in Loop: Header=BB903_215 Depth=1
	s_or_b64 exec, exec, s[16:17]
.LBB903_490:                            ;   in Loop: Header=BB903_215 Depth=1
	s_or_b64 exec, exec, s[14:15]
.LBB903_491:                            ;   in Loop: Header=BB903_215 Depth=1
	s_or_b64 exec, exec, s[12:13]
	v_lshrrev_b32_e32 v40, 16, v38
	v_cmp_ne_u16_sdwa s[14:15], v40, v54 src0_sel:BYTE_0 src1_sel:DWORD
	s_and_saveexec_b64 s[12:13], s[14:15]
	s_cbranch_execz .LBB903_497
; %bb.492:                              ;   in Loop: Header=BB903_215 Depth=1
	v_cmp_ne_u16_sdwa s[16:17], v40, s9 src0_sel:BYTE_0 src1_sel:DWORD
	v_mov_b32_e32 v60, 0xffff8000
	s_and_saveexec_b64 s[14:15], s[16:17]
	s_cbranch_execz .LBB903_496
; %bb.493:                              ;   in Loop: Header=BB903_215 Depth=1
	v_bfe_u32 v42, v38, 16, 7
	v_cmp_ne_u32_e32 vcc, s21, v42
	v_mov_b32_e32 v60, 0x7f80
	s_and_saveexec_b64 s[16:17], vcc
	s_cbranch_execz .LBB903_495
; %bb.494:                              ;   in Loop: Header=BB903_215 Depth=1
	v_and_b32_e32 v51, 7, v40
	v_ffbh_u32_e32 v60, v51
	v_min_u32_e32 v63, 32, v60
	v_subrev_u32_e32 v60, 28, v63
	v_lshlrev_b64 v[60:61], v60, v[40:41]
	v_lshrrev_b32_e32 v62, 3, v42
	v_sub_u32_e32 v61, 29, v63
	v_and_b32_e32 v60, 7, v60
	v_cmp_gt_u32_e32 vcc, 8, v42
	v_cndmask_b32_e32 v42, v62, v61, vcc
	v_cndmask_b32_e32 v51, v51, v60, vcc
	v_lshlrev_b32_e32 v40, 24, v40
	v_lshlrev_b32_e32 v51, 20, v51
	v_and_b32_e32 v40, 0x80000000, v40
	v_lshl_add_u32 v42, v42, 23, v55
	v_or3_b32 v40, v40, v42, v51
	v_lshrrev_b32_e32 v60, 16, v40
.LBB903_495:                            ;   in Loop: Header=BB903_215 Depth=1
	s_or_b64 exec, exec, s[16:17]
.LBB903_496:                            ;   in Loop: Header=BB903_215 Depth=1
	s_or_b64 exec, exec, s[14:15]
.LBB903_497:                            ;   in Loop: Header=BB903_215 Depth=1
	s_or_b64 exec, exec, s[12:13]
	v_cmp_lt_u32_e32 vcc, s22, v38
	v_mov_b32_e32 v51, 0
	v_mov_b32_e32 v61, 0
	s_and_saveexec_b64 s[12:13], vcc
	s_cbranch_execz .LBB903_503
; %bb.498:                              ;   in Loop: Header=BB903_215 Depth=1
	v_lshrrev_b32_e32 v40, 24, v38
	v_cmp_ne_u32_e32 vcc, s9, v40
	v_mov_b32_e32 v61, 0xffff8000
	s_and_saveexec_b64 s[14:15], vcc
	s_cbranch_execz .LBB903_502
; %bb.499:                              ;   in Loop: Header=BB903_215 Depth=1
	v_bfe_u32 v38, v38, 24, 7
	v_cmp_ne_u32_e32 vcc, s21, v38
	v_mov_b32_e32 v61, 0x7f80
	s_and_saveexec_b64 s[16:17], vcc
	s_cbranch_execz .LBB903_501
; %bb.500:                              ;   in Loop: Header=BB903_215 Depth=1
	v_and_b32_e32 v42, 7, v40
	v_ffbh_u32_e32 v62, v42
	v_min_u32_e32 v64, 32, v62
	v_subrev_u32_e32 v62, 28, v64
	v_lshlrev_b64 v[62:63], v62, v[40:41]
	v_lshrrev_b32_e32 v61, 3, v38
	v_sub_u32_e32 v63, 29, v64
	v_and_b32_e32 v62, 7, v62
	v_cmp_gt_u32_e32 vcc, 8, v38
	v_cndmask_b32_e32 v38, v61, v63, vcc
	v_cndmask_b32_e32 v42, v42, v62, vcc
	v_lshlrev_b32_e32 v40, 24, v40
	v_lshlrev_b32_e32 v42, 20, v42
	v_and_b32_e32 v40, 0x80000000, v40
	v_lshl_add_u32 v38, v38, 23, v55
	v_or3_b32 v38, v40, v38, v42
	v_lshrrev_b32_e32 v61, 16, v38
.LBB903_501:                            ;   in Loop: Header=BB903_215 Depth=1
	s_or_b64 exec, exec, s[16:17]
.LBB903_502:                            ;   in Loop: Header=BB903_215 Depth=1
	s_or_b64 exec, exec, s[14:15]
.LBB903_503:                            ;   in Loop: Header=BB903_215 Depth=1
	s_or_b64 exec, exec, s[12:13]
	v_perm_b32 v62, v44, v46, s23
	buffer_load_dword v44, v50, s[0:3], 0 offen
	buffer_load_dword v42, v50, s[0:3], 0 offen offset:4
	buffer_load_dword v40, v50, s[0:3], 0 offen offset:8
	;; [unrolled: 1-line block ×3, first 2 shown]
	v_perm_b32 v63, v58, v56, s23
	v_perm_b32 v61, v61, v60, s23
	;; [unrolled: 1-line block ×3, first 2 shown]
	v_mfma_f32_16x16x16bf16_1k v[34:37], v[62:63], v[22:23], v[34:37]
	s_waitcnt vmcnt(3)
	v_cmp_ne_u16_sdwa s[14:15], v44, v54 src0_sel:BYTE_0 src1_sel:DWORD
	v_mfma_f32_16x16x16bf16_1k v[34:37], v[60:61], v[24:25], v[34:37]
	s_and_saveexec_b64 s[12:13], s[14:15]
	s_cbranch_execz .LBB903_509
; %bb.504:                              ;   in Loop: Header=BB903_215 Depth=1
	v_cmp_ne_u16_sdwa s[16:17], v44, s9 src0_sel:BYTE_0 src1_sel:DWORD
	v_mov_b32_e32 v51, 0xffff8000
	s_and_saveexec_b64 s[14:15], s[16:17]
	s_cbranch_execz .LBB903_508
; %bb.505:                              ;   in Loop: Header=BB903_215 Depth=1
	v_and_b32_e32 v46, 0x7f, v44
	v_cmp_ne_u32_e32 vcc, s21, v46
	v_mov_b32_e32 v51, 0x7f80
	s_and_saveexec_b64 s[16:17], vcc
	s_cbranch_execz .LBB903_507
; %bb.506:                              ;   in Loop: Header=BB903_215 Depth=1
	v_and_b32_e32 v56, 7, v44
	v_ffbh_u32_e32 v50, v56
	v_min_u32_e32 v58, 32, v50
	v_subrev_u32_e32 v50, 28, v58
	v_lshlrev_b64 v[50:51], v50, v[44:45]
	v_lshrrev_b32_e32 v57, 3, v46
	v_sub_u32_e32 v51, 29, v58
	v_and_b32_e32 v50, 7, v50
	v_cmp_gt_u32_e32 vcc, 8, v46
	v_cndmask_b32_e32 v46, v57, v51, vcc
	v_cndmask_b32_e32 v50, v56, v50, vcc
	v_lshlrev_b32_e32 v51, 24, v44
	v_lshlrev_b32_e32 v50, 20, v50
	v_and_b32_e32 v51, 0x80000000, v51
	v_lshl_add_u32 v46, v46, 23, v55
	v_or3_b32 v46, v51, v46, v50
	v_lshrrev_b32_e32 v51, 16, v46
.LBB903_507:                            ;   in Loop: Header=BB903_215 Depth=1
	s_or_b64 exec, exec, s[16:17]
.LBB903_508:                            ;   in Loop: Header=BB903_215 Depth=1
	s_or_b64 exec, exec, s[14:15]
.LBB903_509:                            ;   in Loop: Header=BB903_215 Depth=1
	s_or_b64 exec, exec, s[12:13]
	v_lshrrev_b16_e32 v46, 8, v44
	v_cmp_ne_u16_e32 vcc, 0, v46
	v_mov_b32_e32 v56, 0
	v_mov_b32_e32 v50, 0
	s_and_saveexec_b64 s[12:13], vcc
	s_cbranch_execz .LBB903_515
; %bb.510:                              ;   in Loop: Header=BB903_215 Depth=1
	v_cmp_ne_u16_e32 vcc, s9, v46
	v_mov_b32_e32 v50, 0xffff8000
	s_and_saveexec_b64 s[14:15], vcc
	s_cbranch_execz .LBB903_514
; %bb.511:                              ;   in Loop: Header=BB903_215 Depth=1
	v_and_b32_e32 v57, 0x7f, v46
	v_cmp_ne_u32_e32 vcc, s21, v57
	v_mov_b32_e32 v50, 0x7f80
	s_and_saveexec_b64 s[16:17], vcc
	s_cbranch_execz .LBB903_513
; %bb.512:                              ;   in Loop: Header=BB903_215 Depth=1
	v_and_b32_e32 v50, 7, v46
	v_ffbh_u32_e32 v58, v50
	v_min_u32_e32 v61, 32, v58
	v_subrev_u32_e32 v58, 28, v61
	v_lshlrev_b64 v[58:59], v58, v[46:47]
	v_lshrrev_b32_e32 v60, 3, v57
	v_sub_u32_e32 v46, 29, v61
	v_and_b32_e32 v58, 7, v58
	v_cmp_gt_u32_e32 vcc, 8, v57
	v_cndmask_b32_e32 v46, v60, v46, vcc
	v_cndmask_b32_e32 v50, v50, v58, vcc
	v_lshlrev_b32_e32 v57, 16, v44
	v_lshlrev_b32_e32 v50, 20, v50
	v_and_b32_e32 v57, 0x80000000, v57
	v_lshl_add_u32 v46, v46, 23, v55
	v_or3_b32 v46, v57, v46, v50
	v_lshrrev_b32_e32 v50, 16, v46
.LBB903_513:                            ;   in Loop: Header=BB903_215 Depth=1
	s_or_b64 exec, exec, s[16:17]
.LBB903_514:                            ;   in Loop: Header=BB903_215 Depth=1
	s_or_b64 exec, exec, s[14:15]
.LBB903_515:                            ;   in Loop: Header=BB903_215 Depth=1
	s_or_b64 exec, exec, s[12:13]
	v_lshrrev_b32_e32 v46, 16, v44
	v_cmp_ne_u16_sdwa s[14:15], v46, v54 src0_sel:BYTE_0 src1_sel:DWORD
	s_and_saveexec_b64 s[12:13], s[14:15]
	s_cbranch_execz .LBB903_521
; %bb.516:                              ;   in Loop: Header=BB903_215 Depth=1
	v_cmp_ne_u16_sdwa s[16:17], v46, s9 src0_sel:BYTE_0 src1_sel:DWORD
	v_mov_b32_e32 v56, 0xffff8000
	s_and_saveexec_b64 s[14:15], s[16:17]
	s_cbranch_execz .LBB903_520
; %bb.517:                              ;   in Loop: Header=BB903_215 Depth=1
	v_bfe_u32 v57, v44, 16, 7
	v_cmp_ne_u32_e32 vcc, s21, v57
	v_mov_b32_e32 v56, 0x7f80
	s_and_saveexec_b64 s[16:17], vcc
	s_cbranch_execz .LBB903_519
; %bb.518:                              ;   in Loop: Header=BB903_215 Depth=1
	v_and_b32_e32 v56, 7, v46
	v_ffbh_u32_e32 v58, v56
	v_min_u32_e32 v61, 32, v58
	v_subrev_u32_e32 v58, 28, v61
	v_lshlrev_b64 v[58:59], v58, v[46:47]
	v_lshrrev_b32_e32 v60, 3, v57
	v_sub_u32_e32 v59, 29, v61
	v_and_b32_e32 v58, 7, v58
	v_cmp_gt_u32_e32 vcc, 8, v57
	v_cndmask_b32_e32 v57, v60, v59, vcc
	v_cndmask_b32_e32 v56, v56, v58, vcc
	v_lshlrev_b32_e32 v46, 24, v46
	v_lshlrev_b32_e32 v56, 20, v56
	v_and_b32_e32 v46, 0x80000000, v46
	v_lshl_add_u32 v57, v57, 23, v55
	v_or3_b32 v46, v46, v57, v56
	v_lshrrev_b32_e32 v56, 16, v46
.LBB903_519:                            ;   in Loop: Header=BB903_215 Depth=1
	s_or_b64 exec, exec, s[16:17]
.LBB903_520:                            ;   in Loop: Header=BB903_215 Depth=1
	s_or_b64 exec, exec, s[14:15]
.LBB903_521:                            ;   in Loop: Header=BB903_215 Depth=1
	s_or_b64 exec, exec, s[12:13]
	v_cmp_lt_u32_e32 vcc, s22, v44
	v_mov_b32_e32 v57, 0
	v_mov_b32_e32 v58, 0
	s_and_saveexec_b64 s[12:13], vcc
	s_cbranch_execz .LBB903_527
; %bb.522:                              ;   in Loop: Header=BB903_215 Depth=1
	v_lshrrev_b32_e32 v46, 24, v44
	v_cmp_ne_u32_e32 vcc, s9, v46
	v_mov_b32_e32 v58, 0xffff8000
	s_and_saveexec_b64 s[14:15], vcc
	s_cbranch_execz .LBB903_526
; %bb.523:                              ;   in Loop: Header=BB903_215 Depth=1
	v_bfe_u32 v44, v44, 24, 7
	v_cmp_ne_u32_e32 vcc, s21, v44
	v_mov_b32_e32 v58, 0x7f80
	s_and_saveexec_b64 s[16:17], vcc
	s_cbranch_execz .LBB903_525
; %bb.524:                              ;   in Loop: Header=BB903_215 Depth=1
	v_and_b32_e32 v60, 7, v46
	v_ffbh_u32_e32 v58, v60
	v_min_u32_e32 v62, 32, v58
	v_subrev_u32_e32 v58, 28, v62
	v_lshlrev_b64 v[58:59], v58, v[46:47]
	v_lshrrev_b32_e32 v61, 3, v44
	v_sub_u32_e32 v59, 29, v62
	v_and_b32_e32 v58, 7, v58
	v_cmp_gt_u32_e32 vcc, 8, v44
	v_cndmask_b32_e32 v44, v61, v59, vcc
	v_cndmask_b32_e32 v58, v60, v58, vcc
	v_lshlrev_b32_e32 v46, 24, v46
	v_lshlrev_b32_e32 v58, 20, v58
	v_and_b32_e32 v46, 0x80000000, v46
	v_lshl_add_u32 v44, v44, 23, v55
	v_or3_b32 v44, v46, v44, v58
	v_lshrrev_b32_e32 v58, 16, v44
.LBB903_525:                            ;   in Loop: Header=BB903_215 Depth=1
	s_or_b64 exec, exec, s[16:17]
.LBB903_526:                            ;   in Loop: Header=BB903_215 Depth=1
	s_or_b64 exec, exec, s[14:15]
.LBB903_527:                            ;   in Loop: Header=BB903_215 Depth=1
	s_or_b64 exec, exec, s[12:13]
	s_waitcnt vmcnt(2)
	v_cmp_ne_u16_sdwa s[14:15], v42, v54 src0_sel:BYTE_0 src1_sel:DWORD
	s_and_saveexec_b64 s[12:13], s[14:15]
	s_cbranch_execz .LBB903_533
; %bb.528:                              ;   in Loop: Header=BB903_215 Depth=1
	v_cmp_ne_u16_sdwa s[16:17], v42, s9 src0_sel:BYTE_0 src1_sel:DWORD
	v_mov_b32_e32 v57, 0xffff8000
	s_and_saveexec_b64 s[14:15], s[16:17]
	s_cbranch_execz .LBB903_532
; %bb.529:                              ;   in Loop: Header=BB903_215 Depth=1
	v_and_b32_e32 v44, 0x7f, v42
	v_cmp_ne_u32_e32 vcc, s21, v44
	v_mov_b32_e32 v57, 0x7f80
	s_and_saveexec_b64 s[16:17], vcc
	s_cbranch_execz .LBB903_531
; %bb.530:                              ;   in Loop: Header=BB903_215 Depth=1
	v_and_b32_e32 v46, 7, v42
	v_ffbh_u32_e32 v59, v46
	v_min_u32_e32 v59, 32, v59
	v_subrev_u32_e32 v60, 28, v59
	v_lshlrev_b64 v[60:61], v60, v[42:43]
	v_lshrrev_b32_e32 v57, 3, v44
	v_sub_u32_e32 v59, 29, v59
	v_and_b32_e32 v60, 7, v60
	v_cmp_gt_u32_e32 vcc, 8, v44
	v_cndmask_b32_e32 v44, v57, v59, vcc
	v_cndmask_b32_e32 v46, v46, v60, vcc
	v_lshlrev_b32_e32 v57, 24, v42
	v_lshlrev_b32_e32 v46, 20, v46
	v_and_b32_e32 v57, 0x80000000, v57
	v_lshl_add_u32 v44, v44, 23, v55
	v_or3_b32 v44, v57, v44, v46
	v_lshrrev_b32_e32 v57, 16, v44
.LBB903_531:                            ;   in Loop: Header=BB903_215 Depth=1
	s_or_b64 exec, exec, s[16:17]
.LBB903_532:                            ;   in Loop: Header=BB903_215 Depth=1
	s_or_b64 exec, exec, s[14:15]
.LBB903_533:                            ;   in Loop: Header=BB903_215 Depth=1
	s_or_b64 exec, exec, s[12:13]
	v_lshrrev_b16_e32 v44, 8, v42
	v_cmp_ne_u16_e32 vcc, 0, v44
	v_mov_b32_e32 v60, 0
	v_mov_b32_e32 v59, 0
	s_and_saveexec_b64 s[12:13], vcc
	s_cbranch_execz .LBB903_539
; %bb.534:                              ;   in Loop: Header=BB903_215 Depth=1
	v_cmp_ne_u16_e32 vcc, s9, v44
	v_mov_b32_e32 v59, 0xffff8000
	s_and_saveexec_b64 s[14:15], vcc
	s_cbranch_execz .LBB903_538
; %bb.535:                              ;   in Loop: Header=BB903_215 Depth=1
	v_and_b32_e32 v46, 0x7f, v44
	v_cmp_ne_u32_e32 vcc, s21, v46
	v_mov_b32_e32 v59, 0x7f80
	s_and_saveexec_b64 s[16:17], vcc
	s_cbranch_execz .LBB903_537
; %bb.536:                              ;   in Loop: Header=BB903_215 Depth=1
	v_and_b32_e32 v59, 7, v44
	v_ffbh_u32_e32 v62, v59
	v_min_u32_e32 v64, 32, v62
	v_subrev_u32_e32 v62, 28, v64
	v_lshlrev_b64 v[62:63], v62, v[44:45]
	v_lshrrev_b32_e32 v61, 3, v46
	v_sub_u32_e32 v44, 29, v64
	v_and_b32_e32 v62, 7, v62
	v_cmp_gt_u32_e32 vcc, 8, v46
	v_cndmask_b32_e32 v44, v61, v44, vcc
	v_cndmask_b32_e32 v46, v59, v62, vcc
	v_lshlrev_b32_e32 v59, 16, v42
	v_lshlrev_b32_e32 v46, 20, v46
	v_and_b32_e32 v59, 0x80000000, v59
	v_lshl_add_u32 v44, v44, 23, v55
	v_or3_b32 v44, v59, v44, v46
	v_lshrrev_b32_e32 v59, 16, v44
.LBB903_537:                            ;   in Loop: Header=BB903_215 Depth=1
	s_or_b64 exec, exec, s[16:17]
.LBB903_538:                            ;   in Loop: Header=BB903_215 Depth=1
	s_or_b64 exec, exec, s[14:15]
.LBB903_539:                            ;   in Loop: Header=BB903_215 Depth=1
	s_or_b64 exec, exec, s[12:13]
	v_lshrrev_b32_e32 v44, 16, v42
	v_cmp_ne_u16_sdwa s[14:15], v44, v54 src0_sel:BYTE_0 src1_sel:DWORD
	s_and_saveexec_b64 s[12:13], s[14:15]
	s_cbranch_execz .LBB903_545
; %bb.540:                              ;   in Loop: Header=BB903_215 Depth=1
	v_cmp_ne_u16_sdwa s[16:17], v44, s9 src0_sel:BYTE_0 src1_sel:DWORD
	v_mov_b32_e32 v60, 0xffff8000
	s_and_saveexec_b64 s[14:15], s[16:17]
	s_cbranch_execz .LBB903_544
; %bb.541:                              ;   in Loop: Header=BB903_215 Depth=1
	v_bfe_u32 v46, v42, 16, 7
	v_cmp_ne_u32_e32 vcc, s21, v46
	v_mov_b32_e32 v60, 0x7f80
	s_and_saveexec_b64 s[16:17], vcc
	s_cbranch_execz .LBB903_543
; %bb.542:                              ;   in Loop: Header=BB903_215 Depth=1
	v_and_b32_e32 v62, 7, v44
	v_ffbh_u32_e32 v60, v62
	v_min_u32_e32 v64, 32, v60
	v_subrev_u32_e32 v60, 28, v64
	v_lshlrev_b64 v[60:61], v60, v[44:45]
	v_lshrrev_b32_e32 v63, 3, v46
	v_sub_u32_e32 v61, 29, v64
	v_and_b32_e32 v60, 7, v60
	v_cmp_gt_u32_e32 vcc, 8, v46
	v_cndmask_b32_e32 v46, v63, v61, vcc
	v_cndmask_b32_e32 v60, v62, v60, vcc
	v_lshlrev_b32_e32 v44, 24, v44
	v_lshlrev_b32_e32 v60, 20, v60
	v_and_b32_e32 v44, 0x80000000, v44
	v_lshl_add_u32 v46, v46, 23, v55
	v_or3_b32 v44, v44, v46, v60
	v_lshrrev_b32_e32 v60, 16, v44
.LBB903_543:                            ;   in Loop: Header=BB903_215 Depth=1
	s_or_b64 exec, exec, s[16:17]
.LBB903_544:                            ;   in Loop: Header=BB903_215 Depth=1
	s_or_b64 exec, exec, s[14:15]
.LBB903_545:                            ;   in Loop: Header=BB903_215 Depth=1
	s_or_b64 exec, exec, s[12:13]
	v_cmp_lt_u32_e32 vcc, s22, v42
	v_mov_b32_e32 v46, 0
	v_mov_b32_e32 v61, 0
	s_and_saveexec_b64 s[12:13], vcc
	s_cbranch_execz .LBB903_551
; %bb.546:                              ;   in Loop: Header=BB903_215 Depth=1
	v_lshrrev_b32_e32 v44, 24, v42
	v_cmp_ne_u32_e32 vcc, s9, v44
	v_mov_b32_e32 v61, 0xffff8000
	s_and_saveexec_b64 s[14:15], vcc
	s_cbranch_execz .LBB903_550
; %bb.547:                              ;   in Loop: Header=BB903_215 Depth=1
	v_bfe_u32 v42, v42, 24, 7
	v_cmp_ne_u32_e32 vcc, s21, v42
	v_mov_b32_e32 v61, 0x7f80
	s_and_saveexec_b64 s[16:17], vcc
	s_cbranch_execz .LBB903_549
; %bb.548:                              ;   in Loop: Header=BB903_215 Depth=1
	v_and_b32_e32 v61, 7, v44
	v_ffbh_u32_e32 v62, v61
	v_min_u32_e32 v65, 32, v62
	v_subrev_u32_e32 v62, 28, v65
	v_lshlrev_b64 v[62:63], v62, v[44:45]
	v_lshrrev_b32_e32 v64, 3, v42
	v_sub_u32_e32 v63, 29, v65
	v_and_b32_e32 v62, 7, v62
	v_cmp_gt_u32_e32 vcc, 8, v42
	v_cndmask_b32_e32 v42, v64, v63, vcc
	v_cndmask_b32_e32 v61, v61, v62, vcc
	v_lshlrev_b32_e32 v44, 24, v44
	v_lshlrev_b32_e32 v61, 20, v61
	v_and_b32_e32 v44, 0x80000000, v44
	v_lshl_add_u32 v42, v42, 23, v55
	v_or3_b32 v42, v44, v42, v61
	v_lshrrev_b32_e32 v61, 16, v42
.LBB903_549:                            ;   in Loop: Header=BB903_215 Depth=1
	s_or_b64 exec, exec, s[16:17]
.LBB903_550:                            ;   in Loop: Header=BB903_215 Depth=1
	s_or_b64 exec, exec, s[14:15]
.LBB903_551:                            ;   in Loop: Header=BB903_215 Depth=1
	s_or_b64 exec, exec, s[12:13]
	v_perm_b32 v63, v58, v56, s23
	v_perm_b32 v62, v50, v51, s23
	;; [unrolled: 1-line block ×4, first 2 shown]
	s_waitcnt vmcnt(1)
	v_cmp_ne_u16_sdwa s[14:15], v40, v54 src0_sel:BYTE_0 src1_sel:DWORD
	v_mfma_f32_16x16x16bf16_1k v[34:37], v[62:63], v[26:27], v[34:37]
	v_mfma_f32_16x16x16bf16_1k v[34:37], v[50:51], v[28:29], v[34:37]
	s_and_saveexec_b64 s[12:13], s[14:15]
	s_cbranch_execz .LBB903_557
; %bb.552:                              ;   in Loop: Header=BB903_215 Depth=1
	v_cmp_ne_u16_sdwa s[16:17], v40, s9 src0_sel:BYTE_0 src1_sel:DWORD
	v_mov_b32_e32 v46, 0xffff8000
	s_and_saveexec_b64 s[14:15], s[16:17]
	s_cbranch_execz .LBB903_556
; %bb.553:                              ;   in Loop: Header=BB903_215 Depth=1
	v_and_b32_e32 v42, 0x7f, v40
	v_cmp_ne_u32_e32 vcc, s21, v42
	v_mov_b32_e32 v46, 0x7f80
	s_and_saveexec_b64 s[16:17], vcc
	s_cbranch_execz .LBB903_555
; %bb.554:                              ;   in Loop: Header=BB903_215 Depth=1
	v_and_b32_e32 v44, 7, v40
	v_ffbh_u32_e32 v50, v44
	v_min_u32_e32 v56, 32, v50
	v_subrev_u32_e32 v50, 28, v56
	v_lshlrev_b64 v[50:51], v50, v[40:41]
	v_lshrrev_b32_e32 v46, 3, v42
	v_sub_u32_e32 v51, 29, v56
	v_and_b32_e32 v50, 7, v50
	v_cmp_gt_u32_e32 vcc, 8, v42
	v_cndmask_b32_e32 v42, v46, v51, vcc
	v_cndmask_b32_e32 v44, v44, v50, vcc
	v_lshlrev_b32_e32 v46, 24, v40
	v_lshlrev_b32_e32 v44, 20, v44
	v_and_b32_e32 v46, 0x80000000, v46
	v_lshl_add_u32 v42, v42, 23, v55
	v_or3_b32 v42, v46, v42, v44
	v_lshrrev_b32_e32 v46, 16, v42
.LBB903_555:                            ;   in Loop: Header=BB903_215 Depth=1
	s_or_b64 exec, exec, s[16:17]
.LBB903_556:                            ;   in Loop: Header=BB903_215 Depth=1
	s_or_b64 exec, exec, s[14:15]
.LBB903_557:                            ;   in Loop: Header=BB903_215 Depth=1
	s_or_b64 exec, exec, s[12:13]
	v_lshrrev_b16_e32 v42, 8, v40
	v_cmp_ne_u16_e32 vcc, 0, v42
	v_mov_b32_e32 v50, 0
	v_mov_b32_e32 v44, 0
	s_and_saveexec_b64 s[12:13], vcc
	s_cbranch_execz .LBB903_563
; %bb.558:                              ;   in Loop: Header=BB903_215 Depth=1
	v_cmp_ne_u16_e32 vcc, s9, v42
	v_mov_b32_e32 v44, 0xffff8000
	s_and_saveexec_b64 s[14:15], vcc
	s_cbranch_execz .LBB903_562
; %bb.559:                              ;   in Loop: Header=BB903_215 Depth=1
	v_and_b32_e32 v51, 0x7f, v42
	v_cmp_ne_u32_e32 vcc, s21, v51
	v_mov_b32_e32 v44, 0x7f80
	s_and_saveexec_b64 s[16:17], vcc
	s_cbranch_execz .LBB903_561
; %bb.560:                              ;   in Loop: Header=BB903_215 Depth=1
	v_and_b32_e32 v44, 7, v42
	v_ffbh_u32_e32 v56, v44
	v_min_u32_e32 v59, 32, v56
	v_subrev_u32_e32 v56, 28, v59
	v_lshlrev_b64 v[56:57], v56, v[42:43]
	v_lshrrev_b32_e32 v58, 3, v51
	v_sub_u32_e32 v42, 29, v59
	v_and_b32_e32 v56, 7, v56
	v_cmp_gt_u32_e32 vcc, 8, v51
	v_cndmask_b32_e32 v42, v58, v42, vcc
	v_cndmask_b32_e32 v44, v44, v56, vcc
	v_lshlrev_b32_e32 v51, 16, v40
	v_lshlrev_b32_e32 v44, 20, v44
	v_and_b32_e32 v51, 0x80000000, v51
	v_lshl_add_u32 v42, v42, 23, v55
	v_or3_b32 v42, v51, v42, v44
	v_lshrrev_b32_e32 v44, 16, v42
.LBB903_561:                            ;   in Loop: Header=BB903_215 Depth=1
	s_or_b64 exec, exec, s[16:17]
.LBB903_562:                            ;   in Loop: Header=BB903_215 Depth=1
	s_or_b64 exec, exec, s[14:15]
.LBB903_563:                            ;   in Loop: Header=BB903_215 Depth=1
	s_or_b64 exec, exec, s[12:13]
	v_lshrrev_b32_e32 v42, 16, v40
	v_cmp_ne_u16_sdwa s[14:15], v42, v54 src0_sel:BYTE_0 src1_sel:DWORD
	s_and_saveexec_b64 s[12:13], s[14:15]
	s_cbranch_execz .LBB903_569
; %bb.564:                              ;   in Loop: Header=BB903_215 Depth=1
	v_cmp_ne_u16_sdwa s[16:17], v42, s9 src0_sel:BYTE_0 src1_sel:DWORD
	v_mov_b32_e32 v50, 0xffff8000
	s_and_saveexec_b64 s[14:15], s[16:17]
	s_cbranch_execz .LBB903_568
; %bb.565:                              ;   in Loop: Header=BB903_215 Depth=1
	v_bfe_u32 v51, v40, 16, 7
	v_cmp_ne_u32_e32 vcc, s21, v51
	v_mov_b32_e32 v50, 0x7f80
	s_and_saveexec_b64 s[16:17], vcc
	s_cbranch_execz .LBB903_567
; %bb.566:                              ;   in Loop: Header=BB903_215 Depth=1
	v_and_b32_e32 v50, 7, v42
	v_ffbh_u32_e32 v56, v50
	v_min_u32_e32 v59, 32, v56
	v_subrev_u32_e32 v56, 28, v59
	v_lshlrev_b64 v[56:57], v56, v[42:43]
	v_lshrrev_b32_e32 v58, 3, v51
	v_sub_u32_e32 v57, 29, v59
	v_and_b32_e32 v56, 7, v56
	v_cmp_gt_u32_e32 vcc, 8, v51
	v_cndmask_b32_e32 v51, v58, v57, vcc
	v_cndmask_b32_e32 v50, v50, v56, vcc
	v_lshlrev_b32_e32 v42, 24, v42
	v_lshlrev_b32_e32 v50, 20, v50
	v_and_b32_e32 v42, 0x80000000, v42
	v_lshl_add_u32 v51, v51, 23, v55
	v_or3_b32 v42, v42, v51, v50
	v_lshrrev_b32_e32 v50, 16, v42
.LBB903_567:                            ;   in Loop: Header=BB903_215 Depth=1
	s_or_b64 exec, exec, s[16:17]
.LBB903_568:                            ;   in Loop: Header=BB903_215 Depth=1
	s_or_b64 exec, exec, s[14:15]
.LBB903_569:                            ;   in Loop: Header=BB903_215 Depth=1
	s_or_b64 exec, exec, s[12:13]
	v_cmp_lt_u32_e32 vcc, s22, v40
	v_mov_b32_e32 v51, 0
	v_mov_b32_e32 v56, 0
	s_and_saveexec_b64 s[12:13], vcc
	s_cbranch_execz .LBB903_575
; %bb.570:                              ;   in Loop: Header=BB903_215 Depth=1
	v_lshrrev_b32_e32 v42, 24, v40
	v_cmp_ne_u32_e32 vcc, s9, v42
	v_mov_b32_e32 v56, 0xffff8000
	s_and_saveexec_b64 s[14:15], vcc
	s_cbranch_execz .LBB903_574
; %bb.571:                              ;   in Loop: Header=BB903_215 Depth=1
	v_bfe_u32 v40, v40, 24, 7
	v_cmp_ne_u32_e32 vcc, s21, v40
	v_mov_b32_e32 v56, 0x7f80
	s_and_saveexec_b64 s[16:17], vcc
	s_cbranch_execz .LBB903_573
; %bb.572:                              ;   in Loop: Header=BB903_215 Depth=1
	v_and_b32_e32 v58, 7, v42
	v_ffbh_u32_e32 v56, v58
	v_min_u32_e32 v60, 32, v56
	v_subrev_u32_e32 v56, 28, v60
	v_lshlrev_b64 v[56:57], v56, v[42:43]
	v_lshrrev_b32_e32 v59, 3, v40
	v_sub_u32_e32 v57, 29, v60
	v_and_b32_e32 v56, 7, v56
	v_cmp_gt_u32_e32 vcc, 8, v40
	v_cndmask_b32_e32 v40, v59, v57, vcc
	v_cndmask_b32_e32 v56, v58, v56, vcc
	v_lshlrev_b32_e32 v42, 24, v42
	v_lshlrev_b32_e32 v56, 20, v56
	v_and_b32_e32 v42, 0x80000000, v42
	v_lshl_add_u32 v40, v40, 23, v55
	v_or3_b32 v40, v42, v40, v56
	v_lshrrev_b32_e32 v56, 16, v40
.LBB903_573:                            ;   in Loop: Header=BB903_215 Depth=1
	s_or_b64 exec, exec, s[16:17]
.LBB903_574:                            ;   in Loop: Header=BB903_215 Depth=1
	s_or_b64 exec, exec, s[14:15]
.LBB903_575:                            ;   in Loop: Header=BB903_215 Depth=1
	s_or_b64 exec, exec, s[12:13]
	s_waitcnt vmcnt(0)
	v_cmp_ne_u16_sdwa s[14:15], v38, v54 src0_sel:BYTE_0 src1_sel:DWORD
	s_and_saveexec_b64 s[12:13], s[14:15]
	s_cbranch_execz .LBB903_581
; %bb.576:                              ;   in Loop: Header=BB903_215 Depth=1
	v_cmp_ne_u16_sdwa s[16:17], v38, s9 src0_sel:BYTE_0 src1_sel:DWORD
	v_mov_b32_e32 v51, 0xffff8000
	s_and_saveexec_b64 s[14:15], s[16:17]
	s_cbranch_execz .LBB903_580
; %bb.577:                              ;   in Loop: Header=BB903_215 Depth=1
	v_and_b32_e32 v40, 0x7f, v38
	v_cmp_ne_u32_e32 vcc, s21, v40
	v_mov_b32_e32 v51, 0x7f80
	s_and_saveexec_b64 s[16:17], vcc
	s_cbranch_execz .LBB903_579
; %bb.578:                              ;   in Loop: Header=BB903_215 Depth=1
	v_and_b32_e32 v42, 7, v38
	v_ffbh_u32_e32 v57, v42
	v_min_u32_e32 v57, 32, v57
	v_subrev_u32_e32 v58, 28, v57
	v_lshlrev_b64 v[58:59], v58, v[38:39]
	v_lshrrev_b32_e32 v51, 3, v40
	v_sub_u32_e32 v57, 29, v57
	v_and_b32_e32 v58, 7, v58
	v_cmp_gt_u32_e32 vcc, 8, v40
	v_cndmask_b32_e32 v40, v51, v57, vcc
	v_cndmask_b32_e32 v42, v42, v58, vcc
	v_lshlrev_b32_e32 v51, 24, v38
	v_lshlrev_b32_e32 v42, 20, v42
	v_and_b32_e32 v51, 0x80000000, v51
	v_lshl_add_u32 v40, v40, 23, v55
	v_or3_b32 v40, v51, v40, v42
	v_lshrrev_b32_e32 v51, 16, v40
.LBB903_579:                            ;   in Loop: Header=BB903_215 Depth=1
	s_or_b64 exec, exec, s[16:17]
.LBB903_580:                            ;   in Loop: Header=BB903_215 Depth=1
	s_or_b64 exec, exec, s[14:15]
.LBB903_581:                            ;   in Loop: Header=BB903_215 Depth=1
	s_or_b64 exec, exec, s[12:13]
	v_lshrrev_b16_e32 v40, 8, v38
	v_cmp_ne_u16_e32 vcc, 0, v40
	v_mov_b32_e32 v57, 0
	v_mov_b32_e32 v42, 0
	s_and_saveexec_b64 s[12:13], vcc
	s_cbranch_execz .LBB903_587
; %bb.582:                              ;   in Loop: Header=BB903_215 Depth=1
	v_cmp_ne_u16_e32 vcc, s9, v40
	v_mov_b32_e32 v42, 0xffff8000
	s_and_saveexec_b64 s[14:15], vcc
	s_cbranch_execz .LBB903_586
; %bb.583:                              ;   in Loop: Header=BB903_215 Depth=1
	v_and_b32_e32 v58, 0x7f, v40
	v_cmp_ne_u32_e32 vcc, s21, v58
	v_mov_b32_e32 v42, 0x7f80
	s_and_saveexec_b64 s[16:17], vcc
	s_cbranch_execz .LBB903_585
; %bb.584:                              ;   in Loop: Header=BB903_215 Depth=1
	v_and_b32_e32 v42, 7, v40
	v_ffbh_u32_e32 v60, v42
	v_min_u32_e32 v62, 32, v60
	v_subrev_u32_e32 v60, 28, v62
	v_lshlrev_b64 v[60:61], v60, v[40:41]
	v_lshrrev_b32_e32 v59, 3, v58
	v_sub_u32_e32 v40, 29, v62
	v_and_b32_e32 v60, 7, v60
	v_cmp_gt_u32_e32 vcc, 8, v58
	v_cndmask_b32_e32 v40, v59, v40, vcc
	v_cndmask_b32_e32 v42, v42, v60, vcc
	v_lshlrev_b32_e32 v58, 16, v38
	v_lshlrev_b32_e32 v42, 20, v42
	v_and_b32_e32 v58, 0x80000000, v58
	v_lshl_add_u32 v40, v40, 23, v55
	v_or3_b32 v40, v58, v40, v42
	v_lshrrev_b32_e32 v42, 16, v40
.LBB903_585:                            ;   in Loop: Header=BB903_215 Depth=1
	s_or_b64 exec, exec, s[16:17]
.LBB903_586:                            ;   in Loop: Header=BB903_215 Depth=1
	s_or_b64 exec, exec, s[14:15]
.LBB903_587:                            ;   in Loop: Header=BB903_215 Depth=1
	s_or_b64 exec, exec, s[12:13]
	v_lshrrev_b32_e32 v40, 16, v38
	v_cmp_ne_u16_sdwa s[14:15], v40, v54 src0_sel:BYTE_0 src1_sel:DWORD
	s_and_saveexec_b64 s[12:13], s[14:15]
	s_cbranch_execz .LBB903_593
; %bb.588:                              ;   in Loop: Header=BB903_215 Depth=1
	v_cmp_ne_u16_sdwa s[16:17], v40, s9 src0_sel:BYTE_0 src1_sel:DWORD
	v_mov_b32_e32 v57, 0xffff8000
	s_and_saveexec_b64 s[14:15], s[16:17]
	s_cbranch_execz .LBB903_592
; %bb.589:                              ;   in Loop: Header=BB903_215 Depth=1
	v_bfe_u32 v58, v38, 16, 7
	v_cmp_ne_u32_e32 vcc, s21, v58
	v_mov_b32_e32 v57, 0x7f80
	s_and_saveexec_b64 s[16:17], vcc
	s_cbranch_execz .LBB903_591
; %bb.590:                              ;   in Loop: Header=BB903_215 Depth=1
	v_and_b32_e32 v57, 7, v40
	v_ffbh_u32_e32 v60, v57
	v_min_u32_e32 v62, 32, v60
	v_subrev_u32_e32 v60, 28, v62
	v_lshlrev_b64 v[60:61], v60, v[40:41]
	v_lshrrev_b32_e32 v59, 3, v58
	v_sub_u32_e32 v61, 29, v62
	v_and_b32_e32 v60, 7, v60
	v_cmp_gt_u32_e32 vcc, 8, v58
	v_cndmask_b32_e32 v58, v59, v61, vcc
	v_cndmask_b32_e32 v57, v57, v60, vcc
	v_lshlrev_b32_e32 v40, 24, v40
	v_lshlrev_b32_e32 v57, 20, v57
	v_and_b32_e32 v40, 0x80000000, v40
	v_lshl_add_u32 v58, v58, 23, v55
	v_or3_b32 v40, v40, v58, v57
	v_lshrrev_b32_e32 v57, 16, v40
.LBB903_591:                            ;   in Loop: Header=BB903_215 Depth=1
	s_or_b64 exec, exec, s[16:17]
.LBB903_592:                            ;   in Loop: Header=BB903_215 Depth=1
	s_or_b64 exec, exec, s[14:15]
.LBB903_593:                            ;   in Loop: Header=BB903_215 Depth=1
	s_or_b64 exec, exec, s[12:13]
	v_cmp_lt_u32_e32 vcc, s22, v38
	v_mov_b32_e32 v58, 0
	s_and_saveexec_b64 s[12:13], vcc
	s_cbranch_execz .LBB903_214
; %bb.594:                              ;   in Loop: Header=BB903_215 Depth=1
	v_lshrrev_b32_e32 v40, 24, v38
	v_cmp_ne_u32_e32 vcc, s9, v40
	v_mov_b32_e32 v58, 0xffff8000
	s_and_saveexec_b64 s[14:15], vcc
	s_cbranch_execz .LBB903_213
; %bb.595:                              ;   in Loop: Header=BB903_215 Depth=1
	v_bfe_u32 v38, v38, 24, 7
	v_cmp_ne_u32_e32 vcc, s21, v38
	v_mov_b32_e32 v58, 0x7f80
	s_and_saveexec_b64 s[16:17], vcc
	s_cbranch_execz .LBB903_212
; %bb.596:                              ;   in Loop: Header=BB903_215 Depth=1
	v_and_b32_e32 v60, 7, v40
	v_ffbh_u32_e32 v58, v60
	v_min_u32_e32 v62, 32, v58
	v_subrev_u32_e32 v58, 28, v62
	v_lshlrev_b64 v[58:59], v58, v[40:41]
	v_lshrrev_b32_e32 v61, 3, v38
	v_sub_u32_e32 v59, 29, v62
	v_and_b32_e32 v58, 7, v58
	v_cmp_gt_u32_e32 vcc, 8, v38
	v_cndmask_b32_e32 v38, v61, v59, vcc
	v_cndmask_b32_e32 v58, v60, v58, vcc
	v_lshlrev_b32_e32 v40, 24, v40
	v_lshlrev_b32_e32 v58, 20, v58
	v_and_b32_e32 v40, 0x80000000, v40
	v_lshl_add_u32 v38, v38, 23, v55
	v_or3_b32 v38, v40, v38, v58
	v_lshrrev_b32_e32 v58, 16, v38
	s_branch .LBB903_212
.LBB903_597:
	s_barrier
	buffer_load_dword v2, off, s[0:3], 0 offset:320
	buffer_load_dword v5, off, s[0:3], 0 offset:332
	;; [unrolled: 1-line block ×4, first 2 shown]
	v_cmp_gt_u32_e32 vcc, 64, v0
	s_waitcnt vmcnt(0)
	ds_write2st64_b64 v52, v[2:3], v[4:5] offset1:1
	s_waitcnt lgkmcnt(0)
	s_barrier
	s_and_saveexec_b64 s[4:5], vcc
	s_cbranch_execz .LBB903_600
; %bb.598:
	s_lshl_b32 s4, s48, 7
	s_mul_i32 s5, s18, s8
	s_mul_hi_u32 s9, s5, s4
	s_mul_i32 s8, s5, s4
	s_lshl_b64 s[8:9], s[8:9], 1
	v_lshlrev_b32_e32 v4, 6, v41
	s_add_u32 s5, s50, s8
	v_lshl_or_b32 v0, v0, 10, v4
	s_mov_b32 s7, 0
	s_addc_u32 s8, s51, s9
	s_lshl_b32 s6, s26, 7
	v_lshlrev_b32_e32 v2, 5, v1
	v_and_b32_e32 v3, 16, v43
	v_and_b32_e32 v0, 0x1a00, v0
	s_lshl_b64 s[6:7], s[6:7], 1
	v_or3_b32 v0, v0, v2, v3
	s_add_u32 s5, s5, s6
	v_or_b32_e32 v2, 8, v1
	s_addc_u32 s6, s8, s7
	ds_read_b128 v[6:9], v0 offset:128
	ds_read_b128 v[10:13], v0
	v_add_u32_e32 v1, s27, v1
	v_mov_b32_e32 v4, s6
	v_add_co_u32_e32 v3, vcc, s5, v39
	v_mad_u64_u32 v[14:15], s[6:7], v1, s4, 0
	v_addc_co_u32_e32 v4, vcc, 0, v4, vcc
	v_lshlrev_b64 v[14:15], 1, v[14:15]
	v_add_co_u32_e32 v14, vcc, v3, v14
	v_addc_co_u32_e32 v15, vcc, v4, v15, vcc
	v_add_u32_e32 v1, 4, v1
	s_waitcnt lgkmcnt(0)
	global_store_dwordx4 v[14:15], v[10:13], off
	s_nop 0
	v_mad_u64_u32 v[10:11], s[6:7], v1, s4, 0
	v_lshlrev_b64 v[10:11], 1, v[10:11]
	v_add_co_u32_e32 v10, vcc, v3, v10
	v_addc_co_u32_e32 v11, vcc, v4, v11, vcc
	v_cmp_gt_u32_e32 vcc, 10, v2
	global_store_dwordx4 v[10:11], v[6:9], off
	s_and_b64 exec, exec, vcc
	s_cbranch_execz .LBB903_600
; %bb.599:
	ds_read_b128 v[6:9], v0 offset:256
	v_add_u32_e32 v0, s27, v2
	v_mad_u64_u32 v[0:1], s[4:5], v0, s4, 0
	v_lshlrev_b64 v[0:1], 1, v[0:1]
	v_add_co_u32_e32 v0, vcc, v3, v0
	v_addc_co_u32_e32 v1, vcc, v4, v1, vcc
	s_waitcnt lgkmcnt(0)
	global_store_dwordx4 v[0:1], v[6:9], off
.LBB903_600:
	s_endpgm
	.section	.rodata,"a",@progbits
	.p2align	6, 0x0
	.amdhsa_kernel _Z39paged_attention_ll4mi_QKV_mfma16_kernelI14__hip_bfloat16hLN4vllm18Fp8KVCacheDataTypeE1ES0_Li16ELi128ELi256ELb1ELi10EL8MFMAType0EEvPKT_PKT0_S9_ifPKiSB_SB_iPKfiiiPfSE_PS4_PT2_iSD_SD_
		.amdhsa_group_segment_fixed_size 8192
		.amdhsa_private_segment_fixed_size 352
		.amdhsa_kernarg_size 400
		.amdhsa_user_sgpr_count 8
		.amdhsa_user_sgpr_private_segment_buffer 1
		.amdhsa_user_sgpr_dispatch_ptr 0
		.amdhsa_user_sgpr_queue_ptr 0
		.amdhsa_user_sgpr_kernarg_segment_ptr 1
		.amdhsa_user_sgpr_dispatch_id 0
		.amdhsa_user_sgpr_flat_scratch_init 1
		.amdhsa_user_sgpr_kernarg_preload_length 0
		.amdhsa_user_sgpr_kernarg_preload_offset 0
		.amdhsa_user_sgpr_private_segment_size 0
		.amdhsa_uses_dynamic_stack 0
		.amdhsa_system_sgpr_private_segment_wavefront_offset 1
		.amdhsa_system_sgpr_workgroup_id_x 1
		.amdhsa_system_sgpr_workgroup_id_y 1
		.amdhsa_system_sgpr_workgroup_id_z 1
		.amdhsa_system_sgpr_workgroup_info 0
		.amdhsa_system_vgpr_workitem_id 0
		.amdhsa_next_free_vgpr 80
		.amdhsa_next_free_sgpr 53
		.amdhsa_accum_offset 80
		.amdhsa_reserve_vcc 1
		.amdhsa_reserve_flat_scratch 0
		.amdhsa_float_round_mode_32 0
		.amdhsa_float_round_mode_16_64 0
		.amdhsa_float_denorm_mode_32 3
		.amdhsa_float_denorm_mode_16_64 3
		.amdhsa_dx10_clamp 1
		.amdhsa_ieee_mode 1
		.amdhsa_fp16_overflow 0
		.amdhsa_tg_split 0
		.amdhsa_exception_fp_ieee_invalid_op 0
		.amdhsa_exception_fp_denorm_src 0
		.amdhsa_exception_fp_ieee_div_zero 0
		.amdhsa_exception_fp_ieee_overflow 0
		.amdhsa_exception_fp_ieee_underflow 0
		.amdhsa_exception_fp_ieee_inexact 0
		.amdhsa_exception_int_div_zero 0
	.end_amdhsa_kernel
	.section	.text._Z39paged_attention_ll4mi_QKV_mfma16_kernelI14__hip_bfloat16hLN4vllm18Fp8KVCacheDataTypeE1ES0_Li16ELi128ELi256ELb1ELi10EL8MFMAType0EEvPKT_PKT0_S9_ifPKiSB_SB_iPKfiiiPfSE_PS4_PT2_iSD_SD_,"axG",@progbits,_Z39paged_attention_ll4mi_QKV_mfma16_kernelI14__hip_bfloat16hLN4vllm18Fp8KVCacheDataTypeE1ES0_Li16ELi128ELi256ELb1ELi10EL8MFMAType0EEvPKT_PKT0_S9_ifPKiSB_SB_iPKfiiiPfSE_PS4_PT2_iSD_SD_,comdat
.Lfunc_end903:
	.size	_Z39paged_attention_ll4mi_QKV_mfma16_kernelI14__hip_bfloat16hLN4vllm18Fp8KVCacheDataTypeE1ES0_Li16ELi128ELi256ELb1ELi10EL8MFMAType0EEvPKT_PKT0_S9_ifPKiSB_SB_iPKfiiiPfSE_PS4_PT2_iSD_SD_, .Lfunc_end903-_Z39paged_attention_ll4mi_QKV_mfma16_kernelI14__hip_bfloat16hLN4vllm18Fp8KVCacheDataTypeE1ES0_Li16ELi128ELi256ELb1ELi10EL8MFMAType0EEvPKT_PKT0_S9_ifPKiSB_SB_iPKfiiiPfSE_PS4_PT2_iSD_SD_
                                        ; -- End function
	.section	.AMDGPU.csdata,"",@progbits
; Kernel info:
; codeLenInByte = 22492
; NumSgprs: 57
; NumVgprs: 80
; NumAgprs: 0
; TotalNumVgprs: 80
; ScratchSize: 352
; MemoryBound: 0
; FloatMode: 240
; IeeeMode: 1
; LDSByteSize: 8192 bytes/workgroup (compile time only)
; SGPRBlocks: 7
; VGPRBlocks: 9
; NumSGPRsForWavesPerEU: 57
; NumVGPRsForWavesPerEU: 80
; AccumOffset: 80
; Occupancy: 6
; WaveLimiterHint : 1
; COMPUTE_PGM_RSRC2:SCRATCH_EN: 1
; COMPUTE_PGM_RSRC2:USER_SGPR: 8
; COMPUTE_PGM_RSRC2:TRAP_HANDLER: 0
; COMPUTE_PGM_RSRC2:TGID_X_EN: 1
; COMPUTE_PGM_RSRC2:TGID_Y_EN: 1
; COMPUTE_PGM_RSRC2:TGID_Z_EN: 1
; COMPUTE_PGM_RSRC2:TIDIG_COMP_CNT: 0
; COMPUTE_PGM_RSRC3_GFX90A:ACCUM_OFFSET: 19
; COMPUTE_PGM_RSRC3_GFX90A:TG_SPLIT: 0
	.section	.text._Z39paged_attention_ll4mi_QKV_mfma16_kernelI14__hip_bfloat16hLN4vllm18Fp8KVCacheDataTypeE1ES0_Li16ELi128ELi256ELb1ELi11EL8MFMAType0EEvPKT_PKT0_S9_ifPKiSB_SB_iPKfiiiPfSE_PS4_PT2_iSD_SD_,"axG",@progbits,_Z39paged_attention_ll4mi_QKV_mfma16_kernelI14__hip_bfloat16hLN4vllm18Fp8KVCacheDataTypeE1ES0_Li16ELi128ELi256ELb1ELi11EL8MFMAType0EEvPKT_PKT0_S9_ifPKiSB_SB_iPKfiiiPfSE_PS4_PT2_iSD_SD_,comdat
	.protected	_Z39paged_attention_ll4mi_QKV_mfma16_kernelI14__hip_bfloat16hLN4vllm18Fp8KVCacheDataTypeE1ES0_Li16ELi128ELi256ELb1ELi11EL8MFMAType0EEvPKT_PKT0_S9_ifPKiSB_SB_iPKfiiiPfSE_PS4_PT2_iSD_SD_ ; -- Begin function _Z39paged_attention_ll4mi_QKV_mfma16_kernelI14__hip_bfloat16hLN4vllm18Fp8KVCacheDataTypeE1ES0_Li16ELi128ELi256ELb1ELi11EL8MFMAType0EEvPKT_PKT0_S9_ifPKiSB_SB_iPKfiiiPfSE_PS4_PT2_iSD_SD_
	.globl	_Z39paged_attention_ll4mi_QKV_mfma16_kernelI14__hip_bfloat16hLN4vllm18Fp8KVCacheDataTypeE1ES0_Li16ELi128ELi256ELb1ELi11EL8MFMAType0EEvPKT_PKT0_S9_ifPKiSB_SB_iPKfiiiPfSE_PS4_PT2_iSD_SD_
	.p2align	8
	.type	_Z39paged_attention_ll4mi_QKV_mfma16_kernelI14__hip_bfloat16hLN4vllm18Fp8KVCacheDataTypeE1ES0_Li16ELi128ELi256ELb1ELi11EL8MFMAType0EEvPKT_PKT0_S9_ifPKiSB_SB_iPKfiiiPfSE_PS4_PT2_iSD_SD_,@function
_Z39paged_attention_ll4mi_QKV_mfma16_kernelI14__hip_bfloat16hLN4vllm18Fp8KVCacheDataTypeE1ES0_Li16ELi128ELi256ELb1ELi11EL8MFMAType0EEvPKT_PKT0_S9_ifPKiSB_SB_iPKfiiiPfSE_PS4_PT2_iSD_SD_: ; @_Z39paged_attention_ll4mi_QKV_mfma16_kernelI14__hip_bfloat16hLN4vllm18Fp8KVCacheDataTypeE1ES0_Li16ELi128ELi256ELb1ELi11EL8MFMAType0EEvPKT_PKT0_S9_ifPKiSB_SB_iPKfiiiPfSE_PS4_PT2_iSD_SD_
; %bb.0:
	s_load_dwordx2 s[6:7], s[4:5], 0x30
	s_add_u32 s0, s0, s11
	s_addc_u32 s1, s1, 0
	s_mov_b32 s26, s9
	s_mov_b64 s[14:15], 0
	s_waitcnt lgkmcnt(0)
	s_cmp_lg_u64 s[6:7], 0
	s_cselect_b64 s[12:13], -1, 0
	s_and_b64 vcc, exec, s[12:13]
	s_cbranch_vccz .LBB904_7
; %bb.1:
	s_add_i32 s16, s8, 1
	s_mov_b32 s17, 0
	s_lshl_b64 s[18:19], s[16:17], 2
	s_add_u32 s18, s6, s18
	s_mov_b32 s9, s17
	s_addc_u32 s19, s7, s19
	s_lshl_b64 s[16:17], s[8:9], 2
	s_add_u32 s16, s6, s16
	s_addc_u32 s17, s7, s17
	s_load_dword s11, s[18:19], 0x0
	s_load_dword s20, s[16:17], 0x0
	s_waitcnt lgkmcnt(0)
	s_sub_i32 s11, s11, s20
	s_cmp_eq_u32 s11, 1
	s_cselect_b64 s[16:17], -1, 0
	s_andn2_b64 vcc, exec, s[14:15]
	s_cbranch_vccnz .LBB904_3
.LBB904_2:
	s_mov_b32 s9, 0
	s_mov_b64 s[16:17], -1
.LBB904_3:
	s_andn2_b64 vcc, exec, s[16:17]
	s_cbranch_vccnz .LBB904_600
; %bb.4:
	s_load_dwordx2 s[16:17], s[4:5], 0x28
	s_lshl_b64 s[14:15], s[8:9], 2
	s_waitcnt lgkmcnt(0)
	s_add_u32 s16, s16, s14
	s_addc_u32 s17, s17, s15
	s_load_dword s33, s[16:17], 0x0
	s_lshl_b32 s20, s26, 8
	s_waitcnt lgkmcnt(0)
	s_cmp_ge_i32 s20, s33
	s_cbranch_scc1 .LBB904_600
; %bb.5:
	s_add_i32 s18, s33, 15
	s_load_dwordx2 s[16:17], s[4:5], 0x20
	s_load_dword s11, s[4:5], 0x38
	s_ashr_i32 s19, s18, 31
	v_and_b32_e32 v1, 0xcf, v0
	s_lshr_b32 s19, s19, 28
	v_add_u32_e32 v1, s20, v1
	s_add_i32 s18, s18, s19
	v_ashrrev_i32_e32 v2, 31, v1
	s_ashr_i32 s23, s18, 4
	v_lshrrev_b32_e32 v4, 28, v2
	s_add_i32 s23, s23, -1
	v_add_u32_e32 v2, v1, v4
	s_waitcnt lgkmcnt(0)
	s_mul_i32 s18, s8, s11
	s_mov_b32 s19, 0
	v_ashrrev_i32_e32 v2, 4, v2
	v_mov_b32_e32 v5, s23
	v_cmp_gt_i32_e32 vcc, s33, v1
	s_lshl_b64 s[18:19], s[18:19], 2
	v_cndmask_b32_e32 v2, v5, v2, vcc
	s_add_u32 s21, s16, s18
	v_ashrrev_i32_e32 v3, 31, v2
	s_addc_u32 s22, s17, s19
	v_lshlrev_b64 v[2:3], 2, v[2:3]
	v_mov_b32_e32 v7, s22
	v_add_co_u32_e32 v6, vcc, s21, v2
	v_or_b32_e32 v2, 16, v1
	v_addc_co_u32_e32 v7, vcc, v7, v3, vcc
	v_add_u32_e32 v3, v2, v4
	v_ashrrev_i32_e32 v3, 4, v3
	v_cmp_gt_i32_e32 vcc, s33, v2
	v_cndmask_b32_e32 v2, v5, v3, vcc
	v_ashrrev_i32_e32 v3, 31, v2
	v_lshlrev_b64 v[2:3], 2, v[2:3]
	v_mov_b32_e32 v9, s22
	v_add_co_u32_e32 v8, vcc, s21, v2
	v_or_b32_e32 v2, 32, v1
	v_addc_co_u32_e32 v9, vcc, v9, v3, vcc
	v_add_u32_e32 v3, v2, v4
	v_ashrrev_i32_e32 v3, 4, v3
	v_cmp_gt_i32_e32 vcc, s33, v2
	v_cndmask_b32_e32 v2, v5, v3, vcc
	v_ashrrev_i32_e32 v3, 31, v2
	;; [unrolled: 10-line block ×3, first 2 shown]
	v_lshlrev_b64 v[2:3], 2, v[2:3]
	v_mov_b32_e32 v1, s22
	v_add_co_u32_e32 v12, vcc, s21, v2
	v_addc_co_u32_e32 v13, vcc, v1, v3, vcc
	global_load_dword v5, v[6:7], off
	global_load_dword v4, v[8:9], off
	;; [unrolled: 1-line block ×4, first 2 shown]
	s_load_dwordx2 s[16:17], s[4:5], 0x8
	s_andn2_b64 vcc, exec, s[12:13]
	s_cbranch_vccnz .LBB904_8
; %bb.6:
	s_add_u32 s6, s6, s14
	s_addc_u32 s7, s7, s15
	s_load_dword s11, s[6:7], 0x0
	s_branch .LBB904_9
.LBB904_7:
	s_mov_b64 s[16:17], 0
	s_branch .LBB904_2
.LBB904_8:
	s_mov_b32 s11, s8
.LBB904_9:
	s_load_dwordx2 s[6:7], s[4:5], 0x10
	s_load_dwordx4 s[12:15], s[4:5], 0x48
	v_lshrrev_b32_e32 v27, 6, v0
	v_bfe_u32 v1, v0, 4, 2
	v_and_b32_e32 v41, 15, v0
	v_lshl_or_b32 v6, v27, 2, v1
	v_lshlrev_b32_e32 v7, 3, v41
	s_mul_i32 s27, s10, 11
	v_cmp_gt_u32_e32 vcc, 11, v6
	v_lshlrev_b32_e32 v39, 1, v7
	v_lshlrev_b32_e32 v43, 4, v0
	s_and_saveexec_b64 s[18:19], vcc
	s_cbranch_execz .LBB904_11
; %bb.10:
	s_load_dwordx2 s[24:25], s[4:5], 0x0
	s_waitcnt lgkmcnt(0)
	s_ashr_i32 s15, s12, 31
	s_mul_hi_u32 s28, s11, s12
	s_mul_i32 s15, s11, s15
	s_add_i32 s29, s28, s15
	s_mul_i32 s28, s11, s12
	s_lshl_b64 s[28:29], s[28:29], 1
	v_add_lshl_u32 v8, v6, s27, 7
	s_add_u32 s11, s24, s28
	v_ashrrev_i32_e32 v9, 31, v8
	s_addc_u32 s12, s25, s29
	v_lshlrev_b64 v[8:9], 1, v[8:9]
	v_mov_b32_e32 v7, s12
	v_add_co_u32_e32 v8, vcc, s11, v8
	v_addc_co_u32_e32 v7, vcc, v7, v9, vcc
	v_add_co_u32_e32 v8, vcc, v8, v39
	v_addc_co_u32_e32 v9, vcc, 0, v7, vcc
	global_load_dwordx4 v[8:11], v[8:9], off
	v_lshlrev_b32_e32 v12, 8, v0
	v_lshlrev_b32_e32 v7, 8, v41
	v_and_b32_e32 v12, 0x600, v12
	s_movk_i32 s11, 0x800
	v_and_or_b32 v7, v7, s11, v12
	v_lshlrev_b32_e32 v6, 5, v6
	v_and_b32_e32 v12, 16, v43
	v_or3_b32 v6, v7, v6, v12
	s_waitcnt vmcnt(0)
	ds_write_b128 v6, v[8:11]
.LBB904_11:
	s_or_b64 exec, exec, s[18:19]
	s_waitcnt lgkmcnt(0)
	s_mul_i32 s14, s10, s14
	s_add_u32 s10, s16, s14
	s_addc_u32 s11, s17, 0
	v_and_b32_e32 v6, 0xf0, v43
	v_mov_b32_e32 v7, s11
	v_add_co_u32_e32 v6, vcc, s10, v6
	v_and_b32_e32 v18, 48, v0
	v_addc_co_u32_e32 v7, vcc, 0, v7, vcc
	v_lshlrev_b32_e32 v10, 4, v18
	s_waitcnt vmcnt(3)
	v_mad_i64_i32 v[8:9], s[10:11], v5, s13, v[6:7]
	v_add_co_u32_e32 v8, vcc, v8, v10
	v_addc_co_u32_e32 v9, vcc, 0, v9, vcc
	s_waitcnt vmcnt(2)
	v_mad_i64_i32 v[4:5], s[10:11], v4, s13, v[6:7]
	v_add_co_u32_e32 v4, vcc, v4, v10
	v_addc_co_u32_e32 v5, vcc, 0, v5, vcc
	s_load_dwordx2 s[48:49], s[4:5], 0x94
	s_waitcnt lgkmcnt(0)
	s_barrier
	global_load_dwordx4 v[20:23], v[8:9], off
	global_load_dwordx4 v[28:31], v[8:9], off offset:1024
	global_load_dwordx4 v[32:35], v[4:5], off
	global_load_dwordx4 v[44:47], v[4:5], off offset:1024
	s_waitcnt vmcnt(5)
	v_mad_i64_i32 v[4:5], s[10:11], v3, s13, v[6:7]
	v_add_co_u32_e32 v4, vcc, v4, v10
	v_addc_co_u32_e32 v5, vcc, 0, v5, vcc
	s_waitcnt vmcnt(4)
	v_mad_i64_i32 v[2:3], s[10:11], v2, s13, v[6:7]
	v_add_co_u32_e32 v2, vcc, v2, v10
	v_addc_co_u32_e32 v3, vcc, 0, v3, vcc
	global_load_dwordx4 v[48:51], v[4:5], off
	global_load_dwordx4 v[52:55], v[4:5], off offset:1024
	global_load_dwordx4 v[56:59], v[2:3], off
	global_load_dwordx4 v[60:63], v[2:3], off offset:1024
	v_add_u32_e32 v2, -11, v41
	v_cmp_gt_u32_e32 vcc, 11, v41
	v_cndmask_b32_e32 v2, v2, v41, vcc
	v_lshlrev_b32_e32 v2, 5, v2
	v_lshl_add_u32 v14, v1, 9, v2
	s_load_dwordx2 s[50:51], s[4:5], 0x68
	s_load_dwordx4 s[44:47], s[4:5], 0x58
	ds_read_b128 v[2:5], v14
	ds_read_b128 v[6:9], v14 offset:16
	ds_read_b128 v[10:13], v14 offset:2048
	;; [unrolled: 1-line block ×3, first 2 shown]
	s_mov_b32 s12, 0
	s_waitcnt vmcnt(7)
	buffer_store_dword v23, off, s[0:3], 0 offset:12
	buffer_store_dword v22, off, s[0:3], 0 offset:8
	;; [unrolled: 1-line block ×3, first 2 shown]
	buffer_store_dword v20, off, s[0:3], 0
	s_waitcnt vmcnt(10)
	buffer_store_dword v31, off, s[0:3], 0 offset:28
	buffer_store_dword v30, off, s[0:3], 0 offset:24
	buffer_store_dword v29, off, s[0:3], 0 offset:20
	buffer_store_dword v28, off, s[0:3], 0 offset:16
	s_waitcnt vmcnt(13)
	buffer_store_dword v35, off, s[0:3], 0 offset:44
	buffer_store_dword v34, off, s[0:3], 0 offset:40
	buffer_store_dword v33, off, s[0:3], 0 offset:36
	buffer_store_dword v32, off, s[0:3], 0 offset:32
	;; [unrolled: 5-line block ×7, first 2 shown]
	v_mov_b32_e32 v35, 0
	v_mov_b32_e32 v31, 0
	s_and_saveexec_b64 s[10:11], vcc
	s_cbranch_execz .LBB904_13
; %bb.12:
	s_load_dwordx2 s[16:17], s[4:5], 0x40
	v_add_u32_e32 v20, s27, v41
	v_ashrrev_i32_e32 v21, 31, v20
	v_lshlrev_b64 v[20:21], 2, v[20:21]
	s_waitcnt lgkmcnt(0)
	v_mov_b32_e32 v19, s17
	v_add_co_u32_e32 v20, vcc, s16, v20
	v_addc_co_u32_e32 v21, vcc, v19, v21, vcc
	global_load_dword v31, v[20:21], off
.LBB904_13:
	s_or_b64 exec, exec, s[10:11]
	v_or_b32_e32 v22, s20, v18
	v_ashrrev_i32_e32 v18, 4, v22
	v_mov_b32_e32 v23, s23
	v_cmp_gt_i32_e32 vcc, s33, v22
	v_cndmask_b32_e32 v18, v23, v18, vcc
	v_ashrrev_i32_e32 v19, 31, v18
	v_lshlrev_b64 v[18:19], 2, v[18:19]
	v_mov_b32_e32 v20, s22
	v_add_co_u32_e32 v18, vcc, s21, v18
	v_addc_co_u32_e32 v19, vcc, v20, v19, vcc
	global_load_dword v26, v[18:19], off
	v_or_b32_e32 v18, 64, v22
	v_ashrrev_i32_e32 v19, 4, v18
	v_cmp_gt_i32_e32 vcc, s33, v18
	v_cndmask_b32_e32 v18, v23, v19, vcc
	v_ashrrev_i32_e32 v19, 31, v18
	v_lshlrev_b64 v[18:19], 2, v[18:19]
	v_add_co_u32_e32 v18, vcc, s21, v18
	v_addc_co_u32_e32 v19, vcc, v20, v19, vcc
	v_or_b32_e32 v20, 0x80, v22
	v_ashrrev_i32_e32 v21, 4, v20
	v_cmp_gt_i32_e32 vcc, s33, v20
	v_cndmask_b32_e32 v20, v23, v21, vcc
	v_ashrrev_i32_e32 v21, 31, v20
	v_lshlrev_b64 v[20:21], 2, v[20:21]
	v_mov_b32_e32 v24, s22
	v_add_co_u32_e32 v20, vcc, s21, v20
	v_addc_co_u32_e32 v21, vcc, v24, v21, vcc
	global_load_dword v28, v[18:19], off
	global_load_dword v30, v[20:21], off
	v_or_b32_e32 v18, 0xc0, v22
	v_ashrrev_i32_e32 v19, 4, v18
	v_cmp_gt_i32_e32 vcc, s33, v18
	v_cndmask_b32_e32 v18, v23, v19, vcc
	v_ashrrev_i32_e32 v19, 31, v18
	v_lshlrev_b64 v[18:19], 2, v[18:19]
	v_mov_b32_e32 v20, s22
	v_add_co_u32_e32 v18, vcc, s21, v18
	v_addc_co_u32_e32 v19, vcc, v20, v19, vcc
	global_load_dword v34, v[18:19], off
	s_add_u32 s10, s6, s14
	v_lshl_or_b32 v29, v27, 4, v41
	s_addc_u32 s6, s7, 0
	v_lshlrev_b32_e32 v18, 4, v29
	v_mov_b32_e32 v19, s6
	v_add_co_u32_e32 v22, vcc, s10, v18
	v_addc_co_u32_e32 v23, vcc, 0, v19, vcc
	v_or_b32_e32 v24, 0x400, v18
	v_mov_b32_e32 v25, s6
	v_add_co_u32_e32 v24, vcc, s10, v24
	v_addc_co_u32_e32 v25, vcc, 0, v25, vcc
	v_mov_b32_e32 v36, 0
	s_movk_i32 s14, 0x7f
	s_mov_b32 s15, 0xffffff
	s_mov_b32 s16, 0x5040100
	v_mov_b32_e32 v37, 0x100
	v_bfrev_b32_e32 v38, 60
	s_waitcnt vmcnt(3)
	v_mad_i64_i32 v[18:19], s[6:7], v26, s13, v[22:23]
	global_load_dwordx4 v[18:21], v[18:19], off
	v_mad_i64_i32 v[32:33], s[6:7], v26, s13, v[24:25]
	global_load_dwordx4 v[52:55], v[32:33], off
	s_waitcnt vmcnt(4)
	v_mad_i64_i32 v[32:33], s[6:7], v28, s13, v[22:23]
	global_load_dwordx4 v[56:59], v[32:33], off
	s_waitcnt vmcnt(4)
	v_mad_i64_i32 v[32:33], s[6:7], v30, s13, v[22:23]
	global_load_dwordx4 v[60:63], v[32:33], off
	s_waitcnt vmcnt(4)
	v_mad_i64_i32 v[22:23], s[6:7], v34, s13, v[22:23]
	global_load_dwordx4 v[64:67], v[22:23], off
	v_mad_i64_i32 v[22:23], s[6:7], v28, s13, v[24:25]
	global_load_dwordx4 v[68:71], v[22:23], off
	v_mad_i64_i32 v[22:23], s[6:7], v30, s13, v[24:25]
	global_load_dwordx4 v[72:75], v[22:23], off
	v_mad_i64_i32 v[22:23], s[6:7], v34, s13, v[24:25]
	global_load_dwordx4 v[76:79], v[22:23], off
	s_load_dword s6, s[4:5], 0x1c
	s_load_dwordx4 s[40:43], s[4:5], 0x80
	v_mov_b32_e32 v22, 0x80
	v_add_u32_e32 v45, 16, v22
	v_add_u32_e32 v46, 32, v22
	;; [unrolled: 1-line block ×3, first 2 shown]
	s_waitcnt lgkmcnt(0)
	s_load_dword s4, s[40:41], 0x0
	v_add_u32_e32 v51, 64, v22
	v_add_u32_e32 v48, 0x50, v22
	;; [unrolled: 1-line block ×4, first 2 shown]
	v_mov_b32_e32 v22, s6
	s_waitcnt lgkmcnt(0)
	v_mul_f32_e32 v22, s4, v22
	v_and_b32_e32 v33, 63, v0
	s_movk_i32 s13, 0x80
	v_mov_b32_e32 v24, v22
	v_mov_b32_e32 v25, v22
	s_waitcnt vmcnt(7)
	buffer_store_dword v21, off, s[0:3], 0 offset:140
	buffer_store_dword v20, off, s[0:3], 0 offset:136
	buffer_store_dword v19, off, s[0:3], 0 offset:132
	buffer_store_dword v18, off, s[0:3], 0 offset:128
	s_waitcnt vmcnt(10)
	buffer_store_dword v55, off, s[0:3], 0 offset:156
	buffer_store_dword v54, off, s[0:3], 0 offset:152
	buffer_store_dword v53, off, s[0:3], 0 offset:148
	buffer_store_dword v52, off, s[0:3], 0 offset:144
	;; [unrolled: 5-line block ×8, first 2 shown]
	s_branch .LBB904_17
.LBB904_14:                             ;   in Loop: Header=BB904_17 Depth=1
	s_or_b64 exec, exec, s[10:11]
.LBB904_15:                             ;   in Loop: Header=BB904_17 Depth=1
	s_or_b64 exec, exec, s[6:7]
.LBB904_16:                             ;   in Loop: Header=BB904_17 Depth=1
	s_or_b64 exec, exec, s[4:5]
	v_perm_b32 v55, v40, v34, s16
	v_perm_b32 v54, v23, v32, s16
	;; [unrolled: 1-line block ×4, first 2 shown]
	v_add_u32_e32 v26, s12, v37
	v_mfma_f32_16x16x16bf16_1k v[18:21], v[54:55], v[14:15], v[18:21]
	s_add_i32 s12, s12, 16
	v_mov_b32_e32 v23, v22
	s_cmp_eq_u32 s12, 64
	v_add_u32_e32 v36, 32, v36
	v_mfma_f32_16x16x16bf16_1k v[18:21], v[52:53], v[16:17], v[18:21]
	s_nop 7
	s_nop 2
	v_pk_mul_f32 v[18:19], v[24:25], v[18:19]
	v_pk_mul_f32 v[20:21], v[22:23], v[20:21]
	buffer_store_dword v19, v26, s[0:3], 0 offen offset:4
	buffer_store_dword v18, v26, s[0:3], 0 offen
	buffer_store_dword v21, v26, s[0:3], 0 offen offset:12
	buffer_store_dword v20, v26, s[0:3], 0 offen offset:8
	s_cbranch_scc1 .LBB904_207
.LBB904_17:                             ; =>This Inner Loop Header: Depth=1
	buffer_load_dword v20, v36, s[0:3], 0 offen
	buffer_load_dword v18, v36, s[0:3], 0 offen offset:4
	buffer_load_dword v28, v36, s[0:3], 0 offen offset:8
	;; [unrolled: 1-line block ×3, first 2 shown]
	v_mov_b32_e32 v19, 0
	v_mov_b32_e32 v21, 0
	s_waitcnt vmcnt(3)
	v_cmp_ne_u16_sdwa s[6:7], v20, v35 src0_sel:BYTE_0 src1_sel:DWORD
	s_and_saveexec_b64 s[4:5], s[6:7]
	s_cbranch_execz .LBB904_23
; %bb.18:                               ;   in Loop: Header=BB904_17 Depth=1
	v_cmp_ne_u16_sdwa s[10:11], v20, s13 src0_sel:BYTE_0 src1_sel:DWORD
	v_mov_b32_e32 v21, 0xffff8000
	s_and_saveexec_b64 s[6:7], s[10:11]
	s_cbranch_execz .LBB904_22
; %bb.19:                               ;   in Loop: Header=BB904_17 Depth=1
	v_and_b32_e32 v23, 0x7f, v20
	v_cmp_ne_u32_e32 vcc, s14, v23
	v_mov_b32_e32 v21, 0x7f80
	s_and_saveexec_b64 s[10:11], vcc
	s_cbranch_execz .LBB904_21
; %bb.20:                               ;   in Loop: Header=BB904_17 Depth=1
	v_and_b32_e32 v21, 7, v20
	v_ffbh_u32_e32 v32, v21
	v_min_u32_e32 v32, 32, v32
	v_subrev_u32_e32 v34, 28, v32
	v_lshlrev_b64 v[52:53], v34, v[20:21]
	v_lshrrev_b32_e32 v30, 3, v23
	v_sub_u32_e32 v32, 29, v32
	v_and_b32_e32 v34, 7, v52
	v_cmp_gt_u32_e32 vcc, 8, v23
	v_cndmask_b32_e32 v23, v30, v32, vcc
	v_cndmask_b32_e32 v21, v21, v34, vcc
	v_lshlrev_b32_e32 v30, 24, v20
	v_lshlrev_b32_e32 v21, 20, v21
	v_and_b32_e32 v30, 0x80000000, v30
	v_lshl_add_u32 v23, v23, 23, v38
	v_or3_b32 v21, v30, v23, v21
	v_lshrrev_b32_e32 v21, 16, v21
.LBB904_21:                             ;   in Loop: Header=BB904_17 Depth=1
	s_or_b64 exec, exec, s[10:11]
.LBB904_22:                             ;   in Loop: Header=BB904_17 Depth=1
	s_or_b64 exec, exec, s[6:7]
.LBB904_23:                             ;   in Loop: Header=BB904_17 Depth=1
	s_or_b64 exec, exec, s[4:5]
	v_lshrrev_b16_e32 v30, 8, v20
	v_cmp_ne_u16_e32 vcc, 0, v30
	s_and_saveexec_b64 s[4:5], vcc
	s_cbranch_execz .LBB904_29
; %bb.24:                               ;   in Loop: Header=BB904_17 Depth=1
	v_cmp_ne_u16_e32 vcc, s13, v30
	v_mov_b32_e32 v19, 0xffff8000
	s_and_saveexec_b64 s[6:7], vcc
	s_cbranch_execz .LBB904_28
; %bb.25:                               ;   in Loop: Header=BB904_17 Depth=1
	v_and_b32_e32 v23, 0x7f, v30
	v_cmp_ne_u32_e32 vcc, s14, v23
	v_mov_b32_e32 v19, 0x7f80
	s_and_saveexec_b64 s[10:11], vcc
	s_cbranch_execz .LBB904_27
; %bb.26:                               ;   in Loop: Header=BB904_17 Depth=1
	v_and_b32_e32 v19, 7, v30
	v_ffbh_u32_e32 v34, v19
	v_min_u32_e32 v34, 32, v34
	v_subrev_u32_e32 v40, 28, v34
	v_lshlrev_b64 v[52:53], v40, v[30:31]
	v_lshrrev_b32_e32 v32, 3, v23
	v_sub_u32_e32 v30, 29, v34
	v_and_b32_e32 v34, 7, v52
	v_cmp_gt_u32_e32 vcc, 8, v23
	v_cndmask_b32_e32 v23, v32, v30, vcc
	v_cndmask_b32_e32 v19, v19, v34, vcc
	v_lshlrev_b32_e32 v30, 16, v20
	v_lshlrev_b32_e32 v19, 20, v19
	v_and_b32_e32 v30, 0x80000000, v30
	v_lshl_add_u32 v23, v23, 23, v38
	v_or3_b32 v19, v30, v23, v19
	v_lshrrev_b32_e32 v19, 16, v19
.LBB904_27:                             ;   in Loop: Header=BB904_17 Depth=1
	s_or_b64 exec, exec, s[10:11]
.LBB904_28:                             ;   in Loop: Header=BB904_17 Depth=1
	s_or_b64 exec, exec, s[6:7]
.LBB904_29:                             ;   in Loop: Header=BB904_17 Depth=1
	s_or_b64 exec, exec, s[4:5]
	v_lshrrev_b32_e32 v30, 16, v20
	v_cmp_ne_u16_sdwa s[6:7], v30, v35 src0_sel:BYTE_0 src1_sel:DWORD
	v_mov_b32_e32 v32, 0
	v_mov_b32_e32 v23, 0
	s_and_saveexec_b64 s[4:5], s[6:7]
	s_cbranch_execz .LBB904_35
; %bb.30:                               ;   in Loop: Header=BB904_17 Depth=1
	v_cmp_ne_u16_sdwa s[10:11], v30, s13 src0_sel:BYTE_0 src1_sel:DWORD
	v_mov_b32_e32 v23, 0xffff8000
	s_and_saveexec_b64 s[6:7], s[10:11]
	s_cbranch_execz .LBB904_34
; %bb.31:                               ;   in Loop: Header=BB904_17 Depth=1
	v_bfe_u32 v34, v20, 16, 7
	v_cmp_ne_u32_e32 vcc, s14, v34
	v_mov_b32_e32 v23, 0x7f80
	s_and_saveexec_b64 s[10:11], vcc
	s_cbranch_execz .LBB904_33
; %bb.32:                               ;   in Loop: Header=BB904_17 Depth=1
	v_and_b32_e32 v23, 7, v30
	v_ffbh_u32_e32 v42, v23
	v_min_u32_e32 v42, 32, v42
	v_subrev_u32_e32 v44, 28, v42
	v_lshlrev_b64 v[52:53], v44, v[30:31]
	v_lshrrev_b32_e32 v40, 3, v34
	v_sub_u32_e32 v42, 29, v42
	v_and_b32_e32 v44, 7, v52
	v_cmp_gt_u32_e32 vcc, 8, v34
	v_cndmask_b32_e32 v34, v40, v42, vcc
	v_cndmask_b32_e32 v23, v23, v44, vcc
	v_lshlrev_b32_e32 v30, 24, v30
	v_lshlrev_b32_e32 v23, 20, v23
	v_and_b32_e32 v30, 0x80000000, v30
	v_lshl_add_u32 v34, v34, 23, v38
	v_or3_b32 v23, v30, v34, v23
	v_lshrrev_b32_e32 v23, 16, v23
.LBB904_33:                             ;   in Loop: Header=BB904_17 Depth=1
	s_or_b64 exec, exec, s[10:11]
.LBB904_34:                             ;   in Loop: Header=BB904_17 Depth=1
	s_or_b64 exec, exec, s[6:7]
.LBB904_35:                             ;   in Loop: Header=BB904_17 Depth=1
	s_or_b64 exec, exec, s[4:5]
	v_cmp_lt_u32_e32 vcc, s15, v20
	s_and_saveexec_b64 s[4:5], vcc
	s_cbranch_execz .LBB904_41
; %bb.36:                               ;   in Loop: Header=BB904_17 Depth=1
	v_lshrrev_b32_e32 v30, 24, v20
	v_cmp_ne_u32_e32 vcc, s13, v30
	v_mov_b32_e32 v32, 0xffff8000
	s_and_saveexec_b64 s[6:7], vcc
	s_cbranch_execz .LBB904_40
; %bb.37:                               ;   in Loop: Header=BB904_17 Depth=1
	v_bfe_u32 v20, v20, 24, 7
	v_cmp_ne_u32_e32 vcc, s14, v20
	v_mov_b32_e32 v32, 0x7f80
	s_and_saveexec_b64 s[10:11], vcc
	s_cbranch_execz .LBB904_39
; %bb.38:                               ;   in Loop: Header=BB904_17 Depth=1
	v_and_b32_e32 v32, 7, v30
	v_ffbh_u32_e32 v40, v32
	v_min_u32_e32 v40, 32, v40
	v_subrev_u32_e32 v42, 28, v40
	v_lshlrev_b64 v[52:53], v42, v[30:31]
	v_lshrrev_b32_e32 v34, 3, v20
	v_sub_u32_e32 v40, 29, v40
	v_and_b32_e32 v42, 7, v52
	v_cmp_gt_u32_e32 vcc, 8, v20
	v_cndmask_b32_e32 v20, v34, v40, vcc
	v_cndmask_b32_e32 v32, v32, v42, vcc
	v_lshlrev_b32_e32 v30, 24, v30
	v_lshlrev_b32_e32 v32, 20, v32
	v_and_b32_e32 v30, 0x80000000, v30
	v_lshl_add_u32 v20, v20, 23, v38
	v_or3_b32 v20, v30, v20, v32
	v_lshrrev_b32_e32 v32, 16, v20
.LBB904_39:                             ;   in Loop: Header=BB904_17 Depth=1
	s_or_b64 exec, exec, s[10:11]
.LBB904_40:                             ;   in Loop: Header=BB904_17 Depth=1
	s_or_b64 exec, exec, s[6:7]
.LBB904_41:                             ;   in Loop: Header=BB904_17 Depth=1
	s_or_b64 exec, exec, s[4:5]
	s_waitcnt vmcnt(2)
	v_cmp_ne_u16_sdwa s[6:7], v18, v35 src0_sel:BYTE_0 src1_sel:DWORD
	v_mov_b32_e32 v30, 0
	v_mov_b32_e32 v34, 0
	s_and_saveexec_b64 s[4:5], s[6:7]
	s_cbranch_execz .LBB904_47
; %bb.42:                               ;   in Loop: Header=BB904_17 Depth=1
	v_cmp_ne_u16_sdwa s[10:11], v18, s13 src0_sel:BYTE_0 src1_sel:DWORD
	v_mov_b32_e32 v34, 0xffff8000
	s_and_saveexec_b64 s[6:7], s[10:11]
	s_cbranch_execz .LBB904_46
; %bb.43:                               ;   in Loop: Header=BB904_17 Depth=1
	v_and_b32_e32 v20, 0x7f, v18
	v_cmp_ne_u32_e32 vcc, s14, v20
	v_mov_b32_e32 v34, 0x7f80
	s_and_saveexec_b64 s[10:11], vcc
	s_cbranch_execz .LBB904_45
; %bb.44:                               ;   in Loop: Header=BB904_17 Depth=1
	v_and_b32_e32 v34, 7, v18
	v_ffbh_u32_e32 v42, v34
	v_min_u32_e32 v42, 32, v42
	v_subrev_u32_e32 v44, 28, v42
	v_lshlrev_b64 v[52:53], v44, v[18:19]
	v_lshrrev_b32_e32 v40, 3, v20
	v_sub_u32_e32 v42, 29, v42
	v_and_b32_e32 v44, 7, v52
	v_cmp_gt_u32_e32 vcc, 8, v20
	v_cndmask_b32_e32 v20, v40, v42, vcc
	v_cndmask_b32_e32 v34, v34, v44, vcc
	v_lshlrev_b32_e32 v40, 24, v18
	v_lshlrev_b32_e32 v34, 20, v34
	v_and_b32_e32 v40, 0x80000000, v40
	v_lshl_add_u32 v20, v20, 23, v38
	v_or3_b32 v20, v40, v20, v34
	v_lshrrev_b32_e32 v34, 16, v20
.LBB904_45:                             ;   in Loop: Header=BB904_17 Depth=1
	s_or_b64 exec, exec, s[10:11]
.LBB904_46:                             ;   in Loop: Header=BB904_17 Depth=1
	s_or_b64 exec, exec, s[6:7]
.LBB904_47:                             ;   in Loop: Header=BB904_17 Depth=1
	s_or_b64 exec, exec, s[4:5]
	v_lshrrev_b16_e32 v20, 8, v18
	v_cmp_ne_u16_e32 vcc, 0, v20
	s_and_saveexec_b64 s[4:5], vcc
	s_cbranch_execz .LBB904_53
; %bb.48:                               ;   in Loop: Header=BB904_17 Depth=1
	v_cmp_ne_u16_e32 vcc, s13, v20
	v_mov_b32_e32 v30, 0xffff8000
	s_and_saveexec_b64 s[6:7], vcc
	s_cbranch_execz .LBB904_52
; %bb.49:                               ;   in Loop: Header=BB904_17 Depth=1
	v_and_b32_e32 v40, 0x7f, v20
	v_cmp_ne_u32_e32 vcc, s14, v40
	v_mov_b32_e32 v30, 0x7f80
	s_and_saveexec_b64 s[10:11], vcc
	s_cbranch_execz .LBB904_51
; %bb.50:                               ;   in Loop: Header=BB904_17 Depth=1
	v_and_b32_e32 v30, 7, v20
	v_ffbh_u32_e32 v44, v30
	v_min_u32_e32 v44, 32, v44
	v_subrev_u32_e32 v52, 28, v44
	v_lshlrev_b64 v[52:53], v52, v[20:21]
	v_lshrrev_b32_e32 v42, 3, v40
	v_sub_u32_e32 v20, 29, v44
	v_and_b32_e32 v44, 7, v52
	v_cmp_gt_u32_e32 vcc, 8, v40
	v_cndmask_b32_e32 v20, v42, v20, vcc
	v_cndmask_b32_e32 v30, v30, v44, vcc
	v_lshlrev_b32_e32 v40, 16, v18
	v_lshlrev_b32_e32 v30, 20, v30
	v_and_b32_e32 v40, 0x80000000, v40
	v_lshl_add_u32 v20, v20, 23, v38
	v_or3_b32 v20, v40, v20, v30
	v_lshrrev_b32_e32 v30, 16, v20
.LBB904_51:                             ;   in Loop: Header=BB904_17 Depth=1
	s_or_b64 exec, exec, s[10:11]
.LBB904_52:                             ;   in Loop: Header=BB904_17 Depth=1
	s_or_b64 exec, exec, s[6:7]
.LBB904_53:                             ;   in Loop: Header=BB904_17 Depth=1
	s_or_b64 exec, exec, s[4:5]
	v_lshrrev_b32_e32 v20, 16, v18
	v_cmp_ne_u16_sdwa s[6:7], v20, v35 src0_sel:BYTE_0 src1_sel:DWORD
	v_mov_b32_e32 v42, 0
	v_mov_b32_e32 v40, 0
	s_and_saveexec_b64 s[4:5], s[6:7]
	s_cbranch_execz .LBB904_59
; %bb.54:                               ;   in Loop: Header=BB904_17 Depth=1
	v_cmp_ne_u16_sdwa s[10:11], v20, s13 src0_sel:BYTE_0 src1_sel:DWORD
	v_mov_b32_e32 v40, 0xffff8000
	s_and_saveexec_b64 s[6:7], s[10:11]
	s_cbranch_execz .LBB904_58
; %bb.55:                               ;   in Loop: Header=BB904_17 Depth=1
	v_bfe_u32 v44, v18, 16, 7
	v_cmp_ne_u32_e32 vcc, s14, v44
	v_mov_b32_e32 v40, 0x7f80
	s_and_saveexec_b64 s[10:11], vcc
	s_cbranch_execz .LBB904_57
; %bb.56:                               ;   in Loop: Header=BB904_17 Depth=1
	v_and_b32_e32 v40, 7, v20
	v_ffbh_u32_e32 v52, v40
	v_min_u32_e32 v55, 32, v52
	v_subrev_u32_e32 v52, 28, v55
	v_lshlrev_b64 v[52:53], v52, v[20:21]
	v_lshrrev_b32_e32 v54, 3, v44
	v_sub_u32_e32 v53, 29, v55
	v_and_b32_e32 v52, 7, v52
	v_cmp_gt_u32_e32 vcc, 8, v44
	v_cndmask_b32_e32 v44, v54, v53, vcc
	v_cndmask_b32_e32 v40, v40, v52, vcc
	v_lshlrev_b32_e32 v20, 24, v20
	v_lshlrev_b32_e32 v40, 20, v40
	v_and_b32_e32 v20, 0x80000000, v20
	v_lshl_add_u32 v44, v44, 23, v38
	v_or3_b32 v20, v20, v44, v40
	v_lshrrev_b32_e32 v40, 16, v20
.LBB904_57:                             ;   in Loop: Header=BB904_17 Depth=1
	s_or_b64 exec, exec, s[10:11]
.LBB904_58:                             ;   in Loop: Header=BB904_17 Depth=1
	s_or_b64 exec, exec, s[6:7]
.LBB904_59:                             ;   in Loop: Header=BB904_17 Depth=1
	s_or_b64 exec, exec, s[4:5]
	v_cmp_lt_u32_e32 vcc, s15, v18
	s_and_saveexec_b64 s[4:5], vcc
	s_cbranch_execz .LBB904_65
; %bb.60:                               ;   in Loop: Header=BB904_17 Depth=1
	v_lshrrev_b32_e32 v20, 24, v18
	v_cmp_ne_u32_e32 vcc, s13, v20
	v_mov_b32_e32 v42, 0xffff8000
	s_and_saveexec_b64 s[6:7], vcc
	s_cbranch_execz .LBB904_64
; %bb.61:                               ;   in Loop: Header=BB904_17 Depth=1
	v_bfe_u32 v18, v18, 24, 7
	v_cmp_ne_u32_e32 vcc, s14, v18
	v_mov_b32_e32 v42, 0x7f80
	s_and_saveexec_b64 s[10:11], vcc
	s_cbranch_execz .LBB904_63
; %bb.62:                               ;   in Loop: Header=BB904_17 Depth=1
	v_and_b32_e32 v42, 7, v20
	v_ffbh_u32_e32 v52, v42
	v_min_u32_e32 v54, 32, v52
	v_subrev_u32_e32 v52, 28, v54
	v_lshlrev_b64 v[52:53], v52, v[20:21]
	v_lshrrev_b32_e32 v44, 3, v18
	v_sub_u32_e32 v53, 29, v54
	v_and_b32_e32 v52, 7, v52
	v_cmp_gt_u32_e32 vcc, 8, v18
	v_cndmask_b32_e32 v18, v44, v53, vcc
	v_cndmask_b32_e32 v42, v42, v52, vcc
	v_lshlrev_b32_e32 v20, 24, v20
	v_lshlrev_b32_e32 v42, 20, v42
	v_and_b32_e32 v20, 0x80000000, v20
	v_lshl_add_u32 v18, v18, 23, v38
	v_or3_b32 v18, v20, v18, v42
	v_lshrrev_b32_e32 v42, 16, v18
.LBB904_63:                             ;   in Loop: Header=BB904_17 Depth=1
	s_or_b64 exec, exec, s[10:11]
.LBB904_64:                             ;   in Loop: Header=BB904_17 Depth=1
	s_or_b64 exec, exec, s[6:7]
.LBB904_65:                             ;   in Loop: Header=BB904_17 Depth=1
	s_or_b64 exec, exec, s[4:5]
	v_perm_b32 v53, v32, v23, s16
	v_perm_b32 v52, v19, v21, s16
	s_waitcnt vmcnt(1)
	v_cmp_ne_u16_sdwa s[6:7], v28, v35 src0_sel:BYTE_0 src1_sel:DWORD
	v_mov_b32_e32 v23, 0
	v_mov_b32_e32 v32, 0
	v_mfma_f32_16x16x16bf16_1k v[18:21], v[52:53], v[2:3], 0
	v_perm_b32 v53, v42, v40, s16
	v_perm_b32 v52, v30, v34, s16
	s_nop 1
	v_mfma_f32_16x16x16bf16_1k v[18:21], v[52:53], v[4:5], v[18:21]
	s_and_saveexec_b64 s[4:5], s[6:7]
	s_cbranch_execz .LBB904_71
; %bb.66:                               ;   in Loop: Header=BB904_17 Depth=1
	v_cmp_ne_u16_sdwa s[10:11], v28, s13 src0_sel:BYTE_0 src1_sel:DWORD
	v_mov_b32_e32 v32, 0xffff8000
	s_and_saveexec_b64 s[6:7], s[10:11]
	s_cbranch_execz .LBB904_70
; %bb.67:                               ;   in Loop: Header=BB904_17 Depth=1
	v_and_b32_e32 v30, 0x7f, v28
	v_cmp_ne_u32_e32 vcc, s14, v30
	v_mov_b32_e32 v32, 0x7f80
	s_and_saveexec_b64 s[10:11], vcc
	s_cbranch_execz .LBB904_69
; %bb.68:                               ;   in Loop: Header=BB904_17 Depth=1
	v_and_b32_e32 v32, 7, v28
	v_ffbh_u32_e32 v40, v32
	v_min_u32_e32 v40, 32, v40
	v_subrev_u32_e32 v42, 28, v40
	v_lshlrev_b64 v[52:53], v42, v[28:29]
	v_lshrrev_b32_e32 v34, 3, v30
	v_sub_u32_e32 v40, 29, v40
	v_and_b32_e32 v42, 7, v52
	v_cmp_gt_u32_e32 vcc, 8, v30
	v_cndmask_b32_e32 v30, v34, v40, vcc
	v_cndmask_b32_e32 v32, v32, v42, vcc
	v_lshlrev_b32_e32 v34, 24, v28
	v_lshlrev_b32_e32 v32, 20, v32
	v_and_b32_e32 v34, 0x80000000, v34
	v_lshl_add_u32 v30, v30, 23, v38
	v_or3_b32 v30, v34, v30, v32
	v_lshrrev_b32_e32 v32, 16, v30
.LBB904_69:                             ;   in Loop: Header=BB904_17 Depth=1
	s_or_b64 exec, exec, s[10:11]
.LBB904_70:                             ;   in Loop: Header=BB904_17 Depth=1
	s_or_b64 exec, exec, s[6:7]
.LBB904_71:                             ;   in Loop: Header=BB904_17 Depth=1
	s_or_b64 exec, exec, s[4:5]
	v_lshrrev_b16_e32 v30, 8, v28
	v_cmp_ne_u16_e32 vcc, 0, v30
	s_and_saveexec_b64 s[4:5], vcc
	s_cbranch_execz .LBB904_77
; %bb.72:                               ;   in Loop: Header=BB904_17 Depth=1
	v_cmp_ne_u16_e32 vcc, s13, v30
	v_mov_b32_e32 v23, 0xffff8000
	s_and_saveexec_b64 s[6:7], vcc
	s_cbranch_execz .LBB904_76
; %bb.73:                               ;   in Loop: Header=BB904_17 Depth=1
	v_and_b32_e32 v34, 0x7f, v30
	v_cmp_ne_u32_e32 vcc, s14, v34
	v_mov_b32_e32 v23, 0x7f80
	s_and_saveexec_b64 s[10:11], vcc
	s_cbranch_execz .LBB904_75
; %bb.74:                               ;   in Loop: Header=BB904_17 Depth=1
	v_and_b32_e32 v23, 7, v30
	v_ffbh_u32_e32 v42, v23
	v_min_u32_e32 v42, 32, v42
	v_subrev_u32_e32 v44, 28, v42
	v_lshlrev_b64 v[52:53], v44, v[30:31]
	v_lshrrev_b32_e32 v40, 3, v34
	v_sub_u32_e32 v30, 29, v42
	v_and_b32_e32 v42, 7, v52
	v_cmp_gt_u32_e32 vcc, 8, v34
	v_cndmask_b32_e32 v30, v40, v30, vcc
	v_cndmask_b32_e32 v23, v23, v42, vcc
	v_lshlrev_b32_e32 v34, 16, v28
	v_lshlrev_b32_e32 v23, 20, v23
	v_and_b32_e32 v34, 0x80000000, v34
	v_lshl_add_u32 v30, v30, 23, v38
	v_or3_b32 v23, v34, v30, v23
	v_lshrrev_b32_e32 v23, 16, v23
.LBB904_75:                             ;   in Loop: Header=BB904_17 Depth=1
	s_or_b64 exec, exec, s[10:11]
.LBB904_76:                             ;   in Loop: Header=BB904_17 Depth=1
	s_or_b64 exec, exec, s[6:7]
.LBB904_77:                             ;   in Loop: Header=BB904_17 Depth=1
	s_or_b64 exec, exec, s[4:5]
	v_lshrrev_b32_e32 v30, 16, v28
	v_cmp_ne_u16_sdwa s[6:7], v30, v35 src0_sel:BYTE_0 src1_sel:DWORD
	v_mov_b32_e32 v40, 0
	v_mov_b32_e32 v34, 0
	s_and_saveexec_b64 s[4:5], s[6:7]
	s_cbranch_execz .LBB904_83
; %bb.78:                               ;   in Loop: Header=BB904_17 Depth=1
	v_cmp_ne_u16_sdwa s[10:11], v30, s13 src0_sel:BYTE_0 src1_sel:DWORD
	v_mov_b32_e32 v34, 0xffff8000
	s_and_saveexec_b64 s[6:7], s[10:11]
	s_cbranch_execz .LBB904_82
; %bb.79:                               ;   in Loop: Header=BB904_17 Depth=1
	v_bfe_u32 v42, v28, 16, 7
	v_cmp_ne_u32_e32 vcc, s14, v42
	v_mov_b32_e32 v34, 0x7f80
	s_and_saveexec_b64 s[10:11], vcc
	s_cbranch_execz .LBB904_81
; %bb.80:                               ;   in Loop: Header=BB904_17 Depth=1
	v_and_b32_e32 v34, 7, v30
	v_ffbh_u32_e32 v52, v34
	v_min_u32_e32 v54, 32, v52
	v_subrev_u32_e32 v52, 28, v54
	v_lshlrev_b64 v[52:53], v52, v[30:31]
	v_lshrrev_b32_e32 v44, 3, v42
	v_sub_u32_e32 v53, 29, v54
	v_and_b32_e32 v52, 7, v52
	v_cmp_gt_u32_e32 vcc, 8, v42
	v_cndmask_b32_e32 v42, v44, v53, vcc
	v_cndmask_b32_e32 v34, v34, v52, vcc
	v_lshlrev_b32_e32 v30, 24, v30
	v_lshlrev_b32_e32 v34, 20, v34
	v_and_b32_e32 v30, 0x80000000, v30
	v_lshl_add_u32 v42, v42, 23, v38
	v_or3_b32 v30, v30, v42, v34
	v_lshrrev_b32_e32 v34, 16, v30
.LBB904_81:                             ;   in Loop: Header=BB904_17 Depth=1
	s_or_b64 exec, exec, s[10:11]
.LBB904_82:                             ;   in Loop: Header=BB904_17 Depth=1
	s_or_b64 exec, exec, s[6:7]
.LBB904_83:                             ;   in Loop: Header=BB904_17 Depth=1
	s_or_b64 exec, exec, s[4:5]
	v_cmp_lt_u32_e32 vcc, s15, v28
	s_and_saveexec_b64 s[4:5], vcc
	s_cbranch_execz .LBB904_89
; %bb.84:                               ;   in Loop: Header=BB904_17 Depth=1
	v_lshrrev_b32_e32 v30, 24, v28
	v_cmp_ne_u32_e32 vcc, s13, v30
	v_mov_b32_e32 v40, 0xffff8000
	s_and_saveexec_b64 s[6:7], vcc
	s_cbranch_execz .LBB904_88
; %bb.85:                               ;   in Loop: Header=BB904_17 Depth=1
	v_bfe_u32 v28, v28, 24, 7
	v_cmp_ne_u32_e32 vcc, s14, v28
	v_mov_b32_e32 v40, 0x7f80
	s_and_saveexec_b64 s[10:11], vcc
	s_cbranch_execz .LBB904_87
; %bb.86:                               ;   in Loop: Header=BB904_17 Depth=1
	v_and_b32_e32 v40, 7, v30
	v_ffbh_u32_e32 v44, v40
	v_min_u32_e32 v44, 32, v44
	v_subrev_u32_e32 v52, 28, v44
	v_lshlrev_b64 v[52:53], v52, v[30:31]
	v_lshrrev_b32_e32 v42, 3, v28
	v_sub_u32_e32 v44, 29, v44
	v_and_b32_e32 v52, 7, v52
	v_cmp_gt_u32_e32 vcc, 8, v28
	v_cndmask_b32_e32 v28, v42, v44, vcc
	v_cndmask_b32_e32 v40, v40, v52, vcc
	v_lshlrev_b32_e32 v30, 24, v30
	v_lshlrev_b32_e32 v40, 20, v40
	v_and_b32_e32 v30, 0x80000000, v30
	v_lshl_add_u32 v28, v28, 23, v38
	v_or3_b32 v28, v30, v28, v40
	v_lshrrev_b32_e32 v40, 16, v28
.LBB904_87:                             ;   in Loop: Header=BB904_17 Depth=1
	s_or_b64 exec, exec, s[10:11]
.LBB904_88:                             ;   in Loop: Header=BB904_17 Depth=1
	s_or_b64 exec, exec, s[6:7]
.LBB904_89:                             ;   in Loop: Header=BB904_17 Depth=1
	s_or_b64 exec, exec, s[4:5]
	s_waitcnt vmcnt(0)
	v_cmp_ne_u16_sdwa s[6:7], v26, v35 src0_sel:BYTE_0 src1_sel:DWORD
	v_mov_b32_e32 v42, 0
	v_mov_b32_e32 v44, 0
	s_and_saveexec_b64 s[4:5], s[6:7]
	s_cbranch_execz .LBB904_95
; %bb.90:                               ;   in Loop: Header=BB904_17 Depth=1
	v_cmp_ne_u16_sdwa s[10:11], v26, s13 src0_sel:BYTE_0 src1_sel:DWORD
	v_mov_b32_e32 v44, 0xffff8000
	s_and_saveexec_b64 s[6:7], s[10:11]
	s_cbranch_execz .LBB904_94
; %bb.91:                               ;   in Loop: Header=BB904_17 Depth=1
	v_and_b32_e32 v28, 0x7f, v26
	v_cmp_ne_u32_e32 vcc, s14, v28
	v_mov_b32_e32 v44, 0x7f80
	s_and_saveexec_b64 s[10:11], vcc
	s_cbranch_execz .LBB904_93
; %bb.92:                               ;   in Loop: Header=BB904_17 Depth=1
	v_and_b32_e32 v30, 7, v26
	v_ffbh_u32_e32 v52, v30
	v_min_u32_e32 v54, 32, v52
	v_subrev_u32_e32 v52, 28, v54
	v_lshlrev_b64 v[52:53], v52, v[26:27]
	v_lshrrev_b32_e32 v44, 3, v28
	v_sub_u32_e32 v53, 29, v54
	v_and_b32_e32 v52, 7, v52
	v_cmp_gt_u32_e32 vcc, 8, v28
	v_cndmask_b32_e32 v28, v44, v53, vcc
	v_cndmask_b32_e32 v30, v30, v52, vcc
	v_lshlrev_b32_e32 v44, 24, v26
	v_lshlrev_b32_e32 v30, 20, v30
	v_and_b32_e32 v44, 0x80000000, v44
	v_lshl_add_u32 v28, v28, 23, v38
	v_or3_b32 v28, v44, v28, v30
	v_lshrrev_b32_e32 v44, 16, v28
.LBB904_93:                             ;   in Loop: Header=BB904_17 Depth=1
	s_or_b64 exec, exec, s[10:11]
.LBB904_94:                             ;   in Loop: Header=BB904_17 Depth=1
	s_or_b64 exec, exec, s[6:7]
.LBB904_95:                             ;   in Loop: Header=BB904_17 Depth=1
	s_or_b64 exec, exec, s[4:5]
	v_lshrrev_b16_e32 v28, 8, v26
	v_cmp_ne_u16_e32 vcc, 0, v28
	s_and_saveexec_b64 s[4:5], vcc
	s_cbranch_execz .LBB904_101
; %bb.96:                               ;   in Loop: Header=BB904_17 Depth=1
	v_cmp_ne_u16_e32 vcc, s13, v28
	v_mov_b32_e32 v42, 0xffff8000
	s_and_saveexec_b64 s[6:7], vcc
	s_cbranch_execz .LBB904_100
; %bb.97:                               ;   in Loop: Header=BB904_17 Depth=1
	v_and_b32_e32 v30, 0x7f, v28
	v_cmp_ne_u32_e32 vcc, s14, v30
	v_mov_b32_e32 v42, 0x7f80
	s_and_saveexec_b64 s[10:11], vcc
	s_cbranch_execz .LBB904_99
; %bb.98:                               ;   in Loop: Header=BB904_17 Depth=1
	v_and_b32_e32 v42, 7, v28
	v_ffbh_u32_e32 v52, v42
	v_min_u32_e32 v55, 32, v52
	v_subrev_u32_e32 v52, 28, v55
	v_lshlrev_b64 v[52:53], v52, v[28:29]
	v_lshrrev_b32_e32 v54, 3, v30
	v_sub_u32_e32 v28, 29, v55
	v_and_b32_e32 v52, 7, v52
	v_cmp_gt_u32_e32 vcc, 8, v30
	v_cndmask_b32_e32 v28, v54, v28, vcc
	v_cndmask_b32_e32 v30, v42, v52, vcc
	v_lshlrev_b32_e32 v42, 16, v26
	v_lshlrev_b32_e32 v30, 20, v30
	v_and_b32_e32 v42, 0x80000000, v42
	v_lshl_add_u32 v28, v28, 23, v38
	v_or3_b32 v28, v42, v28, v30
	v_lshrrev_b32_e32 v42, 16, v28
.LBB904_99:                             ;   in Loop: Header=BB904_17 Depth=1
	s_or_b64 exec, exec, s[10:11]
.LBB904_100:                            ;   in Loop: Header=BB904_17 Depth=1
	s_or_b64 exec, exec, s[6:7]
.LBB904_101:                            ;   in Loop: Header=BB904_17 Depth=1
	s_or_b64 exec, exec, s[4:5]
	v_lshrrev_b32_e32 v28, 16, v26
	v_cmp_ne_u16_sdwa s[6:7], v28, v35 src0_sel:BYTE_0 src1_sel:DWORD
	v_mov_b32_e32 v53, 0
	v_mov_b32_e32 v52, 0
	s_and_saveexec_b64 s[4:5], s[6:7]
	s_cbranch_execz .LBB904_107
; %bb.102:                              ;   in Loop: Header=BB904_17 Depth=1
	v_cmp_ne_u16_sdwa s[10:11], v28, s13 src0_sel:BYTE_0 src1_sel:DWORD
	v_mov_b32_e32 v52, 0xffff8000
	s_and_saveexec_b64 s[6:7], s[10:11]
	s_cbranch_execz .LBB904_106
; %bb.103:                              ;   in Loop: Header=BB904_17 Depth=1
	v_bfe_u32 v30, v26, 16, 7
	v_cmp_ne_u32_e32 vcc, s14, v30
	v_mov_b32_e32 v52, 0x7f80
	s_and_saveexec_b64 s[10:11], vcc
	s_cbranch_execz .LBB904_105
; %bb.104:                              ;   in Loop: Header=BB904_17 Depth=1
	v_and_b32_e32 v52, 7, v28
	v_ffbh_u32_e32 v54, v52
	v_min_u32_e32 v57, 32, v54
	v_subrev_u32_e32 v54, 28, v57
	v_lshlrev_b64 v[54:55], v54, v[28:29]
	v_lshrrev_b32_e32 v56, 3, v30
	v_sub_u32_e32 v55, 29, v57
	v_and_b32_e32 v54, 7, v54
	v_cmp_gt_u32_e32 vcc, 8, v30
	v_cndmask_b32_e32 v30, v56, v55, vcc
	v_cndmask_b32_e32 v52, v52, v54, vcc
	v_lshlrev_b32_e32 v28, 24, v28
	v_lshlrev_b32_e32 v52, 20, v52
	v_and_b32_e32 v28, 0x80000000, v28
	v_lshl_add_u32 v30, v30, 23, v38
	v_or3_b32 v28, v28, v30, v52
	v_lshrrev_b32_e32 v52, 16, v28
.LBB904_105:                            ;   in Loop: Header=BB904_17 Depth=1
	s_or_b64 exec, exec, s[10:11]
.LBB904_106:                            ;   in Loop: Header=BB904_17 Depth=1
	s_or_b64 exec, exec, s[6:7]
.LBB904_107:                            ;   in Loop: Header=BB904_17 Depth=1
	s_or_b64 exec, exec, s[4:5]
	v_cmp_lt_u32_e32 vcc, s15, v26
	s_and_saveexec_b64 s[4:5], vcc
	s_cbranch_execz .LBB904_113
; %bb.108:                              ;   in Loop: Header=BB904_17 Depth=1
	v_lshrrev_b32_e32 v28, 24, v26
	v_cmp_ne_u32_e32 vcc, s13, v28
	v_mov_b32_e32 v53, 0xffff8000
	s_and_saveexec_b64 s[6:7], vcc
	s_cbranch_execz .LBB904_112
; %bb.109:                              ;   in Loop: Header=BB904_17 Depth=1
	v_bfe_u32 v26, v26, 24, 7
	v_cmp_ne_u32_e32 vcc, s14, v26
	v_mov_b32_e32 v53, 0x7f80
	s_and_saveexec_b64 s[10:11], vcc
	s_cbranch_execz .LBB904_111
; %bb.110:                              ;   in Loop: Header=BB904_17 Depth=1
	v_and_b32_e32 v30, 7, v28
	v_ffbh_u32_e32 v54, v30
	v_min_u32_e32 v56, 32, v54
	v_subrev_u32_e32 v54, 28, v56
	v_lshlrev_b64 v[54:55], v54, v[28:29]
	v_lshrrev_b32_e32 v53, 3, v26
	v_sub_u32_e32 v55, 29, v56
	v_and_b32_e32 v54, 7, v54
	v_cmp_gt_u32_e32 vcc, 8, v26
	v_cndmask_b32_e32 v26, v53, v55, vcc
	v_cndmask_b32_e32 v30, v30, v54, vcc
	v_lshlrev_b32_e32 v28, 24, v28
	v_lshlrev_b32_e32 v30, 20, v30
	v_and_b32_e32 v28, 0x80000000, v28
	v_lshl_add_u32 v26, v26, 23, v38
	v_or3_b32 v26, v28, v26, v30
	v_lshrrev_b32_e32 v53, 16, v26
.LBB904_111:                            ;   in Loop: Header=BB904_17 Depth=1
	s_or_b64 exec, exec, s[10:11]
.LBB904_112:                            ;   in Loop: Header=BB904_17 Depth=1
	s_or_b64 exec, exec, s[6:7]
.LBB904_113:                            ;   in Loop: Header=BB904_17 Depth=1
	s_or_b64 exec, exec, s[4:5]
	v_perm_b32 v54, v23, v32, s16
	buffer_load_dword v32, v36, s[0:3], 0 offen offset:16
	buffer_load_dword v30, v36, s[0:3], 0 offen offset:20
	;; [unrolled: 1-line block ×4, first 2 shown]
	v_perm_b32 v55, v40, v34, s16
	v_perm_b32 v53, v53, v52, s16
	;; [unrolled: 1-line block ×3, first 2 shown]
	v_mfma_f32_16x16x16bf16_1k v[18:21], v[54:55], v[6:7], v[18:21]
	v_mov_b32_e32 v23, 0
	v_mov_b32_e32 v40, 0
	s_waitcnt vmcnt(3)
	v_cmp_ne_u16_sdwa s[6:7], v32, v35 src0_sel:BYTE_0 src1_sel:DWORD
	v_mfma_f32_16x16x16bf16_1k v[18:21], v[52:53], v[8:9], v[18:21]
	s_and_saveexec_b64 s[4:5], s[6:7]
	s_cbranch_execz .LBB904_119
; %bb.114:                              ;   in Loop: Header=BB904_17 Depth=1
	v_cmp_ne_u16_sdwa s[10:11], v32, s13 src0_sel:BYTE_0 src1_sel:DWORD
	v_mov_b32_e32 v40, 0xffff8000
	s_and_saveexec_b64 s[6:7], s[10:11]
	s_cbranch_execz .LBB904_118
; %bb.115:                              ;   in Loop: Header=BB904_17 Depth=1
	v_and_b32_e32 v34, 0x7f, v32
	v_cmp_ne_u32_e32 vcc, s14, v34
	v_mov_b32_e32 v40, 0x7f80
	s_and_saveexec_b64 s[10:11], vcc
	s_cbranch_execz .LBB904_117
; %bb.116:                              ;   in Loop: Header=BB904_17 Depth=1
	v_and_b32_e32 v40, 7, v32
	v_ffbh_u32_e32 v44, v40
	v_min_u32_e32 v44, 32, v44
	v_subrev_u32_e32 v52, 28, v44
	v_lshlrev_b64 v[52:53], v52, v[32:33]
	v_lshrrev_b32_e32 v42, 3, v34
	v_sub_u32_e32 v44, 29, v44
	v_and_b32_e32 v52, 7, v52
	v_cmp_gt_u32_e32 vcc, 8, v34
	v_cndmask_b32_e32 v34, v42, v44, vcc
	v_cndmask_b32_e32 v40, v40, v52, vcc
	v_lshlrev_b32_e32 v42, 24, v32
	v_lshlrev_b32_e32 v40, 20, v40
	v_and_b32_e32 v42, 0x80000000, v42
	v_lshl_add_u32 v34, v34, 23, v38
	v_or3_b32 v34, v42, v34, v40
	v_lshrrev_b32_e32 v40, 16, v34
.LBB904_117:                            ;   in Loop: Header=BB904_17 Depth=1
	s_or_b64 exec, exec, s[10:11]
.LBB904_118:                            ;   in Loop: Header=BB904_17 Depth=1
	s_or_b64 exec, exec, s[6:7]
.LBB904_119:                            ;   in Loop: Header=BB904_17 Depth=1
	s_or_b64 exec, exec, s[4:5]
	v_lshrrev_b16_e32 v34, 8, v32
	v_cmp_ne_u16_e32 vcc, 0, v34
	s_and_saveexec_b64 s[4:5], vcc
	s_cbranch_execz .LBB904_125
; %bb.120:                              ;   in Loop: Header=BB904_17 Depth=1
	v_cmp_ne_u16_e32 vcc, s13, v34
	v_mov_b32_e32 v23, 0xffff8000
	s_and_saveexec_b64 s[6:7], vcc
	s_cbranch_execz .LBB904_124
; %bb.121:                              ;   in Loop: Header=BB904_17 Depth=1
	v_and_b32_e32 v42, 0x7f, v34
	v_cmp_ne_u32_e32 vcc, s14, v42
	v_mov_b32_e32 v23, 0x7f80
	s_and_saveexec_b64 s[10:11], vcc
	s_cbranch_execz .LBB904_123
; %bb.122:                              ;   in Loop: Header=BB904_17 Depth=1
	v_and_b32_e32 v23, 7, v34
	v_ffbh_u32_e32 v52, v23
	v_min_u32_e32 v54, 32, v52
	v_subrev_u32_e32 v52, 28, v54
	v_lshlrev_b64 v[52:53], v52, v[34:35]
	v_lshrrev_b32_e32 v44, 3, v42
	v_sub_u32_e32 v34, 29, v54
	v_and_b32_e32 v52, 7, v52
	v_cmp_gt_u32_e32 vcc, 8, v42
	v_cndmask_b32_e32 v34, v44, v34, vcc
	v_cndmask_b32_e32 v23, v23, v52, vcc
	v_lshlrev_b32_e32 v42, 16, v32
	v_lshlrev_b32_e32 v23, 20, v23
	v_and_b32_e32 v42, 0x80000000, v42
	v_lshl_add_u32 v34, v34, 23, v38
	v_or3_b32 v23, v42, v34, v23
	v_lshrrev_b32_e32 v23, 16, v23
.LBB904_123:                            ;   in Loop: Header=BB904_17 Depth=1
	s_or_b64 exec, exec, s[10:11]
.LBB904_124:                            ;   in Loop: Header=BB904_17 Depth=1
	s_or_b64 exec, exec, s[6:7]
.LBB904_125:                            ;   in Loop: Header=BB904_17 Depth=1
	s_or_b64 exec, exec, s[4:5]
	v_lshrrev_b32_e32 v34, 16, v32
	v_cmp_ne_u16_sdwa s[6:7], v34, v35 src0_sel:BYTE_0 src1_sel:DWORD
	v_mov_b32_e32 v44, 0
	v_mov_b32_e32 v42, 0
	s_and_saveexec_b64 s[4:5], s[6:7]
	s_cbranch_execz .LBB904_131
; %bb.126:                              ;   in Loop: Header=BB904_17 Depth=1
	v_cmp_ne_u16_sdwa s[10:11], v34, s13 src0_sel:BYTE_0 src1_sel:DWORD
	v_mov_b32_e32 v42, 0xffff8000
	s_and_saveexec_b64 s[6:7], s[10:11]
	s_cbranch_execz .LBB904_130
; %bb.127:                              ;   in Loop: Header=BB904_17 Depth=1
	v_bfe_u32 v52, v32, 16, 7
	v_cmp_ne_u32_e32 vcc, s14, v52
	v_mov_b32_e32 v42, 0x7f80
	s_and_saveexec_b64 s[10:11], vcc
	s_cbranch_execz .LBB904_129
; %bb.128:                              ;   in Loop: Header=BB904_17 Depth=1
	v_and_b32_e32 v42, 7, v34
	v_ffbh_u32_e32 v54, v42
	v_min_u32_e32 v56, 32, v54
	v_subrev_u32_e32 v54, 28, v56
	v_lshlrev_b64 v[54:55], v54, v[34:35]
	v_lshrrev_b32_e32 v53, 3, v52
	v_sub_u32_e32 v55, 29, v56
	v_and_b32_e32 v54, 7, v54
	v_cmp_gt_u32_e32 vcc, 8, v52
	v_cndmask_b32_e32 v52, v53, v55, vcc
	v_cndmask_b32_e32 v42, v42, v54, vcc
	v_lshlrev_b32_e32 v34, 24, v34
	v_lshlrev_b32_e32 v42, 20, v42
	v_and_b32_e32 v34, 0x80000000, v34
	v_lshl_add_u32 v52, v52, 23, v38
	v_or3_b32 v34, v34, v52, v42
	v_lshrrev_b32_e32 v42, 16, v34
.LBB904_129:                            ;   in Loop: Header=BB904_17 Depth=1
	s_or_b64 exec, exec, s[10:11]
.LBB904_130:                            ;   in Loop: Header=BB904_17 Depth=1
	s_or_b64 exec, exec, s[6:7]
.LBB904_131:                            ;   in Loop: Header=BB904_17 Depth=1
	s_or_b64 exec, exec, s[4:5]
	v_cmp_lt_u32_e32 vcc, s15, v32
	s_and_saveexec_b64 s[4:5], vcc
	s_cbranch_execz .LBB904_137
; %bb.132:                              ;   in Loop: Header=BB904_17 Depth=1
	v_lshrrev_b32_e32 v34, 24, v32
	v_cmp_ne_u32_e32 vcc, s13, v34
	v_mov_b32_e32 v44, 0xffff8000
	s_and_saveexec_b64 s[6:7], vcc
	s_cbranch_execz .LBB904_136
; %bb.133:                              ;   in Loop: Header=BB904_17 Depth=1
	v_bfe_u32 v32, v32, 24, 7
	v_cmp_ne_u32_e32 vcc, s14, v32
	v_mov_b32_e32 v44, 0x7f80
	s_and_saveexec_b64 s[10:11], vcc
	s_cbranch_execz .LBB904_135
; %bb.134:                              ;   in Loop: Header=BB904_17 Depth=1
	v_and_b32_e32 v44, 7, v34
	v_ffbh_u32_e32 v52, v44
	v_min_u32_e32 v55, 32, v52
	v_subrev_u32_e32 v52, 28, v55
	v_lshlrev_b64 v[52:53], v52, v[34:35]
	v_lshrrev_b32_e32 v54, 3, v32
	v_sub_u32_e32 v53, 29, v55
	v_and_b32_e32 v52, 7, v52
	v_cmp_gt_u32_e32 vcc, 8, v32
	v_cndmask_b32_e32 v32, v54, v53, vcc
	v_cndmask_b32_e32 v44, v44, v52, vcc
	v_lshlrev_b32_e32 v34, 24, v34
	v_lshlrev_b32_e32 v44, 20, v44
	v_and_b32_e32 v34, 0x80000000, v34
	v_lshl_add_u32 v32, v32, 23, v38
	v_or3_b32 v32, v34, v32, v44
	v_lshrrev_b32_e32 v44, 16, v32
.LBB904_135:                            ;   in Loop: Header=BB904_17 Depth=1
	s_or_b64 exec, exec, s[10:11]
.LBB904_136:                            ;   in Loop: Header=BB904_17 Depth=1
	s_or_b64 exec, exec, s[6:7]
.LBB904_137:                            ;   in Loop: Header=BB904_17 Depth=1
	s_or_b64 exec, exec, s[4:5]
	s_waitcnt vmcnt(2)
	v_cmp_ne_u16_sdwa s[6:7], v30, v35 src0_sel:BYTE_0 src1_sel:DWORD
	v_mov_b32_e32 v34, 0
	v_mov_b32_e32 v52, 0
	s_and_saveexec_b64 s[4:5], s[6:7]
	s_cbranch_execz .LBB904_143
; %bb.138:                              ;   in Loop: Header=BB904_17 Depth=1
	v_cmp_ne_u16_sdwa s[10:11], v30, s13 src0_sel:BYTE_0 src1_sel:DWORD
	v_mov_b32_e32 v52, 0xffff8000
	s_and_saveexec_b64 s[6:7], s[10:11]
	s_cbranch_execz .LBB904_142
; %bb.139:                              ;   in Loop: Header=BB904_17 Depth=1
	v_and_b32_e32 v32, 0x7f, v30
	v_cmp_ne_u32_e32 vcc, s14, v32
	v_mov_b32_e32 v52, 0x7f80
	s_and_saveexec_b64 s[10:11], vcc
	s_cbranch_execz .LBB904_141
; %bb.140:                              ;   in Loop: Header=BB904_17 Depth=1
	v_and_b32_e32 v54, 7, v30
	v_ffbh_u32_e32 v52, v54
	v_min_u32_e32 v56, 32, v52
	v_subrev_u32_e32 v52, 28, v56
	v_lshlrev_b64 v[52:53], v52, v[30:31]
	v_lshrrev_b32_e32 v55, 3, v32
	v_sub_u32_e32 v53, 29, v56
	v_and_b32_e32 v52, 7, v52
	v_cmp_gt_u32_e32 vcc, 8, v32
	v_cndmask_b32_e32 v32, v55, v53, vcc
	v_cndmask_b32_e32 v52, v54, v52, vcc
	v_lshlrev_b32_e32 v53, 24, v30
	v_lshlrev_b32_e32 v52, 20, v52
	v_and_b32_e32 v53, 0x80000000, v53
	v_lshl_add_u32 v32, v32, 23, v38
	v_or3_b32 v32, v53, v32, v52
	v_lshrrev_b32_e32 v52, 16, v32
.LBB904_141:                            ;   in Loop: Header=BB904_17 Depth=1
	s_or_b64 exec, exec, s[10:11]
.LBB904_142:                            ;   in Loop: Header=BB904_17 Depth=1
	s_or_b64 exec, exec, s[6:7]
.LBB904_143:                            ;   in Loop: Header=BB904_17 Depth=1
	s_or_b64 exec, exec, s[4:5]
	v_lshrrev_b16_e32 v32, 8, v30
	v_cmp_ne_u16_e32 vcc, 0, v32
	s_and_saveexec_b64 s[4:5], vcc
	s_cbranch_execz .LBB904_149
; %bb.144:                              ;   in Loop: Header=BB904_17 Depth=1
	v_cmp_ne_u16_e32 vcc, s13, v32
	v_mov_b32_e32 v34, 0xffff8000
	s_and_saveexec_b64 s[6:7], vcc
	s_cbranch_execz .LBB904_148
; %bb.145:                              ;   in Loop: Header=BB904_17 Depth=1
	v_and_b32_e32 v53, 0x7f, v32
	v_cmp_ne_u32_e32 vcc, s14, v53
	v_mov_b32_e32 v34, 0x7f80
	s_and_saveexec_b64 s[10:11], vcc
	s_cbranch_execz .LBB904_147
; %bb.146:                              ;   in Loop: Header=BB904_17 Depth=1
	v_and_b32_e32 v34, 7, v32
	v_ffbh_u32_e32 v54, v34
	v_min_u32_e32 v57, 32, v54
	v_subrev_u32_e32 v54, 28, v57
	v_lshlrev_b64 v[54:55], v54, v[32:33]
	v_lshrrev_b32_e32 v56, 3, v53
	v_sub_u32_e32 v32, 29, v57
	v_and_b32_e32 v54, 7, v54
	v_cmp_gt_u32_e32 vcc, 8, v53
	v_cndmask_b32_e32 v32, v56, v32, vcc
	v_cndmask_b32_e32 v34, v34, v54, vcc
	v_lshlrev_b32_e32 v53, 16, v30
	v_lshlrev_b32_e32 v34, 20, v34
	v_and_b32_e32 v53, 0x80000000, v53
	v_lshl_add_u32 v32, v32, 23, v38
	v_or3_b32 v32, v53, v32, v34
	v_lshrrev_b32_e32 v34, 16, v32
.LBB904_147:                            ;   in Loop: Header=BB904_17 Depth=1
	s_or_b64 exec, exec, s[10:11]
.LBB904_148:                            ;   in Loop: Header=BB904_17 Depth=1
	s_or_b64 exec, exec, s[6:7]
.LBB904_149:                            ;   in Loop: Header=BB904_17 Depth=1
	s_or_b64 exec, exec, s[4:5]
	v_lshrrev_b32_e32 v32, 16, v30
	v_cmp_ne_u16_sdwa s[6:7], v32, v35 src0_sel:BYTE_0 src1_sel:DWORD
	v_mov_b32_e32 v54, 0
	v_mov_b32_e32 v53, 0
	s_and_saveexec_b64 s[4:5], s[6:7]
	s_cbranch_execz .LBB904_155
; %bb.150:                              ;   in Loop: Header=BB904_17 Depth=1
	v_cmp_ne_u16_sdwa s[10:11], v32, s13 src0_sel:BYTE_0 src1_sel:DWORD
	v_mov_b32_e32 v53, 0xffff8000
	s_and_saveexec_b64 s[6:7], s[10:11]
	s_cbranch_execz .LBB904_154
; %bb.151:                              ;   in Loop: Header=BB904_17 Depth=1
	v_bfe_u32 v55, v30, 16, 7
	v_cmp_ne_u32_e32 vcc, s14, v55
	v_mov_b32_e32 v53, 0x7f80
	s_and_saveexec_b64 s[10:11], vcc
	s_cbranch_execz .LBB904_153
; %bb.152:                              ;   in Loop: Header=BB904_17 Depth=1
	v_and_b32_e32 v53, 7, v32
	v_ffbh_u32_e32 v56, v53
	v_min_u32_e32 v59, 32, v56
	v_subrev_u32_e32 v56, 28, v59
	v_lshlrev_b64 v[56:57], v56, v[32:33]
	v_lshrrev_b32_e32 v58, 3, v55
	v_sub_u32_e32 v57, 29, v59
	v_and_b32_e32 v56, 7, v56
	v_cmp_gt_u32_e32 vcc, 8, v55
	v_cndmask_b32_e32 v55, v58, v57, vcc
	v_cndmask_b32_e32 v53, v53, v56, vcc
	v_lshlrev_b32_e32 v32, 24, v32
	v_lshlrev_b32_e32 v53, 20, v53
	v_and_b32_e32 v32, 0x80000000, v32
	v_lshl_add_u32 v55, v55, 23, v38
	v_or3_b32 v32, v32, v55, v53
	v_lshrrev_b32_e32 v53, 16, v32
.LBB904_153:                            ;   in Loop: Header=BB904_17 Depth=1
	s_or_b64 exec, exec, s[10:11]
.LBB904_154:                            ;   in Loop: Header=BB904_17 Depth=1
	s_or_b64 exec, exec, s[6:7]
.LBB904_155:                            ;   in Loop: Header=BB904_17 Depth=1
	s_or_b64 exec, exec, s[4:5]
	v_cmp_lt_u32_e32 vcc, s15, v30
	s_and_saveexec_b64 s[4:5], vcc
	s_cbranch_execz .LBB904_161
; %bb.156:                              ;   in Loop: Header=BB904_17 Depth=1
	v_lshrrev_b32_e32 v32, 24, v30
	v_cmp_ne_u32_e32 vcc, s13, v32
	v_mov_b32_e32 v54, 0xffff8000
	s_and_saveexec_b64 s[6:7], vcc
	s_cbranch_execz .LBB904_160
; %bb.157:                              ;   in Loop: Header=BB904_17 Depth=1
	v_bfe_u32 v30, v30, 24, 7
	v_cmp_ne_u32_e32 vcc, s14, v30
	v_mov_b32_e32 v54, 0x7f80
	s_and_saveexec_b64 s[10:11], vcc
	s_cbranch_execz .LBB904_159
; %bb.158:                              ;   in Loop: Header=BB904_17 Depth=1
	v_and_b32_e32 v56, 7, v32
	v_ffbh_u32_e32 v54, v56
	v_min_u32_e32 v58, 32, v54
	v_subrev_u32_e32 v54, 28, v58
	v_lshlrev_b64 v[54:55], v54, v[32:33]
	v_lshrrev_b32_e32 v57, 3, v30
	v_sub_u32_e32 v55, 29, v58
	v_and_b32_e32 v54, 7, v54
	v_cmp_gt_u32_e32 vcc, 8, v30
	v_cndmask_b32_e32 v30, v57, v55, vcc
	v_cndmask_b32_e32 v54, v56, v54, vcc
	v_lshlrev_b32_e32 v32, 24, v32
	v_lshlrev_b32_e32 v54, 20, v54
	v_and_b32_e32 v32, 0x80000000, v32
	v_lshl_add_u32 v30, v30, 23, v38
	v_or3_b32 v30, v32, v30, v54
	v_lshrrev_b32_e32 v54, 16, v30
.LBB904_159:                            ;   in Loop: Header=BB904_17 Depth=1
	s_or_b64 exec, exec, s[10:11]
.LBB904_160:                            ;   in Loop: Header=BB904_17 Depth=1
	s_or_b64 exec, exec, s[6:7]
.LBB904_161:                            ;   in Loop: Header=BB904_17 Depth=1
	s_or_b64 exec, exec, s[4:5]
	v_perm_b32 v57, v44, v42, s16
	v_perm_b32 v56, v23, v40, s16
	v_perm_b32 v53, v54, v53, s16
	v_perm_b32 v52, v34, v52, s16
	s_waitcnt vmcnt(1)
	v_cmp_ne_u16_sdwa s[6:7], v28, v35 src0_sel:BYTE_0 src1_sel:DWORD
	v_mfma_f32_16x16x16bf16_1k v[18:21], v[56:57], v[10:11], v[18:21]
	v_mov_b32_e32 v23, 0
	v_mov_b32_e32 v32, 0
	v_mfma_f32_16x16x16bf16_1k v[18:21], v[52:53], v[12:13], v[18:21]
	s_and_saveexec_b64 s[4:5], s[6:7]
	s_cbranch_execz .LBB904_167
; %bb.162:                              ;   in Loop: Header=BB904_17 Depth=1
	v_cmp_ne_u16_sdwa s[10:11], v28, s13 src0_sel:BYTE_0 src1_sel:DWORD
	v_mov_b32_e32 v32, 0xffff8000
	s_and_saveexec_b64 s[6:7], s[10:11]
	s_cbranch_execz .LBB904_166
; %bb.163:                              ;   in Loop: Header=BB904_17 Depth=1
	v_and_b32_e32 v30, 0x7f, v28
	v_cmp_ne_u32_e32 vcc, s14, v30
	v_mov_b32_e32 v32, 0x7f80
	s_and_saveexec_b64 s[10:11], vcc
	s_cbranch_execz .LBB904_165
; %bb.164:                              ;   in Loop: Header=BB904_17 Depth=1
	v_and_b32_e32 v32, 7, v28
	v_ffbh_u32_e32 v40, v32
	v_min_u32_e32 v40, 32, v40
	v_subrev_u32_e32 v42, 28, v40
	v_lshlrev_b64 v[52:53], v42, v[28:29]
	v_lshrrev_b32_e32 v34, 3, v30
	v_sub_u32_e32 v40, 29, v40
	v_and_b32_e32 v42, 7, v52
	v_cmp_gt_u32_e32 vcc, 8, v30
	v_cndmask_b32_e32 v30, v34, v40, vcc
	v_cndmask_b32_e32 v32, v32, v42, vcc
	v_lshlrev_b32_e32 v34, 24, v28
	v_lshlrev_b32_e32 v32, 20, v32
	v_and_b32_e32 v34, 0x80000000, v34
	v_lshl_add_u32 v30, v30, 23, v38
	v_or3_b32 v30, v34, v30, v32
	v_lshrrev_b32_e32 v32, 16, v30
.LBB904_165:                            ;   in Loop: Header=BB904_17 Depth=1
	s_or_b64 exec, exec, s[10:11]
.LBB904_166:                            ;   in Loop: Header=BB904_17 Depth=1
	s_or_b64 exec, exec, s[6:7]
.LBB904_167:                            ;   in Loop: Header=BB904_17 Depth=1
	s_or_b64 exec, exec, s[4:5]
	v_lshrrev_b16_e32 v30, 8, v28
	v_cmp_ne_u16_e32 vcc, 0, v30
	s_and_saveexec_b64 s[4:5], vcc
	s_cbranch_execz .LBB904_173
; %bb.168:                              ;   in Loop: Header=BB904_17 Depth=1
	v_cmp_ne_u16_e32 vcc, s13, v30
	v_mov_b32_e32 v23, 0xffff8000
	s_and_saveexec_b64 s[6:7], vcc
	s_cbranch_execz .LBB904_172
; %bb.169:                              ;   in Loop: Header=BB904_17 Depth=1
	v_and_b32_e32 v34, 0x7f, v30
	v_cmp_ne_u32_e32 vcc, s14, v34
	v_mov_b32_e32 v23, 0x7f80
	s_and_saveexec_b64 s[10:11], vcc
	s_cbranch_execz .LBB904_171
; %bb.170:                              ;   in Loop: Header=BB904_17 Depth=1
	v_and_b32_e32 v23, 7, v30
	v_ffbh_u32_e32 v42, v23
	v_min_u32_e32 v42, 32, v42
	v_subrev_u32_e32 v44, 28, v42
	v_lshlrev_b64 v[52:53], v44, v[30:31]
	v_lshrrev_b32_e32 v40, 3, v34
	v_sub_u32_e32 v30, 29, v42
	v_and_b32_e32 v42, 7, v52
	v_cmp_gt_u32_e32 vcc, 8, v34
	v_cndmask_b32_e32 v30, v40, v30, vcc
	v_cndmask_b32_e32 v23, v23, v42, vcc
	v_lshlrev_b32_e32 v34, 16, v28
	v_lshlrev_b32_e32 v23, 20, v23
	v_and_b32_e32 v34, 0x80000000, v34
	v_lshl_add_u32 v30, v30, 23, v38
	v_or3_b32 v23, v34, v30, v23
	v_lshrrev_b32_e32 v23, 16, v23
.LBB904_171:                            ;   in Loop: Header=BB904_17 Depth=1
	s_or_b64 exec, exec, s[10:11]
.LBB904_172:                            ;   in Loop: Header=BB904_17 Depth=1
	s_or_b64 exec, exec, s[6:7]
.LBB904_173:                            ;   in Loop: Header=BB904_17 Depth=1
	s_or_b64 exec, exec, s[4:5]
	v_lshrrev_b32_e32 v30, 16, v28
	v_cmp_ne_u16_sdwa s[6:7], v30, v35 src0_sel:BYTE_0 src1_sel:DWORD
	v_mov_b32_e32 v40, 0
	v_mov_b32_e32 v34, 0
	s_and_saveexec_b64 s[4:5], s[6:7]
	s_cbranch_execz .LBB904_179
; %bb.174:                              ;   in Loop: Header=BB904_17 Depth=1
	v_cmp_ne_u16_sdwa s[10:11], v30, s13 src0_sel:BYTE_0 src1_sel:DWORD
	v_mov_b32_e32 v34, 0xffff8000
	s_and_saveexec_b64 s[6:7], s[10:11]
	s_cbranch_execz .LBB904_178
; %bb.175:                              ;   in Loop: Header=BB904_17 Depth=1
	v_bfe_u32 v42, v28, 16, 7
	v_cmp_ne_u32_e32 vcc, s14, v42
	v_mov_b32_e32 v34, 0x7f80
	s_and_saveexec_b64 s[10:11], vcc
	s_cbranch_execz .LBB904_177
; %bb.176:                              ;   in Loop: Header=BB904_17 Depth=1
	v_and_b32_e32 v34, 7, v30
	v_ffbh_u32_e32 v52, v34
	v_min_u32_e32 v54, 32, v52
	v_subrev_u32_e32 v52, 28, v54
	v_lshlrev_b64 v[52:53], v52, v[30:31]
	v_lshrrev_b32_e32 v44, 3, v42
	v_sub_u32_e32 v53, 29, v54
	v_and_b32_e32 v52, 7, v52
	v_cmp_gt_u32_e32 vcc, 8, v42
	v_cndmask_b32_e32 v42, v44, v53, vcc
	v_cndmask_b32_e32 v34, v34, v52, vcc
	v_lshlrev_b32_e32 v30, 24, v30
	v_lshlrev_b32_e32 v34, 20, v34
	v_and_b32_e32 v30, 0x80000000, v30
	v_lshl_add_u32 v42, v42, 23, v38
	v_or3_b32 v30, v30, v42, v34
	v_lshrrev_b32_e32 v34, 16, v30
.LBB904_177:                            ;   in Loop: Header=BB904_17 Depth=1
	s_or_b64 exec, exec, s[10:11]
.LBB904_178:                            ;   in Loop: Header=BB904_17 Depth=1
	s_or_b64 exec, exec, s[6:7]
.LBB904_179:                            ;   in Loop: Header=BB904_17 Depth=1
	s_or_b64 exec, exec, s[4:5]
	v_cmp_lt_u32_e32 vcc, s15, v28
	s_and_saveexec_b64 s[4:5], vcc
	s_cbranch_execz .LBB904_185
; %bb.180:                              ;   in Loop: Header=BB904_17 Depth=1
	v_lshrrev_b32_e32 v30, 24, v28
	v_cmp_ne_u32_e32 vcc, s13, v30
	v_mov_b32_e32 v40, 0xffff8000
	s_and_saveexec_b64 s[6:7], vcc
	s_cbranch_execz .LBB904_184
; %bb.181:                              ;   in Loop: Header=BB904_17 Depth=1
	v_bfe_u32 v28, v28, 24, 7
	v_cmp_ne_u32_e32 vcc, s14, v28
	v_mov_b32_e32 v40, 0x7f80
	s_and_saveexec_b64 s[10:11], vcc
	s_cbranch_execz .LBB904_183
; %bb.182:                              ;   in Loop: Header=BB904_17 Depth=1
	v_and_b32_e32 v40, 7, v30
	v_ffbh_u32_e32 v44, v40
	v_min_u32_e32 v44, 32, v44
	v_subrev_u32_e32 v52, 28, v44
	v_lshlrev_b64 v[52:53], v52, v[30:31]
	v_lshrrev_b32_e32 v42, 3, v28
	v_sub_u32_e32 v44, 29, v44
	v_and_b32_e32 v52, 7, v52
	v_cmp_gt_u32_e32 vcc, 8, v28
	v_cndmask_b32_e32 v28, v42, v44, vcc
	v_cndmask_b32_e32 v40, v40, v52, vcc
	v_lshlrev_b32_e32 v30, 24, v30
	v_lshlrev_b32_e32 v40, 20, v40
	v_and_b32_e32 v30, 0x80000000, v30
	v_lshl_add_u32 v28, v28, 23, v38
	v_or3_b32 v28, v30, v28, v40
	v_lshrrev_b32_e32 v40, 16, v28
.LBB904_183:                            ;   in Loop: Header=BB904_17 Depth=1
	s_or_b64 exec, exec, s[10:11]
.LBB904_184:                            ;   in Loop: Header=BB904_17 Depth=1
	s_or_b64 exec, exec, s[6:7]
.LBB904_185:                            ;   in Loop: Header=BB904_17 Depth=1
	s_or_b64 exec, exec, s[4:5]
	s_waitcnt vmcnt(0)
	v_cmp_ne_u16_sdwa s[6:7], v26, v35 src0_sel:BYTE_0 src1_sel:DWORD
	v_mov_b32_e32 v30, 0
	v_mov_b32_e32 v42, 0
	s_and_saveexec_b64 s[4:5], s[6:7]
	s_cbranch_execz .LBB904_191
; %bb.186:                              ;   in Loop: Header=BB904_17 Depth=1
	v_cmp_ne_u16_sdwa s[10:11], v26, s13 src0_sel:BYTE_0 src1_sel:DWORD
	v_mov_b32_e32 v42, 0xffff8000
	s_and_saveexec_b64 s[6:7], s[10:11]
	s_cbranch_execz .LBB904_190
; %bb.187:                              ;   in Loop: Header=BB904_17 Depth=1
	v_and_b32_e32 v28, 0x7f, v26
	v_cmp_ne_u32_e32 vcc, s14, v28
	v_mov_b32_e32 v42, 0x7f80
	s_and_saveexec_b64 s[10:11], vcc
	s_cbranch_execz .LBB904_189
; %bb.188:                              ;   in Loop: Header=BB904_17 Depth=1
	v_and_b32_e32 v42, 7, v26
	v_ffbh_u32_e32 v52, v42
	v_min_u32_e32 v54, 32, v52
	v_subrev_u32_e32 v52, 28, v54
	v_lshlrev_b64 v[52:53], v52, v[26:27]
	v_lshrrev_b32_e32 v44, 3, v28
	v_sub_u32_e32 v53, 29, v54
	v_and_b32_e32 v52, 7, v52
	v_cmp_gt_u32_e32 vcc, 8, v28
	v_cndmask_b32_e32 v28, v44, v53, vcc
	v_cndmask_b32_e32 v42, v42, v52, vcc
	v_lshlrev_b32_e32 v44, 24, v26
	v_lshlrev_b32_e32 v42, 20, v42
	v_and_b32_e32 v44, 0x80000000, v44
	v_lshl_add_u32 v28, v28, 23, v38
	v_or3_b32 v28, v44, v28, v42
	v_lshrrev_b32_e32 v42, 16, v28
.LBB904_189:                            ;   in Loop: Header=BB904_17 Depth=1
	s_or_b64 exec, exec, s[10:11]
.LBB904_190:                            ;   in Loop: Header=BB904_17 Depth=1
	s_or_b64 exec, exec, s[6:7]
.LBB904_191:                            ;   in Loop: Header=BB904_17 Depth=1
	s_or_b64 exec, exec, s[4:5]
	v_lshrrev_b16_e32 v28, 8, v26
	v_cmp_ne_u16_e32 vcc, 0, v28
	s_and_saveexec_b64 s[4:5], vcc
	s_cbranch_execz .LBB904_197
; %bb.192:                              ;   in Loop: Header=BB904_17 Depth=1
	v_cmp_ne_u16_e32 vcc, s13, v28
	v_mov_b32_e32 v30, 0xffff8000
	s_and_saveexec_b64 s[6:7], vcc
	s_cbranch_execz .LBB904_196
; %bb.193:                              ;   in Loop: Header=BB904_17 Depth=1
	v_and_b32_e32 v44, 0x7f, v28
	v_cmp_ne_u32_e32 vcc, s14, v44
	v_mov_b32_e32 v30, 0x7f80
	s_and_saveexec_b64 s[10:11], vcc
	s_cbranch_execz .LBB904_195
; %bb.194:                              ;   in Loop: Header=BB904_17 Depth=1
	v_and_b32_e32 v30, 7, v28
	v_ffbh_u32_e32 v52, v30
	v_min_u32_e32 v55, 32, v52
	v_subrev_u32_e32 v52, 28, v55
	v_lshlrev_b64 v[52:53], v52, v[28:29]
	v_lshrrev_b32_e32 v54, 3, v44
	v_sub_u32_e32 v28, 29, v55
	v_and_b32_e32 v52, 7, v52
	v_cmp_gt_u32_e32 vcc, 8, v44
	v_cndmask_b32_e32 v28, v54, v28, vcc
	v_cndmask_b32_e32 v30, v30, v52, vcc
	v_lshlrev_b32_e32 v44, 16, v26
	v_lshlrev_b32_e32 v30, 20, v30
	v_and_b32_e32 v44, 0x80000000, v44
	v_lshl_add_u32 v28, v28, 23, v38
	v_or3_b32 v28, v44, v28, v30
	v_lshrrev_b32_e32 v30, 16, v28
.LBB904_195:                            ;   in Loop: Header=BB904_17 Depth=1
	s_or_b64 exec, exec, s[10:11]
.LBB904_196:                            ;   in Loop: Header=BB904_17 Depth=1
	s_or_b64 exec, exec, s[6:7]
.LBB904_197:                            ;   in Loop: Header=BB904_17 Depth=1
	s_or_b64 exec, exec, s[4:5]
	v_lshrrev_b32_e32 v28, 16, v26
	v_cmp_ne_u16_sdwa s[6:7], v28, v35 src0_sel:BYTE_0 src1_sel:DWORD
	v_mov_b32_e32 v52, 0
	v_mov_b32_e32 v44, 0
	s_and_saveexec_b64 s[4:5], s[6:7]
	s_cbranch_execz .LBB904_203
; %bb.198:                              ;   in Loop: Header=BB904_17 Depth=1
	v_cmp_ne_u16_sdwa s[10:11], v28, s13 src0_sel:BYTE_0 src1_sel:DWORD
	v_mov_b32_e32 v44, 0xffff8000
	s_and_saveexec_b64 s[6:7], s[10:11]
	s_cbranch_execz .LBB904_202
; %bb.199:                              ;   in Loop: Header=BB904_17 Depth=1
	v_bfe_u32 v53, v26, 16, 7
	v_cmp_ne_u32_e32 vcc, s14, v53
	v_mov_b32_e32 v44, 0x7f80
	s_and_saveexec_b64 s[10:11], vcc
	s_cbranch_execz .LBB904_201
; %bb.200:                              ;   in Loop: Header=BB904_17 Depth=1
	v_and_b32_e32 v44, 7, v28
	v_ffbh_u32_e32 v54, v44
	v_min_u32_e32 v57, 32, v54
	v_subrev_u32_e32 v54, 28, v57
	v_lshlrev_b64 v[54:55], v54, v[28:29]
	v_lshrrev_b32_e32 v56, 3, v53
	v_sub_u32_e32 v55, 29, v57
	v_and_b32_e32 v54, 7, v54
	v_cmp_gt_u32_e32 vcc, 8, v53
	v_cndmask_b32_e32 v53, v56, v55, vcc
	v_cndmask_b32_e32 v44, v44, v54, vcc
	v_lshlrev_b32_e32 v28, 24, v28
	v_lshlrev_b32_e32 v44, 20, v44
	v_and_b32_e32 v28, 0x80000000, v28
	v_lshl_add_u32 v53, v53, 23, v38
	v_or3_b32 v28, v28, v53, v44
	v_lshrrev_b32_e32 v44, 16, v28
.LBB904_201:                            ;   in Loop: Header=BB904_17 Depth=1
	s_or_b64 exec, exec, s[10:11]
.LBB904_202:                            ;   in Loop: Header=BB904_17 Depth=1
	s_or_b64 exec, exec, s[6:7]
.LBB904_203:                            ;   in Loop: Header=BB904_17 Depth=1
	s_or_b64 exec, exec, s[4:5]
	v_cmp_lt_u32_e32 vcc, s15, v26
	s_and_saveexec_b64 s[4:5], vcc
	s_cbranch_execz .LBB904_16
; %bb.204:                              ;   in Loop: Header=BB904_17 Depth=1
	v_lshrrev_b32_e32 v28, 24, v26
	v_cmp_ne_u32_e32 vcc, s13, v28
	v_mov_b32_e32 v52, 0xffff8000
	s_and_saveexec_b64 s[6:7], vcc
	s_cbranch_execz .LBB904_15
; %bb.205:                              ;   in Loop: Header=BB904_17 Depth=1
	v_bfe_u32 v26, v26, 24, 7
	v_cmp_ne_u32_e32 vcc, s14, v26
	v_mov_b32_e32 v52, 0x7f80
	s_and_saveexec_b64 s[10:11], vcc
	s_cbranch_execz .LBB904_14
; %bb.206:                              ;   in Loop: Header=BB904_17 Depth=1
	v_and_b32_e32 v54, 7, v28
	v_ffbh_u32_e32 v52, v54
	v_min_u32_e32 v56, 32, v52
	v_subrev_u32_e32 v52, 28, v56
	v_lshlrev_b64 v[52:53], v52, v[28:29]
	v_lshrrev_b32_e32 v55, 3, v26
	v_sub_u32_e32 v53, 29, v56
	v_and_b32_e32 v52, 7, v52
	v_cmp_gt_u32_e32 vcc, 8, v26
	v_cndmask_b32_e32 v26, v55, v53, vcc
	v_cndmask_b32_e32 v52, v54, v52, vcc
	v_lshlrev_b32_e32 v28, 24, v28
	v_lshlrev_b32_e32 v52, 20, v52
	v_and_b32_e32 v28, 0x80000000, v28
	v_lshl_add_u32 v26, v26, 23, v38
	v_or3_b32 v26, v28, v26, v52
	v_lshrrev_b32_e32 v52, 16, v26
	s_branch .LBB904_14
.LBB904_207:
	buffer_load_dword v17, off, s[0:3], 0 offset:256
	buffer_load_dword v16, off, s[0:3], 0 offset:260
	;; [unrolled: 1-line block ×16, first 2 shown]
	v_and_b32_e32 v18, 0xc0, v0
	v_add_u32_e32 v18, s20, v18
	v_lshl_or_b32 v18, v1, 2, v18
	v_or_b32_e32 v20, 1, v18
	v_subrev_u32_e32 v24, s33, v20
	v_add_u32_e32 v26, 1, v24
	v_cvt_f32_i32_e32 v25, v24
	v_add_u32_e32 v28, 2, v24
	v_add_u32_e32 v30, 3, v24
	;; [unrolled: 1-line block ×14, first 2 shown]
	v_cvt_f32_i32_e32 v26, v26
	v_cvt_f32_i32_e32 v28, v28
	;; [unrolled: 1-line block ×4, first 2 shown]
	v_mov_b32_e32 v19, 0xff7fffff
	v_or_b32_e32 v21, 2, v18
	v_or_b32_e32 v22, 3, v18
	v_cvt_f32_i32_e32 v32, v32
	v_cvt_f32_i32_e32 v34, v34
	v_cmp_gt_i32_e64 s[28:29], s33, v18
	v_cmp_gt_i32_e64 s[30:31], s33, v20
	s_mov_b32 s52, 0xff7fffff
	v_cmp_gt_i32_e64 s[34:35], s33, v21
	v_cmp_gt_i32_e64 s[36:37], s33, v22
	v_or_b32_e32 v23, 16, v18
	v_cvt_f32_i32_e32 v35, v35
	v_cvt_f32_i32_e32 v36, v36
	v_cmp_gt_i32_e64 s[24:25], s33, v23
	v_cvt_f32_i32_e32 v37, v37
	v_cvt_f32_i32_e32 v38, v38
	;; [unrolled: 1-line block ×7, first 2 shown]
	s_waitcnt vmcnt(15)
	v_fmac_f32_e32 v17, v31, v25
	s_waitcnt vmcnt(14)
	v_fmac_f32_e32 v16, v31, v26
	;; [unrolled: 2-line block ×4, first 2 shown]
	v_cndmask_b32_e64 v20, v19, v16, s[30:31]
	v_cndmask_b32_e64 v21, v19, v15, s[34:35]
	;; [unrolled: 1-line block ×3, first 2 shown]
	s_waitcnt vmcnt(11)
	v_fmac_f32_e32 v13, v31, v32
	s_waitcnt vmcnt(10)
	v_fmac_f32_e32 v12, v31, v34
	;; [unrolled: 2-line block ×9, first 2 shown]
	v_cndmask_b32_e64 v24, v19, v17, s[28:29]
	v_max3_f32 v20, v24, s52, v20
	v_max3_f32 v20, v20, v21, v22
	v_or_b32_e32 v22, 17, v18
	v_cmp_gt_i32_e64 s[38:39], s33, v22
	v_cndmask_b32_e64 v21, v19, v13, s[24:25]
	v_cndmask_b32_e64 v22, v19, v12, s[38:39]
	v_max3_f32 v20, v20, v21, v22
	v_or_b32_e32 v21, 18, v18
	v_or_b32_e32 v22, 19, v18
	v_cmp_gt_i32_e64 s[20:21], s33, v21
	v_cmp_gt_i32_e64 s[22:23], s33, v22
	v_cndmask_b32_e64 v21, v19, v11, s[20:21]
	v_cndmask_b32_e64 v22, v19, v10, s[22:23]
	v_max3_f32 v20, v20, v21, v22
	v_or_b32_e32 v21, 32, v18
	v_or_b32_e32 v22, 33, v18
	v_cmp_gt_i32_e64 s[16:17], s33, v21
	;; [unrolled: 7-line block ×3, first 2 shown]
	v_cmp_gt_i32_e64 s[14:15], s33, v22
	v_cndmask_b32_e64 v21, v19, v7, s[12:13]
	v_cndmask_b32_e64 v22, v19, v6, s[14:15]
	v_max3_f32 v20, v20, v21, v22
	v_or_b32_e32 v21, 48, v18
	v_or_b32_e32 v22, 49, v18
	v_fmac_f32_e32 v5, v31, v44
	v_fmac_f32_e32 v4, v31, v52
	v_cmp_gt_i32_e64 s[6:7], s33, v21
	v_cmp_gt_i32_e64 s[10:11], s33, v22
	v_cndmask_b32_e64 v21, v19, v5, s[6:7]
	v_cndmask_b32_e64 v22, v19, v4, s[10:11]
	v_max3_f32 v20, v20, v21, v22
	v_or_b32_e32 v21, 50, v18
	v_or_b32_e32 v18, 51, v18
	v_fmac_f32_e32 v3, v31, v53
	v_cmp_gt_i32_e32 vcc, s33, v21
	v_cmp_gt_i32_e64 s[4:5], s33, v18
	v_cndmask_b32_e32 v21, v19, v3, vcc
	v_cndmask_b32_e64 v18, v19, v2, s[4:5]
	v_mbcnt_lo_u32_b32 v19, -1, 0
	v_mbcnt_hi_u32_b32 v19, -1, v19
	v_max3_f32 v18, v20, v21, v18
	v_and_b32_e32 v20, 64, v19
	v_add_u32_e32 v20, 64, v20
	v_xor_b32_e32 v21, 32, v19
	v_cmp_lt_i32_e64 s[40:41], v21, v20
	v_cndmask_b32_e64 v21, v19, v21, s[40:41]
	v_lshlrev_b32_e32 v21, 2, v21
	ds_bpermute_b32 v22, v21, v18
	s_waitcnt lgkmcnt(0)
	v_max_f32_e32 v22, v22, v22
	v_max_f32_e32 v18, v18, v22
	v_xor_b32_e32 v22, 16, v19
	v_cmp_lt_i32_e64 s[40:41], v22, v20
	v_cndmask_b32_e64 v19, v19, v22, s[40:41]
	v_lshlrev_b32_e32 v19, 2, v19
	ds_bpermute_b32 v20, v19, v18
	s_waitcnt lgkmcnt(0)
	v_max_f32_e32 v20, v20, v20
	v_max_f32_e32 v18, v18, v20
	v_sub_f32_e32 v17, v17, v18
	v_mul_f32_e32 v17, 0x3fb8aa3b, v17
	v_sub_f32_e32 v16, v16, v18
	v_exp_f32_e32 v17, v17
	v_mul_f32_e32 v16, 0x3fb8aa3b, v16
	v_sub_f32_e32 v15, v15, v18
	v_exp_f32_e32 v16, v16
	;; [unrolled: 3-line block ×4, first 2 shown]
	v_mul_f32_e32 v13, 0x3fb8aa3b, v13
	v_sub_f32_e32 v12, v12, v18
	v_cndmask_b32_e64 v17, 0, v17, s[28:29]
	v_exp_f32_e32 v13, v13
	v_mul_f32_e32 v12, 0x3fb8aa3b, v12
	v_sub_f32_e32 v11, v11, v18
	v_add_f32_e32 v20, 0, v17
	v_cndmask_b32_e64 v16, 0, v16, s[30:31]
	v_exp_f32_e32 v12, v12
	v_mul_f32_e32 v11, 0x3fb8aa3b, v11
	v_sub_f32_e32 v10, v10, v18
	v_add_f32_e32 v20, v20, v16
	;; [unrolled: 5-line block ×4, first 2 shown]
	v_cndmask_b32_e64 v13, 0, v13, s[24:25]
	v_exp_f32_e32 v9, v9
	v_mul_f32_e32 v8, 0x3fb8aa3b, v8
	v_sub_f32_e32 v7, v7, v18
	buffer_store_dword v17, off, s[0:3], 0 offset:256
	buffer_store_dword v16, off, s[0:3], 0 offset:260
	buffer_store_dword v15, off, s[0:3], 0 offset:264
	buffer_store_dword v14, off, s[0:3], 0 offset:268
	v_add_f32_e32 v14, v20, v13
	v_cndmask_b32_e64 v12, 0, v12, s[38:39]
	v_exp_f32_e32 v8, v8
	v_mul_f32_e32 v7, 0x3fb8aa3b, v7
	v_sub_f32_e32 v6, v6, v18
	v_add_f32_e32 v14, v14, v12
	v_cndmask_b32_e64 v11, 0, v11, s[20:21]
	v_exp_f32_e32 v7, v7
	v_mul_f32_e32 v6, 0x3fb8aa3b, v6
	v_sub_f32_e32 v5, v5, v18
	;; [unrolled: 5-line block ×4, first 2 shown]
	buffer_store_dword v13, off, s[0:3], 0 offset:272
	buffer_store_dword v12, off, s[0:3], 0 offset:276
	;; [unrolled: 1-line block ×4, first 2 shown]
	v_add_f32_e32 v10, v14, v9
	v_cndmask_b32_e64 v8, 0, v8, s[18:19]
	v_exp_f32_e32 v4, v4
	v_mul_f32_e32 v3, 0x3fb8aa3b, v3
	v_sub_f32_e32 v2, v2, v18
	v_add_f32_e32 v10, v10, v8
	v_cndmask_b32_e64 v7, 0, v7, s[12:13]
	v_exp_f32_e32 v3, v3
	v_mul_f32_e32 v2, 0x3fb8aa3b, v2
	v_add_f32_e32 v10, v10, v7
	v_cndmask_b32_e64 v6, 0, v6, s[14:15]
	v_exp_f32_e32 v2, v2
	v_add_f32_e32 v10, v10, v6
	v_cndmask_b32_e64 v5, 0, v5, s[6:7]
	buffer_store_dword v9, off, s[0:3], 0 offset:288
	buffer_store_dword v8, off, s[0:3], 0 offset:292
	;; [unrolled: 1-line block ×4, first 2 shown]
	v_add_f32_e32 v6, v10, v5
	v_cndmask_b32_e64 v4, 0, v4, s[10:11]
	v_add_f32_e32 v6, v6, v4
	v_cndmask_b32_e32 v3, 0, v3, vcc
	v_add_f32_e32 v6, v6, v3
	v_cndmask_b32_e64 v2, 0, v2, s[4:5]
	v_add_f32_e32 v6, v6, v2
	ds_bpermute_b32 v7, v21, v6
	buffer_store_dword v5, off, s[0:3], 0 offset:304
	buffer_store_dword v4, off, s[0:3], 0 offset:308
	;; [unrolled: 1-line block ×4, first 2 shown]
	v_cmp_gt_u32_e32 vcc, 16, v33
	s_waitcnt lgkmcnt(0)
	s_barrier
	v_add_f32_e32 v2, v6, v7
	ds_bpermute_b32 v3, v19, v2
	s_waitcnt lgkmcnt(0)
	s_and_saveexec_b64 s[4:5], vcc
	s_cbranch_execz .LBB904_209
; %bb.208:
	v_add_f32_e32 v2, v2, v3
	v_lshlrev_b32_e32 v3, 2, v29
	ds_write2st64_b32 v3, v18, v2 offset1:1
.LBB904_209:
	s_or_b64 exec, exec, s[4:5]
	v_lshlrev_b32_e32 v2, 2, v41
	s_waitcnt lgkmcnt(0)
	s_barrier
	ds_read2_b32 v[14:15], v2 offset1:16
	ds_read2_b32 v[16:17], v2 offset0:32 offset1:48
	ds_read2_b32 v[6:7], v2 offset0:64 offset1:80
	;; [unrolled: 1-line block ×3, first 2 shown]
	s_waitcnt lgkmcnt(0)
	s_barrier
	buffer_load_dword v22, off, s[0:3], 0 offset:264
	buffer_load_dword v23, off, s[0:3], 0 offset:268
	;; [unrolled: 1-line block ×16, first 2 shown]
	v_max3_f32 v20, v14, s52, v15
	v_max3_f32 v20, v20, v16, v17
	v_sub_f32_e32 v14, v14, v20
	v_sub_f32_e32 v15, v15, v20
	v_mul_f32_e32 v14, 0x3fb8aa3b, v14
	v_sub_f32_e32 v16, v16, v20
	v_mul_f32_e32 v15, 0x3fb8aa3b, v15
	v_exp_f32_e32 v14, v14
	v_sub_f32_e32 v17, v17, v20
	v_mul_f32_e32 v16, 0x3fb8aa3b, v16
	v_exp_f32_e32 v15, v15
	v_mul_f32_e32 v17, 0x3fb8aa3b, v17
	v_exp_f32_e32 v16, v16
	v_exp_f32_e32 v17, v17
	v_fma_f32 v6, v14, v6, 0
	v_fmac_f32_e32 v6, v15, v7
	v_fmac_f32_e32 v6, v16, v12
	;; [unrolled: 1-line block ×3, first 2 shown]
	v_cmp_eq_u32_e32 vcc, 1, v27
	v_add_f32_e32 v12, 0x358637bd, v6
	v_cndmask_b32_e32 v14, v14, v15, vcc
	v_cmp_eq_u32_e32 vcc, 2, v27
	v_div_scale_f32 v13, s[4:5], v12, v12, 1.0
	v_cndmask_b32_e32 v7, v14, v16, vcc
	v_rcp_f32_e32 v14, v13
	v_cmp_eq_u32_e32 vcc, 3, v27
	v_cndmask_b32_e32 v7, v7, v17, vcc
	v_div_scale_f32 v15, vcc, 1.0, v12, 1.0
	v_fma_f32 v16, -v13, v14, 1.0
	v_fmac_f32_e32 v14, v16, v14
	v_mul_f32_e32 v16, v15, v14
	v_fma_f32 v17, -v13, v16, v15
	v_fmac_f32_e32 v16, v17, v14
	v_fma_f32 v13, -v13, v16, v15
	v_div_fmas_f32 v13, v13, v14, v16
	v_div_fixup_f32 v12, v13, v12, 1.0
	v_mul_f32_e32 v12, v7, v12
	s_movk_i32 s19, 0x7fff
	s_mov_b32 s20, 0x7060302
	s_mul_i32 s18, s49, 11
	v_cmp_gt_u32_e32 vcc, 11, v0
	s_waitcnt vmcnt(14)
	v_pk_mul_f32 v[14:15], v[12:13], v[22:23] op_sel_hi:[0,1]
	v_bfe_u32 v21, v15, 16, 1
	s_waitcnt vmcnt(12)
	v_pk_mul_f32 v[16:17], v[12:13], v[24:25] op_sel_hi:[0,1]
	v_bfe_u32 v7, v17, 16, 1
	v_bfe_u32 v13, v16, 16, 1
	;; [unrolled: 1-line block ×3, first 2 shown]
	v_add3_u32 v13, v16, v13, s19
	v_add3_u32 v7, v17, v7, s19
	buffer_store_dword v16, off, s[0:3], 0 offset:256
	buffer_store_dword v17, off, s[0:3], 0 offset:260
	buffer_store_dword v14, off, s[0:3], 0 offset:264
	buffer_store_dword v15, off, s[0:3], 0 offset:268
	v_add3_u32 v16, v14, v22, s19
	v_add3_u32 v15, v15, v21, s19
	v_perm_b32 v14, v7, v13, s20
	v_lshlrev_b32_e32 v13, 3, v1
	v_perm_b32 v15, v15, v16, s20
	v_lshlrev_b32_e32 v7, 5, v41
	v_lshlrev_b32_e32 v16, 11, v27
	s_waitcnt vmcnt(12)
	v_pk_mul_f32 v[8:9], v[12:13], v[8:9] op_sel_hi:[0,1]
	v_or3_b32 v52, v16, v7, v13
	v_pk_mul_f32 v[10:11], v[12:13], v[10:11] op_sel_hi:[0,1]
	v_bfe_u32 v13, v9, 16, 1
	v_bfe_u32 v16, v8, 16, 1
	buffer_store_dword v8, off, s[0:3], 0 offset:272
	buffer_store_dword v9, off, s[0:3], 0 offset:276
	;; [unrolled: 1-line block ×4, first 2 shown]
	v_add3_u32 v8, v8, v16, s19
	v_add3_u32 v9, v9, v13, s19
	v_perm_b32 v8, v9, v8, s20
	v_bfe_u32 v9, v11, 16, 1
	v_bfe_u32 v13, v10, 16, 1
	v_add3_u32 v10, v10, v13, s19
	v_add3_u32 v9, v11, v9, s19
	v_perm_b32 v9, v9, v10, s20
	s_waitcnt vmcnt(14)
	v_pk_mul_f32 v[10:11], v[12:13], v[18:19] op_sel_hi:[0,1]
	ds_write2st64_b64 v52, v[14:15], v[8:9] offset1:1
	s_waitcnt vmcnt(12)
	v_pk_mul_f32 v[8:9], v[12:13], v[28:29] op_sel_hi:[0,1]
	v_bfe_u32 v13, v11, 16, 1
	v_bfe_u32 v14, v10, 16, 1
	buffer_store_dword v10, off, s[0:3], 0 offset:288
	buffer_store_dword v11, off, s[0:3], 0 offset:292
	;; [unrolled: 1-line block ×4, first 2 shown]
	v_add3_u32 v10, v10, v14, s19
	v_add3_u32 v11, v11, v13, s19
	v_perm_b32 v10, v11, v10, s20
	v_bfe_u32 v11, v9, 16, 1
	v_bfe_u32 v13, v8, 16, 1
	v_add3_u32 v8, v8, v13, s19
	v_add3_u32 v9, v9, v11, s19
	s_waitcnt vmcnt(14)
	v_pk_mul_f32 v[2:3], v[12:13], v[2:3] op_sel_hi:[0,1]
	v_perm_b32 v11, v9, v8, s20
	v_bfe_u32 v8, v3, 16, 1
	v_bfe_u32 v9, v2, 16, 1
	s_waitcnt vmcnt(12)
	v_pk_mul_f32 v[4:5], v[12:13], v[4:5] op_sel_hi:[0,1]
	buffer_store_dword v2, off, s[0:3], 0 offset:304
	buffer_store_dword v3, off, s[0:3], 0 offset:308
	;; [unrolled: 1-line block ×4, first 2 shown]
	v_add3_u32 v2, v2, v9, s19
	v_add3_u32 v3, v3, v8, s19
	v_perm_b32 v2, v3, v2, s20
	v_bfe_u32 v3, v5, 16, 1
	v_bfe_u32 v8, v4, 16, 1
	v_add3_u32 v4, v4, v8, s19
	v_add3_u32 v3, v5, v3, s19
	v_perm_b32 v3, v3, v4, s20
	ds_write2st64_b64 v52, v[10:11], v[2:3] offset0:2 offset1:3
	s_and_saveexec_b64 s[4:5], vcc
	s_cbranch_execz .LBB904_211
; %bb.210:
	v_add_co_u32_e32 v4, vcc, s27, v41
	v_addc_co_u32_e64 v5, s[6:7], 0, 0, vcc
	v_mov_b32_e32 v2, s18
	v_mad_u64_u32 v[4:5], s[6:7], s8, v2, v[4:5]
	v_mov_b32_e32 v3, 0
	s_mul_i32 s6, s9, s18
	v_mov_b32_e32 v2, s26
	v_add_u32_e32 v5, s6, v5
	v_mad_u64_u32 v[2:3], s[6:7], v4, s48, v[2:3]
	v_mov_b32_e32 v4, v3
	v_mad_u64_u32 v[4:5], s[6:7], v5, s48, v[4:5]
	v_mov_b32_e32 v3, v4
	v_lshlrev_b64 v[2:3], 2, v[2:3]
	v_mov_b32_e32 v5, s47
	v_add_co_u32_e32 v4, vcc, s46, v2
	v_addc_co_u32_e32 v5, vcc, v5, v3, vcc
	global_store_dword v[4:5], v20, off
	v_mov_b32_e32 v4, s45
	v_add_co_u32_e32 v2, vcc, s44, v2
	v_addc_co_u32_e32 v3, vcc, v4, v3, vcc
	global_store_dword v[2:3], v6, off
.LBB904_211:
	s_or_b64 exec, exec, s[4:5]
	v_lshl_or_b32 v30, v1, 9, v7
	s_waitcnt lgkmcnt(0)
	s_barrier
	s_load_dword s4, s[42:43], 0x0
	ds_read_b128 v[2:5], v30
	ds_read_b128 v[6:9], v30 offset:16
	ds_read_b128 v[10:13], v30 offset:2048
	;; [unrolled: 1-line block ×7, first 2 shown]
	v_mov_b32_e32 v35, 0x80
	v_mov_b32_e32 v53, 0x140
	s_mov_b64 s[10:11], -1
	s_waitcnt lgkmcnt(0)
	s_mov_b32 s5, s4
	s_mov_b32 s6, s4
	;; [unrolled: 1-line block ×3, first 2 shown]
	s_movk_i32 s9, 0x80
	s_movk_i32 s21, 0x7f
	s_mov_b32 s22, 0xffffff
	s_mov_b32 s23, 0x5040100
	v_mov_b32_e32 v54, 0
	v_bfrev_b32_e32 v55, 60
	s_branch .LBB904_215
.LBB904_212:                            ;   in Loop: Header=BB904_215 Depth=1
	s_or_b64 exec, exec, s[16:17]
.LBB904_213:                            ;   in Loop: Header=BB904_215 Depth=1
	s_or_b64 exec, exec, s[14:15]
.LBB904_214:                            ;   in Loop: Header=BB904_215 Depth=1
	s_or_b64 exec, exec, s[12:13]
	v_perm_b32 v61, v56, v50, s23
	v_perm_b32 v60, v44, v46, s23
	s_xor_b64 s[12:13], s[10:11], -1
	s_mov_b64 s[10:11], 0
	v_mov_b32_e32 v46, v47
	v_mfma_f32_16x16x16bf16_1k v[60:63], v[60:61], v[30:31], v[34:37]
	s_and_b64 vcc, exec, s[12:13]
	s_nop 5
	v_perm_b32 v37, v58, v57, s23
	v_perm_b32 v36, v42, v51, s23
	v_mov_b32_e32 v35, v45
	s_nop 0
	v_mfma_f32_16x16x16bf16_1k v[56:59], v[36:37], v[32:33], v[60:63]
	s_nop 7
	s_nop 2
	v_pk_mul_f32 v[50:51], v[56:57], s[4:5]
	v_pk_mul_f32 v[36:37], v[58:59], s[6:7]
	v_bfe_u32 v34, v51, 16, 1
	v_bfe_u32 v38, v50, 16, 1
	;; [unrolled: 1-line block ×4, first 2 shown]
	v_add3_u32 v38, v50, v38, s19
	v_add3_u32 v34, v51, v34, s19
	;; [unrolled: 1-line block ×4, first 2 shown]
	v_perm_b32 v34, v34, v38, s20
	v_perm_b32 v36, v37, v36, s20
	buffer_store_dword v34, v53, s[0:3], 0 offen
	buffer_store_dword v36, v53, s[0:3], 0 offen offset:4
	v_mov_b32_e32 v53, 0x148
	v_mov_b32_e32 v51, v48
	;; [unrolled: 1-line block ×3, first 2 shown]
	s_cbranch_vccnz .LBB904_597
.LBB904_215:                            ; =>This Inner Loop Header: Depth=1
	buffer_load_dword v36, v35, s[0:3], 0 offen
	buffer_load_dword v34, v35, s[0:3], 0 offen offset:4
	buffer_load_dword v40, v35, s[0:3], 0 offen offset:8
	;; [unrolled: 1-line block ×3, first 2 shown]
	v_mov_b32_e32 v35, 0
	s_waitcnt vmcnt(3)
	v_cmp_ne_u16_sdwa s[14:15], v36, v54 src0_sel:BYTE_0 src1_sel:DWORD
	s_and_saveexec_b64 s[12:13], s[14:15]
	s_cbranch_execz .LBB904_221
; %bb.216:                              ;   in Loop: Header=BB904_215 Depth=1
	v_cmp_ne_u16_sdwa s[16:17], v36, s9 src0_sel:BYTE_0 src1_sel:DWORD
	v_mov_b32_e32 v35, 0xffff8000
	s_and_saveexec_b64 s[14:15], s[16:17]
	s_cbranch_execz .LBB904_220
; %bb.217:                              ;   in Loop: Header=BB904_215 Depth=1
	v_and_b32_e32 v37, 0x7f, v36
	v_cmp_ne_u32_e32 vcc, s21, v37
	v_mov_b32_e32 v35, 0x7f80
	s_and_saveexec_b64 s[16:17], vcc
	s_cbranch_execz .LBB904_219
; %bb.218:                              ;   in Loop: Header=BB904_215 Depth=1
	v_and_b32_e32 v35, 7, v36
	v_ffbh_u32_e32 v44, v35
	v_min_u32_e32 v44, 32, v44
	v_subrev_u32_e32 v56, 28, v44
	v_lshlrev_b64 v[56:57], v56, v[36:37]
	v_lshrrev_b32_e32 v42, 3, v37
	v_sub_u32_e32 v44, 29, v44
	v_and_b32_e32 v56, 7, v56
	v_cmp_gt_u32_e32 vcc, 8, v37
	v_cndmask_b32_e32 v37, v42, v44, vcc
	v_cndmask_b32_e32 v35, v35, v56, vcc
	v_lshlrev_b32_e32 v42, 24, v36
	v_lshlrev_b32_e32 v35, 20, v35
	v_and_b32_e32 v42, 0x80000000, v42
	v_lshl_add_u32 v37, v37, 23, v55
	v_or3_b32 v35, v42, v37, v35
	v_lshrrev_b32_e32 v35, 16, v35
.LBB904_219:                            ;   in Loop: Header=BB904_215 Depth=1
	s_or_b64 exec, exec, s[16:17]
.LBB904_220:                            ;   in Loop: Header=BB904_215 Depth=1
	s_or_b64 exec, exec, s[14:15]
.LBB904_221:                            ;   in Loop: Header=BB904_215 Depth=1
	s_or_b64 exec, exec, s[12:13]
	v_lshrrev_b16_e32 v42, 8, v36
	v_cmp_ne_u16_e32 vcc, 0, v42
	v_mov_b32_e32 v56, 0
	v_mov_b32_e32 v37, 0
	s_and_saveexec_b64 s[12:13], vcc
	s_cbranch_execz .LBB904_227
; %bb.222:                              ;   in Loop: Header=BB904_215 Depth=1
	v_cmp_ne_u16_e32 vcc, s9, v42
	v_mov_b32_e32 v37, 0xffff8000
	s_and_saveexec_b64 s[14:15], vcc
	s_cbranch_execz .LBB904_226
; %bb.223:                              ;   in Loop: Header=BB904_215 Depth=1
	v_and_b32_e32 v44, 0x7f, v42
	v_cmp_ne_u32_e32 vcc, s21, v44
	v_mov_b32_e32 v37, 0x7f80
	s_and_saveexec_b64 s[16:17], vcc
	s_cbranch_execz .LBB904_225
; %bb.224:                              ;   in Loop: Header=BB904_215 Depth=1
	v_and_b32_e32 v37, 7, v42
	v_ffbh_u32_e32 v58, v37
	v_min_u32_e32 v60, 32, v58
	v_subrev_u32_e32 v58, 28, v60
	v_lshlrev_b64 v[58:59], v58, v[42:43]
	v_lshrrev_b32_e32 v57, 3, v44
	v_sub_u32_e32 v42, 29, v60
	v_and_b32_e32 v58, 7, v58
	v_cmp_gt_u32_e32 vcc, 8, v44
	v_cndmask_b32_e32 v42, v57, v42, vcc
	v_cndmask_b32_e32 v37, v37, v58, vcc
	v_lshlrev_b32_e32 v44, 16, v36
	v_lshlrev_b32_e32 v37, 20, v37
	v_and_b32_e32 v44, 0x80000000, v44
	v_lshl_add_u32 v42, v42, 23, v55
	v_or3_b32 v37, v44, v42, v37
	v_lshrrev_b32_e32 v37, 16, v37
.LBB904_225:                            ;   in Loop: Header=BB904_215 Depth=1
	s_or_b64 exec, exec, s[16:17]
.LBB904_226:                            ;   in Loop: Header=BB904_215 Depth=1
	s_or_b64 exec, exec, s[14:15]
.LBB904_227:                            ;   in Loop: Header=BB904_215 Depth=1
	s_or_b64 exec, exec, s[12:13]
	v_lshrrev_b32_e32 v42, 16, v36
	v_cmp_ne_u16_sdwa s[14:15], v42, v54 src0_sel:BYTE_0 src1_sel:DWORD
	s_and_saveexec_b64 s[12:13], s[14:15]
	s_cbranch_execz .LBB904_233
; %bb.228:                              ;   in Loop: Header=BB904_215 Depth=1
	v_cmp_ne_u16_sdwa s[16:17], v42, s9 src0_sel:BYTE_0 src1_sel:DWORD
	v_mov_b32_e32 v56, 0xffff8000
	s_and_saveexec_b64 s[14:15], s[16:17]
	s_cbranch_execz .LBB904_232
; %bb.229:                              ;   in Loop: Header=BB904_215 Depth=1
	v_bfe_u32 v44, v36, 16, 7
	v_cmp_ne_u32_e32 vcc, s21, v44
	v_mov_b32_e32 v56, 0x7f80
	s_and_saveexec_b64 s[16:17], vcc
	s_cbranch_execz .LBB904_231
; %bb.230:                              ;   in Loop: Header=BB904_215 Depth=1
	v_and_b32_e32 v58, 7, v42
	v_ffbh_u32_e32 v56, v58
	v_min_u32_e32 v60, 32, v56
	v_subrev_u32_e32 v56, 28, v60
	v_lshlrev_b64 v[56:57], v56, v[42:43]
	v_lshrrev_b32_e32 v59, 3, v44
	v_sub_u32_e32 v57, 29, v60
	v_and_b32_e32 v56, 7, v56
	v_cmp_gt_u32_e32 vcc, 8, v44
	v_cndmask_b32_e32 v44, v59, v57, vcc
	v_cndmask_b32_e32 v56, v58, v56, vcc
	v_lshlrev_b32_e32 v42, 24, v42
	v_lshlrev_b32_e32 v56, 20, v56
	v_and_b32_e32 v42, 0x80000000, v42
	v_lshl_add_u32 v44, v44, 23, v55
	v_or3_b32 v42, v42, v44, v56
	v_lshrrev_b32_e32 v56, 16, v42
.LBB904_231:                            ;   in Loop: Header=BB904_215 Depth=1
	s_or_b64 exec, exec, s[16:17]
.LBB904_232:                            ;   in Loop: Header=BB904_215 Depth=1
	s_or_b64 exec, exec, s[14:15]
.LBB904_233:                            ;   in Loop: Header=BB904_215 Depth=1
	s_or_b64 exec, exec, s[12:13]
	v_cmp_lt_u32_e32 vcc, s22, v36
	v_mov_b32_e32 v57, 0
	v_mov_b32_e32 v58, 0
	s_and_saveexec_b64 s[12:13], vcc
	s_cbranch_execz .LBB904_239
; %bb.234:                              ;   in Loop: Header=BB904_215 Depth=1
	v_lshrrev_b32_e32 v42, 24, v36
	v_cmp_ne_u32_e32 vcc, s9, v42
	v_mov_b32_e32 v58, 0xffff8000
	s_and_saveexec_b64 s[14:15], vcc
	s_cbranch_execz .LBB904_238
; %bb.235:                              ;   in Loop: Header=BB904_215 Depth=1
	v_bfe_u32 v36, v36, 24, 7
	v_cmp_ne_u32_e32 vcc, s21, v36
	v_mov_b32_e32 v58, 0x7f80
	s_and_saveexec_b64 s[16:17], vcc
	s_cbranch_execz .LBB904_237
; %bb.236:                              ;   in Loop: Header=BB904_215 Depth=1
	v_and_b32_e32 v44, 7, v42
	v_ffbh_u32_e32 v58, v44
	v_min_u32_e32 v61, 32, v58
	v_subrev_u32_e32 v58, 28, v61
	v_lshlrev_b64 v[58:59], v58, v[42:43]
	v_lshrrev_b32_e32 v60, 3, v36
	v_sub_u32_e32 v59, 29, v61
	v_and_b32_e32 v58, 7, v58
	v_cmp_gt_u32_e32 vcc, 8, v36
	v_cndmask_b32_e32 v36, v60, v59, vcc
	v_cndmask_b32_e32 v44, v44, v58, vcc
	v_lshlrev_b32_e32 v42, 24, v42
	v_lshlrev_b32_e32 v44, 20, v44
	v_and_b32_e32 v42, 0x80000000, v42
	v_lshl_add_u32 v36, v36, 23, v55
	v_or3_b32 v36, v42, v36, v44
	v_lshrrev_b32_e32 v58, 16, v36
.LBB904_237:                            ;   in Loop: Header=BB904_215 Depth=1
	s_or_b64 exec, exec, s[16:17]
.LBB904_238:                            ;   in Loop: Header=BB904_215 Depth=1
	s_or_b64 exec, exec, s[14:15]
.LBB904_239:                            ;   in Loop: Header=BB904_215 Depth=1
	s_or_b64 exec, exec, s[12:13]
	s_waitcnt vmcnt(2)
	v_cmp_ne_u16_sdwa s[14:15], v34, v54 src0_sel:BYTE_0 src1_sel:DWORD
	s_and_saveexec_b64 s[12:13], s[14:15]
	s_cbranch_execz .LBB904_245
; %bb.240:                              ;   in Loop: Header=BB904_215 Depth=1
	v_cmp_ne_u16_sdwa s[16:17], v34, s9 src0_sel:BYTE_0 src1_sel:DWORD
	v_mov_b32_e32 v57, 0xffff8000
	s_and_saveexec_b64 s[14:15], s[16:17]
	s_cbranch_execz .LBB904_244
; %bb.241:                              ;   in Loop: Header=BB904_215 Depth=1
	v_and_b32_e32 v36, 0x7f, v34
	v_cmp_ne_u32_e32 vcc, s21, v36
	v_mov_b32_e32 v57, 0x7f80
	s_and_saveexec_b64 s[16:17], vcc
	s_cbranch_execz .LBB904_243
; %bb.242:                              ;   in Loop: Header=BB904_215 Depth=1
	v_and_b32_e32 v42, 7, v34
	v_ffbh_u32_e32 v57, v42
	v_min_u32_e32 v57, 32, v57
	v_subrev_u32_e32 v59, 28, v57
	v_lshlrev_b64 v[60:61], v59, v[34:35]
	v_lshrrev_b32_e32 v44, 3, v36
	v_sub_u32_e32 v57, 29, v57
	v_and_b32_e32 v59, 7, v60
	v_cmp_gt_u32_e32 vcc, 8, v36
	v_cndmask_b32_e32 v36, v44, v57, vcc
	v_cndmask_b32_e32 v42, v42, v59, vcc
	v_lshlrev_b32_e32 v44, 24, v34
	v_lshlrev_b32_e32 v42, 20, v42
	v_and_b32_e32 v44, 0x80000000, v44
	v_lshl_add_u32 v36, v36, 23, v55
	v_or3_b32 v36, v44, v36, v42
	v_lshrrev_b32_e32 v57, 16, v36
.LBB904_243:                            ;   in Loop: Header=BB904_215 Depth=1
	s_or_b64 exec, exec, s[16:17]
.LBB904_244:                            ;   in Loop: Header=BB904_215 Depth=1
	s_or_b64 exec, exec, s[14:15]
.LBB904_245:                            ;   in Loop: Header=BB904_215 Depth=1
	s_or_b64 exec, exec, s[12:13]
	v_lshrrev_b16_e32 v36, 8, v34
	v_cmp_ne_u16_e32 vcc, 0, v36
	v_mov_b32_e32 v59, 0
	v_mov_b32_e32 v42, 0
	s_and_saveexec_b64 s[12:13], vcc
	s_cbranch_execz .LBB904_251
; %bb.246:                              ;   in Loop: Header=BB904_215 Depth=1
	v_cmp_ne_u16_e32 vcc, s9, v36
	v_mov_b32_e32 v42, 0xffff8000
	s_and_saveexec_b64 s[14:15], vcc
	s_cbranch_execz .LBB904_250
; %bb.247:                              ;   in Loop: Header=BB904_215 Depth=1
	v_and_b32_e32 v44, 0x7f, v36
	v_cmp_ne_u32_e32 vcc, s21, v44
	v_mov_b32_e32 v42, 0x7f80
	s_and_saveexec_b64 s[16:17], vcc
	s_cbranch_execz .LBB904_249
; %bb.248:                              ;   in Loop: Header=BB904_215 Depth=1
	v_and_b32_e32 v42, 7, v36
	v_ffbh_u32_e32 v60, v42
	v_min_u32_e32 v63, 32, v60
	v_subrev_u32_e32 v60, 28, v63
	v_lshlrev_b64 v[60:61], v60, v[36:37]
	v_lshrrev_b32_e32 v62, 3, v44
	v_sub_u32_e32 v36, 29, v63
	v_and_b32_e32 v60, 7, v60
	v_cmp_gt_u32_e32 vcc, 8, v44
	v_cndmask_b32_e32 v36, v62, v36, vcc
	v_cndmask_b32_e32 v42, v42, v60, vcc
	v_lshlrev_b32_e32 v44, 16, v34
	v_lshlrev_b32_e32 v42, 20, v42
	v_and_b32_e32 v44, 0x80000000, v44
	v_lshl_add_u32 v36, v36, 23, v55
	v_or3_b32 v36, v44, v36, v42
	v_lshrrev_b32_e32 v42, 16, v36
.LBB904_249:                            ;   in Loop: Header=BB904_215 Depth=1
	s_or_b64 exec, exec, s[16:17]
.LBB904_250:                            ;   in Loop: Header=BB904_215 Depth=1
	s_or_b64 exec, exec, s[14:15]
.LBB904_251:                            ;   in Loop: Header=BB904_215 Depth=1
	s_or_b64 exec, exec, s[12:13]
	v_lshrrev_b32_e32 v36, 16, v34
	v_cmp_ne_u16_sdwa s[14:15], v36, v54 src0_sel:BYTE_0 src1_sel:DWORD
	s_and_saveexec_b64 s[12:13], s[14:15]
	s_cbranch_execz .LBB904_257
; %bb.252:                              ;   in Loop: Header=BB904_215 Depth=1
	v_cmp_ne_u16_sdwa s[16:17], v36, s9 src0_sel:BYTE_0 src1_sel:DWORD
	v_mov_b32_e32 v59, 0xffff8000
	s_and_saveexec_b64 s[14:15], s[16:17]
	s_cbranch_execz .LBB904_256
; %bb.253:                              ;   in Loop: Header=BB904_215 Depth=1
	v_bfe_u32 v44, v34, 16, 7
	v_cmp_ne_u32_e32 vcc, s21, v44
	v_mov_b32_e32 v59, 0x7f80
	s_and_saveexec_b64 s[16:17], vcc
	s_cbranch_execz .LBB904_255
; %bb.254:                              ;   in Loop: Header=BB904_215 Depth=1
	v_and_b32_e32 v59, 7, v36
	v_ffbh_u32_e32 v60, v59
	v_min_u32_e32 v63, 32, v60
	v_subrev_u32_e32 v60, 28, v63
	v_lshlrev_b64 v[60:61], v60, v[36:37]
	v_lshrrev_b32_e32 v62, 3, v44
	v_sub_u32_e32 v61, 29, v63
	v_and_b32_e32 v60, 7, v60
	v_cmp_gt_u32_e32 vcc, 8, v44
	v_cndmask_b32_e32 v44, v62, v61, vcc
	v_cndmask_b32_e32 v59, v59, v60, vcc
	v_lshlrev_b32_e32 v36, 24, v36
	v_lshlrev_b32_e32 v59, 20, v59
	v_and_b32_e32 v36, 0x80000000, v36
	v_lshl_add_u32 v44, v44, 23, v55
	v_or3_b32 v36, v36, v44, v59
	v_lshrrev_b32_e32 v59, 16, v36
.LBB904_255:                            ;   in Loop: Header=BB904_215 Depth=1
	s_or_b64 exec, exec, s[16:17]
.LBB904_256:                            ;   in Loop: Header=BB904_215 Depth=1
	s_or_b64 exec, exec, s[14:15]
.LBB904_257:                            ;   in Loop: Header=BB904_215 Depth=1
	s_or_b64 exec, exec, s[12:13]
	v_cmp_lt_u32_e32 vcc, s22, v34
	v_mov_b32_e32 v44, 0
	v_mov_b32_e32 v60, 0
	s_and_saveexec_b64 s[12:13], vcc
	s_cbranch_execz .LBB904_263
; %bb.258:                              ;   in Loop: Header=BB904_215 Depth=1
	v_lshrrev_b32_e32 v36, 24, v34
	v_cmp_ne_u32_e32 vcc, s9, v36
	v_mov_b32_e32 v60, 0xffff8000
	s_and_saveexec_b64 s[14:15], vcc
	s_cbranch_execz .LBB904_262
; %bb.259:                              ;   in Loop: Header=BB904_215 Depth=1
	v_bfe_u32 v34, v34, 24, 7
	v_cmp_ne_u32_e32 vcc, s21, v34
	v_mov_b32_e32 v60, 0x7f80
	s_and_saveexec_b64 s[16:17], vcc
	s_cbranch_execz .LBB904_261
; %bb.260:                              ;   in Loop: Header=BB904_215 Depth=1
	v_and_b32_e32 v62, 7, v36
	v_ffbh_u32_e32 v60, v62
	v_min_u32_e32 v64, 32, v60
	v_subrev_u32_e32 v60, 28, v64
	v_lshlrev_b64 v[60:61], v60, v[36:37]
	v_lshrrev_b32_e32 v63, 3, v34
	v_sub_u32_e32 v61, 29, v64
	v_and_b32_e32 v60, 7, v60
	v_cmp_gt_u32_e32 vcc, 8, v34
	v_cndmask_b32_e32 v34, v63, v61, vcc
	v_cndmask_b32_e32 v60, v62, v60, vcc
	v_lshlrev_b32_e32 v36, 24, v36
	v_lshlrev_b32_e32 v60, 20, v60
	v_and_b32_e32 v36, 0x80000000, v36
	v_lshl_add_u32 v34, v34, 23, v55
	v_or3_b32 v34, v36, v34, v60
	v_lshrrev_b32_e32 v60, 16, v34
.LBB904_261:                            ;   in Loop: Header=BB904_215 Depth=1
	s_or_b64 exec, exec, s[16:17]
.LBB904_262:                            ;   in Loop: Header=BB904_215 Depth=1
	s_or_b64 exec, exec, s[14:15]
.LBB904_263:                            ;   in Loop: Header=BB904_215 Depth=1
	s_or_b64 exec, exec, s[12:13]
	v_perm_b32 v63, v58, v56, s23
	v_perm_b32 v62, v37, v35, s23
	;; [unrolled: 1-line block ×4, first 2 shown]
	s_waitcnt vmcnt(1)
	v_cmp_ne_u16_sdwa s[14:15], v40, v54 src0_sel:BYTE_0 src1_sel:DWORD
	v_mfma_f32_16x16x16bf16_1k v[34:37], v[62:63], v[2:3], 0
	v_mfma_f32_16x16x16bf16_1k v[34:37], v[58:59], v[4:5], v[34:37]
	s_and_saveexec_b64 s[12:13], s[14:15]
	s_cbranch_execz .LBB904_269
; %bb.264:                              ;   in Loop: Header=BB904_215 Depth=1
	v_cmp_ne_u16_sdwa s[16:17], v40, s9 src0_sel:BYTE_0 src1_sel:DWORD
	v_mov_b32_e32 v44, 0xffff8000
	s_and_saveexec_b64 s[14:15], s[16:17]
	s_cbranch_execz .LBB904_268
; %bb.265:                              ;   in Loop: Header=BB904_215 Depth=1
	v_and_b32_e32 v42, 0x7f, v40
	v_cmp_ne_u32_e32 vcc, s21, v42
	v_mov_b32_e32 v44, 0x7f80
	s_and_saveexec_b64 s[16:17], vcc
	s_cbranch_execz .LBB904_267
; %bb.266:                              ;   in Loop: Header=BB904_215 Depth=1
	v_and_b32_e32 v44, 7, v40
	v_ffbh_u32_e32 v56, v44
	v_min_u32_e32 v59, 32, v56
	v_subrev_u32_e32 v56, 28, v59
	v_lshlrev_b64 v[56:57], v56, v[40:41]
	v_lshrrev_b32_e32 v58, 3, v42
	v_sub_u32_e32 v57, 29, v59
	v_and_b32_e32 v56, 7, v56
	v_cmp_gt_u32_e32 vcc, 8, v42
	v_cndmask_b32_e32 v42, v58, v57, vcc
	v_cndmask_b32_e32 v44, v44, v56, vcc
	v_lshlrev_b32_e32 v56, 24, v40
	v_lshlrev_b32_e32 v44, 20, v44
	v_and_b32_e32 v56, 0x80000000, v56
	v_lshl_add_u32 v42, v42, 23, v55
	v_or3_b32 v42, v56, v42, v44
	v_lshrrev_b32_e32 v44, 16, v42
.LBB904_267:                            ;   in Loop: Header=BB904_215 Depth=1
	s_or_b64 exec, exec, s[16:17]
.LBB904_268:                            ;   in Loop: Header=BB904_215 Depth=1
	s_or_b64 exec, exec, s[14:15]
.LBB904_269:                            ;   in Loop: Header=BB904_215 Depth=1
	s_or_b64 exec, exec, s[12:13]
	v_lshrrev_b16_e32 v42, 8, v40
	v_cmp_ne_u16_e32 vcc, 0, v42
	v_mov_b32_e32 v58, 0
	v_mov_b32_e32 v57, 0
	s_and_saveexec_b64 s[12:13], vcc
	s_cbranch_execz .LBB904_275
; %bb.270:                              ;   in Loop: Header=BB904_215 Depth=1
	v_cmp_ne_u16_e32 vcc, s9, v42
	v_mov_b32_e32 v57, 0xffff8000
	s_and_saveexec_b64 s[14:15], vcc
	s_cbranch_execz .LBB904_274
; %bb.271:                              ;   in Loop: Header=BB904_215 Depth=1
	v_and_b32_e32 v56, 0x7f, v42
	v_cmp_ne_u32_e32 vcc, s21, v56
	v_mov_b32_e32 v57, 0x7f80
	s_and_saveexec_b64 s[16:17], vcc
	s_cbranch_execz .LBB904_273
; %bb.272:                              ;   in Loop: Header=BB904_215 Depth=1
	v_and_b32_e32 v57, 7, v42
	v_ffbh_u32_e32 v60, v57
	v_min_u32_e32 v62, 32, v60
	v_subrev_u32_e32 v60, 28, v62
	v_lshlrev_b64 v[60:61], v60, v[42:43]
	v_lshrrev_b32_e32 v59, 3, v56
	v_sub_u32_e32 v42, 29, v62
	v_and_b32_e32 v60, 7, v60
	v_cmp_gt_u32_e32 vcc, 8, v56
	v_cndmask_b32_e32 v42, v59, v42, vcc
	v_cndmask_b32_e32 v56, v57, v60, vcc
	v_lshlrev_b32_e32 v57, 16, v40
	v_lshlrev_b32_e32 v56, 20, v56
	v_and_b32_e32 v57, 0x80000000, v57
	v_lshl_add_u32 v42, v42, 23, v55
	v_or3_b32 v42, v57, v42, v56
	v_lshrrev_b32_e32 v57, 16, v42
.LBB904_273:                            ;   in Loop: Header=BB904_215 Depth=1
	s_or_b64 exec, exec, s[16:17]
.LBB904_274:                            ;   in Loop: Header=BB904_215 Depth=1
	s_or_b64 exec, exec, s[14:15]
.LBB904_275:                            ;   in Loop: Header=BB904_215 Depth=1
	s_or_b64 exec, exec, s[12:13]
	v_lshrrev_b32_e32 v42, 16, v40
	v_cmp_ne_u16_sdwa s[14:15], v42, v54 src0_sel:BYTE_0 src1_sel:DWORD
	s_and_saveexec_b64 s[12:13], s[14:15]
	s_cbranch_execz .LBB904_281
; %bb.276:                              ;   in Loop: Header=BB904_215 Depth=1
	v_cmp_ne_u16_sdwa s[16:17], v42, s9 src0_sel:BYTE_0 src1_sel:DWORD
	v_mov_b32_e32 v58, 0xffff8000
	s_and_saveexec_b64 s[14:15], s[16:17]
	s_cbranch_execz .LBB904_280
; %bb.277:                              ;   in Loop: Header=BB904_215 Depth=1
	v_bfe_u32 v56, v40, 16, 7
	v_cmp_ne_u32_e32 vcc, s21, v56
	v_mov_b32_e32 v58, 0x7f80
	s_and_saveexec_b64 s[16:17], vcc
	s_cbranch_execz .LBB904_279
; %bb.278:                              ;   in Loop: Header=BB904_215 Depth=1
	v_and_b32_e32 v60, 7, v42
	v_ffbh_u32_e32 v58, v60
	v_min_u32_e32 v62, 32, v58
	v_subrev_u32_e32 v58, 28, v62
	v_lshlrev_b64 v[58:59], v58, v[42:43]
	v_lshrrev_b32_e32 v61, 3, v56
	v_sub_u32_e32 v59, 29, v62
	v_and_b32_e32 v58, 7, v58
	v_cmp_gt_u32_e32 vcc, 8, v56
	v_cndmask_b32_e32 v56, v61, v59, vcc
	v_cndmask_b32_e32 v58, v60, v58, vcc
	v_lshlrev_b32_e32 v42, 24, v42
	v_lshlrev_b32_e32 v58, 20, v58
	v_and_b32_e32 v42, 0x80000000, v42
	v_lshl_add_u32 v56, v56, 23, v55
	v_or3_b32 v42, v42, v56, v58
	v_lshrrev_b32_e32 v58, 16, v42
.LBB904_279:                            ;   in Loop: Header=BB904_215 Depth=1
	s_or_b64 exec, exec, s[16:17]
.LBB904_280:                            ;   in Loop: Header=BB904_215 Depth=1
	s_or_b64 exec, exec, s[14:15]
.LBB904_281:                            ;   in Loop: Header=BB904_215 Depth=1
	s_or_b64 exec, exec, s[12:13]
	v_cmp_lt_u32_e32 vcc, s22, v40
	v_mov_b32_e32 v59, 0
	v_mov_b32_e32 v60, 0
	s_and_saveexec_b64 s[12:13], vcc
	s_cbranch_execz .LBB904_287
; %bb.282:                              ;   in Loop: Header=BB904_215 Depth=1
	v_lshrrev_b32_e32 v42, 24, v40
	v_cmp_ne_u32_e32 vcc, s9, v42
	v_mov_b32_e32 v60, 0xffff8000
	s_and_saveexec_b64 s[14:15], vcc
	s_cbranch_execz .LBB904_286
; %bb.283:                              ;   in Loop: Header=BB904_215 Depth=1
	v_bfe_u32 v40, v40, 24, 7
	v_cmp_ne_u32_e32 vcc, s21, v40
	v_mov_b32_e32 v60, 0x7f80
	s_and_saveexec_b64 s[16:17], vcc
	s_cbranch_execz .LBB904_285
; %bb.284:                              ;   in Loop: Header=BB904_215 Depth=1
	v_and_b32_e32 v56, 7, v42
	v_ffbh_u32_e32 v60, v56
	v_min_u32_e32 v63, 32, v60
	v_subrev_u32_e32 v60, 28, v63
	v_lshlrev_b64 v[60:61], v60, v[42:43]
	v_lshrrev_b32_e32 v62, 3, v40
	v_sub_u32_e32 v61, 29, v63
	v_and_b32_e32 v60, 7, v60
	v_cmp_gt_u32_e32 vcc, 8, v40
	v_cndmask_b32_e32 v40, v62, v61, vcc
	v_cndmask_b32_e32 v56, v56, v60, vcc
	v_lshlrev_b32_e32 v42, 24, v42
	v_lshlrev_b32_e32 v56, 20, v56
	v_and_b32_e32 v42, 0x80000000, v42
	v_lshl_add_u32 v40, v40, 23, v55
	v_or3_b32 v40, v42, v40, v56
	v_lshrrev_b32_e32 v60, 16, v40
.LBB904_285:                            ;   in Loop: Header=BB904_215 Depth=1
	s_or_b64 exec, exec, s[16:17]
.LBB904_286:                            ;   in Loop: Header=BB904_215 Depth=1
	s_or_b64 exec, exec, s[14:15]
.LBB904_287:                            ;   in Loop: Header=BB904_215 Depth=1
	s_or_b64 exec, exec, s[12:13]
	s_waitcnt vmcnt(0)
	v_cmp_ne_u16_sdwa s[14:15], v38, v54 src0_sel:BYTE_0 src1_sel:DWORD
	s_and_saveexec_b64 s[12:13], s[14:15]
	s_cbranch_execz .LBB904_293
; %bb.288:                              ;   in Loop: Header=BB904_215 Depth=1
	v_cmp_ne_u16_sdwa s[16:17], v38, s9 src0_sel:BYTE_0 src1_sel:DWORD
	v_mov_b32_e32 v59, 0xffff8000
	s_and_saveexec_b64 s[14:15], s[16:17]
	s_cbranch_execz .LBB904_292
; %bb.289:                              ;   in Loop: Header=BB904_215 Depth=1
	v_and_b32_e32 v40, 0x7f, v38
	v_cmp_ne_u32_e32 vcc, s21, v40
	v_mov_b32_e32 v59, 0x7f80
	s_and_saveexec_b64 s[16:17], vcc
	s_cbranch_execz .LBB904_291
; %bb.290:                              ;   in Loop: Header=BB904_215 Depth=1
	v_and_b32_e32 v42, 7, v38
	v_ffbh_u32_e32 v59, v42
	v_min_u32_e32 v59, 32, v59
	v_subrev_u32_e32 v61, 28, v59
	v_lshlrev_b64 v[62:63], v61, v[38:39]
	v_lshrrev_b32_e32 v56, 3, v40
	v_sub_u32_e32 v59, 29, v59
	v_and_b32_e32 v61, 7, v62
	v_cmp_gt_u32_e32 vcc, 8, v40
	v_cndmask_b32_e32 v40, v56, v59, vcc
	v_cndmask_b32_e32 v42, v42, v61, vcc
	v_lshlrev_b32_e32 v56, 24, v38
	v_lshlrev_b32_e32 v42, 20, v42
	v_and_b32_e32 v56, 0x80000000, v56
	v_lshl_add_u32 v40, v40, 23, v55
	v_or3_b32 v40, v56, v40, v42
	v_lshrrev_b32_e32 v59, 16, v40
.LBB904_291:                            ;   in Loop: Header=BB904_215 Depth=1
	s_or_b64 exec, exec, s[16:17]
.LBB904_292:                            ;   in Loop: Header=BB904_215 Depth=1
	s_or_b64 exec, exec, s[14:15]
.LBB904_293:                            ;   in Loop: Header=BB904_215 Depth=1
	s_or_b64 exec, exec, s[12:13]
	v_lshrrev_b16_e32 v40, 8, v38
	v_cmp_ne_u16_e32 vcc, 0, v40
	v_mov_b32_e32 v62, 0
	v_mov_b32_e32 v61, 0
	s_and_saveexec_b64 s[12:13], vcc
	s_cbranch_execz .LBB904_299
; %bb.294:                              ;   in Loop: Header=BB904_215 Depth=1
	v_cmp_ne_u16_e32 vcc, s9, v40
	v_mov_b32_e32 v61, 0xffff8000
	s_and_saveexec_b64 s[14:15], vcc
	s_cbranch_execz .LBB904_298
; %bb.295:                              ;   in Loop: Header=BB904_215 Depth=1
	v_and_b32_e32 v42, 0x7f, v40
	v_cmp_ne_u32_e32 vcc, s21, v42
	v_mov_b32_e32 v61, 0x7f80
	s_and_saveexec_b64 s[16:17], vcc
	s_cbranch_execz .LBB904_297
; %bb.296:                              ;   in Loop: Header=BB904_215 Depth=1
	v_and_b32_e32 v56, 7, v40
	v_ffbh_u32_e32 v63, v56
	v_min_u32_e32 v63, 32, v63
	v_subrev_u32_e32 v64, 28, v63
	v_lshlrev_b64 v[64:65], v64, v[40:41]
	v_lshrrev_b32_e32 v61, 3, v42
	v_sub_u32_e32 v40, 29, v63
	v_and_b32_e32 v63, 7, v64
	v_cmp_gt_u32_e32 vcc, 8, v42
	v_cndmask_b32_e32 v40, v61, v40, vcc
	v_cndmask_b32_e32 v42, v56, v63, vcc
	v_lshlrev_b32_e32 v56, 16, v38
	v_lshlrev_b32_e32 v42, 20, v42
	v_and_b32_e32 v56, 0x80000000, v56
	v_lshl_add_u32 v40, v40, 23, v55
	v_or3_b32 v40, v56, v40, v42
	v_lshrrev_b32_e32 v61, 16, v40
.LBB904_297:                            ;   in Loop: Header=BB904_215 Depth=1
	s_or_b64 exec, exec, s[16:17]
.LBB904_298:                            ;   in Loop: Header=BB904_215 Depth=1
	s_or_b64 exec, exec, s[14:15]
.LBB904_299:                            ;   in Loop: Header=BB904_215 Depth=1
	s_or_b64 exec, exec, s[12:13]
	v_lshrrev_b32_e32 v40, 16, v38
	v_cmp_ne_u16_sdwa s[14:15], v40, v54 src0_sel:BYTE_0 src1_sel:DWORD
	s_and_saveexec_b64 s[12:13], s[14:15]
	s_cbranch_execz .LBB904_305
; %bb.300:                              ;   in Loop: Header=BB904_215 Depth=1
	v_cmp_ne_u16_sdwa s[16:17], v40, s9 src0_sel:BYTE_0 src1_sel:DWORD
	v_mov_b32_e32 v62, 0xffff8000
	s_and_saveexec_b64 s[14:15], s[16:17]
	s_cbranch_execz .LBB904_304
; %bb.301:                              ;   in Loop: Header=BB904_215 Depth=1
	v_bfe_u32 v42, v38, 16, 7
	v_cmp_ne_u32_e32 vcc, s21, v42
	v_mov_b32_e32 v62, 0x7f80
	s_and_saveexec_b64 s[16:17], vcc
	s_cbranch_execz .LBB904_303
; %bb.302:                              ;   in Loop: Header=BB904_215 Depth=1
	v_and_b32_e32 v56, 7, v40
	v_ffbh_u32_e32 v62, v56
	v_min_u32_e32 v65, 32, v62
	v_subrev_u32_e32 v62, 28, v65
	v_lshlrev_b64 v[62:63], v62, v[40:41]
	v_lshrrev_b32_e32 v64, 3, v42
	v_sub_u32_e32 v63, 29, v65
	v_and_b32_e32 v62, 7, v62
	v_cmp_gt_u32_e32 vcc, 8, v42
	v_cndmask_b32_e32 v42, v64, v63, vcc
	v_cndmask_b32_e32 v56, v56, v62, vcc
	v_lshlrev_b32_e32 v40, 24, v40
	v_lshlrev_b32_e32 v56, 20, v56
	v_and_b32_e32 v40, 0x80000000, v40
	v_lshl_add_u32 v42, v42, 23, v55
	v_or3_b32 v40, v40, v42, v56
	v_lshrrev_b32_e32 v62, 16, v40
.LBB904_303:                            ;   in Loop: Header=BB904_215 Depth=1
	s_or_b64 exec, exec, s[16:17]
.LBB904_304:                            ;   in Loop: Header=BB904_215 Depth=1
	s_or_b64 exec, exec, s[14:15]
.LBB904_305:                            ;   in Loop: Header=BB904_215 Depth=1
	s_or_b64 exec, exec, s[12:13]
	v_cmp_lt_u32_e32 vcc, s22, v38
	v_mov_b32_e32 v56, 0
	v_mov_b32_e32 v63, 0
	s_and_saveexec_b64 s[12:13], vcc
	s_cbranch_execz .LBB904_311
; %bb.306:                              ;   in Loop: Header=BB904_215 Depth=1
	v_lshrrev_b32_e32 v40, 24, v38
	v_cmp_ne_u32_e32 vcc, s9, v40
	v_mov_b32_e32 v63, 0xffff8000
	s_and_saveexec_b64 s[14:15], vcc
	s_cbranch_execz .LBB904_310
; %bb.307:                              ;   in Loop: Header=BB904_215 Depth=1
	v_bfe_u32 v38, v38, 24, 7
	v_cmp_ne_u32_e32 vcc, s21, v38
	v_mov_b32_e32 v63, 0x7f80
	s_and_saveexec_b64 s[16:17], vcc
	s_cbranch_execz .LBB904_309
; %bb.308:                              ;   in Loop: Header=BB904_215 Depth=1
	v_and_b32_e32 v42, 7, v40
	v_ffbh_u32_e32 v64, v42
	v_min_u32_e32 v66, 32, v64
	v_subrev_u32_e32 v64, 28, v66
	v_lshlrev_b64 v[64:65], v64, v[40:41]
	v_lshrrev_b32_e32 v63, 3, v38
	v_sub_u32_e32 v65, 29, v66
	v_and_b32_e32 v64, 7, v64
	v_cmp_gt_u32_e32 vcc, 8, v38
	v_cndmask_b32_e32 v38, v63, v65, vcc
	v_cndmask_b32_e32 v42, v42, v64, vcc
	v_lshlrev_b32_e32 v40, 24, v40
	v_lshlrev_b32_e32 v42, 20, v42
	v_and_b32_e32 v40, 0x80000000, v40
	v_lshl_add_u32 v38, v38, 23, v55
	v_or3_b32 v38, v40, v38, v42
	v_lshrrev_b32_e32 v63, 16, v38
.LBB904_309:                            ;   in Loop: Header=BB904_215 Depth=1
	s_or_b64 exec, exec, s[16:17]
.LBB904_310:                            ;   in Loop: Header=BB904_215 Depth=1
	s_or_b64 exec, exec, s[14:15]
.LBB904_311:                            ;   in Loop: Header=BB904_215 Depth=1
	s_or_b64 exec, exec, s[12:13]
	v_perm_b32 v64, v57, v44, s23
	buffer_load_dword v44, v46, s[0:3], 0 offen
	buffer_load_dword v42, v46, s[0:3], 0 offen offset:4
	buffer_load_dword v40, v46, s[0:3], 0 offen offset:8
	;; [unrolled: 1-line block ×3, first 2 shown]
	v_perm_b32 v65, v60, v58, s23
	v_perm_b32 v63, v63, v62, s23
	;; [unrolled: 1-line block ×3, first 2 shown]
	v_mfma_f32_16x16x16bf16_1k v[34:37], v[64:65], v[6:7], v[34:37]
	s_waitcnt vmcnt(3)
	v_cmp_ne_u16_sdwa s[14:15], v44, v54 src0_sel:BYTE_0 src1_sel:DWORD
	v_mfma_f32_16x16x16bf16_1k v[34:37], v[62:63], v[8:9], v[34:37]
	s_and_saveexec_b64 s[12:13], s[14:15]
	s_cbranch_execz .LBB904_317
; %bb.312:                              ;   in Loop: Header=BB904_215 Depth=1
	v_cmp_ne_u16_sdwa s[16:17], v44, s9 src0_sel:BYTE_0 src1_sel:DWORD
	v_mov_b32_e32 v56, 0xffff8000
	s_and_saveexec_b64 s[14:15], s[16:17]
	s_cbranch_execz .LBB904_316
; %bb.313:                              ;   in Loop: Header=BB904_215 Depth=1
	v_and_b32_e32 v46, 0x7f, v44
	v_cmp_ne_u32_e32 vcc, s21, v46
	v_mov_b32_e32 v56, 0x7f80
	s_and_saveexec_b64 s[16:17], vcc
	s_cbranch_execz .LBB904_315
; %bb.314:                              ;   in Loop: Header=BB904_215 Depth=1
	v_and_b32_e32 v58, 7, v44
	v_ffbh_u32_e32 v56, v58
	v_min_u32_e32 v60, 32, v56
	v_subrev_u32_e32 v56, 28, v60
	v_lshlrev_b64 v[56:57], v56, v[44:45]
	v_lshrrev_b32_e32 v59, 3, v46
	v_sub_u32_e32 v57, 29, v60
	v_and_b32_e32 v56, 7, v56
	v_cmp_gt_u32_e32 vcc, 8, v46
	v_cndmask_b32_e32 v46, v59, v57, vcc
	v_cndmask_b32_e32 v56, v58, v56, vcc
	v_lshlrev_b32_e32 v57, 24, v44
	v_lshlrev_b32_e32 v56, 20, v56
	v_and_b32_e32 v57, 0x80000000, v57
	v_lshl_add_u32 v46, v46, 23, v55
	v_or3_b32 v46, v57, v46, v56
	v_lshrrev_b32_e32 v56, 16, v46
.LBB904_315:                            ;   in Loop: Header=BB904_215 Depth=1
	s_or_b64 exec, exec, s[16:17]
.LBB904_316:                            ;   in Loop: Header=BB904_215 Depth=1
	s_or_b64 exec, exec, s[14:15]
.LBB904_317:                            ;   in Loop: Header=BB904_215 Depth=1
	s_or_b64 exec, exec, s[12:13]
	v_lshrrev_b16_e32 v46, 8, v44
	v_cmp_ne_u16_e32 vcc, 0, v46
	v_mov_b32_e32 v58, 0
	v_mov_b32_e32 v57, 0
	s_and_saveexec_b64 s[12:13], vcc
	s_cbranch_execz .LBB904_323
; %bb.318:                              ;   in Loop: Header=BB904_215 Depth=1
	v_cmp_ne_u16_e32 vcc, s9, v46
	v_mov_b32_e32 v57, 0xffff8000
	s_and_saveexec_b64 s[14:15], vcc
	s_cbranch_execz .LBB904_322
; %bb.319:                              ;   in Loop: Header=BB904_215 Depth=1
	v_and_b32_e32 v59, 0x7f, v46
	v_cmp_ne_u32_e32 vcc, s21, v59
	v_mov_b32_e32 v57, 0x7f80
	s_and_saveexec_b64 s[16:17], vcc
	s_cbranch_execz .LBB904_321
; %bb.320:                              ;   in Loop: Header=BB904_215 Depth=1
	v_and_b32_e32 v57, 7, v46
	v_ffbh_u32_e32 v60, v57
	v_min_u32_e32 v63, 32, v60
	v_subrev_u32_e32 v60, 28, v63
	v_lshlrev_b64 v[60:61], v60, v[46:47]
	v_lshrrev_b32_e32 v62, 3, v59
	v_sub_u32_e32 v46, 29, v63
	v_and_b32_e32 v60, 7, v60
	v_cmp_gt_u32_e32 vcc, 8, v59
	v_cndmask_b32_e32 v46, v62, v46, vcc
	v_cndmask_b32_e32 v57, v57, v60, vcc
	v_lshlrev_b32_e32 v59, 16, v44
	v_lshlrev_b32_e32 v57, 20, v57
	v_and_b32_e32 v59, 0x80000000, v59
	v_lshl_add_u32 v46, v46, 23, v55
	v_or3_b32 v46, v59, v46, v57
	v_lshrrev_b32_e32 v57, 16, v46
.LBB904_321:                            ;   in Loop: Header=BB904_215 Depth=1
	s_or_b64 exec, exec, s[16:17]
.LBB904_322:                            ;   in Loop: Header=BB904_215 Depth=1
	s_or_b64 exec, exec, s[14:15]
.LBB904_323:                            ;   in Loop: Header=BB904_215 Depth=1
	s_or_b64 exec, exec, s[12:13]
	v_lshrrev_b32_e32 v46, 16, v44
	v_cmp_ne_u16_sdwa s[14:15], v46, v54 src0_sel:BYTE_0 src1_sel:DWORD
	s_and_saveexec_b64 s[12:13], s[14:15]
	s_cbranch_execz .LBB904_329
; %bb.324:                              ;   in Loop: Header=BB904_215 Depth=1
	v_cmp_ne_u16_sdwa s[16:17], v46, s9 src0_sel:BYTE_0 src1_sel:DWORD
	v_mov_b32_e32 v58, 0xffff8000
	s_and_saveexec_b64 s[14:15], s[16:17]
	s_cbranch_execz .LBB904_328
; %bb.325:                              ;   in Loop: Header=BB904_215 Depth=1
	v_bfe_u32 v59, v44, 16, 7
	v_cmp_ne_u32_e32 vcc, s21, v59
	v_mov_b32_e32 v58, 0x7f80
	s_and_saveexec_b64 s[16:17], vcc
	s_cbranch_execz .LBB904_327
; %bb.326:                              ;   in Loop: Header=BB904_215 Depth=1
	v_and_b32_e32 v58, 7, v46
	v_ffbh_u32_e32 v60, v58
	v_min_u32_e32 v63, 32, v60
	v_subrev_u32_e32 v60, 28, v63
	v_lshlrev_b64 v[60:61], v60, v[46:47]
	v_lshrrev_b32_e32 v62, 3, v59
	v_sub_u32_e32 v61, 29, v63
	v_and_b32_e32 v60, 7, v60
	v_cmp_gt_u32_e32 vcc, 8, v59
	v_cndmask_b32_e32 v59, v62, v61, vcc
	v_cndmask_b32_e32 v58, v58, v60, vcc
	v_lshlrev_b32_e32 v46, 24, v46
	v_lshlrev_b32_e32 v58, 20, v58
	v_and_b32_e32 v46, 0x80000000, v46
	v_lshl_add_u32 v59, v59, 23, v55
	v_or3_b32 v46, v46, v59, v58
	v_lshrrev_b32_e32 v58, 16, v46
.LBB904_327:                            ;   in Loop: Header=BB904_215 Depth=1
	s_or_b64 exec, exec, s[16:17]
.LBB904_328:                            ;   in Loop: Header=BB904_215 Depth=1
	s_or_b64 exec, exec, s[14:15]
.LBB904_329:                            ;   in Loop: Header=BB904_215 Depth=1
	s_or_b64 exec, exec, s[12:13]
	v_cmp_lt_u32_e32 vcc, s22, v44
	v_mov_b32_e32 v59, 0
	v_mov_b32_e32 v60, 0
	s_and_saveexec_b64 s[12:13], vcc
	s_cbranch_execz .LBB904_335
; %bb.330:                              ;   in Loop: Header=BB904_215 Depth=1
	v_lshrrev_b32_e32 v46, 24, v44
	v_cmp_ne_u32_e32 vcc, s9, v46
	v_mov_b32_e32 v60, 0xffff8000
	s_and_saveexec_b64 s[14:15], vcc
	s_cbranch_execz .LBB904_334
; %bb.331:                              ;   in Loop: Header=BB904_215 Depth=1
	v_bfe_u32 v44, v44, 24, 7
	v_cmp_ne_u32_e32 vcc, s21, v44
	v_mov_b32_e32 v60, 0x7f80
	s_and_saveexec_b64 s[16:17], vcc
	s_cbranch_execz .LBB904_333
; %bb.332:                              ;   in Loop: Header=BB904_215 Depth=1
	v_and_b32_e32 v62, 7, v46
	v_ffbh_u32_e32 v60, v62
	v_min_u32_e32 v64, 32, v60
	v_subrev_u32_e32 v60, 28, v64
	v_lshlrev_b64 v[60:61], v60, v[46:47]
	v_lshrrev_b32_e32 v63, 3, v44
	v_sub_u32_e32 v61, 29, v64
	v_and_b32_e32 v60, 7, v60
	v_cmp_gt_u32_e32 vcc, 8, v44
	v_cndmask_b32_e32 v44, v63, v61, vcc
	v_cndmask_b32_e32 v60, v62, v60, vcc
	v_lshlrev_b32_e32 v46, 24, v46
	v_lshlrev_b32_e32 v60, 20, v60
	v_and_b32_e32 v46, 0x80000000, v46
	v_lshl_add_u32 v44, v44, 23, v55
	v_or3_b32 v44, v46, v44, v60
	v_lshrrev_b32_e32 v60, 16, v44
.LBB904_333:                            ;   in Loop: Header=BB904_215 Depth=1
	s_or_b64 exec, exec, s[16:17]
.LBB904_334:                            ;   in Loop: Header=BB904_215 Depth=1
	s_or_b64 exec, exec, s[14:15]
.LBB904_335:                            ;   in Loop: Header=BB904_215 Depth=1
	s_or_b64 exec, exec, s[12:13]
	s_waitcnt vmcnt(2)
	v_cmp_ne_u16_sdwa s[14:15], v42, v54 src0_sel:BYTE_0 src1_sel:DWORD
	s_and_saveexec_b64 s[12:13], s[14:15]
	s_cbranch_execz .LBB904_341
; %bb.336:                              ;   in Loop: Header=BB904_215 Depth=1
	v_cmp_ne_u16_sdwa s[16:17], v42, s9 src0_sel:BYTE_0 src1_sel:DWORD
	v_mov_b32_e32 v59, 0xffff8000
	s_and_saveexec_b64 s[14:15], s[16:17]
	s_cbranch_execz .LBB904_340
; %bb.337:                              ;   in Loop: Header=BB904_215 Depth=1
	v_and_b32_e32 v44, 0x7f, v42
	v_cmp_ne_u32_e32 vcc, s21, v44
	v_mov_b32_e32 v59, 0x7f80
	s_and_saveexec_b64 s[16:17], vcc
	s_cbranch_execz .LBB904_339
; %bb.338:                              ;   in Loop: Header=BB904_215 Depth=1
	v_and_b32_e32 v46, 7, v42
	v_ffbh_u32_e32 v61, v46
	v_min_u32_e32 v61, 32, v61
	v_subrev_u32_e32 v62, 28, v61
	v_lshlrev_b64 v[62:63], v62, v[42:43]
	v_lshrrev_b32_e32 v59, 3, v44
	v_sub_u32_e32 v61, 29, v61
	v_and_b32_e32 v62, 7, v62
	v_cmp_gt_u32_e32 vcc, 8, v44
	v_cndmask_b32_e32 v44, v59, v61, vcc
	v_cndmask_b32_e32 v46, v46, v62, vcc
	v_lshlrev_b32_e32 v59, 24, v42
	v_lshlrev_b32_e32 v46, 20, v46
	v_and_b32_e32 v59, 0x80000000, v59
	v_lshl_add_u32 v44, v44, 23, v55
	v_or3_b32 v44, v59, v44, v46
	v_lshrrev_b32_e32 v59, 16, v44
.LBB904_339:                            ;   in Loop: Header=BB904_215 Depth=1
	s_or_b64 exec, exec, s[16:17]
.LBB904_340:                            ;   in Loop: Header=BB904_215 Depth=1
	s_or_b64 exec, exec, s[14:15]
.LBB904_341:                            ;   in Loop: Header=BB904_215 Depth=1
	s_or_b64 exec, exec, s[12:13]
	v_lshrrev_b16_e32 v44, 8, v42
	v_cmp_ne_u16_e32 vcc, 0, v44
	v_mov_b32_e32 v62, 0
	v_mov_b32_e32 v61, 0
	s_and_saveexec_b64 s[12:13], vcc
	s_cbranch_execz .LBB904_347
; %bb.342:                              ;   in Loop: Header=BB904_215 Depth=1
	v_cmp_ne_u16_e32 vcc, s9, v44
	v_mov_b32_e32 v61, 0xffff8000
	s_and_saveexec_b64 s[14:15], vcc
	s_cbranch_execz .LBB904_346
; %bb.343:                              ;   in Loop: Header=BB904_215 Depth=1
	v_and_b32_e32 v46, 0x7f, v44
	v_cmp_ne_u32_e32 vcc, s21, v46
	v_mov_b32_e32 v61, 0x7f80
	s_and_saveexec_b64 s[16:17], vcc
	s_cbranch_execz .LBB904_345
; %bb.344:                              ;   in Loop: Header=BB904_215 Depth=1
	v_and_b32_e32 v61, 7, v44
	v_ffbh_u32_e32 v64, v61
	v_min_u32_e32 v66, 32, v64
	v_subrev_u32_e32 v64, 28, v66
	v_lshlrev_b64 v[64:65], v64, v[44:45]
	v_lshrrev_b32_e32 v63, 3, v46
	v_sub_u32_e32 v44, 29, v66
	v_and_b32_e32 v64, 7, v64
	v_cmp_gt_u32_e32 vcc, 8, v46
	v_cndmask_b32_e32 v44, v63, v44, vcc
	v_cndmask_b32_e32 v46, v61, v64, vcc
	v_lshlrev_b32_e32 v61, 16, v42
	v_lshlrev_b32_e32 v46, 20, v46
	v_and_b32_e32 v61, 0x80000000, v61
	v_lshl_add_u32 v44, v44, 23, v55
	v_or3_b32 v44, v61, v44, v46
	v_lshrrev_b32_e32 v61, 16, v44
.LBB904_345:                            ;   in Loop: Header=BB904_215 Depth=1
	s_or_b64 exec, exec, s[16:17]
.LBB904_346:                            ;   in Loop: Header=BB904_215 Depth=1
	s_or_b64 exec, exec, s[14:15]
.LBB904_347:                            ;   in Loop: Header=BB904_215 Depth=1
	s_or_b64 exec, exec, s[12:13]
	v_lshrrev_b32_e32 v44, 16, v42
	v_cmp_ne_u16_sdwa s[14:15], v44, v54 src0_sel:BYTE_0 src1_sel:DWORD
	s_and_saveexec_b64 s[12:13], s[14:15]
	s_cbranch_execz .LBB904_353
; %bb.348:                              ;   in Loop: Header=BB904_215 Depth=1
	v_cmp_ne_u16_sdwa s[16:17], v44, s9 src0_sel:BYTE_0 src1_sel:DWORD
	v_mov_b32_e32 v62, 0xffff8000
	s_and_saveexec_b64 s[14:15], s[16:17]
	s_cbranch_execz .LBB904_352
; %bb.349:                              ;   in Loop: Header=BB904_215 Depth=1
	v_bfe_u32 v46, v42, 16, 7
	v_cmp_ne_u32_e32 vcc, s21, v46
	v_mov_b32_e32 v62, 0x7f80
	s_and_saveexec_b64 s[16:17], vcc
	s_cbranch_execz .LBB904_351
; %bb.350:                              ;   in Loop: Header=BB904_215 Depth=1
	v_and_b32_e32 v64, 7, v44
	v_ffbh_u32_e32 v62, v64
	v_min_u32_e32 v66, 32, v62
	v_subrev_u32_e32 v62, 28, v66
	v_lshlrev_b64 v[62:63], v62, v[44:45]
	v_lshrrev_b32_e32 v65, 3, v46
	v_sub_u32_e32 v63, 29, v66
	v_and_b32_e32 v62, 7, v62
	v_cmp_gt_u32_e32 vcc, 8, v46
	v_cndmask_b32_e32 v46, v65, v63, vcc
	v_cndmask_b32_e32 v62, v64, v62, vcc
	v_lshlrev_b32_e32 v44, 24, v44
	v_lshlrev_b32_e32 v62, 20, v62
	v_and_b32_e32 v44, 0x80000000, v44
	v_lshl_add_u32 v46, v46, 23, v55
	v_or3_b32 v44, v44, v46, v62
	v_lshrrev_b32_e32 v62, 16, v44
.LBB904_351:                            ;   in Loop: Header=BB904_215 Depth=1
	s_or_b64 exec, exec, s[16:17]
.LBB904_352:                            ;   in Loop: Header=BB904_215 Depth=1
	s_or_b64 exec, exec, s[14:15]
.LBB904_353:                            ;   in Loop: Header=BB904_215 Depth=1
	s_or_b64 exec, exec, s[12:13]
	v_cmp_lt_u32_e32 vcc, s22, v42
	v_mov_b32_e32 v46, 0
	v_mov_b32_e32 v63, 0
	s_and_saveexec_b64 s[12:13], vcc
	s_cbranch_execz .LBB904_359
; %bb.354:                              ;   in Loop: Header=BB904_215 Depth=1
	v_lshrrev_b32_e32 v44, 24, v42
	v_cmp_ne_u32_e32 vcc, s9, v44
	v_mov_b32_e32 v63, 0xffff8000
	s_and_saveexec_b64 s[14:15], vcc
	s_cbranch_execz .LBB904_358
; %bb.355:                              ;   in Loop: Header=BB904_215 Depth=1
	v_bfe_u32 v42, v42, 24, 7
	v_cmp_ne_u32_e32 vcc, s21, v42
	v_mov_b32_e32 v63, 0x7f80
	s_and_saveexec_b64 s[16:17], vcc
	s_cbranch_execz .LBB904_357
; %bb.356:                              ;   in Loop: Header=BB904_215 Depth=1
	v_and_b32_e32 v63, 7, v44
	v_ffbh_u32_e32 v64, v63
	v_min_u32_e32 v67, 32, v64
	v_subrev_u32_e32 v64, 28, v67
	v_lshlrev_b64 v[64:65], v64, v[44:45]
	v_lshrrev_b32_e32 v66, 3, v42
	v_sub_u32_e32 v65, 29, v67
	v_and_b32_e32 v64, 7, v64
	v_cmp_gt_u32_e32 vcc, 8, v42
	v_cndmask_b32_e32 v42, v66, v65, vcc
	v_cndmask_b32_e32 v63, v63, v64, vcc
	v_lshlrev_b32_e32 v44, 24, v44
	v_lshlrev_b32_e32 v63, 20, v63
	v_and_b32_e32 v44, 0x80000000, v44
	v_lshl_add_u32 v42, v42, 23, v55
	v_or3_b32 v42, v44, v42, v63
	v_lshrrev_b32_e32 v63, 16, v42
.LBB904_357:                            ;   in Loop: Header=BB904_215 Depth=1
	s_or_b64 exec, exec, s[16:17]
.LBB904_358:                            ;   in Loop: Header=BB904_215 Depth=1
	s_or_b64 exec, exec, s[14:15]
.LBB904_359:                            ;   in Loop: Header=BB904_215 Depth=1
	s_or_b64 exec, exec, s[12:13]
	v_perm_b32 v65, v60, v58, s23
	v_perm_b32 v64, v57, v56, s23
	;; [unrolled: 1-line block ×4, first 2 shown]
	s_waitcnt vmcnt(1)
	v_cmp_ne_u16_sdwa s[14:15], v40, v54 src0_sel:BYTE_0 src1_sel:DWORD
	v_mfma_f32_16x16x16bf16_1k v[34:37], v[64:65], v[10:11], v[34:37]
	v_mfma_f32_16x16x16bf16_1k v[34:37], v[56:57], v[12:13], v[34:37]
	s_and_saveexec_b64 s[12:13], s[14:15]
	s_cbranch_execz .LBB904_365
; %bb.360:                              ;   in Loop: Header=BB904_215 Depth=1
	v_cmp_ne_u16_sdwa s[16:17], v40, s9 src0_sel:BYTE_0 src1_sel:DWORD
	v_mov_b32_e32 v46, 0xffff8000
	s_and_saveexec_b64 s[14:15], s[16:17]
	s_cbranch_execz .LBB904_364
; %bb.361:                              ;   in Loop: Header=BB904_215 Depth=1
	v_and_b32_e32 v42, 0x7f, v40
	v_cmp_ne_u32_e32 vcc, s21, v42
	v_mov_b32_e32 v46, 0x7f80
	s_and_saveexec_b64 s[16:17], vcc
	s_cbranch_execz .LBB904_363
; %bb.362:                              ;   in Loop: Header=BB904_215 Depth=1
	v_and_b32_e32 v44, 7, v40
	v_ffbh_u32_e32 v56, v44
	v_min_u32_e32 v58, 32, v56
	v_subrev_u32_e32 v56, 28, v58
	v_lshlrev_b64 v[56:57], v56, v[40:41]
	v_lshrrev_b32_e32 v46, 3, v42
	v_sub_u32_e32 v57, 29, v58
	v_and_b32_e32 v56, 7, v56
	v_cmp_gt_u32_e32 vcc, 8, v42
	v_cndmask_b32_e32 v42, v46, v57, vcc
	v_cndmask_b32_e32 v44, v44, v56, vcc
	v_lshlrev_b32_e32 v46, 24, v40
	v_lshlrev_b32_e32 v44, 20, v44
	v_and_b32_e32 v46, 0x80000000, v46
	v_lshl_add_u32 v42, v42, 23, v55
	v_or3_b32 v42, v46, v42, v44
	v_lshrrev_b32_e32 v46, 16, v42
.LBB904_363:                            ;   in Loop: Header=BB904_215 Depth=1
	s_or_b64 exec, exec, s[16:17]
.LBB904_364:                            ;   in Loop: Header=BB904_215 Depth=1
	s_or_b64 exec, exec, s[14:15]
.LBB904_365:                            ;   in Loop: Header=BB904_215 Depth=1
	s_or_b64 exec, exec, s[12:13]
	v_lshrrev_b16_e32 v42, 8, v40
	v_cmp_ne_u16_e32 vcc, 0, v42
	v_mov_b32_e32 v57, 0
	v_mov_b32_e32 v44, 0
	s_and_saveexec_b64 s[12:13], vcc
	s_cbranch_execz .LBB904_371
; %bb.366:                              ;   in Loop: Header=BB904_215 Depth=1
	v_cmp_ne_u16_e32 vcc, s9, v42
	v_mov_b32_e32 v44, 0xffff8000
	s_and_saveexec_b64 s[14:15], vcc
	s_cbranch_execz .LBB904_370
; %bb.367:                              ;   in Loop: Header=BB904_215 Depth=1
	v_and_b32_e32 v56, 0x7f, v42
	v_cmp_ne_u32_e32 vcc, s21, v56
	v_mov_b32_e32 v44, 0x7f80
	s_and_saveexec_b64 s[16:17], vcc
	s_cbranch_execz .LBB904_369
; %bb.368:                              ;   in Loop: Header=BB904_215 Depth=1
	v_and_b32_e32 v44, 7, v42
	v_ffbh_u32_e32 v58, v44
	v_min_u32_e32 v61, 32, v58
	v_subrev_u32_e32 v58, 28, v61
	v_lshlrev_b64 v[58:59], v58, v[42:43]
	v_lshrrev_b32_e32 v60, 3, v56
	v_sub_u32_e32 v42, 29, v61
	v_and_b32_e32 v58, 7, v58
	v_cmp_gt_u32_e32 vcc, 8, v56
	v_cndmask_b32_e32 v42, v60, v42, vcc
	v_cndmask_b32_e32 v44, v44, v58, vcc
	v_lshlrev_b32_e32 v56, 16, v40
	v_lshlrev_b32_e32 v44, 20, v44
	v_and_b32_e32 v56, 0x80000000, v56
	v_lshl_add_u32 v42, v42, 23, v55
	v_or3_b32 v42, v56, v42, v44
	v_lshrrev_b32_e32 v44, 16, v42
.LBB904_369:                            ;   in Loop: Header=BB904_215 Depth=1
	s_or_b64 exec, exec, s[16:17]
.LBB904_370:                            ;   in Loop: Header=BB904_215 Depth=1
	s_or_b64 exec, exec, s[14:15]
.LBB904_371:                            ;   in Loop: Header=BB904_215 Depth=1
	s_or_b64 exec, exec, s[12:13]
	v_lshrrev_b32_e32 v42, 16, v40
	v_cmp_ne_u16_sdwa s[14:15], v42, v54 src0_sel:BYTE_0 src1_sel:DWORD
	s_and_saveexec_b64 s[12:13], s[14:15]
	s_cbranch_execz .LBB904_377
; %bb.372:                              ;   in Loop: Header=BB904_215 Depth=1
	v_cmp_ne_u16_sdwa s[16:17], v42, s9 src0_sel:BYTE_0 src1_sel:DWORD
	v_mov_b32_e32 v57, 0xffff8000
	s_and_saveexec_b64 s[14:15], s[16:17]
	s_cbranch_execz .LBB904_376
; %bb.373:                              ;   in Loop: Header=BB904_215 Depth=1
	v_bfe_u32 v56, v40, 16, 7
	v_cmp_ne_u32_e32 vcc, s21, v56
	v_mov_b32_e32 v57, 0x7f80
	s_and_saveexec_b64 s[16:17], vcc
	s_cbranch_execz .LBB904_375
; %bb.374:                              ;   in Loop: Header=BB904_215 Depth=1
	v_and_b32_e32 v57, 7, v42
	v_ffbh_u32_e32 v58, v57
	v_min_u32_e32 v61, 32, v58
	v_subrev_u32_e32 v58, 28, v61
	v_lshlrev_b64 v[58:59], v58, v[42:43]
	v_lshrrev_b32_e32 v60, 3, v56
	v_sub_u32_e32 v59, 29, v61
	v_and_b32_e32 v58, 7, v58
	v_cmp_gt_u32_e32 vcc, 8, v56
	v_cndmask_b32_e32 v56, v60, v59, vcc
	v_cndmask_b32_e32 v57, v57, v58, vcc
	v_lshlrev_b32_e32 v42, 24, v42
	v_lshlrev_b32_e32 v57, 20, v57
	v_and_b32_e32 v42, 0x80000000, v42
	v_lshl_add_u32 v56, v56, 23, v55
	v_or3_b32 v42, v42, v56, v57
	v_lshrrev_b32_e32 v57, 16, v42
.LBB904_375:                            ;   in Loop: Header=BB904_215 Depth=1
	s_or_b64 exec, exec, s[16:17]
.LBB904_376:                            ;   in Loop: Header=BB904_215 Depth=1
	s_or_b64 exec, exec, s[14:15]
.LBB904_377:                            ;   in Loop: Header=BB904_215 Depth=1
	s_or_b64 exec, exec, s[12:13]
	v_cmp_lt_u32_e32 vcc, s22, v40
	v_mov_b32_e32 v58, 0
	v_mov_b32_e32 v59, 0
	s_and_saveexec_b64 s[12:13], vcc
	s_cbranch_execz .LBB904_383
; %bb.378:                              ;   in Loop: Header=BB904_215 Depth=1
	v_lshrrev_b32_e32 v42, 24, v40
	v_cmp_ne_u32_e32 vcc, s9, v42
	v_mov_b32_e32 v59, 0xffff8000
	s_and_saveexec_b64 s[14:15], vcc
	s_cbranch_execz .LBB904_382
; %bb.379:                              ;   in Loop: Header=BB904_215 Depth=1
	v_bfe_u32 v40, v40, 24, 7
	v_cmp_ne_u32_e32 vcc, s21, v40
	v_mov_b32_e32 v59, 0x7f80
	s_and_saveexec_b64 s[16:17], vcc
	s_cbranch_execz .LBB904_381
; %bb.380:                              ;   in Loop: Header=BB904_215 Depth=1
	v_and_b32_e32 v56, 7, v42
	v_ffbh_u32_e32 v60, v56
	v_min_u32_e32 v62, 32, v60
	v_subrev_u32_e32 v60, 28, v62
	v_lshlrev_b64 v[60:61], v60, v[42:43]
	v_lshrrev_b32_e32 v59, 3, v40
	v_sub_u32_e32 v61, 29, v62
	v_and_b32_e32 v60, 7, v60
	v_cmp_gt_u32_e32 vcc, 8, v40
	v_cndmask_b32_e32 v40, v59, v61, vcc
	v_cndmask_b32_e32 v56, v56, v60, vcc
	v_lshlrev_b32_e32 v42, 24, v42
	v_lshlrev_b32_e32 v56, 20, v56
	v_and_b32_e32 v42, 0x80000000, v42
	v_lshl_add_u32 v40, v40, 23, v55
	v_or3_b32 v40, v42, v40, v56
	v_lshrrev_b32_e32 v59, 16, v40
.LBB904_381:                            ;   in Loop: Header=BB904_215 Depth=1
	s_or_b64 exec, exec, s[16:17]
.LBB904_382:                            ;   in Loop: Header=BB904_215 Depth=1
	s_or_b64 exec, exec, s[14:15]
.LBB904_383:                            ;   in Loop: Header=BB904_215 Depth=1
	s_or_b64 exec, exec, s[12:13]
	s_waitcnt vmcnt(0)
	v_cmp_ne_u16_sdwa s[14:15], v38, v54 src0_sel:BYTE_0 src1_sel:DWORD
	s_and_saveexec_b64 s[12:13], s[14:15]
	s_cbranch_execz .LBB904_389
; %bb.384:                              ;   in Loop: Header=BB904_215 Depth=1
	v_cmp_ne_u16_sdwa s[16:17], v38, s9 src0_sel:BYTE_0 src1_sel:DWORD
	v_mov_b32_e32 v58, 0xffff8000
	s_and_saveexec_b64 s[14:15], s[16:17]
	s_cbranch_execz .LBB904_388
; %bb.385:                              ;   in Loop: Header=BB904_215 Depth=1
	v_and_b32_e32 v40, 0x7f, v38
	v_cmp_ne_u32_e32 vcc, s21, v40
	v_mov_b32_e32 v58, 0x7f80
	s_and_saveexec_b64 s[16:17], vcc
	s_cbranch_execz .LBB904_387
; %bb.386:                              ;   in Loop: Header=BB904_215 Depth=1
	v_and_b32_e32 v42, 7, v38
	v_ffbh_u32_e32 v58, v42
	v_min_u32_e32 v58, 32, v58
	v_subrev_u32_e32 v60, 28, v58
	v_lshlrev_b64 v[60:61], v60, v[38:39]
	v_lshrrev_b32_e32 v56, 3, v40
	v_sub_u32_e32 v58, 29, v58
	v_and_b32_e32 v60, 7, v60
	v_cmp_gt_u32_e32 vcc, 8, v40
	v_cndmask_b32_e32 v40, v56, v58, vcc
	v_cndmask_b32_e32 v42, v42, v60, vcc
	v_lshlrev_b32_e32 v56, 24, v38
	v_lshlrev_b32_e32 v42, 20, v42
	v_and_b32_e32 v56, 0x80000000, v56
	v_lshl_add_u32 v40, v40, 23, v55
	v_or3_b32 v40, v56, v40, v42
	v_lshrrev_b32_e32 v58, 16, v40
.LBB904_387:                            ;   in Loop: Header=BB904_215 Depth=1
	s_or_b64 exec, exec, s[16:17]
.LBB904_388:                            ;   in Loop: Header=BB904_215 Depth=1
	s_or_b64 exec, exec, s[14:15]
.LBB904_389:                            ;   in Loop: Header=BB904_215 Depth=1
	s_or_b64 exec, exec, s[12:13]
	v_lshrrev_b16_e32 v40, 8, v38
	v_cmp_ne_u16_e32 vcc, 0, v40
	v_mov_b32_e32 v61, 0
	v_mov_b32_e32 v60, 0
	s_and_saveexec_b64 s[12:13], vcc
	s_cbranch_execz .LBB904_395
; %bb.390:                              ;   in Loop: Header=BB904_215 Depth=1
	v_cmp_ne_u16_e32 vcc, s9, v40
	v_mov_b32_e32 v60, 0xffff8000
	s_and_saveexec_b64 s[14:15], vcc
	s_cbranch_execz .LBB904_394
; %bb.391:                              ;   in Loop: Header=BB904_215 Depth=1
	v_and_b32_e32 v42, 0x7f, v40
	v_cmp_ne_u32_e32 vcc, s21, v42
	v_mov_b32_e32 v60, 0x7f80
	s_and_saveexec_b64 s[16:17], vcc
	s_cbranch_execz .LBB904_393
; %bb.392:                              ;   in Loop: Header=BB904_215 Depth=1
	v_and_b32_e32 v56, 7, v40
	v_ffbh_u32_e32 v62, v56
	v_min_u32_e32 v64, 32, v62
	v_subrev_u32_e32 v62, 28, v64
	v_lshlrev_b64 v[62:63], v62, v[40:41]
	v_lshrrev_b32_e32 v60, 3, v42
	v_sub_u32_e32 v40, 29, v64
	v_and_b32_e32 v62, 7, v62
	v_cmp_gt_u32_e32 vcc, 8, v42
	v_cndmask_b32_e32 v40, v60, v40, vcc
	v_cndmask_b32_e32 v42, v56, v62, vcc
	v_lshlrev_b32_e32 v56, 16, v38
	v_lshlrev_b32_e32 v42, 20, v42
	v_and_b32_e32 v56, 0x80000000, v56
	v_lshl_add_u32 v40, v40, 23, v55
	v_or3_b32 v40, v56, v40, v42
	v_lshrrev_b32_e32 v60, 16, v40
.LBB904_393:                            ;   in Loop: Header=BB904_215 Depth=1
	s_or_b64 exec, exec, s[16:17]
.LBB904_394:                            ;   in Loop: Header=BB904_215 Depth=1
	s_or_b64 exec, exec, s[14:15]
.LBB904_395:                            ;   in Loop: Header=BB904_215 Depth=1
	s_or_b64 exec, exec, s[12:13]
	v_lshrrev_b32_e32 v40, 16, v38
	v_cmp_ne_u16_sdwa s[14:15], v40, v54 src0_sel:BYTE_0 src1_sel:DWORD
	s_and_saveexec_b64 s[12:13], s[14:15]
	s_cbranch_execz .LBB904_401
; %bb.396:                              ;   in Loop: Header=BB904_215 Depth=1
	v_cmp_ne_u16_sdwa s[16:17], v40, s9 src0_sel:BYTE_0 src1_sel:DWORD
	v_mov_b32_e32 v61, 0xffff8000
	s_and_saveexec_b64 s[14:15], s[16:17]
	s_cbranch_execz .LBB904_400
; %bb.397:                              ;   in Loop: Header=BB904_215 Depth=1
	v_bfe_u32 v42, v38, 16, 7
	v_cmp_ne_u32_e32 vcc, s21, v42
	v_mov_b32_e32 v61, 0x7f80
	s_and_saveexec_b64 s[16:17], vcc
	s_cbranch_execz .LBB904_399
; %bb.398:                              ;   in Loop: Header=BB904_215 Depth=1
	v_and_b32_e32 v56, 7, v40
	v_ffbh_u32_e32 v62, v56
	v_min_u32_e32 v64, 32, v62
	v_subrev_u32_e32 v62, 28, v64
	v_lshlrev_b64 v[62:63], v62, v[40:41]
	v_lshrrev_b32_e32 v61, 3, v42
	v_sub_u32_e32 v63, 29, v64
	v_and_b32_e32 v62, 7, v62
	v_cmp_gt_u32_e32 vcc, 8, v42
	v_cndmask_b32_e32 v42, v61, v63, vcc
	v_cndmask_b32_e32 v56, v56, v62, vcc
	v_lshlrev_b32_e32 v40, 24, v40
	v_lshlrev_b32_e32 v56, 20, v56
	v_and_b32_e32 v40, 0x80000000, v40
	v_lshl_add_u32 v42, v42, 23, v55
	v_or3_b32 v40, v40, v42, v56
	v_lshrrev_b32_e32 v61, 16, v40
.LBB904_399:                            ;   in Loop: Header=BB904_215 Depth=1
	s_or_b64 exec, exec, s[16:17]
.LBB904_400:                            ;   in Loop: Header=BB904_215 Depth=1
	s_or_b64 exec, exec, s[14:15]
.LBB904_401:                            ;   in Loop: Header=BB904_215 Depth=1
	s_or_b64 exec, exec, s[12:13]
	v_cmp_lt_u32_e32 vcc, s22, v38
	v_mov_b32_e32 v56, 0
	v_mov_b32_e32 v62, 0
	s_and_saveexec_b64 s[12:13], vcc
	s_cbranch_execz .LBB904_407
; %bb.402:                              ;   in Loop: Header=BB904_215 Depth=1
	v_lshrrev_b32_e32 v40, 24, v38
	v_cmp_ne_u32_e32 vcc, s9, v40
	v_mov_b32_e32 v62, 0xffff8000
	s_and_saveexec_b64 s[14:15], vcc
	s_cbranch_execz .LBB904_406
; %bb.403:                              ;   in Loop: Header=BB904_215 Depth=1
	v_bfe_u32 v38, v38, 24, 7
	v_cmp_ne_u32_e32 vcc, s21, v38
	v_mov_b32_e32 v62, 0x7f80
	s_and_saveexec_b64 s[16:17], vcc
	s_cbranch_execz .LBB904_405
; %bb.404:                              ;   in Loop: Header=BB904_215 Depth=1
	v_and_b32_e32 v42, 7, v40
	v_ffbh_u32_e32 v62, v42
	v_min_u32_e32 v65, 32, v62
	v_subrev_u32_e32 v62, 28, v65
	v_lshlrev_b64 v[62:63], v62, v[40:41]
	v_lshrrev_b32_e32 v64, 3, v38
	v_sub_u32_e32 v63, 29, v65
	v_and_b32_e32 v62, 7, v62
	v_cmp_gt_u32_e32 vcc, 8, v38
	v_cndmask_b32_e32 v38, v64, v63, vcc
	v_cndmask_b32_e32 v42, v42, v62, vcc
	v_lshlrev_b32_e32 v40, 24, v40
	v_lshlrev_b32_e32 v42, 20, v42
	v_and_b32_e32 v40, 0x80000000, v40
	v_lshl_add_u32 v38, v38, 23, v55
	v_or3_b32 v38, v40, v38, v42
	v_lshrrev_b32_e32 v62, 16, v38
.LBB904_405:                            ;   in Loop: Header=BB904_215 Depth=1
	s_or_b64 exec, exec, s[16:17]
.LBB904_406:                            ;   in Loop: Header=BB904_215 Depth=1
	s_or_b64 exec, exec, s[14:15]
.LBB904_407:                            ;   in Loop: Header=BB904_215 Depth=1
	s_or_b64 exec, exec, s[12:13]
	v_perm_b32 v64, v44, v46, s23
	buffer_load_dword v44, v51, s[0:3], 0 offen
	buffer_load_dword v42, v51, s[0:3], 0 offen offset:4
	buffer_load_dword v40, v51, s[0:3], 0 offen offset:8
	;; [unrolled: 1-line block ×3, first 2 shown]
	v_perm_b32 v65, v59, v57, s23
	v_perm_b32 v59, v62, v61, s23
	;; [unrolled: 1-line block ×3, first 2 shown]
	v_mfma_f32_16x16x16bf16_1k v[34:37], v[64:65], v[14:15], v[34:37]
	s_waitcnt vmcnt(3)
	v_cmp_ne_u16_sdwa s[14:15], v44, v54 src0_sel:BYTE_0 src1_sel:DWORD
	v_mfma_f32_16x16x16bf16_1k v[34:37], v[58:59], v[16:17], v[34:37]
	s_and_saveexec_b64 s[12:13], s[14:15]
	s_cbranch_execz .LBB904_413
; %bb.408:                              ;   in Loop: Header=BB904_215 Depth=1
	v_cmp_ne_u16_sdwa s[16:17], v44, s9 src0_sel:BYTE_0 src1_sel:DWORD
	v_mov_b32_e32 v56, 0xffff8000
	s_and_saveexec_b64 s[14:15], s[16:17]
	s_cbranch_execz .LBB904_412
; %bb.409:                              ;   in Loop: Header=BB904_215 Depth=1
	v_and_b32_e32 v46, 0x7f, v44
	v_cmp_ne_u32_e32 vcc, s21, v46
	v_mov_b32_e32 v56, 0x7f80
	s_and_saveexec_b64 s[16:17], vcc
	s_cbranch_execz .LBB904_411
; %bb.410:                              ;   in Loop: Header=BB904_215 Depth=1
	v_and_b32_e32 v51, 7, v44
	v_ffbh_u32_e32 v56, v51
	v_min_u32_e32 v59, 32, v56
	v_subrev_u32_e32 v56, 28, v59
	v_lshlrev_b64 v[56:57], v56, v[44:45]
	v_lshrrev_b32_e32 v58, 3, v46
	v_sub_u32_e32 v57, 29, v59
	v_and_b32_e32 v56, 7, v56
	v_cmp_gt_u32_e32 vcc, 8, v46
	v_cndmask_b32_e32 v46, v58, v57, vcc
	v_cndmask_b32_e32 v51, v51, v56, vcc
	v_lshlrev_b32_e32 v56, 24, v44
	v_lshlrev_b32_e32 v51, 20, v51
	v_and_b32_e32 v56, 0x80000000, v56
	v_lshl_add_u32 v46, v46, 23, v55
	v_or3_b32 v46, v56, v46, v51
	v_lshrrev_b32_e32 v56, 16, v46
.LBB904_411:                            ;   in Loop: Header=BB904_215 Depth=1
	s_or_b64 exec, exec, s[16:17]
.LBB904_412:                            ;   in Loop: Header=BB904_215 Depth=1
	s_or_b64 exec, exec, s[14:15]
.LBB904_413:                            ;   in Loop: Header=BB904_215 Depth=1
	s_or_b64 exec, exec, s[12:13]
	v_lshrrev_b16_e32 v46, 8, v44
	v_cmp_ne_u16_e32 vcc, 0, v46
	v_mov_b32_e32 v57, 0
	v_mov_b32_e32 v51, 0
	s_and_saveexec_b64 s[12:13], vcc
	s_cbranch_execz .LBB904_419
; %bb.414:                              ;   in Loop: Header=BB904_215 Depth=1
	v_cmp_ne_u16_e32 vcc, s9, v46
	v_mov_b32_e32 v51, 0xffff8000
	s_and_saveexec_b64 s[14:15], vcc
	s_cbranch_execz .LBB904_418
; %bb.415:                              ;   in Loop: Header=BB904_215 Depth=1
	v_and_b32_e32 v58, 0x7f, v46
	v_cmp_ne_u32_e32 vcc, s21, v58
	v_mov_b32_e32 v51, 0x7f80
	s_and_saveexec_b64 s[16:17], vcc
	s_cbranch_execz .LBB904_417
; %bb.416:                              ;   in Loop: Header=BB904_215 Depth=1
	v_and_b32_e32 v51, 7, v46
	v_ffbh_u32_e32 v60, v51
	v_min_u32_e32 v62, 32, v60
	v_subrev_u32_e32 v60, 28, v62
	v_lshlrev_b64 v[60:61], v60, v[46:47]
	v_lshrrev_b32_e32 v59, 3, v58
	v_sub_u32_e32 v46, 29, v62
	v_and_b32_e32 v60, 7, v60
	v_cmp_gt_u32_e32 vcc, 8, v58
	v_cndmask_b32_e32 v46, v59, v46, vcc
	v_cndmask_b32_e32 v51, v51, v60, vcc
	v_lshlrev_b32_e32 v58, 16, v44
	v_lshlrev_b32_e32 v51, 20, v51
	v_and_b32_e32 v58, 0x80000000, v58
	v_lshl_add_u32 v46, v46, 23, v55
	v_or3_b32 v46, v58, v46, v51
	v_lshrrev_b32_e32 v51, 16, v46
.LBB904_417:                            ;   in Loop: Header=BB904_215 Depth=1
	s_or_b64 exec, exec, s[16:17]
.LBB904_418:                            ;   in Loop: Header=BB904_215 Depth=1
	s_or_b64 exec, exec, s[14:15]
.LBB904_419:                            ;   in Loop: Header=BB904_215 Depth=1
	s_or_b64 exec, exec, s[12:13]
	v_lshrrev_b32_e32 v46, 16, v44
	v_cmp_ne_u16_sdwa s[14:15], v46, v54 src0_sel:BYTE_0 src1_sel:DWORD
	s_and_saveexec_b64 s[12:13], s[14:15]
	s_cbranch_execz .LBB904_425
; %bb.420:                              ;   in Loop: Header=BB904_215 Depth=1
	v_cmp_ne_u16_sdwa s[16:17], v46, s9 src0_sel:BYTE_0 src1_sel:DWORD
	v_mov_b32_e32 v57, 0xffff8000
	s_and_saveexec_b64 s[14:15], s[16:17]
	s_cbranch_execz .LBB904_424
; %bb.421:                              ;   in Loop: Header=BB904_215 Depth=1
	v_bfe_u32 v58, v44, 16, 7
	v_cmp_ne_u32_e32 vcc, s21, v58
	v_mov_b32_e32 v57, 0x7f80
	s_and_saveexec_b64 s[16:17], vcc
	s_cbranch_execz .LBB904_423
; %bb.422:                              ;   in Loop: Header=BB904_215 Depth=1
	v_and_b32_e32 v57, 7, v46
	v_ffbh_u32_e32 v60, v57
	v_min_u32_e32 v62, 32, v60
	v_subrev_u32_e32 v60, 28, v62
	v_lshlrev_b64 v[60:61], v60, v[46:47]
	v_lshrrev_b32_e32 v59, 3, v58
	v_sub_u32_e32 v61, 29, v62
	v_and_b32_e32 v60, 7, v60
	v_cmp_gt_u32_e32 vcc, 8, v58
	v_cndmask_b32_e32 v58, v59, v61, vcc
	v_cndmask_b32_e32 v57, v57, v60, vcc
	v_lshlrev_b32_e32 v46, 24, v46
	v_lshlrev_b32_e32 v57, 20, v57
	v_and_b32_e32 v46, 0x80000000, v46
	v_lshl_add_u32 v58, v58, 23, v55
	v_or3_b32 v46, v46, v58, v57
	v_lshrrev_b32_e32 v57, 16, v46
.LBB904_423:                            ;   in Loop: Header=BB904_215 Depth=1
	s_or_b64 exec, exec, s[16:17]
.LBB904_424:                            ;   in Loop: Header=BB904_215 Depth=1
	s_or_b64 exec, exec, s[14:15]
.LBB904_425:                            ;   in Loop: Header=BB904_215 Depth=1
	s_or_b64 exec, exec, s[12:13]
	v_cmp_lt_u32_e32 vcc, s22, v44
	v_mov_b32_e32 v58, 0
	v_mov_b32_e32 v59, 0
	s_and_saveexec_b64 s[12:13], vcc
	s_cbranch_execz .LBB904_431
; %bb.426:                              ;   in Loop: Header=BB904_215 Depth=1
	v_lshrrev_b32_e32 v46, 24, v44
	v_cmp_ne_u32_e32 vcc, s9, v46
	v_mov_b32_e32 v59, 0xffff8000
	s_and_saveexec_b64 s[14:15], vcc
	s_cbranch_execz .LBB904_430
; %bb.427:                              ;   in Loop: Header=BB904_215 Depth=1
	v_bfe_u32 v44, v44, 24, 7
	v_cmp_ne_u32_e32 vcc, s21, v44
	v_mov_b32_e32 v59, 0x7f80
	s_and_saveexec_b64 s[16:17], vcc
	s_cbranch_execz .LBB904_429
; %bb.428:                              ;   in Loop: Header=BB904_215 Depth=1
	v_and_b32_e32 v59, 7, v46
	v_ffbh_u32_e32 v60, v59
	v_min_u32_e32 v63, 32, v60
	v_subrev_u32_e32 v60, 28, v63
	v_lshlrev_b64 v[60:61], v60, v[46:47]
	v_lshrrev_b32_e32 v62, 3, v44
	v_sub_u32_e32 v61, 29, v63
	v_and_b32_e32 v60, 7, v60
	v_cmp_gt_u32_e32 vcc, 8, v44
	v_cndmask_b32_e32 v44, v62, v61, vcc
	v_cndmask_b32_e32 v59, v59, v60, vcc
	v_lshlrev_b32_e32 v46, 24, v46
	v_lshlrev_b32_e32 v59, 20, v59
	v_and_b32_e32 v46, 0x80000000, v46
	v_lshl_add_u32 v44, v44, 23, v55
	v_or3_b32 v44, v46, v44, v59
	v_lshrrev_b32_e32 v59, 16, v44
.LBB904_429:                            ;   in Loop: Header=BB904_215 Depth=1
	s_or_b64 exec, exec, s[16:17]
.LBB904_430:                            ;   in Loop: Header=BB904_215 Depth=1
	s_or_b64 exec, exec, s[14:15]
.LBB904_431:                            ;   in Loop: Header=BB904_215 Depth=1
	s_or_b64 exec, exec, s[12:13]
	s_waitcnt vmcnt(2)
	v_cmp_ne_u16_sdwa s[14:15], v42, v54 src0_sel:BYTE_0 src1_sel:DWORD
	s_and_saveexec_b64 s[12:13], s[14:15]
	s_cbranch_execz .LBB904_437
; %bb.432:                              ;   in Loop: Header=BB904_215 Depth=1
	v_cmp_ne_u16_sdwa s[16:17], v42, s9 src0_sel:BYTE_0 src1_sel:DWORD
	v_mov_b32_e32 v58, 0xffff8000
	s_and_saveexec_b64 s[14:15], s[16:17]
	s_cbranch_execz .LBB904_436
; %bb.433:                              ;   in Loop: Header=BB904_215 Depth=1
	v_and_b32_e32 v44, 0x7f, v42
	v_cmp_ne_u32_e32 vcc, s21, v44
	v_mov_b32_e32 v58, 0x7f80
	s_and_saveexec_b64 s[16:17], vcc
	s_cbranch_execz .LBB904_435
; %bb.434:                              ;   in Loop: Header=BB904_215 Depth=1
	v_and_b32_e32 v46, 7, v42
	v_ffbh_u32_e32 v60, v46
	v_min_u32_e32 v62, 32, v60
	v_subrev_u32_e32 v60, 28, v62
	v_lshlrev_b64 v[60:61], v60, v[42:43]
	v_lshrrev_b32_e32 v58, 3, v44
	v_sub_u32_e32 v61, 29, v62
	v_and_b32_e32 v60, 7, v60
	v_cmp_gt_u32_e32 vcc, 8, v44
	v_cndmask_b32_e32 v44, v58, v61, vcc
	v_cndmask_b32_e32 v46, v46, v60, vcc
	v_lshlrev_b32_e32 v58, 24, v42
	v_lshlrev_b32_e32 v46, 20, v46
	v_and_b32_e32 v58, 0x80000000, v58
	v_lshl_add_u32 v44, v44, 23, v55
	v_or3_b32 v44, v58, v44, v46
	v_lshrrev_b32_e32 v58, 16, v44
.LBB904_435:                            ;   in Loop: Header=BB904_215 Depth=1
	s_or_b64 exec, exec, s[16:17]
.LBB904_436:                            ;   in Loop: Header=BB904_215 Depth=1
	s_or_b64 exec, exec, s[14:15]
.LBB904_437:                            ;   in Loop: Header=BB904_215 Depth=1
	s_or_b64 exec, exec, s[12:13]
	v_lshrrev_b16_e32 v44, 8, v42
	v_cmp_ne_u16_e32 vcc, 0, v44
	v_mov_b32_e32 v61, 0
	v_mov_b32_e32 v60, 0
	s_and_saveexec_b64 s[12:13], vcc
	s_cbranch_execz .LBB904_443
; %bb.438:                              ;   in Loop: Header=BB904_215 Depth=1
	v_cmp_ne_u16_e32 vcc, s9, v44
	v_mov_b32_e32 v60, 0xffff8000
	s_and_saveexec_b64 s[14:15], vcc
	s_cbranch_execz .LBB904_442
; %bb.439:                              ;   in Loop: Header=BB904_215 Depth=1
	v_and_b32_e32 v46, 0x7f, v44
	v_cmp_ne_u32_e32 vcc, s21, v46
	v_mov_b32_e32 v60, 0x7f80
	s_and_saveexec_b64 s[16:17], vcc
	s_cbranch_execz .LBB904_441
; %bb.440:                              ;   in Loop: Header=BB904_215 Depth=1
	v_and_b32_e32 v60, 7, v44
	v_ffbh_u32_e32 v62, v60
	v_min_u32_e32 v65, 32, v62
	v_subrev_u32_e32 v62, 28, v65
	v_lshlrev_b64 v[62:63], v62, v[44:45]
	v_lshrrev_b32_e32 v64, 3, v46
	v_sub_u32_e32 v44, 29, v65
	v_and_b32_e32 v62, 7, v62
	v_cmp_gt_u32_e32 vcc, 8, v46
	v_cndmask_b32_e32 v44, v64, v44, vcc
	v_cndmask_b32_e32 v46, v60, v62, vcc
	v_lshlrev_b32_e32 v60, 16, v42
	v_lshlrev_b32_e32 v46, 20, v46
	v_and_b32_e32 v60, 0x80000000, v60
	v_lshl_add_u32 v44, v44, 23, v55
	v_or3_b32 v44, v60, v44, v46
	v_lshrrev_b32_e32 v60, 16, v44
.LBB904_441:                            ;   in Loop: Header=BB904_215 Depth=1
	s_or_b64 exec, exec, s[16:17]
.LBB904_442:                            ;   in Loop: Header=BB904_215 Depth=1
	s_or_b64 exec, exec, s[14:15]
.LBB904_443:                            ;   in Loop: Header=BB904_215 Depth=1
	s_or_b64 exec, exec, s[12:13]
	v_lshrrev_b32_e32 v44, 16, v42
	v_cmp_ne_u16_sdwa s[14:15], v44, v54 src0_sel:BYTE_0 src1_sel:DWORD
	s_and_saveexec_b64 s[12:13], s[14:15]
	s_cbranch_execz .LBB904_449
; %bb.444:                              ;   in Loop: Header=BB904_215 Depth=1
	v_cmp_ne_u16_sdwa s[16:17], v44, s9 src0_sel:BYTE_0 src1_sel:DWORD
	v_mov_b32_e32 v61, 0xffff8000
	s_and_saveexec_b64 s[14:15], s[16:17]
	s_cbranch_execz .LBB904_448
; %bb.445:                              ;   in Loop: Header=BB904_215 Depth=1
	v_bfe_u32 v46, v42, 16, 7
	v_cmp_ne_u32_e32 vcc, s21, v46
	v_mov_b32_e32 v61, 0x7f80
	s_and_saveexec_b64 s[16:17], vcc
	s_cbranch_execz .LBB904_447
; %bb.446:                              ;   in Loop: Header=BB904_215 Depth=1
	v_and_b32_e32 v61, 7, v44
	v_ffbh_u32_e32 v62, v61
	v_min_u32_e32 v65, 32, v62
	v_subrev_u32_e32 v62, 28, v65
	v_lshlrev_b64 v[62:63], v62, v[44:45]
	v_lshrrev_b32_e32 v64, 3, v46
	v_sub_u32_e32 v63, 29, v65
	v_and_b32_e32 v62, 7, v62
	v_cmp_gt_u32_e32 vcc, 8, v46
	v_cndmask_b32_e32 v46, v64, v63, vcc
	v_cndmask_b32_e32 v61, v61, v62, vcc
	v_lshlrev_b32_e32 v44, 24, v44
	v_lshlrev_b32_e32 v61, 20, v61
	v_and_b32_e32 v44, 0x80000000, v44
	v_lshl_add_u32 v46, v46, 23, v55
	v_or3_b32 v44, v44, v46, v61
	v_lshrrev_b32_e32 v61, 16, v44
.LBB904_447:                            ;   in Loop: Header=BB904_215 Depth=1
	s_or_b64 exec, exec, s[16:17]
.LBB904_448:                            ;   in Loop: Header=BB904_215 Depth=1
	s_or_b64 exec, exec, s[14:15]
.LBB904_449:                            ;   in Loop: Header=BB904_215 Depth=1
	s_or_b64 exec, exec, s[12:13]
	v_cmp_lt_u32_e32 vcc, s22, v42
	v_mov_b32_e32 v46, 0
	v_mov_b32_e32 v62, 0
	s_and_saveexec_b64 s[12:13], vcc
	s_cbranch_execz .LBB904_455
; %bb.450:                              ;   in Loop: Header=BB904_215 Depth=1
	v_lshrrev_b32_e32 v44, 24, v42
	v_cmp_ne_u32_e32 vcc, s9, v44
	v_mov_b32_e32 v62, 0xffff8000
	s_and_saveexec_b64 s[14:15], vcc
	s_cbranch_execz .LBB904_454
; %bb.451:                              ;   in Loop: Header=BB904_215 Depth=1
	v_bfe_u32 v42, v42, 24, 7
	v_cmp_ne_u32_e32 vcc, s21, v42
	v_mov_b32_e32 v62, 0x7f80
	s_and_saveexec_b64 s[16:17], vcc
	s_cbranch_execz .LBB904_453
; %bb.452:                              ;   in Loop: Header=BB904_215 Depth=1
	v_and_b32_e32 v64, 7, v44
	v_ffbh_u32_e32 v62, v64
	v_min_u32_e32 v66, 32, v62
	v_subrev_u32_e32 v62, 28, v66
	v_lshlrev_b64 v[62:63], v62, v[44:45]
	v_lshrrev_b32_e32 v65, 3, v42
	v_sub_u32_e32 v63, 29, v66
	v_and_b32_e32 v62, 7, v62
	v_cmp_gt_u32_e32 vcc, 8, v42
	v_cndmask_b32_e32 v42, v65, v63, vcc
	v_cndmask_b32_e32 v62, v64, v62, vcc
	v_lshlrev_b32_e32 v44, 24, v44
	v_lshlrev_b32_e32 v62, 20, v62
	v_and_b32_e32 v44, 0x80000000, v44
	v_lshl_add_u32 v42, v42, 23, v55
	v_or3_b32 v42, v44, v42, v62
	v_lshrrev_b32_e32 v62, 16, v42
.LBB904_453:                            ;   in Loop: Header=BB904_215 Depth=1
	s_or_b64 exec, exec, s[16:17]
.LBB904_454:                            ;   in Loop: Header=BB904_215 Depth=1
	s_or_b64 exec, exec, s[14:15]
.LBB904_455:                            ;   in Loop: Header=BB904_215 Depth=1
	s_or_b64 exec, exec, s[12:13]
	v_perm_b32 v57, v59, v57, s23
	v_perm_b32 v56, v51, v56, s23
	s_waitcnt vmcnt(1)
	v_cmp_ne_u16_sdwa s[14:15], v40, v54 src0_sel:BYTE_0 src1_sel:DWORD
	v_mfma_f32_16x16x16bf16_1k v[34:37], v[56:57], v[18:19], v[34:37]
	v_perm_b32 v57, v62, v61, s23
	v_perm_b32 v56, v60, v58, s23
	s_nop 1
	v_mfma_f32_16x16x16bf16_1k v[34:37], v[56:57], v[20:21], v[34:37]
	s_and_saveexec_b64 s[12:13], s[14:15]
	s_cbranch_execz .LBB904_461
; %bb.456:                              ;   in Loop: Header=BB904_215 Depth=1
	v_cmp_ne_u16_sdwa s[16:17], v40, s9 src0_sel:BYTE_0 src1_sel:DWORD
	v_mov_b32_e32 v46, 0xffff8000
	s_and_saveexec_b64 s[14:15], s[16:17]
	s_cbranch_execz .LBB904_460
; %bb.457:                              ;   in Loop: Header=BB904_215 Depth=1
	v_and_b32_e32 v42, 0x7f, v40
	v_cmp_ne_u32_e32 vcc, s21, v42
	v_mov_b32_e32 v46, 0x7f80
	s_and_saveexec_b64 s[16:17], vcc
	s_cbranch_execz .LBB904_459
; %bb.458:                              ;   in Loop: Header=BB904_215 Depth=1
	v_and_b32_e32 v44, 7, v40
	v_ffbh_u32_e32 v51, v44
	v_min_u32_e32 v51, 32, v51
	v_subrev_u32_e32 v56, 28, v51
	v_lshlrev_b64 v[56:57], v56, v[40:41]
	v_lshrrev_b32_e32 v46, 3, v42
	v_sub_u32_e32 v51, 29, v51
	v_and_b32_e32 v56, 7, v56
	v_cmp_gt_u32_e32 vcc, 8, v42
	v_cndmask_b32_e32 v42, v46, v51, vcc
	v_cndmask_b32_e32 v44, v44, v56, vcc
	v_lshlrev_b32_e32 v46, 24, v40
	v_lshlrev_b32_e32 v44, 20, v44
	v_and_b32_e32 v46, 0x80000000, v46
	v_lshl_add_u32 v42, v42, 23, v55
	v_or3_b32 v42, v46, v42, v44
	v_lshrrev_b32_e32 v46, 16, v42
.LBB904_459:                            ;   in Loop: Header=BB904_215 Depth=1
	s_or_b64 exec, exec, s[16:17]
.LBB904_460:                            ;   in Loop: Header=BB904_215 Depth=1
	s_or_b64 exec, exec, s[14:15]
.LBB904_461:                            ;   in Loop: Header=BB904_215 Depth=1
	s_or_b64 exec, exec, s[12:13]
	v_lshrrev_b16_e32 v42, 8, v40
	v_cmp_ne_u16_e32 vcc, 0, v42
	v_mov_b32_e32 v56, 0
	v_mov_b32_e32 v44, 0
	s_and_saveexec_b64 s[12:13], vcc
	s_cbranch_execz .LBB904_467
; %bb.462:                              ;   in Loop: Header=BB904_215 Depth=1
	v_cmp_ne_u16_e32 vcc, s9, v42
	v_mov_b32_e32 v44, 0xffff8000
	s_and_saveexec_b64 s[14:15], vcc
	s_cbranch_execz .LBB904_466
; %bb.463:                              ;   in Loop: Header=BB904_215 Depth=1
	v_and_b32_e32 v51, 0x7f, v42
	v_cmp_ne_u32_e32 vcc, s21, v51
	v_mov_b32_e32 v44, 0x7f80
	s_and_saveexec_b64 s[16:17], vcc
	s_cbranch_execz .LBB904_465
; %bb.464:                              ;   in Loop: Header=BB904_215 Depth=1
	v_and_b32_e32 v44, 7, v42
	v_ffbh_u32_e32 v58, v44
	v_min_u32_e32 v60, 32, v58
	v_subrev_u32_e32 v58, 28, v60
	v_lshlrev_b64 v[58:59], v58, v[42:43]
	v_lshrrev_b32_e32 v57, 3, v51
	v_sub_u32_e32 v42, 29, v60
	v_and_b32_e32 v58, 7, v58
	v_cmp_gt_u32_e32 vcc, 8, v51
	v_cndmask_b32_e32 v42, v57, v42, vcc
	v_cndmask_b32_e32 v44, v44, v58, vcc
	v_lshlrev_b32_e32 v51, 16, v40
	v_lshlrev_b32_e32 v44, 20, v44
	v_and_b32_e32 v51, 0x80000000, v51
	v_lshl_add_u32 v42, v42, 23, v55
	v_or3_b32 v42, v51, v42, v44
	v_lshrrev_b32_e32 v44, 16, v42
.LBB904_465:                            ;   in Loop: Header=BB904_215 Depth=1
	s_or_b64 exec, exec, s[16:17]
.LBB904_466:                            ;   in Loop: Header=BB904_215 Depth=1
	s_or_b64 exec, exec, s[14:15]
.LBB904_467:                            ;   in Loop: Header=BB904_215 Depth=1
	s_or_b64 exec, exec, s[12:13]
	v_lshrrev_b32_e32 v42, 16, v40
	v_cmp_ne_u16_sdwa s[14:15], v42, v54 src0_sel:BYTE_0 src1_sel:DWORD
	s_and_saveexec_b64 s[12:13], s[14:15]
	s_cbranch_execz .LBB904_473
; %bb.468:                              ;   in Loop: Header=BB904_215 Depth=1
	v_cmp_ne_u16_sdwa s[16:17], v42, s9 src0_sel:BYTE_0 src1_sel:DWORD
	v_mov_b32_e32 v56, 0xffff8000
	s_and_saveexec_b64 s[14:15], s[16:17]
	s_cbranch_execz .LBB904_472
; %bb.469:                              ;   in Loop: Header=BB904_215 Depth=1
	v_bfe_u32 v51, v40, 16, 7
	v_cmp_ne_u32_e32 vcc, s21, v51
	v_mov_b32_e32 v56, 0x7f80
	s_and_saveexec_b64 s[16:17], vcc
	s_cbranch_execz .LBB904_471
; %bb.470:                              ;   in Loop: Header=BB904_215 Depth=1
	v_and_b32_e32 v58, 7, v42
	v_ffbh_u32_e32 v56, v58
	v_min_u32_e32 v60, 32, v56
	v_subrev_u32_e32 v56, 28, v60
	v_lshlrev_b64 v[56:57], v56, v[42:43]
	v_lshrrev_b32_e32 v59, 3, v51
	v_sub_u32_e32 v57, 29, v60
	v_and_b32_e32 v56, 7, v56
	v_cmp_gt_u32_e32 vcc, 8, v51
	v_cndmask_b32_e32 v51, v59, v57, vcc
	v_cndmask_b32_e32 v56, v58, v56, vcc
	v_lshlrev_b32_e32 v42, 24, v42
	v_lshlrev_b32_e32 v56, 20, v56
	v_and_b32_e32 v42, 0x80000000, v42
	v_lshl_add_u32 v51, v51, 23, v55
	v_or3_b32 v42, v42, v51, v56
	v_lshrrev_b32_e32 v56, 16, v42
.LBB904_471:                            ;   in Loop: Header=BB904_215 Depth=1
	s_or_b64 exec, exec, s[16:17]
.LBB904_472:                            ;   in Loop: Header=BB904_215 Depth=1
	s_or_b64 exec, exec, s[14:15]
.LBB904_473:                            ;   in Loop: Header=BB904_215 Depth=1
	s_or_b64 exec, exec, s[12:13]
	v_cmp_lt_u32_e32 vcc, s22, v40
	v_mov_b32_e32 v57, 0
	v_mov_b32_e32 v58, 0
	s_and_saveexec_b64 s[12:13], vcc
	s_cbranch_execz .LBB904_479
; %bb.474:                              ;   in Loop: Header=BB904_215 Depth=1
	v_lshrrev_b32_e32 v42, 24, v40
	v_cmp_ne_u32_e32 vcc, s9, v42
	v_mov_b32_e32 v58, 0xffff8000
	s_and_saveexec_b64 s[14:15], vcc
	s_cbranch_execz .LBB904_478
; %bb.475:                              ;   in Loop: Header=BB904_215 Depth=1
	v_bfe_u32 v40, v40, 24, 7
	v_cmp_ne_u32_e32 vcc, s21, v40
	v_mov_b32_e32 v58, 0x7f80
	s_and_saveexec_b64 s[16:17], vcc
	s_cbranch_execz .LBB904_477
; %bb.476:                              ;   in Loop: Header=BB904_215 Depth=1
	v_and_b32_e32 v51, 7, v42
	v_ffbh_u32_e32 v58, v51
	v_min_u32_e32 v61, 32, v58
	v_subrev_u32_e32 v58, 28, v61
	v_lshlrev_b64 v[58:59], v58, v[42:43]
	v_lshrrev_b32_e32 v60, 3, v40
	v_sub_u32_e32 v59, 29, v61
	v_and_b32_e32 v58, 7, v58
	v_cmp_gt_u32_e32 vcc, 8, v40
	v_cndmask_b32_e32 v40, v60, v59, vcc
	v_cndmask_b32_e32 v51, v51, v58, vcc
	v_lshlrev_b32_e32 v42, 24, v42
	v_lshlrev_b32_e32 v51, 20, v51
	v_and_b32_e32 v42, 0x80000000, v42
	v_lshl_add_u32 v40, v40, 23, v55
	v_or3_b32 v40, v42, v40, v51
	v_lshrrev_b32_e32 v58, 16, v40
.LBB904_477:                            ;   in Loop: Header=BB904_215 Depth=1
	s_or_b64 exec, exec, s[16:17]
.LBB904_478:                            ;   in Loop: Header=BB904_215 Depth=1
	s_or_b64 exec, exec, s[14:15]
.LBB904_479:                            ;   in Loop: Header=BB904_215 Depth=1
	s_or_b64 exec, exec, s[12:13]
	s_waitcnt vmcnt(0)
	v_cmp_ne_u16_sdwa s[14:15], v38, v54 src0_sel:BYTE_0 src1_sel:DWORD
	s_and_saveexec_b64 s[12:13], s[14:15]
	s_cbranch_execz .LBB904_485
; %bb.480:                              ;   in Loop: Header=BB904_215 Depth=1
	v_cmp_ne_u16_sdwa s[16:17], v38, s9 src0_sel:BYTE_0 src1_sel:DWORD
	v_mov_b32_e32 v57, 0xffff8000
	s_and_saveexec_b64 s[14:15], s[16:17]
	s_cbranch_execz .LBB904_484
; %bb.481:                              ;   in Loop: Header=BB904_215 Depth=1
	v_and_b32_e32 v40, 0x7f, v38
	v_cmp_ne_u32_e32 vcc, s21, v40
	v_mov_b32_e32 v57, 0x7f80
	s_and_saveexec_b64 s[16:17], vcc
	s_cbranch_execz .LBB904_483
; %bb.482:                              ;   in Loop: Header=BB904_215 Depth=1
	v_and_b32_e32 v42, 7, v38
	v_ffbh_u32_e32 v57, v42
	v_min_u32_e32 v57, 32, v57
	v_subrev_u32_e32 v59, 28, v57
	v_lshlrev_b64 v[60:61], v59, v[38:39]
	v_lshrrev_b32_e32 v51, 3, v40
	v_sub_u32_e32 v57, 29, v57
	v_and_b32_e32 v59, 7, v60
	v_cmp_gt_u32_e32 vcc, 8, v40
	v_cndmask_b32_e32 v40, v51, v57, vcc
	v_cndmask_b32_e32 v42, v42, v59, vcc
	v_lshlrev_b32_e32 v51, 24, v38
	v_lshlrev_b32_e32 v42, 20, v42
	v_and_b32_e32 v51, 0x80000000, v51
	v_lshl_add_u32 v40, v40, 23, v55
	v_or3_b32 v40, v51, v40, v42
	v_lshrrev_b32_e32 v57, 16, v40
.LBB904_483:                            ;   in Loop: Header=BB904_215 Depth=1
	s_or_b64 exec, exec, s[16:17]
.LBB904_484:                            ;   in Loop: Header=BB904_215 Depth=1
	s_or_b64 exec, exec, s[14:15]
.LBB904_485:                            ;   in Loop: Header=BB904_215 Depth=1
	s_or_b64 exec, exec, s[12:13]
	v_lshrrev_b16_e32 v40, 8, v38
	v_cmp_ne_u16_e32 vcc, 0, v40
	v_mov_b32_e32 v60, 0
	v_mov_b32_e32 v59, 0
	s_and_saveexec_b64 s[12:13], vcc
	s_cbranch_execz .LBB904_491
; %bb.486:                              ;   in Loop: Header=BB904_215 Depth=1
	v_cmp_ne_u16_e32 vcc, s9, v40
	v_mov_b32_e32 v59, 0xffff8000
	s_and_saveexec_b64 s[14:15], vcc
	s_cbranch_execz .LBB904_490
; %bb.487:                              ;   in Loop: Header=BB904_215 Depth=1
	v_and_b32_e32 v42, 0x7f, v40
	v_cmp_ne_u32_e32 vcc, s21, v42
	v_mov_b32_e32 v59, 0x7f80
	s_and_saveexec_b64 s[16:17], vcc
	s_cbranch_execz .LBB904_489
; %bb.488:                              ;   in Loop: Header=BB904_215 Depth=1
	v_and_b32_e32 v51, 7, v40
	v_ffbh_u32_e32 v61, v51
	v_min_u32_e32 v61, 32, v61
	v_subrev_u32_e32 v62, 28, v61
	v_lshlrev_b64 v[62:63], v62, v[40:41]
	v_lshrrev_b32_e32 v59, 3, v42
	v_sub_u32_e32 v40, 29, v61
	v_and_b32_e32 v61, 7, v62
	v_cmp_gt_u32_e32 vcc, 8, v42
	v_cndmask_b32_e32 v40, v59, v40, vcc
	v_cndmask_b32_e32 v42, v51, v61, vcc
	v_lshlrev_b32_e32 v51, 16, v38
	v_lshlrev_b32_e32 v42, 20, v42
	v_and_b32_e32 v51, 0x80000000, v51
	v_lshl_add_u32 v40, v40, 23, v55
	v_or3_b32 v40, v51, v40, v42
	v_lshrrev_b32_e32 v59, 16, v40
.LBB904_489:                            ;   in Loop: Header=BB904_215 Depth=1
	s_or_b64 exec, exec, s[16:17]
.LBB904_490:                            ;   in Loop: Header=BB904_215 Depth=1
	s_or_b64 exec, exec, s[14:15]
.LBB904_491:                            ;   in Loop: Header=BB904_215 Depth=1
	s_or_b64 exec, exec, s[12:13]
	v_lshrrev_b32_e32 v40, 16, v38
	v_cmp_ne_u16_sdwa s[14:15], v40, v54 src0_sel:BYTE_0 src1_sel:DWORD
	s_and_saveexec_b64 s[12:13], s[14:15]
	s_cbranch_execz .LBB904_497
; %bb.492:                              ;   in Loop: Header=BB904_215 Depth=1
	v_cmp_ne_u16_sdwa s[16:17], v40, s9 src0_sel:BYTE_0 src1_sel:DWORD
	v_mov_b32_e32 v60, 0xffff8000
	s_and_saveexec_b64 s[14:15], s[16:17]
	s_cbranch_execz .LBB904_496
; %bb.493:                              ;   in Loop: Header=BB904_215 Depth=1
	v_bfe_u32 v42, v38, 16, 7
	v_cmp_ne_u32_e32 vcc, s21, v42
	v_mov_b32_e32 v60, 0x7f80
	s_and_saveexec_b64 s[16:17], vcc
	s_cbranch_execz .LBB904_495
; %bb.494:                              ;   in Loop: Header=BB904_215 Depth=1
	v_and_b32_e32 v51, 7, v40
	v_ffbh_u32_e32 v60, v51
	v_min_u32_e32 v63, 32, v60
	v_subrev_u32_e32 v60, 28, v63
	v_lshlrev_b64 v[60:61], v60, v[40:41]
	v_lshrrev_b32_e32 v62, 3, v42
	v_sub_u32_e32 v61, 29, v63
	v_and_b32_e32 v60, 7, v60
	v_cmp_gt_u32_e32 vcc, 8, v42
	v_cndmask_b32_e32 v42, v62, v61, vcc
	v_cndmask_b32_e32 v51, v51, v60, vcc
	v_lshlrev_b32_e32 v40, 24, v40
	v_lshlrev_b32_e32 v51, 20, v51
	v_and_b32_e32 v40, 0x80000000, v40
	v_lshl_add_u32 v42, v42, 23, v55
	v_or3_b32 v40, v40, v42, v51
	v_lshrrev_b32_e32 v60, 16, v40
.LBB904_495:                            ;   in Loop: Header=BB904_215 Depth=1
	s_or_b64 exec, exec, s[16:17]
.LBB904_496:                            ;   in Loop: Header=BB904_215 Depth=1
	s_or_b64 exec, exec, s[14:15]
.LBB904_497:                            ;   in Loop: Header=BB904_215 Depth=1
	s_or_b64 exec, exec, s[12:13]
	v_cmp_lt_u32_e32 vcc, s22, v38
	v_mov_b32_e32 v51, 0
	v_mov_b32_e32 v61, 0
	s_and_saveexec_b64 s[12:13], vcc
	s_cbranch_execz .LBB904_503
; %bb.498:                              ;   in Loop: Header=BB904_215 Depth=1
	v_lshrrev_b32_e32 v40, 24, v38
	v_cmp_ne_u32_e32 vcc, s9, v40
	v_mov_b32_e32 v61, 0xffff8000
	s_and_saveexec_b64 s[14:15], vcc
	s_cbranch_execz .LBB904_502
; %bb.499:                              ;   in Loop: Header=BB904_215 Depth=1
	v_bfe_u32 v38, v38, 24, 7
	v_cmp_ne_u32_e32 vcc, s21, v38
	v_mov_b32_e32 v61, 0x7f80
	s_and_saveexec_b64 s[16:17], vcc
	s_cbranch_execz .LBB904_501
; %bb.500:                              ;   in Loop: Header=BB904_215 Depth=1
	v_and_b32_e32 v42, 7, v40
	v_ffbh_u32_e32 v62, v42
	v_min_u32_e32 v64, 32, v62
	v_subrev_u32_e32 v62, 28, v64
	v_lshlrev_b64 v[62:63], v62, v[40:41]
	v_lshrrev_b32_e32 v61, 3, v38
	v_sub_u32_e32 v63, 29, v64
	v_and_b32_e32 v62, 7, v62
	v_cmp_gt_u32_e32 vcc, 8, v38
	v_cndmask_b32_e32 v38, v61, v63, vcc
	v_cndmask_b32_e32 v42, v42, v62, vcc
	v_lshlrev_b32_e32 v40, 24, v40
	v_lshlrev_b32_e32 v42, 20, v42
	v_and_b32_e32 v40, 0x80000000, v40
	v_lshl_add_u32 v38, v38, 23, v55
	v_or3_b32 v38, v40, v38, v42
	v_lshrrev_b32_e32 v61, 16, v38
.LBB904_501:                            ;   in Loop: Header=BB904_215 Depth=1
	s_or_b64 exec, exec, s[16:17]
.LBB904_502:                            ;   in Loop: Header=BB904_215 Depth=1
	s_or_b64 exec, exec, s[14:15]
.LBB904_503:                            ;   in Loop: Header=BB904_215 Depth=1
	s_or_b64 exec, exec, s[12:13]
	v_perm_b32 v62, v44, v46, s23
	buffer_load_dword v44, v50, s[0:3], 0 offen
	buffer_load_dword v42, v50, s[0:3], 0 offen offset:4
	buffer_load_dword v40, v50, s[0:3], 0 offen offset:8
	;; [unrolled: 1-line block ×3, first 2 shown]
	v_perm_b32 v63, v58, v56, s23
	v_perm_b32 v61, v61, v60, s23
	;; [unrolled: 1-line block ×3, first 2 shown]
	v_mfma_f32_16x16x16bf16_1k v[34:37], v[62:63], v[22:23], v[34:37]
	s_waitcnt vmcnt(3)
	v_cmp_ne_u16_sdwa s[14:15], v44, v54 src0_sel:BYTE_0 src1_sel:DWORD
	v_mfma_f32_16x16x16bf16_1k v[34:37], v[60:61], v[24:25], v[34:37]
	s_and_saveexec_b64 s[12:13], s[14:15]
	s_cbranch_execz .LBB904_509
; %bb.504:                              ;   in Loop: Header=BB904_215 Depth=1
	v_cmp_ne_u16_sdwa s[16:17], v44, s9 src0_sel:BYTE_0 src1_sel:DWORD
	v_mov_b32_e32 v51, 0xffff8000
	s_and_saveexec_b64 s[14:15], s[16:17]
	s_cbranch_execz .LBB904_508
; %bb.505:                              ;   in Loop: Header=BB904_215 Depth=1
	v_and_b32_e32 v46, 0x7f, v44
	v_cmp_ne_u32_e32 vcc, s21, v46
	v_mov_b32_e32 v51, 0x7f80
	s_and_saveexec_b64 s[16:17], vcc
	s_cbranch_execz .LBB904_507
; %bb.506:                              ;   in Loop: Header=BB904_215 Depth=1
	v_and_b32_e32 v56, 7, v44
	v_ffbh_u32_e32 v50, v56
	v_min_u32_e32 v58, 32, v50
	v_subrev_u32_e32 v50, 28, v58
	v_lshlrev_b64 v[50:51], v50, v[44:45]
	v_lshrrev_b32_e32 v57, 3, v46
	v_sub_u32_e32 v51, 29, v58
	v_and_b32_e32 v50, 7, v50
	v_cmp_gt_u32_e32 vcc, 8, v46
	v_cndmask_b32_e32 v46, v57, v51, vcc
	v_cndmask_b32_e32 v50, v56, v50, vcc
	v_lshlrev_b32_e32 v51, 24, v44
	v_lshlrev_b32_e32 v50, 20, v50
	v_and_b32_e32 v51, 0x80000000, v51
	v_lshl_add_u32 v46, v46, 23, v55
	v_or3_b32 v46, v51, v46, v50
	v_lshrrev_b32_e32 v51, 16, v46
.LBB904_507:                            ;   in Loop: Header=BB904_215 Depth=1
	s_or_b64 exec, exec, s[16:17]
.LBB904_508:                            ;   in Loop: Header=BB904_215 Depth=1
	s_or_b64 exec, exec, s[14:15]
.LBB904_509:                            ;   in Loop: Header=BB904_215 Depth=1
	s_or_b64 exec, exec, s[12:13]
	v_lshrrev_b16_e32 v46, 8, v44
	v_cmp_ne_u16_e32 vcc, 0, v46
	v_mov_b32_e32 v56, 0
	v_mov_b32_e32 v50, 0
	s_and_saveexec_b64 s[12:13], vcc
	s_cbranch_execz .LBB904_515
; %bb.510:                              ;   in Loop: Header=BB904_215 Depth=1
	v_cmp_ne_u16_e32 vcc, s9, v46
	v_mov_b32_e32 v50, 0xffff8000
	s_and_saveexec_b64 s[14:15], vcc
	s_cbranch_execz .LBB904_514
; %bb.511:                              ;   in Loop: Header=BB904_215 Depth=1
	v_and_b32_e32 v57, 0x7f, v46
	v_cmp_ne_u32_e32 vcc, s21, v57
	v_mov_b32_e32 v50, 0x7f80
	s_and_saveexec_b64 s[16:17], vcc
	s_cbranch_execz .LBB904_513
; %bb.512:                              ;   in Loop: Header=BB904_215 Depth=1
	v_and_b32_e32 v50, 7, v46
	v_ffbh_u32_e32 v58, v50
	v_min_u32_e32 v61, 32, v58
	v_subrev_u32_e32 v58, 28, v61
	v_lshlrev_b64 v[58:59], v58, v[46:47]
	v_lshrrev_b32_e32 v60, 3, v57
	v_sub_u32_e32 v46, 29, v61
	v_and_b32_e32 v58, 7, v58
	v_cmp_gt_u32_e32 vcc, 8, v57
	v_cndmask_b32_e32 v46, v60, v46, vcc
	v_cndmask_b32_e32 v50, v50, v58, vcc
	v_lshlrev_b32_e32 v57, 16, v44
	v_lshlrev_b32_e32 v50, 20, v50
	v_and_b32_e32 v57, 0x80000000, v57
	v_lshl_add_u32 v46, v46, 23, v55
	v_or3_b32 v46, v57, v46, v50
	v_lshrrev_b32_e32 v50, 16, v46
.LBB904_513:                            ;   in Loop: Header=BB904_215 Depth=1
	s_or_b64 exec, exec, s[16:17]
.LBB904_514:                            ;   in Loop: Header=BB904_215 Depth=1
	s_or_b64 exec, exec, s[14:15]
.LBB904_515:                            ;   in Loop: Header=BB904_215 Depth=1
	s_or_b64 exec, exec, s[12:13]
	v_lshrrev_b32_e32 v46, 16, v44
	v_cmp_ne_u16_sdwa s[14:15], v46, v54 src0_sel:BYTE_0 src1_sel:DWORD
	s_and_saveexec_b64 s[12:13], s[14:15]
	s_cbranch_execz .LBB904_521
; %bb.516:                              ;   in Loop: Header=BB904_215 Depth=1
	v_cmp_ne_u16_sdwa s[16:17], v46, s9 src0_sel:BYTE_0 src1_sel:DWORD
	v_mov_b32_e32 v56, 0xffff8000
	s_and_saveexec_b64 s[14:15], s[16:17]
	s_cbranch_execz .LBB904_520
; %bb.517:                              ;   in Loop: Header=BB904_215 Depth=1
	v_bfe_u32 v57, v44, 16, 7
	v_cmp_ne_u32_e32 vcc, s21, v57
	v_mov_b32_e32 v56, 0x7f80
	s_and_saveexec_b64 s[16:17], vcc
	s_cbranch_execz .LBB904_519
; %bb.518:                              ;   in Loop: Header=BB904_215 Depth=1
	v_and_b32_e32 v56, 7, v46
	v_ffbh_u32_e32 v58, v56
	v_min_u32_e32 v61, 32, v58
	v_subrev_u32_e32 v58, 28, v61
	v_lshlrev_b64 v[58:59], v58, v[46:47]
	v_lshrrev_b32_e32 v60, 3, v57
	v_sub_u32_e32 v59, 29, v61
	v_and_b32_e32 v58, 7, v58
	v_cmp_gt_u32_e32 vcc, 8, v57
	v_cndmask_b32_e32 v57, v60, v59, vcc
	v_cndmask_b32_e32 v56, v56, v58, vcc
	v_lshlrev_b32_e32 v46, 24, v46
	v_lshlrev_b32_e32 v56, 20, v56
	v_and_b32_e32 v46, 0x80000000, v46
	v_lshl_add_u32 v57, v57, 23, v55
	v_or3_b32 v46, v46, v57, v56
	v_lshrrev_b32_e32 v56, 16, v46
.LBB904_519:                            ;   in Loop: Header=BB904_215 Depth=1
	s_or_b64 exec, exec, s[16:17]
.LBB904_520:                            ;   in Loop: Header=BB904_215 Depth=1
	s_or_b64 exec, exec, s[14:15]
.LBB904_521:                            ;   in Loop: Header=BB904_215 Depth=1
	s_or_b64 exec, exec, s[12:13]
	v_cmp_lt_u32_e32 vcc, s22, v44
	v_mov_b32_e32 v57, 0
	v_mov_b32_e32 v58, 0
	s_and_saveexec_b64 s[12:13], vcc
	s_cbranch_execz .LBB904_527
; %bb.522:                              ;   in Loop: Header=BB904_215 Depth=1
	v_lshrrev_b32_e32 v46, 24, v44
	v_cmp_ne_u32_e32 vcc, s9, v46
	v_mov_b32_e32 v58, 0xffff8000
	s_and_saveexec_b64 s[14:15], vcc
	s_cbranch_execz .LBB904_526
; %bb.523:                              ;   in Loop: Header=BB904_215 Depth=1
	v_bfe_u32 v44, v44, 24, 7
	v_cmp_ne_u32_e32 vcc, s21, v44
	v_mov_b32_e32 v58, 0x7f80
	s_and_saveexec_b64 s[16:17], vcc
	s_cbranch_execz .LBB904_525
; %bb.524:                              ;   in Loop: Header=BB904_215 Depth=1
	v_and_b32_e32 v60, 7, v46
	v_ffbh_u32_e32 v58, v60
	v_min_u32_e32 v62, 32, v58
	v_subrev_u32_e32 v58, 28, v62
	v_lshlrev_b64 v[58:59], v58, v[46:47]
	v_lshrrev_b32_e32 v61, 3, v44
	v_sub_u32_e32 v59, 29, v62
	v_and_b32_e32 v58, 7, v58
	v_cmp_gt_u32_e32 vcc, 8, v44
	v_cndmask_b32_e32 v44, v61, v59, vcc
	v_cndmask_b32_e32 v58, v60, v58, vcc
	v_lshlrev_b32_e32 v46, 24, v46
	v_lshlrev_b32_e32 v58, 20, v58
	v_and_b32_e32 v46, 0x80000000, v46
	v_lshl_add_u32 v44, v44, 23, v55
	v_or3_b32 v44, v46, v44, v58
	v_lshrrev_b32_e32 v58, 16, v44
.LBB904_525:                            ;   in Loop: Header=BB904_215 Depth=1
	s_or_b64 exec, exec, s[16:17]
.LBB904_526:                            ;   in Loop: Header=BB904_215 Depth=1
	s_or_b64 exec, exec, s[14:15]
.LBB904_527:                            ;   in Loop: Header=BB904_215 Depth=1
	s_or_b64 exec, exec, s[12:13]
	s_waitcnt vmcnt(2)
	v_cmp_ne_u16_sdwa s[14:15], v42, v54 src0_sel:BYTE_0 src1_sel:DWORD
	s_and_saveexec_b64 s[12:13], s[14:15]
	s_cbranch_execz .LBB904_533
; %bb.528:                              ;   in Loop: Header=BB904_215 Depth=1
	v_cmp_ne_u16_sdwa s[16:17], v42, s9 src0_sel:BYTE_0 src1_sel:DWORD
	v_mov_b32_e32 v57, 0xffff8000
	s_and_saveexec_b64 s[14:15], s[16:17]
	s_cbranch_execz .LBB904_532
; %bb.529:                              ;   in Loop: Header=BB904_215 Depth=1
	v_and_b32_e32 v44, 0x7f, v42
	v_cmp_ne_u32_e32 vcc, s21, v44
	v_mov_b32_e32 v57, 0x7f80
	s_and_saveexec_b64 s[16:17], vcc
	s_cbranch_execz .LBB904_531
; %bb.530:                              ;   in Loop: Header=BB904_215 Depth=1
	v_and_b32_e32 v46, 7, v42
	v_ffbh_u32_e32 v59, v46
	v_min_u32_e32 v59, 32, v59
	v_subrev_u32_e32 v60, 28, v59
	v_lshlrev_b64 v[60:61], v60, v[42:43]
	v_lshrrev_b32_e32 v57, 3, v44
	v_sub_u32_e32 v59, 29, v59
	v_and_b32_e32 v60, 7, v60
	v_cmp_gt_u32_e32 vcc, 8, v44
	v_cndmask_b32_e32 v44, v57, v59, vcc
	v_cndmask_b32_e32 v46, v46, v60, vcc
	v_lshlrev_b32_e32 v57, 24, v42
	v_lshlrev_b32_e32 v46, 20, v46
	v_and_b32_e32 v57, 0x80000000, v57
	v_lshl_add_u32 v44, v44, 23, v55
	v_or3_b32 v44, v57, v44, v46
	v_lshrrev_b32_e32 v57, 16, v44
.LBB904_531:                            ;   in Loop: Header=BB904_215 Depth=1
	s_or_b64 exec, exec, s[16:17]
.LBB904_532:                            ;   in Loop: Header=BB904_215 Depth=1
	s_or_b64 exec, exec, s[14:15]
.LBB904_533:                            ;   in Loop: Header=BB904_215 Depth=1
	s_or_b64 exec, exec, s[12:13]
	v_lshrrev_b16_e32 v44, 8, v42
	v_cmp_ne_u16_e32 vcc, 0, v44
	v_mov_b32_e32 v60, 0
	v_mov_b32_e32 v59, 0
	s_and_saveexec_b64 s[12:13], vcc
	s_cbranch_execz .LBB904_539
; %bb.534:                              ;   in Loop: Header=BB904_215 Depth=1
	v_cmp_ne_u16_e32 vcc, s9, v44
	v_mov_b32_e32 v59, 0xffff8000
	s_and_saveexec_b64 s[14:15], vcc
	s_cbranch_execz .LBB904_538
; %bb.535:                              ;   in Loop: Header=BB904_215 Depth=1
	v_and_b32_e32 v46, 0x7f, v44
	v_cmp_ne_u32_e32 vcc, s21, v46
	v_mov_b32_e32 v59, 0x7f80
	s_and_saveexec_b64 s[16:17], vcc
	s_cbranch_execz .LBB904_537
; %bb.536:                              ;   in Loop: Header=BB904_215 Depth=1
	v_and_b32_e32 v59, 7, v44
	v_ffbh_u32_e32 v62, v59
	v_min_u32_e32 v64, 32, v62
	v_subrev_u32_e32 v62, 28, v64
	v_lshlrev_b64 v[62:63], v62, v[44:45]
	v_lshrrev_b32_e32 v61, 3, v46
	v_sub_u32_e32 v44, 29, v64
	v_and_b32_e32 v62, 7, v62
	v_cmp_gt_u32_e32 vcc, 8, v46
	v_cndmask_b32_e32 v44, v61, v44, vcc
	v_cndmask_b32_e32 v46, v59, v62, vcc
	v_lshlrev_b32_e32 v59, 16, v42
	v_lshlrev_b32_e32 v46, 20, v46
	v_and_b32_e32 v59, 0x80000000, v59
	v_lshl_add_u32 v44, v44, 23, v55
	v_or3_b32 v44, v59, v44, v46
	v_lshrrev_b32_e32 v59, 16, v44
.LBB904_537:                            ;   in Loop: Header=BB904_215 Depth=1
	s_or_b64 exec, exec, s[16:17]
.LBB904_538:                            ;   in Loop: Header=BB904_215 Depth=1
	s_or_b64 exec, exec, s[14:15]
.LBB904_539:                            ;   in Loop: Header=BB904_215 Depth=1
	s_or_b64 exec, exec, s[12:13]
	v_lshrrev_b32_e32 v44, 16, v42
	v_cmp_ne_u16_sdwa s[14:15], v44, v54 src0_sel:BYTE_0 src1_sel:DWORD
	s_and_saveexec_b64 s[12:13], s[14:15]
	s_cbranch_execz .LBB904_545
; %bb.540:                              ;   in Loop: Header=BB904_215 Depth=1
	v_cmp_ne_u16_sdwa s[16:17], v44, s9 src0_sel:BYTE_0 src1_sel:DWORD
	v_mov_b32_e32 v60, 0xffff8000
	s_and_saveexec_b64 s[14:15], s[16:17]
	s_cbranch_execz .LBB904_544
; %bb.541:                              ;   in Loop: Header=BB904_215 Depth=1
	v_bfe_u32 v46, v42, 16, 7
	v_cmp_ne_u32_e32 vcc, s21, v46
	v_mov_b32_e32 v60, 0x7f80
	s_and_saveexec_b64 s[16:17], vcc
	s_cbranch_execz .LBB904_543
; %bb.542:                              ;   in Loop: Header=BB904_215 Depth=1
	v_and_b32_e32 v62, 7, v44
	v_ffbh_u32_e32 v60, v62
	v_min_u32_e32 v64, 32, v60
	v_subrev_u32_e32 v60, 28, v64
	v_lshlrev_b64 v[60:61], v60, v[44:45]
	v_lshrrev_b32_e32 v63, 3, v46
	v_sub_u32_e32 v61, 29, v64
	v_and_b32_e32 v60, 7, v60
	v_cmp_gt_u32_e32 vcc, 8, v46
	v_cndmask_b32_e32 v46, v63, v61, vcc
	v_cndmask_b32_e32 v60, v62, v60, vcc
	v_lshlrev_b32_e32 v44, 24, v44
	v_lshlrev_b32_e32 v60, 20, v60
	v_and_b32_e32 v44, 0x80000000, v44
	v_lshl_add_u32 v46, v46, 23, v55
	v_or3_b32 v44, v44, v46, v60
	v_lshrrev_b32_e32 v60, 16, v44
.LBB904_543:                            ;   in Loop: Header=BB904_215 Depth=1
	s_or_b64 exec, exec, s[16:17]
.LBB904_544:                            ;   in Loop: Header=BB904_215 Depth=1
	s_or_b64 exec, exec, s[14:15]
.LBB904_545:                            ;   in Loop: Header=BB904_215 Depth=1
	s_or_b64 exec, exec, s[12:13]
	v_cmp_lt_u32_e32 vcc, s22, v42
	v_mov_b32_e32 v46, 0
	v_mov_b32_e32 v61, 0
	s_and_saveexec_b64 s[12:13], vcc
	s_cbranch_execz .LBB904_551
; %bb.546:                              ;   in Loop: Header=BB904_215 Depth=1
	v_lshrrev_b32_e32 v44, 24, v42
	v_cmp_ne_u32_e32 vcc, s9, v44
	v_mov_b32_e32 v61, 0xffff8000
	s_and_saveexec_b64 s[14:15], vcc
	s_cbranch_execz .LBB904_550
; %bb.547:                              ;   in Loop: Header=BB904_215 Depth=1
	v_bfe_u32 v42, v42, 24, 7
	v_cmp_ne_u32_e32 vcc, s21, v42
	v_mov_b32_e32 v61, 0x7f80
	s_and_saveexec_b64 s[16:17], vcc
	s_cbranch_execz .LBB904_549
; %bb.548:                              ;   in Loop: Header=BB904_215 Depth=1
	v_and_b32_e32 v61, 7, v44
	v_ffbh_u32_e32 v62, v61
	v_min_u32_e32 v65, 32, v62
	v_subrev_u32_e32 v62, 28, v65
	v_lshlrev_b64 v[62:63], v62, v[44:45]
	v_lshrrev_b32_e32 v64, 3, v42
	v_sub_u32_e32 v63, 29, v65
	v_and_b32_e32 v62, 7, v62
	v_cmp_gt_u32_e32 vcc, 8, v42
	v_cndmask_b32_e32 v42, v64, v63, vcc
	v_cndmask_b32_e32 v61, v61, v62, vcc
	v_lshlrev_b32_e32 v44, 24, v44
	v_lshlrev_b32_e32 v61, 20, v61
	v_and_b32_e32 v44, 0x80000000, v44
	v_lshl_add_u32 v42, v42, 23, v55
	v_or3_b32 v42, v44, v42, v61
	v_lshrrev_b32_e32 v61, 16, v42
.LBB904_549:                            ;   in Loop: Header=BB904_215 Depth=1
	s_or_b64 exec, exec, s[16:17]
.LBB904_550:                            ;   in Loop: Header=BB904_215 Depth=1
	s_or_b64 exec, exec, s[14:15]
.LBB904_551:                            ;   in Loop: Header=BB904_215 Depth=1
	s_or_b64 exec, exec, s[12:13]
	v_perm_b32 v63, v58, v56, s23
	v_perm_b32 v62, v50, v51, s23
	;; [unrolled: 1-line block ×4, first 2 shown]
	s_waitcnt vmcnt(1)
	v_cmp_ne_u16_sdwa s[14:15], v40, v54 src0_sel:BYTE_0 src1_sel:DWORD
	v_mfma_f32_16x16x16bf16_1k v[34:37], v[62:63], v[26:27], v[34:37]
	v_mfma_f32_16x16x16bf16_1k v[34:37], v[50:51], v[28:29], v[34:37]
	s_and_saveexec_b64 s[12:13], s[14:15]
	s_cbranch_execz .LBB904_557
; %bb.552:                              ;   in Loop: Header=BB904_215 Depth=1
	v_cmp_ne_u16_sdwa s[16:17], v40, s9 src0_sel:BYTE_0 src1_sel:DWORD
	v_mov_b32_e32 v46, 0xffff8000
	s_and_saveexec_b64 s[14:15], s[16:17]
	s_cbranch_execz .LBB904_556
; %bb.553:                              ;   in Loop: Header=BB904_215 Depth=1
	v_and_b32_e32 v42, 0x7f, v40
	v_cmp_ne_u32_e32 vcc, s21, v42
	v_mov_b32_e32 v46, 0x7f80
	s_and_saveexec_b64 s[16:17], vcc
	s_cbranch_execz .LBB904_555
; %bb.554:                              ;   in Loop: Header=BB904_215 Depth=1
	v_and_b32_e32 v44, 7, v40
	v_ffbh_u32_e32 v50, v44
	v_min_u32_e32 v56, 32, v50
	v_subrev_u32_e32 v50, 28, v56
	v_lshlrev_b64 v[50:51], v50, v[40:41]
	v_lshrrev_b32_e32 v46, 3, v42
	v_sub_u32_e32 v51, 29, v56
	v_and_b32_e32 v50, 7, v50
	v_cmp_gt_u32_e32 vcc, 8, v42
	v_cndmask_b32_e32 v42, v46, v51, vcc
	v_cndmask_b32_e32 v44, v44, v50, vcc
	v_lshlrev_b32_e32 v46, 24, v40
	v_lshlrev_b32_e32 v44, 20, v44
	v_and_b32_e32 v46, 0x80000000, v46
	v_lshl_add_u32 v42, v42, 23, v55
	v_or3_b32 v42, v46, v42, v44
	v_lshrrev_b32_e32 v46, 16, v42
.LBB904_555:                            ;   in Loop: Header=BB904_215 Depth=1
	s_or_b64 exec, exec, s[16:17]
.LBB904_556:                            ;   in Loop: Header=BB904_215 Depth=1
	s_or_b64 exec, exec, s[14:15]
.LBB904_557:                            ;   in Loop: Header=BB904_215 Depth=1
	s_or_b64 exec, exec, s[12:13]
	v_lshrrev_b16_e32 v42, 8, v40
	v_cmp_ne_u16_e32 vcc, 0, v42
	v_mov_b32_e32 v50, 0
	v_mov_b32_e32 v44, 0
	s_and_saveexec_b64 s[12:13], vcc
	s_cbranch_execz .LBB904_563
; %bb.558:                              ;   in Loop: Header=BB904_215 Depth=1
	v_cmp_ne_u16_e32 vcc, s9, v42
	v_mov_b32_e32 v44, 0xffff8000
	s_and_saveexec_b64 s[14:15], vcc
	s_cbranch_execz .LBB904_562
; %bb.559:                              ;   in Loop: Header=BB904_215 Depth=1
	v_and_b32_e32 v51, 0x7f, v42
	v_cmp_ne_u32_e32 vcc, s21, v51
	v_mov_b32_e32 v44, 0x7f80
	s_and_saveexec_b64 s[16:17], vcc
	s_cbranch_execz .LBB904_561
; %bb.560:                              ;   in Loop: Header=BB904_215 Depth=1
	v_and_b32_e32 v44, 7, v42
	v_ffbh_u32_e32 v56, v44
	v_min_u32_e32 v59, 32, v56
	v_subrev_u32_e32 v56, 28, v59
	v_lshlrev_b64 v[56:57], v56, v[42:43]
	v_lshrrev_b32_e32 v58, 3, v51
	v_sub_u32_e32 v42, 29, v59
	v_and_b32_e32 v56, 7, v56
	v_cmp_gt_u32_e32 vcc, 8, v51
	v_cndmask_b32_e32 v42, v58, v42, vcc
	v_cndmask_b32_e32 v44, v44, v56, vcc
	v_lshlrev_b32_e32 v51, 16, v40
	v_lshlrev_b32_e32 v44, 20, v44
	v_and_b32_e32 v51, 0x80000000, v51
	v_lshl_add_u32 v42, v42, 23, v55
	v_or3_b32 v42, v51, v42, v44
	v_lshrrev_b32_e32 v44, 16, v42
.LBB904_561:                            ;   in Loop: Header=BB904_215 Depth=1
	s_or_b64 exec, exec, s[16:17]
.LBB904_562:                            ;   in Loop: Header=BB904_215 Depth=1
	s_or_b64 exec, exec, s[14:15]
.LBB904_563:                            ;   in Loop: Header=BB904_215 Depth=1
	s_or_b64 exec, exec, s[12:13]
	v_lshrrev_b32_e32 v42, 16, v40
	v_cmp_ne_u16_sdwa s[14:15], v42, v54 src0_sel:BYTE_0 src1_sel:DWORD
	s_and_saveexec_b64 s[12:13], s[14:15]
	s_cbranch_execz .LBB904_569
; %bb.564:                              ;   in Loop: Header=BB904_215 Depth=1
	v_cmp_ne_u16_sdwa s[16:17], v42, s9 src0_sel:BYTE_0 src1_sel:DWORD
	v_mov_b32_e32 v50, 0xffff8000
	s_and_saveexec_b64 s[14:15], s[16:17]
	s_cbranch_execz .LBB904_568
; %bb.565:                              ;   in Loop: Header=BB904_215 Depth=1
	v_bfe_u32 v51, v40, 16, 7
	v_cmp_ne_u32_e32 vcc, s21, v51
	v_mov_b32_e32 v50, 0x7f80
	s_and_saveexec_b64 s[16:17], vcc
	s_cbranch_execz .LBB904_567
; %bb.566:                              ;   in Loop: Header=BB904_215 Depth=1
	v_and_b32_e32 v50, 7, v42
	v_ffbh_u32_e32 v56, v50
	v_min_u32_e32 v59, 32, v56
	v_subrev_u32_e32 v56, 28, v59
	v_lshlrev_b64 v[56:57], v56, v[42:43]
	v_lshrrev_b32_e32 v58, 3, v51
	v_sub_u32_e32 v57, 29, v59
	v_and_b32_e32 v56, 7, v56
	v_cmp_gt_u32_e32 vcc, 8, v51
	v_cndmask_b32_e32 v51, v58, v57, vcc
	v_cndmask_b32_e32 v50, v50, v56, vcc
	v_lshlrev_b32_e32 v42, 24, v42
	v_lshlrev_b32_e32 v50, 20, v50
	v_and_b32_e32 v42, 0x80000000, v42
	v_lshl_add_u32 v51, v51, 23, v55
	v_or3_b32 v42, v42, v51, v50
	v_lshrrev_b32_e32 v50, 16, v42
.LBB904_567:                            ;   in Loop: Header=BB904_215 Depth=1
	s_or_b64 exec, exec, s[16:17]
.LBB904_568:                            ;   in Loop: Header=BB904_215 Depth=1
	s_or_b64 exec, exec, s[14:15]
.LBB904_569:                            ;   in Loop: Header=BB904_215 Depth=1
	s_or_b64 exec, exec, s[12:13]
	v_cmp_lt_u32_e32 vcc, s22, v40
	v_mov_b32_e32 v51, 0
	v_mov_b32_e32 v56, 0
	s_and_saveexec_b64 s[12:13], vcc
	s_cbranch_execz .LBB904_575
; %bb.570:                              ;   in Loop: Header=BB904_215 Depth=1
	v_lshrrev_b32_e32 v42, 24, v40
	v_cmp_ne_u32_e32 vcc, s9, v42
	v_mov_b32_e32 v56, 0xffff8000
	s_and_saveexec_b64 s[14:15], vcc
	s_cbranch_execz .LBB904_574
; %bb.571:                              ;   in Loop: Header=BB904_215 Depth=1
	v_bfe_u32 v40, v40, 24, 7
	v_cmp_ne_u32_e32 vcc, s21, v40
	v_mov_b32_e32 v56, 0x7f80
	s_and_saveexec_b64 s[16:17], vcc
	s_cbranch_execz .LBB904_573
; %bb.572:                              ;   in Loop: Header=BB904_215 Depth=1
	v_and_b32_e32 v58, 7, v42
	v_ffbh_u32_e32 v56, v58
	v_min_u32_e32 v60, 32, v56
	v_subrev_u32_e32 v56, 28, v60
	v_lshlrev_b64 v[56:57], v56, v[42:43]
	v_lshrrev_b32_e32 v59, 3, v40
	v_sub_u32_e32 v57, 29, v60
	v_and_b32_e32 v56, 7, v56
	v_cmp_gt_u32_e32 vcc, 8, v40
	v_cndmask_b32_e32 v40, v59, v57, vcc
	v_cndmask_b32_e32 v56, v58, v56, vcc
	v_lshlrev_b32_e32 v42, 24, v42
	v_lshlrev_b32_e32 v56, 20, v56
	v_and_b32_e32 v42, 0x80000000, v42
	v_lshl_add_u32 v40, v40, 23, v55
	v_or3_b32 v40, v42, v40, v56
	v_lshrrev_b32_e32 v56, 16, v40
.LBB904_573:                            ;   in Loop: Header=BB904_215 Depth=1
	s_or_b64 exec, exec, s[16:17]
.LBB904_574:                            ;   in Loop: Header=BB904_215 Depth=1
	s_or_b64 exec, exec, s[14:15]
.LBB904_575:                            ;   in Loop: Header=BB904_215 Depth=1
	s_or_b64 exec, exec, s[12:13]
	s_waitcnt vmcnt(0)
	v_cmp_ne_u16_sdwa s[14:15], v38, v54 src0_sel:BYTE_0 src1_sel:DWORD
	s_and_saveexec_b64 s[12:13], s[14:15]
	s_cbranch_execz .LBB904_581
; %bb.576:                              ;   in Loop: Header=BB904_215 Depth=1
	v_cmp_ne_u16_sdwa s[16:17], v38, s9 src0_sel:BYTE_0 src1_sel:DWORD
	v_mov_b32_e32 v51, 0xffff8000
	s_and_saveexec_b64 s[14:15], s[16:17]
	s_cbranch_execz .LBB904_580
; %bb.577:                              ;   in Loop: Header=BB904_215 Depth=1
	v_and_b32_e32 v40, 0x7f, v38
	v_cmp_ne_u32_e32 vcc, s21, v40
	v_mov_b32_e32 v51, 0x7f80
	s_and_saveexec_b64 s[16:17], vcc
	s_cbranch_execz .LBB904_579
; %bb.578:                              ;   in Loop: Header=BB904_215 Depth=1
	v_and_b32_e32 v42, 7, v38
	v_ffbh_u32_e32 v57, v42
	v_min_u32_e32 v57, 32, v57
	v_subrev_u32_e32 v58, 28, v57
	v_lshlrev_b64 v[58:59], v58, v[38:39]
	v_lshrrev_b32_e32 v51, 3, v40
	v_sub_u32_e32 v57, 29, v57
	v_and_b32_e32 v58, 7, v58
	v_cmp_gt_u32_e32 vcc, 8, v40
	v_cndmask_b32_e32 v40, v51, v57, vcc
	v_cndmask_b32_e32 v42, v42, v58, vcc
	v_lshlrev_b32_e32 v51, 24, v38
	v_lshlrev_b32_e32 v42, 20, v42
	v_and_b32_e32 v51, 0x80000000, v51
	v_lshl_add_u32 v40, v40, 23, v55
	v_or3_b32 v40, v51, v40, v42
	v_lshrrev_b32_e32 v51, 16, v40
.LBB904_579:                            ;   in Loop: Header=BB904_215 Depth=1
	s_or_b64 exec, exec, s[16:17]
.LBB904_580:                            ;   in Loop: Header=BB904_215 Depth=1
	s_or_b64 exec, exec, s[14:15]
.LBB904_581:                            ;   in Loop: Header=BB904_215 Depth=1
	s_or_b64 exec, exec, s[12:13]
	v_lshrrev_b16_e32 v40, 8, v38
	v_cmp_ne_u16_e32 vcc, 0, v40
	v_mov_b32_e32 v57, 0
	v_mov_b32_e32 v42, 0
	s_and_saveexec_b64 s[12:13], vcc
	s_cbranch_execz .LBB904_587
; %bb.582:                              ;   in Loop: Header=BB904_215 Depth=1
	v_cmp_ne_u16_e32 vcc, s9, v40
	v_mov_b32_e32 v42, 0xffff8000
	s_and_saveexec_b64 s[14:15], vcc
	s_cbranch_execz .LBB904_586
; %bb.583:                              ;   in Loop: Header=BB904_215 Depth=1
	v_and_b32_e32 v58, 0x7f, v40
	v_cmp_ne_u32_e32 vcc, s21, v58
	v_mov_b32_e32 v42, 0x7f80
	s_and_saveexec_b64 s[16:17], vcc
	s_cbranch_execz .LBB904_585
; %bb.584:                              ;   in Loop: Header=BB904_215 Depth=1
	v_and_b32_e32 v42, 7, v40
	v_ffbh_u32_e32 v60, v42
	v_min_u32_e32 v62, 32, v60
	v_subrev_u32_e32 v60, 28, v62
	v_lshlrev_b64 v[60:61], v60, v[40:41]
	v_lshrrev_b32_e32 v59, 3, v58
	v_sub_u32_e32 v40, 29, v62
	v_and_b32_e32 v60, 7, v60
	v_cmp_gt_u32_e32 vcc, 8, v58
	v_cndmask_b32_e32 v40, v59, v40, vcc
	v_cndmask_b32_e32 v42, v42, v60, vcc
	v_lshlrev_b32_e32 v58, 16, v38
	v_lshlrev_b32_e32 v42, 20, v42
	v_and_b32_e32 v58, 0x80000000, v58
	v_lshl_add_u32 v40, v40, 23, v55
	v_or3_b32 v40, v58, v40, v42
	v_lshrrev_b32_e32 v42, 16, v40
.LBB904_585:                            ;   in Loop: Header=BB904_215 Depth=1
	s_or_b64 exec, exec, s[16:17]
.LBB904_586:                            ;   in Loop: Header=BB904_215 Depth=1
	s_or_b64 exec, exec, s[14:15]
.LBB904_587:                            ;   in Loop: Header=BB904_215 Depth=1
	s_or_b64 exec, exec, s[12:13]
	v_lshrrev_b32_e32 v40, 16, v38
	v_cmp_ne_u16_sdwa s[14:15], v40, v54 src0_sel:BYTE_0 src1_sel:DWORD
	s_and_saveexec_b64 s[12:13], s[14:15]
	s_cbranch_execz .LBB904_593
; %bb.588:                              ;   in Loop: Header=BB904_215 Depth=1
	v_cmp_ne_u16_sdwa s[16:17], v40, s9 src0_sel:BYTE_0 src1_sel:DWORD
	v_mov_b32_e32 v57, 0xffff8000
	s_and_saveexec_b64 s[14:15], s[16:17]
	s_cbranch_execz .LBB904_592
; %bb.589:                              ;   in Loop: Header=BB904_215 Depth=1
	v_bfe_u32 v58, v38, 16, 7
	v_cmp_ne_u32_e32 vcc, s21, v58
	v_mov_b32_e32 v57, 0x7f80
	s_and_saveexec_b64 s[16:17], vcc
	s_cbranch_execz .LBB904_591
; %bb.590:                              ;   in Loop: Header=BB904_215 Depth=1
	v_and_b32_e32 v57, 7, v40
	v_ffbh_u32_e32 v60, v57
	v_min_u32_e32 v62, 32, v60
	v_subrev_u32_e32 v60, 28, v62
	v_lshlrev_b64 v[60:61], v60, v[40:41]
	v_lshrrev_b32_e32 v59, 3, v58
	v_sub_u32_e32 v61, 29, v62
	v_and_b32_e32 v60, 7, v60
	v_cmp_gt_u32_e32 vcc, 8, v58
	v_cndmask_b32_e32 v58, v59, v61, vcc
	v_cndmask_b32_e32 v57, v57, v60, vcc
	v_lshlrev_b32_e32 v40, 24, v40
	v_lshlrev_b32_e32 v57, 20, v57
	v_and_b32_e32 v40, 0x80000000, v40
	v_lshl_add_u32 v58, v58, 23, v55
	v_or3_b32 v40, v40, v58, v57
	v_lshrrev_b32_e32 v57, 16, v40
.LBB904_591:                            ;   in Loop: Header=BB904_215 Depth=1
	s_or_b64 exec, exec, s[16:17]
.LBB904_592:                            ;   in Loop: Header=BB904_215 Depth=1
	s_or_b64 exec, exec, s[14:15]
.LBB904_593:                            ;   in Loop: Header=BB904_215 Depth=1
	s_or_b64 exec, exec, s[12:13]
	v_cmp_lt_u32_e32 vcc, s22, v38
	v_mov_b32_e32 v58, 0
	s_and_saveexec_b64 s[12:13], vcc
	s_cbranch_execz .LBB904_214
; %bb.594:                              ;   in Loop: Header=BB904_215 Depth=1
	v_lshrrev_b32_e32 v40, 24, v38
	v_cmp_ne_u32_e32 vcc, s9, v40
	v_mov_b32_e32 v58, 0xffff8000
	s_and_saveexec_b64 s[14:15], vcc
	s_cbranch_execz .LBB904_213
; %bb.595:                              ;   in Loop: Header=BB904_215 Depth=1
	v_bfe_u32 v38, v38, 24, 7
	v_cmp_ne_u32_e32 vcc, s21, v38
	v_mov_b32_e32 v58, 0x7f80
	s_and_saveexec_b64 s[16:17], vcc
	s_cbranch_execz .LBB904_212
; %bb.596:                              ;   in Loop: Header=BB904_215 Depth=1
	v_and_b32_e32 v60, 7, v40
	v_ffbh_u32_e32 v58, v60
	v_min_u32_e32 v62, 32, v58
	v_subrev_u32_e32 v58, 28, v62
	v_lshlrev_b64 v[58:59], v58, v[40:41]
	v_lshrrev_b32_e32 v61, 3, v38
	v_sub_u32_e32 v59, 29, v62
	v_and_b32_e32 v58, 7, v58
	v_cmp_gt_u32_e32 vcc, 8, v38
	v_cndmask_b32_e32 v38, v61, v59, vcc
	v_cndmask_b32_e32 v58, v60, v58, vcc
	v_lshlrev_b32_e32 v40, 24, v40
	v_lshlrev_b32_e32 v58, 20, v58
	v_and_b32_e32 v40, 0x80000000, v40
	v_lshl_add_u32 v38, v38, 23, v55
	v_or3_b32 v38, v40, v38, v58
	v_lshrrev_b32_e32 v58, 16, v38
	s_branch .LBB904_212
.LBB904_597:
	s_barrier
	buffer_load_dword v2, off, s[0:3], 0 offset:320
	buffer_load_dword v5, off, s[0:3], 0 offset:332
	;; [unrolled: 1-line block ×4, first 2 shown]
	v_cmp_gt_u32_e32 vcc, 64, v0
	s_waitcnt vmcnt(0)
	ds_write2st64_b64 v52, v[2:3], v[4:5] offset1:1
	s_waitcnt lgkmcnt(0)
	s_barrier
	s_and_saveexec_b64 s[4:5], vcc
	s_cbranch_execz .LBB904_600
; %bb.598:
	s_lshl_b32 s4, s48, 7
	s_mul_i32 s5, s18, s8
	s_mul_hi_u32 s9, s5, s4
	s_mul_i32 s8, s5, s4
	s_lshl_b64 s[8:9], s[8:9], 1
	v_lshlrev_b32_e32 v4, 6, v41
	s_add_u32 s5, s50, s8
	v_lshl_or_b32 v0, v0, 10, v4
	s_mov_b32 s7, 0
	s_addc_u32 s8, s51, s9
	s_lshl_b32 s6, s26, 7
	v_lshlrev_b32_e32 v2, 5, v1
	v_and_b32_e32 v3, 16, v43
	v_and_b32_e32 v0, 0x1a00, v0
	s_lshl_b64 s[6:7], s[6:7], 1
	v_or3_b32 v0, v0, v2, v3
	s_add_u32 s5, s5, s6
	s_addc_u32 s6, s8, s7
	ds_read_b128 v[4:7], v0 offset:128
	ds_read_b128 v[8:11], v0
	v_add_u32_e32 v14, s27, v1
	v_mov_b32_e32 v3, s6
	v_add_co_u32_e32 v2, vcc, s5, v39
	v_mad_u64_u32 v[12:13], s[6:7], v14, s4, 0
	v_addc_co_u32_e32 v3, vcc, 0, v3, vcc
	v_lshlrev_b64 v[12:13], 1, v[12:13]
	v_add_co_u32_e32 v12, vcc, v2, v12
	v_addc_co_u32_e32 v13, vcc, v3, v13, vcc
	s_waitcnt lgkmcnt(0)
	global_store_dwordx4 v[12:13], v[8:11], off
	s_nop 0
	v_add_u32_e32 v8, 4, v14
	v_mad_u64_u32 v[8:9], s[6:7], v8, s4, 0
	v_lshlrev_b64 v[8:9], 1, v[8:9]
	v_add_co_u32_e32 v8, vcc, v2, v8
	v_addc_co_u32_e32 v9, vcc, v3, v9, vcc
	v_cmp_ne_u32_e32 vcc, 3, v1
	global_store_dwordx4 v[8:9], v[4:7], off
	s_and_b64 exec, exec, vcc
	s_cbranch_execz .LBB904_600
; %bb.599:
	ds_read_b128 v[4:7], v0 offset:256
	v_add3_u32 v0, s27, v1, 8
	v_mad_u64_u32 v[0:1], s[4:5], v0, s4, 0
	v_lshlrev_b64 v[0:1], 1, v[0:1]
	v_add_co_u32_e32 v0, vcc, v2, v0
	v_addc_co_u32_e32 v1, vcc, v3, v1, vcc
	s_waitcnt lgkmcnt(0)
	global_store_dwordx4 v[0:1], v[4:7], off
.LBB904_600:
	s_endpgm
	.section	.rodata,"a",@progbits
	.p2align	6, 0x0
	.amdhsa_kernel _Z39paged_attention_ll4mi_QKV_mfma16_kernelI14__hip_bfloat16hLN4vllm18Fp8KVCacheDataTypeE1ES0_Li16ELi128ELi256ELb1ELi11EL8MFMAType0EEvPKT_PKT0_S9_ifPKiSB_SB_iPKfiiiPfSE_PS4_PT2_iSD_SD_
		.amdhsa_group_segment_fixed_size 8192
		.amdhsa_private_segment_fixed_size 352
		.amdhsa_kernarg_size 400
		.amdhsa_user_sgpr_count 8
		.amdhsa_user_sgpr_private_segment_buffer 1
		.amdhsa_user_sgpr_dispatch_ptr 0
		.amdhsa_user_sgpr_queue_ptr 0
		.amdhsa_user_sgpr_kernarg_segment_ptr 1
		.amdhsa_user_sgpr_dispatch_id 0
		.amdhsa_user_sgpr_flat_scratch_init 1
		.amdhsa_user_sgpr_kernarg_preload_length 0
		.amdhsa_user_sgpr_kernarg_preload_offset 0
		.amdhsa_user_sgpr_private_segment_size 0
		.amdhsa_uses_dynamic_stack 0
		.amdhsa_system_sgpr_private_segment_wavefront_offset 1
		.amdhsa_system_sgpr_workgroup_id_x 1
		.amdhsa_system_sgpr_workgroup_id_y 1
		.amdhsa_system_sgpr_workgroup_id_z 1
		.amdhsa_system_sgpr_workgroup_info 0
		.amdhsa_system_vgpr_workitem_id 0
		.amdhsa_next_free_vgpr 80
		.amdhsa_next_free_sgpr 53
		.amdhsa_accum_offset 80
		.amdhsa_reserve_vcc 1
		.amdhsa_reserve_flat_scratch 0
		.amdhsa_float_round_mode_32 0
		.amdhsa_float_round_mode_16_64 0
		.amdhsa_float_denorm_mode_32 3
		.amdhsa_float_denorm_mode_16_64 3
		.amdhsa_dx10_clamp 1
		.amdhsa_ieee_mode 1
		.amdhsa_fp16_overflow 0
		.amdhsa_tg_split 0
		.amdhsa_exception_fp_ieee_invalid_op 0
		.amdhsa_exception_fp_denorm_src 0
		.amdhsa_exception_fp_ieee_div_zero 0
		.amdhsa_exception_fp_ieee_overflow 0
		.amdhsa_exception_fp_ieee_underflow 0
		.amdhsa_exception_fp_ieee_inexact 0
		.amdhsa_exception_int_div_zero 0
	.end_amdhsa_kernel
	.section	.text._Z39paged_attention_ll4mi_QKV_mfma16_kernelI14__hip_bfloat16hLN4vllm18Fp8KVCacheDataTypeE1ES0_Li16ELi128ELi256ELb1ELi11EL8MFMAType0EEvPKT_PKT0_S9_ifPKiSB_SB_iPKfiiiPfSE_PS4_PT2_iSD_SD_,"axG",@progbits,_Z39paged_attention_ll4mi_QKV_mfma16_kernelI14__hip_bfloat16hLN4vllm18Fp8KVCacheDataTypeE1ES0_Li16ELi128ELi256ELb1ELi11EL8MFMAType0EEvPKT_PKT0_S9_ifPKiSB_SB_iPKfiiiPfSE_PS4_PT2_iSD_SD_,comdat
.Lfunc_end904:
	.size	_Z39paged_attention_ll4mi_QKV_mfma16_kernelI14__hip_bfloat16hLN4vllm18Fp8KVCacheDataTypeE1ES0_Li16ELi128ELi256ELb1ELi11EL8MFMAType0EEvPKT_PKT0_S9_ifPKiSB_SB_iPKfiiiPfSE_PS4_PT2_iSD_SD_, .Lfunc_end904-_Z39paged_attention_ll4mi_QKV_mfma16_kernelI14__hip_bfloat16hLN4vllm18Fp8KVCacheDataTypeE1ES0_Li16ELi128ELi256ELb1ELi11EL8MFMAType0EEvPKT_PKT0_S9_ifPKiSB_SB_iPKfiiiPfSE_PS4_PT2_iSD_SD_
                                        ; -- End function
	.section	.AMDGPU.csdata,"",@progbits
; Kernel info:
; codeLenInByte = 22492
; NumSgprs: 57
; NumVgprs: 80
; NumAgprs: 0
; TotalNumVgprs: 80
; ScratchSize: 352
; MemoryBound: 0
; FloatMode: 240
; IeeeMode: 1
; LDSByteSize: 8192 bytes/workgroup (compile time only)
; SGPRBlocks: 7
; VGPRBlocks: 9
; NumSGPRsForWavesPerEU: 57
; NumVGPRsForWavesPerEU: 80
; AccumOffset: 80
; Occupancy: 6
; WaveLimiterHint : 1
; COMPUTE_PGM_RSRC2:SCRATCH_EN: 1
; COMPUTE_PGM_RSRC2:USER_SGPR: 8
; COMPUTE_PGM_RSRC2:TRAP_HANDLER: 0
; COMPUTE_PGM_RSRC2:TGID_X_EN: 1
; COMPUTE_PGM_RSRC2:TGID_Y_EN: 1
; COMPUTE_PGM_RSRC2:TGID_Z_EN: 1
; COMPUTE_PGM_RSRC2:TIDIG_COMP_CNT: 0
; COMPUTE_PGM_RSRC3_GFX90A:ACCUM_OFFSET: 19
; COMPUTE_PGM_RSRC3_GFX90A:TG_SPLIT: 0
	.section	.text._Z39paged_attention_ll4mi_QKV_mfma16_kernelI14__hip_bfloat16hLN4vllm18Fp8KVCacheDataTypeE1ES0_Li16ELi128ELi256ELb1ELi12EL8MFMAType0EEvPKT_PKT0_S9_ifPKiSB_SB_iPKfiiiPfSE_PS4_PT2_iSD_SD_,"axG",@progbits,_Z39paged_attention_ll4mi_QKV_mfma16_kernelI14__hip_bfloat16hLN4vllm18Fp8KVCacheDataTypeE1ES0_Li16ELi128ELi256ELb1ELi12EL8MFMAType0EEvPKT_PKT0_S9_ifPKiSB_SB_iPKfiiiPfSE_PS4_PT2_iSD_SD_,comdat
	.protected	_Z39paged_attention_ll4mi_QKV_mfma16_kernelI14__hip_bfloat16hLN4vllm18Fp8KVCacheDataTypeE1ES0_Li16ELi128ELi256ELb1ELi12EL8MFMAType0EEvPKT_PKT0_S9_ifPKiSB_SB_iPKfiiiPfSE_PS4_PT2_iSD_SD_ ; -- Begin function _Z39paged_attention_ll4mi_QKV_mfma16_kernelI14__hip_bfloat16hLN4vllm18Fp8KVCacheDataTypeE1ES0_Li16ELi128ELi256ELb1ELi12EL8MFMAType0EEvPKT_PKT0_S9_ifPKiSB_SB_iPKfiiiPfSE_PS4_PT2_iSD_SD_
	.globl	_Z39paged_attention_ll4mi_QKV_mfma16_kernelI14__hip_bfloat16hLN4vllm18Fp8KVCacheDataTypeE1ES0_Li16ELi128ELi256ELb1ELi12EL8MFMAType0EEvPKT_PKT0_S9_ifPKiSB_SB_iPKfiiiPfSE_PS4_PT2_iSD_SD_
	.p2align	8
	.type	_Z39paged_attention_ll4mi_QKV_mfma16_kernelI14__hip_bfloat16hLN4vllm18Fp8KVCacheDataTypeE1ES0_Li16ELi128ELi256ELb1ELi12EL8MFMAType0EEvPKT_PKT0_S9_ifPKiSB_SB_iPKfiiiPfSE_PS4_PT2_iSD_SD_,@function
_Z39paged_attention_ll4mi_QKV_mfma16_kernelI14__hip_bfloat16hLN4vllm18Fp8KVCacheDataTypeE1ES0_Li16ELi128ELi256ELb1ELi12EL8MFMAType0EEvPKT_PKT0_S9_ifPKiSB_SB_iPKfiiiPfSE_PS4_PT2_iSD_SD_: ; @_Z39paged_attention_ll4mi_QKV_mfma16_kernelI14__hip_bfloat16hLN4vllm18Fp8KVCacheDataTypeE1ES0_Li16ELi128ELi256ELb1ELi12EL8MFMAType0EEvPKT_PKT0_S9_ifPKiSB_SB_iPKfiiiPfSE_PS4_PT2_iSD_SD_
; %bb.0:
	s_load_dwordx2 s[6:7], s[4:5], 0x30
	s_add_u32 s0, s0, s11
	s_addc_u32 s1, s1, 0
	s_mov_b32 s26, s9
	s_mov_b64 s[14:15], 0
	s_waitcnt lgkmcnt(0)
	s_cmp_lg_u64 s[6:7], 0
	s_cselect_b64 s[12:13], -1, 0
	s_and_b64 vcc, exec, s[12:13]
	s_cbranch_vccz .LBB905_7
; %bb.1:
	s_add_i32 s16, s8, 1
	s_mov_b32 s17, 0
	s_lshl_b64 s[18:19], s[16:17], 2
	s_add_u32 s18, s6, s18
	s_mov_b32 s9, s17
	s_addc_u32 s19, s7, s19
	s_lshl_b64 s[16:17], s[8:9], 2
	s_add_u32 s16, s6, s16
	s_addc_u32 s17, s7, s17
	s_load_dword s11, s[18:19], 0x0
	s_load_dword s20, s[16:17], 0x0
	s_waitcnt lgkmcnt(0)
	s_sub_i32 s11, s11, s20
	s_cmp_eq_u32 s11, 1
	s_cselect_b64 s[16:17], -1, 0
	s_andn2_b64 vcc, exec, s[14:15]
	s_cbranch_vccnz .LBB905_3
.LBB905_2:
	s_mov_b32 s9, 0
	s_mov_b64 s[16:17], -1
.LBB905_3:
	s_andn2_b64 vcc, exec, s[16:17]
	s_cbranch_vccnz .LBB905_599
; %bb.4:
	s_load_dwordx2 s[16:17], s[4:5], 0x28
	s_lshl_b64 s[14:15], s[8:9], 2
	s_waitcnt lgkmcnt(0)
	s_add_u32 s16, s16, s14
	s_addc_u32 s17, s17, s15
	s_load_dword s33, s[16:17], 0x0
	s_lshl_b32 s20, s26, 8
	s_waitcnt lgkmcnt(0)
	s_cmp_ge_i32 s20, s33
	s_cbranch_scc1 .LBB905_599
; %bb.5:
	s_add_i32 s18, s33, 15
	s_load_dwordx2 s[16:17], s[4:5], 0x20
	s_load_dword s11, s[4:5], 0x38
	s_ashr_i32 s19, s18, 31
	v_and_b32_e32 v1, 0xcf, v0
	s_lshr_b32 s19, s19, 28
	v_add_u32_e32 v1, s20, v1
	s_add_i32 s18, s18, s19
	v_ashrrev_i32_e32 v2, 31, v1
	s_ashr_i32 s23, s18, 4
	v_lshrrev_b32_e32 v4, 28, v2
	s_add_i32 s23, s23, -1
	v_add_u32_e32 v2, v1, v4
	s_waitcnt lgkmcnt(0)
	s_mul_i32 s18, s8, s11
	s_mov_b32 s19, 0
	v_ashrrev_i32_e32 v2, 4, v2
	v_mov_b32_e32 v5, s23
	v_cmp_gt_i32_e32 vcc, s33, v1
	s_lshl_b64 s[18:19], s[18:19], 2
	v_cndmask_b32_e32 v2, v5, v2, vcc
	s_add_u32 s21, s16, s18
	v_ashrrev_i32_e32 v3, 31, v2
	s_addc_u32 s22, s17, s19
	v_lshlrev_b64 v[2:3], 2, v[2:3]
	v_mov_b32_e32 v7, s22
	v_add_co_u32_e32 v6, vcc, s21, v2
	v_or_b32_e32 v2, 16, v1
	v_addc_co_u32_e32 v7, vcc, v7, v3, vcc
	v_add_u32_e32 v3, v2, v4
	v_ashrrev_i32_e32 v3, 4, v3
	v_cmp_gt_i32_e32 vcc, s33, v2
	v_cndmask_b32_e32 v2, v5, v3, vcc
	v_ashrrev_i32_e32 v3, 31, v2
	v_lshlrev_b64 v[2:3], 2, v[2:3]
	v_mov_b32_e32 v9, s22
	v_add_co_u32_e32 v8, vcc, s21, v2
	v_or_b32_e32 v2, 32, v1
	v_addc_co_u32_e32 v9, vcc, v9, v3, vcc
	v_add_u32_e32 v3, v2, v4
	v_ashrrev_i32_e32 v3, 4, v3
	v_cmp_gt_i32_e32 vcc, s33, v2
	v_cndmask_b32_e32 v2, v5, v3, vcc
	v_ashrrev_i32_e32 v3, 31, v2
	;; [unrolled: 10-line block ×3, first 2 shown]
	v_lshlrev_b64 v[2:3], 2, v[2:3]
	v_mov_b32_e32 v1, s22
	v_add_co_u32_e32 v12, vcc, s21, v2
	v_addc_co_u32_e32 v13, vcc, v1, v3, vcc
	global_load_dword v5, v[6:7], off
	global_load_dword v4, v[8:9], off
	;; [unrolled: 1-line block ×4, first 2 shown]
	s_load_dwordx2 s[16:17], s[4:5], 0x8
	s_andn2_b64 vcc, exec, s[12:13]
	s_cbranch_vccnz .LBB905_8
; %bb.6:
	s_add_u32 s6, s6, s14
	s_addc_u32 s7, s7, s15
	s_load_dword s11, s[6:7], 0x0
	s_branch .LBB905_9
.LBB905_7:
	s_mov_b64 s[16:17], 0
	s_branch .LBB905_2
.LBB905_8:
	s_mov_b32 s11, s8
.LBB905_9:
	s_load_dwordx2 s[6:7], s[4:5], 0x10
	s_load_dwordx4 s[12:15], s[4:5], 0x48
	v_and_b32_e32 v41, 15, v0
	v_lshlrev_b32_e32 v6, 3, v41
	s_waitcnt lgkmcnt(0)
	s_movk_i32 s15, 0xc0
	v_lshrrev_b32_e32 v27, 6, v0
	v_bfe_u32 v1, v0, 4, 2
	s_mul_i32 s27, s10, 12
	v_cmp_gt_u32_e32 vcc, s15, v0
	v_lshlrev_b32_e32 v39, 1, v6
	v_lshlrev_b32_e32 v43, 4, v0
	s_and_saveexec_b64 s[18:19], vcc
	s_cbranch_execz .LBB905_11
; %bb.10:
	s_load_dwordx2 s[24:25], s[4:5], 0x0
	s_ashr_i32 s15, s12, 31
	s_mul_hi_u32 s28, s11, s12
	s_mul_i32 s15, s11, s15
	v_lshl_or_b32 v10, v27, 2, v1
	s_add_i32 s29, s28, s15
	s_mul_i32 s28, s11, s12
	s_lshl_b64 s[28:29], s[28:29], 1
	v_add_lshl_u32 v6, v10, s27, 7
	s_waitcnt lgkmcnt(0)
	s_add_u32 s11, s24, s28
	v_ashrrev_i32_e32 v7, 31, v6
	s_addc_u32 s12, s25, s29
	v_lshlrev_b64 v[6:7], 1, v[6:7]
	v_mov_b32_e32 v8, s12
	v_add_co_u32_e32 v6, vcc, s11, v6
	v_addc_co_u32_e32 v7, vcc, v8, v7, vcc
	v_add_co_u32_e32 v6, vcc, v6, v39
	v_addc_co_u32_e32 v7, vcc, 0, v7, vcc
	global_load_dwordx4 v[6:9], v[6:7], off
	v_lshlrev_b32_e32 v12, 8, v0
	v_lshlrev_b32_e32 v11, 8, v41
	v_and_b32_e32 v12, 0x600, v12
	s_movk_i32 s11, 0x800
	v_and_or_b32 v11, v11, s11, v12
	v_lshlrev_b32_e32 v10, 5, v10
	v_and_b32_e32 v12, 16, v43
	v_or3_b32 v10, v11, v10, v12
	s_waitcnt vmcnt(0)
	ds_write_b128 v10, v[6:9]
.LBB905_11:
	s_or_b64 exec, exec, s[18:19]
	s_mul_i32 s14, s10, s14
	s_add_u32 s10, s16, s14
	s_addc_u32 s11, s17, 0
	v_and_b32_e32 v6, 0xf0, v43
	v_mov_b32_e32 v7, s11
	v_add_co_u32_e32 v6, vcc, s10, v6
	v_and_b32_e32 v18, 48, v0
	v_addc_co_u32_e32 v7, vcc, 0, v7, vcc
	v_lshlrev_b32_e32 v10, 4, v18
	s_waitcnt vmcnt(3)
	v_mad_i64_i32 v[8:9], s[10:11], v5, s13, v[6:7]
	v_add_co_u32_e32 v8, vcc, v8, v10
	v_addc_co_u32_e32 v9, vcc, 0, v9, vcc
	s_waitcnt vmcnt(2)
	v_mad_i64_i32 v[4:5], s[10:11], v4, s13, v[6:7]
	v_add_co_u32_e32 v4, vcc, v4, v10
	v_addc_co_u32_e32 v5, vcc, 0, v5, vcc
	s_load_dwordx2 s[48:49], s[4:5], 0x94
	s_waitcnt lgkmcnt(0)
	s_barrier
	global_load_dwordx4 v[20:23], v[8:9], off
	global_load_dwordx4 v[28:31], v[8:9], off offset:1024
	global_load_dwordx4 v[32:35], v[4:5], off
	global_load_dwordx4 v[44:47], v[4:5], off offset:1024
	s_waitcnt vmcnt(5)
	v_mad_i64_i32 v[4:5], s[10:11], v3, s13, v[6:7]
	v_add_co_u32_e32 v4, vcc, v4, v10
	v_addc_co_u32_e32 v5, vcc, 0, v5, vcc
	s_waitcnt vmcnt(4)
	v_mad_i64_i32 v[2:3], s[10:11], v2, s13, v[6:7]
	v_add_co_u32_e32 v2, vcc, v2, v10
	v_addc_co_u32_e32 v3, vcc, 0, v3, vcc
	global_load_dwordx4 v[48:51], v[4:5], off
	global_load_dwordx4 v[52:55], v[4:5], off offset:1024
	global_load_dwordx4 v[56:59], v[2:3], off
	global_load_dwordx4 v[60:63], v[2:3], off offset:1024
	v_add_u32_e32 v2, -12, v41
	v_cmp_gt_u32_e32 vcc, 12, v41
	v_cndmask_b32_e32 v2, v2, v41, vcc
	v_lshlrev_b32_e32 v2, 5, v2
	v_lshl_add_u32 v14, v1, 9, v2
	s_load_dwordx2 s[50:51], s[4:5], 0x68
	s_load_dwordx4 s[44:47], s[4:5], 0x58
	ds_read_b128 v[2:5], v14
	ds_read_b128 v[6:9], v14 offset:16
	ds_read_b128 v[10:13], v14 offset:2048
	;; [unrolled: 1-line block ×3, first 2 shown]
	s_mov_b32 s12, 0
	s_waitcnt vmcnt(7)
	buffer_store_dword v23, off, s[0:3], 0 offset:12
	buffer_store_dword v22, off, s[0:3], 0 offset:8
	;; [unrolled: 1-line block ×3, first 2 shown]
	buffer_store_dword v20, off, s[0:3], 0
	s_waitcnt vmcnt(10)
	buffer_store_dword v31, off, s[0:3], 0 offset:28
	buffer_store_dword v30, off, s[0:3], 0 offset:24
	buffer_store_dword v29, off, s[0:3], 0 offset:20
	buffer_store_dword v28, off, s[0:3], 0 offset:16
	s_waitcnt vmcnt(13)
	buffer_store_dword v35, off, s[0:3], 0 offset:44
	buffer_store_dword v34, off, s[0:3], 0 offset:40
	buffer_store_dword v33, off, s[0:3], 0 offset:36
	buffer_store_dword v32, off, s[0:3], 0 offset:32
	;; [unrolled: 5-line block ×7, first 2 shown]
	v_mov_b32_e32 v35, 0
	v_mov_b32_e32 v31, 0
	s_and_saveexec_b64 s[10:11], vcc
	s_cbranch_execz .LBB905_13
; %bb.12:
	s_load_dwordx2 s[16:17], s[4:5], 0x40
	v_add_u32_e32 v20, s27, v41
	v_ashrrev_i32_e32 v21, 31, v20
	v_lshlrev_b64 v[20:21], 2, v[20:21]
	s_waitcnt lgkmcnt(0)
	v_mov_b32_e32 v19, s17
	v_add_co_u32_e32 v20, vcc, s16, v20
	v_addc_co_u32_e32 v21, vcc, v19, v21, vcc
	global_load_dword v31, v[20:21], off
.LBB905_13:
	s_or_b64 exec, exec, s[10:11]
	v_or_b32_e32 v22, s20, v18
	v_ashrrev_i32_e32 v18, 4, v22
	v_mov_b32_e32 v23, s23
	v_cmp_gt_i32_e32 vcc, s33, v22
	v_cndmask_b32_e32 v18, v23, v18, vcc
	v_ashrrev_i32_e32 v19, 31, v18
	v_lshlrev_b64 v[18:19], 2, v[18:19]
	v_mov_b32_e32 v20, s22
	v_add_co_u32_e32 v18, vcc, s21, v18
	v_addc_co_u32_e32 v19, vcc, v20, v19, vcc
	global_load_dword v26, v[18:19], off
	v_or_b32_e32 v18, 64, v22
	v_ashrrev_i32_e32 v19, 4, v18
	v_cmp_gt_i32_e32 vcc, s33, v18
	v_cndmask_b32_e32 v18, v23, v19, vcc
	v_ashrrev_i32_e32 v19, 31, v18
	v_lshlrev_b64 v[18:19], 2, v[18:19]
	v_add_co_u32_e32 v18, vcc, s21, v18
	v_addc_co_u32_e32 v19, vcc, v20, v19, vcc
	v_or_b32_e32 v20, 0x80, v22
	v_ashrrev_i32_e32 v21, 4, v20
	v_cmp_gt_i32_e32 vcc, s33, v20
	v_cndmask_b32_e32 v20, v23, v21, vcc
	v_ashrrev_i32_e32 v21, 31, v20
	v_lshlrev_b64 v[20:21], 2, v[20:21]
	v_mov_b32_e32 v24, s22
	v_add_co_u32_e32 v20, vcc, s21, v20
	v_addc_co_u32_e32 v21, vcc, v24, v21, vcc
	global_load_dword v28, v[18:19], off
	global_load_dword v30, v[20:21], off
	v_or_b32_e32 v18, 0xc0, v22
	v_ashrrev_i32_e32 v19, 4, v18
	v_cmp_gt_i32_e32 vcc, s33, v18
	v_cndmask_b32_e32 v18, v23, v19, vcc
	v_ashrrev_i32_e32 v19, 31, v18
	v_lshlrev_b64 v[18:19], 2, v[18:19]
	v_mov_b32_e32 v20, s22
	v_add_co_u32_e32 v18, vcc, s21, v18
	v_addc_co_u32_e32 v19, vcc, v20, v19, vcc
	global_load_dword v34, v[18:19], off
	s_add_u32 s10, s6, s14
	v_lshl_or_b32 v29, v27, 4, v41
	s_addc_u32 s6, s7, 0
	v_lshlrev_b32_e32 v18, 4, v29
	v_mov_b32_e32 v19, s6
	v_add_co_u32_e32 v22, vcc, s10, v18
	v_addc_co_u32_e32 v23, vcc, 0, v19, vcc
	v_or_b32_e32 v24, 0x400, v18
	v_mov_b32_e32 v25, s6
	v_add_co_u32_e32 v24, vcc, s10, v24
	v_addc_co_u32_e32 v25, vcc, 0, v25, vcc
	v_mov_b32_e32 v36, 0
	s_movk_i32 s14, 0x7f
	s_mov_b32 s15, 0xffffff
	s_mov_b32 s16, 0x5040100
	v_mov_b32_e32 v37, 0x100
	v_bfrev_b32_e32 v38, 60
	s_waitcnt vmcnt(3)
	v_mad_i64_i32 v[18:19], s[6:7], v26, s13, v[22:23]
	global_load_dwordx4 v[18:21], v[18:19], off
	v_mad_i64_i32 v[32:33], s[6:7], v26, s13, v[24:25]
	global_load_dwordx4 v[52:55], v[32:33], off
	s_waitcnt vmcnt(4)
	v_mad_i64_i32 v[32:33], s[6:7], v28, s13, v[22:23]
	global_load_dwordx4 v[56:59], v[32:33], off
	s_waitcnt vmcnt(4)
	;; [unrolled: 3-line block ×3, first 2 shown]
	v_mad_i64_i32 v[22:23], s[6:7], v34, s13, v[22:23]
	global_load_dwordx4 v[64:67], v[22:23], off
	v_mad_i64_i32 v[22:23], s[6:7], v28, s13, v[24:25]
	global_load_dwordx4 v[68:71], v[22:23], off
	;; [unrolled: 2-line block ×4, first 2 shown]
	s_load_dword s6, s[4:5], 0x1c
	s_load_dwordx4 s[40:43], s[4:5], 0x80
	v_mov_b32_e32 v22, 0x80
	v_add_u32_e32 v45, 16, v22
	v_add_u32_e32 v46, 32, v22
	;; [unrolled: 1-line block ×3, first 2 shown]
	s_waitcnt lgkmcnt(0)
	s_load_dword s4, s[40:41], 0x0
	v_add_u32_e32 v51, 64, v22
	v_add_u32_e32 v48, 0x50, v22
	;; [unrolled: 1-line block ×4, first 2 shown]
	v_mov_b32_e32 v22, s6
	s_waitcnt lgkmcnt(0)
	v_mul_f32_e32 v22, s4, v22
	v_and_b32_e32 v33, 63, v0
	s_movk_i32 s13, 0x80
	v_mov_b32_e32 v24, v22
	v_mov_b32_e32 v25, v22
	s_waitcnt vmcnt(7)
	buffer_store_dword v21, off, s[0:3], 0 offset:140
	buffer_store_dword v20, off, s[0:3], 0 offset:136
	buffer_store_dword v19, off, s[0:3], 0 offset:132
	buffer_store_dword v18, off, s[0:3], 0 offset:128
	s_waitcnt vmcnt(10)
	buffer_store_dword v55, off, s[0:3], 0 offset:156
	buffer_store_dword v54, off, s[0:3], 0 offset:152
	buffer_store_dword v53, off, s[0:3], 0 offset:148
	buffer_store_dword v52, off, s[0:3], 0 offset:144
	;; [unrolled: 5-line block ×8, first 2 shown]
	s_branch .LBB905_17
.LBB905_14:                             ;   in Loop: Header=BB905_17 Depth=1
	s_or_b64 exec, exec, s[10:11]
.LBB905_15:                             ;   in Loop: Header=BB905_17 Depth=1
	s_or_b64 exec, exec, s[6:7]
.LBB905_16:                             ;   in Loop: Header=BB905_17 Depth=1
	s_or_b64 exec, exec, s[4:5]
	v_perm_b32 v55, v40, v34, s16
	v_perm_b32 v54, v23, v32, s16
	;; [unrolled: 1-line block ×4, first 2 shown]
	v_add_u32_e32 v26, s12, v37
	v_mfma_f32_16x16x16bf16_1k v[18:21], v[54:55], v[14:15], v[18:21]
	s_add_i32 s12, s12, 16
	v_mov_b32_e32 v23, v22
	s_cmp_eq_u32 s12, 64
	v_add_u32_e32 v36, 32, v36
	v_mfma_f32_16x16x16bf16_1k v[18:21], v[52:53], v[16:17], v[18:21]
	s_nop 7
	s_nop 2
	v_pk_mul_f32 v[18:19], v[24:25], v[18:19]
	v_pk_mul_f32 v[20:21], v[22:23], v[20:21]
	buffer_store_dword v19, v26, s[0:3], 0 offen offset:4
	buffer_store_dword v18, v26, s[0:3], 0 offen
	buffer_store_dword v21, v26, s[0:3], 0 offen offset:12
	buffer_store_dword v20, v26, s[0:3], 0 offen offset:8
	s_cbranch_scc1 .LBB905_207
.LBB905_17:                             ; =>This Inner Loop Header: Depth=1
	buffer_load_dword v20, v36, s[0:3], 0 offen
	buffer_load_dword v18, v36, s[0:3], 0 offen offset:4
	buffer_load_dword v28, v36, s[0:3], 0 offen offset:8
	;; [unrolled: 1-line block ×3, first 2 shown]
	v_mov_b32_e32 v19, 0
	v_mov_b32_e32 v21, 0
	s_waitcnt vmcnt(3)
	v_cmp_ne_u16_sdwa s[6:7], v20, v35 src0_sel:BYTE_0 src1_sel:DWORD
	s_and_saveexec_b64 s[4:5], s[6:7]
	s_cbranch_execz .LBB905_23
; %bb.18:                               ;   in Loop: Header=BB905_17 Depth=1
	v_cmp_ne_u16_sdwa s[10:11], v20, s13 src0_sel:BYTE_0 src1_sel:DWORD
	v_mov_b32_e32 v21, 0xffff8000
	s_and_saveexec_b64 s[6:7], s[10:11]
	s_cbranch_execz .LBB905_22
; %bb.19:                               ;   in Loop: Header=BB905_17 Depth=1
	v_and_b32_e32 v23, 0x7f, v20
	v_cmp_ne_u32_e32 vcc, s14, v23
	v_mov_b32_e32 v21, 0x7f80
	s_and_saveexec_b64 s[10:11], vcc
	s_cbranch_execz .LBB905_21
; %bb.20:                               ;   in Loop: Header=BB905_17 Depth=1
	v_and_b32_e32 v21, 7, v20
	v_ffbh_u32_e32 v32, v21
	v_min_u32_e32 v32, 32, v32
	v_subrev_u32_e32 v34, 28, v32
	v_lshlrev_b64 v[52:53], v34, v[20:21]
	v_lshrrev_b32_e32 v30, 3, v23
	v_sub_u32_e32 v32, 29, v32
	v_and_b32_e32 v34, 7, v52
	v_cmp_gt_u32_e32 vcc, 8, v23
	v_cndmask_b32_e32 v23, v30, v32, vcc
	v_cndmask_b32_e32 v21, v21, v34, vcc
	v_lshlrev_b32_e32 v30, 24, v20
	v_lshlrev_b32_e32 v21, 20, v21
	v_and_b32_e32 v30, 0x80000000, v30
	v_lshl_add_u32 v23, v23, 23, v38
	v_or3_b32 v21, v30, v23, v21
	v_lshrrev_b32_e32 v21, 16, v21
.LBB905_21:                             ;   in Loop: Header=BB905_17 Depth=1
	s_or_b64 exec, exec, s[10:11]
.LBB905_22:                             ;   in Loop: Header=BB905_17 Depth=1
	s_or_b64 exec, exec, s[6:7]
.LBB905_23:                             ;   in Loop: Header=BB905_17 Depth=1
	s_or_b64 exec, exec, s[4:5]
	v_lshrrev_b16_e32 v30, 8, v20
	v_cmp_ne_u16_e32 vcc, 0, v30
	s_and_saveexec_b64 s[4:5], vcc
	s_cbranch_execz .LBB905_29
; %bb.24:                               ;   in Loop: Header=BB905_17 Depth=1
	v_cmp_ne_u16_e32 vcc, s13, v30
	v_mov_b32_e32 v19, 0xffff8000
	s_and_saveexec_b64 s[6:7], vcc
	s_cbranch_execz .LBB905_28
; %bb.25:                               ;   in Loop: Header=BB905_17 Depth=1
	v_and_b32_e32 v23, 0x7f, v30
	v_cmp_ne_u32_e32 vcc, s14, v23
	v_mov_b32_e32 v19, 0x7f80
	s_and_saveexec_b64 s[10:11], vcc
	s_cbranch_execz .LBB905_27
; %bb.26:                               ;   in Loop: Header=BB905_17 Depth=1
	v_and_b32_e32 v19, 7, v30
	v_ffbh_u32_e32 v34, v19
	v_min_u32_e32 v34, 32, v34
	v_subrev_u32_e32 v40, 28, v34
	v_lshlrev_b64 v[52:53], v40, v[30:31]
	v_lshrrev_b32_e32 v32, 3, v23
	v_sub_u32_e32 v30, 29, v34
	v_and_b32_e32 v34, 7, v52
	v_cmp_gt_u32_e32 vcc, 8, v23
	v_cndmask_b32_e32 v23, v32, v30, vcc
	v_cndmask_b32_e32 v19, v19, v34, vcc
	v_lshlrev_b32_e32 v30, 16, v20
	v_lshlrev_b32_e32 v19, 20, v19
	v_and_b32_e32 v30, 0x80000000, v30
	v_lshl_add_u32 v23, v23, 23, v38
	v_or3_b32 v19, v30, v23, v19
	v_lshrrev_b32_e32 v19, 16, v19
.LBB905_27:                             ;   in Loop: Header=BB905_17 Depth=1
	s_or_b64 exec, exec, s[10:11]
.LBB905_28:                             ;   in Loop: Header=BB905_17 Depth=1
	s_or_b64 exec, exec, s[6:7]
.LBB905_29:                             ;   in Loop: Header=BB905_17 Depth=1
	s_or_b64 exec, exec, s[4:5]
	v_lshrrev_b32_e32 v30, 16, v20
	v_cmp_ne_u16_sdwa s[6:7], v30, v35 src0_sel:BYTE_0 src1_sel:DWORD
	v_mov_b32_e32 v32, 0
	v_mov_b32_e32 v23, 0
	s_and_saveexec_b64 s[4:5], s[6:7]
	s_cbranch_execz .LBB905_35
; %bb.30:                               ;   in Loop: Header=BB905_17 Depth=1
	v_cmp_ne_u16_sdwa s[10:11], v30, s13 src0_sel:BYTE_0 src1_sel:DWORD
	v_mov_b32_e32 v23, 0xffff8000
	s_and_saveexec_b64 s[6:7], s[10:11]
	s_cbranch_execz .LBB905_34
; %bb.31:                               ;   in Loop: Header=BB905_17 Depth=1
	v_bfe_u32 v34, v20, 16, 7
	v_cmp_ne_u32_e32 vcc, s14, v34
	v_mov_b32_e32 v23, 0x7f80
	s_and_saveexec_b64 s[10:11], vcc
	s_cbranch_execz .LBB905_33
; %bb.32:                               ;   in Loop: Header=BB905_17 Depth=1
	v_and_b32_e32 v23, 7, v30
	v_ffbh_u32_e32 v42, v23
	v_min_u32_e32 v42, 32, v42
	v_subrev_u32_e32 v44, 28, v42
	v_lshlrev_b64 v[52:53], v44, v[30:31]
	v_lshrrev_b32_e32 v40, 3, v34
	v_sub_u32_e32 v42, 29, v42
	v_and_b32_e32 v44, 7, v52
	v_cmp_gt_u32_e32 vcc, 8, v34
	v_cndmask_b32_e32 v34, v40, v42, vcc
	v_cndmask_b32_e32 v23, v23, v44, vcc
	v_lshlrev_b32_e32 v30, 24, v30
	v_lshlrev_b32_e32 v23, 20, v23
	v_and_b32_e32 v30, 0x80000000, v30
	v_lshl_add_u32 v34, v34, 23, v38
	v_or3_b32 v23, v30, v34, v23
	v_lshrrev_b32_e32 v23, 16, v23
.LBB905_33:                             ;   in Loop: Header=BB905_17 Depth=1
	s_or_b64 exec, exec, s[10:11]
.LBB905_34:                             ;   in Loop: Header=BB905_17 Depth=1
	s_or_b64 exec, exec, s[6:7]
.LBB905_35:                             ;   in Loop: Header=BB905_17 Depth=1
	s_or_b64 exec, exec, s[4:5]
	v_cmp_lt_u32_e32 vcc, s15, v20
	s_and_saveexec_b64 s[4:5], vcc
	s_cbranch_execz .LBB905_41
; %bb.36:                               ;   in Loop: Header=BB905_17 Depth=1
	v_lshrrev_b32_e32 v30, 24, v20
	v_cmp_ne_u32_e32 vcc, s13, v30
	v_mov_b32_e32 v32, 0xffff8000
	s_and_saveexec_b64 s[6:7], vcc
	s_cbranch_execz .LBB905_40
; %bb.37:                               ;   in Loop: Header=BB905_17 Depth=1
	v_bfe_u32 v20, v20, 24, 7
	v_cmp_ne_u32_e32 vcc, s14, v20
	v_mov_b32_e32 v32, 0x7f80
	s_and_saveexec_b64 s[10:11], vcc
	s_cbranch_execz .LBB905_39
; %bb.38:                               ;   in Loop: Header=BB905_17 Depth=1
	v_and_b32_e32 v32, 7, v30
	v_ffbh_u32_e32 v40, v32
	v_min_u32_e32 v40, 32, v40
	v_subrev_u32_e32 v42, 28, v40
	v_lshlrev_b64 v[52:53], v42, v[30:31]
	v_lshrrev_b32_e32 v34, 3, v20
	v_sub_u32_e32 v40, 29, v40
	v_and_b32_e32 v42, 7, v52
	v_cmp_gt_u32_e32 vcc, 8, v20
	v_cndmask_b32_e32 v20, v34, v40, vcc
	v_cndmask_b32_e32 v32, v32, v42, vcc
	v_lshlrev_b32_e32 v30, 24, v30
	v_lshlrev_b32_e32 v32, 20, v32
	v_and_b32_e32 v30, 0x80000000, v30
	v_lshl_add_u32 v20, v20, 23, v38
	v_or3_b32 v20, v30, v20, v32
	v_lshrrev_b32_e32 v32, 16, v20
.LBB905_39:                             ;   in Loop: Header=BB905_17 Depth=1
	s_or_b64 exec, exec, s[10:11]
.LBB905_40:                             ;   in Loop: Header=BB905_17 Depth=1
	s_or_b64 exec, exec, s[6:7]
.LBB905_41:                             ;   in Loop: Header=BB905_17 Depth=1
	s_or_b64 exec, exec, s[4:5]
	s_waitcnt vmcnt(2)
	v_cmp_ne_u16_sdwa s[6:7], v18, v35 src0_sel:BYTE_0 src1_sel:DWORD
	v_mov_b32_e32 v30, 0
	v_mov_b32_e32 v34, 0
	s_and_saveexec_b64 s[4:5], s[6:7]
	s_cbranch_execz .LBB905_47
; %bb.42:                               ;   in Loop: Header=BB905_17 Depth=1
	v_cmp_ne_u16_sdwa s[10:11], v18, s13 src0_sel:BYTE_0 src1_sel:DWORD
	v_mov_b32_e32 v34, 0xffff8000
	s_and_saveexec_b64 s[6:7], s[10:11]
	s_cbranch_execz .LBB905_46
; %bb.43:                               ;   in Loop: Header=BB905_17 Depth=1
	v_and_b32_e32 v20, 0x7f, v18
	v_cmp_ne_u32_e32 vcc, s14, v20
	v_mov_b32_e32 v34, 0x7f80
	s_and_saveexec_b64 s[10:11], vcc
	s_cbranch_execz .LBB905_45
; %bb.44:                               ;   in Loop: Header=BB905_17 Depth=1
	v_and_b32_e32 v34, 7, v18
	v_ffbh_u32_e32 v42, v34
	v_min_u32_e32 v42, 32, v42
	v_subrev_u32_e32 v44, 28, v42
	v_lshlrev_b64 v[52:53], v44, v[18:19]
	v_lshrrev_b32_e32 v40, 3, v20
	v_sub_u32_e32 v42, 29, v42
	v_and_b32_e32 v44, 7, v52
	v_cmp_gt_u32_e32 vcc, 8, v20
	v_cndmask_b32_e32 v20, v40, v42, vcc
	v_cndmask_b32_e32 v34, v34, v44, vcc
	v_lshlrev_b32_e32 v40, 24, v18
	v_lshlrev_b32_e32 v34, 20, v34
	v_and_b32_e32 v40, 0x80000000, v40
	v_lshl_add_u32 v20, v20, 23, v38
	v_or3_b32 v20, v40, v20, v34
	v_lshrrev_b32_e32 v34, 16, v20
.LBB905_45:                             ;   in Loop: Header=BB905_17 Depth=1
	s_or_b64 exec, exec, s[10:11]
.LBB905_46:                             ;   in Loop: Header=BB905_17 Depth=1
	s_or_b64 exec, exec, s[6:7]
.LBB905_47:                             ;   in Loop: Header=BB905_17 Depth=1
	s_or_b64 exec, exec, s[4:5]
	v_lshrrev_b16_e32 v20, 8, v18
	v_cmp_ne_u16_e32 vcc, 0, v20
	s_and_saveexec_b64 s[4:5], vcc
	s_cbranch_execz .LBB905_53
; %bb.48:                               ;   in Loop: Header=BB905_17 Depth=1
	v_cmp_ne_u16_e32 vcc, s13, v20
	v_mov_b32_e32 v30, 0xffff8000
	s_and_saveexec_b64 s[6:7], vcc
	s_cbranch_execz .LBB905_52
; %bb.49:                               ;   in Loop: Header=BB905_17 Depth=1
	v_and_b32_e32 v40, 0x7f, v20
	v_cmp_ne_u32_e32 vcc, s14, v40
	v_mov_b32_e32 v30, 0x7f80
	s_and_saveexec_b64 s[10:11], vcc
	s_cbranch_execz .LBB905_51
; %bb.50:                               ;   in Loop: Header=BB905_17 Depth=1
	v_and_b32_e32 v30, 7, v20
	v_ffbh_u32_e32 v44, v30
	v_min_u32_e32 v44, 32, v44
	v_subrev_u32_e32 v52, 28, v44
	v_lshlrev_b64 v[52:53], v52, v[20:21]
	v_lshrrev_b32_e32 v42, 3, v40
	v_sub_u32_e32 v20, 29, v44
	v_and_b32_e32 v44, 7, v52
	v_cmp_gt_u32_e32 vcc, 8, v40
	v_cndmask_b32_e32 v20, v42, v20, vcc
	v_cndmask_b32_e32 v30, v30, v44, vcc
	v_lshlrev_b32_e32 v40, 16, v18
	v_lshlrev_b32_e32 v30, 20, v30
	v_and_b32_e32 v40, 0x80000000, v40
	v_lshl_add_u32 v20, v20, 23, v38
	v_or3_b32 v20, v40, v20, v30
	v_lshrrev_b32_e32 v30, 16, v20
.LBB905_51:                             ;   in Loop: Header=BB905_17 Depth=1
	s_or_b64 exec, exec, s[10:11]
.LBB905_52:                             ;   in Loop: Header=BB905_17 Depth=1
	s_or_b64 exec, exec, s[6:7]
.LBB905_53:                             ;   in Loop: Header=BB905_17 Depth=1
	s_or_b64 exec, exec, s[4:5]
	v_lshrrev_b32_e32 v20, 16, v18
	v_cmp_ne_u16_sdwa s[6:7], v20, v35 src0_sel:BYTE_0 src1_sel:DWORD
	v_mov_b32_e32 v42, 0
	v_mov_b32_e32 v40, 0
	s_and_saveexec_b64 s[4:5], s[6:7]
	s_cbranch_execz .LBB905_59
; %bb.54:                               ;   in Loop: Header=BB905_17 Depth=1
	v_cmp_ne_u16_sdwa s[10:11], v20, s13 src0_sel:BYTE_0 src1_sel:DWORD
	v_mov_b32_e32 v40, 0xffff8000
	s_and_saveexec_b64 s[6:7], s[10:11]
	s_cbranch_execz .LBB905_58
; %bb.55:                               ;   in Loop: Header=BB905_17 Depth=1
	v_bfe_u32 v44, v18, 16, 7
	v_cmp_ne_u32_e32 vcc, s14, v44
	v_mov_b32_e32 v40, 0x7f80
	s_and_saveexec_b64 s[10:11], vcc
	s_cbranch_execz .LBB905_57
; %bb.56:                               ;   in Loop: Header=BB905_17 Depth=1
	v_and_b32_e32 v40, 7, v20
	v_ffbh_u32_e32 v52, v40
	v_min_u32_e32 v55, 32, v52
	v_subrev_u32_e32 v52, 28, v55
	v_lshlrev_b64 v[52:53], v52, v[20:21]
	v_lshrrev_b32_e32 v54, 3, v44
	v_sub_u32_e32 v53, 29, v55
	v_and_b32_e32 v52, 7, v52
	v_cmp_gt_u32_e32 vcc, 8, v44
	v_cndmask_b32_e32 v44, v54, v53, vcc
	v_cndmask_b32_e32 v40, v40, v52, vcc
	v_lshlrev_b32_e32 v20, 24, v20
	v_lshlrev_b32_e32 v40, 20, v40
	v_and_b32_e32 v20, 0x80000000, v20
	v_lshl_add_u32 v44, v44, 23, v38
	v_or3_b32 v20, v20, v44, v40
	v_lshrrev_b32_e32 v40, 16, v20
.LBB905_57:                             ;   in Loop: Header=BB905_17 Depth=1
	s_or_b64 exec, exec, s[10:11]
.LBB905_58:                             ;   in Loop: Header=BB905_17 Depth=1
	s_or_b64 exec, exec, s[6:7]
.LBB905_59:                             ;   in Loop: Header=BB905_17 Depth=1
	s_or_b64 exec, exec, s[4:5]
	v_cmp_lt_u32_e32 vcc, s15, v18
	s_and_saveexec_b64 s[4:5], vcc
	s_cbranch_execz .LBB905_65
; %bb.60:                               ;   in Loop: Header=BB905_17 Depth=1
	v_lshrrev_b32_e32 v20, 24, v18
	v_cmp_ne_u32_e32 vcc, s13, v20
	v_mov_b32_e32 v42, 0xffff8000
	s_and_saveexec_b64 s[6:7], vcc
	s_cbranch_execz .LBB905_64
; %bb.61:                               ;   in Loop: Header=BB905_17 Depth=1
	v_bfe_u32 v18, v18, 24, 7
	v_cmp_ne_u32_e32 vcc, s14, v18
	v_mov_b32_e32 v42, 0x7f80
	s_and_saveexec_b64 s[10:11], vcc
	s_cbranch_execz .LBB905_63
; %bb.62:                               ;   in Loop: Header=BB905_17 Depth=1
	v_and_b32_e32 v42, 7, v20
	v_ffbh_u32_e32 v52, v42
	v_min_u32_e32 v54, 32, v52
	v_subrev_u32_e32 v52, 28, v54
	v_lshlrev_b64 v[52:53], v52, v[20:21]
	v_lshrrev_b32_e32 v44, 3, v18
	v_sub_u32_e32 v53, 29, v54
	v_and_b32_e32 v52, 7, v52
	v_cmp_gt_u32_e32 vcc, 8, v18
	v_cndmask_b32_e32 v18, v44, v53, vcc
	v_cndmask_b32_e32 v42, v42, v52, vcc
	v_lshlrev_b32_e32 v20, 24, v20
	v_lshlrev_b32_e32 v42, 20, v42
	v_and_b32_e32 v20, 0x80000000, v20
	v_lshl_add_u32 v18, v18, 23, v38
	v_or3_b32 v18, v20, v18, v42
	v_lshrrev_b32_e32 v42, 16, v18
.LBB905_63:                             ;   in Loop: Header=BB905_17 Depth=1
	s_or_b64 exec, exec, s[10:11]
.LBB905_64:                             ;   in Loop: Header=BB905_17 Depth=1
	s_or_b64 exec, exec, s[6:7]
.LBB905_65:                             ;   in Loop: Header=BB905_17 Depth=1
	s_or_b64 exec, exec, s[4:5]
	v_perm_b32 v53, v32, v23, s16
	v_perm_b32 v52, v19, v21, s16
	s_waitcnt vmcnt(1)
	v_cmp_ne_u16_sdwa s[6:7], v28, v35 src0_sel:BYTE_0 src1_sel:DWORD
	v_mov_b32_e32 v23, 0
	v_mov_b32_e32 v32, 0
	v_mfma_f32_16x16x16bf16_1k v[18:21], v[52:53], v[2:3], 0
	v_perm_b32 v53, v42, v40, s16
	v_perm_b32 v52, v30, v34, s16
	s_nop 1
	v_mfma_f32_16x16x16bf16_1k v[18:21], v[52:53], v[4:5], v[18:21]
	s_and_saveexec_b64 s[4:5], s[6:7]
	s_cbranch_execz .LBB905_71
; %bb.66:                               ;   in Loop: Header=BB905_17 Depth=1
	v_cmp_ne_u16_sdwa s[10:11], v28, s13 src0_sel:BYTE_0 src1_sel:DWORD
	v_mov_b32_e32 v32, 0xffff8000
	s_and_saveexec_b64 s[6:7], s[10:11]
	s_cbranch_execz .LBB905_70
; %bb.67:                               ;   in Loop: Header=BB905_17 Depth=1
	v_and_b32_e32 v30, 0x7f, v28
	v_cmp_ne_u32_e32 vcc, s14, v30
	v_mov_b32_e32 v32, 0x7f80
	s_and_saveexec_b64 s[10:11], vcc
	s_cbranch_execz .LBB905_69
; %bb.68:                               ;   in Loop: Header=BB905_17 Depth=1
	v_and_b32_e32 v32, 7, v28
	v_ffbh_u32_e32 v40, v32
	v_min_u32_e32 v40, 32, v40
	v_subrev_u32_e32 v42, 28, v40
	v_lshlrev_b64 v[52:53], v42, v[28:29]
	v_lshrrev_b32_e32 v34, 3, v30
	v_sub_u32_e32 v40, 29, v40
	v_and_b32_e32 v42, 7, v52
	v_cmp_gt_u32_e32 vcc, 8, v30
	v_cndmask_b32_e32 v30, v34, v40, vcc
	v_cndmask_b32_e32 v32, v32, v42, vcc
	v_lshlrev_b32_e32 v34, 24, v28
	v_lshlrev_b32_e32 v32, 20, v32
	v_and_b32_e32 v34, 0x80000000, v34
	v_lshl_add_u32 v30, v30, 23, v38
	v_or3_b32 v30, v34, v30, v32
	v_lshrrev_b32_e32 v32, 16, v30
.LBB905_69:                             ;   in Loop: Header=BB905_17 Depth=1
	s_or_b64 exec, exec, s[10:11]
.LBB905_70:                             ;   in Loop: Header=BB905_17 Depth=1
	s_or_b64 exec, exec, s[6:7]
.LBB905_71:                             ;   in Loop: Header=BB905_17 Depth=1
	s_or_b64 exec, exec, s[4:5]
	v_lshrrev_b16_e32 v30, 8, v28
	v_cmp_ne_u16_e32 vcc, 0, v30
	s_and_saveexec_b64 s[4:5], vcc
	s_cbranch_execz .LBB905_77
; %bb.72:                               ;   in Loop: Header=BB905_17 Depth=1
	v_cmp_ne_u16_e32 vcc, s13, v30
	v_mov_b32_e32 v23, 0xffff8000
	s_and_saveexec_b64 s[6:7], vcc
	s_cbranch_execz .LBB905_76
; %bb.73:                               ;   in Loop: Header=BB905_17 Depth=1
	v_and_b32_e32 v34, 0x7f, v30
	v_cmp_ne_u32_e32 vcc, s14, v34
	v_mov_b32_e32 v23, 0x7f80
	s_and_saveexec_b64 s[10:11], vcc
	s_cbranch_execz .LBB905_75
; %bb.74:                               ;   in Loop: Header=BB905_17 Depth=1
	v_and_b32_e32 v23, 7, v30
	v_ffbh_u32_e32 v42, v23
	v_min_u32_e32 v42, 32, v42
	v_subrev_u32_e32 v44, 28, v42
	v_lshlrev_b64 v[52:53], v44, v[30:31]
	v_lshrrev_b32_e32 v40, 3, v34
	v_sub_u32_e32 v30, 29, v42
	v_and_b32_e32 v42, 7, v52
	v_cmp_gt_u32_e32 vcc, 8, v34
	v_cndmask_b32_e32 v30, v40, v30, vcc
	v_cndmask_b32_e32 v23, v23, v42, vcc
	v_lshlrev_b32_e32 v34, 16, v28
	v_lshlrev_b32_e32 v23, 20, v23
	v_and_b32_e32 v34, 0x80000000, v34
	v_lshl_add_u32 v30, v30, 23, v38
	v_or3_b32 v23, v34, v30, v23
	v_lshrrev_b32_e32 v23, 16, v23
.LBB905_75:                             ;   in Loop: Header=BB905_17 Depth=1
	s_or_b64 exec, exec, s[10:11]
.LBB905_76:                             ;   in Loop: Header=BB905_17 Depth=1
	s_or_b64 exec, exec, s[6:7]
.LBB905_77:                             ;   in Loop: Header=BB905_17 Depth=1
	s_or_b64 exec, exec, s[4:5]
	v_lshrrev_b32_e32 v30, 16, v28
	v_cmp_ne_u16_sdwa s[6:7], v30, v35 src0_sel:BYTE_0 src1_sel:DWORD
	v_mov_b32_e32 v40, 0
	v_mov_b32_e32 v34, 0
	s_and_saveexec_b64 s[4:5], s[6:7]
	s_cbranch_execz .LBB905_83
; %bb.78:                               ;   in Loop: Header=BB905_17 Depth=1
	v_cmp_ne_u16_sdwa s[10:11], v30, s13 src0_sel:BYTE_0 src1_sel:DWORD
	v_mov_b32_e32 v34, 0xffff8000
	s_and_saveexec_b64 s[6:7], s[10:11]
	s_cbranch_execz .LBB905_82
; %bb.79:                               ;   in Loop: Header=BB905_17 Depth=1
	v_bfe_u32 v42, v28, 16, 7
	v_cmp_ne_u32_e32 vcc, s14, v42
	v_mov_b32_e32 v34, 0x7f80
	s_and_saveexec_b64 s[10:11], vcc
	s_cbranch_execz .LBB905_81
; %bb.80:                               ;   in Loop: Header=BB905_17 Depth=1
	v_and_b32_e32 v34, 7, v30
	v_ffbh_u32_e32 v52, v34
	v_min_u32_e32 v54, 32, v52
	v_subrev_u32_e32 v52, 28, v54
	v_lshlrev_b64 v[52:53], v52, v[30:31]
	v_lshrrev_b32_e32 v44, 3, v42
	v_sub_u32_e32 v53, 29, v54
	v_and_b32_e32 v52, 7, v52
	v_cmp_gt_u32_e32 vcc, 8, v42
	v_cndmask_b32_e32 v42, v44, v53, vcc
	v_cndmask_b32_e32 v34, v34, v52, vcc
	v_lshlrev_b32_e32 v30, 24, v30
	v_lshlrev_b32_e32 v34, 20, v34
	v_and_b32_e32 v30, 0x80000000, v30
	v_lshl_add_u32 v42, v42, 23, v38
	v_or3_b32 v30, v30, v42, v34
	v_lshrrev_b32_e32 v34, 16, v30
.LBB905_81:                             ;   in Loop: Header=BB905_17 Depth=1
	s_or_b64 exec, exec, s[10:11]
.LBB905_82:                             ;   in Loop: Header=BB905_17 Depth=1
	s_or_b64 exec, exec, s[6:7]
.LBB905_83:                             ;   in Loop: Header=BB905_17 Depth=1
	s_or_b64 exec, exec, s[4:5]
	v_cmp_lt_u32_e32 vcc, s15, v28
	s_and_saveexec_b64 s[4:5], vcc
	s_cbranch_execz .LBB905_89
; %bb.84:                               ;   in Loop: Header=BB905_17 Depth=1
	v_lshrrev_b32_e32 v30, 24, v28
	v_cmp_ne_u32_e32 vcc, s13, v30
	v_mov_b32_e32 v40, 0xffff8000
	s_and_saveexec_b64 s[6:7], vcc
	s_cbranch_execz .LBB905_88
; %bb.85:                               ;   in Loop: Header=BB905_17 Depth=1
	v_bfe_u32 v28, v28, 24, 7
	v_cmp_ne_u32_e32 vcc, s14, v28
	v_mov_b32_e32 v40, 0x7f80
	s_and_saveexec_b64 s[10:11], vcc
	s_cbranch_execz .LBB905_87
; %bb.86:                               ;   in Loop: Header=BB905_17 Depth=1
	v_and_b32_e32 v40, 7, v30
	v_ffbh_u32_e32 v44, v40
	v_min_u32_e32 v44, 32, v44
	v_subrev_u32_e32 v52, 28, v44
	v_lshlrev_b64 v[52:53], v52, v[30:31]
	v_lshrrev_b32_e32 v42, 3, v28
	v_sub_u32_e32 v44, 29, v44
	v_and_b32_e32 v52, 7, v52
	v_cmp_gt_u32_e32 vcc, 8, v28
	v_cndmask_b32_e32 v28, v42, v44, vcc
	v_cndmask_b32_e32 v40, v40, v52, vcc
	v_lshlrev_b32_e32 v30, 24, v30
	v_lshlrev_b32_e32 v40, 20, v40
	v_and_b32_e32 v30, 0x80000000, v30
	v_lshl_add_u32 v28, v28, 23, v38
	v_or3_b32 v28, v30, v28, v40
	v_lshrrev_b32_e32 v40, 16, v28
.LBB905_87:                             ;   in Loop: Header=BB905_17 Depth=1
	s_or_b64 exec, exec, s[10:11]
.LBB905_88:                             ;   in Loop: Header=BB905_17 Depth=1
	s_or_b64 exec, exec, s[6:7]
.LBB905_89:                             ;   in Loop: Header=BB905_17 Depth=1
	s_or_b64 exec, exec, s[4:5]
	s_waitcnt vmcnt(0)
	v_cmp_ne_u16_sdwa s[6:7], v26, v35 src0_sel:BYTE_0 src1_sel:DWORD
	v_mov_b32_e32 v42, 0
	v_mov_b32_e32 v44, 0
	s_and_saveexec_b64 s[4:5], s[6:7]
	s_cbranch_execz .LBB905_95
; %bb.90:                               ;   in Loop: Header=BB905_17 Depth=1
	v_cmp_ne_u16_sdwa s[10:11], v26, s13 src0_sel:BYTE_0 src1_sel:DWORD
	v_mov_b32_e32 v44, 0xffff8000
	s_and_saveexec_b64 s[6:7], s[10:11]
	s_cbranch_execz .LBB905_94
; %bb.91:                               ;   in Loop: Header=BB905_17 Depth=1
	v_and_b32_e32 v28, 0x7f, v26
	v_cmp_ne_u32_e32 vcc, s14, v28
	v_mov_b32_e32 v44, 0x7f80
	s_and_saveexec_b64 s[10:11], vcc
	s_cbranch_execz .LBB905_93
; %bb.92:                               ;   in Loop: Header=BB905_17 Depth=1
	v_and_b32_e32 v30, 7, v26
	v_ffbh_u32_e32 v52, v30
	v_min_u32_e32 v54, 32, v52
	v_subrev_u32_e32 v52, 28, v54
	v_lshlrev_b64 v[52:53], v52, v[26:27]
	v_lshrrev_b32_e32 v44, 3, v28
	v_sub_u32_e32 v53, 29, v54
	v_and_b32_e32 v52, 7, v52
	v_cmp_gt_u32_e32 vcc, 8, v28
	v_cndmask_b32_e32 v28, v44, v53, vcc
	v_cndmask_b32_e32 v30, v30, v52, vcc
	v_lshlrev_b32_e32 v44, 24, v26
	v_lshlrev_b32_e32 v30, 20, v30
	v_and_b32_e32 v44, 0x80000000, v44
	v_lshl_add_u32 v28, v28, 23, v38
	v_or3_b32 v28, v44, v28, v30
	v_lshrrev_b32_e32 v44, 16, v28
.LBB905_93:                             ;   in Loop: Header=BB905_17 Depth=1
	s_or_b64 exec, exec, s[10:11]
.LBB905_94:                             ;   in Loop: Header=BB905_17 Depth=1
	s_or_b64 exec, exec, s[6:7]
.LBB905_95:                             ;   in Loop: Header=BB905_17 Depth=1
	s_or_b64 exec, exec, s[4:5]
	v_lshrrev_b16_e32 v28, 8, v26
	v_cmp_ne_u16_e32 vcc, 0, v28
	s_and_saveexec_b64 s[4:5], vcc
	s_cbranch_execz .LBB905_101
; %bb.96:                               ;   in Loop: Header=BB905_17 Depth=1
	v_cmp_ne_u16_e32 vcc, s13, v28
	v_mov_b32_e32 v42, 0xffff8000
	s_and_saveexec_b64 s[6:7], vcc
	s_cbranch_execz .LBB905_100
; %bb.97:                               ;   in Loop: Header=BB905_17 Depth=1
	v_and_b32_e32 v30, 0x7f, v28
	v_cmp_ne_u32_e32 vcc, s14, v30
	v_mov_b32_e32 v42, 0x7f80
	s_and_saveexec_b64 s[10:11], vcc
	s_cbranch_execz .LBB905_99
; %bb.98:                               ;   in Loop: Header=BB905_17 Depth=1
	v_and_b32_e32 v42, 7, v28
	v_ffbh_u32_e32 v52, v42
	v_min_u32_e32 v55, 32, v52
	v_subrev_u32_e32 v52, 28, v55
	v_lshlrev_b64 v[52:53], v52, v[28:29]
	v_lshrrev_b32_e32 v54, 3, v30
	v_sub_u32_e32 v28, 29, v55
	v_and_b32_e32 v52, 7, v52
	v_cmp_gt_u32_e32 vcc, 8, v30
	v_cndmask_b32_e32 v28, v54, v28, vcc
	v_cndmask_b32_e32 v30, v42, v52, vcc
	v_lshlrev_b32_e32 v42, 16, v26
	v_lshlrev_b32_e32 v30, 20, v30
	v_and_b32_e32 v42, 0x80000000, v42
	v_lshl_add_u32 v28, v28, 23, v38
	v_or3_b32 v28, v42, v28, v30
	v_lshrrev_b32_e32 v42, 16, v28
.LBB905_99:                             ;   in Loop: Header=BB905_17 Depth=1
	s_or_b64 exec, exec, s[10:11]
.LBB905_100:                            ;   in Loop: Header=BB905_17 Depth=1
	s_or_b64 exec, exec, s[6:7]
.LBB905_101:                            ;   in Loop: Header=BB905_17 Depth=1
	s_or_b64 exec, exec, s[4:5]
	v_lshrrev_b32_e32 v28, 16, v26
	v_cmp_ne_u16_sdwa s[6:7], v28, v35 src0_sel:BYTE_0 src1_sel:DWORD
	v_mov_b32_e32 v53, 0
	v_mov_b32_e32 v52, 0
	s_and_saveexec_b64 s[4:5], s[6:7]
	s_cbranch_execz .LBB905_107
; %bb.102:                              ;   in Loop: Header=BB905_17 Depth=1
	v_cmp_ne_u16_sdwa s[10:11], v28, s13 src0_sel:BYTE_0 src1_sel:DWORD
	v_mov_b32_e32 v52, 0xffff8000
	s_and_saveexec_b64 s[6:7], s[10:11]
	s_cbranch_execz .LBB905_106
; %bb.103:                              ;   in Loop: Header=BB905_17 Depth=1
	v_bfe_u32 v30, v26, 16, 7
	v_cmp_ne_u32_e32 vcc, s14, v30
	v_mov_b32_e32 v52, 0x7f80
	s_and_saveexec_b64 s[10:11], vcc
	s_cbranch_execz .LBB905_105
; %bb.104:                              ;   in Loop: Header=BB905_17 Depth=1
	v_and_b32_e32 v52, 7, v28
	v_ffbh_u32_e32 v54, v52
	v_min_u32_e32 v57, 32, v54
	v_subrev_u32_e32 v54, 28, v57
	v_lshlrev_b64 v[54:55], v54, v[28:29]
	v_lshrrev_b32_e32 v56, 3, v30
	v_sub_u32_e32 v55, 29, v57
	v_and_b32_e32 v54, 7, v54
	v_cmp_gt_u32_e32 vcc, 8, v30
	v_cndmask_b32_e32 v30, v56, v55, vcc
	v_cndmask_b32_e32 v52, v52, v54, vcc
	v_lshlrev_b32_e32 v28, 24, v28
	v_lshlrev_b32_e32 v52, 20, v52
	v_and_b32_e32 v28, 0x80000000, v28
	v_lshl_add_u32 v30, v30, 23, v38
	v_or3_b32 v28, v28, v30, v52
	v_lshrrev_b32_e32 v52, 16, v28
.LBB905_105:                            ;   in Loop: Header=BB905_17 Depth=1
	s_or_b64 exec, exec, s[10:11]
.LBB905_106:                            ;   in Loop: Header=BB905_17 Depth=1
	s_or_b64 exec, exec, s[6:7]
.LBB905_107:                            ;   in Loop: Header=BB905_17 Depth=1
	s_or_b64 exec, exec, s[4:5]
	v_cmp_lt_u32_e32 vcc, s15, v26
	s_and_saveexec_b64 s[4:5], vcc
	s_cbranch_execz .LBB905_113
; %bb.108:                              ;   in Loop: Header=BB905_17 Depth=1
	v_lshrrev_b32_e32 v28, 24, v26
	v_cmp_ne_u32_e32 vcc, s13, v28
	v_mov_b32_e32 v53, 0xffff8000
	s_and_saveexec_b64 s[6:7], vcc
	s_cbranch_execz .LBB905_112
; %bb.109:                              ;   in Loop: Header=BB905_17 Depth=1
	v_bfe_u32 v26, v26, 24, 7
	v_cmp_ne_u32_e32 vcc, s14, v26
	v_mov_b32_e32 v53, 0x7f80
	s_and_saveexec_b64 s[10:11], vcc
	s_cbranch_execz .LBB905_111
; %bb.110:                              ;   in Loop: Header=BB905_17 Depth=1
	v_and_b32_e32 v30, 7, v28
	v_ffbh_u32_e32 v54, v30
	v_min_u32_e32 v56, 32, v54
	v_subrev_u32_e32 v54, 28, v56
	v_lshlrev_b64 v[54:55], v54, v[28:29]
	v_lshrrev_b32_e32 v53, 3, v26
	v_sub_u32_e32 v55, 29, v56
	v_and_b32_e32 v54, 7, v54
	v_cmp_gt_u32_e32 vcc, 8, v26
	v_cndmask_b32_e32 v26, v53, v55, vcc
	v_cndmask_b32_e32 v30, v30, v54, vcc
	v_lshlrev_b32_e32 v28, 24, v28
	v_lshlrev_b32_e32 v30, 20, v30
	v_and_b32_e32 v28, 0x80000000, v28
	v_lshl_add_u32 v26, v26, 23, v38
	v_or3_b32 v26, v28, v26, v30
	v_lshrrev_b32_e32 v53, 16, v26
.LBB905_111:                            ;   in Loop: Header=BB905_17 Depth=1
	s_or_b64 exec, exec, s[10:11]
.LBB905_112:                            ;   in Loop: Header=BB905_17 Depth=1
	s_or_b64 exec, exec, s[6:7]
.LBB905_113:                            ;   in Loop: Header=BB905_17 Depth=1
	s_or_b64 exec, exec, s[4:5]
	v_perm_b32 v54, v23, v32, s16
	buffer_load_dword v32, v36, s[0:3], 0 offen offset:16
	buffer_load_dword v30, v36, s[0:3], 0 offen offset:20
	;; [unrolled: 1-line block ×4, first 2 shown]
	v_perm_b32 v55, v40, v34, s16
	v_perm_b32 v53, v53, v52, s16
	;; [unrolled: 1-line block ×3, first 2 shown]
	v_mfma_f32_16x16x16bf16_1k v[18:21], v[54:55], v[6:7], v[18:21]
	v_mov_b32_e32 v23, 0
	v_mov_b32_e32 v40, 0
	s_waitcnt vmcnt(3)
	v_cmp_ne_u16_sdwa s[6:7], v32, v35 src0_sel:BYTE_0 src1_sel:DWORD
	v_mfma_f32_16x16x16bf16_1k v[18:21], v[52:53], v[8:9], v[18:21]
	s_and_saveexec_b64 s[4:5], s[6:7]
	s_cbranch_execz .LBB905_119
; %bb.114:                              ;   in Loop: Header=BB905_17 Depth=1
	v_cmp_ne_u16_sdwa s[10:11], v32, s13 src0_sel:BYTE_0 src1_sel:DWORD
	v_mov_b32_e32 v40, 0xffff8000
	s_and_saveexec_b64 s[6:7], s[10:11]
	s_cbranch_execz .LBB905_118
; %bb.115:                              ;   in Loop: Header=BB905_17 Depth=1
	v_and_b32_e32 v34, 0x7f, v32
	v_cmp_ne_u32_e32 vcc, s14, v34
	v_mov_b32_e32 v40, 0x7f80
	s_and_saveexec_b64 s[10:11], vcc
	s_cbranch_execz .LBB905_117
; %bb.116:                              ;   in Loop: Header=BB905_17 Depth=1
	v_and_b32_e32 v40, 7, v32
	v_ffbh_u32_e32 v44, v40
	v_min_u32_e32 v44, 32, v44
	v_subrev_u32_e32 v52, 28, v44
	v_lshlrev_b64 v[52:53], v52, v[32:33]
	v_lshrrev_b32_e32 v42, 3, v34
	v_sub_u32_e32 v44, 29, v44
	v_and_b32_e32 v52, 7, v52
	v_cmp_gt_u32_e32 vcc, 8, v34
	v_cndmask_b32_e32 v34, v42, v44, vcc
	v_cndmask_b32_e32 v40, v40, v52, vcc
	v_lshlrev_b32_e32 v42, 24, v32
	v_lshlrev_b32_e32 v40, 20, v40
	v_and_b32_e32 v42, 0x80000000, v42
	v_lshl_add_u32 v34, v34, 23, v38
	v_or3_b32 v34, v42, v34, v40
	v_lshrrev_b32_e32 v40, 16, v34
.LBB905_117:                            ;   in Loop: Header=BB905_17 Depth=1
	s_or_b64 exec, exec, s[10:11]
.LBB905_118:                            ;   in Loop: Header=BB905_17 Depth=1
	s_or_b64 exec, exec, s[6:7]
.LBB905_119:                            ;   in Loop: Header=BB905_17 Depth=1
	s_or_b64 exec, exec, s[4:5]
	v_lshrrev_b16_e32 v34, 8, v32
	v_cmp_ne_u16_e32 vcc, 0, v34
	s_and_saveexec_b64 s[4:5], vcc
	s_cbranch_execz .LBB905_125
; %bb.120:                              ;   in Loop: Header=BB905_17 Depth=1
	v_cmp_ne_u16_e32 vcc, s13, v34
	v_mov_b32_e32 v23, 0xffff8000
	s_and_saveexec_b64 s[6:7], vcc
	s_cbranch_execz .LBB905_124
; %bb.121:                              ;   in Loop: Header=BB905_17 Depth=1
	v_and_b32_e32 v42, 0x7f, v34
	v_cmp_ne_u32_e32 vcc, s14, v42
	v_mov_b32_e32 v23, 0x7f80
	s_and_saveexec_b64 s[10:11], vcc
	s_cbranch_execz .LBB905_123
; %bb.122:                              ;   in Loop: Header=BB905_17 Depth=1
	v_and_b32_e32 v23, 7, v34
	v_ffbh_u32_e32 v52, v23
	v_min_u32_e32 v54, 32, v52
	v_subrev_u32_e32 v52, 28, v54
	v_lshlrev_b64 v[52:53], v52, v[34:35]
	v_lshrrev_b32_e32 v44, 3, v42
	v_sub_u32_e32 v34, 29, v54
	v_and_b32_e32 v52, 7, v52
	v_cmp_gt_u32_e32 vcc, 8, v42
	v_cndmask_b32_e32 v34, v44, v34, vcc
	v_cndmask_b32_e32 v23, v23, v52, vcc
	v_lshlrev_b32_e32 v42, 16, v32
	v_lshlrev_b32_e32 v23, 20, v23
	v_and_b32_e32 v42, 0x80000000, v42
	v_lshl_add_u32 v34, v34, 23, v38
	v_or3_b32 v23, v42, v34, v23
	v_lshrrev_b32_e32 v23, 16, v23
.LBB905_123:                            ;   in Loop: Header=BB905_17 Depth=1
	s_or_b64 exec, exec, s[10:11]
.LBB905_124:                            ;   in Loop: Header=BB905_17 Depth=1
	s_or_b64 exec, exec, s[6:7]
.LBB905_125:                            ;   in Loop: Header=BB905_17 Depth=1
	s_or_b64 exec, exec, s[4:5]
	v_lshrrev_b32_e32 v34, 16, v32
	v_cmp_ne_u16_sdwa s[6:7], v34, v35 src0_sel:BYTE_0 src1_sel:DWORD
	v_mov_b32_e32 v44, 0
	v_mov_b32_e32 v42, 0
	s_and_saveexec_b64 s[4:5], s[6:7]
	s_cbranch_execz .LBB905_131
; %bb.126:                              ;   in Loop: Header=BB905_17 Depth=1
	v_cmp_ne_u16_sdwa s[10:11], v34, s13 src0_sel:BYTE_0 src1_sel:DWORD
	v_mov_b32_e32 v42, 0xffff8000
	s_and_saveexec_b64 s[6:7], s[10:11]
	s_cbranch_execz .LBB905_130
; %bb.127:                              ;   in Loop: Header=BB905_17 Depth=1
	v_bfe_u32 v52, v32, 16, 7
	v_cmp_ne_u32_e32 vcc, s14, v52
	v_mov_b32_e32 v42, 0x7f80
	s_and_saveexec_b64 s[10:11], vcc
	s_cbranch_execz .LBB905_129
; %bb.128:                              ;   in Loop: Header=BB905_17 Depth=1
	v_and_b32_e32 v42, 7, v34
	v_ffbh_u32_e32 v54, v42
	v_min_u32_e32 v56, 32, v54
	v_subrev_u32_e32 v54, 28, v56
	v_lshlrev_b64 v[54:55], v54, v[34:35]
	v_lshrrev_b32_e32 v53, 3, v52
	v_sub_u32_e32 v55, 29, v56
	v_and_b32_e32 v54, 7, v54
	v_cmp_gt_u32_e32 vcc, 8, v52
	v_cndmask_b32_e32 v52, v53, v55, vcc
	v_cndmask_b32_e32 v42, v42, v54, vcc
	v_lshlrev_b32_e32 v34, 24, v34
	v_lshlrev_b32_e32 v42, 20, v42
	v_and_b32_e32 v34, 0x80000000, v34
	v_lshl_add_u32 v52, v52, 23, v38
	v_or3_b32 v34, v34, v52, v42
	v_lshrrev_b32_e32 v42, 16, v34
.LBB905_129:                            ;   in Loop: Header=BB905_17 Depth=1
	s_or_b64 exec, exec, s[10:11]
.LBB905_130:                            ;   in Loop: Header=BB905_17 Depth=1
	s_or_b64 exec, exec, s[6:7]
.LBB905_131:                            ;   in Loop: Header=BB905_17 Depth=1
	s_or_b64 exec, exec, s[4:5]
	v_cmp_lt_u32_e32 vcc, s15, v32
	s_and_saveexec_b64 s[4:5], vcc
	s_cbranch_execz .LBB905_137
; %bb.132:                              ;   in Loop: Header=BB905_17 Depth=1
	v_lshrrev_b32_e32 v34, 24, v32
	v_cmp_ne_u32_e32 vcc, s13, v34
	v_mov_b32_e32 v44, 0xffff8000
	s_and_saveexec_b64 s[6:7], vcc
	s_cbranch_execz .LBB905_136
; %bb.133:                              ;   in Loop: Header=BB905_17 Depth=1
	v_bfe_u32 v32, v32, 24, 7
	v_cmp_ne_u32_e32 vcc, s14, v32
	v_mov_b32_e32 v44, 0x7f80
	s_and_saveexec_b64 s[10:11], vcc
	s_cbranch_execz .LBB905_135
; %bb.134:                              ;   in Loop: Header=BB905_17 Depth=1
	v_and_b32_e32 v44, 7, v34
	v_ffbh_u32_e32 v52, v44
	v_min_u32_e32 v55, 32, v52
	v_subrev_u32_e32 v52, 28, v55
	v_lshlrev_b64 v[52:53], v52, v[34:35]
	v_lshrrev_b32_e32 v54, 3, v32
	v_sub_u32_e32 v53, 29, v55
	v_and_b32_e32 v52, 7, v52
	v_cmp_gt_u32_e32 vcc, 8, v32
	v_cndmask_b32_e32 v32, v54, v53, vcc
	v_cndmask_b32_e32 v44, v44, v52, vcc
	v_lshlrev_b32_e32 v34, 24, v34
	v_lshlrev_b32_e32 v44, 20, v44
	v_and_b32_e32 v34, 0x80000000, v34
	v_lshl_add_u32 v32, v32, 23, v38
	v_or3_b32 v32, v34, v32, v44
	v_lshrrev_b32_e32 v44, 16, v32
.LBB905_135:                            ;   in Loop: Header=BB905_17 Depth=1
	s_or_b64 exec, exec, s[10:11]
.LBB905_136:                            ;   in Loop: Header=BB905_17 Depth=1
	s_or_b64 exec, exec, s[6:7]
.LBB905_137:                            ;   in Loop: Header=BB905_17 Depth=1
	s_or_b64 exec, exec, s[4:5]
	s_waitcnt vmcnt(2)
	v_cmp_ne_u16_sdwa s[6:7], v30, v35 src0_sel:BYTE_0 src1_sel:DWORD
	v_mov_b32_e32 v34, 0
	v_mov_b32_e32 v52, 0
	s_and_saveexec_b64 s[4:5], s[6:7]
	s_cbranch_execz .LBB905_143
; %bb.138:                              ;   in Loop: Header=BB905_17 Depth=1
	v_cmp_ne_u16_sdwa s[10:11], v30, s13 src0_sel:BYTE_0 src1_sel:DWORD
	v_mov_b32_e32 v52, 0xffff8000
	s_and_saveexec_b64 s[6:7], s[10:11]
	s_cbranch_execz .LBB905_142
; %bb.139:                              ;   in Loop: Header=BB905_17 Depth=1
	v_and_b32_e32 v32, 0x7f, v30
	v_cmp_ne_u32_e32 vcc, s14, v32
	v_mov_b32_e32 v52, 0x7f80
	s_and_saveexec_b64 s[10:11], vcc
	s_cbranch_execz .LBB905_141
; %bb.140:                              ;   in Loop: Header=BB905_17 Depth=1
	v_and_b32_e32 v54, 7, v30
	v_ffbh_u32_e32 v52, v54
	v_min_u32_e32 v56, 32, v52
	v_subrev_u32_e32 v52, 28, v56
	v_lshlrev_b64 v[52:53], v52, v[30:31]
	v_lshrrev_b32_e32 v55, 3, v32
	v_sub_u32_e32 v53, 29, v56
	v_and_b32_e32 v52, 7, v52
	v_cmp_gt_u32_e32 vcc, 8, v32
	v_cndmask_b32_e32 v32, v55, v53, vcc
	v_cndmask_b32_e32 v52, v54, v52, vcc
	v_lshlrev_b32_e32 v53, 24, v30
	v_lshlrev_b32_e32 v52, 20, v52
	v_and_b32_e32 v53, 0x80000000, v53
	v_lshl_add_u32 v32, v32, 23, v38
	v_or3_b32 v32, v53, v32, v52
	v_lshrrev_b32_e32 v52, 16, v32
.LBB905_141:                            ;   in Loop: Header=BB905_17 Depth=1
	s_or_b64 exec, exec, s[10:11]
.LBB905_142:                            ;   in Loop: Header=BB905_17 Depth=1
	s_or_b64 exec, exec, s[6:7]
.LBB905_143:                            ;   in Loop: Header=BB905_17 Depth=1
	s_or_b64 exec, exec, s[4:5]
	v_lshrrev_b16_e32 v32, 8, v30
	v_cmp_ne_u16_e32 vcc, 0, v32
	s_and_saveexec_b64 s[4:5], vcc
	s_cbranch_execz .LBB905_149
; %bb.144:                              ;   in Loop: Header=BB905_17 Depth=1
	v_cmp_ne_u16_e32 vcc, s13, v32
	v_mov_b32_e32 v34, 0xffff8000
	s_and_saveexec_b64 s[6:7], vcc
	s_cbranch_execz .LBB905_148
; %bb.145:                              ;   in Loop: Header=BB905_17 Depth=1
	v_and_b32_e32 v53, 0x7f, v32
	v_cmp_ne_u32_e32 vcc, s14, v53
	v_mov_b32_e32 v34, 0x7f80
	s_and_saveexec_b64 s[10:11], vcc
	s_cbranch_execz .LBB905_147
; %bb.146:                              ;   in Loop: Header=BB905_17 Depth=1
	v_and_b32_e32 v34, 7, v32
	v_ffbh_u32_e32 v54, v34
	v_min_u32_e32 v57, 32, v54
	v_subrev_u32_e32 v54, 28, v57
	v_lshlrev_b64 v[54:55], v54, v[32:33]
	v_lshrrev_b32_e32 v56, 3, v53
	v_sub_u32_e32 v32, 29, v57
	v_and_b32_e32 v54, 7, v54
	v_cmp_gt_u32_e32 vcc, 8, v53
	v_cndmask_b32_e32 v32, v56, v32, vcc
	v_cndmask_b32_e32 v34, v34, v54, vcc
	v_lshlrev_b32_e32 v53, 16, v30
	v_lshlrev_b32_e32 v34, 20, v34
	v_and_b32_e32 v53, 0x80000000, v53
	v_lshl_add_u32 v32, v32, 23, v38
	v_or3_b32 v32, v53, v32, v34
	v_lshrrev_b32_e32 v34, 16, v32
.LBB905_147:                            ;   in Loop: Header=BB905_17 Depth=1
	s_or_b64 exec, exec, s[10:11]
.LBB905_148:                            ;   in Loop: Header=BB905_17 Depth=1
	s_or_b64 exec, exec, s[6:7]
.LBB905_149:                            ;   in Loop: Header=BB905_17 Depth=1
	s_or_b64 exec, exec, s[4:5]
	v_lshrrev_b32_e32 v32, 16, v30
	v_cmp_ne_u16_sdwa s[6:7], v32, v35 src0_sel:BYTE_0 src1_sel:DWORD
	v_mov_b32_e32 v54, 0
	v_mov_b32_e32 v53, 0
	s_and_saveexec_b64 s[4:5], s[6:7]
	s_cbranch_execz .LBB905_155
; %bb.150:                              ;   in Loop: Header=BB905_17 Depth=1
	v_cmp_ne_u16_sdwa s[10:11], v32, s13 src0_sel:BYTE_0 src1_sel:DWORD
	v_mov_b32_e32 v53, 0xffff8000
	s_and_saveexec_b64 s[6:7], s[10:11]
	s_cbranch_execz .LBB905_154
; %bb.151:                              ;   in Loop: Header=BB905_17 Depth=1
	v_bfe_u32 v55, v30, 16, 7
	v_cmp_ne_u32_e32 vcc, s14, v55
	v_mov_b32_e32 v53, 0x7f80
	s_and_saveexec_b64 s[10:11], vcc
	s_cbranch_execz .LBB905_153
; %bb.152:                              ;   in Loop: Header=BB905_17 Depth=1
	v_and_b32_e32 v53, 7, v32
	v_ffbh_u32_e32 v56, v53
	v_min_u32_e32 v59, 32, v56
	v_subrev_u32_e32 v56, 28, v59
	v_lshlrev_b64 v[56:57], v56, v[32:33]
	v_lshrrev_b32_e32 v58, 3, v55
	v_sub_u32_e32 v57, 29, v59
	v_and_b32_e32 v56, 7, v56
	v_cmp_gt_u32_e32 vcc, 8, v55
	v_cndmask_b32_e32 v55, v58, v57, vcc
	v_cndmask_b32_e32 v53, v53, v56, vcc
	v_lshlrev_b32_e32 v32, 24, v32
	v_lshlrev_b32_e32 v53, 20, v53
	v_and_b32_e32 v32, 0x80000000, v32
	v_lshl_add_u32 v55, v55, 23, v38
	v_or3_b32 v32, v32, v55, v53
	v_lshrrev_b32_e32 v53, 16, v32
.LBB905_153:                            ;   in Loop: Header=BB905_17 Depth=1
	s_or_b64 exec, exec, s[10:11]
.LBB905_154:                            ;   in Loop: Header=BB905_17 Depth=1
	s_or_b64 exec, exec, s[6:7]
.LBB905_155:                            ;   in Loop: Header=BB905_17 Depth=1
	s_or_b64 exec, exec, s[4:5]
	v_cmp_lt_u32_e32 vcc, s15, v30
	s_and_saveexec_b64 s[4:5], vcc
	s_cbranch_execz .LBB905_161
; %bb.156:                              ;   in Loop: Header=BB905_17 Depth=1
	v_lshrrev_b32_e32 v32, 24, v30
	v_cmp_ne_u32_e32 vcc, s13, v32
	v_mov_b32_e32 v54, 0xffff8000
	s_and_saveexec_b64 s[6:7], vcc
	s_cbranch_execz .LBB905_160
; %bb.157:                              ;   in Loop: Header=BB905_17 Depth=1
	v_bfe_u32 v30, v30, 24, 7
	v_cmp_ne_u32_e32 vcc, s14, v30
	v_mov_b32_e32 v54, 0x7f80
	s_and_saveexec_b64 s[10:11], vcc
	s_cbranch_execz .LBB905_159
; %bb.158:                              ;   in Loop: Header=BB905_17 Depth=1
	v_and_b32_e32 v56, 7, v32
	v_ffbh_u32_e32 v54, v56
	v_min_u32_e32 v58, 32, v54
	v_subrev_u32_e32 v54, 28, v58
	v_lshlrev_b64 v[54:55], v54, v[32:33]
	v_lshrrev_b32_e32 v57, 3, v30
	v_sub_u32_e32 v55, 29, v58
	v_and_b32_e32 v54, 7, v54
	v_cmp_gt_u32_e32 vcc, 8, v30
	v_cndmask_b32_e32 v30, v57, v55, vcc
	v_cndmask_b32_e32 v54, v56, v54, vcc
	v_lshlrev_b32_e32 v32, 24, v32
	v_lshlrev_b32_e32 v54, 20, v54
	v_and_b32_e32 v32, 0x80000000, v32
	v_lshl_add_u32 v30, v30, 23, v38
	v_or3_b32 v30, v32, v30, v54
	v_lshrrev_b32_e32 v54, 16, v30
.LBB905_159:                            ;   in Loop: Header=BB905_17 Depth=1
	s_or_b64 exec, exec, s[10:11]
.LBB905_160:                            ;   in Loop: Header=BB905_17 Depth=1
	s_or_b64 exec, exec, s[6:7]
.LBB905_161:                            ;   in Loop: Header=BB905_17 Depth=1
	s_or_b64 exec, exec, s[4:5]
	v_perm_b32 v57, v44, v42, s16
	v_perm_b32 v56, v23, v40, s16
	;; [unrolled: 1-line block ×4, first 2 shown]
	s_waitcnt vmcnt(1)
	v_cmp_ne_u16_sdwa s[6:7], v28, v35 src0_sel:BYTE_0 src1_sel:DWORD
	v_mfma_f32_16x16x16bf16_1k v[18:21], v[56:57], v[10:11], v[18:21]
	v_mov_b32_e32 v23, 0
	v_mov_b32_e32 v32, 0
	v_mfma_f32_16x16x16bf16_1k v[18:21], v[52:53], v[12:13], v[18:21]
	s_and_saveexec_b64 s[4:5], s[6:7]
	s_cbranch_execz .LBB905_167
; %bb.162:                              ;   in Loop: Header=BB905_17 Depth=1
	v_cmp_ne_u16_sdwa s[10:11], v28, s13 src0_sel:BYTE_0 src1_sel:DWORD
	v_mov_b32_e32 v32, 0xffff8000
	s_and_saveexec_b64 s[6:7], s[10:11]
	s_cbranch_execz .LBB905_166
; %bb.163:                              ;   in Loop: Header=BB905_17 Depth=1
	v_and_b32_e32 v30, 0x7f, v28
	v_cmp_ne_u32_e32 vcc, s14, v30
	v_mov_b32_e32 v32, 0x7f80
	s_and_saveexec_b64 s[10:11], vcc
	s_cbranch_execz .LBB905_165
; %bb.164:                              ;   in Loop: Header=BB905_17 Depth=1
	v_and_b32_e32 v32, 7, v28
	v_ffbh_u32_e32 v40, v32
	v_min_u32_e32 v40, 32, v40
	v_subrev_u32_e32 v42, 28, v40
	v_lshlrev_b64 v[52:53], v42, v[28:29]
	v_lshrrev_b32_e32 v34, 3, v30
	v_sub_u32_e32 v40, 29, v40
	v_and_b32_e32 v42, 7, v52
	v_cmp_gt_u32_e32 vcc, 8, v30
	v_cndmask_b32_e32 v30, v34, v40, vcc
	v_cndmask_b32_e32 v32, v32, v42, vcc
	v_lshlrev_b32_e32 v34, 24, v28
	v_lshlrev_b32_e32 v32, 20, v32
	v_and_b32_e32 v34, 0x80000000, v34
	v_lshl_add_u32 v30, v30, 23, v38
	v_or3_b32 v30, v34, v30, v32
	v_lshrrev_b32_e32 v32, 16, v30
.LBB905_165:                            ;   in Loop: Header=BB905_17 Depth=1
	s_or_b64 exec, exec, s[10:11]
.LBB905_166:                            ;   in Loop: Header=BB905_17 Depth=1
	s_or_b64 exec, exec, s[6:7]
.LBB905_167:                            ;   in Loop: Header=BB905_17 Depth=1
	s_or_b64 exec, exec, s[4:5]
	v_lshrrev_b16_e32 v30, 8, v28
	v_cmp_ne_u16_e32 vcc, 0, v30
	s_and_saveexec_b64 s[4:5], vcc
	s_cbranch_execz .LBB905_173
; %bb.168:                              ;   in Loop: Header=BB905_17 Depth=1
	v_cmp_ne_u16_e32 vcc, s13, v30
	v_mov_b32_e32 v23, 0xffff8000
	s_and_saveexec_b64 s[6:7], vcc
	s_cbranch_execz .LBB905_172
; %bb.169:                              ;   in Loop: Header=BB905_17 Depth=1
	v_and_b32_e32 v34, 0x7f, v30
	v_cmp_ne_u32_e32 vcc, s14, v34
	v_mov_b32_e32 v23, 0x7f80
	s_and_saveexec_b64 s[10:11], vcc
	s_cbranch_execz .LBB905_171
; %bb.170:                              ;   in Loop: Header=BB905_17 Depth=1
	v_and_b32_e32 v23, 7, v30
	v_ffbh_u32_e32 v42, v23
	v_min_u32_e32 v42, 32, v42
	v_subrev_u32_e32 v44, 28, v42
	v_lshlrev_b64 v[52:53], v44, v[30:31]
	v_lshrrev_b32_e32 v40, 3, v34
	v_sub_u32_e32 v30, 29, v42
	v_and_b32_e32 v42, 7, v52
	v_cmp_gt_u32_e32 vcc, 8, v34
	v_cndmask_b32_e32 v30, v40, v30, vcc
	v_cndmask_b32_e32 v23, v23, v42, vcc
	v_lshlrev_b32_e32 v34, 16, v28
	v_lshlrev_b32_e32 v23, 20, v23
	v_and_b32_e32 v34, 0x80000000, v34
	v_lshl_add_u32 v30, v30, 23, v38
	v_or3_b32 v23, v34, v30, v23
	v_lshrrev_b32_e32 v23, 16, v23
.LBB905_171:                            ;   in Loop: Header=BB905_17 Depth=1
	s_or_b64 exec, exec, s[10:11]
.LBB905_172:                            ;   in Loop: Header=BB905_17 Depth=1
	s_or_b64 exec, exec, s[6:7]
.LBB905_173:                            ;   in Loop: Header=BB905_17 Depth=1
	s_or_b64 exec, exec, s[4:5]
	v_lshrrev_b32_e32 v30, 16, v28
	v_cmp_ne_u16_sdwa s[6:7], v30, v35 src0_sel:BYTE_0 src1_sel:DWORD
	v_mov_b32_e32 v40, 0
	v_mov_b32_e32 v34, 0
	s_and_saveexec_b64 s[4:5], s[6:7]
	s_cbranch_execz .LBB905_179
; %bb.174:                              ;   in Loop: Header=BB905_17 Depth=1
	v_cmp_ne_u16_sdwa s[10:11], v30, s13 src0_sel:BYTE_0 src1_sel:DWORD
	v_mov_b32_e32 v34, 0xffff8000
	s_and_saveexec_b64 s[6:7], s[10:11]
	s_cbranch_execz .LBB905_178
; %bb.175:                              ;   in Loop: Header=BB905_17 Depth=1
	v_bfe_u32 v42, v28, 16, 7
	v_cmp_ne_u32_e32 vcc, s14, v42
	v_mov_b32_e32 v34, 0x7f80
	s_and_saveexec_b64 s[10:11], vcc
	s_cbranch_execz .LBB905_177
; %bb.176:                              ;   in Loop: Header=BB905_17 Depth=1
	v_and_b32_e32 v34, 7, v30
	v_ffbh_u32_e32 v52, v34
	v_min_u32_e32 v54, 32, v52
	v_subrev_u32_e32 v52, 28, v54
	v_lshlrev_b64 v[52:53], v52, v[30:31]
	v_lshrrev_b32_e32 v44, 3, v42
	v_sub_u32_e32 v53, 29, v54
	v_and_b32_e32 v52, 7, v52
	v_cmp_gt_u32_e32 vcc, 8, v42
	v_cndmask_b32_e32 v42, v44, v53, vcc
	v_cndmask_b32_e32 v34, v34, v52, vcc
	v_lshlrev_b32_e32 v30, 24, v30
	v_lshlrev_b32_e32 v34, 20, v34
	v_and_b32_e32 v30, 0x80000000, v30
	v_lshl_add_u32 v42, v42, 23, v38
	v_or3_b32 v30, v30, v42, v34
	v_lshrrev_b32_e32 v34, 16, v30
.LBB905_177:                            ;   in Loop: Header=BB905_17 Depth=1
	s_or_b64 exec, exec, s[10:11]
.LBB905_178:                            ;   in Loop: Header=BB905_17 Depth=1
	s_or_b64 exec, exec, s[6:7]
.LBB905_179:                            ;   in Loop: Header=BB905_17 Depth=1
	s_or_b64 exec, exec, s[4:5]
	v_cmp_lt_u32_e32 vcc, s15, v28
	s_and_saveexec_b64 s[4:5], vcc
	s_cbranch_execz .LBB905_185
; %bb.180:                              ;   in Loop: Header=BB905_17 Depth=1
	v_lshrrev_b32_e32 v30, 24, v28
	v_cmp_ne_u32_e32 vcc, s13, v30
	v_mov_b32_e32 v40, 0xffff8000
	s_and_saveexec_b64 s[6:7], vcc
	s_cbranch_execz .LBB905_184
; %bb.181:                              ;   in Loop: Header=BB905_17 Depth=1
	v_bfe_u32 v28, v28, 24, 7
	v_cmp_ne_u32_e32 vcc, s14, v28
	v_mov_b32_e32 v40, 0x7f80
	s_and_saveexec_b64 s[10:11], vcc
	s_cbranch_execz .LBB905_183
; %bb.182:                              ;   in Loop: Header=BB905_17 Depth=1
	v_and_b32_e32 v40, 7, v30
	v_ffbh_u32_e32 v44, v40
	v_min_u32_e32 v44, 32, v44
	v_subrev_u32_e32 v52, 28, v44
	v_lshlrev_b64 v[52:53], v52, v[30:31]
	v_lshrrev_b32_e32 v42, 3, v28
	v_sub_u32_e32 v44, 29, v44
	v_and_b32_e32 v52, 7, v52
	v_cmp_gt_u32_e32 vcc, 8, v28
	v_cndmask_b32_e32 v28, v42, v44, vcc
	v_cndmask_b32_e32 v40, v40, v52, vcc
	v_lshlrev_b32_e32 v30, 24, v30
	v_lshlrev_b32_e32 v40, 20, v40
	v_and_b32_e32 v30, 0x80000000, v30
	v_lshl_add_u32 v28, v28, 23, v38
	v_or3_b32 v28, v30, v28, v40
	v_lshrrev_b32_e32 v40, 16, v28
.LBB905_183:                            ;   in Loop: Header=BB905_17 Depth=1
	s_or_b64 exec, exec, s[10:11]
.LBB905_184:                            ;   in Loop: Header=BB905_17 Depth=1
	s_or_b64 exec, exec, s[6:7]
.LBB905_185:                            ;   in Loop: Header=BB905_17 Depth=1
	s_or_b64 exec, exec, s[4:5]
	s_waitcnt vmcnt(0)
	v_cmp_ne_u16_sdwa s[6:7], v26, v35 src0_sel:BYTE_0 src1_sel:DWORD
	v_mov_b32_e32 v30, 0
	v_mov_b32_e32 v42, 0
	s_and_saveexec_b64 s[4:5], s[6:7]
	s_cbranch_execz .LBB905_191
; %bb.186:                              ;   in Loop: Header=BB905_17 Depth=1
	v_cmp_ne_u16_sdwa s[10:11], v26, s13 src0_sel:BYTE_0 src1_sel:DWORD
	v_mov_b32_e32 v42, 0xffff8000
	s_and_saveexec_b64 s[6:7], s[10:11]
	s_cbranch_execz .LBB905_190
; %bb.187:                              ;   in Loop: Header=BB905_17 Depth=1
	v_and_b32_e32 v28, 0x7f, v26
	v_cmp_ne_u32_e32 vcc, s14, v28
	v_mov_b32_e32 v42, 0x7f80
	s_and_saveexec_b64 s[10:11], vcc
	s_cbranch_execz .LBB905_189
; %bb.188:                              ;   in Loop: Header=BB905_17 Depth=1
	v_and_b32_e32 v42, 7, v26
	v_ffbh_u32_e32 v52, v42
	v_min_u32_e32 v54, 32, v52
	v_subrev_u32_e32 v52, 28, v54
	v_lshlrev_b64 v[52:53], v52, v[26:27]
	v_lshrrev_b32_e32 v44, 3, v28
	v_sub_u32_e32 v53, 29, v54
	v_and_b32_e32 v52, 7, v52
	v_cmp_gt_u32_e32 vcc, 8, v28
	v_cndmask_b32_e32 v28, v44, v53, vcc
	v_cndmask_b32_e32 v42, v42, v52, vcc
	v_lshlrev_b32_e32 v44, 24, v26
	v_lshlrev_b32_e32 v42, 20, v42
	v_and_b32_e32 v44, 0x80000000, v44
	v_lshl_add_u32 v28, v28, 23, v38
	v_or3_b32 v28, v44, v28, v42
	v_lshrrev_b32_e32 v42, 16, v28
.LBB905_189:                            ;   in Loop: Header=BB905_17 Depth=1
	s_or_b64 exec, exec, s[10:11]
.LBB905_190:                            ;   in Loop: Header=BB905_17 Depth=1
	s_or_b64 exec, exec, s[6:7]
.LBB905_191:                            ;   in Loop: Header=BB905_17 Depth=1
	s_or_b64 exec, exec, s[4:5]
	v_lshrrev_b16_e32 v28, 8, v26
	v_cmp_ne_u16_e32 vcc, 0, v28
	s_and_saveexec_b64 s[4:5], vcc
	s_cbranch_execz .LBB905_197
; %bb.192:                              ;   in Loop: Header=BB905_17 Depth=1
	v_cmp_ne_u16_e32 vcc, s13, v28
	v_mov_b32_e32 v30, 0xffff8000
	s_and_saveexec_b64 s[6:7], vcc
	s_cbranch_execz .LBB905_196
; %bb.193:                              ;   in Loop: Header=BB905_17 Depth=1
	v_and_b32_e32 v44, 0x7f, v28
	v_cmp_ne_u32_e32 vcc, s14, v44
	v_mov_b32_e32 v30, 0x7f80
	s_and_saveexec_b64 s[10:11], vcc
	s_cbranch_execz .LBB905_195
; %bb.194:                              ;   in Loop: Header=BB905_17 Depth=1
	v_and_b32_e32 v30, 7, v28
	v_ffbh_u32_e32 v52, v30
	v_min_u32_e32 v55, 32, v52
	v_subrev_u32_e32 v52, 28, v55
	v_lshlrev_b64 v[52:53], v52, v[28:29]
	v_lshrrev_b32_e32 v54, 3, v44
	v_sub_u32_e32 v28, 29, v55
	v_and_b32_e32 v52, 7, v52
	v_cmp_gt_u32_e32 vcc, 8, v44
	v_cndmask_b32_e32 v28, v54, v28, vcc
	v_cndmask_b32_e32 v30, v30, v52, vcc
	v_lshlrev_b32_e32 v44, 16, v26
	v_lshlrev_b32_e32 v30, 20, v30
	v_and_b32_e32 v44, 0x80000000, v44
	v_lshl_add_u32 v28, v28, 23, v38
	v_or3_b32 v28, v44, v28, v30
	v_lshrrev_b32_e32 v30, 16, v28
.LBB905_195:                            ;   in Loop: Header=BB905_17 Depth=1
	s_or_b64 exec, exec, s[10:11]
.LBB905_196:                            ;   in Loop: Header=BB905_17 Depth=1
	s_or_b64 exec, exec, s[6:7]
.LBB905_197:                            ;   in Loop: Header=BB905_17 Depth=1
	s_or_b64 exec, exec, s[4:5]
	v_lshrrev_b32_e32 v28, 16, v26
	v_cmp_ne_u16_sdwa s[6:7], v28, v35 src0_sel:BYTE_0 src1_sel:DWORD
	v_mov_b32_e32 v52, 0
	v_mov_b32_e32 v44, 0
	s_and_saveexec_b64 s[4:5], s[6:7]
	s_cbranch_execz .LBB905_203
; %bb.198:                              ;   in Loop: Header=BB905_17 Depth=1
	v_cmp_ne_u16_sdwa s[10:11], v28, s13 src0_sel:BYTE_0 src1_sel:DWORD
	v_mov_b32_e32 v44, 0xffff8000
	s_and_saveexec_b64 s[6:7], s[10:11]
	s_cbranch_execz .LBB905_202
; %bb.199:                              ;   in Loop: Header=BB905_17 Depth=1
	v_bfe_u32 v53, v26, 16, 7
	v_cmp_ne_u32_e32 vcc, s14, v53
	v_mov_b32_e32 v44, 0x7f80
	s_and_saveexec_b64 s[10:11], vcc
	s_cbranch_execz .LBB905_201
; %bb.200:                              ;   in Loop: Header=BB905_17 Depth=1
	v_and_b32_e32 v44, 7, v28
	v_ffbh_u32_e32 v54, v44
	v_min_u32_e32 v57, 32, v54
	v_subrev_u32_e32 v54, 28, v57
	v_lshlrev_b64 v[54:55], v54, v[28:29]
	v_lshrrev_b32_e32 v56, 3, v53
	v_sub_u32_e32 v55, 29, v57
	v_and_b32_e32 v54, 7, v54
	v_cmp_gt_u32_e32 vcc, 8, v53
	v_cndmask_b32_e32 v53, v56, v55, vcc
	v_cndmask_b32_e32 v44, v44, v54, vcc
	v_lshlrev_b32_e32 v28, 24, v28
	v_lshlrev_b32_e32 v44, 20, v44
	v_and_b32_e32 v28, 0x80000000, v28
	v_lshl_add_u32 v53, v53, 23, v38
	v_or3_b32 v28, v28, v53, v44
	v_lshrrev_b32_e32 v44, 16, v28
.LBB905_201:                            ;   in Loop: Header=BB905_17 Depth=1
	s_or_b64 exec, exec, s[10:11]
.LBB905_202:                            ;   in Loop: Header=BB905_17 Depth=1
	s_or_b64 exec, exec, s[6:7]
.LBB905_203:                            ;   in Loop: Header=BB905_17 Depth=1
	s_or_b64 exec, exec, s[4:5]
	v_cmp_lt_u32_e32 vcc, s15, v26
	s_and_saveexec_b64 s[4:5], vcc
	s_cbranch_execz .LBB905_16
; %bb.204:                              ;   in Loop: Header=BB905_17 Depth=1
	v_lshrrev_b32_e32 v28, 24, v26
	v_cmp_ne_u32_e32 vcc, s13, v28
	v_mov_b32_e32 v52, 0xffff8000
	s_and_saveexec_b64 s[6:7], vcc
	s_cbranch_execz .LBB905_15
; %bb.205:                              ;   in Loop: Header=BB905_17 Depth=1
	v_bfe_u32 v26, v26, 24, 7
	v_cmp_ne_u32_e32 vcc, s14, v26
	v_mov_b32_e32 v52, 0x7f80
	s_and_saveexec_b64 s[10:11], vcc
	s_cbranch_execz .LBB905_14
; %bb.206:                              ;   in Loop: Header=BB905_17 Depth=1
	v_and_b32_e32 v54, 7, v28
	v_ffbh_u32_e32 v52, v54
	v_min_u32_e32 v56, 32, v52
	v_subrev_u32_e32 v52, 28, v56
	v_lshlrev_b64 v[52:53], v52, v[28:29]
	v_lshrrev_b32_e32 v55, 3, v26
	v_sub_u32_e32 v53, 29, v56
	v_and_b32_e32 v52, 7, v52
	v_cmp_gt_u32_e32 vcc, 8, v26
	v_cndmask_b32_e32 v26, v55, v53, vcc
	v_cndmask_b32_e32 v52, v54, v52, vcc
	v_lshlrev_b32_e32 v28, 24, v28
	v_lshlrev_b32_e32 v52, 20, v52
	v_and_b32_e32 v28, 0x80000000, v28
	v_lshl_add_u32 v26, v26, 23, v38
	v_or3_b32 v26, v28, v26, v52
	v_lshrrev_b32_e32 v52, 16, v26
	s_branch .LBB905_14
.LBB905_207:
	buffer_load_dword v17, off, s[0:3], 0 offset:256
	buffer_load_dword v16, off, s[0:3], 0 offset:260
	;; [unrolled: 1-line block ×16, first 2 shown]
	v_and_b32_e32 v18, 0xc0, v0
	v_add_u32_e32 v18, s20, v18
	v_lshl_or_b32 v18, v1, 2, v18
	v_or_b32_e32 v20, 1, v18
	v_subrev_u32_e32 v24, s33, v20
	v_add_u32_e32 v26, 1, v24
	v_cvt_f32_i32_e32 v25, v24
	v_add_u32_e32 v28, 2, v24
	v_add_u32_e32 v30, 3, v24
	;; [unrolled: 1-line block ×14, first 2 shown]
	v_cvt_f32_i32_e32 v26, v26
	v_cvt_f32_i32_e32 v28, v28
	;; [unrolled: 1-line block ×4, first 2 shown]
	v_mov_b32_e32 v19, 0xff7fffff
	v_or_b32_e32 v21, 2, v18
	v_or_b32_e32 v22, 3, v18
	v_cvt_f32_i32_e32 v32, v32
	v_cvt_f32_i32_e32 v34, v34
	v_cmp_gt_i32_e64 s[28:29], s33, v18
	v_cmp_gt_i32_e64 s[30:31], s33, v20
	s_mov_b32 s52, 0xff7fffff
	v_cmp_gt_i32_e64 s[34:35], s33, v21
	v_cmp_gt_i32_e64 s[36:37], s33, v22
	v_or_b32_e32 v23, 16, v18
	v_cvt_f32_i32_e32 v35, v35
	v_cvt_f32_i32_e32 v36, v36
	v_cmp_gt_i32_e64 s[24:25], s33, v23
	v_cvt_f32_i32_e32 v37, v37
	v_cvt_f32_i32_e32 v38, v38
	;; [unrolled: 1-line block ×7, first 2 shown]
	s_waitcnt vmcnt(15)
	v_fmac_f32_e32 v17, v31, v25
	s_waitcnt vmcnt(14)
	v_fmac_f32_e32 v16, v31, v26
	;; [unrolled: 2-line block ×4, first 2 shown]
	v_cndmask_b32_e64 v20, v19, v16, s[30:31]
	v_cndmask_b32_e64 v21, v19, v15, s[34:35]
	;; [unrolled: 1-line block ×3, first 2 shown]
	s_waitcnt vmcnt(11)
	v_fmac_f32_e32 v13, v31, v32
	s_waitcnt vmcnt(10)
	v_fmac_f32_e32 v12, v31, v34
	;; [unrolled: 2-line block ×9, first 2 shown]
	v_cndmask_b32_e64 v24, v19, v17, s[28:29]
	v_max3_f32 v20, v24, s52, v20
	v_max3_f32 v20, v20, v21, v22
	v_or_b32_e32 v22, 17, v18
	v_cmp_gt_i32_e64 s[38:39], s33, v22
	v_cndmask_b32_e64 v21, v19, v13, s[24:25]
	v_cndmask_b32_e64 v22, v19, v12, s[38:39]
	v_max3_f32 v20, v20, v21, v22
	v_or_b32_e32 v21, 18, v18
	v_or_b32_e32 v22, 19, v18
	v_cmp_gt_i32_e64 s[20:21], s33, v21
	v_cmp_gt_i32_e64 s[22:23], s33, v22
	v_cndmask_b32_e64 v21, v19, v11, s[20:21]
	v_cndmask_b32_e64 v22, v19, v10, s[22:23]
	v_max3_f32 v20, v20, v21, v22
	v_or_b32_e32 v21, 32, v18
	v_or_b32_e32 v22, 33, v18
	v_cmp_gt_i32_e64 s[16:17], s33, v21
	;; [unrolled: 7-line block ×3, first 2 shown]
	v_cmp_gt_i32_e64 s[14:15], s33, v22
	v_cndmask_b32_e64 v21, v19, v7, s[12:13]
	v_cndmask_b32_e64 v22, v19, v6, s[14:15]
	v_max3_f32 v20, v20, v21, v22
	v_or_b32_e32 v21, 48, v18
	v_or_b32_e32 v22, 49, v18
	v_fmac_f32_e32 v5, v31, v44
	v_fmac_f32_e32 v4, v31, v52
	v_cmp_gt_i32_e64 s[6:7], s33, v21
	v_cmp_gt_i32_e64 s[10:11], s33, v22
	v_cndmask_b32_e64 v21, v19, v5, s[6:7]
	v_cndmask_b32_e64 v22, v19, v4, s[10:11]
	v_max3_f32 v20, v20, v21, v22
	v_or_b32_e32 v21, 50, v18
	v_or_b32_e32 v18, 51, v18
	v_fmac_f32_e32 v3, v31, v53
	v_cmp_gt_i32_e32 vcc, s33, v21
	v_cmp_gt_i32_e64 s[4:5], s33, v18
	v_cndmask_b32_e32 v21, v19, v3, vcc
	v_cndmask_b32_e64 v18, v19, v2, s[4:5]
	v_mbcnt_lo_u32_b32 v19, -1, 0
	v_mbcnt_hi_u32_b32 v19, -1, v19
	v_max3_f32 v18, v20, v21, v18
	v_and_b32_e32 v20, 64, v19
	v_add_u32_e32 v20, 64, v20
	v_xor_b32_e32 v21, 32, v19
	v_cmp_lt_i32_e64 s[40:41], v21, v20
	v_cndmask_b32_e64 v21, v19, v21, s[40:41]
	v_lshlrev_b32_e32 v21, 2, v21
	ds_bpermute_b32 v22, v21, v18
	s_waitcnt lgkmcnt(0)
	v_max_f32_e32 v22, v22, v22
	v_max_f32_e32 v18, v18, v22
	v_xor_b32_e32 v22, 16, v19
	v_cmp_lt_i32_e64 s[40:41], v22, v20
	v_cndmask_b32_e64 v19, v19, v22, s[40:41]
	v_lshlrev_b32_e32 v19, 2, v19
	ds_bpermute_b32 v20, v19, v18
	s_waitcnt lgkmcnt(0)
	v_max_f32_e32 v20, v20, v20
	v_max_f32_e32 v18, v18, v20
	v_sub_f32_e32 v17, v17, v18
	v_mul_f32_e32 v17, 0x3fb8aa3b, v17
	v_sub_f32_e32 v16, v16, v18
	v_exp_f32_e32 v17, v17
	v_mul_f32_e32 v16, 0x3fb8aa3b, v16
	v_sub_f32_e32 v15, v15, v18
	v_exp_f32_e32 v16, v16
	;; [unrolled: 3-line block ×4, first 2 shown]
	v_mul_f32_e32 v13, 0x3fb8aa3b, v13
	v_sub_f32_e32 v12, v12, v18
	v_cndmask_b32_e64 v17, 0, v17, s[28:29]
	v_exp_f32_e32 v13, v13
	v_mul_f32_e32 v12, 0x3fb8aa3b, v12
	v_sub_f32_e32 v11, v11, v18
	v_add_f32_e32 v20, 0, v17
	v_cndmask_b32_e64 v16, 0, v16, s[30:31]
	v_exp_f32_e32 v12, v12
	v_mul_f32_e32 v11, 0x3fb8aa3b, v11
	v_sub_f32_e32 v10, v10, v18
	v_add_f32_e32 v20, v20, v16
	;; [unrolled: 5-line block ×4, first 2 shown]
	v_cndmask_b32_e64 v13, 0, v13, s[24:25]
	v_exp_f32_e32 v9, v9
	v_mul_f32_e32 v8, 0x3fb8aa3b, v8
	v_sub_f32_e32 v7, v7, v18
	buffer_store_dword v17, off, s[0:3], 0 offset:256
	buffer_store_dword v16, off, s[0:3], 0 offset:260
	;; [unrolled: 1-line block ×4, first 2 shown]
	v_add_f32_e32 v14, v20, v13
	v_cndmask_b32_e64 v12, 0, v12, s[38:39]
	v_exp_f32_e32 v8, v8
	v_mul_f32_e32 v7, 0x3fb8aa3b, v7
	v_sub_f32_e32 v6, v6, v18
	v_add_f32_e32 v14, v14, v12
	v_cndmask_b32_e64 v11, 0, v11, s[20:21]
	v_exp_f32_e32 v7, v7
	v_mul_f32_e32 v6, 0x3fb8aa3b, v6
	v_sub_f32_e32 v5, v5, v18
	v_add_f32_e32 v14, v14, v11
	v_cndmask_b32_e64 v10, 0, v10, s[22:23]
	v_exp_f32_e32 v6, v6
	v_mul_f32_e32 v5, 0x3fb8aa3b, v5
	v_sub_f32_e32 v4, v4, v18
	v_add_f32_e32 v14, v14, v10
	v_cndmask_b32_e64 v9, 0, v9, s[16:17]
	v_exp_f32_e32 v5, v5
	v_mul_f32_e32 v4, 0x3fb8aa3b, v4
	v_sub_f32_e32 v3, v3, v18
	buffer_store_dword v13, off, s[0:3], 0 offset:272
	buffer_store_dword v12, off, s[0:3], 0 offset:276
	;; [unrolled: 1-line block ×4, first 2 shown]
	v_add_f32_e32 v10, v14, v9
	v_cndmask_b32_e64 v8, 0, v8, s[18:19]
	v_exp_f32_e32 v4, v4
	v_mul_f32_e32 v3, 0x3fb8aa3b, v3
	v_sub_f32_e32 v2, v2, v18
	v_add_f32_e32 v10, v10, v8
	v_cndmask_b32_e64 v7, 0, v7, s[12:13]
	v_exp_f32_e32 v3, v3
	v_mul_f32_e32 v2, 0x3fb8aa3b, v2
	v_add_f32_e32 v10, v10, v7
	v_cndmask_b32_e64 v6, 0, v6, s[14:15]
	v_exp_f32_e32 v2, v2
	v_add_f32_e32 v10, v10, v6
	v_cndmask_b32_e64 v5, 0, v5, s[6:7]
	buffer_store_dword v9, off, s[0:3], 0 offset:288
	buffer_store_dword v8, off, s[0:3], 0 offset:292
	;; [unrolled: 1-line block ×4, first 2 shown]
	v_add_f32_e32 v6, v10, v5
	v_cndmask_b32_e64 v4, 0, v4, s[10:11]
	v_add_f32_e32 v6, v6, v4
	v_cndmask_b32_e32 v3, 0, v3, vcc
	v_add_f32_e32 v6, v6, v3
	v_cndmask_b32_e64 v2, 0, v2, s[4:5]
	v_add_f32_e32 v6, v6, v2
	ds_bpermute_b32 v7, v21, v6
	buffer_store_dword v5, off, s[0:3], 0 offset:304
	buffer_store_dword v4, off, s[0:3], 0 offset:308
	;; [unrolled: 1-line block ×4, first 2 shown]
	v_cmp_gt_u32_e32 vcc, 16, v33
	s_waitcnt lgkmcnt(0)
	s_barrier
	v_add_f32_e32 v2, v6, v7
	ds_bpermute_b32 v3, v19, v2
	s_waitcnt lgkmcnt(0)
	s_and_saveexec_b64 s[4:5], vcc
	s_cbranch_execz .LBB905_209
; %bb.208:
	v_add_f32_e32 v2, v2, v3
	v_lshlrev_b32_e32 v3, 2, v29
	ds_write2st64_b32 v3, v18, v2 offset1:1
.LBB905_209:
	s_or_b64 exec, exec, s[4:5]
	v_lshlrev_b32_e32 v2, 2, v41
	s_waitcnt lgkmcnt(0)
	s_barrier
	ds_read2_b32 v[14:15], v2 offset1:16
	ds_read2_b32 v[16:17], v2 offset0:32 offset1:48
	ds_read2_b32 v[6:7], v2 offset0:64 offset1:80
	;; [unrolled: 1-line block ×3, first 2 shown]
	s_waitcnt lgkmcnt(0)
	s_barrier
	buffer_load_dword v22, off, s[0:3], 0 offset:264
	buffer_load_dword v23, off, s[0:3], 0 offset:268
	;; [unrolled: 1-line block ×16, first 2 shown]
	v_max3_f32 v20, v14, s52, v15
	v_max3_f32 v20, v20, v16, v17
	v_sub_f32_e32 v14, v14, v20
	v_sub_f32_e32 v15, v15, v20
	v_mul_f32_e32 v14, 0x3fb8aa3b, v14
	v_sub_f32_e32 v16, v16, v20
	v_mul_f32_e32 v15, 0x3fb8aa3b, v15
	v_exp_f32_e32 v14, v14
	v_sub_f32_e32 v17, v17, v20
	v_mul_f32_e32 v16, 0x3fb8aa3b, v16
	v_exp_f32_e32 v15, v15
	v_mul_f32_e32 v17, 0x3fb8aa3b, v17
	v_exp_f32_e32 v16, v16
	v_exp_f32_e32 v17, v17
	v_fma_f32 v6, v14, v6, 0
	v_fmac_f32_e32 v6, v15, v7
	v_fmac_f32_e32 v6, v16, v12
	;; [unrolled: 1-line block ×3, first 2 shown]
	v_cmp_eq_u32_e32 vcc, 1, v27
	v_add_f32_e32 v12, 0x358637bd, v6
	v_cndmask_b32_e32 v14, v14, v15, vcc
	v_cmp_eq_u32_e32 vcc, 2, v27
	v_div_scale_f32 v13, s[4:5], v12, v12, 1.0
	v_cndmask_b32_e32 v7, v14, v16, vcc
	v_rcp_f32_e32 v14, v13
	v_cmp_eq_u32_e32 vcc, 3, v27
	v_cndmask_b32_e32 v7, v7, v17, vcc
	v_div_scale_f32 v15, vcc, 1.0, v12, 1.0
	v_fma_f32 v16, -v13, v14, 1.0
	v_fmac_f32_e32 v14, v16, v14
	v_mul_f32_e32 v16, v15, v14
	v_fma_f32 v17, -v13, v16, v15
	v_fmac_f32_e32 v16, v17, v14
	v_fma_f32 v13, -v13, v16, v15
	v_div_fmas_f32 v13, v13, v14, v16
	v_div_fixup_f32 v12, v13, v12, 1.0
	v_mul_f32_e32 v12, v7, v12
	s_movk_i32 s19, 0x7fff
	s_mov_b32 s20, 0x7060302
	s_mul_i32 s18, s49, 12
	v_cmp_gt_u32_e32 vcc, 12, v0
	s_waitcnt vmcnt(14)
	v_pk_mul_f32 v[14:15], v[12:13], v[22:23] op_sel_hi:[0,1]
	v_bfe_u32 v21, v15, 16, 1
	s_waitcnt vmcnt(12)
	v_pk_mul_f32 v[16:17], v[12:13], v[24:25] op_sel_hi:[0,1]
	v_bfe_u32 v7, v17, 16, 1
	v_bfe_u32 v13, v16, 16, 1
	;; [unrolled: 1-line block ×3, first 2 shown]
	v_add3_u32 v13, v16, v13, s19
	v_add3_u32 v7, v17, v7, s19
	buffer_store_dword v16, off, s[0:3], 0 offset:256
	buffer_store_dword v17, off, s[0:3], 0 offset:260
	;; [unrolled: 1-line block ×4, first 2 shown]
	v_add3_u32 v16, v14, v22, s19
	v_add3_u32 v15, v15, v21, s19
	v_perm_b32 v14, v7, v13, s20
	v_lshlrev_b32_e32 v13, 3, v1
	v_perm_b32 v15, v15, v16, s20
	v_lshlrev_b32_e32 v7, 5, v41
	v_lshlrev_b32_e32 v16, 11, v27
	s_waitcnt vmcnt(12)
	v_pk_mul_f32 v[8:9], v[12:13], v[8:9] op_sel_hi:[0,1]
	v_or3_b32 v52, v16, v7, v13
	v_pk_mul_f32 v[10:11], v[12:13], v[10:11] op_sel_hi:[0,1]
	v_bfe_u32 v13, v9, 16, 1
	v_bfe_u32 v16, v8, 16, 1
	buffer_store_dword v8, off, s[0:3], 0 offset:272
	buffer_store_dword v9, off, s[0:3], 0 offset:276
	;; [unrolled: 1-line block ×4, first 2 shown]
	v_add3_u32 v8, v8, v16, s19
	v_add3_u32 v9, v9, v13, s19
	v_perm_b32 v8, v9, v8, s20
	v_bfe_u32 v9, v11, 16, 1
	v_bfe_u32 v13, v10, 16, 1
	v_add3_u32 v10, v10, v13, s19
	v_add3_u32 v9, v11, v9, s19
	v_perm_b32 v9, v9, v10, s20
	s_waitcnt vmcnt(14)
	v_pk_mul_f32 v[10:11], v[12:13], v[18:19] op_sel_hi:[0,1]
	ds_write2st64_b64 v52, v[14:15], v[8:9] offset1:1
	s_waitcnt vmcnt(12)
	v_pk_mul_f32 v[8:9], v[12:13], v[28:29] op_sel_hi:[0,1]
	v_bfe_u32 v13, v11, 16, 1
	v_bfe_u32 v14, v10, 16, 1
	buffer_store_dword v10, off, s[0:3], 0 offset:288
	buffer_store_dword v11, off, s[0:3], 0 offset:292
	;; [unrolled: 1-line block ×4, first 2 shown]
	v_add3_u32 v10, v10, v14, s19
	v_add3_u32 v11, v11, v13, s19
	v_perm_b32 v10, v11, v10, s20
	v_bfe_u32 v11, v9, 16, 1
	v_bfe_u32 v13, v8, 16, 1
	v_add3_u32 v8, v8, v13, s19
	v_add3_u32 v9, v9, v11, s19
	s_waitcnt vmcnt(14)
	v_pk_mul_f32 v[2:3], v[12:13], v[2:3] op_sel_hi:[0,1]
	v_perm_b32 v11, v9, v8, s20
	v_bfe_u32 v8, v3, 16, 1
	v_bfe_u32 v9, v2, 16, 1
	s_waitcnt vmcnt(12)
	v_pk_mul_f32 v[4:5], v[12:13], v[4:5] op_sel_hi:[0,1]
	buffer_store_dword v2, off, s[0:3], 0 offset:304
	buffer_store_dword v3, off, s[0:3], 0 offset:308
	;; [unrolled: 1-line block ×4, first 2 shown]
	v_add3_u32 v2, v2, v9, s19
	v_add3_u32 v3, v3, v8, s19
	v_perm_b32 v2, v3, v2, s20
	v_bfe_u32 v3, v5, 16, 1
	v_bfe_u32 v8, v4, 16, 1
	v_add3_u32 v4, v4, v8, s19
	v_add3_u32 v3, v5, v3, s19
	v_perm_b32 v3, v3, v4, s20
	ds_write2st64_b64 v52, v[10:11], v[2:3] offset0:2 offset1:3
	s_and_saveexec_b64 s[4:5], vcc
	s_cbranch_execz .LBB905_211
; %bb.210:
	v_add_co_u32_e32 v4, vcc, s27, v41
	v_addc_co_u32_e64 v5, s[6:7], 0, 0, vcc
	v_mov_b32_e32 v2, s18
	v_mad_u64_u32 v[4:5], s[6:7], s8, v2, v[4:5]
	v_mov_b32_e32 v3, 0
	s_mul_i32 s6, s9, s18
	v_mov_b32_e32 v2, s26
	v_add_u32_e32 v5, s6, v5
	v_mad_u64_u32 v[2:3], s[6:7], v4, s48, v[2:3]
	v_mov_b32_e32 v4, v3
	v_mad_u64_u32 v[4:5], s[6:7], v5, s48, v[4:5]
	v_mov_b32_e32 v3, v4
	v_lshlrev_b64 v[2:3], 2, v[2:3]
	v_mov_b32_e32 v5, s47
	v_add_co_u32_e32 v4, vcc, s46, v2
	v_addc_co_u32_e32 v5, vcc, v5, v3, vcc
	global_store_dword v[4:5], v20, off
	v_mov_b32_e32 v4, s45
	v_add_co_u32_e32 v2, vcc, s44, v2
	v_addc_co_u32_e32 v3, vcc, v4, v3, vcc
	global_store_dword v[2:3], v6, off
.LBB905_211:
	s_or_b64 exec, exec, s[4:5]
	v_lshl_or_b32 v30, v1, 9, v7
	s_waitcnt lgkmcnt(0)
	s_barrier
	s_load_dword s4, s[42:43], 0x0
	ds_read_b128 v[2:5], v30
	ds_read_b128 v[6:9], v30 offset:16
	ds_read_b128 v[10:13], v30 offset:2048
	;; [unrolled: 1-line block ×7, first 2 shown]
	v_mov_b32_e32 v35, 0x80
	v_mov_b32_e32 v53, 0x140
	s_mov_b64 s[10:11], -1
	s_waitcnt lgkmcnt(0)
	s_mov_b32 s5, s4
	s_mov_b32 s6, s4
	s_mov_b32 s7, s4
	s_movk_i32 s9, 0x80
	s_movk_i32 s21, 0x7f
	s_mov_b32 s22, 0xffffff
	s_mov_b32 s23, 0x5040100
	v_mov_b32_e32 v54, 0
	v_bfrev_b32_e32 v55, 60
	s_branch .LBB905_215
.LBB905_212:                            ;   in Loop: Header=BB905_215 Depth=1
	s_or_b64 exec, exec, s[16:17]
.LBB905_213:                            ;   in Loop: Header=BB905_215 Depth=1
	s_or_b64 exec, exec, s[14:15]
.LBB905_214:                            ;   in Loop: Header=BB905_215 Depth=1
	s_or_b64 exec, exec, s[12:13]
	v_perm_b32 v61, v56, v50, s23
	v_perm_b32 v60, v44, v46, s23
	s_xor_b64 s[12:13], s[10:11], -1
	s_mov_b64 s[10:11], 0
	v_mov_b32_e32 v46, v47
	v_mfma_f32_16x16x16bf16_1k v[60:63], v[60:61], v[30:31], v[34:37]
	s_and_b64 vcc, exec, s[12:13]
	s_nop 5
	v_perm_b32 v37, v58, v57, s23
	v_perm_b32 v36, v42, v51, s23
	v_mov_b32_e32 v35, v45
	s_nop 0
	v_mfma_f32_16x16x16bf16_1k v[56:59], v[36:37], v[32:33], v[60:63]
	s_nop 7
	s_nop 2
	v_pk_mul_f32 v[50:51], v[56:57], s[4:5]
	v_pk_mul_f32 v[36:37], v[58:59], s[6:7]
	v_bfe_u32 v34, v51, 16, 1
	v_bfe_u32 v38, v50, 16, 1
	;; [unrolled: 1-line block ×4, first 2 shown]
	v_add3_u32 v38, v50, v38, s19
	v_add3_u32 v34, v51, v34, s19
	;; [unrolled: 1-line block ×4, first 2 shown]
	v_perm_b32 v34, v34, v38, s20
	v_perm_b32 v36, v37, v36, s20
	buffer_store_dword v34, v53, s[0:3], 0 offen
	buffer_store_dword v36, v53, s[0:3], 0 offen offset:4
	v_mov_b32_e32 v53, 0x148
	v_mov_b32_e32 v51, v48
	;; [unrolled: 1-line block ×3, first 2 shown]
	s_cbranch_vccnz .LBB905_597
.LBB905_215:                            ; =>This Inner Loop Header: Depth=1
	buffer_load_dword v36, v35, s[0:3], 0 offen
	buffer_load_dword v34, v35, s[0:3], 0 offen offset:4
	buffer_load_dword v40, v35, s[0:3], 0 offen offset:8
	;; [unrolled: 1-line block ×3, first 2 shown]
	v_mov_b32_e32 v35, 0
	s_waitcnt vmcnt(3)
	v_cmp_ne_u16_sdwa s[14:15], v36, v54 src0_sel:BYTE_0 src1_sel:DWORD
	s_and_saveexec_b64 s[12:13], s[14:15]
	s_cbranch_execz .LBB905_221
; %bb.216:                              ;   in Loop: Header=BB905_215 Depth=1
	v_cmp_ne_u16_sdwa s[16:17], v36, s9 src0_sel:BYTE_0 src1_sel:DWORD
	v_mov_b32_e32 v35, 0xffff8000
	s_and_saveexec_b64 s[14:15], s[16:17]
	s_cbranch_execz .LBB905_220
; %bb.217:                              ;   in Loop: Header=BB905_215 Depth=1
	v_and_b32_e32 v37, 0x7f, v36
	v_cmp_ne_u32_e32 vcc, s21, v37
	v_mov_b32_e32 v35, 0x7f80
	s_and_saveexec_b64 s[16:17], vcc
	s_cbranch_execz .LBB905_219
; %bb.218:                              ;   in Loop: Header=BB905_215 Depth=1
	v_and_b32_e32 v35, 7, v36
	v_ffbh_u32_e32 v44, v35
	v_min_u32_e32 v44, 32, v44
	v_subrev_u32_e32 v56, 28, v44
	v_lshlrev_b64 v[56:57], v56, v[36:37]
	v_lshrrev_b32_e32 v42, 3, v37
	v_sub_u32_e32 v44, 29, v44
	v_and_b32_e32 v56, 7, v56
	v_cmp_gt_u32_e32 vcc, 8, v37
	v_cndmask_b32_e32 v37, v42, v44, vcc
	v_cndmask_b32_e32 v35, v35, v56, vcc
	v_lshlrev_b32_e32 v42, 24, v36
	v_lshlrev_b32_e32 v35, 20, v35
	v_and_b32_e32 v42, 0x80000000, v42
	v_lshl_add_u32 v37, v37, 23, v55
	v_or3_b32 v35, v42, v37, v35
	v_lshrrev_b32_e32 v35, 16, v35
.LBB905_219:                            ;   in Loop: Header=BB905_215 Depth=1
	s_or_b64 exec, exec, s[16:17]
.LBB905_220:                            ;   in Loop: Header=BB905_215 Depth=1
	s_or_b64 exec, exec, s[14:15]
.LBB905_221:                            ;   in Loop: Header=BB905_215 Depth=1
	s_or_b64 exec, exec, s[12:13]
	v_lshrrev_b16_e32 v42, 8, v36
	v_cmp_ne_u16_e32 vcc, 0, v42
	v_mov_b32_e32 v56, 0
	v_mov_b32_e32 v37, 0
	s_and_saveexec_b64 s[12:13], vcc
	s_cbranch_execz .LBB905_227
; %bb.222:                              ;   in Loop: Header=BB905_215 Depth=1
	v_cmp_ne_u16_e32 vcc, s9, v42
	v_mov_b32_e32 v37, 0xffff8000
	s_and_saveexec_b64 s[14:15], vcc
	s_cbranch_execz .LBB905_226
; %bb.223:                              ;   in Loop: Header=BB905_215 Depth=1
	v_and_b32_e32 v44, 0x7f, v42
	v_cmp_ne_u32_e32 vcc, s21, v44
	v_mov_b32_e32 v37, 0x7f80
	s_and_saveexec_b64 s[16:17], vcc
	s_cbranch_execz .LBB905_225
; %bb.224:                              ;   in Loop: Header=BB905_215 Depth=1
	v_and_b32_e32 v37, 7, v42
	v_ffbh_u32_e32 v58, v37
	v_min_u32_e32 v60, 32, v58
	v_subrev_u32_e32 v58, 28, v60
	v_lshlrev_b64 v[58:59], v58, v[42:43]
	v_lshrrev_b32_e32 v57, 3, v44
	v_sub_u32_e32 v42, 29, v60
	v_and_b32_e32 v58, 7, v58
	v_cmp_gt_u32_e32 vcc, 8, v44
	v_cndmask_b32_e32 v42, v57, v42, vcc
	v_cndmask_b32_e32 v37, v37, v58, vcc
	v_lshlrev_b32_e32 v44, 16, v36
	v_lshlrev_b32_e32 v37, 20, v37
	v_and_b32_e32 v44, 0x80000000, v44
	v_lshl_add_u32 v42, v42, 23, v55
	v_or3_b32 v37, v44, v42, v37
	v_lshrrev_b32_e32 v37, 16, v37
.LBB905_225:                            ;   in Loop: Header=BB905_215 Depth=1
	s_or_b64 exec, exec, s[16:17]
.LBB905_226:                            ;   in Loop: Header=BB905_215 Depth=1
	s_or_b64 exec, exec, s[14:15]
.LBB905_227:                            ;   in Loop: Header=BB905_215 Depth=1
	s_or_b64 exec, exec, s[12:13]
	v_lshrrev_b32_e32 v42, 16, v36
	v_cmp_ne_u16_sdwa s[14:15], v42, v54 src0_sel:BYTE_0 src1_sel:DWORD
	s_and_saveexec_b64 s[12:13], s[14:15]
	s_cbranch_execz .LBB905_233
; %bb.228:                              ;   in Loop: Header=BB905_215 Depth=1
	v_cmp_ne_u16_sdwa s[16:17], v42, s9 src0_sel:BYTE_0 src1_sel:DWORD
	v_mov_b32_e32 v56, 0xffff8000
	s_and_saveexec_b64 s[14:15], s[16:17]
	s_cbranch_execz .LBB905_232
; %bb.229:                              ;   in Loop: Header=BB905_215 Depth=1
	v_bfe_u32 v44, v36, 16, 7
	v_cmp_ne_u32_e32 vcc, s21, v44
	v_mov_b32_e32 v56, 0x7f80
	s_and_saveexec_b64 s[16:17], vcc
	s_cbranch_execz .LBB905_231
; %bb.230:                              ;   in Loop: Header=BB905_215 Depth=1
	v_and_b32_e32 v58, 7, v42
	v_ffbh_u32_e32 v56, v58
	v_min_u32_e32 v60, 32, v56
	v_subrev_u32_e32 v56, 28, v60
	v_lshlrev_b64 v[56:57], v56, v[42:43]
	v_lshrrev_b32_e32 v59, 3, v44
	v_sub_u32_e32 v57, 29, v60
	v_and_b32_e32 v56, 7, v56
	v_cmp_gt_u32_e32 vcc, 8, v44
	v_cndmask_b32_e32 v44, v59, v57, vcc
	v_cndmask_b32_e32 v56, v58, v56, vcc
	v_lshlrev_b32_e32 v42, 24, v42
	v_lshlrev_b32_e32 v56, 20, v56
	v_and_b32_e32 v42, 0x80000000, v42
	v_lshl_add_u32 v44, v44, 23, v55
	v_or3_b32 v42, v42, v44, v56
	v_lshrrev_b32_e32 v56, 16, v42
.LBB905_231:                            ;   in Loop: Header=BB905_215 Depth=1
	s_or_b64 exec, exec, s[16:17]
.LBB905_232:                            ;   in Loop: Header=BB905_215 Depth=1
	s_or_b64 exec, exec, s[14:15]
.LBB905_233:                            ;   in Loop: Header=BB905_215 Depth=1
	s_or_b64 exec, exec, s[12:13]
	v_cmp_lt_u32_e32 vcc, s22, v36
	v_mov_b32_e32 v57, 0
	v_mov_b32_e32 v58, 0
	s_and_saveexec_b64 s[12:13], vcc
	s_cbranch_execz .LBB905_239
; %bb.234:                              ;   in Loop: Header=BB905_215 Depth=1
	v_lshrrev_b32_e32 v42, 24, v36
	v_cmp_ne_u32_e32 vcc, s9, v42
	v_mov_b32_e32 v58, 0xffff8000
	s_and_saveexec_b64 s[14:15], vcc
	s_cbranch_execz .LBB905_238
; %bb.235:                              ;   in Loop: Header=BB905_215 Depth=1
	v_bfe_u32 v36, v36, 24, 7
	v_cmp_ne_u32_e32 vcc, s21, v36
	v_mov_b32_e32 v58, 0x7f80
	s_and_saveexec_b64 s[16:17], vcc
	s_cbranch_execz .LBB905_237
; %bb.236:                              ;   in Loop: Header=BB905_215 Depth=1
	v_and_b32_e32 v44, 7, v42
	v_ffbh_u32_e32 v58, v44
	v_min_u32_e32 v61, 32, v58
	v_subrev_u32_e32 v58, 28, v61
	v_lshlrev_b64 v[58:59], v58, v[42:43]
	v_lshrrev_b32_e32 v60, 3, v36
	v_sub_u32_e32 v59, 29, v61
	v_and_b32_e32 v58, 7, v58
	v_cmp_gt_u32_e32 vcc, 8, v36
	v_cndmask_b32_e32 v36, v60, v59, vcc
	v_cndmask_b32_e32 v44, v44, v58, vcc
	v_lshlrev_b32_e32 v42, 24, v42
	v_lshlrev_b32_e32 v44, 20, v44
	v_and_b32_e32 v42, 0x80000000, v42
	v_lshl_add_u32 v36, v36, 23, v55
	v_or3_b32 v36, v42, v36, v44
	v_lshrrev_b32_e32 v58, 16, v36
.LBB905_237:                            ;   in Loop: Header=BB905_215 Depth=1
	s_or_b64 exec, exec, s[16:17]
.LBB905_238:                            ;   in Loop: Header=BB905_215 Depth=1
	s_or_b64 exec, exec, s[14:15]
.LBB905_239:                            ;   in Loop: Header=BB905_215 Depth=1
	s_or_b64 exec, exec, s[12:13]
	s_waitcnt vmcnt(2)
	v_cmp_ne_u16_sdwa s[14:15], v34, v54 src0_sel:BYTE_0 src1_sel:DWORD
	s_and_saveexec_b64 s[12:13], s[14:15]
	s_cbranch_execz .LBB905_245
; %bb.240:                              ;   in Loop: Header=BB905_215 Depth=1
	v_cmp_ne_u16_sdwa s[16:17], v34, s9 src0_sel:BYTE_0 src1_sel:DWORD
	v_mov_b32_e32 v57, 0xffff8000
	s_and_saveexec_b64 s[14:15], s[16:17]
	s_cbranch_execz .LBB905_244
; %bb.241:                              ;   in Loop: Header=BB905_215 Depth=1
	v_and_b32_e32 v36, 0x7f, v34
	v_cmp_ne_u32_e32 vcc, s21, v36
	v_mov_b32_e32 v57, 0x7f80
	s_and_saveexec_b64 s[16:17], vcc
	s_cbranch_execz .LBB905_243
; %bb.242:                              ;   in Loop: Header=BB905_215 Depth=1
	v_and_b32_e32 v42, 7, v34
	v_ffbh_u32_e32 v57, v42
	v_min_u32_e32 v57, 32, v57
	v_subrev_u32_e32 v59, 28, v57
	v_lshlrev_b64 v[60:61], v59, v[34:35]
	v_lshrrev_b32_e32 v44, 3, v36
	v_sub_u32_e32 v57, 29, v57
	v_and_b32_e32 v59, 7, v60
	v_cmp_gt_u32_e32 vcc, 8, v36
	v_cndmask_b32_e32 v36, v44, v57, vcc
	v_cndmask_b32_e32 v42, v42, v59, vcc
	v_lshlrev_b32_e32 v44, 24, v34
	v_lshlrev_b32_e32 v42, 20, v42
	v_and_b32_e32 v44, 0x80000000, v44
	v_lshl_add_u32 v36, v36, 23, v55
	v_or3_b32 v36, v44, v36, v42
	v_lshrrev_b32_e32 v57, 16, v36
.LBB905_243:                            ;   in Loop: Header=BB905_215 Depth=1
	s_or_b64 exec, exec, s[16:17]
.LBB905_244:                            ;   in Loop: Header=BB905_215 Depth=1
	s_or_b64 exec, exec, s[14:15]
.LBB905_245:                            ;   in Loop: Header=BB905_215 Depth=1
	s_or_b64 exec, exec, s[12:13]
	v_lshrrev_b16_e32 v36, 8, v34
	v_cmp_ne_u16_e32 vcc, 0, v36
	v_mov_b32_e32 v59, 0
	v_mov_b32_e32 v42, 0
	s_and_saveexec_b64 s[12:13], vcc
	s_cbranch_execz .LBB905_251
; %bb.246:                              ;   in Loop: Header=BB905_215 Depth=1
	v_cmp_ne_u16_e32 vcc, s9, v36
	v_mov_b32_e32 v42, 0xffff8000
	s_and_saveexec_b64 s[14:15], vcc
	s_cbranch_execz .LBB905_250
; %bb.247:                              ;   in Loop: Header=BB905_215 Depth=1
	v_and_b32_e32 v44, 0x7f, v36
	v_cmp_ne_u32_e32 vcc, s21, v44
	v_mov_b32_e32 v42, 0x7f80
	s_and_saveexec_b64 s[16:17], vcc
	s_cbranch_execz .LBB905_249
; %bb.248:                              ;   in Loop: Header=BB905_215 Depth=1
	v_and_b32_e32 v42, 7, v36
	v_ffbh_u32_e32 v60, v42
	v_min_u32_e32 v63, 32, v60
	v_subrev_u32_e32 v60, 28, v63
	v_lshlrev_b64 v[60:61], v60, v[36:37]
	v_lshrrev_b32_e32 v62, 3, v44
	v_sub_u32_e32 v36, 29, v63
	v_and_b32_e32 v60, 7, v60
	v_cmp_gt_u32_e32 vcc, 8, v44
	v_cndmask_b32_e32 v36, v62, v36, vcc
	v_cndmask_b32_e32 v42, v42, v60, vcc
	v_lshlrev_b32_e32 v44, 16, v34
	v_lshlrev_b32_e32 v42, 20, v42
	v_and_b32_e32 v44, 0x80000000, v44
	v_lshl_add_u32 v36, v36, 23, v55
	v_or3_b32 v36, v44, v36, v42
	v_lshrrev_b32_e32 v42, 16, v36
.LBB905_249:                            ;   in Loop: Header=BB905_215 Depth=1
	s_or_b64 exec, exec, s[16:17]
.LBB905_250:                            ;   in Loop: Header=BB905_215 Depth=1
	s_or_b64 exec, exec, s[14:15]
.LBB905_251:                            ;   in Loop: Header=BB905_215 Depth=1
	s_or_b64 exec, exec, s[12:13]
	v_lshrrev_b32_e32 v36, 16, v34
	v_cmp_ne_u16_sdwa s[14:15], v36, v54 src0_sel:BYTE_0 src1_sel:DWORD
	s_and_saveexec_b64 s[12:13], s[14:15]
	s_cbranch_execz .LBB905_257
; %bb.252:                              ;   in Loop: Header=BB905_215 Depth=1
	v_cmp_ne_u16_sdwa s[16:17], v36, s9 src0_sel:BYTE_0 src1_sel:DWORD
	v_mov_b32_e32 v59, 0xffff8000
	s_and_saveexec_b64 s[14:15], s[16:17]
	s_cbranch_execz .LBB905_256
; %bb.253:                              ;   in Loop: Header=BB905_215 Depth=1
	v_bfe_u32 v44, v34, 16, 7
	v_cmp_ne_u32_e32 vcc, s21, v44
	v_mov_b32_e32 v59, 0x7f80
	s_and_saveexec_b64 s[16:17], vcc
	s_cbranch_execz .LBB905_255
; %bb.254:                              ;   in Loop: Header=BB905_215 Depth=1
	v_and_b32_e32 v59, 7, v36
	v_ffbh_u32_e32 v60, v59
	v_min_u32_e32 v63, 32, v60
	v_subrev_u32_e32 v60, 28, v63
	v_lshlrev_b64 v[60:61], v60, v[36:37]
	v_lshrrev_b32_e32 v62, 3, v44
	v_sub_u32_e32 v61, 29, v63
	v_and_b32_e32 v60, 7, v60
	v_cmp_gt_u32_e32 vcc, 8, v44
	v_cndmask_b32_e32 v44, v62, v61, vcc
	v_cndmask_b32_e32 v59, v59, v60, vcc
	v_lshlrev_b32_e32 v36, 24, v36
	v_lshlrev_b32_e32 v59, 20, v59
	v_and_b32_e32 v36, 0x80000000, v36
	v_lshl_add_u32 v44, v44, 23, v55
	v_or3_b32 v36, v36, v44, v59
	v_lshrrev_b32_e32 v59, 16, v36
.LBB905_255:                            ;   in Loop: Header=BB905_215 Depth=1
	s_or_b64 exec, exec, s[16:17]
.LBB905_256:                            ;   in Loop: Header=BB905_215 Depth=1
	s_or_b64 exec, exec, s[14:15]
.LBB905_257:                            ;   in Loop: Header=BB905_215 Depth=1
	s_or_b64 exec, exec, s[12:13]
	v_cmp_lt_u32_e32 vcc, s22, v34
	v_mov_b32_e32 v44, 0
	v_mov_b32_e32 v60, 0
	s_and_saveexec_b64 s[12:13], vcc
	s_cbranch_execz .LBB905_263
; %bb.258:                              ;   in Loop: Header=BB905_215 Depth=1
	v_lshrrev_b32_e32 v36, 24, v34
	v_cmp_ne_u32_e32 vcc, s9, v36
	v_mov_b32_e32 v60, 0xffff8000
	s_and_saveexec_b64 s[14:15], vcc
	s_cbranch_execz .LBB905_262
; %bb.259:                              ;   in Loop: Header=BB905_215 Depth=1
	v_bfe_u32 v34, v34, 24, 7
	v_cmp_ne_u32_e32 vcc, s21, v34
	v_mov_b32_e32 v60, 0x7f80
	s_and_saveexec_b64 s[16:17], vcc
	s_cbranch_execz .LBB905_261
; %bb.260:                              ;   in Loop: Header=BB905_215 Depth=1
	v_and_b32_e32 v62, 7, v36
	v_ffbh_u32_e32 v60, v62
	v_min_u32_e32 v64, 32, v60
	v_subrev_u32_e32 v60, 28, v64
	v_lshlrev_b64 v[60:61], v60, v[36:37]
	v_lshrrev_b32_e32 v63, 3, v34
	v_sub_u32_e32 v61, 29, v64
	v_and_b32_e32 v60, 7, v60
	v_cmp_gt_u32_e32 vcc, 8, v34
	v_cndmask_b32_e32 v34, v63, v61, vcc
	v_cndmask_b32_e32 v60, v62, v60, vcc
	v_lshlrev_b32_e32 v36, 24, v36
	v_lshlrev_b32_e32 v60, 20, v60
	v_and_b32_e32 v36, 0x80000000, v36
	v_lshl_add_u32 v34, v34, 23, v55
	v_or3_b32 v34, v36, v34, v60
	v_lshrrev_b32_e32 v60, 16, v34
.LBB905_261:                            ;   in Loop: Header=BB905_215 Depth=1
	s_or_b64 exec, exec, s[16:17]
.LBB905_262:                            ;   in Loop: Header=BB905_215 Depth=1
	s_or_b64 exec, exec, s[14:15]
.LBB905_263:                            ;   in Loop: Header=BB905_215 Depth=1
	s_or_b64 exec, exec, s[12:13]
	v_perm_b32 v63, v58, v56, s23
	v_perm_b32 v62, v37, v35, s23
	;; [unrolled: 1-line block ×4, first 2 shown]
	s_waitcnt vmcnt(1)
	v_cmp_ne_u16_sdwa s[14:15], v40, v54 src0_sel:BYTE_0 src1_sel:DWORD
	v_mfma_f32_16x16x16bf16_1k v[34:37], v[62:63], v[2:3], 0
	v_mfma_f32_16x16x16bf16_1k v[34:37], v[58:59], v[4:5], v[34:37]
	s_and_saveexec_b64 s[12:13], s[14:15]
	s_cbranch_execz .LBB905_269
; %bb.264:                              ;   in Loop: Header=BB905_215 Depth=1
	v_cmp_ne_u16_sdwa s[16:17], v40, s9 src0_sel:BYTE_0 src1_sel:DWORD
	v_mov_b32_e32 v44, 0xffff8000
	s_and_saveexec_b64 s[14:15], s[16:17]
	s_cbranch_execz .LBB905_268
; %bb.265:                              ;   in Loop: Header=BB905_215 Depth=1
	v_and_b32_e32 v42, 0x7f, v40
	v_cmp_ne_u32_e32 vcc, s21, v42
	v_mov_b32_e32 v44, 0x7f80
	s_and_saveexec_b64 s[16:17], vcc
	s_cbranch_execz .LBB905_267
; %bb.266:                              ;   in Loop: Header=BB905_215 Depth=1
	v_and_b32_e32 v44, 7, v40
	v_ffbh_u32_e32 v56, v44
	v_min_u32_e32 v59, 32, v56
	v_subrev_u32_e32 v56, 28, v59
	v_lshlrev_b64 v[56:57], v56, v[40:41]
	v_lshrrev_b32_e32 v58, 3, v42
	v_sub_u32_e32 v57, 29, v59
	v_and_b32_e32 v56, 7, v56
	v_cmp_gt_u32_e32 vcc, 8, v42
	v_cndmask_b32_e32 v42, v58, v57, vcc
	v_cndmask_b32_e32 v44, v44, v56, vcc
	v_lshlrev_b32_e32 v56, 24, v40
	v_lshlrev_b32_e32 v44, 20, v44
	v_and_b32_e32 v56, 0x80000000, v56
	v_lshl_add_u32 v42, v42, 23, v55
	v_or3_b32 v42, v56, v42, v44
	v_lshrrev_b32_e32 v44, 16, v42
.LBB905_267:                            ;   in Loop: Header=BB905_215 Depth=1
	s_or_b64 exec, exec, s[16:17]
.LBB905_268:                            ;   in Loop: Header=BB905_215 Depth=1
	s_or_b64 exec, exec, s[14:15]
.LBB905_269:                            ;   in Loop: Header=BB905_215 Depth=1
	s_or_b64 exec, exec, s[12:13]
	v_lshrrev_b16_e32 v42, 8, v40
	v_cmp_ne_u16_e32 vcc, 0, v42
	v_mov_b32_e32 v58, 0
	v_mov_b32_e32 v57, 0
	s_and_saveexec_b64 s[12:13], vcc
	s_cbranch_execz .LBB905_275
; %bb.270:                              ;   in Loop: Header=BB905_215 Depth=1
	v_cmp_ne_u16_e32 vcc, s9, v42
	v_mov_b32_e32 v57, 0xffff8000
	s_and_saveexec_b64 s[14:15], vcc
	s_cbranch_execz .LBB905_274
; %bb.271:                              ;   in Loop: Header=BB905_215 Depth=1
	v_and_b32_e32 v56, 0x7f, v42
	v_cmp_ne_u32_e32 vcc, s21, v56
	v_mov_b32_e32 v57, 0x7f80
	s_and_saveexec_b64 s[16:17], vcc
	s_cbranch_execz .LBB905_273
; %bb.272:                              ;   in Loop: Header=BB905_215 Depth=1
	v_and_b32_e32 v57, 7, v42
	v_ffbh_u32_e32 v60, v57
	v_min_u32_e32 v62, 32, v60
	v_subrev_u32_e32 v60, 28, v62
	v_lshlrev_b64 v[60:61], v60, v[42:43]
	v_lshrrev_b32_e32 v59, 3, v56
	v_sub_u32_e32 v42, 29, v62
	v_and_b32_e32 v60, 7, v60
	v_cmp_gt_u32_e32 vcc, 8, v56
	v_cndmask_b32_e32 v42, v59, v42, vcc
	v_cndmask_b32_e32 v56, v57, v60, vcc
	v_lshlrev_b32_e32 v57, 16, v40
	v_lshlrev_b32_e32 v56, 20, v56
	v_and_b32_e32 v57, 0x80000000, v57
	v_lshl_add_u32 v42, v42, 23, v55
	v_or3_b32 v42, v57, v42, v56
	v_lshrrev_b32_e32 v57, 16, v42
.LBB905_273:                            ;   in Loop: Header=BB905_215 Depth=1
	s_or_b64 exec, exec, s[16:17]
.LBB905_274:                            ;   in Loop: Header=BB905_215 Depth=1
	s_or_b64 exec, exec, s[14:15]
.LBB905_275:                            ;   in Loop: Header=BB905_215 Depth=1
	s_or_b64 exec, exec, s[12:13]
	v_lshrrev_b32_e32 v42, 16, v40
	v_cmp_ne_u16_sdwa s[14:15], v42, v54 src0_sel:BYTE_0 src1_sel:DWORD
	s_and_saveexec_b64 s[12:13], s[14:15]
	s_cbranch_execz .LBB905_281
; %bb.276:                              ;   in Loop: Header=BB905_215 Depth=1
	v_cmp_ne_u16_sdwa s[16:17], v42, s9 src0_sel:BYTE_0 src1_sel:DWORD
	v_mov_b32_e32 v58, 0xffff8000
	s_and_saveexec_b64 s[14:15], s[16:17]
	s_cbranch_execz .LBB905_280
; %bb.277:                              ;   in Loop: Header=BB905_215 Depth=1
	v_bfe_u32 v56, v40, 16, 7
	v_cmp_ne_u32_e32 vcc, s21, v56
	v_mov_b32_e32 v58, 0x7f80
	s_and_saveexec_b64 s[16:17], vcc
	s_cbranch_execz .LBB905_279
; %bb.278:                              ;   in Loop: Header=BB905_215 Depth=1
	v_and_b32_e32 v60, 7, v42
	v_ffbh_u32_e32 v58, v60
	v_min_u32_e32 v62, 32, v58
	v_subrev_u32_e32 v58, 28, v62
	v_lshlrev_b64 v[58:59], v58, v[42:43]
	v_lshrrev_b32_e32 v61, 3, v56
	v_sub_u32_e32 v59, 29, v62
	v_and_b32_e32 v58, 7, v58
	v_cmp_gt_u32_e32 vcc, 8, v56
	v_cndmask_b32_e32 v56, v61, v59, vcc
	v_cndmask_b32_e32 v58, v60, v58, vcc
	v_lshlrev_b32_e32 v42, 24, v42
	v_lshlrev_b32_e32 v58, 20, v58
	v_and_b32_e32 v42, 0x80000000, v42
	v_lshl_add_u32 v56, v56, 23, v55
	v_or3_b32 v42, v42, v56, v58
	v_lshrrev_b32_e32 v58, 16, v42
.LBB905_279:                            ;   in Loop: Header=BB905_215 Depth=1
	s_or_b64 exec, exec, s[16:17]
.LBB905_280:                            ;   in Loop: Header=BB905_215 Depth=1
	s_or_b64 exec, exec, s[14:15]
.LBB905_281:                            ;   in Loop: Header=BB905_215 Depth=1
	s_or_b64 exec, exec, s[12:13]
	v_cmp_lt_u32_e32 vcc, s22, v40
	v_mov_b32_e32 v59, 0
	v_mov_b32_e32 v60, 0
	s_and_saveexec_b64 s[12:13], vcc
	s_cbranch_execz .LBB905_287
; %bb.282:                              ;   in Loop: Header=BB905_215 Depth=1
	v_lshrrev_b32_e32 v42, 24, v40
	v_cmp_ne_u32_e32 vcc, s9, v42
	v_mov_b32_e32 v60, 0xffff8000
	s_and_saveexec_b64 s[14:15], vcc
	s_cbranch_execz .LBB905_286
; %bb.283:                              ;   in Loop: Header=BB905_215 Depth=1
	v_bfe_u32 v40, v40, 24, 7
	v_cmp_ne_u32_e32 vcc, s21, v40
	v_mov_b32_e32 v60, 0x7f80
	s_and_saveexec_b64 s[16:17], vcc
	s_cbranch_execz .LBB905_285
; %bb.284:                              ;   in Loop: Header=BB905_215 Depth=1
	v_and_b32_e32 v56, 7, v42
	v_ffbh_u32_e32 v60, v56
	v_min_u32_e32 v63, 32, v60
	v_subrev_u32_e32 v60, 28, v63
	v_lshlrev_b64 v[60:61], v60, v[42:43]
	v_lshrrev_b32_e32 v62, 3, v40
	v_sub_u32_e32 v61, 29, v63
	v_and_b32_e32 v60, 7, v60
	v_cmp_gt_u32_e32 vcc, 8, v40
	v_cndmask_b32_e32 v40, v62, v61, vcc
	v_cndmask_b32_e32 v56, v56, v60, vcc
	v_lshlrev_b32_e32 v42, 24, v42
	v_lshlrev_b32_e32 v56, 20, v56
	v_and_b32_e32 v42, 0x80000000, v42
	v_lshl_add_u32 v40, v40, 23, v55
	v_or3_b32 v40, v42, v40, v56
	v_lshrrev_b32_e32 v60, 16, v40
.LBB905_285:                            ;   in Loop: Header=BB905_215 Depth=1
	s_or_b64 exec, exec, s[16:17]
.LBB905_286:                            ;   in Loop: Header=BB905_215 Depth=1
	s_or_b64 exec, exec, s[14:15]
.LBB905_287:                            ;   in Loop: Header=BB905_215 Depth=1
	s_or_b64 exec, exec, s[12:13]
	s_waitcnt vmcnt(0)
	v_cmp_ne_u16_sdwa s[14:15], v38, v54 src0_sel:BYTE_0 src1_sel:DWORD
	s_and_saveexec_b64 s[12:13], s[14:15]
	s_cbranch_execz .LBB905_293
; %bb.288:                              ;   in Loop: Header=BB905_215 Depth=1
	v_cmp_ne_u16_sdwa s[16:17], v38, s9 src0_sel:BYTE_0 src1_sel:DWORD
	v_mov_b32_e32 v59, 0xffff8000
	s_and_saveexec_b64 s[14:15], s[16:17]
	s_cbranch_execz .LBB905_292
; %bb.289:                              ;   in Loop: Header=BB905_215 Depth=1
	v_and_b32_e32 v40, 0x7f, v38
	v_cmp_ne_u32_e32 vcc, s21, v40
	v_mov_b32_e32 v59, 0x7f80
	s_and_saveexec_b64 s[16:17], vcc
	s_cbranch_execz .LBB905_291
; %bb.290:                              ;   in Loop: Header=BB905_215 Depth=1
	v_and_b32_e32 v42, 7, v38
	v_ffbh_u32_e32 v59, v42
	v_min_u32_e32 v59, 32, v59
	v_subrev_u32_e32 v61, 28, v59
	v_lshlrev_b64 v[62:63], v61, v[38:39]
	v_lshrrev_b32_e32 v56, 3, v40
	v_sub_u32_e32 v59, 29, v59
	v_and_b32_e32 v61, 7, v62
	v_cmp_gt_u32_e32 vcc, 8, v40
	v_cndmask_b32_e32 v40, v56, v59, vcc
	v_cndmask_b32_e32 v42, v42, v61, vcc
	v_lshlrev_b32_e32 v56, 24, v38
	v_lshlrev_b32_e32 v42, 20, v42
	v_and_b32_e32 v56, 0x80000000, v56
	v_lshl_add_u32 v40, v40, 23, v55
	v_or3_b32 v40, v56, v40, v42
	v_lshrrev_b32_e32 v59, 16, v40
.LBB905_291:                            ;   in Loop: Header=BB905_215 Depth=1
	s_or_b64 exec, exec, s[16:17]
.LBB905_292:                            ;   in Loop: Header=BB905_215 Depth=1
	s_or_b64 exec, exec, s[14:15]
.LBB905_293:                            ;   in Loop: Header=BB905_215 Depth=1
	s_or_b64 exec, exec, s[12:13]
	v_lshrrev_b16_e32 v40, 8, v38
	v_cmp_ne_u16_e32 vcc, 0, v40
	v_mov_b32_e32 v62, 0
	v_mov_b32_e32 v61, 0
	s_and_saveexec_b64 s[12:13], vcc
	s_cbranch_execz .LBB905_299
; %bb.294:                              ;   in Loop: Header=BB905_215 Depth=1
	v_cmp_ne_u16_e32 vcc, s9, v40
	v_mov_b32_e32 v61, 0xffff8000
	s_and_saveexec_b64 s[14:15], vcc
	s_cbranch_execz .LBB905_298
; %bb.295:                              ;   in Loop: Header=BB905_215 Depth=1
	v_and_b32_e32 v42, 0x7f, v40
	v_cmp_ne_u32_e32 vcc, s21, v42
	v_mov_b32_e32 v61, 0x7f80
	s_and_saveexec_b64 s[16:17], vcc
	s_cbranch_execz .LBB905_297
; %bb.296:                              ;   in Loop: Header=BB905_215 Depth=1
	v_and_b32_e32 v56, 7, v40
	v_ffbh_u32_e32 v63, v56
	v_min_u32_e32 v63, 32, v63
	v_subrev_u32_e32 v64, 28, v63
	v_lshlrev_b64 v[64:65], v64, v[40:41]
	v_lshrrev_b32_e32 v61, 3, v42
	v_sub_u32_e32 v40, 29, v63
	v_and_b32_e32 v63, 7, v64
	v_cmp_gt_u32_e32 vcc, 8, v42
	v_cndmask_b32_e32 v40, v61, v40, vcc
	v_cndmask_b32_e32 v42, v56, v63, vcc
	v_lshlrev_b32_e32 v56, 16, v38
	v_lshlrev_b32_e32 v42, 20, v42
	v_and_b32_e32 v56, 0x80000000, v56
	v_lshl_add_u32 v40, v40, 23, v55
	v_or3_b32 v40, v56, v40, v42
	v_lshrrev_b32_e32 v61, 16, v40
.LBB905_297:                            ;   in Loop: Header=BB905_215 Depth=1
	s_or_b64 exec, exec, s[16:17]
.LBB905_298:                            ;   in Loop: Header=BB905_215 Depth=1
	s_or_b64 exec, exec, s[14:15]
.LBB905_299:                            ;   in Loop: Header=BB905_215 Depth=1
	s_or_b64 exec, exec, s[12:13]
	v_lshrrev_b32_e32 v40, 16, v38
	v_cmp_ne_u16_sdwa s[14:15], v40, v54 src0_sel:BYTE_0 src1_sel:DWORD
	s_and_saveexec_b64 s[12:13], s[14:15]
	s_cbranch_execz .LBB905_305
; %bb.300:                              ;   in Loop: Header=BB905_215 Depth=1
	v_cmp_ne_u16_sdwa s[16:17], v40, s9 src0_sel:BYTE_0 src1_sel:DWORD
	v_mov_b32_e32 v62, 0xffff8000
	s_and_saveexec_b64 s[14:15], s[16:17]
	s_cbranch_execz .LBB905_304
; %bb.301:                              ;   in Loop: Header=BB905_215 Depth=1
	v_bfe_u32 v42, v38, 16, 7
	v_cmp_ne_u32_e32 vcc, s21, v42
	v_mov_b32_e32 v62, 0x7f80
	s_and_saveexec_b64 s[16:17], vcc
	s_cbranch_execz .LBB905_303
; %bb.302:                              ;   in Loop: Header=BB905_215 Depth=1
	v_and_b32_e32 v56, 7, v40
	v_ffbh_u32_e32 v62, v56
	v_min_u32_e32 v65, 32, v62
	v_subrev_u32_e32 v62, 28, v65
	v_lshlrev_b64 v[62:63], v62, v[40:41]
	v_lshrrev_b32_e32 v64, 3, v42
	v_sub_u32_e32 v63, 29, v65
	v_and_b32_e32 v62, 7, v62
	v_cmp_gt_u32_e32 vcc, 8, v42
	v_cndmask_b32_e32 v42, v64, v63, vcc
	v_cndmask_b32_e32 v56, v56, v62, vcc
	v_lshlrev_b32_e32 v40, 24, v40
	v_lshlrev_b32_e32 v56, 20, v56
	v_and_b32_e32 v40, 0x80000000, v40
	v_lshl_add_u32 v42, v42, 23, v55
	v_or3_b32 v40, v40, v42, v56
	v_lshrrev_b32_e32 v62, 16, v40
.LBB905_303:                            ;   in Loop: Header=BB905_215 Depth=1
	s_or_b64 exec, exec, s[16:17]
.LBB905_304:                            ;   in Loop: Header=BB905_215 Depth=1
	s_or_b64 exec, exec, s[14:15]
.LBB905_305:                            ;   in Loop: Header=BB905_215 Depth=1
	s_or_b64 exec, exec, s[12:13]
	v_cmp_lt_u32_e32 vcc, s22, v38
	v_mov_b32_e32 v56, 0
	v_mov_b32_e32 v63, 0
	s_and_saveexec_b64 s[12:13], vcc
	s_cbranch_execz .LBB905_311
; %bb.306:                              ;   in Loop: Header=BB905_215 Depth=1
	v_lshrrev_b32_e32 v40, 24, v38
	v_cmp_ne_u32_e32 vcc, s9, v40
	v_mov_b32_e32 v63, 0xffff8000
	s_and_saveexec_b64 s[14:15], vcc
	s_cbranch_execz .LBB905_310
; %bb.307:                              ;   in Loop: Header=BB905_215 Depth=1
	v_bfe_u32 v38, v38, 24, 7
	v_cmp_ne_u32_e32 vcc, s21, v38
	v_mov_b32_e32 v63, 0x7f80
	s_and_saveexec_b64 s[16:17], vcc
	s_cbranch_execz .LBB905_309
; %bb.308:                              ;   in Loop: Header=BB905_215 Depth=1
	v_and_b32_e32 v42, 7, v40
	v_ffbh_u32_e32 v64, v42
	v_min_u32_e32 v66, 32, v64
	v_subrev_u32_e32 v64, 28, v66
	v_lshlrev_b64 v[64:65], v64, v[40:41]
	v_lshrrev_b32_e32 v63, 3, v38
	v_sub_u32_e32 v65, 29, v66
	v_and_b32_e32 v64, 7, v64
	v_cmp_gt_u32_e32 vcc, 8, v38
	v_cndmask_b32_e32 v38, v63, v65, vcc
	v_cndmask_b32_e32 v42, v42, v64, vcc
	v_lshlrev_b32_e32 v40, 24, v40
	v_lshlrev_b32_e32 v42, 20, v42
	v_and_b32_e32 v40, 0x80000000, v40
	v_lshl_add_u32 v38, v38, 23, v55
	v_or3_b32 v38, v40, v38, v42
	v_lshrrev_b32_e32 v63, 16, v38
.LBB905_309:                            ;   in Loop: Header=BB905_215 Depth=1
	s_or_b64 exec, exec, s[16:17]
.LBB905_310:                            ;   in Loop: Header=BB905_215 Depth=1
	s_or_b64 exec, exec, s[14:15]
.LBB905_311:                            ;   in Loop: Header=BB905_215 Depth=1
	s_or_b64 exec, exec, s[12:13]
	v_perm_b32 v64, v57, v44, s23
	buffer_load_dword v44, v46, s[0:3], 0 offen
	buffer_load_dword v42, v46, s[0:3], 0 offen offset:4
	buffer_load_dword v40, v46, s[0:3], 0 offen offset:8
	;; [unrolled: 1-line block ×3, first 2 shown]
	v_perm_b32 v65, v60, v58, s23
	v_perm_b32 v63, v63, v62, s23
	;; [unrolled: 1-line block ×3, first 2 shown]
	v_mfma_f32_16x16x16bf16_1k v[34:37], v[64:65], v[6:7], v[34:37]
	s_waitcnt vmcnt(3)
	v_cmp_ne_u16_sdwa s[14:15], v44, v54 src0_sel:BYTE_0 src1_sel:DWORD
	v_mfma_f32_16x16x16bf16_1k v[34:37], v[62:63], v[8:9], v[34:37]
	s_and_saveexec_b64 s[12:13], s[14:15]
	s_cbranch_execz .LBB905_317
; %bb.312:                              ;   in Loop: Header=BB905_215 Depth=1
	v_cmp_ne_u16_sdwa s[16:17], v44, s9 src0_sel:BYTE_0 src1_sel:DWORD
	v_mov_b32_e32 v56, 0xffff8000
	s_and_saveexec_b64 s[14:15], s[16:17]
	s_cbranch_execz .LBB905_316
; %bb.313:                              ;   in Loop: Header=BB905_215 Depth=1
	v_and_b32_e32 v46, 0x7f, v44
	v_cmp_ne_u32_e32 vcc, s21, v46
	v_mov_b32_e32 v56, 0x7f80
	s_and_saveexec_b64 s[16:17], vcc
	s_cbranch_execz .LBB905_315
; %bb.314:                              ;   in Loop: Header=BB905_215 Depth=1
	v_and_b32_e32 v58, 7, v44
	v_ffbh_u32_e32 v56, v58
	v_min_u32_e32 v60, 32, v56
	v_subrev_u32_e32 v56, 28, v60
	v_lshlrev_b64 v[56:57], v56, v[44:45]
	v_lshrrev_b32_e32 v59, 3, v46
	v_sub_u32_e32 v57, 29, v60
	v_and_b32_e32 v56, 7, v56
	v_cmp_gt_u32_e32 vcc, 8, v46
	v_cndmask_b32_e32 v46, v59, v57, vcc
	v_cndmask_b32_e32 v56, v58, v56, vcc
	v_lshlrev_b32_e32 v57, 24, v44
	v_lshlrev_b32_e32 v56, 20, v56
	v_and_b32_e32 v57, 0x80000000, v57
	v_lshl_add_u32 v46, v46, 23, v55
	v_or3_b32 v46, v57, v46, v56
	v_lshrrev_b32_e32 v56, 16, v46
.LBB905_315:                            ;   in Loop: Header=BB905_215 Depth=1
	s_or_b64 exec, exec, s[16:17]
.LBB905_316:                            ;   in Loop: Header=BB905_215 Depth=1
	s_or_b64 exec, exec, s[14:15]
.LBB905_317:                            ;   in Loop: Header=BB905_215 Depth=1
	s_or_b64 exec, exec, s[12:13]
	v_lshrrev_b16_e32 v46, 8, v44
	v_cmp_ne_u16_e32 vcc, 0, v46
	v_mov_b32_e32 v58, 0
	v_mov_b32_e32 v57, 0
	s_and_saveexec_b64 s[12:13], vcc
	s_cbranch_execz .LBB905_323
; %bb.318:                              ;   in Loop: Header=BB905_215 Depth=1
	v_cmp_ne_u16_e32 vcc, s9, v46
	v_mov_b32_e32 v57, 0xffff8000
	s_and_saveexec_b64 s[14:15], vcc
	s_cbranch_execz .LBB905_322
; %bb.319:                              ;   in Loop: Header=BB905_215 Depth=1
	v_and_b32_e32 v59, 0x7f, v46
	v_cmp_ne_u32_e32 vcc, s21, v59
	v_mov_b32_e32 v57, 0x7f80
	s_and_saveexec_b64 s[16:17], vcc
	s_cbranch_execz .LBB905_321
; %bb.320:                              ;   in Loop: Header=BB905_215 Depth=1
	v_and_b32_e32 v57, 7, v46
	v_ffbh_u32_e32 v60, v57
	v_min_u32_e32 v63, 32, v60
	v_subrev_u32_e32 v60, 28, v63
	v_lshlrev_b64 v[60:61], v60, v[46:47]
	v_lshrrev_b32_e32 v62, 3, v59
	v_sub_u32_e32 v46, 29, v63
	v_and_b32_e32 v60, 7, v60
	v_cmp_gt_u32_e32 vcc, 8, v59
	v_cndmask_b32_e32 v46, v62, v46, vcc
	v_cndmask_b32_e32 v57, v57, v60, vcc
	v_lshlrev_b32_e32 v59, 16, v44
	v_lshlrev_b32_e32 v57, 20, v57
	v_and_b32_e32 v59, 0x80000000, v59
	v_lshl_add_u32 v46, v46, 23, v55
	v_or3_b32 v46, v59, v46, v57
	v_lshrrev_b32_e32 v57, 16, v46
.LBB905_321:                            ;   in Loop: Header=BB905_215 Depth=1
	s_or_b64 exec, exec, s[16:17]
.LBB905_322:                            ;   in Loop: Header=BB905_215 Depth=1
	s_or_b64 exec, exec, s[14:15]
.LBB905_323:                            ;   in Loop: Header=BB905_215 Depth=1
	s_or_b64 exec, exec, s[12:13]
	v_lshrrev_b32_e32 v46, 16, v44
	v_cmp_ne_u16_sdwa s[14:15], v46, v54 src0_sel:BYTE_0 src1_sel:DWORD
	s_and_saveexec_b64 s[12:13], s[14:15]
	s_cbranch_execz .LBB905_329
; %bb.324:                              ;   in Loop: Header=BB905_215 Depth=1
	v_cmp_ne_u16_sdwa s[16:17], v46, s9 src0_sel:BYTE_0 src1_sel:DWORD
	v_mov_b32_e32 v58, 0xffff8000
	s_and_saveexec_b64 s[14:15], s[16:17]
	s_cbranch_execz .LBB905_328
; %bb.325:                              ;   in Loop: Header=BB905_215 Depth=1
	v_bfe_u32 v59, v44, 16, 7
	v_cmp_ne_u32_e32 vcc, s21, v59
	v_mov_b32_e32 v58, 0x7f80
	s_and_saveexec_b64 s[16:17], vcc
	s_cbranch_execz .LBB905_327
; %bb.326:                              ;   in Loop: Header=BB905_215 Depth=1
	v_and_b32_e32 v58, 7, v46
	v_ffbh_u32_e32 v60, v58
	v_min_u32_e32 v63, 32, v60
	v_subrev_u32_e32 v60, 28, v63
	v_lshlrev_b64 v[60:61], v60, v[46:47]
	v_lshrrev_b32_e32 v62, 3, v59
	v_sub_u32_e32 v61, 29, v63
	v_and_b32_e32 v60, 7, v60
	v_cmp_gt_u32_e32 vcc, 8, v59
	v_cndmask_b32_e32 v59, v62, v61, vcc
	v_cndmask_b32_e32 v58, v58, v60, vcc
	v_lshlrev_b32_e32 v46, 24, v46
	v_lshlrev_b32_e32 v58, 20, v58
	v_and_b32_e32 v46, 0x80000000, v46
	v_lshl_add_u32 v59, v59, 23, v55
	v_or3_b32 v46, v46, v59, v58
	v_lshrrev_b32_e32 v58, 16, v46
.LBB905_327:                            ;   in Loop: Header=BB905_215 Depth=1
	s_or_b64 exec, exec, s[16:17]
.LBB905_328:                            ;   in Loop: Header=BB905_215 Depth=1
	s_or_b64 exec, exec, s[14:15]
.LBB905_329:                            ;   in Loop: Header=BB905_215 Depth=1
	s_or_b64 exec, exec, s[12:13]
	v_cmp_lt_u32_e32 vcc, s22, v44
	v_mov_b32_e32 v59, 0
	v_mov_b32_e32 v60, 0
	s_and_saveexec_b64 s[12:13], vcc
	s_cbranch_execz .LBB905_335
; %bb.330:                              ;   in Loop: Header=BB905_215 Depth=1
	v_lshrrev_b32_e32 v46, 24, v44
	v_cmp_ne_u32_e32 vcc, s9, v46
	v_mov_b32_e32 v60, 0xffff8000
	s_and_saveexec_b64 s[14:15], vcc
	s_cbranch_execz .LBB905_334
; %bb.331:                              ;   in Loop: Header=BB905_215 Depth=1
	v_bfe_u32 v44, v44, 24, 7
	v_cmp_ne_u32_e32 vcc, s21, v44
	v_mov_b32_e32 v60, 0x7f80
	s_and_saveexec_b64 s[16:17], vcc
	s_cbranch_execz .LBB905_333
; %bb.332:                              ;   in Loop: Header=BB905_215 Depth=1
	v_and_b32_e32 v62, 7, v46
	v_ffbh_u32_e32 v60, v62
	v_min_u32_e32 v64, 32, v60
	v_subrev_u32_e32 v60, 28, v64
	v_lshlrev_b64 v[60:61], v60, v[46:47]
	v_lshrrev_b32_e32 v63, 3, v44
	v_sub_u32_e32 v61, 29, v64
	v_and_b32_e32 v60, 7, v60
	v_cmp_gt_u32_e32 vcc, 8, v44
	v_cndmask_b32_e32 v44, v63, v61, vcc
	v_cndmask_b32_e32 v60, v62, v60, vcc
	v_lshlrev_b32_e32 v46, 24, v46
	v_lshlrev_b32_e32 v60, 20, v60
	v_and_b32_e32 v46, 0x80000000, v46
	v_lshl_add_u32 v44, v44, 23, v55
	v_or3_b32 v44, v46, v44, v60
	v_lshrrev_b32_e32 v60, 16, v44
.LBB905_333:                            ;   in Loop: Header=BB905_215 Depth=1
	s_or_b64 exec, exec, s[16:17]
.LBB905_334:                            ;   in Loop: Header=BB905_215 Depth=1
	s_or_b64 exec, exec, s[14:15]
.LBB905_335:                            ;   in Loop: Header=BB905_215 Depth=1
	s_or_b64 exec, exec, s[12:13]
	s_waitcnt vmcnt(2)
	v_cmp_ne_u16_sdwa s[14:15], v42, v54 src0_sel:BYTE_0 src1_sel:DWORD
	s_and_saveexec_b64 s[12:13], s[14:15]
	s_cbranch_execz .LBB905_341
; %bb.336:                              ;   in Loop: Header=BB905_215 Depth=1
	v_cmp_ne_u16_sdwa s[16:17], v42, s9 src0_sel:BYTE_0 src1_sel:DWORD
	v_mov_b32_e32 v59, 0xffff8000
	s_and_saveexec_b64 s[14:15], s[16:17]
	s_cbranch_execz .LBB905_340
; %bb.337:                              ;   in Loop: Header=BB905_215 Depth=1
	v_and_b32_e32 v44, 0x7f, v42
	v_cmp_ne_u32_e32 vcc, s21, v44
	v_mov_b32_e32 v59, 0x7f80
	s_and_saveexec_b64 s[16:17], vcc
	s_cbranch_execz .LBB905_339
; %bb.338:                              ;   in Loop: Header=BB905_215 Depth=1
	v_and_b32_e32 v46, 7, v42
	v_ffbh_u32_e32 v61, v46
	v_min_u32_e32 v61, 32, v61
	v_subrev_u32_e32 v62, 28, v61
	v_lshlrev_b64 v[62:63], v62, v[42:43]
	v_lshrrev_b32_e32 v59, 3, v44
	v_sub_u32_e32 v61, 29, v61
	v_and_b32_e32 v62, 7, v62
	v_cmp_gt_u32_e32 vcc, 8, v44
	v_cndmask_b32_e32 v44, v59, v61, vcc
	v_cndmask_b32_e32 v46, v46, v62, vcc
	v_lshlrev_b32_e32 v59, 24, v42
	v_lshlrev_b32_e32 v46, 20, v46
	v_and_b32_e32 v59, 0x80000000, v59
	v_lshl_add_u32 v44, v44, 23, v55
	v_or3_b32 v44, v59, v44, v46
	v_lshrrev_b32_e32 v59, 16, v44
.LBB905_339:                            ;   in Loop: Header=BB905_215 Depth=1
	s_or_b64 exec, exec, s[16:17]
.LBB905_340:                            ;   in Loop: Header=BB905_215 Depth=1
	s_or_b64 exec, exec, s[14:15]
.LBB905_341:                            ;   in Loop: Header=BB905_215 Depth=1
	s_or_b64 exec, exec, s[12:13]
	v_lshrrev_b16_e32 v44, 8, v42
	v_cmp_ne_u16_e32 vcc, 0, v44
	v_mov_b32_e32 v62, 0
	v_mov_b32_e32 v61, 0
	s_and_saveexec_b64 s[12:13], vcc
	s_cbranch_execz .LBB905_347
; %bb.342:                              ;   in Loop: Header=BB905_215 Depth=1
	v_cmp_ne_u16_e32 vcc, s9, v44
	v_mov_b32_e32 v61, 0xffff8000
	s_and_saveexec_b64 s[14:15], vcc
	s_cbranch_execz .LBB905_346
; %bb.343:                              ;   in Loop: Header=BB905_215 Depth=1
	v_and_b32_e32 v46, 0x7f, v44
	v_cmp_ne_u32_e32 vcc, s21, v46
	v_mov_b32_e32 v61, 0x7f80
	s_and_saveexec_b64 s[16:17], vcc
	s_cbranch_execz .LBB905_345
; %bb.344:                              ;   in Loop: Header=BB905_215 Depth=1
	v_and_b32_e32 v61, 7, v44
	v_ffbh_u32_e32 v64, v61
	v_min_u32_e32 v66, 32, v64
	v_subrev_u32_e32 v64, 28, v66
	v_lshlrev_b64 v[64:65], v64, v[44:45]
	v_lshrrev_b32_e32 v63, 3, v46
	v_sub_u32_e32 v44, 29, v66
	v_and_b32_e32 v64, 7, v64
	v_cmp_gt_u32_e32 vcc, 8, v46
	v_cndmask_b32_e32 v44, v63, v44, vcc
	v_cndmask_b32_e32 v46, v61, v64, vcc
	v_lshlrev_b32_e32 v61, 16, v42
	v_lshlrev_b32_e32 v46, 20, v46
	v_and_b32_e32 v61, 0x80000000, v61
	v_lshl_add_u32 v44, v44, 23, v55
	v_or3_b32 v44, v61, v44, v46
	v_lshrrev_b32_e32 v61, 16, v44
.LBB905_345:                            ;   in Loop: Header=BB905_215 Depth=1
	s_or_b64 exec, exec, s[16:17]
.LBB905_346:                            ;   in Loop: Header=BB905_215 Depth=1
	s_or_b64 exec, exec, s[14:15]
.LBB905_347:                            ;   in Loop: Header=BB905_215 Depth=1
	s_or_b64 exec, exec, s[12:13]
	v_lshrrev_b32_e32 v44, 16, v42
	v_cmp_ne_u16_sdwa s[14:15], v44, v54 src0_sel:BYTE_0 src1_sel:DWORD
	s_and_saveexec_b64 s[12:13], s[14:15]
	s_cbranch_execz .LBB905_353
; %bb.348:                              ;   in Loop: Header=BB905_215 Depth=1
	v_cmp_ne_u16_sdwa s[16:17], v44, s9 src0_sel:BYTE_0 src1_sel:DWORD
	v_mov_b32_e32 v62, 0xffff8000
	s_and_saveexec_b64 s[14:15], s[16:17]
	s_cbranch_execz .LBB905_352
; %bb.349:                              ;   in Loop: Header=BB905_215 Depth=1
	v_bfe_u32 v46, v42, 16, 7
	v_cmp_ne_u32_e32 vcc, s21, v46
	v_mov_b32_e32 v62, 0x7f80
	s_and_saveexec_b64 s[16:17], vcc
	s_cbranch_execz .LBB905_351
; %bb.350:                              ;   in Loop: Header=BB905_215 Depth=1
	v_and_b32_e32 v64, 7, v44
	v_ffbh_u32_e32 v62, v64
	v_min_u32_e32 v66, 32, v62
	v_subrev_u32_e32 v62, 28, v66
	v_lshlrev_b64 v[62:63], v62, v[44:45]
	v_lshrrev_b32_e32 v65, 3, v46
	v_sub_u32_e32 v63, 29, v66
	v_and_b32_e32 v62, 7, v62
	v_cmp_gt_u32_e32 vcc, 8, v46
	v_cndmask_b32_e32 v46, v65, v63, vcc
	v_cndmask_b32_e32 v62, v64, v62, vcc
	v_lshlrev_b32_e32 v44, 24, v44
	v_lshlrev_b32_e32 v62, 20, v62
	v_and_b32_e32 v44, 0x80000000, v44
	v_lshl_add_u32 v46, v46, 23, v55
	v_or3_b32 v44, v44, v46, v62
	v_lshrrev_b32_e32 v62, 16, v44
.LBB905_351:                            ;   in Loop: Header=BB905_215 Depth=1
	s_or_b64 exec, exec, s[16:17]
.LBB905_352:                            ;   in Loop: Header=BB905_215 Depth=1
	s_or_b64 exec, exec, s[14:15]
.LBB905_353:                            ;   in Loop: Header=BB905_215 Depth=1
	s_or_b64 exec, exec, s[12:13]
	v_cmp_lt_u32_e32 vcc, s22, v42
	v_mov_b32_e32 v46, 0
	v_mov_b32_e32 v63, 0
	s_and_saveexec_b64 s[12:13], vcc
	s_cbranch_execz .LBB905_359
; %bb.354:                              ;   in Loop: Header=BB905_215 Depth=1
	v_lshrrev_b32_e32 v44, 24, v42
	v_cmp_ne_u32_e32 vcc, s9, v44
	v_mov_b32_e32 v63, 0xffff8000
	s_and_saveexec_b64 s[14:15], vcc
	s_cbranch_execz .LBB905_358
; %bb.355:                              ;   in Loop: Header=BB905_215 Depth=1
	v_bfe_u32 v42, v42, 24, 7
	v_cmp_ne_u32_e32 vcc, s21, v42
	v_mov_b32_e32 v63, 0x7f80
	s_and_saveexec_b64 s[16:17], vcc
	s_cbranch_execz .LBB905_357
; %bb.356:                              ;   in Loop: Header=BB905_215 Depth=1
	v_and_b32_e32 v63, 7, v44
	v_ffbh_u32_e32 v64, v63
	v_min_u32_e32 v67, 32, v64
	v_subrev_u32_e32 v64, 28, v67
	v_lshlrev_b64 v[64:65], v64, v[44:45]
	v_lshrrev_b32_e32 v66, 3, v42
	v_sub_u32_e32 v65, 29, v67
	v_and_b32_e32 v64, 7, v64
	v_cmp_gt_u32_e32 vcc, 8, v42
	v_cndmask_b32_e32 v42, v66, v65, vcc
	v_cndmask_b32_e32 v63, v63, v64, vcc
	v_lshlrev_b32_e32 v44, 24, v44
	v_lshlrev_b32_e32 v63, 20, v63
	v_and_b32_e32 v44, 0x80000000, v44
	v_lshl_add_u32 v42, v42, 23, v55
	v_or3_b32 v42, v44, v42, v63
	v_lshrrev_b32_e32 v63, 16, v42
.LBB905_357:                            ;   in Loop: Header=BB905_215 Depth=1
	s_or_b64 exec, exec, s[16:17]
.LBB905_358:                            ;   in Loop: Header=BB905_215 Depth=1
	s_or_b64 exec, exec, s[14:15]
.LBB905_359:                            ;   in Loop: Header=BB905_215 Depth=1
	s_or_b64 exec, exec, s[12:13]
	v_perm_b32 v65, v60, v58, s23
	v_perm_b32 v64, v57, v56, s23
	;; [unrolled: 1-line block ×4, first 2 shown]
	s_waitcnt vmcnt(1)
	v_cmp_ne_u16_sdwa s[14:15], v40, v54 src0_sel:BYTE_0 src1_sel:DWORD
	v_mfma_f32_16x16x16bf16_1k v[34:37], v[64:65], v[10:11], v[34:37]
	v_mfma_f32_16x16x16bf16_1k v[34:37], v[56:57], v[12:13], v[34:37]
	s_and_saveexec_b64 s[12:13], s[14:15]
	s_cbranch_execz .LBB905_365
; %bb.360:                              ;   in Loop: Header=BB905_215 Depth=1
	v_cmp_ne_u16_sdwa s[16:17], v40, s9 src0_sel:BYTE_0 src1_sel:DWORD
	v_mov_b32_e32 v46, 0xffff8000
	s_and_saveexec_b64 s[14:15], s[16:17]
	s_cbranch_execz .LBB905_364
; %bb.361:                              ;   in Loop: Header=BB905_215 Depth=1
	v_and_b32_e32 v42, 0x7f, v40
	v_cmp_ne_u32_e32 vcc, s21, v42
	v_mov_b32_e32 v46, 0x7f80
	s_and_saveexec_b64 s[16:17], vcc
	s_cbranch_execz .LBB905_363
; %bb.362:                              ;   in Loop: Header=BB905_215 Depth=1
	v_and_b32_e32 v44, 7, v40
	v_ffbh_u32_e32 v56, v44
	v_min_u32_e32 v58, 32, v56
	v_subrev_u32_e32 v56, 28, v58
	v_lshlrev_b64 v[56:57], v56, v[40:41]
	v_lshrrev_b32_e32 v46, 3, v42
	v_sub_u32_e32 v57, 29, v58
	v_and_b32_e32 v56, 7, v56
	v_cmp_gt_u32_e32 vcc, 8, v42
	v_cndmask_b32_e32 v42, v46, v57, vcc
	v_cndmask_b32_e32 v44, v44, v56, vcc
	v_lshlrev_b32_e32 v46, 24, v40
	v_lshlrev_b32_e32 v44, 20, v44
	v_and_b32_e32 v46, 0x80000000, v46
	v_lshl_add_u32 v42, v42, 23, v55
	v_or3_b32 v42, v46, v42, v44
	v_lshrrev_b32_e32 v46, 16, v42
.LBB905_363:                            ;   in Loop: Header=BB905_215 Depth=1
	s_or_b64 exec, exec, s[16:17]
.LBB905_364:                            ;   in Loop: Header=BB905_215 Depth=1
	s_or_b64 exec, exec, s[14:15]
.LBB905_365:                            ;   in Loop: Header=BB905_215 Depth=1
	s_or_b64 exec, exec, s[12:13]
	v_lshrrev_b16_e32 v42, 8, v40
	v_cmp_ne_u16_e32 vcc, 0, v42
	v_mov_b32_e32 v57, 0
	v_mov_b32_e32 v44, 0
	s_and_saveexec_b64 s[12:13], vcc
	s_cbranch_execz .LBB905_371
; %bb.366:                              ;   in Loop: Header=BB905_215 Depth=1
	v_cmp_ne_u16_e32 vcc, s9, v42
	v_mov_b32_e32 v44, 0xffff8000
	s_and_saveexec_b64 s[14:15], vcc
	s_cbranch_execz .LBB905_370
; %bb.367:                              ;   in Loop: Header=BB905_215 Depth=1
	v_and_b32_e32 v56, 0x7f, v42
	v_cmp_ne_u32_e32 vcc, s21, v56
	v_mov_b32_e32 v44, 0x7f80
	s_and_saveexec_b64 s[16:17], vcc
	s_cbranch_execz .LBB905_369
; %bb.368:                              ;   in Loop: Header=BB905_215 Depth=1
	v_and_b32_e32 v44, 7, v42
	v_ffbh_u32_e32 v58, v44
	v_min_u32_e32 v61, 32, v58
	v_subrev_u32_e32 v58, 28, v61
	v_lshlrev_b64 v[58:59], v58, v[42:43]
	v_lshrrev_b32_e32 v60, 3, v56
	v_sub_u32_e32 v42, 29, v61
	v_and_b32_e32 v58, 7, v58
	v_cmp_gt_u32_e32 vcc, 8, v56
	v_cndmask_b32_e32 v42, v60, v42, vcc
	v_cndmask_b32_e32 v44, v44, v58, vcc
	v_lshlrev_b32_e32 v56, 16, v40
	v_lshlrev_b32_e32 v44, 20, v44
	v_and_b32_e32 v56, 0x80000000, v56
	v_lshl_add_u32 v42, v42, 23, v55
	v_or3_b32 v42, v56, v42, v44
	v_lshrrev_b32_e32 v44, 16, v42
.LBB905_369:                            ;   in Loop: Header=BB905_215 Depth=1
	s_or_b64 exec, exec, s[16:17]
.LBB905_370:                            ;   in Loop: Header=BB905_215 Depth=1
	s_or_b64 exec, exec, s[14:15]
.LBB905_371:                            ;   in Loop: Header=BB905_215 Depth=1
	s_or_b64 exec, exec, s[12:13]
	v_lshrrev_b32_e32 v42, 16, v40
	v_cmp_ne_u16_sdwa s[14:15], v42, v54 src0_sel:BYTE_0 src1_sel:DWORD
	s_and_saveexec_b64 s[12:13], s[14:15]
	s_cbranch_execz .LBB905_377
; %bb.372:                              ;   in Loop: Header=BB905_215 Depth=1
	v_cmp_ne_u16_sdwa s[16:17], v42, s9 src0_sel:BYTE_0 src1_sel:DWORD
	v_mov_b32_e32 v57, 0xffff8000
	s_and_saveexec_b64 s[14:15], s[16:17]
	s_cbranch_execz .LBB905_376
; %bb.373:                              ;   in Loop: Header=BB905_215 Depth=1
	v_bfe_u32 v56, v40, 16, 7
	v_cmp_ne_u32_e32 vcc, s21, v56
	v_mov_b32_e32 v57, 0x7f80
	s_and_saveexec_b64 s[16:17], vcc
	s_cbranch_execz .LBB905_375
; %bb.374:                              ;   in Loop: Header=BB905_215 Depth=1
	v_and_b32_e32 v57, 7, v42
	v_ffbh_u32_e32 v58, v57
	v_min_u32_e32 v61, 32, v58
	v_subrev_u32_e32 v58, 28, v61
	v_lshlrev_b64 v[58:59], v58, v[42:43]
	v_lshrrev_b32_e32 v60, 3, v56
	v_sub_u32_e32 v59, 29, v61
	v_and_b32_e32 v58, 7, v58
	v_cmp_gt_u32_e32 vcc, 8, v56
	v_cndmask_b32_e32 v56, v60, v59, vcc
	v_cndmask_b32_e32 v57, v57, v58, vcc
	v_lshlrev_b32_e32 v42, 24, v42
	v_lshlrev_b32_e32 v57, 20, v57
	v_and_b32_e32 v42, 0x80000000, v42
	v_lshl_add_u32 v56, v56, 23, v55
	v_or3_b32 v42, v42, v56, v57
	v_lshrrev_b32_e32 v57, 16, v42
.LBB905_375:                            ;   in Loop: Header=BB905_215 Depth=1
	s_or_b64 exec, exec, s[16:17]
.LBB905_376:                            ;   in Loop: Header=BB905_215 Depth=1
	s_or_b64 exec, exec, s[14:15]
.LBB905_377:                            ;   in Loop: Header=BB905_215 Depth=1
	s_or_b64 exec, exec, s[12:13]
	v_cmp_lt_u32_e32 vcc, s22, v40
	v_mov_b32_e32 v58, 0
	v_mov_b32_e32 v59, 0
	s_and_saveexec_b64 s[12:13], vcc
	s_cbranch_execz .LBB905_383
; %bb.378:                              ;   in Loop: Header=BB905_215 Depth=1
	v_lshrrev_b32_e32 v42, 24, v40
	v_cmp_ne_u32_e32 vcc, s9, v42
	v_mov_b32_e32 v59, 0xffff8000
	s_and_saveexec_b64 s[14:15], vcc
	s_cbranch_execz .LBB905_382
; %bb.379:                              ;   in Loop: Header=BB905_215 Depth=1
	v_bfe_u32 v40, v40, 24, 7
	v_cmp_ne_u32_e32 vcc, s21, v40
	v_mov_b32_e32 v59, 0x7f80
	s_and_saveexec_b64 s[16:17], vcc
	s_cbranch_execz .LBB905_381
; %bb.380:                              ;   in Loop: Header=BB905_215 Depth=1
	v_and_b32_e32 v56, 7, v42
	v_ffbh_u32_e32 v60, v56
	v_min_u32_e32 v62, 32, v60
	v_subrev_u32_e32 v60, 28, v62
	v_lshlrev_b64 v[60:61], v60, v[42:43]
	v_lshrrev_b32_e32 v59, 3, v40
	v_sub_u32_e32 v61, 29, v62
	v_and_b32_e32 v60, 7, v60
	v_cmp_gt_u32_e32 vcc, 8, v40
	v_cndmask_b32_e32 v40, v59, v61, vcc
	v_cndmask_b32_e32 v56, v56, v60, vcc
	v_lshlrev_b32_e32 v42, 24, v42
	v_lshlrev_b32_e32 v56, 20, v56
	v_and_b32_e32 v42, 0x80000000, v42
	v_lshl_add_u32 v40, v40, 23, v55
	v_or3_b32 v40, v42, v40, v56
	v_lshrrev_b32_e32 v59, 16, v40
.LBB905_381:                            ;   in Loop: Header=BB905_215 Depth=1
	s_or_b64 exec, exec, s[16:17]
.LBB905_382:                            ;   in Loop: Header=BB905_215 Depth=1
	s_or_b64 exec, exec, s[14:15]
.LBB905_383:                            ;   in Loop: Header=BB905_215 Depth=1
	s_or_b64 exec, exec, s[12:13]
	s_waitcnt vmcnt(0)
	v_cmp_ne_u16_sdwa s[14:15], v38, v54 src0_sel:BYTE_0 src1_sel:DWORD
	s_and_saveexec_b64 s[12:13], s[14:15]
	s_cbranch_execz .LBB905_389
; %bb.384:                              ;   in Loop: Header=BB905_215 Depth=1
	v_cmp_ne_u16_sdwa s[16:17], v38, s9 src0_sel:BYTE_0 src1_sel:DWORD
	v_mov_b32_e32 v58, 0xffff8000
	s_and_saveexec_b64 s[14:15], s[16:17]
	s_cbranch_execz .LBB905_388
; %bb.385:                              ;   in Loop: Header=BB905_215 Depth=1
	v_and_b32_e32 v40, 0x7f, v38
	v_cmp_ne_u32_e32 vcc, s21, v40
	v_mov_b32_e32 v58, 0x7f80
	s_and_saveexec_b64 s[16:17], vcc
	s_cbranch_execz .LBB905_387
; %bb.386:                              ;   in Loop: Header=BB905_215 Depth=1
	v_and_b32_e32 v42, 7, v38
	v_ffbh_u32_e32 v58, v42
	v_min_u32_e32 v58, 32, v58
	v_subrev_u32_e32 v60, 28, v58
	v_lshlrev_b64 v[60:61], v60, v[38:39]
	v_lshrrev_b32_e32 v56, 3, v40
	v_sub_u32_e32 v58, 29, v58
	v_and_b32_e32 v60, 7, v60
	v_cmp_gt_u32_e32 vcc, 8, v40
	v_cndmask_b32_e32 v40, v56, v58, vcc
	v_cndmask_b32_e32 v42, v42, v60, vcc
	v_lshlrev_b32_e32 v56, 24, v38
	v_lshlrev_b32_e32 v42, 20, v42
	v_and_b32_e32 v56, 0x80000000, v56
	v_lshl_add_u32 v40, v40, 23, v55
	v_or3_b32 v40, v56, v40, v42
	v_lshrrev_b32_e32 v58, 16, v40
.LBB905_387:                            ;   in Loop: Header=BB905_215 Depth=1
	s_or_b64 exec, exec, s[16:17]
.LBB905_388:                            ;   in Loop: Header=BB905_215 Depth=1
	s_or_b64 exec, exec, s[14:15]
.LBB905_389:                            ;   in Loop: Header=BB905_215 Depth=1
	s_or_b64 exec, exec, s[12:13]
	v_lshrrev_b16_e32 v40, 8, v38
	v_cmp_ne_u16_e32 vcc, 0, v40
	v_mov_b32_e32 v61, 0
	v_mov_b32_e32 v60, 0
	s_and_saveexec_b64 s[12:13], vcc
	s_cbranch_execz .LBB905_395
; %bb.390:                              ;   in Loop: Header=BB905_215 Depth=1
	v_cmp_ne_u16_e32 vcc, s9, v40
	v_mov_b32_e32 v60, 0xffff8000
	s_and_saveexec_b64 s[14:15], vcc
	s_cbranch_execz .LBB905_394
; %bb.391:                              ;   in Loop: Header=BB905_215 Depth=1
	v_and_b32_e32 v42, 0x7f, v40
	v_cmp_ne_u32_e32 vcc, s21, v42
	v_mov_b32_e32 v60, 0x7f80
	s_and_saveexec_b64 s[16:17], vcc
	s_cbranch_execz .LBB905_393
; %bb.392:                              ;   in Loop: Header=BB905_215 Depth=1
	v_and_b32_e32 v56, 7, v40
	v_ffbh_u32_e32 v62, v56
	v_min_u32_e32 v64, 32, v62
	v_subrev_u32_e32 v62, 28, v64
	v_lshlrev_b64 v[62:63], v62, v[40:41]
	v_lshrrev_b32_e32 v60, 3, v42
	v_sub_u32_e32 v40, 29, v64
	v_and_b32_e32 v62, 7, v62
	v_cmp_gt_u32_e32 vcc, 8, v42
	v_cndmask_b32_e32 v40, v60, v40, vcc
	v_cndmask_b32_e32 v42, v56, v62, vcc
	v_lshlrev_b32_e32 v56, 16, v38
	v_lshlrev_b32_e32 v42, 20, v42
	v_and_b32_e32 v56, 0x80000000, v56
	v_lshl_add_u32 v40, v40, 23, v55
	v_or3_b32 v40, v56, v40, v42
	v_lshrrev_b32_e32 v60, 16, v40
.LBB905_393:                            ;   in Loop: Header=BB905_215 Depth=1
	s_or_b64 exec, exec, s[16:17]
.LBB905_394:                            ;   in Loop: Header=BB905_215 Depth=1
	s_or_b64 exec, exec, s[14:15]
.LBB905_395:                            ;   in Loop: Header=BB905_215 Depth=1
	s_or_b64 exec, exec, s[12:13]
	v_lshrrev_b32_e32 v40, 16, v38
	v_cmp_ne_u16_sdwa s[14:15], v40, v54 src0_sel:BYTE_0 src1_sel:DWORD
	s_and_saveexec_b64 s[12:13], s[14:15]
	s_cbranch_execz .LBB905_401
; %bb.396:                              ;   in Loop: Header=BB905_215 Depth=1
	v_cmp_ne_u16_sdwa s[16:17], v40, s9 src0_sel:BYTE_0 src1_sel:DWORD
	v_mov_b32_e32 v61, 0xffff8000
	s_and_saveexec_b64 s[14:15], s[16:17]
	s_cbranch_execz .LBB905_400
; %bb.397:                              ;   in Loop: Header=BB905_215 Depth=1
	v_bfe_u32 v42, v38, 16, 7
	v_cmp_ne_u32_e32 vcc, s21, v42
	v_mov_b32_e32 v61, 0x7f80
	s_and_saveexec_b64 s[16:17], vcc
	s_cbranch_execz .LBB905_399
; %bb.398:                              ;   in Loop: Header=BB905_215 Depth=1
	v_and_b32_e32 v56, 7, v40
	v_ffbh_u32_e32 v62, v56
	v_min_u32_e32 v64, 32, v62
	v_subrev_u32_e32 v62, 28, v64
	v_lshlrev_b64 v[62:63], v62, v[40:41]
	v_lshrrev_b32_e32 v61, 3, v42
	v_sub_u32_e32 v63, 29, v64
	v_and_b32_e32 v62, 7, v62
	v_cmp_gt_u32_e32 vcc, 8, v42
	v_cndmask_b32_e32 v42, v61, v63, vcc
	v_cndmask_b32_e32 v56, v56, v62, vcc
	v_lshlrev_b32_e32 v40, 24, v40
	v_lshlrev_b32_e32 v56, 20, v56
	v_and_b32_e32 v40, 0x80000000, v40
	v_lshl_add_u32 v42, v42, 23, v55
	v_or3_b32 v40, v40, v42, v56
	v_lshrrev_b32_e32 v61, 16, v40
.LBB905_399:                            ;   in Loop: Header=BB905_215 Depth=1
	s_or_b64 exec, exec, s[16:17]
.LBB905_400:                            ;   in Loop: Header=BB905_215 Depth=1
	s_or_b64 exec, exec, s[14:15]
.LBB905_401:                            ;   in Loop: Header=BB905_215 Depth=1
	s_or_b64 exec, exec, s[12:13]
	v_cmp_lt_u32_e32 vcc, s22, v38
	v_mov_b32_e32 v56, 0
	v_mov_b32_e32 v62, 0
	s_and_saveexec_b64 s[12:13], vcc
	s_cbranch_execz .LBB905_407
; %bb.402:                              ;   in Loop: Header=BB905_215 Depth=1
	v_lshrrev_b32_e32 v40, 24, v38
	v_cmp_ne_u32_e32 vcc, s9, v40
	v_mov_b32_e32 v62, 0xffff8000
	s_and_saveexec_b64 s[14:15], vcc
	s_cbranch_execz .LBB905_406
; %bb.403:                              ;   in Loop: Header=BB905_215 Depth=1
	v_bfe_u32 v38, v38, 24, 7
	v_cmp_ne_u32_e32 vcc, s21, v38
	v_mov_b32_e32 v62, 0x7f80
	s_and_saveexec_b64 s[16:17], vcc
	s_cbranch_execz .LBB905_405
; %bb.404:                              ;   in Loop: Header=BB905_215 Depth=1
	v_and_b32_e32 v42, 7, v40
	v_ffbh_u32_e32 v62, v42
	v_min_u32_e32 v65, 32, v62
	v_subrev_u32_e32 v62, 28, v65
	v_lshlrev_b64 v[62:63], v62, v[40:41]
	v_lshrrev_b32_e32 v64, 3, v38
	v_sub_u32_e32 v63, 29, v65
	v_and_b32_e32 v62, 7, v62
	v_cmp_gt_u32_e32 vcc, 8, v38
	v_cndmask_b32_e32 v38, v64, v63, vcc
	v_cndmask_b32_e32 v42, v42, v62, vcc
	v_lshlrev_b32_e32 v40, 24, v40
	v_lshlrev_b32_e32 v42, 20, v42
	v_and_b32_e32 v40, 0x80000000, v40
	v_lshl_add_u32 v38, v38, 23, v55
	v_or3_b32 v38, v40, v38, v42
	v_lshrrev_b32_e32 v62, 16, v38
.LBB905_405:                            ;   in Loop: Header=BB905_215 Depth=1
	s_or_b64 exec, exec, s[16:17]
.LBB905_406:                            ;   in Loop: Header=BB905_215 Depth=1
	s_or_b64 exec, exec, s[14:15]
.LBB905_407:                            ;   in Loop: Header=BB905_215 Depth=1
	s_or_b64 exec, exec, s[12:13]
	v_perm_b32 v64, v44, v46, s23
	buffer_load_dword v44, v51, s[0:3], 0 offen
	buffer_load_dword v42, v51, s[0:3], 0 offen offset:4
	buffer_load_dword v40, v51, s[0:3], 0 offen offset:8
	;; [unrolled: 1-line block ×3, first 2 shown]
	v_perm_b32 v65, v59, v57, s23
	v_perm_b32 v59, v62, v61, s23
	;; [unrolled: 1-line block ×3, first 2 shown]
	v_mfma_f32_16x16x16bf16_1k v[34:37], v[64:65], v[14:15], v[34:37]
	s_waitcnt vmcnt(3)
	v_cmp_ne_u16_sdwa s[14:15], v44, v54 src0_sel:BYTE_0 src1_sel:DWORD
	v_mfma_f32_16x16x16bf16_1k v[34:37], v[58:59], v[16:17], v[34:37]
	s_and_saveexec_b64 s[12:13], s[14:15]
	s_cbranch_execz .LBB905_413
; %bb.408:                              ;   in Loop: Header=BB905_215 Depth=1
	v_cmp_ne_u16_sdwa s[16:17], v44, s9 src0_sel:BYTE_0 src1_sel:DWORD
	v_mov_b32_e32 v56, 0xffff8000
	s_and_saveexec_b64 s[14:15], s[16:17]
	s_cbranch_execz .LBB905_412
; %bb.409:                              ;   in Loop: Header=BB905_215 Depth=1
	v_and_b32_e32 v46, 0x7f, v44
	v_cmp_ne_u32_e32 vcc, s21, v46
	v_mov_b32_e32 v56, 0x7f80
	s_and_saveexec_b64 s[16:17], vcc
	s_cbranch_execz .LBB905_411
; %bb.410:                              ;   in Loop: Header=BB905_215 Depth=1
	v_and_b32_e32 v51, 7, v44
	v_ffbh_u32_e32 v56, v51
	v_min_u32_e32 v59, 32, v56
	v_subrev_u32_e32 v56, 28, v59
	v_lshlrev_b64 v[56:57], v56, v[44:45]
	v_lshrrev_b32_e32 v58, 3, v46
	v_sub_u32_e32 v57, 29, v59
	v_and_b32_e32 v56, 7, v56
	v_cmp_gt_u32_e32 vcc, 8, v46
	v_cndmask_b32_e32 v46, v58, v57, vcc
	v_cndmask_b32_e32 v51, v51, v56, vcc
	v_lshlrev_b32_e32 v56, 24, v44
	v_lshlrev_b32_e32 v51, 20, v51
	v_and_b32_e32 v56, 0x80000000, v56
	v_lshl_add_u32 v46, v46, 23, v55
	v_or3_b32 v46, v56, v46, v51
	v_lshrrev_b32_e32 v56, 16, v46
.LBB905_411:                            ;   in Loop: Header=BB905_215 Depth=1
	s_or_b64 exec, exec, s[16:17]
.LBB905_412:                            ;   in Loop: Header=BB905_215 Depth=1
	s_or_b64 exec, exec, s[14:15]
.LBB905_413:                            ;   in Loop: Header=BB905_215 Depth=1
	s_or_b64 exec, exec, s[12:13]
	v_lshrrev_b16_e32 v46, 8, v44
	v_cmp_ne_u16_e32 vcc, 0, v46
	v_mov_b32_e32 v57, 0
	v_mov_b32_e32 v51, 0
	s_and_saveexec_b64 s[12:13], vcc
	s_cbranch_execz .LBB905_419
; %bb.414:                              ;   in Loop: Header=BB905_215 Depth=1
	v_cmp_ne_u16_e32 vcc, s9, v46
	v_mov_b32_e32 v51, 0xffff8000
	s_and_saveexec_b64 s[14:15], vcc
	s_cbranch_execz .LBB905_418
; %bb.415:                              ;   in Loop: Header=BB905_215 Depth=1
	v_and_b32_e32 v58, 0x7f, v46
	v_cmp_ne_u32_e32 vcc, s21, v58
	v_mov_b32_e32 v51, 0x7f80
	s_and_saveexec_b64 s[16:17], vcc
	s_cbranch_execz .LBB905_417
; %bb.416:                              ;   in Loop: Header=BB905_215 Depth=1
	v_and_b32_e32 v51, 7, v46
	v_ffbh_u32_e32 v60, v51
	v_min_u32_e32 v62, 32, v60
	v_subrev_u32_e32 v60, 28, v62
	v_lshlrev_b64 v[60:61], v60, v[46:47]
	v_lshrrev_b32_e32 v59, 3, v58
	v_sub_u32_e32 v46, 29, v62
	v_and_b32_e32 v60, 7, v60
	v_cmp_gt_u32_e32 vcc, 8, v58
	v_cndmask_b32_e32 v46, v59, v46, vcc
	v_cndmask_b32_e32 v51, v51, v60, vcc
	v_lshlrev_b32_e32 v58, 16, v44
	v_lshlrev_b32_e32 v51, 20, v51
	v_and_b32_e32 v58, 0x80000000, v58
	v_lshl_add_u32 v46, v46, 23, v55
	v_or3_b32 v46, v58, v46, v51
	v_lshrrev_b32_e32 v51, 16, v46
.LBB905_417:                            ;   in Loop: Header=BB905_215 Depth=1
	s_or_b64 exec, exec, s[16:17]
.LBB905_418:                            ;   in Loop: Header=BB905_215 Depth=1
	s_or_b64 exec, exec, s[14:15]
.LBB905_419:                            ;   in Loop: Header=BB905_215 Depth=1
	s_or_b64 exec, exec, s[12:13]
	v_lshrrev_b32_e32 v46, 16, v44
	v_cmp_ne_u16_sdwa s[14:15], v46, v54 src0_sel:BYTE_0 src1_sel:DWORD
	s_and_saveexec_b64 s[12:13], s[14:15]
	s_cbranch_execz .LBB905_425
; %bb.420:                              ;   in Loop: Header=BB905_215 Depth=1
	v_cmp_ne_u16_sdwa s[16:17], v46, s9 src0_sel:BYTE_0 src1_sel:DWORD
	v_mov_b32_e32 v57, 0xffff8000
	s_and_saveexec_b64 s[14:15], s[16:17]
	s_cbranch_execz .LBB905_424
; %bb.421:                              ;   in Loop: Header=BB905_215 Depth=1
	v_bfe_u32 v58, v44, 16, 7
	v_cmp_ne_u32_e32 vcc, s21, v58
	v_mov_b32_e32 v57, 0x7f80
	s_and_saveexec_b64 s[16:17], vcc
	s_cbranch_execz .LBB905_423
; %bb.422:                              ;   in Loop: Header=BB905_215 Depth=1
	v_and_b32_e32 v57, 7, v46
	v_ffbh_u32_e32 v60, v57
	v_min_u32_e32 v62, 32, v60
	v_subrev_u32_e32 v60, 28, v62
	v_lshlrev_b64 v[60:61], v60, v[46:47]
	v_lshrrev_b32_e32 v59, 3, v58
	v_sub_u32_e32 v61, 29, v62
	v_and_b32_e32 v60, 7, v60
	v_cmp_gt_u32_e32 vcc, 8, v58
	v_cndmask_b32_e32 v58, v59, v61, vcc
	v_cndmask_b32_e32 v57, v57, v60, vcc
	v_lshlrev_b32_e32 v46, 24, v46
	v_lshlrev_b32_e32 v57, 20, v57
	v_and_b32_e32 v46, 0x80000000, v46
	v_lshl_add_u32 v58, v58, 23, v55
	v_or3_b32 v46, v46, v58, v57
	v_lshrrev_b32_e32 v57, 16, v46
.LBB905_423:                            ;   in Loop: Header=BB905_215 Depth=1
	s_or_b64 exec, exec, s[16:17]
.LBB905_424:                            ;   in Loop: Header=BB905_215 Depth=1
	s_or_b64 exec, exec, s[14:15]
.LBB905_425:                            ;   in Loop: Header=BB905_215 Depth=1
	s_or_b64 exec, exec, s[12:13]
	v_cmp_lt_u32_e32 vcc, s22, v44
	v_mov_b32_e32 v58, 0
	v_mov_b32_e32 v59, 0
	s_and_saveexec_b64 s[12:13], vcc
	s_cbranch_execz .LBB905_431
; %bb.426:                              ;   in Loop: Header=BB905_215 Depth=1
	v_lshrrev_b32_e32 v46, 24, v44
	v_cmp_ne_u32_e32 vcc, s9, v46
	v_mov_b32_e32 v59, 0xffff8000
	s_and_saveexec_b64 s[14:15], vcc
	s_cbranch_execz .LBB905_430
; %bb.427:                              ;   in Loop: Header=BB905_215 Depth=1
	v_bfe_u32 v44, v44, 24, 7
	v_cmp_ne_u32_e32 vcc, s21, v44
	v_mov_b32_e32 v59, 0x7f80
	s_and_saveexec_b64 s[16:17], vcc
	s_cbranch_execz .LBB905_429
; %bb.428:                              ;   in Loop: Header=BB905_215 Depth=1
	v_and_b32_e32 v59, 7, v46
	v_ffbh_u32_e32 v60, v59
	v_min_u32_e32 v63, 32, v60
	v_subrev_u32_e32 v60, 28, v63
	v_lshlrev_b64 v[60:61], v60, v[46:47]
	v_lshrrev_b32_e32 v62, 3, v44
	v_sub_u32_e32 v61, 29, v63
	v_and_b32_e32 v60, 7, v60
	v_cmp_gt_u32_e32 vcc, 8, v44
	v_cndmask_b32_e32 v44, v62, v61, vcc
	v_cndmask_b32_e32 v59, v59, v60, vcc
	v_lshlrev_b32_e32 v46, 24, v46
	v_lshlrev_b32_e32 v59, 20, v59
	v_and_b32_e32 v46, 0x80000000, v46
	v_lshl_add_u32 v44, v44, 23, v55
	v_or3_b32 v44, v46, v44, v59
	v_lshrrev_b32_e32 v59, 16, v44
.LBB905_429:                            ;   in Loop: Header=BB905_215 Depth=1
	s_or_b64 exec, exec, s[16:17]
.LBB905_430:                            ;   in Loop: Header=BB905_215 Depth=1
	s_or_b64 exec, exec, s[14:15]
.LBB905_431:                            ;   in Loop: Header=BB905_215 Depth=1
	s_or_b64 exec, exec, s[12:13]
	s_waitcnt vmcnt(2)
	v_cmp_ne_u16_sdwa s[14:15], v42, v54 src0_sel:BYTE_0 src1_sel:DWORD
	s_and_saveexec_b64 s[12:13], s[14:15]
	s_cbranch_execz .LBB905_437
; %bb.432:                              ;   in Loop: Header=BB905_215 Depth=1
	v_cmp_ne_u16_sdwa s[16:17], v42, s9 src0_sel:BYTE_0 src1_sel:DWORD
	v_mov_b32_e32 v58, 0xffff8000
	s_and_saveexec_b64 s[14:15], s[16:17]
	s_cbranch_execz .LBB905_436
; %bb.433:                              ;   in Loop: Header=BB905_215 Depth=1
	v_and_b32_e32 v44, 0x7f, v42
	v_cmp_ne_u32_e32 vcc, s21, v44
	v_mov_b32_e32 v58, 0x7f80
	s_and_saveexec_b64 s[16:17], vcc
	s_cbranch_execz .LBB905_435
; %bb.434:                              ;   in Loop: Header=BB905_215 Depth=1
	v_and_b32_e32 v46, 7, v42
	v_ffbh_u32_e32 v60, v46
	v_min_u32_e32 v62, 32, v60
	v_subrev_u32_e32 v60, 28, v62
	v_lshlrev_b64 v[60:61], v60, v[42:43]
	v_lshrrev_b32_e32 v58, 3, v44
	v_sub_u32_e32 v61, 29, v62
	v_and_b32_e32 v60, 7, v60
	v_cmp_gt_u32_e32 vcc, 8, v44
	v_cndmask_b32_e32 v44, v58, v61, vcc
	v_cndmask_b32_e32 v46, v46, v60, vcc
	v_lshlrev_b32_e32 v58, 24, v42
	v_lshlrev_b32_e32 v46, 20, v46
	v_and_b32_e32 v58, 0x80000000, v58
	v_lshl_add_u32 v44, v44, 23, v55
	v_or3_b32 v44, v58, v44, v46
	v_lshrrev_b32_e32 v58, 16, v44
.LBB905_435:                            ;   in Loop: Header=BB905_215 Depth=1
	s_or_b64 exec, exec, s[16:17]
.LBB905_436:                            ;   in Loop: Header=BB905_215 Depth=1
	s_or_b64 exec, exec, s[14:15]
.LBB905_437:                            ;   in Loop: Header=BB905_215 Depth=1
	s_or_b64 exec, exec, s[12:13]
	v_lshrrev_b16_e32 v44, 8, v42
	v_cmp_ne_u16_e32 vcc, 0, v44
	v_mov_b32_e32 v61, 0
	v_mov_b32_e32 v60, 0
	s_and_saveexec_b64 s[12:13], vcc
	s_cbranch_execz .LBB905_443
; %bb.438:                              ;   in Loop: Header=BB905_215 Depth=1
	v_cmp_ne_u16_e32 vcc, s9, v44
	v_mov_b32_e32 v60, 0xffff8000
	s_and_saveexec_b64 s[14:15], vcc
	s_cbranch_execz .LBB905_442
; %bb.439:                              ;   in Loop: Header=BB905_215 Depth=1
	v_and_b32_e32 v46, 0x7f, v44
	v_cmp_ne_u32_e32 vcc, s21, v46
	v_mov_b32_e32 v60, 0x7f80
	s_and_saveexec_b64 s[16:17], vcc
	s_cbranch_execz .LBB905_441
; %bb.440:                              ;   in Loop: Header=BB905_215 Depth=1
	v_and_b32_e32 v60, 7, v44
	v_ffbh_u32_e32 v62, v60
	v_min_u32_e32 v65, 32, v62
	v_subrev_u32_e32 v62, 28, v65
	v_lshlrev_b64 v[62:63], v62, v[44:45]
	v_lshrrev_b32_e32 v64, 3, v46
	v_sub_u32_e32 v44, 29, v65
	v_and_b32_e32 v62, 7, v62
	v_cmp_gt_u32_e32 vcc, 8, v46
	v_cndmask_b32_e32 v44, v64, v44, vcc
	v_cndmask_b32_e32 v46, v60, v62, vcc
	v_lshlrev_b32_e32 v60, 16, v42
	v_lshlrev_b32_e32 v46, 20, v46
	v_and_b32_e32 v60, 0x80000000, v60
	v_lshl_add_u32 v44, v44, 23, v55
	v_or3_b32 v44, v60, v44, v46
	v_lshrrev_b32_e32 v60, 16, v44
.LBB905_441:                            ;   in Loop: Header=BB905_215 Depth=1
	s_or_b64 exec, exec, s[16:17]
.LBB905_442:                            ;   in Loop: Header=BB905_215 Depth=1
	s_or_b64 exec, exec, s[14:15]
.LBB905_443:                            ;   in Loop: Header=BB905_215 Depth=1
	s_or_b64 exec, exec, s[12:13]
	v_lshrrev_b32_e32 v44, 16, v42
	v_cmp_ne_u16_sdwa s[14:15], v44, v54 src0_sel:BYTE_0 src1_sel:DWORD
	s_and_saveexec_b64 s[12:13], s[14:15]
	s_cbranch_execz .LBB905_449
; %bb.444:                              ;   in Loop: Header=BB905_215 Depth=1
	v_cmp_ne_u16_sdwa s[16:17], v44, s9 src0_sel:BYTE_0 src1_sel:DWORD
	v_mov_b32_e32 v61, 0xffff8000
	s_and_saveexec_b64 s[14:15], s[16:17]
	s_cbranch_execz .LBB905_448
; %bb.445:                              ;   in Loop: Header=BB905_215 Depth=1
	v_bfe_u32 v46, v42, 16, 7
	v_cmp_ne_u32_e32 vcc, s21, v46
	v_mov_b32_e32 v61, 0x7f80
	s_and_saveexec_b64 s[16:17], vcc
	s_cbranch_execz .LBB905_447
; %bb.446:                              ;   in Loop: Header=BB905_215 Depth=1
	v_and_b32_e32 v61, 7, v44
	v_ffbh_u32_e32 v62, v61
	v_min_u32_e32 v65, 32, v62
	v_subrev_u32_e32 v62, 28, v65
	v_lshlrev_b64 v[62:63], v62, v[44:45]
	v_lshrrev_b32_e32 v64, 3, v46
	v_sub_u32_e32 v63, 29, v65
	v_and_b32_e32 v62, 7, v62
	v_cmp_gt_u32_e32 vcc, 8, v46
	v_cndmask_b32_e32 v46, v64, v63, vcc
	v_cndmask_b32_e32 v61, v61, v62, vcc
	v_lshlrev_b32_e32 v44, 24, v44
	v_lshlrev_b32_e32 v61, 20, v61
	v_and_b32_e32 v44, 0x80000000, v44
	v_lshl_add_u32 v46, v46, 23, v55
	v_or3_b32 v44, v44, v46, v61
	v_lshrrev_b32_e32 v61, 16, v44
.LBB905_447:                            ;   in Loop: Header=BB905_215 Depth=1
	s_or_b64 exec, exec, s[16:17]
.LBB905_448:                            ;   in Loop: Header=BB905_215 Depth=1
	s_or_b64 exec, exec, s[14:15]
.LBB905_449:                            ;   in Loop: Header=BB905_215 Depth=1
	s_or_b64 exec, exec, s[12:13]
	v_cmp_lt_u32_e32 vcc, s22, v42
	v_mov_b32_e32 v46, 0
	v_mov_b32_e32 v62, 0
	s_and_saveexec_b64 s[12:13], vcc
	s_cbranch_execz .LBB905_455
; %bb.450:                              ;   in Loop: Header=BB905_215 Depth=1
	v_lshrrev_b32_e32 v44, 24, v42
	v_cmp_ne_u32_e32 vcc, s9, v44
	v_mov_b32_e32 v62, 0xffff8000
	s_and_saveexec_b64 s[14:15], vcc
	s_cbranch_execz .LBB905_454
; %bb.451:                              ;   in Loop: Header=BB905_215 Depth=1
	v_bfe_u32 v42, v42, 24, 7
	v_cmp_ne_u32_e32 vcc, s21, v42
	v_mov_b32_e32 v62, 0x7f80
	s_and_saveexec_b64 s[16:17], vcc
	s_cbranch_execz .LBB905_453
; %bb.452:                              ;   in Loop: Header=BB905_215 Depth=1
	v_and_b32_e32 v64, 7, v44
	v_ffbh_u32_e32 v62, v64
	v_min_u32_e32 v66, 32, v62
	v_subrev_u32_e32 v62, 28, v66
	v_lshlrev_b64 v[62:63], v62, v[44:45]
	v_lshrrev_b32_e32 v65, 3, v42
	v_sub_u32_e32 v63, 29, v66
	v_and_b32_e32 v62, 7, v62
	v_cmp_gt_u32_e32 vcc, 8, v42
	v_cndmask_b32_e32 v42, v65, v63, vcc
	v_cndmask_b32_e32 v62, v64, v62, vcc
	v_lshlrev_b32_e32 v44, 24, v44
	v_lshlrev_b32_e32 v62, 20, v62
	v_and_b32_e32 v44, 0x80000000, v44
	v_lshl_add_u32 v42, v42, 23, v55
	v_or3_b32 v42, v44, v42, v62
	v_lshrrev_b32_e32 v62, 16, v42
.LBB905_453:                            ;   in Loop: Header=BB905_215 Depth=1
	s_or_b64 exec, exec, s[16:17]
.LBB905_454:                            ;   in Loop: Header=BB905_215 Depth=1
	s_or_b64 exec, exec, s[14:15]
.LBB905_455:                            ;   in Loop: Header=BB905_215 Depth=1
	s_or_b64 exec, exec, s[12:13]
	v_perm_b32 v57, v59, v57, s23
	v_perm_b32 v56, v51, v56, s23
	s_waitcnt vmcnt(1)
	v_cmp_ne_u16_sdwa s[14:15], v40, v54 src0_sel:BYTE_0 src1_sel:DWORD
	v_mfma_f32_16x16x16bf16_1k v[34:37], v[56:57], v[18:19], v[34:37]
	v_perm_b32 v57, v62, v61, s23
	v_perm_b32 v56, v60, v58, s23
	s_nop 1
	v_mfma_f32_16x16x16bf16_1k v[34:37], v[56:57], v[20:21], v[34:37]
	s_and_saveexec_b64 s[12:13], s[14:15]
	s_cbranch_execz .LBB905_461
; %bb.456:                              ;   in Loop: Header=BB905_215 Depth=1
	v_cmp_ne_u16_sdwa s[16:17], v40, s9 src0_sel:BYTE_0 src1_sel:DWORD
	v_mov_b32_e32 v46, 0xffff8000
	s_and_saveexec_b64 s[14:15], s[16:17]
	s_cbranch_execz .LBB905_460
; %bb.457:                              ;   in Loop: Header=BB905_215 Depth=1
	v_and_b32_e32 v42, 0x7f, v40
	v_cmp_ne_u32_e32 vcc, s21, v42
	v_mov_b32_e32 v46, 0x7f80
	s_and_saveexec_b64 s[16:17], vcc
	s_cbranch_execz .LBB905_459
; %bb.458:                              ;   in Loop: Header=BB905_215 Depth=1
	v_and_b32_e32 v44, 7, v40
	v_ffbh_u32_e32 v51, v44
	v_min_u32_e32 v51, 32, v51
	v_subrev_u32_e32 v56, 28, v51
	v_lshlrev_b64 v[56:57], v56, v[40:41]
	v_lshrrev_b32_e32 v46, 3, v42
	v_sub_u32_e32 v51, 29, v51
	v_and_b32_e32 v56, 7, v56
	v_cmp_gt_u32_e32 vcc, 8, v42
	v_cndmask_b32_e32 v42, v46, v51, vcc
	v_cndmask_b32_e32 v44, v44, v56, vcc
	v_lshlrev_b32_e32 v46, 24, v40
	v_lshlrev_b32_e32 v44, 20, v44
	v_and_b32_e32 v46, 0x80000000, v46
	v_lshl_add_u32 v42, v42, 23, v55
	v_or3_b32 v42, v46, v42, v44
	v_lshrrev_b32_e32 v46, 16, v42
.LBB905_459:                            ;   in Loop: Header=BB905_215 Depth=1
	s_or_b64 exec, exec, s[16:17]
.LBB905_460:                            ;   in Loop: Header=BB905_215 Depth=1
	s_or_b64 exec, exec, s[14:15]
.LBB905_461:                            ;   in Loop: Header=BB905_215 Depth=1
	s_or_b64 exec, exec, s[12:13]
	v_lshrrev_b16_e32 v42, 8, v40
	v_cmp_ne_u16_e32 vcc, 0, v42
	v_mov_b32_e32 v56, 0
	v_mov_b32_e32 v44, 0
	s_and_saveexec_b64 s[12:13], vcc
	s_cbranch_execz .LBB905_467
; %bb.462:                              ;   in Loop: Header=BB905_215 Depth=1
	v_cmp_ne_u16_e32 vcc, s9, v42
	v_mov_b32_e32 v44, 0xffff8000
	s_and_saveexec_b64 s[14:15], vcc
	s_cbranch_execz .LBB905_466
; %bb.463:                              ;   in Loop: Header=BB905_215 Depth=1
	v_and_b32_e32 v51, 0x7f, v42
	v_cmp_ne_u32_e32 vcc, s21, v51
	v_mov_b32_e32 v44, 0x7f80
	s_and_saveexec_b64 s[16:17], vcc
	s_cbranch_execz .LBB905_465
; %bb.464:                              ;   in Loop: Header=BB905_215 Depth=1
	v_and_b32_e32 v44, 7, v42
	v_ffbh_u32_e32 v58, v44
	v_min_u32_e32 v60, 32, v58
	v_subrev_u32_e32 v58, 28, v60
	v_lshlrev_b64 v[58:59], v58, v[42:43]
	v_lshrrev_b32_e32 v57, 3, v51
	v_sub_u32_e32 v42, 29, v60
	v_and_b32_e32 v58, 7, v58
	v_cmp_gt_u32_e32 vcc, 8, v51
	v_cndmask_b32_e32 v42, v57, v42, vcc
	v_cndmask_b32_e32 v44, v44, v58, vcc
	v_lshlrev_b32_e32 v51, 16, v40
	v_lshlrev_b32_e32 v44, 20, v44
	v_and_b32_e32 v51, 0x80000000, v51
	v_lshl_add_u32 v42, v42, 23, v55
	v_or3_b32 v42, v51, v42, v44
	v_lshrrev_b32_e32 v44, 16, v42
.LBB905_465:                            ;   in Loop: Header=BB905_215 Depth=1
	s_or_b64 exec, exec, s[16:17]
.LBB905_466:                            ;   in Loop: Header=BB905_215 Depth=1
	s_or_b64 exec, exec, s[14:15]
.LBB905_467:                            ;   in Loop: Header=BB905_215 Depth=1
	s_or_b64 exec, exec, s[12:13]
	v_lshrrev_b32_e32 v42, 16, v40
	v_cmp_ne_u16_sdwa s[14:15], v42, v54 src0_sel:BYTE_0 src1_sel:DWORD
	s_and_saveexec_b64 s[12:13], s[14:15]
	s_cbranch_execz .LBB905_473
; %bb.468:                              ;   in Loop: Header=BB905_215 Depth=1
	v_cmp_ne_u16_sdwa s[16:17], v42, s9 src0_sel:BYTE_0 src1_sel:DWORD
	v_mov_b32_e32 v56, 0xffff8000
	s_and_saveexec_b64 s[14:15], s[16:17]
	s_cbranch_execz .LBB905_472
; %bb.469:                              ;   in Loop: Header=BB905_215 Depth=1
	v_bfe_u32 v51, v40, 16, 7
	v_cmp_ne_u32_e32 vcc, s21, v51
	v_mov_b32_e32 v56, 0x7f80
	s_and_saveexec_b64 s[16:17], vcc
	s_cbranch_execz .LBB905_471
; %bb.470:                              ;   in Loop: Header=BB905_215 Depth=1
	v_and_b32_e32 v58, 7, v42
	v_ffbh_u32_e32 v56, v58
	v_min_u32_e32 v60, 32, v56
	v_subrev_u32_e32 v56, 28, v60
	v_lshlrev_b64 v[56:57], v56, v[42:43]
	v_lshrrev_b32_e32 v59, 3, v51
	v_sub_u32_e32 v57, 29, v60
	v_and_b32_e32 v56, 7, v56
	v_cmp_gt_u32_e32 vcc, 8, v51
	v_cndmask_b32_e32 v51, v59, v57, vcc
	v_cndmask_b32_e32 v56, v58, v56, vcc
	v_lshlrev_b32_e32 v42, 24, v42
	v_lshlrev_b32_e32 v56, 20, v56
	v_and_b32_e32 v42, 0x80000000, v42
	v_lshl_add_u32 v51, v51, 23, v55
	v_or3_b32 v42, v42, v51, v56
	v_lshrrev_b32_e32 v56, 16, v42
.LBB905_471:                            ;   in Loop: Header=BB905_215 Depth=1
	s_or_b64 exec, exec, s[16:17]
.LBB905_472:                            ;   in Loop: Header=BB905_215 Depth=1
	s_or_b64 exec, exec, s[14:15]
.LBB905_473:                            ;   in Loop: Header=BB905_215 Depth=1
	s_or_b64 exec, exec, s[12:13]
	v_cmp_lt_u32_e32 vcc, s22, v40
	v_mov_b32_e32 v57, 0
	v_mov_b32_e32 v58, 0
	s_and_saveexec_b64 s[12:13], vcc
	s_cbranch_execz .LBB905_479
; %bb.474:                              ;   in Loop: Header=BB905_215 Depth=1
	v_lshrrev_b32_e32 v42, 24, v40
	v_cmp_ne_u32_e32 vcc, s9, v42
	v_mov_b32_e32 v58, 0xffff8000
	s_and_saveexec_b64 s[14:15], vcc
	s_cbranch_execz .LBB905_478
; %bb.475:                              ;   in Loop: Header=BB905_215 Depth=1
	v_bfe_u32 v40, v40, 24, 7
	v_cmp_ne_u32_e32 vcc, s21, v40
	v_mov_b32_e32 v58, 0x7f80
	s_and_saveexec_b64 s[16:17], vcc
	s_cbranch_execz .LBB905_477
; %bb.476:                              ;   in Loop: Header=BB905_215 Depth=1
	v_and_b32_e32 v51, 7, v42
	v_ffbh_u32_e32 v58, v51
	v_min_u32_e32 v61, 32, v58
	v_subrev_u32_e32 v58, 28, v61
	v_lshlrev_b64 v[58:59], v58, v[42:43]
	v_lshrrev_b32_e32 v60, 3, v40
	v_sub_u32_e32 v59, 29, v61
	v_and_b32_e32 v58, 7, v58
	v_cmp_gt_u32_e32 vcc, 8, v40
	v_cndmask_b32_e32 v40, v60, v59, vcc
	v_cndmask_b32_e32 v51, v51, v58, vcc
	v_lshlrev_b32_e32 v42, 24, v42
	v_lshlrev_b32_e32 v51, 20, v51
	v_and_b32_e32 v42, 0x80000000, v42
	v_lshl_add_u32 v40, v40, 23, v55
	v_or3_b32 v40, v42, v40, v51
	v_lshrrev_b32_e32 v58, 16, v40
.LBB905_477:                            ;   in Loop: Header=BB905_215 Depth=1
	s_or_b64 exec, exec, s[16:17]
.LBB905_478:                            ;   in Loop: Header=BB905_215 Depth=1
	s_or_b64 exec, exec, s[14:15]
.LBB905_479:                            ;   in Loop: Header=BB905_215 Depth=1
	s_or_b64 exec, exec, s[12:13]
	s_waitcnt vmcnt(0)
	v_cmp_ne_u16_sdwa s[14:15], v38, v54 src0_sel:BYTE_0 src1_sel:DWORD
	s_and_saveexec_b64 s[12:13], s[14:15]
	s_cbranch_execz .LBB905_485
; %bb.480:                              ;   in Loop: Header=BB905_215 Depth=1
	v_cmp_ne_u16_sdwa s[16:17], v38, s9 src0_sel:BYTE_0 src1_sel:DWORD
	v_mov_b32_e32 v57, 0xffff8000
	s_and_saveexec_b64 s[14:15], s[16:17]
	s_cbranch_execz .LBB905_484
; %bb.481:                              ;   in Loop: Header=BB905_215 Depth=1
	v_and_b32_e32 v40, 0x7f, v38
	v_cmp_ne_u32_e32 vcc, s21, v40
	v_mov_b32_e32 v57, 0x7f80
	s_and_saveexec_b64 s[16:17], vcc
	s_cbranch_execz .LBB905_483
; %bb.482:                              ;   in Loop: Header=BB905_215 Depth=1
	v_and_b32_e32 v42, 7, v38
	v_ffbh_u32_e32 v57, v42
	v_min_u32_e32 v57, 32, v57
	v_subrev_u32_e32 v59, 28, v57
	v_lshlrev_b64 v[60:61], v59, v[38:39]
	v_lshrrev_b32_e32 v51, 3, v40
	v_sub_u32_e32 v57, 29, v57
	v_and_b32_e32 v59, 7, v60
	v_cmp_gt_u32_e32 vcc, 8, v40
	v_cndmask_b32_e32 v40, v51, v57, vcc
	v_cndmask_b32_e32 v42, v42, v59, vcc
	v_lshlrev_b32_e32 v51, 24, v38
	v_lshlrev_b32_e32 v42, 20, v42
	v_and_b32_e32 v51, 0x80000000, v51
	v_lshl_add_u32 v40, v40, 23, v55
	v_or3_b32 v40, v51, v40, v42
	v_lshrrev_b32_e32 v57, 16, v40
.LBB905_483:                            ;   in Loop: Header=BB905_215 Depth=1
	s_or_b64 exec, exec, s[16:17]
.LBB905_484:                            ;   in Loop: Header=BB905_215 Depth=1
	s_or_b64 exec, exec, s[14:15]
.LBB905_485:                            ;   in Loop: Header=BB905_215 Depth=1
	s_or_b64 exec, exec, s[12:13]
	v_lshrrev_b16_e32 v40, 8, v38
	v_cmp_ne_u16_e32 vcc, 0, v40
	v_mov_b32_e32 v60, 0
	v_mov_b32_e32 v59, 0
	s_and_saveexec_b64 s[12:13], vcc
	s_cbranch_execz .LBB905_491
; %bb.486:                              ;   in Loop: Header=BB905_215 Depth=1
	v_cmp_ne_u16_e32 vcc, s9, v40
	v_mov_b32_e32 v59, 0xffff8000
	s_and_saveexec_b64 s[14:15], vcc
	s_cbranch_execz .LBB905_490
; %bb.487:                              ;   in Loop: Header=BB905_215 Depth=1
	v_and_b32_e32 v42, 0x7f, v40
	v_cmp_ne_u32_e32 vcc, s21, v42
	v_mov_b32_e32 v59, 0x7f80
	s_and_saveexec_b64 s[16:17], vcc
	s_cbranch_execz .LBB905_489
; %bb.488:                              ;   in Loop: Header=BB905_215 Depth=1
	v_and_b32_e32 v51, 7, v40
	v_ffbh_u32_e32 v61, v51
	v_min_u32_e32 v61, 32, v61
	v_subrev_u32_e32 v62, 28, v61
	v_lshlrev_b64 v[62:63], v62, v[40:41]
	v_lshrrev_b32_e32 v59, 3, v42
	v_sub_u32_e32 v40, 29, v61
	v_and_b32_e32 v61, 7, v62
	v_cmp_gt_u32_e32 vcc, 8, v42
	v_cndmask_b32_e32 v40, v59, v40, vcc
	v_cndmask_b32_e32 v42, v51, v61, vcc
	v_lshlrev_b32_e32 v51, 16, v38
	v_lshlrev_b32_e32 v42, 20, v42
	v_and_b32_e32 v51, 0x80000000, v51
	v_lshl_add_u32 v40, v40, 23, v55
	v_or3_b32 v40, v51, v40, v42
	v_lshrrev_b32_e32 v59, 16, v40
.LBB905_489:                            ;   in Loop: Header=BB905_215 Depth=1
	s_or_b64 exec, exec, s[16:17]
.LBB905_490:                            ;   in Loop: Header=BB905_215 Depth=1
	s_or_b64 exec, exec, s[14:15]
.LBB905_491:                            ;   in Loop: Header=BB905_215 Depth=1
	s_or_b64 exec, exec, s[12:13]
	v_lshrrev_b32_e32 v40, 16, v38
	v_cmp_ne_u16_sdwa s[14:15], v40, v54 src0_sel:BYTE_0 src1_sel:DWORD
	s_and_saveexec_b64 s[12:13], s[14:15]
	s_cbranch_execz .LBB905_497
; %bb.492:                              ;   in Loop: Header=BB905_215 Depth=1
	v_cmp_ne_u16_sdwa s[16:17], v40, s9 src0_sel:BYTE_0 src1_sel:DWORD
	v_mov_b32_e32 v60, 0xffff8000
	s_and_saveexec_b64 s[14:15], s[16:17]
	s_cbranch_execz .LBB905_496
; %bb.493:                              ;   in Loop: Header=BB905_215 Depth=1
	v_bfe_u32 v42, v38, 16, 7
	v_cmp_ne_u32_e32 vcc, s21, v42
	v_mov_b32_e32 v60, 0x7f80
	s_and_saveexec_b64 s[16:17], vcc
	s_cbranch_execz .LBB905_495
; %bb.494:                              ;   in Loop: Header=BB905_215 Depth=1
	v_and_b32_e32 v51, 7, v40
	v_ffbh_u32_e32 v60, v51
	v_min_u32_e32 v63, 32, v60
	v_subrev_u32_e32 v60, 28, v63
	v_lshlrev_b64 v[60:61], v60, v[40:41]
	v_lshrrev_b32_e32 v62, 3, v42
	v_sub_u32_e32 v61, 29, v63
	v_and_b32_e32 v60, 7, v60
	v_cmp_gt_u32_e32 vcc, 8, v42
	v_cndmask_b32_e32 v42, v62, v61, vcc
	v_cndmask_b32_e32 v51, v51, v60, vcc
	v_lshlrev_b32_e32 v40, 24, v40
	v_lshlrev_b32_e32 v51, 20, v51
	v_and_b32_e32 v40, 0x80000000, v40
	v_lshl_add_u32 v42, v42, 23, v55
	v_or3_b32 v40, v40, v42, v51
	v_lshrrev_b32_e32 v60, 16, v40
.LBB905_495:                            ;   in Loop: Header=BB905_215 Depth=1
	s_or_b64 exec, exec, s[16:17]
.LBB905_496:                            ;   in Loop: Header=BB905_215 Depth=1
	s_or_b64 exec, exec, s[14:15]
.LBB905_497:                            ;   in Loop: Header=BB905_215 Depth=1
	s_or_b64 exec, exec, s[12:13]
	v_cmp_lt_u32_e32 vcc, s22, v38
	v_mov_b32_e32 v51, 0
	v_mov_b32_e32 v61, 0
	s_and_saveexec_b64 s[12:13], vcc
	s_cbranch_execz .LBB905_503
; %bb.498:                              ;   in Loop: Header=BB905_215 Depth=1
	v_lshrrev_b32_e32 v40, 24, v38
	v_cmp_ne_u32_e32 vcc, s9, v40
	v_mov_b32_e32 v61, 0xffff8000
	s_and_saveexec_b64 s[14:15], vcc
	s_cbranch_execz .LBB905_502
; %bb.499:                              ;   in Loop: Header=BB905_215 Depth=1
	v_bfe_u32 v38, v38, 24, 7
	v_cmp_ne_u32_e32 vcc, s21, v38
	v_mov_b32_e32 v61, 0x7f80
	s_and_saveexec_b64 s[16:17], vcc
	s_cbranch_execz .LBB905_501
; %bb.500:                              ;   in Loop: Header=BB905_215 Depth=1
	v_and_b32_e32 v42, 7, v40
	v_ffbh_u32_e32 v62, v42
	v_min_u32_e32 v64, 32, v62
	v_subrev_u32_e32 v62, 28, v64
	v_lshlrev_b64 v[62:63], v62, v[40:41]
	v_lshrrev_b32_e32 v61, 3, v38
	v_sub_u32_e32 v63, 29, v64
	v_and_b32_e32 v62, 7, v62
	v_cmp_gt_u32_e32 vcc, 8, v38
	v_cndmask_b32_e32 v38, v61, v63, vcc
	v_cndmask_b32_e32 v42, v42, v62, vcc
	v_lshlrev_b32_e32 v40, 24, v40
	v_lshlrev_b32_e32 v42, 20, v42
	v_and_b32_e32 v40, 0x80000000, v40
	v_lshl_add_u32 v38, v38, 23, v55
	v_or3_b32 v38, v40, v38, v42
	v_lshrrev_b32_e32 v61, 16, v38
.LBB905_501:                            ;   in Loop: Header=BB905_215 Depth=1
	s_or_b64 exec, exec, s[16:17]
.LBB905_502:                            ;   in Loop: Header=BB905_215 Depth=1
	s_or_b64 exec, exec, s[14:15]
.LBB905_503:                            ;   in Loop: Header=BB905_215 Depth=1
	s_or_b64 exec, exec, s[12:13]
	v_perm_b32 v62, v44, v46, s23
	buffer_load_dword v44, v50, s[0:3], 0 offen
	buffer_load_dword v42, v50, s[0:3], 0 offen offset:4
	buffer_load_dword v40, v50, s[0:3], 0 offen offset:8
	;; [unrolled: 1-line block ×3, first 2 shown]
	v_perm_b32 v63, v58, v56, s23
	v_perm_b32 v61, v61, v60, s23
	;; [unrolled: 1-line block ×3, first 2 shown]
	v_mfma_f32_16x16x16bf16_1k v[34:37], v[62:63], v[22:23], v[34:37]
	s_waitcnt vmcnt(3)
	v_cmp_ne_u16_sdwa s[14:15], v44, v54 src0_sel:BYTE_0 src1_sel:DWORD
	v_mfma_f32_16x16x16bf16_1k v[34:37], v[60:61], v[24:25], v[34:37]
	s_and_saveexec_b64 s[12:13], s[14:15]
	s_cbranch_execz .LBB905_509
; %bb.504:                              ;   in Loop: Header=BB905_215 Depth=1
	v_cmp_ne_u16_sdwa s[16:17], v44, s9 src0_sel:BYTE_0 src1_sel:DWORD
	v_mov_b32_e32 v51, 0xffff8000
	s_and_saveexec_b64 s[14:15], s[16:17]
	s_cbranch_execz .LBB905_508
; %bb.505:                              ;   in Loop: Header=BB905_215 Depth=1
	v_and_b32_e32 v46, 0x7f, v44
	v_cmp_ne_u32_e32 vcc, s21, v46
	v_mov_b32_e32 v51, 0x7f80
	s_and_saveexec_b64 s[16:17], vcc
	s_cbranch_execz .LBB905_507
; %bb.506:                              ;   in Loop: Header=BB905_215 Depth=1
	v_and_b32_e32 v56, 7, v44
	v_ffbh_u32_e32 v50, v56
	v_min_u32_e32 v58, 32, v50
	v_subrev_u32_e32 v50, 28, v58
	v_lshlrev_b64 v[50:51], v50, v[44:45]
	v_lshrrev_b32_e32 v57, 3, v46
	v_sub_u32_e32 v51, 29, v58
	v_and_b32_e32 v50, 7, v50
	v_cmp_gt_u32_e32 vcc, 8, v46
	v_cndmask_b32_e32 v46, v57, v51, vcc
	v_cndmask_b32_e32 v50, v56, v50, vcc
	v_lshlrev_b32_e32 v51, 24, v44
	v_lshlrev_b32_e32 v50, 20, v50
	v_and_b32_e32 v51, 0x80000000, v51
	v_lshl_add_u32 v46, v46, 23, v55
	v_or3_b32 v46, v51, v46, v50
	v_lshrrev_b32_e32 v51, 16, v46
.LBB905_507:                            ;   in Loop: Header=BB905_215 Depth=1
	s_or_b64 exec, exec, s[16:17]
.LBB905_508:                            ;   in Loop: Header=BB905_215 Depth=1
	s_or_b64 exec, exec, s[14:15]
.LBB905_509:                            ;   in Loop: Header=BB905_215 Depth=1
	s_or_b64 exec, exec, s[12:13]
	v_lshrrev_b16_e32 v46, 8, v44
	v_cmp_ne_u16_e32 vcc, 0, v46
	v_mov_b32_e32 v56, 0
	v_mov_b32_e32 v50, 0
	s_and_saveexec_b64 s[12:13], vcc
	s_cbranch_execz .LBB905_515
; %bb.510:                              ;   in Loop: Header=BB905_215 Depth=1
	v_cmp_ne_u16_e32 vcc, s9, v46
	v_mov_b32_e32 v50, 0xffff8000
	s_and_saveexec_b64 s[14:15], vcc
	s_cbranch_execz .LBB905_514
; %bb.511:                              ;   in Loop: Header=BB905_215 Depth=1
	v_and_b32_e32 v57, 0x7f, v46
	v_cmp_ne_u32_e32 vcc, s21, v57
	v_mov_b32_e32 v50, 0x7f80
	s_and_saveexec_b64 s[16:17], vcc
	s_cbranch_execz .LBB905_513
; %bb.512:                              ;   in Loop: Header=BB905_215 Depth=1
	v_and_b32_e32 v50, 7, v46
	v_ffbh_u32_e32 v58, v50
	v_min_u32_e32 v61, 32, v58
	v_subrev_u32_e32 v58, 28, v61
	v_lshlrev_b64 v[58:59], v58, v[46:47]
	v_lshrrev_b32_e32 v60, 3, v57
	v_sub_u32_e32 v46, 29, v61
	v_and_b32_e32 v58, 7, v58
	v_cmp_gt_u32_e32 vcc, 8, v57
	v_cndmask_b32_e32 v46, v60, v46, vcc
	v_cndmask_b32_e32 v50, v50, v58, vcc
	v_lshlrev_b32_e32 v57, 16, v44
	v_lshlrev_b32_e32 v50, 20, v50
	v_and_b32_e32 v57, 0x80000000, v57
	v_lshl_add_u32 v46, v46, 23, v55
	v_or3_b32 v46, v57, v46, v50
	v_lshrrev_b32_e32 v50, 16, v46
.LBB905_513:                            ;   in Loop: Header=BB905_215 Depth=1
	s_or_b64 exec, exec, s[16:17]
.LBB905_514:                            ;   in Loop: Header=BB905_215 Depth=1
	s_or_b64 exec, exec, s[14:15]
.LBB905_515:                            ;   in Loop: Header=BB905_215 Depth=1
	s_or_b64 exec, exec, s[12:13]
	v_lshrrev_b32_e32 v46, 16, v44
	v_cmp_ne_u16_sdwa s[14:15], v46, v54 src0_sel:BYTE_0 src1_sel:DWORD
	s_and_saveexec_b64 s[12:13], s[14:15]
	s_cbranch_execz .LBB905_521
; %bb.516:                              ;   in Loop: Header=BB905_215 Depth=1
	v_cmp_ne_u16_sdwa s[16:17], v46, s9 src0_sel:BYTE_0 src1_sel:DWORD
	v_mov_b32_e32 v56, 0xffff8000
	s_and_saveexec_b64 s[14:15], s[16:17]
	s_cbranch_execz .LBB905_520
; %bb.517:                              ;   in Loop: Header=BB905_215 Depth=1
	v_bfe_u32 v57, v44, 16, 7
	v_cmp_ne_u32_e32 vcc, s21, v57
	v_mov_b32_e32 v56, 0x7f80
	s_and_saveexec_b64 s[16:17], vcc
	s_cbranch_execz .LBB905_519
; %bb.518:                              ;   in Loop: Header=BB905_215 Depth=1
	v_and_b32_e32 v56, 7, v46
	v_ffbh_u32_e32 v58, v56
	v_min_u32_e32 v61, 32, v58
	v_subrev_u32_e32 v58, 28, v61
	v_lshlrev_b64 v[58:59], v58, v[46:47]
	v_lshrrev_b32_e32 v60, 3, v57
	v_sub_u32_e32 v59, 29, v61
	v_and_b32_e32 v58, 7, v58
	v_cmp_gt_u32_e32 vcc, 8, v57
	v_cndmask_b32_e32 v57, v60, v59, vcc
	v_cndmask_b32_e32 v56, v56, v58, vcc
	v_lshlrev_b32_e32 v46, 24, v46
	v_lshlrev_b32_e32 v56, 20, v56
	v_and_b32_e32 v46, 0x80000000, v46
	v_lshl_add_u32 v57, v57, 23, v55
	v_or3_b32 v46, v46, v57, v56
	v_lshrrev_b32_e32 v56, 16, v46
.LBB905_519:                            ;   in Loop: Header=BB905_215 Depth=1
	s_or_b64 exec, exec, s[16:17]
.LBB905_520:                            ;   in Loop: Header=BB905_215 Depth=1
	s_or_b64 exec, exec, s[14:15]
.LBB905_521:                            ;   in Loop: Header=BB905_215 Depth=1
	s_or_b64 exec, exec, s[12:13]
	v_cmp_lt_u32_e32 vcc, s22, v44
	v_mov_b32_e32 v57, 0
	v_mov_b32_e32 v58, 0
	s_and_saveexec_b64 s[12:13], vcc
	s_cbranch_execz .LBB905_527
; %bb.522:                              ;   in Loop: Header=BB905_215 Depth=1
	v_lshrrev_b32_e32 v46, 24, v44
	v_cmp_ne_u32_e32 vcc, s9, v46
	v_mov_b32_e32 v58, 0xffff8000
	s_and_saveexec_b64 s[14:15], vcc
	s_cbranch_execz .LBB905_526
; %bb.523:                              ;   in Loop: Header=BB905_215 Depth=1
	v_bfe_u32 v44, v44, 24, 7
	v_cmp_ne_u32_e32 vcc, s21, v44
	v_mov_b32_e32 v58, 0x7f80
	s_and_saveexec_b64 s[16:17], vcc
	s_cbranch_execz .LBB905_525
; %bb.524:                              ;   in Loop: Header=BB905_215 Depth=1
	v_and_b32_e32 v60, 7, v46
	v_ffbh_u32_e32 v58, v60
	v_min_u32_e32 v62, 32, v58
	v_subrev_u32_e32 v58, 28, v62
	v_lshlrev_b64 v[58:59], v58, v[46:47]
	v_lshrrev_b32_e32 v61, 3, v44
	v_sub_u32_e32 v59, 29, v62
	v_and_b32_e32 v58, 7, v58
	v_cmp_gt_u32_e32 vcc, 8, v44
	v_cndmask_b32_e32 v44, v61, v59, vcc
	v_cndmask_b32_e32 v58, v60, v58, vcc
	v_lshlrev_b32_e32 v46, 24, v46
	v_lshlrev_b32_e32 v58, 20, v58
	v_and_b32_e32 v46, 0x80000000, v46
	v_lshl_add_u32 v44, v44, 23, v55
	v_or3_b32 v44, v46, v44, v58
	v_lshrrev_b32_e32 v58, 16, v44
.LBB905_525:                            ;   in Loop: Header=BB905_215 Depth=1
	s_or_b64 exec, exec, s[16:17]
.LBB905_526:                            ;   in Loop: Header=BB905_215 Depth=1
	s_or_b64 exec, exec, s[14:15]
.LBB905_527:                            ;   in Loop: Header=BB905_215 Depth=1
	s_or_b64 exec, exec, s[12:13]
	s_waitcnt vmcnt(2)
	v_cmp_ne_u16_sdwa s[14:15], v42, v54 src0_sel:BYTE_0 src1_sel:DWORD
	s_and_saveexec_b64 s[12:13], s[14:15]
	s_cbranch_execz .LBB905_533
; %bb.528:                              ;   in Loop: Header=BB905_215 Depth=1
	v_cmp_ne_u16_sdwa s[16:17], v42, s9 src0_sel:BYTE_0 src1_sel:DWORD
	v_mov_b32_e32 v57, 0xffff8000
	s_and_saveexec_b64 s[14:15], s[16:17]
	s_cbranch_execz .LBB905_532
; %bb.529:                              ;   in Loop: Header=BB905_215 Depth=1
	v_and_b32_e32 v44, 0x7f, v42
	v_cmp_ne_u32_e32 vcc, s21, v44
	v_mov_b32_e32 v57, 0x7f80
	s_and_saveexec_b64 s[16:17], vcc
	s_cbranch_execz .LBB905_531
; %bb.530:                              ;   in Loop: Header=BB905_215 Depth=1
	v_and_b32_e32 v46, 7, v42
	v_ffbh_u32_e32 v59, v46
	v_min_u32_e32 v59, 32, v59
	v_subrev_u32_e32 v60, 28, v59
	v_lshlrev_b64 v[60:61], v60, v[42:43]
	v_lshrrev_b32_e32 v57, 3, v44
	v_sub_u32_e32 v59, 29, v59
	v_and_b32_e32 v60, 7, v60
	v_cmp_gt_u32_e32 vcc, 8, v44
	v_cndmask_b32_e32 v44, v57, v59, vcc
	v_cndmask_b32_e32 v46, v46, v60, vcc
	v_lshlrev_b32_e32 v57, 24, v42
	v_lshlrev_b32_e32 v46, 20, v46
	v_and_b32_e32 v57, 0x80000000, v57
	v_lshl_add_u32 v44, v44, 23, v55
	v_or3_b32 v44, v57, v44, v46
	v_lshrrev_b32_e32 v57, 16, v44
.LBB905_531:                            ;   in Loop: Header=BB905_215 Depth=1
	s_or_b64 exec, exec, s[16:17]
.LBB905_532:                            ;   in Loop: Header=BB905_215 Depth=1
	s_or_b64 exec, exec, s[14:15]
.LBB905_533:                            ;   in Loop: Header=BB905_215 Depth=1
	s_or_b64 exec, exec, s[12:13]
	v_lshrrev_b16_e32 v44, 8, v42
	v_cmp_ne_u16_e32 vcc, 0, v44
	v_mov_b32_e32 v60, 0
	v_mov_b32_e32 v59, 0
	s_and_saveexec_b64 s[12:13], vcc
	s_cbranch_execz .LBB905_539
; %bb.534:                              ;   in Loop: Header=BB905_215 Depth=1
	v_cmp_ne_u16_e32 vcc, s9, v44
	v_mov_b32_e32 v59, 0xffff8000
	s_and_saveexec_b64 s[14:15], vcc
	s_cbranch_execz .LBB905_538
; %bb.535:                              ;   in Loop: Header=BB905_215 Depth=1
	v_and_b32_e32 v46, 0x7f, v44
	v_cmp_ne_u32_e32 vcc, s21, v46
	v_mov_b32_e32 v59, 0x7f80
	s_and_saveexec_b64 s[16:17], vcc
	s_cbranch_execz .LBB905_537
; %bb.536:                              ;   in Loop: Header=BB905_215 Depth=1
	v_and_b32_e32 v59, 7, v44
	v_ffbh_u32_e32 v62, v59
	v_min_u32_e32 v64, 32, v62
	v_subrev_u32_e32 v62, 28, v64
	v_lshlrev_b64 v[62:63], v62, v[44:45]
	v_lshrrev_b32_e32 v61, 3, v46
	v_sub_u32_e32 v44, 29, v64
	v_and_b32_e32 v62, 7, v62
	v_cmp_gt_u32_e32 vcc, 8, v46
	v_cndmask_b32_e32 v44, v61, v44, vcc
	v_cndmask_b32_e32 v46, v59, v62, vcc
	v_lshlrev_b32_e32 v59, 16, v42
	v_lshlrev_b32_e32 v46, 20, v46
	v_and_b32_e32 v59, 0x80000000, v59
	v_lshl_add_u32 v44, v44, 23, v55
	v_or3_b32 v44, v59, v44, v46
	v_lshrrev_b32_e32 v59, 16, v44
.LBB905_537:                            ;   in Loop: Header=BB905_215 Depth=1
	s_or_b64 exec, exec, s[16:17]
.LBB905_538:                            ;   in Loop: Header=BB905_215 Depth=1
	s_or_b64 exec, exec, s[14:15]
.LBB905_539:                            ;   in Loop: Header=BB905_215 Depth=1
	s_or_b64 exec, exec, s[12:13]
	v_lshrrev_b32_e32 v44, 16, v42
	v_cmp_ne_u16_sdwa s[14:15], v44, v54 src0_sel:BYTE_0 src1_sel:DWORD
	s_and_saveexec_b64 s[12:13], s[14:15]
	s_cbranch_execz .LBB905_545
; %bb.540:                              ;   in Loop: Header=BB905_215 Depth=1
	v_cmp_ne_u16_sdwa s[16:17], v44, s9 src0_sel:BYTE_0 src1_sel:DWORD
	v_mov_b32_e32 v60, 0xffff8000
	s_and_saveexec_b64 s[14:15], s[16:17]
	s_cbranch_execz .LBB905_544
; %bb.541:                              ;   in Loop: Header=BB905_215 Depth=1
	v_bfe_u32 v46, v42, 16, 7
	v_cmp_ne_u32_e32 vcc, s21, v46
	v_mov_b32_e32 v60, 0x7f80
	s_and_saveexec_b64 s[16:17], vcc
	s_cbranch_execz .LBB905_543
; %bb.542:                              ;   in Loop: Header=BB905_215 Depth=1
	v_and_b32_e32 v62, 7, v44
	v_ffbh_u32_e32 v60, v62
	v_min_u32_e32 v64, 32, v60
	v_subrev_u32_e32 v60, 28, v64
	v_lshlrev_b64 v[60:61], v60, v[44:45]
	v_lshrrev_b32_e32 v63, 3, v46
	v_sub_u32_e32 v61, 29, v64
	v_and_b32_e32 v60, 7, v60
	v_cmp_gt_u32_e32 vcc, 8, v46
	v_cndmask_b32_e32 v46, v63, v61, vcc
	v_cndmask_b32_e32 v60, v62, v60, vcc
	v_lshlrev_b32_e32 v44, 24, v44
	v_lshlrev_b32_e32 v60, 20, v60
	v_and_b32_e32 v44, 0x80000000, v44
	v_lshl_add_u32 v46, v46, 23, v55
	v_or3_b32 v44, v44, v46, v60
	v_lshrrev_b32_e32 v60, 16, v44
.LBB905_543:                            ;   in Loop: Header=BB905_215 Depth=1
	s_or_b64 exec, exec, s[16:17]
.LBB905_544:                            ;   in Loop: Header=BB905_215 Depth=1
	s_or_b64 exec, exec, s[14:15]
.LBB905_545:                            ;   in Loop: Header=BB905_215 Depth=1
	s_or_b64 exec, exec, s[12:13]
	v_cmp_lt_u32_e32 vcc, s22, v42
	v_mov_b32_e32 v46, 0
	v_mov_b32_e32 v61, 0
	s_and_saveexec_b64 s[12:13], vcc
	s_cbranch_execz .LBB905_551
; %bb.546:                              ;   in Loop: Header=BB905_215 Depth=1
	v_lshrrev_b32_e32 v44, 24, v42
	v_cmp_ne_u32_e32 vcc, s9, v44
	v_mov_b32_e32 v61, 0xffff8000
	s_and_saveexec_b64 s[14:15], vcc
	s_cbranch_execz .LBB905_550
; %bb.547:                              ;   in Loop: Header=BB905_215 Depth=1
	v_bfe_u32 v42, v42, 24, 7
	v_cmp_ne_u32_e32 vcc, s21, v42
	v_mov_b32_e32 v61, 0x7f80
	s_and_saveexec_b64 s[16:17], vcc
	s_cbranch_execz .LBB905_549
; %bb.548:                              ;   in Loop: Header=BB905_215 Depth=1
	v_and_b32_e32 v61, 7, v44
	v_ffbh_u32_e32 v62, v61
	v_min_u32_e32 v65, 32, v62
	v_subrev_u32_e32 v62, 28, v65
	v_lshlrev_b64 v[62:63], v62, v[44:45]
	v_lshrrev_b32_e32 v64, 3, v42
	v_sub_u32_e32 v63, 29, v65
	v_and_b32_e32 v62, 7, v62
	v_cmp_gt_u32_e32 vcc, 8, v42
	v_cndmask_b32_e32 v42, v64, v63, vcc
	v_cndmask_b32_e32 v61, v61, v62, vcc
	v_lshlrev_b32_e32 v44, 24, v44
	v_lshlrev_b32_e32 v61, 20, v61
	v_and_b32_e32 v44, 0x80000000, v44
	v_lshl_add_u32 v42, v42, 23, v55
	v_or3_b32 v42, v44, v42, v61
	v_lshrrev_b32_e32 v61, 16, v42
.LBB905_549:                            ;   in Loop: Header=BB905_215 Depth=1
	s_or_b64 exec, exec, s[16:17]
.LBB905_550:                            ;   in Loop: Header=BB905_215 Depth=1
	s_or_b64 exec, exec, s[14:15]
.LBB905_551:                            ;   in Loop: Header=BB905_215 Depth=1
	s_or_b64 exec, exec, s[12:13]
	v_perm_b32 v63, v58, v56, s23
	v_perm_b32 v62, v50, v51, s23
	;; [unrolled: 1-line block ×4, first 2 shown]
	s_waitcnt vmcnt(1)
	v_cmp_ne_u16_sdwa s[14:15], v40, v54 src0_sel:BYTE_0 src1_sel:DWORD
	v_mfma_f32_16x16x16bf16_1k v[34:37], v[62:63], v[26:27], v[34:37]
	v_mfma_f32_16x16x16bf16_1k v[34:37], v[50:51], v[28:29], v[34:37]
	s_and_saveexec_b64 s[12:13], s[14:15]
	s_cbranch_execz .LBB905_557
; %bb.552:                              ;   in Loop: Header=BB905_215 Depth=1
	v_cmp_ne_u16_sdwa s[16:17], v40, s9 src0_sel:BYTE_0 src1_sel:DWORD
	v_mov_b32_e32 v46, 0xffff8000
	s_and_saveexec_b64 s[14:15], s[16:17]
	s_cbranch_execz .LBB905_556
; %bb.553:                              ;   in Loop: Header=BB905_215 Depth=1
	v_and_b32_e32 v42, 0x7f, v40
	v_cmp_ne_u32_e32 vcc, s21, v42
	v_mov_b32_e32 v46, 0x7f80
	s_and_saveexec_b64 s[16:17], vcc
	s_cbranch_execz .LBB905_555
; %bb.554:                              ;   in Loop: Header=BB905_215 Depth=1
	v_and_b32_e32 v44, 7, v40
	v_ffbh_u32_e32 v50, v44
	v_min_u32_e32 v56, 32, v50
	v_subrev_u32_e32 v50, 28, v56
	v_lshlrev_b64 v[50:51], v50, v[40:41]
	v_lshrrev_b32_e32 v46, 3, v42
	v_sub_u32_e32 v51, 29, v56
	v_and_b32_e32 v50, 7, v50
	v_cmp_gt_u32_e32 vcc, 8, v42
	v_cndmask_b32_e32 v42, v46, v51, vcc
	v_cndmask_b32_e32 v44, v44, v50, vcc
	v_lshlrev_b32_e32 v46, 24, v40
	v_lshlrev_b32_e32 v44, 20, v44
	v_and_b32_e32 v46, 0x80000000, v46
	v_lshl_add_u32 v42, v42, 23, v55
	v_or3_b32 v42, v46, v42, v44
	v_lshrrev_b32_e32 v46, 16, v42
.LBB905_555:                            ;   in Loop: Header=BB905_215 Depth=1
	s_or_b64 exec, exec, s[16:17]
.LBB905_556:                            ;   in Loop: Header=BB905_215 Depth=1
	s_or_b64 exec, exec, s[14:15]
.LBB905_557:                            ;   in Loop: Header=BB905_215 Depth=1
	s_or_b64 exec, exec, s[12:13]
	v_lshrrev_b16_e32 v42, 8, v40
	v_cmp_ne_u16_e32 vcc, 0, v42
	v_mov_b32_e32 v50, 0
	v_mov_b32_e32 v44, 0
	s_and_saveexec_b64 s[12:13], vcc
	s_cbranch_execz .LBB905_563
; %bb.558:                              ;   in Loop: Header=BB905_215 Depth=1
	v_cmp_ne_u16_e32 vcc, s9, v42
	v_mov_b32_e32 v44, 0xffff8000
	s_and_saveexec_b64 s[14:15], vcc
	s_cbranch_execz .LBB905_562
; %bb.559:                              ;   in Loop: Header=BB905_215 Depth=1
	v_and_b32_e32 v51, 0x7f, v42
	v_cmp_ne_u32_e32 vcc, s21, v51
	v_mov_b32_e32 v44, 0x7f80
	s_and_saveexec_b64 s[16:17], vcc
	s_cbranch_execz .LBB905_561
; %bb.560:                              ;   in Loop: Header=BB905_215 Depth=1
	v_and_b32_e32 v44, 7, v42
	v_ffbh_u32_e32 v56, v44
	v_min_u32_e32 v59, 32, v56
	v_subrev_u32_e32 v56, 28, v59
	v_lshlrev_b64 v[56:57], v56, v[42:43]
	v_lshrrev_b32_e32 v58, 3, v51
	v_sub_u32_e32 v42, 29, v59
	v_and_b32_e32 v56, 7, v56
	v_cmp_gt_u32_e32 vcc, 8, v51
	v_cndmask_b32_e32 v42, v58, v42, vcc
	v_cndmask_b32_e32 v44, v44, v56, vcc
	v_lshlrev_b32_e32 v51, 16, v40
	v_lshlrev_b32_e32 v44, 20, v44
	v_and_b32_e32 v51, 0x80000000, v51
	v_lshl_add_u32 v42, v42, 23, v55
	v_or3_b32 v42, v51, v42, v44
	v_lshrrev_b32_e32 v44, 16, v42
.LBB905_561:                            ;   in Loop: Header=BB905_215 Depth=1
	s_or_b64 exec, exec, s[16:17]
.LBB905_562:                            ;   in Loop: Header=BB905_215 Depth=1
	s_or_b64 exec, exec, s[14:15]
.LBB905_563:                            ;   in Loop: Header=BB905_215 Depth=1
	s_or_b64 exec, exec, s[12:13]
	v_lshrrev_b32_e32 v42, 16, v40
	v_cmp_ne_u16_sdwa s[14:15], v42, v54 src0_sel:BYTE_0 src1_sel:DWORD
	s_and_saveexec_b64 s[12:13], s[14:15]
	s_cbranch_execz .LBB905_569
; %bb.564:                              ;   in Loop: Header=BB905_215 Depth=1
	v_cmp_ne_u16_sdwa s[16:17], v42, s9 src0_sel:BYTE_0 src1_sel:DWORD
	v_mov_b32_e32 v50, 0xffff8000
	s_and_saveexec_b64 s[14:15], s[16:17]
	s_cbranch_execz .LBB905_568
; %bb.565:                              ;   in Loop: Header=BB905_215 Depth=1
	v_bfe_u32 v51, v40, 16, 7
	v_cmp_ne_u32_e32 vcc, s21, v51
	v_mov_b32_e32 v50, 0x7f80
	s_and_saveexec_b64 s[16:17], vcc
	s_cbranch_execz .LBB905_567
; %bb.566:                              ;   in Loop: Header=BB905_215 Depth=1
	v_and_b32_e32 v50, 7, v42
	v_ffbh_u32_e32 v56, v50
	v_min_u32_e32 v59, 32, v56
	v_subrev_u32_e32 v56, 28, v59
	v_lshlrev_b64 v[56:57], v56, v[42:43]
	v_lshrrev_b32_e32 v58, 3, v51
	v_sub_u32_e32 v57, 29, v59
	v_and_b32_e32 v56, 7, v56
	v_cmp_gt_u32_e32 vcc, 8, v51
	v_cndmask_b32_e32 v51, v58, v57, vcc
	v_cndmask_b32_e32 v50, v50, v56, vcc
	v_lshlrev_b32_e32 v42, 24, v42
	v_lshlrev_b32_e32 v50, 20, v50
	v_and_b32_e32 v42, 0x80000000, v42
	v_lshl_add_u32 v51, v51, 23, v55
	v_or3_b32 v42, v42, v51, v50
	v_lshrrev_b32_e32 v50, 16, v42
.LBB905_567:                            ;   in Loop: Header=BB905_215 Depth=1
	s_or_b64 exec, exec, s[16:17]
.LBB905_568:                            ;   in Loop: Header=BB905_215 Depth=1
	s_or_b64 exec, exec, s[14:15]
.LBB905_569:                            ;   in Loop: Header=BB905_215 Depth=1
	s_or_b64 exec, exec, s[12:13]
	v_cmp_lt_u32_e32 vcc, s22, v40
	v_mov_b32_e32 v51, 0
	v_mov_b32_e32 v56, 0
	s_and_saveexec_b64 s[12:13], vcc
	s_cbranch_execz .LBB905_575
; %bb.570:                              ;   in Loop: Header=BB905_215 Depth=1
	v_lshrrev_b32_e32 v42, 24, v40
	v_cmp_ne_u32_e32 vcc, s9, v42
	v_mov_b32_e32 v56, 0xffff8000
	s_and_saveexec_b64 s[14:15], vcc
	s_cbranch_execz .LBB905_574
; %bb.571:                              ;   in Loop: Header=BB905_215 Depth=1
	v_bfe_u32 v40, v40, 24, 7
	v_cmp_ne_u32_e32 vcc, s21, v40
	v_mov_b32_e32 v56, 0x7f80
	s_and_saveexec_b64 s[16:17], vcc
	s_cbranch_execz .LBB905_573
; %bb.572:                              ;   in Loop: Header=BB905_215 Depth=1
	v_and_b32_e32 v58, 7, v42
	v_ffbh_u32_e32 v56, v58
	v_min_u32_e32 v60, 32, v56
	v_subrev_u32_e32 v56, 28, v60
	v_lshlrev_b64 v[56:57], v56, v[42:43]
	v_lshrrev_b32_e32 v59, 3, v40
	v_sub_u32_e32 v57, 29, v60
	v_and_b32_e32 v56, 7, v56
	v_cmp_gt_u32_e32 vcc, 8, v40
	v_cndmask_b32_e32 v40, v59, v57, vcc
	v_cndmask_b32_e32 v56, v58, v56, vcc
	v_lshlrev_b32_e32 v42, 24, v42
	v_lshlrev_b32_e32 v56, 20, v56
	v_and_b32_e32 v42, 0x80000000, v42
	v_lshl_add_u32 v40, v40, 23, v55
	v_or3_b32 v40, v42, v40, v56
	v_lshrrev_b32_e32 v56, 16, v40
.LBB905_573:                            ;   in Loop: Header=BB905_215 Depth=1
	s_or_b64 exec, exec, s[16:17]
.LBB905_574:                            ;   in Loop: Header=BB905_215 Depth=1
	s_or_b64 exec, exec, s[14:15]
.LBB905_575:                            ;   in Loop: Header=BB905_215 Depth=1
	s_or_b64 exec, exec, s[12:13]
	s_waitcnt vmcnt(0)
	v_cmp_ne_u16_sdwa s[14:15], v38, v54 src0_sel:BYTE_0 src1_sel:DWORD
	s_and_saveexec_b64 s[12:13], s[14:15]
	s_cbranch_execz .LBB905_581
; %bb.576:                              ;   in Loop: Header=BB905_215 Depth=1
	v_cmp_ne_u16_sdwa s[16:17], v38, s9 src0_sel:BYTE_0 src1_sel:DWORD
	v_mov_b32_e32 v51, 0xffff8000
	s_and_saveexec_b64 s[14:15], s[16:17]
	s_cbranch_execz .LBB905_580
; %bb.577:                              ;   in Loop: Header=BB905_215 Depth=1
	v_and_b32_e32 v40, 0x7f, v38
	v_cmp_ne_u32_e32 vcc, s21, v40
	v_mov_b32_e32 v51, 0x7f80
	s_and_saveexec_b64 s[16:17], vcc
	s_cbranch_execz .LBB905_579
; %bb.578:                              ;   in Loop: Header=BB905_215 Depth=1
	v_and_b32_e32 v42, 7, v38
	v_ffbh_u32_e32 v57, v42
	v_min_u32_e32 v57, 32, v57
	v_subrev_u32_e32 v58, 28, v57
	v_lshlrev_b64 v[58:59], v58, v[38:39]
	v_lshrrev_b32_e32 v51, 3, v40
	v_sub_u32_e32 v57, 29, v57
	v_and_b32_e32 v58, 7, v58
	v_cmp_gt_u32_e32 vcc, 8, v40
	v_cndmask_b32_e32 v40, v51, v57, vcc
	v_cndmask_b32_e32 v42, v42, v58, vcc
	v_lshlrev_b32_e32 v51, 24, v38
	v_lshlrev_b32_e32 v42, 20, v42
	v_and_b32_e32 v51, 0x80000000, v51
	v_lshl_add_u32 v40, v40, 23, v55
	v_or3_b32 v40, v51, v40, v42
	v_lshrrev_b32_e32 v51, 16, v40
.LBB905_579:                            ;   in Loop: Header=BB905_215 Depth=1
	s_or_b64 exec, exec, s[16:17]
.LBB905_580:                            ;   in Loop: Header=BB905_215 Depth=1
	s_or_b64 exec, exec, s[14:15]
.LBB905_581:                            ;   in Loop: Header=BB905_215 Depth=1
	s_or_b64 exec, exec, s[12:13]
	v_lshrrev_b16_e32 v40, 8, v38
	v_cmp_ne_u16_e32 vcc, 0, v40
	v_mov_b32_e32 v57, 0
	v_mov_b32_e32 v42, 0
	s_and_saveexec_b64 s[12:13], vcc
	s_cbranch_execz .LBB905_587
; %bb.582:                              ;   in Loop: Header=BB905_215 Depth=1
	v_cmp_ne_u16_e32 vcc, s9, v40
	v_mov_b32_e32 v42, 0xffff8000
	s_and_saveexec_b64 s[14:15], vcc
	s_cbranch_execz .LBB905_586
; %bb.583:                              ;   in Loop: Header=BB905_215 Depth=1
	v_and_b32_e32 v58, 0x7f, v40
	v_cmp_ne_u32_e32 vcc, s21, v58
	v_mov_b32_e32 v42, 0x7f80
	s_and_saveexec_b64 s[16:17], vcc
	s_cbranch_execz .LBB905_585
; %bb.584:                              ;   in Loop: Header=BB905_215 Depth=1
	v_and_b32_e32 v42, 7, v40
	v_ffbh_u32_e32 v60, v42
	v_min_u32_e32 v62, 32, v60
	v_subrev_u32_e32 v60, 28, v62
	v_lshlrev_b64 v[60:61], v60, v[40:41]
	v_lshrrev_b32_e32 v59, 3, v58
	v_sub_u32_e32 v40, 29, v62
	v_and_b32_e32 v60, 7, v60
	v_cmp_gt_u32_e32 vcc, 8, v58
	v_cndmask_b32_e32 v40, v59, v40, vcc
	v_cndmask_b32_e32 v42, v42, v60, vcc
	v_lshlrev_b32_e32 v58, 16, v38
	v_lshlrev_b32_e32 v42, 20, v42
	v_and_b32_e32 v58, 0x80000000, v58
	v_lshl_add_u32 v40, v40, 23, v55
	v_or3_b32 v40, v58, v40, v42
	v_lshrrev_b32_e32 v42, 16, v40
.LBB905_585:                            ;   in Loop: Header=BB905_215 Depth=1
	s_or_b64 exec, exec, s[16:17]
.LBB905_586:                            ;   in Loop: Header=BB905_215 Depth=1
	s_or_b64 exec, exec, s[14:15]
.LBB905_587:                            ;   in Loop: Header=BB905_215 Depth=1
	s_or_b64 exec, exec, s[12:13]
	v_lshrrev_b32_e32 v40, 16, v38
	v_cmp_ne_u16_sdwa s[14:15], v40, v54 src0_sel:BYTE_0 src1_sel:DWORD
	s_and_saveexec_b64 s[12:13], s[14:15]
	s_cbranch_execz .LBB905_593
; %bb.588:                              ;   in Loop: Header=BB905_215 Depth=1
	v_cmp_ne_u16_sdwa s[16:17], v40, s9 src0_sel:BYTE_0 src1_sel:DWORD
	v_mov_b32_e32 v57, 0xffff8000
	s_and_saveexec_b64 s[14:15], s[16:17]
	s_cbranch_execz .LBB905_592
; %bb.589:                              ;   in Loop: Header=BB905_215 Depth=1
	v_bfe_u32 v58, v38, 16, 7
	v_cmp_ne_u32_e32 vcc, s21, v58
	v_mov_b32_e32 v57, 0x7f80
	s_and_saveexec_b64 s[16:17], vcc
	s_cbranch_execz .LBB905_591
; %bb.590:                              ;   in Loop: Header=BB905_215 Depth=1
	v_and_b32_e32 v57, 7, v40
	v_ffbh_u32_e32 v60, v57
	v_min_u32_e32 v62, 32, v60
	v_subrev_u32_e32 v60, 28, v62
	v_lshlrev_b64 v[60:61], v60, v[40:41]
	v_lshrrev_b32_e32 v59, 3, v58
	v_sub_u32_e32 v61, 29, v62
	v_and_b32_e32 v60, 7, v60
	v_cmp_gt_u32_e32 vcc, 8, v58
	v_cndmask_b32_e32 v58, v59, v61, vcc
	v_cndmask_b32_e32 v57, v57, v60, vcc
	v_lshlrev_b32_e32 v40, 24, v40
	v_lshlrev_b32_e32 v57, 20, v57
	v_and_b32_e32 v40, 0x80000000, v40
	v_lshl_add_u32 v58, v58, 23, v55
	v_or3_b32 v40, v40, v58, v57
	v_lshrrev_b32_e32 v57, 16, v40
.LBB905_591:                            ;   in Loop: Header=BB905_215 Depth=1
	s_or_b64 exec, exec, s[16:17]
.LBB905_592:                            ;   in Loop: Header=BB905_215 Depth=1
	s_or_b64 exec, exec, s[14:15]
.LBB905_593:                            ;   in Loop: Header=BB905_215 Depth=1
	s_or_b64 exec, exec, s[12:13]
	v_cmp_lt_u32_e32 vcc, s22, v38
	v_mov_b32_e32 v58, 0
	s_and_saveexec_b64 s[12:13], vcc
	s_cbranch_execz .LBB905_214
; %bb.594:                              ;   in Loop: Header=BB905_215 Depth=1
	v_lshrrev_b32_e32 v40, 24, v38
	v_cmp_ne_u32_e32 vcc, s9, v40
	v_mov_b32_e32 v58, 0xffff8000
	s_and_saveexec_b64 s[14:15], vcc
	s_cbranch_execz .LBB905_213
; %bb.595:                              ;   in Loop: Header=BB905_215 Depth=1
	v_bfe_u32 v38, v38, 24, 7
	v_cmp_ne_u32_e32 vcc, s21, v38
	v_mov_b32_e32 v58, 0x7f80
	s_and_saveexec_b64 s[16:17], vcc
	s_cbranch_execz .LBB905_212
; %bb.596:                              ;   in Loop: Header=BB905_215 Depth=1
	v_and_b32_e32 v60, 7, v40
	v_ffbh_u32_e32 v58, v60
	v_min_u32_e32 v62, 32, v58
	v_subrev_u32_e32 v58, 28, v62
	v_lshlrev_b64 v[58:59], v58, v[40:41]
	v_lshrrev_b32_e32 v61, 3, v38
	v_sub_u32_e32 v59, 29, v62
	v_and_b32_e32 v58, 7, v58
	v_cmp_gt_u32_e32 vcc, 8, v38
	v_cndmask_b32_e32 v38, v61, v59, vcc
	v_cndmask_b32_e32 v58, v60, v58, vcc
	v_lshlrev_b32_e32 v40, 24, v40
	v_lshlrev_b32_e32 v58, 20, v58
	v_and_b32_e32 v40, 0x80000000, v40
	v_lshl_add_u32 v38, v38, 23, v55
	v_or3_b32 v38, v40, v38, v58
	v_lshrrev_b32_e32 v58, 16, v38
	s_branch .LBB905_212
.LBB905_597:
	s_barrier
	buffer_load_dword v2, off, s[0:3], 0 offset:320
	buffer_load_dword v5, off, s[0:3], 0 offset:332
	;; [unrolled: 1-line block ×4, first 2 shown]
	v_cmp_gt_u32_e32 vcc, 64, v0
	s_waitcnt vmcnt(0)
	ds_write2st64_b64 v52, v[2:3], v[4:5] offset1:1
	s_waitcnt lgkmcnt(0)
	s_barrier
	s_and_saveexec_b64 s[4:5], vcc
	s_cbranch_execz .LBB905_599
; %bb.598:
	s_lshl_b32 s6, s48, 7
	s_mul_i32 s4, s18, s8
	s_mul_hi_u32 s5, s4, s6
	s_mul_i32 s4, s4, s6
	s_lshl_b64 s[4:5], s[4:5], 1
	s_add_u32 s7, s50, s4
	v_lshlrev_b32_e32 v4, 6, v41
	s_addc_u32 s8, s51, s5
	s_lshl_b32 s4, s26, 7
	s_mov_b32 s5, 0
	v_lshl_or_b32 v0, v0, 10, v4
	s_lshl_b64 s[4:5], s[4:5], 1
	v_lshlrev_b32_e32 v2, 5, v1
	v_and_b32_e32 v3, 16, v43
	v_and_b32_e32 v0, 0x1a00, v0
	s_add_u32 s4, s7, s4
	v_or3_b32 v0, v0, v2, v3
	s_addc_u32 s5, s8, s5
	ds_read_b128 v[2:5], v0
	ds_read_b128 v[6:9], v0 offset:128
	ds_read_b128 v[10:13], v0 offset:256
	v_or_b32_e32 v14, s27, v1
	v_mov_b32_e32 v0, s5
	v_add_co_u32_e32 v15, vcc, s4, v39
	v_addc_co_u32_e32 v16, vcc, 0, v0, vcc
	v_mad_u64_u32 v[0:1], s[4:5], v14, s6, 0
	v_lshlrev_b64 v[0:1], 1, v[0:1]
	v_add_co_u32_e32 v0, vcc, v15, v0
	v_addc_co_u32_e32 v1, vcc, v16, v1, vcc
	s_waitcnt lgkmcnt(2)
	global_store_dwordx4 v[0:1], v[2:5], off
	v_add_u32_e32 v0, 4, v14
	v_mad_u64_u32 v[0:1], s[4:5], v0, s6, 0
	v_lshlrev_b64 v[0:1], 1, v[0:1]
	v_add_co_u32_e32 v0, vcc, v15, v0
	v_addc_co_u32_e32 v1, vcc, v16, v1, vcc
	s_waitcnt lgkmcnt(1)
	global_store_dwordx4 v[0:1], v[6:9], off
	v_add_u32_e32 v0, 8, v14
	v_mad_u64_u32 v[0:1], s[4:5], v0, s6, 0
	v_lshlrev_b64 v[0:1], 1, v[0:1]
	v_add_co_u32_e32 v0, vcc, v15, v0
	v_addc_co_u32_e32 v1, vcc, v16, v1, vcc
	s_waitcnt lgkmcnt(0)
	global_store_dwordx4 v[0:1], v[10:13], off
.LBB905_599:
	s_endpgm
	.section	.rodata,"a",@progbits
	.p2align	6, 0x0
	.amdhsa_kernel _Z39paged_attention_ll4mi_QKV_mfma16_kernelI14__hip_bfloat16hLN4vllm18Fp8KVCacheDataTypeE1ES0_Li16ELi128ELi256ELb1ELi12EL8MFMAType0EEvPKT_PKT0_S9_ifPKiSB_SB_iPKfiiiPfSE_PS4_PT2_iSD_SD_
		.amdhsa_group_segment_fixed_size 8192
		.amdhsa_private_segment_fixed_size 352
		.amdhsa_kernarg_size 400
		.amdhsa_user_sgpr_count 8
		.amdhsa_user_sgpr_private_segment_buffer 1
		.amdhsa_user_sgpr_dispatch_ptr 0
		.amdhsa_user_sgpr_queue_ptr 0
		.amdhsa_user_sgpr_kernarg_segment_ptr 1
		.amdhsa_user_sgpr_dispatch_id 0
		.amdhsa_user_sgpr_flat_scratch_init 1
		.amdhsa_user_sgpr_kernarg_preload_length 0
		.amdhsa_user_sgpr_kernarg_preload_offset 0
		.amdhsa_user_sgpr_private_segment_size 0
		.amdhsa_uses_dynamic_stack 0
		.amdhsa_system_sgpr_private_segment_wavefront_offset 1
		.amdhsa_system_sgpr_workgroup_id_x 1
		.amdhsa_system_sgpr_workgroup_id_y 1
		.amdhsa_system_sgpr_workgroup_id_z 1
		.amdhsa_system_sgpr_workgroup_info 0
		.amdhsa_system_vgpr_workitem_id 0
		.amdhsa_next_free_vgpr 80
		.amdhsa_next_free_sgpr 53
		.amdhsa_accum_offset 80
		.amdhsa_reserve_vcc 1
		.amdhsa_reserve_flat_scratch 0
		.amdhsa_float_round_mode_32 0
		.amdhsa_float_round_mode_16_64 0
		.amdhsa_float_denorm_mode_32 3
		.amdhsa_float_denorm_mode_16_64 3
		.amdhsa_dx10_clamp 1
		.amdhsa_ieee_mode 1
		.amdhsa_fp16_overflow 0
		.amdhsa_tg_split 0
		.amdhsa_exception_fp_ieee_invalid_op 0
		.amdhsa_exception_fp_denorm_src 0
		.amdhsa_exception_fp_ieee_div_zero 0
		.amdhsa_exception_fp_ieee_overflow 0
		.amdhsa_exception_fp_ieee_underflow 0
		.amdhsa_exception_fp_ieee_inexact 0
		.amdhsa_exception_int_div_zero 0
	.end_amdhsa_kernel
	.section	.text._Z39paged_attention_ll4mi_QKV_mfma16_kernelI14__hip_bfloat16hLN4vllm18Fp8KVCacheDataTypeE1ES0_Li16ELi128ELi256ELb1ELi12EL8MFMAType0EEvPKT_PKT0_S9_ifPKiSB_SB_iPKfiiiPfSE_PS4_PT2_iSD_SD_,"axG",@progbits,_Z39paged_attention_ll4mi_QKV_mfma16_kernelI14__hip_bfloat16hLN4vllm18Fp8KVCacheDataTypeE1ES0_Li16ELi128ELi256ELb1ELi12EL8MFMAType0EEvPKT_PKT0_S9_ifPKiSB_SB_iPKfiiiPfSE_PS4_PT2_iSD_SD_,comdat
.Lfunc_end905:
	.size	_Z39paged_attention_ll4mi_QKV_mfma16_kernelI14__hip_bfloat16hLN4vllm18Fp8KVCacheDataTypeE1ES0_Li16ELi128ELi256ELb1ELi12EL8MFMAType0EEvPKT_PKT0_S9_ifPKiSB_SB_iPKfiiiPfSE_PS4_PT2_iSD_SD_, .Lfunc_end905-_Z39paged_attention_ll4mi_QKV_mfma16_kernelI14__hip_bfloat16hLN4vllm18Fp8KVCacheDataTypeE1ES0_Li16ELi128ELi256ELb1ELi12EL8MFMAType0EEvPKT_PKT0_S9_ifPKiSB_SB_iPKfiiiPfSE_PS4_PT2_iSD_SD_
                                        ; -- End function
	.section	.AMDGPU.csdata,"",@progbits
; Kernel info:
; codeLenInByte = 22480
; NumSgprs: 57
; NumVgprs: 80
; NumAgprs: 0
; TotalNumVgprs: 80
; ScratchSize: 352
; MemoryBound: 0
; FloatMode: 240
; IeeeMode: 1
; LDSByteSize: 8192 bytes/workgroup (compile time only)
; SGPRBlocks: 7
; VGPRBlocks: 9
; NumSGPRsForWavesPerEU: 57
; NumVGPRsForWavesPerEU: 80
; AccumOffset: 80
; Occupancy: 6
; WaveLimiterHint : 1
; COMPUTE_PGM_RSRC2:SCRATCH_EN: 1
; COMPUTE_PGM_RSRC2:USER_SGPR: 8
; COMPUTE_PGM_RSRC2:TRAP_HANDLER: 0
; COMPUTE_PGM_RSRC2:TGID_X_EN: 1
; COMPUTE_PGM_RSRC2:TGID_Y_EN: 1
; COMPUTE_PGM_RSRC2:TGID_Z_EN: 1
; COMPUTE_PGM_RSRC2:TIDIG_COMP_CNT: 0
; COMPUTE_PGM_RSRC3_GFX90A:ACCUM_OFFSET: 19
; COMPUTE_PGM_RSRC3_GFX90A:TG_SPLIT: 0
	.section	.text._Z39paged_attention_ll4mi_QKV_mfma16_kernelI14__hip_bfloat16hLN4vllm18Fp8KVCacheDataTypeE1ES0_Li16ELi128ELi256ELb1ELi13EL8MFMAType0EEvPKT_PKT0_S9_ifPKiSB_SB_iPKfiiiPfSE_PS4_PT2_iSD_SD_,"axG",@progbits,_Z39paged_attention_ll4mi_QKV_mfma16_kernelI14__hip_bfloat16hLN4vllm18Fp8KVCacheDataTypeE1ES0_Li16ELi128ELi256ELb1ELi13EL8MFMAType0EEvPKT_PKT0_S9_ifPKiSB_SB_iPKfiiiPfSE_PS4_PT2_iSD_SD_,comdat
	.protected	_Z39paged_attention_ll4mi_QKV_mfma16_kernelI14__hip_bfloat16hLN4vllm18Fp8KVCacheDataTypeE1ES0_Li16ELi128ELi256ELb1ELi13EL8MFMAType0EEvPKT_PKT0_S9_ifPKiSB_SB_iPKfiiiPfSE_PS4_PT2_iSD_SD_ ; -- Begin function _Z39paged_attention_ll4mi_QKV_mfma16_kernelI14__hip_bfloat16hLN4vllm18Fp8KVCacheDataTypeE1ES0_Li16ELi128ELi256ELb1ELi13EL8MFMAType0EEvPKT_PKT0_S9_ifPKiSB_SB_iPKfiiiPfSE_PS4_PT2_iSD_SD_
	.globl	_Z39paged_attention_ll4mi_QKV_mfma16_kernelI14__hip_bfloat16hLN4vllm18Fp8KVCacheDataTypeE1ES0_Li16ELi128ELi256ELb1ELi13EL8MFMAType0EEvPKT_PKT0_S9_ifPKiSB_SB_iPKfiiiPfSE_PS4_PT2_iSD_SD_
	.p2align	8
	.type	_Z39paged_attention_ll4mi_QKV_mfma16_kernelI14__hip_bfloat16hLN4vllm18Fp8KVCacheDataTypeE1ES0_Li16ELi128ELi256ELb1ELi13EL8MFMAType0EEvPKT_PKT0_S9_ifPKiSB_SB_iPKfiiiPfSE_PS4_PT2_iSD_SD_,@function
_Z39paged_attention_ll4mi_QKV_mfma16_kernelI14__hip_bfloat16hLN4vllm18Fp8KVCacheDataTypeE1ES0_Li16ELi128ELi256ELb1ELi13EL8MFMAType0EEvPKT_PKT0_S9_ifPKiSB_SB_iPKfiiiPfSE_PS4_PT2_iSD_SD_: ; @_Z39paged_attention_ll4mi_QKV_mfma16_kernelI14__hip_bfloat16hLN4vllm18Fp8KVCacheDataTypeE1ES0_Li16ELi128ELi256ELb1ELi13EL8MFMAType0EEvPKT_PKT0_S9_ifPKiSB_SB_iPKfiiiPfSE_PS4_PT2_iSD_SD_
; %bb.0:
	s_load_dwordx2 s[6:7], s[4:5], 0x30
	s_add_u32 s0, s0, s11
	s_addc_u32 s1, s1, 0
	s_mov_b32 s26, s9
	s_mov_b64 s[14:15], 0
	s_waitcnt lgkmcnt(0)
	s_cmp_lg_u64 s[6:7], 0
	s_cselect_b64 s[12:13], -1, 0
	s_and_b64 vcc, exec, s[12:13]
	s_cbranch_vccz .LBB906_7
; %bb.1:
	s_add_i32 s16, s8, 1
	s_mov_b32 s17, 0
	s_lshl_b64 s[18:19], s[16:17], 2
	s_add_u32 s18, s6, s18
	s_mov_b32 s9, s17
	s_addc_u32 s19, s7, s19
	s_lshl_b64 s[16:17], s[8:9], 2
	s_add_u32 s16, s6, s16
	s_addc_u32 s17, s7, s17
	s_load_dword s11, s[18:19], 0x0
	s_load_dword s20, s[16:17], 0x0
	s_waitcnt lgkmcnt(0)
	s_sub_i32 s11, s11, s20
	s_cmp_eq_u32 s11, 1
	s_cselect_b64 s[16:17], -1, 0
	s_andn2_b64 vcc, exec, s[14:15]
	s_cbranch_vccnz .LBB906_3
.LBB906_2:
	s_mov_b32 s9, 0
	s_mov_b64 s[16:17], -1
.LBB906_3:
	s_andn2_b64 vcc, exec, s[16:17]
	s_cbranch_vccnz .LBB906_600
; %bb.4:
	s_load_dwordx2 s[16:17], s[4:5], 0x28
	s_lshl_b64 s[14:15], s[8:9], 2
	s_waitcnt lgkmcnt(0)
	s_add_u32 s16, s16, s14
	s_addc_u32 s17, s17, s15
	s_load_dword s33, s[16:17], 0x0
	s_lshl_b32 s20, s26, 8
	s_waitcnt lgkmcnt(0)
	s_cmp_ge_i32 s20, s33
	s_cbranch_scc1 .LBB906_600
; %bb.5:
	s_add_i32 s18, s33, 15
	s_load_dwordx2 s[16:17], s[4:5], 0x20
	s_load_dword s11, s[4:5], 0x38
	s_ashr_i32 s19, s18, 31
	v_and_b32_e32 v1, 0xcf, v0
	s_lshr_b32 s19, s19, 28
	v_add_u32_e32 v1, s20, v1
	s_add_i32 s18, s18, s19
	v_ashrrev_i32_e32 v2, 31, v1
	s_ashr_i32 s23, s18, 4
	v_lshrrev_b32_e32 v4, 28, v2
	s_add_i32 s23, s23, -1
	v_add_u32_e32 v2, v1, v4
	s_waitcnt lgkmcnt(0)
	s_mul_i32 s18, s8, s11
	s_mov_b32 s19, 0
	v_ashrrev_i32_e32 v2, 4, v2
	v_mov_b32_e32 v5, s23
	v_cmp_gt_i32_e32 vcc, s33, v1
	s_lshl_b64 s[18:19], s[18:19], 2
	v_cndmask_b32_e32 v2, v5, v2, vcc
	s_add_u32 s21, s16, s18
	v_ashrrev_i32_e32 v3, 31, v2
	s_addc_u32 s22, s17, s19
	v_lshlrev_b64 v[2:3], 2, v[2:3]
	v_mov_b32_e32 v7, s22
	v_add_co_u32_e32 v6, vcc, s21, v2
	v_or_b32_e32 v2, 16, v1
	v_addc_co_u32_e32 v7, vcc, v7, v3, vcc
	v_add_u32_e32 v3, v2, v4
	v_ashrrev_i32_e32 v3, 4, v3
	v_cmp_gt_i32_e32 vcc, s33, v2
	v_cndmask_b32_e32 v2, v5, v3, vcc
	v_ashrrev_i32_e32 v3, 31, v2
	v_lshlrev_b64 v[2:3], 2, v[2:3]
	v_mov_b32_e32 v9, s22
	v_add_co_u32_e32 v8, vcc, s21, v2
	v_or_b32_e32 v2, 32, v1
	v_addc_co_u32_e32 v9, vcc, v9, v3, vcc
	v_add_u32_e32 v3, v2, v4
	v_ashrrev_i32_e32 v3, 4, v3
	v_cmp_gt_i32_e32 vcc, s33, v2
	v_cndmask_b32_e32 v2, v5, v3, vcc
	v_ashrrev_i32_e32 v3, 31, v2
	;; [unrolled: 10-line block ×3, first 2 shown]
	v_lshlrev_b64 v[2:3], 2, v[2:3]
	v_mov_b32_e32 v1, s22
	v_add_co_u32_e32 v12, vcc, s21, v2
	v_addc_co_u32_e32 v13, vcc, v1, v3, vcc
	global_load_dword v5, v[6:7], off
	global_load_dword v4, v[8:9], off
	;; [unrolled: 1-line block ×4, first 2 shown]
	s_load_dwordx2 s[16:17], s[4:5], 0x8
	s_andn2_b64 vcc, exec, s[12:13]
	s_cbranch_vccnz .LBB906_8
; %bb.6:
	s_add_u32 s6, s6, s14
	s_addc_u32 s7, s7, s15
	s_load_dword s11, s[6:7], 0x0
	s_branch .LBB906_9
.LBB906_7:
	s_mov_b64 s[16:17], 0
	s_branch .LBB906_2
.LBB906_8:
	s_mov_b32 s11, s8
.LBB906_9:
	s_load_dwordx2 s[6:7], s[4:5], 0x10
	s_load_dwordx4 s[12:15], s[4:5], 0x48
	v_lshrrev_b32_e32 v27, 6, v0
	v_bfe_u32 v1, v0, 4, 2
	v_and_b32_e32 v41, 15, v0
	v_lshl_or_b32 v6, v27, 2, v1
	v_lshlrev_b32_e32 v7, 3, v41
	s_mul_i32 s27, s10, 13
	v_cmp_gt_u32_e32 vcc, 13, v6
	v_lshlrev_b32_e32 v39, 1, v7
	v_lshlrev_b32_e32 v43, 4, v0
	s_and_saveexec_b64 s[18:19], vcc
	s_cbranch_execz .LBB906_11
; %bb.10:
	s_load_dwordx2 s[24:25], s[4:5], 0x0
	s_waitcnt lgkmcnt(0)
	s_ashr_i32 s15, s12, 31
	s_mul_hi_u32 s28, s11, s12
	s_mul_i32 s15, s11, s15
	s_add_i32 s29, s28, s15
	s_mul_i32 s28, s11, s12
	s_lshl_b64 s[28:29], s[28:29], 1
	v_add_lshl_u32 v8, v6, s27, 7
	s_add_u32 s11, s24, s28
	v_ashrrev_i32_e32 v9, 31, v8
	s_addc_u32 s12, s25, s29
	v_lshlrev_b64 v[8:9], 1, v[8:9]
	v_mov_b32_e32 v7, s12
	v_add_co_u32_e32 v8, vcc, s11, v8
	v_addc_co_u32_e32 v7, vcc, v7, v9, vcc
	v_add_co_u32_e32 v8, vcc, v8, v39
	v_addc_co_u32_e32 v9, vcc, 0, v7, vcc
	global_load_dwordx4 v[8:11], v[8:9], off
	v_lshlrev_b32_e32 v12, 8, v0
	v_lshlrev_b32_e32 v7, 8, v41
	v_and_b32_e32 v12, 0x600, v12
	s_movk_i32 s11, 0x800
	v_and_or_b32 v7, v7, s11, v12
	v_lshlrev_b32_e32 v6, 5, v6
	v_and_b32_e32 v12, 16, v43
	v_or3_b32 v6, v7, v6, v12
	s_waitcnt vmcnt(0)
	ds_write_b128 v6, v[8:11]
.LBB906_11:
	s_or_b64 exec, exec, s[18:19]
	s_waitcnt lgkmcnt(0)
	s_mul_i32 s14, s10, s14
	s_add_u32 s10, s16, s14
	s_addc_u32 s11, s17, 0
	v_and_b32_e32 v6, 0xf0, v43
	v_mov_b32_e32 v7, s11
	v_add_co_u32_e32 v6, vcc, s10, v6
	v_and_b32_e32 v18, 48, v0
	v_addc_co_u32_e32 v7, vcc, 0, v7, vcc
	v_lshlrev_b32_e32 v10, 4, v18
	s_waitcnt vmcnt(3)
	v_mad_i64_i32 v[8:9], s[10:11], v5, s13, v[6:7]
	v_add_co_u32_e32 v8, vcc, v8, v10
	v_addc_co_u32_e32 v9, vcc, 0, v9, vcc
	s_waitcnt vmcnt(2)
	v_mad_i64_i32 v[4:5], s[10:11], v4, s13, v[6:7]
	v_add_co_u32_e32 v4, vcc, v4, v10
	v_addc_co_u32_e32 v5, vcc, 0, v5, vcc
	s_load_dwordx2 s[48:49], s[4:5], 0x94
	s_waitcnt lgkmcnt(0)
	s_barrier
	global_load_dwordx4 v[20:23], v[8:9], off
	global_load_dwordx4 v[28:31], v[8:9], off offset:1024
	global_load_dwordx4 v[32:35], v[4:5], off
	global_load_dwordx4 v[44:47], v[4:5], off offset:1024
	s_waitcnt vmcnt(5)
	v_mad_i64_i32 v[4:5], s[10:11], v3, s13, v[6:7]
	v_add_co_u32_e32 v4, vcc, v4, v10
	v_addc_co_u32_e32 v5, vcc, 0, v5, vcc
	s_waitcnt vmcnt(4)
	v_mad_i64_i32 v[2:3], s[10:11], v2, s13, v[6:7]
	v_add_co_u32_e32 v2, vcc, v2, v10
	v_addc_co_u32_e32 v3, vcc, 0, v3, vcc
	global_load_dwordx4 v[48:51], v[4:5], off
	global_load_dwordx4 v[52:55], v[4:5], off offset:1024
	global_load_dwordx4 v[56:59], v[2:3], off
	global_load_dwordx4 v[60:63], v[2:3], off offset:1024
	v_add_u32_e32 v2, -13, v41
	v_cmp_gt_u32_e32 vcc, 13, v41
	v_cndmask_b32_e32 v2, v2, v41, vcc
	v_lshlrev_b32_e32 v2, 5, v2
	v_lshl_add_u32 v14, v1, 9, v2
	s_load_dwordx2 s[50:51], s[4:5], 0x68
	s_load_dwordx4 s[44:47], s[4:5], 0x58
	ds_read_b128 v[2:5], v14
	ds_read_b128 v[6:9], v14 offset:16
	ds_read_b128 v[10:13], v14 offset:2048
	;; [unrolled: 1-line block ×3, first 2 shown]
	s_mov_b32 s12, 0
	s_waitcnt vmcnt(7)
	buffer_store_dword v23, off, s[0:3], 0 offset:12
	buffer_store_dword v22, off, s[0:3], 0 offset:8
	;; [unrolled: 1-line block ×3, first 2 shown]
	buffer_store_dword v20, off, s[0:3], 0
	s_waitcnt vmcnt(10)
	buffer_store_dword v31, off, s[0:3], 0 offset:28
	buffer_store_dword v30, off, s[0:3], 0 offset:24
	buffer_store_dword v29, off, s[0:3], 0 offset:20
	buffer_store_dword v28, off, s[0:3], 0 offset:16
	s_waitcnt vmcnt(13)
	buffer_store_dword v35, off, s[0:3], 0 offset:44
	buffer_store_dword v34, off, s[0:3], 0 offset:40
	buffer_store_dword v33, off, s[0:3], 0 offset:36
	buffer_store_dword v32, off, s[0:3], 0 offset:32
	;; [unrolled: 5-line block ×7, first 2 shown]
	v_mov_b32_e32 v35, 0
	v_mov_b32_e32 v31, 0
	s_and_saveexec_b64 s[10:11], vcc
	s_cbranch_execz .LBB906_13
; %bb.12:
	s_load_dwordx2 s[16:17], s[4:5], 0x40
	v_add_u32_e32 v20, s27, v41
	v_ashrrev_i32_e32 v21, 31, v20
	v_lshlrev_b64 v[20:21], 2, v[20:21]
	s_waitcnt lgkmcnt(0)
	v_mov_b32_e32 v19, s17
	v_add_co_u32_e32 v20, vcc, s16, v20
	v_addc_co_u32_e32 v21, vcc, v19, v21, vcc
	global_load_dword v31, v[20:21], off
.LBB906_13:
	s_or_b64 exec, exec, s[10:11]
	v_or_b32_e32 v22, s20, v18
	v_ashrrev_i32_e32 v18, 4, v22
	v_mov_b32_e32 v23, s23
	v_cmp_gt_i32_e32 vcc, s33, v22
	v_cndmask_b32_e32 v18, v23, v18, vcc
	v_ashrrev_i32_e32 v19, 31, v18
	v_lshlrev_b64 v[18:19], 2, v[18:19]
	v_mov_b32_e32 v20, s22
	v_add_co_u32_e32 v18, vcc, s21, v18
	v_addc_co_u32_e32 v19, vcc, v20, v19, vcc
	global_load_dword v26, v[18:19], off
	v_or_b32_e32 v18, 64, v22
	v_ashrrev_i32_e32 v19, 4, v18
	v_cmp_gt_i32_e32 vcc, s33, v18
	v_cndmask_b32_e32 v18, v23, v19, vcc
	v_ashrrev_i32_e32 v19, 31, v18
	v_lshlrev_b64 v[18:19], 2, v[18:19]
	v_add_co_u32_e32 v18, vcc, s21, v18
	v_addc_co_u32_e32 v19, vcc, v20, v19, vcc
	v_or_b32_e32 v20, 0x80, v22
	v_ashrrev_i32_e32 v21, 4, v20
	v_cmp_gt_i32_e32 vcc, s33, v20
	v_cndmask_b32_e32 v20, v23, v21, vcc
	v_ashrrev_i32_e32 v21, 31, v20
	v_lshlrev_b64 v[20:21], 2, v[20:21]
	v_mov_b32_e32 v24, s22
	v_add_co_u32_e32 v20, vcc, s21, v20
	v_addc_co_u32_e32 v21, vcc, v24, v21, vcc
	global_load_dword v28, v[18:19], off
	global_load_dword v30, v[20:21], off
	v_or_b32_e32 v18, 0xc0, v22
	v_ashrrev_i32_e32 v19, 4, v18
	v_cmp_gt_i32_e32 vcc, s33, v18
	v_cndmask_b32_e32 v18, v23, v19, vcc
	v_ashrrev_i32_e32 v19, 31, v18
	v_lshlrev_b64 v[18:19], 2, v[18:19]
	v_mov_b32_e32 v20, s22
	v_add_co_u32_e32 v18, vcc, s21, v18
	v_addc_co_u32_e32 v19, vcc, v20, v19, vcc
	global_load_dword v34, v[18:19], off
	s_add_u32 s10, s6, s14
	v_lshl_or_b32 v29, v27, 4, v41
	s_addc_u32 s6, s7, 0
	v_lshlrev_b32_e32 v18, 4, v29
	v_mov_b32_e32 v19, s6
	v_add_co_u32_e32 v22, vcc, s10, v18
	v_addc_co_u32_e32 v23, vcc, 0, v19, vcc
	v_or_b32_e32 v24, 0x400, v18
	v_mov_b32_e32 v25, s6
	v_add_co_u32_e32 v24, vcc, s10, v24
	v_addc_co_u32_e32 v25, vcc, 0, v25, vcc
	v_mov_b32_e32 v36, 0
	s_movk_i32 s14, 0x7f
	s_mov_b32 s15, 0xffffff
	s_mov_b32 s16, 0x5040100
	v_mov_b32_e32 v37, 0x100
	v_bfrev_b32_e32 v38, 60
	s_waitcnt vmcnt(3)
	v_mad_i64_i32 v[18:19], s[6:7], v26, s13, v[22:23]
	global_load_dwordx4 v[18:21], v[18:19], off
	v_mad_i64_i32 v[32:33], s[6:7], v26, s13, v[24:25]
	global_load_dwordx4 v[52:55], v[32:33], off
	s_waitcnt vmcnt(4)
	v_mad_i64_i32 v[32:33], s[6:7], v28, s13, v[22:23]
	global_load_dwordx4 v[56:59], v[32:33], off
	s_waitcnt vmcnt(4)
	;; [unrolled: 3-line block ×3, first 2 shown]
	v_mad_i64_i32 v[22:23], s[6:7], v34, s13, v[22:23]
	global_load_dwordx4 v[64:67], v[22:23], off
	v_mad_i64_i32 v[22:23], s[6:7], v28, s13, v[24:25]
	global_load_dwordx4 v[68:71], v[22:23], off
	;; [unrolled: 2-line block ×4, first 2 shown]
	s_load_dword s6, s[4:5], 0x1c
	s_load_dwordx4 s[40:43], s[4:5], 0x80
	v_mov_b32_e32 v22, 0x80
	v_add_u32_e32 v45, 16, v22
	v_add_u32_e32 v46, 32, v22
	;; [unrolled: 1-line block ×3, first 2 shown]
	s_waitcnt lgkmcnt(0)
	s_load_dword s4, s[40:41], 0x0
	v_add_u32_e32 v51, 64, v22
	v_add_u32_e32 v48, 0x50, v22
	;; [unrolled: 1-line block ×4, first 2 shown]
	v_mov_b32_e32 v22, s6
	s_waitcnt lgkmcnt(0)
	v_mul_f32_e32 v22, s4, v22
	v_and_b32_e32 v33, 63, v0
	s_movk_i32 s13, 0x80
	v_mov_b32_e32 v24, v22
	v_mov_b32_e32 v25, v22
	s_waitcnt vmcnt(7)
	buffer_store_dword v21, off, s[0:3], 0 offset:140
	buffer_store_dword v20, off, s[0:3], 0 offset:136
	buffer_store_dword v19, off, s[0:3], 0 offset:132
	buffer_store_dword v18, off, s[0:3], 0 offset:128
	s_waitcnt vmcnt(10)
	buffer_store_dword v55, off, s[0:3], 0 offset:156
	buffer_store_dword v54, off, s[0:3], 0 offset:152
	buffer_store_dword v53, off, s[0:3], 0 offset:148
	buffer_store_dword v52, off, s[0:3], 0 offset:144
	;; [unrolled: 5-line block ×8, first 2 shown]
	s_branch .LBB906_17
.LBB906_14:                             ;   in Loop: Header=BB906_17 Depth=1
	s_or_b64 exec, exec, s[10:11]
.LBB906_15:                             ;   in Loop: Header=BB906_17 Depth=1
	s_or_b64 exec, exec, s[6:7]
.LBB906_16:                             ;   in Loop: Header=BB906_17 Depth=1
	s_or_b64 exec, exec, s[4:5]
	v_perm_b32 v55, v40, v34, s16
	v_perm_b32 v54, v23, v32, s16
	;; [unrolled: 1-line block ×4, first 2 shown]
	v_add_u32_e32 v26, s12, v37
	v_mfma_f32_16x16x16bf16_1k v[18:21], v[54:55], v[14:15], v[18:21]
	s_add_i32 s12, s12, 16
	v_mov_b32_e32 v23, v22
	s_cmp_eq_u32 s12, 64
	v_add_u32_e32 v36, 32, v36
	v_mfma_f32_16x16x16bf16_1k v[18:21], v[52:53], v[16:17], v[18:21]
	s_nop 7
	s_nop 2
	v_pk_mul_f32 v[18:19], v[24:25], v[18:19]
	v_pk_mul_f32 v[20:21], v[22:23], v[20:21]
	buffer_store_dword v19, v26, s[0:3], 0 offen offset:4
	buffer_store_dword v18, v26, s[0:3], 0 offen
	buffer_store_dword v21, v26, s[0:3], 0 offen offset:12
	buffer_store_dword v20, v26, s[0:3], 0 offen offset:8
	s_cbranch_scc1 .LBB906_207
.LBB906_17:                             ; =>This Inner Loop Header: Depth=1
	buffer_load_dword v20, v36, s[0:3], 0 offen
	buffer_load_dword v18, v36, s[0:3], 0 offen offset:4
	buffer_load_dword v28, v36, s[0:3], 0 offen offset:8
	;; [unrolled: 1-line block ×3, first 2 shown]
	v_mov_b32_e32 v19, 0
	v_mov_b32_e32 v21, 0
	s_waitcnt vmcnt(3)
	v_cmp_ne_u16_sdwa s[6:7], v20, v35 src0_sel:BYTE_0 src1_sel:DWORD
	s_and_saveexec_b64 s[4:5], s[6:7]
	s_cbranch_execz .LBB906_23
; %bb.18:                               ;   in Loop: Header=BB906_17 Depth=1
	v_cmp_ne_u16_sdwa s[10:11], v20, s13 src0_sel:BYTE_0 src1_sel:DWORD
	v_mov_b32_e32 v21, 0xffff8000
	s_and_saveexec_b64 s[6:7], s[10:11]
	s_cbranch_execz .LBB906_22
; %bb.19:                               ;   in Loop: Header=BB906_17 Depth=1
	v_and_b32_e32 v23, 0x7f, v20
	v_cmp_ne_u32_e32 vcc, s14, v23
	v_mov_b32_e32 v21, 0x7f80
	s_and_saveexec_b64 s[10:11], vcc
	s_cbranch_execz .LBB906_21
; %bb.20:                               ;   in Loop: Header=BB906_17 Depth=1
	v_and_b32_e32 v21, 7, v20
	v_ffbh_u32_e32 v32, v21
	v_min_u32_e32 v32, 32, v32
	v_subrev_u32_e32 v34, 28, v32
	v_lshlrev_b64 v[52:53], v34, v[20:21]
	v_lshrrev_b32_e32 v30, 3, v23
	v_sub_u32_e32 v32, 29, v32
	v_and_b32_e32 v34, 7, v52
	v_cmp_gt_u32_e32 vcc, 8, v23
	v_cndmask_b32_e32 v23, v30, v32, vcc
	v_cndmask_b32_e32 v21, v21, v34, vcc
	v_lshlrev_b32_e32 v30, 24, v20
	v_lshlrev_b32_e32 v21, 20, v21
	v_and_b32_e32 v30, 0x80000000, v30
	v_lshl_add_u32 v23, v23, 23, v38
	v_or3_b32 v21, v30, v23, v21
	v_lshrrev_b32_e32 v21, 16, v21
.LBB906_21:                             ;   in Loop: Header=BB906_17 Depth=1
	s_or_b64 exec, exec, s[10:11]
.LBB906_22:                             ;   in Loop: Header=BB906_17 Depth=1
	s_or_b64 exec, exec, s[6:7]
.LBB906_23:                             ;   in Loop: Header=BB906_17 Depth=1
	s_or_b64 exec, exec, s[4:5]
	v_lshrrev_b16_e32 v30, 8, v20
	v_cmp_ne_u16_e32 vcc, 0, v30
	s_and_saveexec_b64 s[4:5], vcc
	s_cbranch_execz .LBB906_29
; %bb.24:                               ;   in Loop: Header=BB906_17 Depth=1
	v_cmp_ne_u16_e32 vcc, s13, v30
	v_mov_b32_e32 v19, 0xffff8000
	s_and_saveexec_b64 s[6:7], vcc
	s_cbranch_execz .LBB906_28
; %bb.25:                               ;   in Loop: Header=BB906_17 Depth=1
	v_and_b32_e32 v23, 0x7f, v30
	v_cmp_ne_u32_e32 vcc, s14, v23
	v_mov_b32_e32 v19, 0x7f80
	s_and_saveexec_b64 s[10:11], vcc
	s_cbranch_execz .LBB906_27
; %bb.26:                               ;   in Loop: Header=BB906_17 Depth=1
	v_and_b32_e32 v19, 7, v30
	v_ffbh_u32_e32 v34, v19
	v_min_u32_e32 v34, 32, v34
	v_subrev_u32_e32 v40, 28, v34
	v_lshlrev_b64 v[52:53], v40, v[30:31]
	v_lshrrev_b32_e32 v32, 3, v23
	v_sub_u32_e32 v30, 29, v34
	v_and_b32_e32 v34, 7, v52
	v_cmp_gt_u32_e32 vcc, 8, v23
	v_cndmask_b32_e32 v23, v32, v30, vcc
	v_cndmask_b32_e32 v19, v19, v34, vcc
	v_lshlrev_b32_e32 v30, 16, v20
	v_lshlrev_b32_e32 v19, 20, v19
	v_and_b32_e32 v30, 0x80000000, v30
	v_lshl_add_u32 v23, v23, 23, v38
	v_or3_b32 v19, v30, v23, v19
	v_lshrrev_b32_e32 v19, 16, v19
.LBB906_27:                             ;   in Loop: Header=BB906_17 Depth=1
	s_or_b64 exec, exec, s[10:11]
.LBB906_28:                             ;   in Loop: Header=BB906_17 Depth=1
	s_or_b64 exec, exec, s[6:7]
.LBB906_29:                             ;   in Loop: Header=BB906_17 Depth=1
	s_or_b64 exec, exec, s[4:5]
	v_lshrrev_b32_e32 v30, 16, v20
	v_cmp_ne_u16_sdwa s[6:7], v30, v35 src0_sel:BYTE_0 src1_sel:DWORD
	v_mov_b32_e32 v32, 0
	v_mov_b32_e32 v23, 0
	s_and_saveexec_b64 s[4:5], s[6:7]
	s_cbranch_execz .LBB906_35
; %bb.30:                               ;   in Loop: Header=BB906_17 Depth=1
	v_cmp_ne_u16_sdwa s[10:11], v30, s13 src0_sel:BYTE_0 src1_sel:DWORD
	v_mov_b32_e32 v23, 0xffff8000
	s_and_saveexec_b64 s[6:7], s[10:11]
	s_cbranch_execz .LBB906_34
; %bb.31:                               ;   in Loop: Header=BB906_17 Depth=1
	v_bfe_u32 v34, v20, 16, 7
	v_cmp_ne_u32_e32 vcc, s14, v34
	v_mov_b32_e32 v23, 0x7f80
	s_and_saveexec_b64 s[10:11], vcc
	s_cbranch_execz .LBB906_33
; %bb.32:                               ;   in Loop: Header=BB906_17 Depth=1
	v_and_b32_e32 v23, 7, v30
	v_ffbh_u32_e32 v42, v23
	v_min_u32_e32 v42, 32, v42
	v_subrev_u32_e32 v44, 28, v42
	v_lshlrev_b64 v[52:53], v44, v[30:31]
	v_lshrrev_b32_e32 v40, 3, v34
	v_sub_u32_e32 v42, 29, v42
	v_and_b32_e32 v44, 7, v52
	v_cmp_gt_u32_e32 vcc, 8, v34
	v_cndmask_b32_e32 v34, v40, v42, vcc
	v_cndmask_b32_e32 v23, v23, v44, vcc
	v_lshlrev_b32_e32 v30, 24, v30
	v_lshlrev_b32_e32 v23, 20, v23
	v_and_b32_e32 v30, 0x80000000, v30
	v_lshl_add_u32 v34, v34, 23, v38
	v_or3_b32 v23, v30, v34, v23
	v_lshrrev_b32_e32 v23, 16, v23
.LBB906_33:                             ;   in Loop: Header=BB906_17 Depth=1
	s_or_b64 exec, exec, s[10:11]
.LBB906_34:                             ;   in Loop: Header=BB906_17 Depth=1
	s_or_b64 exec, exec, s[6:7]
.LBB906_35:                             ;   in Loop: Header=BB906_17 Depth=1
	s_or_b64 exec, exec, s[4:5]
	v_cmp_lt_u32_e32 vcc, s15, v20
	s_and_saveexec_b64 s[4:5], vcc
	s_cbranch_execz .LBB906_41
; %bb.36:                               ;   in Loop: Header=BB906_17 Depth=1
	v_lshrrev_b32_e32 v30, 24, v20
	v_cmp_ne_u32_e32 vcc, s13, v30
	v_mov_b32_e32 v32, 0xffff8000
	s_and_saveexec_b64 s[6:7], vcc
	s_cbranch_execz .LBB906_40
; %bb.37:                               ;   in Loop: Header=BB906_17 Depth=1
	v_bfe_u32 v20, v20, 24, 7
	v_cmp_ne_u32_e32 vcc, s14, v20
	v_mov_b32_e32 v32, 0x7f80
	s_and_saveexec_b64 s[10:11], vcc
	s_cbranch_execz .LBB906_39
; %bb.38:                               ;   in Loop: Header=BB906_17 Depth=1
	v_and_b32_e32 v32, 7, v30
	v_ffbh_u32_e32 v40, v32
	v_min_u32_e32 v40, 32, v40
	v_subrev_u32_e32 v42, 28, v40
	v_lshlrev_b64 v[52:53], v42, v[30:31]
	v_lshrrev_b32_e32 v34, 3, v20
	v_sub_u32_e32 v40, 29, v40
	v_and_b32_e32 v42, 7, v52
	v_cmp_gt_u32_e32 vcc, 8, v20
	v_cndmask_b32_e32 v20, v34, v40, vcc
	v_cndmask_b32_e32 v32, v32, v42, vcc
	v_lshlrev_b32_e32 v30, 24, v30
	v_lshlrev_b32_e32 v32, 20, v32
	v_and_b32_e32 v30, 0x80000000, v30
	v_lshl_add_u32 v20, v20, 23, v38
	v_or3_b32 v20, v30, v20, v32
	v_lshrrev_b32_e32 v32, 16, v20
.LBB906_39:                             ;   in Loop: Header=BB906_17 Depth=1
	s_or_b64 exec, exec, s[10:11]
.LBB906_40:                             ;   in Loop: Header=BB906_17 Depth=1
	s_or_b64 exec, exec, s[6:7]
.LBB906_41:                             ;   in Loop: Header=BB906_17 Depth=1
	s_or_b64 exec, exec, s[4:5]
	s_waitcnt vmcnt(2)
	v_cmp_ne_u16_sdwa s[6:7], v18, v35 src0_sel:BYTE_0 src1_sel:DWORD
	v_mov_b32_e32 v30, 0
	v_mov_b32_e32 v34, 0
	s_and_saveexec_b64 s[4:5], s[6:7]
	s_cbranch_execz .LBB906_47
; %bb.42:                               ;   in Loop: Header=BB906_17 Depth=1
	v_cmp_ne_u16_sdwa s[10:11], v18, s13 src0_sel:BYTE_0 src1_sel:DWORD
	v_mov_b32_e32 v34, 0xffff8000
	s_and_saveexec_b64 s[6:7], s[10:11]
	s_cbranch_execz .LBB906_46
; %bb.43:                               ;   in Loop: Header=BB906_17 Depth=1
	v_and_b32_e32 v20, 0x7f, v18
	v_cmp_ne_u32_e32 vcc, s14, v20
	v_mov_b32_e32 v34, 0x7f80
	s_and_saveexec_b64 s[10:11], vcc
	s_cbranch_execz .LBB906_45
; %bb.44:                               ;   in Loop: Header=BB906_17 Depth=1
	v_and_b32_e32 v34, 7, v18
	v_ffbh_u32_e32 v42, v34
	v_min_u32_e32 v42, 32, v42
	v_subrev_u32_e32 v44, 28, v42
	v_lshlrev_b64 v[52:53], v44, v[18:19]
	v_lshrrev_b32_e32 v40, 3, v20
	v_sub_u32_e32 v42, 29, v42
	v_and_b32_e32 v44, 7, v52
	v_cmp_gt_u32_e32 vcc, 8, v20
	v_cndmask_b32_e32 v20, v40, v42, vcc
	v_cndmask_b32_e32 v34, v34, v44, vcc
	v_lshlrev_b32_e32 v40, 24, v18
	v_lshlrev_b32_e32 v34, 20, v34
	v_and_b32_e32 v40, 0x80000000, v40
	v_lshl_add_u32 v20, v20, 23, v38
	v_or3_b32 v20, v40, v20, v34
	v_lshrrev_b32_e32 v34, 16, v20
.LBB906_45:                             ;   in Loop: Header=BB906_17 Depth=1
	s_or_b64 exec, exec, s[10:11]
.LBB906_46:                             ;   in Loop: Header=BB906_17 Depth=1
	s_or_b64 exec, exec, s[6:7]
.LBB906_47:                             ;   in Loop: Header=BB906_17 Depth=1
	s_or_b64 exec, exec, s[4:5]
	v_lshrrev_b16_e32 v20, 8, v18
	v_cmp_ne_u16_e32 vcc, 0, v20
	s_and_saveexec_b64 s[4:5], vcc
	s_cbranch_execz .LBB906_53
; %bb.48:                               ;   in Loop: Header=BB906_17 Depth=1
	v_cmp_ne_u16_e32 vcc, s13, v20
	v_mov_b32_e32 v30, 0xffff8000
	s_and_saveexec_b64 s[6:7], vcc
	s_cbranch_execz .LBB906_52
; %bb.49:                               ;   in Loop: Header=BB906_17 Depth=1
	v_and_b32_e32 v40, 0x7f, v20
	v_cmp_ne_u32_e32 vcc, s14, v40
	v_mov_b32_e32 v30, 0x7f80
	s_and_saveexec_b64 s[10:11], vcc
	s_cbranch_execz .LBB906_51
; %bb.50:                               ;   in Loop: Header=BB906_17 Depth=1
	v_and_b32_e32 v30, 7, v20
	v_ffbh_u32_e32 v44, v30
	v_min_u32_e32 v44, 32, v44
	v_subrev_u32_e32 v52, 28, v44
	v_lshlrev_b64 v[52:53], v52, v[20:21]
	v_lshrrev_b32_e32 v42, 3, v40
	v_sub_u32_e32 v20, 29, v44
	v_and_b32_e32 v44, 7, v52
	v_cmp_gt_u32_e32 vcc, 8, v40
	v_cndmask_b32_e32 v20, v42, v20, vcc
	v_cndmask_b32_e32 v30, v30, v44, vcc
	v_lshlrev_b32_e32 v40, 16, v18
	v_lshlrev_b32_e32 v30, 20, v30
	v_and_b32_e32 v40, 0x80000000, v40
	v_lshl_add_u32 v20, v20, 23, v38
	v_or3_b32 v20, v40, v20, v30
	v_lshrrev_b32_e32 v30, 16, v20
.LBB906_51:                             ;   in Loop: Header=BB906_17 Depth=1
	s_or_b64 exec, exec, s[10:11]
.LBB906_52:                             ;   in Loop: Header=BB906_17 Depth=1
	s_or_b64 exec, exec, s[6:7]
.LBB906_53:                             ;   in Loop: Header=BB906_17 Depth=1
	s_or_b64 exec, exec, s[4:5]
	v_lshrrev_b32_e32 v20, 16, v18
	v_cmp_ne_u16_sdwa s[6:7], v20, v35 src0_sel:BYTE_0 src1_sel:DWORD
	v_mov_b32_e32 v42, 0
	v_mov_b32_e32 v40, 0
	s_and_saveexec_b64 s[4:5], s[6:7]
	s_cbranch_execz .LBB906_59
; %bb.54:                               ;   in Loop: Header=BB906_17 Depth=1
	v_cmp_ne_u16_sdwa s[10:11], v20, s13 src0_sel:BYTE_0 src1_sel:DWORD
	v_mov_b32_e32 v40, 0xffff8000
	s_and_saveexec_b64 s[6:7], s[10:11]
	s_cbranch_execz .LBB906_58
; %bb.55:                               ;   in Loop: Header=BB906_17 Depth=1
	v_bfe_u32 v44, v18, 16, 7
	v_cmp_ne_u32_e32 vcc, s14, v44
	v_mov_b32_e32 v40, 0x7f80
	s_and_saveexec_b64 s[10:11], vcc
	s_cbranch_execz .LBB906_57
; %bb.56:                               ;   in Loop: Header=BB906_17 Depth=1
	v_and_b32_e32 v40, 7, v20
	v_ffbh_u32_e32 v52, v40
	v_min_u32_e32 v55, 32, v52
	v_subrev_u32_e32 v52, 28, v55
	v_lshlrev_b64 v[52:53], v52, v[20:21]
	v_lshrrev_b32_e32 v54, 3, v44
	v_sub_u32_e32 v53, 29, v55
	v_and_b32_e32 v52, 7, v52
	v_cmp_gt_u32_e32 vcc, 8, v44
	v_cndmask_b32_e32 v44, v54, v53, vcc
	v_cndmask_b32_e32 v40, v40, v52, vcc
	v_lshlrev_b32_e32 v20, 24, v20
	v_lshlrev_b32_e32 v40, 20, v40
	v_and_b32_e32 v20, 0x80000000, v20
	v_lshl_add_u32 v44, v44, 23, v38
	v_or3_b32 v20, v20, v44, v40
	v_lshrrev_b32_e32 v40, 16, v20
.LBB906_57:                             ;   in Loop: Header=BB906_17 Depth=1
	s_or_b64 exec, exec, s[10:11]
.LBB906_58:                             ;   in Loop: Header=BB906_17 Depth=1
	s_or_b64 exec, exec, s[6:7]
.LBB906_59:                             ;   in Loop: Header=BB906_17 Depth=1
	s_or_b64 exec, exec, s[4:5]
	v_cmp_lt_u32_e32 vcc, s15, v18
	s_and_saveexec_b64 s[4:5], vcc
	s_cbranch_execz .LBB906_65
; %bb.60:                               ;   in Loop: Header=BB906_17 Depth=1
	v_lshrrev_b32_e32 v20, 24, v18
	v_cmp_ne_u32_e32 vcc, s13, v20
	v_mov_b32_e32 v42, 0xffff8000
	s_and_saveexec_b64 s[6:7], vcc
	s_cbranch_execz .LBB906_64
; %bb.61:                               ;   in Loop: Header=BB906_17 Depth=1
	v_bfe_u32 v18, v18, 24, 7
	v_cmp_ne_u32_e32 vcc, s14, v18
	v_mov_b32_e32 v42, 0x7f80
	s_and_saveexec_b64 s[10:11], vcc
	s_cbranch_execz .LBB906_63
; %bb.62:                               ;   in Loop: Header=BB906_17 Depth=1
	v_and_b32_e32 v42, 7, v20
	v_ffbh_u32_e32 v52, v42
	v_min_u32_e32 v54, 32, v52
	v_subrev_u32_e32 v52, 28, v54
	v_lshlrev_b64 v[52:53], v52, v[20:21]
	v_lshrrev_b32_e32 v44, 3, v18
	v_sub_u32_e32 v53, 29, v54
	v_and_b32_e32 v52, 7, v52
	v_cmp_gt_u32_e32 vcc, 8, v18
	v_cndmask_b32_e32 v18, v44, v53, vcc
	v_cndmask_b32_e32 v42, v42, v52, vcc
	v_lshlrev_b32_e32 v20, 24, v20
	v_lshlrev_b32_e32 v42, 20, v42
	v_and_b32_e32 v20, 0x80000000, v20
	v_lshl_add_u32 v18, v18, 23, v38
	v_or3_b32 v18, v20, v18, v42
	v_lshrrev_b32_e32 v42, 16, v18
.LBB906_63:                             ;   in Loop: Header=BB906_17 Depth=1
	s_or_b64 exec, exec, s[10:11]
.LBB906_64:                             ;   in Loop: Header=BB906_17 Depth=1
	s_or_b64 exec, exec, s[6:7]
.LBB906_65:                             ;   in Loop: Header=BB906_17 Depth=1
	s_or_b64 exec, exec, s[4:5]
	v_perm_b32 v53, v32, v23, s16
	v_perm_b32 v52, v19, v21, s16
	s_waitcnt vmcnt(1)
	v_cmp_ne_u16_sdwa s[6:7], v28, v35 src0_sel:BYTE_0 src1_sel:DWORD
	v_mov_b32_e32 v23, 0
	v_mov_b32_e32 v32, 0
	v_mfma_f32_16x16x16bf16_1k v[18:21], v[52:53], v[2:3], 0
	v_perm_b32 v53, v42, v40, s16
	v_perm_b32 v52, v30, v34, s16
	s_nop 1
	v_mfma_f32_16x16x16bf16_1k v[18:21], v[52:53], v[4:5], v[18:21]
	s_and_saveexec_b64 s[4:5], s[6:7]
	s_cbranch_execz .LBB906_71
; %bb.66:                               ;   in Loop: Header=BB906_17 Depth=1
	v_cmp_ne_u16_sdwa s[10:11], v28, s13 src0_sel:BYTE_0 src1_sel:DWORD
	v_mov_b32_e32 v32, 0xffff8000
	s_and_saveexec_b64 s[6:7], s[10:11]
	s_cbranch_execz .LBB906_70
; %bb.67:                               ;   in Loop: Header=BB906_17 Depth=1
	v_and_b32_e32 v30, 0x7f, v28
	v_cmp_ne_u32_e32 vcc, s14, v30
	v_mov_b32_e32 v32, 0x7f80
	s_and_saveexec_b64 s[10:11], vcc
	s_cbranch_execz .LBB906_69
; %bb.68:                               ;   in Loop: Header=BB906_17 Depth=1
	v_and_b32_e32 v32, 7, v28
	v_ffbh_u32_e32 v40, v32
	v_min_u32_e32 v40, 32, v40
	v_subrev_u32_e32 v42, 28, v40
	v_lshlrev_b64 v[52:53], v42, v[28:29]
	v_lshrrev_b32_e32 v34, 3, v30
	v_sub_u32_e32 v40, 29, v40
	v_and_b32_e32 v42, 7, v52
	v_cmp_gt_u32_e32 vcc, 8, v30
	v_cndmask_b32_e32 v30, v34, v40, vcc
	v_cndmask_b32_e32 v32, v32, v42, vcc
	v_lshlrev_b32_e32 v34, 24, v28
	v_lshlrev_b32_e32 v32, 20, v32
	v_and_b32_e32 v34, 0x80000000, v34
	v_lshl_add_u32 v30, v30, 23, v38
	v_or3_b32 v30, v34, v30, v32
	v_lshrrev_b32_e32 v32, 16, v30
.LBB906_69:                             ;   in Loop: Header=BB906_17 Depth=1
	s_or_b64 exec, exec, s[10:11]
.LBB906_70:                             ;   in Loop: Header=BB906_17 Depth=1
	s_or_b64 exec, exec, s[6:7]
.LBB906_71:                             ;   in Loop: Header=BB906_17 Depth=1
	s_or_b64 exec, exec, s[4:5]
	v_lshrrev_b16_e32 v30, 8, v28
	v_cmp_ne_u16_e32 vcc, 0, v30
	s_and_saveexec_b64 s[4:5], vcc
	s_cbranch_execz .LBB906_77
; %bb.72:                               ;   in Loop: Header=BB906_17 Depth=1
	v_cmp_ne_u16_e32 vcc, s13, v30
	v_mov_b32_e32 v23, 0xffff8000
	s_and_saveexec_b64 s[6:7], vcc
	s_cbranch_execz .LBB906_76
; %bb.73:                               ;   in Loop: Header=BB906_17 Depth=1
	v_and_b32_e32 v34, 0x7f, v30
	v_cmp_ne_u32_e32 vcc, s14, v34
	v_mov_b32_e32 v23, 0x7f80
	s_and_saveexec_b64 s[10:11], vcc
	s_cbranch_execz .LBB906_75
; %bb.74:                               ;   in Loop: Header=BB906_17 Depth=1
	v_and_b32_e32 v23, 7, v30
	v_ffbh_u32_e32 v42, v23
	v_min_u32_e32 v42, 32, v42
	v_subrev_u32_e32 v44, 28, v42
	v_lshlrev_b64 v[52:53], v44, v[30:31]
	v_lshrrev_b32_e32 v40, 3, v34
	v_sub_u32_e32 v30, 29, v42
	v_and_b32_e32 v42, 7, v52
	v_cmp_gt_u32_e32 vcc, 8, v34
	v_cndmask_b32_e32 v30, v40, v30, vcc
	v_cndmask_b32_e32 v23, v23, v42, vcc
	v_lshlrev_b32_e32 v34, 16, v28
	v_lshlrev_b32_e32 v23, 20, v23
	v_and_b32_e32 v34, 0x80000000, v34
	v_lshl_add_u32 v30, v30, 23, v38
	v_or3_b32 v23, v34, v30, v23
	v_lshrrev_b32_e32 v23, 16, v23
.LBB906_75:                             ;   in Loop: Header=BB906_17 Depth=1
	s_or_b64 exec, exec, s[10:11]
.LBB906_76:                             ;   in Loop: Header=BB906_17 Depth=1
	s_or_b64 exec, exec, s[6:7]
.LBB906_77:                             ;   in Loop: Header=BB906_17 Depth=1
	s_or_b64 exec, exec, s[4:5]
	v_lshrrev_b32_e32 v30, 16, v28
	v_cmp_ne_u16_sdwa s[6:7], v30, v35 src0_sel:BYTE_0 src1_sel:DWORD
	v_mov_b32_e32 v40, 0
	v_mov_b32_e32 v34, 0
	s_and_saveexec_b64 s[4:5], s[6:7]
	s_cbranch_execz .LBB906_83
; %bb.78:                               ;   in Loop: Header=BB906_17 Depth=1
	v_cmp_ne_u16_sdwa s[10:11], v30, s13 src0_sel:BYTE_0 src1_sel:DWORD
	v_mov_b32_e32 v34, 0xffff8000
	s_and_saveexec_b64 s[6:7], s[10:11]
	s_cbranch_execz .LBB906_82
; %bb.79:                               ;   in Loop: Header=BB906_17 Depth=1
	v_bfe_u32 v42, v28, 16, 7
	v_cmp_ne_u32_e32 vcc, s14, v42
	v_mov_b32_e32 v34, 0x7f80
	s_and_saveexec_b64 s[10:11], vcc
	s_cbranch_execz .LBB906_81
; %bb.80:                               ;   in Loop: Header=BB906_17 Depth=1
	v_and_b32_e32 v34, 7, v30
	v_ffbh_u32_e32 v52, v34
	v_min_u32_e32 v54, 32, v52
	v_subrev_u32_e32 v52, 28, v54
	v_lshlrev_b64 v[52:53], v52, v[30:31]
	v_lshrrev_b32_e32 v44, 3, v42
	v_sub_u32_e32 v53, 29, v54
	v_and_b32_e32 v52, 7, v52
	v_cmp_gt_u32_e32 vcc, 8, v42
	v_cndmask_b32_e32 v42, v44, v53, vcc
	v_cndmask_b32_e32 v34, v34, v52, vcc
	v_lshlrev_b32_e32 v30, 24, v30
	v_lshlrev_b32_e32 v34, 20, v34
	v_and_b32_e32 v30, 0x80000000, v30
	v_lshl_add_u32 v42, v42, 23, v38
	v_or3_b32 v30, v30, v42, v34
	v_lshrrev_b32_e32 v34, 16, v30
.LBB906_81:                             ;   in Loop: Header=BB906_17 Depth=1
	s_or_b64 exec, exec, s[10:11]
.LBB906_82:                             ;   in Loop: Header=BB906_17 Depth=1
	s_or_b64 exec, exec, s[6:7]
.LBB906_83:                             ;   in Loop: Header=BB906_17 Depth=1
	s_or_b64 exec, exec, s[4:5]
	v_cmp_lt_u32_e32 vcc, s15, v28
	s_and_saveexec_b64 s[4:5], vcc
	s_cbranch_execz .LBB906_89
; %bb.84:                               ;   in Loop: Header=BB906_17 Depth=1
	v_lshrrev_b32_e32 v30, 24, v28
	v_cmp_ne_u32_e32 vcc, s13, v30
	v_mov_b32_e32 v40, 0xffff8000
	s_and_saveexec_b64 s[6:7], vcc
	s_cbranch_execz .LBB906_88
; %bb.85:                               ;   in Loop: Header=BB906_17 Depth=1
	v_bfe_u32 v28, v28, 24, 7
	v_cmp_ne_u32_e32 vcc, s14, v28
	v_mov_b32_e32 v40, 0x7f80
	s_and_saveexec_b64 s[10:11], vcc
	s_cbranch_execz .LBB906_87
; %bb.86:                               ;   in Loop: Header=BB906_17 Depth=1
	v_and_b32_e32 v40, 7, v30
	v_ffbh_u32_e32 v44, v40
	v_min_u32_e32 v44, 32, v44
	v_subrev_u32_e32 v52, 28, v44
	v_lshlrev_b64 v[52:53], v52, v[30:31]
	v_lshrrev_b32_e32 v42, 3, v28
	v_sub_u32_e32 v44, 29, v44
	v_and_b32_e32 v52, 7, v52
	v_cmp_gt_u32_e32 vcc, 8, v28
	v_cndmask_b32_e32 v28, v42, v44, vcc
	v_cndmask_b32_e32 v40, v40, v52, vcc
	v_lshlrev_b32_e32 v30, 24, v30
	v_lshlrev_b32_e32 v40, 20, v40
	v_and_b32_e32 v30, 0x80000000, v30
	v_lshl_add_u32 v28, v28, 23, v38
	v_or3_b32 v28, v30, v28, v40
	v_lshrrev_b32_e32 v40, 16, v28
.LBB906_87:                             ;   in Loop: Header=BB906_17 Depth=1
	s_or_b64 exec, exec, s[10:11]
.LBB906_88:                             ;   in Loop: Header=BB906_17 Depth=1
	s_or_b64 exec, exec, s[6:7]
.LBB906_89:                             ;   in Loop: Header=BB906_17 Depth=1
	s_or_b64 exec, exec, s[4:5]
	s_waitcnt vmcnt(0)
	v_cmp_ne_u16_sdwa s[6:7], v26, v35 src0_sel:BYTE_0 src1_sel:DWORD
	v_mov_b32_e32 v42, 0
	v_mov_b32_e32 v44, 0
	s_and_saveexec_b64 s[4:5], s[6:7]
	s_cbranch_execz .LBB906_95
; %bb.90:                               ;   in Loop: Header=BB906_17 Depth=1
	v_cmp_ne_u16_sdwa s[10:11], v26, s13 src0_sel:BYTE_0 src1_sel:DWORD
	v_mov_b32_e32 v44, 0xffff8000
	s_and_saveexec_b64 s[6:7], s[10:11]
	s_cbranch_execz .LBB906_94
; %bb.91:                               ;   in Loop: Header=BB906_17 Depth=1
	v_and_b32_e32 v28, 0x7f, v26
	v_cmp_ne_u32_e32 vcc, s14, v28
	v_mov_b32_e32 v44, 0x7f80
	s_and_saveexec_b64 s[10:11], vcc
	s_cbranch_execz .LBB906_93
; %bb.92:                               ;   in Loop: Header=BB906_17 Depth=1
	v_and_b32_e32 v30, 7, v26
	v_ffbh_u32_e32 v52, v30
	v_min_u32_e32 v54, 32, v52
	v_subrev_u32_e32 v52, 28, v54
	v_lshlrev_b64 v[52:53], v52, v[26:27]
	v_lshrrev_b32_e32 v44, 3, v28
	v_sub_u32_e32 v53, 29, v54
	v_and_b32_e32 v52, 7, v52
	v_cmp_gt_u32_e32 vcc, 8, v28
	v_cndmask_b32_e32 v28, v44, v53, vcc
	v_cndmask_b32_e32 v30, v30, v52, vcc
	v_lshlrev_b32_e32 v44, 24, v26
	v_lshlrev_b32_e32 v30, 20, v30
	v_and_b32_e32 v44, 0x80000000, v44
	v_lshl_add_u32 v28, v28, 23, v38
	v_or3_b32 v28, v44, v28, v30
	v_lshrrev_b32_e32 v44, 16, v28
.LBB906_93:                             ;   in Loop: Header=BB906_17 Depth=1
	s_or_b64 exec, exec, s[10:11]
.LBB906_94:                             ;   in Loop: Header=BB906_17 Depth=1
	s_or_b64 exec, exec, s[6:7]
.LBB906_95:                             ;   in Loop: Header=BB906_17 Depth=1
	s_or_b64 exec, exec, s[4:5]
	v_lshrrev_b16_e32 v28, 8, v26
	v_cmp_ne_u16_e32 vcc, 0, v28
	s_and_saveexec_b64 s[4:5], vcc
	s_cbranch_execz .LBB906_101
; %bb.96:                               ;   in Loop: Header=BB906_17 Depth=1
	v_cmp_ne_u16_e32 vcc, s13, v28
	v_mov_b32_e32 v42, 0xffff8000
	s_and_saveexec_b64 s[6:7], vcc
	s_cbranch_execz .LBB906_100
; %bb.97:                               ;   in Loop: Header=BB906_17 Depth=1
	v_and_b32_e32 v30, 0x7f, v28
	v_cmp_ne_u32_e32 vcc, s14, v30
	v_mov_b32_e32 v42, 0x7f80
	s_and_saveexec_b64 s[10:11], vcc
	s_cbranch_execz .LBB906_99
; %bb.98:                               ;   in Loop: Header=BB906_17 Depth=1
	v_and_b32_e32 v42, 7, v28
	v_ffbh_u32_e32 v52, v42
	v_min_u32_e32 v55, 32, v52
	v_subrev_u32_e32 v52, 28, v55
	v_lshlrev_b64 v[52:53], v52, v[28:29]
	v_lshrrev_b32_e32 v54, 3, v30
	v_sub_u32_e32 v28, 29, v55
	v_and_b32_e32 v52, 7, v52
	v_cmp_gt_u32_e32 vcc, 8, v30
	v_cndmask_b32_e32 v28, v54, v28, vcc
	v_cndmask_b32_e32 v30, v42, v52, vcc
	v_lshlrev_b32_e32 v42, 16, v26
	v_lshlrev_b32_e32 v30, 20, v30
	v_and_b32_e32 v42, 0x80000000, v42
	v_lshl_add_u32 v28, v28, 23, v38
	v_or3_b32 v28, v42, v28, v30
	v_lshrrev_b32_e32 v42, 16, v28
.LBB906_99:                             ;   in Loop: Header=BB906_17 Depth=1
	s_or_b64 exec, exec, s[10:11]
.LBB906_100:                            ;   in Loop: Header=BB906_17 Depth=1
	s_or_b64 exec, exec, s[6:7]
.LBB906_101:                            ;   in Loop: Header=BB906_17 Depth=1
	s_or_b64 exec, exec, s[4:5]
	v_lshrrev_b32_e32 v28, 16, v26
	v_cmp_ne_u16_sdwa s[6:7], v28, v35 src0_sel:BYTE_0 src1_sel:DWORD
	v_mov_b32_e32 v53, 0
	v_mov_b32_e32 v52, 0
	s_and_saveexec_b64 s[4:5], s[6:7]
	s_cbranch_execz .LBB906_107
; %bb.102:                              ;   in Loop: Header=BB906_17 Depth=1
	v_cmp_ne_u16_sdwa s[10:11], v28, s13 src0_sel:BYTE_0 src1_sel:DWORD
	v_mov_b32_e32 v52, 0xffff8000
	s_and_saveexec_b64 s[6:7], s[10:11]
	s_cbranch_execz .LBB906_106
; %bb.103:                              ;   in Loop: Header=BB906_17 Depth=1
	v_bfe_u32 v30, v26, 16, 7
	v_cmp_ne_u32_e32 vcc, s14, v30
	v_mov_b32_e32 v52, 0x7f80
	s_and_saveexec_b64 s[10:11], vcc
	s_cbranch_execz .LBB906_105
; %bb.104:                              ;   in Loop: Header=BB906_17 Depth=1
	v_and_b32_e32 v52, 7, v28
	v_ffbh_u32_e32 v54, v52
	v_min_u32_e32 v57, 32, v54
	v_subrev_u32_e32 v54, 28, v57
	v_lshlrev_b64 v[54:55], v54, v[28:29]
	v_lshrrev_b32_e32 v56, 3, v30
	v_sub_u32_e32 v55, 29, v57
	v_and_b32_e32 v54, 7, v54
	v_cmp_gt_u32_e32 vcc, 8, v30
	v_cndmask_b32_e32 v30, v56, v55, vcc
	v_cndmask_b32_e32 v52, v52, v54, vcc
	v_lshlrev_b32_e32 v28, 24, v28
	v_lshlrev_b32_e32 v52, 20, v52
	v_and_b32_e32 v28, 0x80000000, v28
	v_lshl_add_u32 v30, v30, 23, v38
	v_or3_b32 v28, v28, v30, v52
	v_lshrrev_b32_e32 v52, 16, v28
.LBB906_105:                            ;   in Loop: Header=BB906_17 Depth=1
	s_or_b64 exec, exec, s[10:11]
.LBB906_106:                            ;   in Loop: Header=BB906_17 Depth=1
	s_or_b64 exec, exec, s[6:7]
.LBB906_107:                            ;   in Loop: Header=BB906_17 Depth=1
	s_or_b64 exec, exec, s[4:5]
	v_cmp_lt_u32_e32 vcc, s15, v26
	s_and_saveexec_b64 s[4:5], vcc
	s_cbranch_execz .LBB906_113
; %bb.108:                              ;   in Loop: Header=BB906_17 Depth=1
	v_lshrrev_b32_e32 v28, 24, v26
	v_cmp_ne_u32_e32 vcc, s13, v28
	v_mov_b32_e32 v53, 0xffff8000
	s_and_saveexec_b64 s[6:7], vcc
	s_cbranch_execz .LBB906_112
; %bb.109:                              ;   in Loop: Header=BB906_17 Depth=1
	v_bfe_u32 v26, v26, 24, 7
	v_cmp_ne_u32_e32 vcc, s14, v26
	v_mov_b32_e32 v53, 0x7f80
	s_and_saveexec_b64 s[10:11], vcc
	s_cbranch_execz .LBB906_111
; %bb.110:                              ;   in Loop: Header=BB906_17 Depth=1
	v_and_b32_e32 v30, 7, v28
	v_ffbh_u32_e32 v54, v30
	v_min_u32_e32 v56, 32, v54
	v_subrev_u32_e32 v54, 28, v56
	v_lshlrev_b64 v[54:55], v54, v[28:29]
	v_lshrrev_b32_e32 v53, 3, v26
	v_sub_u32_e32 v55, 29, v56
	v_and_b32_e32 v54, 7, v54
	v_cmp_gt_u32_e32 vcc, 8, v26
	v_cndmask_b32_e32 v26, v53, v55, vcc
	v_cndmask_b32_e32 v30, v30, v54, vcc
	v_lshlrev_b32_e32 v28, 24, v28
	v_lshlrev_b32_e32 v30, 20, v30
	v_and_b32_e32 v28, 0x80000000, v28
	v_lshl_add_u32 v26, v26, 23, v38
	v_or3_b32 v26, v28, v26, v30
	v_lshrrev_b32_e32 v53, 16, v26
.LBB906_111:                            ;   in Loop: Header=BB906_17 Depth=1
	s_or_b64 exec, exec, s[10:11]
.LBB906_112:                            ;   in Loop: Header=BB906_17 Depth=1
	s_or_b64 exec, exec, s[6:7]
.LBB906_113:                            ;   in Loop: Header=BB906_17 Depth=1
	s_or_b64 exec, exec, s[4:5]
	v_perm_b32 v54, v23, v32, s16
	buffer_load_dword v32, v36, s[0:3], 0 offen offset:16
	buffer_load_dword v30, v36, s[0:3], 0 offen offset:20
	;; [unrolled: 1-line block ×4, first 2 shown]
	v_perm_b32 v55, v40, v34, s16
	v_perm_b32 v53, v53, v52, s16
	;; [unrolled: 1-line block ×3, first 2 shown]
	v_mfma_f32_16x16x16bf16_1k v[18:21], v[54:55], v[6:7], v[18:21]
	v_mov_b32_e32 v23, 0
	v_mov_b32_e32 v40, 0
	s_waitcnt vmcnt(3)
	v_cmp_ne_u16_sdwa s[6:7], v32, v35 src0_sel:BYTE_0 src1_sel:DWORD
	v_mfma_f32_16x16x16bf16_1k v[18:21], v[52:53], v[8:9], v[18:21]
	s_and_saveexec_b64 s[4:5], s[6:7]
	s_cbranch_execz .LBB906_119
; %bb.114:                              ;   in Loop: Header=BB906_17 Depth=1
	v_cmp_ne_u16_sdwa s[10:11], v32, s13 src0_sel:BYTE_0 src1_sel:DWORD
	v_mov_b32_e32 v40, 0xffff8000
	s_and_saveexec_b64 s[6:7], s[10:11]
	s_cbranch_execz .LBB906_118
; %bb.115:                              ;   in Loop: Header=BB906_17 Depth=1
	v_and_b32_e32 v34, 0x7f, v32
	v_cmp_ne_u32_e32 vcc, s14, v34
	v_mov_b32_e32 v40, 0x7f80
	s_and_saveexec_b64 s[10:11], vcc
	s_cbranch_execz .LBB906_117
; %bb.116:                              ;   in Loop: Header=BB906_17 Depth=1
	v_and_b32_e32 v40, 7, v32
	v_ffbh_u32_e32 v44, v40
	v_min_u32_e32 v44, 32, v44
	v_subrev_u32_e32 v52, 28, v44
	v_lshlrev_b64 v[52:53], v52, v[32:33]
	v_lshrrev_b32_e32 v42, 3, v34
	v_sub_u32_e32 v44, 29, v44
	v_and_b32_e32 v52, 7, v52
	v_cmp_gt_u32_e32 vcc, 8, v34
	v_cndmask_b32_e32 v34, v42, v44, vcc
	v_cndmask_b32_e32 v40, v40, v52, vcc
	v_lshlrev_b32_e32 v42, 24, v32
	v_lshlrev_b32_e32 v40, 20, v40
	v_and_b32_e32 v42, 0x80000000, v42
	v_lshl_add_u32 v34, v34, 23, v38
	v_or3_b32 v34, v42, v34, v40
	v_lshrrev_b32_e32 v40, 16, v34
.LBB906_117:                            ;   in Loop: Header=BB906_17 Depth=1
	s_or_b64 exec, exec, s[10:11]
.LBB906_118:                            ;   in Loop: Header=BB906_17 Depth=1
	s_or_b64 exec, exec, s[6:7]
.LBB906_119:                            ;   in Loop: Header=BB906_17 Depth=1
	s_or_b64 exec, exec, s[4:5]
	v_lshrrev_b16_e32 v34, 8, v32
	v_cmp_ne_u16_e32 vcc, 0, v34
	s_and_saveexec_b64 s[4:5], vcc
	s_cbranch_execz .LBB906_125
; %bb.120:                              ;   in Loop: Header=BB906_17 Depth=1
	v_cmp_ne_u16_e32 vcc, s13, v34
	v_mov_b32_e32 v23, 0xffff8000
	s_and_saveexec_b64 s[6:7], vcc
	s_cbranch_execz .LBB906_124
; %bb.121:                              ;   in Loop: Header=BB906_17 Depth=1
	v_and_b32_e32 v42, 0x7f, v34
	v_cmp_ne_u32_e32 vcc, s14, v42
	v_mov_b32_e32 v23, 0x7f80
	s_and_saveexec_b64 s[10:11], vcc
	s_cbranch_execz .LBB906_123
; %bb.122:                              ;   in Loop: Header=BB906_17 Depth=1
	v_and_b32_e32 v23, 7, v34
	v_ffbh_u32_e32 v52, v23
	v_min_u32_e32 v54, 32, v52
	v_subrev_u32_e32 v52, 28, v54
	v_lshlrev_b64 v[52:53], v52, v[34:35]
	v_lshrrev_b32_e32 v44, 3, v42
	v_sub_u32_e32 v34, 29, v54
	v_and_b32_e32 v52, 7, v52
	v_cmp_gt_u32_e32 vcc, 8, v42
	v_cndmask_b32_e32 v34, v44, v34, vcc
	v_cndmask_b32_e32 v23, v23, v52, vcc
	v_lshlrev_b32_e32 v42, 16, v32
	v_lshlrev_b32_e32 v23, 20, v23
	v_and_b32_e32 v42, 0x80000000, v42
	v_lshl_add_u32 v34, v34, 23, v38
	v_or3_b32 v23, v42, v34, v23
	v_lshrrev_b32_e32 v23, 16, v23
.LBB906_123:                            ;   in Loop: Header=BB906_17 Depth=1
	s_or_b64 exec, exec, s[10:11]
.LBB906_124:                            ;   in Loop: Header=BB906_17 Depth=1
	s_or_b64 exec, exec, s[6:7]
.LBB906_125:                            ;   in Loop: Header=BB906_17 Depth=1
	s_or_b64 exec, exec, s[4:5]
	v_lshrrev_b32_e32 v34, 16, v32
	v_cmp_ne_u16_sdwa s[6:7], v34, v35 src0_sel:BYTE_0 src1_sel:DWORD
	v_mov_b32_e32 v44, 0
	v_mov_b32_e32 v42, 0
	s_and_saveexec_b64 s[4:5], s[6:7]
	s_cbranch_execz .LBB906_131
; %bb.126:                              ;   in Loop: Header=BB906_17 Depth=1
	v_cmp_ne_u16_sdwa s[10:11], v34, s13 src0_sel:BYTE_0 src1_sel:DWORD
	v_mov_b32_e32 v42, 0xffff8000
	s_and_saveexec_b64 s[6:7], s[10:11]
	s_cbranch_execz .LBB906_130
; %bb.127:                              ;   in Loop: Header=BB906_17 Depth=1
	v_bfe_u32 v52, v32, 16, 7
	v_cmp_ne_u32_e32 vcc, s14, v52
	v_mov_b32_e32 v42, 0x7f80
	s_and_saveexec_b64 s[10:11], vcc
	s_cbranch_execz .LBB906_129
; %bb.128:                              ;   in Loop: Header=BB906_17 Depth=1
	v_and_b32_e32 v42, 7, v34
	v_ffbh_u32_e32 v54, v42
	v_min_u32_e32 v56, 32, v54
	v_subrev_u32_e32 v54, 28, v56
	v_lshlrev_b64 v[54:55], v54, v[34:35]
	v_lshrrev_b32_e32 v53, 3, v52
	v_sub_u32_e32 v55, 29, v56
	v_and_b32_e32 v54, 7, v54
	v_cmp_gt_u32_e32 vcc, 8, v52
	v_cndmask_b32_e32 v52, v53, v55, vcc
	v_cndmask_b32_e32 v42, v42, v54, vcc
	v_lshlrev_b32_e32 v34, 24, v34
	v_lshlrev_b32_e32 v42, 20, v42
	v_and_b32_e32 v34, 0x80000000, v34
	v_lshl_add_u32 v52, v52, 23, v38
	v_or3_b32 v34, v34, v52, v42
	v_lshrrev_b32_e32 v42, 16, v34
.LBB906_129:                            ;   in Loop: Header=BB906_17 Depth=1
	s_or_b64 exec, exec, s[10:11]
.LBB906_130:                            ;   in Loop: Header=BB906_17 Depth=1
	s_or_b64 exec, exec, s[6:7]
.LBB906_131:                            ;   in Loop: Header=BB906_17 Depth=1
	s_or_b64 exec, exec, s[4:5]
	v_cmp_lt_u32_e32 vcc, s15, v32
	s_and_saveexec_b64 s[4:5], vcc
	s_cbranch_execz .LBB906_137
; %bb.132:                              ;   in Loop: Header=BB906_17 Depth=1
	v_lshrrev_b32_e32 v34, 24, v32
	v_cmp_ne_u32_e32 vcc, s13, v34
	v_mov_b32_e32 v44, 0xffff8000
	s_and_saveexec_b64 s[6:7], vcc
	s_cbranch_execz .LBB906_136
; %bb.133:                              ;   in Loop: Header=BB906_17 Depth=1
	v_bfe_u32 v32, v32, 24, 7
	v_cmp_ne_u32_e32 vcc, s14, v32
	v_mov_b32_e32 v44, 0x7f80
	s_and_saveexec_b64 s[10:11], vcc
	s_cbranch_execz .LBB906_135
; %bb.134:                              ;   in Loop: Header=BB906_17 Depth=1
	v_and_b32_e32 v44, 7, v34
	v_ffbh_u32_e32 v52, v44
	v_min_u32_e32 v55, 32, v52
	v_subrev_u32_e32 v52, 28, v55
	v_lshlrev_b64 v[52:53], v52, v[34:35]
	v_lshrrev_b32_e32 v54, 3, v32
	v_sub_u32_e32 v53, 29, v55
	v_and_b32_e32 v52, 7, v52
	v_cmp_gt_u32_e32 vcc, 8, v32
	v_cndmask_b32_e32 v32, v54, v53, vcc
	v_cndmask_b32_e32 v44, v44, v52, vcc
	v_lshlrev_b32_e32 v34, 24, v34
	v_lshlrev_b32_e32 v44, 20, v44
	v_and_b32_e32 v34, 0x80000000, v34
	v_lshl_add_u32 v32, v32, 23, v38
	v_or3_b32 v32, v34, v32, v44
	v_lshrrev_b32_e32 v44, 16, v32
.LBB906_135:                            ;   in Loop: Header=BB906_17 Depth=1
	s_or_b64 exec, exec, s[10:11]
.LBB906_136:                            ;   in Loop: Header=BB906_17 Depth=1
	s_or_b64 exec, exec, s[6:7]
.LBB906_137:                            ;   in Loop: Header=BB906_17 Depth=1
	s_or_b64 exec, exec, s[4:5]
	s_waitcnt vmcnt(2)
	v_cmp_ne_u16_sdwa s[6:7], v30, v35 src0_sel:BYTE_0 src1_sel:DWORD
	v_mov_b32_e32 v34, 0
	v_mov_b32_e32 v52, 0
	s_and_saveexec_b64 s[4:5], s[6:7]
	s_cbranch_execz .LBB906_143
; %bb.138:                              ;   in Loop: Header=BB906_17 Depth=1
	v_cmp_ne_u16_sdwa s[10:11], v30, s13 src0_sel:BYTE_0 src1_sel:DWORD
	v_mov_b32_e32 v52, 0xffff8000
	s_and_saveexec_b64 s[6:7], s[10:11]
	s_cbranch_execz .LBB906_142
; %bb.139:                              ;   in Loop: Header=BB906_17 Depth=1
	v_and_b32_e32 v32, 0x7f, v30
	v_cmp_ne_u32_e32 vcc, s14, v32
	v_mov_b32_e32 v52, 0x7f80
	s_and_saveexec_b64 s[10:11], vcc
	s_cbranch_execz .LBB906_141
; %bb.140:                              ;   in Loop: Header=BB906_17 Depth=1
	v_and_b32_e32 v54, 7, v30
	v_ffbh_u32_e32 v52, v54
	v_min_u32_e32 v56, 32, v52
	v_subrev_u32_e32 v52, 28, v56
	v_lshlrev_b64 v[52:53], v52, v[30:31]
	v_lshrrev_b32_e32 v55, 3, v32
	v_sub_u32_e32 v53, 29, v56
	v_and_b32_e32 v52, 7, v52
	v_cmp_gt_u32_e32 vcc, 8, v32
	v_cndmask_b32_e32 v32, v55, v53, vcc
	v_cndmask_b32_e32 v52, v54, v52, vcc
	v_lshlrev_b32_e32 v53, 24, v30
	v_lshlrev_b32_e32 v52, 20, v52
	v_and_b32_e32 v53, 0x80000000, v53
	v_lshl_add_u32 v32, v32, 23, v38
	v_or3_b32 v32, v53, v32, v52
	v_lshrrev_b32_e32 v52, 16, v32
.LBB906_141:                            ;   in Loop: Header=BB906_17 Depth=1
	s_or_b64 exec, exec, s[10:11]
.LBB906_142:                            ;   in Loop: Header=BB906_17 Depth=1
	s_or_b64 exec, exec, s[6:7]
.LBB906_143:                            ;   in Loop: Header=BB906_17 Depth=1
	s_or_b64 exec, exec, s[4:5]
	v_lshrrev_b16_e32 v32, 8, v30
	v_cmp_ne_u16_e32 vcc, 0, v32
	s_and_saveexec_b64 s[4:5], vcc
	s_cbranch_execz .LBB906_149
; %bb.144:                              ;   in Loop: Header=BB906_17 Depth=1
	v_cmp_ne_u16_e32 vcc, s13, v32
	v_mov_b32_e32 v34, 0xffff8000
	s_and_saveexec_b64 s[6:7], vcc
	s_cbranch_execz .LBB906_148
; %bb.145:                              ;   in Loop: Header=BB906_17 Depth=1
	v_and_b32_e32 v53, 0x7f, v32
	v_cmp_ne_u32_e32 vcc, s14, v53
	v_mov_b32_e32 v34, 0x7f80
	s_and_saveexec_b64 s[10:11], vcc
	s_cbranch_execz .LBB906_147
; %bb.146:                              ;   in Loop: Header=BB906_17 Depth=1
	v_and_b32_e32 v34, 7, v32
	v_ffbh_u32_e32 v54, v34
	v_min_u32_e32 v57, 32, v54
	v_subrev_u32_e32 v54, 28, v57
	v_lshlrev_b64 v[54:55], v54, v[32:33]
	v_lshrrev_b32_e32 v56, 3, v53
	v_sub_u32_e32 v32, 29, v57
	v_and_b32_e32 v54, 7, v54
	v_cmp_gt_u32_e32 vcc, 8, v53
	v_cndmask_b32_e32 v32, v56, v32, vcc
	v_cndmask_b32_e32 v34, v34, v54, vcc
	v_lshlrev_b32_e32 v53, 16, v30
	v_lshlrev_b32_e32 v34, 20, v34
	v_and_b32_e32 v53, 0x80000000, v53
	v_lshl_add_u32 v32, v32, 23, v38
	v_or3_b32 v32, v53, v32, v34
	v_lshrrev_b32_e32 v34, 16, v32
.LBB906_147:                            ;   in Loop: Header=BB906_17 Depth=1
	s_or_b64 exec, exec, s[10:11]
.LBB906_148:                            ;   in Loop: Header=BB906_17 Depth=1
	s_or_b64 exec, exec, s[6:7]
.LBB906_149:                            ;   in Loop: Header=BB906_17 Depth=1
	s_or_b64 exec, exec, s[4:5]
	v_lshrrev_b32_e32 v32, 16, v30
	v_cmp_ne_u16_sdwa s[6:7], v32, v35 src0_sel:BYTE_0 src1_sel:DWORD
	v_mov_b32_e32 v54, 0
	v_mov_b32_e32 v53, 0
	s_and_saveexec_b64 s[4:5], s[6:7]
	s_cbranch_execz .LBB906_155
; %bb.150:                              ;   in Loop: Header=BB906_17 Depth=1
	v_cmp_ne_u16_sdwa s[10:11], v32, s13 src0_sel:BYTE_0 src1_sel:DWORD
	v_mov_b32_e32 v53, 0xffff8000
	s_and_saveexec_b64 s[6:7], s[10:11]
	s_cbranch_execz .LBB906_154
; %bb.151:                              ;   in Loop: Header=BB906_17 Depth=1
	v_bfe_u32 v55, v30, 16, 7
	v_cmp_ne_u32_e32 vcc, s14, v55
	v_mov_b32_e32 v53, 0x7f80
	s_and_saveexec_b64 s[10:11], vcc
	s_cbranch_execz .LBB906_153
; %bb.152:                              ;   in Loop: Header=BB906_17 Depth=1
	v_and_b32_e32 v53, 7, v32
	v_ffbh_u32_e32 v56, v53
	v_min_u32_e32 v59, 32, v56
	v_subrev_u32_e32 v56, 28, v59
	v_lshlrev_b64 v[56:57], v56, v[32:33]
	v_lshrrev_b32_e32 v58, 3, v55
	v_sub_u32_e32 v57, 29, v59
	v_and_b32_e32 v56, 7, v56
	v_cmp_gt_u32_e32 vcc, 8, v55
	v_cndmask_b32_e32 v55, v58, v57, vcc
	v_cndmask_b32_e32 v53, v53, v56, vcc
	v_lshlrev_b32_e32 v32, 24, v32
	v_lshlrev_b32_e32 v53, 20, v53
	v_and_b32_e32 v32, 0x80000000, v32
	v_lshl_add_u32 v55, v55, 23, v38
	v_or3_b32 v32, v32, v55, v53
	v_lshrrev_b32_e32 v53, 16, v32
.LBB906_153:                            ;   in Loop: Header=BB906_17 Depth=1
	s_or_b64 exec, exec, s[10:11]
.LBB906_154:                            ;   in Loop: Header=BB906_17 Depth=1
	s_or_b64 exec, exec, s[6:7]
.LBB906_155:                            ;   in Loop: Header=BB906_17 Depth=1
	s_or_b64 exec, exec, s[4:5]
	v_cmp_lt_u32_e32 vcc, s15, v30
	s_and_saveexec_b64 s[4:5], vcc
	s_cbranch_execz .LBB906_161
; %bb.156:                              ;   in Loop: Header=BB906_17 Depth=1
	v_lshrrev_b32_e32 v32, 24, v30
	v_cmp_ne_u32_e32 vcc, s13, v32
	v_mov_b32_e32 v54, 0xffff8000
	s_and_saveexec_b64 s[6:7], vcc
	s_cbranch_execz .LBB906_160
; %bb.157:                              ;   in Loop: Header=BB906_17 Depth=1
	v_bfe_u32 v30, v30, 24, 7
	v_cmp_ne_u32_e32 vcc, s14, v30
	v_mov_b32_e32 v54, 0x7f80
	s_and_saveexec_b64 s[10:11], vcc
	s_cbranch_execz .LBB906_159
; %bb.158:                              ;   in Loop: Header=BB906_17 Depth=1
	v_and_b32_e32 v56, 7, v32
	v_ffbh_u32_e32 v54, v56
	v_min_u32_e32 v58, 32, v54
	v_subrev_u32_e32 v54, 28, v58
	v_lshlrev_b64 v[54:55], v54, v[32:33]
	v_lshrrev_b32_e32 v57, 3, v30
	v_sub_u32_e32 v55, 29, v58
	v_and_b32_e32 v54, 7, v54
	v_cmp_gt_u32_e32 vcc, 8, v30
	v_cndmask_b32_e32 v30, v57, v55, vcc
	v_cndmask_b32_e32 v54, v56, v54, vcc
	v_lshlrev_b32_e32 v32, 24, v32
	v_lshlrev_b32_e32 v54, 20, v54
	v_and_b32_e32 v32, 0x80000000, v32
	v_lshl_add_u32 v30, v30, 23, v38
	v_or3_b32 v30, v32, v30, v54
	v_lshrrev_b32_e32 v54, 16, v30
.LBB906_159:                            ;   in Loop: Header=BB906_17 Depth=1
	s_or_b64 exec, exec, s[10:11]
.LBB906_160:                            ;   in Loop: Header=BB906_17 Depth=1
	s_or_b64 exec, exec, s[6:7]
.LBB906_161:                            ;   in Loop: Header=BB906_17 Depth=1
	s_or_b64 exec, exec, s[4:5]
	v_perm_b32 v57, v44, v42, s16
	v_perm_b32 v56, v23, v40, s16
	;; [unrolled: 1-line block ×4, first 2 shown]
	s_waitcnt vmcnt(1)
	v_cmp_ne_u16_sdwa s[6:7], v28, v35 src0_sel:BYTE_0 src1_sel:DWORD
	v_mfma_f32_16x16x16bf16_1k v[18:21], v[56:57], v[10:11], v[18:21]
	v_mov_b32_e32 v23, 0
	v_mov_b32_e32 v32, 0
	v_mfma_f32_16x16x16bf16_1k v[18:21], v[52:53], v[12:13], v[18:21]
	s_and_saveexec_b64 s[4:5], s[6:7]
	s_cbranch_execz .LBB906_167
; %bb.162:                              ;   in Loop: Header=BB906_17 Depth=1
	v_cmp_ne_u16_sdwa s[10:11], v28, s13 src0_sel:BYTE_0 src1_sel:DWORD
	v_mov_b32_e32 v32, 0xffff8000
	s_and_saveexec_b64 s[6:7], s[10:11]
	s_cbranch_execz .LBB906_166
; %bb.163:                              ;   in Loop: Header=BB906_17 Depth=1
	v_and_b32_e32 v30, 0x7f, v28
	v_cmp_ne_u32_e32 vcc, s14, v30
	v_mov_b32_e32 v32, 0x7f80
	s_and_saveexec_b64 s[10:11], vcc
	s_cbranch_execz .LBB906_165
; %bb.164:                              ;   in Loop: Header=BB906_17 Depth=1
	v_and_b32_e32 v32, 7, v28
	v_ffbh_u32_e32 v40, v32
	v_min_u32_e32 v40, 32, v40
	v_subrev_u32_e32 v42, 28, v40
	v_lshlrev_b64 v[52:53], v42, v[28:29]
	v_lshrrev_b32_e32 v34, 3, v30
	v_sub_u32_e32 v40, 29, v40
	v_and_b32_e32 v42, 7, v52
	v_cmp_gt_u32_e32 vcc, 8, v30
	v_cndmask_b32_e32 v30, v34, v40, vcc
	v_cndmask_b32_e32 v32, v32, v42, vcc
	v_lshlrev_b32_e32 v34, 24, v28
	v_lshlrev_b32_e32 v32, 20, v32
	v_and_b32_e32 v34, 0x80000000, v34
	v_lshl_add_u32 v30, v30, 23, v38
	v_or3_b32 v30, v34, v30, v32
	v_lshrrev_b32_e32 v32, 16, v30
.LBB906_165:                            ;   in Loop: Header=BB906_17 Depth=1
	s_or_b64 exec, exec, s[10:11]
.LBB906_166:                            ;   in Loop: Header=BB906_17 Depth=1
	s_or_b64 exec, exec, s[6:7]
.LBB906_167:                            ;   in Loop: Header=BB906_17 Depth=1
	s_or_b64 exec, exec, s[4:5]
	v_lshrrev_b16_e32 v30, 8, v28
	v_cmp_ne_u16_e32 vcc, 0, v30
	s_and_saveexec_b64 s[4:5], vcc
	s_cbranch_execz .LBB906_173
; %bb.168:                              ;   in Loop: Header=BB906_17 Depth=1
	v_cmp_ne_u16_e32 vcc, s13, v30
	v_mov_b32_e32 v23, 0xffff8000
	s_and_saveexec_b64 s[6:7], vcc
	s_cbranch_execz .LBB906_172
; %bb.169:                              ;   in Loop: Header=BB906_17 Depth=1
	v_and_b32_e32 v34, 0x7f, v30
	v_cmp_ne_u32_e32 vcc, s14, v34
	v_mov_b32_e32 v23, 0x7f80
	s_and_saveexec_b64 s[10:11], vcc
	s_cbranch_execz .LBB906_171
; %bb.170:                              ;   in Loop: Header=BB906_17 Depth=1
	v_and_b32_e32 v23, 7, v30
	v_ffbh_u32_e32 v42, v23
	v_min_u32_e32 v42, 32, v42
	v_subrev_u32_e32 v44, 28, v42
	v_lshlrev_b64 v[52:53], v44, v[30:31]
	v_lshrrev_b32_e32 v40, 3, v34
	v_sub_u32_e32 v30, 29, v42
	v_and_b32_e32 v42, 7, v52
	v_cmp_gt_u32_e32 vcc, 8, v34
	v_cndmask_b32_e32 v30, v40, v30, vcc
	v_cndmask_b32_e32 v23, v23, v42, vcc
	v_lshlrev_b32_e32 v34, 16, v28
	v_lshlrev_b32_e32 v23, 20, v23
	v_and_b32_e32 v34, 0x80000000, v34
	v_lshl_add_u32 v30, v30, 23, v38
	v_or3_b32 v23, v34, v30, v23
	v_lshrrev_b32_e32 v23, 16, v23
.LBB906_171:                            ;   in Loop: Header=BB906_17 Depth=1
	s_or_b64 exec, exec, s[10:11]
.LBB906_172:                            ;   in Loop: Header=BB906_17 Depth=1
	s_or_b64 exec, exec, s[6:7]
.LBB906_173:                            ;   in Loop: Header=BB906_17 Depth=1
	s_or_b64 exec, exec, s[4:5]
	v_lshrrev_b32_e32 v30, 16, v28
	v_cmp_ne_u16_sdwa s[6:7], v30, v35 src0_sel:BYTE_0 src1_sel:DWORD
	v_mov_b32_e32 v40, 0
	v_mov_b32_e32 v34, 0
	s_and_saveexec_b64 s[4:5], s[6:7]
	s_cbranch_execz .LBB906_179
; %bb.174:                              ;   in Loop: Header=BB906_17 Depth=1
	v_cmp_ne_u16_sdwa s[10:11], v30, s13 src0_sel:BYTE_0 src1_sel:DWORD
	v_mov_b32_e32 v34, 0xffff8000
	s_and_saveexec_b64 s[6:7], s[10:11]
	s_cbranch_execz .LBB906_178
; %bb.175:                              ;   in Loop: Header=BB906_17 Depth=1
	v_bfe_u32 v42, v28, 16, 7
	v_cmp_ne_u32_e32 vcc, s14, v42
	v_mov_b32_e32 v34, 0x7f80
	s_and_saveexec_b64 s[10:11], vcc
	s_cbranch_execz .LBB906_177
; %bb.176:                              ;   in Loop: Header=BB906_17 Depth=1
	v_and_b32_e32 v34, 7, v30
	v_ffbh_u32_e32 v52, v34
	v_min_u32_e32 v54, 32, v52
	v_subrev_u32_e32 v52, 28, v54
	v_lshlrev_b64 v[52:53], v52, v[30:31]
	v_lshrrev_b32_e32 v44, 3, v42
	v_sub_u32_e32 v53, 29, v54
	v_and_b32_e32 v52, 7, v52
	v_cmp_gt_u32_e32 vcc, 8, v42
	v_cndmask_b32_e32 v42, v44, v53, vcc
	v_cndmask_b32_e32 v34, v34, v52, vcc
	v_lshlrev_b32_e32 v30, 24, v30
	v_lshlrev_b32_e32 v34, 20, v34
	v_and_b32_e32 v30, 0x80000000, v30
	v_lshl_add_u32 v42, v42, 23, v38
	v_or3_b32 v30, v30, v42, v34
	v_lshrrev_b32_e32 v34, 16, v30
.LBB906_177:                            ;   in Loop: Header=BB906_17 Depth=1
	s_or_b64 exec, exec, s[10:11]
.LBB906_178:                            ;   in Loop: Header=BB906_17 Depth=1
	s_or_b64 exec, exec, s[6:7]
.LBB906_179:                            ;   in Loop: Header=BB906_17 Depth=1
	s_or_b64 exec, exec, s[4:5]
	v_cmp_lt_u32_e32 vcc, s15, v28
	s_and_saveexec_b64 s[4:5], vcc
	s_cbranch_execz .LBB906_185
; %bb.180:                              ;   in Loop: Header=BB906_17 Depth=1
	v_lshrrev_b32_e32 v30, 24, v28
	v_cmp_ne_u32_e32 vcc, s13, v30
	v_mov_b32_e32 v40, 0xffff8000
	s_and_saveexec_b64 s[6:7], vcc
	s_cbranch_execz .LBB906_184
; %bb.181:                              ;   in Loop: Header=BB906_17 Depth=1
	v_bfe_u32 v28, v28, 24, 7
	v_cmp_ne_u32_e32 vcc, s14, v28
	v_mov_b32_e32 v40, 0x7f80
	s_and_saveexec_b64 s[10:11], vcc
	s_cbranch_execz .LBB906_183
; %bb.182:                              ;   in Loop: Header=BB906_17 Depth=1
	v_and_b32_e32 v40, 7, v30
	v_ffbh_u32_e32 v44, v40
	v_min_u32_e32 v44, 32, v44
	v_subrev_u32_e32 v52, 28, v44
	v_lshlrev_b64 v[52:53], v52, v[30:31]
	v_lshrrev_b32_e32 v42, 3, v28
	v_sub_u32_e32 v44, 29, v44
	v_and_b32_e32 v52, 7, v52
	v_cmp_gt_u32_e32 vcc, 8, v28
	v_cndmask_b32_e32 v28, v42, v44, vcc
	v_cndmask_b32_e32 v40, v40, v52, vcc
	v_lshlrev_b32_e32 v30, 24, v30
	v_lshlrev_b32_e32 v40, 20, v40
	v_and_b32_e32 v30, 0x80000000, v30
	v_lshl_add_u32 v28, v28, 23, v38
	v_or3_b32 v28, v30, v28, v40
	v_lshrrev_b32_e32 v40, 16, v28
.LBB906_183:                            ;   in Loop: Header=BB906_17 Depth=1
	s_or_b64 exec, exec, s[10:11]
.LBB906_184:                            ;   in Loop: Header=BB906_17 Depth=1
	s_or_b64 exec, exec, s[6:7]
.LBB906_185:                            ;   in Loop: Header=BB906_17 Depth=1
	s_or_b64 exec, exec, s[4:5]
	s_waitcnt vmcnt(0)
	v_cmp_ne_u16_sdwa s[6:7], v26, v35 src0_sel:BYTE_0 src1_sel:DWORD
	v_mov_b32_e32 v30, 0
	v_mov_b32_e32 v42, 0
	s_and_saveexec_b64 s[4:5], s[6:7]
	s_cbranch_execz .LBB906_191
; %bb.186:                              ;   in Loop: Header=BB906_17 Depth=1
	v_cmp_ne_u16_sdwa s[10:11], v26, s13 src0_sel:BYTE_0 src1_sel:DWORD
	v_mov_b32_e32 v42, 0xffff8000
	s_and_saveexec_b64 s[6:7], s[10:11]
	s_cbranch_execz .LBB906_190
; %bb.187:                              ;   in Loop: Header=BB906_17 Depth=1
	v_and_b32_e32 v28, 0x7f, v26
	v_cmp_ne_u32_e32 vcc, s14, v28
	v_mov_b32_e32 v42, 0x7f80
	s_and_saveexec_b64 s[10:11], vcc
	s_cbranch_execz .LBB906_189
; %bb.188:                              ;   in Loop: Header=BB906_17 Depth=1
	v_and_b32_e32 v42, 7, v26
	v_ffbh_u32_e32 v52, v42
	v_min_u32_e32 v54, 32, v52
	v_subrev_u32_e32 v52, 28, v54
	v_lshlrev_b64 v[52:53], v52, v[26:27]
	v_lshrrev_b32_e32 v44, 3, v28
	v_sub_u32_e32 v53, 29, v54
	v_and_b32_e32 v52, 7, v52
	v_cmp_gt_u32_e32 vcc, 8, v28
	v_cndmask_b32_e32 v28, v44, v53, vcc
	v_cndmask_b32_e32 v42, v42, v52, vcc
	v_lshlrev_b32_e32 v44, 24, v26
	v_lshlrev_b32_e32 v42, 20, v42
	v_and_b32_e32 v44, 0x80000000, v44
	v_lshl_add_u32 v28, v28, 23, v38
	v_or3_b32 v28, v44, v28, v42
	v_lshrrev_b32_e32 v42, 16, v28
.LBB906_189:                            ;   in Loop: Header=BB906_17 Depth=1
	s_or_b64 exec, exec, s[10:11]
.LBB906_190:                            ;   in Loop: Header=BB906_17 Depth=1
	s_or_b64 exec, exec, s[6:7]
.LBB906_191:                            ;   in Loop: Header=BB906_17 Depth=1
	s_or_b64 exec, exec, s[4:5]
	v_lshrrev_b16_e32 v28, 8, v26
	v_cmp_ne_u16_e32 vcc, 0, v28
	s_and_saveexec_b64 s[4:5], vcc
	s_cbranch_execz .LBB906_197
; %bb.192:                              ;   in Loop: Header=BB906_17 Depth=1
	v_cmp_ne_u16_e32 vcc, s13, v28
	v_mov_b32_e32 v30, 0xffff8000
	s_and_saveexec_b64 s[6:7], vcc
	s_cbranch_execz .LBB906_196
; %bb.193:                              ;   in Loop: Header=BB906_17 Depth=1
	v_and_b32_e32 v44, 0x7f, v28
	v_cmp_ne_u32_e32 vcc, s14, v44
	v_mov_b32_e32 v30, 0x7f80
	s_and_saveexec_b64 s[10:11], vcc
	s_cbranch_execz .LBB906_195
; %bb.194:                              ;   in Loop: Header=BB906_17 Depth=1
	v_and_b32_e32 v30, 7, v28
	v_ffbh_u32_e32 v52, v30
	v_min_u32_e32 v55, 32, v52
	v_subrev_u32_e32 v52, 28, v55
	v_lshlrev_b64 v[52:53], v52, v[28:29]
	v_lshrrev_b32_e32 v54, 3, v44
	v_sub_u32_e32 v28, 29, v55
	v_and_b32_e32 v52, 7, v52
	v_cmp_gt_u32_e32 vcc, 8, v44
	v_cndmask_b32_e32 v28, v54, v28, vcc
	v_cndmask_b32_e32 v30, v30, v52, vcc
	v_lshlrev_b32_e32 v44, 16, v26
	v_lshlrev_b32_e32 v30, 20, v30
	v_and_b32_e32 v44, 0x80000000, v44
	v_lshl_add_u32 v28, v28, 23, v38
	v_or3_b32 v28, v44, v28, v30
	v_lshrrev_b32_e32 v30, 16, v28
.LBB906_195:                            ;   in Loop: Header=BB906_17 Depth=1
	s_or_b64 exec, exec, s[10:11]
.LBB906_196:                            ;   in Loop: Header=BB906_17 Depth=1
	s_or_b64 exec, exec, s[6:7]
.LBB906_197:                            ;   in Loop: Header=BB906_17 Depth=1
	s_or_b64 exec, exec, s[4:5]
	v_lshrrev_b32_e32 v28, 16, v26
	v_cmp_ne_u16_sdwa s[6:7], v28, v35 src0_sel:BYTE_0 src1_sel:DWORD
	v_mov_b32_e32 v52, 0
	v_mov_b32_e32 v44, 0
	s_and_saveexec_b64 s[4:5], s[6:7]
	s_cbranch_execz .LBB906_203
; %bb.198:                              ;   in Loop: Header=BB906_17 Depth=1
	v_cmp_ne_u16_sdwa s[10:11], v28, s13 src0_sel:BYTE_0 src1_sel:DWORD
	v_mov_b32_e32 v44, 0xffff8000
	s_and_saveexec_b64 s[6:7], s[10:11]
	s_cbranch_execz .LBB906_202
; %bb.199:                              ;   in Loop: Header=BB906_17 Depth=1
	v_bfe_u32 v53, v26, 16, 7
	v_cmp_ne_u32_e32 vcc, s14, v53
	v_mov_b32_e32 v44, 0x7f80
	s_and_saveexec_b64 s[10:11], vcc
	s_cbranch_execz .LBB906_201
; %bb.200:                              ;   in Loop: Header=BB906_17 Depth=1
	v_and_b32_e32 v44, 7, v28
	v_ffbh_u32_e32 v54, v44
	v_min_u32_e32 v57, 32, v54
	v_subrev_u32_e32 v54, 28, v57
	v_lshlrev_b64 v[54:55], v54, v[28:29]
	v_lshrrev_b32_e32 v56, 3, v53
	v_sub_u32_e32 v55, 29, v57
	v_and_b32_e32 v54, 7, v54
	v_cmp_gt_u32_e32 vcc, 8, v53
	v_cndmask_b32_e32 v53, v56, v55, vcc
	v_cndmask_b32_e32 v44, v44, v54, vcc
	v_lshlrev_b32_e32 v28, 24, v28
	v_lshlrev_b32_e32 v44, 20, v44
	v_and_b32_e32 v28, 0x80000000, v28
	v_lshl_add_u32 v53, v53, 23, v38
	v_or3_b32 v28, v28, v53, v44
	v_lshrrev_b32_e32 v44, 16, v28
.LBB906_201:                            ;   in Loop: Header=BB906_17 Depth=1
	s_or_b64 exec, exec, s[10:11]
.LBB906_202:                            ;   in Loop: Header=BB906_17 Depth=1
	s_or_b64 exec, exec, s[6:7]
.LBB906_203:                            ;   in Loop: Header=BB906_17 Depth=1
	s_or_b64 exec, exec, s[4:5]
	v_cmp_lt_u32_e32 vcc, s15, v26
	s_and_saveexec_b64 s[4:5], vcc
	s_cbranch_execz .LBB906_16
; %bb.204:                              ;   in Loop: Header=BB906_17 Depth=1
	v_lshrrev_b32_e32 v28, 24, v26
	v_cmp_ne_u32_e32 vcc, s13, v28
	v_mov_b32_e32 v52, 0xffff8000
	s_and_saveexec_b64 s[6:7], vcc
	s_cbranch_execz .LBB906_15
; %bb.205:                              ;   in Loop: Header=BB906_17 Depth=1
	v_bfe_u32 v26, v26, 24, 7
	v_cmp_ne_u32_e32 vcc, s14, v26
	v_mov_b32_e32 v52, 0x7f80
	s_and_saveexec_b64 s[10:11], vcc
	s_cbranch_execz .LBB906_14
; %bb.206:                              ;   in Loop: Header=BB906_17 Depth=1
	v_and_b32_e32 v54, 7, v28
	v_ffbh_u32_e32 v52, v54
	v_min_u32_e32 v56, 32, v52
	v_subrev_u32_e32 v52, 28, v56
	v_lshlrev_b64 v[52:53], v52, v[28:29]
	v_lshrrev_b32_e32 v55, 3, v26
	v_sub_u32_e32 v53, 29, v56
	v_and_b32_e32 v52, 7, v52
	v_cmp_gt_u32_e32 vcc, 8, v26
	v_cndmask_b32_e32 v26, v55, v53, vcc
	v_cndmask_b32_e32 v52, v54, v52, vcc
	v_lshlrev_b32_e32 v28, 24, v28
	v_lshlrev_b32_e32 v52, 20, v52
	v_and_b32_e32 v28, 0x80000000, v28
	v_lshl_add_u32 v26, v26, 23, v38
	v_or3_b32 v26, v28, v26, v52
	v_lshrrev_b32_e32 v52, 16, v26
	s_branch .LBB906_14
.LBB906_207:
	buffer_load_dword v17, off, s[0:3], 0 offset:256
	buffer_load_dword v16, off, s[0:3], 0 offset:260
	;; [unrolled: 1-line block ×16, first 2 shown]
	v_and_b32_e32 v18, 0xc0, v0
	v_add_u32_e32 v18, s20, v18
	v_lshl_or_b32 v18, v1, 2, v18
	v_or_b32_e32 v20, 1, v18
	v_subrev_u32_e32 v24, s33, v20
	v_add_u32_e32 v26, 1, v24
	v_cvt_f32_i32_e32 v25, v24
	v_add_u32_e32 v28, 2, v24
	v_add_u32_e32 v30, 3, v24
	;; [unrolled: 1-line block ×14, first 2 shown]
	v_cvt_f32_i32_e32 v26, v26
	v_cvt_f32_i32_e32 v28, v28
	;; [unrolled: 1-line block ×4, first 2 shown]
	v_mov_b32_e32 v19, 0xff7fffff
	v_or_b32_e32 v21, 2, v18
	v_or_b32_e32 v22, 3, v18
	v_cvt_f32_i32_e32 v32, v32
	v_cvt_f32_i32_e32 v34, v34
	v_cmp_gt_i32_e64 s[28:29], s33, v18
	v_cmp_gt_i32_e64 s[30:31], s33, v20
	s_mov_b32 s52, 0xff7fffff
	v_cmp_gt_i32_e64 s[34:35], s33, v21
	v_cmp_gt_i32_e64 s[36:37], s33, v22
	v_or_b32_e32 v23, 16, v18
	v_cvt_f32_i32_e32 v35, v35
	v_cvt_f32_i32_e32 v36, v36
	v_cmp_gt_i32_e64 s[24:25], s33, v23
	v_cvt_f32_i32_e32 v37, v37
	v_cvt_f32_i32_e32 v38, v38
	;; [unrolled: 1-line block ×7, first 2 shown]
	s_waitcnt vmcnt(15)
	v_fmac_f32_e32 v17, v31, v25
	s_waitcnt vmcnt(14)
	v_fmac_f32_e32 v16, v31, v26
	;; [unrolled: 2-line block ×4, first 2 shown]
	v_cndmask_b32_e64 v20, v19, v16, s[30:31]
	v_cndmask_b32_e64 v21, v19, v15, s[34:35]
	;; [unrolled: 1-line block ×3, first 2 shown]
	s_waitcnt vmcnt(11)
	v_fmac_f32_e32 v13, v31, v32
	s_waitcnt vmcnt(10)
	v_fmac_f32_e32 v12, v31, v34
	s_waitcnt vmcnt(9)
	v_fmac_f32_e32 v11, v31, v35
	s_waitcnt vmcnt(8)
	v_fmac_f32_e32 v10, v31, v36
	s_waitcnt vmcnt(7)
	v_fmac_f32_e32 v9, v31, v37
	s_waitcnt vmcnt(6)
	v_fmac_f32_e32 v8, v31, v38
	s_waitcnt vmcnt(5)
	v_fmac_f32_e32 v7, v31, v40
	s_waitcnt vmcnt(4)
	v_fmac_f32_e32 v6, v31, v42
	s_waitcnt vmcnt(0)
	v_fmac_f32_e32 v2, v31, v24
	v_cndmask_b32_e64 v24, v19, v17, s[28:29]
	v_max3_f32 v20, v24, s52, v20
	v_max3_f32 v20, v20, v21, v22
	v_or_b32_e32 v22, 17, v18
	v_cmp_gt_i32_e64 s[38:39], s33, v22
	v_cndmask_b32_e64 v21, v19, v13, s[24:25]
	v_cndmask_b32_e64 v22, v19, v12, s[38:39]
	v_max3_f32 v20, v20, v21, v22
	v_or_b32_e32 v21, 18, v18
	v_or_b32_e32 v22, 19, v18
	v_cmp_gt_i32_e64 s[20:21], s33, v21
	v_cmp_gt_i32_e64 s[22:23], s33, v22
	v_cndmask_b32_e64 v21, v19, v11, s[20:21]
	v_cndmask_b32_e64 v22, v19, v10, s[22:23]
	v_max3_f32 v20, v20, v21, v22
	v_or_b32_e32 v21, 32, v18
	v_or_b32_e32 v22, 33, v18
	v_cmp_gt_i32_e64 s[16:17], s33, v21
	;; [unrolled: 7-line block ×3, first 2 shown]
	v_cmp_gt_i32_e64 s[14:15], s33, v22
	v_cndmask_b32_e64 v21, v19, v7, s[12:13]
	v_cndmask_b32_e64 v22, v19, v6, s[14:15]
	v_max3_f32 v20, v20, v21, v22
	v_or_b32_e32 v21, 48, v18
	v_or_b32_e32 v22, 49, v18
	v_fmac_f32_e32 v5, v31, v44
	v_fmac_f32_e32 v4, v31, v52
	v_cmp_gt_i32_e64 s[6:7], s33, v21
	v_cmp_gt_i32_e64 s[10:11], s33, v22
	v_cndmask_b32_e64 v21, v19, v5, s[6:7]
	v_cndmask_b32_e64 v22, v19, v4, s[10:11]
	v_max3_f32 v20, v20, v21, v22
	v_or_b32_e32 v21, 50, v18
	v_or_b32_e32 v18, 51, v18
	v_fmac_f32_e32 v3, v31, v53
	v_cmp_gt_i32_e32 vcc, s33, v21
	v_cmp_gt_i32_e64 s[4:5], s33, v18
	v_cndmask_b32_e32 v21, v19, v3, vcc
	v_cndmask_b32_e64 v18, v19, v2, s[4:5]
	v_mbcnt_lo_u32_b32 v19, -1, 0
	v_mbcnt_hi_u32_b32 v19, -1, v19
	v_max3_f32 v18, v20, v21, v18
	v_and_b32_e32 v20, 64, v19
	v_add_u32_e32 v20, 64, v20
	v_xor_b32_e32 v21, 32, v19
	v_cmp_lt_i32_e64 s[40:41], v21, v20
	v_cndmask_b32_e64 v21, v19, v21, s[40:41]
	v_lshlrev_b32_e32 v21, 2, v21
	ds_bpermute_b32 v22, v21, v18
	s_waitcnt lgkmcnt(0)
	v_max_f32_e32 v22, v22, v22
	v_max_f32_e32 v18, v18, v22
	v_xor_b32_e32 v22, 16, v19
	v_cmp_lt_i32_e64 s[40:41], v22, v20
	v_cndmask_b32_e64 v19, v19, v22, s[40:41]
	v_lshlrev_b32_e32 v19, 2, v19
	ds_bpermute_b32 v20, v19, v18
	s_waitcnt lgkmcnt(0)
	v_max_f32_e32 v20, v20, v20
	v_max_f32_e32 v18, v18, v20
	v_sub_f32_e32 v17, v17, v18
	v_mul_f32_e32 v17, 0x3fb8aa3b, v17
	v_sub_f32_e32 v16, v16, v18
	v_exp_f32_e32 v17, v17
	v_mul_f32_e32 v16, 0x3fb8aa3b, v16
	v_sub_f32_e32 v15, v15, v18
	v_exp_f32_e32 v16, v16
	;; [unrolled: 3-line block ×4, first 2 shown]
	v_mul_f32_e32 v13, 0x3fb8aa3b, v13
	v_sub_f32_e32 v12, v12, v18
	v_cndmask_b32_e64 v17, 0, v17, s[28:29]
	v_exp_f32_e32 v13, v13
	v_mul_f32_e32 v12, 0x3fb8aa3b, v12
	v_sub_f32_e32 v11, v11, v18
	v_add_f32_e32 v20, 0, v17
	v_cndmask_b32_e64 v16, 0, v16, s[30:31]
	v_exp_f32_e32 v12, v12
	v_mul_f32_e32 v11, 0x3fb8aa3b, v11
	v_sub_f32_e32 v10, v10, v18
	v_add_f32_e32 v20, v20, v16
	;; [unrolled: 5-line block ×4, first 2 shown]
	v_cndmask_b32_e64 v13, 0, v13, s[24:25]
	v_exp_f32_e32 v9, v9
	v_mul_f32_e32 v8, 0x3fb8aa3b, v8
	v_sub_f32_e32 v7, v7, v18
	buffer_store_dword v17, off, s[0:3], 0 offset:256
	buffer_store_dword v16, off, s[0:3], 0 offset:260
	;; [unrolled: 1-line block ×4, first 2 shown]
	v_add_f32_e32 v14, v20, v13
	v_cndmask_b32_e64 v12, 0, v12, s[38:39]
	v_exp_f32_e32 v8, v8
	v_mul_f32_e32 v7, 0x3fb8aa3b, v7
	v_sub_f32_e32 v6, v6, v18
	v_add_f32_e32 v14, v14, v12
	v_cndmask_b32_e64 v11, 0, v11, s[20:21]
	v_exp_f32_e32 v7, v7
	v_mul_f32_e32 v6, 0x3fb8aa3b, v6
	v_sub_f32_e32 v5, v5, v18
	;; [unrolled: 5-line block ×4, first 2 shown]
	buffer_store_dword v13, off, s[0:3], 0 offset:272
	buffer_store_dword v12, off, s[0:3], 0 offset:276
	buffer_store_dword v11, off, s[0:3], 0 offset:280
	buffer_store_dword v10, off, s[0:3], 0 offset:284
	v_add_f32_e32 v10, v14, v9
	v_cndmask_b32_e64 v8, 0, v8, s[18:19]
	v_exp_f32_e32 v4, v4
	v_mul_f32_e32 v3, 0x3fb8aa3b, v3
	v_sub_f32_e32 v2, v2, v18
	v_add_f32_e32 v10, v10, v8
	v_cndmask_b32_e64 v7, 0, v7, s[12:13]
	v_exp_f32_e32 v3, v3
	v_mul_f32_e32 v2, 0x3fb8aa3b, v2
	v_add_f32_e32 v10, v10, v7
	v_cndmask_b32_e64 v6, 0, v6, s[14:15]
	v_exp_f32_e32 v2, v2
	v_add_f32_e32 v10, v10, v6
	v_cndmask_b32_e64 v5, 0, v5, s[6:7]
	buffer_store_dword v9, off, s[0:3], 0 offset:288
	buffer_store_dword v8, off, s[0:3], 0 offset:292
	;; [unrolled: 1-line block ×4, first 2 shown]
	v_add_f32_e32 v6, v10, v5
	v_cndmask_b32_e64 v4, 0, v4, s[10:11]
	v_add_f32_e32 v6, v6, v4
	v_cndmask_b32_e32 v3, 0, v3, vcc
	v_add_f32_e32 v6, v6, v3
	v_cndmask_b32_e64 v2, 0, v2, s[4:5]
	v_add_f32_e32 v6, v6, v2
	ds_bpermute_b32 v7, v21, v6
	buffer_store_dword v5, off, s[0:3], 0 offset:304
	buffer_store_dword v4, off, s[0:3], 0 offset:308
	;; [unrolled: 1-line block ×4, first 2 shown]
	v_cmp_gt_u32_e64 s[4:5], 16, v33
	s_waitcnt lgkmcnt(0)
	s_barrier
	v_add_f32_e32 v2, v6, v7
	ds_bpermute_b32 v3, v19, v2
	s_waitcnt lgkmcnt(0)
	s_and_saveexec_b64 s[6:7], s[4:5]
	s_cbranch_execz .LBB906_209
; %bb.208:
	v_add_f32_e32 v2, v2, v3
	v_lshlrev_b32_e32 v3, 2, v29
	ds_write2st64_b32 v3, v18, v2 offset1:1
.LBB906_209:
	s_or_b64 exec, exec, s[6:7]
	v_lshlrev_b32_e32 v2, 2, v41
	s_waitcnt lgkmcnt(0)
	s_barrier
	ds_read2_b32 v[14:15], v2 offset1:16
	ds_read2_b32 v[16:17], v2 offset0:32 offset1:48
	ds_read2_b32 v[6:7], v2 offset0:64 offset1:80
	;; [unrolled: 1-line block ×3, first 2 shown]
	s_waitcnt lgkmcnt(0)
	s_barrier
	buffer_load_dword v22, off, s[0:3], 0 offset:264
	buffer_load_dword v23, off, s[0:3], 0 offset:268
	;; [unrolled: 1-line block ×16, first 2 shown]
	v_max3_f32 v20, v14, s52, v15
	v_max3_f32 v20, v20, v16, v17
	v_sub_f32_e32 v14, v14, v20
	v_sub_f32_e32 v15, v15, v20
	v_mul_f32_e32 v14, 0x3fb8aa3b, v14
	v_sub_f32_e32 v16, v16, v20
	v_mul_f32_e32 v15, 0x3fb8aa3b, v15
	v_exp_f32_e32 v14, v14
	v_sub_f32_e32 v17, v17, v20
	v_mul_f32_e32 v16, 0x3fb8aa3b, v16
	v_exp_f32_e32 v15, v15
	v_mul_f32_e32 v17, 0x3fb8aa3b, v17
	v_exp_f32_e32 v16, v16
	v_exp_f32_e32 v17, v17
	v_fma_f32 v6, v14, v6, 0
	v_fmac_f32_e32 v6, v15, v7
	v_fmac_f32_e32 v6, v16, v12
	;; [unrolled: 1-line block ×3, first 2 shown]
	v_cmp_eq_u32_e32 vcc, 1, v27
	v_add_f32_e32 v12, 0x358637bd, v6
	v_cndmask_b32_e32 v14, v14, v15, vcc
	v_cmp_eq_u32_e32 vcc, 2, v27
	v_div_scale_f32 v13, s[6:7], v12, v12, 1.0
	v_cndmask_b32_e32 v7, v14, v16, vcc
	v_rcp_f32_e32 v14, v13
	v_cmp_eq_u32_e32 vcc, 3, v27
	v_cndmask_b32_e32 v7, v7, v17, vcc
	v_div_scale_f32 v15, vcc, 1.0, v12, 1.0
	v_fma_f32 v16, -v13, v14, 1.0
	v_fmac_f32_e32 v14, v16, v14
	v_mul_f32_e32 v16, v15, v14
	v_fma_f32 v17, -v13, v16, v15
	v_fmac_f32_e32 v16, v17, v14
	v_fma_f32 v13, -v13, v16, v15
	v_div_fmas_f32 v13, v13, v14, v16
	v_div_fixup_f32 v12, v13, v12, 1.0
	v_mul_f32_e32 v12, v7, v12
	s_movk_i32 s21, 0x7fff
	s_mov_b32 s22, 0x7060302
	s_mul_i32 s20, s49, 13
	v_cmp_gt_u32_e32 vcc, 13, v0
	s_waitcnt vmcnt(14)
	v_pk_mul_f32 v[14:15], v[12:13], v[22:23] op_sel_hi:[0,1]
	v_bfe_u32 v21, v15, 16, 1
	s_waitcnt vmcnt(12)
	v_pk_mul_f32 v[16:17], v[12:13], v[24:25] op_sel_hi:[0,1]
	v_bfe_u32 v7, v17, 16, 1
	v_bfe_u32 v13, v16, 16, 1
	;; [unrolled: 1-line block ×3, first 2 shown]
	v_add3_u32 v13, v16, v13, s21
	v_add3_u32 v7, v17, v7, s21
	buffer_store_dword v16, off, s[0:3], 0 offset:256
	buffer_store_dword v17, off, s[0:3], 0 offset:260
	;; [unrolled: 1-line block ×4, first 2 shown]
	v_add3_u32 v16, v14, v22, s21
	v_add3_u32 v15, v15, v21, s21
	v_perm_b32 v14, v7, v13, s22
	v_lshlrev_b32_e32 v13, 3, v1
	v_perm_b32 v15, v15, v16, s22
	v_lshlrev_b32_e32 v7, 5, v41
	v_lshlrev_b32_e32 v16, 11, v27
	s_waitcnt vmcnt(12)
	v_pk_mul_f32 v[8:9], v[12:13], v[8:9] op_sel_hi:[0,1]
	v_or3_b32 v52, v16, v7, v13
	v_pk_mul_f32 v[10:11], v[12:13], v[10:11] op_sel_hi:[0,1]
	v_bfe_u32 v13, v9, 16, 1
	v_bfe_u32 v16, v8, 16, 1
	buffer_store_dword v8, off, s[0:3], 0 offset:272
	buffer_store_dword v9, off, s[0:3], 0 offset:276
	;; [unrolled: 1-line block ×4, first 2 shown]
	v_add3_u32 v8, v8, v16, s21
	v_add3_u32 v9, v9, v13, s21
	v_perm_b32 v8, v9, v8, s22
	v_bfe_u32 v9, v11, 16, 1
	v_bfe_u32 v13, v10, 16, 1
	v_add3_u32 v10, v10, v13, s21
	v_add3_u32 v9, v11, v9, s21
	v_perm_b32 v9, v9, v10, s22
	s_waitcnt vmcnt(14)
	v_pk_mul_f32 v[10:11], v[12:13], v[18:19] op_sel_hi:[0,1]
	ds_write2st64_b64 v52, v[14:15], v[8:9] offset1:1
	s_waitcnt vmcnt(12)
	v_pk_mul_f32 v[8:9], v[12:13], v[28:29] op_sel_hi:[0,1]
	v_bfe_u32 v13, v11, 16, 1
	v_bfe_u32 v14, v10, 16, 1
	buffer_store_dword v10, off, s[0:3], 0 offset:288
	buffer_store_dword v11, off, s[0:3], 0 offset:292
	;; [unrolled: 1-line block ×4, first 2 shown]
	v_add3_u32 v10, v10, v14, s21
	v_add3_u32 v11, v11, v13, s21
	v_perm_b32 v10, v11, v10, s22
	v_bfe_u32 v11, v9, 16, 1
	v_bfe_u32 v13, v8, 16, 1
	v_add3_u32 v8, v8, v13, s21
	v_add3_u32 v9, v9, v11, s21
	s_waitcnt vmcnt(14)
	v_pk_mul_f32 v[2:3], v[12:13], v[2:3] op_sel_hi:[0,1]
	v_perm_b32 v11, v9, v8, s22
	v_bfe_u32 v8, v3, 16, 1
	v_bfe_u32 v9, v2, 16, 1
	s_waitcnt vmcnt(12)
	v_pk_mul_f32 v[4:5], v[12:13], v[4:5] op_sel_hi:[0,1]
	buffer_store_dword v2, off, s[0:3], 0 offset:304
	buffer_store_dword v3, off, s[0:3], 0 offset:308
	;; [unrolled: 1-line block ×4, first 2 shown]
	v_add3_u32 v2, v2, v9, s21
	v_add3_u32 v3, v3, v8, s21
	v_perm_b32 v2, v3, v2, s22
	v_bfe_u32 v3, v5, 16, 1
	v_bfe_u32 v8, v4, 16, 1
	v_add3_u32 v4, v4, v8, s21
	v_add3_u32 v3, v5, v3, s21
	v_perm_b32 v3, v3, v4, s22
	ds_write2st64_b64 v52, v[10:11], v[2:3] offset0:2 offset1:3
	s_and_saveexec_b64 s[6:7], vcc
	s_cbranch_execz .LBB906_211
; %bb.210:
	v_add_co_u32_e32 v4, vcc, s27, v41
	v_addc_co_u32_e64 v5, s[10:11], 0, 0, vcc
	v_mov_b32_e32 v2, s20
	v_mov_b32_e32 v3, 0
	v_mad_u64_u32 v[4:5], s[10:11], s8, v2, v[4:5]
	v_mov_b32_e32 v2, s26
	s_mul_i32 s9, s9, s20
	v_mad_u64_u32 v[2:3], s[10:11], v4, s48, v[2:3]
	v_add_u32_e32 v5, s9, v5
	v_mov_b32_e32 v4, v3
	v_mad_u64_u32 v[4:5], s[10:11], v5, s48, v[4:5]
	v_mov_b32_e32 v3, v4
	v_lshlrev_b64 v[2:3], 2, v[2:3]
	v_mov_b32_e32 v5, s47
	v_add_co_u32_e32 v4, vcc, s46, v2
	v_addc_co_u32_e32 v5, vcc, v5, v3, vcc
	global_store_dword v[4:5], v20, off
	v_mov_b32_e32 v4, s45
	v_add_co_u32_e32 v2, vcc, s44, v2
	v_addc_co_u32_e32 v3, vcc, v4, v3, vcc
	global_store_dword v[2:3], v6, off
.LBB906_211:
	s_or_b64 exec, exec, s[6:7]
	v_lshl_or_b32 v30, v1, 9, v7
	s_waitcnt lgkmcnt(0)
	s_barrier
	s_load_dword s6, s[42:43], 0x0
	ds_read_b128 v[2:5], v30
	ds_read_b128 v[6:9], v30 offset:16
	ds_read_b128 v[10:13], v30 offset:2048
	;; [unrolled: 1-line block ×7, first 2 shown]
	v_mov_b32_e32 v35, 0x80
	v_mov_b32_e32 v53, 0x140
	s_mov_b64 s[12:13], -1
	s_waitcnt lgkmcnt(0)
	s_mov_b32 s7, s6
	s_mov_b32 s10, s6
	;; [unrolled: 1-line block ×3, first 2 shown]
	s_movk_i32 s9, 0x80
	s_movk_i32 s23, 0x7f
	s_mov_b32 s24, 0xffffff
	s_mov_b32 s25, 0x5040100
	v_mov_b32_e32 v54, 0
	v_bfrev_b32_e32 v55, 60
	s_branch .LBB906_215
.LBB906_212:                            ;   in Loop: Header=BB906_215 Depth=1
	s_or_b64 exec, exec, s[18:19]
.LBB906_213:                            ;   in Loop: Header=BB906_215 Depth=1
	s_or_b64 exec, exec, s[16:17]
.LBB906_214:                            ;   in Loop: Header=BB906_215 Depth=1
	s_or_b64 exec, exec, s[14:15]
	v_perm_b32 v61, v56, v50, s25
	v_perm_b32 v60, v44, v46, s25
	s_xor_b64 s[14:15], s[12:13], -1
	s_mov_b64 s[12:13], 0
	v_mov_b32_e32 v46, v47
	v_mfma_f32_16x16x16bf16_1k v[60:63], v[60:61], v[30:31], v[34:37]
	s_and_b64 vcc, exec, s[14:15]
	s_nop 5
	v_perm_b32 v37, v58, v57, s25
	v_perm_b32 v36, v42, v51, s25
	v_mov_b32_e32 v35, v45
	s_nop 0
	v_mfma_f32_16x16x16bf16_1k v[56:59], v[36:37], v[32:33], v[60:63]
	s_nop 7
	s_nop 2
	v_pk_mul_f32 v[50:51], v[56:57], s[6:7]
	v_pk_mul_f32 v[36:37], v[58:59], s[10:11]
	v_bfe_u32 v34, v51, 16, 1
	v_bfe_u32 v38, v50, 16, 1
	;; [unrolled: 1-line block ×4, first 2 shown]
	v_add3_u32 v38, v50, v38, s21
	v_add3_u32 v34, v51, v34, s21
	v_add3_u32 v36, v36, v42, s21
	v_add3_u32 v37, v37, v40, s21
	v_perm_b32 v34, v34, v38, s22
	v_perm_b32 v36, v37, v36, s22
	buffer_store_dword v34, v53, s[0:3], 0 offen
	buffer_store_dword v36, v53, s[0:3], 0 offen offset:4
	v_mov_b32_e32 v53, 0x148
	v_mov_b32_e32 v51, v48
	v_mov_b32_e32 v50, v49
	s_cbranch_vccnz .LBB906_597
.LBB906_215:                            ; =>This Inner Loop Header: Depth=1
	buffer_load_dword v36, v35, s[0:3], 0 offen
	buffer_load_dword v34, v35, s[0:3], 0 offen offset:4
	buffer_load_dword v40, v35, s[0:3], 0 offen offset:8
	;; [unrolled: 1-line block ×3, first 2 shown]
	v_mov_b32_e32 v35, 0
	s_waitcnt vmcnt(3)
	v_cmp_ne_u16_sdwa s[16:17], v36, v54 src0_sel:BYTE_0 src1_sel:DWORD
	s_and_saveexec_b64 s[14:15], s[16:17]
	s_cbranch_execz .LBB906_221
; %bb.216:                              ;   in Loop: Header=BB906_215 Depth=1
	v_cmp_ne_u16_sdwa s[18:19], v36, s9 src0_sel:BYTE_0 src1_sel:DWORD
	v_mov_b32_e32 v35, 0xffff8000
	s_and_saveexec_b64 s[16:17], s[18:19]
	s_cbranch_execz .LBB906_220
; %bb.217:                              ;   in Loop: Header=BB906_215 Depth=1
	v_and_b32_e32 v37, 0x7f, v36
	v_cmp_ne_u32_e32 vcc, s23, v37
	v_mov_b32_e32 v35, 0x7f80
	s_and_saveexec_b64 s[18:19], vcc
	s_cbranch_execz .LBB906_219
; %bb.218:                              ;   in Loop: Header=BB906_215 Depth=1
	v_and_b32_e32 v35, 7, v36
	v_ffbh_u32_e32 v44, v35
	v_min_u32_e32 v44, 32, v44
	v_subrev_u32_e32 v56, 28, v44
	v_lshlrev_b64 v[56:57], v56, v[36:37]
	v_lshrrev_b32_e32 v42, 3, v37
	v_sub_u32_e32 v44, 29, v44
	v_and_b32_e32 v56, 7, v56
	v_cmp_gt_u32_e32 vcc, 8, v37
	v_cndmask_b32_e32 v37, v42, v44, vcc
	v_cndmask_b32_e32 v35, v35, v56, vcc
	v_lshlrev_b32_e32 v42, 24, v36
	v_lshlrev_b32_e32 v35, 20, v35
	v_and_b32_e32 v42, 0x80000000, v42
	v_lshl_add_u32 v37, v37, 23, v55
	v_or3_b32 v35, v42, v37, v35
	v_lshrrev_b32_e32 v35, 16, v35
.LBB906_219:                            ;   in Loop: Header=BB906_215 Depth=1
	s_or_b64 exec, exec, s[18:19]
.LBB906_220:                            ;   in Loop: Header=BB906_215 Depth=1
	s_or_b64 exec, exec, s[16:17]
.LBB906_221:                            ;   in Loop: Header=BB906_215 Depth=1
	s_or_b64 exec, exec, s[14:15]
	v_lshrrev_b16_e32 v42, 8, v36
	v_cmp_ne_u16_e32 vcc, 0, v42
	v_mov_b32_e32 v56, 0
	v_mov_b32_e32 v37, 0
	s_and_saveexec_b64 s[14:15], vcc
	s_cbranch_execz .LBB906_227
; %bb.222:                              ;   in Loop: Header=BB906_215 Depth=1
	v_cmp_ne_u16_e32 vcc, s9, v42
	v_mov_b32_e32 v37, 0xffff8000
	s_and_saveexec_b64 s[16:17], vcc
	s_cbranch_execz .LBB906_226
; %bb.223:                              ;   in Loop: Header=BB906_215 Depth=1
	v_and_b32_e32 v44, 0x7f, v42
	v_cmp_ne_u32_e32 vcc, s23, v44
	v_mov_b32_e32 v37, 0x7f80
	s_and_saveexec_b64 s[18:19], vcc
	s_cbranch_execz .LBB906_225
; %bb.224:                              ;   in Loop: Header=BB906_215 Depth=1
	v_and_b32_e32 v37, 7, v42
	v_ffbh_u32_e32 v58, v37
	v_min_u32_e32 v60, 32, v58
	v_subrev_u32_e32 v58, 28, v60
	v_lshlrev_b64 v[58:59], v58, v[42:43]
	v_lshrrev_b32_e32 v57, 3, v44
	v_sub_u32_e32 v42, 29, v60
	v_and_b32_e32 v58, 7, v58
	v_cmp_gt_u32_e32 vcc, 8, v44
	v_cndmask_b32_e32 v42, v57, v42, vcc
	v_cndmask_b32_e32 v37, v37, v58, vcc
	v_lshlrev_b32_e32 v44, 16, v36
	v_lshlrev_b32_e32 v37, 20, v37
	v_and_b32_e32 v44, 0x80000000, v44
	v_lshl_add_u32 v42, v42, 23, v55
	v_or3_b32 v37, v44, v42, v37
	v_lshrrev_b32_e32 v37, 16, v37
.LBB906_225:                            ;   in Loop: Header=BB906_215 Depth=1
	s_or_b64 exec, exec, s[18:19]
.LBB906_226:                            ;   in Loop: Header=BB906_215 Depth=1
	s_or_b64 exec, exec, s[16:17]
.LBB906_227:                            ;   in Loop: Header=BB906_215 Depth=1
	s_or_b64 exec, exec, s[14:15]
	v_lshrrev_b32_e32 v42, 16, v36
	v_cmp_ne_u16_sdwa s[16:17], v42, v54 src0_sel:BYTE_0 src1_sel:DWORD
	s_and_saveexec_b64 s[14:15], s[16:17]
	s_cbranch_execz .LBB906_233
; %bb.228:                              ;   in Loop: Header=BB906_215 Depth=1
	v_cmp_ne_u16_sdwa s[18:19], v42, s9 src0_sel:BYTE_0 src1_sel:DWORD
	v_mov_b32_e32 v56, 0xffff8000
	s_and_saveexec_b64 s[16:17], s[18:19]
	s_cbranch_execz .LBB906_232
; %bb.229:                              ;   in Loop: Header=BB906_215 Depth=1
	v_bfe_u32 v44, v36, 16, 7
	v_cmp_ne_u32_e32 vcc, s23, v44
	v_mov_b32_e32 v56, 0x7f80
	s_and_saveexec_b64 s[18:19], vcc
	s_cbranch_execz .LBB906_231
; %bb.230:                              ;   in Loop: Header=BB906_215 Depth=1
	v_and_b32_e32 v58, 7, v42
	v_ffbh_u32_e32 v56, v58
	v_min_u32_e32 v60, 32, v56
	v_subrev_u32_e32 v56, 28, v60
	v_lshlrev_b64 v[56:57], v56, v[42:43]
	v_lshrrev_b32_e32 v59, 3, v44
	v_sub_u32_e32 v57, 29, v60
	v_and_b32_e32 v56, 7, v56
	v_cmp_gt_u32_e32 vcc, 8, v44
	v_cndmask_b32_e32 v44, v59, v57, vcc
	v_cndmask_b32_e32 v56, v58, v56, vcc
	v_lshlrev_b32_e32 v42, 24, v42
	v_lshlrev_b32_e32 v56, 20, v56
	v_and_b32_e32 v42, 0x80000000, v42
	v_lshl_add_u32 v44, v44, 23, v55
	v_or3_b32 v42, v42, v44, v56
	v_lshrrev_b32_e32 v56, 16, v42
.LBB906_231:                            ;   in Loop: Header=BB906_215 Depth=1
	s_or_b64 exec, exec, s[18:19]
.LBB906_232:                            ;   in Loop: Header=BB906_215 Depth=1
	s_or_b64 exec, exec, s[16:17]
.LBB906_233:                            ;   in Loop: Header=BB906_215 Depth=1
	s_or_b64 exec, exec, s[14:15]
	v_cmp_lt_u32_e32 vcc, s24, v36
	v_mov_b32_e32 v57, 0
	v_mov_b32_e32 v58, 0
	s_and_saveexec_b64 s[14:15], vcc
	s_cbranch_execz .LBB906_239
; %bb.234:                              ;   in Loop: Header=BB906_215 Depth=1
	v_lshrrev_b32_e32 v42, 24, v36
	v_cmp_ne_u32_e32 vcc, s9, v42
	v_mov_b32_e32 v58, 0xffff8000
	s_and_saveexec_b64 s[16:17], vcc
	s_cbranch_execz .LBB906_238
; %bb.235:                              ;   in Loop: Header=BB906_215 Depth=1
	v_bfe_u32 v36, v36, 24, 7
	v_cmp_ne_u32_e32 vcc, s23, v36
	v_mov_b32_e32 v58, 0x7f80
	s_and_saveexec_b64 s[18:19], vcc
	s_cbranch_execz .LBB906_237
; %bb.236:                              ;   in Loop: Header=BB906_215 Depth=1
	v_and_b32_e32 v44, 7, v42
	v_ffbh_u32_e32 v58, v44
	v_min_u32_e32 v61, 32, v58
	v_subrev_u32_e32 v58, 28, v61
	v_lshlrev_b64 v[58:59], v58, v[42:43]
	v_lshrrev_b32_e32 v60, 3, v36
	v_sub_u32_e32 v59, 29, v61
	v_and_b32_e32 v58, 7, v58
	v_cmp_gt_u32_e32 vcc, 8, v36
	v_cndmask_b32_e32 v36, v60, v59, vcc
	v_cndmask_b32_e32 v44, v44, v58, vcc
	v_lshlrev_b32_e32 v42, 24, v42
	v_lshlrev_b32_e32 v44, 20, v44
	v_and_b32_e32 v42, 0x80000000, v42
	v_lshl_add_u32 v36, v36, 23, v55
	v_or3_b32 v36, v42, v36, v44
	v_lshrrev_b32_e32 v58, 16, v36
.LBB906_237:                            ;   in Loop: Header=BB906_215 Depth=1
	s_or_b64 exec, exec, s[18:19]
.LBB906_238:                            ;   in Loop: Header=BB906_215 Depth=1
	s_or_b64 exec, exec, s[16:17]
.LBB906_239:                            ;   in Loop: Header=BB906_215 Depth=1
	s_or_b64 exec, exec, s[14:15]
	s_waitcnt vmcnt(2)
	v_cmp_ne_u16_sdwa s[16:17], v34, v54 src0_sel:BYTE_0 src1_sel:DWORD
	s_and_saveexec_b64 s[14:15], s[16:17]
	s_cbranch_execz .LBB906_245
; %bb.240:                              ;   in Loop: Header=BB906_215 Depth=1
	v_cmp_ne_u16_sdwa s[18:19], v34, s9 src0_sel:BYTE_0 src1_sel:DWORD
	v_mov_b32_e32 v57, 0xffff8000
	s_and_saveexec_b64 s[16:17], s[18:19]
	s_cbranch_execz .LBB906_244
; %bb.241:                              ;   in Loop: Header=BB906_215 Depth=1
	v_and_b32_e32 v36, 0x7f, v34
	v_cmp_ne_u32_e32 vcc, s23, v36
	v_mov_b32_e32 v57, 0x7f80
	s_and_saveexec_b64 s[18:19], vcc
	s_cbranch_execz .LBB906_243
; %bb.242:                              ;   in Loop: Header=BB906_215 Depth=1
	v_and_b32_e32 v42, 7, v34
	v_ffbh_u32_e32 v57, v42
	v_min_u32_e32 v57, 32, v57
	v_subrev_u32_e32 v59, 28, v57
	v_lshlrev_b64 v[60:61], v59, v[34:35]
	v_lshrrev_b32_e32 v44, 3, v36
	v_sub_u32_e32 v57, 29, v57
	v_and_b32_e32 v59, 7, v60
	v_cmp_gt_u32_e32 vcc, 8, v36
	v_cndmask_b32_e32 v36, v44, v57, vcc
	v_cndmask_b32_e32 v42, v42, v59, vcc
	v_lshlrev_b32_e32 v44, 24, v34
	v_lshlrev_b32_e32 v42, 20, v42
	v_and_b32_e32 v44, 0x80000000, v44
	v_lshl_add_u32 v36, v36, 23, v55
	v_or3_b32 v36, v44, v36, v42
	v_lshrrev_b32_e32 v57, 16, v36
.LBB906_243:                            ;   in Loop: Header=BB906_215 Depth=1
	s_or_b64 exec, exec, s[18:19]
.LBB906_244:                            ;   in Loop: Header=BB906_215 Depth=1
	s_or_b64 exec, exec, s[16:17]
.LBB906_245:                            ;   in Loop: Header=BB906_215 Depth=1
	s_or_b64 exec, exec, s[14:15]
	v_lshrrev_b16_e32 v36, 8, v34
	v_cmp_ne_u16_e32 vcc, 0, v36
	v_mov_b32_e32 v59, 0
	v_mov_b32_e32 v42, 0
	s_and_saveexec_b64 s[14:15], vcc
	s_cbranch_execz .LBB906_251
; %bb.246:                              ;   in Loop: Header=BB906_215 Depth=1
	v_cmp_ne_u16_e32 vcc, s9, v36
	v_mov_b32_e32 v42, 0xffff8000
	s_and_saveexec_b64 s[16:17], vcc
	s_cbranch_execz .LBB906_250
; %bb.247:                              ;   in Loop: Header=BB906_215 Depth=1
	v_and_b32_e32 v44, 0x7f, v36
	v_cmp_ne_u32_e32 vcc, s23, v44
	v_mov_b32_e32 v42, 0x7f80
	s_and_saveexec_b64 s[18:19], vcc
	s_cbranch_execz .LBB906_249
; %bb.248:                              ;   in Loop: Header=BB906_215 Depth=1
	v_and_b32_e32 v42, 7, v36
	v_ffbh_u32_e32 v60, v42
	v_min_u32_e32 v63, 32, v60
	v_subrev_u32_e32 v60, 28, v63
	v_lshlrev_b64 v[60:61], v60, v[36:37]
	v_lshrrev_b32_e32 v62, 3, v44
	v_sub_u32_e32 v36, 29, v63
	v_and_b32_e32 v60, 7, v60
	v_cmp_gt_u32_e32 vcc, 8, v44
	v_cndmask_b32_e32 v36, v62, v36, vcc
	v_cndmask_b32_e32 v42, v42, v60, vcc
	v_lshlrev_b32_e32 v44, 16, v34
	v_lshlrev_b32_e32 v42, 20, v42
	v_and_b32_e32 v44, 0x80000000, v44
	v_lshl_add_u32 v36, v36, 23, v55
	v_or3_b32 v36, v44, v36, v42
	v_lshrrev_b32_e32 v42, 16, v36
.LBB906_249:                            ;   in Loop: Header=BB906_215 Depth=1
	s_or_b64 exec, exec, s[18:19]
.LBB906_250:                            ;   in Loop: Header=BB906_215 Depth=1
	s_or_b64 exec, exec, s[16:17]
.LBB906_251:                            ;   in Loop: Header=BB906_215 Depth=1
	s_or_b64 exec, exec, s[14:15]
	v_lshrrev_b32_e32 v36, 16, v34
	v_cmp_ne_u16_sdwa s[16:17], v36, v54 src0_sel:BYTE_0 src1_sel:DWORD
	s_and_saveexec_b64 s[14:15], s[16:17]
	s_cbranch_execz .LBB906_257
; %bb.252:                              ;   in Loop: Header=BB906_215 Depth=1
	v_cmp_ne_u16_sdwa s[18:19], v36, s9 src0_sel:BYTE_0 src1_sel:DWORD
	v_mov_b32_e32 v59, 0xffff8000
	s_and_saveexec_b64 s[16:17], s[18:19]
	s_cbranch_execz .LBB906_256
; %bb.253:                              ;   in Loop: Header=BB906_215 Depth=1
	v_bfe_u32 v44, v34, 16, 7
	v_cmp_ne_u32_e32 vcc, s23, v44
	v_mov_b32_e32 v59, 0x7f80
	s_and_saveexec_b64 s[18:19], vcc
	s_cbranch_execz .LBB906_255
; %bb.254:                              ;   in Loop: Header=BB906_215 Depth=1
	v_and_b32_e32 v59, 7, v36
	v_ffbh_u32_e32 v60, v59
	v_min_u32_e32 v63, 32, v60
	v_subrev_u32_e32 v60, 28, v63
	v_lshlrev_b64 v[60:61], v60, v[36:37]
	v_lshrrev_b32_e32 v62, 3, v44
	v_sub_u32_e32 v61, 29, v63
	v_and_b32_e32 v60, 7, v60
	v_cmp_gt_u32_e32 vcc, 8, v44
	v_cndmask_b32_e32 v44, v62, v61, vcc
	v_cndmask_b32_e32 v59, v59, v60, vcc
	v_lshlrev_b32_e32 v36, 24, v36
	v_lshlrev_b32_e32 v59, 20, v59
	v_and_b32_e32 v36, 0x80000000, v36
	v_lshl_add_u32 v44, v44, 23, v55
	v_or3_b32 v36, v36, v44, v59
	v_lshrrev_b32_e32 v59, 16, v36
.LBB906_255:                            ;   in Loop: Header=BB906_215 Depth=1
	s_or_b64 exec, exec, s[18:19]
.LBB906_256:                            ;   in Loop: Header=BB906_215 Depth=1
	s_or_b64 exec, exec, s[16:17]
.LBB906_257:                            ;   in Loop: Header=BB906_215 Depth=1
	s_or_b64 exec, exec, s[14:15]
	v_cmp_lt_u32_e32 vcc, s24, v34
	v_mov_b32_e32 v44, 0
	v_mov_b32_e32 v60, 0
	s_and_saveexec_b64 s[14:15], vcc
	s_cbranch_execz .LBB906_263
; %bb.258:                              ;   in Loop: Header=BB906_215 Depth=1
	v_lshrrev_b32_e32 v36, 24, v34
	v_cmp_ne_u32_e32 vcc, s9, v36
	v_mov_b32_e32 v60, 0xffff8000
	s_and_saveexec_b64 s[16:17], vcc
	s_cbranch_execz .LBB906_262
; %bb.259:                              ;   in Loop: Header=BB906_215 Depth=1
	v_bfe_u32 v34, v34, 24, 7
	v_cmp_ne_u32_e32 vcc, s23, v34
	v_mov_b32_e32 v60, 0x7f80
	s_and_saveexec_b64 s[18:19], vcc
	s_cbranch_execz .LBB906_261
; %bb.260:                              ;   in Loop: Header=BB906_215 Depth=1
	v_and_b32_e32 v62, 7, v36
	v_ffbh_u32_e32 v60, v62
	v_min_u32_e32 v64, 32, v60
	v_subrev_u32_e32 v60, 28, v64
	v_lshlrev_b64 v[60:61], v60, v[36:37]
	v_lshrrev_b32_e32 v63, 3, v34
	v_sub_u32_e32 v61, 29, v64
	v_and_b32_e32 v60, 7, v60
	v_cmp_gt_u32_e32 vcc, 8, v34
	v_cndmask_b32_e32 v34, v63, v61, vcc
	v_cndmask_b32_e32 v60, v62, v60, vcc
	v_lshlrev_b32_e32 v36, 24, v36
	v_lshlrev_b32_e32 v60, 20, v60
	v_and_b32_e32 v36, 0x80000000, v36
	v_lshl_add_u32 v34, v34, 23, v55
	v_or3_b32 v34, v36, v34, v60
	v_lshrrev_b32_e32 v60, 16, v34
.LBB906_261:                            ;   in Loop: Header=BB906_215 Depth=1
	s_or_b64 exec, exec, s[18:19]
.LBB906_262:                            ;   in Loop: Header=BB906_215 Depth=1
	s_or_b64 exec, exec, s[16:17]
.LBB906_263:                            ;   in Loop: Header=BB906_215 Depth=1
	s_or_b64 exec, exec, s[14:15]
	v_perm_b32 v63, v58, v56, s25
	v_perm_b32 v62, v37, v35, s25
	v_perm_b32 v59, v60, v59, s25
	v_perm_b32 v58, v42, v57, s25
	s_waitcnt vmcnt(1)
	v_cmp_ne_u16_sdwa s[16:17], v40, v54 src0_sel:BYTE_0 src1_sel:DWORD
	v_mfma_f32_16x16x16bf16_1k v[34:37], v[62:63], v[2:3], 0
	v_mfma_f32_16x16x16bf16_1k v[34:37], v[58:59], v[4:5], v[34:37]
	s_and_saveexec_b64 s[14:15], s[16:17]
	s_cbranch_execz .LBB906_269
; %bb.264:                              ;   in Loop: Header=BB906_215 Depth=1
	v_cmp_ne_u16_sdwa s[18:19], v40, s9 src0_sel:BYTE_0 src1_sel:DWORD
	v_mov_b32_e32 v44, 0xffff8000
	s_and_saveexec_b64 s[16:17], s[18:19]
	s_cbranch_execz .LBB906_268
; %bb.265:                              ;   in Loop: Header=BB906_215 Depth=1
	v_and_b32_e32 v42, 0x7f, v40
	v_cmp_ne_u32_e32 vcc, s23, v42
	v_mov_b32_e32 v44, 0x7f80
	s_and_saveexec_b64 s[18:19], vcc
	s_cbranch_execz .LBB906_267
; %bb.266:                              ;   in Loop: Header=BB906_215 Depth=1
	v_and_b32_e32 v44, 7, v40
	v_ffbh_u32_e32 v56, v44
	v_min_u32_e32 v59, 32, v56
	v_subrev_u32_e32 v56, 28, v59
	v_lshlrev_b64 v[56:57], v56, v[40:41]
	v_lshrrev_b32_e32 v58, 3, v42
	v_sub_u32_e32 v57, 29, v59
	v_and_b32_e32 v56, 7, v56
	v_cmp_gt_u32_e32 vcc, 8, v42
	v_cndmask_b32_e32 v42, v58, v57, vcc
	v_cndmask_b32_e32 v44, v44, v56, vcc
	v_lshlrev_b32_e32 v56, 24, v40
	v_lshlrev_b32_e32 v44, 20, v44
	v_and_b32_e32 v56, 0x80000000, v56
	v_lshl_add_u32 v42, v42, 23, v55
	v_or3_b32 v42, v56, v42, v44
	v_lshrrev_b32_e32 v44, 16, v42
.LBB906_267:                            ;   in Loop: Header=BB906_215 Depth=1
	s_or_b64 exec, exec, s[18:19]
.LBB906_268:                            ;   in Loop: Header=BB906_215 Depth=1
	s_or_b64 exec, exec, s[16:17]
.LBB906_269:                            ;   in Loop: Header=BB906_215 Depth=1
	s_or_b64 exec, exec, s[14:15]
	v_lshrrev_b16_e32 v42, 8, v40
	v_cmp_ne_u16_e32 vcc, 0, v42
	v_mov_b32_e32 v58, 0
	v_mov_b32_e32 v57, 0
	s_and_saveexec_b64 s[14:15], vcc
	s_cbranch_execz .LBB906_275
; %bb.270:                              ;   in Loop: Header=BB906_215 Depth=1
	v_cmp_ne_u16_e32 vcc, s9, v42
	v_mov_b32_e32 v57, 0xffff8000
	s_and_saveexec_b64 s[16:17], vcc
	s_cbranch_execz .LBB906_274
; %bb.271:                              ;   in Loop: Header=BB906_215 Depth=1
	v_and_b32_e32 v56, 0x7f, v42
	v_cmp_ne_u32_e32 vcc, s23, v56
	v_mov_b32_e32 v57, 0x7f80
	s_and_saveexec_b64 s[18:19], vcc
	s_cbranch_execz .LBB906_273
; %bb.272:                              ;   in Loop: Header=BB906_215 Depth=1
	v_and_b32_e32 v57, 7, v42
	v_ffbh_u32_e32 v60, v57
	v_min_u32_e32 v62, 32, v60
	v_subrev_u32_e32 v60, 28, v62
	v_lshlrev_b64 v[60:61], v60, v[42:43]
	v_lshrrev_b32_e32 v59, 3, v56
	v_sub_u32_e32 v42, 29, v62
	v_and_b32_e32 v60, 7, v60
	v_cmp_gt_u32_e32 vcc, 8, v56
	v_cndmask_b32_e32 v42, v59, v42, vcc
	v_cndmask_b32_e32 v56, v57, v60, vcc
	v_lshlrev_b32_e32 v57, 16, v40
	v_lshlrev_b32_e32 v56, 20, v56
	v_and_b32_e32 v57, 0x80000000, v57
	v_lshl_add_u32 v42, v42, 23, v55
	v_or3_b32 v42, v57, v42, v56
	v_lshrrev_b32_e32 v57, 16, v42
.LBB906_273:                            ;   in Loop: Header=BB906_215 Depth=1
	s_or_b64 exec, exec, s[18:19]
.LBB906_274:                            ;   in Loop: Header=BB906_215 Depth=1
	s_or_b64 exec, exec, s[16:17]
.LBB906_275:                            ;   in Loop: Header=BB906_215 Depth=1
	s_or_b64 exec, exec, s[14:15]
	v_lshrrev_b32_e32 v42, 16, v40
	v_cmp_ne_u16_sdwa s[16:17], v42, v54 src0_sel:BYTE_0 src1_sel:DWORD
	s_and_saveexec_b64 s[14:15], s[16:17]
	s_cbranch_execz .LBB906_281
; %bb.276:                              ;   in Loop: Header=BB906_215 Depth=1
	v_cmp_ne_u16_sdwa s[18:19], v42, s9 src0_sel:BYTE_0 src1_sel:DWORD
	v_mov_b32_e32 v58, 0xffff8000
	s_and_saveexec_b64 s[16:17], s[18:19]
	s_cbranch_execz .LBB906_280
; %bb.277:                              ;   in Loop: Header=BB906_215 Depth=1
	v_bfe_u32 v56, v40, 16, 7
	v_cmp_ne_u32_e32 vcc, s23, v56
	v_mov_b32_e32 v58, 0x7f80
	s_and_saveexec_b64 s[18:19], vcc
	s_cbranch_execz .LBB906_279
; %bb.278:                              ;   in Loop: Header=BB906_215 Depth=1
	v_and_b32_e32 v60, 7, v42
	v_ffbh_u32_e32 v58, v60
	v_min_u32_e32 v62, 32, v58
	v_subrev_u32_e32 v58, 28, v62
	v_lshlrev_b64 v[58:59], v58, v[42:43]
	v_lshrrev_b32_e32 v61, 3, v56
	v_sub_u32_e32 v59, 29, v62
	v_and_b32_e32 v58, 7, v58
	v_cmp_gt_u32_e32 vcc, 8, v56
	v_cndmask_b32_e32 v56, v61, v59, vcc
	v_cndmask_b32_e32 v58, v60, v58, vcc
	v_lshlrev_b32_e32 v42, 24, v42
	v_lshlrev_b32_e32 v58, 20, v58
	v_and_b32_e32 v42, 0x80000000, v42
	v_lshl_add_u32 v56, v56, 23, v55
	v_or3_b32 v42, v42, v56, v58
	v_lshrrev_b32_e32 v58, 16, v42
.LBB906_279:                            ;   in Loop: Header=BB906_215 Depth=1
	s_or_b64 exec, exec, s[18:19]
.LBB906_280:                            ;   in Loop: Header=BB906_215 Depth=1
	s_or_b64 exec, exec, s[16:17]
.LBB906_281:                            ;   in Loop: Header=BB906_215 Depth=1
	s_or_b64 exec, exec, s[14:15]
	v_cmp_lt_u32_e32 vcc, s24, v40
	v_mov_b32_e32 v59, 0
	v_mov_b32_e32 v60, 0
	s_and_saveexec_b64 s[14:15], vcc
	s_cbranch_execz .LBB906_287
; %bb.282:                              ;   in Loop: Header=BB906_215 Depth=1
	v_lshrrev_b32_e32 v42, 24, v40
	v_cmp_ne_u32_e32 vcc, s9, v42
	v_mov_b32_e32 v60, 0xffff8000
	s_and_saveexec_b64 s[16:17], vcc
	s_cbranch_execz .LBB906_286
; %bb.283:                              ;   in Loop: Header=BB906_215 Depth=1
	v_bfe_u32 v40, v40, 24, 7
	v_cmp_ne_u32_e32 vcc, s23, v40
	v_mov_b32_e32 v60, 0x7f80
	s_and_saveexec_b64 s[18:19], vcc
	s_cbranch_execz .LBB906_285
; %bb.284:                              ;   in Loop: Header=BB906_215 Depth=1
	v_and_b32_e32 v56, 7, v42
	v_ffbh_u32_e32 v60, v56
	v_min_u32_e32 v63, 32, v60
	v_subrev_u32_e32 v60, 28, v63
	v_lshlrev_b64 v[60:61], v60, v[42:43]
	v_lshrrev_b32_e32 v62, 3, v40
	v_sub_u32_e32 v61, 29, v63
	v_and_b32_e32 v60, 7, v60
	v_cmp_gt_u32_e32 vcc, 8, v40
	v_cndmask_b32_e32 v40, v62, v61, vcc
	v_cndmask_b32_e32 v56, v56, v60, vcc
	v_lshlrev_b32_e32 v42, 24, v42
	v_lshlrev_b32_e32 v56, 20, v56
	v_and_b32_e32 v42, 0x80000000, v42
	v_lshl_add_u32 v40, v40, 23, v55
	v_or3_b32 v40, v42, v40, v56
	v_lshrrev_b32_e32 v60, 16, v40
.LBB906_285:                            ;   in Loop: Header=BB906_215 Depth=1
	s_or_b64 exec, exec, s[18:19]
.LBB906_286:                            ;   in Loop: Header=BB906_215 Depth=1
	s_or_b64 exec, exec, s[16:17]
.LBB906_287:                            ;   in Loop: Header=BB906_215 Depth=1
	s_or_b64 exec, exec, s[14:15]
	s_waitcnt vmcnt(0)
	v_cmp_ne_u16_sdwa s[16:17], v38, v54 src0_sel:BYTE_0 src1_sel:DWORD
	s_and_saveexec_b64 s[14:15], s[16:17]
	s_cbranch_execz .LBB906_293
; %bb.288:                              ;   in Loop: Header=BB906_215 Depth=1
	v_cmp_ne_u16_sdwa s[18:19], v38, s9 src0_sel:BYTE_0 src1_sel:DWORD
	v_mov_b32_e32 v59, 0xffff8000
	s_and_saveexec_b64 s[16:17], s[18:19]
	s_cbranch_execz .LBB906_292
; %bb.289:                              ;   in Loop: Header=BB906_215 Depth=1
	v_and_b32_e32 v40, 0x7f, v38
	v_cmp_ne_u32_e32 vcc, s23, v40
	v_mov_b32_e32 v59, 0x7f80
	s_and_saveexec_b64 s[18:19], vcc
	s_cbranch_execz .LBB906_291
; %bb.290:                              ;   in Loop: Header=BB906_215 Depth=1
	v_and_b32_e32 v42, 7, v38
	v_ffbh_u32_e32 v59, v42
	v_min_u32_e32 v59, 32, v59
	v_subrev_u32_e32 v61, 28, v59
	v_lshlrev_b64 v[62:63], v61, v[38:39]
	v_lshrrev_b32_e32 v56, 3, v40
	v_sub_u32_e32 v59, 29, v59
	v_and_b32_e32 v61, 7, v62
	v_cmp_gt_u32_e32 vcc, 8, v40
	v_cndmask_b32_e32 v40, v56, v59, vcc
	v_cndmask_b32_e32 v42, v42, v61, vcc
	v_lshlrev_b32_e32 v56, 24, v38
	v_lshlrev_b32_e32 v42, 20, v42
	v_and_b32_e32 v56, 0x80000000, v56
	v_lshl_add_u32 v40, v40, 23, v55
	v_or3_b32 v40, v56, v40, v42
	v_lshrrev_b32_e32 v59, 16, v40
.LBB906_291:                            ;   in Loop: Header=BB906_215 Depth=1
	s_or_b64 exec, exec, s[18:19]
.LBB906_292:                            ;   in Loop: Header=BB906_215 Depth=1
	s_or_b64 exec, exec, s[16:17]
.LBB906_293:                            ;   in Loop: Header=BB906_215 Depth=1
	s_or_b64 exec, exec, s[14:15]
	v_lshrrev_b16_e32 v40, 8, v38
	v_cmp_ne_u16_e32 vcc, 0, v40
	v_mov_b32_e32 v62, 0
	v_mov_b32_e32 v61, 0
	s_and_saveexec_b64 s[14:15], vcc
	s_cbranch_execz .LBB906_299
; %bb.294:                              ;   in Loop: Header=BB906_215 Depth=1
	v_cmp_ne_u16_e32 vcc, s9, v40
	v_mov_b32_e32 v61, 0xffff8000
	s_and_saveexec_b64 s[16:17], vcc
	s_cbranch_execz .LBB906_298
; %bb.295:                              ;   in Loop: Header=BB906_215 Depth=1
	v_and_b32_e32 v42, 0x7f, v40
	v_cmp_ne_u32_e32 vcc, s23, v42
	v_mov_b32_e32 v61, 0x7f80
	s_and_saveexec_b64 s[18:19], vcc
	s_cbranch_execz .LBB906_297
; %bb.296:                              ;   in Loop: Header=BB906_215 Depth=1
	v_and_b32_e32 v56, 7, v40
	v_ffbh_u32_e32 v63, v56
	v_min_u32_e32 v63, 32, v63
	v_subrev_u32_e32 v64, 28, v63
	v_lshlrev_b64 v[64:65], v64, v[40:41]
	v_lshrrev_b32_e32 v61, 3, v42
	v_sub_u32_e32 v40, 29, v63
	v_and_b32_e32 v63, 7, v64
	v_cmp_gt_u32_e32 vcc, 8, v42
	v_cndmask_b32_e32 v40, v61, v40, vcc
	v_cndmask_b32_e32 v42, v56, v63, vcc
	v_lshlrev_b32_e32 v56, 16, v38
	v_lshlrev_b32_e32 v42, 20, v42
	v_and_b32_e32 v56, 0x80000000, v56
	v_lshl_add_u32 v40, v40, 23, v55
	v_or3_b32 v40, v56, v40, v42
	v_lshrrev_b32_e32 v61, 16, v40
.LBB906_297:                            ;   in Loop: Header=BB906_215 Depth=1
	s_or_b64 exec, exec, s[18:19]
.LBB906_298:                            ;   in Loop: Header=BB906_215 Depth=1
	s_or_b64 exec, exec, s[16:17]
.LBB906_299:                            ;   in Loop: Header=BB906_215 Depth=1
	s_or_b64 exec, exec, s[14:15]
	v_lshrrev_b32_e32 v40, 16, v38
	v_cmp_ne_u16_sdwa s[16:17], v40, v54 src0_sel:BYTE_0 src1_sel:DWORD
	s_and_saveexec_b64 s[14:15], s[16:17]
	s_cbranch_execz .LBB906_305
; %bb.300:                              ;   in Loop: Header=BB906_215 Depth=1
	v_cmp_ne_u16_sdwa s[18:19], v40, s9 src0_sel:BYTE_0 src1_sel:DWORD
	v_mov_b32_e32 v62, 0xffff8000
	s_and_saveexec_b64 s[16:17], s[18:19]
	s_cbranch_execz .LBB906_304
; %bb.301:                              ;   in Loop: Header=BB906_215 Depth=1
	v_bfe_u32 v42, v38, 16, 7
	v_cmp_ne_u32_e32 vcc, s23, v42
	v_mov_b32_e32 v62, 0x7f80
	s_and_saveexec_b64 s[18:19], vcc
	s_cbranch_execz .LBB906_303
; %bb.302:                              ;   in Loop: Header=BB906_215 Depth=1
	v_and_b32_e32 v56, 7, v40
	v_ffbh_u32_e32 v62, v56
	v_min_u32_e32 v65, 32, v62
	v_subrev_u32_e32 v62, 28, v65
	v_lshlrev_b64 v[62:63], v62, v[40:41]
	v_lshrrev_b32_e32 v64, 3, v42
	v_sub_u32_e32 v63, 29, v65
	v_and_b32_e32 v62, 7, v62
	v_cmp_gt_u32_e32 vcc, 8, v42
	v_cndmask_b32_e32 v42, v64, v63, vcc
	v_cndmask_b32_e32 v56, v56, v62, vcc
	v_lshlrev_b32_e32 v40, 24, v40
	v_lshlrev_b32_e32 v56, 20, v56
	v_and_b32_e32 v40, 0x80000000, v40
	v_lshl_add_u32 v42, v42, 23, v55
	v_or3_b32 v40, v40, v42, v56
	v_lshrrev_b32_e32 v62, 16, v40
.LBB906_303:                            ;   in Loop: Header=BB906_215 Depth=1
	s_or_b64 exec, exec, s[18:19]
.LBB906_304:                            ;   in Loop: Header=BB906_215 Depth=1
	s_or_b64 exec, exec, s[16:17]
.LBB906_305:                            ;   in Loop: Header=BB906_215 Depth=1
	s_or_b64 exec, exec, s[14:15]
	v_cmp_lt_u32_e32 vcc, s24, v38
	v_mov_b32_e32 v56, 0
	v_mov_b32_e32 v63, 0
	s_and_saveexec_b64 s[14:15], vcc
	s_cbranch_execz .LBB906_311
; %bb.306:                              ;   in Loop: Header=BB906_215 Depth=1
	v_lshrrev_b32_e32 v40, 24, v38
	v_cmp_ne_u32_e32 vcc, s9, v40
	v_mov_b32_e32 v63, 0xffff8000
	s_and_saveexec_b64 s[16:17], vcc
	s_cbranch_execz .LBB906_310
; %bb.307:                              ;   in Loop: Header=BB906_215 Depth=1
	v_bfe_u32 v38, v38, 24, 7
	v_cmp_ne_u32_e32 vcc, s23, v38
	v_mov_b32_e32 v63, 0x7f80
	s_and_saveexec_b64 s[18:19], vcc
	s_cbranch_execz .LBB906_309
; %bb.308:                              ;   in Loop: Header=BB906_215 Depth=1
	v_and_b32_e32 v42, 7, v40
	v_ffbh_u32_e32 v64, v42
	v_min_u32_e32 v66, 32, v64
	v_subrev_u32_e32 v64, 28, v66
	v_lshlrev_b64 v[64:65], v64, v[40:41]
	v_lshrrev_b32_e32 v63, 3, v38
	v_sub_u32_e32 v65, 29, v66
	v_and_b32_e32 v64, 7, v64
	v_cmp_gt_u32_e32 vcc, 8, v38
	v_cndmask_b32_e32 v38, v63, v65, vcc
	v_cndmask_b32_e32 v42, v42, v64, vcc
	v_lshlrev_b32_e32 v40, 24, v40
	v_lshlrev_b32_e32 v42, 20, v42
	v_and_b32_e32 v40, 0x80000000, v40
	v_lshl_add_u32 v38, v38, 23, v55
	v_or3_b32 v38, v40, v38, v42
	v_lshrrev_b32_e32 v63, 16, v38
.LBB906_309:                            ;   in Loop: Header=BB906_215 Depth=1
	s_or_b64 exec, exec, s[18:19]
.LBB906_310:                            ;   in Loop: Header=BB906_215 Depth=1
	s_or_b64 exec, exec, s[16:17]
.LBB906_311:                            ;   in Loop: Header=BB906_215 Depth=1
	s_or_b64 exec, exec, s[14:15]
	v_perm_b32 v64, v57, v44, s25
	buffer_load_dword v44, v46, s[0:3], 0 offen
	buffer_load_dword v42, v46, s[0:3], 0 offen offset:4
	buffer_load_dword v40, v46, s[0:3], 0 offen offset:8
	buffer_load_dword v38, v46, s[0:3], 0 offen offset:12
	v_perm_b32 v65, v60, v58, s25
	v_perm_b32 v63, v63, v62, s25
	;; [unrolled: 1-line block ×3, first 2 shown]
	v_mfma_f32_16x16x16bf16_1k v[34:37], v[64:65], v[6:7], v[34:37]
	s_waitcnt vmcnt(3)
	v_cmp_ne_u16_sdwa s[16:17], v44, v54 src0_sel:BYTE_0 src1_sel:DWORD
	v_mfma_f32_16x16x16bf16_1k v[34:37], v[62:63], v[8:9], v[34:37]
	s_and_saveexec_b64 s[14:15], s[16:17]
	s_cbranch_execz .LBB906_317
; %bb.312:                              ;   in Loop: Header=BB906_215 Depth=1
	v_cmp_ne_u16_sdwa s[18:19], v44, s9 src0_sel:BYTE_0 src1_sel:DWORD
	v_mov_b32_e32 v56, 0xffff8000
	s_and_saveexec_b64 s[16:17], s[18:19]
	s_cbranch_execz .LBB906_316
; %bb.313:                              ;   in Loop: Header=BB906_215 Depth=1
	v_and_b32_e32 v46, 0x7f, v44
	v_cmp_ne_u32_e32 vcc, s23, v46
	v_mov_b32_e32 v56, 0x7f80
	s_and_saveexec_b64 s[18:19], vcc
	s_cbranch_execz .LBB906_315
; %bb.314:                              ;   in Loop: Header=BB906_215 Depth=1
	v_and_b32_e32 v58, 7, v44
	v_ffbh_u32_e32 v56, v58
	v_min_u32_e32 v60, 32, v56
	v_subrev_u32_e32 v56, 28, v60
	v_lshlrev_b64 v[56:57], v56, v[44:45]
	v_lshrrev_b32_e32 v59, 3, v46
	v_sub_u32_e32 v57, 29, v60
	v_and_b32_e32 v56, 7, v56
	v_cmp_gt_u32_e32 vcc, 8, v46
	v_cndmask_b32_e32 v46, v59, v57, vcc
	v_cndmask_b32_e32 v56, v58, v56, vcc
	v_lshlrev_b32_e32 v57, 24, v44
	v_lshlrev_b32_e32 v56, 20, v56
	v_and_b32_e32 v57, 0x80000000, v57
	v_lshl_add_u32 v46, v46, 23, v55
	v_or3_b32 v46, v57, v46, v56
	v_lshrrev_b32_e32 v56, 16, v46
.LBB906_315:                            ;   in Loop: Header=BB906_215 Depth=1
	s_or_b64 exec, exec, s[18:19]
.LBB906_316:                            ;   in Loop: Header=BB906_215 Depth=1
	s_or_b64 exec, exec, s[16:17]
.LBB906_317:                            ;   in Loop: Header=BB906_215 Depth=1
	s_or_b64 exec, exec, s[14:15]
	v_lshrrev_b16_e32 v46, 8, v44
	v_cmp_ne_u16_e32 vcc, 0, v46
	v_mov_b32_e32 v58, 0
	v_mov_b32_e32 v57, 0
	s_and_saveexec_b64 s[14:15], vcc
	s_cbranch_execz .LBB906_323
; %bb.318:                              ;   in Loop: Header=BB906_215 Depth=1
	v_cmp_ne_u16_e32 vcc, s9, v46
	v_mov_b32_e32 v57, 0xffff8000
	s_and_saveexec_b64 s[16:17], vcc
	s_cbranch_execz .LBB906_322
; %bb.319:                              ;   in Loop: Header=BB906_215 Depth=1
	v_and_b32_e32 v59, 0x7f, v46
	v_cmp_ne_u32_e32 vcc, s23, v59
	v_mov_b32_e32 v57, 0x7f80
	s_and_saveexec_b64 s[18:19], vcc
	s_cbranch_execz .LBB906_321
; %bb.320:                              ;   in Loop: Header=BB906_215 Depth=1
	v_and_b32_e32 v57, 7, v46
	v_ffbh_u32_e32 v60, v57
	v_min_u32_e32 v63, 32, v60
	v_subrev_u32_e32 v60, 28, v63
	v_lshlrev_b64 v[60:61], v60, v[46:47]
	v_lshrrev_b32_e32 v62, 3, v59
	v_sub_u32_e32 v46, 29, v63
	v_and_b32_e32 v60, 7, v60
	v_cmp_gt_u32_e32 vcc, 8, v59
	v_cndmask_b32_e32 v46, v62, v46, vcc
	v_cndmask_b32_e32 v57, v57, v60, vcc
	v_lshlrev_b32_e32 v59, 16, v44
	v_lshlrev_b32_e32 v57, 20, v57
	v_and_b32_e32 v59, 0x80000000, v59
	v_lshl_add_u32 v46, v46, 23, v55
	v_or3_b32 v46, v59, v46, v57
	v_lshrrev_b32_e32 v57, 16, v46
.LBB906_321:                            ;   in Loop: Header=BB906_215 Depth=1
	s_or_b64 exec, exec, s[18:19]
.LBB906_322:                            ;   in Loop: Header=BB906_215 Depth=1
	s_or_b64 exec, exec, s[16:17]
.LBB906_323:                            ;   in Loop: Header=BB906_215 Depth=1
	s_or_b64 exec, exec, s[14:15]
	v_lshrrev_b32_e32 v46, 16, v44
	v_cmp_ne_u16_sdwa s[16:17], v46, v54 src0_sel:BYTE_0 src1_sel:DWORD
	s_and_saveexec_b64 s[14:15], s[16:17]
	s_cbranch_execz .LBB906_329
; %bb.324:                              ;   in Loop: Header=BB906_215 Depth=1
	v_cmp_ne_u16_sdwa s[18:19], v46, s9 src0_sel:BYTE_0 src1_sel:DWORD
	v_mov_b32_e32 v58, 0xffff8000
	s_and_saveexec_b64 s[16:17], s[18:19]
	s_cbranch_execz .LBB906_328
; %bb.325:                              ;   in Loop: Header=BB906_215 Depth=1
	v_bfe_u32 v59, v44, 16, 7
	v_cmp_ne_u32_e32 vcc, s23, v59
	v_mov_b32_e32 v58, 0x7f80
	s_and_saveexec_b64 s[18:19], vcc
	s_cbranch_execz .LBB906_327
; %bb.326:                              ;   in Loop: Header=BB906_215 Depth=1
	v_and_b32_e32 v58, 7, v46
	v_ffbh_u32_e32 v60, v58
	v_min_u32_e32 v63, 32, v60
	v_subrev_u32_e32 v60, 28, v63
	v_lshlrev_b64 v[60:61], v60, v[46:47]
	v_lshrrev_b32_e32 v62, 3, v59
	v_sub_u32_e32 v61, 29, v63
	v_and_b32_e32 v60, 7, v60
	v_cmp_gt_u32_e32 vcc, 8, v59
	v_cndmask_b32_e32 v59, v62, v61, vcc
	v_cndmask_b32_e32 v58, v58, v60, vcc
	v_lshlrev_b32_e32 v46, 24, v46
	v_lshlrev_b32_e32 v58, 20, v58
	v_and_b32_e32 v46, 0x80000000, v46
	v_lshl_add_u32 v59, v59, 23, v55
	v_or3_b32 v46, v46, v59, v58
	v_lshrrev_b32_e32 v58, 16, v46
.LBB906_327:                            ;   in Loop: Header=BB906_215 Depth=1
	s_or_b64 exec, exec, s[18:19]
.LBB906_328:                            ;   in Loop: Header=BB906_215 Depth=1
	s_or_b64 exec, exec, s[16:17]
.LBB906_329:                            ;   in Loop: Header=BB906_215 Depth=1
	s_or_b64 exec, exec, s[14:15]
	v_cmp_lt_u32_e32 vcc, s24, v44
	v_mov_b32_e32 v59, 0
	v_mov_b32_e32 v60, 0
	s_and_saveexec_b64 s[14:15], vcc
	s_cbranch_execz .LBB906_335
; %bb.330:                              ;   in Loop: Header=BB906_215 Depth=1
	v_lshrrev_b32_e32 v46, 24, v44
	v_cmp_ne_u32_e32 vcc, s9, v46
	v_mov_b32_e32 v60, 0xffff8000
	s_and_saveexec_b64 s[16:17], vcc
	s_cbranch_execz .LBB906_334
; %bb.331:                              ;   in Loop: Header=BB906_215 Depth=1
	v_bfe_u32 v44, v44, 24, 7
	v_cmp_ne_u32_e32 vcc, s23, v44
	v_mov_b32_e32 v60, 0x7f80
	s_and_saveexec_b64 s[18:19], vcc
	s_cbranch_execz .LBB906_333
; %bb.332:                              ;   in Loop: Header=BB906_215 Depth=1
	v_and_b32_e32 v62, 7, v46
	v_ffbh_u32_e32 v60, v62
	v_min_u32_e32 v64, 32, v60
	v_subrev_u32_e32 v60, 28, v64
	v_lshlrev_b64 v[60:61], v60, v[46:47]
	v_lshrrev_b32_e32 v63, 3, v44
	v_sub_u32_e32 v61, 29, v64
	v_and_b32_e32 v60, 7, v60
	v_cmp_gt_u32_e32 vcc, 8, v44
	v_cndmask_b32_e32 v44, v63, v61, vcc
	v_cndmask_b32_e32 v60, v62, v60, vcc
	v_lshlrev_b32_e32 v46, 24, v46
	v_lshlrev_b32_e32 v60, 20, v60
	v_and_b32_e32 v46, 0x80000000, v46
	v_lshl_add_u32 v44, v44, 23, v55
	v_or3_b32 v44, v46, v44, v60
	v_lshrrev_b32_e32 v60, 16, v44
.LBB906_333:                            ;   in Loop: Header=BB906_215 Depth=1
	s_or_b64 exec, exec, s[18:19]
.LBB906_334:                            ;   in Loop: Header=BB906_215 Depth=1
	s_or_b64 exec, exec, s[16:17]
.LBB906_335:                            ;   in Loop: Header=BB906_215 Depth=1
	s_or_b64 exec, exec, s[14:15]
	s_waitcnt vmcnt(2)
	v_cmp_ne_u16_sdwa s[16:17], v42, v54 src0_sel:BYTE_0 src1_sel:DWORD
	s_and_saveexec_b64 s[14:15], s[16:17]
	s_cbranch_execz .LBB906_341
; %bb.336:                              ;   in Loop: Header=BB906_215 Depth=1
	v_cmp_ne_u16_sdwa s[18:19], v42, s9 src0_sel:BYTE_0 src1_sel:DWORD
	v_mov_b32_e32 v59, 0xffff8000
	s_and_saveexec_b64 s[16:17], s[18:19]
	s_cbranch_execz .LBB906_340
; %bb.337:                              ;   in Loop: Header=BB906_215 Depth=1
	v_and_b32_e32 v44, 0x7f, v42
	v_cmp_ne_u32_e32 vcc, s23, v44
	v_mov_b32_e32 v59, 0x7f80
	s_and_saveexec_b64 s[18:19], vcc
	s_cbranch_execz .LBB906_339
; %bb.338:                              ;   in Loop: Header=BB906_215 Depth=1
	v_and_b32_e32 v46, 7, v42
	v_ffbh_u32_e32 v61, v46
	v_min_u32_e32 v61, 32, v61
	v_subrev_u32_e32 v62, 28, v61
	v_lshlrev_b64 v[62:63], v62, v[42:43]
	v_lshrrev_b32_e32 v59, 3, v44
	v_sub_u32_e32 v61, 29, v61
	v_and_b32_e32 v62, 7, v62
	v_cmp_gt_u32_e32 vcc, 8, v44
	v_cndmask_b32_e32 v44, v59, v61, vcc
	v_cndmask_b32_e32 v46, v46, v62, vcc
	v_lshlrev_b32_e32 v59, 24, v42
	v_lshlrev_b32_e32 v46, 20, v46
	v_and_b32_e32 v59, 0x80000000, v59
	v_lshl_add_u32 v44, v44, 23, v55
	v_or3_b32 v44, v59, v44, v46
	v_lshrrev_b32_e32 v59, 16, v44
.LBB906_339:                            ;   in Loop: Header=BB906_215 Depth=1
	s_or_b64 exec, exec, s[18:19]
.LBB906_340:                            ;   in Loop: Header=BB906_215 Depth=1
	s_or_b64 exec, exec, s[16:17]
.LBB906_341:                            ;   in Loop: Header=BB906_215 Depth=1
	s_or_b64 exec, exec, s[14:15]
	v_lshrrev_b16_e32 v44, 8, v42
	v_cmp_ne_u16_e32 vcc, 0, v44
	v_mov_b32_e32 v62, 0
	v_mov_b32_e32 v61, 0
	s_and_saveexec_b64 s[14:15], vcc
	s_cbranch_execz .LBB906_347
; %bb.342:                              ;   in Loop: Header=BB906_215 Depth=1
	v_cmp_ne_u16_e32 vcc, s9, v44
	v_mov_b32_e32 v61, 0xffff8000
	s_and_saveexec_b64 s[16:17], vcc
	s_cbranch_execz .LBB906_346
; %bb.343:                              ;   in Loop: Header=BB906_215 Depth=1
	v_and_b32_e32 v46, 0x7f, v44
	v_cmp_ne_u32_e32 vcc, s23, v46
	v_mov_b32_e32 v61, 0x7f80
	s_and_saveexec_b64 s[18:19], vcc
	s_cbranch_execz .LBB906_345
; %bb.344:                              ;   in Loop: Header=BB906_215 Depth=1
	v_and_b32_e32 v61, 7, v44
	v_ffbh_u32_e32 v64, v61
	v_min_u32_e32 v66, 32, v64
	v_subrev_u32_e32 v64, 28, v66
	v_lshlrev_b64 v[64:65], v64, v[44:45]
	v_lshrrev_b32_e32 v63, 3, v46
	v_sub_u32_e32 v44, 29, v66
	v_and_b32_e32 v64, 7, v64
	v_cmp_gt_u32_e32 vcc, 8, v46
	v_cndmask_b32_e32 v44, v63, v44, vcc
	v_cndmask_b32_e32 v46, v61, v64, vcc
	v_lshlrev_b32_e32 v61, 16, v42
	v_lshlrev_b32_e32 v46, 20, v46
	v_and_b32_e32 v61, 0x80000000, v61
	v_lshl_add_u32 v44, v44, 23, v55
	v_or3_b32 v44, v61, v44, v46
	v_lshrrev_b32_e32 v61, 16, v44
.LBB906_345:                            ;   in Loop: Header=BB906_215 Depth=1
	s_or_b64 exec, exec, s[18:19]
.LBB906_346:                            ;   in Loop: Header=BB906_215 Depth=1
	s_or_b64 exec, exec, s[16:17]
.LBB906_347:                            ;   in Loop: Header=BB906_215 Depth=1
	s_or_b64 exec, exec, s[14:15]
	v_lshrrev_b32_e32 v44, 16, v42
	v_cmp_ne_u16_sdwa s[16:17], v44, v54 src0_sel:BYTE_0 src1_sel:DWORD
	s_and_saveexec_b64 s[14:15], s[16:17]
	s_cbranch_execz .LBB906_353
; %bb.348:                              ;   in Loop: Header=BB906_215 Depth=1
	v_cmp_ne_u16_sdwa s[18:19], v44, s9 src0_sel:BYTE_0 src1_sel:DWORD
	v_mov_b32_e32 v62, 0xffff8000
	s_and_saveexec_b64 s[16:17], s[18:19]
	s_cbranch_execz .LBB906_352
; %bb.349:                              ;   in Loop: Header=BB906_215 Depth=1
	v_bfe_u32 v46, v42, 16, 7
	v_cmp_ne_u32_e32 vcc, s23, v46
	v_mov_b32_e32 v62, 0x7f80
	s_and_saveexec_b64 s[18:19], vcc
	s_cbranch_execz .LBB906_351
; %bb.350:                              ;   in Loop: Header=BB906_215 Depth=1
	v_and_b32_e32 v64, 7, v44
	v_ffbh_u32_e32 v62, v64
	v_min_u32_e32 v66, 32, v62
	v_subrev_u32_e32 v62, 28, v66
	v_lshlrev_b64 v[62:63], v62, v[44:45]
	v_lshrrev_b32_e32 v65, 3, v46
	v_sub_u32_e32 v63, 29, v66
	v_and_b32_e32 v62, 7, v62
	v_cmp_gt_u32_e32 vcc, 8, v46
	v_cndmask_b32_e32 v46, v65, v63, vcc
	v_cndmask_b32_e32 v62, v64, v62, vcc
	v_lshlrev_b32_e32 v44, 24, v44
	v_lshlrev_b32_e32 v62, 20, v62
	v_and_b32_e32 v44, 0x80000000, v44
	v_lshl_add_u32 v46, v46, 23, v55
	v_or3_b32 v44, v44, v46, v62
	v_lshrrev_b32_e32 v62, 16, v44
.LBB906_351:                            ;   in Loop: Header=BB906_215 Depth=1
	s_or_b64 exec, exec, s[18:19]
.LBB906_352:                            ;   in Loop: Header=BB906_215 Depth=1
	s_or_b64 exec, exec, s[16:17]
.LBB906_353:                            ;   in Loop: Header=BB906_215 Depth=1
	s_or_b64 exec, exec, s[14:15]
	v_cmp_lt_u32_e32 vcc, s24, v42
	v_mov_b32_e32 v46, 0
	v_mov_b32_e32 v63, 0
	s_and_saveexec_b64 s[14:15], vcc
	s_cbranch_execz .LBB906_359
; %bb.354:                              ;   in Loop: Header=BB906_215 Depth=1
	v_lshrrev_b32_e32 v44, 24, v42
	v_cmp_ne_u32_e32 vcc, s9, v44
	v_mov_b32_e32 v63, 0xffff8000
	s_and_saveexec_b64 s[16:17], vcc
	s_cbranch_execz .LBB906_358
; %bb.355:                              ;   in Loop: Header=BB906_215 Depth=1
	v_bfe_u32 v42, v42, 24, 7
	v_cmp_ne_u32_e32 vcc, s23, v42
	v_mov_b32_e32 v63, 0x7f80
	s_and_saveexec_b64 s[18:19], vcc
	s_cbranch_execz .LBB906_357
; %bb.356:                              ;   in Loop: Header=BB906_215 Depth=1
	v_and_b32_e32 v63, 7, v44
	v_ffbh_u32_e32 v64, v63
	v_min_u32_e32 v67, 32, v64
	v_subrev_u32_e32 v64, 28, v67
	v_lshlrev_b64 v[64:65], v64, v[44:45]
	v_lshrrev_b32_e32 v66, 3, v42
	v_sub_u32_e32 v65, 29, v67
	v_and_b32_e32 v64, 7, v64
	v_cmp_gt_u32_e32 vcc, 8, v42
	v_cndmask_b32_e32 v42, v66, v65, vcc
	v_cndmask_b32_e32 v63, v63, v64, vcc
	v_lshlrev_b32_e32 v44, 24, v44
	v_lshlrev_b32_e32 v63, 20, v63
	v_and_b32_e32 v44, 0x80000000, v44
	v_lshl_add_u32 v42, v42, 23, v55
	v_or3_b32 v42, v44, v42, v63
	v_lshrrev_b32_e32 v63, 16, v42
.LBB906_357:                            ;   in Loop: Header=BB906_215 Depth=1
	s_or_b64 exec, exec, s[18:19]
.LBB906_358:                            ;   in Loop: Header=BB906_215 Depth=1
	s_or_b64 exec, exec, s[16:17]
.LBB906_359:                            ;   in Loop: Header=BB906_215 Depth=1
	s_or_b64 exec, exec, s[14:15]
	v_perm_b32 v65, v60, v58, s25
	v_perm_b32 v64, v57, v56, s25
	;; [unrolled: 1-line block ×4, first 2 shown]
	s_waitcnt vmcnt(1)
	v_cmp_ne_u16_sdwa s[16:17], v40, v54 src0_sel:BYTE_0 src1_sel:DWORD
	v_mfma_f32_16x16x16bf16_1k v[34:37], v[64:65], v[10:11], v[34:37]
	v_mfma_f32_16x16x16bf16_1k v[34:37], v[56:57], v[12:13], v[34:37]
	s_and_saveexec_b64 s[14:15], s[16:17]
	s_cbranch_execz .LBB906_365
; %bb.360:                              ;   in Loop: Header=BB906_215 Depth=1
	v_cmp_ne_u16_sdwa s[18:19], v40, s9 src0_sel:BYTE_0 src1_sel:DWORD
	v_mov_b32_e32 v46, 0xffff8000
	s_and_saveexec_b64 s[16:17], s[18:19]
	s_cbranch_execz .LBB906_364
; %bb.361:                              ;   in Loop: Header=BB906_215 Depth=1
	v_and_b32_e32 v42, 0x7f, v40
	v_cmp_ne_u32_e32 vcc, s23, v42
	v_mov_b32_e32 v46, 0x7f80
	s_and_saveexec_b64 s[18:19], vcc
	s_cbranch_execz .LBB906_363
; %bb.362:                              ;   in Loop: Header=BB906_215 Depth=1
	v_and_b32_e32 v44, 7, v40
	v_ffbh_u32_e32 v56, v44
	v_min_u32_e32 v58, 32, v56
	v_subrev_u32_e32 v56, 28, v58
	v_lshlrev_b64 v[56:57], v56, v[40:41]
	v_lshrrev_b32_e32 v46, 3, v42
	v_sub_u32_e32 v57, 29, v58
	v_and_b32_e32 v56, 7, v56
	v_cmp_gt_u32_e32 vcc, 8, v42
	v_cndmask_b32_e32 v42, v46, v57, vcc
	v_cndmask_b32_e32 v44, v44, v56, vcc
	v_lshlrev_b32_e32 v46, 24, v40
	v_lshlrev_b32_e32 v44, 20, v44
	v_and_b32_e32 v46, 0x80000000, v46
	v_lshl_add_u32 v42, v42, 23, v55
	v_or3_b32 v42, v46, v42, v44
	v_lshrrev_b32_e32 v46, 16, v42
.LBB906_363:                            ;   in Loop: Header=BB906_215 Depth=1
	s_or_b64 exec, exec, s[18:19]
.LBB906_364:                            ;   in Loop: Header=BB906_215 Depth=1
	s_or_b64 exec, exec, s[16:17]
.LBB906_365:                            ;   in Loop: Header=BB906_215 Depth=1
	s_or_b64 exec, exec, s[14:15]
	v_lshrrev_b16_e32 v42, 8, v40
	v_cmp_ne_u16_e32 vcc, 0, v42
	v_mov_b32_e32 v57, 0
	v_mov_b32_e32 v44, 0
	s_and_saveexec_b64 s[14:15], vcc
	s_cbranch_execz .LBB906_371
; %bb.366:                              ;   in Loop: Header=BB906_215 Depth=1
	v_cmp_ne_u16_e32 vcc, s9, v42
	v_mov_b32_e32 v44, 0xffff8000
	s_and_saveexec_b64 s[16:17], vcc
	s_cbranch_execz .LBB906_370
; %bb.367:                              ;   in Loop: Header=BB906_215 Depth=1
	v_and_b32_e32 v56, 0x7f, v42
	v_cmp_ne_u32_e32 vcc, s23, v56
	v_mov_b32_e32 v44, 0x7f80
	s_and_saveexec_b64 s[18:19], vcc
	s_cbranch_execz .LBB906_369
; %bb.368:                              ;   in Loop: Header=BB906_215 Depth=1
	v_and_b32_e32 v44, 7, v42
	v_ffbh_u32_e32 v58, v44
	v_min_u32_e32 v61, 32, v58
	v_subrev_u32_e32 v58, 28, v61
	v_lshlrev_b64 v[58:59], v58, v[42:43]
	v_lshrrev_b32_e32 v60, 3, v56
	v_sub_u32_e32 v42, 29, v61
	v_and_b32_e32 v58, 7, v58
	v_cmp_gt_u32_e32 vcc, 8, v56
	v_cndmask_b32_e32 v42, v60, v42, vcc
	v_cndmask_b32_e32 v44, v44, v58, vcc
	v_lshlrev_b32_e32 v56, 16, v40
	v_lshlrev_b32_e32 v44, 20, v44
	v_and_b32_e32 v56, 0x80000000, v56
	v_lshl_add_u32 v42, v42, 23, v55
	v_or3_b32 v42, v56, v42, v44
	v_lshrrev_b32_e32 v44, 16, v42
.LBB906_369:                            ;   in Loop: Header=BB906_215 Depth=1
	s_or_b64 exec, exec, s[18:19]
.LBB906_370:                            ;   in Loop: Header=BB906_215 Depth=1
	s_or_b64 exec, exec, s[16:17]
.LBB906_371:                            ;   in Loop: Header=BB906_215 Depth=1
	s_or_b64 exec, exec, s[14:15]
	v_lshrrev_b32_e32 v42, 16, v40
	v_cmp_ne_u16_sdwa s[16:17], v42, v54 src0_sel:BYTE_0 src1_sel:DWORD
	s_and_saveexec_b64 s[14:15], s[16:17]
	s_cbranch_execz .LBB906_377
; %bb.372:                              ;   in Loop: Header=BB906_215 Depth=1
	v_cmp_ne_u16_sdwa s[18:19], v42, s9 src0_sel:BYTE_0 src1_sel:DWORD
	v_mov_b32_e32 v57, 0xffff8000
	s_and_saveexec_b64 s[16:17], s[18:19]
	s_cbranch_execz .LBB906_376
; %bb.373:                              ;   in Loop: Header=BB906_215 Depth=1
	v_bfe_u32 v56, v40, 16, 7
	v_cmp_ne_u32_e32 vcc, s23, v56
	v_mov_b32_e32 v57, 0x7f80
	s_and_saveexec_b64 s[18:19], vcc
	s_cbranch_execz .LBB906_375
; %bb.374:                              ;   in Loop: Header=BB906_215 Depth=1
	v_and_b32_e32 v57, 7, v42
	v_ffbh_u32_e32 v58, v57
	v_min_u32_e32 v61, 32, v58
	v_subrev_u32_e32 v58, 28, v61
	v_lshlrev_b64 v[58:59], v58, v[42:43]
	v_lshrrev_b32_e32 v60, 3, v56
	v_sub_u32_e32 v59, 29, v61
	v_and_b32_e32 v58, 7, v58
	v_cmp_gt_u32_e32 vcc, 8, v56
	v_cndmask_b32_e32 v56, v60, v59, vcc
	v_cndmask_b32_e32 v57, v57, v58, vcc
	v_lshlrev_b32_e32 v42, 24, v42
	v_lshlrev_b32_e32 v57, 20, v57
	v_and_b32_e32 v42, 0x80000000, v42
	v_lshl_add_u32 v56, v56, 23, v55
	v_or3_b32 v42, v42, v56, v57
	v_lshrrev_b32_e32 v57, 16, v42
.LBB906_375:                            ;   in Loop: Header=BB906_215 Depth=1
	s_or_b64 exec, exec, s[18:19]
.LBB906_376:                            ;   in Loop: Header=BB906_215 Depth=1
	s_or_b64 exec, exec, s[16:17]
.LBB906_377:                            ;   in Loop: Header=BB906_215 Depth=1
	s_or_b64 exec, exec, s[14:15]
	v_cmp_lt_u32_e32 vcc, s24, v40
	v_mov_b32_e32 v58, 0
	v_mov_b32_e32 v59, 0
	s_and_saveexec_b64 s[14:15], vcc
	s_cbranch_execz .LBB906_383
; %bb.378:                              ;   in Loop: Header=BB906_215 Depth=1
	v_lshrrev_b32_e32 v42, 24, v40
	v_cmp_ne_u32_e32 vcc, s9, v42
	v_mov_b32_e32 v59, 0xffff8000
	s_and_saveexec_b64 s[16:17], vcc
	s_cbranch_execz .LBB906_382
; %bb.379:                              ;   in Loop: Header=BB906_215 Depth=1
	v_bfe_u32 v40, v40, 24, 7
	v_cmp_ne_u32_e32 vcc, s23, v40
	v_mov_b32_e32 v59, 0x7f80
	s_and_saveexec_b64 s[18:19], vcc
	s_cbranch_execz .LBB906_381
; %bb.380:                              ;   in Loop: Header=BB906_215 Depth=1
	v_and_b32_e32 v56, 7, v42
	v_ffbh_u32_e32 v60, v56
	v_min_u32_e32 v62, 32, v60
	v_subrev_u32_e32 v60, 28, v62
	v_lshlrev_b64 v[60:61], v60, v[42:43]
	v_lshrrev_b32_e32 v59, 3, v40
	v_sub_u32_e32 v61, 29, v62
	v_and_b32_e32 v60, 7, v60
	v_cmp_gt_u32_e32 vcc, 8, v40
	v_cndmask_b32_e32 v40, v59, v61, vcc
	v_cndmask_b32_e32 v56, v56, v60, vcc
	v_lshlrev_b32_e32 v42, 24, v42
	v_lshlrev_b32_e32 v56, 20, v56
	v_and_b32_e32 v42, 0x80000000, v42
	v_lshl_add_u32 v40, v40, 23, v55
	v_or3_b32 v40, v42, v40, v56
	v_lshrrev_b32_e32 v59, 16, v40
.LBB906_381:                            ;   in Loop: Header=BB906_215 Depth=1
	s_or_b64 exec, exec, s[18:19]
.LBB906_382:                            ;   in Loop: Header=BB906_215 Depth=1
	s_or_b64 exec, exec, s[16:17]
.LBB906_383:                            ;   in Loop: Header=BB906_215 Depth=1
	s_or_b64 exec, exec, s[14:15]
	s_waitcnt vmcnt(0)
	v_cmp_ne_u16_sdwa s[16:17], v38, v54 src0_sel:BYTE_0 src1_sel:DWORD
	s_and_saveexec_b64 s[14:15], s[16:17]
	s_cbranch_execz .LBB906_389
; %bb.384:                              ;   in Loop: Header=BB906_215 Depth=1
	v_cmp_ne_u16_sdwa s[18:19], v38, s9 src0_sel:BYTE_0 src1_sel:DWORD
	v_mov_b32_e32 v58, 0xffff8000
	s_and_saveexec_b64 s[16:17], s[18:19]
	s_cbranch_execz .LBB906_388
; %bb.385:                              ;   in Loop: Header=BB906_215 Depth=1
	v_and_b32_e32 v40, 0x7f, v38
	v_cmp_ne_u32_e32 vcc, s23, v40
	v_mov_b32_e32 v58, 0x7f80
	s_and_saveexec_b64 s[18:19], vcc
	s_cbranch_execz .LBB906_387
; %bb.386:                              ;   in Loop: Header=BB906_215 Depth=1
	v_and_b32_e32 v42, 7, v38
	v_ffbh_u32_e32 v58, v42
	v_min_u32_e32 v58, 32, v58
	v_subrev_u32_e32 v60, 28, v58
	v_lshlrev_b64 v[60:61], v60, v[38:39]
	v_lshrrev_b32_e32 v56, 3, v40
	v_sub_u32_e32 v58, 29, v58
	v_and_b32_e32 v60, 7, v60
	v_cmp_gt_u32_e32 vcc, 8, v40
	v_cndmask_b32_e32 v40, v56, v58, vcc
	v_cndmask_b32_e32 v42, v42, v60, vcc
	v_lshlrev_b32_e32 v56, 24, v38
	v_lshlrev_b32_e32 v42, 20, v42
	v_and_b32_e32 v56, 0x80000000, v56
	v_lshl_add_u32 v40, v40, 23, v55
	v_or3_b32 v40, v56, v40, v42
	v_lshrrev_b32_e32 v58, 16, v40
.LBB906_387:                            ;   in Loop: Header=BB906_215 Depth=1
	s_or_b64 exec, exec, s[18:19]
.LBB906_388:                            ;   in Loop: Header=BB906_215 Depth=1
	s_or_b64 exec, exec, s[16:17]
.LBB906_389:                            ;   in Loop: Header=BB906_215 Depth=1
	s_or_b64 exec, exec, s[14:15]
	v_lshrrev_b16_e32 v40, 8, v38
	v_cmp_ne_u16_e32 vcc, 0, v40
	v_mov_b32_e32 v61, 0
	v_mov_b32_e32 v60, 0
	s_and_saveexec_b64 s[14:15], vcc
	s_cbranch_execz .LBB906_395
; %bb.390:                              ;   in Loop: Header=BB906_215 Depth=1
	v_cmp_ne_u16_e32 vcc, s9, v40
	v_mov_b32_e32 v60, 0xffff8000
	s_and_saveexec_b64 s[16:17], vcc
	s_cbranch_execz .LBB906_394
; %bb.391:                              ;   in Loop: Header=BB906_215 Depth=1
	v_and_b32_e32 v42, 0x7f, v40
	v_cmp_ne_u32_e32 vcc, s23, v42
	v_mov_b32_e32 v60, 0x7f80
	s_and_saveexec_b64 s[18:19], vcc
	s_cbranch_execz .LBB906_393
; %bb.392:                              ;   in Loop: Header=BB906_215 Depth=1
	v_and_b32_e32 v56, 7, v40
	v_ffbh_u32_e32 v62, v56
	v_min_u32_e32 v64, 32, v62
	v_subrev_u32_e32 v62, 28, v64
	v_lshlrev_b64 v[62:63], v62, v[40:41]
	v_lshrrev_b32_e32 v60, 3, v42
	v_sub_u32_e32 v40, 29, v64
	v_and_b32_e32 v62, 7, v62
	v_cmp_gt_u32_e32 vcc, 8, v42
	v_cndmask_b32_e32 v40, v60, v40, vcc
	v_cndmask_b32_e32 v42, v56, v62, vcc
	v_lshlrev_b32_e32 v56, 16, v38
	v_lshlrev_b32_e32 v42, 20, v42
	v_and_b32_e32 v56, 0x80000000, v56
	v_lshl_add_u32 v40, v40, 23, v55
	v_or3_b32 v40, v56, v40, v42
	v_lshrrev_b32_e32 v60, 16, v40
.LBB906_393:                            ;   in Loop: Header=BB906_215 Depth=1
	s_or_b64 exec, exec, s[18:19]
.LBB906_394:                            ;   in Loop: Header=BB906_215 Depth=1
	s_or_b64 exec, exec, s[16:17]
.LBB906_395:                            ;   in Loop: Header=BB906_215 Depth=1
	s_or_b64 exec, exec, s[14:15]
	v_lshrrev_b32_e32 v40, 16, v38
	v_cmp_ne_u16_sdwa s[16:17], v40, v54 src0_sel:BYTE_0 src1_sel:DWORD
	s_and_saveexec_b64 s[14:15], s[16:17]
	s_cbranch_execz .LBB906_401
; %bb.396:                              ;   in Loop: Header=BB906_215 Depth=1
	v_cmp_ne_u16_sdwa s[18:19], v40, s9 src0_sel:BYTE_0 src1_sel:DWORD
	v_mov_b32_e32 v61, 0xffff8000
	s_and_saveexec_b64 s[16:17], s[18:19]
	s_cbranch_execz .LBB906_400
; %bb.397:                              ;   in Loop: Header=BB906_215 Depth=1
	v_bfe_u32 v42, v38, 16, 7
	v_cmp_ne_u32_e32 vcc, s23, v42
	v_mov_b32_e32 v61, 0x7f80
	s_and_saveexec_b64 s[18:19], vcc
	s_cbranch_execz .LBB906_399
; %bb.398:                              ;   in Loop: Header=BB906_215 Depth=1
	v_and_b32_e32 v56, 7, v40
	v_ffbh_u32_e32 v62, v56
	v_min_u32_e32 v64, 32, v62
	v_subrev_u32_e32 v62, 28, v64
	v_lshlrev_b64 v[62:63], v62, v[40:41]
	v_lshrrev_b32_e32 v61, 3, v42
	v_sub_u32_e32 v63, 29, v64
	v_and_b32_e32 v62, 7, v62
	v_cmp_gt_u32_e32 vcc, 8, v42
	v_cndmask_b32_e32 v42, v61, v63, vcc
	v_cndmask_b32_e32 v56, v56, v62, vcc
	v_lshlrev_b32_e32 v40, 24, v40
	v_lshlrev_b32_e32 v56, 20, v56
	v_and_b32_e32 v40, 0x80000000, v40
	v_lshl_add_u32 v42, v42, 23, v55
	v_or3_b32 v40, v40, v42, v56
	v_lshrrev_b32_e32 v61, 16, v40
.LBB906_399:                            ;   in Loop: Header=BB906_215 Depth=1
	s_or_b64 exec, exec, s[18:19]
.LBB906_400:                            ;   in Loop: Header=BB906_215 Depth=1
	s_or_b64 exec, exec, s[16:17]
.LBB906_401:                            ;   in Loop: Header=BB906_215 Depth=1
	s_or_b64 exec, exec, s[14:15]
	v_cmp_lt_u32_e32 vcc, s24, v38
	v_mov_b32_e32 v56, 0
	v_mov_b32_e32 v62, 0
	s_and_saveexec_b64 s[14:15], vcc
	s_cbranch_execz .LBB906_407
; %bb.402:                              ;   in Loop: Header=BB906_215 Depth=1
	v_lshrrev_b32_e32 v40, 24, v38
	v_cmp_ne_u32_e32 vcc, s9, v40
	v_mov_b32_e32 v62, 0xffff8000
	s_and_saveexec_b64 s[16:17], vcc
	s_cbranch_execz .LBB906_406
; %bb.403:                              ;   in Loop: Header=BB906_215 Depth=1
	v_bfe_u32 v38, v38, 24, 7
	v_cmp_ne_u32_e32 vcc, s23, v38
	v_mov_b32_e32 v62, 0x7f80
	s_and_saveexec_b64 s[18:19], vcc
	s_cbranch_execz .LBB906_405
; %bb.404:                              ;   in Loop: Header=BB906_215 Depth=1
	v_and_b32_e32 v42, 7, v40
	v_ffbh_u32_e32 v62, v42
	v_min_u32_e32 v65, 32, v62
	v_subrev_u32_e32 v62, 28, v65
	v_lshlrev_b64 v[62:63], v62, v[40:41]
	v_lshrrev_b32_e32 v64, 3, v38
	v_sub_u32_e32 v63, 29, v65
	v_and_b32_e32 v62, 7, v62
	v_cmp_gt_u32_e32 vcc, 8, v38
	v_cndmask_b32_e32 v38, v64, v63, vcc
	v_cndmask_b32_e32 v42, v42, v62, vcc
	v_lshlrev_b32_e32 v40, 24, v40
	v_lshlrev_b32_e32 v42, 20, v42
	v_and_b32_e32 v40, 0x80000000, v40
	v_lshl_add_u32 v38, v38, 23, v55
	v_or3_b32 v38, v40, v38, v42
	v_lshrrev_b32_e32 v62, 16, v38
.LBB906_405:                            ;   in Loop: Header=BB906_215 Depth=1
	s_or_b64 exec, exec, s[18:19]
.LBB906_406:                            ;   in Loop: Header=BB906_215 Depth=1
	s_or_b64 exec, exec, s[16:17]
.LBB906_407:                            ;   in Loop: Header=BB906_215 Depth=1
	s_or_b64 exec, exec, s[14:15]
	v_perm_b32 v64, v44, v46, s25
	buffer_load_dword v44, v51, s[0:3], 0 offen
	buffer_load_dword v42, v51, s[0:3], 0 offen offset:4
	buffer_load_dword v40, v51, s[0:3], 0 offen offset:8
	;; [unrolled: 1-line block ×3, first 2 shown]
	v_perm_b32 v65, v59, v57, s25
	v_perm_b32 v59, v62, v61, s25
	;; [unrolled: 1-line block ×3, first 2 shown]
	v_mfma_f32_16x16x16bf16_1k v[34:37], v[64:65], v[14:15], v[34:37]
	s_waitcnt vmcnt(3)
	v_cmp_ne_u16_sdwa s[16:17], v44, v54 src0_sel:BYTE_0 src1_sel:DWORD
	v_mfma_f32_16x16x16bf16_1k v[34:37], v[58:59], v[16:17], v[34:37]
	s_and_saveexec_b64 s[14:15], s[16:17]
	s_cbranch_execz .LBB906_413
; %bb.408:                              ;   in Loop: Header=BB906_215 Depth=1
	v_cmp_ne_u16_sdwa s[18:19], v44, s9 src0_sel:BYTE_0 src1_sel:DWORD
	v_mov_b32_e32 v56, 0xffff8000
	s_and_saveexec_b64 s[16:17], s[18:19]
	s_cbranch_execz .LBB906_412
; %bb.409:                              ;   in Loop: Header=BB906_215 Depth=1
	v_and_b32_e32 v46, 0x7f, v44
	v_cmp_ne_u32_e32 vcc, s23, v46
	v_mov_b32_e32 v56, 0x7f80
	s_and_saveexec_b64 s[18:19], vcc
	s_cbranch_execz .LBB906_411
; %bb.410:                              ;   in Loop: Header=BB906_215 Depth=1
	v_and_b32_e32 v51, 7, v44
	v_ffbh_u32_e32 v56, v51
	v_min_u32_e32 v59, 32, v56
	v_subrev_u32_e32 v56, 28, v59
	v_lshlrev_b64 v[56:57], v56, v[44:45]
	v_lshrrev_b32_e32 v58, 3, v46
	v_sub_u32_e32 v57, 29, v59
	v_and_b32_e32 v56, 7, v56
	v_cmp_gt_u32_e32 vcc, 8, v46
	v_cndmask_b32_e32 v46, v58, v57, vcc
	v_cndmask_b32_e32 v51, v51, v56, vcc
	v_lshlrev_b32_e32 v56, 24, v44
	v_lshlrev_b32_e32 v51, 20, v51
	v_and_b32_e32 v56, 0x80000000, v56
	v_lshl_add_u32 v46, v46, 23, v55
	v_or3_b32 v46, v56, v46, v51
	v_lshrrev_b32_e32 v56, 16, v46
.LBB906_411:                            ;   in Loop: Header=BB906_215 Depth=1
	s_or_b64 exec, exec, s[18:19]
.LBB906_412:                            ;   in Loop: Header=BB906_215 Depth=1
	s_or_b64 exec, exec, s[16:17]
.LBB906_413:                            ;   in Loop: Header=BB906_215 Depth=1
	s_or_b64 exec, exec, s[14:15]
	v_lshrrev_b16_e32 v46, 8, v44
	v_cmp_ne_u16_e32 vcc, 0, v46
	v_mov_b32_e32 v57, 0
	v_mov_b32_e32 v51, 0
	s_and_saveexec_b64 s[14:15], vcc
	s_cbranch_execz .LBB906_419
; %bb.414:                              ;   in Loop: Header=BB906_215 Depth=1
	v_cmp_ne_u16_e32 vcc, s9, v46
	v_mov_b32_e32 v51, 0xffff8000
	s_and_saveexec_b64 s[16:17], vcc
	s_cbranch_execz .LBB906_418
; %bb.415:                              ;   in Loop: Header=BB906_215 Depth=1
	v_and_b32_e32 v58, 0x7f, v46
	v_cmp_ne_u32_e32 vcc, s23, v58
	v_mov_b32_e32 v51, 0x7f80
	s_and_saveexec_b64 s[18:19], vcc
	s_cbranch_execz .LBB906_417
; %bb.416:                              ;   in Loop: Header=BB906_215 Depth=1
	v_and_b32_e32 v51, 7, v46
	v_ffbh_u32_e32 v60, v51
	v_min_u32_e32 v62, 32, v60
	v_subrev_u32_e32 v60, 28, v62
	v_lshlrev_b64 v[60:61], v60, v[46:47]
	v_lshrrev_b32_e32 v59, 3, v58
	v_sub_u32_e32 v46, 29, v62
	v_and_b32_e32 v60, 7, v60
	v_cmp_gt_u32_e32 vcc, 8, v58
	v_cndmask_b32_e32 v46, v59, v46, vcc
	v_cndmask_b32_e32 v51, v51, v60, vcc
	v_lshlrev_b32_e32 v58, 16, v44
	v_lshlrev_b32_e32 v51, 20, v51
	v_and_b32_e32 v58, 0x80000000, v58
	v_lshl_add_u32 v46, v46, 23, v55
	v_or3_b32 v46, v58, v46, v51
	v_lshrrev_b32_e32 v51, 16, v46
.LBB906_417:                            ;   in Loop: Header=BB906_215 Depth=1
	s_or_b64 exec, exec, s[18:19]
.LBB906_418:                            ;   in Loop: Header=BB906_215 Depth=1
	s_or_b64 exec, exec, s[16:17]
.LBB906_419:                            ;   in Loop: Header=BB906_215 Depth=1
	s_or_b64 exec, exec, s[14:15]
	v_lshrrev_b32_e32 v46, 16, v44
	v_cmp_ne_u16_sdwa s[16:17], v46, v54 src0_sel:BYTE_0 src1_sel:DWORD
	s_and_saveexec_b64 s[14:15], s[16:17]
	s_cbranch_execz .LBB906_425
; %bb.420:                              ;   in Loop: Header=BB906_215 Depth=1
	v_cmp_ne_u16_sdwa s[18:19], v46, s9 src0_sel:BYTE_0 src1_sel:DWORD
	v_mov_b32_e32 v57, 0xffff8000
	s_and_saveexec_b64 s[16:17], s[18:19]
	s_cbranch_execz .LBB906_424
; %bb.421:                              ;   in Loop: Header=BB906_215 Depth=1
	v_bfe_u32 v58, v44, 16, 7
	v_cmp_ne_u32_e32 vcc, s23, v58
	v_mov_b32_e32 v57, 0x7f80
	s_and_saveexec_b64 s[18:19], vcc
	s_cbranch_execz .LBB906_423
; %bb.422:                              ;   in Loop: Header=BB906_215 Depth=1
	v_and_b32_e32 v57, 7, v46
	v_ffbh_u32_e32 v60, v57
	v_min_u32_e32 v62, 32, v60
	v_subrev_u32_e32 v60, 28, v62
	v_lshlrev_b64 v[60:61], v60, v[46:47]
	v_lshrrev_b32_e32 v59, 3, v58
	v_sub_u32_e32 v61, 29, v62
	v_and_b32_e32 v60, 7, v60
	v_cmp_gt_u32_e32 vcc, 8, v58
	v_cndmask_b32_e32 v58, v59, v61, vcc
	v_cndmask_b32_e32 v57, v57, v60, vcc
	v_lshlrev_b32_e32 v46, 24, v46
	v_lshlrev_b32_e32 v57, 20, v57
	v_and_b32_e32 v46, 0x80000000, v46
	v_lshl_add_u32 v58, v58, 23, v55
	v_or3_b32 v46, v46, v58, v57
	v_lshrrev_b32_e32 v57, 16, v46
.LBB906_423:                            ;   in Loop: Header=BB906_215 Depth=1
	s_or_b64 exec, exec, s[18:19]
.LBB906_424:                            ;   in Loop: Header=BB906_215 Depth=1
	s_or_b64 exec, exec, s[16:17]
.LBB906_425:                            ;   in Loop: Header=BB906_215 Depth=1
	s_or_b64 exec, exec, s[14:15]
	v_cmp_lt_u32_e32 vcc, s24, v44
	v_mov_b32_e32 v58, 0
	v_mov_b32_e32 v59, 0
	s_and_saveexec_b64 s[14:15], vcc
	s_cbranch_execz .LBB906_431
; %bb.426:                              ;   in Loop: Header=BB906_215 Depth=1
	v_lshrrev_b32_e32 v46, 24, v44
	v_cmp_ne_u32_e32 vcc, s9, v46
	v_mov_b32_e32 v59, 0xffff8000
	s_and_saveexec_b64 s[16:17], vcc
	s_cbranch_execz .LBB906_430
; %bb.427:                              ;   in Loop: Header=BB906_215 Depth=1
	v_bfe_u32 v44, v44, 24, 7
	v_cmp_ne_u32_e32 vcc, s23, v44
	v_mov_b32_e32 v59, 0x7f80
	s_and_saveexec_b64 s[18:19], vcc
	s_cbranch_execz .LBB906_429
; %bb.428:                              ;   in Loop: Header=BB906_215 Depth=1
	v_and_b32_e32 v59, 7, v46
	v_ffbh_u32_e32 v60, v59
	v_min_u32_e32 v63, 32, v60
	v_subrev_u32_e32 v60, 28, v63
	v_lshlrev_b64 v[60:61], v60, v[46:47]
	v_lshrrev_b32_e32 v62, 3, v44
	v_sub_u32_e32 v61, 29, v63
	v_and_b32_e32 v60, 7, v60
	v_cmp_gt_u32_e32 vcc, 8, v44
	v_cndmask_b32_e32 v44, v62, v61, vcc
	v_cndmask_b32_e32 v59, v59, v60, vcc
	v_lshlrev_b32_e32 v46, 24, v46
	v_lshlrev_b32_e32 v59, 20, v59
	v_and_b32_e32 v46, 0x80000000, v46
	v_lshl_add_u32 v44, v44, 23, v55
	v_or3_b32 v44, v46, v44, v59
	v_lshrrev_b32_e32 v59, 16, v44
.LBB906_429:                            ;   in Loop: Header=BB906_215 Depth=1
	s_or_b64 exec, exec, s[18:19]
.LBB906_430:                            ;   in Loop: Header=BB906_215 Depth=1
	s_or_b64 exec, exec, s[16:17]
.LBB906_431:                            ;   in Loop: Header=BB906_215 Depth=1
	s_or_b64 exec, exec, s[14:15]
	s_waitcnt vmcnt(2)
	v_cmp_ne_u16_sdwa s[16:17], v42, v54 src0_sel:BYTE_0 src1_sel:DWORD
	s_and_saveexec_b64 s[14:15], s[16:17]
	s_cbranch_execz .LBB906_437
; %bb.432:                              ;   in Loop: Header=BB906_215 Depth=1
	v_cmp_ne_u16_sdwa s[18:19], v42, s9 src0_sel:BYTE_0 src1_sel:DWORD
	v_mov_b32_e32 v58, 0xffff8000
	s_and_saveexec_b64 s[16:17], s[18:19]
	s_cbranch_execz .LBB906_436
; %bb.433:                              ;   in Loop: Header=BB906_215 Depth=1
	v_and_b32_e32 v44, 0x7f, v42
	v_cmp_ne_u32_e32 vcc, s23, v44
	v_mov_b32_e32 v58, 0x7f80
	s_and_saveexec_b64 s[18:19], vcc
	s_cbranch_execz .LBB906_435
; %bb.434:                              ;   in Loop: Header=BB906_215 Depth=1
	v_and_b32_e32 v46, 7, v42
	v_ffbh_u32_e32 v60, v46
	v_min_u32_e32 v62, 32, v60
	v_subrev_u32_e32 v60, 28, v62
	v_lshlrev_b64 v[60:61], v60, v[42:43]
	v_lshrrev_b32_e32 v58, 3, v44
	v_sub_u32_e32 v61, 29, v62
	v_and_b32_e32 v60, 7, v60
	v_cmp_gt_u32_e32 vcc, 8, v44
	v_cndmask_b32_e32 v44, v58, v61, vcc
	v_cndmask_b32_e32 v46, v46, v60, vcc
	v_lshlrev_b32_e32 v58, 24, v42
	v_lshlrev_b32_e32 v46, 20, v46
	v_and_b32_e32 v58, 0x80000000, v58
	v_lshl_add_u32 v44, v44, 23, v55
	v_or3_b32 v44, v58, v44, v46
	v_lshrrev_b32_e32 v58, 16, v44
.LBB906_435:                            ;   in Loop: Header=BB906_215 Depth=1
	s_or_b64 exec, exec, s[18:19]
.LBB906_436:                            ;   in Loop: Header=BB906_215 Depth=1
	s_or_b64 exec, exec, s[16:17]
.LBB906_437:                            ;   in Loop: Header=BB906_215 Depth=1
	s_or_b64 exec, exec, s[14:15]
	v_lshrrev_b16_e32 v44, 8, v42
	v_cmp_ne_u16_e32 vcc, 0, v44
	v_mov_b32_e32 v61, 0
	v_mov_b32_e32 v60, 0
	s_and_saveexec_b64 s[14:15], vcc
	s_cbranch_execz .LBB906_443
; %bb.438:                              ;   in Loop: Header=BB906_215 Depth=1
	v_cmp_ne_u16_e32 vcc, s9, v44
	v_mov_b32_e32 v60, 0xffff8000
	s_and_saveexec_b64 s[16:17], vcc
	s_cbranch_execz .LBB906_442
; %bb.439:                              ;   in Loop: Header=BB906_215 Depth=1
	v_and_b32_e32 v46, 0x7f, v44
	v_cmp_ne_u32_e32 vcc, s23, v46
	v_mov_b32_e32 v60, 0x7f80
	s_and_saveexec_b64 s[18:19], vcc
	s_cbranch_execz .LBB906_441
; %bb.440:                              ;   in Loop: Header=BB906_215 Depth=1
	v_and_b32_e32 v60, 7, v44
	v_ffbh_u32_e32 v62, v60
	v_min_u32_e32 v65, 32, v62
	v_subrev_u32_e32 v62, 28, v65
	v_lshlrev_b64 v[62:63], v62, v[44:45]
	v_lshrrev_b32_e32 v64, 3, v46
	v_sub_u32_e32 v44, 29, v65
	v_and_b32_e32 v62, 7, v62
	v_cmp_gt_u32_e32 vcc, 8, v46
	v_cndmask_b32_e32 v44, v64, v44, vcc
	v_cndmask_b32_e32 v46, v60, v62, vcc
	v_lshlrev_b32_e32 v60, 16, v42
	v_lshlrev_b32_e32 v46, 20, v46
	v_and_b32_e32 v60, 0x80000000, v60
	v_lshl_add_u32 v44, v44, 23, v55
	v_or3_b32 v44, v60, v44, v46
	v_lshrrev_b32_e32 v60, 16, v44
.LBB906_441:                            ;   in Loop: Header=BB906_215 Depth=1
	s_or_b64 exec, exec, s[18:19]
.LBB906_442:                            ;   in Loop: Header=BB906_215 Depth=1
	s_or_b64 exec, exec, s[16:17]
.LBB906_443:                            ;   in Loop: Header=BB906_215 Depth=1
	s_or_b64 exec, exec, s[14:15]
	v_lshrrev_b32_e32 v44, 16, v42
	v_cmp_ne_u16_sdwa s[16:17], v44, v54 src0_sel:BYTE_0 src1_sel:DWORD
	s_and_saveexec_b64 s[14:15], s[16:17]
	s_cbranch_execz .LBB906_449
; %bb.444:                              ;   in Loop: Header=BB906_215 Depth=1
	v_cmp_ne_u16_sdwa s[18:19], v44, s9 src0_sel:BYTE_0 src1_sel:DWORD
	v_mov_b32_e32 v61, 0xffff8000
	s_and_saveexec_b64 s[16:17], s[18:19]
	s_cbranch_execz .LBB906_448
; %bb.445:                              ;   in Loop: Header=BB906_215 Depth=1
	v_bfe_u32 v46, v42, 16, 7
	v_cmp_ne_u32_e32 vcc, s23, v46
	v_mov_b32_e32 v61, 0x7f80
	s_and_saveexec_b64 s[18:19], vcc
	s_cbranch_execz .LBB906_447
; %bb.446:                              ;   in Loop: Header=BB906_215 Depth=1
	v_and_b32_e32 v61, 7, v44
	v_ffbh_u32_e32 v62, v61
	v_min_u32_e32 v65, 32, v62
	v_subrev_u32_e32 v62, 28, v65
	v_lshlrev_b64 v[62:63], v62, v[44:45]
	v_lshrrev_b32_e32 v64, 3, v46
	v_sub_u32_e32 v63, 29, v65
	v_and_b32_e32 v62, 7, v62
	v_cmp_gt_u32_e32 vcc, 8, v46
	v_cndmask_b32_e32 v46, v64, v63, vcc
	v_cndmask_b32_e32 v61, v61, v62, vcc
	v_lshlrev_b32_e32 v44, 24, v44
	v_lshlrev_b32_e32 v61, 20, v61
	v_and_b32_e32 v44, 0x80000000, v44
	v_lshl_add_u32 v46, v46, 23, v55
	v_or3_b32 v44, v44, v46, v61
	v_lshrrev_b32_e32 v61, 16, v44
.LBB906_447:                            ;   in Loop: Header=BB906_215 Depth=1
	s_or_b64 exec, exec, s[18:19]
.LBB906_448:                            ;   in Loop: Header=BB906_215 Depth=1
	s_or_b64 exec, exec, s[16:17]
.LBB906_449:                            ;   in Loop: Header=BB906_215 Depth=1
	s_or_b64 exec, exec, s[14:15]
	v_cmp_lt_u32_e32 vcc, s24, v42
	v_mov_b32_e32 v46, 0
	v_mov_b32_e32 v62, 0
	s_and_saveexec_b64 s[14:15], vcc
	s_cbranch_execz .LBB906_455
; %bb.450:                              ;   in Loop: Header=BB906_215 Depth=1
	v_lshrrev_b32_e32 v44, 24, v42
	v_cmp_ne_u32_e32 vcc, s9, v44
	v_mov_b32_e32 v62, 0xffff8000
	s_and_saveexec_b64 s[16:17], vcc
	s_cbranch_execz .LBB906_454
; %bb.451:                              ;   in Loop: Header=BB906_215 Depth=1
	v_bfe_u32 v42, v42, 24, 7
	v_cmp_ne_u32_e32 vcc, s23, v42
	v_mov_b32_e32 v62, 0x7f80
	s_and_saveexec_b64 s[18:19], vcc
	s_cbranch_execz .LBB906_453
; %bb.452:                              ;   in Loop: Header=BB906_215 Depth=1
	v_and_b32_e32 v64, 7, v44
	v_ffbh_u32_e32 v62, v64
	v_min_u32_e32 v66, 32, v62
	v_subrev_u32_e32 v62, 28, v66
	v_lshlrev_b64 v[62:63], v62, v[44:45]
	v_lshrrev_b32_e32 v65, 3, v42
	v_sub_u32_e32 v63, 29, v66
	v_and_b32_e32 v62, 7, v62
	v_cmp_gt_u32_e32 vcc, 8, v42
	v_cndmask_b32_e32 v42, v65, v63, vcc
	v_cndmask_b32_e32 v62, v64, v62, vcc
	v_lshlrev_b32_e32 v44, 24, v44
	v_lshlrev_b32_e32 v62, 20, v62
	v_and_b32_e32 v44, 0x80000000, v44
	v_lshl_add_u32 v42, v42, 23, v55
	v_or3_b32 v42, v44, v42, v62
	v_lshrrev_b32_e32 v62, 16, v42
.LBB906_453:                            ;   in Loop: Header=BB906_215 Depth=1
	s_or_b64 exec, exec, s[18:19]
.LBB906_454:                            ;   in Loop: Header=BB906_215 Depth=1
	s_or_b64 exec, exec, s[16:17]
.LBB906_455:                            ;   in Loop: Header=BB906_215 Depth=1
	s_or_b64 exec, exec, s[14:15]
	v_perm_b32 v57, v59, v57, s25
	v_perm_b32 v56, v51, v56, s25
	s_waitcnt vmcnt(1)
	v_cmp_ne_u16_sdwa s[16:17], v40, v54 src0_sel:BYTE_0 src1_sel:DWORD
	v_mfma_f32_16x16x16bf16_1k v[34:37], v[56:57], v[18:19], v[34:37]
	v_perm_b32 v57, v62, v61, s25
	v_perm_b32 v56, v60, v58, s25
	s_nop 1
	v_mfma_f32_16x16x16bf16_1k v[34:37], v[56:57], v[20:21], v[34:37]
	s_and_saveexec_b64 s[14:15], s[16:17]
	s_cbranch_execz .LBB906_461
; %bb.456:                              ;   in Loop: Header=BB906_215 Depth=1
	v_cmp_ne_u16_sdwa s[18:19], v40, s9 src0_sel:BYTE_0 src1_sel:DWORD
	v_mov_b32_e32 v46, 0xffff8000
	s_and_saveexec_b64 s[16:17], s[18:19]
	s_cbranch_execz .LBB906_460
; %bb.457:                              ;   in Loop: Header=BB906_215 Depth=1
	v_and_b32_e32 v42, 0x7f, v40
	v_cmp_ne_u32_e32 vcc, s23, v42
	v_mov_b32_e32 v46, 0x7f80
	s_and_saveexec_b64 s[18:19], vcc
	s_cbranch_execz .LBB906_459
; %bb.458:                              ;   in Loop: Header=BB906_215 Depth=1
	v_and_b32_e32 v44, 7, v40
	v_ffbh_u32_e32 v51, v44
	v_min_u32_e32 v51, 32, v51
	v_subrev_u32_e32 v56, 28, v51
	v_lshlrev_b64 v[56:57], v56, v[40:41]
	v_lshrrev_b32_e32 v46, 3, v42
	v_sub_u32_e32 v51, 29, v51
	v_and_b32_e32 v56, 7, v56
	v_cmp_gt_u32_e32 vcc, 8, v42
	v_cndmask_b32_e32 v42, v46, v51, vcc
	v_cndmask_b32_e32 v44, v44, v56, vcc
	v_lshlrev_b32_e32 v46, 24, v40
	v_lshlrev_b32_e32 v44, 20, v44
	v_and_b32_e32 v46, 0x80000000, v46
	v_lshl_add_u32 v42, v42, 23, v55
	v_or3_b32 v42, v46, v42, v44
	v_lshrrev_b32_e32 v46, 16, v42
.LBB906_459:                            ;   in Loop: Header=BB906_215 Depth=1
	s_or_b64 exec, exec, s[18:19]
.LBB906_460:                            ;   in Loop: Header=BB906_215 Depth=1
	s_or_b64 exec, exec, s[16:17]
.LBB906_461:                            ;   in Loop: Header=BB906_215 Depth=1
	s_or_b64 exec, exec, s[14:15]
	v_lshrrev_b16_e32 v42, 8, v40
	v_cmp_ne_u16_e32 vcc, 0, v42
	v_mov_b32_e32 v56, 0
	v_mov_b32_e32 v44, 0
	s_and_saveexec_b64 s[14:15], vcc
	s_cbranch_execz .LBB906_467
; %bb.462:                              ;   in Loop: Header=BB906_215 Depth=1
	v_cmp_ne_u16_e32 vcc, s9, v42
	v_mov_b32_e32 v44, 0xffff8000
	s_and_saveexec_b64 s[16:17], vcc
	s_cbranch_execz .LBB906_466
; %bb.463:                              ;   in Loop: Header=BB906_215 Depth=1
	v_and_b32_e32 v51, 0x7f, v42
	v_cmp_ne_u32_e32 vcc, s23, v51
	v_mov_b32_e32 v44, 0x7f80
	s_and_saveexec_b64 s[18:19], vcc
	s_cbranch_execz .LBB906_465
; %bb.464:                              ;   in Loop: Header=BB906_215 Depth=1
	v_and_b32_e32 v44, 7, v42
	v_ffbh_u32_e32 v58, v44
	v_min_u32_e32 v60, 32, v58
	v_subrev_u32_e32 v58, 28, v60
	v_lshlrev_b64 v[58:59], v58, v[42:43]
	v_lshrrev_b32_e32 v57, 3, v51
	v_sub_u32_e32 v42, 29, v60
	v_and_b32_e32 v58, 7, v58
	v_cmp_gt_u32_e32 vcc, 8, v51
	v_cndmask_b32_e32 v42, v57, v42, vcc
	v_cndmask_b32_e32 v44, v44, v58, vcc
	v_lshlrev_b32_e32 v51, 16, v40
	v_lshlrev_b32_e32 v44, 20, v44
	v_and_b32_e32 v51, 0x80000000, v51
	v_lshl_add_u32 v42, v42, 23, v55
	v_or3_b32 v42, v51, v42, v44
	v_lshrrev_b32_e32 v44, 16, v42
.LBB906_465:                            ;   in Loop: Header=BB906_215 Depth=1
	s_or_b64 exec, exec, s[18:19]
.LBB906_466:                            ;   in Loop: Header=BB906_215 Depth=1
	s_or_b64 exec, exec, s[16:17]
.LBB906_467:                            ;   in Loop: Header=BB906_215 Depth=1
	s_or_b64 exec, exec, s[14:15]
	v_lshrrev_b32_e32 v42, 16, v40
	v_cmp_ne_u16_sdwa s[16:17], v42, v54 src0_sel:BYTE_0 src1_sel:DWORD
	s_and_saveexec_b64 s[14:15], s[16:17]
	s_cbranch_execz .LBB906_473
; %bb.468:                              ;   in Loop: Header=BB906_215 Depth=1
	v_cmp_ne_u16_sdwa s[18:19], v42, s9 src0_sel:BYTE_0 src1_sel:DWORD
	v_mov_b32_e32 v56, 0xffff8000
	s_and_saveexec_b64 s[16:17], s[18:19]
	s_cbranch_execz .LBB906_472
; %bb.469:                              ;   in Loop: Header=BB906_215 Depth=1
	v_bfe_u32 v51, v40, 16, 7
	v_cmp_ne_u32_e32 vcc, s23, v51
	v_mov_b32_e32 v56, 0x7f80
	s_and_saveexec_b64 s[18:19], vcc
	s_cbranch_execz .LBB906_471
; %bb.470:                              ;   in Loop: Header=BB906_215 Depth=1
	v_and_b32_e32 v58, 7, v42
	v_ffbh_u32_e32 v56, v58
	v_min_u32_e32 v60, 32, v56
	v_subrev_u32_e32 v56, 28, v60
	v_lshlrev_b64 v[56:57], v56, v[42:43]
	v_lshrrev_b32_e32 v59, 3, v51
	v_sub_u32_e32 v57, 29, v60
	v_and_b32_e32 v56, 7, v56
	v_cmp_gt_u32_e32 vcc, 8, v51
	v_cndmask_b32_e32 v51, v59, v57, vcc
	v_cndmask_b32_e32 v56, v58, v56, vcc
	v_lshlrev_b32_e32 v42, 24, v42
	v_lshlrev_b32_e32 v56, 20, v56
	v_and_b32_e32 v42, 0x80000000, v42
	v_lshl_add_u32 v51, v51, 23, v55
	v_or3_b32 v42, v42, v51, v56
	v_lshrrev_b32_e32 v56, 16, v42
.LBB906_471:                            ;   in Loop: Header=BB906_215 Depth=1
	s_or_b64 exec, exec, s[18:19]
.LBB906_472:                            ;   in Loop: Header=BB906_215 Depth=1
	s_or_b64 exec, exec, s[16:17]
.LBB906_473:                            ;   in Loop: Header=BB906_215 Depth=1
	s_or_b64 exec, exec, s[14:15]
	v_cmp_lt_u32_e32 vcc, s24, v40
	v_mov_b32_e32 v57, 0
	v_mov_b32_e32 v58, 0
	s_and_saveexec_b64 s[14:15], vcc
	s_cbranch_execz .LBB906_479
; %bb.474:                              ;   in Loop: Header=BB906_215 Depth=1
	v_lshrrev_b32_e32 v42, 24, v40
	v_cmp_ne_u32_e32 vcc, s9, v42
	v_mov_b32_e32 v58, 0xffff8000
	s_and_saveexec_b64 s[16:17], vcc
	s_cbranch_execz .LBB906_478
; %bb.475:                              ;   in Loop: Header=BB906_215 Depth=1
	v_bfe_u32 v40, v40, 24, 7
	v_cmp_ne_u32_e32 vcc, s23, v40
	v_mov_b32_e32 v58, 0x7f80
	s_and_saveexec_b64 s[18:19], vcc
	s_cbranch_execz .LBB906_477
; %bb.476:                              ;   in Loop: Header=BB906_215 Depth=1
	v_and_b32_e32 v51, 7, v42
	v_ffbh_u32_e32 v58, v51
	v_min_u32_e32 v61, 32, v58
	v_subrev_u32_e32 v58, 28, v61
	v_lshlrev_b64 v[58:59], v58, v[42:43]
	v_lshrrev_b32_e32 v60, 3, v40
	v_sub_u32_e32 v59, 29, v61
	v_and_b32_e32 v58, 7, v58
	v_cmp_gt_u32_e32 vcc, 8, v40
	v_cndmask_b32_e32 v40, v60, v59, vcc
	v_cndmask_b32_e32 v51, v51, v58, vcc
	v_lshlrev_b32_e32 v42, 24, v42
	v_lshlrev_b32_e32 v51, 20, v51
	v_and_b32_e32 v42, 0x80000000, v42
	v_lshl_add_u32 v40, v40, 23, v55
	v_or3_b32 v40, v42, v40, v51
	v_lshrrev_b32_e32 v58, 16, v40
.LBB906_477:                            ;   in Loop: Header=BB906_215 Depth=1
	s_or_b64 exec, exec, s[18:19]
.LBB906_478:                            ;   in Loop: Header=BB906_215 Depth=1
	s_or_b64 exec, exec, s[16:17]
.LBB906_479:                            ;   in Loop: Header=BB906_215 Depth=1
	s_or_b64 exec, exec, s[14:15]
	s_waitcnt vmcnt(0)
	v_cmp_ne_u16_sdwa s[16:17], v38, v54 src0_sel:BYTE_0 src1_sel:DWORD
	s_and_saveexec_b64 s[14:15], s[16:17]
	s_cbranch_execz .LBB906_485
; %bb.480:                              ;   in Loop: Header=BB906_215 Depth=1
	v_cmp_ne_u16_sdwa s[18:19], v38, s9 src0_sel:BYTE_0 src1_sel:DWORD
	v_mov_b32_e32 v57, 0xffff8000
	s_and_saveexec_b64 s[16:17], s[18:19]
	s_cbranch_execz .LBB906_484
; %bb.481:                              ;   in Loop: Header=BB906_215 Depth=1
	v_and_b32_e32 v40, 0x7f, v38
	v_cmp_ne_u32_e32 vcc, s23, v40
	v_mov_b32_e32 v57, 0x7f80
	s_and_saveexec_b64 s[18:19], vcc
	s_cbranch_execz .LBB906_483
; %bb.482:                              ;   in Loop: Header=BB906_215 Depth=1
	v_and_b32_e32 v42, 7, v38
	v_ffbh_u32_e32 v57, v42
	v_min_u32_e32 v57, 32, v57
	v_subrev_u32_e32 v59, 28, v57
	v_lshlrev_b64 v[60:61], v59, v[38:39]
	v_lshrrev_b32_e32 v51, 3, v40
	v_sub_u32_e32 v57, 29, v57
	v_and_b32_e32 v59, 7, v60
	v_cmp_gt_u32_e32 vcc, 8, v40
	v_cndmask_b32_e32 v40, v51, v57, vcc
	v_cndmask_b32_e32 v42, v42, v59, vcc
	v_lshlrev_b32_e32 v51, 24, v38
	v_lshlrev_b32_e32 v42, 20, v42
	v_and_b32_e32 v51, 0x80000000, v51
	v_lshl_add_u32 v40, v40, 23, v55
	v_or3_b32 v40, v51, v40, v42
	v_lshrrev_b32_e32 v57, 16, v40
.LBB906_483:                            ;   in Loop: Header=BB906_215 Depth=1
	s_or_b64 exec, exec, s[18:19]
.LBB906_484:                            ;   in Loop: Header=BB906_215 Depth=1
	s_or_b64 exec, exec, s[16:17]
.LBB906_485:                            ;   in Loop: Header=BB906_215 Depth=1
	s_or_b64 exec, exec, s[14:15]
	v_lshrrev_b16_e32 v40, 8, v38
	v_cmp_ne_u16_e32 vcc, 0, v40
	v_mov_b32_e32 v60, 0
	v_mov_b32_e32 v59, 0
	s_and_saveexec_b64 s[14:15], vcc
	s_cbranch_execz .LBB906_491
; %bb.486:                              ;   in Loop: Header=BB906_215 Depth=1
	v_cmp_ne_u16_e32 vcc, s9, v40
	v_mov_b32_e32 v59, 0xffff8000
	s_and_saveexec_b64 s[16:17], vcc
	s_cbranch_execz .LBB906_490
; %bb.487:                              ;   in Loop: Header=BB906_215 Depth=1
	v_and_b32_e32 v42, 0x7f, v40
	v_cmp_ne_u32_e32 vcc, s23, v42
	v_mov_b32_e32 v59, 0x7f80
	s_and_saveexec_b64 s[18:19], vcc
	s_cbranch_execz .LBB906_489
; %bb.488:                              ;   in Loop: Header=BB906_215 Depth=1
	v_and_b32_e32 v51, 7, v40
	v_ffbh_u32_e32 v61, v51
	v_min_u32_e32 v61, 32, v61
	v_subrev_u32_e32 v62, 28, v61
	v_lshlrev_b64 v[62:63], v62, v[40:41]
	v_lshrrev_b32_e32 v59, 3, v42
	v_sub_u32_e32 v40, 29, v61
	v_and_b32_e32 v61, 7, v62
	v_cmp_gt_u32_e32 vcc, 8, v42
	v_cndmask_b32_e32 v40, v59, v40, vcc
	v_cndmask_b32_e32 v42, v51, v61, vcc
	v_lshlrev_b32_e32 v51, 16, v38
	v_lshlrev_b32_e32 v42, 20, v42
	v_and_b32_e32 v51, 0x80000000, v51
	v_lshl_add_u32 v40, v40, 23, v55
	v_or3_b32 v40, v51, v40, v42
	v_lshrrev_b32_e32 v59, 16, v40
.LBB906_489:                            ;   in Loop: Header=BB906_215 Depth=1
	s_or_b64 exec, exec, s[18:19]
.LBB906_490:                            ;   in Loop: Header=BB906_215 Depth=1
	s_or_b64 exec, exec, s[16:17]
.LBB906_491:                            ;   in Loop: Header=BB906_215 Depth=1
	s_or_b64 exec, exec, s[14:15]
	v_lshrrev_b32_e32 v40, 16, v38
	v_cmp_ne_u16_sdwa s[16:17], v40, v54 src0_sel:BYTE_0 src1_sel:DWORD
	s_and_saveexec_b64 s[14:15], s[16:17]
	s_cbranch_execz .LBB906_497
; %bb.492:                              ;   in Loop: Header=BB906_215 Depth=1
	v_cmp_ne_u16_sdwa s[18:19], v40, s9 src0_sel:BYTE_0 src1_sel:DWORD
	v_mov_b32_e32 v60, 0xffff8000
	s_and_saveexec_b64 s[16:17], s[18:19]
	s_cbranch_execz .LBB906_496
; %bb.493:                              ;   in Loop: Header=BB906_215 Depth=1
	v_bfe_u32 v42, v38, 16, 7
	v_cmp_ne_u32_e32 vcc, s23, v42
	v_mov_b32_e32 v60, 0x7f80
	s_and_saveexec_b64 s[18:19], vcc
	s_cbranch_execz .LBB906_495
; %bb.494:                              ;   in Loop: Header=BB906_215 Depth=1
	v_and_b32_e32 v51, 7, v40
	v_ffbh_u32_e32 v60, v51
	v_min_u32_e32 v63, 32, v60
	v_subrev_u32_e32 v60, 28, v63
	v_lshlrev_b64 v[60:61], v60, v[40:41]
	v_lshrrev_b32_e32 v62, 3, v42
	v_sub_u32_e32 v61, 29, v63
	v_and_b32_e32 v60, 7, v60
	v_cmp_gt_u32_e32 vcc, 8, v42
	v_cndmask_b32_e32 v42, v62, v61, vcc
	v_cndmask_b32_e32 v51, v51, v60, vcc
	v_lshlrev_b32_e32 v40, 24, v40
	v_lshlrev_b32_e32 v51, 20, v51
	v_and_b32_e32 v40, 0x80000000, v40
	v_lshl_add_u32 v42, v42, 23, v55
	v_or3_b32 v40, v40, v42, v51
	v_lshrrev_b32_e32 v60, 16, v40
.LBB906_495:                            ;   in Loop: Header=BB906_215 Depth=1
	s_or_b64 exec, exec, s[18:19]
.LBB906_496:                            ;   in Loop: Header=BB906_215 Depth=1
	s_or_b64 exec, exec, s[16:17]
.LBB906_497:                            ;   in Loop: Header=BB906_215 Depth=1
	s_or_b64 exec, exec, s[14:15]
	v_cmp_lt_u32_e32 vcc, s24, v38
	v_mov_b32_e32 v51, 0
	v_mov_b32_e32 v61, 0
	s_and_saveexec_b64 s[14:15], vcc
	s_cbranch_execz .LBB906_503
; %bb.498:                              ;   in Loop: Header=BB906_215 Depth=1
	v_lshrrev_b32_e32 v40, 24, v38
	v_cmp_ne_u32_e32 vcc, s9, v40
	v_mov_b32_e32 v61, 0xffff8000
	s_and_saveexec_b64 s[16:17], vcc
	s_cbranch_execz .LBB906_502
; %bb.499:                              ;   in Loop: Header=BB906_215 Depth=1
	v_bfe_u32 v38, v38, 24, 7
	v_cmp_ne_u32_e32 vcc, s23, v38
	v_mov_b32_e32 v61, 0x7f80
	s_and_saveexec_b64 s[18:19], vcc
	s_cbranch_execz .LBB906_501
; %bb.500:                              ;   in Loop: Header=BB906_215 Depth=1
	v_and_b32_e32 v42, 7, v40
	v_ffbh_u32_e32 v62, v42
	v_min_u32_e32 v64, 32, v62
	v_subrev_u32_e32 v62, 28, v64
	v_lshlrev_b64 v[62:63], v62, v[40:41]
	v_lshrrev_b32_e32 v61, 3, v38
	v_sub_u32_e32 v63, 29, v64
	v_and_b32_e32 v62, 7, v62
	v_cmp_gt_u32_e32 vcc, 8, v38
	v_cndmask_b32_e32 v38, v61, v63, vcc
	v_cndmask_b32_e32 v42, v42, v62, vcc
	v_lshlrev_b32_e32 v40, 24, v40
	v_lshlrev_b32_e32 v42, 20, v42
	v_and_b32_e32 v40, 0x80000000, v40
	v_lshl_add_u32 v38, v38, 23, v55
	v_or3_b32 v38, v40, v38, v42
	v_lshrrev_b32_e32 v61, 16, v38
.LBB906_501:                            ;   in Loop: Header=BB906_215 Depth=1
	s_or_b64 exec, exec, s[18:19]
.LBB906_502:                            ;   in Loop: Header=BB906_215 Depth=1
	s_or_b64 exec, exec, s[16:17]
.LBB906_503:                            ;   in Loop: Header=BB906_215 Depth=1
	s_or_b64 exec, exec, s[14:15]
	v_perm_b32 v62, v44, v46, s25
	buffer_load_dword v44, v50, s[0:3], 0 offen
	buffer_load_dword v42, v50, s[0:3], 0 offen offset:4
	buffer_load_dword v40, v50, s[0:3], 0 offen offset:8
	;; [unrolled: 1-line block ×3, first 2 shown]
	v_perm_b32 v63, v58, v56, s25
	v_perm_b32 v61, v61, v60, s25
	;; [unrolled: 1-line block ×3, first 2 shown]
	v_mfma_f32_16x16x16bf16_1k v[34:37], v[62:63], v[22:23], v[34:37]
	s_waitcnt vmcnt(3)
	v_cmp_ne_u16_sdwa s[16:17], v44, v54 src0_sel:BYTE_0 src1_sel:DWORD
	v_mfma_f32_16x16x16bf16_1k v[34:37], v[60:61], v[24:25], v[34:37]
	s_and_saveexec_b64 s[14:15], s[16:17]
	s_cbranch_execz .LBB906_509
; %bb.504:                              ;   in Loop: Header=BB906_215 Depth=1
	v_cmp_ne_u16_sdwa s[18:19], v44, s9 src0_sel:BYTE_0 src1_sel:DWORD
	v_mov_b32_e32 v51, 0xffff8000
	s_and_saveexec_b64 s[16:17], s[18:19]
	s_cbranch_execz .LBB906_508
; %bb.505:                              ;   in Loop: Header=BB906_215 Depth=1
	v_and_b32_e32 v46, 0x7f, v44
	v_cmp_ne_u32_e32 vcc, s23, v46
	v_mov_b32_e32 v51, 0x7f80
	s_and_saveexec_b64 s[18:19], vcc
	s_cbranch_execz .LBB906_507
; %bb.506:                              ;   in Loop: Header=BB906_215 Depth=1
	v_and_b32_e32 v56, 7, v44
	v_ffbh_u32_e32 v50, v56
	v_min_u32_e32 v58, 32, v50
	v_subrev_u32_e32 v50, 28, v58
	v_lshlrev_b64 v[50:51], v50, v[44:45]
	v_lshrrev_b32_e32 v57, 3, v46
	v_sub_u32_e32 v51, 29, v58
	v_and_b32_e32 v50, 7, v50
	v_cmp_gt_u32_e32 vcc, 8, v46
	v_cndmask_b32_e32 v46, v57, v51, vcc
	v_cndmask_b32_e32 v50, v56, v50, vcc
	v_lshlrev_b32_e32 v51, 24, v44
	v_lshlrev_b32_e32 v50, 20, v50
	v_and_b32_e32 v51, 0x80000000, v51
	v_lshl_add_u32 v46, v46, 23, v55
	v_or3_b32 v46, v51, v46, v50
	v_lshrrev_b32_e32 v51, 16, v46
.LBB906_507:                            ;   in Loop: Header=BB906_215 Depth=1
	s_or_b64 exec, exec, s[18:19]
.LBB906_508:                            ;   in Loop: Header=BB906_215 Depth=1
	s_or_b64 exec, exec, s[16:17]
.LBB906_509:                            ;   in Loop: Header=BB906_215 Depth=1
	s_or_b64 exec, exec, s[14:15]
	v_lshrrev_b16_e32 v46, 8, v44
	v_cmp_ne_u16_e32 vcc, 0, v46
	v_mov_b32_e32 v56, 0
	v_mov_b32_e32 v50, 0
	s_and_saveexec_b64 s[14:15], vcc
	s_cbranch_execz .LBB906_515
; %bb.510:                              ;   in Loop: Header=BB906_215 Depth=1
	v_cmp_ne_u16_e32 vcc, s9, v46
	v_mov_b32_e32 v50, 0xffff8000
	s_and_saveexec_b64 s[16:17], vcc
	s_cbranch_execz .LBB906_514
; %bb.511:                              ;   in Loop: Header=BB906_215 Depth=1
	v_and_b32_e32 v57, 0x7f, v46
	v_cmp_ne_u32_e32 vcc, s23, v57
	v_mov_b32_e32 v50, 0x7f80
	s_and_saveexec_b64 s[18:19], vcc
	s_cbranch_execz .LBB906_513
; %bb.512:                              ;   in Loop: Header=BB906_215 Depth=1
	v_and_b32_e32 v50, 7, v46
	v_ffbh_u32_e32 v58, v50
	v_min_u32_e32 v61, 32, v58
	v_subrev_u32_e32 v58, 28, v61
	v_lshlrev_b64 v[58:59], v58, v[46:47]
	v_lshrrev_b32_e32 v60, 3, v57
	v_sub_u32_e32 v46, 29, v61
	v_and_b32_e32 v58, 7, v58
	v_cmp_gt_u32_e32 vcc, 8, v57
	v_cndmask_b32_e32 v46, v60, v46, vcc
	v_cndmask_b32_e32 v50, v50, v58, vcc
	v_lshlrev_b32_e32 v57, 16, v44
	v_lshlrev_b32_e32 v50, 20, v50
	v_and_b32_e32 v57, 0x80000000, v57
	v_lshl_add_u32 v46, v46, 23, v55
	v_or3_b32 v46, v57, v46, v50
	v_lshrrev_b32_e32 v50, 16, v46
.LBB906_513:                            ;   in Loop: Header=BB906_215 Depth=1
	s_or_b64 exec, exec, s[18:19]
.LBB906_514:                            ;   in Loop: Header=BB906_215 Depth=1
	s_or_b64 exec, exec, s[16:17]
.LBB906_515:                            ;   in Loop: Header=BB906_215 Depth=1
	s_or_b64 exec, exec, s[14:15]
	v_lshrrev_b32_e32 v46, 16, v44
	v_cmp_ne_u16_sdwa s[16:17], v46, v54 src0_sel:BYTE_0 src1_sel:DWORD
	s_and_saveexec_b64 s[14:15], s[16:17]
	s_cbranch_execz .LBB906_521
; %bb.516:                              ;   in Loop: Header=BB906_215 Depth=1
	v_cmp_ne_u16_sdwa s[18:19], v46, s9 src0_sel:BYTE_0 src1_sel:DWORD
	v_mov_b32_e32 v56, 0xffff8000
	s_and_saveexec_b64 s[16:17], s[18:19]
	s_cbranch_execz .LBB906_520
; %bb.517:                              ;   in Loop: Header=BB906_215 Depth=1
	v_bfe_u32 v57, v44, 16, 7
	v_cmp_ne_u32_e32 vcc, s23, v57
	v_mov_b32_e32 v56, 0x7f80
	s_and_saveexec_b64 s[18:19], vcc
	s_cbranch_execz .LBB906_519
; %bb.518:                              ;   in Loop: Header=BB906_215 Depth=1
	v_and_b32_e32 v56, 7, v46
	v_ffbh_u32_e32 v58, v56
	v_min_u32_e32 v61, 32, v58
	v_subrev_u32_e32 v58, 28, v61
	v_lshlrev_b64 v[58:59], v58, v[46:47]
	v_lshrrev_b32_e32 v60, 3, v57
	v_sub_u32_e32 v59, 29, v61
	v_and_b32_e32 v58, 7, v58
	v_cmp_gt_u32_e32 vcc, 8, v57
	v_cndmask_b32_e32 v57, v60, v59, vcc
	v_cndmask_b32_e32 v56, v56, v58, vcc
	v_lshlrev_b32_e32 v46, 24, v46
	v_lshlrev_b32_e32 v56, 20, v56
	v_and_b32_e32 v46, 0x80000000, v46
	v_lshl_add_u32 v57, v57, 23, v55
	v_or3_b32 v46, v46, v57, v56
	v_lshrrev_b32_e32 v56, 16, v46
.LBB906_519:                            ;   in Loop: Header=BB906_215 Depth=1
	s_or_b64 exec, exec, s[18:19]
.LBB906_520:                            ;   in Loop: Header=BB906_215 Depth=1
	s_or_b64 exec, exec, s[16:17]
.LBB906_521:                            ;   in Loop: Header=BB906_215 Depth=1
	s_or_b64 exec, exec, s[14:15]
	v_cmp_lt_u32_e32 vcc, s24, v44
	v_mov_b32_e32 v57, 0
	v_mov_b32_e32 v58, 0
	s_and_saveexec_b64 s[14:15], vcc
	s_cbranch_execz .LBB906_527
; %bb.522:                              ;   in Loop: Header=BB906_215 Depth=1
	v_lshrrev_b32_e32 v46, 24, v44
	v_cmp_ne_u32_e32 vcc, s9, v46
	v_mov_b32_e32 v58, 0xffff8000
	s_and_saveexec_b64 s[16:17], vcc
	s_cbranch_execz .LBB906_526
; %bb.523:                              ;   in Loop: Header=BB906_215 Depth=1
	v_bfe_u32 v44, v44, 24, 7
	v_cmp_ne_u32_e32 vcc, s23, v44
	v_mov_b32_e32 v58, 0x7f80
	s_and_saveexec_b64 s[18:19], vcc
	s_cbranch_execz .LBB906_525
; %bb.524:                              ;   in Loop: Header=BB906_215 Depth=1
	v_and_b32_e32 v60, 7, v46
	v_ffbh_u32_e32 v58, v60
	v_min_u32_e32 v62, 32, v58
	v_subrev_u32_e32 v58, 28, v62
	v_lshlrev_b64 v[58:59], v58, v[46:47]
	v_lshrrev_b32_e32 v61, 3, v44
	v_sub_u32_e32 v59, 29, v62
	v_and_b32_e32 v58, 7, v58
	v_cmp_gt_u32_e32 vcc, 8, v44
	v_cndmask_b32_e32 v44, v61, v59, vcc
	v_cndmask_b32_e32 v58, v60, v58, vcc
	v_lshlrev_b32_e32 v46, 24, v46
	v_lshlrev_b32_e32 v58, 20, v58
	v_and_b32_e32 v46, 0x80000000, v46
	v_lshl_add_u32 v44, v44, 23, v55
	v_or3_b32 v44, v46, v44, v58
	v_lshrrev_b32_e32 v58, 16, v44
.LBB906_525:                            ;   in Loop: Header=BB906_215 Depth=1
	s_or_b64 exec, exec, s[18:19]
.LBB906_526:                            ;   in Loop: Header=BB906_215 Depth=1
	s_or_b64 exec, exec, s[16:17]
.LBB906_527:                            ;   in Loop: Header=BB906_215 Depth=1
	s_or_b64 exec, exec, s[14:15]
	s_waitcnt vmcnt(2)
	v_cmp_ne_u16_sdwa s[16:17], v42, v54 src0_sel:BYTE_0 src1_sel:DWORD
	s_and_saveexec_b64 s[14:15], s[16:17]
	s_cbranch_execz .LBB906_533
; %bb.528:                              ;   in Loop: Header=BB906_215 Depth=1
	v_cmp_ne_u16_sdwa s[18:19], v42, s9 src0_sel:BYTE_0 src1_sel:DWORD
	v_mov_b32_e32 v57, 0xffff8000
	s_and_saveexec_b64 s[16:17], s[18:19]
	s_cbranch_execz .LBB906_532
; %bb.529:                              ;   in Loop: Header=BB906_215 Depth=1
	v_and_b32_e32 v44, 0x7f, v42
	v_cmp_ne_u32_e32 vcc, s23, v44
	v_mov_b32_e32 v57, 0x7f80
	s_and_saveexec_b64 s[18:19], vcc
	s_cbranch_execz .LBB906_531
; %bb.530:                              ;   in Loop: Header=BB906_215 Depth=1
	v_and_b32_e32 v46, 7, v42
	v_ffbh_u32_e32 v59, v46
	v_min_u32_e32 v59, 32, v59
	v_subrev_u32_e32 v60, 28, v59
	v_lshlrev_b64 v[60:61], v60, v[42:43]
	v_lshrrev_b32_e32 v57, 3, v44
	v_sub_u32_e32 v59, 29, v59
	v_and_b32_e32 v60, 7, v60
	v_cmp_gt_u32_e32 vcc, 8, v44
	v_cndmask_b32_e32 v44, v57, v59, vcc
	v_cndmask_b32_e32 v46, v46, v60, vcc
	v_lshlrev_b32_e32 v57, 24, v42
	v_lshlrev_b32_e32 v46, 20, v46
	v_and_b32_e32 v57, 0x80000000, v57
	v_lshl_add_u32 v44, v44, 23, v55
	v_or3_b32 v44, v57, v44, v46
	v_lshrrev_b32_e32 v57, 16, v44
.LBB906_531:                            ;   in Loop: Header=BB906_215 Depth=1
	s_or_b64 exec, exec, s[18:19]
.LBB906_532:                            ;   in Loop: Header=BB906_215 Depth=1
	s_or_b64 exec, exec, s[16:17]
.LBB906_533:                            ;   in Loop: Header=BB906_215 Depth=1
	s_or_b64 exec, exec, s[14:15]
	v_lshrrev_b16_e32 v44, 8, v42
	v_cmp_ne_u16_e32 vcc, 0, v44
	v_mov_b32_e32 v60, 0
	v_mov_b32_e32 v59, 0
	s_and_saveexec_b64 s[14:15], vcc
	s_cbranch_execz .LBB906_539
; %bb.534:                              ;   in Loop: Header=BB906_215 Depth=1
	v_cmp_ne_u16_e32 vcc, s9, v44
	v_mov_b32_e32 v59, 0xffff8000
	s_and_saveexec_b64 s[16:17], vcc
	s_cbranch_execz .LBB906_538
; %bb.535:                              ;   in Loop: Header=BB906_215 Depth=1
	v_and_b32_e32 v46, 0x7f, v44
	v_cmp_ne_u32_e32 vcc, s23, v46
	v_mov_b32_e32 v59, 0x7f80
	s_and_saveexec_b64 s[18:19], vcc
	s_cbranch_execz .LBB906_537
; %bb.536:                              ;   in Loop: Header=BB906_215 Depth=1
	v_and_b32_e32 v59, 7, v44
	v_ffbh_u32_e32 v62, v59
	v_min_u32_e32 v64, 32, v62
	v_subrev_u32_e32 v62, 28, v64
	v_lshlrev_b64 v[62:63], v62, v[44:45]
	v_lshrrev_b32_e32 v61, 3, v46
	v_sub_u32_e32 v44, 29, v64
	v_and_b32_e32 v62, 7, v62
	v_cmp_gt_u32_e32 vcc, 8, v46
	v_cndmask_b32_e32 v44, v61, v44, vcc
	v_cndmask_b32_e32 v46, v59, v62, vcc
	v_lshlrev_b32_e32 v59, 16, v42
	v_lshlrev_b32_e32 v46, 20, v46
	v_and_b32_e32 v59, 0x80000000, v59
	v_lshl_add_u32 v44, v44, 23, v55
	v_or3_b32 v44, v59, v44, v46
	v_lshrrev_b32_e32 v59, 16, v44
.LBB906_537:                            ;   in Loop: Header=BB906_215 Depth=1
	s_or_b64 exec, exec, s[18:19]
.LBB906_538:                            ;   in Loop: Header=BB906_215 Depth=1
	s_or_b64 exec, exec, s[16:17]
.LBB906_539:                            ;   in Loop: Header=BB906_215 Depth=1
	s_or_b64 exec, exec, s[14:15]
	v_lshrrev_b32_e32 v44, 16, v42
	v_cmp_ne_u16_sdwa s[16:17], v44, v54 src0_sel:BYTE_0 src1_sel:DWORD
	s_and_saveexec_b64 s[14:15], s[16:17]
	s_cbranch_execz .LBB906_545
; %bb.540:                              ;   in Loop: Header=BB906_215 Depth=1
	v_cmp_ne_u16_sdwa s[18:19], v44, s9 src0_sel:BYTE_0 src1_sel:DWORD
	v_mov_b32_e32 v60, 0xffff8000
	s_and_saveexec_b64 s[16:17], s[18:19]
	s_cbranch_execz .LBB906_544
; %bb.541:                              ;   in Loop: Header=BB906_215 Depth=1
	v_bfe_u32 v46, v42, 16, 7
	v_cmp_ne_u32_e32 vcc, s23, v46
	v_mov_b32_e32 v60, 0x7f80
	s_and_saveexec_b64 s[18:19], vcc
	s_cbranch_execz .LBB906_543
; %bb.542:                              ;   in Loop: Header=BB906_215 Depth=1
	v_and_b32_e32 v62, 7, v44
	v_ffbh_u32_e32 v60, v62
	v_min_u32_e32 v64, 32, v60
	v_subrev_u32_e32 v60, 28, v64
	v_lshlrev_b64 v[60:61], v60, v[44:45]
	v_lshrrev_b32_e32 v63, 3, v46
	v_sub_u32_e32 v61, 29, v64
	v_and_b32_e32 v60, 7, v60
	v_cmp_gt_u32_e32 vcc, 8, v46
	v_cndmask_b32_e32 v46, v63, v61, vcc
	v_cndmask_b32_e32 v60, v62, v60, vcc
	v_lshlrev_b32_e32 v44, 24, v44
	v_lshlrev_b32_e32 v60, 20, v60
	v_and_b32_e32 v44, 0x80000000, v44
	v_lshl_add_u32 v46, v46, 23, v55
	v_or3_b32 v44, v44, v46, v60
	v_lshrrev_b32_e32 v60, 16, v44
.LBB906_543:                            ;   in Loop: Header=BB906_215 Depth=1
	s_or_b64 exec, exec, s[18:19]
.LBB906_544:                            ;   in Loop: Header=BB906_215 Depth=1
	s_or_b64 exec, exec, s[16:17]
.LBB906_545:                            ;   in Loop: Header=BB906_215 Depth=1
	s_or_b64 exec, exec, s[14:15]
	v_cmp_lt_u32_e32 vcc, s24, v42
	v_mov_b32_e32 v46, 0
	v_mov_b32_e32 v61, 0
	s_and_saveexec_b64 s[14:15], vcc
	s_cbranch_execz .LBB906_551
; %bb.546:                              ;   in Loop: Header=BB906_215 Depth=1
	v_lshrrev_b32_e32 v44, 24, v42
	v_cmp_ne_u32_e32 vcc, s9, v44
	v_mov_b32_e32 v61, 0xffff8000
	s_and_saveexec_b64 s[16:17], vcc
	s_cbranch_execz .LBB906_550
; %bb.547:                              ;   in Loop: Header=BB906_215 Depth=1
	v_bfe_u32 v42, v42, 24, 7
	v_cmp_ne_u32_e32 vcc, s23, v42
	v_mov_b32_e32 v61, 0x7f80
	s_and_saveexec_b64 s[18:19], vcc
	s_cbranch_execz .LBB906_549
; %bb.548:                              ;   in Loop: Header=BB906_215 Depth=1
	v_and_b32_e32 v61, 7, v44
	v_ffbh_u32_e32 v62, v61
	v_min_u32_e32 v65, 32, v62
	v_subrev_u32_e32 v62, 28, v65
	v_lshlrev_b64 v[62:63], v62, v[44:45]
	v_lshrrev_b32_e32 v64, 3, v42
	v_sub_u32_e32 v63, 29, v65
	v_and_b32_e32 v62, 7, v62
	v_cmp_gt_u32_e32 vcc, 8, v42
	v_cndmask_b32_e32 v42, v64, v63, vcc
	v_cndmask_b32_e32 v61, v61, v62, vcc
	v_lshlrev_b32_e32 v44, 24, v44
	v_lshlrev_b32_e32 v61, 20, v61
	v_and_b32_e32 v44, 0x80000000, v44
	v_lshl_add_u32 v42, v42, 23, v55
	v_or3_b32 v42, v44, v42, v61
	v_lshrrev_b32_e32 v61, 16, v42
.LBB906_549:                            ;   in Loop: Header=BB906_215 Depth=1
	s_or_b64 exec, exec, s[18:19]
.LBB906_550:                            ;   in Loop: Header=BB906_215 Depth=1
	s_or_b64 exec, exec, s[16:17]
.LBB906_551:                            ;   in Loop: Header=BB906_215 Depth=1
	s_or_b64 exec, exec, s[14:15]
	v_perm_b32 v63, v58, v56, s25
	v_perm_b32 v62, v50, v51, s25
	;; [unrolled: 1-line block ×4, first 2 shown]
	s_waitcnt vmcnt(1)
	v_cmp_ne_u16_sdwa s[16:17], v40, v54 src0_sel:BYTE_0 src1_sel:DWORD
	v_mfma_f32_16x16x16bf16_1k v[34:37], v[62:63], v[26:27], v[34:37]
	v_mfma_f32_16x16x16bf16_1k v[34:37], v[50:51], v[28:29], v[34:37]
	s_and_saveexec_b64 s[14:15], s[16:17]
	s_cbranch_execz .LBB906_557
; %bb.552:                              ;   in Loop: Header=BB906_215 Depth=1
	v_cmp_ne_u16_sdwa s[18:19], v40, s9 src0_sel:BYTE_0 src1_sel:DWORD
	v_mov_b32_e32 v46, 0xffff8000
	s_and_saveexec_b64 s[16:17], s[18:19]
	s_cbranch_execz .LBB906_556
; %bb.553:                              ;   in Loop: Header=BB906_215 Depth=1
	v_and_b32_e32 v42, 0x7f, v40
	v_cmp_ne_u32_e32 vcc, s23, v42
	v_mov_b32_e32 v46, 0x7f80
	s_and_saveexec_b64 s[18:19], vcc
	s_cbranch_execz .LBB906_555
; %bb.554:                              ;   in Loop: Header=BB906_215 Depth=1
	v_and_b32_e32 v44, 7, v40
	v_ffbh_u32_e32 v50, v44
	v_min_u32_e32 v56, 32, v50
	v_subrev_u32_e32 v50, 28, v56
	v_lshlrev_b64 v[50:51], v50, v[40:41]
	v_lshrrev_b32_e32 v46, 3, v42
	v_sub_u32_e32 v51, 29, v56
	v_and_b32_e32 v50, 7, v50
	v_cmp_gt_u32_e32 vcc, 8, v42
	v_cndmask_b32_e32 v42, v46, v51, vcc
	v_cndmask_b32_e32 v44, v44, v50, vcc
	v_lshlrev_b32_e32 v46, 24, v40
	v_lshlrev_b32_e32 v44, 20, v44
	v_and_b32_e32 v46, 0x80000000, v46
	v_lshl_add_u32 v42, v42, 23, v55
	v_or3_b32 v42, v46, v42, v44
	v_lshrrev_b32_e32 v46, 16, v42
.LBB906_555:                            ;   in Loop: Header=BB906_215 Depth=1
	s_or_b64 exec, exec, s[18:19]
.LBB906_556:                            ;   in Loop: Header=BB906_215 Depth=1
	s_or_b64 exec, exec, s[16:17]
.LBB906_557:                            ;   in Loop: Header=BB906_215 Depth=1
	s_or_b64 exec, exec, s[14:15]
	v_lshrrev_b16_e32 v42, 8, v40
	v_cmp_ne_u16_e32 vcc, 0, v42
	v_mov_b32_e32 v50, 0
	v_mov_b32_e32 v44, 0
	s_and_saveexec_b64 s[14:15], vcc
	s_cbranch_execz .LBB906_563
; %bb.558:                              ;   in Loop: Header=BB906_215 Depth=1
	v_cmp_ne_u16_e32 vcc, s9, v42
	v_mov_b32_e32 v44, 0xffff8000
	s_and_saveexec_b64 s[16:17], vcc
	s_cbranch_execz .LBB906_562
; %bb.559:                              ;   in Loop: Header=BB906_215 Depth=1
	v_and_b32_e32 v51, 0x7f, v42
	v_cmp_ne_u32_e32 vcc, s23, v51
	v_mov_b32_e32 v44, 0x7f80
	s_and_saveexec_b64 s[18:19], vcc
	s_cbranch_execz .LBB906_561
; %bb.560:                              ;   in Loop: Header=BB906_215 Depth=1
	v_and_b32_e32 v44, 7, v42
	v_ffbh_u32_e32 v56, v44
	v_min_u32_e32 v59, 32, v56
	v_subrev_u32_e32 v56, 28, v59
	v_lshlrev_b64 v[56:57], v56, v[42:43]
	v_lshrrev_b32_e32 v58, 3, v51
	v_sub_u32_e32 v42, 29, v59
	v_and_b32_e32 v56, 7, v56
	v_cmp_gt_u32_e32 vcc, 8, v51
	v_cndmask_b32_e32 v42, v58, v42, vcc
	v_cndmask_b32_e32 v44, v44, v56, vcc
	v_lshlrev_b32_e32 v51, 16, v40
	v_lshlrev_b32_e32 v44, 20, v44
	v_and_b32_e32 v51, 0x80000000, v51
	v_lshl_add_u32 v42, v42, 23, v55
	v_or3_b32 v42, v51, v42, v44
	v_lshrrev_b32_e32 v44, 16, v42
.LBB906_561:                            ;   in Loop: Header=BB906_215 Depth=1
	s_or_b64 exec, exec, s[18:19]
.LBB906_562:                            ;   in Loop: Header=BB906_215 Depth=1
	s_or_b64 exec, exec, s[16:17]
.LBB906_563:                            ;   in Loop: Header=BB906_215 Depth=1
	s_or_b64 exec, exec, s[14:15]
	v_lshrrev_b32_e32 v42, 16, v40
	v_cmp_ne_u16_sdwa s[16:17], v42, v54 src0_sel:BYTE_0 src1_sel:DWORD
	s_and_saveexec_b64 s[14:15], s[16:17]
	s_cbranch_execz .LBB906_569
; %bb.564:                              ;   in Loop: Header=BB906_215 Depth=1
	v_cmp_ne_u16_sdwa s[18:19], v42, s9 src0_sel:BYTE_0 src1_sel:DWORD
	v_mov_b32_e32 v50, 0xffff8000
	s_and_saveexec_b64 s[16:17], s[18:19]
	s_cbranch_execz .LBB906_568
; %bb.565:                              ;   in Loop: Header=BB906_215 Depth=1
	v_bfe_u32 v51, v40, 16, 7
	v_cmp_ne_u32_e32 vcc, s23, v51
	v_mov_b32_e32 v50, 0x7f80
	s_and_saveexec_b64 s[18:19], vcc
	s_cbranch_execz .LBB906_567
; %bb.566:                              ;   in Loop: Header=BB906_215 Depth=1
	v_and_b32_e32 v50, 7, v42
	v_ffbh_u32_e32 v56, v50
	v_min_u32_e32 v59, 32, v56
	v_subrev_u32_e32 v56, 28, v59
	v_lshlrev_b64 v[56:57], v56, v[42:43]
	v_lshrrev_b32_e32 v58, 3, v51
	v_sub_u32_e32 v57, 29, v59
	v_and_b32_e32 v56, 7, v56
	v_cmp_gt_u32_e32 vcc, 8, v51
	v_cndmask_b32_e32 v51, v58, v57, vcc
	v_cndmask_b32_e32 v50, v50, v56, vcc
	v_lshlrev_b32_e32 v42, 24, v42
	v_lshlrev_b32_e32 v50, 20, v50
	v_and_b32_e32 v42, 0x80000000, v42
	v_lshl_add_u32 v51, v51, 23, v55
	v_or3_b32 v42, v42, v51, v50
	v_lshrrev_b32_e32 v50, 16, v42
.LBB906_567:                            ;   in Loop: Header=BB906_215 Depth=1
	s_or_b64 exec, exec, s[18:19]
.LBB906_568:                            ;   in Loop: Header=BB906_215 Depth=1
	s_or_b64 exec, exec, s[16:17]
.LBB906_569:                            ;   in Loop: Header=BB906_215 Depth=1
	s_or_b64 exec, exec, s[14:15]
	v_cmp_lt_u32_e32 vcc, s24, v40
	v_mov_b32_e32 v51, 0
	v_mov_b32_e32 v56, 0
	s_and_saveexec_b64 s[14:15], vcc
	s_cbranch_execz .LBB906_575
; %bb.570:                              ;   in Loop: Header=BB906_215 Depth=1
	v_lshrrev_b32_e32 v42, 24, v40
	v_cmp_ne_u32_e32 vcc, s9, v42
	v_mov_b32_e32 v56, 0xffff8000
	s_and_saveexec_b64 s[16:17], vcc
	s_cbranch_execz .LBB906_574
; %bb.571:                              ;   in Loop: Header=BB906_215 Depth=1
	v_bfe_u32 v40, v40, 24, 7
	v_cmp_ne_u32_e32 vcc, s23, v40
	v_mov_b32_e32 v56, 0x7f80
	s_and_saveexec_b64 s[18:19], vcc
	s_cbranch_execz .LBB906_573
; %bb.572:                              ;   in Loop: Header=BB906_215 Depth=1
	v_and_b32_e32 v58, 7, v42
	v_ffbh_u32_e32 v56, v58
	v_min_u32_e32 v60, 32, v56
	v_subrev_u32_e32 v56, 28, v60
	v_lshlrev_b64 v[56:57], v56, v[42:43]
	v_lshrrev_b32_e32 v59, 3, v40
	v_sub_u32_e32 v57, 29, v60
	v_and_b32_e32 v56, 7, v56
	v_cmp_gt_u32_e32 vcc, 8, v40
	v_cndmask_b32_e32 v40, v59, v57, vcc
	v_cndmask_b32_e32 v56, v58, v56, vcc
	v_lshlrev_b32_e32 v42, 24, v42
	v_lshlrev_b32_e32 v56, 20, v56
	v_and_b32_e32 v42, 0x80000000, v42
	v_lshl_add_u32 v40, v40, 23, v55
	v_or3_b32 v40, v42, v40, v56
	v_lshrrev_b32_e32 v56, 16, v40
.LBB906_573:                            ;   in Loop: Header=BB906_215 Depth=1
	s_or_b64 exec, exec, s[18:19]
.LBB906_574:                            ;   in Loop: Header=BB906_215 Depth=1
	s_or_b64 exec, exec, s[16:17]
.LBB906_575:                            ;   in Loop: Header=BB906_215 Depth=1
	s_or_b64 exec, exec, s[14:15]
	s_waitcnt vmcnt(0)
	v_cmp_ne_u16_sdwa s[16:17], v38, v54 src0_sel:BYTE_0 src1_sel:DWORD
	s_and_saveexec_b64 s[14:15], s[16:17]
	s_cbranch_execz .LBB906_581
; %bb.576:                              ;   in Loop: Header=BB906_215 Depth=1
	v_cmp_ne_u16_sdwa s[18:19], v38, s9 src0_sel:BYTE_0 src1_sel:DWORD
	v_mov_b32_e32 v51, 0xffff8000
	s_and_saveexec_b64 s[16:17], s[18:19]
	s_cbranch_execz .LBB906_580
; %bb.577:                              ;   in Loop: Header=BB906_215 Depth=1
	v_and_b32_e32 v40, 0x7f, v38
	v_cmp_ne_u32_e32 vcc, s23, v40
	v_mov_b32_e32 v51, 0x7f80
	s_and_saveexec_b64 s[18:19], vcc
	s_cbranch_execz .LBB906_579
; %bb.578:                              ;   in Loop: Header=BB906_215 Depth=1
	v_and_b32_e32 v42, 7, v38
	v_ffbh_u32_e32 v57, v42
	v_min_u32_e32 v57, 32, v57
	v_subrev_u32_e32 v58, 28, v57
	v_lshlrev_b64 v[58:59], v58, v[38:39]
	v_lshrrev_b32_e32 v51, 3, v40
	v_sub_u32_e32 v57, 29, v57
	v_and_b32_e32 v58, 7, v58
	v_cmp_gt_u32_e32 vcc, 8, v40
	v_cndmask_b32_e32 v40, v51, v57, vcc
	v_cndmask_b32_e32 v42, v42, v58, vcc
	v_lshlrev_b32_e32 v51, 24, v38
	v_lshlrev_b32_e32 v42, 20, v42
	v_and_b32_e32 v51, 0x80000000, v51
	v_lshl_add_u32 v40, v40, 23, v55
	v_or3_b32 v40, v51, v40, v42
	v_lshrrev_b32_e32 v51, 16, v40
.LBB906_579:                            ;   in Loop: Header=BB906_215 Depth=1
	s_or_b64 exec, exec, s[18:19]
.LBB906_580:                            ;   in Loop: Header=BB906_215 Depth=1
	s_or_b64 exec, exec, s[16:17]
.LBB906_581:                            ;   in Loop: Header=BB906_215 Depth=1
	s_or_b64 exec, exec, s[14:15]
	v_lshrrev_b16_e32 v40, 8, v38
	v_cmp_ne_u16_e32 vcc, 0, v40
	v_mov_b32_e32 v57, 0
	v_mov_b32_e32 v42, 0
	s_and_saveexec_b64 s[14:15], vcc
	s_cbranch_execz .LBB906_587
; %bb.582:                              ;   in Loop: Header=BB906_215 Depth=1
	v_cmp_ne_u16_e32 vcc, s9, v40
	v_mov_b32_e32 v42, 0xffff8000
	s_and_saveexec_b64 s[16:17], vcc
	s_cbranch_execz .LBB906_586
; %bb.583:                              ;   in Loop: Header=BB906_215 Depth=1
	v_and_b32_e32 v58, 0x7f, v40
	v_cmp_ne_u32_e32 vcc, s23, v58
	v_mov_b32_e32 v42, 0x7f80
	s_and_saveexec_b64 s[18:19], vcc
	s_cbranch_execz .LBB906_585
; %bb.584:                              ;   in Loop: Header=BB906_215 Depth=1
	v_and_b32_e32 v42, 7, v40
	v_ffbh_u32_e32 v60, v42
	v_min_u32_e32 v62, 32, v60
	v_subrev_u32_e32 v60, 28, v62
	v_lshlrev_b64 v[60:61], v60, v[40:41]
	v_lshrrev_b32_e32 v59, 3, v58
	v_sub_u32_e32 v40, 29, v62
	v_and_b32_e32 v60, 7, v60
	v_cmp_gt_u32_e32 vcc, 8, v58
	v_cndmask_b32_e32 v40, v59, v40, vcc
	v_cndmask_b32_e32 v42, v42, v60, vcc
	v_lshlrev_b32_e32 v58, 16, v38
	v_lshlrev_b32_e32 v42, 20, v42
	v_and_b32_e32 v58, 0x80000000, v58
	v_lshl_add_u32 v40, v40, 23, v55
	v_or3_b32 v40, v58, v40, v42
	v_lshrrev_b32_e32 v42, 16, v40
.LBB906_585:                            ;   in Loop: Header=BB906_215 Depth=1
	s_or_b64 exec, exec, s[18:19]
.LBB906_586:                            ;   in Loop: Header=BB906_215 Depth=1
	s_or_b64 exec, exec, s[16:17]
.LBB906_587:                            ;   in Loop: Header=BB906_215 Depth=1
	s_or_b64 exec, exec, s[14:15]
	v_lshrrev_b32_e32 v40, 16, v38
	v_cmp_ne_u16_sdwa s[16:17], v40, v54 src0_sel:BYTE_0 src1_sel:DWORD
	s_and_saveexec_b64 s[14:15], s[16:17]
	s_cbranch_execz .LBB906_593
; %bb.588:                              ;   in Loop: Header=BB906_215 Depth=1
	v_cmp_ne_u16_sdwa s[18:19], v40, s9 src0_sel:BYTE_0 src1_sel:DWORD
	v_mov_b32_e32 v57, 0xffff8000
	s_and_saveexec_b64 s[16:17], s[18:19]
	s_cbranch_execz .LBB906_592
; %bb.589:                              ;   in Loop: Header=BB906_215 Depth=1
	v_bfe_u32 v58, v38, 16, 7
	v_cmp_ne_u32_e32 vcc, s23, v58
	v_mov_b32_e32 v57, 0x7f80
	s_and_saveexec_b64 s[18:19], vcc
	s_cbranch_execz .LBB906_591
; %bb.590:                              ;   in Loop: Header=BB906_215 Depth=1
	v_and_b32_e32 v57, 7, v40
	v_ffbh_u32_e32 v60, v57
	v_min_u32_e32 v62, 32, v60
	v_subrev_u32_e32 v60, 28, v62
	v_lshlrev_b64 v[60:61], v60, v[40:41]
	v_lshrrev_b32_e32 v59, 3, v58
	v_sub_u32_e32 v61, 29, v62
	v_and_b32_e32 v60, 7, v60
	v_cmp_gt_u32_e32 vcc, 8, v58
	v_cndmask_b32_e32 v58, v59, v61, vcc
	v_cndmask_b32_e32 v57, v57, v60, vcc
	v_lshlrev_b32_e32 v40, 24, v40
	v_lshlrev_b32_e32 v57, 20, v57
	v_and_b32_e32 v40, 0x80000000, v40
	v_lshl_add_u32 v58, v58, 23, v55
	v_or3_b32 v40, v40, v58, v57
	v_lshrrev_b32_e32 v57, 16, v40
.LBB906_591:                            ;   in Loop: Header=BB906_215 Depth=1
	s_or_b64 exec, exec, s[18:19]
.LBB906_592:                            ;   in Loop: Header=BB906_215 Depth=1
	s_or_b64 exec, exec, s[16:17]
.LBB906_593:                            ;   in Loop: Header=BB906_215 Depth=1
	s_or_b64 exec, exec, s[14:15]
	v_cmp_lt_u32_e32 vcc, s24, v38
	v_mov_b32_e32 v58, 0
	s_and_saveexec_b64 s[14:15], vcc
	s_cbranch_execz .LBB906_214
; %bb.594:                              ;   in Loop: Header=BB906_215 Depth=1
	v_lshrrev_b32_e32 v40, 24, v38
	v_cmp_ne_u32_e32 vcc, s9, v40
	v_mov_b32_e32 v58, 0xffff8000
	s_and_saveexec_b64 s[16:17], vcc
	s_cbranch_execz .LBB906_213
; %bb.595:                              ;   in Loop: Header=BB906_215 Depth=1
	v_bfe_u32 v38, v38, 24, 7
	v_cmp_ne_u32_e32 vcc, s23, v38
	v_mov_b32_e32 v58, 0x7f80
	s_and_saveexec_b64 s[18:19], vcc
	s_cbranch_execz .LBB906_212
; %bb.596:                              ;   in Loop: Header=BB906_215 Depth=1
	v_and_b32_e32 v60, 7, v40
	v_ffbh_u32_e32 v58, v60
	v_min_u32_e32 v62, 32, v58
	v_subrev_u32_e32 v58, 28, v62
	v_lshlrev_b64 v[58:59], v58, v[40:41]
	v_lshrrev_b32_e32 v61, 3, v38
	v_sub_u32_e32 v59, 29, v62
	v_and_b32_e32 v58, 7, v58
	v_cmp_gt_u32_e32 vcc, 8, v38
	v_cndmask_b32_e32 v38, v61, v59, vcc
	v_cndmask_b32_e32 v58, v60, v58, vcc
	v_lshlrev_b32_e32 v40, 24, v40
	v_lshlrev_b32_e32 v58, 20, v58
	v_and_b32_e32 v40, 0x80000000, v40
	v_lshl_add_u32 v38, v38, 23, v55
	v_or3_b32 v38, v40, v38, v58
	v_lshrrev_b32_e32 v58, 16, v38
	s_branch .LBB906_212
.LBB906_597:
	s_barrier
	buffer_load_dword v2, off, s[0:3], 0 offset:320
	buffer_load_dword v5, off, s[0:3], 0 offset:332
	;; [unrolled: 1-line block ×4, first 2 shown]
	v_cmp_gt_u32_e32 vcc, 64, v0
	s_waitcnt vmcnt(0)
	ds_write2st64_b64 v52, v[2:3], v[4:5] offset1:1
	s_waitcnt lgkmcnt(0)
	s_barrier
	s_and_saveexec_b64 s[6:7], vcc
	s_cbranch_execz .LBB906_600
; %bb.598:
	s_lshl_b32 s6, s48, 7
	s_mul_i32 s7, s20, s8
	s_mul_hi_u32 s11, s7, s6
	s_mul_i32 s10, s7, s6
	s_lshl_b64 s[10:11], s[10:11], 1
	v_lshlrev_b32_e32 v4, 6, v41
	s_add_u32 s7, s50, s10
	v_lshl_or_b32 v0, v0, 10, v4
	s_mov_b32 s9, 0
	s_addc_u32 s10, s51, s11
	s_lshl_b32 s8, s26, 7
	v_lshlrev_b32_e32 v2, 5, v1
	v_and_b32_e32 v3, 16, v43
	v_and_b32_e32 v0, 0x1a00, v0
	s_lshl_b64 s[8:9], s[8:9], 1
	v_or3_b32 v0, v0, v2, v3
	s_add_u32 s7, s7, s8
	ds_read_b128 v[4:7], v0 offset:256
	s_addc_u32 s8, s10, s9
	ds_read_b128 v[8:11], v0 offset:128
	ds_read_b128 v[12:15], v0
	v_add_u32_e32 v18, s27, v1
	v_mov_b32_e32 v3, s8
	v_add_co_u32_e32 v2, vcc, s7, v39
	v_mad_u64_u32 v[16:17], s[8:9], v18, s6, 0
	v_addc_co_u32_e32 v3, vcc, 0, v3, vcc
	v_lshlrev_b64 v[16:17], 1, v[16:17]
	v_add_co_u32_e32 v16, vcc, v2, v16
	v_addc_co_u32_e32 v17, vcc, v3, v17, vcc
	s_waitcnt lgkmcnt(0)
	global_store_dwordx4 v[16:17], v[12:15], off
	s_nop 0
	v_add_u32_e32 v12, 4, v18
	v_mad_u64_u32 v[12:13], s[8:9], v12, s6, 0
	v_lshlrev_b64 v[12:13], 1, v[12:13]
	v_add_co_u32_e32 v12, vcc, v2, v12
	v_addc_co_u32_e32 v13, vcc, v3, v13, vcc
	global_store_dwordx4 v[12:13], v[8:11], off
	s_nop 0
	v_add_u32_e32 v8, 8, v18
	v_mad_u64_u32 v[8:9], s[8:9], v8, s6, 0
	v_lshlrev_b64 v[8:9], 1, v[8:9]
	v_add_co_u32_e32 v8, vcc, v2, v8
	v_addc_co_u32_e32 v9, vcc, v3, v9, vcc
	global_store_dwordx4 v[8:9], v[4:7], off
	s_and_b64 exec, exec, s[4:5]
	s_cbranch_execz .LBB906_600
; %bb.599:
	ds_read_b128 v[4:7], v0 offset:384
	v_add3_u32 v0, s27, v1, 12
	v_mad_u64_u32 v[0:1], s[4:5], v0, s6, 0
	v_lshlrev_b64 v[0:1], 1, v[0:1]
	v_add_co_u32_e32 v0, vcc, v2, v0
	v_addc_co_u32_e32 v1, vcc, v3, v1, vcc
	s_waitcnt lgkmcnt(0)
	global_store_dwordx4 v[0:1], v[4:7], off
.LBB906_600:
	s_endpgm
	.section	.rodata,"a",@progbits
	.p2align	6, 0x0
	.amdhsa_kernel _Z39paged_attention_ll4mi_QKV_mfma16_kernelI14__hip_bfloat16hLN4vllm18Fp8KVCacheDataTypeE1ES0_Li16ELi128ELi256ELb1ELi13EL8MFMAType0EEvPKT_PKT0_S9_ifPKiSB_SB_iPKfiiiPfSE_PS4_PT2_iSD_SD_
		.amdhsa_group_segment_fixed_size 8192
		.amdhsa_private_segment_fixed_size 352
		.amdhsa_kernarg_size 400
		.amdhsa_user_sgpr_count 8
		.amdhsa_user_sgpr_private_segment_buffer 1
		.amdhsa_user_sgpr_dispatch_ptr 0
		.amdhsa_user_sgpr_queue_ptr 0
		.amdhsa_user_sgpr_kernarg_segment_ptr 1
		.amdhsa_user_sgpr_dispatch_id 0
		.amdhsa_user_sgpr_flat_scratch_init 1
		.amdhsa_user_sgpr_kernarg_preload_length 0
		.amdhsa_user_sgpr_kernarg_preload_offset 0
		.amdhsa_user_sgpr_private_segment_size 0
		.amdhsa_uses_dynamic_stack 0
		.amdhsa_system_sgpr_private_segment_wavefront_offset 1
		.amdhsa_system_sgpr_workgroup_id_x 1
		.amdhsa_system_sgpr_workgroup_id_y 1
		.amdhsa_system_sgpr_workgroup_id_z 1
		.amdhsa_system_sgpr_workgroup_info 0
		.amdhsa_system_vgpr_workitem_id 0
		.amdhsa_next_free_vgpr 80
		.amdhsa_next_free_sgpr 53
		.amdhsa_accum_offset 80
		.amdhsa_reserve_vcc 1
		.amdhsa_reserve_flat_scratch 0
		.amdhsa_float_round_mode_32 0
		.amdhsa_float_round_mode_16_64 0
		.amdhsa_float_denorm_mode_32 3
		.amdhsa_float_denorm_mode_16_64 3
		.amdhsa_dx10_clamp 1
		.amdhsa_ieee_mode 1
		.amdhsa_fp16_overflow 0
		.amdhsa_tg_split 0
		.amdhsa_exception_fp_ieee_invalid_op 0
		.amdhsa_exception_fp_denorm_src 0
		.amdhsa_exception_fp_ieee_div_zero 0
		.amdhsa_exception_fp_ieee_overflow 0
		.amdhsa_exception_fp_ieee_underflow 0
		.amdhsa_exception_fp_ieee_inexact 0
		.amdhsa_exception_int_div_zero 0
	.end_amdhsa_kernel
	.section	.text._Z39paged_attention_ll4mi_QKV_mfma16_kernelI14__hip_bfloat16hLN4vllm18Fp8KVCacheDataTypeE1ES0_Li16ELi128ELi256ELb1ELi13EL8MFMAType0EEvPKT_PKT0_S9_ifPKiSB_SB_iPKfiiiPfSE_PS4_PT2_iSD_SD_,"axG",@progbits,_Z39paged_attention_ll4mi_QKV_mfma16_kernelI14__hip_bfloat16hLN4vllm18Fp8KVCacheDataTypeE1ES0_Li16ELi128ELi256ELb1ELi13EL8MFMAType0EEvPKT_PKT0_S9_ifPKiSB_SB_iPKfiiiPfSE_PS4_PT2_iSD_SD_,comdat
.Lfunc_end906:
	.size	_Z39paged_attention_ll4mi_QKV_mfma16_kernelI14__hip_bfloat16hLN4vllm18Fp8KVCacheDataTypeE1ES0_Li16ELi128ELi256ELb1ELi13EL8MFMAType0EEvPKT_PKT0_S9_ifPKiSB_SB_iPKfiiiPfSE_PS4_PT2_iSD_SD_, .Lfunc_end906-_Z39paged_attention_ll4mi_QKV_mfma16_kernelI14__hip_bfloat16hLN4vllm18Fp8KVCacheDataTypeE1ES0_Li16ELi128ELi256ELb1ELi13EL8MFMAType0EEvPKT_PKT0_S9_ifPKiSB_SB_iPKfiiiPfSE_PS4_PT2_iSD_SD_
                                        ; -- End function
	.section	.AMDGPU.csdata,"",@progbits
; Kernel info:
; codeLenInByte = 22540
; NumSgprs: 57
; NumVgprs: 80
; NumAgprs: 0
; TotalNumVgprs: 80
; ScratchSize: 352
; MemoryBound: 0
; FloatMode: 240
; IeeeMode: 1
; LDSByteSize: 8192 bytes/workgroup (compile time only)
; SGPRBlocks: 7
; VGPRBlocks: 9
; NumSGPRsForWavesPerEU: 57
; NumVGPRsForWavesPerEU: 80
; AccumOffset: 80
; Occupancy: 6
; WaveLimiterHint : 1
; COMPUTE_PGM_RSRC2:SCRATCH_EN: 1
; COMPUTE_PGM_RSRC2:USER_SGPR: 8
; COMPUTE_PGM_RSRC2:TRAP_HANDLER: 0
; COMPUTE_PGM_RSRC2:TGID_X_EN: 1
; COMPUTE_PGM_RSRC2:TGID_Y_EN: 1
; COMPUTE_PGM_RSRC2:TGID_Z_EN: 1
; COMPUTE_PGM_RSRC2:TIDIG_COMP_CNT: 0
; COMPUTE_PGM_RSRC3_GFX90A:ACCUM_OFFSET: 19
; COMPUTE_PGM_RSRC3_GFX90A:TG_SPLIT: 0
	.section	.text._Z39paged_attention_ll4mi_QKV_mfma16_kernelI14__hip_bfloat16hLN4vllm18Fp8KVCacheDataTypeE1ES0_Li16ELi128ELi256ELb1ELi14EL8MFMAType0EEvPKT_PKT0_S9_ifPKiSB_SB_iPKfiiiPfSE_PS4_PT2_iSD_SD_,"axG",@progbits,_Z39paged_attention_ll4mi_QKV_mfma16_kernelI14__hip_bfloat16hLN4vllm18Fp8KVCacheDataTypeE1ES0_Li16ELi128ELi256ELb1ELi14EL8MFMAType0EEvPKT_PKT0_S9_ifPKiSB_SB_iPKfiiiPfSE_PS4_PT2_iSD_SD_,comdat
	.protected	_Z39paged_attention_ll4mi_QKV_mfma16_kernelI14__hip_bfloat16hLN4vllm18Fp8KVCacheDataTypeE1ES0_Li16ELi128ELi256ELb1ELi14EL8MFMAType0EEvPKT_PKT0_S9_ifPKiSB_SB_iPKfiiiPfSE_PS4_PT2_iSD_SD_ ; -- Begin function _Z39paged_attention_ll4mi_QKV_mfma16_kernelI14__hip_bfloat16hLN4vllm18Fp8KVCacheDataTypeE1ES0_Li16ELi128ELi256ELb1ELi14EL8MFMAType0EEvPKT_PKT0_S9_ifPKiSB_SB_iPKfiiiPfSE_PS4_PT2_iSD_SD_
	.globl	_Z39paged_attention_ll4mi_QKV_mfma16_kernelI14__hip_bfloat16hLN4vllm18Fp8KVCacheDataTypeE1ES0_Li16ELi128ELi256ELb1ELi14EL8MFMAType0EEvPKT_PKT0_S9_ifPKiSB_SB_iPKfiiiPfSE_PS4_PT2_iSD_SD_
	.p2align	8
	.type	_Z39paged_attention_ll4mi_QKV_mfma16_kernelI14__hip_bfloat16hLN4vllm18Fp8KVCacheDataTypeE1ES0_Li16ELi128ELi256ELb1ELi14EL8MFMAType0EEvPKT_PKT0_S9_ifPKiSB_SB_iPKfiiiPfSE_PS4_PT2_iSD_SD_,@function
_Z39paged_attention_ll4mi_QKV_mfma16_kernelI14__hip_bfloat16hLN4vllm18Fp8KVCacheDataTypeE1ES0_Li16ELi128ELi256ELb1ELi14EL8MFMAType0EEvPKT_PKT0_S9_ifPKiSB_SB_iPKfiiiPfSE_PS4_PT2_iSD_SD_: ; @_Z39paged_attention_ll4mi_QKV_mfma16_kernelI14__hip_bfloat16hLN4vllm18Fp8KVCacheDataTypeE1ES0_Li16ELi128ELi256ELb1ELi14EL8MFMAType0EEvPKT_PKT0_S9_ifPKiSB_SB_iPKfiiiPfSE_PS4_PT2_iSD_SD_
; %bb.0:
	s_load_dwordx2 s[6:7], s[4:5], 0x30
	s_add_u32 s0, s0, s11
	s_addc_u32 s1, s1, 0
	s_mov_b32 s26, s9
	s_mov_b64 s[14:15], 0
	s_waitcnt lgkmcnt(0)
	s_cmp_lg_u64 s[6:7], 0
	s_cselect_b64 s[12:13], -1, 0
	s_and_b64 vcc, exec, s[12:13]
	s_cbranch_vccz .LBB907_7
; %bb.1:
	s_add_i32 s16, s8, 1
	s_mov_b32 s17, 0
	s_lshl_b64 s[18:19], s[16:17], 2
	s_add_u32 s18, s6, s18
	s_mov_b32 s9, s17
	s_addc_u32 s19, s7, s19
	s_lshl_b64 s[16:17], s[8:9], 2
	s_add_u32 s16, s6, s16
	s_addc_u32 s17, s7, s17
	s_load_dword s11, s[18:19], 0x0
	s_load_dword s20, s[16:17], 0x0
	s_waitcnt lgkmcnt(0)
	s_sub_i32 s11, s11, s20
	s_cmp_eq_u32 s11, 1
	s_cselect_b64 s[16:17], -1, 0
	s_andn2_b64 vcc, exec, s[14:15]
	s_cbranch_vccnz .LBB907_3
.LBB907_2:
	s_mov_b32 s9, 0
	s_mov_b64 s[16:17], -1
.LBB907_3:
	s_andn2_b64 vcc, exec, s[16:17]
	s_cbranch_vccnz .LBB907_600
; %bb.4:
	s_load_dwordx2 s[16:17], s[4:5], 0x28
	s_lshl_b64 s[14:15], s[8:9], 2
	s_waitcnt lgkmcnt(0)
	s_add_u32 s16, s16, s14
	s_addc_u32 s17, s17, s15
	s_load_dword s33, s[16:17], 0x0
	s_lshl_b32 s20, s26, 8
	s_waitcnt lgkmcnt(0)
	s_cmp_ge_i32 s20, s33
	s_cbranch_scc1 .LBB907_600
; %bb.5:
	s_add_i32 s18, s33, 15
	s_load_dwordx2 s[16:17], s[4:5], 0x20
	s_load_dword s11, s[4:5], 0x38
	s_ashr_i32 s19, s18, 31
	v_and_b32_e32 v1, 0xcf, v0
	s_lshr_b32 s19, s19, 28
	v_add_u32_e32 v1, s20, v1
	s_add_i32 s18, s18, s19
	v_ashrrev_i32_e32 v2, 31, v1
	s_ashr_i32 s23, s18, 4
	v_lshrrev_b32_e32 v4, 28, v2
	s_add_i32 s23, s23, -1
	v_add_u32_e32 v2, v1, v4
	s_waitcnt lgkmcnt(0)
	s_mul_i32 s18, s8, s11
	s_mov_b32 s19, 0
	v_ashrrev_i32_e32 v2, 4, v2
	v_mov_b32_e32 v5, s23
	v_cmp_gt_i32_e32 vcc, s33, v1
	s_lshl_b64 s[18:19], s[18:19], 2
	v_cndmask_b32_e32 v2, v5, v2, vcc
	s_add_u32 s21, s16, s18
	v_ashrrev_i32_e32 v3, 31, v2
	s_addc_u32 s22, s17, s19
	v_lshlrev_b64 v[2:3], 2, v[2:3]
	v_mov_b32_e32 v7, s22
	v_add_co_u32_e32 v6, vcc, s21, v2
	v_or_b32_e32 v2, 16, v1
	v_addc_co_u32_e32 v7, vcc, v7, v3, vcc
	v_add_u32_e32 v3, v2, v4
	v_ashrrev_i32_e32 v3, 4, v3
	v_cmp_gt_i32_e32 vcc, s33, v2
	v_cndmask_b32_e32 v2, v5, v3, vcc
	v_ashrrev_i32_e32 v3, 31, v2
	v_lshlrev_b64 v[2:3], 2, v[2:3]
	v_mov_b32_e32 v9, s22
	v_add_co_u32_e32 v8, vcc, s21, v2
	v_or_b32_e32 v2, 32, v1
	v_addc_co_u32_e32 v9, vcc, v9, v3, vcc
	v_add_u32_e32 v3, v2, v4
	v_ashrrev_i32_e32 v3, 4, v3
	v_cmp_gt_i32_e32 vcc, s33, v2
	v_cndmask_b32_e32 v2, v5, v3, vcc
	v_ashrrev_i32_e32 v3, 31, v2
	v_lshlrev_b64 v[2:3], 2, v[2:3]
	v_mov_b32_e32 v11, s22
	v_add_co_u32_e32 v10, vcc, s21, v2
	v_or_b32_e32 v1, 48, v1
	v_addc_co_u32_e32 v11, vcc, v11, v3, vcc
	v_add_u32_e32 v2, v1, v4
	v_ashrrev_i32_e32 v2, 4, v2
	v_cmp_gt_i32_e32 vcc, s33, v1
	v_cndmask_b32_e32 v2, v5, v2, vcc
	v_ashrrev_i32_e32 v3, 31, v2
	v_lshlrev_b64 v[2:3], 2, v[2:3]
	v_mov_b32_e32 v1, s22
	v_add_co_u32_e32 v12, vcc, s21, v2
	v_addc_co_u32_e32 v13, vcc, v1, v3, vcc
	global_load_dword v5, v[6:7], off
	global_load_dword v4, v[8:9], off
	;; [unrolled: 1-line block ×4, first 2 shown]
	s_load_dwordx2 s[16:17], s[4:5], 0x8
	s_andn2_b64 vcc, exec, s[12:13]
	s_cbranch_vccnz .LBB907_8
; %bb.6:
	s_add_u32 s6, s6, s14
	s_addc_u32 s7, s7, s15
	s_load_dword s11, s[6:7], 0x0
	s_branch .LBB907_9
.LBB907_7:
	s_mov_b64 s[16:17], 0
	s_branch .LBB907_2
.LBB907_8:
	s_mov_b32 s11, s8
.LBB907_9:
	s_load_dwordx2 s[6:7], s[4:5], 0x10
	s_load_dwordx4 s[12:15], s[4:5], 0x48
	v_lshrrev_b32_e32 v27, 6, v0
	v_bfe_u32 v1, v0, 4, 2
	v_and_b32_e32 v41, 15, v0
	v_lshl_or_b32 v6, v27, 2, v1
	v_lshlrev_b32_e32 v7, 3, v41
	s_mul_i32 s27, s10, 14
	v_cmp_gt_u32_e32 vcc, 14, v6
	v_lshlrev_b32_e32 v39, 1, v7
	v_lshlrev_b32_e32 v43, 4, v0
	s_and_saveexec_b64 s[18:19], vcc
	s_cbranch_execz .LBB907_11
; %bb.10:
	s_load_dwordx2 s[24:25], s[4:5], 0x0
	s_waitcnt lgkmcnt(0)
	s_ashr_i32 s15, s12, 31
	s_mul_hi_u32 s28, s11, s12
	s_mul_i32 s15, s11, s15
	s_add_i32 s29, s28, s15
	s_mul_i32 s28, s11, s12
	s_lshl_b64 s[28:29], s[28:29], 1
	v_add_lshl_u32 v8, v6, s27, 7
	s_add_u32 s11, s24, s28
	v_ashrrev_i32_e32 v9, 31, v8
	s_addc_u32 s12, s25, s29
	v_lshlrev_b64 v[8:9], 1, v[8:9]
	v_mov_b32_e32 v7, s12
	v_add_co_u32_e32 v8, vcc, s11, v8
	v_addc_co_u32_e32 v7, vcc, v7, v9, vcc
	v_add_co_u32_e32 v8, vcc, v8, v39
	v_addc_co_u32_e32 v9, vcc, 0, v7, vcc
	global_load_dwordx4 v[8:11], v[8:9], off
	v_lshlrev_b32_e32 v12, 8, v0
	v_lshlrev_b32_e32 v7, 8, v41
	v_and_b32_e32 v12, 0x600, v12
	s_movk_i32 s11, 0x800
	v_and_or_b32 v7, v7, s11, v12
	v_lshlrev_b32_e32 v6, 5, v6
	v_and_b32_e32 v12, 16, v43
	v_or3_b32 v6, v7, v6, v12
	s_waitcnt vmcnt(0)
	ds_write_b128 v6, v[8:11]
.LBB907_11:
	s_or_b64 exec, exec, s[18:19]
	s_waitcnt lgkmcnt(0)
	s_mul_i32 s14, s10, s14
	s_add_u32 s10, s16, s14
	s_addc_u32 s11, s17, 0
	v_and_b32_e32 v6, 0xf0, v43
	v_mov_b32_e32 v7, s11
	v_add_co_u32_e32 v6, vcc, s10, v6
	v_and_b32_e32 v18, 48, v0
	v_addc_co_u32_e32 v7, vcc, 0, v7, vcc
	v_lshlrev_b32_e32 v10, 4, v18
	s_waitcnt vmcnt(3)
	v_mad_i64_i32 v[8:9], s[10:11], v5, s13, v[6:7]
	v_add_co_u32_e32 v8, vcc, v8, v10
	v_addc_co_u32_e32 v9, vcc, 0, v9, vcc
	s_waitcnt vmcnt(2)
	v_mad_i64_i32 v[4:5], s[10:11], v4, s13, v[6:7]
	v_add_co_u32_e32 v4, vcc, v4, v10
	v_addc_co_u32_e32 v5, vcc, 0, v5, vcc
	s_load_dwordx2 s[48:49], s[4:5], 0x94
	s_waitcnt lgkmcnt(0)
	s_barrier
	global_load_dwordx4 v[20:23], v[8:9], off
	global_load_dwordx4 v[28:31], v[8:9], off offset:1024
	global_load_dwordx4 v[32:35], v[4:5], off
	global_load_dwordx4 v[44:47], v[4:5], off offset:1024
	s_waitcnt vmcnt(5)
	v_mad_i64_i32 v[4:5], s[10:11], v3, s13, v[6:7]
	v_add_co_u32_e32 v4, vcc, v4, v10
	v_addc_co_u32_e32 v5, vcc, 0, v5, vcc
	s_waitcnt vmcnt(4)
	v_mad_i64_i32 v[2:3], s[10:11], v2, s13, v[6:7]
	v_add_co_u32_e32 v2, vcc, v2, v10
	v_addc_co_u32_e32 v3, vcc, 0, v3, vcc
	global_load_dwordx4 v[48:51], v[4:5], off
	global_load_dwordx4 v[52:55], v[4:5], off offset:1024
	global_load_dwordx4 v[56:59], v[2:3], off
	global_load_dwordx4 v[60:63], v[2:3], off offset:1024
	v_add_u32_e32 v2, -14, v41
	v_cmp_gt_u32_e32 vcc, 14, v41
	v_cndmask_b32_e32 v2, v2, v41, vcc
	v_lshlrev_b32_e32 v2, 5, v2
	v_lshl_add_u32 v14, v1, 9, v2
	s_load_dwordx2 s[50:51], s[4:5], 0x68
	s_load_dwordx4 s[44:47], s[4:5], 0x58
	ds_read_b128 v[2:5], v14
	ds_read_b128 v[6:9], v14 offset:16
	ds_read_b128 v[10:13], v14 offset:2048
	;; [unrolled: 1-line block ×3, first 2 shown]
	s_mov_b32 s12, 0
	s_waitcnt vmcnt(7)
	buffer_store_dword v23, off, s[0:3], 0 offset:12
	buffer_store_dword v22, off, s[0:3], 0 offset:8
	;; [unrolled: 1-line block ×3, first 2 shown]
	buffer_store_dword v20, off, s[0:3], 0
	s_waitcnt vmcnt(10)
	buffer_store_dword v31, off, s[0:3], 0 offset:28
	buffer_store_dword v30, off, s[0:3], 0 offset:24
	buffer_store_dword v29, off, s[0:3], 0 offset:20
	buffer_store_dword v28, off, s[0:3], 0 offset:16
	s_waitcnt vmcnt(13)
	buffer_store_dword v35, off, s[0:3], 0 offset:44
	buffer_store_dword v34, off, s[0:3], 0 offset:40
	buffer_store_dword v33, off, s[0:3], 0 offset:36
	buffer_store_dword v32, off, s[0:3], 0 offset:32
	;; [unrolled: 5-line block ×7, first 2 shown]
	v_mov_b32_e32 v35, 0
	v_mov_b32_e32 v31, 0
	s_and_saveexec_b64 s[10:11], vcc
	s_cbranch_execz .LBB907_13
; %bb.12:
	s_load_dwordx2 s[16:17], s[4:5], 0x40
	v_add_u32_e32 v20, s27, v41
	v_ashrrev_i32_e32 v21, 31, v20
	v_lshlrev_b64 v[20:21], 2, v[20:21]
	s_waitcnt lgkmcnt(0)
	v_mov_b32_e32 v19, s17
	v_add_co_u32_e32 v20, vcc, s16, v20
	v_addc_co_u32_e32 v21, vcc, v19, v21, vcc
	global_load_dword v31, v[20:21], off
.LBB907_13:
	s_or_b64 exec, exec, s[10:11]
	v_or_b32_e32 v22, s20, v18
	v_ashrrev_i32_e32 v18, 4, v22
	v_mov_b32_e32 v23, s23
	v_cmp_gt_i32_e32 vcc, s33, v22
	v_cndmask_b32_e32 v18, v23, v18, vcc
	v_ashrrev_i32_e32 v19, 31, v18
	v_lshlrev_b64 v[18:19], 2, v[18:19]
	v_mov_b32_e32 v20, s22
	v_add_co_u32_e32 v18, vcc, s21, v18
	v_addc_co_u32_e32 v19, vcc, v20, v19, vcc
	global_load_dword v26, v[18:19], off
	v_or_b32_e32 v18, 64, v22
	v_ashrrev_i32_e32 v19, 4, v18
	v_cmp_gt_i32_e32 vcc, s33, v18
	v_cndmask_b32_e32 v18, v23, v19, vcc
	v_ashrrev_i32_e32 v19, 31, v18
	v_lshlrev_b64 v[18:19], 2, v[18:19]
	v_add_co_u32_e32 v18, vcc, s21, v18
	v_addc_co_u32_e32 v19, vcc, v20, v19, vcc
	v_or_b32_e32 v20, 0x80, v22
	v_ashrrev_i32_e32 v21, 4, v20
	v_cmp_gt_i32_e32 vcc, s33, v20
	v_cndmask_b32_e32 v20, v23, v21, vcc
	v_ashrrev_i32_e32 v21, 31, v20
	v_lshlrev_b64 v[20:21], 2, v[20:21]
	v_mov_b32_e32 v24, s22
	v_add_co_u32_e32 v20, vcc, s21, v20
	v_addc_co_u32_e32 v21, vcc, v24, v21, vcc
	global_load_dword v28, v[18:19], off
	global_load_dword v30, v[20:21], off
	v_or_b32_e32 v18, 0xc0, v22
	v_ashrrev_i32_e32 v19, 4, v18
	v_cmp_gt_i32_e32 vcc, s33, v18
	v_cndmask_b32_e32 v18, v23, v19, vcc
	v_ashrrev_i32_e32 v19, 31, v18
	v_lshlrev_b64 v[18:19], 2, v[18:19]
	v_mov_b32_e32 v20, s22
	v_add_co_u32_e32 v18, vcc, s21, v18
	v_addc_co_u32_e32 v19, vcc, v20, v19, vcc
	global_load_dword v34, v[18:19], off
	s_add_u32 s10, s6, s14
	v_lshl_or_b32 v29, v27, 4, v41
	s_addc_u32 s6, s7, 0
	v_lshlrev_b32_e32 v18, 4, v29
	v_mov_b32_e32 v19, s6
	v_add_co_u32_e32 v22, vcc, s10, v18
	v_addc_co_u32_e32 v23, vcc, 0, v19, vcc
	v_or_b32_e32 v24, 0x400, v18
	v_mov_b32_e32 v25, s6
	v_add_co_u32_e32 v24, vcc, s10, v24
	v_addc_co_u32_e32 v25, vcc, 0, v25, vcc
	v_mov_b32_e32 v36, 0
	s_movk_i32 s14, 0x7f
	s_mov_b32 s15, 0xffffff
	s_mov_b32 s16, 0x5040100
	v_mov_b32_e32 v37, 0x100
	v_bfrev_b32_e32 v38, 60
	s_waitcnt vmcnt(3)
	v_mad_i64_i32 v[18:19], s[6:7], v26, s13, v[22:23]
	global_load_dwordx4 v[18:21], v[18:19], off
	v_mad_i64_i32 v[32:33], s[6:7], v26, s13, v[24:25]
	global_load_dwordx4 v[52:55], v[32:33], off
	s_waitcnt vmcnt(4)
	v_mad_i64_i32 v[32:33], s[6:7], v28, s13, v[22:23]
	global_load_dwordx4 v[56:59], v[32:33], off
	s_waitcnt vmcnt(4)
	;; [unrolled: 3-line block ×3, first 2 shown]
	v_mad_i64_i32 v[22:23], s[6:7], v34, s13, v[22:23]
	global_load_dwordx4 v[64:67], v[22:23], off
	v_mad_i64_i32 v[22:23], s[6:7], v28, s13, v[24:25]
	global_load_dwordx4 v[68:71], v[22:23], off
	;; [unrolled: 2-line block ×4, first 2 shown]
	s_load_dword s6, s[4:5], 0x1c
	s_load_dwordx4 s[40:43], s[4:5], 0x80
	v_mov_b32_e32 v22, 0x80
	v_add_u32_e32 v45, 16, v22
	v_add_u32_e32 v46, 32, v22
	;; [unrolled: 1-line block ×3, first 2 shown]
	s_waitcnt lgkmcnt(0)
	s_load_dword s4, s[40:41], 0x0
	v_add_u32_e32 v51, 64, v22
	v_add_u32_e32 v48, 0x50, v22
	;; [unrolled: 1-line block ×4, first 2 shown]
	v_mov_b32_e32 v22, s6
	s_waitcnt lgkmcnt(0)
	v_mul_f32_e32 v22, s4, v22
	v_and_b32_e32 v33, 63, v0
	s_movk_i32 s13, 0x80
	v_mov_b32_e32 v24, v22
	v_mov_b32_e32 v25, v22
	s_waitcnt vmcnt(7)
	buffer_store_dword v21, off, s[0:3], 0 offset:140
	buffer_store_dword v20, off, s[0:3], 0 offset:136
	buffer_store_dword v19, off, s[0:3], 0 offset:132
	buffer_store_dword v18, off, s[0:3], 0 offset:128
	s_waitcnt vmcnt(10)
	buffer_store_dword v55, off, s[0:3], 0 offset:156
	buffer_store_dword v54, off, s[0:3], 0 offset:152
	buffer_store_dword v53, off, s[0:3], 0 offset:148
	buffer_store_dword v52, off, s[0:3], 0 offset:144
	;; [unrolled: 5-line block ×8, first 2 shown]
	s_branch .LBB907_17
.LBB907_14:                             ;   in Loop: Header=BB907_17 Depth=1
	s_or_b64 exec, exec, s[10:11]
.LBB907_15:                             ;   in Loop: Header=BB907_17 Depth=1
	s_or_b64 exec, exec, s[6:7]
.LBB907_16:                             ;   in Loop: Header=BB907_17 Depth=1
	s_or_b64 exec, exec, s[4:5]
	v_perm_b32 v55, v40, v34, s16
	v_perm_b32 v54, v23, v32, s16
	v_perm_b32 v53, v52, v44, s16
	v_perm_b32 v52, v30, v42, s16
	v_add_u32_e32 v26, s12, v37
	v_mfma_f32_16x16x16bf16_1k v[18:21], v[54:55], v[14:15], v[18:21]
	s_add_i32 s12, s12, 16
	v_mov_b32_e32 v23, v22
	s_cmp_eq_u32 s12, 64
	v_add_u32_e32 v36, 32, v36
	v_mfma_f32_16x16x16bf16_1k v[18:21], v[52:53], v[16:17], v[18:21]
	s_nop 7
	s_nop 2
	v_pk_mul_f32 v[18:19], v[24:25], v[18:19]
	v_pk_mul_f32 v[20:21], v[22:23], v[20:21]
	buffer_store_dword v19, v26, s[0:3], 0 offen offset:4
	buffer_store_dword v18, v26, s[0:3], 0 offen
	buffer_store_dword v21, v26, s[0:3], 0 offen offset:12
	buffer_store_dword v20, v26, s[0:3], 0 offen offset:8
	s_cbranch_scc1 .LBB907_207
.LBB907_17:                             ; =>This Inner Loop Header: Depth=1
	buffer_load_dword v20, v36, s[0:3], 0 offen
	buffer_load_dword v18, v36, s[0:3], 0 offen offset:4
	buffer_load_dword v28, v36, s[0:3], 0 offen offset:8
	buffer_load_dword v26, v36, s[0:3], 0 offen offset:12
	v_mov_b32_e32 v19, 0
	v_mov_b32_e32 v21, 0
	s_waitcnt vmcnt(3)
	v_cmp_ne_u16_sdwa s[6:7], v20, v35 src0_sel:BYTE_0 src1_sel:DWORD
	s_and_saveexec_b64 s[4:5], s[6:7]
	s_cbranch_execz .LBB907_23
; %bb.18:                               ;   in Loop: Header=BB907_17 Depth=1
	v_cmp_ne_u16_sdwa s[10:11], v20, s13 src0_sel:BYTE_0 src1_sel:DWORD
	v_mov_b32_e32 v21, 0xffff8000
	s_and_saveexec_b64 s[6:7], s[10:11]
	s_cbranch_execz .LBB907_22
; %bb.19:                               ;   in Loop: Header=BB907_17 Depth=1
	v_and_b32_e32 v23, 0x7f, v20
	v_cmp_ne_u32_e32 vcc, s14, v23
	v_mov_b32_e32 v21, 0x7f80
	s_and_saveexec_b64 s[10:11], vcc
	s_cbranch_execz .LBB907_21
; %bb.20:                               ;   in Loop: Header=BB907_17 Depth=1
	v_and_b32_e32 v21, 7, v20
	v_ffbh_u32_e32 v32, v21
	v_min_u32_e32 v32, 32, v32
	v_subrev_u32_e32 v34, 28, v32
	v_lshlrev_b64 v[52:53], v34, v[20:21]
	v_lshrrev_b32_e32 v30, 3, v23
	v_sub_u32_e32 v32, 29, v32
	v_and_b32_e32 v34, 7, v52
	v_cmp_gt_u32_e32 vcc, 8, v23
	v_cndmask_b32_e32 v23, v30, v32, vcc
	v_cndmask_b32_e32 v21, v21, v34, vcc
	v_lshlrev_b32_e32 v30, 24, v20
	v_lshlrev_b32_e32 v21, 20, v21
	v_and_b32_e32 v30, 0x80000000, v30
	v_lshl_add_u32 v23, v23, 23, v38
	v_or3_b32 v21, v30, v23, v21
	v_lshrrev_b32_e32 v21, 16, v21
.LBB907_21:                             ;   in Loop: Header=BB907_17 Depth=1
	s_or_b64 exec, exec, s[10:11]
.LBB907_22:                             ;   in Loop: Header=BB907_17 Depth=1
	s_or_b64 exec, exec, s[6:7]
.LBB907_23:                             ;   in Loop: Header=BB907_17 Depth=1
	s_or_b64 exec, exec, s[4:5]
	v_lshrrev_b16_e32 v30, 8, v20
	v_cmp_ne_u16_e32 vcc, 0, v30
	s_and_saveexec_b64 s[4:5], vcc
	s_cbranch_execz .LBB907_29
; %bb.24:                               ;   in Loop: Header=BB907_17 Depth=1
	v_cmp_ne_u16_e32 vcc, s13, v30
	v_mov_b32_e32 v19, 0xffff8000
	s_and_saveexec_b64 s[6:7], vcc
	s_cbranch_execz .LBB907_28
; %bb.25:                               ;   in Loop: Header=BB907_17 Depth=1
	v_and_b32_e32 v23, 0x7f, v30
	v_cmp_ne_u32_e32 vcc, s14, v23
	v_mov_b32_e32 v19, 0x7f80
	s_and_saveexec_b64 s[10:11], vcc
	s_cbranch_execz .LBB907_27
; %bb.26:                               ;   in Loop: Header=BB907_17 Depth=1
	v_and_b32_e32 v19, 7, v30
	v_ffbh_u32_e32 v34, v19
	v_min_u32_e32 v34, 32, v34
	v_subrev_u32_e32 v40, 28, v34
	v_lshlrev_b64 v[52:53], v40, v[30:31]
	v_lshrrev_b32_e32 v32, 3, v23
	v_sub_u32_e32 v30, 29, v34
	v_and_b32_e32 v34, 7, v52
	v_cmp_gt_u32_e32 vcc, 8, v23
	v_cndmask_b32_e32 v23, v32, v30, vcc
	v_cndmask_b32_e32 v19, v19, v34, vcc
	v_lshlrev_b32_e32 v30, 16, v20
	v_lshlrev_b32_e32 v19, 20, v19
	v_and_b32_e32 v30, 0x80000000, v30
	v_lshl_add_u32 v23, v23, 23, v38
	v_or3_b32 v19, v30, v23, v19
	v_lshrrev_b32_e32 v19, 16, v19
.LBB907_27:                             ;   in Loop: Header=BB907_17 Depth=1
	s_or_b64 exec, exec, s[10:11]
.LBB907_28:                             ;   in Loop: Header=BB907_17 Depth=1
	s_or_b64 exec, exec, s[6:7]
.LBB907_29:                             ;   in Loop: Header=BB907_17 Depth=1
	s_or_b64 exec, exec, s[4:5]
	v_lshrrev_b32_e32 v30, 16, v20
	v_cmp_ne_u16_sdwa s[6:7], v30, v35 src0_sel:BYTE_0 src1_sel:DWORD
	v_mov_b32_e32 v32, 0
	v_mov_b32_e32 v23, 0
	s_and_saveexec_b64 s[4:5], s[6:7]
	s_cbranch_execz .LBB907_35
; %bb.30:                               ;   in Loop: Header=BB907_17 Depth=1
	v_cmp_ne_u16_sdwa s[10:11], v30, s13 src0_sel:BYTE_0 src1_sel:DWORD
	v_mov_b32_e32 v23, 0xffff8000
	s_and_saveexec_b64 s[6:7], s[10:11]
	s_cbranch_execz .LBB907_34
; %bb.31:                               ;   in Loop: Header=BB907_17 Depth=1
	v_bfe_u32 v34, v20, 16, 7
	v_cmp_ne_u32_e32 vcc, s14, v34
	v_mov_b32_e32 v23, 0x7f80
	s_and_saveexec_b64 s[10:11], vcc
	s_cbranch_execz .LBB907_33
; %bb.32:                               ;   in Loop: Header=BB907_17 Depth=1
	v_and_b32_e32 v23, 7, v30
	v_ffbh_u32_e32 v42, v23
	v_min_u32_e32 v42, 32, v42
	v_subrev_u32_e32 v44, 28, v42
	v_lshlrev_b64 v[52:53], v44, v[30:31]
	v_lshrrev_b32_e32 v40, 3, v34
	v_sub_u32_e32 v42, 29, v42
	v_and_b32_e32 v44, 7, v52
	v_cmp_gt_u32_e32 vcc, 8, v34
	v_cndmask_b32_e32 v34, v40, v42, vcc
	v_cndmask_b32_e32 v23, v23, v44, vcc
	v_lshlrev_b32_e32 v30, 24, v30
	v_lshlrev_b32_e32 v23, 20, v23
	v_and_b32_e32 v30, 0x80000000, v30
	v_lshl_add_u32 v34, v34, 23, v38
	v_or3_b32 v23, v30, v34, v23
	v_lshrrev_b32_e32 v23, 16, v23
.LBB907_33:                             ;   in Loop: Header=BB907_17 Depth=1
	s_or_b64 exec, exec, s[10:11]
.LBB907_34:                             ;   in Loop: Header=BB907_17 Depth=1
	s_or_b64 exec, exec, s[6:7]
.LBB907_35:                             ;   in Loop: Header=BB907_17 Depth=1
	s_or_b64 exec, exec, s[4:5]
	v_cmp_lt_u32_e32 vcc, s15, v20
	s_and_saveexec_b64 s[4:5], vcc
	s_cbranch_execz .LBB907_41
; %bb.36:                               ;   in Loop: Header=BB907_17 Depth=1
	v_lshrrev_b32_e32 v30, 24, v20
	v_cmp_ne_u32_e32 vcc, s13, v30
	v_mov_b32_e32 v32, 0xffff8000
	s_and_saveexec_b64 s[6:7], vcc
	s_cbranch_execz .LBB907_40
; %bb.37:                               ;   in Loop: Header=BB907_17 Depth=1
	v_bfe_u32 v20, v20, 24, 7
	v_cmp_ne_u32_e32 vcc, s14, v20
	v_mov_b32_e32 v32, 0x7f80
	s_and_saveexec_b64 s[10:11], vcc
	s_cbranch_execz .LBB907_39
; %bb.38:                               ;   in Loop: Header=BB907_17 Depth=1
	v_and_b32_e32 v32, 7, v30
	v_ffbh_u32_e32 v40, v32
	v_min_u32_e32 v40, 32, v40
	v_subrev_u32_e32 v42, 28, v40
	v_lshlrev_b64 v[52:53], v42, v[30:31]
	v_lshrrev_b32_e32 v34, 3, v20
	v_sub_u32_e32 v40, 29, v40
	v_and_b32_e32 v42, 7, v52
	v_cmp_gt_u32_e32 vcc, 8, v20
	v_cndmask_b32_e32 v20, v34, v40, vcc
	v_cndmask_b32_e32 v32, v32, v42, vcc
	v_lshlrev_b32_e32 v30, 24, v30
	v_lshlrev_b32_e32 v32, 20, v32
	v_and_b32_e32 v30, 0x80000000, v30
	v_lshl_add_u32 v20, v20, 23, v38
	v_or3_b32 v20, v30, v20, v32
	v_lshrrev_b32_e32 v32, 16, v20
.LBB907_39:                             ;   in Loop: Header=BB907_17 Depth=1
	s_or_b64 exec, exec, s[10:11]
.LBB907_40:                             ;   in Loop: Header=BB907_17 Depth=1
	s_or_b64 exec, exec, s[6:7]
.LBB907_41:                             ;   in Loop: Header=BB907_17 Depth=1
	s_or_b64 exec, exec, s[4:5]
	s_waitcnt vmcnt(2)
	v_cmp_ne_u16_sdwa s[6:7], v18, v35 src0_sel:BYTE_0 src1_sel:DWORD
	v_mov_b32_e32 v30, 0
	v_mov_b32_e32 v34, 0
	s_and_saveexec_b64 s[4:5], s[6:7]
	s_cbranch_execz .LBB907_47
; %bb.42:                               ;   in Loop: Header=BB907_17 Depth=1
	v_cmp_ne_u16_sdwa s[10:11], v18, s13 src0_sel:BYTE_0 src1_sel:DWORD
	v_mov_b32_e32 v34, 0xffff8000
	s_and_saveexec_b64 s[6:7], s[10:11]
	s_cbranch_execz .LBB907_46
; %bb.43:                               ;   in Loop: Header=BB907_17 Depth=1
	v_and_b32_e32 v20, 0x7f, v18
	v_cmp_ne_u32_e32 vcc, s14, v20
	v_mov_b32_e32 v34, 0x7f80
	s_and_saveexec_b64 s[10:11], vcc
	s_cbranch_execz .LBB907_45
; %bb.44:                               ;   in Loop: Header=BB907_17 Depth=1
	v_and_b32_e32 v34, 7, v18
	v_ffbh_u32_e32 v42, v34
	v_min_u32_e32 v42, 32, v42
	v_subrev_u32_e32 v44, 28, v42
	v_lshlrev_b64 v[52:53], v44, v[18:19]
	v_lshrrev_b32_e32 v40, 3, v20
	v_sub_u32_e32 v42, 29, v42
	v_and_b32_e32 v44, 7, v52
	v_cmp_gt_u32_e32 vcc, 8, v20
	v_cndmask_b32_e32 v20, v40, v42, vcc
	v_cndmask_b32_e32 v34, v34, v44, vcc
	v_lshlrev_b32_e32 v40, 24, v18
	v_lshlrev_b32_e32 v34, 20, v34
	v_and_b32_e32 v40, 0x80000000, v40
	v_lshl_add_u32 v20, v20, 23, v38
	v_or3_b32 v20, v40, v20, v34
	v_lshrrev_b32_e32 v34, 16, v20
.LBB907_45:                             ;   in Loop: Header=BB907_17 Depth=1
	s_or_b64 exec, exec, s[10:11]
.LBB907_46:                             ;   in Loop: Header=BB907_17 Depth=1
	s_or_b64 exec, exec, s[6:7]
.LBB907_47:                             ;   in Loop: Header=BB907_17 Depth=1
	s_or_b64 exec, exec, s[4:5]
	v_lshrrev_b16_e32 v20, 8, v18
	v_cmp_ne_u16_e32 vcc, 0, v20
	s_and_saveexec_b64 s[4:5], vcc
	s_cbranch_execz .LBB907_53
; %bb.48:                               ;   in Loop: Header=BB907_17 Depth=1
	v_cmp_ne_u16_e32 vcc, s13, v20
	v_mov_b32_e32 v30, 0xffff8000
	s_and_saveexec_b64 s[6:7], vcc
	s_cbranch_execz .LBB907_52
; %bb.49:                               ;   in Loop: Header=BB907_17 Depth=1
	v_and_b32_e32 v40, 0x7f, v20
	v_cmp_ne_u32_e32 vcc, s14, v40
	v_mov_b32_e32 v30, 0x7f80
	s_and_saveexec_b64 s[10:11], vcc
	s_cbranch_execz .LBB907_51
; %bb.50:                               ;   in Loop: Header=BB907_17 Depth=1
	v_and_b32_e32 v30, 7, v20
	v_ffbh_u32_e32 v44, v30
	v_min_u32_e32 v44, 32, v44
	v_subrev_u32_e32 v52, 28, v44
	v_lshlrev_b64 v[52:53], v52, v[20:21]
	v_lshrrev_b32_e32 v42, 3, v40
	v_sub_u32_e32 v20, 29, v44
	v_and_b32_e32 v44, 7, v52
	v_cmp_gt_u32_e32 vcc, 8, v40
	v_cndmask_b32_e32 v20, v42, v20, vcc
	v_cndmask_b32_e32 v30, v30, v44, vcc
	v_lshlrev_b32_e32 v40, 16, v18
	v_lshlrev_b32_e32 v30, 20, v30
	v_and_b32_e32 v40, 0x80000000, v40
	v_lshl_add_u32 v20, v20, 23, v38
	v_or3_b32 v20, v40, v20, v30
	v_lshrrev_b32_e32 v30, 16, v20
.LBB907_51:                             ;   in Loop: Header=BB907_17 Depth=1
	s_or_b64 exec, exec, s[10:11]
.LBB907_52:                             ;   in Loop: Header=BB907_17 Depth=1
	s_or_b64 exec, exec, s[6:7]
.LBB907_53:                             ;   in Loop: Header=BB907_17 Depth=1
	s_or_b64 exec, exec, s[4:5]
	v_lshrrev_b32_e32 v20, 16, v18
	v_cmp_ne_u16_sdwa s[6:7], v20, v35 src0_sel:BYTE_0 src1_sel:DWORD
	v_mov_b32_e32 v42, 0
	v_mov_b32_e32 v40, 0
	s_and_saveexec_b64 s[4:5], s[6:7]
	s_cbranch_execz .LBB907_59
; %bb.54:                               ;   in Loop: Header=BB907_17 Depth=1
	v_cmp_ne_u16_sdwa s[10:11], v20, s13 src0_sel:BYTE_0 src1_sel:DWORD
	v_mov_b32_e32 v40, 0xffff8000
	s_and_saveexec_b64 s[6:7], s[10:11]
	s_cbranch_execz .LBB907_58
; %bb.55:                               ;   in Loop: Header=BB907_17 Depth=1
	v_bfe_u32 v44, v18, 16, 7
	v_cmp_ne_u32_e32 vcc, s14, v44
	v_mov_b32_e32 v40, 0x7f80
	s_and_saveexec_b64 s[10:11], vcc
	s_cbranch_execz .LBB907_57
; %bb.56:                               ;   in Loop: Header=BB907_17 Depth=1
	v_and_b32_e32 v40, 7, v20
	v_ffbh_u32_e32 v52, v40
	v_min_u32_e32 v55, 32, v52
	v_subrev_u32_e32 v52, 28, v55
	v_lshlrev_b64 v[52:53], v52, v[20:21]
	v_lshrrev_b32_e32 v54, 3, v44
	v_sub_u32_e32 v53, 29, v55
	v_and_b32_e32 v52, 7, v52
	v_cmp_gt_u32_e32 vcc, 8, v44
	v_cndmask_b32_e32 v44, v54, v53, vcc
	v_cndmask_b32_e32 v40, v40, v52, vcc
	v_lshlrev_b32_e32 v20, 24, v20
	v_lshlrev_b32_e32 v40, 20, v40
	v_and_b32_e32 v20, 0x80000000, v20
	v_lshl_add_u32 v44, v44, 23, v38
	v_or3_b32 v20, v20, v44, v40
	v_lshrrev_b32_e32 v40, 16, v20
.LBB907_57:                             ;   in Loop: Header=BB907_17 Depth=1
	s_or_b64 exec, exec, s[10:11]
.LBB907_58:                             ;   in Loop: Header=BB907_17 Depth=1
	s_or_b64 exec, exec, s[6:7]
.LBB907_59:                             ;   in Loop: Header=BB907_17 Depth=1
	s_or_b64 exec, exec, s[4:5]
	v_cmp_lt_u32_e32 vcc, s15, v18
	s_and_saveexec_b64 s[4:5], vcc
	s_cbranch_execz .LBB907_65
; %bb.60:                               ;   in Loop: Header=BB907_17 Depth=1
	v_lshrrev_b32_e32 v20, 24, v18
	v_cmp_ne_u32_e32 vcc, s13, v20
	v_mov_b32_e32 v42, 0xffff8000
	s_and_saveexec_b64 s[6:7], vcc
	s_cbranch_execz .LBB907_64
; %bb.61:                               ;   in Loop: Header=BB907_17 Depth=1
	v_bfe_u32 v18, v18, 24, 7
	v_cmp_ne_u32_e32 vcc, s14, v18
	v_mov_b32_e32 v42, 0x7f80
	s_and_saveexec_b64 s[10:11], vcc
	s_cbranch_execz .LBB907_63
; %bb.62:                               ;   in Loop: Header=BB907_17 Depth=1
	v_and_b32_e32 v42, 7, v20
	v_ffbh_u32_e32 v52, v42
	v_min_u32_e32 v54, 32, v52
	v_subrev_u32_e32 v52, 28, v54
	v_lshlrev_b64 v[52:53], v52, v[20:21]
	v_lshrrev_b32_e32 v44, 3, v18
	v_sub_u32_e32 v53, 29, v54
	v_and_b32_e32 v52, 7, v52
	v_cmp_gt_u32_e32 vcc, 8, v18
	v_cndmask_b32_e32 v18, v44, v53, vcc
	v_cndmask_b32_e32 v42, v42, v52, vcc
	v_lshlrev_b32_e32 v20, 24, v20
	v_lshlrev_b32_e32 v42, 20, v42
	v_and_b32_e32 v20, 0x80000000, v20
	v_lshl_add_u32 v18, v18, 23, v38
	v_or3_b32 v18, v20, v18, v42
	v_lshrrev_b32_e32 v42, 16, v18
.LBB907_63:                             ;   in Loop: Header=BB907_17 Depth=1
	s_or_b64 exec, exec, s[10:11]
.LBB907_64:                             ;   in Loop: Header=BB907_17 Depth=1
	s_or_b64 exec, exec, s[6:7]
.LBB907_65:                             ;   in Loop: Header=BB907_17 Depth=1
	s_or_b64 exec, exec, s[4:5]
	v_perm_b32 v53, v32, v23, s16
	v_perm_b32 v52, v19, v21, s16
	s_waitcnt vmcnt(1)
	v_cmp_ne_u16_sdwa s[6:7], v28, v35 src0_sel:BYTE_0 src1_sel:DWORD
	v_mov_b32_e32 v23, 0
	v_mov_b32_e32 v32, 0
	v_mfma_f32_16x16x16bf16_1k v[18:21], v[52:53], v[2:3], 0
	v_perm_b32 v53, v42, v40, s16
	v_perm_b32 v52, v30, v34, s16
	s_nop 1
	v_mfma_f32_16x16x16bf16_1k v[18:21], v[52:53], v[4:5], v[18:21]
	s_and_saveexec_b64 s[4:5], s[6:7]
	s_cbranch_execz .LBB907_71
; %bb.66:                               ;   in Loop: Header=BB907_17 Depth=1
	v_cmp_ne_u16_sdwa s[10:11], v28, s13 src0_sel:BYTE_0 src1_sel:DWORD
	v_mov_b32_e32 v32, 0xffff8000
	s_and_saveexec_b64 s[6:7], s[10:11]
	s_cbranch_execz .LBB907_70
; %bb.67:                               ;   in Loop: Header=BB907_17 Depth=1
	v_and_b32_e32 v30, 0x7f, v28
	v_cmp_ne_u32_e32 vcc, s14, v30
	v_mov_b32_e32 v32, 0x7f80
	s_and_saveexec_b64 s[10:11], vcc
	s_cbranch_execz .LBB907_69
; %bb.68:                               ;   in Loop: Header=BB907_17 Depth=1
	v_and_b32_e32 v32, 7, v28
	v_ffbh_u32_e32 v40, v32
	v_min_u32_e32 v40, 32, v40
	v_subrev_u32_e32 v42, 28, v40
	v_lshlrev_b64 v[52:53], v42, v[28:29]
	v_lshrrev_b32_e32 v34, 3, v30
	v_sub_u32_e32 v40, 29, v40
	v_and_b32_e32 v42, 7, v52
	v_cmp_gt_u32_e32 vcc, 8, v30
	v_cndmask_b32_e32 v30, v34, v40, vcc
	v_cndmask_b32_e32 v32, v32, v42, vcc
	v_lshlrev_b32_e32 v34, 24, v28
	v_lshlrev_b32_e32 v32, 20, v32
	v_and_b32_e32 v34, 0x80000000, v34
	v_lshl_add_u32 v30, v30, 23, v38
	v_or3_b32 v30, v34, v30, v32
	v_lshrrev_b32_e32 v32, 16, v30
.LBB907_69:                             ;   in Loop: Header=BB907_17 Depth=1
	s_or_b64 exec, exec, s[10:11]
.LBB907_70:                             ;   in Loop: Header=BB907_17 Depth=1
	s_or_b64 exec, exec, s[6:7]
.LBB907_71:                             ;   in Loop: Header=BB907_17 Depth=1
	s_or_b64 exec, exec, s[4:5]
	v_lshrrev_b16_e32 v30, 8, v28
	v_cmp_ne_u16_e32 vcc, 0, v30
	s_and_saveexec_b64 s[4:5], vcc
	s_cbranch_execz .LBB907_77
; %bb.72:                               ;   in Loop: Header=BB907_17 Depth=1
	v_cmp_ne_u16_e32 vcc, s13, v30
	v_mov_b32_e32 v23, 0xffff8000
	s_and_saveexec_b64 s[6:7], vcc
	s_cbranch_execz .LBB907_76
; %bb.73:                               ;   in Loop: Header=BB907_17 Depth=1
	v_and_b32_e32 v34, 0x7f, v30
	v_cmp_ne_u32_e32 vcc, s14, v34
	v_mov_b32_e32 v23, 0x7f80
	s_and_saveexec_b64 s[10:11], vcc
	s_cbranch_execz .LBB907_75
; %bb.74:                               ;   in Loop: Header=BB907_17 Depth=1
	v_and_b32_e32 v23, 7, v30
	v_ffbh_u32_e32 v42, v23
	v_min_u32_e32 v42, 32, v42
	v_subrev_u32_e32 v44, 28, v42
	v_lshlrev_b64 v[52:53], v44, v[30:31]
	v_lshrrev_b32_e32 v40, 3, v34
	v_sub_u32_e32 v30, 29, v42
	v_and_b32_e32 v42, 7, v52
	v_cmp_gt_u32_e32 vcc, 8, v34
	v_cndmask_b32_e32 v30, v40, v30, vcc
	v_cndmask_b32_e32 v23, v23, v42, vcc
	v_lshlrev_b32_e32 v34, 16, v28
	v_lshlrev_b32_e32 v23, 20, v23
	v_and_b32_e32 v34, 0x80000000, v34
	v_lshl_add_u32 v30, v30, 23, v38
	v_or3_b32 v23, v34, v30, v23
	v_lshrrev_b32_e32 v23, 16, v23
.LBB907_75:                             ;   in Loop: Header=BB907_17 Depth=1
	s_or_b64 exec, exec, s[10:11]
.LBB907_76:                             ;   in Loop: Header=BB907_17 Depth=1
	s_or_b64 exec, exec, s[6:7]
.LBB907_77:                             ;   in Loop: Header=BB907_17 Depth=1
	s_or_b64 exec, exec, s[4:5]
	v_lshrrev_b32_e32 v30, 16, v28
	v_cmp_ne_u16_sdwa s[6:7], v30, v35 src0_sel:BYTE_0 src1_sel:DWORD
	v_mov_b32_e32 v40, 0
	v_mov_b32_e32 v34, 0
	s_and_saveexec_b64 s[4:5], s[6:7]
	s_cbranch_execz .LBB907_83
; %bb.78:                               ;   in Loop: Header=BB907_17 Depth=1
	v_cmp_ne_u16_sdwa s[10:11], v30, s13 src0_sel:BYTE_0 src1_sel:DWORD
	v_mov_b32_e32 v34, 0xffff8000
	s_and_saveexec_b64 s[6:7], s[10:11]
	s_cbranch_execz .LBB907_82
; %bb.79:                               ;   in Loop: Header=BB907_17 Depth=1
	v_bfe_u32 v42, v28, 16, 7
	v_cmp_ne_u32_e32 vcc, s14, v42
	v_mov_b32_e32 v34, 0x7f80
	s_and_saveexec_b64 s[10:11], vcc
	s_cbranch_execz .LBB907_81
; %bb.80:                               ;   in Loop: Header=BB907_17 Depth=1
	v_and_b32_e32 v34, 7, v30
	v_ffbh_u32_e32 v52, v34
	v_min_u32_e32 v54, 32, v52
	v_subrev_u32_e32 v52, 28, v54
	v_lshlrev_b64 v[52:53], v52, v[30:31]
	v_lshrrev_b32_e32 v44, 3, v42
	v_sub_u32_e32 v53, 29, v54
	v_and_b32_e32 v52, 7, v52
	v_cmp_gt_u32_e32 vcc, 8, v42
	v_cndmask_b32_e32 v42, v44, v53, vcc
	v_cndmask_b32_e32 v34, v34, v52, vcc
	v_lshlrev_b32_e32 v30, 24, v30
	v_lshlrev_b32_e32 v34, 20, v34
	v_and_b32_e32 v30, 0x80000000, v30
	v_lshl_add_u32 v42, v42, 23, v38
	v_or3_b32 v30, v30, v42, v34
	v_lshrrev_b32_e32 v34, 16, v30
.LBB907_81:                             ;   in Loop: Header=BB907_17 Depth=1
	s_or_b64 exec, exec, s[10:11]
.LBB907_82:                             ;   in Loop: Header=BB907_17 Depth=1
	s_or_b64 exec, exec, s[6:7]
.LBB907_83:                             ;   in Loop: Header=BB907_17 Depth=1
	s_or_b64 exec, exec, s[4:5]
	v_cmp_lt_u32_e32 vcc, s15, v28
	s_and_saveexec_b64 s[4:5], vcc
	s_cbranch_execz .LBB907_89
; %bb.84:                               ;   in Loop: Header=BB907_17 Depth=1
	v_lshrrev_b32_e32 v30, 24, v28
	v_cmp_ne_u32_e32 vcc, s13, v30
	v_mov_b32_e32 v40, 0xffff8000
	s_and_saveexec_b64 s[6:7], vcc
	s_cbranch_execz .LBB907_88
; %bb.85:                               ;   in Loop: Header=BB907_17 Depth=1
	v_bfe_u32 v28, v28, 24, 7
	v_cmp_ne_u32_e32 vcc, s14, v28
	v_mov_b32_e32 v40, 0x7f80
	s_and_saveexec_b64 s[10:11], vcc
	s_cbranch_execz .LBB907_87
; %bb.86:                               ;   in Loop: Header=BB907_17 Depth=1
	v_and_b32_e32 v40, 7, v30
	v_ffbh_u32_e32 v44, v40
	v_min_u32_e32 v44, 32, v44
	v_subrev_u32_e32 v52, 28, v44
	v_lshlrev_b64 v[52:53], v52, v[30:31]
	v_lshrrev_b32_e32 v42, 3, v28
	v_sub_u32_e32 v44, 29, v44
	v_and_b32_e32 v52, 7, v52
	v_cmp_gt_u32_e32 vcc, 8, v28
	v_cndmask_b32_e32 v28, v42, v44, vcc
	v_cndmask_b32_e32 v40, v40, v52, vcc
	v_lshlrev_b32_e32 v30, 24, v30
	v_lshlrev_b32_e32 v40, 20, v40
	v_and_b32_e32 v30, 0x80000000, v30
	v_lshl_add_u32 v28, v28, 23, v38
	v_or3_b32 v28, v30, v28, v40
	v_lshrrev_b32_e32 v40, 16, v28
.LBB907_87:                             ;   in Loop: Header=BB907_17 Depth=1
	s_or_b64 exec, exec, s[10:11]
.LBB907_88:                             ;   in Loop: Header=BB907_17 Depth=1
	s_or_b64 exec, exec, s[6:7]
.LBB907_89:                             ;   in Loop: Header=BB907_17 Depth=1
	s_or_b64 exec, exec, s[4:5]
	s_waitcnt vmcnt(0)
	v_cmp_ne_u16_sdwa s[6:7], v26, v35 src0_sel:BYTE_0 src1_sel:DWORD
	v_mov_b32_e32 v42, 0
	v_mov_b32_e32 v44, 0
	s_and_saveexec_b64 s[4:5], s[6:7]
	s_cbranch_execz .LBB907_95
; %bb.90:                               ;   in Loop: Header=BB907_17 Depth=1
	v_cmp_ne_u16_sdwa s[10:11], v26, s13 src0_sel:BYTE_0 src1_sel:DWORD
	v_mov_b32_e32 v44, 0xffff8000
	s_and_saveexec_b64 s[6:7], s[10:11]
	s_cbranch_execz .LBB907_94
; %bb.91:                               ;   in Loop: Header=BB907_17 Depth=1
	v_and_b32_e32 v28, 0x7f, v26
	v_cmp_ne_u32_e32 vcc, s14, v28
	v_mov_b32_e32 v44, 0x7f80
	s_and_saveexec_b64 s[10:11], vcc
	s_cbranch_execz .LBB907_93
; %bb.92:                               ;   in Loop: Header=BB907_17 Depth=1
	v_and_b32_e32 v30, 7, v26
	v_ffbh_u32_e32 v52, v30
	v_min_u32_e32 v54, 32, v52
	v_subrev_u32_e32 v52, 28, v54
	v_lshlrev_b64 v[52:53], v52, v[26:27]
	v_lshrrev_b32_e32 v44, 3, v28
	v_sub_u32_e32 v53, 29, v54
	v_and_b32_e32 v52, 7, v52
	v_cmp_gt_u32_e32 vcc, 8, v28
	v_cndmask_b32_e32 v28, v44, v53, vcc
	v_cndmask_b32_e32 v30, v30, v52, vcc
	v_lshlrev_b32_e32 v44, 24, v26
	v_lshlrev_b32_e32 v30, 20, v30
	v_and_b32_e32 v44, 0x80000000, v44
	v_lshl_add_u32 v28, v28, 23, v38
	v_or3_b32 v28, v44, v28, v30
	v_lshrrev_b32_e32 v44, 16, v28
.LBB907_93:                             ;   in Loop: Header=BB907_17 Depth=1
	s_or_b64 exec, exec, s[10:11]
.LBB907_94:                             ;   in Loop: Header=BB907_17 Depth=1
	s_or_b64 exec, exec, s[6:7]
.LBB907_95:                             ;   in Loop: Header=BB907_17 Depth=1
	s_or_b64 exec, exec, s[4:5]
	v_lshrrev_b16_e32 v28, 8, v26
	v_cmp_ne_u16_e32 vcc, 0, v28
	s_and_saveexec_b64 s[4:5], vcc
	s_cbranch_execz .LBB907_101
; %bb.96:                               ;   in Loop: Header=BB907_17 Depth=1
	v_cmp_ne_u16_e32 vcc, s13, v28
	v_mov_b32_e32 v42, 0xffff8000
	s_and_saveexec_b64 s[6:7], vcc
	s_cbranch_execz .LBB907_100
; %bb.97:                               ;   in Loop: Header=BB907_17 Depth=1
	v_and_b32_e32 v30, 0x7f, v28
	v_cmp_ne_u32_e32 vcc, s14, v30
	v_mov_b32_e32 v42, 0x7f80
	s_and_saveexec_b64 s[10:11], vcc
	s_cbranch_execz .LBB907_99
; %bb.98:                               ;   in Loop: Header=BB907_17 Depth=1
	v_and_b32_e32 v42, 7, v28
	v_ffbh_u32_e32 v52, v42
	v_min_u32_e32 v55, 32, v52
	v_subrev_u32_e32 v52, 28, v55
	v_lshlrev_b64 v[52:53], v52, v[28:29]
	v_lshrrev_b32_e32 v54, 3, v30
	v_sub_u32_e32 v28, 29, v55
	v_and_b32_e32 v52, 7, v52
	v_cmp_gt_u32_e32 vcc, 8, v30
	v_cndmask_b32_e32 v28, v54, v28, vcc
	v_cndmask_b32_e32 v30, v42, v52, vcc
	v_lshlrev_b32_e32 v42, 16, v26
	v_lshlrev_b32_e32 v30, 20, v30
	v_and_b32_e32 v42, 0x80000000, v42
	v_lshl_add_u32 v28, v28, 23, v38
	v_or3_b32 v28, v42, v28, v30
	v_lshrrev_b32_e32 v42, 16, v28
.LBB907_99:                             ;   in Loop: Header=BB907_17 Depth=1
	s_or_b64 exec, exec, s[10:11]
.LBB907_100:                            ;   in Loop: Header=BB907_17 Depth=1
	s_or_b64 exec, exec, s[6:7]
.LBB907_101:                            ;   in Loop: Header=BB907_17 Depth=1
	s_or_b64 exec, exec, s[4:5]
	v_lshrrev_b32_e32 v28, 16, v26
	v_cmp_ne_u16_sdwa s[6:7], v28, v35 src0_sel:BYTE_0 src1_sel:DWORD
	v_mov_b32_e32 v53, 0
	v_mov_b32_e32 v52, 0
	s_and_saveexec_b64 s[4:5], s[6:7]
	s_cbranch_execz .LBB907_107
; %bb.102:                              ;   in Loop: Header=BB907_17 Depth=1
	v_cmp_ne_u16_sdwa s[10:11], v28, s13 src0_sel:BYTE_0 src1_sel:DWORD
	v_mov_b32_e32 v52, 0xffff8000
	s_and_saveexec_b64 s[6:7], s[10:11]
	s_cbranch_execz .LBB907_106
; %bb.103:                              ;   in Loop: Header=BB907_17 Depth=1
	v_bfe_u32 v30, v26, 16, 7
	v_cmp_ne_u32_e32 vcc, s14, v30
	v_mov_b32_e32 v52, 0x7f80
	s_and_saveexec_b64 s[10:11], vcc
	s_cbranch_execz .LBB907_105
; %bb.104:                              ;   in Loop: Header=BB907_17 Depth=1
	v_and_b32_e32 v52, 7, v28
	v_ffbh_u32_e32 v54, v52
	v_min_u32_e32 v57, 32, v54
	v_subrev_u32_e32 v54, 28, v57
	v_lshlrev_b64 v[54:55], v54, v[28:29]
	v_lshrrev_b32_e32 v56, 3, v30
	v_sub_u32_e32 v55, 29, v57
	v_and_b32_e32 v54, 7, v54
	v_cmp_gt_u32_e32 vcc, 8, v30
	v_cndmask_b32_e32 v30, v56, v55, vcc
	v_cndmask_b32_e32 v52, v52, v54, vcc
	v_lshlrev_b32_e32 v28, 24, v28
	v_lshlrev_b32_e32 v52, 20, v52
	v_and_b32_e32 v28, 0x80000000, v28
	v_lshl_add_u32 v30, v30, 23, v38
	v_or3_b32 v28, v28, v30, v52
	v_lshrrev_b32_e32 v52, 16, v28
.LBB907_105:                            ;   in Loop: Header=BB907_17 Depth=1
	s_or_b64 exec, exec, s[10:11]
.LBB907_106:                            ;   in Loop: Header=BB907_17 Depth=1
	s_or_b64 exec, exec, s[6:7]
.LBB907_107:                            ;   in Loop: Header=BB907_17 Depth=1
	s_or_b64 exec, exec, s[4:5]
	v_cmp_lt_u32_e32 vcc, s15, v26
	s_and_saveexec_b64 s[4:5], vcc
	s_cbranch_execz .LBB907_113
; %bb.108:                              ;   in Loop: Header=BB907_17 Depth=1
	v_lshrrev_b32_e32 v28, 24, v26
	v_cmp_ne_u32_e32 vcc, s13, v28
	v_mov_b32_e32 v53, 0xffff8000
	s_and_saveexec_b64 s[6:7], vcc
	s_cbranch_execz .LBB907_112
; %bb.109:                              ;   in Loop: Header=BB907_17 Depth=1
	v_bfe_u32 v26, v26, 24, 7
	v_cmp_ne_u32_e32 vcc, s14, v26
	v_mov_b32_e32 v53, 0x7f80
	s_and_saveexec_b64 s[10:11], vcc
	s_cbranch_execz .LBB907_111
; %bb.110:                              ;   in Loop: Header=BB907_17 Depth=1
	v_and_b32_e32 v30, 7, v28
	v_ffbh_u32_e32 v54, v30
	v_min_u32_e32 v56, 32, v54
	v_subrev_u32_e32 v54, 28, v56
	v_lshlrev_b64 v[54:55], v54, v[28:29]
	v_lshrrev_b32_e32 v53, 3, v26
	v_sub_u32_e32 v55, 29, v56
	v_and_b32_e32 v54, 7, v54
	v_cmp_gt_u32_e32 vcc, 8, v26
	v_cndmask_b32_e32 v26, v53, v55, vcc
	v_cndmask_b32_e32 v30, v30, v54, vcc
	v_lshlrev_b32_e32 v28, 24, v28
	v_lshlrev_b32_e32 v30, 20, v30
	v_and_b32_e32 v28, 0x80000000, v28
	v_lshl_add_u32 v26, v26, 23, v38
	v_or3_b32 v26, v28, v26, v30
	v_lshrrev_b32_e32 v53, 16, v26
.LBB907_111:                            ;   in Loop: Header=BB907_17 Depth=1
	s_or_b64 exec, exec, s[10:11]
.LBB907_112:                            ;   in Loop: Header=BB907_17 Depth=1
	s_or_b64 exec, exec, s[6:7]
.LBB907_113:                            ;   in Loop: Header=BB907_17 Depth=1
	s_or_b64 exec, exec, s[4:5]
	v_perm_b32 v54, v23, v32, s16
	buffer_load_dword v32, v36, s[0:3], 0 offen offset:16
	buffer_load_dword v30, v36, s[0:3], 0 offen offset:20
	;; [unrolled: 1-line block ×4, first 2 shown]
	v_perm_b32 v55, v40, v34, s16
	v_perm_b32 v53, v53, v52, s16
	;; [unrolled: 1-line block ×3, first 2 shown]
	v_mfma_f32_16x16x16bf16_1k v[18:21], v[54:55], v[6:7], v[18:21]
	v_mov_b32_e32 v23, 0
	v_mov_b32_e32 v40, 0
	s_waitcnt vmcnt(3)
	v_cmp_ne_u16_sdwa s[6:7], v32, v35 src0_sel:BYTE_0 src1_sel:DWORD
	v_mfma_f32_16x16x16bf16_1k v[18:21], v[52:53], v[8:9], v[18:21]
	s_and_saveexec_b64 s[4:5], s[6:7]
	s_cbranch_execz .LBB907_119
; %bb.114:                              ;   in Loop: Header=BB907_17 Depth=1
	v_cmp_ne_u16_sdwa s[10:11], v32, s13 src0_sel:BYTE_0 src1_sel:DWORD
	v_mov_b32_e32 v40, 0xffff8000
	s_and_saveexec_b64 s[6:7], s[10:11]
	s_cbranch_execz .LBB907_118
; %bb.115:                              ;   in Loop: Header=BB907_17 Depth=1
	v_and_b32_e32 v34, 0x7f, v32
	v_cmp_ne_u32_e32 vcc, s14, v34
	v_mov_b32_e32 v40, 0x7f80
	s_and_saveexec_b64 s[10:11], vcc
	s_cbranch_execz .LBB907_117
; %bb.116:                              ;   in Loop: Header=BB907_17 Depth=1
	v_and_b32_e32 v40, 7, v32
	v_ffbh_u32_e32 v44, v40
	v_min_u32_e32 v44, 32, v44
	v_subrev_u32_e32 v52, 28, v44
	v_lshlrev_b64 v[52:53], v52, v[32:33]
	v_lshrrev_b32_e32 v42, 3, v34
	v_sub_u32_e32 v44, 29, v44
	v_and_b32_e32 v52, 7, v52
	v_cmp_gt_u32_e32 vcc, 8, v34
	v_cndmask_b32_e32 v34, v42, v44, vcc
	v_cndmask_b32_e32 v40, v40, v52, vcc
	v_lshlrev_b32_e32 v42, 24, v32
	v_lshlrev_b32_e32 v40, 20, v40
	v_and_b32_e32 v42, 0x80000000, v42
	v_lshl_add_u32 v34, v34, 23, v38
	v_or3_b32 v34, v42, v34, v40
	v_lshrrev_b32_e32 v40, 16, v34
.LBB907_117:                            ;   in Loop: Header=BB907_17 Depth=1
	s_or_b64 exec, exec, s[10:11]
.LBB907_118:                            ;   in Loop: Header=BB907_17 Depth=1
	s_or_b64 exec, exec, s[6:7]
.LBB907_119:                            ;   in Loop: Header=BB907_17 Depth=1
	s_or_b64 exec, exec, s[4:5]
	v_lshrrev_b16_e32 v34, 8, v32
	v_cmp_ne_u16_e32 vcc, 0, v34
	s_and_saveexec_b64 s[4:5], vcc
	s_cbranch_execz .LBB907_125
; %bb.120:                              ;   in Loop: Header=BB907_17 Depth=1
	v_cmp_ne_u16_e32 vcc, s13, v34
	v_mov_b32_e32 v23, 0xffff8000
	s_and_saveexec_b64 s[6:7], vcc
	s_cbranch_execz .LBB907_124
; %bb.121:                              ;   in Loop: Header=BB907_17 Depth=1
	v_and_b32_e32 v42, 0x7f, v34
	v_cmp_ne_u32_e32 vcc, s14, v42
	v_mov_b32_e32 v23, 0x7f80
	s_and_saveexec_b64 s[10:11], vcc
	s_cbranch_execz .LBB907_123
; %bb.122:                              ;   in Loop: Header=BB907_17 Depth=1
	v_and_b32_e32 v23, 7, v34
	v_ffbh_u32_e32 v52, v23
	v_min_u32_e32 v54, 32, v52
	v_subrev_u32_e32 v52, 28, v54
	v_lshlrev_b64 v[52:53], v52, v[34:35]
	v_lshrrev_b32_e32 v44, 3, v42
	v_sub_u32_e32 v34, 29, v54
	v_and_b32_e32 v52, 7, v52
	v_cmp_gt_u32_e32 vcc, 8, v42
	v_cndmask_b32_e32 v34, v44, v34, vcc
	v_cndmask_b32_e32 v23, v23, v52, vcc
	v_lshlrev_b32_e32 v42, 16, v32
	v_lshlrev_b32_e32 v23, 20, v23
	v_and_b32_e32 v42, 0x80000000, v42
	v_lshl_add_u32 v34, v34, 23, v38
	v_or3_b32 v23, v42, v34, v23
	v_lshrrev_b32_e32 v23, 16, v23
.LBB907_123:                            ;   in Loop: Header=BB907_17 Depth=1
	s_or_b64 exec, exec, s[10:11]
.LBB907_124:                            ;   in Loop: Header=BB907_17 Depth=1
	s_or_b64 exec, exec, s[6:7]
.LBB907_125:                            ;   in Loop: Header=BB907_17 Depth=1
	s_or_b64 exec, exec, s[4:5]
	v_lshrrev_b32_e32 v34, 16, v32
	v_cmp_ne_u16_sdwa s[6:7], v34, v35 src0_sel:BYTE_0 src1_sel:DWORD
	v_mov_b32_e32 v44, 0
	v_mov_b32_e32 v42, 0
	s_and_saveexec_b64 s[4:5], s[6:7]
	s_cbranch_execz .LBB907_131
; %bb.126:                              ;   in Loop: Header=BB907_17 Depth=1
	v_cmp_ne_u16_sdwa s[10:11], v34, s13 src0_sel:BYTE_0 src1_sel:DWORD
	v_mov_b32_e32 v42, 0xffff8000
	s_and_saveexec_b64 s[6:7], s[10:11]
	s_cbranch_execz .LBB907_130
; %bb.127:                              ;   in Loop: Header=BB907_17 Depth=1
	v_bfe_u32 v52, v32, 16, 7
	v_cmp_ne_u32_e32 vcc, s14, v52
	v_mov_b32_e32 v42, 0x7f80
	s_and_saveexec_b64 s[10:11], vcc
	s_cbranch_execz .LBB907_129
; %bb.128:                              ;   in Loop: Header=BB907_17 Depth=1
	v_and_b32_e32 v42, 7, v34
	v_ffbh_u32_e32 v54, v42
	v_min_u32_e32 v56, 32, v54
	v_subrev_u32_e32 v54, 28, v56
	v_lshlrev_b64 v[54:55], v54, v[34:35]
	v_lshrrev_b32_e32 v53, 3, v52
	v_sub_u32_e32 v55, 29, v56
	v_and_b32_e32 v54, 7, v54
	v_cmp_gt_u32_e32 vcc, 8, v52
	v_cndmask_b32_e32 v52, v53, v55, vcc
	v_cndmask_b32_e32 v42, v42, v54, vcc
	v_lshlrev_b32_e32 v34, 24, v34
	v_lshlrev_b32_e32 v42, 20, v42
	v_and_b32_e32 v34, 0x80000000, v34
	v_lshl_add_u32 v52, v52, 23, v38
	v_or3_b32 v34, v34, v52, v42
	v_lshrrev_b32_e32 v42, 16, v34
.LBB907_129:                            ;   in Loop: Header=BB907_17 Depth=1
	s_or_b64 exec, exec, s[10:11]
.LBB907_130:                            ;   in Loop: Header=BB907_17 Depth=1
	s_or_b64 exec, exec, s[6:7]
.LBB907_131:                            ;   in Loop: Header=BB907_17 Depth=1
	s_or_b64 exec, exec, s[4:5]
	v_cmp_lt_u32_e32 vcc, s15, v32
	s_and_saveexec_b64 s[4:5], vcc
	s_cbranch_execz .LBB907_137
; %bb.132:                              ;   in Loop: Header=BB907_17 Depth=1
	v_lshrrev_b32_e32 v34, 24, v32
	v_cmp_ne_u32_e32 vcc, s13, v34
	v_mov_b32_e32 v44, 0xffff8000
	s_and_saveexec_b64 s[6:7], vcc
	s_cbranch_execz .LBB907_136
; %bb.133:                              ;   in Loop: Header=BB907_17 Depth=1
	v_bfe_u32 v32, v32, 24, 7
	v_cmp_ne_u32_e32 vcc, s14, v32
	v_mov_b32_e32 v44, 0x7f80
	s_and_saveexec_b64 s[10:11], vcc
	s_cbranch_execz .LBB907_135
; %bb.134:                              ;   in Loop: Header=BB907_17 Depth=1
	v_and_b32_e32 v44, 7, v34
	v_ffbh_u32_e32 v52, v44
	v_min_u32_e32 v55, 32, v52
	v_subrev_u32_e32 v52, 28, v55
	v_lshlrev_b64 v[52:53], v52, v[34:35]
	v_lshrrev_b32_e32 v54, 3, v32
	v_sub_u32_e32 v53, 29, v55
	v_and_b32_e32 v52, 7, v52
	v_cmp_gt_u32_e32 vcc, 8, v32
	v_cndmask_b32_e32 v32, v54, v53, vcc
	v_cndmask_b32_e32 v44, v44, v52, vcc
	v_lshlrev_b32_e32 v34, 24, v34
	v_lshlrev_b32_e32 v44, 20, v44
	v_and_b32_e32 v34, 0x80000000, v34
	v_lshl_add_u32 v32, v32, 23, v38
	v_or3_b32 v32, v34, v32, v44
	v_lshrrev_b32_e32 v44, 16, v32
.LBB907_135:                            ;   in Loop: Header=BB907_17 Depth=1
	s_or_b64 exec, exec, s[10:11]
.LBB907_136:                            ;   in Loop: Header=BB907_17 Depth=1
	s_or_b64 exec, exec, s[6:7]
.LBB907_137:                            ;   in Loop: Header=BB907_17 Depth=1
	s_or_b64 exec, exec, s[4:5]
	s_waitcnt vmcnt(2)
	v_cmp_ne_u16_sdwa s[6:7], v30, v35 src0_sel:BYTE_0 src1_sel:DWORD
	v_mov_b32_e32 v34, 0
	v_mov_b32_e32 v52, 0
	s_and_saveexec_b64 s[4:5], s[6:7]
	s_cbranch_execz .LBB907_143
; %bb.138:                              ;   in Loop: Header=BB907_17 Depth=1
	v_cmp_ne_u16_sdwa s[10:11], v30, s13 src0_sel:BYTE_0 src1_sel:DWORD
	v_mov_b32_e32 v52, 0xffff8000
	s_and_saveexec_b64 s[6:7], s[10:11]
	s_cbranch_execz .LBB907_142
; %bb.139:                              ;   in Loop: Header=BB907_17 Depth=1
	v_and_b32_e32 v32, 0x7f, v30
	v_cmp_ne_u32_e32 vcc, s14, v32
	v_mov_b32_e32 v52, 0x7f80
	s_and_saveexec_b64 s[10:11], vcc
	s_cbranch_execz .LBB907_141
; %bb.140:                              ;   in Loop: Header=BB907_17 Depth=1
	v_and_b32_e32 v54, 7, v30
	v_ffbh_u32_e32 v52, v54
	v_min_u32_e32 v56, 32, v52
	v_subrev_u32_e32 v52, 28, v56
	v_lshlrev_b64 v[52:53], v52, v[30:31]
	v_lshrrev_b32_e32 v55, 3, v32
	v_sub_u32_e32 v53, 29, v56
	v_and_b32_e32 v52, 7, v52
	v_cmp_gt_u32_e32 vcc, 8, v32
	v_cndmask_b32_e32 v32, v55, v53, vcc
	v_cndmask_b32_e32 v52, v54, v52, vcc
	v_lshlrev_b32_e32 v53, 24, v30
	v_lshlrev_b32_e32 v52, 20, v52
	v_and_b32_e32 v53, 0x80000000, v53
	v_lshl_add_u32 v32, v32, 23, v38
	v_or3_b32 v32, v53, v32, v52
	v_lshrrev_b32_e32 v52, 16, v32
.LBB907_141:                            ;   in Loop: Header=BB907_17 Depth=1
	s_or_b64 exec, exec, s[10:11]
.LBB907_142:                            ;   in Loop: Header=BB907_17 Depth=1
	s_or_b64 exec, exec, s[6:7]
.LBB907_143:                            ;   in Loop: Header=BB907_17 Depth=1
	s_or_b64 exec, exec, s[4:5]
	v_lshrrev_b16_e32 v32, 8, v30
	v_cmp_ne_u16_e32 vcc, 0, v32
	s_and_saveexec_b64 s[4:5], vcc
	s_cbranch_execz .LBB907_149
; %bb.144:                              ;   in Loop: Header=BB907_17 Depth=1
	v_cmp_ne_u16_e32 vcc, s13, v32
	v_mov_b32_e32 v34, 0xffff8000
	s_and_saveexec_b64 s[6:7], vcc
	s_cbranch_execz .LBB907_148
; %bb.145:                              ;   in Loop: Header=BB907_17 Depth=1
	v_and_b32_e32 v53, 0x7f, v32
	v_cmp_ne_u32_e32 vcc, s14, v53
	v_mov_b32_e32 v34, 0x7f80
	s_and_saveexec_b64 s[10:11], vcc
	s_cbranch_execz .LBB907_147
; %bb.146:                              ;   in Loop: Header=BB907_17 Depth=1
	v_and_b32_e32 v34, 7, v32
	v_ffbh_u32_e32 v54, v34
	v_min_u32_e32 v57, 32, v54
	v_subrev_u32_e32 v54, 28, v57
	v_lshlrev_b64 v[54:55], v54, v[32:33]
	v_lshrrev_b32_e32 v56, 3, v53
	v_sub_u32_e32 v32, 29, v57
	v_and_b32_e32 v54, 7, v54
	v_cmp_gt_u32_e32 vcc, 8, v53
	v_cndmask_b32_e32 v32, v56, v32, vcc
	v_cndmask_b32_e32 v34, v34, v54, vcc
	v_lshlrev_b32_e32 v53, 16, v30
	v_lshlrev_b32_e32 v34, 20, v34
	v_and_b32_e32 v53, 0x80000000, v53
	v_lshl_add_u32 v32, v32, 23, v38
	v_or3_b32 v32, v53, v32, v34
	v_lshrrev_b32_e32 v34, 16, v32
.LBB907_147:                            ;   in Loop: Header=BB907_17 Depth=1
	s_or_b64 exec, exec, s[10:11]
.LBB907_148:                            ;   in Loop: Header=BB907_17 Depth=1
	s_or_b64 exec, exec, s[6:7]
.LBB907_149:                            ;   in Loop: Header=BB907_17 Depth=1
	s_or_b64 exec, exec, s[4:5]
	v_lshrrev_b32_e32 v32, 16, v30
	v_cmp_ne_u16_sdwa s[6:7], v32, v35 src0_sel:BYTE_0 src1_sel:DWORD
	v_mov_b32_e32 v54, 0
	v_mov_b32_e32 v53, 0
	s_and_saveexec_b64 s[4:5], s[6:7]
	s_cbranch_execz .LBB907_155
; %bb.150:                              ;   in Loop: Header=BB907_17 Depth=1
	v_cmp_ne_u16_sdwa s[10:11], v32, s13 src0_sel:BYTE_0 src1_sel:DWORD
	v_mov_b32_e32 v53, 0xffff8000
	s_and_saveexec_b64 s[6:7], s[10:11]
	s_cbranch_execz .LBB907_154
; %bb.151:                              ;   in Loop: Header=BB907_17 Depth=1
	v_bfe_u32 v55, v30, 16, 7
	v_cmp_ne_u32_e32 vcc, s14, v55
	v_mov_b32_e32 v53, 0x7f80
	s_and_saveexec_b64 s[10:11], vcc
	s_cbranch_execz .LBB907_153
; %bb.152:                              ;   in Loop: Header=BB907_17 Depth=1
	v_and_b32_e32 v53, 7, v32
	v_ffbh_u32_e32 v56, v53
	v_min_u32_e32 v59, 32, v56
	v_subrev_u32_e32 v56, 28, v59
	v_lshlrev_b64 v[56:57], v56, v[32:33]
	v_lshrrev_b32_e32 v58, 3, v55
	v_sub_u32_e32 v57, 29, v59
	v_and_b32_e32 v56, 7, v56
	v_cmp_gt_u32_e32 vcc, 8, v55
	v_cndmask_b32_e32 v55, v58, v57, vcc
	v_cndmask_b32_e32 v53, v53, v56, vcc
	v_lshlrev_b32_e32 v32, 24, v32
	v_lshlrev_b32_e32 v53, 20, v53
	v_and_b32_e32 v32, 0x80000000, v32
	v_lshl_add_u32 v55, v55, 23, v38
	v_or3_b32 v32, v32, v55, v53
	v_lshrrev_b32_e32 v53, 16, v32
.LBB907_153:                            ;   in Loop: Header=BB907_17 Depth=1
	s_or_b64 exec, exec, s[10:11]
.LBB907_154:                            ;   in Loop: Header=BB907_17 Depth=1
	s_or_b64 exec, exec, s[6:7]
.LBB907_155:                            ;   in Loop: Header=BB907_17 Depth=1
	s_or_b64 exec, exec, s[4:5]
	v_cmp_lt_u32_e32 vcc, s15, v30
	s_and_saveexec_b64 s[4:5], vcc
	s_cbranch_execz .LBB907_161
; %bb.156:                              ;   in Loop: Header=BB907_17 Depth=1
	v_lshrrev_b32_e32 v32, 24, v30
	v_cmp_ne_u32_e32 vcc, s13, v32
	v_mov_b32_e32 v54, 0xffff8000
	s_and_saveexec_b64 s[6:7], vcc
	s_cbranch_execz .LBB907_160
; %bb.157:                              ;   in Loop: Header=BB907_17 Depth=1
	v_bfe_u32 v30, v30, 24, 7
	v_cmp_ne_u32_e32 vcc, s14, v30
	v_mov_b32_e32 v54, 0x7f80
	s_and_saveexec_b64 s[10:11], vcc
	s_cbranch_execz .LBB907_159
; %bb.158:                              ;   in Loop: Header=BB907_17 Depth=1
	v_and_b32_e32 v56, 7, v32
	v_ffbh_u32_e32 v54, v56
	v_min_u32_e32 v58, 32, v54
	v_subrev_u32_e32 v54, 28, v58
	v_lshlrev_b64 v[54:55], v54, v[32:33]
	v_lshrrev_b32_e32 v57, 3, v30
	v_sub_u32_e32 v55, 29, v58
	v_and_b32_e32 v54, 7, v54
	v_cmp_gt_u32_e32 vcc, 8, v30
	v_cndmask_b32_e32 v30, v57, v55, vcc
	v_cndmask_b32_e32 v54, v56, v54, vcc
	v_lshlrev_b32_e32 v32, 24, v32
	v_lshlrev_b32_e32 v54, 20, v54
	v_and_b32_e32 v32, 0x80000000, v32
	v_lshl_add_u32 v30, v30, 23, v38
	v_or3_b32 v30, v32, v30, v54
	v_lshrrev_b32_e32 v54, 16, v30
.LBB907_159:                            ;   in Loop: Header=BB907_17 Depth=1
	s_or_b64 exec, exec, s[10:11]
.LBB907_160:                            ;   in Loop: Header=BB907_17 Depth=1
	s_or_b64 exec, exec, s[6:7]
.LBB907_161:                            ;   in Loop: Header=BB907_17 Depth=1
	s_or_b64 exec, exec, s[4:5]
	v_perm_b32 v57, v44, v42, s16
	v_perm_b32 v56, v23, v40, s16
	;; [unrolled: 1-line block ×4, first 2 shown]
	s_waitcnt vmcnt(1)
	v_cmp_ne_u16_sdwa s[6:7], v28, v35 src0_sel:BYTE_0 src1_sel:DWORD
	v_mfma_f32_16x16x16bf16_1k v[18:21], v[56:57], v[10:11], v[18:21]
	v_mov_b32_e32 v23, 0
	v_mov_b32_e32 v32, 0
	v_mfma_f32_16x16x16bf16_1k v[18:21], v[52:53], v[12:13], v[18:21]
	s_and_saveexec_b64 s[4:5], s[6:7]
	s_cbranch_execz .LBB907_167
; %bb.162:                              ;   in Loop: Header=BB907_17 Depth=1
	v_cmp_ne_u16_sdwa s[10:11], v28, s13 src0_sel:BYTE_0 src1_sel:DWORD
	v_mov_b32_e32 v32, 0xffff8000
	s_and_saveexec_b64 s[6:7], s[10:11]
	s_cbranch_execz .LBB907_166
; %bb.163:                              ;   in Loop: Header=BB907_17 Depth=1
	v_and_b32_e32 v30, 0x7f, v28
	v_cmp_ne_u32_e32 vcc, s14, v30
	v_mov_b32_e32 v32, 0x7f80
	s_and_saveexec_b64 s[10:11], vcc
	s_cbranch_execz .LBB907_165
; %bb.164:                              ;   in Loop: Header=BB907_17 Depth=1
	v_and_b32_e32 v32, 7, v28
	v_ffbh_u32_e32 v40, v32
	v_min_u32_e32 v40, 32, v40
	v_subrev_u32_e32 v42, 28, v40
	v_lshlrev_b64 v[52:53], v42, v[28:29]
	v_lshrrev_b32_e32 v34, 3, v30
	v_sub_u32_e32 v40, 29, v40
	v_and_b32_e32 v42, 7, v52
	v_cmp_gt_u32_e32 vcc, 8, v30
	v_cndmask_b32_e32 v30, v34, v40, vcc
	v_cndmask_b32_e32 v32, v32, v42, vcc
	v_lshlrev_b32_e32 v34, 24, v28
	v_lshlrev_b32_e32 v32, 20, v32
	v_and_b32_e32 v34, 0x80000000, v34
	v_lshl_add_u32 v30, v30, 23, v38
	v_or3_b32 v30, v34, v30, v32
	v_lshrrev_b32_e32 v32, 16, v30
.LBB907_165:                            ;   in Loop: Header=BB907_17 Depth=1
	s_or_b64 exec, exec, s[10:11]
.LBB907_166:                            ;   in Loop: Header=BB907_17 Depth=1
	s_or_b64 exec, exec, s[6:7]
.LBB907_167:                            ;   in Loop: Header=BB907_17 Depth=1
	s_or_b64 exec, exec, s[4:5]
	v_lshrrev_b16_e32 v30, 8, v28
	v_cmp_ne_u16_e32 vcc, 0, v30
	s_and_saveexec_b64 s[4:5], vcc
	s_cbranch_execz .LBB907_173
; %bb.168:                              ;   in Loop: Header=BB907_17 Depth=1
	v_cmp_ne_u16_e32 vcc, s13, v30
	v_mov_b32_e32 v23, 0xffff8000
	s_and_saveexec_b64 s[6:7], vcc
	s_cbranch_execz .LBB907_172
; %bb.169:                              ;   in Loop: Header=BB907_17 Depth=1
	v_and_b32_e32 v34, 0x7f, v30
	v_cmp_ne_u32_e32 vcc, s14, v34
	v_mov_b32_e32 v23, 0x7f80
	s_and_saveexec_b64 s[10:11], vcc
	s_cbranch_execz .LBB907_171
; %bb.170:                              ;   in Loop: Header=BB907_17 Depth=1
	v_and_b32_e32 v23, 7, v30
	v_ffbh_u32_e32 v42, v23
	v_min_u32_e32 v42, 32, v42
	v_subrev_u32_e32 v44, 28, v42
	v_lshlrev_b64 v[52:53], v44, v[30:31]
	v_lshrrev_b32_e32 v40, 3, v34
	v_sub_u32_e32 v30, 29, v42
	v_and_b32_e32 v42, 7, v52
	v_cmp_gt_u32_e32 vcc, 8, v34
	v_cndmask_b32_e32 v30, v40, v30, vcc
	v_cndmask_b32_e32 v23, v23, v42, vcc
	v_lshlrev_b32_e32 v34, 16, v28
	v_lshlrev_b32_e32 v23, 20, v23
	v_and_b32_e32 v34, 0x80000000, v34
	v_lshl_add_u32 v30, v30, 23, v38
	v_or3_b32 v23, v34, v30, v23
	v_lshrrev_b32_e32 v23, 16, v23
.LBB907_171:                            ;   in Loop: Header=BB907_17 Depth=1
	s_or_b64 exec, exec, s[10:11]
.LBB907_172:                            ;   in Loop: Header=BB907_17 Depth=1
	s_or_b64 exec, exec, s[6:7]
.LBB907_173:                            ;   in Loop: Header=BB907_17 Depth=1
	s_or_b64 exec, exec, s[4:5]
	v_lshrrev_b32_e32 v30, 16, v28
	v_cmp_ne_u16_sdwa s[6:7], v30, v35 src0_sel:BYTE_0 src1_sel:DWORD
	v_mov_b32_e32 v40, 0
	v_mov_b32_e32 v34, 0
	s_and_saveexec_b64 s[4:5], s[6:7]
	s_cbranch_execz .LBB907_179
; %bb.174:                              ;   in Loop: Header=BB907_17 Depth=1
	v_cmp_ne_u16_sdwa s[10:11], v30, s13 src0_sel:BYTE_0 src1_sel:DWORD
	v_mov_b32_e32 v34, 0xffff8000
	s_and_saveexec_b64 s[6:7], s[10:11]
	s_cbranch_execz .LBB907_178
; %bb.175:                              ;   in Loop: Header=BB907_17 Depth=1
	v_bfe_u32 v42, v28, 16, 7
	v_cmp_ne_u32_e32 vcc, s14, v42
	v_mov_b32_e32 v34, 0x7f80
	s_and_saveexec_b64 s[10:11], vcc
	s_cbranch_execz .LBB907_177
; %bb.176:                              ;   in Loop: Header=BB907_17 Depth=1
	v_and_b32_e32 v34, 7, v30
	v_ffbh_u32_e32 v52, v34
	v_min_u32_e32 v54, 32, v52
	v_subrev_u32_e32 v52, 28, v54
	v_lshlrev_b64 v[52:53], v52, v[30:31]
	v_lshrrev_b32_e32 v44, 3, v42
	v_sub_u32_e32 v53, 29, v54
	v_and_b32_e32 v52, 7, v52
	v_cmp_gt_u32_e32 vcc, 8, v42
	v_cndmask_b32_e32 v42, v44, v53, vcc
	v_cndmask_b32_e32 v34, v34, v52, vcc
	v_lshlrev_b32_e32 v30, 24, v30
	v_lshlrev_b32_e32 v34, 20, v34
	v_and_b32_e32 v30, 0x80000000, v30
	v_lshl_add_u32 v42, v42, 23, v38
	v_or3_b32 v30, v30, v42, v34
	v_lshrrev_b32_e32 v34, 16, v30
.LBB907_177:                            ;   in Loop: Header=BB907_17 Depth=1
	s_or_b64 exec, exec, s[10:11]
.LBB907_178:                            ;   in Loop: Header=BB907_17 Depth=1
	s_or_b64 exec, exec, s[6:7]
.LBB907_179:                            ;   in Loop: Header=BB907_17 Depth=1
	s_or_b64 exec, exec, s[4:5]
	v_cmp_lt_u32_e32 vcc, s15, v28
	s_and_saveexec_b64 s[4:5], vcc
	s_cbranch_execz .LBB907_185
; %bb.180:                              ;   in Loop: Header=BB907_17 Depth=1
	v_lshrrev_b32_e32 v30, 24, v28
	v_cmp_ne_u32_e32 vcc, s13, v30
	v_mov_b32_e32 v40, 0xffff8000
	s_and_saveexec_b64 s[6:7], vcc
	s_cbranch_execz .LBB907_184
; %bb.181:                              ;   in Loop: Header=BB907_17 Depth=1
	v_bfe_u32 v28, v28, 24, 7
	v_cmp_ne_u32_e32 vcc, s14, v28
	v_mov_b32_e32 v40, 0x7f80
	s_and_saveexec_b64 s[10:11], vcc
	s_cbranch_execz .LBB907_183
; %bb.182:                              ;   in Loop: Header=BB907_17 Depth=1
	v_and_b32_e32 v40, 7, v30
	v_ffbh_u32_e32 v44, v40
	v_min_u32_e32 v44, 32, v44
	v_subrev_u32_e32 v52, 28, v44
	v_lshlrev_b64 v[52:53], v52, v[30:31]
	v_lshrrev_b32_e32 v42, 3, v28
	v_sub_u32_e32 v44, 29, v44
	v_and_b32_e32 v52, 7, v52
	v_cmp_gt_u32_e32 vcc, 8, v28
	v_cndmask_b32_e32 v28, v42, v44, vcc
	v_cndmask_b32_e32 v40, v40, v52, vcc
	v_lshlrev_b32_e32 v30, 24, v30
	v_lshlrev_b32_e32 v40, 20, v40
	v_and_b32_e32 v30, 0x80000000, v30
	v_lshl_add_u32 v28, v28, 23, v38
	v_or3_b32 v28, v30, v28, v40
	v_lshrrev_b32_e32 v40, 16, v28
.LBB907_183:                            ;   in Loop: Header=BB907_17 Depth=1
	s_or_b64 exec, exec, s[10:11]
.LBB907_184:                            ;   in Loop: Header=BB907_17 Depth=1
	s_or_b64 exec, exec, s[6:7]
.LBB907_185:                            ;   in Loop: Header=BB907_17 Depth=1
	s_or_b64 exec, exec, s[4:5]
	s_waitcnt vmcnt(0)
	v_cmp_ne_u16_sdwa s[6:7], v26, v35 src0_sel:BYTE_0 src1_sel:DWORD
	v_mov_b32_e32 v30, 0
	v_mov_b32_e32 v42, 0
	s_and_saveexec_b64 s[4:5], s[6:7]
	s_cbranch_execz .LBB907_191
; %bb.186:                              ;   in Loop: Header=BB907_17 Depth=1
	v_cmp_ne_u16_sdwa s[10:11], v26, s13 src0_sel:BYTE_0 src1_sel:DWORD
	v_mov_b32_e32 v42, 0xffff8000
	s_and_saveexec_b64 s[6:7], s[10:11]
	s_cbranch_execz .LBB907_190
; %bb.187:                              ;   in Loop: Header=BB907_17 Depth=1
	v_and_b32_e32 v28, 0x7f, v26
	v_cmp_ne_u32_e32 vcc, s14, v28
	v_mov_b32_e32 v42, 0x7f80
	s_and_saveexec_b64 s[10:11], vcc
	s_cbranch_execz .LBB907_189
; %bb.188:                              ;   in Loop: Header=BB907_17 Depth=1
	v_and_b32_e32 v42, 7, v26
	v_ffbh_u32_e32 v52, v42
	v_min_u32_e32 v54, 32, v52
	v_subrev_u32_e32 v52, 28, v54
	v_lshlrev_b64 v[52:53], v52, v[26:27]
	v_lshrrev_b32_e32 v44, 3, v28
	v_sub_u32_e32 v53, 29, v54
	v_and_b32_e32 v52, 7, v52
	v_cmp_gt_u32_e32 vcc, 8, v28
	v_cndmask_b32_e32 v28, v44, v53, vcc
	v_cndmask_b32_e32 v42, v42, v52, vcc
	v_lshlrev_b32_e32 v44, 24, v26
	v_lshlrev_b32_e32 v42, 20, v42
	v_and_b32_e32 v44, 0x80000000, v44
	v_lshl_add_u32 v28, v28, 23, v38
	v_or3_b32 v28, v44, v28, v42
	v_lshrrev_b32_e32 v42, 16, v28
.LBB907_189:                            ;   in Loop: Header=BB907_17 Depth=1
	s_or_b64 exec, exec, s[10:11]
.LBB907_190:                            ;   in Loop: Header=BB907_17 Depth=1
	s_or_b64 exec, exec, s[6:7]
.LBB907_191:                            ;   in Loop: Header=BB907_17 Depth=1
	s_or_b64 exec, exec, s[4:5]
	v_lshrrev_b16_e32 v28, 8, v26
	v_cmp_ne_u16_e32 vcc, 0, v28
	s_and_saveexec_b64 s[4:5], vcc
	s_cbranch_execz .LBB907_197
; %bb.192:                              ;   in Loop: Header=BB907_17 Depth=1
	v_cmp_ne_u16_e32 vcc, s13, v28
	v_mov_b32_e32 v30, 0xffff8000
	s_and_saveexec_b64 s[6:7], vcc
	s_cbranch_execz .LBB907_196
; %bb.193:                              ;   in Loop: Header=BB907_17 Depth=1
	v_and_b32_e32 v44, 0x7f, v28
	v_cmp_ne_u32_e32 vcc, s14, v44
	v_mov_b32_e32 v30, 0x7f80
	s_and_saveexec_b64 s[10:11], vcc
	s_cbranch_execz .LBB907_195
; %bb.194:                              ;   in Loop: Header=BB907_17 Depth=1
	v_and_b32_e32 v30, 7, v28
	v_ffbh_u32_e32 v52, v30
	v_min_u32_e32 v55, 32, v52
	v_subrev_u32_e32 v52, 28, v55
	v_lshlrev_b64 v[52:53], v52, v[28:29]
	v_lshrrev_b32_e32 v54, 3, v44
	v_sub_u32_e32 v28, 29, v55
	v_and_b32_e32 v52, 7, v52
	v_cmp_gt_u32_e32 vcc, 8, v44
	v_cndmask_b32_e32 v28, v54, v28, vcc
	v_cndmask_b32_e32 v30, v30, v52, vcc
	v_lshlrev_b32_e32 v44, 16, v26
	v_lshlrev_b32_e32 v30, 20, v30
	v_and_b32_e32 v44, 0x80000000, v44
	v_lshl_add_u32 v28, v28, 23, v38
	v_or3_b32 v28, v44, v28, v30
	v_lshrrev_b32_e32 v30, 16, v28
.LBB907_195:                            ;   in Loop: Header=BB907_17 Depth=1
	s_or_b64 exec, exec, s[10:11]
.LBB907_196:                            ;   in Loop: Header=BB907_17 Depth=1
	s_or_b64 exec, exec, s[6:7]
.LBB907_197:                            ;   in Loop: Header=BB907_17 Depth=1
	s_or_b64 exec, exec, s[4:5]
	v_lshrrev_b32_e32 v28, 16, v26
	v_cmp_ne_u16_sdwa s[6:7], v28, v35 src0_sel:BYTE_0 src1_sel:DWORD
	v_mov_b32_e32 v52, 0
	v_mov_b32_e32 v44, 0
	s_and_saveexec_b64 s[4:5], s[6:7]
	s_cbranch_execz .LBB907_203
; %bb.198:                              ;   in Loop: Header=BB907_17 Depth=1
	v_cmp_ne_u16_sdwa s[10:11], v28, s13 src0_sel:BYTE_0 src1_sel:DWORD
	v_mov_b32_e32 v44, 0xffff8000
	s_and_saveexec_b64 s[6:7], s[10:11]
	s_cbranch_execz .LBB907_202
; %bb.199:                              ;   in Loop: Header=BB907_17 Depth=1
	v_bfe_u32 v53, v26, 16, 7
	v_cmp_ne_u32_e32 vcc, s14, v53
	v_mov_b32_e32 v44, 0x7f80
	s_and_saveexec_b64 s[10:11], vcc
	s_cbranch_execz .LBB907_201
; %bb.200:                              ;   in Loop: Header=BB907_17 Depth=1
	v_and_b32_e32 v44, 7, v28
	v_ffbh_u32_e32 v54, v44
	v_min_u32_e32 v57, 32, v54
	v_subrev_u32_e32 v54, 28, v57
	v_lshlrev_b64 v[54:55], v54, v[28:29]
	v_lshrrev_b32_e32 v56, 3, v53
	v_sub_u32_e32 v55, 29, v57
	v_and_b32_e32 v54, 7, v54
	v_cmp_gt_u32_e32 vcc, 8, v53
	v_cndmask_b32_e32 v53, v56, v55, vcc
	v_cndmask_b32_e32 v44, v44, v54, vcc
	v_lshlrev_b32_e32 v28, 24, v28
	v_lshlrev_b32_e32 v44, 20, v44
	v_and_b32_e32 v28, 0x80000000, v28
	v_lshl_add_u32 v53, v53, 23, v38
	v_or3_b32 v28, v28, v53, v44
	v_lshrrev_b32_e32 v44, 16, v28
.LBB907_201:                            ;   in Loop: Header=BB907_17 Depth=1
	s_or_b64 exec, exec, s[10:11]
.LBB907_202:                            ;   in Loop: Header=BB907_17 Depth=1
	s_or_b64 exec, exec, s[6:7]
.LBB907_203:                            ;   in Loop: Header=BB907_17 Depth=1
	s_or_b64 exec, exec, s[4:5]
	v_cmp_lt_u32_e32 vcc, s15, v26
	s_and_saveexec_b64 s[4:5], vcc
	s_cbranch_execz .LBB907_16
; %bb.204:                              ;   in Loop: Header=BB907_17 Depth=1
	v_lshrrev_b32_e32 v28, 24, v26
	v_cmp_ne_u32_e32 vcc, s13, v28
	v_mov_b32_e32 v52, 0xffff8000
	s_and_saveexec_b64 s[6:7], vcc
	s_cbranch_execz .LBB907_15
; %bb.205:                              ;   in Loop: Header=BB907_17 Depth=1
	v_bfe_u32 v26, v26, 24, 7
	v_cmp_ne_u32_e32 vcc, s14, v26
	v_mov_b32_e32 v52, 0x7f80
	s_and_saveexec_b64 s[10:11], vcc
	s_cbranch_execz .LBB907_14
; %bb.206:                              ;   in Loop: Header=BB907_17 Depth=1
	v_and_b32_e32 v54, 7, v28
	v_ffbh_u32_e32 v52, v54
	v_min_u32_e32 v56, 32, v52
	v_subrev_u32_e32 v52, 28, v56
	v_lshlrev_b64 v[52:53], v52, v[28:29]
	v_lshrrev_b32_e32 v55, 3, v26
	v_sub_u32_e32 v53, 29, v56
	v_and_b32_e32 v52, 7, v52
	v_cmp_gt_u32_e32 vcc, 8, v26
	v_cndmask_b32_e32 v26, v55, v53, vcc
	v_cndmask_b32_e32 v52, v54, v52, vcc
	v_lshlrev_b32_e32 v28, 24, v28
	v_lshlrev_b32_e32 v52, 20, v52
	v_and_b32_e32 v28, 0x80000000, v28
	v_lshl_add_u32 v26, v26, 23, v38
	v_or3_b32 v26, v28, v26, v52
	v_lshrrev_b32_e32 v52, 16, v26
	s_branch .LBB907_14
.LBB907_207:
	buffer_load_dword v17, off, s[0:3], 0 offset:256
	buffer_load_dword v16, off, s[0:3], 0 offset:260
	;; [unrolled: 1-line block ×16, first 2 shown]
	v_and_b32_e32 v18, 0xc0, v0
	v_add_u32_e32 v18, s20, v18
	v_lshl_or_b32 v18, v1, 2, v18
	v_or_b32_e32 v20, 1, v18
	v_subrev_u32_e32 v24, s33, v20
	v_add_u32_e32 v26, 1, v24
	v_cvt_f32_i32_e32 v25, v24
	v_add_u32_e32 v28, 2, v24
	v_add_u32_e32 v30, 3, v24
	;; [unrolled: 1-line block ×14, first 2 shown]
	v_cvt_f32_i32_e32 v26, v26
	v_cvt_f32_i32_e32 v28, v28
	;; [unrolled: 1-line block ×4, first 2 shown]
	v_mov_b32_e32 v19, 0xff7fffff
	v_or_b32_e32 v21, 2, v18
	v_or_b32_e32 v22, 3, v18
	v_cvt_f32_i32_e32 v32, v32
	v_cvt_f32_i32_e32 v34, v34
	v_cmp_gt_i32_e64 s[28:29], s33, v18
	v_cmp_gt_i32_e64 s[30:31], s33, v20
	s_mov_b32 s52, 0xff7fffff
	v_cmp_gt_i32_e64 s[34:35], s33, v21
	v_cmp_gt_i32_e64 s[36:37], s33, v22
	v_or_b32_e32 v23, 16, v18
	v_cvt_f32_i32_e32 v35, v35
	v_cvt_f32_i32_e32 v36, v36
	v_cmp_gt_i32_e64 s[24:25], s33, v23
	v_cvt_f32_i32_e32 v37, v37
	v_cvt_f32_i32_e32 v38, v38
	;; [unrolled: 1-line block ×7, first 2 shown]
	s_waitcnt vmcnt(15)
	v_fmac_f32_e32 v17, v31, v25
	s_waitcnt vmcnt(14)
	v_fmac_f32_e32 v16, v31, v26
	;; [unrolled: 2-line block ×4, first 2 shown]
	v_cndmask_b32_e64 v20, v19, v16, s[30:31]
	v_cndmask_b32_e64 v21, v19, v15, s[34:35]
	;; [unrolled: 1-line block ×3, first 2 shown]
	s_waitcnt vmcnt(11)
	v_fmac_f32_e32 v13, v31, v32
	s_waitcnt vmcnt(10)
	v_fmac_f32_e32 v12, v31, v34
	;; [unrolled: 2-line block ×9, first 2 shown]
	v_cndmask_b32_e64 v24, v19, v17, s[28:29]
	v_max3_f32 v20, v24, s52, v20
	v_max3_f32 v20, v20, v21, v22
	v_or_b32_e32 v22, 17, v18
	v_cmp_gt_i32_e64 s[38:39], s33, v22
	v_cndmask_b32_e64 v21, v19, v13, s[24:25]
	v_cndmask_b32_e64 v22, v19, v12, s[38:39]
	v_max3_f32 v20, v20, v21, v22
	v_or_b32_e32 v21, 18, v18
	v_or_b32_e32 v22, 19, v18
	v_cmp_gt_i32_e64 s[20:21], s33, v21
	v_cmp_gt_i32_e64 s[22:23], s33, v22
	v_cndmask_b32_e64 v21, v19, v11, s[20:21]
	v_cndmask_b32_e64 v22, v19, v10, s[22:23]
	v_max3_f32 v20, v20, v21, v22
	v_or_b32_e32 v21, 32, v18
	v_or_b32_e32 v22, 33, v18
	v_cmp_gt_i32_e64 s[16:17], s33, v21
	;; [unrolled: 7-line block ×3, first 2 shown]
	v_cmp_gt_i32_e64 s[14:15], s33, v22
	v_cndmask_b32_e64 v21, v19, v7, s[12:13]
	v_cndmask_b32_e64 v22, v19, v6, s[14:15]
	v_max3_f32 v20, v20, v21, v22
	v_or_b32_e32 v21, 48, v18
	v_or_b32_e32 v22, 49, v18
	v_fmac_f32_e32 v5, v31, v44
	v_fmac_f32_e32 v4, v31, v52
	v_cmp_gt_i32_e64 s[6:7], s33, v21
	v_cmp_gt_i32_e64 s[10:11], s33, v22
	v_cndmask_b32_e64 v21, v19, v5, s[6:7]
	v_cndmask_b32_e64 v22, v19, v4, s[10:11]
	v_max3_f32 v20, v20, v21, v22
	v_or_b32_e32 v21, 50, v18
	v_or_b32_e32 v18, 51, v18
	v_fmac_f32_e32 v3, v31, v53
	v_cmp_gt_i32_e32 vcc, s33, v21
	v_cmp_gt_i32_e64 s[4:5], s33, v18
	v_cndmask_b32_e32 v21, v19, v3, vcc
	v_cndmask_b32_e64 v18, v19, v2, s[4:5]
	v_mbcnt_lo_u32_b32 v19, -1, 0
	v_mbcnt_hi_u32_b32 v19, -1, v19
	v_max3_f32 v18, v20, v21, v18
	v_and_b32_e32 v20, 64, v19
	v_add_u32_e32 v20, 64, v20
	v_xor_b32_e32 v21, 32, v19
	v_cmp_lt_i32_e64 s[40:41], v21, v20
	v_cndmask_b32_e64 v21, v19, v21, s[40:41]
	v_lshlrev_b32_e32 v21, 2, v21
	ds_bpermute_b32 v22, v21, v18
	s_waitcnt lgkmcnt(0)
	v_max_f32_e32 v22, v22, v22
	v_max_f32_e32 v18, v18, v22
	v_xor_b32_e32 v22, 16, v19
	v_cmp_lt_i32_e64 s[40:41], v22, v20
	v_cndmask_b32_e64 v19, v19, v22, s[40:41]
	v_lshlrev_b32_e32 v19, 2, v19
	ds_bpermute_b32 v20, v19, v18
	s_waitcnt lgkmcnt(0)
	v_max_f32_e32 v20, v20, v20
	v_max_f32_e32 v18, v18, v20
	v_sub_f32_e32 v17, v17, v18
	v_mul_f32_e32 v17, 0x3fb8aa3b, v17
	v_sub_f32_e32 v16, v16, v18
	v_exp_f32_e32 v17, v17
	v_mul_f32_e32 v16, 0x3fb8aa3b, v16
	v_sub_f32_e32 v15, v15, v18
	v_exp_f32_e32 v16, v16
	v_mul_f32_e32 v15, 0x3fb8aa3b, v15
	v_sub_f32_e32 v14, v14, v18
	v_exp_f32_e32 v15, v15
	v_mul_f32_e32 v14, 0x3fb8aa3b, v14
	v_sub_f32_e32 v13, v13, v18
	v_exp_f32_e32 v14, v14
	v_mul_f32_e32 v13, 0x3fb8aa3b, v13
	v_sub_f32_e32 v12, v12, v18
	v_cndmask_b32_e64 v17, 0, v17, s[28:29]
	v_exp_f32_e32 v13, v13
	v_mul_f32_e32 v12, 0x3fb8aa3b, v12
	v_sub_f32_e32 v11, v11, v18
	v_add_f32_e32 v20, 0, v17
	v_cndmask_b32_e64 v16, 0, v16, s[30:31]
	v_exp_f32_e32 v12, v12
	v_mul_f32_e32 v11, 0x3fb8aa3b, v11
	v_sub_f32_e32 v10, v10, v18
	v_add_f32_e32 v20, v20, v16
	;; [unrolled: 5-line block ×4, first 2 shown]
	v_cndmask_b32_e64 v13, 0, v13, s[24:25]
	v_exp_f32_e32 v9, v9
	v_mul_f32_e32 v8, 0x3fb8aa3b, v8
	v_sub_f32_e32 v7, v7, v18
	buffer_store_dword v17, off, s[0:3], 0 offset:256
	buffer_store_dword v16, off, s[0:3], 0 offset:260
	;; [unrolled: 1-line block ×4, first 2 shown]
	v_add_f32_e32 v14, v20, v13
	v_cndmask_b32_e64 v12, 0, v12, s[38:39]
	v_exp_f32_e32 v8, v8
	v_mul_f32_e32 v7, 0x3fb8aa3b, v7
	v_sub_f32_e32 v6, v6, v18
	v_add_f32_e32 v14, v14, v12
	v_cndmask_b32_e64 v11, 0, v11, s[20:21]
	v_exp_f32_e32 v7, v7
	v_mul_f32_e32 v6, 0x3fb8aa3b, v6
	v_sub_f32_e32 v5, v5, v18
	;; [unrolled: 5-line block ×4, first 2 shown]
	buffer_store_dword v13, off, s[0:3], 0 offset:272
	buffer_store_dword v12, off, s[0:3], 0 offset:276
	;; [unrolled: 1-line block ×4, first 2 shown]
	v_add_f32_e32 v10, v14, v9
	v_cndmask_b32_e64 v8, 0, v8, s[18:19]
	v_exp_f32_e32 v4, v4
	v_mul_f32_e32 v3, 0x3fb8aa3b, v3
	v_sub_f32_e32 v2, v2, v18
	v_add_f32_e32 v10, v10, v8
	v_cndmask_b32_e64 v7, 0, v7, s[12:13]
	v_exp_f32_e32 v3, v3
	v_mul_f32_e32 v2, 0x3fb8aa3b, v2
	v_add_f32_e32 v10, v10, v7
	v_cndmask_b32_e64 v6, 0, v6, s[14:15]
	v_exp_f32_e32 v2, v2
	v_add_f32_e32 v10, v10, v6
	v_cndmask_b32_e64 v5, 0, v5, s[6:7]
	buffer_store_dword v9, off, s[0:3], 0 offset:288
	buffer_store_dword v8, off, s[0:3], 0 offset:292
	;; [unrolled: 1-line block ×4, first 2 shown]
	v_add_f32_e32 v6, v10, v5
	v_cndmask_b32_e64 v4, 0, v4, s[10:11]
	v_add_f32_e32 v6, v6, v4
	v_cndmask_b32_e32 v3, 0, v3, vcc
	v_add_f32_e32 v6, v6, v3
	v_cndmask_b32_e64 v2, 0, v2, s[4:5]
	v_add_f32_e32 v6, v6, v2
	ds_bpermute_b32 v7, v21, v6
	buffer_store_dword v5, off, s[0:3], 0 offset:304
	buffer_store_dword v4, off, s[0:3], 0 offset:308
	buffer_store_dword v3, off, s[0:3], 0 offset:312
	buffer_store_dword v2, off, s[0:3], 0 offset:316
	v_cmp_gt_u32_e32 vcc, 16, v33
	s_waitcnt lgkmcnt(0)
	s_barrier
	v_add_f32_e32 v2, v6, v7
	ds_bpermute_b32 v3, v19, v2
	s_waitcnt lgkmcnt(0)
	s_and_saveexec_b64 s[4:5], vcc
	s_cbranch_execz .LBB907_209
; %bb.208:
	v_add_f32_e32 v2, v2, v3
	v_lshlrev_b32_e32 v3, 2, v29
	ds_write2st64_b32 v3, v18, v2 offset1:1
.LBB907_209:
	s_or_b64 exec, exec, s[4:5]
	v_lshlrev_b32_e32 v2, 2, v41
	s_waitcnt lgkmcnt(0)
	s_barrier
	ds_read2_b32 v[14:15], v2 offset1:16
	ds_read2_b32 v[16:17], v2 offset0:32 offset1:48
	ds_read2_b32 v[6:7], v2 offset0:64 offset1:80
	;; [unrolled: 1-line block ×3, first 2 shown]
	s_waitcnt lgkmcnt(0)
	s_barrier
	buffer_load_dword v22, off, s[0:3], 0 offset:264
	buffer_load_dword v23, off, s[0:3], 0 offset:268
	;; [unrolled: 1-line block ×16, first 2 shown]
	v_max3_f32 v20, v14, s52, v15
	v_max3_f32 v20, v20, v16, v17
	v_sub_f32_e32 v14, v14, v20
	v_sub_f32_e32 v15, v15, v20
	v_mul_f32_e32 v14, 0x3fb8aa3b, v14
	v_sub_f32_e32 v16, v16, v20
	v_mul_f32_e32 v15, 0x3fb8aa3b, v15
	v_exp_f32_e32 v14, v14
	v_sub_f32_e32 v17, v17, v20
	v_mul_f32_e32 v16, 0x3fb8aa3b, v16
	v_exp_f32_e32 v15, v15
	v_mul_f32_e32 v17, 0x3fb8aa3b, v17
	v_exp_f32_e32 v16, v16
	v_exp_f32_e32 v17, v17
	v_fma_f32 v6, v14, v6, 0
	v_fmac_f32_e32 v6, v15, v7
	v_fmac_f32_e32 v6, v16, v12
	;; [unrolled: 1-line block ×3, first 2 shown]
	v_cmp_eq_u32_e32 vcc, 1, v27
	v_add_f32_e32 v12, 0x358637bd, v6
	v_cndmask_b32_e32 v14, v14, v15, vcc
	v_cmp_eq_u32_e32 vcc, 2, v27
	v_div_scale_f32 v13, s[4:5], v12, v12, 1.0
	v_cndmask_b32_e32 v7, v14, v16, vcc
	v_rcp_f32_e32 v14, v13
	v_cmp_eq_u32_e32 vcc, 3, v27
	v_cndmask_b32_e32 v7, v7, v17, vcc
	v_div_scale_f32 v15, vcc, 1.0, v12, 1.0
	v_fma_f32 v16, -v13, v14, 1.0
	v_fmac_f32_e32 v14, v16, v14
	v_mul_f32_e32 v16, v15, v14
	v_fma_f32 v17, -v13, v16, v15
	v_fmac_f32_e32 v16, v17, v14
	v_fma_f32 v13, -v13, v16, v15
	v_div_fmas_f32 v13, v13, v14, v16
	v_div_fixup_f32 v12, v13, v12, 1.0
	v_mul_f32_e32 v12, v7, v12
	s_movk_i32 s19, 0x7fff
	s_mov_b32 s20, 0x7060302
	s_mul_i32 s18, s49, 14
	v_cmp_gt_u32_e32 vcc, 14, v0
	s_waitcnt vmcnt(14)
	v_pk_mul_f32 v[14:15], v[12:13], v[22:23] op_sel_hi:[0,1]
	v_bfe_u32 v21, v15, 16, 1
	s_waitcnt vmcnt(12)
	v_pk_mul_f32 v[16:17], v[12:13], v[24:25] op_sel_hi:[0,1]
	v_bfe_u32 v7, v17, 16, 1
	v_bfe_u32 v13, v16, 16, 1
	;; [unrolled: 1-line block ×3, first 2 shown]
	v_add3_u32 v13, v16, v13, s19
	v_add3_u32 v7, v17, v7, s19
	buffer_store_dword v16, off, s[0:3], 0 offset:256
	buffer_store_dword v17, off, s[0:3], 0 offset:260
	;; [unrolled: 1-line block ×4, first 2 shown]
	v_add3_u32 v16, v14, v22, s19
	v_add3_u32 v15, v15, v21, s19
	v_perm_b32 v14, v7, v13, s20
	v_lshlrev_b32_e32 v13, 3, v1
	v_perm_b32 v15, v15, v16, s20
	v_lshlrev_b32_e32 v7, 5, v41
	v_lshlrev_b32_e32 v16, 11, v27
	s_waitcnt vmcnt(12)
	v_pk_mul_f32 v[8:9], v[12:13], v[8:9] op_sel_hi:[0,1]
	v_or3_b32 v52, v16, v7, v13
	v_pk_mul_f32 v[10:11], v[12:13], v[10:11] op_sel_hi:[0,1]
	v_bfe_u32 v13, v9, 16, 1
	v_bfe_u32 v16, v8, 16, 1
	buffer_store_dword v8, off, s[0:3], 0 offset:272
	buffer_store_dword v9, off, s[0:3], 0 offset:276
	;; [unrolled: 1-line block ×4, first 2 shown]
	v_add3_u32 v8, v8, v16, s19
	v_add3_u32 v9, v9, v13, s19
	v_perm_b32 v8, v9, v8, s20
	v_bfe_u32 v9, v11, 16, 1
	v_bfe_u32 v13, v10, 16, 1
	v_add3_u32 v10, v10, v13, s19
	v_add3_u32 v9, v11, v9, s19
	v_perm_b32 v9, v9, v10, s20
	s_waitcnt vmcnt(14)
	v_pk_mul_f32 v[10:11], v[12:13], v[18:19] op_sel_hi:[0,1]
	ds_write2st64_b64 v52, v[14:15], v[8:9] offset1:1
	s_waitcnt vmcnt(12)
	v_pk_mul_f32 v[8:9], v[12:13], v[28:29] op_sel_hi:[0,1]
	v_bfe_u32 v13, v11, 16, 1
	v_bfe_u32 v14, v10, 16, 1
	buffer_store_dword v10, off, s[0:3], 0 offset:288
	buffer_store_dword v11, off, s[0:3], 0 offset:292
	;; [unrolled: 1-line block ×4, first 2 shown]
	v_add3_u32 v10, v10, v14, s19
	v_add3_u32 v11, v11, v13, s19
	v_perm_b32 v10, v11, v10, s20
	v_bfe_u32 v11, v9, 16, 1
	v_bfe_u32 v13, v8, 16, 1
	v_add3_u32 v8, v8, v13, s19
	v_add3_u32 v9, v9, v11, s19
	s_waitcnt vmcnt(14)
	v_pk_mul_f32 v[2:3], v[12:13], v[2:3] op_sel_hi:[0,1]
	v_perm_b32 v11, v9, v8, s20
	v_bfe_u32 v8, v3, 16, 1
	v_bfe_u32 v9, v2, 16, 1
	s_waitcnt vmcnt(12)
	v_pk_mul_f32 v[4:5], v[12:13], v[4:5] op_sel_hi:[0,1]
	buffer_store_dword v2, off, s[0:3], 0 offset:304
	buffer_store_dword v3, off, s[0:3], 0 offset:308
	;; [unrolled: 1-line block ×4, first 2 shown]
	v_add3_u32 v2, v2, v9, s19
	v_add3_u32 v3, v3, v8, s19
	v_perm_b32 v2, v3, v2, s20
	v_bfe_u32 v3, v5, 16, 1
	v_bfe_u32 v8, v4, 16, 1
	v_add3_u32 v4, v4, v8, s19
	v_add3_u32 v3, v5, v3, s19
	v_perm_b32 v3, v3, v4, s20
	ds_write2st64_b64 v52, v[10:11], v[2:3] offset0:2 offset1:3
	s_and_saveexec_b64 s[4:5], vcc
	s_cbranch_execz .LBB907_211
; %bb.210:
	v_add_co_u32_e32 v4, vcc, s27, v41
	v_addc_co_u32_e64 v5, s[6:7], 0, 0, vcc
	v_mov_b32_e32 v2, s18
	v_mad_u64_u32 v[4:5], s[6:7], s8, v2, v[4:5]
	v_mov_b32_e32 v3, 0
	s_mul_i32 s6, s9, s18
	v_mov_b32_e32 v2, s26
	v_add_u32_e32 v5, s6, v5
	v_mad_u64_u32 v[2:3], s[6:7], v4, s48, v[2:3]
	v_mov_b32_e32 v4, v3
	v_mad_u64_u32 v[4:5], s[6:7], v5, s48, v[4:5]
	v_mov_b32_e32 v3, v4
	v_lshlrev_b64 v[2:3], 2, v[2:3]
	v_mov_b32_e32 v5, s47
	v_add_co_u32_e32 v4, vcc, s46, v2
	v_addc_co_u32_e32 v5, vcc, v5, v3, vcc
	global_store_dword v[4:5], v20, off
	v_mov_b32_e32 v4, s45
	v_add_co_u32_e32 v2, vcc, s44, v2
	v_addc_co_u32_e32 v3, vcc, v4, v3, vcc
	global_store_dword v[2:3], v6, off
.LBB907_211:
	s_or_b64 exec, exec, s[4:5]
	v_lshl_or_b32 v30, v1, 9, v7
	s_waitcnt lgkmcnt(0)
	s_barrier
	s_load_dword s4, s[42:43], 0x0
	ds_read_b128 v[2:5], v30
	ds_read_b128 v[6:9], v30 offset:16
	ds_read_b128 v[10:13], v30 offset:2048
	;; [unrolled: 1-line block ×7, first 2 shown]
	v_mov_b32_e32 v35, 0x80
	v_mov_b32_e32 v53, 0x140
	s_mov_b64 s[10:11], -1
	s_waitcnt lgkmcnt(0)
	s_mov_b32 s5, s4
	s_mov_b32 s6, s4
	;; [unrolled: 1-line block ×3, first 2 shown]
	s_movk_i32 s9, 0x80
	s_movk_i32 s21, 0x7f
	s_mov_b32 s22, 0xffffff
	s_mov_b32 s23, 0x5040100
	v_mov_b32_e32 v54, 0
	v_bfrev_b32_e32 v55, 60
	s_branch .LBB907_215
.LBB907_212:                            ;   in Loop: Header=BB907_215 Depth=1
	s_or_b64 exec, exec, s[16:17]
.LBB907_213:                            ;   in Loop: Header=BB907_215 Depth=1
	s_or_b64 exec, exec, s[14:15]
.LBB907_214:                            ;   in Loop: Header=BB907_215 Depth=1
	s_or_b64 exec, exec, s[12:13]
	v_perm_b32 v61, v56, v50, s23
	v_perm_b32 v60, v44, v46, s23
	s_xor_b64 s[12:13], s[10:11], -1
	s_mov_b64 s[10:11], 0
	v_mov_b32_e32 v46, v47
	v_mfma_f32_16x16x16bf16_1k v[60:63], v[60:61], v[30:31], v[34:37]
	s_and_b64 vcc, exec, s[12:13]
	s_nop 5
	v_perm_b32 v37, v58, v57, s23
	v_perm_b32 v36, v42, v51, s23
	v_mov_b32_e32 v35, v45
	s_nop 0
	v_mfma_f32_16x16x16bf16_1k v[56:59], v[36:37], v[32:33], v[60:63]
	s_nop 7
	s_nop 2
	v_pk_mul_f32 v[50:51], v[56:57], s[4:5]
	v_pk_mul_f32 v[36:37], v[58:59], s[6:7]
	v_bfe_u32 v34, v51, 16, 1
	v_bfe_u32 v38, v50, 16, 1
	;; [unrolled: 1-line block ×4, first 2 shown]
	v_add3_u32 v38, v50, v38, s19
	v_add3_u32 v34, v51, v34, s19
	;; [unrolled: 1-line block ×4, first 2 shown]
	v_perm_b32 v34, v34, v38, s20
	v_perm_b32 v36, v37, v36, s20
	buffer_store_dword v34, v53, s[0:3], 0 offen
	buffer_store_dword v36, v53, s[0:3], 0 offen offset:4
	v_mov_b32_e32 v53, 0x148
	v_mov_b32_e32 v51, v48
	;; [unrolled: 1-line block ×3, first 2 shown]
	s_cbranch_vccnz .LBB907_597
.LBB907_215:                            ; =>This Inner Loop Header: Depth=1
	buffer_load_dword v36, v35, s[0:3], 0 offen
	buffer_load_dword v34, v35, s[0:3], 0 offen offset:4
	buffer_load_dword v40, v35, s[0:3], 0 offen offset:8
	;; [unrolled: 1-line block ×3, first 2 shown]
	v_mov_b32_e32 v35, 0
	s_waitcnt vmcnt(3)
	v_cmp_ne_u16_sdwa s[14:15], v36, v54 src0_sel:BYTE_0 src1_sel:DWORD
	s_and_saveexec_b64 s[12:13], s[14:15]
	s_cbranch_execz .LBB907_221
; %bb.216:                              ;   in Loop: Header=BB907_215 Depth=1
	v_cmp_ne_u16_sdwa s[16:17], v36, s9 src0_sel:BYTE_0 src1_sel:DWORD
	v_mov_b32_e32 v35, 0xffff8000
	s_and_saveexec_b64 s[14:15], s[16:17]
	s_cbranch_execz .LBB907_220
; %bb.217:                              ;   in Loop: Header=BB907_215 Depth=1
	v_and_b32_e32 v37, 0x7f, v36
	v_cmp_ne_u32_e32 vcc, s21, v37
	v_mov_b32_e32 v35, 0x7f80
	s_and_saveexec_b64 s[16:17], vcc
	s_cbranch_execz .LBB907_219
; %bb.218:                              ;   in Loop: Header=BB907_215 Depth=1
	v_and_b32_e32 v35, 7, v36
	v_ffbh_u32_e32 v44, v35
	v_min_u32_e32 v44, 32, v44
	v_subrev_u32_e32 v56, 28, v44
	v_lshlrev_b64 v[56:57], v56, v[36:37]
	v_lshrrev_b32_e32 v42, 3, v37
	v_sub_u32_e32 v44, 29, v44
	v_and_b32_e32 v56, 7, v56
	v_cmp_gt_u32_e32 vcc, 8, v37
	v_cndmask_b32_e32 v37, v42, v44, vcc
	v_cndmask_b32_e32 v35, v35, v56, vcc
	v_lshlrev_b32_e32 v42, 24, v36
	v_lshlrev_b32_e32 v35, 20, v35
	v_and_b32_e32 v42, 0x80000000, v42
	v_lshl_add_u32 v37, v37, 23, v55
	v_or3_b32 v35, v42, v37, v35
	v_lshrrev_b32_e32 v35, 16, v35
.LBB907_219:                            ;   in Loop: Header=BB907_215 Depth=1
	s_or_b64 exec, exec, s[16:17]
.LBB907_220:                            ;   in Loop: Header=BB907_215 Depth=1
	s_or_b64 exec, exec, s[14:15]
.LBB907_221:                            ;   in Loop: Header=BB907_215 Depth=1
	s_or_b64 exec, exec, s[12:13]
	v_lshrrev_b16_e32 v42, 8, v36
	v_cmp_ne_u16_e32 vcc, 0, v42
	v_mov_b32_e32 v56, 0
	v_mov_b32_e32 v37, 0
	s_and_saveexec_b64 s[12:13], vcc
	s_cbranch_execz .LBB907_227
; %bb.222:                              ;   in Loop: Header=BB907_215 Depth=1
	v_cmp_ne_u16_e32 vcc, s9, v42
	v_mov_b32_e32 v37, 0xffff8000
	s_and_saveexec_b64 s[14:15], vcc
	s_cbranch_execz .LBB907_226
; %bb.223:                              ;   in Loop: Header=BB907_215 Depth=1
	v_and_b32_e32 v44, 0x7f, v42
	v_cmp_ne_u32_e32 vcc, s21, v44
	v_mov_b32_e32 v37, 0x7f80
	s_and_saveexec_b64 s[16:17], vcc
	s_cbranch_execz .LBB907_225
; %bb.224:                              ;   in Loop: Header=BB907_215 Depth=1
	v_and_b32_e32 v37, 7, v42
	v_ffbh_u32_e32 v58, v37
	v_min_u32_e32 v60, 32, v58
	v_subrev_u32_e32 v58, 28, v60
	v_lshlrev_b64 v[58:59], v58, v[42:43]
	v_lshrrev_b32_e32 v57, 3, v44
	v_sub_u32_e32 v42, 29, v60
	v_and_b32_e32 v58, 7, v58
	v_cmp_gt_u32_e32 vcc, 8, v44
	v_cndmask_b32_e32 v42, v57, v42, vcc
	v_cndmask_b32_e32 v37, v37, v58, vcc
	v_lshlrev_b32_e32 v44, 16, v36
	v_lshlrev_b32_e32 v37, 20, v37
	v_and_b32_e32 v44, 0x80000000, v44
	v_lshl_add_u32 v42, v42, 23, v55
	v_or3_b32 v37, v44, v42, v37
	v_lshrrev_b32_e32 v37, 16, v37
.LBB907_225:                            ;   in Loop: Header=BB907_215 Depth=1
	s_or_b64 exec, exec, s[16:17]
.LBB907_226:                            ;   in Loop: Header=BB907_215 Depth=1
	s_or_b64 exec, exec, s[14:15]
.LBB907_227:                            ;   in Loop: Header=BB907_215 Depth=1
	s_or_b64 exec, exec, s[12:13]
	v_lshrrev_b32_e32 v42, 16, v36
	v_cmp_ne_u16_sdwa s[14:15], v42, v54 src0_sel:BYTE_0 src1_sel:DWORD
	s_and_saveexec_b64 s[12:13], s[14:15]
	s_cbranch_execz .LBB907_233
; %bb.228:                              ;   in Loop: Header=BB907_215 Depth=1
	v_cmp_ne_u16_sdwa s[16:17], v42, s9 src0_sel:BYTE_0 src1_sel:DWORD
	v_mov_b32_e32 v56, 0xffff8000
	s_and_saveexec_b64 s[14:15], s[16:17]
	s_cbranch_execz .LBB907_232
; %bb.229:                              ;   in Loop: Header=BB907_215 Depth=1
	v_bfe_u32 v44, v36, 16, 7
	v_cmp_ne_u32_e32 vcc, s21, v44
	v_mov_b32_e32 v56, 0x7f80
	s_and_saveexec_b64 s[16:17], vcc
	s_cbranch_execz .LBB907_231
; %bb.230:                              ;   in Loop: Header=BB907_215 Depth=1
	v_and_b32_e32 v58, 7, v42
	v_ffbh_u32_e32 v56, v58
	v_min_u32_e32 v60, 32, v56
	v_subrev_u32_e32 v56, 28, v60
	v_lshlrev_b64 v[56:57], v56, v[42:43]
	v_lshrrev_b32_e32 v59, 3, v44
	v_sub_u32_e32 v57, 29, v60
	v_and_b32_e32 v56, 7, v56
	v_cmp_gt_u32_e32 vcc, 8, v44
	v_cndmask_b32_e32 v44, v59, v57, vcc
	v_cndmask_b32_e32 v56, v58, v56, vcc
	v_lshlrev_b32_e32 v42, 24, v42
	v_lshlrev_b32_e32 v56, 20, v56
	v_and_b32_e32 v42, 0x80000000, v42
	v_lshl_add_u32 v44, v44, 23, v55
	v_or3_b32 v42, v42, v44, v56
	v_lshrrev_b32_e32 v56, 16, v42
.LBB907_231:                            ;   in Loop: Header=BB907_215 Depth=1
	s_or_b64 exec, exec, s[16:17]
.LBB907_232:                            ;   in Loop: Header=BB907_215 Depth=1
	s_or_b64 exec, exec, s[14:15]
.LBB907_233:                            ;   in Loop: Header=BB907_215 Depth=1
	s_or_b64 exec, exec, s[12:13]
	v_cmp_lt_u32_e32 vcc, s22, v36
	v_mov_b32_e32 v57, 0
	v_mov_b32_e32 v58, 0
	s_and_saveexec_b64 s[12:13], vcc
	s_cbranch_execz .LBB907_239
; %bb.234:                              ;   in Loop: Header=BB907_215 Depth=1
	v_lshrrev_b32_e32 v42, 24, v36
	v_cmp_ne_u32_e32 vcc, s9, v42
	v_mov_b32_e32 v58, 0xffff8000
	s_and_saveexec_b64 s[14:15], vcc
	s_cbranch_execz .LBB907_238
; %bb.235:                              ;   in Loop: Header=BB907_215 Depth=1
	v_bfe_u32 v36, v36, 24, 7
	v_cmp_ne_u32_e32 vcc, s21, v36
	v_mov_b32_e32 v58, 0x7f80
	s_and_saveexec_b64 s[16:17], vcc
	s_cbranch_execz .LBB907_237
; %bb.236:                              ;   in Loop: Header=BB907_215 Depth=1
	v_and_b32_e32 v44, 7, v42
	v_ffbh_u32_e32 v58, v44
	v_min_u32_e32 v61, 32, v58
	v_subrev_u32_e32 v58, 28, v61
	v_lshlrev_b64 v[58:59], v58, v[42:43]
	v_lshrrev_b32_e32 v60, 3, v36
	v_sub_u32_e32 v59, 29, v61
	v_and_b32_e32 v58, 7, v58
	v_cmp_gt_u32_e32 vcc, 8, v36
	v_cndmask_b32_e32 v36, v60, v59, vcc
	v_cndmask_b32_e32 v44, v44, v58, vcc
	v_lshlrev_b32_e32 v42, 24, v42
	v_lshlrev_b32_e32 v44, 20, v44
	v_and_b32_e32 v42, 0x80000000, v42
	v_lshl_add_u32 v36, v36, 23, v55
	v_or3_b32 v36, v42, v36, v44
	v_lshrrev_b32_e32 v58, 16, v36
.LBB907_237:                            ;   in Loop: Header=BB907_215 Depth=1
	s_or_b64 exec, exec, s[16:17]
.LBB907_238:                            ;   in Loop: Header=BB907_215 Depth=1
	s_or_b64 exec, exec, s[14:15]
.LBB907_239:                            ;   in Loop: Header=BB907_215 Depth=1
	s_or_b64 exec, exec, s[12:13]
	s_waitcnt vmcnt(2)
	v_cmp_ne_u16_sdwa s[14:15], v34, v54 src0_sel:BYTE_0 src1_sel:DWORD
	s_and_saveexec_b64 s[12:13], s[14:15]
	s_cbranch_execz .LBB907_245
; %bb.240:                              ;   in Loop: Header=BB907_215 Depth=1
	v_cmp_ne_u16_sdwa s[16:17], v34, s9 src0_sel:BYTE_0 src1_sel:DWORD
	v_mov_b32_e32 v57, 0xffff8000
	s_and_saveexec_b64 s[14:15], s[16:17]
	s_cbranch_execz .LBB907_244
; %bb.241:                              ;   in Loop: Header=BB907_215 Depth=1
	v_and_b32_e32 v36, 0x7f, v34
	v_cmp_ne_u32_e32 vcc, s21, v36
	v_mov_b32_e32 v57, 0x7f80
	s_and_saveexec_b64 s[16:17], vcc
	s_cbranch_execz .LBB907_243
; %bb.242:                              ;   in Loop: Header=BB907_215 Depth=1
	v_and_b32_e32 v42, 7, v34
	v_ffbh_u32_e32 v57, v42
	v_min_u32_e32 v57, 32, v57
	v_subrev_u32_e32 v59, 28, v57
	v_lshlrev_b64 v[60:61], v59, v[34:35]
	v_lshrrev_b32_e32 v44, 3, v36
	v_sub_u32_e32 v57, 29, v57
	v_and_b32_e32 v59, 7, v60
	v_cmp_gt_u32_e32 vcc, 8, v36
	v_cndmask_b32_e32 v36, v44, v57, vcc
	v_cndmask_b32_e32 v42, v42, v59, vcc
	v_lshlrev_b32_e32 v44, 24, v34
	v_lshlrev_b32_e32 v42, 20, v42
	v_and_b32_e32 v44, 0x80000000, v44
	v_lshl_add_u32 v36, v36, 23, v55
	v_or3_b32 v36, v44, v36, v42
	v_lshrrev_b32_e32 v57, 16, v36
.LBB907_243:                            ;   in Loop: Header=BB907_215 Depth=1
	s_or_b64 exec, exec, s[16:17]
.LBB907_244:                            ;   in Loop: Header=BB907_215 Depth=1
	s_or_b64 exec, exec, s[14:15]
.LBB907_245:                            ;   in Loop: Header=BB907_215 Depth=1
	s_or_b64 exec, exec, s[12:13]
	v_lshrrev_b16_e32 v36, 8, v34
	v_cmp_ne_u16_e32 vcc, 0, v36
	v_mov_b32_e32 v59, 0
	v_mov_b32_e32 v42, 0
	s_and_saveexec_b64 s[12:13], vcc
	s_cbranch_execz .LBB907_251
; %bb.246:                              ;   in Loop: Header=BB907_215 Depth=1
	v_cmp_ne_u16_e32 vcc, s9, v36
	v_mov_b32_e32 v42, 0xffff8000
	s_and_saveexec_b64 s[14:15], vcc
	s_cbranch_execz .LBB907_250
; %bb.247:                              ;   in Loop: Header=BB907_215 Depth=1
	v_and_b32_e32 v44, 0x7f, v36
	v_cmp_ne_u32_e32 vcc, s21, v44
	v_mov_b32_e32 v42, 0x7f80
	s_and_saveexec_b64 s[16:17], vcc
	s_cbranch_execz .LBB907_249
; %bb.248:                              ;   in Loop: Header=BB907_215 Depth=1
	v_and_b32_e32 v42, 7, v36
	v_ffbh_u32_e32 v60, v42
	v_min_u32_e32 v63, 32, v60
	v_subrev_u32_e32 v60, 28, v63
	v_lshlrev_b64 v[60:61], v60, v[36:37]
	v_lshrrev_b32_e32 v62, 3, v44
	v_sub_u32_e32 v36, 29, v63
	v_and_b32_e32 v60, 7, v60
	v_cmp_gt_u32_e32 vcc, 8, v44
	v_cndmask_b32_e32 v36, v62, v36, vcc
	v_cndmask_b32_e32 v42, v42, v60, vcc
	v_lshlrev_b32_e32 v44, 16, v34
	v_lshlrev_b32_e32 v42, 20, v42
	v_and_b32_e32 v44, 0x80000000, v44
	v_lshl_add_u32 v36, v36, 23, v55
	v_or3_b32 v36, v44, v36, v42
	v_lshrrev_b32_e32 v42, 16, v36
.LBB907_249:                            ;   in Loop: Header=BB907_215 Depth=1
	s_or_b64 exec, exec, s[16:17]
.LBB907_250:                            ;   in Loop: Header=BB907_215 Depth=1
	s_or_b64 exec, exec, s[14:15]
.LBB907_251:                            ;   in Loop: Header=BB907_215 Depth=1
	s_or_b64 exec, exec, s[12:13]
	v_lshrrev_b32_e32 v36, 16, v34
	v_cmp_ne_u16_sdwa s[14:15], v36, v54 src0_sel:BYTE_0 src1_sel:DWORD
	s_and_saveexec_b64 s[12:13], s[14:15]
	s_cbranch_execz .LBB907_257
; %bb.252:                              ;   in Loop: Header=BB907_215 Depth=1
	v_cmp_ne_u16_sdwa s[16:17], v36, s9 src0_sel:BYTE_0 src1_sel:DWORD
	v_mov_b32_e32 v59, 0xffff8000
	s_and_saveexec_b64 s[14:15], s[16:17]
	s_cbranch_execz .LBB907_256
; %bb.253:                              ;   in Loop: Header=BB907_215 Depth=1
	v_bfe_u32 v44, v34, 16, 7
	v_cmp_ne_u32_e32 vcc, s21, v44
	v_mov_b32_e32 v59, 0x7f80
	s_and_saveexec_b64 s[16:17], vcc
	s_cbranch_execz .LBB907_255
; %bb.254:                              ;   in Loop: Header=BB907_215 Depth=1
	v_and_b32_e32 v59, 7, v36
	v_ffbh_u32_e32 v60, v59
	v_min_u32_e32 v63, 32, v60
	v_subrev_u32_e32 v60, 28, v63
	v_lshlrev_b64 v[60:61], v60, v[36:37]
	v_lshrrev_b32_e32 v62, 3, v44
	v_sub_u32_e32 v61, 29, v63
	v_and_b32_e32 v60, 7, v60
	v_cmp_gt_u32_e32 vcc, 8, v44
	v_cndmask_b32_e32 v44, v62, v61, vcc
	v_cndmask_b32_e32 v59, v59, v60, vcc
	v_lshlrev_b32_e32 v36, 24, v36
	v_lshlrev_b32_e32 v59, 20, v59
	v_and_b32_e32 v36, 0x80000000, v36
	v_lshl_add_u32 v44, v44, 23, v55
	v_or3_b32 v36, v36, v44, v59
	v_lshrrev_b32_e32 v59, 16, v36
.LBB907_255:                            ;   in Loop: Header=BB907_215 Depth=1
	s_or_b64 exec, exec, s[16:17]
.LBB907_256:                            ;   in Loop: Header=BB907_215 Depth=1
	s_or_b64 exec, exec, s[14:15]
.LBB907_257:                            ;   in Loop: Header=BB907_215 Depth=1
	s_or_b64 exec, exec, s[12:13]
	v_cmp_lt_u32_e32 vcc, s22, v34
	v_mov_b32_e32 v44, 0
	v_mov_b32_e32 v60, 0
	s_and_saveexec_b64 s[12:13], vcc
	s_cbranch_execz .LBB907_263
; %bb.258:                              ;   in Loop: Header=BB907_215 Depth=1
	v_lshrrev_b32_e32 v36, 24, v34
	v_cmp_ne_u32_e32 vcc, s9, v36
	v_mov_b32_e32 v60, 0xffff8000
	s_and_saveexec_b64 s[14:15], vcc
	s_cbranch_execz .LBB907_262
; %bb.259:                              ;   in Loop: Header=BB907_215 Depth=1
	v_bfe_u32 v34, v34, 24, 7
	v_cmp_ne_u32_e32 vcc, s21, v34
	v_mov_b32_e32 v60, 0x7f80
	s_and_saveexec_b64 s[16:17], vcc
	s_cbranch_execz .LBB907_261
; %bb.260:                              ;   in Loop: Header=BB907_215 Depth=1
	v_and_b32_e32 v62, 7, v36
	v_ffbh_u32_e32 v60, v62
	v_min_u32_e32 v64, 32, v60
	v_subrev_u32_e32 v60, 28, v64
	v_lshlrev_b64 v[60:61], v60, v[36:37]
	v_lshrrev_b32_e32 v63, 3, v34
	v_sub_u32_e32 v61, 29, v64
	v_and_b32_e32 v60, 7, v60
	v_cmp_gt_u32_e32 vcc, 8, v34
	v_cndmask_b32_e32 v34, v63, v61, vcc
	v_cndmask_b32_e32 v60, v62, v60, vcc
	v_lshlrev_b32_e32 v36, 24, v36
	v_lshlrev_b32_e32 v60, 20, v60
	v_and_b32_e32 v36, 0x80000000, v36
	v_lshl_add_u32 v34, v34, 23, v55
	v_or3_b32 v34, v36, v34, v60
	v_lshrrev_b32_e32 v60, 16, v34
.LBB907_261:                            ;   in Loop: Header=BB907_215 Depth=1
	s_or_b64 exec, exec, s[16:17]
.LBB907_262:                            ;   in Loop: Header=BB907_215 Depth=1
	s_or_b64 exec, exec, s[14:15]
.LBB907_263:                            ;   in Loop: Header=BB907_215 Depth=1
	s_or_b64 exec, exec, s[12:13]
	v_perm_b32 v63, v58, v56, s23
	v_perm_b32 v62, v37, v35, s23
	;; [unrolled: 1-line block ×4, first 2 shown]
	s_waitcnt vmcnt(1)
	v_cmp_ne_u16_sdwa s[14:15], v40, v54 src0_sel:BYTE_0 src1_sel:DWORD
	v_mfma_f32_16x16x16bf16_1k v[34:37], v[62:63], v[2:3], 0
	v_mfma_f32_16x16x16bf16_1k v[34:37], v[58:59], v[4:5], v[34:37]
	s_and_saveexec_b64 s[12:13], s[14:15]
	s_cbranch_execz .LBB907_269
; %bb.264:                              ;   in Loop: Header=BB907_215 Depth=1
	v_cmp_ne_u16_sdwa s[16:17], v40, s9 src0_sel:BYTE_0 src1_sel:DWORD
	v_mov_b32_e32 v44, 0xffff8000
	s_and_saveexec_b64 s[14:15], s[16:17]
	s_cbranch_execz .LBB907_268
; %bb.265:                              ;   in Loop: Header=BB907_215 Depth=1
	v_and_b32_e32 v42, 0x7f, v40
	v_cmp_ne_u32_e32 vcc, s21, v42
	v_mov_b32_e32 v44, 0x7f80
	s_and_saveexec_b64 s[16:17], vcc
	s_cbranch_execz .LBB907_267
; %bb.266:                              ;   in Loop: Header=BB907_215 Depth=1
	v_and_b32_e32 v44, 7, v40
	v_ffbh_u32_e32 v56, v44
	v_min_u32_e32 v59, 32, v56
	v_subrev_u32_e32 v56, 28, v59
	v_lshlrev_b64 v[56:57], v56, v[40:41]
	v_lshrrev_b32_e32 v58, 3, v42
	v_sub_u32_e32 v57, 29, v59
	v_and_b32_e32 v56, 7, v56
	v_cmp_gt_u32_e32 vcc, 8, v42
	v_cndmask_b32_e32 v42, v58, v57, vcc
	v_cndmask_b32_e32 v44, v44, v56, vcc
	v_lshlrev_b32_e32 v56, 24, v40
	v_lshlrev_b32_e32 v44, 20, v44
	v_and_b32_e32 v56, 0x80000000, v56
	v_lshl_add_u32 v42, v42, 23, v55
	v_or3_b32 v42, v56, v42, v44
	v_lshrrev_b32_e32 v44, 16, v42
.LBB907_267:                            ;   in Loop: Header=BB907_215 Depth=1
	s_or_b64 exec, exec, s[16:17]
.LBB907_268:                            ;   in Loop: Header=BB907_215 Depth=1
	s_or_b64 exec, exec, s[14:15]
.LBB907_269:                            ;   in Loop: Header=BB907_215 Depth=1
	s_or_b64 exec, exec, s[12:13]
	v_lshrrev_b16_e32 v42, 8, v40
	v_cmp_ne_u16_e32 vcc, 0, v42
	v_mov_b32_e32 v58, 0
	v_mov_b32_e32 v57, 0
	s_and_saveexec_b64 s[12:13], vcc
	s_cbranch_execz .LBB907_275
; %bb.270:                              ;   in Loop: Header=BB907_215 Depth=1
	v_cmp_ne_u16_e32 vcc, s9, v42
	v_mov_b32_e32 v57, 0xffff8000
	s_and_saveexec_b64 s[14:15], vcc
	s_cbranch_execz .LBB907_274
; %bb.271:                              ;   in Loop: Header=BB907_215 Depth=1
	v_and_b32_e32 v56, 0x7f, v42
	v_cmp_ne_u32_e32 vcc, s21, v56
	v_mov_b32_e32 v57, 0x7f80
	s_and_saveexec_b64 s[16:17], vcc
	s_cbranch_execz .LBB907_273
; %bb.272:                              ;   in Loop: Header=BB907_215 Depth=1
	v_and_b32_e32 v57, 7, v42
	v_ffbh_u32_e32 v60, v57
	v_min_u32_e32 v62, 32, v60
	v_subrev_u32_e32 v60, 28, v62
	v_lshlrev_b64 v[60:61], v60, v[42:43]
	v_lshrrev_b32_e32 v59, 3, v56
	v_sub_u32_e32 v42, 29, v62
	v_and_b32_e32 v60, 7, v60
	v_cmp_gt_u32_e32 vcc, 8, v56
	v_cndmask_b32_e32 v42, v59, v42, vcc
	v_cndmask_b32_e32 v56, v57, v60, vcc
	v_lshlrev_b32_e32 v57, 16, v40
	v_lshlrev_b32_e32 v56, 20, v56
	v_and_b32_e32 v57, 0x80000000, v57
	v_lshl_add_u32 v42, v42, 23, v55
	v_or3_b32 v42, v57, v42, v56
	v_lshrrev_b32_e32 v57, 16, v42
.LBB907_273:                            ;   in Loop: Header=BB907_215 Depth=1
	s_or_b64 exec, exec, s[16:17]
.LBB907_274:                            ;   in Loop: Header=BB907_215 Depth=1
	s_or_b64 exec, exec, s[14:15]
.LBB907_275:                            ;   in Loop: Header=BB907_215 Depth=1
	s_or_b64 exec, exec, s[12:13]
	v_lshrrev_b32_e32 v42, 16, v40
	v_cmp_ne_u16_sdwa s[14:15], v42, v54 src0_sel:BYTE_0 src1_sel:DWORD
	s_and_saveexec_b64 s[12:13], s[14:15]
	s_cbranch_execz .LBB907_281
; %bb.276:                              ;   in Loop: Header=BB907_215 Depth=1
	v_cmp_ne_u16_sdwa s[16:17], v42, s9 src0_sel:BYTE_0 src1_sel:DWORD
	v_mov_b32_e32 v58, 0xffff8000
	s_and_saveexec_b64 s[14:15], s[16:17]
	s_cbranch_execz .LBB907_280
; %bb.277:                              ;   in Loop: Header=BB907_215 Depth=1
	v_bfe_u32 v56, v40, 16, 7
	v_cmp_ne_u32_e32 vcc, s21, v56
	v_mov_b32_e32 v58, 0x7f80
	s_and_saveexec_b64 s[16:17], vcc
	s_cbranch_execz .LBB907_279
; %bb.278:                              ;   in Loop: Header=BB907_215 Depth=1
	v_and_b32_e32 v60, 7, v42
	v_ffbh_u32_e32 v58, v60
	v_min_u32_e32 v62, 32, v58
	v_subrev_u32_e32 v58, 28, v62
	v_lshlrev_b64 v[58:59], v58, v[42:43]
	v_lshrrev_b32_e32 v61, 3, v56
	v_sub_u32_e32 v59, 29, v62
	v_and_b32_e32 v58, 7, v58
	v_cmp_gt_u32_e32 vcc, 8, v56
	v_cndmask_b32_e32 v56, v61, v59, vcc
	v_cndmask_b32_e32 v58, v60, v58, vcc
	v_lshlrev_b32_e32 v42, 24, v42
	v_lshlrev_b32_e32 v58, 20, v58
	v_and_b32_e32 v42, 0x80000000, v42
	v_lshl_add_u32 v56, v56, 23, v55
	v_or3_b32 v42, v42, v56, v58
	v_lshrrev_b32_e32 v58, 16, v42
.LBB907_279:                            ;   in Loop: Header=BB907_215 Depth=1
	s_or_b64 exec, exec, s[16:17]
.LBB907_280:                            ;   in Loop: Header=BB907_215 Depth=1
	s_or_b64 exec, exec, s[14:15]
.LBB907_281:                            ;   in Loop: Header=BB907_215 Depth=1
	s_or_b64 exec, exec, s[12:13]
	v_cmp_lt_u32_e32 vcc, s22, v40
	v_mov_b32_e32 v59, 0
	v_mov_b32_e32 v60, 0
	s_and_saveexec_b64 s[12:13], vcc
	s_cbranch_execz .LBB907_287
; %bb.282:                              ;   in Loop: Header=BB907_215 Depth=1
	v_lshrrev_b32_e32 v42, 24, v40
	v_cmp_ne_u32_e32 vcc, s9, v42
	v_mov_b32_e32 v60, 0xffff8000
	s_and_saveexec_b64 s[14:15], vcc
	s_cbranch_execz .LBB907_286
; %bb.283:                              ;   in Loop: Header=BB907_215 Depth=1
	v_bfe_u32 v40, v40, 24, 7
	v_cmp_ne_u32_e32 vcc, s21, v40
	v_mov_b32_e32 v60, 0x7f80
	s_and_saveexec_b64 s[16:17], vcc
	s_cbranch_execz .LBB907_285
; %bb.284:                              ;   in Loop: Header=BB907_215 Depth=1
	v_and_b32_e32 v56, 7, v42
	v_ffbh_u32_e32 v60, v56
	v_min_u32_e32 v63, 32, v60
	v_subrev_u32_e32 v60, 28, v63
	v_lshlrev_b64 v[60:61], v60, v[42:43]
	v_lshrrev_b32_e32 v62, 3, v40
	v_sub_u32_e32 v61, 29, v63
	v_and_b32_e32 v60, 7, v60
	v_cmp_gt_u32_e32 vcc, 8, v40
	v_cndmask_b32_e32 v40, v62, v61, vcc
	v_cndmask_b32_e32 v56, v56, v60, vcc
	v_lshlrev_b32_e32 v42, 24, v42
	v_lshlrev_b32_e32 v56, 20, v56
	v_and_b32_e32 v42, 0x80000000, v42
	v_lshl_add_u32 v40, v40, 23, v55
	v_or3_b32 v40, v42, v40, v56
	v_lshrrev_b32_e32 v60, 16, v40
.LBB907_285:                            ;   in Loop: Header=BB907_215 Depth=1
	s_or_b64 exec, exec, s[16:17]
.LBB907_286:                            ;   in Loop: Header=BB907_215 Depth=1
	s_or_b64 exec, exec, s[14:15]
.LBB907_287:                            ;   in Loop: Header=BB907_215 Depth=1
	s_or_b64 exec, exec, s[12:13]
	s_waitcnt vmcnt(0)
	v_cmp_ne_u16_sdwa s[14:15], v38, v54 src0_sel:BYTE_0 src1_sel:DWORD
	s_and_saveexec_b64 s[12:13], s[14:15]
	s_cbranch_execz .LBB907_293
; %bb.288:                              ;   in Loop: Header=BB907_215 Depth=1
	v_cmp_ne_u16_sdwa s[16:17], v38, s9 src0_sel:BYTE_0 src1_sel:DWORD
	v_mov_b32_e32 v59, 0xffff8000
	s_and_saveexec_b64 s[14:15], s[16:17]
	s_cbranch_execz .LBB907_292
; %bb.289:                              ;   in Loop: Header=BB907_215 Depth=1
	v_and_b32_e32 v40, 0x7f, v38
	v_cmp_ne_u32_e32 vcc, s21, v40
	v_mov_b32_e32 v59, 0x7f80
	s_and_saveexec_b64 s[16:17], vcc
	s_cbranch_execz .LBB907_291
; %bb.290:                              ;   in Loop: Header=BB907_215 Depth=1
	v_and_b32_e32 v42, 7, v38
	v_ffbh_u32_e32 v59, v42
	v_min_u32_e32 v59, 32, v59
	v_subrev_u32_e32 v61, 28, v59
	v_lshlrev_b64 v[62:63], v61, v[38:39]
	v_lshrrev_b32_e32 v56, 3, v40
	v_sub_u32_e32 v59, 29, v59
	v_and_b32_e32 v61, 7, v62
	v_cmp_gt_u32_e32 vcc, 8, v40
	v_cndmask_b32_e32 v40, v56, v59, vcc
	v_cndmask_b32_e32 v42, v42, v61, vcc
	v_lshlrev_b32_e32 v56, 24, v38
	v_lshlrev_b32_e32 v42, 20, v42
	v_and_b32_e32 v56, 0x80000000, v56
	v_lshl_add_u32 v40, v40, 23, v55
	v_or3_b32 v40, v56, v40, v42
	v_lshrrev_b32_e32 v59, 16, v40
.LBB907_291:                            ;   in Loop: Header=BB907_215 Depth=1
	s_or_b64 exec, exec, s[16:17]
.LBB907_292:                            ;   in Loop: Header=BB907_215 Depth=1
	s_or_b64 exec, exec, s[14:15]
.LBB907_293:                            ;   in Loop: Header=BB907_215 Depth=1
	s_or_b64 exec, exec, s[12:13]
	v_lshrrev_b16_e32 v40, 8, v38
	v_cmp_ne_u16_e32 vcc, 0, v40
	v_mov_b32_e32 v62, 0
	v_mov_b32_e32 v61, 0
	s_and_saveexec_b64 s[12:13], vcc
	s_cbranch_execz .LBB907_299
; %bb.294:                              ;   in Loop: Header=BB907_215 Depth=1
	v_cmp_ne_u16_e32 vcc, s9, v40
	v_mov_b32_e32 v61, 0xffff8000
	s_and_saveexec_b64 s[14:15], vcc
	s_cbranch_execz .LBB907_298
; %bb.295:                              ;   in Loop: Header=BB907_215 Depth=1
	v_and_b32_e32 v42, 0x7f, v40
	v_cmp_ne_u32_e32 vcc, s21, v42
	v_mov_b32_e32 v61, 0x7f80
	s_and_saveexec_b64 s[16:17], vcc
	s_cbranch_execz .LBB907_297
; %bb.296:                              ;   in Loop: Header=BB907_215 Depth=1
	v_and_b32_e32 v56, 7, v40
	v_ffbh_u32_e32 v63, v56
	v_min_u32_e32 v63, 32, v63
	v_subrev_u32_e32 v64, 28, v63
	v_lshlrev_b64 v[64:65], v64, v[40:41]
	v_lshrrev_b32_e32 v61, 3, v42
	v_sub_u32_e32 v40, 29, v63
	v_and_b32_e32 v63, 7, v64
	v_cmp_gt_u32_e32 vcc, 8, v42
	v_cndmask_b32_e32 v40, v61, v40, vcc
	v_cndmask_b32_e32 v42, v56, v63, vcc
	v_lshlrev_b32_e32 v56, 16, v38
	v_lshlrev_b32_e32 v42, 20, v42
	v_and_b32_e32 v56, 0x80000000, v56
	v_lshl_add_u32 v40, v40, 23, v55
	v_or3_b32 v40, v56, v40, v42
	v_lshrrev_b32_e32 v61, 16, v40
.LBB907_297:                            ;   in Loop: Header=BB907_215 Depth=1
	s_or_b64 exec, exec, s[16:17]
.LBB907_298:                            ;   in Loop: Header=BB907_215 Depth=1
	s_or_b64 exec, exec, s[14:15]
.LBB907_299:                            ;   in Loop: Header=BB907_215 Depth=1
	s_or_b64 exec, exec, s[12:13]
	v_lshrrev_b32_e32 v40, 16, v38
	v_cmp_ne_u16_sdwa s[14:15], v40, v54 src0_sel:BYTE_0 src1_sel:DWORD
	s_and_saveexec_b64 s[12:13], s[14:15]
	s_cbranch_execz .LBB907_305
; %bb.300:                              ;   in Loop: Header=BB907_215 Depth=1
	v_cmp_ne_u16_sdwa s[16:17], v40, s9 src0_sel:BYTE_0 src1_sel:DWORD
	v_mov_b32_e32 v62, 0xffff8000
	s_and_saveexec_b64 s[14:15], s[16:17]
	s_cbranch_execz .LBB907_304
; %bb.301:                              ;   in Loop: Header=BB907_215 Depth=1
	v_bfe_u32 v42, v38, 16, 7
	v_cmp_ne_u32_e32 vcc, s21, v42
	v_mov_b32_e32 v62, 0x7f80
	s_and_saveexec_b64 s[16:17], vcc
	s_cbranch_execz .LBB907_303
; %bb.302:                              ;   in Loop: Header=BB907_215 Depth=1
	v_and_b32_e32 v56, 7, v40
	v_ffbh_u32_e32 v62, v56
	v_min_u32_e32 v65, 32, v62
	v_subrev_u32_e32 v62, 28, v65
	v_lshlrev_b64 v[62:63], v62, v[40:41]
	v_lshrrev_b32_e32 v64, 3, v42
	v_sub_u32_e32 v63, 29, v65
	v_and_b32_e32 v62, 7, v62
	v_cmp_gt_u32_e32 vcc, 8, v42
	v_cndmask_b32_e32 v42, v64, v63, vcc
	v_cndmask_b32_e32 v56, v56, v62, vcc
	v_lshlrev_b32_e32 v40, 24, v40
	v_lshlrev_b32_e32 v56, 20, v56
	v_and_b32_e32 v40, 0x80000000, v40
	v_lshl_add_u32 v42, v42, 23, v55
	v_or3_b32 v40, v40, v42, v56
	v_lshrrev_b32_e32 v62, 16, v40
.LBB907_303:                            ;   in Loop: Header=BB907_215 Depth=1
	s_or_b64 exec, exec, s[16:17]
.LBB907_304:                            ;   in Loop: Header=BB907_215 Depth=1
	s_or_b64 exec, exec, s[14:15]
.LBB907_305:                            ;   in Loop: Header=BB907_215 Depth=1
	s_or_b64 exec, exec, s[12:13]
	v_cmp_lt_u32_e32 vcc, s22, v38
	v_mov_b32_e32 v56, 0
	v_mov_b32_e32 v63, 0
	s_and_saveexec_b64 s[12:13], vcc
	s_cbranch_execz .LBB907_311
; %bb.306:                              ;   in Loop: Header=BB907_215 Depth=1
	v_lshrrev_b32_e32 v40, 24, v38
	v_cmp_ne_u32_e32 vcc, s9, v40
	v_mov_b32_e32 v63, 0xffff8000
	s_and_saveexec_b64 s[14:15], vcc
	s_cbranch_execz .LBB907_310
; %bb.307:                              ;   in Loop: Header=BB907_215 Depth=1
	v_bfe_u32 v38, v38, 24, 7
	v_cmp_ne_u32_e32 vcc, s21, v38
	v_mov_b32_e32 v63, 0x7f80
	s_and_saveexec_b64 s[16:17], vcc
	s_cbranch_execz .LBB907_309
; %bb.308:                              ;   in Loop: Header=BB907_215 Depth=1
	v_and_b32_e32 v42, 7, v40
	v_ffbh_u32_e32 v64, v42
	v_min_u32_e32 v66, 32, v64
	v_subrev_u32_e32 v64, 28, v66
	v_lshlrev_b64 v[64:65], v64, v[40:41]
	v_lshrrev_b32_e32 v63, 3, v38
	v_sub_u32_e32 v65, 29, v66
	v_and_b32_e32 v64, 7, v64
	v_cmp_gt_u32_e32 vcc, 8, v38
	v_cndmask_b32_e32 v38, v63, v65, vcc
	v_cndmask_b32_e32 v42, v42, v64, vcc
	v_lshlrev_b32_e32 v40, 24, v40
	v_lshlrev_b32_e32 v42, 20, v42
	v_and_b32_e32 v40, 0x80000000, v40
	v_lshl_add_u32 v38, v38, 23, v55
	v_or3_b32 v38, v40, v38, v42
	v_lshrrev_b32_e32 v63, 16, v38
.LBB907_309:                            ;   in Loop: Header=BB907_215 Depth=1
	s_or_b64 exec, exec, s[16:17]
.LBB907_310:                            ;   in Loop: Header=BB907_215 Depth=1
	s_or_b64 exec, exec, s[14:15]
.LBB907_311:                            ;   in Loop: Header=BB907_215 Depth=1
	s_or_b64 exec, exec, s[12:13]
	v_perm_b32 v64, v57, v44, s23
	buffer_load_dword v44, v46, s[0:3], 0 offen
	buffer_load_dword v42, v46, s[0:3], 0 offen offset:4
	buffer_load_dword v40, v46, s[0:3], 0 offen offset:8
	;; [unrolled: 1-line block ×3, first 2 shown]
	v_perm_b32 v65, v60, v58, s23
	v_perm_b32 v63, v63, v62, s23
	;; [unrolled: 1-line block ×3, first 2 shown]
	v_mfma_f32_16x16x16bf16_1k v[34:37], v[64:65], v[6:7], v[34:37]
	s_waitcnt vmcnt(3)
	v_cmp_ne_u16_sdwa s[14:15], v44, v54 src0_sel:BYTE_0 src1_sel:DWORD
	v_mfma_f32_16x16x16bf16_1k v[34:37], v[62:63], v[8:9], v[34:37]
	s_and_saveexec_b64 s[12:13], s[14:15]
	s_cbranch_execz .LBB907_317
; %bb.312:                              ;   in Loop: Header=BB907_215 Depth=1
	v_cmp_ne_u16_sdwa s[16:17], v44, s9 src0_sel:BYTE_0 src1_sel:DWORD
	v_mov_b32_e32 v56, 0xffff8000
	s_and_saveexec_b64 s[14:15], s[16:17]
	s_cbranch_execz .LBB907_316
; %bb.313:                              ;   in Loop: Header=BB907_215 Depth=1
	v_and_b32_e32 v46, 0x7f, v44
	v_cmp_ne_u32_e32 vcc, s21, v46
	v_mov_b32_e32 v56, 0x7f80
	s_and_saveexec_b64 s[16:17], vcc
	s_cbranch_execz .LBB907_315
; %bb.314:                              ;   in Loop: Header=BB907_215 Depth=1
	v_and_b32_e32 v58, 7, v44
	v_ffbh_u32_e32 v56, v58
	v_min_u32_e32 v60, 32, v56
	v_subrev_u32_e32 v56, 28, v60
	v_lshlrev_b64 v[56:57], v56, v[44:45]
	v_lshrrev_b32_e32 v59, 3, v46
	v_sub_u32_e32 v57, 29, v60
	v_and_b32_e32 v56, 7, v56
	v_cmp_gt_u32_e32 vcc, 8, v46
	v_cndmask_b32_e32 v46, v59, v57, vcc
	v_cndmask_b32_e32 v56, v58, v56, vcc
	v_lshlrev_b32_e32 v57, 24, v44
	v_lshlrev_b32_e32 v56, 20, v56
	v_and_b32_e32 v57, 0x80000000, v57
	v_lshl_add_u32 v46, v46, 23, v55
	v_or3_b32 v46, v57, v46, v56
	v_lshrrev_b32_e32 v56, 16, v46
.LBB907_315:                            ;   in Loop: Header=BB907_215 Depth=1
	s_or_b64 exec, exec, s[16:17]
.LBB907_316:                            ;   in Loop: Header=BB907_215 Depth=1
	s_or_b64 exec, exec, s[14:15]
.LBB907_317:                            ;   in Loop: Header=BB907_215 Depth=1
	s_or_b64 exec, exec, s[12:13]
	v_lshrrev_b16_e32 v46, 8, v44
	v_cmp_ne_u16_e32 vcc, 0, v46
	v_mov_b32_e32 v58, 0
	v_mov_b32_e32 v57, 0
	s_and_saveexec_b64 s[12:13], vcc
	s_cbranch_execz .LBB907_323
; %bb.318:                              ;   in Loop: Header=BB907_215 Depth=1
	v_cmp_ne_u16_e32 vcc, s9, v46
	v_mov_b32_e32 v57, 0xffff8000
	s_and_saveexec_b64 s[14:15], vcc
	s_cbranch_execz .LBB907_322
; %bb.319:                              ;   in Loop: Header=BB907_215 Depth=1
	v_and_b32_e32 v59, 0x7f, v46
	v_cmp_ne_u32_e32 vcc, s21, v59
	v_mov_b32_e32 v57, 0x7f80
	s_and_saveexec_b64 s[16:17], vcc
	s_cbranch_execz .LBB907_321
; %bb.320:                              ;   in Loop: Header=BB907_215 Depth=1
	v_and_b32_e32 v57, 7, v46
	v_ffbh_u32_e32 v60, v57
	v_min_u32_e32 v63, 32, v60
	v_subrev_u32_e32 v60, 28, v63
	v_lshlrev_b64 v[60:61], v60, v[46:47]
	v_lshrrev_b32_e32 v62, 3, v59
	v_sub_u32_e32 v46, 29, v63
	v_and_b32_e32 v60, 7, v60
	v_cmp_gt_u32_e32 vcc, 8, v59
	v_cndmask_b32_e32 v46, v62, v46, vcc
	v_cndmask_b32_e32 v57, v57, v60, vcc
	v_lshlrev_b32_e32 v59, 16, v44
	v_lshlrev_b32_e32 v57, 20, v57
	v_and_b32_e32 v59, 0x80000000, v59
	v_lshl_add_u32 v46, v46, 23, v55
	v_or3_b32 v46, v59, v46, v57
	v_lshrrev_b32_e32 v57, 16, v46
.LBB907_321:                            ;   in Loop: Header=BB907_215 Depth=1
	s_or_b64 exec, exec, s[16:17]
.LBB907_322:                            ;   in Loop: Header=BB907_215 Depth=1
	s_or_b64 exec, exec, s[14:15]
.LBB907_323:                            ;   in Loop: Header=BB907_215 Depth=1
	s_or_b64 exec, exec, s[12:13]
	v_lshrrev_b32_e32 v46, 16, v44
	v_cmp_ne_u16_sdwa s[14:15], v46, v54 src0_sel:BYTE_0 src1_sel:DWORD
	s_and_saveexec_b64 s[12:13], s[14:15]
	s_cbranch_execz .LBB907_329
; %bb.324:                              ;   in Loop: Header=BB907_215 Depth=1
	v_cmp_ne_u16_sdwa s[16:17], v46, s9 src0_sel:BYTE_0 src1_sel:DWORD
	v_mov_b32_e32 v58, 0xffff8000
	s_and_saveexec_b64 s[14:15], s[16:17]
	s_cbranch_execz .LBB907_328
; %bb.325:                              ;   in Loop: Header=BB907_215 Depth=1
	v_bfe_u32 v59, v44, 16, 7
	v_cmp_ne_u32_e32 vcc, s21, v59
	v_mov_b32_e32 v58, 0x7f80
	s_and_saveexec_b64 s[16:17], vcc
	s_cbranch_execz .LBB907_327
; %bb.326:                              ;   in Loop: Header=BB907_215 Depth=1
	v_and_b32_e32 v58, 7, v46
	v_ffbh_u32_e32 v60, v58
	v_min_u32_e32 v63, 32, v60
	v_subrev_u32_e32 v60, 28, v63
	v_lshlrev_b64 v[60:61], v60, v[46:47]
	v_lshrrev_b32_e32 v62, 3, v59
	v_sub_u32_e32 v61, 29, v63
	v_and_b32_e32 v60, 7, v60
	v_cmp_gt_u32_e32 vcc, 8, v59
	v_cndmask_b32_e32 v59, v62, v61, vcc
	v_cndmask_b32_e32 v58, v58, v60, vcc
	v_lshlrev_b32_e32 v46, 24, v46
	v_lshlrev_b32_e32 v58, 20, v58
	v_and_b32_e32 v46, 0x80000000, v46
	v_lshl_add_u32 v59, v59, 23, v55
	v_or3_b32 v46, v46, v59, v58
	v_lshrrev_b32_e32 v58, 16, v46
.LBB907_327:                            ;   in Loop: Header=BB907_215 Depth=1
	s_or_b64 exec, exec, s[16:17]
.LBB907_328:                            ;   in Loop: Header=BB907_215 Depth=1
	s_or_b64 exec, exec, s[14:15]
.LBB907_329:                            ;   in Loop: Header=BB907_215 Depth=1
	s_or_b64 exec, exec, s[12:13]
	v_cmp_lt_u32_e32 vcc, s22, v44
	v_mov_b32_e32 v59, 0
	v_mov_b32_e32 v60, 0
	s_and_saveexec_b64 s[12:13], vcc
	s_cbranch_execz .LBB907_335
; %bb.330:                              ;   in Loop: Header=BB907_215 Depth=1
	v_lshrrev_b32_e32 v46, 24, v44
	v_cmp_ne_u32_e32 vcc, s9, v46
	v_mov_b32_e32 v60, 0xffff8000
	s_and_saveexec_b64 s[14:15], vcc
	s_cbranch_execz .LBB907_334
; %bb.331:                              ;   in Loop: Header=BB907_215 Depth=1
	v_bfe_u32 v44, v44, 24, 7
	v_cmp_ne_u32_e32 vcc, s21, v44
	v_mov_b32_e32 v60, 0x7f80
	s_and_saveexec_b64 s[16:17], vcc
	s_cbranch_execz .LBB907_333
; %bb.332:                              ;   in Loop: Header=BB907_215 Depth=1
	v_and_b32_e32 v62, 7, v46
	v_ffbh_u32_e32 v60, v62
	v_min_u32_e32 v64, 32, v60
	v_subrev_u32_e32 v60, 28, v64
	v_lshlrev_b64 v[60:61], v60, v[46:47]
	v_lshrrev_b32_e32 v63, 3, v44
	v_sub_u32_e32 v61, 29, v64
	v_and_b32_e32 v60, 7, v60
	v_cmp_gt_u32_e32 vcc, 8, v44
	v_cndmask_b32_e32 v44, v63, v61, vcc
	v_cndmask_b32_e32 v60, v62, v60, vcc
	v_lshlrev_b32_e32 v46, 24, v46
	v_lshlrev_b32_e32 v60, 20, v60
	v_and_b32_e32 v46, 0x80000000, v46
	v_lshl_add_u32 v44, v44, 23, v55
	v_or3_b32 v44, v46, v44, v60
	v_lshrrev_b32_e32 v60, 16, v44
.LBB907_333:                            ;   in Loop: Header=BB907_215 Depth=1
	s_or_b64 exec, exec, s[16:17]
.LBB907_334:                            ;   in Loop: Header=BB907_215 Depth=1
	s_or_b64 exec, exec, s[14:15]
.LBB907_335:                            ;   in Loop: Header=BB907_215 Depth=1
	s_or_b64 exec, exec, s[12:13]
	s_waitcnt vmcnt(2)
	v_cmp_ne_u16_sdwa s[14:15], v42, v54 src0_sel:BYTE_0 src1_sel:DWORD
	s_and_saveexec_b64 s[12:13], s[14:15]
	s_cbranch_execz .LBB907_341
; %bb.336:                              ;   in Loop: Header=BB907_215 Depth=1
	v_cmp_ne_u16_sdwa s[16:17], v42, s9 src0_sel:BYTE_0 src1_sel:DWORD
	v_mov_b32_e32 v59, 0xffff8000
	s_and_saveexec_b64 s[14:15], s[16:17]
	s_cbranch_execz .LBB907_340
; %bb.337:                              ;   in Loop: Header=BB907_215 Depth=1
	v_and_b32_e32 v44, 0x7f, v42
	v_cmp_ne_u32_e32 vcc, s21, v44
	v_mov_b32_e32 v59, 0x7f80
	s_and_saveexec_b64 s[16:17], vcc
	s_cbranch_execz .LBB907_339
; %bb.338:                              ;   in Loop: Header=BB907_215 Depth=1
	v_and_b32_e32 v46, 7, v42
	v_ffbh_u32_e32 v61, v46
	v_min_u32_e32 v61, 32, v61
	v_subrev_u32_e32 v62, 28, v61
	v_lshlrev_b64 v[62:63], v62, v[42:43]
	v_lshrrev_b32_e32 v59, 3, v44
	v_sub_u32_e32 v61, 29, v61
	v_and_b32_e32 v62, 7, v62
	v_cmp_gt_u32_e32 vcc, 8, v44
	v_cndmask_b32_e32 v44, v59, v61, vcc
	v_cndmask_b32_e32 v46, v46, v62, vcc
	v_lshlrev_b32_e32 v59, 24, v42
	v_lshlrev_b32_e32 v46, 20, v46
	v_and_b32_e32 v59, 0x80000000, v59
	v_lshl_add_u32 v44, v44, 23, v55
	v_or3_b32 v44, v59, v44, v46
	v_lshrrev_b32_e32 v59, 16, v44
.LBB907_339:                            ;   in Loop: Header=BB907_215 Depth=1
	s_or_b64 exec, exec, s[16:17]
.LBB907_340:                            ;   in Loop: Header=BB907_215 Depth=1
	s_or_b64 exec, exec, s[14:15]
.LBB907_341:                            ;   in Loop: Header=BB907_215 Depth=1
	s_or_b64 exec, exec, s[12:13]
	v_lshrrev_b16_e32 v44, 8, v42
	v_cmp_ne_u16_e32 vcc, 0, v44
	v_mov_b32_e32 v62, 0
	v_mov_b32_e32 v61, 0
	s_and_saveexec_b64 s[12:13], vcc
	s_cbranch_execz .LBB907_347
; %bb.342:                              ;   in Loop: Header=BB907_215 Depth=1
	v_cmp_ne_u16_e32 vcc, s9, v44
	v_mov_b32_e32 v61, 0xffff8000
	s_and_saveexec_b64 s[14:15], vcc
	s_cbranch_execz .LBB907_346
; %bb.343:                              ;   in Loop: Header=BB907_215 Depth=1
	v_and_b32_e32 v46, 0x7f, v44
	v_cmp_ne_u32_e32 vcc, s21, v46
	v_mov_b32_e32 v61, 0x7f80
	s_and_saveexec_b64 s[16:17], vcc
	s_cbranch_execz .LBB907_345
; %bb.344:                              ;   in Loop: Header=BB907_215 Depth=1
	v_and_b32_e32 v61, 7, v44
	v_ffbh_u32_e32 v64, v61
	v_min_u32_e32 v66, 32, v64
	v_subrev_u32_e32 v64, 28, v66
	v_lshlrev_b64 v[64:65], v64, v[44:45]
	v_lshrrev_b32_e32 v63, 3, v46
	v_sub_u32_e32 v44, 29, v66
	v_and_b32_e32 v64, 7, v64
	v_cmp_gt_u32_e32 vcc, 8, v46
	v_cndmask_b32_e32 v44, v63, v44, vcc
	v_cndmask_b32_e32 v46, v61, v64, vcc
	v_lshlrev_b32_e32 v61, 16, v42
	v_lshlrev_b32_e32 v46, 20, v46
	v_and_b32_e32 v61, 0x80000000, v61
	v_lshl_add_u32 v44, v44, 23, v55
	v_or3_b32 v44, v61, v44, v46
	v_lshrrev_b32_e32 v61, 16, v44
.LBB907_345:                            ;   in Loop: Header=BB907_215 Depth=1
	s_or_b64 exec, exec, s[16:17]
.LBB907_346:                            ;   in Loop: Header=BB907_215 Depth=1
	s_or_b64 exec, exec, s[14:15]
.LBB907_347:                            ;   in Loop: Header=BB907_215 Depth=1
	s_or_b64 exec, exec, s[12:13]
	v_lshrrev_b32_e32 v44, 16, v42
	v_cmp_ne_u16_sdwa s[14:15], v44, v54 src0_sel:BYTE_0 src1_sel:DWORD
	s_and_saveexec_b64 s[12:13], s[14:15]
	s_cbranch_execz .LBB907_353
; %bb.348:                              ;   in Loop: Header=BB907_215 Depth=1
	v_cmp_ne_u16_sdwa s[16:17], v44, s9 src0_sel:BYTE_0 src1_sel:DWORD
	v_mov_b32_e32 v62, 0xffff8000
	s_and_saveexec_b64 s[14:15], s[16:17]
	s_cbranch_execz .LBB907_352
; %bb.349:                              ;   in Loop: Header=BB907_215 Depth=1
	v_bfe_u32 v46, v42, 16, 7
	v_cmp_ne_u32_e32 vcc, s21, v46
	v_mov_b32_e32 v62, 0x7f80
	s_and_saveexec_b64 s[16:17], vcc
	s_cbranch_execz .LBB907_351
; %bb.350:                              ;   in Loop: Header=BB907_215 Depth=1
	v_and_b32_e32 v64, 7, v44
	v_ffbh_u32_e32 v62, v64
	v_min_u32_e32 v66, 32, v62
	v_subrev_u32_e32 v62, 28, v66
	v_lshlrev_b64 v[62:63], v62, v[44:45]
	v_lshrrev_b32_e32 v65, 3, v46
	v_sub_u32_e32 v63, 29, v66
	v_and_b32_e32 v62, 7, v62
	v_cmp_gt_u32_e32 vcc, 8, v46
	v_cndmask_b32_e32 v46, v65, v63, vcc
	v_cndmask_b32_e32 v62, v64, v62, vcc
	v_lshlrev_b32_e32 v44, 24, v44
	v_lshlrev_b32_e32 v62, 20, v62
	v_and_b32_e32 v44, 0x80000000, v44
	v_lshl_add_u32 v46, v46, 23, v55
	v_or3_b32 v44, v44, v46, v62
	v_lshrrev_b32_e32 v62, 16, v44
.LBB907_351:                            ;   in Loop: Header=BB907_215 Depth=1
	s_or_b64 exec, exec, s[16:17]
.LBB907_352:                            ;   in Loop: Header=BB907_215 Depth=1
	s_or_b64 exec, exec, s[14:15]
.LBB907_353:                            ;   in Loop: Header=BB907_215 Depth=1
	s_or_b64 exec, exec, s[12:13]
	v_cmp_lt_u32_e32 vcc, s22, v42
	v_mov_b32_e32 v46, 0
	v_mov_b32_e32 v63, 0
	s_and_saveexec_b64 s[12:13], vcc
	s_cbranch_execz .LBB907_359
; %bb.354:                              ;   in Loop: Header=BB907_215 Depth=1
	v_lshrrev_b32_e32 v44, 24, v42
	v_cmp_ne_u32_e32 vcc, s9, v44
	v_mov_b32_e32 v63, 0xffff8000
	s_and_saveexec_b64 s[14:15], vcc
	s_cbranch_execz .LBB907_358
; %bb.355:                              ;   in Loop: Header=BB907_215 Depth=1
	v_bfe_u32 v42, v42, 24, 7
	v_cmp_ne_u32_e32 vcc, s21, v42
	v_mov_b32_e32 v63, 0x7f80
	s_and_saveexec_b64 s[16:17], vcc
	s_cbranch_execz .LBB907_357
; %bb.356:                              ;   in Loop: Header=BB907_215 Depth=1
	v_and_b32_e32 v63, 7, v44
	v_ffbh_u32_e32 v64, v63
	v_min_u32_e32 v67, 32, v64
	v_subrev_u32_e32 v64, 28, v67
	v_lshlrev_b64 v[64:65], v64, v[44:45]
	v_lshrrev_b32_e32 v66, 3, v42
	v_sub_u32_e32 v65, 29, v67
	v_and_b32_e32 v64, 7, v64
	v_cmp_gt_u32_e32 vcc, 8, v42
	v_cndmask_b32_e32 v42, v66, v65, vcc
	v_cndmask_b32_e32 v63, v63, v64, vcc
	v_lshlrev_b32_e32 v44, 24, v44
	v_lshlrev_b32_e32 v63, 20, v63
	v_and_b32_e32 v44, 0x80000000, v44
	v_lshl_add_u32 v42, v42, 23, v55
	v_or3_b32 v42, v44, v42, v63
	v_lshrrev_b32_e32 v63, 16, v42
.LBB907_357:                            ;   in Loop: Header=BB907_215 Depth=1
	s_or_b64 exec, exec, s[16:17]
.LBB907_358:                            ;   in Loop: Header=BB907_215 Depth=1
	s_or_b64 exec, exec, s[14:15]
.LBB907_359:                            ;   in Loop: Header=BB907_215 Depth=1
	s_or_b64 exec, exec, s[12:13]
	v_perm_b32 v65, v60, v58, s23
	v_perm_b32 v64, v57, v56, s23
	;; [unrolled: 1-line block ×4, first 2 shown]
	s_waitcnt vmcnt(1)
	v_cmp_ne_u16_sdwa s[14:15], v40, v54 src0_sel:BYTE_0 src1_sel:DWORD
	v_mfma_f32_16x16x16bf16_1k v[34:37], v[64:65], v[10:11], v[34:37]
	v_mfma_f32_16x16x16bf16_1k v[34:37], v[56:57], v[12:13], v[34:37]
	s_and_saveexec_b64 s[12:13], s[14:15]
	s_cbranch_execz .LBB907_365
; %bb.360:                              ;   in Loop: Header=BB907_215 Depth=1
	v_cmp_ne_u16_sdwa s[16:17], v40, s9 src0_sel:BYTE_0 src1_sel:DWORD
	v_mov_b32_e32 v46, 0xffff8000
	s_and_saveexec_b64 s[14:15], s[16:17]
	s_cbranch_execz .LBB907_364
; %bb.361:                              ;   in Loop: Header=BB907_215 Depth=1
	v_and_b32_e32 v42, 0x7f, v40
	v_cmp_ne_u32_e32 vcc, s21, v42
	v_mov_b32_e32 v46, 0x7f80
	s_and_saveexec_b64 s[16:17], vcc
	s_cbranch_execz .LBB907_363
; %bb.362:                              ;   in Loop: Header=BB907_215 Depth=1
	v_and_b32_e32 v44, 7, v40
	v_ffbh_u32_e32 v56, v44
	v_min_u32_e32 v58, 32, v56
	v_subrev_u32_e32 v56, 28, v58
	v_lshlrev_b64 v[56:57], v56, v[40:41]
	v_lshrrev_b32_e32 v46, 3, v42
	v_sub_u32_e32 v57, 29, v58
	v_and_b32_e32 v56, 7, v56
	v_cmp_gt_u32_e32 vcc, 8, v42
	v_cndmask_b32_e32 v42, v46, v57, vcc
	v_cndmask_b32_e32 v44, v44, v56, vcc
	v_lshlrev_b32_e32 v46, 24, v40
	v_lshlrev_b32_e32 v44, 20, v44
	v_and_b32_e32 v46, 0x80000000, v46
	v_lshl_add_u32 v42, v42, 23, v55
	v_or3_b32 v42, v46, v42, v44
	v_lshrrev_b32_e32 v46, 16, v42
.LBB907_363:                            ;   in Loop: Header=BB907_215 Depth=1
	s_or_b64 exec, exec, s[16:17]
.LBB907_364:                            ;   in Loop: Header=BB907_215 Depth=1
	s_or_b64 exec, exec, s[14:15]
.LBB907_365:                            ;   in Loop: Header=BB907_215 Depth=1
	s_or_b64 exec, exec, s[12:13]
	v_lshrrev_b16_e32 v42, 8, v40
	v_cmp_ne_u16_e32 vcc, 0, v42
	v_mov_b32_e32 v57, 0
	v_mov_b32_e32 v44, 0
	s_and_saveexec_b64 s[12:13], vcc
	s_cbranch_execz .LBB907_371
; %bb.366:                              ;   in Loop: Header=BB907_215 Depth=1
	v_cmp_ne_u16_e32 vcc, s9, v42
	v_mov_b32_e32 v44, 0xffff8000
	s_and_saveexec_b64 s[14:15], vcc
	s_cbranch_execz .LBB907_370
; %bb.367:                              ;   in Loop: Header=BB907_215 Depth=1
	v_and_b32_e32 v56, 0x7f, v42
	v_cmp_ne_u32_e32 vcc, s21, v56
	v_mov_b32_e32 v44, 0x7f80
	s_and_saveexec_b64 s[16:17], vcc
	s_cbranch_execz .LBB907_369
; %bb.368:                              ;   in Loop: Header=BB907_215 Depth=1
	v_and_b32_e32 v44, 7, v42
	v_ffbh_u32_e32 v58, v44
	v_min_u32_e32 v61, 32, v58
	v_subrev_u32_e32 v58, 28, v61
	v_lshlrev_b64 v[58:59], v58, v[42:43]
	v_lshrrev_b32_e32 v60, 3, v56
	v_sub_u32_e32 v42, 29, v61
	v_and_b32_e32 v58, 7, v58
	v_cmp_gt_u32_e32 vcc, 8, v56
	v_cndmask_b32_e32 v42, v60, v42, vcc
	v_cndmask_b32_e32 v44, v44, v58, vcc
	v_lshlrev_b32_e32 v56, 16, v40
	v_lshlrev_b32_e32 v44, 20, v44
	v_and_b32_e32 v56, 0x80000000, v56
	v_lshl_add_u32 v42, v42, 23, v55
	v_or3_b32 v42, v56, v42, v44
	v_lshrrev_b32_e32 v44, 16, v42
.LBB907_369:                            ;   in Loop: Header=BB907_215 Depth=1
	s_or_b64 exec, exec, s[16:17]
.LBB907_370:                            ;   in Loop: Header=BB907_215 Depth=1
	s_or_b64 exec, exec, s[14:15]
.LBB907_371:                            ;   in Loop: Header=BB907_215 Depth=1
	s_or_b64 exec, exec, s[12:13]
	v_lshrrev_b32_e32 v42, 16, v40
	v_cmp_ne_u16_sdwa s[14:15], v42, v54 src0_sel:BYTE_0 src1_sel:DWORD
	s_and_saveexec_b64 s[12:13], s[14:15]
	s_cbranch_execz .LBB907_377
; %bb.372:                              ;   in Loop: Header=BB907_215 Depth=1
	v_cmp_ne_u16_sdwa s[16:17], v42, s9 src0_sel:BYTE_0 src1_sel:DWORD
	v_mov_b32_e32 v57, 0xffff8000
	s_and_saveexec_b64 s[14:15], s[16:17]
	s_cbranch_execz .LBB907_376
; %bb.373:                              ;   in Loop: Header=BB907_215 Depth=1
	v_bfe_u32 v56, v40, 16, 7
	v_cmp_ne_u32_e32 vcc, s21, v56
	v_mov_b32_e32 v57, 0x7f80
	s_and_saveexec_b64 s[16:17], vcc
	s_cbranch_execz .LBB907_375
; %bb.374:                              ;   in Loop: Header=BB907_215 Depth=1
	v_and_b32_e32 v57, 7, v42
	v_ffbh_u32_e32 v58, v57
	v_min_u32_e32 v61, 32, v58
	v_subrev_u32_e32 v58, 28, v61
	v_lshlrev_b64 v[58:59], v58, v[42:43]
	v_lshrrev_b32_e32 v60, 3, v56
	v_sub_u32_e32 v59, 29, v61
	v_and_b32_e32 v58, 7, v58
	v_cmp_gt_u32_e32 vcc, 8, v56
	v_cndmask_b32_e32 v56, v60, v59, vcc
	v_cndmask_b32_e32 v57, v57, v58, vcc
	v_lshlrev_b32_e32 v42, 24, v42
	v_lshlrev_b32_e32 v57, 20, v57
	v_and_b32_e32 v42, 0x80000000, v42
	v_lshl_add_u32 v56, v56, 23, v55
	v_or3_b32 v42, v42, v56, v57
	v_lshrrev_b32_e32 v57, 16, v42
.LBB907_375:                            ;   in Loop: Header=BB907_215 Depth=1
	s_or_b64 exec, exec, s[16:17]
.LBB907_376:                            ;   in Loop: Header=BB907_215 Depth=1
	s_or_b64 exec, exec, s[14:15]
.LBB907_377:                            ;   in Loop: Header=BB907_215 Depth=1
	s_or_b64 exec, exec, s[12:13]
	v_cmp_lt_u32_e32 vcc, s22, v40
	v_mov_b32_e32 v58, 0
	v_mov_b32_e32 v59, 0
	s_and_saveexec_b64 s[12:13], vcc
	s_cbranch_execz .LBB907_383
; %bb.378:                              ;   in Loop: Header=BB907_215 Depth=1
	v_lshrrev_b32_e32 v42, 24, v40
	v_cmp_ne_u32_e32 vcc, s9, v42
	v_mov_b32_e32 v59, 0xffff8000
	s_and_saveexec_b64 s[14:15], vcc
	s_cbranch_execz .LBB907_382
; %bb.379:                              ;   in Loop: Header=BB907_215 Depth=1
	v_bfe_u32 v40, v40, 24, 7
	v_cmp_ne_u32_e32 vcc, s21, v40
	v_mov_b32_e32 v59, 0x7f80
	s_and_saveexec_b64 s[16:17], vcc
	s_cbranch_execz .LBB907_381
; %bb.380:                              ;   in Loop: Header=BB907_215 Depth=1
	v_and_b32_e32 v56, 7, v42
	v_ffbh_u32_e32 v60, v56
	v_min_u32_e32 v62, 32, v60
	v_subrev_u32_e32 v60, 28, v62
	v_lshlrev_b64 v[60:61], v60, v[42:43]
	v_lshrrev_b32_e32 v59, 3, v40
	v_sub_u32_e32 v61, 29, v62
	v_and_b32_e32 v60, 7, v60
	v_cmp_gt_u32_e32 vcc, 8, v40
	v_cndmask_b32_e32 v40, v59, v61, vcc
	v_cndmask_b32_e32 v56, v56, v60, vcc
	v_lshlrev_b32_e32 v42, 24, v42
	v_lshlrev_b32_e32 v56, 20, v56
	v_and_b32_e32 v42, 0x80000000, v42
	v_lshl_add_u32 v40, v40, 23, v55
	v_or3_b32 v40, v42, v40, v56
	v_lshrrev_b32_e32 v59, 16, v40
.LBB907_381:                            ;   in Loop: Header=BB907_215 Depth=1
	s_or_b64 exec, exec, s[16:17]
.LBB907_382:                            ;   in Loop: Header=BB907_215 Depth=1
	s_or_b64 exec, exec, s[14:15]
.LBB907_383:                            ;   in Loop: Header=BB907_215 Depth=1
	s_or_b64 exec, exec, s[12:13]
	s_waitcnt vmcnt(0)
	v_cmp_ne_u16_sdwa s[14:15], v38, v54 src0_sel:BYTE_0 src1_sel:DWORD
	s_and_saveexec_b64 s[12:13], s[14:15]
	s_cbranch_execz .LBB907_389
; %bb.384:                              ;   in Loop: Header=BB907_215 Depth=1
	v_cmp_ne_u16_sdwa s[16:17], v38, s9 src0_sel:BYTE_0 src1_sel:DWORD
	v_mov_b32_e32 v58, 0xffff8000
	s_and_saveexec_b64 s[14:15], s[16:17]
	s_cbranch_execz .LBB907_388
; %bb.385:                              ;   in Loop: Header=BB907_215 Depth=1
	v_and_b32_e32 v40, 0x7f, v38
	v_cmp_ne_u32_e32 vcc, s21, v40
	v_mov_b32_e32 v58, 0x7f80
	s_and_saveexec_b64 s[16:17], vcc
	s_cbranch_execz .LBB907_387
; %bb.386:                              ;   in Loop: Header=BB907_215 Depth=1
	v_and_b32_e32 v42, 7, v38
	v_ffbh_u32_e32 v58, v42
	v_min_u32_e32 v58, 32, v58
	v_subrev_u32_e32 v60, 28, v58
	v_lshlrev_b64 v[60:61], v60, v[38:39]
	v_lshrrev_b32_e32 v56, 3, v40
	v_sub_u32_e32 v58, 29, v58
	v_and_b32_e32 v60, 7, v60
	v_cmp_gt_u32_e32 vcc, 8, v40
	v_cndmask_b32_e32 v40, v56, v58, vcc
	v_cndmask_b32_e32 v42, v42, v60, vcc
	v_lshlrev_b32_e32 v56, 24, v38
	v_lshlrev_b32_e32 v42, 20, v42
	v_and_b32_e32 v56, 0x80000000, v56
	v_lshl_add_u32 v40, v40, 23, v55
	v_or3_b32 v40, v56, v40, v42
	v_lshrrev_b32_e32 v58, 16, v40
.LBB907_387:                            ;   in Loop: Header=BB907_215 Depth=1
	s_or_b64 exec, exec, s[16:17]
.LBB907_388:                            ;   in Loop: Header=BB907_215 Depth=1
	s_or_b64 exec, exec, s[14:15]
.LBB907_389:                            ;   in Loop: Header=BB907_215 Depth=1
	s_or_b64 exec, exec, s[12:13]
	v_lshrrev_b16_e32 v40, 8, v38
	v_cmp_ne_u16_e32 vcc, 0, v40
	v_mov_b32_e32 v61, 0
	v_mov_b32_e32 v60, 0
	s_and_saveexec_b64 s[12:13], vcc
	s_cbranch_execz .LBB907_395
; %bb.390:                              ;   in Loop: Header=BB907_215 Depth=1
	v_cmp_ne_u16_e32 vcc, s9, v40
	v_mov_b32_e32 v60, 0xffff8000
	s_and_saveexec_b64 s[14:15], vcc
	s_cbranch_execz .LBB907_394
; %bb.391:                              ;   in Loop: Header=BB907_215 Depth=1
	v_and_b32_e32 v42, 0x7f, v40
	v_cmp_ne_u32_e32 vcc, s21, v42
	v_mov_b32_e32 v60, 0x7f80
	s_and_saveexec_b64 s[16:17], vcc
	s_cbranch_execz .LBB907_393
; %bb.392:                              ;   in Loop: Header=BB907_215 Depth=1
	v_and_b32_e32 v56, 7, v40
	v_ffbh_u32_e32 v62, v56
	v_min_u32_e32 v64, 32, v62
	v_subrev_u32_e32 v62, 28, v64
	v_lshlrev_b64 v[62:63], v62, v[40:41]
	v_lshrrev_b32_e32 v60, 3, v42
	v_sub_u32_e32 v40, 29, v64
	v_and_b32_e32 v62, 7, v62
	v_cmp_gt_u32_e32 vcc, 8, v42
	v_cndmask_b32_e32 v40, v60, v40, vcc
	v_cndmask_b32_e32 v42, v56, v62, vcc
	v_lshlrev_b32_e32 v56, 16, v38
	v_lshlrev_b32_e32 v42, 20, v42
	v_and_b32_e32 v56, 0x80000000, v56
	v_lshl_add_u32 v40, v40, 23, v55
	v_or3_b32 v40, v56, v40, v42
	v_lshrrev_b32_e32 v60, 16, v40
.LBB907_393:                            ;   in Loop: Header=BB907_215 Depth=1
	s_or_b64 exec, exec, s[16:17]
.LBB907_394:                            ;   in Loop: Header=BB907_215 Depth=1
	s_or_b64 exec, exec, s[14:15]
.LBB907_395:                            ;   in Loop: Header=BB907_215 Depth=1
	s_or_b64 exec, exec, s[12:13]
	v_lshrrev_b32_e32 v40, 16, v38
	v_cmp_ne_u16_sdwa s[14:15], v40, v54 src0_sel:BYTE_0 src1_sel:DWORD
	s_and_saveexec_b64 s[12:13], s[14:15]
	s_cbranch_execz .LBB907_401
; %bb.396:                              ;   in Loop: Header=BB907_215 Depth=1
	v_cmp_ne_u16_sdwa s[16:17], v40, s9 src0_sel:BYTE_0 src1_sel:DWORD
	v_mov_b32_e32 v61, 0xffff8000
	s_and_saveexec_b64 s[14:15], s[16:17]
	s_cbranch_execz .LBB907_400
; %bb.397:                              ;   in Loop: Header=BB907_215 Depth=1
	v_bfe_u32 v42, v38, 16, 7
	v_cmp_ne_u32_e32 vcc, s21, v42
	v_mov_b32_e32 v61, 0x7f80
	s_and_saveexec_b64 s[16:17], vcc
	s_cbranch_execz .LBB907_399
; %bb.398:                              ;   in Loop: Header=BB907_215 Depth=1
	v_and_b32_e32 v56, 7, v40
	v_ffbh_u32_e32 v62, v56
	v_min_u32_e32 v64, 32, v62
	v_subrev_u32_e32 v62, 28, v64
	v_lshlrev_b64 v[62:63], v62, v[40:41]
	v_lshrrev_b32_e32 v61, 3, v42
	v_sub_u32_e32 v63, 29, v64
	v_and_b32_e32 v62, 7, v62
	v_cmp_gt_u32_e32 vcc, 8, v42
	v_cndmask_b32_e32 v42, v61, v63, vcc
	v_cndmask_b32_e32 v56, v56, v62, vcc
	v_lshlrev_b32_e32 v40, 24, v40
	v_lshlrev_b32_e32 v56, 20, v56
	v_and_b32_e32 v40, 0x80000000, v40
	v_lshl_add_u32 v42, v42, 23, v55
	v_or3_b32 v40, v40, v42, v56
	v_lshrrev_b32_e32 v61, 16, v40
.LBB907_399:                            ;   in Loop: Header=BB907_215 Depth=1
	s_or_b64 exec, exec, s[16:17]
.LBB907_400:                            ;   in Loop: Header=BB907_215 Depth=1
	s_or_b64 exec, exec, s[14:15]
.LBB907_401:                            ;   in Loop: Header=BB907_215 Depth=1
	s_or_b64 exec, exec, s[12:13]
	v_cmp_lt_u32_e32 vcc, s22, v38
	v_mov_b32_e32 v56, 0
	v_mov_b32_e32 v62, 0
	s_and_saveexec_b64 s[12:13], vcc
	s_cbranch_execz .LBB907_407
; %bb.402:                              ;   in Loop: Header=BB907_215 Depth=1
	v_lshrrev_b32_e32 v40, 24, v38
	v_cmp_ne_u32_e32 vcc, s9, v40
	v_mov_b32_e32 v62, 0xffff8000
	s_and_saveexec_b64 s[14:15], vcc
	s_cbranch_execz .LBB907_406
; %bb.403:                              ;   in Loop: Header=BB907_215 Depth=1
	v_bfe_u32 v38, v38, 24, 7
	v_cmp_ne_u32_e32 vcc, s21, v38
	v_mov_b32_e32 v62, 0x7f80
	s_and_saveexec_b64 s[16:17], vcc
	s_cbranch_execz .LBB907_405
; %bb.404:                              ;   in Loop: Header=BB907_215 Depth=1
	v_and_b32_e32 v42, 7, v40
	v_ffbh_u32_e32 v62, v42
	v_min_u32_e32 v65, 32, v62
	v_subrev_u32_e32 v62, 28, v65
	v_lshlrev_b64 v[62:63], v62, v[40:41]
	v_lshrrev_b32_e32 v64, 3, v38
	v_sub_u32_e32 v63, 29, v65
	v_and_b32_e32 v62, 7, v62
	v_cmp_gt_u32_e32 vcc, 8, v38
	v_cndmask_b32_e32 v38, v64, v63, vcc
	v_cndmask_b32_e32 v42, v42, v62, vcc
	v_lshlrev_b32_e32 v40, 24, v40
	v_lshlrev_b32_e32 v42, 20, v42
	v_and_b32_e32 v40, 0x80000000, v40
	v_lshl_add_u32 v38, v38, 23, v55
	v_or3_b32 v38, v40, v38, v42
	v_lshrrev_b32_e32 v62, 16, v38
.LBB907_405:                            ;   in Loop: Header=BB907_215 Depth=1
	s_or_b64 exec, exec, s[16:17]
.LBB907_406:                            ;   in Loop: Header=BB907_215 Depth=1
	s_or_b64 exec, exec, s[14:15]
.LBB907_407:                            ;   in Loop: Header=BB907_215 Depth=1
	s_or_b64 exec, exec, s[12:13]
	v_perm_b32 v64, v44, v46, s23
	buffer_load_dword v44, v51, s[0:3], 0 offen
	buffer_load_dword v42, v51, s[0:3], 0 offen offset:4
	buffer_load_dword v40, v51, s[0:3], 0 offen offset:8
	;; [unrolled: 1-line block ×3, first 2 shown]
	v_perm_b32 v65, v59, v57, s23
	v_perm_b32 v59, v62, v61, s23
	;; [unrolled: 1-line block ×3, first 2 shown]
	v_mfma_f32_16x16x16bf16_1k v[34:37], v[64:65], v[14:15], v[34:37]
	s_waitcnt vmcnt(3)
	v_cmp_ne_u16_sdwa s[14:15], v44, v54 src0_sel:BYTE_0 src1_sel:DWORD
	v_mfma_f32_16x16x16bf16_1k v[34:37], v[58:59], v[16:17], v[34:37]
	s_and_saveexec_b64 s[12:13], s[14:15]
	s_cbranch_execz .LBB907_413
; %bb.408:                              ;   in Loop: Header=BB907_215 Depth=1
	v_cmp_ne_u16_sdwa s[16:17], v44, s9 src0_sel:BYTE_0 src1_sel:DWORD
	v_mov_b32_e32 v56, 0xffff8000
	s_and_saveexec_b64 s[14:15], s[16:17]
	s_cbranch_execz .LBB907_412
; %bb.409:                              ;   in Loop: Header=BB907_215 Depth=1
	v_and_b32_e32 v46, 0x7f, v44
	v_cmp_ne_u32_e32 vcc, s21, v46
	v_mov_b32_e32 v56, 0x7f80
	s_and_saveexec_b64 s[16:17], vcc
	s_cbranch_execz .LBB907_411
; %bb.410:                              ;   in Loop: Header=BB907_215 Depth=1
	v_and_b32_e32 v51, 7, v44
	v_ffbh_u32_e32 v56, v51
	v_min_u32_e32 v59, 32, v56
	v_subrev_u32_e32 v56, 28, v59
	v_lshlrev_b64 v[56:57], v56, v[44:45]
	v_lshrrev_b32_e32 v58, 3, v46
	v_sub_u32_e32 v57, 29, v59
	v_and_b32_e32 v56, 7, v56
	v_cmp_gt_u32_e32 vcc, 8, v46
	v_cndmask_b32_e32 v46, v58, v57, vcc
	v_cndmask_b32_e32 v51, v51, v56, vcc
	v_lshlrev_b32_e32 v56, 24, v44
	v_lshlrev_b32_e32 v51, 20, v51
	v_and_b32_e32 v56, 0x80000000, v56
	v_lshl_add_u32 v46, v46, 23, v55
	v_or3_b32 v46, v56, v46, v51
	v_lshrrev_b32_e32 v56, 16, v46
.LBB907_411:                            ;   in Loop: Header=BB907_215 Depth=1
	s_or_b64 exec, exec, s[16:17]
.LBB907_412:                            ;   in Loop: Header=BB907_215 Depth=1
	s_or_b64 exec, exec, s[14:15]
.LBB907_413:                            ;   in Loop: Header=BB907_215 Depth=1
	s_or_b64 exec, exec, s[12:13]
	v_lshrrev_b16_e32 v46, 8, v44
	v_cmp_ne_u16_e32 vcc, 0, v46
	v_mov_b32_e32 v57, 0
	v_mov_b32_e32 v51, 0
	s_and_saveexec_b64 s[12:13], vcc
	s_cbranch_execz .LBB907_419
; %bb.414:                              ;   in Loop: Header=BB907_215 Depth=1
	v_cmp_ne_u16_e32 vcc, s9, v46
	v_mov_b32_e32 v51, 0xffff8000
	s_and_saveexec_b64 s[14:15], vcc
	s_cbranch_execz .LBB907_418
; %bb.415:                              ;   in Loop: Header=BB907_215 Depth=1
	v_and_b32_e32 v58, 0x7f, v46
	v_cmp_ne_u32_e32 vcc, s21, v58
	v_mov_b32_e32 v51, 0x7f80
	s_and_saveexec_b64 s[16:17], vcc
	s_cbranch_execz .LBB907_417
; %bb.416:                              ;   in Loop: Header=BB907_215 Depth=1
	v_and_b32_e32 v51, 7, v46
	v_ffbh_u32_e32 v60, v51
	v_min_u32_e32 v62, 32, v60
	v_subrev_u32_e32 v60, 28, v62
	v_lshlrev_b64 v[60:61], v60, v[46:47]
	v_lshrrev_b32_e32 v59, 3, v58
	v_sub_u32_e32 v46, 29, v62
	v_and_b32_e32 v60, 7, v60
	v_cmp_gt_u32_e32 vcc, 8, v58
	v_cndmask_b32_e32 v46, v59, v46, vcc
	v_cndmask_b32_e32 v51, v51, v60, vcc
	v_lshlrev_b32_e32 v58, 16, v44
	v_lshlrev_b32_e32 v51, 20, v51
	v_and_b32_e32 v58, 0x80000000, v58
	v_lshl_add_u32 v46, v46, 23, v55
	v_or3_b32 v46, v58, v46, v51
	v_lshrrev_b32_e32 v51, 16, v46
.LBB907_417:                            ;   in Loop: Header=BB907_215 Depth=1
	s_or_b64 exec, exec, s[16:17]
.LBB907_418:                            ;   in Loop: Header=BB907_215 Depth=1
	s_or_b64 exec, exec, s[14:15]
.LBB907_419:                            ;   in Loop: Header=BB907_215 Depth=1
	s_or_b64 exec, exec, s[12:13]
	v_lshrrev_b32_e32 v46, 16, v44
	v_cmp_ne_u16_sdwa s[14:15], v46, v54 src0_sel:BYTE_0 src1_sel:DWORD
	s_and_saveexec_b64 s[12:13], s[14:15]
	s_cbranch_execz .LBB907_425
; %bb.420:                              ;   in Loop: Header=BB907_215 Depth=1
	v_cmp_ne_u16_sdwa s[16:17], v46, s9 src0_sel:BYTE_0 src1_sel:DWORD
	v_mov_b32_e32 v57, 0xffff8000
	s_and_saveexec_b64 s[14:15], s[16:17]
	s_cbranch_execz .LBB907_424
; %bb.421:                              ;   in Loop: Header=BB907_215 Depth=1
	v_bfe_u32 v58, v44, 16, 7
	v_cmp_ne_u32_e32 vcc, s21, v58
	v_mov_b32_e32 v57, 0x7f80
	s_and_saveexec_b64 s[16:17], vcc
	s_cbranch_execz .LBB907_423
; %bb.422:                              ;   in Loop: Header=BB907_215 Depth=1
	v_and_b32_e32 v57, 7, v46
	v_ffbh_u32_e32 v60, v57
	v_min_u32_e32 v62, 32, v60
	v_subrev_u32_e32 v60, 28, v62
	v_lshlrev_b64 v[60:61], v60, v[46:47]
	v_lshrrev_b32_e32 v59, 3, v58
	v_sub_u32_e32 v61, 29, v62
	v_and_b32_e32 v60, 7, v60
	v_cmp_gt_u32_e32 vcc, 8, v58
	v_cndmask_b32_e32 v58, v59, v61, vcc
	v_cndmask_b32_e32 v57, v57, v60, vcc
	v_lshlrev_b32_e32 v46, 24, v46
	v_lshlrev_b32_e32 v57, 20, v57
	v_and_b32_e32 v46, 0x80000000, v46
	v_lshl_add_u32 v58, v58, 23, v55
	v_or3_b32 v46, v46, v58, v57
	v_lshrrev_b32_e32 v57, 16, v46
.LBB907_423:                            ;   in Loop: Header=BB907_215 Depth=1
	s_or_b64 exec, exec, s[16:17]
.LBB907_424:                            ;   in Loop: Header=BB907_215 Depth=1
	s_or_b64 exec, exec, s[14:15]
.LBB907_425:                            ;   in Loop: Header=BB907_215 Depth=1
	s_or_b64 exec, exec, s[12:13]
	v_cmp_lt_u32_e32 vcc, s22, v44
	v_mov_b32_e32 v58, 0
	v_mov_b32_e32 v59, 0
	s_and_saveexec_b64 s[12:13], vcc
	s_cbranch_execz .LBB907_431
; %bb.426:                              ;   in Loop: Header=BB907_215 Depth=1
	v_lshrrev_b32_e32 v46, 24, v44
	v_cmp_ne_u32_e32 vcc, s9, v46
	v_mov_b32_e32 v59, 0xffff8000
	s_and_saveexec_b64 s[14:15], vcc
	s_cbranch_execz .LBB907_430
; %bb.427:                              ;   in Loop: Header=BB907_215 Depth=1
	v_bfe_u32 v44, v44, 24, 7
	v_cmp_ne_u32_e32 vcc, s21, v44
	v_mov_b32_e32 v59, 0x7f80
	s_and_saveexec_b64 s[16:17], vcc
	s_cbranch_execz .LBB907_429
; %bb.428:                              ;   in Loop: Header=BB907_215 Depth=1
	v_and_b32_e32 v59, 7, v46
	v_ffbh_u32_e32 v60, v59
	v_min_u32_e32 v63, 32, v60
	v_subrev_u32_e32 v60, 28, v63
	v_lshlrev_b64 v[60:61], v60, v[46:47]
	v_lshrrev_b32_e32 v62, 3, v44
	v_sub_u32_e32 v61, 29, v63
	v_and_b32_e32 v60, 7, v60
	v_cmp_gt_u32_e32 vcc, 8, v44
	v_cndmask_b32_e32 v44, v62, v61, vcc
	v_cndmask_b32_e32 v59, v59, v60, vcc
	v_lshlrev_b32_e32 v46, 24, v46
	v_lshlrev_b32_e32 v59, 20, v59
	v_and_b32_e32 v46, 0x80000000, v46
	v_lshl_add_u32 v44, v44, 23, v55
	v_or3_b32 v44, v46, v44, v59
	v_lshrrev_b32_e32 v59, 16, v44
.LBB907_429:                            ;   in Loop: Header=BB907_215 Depth=1
	s_or_b64 exec, exec, s[16:17]
.LBB907_430:                            ;   in Loop: Header=BB907_215 Depth=1
	s_or_b64 exec, exec, s[14:15]
.LBB907_431:                            ;   in Loop: Header=BB907_215 Depth=1
	s_or_b64 exec, exec, s[12:13]
	s_waitcnt vmcnt(2)
	v_cmp_ne_u16_sdwa s[14:15], v42, v54 src0_sel:BYTE_0 src1_sel:DWORD
	s_and_saveexec_b64 s[12:13], s[14:15]
	s_cbranch_execz .LBB907_437
; %bb.432:                              ;   in Loop: Header=BB907_215 Depth=1
	v_cmp_ne_u16_sdwa s[16:17], v42, s9 src0_sel:BYTE_0 src1_sel:DWORD
	v_mov_b32_e32 v58, 0xffff8000
	s_and_saveexec_b64 s[14:15], s[16:17]
	s_cbranch_execz .LBB907_436
; %bb.433:                              ;   in Loop: Header=BB907_215 Depth=1
	v_and_b32_e32 v44, 0x7f, v42
	v_cmp_ne_u32_e32 vcc, s21, v44
	v_mov_b32_e32 v58, 0x7f80
	s_and_saveexec_b64 s[16:17], vcc
	s_cbranch_execz .LBB907_435
; %bb.434:                              ;   in Loop: Header=BB907_215 Depth=1
	v_and_b32_e32 v46, 7, v42
	v_ffbh_u32_e32 v60, v46
	v_min_u32_e32 v62, 32, v60
	v_subrev_u32_e32 v60, 28, v62
	v_lshlrev_b64 v[60:61], v60, v[42:43]
	v_lshrrev_b32_e32 v58, 3, v44
	v_sub_u32_e32 v61, 29, v62
	v_and_b32_e32 v60, 7, v60
	v_cmp_gt_u32_e32 vcc, 8, v44
	v_cndmask_b32_e32 v44, v58, v61, vcc
	v_cndmask_b32_e32 v46, v46, v60, vcc
	v_lshlrev_b32_e32 v58, 24, v42
	v_lshlrev_b32_e32 v46, 20, v46
	v_and_b32_e32 v58, 0x80000000, v58
	v_lshl_add_u32 v44, v44, 23, v55
	v_or3_b32 v44, v58, v44, v46
	v_lshrrev_b32_e32 v58, 16, v44
.LBB907_435:                            ;   in Loop: Header=BB907_215 Depth=1
	s_or_b64 exec, exec, s[16:17]
.LBB907_436:                            ;   in Loop: Header=BB907_215 Depth=1
	s_or_b64 exec, exec, s[14:15]
.LBB907_437:                            ;   in Loop: Header=BB907_215 Depth=1
	s_or_b64 exec, exec, s[12:13]
	v_lshrrev_b16_e32 v44, 8, v42
	v_cmp_ne_u16_e32 vcc, 0, v44
	v_mov_b32_e32 v61, 0
	v_mov_b32_e32 v60, 0
	s_and_saveexec_b64 s[12:13], vcc
	s_cbranch_execz .LBB907_443
; %bb.438:                              ;   in Loop: Header=BB907_215 Depth=1
	v_cmp_ne_u16_e32 vcc, s9, v44
	v_mov_b32_e32 v60, 0xffff8000
	s_and_saveexec_b64 s[14:15], vcc
	s_cbranch_execz .LBB907_442
; %bb.439:                              ;   in Loop: Header=BB907_215 Depth=1
	v_and_b32_e32 v46, 0x7f, v44
	v_cmp_ne_u32_e32 vcc, s21, v46
	v_mov_b32_e32 v60, 0x7f80
	s_and_saveexec_b64 s[16:17], vcc
	s_cbranch_execz .LBB907_441
; %bb.440:                              ;   in Loop: Header=BB907_215 Depth=1
	v_and_b32_e32 v60, 7, v44
	v_ffbh_u32_e32 v62, v60
	v_min_u32_e32 v65, 32, v62
	v_subrev_u32_e32 v62, 28, v65
	v_lshlrev_b64 v[62:63], v62, v[44:45]
	v_lshrrev_b32_e32 v64, 3, v46
	v_sub_u32_e32 v44, 29, v65
	v_and_b32_e32 v62, 7, v62
	v_cmp_gt_u32_e32 vcc, 8, v46
	v_cndmask_b32_e32 v44, v64, v44, vcc
	v_cndmask_b32_e32 v46, v60, v62, vcc
	v_lshlrev_b32_e32 v60, 16, v42
	v_lshlrev_b32_e32 v46, 20, v46
	v_and_b32_e32 v60, 0x80000000, v60
	v_lshl_add_u32 v44, v44, 23, v55
	v_or3_b32 v44, v60, v44, v46
	v_lshrrev_b32_e32 v60, 16, v44
.LBB907_441:                            ;   in Loop: Header=BB907_215 Depth=1
	s_or_b64 exec, exec, s[16:17]
.LBB907_442:                            ;   in Loop: Header=BB907_215 Depth=1
	s_or_b64 exec, exec, s[14:15]
.LBB907_443:                            ;   in Loop: Header=BB907_215 Depth=1
	s_or_b64 exec, exec, s[12:13]
	v_lshrrev_b32_e32 v44, 16, v42
	v_cmp_ne_u16_sdwa s[14:15], v44, v54 src0_sel:BYTE_0 src1_sel:DWORD
	s_and_saveexec_b64 s[12:13], s[14:15]
	s_cbranch_execz .LBB907_449
; %bb.444:                              ;   in Loop: Header=BB907_215 Depth=1
	v_cmp_ne_u16_sdwa s[16:17], v44, s9 src0_sel:BYTE_0 src1_sel:DWORD
	v_mov_b32_e32 v61, 0xffff8000
	s_and_saveexec_b64 s[14:15], s[16:17]
	s_cbranch_execz .LBB907_448
; %bb.445:                              ;   in Loop: Header=BB907_215 Depth=1
	v_bfe_u32 v46, v42, 16, 7
	v_cmp_ne_u32_e32 vcc, s21, v46
	v_mov_b32_e32 v61, 0x7f80
	s_and_saveexec_b64 s[16:17], vcc
	s_cbranch_execz .LBB907_447
; %bb.446:                              ;   in Loop: Header=BB907_215 Depth=1
	v_and_b32_e32 v61, 7, v44
	v_ffbh_u32_e32 v62, v61
	v_min_u32_e32 v65, 32, v62
	v_subrev_u32_e32 v62, 28, v65
	v_lshlrev_b64 v[62:63], v62, v[44:45]
	v_lshrrev_b32_e32 v64, 3, v46
	v_sub_u32_e32 v63, 29, v65
	v_and_b32_e32 v62, 7, v62
	v_cmp_gt_u32_e32 vcc, 8, v46
	v_cndmask_b32_e32 v46, v64, v63, vcc
	v_cndmask_b32_e32 v61, v61, v62, vcc
	v_lshlrev_b32_e32 v44, 24, v44
	v_lshlrev_b32_e32 v61, 20, v61
	v_and_b32_e32 v44, 0x80000000, v44
	v_lshl_add_u32 v46, v46, 23, v55
	v_or3_b32 v44, v44, v46, v61
	v_lshrrev_b32_e32 v61, 16, v44
.LBB907_447:                            ;   in Loop: Header=BB907_215 Depth=1
	s_or_b64 exec, exec, s[16:17]
.LBB907_448:                            ;   in Loop: Header=BB907_215 Depth=1
	s_or_b64 exec, exec, s[14:15]
.LBB907_449:                            ;   in Loop: Header=BB907_215 Depth=1
	s_or_b64 exec, exec, s[12:13]
	v_cmp_lt_u32_e32 vcc, s22, v42
	v_mov_b32_e32 v46, 0
	v_mov_b32_e32 v62, 0
	s_and_saveexec_b64 s[12:13], vcc
	s_cbranch_execz .LBB907_455
; %bb.450:                              ;   in Loop: Header=BB907_215 Depth=1
	v_lshrrev_b32_e32 v44, 24, v42
	v_cmp_ne_u32_e32 vcc, s9, v44
	v_mov_b32_e32 v62, 0xffff8000
	s_and_saveexec_b64 s[14:15], vcc
	s_cbranch_execz .LBB907_454
; %bb.451:                              ;   in Loop: Header=BB907_215 Depth=1
	v_bfe_u32 v42, v42, 24, 7
	v_cmp_ne_u32_e32 vcc, s21, v42
	v_mov_b32_e32 v62, 0x7f80
	s_and_saveexec_b64 s[16:17], vcc
	s_cbranch_execz .LBB907_453
; %bb.452:                              ;   in Loop: Header=BB907_215 Depth=1
	v_and_b32_e32 v64, 7, v44
	v_ffbh_u32_e32 v62, v64
	v_min_u32_e32 v66, 32, v62
	v_subrev_u32_e32 v62, 28, v66
	v_lshlrev_b64 v[62:63], v62, v[44:45]
	v_lshrrev_b32_e32 v65, 3, v42
	v_sub_u32_e32 v63, 29, v66
	v_and_b32_e32 v62, 7, v62
	v_cmp_gt_u32_e32 vcc, 8, v42
	v_cndmask_b32_e32 v42, v65, v63, vcc
	v_cndmask_b32_e32 v62, v64, v62, vcc
	v_lshlrev_b32_e32 v44, 24, v44
	v_lshlrev_b32_e32 v62, 20, v62
	v_and_b32_e32 v44, 0x80000000, v44
	v_lshl_add_u32 v42, v42, 23, v55
	v_or3_b32 v42, v44, v42, v62
	v_lshrrev_b32_e32 v62, 16, v42
.LBB907_453:                            ;   in Loop: Header=BB907_215 Depth=1
	s_or_b64 exec, exec, s[16:17]
.LBB907_454:                            ;   in Loop: Header=BB907_215 Depth=1
	s_or_b64 exec, exec, s[14:15]
.LBB907_455:                            ;   in Loop: Header=BB907_215 Depth=1
	s_or_b64 exec, exec, s[12:13]
	v_perm_b32 v57, v59, v57, s23
	v_perm_b32 v56, v51, v56, s23
	s_waitcnt vmcnt(1)
	v_cmp_ne_u16_sdwa s[14:15], v40, v54 src0_sel:BYTE_0 src1_sel:DWORD
	v_mfma_f32_16x16x16bf16_1k v[34:37], v[56:57], v[18:19], v[34:37]
	v_perm_b32 v57, v62, v61, s23
	v_perm_b32 v56, v60, v58, s23
	s_nop 1
	v_mfma_f32_16x16x16bf16_1k v[34:37], v[56:57], v[20:21], v[34:37]
	s_and_saveexec_b64 s[12:13], s[14:15]
	s_cbranch_execz .LBB907_461
; %bb.456:                              ;   in Loop: Header=BB907_215 Depth=1
	v_cmp_ne_u16_sdwa s[16:17], v40, s9 src0_sel:BYTE_0 src1_sel:DWORD
	v_mov_b32_e32 v46, 0xffff8000
	s_and_saveexec_b64 s[14:15], s[16:17]
	s_cbranch_execz .LBB907_460
; %bb.457:                              ;   in Loop: Header=BB907_215 Depth=1
	v_and_b32_e32 v42, 0x7f, v40
	v_cmp_ne_u32_e32 vcc, s21, v42
	v_mov_b32_e32 v46, 0x7f80
	s_and_saveexec_b64 s[16:17], vcc
	s_cbranch_execz .LBB907_459
; %bb.458:                              ;   in Loop: Header=BB907_215 Depth=1
	v_and_b32_e32 v44, 7, v40
	v_ffbh_u32_e32 v51, v44
	v_min_u32_e32 v51, 32, v51
	v_subrev_u32_e32 v56, 28, v51
	v_lshlrev_b64 v[56:57], v56, v[40:41]
	v_lshrrev_b32_e32 v46, 3, v42
	v_sub_u32_e32 v51, 29, v51
	v_and_b32_e32 v56, 7, v56
	v_cmp_gt_u32_e32 vcc, 8, v42
	v_cndmask_b32_e32 v42, v46, v51, vcc
	v_cndmask_b32_e32 v44, v44, v56, vcc
	v_lshlrev_b32_e32 v46, 24, v40
	v_lshlrev_b32_e32 v44, 20, v44
	v_and_b32_e32 v46, 0x80000000, v46
	v_lshl_add_u32 v42, v42, 23, v55
	v_or3_b32 v42, v46, v42, v44
	v_lshrrev_b32_e32 v46, 16, v42
.LBB907_459:                            ;   in Loop: Header=BB907_215 Depth=1
	s_or_b64 exec, exec, s[16:17]
.LBB907_460:                            ;   in Loop: Header=BB907_215 Depth=1
	s_or_b64 exec, exec, s[14:15]
.LBB907_461:                            ;   in Loop: Header=BB907_215 Depth=1
	s_or_b64 exec, exec, s[12:13]
	v_lshrrev_b16_e32 v42, 8, v40
	v_cmp_ne_u16_e32 vcc, 0, v42
	v_mov_b32_e32 v56, 0
	v_mov_b32_e32 v44, 0
	s_and_saveexec_b64 s[12:13], vcc
	s_cbranch_execz .LBB907_467
; %bb.462:                              ;   in Loop: Header=BB907_215 Depth=1
	v_cmp_ne_u16_e32 vcc, s9, v42
	v_mov_b32_e32 v44, 0xffff8000
	s_and_saveexec_b64 s[14:15], vcc
	s_cbranch_execz .LBB907_466
; %bb.463:                              ;   in Loop: Header=BB907_215 Depth=1
	v_and_b32_e32 v51, 0x7f, v42
	v_cmp_ne_u32_e32 vcc, s21, v51
	v_mov_b32_e32 v44, 0x7f80
	s_and_saveexec_b64 s[16:17], vcc
	s_cbranch_execz .LBB907_465
; %bb.464:                              ;   in Loop: Header=BB907_215 Depth=1
	v_and_b32_e32 v44, 7, v42
	v_ffbh_u32_e32 v58, v44
	v_min_u32_e32 v60, 32, v58
	v_subrev_u32_e32 v58, 28, v60
	v_lshlrev_b64 v[58:59], v58, v[42:43]
	v_lshrrev_b32_e32 v57, 3, v51
	v_sub_u32_e32 v42, 29, v60
	v_and_b32_e32 v58, 7, v58
	v_cmp_gt_u32_e32 vcc, 8, v51
	v_cndmask_b32_e32 v42, v57, v42, vcc
	v_cndmask_b32_e32 v44, v44, v58, vcc
	v_lshlrev_b32_e32 v51, 16, v40
	v_lshlrev_b32_e32 v44, 20, v44
	v_and_b32_e32 v51, 0x80000000, v51
	v_lshl_add_u32 v42, v42, 23, v55
	v_or3_b32 v42, v51, v42, v44
	v_lshrrev_b32_e32 v44, 16, v42
.LBB907_465:                            ;   in Loop: Header=BB907_215 Depth=1
	s_or_b64 exec, exec, s[16:17]
.LBB907_466:                            ;   in Loop: Header=BB907_215 Depth=1
	s_or_b64 exec, exec, s[14:15]
.LBB907_467:                            ;   in Loop: Header=BB907_215 Depth=1
	s_or_b64 exec, exec, s[12:13]
	v_lshrrev_b32_e32 v42, 16, v40
	v_cmp_ne_u16_sdwa s[14:15], v42, v54 src0_sel:BYTE_0 src1_sel:DWORD
	s_and_saveexec_b64 s[12:13], s[14:15]
	s_cbranch_execz .LBB907_473
; %bb.468:                              ;   in Loop: Header=BB907_215 Depth=1
	v_cmp_ne_u16_sdwa s[16:17], v42, s9 src0_sel:BYTE_0 src1_sel:DWORD
	v_mov_b32_e32 v56, 0xffff8000
	s_and_saveexec_b64 s[14:15], s[16:17]
	s_cbranch_execz .LBB907_472
; %bb.469:                              ;   in Loop: Header=BB907_215 Depth=1
	v_bfe_u32 v51, v40, 16, 7
	v_cmp_ne_u32_e32 vcc, s21, v51
	v_mov_b32_e32 v56, 0x7f80
	s_and_saveexec_b64 s[16:17], vcc
	s_cbranch_execz .LBB907_471
; %bb.470:                              ;   in Loop: Header=BB907_215 Depth=1
	v_and_b32_e32 v58, 7, v42
	v_ffbh_u32_e32 v56, v58
	v_min_u32_e32 v60, 32, v56
	v_subrev_u32_e32 v56, 28, v60
	v_lshlrev_b64 v[56:57], v56, v[42:43]
	v_lshrrev_b32_e32 v59, 3, v51
	v_sub_u32_e32 v57, 29, v60
	v_and_b32_e32 v56, 7, v56
	v_cmp_gt_u32_e32 vcc, 8, v51
	v_cndmask_b32_e32 v51, v59, v57, vcc
	v_cndmask_b32_e32 v56, v58, v56, vcc
	v_lshlrev_b32_e32 v42, 24, v42
	v_lshlrev_b32_e32 v56, 20, v56
	v_and_b32_e32 v42, 0x80000000, v42
	v_lshl_add_u32 v51, v51, 23, v55
	v_or3_b32 v42, v42, v51, v56
	v_lshrrev_b32_e32 v56, 16, v42
.LBB907_471:                            ;   in Loop: Header=BB907_215 Depth=1
	s_or_b64 exec, exec, s[16:17]
.LBB907_472:                            ;   in Loop: Header=BB907_215 Depth=1
	s_or_b64 exec, exec, s[14:15]
.LBB907_473:                            ;   in Loop: Header=BB907_215 Depth=1
	s_or_b64 exec, exec, s[12:13]
	v_cmp_lt_u32_e32 vcc, s22, v40
	v_mov_b32_e32 v57, 0
	v_mov_b32_e32 v58, 0
	s_and_saveexec_b64 s[12:13], vcc
	s_cbranch_execz .LBB907_479
; %bb.474:                              ;   in Loop: Header=BB907_215 Depth=1
	v_lshrrev_b32_e32 v42, 24, v40
	v_cmp_ne_u32_e32 vcc, s9, v42
	v_mov_b32_e32 v58, 0xffff8000
	s_and_saveexec_b64 s[14:15], vcc
	s_cbranch_execz .LBB907_478
; %bb.475:                              ;   in Loop: Header=BB907_215 Depth=1
	v_bfe_u32 v40, v40, 24, 7
	v_cmp_ne_u32_e32 vcc, s21, v40
	v_mov_b32_e32 v58, 0x7f80
	s_and_saveexec_b64 s[16:17], vcc
	s_cbranch_execz .LBB907_477
; %bb.476:                              ;   in Loop: Header=BB907_215 Depth=1
	v_and_b32_e32 v51, 7, v42
	v_ffbh_u32_e32 v58, v51
	v_min_u32_e32 v61, 32, v58
	v_subrev_u32_e32 v58, 28, v61
	v_lshlrev_b64 v[58:59], v58, v[42:43]
	v_lshrrev_b32_e32 v60, 3, v40
	v_sub_u32_e32 v59, 29, v61
	v_and_b32_e32 v58, 7, v58
	v_cmp_gt_u32_e32 vcc, 8, v40
	v_cndmask_b32_e32 v40, v60, v59, vcc
	v_cndmask_b32_e32 v51, v51, v58, vcc
	v_lshlrev_b32_e32 v42, 24, v42
	v_lshlrev_b32_e32 v51, 20, v51
	v_and_b32_e32 v42, 0x80000000, v42
	v_lshl_add_u32 v40, v40, 23, v55
	v_or3_b32 v40, v42, v40, v51
	v_lshrrev_b32_e32 v58, 16, v40
.LBB907_477:                            ;   in Loop: Header=BB907_215 Depth=1
	s_or_b64 exec, exec, s[16:17]
.LBB907_478:                            ;   in Loop: Header=BB907_215 Depth=1
	s_or_b64 exec, exec, s[14:15]
.LBB907_479:                            ;   in Loop: Header=BB907_215 Depth=1
	s_or_b64 exec, exec, s[12:13]
	s_waitcnt vmcnt(0)
	v_cmp_ne_u16_sdwa s[14:15], v38, v54 src0_sel:BYTE_0 src1_sel:DWORD
	s_and_saveexec_b64 s[12:13], s[14:15]
	s_cbranch_execz .LBB907_485
; %bb.480:                              ;   in Loop: Header=BB907_215 Depth=1
	v_cmp_ne_u16_sdwa s[16:17], v38, s9 src0_sel:BYTE_0 src1_sel:DWORD
	v_mov_b32_e32 v57, 0xffff8000
	s_and_saveexec_b64 s[14:15], s[16:17]
	s_cbranch_execz .LBB907_484
; %bb.481:                              ;   in Loop: Header=BB907_215 Depth=1
	v_and_b32_e32 v40, 0x7f, v38
	v_cmp_ne_u32_e32 vcc, s21, v40
	v_mov_b32_e32 v57, 0x7f80
	s_and_saveexec_b64 s[16:17], vcc
	s_cbranch_execz .LBB907_483
; %bb.482:                              ;   in Loop: Header=BB907_215 Depth=1
	v_and_b32_e32 v42, 7, v38
	v_ffbh_u32_e32 v57, v42
	v_min_u32_e32 v57, 32, v57
	v_subrev_u32_e32 v59, 28, v57
	v_lshlrev_b64 v[60:61], v59, v[38:39]
	v_lshrrev_b32_e32 v51, 3, v40
	v_sub_u32_e32 v57, 29, v57
	v_and_b32_e32 v59, 7, v60
	v_cmp_gt_u32_e32 vcc, 8, v40
	v_cndmask_b32_e32 v40, v51, v57, vcc
	v_cndmask_b32_e32 v42, v42, v59, vcc
	v_lshlrev_b32_e32 v51, 24, v38
	v_lshlrev_b32_e32 v42, 20, v42
	v_and_b32_e32 v51, 0x80000000, v51
	v_lshl_add_u32 v40, v40, 23, v55
	v_or3_b32 v40, v51, v40, v42
	v_lshrrev_b32_e32 v57, 16, v40
.LBB907_483:                            ;   in Loop: Header=BB907_215 Depth=1
	s_or_b64 exec, exec, s[16:17]
.LBB907_484:                            ;   in Loop: Header=BB907_215 Depth=1
	s_or_b64 exec, exec, s[14:15]
.LBB907_485:                            ;   in Loop: Header=BB907_215 Depth=1
	s_or_b64 exec, exec, s[12:13]
	v_lshrrev_b16_e32 v40, 8, v38
	v_cmp_ne_u16_e32 vcc, 0, v40
	v_mov_b32_e32 v60, 0
	v_mov_b32_e32 v59, 0
	s_and_saveexec_b64 s[12:13], vcc
	s_cbranch_execz .LBB907_491
; %bb.486:                              ;   in Loop: Header=BB907_215 Depth=1
	v_cmp_ne_u16_e32 vcc, s9, v40
	v_mov_b32_e32 v59, 0xffff8000
	s_and_saveexec_b64 s[14:15], vcc
	s_cbranch_execz .LBB907_490
; %bb.487:                              ;   in Loop: Header=BB907_215 Depth=1
	v_and_b32_e32 v42, 0x7f, v40
	v_cmp_ne_u32_e32 vcc, s21, v42
	v_mov_b32_e32 v59, 0x7f80
	s_and_saveexec_b64 s[16:17], vcc
	s_cbranch_execz .LBB907_489
; %bb.488:                              ;   in Loop: Header=BB907_215 Depth=1
	v_and_b32_e32 v51, 7, v40
	v_ffbh_u32_e32 v61, v51
	v_min_u32_e32 v61, 32, v61
	v_subrev_u32_e32 v62, 28, v61
	v_lshlrev_b64 v[62:63], v62, v[40:41]
	v_lshrrev_b32_e32 v59, 3, v42
	v_sub_u32_e32 v40, 29, v61
	v_and_b32_e32 v61, 7, v62
	v_cmp_gt_u32_e32 vcc, 8, v42
	v_cndmask_b32_e32 v40, v59, v40, vcc
	v_cndmask_b32_e32 v42, v51, v61, vcc
	v_lshlrev_b32_e32 v51, 16, v38
	v_lshlrev_b32_e32 v42, 20, v42
	v_and_b32_e32 v51, 0x80000000, v51
	v_lshl_add_u32 v40, v40, 23, v55
	v_or3_b32 v40, v51, v40, v42
	v_lshrrev_b32_e32 v59, 16, v40
.LBB907_489:                            ;   in Loop: Header=BB907_215 Depth=1
	s_or_b64 exec, exec, s[16:17]
.LBB907_490:                            ;   in Loop: Header=BB907_215 Depth=1
	s_or_b64 exec, exec, s[14:15]
.LBB907_491:                            ;   in Loop: Header=BB907_215 Depth=1
	s_or_b64 exec, exec, s[12:13]
	v_lshrrev_b32_e32 v40, 16, v38
	v_cmp_ne_u16_sdwa s[14:15], v40, v54 src0_sel:BYTE_0 src1_sel:DWORD
	s_and_saveexec_b64 s[12:13], s[14:15]
	s_cbranch_execz .LBB907_497
; %bb.492:                              ;   in Loop: Header=BB907_215 Depth=1
	v_cmp_ne_u16_sdwa s[16:17], v40, s9 src0_sel:BYTE_0 src1_sel:DWORD
	v_mov_b32_e32 v60, 0xffff8000
	s_and_saveexec_b64 s[14:15], s[16:17]
	s_cbranch_execz .LBB907_496
; %bb.493:                              ;   in Loop: Header=BB907_215 Depth=1
	v_bfe_u32 v42, v38, 16, 7
	v_cmp_ne_u32_e32 vcc, s21, v42
	v_mov_b32_e32 v60, 0x7f80
	s_and_saveexec_b64 s[16:17], vcc
	s_cbranch_execz .LBB907_495
; %bb.494:                              ;   in Loop: Header=BB907_215 Depth=1
	v_and_b32_e32 v51, 7, v40
	v_ffbh_u32_e32 v60, v51
	v_min_u32_e32 v63, 32, v60
	v_subrev_u32_e32 v60, 28, v63
	v_lshlrev_b64 v[60:61], v60, v[40:41]
	v_lshrrev_b32_e32 v62, 3, v42
	v_sub_u32_e32 v61, 29, v63
	v_and_b32_e32 v60, 7, v60
	v_cmp_gt_u32_e32 vcc, 8, v42
	v_cndmask_b32_e32 v42, v62, v61, vcc
	v_cndmask_b32_e32 v51, v51, v60, vcc
	v_lshlrev_b32_e32 v40, 24, v40
	v_lshlrev_b32_e32 v51, 20, v51
	v_and_b32_e32 v40, 0x80000000, v40
	v_lshl_add_u32 v42, v42, 23, v55
	v_or3_b32 v40, v40, v42, v51
	v_lshrrev_b32_e32 v60, 16, v40
.LBB907_495:                            ;   in Loop: Header=BB907_215 Depth=1
	s_or_b64 exec, exec, s[16:17]
.LBB907_496:                            ;   in Loop: Header=BB907_215 Depth=1
	s_or_b64 exec, exec, s[14:15]
.LBB907_497:                            ;   in Loop: Header=BB907_215 Depth=1
	s_or_b64 exec, exec, s[12:13]
	v_cmp_lt_u32_e32 vcc, s22, v38
	v_mov_b32_e32 v51, 0
	v_mov_b32_e32 v61, 0
	s_and_saveexec_b64 s[12:13], vcc
	s_cbranch_execz .LBB907_503
; %bb.498:                              ;   in Loop: Header=BB907_215 Depth=1
	v_lshrrev_b32_e32 v40, 24, v38
	v_cmp_ne_u32_e32 vcc, s9, v40
	v_mov_b32_e32 v61, 0xffff8000
	s_and_saveexec_b64 s[14:15], vcc
	s_cbranch_execz .LBB907_502
; %bb.499:                              ;   in Loop: Header=BB907_215 Depth=1
	v_bfe_u32 v38, v38, 24, 7
	v_cmp_ne_u32_e32 vcc, s21, v38
	v_mov_b32_e32 v61, 0x7f80
	s_and_saveexec_b64 s[16:17], vcc
	s_cbranch_execz .LBB907_501
; %bb.500:                              ;   in Loop: Header=BB907_215 Depth=1
	v_and_b32_e32 v42, 7, v40
	v_ffbh_u32_e32 v62, v42
	v_min_u32_e32 v64, 32, v62
	v_subrev_u32_e32 v62, 28, v64
	v_lshlrev_b64 v[62:63], v62, v[40:41]
	v_lshrrev_b32_e32 v61, 3, v38
	v_sub_u32_e32 v63, 29, v64
	v_and_b32_e32 v62, 7, v62
	v_cmp_gt_u32_e32 vcc, 8, v38
	v_cndmask_b32_e32 v38, v61, v63, vcc
	v_cndmask_b32_e32 v42, v42, v62, vcc
	v_lshlrev_b32_e32 v40, 24, v40
	v_lshlrev_b32_e32 v42, 20, v42
	v_and_b32_e32 v40, 0x80000000, v40
	v_lshl_add_u32 v38, v38, 23, v55
	v_or3_b32 v38, v40, v38, v42
	v_lshrrev_b32_e32 v61, 16, v38
.LBB907_501:                            ;   in Loop: Header=BB907_215 Depth=1
	s_or_b64 exec, exec, s[16:17]
.LBB907_502:                            ;   in Loop: Header=BB907_215 Depth=1
	s_or_b64 exec, exec, s[14:15]
.LBB907_503:                            ;   in Loop: Header=BB907_215 Depth=1
	s_or_b64 exec, exec, s[12:13]
	v_perm_b32 v62, v44, v46, s23
	buffer_load_dword v44, v50, s[0:3], 0 offen
	buffer_load_dword v42, v50, s[0:3], 0 offen offset:4
	buffer_load_dword v40, v50, s[0:3], 0 offen offset:8
	;; [unrolled: 1-line block ×3, first 2 shown]
	v_perm_b32 v63, v58, v56, s23
	v_perm_b32 v61, v61, v60, s23
	;; [unrolled: 1-line block ×3, first 2 shown]
	v_mfma_f32_16x16x16bf16_1k v[34:37], v[62:63], v[22:23], v[34:37]
	s_waitcnt vmcnt(3)
	v_cmp_ne_u16_sdwa s[14:15], v44, v54 src0_sel:BYTE_0 src1_sel:DWORD
	v_mfma_f32_16x16x16bf16_1k v[34:37], v[60:61], v[24:25], v[34:37]
	s_and_saveexec_b64 s[12:13], s[14:15]
	s_cbranch_execz .LBB907_509
; %bb.504:                              ;   in Loop: Header=BB907_215 Depth=1
	v_cmp_ne_u16_sdwa s[16:17], v44, s9 src0_sel:BYTE_0 src1_sel:DWORD
	v_mov_b32_e32 v51, 0xffff8000
	s_and_saveexec_b64 s[14:15], s[16:17]
	s_cbranch_execz .LBB907_508
; %bb.505:                              ;   in Loop: Header=BB907_215 Depth=1
	v_and_b32_e32 v46, 0x7f, v44
	v_cmp_ne_u32_e32 vcc, s21, v46
	v_mov_b32_e32 v51, 0x7f80
	s_and_saveexec_b64 s[16:17], vcc
	s_cbranch_execz .LBB907_507
; %bb.506:                              ;   in Loop: Header=BB907_215 Depth=1
	v_and_b32_e32 v56, 7, v44
	v_ffbh_u32_e32 v50, v56
	v_min_u32_e32 v58, 32, v50
	v_subrev_u32_e32 v50, 28, v58
	v_lshlrev_b64 v[50:51], v50, v[44:45]
	v_lshrrev_b32_e32 v57, 3, v46
	v_sub_u32_e32 v51, 29, v58
	v_and_b32_e32 v50, 7, v50
	v_cmp_gt_u32_e32 vcc, 8, v46
	v_cndmask_b32_e32 v46, v57, v51, vcc
	v_cndmask_b32_e32 v50, v56, v50, vcc
	v_lshlrev_b32_e32 v51, 24, v44
	v_lshlrev_b32_e32 v50, 20, v50
	v_and_b32_e32 v51, 0x80000000, v51
	v_lshl_add_u32 v46, v46, 23, v55
	v_or3_b32 v46, v51, v46, v50
	v_lshrrev_b32_e32 v51, 16, v46
.LBB907_507:                            ;   in Loop: Header=BB907_215 Depth=1
	s_or_b64 exec, exec, s[16:17]
.LBB907_508:                            ;   in Loop: Header=BB907_215 Depth=1
	s_or_b64 exec, exec, s[14:15]
.LBB907_509:                            ;   in Loop: Header=BB907_215 Depth=1
	s_or_b64 exec, exec, s[12:13]
	v_lshrrev_b16_e32 v46, 8, v44
	v_cmp_ne_u16_e32 vcc, 0, v46
	v_mov_b32_e32 v56, 0
	v_mov_b32_e32 v50, 0
	s_and_saveexec_b64 s[12:13], vcc
	s_cbranch_execz .LBB907_515
; %bb.510:                              ;   in Loop: Header=BB907_215 Depth=1
	v_cmp_ne_u16_e32 vcc, s9, v46
	v_mov_b32_e32 v50, 0xffff8000
	s_and_saveexec_b64 s[14:15], vcc
	s_cbranch_execz .LBB907_514
; %bb.511:                              ;   in Loop: Header=BB907_215 Depth=1
	v_and_b32_e32 v57, 0x7f, v46
	v_cmp_ne_u32_e32 vcc, s21, v57
	v_mov_b32_e32 v50, 0x7f80
	s_and_saveexec_b64 s[16:17], vcc
	s_cbranch_execz .LBB907_513
; %bb.512:                              ;   in Loop: Header=BB907_215 Depth=1
	v_and_b32_e32 v50, 7, v46
	v_ffbh_u32_e32 v58, v50
	v_min_u32_e32 v61, 32, v58
	v_subrev_u32_e32 v58, 28, v61
	v_lshlrev_b64 v[58:59], v58, v[46:47]
	v_lshrrev_b32_e32 v60, 3, v57
	v_sub_u32_e32 v46, 29, v61
	v_and_b32_e32 v58, 7, v58
	v_cmp_gt_u32_e32 vcc, 8, v57
	v_cndmask_b32_e32 v46, v60, v46, vcc
	v_cndmask_b32_e32 v50, v50, v58, vcc
	v_lshlrev_b32_e32 v57, 16, v44
	v_lshlrev_b32_e32 v50, 20, v50
	v_and_b32_e32 v57, 0x80000000, v57
	v_lshl_add_u32 v46, v46, 23, v55
	v_or3_b32 v46, v57, v46, v50
	v_lshrrev_b32_e32 v50, 16, v46
.LBB907_513:                            ;   in Loop: Header=BB907_215 Depth=1
	s_or_b64 exec, exec, s[16:17]
.LBB907_514:                            ;   in Loop: Header=BB907_215 Depth=1
	s_or_b64 exec, exec, s[14:15]
.LBB907_515:                            ;   in Loop: Header=BB907_215 Depth=1
	s_or_b64 exec, exec, s[12:13]
	v_lshrrev_b32_e32 v46, 16, v44
	v_cmp_ne_u16_sdwa s[14:15], v46, v54 src0_sel:BYTE_0 src1_sel:DWORD
	s_and_saveexec_b64 s[12:13], s[14:15]
	s_cbranch_execz .LBB907_521
; %bb.516:                              ;   in Loop: Header=BB907_215 Depth=1
	v_cmp_ne_u16_sdwa s[16:17], v46, s9 src0_sel:BYTE_0 src1_sel:DWORD
	v_mov_b32_e32 v56, 0xffff8000
	s_and_saveexec_b64 s[14:15], s[16:17]
	s_cbranch_execz .LBB907_520
; %bb.517:                              ;   in Loop: Header=BB907_215 Depth=1
	v_bfe_u32 v57, v44, 16, 7
	v_cmp_ne_u32_e32 vcc, s21, v57
	v_mov_b32_e32 v56, 0x7f80
	s_and_saveexec_b64 s[16:17], vcc
	s_cbranch_execz .LBB907_519
; %bb.518:                              ;   in Loop: Header=BB907_215 Depth=1
	v_and_b32_e32 v56, 7, v46
	v_ffbh_u32_e32 v58, v56
	v_min_u32_e32 v61, 32, v58
	v_subrev_u32_e32 v58, 28, v61
	v_lshlrev_b64 v[58:59], v58, v[46:47]
	v_lshrrev_b32_e32 v60, 3, v57
	v_sub_u32_e32 v59, 29, v61
	v_and_b32_e32 v58, 7, v58
	v_cmp_gt_u32_e32 vcc, 8, v57
	v_cndmask_b32_e32 v57, v60, v59, vcc
	v_cndmask_b32_e32 v56, v56, v58, vcc
	v_lshlrev_b32_e32 v46, 24, v46
	v_lshlrev_b32_e32 v56, 20, v56
	v_and_b32_e32 v46, 0x80000000, v46
	v_lshl_add_u32 v57, v57, 23, v55
	v_or3_b32 v46, v46, v57, v56
	v_lshrrev_b32_e32 v56, 16, v46
.LBB907_519:                            ;   in Loop: Header=BB907_215 Depth=1
	s_or_b64 exec, exec, s[16:17]
.LBB907_520:                            ;   in Loop: Header=BB907_215 Depth=1
	s_or_b64 exec, exec, s[14:15]
.LBB907_521:                            ;   in Loop: Header=BB907_215 Depth=1
	s_or_b64 exec, exec, s[12:13]
	v_cmp_lt_u32_e32 vcc, s22, v44
	v_mov_b32_e32 v57, 0
	v_mov_b32_e32 v58, 0
	s_and_saveexec_b64 s[12:13], vcc
	s_cbranch_execz .LBB907_527
; %bb.522:                              ;   in Loop: Header=BB907_215 Depth=1
	v_lshrrev_b32_e32 v46, 24, v44
	v_cmp_ne_u32_e32 vcc, s9, v46
	v_mov_b32_e32 v58, 0xffff8000
	s_and_saveexec_b64 s[14:15], vcc
	s_cbranch_execz .LBB907_526
; %bb.523:                              ;   in Loop: Header=BB907_215 Depth=1
	v_bfe_u32 v44, v44, 24, 7
	v_cmp_ne_u32_e32 vcc, s21, v44
	v_mov_b32_e32 v58, 0x7f80
	s_and_saveexec_b64 s[16:17], vcc
	s_cbranch_execz .LBB907_525
; %bb.524:                              ;   in Loop: Header=BB907_215 Depth=1
	v_and_b32_e32 v60, 7, v46
	v_ffbh_u32_e32 v58, v60
	v_min_u32_e32 v62, 32, v58
	v_subrev_u32_e32 v58, 28, v62
	v_lshlrev_b64 v[58:59], v58, v[46:47]
	v_lshrrev_b32_e32 v61, 3, v44
	v_sub_u32_e32 v59, 29, v62
	v_and_b32_e32 v58, 7, v58
	v_cmp_gt_u32_e32 vcc, 8, v44
	v_cndmask_b32_e32 v44, v61, v59, vcc
	v_cndmask_b32_e32 v58, v60, v58, vcc
	v_lshlrev_b32_e32 v46, 24, v46
	v_lshlrev_b32_e32 v58, 20, v58
	v_and_b32_e32 v46, 0x80000000, v46
	v_lshl_add_u32 v44, v44, 23, v55
	v_or3_b32 v44, v46, v44, v58
	v_lshrrev_b32_e32 v58, 16, v44
.LBB907_525:                            ;   in Loop: Header=BB907_215 Depth=1
	s_or_b64 exec, exec, s[16:17]
.LBB907_526:                            ;   in Loop: Header=BB907_215 Depth=1
	s_or_b64 exec, exec, s[14:15]
.LBB907_527:                            ;   in Loop: Header=BB907_215 Depth=1
	s_or_b64 exec, exec, s[12:13]
	s_waitcnt vmcnt(2)
	v_cmp_ne_u16_sdwa s[14:15], v42, v54 src0_sel:BYTE_0 src1_sel:DWORD
	s_and_saveexec_b64 s[12:13], s[14:15]
	s_cbranch_execz .LBB907_533
; %bb.528:                              ;   in Loop: Header=BB907_215 Depth=1
	v_cmp_ne_u16_sdwa s[16:17], v42, s9 src0_sel:BYTE_0 src1_sel:DWORD
	v_mov_b32_e32 v57, 0xffff8000
	s_and_saveexec_b64 s[14:15], s[16:17]
	s_cbranch_execz .LBB907_532
; %bb.529:                              ;   in Loop: Header=BB907_215 Depth=1
	v_and_b32_e32 v44, 0x7f, v42
	v_cmp_ne_u32_e32 vcc, s21, v44
	v_mov_b32_e32 v57, 0x7f80
	s_and_saveexec_b64 s[16:17], vcc
	s_cbranch_execz .LBB907_531
; %bb.530:                              ;   in Loop: Header=BB907_215 Depth=1
	v_and_b32_e32 v46, 7, v42
	v_ffbh_u32_e32 v59, v46
	v_min_u32_e32 v59, 32, v59
	v_subrev_u32_e32 v60, 28, v59
	v_lshlrev_b64 v[60:61], v60, v[42:43]
	v_lshrrev_b32_e32 v57, 3, v44
	v_sub_u32_e32 v59, 29, v59
	v_and_b32_e32 v60, 7, v60
	v_cmp_gt_u32_e32 vcc, 8, v44
	v_cndmask_b32_e32 v44, v57, v59, vcc
	v_cndmask_b32_e32 v46, v46, v60, vcc
	v_lshlrev_b32_e32 v57, 24, v42
	v_lshlrev_b32_e32 v46, 20, v46
	v_and_b32_e32 v57, 0x80000000, v57
	v_lshl_add_u32 v44, v44, 23, v55
	v_or3_b32 v44, v57, v44, v46
	v_lshrrev_b32_e32 v57, 16, v44
.LBB907_531:                            ;   in Loop: Header=BB907_215 Depth=1
	s_or_b64 exec, exec, s[16:17]
.LBB907_532:                            ;   in Loop: Header=BB907_215 Depth=1
	s_or_b64 exec, exec, s[14:15]
.LBB907_533:                            ;   in Loop: Header=BB907_215 Depth=1
	s_or_b64 exec, exec, s[12:13]
	v_lshrrev_b16_e32 v44, 8, v42
	v_cmp_ne_u16_e32 vcc, 0, v44
	v_mov_b32_e32 v60, 0
	v_mov_b32_e32 v59, 0
	s_and_saveexec_b64 s[12:13], vcc
	s_cbranch_execz .LBB907_539
; %bb.534:                              ;   in Loop: Header=BB907_215 Depth=1
	v_cmp_ne_u16_e32 vcc, s9, v44
	v_mov_b32_e32 v59, 0xffff8000
	s_and_saveexec_b64 s[14:15], vcc
	s_cbranch_execz .LBB907_538
; %bb.535:                              ;   in Loop: Header=BB907_215 Depth=1
	v_and_b32_e32 v46, 0x7f, v44
	v_cmp_ne_u32_e32 vcc, s21, v46
	v_mov_b32_e32 v59, 0x7f80
	s_and_saveexec_b64 s[16:17], vcc
	s_cbranch_execz .LBB907_537
; %bb.536:                              ;   in Loop: Header=BB907_215 Depth=1
	v_and_b32_e32 v59, 7, v44
	v_ffbh_u32_e32 v62, v59
	v_min_u32_e32 v64, 32, v62
	v_subrev_u32_e32 v62, 28, v64
	v_lshlrev_b64 v[62:63], v62, v[44:45]
	v_lshrrev_b32_e32 v61, 3, v46
	v_sub_u32_e32 v44, 29, v64
	v_and_b32_e32 v62, 7, v62
	v_cmp_gt_u32_e32 vcc, 8, v46
	v_cndmask_b32_e32 v44, v61, v44, vcc
	v_cndmask_b32_e32 v46, v59, v62, vcc
	v_lshlrev_b32_e32 v59, 16, v42
	v_lshlrev_b32_e32 v46, 20, v46
	v_and_b32_e32 v59, 0x80000000, v59
	v_lshl_add_u32 v44, v44, 23, v55
	v_or3_b32 v44, v59, v44, v46
	v_lshrrev_b32_e32 v59, 16, v44
.LBB907_537:                            ;   in Loop: Header=BB907_215 Depth=1
	s_or_b64 exec, exec, s[16:17]
.LBB907_538:                            ;   in Loop: Header=BB907_215 Depth=1
	s_or_b64 exec, exec, s[14:15]
.LBB907_539:                            ;   in Loop: Header=BB907_215 Depth=1
	s_or_b64 exec, exec, s[12:13]
	v_lshrrev_b32_e32 v44, 16, v42
	v_cmp_ne_u16_sdwa s[14:15], v44, v54 src0_sel:BYTE_0 src1_sel:DWORD
	s_and_saveexec_b64 s[12:13], s[14:15]
	s_cbranch_execz .LBB907_545
; %bb.540:                              ;   in Loop: Header=BB907_215 Depth=1
	v_cmp_ne_u16_sdwa s[16:17], v44, s9 src0_sel:BYTE_0 src1_sel:DWORD
	v_mov_b32_e32 v60, 0xffff8000
	s_and_saveexec_b64 s[14:15], s[16:17]
	s_cbranch_execz .LBB907_544
; %bb.541:                              ;   in Loop: Header=BB907_215 Depth=1
	v_bfe_u32 v46, v42, 16, 7
	v_cmp_ne_u32_e32 vcc, s21, v46
	v_mov_b32_e32 v60, 0x7f80
	s_and_saveexec_b64 s[16:17], vcc
	s_cbranch_execz .LBB907_543
; %bb.542:                              ;   in Loop: Header=BB907_215 Depth=1
	v_and_b32_e32 v62, 7, v44
	v_ffbh_u32_e32 v60, v62
	v_min_u32_e32 v64, 32, v60
	v_subrev_u32_e32 v60, 28, v64
	v_lshlrev_b64 v[60:61], v60, v[44:45]
	v_lshrrev_b32_e32 v63, 3, v46
	v_sub_u32_e32 v61, 29, v64
	v_and_b32_e32 v60, 7, v60
	v_cmp_gt_u32_e32 vcc, 8, v46
	v_cndmask_b32_e32 v46, v63, v61, vcc
	v_cndmask_b32_e32 v60, v62, v60, vcc
	v_lshlrev_b32_e32 v44, 24, v44
	v_lshlrev_b32_e32 v60, 20, v60
	v_and_b32_e32 v44, 0x80000000, v44
	v_lshl_add_u32 v46, v46, 23, v55
	v_or3_b32 v44, v44, v46, v60
	v_lshrrev_b32_e32 v60, 16, v44
.LBB907_543:                            ;   in Loop: Header=BB907_215 Depth=1
	s_or_b64 exec, exec, s[16:17]
.LBB907_544:                            ;   in Loop: Header=BB907_215 Depth=1
	s_or_b64 exec, exec, s[14:15]
.LBB907_545:                            ;   in Loop: Header=BB907_215 Depth=1
	s_or_b64 exec, exec, s[12:13]
	v_cmp_lt_u32_e32 vcc, s22, v42
	v_mov_b32_e32 v46, 0
	v_mov_b32_e32 v61, 0
	s_and_saveexec_b64 s[12:13], vcc
	s_cbranch_execz .LBB907_551
; %bb.546:                              ;   in Loop: Header=BB907_215 Depth=1
	v_lshrrev_b32_e32 v44, 24, v42
	v_cmp_ne_u32_e32 vcc, s9, v44
	v_mov_b32_e32 v61, 0xffff8000
	s_and_saveexec_b64 s[14:15], vcc
	s_cbranch_execz .LBB907_550
; %bb.547:                              ;   in Loop: Header=BB907_215 Depth=1
	v_bfe_u32 v42, v42, 24, 7
	v_cmp_ne_u32_e32 vcc, s21, v42
	v_mov_b32_e32 v61, 0x7f80
	s_and_saveexec_b64 s[16:17], vcc
	s_cbranch_execz .LBB907_549
; %bb.548:                              ;   in Loop: Header=BB907_215 Depth=1
	v_and_b32_e32 v61, 7, v44
	v_ffbh_u32_e32 v62, v61
	v_min_u32_e32 v65, 32, v62
	v_subrev_u32_e32 v62, 28, v65
	v_lshlrev_b64 v[62:63], v62, v[44:45]
	v_lshrrev_b32_e32 v64, 3, v42
	v_sub_u32_e32 v63, 29, v65
	v_and_b32_e32 v62, 7, v62
	v_cmp_gt_u32_e32 vcc, 8, v42
	v_cndmask_b32_e32 v42, v64, v63, vcc
	v_cndmask_b32_e32 v61, v61, v62, vcc
	v_lshlrev_b32_e32 v44, 24, v44
	v_lshlrev_b32_e32 v61, 20, v61
	v_and_b32_e32 v44, 0x80000000, v44
	v_lshl_add_u32 v42, v42, 23, v55
	v_or3_b32 v42, v44, v42, v61
	v_lshrrev_b32_e32 v61, 16, v42
.LBB907_549:                            ;   in Loop: Header=BB907_215 Depth=1
	s_or_b64 exec, exec, s[16:17]
.LBB907_550:                            ;   in Loop: Header=BB907_215 Depth=1
	s_or_b64 exec, exec, s[14:15]
.LBB907_551:                            ;   in Loop: Header=BB907_215 Depth=1
	s_or_b64 exec, exec, s[12:13]
	v_perm_b32 v63, v58, v56, s23
	v_perm_b32 v62, v50, v51, s23
	;; [unrolled: 1-line block ×4, first 2 shown]
	s_waitcnt vmcnt(1)
	v_cmp_ne_u16_sdwa s[14:15], v40, v54 src0_sel:BYTE_0 src1_sel:DWORD
	v_mfma_f32_16x16x16bf16_1k v[34:37], v[62:63], v[26:27], v[34:37]
	v_mfma_f32_16x16x16bf16_1k v[34:37], v[50:51], v[28:29], v[34:37]
	s_and_saveexec_b64 s[12:13], s[14:15]
	s_cbranch_execz .LBB907_557
; %bb.552:                              ;   in Loop: Header=BB907_215 Depth=1
	v_cmp_ne_u16_sdwa s[16:17], v40, s9 src0_sel:BYTE_0 src1_sel:DWORD
	v_mov_b32_e32 v46, 0xffff8000
	s_and_saveexec_b64 s[14:15], s[16:17]
	s_cbranch_execz .LBB907_556
; %bb.553:                              ;   in Loop: Header=BB907_215 Depth=1
	v_and_b32_e32 v42, 0x7f, v40
	v_cmp_ne_u32_e32 vcc, s21, v42
	v_mov_b32_e32 v46, 0x7f80
	s_and_saveexec_b64 s[16:17], vcc
	s_cbranch_execz .LBB907_555
; %bb.554:                              ;   in Loop: Header=BB907_215 Depth=1
	v_and_b32_e32 v44, 7, v40
	v_ffbh_u32_e32 v50, v44
	v_min_u32_e32 v56, 32, v50
	v_subrev_u32_e32 v50, 28, v56
	v_lshlrev_b64 v[50:51], v50, v[40:41]
	v_lshrrev_b32_e32 v46, 3, v42
	v_sub_u32_e32 v51, 29, v56
	v_and_b32_e32 v50, 7, v50
	v_cmp_gt_u32_e32 vcc, 8, v42
	v_cndmask_b32_e32 v42, v46, v51, vcc
	v_cndmask_b32_e32 v44, v44, v50, vcc
	v_lshlrev_b32_e32 v46, 24, v40
	v_lshlrev_b32_e32 v44, 20, v44
	v_and_b32_e32 v46, 0x80000000, v46
	v_lshl_add_u32 v42, v42, 23, v55
	v_or3_b32 v42, v46, v42, v44
	v_lshrrev_b32_e32 v46, 16, v42
.LBB907_555:                            ;   in Loop: Header=BB907_215 Depth=1
	s_or_b64 exec, exec, s[16:17]
.LBB907_556:                            ;   in Loop: Header=BB907_215 Depth=1
	s_or_b64 exec, exec, s[14:15]
.LBB907_557:                            ;   in Loop: Header=BB907_215 Depth=1
	s_or_b64 exec, exec, s[12:13]
	v_lshrrev_b16_e32 v42, 8, v40
	v_cmp_ne_u16_e32 vcc, 0, v42
	v_mov_b32_e32 v50, 0
	v_mov_b32_e32 v44, 0
	s_and_saveexec_b64 s[12:13], vcc
	s_cbranch_execz .LBB907_563
; %bb.558:                              ;   in Loop: Header=BB907_215 Depth=1
	v_cmp_ne_u16_e32 vcc, s9, v42
	v_mov_b32_e32 v44, 0xffff8000
	s_and_saveexec_b64 s[14:15], vcc
	s_cbranch_execz .LBB907_562
; %bb.559:                              ;   in Loop: Header=BB907_215 Depth=1
	v_and_b32_e32 v51, 0x7f, v42
	v_cmp_ne_u32_e32 vcc, s21, v51
	v_mov_b32_e32 v44, 0x7f80
	s_and_saveexec_b64 s[16:17], vcc
	s_cbranch_execz .LBB907_561
; %bb.560:                              ;   in Loop: Header=BB907_215 Depth=1
	v_and_b32_e32 v44, 7, v42
	v_ffbh_u32_e32 v56, v44
	v_min_u32_e32 v59, 32, v56
	v_subrev_u32_e32 v56, 28, v59
	v_lshlrev_b64 v[56:57], v56, v[42:43]
	v_lshrrev_b32_e32 v58, 3, v51
	v_sub_u32_e32 v42, 29, v59
	v_and_b32_e32 v56, 7, v56
	v_cmp_gt_u32_e32 vcc, 8, v51
	v_cndmask_b32_e32 v42, v58, v42, vcc
	v_cndmask_b32_e32 v44, v44, v56, vcc
	v_lshlrev_b32_e32 v51, 16, v40
	v_lshlrev_b32_e32 v44, 20, v44
	v_and_b32_e32 v51, 0x80000000, v51
	v_lshl_add_u32 v42, v42, 23, v55
	v_or3_b32 v42, v51, v42, v44
	v_lshrrev_b32_e32 v44, 16, v42
.LBB907_561:                            ;   in Loop: Header=BB907_215 Depth=1
	s_or_b64 exec, exec, s[16:17]
.LBB907_562:                            ;   in Loop: Header=BB907_215 Depth=1
	s_or_b64 exec, exec, s[14:15]
.LBB907_563:                            ;   in Loop: Header=BB907_215 Depth=1
	s_or_b64 exec, exec, s[12:13]
	v_lshrrev_b32_e32 v42, 16, v40
	v_cmp_ne_u16_sdwa s[14:15], v42, v54 src0_sel:BYTE_0 src1_sel:DWORD
	s_and_saveexec_b64 s[12:13], s[14:15]
	s_cbranch_execz .LBB907_569
; %bb.564:                              ;   in Loop: Header=BB907_215 Depth=1
	v_cmp_ne_u16_sdwa s[16:17], v42, s9 src0_sel:BYTE_0 src1_sel:DWORD
	v_mov_b32_e32 v50, 0xffff8000
	s_and_saveexec_b64 s[14:15], s[16:17]
	s_cbranch_execz .LBB907_568
; %bb.565:                              ;   in Loop: Header=BB907_215 Depth=1
	v_bfe_u32 v51, v40, 16, 7
	v_cmp_ne_u32_e32 vcc, s21, v51
	v_mov_b32_e32 v50, 0x7f80
	s_and_saveexec_b64 s[16:17], vcc
	s_cbranch_execz .LBB907_567
; %bb.566:                              ;   in Loop: Header=BB907_215 Depth=1
	v_and_b32_e32 v50, 7, v42
	v_ffbh_u32_e32 v56, v50
	v_min_u32_e32 v59, 32, v56
	v_subrev_u32_e32 v56, 28, v59
	v_lshlrev_b64 v[56:57], v56, v[42:43]
	v_lshrrev_b32_e32 v58, 3, v51
	v_sub_u32_e32 v57, 29, v59
	v_and_b32_e32 v56, 7, v56
	v_cmp_gt_u32_e32 vcc, 8, v51
	v_cndmask_b32_e32 v51, v58, v57, vcc
	v_cndmask_b32_e32 v50, v50, v56, vcc
	v_lshlrev_b32_e32 v42, 24, v42
	v_lshlrev_b32_e32 v50, 20, v50
	v_and_b32_e32 v42, 0x80000000, v42
	v_lshl_add_u32 v51, v51, 23, v55
	v_or3_b32 v42, v42, v51, v50
	v_lshrrev_b32_e32 v50, 16, v42
.LBB907_567:                            ;   in Loop: Header=BB907_215 Depth=1
	s_or_b64 exec, exec, s[16:17]
.LBB907_568:                            ;   in Loop: Header=BB907_215 Depth=1
	s_or_b64 exec, exec, s[14:15]
.LBB907_569:                            ;   in Loop: Header=BB907_215 Depth=1
	s_or_b64 exec, exec, s[12:13]
	v_cmp_lt_u32_e32 vcc, s22, v40
	v_mov_b32_e32 v51, 0
	v_mov_b32_e32 v56, 0
	s_and_saveexec_b64 s[12:13], vcc
	s_cbranch_execz .LBB907_575
; %bb.570:                              ;   in Loop: Header=BB907_215 Depth=1
	v_lshrrev_b32_e32 v42, 24, v40
	v_cmp_ne_u32_e32 vcc, s9, v42
	v_mov_b32_e32 v56, 0xffff8000
	s_and_saveexec_b64 s[14:15], vcc
	s_cbranch_execz .LBB907_574
; %bb.571:                              ;   in Loop: Header=BB907_215 Depth=1
	v_bfe_u32 v40, v40, 24, 7
	v_cmp_ne_u32_e32 vcc, s21, v40
	v_mov_b32_e32 v56, 0x7f80
	s_and_saveexec_b64 s[16:17], vcc
	s_cbranch_execz .LBB907_573
; %bb.572:                              ;   in Loop: Header=BB907_215 Depth=1
	v_and_b32_e32 v58, 7, v42
	v_ffbh_u32_e32 v56, v58
	v_min_u32_e32 v60, 32, v56
	v_subrev_u32_e32 v56, 28, v60
	v_lshlrev_b64 v[56:57], v56, v[42:43]
	v_lshrrev_b32_e32 v59, 3, v40
	v_sub_u32_e32 v57, 29, v60
	v_and_b32_e32 v56, 7, v56
	v_cmp_gt_u32_e32 vcc, 8, v40
	v_cndmask_b32_e32 v40, v59, v57, vcc
	v_cndmask_b32_e32 v56, v58, v56, vcc
	v_lshlrev_b32_e32 v42, 24, v42
	v_lshlrev_b32_e32 v56, 20, v56
	v_and_b32_e32 v42, 0x80000000, v42
	v_lshl_add_u32 v40, v40, 23, v55
	v_or3_b32 v40, v42, v40, v56
	v_lshrrev_b32_e32 v56, 16, v40
.LBB907_573:                            ;   in Loop: Header=BB907_215 Depth=1
	s_or_b64 exec, exec, s[16:17]
.LBB907_574:                            ;   in Loop: Header=BB907_215 Depth=1
	s_or_b64 exec, exec, s[14:15]
.LBB907_575:                            ;   in Loop: Header=BB907_215 Depth=1
	s_or_b64 exec, exec, s[12:13]
	s_waitcnt vmcnt(0)
	v_cmp_ne_u16_sdwa s[14:15], v38, v54 src0_sel:BYTE_0 src1_sel:DWORD
	s_and_saveexec_b64 s[12:13], s[14:15]
	s_cbranch_execz .LBB907_581
; %bb.576:                              ;   in Loop: Header=BB907_215 Depth=1
	v_cmp_ne_u16_sdwa s[16:17], v38, s9 src0_sel:BYTE_0 src1_sel:DWORD
	v_mov_b32_e32 v51, 0xffff8000
	s_and_saveexec_b64 s[14:15], s[16:17]
	s_cbranch_execz .LBB907_580
; %bb.577:                              ;   in Loop: Header=BB907_215 Depth=1
	v_and_b32_e32 v40, 0x7f, v38
	v_cmp_ne_u32_e32 vcc, s21, v40
	v_mov_b32_e32 v51, 0x7f80
	s_and_saveexec_b64 s[16:17], vcc
	s_cbranch_execz .LBB907_579
; %bb.578:                              ;   in Loop: Header=BB907_215 Depth=1
	v_and_b32_e32 v42, 7, v38
	v_ffbh_u32_e32 v57, v42
	v_min_u32_e32 v57, 32, v57
	v_subrev_u32_e32 v58, 28, v57
	v_lshlrev_b64 v[58:59], v58, v[38:39]
	v_lshrrev_b32_e32 v51, 3, v40
	v_sub_u32_e32 v57, 29, v57
	v_and_b32_e32 v58, 7, v58
	v_cmp_gt_u32_e32 vcc, 8, v40
	v_cndmask_b32_e32 v40, v51, v57, vcc
	v_cndmask_b32_e32 v42, v42, v58, vcc
	v_lshlrev_b32_e32 v51, 24, v38
	v_lshlrev_b32_e32 v42, 20, v42
	v_and_b32_e32 v51, 0x80000000, v51
	v_lshl_add_u32 v40, v40, 23, v55
	v_or3_b32 v40, v51, v40, v42
	v_lshrrev_b32_e32 v51, 16, v40
.LBB907_579:                            ;   in Loop: Header=BB907_215 Depth=1
	s_or_b64 exec, exec, s[16:17]
.LBB907_580:                            ;   in Loop: Header=BB907_215 Depth=1
	s_or_b64 exec, exec, s[14:15]
.LBB907_581:                            ;   in Loop: Header=BB907_215 Depth=1
	s_or_b64 exec, exec, s[12:13]
	v_lshrrev_b16_e32 v40, 8, v38
	v_cmp_ne_u16_e32 vcc, 0, v40
	v_mov_b32_e32 v57, 0
	v_mov_b32_e32 v42, 0
	s_and_saveexec_b64 s[12:13], vcc
	s_cbranch_execz .LBB907_587
; %bb.582:                              ;   in Loop: Header=BB907_215 Depth=1
	v_cmp_ne_u16_e32 vcc, s9, v40
	v_mov_b32_e32 v42, 0xffff8000
	s_and_saveexec_b64 s[14:15], vcc
	s_cbranch_execz .LBB907_586
; %bb.583:                              ;   in Loop: Header=BB907_215 Depth=1
	v_and_b32_e32 v58, 0x7f, v40
	v_cmp_ne_u32_e32 vcc, s21, v58
	v_mov_b32_e32 v42, 0x7f80
	s_and_saveexec_b64 s[16:17], vcc
	s_cbranch_execz .LBB907_585
; %bb.584:                              ;   in Loop: Header=BB907_215 Depth=1
	v_and_b32_e32 v42, 7, v40
	v_ffbh_u32_e32 v60, v42
	v_min_u32_e32 v62, 32, v60
	v_subrev_u32_e32 v60, 28, v62
	v_lshlrev_b64 v[60:61], v60, v[40:41]
	v_lshrrev_b32_e32 v59, 3, v58
	v_sub_u32_e32 v40, 29, v62
	v_and_b32_e32 v60, 7, v60
	v_cmp_gt_u32_e32 vcc, 8, v58
	v_cndmask_b32_e32 v40, v59, v40, vcc
	v_cndmask_b32_e32 v42, v42, v60, vcc
	v_lshlrev_b32_e32 v58, 16, v38
	v_lshlrev_b32_e32 v42, 20, v42
	v_and_b32_e32 v58, 0x80000000, v58
	v_lshl_add_u32 v40, v40, 23, v55
	v_or3_b32 v40, v58, v40, v42
	v_lshrrev_b32_e32 v42, 16, v40
.LBB907_585:                            ;   in Loop: Header=BB907_215 Depth=1
	s_or_b64 exec, exec, s[16:17]
.LBB907_586:                            ;   in Loop: Header=BB907_215 Depth=1
	s_or_b64 exec, exec, s[14:15]
.LBB907_587:                            ;   in Loop: Header=BB907_215 Depth=1
	s_or_b64 exec, exec, s[12:13]
	v_lshrrev_b32_e32 v40, 16, v38
	v_cmp_ne_u16_sdwa s[14:15], v40, v54 src0_sel:BYTE_0 src1_sel:DWORD
	s_and_saveexec_b64 s[12:13], s[14:15]
	s_cbranch_execz .LBB907_593
; %bb.588:                              ;   in Loop: Header=BB907_215 Depth=1
	v_cmp_ne_u16_sdwa s[16:17], v40, s9 src0_sel:BYTE_0 src1_sel:DWORD
	v_mov_b32_e32 v57, 0xffff8000
	s_and_saveexec_b64 s[14:15], s[16:17]
	s_cbranch_execz .LBB907_592
; %bb.589:                              ;   in Loop: Header=BB907_215 Depth=1
	v_bfe_u32 v58, v38, 16, 7
	v_cmp_ne_u32_e32 vcc, s21, v58
	v_mov_b32_e32 v57, 0x7f80
	s_and_saveexec_b64 s[16:17], vcc
	s_cbranch_execz .LBB907_591
; %bb.590:                              ;   in Loop: Header=BB907_215 Depth=1
	v_and_b32_e32 v57, 7, v40
	v_ffbh_u32_e32 v60, v57
	v_min_u32_e32 v62, 32, v60
	v_subrev_u32_e32 v60, 28, v62
	v_lshlrev_b64 v[60:61], v60, v[40:41]
	v_lshrrev_b32_e32 v59, 3, v58
	v_sub_u32_e32 v61, 29, v62
	v_and_b32_e32 v60, 7, v60
	v_cmp_gt_u32_e32 vcc, 8, v58
	v_cndmask_b32_e32 v58, v59, v61, vcc
	v_cndmask_b32_e32 v57, v57, v60, vcc
	v_lshlrev_b32_e32 v40, 24, v40
	v_lshlrev_b32_e32 v57, 20, v57
	v_and_b32_e32 v40, 0x80000000, v40
	v_lshl_add_u32 v58, v58, 23, v55
	v_or3_b32 v40, v40, v58, v57
	v_lshrrev_b32_e32 v57, 16, v40
.LBB907_591:                            ;   in Loop: Header=BB907_215 Depth=1
	s_or_b64 exec, exec, s[16:17]
.LBB907_592:                            ;   in Loop: Header=BB907_215 Depth=1
	s_or_b64 exec, exec, s[14:15]
.LBB907_593:                            ;   in Loop: Header=BB907_215 Depth=1
	s_or_b64 exec, exec, s[12:13]
	v_cmp_lt_u32_e32 vcc, s22, v38
	v_mov_b32_e32 v58, 0
	s_and_saveexec_b64 s[12:13], vcc
	s_cbranch_execz .LBB907_214
; %bb.594:                              ;   in Loop: Header=BB907_215 Depth=1
	v_lshrrev_b32_e32 v40, 24, v38
	v_cmp_ne_u32_e32 vcc, s9, v40
	v_mov_b32_e32 v58, 0xffff8000
	s_and_saveexec_b64 s[14:15], vcc
	s_cbranch_execz .LBB907_213
; %bb.595:                              ;   in Loop: Header=BB907_215 Depth=1
	v_bfe_u32 v38, v38, 24, 7
	v_cmp_ne_u32_e32 vcc, s21, v38
	v_mov_b32_e32 v58, 0x7f80
	s_and_saveexec_b64 s[16:17], vcc
	s_cbranch_execz .LBB907_212
; %bb.596:                              ;   in Loop: Header=BB907_215 Depth=1
	v_and_b32_e32 v60, 7, v40
	v_ffbh_u32_e32 v58, v60
	v_min_u32_e32 v62, 32, v58
	v_subrev_u32_e32 v58, 28, v62
	v_lshlrev_b64 v[58:59], v58, v[40:41]
	v_lshrrev_b32_e32 v61, 3, v38
	v_sub_u32_e32 v59, 29, v62
	v_and_b32_e32 v58, 7, v58
	v_cmp_gt_u32_e32 vcc, 8, v38
	v_cndmask_b32_e32 v38, v61, v59, vcc
	v_cndmask_b32_e32 v58, v60, v58, vcc
	v_lshlrev_b32_e32 v40, 24, v40
	v_lshlrev_b32_e32 v58, 20, v58
	v_and_b32_e32 v40, 0x80000000, v40
	v_lshl_add_u32 v38, v38, 23, v55
	v_or3_b32 v38, v40, v38, v58
	v_lshrrev_b32_e32 v58, 16, v38
	s_branch .LBB907_212
.LBB907_597:
	s_barrier
	buffer_load_dword v2, off, s[0:3], 0 offset:320
	buffer_load_dword v5, off, s[0:3], 0 offset:332
	buffer_load_dword v3, off, s[0:3], 0 offset:324
	buffer_load_dword v4, off, s[0:3], 0 offset:328
	v_cmp_gt_u32_e32 vcc, 64, v0
	s_waitcnt vmcnt(0)
	ds_write2st64_b64 v52, v[2:3], v[4:5] offset1:1
	s_waitcnt lgkmcnt(0)
	s_barrier
	s_and_saveexec_b64 s[4:5], vcc
	s_cbranch_execz .LBB907_600
; %bb.598:
	s_lshl_b32 s4, s48, 7
	s_mul_i32 s5, s18, s8
	s_mul_hi_u32 s9, s5, s4
	s_mul_i32 s8, s5, s4
	s_lshl_b64 s[8:9], s[8:9], 1
	v_lshlrev_b32_e32 v4, 6, v41
	s_add_u32 s5, s50, s8
	v_lshl_or_b32 v0, v0, 10, v4
	s_mov_b32 s7, 0
	s_addc_u32 s8, s51, s9
	s_lshl_b32 s6, s26, 7
	v_lshlrev_b32_e32 v2, 5, v1
	v_and_b32_e32 v3, 16, v43
	v_and_b32_e32 v0, 0x1a00, v0
	s_lshl_b64 s[6:7], s[6:7], 1
	v_or3_b32 v0, v0, v2, v3
	s_add_u32 s5, s5, s6
	ds_read_b128 v[6:9], v0 offset:256
	v_or_b32_e32 v2, 12, v1
	s_addc_u32 s6, s8, s7
	ds_read_b128 v[10:13], v0 offset:128
	ds_read_b128 v[14:17], v0
	v_add_u32_e32 v1, s27, v1
	v_mov_b32_e32 v4, s6
	v_add_co_u32_e32 v3, vcc, s5, v39
	v_mad_u64_u32 v[18:19], s[6:7], v1, s4, 0
	v_addc_co_u32_e32 v4, vcc, 0, v4, vcc
	v_lshlrev_b64 v[18:19], 1, v[18:19]
	v_add_co_u32_e32 v18, vcc, v3, v18
	v_addc_co_u32_e32 v19, vcc, v4, v19, vcc
	v_add_u32_e32 v5, 4, v1
	s_waitcnt lgkmcnt(0)
	global_store_dwordx4 v[18:19], v[14:17], off
	v_add_u32_e32 v1, 8, v1
	v_mad_u64_u32 v[14:15], s[6:7], v5, s4, 0
	v_lshlrev_b64 v[14:15], 1, v[14:15]
	v_add_co_u32_e32 v14, vcc, v3, v14
	v_addc_co_u32_e32 v15, vcc, v4, v15, vcc
	global_store_dwordx4 v[14:15], v[10:13], off
	s_nop 0
	v_mad_u64_u32 v[10:11], s[6:7], v1, s4, 0
	v_lshlrev_b64 v[10:11], 1, v[10:11]
	v_add_co_u32_e32 v10, vcc, v3, v10
	v_addc_co_u32_e32 v11, vcc, v4, v11, vcc
	v_cmp_gt_u32_e32 vcc, 14, v2
	global_store_dwordx4 v[10:11], v[6:9], off
	s_and_b64 exec, exec, vcc
	s_cbranch_execz .LBB907_600
; %bb.599:
	ds_read_b128 v[6:9], v0 offset:384
	v_add_u32_e32 v0, s27, v2
	v_mad_u64_u32 v[0:1], s[4:5], v0, s4, 0
	v_lshlrev_b64 v[0:1], 1, v[0:1]
	v_add_co_u32_e32 v0, vcc, v3, v0
	v_addc_co_u32_e32 v1, vcc, v4, v1, vcc
	s_waitcnt lgkmcnt(0)
	global_store_dwordx4 v[0:1], v[6:9], off
.LBB907_600:
	s_endpgm
	.section	.rodata,"a",@progbits
	.p2align	6, 0x0
	.amdhsa_kernel _Z39paged_attention_ll4mi_QKV_mfma16_kernelI14__hip_bfloat16hLN4vllm18Fp8KVCacheDataTypeE1ES0_Li16ELi128ELi256ELb1ELi14EL8MFMAType0EEvPKT_PKT0_S9_ifPKiSB_SB_iPKfiiiPfSE_PS4_PT2_iSD_SD_
		.amdhsa_group_segment_fixed_size 8192
		.amdhsa_private_segment_fixed_size 352
		.amdhsa_kernarg_size 400
		.amdhsa_user_sgpr_count 8
		.amdhsa_user_sgpr_private_segment_buffer 1
		.amdhsa_user_sgpr_dispatch_ptr 0
		.amdhsa_user_sgpr_queue_ptr 0
		.amdhsa_user_sgpr_kernarg_segment_ptr 1
		.amdhsa_user_sgpr_dispatch_id 0
		.amdhsa_user_sgpr_flat_scratch_init 1
		.amdhsa_user_sgpr_kernarg_preload_length 0
		.amdhsa_user_sgpr_kernarg_preload_offset 0
		.amdhsa_user_sgpr_private_segment_size 0
		.amdhsa_uses_dynamic_stack 0
		.amdhsa_system_sgpr_private_segment_wavefront_offset 1
		.amdhsa_system_sgpr_workgroup_id_x 1
		.amdhsa_system_sgpr_workgroup_id_y 1
		.amdhsa_system_sgpr_workgroup_id_z 1
		.amdhsa_system_sgpr_workgroup_info 0
		.amdhsa_system_vgpr_workitem_id 0
		.amdhsa_next_free_vgpr 80
		.amdhsa_next_free_sgpr 53
		.amdhsa_accum_offset 80
		.amdhsa_reserve_vcc 1
		.amdhsa_reserve_flat_scratch 0
		.amdhsa_float_round_mode_32 0
		.amdhsa_float_round_mode_16_64 0
		.amdhsa_float_denorm_mode_32 3
		.amdhsa_float_denorm_mode_16_64 3
		.amdhsa_dx10_clamp 1
		.amdhsa_ieee_mode 1
		.amdhsa_fp16_overflow 0
		.amdhsa_tg_split 0
		.amdhsa_exception_fp_ieee_invalid_op 0
		.amdhsa_exception_fp_denorm_src 0
		.amdhsa_exception_fp_ieee_div_zero 0
		.amdhsa_exception_fp_ieee_overflow 0
		.amdhsa_exception_fp_ieee_underflow 0
		.amdhsa_exception_fp_ieee_inexact 0
		.amdhsa_exception_int_div_zero 0
	.end_amdhsa_kernel
	.section	.text._Z39paged_attention_ll4mi_QKV_mfma16_kernelI14__hip_bfloat16hLN4vllm18Fp8KVCacheDataTypeE1ES0_Li16ELi128ELi256ELb1ELi14EL8MFMAType0EEvPKT_PKT0_S9_ifPKiSB_SB_iPKfiiiPfSE_PS4_PT2_iSD_SD_,"axG",@progbits,_Z39paged_attention_ll4mi_QKV_mfma16_kernelI14__hip_bfloat16hLN4vllm18Fp8KVCacheDataTypeE1ES0_Li16ELi128ELi256ELb1ELi14EL8MFMAType0EEvPKT_PKT0_S9_ifPKiSB_SB_iPKfiiiPfSE_PS4_PT2_iSD_SD_,comdat
.Lfunc_end907:
	.size	_Z39paged_attention_ll4mi_QKV_mfma16_kernelI14__hip_bfloat16hLN4vllm18Fp8KVCacheDataTypeE1ES0_Li16ELi128ELi256ELb1ELi14EL8MFMAType0EEvPKT_PKT0_S9_ifPKiSB_SB_iPKfiiiPfSE_PS4_PT2_iSD_SD_, .Lfunc_end907-_Z39paged_attention_ll4mi_QKV_mfma16_kernelI14__hip_bfloat16hLN4vllm18Fp8KVCacheDataTypeE1ES0_Li16ELi128ELi256ELb1ELi14EL8MFMAType0EEvPKT_PKT0_S9_ifPKiSB_SB_iPKfiiiPfSE_PS4_PT2_iSD_SD_
                                        ; -- End function
	.section	.AMDGPU.csdata,"",@progbits
; Kernel info:
; codeLenInByte = 22536
; NumSgprs: 57
; NumVgprs: 80
; NumAgprs: 0
; TotalNumVgprs: 80
; ScratchSize: 352
; MemoryBound: 0
; FloatMode: 240
; IeeeMode: 1
; LDSByteSize: 8192 bytes/workgroup (compile time only)
; SGPRBlocks: 7
; VGPRBlocks: 9
; NumSGPRsForWavesPerEU: 57
; NumVGPRsForWavesPerEU: 80
; AccumOffset: 80
; Occupancy: 6
; WaveLimiterHint : 1
; COMPUTE_PGM_RSRC2:SCRATCH_EN: 1
; COMPUTE_PGM_RSRC2:USER_SGPR: 8
; COMPUTE_PGM_RSRC2:TRAP_HANDLER: 0
; COMPUTE_PGM_RSRC2:TGID_X_EN: 1
; COMPUTE_PGM_RSRC2:TGID_Y_EN: 1
; COMPUTE_PGM_RSRC2:TGID_Z_EN: 1
; COMPUTE_PGM_RSRC2:TIDIG_COMP_CNT: 0
; COMPUTE_PGM_RSRC3_GFX90A:ACCUM_OFFSET: 19
; COMPUTE_PGM_RSRC3_GFX90A:TG_SPLIT: 0
	.section	.text._Z39paged_attention_ll4mi_QKV_mfma16_kernelI14__hip_bfloat16hLN4vllm18Fp8KVCacheDataTypeE1ES0_Li16ELi128ELi256ELb1ELi15EL8MFMAType0EEvPKT_PKT0_S9_ifPKiSB_SB_iPKfiiiPfSE_PS4_PT2_iSD_SD_,"axG",@progbits,_Z39paged_attention_ll4mi_QKV_mfma16_kernelI14__hip_bfloat16hLN4vllm18Fp8KVCacheDataTypeE1ES0_Li16ELi128ELi256ELb1ELi15EL8MFMAType0EEvPKT_PKT0_S9_ifPKiSB_SB_iPKfiiiPfSE_PS4_PT2_iSD_SD_,comdat
	.protected	_Z39paged_attention_ll4mi_QKV_mfma16_kernelI14__hip_bfloat16hLN4vllm18Fp8KVCacheDataTypeE1ES0_Li16ELi128ELi256ELb1ELi15EL8MFMAType0EEvPKT_PKT0_S9_ifPKiSB_SB_iPKfiiiPfSE_PS4_PT2_iSD_SD_ ; -- Begin function _Z39paged_attention_ll4mi_QKV_mfma16_kernelI14__hip_bfloat16hLN4vllm18Fp8KVCacheDataTypeE1ES0_Li16ELi128ELi256ELb1ELi15EL8MFMAType0EEvPKT_PKT0_S9_ifPKiSB_SB_iPKfiiiPfSE_PS4_PT2_iSD_SD_
	.globl	_Z39paged_attention_ll4mi_QKV_mfma16_kernelI14__hip_bfloat16hLN4vllm18Fp8KVCacheDataTypeE1ES0_Li16ELi128ELi256ELb1ELi15EL8MFMAType0EEvPKT_PKT0_S9_ifPKiSB_SB_iPKfiiiPfSE_PS4_PT2_iSD_SD_
	.p2align	8
	.type	_Z39paged_attention_ll4mi_QKV_mfma16_kernelI14__hip_bfloat16hLN4vllm18Fp8KVCacheDataTypeE1ES0_Li16ELi128ELi256ELb1ELi15EL8MFMAType0EEvPKT_PKT0_S9_ifPKiSB_SB_iPKfiiiPfSE_PS4_PT2_iSD_SD_,@function
_Z39paged_attention_ll4mi_QKV_mfma16_kernelI14__hip_bfloat16hLN4vllm18Fp8KVCacheDataTypeE1ES0_Li16ELi128ELi256ELb1ELi15EL8MFMAType0EEvPKT_PKT0_S9_ifPKiSB_SB_iPKfiiiPfSE_PS4_PT2_iSD_SD_: ; @_Z39paged_attention_ll4mi_QKV_mfma16_kernelI14__hip_bfloat16hLN4vllm18Fp8KVCacheDataTypeE1ES0_Li16ELi128ELi256ELb1ELi15EL8MFMAType0EEvPKT_PKT0_S9_ifPKiSB_SB_iPKfiiiPfSE_PS4_PT2_iSD_SD_
; %bb.0:
	s_load_dwordx2 s[6:7], s[4:5], 0x30
	s_add_u32 s0, s0, s11
	s_addc_u32 s1, s1, 0
	s_mov_b32 s26, s9
	s_mov_b64 s[14:15], 0
	s_waitcnt lgkmcnt(0)
	s_cmp_lg_u64 s[6:7], 0
	s_cselect_b64 s[12:13], -1, 0
	s_and_b64 vcc, exec, s[12:13]
	s_cbranch_vccz .LBB908_7
; %bb.1:
	s_add_i32 s16, s8, 1
	s_mov_b32 s17, 0
	s_lshl_b64 s[18:19], s[16:17], 2
	s_add_u32 s18, s6, s18
	s_mov_b32 s9, s17
	s_addc_u32 s19, s7, s19
	s_lshl_b64 s[16:17], s[8:9], 2
	s_add_u32 s16, s6, s16
	s_addc_u32 s17, s7, s17
	s_load_dword s11, s[18:19], 0x0
	s_load_dword s20, s[16:17], 0x0
	s_waitcnt lgkmcnt(0)
	s_sub_i32 s11, s11, s20
	s_cmp_eq_u32 s11, 1
	s_cselect_b64 s[16:17], -1, 0
	s_andn2_b64 vcc, exec, s[14:15]
	s_cbranch_vccnz .LBB908_3
.LBB908_2:
	s_mov_b32 s9, 0
	s_mov_b64 s[16:17], -1
.LBB908_3:
	s_andn2_b64 vcc, exec, s[16:17]
	s_cbranch_vccnz .LBB908_600
; %bb.4:
	s_load_dwordx2 s[16:17], s[4:5], 0x28
	s_lshl_b64 s[14:15], s[8:9], 2
	s_waitcnt lgkmcnt(0)
	s_add_u32 s16, s16, s14
	s_addc_u32 s17, s17, s15
	s_load_dword s33, s[16:17], 0x0
	s_lshl_b32 s20, s26, 8
	s_waitcnt lgkmcnt(0)
	s_cmp_ge_i32 s20, s33
	s_cbranch_scc1 .LBB908_600
; %bb.5:
	s_add_i32 s18, s33, 15
	s_load_dwordx2 s[16:17], s[4:5], 0x20
	s_load_dword s11, s[4:5], 0x38
	s_ashr_i32 s19, s18, 31
	v_and_b32_e32 v1, 0xcf, v0
	s_lshr_b32 s19, s19, 28
	v_add_u32_e32 v1, s20, v1
	s_add_i32 s18, s18, s19
	v_ashrrev_i32_e32 v2, 31, v1
	s_ashr_i32 s23, s18, 4
	v_lshrrev_b32_e32 v4, 28, v2
	s_add_i32 s23, s23, -1
	v_add_u32_e32 v2, v1, v4
	s_waitcnt lgkmcnt(0)
	s_mul_i32 s18, s8, s11
	s_mov_b32 s19, 0
	v_ashrrev_i32_e32 v2, 4, v2
	v_mov_b32_e32 v5, s23
	v_cmp_gt_i32_e32 vcc, s33, v1
	s_lshl_b64 s[18:19], s[18:19], 2
	v_cndmask_b32_e32 v2, v5, v2, vcc
	s_add_u32 s21, s16, s18
	v_ashrrev_i32_e32 v3, 31, v2
	s_addc_u32 s22, s17, s19
	v_lshlrev_b64 v[2:3], 2, v[2:3]
	v_mov_b32_e32 v7, s22
	v_add_co_u32_e32 v6, vcc, s21, v2
	v_or_b32_e32 v2, 16, v1
	v_addc_co_u32_e32 v7, vcc, v7, v3, vcc
	v_add_u32_e32 v3, v2, v4
	v_ashrrev_i32_e32 v3, 4, v3
	v_cmp_gt_i32_e32 vcc, s33, v2
	v_cndmask_b32_e32 v2, v5, v3, vcc
	v_ashrrev_i32_e32 v3, 31, v2
	v_lshlrev_b64 v[2:3], 2, v[2:3]
	v_mov_b32_e32 v9, s22
	v_add_co_u32_e32 v8, vcc, s21, v2
	v_or_b32_e32 v2, 32, v1
	v_addc_co_u32_e32 v9, vcc, v9, v3, vcc
	v_add_u32_e32 v3, v2, v4
	v_ashrrev_i32_e32 v3, 4, v3
	v_cmp_gt_i32_e32 vcc, s33, v2
	v_cndmask_b32_e32 v2, v5, v3, vcc
	v_ashrrev_i32_e32 v3, 31, v2
	;; [unrolled: 10-line block ×3, first 2 shown]
	v_lshlrev_b64 v[2:3], 2, v[2:3]
	v_mov_b32_e32 v1, s22
	v_add_co_u32_e32 v12, vcc, s21, v2
	v_addc_co_u32_e32 v13, vcc, v1, v3, vcc
	global_load_dword v5, v[6:7], off
	global_load_dword v4, v[8:9], off
	;; [unrolled: 1-line block ×4, first 2 shown]
	s_load_dwordx2 s[16:17], s[4:5], 0x8
	s_andn2_b64 vcc, exec, s[12:13]
	s_cbranch_vccnz .LBB908_8
; %bb.6:
	s_add_u32 s6, s6, s14
	s_addc_u32 s7, s7, s15
	s_load_dword s11, s[6:7], 0x0
	s_branch .LBB908_9
.LBB908_7:
	s_mov_b64 s[16:17], 0
	s_branch .LBB908_2
.LBB908_8:
	s_mov_b32 s11, s8
.LBB908_9:
	s_load_dwordx2 s[6:7], s[4:5], 0x10
	s_load_dwordx4 s[12:15], s[4:5], 0x48
	v_lshrrev_b32_e32 v27, 6, v0
	v_bfe_u32 v1, v0, 4, 2
	v_and_b32_e32 v41, 15, v0
	v_lshl_or_b32 v6, v27, 2, v1
	v_lshlrev_b32_e32 v7, 3, v41
	s_mul_i32 s27, s10, 15
	v_cmp_gt_u32_e32 vcc, 15, v6
	v_lshlrev_b32_e32 v39, 1, v7
	v_lshlrev_b32_e32 v43, 4, v0
	s_and_saveexec_b64 s[18:19], vcc
	s_cbranch_execz .LBB908_11
; %bb.10:
	s_load_dwordx2 s[24:25], s[4:5], 0x0
	s_waitcnt lgkmcnt(0)
	s_ashr_i32 s15, s12, 31
	s_mul_hi_u32 s28, s11, s12
	s_mul_i32 s15, s11, s15
	s_add_i32 s29, s28, s15
	s_mul_i32 s28, s11, s12
	s_lshl_b64 s[28:29], s[28:29], 1
	v_add_lshl_u32 v8, v6, s27, 7
	s_add_u32 s11, s24, s28
	v_ashrrev_i32_e32 v9, 31, v8
	s_addc_u32 s12, s25, s29
	v_lshlrev_b64 v[8:9], 1, v[8:9]
	v_mov_b32_e32 v7, s12
	v_add_co_u32_e32 v8, vcc, s11, v8
	v_addc_co_u32_e32 v7, vcc, v7, v9, vcc
	v_add_co_u32_e32 v8, vcc, v8, v39
	v_addc_co_u32_e32 v9, vcc, 0, v7, vcc
	global_load_dwordx4 v[8:11], v[8:9], off
	v_lshlrev_b32_e32 v12, 8, v0
	v_lshlrev_b32_e32 v7, 8, v41
	v_and_b32_e32 v12, 0x600, v12
	s_movk_i32 s11, 0x800
	v_and_or_b32 v7, v7, s11, v12
	v_lshlrev_b32_e32 v6, 5, v6
	v_and_b32_e32 v12, 16, v43
	v_or3_b32 v6, v7, v6, v12
	s_waitcnt vmcnt(0)
	ds_write_b128 v6, v[8:11]
.LBB908_11:
	s_or_b64 exec, exec, s[18:19]
	s_waitcnt lgkmcnt(0)
	s_mul_i32 s14, s10, s14
	s_add_u32 s10, s16, s14
	s_addc_u32 s11, s17, 0
	v_and_b32_e32 v6, 0xf0, v43
	v_mov_b32_e32 v7, s11
	v_add_co_u32_e32 v6, vcc, s10, v6
	v_and_b32_e32 v18, 48, v0
	v_addc_co_u32_e32 v7, vcc, 0, v7, vcc
	v_lshlrev_b32_e32 v10, 4, v18
	s_waitcnt vmcnt(3)
	v_mad_i64_i32 v[8:9], s[10:11], v5, s13, v[6:7]
	v_add_co_u32_e32 v8, vcc, v8, v10
	v_addc_co_u32_e32 v9, vcc, 0, v9, vcc
	s_waitcnt vmcnt(2)
	v_mad_i64_i32 v[4:5], s[10:11], v4, s13, v[6:7]
	v_add_co_u32_e32 v4, vcc, v4, v10
	v_addc_co_u32_e32 v5, vcc, 0, v5, vcc
	s_load_dwordx2 s[48:49], s[4:5], 0x94
	s_waitcnt lgkmcnt(0)
	s_barrier
	global_load_dwordx4 v[20:23], v[8:9], off
	global_load_dwordx4 v[28:31], v[8:9], off offset:1024
	global_load_dwordx4 v[32:35], v[4:5], off
	global_load_dwordx4 v[44:47], v[4:5], off offset:1024
	s_waitcnt vmcnt(5)
	v_mad_i64_i32 v[4:5], s[10:11], v3, s13, v[6:7]
	v_add_co_u32_e32 v4, vcc, v4, v10
	v_addc_co_u32_e32 v5, vcc, 0, v5, vcc
	s_waitcnt vmcnt(4)
	v_mad_i64_i32 v[2:3], s[10:11], v2, s13, v[6:7]
	v_add_co_u32_e32 v2, vcc, v2, v10
	v_addc_co_u32_e32 v3, vcc, 0, v3, vcc
	global_load_dwordx4 v[48:51], v[4:5], off
	global_load_dwordx4 v[52:55], v[4:5], off offset:1024
	global_load_dwordx4 v[56:59], v[2:3], off
	global_load_dwordx4 v[60:63], v[2:3], off offset:1024
	v_cmp_ne_u32_e32 vcc, 15, v41
	v_cndmask_b32_e32 v2, 0, v41, vcc
	v_lshlrev_b32_e32 v2, 5, v2
	v_lshl_or_b32 v14, v1, 9, v2
	s_load_dwordx2 s[50:51], s[4:5], 0x68
	s_load_dwordx4 s[44:47], s[4:5], 0x58
	ds_read_b128 v[2:5], v14
	ds_read_b128 v[6:9], v14 offset:16
	ds_read_b128 v[10:13], v14 offset:2048
	;; [unrolled: 1-line block ×3, first 2 shown]
	s_mov_b32 s12, 0
	s_waitcnt vmcnt(7)
	buffer_store_dword v23, off, s[0:3], 0 offset:12
	buffer_store_dword v22, off, s[0:3], 0 offset:8
	;; [unrolled: 1-line block ×3, first 2 shown]
	buffer_store_dword v20, off, s[0:3], 0
	s_waitcnt vmcnt(10)
	buffer_store_dword v31, off, s[0:3], 0 offset:28
	buffer_store_dword v30, off, s[0:3], 0 offset:24
	buffer_store_dword v29, off, s[0:3], 0 offset:20
	buffer_store_dword v28, off, s[0:3], 0 offset:16
	s_waitcnt vmcnt(13)
	buffer_store_dword v35, off, s[0:3], 0 offset:44
	buffer_store_dword v34, off, s[0:3], 0 offset:40
	buffer_store_dword v33, off, s[0:3], 0 offset:36
	buffer_store_dword v32, off, s[0:3], 0 offset:32
	;; [unrolled: 5-line block ×7, first 2 shown]
	v_mov_b32_e32 v35, 0
	v_mov_b32_e32 v31, 0
	s_and_saveexec_b64 s[10:11], vcc
	s_cbranch_execz .LBB908_13
; %bb.12:
	s_load_dwordx2 s[16:17], s[4:5], 0x40
	v_add_u32_e32 v20, s27, v41
	v_ashrrev_i32_e32 v21, 31, v20
	v_lshlrev_b64 v[20:21], 2, v[20:21]
	s_waitcnt lgkmcnt(0)
	v_mov_b32_e32 v19, s17
	v_add_co_u32_e32 v20, vcc, s16, v20
	v_addc_co_u32_e32 v21, vcc, v19, v21, vcc
	global_load_dword v31, v[20:21], off
.LBB908_13:
	s_or_b64 exec, exec, s[10:11]
	v_or_b32_e32 v22, s20, v18
	v_ashrrev_i32_e32 v18, 4, v22
	v_mov_b32_e32 v23, s23
	v_cmp_gt_i32_e32 vcc, s33, v22
	v_cndmask_b32_e32 v18, v23, v18, vcc
	v_ashrrev_i32_e32 v19, 31, v18
	v_lshlrev_b64 v[18:19], 2, v[18:19]
	v_mov_b32_e32 v20, s22
	v_add_co_u32_e32 v18, vcc, s21, v18
	v_addc_co_u32_e32 v19, vcc, v20, v19, vcc
	global_load_dword v26, v[18:19], off
	v_or_b32_e32 v18, 64, v22
	v_ashrrev_i32_e32 v19, 4, v18
	v_cmp_gt_i32_e32 vcc, s33, v18
	v_cndmask_b32_e32 v18, v23, v19, vcc
	v_ashrrev_i32_e32 v19, 31, v18
	v_lshlrev_b64 v[18:19], 2, v[18:19]
	v_add_co_u32_e32 v18, vcc, s21, v18
	v_addc_co_u32_e32 v19, vcc, v20, v19, vcc
	v_or_b32_e32 v20, 0x80, v22
	v_ashrrev_i32_e32 v21, 4, v20
	v_cmp_gt_i32_e32 vcc, s33, v20
	v_cndmask_b32_e32 v20, v23, v21, vcc
	v_ashrrev_i32_e32 v21, 31, v20
	v_lshlrev_b64 v[20:21], 2, v[20:21]
	v_mov_b32_e32 v24, s22
	v_add_co_u32_e32 v20, vcc, s21, v20
	v_addc_co_u32_e32 v21, vcc, v24, v21, vcc
	global_load_dword v28, v[18:19], off
	global_load_dword v30, v[20:21], off
	v_or_b32_e32 v18, 0xc0, v22
	v_ashrrev_i32_e32 v19, 4, v18
	v_cmp_gt_i32_e32 vcc, s33, v18
	v_cndmask_b32_e32 v18, v23, v19, vcc
	v_ashrrev_i32_e32 v19, 31, v18
	v_lshlrev_b64 v[18:19], 2, v[18:19]
	v_mov_b32_e32 v20, s22
	v_add_co_u32_e32 v18, vcc, s21, v18
	v_addc_co_u32_e32 v19, vcc, v20, v19, vcc
	global_load_dword v34, v[18:19], off
	s_add_u32 s10, s6, s14
	v_lshl_or_b32 v29, v27, 4, v41
	s_addc_u32 s6, s7, 0
	v_lshlrev_b32_e32 v18, 4, v29
	v_mov_b32_e32 v19, s6
	v_add_co_u32_e32 v22, vcc, s10, v18
	v_addc_co_u32_e32 v23, vcc, 0, v19, vcc
	v_or_b32_e32 v24, 0x400, v18
	v_mov_b32_e32 v25, s6
	v_add_co_u32_e32 v24, vcc, s10, v24
	v_addc_co_u32_e32 v25, vcc, 0, v25, vcc
	v_mov_b32_e32 v36, 0
	s_movk_i32 s14, 0x7f
	s_mov_b32 s15, 0xffffff
	s_mov_b32 s16, 0x5040100
	v_mov_b32_e32 v37, 0x100
	v_bfrev_b32_e32 v38, 60
	s_waitcnt vmcnt(3)
	v_mad_i64_i32 v[18:19], s[6:7], v26, s13, v[22:23]
	global_load_dwordx4 v[18:21], v[18:19], off
	v_mad_i64_i32 v[32:33], s[6:7], v26, s13, v[24:25]
	global_load_dwordx4 v[52:55], v[32:33], off
	s_waitcnt vmcnt(4)
	v_mad_i64_i32 v[32:33], s[6:7], v28, s13, v[22:23]
	global_load_dwordx4 v[56:59], v[32:33], off
	s_waitcnt vmcnt(4)
	;; [unrolled: 3-line block ×3, first 2 shown]
	v_mad_i64_i32 v[22:23], s[6:7], v34, s13, v[22:23]
	global_load_dwordx4 v[64:67], v[22:23], off
	v_mad_i64_i32 v[22:23], s[6:7], v28, s13, v[24:25]
	global_load_dwordx4 v[68:71], v[22:23], off
	;; [unrolled: 2-line block ×4, first 2 shown]
	s_load_dword s6, s[4:5], 0x1c
	s_load_dwordx4 s[40:43], s[4:5], 0x80
	v_mov_b32_e32 v22, 0x80
	v_add_u32_e32 v45, 16, v22
	v_add_u32_e32 v46, 32, v22
	;; [unrolled: 1-line block ×3, first 2 shown]
	s_waitcnt lgkmcnt(0)
	s_load_dword s4, s[40:41], 0x0
	v_add_u32_e32 v51, 64, v22
	v_add_u32_e32 v48, 0x50, v22
	;; [unrolled: 1-line block ×4, first 2 shown]
	v_mov_b32_e32 v22, s6
	s_waitcnt lgkmcnt(0)
	v_mul_f32_e32 v22, s4, v22
	v_and_b32_e32 v33, 63, v0
	s_movk_i32 s13, 0x80
	v_mov_b32_e32 v24, v22
	v_mov_b32_e32 v25, v22
	s_waitcnt vmcnt(7)
	buffer_store_dword v21, off, s[0:3], 0 offset:140
	buffer_store_dword v20, off, s[0:3], 0 offset:136
	buffer_store_dword v19, off, s[0:3], 0 offset:132
	buffer_store_dword v18, off, s[0:3], 0 offset:128
	s_waitcnt vmcnt(10)
	buffer_store_dword v55, off, s[0:3], 0 offset:156
	buffer_store_dword v54, off, s[0:3], 0 offset:152
	buffer_store_dword v53, off, s[0:3], 0 offset:148
	buffer_store_dword v52, off, s[0:3], 0 offset:144
	;; [unrolled: 5-line block ×8, first 2 shown]
	s_branch .LBB908_17
.LBB908_14:                             ;   in Loop: Header=BB908_17 Depth=1
	s_or_b64 exec, exec, s[10:11]
.LBB908_15:                             ;   in Loop: Header=BB908_17 Depth=1
	s_or_b64 exec, exec, s[6:7]
.LBB908_16:                             ;   in Loop: Header=BB908_17 Depth=1
	s_or_b64 exec, exec, s[4:5]
	v_perm_b32 v55, v40, v34, s16
	v_perm_b32 v54, v23, v32, s16
	;; [unrolled: 1-line block ×4, first 2 shown]
	v_add_u32_e32 v26, s12, v37
	v_mfma_f32_16x16x16bf16_1k v[18:21], v[54:55], v[14:15], v[18:21]
	s_add_i32 s12, s12, 16
	v_mov_b32_e32 v23, v22
	s_cmp_eq_u32 s12, 64
	v_add_u32_e32 v36, 32, v36
	v_mfma_f32_16x16x16bf16_1k v[18:21], v[52:53], v[16:17], v[18:21]
	s_nop 7
	s_nop 2
	v_pk_mul_f32 v[18:19], v[24:25], v[18:19]
	v_pk_mul_f32 v[20:21], v[22:23], v[20:21]
	buffer_store_dword v19, v26, s[0:3], 0 offen offset:4
	buffer_store_dword v18, v26, s[0:3], 0 offen
	buffer_store_dword v21, v26, s[0:3], 0 offen offset:12
	buffer_store_dword v20, v26, s[0:3], 0 offen offset:8
	s_cbranch_scc1 .LBB908_207
.LBB908_17:                             ; =>This Inner Loop Header: Depth=1
	buffer_load_dword v20, v36, s[0:3], 0 offen
	buffer_load_dword v18, v36, s[0:3], 0 offen offset:4
	buffer_load_dword v28, v36, s[0:3], 0 offen offset:8
	;; [unrolled: 1-line block ×3, first 2 shown]
	v_mov_b32_e32 v19, 0
	v_mov_b32_e32 v21, 0
	s_waitcnt vmcnt(3)
	v_cmp_ne_u16_sdwa s[6:7], v20, v35 src0_sel:BYTE_0 src1_sel:DWORD
	s_and_saveexec_b64 s[4:5], s[6:7]
	s_cbranch_execz .LBB908_23
; %bb.18:                               ;   in Loop: Header=BB908_17 Depth=1
	v_cmp_ne_u16_sdwa s[10:11], v20, s13 src0_sel:BYTE_0 src1_sel:DWORD
	v_mov_b32_e32 v21, 0xffff8000
	s_and_saveexec_b64 s[6:7], s[10:11]
	s_cbranch_execz .LBB908_22
; %bb.19:                               ;   in Loop: Header=BB908_17 Depth=1
	v_and_b32_e32 v23, 0x7f, v20
	v_cmp_ne_u32_e32 vcc, s14, v23
	v_mov_b32_e32 v21, 0x7f80
	s_and_saveexec_b64 s[10:11], vcc
	s_cbranch_execz .LBB908_21
; %bb.20:                               ;   in Loop: Header=BB908_17 Depth=1
	v_and_b32_e32 v21, 7, v20
	v_ffbh_u32_e32 v32, v21
	v_min_u32_e32 v32, 32, v32
	v_subrev_u32_e32 v34, 28, v32
	v_lshlrev_b64 v[52:53], v34, v[20:21]
	v_lshrrev_b32_e32 v30, 3, v23
	v_sub_u32_e32 v32, 29, v32
	v_and_b32_e32 v34, 7, v52
	v_cmp_gt_u32_e32 vcc, 8, v23
	v_cndmask_b32_e32 v23, v30, v32, vcc
	v_cndmask_b32_e32 v21, v21, v34, vcc
	v_lshlrev_b32_e32 v30, 24, v20
	v_lshlrev_b32_e32 v21, 20, v21
	v_and_b32_e32 v30, 0x80000000, v30
	v_lshl_add_u32 v23, v23, 23, v38
	v_or3_b32 v21, v30, v23, v21
	v_lshrrev_b32_e32 v21, 16, v21
.LBB908_21:                             ;   in Loop: Header=BB908_17 Depth=1
	s_or_b64 exec, exec, s[10:11]
.LBB908_22:                             ;   in Loop: Header=BB908_17 Depth=1
	s_or_b64 exec, exec, s[6:7]
.LBB908_23:                             ;   in Loop: Header=BB908_17 Depth=1
	s_or_b64 exec, exec, s[4:5]
	v_lshrrev_b16_e32 v30, 8, v20
	v_cmp_ne_u16_e32 vcc, 0, v30
	s_and_saveexec_b64 s[4:5], vcc
	s_cbranch_execz .LBB908_29
; %bb.24:                               ;   in Loop: Header=BB908_17 Depth=1
	v_cmp_ne_u16_e32 vcc, s13, v30
	v_mov_b32_e32 v19, 0xffff8000
	s_and_saveexec_b64 s[6:7], vcc
	s_cbranch_execz .LBB908_28
; %bb.25:                               ;   in Loop: Header=BB908_17 Depth=1
	v_and_b32_e32 v23, 0x7f, v30
	v_cmp_ne_u32_e32 vcc, s14, v23
	v_mov_b32_e32 v19, 0x7f80
	s_and_saveexec_b64 s[10:11], vcc
	s_cbranch_execz .LBB908_27
; %bb.26:                               ;   in Loop: Header=BB908_17 Depth=1
	v_and_b32_e32 v19, 7, v30
	v_ffbh_u32_e32 v34, v19
	v_min_u32_e32 v34, 32, v34
	v_subrev_u32_e32 v40, 28, v34
	v_lshlrev_b64 v[52:53], v40, v[30:31]
	v_lshrrev_b32_e32 v32, 3, v23
	v_sub_u32_e32 v30, 29, v34
	v_and_b32_e32 v34, 7, v52
	v_cmp_gt_u32_e32 vcc, 8, v23
	v_cndmask_b32_e32 v23, v32, v30, vcc
	v_cndmask_b32_e32 v19, v19, v34, vcc
	v_lshlrev_b32_e32 v30, 16, v20
	v_lshlrev_b32_e32 v19, 20, v19
	v_and_b32_e32 v30, 0x80000000, v30
	v_lshl_add_u32 v23, v23, 23, v38
	v_or3_b32 v19, v30, v23, v19
	v_lshrrev_b32_e32 v19, 16, v19
.LBB908_27:                             ;   in Loop: Header=BB908_17 Depth=1
	s_or_b64 exec, exec, s[10:11]
.LBB908_28:                             ;   in Loop: Header=BB908_17 Depth=1
	s_or_b64 exec, exec, s[6:7]
.LBB908_29:                             ;   in Loop: Header=BB908_17 Depth=1
	s_or_b64 exec, exec, s[4:5]
	v_lshrrev_b32_e32 v30, 16, v20
	v_cmp_ne_u16_sdwa s[6:7], v30, v35 src0_sel:BYTE_0 src1_sel:DWORD
	v_mov_b32_e32 v32, 0
	v_mov_b32_e32 v23, 0
	s_and_saveexec_b64 s[4:5], s[6:7]
	s_cbranch_execz .LBB908_35
; %bb.30:                               ;   in Loop: Header=BB908_17 Depth=1
	v_cmp_ne_u16_sdwa s[10:11], v30, s13 src0_sel:BYTE_0 src1_sel:DWORD
	v_mov_b32_e32 v23, 0xffff8000
	s_and_saveexec_b64 s[6:7], s[10:11]
	s_cbranch_execz .LBB908_34
; %bb.31:                               ;   in Loop: Header=BB908_17 Depth=1
	v_bfe_u32 v34, v20, 16, 7
	v_cmp_ne_u32_e32 vcc, s14, v34
	v_mov_b32_e32 v23, 0x7f80
	s_and_saveexec_b64 s[10:11], vcc
	s_cbranch_execz .LBB908_33
; %bb.32:                               ;   in Loop: Header=BB908_17 Depth=1
	v_and_b32_e32 v23, 7, v30
	v_ffbh_u32_e32 v42, v23
	v_min_u32_e32 v42, 32, v42
	v_subrev_u32_e32 v44, 28, v42
	v_lshlrev_b64 v[52:53], v44, v[30:31]
	v_lshrrev_b32_e32 v40, 3, v34
	v_sub_u32_e32 v42, 29, v42
	v_and_b32_e32 v44, 7, v52
	v_cmp_gt_u32_e32 vcc, 8, v34
	v_cndmask_b32_e32 v34, v40, v42, vcc
	v_cndmask_b32_e32 v23, v23, v44, vcc
	v_lshlrev_b32_e32 v30, 24, v30
	v_lshlrev_b32_e32 v23, 20, v23
	v_and_b32_e32 v30, 0x80000000, v30
	v_lshl_add_u32 v34, v34, 23, v38
	v_or3_b32 v23, v30, v34, v23
	v_lshrrev_b32_e32 v23, 16, v23
.LBB908_33:                             ;   in Loop: Header=BB908_17 Depth=1
	s_or_b64 exec, exec, s[10:11]
.LBB908_34:                             ;   in Loop: Header=BB908_17 Depth=1
	s_or_b64 exec, exec, s[6:7]
.LBB908_35:                             ;   in Loop: Header=BB908_17 Depth=1
	s_or_b64 exec, exec, s[4:5]
	v_cmp_lt_u32_e32 vcc, s15, v20
	s_and_saveexec_b64 s[4:5], vcc
	s_cbranch_execz .LBB908_41
; %bb.36:                               ;   in Loop: Header=BB908_17 Depth=1
	v_lshrrev_b32_e32 v30, 24, v20
	v_cmp_ne_u32_e32 vcc, s13, v30
	v_mov_b32_e32 v32, 0xffff8000
	s_and_saveexec_b64 s[6:7], vcc
	s_cbranch_execz .LBB908_40
; %bb.37:                               ;   in Loop: Header=BB908_17 Depth=1
	v_bfe_u32 v20, v20, 24, 7
	v_cmp_ne_u32_e32 vcc, s14, v20
	v_mov_b32_e32 v32, 0x7f80
	s_and_saveexec_b64 s[10:11], vcc
	s_cbranch_execz .LBB908_39
; %bb.38:                               ;   in Loop: Header=BB908_17 Depth=1
	v_and_b32_e32 v32, 7, v30
	v_ffbh_u32_e32 v40, v32
	v_min_u32_e32 v40, 32, v40
	v_subrev_u32_e32 v42, 28, v40
	v_lshlrev_b64 v[52:53], v42, v[30:31]
	v_lshrrev_b32_e32 v34, 3, v20
	v_sub_u32_e32 v40, 29, v40
	v_and_b32_e32 v42, 7, v52
	v_cmp_gt_u32_e32 vcc, 8, v20
	v_cndmask_b32_e32 v20, v34, v40, vcc
	v_cndmask_b32_e32 v32, v32, v42, vcc
	v_lshlrev_b32_e32 v30, 24, v30
	v_lshlrev_b32_e32 v32, 20, v32
	v_and_b32_e32 v30, 0x80000000, v30
	v_lshl_add_u32 v20, v20, 23, v38
	v_or3_b32 v20, v30, v20, v32
	v_lshrrev_b32_e32 v32, 16, v20
.LBB908_39:                             ;   in Loop: Header=BB908_17 Depth=1
	s_or_b64 exec, exec, s[10:11]
.LBB908_40:                             ;   in Loop: Header=BB908_17 Depth=1
	s_or_b64 exec, exec, s[6:7]
.LBB908_41:                             ;   in Loop: Header=BB908_17 Depth=1
	s_or_b64 exec, exec, s[4:5]
	s_waitcnt vmcnt(2)
	v_cmp_ne_u16_sdwa s[6:7], v18, v35 src0_sel:BYTE_0 src1_sel:DWORD
	v_mov_b32_e32 v30, 0
	v_mov_b32_e32 v34, 0
	s_and_saveexec_b64 s[4:5], s[6:7]
	s_cbranch_execz .LBB908_47
; %bb.42:                               ;   in Loop: Header=BB908_17 Depth=1
	v_cmp_ne_u16_sdwa s[10:11], v18, s13 src0_sel:BYTE_0 src1_sel:DWORD
	v_mov_b32_e32 v34, 0xffff8000
	s_and_saveexec_b64 s[6:7], s[10:11]
	s_cbranch_execz .LBB908_46
; %bb.43:                               ;   in Loop: Header=BB908_17 Depth=1
	v_and_b32_e32 v20, 0x7f, v18
	v_cmp_ne_u32_e32 vcc, s14, v20
	v_mov_b32_e32 v34, 0x7f80
	s_and_saveexec_b64 s[10:11], vcc
	s_cbranch_execz .LBB908_45
; %bb.44:                               ;   in Loop: Header=BB908_17 Depth=1
	v_and_b32_e32 v34, 7, v18
	v_ffbh_u32_e32 v42, v34
	v_min_u32_e32 v42, 32, v42
	v_subrev_u32_e32 v44, 28, v42
	v_lshlrev_b64 v[52:53], v44, v[18:19]
	v_lshrrev_b32_e32 v40, 3, v20
	v_sub_u32_e32 v42, 29, v42
	v_and_b32_e32 v44, 7, v52
	v_cmp_gt_u32_e32 vcc, 8, v20
	v_cndmask_b32_e32 v20, v40, v42, vcc
	v_cndmask_b32_e32 v34, v34, v44, vcc
	v_lshlrev_b32_e32 v40, 24, v18
	v_lshlrev_b32_e32 v34, 20, v34
	v_and_b32_e32 v40, 0x80000000, v40
	v_lshl_add_u32 v20, v20, 23, v38
	v_or3_b32 v20, v40, v20, v34
	v_lshrrev_b32_e32 v34, 16, v20
.LBB908_45:                             ;   in Loop: Header=BB908_17 Depth=1
	s_or_b64 exec, exec, s[10:11]
.LBB908_46:                             ;   in Loop: Header=BB908_17 Depth=1
	s_or_b64 exec, exec, s[6:7]
.LBB908_47:                             ;   in Loop: Header=BB908_17 Depth=1
	s_or_b64 exec, exec, s[4:5]
	v_lshrrev_b16_e32 v20, 8, v18
	v_cmp_ne_u16_e32 vcc, 0, v20
	s_and_saveexec_b64 s[4:5], vcc
	s_cbranch_execz .LBB908_53
; %bb.48:                               ;   in Loop: Header=BB908_17 Depth=1
	v_cmp_ne_u16_e32 vcc, s13, v20
	v_mov_b32_e32 v30, 0xffff8000
	s_and_saveexec_b64 s[6:7], vcc
	s_cbranch_execz .LBB908_52
; %bb.49:                               ;   in Loop: Header=BB908_17 Depth=1
	v_and_b32_e32 v40, 0x7f, v20
	v_cmp_ne_u32_e32 vcc, s14, v40
	v_mov_b32_e32 v30, 0x7f80
	s_and_saveexec_b64 s[10:11], vcc
	s_cbranch_execz .LBB908_51
; %bb.50:                               ;   in Loop: Header=BB908_17 Depth=1
	v_and_b32_e32 v30, 7, v20
	v_ffbh_u32_e32 v44, v30
	v_min_u32_e32 v44, 32, v44
	v_subrev_u32_e32 v52, 28, v44
	v_lshlrev_b64 v[52:53], v52, v[20:21]
	v_lshrrev_b32_e32 v42, 3, v40
	v_sub_u32_e32 v20, 29, v44
	v_and_b32_e32 v44, 7, v52
	v_cmp_gt_u32_e32 vcc, 8, v40
	v_cndmask_b32_e32 v20, v42, v20, vcc
	v_cndmask_b32_e32 v30, v30, v44, vcc
	v_lshlrev_b32_e32 v40, 16, v18
	v_lshlrev_b32_e32 v30, 20, v30
	v_and_b32_e32 v40, 0x80000000, v40
	v_lshl_add_u32 v20, v20, 23, v38
	v_or3_b32 v20, v40, v20, v30
	v_lshrrev_b32_e32 v30, 16, v20
.LBB908_51:                             ;   in Loop: Header=BB908_17 Depth=1
	s_or_b64 exec, exec, s[10:11]
.LBB908_52:                             ;   in Loop: Header=BB908_17 Depth=1
	s_or_b64 exec, exec, s[6:7]
.LBB908_53:                             ;   in Loop: Header=BB908_17 Depth=1
	s_or_b64 exec, exec, s[4:5]
	v_lshrrev_b32_e32 v20, 16, v18
	v_cmp_ne_u16_sdwa s[6:7], v20, v35 src0_sel:BYTE_0 src1_sel:DWORD
	v_mov_b32_e32 v42, 0
	v_mov_b32_e32 v40, 0
	s_and_saveexec_b64 s[4:5], s[6:7]
	s_cbranch_execz .LBB908_59
; %bb.54:                               ;   in Loop: Header=BB908_17 Depth=1
	v_cmp_ne_u16_sdwa s[10:11], v20, s13 src0_sel:BYTE_0 src1_sel:DWORD
	v_mov_b32_e32 v40, 0xffff8000
	s_and_saveexec_b64 s[6:7], s[10:11]
	s_cbranch_execz .LBB908_58
; %bb.55:                               ;   in Loop: Header=BB908_17 Depth=1
	v_bfe_u32 v44, v18, 16, 7
	v_cmp_ne_u32_e32 vcc, s14, v44
	v_mov_b32_e32 v40, 0x7f80
	s_and_saveexec_b64 s[10:11], vcc
	s_cbranch_execz .LBB908_57
; %bb.56:                               ;   in Loop: Header=BB908_17 Depth=1
	v_and_b32_e32 v40, 7, v20
	v_ffbh_u32_e32 v52, v40
	v_min_u32_e32 v55, 32, v52
	v_subrev_u32_e32 v52, 28, v55
	v_lshlrev_b64 v[52:53], v52, v[20:21]
	v_lshrrev_b32_e32 v54, 3, v44
	v_sub_u32_e32 v53, 29, v55
	v_and_b32_e32 v52, 7, v52
	v_cmp_gt_u32_e32 vcc, 8, v44
	v_cndmask_b32_e32 v44, v54, v53, vcc
	v_cndmask_b32_e32 v40, v40, v52, vcc
	v_lshlrev_b32_e32 v20, 24, v20
	v_lshlrev_b32_e32 v40, 20, v40
	v_and_b32_e32 v20, 0x80000000, v20
	v_lshl_add_u32 v44, v44, 23, v38
	v_or3_b32 v20, v20, v44, v40
	v_lshrrev_b32_e32 v40, 16, v20
.LBB908_57:                             ;   in Loop: Header=BB908_17 Depth=1
	s_or_b64 exec, exec, s[10:11]
.LBB908_58:                             ;   in Loop: Header=BB908_17 Depth=1
	s_or_b64 exec, exec, s[6:7]
.LBB908_59:                             ;   in Loop: Header=BB908_17 Depth=1
	s_or_b64 exec, exec, s[4:5]
	v_cmp_lt_u32_e32 vcc, s15, v18
	s_and_saveexec_b64 s[4:5], vcc
	s_cbranch_execz .LBB908_65
; %bb.60:                               ;   in Loop: Header=BB908_17 Depth=1
	v_lshrrev_b32_e32 v20, 24, v18
	v_cmp_ne_u32_e32 vcc, s13, v20
	v_mov_b32_e32 v42, 0xffff8000
	s_and_saveexec_b64 s[6:7], vcc
	s_cbranch_execz .LBB908_64
; %bb.61:                               ;   in Loop: Header=BB908_17 Depth=1
	v_bfe_u32 v18, v18, 24, 7
	v_cmp_ne_u32_e32 vcc, s14, v18
	v_mov_b32_e32 v42, 0x7f80
	s_and_saveexec_b64 s[10:11], vcc
	s_cbranch_execz .LBB908_63
; %bb.62:                               ;   in Loop: Header=BB908_17 Depth=1
	v_and_b32_e32 v42, 7, v20
	v_ffbh_u32_e32 v52, v42
	v_min_u32_e32 v54, 32, v52
	v_subrev_u32_e32 v52, 28, v54
	v_lshlrev_b64 v[52:53], v52, v[20:21]
	v_lshrrev_b32_e32 v44, 3, v18
	v_sub_u32_e32 v53, 29, v54
	v_and_b32_e32 v52, 7, v52
	v_cmp_gt_u32_e32 vcc, 8, v18
	v_cndmask_b32_e32 v18, v44, v53, vcc
	v_cndmask_b32_e32 v42, v42, v52, vcc
	v_lshlrev_b32_e32 v20, 24, v20
	v_lshlrev_b32_e32 v42, 20, v42
	v_and_b32_e32 v20, 0x80000000, v20
	v_lshl_add_u32 v18, v18, 23, v38
	v_or3_b32 v18, v20, v18, v42
	v_lshrrev_b32_e32 v42, 16, v18
.LBB908_63:                             ;   in Loop: Header=BB908_17 Depth=1
	s_or_b64 exec, exec, s[10:11]
.LBB908_64:                             ;   in Loop: Header=BB908_17 Depth=1
	s_or_b64 exec, exec, s[6:7]
.LBB908_65:                             ;   in Loop: Header=BB908_17 Depth=1
	s_or_b64 exec, exec, s[4:5]
	v_perm_b32 v53, v32, v23, s16
	v_perm_b32 v52, v19, v21, s16
	s_waitcnt vmcnt(1)
	v_cmp_ne_u16_sdwa s[6:7], v28, v35 src0_sel:BYTE_0 src1_sel:DWORD
	v_mov_b32_e32 v23, 0
	v_mov_b32_e32 v32, 0
	v_mfma_f32_16x16x16bf16_1k v[18:21], v[52:53], v[2:3], 0
	v_perm_b32 v53, v42, v40, s16
	v_perm_b32 v52, v30, v34, s16
	s_nop 1
	v_mfma_f32_16x16x16bf16_1k v[18:21], v[52:53], v[4:5], v[18:21]
	s_and_saveexec_b64 s[4:5], s[6:7]
	s_cbranch_execz .LBB908_71
; %bb.66:                               ;   in Loop: Header=BB908_17 Depth=1
	v_cmp_ne_u16_sdwa s[10:11], v28, s13 src0_sel:BYTE_0 src1_sel:DWORD
	v_mov_b32_e32 v32, 0xffff8000
	s_and_saveexec_b64 s[6:7], s[10:11]
	s_cbranch_execz .LBB908_70
; %bb.67:                               ;   in Loop: Header=BB908_17 Depth=1
	v_and_b32_e32 v30, 0x7f, v28
	v_cmp_ne_u32_e32 vcc, s14, v30
	v_mov_b32_e32 v32, 0x7f80
	s_and_saveexec_b64 s[10:11], vcc
	s_cbranch_execz .LBB908_69
; %bb.68:                               ;   in Loop: Header=BB908_17 Depth=1
	v_and_b32_e32 v32, 7, v28
	v_ffbh_u32_e32 v40, v32
	v_min_u32_e32 v40, 32, v40
	v_subrev_u32_e32 v42, 28, v40
	v_lshlrev_b64 v[52:53], v42, v[28:29]
	v_lshrrev_b32_e32 v34, 3, v30
	v_sub_u32_e32 v40, 29, v40
	v_and_b32_e32 v42, 7, v52
	v_cmp_gt_u32_e32 vcc, 8, v30
	v_cndmask_b32_e32 v30, v34, v40, vcc
	v_cndmask_b32_e32 v32, v32, v42, vcc
	v_lshlrev_b32_e32 v34, 24, v28
	v_lshlrev_b32_e32 v32, 20, v32
	v_and_b32_e32 v34, 0x80000000, v34
	v_lshl_add_u32 v30, v30, 23, v38
	v_or3_b32 v30, v34, v30, v32
	v_lshrrev_b32_e32 v32, 16, v30
.LBB908_69:                             ;   in Loop: Header=BB908_17 Depth=1
	s_or_b64 exec, exec, s[10:11]
.LBB908_70:                             ;   in Loop: Header=BB908_17 Depth=1
	s_or_b64 exec, exec, s[6:7]
.LBB908_71:                             ;   in Loop: Header=BB908_17 Depth=1
	s_or_b64 exec, exec, s[4:5]
	v_lshrrev_b16_e32 v30, 8, v28
	v_cmp_ne_u16_e32 vcc, 0, v30
	s_and_saveexec_b64 s[4:5], vcc
	s_cbranch_execz .LBB908_77
; %bb.72:                               ;   in Loop: Header=BB908_17 Depth=1
	v_cmp_ne_u16_e32 vcc, s13, v30
	v_mov_b32_e32 v23, 0xffff8000
	s_and_saveexec_b64 s[6:7], vcc
	s_cbranch_execz .LBB908_76
; %bb.73:                               ;   in Loop: Header=BB908_17 Depth=1
	v_and_b32_e32 v34, 0x7f, v30
	v_cmp_ne_u32_e32 vcc, s14, v34
	v_mov_b32_e32 v23, 0x7f80
	s_and_saveexec_b64 s[10:11], vcc
	s_cbranch_execz .LBB908_75
; %bb.74:                               ;   in Loop: Header=BB908_17 Depth=1
	v_and_b32_e32 v23, 7, v30
	v_ffbh_u32_e32 v42, v23
	v_min_u32_e32 v42, 32, v42
	v_subrev_u32_e32 v44, 28, v42
	v_lshlrev_b64 v[52:53], v44, v[30:31]
	v_lshrrev_b32_e32 v40, 3, v34
	v_sub_u32_e32 v30, 29, v42
	v_and_b32_e32 v42, 7, v52
	v_cmp_gt_u32_e32 vcc, 8, v34
	v_cndmask_b32_e32 v30, v40, v30, vcc
	v_cndmask_b32_e32 v23, v23, v42, vcc
	v_lshlrev_b32_e32 v34, 16, v28
	v_lshlrev_b32_e32 v23, 20, v23
	v_and_b32_e32 v34, 0x80000000, v34
	v_lshl_add_u32 v30, v30, 23, v38
	v_or3_b32 v23, v34, v30, v23
	v_lshrrev_b32_e32 v23, 16, v23
.LBB908_75:                             ;   in Loop: Header=BB908_17 Depth=1
	s_or_b64 exec, exec, s[10:11]
.LBB908_76:                             ;   in Loop: Header=BB908_17 Depth=1
	s_or_b64 exec, exec, s[6:7]
.LBB908_77:                             ;   in Loop: Header=BB908_17 Depth=1
	s_or_b64 exec, exec, s[4:5]
	v_lshrrev_b32_e32 v30, 16, v28
	v_cmp_ne_u16_sdwa s[6:7], v30, v35 src0_sel:BYTE_0 src1_sel:DWORD
	v_mov_b32_e32 v40, 0
	v_mov_b32_e32 v34, 0
	s_and_saveexec_b64 s[4:5], s[6:7]
	s_cbranch_execz .LBB908_83
; %bb.78:                               ;   in Loop: Header=BB908_17 Depth=1
	v_cmp_ne_u16_sdwa s[10:11], v30, s13 src0_sel:BYTE_0 src1_sel:DWORD
	v_mov_b32_e32 v34, 0xffff8000
	s_and_saveexec_b64 s[6:7], s[10:11]
	s_cbranch_execz .LBB908_82
; %bb.79:                               ;   in Loop: Header=BB908_17 Depth=1
	v_bfe_u32 v42, v28, 16, 7
	v_cmp_ne_u32_e32 vcc, s14, v42
	v_mov_b32_e32 v34, 0x7f80
	s_and_saveexec_b64 s[10:11], vcc
	s_cbranch_execz .LBB908_81
; %bb.80:                               ;   in Loop: Header=BB908_17 Depth=1
	v_and_b32_e32 v34, 7, v30
	v_ffbh_u32_e32 v52, v34
	v_min_u32_e32 v54, 32, v52
	v_subrev_u32_e32 v52, 28, v54
	v_lshlrev_b64 v[52:53], v52, v[30:31]
	v_lshrrev_b32_e32 v44, 3, v42
	v_sub_u32_e32 v53, 29, v54
	v_and_b32_e32 v52, 7, v52
	v_cmp_gt_u32_e32 vcc, 8, v42
	v_cndmask_b32_e32 v42, v44, v53, vcc
	v_cndmask_b32_e32 v34, v34, v52, vcc
	v_lshlrev_b32_e32 v30, 24, v30
	v_lshlrev_b32_e32 v34, 20, v34
	v_and_b32_e32 v30, 0x80000000, v30
	v_lshl_add_u32 v42, v42, 23, v38
	v_or3_b32 v30, v30, v42, v34
	v_lshrrev_b32_e32 v34, 16, v30
.LBB908_81:                             ;   in Loop: Header=BB908_17 Depth=1
	s_or_b64 exec, exec, s[10:11]
.LBB908_82:                             ;   in Loop: Header=BB908_17 Depth=1
	s_or_b64 exec, exec, s[6:7]
.LBB908_83:                             ;   in Loop: Header=BB908_17 Depth=1
	s_or_b64 exec, exec, s[4:5]
	v_cmp_lt_u32_e32 vcc, s15, v28
	s_and_saveexec_b64 s[4:5], vcc
	s_cbranch_execz .LBB908_89
; %bb.84:                               ;   in Loop: Header=BB908_17 Depth=1
	v_lshrrev_b32_e32 v30, 24, v28
	v_cmp_ne_u32_e32 vcc, s13, v30
	v_mov_b32_e32 v40, 0xffff8000
	s_and_saveexec_b64 s[6:7], vcc
	s_cbranch_execz .LBB908_88
; %bb.85:                               ;   in Loop: Header=BB908_17 Depth=1
	v_bfe_u32 v28, v28, 24, 7
	v_cmp_ne_u32_e32 vcc, s14, v28
	v_mov_b32_e32 v40, 0x7f80
	s_and_saveexec_b64 s[10:11], vcc
	s_cbranch_execz .LBB908_87
; %bb.86:                               ;   in Loop: Header=BB908_17 Depth=1
	v_and_b32_e32 v40, 7, v30
	v_ffbh_u32_e32 v44, v40
	v_min_u32_e32 v44, 32, v44
	v_subrev_u32_e32 v52, 28, v44
	v_lshlrev_b64 v[52:53], v52, v[30:31]
	v_lshrrev_b32_e32 v42, 3, v28
	v_sub_u32_e32 v44, 29, v44
	v_and_b32_e32 v52, 7, v52
	v_cmp_gt_u32_e32 vcc, 8, v28
	v_cndmask_b32_e32 v28, v42, v44, vcc
	v_cndmask_b32_e32 v40, v40, v52, vcc
	v_lshlrev_b32_e32 v30, 24, v30
	v_lshlrev_b32_e32 v40, 20, v40
	v_and_b32_e32 v30, 0x80000000, v30
	v_lshl_add_u32 v28, v28, 23, v38
	v_or3_b32 v28, v30, v28, v40
	v_lshrrev_b32_e32 v40, 16, v28
.LBB908_87:                             ;   in Loop: Header=BB908_17 Depth=1
	s_or_b64 exec, exec, s[10:11]
.LBB908_88:                             ;   in Loop: Header=BB908_17 Depth=1
	s_or_b64 exec, exec, s[6:7]
.LBB908_89:                             ;   in Loop: Header=BB908_17 Depth=1
	s_or_b64 exec, exec, s[4:5]
	s_waitcnt vmcnt(0)
	v_cmp_ne_u16_sdwa s[6:7], v26, v35 src0_sel:BYTE_0 src1_sel:DWORD
	v_mov_b32_e32 v42, 0
	v_mov_b32_e32 v44, 0
	s_and_saveexec_b64 s[4:5], s[6:7]
	s_cbranch_execz .LBB908_95
; %bb.90:                               ;   in Loop: Header=BB908_17 Depth=1
	v_cmp_ne_u16_sdwa s[10:11], v26, s13 src0_sel:BYTE_0 src1_sel:DWORD
	v_mov_b32_e32 v44, 0xffff8000
	s_and_saveexec_b64 s[6:7], s[10:11]
	s_cbranch_execz .LBB908_94
; %bb.91:                               ;   in Loop: Header=BB908_17 Depth=1
	v_and_b32_e32 v28, 0x7f, v26
	v_cmp_ne_u32_e32 vcc, s14, v28
	v_mov_b32_e32 v44, 0x7f80
	s_and_saveexec_b64 s[10:11], vcc
	s_cbranch_execz .LBB908_93
; %bb.92:                               ;   in Loop: Header=BB908_17 Depth=1
	v_and_b32_e32 v30, 7, v26
	v_ffbh_u32_e32 v52, v30
	v_min_u32_e32 v54, 32, v52
	v_subrev_u32_e32 v52, 28, v54
	v_lshlrev_b64 v[52:53], v52, v[26:27]
	v_lshrrev_b32_e32 v44, 3, v28
	v_sub_u32_e32 v53, 29, v54
	v_and_b32_e32 v52, 7, v52
	v_cmp_gt_u32_e32 vcc, 8, v28
	v_cndmask_b32_e32 v28, v44, v53, vcc
	v_cndmask_b32_e32 v30, v30, v52, vcc
	v_lshlrev_b32_e32 v44, 24, v26
	v_lshlrev_b32_e32 v30, 20, v30
	v_and_b32_e32 v44, 0x80000000, v44
	v_lshl_add_u32 v28, v28, 23, v38
	v_or3_b32 v28, v44, v28, v30
	v_lshrrev_b32_e32 v44, 16, v28
.LBB908_93:                             ;   in Loop: Header=BB908_17 Depth=1
	s_or_b64 exec, exec, s[10:11]
.LBB908_94:                             ;   in Loop: Header=BB908_17 Depth=1
	s_or_b64 exec, exec, s[6:7]
.LBB908_95:                             ;   in Loop: Header=BB908_17 Depth=1
	s_or_b64 exec, exec, s[4:5]
	v_lshrrev_b16_e32 v28, 8, v26
	v_cmp_ne_u16_e32 vcc, 0, v28
	s_and_saveexec_b64 s[4:5], vcc
	s_cbranch_execz .LBB908_101
; %bb.96:                               ;   in Loop: Header=BB908_17 Depth=1
	v_cmp_ne_u16_e32 vcc, s13, v28
	v_mov_b32_e32 v42, 0xffff8000
	s_and_saveexec_b64 s[6:7], vcc
	s_cbranch_execz .LBB908_100
; %bb.97:                               ;   in Loop: Header=BB908_17 Depth=1
	v_and_b32_e32 v30, 0x7f, v28
	v_cmp_ne_u32_e32 vcc, s14, v30
	v_mov_b32_e32 v42, 0x7f80
	s_and_saveexec_b64 s[10:11], vcc
	s_cbranch_execz .LBB908_99
; %bb.98:                               ;   in Loop: Header=BB908_17 Depth=1
	v_and_b32_e32 v42, 7, v28
	v_ffbh_u32_e32 v52, v42
	v_min_u32_e32 v55, 32, v52
	v_subrev_u32_e32 v52, 28, v55
	v_lshlrev_b64 v[52:53], v52, v[28:29]
	v_lshrrev_b32_e32 v54, 3, v30
	v_sub_u32_e32 v28, 29, v55
	v_and_b32_e32 v52, 7, v52
	v_cmp_gt_u32_e32 vcc, 8, v30
	v_cndmask_b32_e32 v28, v54, v28, vcc
	v_cndmask_b32_e32 v30, v42, v52, vcc
	v_lshlrev_b32_e32 v42, 16, v26
	v_lshlrev_b32_e32 v30, 20, v30
	v_and_b32_e32 v42, 0x80000000, v42
	v_lshl_add_u32 v28, v28, 23, v38
	v_or3_b32 v28, v42, v28, v30
	v_lshrrev_b32_e32 v42, 16, v28
.LBB908_99:                             ;   in Loop: Header=BB908_17 Depth=1
	s_or_b64 exec, exec, s[10:11]
.LBB908_100:                            ;   in Loop: Header=BB908_17 Depth=1
	s_or_b64 exec, exec, s[6:7]
.LBB908_101:                            ;   in Loop: Header=BB908_17 Depth=1
	s_or_b64 exec, exec, s[4:5]
	v_lshrrev_b32_e32 v28, 16, v26
	v_cmp_ne_u16_sdwa s[6:7], v28, v35 src0_sel:BYTE_0 src1_sel:DWORD
	v_mov_b32_e32 v53, 0
	v_mov_b32_e32 v52, 0
	s_and_saveexec_b64 s[4:5], s[6:7]
	s_cbranch_execz .LBB908_107
; %bb.102:                              ;   in Loop: Header=BB908_17 Depth=1
	v_cmp_ne_u16_sdwa s[10:11], v28, s13 src0_sel:BYTE_0 src1_sel:DWORD
	v_mov_b32_e32 v52, 0xffff8000
	s_and_saveexec_b64 s[6:7], s[10:11]
	s_cbranch_execz .LBB908_106
; %bb.103:                              ;   in Loop: Header=BB908_17 Depth=1
	v_bfe_u32 v30, v26, 16, 7
	v_cmp_ne_u32_e32 vcc, s14, v30
	v_mov_b32_e32 v52, 0x7f80
	s_and_saveexec_b64 s[10:11], vcc
	s_cbranch_execz .LBB908_105
; %bb.104:                              ;   in Loop: Header=BB908_17 Depth=1
	v_and_b32_e32 v52, 7, v28
	v_ffbh_u32_e32 v54, v52
	v_min_u32_e32 v57, 32, v54
	v_subrev_u32_e32 v54, 28, v57
	v_lshlrev_b64 v[54:55], v54, v[28:29]
	v_lshrrev_b32_e32 v56, 3, v30
	v_sub_u32_e32 v55, 29, v57
	v_and_b32_e32 v54, 7, v54
	v_cmp_gt_u32_e32 vcc, 8, v30
	v_cndmask_b32_e32 v30, v56, v55, vcc
	v_cndmask_b32_e32 v52, v52, v54, vcc
	v_lshlrev_b32_e32 v28, 24, v28
	v_lshlrev_b32_e32 v52, 20, v52
	v_and_b32_e32 v28, 0x80000000, v28
	v_lshl_add_u32 v30, v30, 23, v38
	v_or3_b32 v28, v28, v30, v52
	v_lshrrev_b32_e32 v52, 16, v28
.LBB908_105:                            ;   in Loop: Header=BB908_17 Depth=1
	s_or_b64 exec, exec, s[10:11]
.LBB908_106:                            ;   in Loop: Header=BB908_17 Depth=1
	s_or_b64 exec, exec, s[6:7]
.LBB908_107:                            ;   in Loop: Header=BB908_17 Depth=1
	s_or_b64 exec, exec, s[4:5]
	v_cmp_lt_u32_e32 vcc, s15, v26
	s_and_saveexec_b64 s[4:5], vcc
	s_cbranch_execz .LBB908_113
; %bb.108:                              ;   in Loop: Header=BB908_17 Depth=1
	v_lshrrev_b32_e32 v28, 24, v26
	v_cmp_ne_u32_e32 vcc, s13, v28
	v_mov_b32_e32 v53, 0xffff8000
	s_and_saveexec_b64 s[6:7], vcc
	s_cbranch_execz .LBB908_112
; %bb.109:                              ;   in Loop: Header=BB908_17 Depth=1
	v_bfe_u32 v26, v26, 24, 7
	v_cmp_ne_u32_e32 vcc, s14, v26
	v_mov_b32_e32 v53, 0x7f80
	s_and_saveexec_b64 s[10:11], vcc
	s_cbranch_execz .LBB908_111
; %bb.110:                              ;   in Loop: Header=BB908_17 Depth=1
	v_and_b32_e32 v30, 7, v28
	v_ffbh_u32_e32 v54, v30
	v_min_u32_e32 v56, 32, v54
	v_subrev_u32_e32 v54, 28, v56
	v_lshlrev_b64 v[54:55], v54, v[28:29]
	v_lshrrev_b32_e32 v53, 3, v26
	v_sub_u32_e32 v55, 29, v56
	v_and_b32_e32 v54, 7, v54
	v_cmp_gt_u32_e32 vcc, 8, v26
	v_cndmask_b32_e32 v26, v53, v55, vcc
	v_cndmask_b32_e32 v30, v30, v54, vcc
	v_lshlrev_b32_e32 v28, 24, v28
	v_lshlrev_b32_e32 v30, 20, v30
	v_and_b32_e32 v28, 0x80000000, v28
	v_lshl_add_u32 v26, v26, 23, v38
	v_or3_b32 v26, v28, v26, v30
	v_lshrrev_b32_e32 v53, 16, v26
.LBB908_111:                            ;   in Loop: Header=BB908_17 Depth=1
	s_or_b64 exec, exec, s[10:11]
.LBB908_112:                            ;   in Loop: Header=BB908_17 Depth=1
	s_or_b64 exec, exec, s[6:7]
.LBB908_113:                            ;   in Loop: Header=BB908_17 Depth=1
	s_or_b64 exec, exec, s[4:5]
	v_perm_b32 v54, v23, v32, s16
	buffer_load_dword v32, v36, s[0:3], 0 offen offset:16
	buffer_load_dword v30, v36, s[0:3], 0 offen offset:20
	;; [unrolled: 1-line block ×4, first 2 shown]
	v_perm_b32 v55, v40, v34, s16
	v_perm_b32 v53, v53, v52, s16
	;; [unrolled: 1-line block ×3, first 2 shown]
	v_mfma_f32_16x16x16bf16_1k v[18:21], v[54:55], v[6:7], v[18:21]
	v_mov_b32_e32 v23, 0
	v_mov_b32_e32 v40, 0
	s_waitcnt vmcnt(3)
	v_cmp_ne_u16_sdwa s[6:7], v32, v35 src0_sel:BYTE_0 src1_sel:DWORD
	v_mfma_f32_16x16x16bf16_1k v[18:21], v[52:53], v[8:9], v[18:21]
	s_and_saveexec_b64 s[4:5], s[6:7]
	s_cbranch_execz .LBB908_119
; %bb.114:                              ;   in Loop: Header=BB908_17 Depth=1
	v_cmp_ne_u16_sdwa s[10:11], v32, s13 src0_sel:BYTE_0 src1_sel:DWORD
	v_mov_b32_e32 v40, 0xffff8000
	s_and_saveexec_b64 s[6:7], s[10:11]
	s_cbranch_execz .LBB908_118
; %bb.115:                              ;   in Loop: Header=BB908_17 Depth=1
	v_and_b32_e32 v34, 0x7f, v32
	v_cmp_ne_u32_e32 vcc, s14, v34
	v_mov_b32_e32 v40, 0x7f80
	s_and_saveexec_b64 s[10:11], vcc
	s_cbranch_execz .LBB908_117
; %bb.116:                              ;   in Loop: Header=BB908_17 Depth=1
	v_and_b32_e32 v40, 7, v32
	v_ffbh_u32_e32 v44, v40
	v_min_u32_e32 v44, 32, v44
	v_subrev_u32_e32 v52, 28, v44
	v_lshlrev_b64 v[52:53], v52, v[32:33]
	v_lshrrev_b32_e32 v42, 3, v34
	v_sub_u32_e32 v44, 29, v44
	v_and_b32_e32 v52, 7, v52
	v_cmp_gt_u32_e32 vcc, 8, v34
	v_cndmask_b32_e32 v34, v42, v44, vcc
	v_cndmask_b32_e32 v40, v40, v52, vcc
	v_lshlrev_b32_e32 v42, 24, v32
	v_lshlrev_b32_e32 v40, 20, v40
	v_and_b32_e32 v42, 0x80000000, v42
	v_lshl_add_u32 v34, v34, 23, v38
	v_or3_b32 v34, v42, v34, v40
	v_lshrrev_b32_e32 v40, 16, v34
.LBB908_117:                            ;   in Loop: Header=BB908_17 Depth=1
	s_or_b64 exec, exec, s[10:11]
.LBB908_118:                            ;   in Loop: Header=BB908_17 Depth=1
	s_or_b64 exec, exec, s[6:7]
.LBB908_119:                            ;   in Loop: Header=BB908_17 Depth=1
	s_or_b64 exec, exec, s[4:5]
	v_lshrrev_b16_e32 v34, 8, v32
	v_cmp_ne_u16_e32 vcc, 0, v34
	s_and_saveexec_b64 s[4:5], vcc
	s_cbranch_execz .LBB908_125
; %bb.120:                              ;   in Loop: Header=BB908_17 Depth=1
	v_cmp_ne_u16_e32 vcc, s13, v34
	v_mov_b32_e32 v23, 0xffff8000
	s_and_saveexec_b64 s[6:7], vcc
	s_cbranch_execz .LBB908_124
; %bb.121:                              ;   in Loop: Header=BB908_17 Depth=1
	v_and_b32_e32 v42, 0x7f, v34
	v_cmp_ne_u32_e32 vcc, s14, v42
	v_mov_b32_e32 v23, 0x7f80
	s_and_saveexec_b64 s[10:11], vcc
	s_cbranch_execz .LBB908_123
; %bb.122:                              ;   in Loop: Header=BB908_17 Depth=1
	v_and_b32_e32 v23, 7, v34
	v_ffbh_u32_e32 v52, v23
	v_min_u32_e32 v54, 32, v52
	v_subrev_u32_e32 v52, 28, v54
	v_lshlrev_b64 v[52:53], v52, v[34:35]
	v_lshrrev_b32_e32 v44, 3, v42
	v_sub_u32_e32 v34, 29, v54
	v_and_b32_e32 v52, 7, v52
	v_cmp_gt_u32_e32 vcc, 8, v42
	v_cndmask_b32_e32 v34, v44, v34, vcc
	v_cndmask_b32_e32 v23, v23, v52, vcc
	v_lshlrev_b32_e32 v42, 16, v32
	v_lshlrev_b32_e32 v23, 20, v23
	v_and_b32_e32 v42, 0x80000000, v42
	v_lshl_add_u32 v34, v34, 23, v38
	v_or3_b32 v23, v42, v34, v23
	v_lshrrev_b32_e32 v23, 16, v23
.LBB908_123:                            ;   in Loop: Header=BB908_17 Depth=1
	s_or_b64 exec, exec, s[10:11]
.LBB908_124:                            ;   in Loop: Header=BB908_17 Depth=1
	s_or_b64 exec, exec, s[6:7]
.LBB908_125:                            ;   in Loop: Header=BB908_17 Depth=1
	s_or_b64 exec, exec, s[4:5]
	v_lshrrev_b32_e32 v34, 16, v32
	v_cmp_ne_u16_sdwa s[6:7], v34, v35 src0_sel:BYTE_0 src1_sel:DWORD
	v_mov_b32_e32 v44, 0
	v_mov_b32_e32 v42, 0
	s_and_saveexec_b64 s[4:5], s[6:7]
	s_cbranch_execz .LBB908_131
; %bb.126:                              ;   in Loop: Header=BB908_17 Depth=1
	v_cmp_ne_u16_sdwa s[10:11], v34, s13 src0_sel:BYTE_0 src1_sel:DWORD
	v_mov_b32_e32 v42, 0xffff8000
	s_and_saveexec_b64 s[6:7], s[10:11]
	s_cbranch_execz .LBB908_130
; %bb.127:                              ;   in Loop: Header=BB908_17 Depth=1
	v_bfe_u32 v52, v32, 16, 7
	v_cmp_ne_u32_e32 vcc, s14, v52
	v_mov_b32_e32 v42, 0x7f80
	s_and_saveexec_b64 s[10:11], vcc
	s_cbranch_execz .LBB908_129
; %bb.128:                              ;   in Loop: Header=BB908_17 Depth=1
	v_and_b32_e32 v42, 7, v34
	v_ffbh_u32_e32 v54, v42
	v_min_u32_e32 v56, 32, v54
	v_subrev_u32_e32 v54, 28, v56
	v_lshlrev_b64 v[54:55], v54, v[34:35]
	v_lshrrev_b32_e32 v53, 3, v52
	v_sub_u32_e32 v55, 29, v56
	v_and_b32_e32 v54, 7, v54
	v_cmp_gt_u32_e32 vcc, 8, v52
	v_cndmask_b32_e32 v52, v53, v55, vcc
	v_cndmask_b32_e32 v42, v42, v54, vcc
	v_lshlrev_b32_e32 v34, 24, v34
	v_lshlrev_b32_e32 v42, 20, v42
	v_and_b32_e32 v34, 0x80000000, v34
	v_lshl_add_u32 v52, v52, 23, v38
	v_or3_b32 v34, v34, v52, v42
	v_lshrrev_b32_e32 v42, 16, v34
.LBB908_129:                            ;   in Loop: Header=BB908_17 Depth=1
	s_or_b64 exec, exec, s[10:11]
.LBB908_130:                            ;   in Loop: Header=BB908_17 Depth=1
	s_or_b64 exec, exec, s[6:7]
.LBB908_131:                            ;   in Loop: Header=BB908_17 Depth=1
	s_or_b64 exec, exec, s[4:5]
	v_cmp_lt_u32_e32 vcc, s15, v32
	s_and_saveexec_b64 s[4:5], vcc
	s_cbranch_execz .LBB908_137
; %bb.132:                              ;   in Loop: Header=BB908_17 Depth=1
	v_lshrrev_b32_e32 v34, 24, v32
	v_cmp_ne_u32_e32 vcc, s13, v34
	v_mov_b32_e32 v44, 0xffff8000
	s_and_saveexec_b64 s[6:7], vcc
	s_cbranch_execz .LBB908_136
; %bb.133:                              ;   in Loop: Header=BB908_17 Depth=1
	v_bfe_u32 v32, v32, 24, 7
	v_cmp_ne_u32_e32 vcc, s14, v32
	v_mov_b32_e32 v44, 0x7f80
	s_and_saveexec_b64 s[10:11], vcc
	s_cbranch_execz .LBB908_135
; %bb.134:                              ;   in Loop: Header=BB908_17 Depth=1
	v_and_b32_e32 v44, 7, v34
	v_ffbh_u32_e32 v52, v44
	v_min_u32_e32 v55, 32, v52
	v_subrev_u32_e32 v52, 28, v55
	v_lshlrev_b64 v[52:53], v52, v[34:35]
	v_lshrrev_b32_e32 v54, 3, v32
	v_sub_u32_e32 v53, 29, v55
	v_and_b32_e32 v52, 7, v52
	v_cmp_gt_u32_e32 vcc, 8, v32
	v_cndmask_b32_e32 v32, v54, v53, vcc
	v_cndmask_b32_e32 v44, v44, v52, vcc
	v_lshlrev_b32_e32 v34, 24, v34
	v_lshlrev_b32_e32 v44, 20, v44
	v_and_b32_e32 v34, 0x80000000, v34
	v_lshl_add_u32 v32, v32, 23, v38
	v_or3_b32 v32, v34, v32, v44
	v_lshrrev_b32_e32 v44, 16, v32
.LBB908_135:                            ;   in Loop: Header=BB908_17 Depth=1
	s_or_b64 exec, exec, s[10:11]
.LBB908_136:                            ;   in Loop: Header=BB908_17 Depth=1
	s_or_b64 exec, exec, s[6:7]
.LBB908_137:                            ;   in Loop: Header=BB908_17 Depth=1
	s_or_b64 exec, exec, s[4:5]
	s_waitcnt vmcnt(2)
	v_cmp_ne_u16_sdwa s[6:7], v30, v35 src0_sel:BYTE_0 src1_sel:DWORD
	v_mov_b32_e32 v34, 0
	v_mov_b32_e32 v52, 0
	s_and_saveexec_b64 s[4:5], s[6:7]
	s_cbranch_execz .LBB908_143
; %bb.138:                              ;   in Loop: Header=BB908_17 Depth=1
	v_cmp_ne_u16_sdwa s[10:11], v30, s13 src0_sel:BYTE_0 src1_sel:DWORD
	v_mov_b32_e32 v52, 0xffff8000
	s_and_saveexec_b64 s[6:7], s[10:11]
	s_cbranch_execz .LBB908_142
; %bb.139:                              ;   in Loop: Header=BB908_17 Depth=1
	v_and_b32_e32 v32, 0x7f, v30
	v_cmp_ne_u32_e32 vcc, s14, v32
	v_mov_b32_e32 v52, 0x7f80
	s_and_saveexec_b64 s[10:11], vcc
	s_cbranch_execz .LBB908_141
; %bb.140:                              ;   in Loop: Header=BB908_17 Depth=1
	v_and_b32_e32 v54, 7, v30
	v_ffbh_u32_e32 v52, v54
	v_min_u32_e32 v56, 32, v52
	v_subrev_u32_e32 v52, 28, v56
	v_lshlrev_b64 v[52:53], v52, v[30:31]
	v_lshrrev_b32_e32 v55, 3, v32
	v_sub_u32_e32 v53, 29, v56
	v_and_b32_e32 v52, 7, v52
	v_cmp_gt_u32_e32 vcc, 8, v32
	v_cndmask_b32_e32 v32, v55, v53, vcc
	v_cndmask_b32_e32 v52, v54, v52, vcc
	v_lshlrev_b32_e32 v53, 24, v30
	v_lshlrev_b32_e32 v52, 20, v52
	v_and_b32_e32 v53, 0x80000000, v53
	v_lshl_add_u32 v32, v32, 23, v38
	v_or3_b32 v32, v53, v32, v52
	v_lshrrev_b32_e32 v52, 16, v32
.LBB908_141:                            ;   in Loop: Header=BB908_17 Depth=1
	s_or_b64 exec, exec, s[10:11]
.LBB908_142:                            ;   in Loop: Header=BB908_17 Depth=1
	s_or_b64 exec, exec, s[6:7]
.LBB908_143:                            ;   in Loop: Header=BB908_17 Depth=1
	s_or_b64 exec, exec, s[4:5]
	v_lshrrev_b16_e32 v32, 8, v30
	v_cmp_ne_u16_e32 vcc, 0, v32
	s_and_saveexec_b64 s[4:5], vcc
	s_cbranch_execz .LBB908_149
; %bb.144:                              ;   in Loop: Header=BB908_17 Depth=1
	v_cmp_ne_u16_e32 vcc, s13, v32
	v_mov_b32_e32 v34, 0xffff8000
	s_and_saveexec_b64 s[6:7], vcc
	s_cbranch_execz .LBB908_148
; %bb.145:                              ;   in Loop: Header=BB908_17 Depth=1
	v_and_b32_e32 v53, 0x7f, v32
	v_cmp_ne_u32_e32 vcc, s14, v53
	v_mov_b32_e32 v34, 0x7f80
	s_and_saveexec_b64 s[10:11], vcc
	s_cbranch_execz .LBB908_147
; %bb.146:                              ;   in Loop: Header=BB908_17 Depth=1
	v_and_b32_e32 v34, 7, v32
	v_ffbh_u32_e32 v54, v34
	v_min_u32_e32 v57, 32, v54
	v_subrev_u32_e32 v54, 28, v57
	v_lshlrev_b64 v[54:55], v54, v[32:33]
	v_lshrrev_b32_e32 v56, 3, v53
	v_sub_u32_e32 v32, 29, v57
	v_and_b32_e32 v54, 7, v54
	v_cmp_gt_u32_e32 vcc, 8, v53
	v_cndmask_b32_e32 v32, v56, v32, vcc
	v_cndmask_b32_e32 v34, v34, v54, vcc
	v_lshlrev_b32_e32 v53, 16, v30
	v_lshlrev_b32_e32 v34, 20, v34
	v_and_b32_e32 v53, 0x80000000, v53
	v_lshl_add_u32 v32, v32, 23, v38
	v_or3_b32 v32, v53, v32, v34
	v_lshrrev_b32_e32 v34, 16, v32
.LBB908_147:                            ;   in Loop: Header=BB908_17 Depth=1
	s_or_b64 exec, exec, s[10:11]
.LBB908_148:                            ;   in Loop: Header=BB908_17 Depth=1
	s_or_b64 exec, exec, s[6:7]
.LBB908_149:                            ;   in Loop: Header=BB908_17 Depth=1
	s_or_b64 exec, exec, s[4:5]
	v_lshrrev_b32_e32 v32, 16, v30
	v_cmp_ne_u16_sdwa s[6:7], v32, v35 src0_sel:BYTE_0 src1_sel:DWORD
	v_mov_b32_e32 v54, 0
	v_mov_b32_e32 v53, 0
	s_and_saveexec_b64 s[4:5], s[6:7]
	s_cbranch_execz .LBB908_155
; %bb.150:                              ;   in Loop: Header=BB908_17 Depth=1
	v_cmp_ne_u16_sdwa s[10:11], v32, s13 src0_sel:BYTE_0 src1_sel:DWORD
	v_mov_b32_e32 v53, 0xffff8000
	s_and_saveexec_b64 s[6:7], s[10:11]
	s_cbranch_execz .LBB908_154
; %bb.151:                              ;   in Loop: Header=BB908_17 Depth=1
	v_bfe_u32 v55, v30, 16, 7
	v_cmp_ne_u32_e32 vcc, s14, v55
	v_mov_b32_e32 v53, 0x7f80
	s_and_saveexec_b64 s[10:11], vcc
	s_cbranch_execz .LBB908_153
; %bb.152:                              ;   in Loop: Header=BB908_17 Depth=1
	v_and_b32_e32 v53, 7, v32
	v_ffbh_u32_e32 v56, v53
	v_min_u32_e32 v59, 32, v56
	v_subrev_u32_e32 v56, 28, v59
	v_lshlrev_b64 v[56:57], v56, v[32:33]
	v_lshrrev_b32_e32 v58, 3, v55
	v_sub_u32_e32 v57, 29, v59
	v_and_b32_e32 v56, 7, v56
	v_cmp_gt_u32_e32 vcc, 8, v55
	v_cndmask_b32_e32 v55, v58, v57, vcc
	v_cndmask_b32_e32 v53, v53, v56, vcc
	v_lshlrev_b32_e32 v32, 24, v32
	v_lshlrev_b32_e32 v53, 20, v53
	v_and_b32_e32 v32, 0x80000000, v32
	v_lshl_add_u32 v55, v55, 23, v38
	v_or3_b32 v32, v32, v55, v53
	v_lshrrev_b32_e32 v53, 16, v32
.LBB908_153:                            ;   in Loop: Header=BB908_17 Depth=1
	s_or_b64 exec, exec, s[10:11]
.LBB908_154:                            ;   in Loop: Header=BB908_17 Depth=1
	s_or_b64 exec, exec, s[6:7]
.LBB908_155:                            ;   in Loop: Header=BB908_17 Depth=1
	s_or_b64 exec, exec, s[4:5]
	v_cmp_lt_u32_e32 vcc, s15, v30
	s_and_saveexec_b64 s[4:5], vcc
	s_cbranch_execz .LBB908_161
; %bb.156:                              ;   in Loop: Header=BB908_17 Depth=1
	v_lshrrev_b32_e32 v32, 24, v30
	v_cmp_ne_u32_e32 vcc, s13, v32
	v_mov_b32_e32 v54, 0xffff8000
	s_and_saveexec_b64 s[6:7], vcc
	s_cbranch_execz .LBB908_160
; %bb.157:                              ;   in Loop: Header=BB908_17 Depth=1
	v_bfe_u32 v30, v30, 24, 7
	v_cmp_ne_u32_e32 vcc, s14, v30
	v_mov_b32_e32 v54, 0x7f80
	s_and_saveexec_b64 s[10:11], vcc
	s_cbranch_execz .LBB908_159
; %bb.158:                              ;   in Loop: Header=BB908_17 Depth=1
	v_and_b32_e32 v56, 7, v32
	v_ffbh_u32_e32 v54, v56
	v_min_u32_e32 v58, 32, v54
	v_subrev_u32_e32 v54, 28, v58
	v_lshlrev_b64 v[54:55], v54, v[32:33]
	v_lshrrev_b32_e32 v57, 3, v30
	v_sub_u32_e32 v55, 29, v58
	v_and_b32_e32 v54, 7, v54
	v_cmp_gt_u32_e32 vcc, 8, v30
	v_cndmask_b32_e32 v30, v57, v55, vcc
	v_cndmask_b32_e32 v54, v56, v54, vcc
	v_lshlrev_b32_e32 v32, 24, v32
	v_lshlrev_b32_e32 v54, 20, v54
	v_and_b32_e32 v32, 0x80000000, v32
	v_lshl_add_u32 v30, v30, 23, v38
	v_or3_b32 v30, v32, v30, v54
	v_lshrrev_b32_e32 v54, 16, v30
.LBB908_159:                            ;   in Loop: Header=BB908_17 Depth=1
	s_or_b64 exec, exec, s[10:11]
.LBB908_160:                            ;   in Loop: Header=BB908_17 Depth=1
	s_or_b64 exec, exec, s[6:7]
.LBB908_161:                            ;   in Loop: Header=BB908_17 Depth=1
	s_or_b64 exec, exec, s[4:5]
	v_perm_b32 v57, v44, v42, s16
	v_perm_b32 v56, v23, v40, s16
	;; [unrolled: 1-line block ×4, first 2 shown]
	s_waitcnt vmcnt(1)
	v_cmp_ne_u16_sdwa s[6:7], v28, v35 src0_sel:BYTE_0 src1_sel:DWORD
	v_mfma_f32_16x16x16bf16_1k v[18:21], v[56:57], v[10:11], v[18:21]
	v_mov_b32_e32 v23, 0
	v_mov_b32_e32 v32, 0
	v_mfma_f32_16x16x16bf16_1k v[18:21], v[52:53], v[12:13], v[18:21]
	s_and_saveexec_b64 s[4:5], s[6:7]
	s_cbranch_execz .LBB908_167
; %bb.162:                              ;   in Loop: Header=BB908_17 Depth=1
	v_cmp_ne_u16_sdwa s[10:11], v28, s13 src0_sel:BYTE_0 src1_sel:DWORD
	v_mov_b32_e32 v32, 0xffff8000
	s_and_saveexec_b64 s[6:7], s[10:11]
	s_cbranch_execz .LBB908_166
; %bb.163:                              ;   in Loop: Header=BB908_17 Depth=1
	v_and_b32_e32 v30, 0x7f, v28
	v_cmp_ne_u32_e32 vcc, s14, v30
	v_mov_b32_e32 v32, 0x7f80
	s_and_saveexec_b64 s[10:11], vcc
	s_cbranch_execz .LBB908_165
; %bb.164:                              ;   in Loop: Header=BB908_17 Depth=1
	v_and_b32_e32 v32, 7, v28
	v_ffbh_u32_e32 v40, v32
	v_min_u32_e32 v40, 32, v40
	v_subrev_u32_e32 v42, 28, v40
	v_lshlrev_b64 v[52:53], v42, v[28:29]
	v_lshrrev_b32_e32 v34, 3, v30
	v_sub_u32_e32 v40, 29, v40
	v_and_b32_e32 v42, 7, v52
	v_cmp_gt_u32_e32 vcc, 8, v30
	v_cndmask_b32_e32 v30, v34, v40, vcc
	v_cndmask_b32_e32 v32, v32, v42, vcc
	v_lshlrev_b32_e32 v34, 24, v28
	v_lshlrev_b32_e32 v32, 20, v32
	v_and_b32_e32 v34, 0x80000000, v34
	v_lshl_add_u32 v30, v30, 23, v38
	v_or3_b32 v30, v34, v30, v32
	v_lshrrev_b32_e32 v32, 16, v30
.LBB908_165:                            ;   in Loop: Header=BB908_17 Depth=1
	s_or_b64 exec, exec, s[10:11]
.LBB908_166:                            ;   in Loop: Header=BB908_17 Depth=1
	s_or_b64 exec, exec, s[6:7]
.LBB908_167:                            ;   in Loop: Header=BB908_17 Depth=1
	s_or_b64 exec, exec, s[4:5]
	v_lshrrev_b16_e32 v30, 8, v28
	v_cmp_ne_u16_e32 vcc, 0, v30
	s_and_saveexec_b64 s[4:5], vcc
	s_cbranch_execz .LBB908_173
; %bb.168:                              ;   in Loop: Header=BB908_17 Depth=1
	v_cmp_ne_u16_e32 vcc, s13, v30
	v_mov_b32_e32 v23, 0xffff8000
	s_and_saveexec_b64 s[6:7], vcc
	s_cbranch_execz .LBB908_172
; %bb.169:                              ;   in Loop: Header=BB908_17 Depth=1
	v_and_b32_e32 v34, 0x7f, v30
	v_cmp_ne_u32_e32 vcc, s14, v34
	v_mov_b32_e32 v23, 0x7f80
	s_and_saveexec_b64 s[10:11], vcc
	s_cbranch_execz .LBB908_171
; %bb.170:                              ;   in Loop: Header=BB908_17 Depth=1
	v_and_b32_e32 v23, 7, v30
	v_ffbh_u32_e32 v42, v23
	v_min_u32_e32 v42, 32, v42
	v_subrev_u32_e32 v44, 28, v42
	v_lshlrev_b64 v[52:53], v44, v[30:31]
	v_lshrrev_b32_e32 v40, 3, v34
	v_sub_u32_e32 v30, 29, v42
	v_and_b32_e32 v42, 7, v52
	v_cmp_gt_u32_e32 vcc, 8, v34
	v_cndmask_b32_e32 v30, v40, v30, vcc
	v_cndmask_b32_e32 v23, v23, v42, vcc
	v_lshlrev_b32_e32 v34, 16, v28
	v_lshlrev_b32_e32 v23, 20, v23
	v_and_b32_e32 v34, 0x80000000, v34
	v_lshl_add_u32 v30, v30, 23, v38
	v_or3_b32 v23, v34, v30, v23
	v_lshrrev_b32_e32 v23, 16, v23
.LBB908_171:                            ;   in Loop: Header=BB908_17 Depth=1
	s_or_b64 exec, exec, s[10:11]
.LBB908_172:                            ;   in Loop: Header=BB908_17 Depth=1
	s_or_b64 exec, exec, s[6:7]
.LBB908_173:                            ;   in Loop: Header=BB908_17 Depth=1
	s_or_b64 exec, exec, s[4:5]
	v_lshrrev_b32_e32 v30, 16, v28
	v_cmp_ne_u16_sdwa s[6:7], v30, v35 src0_sel:BYTE_0 src1_sel:DWORD
	v_mov_b32_e32 v40, 0
	v_mov_b32_e32 v34, 0
	s_and_saveexec_b64 s[4:5], s[6:7]
	s_cbranch_execz .LBB908_179
; %bb.174:                              ;   in Loop: Header=BB908_17 Depth=1
	v_cmp_ne_u16_sdwa s[10:11], v30, s13 src0_sel:BYTE_0 src1_sel:DWORD
	v_mov_b32_e32 v34, 0xffff8000
	s_and_saveexec_b64 s[6:7], s[10:11]
	s_cbranch_execz .LBB908_178
; %bb.175:                              ;   in Loop: Header=BB908_17 Depth=1
	v_bfe_u32 v42, v28, 16, 7
	v_cmp_ne_u32_e32 vcc, s14, v42
	v_mov_b32_e32 v34, 0x7f80
	s_and_saveexec_b64 s[10:11], vcc
	s_cbranch_execz .LBB908_177
; %bb.176:                              ;   in Loop: Header=BB908_17 Depth=1
	v_and_b32_e32 v34, 7, v30
	v_ffbh_u32_e32 v52, v34
	v_min_u32_e32 v54, 32, v52
	v_subrev_u32_e32 v52, 28, v54
	v_lshlrev_b64 v[52:53], v52, v[30:31]
	v_lshrrev_b32_e32 v44, 3, v42
	v_sub_u32_e32 v53, 29, v54
	v_and_b32_e32 v52, 7, v52
	v_cmp_gt_u32_e32 vcc, 8, v42
	v_cndmask_b32_e32 v42, v44, v53, vcc
	v_cndmask_b32_e32 v34, v34, v52, vcc
	v_lshlrev_b32_e32 v30, 24, v30
	v_lshlrev_b32_e32 v34, 20, v34
	v_and_b32_e32 v30, 0x80000000, v30
	v_lshl_add_u32 v42, v42, 23, v38
	v_or3_b32 v30, v30, v42, v34
	v_lshrrev_b32_e32 v34, 16, v30
.LBB908_177:                            ;   in Loop: Header=BB908_17 Depth=1
	s_or_b64 exec, exec, s[10:11]
.LBB908_178:                            ;   in Loop: Header=BB908_17 Depth=1
	s_or_b64 exec, exec, s[6:7]
.LBB908_179:                            ;   in Loop: Header=BB908_17 Depth=1
	s_or_b64 exec, exec, s[4:5]
	v_cmp_lt_u32_e32 vcc, s15, v28
	s_and_saveexec_b64 s[4:5], vcc
	s_cbranch_execz .LBB908_185
; %bb.180:                              ;   in Loop: Header=BB908_17 Depth=1
	v_lshrrev_b32_e32 v30, 24, v28
	v_cmp_ne_u32_e32 vcc, s13, v30
	v_mov_b32_e32 v40, 0xffff8000
	s_and_saveexec_b64 s[6:7], vcc
	s_cbranch_execz .LBB908_184
; %bb.181:                              ;   in Loop: Header=BB908_17 Depth=1
	v_bfe_u32 v28, v28, 24, 7
	v_cmp_ne_u32_e32 vcc, s14, v28
	v_mov_b32_e32 v40, 0x7f80
	s_and_saveexec_b64 s[10:11], vcc
	s_cbranch_execz .LBB908_183
; %bb.182:                              ;   in Loop: Header=BB908_17 Depth=1
	v_and_b32_e32 v40, 7, v30
	v_ffbh_u32_e32 v44, v40
	v_min_u32_e32 v44, 32, v44
	v_subrev_u32_e32 v52, 28, v44
	v_lshlrev_b64 v[52:53], v52, v[30:31]
	v_lshrrev_b32_e32 v42, 3, v28
	v_sub_u32_e32 v44, 29, v44
	v_and_b32_e32 v52, 7, v52
	v_cmp_gt_u32_e32 vcc, 8, v28
	v_cndmask_b32_e32 v28, v42, v44, vcc
	v_cndmask_b32_e32 v40, v40, v52, vcc
	v_lshlrev_b32_e32 v30, 24, v30
	v_lshlrev_b32_e32 v40, 20, v40
	v_and_b32_e32 v30, 0x80000000, v30
	v_lshl_add_u32 v28, v28, 23, v38
	v_or3_b32 v28, v30, v28, v40
	v_lshrrev_b32_e32 v40, 16, v28
.LBB908_183:                            ;   in Loop: Header=BB908_17 Depth=1
	s_or_b64 exec, exec, s[10:11]
.LBB908_184:                            ;   in Loop: Header=BB908_17 Depth=1
	s_or_b64 exec, exec, s[6:7]
.LBB908_185:                            ;   in Loop: Header=BB908_17 Depth=1
	s_or_b64 exec, exec, s[4:5]
	s_waitcnt vmcnt(0)
	v_cmp_ne_u16_sdwa s[6:7], v26, v35 src0_sel:BYTE_0 src1_sel:DWORD
	v_mov_b32_e32 v30, 0
	v_mov_b32_e32 v42, 0
	s_and_saveexec_b64 s[4:5], s[6:7]
	s_cbranch_execz .LBB908_191
; %bb.186:                              ;   in Loop: Header=BB908_17 Depth=1
	v_cmp_ne_u16_sdwa s[10:11], v26, s13 src0_sel:BYTE_0 src1_sel:DWORD
	v_mov_b32_e32 v42, 0xffff8000
	s_and_saveexec_b64 s[6:7], s[10:11]
	s_cbranch_execz .LBB908_190
; %bb.187:                              ;   in Loop: Header=BB908_17 Depth=1
	v_and_b32_e32 v28, 0x7f, v26
	v_cmp_ne_u32_e32 vcc, s14, v28
	v_mov_b32_e32 v42, 0x7f80
	s_and_saveexec_b64 s[10:11], vcc
	s_cbranch_execz .LBB908_189
; %bb.188:                              ;   in Loop: Header=BB908_17 Depth=1
	v_and_b32_e32 v42, 7, v26
	v_ffbh_u32_e32 v52, v42
	v_min_u32_e32 v54, 32, v52
	v_subrev_u32_e32 v52, 28, v54
	v_lshlrev_b64 v[52:53], v52, v[26:27]
	v_lshrrev_b32_e32 v44, 3, v28
	v_sub_u32_e32 v53, 29, v54
	v_and_b32_e32 v52, 7, v52
	v_cmp_gt_u32_e32 vcc, 8, v28
	v_cndmask_b32_e32 v28, v44, v53, vcc
	v_cndmask_b32_e32 v42, v42, v52, vcc
	v_lshlrev_b32_e32 v44, 24, v26
	v_lshlrev_b32_e32 v42, 20, v42
	v_and_b32_e32 v44, 0x80000000, v44
	v_lshl_add_u32 v28, v28, 23, v38
	v_or3_b32 v28, v44, v28, v42
	v_lshrrev_b32_e32 v42, 16, v28
.LBB908_189:                            ;   in Loop: Header=BB908_17 Depth=1
	s_or_b64 exec, exec, s[10:11]
.LBB908_190:                            ;   in Loop: Header=BB908_17 Depth=1
	s_or_b64 exec, exec, s[6:7]
.LBB908_191:                            ;   in Loop: Header=BB908_17 Depth=1
	s_or_b64 exec, exec, s[4:5]
	v_lshrrev_b16_e32 v28, 8, v26
	v_cmp_ne_u16_e32 vcc, 0, v28
	s_and_saveexec_b64 s[4:5], vcc
	s_cbranch_execz .LBB908_197
; %bb.192:                              ;   in Loop: Header=BB908_17 Depth=1
	v_cmp_ne_u16_e32 vcc, s13, v28
	v_mov_b32_e32 v30, 0xffff8000
	s_and_saveexec_b64 s[6:7], vcc
	s_cbranch_execz .LBB908_196
; %bb.193:                              ;   in Loop: Header=BB908_17 Depth=1
	v_and_b32_e32 v44, 0x7f, v28
	v_cmp_ne_u32_e32 vcc, s14, v44
	v_mov_b32_e32 v30, 0x7f80
	s_and_saveexec_b64 s[10:11], vcc
	s_cbranch_execz .LBB908_195
; %bb.194:                              ;   in Loop: Header=BB908_17 Depth=1
	v_and_b32_e32 v30, 7, v28
	v_ffbh_u32_e32 v52, v30
	v_min_u32_e32 v55, 32, v52
	v_subrev_u32_e32 v52, 28, v55
	v_lshlrev_b64 v[52:53], v52, v[28:29]
	v_lshrrev_b32_e32 v54, 3, v44
	v_sub_u32_e32 v28, 29, v55
	v_and_b32_e32 v52, 7, v52
	v_cmp_gt_u32_e32 vcc, 8, v44
	v_cndmask_b32_e32 v28, v54, v28, vcc
	v_cndmask_b32_e32 v30, v30, v52, vcc
	v_lshlrev_b32_e32 v44, 16, v26
	v_lshlrev_b32_e32 v30, 20, v30
	v_and_b32_e32 v44, 0x80000000, v44
	v_lshl_add_u32 v28, v28, 23, v38
	v_or3_b32 v28, v44, v28, v30
	v_lshrrev_b32_e32 v30, 16, v28
.LBB908_195:                            ;   in Loop: Header=BB908_17 Depth=1
	s_or_b64 exec, exec, s[10:11]
.LBB908_196:                            ;   in Loop: Header=BB908_17 Depth=1
	s_or_b64 exec, exec, s[6:7]
.LBB908_197:                            ;   in Loop: Header=BB908_17 Depth=1
	s_or_b64 exec, exec, s[4:5]
	v_lshrrev_b32_e32 v28, 16, v26
	v_cmp_ne_u16_sdwa s[6:7], v28, v35 src0_sel:BYTE_0 src1_sel:DWORD
	v_mov_b32_e32 v52, 0
	v_mov_b32_e32 v44, 0
	s_and_saveexec_b64 s[4:5], s[6:7]
	s_cbranch_execz .LBB908_203
; %bb.198:                              ;   in Loop: Header=BB908_17 Depth=1
	v_cmp_ne_u16_sdwa s[10:11], v28, s13 src0_sel:BYTE_0 src1_sel:DWORD
	v_mov_b32_e32 v44, 0xffff8000
	s_and_saveexec_b64 s[6:7], s[10:11]
	s_cbranch_execz .LBB908_202
; %bb.199:                              ;   in Loop: Header=BB908_17 Depth=1
	v_bfe_u32 v53, v26, 16, 7
	v_cmp_ne_u32_e32 vcc, s14, v53
	v_mov_b32_e32 v44, 0x7f80
	s_and_saveexec_b64 s[10:11], vcc
	s_cbranch_execz .LBB908_201
; %bb.200:                              ;   in Loop: Header=BB908_17 Depth=1
	v_and_b32_e32 v44, 7, v28
	v_ffbh_u32_e32 v54, v44
	v_min_u32_e32 v57, 32, v54
	v_subrev_u32_e32 v54, 28, v57
	v_lshlrev_b64 v[54:55], v54, v[28:29]
	v_lshrrev_b32_e32 v56, 3, v53
	v_sub_u32_e32 v55, 29, v57
	v_and_b32_e32 v54, 7, v54
	v_cmp_gt_u32_e32 vcc, 8, v53
	v_cndmask_b32_e32 v53, v56, v55, vcc
	v_cndmask_b32_e32 v44, v44, v54, vcc
	v_lshlrev_b32_e32 v28, 24, v28
	v_lshlrev_b32_e32 v44, 20, v44
	v_and_b32_e32 v28, 0x80000000, v28
	v_lshl_add_u32 v53, v53, 23, v38
	v_or3_b32 v28, v28, v53, v44
	v_lshrrev_b32_e32 v44, 16, v28
.LBB908_201:                            ;   in Loop: Header=BB908_17 Depth=1
	s_or_b64 exec, exec, s[10:11]
.LBB908_202:                            ;   in Loop: Header=BB908_17 Depth=1
	s_or_b64 exec, exec, s[6:7]
.LBB908_203:                            ;   in Loop: Header=BB908_17 Depth=1
	s_or_b64 exec, exec, s[4:5]
	v_cmp_lt_u32_e32 vcc, s15, v26
	s_and_saveexec_b64 s[4:5], vcc
	s_cbranch_execz .LBB908_16
; %bb.204:                              ;   in Loop: Header=BB908_17 Depth=1
	v_lshrrev_b32_e32 v28, 24, v26
	v_cmp_ne_u32_e32 vcc, s13, v28
	v_mov_b32_e32 v52, 0xffff8000
	s_and_saveexec_b64 s[6:7], vcc
	s_cbranch_execz .LBB908_15
; %bb.205:                              ;   in Loop: Header=BB908_17 Depth=1
	v_bfe_u32 v26, v26, 24, 7
	v_cmp_ne_u32_e32 vcc, s14, v26
	v_mov_b32_e32 v52, 0x7f80
	s_and_saveexec_b64 s[10:11], vcc
	s_cbranch_execz .LBB908_14
; %bb.206:                              ;   in Loop: Header=BB908_17 Depth=1
	v_and_b32_e32 v54, 7, v28
	v_ffbh_u32_e32 v52, v54
	v_min_u32_e32 v56, 32, v52
	v_subrev_u32_e32 v52, 28, v56
	v_lshlrev_b64 v[52:53], v52, v[28:29]
	v_lshrrev_b32_e32 v55, 3, v26
	v_sub_u32_e32 v53, 29, v56
	v_and_b32_e32 v52, 7, v52
	v_cmp_gt_u32_e32 vcc, 8, v26
	v_cndmask_b32_e32 v26, v55, v53, vcc
	v_cndmask_b32_e32 v52, v54, v52, vcc
	v_lshlrev_b32_e32 v28, 24, v28
	v_lshlrev_b32_e32 v52, 20, v52
	v_and_b32_e32 v28, 0x80000000, v28
	v_lshl_add_u32 v26, v26, 23, v38
	v_or3_b32 v26, v28, v26, v52
	v_lshrrev_b32_e32 v52, 16, v26
	s_branch .LBB908_14
.LBB908_207:
	buffer_load_dword v17, off, s[0:3], 0 offset:256
	buffer_load_dword v16, off, s[0:3], 0 offset:260
	buffer_load_dword v15, off, s[0:3], 0 offset:264
	buffer_load_dword v14, off, s[0:3], 0 offset:268
	buffer_load_dword v13, off, s[0:3], 0 offset:272
	buffer_load_dword v12, off, s[0:3], 0 offset:276
	buffer_load_dword v11, off, s[0:3], 0 offset:280
	buffer_load_dword v10, off, s[0:3], 0 offset:284
	buffer_load_dword v9, off, s[0:3], 0 offset:288
	buffer_load_dword v8, off, s[0:3], 0 offset:292
	buffer_load_dword v7, off, s[0:3], 0 offset:296
	buffer_load_dword v6, off, s[0:3], 0 offset:300
	buffer_load_dword v5, off, s[0:3], 0 offset:304
	buffer_load_dword v4, off, s[0:3], 0 offset:308
	buffer_load_dword v3, off, s[0:3], 0 offset:312
	buffer_load_dword v2, off, s[0:3], 0 offset:316
	v_and_b32_e32 v18, 0xc0, v0
	v_add_u32_e32 v18, s20, v18
	v_lshl_or_b32 v18, v1, 2, v18
	v_or_b32_e32 v20, 1, v18
	v_subrev_u32_e32 v24, s33, v20
	v_add_u32_e32 v26, 1, v24
	v_cvt_f32_i32_e32 v25, v24
	v_add_u32_e32 v28, 2, v24
	v_add_u32_e32 v30, 3, v24
	;; [unrolled: 1-line block ×14, first 2 shown]
	v_cvt_f32_i32_e32 v26, v26
	v_cvt_f32_i32_e32 v28, v28
	;; [unrolled: 1-line block ×4, first 2 shown]
	v_mov_b32_e32 v19, 0xff7fffff
	v_or_b32_e32 v21, 2, v18
	v_or_b32_e32 v22, 3, v18
	v_cvt_f32_i32_e32 v32, v32
	v_cvt_f32_i32_e32 v34, v34
	v_cmp_gt_i32_e64 s[28:29], s33, v18
	v_cmp_gt_i32_e64 s[30:31], s33, v20
	s_mov_b32 s52, 0xff7fffff
	v_cmp_gt_i32_e64 s[34:35], s33, v21
	v_cmp_gt_i32_e64 s[36:37], s33, v22
	v_or_b32_e32 v23, 16, v18
	v_cvt_f32_i32_e32 v35, v35
	v_cvt_f32_i32_e32 v36, v36
	v_cmp_gt_i32_e64 s[24:25], s33, v23
	v_cvt_f32_i32_e32 v37, v37
	v_cvt_f32_i32_e32 v38, v38
	;; [unrolled: 1-line block ×7, first 2 shown]
	s_waitcnt vmcnt(15)
	v_fmac_f32_e32 v17, v31, v25
	s_waitcnt vmcnt(14)
	v_fmac_f32_e32 v16, v31, v26
	;; [unrolled: 2-line block ×4, first 2 shown]
	v_cndmask_b32_e64 v20, v19, v16, s[30:31]
	v_cndmask_b32_e64 v21, v19, v15, s[34:35]
	;; [unrolled: 1-line block ×3, first 2 shown]
	s_waitcnt vmcnt(11)
	v_fmac_f32_e32 v13, v31, v32
	s_waitcnt vmcnt(10)
	v_fmac_f32_e32 v12, v31, v34
	;; [unrolled: 2-line block ×9, first 2 shown]
	v_cndmask_b32_e64 v24, v19, v17, s[28:29]
	v_max3_f32 v20, v24, s52, v20
	v_max3_f32 v20, v20, v21, v22
	v_or_b32_e32 v22, 17, v18
	v_cmp_gt_i32_e64 s[38:39], s33, v22
	v_cndmask_b32_e64 v21, v19, v13, s[24:25]
	v_cndmask_b32_e64 v22, v19, v12, s[38:39]
	v_max3_f32 v20, v20, v21, v22
	v_or_b32_e32 v21, 18, v18
	v_or_b32_e32 v22, 19, v18
	v_cmp_gt_i32_e64 s[20:21], s33, v21
	v_cmp_gt_i32_e64 s[22:23], s33, v22
	v_cndmask_b32_e64 v21, v19, v11, s[20:21]
	v_cndmask_b32_e64 v22, v19, v10, s[22:23]
	v_max3_f32 v20, v20, v21, v22
	v_or_b32_e32 v21, 32, v18
	v_or_b32_e32 v22, 33, v18
	v_cmp_gt_i32_e64 s[16:17], s33, v21
	;; [unrolled: 7-line block ×3, first 2 shown]
	v_cmp_gt_i32_e64 s[14:15], s33, v22
	v_cndmask_b32_e64 v21, v19, v7, s[12:13]
	v_cndmask_b32_e64 v22, v19, v6, s[14:15]
	v_max3_f32 v20, v20, v21, v22
	v_or_b32_e32 v21, 48, v18
	v_or_b32_e32 v22, 49, v18
	v_fmac_f32_e32 v5, v31, v44
	v_fmac_f32_e32 v4, v31, v52
	v_cmp_gt_i32_e64 s[6:7], s33, v21
	v_cmp_gt_i32_e64 s[10:11], s33, v22
	v_cndmask_b32_e64 v21, v19, v5, s[6:7]
	v_cndmask_b32_e64 v22, v19, v4, s[10:11]
	v_max3_f32 v20, v20, v21, v22
	v_or_b32_e32 v21, 50, v18
	v_or_b32_e32 v18, 51, v18
	v_fmac_f32_e32 v3, v31, v53
	v_cmp_gt_i32_e32 vcc, s33, v21
	v_cmp_gt_i32_e64 s[4:5], s33, v18
	v_cndmask_b32_e32 v21, v19, v3, vcc
	v_cndmask_b32_e64 v18, v19, v2, s[4:5]
	v_mbcnt_lo_u32_b32 v19, -1, 0
	v_mbcnt_hi_u32_b32 v19, -1, v19
	v_max3_f32 v18, v20, v21, v18
	v_and_b32_e32 v20, 64, v19
	v_add_u32_e32 v20, 64, v20
	v_xor_b32_e32 v21, 32, v19
	v_cmp_lt_i32_e64 s[40:41], v21, v20
	v_cndmask_b32_e64 v21, v19, v21, s[40:41]
	v_lshlrev_b32_e32 v21, 2, v21
	ds_bpermute_b32 v22, v21, v18
	s_waitcnt lgkmcnt(0)
	v_max_f32_e32 v22, v22, v22
	v_max_f32_e32 v18, v18, v22
	v_xor_b32_e32 v22, 16, v19
	v_cmp_lt_i32_e64 s[40:41], v22, v20
	v_cndmask_b32_e64 v19, v19, v22, s[40:41]
	v_lshlrev_b32_e32 v19, 2, v19
	ds_bpermute_b32 v20, v19, v18
	s_waitcnt lgkmcnt(0)
	v_max_f32_e32 v20, v20, v20
	v_max_f32_e32 v18, v18, v20
	v_sub_f32_e32 v17, v17, v18
	v_mul_f32_e32 v17, 0x3fb8aa3b, v17
	v_sub_f32_e32 v16, v16, v18
	v_exp_f32_e32 v17, v17
	v_mul_f32_e32 v16, 0x3fb8aa3b, v16
	v_sub_f32_e32 v15, v15, v18
	v_exp_f32_e32 v16, v16
	;; [unrolled: 3-line block ×4, first 2 shown]
	v_mul_f32_e32 v13, 0x3fb8aa3b, v13
	v_sub_f32_e32 v12, v12, v18
	v_cndmask_b32_e64 v17, 0, v17, s[28:29]
	v_exp_f32_e32 v13, v13
	v_mul_f32_e32 v12, 0x3fb8aa3b, v12
	v_sub_f32_e32 v11, v11, v18
	v_add_f32_e32 v20, 0, v17
	v_cndmask_b32_e64 v16, 0, v16, s[30:31]
	v_exp_f32_e32 v12, v12
	v_mul_f32_e32 v11, 0x3fb8aa3b, v11
	v_sub_f32_e32 v10, v10, v18
	v_add_f32_e32 v20, v20, v16
	v_cndmask_b32_e64 v15, 0, v15, s[34:35]
	v_exp_f32_e32 v11, v11
	v_mul_f32_e32 v10, 0x3fb8aa3b, v10
	v_sub_f32_e32 v9, v9, v18
	v_add_f32_e32 v20, v20, v15
	v_cndmask_b32_e64 v14, 0, v14, s[36:37]
	v_exp_f32_e32 v10, v10
	v_mul_f32_e32 v9, 0x3fb8aa3b, v9
	v_sub_f32_e32 v8, v8, v18
	v_add_f32_e32 v20, v20, v14
	v_cndmask_b32_e64 v13, 0, v13, s[24:25]
	v_exp_f32_e32 v9, v9
	v_mul_f32_e32 v8, 0x3fb8aa3b, v8
	v_sub_f32_e32 v7, v7, v18
	buffer_store_dword v17, off, s[0:3], 0 offset:256
	buffer_store_dword v16, off, s[0:3], 0 offset:260
	;; [unrolled: 1-line block ×4, first 2 shown]
	v_add_f32_e32 v14, v20, v13
	v_cndmask_b32_e64 v12, 0, v12, s[38:39]
	v_exp_f32_e32 v8, v8
	v_mul_f32_e32 v7, 0x3fb8aa3b, v7
	v_sub_f32_e32 v6, v6, v18
	v_add_f32_e32 v14, v14, v12
	v_cndmask_b32_e64 v11, 0, v11, s[20:21]
	v_exp_f32_e32 v7, v7
	v_mul_f32_e32 v6, 0x3fb8aa3b, v6
	v_sub_f32_e32 v5, v5, v18
	;; [unrolled: 5-line block ×4, first 2 shown]
	buffer_store_dword v13, off, s[0:3], 0 offset:272
	buffer_store_dword v12, off, s[0:3], 0 offset:276
	;; [unrolled: 1-line block ×4, first 2 shown]
	v_add_f32_e32 v10, v14, v9
	v_cndmask_b32_e64 v8, 0, v8, s[18:19]
	v_exp_f32_e32 v4, v4
	v_mul_f32_e32 v3, 0x3fb8aa3b, v3
	v_sub_f32_e32 v2, v2, v18
	v_add_f32_e32 v10, v10, v8
	v_cndmask_b32_e64 v7, 0, v7, s[12:13]
	v_exp_f32_e32 v3, v3
	v_mul_f32_e32 v2, 0x3fb8aa3b, v2
	v_add_f32_e32 v10, v10, v7
	v_cndmask_b32_e64 v6, 0, v6, s[14:15]
	v_exp_f32_e32 v2, v2
	v_add_f32_e32 v10, v10, v6
	v_cndmask_b32_e64 v5, 0, v5, s[6:7]
	buffer_store_dword v9, off, s[0:3], 0 offset:288
	buffer_store_dword v8, off, s[0:3], 0 offset:292
	;; [unrolled: 1-line block ×4, first 2 shown]
	v_add_f32_e32 v6, v10, v5
	v_cndmask_b32_e64 v4, 0, v4, s[10:11]
	v_add_f32_e32 v6, v6, v4
	v_cndmask_b32_e32 v3, 0, v3, vcc
	v_add_f32_e32 v6, v6, v3
	v_cndmask_b32_e64 v2, 0, v2, s[4:5]
	v_add_f32_e32 v6, v6, v2
	ds_bpermute_b32 v7, v21, v6
	buffer_store_dword v5, off, s[0:3], 0 offset:304
	buffer_store_dword v4, off, s[0:3], 0 offset:308
	;; [unrolled: 1-line block ×4, first 2 shown]
	v_cmp_gt_u32_e32 vcc, 16, v33
	s_waitcnt lgkmcnt(0)
	s_barrier
	v_add_f32_e32 v2, v6, v7
	ds_bpermute_b32 v3, v19, v2
	s_waitcnt lgkmcnt(0)
	s_and_saveexec_b64 s[4:5], vcc
	s_cbranch_execz .LBB908_209
; %bb.208:
	v_add_f32_e32 v2, v2, v3
	v_lshlrev_b32_e32 v3, 2, v29
	ds_write2st64_b32 v3, v18, v2 offset1:1
.LBB908_209:
	s_or_b64 exec, exec, s[4:5]
	v_lshlrev_b32_e32 v2, 2, v41
	s_waitcnt lgkmcnt(0)
	s_barrier
	ds_read2_b32 v[14:15], v2 offset1:16
	ds_read2_b32 v[16:17], v2 offset0:32 offset1:48
	ds_read2_b32 v[6:7], v2 offset0:64 offset1:80
	ds_read2_b32 v[12:13], v2 offset0:96 offset1:112
	s_waitcnt lgkmcnt(0)
	s_barrier
	buffer_load_dword v22, off, s[0:3], 0 offset:264
	buffer_load_dword v23, off, s[0:3], 0 offset:268
	;; [unrolled: 1-line block ×16, first 2 shown]
	v_max3_f32 v20, v14, s52, v15
	v_max3_f32 v20, v20, v16, v17
	v_sub_f32_e32 v14, v14, v20
	v_sub_f32_e32 v15, v15, v20
	v_mul_f32_e32 v14, 0x3fb8aa3b, v14
	v_sub_f32_e32 v16, v16, v20
	v_mul_f32_e32 v15, 0x3fb8aa3b, v15
	v_exp_f32_e32 v14, v14
	v_sub_f32_e32 v17, v17, v20
	v_mul_f32_e32 v16, 0x3fb8aa3b, v16
	v_exp_f32_e32 v15, v15
	v_mul_f32_e32 v17, 0x3fb8aa3b, v17
	v_exp_f32_e32 v16, v16
	v_exp_f32_e32 v17, v17
	v_fma_f32 v6, v14, v6, 0
	v_fmac_f32_e32 v6, v15, v7
	v_fmac_f32_e32 v6, v16, v12
	;; [unrolled: 1-line block ×3, first 2 shown]
	v_cmp_eq_u32_e32 vcc, 1, v27
	v_add_f32_e32 v12, 0x358637bd, v6
	v_cndmask_b32_e32 v14, v14, v15, vcc
	v_cmp_eq_u32_e32 vcc, 2, v27
	v_div_scale_f32 v13, s[4:5], v12, v12, 1.0
	v_cndmask_b32_e32 v7, v14, v16, vcc
	v_rcp_f32_e32 v14, v13
	v_cmp_eq_u32_e32 vcc, 3, v27
	v_cndmask_b32_e32 v7, v7, v17, vcc
	v_div_scale_f32 v15, vcc, 1.0, v12, 1.0
	v_fma_f32 v16, -v13, v14, 1.0
	v_fmac_f32_e32 v14, v16, v14
	v_mul_f32_e32 v16, v15, v14
	v_fma_f32 v17, -v13, v16, v15
	v_fmac_f32_e32 v16, v17, v14
	v_fma_f32 v13, -v13, v16, v15
	v_div_fmas_f32 v13, v13, v14, v16
	v_div_fixup_f32 v12, v13, v12, 1.0
	v_mul_f32_e32 v12, v7, v12
	s_movk_i32 s19, 0x7fff
	s_mov_b32 s20, 0x7060302
	s_mul_i32 s18, s49, 15
	v_cmp_gt_u32_e32 vcc, 15, v0
	s_waitcnt vmcnt(14)
	v_pk_mul_f32 v[14:15], v[12:13], v[22:23] op_sel_hi:[0,1]
	v_bfe_u32 v21, v15, 16, 1
	s_waitcnt vmcnt(12)
	v_pk_mul_f32 v[16:17], v[12:13], v[24:25] op_sel_hi:[0,1]
	v_bfe_u32 v7, v17, 16, 1
	v_bfe_u32 v13, v16, 16, 1
	;; [unrolled: 1-line block ×3, first 2 shown]
	v_add3_u32 v13, v16, v13, s19
	v_add3_u32 v7, v17, v7, s19
	buffer_store_dword v16, off, s[0:3], 0 offset:256
	buffer_store_dword v17, off, s[0:3], 0 offset:260
	;; [unrolled: 1-line block ×4, first 2 shown]
	v_add3_u32 v16, v14, v22, s19
	v_add3_u32 v15, v15, v21, s19
	v_perm_b32 v14, v7, v13, s20
	v_lshlrev_b32_e32 v13, 3, v1
	v_perm_b32 v15, v15, v16, s20
	v_lshlrev_b32_e32 v7, 5, v41
	v_lshlrev_b32_e32 v16, 11, v27
	s_waitcnt vmcnt(12)
	v_pk_mul_f32 v[8:9], v[12:13], v[8:9] op_sel_hi:[0,1]
	v_or3_b32 v52, v16, v7, v13
	v_pk_mul_f32 v[10:11], v[12:13], v[10:11] op_sel_hi:[0,1]
	v_bfe_u32 v13, v9, 16, 1
	v_bfe_u32 v16, v8, 16, 1
	buffer_store_dword v8, off, s[0:3], 0 offset:272
	buffer_store_dword v9, off, s[0:3], 0 offset:276
	;; [unrolled: 1-line block ×4, first 2 shown]
	v_add3_u32 v8, v8, v16, s19
	v_add3_u32 v9, v9, v13, s19
	v_perm_b32 v8, v9, v8, s20
	v_bfe_u32 v9, v11, 16, 1
	v_bfe_u32 v13, v10, 16, 1
	v_add3_u32 v10, v10, v13, s19
	v_add3_u32 v9, v11, v9, s19
	v_perm_b32 v9, v9, v10, s20
	s_waitcnt vmcnt(14)
	v_pk_mul_f32 v[10:11], v[12:13], v[18:19] op_sel_hi:[0,1]
	ds_write2st64_b64 v52, v[14:15], v[8:9] offset1:1
	s_waitcnt vmcnt(12)
	v_pk_mul_f32 v[8:9], v[12:13], v[28:29] op_sel_hi:[0,1]
	v_bfe_u32 v13, v11, 16, 1
	v_bfe_u32 v14, v10, 16, 1
	buffer_store_dword v10, off, s[0:3], 0 offset:288
	buffer_store_dword v11, off, s[0:3], 0 offset:292
	;; [unrolled: 1-line block ×4, first 2 shown]
	v_add3_u32 v10, v10, v14, s19
	v_add3_u32 v11, v11, v13, s19
	v_perm_b32 v10, v11, v10, s20
	v_bfe_u32 v11, v9, 16, 1
	v_bfe_u32 v13, v8, 16, 1
	v_add3_u32 v8, v8, v13, s19
	v_add3_u32 v9, v9, v11, s19
	s_waitcnt vmcnt(14)
	v_pk_mul_f32 v[2:3], v[12:13], v[2:3] op_sel_hi:[0,1]
	v_perm_b32 v11, v9, v8, s20
	v_bfe_u32 v8, v3, 16, 1
	v_bfe_u32 v9, v2, 16, 1
	s_waitcnt vmcnt(12)
	v_pk_mul_f32 v[4:5], v[12:13], v[4:5] op_sel_hi:[0,1]
	buffer_store_dword v2, off, s[0:3], 0 offset:304
	buffer_store_dword v3, off, s[0:3], 0 offset:308
	;; [unrolled: 1-line block ×4, first 2 shown]
	v_add3_u32 v2, v2, v9, s19
	v_add3_u32 v3, v3, v8, s19
	v_perm_b32 v2, v3, v2, s20
	v_bfe_u32 v3, v5, 16, 1
	v_bfe_u32 v8, v4, 16, 1
	v_add3_u32 v4, v4, v8, s19
	v_add3_u32 v3, v5, v3, s19
	v_perm_b32 v3, v3, v4, s20
	ds_write2st64_b64 v52, v[10:11], v[2:3] offset0:2 offset1:3
	s_and_saveexec_b64 s[4:5], vcc
	s_cbranch_execz .LBB908_211
; %bb.210:
	v_add_co_u32_e32 v4, vcc, s27, v41
	v_addc_co_u32_e64 v5, s[6:7], 0, 0, vcc
	v_mov_b32_e32 v2, s18
	v_mad_u64_u32 v[4:5], s[6:7], s8, v2, v[4:5]
	v_mov_b32_e32 v3, 0
	s_mul_i32 s6, s9, s18
	v_mov_b32_e32 v2, s26
	v_add_u32_e32 v5, s6, v5
	v_mad_u64_u32 v[2:3], s[6:7], v4, s48, v[2:3]
	v_mov_b32_e32 v4, v3
	v_mad_u64_u32 v[4:5], s[6:7], v5, s48, v[4:5]
	v_mov_b32_e32 v3, v4
	v_lshlrev_b64 v[2:3], 2, v[2:3]
	v_mov_b32_e32 v5, s47
	v_add_co_u32_e32 v4, vcc, s46, v2
	v_addc_co_u32_e32 v5, vcc, v5, v3, vcc
	global_store_dword v[4:5], v20, off
	v_mov_b32_e32 v4, s45
	v_add_co_u32_e32 v2, vcc, s44, v2
	v_addc_co_u32_e32 v3, vcc, v4, v3, vcc
	global_store_dword v[2:3], v6, off
.LBB908_211:
	s_or_b64 exec, exec, s[4:5]
	v_lshl_or_b32 v30, v1, 9, v7
	s_waitcnt lgkmcnt(0)
	s_barrier
	s_load_dword s4, s[42:43], 0x0
	ds_read_b128 v[2:5], v30
	ds_read_b128 v[6:9], v30 offset:16
	ds_read_b128 v[10:13], v30 offset:2048
	;; [unrolled: 1-line block ×7, first 2 shown]
	v_mov_b32_e32 v35, 0x80
	v_mov_b32_e32 v53, 0x140
	s_mov_b64 s[10:11], -1
	s_waitcnt lgkmcnt(0)
	s_mov_b32 s5, s4
	s_mov_b32 s6, s4
	s_mov_b32 s7, s4
	s_movk_i32 s9, 0x80
	s_movk_i32 s21, 0x7f
	s_mov_b32 s22, 0xffffff
	s_mov_b32 s23, 0x5040100
	v_mov_b32_e32 v54, 0
	v_bfrev_b32_e32 v55, 60
	s_branch .LBB908_215
.LBB908_212:                            ;   in Loop: Header=BB908_215 Depth=1
	s_or_b64 exec, exec, s[16:17]
.LBB908_213:                            ;   in Loop: Header=BB908_215 Depth=1
	s_or_b64 exec, exec, s[14:15]
.LBB908_214:                            ;   in Loop: Header=BB908_215 Depth=1
	s_or_b64 exec, exec, s[12:13]
	v_perm_b32 v61, v56, v50, s23
	v_perm_b32 v60, v44, v46, s23
	s_xor_b64 s[12:13], s[10:11], -1
	s_mov_b64 s[10:11], 0
	v_mov_b32_e32 v46, v47
	v_mfma_f32_16x16x16bf16_1k v[60:63], v[60:61], v[30:31], v[34:37]
	s_and_b64 vcc, exec, s[12:13]
	s_nop 5
	v_perm_b32 v37, v58, v57, s23
	v_perm_b32 v36, v42, v51, s23
	v_mov_b32_e32 v35, v45
	s_nop 0
	v_mfma_f32_16x16x16bf16_1k v[56:59], v[36:37], v[32:33], v[60:63]
	s_nop 7
	s_nop 2
	v_pk_mul_f32 v[50:51], v[56:57], s[4:5]
	v_pk_mul_f32 v[36:37], v[58:59], s[6:7]
	v_bfe_u32 v34, v51, 16, 1
	v_bfe_u32 v38, v50, 16, 1
	;; [unrolled: 1-line block ×4, first 2 shown]
	v_add3_u32 v38, v50, v38, s19
	v_add3_u32 v34, v51, v34, s19
	;; [unrolled: 1-line block ×4, first 2 shown]
	v_perm_b32 v34, v34, v38, s20
	v_perm_b32 v36, v37, v36, s20
	buffer_store_dword v34, v53, s[0:3], 0 offen
	buffer_store_dword v36, v53, s[0:3], 0 offen offset:4
	v_mov_b32_e32 v53, 0x148
	v_mov_b32_e32 v51, v48
	;; [unrolled: 1-line block ×3, first 2 shown]
	s_cbranch_vccnz .LBB908_597
.LBB908_215:                            ; =>This Inner Loop Header: Depth=1
	buffer_load_dword v36, v35, s[0:3], 0 offen
	buffer_load_dword v34, v35, s[0:3], 0 offen offset:4
	buffer_load_dword v40, v35, s[0:3], 0 offen offset:8
	;; [unrolled: 1-line block ×3, first 2 shown]
	v_mov_b32_e32 v35, 0
	s_waitcnt vmcnt(3)
	v_cmp_ne_u16_sdwa s[14:15], v36, v54 src0_sel:BYTE_0 src1_sel:DWORD
	s_and_saveexec_b64 s[12:13], s[14:15]
	s_cbranch_execz .LBB908_221
; %bb.216:                              ;   in Loop: Header=BB908_215 Depth=1
	v_cmp_ne_u16_sdwa s[16:17], v36, s9 src0_sel:BYTE_0 src1_sel:DWORD
	v_mov_b32_e32 v35, 0xffff8000
	s_and_saveexec_b64 s[14:15], s[16:17]
	s_cbranch_execz .LBB908_220
; %bb.217:                              ;   in Loop: Header=BB908_215 Depth=1
	v_and_b32_e32 v37, 0x7f, v36
	v_cmp_ne_u32_e32 vcc, s21, v37
	v_mov_b32_e32 v35, 0x7f80
	s_and_saveexec_b64 s[16:17], vcc
	s_cbranch_execz .LBB908_219
; %bb.218:                              ;   in Loop: Header=BB908_215 Depth=1
	v_and_b32_e32 v35, 7, v36
	v_ffbh_u32_e32 v44, v35
	v_min_u32_e32 v44, 32, v44
	v_subrev_u32_e32 v56, 28, v44
	v_lshlrev_b64 v[56:57], v56, v[36:37]
	v_lshrrev_b32_e32 v42, 3, v37
	v_sub_u32_e32 v44, 29, v44
	v_and_b32_e32 v56, 7, v56
	v_cmp_gt_u32_e32 vcc, 8, v37
	v_cndmask_b32_e32 v37, v42, v44, vcc
	v_cndmask_b32_e32 v35, v35, v56, vcc
	v_lshlrev_b32_e32 v42, 24, v36
	v_lshlrev_b32_e32 v35, 20, v35
	v_and_b32_e32 v42, 0x80000000, v42
	v_lshl_add_u32 v37, v37, 23, v55
	v_or3_b32 v35, v42, v37, v35
	v_lshrrev_b32_e32 v35, 16, v35
.LBB908_219:                            ;   in Loop: Header=BB908_215 Depth=1
	s_or_b64 exec, exec, s[16:17]
.LBB908_220:                            ;   in Loop: Header=BB908_215 Depth=1
	s_or_b64 exec, exec, s[14:15]
.LBB908_221:                            ;   in Loop: Header=BB908_215 Depth=1
	s_or_b64 exec, exec, s[12:13]
	v_lshrrev_b16_e32 v42, 8, v36
	v_cmp_ne_u16_e32 vcc, 0, v42
	v_mov_b32_e32 v56, 0
	v_mov_b32_e32 v37, 0
	s_and_saveexec_b64 s[12:13], vcc
	s_cbranch_execz .LBB908_227
; %bb.222:                              ;   in Loop: Header=BB908_215 Depth=1
	v_cmp_ne_u16_e32 vcc, s9, v42
	v_mov_b32_e32 v37, 0xffff8000
	s_and_saveexec_b64 s[14:15], vcc
	s_cbranch_execz .LBB908_226
; %bb.223:                              ;   in Loop: Header=BB908_215 Depth=1
	v_and_b32_e32 v44, 0x7f, v42
	v_cmp_ne_u32_e32 vcc, s21, v44
	v_mov_b32_e32 v37, 0x7f80
	s_and_saveexec_b64 s[16:17], vcc
	s_cbranch_execz .LBB908_225
; %bb.224:                              ;   in Loop: Header=BB908_215 Depth=1
	v_and_b32_e32 v37, 7, v42
	v_ffbh_u32_e32 v58, v37
	v_min_u32_e32 v60, 32, v58
	v_subrev_u32_e32 v58, 28, v60
	v_lshlrev_b64 v[58:59], v58, v[42:43]
	v_lshrrev_b32_e32 v57, 3, v44
	v_sub_u32_e32 v42, 29, v60
	v_and_b32_e32 v58, 7, v58
	v_cmp_gt_u32_e32 vcc, 8, v44
	v_cndmask_b32_e32 v42, v57, v42, vcc
	v_cndmask_b32_e32 v37, v37, v58, vcc
	v_lshlrev_b32_e32 v44, 16, v36
	v_lshlrev_b32_e32 v37, 20, v37
	v_and_b32_e32 v44, 0x80000000, v44
	v_lshl_add_u32 v42, v42, 23, v55
	v_or3_b32 v37, v44, v42, v37
	v_lshrrev_b32_e32 v37, 16, v37
.LBB908_225:                            ;   in Loop: Header=BB908_215 Depth=1
	s_or_b64 exec, exec, s[16:17]
.LBB908_226:                            ;   in Loop: Header=BB908_215 Depth=1
	s_or_b64 exec, exec, s[14:15]
.LBB908_227:                            ;   in Loop: Header=BB908_215 Depth=1
	s_or_b64 exec, exec, s[12:13]
	v_lshrrev_b32_e32 v42, 16, v36
	v_cmp_ne_u16_sdwa s[14:15], v42, v54 src0_sel:BYTE_0 src1_sel:DWORD
	s_and_saveexec_b64 s[12:13], s[14:15]
	s_cbranch_execz .LBB908_233
; %bb.228:                              ;   in Loop: Header=BB908_215 Depth=1
	v_cmp_ne_u16_sdwa s[16:17], v42, s9 src0_sel:BYTE_0 src1_sel:DWORD
	v_mov_b32_e32 v56, 0xffff8000
	s_and_saveexec_b64 s[14:15], s[16:17]
	s_cbranch_execz .LBB908_232
; %bb.229:                              ;   in Loop: Header=BB908_215 Depth=1
	v_bfe_u32 v44, v36, 16, 7
	v_cmp_ne_u32_e32 vcc, s21, v44
	v_mov_b32_e32 v56, 0x7f80
	s_and_saveexec_b64 s[16:17], vcc
	s_cbranch_execz .LBB908_231
; %bb.230:                              ;   in Loop: Header=BB908_215 Depth=1
	v_and_b32_e32 v58, 7, v42
	v_ffbh_u32_e32 v56, v58
	v_min_u32_e32 v60, 32, v56
	v_subrev_u32_e32 v56, 28, v60
	v_lshlrev_b64 v[56:57], v56, v[42:43]
	v_lshrrev_b32_e32 v59, 3, v44
	v_sub_u32_e32 v57, 29, v60
	v_and_b32_e32 v56, 7, v56
	v_cmp_gt_u32_e32 vcc, 8, v44
	v_cndmask_b32_e32 v44, v59, v57, vcc
	v_cndmask_b32_e32 v56, v58, v56, vcc
	v_lshlrev_b32_e32 v42, 24, v42
	v_lshlrev_b32_e32 v56, 20, v56
	v_and_b32_e32 v42, 0x80000000, v42
	v_lshl_add_u32 v44, v44, 23, v55
	v_or3_b32 v42, v42, v44, v56
	v_lshrrev_b32_e32 v56, 16, v42
.LBB908_231:                            ;   in Loop: Header=BB908_215 Depth=1
	s_or_b64 exec, exec, s[16:17]
.LBB908_232:                            ;   in Loop: Header=BB908_215 Depth=1
	s_or_b64 exec, exec, s[14:15]
.LBB908_233:                            ;   in Loop: Header=BB908_215 Depth=1
	s_or_b64 exec, exec, s[12:13]
	v_cmp_lt_u32_e32 vcc, s22, v36
	v_mov_b32_e32 v57, 0
	v_mov_b32_e32 v58, 0
	s_and_saveexec_b64 s[12:13], vcc
	s_cbranch_execz .LBB908_239
; %bb.234:                              ;   in Loop: Header=BB908_215 Depth=1
	v_lshrrev_b32_e32 v42, 24, v36
	v_cmp_ne_u32_e32 vcc, s9, v42
	v_mov_b32_e32 v58, 0xffff8000
	s_and_saveexec_b64 s[14:15], vcc
	s_cbranch_execz .LBB908_238
; %bb.235:                              ;   in Loop: Header=BB908_215 Depth=1
	v_bfe_u32 v36, v36, 24, 7
	v_cmp_ne_u32_e32 vcc, s21, v36
	v_mov_b32_e32 v58, 0x7f80
	s_and_saveexec_b64 s[16:17], vcc
	s_cbranch_execz .LBB908_237
; %bb.236:                              ;   in Loop: Header=BB908_215 Depth=1
	v_and_b32_e32 v44, 7, v42
	v_ffbh_u32_e32 v58, v44
	v_min_u32_e32 v61, 32, v58
	v_subrev_u32_e32 v58, 28, v61
	v_lshlrev_b64 v[58:59], v58, v[42:43]
	v_lshrrev_b32_e32 v60, 3, v36
	v_sub_u32_e32 v59, 29, v61
	v_and_b32_e32 v58, 7, v58
	v_cmp_gt_u32_e32 vcc, 8, v36
	v_cndmask_b32_e32 v36, v60, v59, vcc
	v_cndmask_b32_e32 v44, v44, v58, vcc
	v_lshlrev_b32_e32 v42, 24, v42
	v_lshlrev_b32_e32 v44, 20, v44
	v_and_b32_e32 v42, 0x80000000, v42
	v_lshl_add_u32 v36, v36, 23, v55
	v_or3_b32 v36, v42, v36, v44
	v_lshrrev_b32_e32 v58, 16, v36
.LBB908_237:                            ;   in Loop: Header=BB908_215 Depth=1
	s_or_b64 exec, exec, s[16:17]
.LBB908_238:                            ;   in Loop: Header=BB908_215 Depth=1
	s_or_b64 exec, exec, s[14:15]
.LBB908_239:                            ;   in Loop: Header=BB908_215 Depth=1
	s_or_b64 exec, exec, s[12:13]
	s_waitcnt vmcnt(2)
	v_cmp_ne_u16_sdwa s[14:15], v34, v54 src0_sel:BYTE_0 src1_sel:DWORD
	s_and_saveexec_b64 s[12:13], s[14:15]
	s_cbranch_execz .LBB908_245
; %bb.240:                              ;   in Loop: Header=BB908_215 Depth=1
	v_cmp_ne_u16_sdwa s[16:17], v34, s9 src0_sel:BYTE_0 src1_sel:DWORD
	v_mov_b32_e32 v57, 0xffff8000
	s_and_saveexec_b64 s[14:15], s[16:17]
	s_cbranch_execz .LBB908_244
; %bb.241:                              ;   in Loop: Header=BB908_215 Depth=1
	v_and_b32_e32 v36, 0x7f, v34
	v_cmp_ne_u32_e32 vcc, s21, v36
	v_mov_b32_e32 v57, 0x7f80
	s_and_saveexec_b64 s[16:17], vcc
	s_cbranch_execz .LBB908_243
; %bb.242:                              ;   in Loop: Header=BB908_215 Depth=1
	v_and_b32_e32 v42, 7, v34
	v_ffbh_u32_e32 v57, v42
	v_min_u32_e32 v57, 32, v57
	v_subrev_u32_e32 v59, 28, v57
	v_lshlrev_b64 v[60:61], v59, v[34:35]
	v_lshrrev_b32_e32 v44, 3, v36
	v_sub_u32_e32 v57, 29, v57
	v_and_b32_e32 v59, 7, v60
	v_cmp_gt_u32_e32 vcc, 8, v36
	v_cndmask_b32_e32 v36, v44, v57, vcc
	v_cndmask_b32_e32 v42, v42, v59, vcc
	v_lshlrev_b32_e32 v44, 24, v34
	v_lshlrev_b32_e32 v42, 20, v42
	v_and_b32_e32 v44, 0x80000000, v44
	v_lshl_add_u32 v36, v36, 23, v55
	v_or3_b32 v36, v44, v36, v42
	v_lshrrev_b32_e32 v57, 16, v36
.LBB908_243:                            ;   in Loop: Header=BB908_215 Depth=1
	s_or_b64 exec, exec, s[16:17]
.LBB908_244:                            ;   in Loop: Header=BB908_215 Depth=1
	s_or_b64 exec, exec, s[14:15]
.LBB908_245:                            ;   in Loop: Header=BB908_215 Depth=1
	s_or_b64 exec, exec, s[12:13]
	v_lshrrev_b16_e32 v36, 8, v34
	v_cmp_ne_u16_e32 vcc, 0, v36
	v_mov_b32_e32 v59, 0
	v_mov_b32_e32 v42, 0
	s_and_saveexec_b64 s[12:13], vcc
	s_cbranch_execz .LBB908_251
; %bb.246:                              ;   in Loop: Header=BB908_215 Depth=1
	v_cmp_ne_u16_e32 vcc, s9, v36
	v_mov_b32_e32 v42, 0xffff8000
	s_and_saveexec_b64 s[14:15], vcc
	s_cbranch_execz .LBB908_250
; %bb.247:                              ;   in Loop: Header=BB908_215 Depth=1
	v_and_b32_e32 v44, 0x7f, v36
	v_cmp_ne_u32_e32 vcc, s21, v44
	v_mov_b32_e32 v42, 0x7f80
	s_and_saveexec_b64 s[16:17], vcc
	s_cbranch_execz .LBB908_249
; %bb.248:                              ;   in Loop: Header=BB908_215 Depth=1
	v_and_b32_e32 v42, 7, v36
	v_ffbh_u32_e32 v60, v42
	v_min_u32_e32 v63, 32, v60
	v_subrev_u32_e32 v60, 28, v63
	v_lshlrev_b64 v[60:61], v60, v[36:37]
	v_lshrrev_b32_e32 v62, 3, v44
	v_sub_u32_e32 v36, 29, v63
	v_and_b32_e32 v60, 7, v60
	v_cmp_gt_u32_e32 vcc, 8, v44
	v_cndmask_b32_e32 v36, v62, v36, vcc
	v_cndmask_b32_e32 v42, v42, v60, vcc
	v_lshlrev_b32_e32 v44, 16, v34
	v_lshlrev_b32_e32 v42, 20, v42
	v_and_b32_e32 v44, 0x80000000, v44
	v_lshl_add_u32 v36, v36, 23, v55
	v_or3_b32 v36, v44, v36, v42
	v_lshrrev_b32_e32 v42, 16, v36
.LBB908_249:                            ;   in Loop: Header=BB908_215 Depth=1
	s_or_b64 exec, exec, s[16:17]
.LBB908_250:                            ;   in Loop: Header=BB908_215 Depth=1
	s_or_b64 exec, exec, s[14:15]
.LBB908_251:                            ;   in Loop: Header=BB908_215 Depth=1
	s_or_b64 exec, exec, s[12:13]
	v_lshrrev_b32_e32 v36, 16, v34
	v_cmp_ne_u16_sdwa s[14:15], v36, v54 src0_sel:BYTE_0 src1_sel:DWORD
	s_and_saveexec_b64 s[12:13], s[14:15]
	s_cbranch_execz .LBB908_257
; %bb.252:                              ;   in Loop: Header=BB908_215 Depth=1
	v_cmp_ne_u16_sdwa s[16:17], v36, s9 src0_sel:BYTE_0 src1_sel:DWORD
	v_mov_b32_e32 v59, 0xffff8000
	s_and_saveexec_b64 s[14:15], s[16:17]
	s_cbranch_execz .LBB908_256
; %bb.253:                              ;   in Loop: Header=BB908_215 Depth=1
	v_bfe_u32 v44, v34, 16, 7
	v_cmp_ne_u32_e32 vcc, s21, v44
	v_mov_b32_e32 v59, 0x7f80
	s_and_saveexec_b64 s[16:17], vcc
	s_cbranch_execz .LBB908_255
; %bb.254:                              ;   in Loop: Header=BB908_215 Depth=1
	v_and_b32_e32 v59, 7, v36
	v_ffbh_u32_e32 v60, v59
	v_min_u32_e32 v63, 32, v60
	v_subrev_u32_e32 v60, 28, v63
	v_lshlrev_b64 v[60:61], v60, v[36:37]
	v_lshrrev_b32_e32 v62, 3, v44
	v_sub_u32_e32 v61, 29, v63
	v_and_b32_e32 v60, 7, v60
	v_cmp_gt_u32_e32 vcc, 8, v44
	v_cndmask_b32_e32 v44, v62, v61, vcc
	v_cndmask_b32_e32 v59, v59, v60, vcc
	v_lshlrev_b32_e32 v36, 24, v36
	v_lshlrev_b32_e32 v59, 20, v59
	v_and_b32_e32 v36, 0x80000000, v36
	v_lshl_add_u32 v44, v44, 23, v55
	v_or3_b32 v36, v36, v44, v59
	v_lshrrev_b32_e32 v59, 16, v36
.LBB908_255:                            ;   in Loop: Header=BB908_215 Depth=1
	s_or_b64 exec, exec, s[16:17]
.LBB908_256:                            ;   in Loop: Header=BB908_215 Depth=1
	s_or_b64 exec, exec, s[14:15]
.LBB908_257:                            ;   in Loop: Header=BB908_215 Depth=1
	s_or_b64 exec, exec, s[12:13]
	v_cmp_lt_u32_e32 vcc, s22, v34
	v_mov_b32_e32 v44, 0
	v_mov_b32_e32 v60, 0
	s_and_saveexec_b64 s[12:13], vcc
	s_cbranch_execz .LBB908_263
; %bb.258:                              ;   in Loop: Header=BB908_215 Depth=1
	v_lshrrev_b32_e32 v36, 24, v34
	v_cmp_ne_u32_e32 vcc, s9, v36
	v_mov_b32_e32 v60, 0xffff8000
	s_and_saveexec_b64 s[14:15], vcc
	s_cbranch_execz .LBB908_262
; %bb.259:                              ;   in Loop: Header=BB908_215 Depth=1
	v_bfe_u32 v34, v34, 24, 7
	v_cmp_ne_u32_e32 vcc, s21, v34
	v_mov_b32_e32 v60, 0x7f80
	s_and_saveexec_b64 s[16:17], vcc
	s_cbranch_execz .LBB908_261
; %bb.260:                              ;   in Loop: Header=BB908_215 Depth=1
	v_and_b32_e32 v62, 7, v36
	v_ffbh_u32_e32 v60, v62
	v_min_u32_e32 v64, 32, v60
	v_subrev_u32_e32 v60, 28, v64
	v_lshlrev_b64 v[60:61], v60, v[36:37]
	v_lshrrev_b32_e32 v63, 3, v34
	v_sub_u32_e32 v61, 29, v64
	v_and_b32_e32 v60, 7, v60
	v_cmp_gt_u32_e32 vcc, 8, v34
	v_cndmask_b32_e32 v34, v63, v61, vcc
	v_cndmask_b32_e32 v60, v62, v60, vcc
	v_lshlrev_b32_e32 v36, 24, v36
	v_lshlrev_b32_e32 v60, 20, v60
	v_and_b32_e32 v36, 0x80000000, v36
	v_lshl_add_u32 v34, v34, 23, v55
	v_or3_b32 v34, v36, v34, v60
	v_lshrrev_b32_e32 v60, 16, v34
.LBB908_261:                            ;   in Loop: Header=BB908_215 Depth=1
	s_or_b64 exec, exec, s[16:17]
.LBB908_262:                            ;   in Loop: Header=BB908_215 Depth=1
	s_or_b64 exec, exec, s[14:15]
.LBB908_263:                            ;   in Loop: Header=BB908_215 Depth=1
	s_or_b64 exec, exec, s[12:13]
	v_perm_b32 v63, v58, v56, s23
	v_perm_b32 v62, v37, v35, s23
	;; [unrolled: 1-line block ×4, first 2 shown]
	s_waitcnt vmcnt(1)
	v_cmp_ne_u16_sdwa s[14:15], v40, v54 src0_sel:BYTE_0 src1_sel:DWORD
	v_mfma_f32_16x16x16bf16_1k v[34:37], v[62:63], v[2:3], 0
	v_mfma_f32_16x16x16bf16_1k v[34:37], v[58:59], v[4:5], v[34:37]
	s_and_saveexec_b64 s[12:13], s[14:15]
	s_cbranch_execz .LBB908_269
; %bb.264:                              ;   in Loop: Header=BB908_215 Depth=1
	v_cmp_ne_u16_sdwa s[16:17], v40, s9 src0_sel:BYTE_0 src1_sel:DWORD
	v_mov_b32_e32 v44, 0xffff8000
	s_and_saveexec_b64 s[14:15], s[16:17]
	s_cbranch_execz .LBB908_268
; %bb.265:                              ;   in Loop: Header=BB908_215 Depth=1
	v_and_b32_e32 v42, 0x7f, v40
	v_cmp_ne_u32_e32 vcc, s21, v42
	v_mov_b32_e32 v44, 0x7f80
	s_and_saveexec_b64 s[16:17], vcc
	s_cbranch_execz .LBB908_267
; %bb.266:                              ;   in Loop: Header=BB908_215 Depth=1
	v_and_b32_e32 v44, 7, v40
	v_ffbh_u32_e32 v56, v44
	v_min_u32_e32 v59, 32, v56
	v_subrev_u32_e32 v56, 28, v59
	v_lshlrev_b64 v[56:57], v56, v[40:41]
	v_lshrrev_b32_e32 v58, 3, v42
	v_sub_u32_e32 v57, 29, v59
	v_and_b32_e32 v56, 7, v56
	v_cmp_gt_u32_e32 vcc, 8, v42
	v_cndmask_b32_e32 v42, v58, v57, vcc
	v_cndmask_b32_e32 v44, v44, v56, vcc
	v_lshlrev_b32_e32 v56, 24, v40
	v_lshlrev_b32_e32 v44, 20, v44
	v_and_b32_e32 v56, 0x80000000, v56
	v_lshl_add_u32 v42, v42, 23, v55
	v_or3_b32 v42, v56, v42, v44
	v_lshrrev_b32_e32 v44, 16, v42
.LBB908_267:                            ;   in Loop: Header=BB908_215 Depth=1
	s_or_b64 exec, exec, s[16:17]
.LBB908_268:                            ;   in Loop: Header=BB908_215 Depth=1
	s_or_b64 exec, exec, s[14:15]
.LBB908_269:                            ;   in Loop: Header=BB908_215 Depth=1
	s_or_b64 exec, exec, s[12:13]
	v_lshrrev_b16_e32 v42, 8, v40
	v_cmp_ne_u16_e32 vcc, 0, v42
	v_mov_b32_e32 v58, 0
	v_mov_b32_e32 v57, 0
	s_and_saveexec_b64 s[12:13], vcc
	s_cbranch_execz .LBB908_275
; %bb.270:                              ;   in Loop: Header=BB908_215 Depth=1
	v_cmp_ne_u16_e32 vcc, s9, v42
	v_mov_b32_e32 v57, 0xffff8000
	s_and_saveexec_b64 s[14:15], vcc
	s_cbranch_execz .LBB908_274
; %bb.271:                              ;   in Loop: Header=BB908_215 Depth=1
	v_and_b32_e32 v56, 0x7f, v42
	v_cmp_ne_u32_e32 vcc, s21, v56
	v_mov_b32_e32 v57, 0x7f80
	s_and_saveexec_b64 s[16:17], vcc
	s_cbranch_execz .LBB908_273
; %bb.272:                              ;   in Loop: Header=BB908_215 Depth=1
	v_and_b32_e32 v57, 7, v42
	v_ffbh_u32_e32 v60, v57
	v_min_u32_e32 v62, 32, v60
	v_subrev_u32_e32 v60, 28, v62
	v_lshlrev_b64 v[60:61], v60, v[42:43]
	v_lshrrev_b32_e32 v59, 3, v56
	v_sub_u32_e32 v42, 29, v62
	v_and_b32_e32 v60, 7, v60
	v_cmp_gt_u32_e32 vcc, 8, v56
	v_cndmask_b32_e32 v42, v59, v42, vcc
	v_cndmask_b32_e32 v56, v57, v60, vcc
	v_lshlrev_b32_e32 v57, 16, v40
	v_lshlrev_b32_e32 v56, 20, v56
	v_and_b32_e32 v57, 0x80000000, v57
	v_lshl_add_u32 v42, v42, 23, v55
	v_or3_b32 v42, v57, v42, v56
	v_lshrrev_b32_e32 v57, 16, v42
.LBB908_273:                            ;   in Loop: Header=BB908_215 Depth=1
	s_or_b64 exec, exec, s[16:17]
.LBB908_274:                            ;   in Loop: Header=BB908_215 Depth=1
	s_or_b64 exec, exec, s[14:15]
.LBB908_275:                            ;   in Loop: Header=BB908_215 Depth=1
	s_or_b64 exec, exec, s[12:13]
	v_lshrrev_b32_e32 v42, 16, v40
	v_cmp_ne_u16_sdwa s[14:15], v42, v54 src0_sel:BYTE_0 src1_sel:DWORD
	s_and_saveexec_b64 s[12:13], s[14:15]
	s_cbranch_execz .LBB908_281
; %bb.276:                              ;   in Loop: Header=BB908_215 Depth=1
	v_cmp_ne_u16_sdwa s[16:17], v42, s9 src0_sel:BYTE_0 src1_sel:DWORD
	v_mov_b32_e32 v58, 0xffff8000
	s_and_saveexec_b64 s[14:15], s[16:17]
	s_cbranch_execz .LBB908_280
; %bb.277:                              ;   in Loop: Header=BB908_215 Depth=1
	v_bfe_u32 v56, v40, 16, 7
	v_cmp_ne_u32_e32 vcc, s21, v56
	v_mov_b32_e32 v58, 0x7f80
	s_and_saveexec_b64 s[16:17], vcc
	s_cbranch_execz .LBB908_279
; %bb.278:                              ;   in Loop: Header=BB908_215 Depth=1
	v_and_b32_e32 v60, 7, v42
	v_ffbh_u32_e32 v58, v60
	v_min_u32_e32 v62, 32, v58
	v_subrev_u32_e32 v58, 28, v62
	v_lshlrev_b64 v[58:59], v58, v[42:43]
	v_lshrrev_b32_e32 v61, 3, v56
	v_sub_u32_e32 v59, 29, v62
	v_and_b32_e32 v58, 7, v58
	v_cmp_gt_u32_e32 vcc, 8, v56
	v_cndmask_b32_e32 v56, v61, v59, vcc
	v_cndmask_b32_e32 v58, v60, v58, vcc
	v_lshlrev_b32_e32 v42, 24, v42
	v_lshlrev_b32_e32 v58, 20, v58
	v_and_b32_e32 v42, 0x80000000, v42
	v_lshl_add_u32 v56, v56, 23, v55
	v_or3_b32 v42, v42, v56, v58
	v_lshrrev_b32_e32 v58, 16, v42
.LBB908_279:                            ;   in Loop: Header=BB908_215 Depth=1
	s_or_b64 exec, exec, s[16:17]
.LBB908_280:                            ;   in Loop: Header=BB908_215 Depth=1
	s_or_b64 exec, exec, s[14:15]
.LBB908_281:                            ;   in Loop: Header=BB908_215 Depth=1
	s_or_b64 exec, exec, s[12:13]
	v_cmp_lt_u32_e32 vcc, s22, v40
	v_mov_b32_e32 v59, 0
	v_mov_b32_e32 v60, 0
	s_and_saveexec_b64 s[12:13], vcc
	s_cbranch_execz .LBB908_287
; %bb.282:                              ;   in Loop: Header=BB908_215 Depth=1
	v_lshrrev_b32_e32 v42, 24, v40
	v_cmp_ne_u32_e32 vcc, s9, v42
	v_mov_b32_e32 v60, 0xffff8000
	s_and_saveexec_b64 s[14:15], vcc
	s_cbranch_execz .LBB908_286
; %bb.283:                              ;   in Loop: Header=BB908_215 Depth=1
	v_bfe_u32 v40, v40, 24, 7
	v_cmp_ne_u32_e32 vcc, s21, v40
	v_mov_b32_e32 v60, 0x7f80
	s_and_saveexec_b64 s[16:17], vcc
	s_cbranch_execz .LBB908_285
; %bb.284:                              ;   in Loop: Header=BB908_215 Depth=1
	v_and_b32_e32 v56, 7, v42
	v_ffbh_u32_e32 v60, v56
	v_min_u32_e32 v63, 32, v60
	v_subrev_u32_e32 v60, 28, v63
	v_lshlrev_b64 v[60:61], v60, v[42:43]
	v_lshrrev_b32_e32 v62, 3, v40
	v_sub_u32_e32 v61, 29, v63
	v_and_b32_e32 v60, 7, v60
	v_cmp_gt_u32_e32 vcc, 8, v40
	v_cndmask_b32_e32 v40, v62, v61, vcc
	v_cndmask_b32_e32 v56, v56, v60, vcc
	v_lshlrev_b32_e32 v42, 24, v42
	v_lshlrev_b32_e32 v56, 20, v56
	v_and_b32_e32 v42, 0x80000000, v42
	v_lshl_add_u32 v40, v40, 23, v55
	v_or3_b32 v40, v42, v40, v56
	v_lshrrev_b32_e32 v60, 16, v40
.LBB908_285:                            ;   in Loop: Header=BB908_215 Depth=1
	s_or_b64 exec, exec, s[16:17]
.LBB908_286:                            ;   in Loop: Header=BB908_215 Depth=1
	s_or_b64 exec, exec, s[14:15]
.LBB908_287:                            ;   in Loop: Header=BB908_215 Depth=1
	s_or_b64 exec, exec, s[12:13]
	s_waitcnt vmcnt(0)
	v_cmp_ne_u16_sdwa s[14:15], v38, v54 src0_sel:BYTE_0 src1_sel:DWORD
	s_and_saveexec_b64 s[12:13], s[14:15]
	s_cbranch_execz .LBB908_293
; %bb.288:                              ;   in Loop: Header=BB908_215 Depth=1
	v_cmp_ne_u16_sdwa s[16:17], v38, s9 src0_sel:BYTE_0 src1_sel:DWORD
	v_mov_b32_e32 v59, 0xffff8000
	s_and_saveexec_b64 s[14:15], s[16:17]
	s_cbranch_execz .LBB908_292
; %bb.289:                              ;   in Loop: Header=BB908_215 Depth=1
	v_and_b32_e32 v40, 0x7f, v38
	v_cmp_ne_u32_e32 vcc, s21, v40
	v_mov_b32_e32 v59, 0x7f80
	s_and_saveexec_b64 s[16:17], vcc
	s_cbranch_execz .LBB908_291
; %bb.290:                              ;   in Loop: Header=BB908_215 Depth=1
	v_and_b32_e32 v42, 7, v38
	v_ffbh_u32_e32 v59, v42
	v_min_u32_e32 v59, 32, v59
	v_subrev_u32_e32 v61, 28, v59
	v_lshlrev_b64 v[62:63], v61, v[38:39]
	v_lshrrev_b32_e32 v56, 3, v40
	v_sub_u32_e32 v59, 29, v59
	v_and_b32_e32 v61, 7, v62
	v_cmp_gt_u32_e32 vcc, 8, v40
	v_cndmask_b32_e32 v40, v56, v59, vcc
	v_cndmask_b32_e32 v42, v42, v61, vcc
	v_lshlrev_b32_e32 v56, 24, v38
	v_lshlrev_b32_e32 v42, 20, v42
	v_and_b32_e32 v56, 0x80000000, v56
	v_lshl_add_u32 v40, v40, 23, v55
	v_or3_b32 v40, v56, v40, v42
	v_lshrrev_b32_e32 v59, 16, v40
.LBB908_291:                            ;   in Loop: Header=BB908_215 Depth=1
	s_or_b64 exec, exec, s[16:17]
.LBB908_292:                            ;   in Loop: Header=BB908_215 Depth=1
	s_or_b64 exec, exec, s[14:15]
.LBB908_293:                            ;   in Loop: Header=BB908_215 Depth=1
	s_or_b64 exec, exec, s[12:13]
	v_lshrrev_b16_e32 v40, 8, v38
	v_cmp_ne_u16_e32 vcc, 0, v40
	v_mov_b32_e32 v62, 0
	v_mov_b32_e32 v61, 0
	s_and_saveexec_b64 s[12:13], vcc
	s_cbranch_execz .LBB908_299
; %bb.294:                              ;   in Loop: Header=BB908_215 Depth=1
	v_cmp_ne_u16_e32 vcc, s9, v40
	v_mov_b32_e32 v61, 0xffff8000
	s_and_saveexec_b64 s[14:15], vcc
	s_cbranch_execz .LBB908_298
; %bb.295:                              ;   in Loop: Header=BB908_215 Depth=1
	v_and_b32_e32 v42, 0x7f, v40
	v_cmp_ne_u32_e32 vcc, s21, v42
	v_mov_b32_e32 v61, 0x7f80
	s_and_saveexec_b64 s[16:17], vcc
	s_cbranch_execz .LBB908_297
; %bb.296:                              ;   in Loop: Header=BB908_215 Depth=1
	v_and_b32_e32 v56, 7, v40
	v_ffbh_u32_e32 v63, v56
	v_min_u32_e32 v63, 32, v63
	v_subrev_u32_e32 v64, 28, v63
	v_lshlrev_b64 v[64:65], v64, v[40:41]
	v_lshrrev_b32_e32 v61, 3, v42
	v_sub_u32_e32 v40, 29, v63
	v_and_b32_e32 v63, 7, v64
	v_cmp_gt_u32_e32 vcc, 8, v42
	v_cndmask_b32_e32 v40, v61, v40, vcc
	v_cndmask_b32_e32 v42, v56, v63, vcc
	v_lshlrev_b32_e32 v56, 16, v38
	v_lshlrev_b32_e32 v42, 20, v42
	v_and_b32_e32 v56, 0x80000000, v56
	v_lshl_add_u32 v40, v40, 23, v55
	v_or3_b32 v40, v56, v40, v42
	v_lshrrev_b32_e32 v61, 16, v40
.LBB908_297:                            ;   in Loop: Header=BB908_215 Depth=1
	s_or_b64 exec, exec, s[16:17]
.LBB908_298:                            ;   in Loop: Header=BB908_215 Depth=1
	s_or_b64 exec, exec, s[14:15]
.LBB908_299:                            ;   in Loop: Header=BB908_215 Depth=1
	s_or_b64 exec, exec, s[12:13]
	v_lshrrev_b32_e32 v40, 16, v38
	v_cmp_ne_u16_sdwa s[14:15], v40, v54 src0_sel:BYTE_0 src1_sel:DWORD
	s_and_saveexec_b64 s[12:13], s[14:15]
	s_cbranch_execz .LBB908_305
; %bb.300:                              ;   in Loop: Header=BB908_215 Depth=1
	v_cmp_ne_u16_sdwa s[16:17], v40, s9 src0_sel:BYTE_0 src1_sel:DWORD
	v_mov_b32_e32 v62, 0xffff8000
	s_and_saveexec_b64 s[14:15], s[16:17]
	s_cbranch_execz .LBB908_304
; %bb.301:                              ;   in Loop: Header=BB908_215 Depth=1
	v_bfe_u32 v42, v38, 16, 7
	v_cmp_ne_u32_e32 vcc, s21, v42
	v_mov_b32_e32 v62, 0x7f80
	s_and_saveexec_b64 s[16:17], vcc
	s_cbranch_execz .LBB908_303
; %bb.302:                              ;   in Loop: Header=BB908_215 Depth=1
	v_and_b32_e32 v56, 7, v40
	v_ffbh_u32_e32 v62, v56
	v_min_u32_e32 v65, 32, v62
	v_subrev_u32_e32 v62, 28, v65
	v_lshlrev_b64 v[62:63], v62, v[40:41]
	v_lshrrev_b32_e32 v64, 3, v42
	v_sub_u32_e32 v63, 29, v65
	v_and_b32_e32 v62, 7, v62
	v_cmp_gt_u32_e32 vcc, 8, v42
	v_cndmask_b32_e32 v42, v64, v63, vcc
	v_cndmask_b32_e32 v56, v56, v62, vcc
	v_lshlrev_b32_e32 v40, 24, v40
	v_lshlrev_b32_e32 v56, 20, v56
	v_and_b32_e32 v40, 0x80000000, v40
	v_lshl_add_u32 v42, v42, 23, v55
	v_or3_b32 v40, v40, v42, v56
	v_lshrrev_b32_e32 v62, 16, v40
.LBB908_303:                            ;   in Loop: Header=BB908_215 Depth=1
	s_or_b64 exec, exec, s[16:17]
.LBB908_304:                            ;   in Loop: Header=BB908_215 Depth=1
	s_or_b64 exec, exec, s[14:15]
.LBB908_305:                            ;   in Loop: Header=BB908_215 Depth=1
	s_or_b64 exec, exec, s[12:13]
	v_cmp_lt_u32_e32 vcc, s22, v38
	v_mov_b32_e32 v56, 0
	v_mov_b32_e32 v63, 0
	s_and_saveexec_b64 s[12:13], vcc
	s_cbranch_execz .LBB908_311
; %bb.306:                              ;   in Loop: Header=BB908_215 Depth=1
	v_lshrrev_b32_e32 v40, 24, v38
	v_cmp_ne_u32_e32 vcc, s9, v40
	v_mov_b32_e32 v63, 0xffff8000
	s_and_saveexec_b64 s[14:15], vcc
	s_cbranch_execz .LBB908_310
; %bb.307:                              ;   in Loop: Header=BB908_215 Depth=1
	v_bfe_u32 v38, v38, 24, 7
	v_cmp_ne_u32_e32 vcc, s21, v38
	v_mov_b32_e32 v63, 0x7f80
	s_and_saveexec_b64 s[16:17], vcc
	s_cbranch_execz .LBB908_309
; %bb.308:                              ;   in Loop: Header=BB908_215 Depth=1
	v_and_b32_e32 v42, 7, v40
	v_ffbh_u32_e32 v64, v42
	v_min_u32_e32 v66, 32, v64
	v_subrev_u32_e32 v64, 28, v66
	v_lshlrev_b64 v[64:65], v64, v[40:41]
	v_lshrrev_b32_e32 v63, 3, v38
	v_sub_u32_e32 v65, 29, v66
	v_and_b32_e32 v64, 7, v64
	v_cmp_gt_u32_e32 vcc, 8, v38
	v_cndmask_b32_e32 v38, v63, v65, vcc
	v_cndmask_b32_e32 v42, v42, v64, vcc
	v_lshlrev_b32_e32 v40, 24, v40
	v_lshlrev_b32_e32 v42, 20, v42
	v_and_b32_e32 v40, 0x80000000, v40
	v_lshl_add_u32 v38, v38, 23, v55
	v_or3_b32 v38, v40, v38, v42
	v_lshrrev_b32_e32 v63, 16, v38
.LBB908_309:                            ;   in Loop: Header=BB908_215 Depth=1
	s_or_b64 exec, exec, s[16:17]
.LBB908_310:                            ;   in Loop: Header=BB908_215 Depth=1
	s_or_b64 exec, exec, s[14:15]
.LBB908_311:                            ;   in Loop: Header=BB908_215 Depth=1
	s_or_b64 exec, exec, s[12:13]
	v_perm_b32 v64, v57, v44, s23
	buffer_load_dword v44, v46, s[0:3], 0 offen
	buffer_load_dword v42, v46, s[0:3], 0 offen offset:4
	buffer_load_dword v40, v46, s[0:3], 0 offen offset:8
	;; [unrolled: 1-line block ×3, first 2 shown]
	v_perm_b32 v65, v60, v58, s23
	v_perm_b32 v63, v63, v62, s23
	;; [unrolled: 1-line block ×3, first 2 shown]
	v_mfma_f32_16x16x16bf16_1k v[34:37], v[64:65], v[6:7], v[34:37]
	s_waitcnt vmcnt(3)
	v_cmp_ne_u16_sdwa s[14:15], v44, v54 src0_sel:BYTE_0 src1_sel:DWORD
	v_mfma_f32_16x16x16bf16_1k v[34:37], v[62:63], v[8:9], v[34:37]
	s_and_saveexec_b64 s[12:13], s[14:15]
	s_cbranch_execz .LBB908_317
; %bb.312:                              ;   in Loop: Header=BB908_215 Depth=1
	v_cmp_ne_u16_sdwa s[16:17], v44, s9 src0_sel:BYTE_0 src1_sel:DWORD
	v_mov_b32_e32 v56, 0xffff8000
	s_and_saveexec_b64 s[14:15], s[16:17]
	s_cbranch_execz .LBB908_316
; %bb.313:                              ;   in Loop: Header=BB908_215 Depth=1
	v_and_b32_e32 v46, 0x7f, v44
	v_cmp_ne_u32_e32 vcc, s21, v46
	v_mov_b32_e32 v56, 0x7f80
	s_and_saveexec_b64 s[16:17], vcc
	s_cbranch_execz .LBB908_315
; %bb.314:                              ;   in Loop: Header=BB908_215 Depth=1
	v_and_b32_e32 v58, 7, v44
	v_ffbh_u32_e32 v56, v58
	v_min_u32_e32 v60, 32, v56
	v_subrev_u32_e32 v56, 28, v60
	v_lshlrev_b64 v[56:57], v56, v[44:45]
	v_lshrrev_b32_e32 v59, 3, v46
	v_sub_u32_e32 v57, 29, v60
	v_and_b32_e32 v56, 7, v56
	v_cmp_gt_u32_e32 vcc, 8, v46
	v_cndmask_b32_e32 v46, v59, v57, vcc
	v_cndmask_b32_e32 v56, v58, v56, vcc
	v_lshlrev_b32_e32 v57, 24, v44
	v_lshlrev_b32_e32 v56, 20, v56
	v_and_b32_e32 v57, 0x80000000, v57
	v_lshl_add_u32 v46, v46, 23, v55
	v_or3_b32 v46, v57, v46, v56
	v_lshrrev_b32_e32 v56, 16, v46
.LBB908_315:                            ;   in Loop: Header=BB908_215 Depth=1
	s_or_b64 exec, exec, s[16:17]
.LBB908_316:                            ;   in Loop: Header=BB908_215 Depth=1
	s_or_b64 exec, exec, s[14:15]
.LBB908_317:                            ;   in Loop: Header=BB908_215 Depth=1
	s_or_b64 exec, exec, s[12:13]
	v_lshrrev_b16_e32 v46, 8, v44
	v_cmp_ne_u16_e32 vcc, 0, v46
	v_mov_b32_e32 v58, 0
	v_mov_b32_e32 v57, 0
	s_and_saveexec_b64 s[12:13], vcc
	s_cbranch_execz .LBB908_323
; %bb.318:                              ;   in Loop: Header=BB908_215 Depth=1
	v_cmp_ne_u16_e32 vcc, s9, v46
	v_mov_b32_e32 v57, 0xffff8000
	s_and_saveexec_b64 s[14:15], vcc
	s_cbranch_execz .LBB908_322
; %bb.319:                              ;   in Loop: Header=BB908_215 Depth=1
	v_and_b32_e32 v59, 0x7f, v46
	v_cmp_ne_u32_e32 vcc, s21, v59
	v_mov_b32_e32 v57, 0x7f80
	s_and_saveexec_b64 s[16:17], vcc
	s_cbranch_execz .LBB908_321
; %bb.320:                              ;   in Loop: Header=BB908_215 Depth=1
	v_and_b32_e32 v57, 7, v46
	v_ffbh_u32_e32 v60, v57
	v_min_u32_e32 v63, 32, v60
	v_subrev_u32_e32 v60, 28, v63
	v_lshlrev_b64 v[60:61], v60, v[46:47]
	v_lshrrev_b32_e32 v62, 3, v59
	v_sub_u32_e32 v46, 29, v63
	v_and_b32_e32 v60, 7, v60
	v_cmp_gt_u32_e32 vcc, 8, v59
	v_cndmask_b32_e32 v46, v62, v46, vcc
	v_cndmask_b32_e32 v57, v57, v60, vcc
	v_lshlrev_b32_e32 v59, 16, v44
	v_lshlrev_b32_e32 v57, 20, v57
	v_and_b32_e32 v59, 0x80000000, v59
	v_lshl_add_u32 v46, v46, 23, v55
	v_or3_b32 v46, v59, v46, v57
	v_lshrrev_b32_e32 v57, 16, v46
.LBB908_321:                            ;   in Loop: Header=BB908_215 Depth=1
	s_or_b64 exec, exec, s[16:17]
.LBB908_322:                            ;   in Loop: Header=BB908_215 Depth=1
	s_or_b64 exec, exec, s[14:15]
.LBB908_323:                            ;   in Loop: Header=BB908_215 Depth=1
	s_or_b64 exec, exec, s[12:13]
	v_lshrrev_b32_e32 v46, 16, v44
	v_cmp_ne_u16_sdwa s[14:15], v46, v54 src0_sel:BYTE_0 src1_sel:DWORD
	s_and_saveexec_b64 s[12:13], s[14:15]
	s_cbranch_execz .LBB908_329
; %bb.324:                              ;   in Loop: Header=BB908_215 Depth=1
	v_cmp_ne_u16_sdwa s[16:17], v46, s9 src0_sel:BYTE_0 src1_sel:DWORD
	v_mov_b32_e32 v58, 0xffff8000
	s_and_saveexec_b64 s[14:15], s[16:17]
	s_cbranch_execz .LBB908_328
; %bb.325:                              ;   in Loop: Header=BB908_215 Depth=1
	v_bfe_u32 v59, v44, 16, 7
	v_cmp_ne_u32_e32 vcc, s21, v59
	v_mov_b32_e32 v58, 0x7f80
	s_and_saveexec_b64 s[16:17], vcc
	s_cbranch_execz .LBB908_327
; %bb.326:                              ;   in Loop: Header=BB908_215 Depth=1
	v_and_b32_e32 v58, 7, v46
	v_ffbh_u32_e32 v60, v58
	v_min_u32_e32 v63, 32, v60
	v_subrev_u32_e32 v60, 28, v63
	v_lshlrev_b64 v[60:61], v60, v[46:47]
	v_lshrrev_b32_e32 v62, 3, v59
	v_sub_u32_e32 v61, 29, v63
	v_and_b32_e32 v60, 7, v60
	v_cmp_gt_u32_e32 vcc, 8, v59
	v_cndmask_b32_e32 v59, v62, v61, vcc
	v_cndmask_b32_e32 v58, v58, v60, vcc
	v_lshlrev_b32_e32 v46, 24, v46
	v_lshlrev_b32_e32 v58, 20, v58
	v_and_b32_e32 v46, 0x80000000, v46
	v_lshl_add_u32 v59, v59, 23, v55
	v_or3_b32 v46, v46, v59, v58
	v_lshrrev_b32_e32 v58, 16, v46
.LBB908_327:                            ;   in Loop: Header=BB908_215 Depth=1
	s_or_b64 exec, exec, s[16:17]
.LBB908_328:                            ;   in Loop: Header=BB908_215 Depth=1
	s_or_b64 exec, exec, s[14:15]
.LBB908_329:                            ;   in Loop: Header=BB908_215 Depth=1
	s_or_b64 exec, exec, s[12:13]
	v_cmp_lt_u32_e32 vcc, s22, v44
	v_mov_b32_e32 v59, 0
	v_mov_b32_e32 v60, 0
	s_and_saveexec_b64 s[12:13], vcc
	s_cbranch_execz .LBB908_335
; %bb.330:                              ;   in Loop: Header=BB908_215 Depth=1
	v_lshrrev_b32_e32 v46, 24, v44
	v_cmp_ne_u32_e32 vcc, s9, v46
	v_mov_b32_e32 v60, 0xffff8000
	s_and_saveexec_b64 s[14:15], vcc
	s_cbranch_execz .LBB908_334
; %bb.331:                              ;   in Loop: Header=BB908_215 Depth=1
	v_bfe_u32 v44, v44, 24, 7
	v_cmp_ne_u32_e32 vcc, s21, v44
	v_mov_b32_e32 v60, 0x7f80
	s_and_saveexec_b64 s[16:17], vcc
	s_cbranch_execz .LBB908_333
; %bb.332:                              ;   in Loop: Header=BB908_215 Depth=1
	v_and_b32_e32 v62, 7, v46
	v_ffbh_u32_e32 v60, v62
	v_min_u32_e32 v64, 32, v60
	v_subrev_u32_e32 v60, 28, v64
	v_lshlrev_b64 v[60:61], v60, v[46:47]
	v_lshrrev_b32_e32 v63, 3, v44
	v_sub_u32_e32 v61, 29, v64
	v_and_b32_e32 v60, 7, v60
	v_cmp_gt_u32_e32 vcc, 8, v44
	v_cndmask_b32_e32 v44, v63, v61, vcc
	v_cndmask_b32_e32 v60, v62, v60, vcc
	v_lshlrev_b32_e32 v46, 24, v46
	v_lshlrev_b32_e32 v60, 20, v60
	v_and_b32_e32 v46, 0x80000000, v46
	v_lshl_add_u32 v44, v44, 23, v55
	v_or3_b32 v44, v46, v44, v60
	v_lshrrev_b32_e32 v60, 16, v44
.LBB908_333:                            ;   in Loop: Header=BB908_215 Depth=1
	s_or_b64 exec, exec, s[16:17]
.LBB908_334:                            ;   in Loop: Header=BB908_215 Depth=1
	s_or_b64 exec, exec, s[14:15]
.LBB908_335:                            ;   in Loop: Header=BB908_215 Depth=1
	s_or_b64 exec, exec, s[12:13]
	s_waitcnt vmcnt(2)
	v_cmp_ne_u16_sdwa s[14:15], v42, v54 src0_sel:BYTE_0 src1_sel:DWORD
	s_and_saveexec_b64 s[12:13], s[14:15]
	s_cbranch_execz .LBB908_341
; %bb.336:                              ;   in Loop: Header=BB908_215 Depth=1
	v_cmp_ne_u16_sdwa s[16:17], v42, s9 src0_sel:BYTE_0 src1_sel:DWORD
	v_mov_b32_e32 v59, 0xffff8000
	s_and_saveexec_b64 s[14:15], s[16:17]
	s_cbranch_execz .LBB908_340
; %bb.337:                              ;   in Loop: Header=BB908_215 Depth=1
	v_and_b32_e32 v44, 0x7f, v42
	v_cmp_ne_u32_e32 vcc, s21, v44
	v_mov_b32_e32 v59, 0x7f80
	s_and_saveexec_b64 s[16:17], vcc
	s_cbranch_execz .LBB908_339
; %bb.338:                              ;   in Loop: Header=BB908_215 Depth=1
	v_and_b32_e32 v46, 7, v42
	v_ffbh_u32_e32 v61, v46
	v_min_u32_e32 v61, 32, v61
	v_subrev_u32_e32 v62, 28, v61
	v_lshlrev_b64 v[62:63], v62, v[42:43]
	v_lshrrev_b32_e32 v59, 3, v44
	v_sub_u32_e32 v61, 29, v61
	v_and_b32_e32 v62, 7, v62
	v_cmp_gt_u32_e32 vcc, 8, v44
	v_cndmask_b32_e32 v44, v59, v61, vcc
	v_cndmask_b32_e32 v46, v46, v62, vcc
	v_lshlrev_b32_e32 v59, 24, v42
	v_lshlrev_b32_e32 v46, 20, v46
	v_and_b32_e32 v59, 0x80000000, v59
	v_lshl_add_u32 v44, v44, 23, v55
	v_or3_b32 v44, v59, v44, v46
	v_lshrrev_b32_e32 v59, 16, v44
.LBB908_339:                            ;   in Loop: Header=BB908_215 Depth=1
	s_or_b64 exec, exec, s[16:17]
.LBB908_340:                            ;   in Loop: Header=BB908_215 Depth=1
	s_or_b64 exec, exec, s[14:15]
.LBB908_341:                            ;   in Loop: Header=BB908_215 Depth=1
	s_or_b64 exec, exec, s[12:13]
	v_lshrrev_b16_e32 v44, 8, v42
	v_cmp_ne_u16_e32 vcc, 0, v44
	v_mov_b32_e32 v62, 0
	v_mov_b32_e32 v61, 0
	s_and_saveexec_b64 s[12:13], vcc
	s_cbranch_execz .LBB908_347
; %bb.342:                              ;   in Loop: Header=BB908_215 Depth=1
	v_cmp_ne_u16_e32 vcc, s9, v44
	v_mov_b32_e32 v61, 0xffff8000
	s_and_saveexec_b64 s[14:15], vcc
	s_cbranch_execz .LBB908_346
; %bb.343:                              ;   in Loop: Header=BB908_215 Depth=1
	v_and_b32_e32 v46, 0x7f, v44
	v_cmp_ne_u32_e32 vcc, s21, v46
	v_mov_b32_e32 v61, 0x7f80
	s_and_saveexec_b64 s[16:17], vcc
	s_cbranch_execz .LBB908_345
; %bb.344:                              ;   in Loop: Header=BB908_215 Depth=1
	v_and_b32_e32 v61, 7, v44
	v_ffbh_u32_e32 v64, v61
	v_min_u32_e32 v66, 32, v64
	v_subrev_u32_e32 v64, 28, v66
	v_lshlrev_b64 v[64:65], v64, v[44:45]
	v_lshrrev_b32_e32 v63, 3, v46
	v_sub_u32_e32 v44, 29, v66
	v_and_b32_e32 v64, 7, v64
	v_cmp_gt_u32_e32 vcc, 8, v46
	v_cndmask_b32_e32 v44, v63, v44, vcc
	v_cndmask_b32_e32 v46, v61, v64, vcc
	v_lshlrev_b32_e32 v61, 16, v42
	v_lshlrev_b32_e32 v46, 20, v46
	v_and_b32_e32 v61, 0x80000000, v61
	v_lshl_add_u32 v44, v44, 23, v55
	v_or3_b32 v44, v61, v44, v46
	v_lshrrev_b32_e32 v61, 16, v44
.LBB908_345:                            ;   in Loop: Header=BB908_215 Depth=1
	s_or_b64 exec, exec, s[16:17]
.LBB908_346:                            ;   in Loop: Header=BB908_215 Depth=1
	s_or_b64 exec, exec, s[14:15]
.LBB908_347:                            ;   in Loop: Header=BB908_215 Depth=1
	s_or_b64 exec, exec, s[12:13]
	v_lshrrev_b32_e32 v44, 16, v42
	v_cmp_ne_u16_sdwa s[14:15], v44, v54 src0_sel:BYTE_0 src1_sel:DWORD
	s_and_saveexec_b64 s[12:13], s[14:15]
	s_cbranch_execz .LBB908_353
; %bb.348:                              ;   in Loop: Header=BB908_215 Depth=1
	v_cmp_ne_u16_sdwa s[16:17], v44, s9 src0_sel:BYTE_0 src1_sel:DWORD
	v_mov_b32_e32 v62, 0xffff8000
	s_and_saveexec_b64 s[14:15], s[16:17]
	s_cbranch_execz .LBB908_352
; %bb.349:                              ;   in Loop: Header=BB908_215 Depth=1
	v_bfe_u32 v46, v42, 16, 7
	v_cmp_ne_u32_e32 vcc, s21, v46
	v_mov_b32_e32 v62, 0x7f80
	s_and_saveexec_b64 s[16:17], vcc
	s_cbranch_execz .LBB908_351
; %bb.350:                              ;   in Loop: Header=BB908_215 Depth=1
	v_and_b32_e32 v64, 7, v44
	v_ffbh_u32_e32 v62, v64
	v_min_u32_e32 v66, 32, v62
	v_subrev_u32_e32 v62, 28, v66
	v_lshlrev_b64 v[62:63], v62, v[44:45]
	v_lshrrev_b32_e32 v65, 3, v46
	v_sub_u32_e32 v63, 29, v66
	v_and_b32_e32 v62, 7, v62
	v_cmp_gt_u32_e32 vcc, 8, v46
	v_cndmask_b32_e32 v46, v65, v63, vcc
	v_cndmask_b32_e32 v62, v64, v62, vcc
	v_lshlrev_b32_e32 v44, 24, v44
	v_lshlrev_b32_e32 v62, 20, v62
	v_and_b32_e32 v44, 0x80000000, v44
	v_lshl_add_u32 v46, v46, 23, v55
	v_or3_b32 v44, v44, v46, v62
	v_lshrrev_b32_e32 v62, 16, v44
.LBB908_351:                            ;   in Loop: Header=BB908_215 Depth=1
	s_or_b64 exec, exec, s[16:17]
.LBB908_352:                            ;   in Loop: Header=BB908_215 Depth=1
	s_or_b64 exec, exec, s[14:15]
.LBB908_353:                            ;   in Loop: Header=BB908_215 Depth=1
	s_or_b64 exec, exec, s[12:13]
	v_cmp_lt_u32_e32 vcc, s22, v42
	v_mov_b32_e32 v46, 0
	v_mov_b32_e32 v63, 0
	s_and_saveexec_b64 s[12:13], vcc
	s_cbranch_execz .LBB908_359
; %bb.354:                              ;   in Loop: Header=BB908_215 Depth=1
	v_lshrrev_b32_e32 v44, 24, v42
	v_cmp_ne_u32_e32 vcc, s9, v44
	v_mov_b32_e32 v63, 0xffff8000
	s_and_saveexec_b64 s[14:15], vcc
	s_cbranch_execz .LBB908_358
; %bb.355:                              ;   in Loop: Header=BB908_215 Depth=1
	v_bfe_u32 v42, v42, 24, 7
	v_cmp_ne_u32_e32 vcc, s21, v42
	v_mov_b32_e32 v63, 0x7f80
	s_and_saveexec_b64 s[16:17], vcc
	s_cbranch_execz .LBB908_357
; %bb.356:                              ;   in Loop: Header=BB908_215 Depth=1
	v_and_b32_e32 v63, 7, v44
	v_ffbh_u32_e32 v64, v63
	v_min_u32_e32 v67, 32, v64
	v_subrev_u32_e32 v64, 28, v67
	v_lshlrev_b64 v[64:65], v64, v[44:45]
	v_lshrrev_b32_e32 v66, 3, v42
	v_sub_u32_e32 v65, 29, v67
	v_and_b32_e32 v64, 7, v64
	v_cmp_gt_u32_e32 vcc, 8, v42
	v_cndmask_b32_e32 v42, v66, v65, vcc
	v_cndmask_b32_e32 v63, v63, v64, vcc
	v_lshlrev_b32_e32 v44, 24, v44
	v_lshlrev_b32_e32 v63, 20, v63
	v_and_b32_e32 v44, 0x80000000, v44
	v_lshl_add_u32 v42, v42, 23, v55
	v_or3_b32 v42, v44, v42, v63
	v_lshrrev_b32_e32 v63, 16, v42
.LBB908_357:                            ;   in Loop: Header=BB908_215 Depth=1
	s_or_b64 exec, exec, s[16:17]
.LBB908_358:                            ;   in Loop: Header=BB908_215 Depth=1
	s_or_b64 exec, exec, s[14:15]
.LBB908_359:                            ;   in Loop: Header=BB908_215 Depth=1
	s_or_b64 exec, exec, s[12:13]
	v_perm_b32 v65, v60, v58, s23
	v_perm_b32 v64, v57, v56, s23
	;; [unrolled: 1-line block ×4, first 2 shown]
	s_waitcnt vmcnt(1)
	v_cmp_ne_u16_sdwa s[14:15], v40, v54 src0_sel:BYTE_0 src1_sel:DWORD
	v_mfma_f32_16x16x16bf16_1k v[34:37], v[64:65], v[10:11], v[34:37]
	v_mfma_f32_16x16x16bf16_1k v[34:37], v[56:57], v[12:13], v[34:37]
	s_and_saveexec_b64 s[12:13], s[14:15]
	s_cbranch_execz .LBB908_365
; %bb.360:                              ;   in Loop: Header=BB908_215 Depth=1
	v_cmp_ne_u16_sdwa s[16:17], v40, s9 src0_sel:BYTE_0 src1_sel:DWORD
	v_mov_b32_e32 v46, 0xffff8000
	s_and_saveexec_b64 s[14:15], s[16:17]
	s_cbranch_execz .LBB908_364
; %bb.361:                              ;   in Loop: Header=BB908_215 Depth=1
	v_and_b32_e32 v42, 0x7f, v40
	v_cmp_ne_u32_e32 vcc, s21, v42
	v_mov_b32_e32 v46, 0x7f80
	s_and_saveexec_b64 s[16:17], vcc
	s_cbranch_execz .LBB908_363
; %bb.362:                              ;   in Loop: Header=BB908_215 Depth=1
	v_and_b32_e32 v44, 7, v40
	v_ffbh_u32_e32 v56, v44
	v_min_u32_e32 v58, 32, v56
	v_subrev_u32_e32 v56, 28, v58
	v_lshlrev_b64 v[56:57], v56, v[40:41]
	v_lshrrev_b32_e32 v46, 3, v42
	v_sub_u32_e32 v57, 29, v58
	v_and_b32_e32 v56, 7, v56
	v_cmp_gt_u32_e32 vcc, 8, v42
	v_cndmask_b32_e32 v42, v46, v57, vcc
	v_cndmask_b32_e32 v44, v44, v56, vcc
	v_lshlrev_b32_e32 v46, 24, v40
	v_lshlrev_b32_e32 v44, 20, v44
	v_and_b32_e32 v46, 0x80000000, v46
	v_lshl_add_u32 v42, v42, 23, v55
	v_or3_b32 v42, v46, v42, v44
	v_lshrrev_b32_e32 v46, 16, v42
.LBB908_363:                            ;   in Loop: Header=BB908_215 Depth=1
	s_or_b64 exec, exec, s[16:17]
.LBB908_364:                            ;   in Loop: Header=BB908_215 Depth=1
	s_or_b64 exec, exec, s[14:15]
.LBB908_365:                            ;   in Loop: Header=BB908_215 Depth=1
	s_or_b64 exec, exec, s[12:13]
	v_lshrrev_b16_e32 v42, 8, v40
	v_cmp_ne_u16_e32 vcc, 0, v42
	v_mov_b32_e32 v57, 0
	v_mov_b32_e32 v44, 0
	s_and_saveexec_b64 s[12:13], vcc
	s_cbranch_execz .LBB908_371
; %bb.366:                              ;   in Loop: Header=BB908_215 Depth=1
	v_cmp_ne_u16_e32 vcc, s9, v42
	v_mov_b32_e32 v44, 0xffff8000
	s_and_saveexec_b64 s[14:15], vcc
	s_cbranch_execz .LBB908_370
; %bb.367:                              ;   in Loop: Header=BB908_215 Depth=1
	v_and_b32_e32 v56, 0x7f, v42
	v_cmp_ne_u32_e32 vcc, s21, v56
	v_mov_b32_e32 v44, 0x7f80
	s_and_saveexec_b64 s[16:17], vcc
	s_cbranch_execz .LBB908_369
; %bb.368:                              ;   in Loop: Header=BB908_215 Depth=1
	v_and_b32_e32 v44, 7, v42
	v_ffbh_u32_e32 v58, v44
	v_min_u32_e32 v61, 32, v58
	v_subrev_u32_e32 v58, 28, v61
	v_lshlrev_b64 v[58:59], v58, v[42:43]
	v_lshrrev_b32_e32 v60, 3, v56
	v_sub_u32_e32 v42, 29, v61
	v_and_b32_e32 v58, 7, v58
	v_cmp_gt_u32_e32 vcc, 8, v56
	v_cndmask_b32_e32 v42, v60, v42, vcc
	v_cndmask_b32_e32 v44, v44, v58, vcc
	v_lshlrev_b32_e32 v56, 16, v40
	v_lshlrev_b32_e32 v44, 20, v44
	v_and_b32_e32 v56, 0x80000000, v56
	v_lshl_add_u32 v42, v42, 23, v55
	v_or3_b32 v42, v56, v42, v44
	v_lshrrev_b32_e32 v44, 16, v42
.LBB908_369:                            ;   in Loop: Header=BB908_215 Depth=1
	s_or_b64 exec, exec, s[16:17]
.LBB908_370:                            ;   in Loop: Header=BB908_215 Depth=1
	s_or_b64 exec, exec, s[14:15]
.LBB908_371:                            ;   in Loop: Header=BB908_215 Depth=1
	s_or_b64 exec, exec, s[12:13]
	v_lshrrev_b32_e32 v42, 16, v40
	v_cmp_ne_u16_sdwa s[14:15], v42, v54 src0_sel:BYTE_0 src1_sel:DWORD
	s_and_saveexec_b64 s[12:13], s[14:15]
	s_cbranch_execz .LBB908_377
; %bb.372:                              ;   in Loop: Header=BB908_215 Depth=1
	v_cmp_ne_u16_sdwa s[16:17], v42, s9 src0_sel:BYTE_0 src1_sel:DWORD
	v_mov_b32_e32 v57, 0xffff8000
	s_and_saveexec_b64 s[14:15], s[16:17]
	s_cbranch_execz .LBB908_376
; %bb.373:                              ;   in Loop: Header=BB908_215 Depth=1
	v_bfe_u32 v56, v40, 16, 7
	v_cmp_ne_u32_e32 vcc, s21, v56
	v_mov_b32_e32 v57, 0x7f80
	s_and_saveexec_b64 s[16:17], vcc
	s_cbranch_execz .LBB908_375
; %bb.374:                              ;   in Loop: Header=BB908_215 Depth=1
	v_and_b32_e32 v57, 7, v42
	v_ffbh_u32_e32 v58, v57
	v_min_u32_e32 v61, 32, v58
	v_subrev_u32_e32 v58, 28, v61
	v_lshlrev_b64 v[58:59], v58, v[42:43]
	v_lshrrev_b32_e32 v60, 3, v56
	v_sub_u32_e32 v59, 29, v61
	v_and_b32_e32 v58, 7, v58
	v_cmp_gt_u32_e32 vcc, 8, v56
	v_cndmask_b32_e32 v56, v60, v59, vcc
	v_cndmask_b32_e32 v57, v57, v58, vcc
	v_lshlrev_b32_e32 v42, 24, v42
	v_lshlrev_b32_e32 v57, 20, v57
	v_and_b32_e32 v42, 0x80000000, v42
	v_lshl_add_u32 v56, v56, 23, v55
	v_or3_b32 v42, v42, v56, v57
	v_lshrrev_b32_e32 v57, 16, v42
.LBB908_375:                            ;   in Loop: Header=BB908_215 Depth=1
	s_or_b64 exec, exec, s[16:17]
.LBB908_376:                            ;   in Loop: Header=BB908_215 Depth=1
	s_or_b64 exec, exec, s[14:15]
.LBB908_377:                            ;   in Loop: Header=BB908_215 Depth=1
	s_or_b64 exec, exec, s[12:13]
	v_cmp_lt_u32_e32 vcc, s22, v40
	v_mov_b32_e32 v58, 0
	v_mov_b32_e32 v59, 0
	s_and_saveexec_b64 s[12:13], vcc
	s_cbranch_execz .LBB908_383
; %bb.378:                              ;   in Loop: Header=BB908_215 Depth=1
	v_lshrrev_b32_e32 v42, 24, v40
	v_cmp_ne_u32_e32 vcc, s9, v42
	v_mov_b32_e32 v59, 0xffff8000
	s_and_saveexec_b64 s[14:15], vcc
	s_cbranch_execz .LBB908_382
; %bb.379:                              ;   in Loop: Header=BB908_215 Depth=1
	v_bfe_u32 v40, v40, 24, 7
	v_cmp_ne_u32_e32 vcc, s21, v40
	v_mov_b32_e32 v59, 0x7f80
	s_and_saveexec_b64 s[16:17], vcc
	s_cbranch_execz .LBB908_381
; %bb.380:                              ;   in Loop: Header=BB908_215 Depth=1
	v_and_b32_e32 v56, 7, v42
	v_ffbh_u32_e32 v60, v56
	v_min_u32_e32 v62, 32, v60
	v_subrev_u32_e32 v60, 28, v62
	v_lshlrev_b64 v[60:61], v60, v[42:43]
	v_lshrrev_b32_e32 v59, 3, v40
	v_sub_u32_e32 v61, 29, v62
	v_and_b32_e32 v60, 7, v60
	v_cmp_gt_u32_e32 vcc, 8, v40
	v_cndmask_b32_e32 v40, v59, v61, vcc
	v_cndmask_b32_e32 v56, v56, v60, vcc
	v_lshlrev_b32_e32 v42, 24, v42
	v_lshlrev_b32_e32 v56, 20, v56
	v_and_b32_e32 v42, 0x80000000, v42
	v_lshl_add_u32 v40, v40, 23, v55
	v_or3_b32 v40, v42, v40, v56
	v_lshrrev_b32_e32 v59, 16, v40
.LBB908_381:                            ;   in Loop: Header=BB908_215 Depth=1
	s_or_b64 exec, exec, s[16:17]
.LBB908_382:                            ;   in Loop: Header=BB908_215 Depth=1
	s_or_b64 exec, exec, s[14:15]
.LBB908_383:                            ;   in Loop: Header=BB908_215 Depth=1
	s_or_b64 exec, exec, s[12:13]
	s_waitcnt vmcnt(0)
	v_cmp_ne_u16_sdwa s[14:15], v38, v54 src0_sel:BYTE_0 src1_sel:DWORD
	s_and_saveexec_b64 s[12:13], s[14:15]
	s_cbranch_execz .LBB908_389
; %bb.384:                              ;   in Loop: Header=BB908_215 Depth=1
	v_cmp_ne_u16_sdwa s[16:17], v38, s9 src0_sel:BYTE_0 src1_sel:DWORD
	v_mov_b32_e32 v58, 0xffff8000
	s_and_saveexec_b64 s[14:15], s[16:17]
	s_cbranch_execz .LBB908_388
; %bb.385:                              ;   in Loop: Header=BB908_215 Depth=1
	v_and_b32_e32 v40, 0x7f, v38
	v_cmp_ne_u32_e32 vcc, s21, v40
	v_mov_b32_e32 v58, 0x7f80
	s_and_saveexec_b64 s[16:17], vcc
	s_cbranch_execz .LBB908_387
; %bb.386:                              ;   in Loop: Header=BB908_215 Depth=1
	v_and_b32_e32 v42, 7, v38
	v_ffbh_u32_e32 v58, v42
	v_min_u32_e32 v58, 32, v58
	v_subrev_u32_e32 v60, 28, v58
	v_lshlrev_b64 v[60:61], v60, v[38:39]
	v_lshrrev_b32_e32 v56, 3, v40
	v_sub_u32_e32 v58, 29, v58
	v_and_b32_e32 v60, 7, v60
	v_cmp_gt_u32_e32 vcc, 8, v40
	v_cndmask_b32_e32 v40, v56, v58, vcc
	v_cndmask_b32_e32 v42, v42, v60, vcc
	v_lshlrev_b32_e32 v56, 24, v38
	v_lshlrev_b32_e32 v42, 20, v42
	v_and_b32_e32 v56, 0x80000000, v56
	v_lshl_add_u32 v40, v40, 23, v55
	v_or3_b32 v40, v56, v40, v42
	v_lshrrev_b32_e32 v58, 16, v40
.LBB908_387:                            ;   in Loop: Header=BB908_215 Depth=1
	s_or_b64 exec, exec, s[16:17]
.LBB908_388:                            ;   in Loop: Header=BB908_215 Depth=1
	s_or_b64 exec, exec, s[14:15]
.LBB908_389:                            ;   in Loop: Header=BB908_215 Depth=1
	s_or_b64 exec, exec, s[12:13]
	v_lshrrev_b16_e32 v40, 8, v38
	v_cmp_ne_u16_e32 vcc, 0, v40
	v_mov_b32_e32 v61, 0
	v_mov_b32_e32 v60, 0
	s_and_saveexec_b64 s[12:13], vcc
	s_cbranch_execz .LBB908_395
; %bb.390:                              ;   in Loop: Header=BB908_215 Depth=1
	v_cmp_ne_u16_e32 vcc, s9, v40
	v_mov_b32_e32 v60, 0xffff8000
	s_and_saveexec_b64 s[14:15], vcc
	s_cbranch_execz .LBB908_394
; %bb.391:                              ;   in Loop: Header=BB908_215 Depth=1
	v_and_b32_e32 v42, 0x7f, v40
	v_cmp_ne_u32_e32 vcc, s21, v42
	v_mov_b32_e32 v60, 0x7f80
	s_and_saveexec_b64 s[16:17], vcc
	s_cbranch_execz .LBB908_393
; %bb.392:                              ;   in Loop: Header=BB908_215 Depth=1
	v_and_b32_e32 v56, 7, v40
	v_ffbh_u32_e32 v62, v56
	v_min_u32_e32 v64, 32, v62
	v_subrev_u32_e32 v62, 28, v64
	v_lshlrev_b64 v[62:63], v62, v[40:41]
	v_lshrrev_b32_e32 v60, 3, v42
	v_sub_u32_e32 v40, 29, v64
	v_and_b32_e32 v62, 7, v62
	v_cmp_gt_u32_e32 vcc, 8, v42
	v_cndmask_b32_e32 v40, v60, v40, vcc
	v_cndmask_b32_e32 v42, v56, v62, vcc
	v_lshlrev_b32_e32 v56, 16, v38
	v_lshlrev_b32_e32 v42, 20, v42
	v_and_b32_e32 v56, 0x80000000, v56
	v_lshl_add_u32 v40, v40, 23, v55
	v_or3_b32 v40, v56, v40, v42
	v_lshrrev_b32_e32 v60, 16, v40
.LBB908_393:                            ;   in Loop: Header=BB908_215 Depth=1
	s_or_b64 exec, exec, s[16:17]
.LBB908_394:                            ;   in Loop: Header=BB908_215 Depth=1
	s_or_b64 exec, exec, s[14:15]
.LBB908_395:                            ;   in Loop: Header=BB908_215 Depth=1
	s_or_b64 exec, exec, s[12:13]
	v_lshrrev_b32_e32 v40, 16, v38
	v_cmp_ne_u16_sdwa s[14:15], v40, v54 src0_sel:BYTE_0 src1_sel:DWORD
	s_and_saveexec_b64 s[12:13], s[14:15]
	s_cbranch_execz .LBB908_401
; %bb.396:                              ;   in Loop: Header=BB908_215 Depth=1
	v_cmp_ne_u16_sdwa s[16:17], v40, s9 src0_sel:BYTE_0 src1_sel:DWORD
	v_mov_b32_e32 v61, 0xffff8000
	s_and_saveexec_b64 s[14:15], s[16:17]
	s_cbranch_execz .LBB908_400
; %bb.397:                              ;   in Loop: Header=BB908_215 Depth=1
	v_bfe_u32 v42, v38, 16, 7
	v_cmp_ne_u32_e32 vcc, s21, v42
	v_mov_b32_e32 v61, 0x7f80
	s_and_saveexec_b64 s[16:17], vcc
	s_cbranch_execz .LBB908_399
; %bb.398:                              ;   in Loop: Header=BB908_215 Depth=1
	v_and_b32_e32 v56, 7, v40
	v_ffbh_u32_e32 v62, v56
	v_min_u32_e32 v64, 32, v62
	v_subrev_u32_e32 v62, 28, v64
	v_lshlrev_b64 v[62:63], v62, v[40:41]
	v_lshrrev_b32_e32 v61, 3, v42
	v_sub_u32_e32 v63, 29, v64
	v_and_b32_e32 v62, 7, v62
	v_cmp_gt_u32_e32 vcc, 8, v42
	v_cndmask_b32_e32 v42, v61, v63, vcc
	v_cndmask_b32_e32 v56, v56, v62, vcc
	v_lshlrev_b32_e32 v40, 24, v40
	v_lshlrev_b32_e32 v56, 20, v56
	v_and_b32_e32 v40, 0x80000000, v40
	v_lshl_add_u32 v42, v42, 23, v55
	v_or3_b32 v40, v40, v42, v56
	v_lshrrev_b32_e32 v61, 16, v40
.LBB908_399:                            ;   in Loop: Header=BB908_215 Depth=1
	s_or_b64 exec, exec, s[16:17]
.LBB908_400:                            ;   in Loop: Header=BB908_215 Depth=1
	s_or_b64 exec, exec, s[14:15]
.LBB908_401:                            ;   in Loop: Header=BB908_215 Depth=1
	s_or_b64 exec, exec, s[12:13]
	v_cmp_lt_u32_e32 vcc, s22, v38
	v_mov_b32_e32 v56, 0
	v_mov_b32_e32 v62, 0
	s_and_saveexec_b64 s[12:13], vcc
	s_cbranch_execz .LBB908_407
; %bb.402:                              ;   in Loop: Header=BB908_215 Depth=1
	v_lshrrev_b32_e32 v40, 24, v38
	v_cmp_ne_u32_e32 vcc, s9, v40
	v_mov_b32_e32 v62, 0xffff8000
	s_and_saveexec_b64 s[14:15], vcc
	s_cbranch_execz .LBB908_406
; %bb.403:                              ;   in Loop: Header=BB908_215 Depth=1
	v_bfe_u32 v38, v38, 24, 7
	v_cmp_ne_u32_e32 vcc, s21, v38
	v_mov_b32_e32 v62, 0x7f80
	s_and_saveexec_b64 s[16:17], vcc
	s_cbranch_execz .LBB908_405
; %bb.404:                              ;   in Loop: Header=BB908_215 Depth=1
	v_and_b32_e32 v42, 7, v40
	v_ffbh_u32_e32 v62, v42
	v_min_u32_e32 v65, 32, v62
	v_subrev_u32_e32 v62, 28, v65
	v_lshlrev_b64 v[62:63], v62, v[40:41]
	v_lshrrev_b32_e32 v64, 3, v38
	v_sub_u32_e32 v63, 29, v65
	v_and_b32_e32 v62, 7, v62
	v_cmp_gt_u32_e32 vcc, 8, v38
	v_cndmask_b32_e32 v38, v64, v63, vcc
	v_cndmask_b32_e32 v42, v42, v62, vcc
	v_lshlrev_b32_e32 v40, 24, v40
	v_lshlrev_b32_e32 v42, 20, v42
	v_and_b32_e32 v40, 0x80000000, v40
	v_lshl_add_u32 v38, v38, 23, v55
	v_or3_b32 v38, v40, v38, v42
	v_lshrrev_b32_e32 v62, 16, v38
.LBB908_405:                            ;   in Loop: Header=BB908_215 Depth=1
	s_or_b64 exec, exec, s[16:17]
.LBB908_406:                            ;   in Loop: Header=BB908_215 Depth=1
	s_or_b64 exec, exec, s[14:15]
.LBB908_407:                            ;   in Loop: Header=BB908_215 Depth=1
	s_or_b64 exec, exec, s[12:13]
	v_perm_b32 v64, v44, v46, s23
	buffer_load_dword v44, v51, s[0:3], 0 offen
	buffer_load_dword v42, v51, s[0:3], 0 offen offset:4
	buffer_load_dword v40, v51, s[0:3], 0 offen offset:8
	;; [unrolled: 1-line block ×3, first 2 shown]
	v_perm_b32 v65, v59, v57, s23
	v_perm_b32 v59, v62, v61, s23
	;; [unrolled: 1-line block ×3, first 2 shown]
	v_mfma_f32_16x16x16bf16_1k v[34:37], v[64:65], v[14:15], v[34:37]
	s_waitcnt vmcnt(3)
	v_cmp_ne_u16_sdwa s[14:15], v44, v54 src0_sel:BYTE_0 src1_sel:DWORD
	v_mfma_f32_16x16x16bf16_1k v[34:37], v[58:59], v[16:17], v[34:37]
	s_and_saveexec_b64 s[12:13], s[14:15]
	s_cbranch_execz .LBB908_413
; %bb.408:                              ;   in Loop: Header=BB908_215 Depth=1
	v_cmp_ne_u16_sdwa s[16:17], v44, s9 src0_sel:BYTE_0 src1_sel:DWORD
	v_mov_b32_e32 v56, 0xffff8000
	s_and_saveexec_b64 s[14:15], s[16:17]
	s_cbranch_execz .LBB908_412
; %bb.409:                              ;   in Loop: Header=BB908_215 Depth=1
	v_and_b32_e32 v46, 0x7f, v44
	v_cmp_ne_u32_e32 vcc, s21, v46
	v_mov_b32_e32 v56, 0x7f80
	s_and_saveexec_b64 s[16:17], vcc
	s_cbranch_execz .LBB908_411
; %bb.410:                              ;   in Loop: Header=BB908_215 Depth=1
	v_and_b32_e32 v51, 7, v44
	v_ffbh_u32_e32 v56, v51
	v_min_u32_e32 v59, 32, v56
	v_subrev_u32_e32 v56, 28, v59
	v_lshlrev_b64 v[56:57], v56, v[44:45]
	v_lshrrev_b32_e32 v58, 3, v46
	v_sub_u32_e32 v57, 29, v59
	v_and_b32_e32 v56, 7, v56
	v_cmp_gt_u32_e32 vcc, 8, v46
	v_cndmask_b32_e32 v46, v58, v57, vcc
	v_cndmask_b32_e32 v51, v51, v56, vcc
	v_lshlrev_b32_e32 v56, 24, v44
	v_lshlrev_b32_e32 v51, 20, v51
	v_and_b32_e32 v56, 0x80000000, v56
	v_lshl_add_u32 v46, v46, 23, v55
	v_or3_b32 v46, v56, v46, v51
	v_lshrrev_b32_e32 v56, 16, v46
.LBB908_411:                            ;   in Loop: Header=BB908_215 Depth=1
	s_or_b64 exec, exec, s[16:17]
.LBB908_412:                            ;   in Loop: Header=BB908_215 Depth=1
	s_or_b64 exec, exec, s[14:15]
.LBB908_413:                            ;   in Loop: Header=BB908_215 Depth=1
	s_or_b64 exec, exec, s[12:13]
	v_lshrrev_b16_e32 v46, 8, v44
	v_cmp_ne_u16_e32 vcc, 0, v46
	v_mov_b32_e32 v57, 0
	v_mov_b32_e32 v51, 0
	s_and_saveexec_b64 s[12:13], vcc
	s_cbranch_execz .LBB908_419
; %bb.414:                              ;   in Loop: Header=BB908_215 Depth=1
	v_cmp_ne_u16_e32 vcc, s9, v46
	v_mov_b32_e32 v51, 0xffff8000
	s_and_saveexec_b64 s[14:15], vcc
	s_cbranch_execz .LBB908_418
; %bb.415:                              ;   in Loop: Header=BB908_215 Depth=1
	v_and_b32_e32 v58, 0x7f, v46
	v_cmp_ne_u32_e32 vcc, s21, v58
	v_mov_b32_e32 v51, 0x7f80
	s_and_saveexec_b64 s[16:17], vcc
	s_cbranch_execz .LBB908_417
; %bb.416:                              ;   in Loop: Header=BB908_215 Depth=1
	v_and_b32_e32 v51, 7, v46
	v_ffbh_u32_e32 v60, v51
	v_min_u32_e32 v62, 32, v60
	v_subrev_u32_e32 v60, 28, v62
	v_lshlrev_b64 v[60:61], v60, v[46:47]
	v_lshrrev_b32_e32 v59, 3, v58
	v_sub_u32_e32 v46, 29, v62
	v_and_b32_e32 v60, 7, v60
	v_cmp_gt_u32_e32 vcc, 8, v58
	v_cndmask_b32_e32 v46, v59, v46, vcc
	v_cndmask_b32_e32 v51, v51, v60, vcc
	v_lshlrev_b32_e32 v58, 16, v44
	v_lshlrev_b32_e32 v51, 20, v51
	v_and_b32_e32 v58, 0x80000000, v58
	v_lshl_add_u32 v46, v46, 23, v55
	v_or3_b32 v46, v58, v46, v51
	v_lshrrev_b32_e32 v51, 16, v46
.LBB908_417:                            ;   in Loop: Header=BB908_215 Depth=1
	s_or_b64 exec, exec, s[16:17]
.LBB908_418:                            ;   in Loop: Header=BB908_215 Depth=1
	s_or_b64 exec, exec, s[14:15]
.LBB908_419:                            ;   in Loop: Header=BB908_215 Depth=1
	s_or_b64 exec, exec, s[12:13]
	v_lshrrev_b32_e32 v46, 16, v44
	v_cmp_ne_u16_sdwa s[14:15], v46, v54 src0_sel:BYTE_0 src1_sel:DWORD
	s_and_saveexec_b64 s[12:13], s[14:15]
	s_cbranch_execz .LBB908_425
; %bb.420:                              ;   in Loop: Header=BB908_215 Depth=1
	v_cmp_ne_u16_sdwa s[16:17], v46, s9 src0_sel:BYTE_0 src1_sel:DWORD
	v_mov_b32_e32 v57, 0xffff8000
	s_and_saveexec_b64 s[14:15], s[16:17]
	s_cbranch_execz .LBB908_424
; %bb.421:                              ;   in Loop: Header=BB908_215 Depth=1
	v_bfe_u32 v58, v44, 16, 7
	v_cmp_ne_u32_e32 vcc, s21, v58
	v_mov_b32_e32 v57, 0x7f80
	s_and_saveexec_b64 s[16:17], vcc
	s_cbranch_execz .LBB908_423
; %bb.422:                              ;   in Loop: Header=BB908_215 Depth=1
	v_and_b32_e32 v57, 7, v46
	v_ffbh_u32_e32 v60, v57
	v_min_u32_e32 v62, 32, v60
	v_subrev_u32_e32 v60, 28, v62
	v_lshlrev_b64 v[60:61], v60, v[46:47]
	v_lshrrev_b32_e32 v59, 3, v58
	v_sub_u32_e32 v61, 29, v62
	v_and_b32_e32 v60, 7, v60
	v_cmp_gt_u32_e32 vcc, 8, v58
	v_cndmask_b32_e32 v58, v59, v61, vcc
	v_cndmask_b32_e32 v57, v57, v60, vcc
	v_lshlrev_b32_e32 v46, 24, v46
	v_lshlrev_b32_e32 v57, 20, v57
	v_and_b32_e32 v46, 0x80000000, v46
	v_lshl_add_u32 v58, v58, 23, v55
	v_or3_b32 v46, v46, v58, v57
	v_lshrrev_b32_e32 v57, 16, v46
.LBB908_423:                            ;   in Loop: Header=BB908_215 Depth=1
	s_or_b64 exec, exec, s[16:17]
.LBB908_424:                            ;   in Loop: Header=BB908_215 Depth=1
	s_or_b64 exec, exec, s[14:15]
.LBB908_425:                            ;   in Loop: Header=BB908_215 Depth=1
	s_or_b64 exec, exec, s[12:13]
	v_cmp_lt_u32_e32 vcc, s22, v44
	v_mov_b32_e32 v58, 0
	v_mov_b32_e32 v59, 0
	s_and_saveexec_b64 s[12:13], vcc
	s_cbranch_execz .LBB908_431
; %bb.426:                              ;   in Loop: Header=BB908_215 Depth=1
	v_lshrrev_b32_e32 v46, 24, v44
	v_cmp_ne_u32_e32 vcc, s9, v46
	v_mov_b32_e32 v59, 0xffff8000
	s_and_saveexec_b64 s[14:15], vcc
	s_cbranch_execz .LBB908_430
; %bb.427:                              ;   in Loop: Header=BB908_215 Depth=1
	v_bfe_u32 v44, v44, 24, 7
	v_cmp_ne_u32_e32 vcc, s21, v44
	v_mov_b32_e32 v59, 0x7f80
	s_and_saveexec_b64 s[16:17], vcc
	s_cbranch_execz .LBB908_429
; %bb.428:                              ;   in Loop: Header=BB908_215 Depth=1
	v_and_b32_e32 v59, 7, v46
	v_ffbh_u32_e32 v60, v59
	v_min_u32_e32 v63, 32, v60
	v_subrev_u32_e32 v60, 28, v63
	v_lshlrev_b64 v[60:61], v60, v[46:47]
	v_lshrrev_b32_e32 v62, 3, v44
	v_sub_u32_e32 v61, 29, v63
	v_and_b32_e32 v60, 7, v60
	v_cmp_gt_u32_e32 vcc, 8, v44
	v_cndmask_b32_e32 v44, v62, v61, vcc
	v_cndmask_b32_e32 v59, v59, v60, vcc
	v_lshlrev_b32_e32 v46, 24, v46
	v_lshlrev_b32_e32 v59, 20, v59
	v_and_b32_e32 v46, 0x80000000, v46
	v_lshl_add_u32 v44, v44, 23, v55
	v_or3_b32 v44, v46, v44, v59
	v_lshrrev_b32_e32 v59, 16, v44
.LBB908_429:                            ;   in Loop: Header=BB908_215 Depth=1
	s_or_b64 exec, exec, s[16:17]
.LBB908_430:                            ;   in Loop: Header=BB908_215 Depth=1
	s_or_b64 exec, exec, s[14:15]
.LBB908_431:                            ;   in Loop: Header=BB908_215 Depth=1
	s_or_b64 exec, exec, s[12:13]
	s_waitcnt vmcnt(2)
	v_cmp_ne_u16_sdwa s[14:15], v42, v54 src0_sel:BYTE_0 src1_sel:DWORD
	s_and_saveexec_b64 s[12:13], s[14:15]
	s_cbranch_execz .LBB908_437
; %bb.432:                              ;   in Loop: Header=BB908_215 Depth=1
	v_cmp_ne_u16_sdwa s[16:17], v42, s9 src0_sel:BYTE_0 src1_sel:DWORD
	v_mov_b32_e32 v58, 0xffff8000
	s_and_saveexec_b64 s[14:15], s[16:17]
	s_cbranch_execz .LBB908_436
; %bb.433:                              ;   in Loop: Header=BB908_215 Depth=1
	v_and_b32_e32 v44, 0x7f, v42
	v_cmp_ne_u32_e32 vcc, s21, v44
	v_mov_b32_e32 v58, 0x7f80
	s_and_saveexec_b64 s[16:17], vcc
	s_cbranch_execz .LBB908_435
; %bb.434:                              ;   in Loop: Header=BB908_215 Depth=1
	v_and_b32_e32 v46, 7, v42
	v_ffbh_u32_e32 v60, v46
	v_min_u32_e32 v62, 32, v60
	v_subrev_u32_e32 v60, 28, v62
	v_lshlrev_b64 v[60:61], v60, v[42:43]
	v_lshrrev_b32_e32 v58, 3, v44
	v_sub_u32_e32 v61, 29, v62
	v_and_b32_e32 v60, 7, v60
	v_cmp_gt_u32_e32 vcc, 8, v44
	v_cndmask_b32_e32 v44, v58, v61, vcc
	v_cndmask_b32_e32 v46, v46, v60, vcc
	v_lshlrev_b32_e32 v58, 24, v42
	v_lshlrev_b32_e32 v46, 20, v46
	v_and_b32_e32 v58, 0x80000000, v58
	v_lshl_add_u32 v44, v44, 23, v55
	v_or3_b32 v44, v58, v44, v46
	v_lshrrev_b32_e32 v58, 16, v44
.LBB908_435:                            ;   in Loop: Header=BB908_215 Depth=1
	s_or_b64 exec, exec, s[16:17]
.LBB908_436:                            ;   in Loop: Header=BB908_215 Depth=1
	s_or_b64 exec, exec, s[14:15]
.LBB908_437:                            ;   in Loop: Header=BB908_215 Depth=1
	s_or_b64 exec, exec, s[12:13]
	v_lshrrev_b16_e32 v44, 8, v42
	v_cmp_ne_u16_e32 vcc, 0, v44
	v_mov_b32_e32 v61, 0
	v_mov_b32_e32 v60, 0
	s_and_saveexec_b64 s[12:13], vcc
	s_cbranch_execz .LBB908_443
; %bb.438:                              ;   in Loop: Header=BB908_215 Depth=1
	v_cmp_ne_u16_e32 vcc, s9, v44
	v_mov_b32_e32 v60, 0xffff8000
	s_and_saveexec_b64 s[14:15], vcc
	s_cbranch_execz .LBB908_442
; %bb.439:                              ;   in Loop: Header=BB908_215 Depth=1
	v_and_b32_e32 v46, 0x7f, v44
	v_cmp_ne_u32_e32 vcc, s21, v46
	v_mov_b32_e32 v60, 0x7f80
	s_and_saveexec_b64 s[16:17], vcc
	s_cbranch_execz .LBB908_441
; %bb.440:                              ;   in Loop: Header=BB908_215 Depth=1
	v_and_b32_e32 v60, 7, v44
	v_ffbh_u32_e32 v62, v60
	v_min_u32_e32 v65, 32, v62
	v_subrev_u32_e32 v62, 28, v65
	v_lshlrev_b64 v[62:63], v62, v[44:45]
	v_lshrrev_b32_e32 v64, 3, v46
	v_sub_u32_e32 v44, 29, v65
	v_and_b32_e32 v62, 7, v62
	v_cmp_gt_u32_e32 vcc, 8, v46
	v_cndmask_b32_e32 v44, v64, v44, vcc
	v_cndmask_b32_e32 v46, v60, v62, vcc
	v_lshlrev_b32_e32 v60, 16, v42
	v_lshlrev_b32_e32 v46, 20, v46
	v_and_b32_e32 v60, 0x80000000, v60
	v_lshl_add_u32 v44, v44, 23, v55
	v_or3_b32 v44, v60, v44, v46
	v_lshrrev_b32_e32 v60, 16, v44
.LBB908_441:                            ;   in Loop: Header=BB908_215 Depth=1
	s_or_b64 exec, exec, s[16:17]
.LBB908_442:                            ;   in Loop: Header=BB908_215 Depth=1
	s_or_b64 exec, exec, s[14:15]
.LBB908_443:                            ;   in Loop: Header=BB908_215 Depth=1
	s_or_b64 exec, exec, s[12:13]
	v_lshrrev_b32_e32 v44, 16, v42
	v_cmp_ne_u16_sdwa s[14:15], v44, v54 src0_sel:BYTE_0 src1_sel:DWORD
	s_and_saveexec_b64 s[12:13], s[14:15]
	s_cbranch_execz .LBB908_449
; %bb.444:                              ;   in Loop: Header=BB908_215 Depth=1
	v_cmp_ne_u16_sdwa s[16:17], v44, s9 src0_sel:BYTE_0 src1_sel:DWORD
	v_mov_b32_e32 v61, 0xffff8000
	s_and_saveexec_b64 s[14:15], s[16:17]
	s_cbranch_execz .LBB908_448
; %bb.445:                              ;   in Loop: Header=BB908_215 Depth=1
	v_bfe_u32 v46, v42, 16, 7
	v_cmp_ne_u32_e32 vcc, s21, v46
	v_mov_b32_e32 v61, 0x7f80
	s_and_saveexec_b64 s[16:17], vcc
	s_cbranch_execz .LBB908_447
; %bb.446:                              ;   in Loop: Header=BB908_215 Depth=1
	v_and_b32_e32 v61, 7, v44
	v_ffbh_u32_e32 v62, v61
	v_min_u32_e32 v65, 32, v62
	v_subrev_u32_e32 v62, 28, v65
	v_lshlrev_b64 v[62:63], v62, v[44:45]
	v_lshrrev_b32_e32 v64, 3, v46
	v_sub_u32_e32 v63, 29, v65
	v_and_b32_e32 v62, 7, v62
	v_cmp_gt_u32_e32 vcc, 8, v46
	v_cndmask_b32_e32 v46, v64, v63, vcc
	v_cndmask_b32_e32 v61, v61, v62, vcc
	v_lshlrev_b32_e32 v44, 24, v44
	v_lshlrev_b32_e32 v61, 20, v61
	v_and_b32_e32 v44, 0x80000000, v44
	v_lshl_add_u32 v46, v46, 23, v55
	v_or3_b32 v44, v44, v46, v61
	v_lshrrev_b32_e32 v61, 16, v44
.LBB908_447:                            ;   in Loop: Header=BB908_215 Depth=1
	s_or_b64 exec, exec, s[16:17]
.LBB908_448:                            ;   in Loop: Header=BB908_215 Depth=1
	s_or_b64 exec, exec, s[14:15]
.LBB908_449:                            ;   in Loop: Header=BB908_215 Depth=1
	s_or_b64 exec, exec, s[12:13]
	v_cmp_lt_u32_e32 vcc, s22, v42
	v_mov_b32_e32 v46, 0
	v_mov_b32_e32 v62, 0
	s_and_saveexec_b64 s[12:13], vcc
	s_cbranch_execz .LBB908_455
; %bb.450:                              ;   in Loop: Header=BB908_215 Depth=1
	v_lshrrev_b32_e32 v44, 24, v42
	v_cmp_ne_u32_e32 vcc, s9, v44
	v_mov_b32_e32 v62, 0xffff8000
	s_and_saveexec_b64 s[14:15], vcc
	s_cbranch_execz .LBB908_454
; %bb.451:                              ;   in Loop: Header=BB908_215 Depth=1
	v_bfe_u32 v42, v42, 24, 7
	v_cmp_ne_u32_e32 vcc, s21, v42
	v_mov_b32_e32 v62, 0x7f80
	s_and_saveexec_b64 s[16:17], vcc
	s_cbranch_execz .LBB908_453
; %bb.452:                              ;   in Loop: Header=BB908_215 Depth=1
	v_and_b32_e32 v64, 7, v44
	v_ffbh_u32_e32 v62, v64
	v_min_u32_e32 v66, 32, v62
	v_subrev_u32_e32 v62, 28, v66
	v_lshlrev_b64 v[62:63], v62, v[44:45]
	v_lshrrev_b32_e32 v65, 3, v42
	v_sub_u32_e32 v63, 29, v66
	v_and_b32_e32 v62, 7, v62
	v_cmp_gt_u32_e32 vcc, 8, v42
	v_cndmask_b32_e32 v42, v65, v63, vcc
	v_cndmask_b32_e32 v62, v64, v62, vcc
	v_lshlrev_b32_e32 v44, 24, v44
	v_lshlrev_b32_e32 v62, 20, v62
	v_and_b32_e32 v44, 0x80000000, v44
	v_lshl_add_u32 v42, v42, 23, v55
	v_or3_b32 v42, v44, v42, v62
	v_lshrrev_b32_e32 v62, 16, v42
.LBB908_453:                            ;   in Loop: Header=BB908_215 Depth=1
	s_or_b64 exec, exec, s[16:17]
.LBB908_454:                            ;   in Loop: Header=BB908_215 Depth=1
	s_or_b64 exec, exec, s[14:15]
.LBB908_455:                            ;   in Loop: Header=BB908_215 Depth=1
	s_or_b64 exec, exec, s[12:13]
	v_perm_b32 v57, v59, v57, s23
	v_perm_b32 v56, v51, v56, s23
	s_waitcnt vmcnt(1)
	v_cmp_ne_u16_sdwa s[14:15], v40, v54 src0_sel:BYTE_0 src1_sel:DWORD
	v_mfma_f32_16x16x16bf16_1k v[34:37], v[56:57], v[18:19], v[34:37]
	v_perm_b32 v57, v62, v61, s23
	v_perm_b32 v56, v60, v58, s23
	s_nop 1
	v_mfma_f32_16x16x16bf16_1k v[34:37], v[56:57], v[20:21], v[34:37]
	s_and_saveexec_b64 s[12:13], s[14:15]
	s_cbranch_execz .LBB908_461
; %bb.456:                              ;   in Loop: Header=BB908_215 Depth=1
	v_cmp_ne_u16_sdwa s[16:17], v40, s9 src0_sel:BYTE_0 src1_sel:DWORD
	v_mov_b32_e32 v46, 0xffff8000
	s_and_saveexec_b64 s[14:15], s[16:17]
	s_cbranch_execz .LBB908_460
; %bb.457:                              ;   in Loop: Header=BB908_215 Depth=1
	v_and_b32_e32 v42, 0x7f, v40
	v_cmp_ne_u32_e32 vcc, s21, v42
	v_mov_b32_e32 v46, 0x7f80
	s_and_saveexec_b64 s[16:17], vcc
	s_cbranch_execz .LBB908_459
; %bb.458:                              ;   in Loop: Header=BB908_215 Depth=1
	v_and_b32_e32 v44, 7, v40
	v_ffbh_u32_e32 v51, v44
	v_min_u32_e32 v51, 32, v51
	v_subrev_u32_e32 v56, 28, v51
	v_lshlrev_b64 v[56:57], v56, v[40:41]
	v_lshrrev_b32_e32 v46, 3, v42
	v_sub_u32_e32 v51, 29, v51
	v_and_b32_e32 v56, 7, v56
	v_cmp_gt_u32_e32 vcc, 8, v42
	v_cndmask_b32_e32 v42, v46, v51, vcc
	v_cndmask_b32_e32 v44, v44, v56, vcc
	v_lshlrev_b32_e32 v46, 24, v40
	v_lshlrev_b32_e32 v44, 20, v44
	v_and_b32_e32 v46, 0x80000000, v46
	v_lshl_add_u32 v42, v42, 23, v55
	v_or3_b32 v42, v46, v42, v44
	v_lshrrev_b32_e32 v46, 16, v42
.LBB908_459:                            ;   in Loop: Header=BB908_215 Depth=1
	s_or_b64 exec, exec, s[16:17]
.LBB908_460:                            ;   in Loop: Header=BB908_215 Depth=1
	s_or_b64 exec, exec, s[14:15]
.LBB908_461:                            ;   in Loop: Header=BB908_215 Depth=1
	s_or_b64 exec, exec, s[12:13]
	v_lshrrev_b16_e32 v42, 8, v40
	v_cmp_ne_u16_e32 vcc, 0, v42
	v_mov_b32_e32 v56, 0
	v_mov_b32_e32 v44, 0
	s_and_saveexec_b64 s[12:13], vcc
	s_cbranch_execz .LBB908_467
; %bb.462:                              ;   in Loop: Header=BB908_215 Depth=1
	v_cmp_ne_u16_e32 vcc, s9, v42
	v_mov_b32_e32 v44, 0xffff8000
	s_and_saveexec_b64 s[14:15], vcc
	s_cbranch_execz .LBB908_466
; %bb.463:                              ;   in Loop: Header=BB908_215 Depth=1
	v_and_b32_e32 v51, 0x7f, v42
	v_cmp_ne_u32_e32 vcc, s21, v51
	v_mov_b32_e32 v44, 0x7f80
	s_and_saveexec_b64 s[16:17], vcc
	s_cbranch_execz .LBB908_465
; %bb.464:                              ;   in Loop: Header=BB908_215 Depth=1
	v_and_b32_e32 v44, 7, v42
	v_ffbh_u32_e32 v58, v44
	v_min_u32_e32 v60, 32, v58
	v_subrev_u32_e32 v58, 28, v60
	v_lshlrev_b64 v[58:59], v58, v[42:43]
	v_lshrrev_b32_e32 v57, 3, v51
	v_sub_u32_e32 v42, 29, v60
	v_and_b32_e32 v58, 7, v58
	v_cmp_gt_u32_e32 vcc, 8, v51
	v_cndmask_b32_e32 v42, v57, v42, vcc
	v_cndmask_b32_e32 v44, v44, v58, vcc
	v_lshlrev_b32_e32 v51, 16, v40
	v_lshlrev_b32_e32 v44, 20, v44
	v_and_b32_e32 v51, 0x80000000, v51
	v_lshl_add_u32 v42, v42, 23, v55
	v_or3_b32 v42, v51, v42, v44
	v_lshrrev_b32_e32 v44, 16, v42
.LBB908_465:                            ;   in Loop: Header=BB908_215 Depth=1
	s_or_b64 exec, exec, s[16:17]
.LBB908_466:                            ;   in Loop: Header=BB908_215 Depth=1
	s_or_b64 exec, exec, s[14:15]
.LBB908_467:                            ;   in Loop: Header=BB908_215 Depth=1
	s_or_b64 exec, exec, s[12:13]
	v_lshrrev_b32_e32 v42, 16, v40
	v_cmp_ne_u16_sdwa s[14:15], v42, v54 src0_sel:BYTE_0 src1_sel:DWORD
	s_and_saveexec_b64 s[12:13], s[14:15]
	s_cbranch_execz .LBB908_473
; %bb.468:                              ;   in Loop: Header=BB908_215 Depth=1
	v_cmp_ne_u16_sdwa s[16:17], v42, s9 src0_sel:BYTE_0 src1_sel:DWORD
	v_mov_b32_e32 v56, 0xffff8000
	s_and_saveexec_b64 s[14:15], s[16:17]
	s_cbranch_execz .LBB908_472
; %bb.469:                              ;   in Loop: Header=BB908_215 Depth=1
	v_bfe_u32 v51, v40, 16, 7
	v_cmp_ne_u32_e32 vcc, s21, v51
	v_mov_b32_e32 v56, 0x7f80
	s_and_saveexec_b64 s[16:17], vcc
	s_cbranch_execz .LBB908_471
; %bb.470:                              ;   in Loop: Header=BB908_215 Depth=1
	v_and_b32_e32 v58, 7, v42
	v_ffbh_u32_e32 v56, v58
	v_min_u32_e32 v60, 32, v56
	v_subrev_u32_e32 v56, 28, v60
	v_lshlrev_b64 v[56:57], v56, v[42:43]
	v_lshrrev_b32_e32 v59, 3, v51
	v_sub_u32_e32 v57, 29, v60
	v_and_b32_e32 v56, 7, v56
	v_cmp_gt_u32_e32 vcc, 8, v51
	v_cndmask_b32_e32 v51, v59, v57, vcc
	v_cndmask_b32_e32 v56, v58, v56, vcc
	v_lshlrev_b32_e32 v42, 24, v42
	v_lshlrev_b32_e32 v56, 20, v56
	v_and_b32_e32 v42, 0x80000000, v42
	v_lshl_add_u32 v51, v51, 23, v55
	v_or3_b32 v42, v42, v51, v56
	v_lshrrev_b32_e32 v56, 16, v42
.LBB908_471:                            ;   in Loop: Header=BB908_215 Depth=1
	s_or_b64 exec, exec, s[16:17]
.LBB908_472:                            ;   in Loop: Header=BB908_215 Depth=1
	s_or_b64 exec, exec, s[14:15]
.LBB908_473:                            ;   in Loop: Header=BB908_215 Depth=1
	s_or_b64 exec, exec, s[12:13]
	v_cmp_lt_u32_e32 vcc, s22, v40
	v_mov_b32_e32 v57, 0
	v_mov_b32_e32 v58, 0
	s_and_saveexec_b64 s[12:13], vcc
	s_cbranch_execz .LBB908_479
; %bb.474:                              ;   in Loop: Header=BB908_215 Depth=1
	v_lshrrev_b32_e32 v42, 24, v40
	v_cmp_ne_u32_e32 vcc, s9, v42
	v_mov_b32_e32 v58, 0xffff8000
	s_and_saveexec_b64 s[14:15], vcc
	s_cbranch_execz .LBB908_478
; %bb.475:                              ;   in Loop: Header=BB908_215 Depth=1
	v_bfe_u32 v40, v40, 24, 7
	v_cmp_ne_u32_e32 vcc, s21, v40
	v_mov_b32_e32 v58, 0x7f80
	s_and_saveexec_b64 s[16:17], vcc
	s_cbranch_execz .LBB908_477
; %bb.476:                              ;   in Loop: Header=BB908_215 Depth=1
	v_and_b32_e32 v51, 7, v42
	v_ffbh_u32_e32 v58, v51
	v_min_u32_e32 v61, 32, v58
	v_subrev_u32_e32 v58, 28, v61
	v_lshlrev_b64 v[58:59], v58, v[42:43]
	v_lshrrev_b32_e32 v60, 3, v40
	v_sub_u32_e32 v59, 29, v61
	v_and_b32_e32 v58, 7, v58
	v_cmp_gt_u32_e32 vcc, 8, v40
	v_cndmask_b32_e32 v40, v60, v59, vcc
	v_cndmask_b32_e32 v51, v51, v58, vcc
	v_lshlrev_b32_e32 v42, 24, v42
	v_lshlrev_b32_e32 v51, 20, v51
	v_and_b32_e32 v42, 0x80000000, v42
	v_lshl_add_u32 v40, v40, 23, v55
	v_or3_b32 v40, v42, v40, v51
	v_lshrrev_b32_e32 v58, 16, v40
.LBB908_477:                            ;   in Loop: Header=BB908_215 Depth=1
	s_or_b64 exec, exec, s[16:17]
.LBB908_478:                            ;   in Loop: Header=BB908_215 Depth=1
	s_or_b64 exec, exec, s[14:15]
.LBB908_479:                            ;   in Loop: Header=BB908_215 Depth=1
	s_or_b64 exec, exec, s[12:13]
	s_waitcnt vmcnt(0)
	v_cmp_ne_u16_sdwa s[14:15], v38, v54 src0_sel:BYTE_0 src1_sel:DWORD
	s_and_saveexec_b64 s[12:13], s[14:15]
	s_cbranch_execz .LBB908_485
; %bb.480:                              ;   in Loop: Header=BB908_215 Depth=1
	v_cmp_ne_u16_sdwa s[16:17], v38, s9 src0_sel:BYTE_0 src1_sel:DWORD
	v_mov_b32_e32 v57, 0xffff8000
	s_and_saveexec_b64 s[14:15], s[16:17]
	s_cbranch_execz .LBB908_484
; %bb.481:                              ;   in Loop: Header=BB908_215 Depth=1
	v_and_b32_e32 v40, 0x7f, v38
	v_cmp_ne_u32_e32 vcc, s21, v40
	v_mov_b32_e32 v57, 0x7f80
	s_and_saveexec_b64 s[16:17], vcc
	s_cbranch_execz .LBB908_483
; %bb.482:                              ;   in Loop: Header=BB908_215 Depth=1
	v_and_b32_e32 v42, 7, v38
	v_ffbh_u32_e32 v57, v42
	v_min_u32_e32 v57, 32, v57
	v_subrev_u32_e32 v59, 28, v57
	v_lshlrev_b64 v[60:61], v59, v[38:39]
	v_lshrrev_b32_e32 v51, 3, v40
	v_sub_u32_e32 v57, 29, v57
	v_and_b32_e32 v59, 7, v60
	v_cmp_gt_u32_e32 vcc, 8, v40
	v_cndmask_b32_e32 v40, v51, v57, vcc
	v_cndmask_b32_e32 v42, v42, v59, vcc
	v_lshlrev_b32_e32 v51, 24, v38
	v_lshlrev_b32_e32 v42, 20, v42
	v_and_b32_e32 v51, 0x80000000, v51
	v_lshl_add_u32 v40, v40, 23, v55
	v_or3_b32 v40, v51, v40, v42
	v_lshrrev_b32_e32 v57, 16, v40
.LBB908_483:                            ;   in Loop: Header=BB908_215 Depth=1
	s_or_b64 exec, exec, s[16:17]
.LBB908_484:                            ;   in Loop: Header=BB908_215 Depth=1
	s_or_b64 exec, exec, s[14:15]
.LBB908_485:                            ;   in Loop: Header=BB908_215 Depth=1
	s_or_b64 exec, exec, s[12:13]
	v_lshrrev_b16_e32 v40, 8, v38
	v_cmp_ne_u16_e32 vcc, 0, v40
	v_mov_b32_e32 v60, 0
	v_mov_b32_e32 v59, 0
	s_and_saveexec_b64 s[12:13], vcc
	s_cbranch_execz .LBB908_491
; %bb.486:                              ;   in Loop: Header=BB908_215 Depth=1
	v_cmp_ne_u16_e32 vcc, s9, v40
	v_mov_b32_e32 v59, 0xffff8000
	s_and_saveexec_b64 s[14:15], vcc
	s_cbranch_execz .LBB908_490
; %bb.487:                              ;   in Loop: Header=BB908_215 Depth=1
	v_and_b32_e32 v42, 0x7f, v40
	v_cmp_ne_u32_e32 vcc, s21, v42
	v_mov_b32_e32 v59, 0x7f80
	s_and_saveexec_b64 s[16:17], vcc
	s_cbranch_execz .LBB908_489
; %bb.488:                              ;   in Loop: Header=BB908_215 Depth=1
	v_and_b32_e32 v51, 7, v40
	v_ffbh_u32_e32 v61, v51
	v_min_u32_e32 v61, 32, v61
	v_subrev_u32_e32 v62, 28, v61
	v_lshlrev_b64 v[62:63], v62, v[40:41]
	v_lshrrev_b32_e32 v59, 3, v42
	v_sub_u32_e32 v40, 29, v61
	v_and_b32_e32 v61, 7, v62
	v_cmp_gt_u32_e32 vcc, 8, v42
	v_cndmask_b32_e32 v40, v59, v40, vcc
	v_cndmask_b32_e32 v42, v51, v61, vcc
	v_lshlrev_b32_e32 v51, 16, v38
	v_lshlrev_b32_e32 v42, 20, v42
	v_and_b32_e32 v51, 0x80000000, v51
	v_lshl_add_u32 v40, v40, 23, v55
	v_or3_b32 v40, v51, v40, v42
	v_lshrrev_b32_e32 v59, 16, v40
.LBB908_489:                            ;   in Loop: Header=BB908_215 Depth=1
	s_or_b64 exec, exec, s[16:17]
.LBB908_490:                            ;   in Loop: Header=BB908_215 Depth=1
	s_or_b64 exec, exec, s[14:15]
.LBB908_491:                            ;   in Loop: Header=BB908_215 Depth=1
	s_or_b64 exec, exec, s[12:13]
	v_lshrrev_b32_e32 v40, 16, v38
	v_cmp_ne_u16_sdwa s[14:15], v40, v54 src0_sel:BYTE_0 src1_sel:DWORD
	s_and_saveexec_b64 s[12:13], s[14:15]
	s_cbranch_execz .LBB908_497
; %bb.492:                              ;   in Loop: Header=BB908_215 Depth=1
	v_cmp_ne_u16_sdwa s[16:17], v40, s9 src0_sel:BYTE_0 src1_sel:DWORD
	v_mov_b32_e32 v60, 0xffff8000
	s_and_saveexec_b64 s[14:15], s[16:17]
	s_cbranch_execz .LBB908_496
; %bb.493:                              ;   in Loop: Header=BB908_215 Depth=1
	v_bfe_u32 v42, v38, 16, 7
	v_cmp_ne_u32_e32 vcc, s21, v42
	v_mov_b32_e32 v60, 0x7f80
	s_and_saveexec_b64 s[16:17], vcc
	s_cbranch_execz .LBB908_495
; %bb.494:                              ;   in Loop: Header=BB908_215 Depth=1
	v_and_b32_e32 v51, 7, v40
	v_ffbh_u32_e32 v60, v51
	v_min_u32_e32 v63, 32, v60
	v_subrev_u32_e32 v60, 28, v63
	v_lshlrev_b64 v[60:61], v60, v[40:41]
	v_lshrrev_b32_e32 v62, 3, v42
	v_sub_u32_e32 v61, 29, v63
	v_and_b32_e32 v60, 7, v60
	v_cmp_gt_u32_e32 vcc, 8, v42
	v_cndmask_b32_e32 v42, v62, v61, vcc
	v_cndmask_b32_e32 v51, v51, v60, vcc
	v_lshlrev_b32_e32 v40, 24, v40
	v_lshlrev_b32_e32 v51, 20, v51
	v_and_b32_e32 v40, 0x80000000, v40
	v_lshl_add_u32 v42, v42, 23, v55
	v_or3_b32 v40, v40, v42, v51
	v_lshrrev_b32_e32 v60, 16, v40
.LBB908_495:                            ;   in Loop: Header=BB908_215 Depth=1
	s_or_b64 exec, exec, s[16:17]
.LBB908_496:                            ;   in Loop: Header=BB908_215 Depth=1
	s_or_b64 exec, exec, s[14:15]
.LBB908_497:                            ;   in Loop: Header=BB908_215 Depth=1
	s_or_b64 exec, exec, s[12:13]
	v_cmp_lt_u32_e32 vcc, s22, v38
	v_mov_b32_e32 v51, 0
	v_mov_b32_e32 v61, 0
	s_and_saveexec_b64 s[12:13], vcc
	s_cbranch_execz .LBB908_503
; %bb.498:                              ;   in Loop: Header=BB908_215 Depth=1
	v_lshrrev_b32_e32 v40, 24, v38
	v_cmp_ne_u32_e32 vcc, s9, v40
	v_mov_b32_e32 v61, 0xffff8000
	s_and_saveexec_b64 s[14:15], vcc
	s_cbranch_execz .LBB908_502
; %bb.499:                              ;   in Loop: Header=BB908_215 Depth=1
	v_bfe_u32 v38, v38, 24, 7
	v_cmp_ne_u32_e32 vcc, s21, v38
	v_mov_b32_e32 v61, 0x7f80
	s_and_saveexec_b64 s[16:17], vcc
	s_cbranch_execz .LBB908_501
; %bb.500:                              ;   in Loop: Header=BB908_215 Depth=1
	v_and_b32_e32 v42, 7, v40
	v_ffbh_u32_e32 v62, v42
	v_min_u32_e32 v64, 32, v62
	v_subrev_u32_e32 v62, 28, v64
	v_lshlrev_b64 v[62:63], v62, v[40:41]
	v_lshrrev_b32_e32 v61, 3, v38
	v_sub_u32_e32 v63, 29, v64
	v_and_b32_e32 v62, 7, v62
	v_cmp_gt_u32_e32 vcc, 8, v38
	v_cndmask_b32_e32 v38, v61, v63, vcc
	v_cndmask_b32_e32 v42, v42, v62, vcc
	v_lshlrev_b32_e32 v40, 24, v40
	v_lshlrev_b32_e32 v42, 20, v42
	v_and_b32_e32 v40, 0x80000000, v40
	v_lshl_add_u32 v38, v38, 23, v55
	v_or3_b32 v38, v40, v38, v42
	v_lshrrev_b32_e32 v61, 16, v38
.LBB908_501:                            ;   in Loop: Header=BB908_215 Depth=1
	s_or_b64 exec, exec, s[16:17]
.LBB908_502:                            ;   in Loop: Header=BB908_215 Depth=1
	s_or_b64 exec, exec, s[14:15]
.LBB908_503:                            ;   in Loop: Header=BB908_215 Depth=1
	s_or_b64 exec, exec, s[12:13]
	v_perm_b32 v62, v44, v46, s23
	buffer_load_dword v44, v50, s[0:3], 0 offen
	buffer_load_dword v42, v50, s[0:3], 0 offen offset:4
	buffer_load_dword v40, v50, s[0:3], 0 offen offset:8
	buffer_load_dword v38, v50, s[0:3], 0 offen offset:12
	v_perm_b32 v63, v58, v56, s23
	v_perm_b32 v61, v61, v60, s23
	;; [unrolled: 1-line block ×3, first 2 shown]
	v_mfma_f32_16x16x16bf16_1k v[34:37], v[62:63], v[22:23], v[34:37]
	s_waitcnt vmcnt(3)
	v_cmp_ne_u16_sdwa s[14:15], v44, v54 src0_sel:BYTE_0 src1_sel:DWORD
	v_mfma_f32_16x16x16bf16_1k v[34:37], v[60:61], v[24:25], v[34:37]
	s_and_saveexec_b64 s[12:13], s[14:15]
	s_cbranch_execz .LBB908_509
; %bb.504:                              ;   in Loop: Header=BB908_215 Depth=1
	v_cmp_ne_u16_sdwa s[16:17], v44, s9 src0_sel:BYTE_0 src1_sel:DWORD
	v_mov_b32_e32 v51, 0xffff8000
	s_and_saveexec_b64 s[14:15], s[16:17]
	s_cbranch_execz .LBB908_508
; %bb.505:                              ;   in Loop: Header=BB908_215 Depth=1
	v_and_b32_e32 v46, 0x7f, v44
	v_cmp_ne_u32_e32 vcc, s21, v46
	v_mov_b32_e32 v51, 0x7f80
	s_and_saveexec_b64 s[16:17], vcc
	s_cbranch_execz .LBB908_507
; %bb.506:                              ;   in Loop: Header=BB908_215 Depth=1
	v_and_b32_e32 v56, 7, v44
	v_ffbh_u32_e32 v50, v56
	v_min_u32_e32 v58, 32, v50
	v_subrev_u32_e32 v50, 28, v58
	v_lshlrev_b64 v[50:51], v50, v[44:45]
	v_lshrrev_b32_e32 v57, 3, v46
	v_sub_u32_e32 v51, 29, v58
	v_and_b32_e32 v50, 7, v50
	v_cmp_gt_u32_e32 vcc, 8, v46
	v_cndmask_b32_e32 v46, v57, v51, vcc
	v_cndmask_b32_e32 v50, v56, v50, vcc
	v_lshlrev_b32_e32 v51, 24, v44
	v_lshlrev_b32_e32 v50, 20, v50
	v_and_b32_e32 v51, 0x80000000, v51
	v_lshl_add_u32 v46, v46, 23, v55
	v_or3_b32 v46, v51, v46, v50
	v_lshrrev_b32_e32 v51, 16, v46
.LBB908_507:                            ;   in Loop: Header=BB908_215 Depth=1
	s_or_b64 exec, exec, s[16:17]
.LBB908_508:                            ;   in Loop: Header=BB908_215 Depth=1
	s_or_b64 exec, exec, s[14:15]
.LBB908_509:                            ;   in Loop: Header=BB908_215 Depth=1
	s_or_b64 exec, exec, s[12:13]
	v_lshrrev_b16_e32 v46, 8, v44
	v_cmp_ne_u16_e32 vcc, 0, v46
	v_mov_b32_e32 v56, 0
	v_mov_b32_e32 v50, 0
	s_and_saveexec_b64 s[12:13], vcc
	s_cbranch_execz .LBB908_515
; %bb.510:                              ;   in Loop: Header=BB908_215 Depth=1
	v_cmp_ne_u16_e32 vcc, s9, v46
	v_mov_b32_e32 v50, 0xffff8000
	s_and_saveexec_b64 s[14:15], vcc
	s_cbranch_execz .LBB908_514
; %bb.511:                              ;   in Loop: Header=BB908_215 Depth=1
	v_and_b32_e32 v57, 0x7f, v46
	v_cmp_ne_u32_e32 vcc, s21, v57
	v_mov_b32_e32 v50, 0x7f80
	s_and_saveexec_b64 s[16:17], vcc
	s_cbranch_execz .LBB908_513
; %bb.512:                              ;   in Loop: Header=BB908_215 Depth=1
	v_and_b32_e32 v50, 7, v46
	v_ffbh_u32_e32 v58, v50
	v_min_u32_e32 v61, 32, v58
	v_subrev_u32_e32 v58, 28, v61
	v_lshlrev_b64 v[58:59], v58, v[46:47]
	v_lshrrev_b32_e32 v60, 3, v57
	v_sub_u32_e32 v46, 29, v61
	v_and_b32_e32 v58, 7, v58
	v_cmp_gt_u32_e32 vcc, 8, v57
	v_cndmask_b32_e32 v46, v60, v46, vcc
	v_cndmask_b32_e32 v50, v50, v58, vcc
	v_lshlrev_b32_e32 v57, 16, v44
	v_lshlrev_b32_e32 v50, 20, v50
	v_and_b32_e32 v57, 0x80000000, v57
	v_lshl_add_u32 v46, v46, 23, v55
	v_or3_b32 v46, v57, v46, v50
	v_lshrrev_b32_e32 v50, 16, v46
.LBB908_513:                            ;   in Loop: Header=BB908_215 Depth=1
	s_or_b64 exec, exec, s[16:17]
.LBB908_514:                            ;   in Loop: Header=BB908_215 Depth=1
	s_or_b64 exec, exec, s[14:15]
.LBB908_515:                            ;   in Loop: Header=BB908_215 Depth=1
	s_or_b64 exec, exec, s[12:13]
	v_lshrrev_b32_e32 v46, 16, v44
	v_cmp_ne_u16_sdwa s[14:15], v46, v54 src0_sel:BYTE_0 src1_sel:DWORD
	s_and_saveexec_b64 s[12:13], s[14:15]
	s_cbranch_execz .LBB908_521
; %bb.516:                              ;   in Loop: Header=BB908_215 Depth=1
	v_cmp_ne_u16_sdwa s[16:17], v46, s9 src0_sel:BYTE_0 src1_sel:DWORD
	v_mov_b32_e32 v56, 0xffff8000
	s_and_saveexec_b64 s[14:15], s[16:17]
	s_cbranch_execz .LBB908_520
; %bb.517:                              ;   in Loop: Header=BB908_215 Depth=1
	v_bfe_u32 v57, v44, 16, 7
	v_cmp_ne_u32_e32 vcc, s21, v57
	v_mov_b32_e32 v56, 0x7f80
	s_and_saveexec_b64 s[16:17], vcc
	s_cbranch_execz .LBB908_519
; %bb.518:                              ;   in Loop: Header=BB908_215 Depth=1
	v_and_b32_e32 v56, 7, v46
	v_ffbh_u32_e32 v58, v56
	v_min_u32_e32 v61, 32, v58
	v_subrev_u32_e32 v58, 28, v61
	v_lshlrev_b64 v[58:59], v58, v[46:47]
	v_lshrrev_b32_e32 v60, 3, v57
	v_sub_u32_e32 v59, 29, v61
	v_and_b32_e32 v58, 7, v58
	v_cmp_gt_u32_e32 vcc, 8, v57
	v_cndmask_b32_e32 v57, v60, v59, vcc
	v_cndmask_b32_e32 v56, v56, v58, vcc
	v_lshlrev_b32_e32 v46, 24, v46
	v_lshlrev_b32_e32 v56, 20, v56
	v_and_b32_e32 v46, 0x80000000, v46
	v_lshl_add_u32 v57, v57, 23, v55
	v_or3_b32 v46, v46, v57, v56
	v_lshrrev_b32_e32 v56, 16, v46
.LBB908_519:                            ;   in Loop: Header=BB908_215 Depth=1
	s_or_b64 exec, exec, s[16:17]
.LBB908_520:                            ;   in Loop: Header=BB908_215 Depth=1
	s_or_b64 exec, exec, s[14:15]
.LBB908_521:                            ;   in Loop: Header=BB908_215 Depth=1
	s_or_b64 exec, exec, s[12:13]
	v_cmp_lt_u32_e32 vcc, s22, v44
	v_mov_b32_e32 v57, 0
	v_mov_b32_e32 v58, 0
	s_and_saveexec_b64 s[12:13], vcc
	s_cbranch_execz .LBB908_527
; %bb.522:                              ;   in Loop: Header=BB908_215 Depth=1
	v_lshrrev_b32_e32 v46, 24, v44
	v_cmp_ne_u32_e32 vcc, s9, v46
	v_mov_b32_e32 v58, 0xffff8000
	s_and_saveexec_b64 s[14:15], vcc
	s_cbranch_execz .LBB908_526
; %bb.523:                              ;   in Loop: Header=BB908_215 Depth=1
	v_bfe_u32 v44, v44, 24, 7
	v_cmp_ne_u32_e32 vcc, s21, v44
	v_mov_b32_e32 v58, 0x7f80
	s_and_saveexec_b64 s[16:17], vcc
	s_cbranch_execz .LBB908_525
; %bb.524:                              ;   in Loop: Header=BB908_215 Depth=1
	v_and_b32_e32 v60, 7, v46
	v_ffbh_u32_e32 v58, v60
	v_min_u32_e32 v62, 32, v58
	v_subrev_u32_e32 v58, 28, v62
	v_lshlrev_b64 v[58:59], v58, v[46:47]
	v_lshrrev_b32_e32 v61, 3, v44
	v_sub_u32_e32 v59, 29, v62
	v_and_b32_e32 v58, 7, v58
	v_cmp_gt_u32_e32 vcc, 8, v44
	v_cndmask_b32_e32 v44, v61, v59, vcc
	v_cndmask_b32_e32 v58, v60, v58, vcc
	v_lshlrev_b32_e32 v46, 24, v46
	v_lshlrev_b32_e32 v58, 20, v58
	v_and_b32_e32 v46, 0x80000000, v46
	v_lshl_add_u32 v44, v44, 23, v55
	v_or3_b32 v44, v46, v44, v58
	v_lshrrev_b32_e32 v58, 16, v44
.LBB908_525:                            ;   in Loop: Header=BB908_215 Depth=1
	s_or_b64 exec, exec, s[16:17]
.LBB908_526:                            ;   in Loop: Header=BB908_215 Depth=1
	s_or_b64 exec, exec, s[14:15]
.LBB908_527:                            ;   in Loop: Header=BB908_215 Depth=1
	s_or_b64 exec, exec, s[12:13]
	s_waitcnt vmcnt(2)
	v_cmp_ne_u16_sdwa s[14:15], v42, v54 src0_sel:BYTE_0 src1_sel:DWORD
	s_and_saveexec_b64 s[12:13], s[14:15]
	s_cbranch_execz .LBB908_533
; %bb.528:                              ;   in Loop: Header=BB908_215 Depth=1
	v_cmp_ne_u16_sdwa s[16:17], v42, s9 src0_sel:BYTE_0 src1_sel:DWORD
	v_mov_b32_e32 v57, 0xffff8000
	s_and_saveexec_b64 s[14:15], s[16:17]
	s_cbranch_execz .LBB908_532
; %bb.529:                              ;   in Loop: Header=BB908_215 Depth=1
	v_and_b32_e32 v44, 0x7f, v42
	v_cmp_ne_u32_e32 vcc, s21, v44
	v_mov_b32_e32 v57, 0x7f80
	s_and_saveexec_b64 s[16:17], vcc
	s_cbranch_execz .LBB908_531
; %bb.530:                              ;   in Loop: Header=BB908_215 Depth=1
	v_and_b32_e32 v46, 7, v42
	v_ffbh_u32_e32 v59, v46
	v_min_u32_e32 v59, 32, v59
	v_subrev_u32_e32 v60, 28, v59
	v_lshlrev_b64 v[60:61], v60, v[42:43]
	v_lshrrev_b32_e32 v57, 3, v44
	v_sub_u32_e32 v59, 29, v59
	v_and_b32_e32 v60, 7, v60
	v_cmp_gt_u32_e32 vcc, 8, v44
	v_cndmask_b32_e32 v44, v57, v59, vcc
	v_cndmask_b32_e32 v46, v46, v60, vcc
	v_lshlrev_b32_e32 v57, 24, v42
	v_lshlrev_b32_e32 v46, 20, v46
	v_and_b32_e32 v57, 0x80000000, v57
	v_lshl_add_u32 v44, v44, 23, v55
	v_or3_b32 v44, v57, v44, v46
	v_lshrrev_b32_e32 v57, 16, v44
.LBB908_531:                            ;   in Loop: Header=BB908_215 Depth=1
	s_or_b64 exec, exec, s[16:17]
.LBB908_532:                            ;   in Loop: Header=BB908_215 Depth=1
	s_or_b64 exec, exec, s[14:15]
.LBB908_533:                            ;   in Loop: Header=BB908_215 Depth=1
	s_or_b64 exec, exec, s[12:13]
	v_lshrrev_b16_e32 v44, 8, v42
	v_cmp_ne_u16_e32 vcc, 0, v44
	v_mov_b32_e32 v60, 0
	v_mov_b32_e32 v59, 0
	s_and_saveexec_b64 s[12:13], vcc
	s_cbranch_execz .LBB908_539
; %bb.534:                              ;   in Loop: Header=BB908_215 Depth=1
	v_cmp_ne_u16_e32 vcc, s9, v44
	v_mov_b32_e32 v59, 0xffff8000
	s_and_saveexec_b64 s[14:15], vcc
	s_cbranch_execz .LBB908_538
; %bb.535:                              ;   in Loop: Header=BB908_215 Depth=1
	v_and_b32_e32 v46, 0x7f, v44
	v_cmp_ne_u32_e32 vcc, s21, v46
	v_mov_b32_e32 v59, 0x7f80
	s_and_saveexec_b64 s[16:17], vcc
	s_cbranch_execz .LBB908_537
; %bb.536:                              ;   in Loop: Header=BB908_215 Depth=1
	v_and_b32_e32 v59, 7, v44
	v_ffbh_u32_e32 v62, v59
	v_min_u32_e32 v64, 32, v62
	v_subrev_u32_e32 v62, 28, v64
	v_lshlrev_b64 v[62:63], v62, v[44:45]
	v_lshrrev_b32_e32 v61, 3, v46
	v_sub_u32_e32 v44, 29, v64
	v_and_b32_e32 v62, 7, v62
	v_cmp_gt_u32_e32 vcc, 8, v46
	v_cndmask_b32_e32 v44, v61, v44, vcc
	v_cndmask_b32_e32 v46, v59, v62, vcc
	v_lshlrev_b32_e32 v59, 16, v42
	v_lshlrev_b32_e32 v46, 20, v46
	v_and_b32_e32 v59, 0x80000000, v59
	v_lshl_add_u32 v44, v44, 23, v55
	v_or3_b32 v44, v59, v44, v46
	v_lshrrev_b32_e32 v59, 16, v44
.LBB908_537:                            ;   in Loop: Header=BB908_215 Depth=1
	s_or_b64 exec, exec, s[16:17]
.LBB908_538:                            ;   in Loop: Header=BB908_215 Depth=1
	s_or_b64 exec, exec, s[14:15]
.LBB908_539:                            ;   in Loop: Header=BB908_215 Depth=1
	s_or_b64 exec, exec, s[12:13]
	v_lshrrev_b32_e32 v44, 16, v42
	v_cmp_ne_u16_sdwa s[14:15], v44, v54 src0_sel:BYTE_0 src1_sel:DWORD
	s_and_saveexec_b64 s[12:13], s[14:15]
	s_cbranch_execz .LBB908_545
; %bb.540:                              ;   in Loop: Header=BB908_215 Depth=1
	v_cmp_ne_u16_sdwa s[16:17], v44, s9 src0_sel:BYTE_0 src1_sel:DWORD
	v_mov_b32_e32 v60, 0xffff8000
	s_and_saveexec_b64 s[14:15], s[16:17]
	s_cbranch_execz .LBB908_544
; %bb.541:                              ;   in Loop: Header=BB908_215 Depth=1
	v_bfe_u32 v46, v42, 16, 7
	v_cmp_ne_u32_e32 vcc, s21, v46
	v_mov_b32_e32 v60, 0x7f80
	s_and_saveexec_b64 s[16:17], vcc
	s_cbranch_execz .LBB908_543
; %bb.542:                              ;   in Loop: Header=BB908_215 Depth=1
	v_and_b32_e32 v62, 7, v44
	v_ffbh_u32_e32 v60, v62
	v_min_u32_e32 v64, 32, v60
	v_subrev_u32_e32 v60, 28, v64
	v_lshlrev_b64 v[60:61], v60, v[44:45]
	v_lshrrev_b32_e32 v63, 3, v46
	v_sub_u32_e32 v61, 29, v64
	v_and_b32_e32 v60, 7, v60
	v_cmp_gt_u32_e32 vcc, 8, v46
	v_cndmask_b32_e32 v46, v63, v61, vcc
	v_cndmask_b32_e32 v60, v62, v60, vcc
	v_lshlrev_b32_e32 v44, 24, v44
	v_lshlrev_b32_e32 v60, 20, v60
	v_and_b32_e32 v44, 0x80000000, v44
	v_lshl_add_u32 v46, v46, 23, v55
	v_or3_b32 v44, v44, v46, v60
	v_lshrrev_b32_e32 v60, 16, v44
.LBB908_543:                            ;   in Loop: Header=BB908_215 Depth=1
	s_or_b64 exec, exec, s[16:17]
.LBB908_544:                            ;   in Loop: Header=BB908_215 Depth=1
	s_or_b64 exec, exec, s[14:15]
.LBB908_545:                            ;   in Loop: Header=BB908_215 Depth=1
	s_or_b64 exec, exec, s[12:13]
	v_cmp_lt_u32_e32 vcc, s22, v42
	v_mov_b32_e32 v46, 0
	v_mov_b32_e32 v61, 0
	s_and_saveexec_b64 s[12:13], vcc
	s_cbranch_execz .LBB908_551
; %bb.546:                              ;   in Loop: Header=BB908_215 Depth=1
	v_lshrrev_b32_e32 v44, 24, v42
	v_cmp_ne_u32_e32 vcc, s9, v44
	v_mov_b32_e32 v61, 0xffff8000
	s_and_saveexec_b64 s[14:15], vcc
	s_cbranch_execz .LBB908_550
; %bb.547:                              ;   in Loop: Header=BB908_215 Depth=1
	v_bfe_u32 v42, v42, 24, 7
	v_cmp_ne_u32_e32 vcc, s21, v42
	v_mov_b32_e32 v61, 0x7f80
	s_and_saveexec_b64 s[16:17], vcc
	s_cbranch_execz .LBB908_549
; %bb.548:                              ;   in Loop: Header=BB908_215 Depth=1
	v_and_b32_e32 v61, 7, v44
	v_ffbh_u32_e32 v62, v61
	v_min_u32_e32 v65, 32, v62
	v_subrev_u32_e32 v62, 28, v65
	v_lshlrev_b64 v[62:63], v62, v[44:45]
	v_lshrrev_b32_e32 v64, 3, v42
	v_sub_u32_e32 v63, 29, v65
	v_and_b32_e32 v62, 7, v62
	v_cmp_gt_u32_e32 vcc, 8, v42
	v_cndmask_b32_e32 v42, v64, v63, vcc
	v_cndmask_b32_e32 v61, v61, v62, vcc
	v_lshlrev_b32_e32 v44, 24, v44
	v_lshlrev_b32_e32 v61, 20, v61
	v_and_b32_e32 v44, 0x80000000, v44
	v_lshl_add_u32 v42, v42, 23, v55
	v_or3_b32 v42, v44, v42, v61
	v_lshrrev_b32_e32 v61, 16, v42
.LBB908_549:                            ;   in Loop: Header=BB908_215 Depth=1
	s_or_b64 exec, exec, s[16:17]
.LBB908_550:                            ;   in Loop: Header=BB908_215 Depth=1
	s_or_b64 exec, exec, s[14:15]
.LBB908_551:                            ;   in Loop: Header=BB908_215 Depth=1
	s_or_b64 exec, exec, s[12:13]
	v_perm_b32 v63, v58, v56, s23
	v_perm_b32 v62, v50, v51, s23
	;; [unrolled: 1-line block ×4, first 2 shown]
	s_waitcnt vmcnt(1)
	v_cmp_ne_u16_sdwa s[14:15], v40, v54 src0_sel:BYTE_0 src1_sel:DWORD
	v_mfma_f32_16x16x16bf16_1k v[34:37], v[62:63], v[26:27], v[34:37]
	v_mfma_f32_16x16x16bf16_1k v[34:37], v[50:51], v[28:29], v[34:37]
	s_and_saveexec_b64 s[12:13], s[14:15]
	s_cbranch_execz .LBB908_557
; %bb.552:                              ;   in Loop: Header=BB908_215 Depth=1
	v_cmp_ne_u16_sdwa s[16:17], v40, s9 src0_sel:BYTE_0 src1_sel:DWORD
	v_mov_b32_e32 v46, 0xffff8000
	s_and_saveexec_b64 s[14:15], s[16:17]
	s_cbranch_execz .LBB908_556
; %bb.553:                              ;   in Loop: Header=BB908_215 Depth=1
	v_and_b32_e32 v42, 0x7f, v40
	v_cmp_ne_u32_e32 vcc, s21, v42
	v_mov_b32_e32 v46, 0x7f80
	s_and_saveexec_b64 s[16:17], vcc
	s_cbranch_execz .LBB908_555
; %bb.554:                              ;   in Loop: Header=BB908_215 Depth=1
	v_and_b32_e32 v44, 7, v40
	v_ffbh_u32_e32 v50, v44
	v_min_u32_e32 v56, 32, v50
	v_subrev_u32_e32 v50, 28, v56
	v_lshlrev_b64 v[50:51], v50, v[40:41]
	v_lshrrev_b32_e32 v46, 3, v42
	v_sub_u32_e32 v51, 29, v56
	v_and_b32_e32 v50, 7, v50
	v_cmp_gt_u32_e32 vcc, 8, v42
	v_cndmask_b32_e32 v42, v46, v51, vcc
	v_cndmask_b32_e32 v44, v44, v50, vcc
	v_lshlrev_b32_e32 v46, 24, v40
	v_lshlrev_b32_e32 v44, 20, v44
	v_and_b32_e32 v46, 0x80000000, v46
	v_lshl_add_u32 v42, v42, 23, v55
	v_or3_b32 v42, v46, v42, v44
	v_lshrrev_b32_e32 v46, 16, v42
.LBB908_555:                            ;   in Loop: Header=BB908_215 Depth=1
	s_or_b64 exec, exec, s[16:17]
.LBB908_556:                            ;   in Loop: Header=BB908_215 Depth=1
	s_or_b64 exec, exec, s[14:15]
.LBB908_557:                            ;   in Loop: Header=BB908_215 Depth=1
	s_or_b64 exec, exec, s[12:13]
	v_lshrrev_b16_e32 v42, 8, v40
	v_cmp_ne_u16_e32 vcc, 0, v42
	v_mov_b32_e32 v50, 0
	v_mov_b32_e32 v44, 0
	s_and_saveexec_b64 s[12:13], vcc
	s_cbranch_execz .LBB908_563
; %bb.558:                              ;   in Loop: Header=BB908_215 Depth=1
	v_cmp_ne_u16_e32 vcc, s9, v42
	v_mov_b32_e32 v44, 0xffff8000
	s_and_saveexec_b64 s[14:15], vcc
	s_cbranch_execz .LBB908_562
; %bb.559:                              ;   in Loop: Header=BB908_215 Depth=1
	v_and_b32_e32 v51, 0x7f, v42
	v_cmp_ne_u32_e32 vcc, s21, v51
	v_mov_b32_e32 v44, 0x7f80
	s_and_saveexec_b64 s[16:17], vcc
	s_cbranch_execz .LBB908_561
; %bb.560:                              ;   in Loop: Header=BB908_215 Depth=1
	v_and_b32_e32 v44, 7, v42
	v_ffbh_u32_e32 v56, v44
	v_min_u32_e32 v59, 32, v56
	v_subrev_u32_e32 v56, 28, v59
	v_lshlrev_b64 v[56:57], v56, v[42:43]
	v_lshrrev_b32_e32 v58, 3, v51
	v_sub_u32_e32 v42, 29, v59
	v_and_b32_e32 v56, 7, v56
	v_cmp_gt_u32_e32 vcc, 8, v51
	v_cndmask_b32_e32 v42, v58, v42, vcc
	v_cndmask_b32_e32 v44, v44, v56, vcc
	v_lshlrev_b32_e32 v51, 16, v40
	v_lshlrev_b32_e32 v44, 20, v44
	v_and_b32_e32 v51, 0x80000000, v51
	v_lshl_add_u32 v42, v42, 23, v55
	v_or3_b32 v42, v51, v42, v44
	v_lshrrev_b32_e32 v44, 16, v42
.LBB908_561:                            ;   in Loop: Header=BB908_215 Depth=1
	s_or_b64 exec, exec, s[16:17]
.LBB908_562:                            ;   in Loop: Header=BB908_215 Depth=1
	s_or_b64 exec, exec, s[14:15]
.LBB908_563:                            ;   in Loop: Header=BB908_215 Depth=1
	s_or_b64 exec, exec, s[12:13]
	v_lshrrev_b32_e32 v42, 16, v40
	v_cmp_ne_u16_sdwa s[14:15], v42, v54 src0_sel:BYTE_0 src1_sel:DWORD
	s_and_saveexec_b64 s[12:13], s[14:15]
	s_cbranch_execz .LBB908_569
; %bb.564:                              ;   in Loop: Header=BB908_215 Depth=1
	v_cmp_ne_u16_sdwa s[16:17], v42, s9 src0_sel:BYTE_0 src1_sel:DWORD
	v_mov_b32_e32 v50, 0xffff8000
	s_and_saveexec_b64 s[14:15], s[16:17]
	s_cbranch_execz .LBB908_568
; %bb.565:                              ;   in Loop: Header=BB908_215 Depth=1
	v_bfe_u32 v51, v40, 16, 7
	v_cmp_ne_u32_e32 vcc, s21, v51
	v_mov_b32_e32 v50, 0x7f80
	s_and_saveexec_b64 s[16:17], vcc
	s_cbranch_execz .LBB908_567
; %bb.566:                              ;   in Loop: Header=BB908_215 Depth=1
	v_and_b32_e32 v50, 7, v42
	v_ffbh_u32_e32 v56, v50
	v_min_u32_e32 v59, 32, v56
	v_subrev_u32_e32 v56, 28, v59
	v_lshlrev_b64 v[56:57], v56, v[42:43]
	v_lshrrev_b32_e32 v58, 3, v51
	v_sub_u32_e32 v57, 29, v59
	v_and_b32_e32 v56, 7, v56
	v_cmp_gt_u32_e32 vcc, 8, v51
	v_cndmask_b32_e32 v51, v58, v57, vcc
	v_cndmask_b32_e32 v50, v50, v56, vcc
	v_lshlrev_b32_e32 v42, 24, v42
	v_lshlrev_b32_e32 v50, 20, v50
	v_and_b32_e32 v42, 0x80000000, v42
	v_lshl_add_u32 v51, v51, 23, v55
	v_or3_b32 v42, v42, v51, v50
	v_lshrrev_b32_e32 v50, 16, v42
.LBB908_567:                            ;   in Loop: Header=BB908_215 Depth=1
	s_or_b64 exec, exec, s[16:17]
.LBB908_568:                            ;   in Loop: Header=BB908_215 Depth=1
	s_or_b64 exec, exec, s[14:15]
.LBB908_569:                            ;   in Loop: Header=BB908_215 Depth=1
	s_or_b64 exec, exec, s[12:13]
	v_cmp_lt_u32_e32 vcc, s22, v40
	v_mov_b32_e32 v51, 0
	v_mov_b32_e32 v56, 0
	s_and_saveexec_b64 s[12:13], vcc
	s_cbranch_execz .LBB908_575
; %bb.570:                              ;   in Loop: Header=BB908_215 Depth=1
	v_lshrrev_b32_e32 v42, 24, v40
	v_cmp_ne_u32_e32 vcc, s9, v42
	v_mov_b32_e32 v56, 0xffff8000
	s_and_saveexec_b64 s[14:15], vcc
	s_cbranch_execz .LBB908_574
; %bb.571:                              ;   in Loop: Header=BB908_215 Depth=1
	v_bfe_u32 v40, v40, 24, 7
	v_cmp_ne_u32_e32 vcc, s21, v40
	v_mov_b32_e32 v56, 0x7f80
	s_and_saveexec_b64 s[16:17], vcc
	s_cbranch_execz .LBB908_573
; %bb.572:                              ;   in Loop: Header=BB908_215 Depth=1
	v_and_b32_e32 v58, 7, v42
	v_ffbh_u32_e32 v56, v58
	v_min_u32_e32 v60, 32, v56
	v_subrev_u32_e32 v56, 28, v60
	v_lshlrev_b64 v[56:57], v56, v[42:43]
	v_lshrrev_b32_e32 v59, 3, v40
	v_sub_u32_e32 v57, 29, v60
	v_and_b32_e32 v56, 7, v56
	v_cmp_gt_u32_e32 vcc, 8, v40
	v_cndmask_b32_e32 v40, v59, v57, vcc
	v_cndmask_b32_e32 v56, v58, v56, vcc
	v_lshlrev_b32_e32 v42, 24, v42
	v_lshlrev_b32_e32 v56, 20, v56
	v_and_b32_e32 v42, 0x80000000, v42
	v_lshl_add_u32 v40, v40, 23, v55
	v_or3_b32 v40, v42, v40, v56
	v_lshrrev_b32_e32 v56, 16, v40
.LBB908_573:                            ;   in Loop: Header=BB908_215 Depth=1
	s_or_b64 exec, exec, s[16:17]
.LBB908_574:                            ;   in Loop: Header=BB908_215 Depth=1
	s_or_b64 exec, exec, s[14:15]
.LBB908_575:                            ;   in Loop: Header=BB908_215 Depth=1
	s_or_b64 exec, exec, s[12:13]
	s_waitcnt vmcnt(0)
	v_cmp_ne_u16_sdwa s[14:15], v38, v54 src0_sel:BYTE_0 src1_sel:DWORD
	s_and_saveexec_b64 s[12:13], s[14:15]
	s_cbranch_execz .LBB908_581
; %bb.576:                              ;   in Loop: Header=BB908_215 Depth=1
	v_cmp_ne_u16_sdwa s[16:17], v38, s9 src0_sel:BYTE_0 src1_sel:DWORD
	v_mov_b32_e32 v51, 0xffff8000
	s_and_saveexec_b64 s[14:15], s[16:17]
	s_cbranch_execz .LBB908_580
; %bb.577:                              ;   in Loop: Header=BB908_215 Depth=1
	v_and_b32_e32 v40, 0x7f, v38
	v_cmp_ne_u32_e32 vcc, s21, v40
	v_mov_b32_e32 v51, 0x7f80
	s_and_saveexec_b64 s[16:17], vcc
	s_cbranch_execz .LBB908_579
; %bb.578:                              ;   in Loop: Header=BB908_215 Depth=1
	v_and_b32_e32 v42, 7, v38
	v_ffbh_u32_e32 v57, v42
	v_min_u32_e32 v57, 32, v57
	v_subrev_u32_e32 v58, 28, v57
	v_lshlrev_b64 v[58:59], v58, v[38:39]
	v_lshrrev_b32_e32 v51, 3, v40
	v_sub_u32_e32 v57, 29, v57
	v_and_b32_e32 v58, 7, v58
	v_cmp_gt_u32_e32 vcc, 8, v40
	v_cndmask_b32_e32 v40, v51, v57, vcc
	v_cndmask_b32_e32 v42, v42, v58, vcc
	v_lshlrev_b32_e32 v51, 24, v38
	v_lshlrev_b32_e32 v42, 20, v42
	v_and_b32_e32 v51, 0x80000000, v51
	v_lshl_add_u32 v40, v40, 23, v55
	v_or3_b32 v40, v51, v40, v42
	v_lshrrev_b32_e32 v51, 16, v40
.LBB908_579:                            ;   in Loop: Header=BB908_215 Depth=1
	s_or_b64 exec, exec, s[16:17]
.LBB908_580:                            ;   in Loop: Header=BB908_215 Depth=1
	s_or_b64 exec, exec, s[14:15]
.LBB908_581:                            ;   in Loop: Header=BB908_215 Depth=1
	s_or_b64 exec, exec, s[12:13]
	v_lshrrev_b16_e32 v40, 8, v38
	v_cmp_ne_u16_e32 vcc, 0, v40
	v_mov_b32_e32 v57, 0
	v_mov_b32_e32 v42, 0
	s_and_saveexec_b64 s[12:13], vcc
	s_cbranch_execz .LBB908_587
; %bb.582:                              ;   in Loop: Header=BB908_215 Depth=1
	v_cmp_ne_u16_e32 vcc, s9, v40
	v_mov_b32_e32 v42, 0xffff8000
	s_and_saveexec_b64 s[14:15], vcc
	s_cbranch_execz .LBB908_586
; %bb.583:                              ;   in Loop: Header=BB908_215 Depth=1
	v_and_b32_e32 v58, 0x7f, v40
	v_cmp_ne_u32_e32 vcc, s21, v58
	v_mov_b32_e32 v42, 0x7f80
	s_and_saveexec_b64 s[16:17], vcc
	s_cbranch_execz .LBB908_585
; %bb.584:                              ;   in Loop: Header=BB908_215 Depth=1
	v_and_b32_e32 v42, 7, v40
	v_ffbh_u32_e32 v60, v42
	v_min_u32_e32 v62, 32, v60
	v_subrev_u32_e32 v60, 28, v62
	v_lshlrev_b64 v[60:61], v60, v[40:41]
	v_lshrrev_b32_e32 v59, 3, v58
	v_sub_u32_e32 v40, 29, v62
	v_and_b32_e32 v60, 7, v60
	v_cmp_gt_u32_e32 vcc, 8, v58
	v_cndmask_b32_e32 v40, v59, v40, vcc
	v_cndmask_b32_e32 v42, v42, v60, vcc
	v_lshlrev_b32_e32 v58, 16, v38
	v_lshlrev_b32_e32 v42, 20, v42
	v_and_b32_e32 v58, 0x80000000, v58
	v_lshl_add_u32 v40, v40, 23, v55
	v_or3_b32 v40, v58, v40, v42
	v_lshrrev_b32_e32 v42, 16, v40
.LBB908_585:                            ;   in Loop: Header=BB908_215 Depth=1
	s_or_b64 exec, exec, s[16:17]
.LBB908_586:                            ;   in Loop: Header=BB908_215 Depth=1
	s_or_b64 exec, exec, s[14:15]
.LBB908_587:                            ;   in Loop: Header=BB908_215 Depth=1
	s_or_b64 exec, exec, s[12:13]
	v_lshrrev_b32_e32 v40, 16, v38
	v_cmp_ne_u16_sdwa s[14:15], v40, v54 src0_sel:BYTE_0 src1_sel:DWORD
	s_and_saveexec_b64 s[12:13], s[14:15]
	s_cbranch_execz .LBB908_593
; %bb.588:                              ;   in Loop: Header=BB908_215 Depth=1
	v_cmp_ne_u16_sdwa s[16:17], v40, s9 src0_sel:BYTE_0 src1_sel:DWORD
	v_mov_b32_e32 v57, 0xffff8000
	s_and_saveexec_b64 s[14:15], s[16:17]
	s_cbranch_execz .LBB908_592
; %bb.589:                              ;   in Loop: Header=BB908_215 Depth=1
	v_bfe_u32 v58, v38, 16, 7
	v_cmp_ne_u32_e32 vcc, s21, v58
	v_mov_b32_e32 v57, 0x7f80
	s_and_saveexec_b64 s[16:17], vcc
	s_cbranch_execz .LBB908_591
; %bb.590:                              ;   in Loop: Header=BB908_215 Depth=1
	v_and_b32_e32 v57, 7, v40
	v_ffbh_u32_e32 v60, v57
	v_min_u32_e32 v62, 32, v60
	v_subrev_u32_e32 v60, 28, v62
	v_lshlrev_b64 v[60:61], v60, v[40:41]
	v_lshrrev_b32_e32 v59, 3, v58
	v_sub_u32_e32 v61, 29, v62
	v_and_b32_e32 v60, 7, v60
	v_cmp_gt_u32_e32 vcc, 8, v58
	v_cndmask_b32_e32 v58, v59, v61, vcc
	v_cndmask_b32_e32 v57, v57, v60, vcc
	v_lshlrev_b32_e32 v40, 24, v40
	v_lshlrev_b32_e32 v57, 20, v57
	v_and_b32_e32 v40, 0x80000000, v40
	v_lshl_add_u32 v58, v58, 23, v55
	v_or3_b32 v40, v40, v58, v57
	v_lshrrev_b32_e32 v57, 16, v40
.LBB908_591:                            ;   in Loop: Header=BB908_215 Depth=1
	s_or_b64 exec, exec, s[16:17]
.LBB908_592:                            ;   in Loop: Header=BB908_215 Depth=1
	s_or_b64 exec, exec, s[14:15]
.LBB908_593:                            ;   in Loop: Header=BB908_215 Depth=1
	s_or_b64 exec, exec, s[12:13]
	v_cmp_lt_u32_e32 vcc, s22, v38
	v_mov_b32_e32 v58, 0
	s_and_saveexec_b64 s[12:13], vcc
	s_cbranch_execz .LBB908_214
; %bb.594:                              ;   in Loop: Header=BB908_215 Depth=1
	v_lshrrev_b32_e32 v40, 24, v38
	v_cmp_ne_u32_e32 vcc, s9, v40
	v_mov_b32_e32 v58, 0xffff8000
	s_and_saveexec_b64 s[14:15], vcc
	s_cbranch_execz .LBB908_213
; %bb.595:                              ;   in Loop: Header=BB908_215 Depth=1
	v_bfe_u32 v38, v38, 24, 7
	v_cmp_ne_u32_e32 vcc, s21, v38
	v_mov_b32_e32 v58, 0x7f80
	s_and_saveexec_b64 s[16:17], vcc
	s_cbranch_execz .LBB908_212
; %bb.596:                              ;   in Loop: Header=BB908_215 Depth=1
	v_and_b32_e32 v60, 7, v40
	v_ffbh_u32_e32 v58, v60
	v_min_u32_e32 v62, 32, v58
	v_subrev_u32_e32 v58, 28, v62
	v_lshlrev_b64 v[58:59], v58, v[40:41]
	v_lshrrev_b32_e32 v61, 3, v38
	v_sub_u32_e32 v59, 29, v62
	v_and_b32_e32 v58, 7, v58
	v_cmp_gt_u32_e32 vcc, 8, v38
	v_cndmask_b32_e32 v38, v61, v59, vcc
	v_cndmask_b32_e32 v58, v60, v58, vcc
	v_lshlrev_b32_e32 v40, 24, v40
	v_lshlrev_b32_e32 v58, 20, v58
	v_and_b32_e32 v40, 0x80000000, v40
	v_lshl_add_u32 v38, v38, 23, v55
	v_or3_b32 v38, v40, v38, v58
	v_lshrrev_b32_e32 v58, 16, v38
	s_branch .LBB908_212
.LBB908_597:
	s_barrier
	buffer_load_dword v2, off, s[0:3], 0 offset:320
	buffer_load_dword v5, off, s[0:3], 0 offset:332
	;; [unrolled: 1-line block ×4, first 2 shown]
	v_cmp_gt_u32_e32 vcc, 64, v0
	s_waitcnt vmcnt(0)
	ds_write2st64_b64 v52, v[2:3], v[4:5] offset1:1
	s_waitcnt lgkmcnt(0)
	s_barrier
	s_and_saveexec_b64 s[4:5], vcc
	s_cbranch_execz .LBB908_600
; %bb.598:
	s_lshl_b32 s4, s48, 7
	s_mul_i32 s5, s18, s8
	s_mul_hi_u32 s9, s5, s4
	s_mul_i32 s8, s5, s4
	s_lshl_b64 s[8:9], s[8:9], 1
	v_lshlrev_b32_e32 v4, 6, v41
	s_add_u32 s5, s50, s8
	v_lshl_or_b32 v0, v0, 10, v4
	s_mov_b32 s7, 0
	s_addc_u32 s8, s51, s9
	s_lshl_b32 s6, s26, 7
	v_lshlrev_b32_e32 v2, 5, v1
	v_and_b32_e32 v3, 16, v43
	v_and_b32_e32 v0, 0x1a00, v0
	s_lshl_b64 s[6:7], s[6:7], 1
	v_or3_b32 v0, v0, v2, v3
	s_add_u32 s5, s5, s6
	ds_read_b128 v[4:7], v0 offset:256
	s_addc_u32 s6, s8, s7
	ds_read_b128 v[8:11], v0 offset:128
	ds_read_b128 v[12:15], v0
	v_add_u32_e32 v18, s27, v1
	v_mov_b32_e32 v3, s6
	v_add_co_u32_e32 v2, vcc, s5, v39
	v_mad_u64_u32 v[16:17], s[6:7], v18, s4, 0
	v_addc_co_u32_e32 v3, vcc, 0, v3, vcc
	v_lshlrev_b64 v[16:17], 1, v[16:17]
	v_add_co_u32_e32 v16, vcc, v2, v16
	v_addc_co_u32_e32 v17, vcc, v3, v17, vcc
	s_waitcnt lgkmcnt(0)
	global_store_dwordx4 v[16:17], v[12:15], off
	s_nop 0
	v_add_u32_e32 v12, 4, v18
	v_mad_u64_u32 v[12:13], s[6:7], v12, s4, 0
	v_lshlrev_b64 v[12:13], 1, v[12:13]
	v_add_co_u32_e32 v12, vcc, v2, v12
	v_addc_co_u32_e32 v13, vcc, v3, v13, vcc
	global_store_dwordx4 v[12:13], v[8:11], off
	s_nop 0
	v_add_u32_e32 v8, 8, v18
	v_mad_u64_u32 v[8:9], s[6:7], v8, s4, 0
	v_lshlrev_b64 v[8:9], 1, v[8:9]
	v_add_co_u32_e32 v8, vcc, v2, v8
	v_addc_co_u32_e32 v9, vcc, v3, v9, vcc
	v_cmp_ne_u32_e32 vcc, 3, v1
	global_store_dwordx4 v[8:9], v[4:7], off
	s_and_b64 exec, exec, vcc
	s_cbranch_execz .LBB908_600
; %bb.599:
	ds_read_b128 v[4:7], v0 offset:384
	v_add3_u32 v0, s27, v1, 12
	v_mad_u64_u32 v[0:1], s[4:5], v0, s4, 0
	v_lshlrev_b64 v[0:1], 1, v[0:1]
	v_add_co_u32_e32 v0, vcc, v2, v0
	v_addc_co_u32_e32 v1, vcc, v3, v1, vcc
	s_waitcnt lgkmcnt(0)
	global_store_dwordx4 v[0:1], v[4:7], off
.LBB908_600:
	s_endpgm
	.section	.rodata,"a",@progbits
	.p2align	6, 0x0
	.amdhsa_kernel _Z39paged_attention_ll4mi_QKV_mfma16_kernelI14__hip_bfloat16hLN4vllm18Fp8KVCacheDataTypeE1ES0_Li16ELi128ELi256ELb1ELi15EL8MFMAType0EEvPKT_PKT0_S9_ifPKiSB_SB_iPKfiiiPfSE_PS4_PT2_iSD_SD_
		.amdhsa_group_segment_fixed_size 8192
		.amdhsa_private_segment_fixed_size 352
		.amdhsa_kernarg_size 400
		.amdhsa_user_sgpr_count 8
		.amdhsa_user_sgpr_private_segment_buffer 1
		.amdhsa_user_sgpr_dispatch_ptr 0
		.amdhsa_user_sgpr_queue_ptr 0
		.amdhsa_user_sgpr_kernarg_segment_ptr 1
		.amdhsa_user_sgpr_dispatch_id 0
		.amdhsa_user_sgpr_flat_scratch_init 1
		.amdhsa_user_sgpr_kernarg_preload_length 0
		.amdhsa_user_sgpr_kernarg_preload_offset 0
		.amdhsa_user_sgpr_private_segment_size 0
		.amdhsa_uses_dynamic_stack 0
		.amdhsa_system_sgpr_private_segment_wavefront_offset 1
		.amdhsa_system_sgpr_workgroup_id_x 1
		.amdhsa_system_sgpr_workgroup_id_y 1
		.amdhsa_system_sgpr_workgroup_id_z 1
		.amdhsa_system_sgpr_workgroup_info 0
		.amdhsa_system_vgpr_workitem_id 0
		.amdhsa_next_free_vgpr 80
		.amdhsa_next_free_sgpr 53
		.amdhsa_accum_offset 80
		.amdhsa_reserve_vcc 1
		.amdhsa_reserve_flat_scratch 0
		.amdhsa_float_round_mode_32 0
		.amdhsa_float_round_mode_16_64 0
		.amdhsa_float_denorm_mode_32 3
		.amdhsa_float_denorm_mode_16_64 3
		.amdhsa_dx10_clamp 1
		.amdhsa_ieee_mode 1
		.amdhsa_fp16_overflow 0
		.amdhsa_tg_split 0
		.amdhsa_exception_fp_ieee_invalid_op 0
		.amdhsa_exception_fp_denorm_src 0
		.amdhsa_exception_fp_ieee_div_zero 0
		.amdhsa_exception_fp_ieee_overflow 0
		.amdhsa_exception_fp_ieee_underflow 0
		.amdhsa_exception_fp_ieee_inexact 0
		.amdhsa_exception_int_div_zero 0
	.end_amdhsa_kernel
	.section	.text._Z39paged_attention_ll4mi_QKV_mfma16_kernelI14__hip_bfloat16hLN4vllm18Fp8KVCacheDataTypeE1ES0_Li16ELi128ELi256ELb1ELi15EL8MFMAType0EEvPKT_PKT0_S9_ifPKiSB_SB_iPKfiiiPfSE_PS4_PT2_iSD_SD_,"axG",@progbits,_Z39paged_attention_ll4mi_QKV_mfma16_kernelI14__hip_bfloat16hLN4vllm18Fp8KVCacheDataTypeE1ES0_Li16ELi128ELi256ELb1ELi15EL8MFMAType0EEvPKT_PKT0_S9_ifPKiSB_SB_iPKfiiiPfSE_PS4_PT2_iSD_SD_,comdat
.Lfunc_end908:
	.size	_Z39paged_attention_ll4mi_QKV_mfma16_kernelI14__hip_bfloat16hLN4vllm18Fp8KVCacheDataTypeE1ES0_Li16ELi128ELi256ELb1ELi15EL8MFMAType0EEvPKT_PKT0_S9_ifPKiSB_SB_iPKfiiiPfSE_PS4_PT2_iSD_SD_, .Lfunc_end908-_Z39paged_attention_ll4mi_QKV_mfma16_kernelI14__hip_bfloat16hLN4vllm18Fp8KVCacheDataTypeE1ES0_Li16ELi128ELi256ELb1ELi15EL8MFMAType0EEvPKT_PKT0_S9_ifPKiSB_SB_iPKfiiiPfSE_PS4_PT2_iSD_SD_
                                        ; -- End function
	.section	.AMDGPU.csdata,"",@progbits
; Kernel info:
; codeLenInByte = 22536
; NumSgprs: 57
; NumVgprs: 80
; NumAgprs: 0
; TotalNumVgprs: 80
; ScratchSize: 352
; MemoryBound: 0
; FloatMode: 240
; IeeeMode: 1
; LDSByteSize: 8192 bytes/workgroup (compile time only)
; SGPRBlocks: 7
; VGPRBlocks: 9
; NumSGPRsForWavesPerEU: 57
; NumVGPRsForWavesPerEU: 80
; AccumOffset: 80
; Occupancy: 6
; WaveLimiterHint : 1
; COMPUTE_PGM_RSRC2:SCRATCH_EN: 1
; COMPUTE_PGM_RSRC2:USER_SGPR: 8
; COMPUTE_PGM_RSRC2:TRAP_HANDLER: 0
; COMPUTE_PGM_RSRC2:TGID_X_EN: 1
; COMPUTE_PGM_RSRC2:TGID_Y_EN: 1
; COMPUTE_PGM_RSRC2:TGID_Z_EN: 1
; COMPUTE_PGM_RSRC2:TIDIG_COMP_CNT: 0
; COMPUTE_PGM_RSRC3_GFX90A:ACCUM_OFFSET: 19
; COMPUTE_PGM_RSRC3_GFX90A:TG_SPLIT: 0
	.section	.text._Z39paged_attention_ll4mi_QKV_mfma16_kernelI14__hip_bfloat16hLN4vllm18Fp8KVCacheDataTypeE1ES0_Li16ELi128ELi256ELb1ELi16EL8MFMAType0EEvPKT_PKT0_S9_ifPKiSB_SB_iPKfiiiPfSE_PS4_PT2_iSD_SD_,"axG",@progbits,_Z39paged_attention_ll4mi_QKV_mfma16_kernelI14__hip_bfloat16hLN4vllm18Fp8KVCacheDataTypeE1ES0_Li16ELi128ELi256ELb1ELi16EL8MFMAType0EEvPKT_PKT0_S9_ifPKiSB_SB_iPKfiiiPfSE_PS4_PT2_iSD_SD_,comdat
	.protected	_Z39paged_attention_ll4mi_QKV_mfma16_kernelI14__hip_bfloat16hLN4vllm18Fp8KVCacheDataTypeE1ES0_Li16ELi128ELi256ELb1ELi16EL8MFMAType0EEvPKT_PKT0_S9_ifPKiSB_SB_iPKfiiiPfSE_PS4_PT2_iSD_SD_ ; -- Begin function _Z39paged_attention_ll4mi_QKV_mfma16_kernelI14__hip_bfloat16hLN4vllm18Fp8KVCacheDataTypeE1ES0_Li16ELi128ELi256ELb1ELi16EL8MFMAType0EEvPKT_PKT0_S9_ifPKiSB_SB_iPKfiiiPfSE_PS4_PT2_iSD_SD_
	.globl	_Z39paged_attention_ll4mi_QKV_mfma16_kernelI14__hip_bfloat16hLN4vllm18Fp8KVCacheDataTypeE1ES0_Li16ELi128ELi256ELb1ELi16EL8MFMAType0EEvPKT_PKT0_S9_ifPKiSB_SB_iPKfiiiPfSE_PS4_PT2_iSD_SD_
	.p2align	8
	.type	_Z39paged_attention_ll4mi_QKV_mfma16_kernelI14__hip_bfloat16hLN4vllm18Fp8KVCacheDataTypeE1ES0_Li16ELi128ELi256ELb1ELi16EL8MFMAType0EEvPKT_PKT0_S9_ifPKiSB_SB_iPKfiiiPfSE_PS4_PT2_iSD_SD_,@function
_Z39paged_attention_ll4mi_QKV_mfma16_kernelI14__hip_bfloat16hLN4vllm18Fp8KVCacheDataTypeE1ES0_Li16ELi128ELi256ELb1ELi16EL8MFMAType0EEvPKT_PKT0_S9_ifPKiSB_SB_iPKfiiiPfSE_PS4_PT2_iSD_SD_: ; @_Z39paged_attention_ll4mi_QKV_mfma16_kernelI14__hip_bfloat16hLN4vllm18Fp8KVCacheDataTypeE1ES0_Li16ELi128ELi256ELb1ELi16EL8MFMAType0EEvPKT_PKT0_S9_ifPKiSB_SB_iPKfiiiPfSE_PS4_PT2_iSD_SD_
; %bb.0:
	s_load_dwordx2 s[16:17], s[4:5], 0x30
	s_add_u32 s0, s0, s11
	s_addc_u32 s1, s1, 0
	s_mov_b32 s26, s9
	s_mov_b64 s[6:7], 0
	s_waitcnt lgkmcnt(0)
	s_cmp_lg_u64 s[16:17], 0
	s_cselect_b64 s[18:19], -1, 0
	s_and_b64 vcc, exec, s[18:19]
	s_cbranch_vccz .LBB909_7
; %bb.1:
	s_add_i32 s12, s8, 1
	s_mov_b32 s13, 0
	s_lshl_b64 s[14:15], s[12:13], 2
	s_add_u32 s14, s16, s14
	s_mov_b32 s9, s13
	s_addc_u32 s15, s17, s15
	s_lshl_b64 s[12:13], s[8:9], 2
	s_add_u32 s12, s16, s12
	s_addc_u32 s13, s17, s13
	s_load_dword s11, s[14:15], 0x0
	s_load_dword s20, s[12:13], 0x0
	s_waitcnt lgkmcnt(0)
	s_sub_i32 s11, s11, s20
	s_cmp_eq_u32 s11, 1
	s_cselect_b64 s[12:13], -1, 0
	s_andn2_b64 vcc, exec, s[6:7]
	s_cbranch_vccnz .LBB909_3
.LBB909_2:
	s_mov_b32 s9, 0
	s_mov_b64 s[12:13], -1
.LBB909_3:
	s_andn2_b64 vcc, exec, s[12:13]
	s_cbranch_vccnz .LBB909_597
; %bb.4:
	s_load_dwordx2 s[6:7], s[4:5], 0x28
	s_lshl_b64 s[20:21], s[8:9], 2
	s_waitcnt lgkmcnt(0)
	s_add_u32 s6, s6, s20
	s_addc_u32 s7, s7, s21
	s_load_dword s33, s[6:7], 0x0
	s_lshl_b32 s22, s26, 8
	s_waitcnt lgkmcnt(0)
	s_cmp_ge_i32 s22, s33
	s_cbranch_scc1 .LBB909_597
; %bb.5:
	s_add_i32 s12, s33, 15
	s_load_dwordx2 s[6:7], s[4:5], 0x20
	s_load_dword s11, s[4:5], 0x38
	s_ashr_i32 s13, s12, 31
	v_and_b32_e32 v1, 0xcf, v0
	s_lshr_b32 s13, s13, 28
	v_add_u32_e32 v1, s22, v1
	s_add_i32 s12, s12, s13
	v_ashrrev_i32_e32 v2, 31, v1
	s_ashr_i32 s24, s12, 4
	v_lshrrev_b32_e32 v10, 28, v2
	s_add_i32 s24, s24, -1
	v_add_u32_e32 v2, v1, v10
	s_waitcnt lgkmcnt(0)
	s_mul_i32 s12, s8, s11
	s_mov_b32 s13, 0
	v_ashrrev_i32_e32 v2, 4, v2
	v_mov_b32_e32 v11, s24
	v_cmp_gt_i32_e32 vcc, s33, v1
	s_lshl_b64 s[12:13], s[12:13], 2
	v_cndmask_b32_e32 v2, v11, v2, vcc
	s_add_u32 s11, s6, s12
	v_ashrrev_i32_e32 v3, 31, v2
	s_addc_u32 s23, s7, s13
	v_lshlrev_b64 v[2:3], 2, v[2:3]
	v_mov_b32_e32 v5, s23
	v_add_co_u32_e32 v4, vcc, s11, v2
	v_or_b32_e32 v2, 16, v1
	v_addc_co_u32_e32 v5, vcc, v5, v3, vcc
	v_add_u32_e32 v3, v2, v10
	v_ashrrev_i32_e32 v3, 4, v3
	v_cmp_gt_i32_e32 vcc, s33, v2
	v_cndmask_b32_e32 v2, v11, v3, vcc
	v_ashrrev_i32_e32 v3, 31, v2
	v_lshlrev_b64 v[2:3], 2, v[2:3]
	v_mov_b32_e32 v7, s23
	v_add_co_u32_e32 v6, vcc, s11, v2
	v_or_b32_e32 v2, 32, v1
	v_addc_co_u32_e32 v7, vcc, v7, v3, vcc
	v_add_u32_e32 v3, v2, v10
	v_ashrrev_i32_e32 v3, 4, v3
	v_cmp_gt_i32_e32 vcc, s33, v2
	v_cndmask_b32_e32 v2, v11, v3, vcc
	v_ashrrev_i32_e32 v3, 31, v2
	;; [unrolled: 10-line block ×3, first 2 shown]
	v_lshlrev_b64 v[2:3], 2, v[2:3]
	v_mov_b32_e32 v1, s23
	v_add_co_u32_e32 v12, vcc, s11, v2
	v_addc_co_u32_e32 v13, vcc, v1, v3, vcc
	global_load_dword v2, v[4:5], off
	global_load_dword v10, v[6:7], off
	;; [unrolled: 1-line block ×4, first 2 shown]
	s_load_dwordx2 s[6:7], s[4:5], 0x40
	s_load_dwordx4 s[12:15], s[4:5], 0x8
	s_andn2_b64 vcc, exec, s[18:19]
	s_cbranch_vccnz .LBB909_8
; %bb.6:
	s_add_u32 s16, s16, s20
	s_addc_u32 s17, s17, s21
	s_load_dword s18, s[16:17], 0x0
	s_branch .LBB909_9
.LBB909_7:
	s_mov_b64 s[12:13], 0
	s_branch .LBB909_2
.LBB909_8:
	s_mov_b32 s18, s8
.LBB909_9:
	s_load_dwordx2 s[48:49], s[4:5], 0x68
	s_load_dwordx8 s[40:47], s[4:5], 0x48
	v_and_b32_e32 v53, 15, v0
	v_lshlrev_b32_e32 v3, 3, v53
	s_movk_i32 s16, 0x100
	v_lshrrev_b32_e32 v62, 6, v0
	v_bfe_u32 v1, v0, 4, 2
	s_lshl_b32 s27, s10, 4
	v_cmp_gt_u32_e32 vcc, s16, v0
	v_lshlrev_b32_e32 v52, 1, v3
	v_lshlrev_b32_e32 v54, 4, v0
	s_and_saveexec_b64 s[16:17], vcc
	s_cbranch_execz .LBB909_11
; %bb.10:
	s_load_dwordx2 s[20:21], s[4:5], 0x0
	s_waitcnt lgkmcnt(0)
	s_ashr_i32 s19, s40, 31
	s_mul_hi_u32 s25, s18, s40
	s_mul_i32 s19, s18, s19
	v_lshl_or_b32 v3, v62, 2, v1
	s_add_i32 s19, s25, s19
	s_mul_i32 s18, s18, s40
	s_lshl_b64 s[18:19], s[18:19], 1
	v_add_lshl_u32 v4, v3, s27, 7
	s_add_u32 s18, s20, s18
	v_ashrrev_i32_e32 v5, 31, v4
	s_addc_u32 s19, s21, s19
	v_lshlrev_b64 v[4:5], 1, v[4:5]
	v_mov_b32_e32 v6, s19
	v_add_co_u32_e32 v4, vcc, s18, v4
	v_addc_co_u32_e32 v5, vcc, v6, v5, vcc
	v_add_co_u32_e32 v4, vcc, v4, v52
	v_addc_co_u32_e32 v5, vcc, 0, v5, vcc
	global_load_dwordx4 v[4:7], v[4:5], off
	v_lshlrev_b32_e32 v9, 8, v0
	v_lshlrev_b32_e32 v8, 8, v53
	v_and_b32_e32 v9, 0x600, v9
	s_movk_i32 s18, 0x800
	v_and_or_b32 v8, v8, s18, v9
	v_lshlrev_b32_e32 v3, 5, v3
	v_and_b32_e32 v9, 16, v54
	v_or3_b32 v3, v8, v3, v9
	s_waitcnt vmcnt(0)
	ds_write_b128 v3, v[4:7]
.LBB909_11:
	s_or_b64 exec, exec, s[16:17]
	s_waitcnt lgkmcnt(0)
	s_mul_i32 s10, s10, s42
	s_add_u32 s12, s12, s10
	s_addc_u32 s13, s13, 0
	v_and_b32_e32 v3, 0xf0, v54
	v_mov_b32_e32 v4, s13
	v_add_co_u32_e32 v18, vcc, s12, v3
	v_and_b32_e32 v11, 48, v0
	v_addc_co_u32_e32 v19, vcc, 0, v4, vcc
	v_lshlrev_b32_e32 v24, 4, v11
	s_waitcnt vmcnt(3)
	v_mad_i64_i32 v[2:3], s[12:13], v2, s41, v[18:19]
	v_add_co_u32_e32 v12, vcc, v2, v24
	v_addc_co_u32_e32 v13, vcc, 0, v3, vcc
	v_or_b32_e32 v11, s22, v11
	s_load_dwordx2 s[50:51], s[4:5], 0x94
	s_waitcnt lgkmcnt(0)
	s_barrier
	global_load_dwordx4 v[6:9], v[12:13], off
	global_load_dwordx4 v[2:5], v[12:13], off offset:1024
	v_ashrrev_i32_e32 v12, 4, v11
	v_mov_b32_e32 v22, s24
	v_cmp_gt_i32_e32 vcc, s33, v11
	v_cndmask_b32_e32 v12, v22, v12, vcc
	v_ashrrev_i32_e32 v13, 31, v12
	v_lshlrev_b64 v[12:13], 2, v[12:13]
	v_mov_b32_e32 v14, s23
	v_add_co_u32_e32 v12, vcc, s11, v12
	v_addc_co_u32_e32 v13, vcc, v14, v13, vcc
	v_or_b32_e32 v14, 64, v11
	v_ashrrev_i32_e32 v15, 4, v14
	v_cmp_gt_i32_e32 vcc, s33, v14
	v_cndmask_b32_e32 v14, v22, v15, vcc
	v_ashrrev_i32_e32 v15, 31, v14
	v_lshlrev_b64 v[14:15], 2, v[14:15]
	v_mov_b32_e32 v16, s23
	v_add_co_u32_e32 v14, vcc, s11, v14
	v_addc_co_u32_e32 v15, vcc, v16, v15, vcc
	v_or_b32_e32 v16, 0x80, v11
	v_ashrrev_i32_e32 v17, 4, v16
	v_cmp_gt_i32_e32 vcc, s33, v16
	v_cndmask_b32_e32 v16, v22, v17, vcc
	v_ashrrev_i32_e32 v17, 31, v16
	v_lshlrev_b64 v[16:17], 2, v[16:17]
	v_mov_b32_e32 v23, s23
	v_add_co_u32_e32 v16, vcc, s11, v16
	v_addc_co_u32_e32 v17, vcc, v23, v17, vcc
	v_or_b32_e32 v11, 0xc0, v11
	global_load_dword v46, v[12:13], off
	global_load_dword v50, v[14:15], off
	;; [unrolled: 1-line block ×3, first 2 shown]
	v_ashrrev_i32_e32 v12, 4, v11
	v_cmp_gt_i32_e32 vcc, s33, v11
	v_cndmask_b32_e32 v12, v22, v12, vcc
	v_ashrrev_i32_e32 v13, 31, v12
	v_lshlrev_b64 v[12:13], 2, v[12:13]
	v_mov_b32_e32 v11, s23
	v_add_co_u32_e32 v12, vcc, s11, v12
	v_addc_co_u32_e32 v13, vcc, v11, v13, vcc
	global_load_dword v56, v[12:13], off
	s_waitcnt vmcnt(8)
	v_mad_i64_i32 v[10:11], s[12:13], v10, s41, v[18:19]
	v_add_co_u32_e32 v22, vcc, v10, v24
	v_addc_co_u32_e32 v23, vcc, 0, v11, vcc
	global_load_dwordx4 v[14:17], v[22:23], off
	global_load_dwordx4 v[10:13], v[22:23], off offset:1024
	s_waitcnt vmcnt(9)
	v_mad_i64_i32 v[22:23], s[12:13], v21, s41, v[18:19]
	v_add_co_u32_e32 v22, vcc, v22, v24
	v_addc_co_u32_e32 v23, vcc, 0, v23, vcc
	global_load_dwordx4 v[26:29], v[22:23], off
	v_lshl_or_b32 v64, v62, 4, v53
	v_lshlrev_b32_e32 v47, 4, v64
	s_mov_b32 s16, 0x5040100
	s_waitcnt vmcnt(8)
	buffer_store_dword v9, off, s[0:3], 0 offset:12
	buffer_store_dword v8, off, s[0:3], 0 offset:8
	;; [unrolled: 1-line block ×3, first 2 shown]
	buffer_store_dword v6, off, s[0:3], 0
	s_waitcnt vmcnt(11)
	buffer_store_dword v5, off, s[0:3], 0 offset:28
	buffer_store_dword v4, off, s[0:3], 0 offset:24
	v_mad_i64_i32 v[8:9], s[12:13], v20, s41, v[18:19]
	v_add_co_u32_e32 v8, vcc, v8, v24
	s_add_u32 s12, s14, s10
	v_addc_co_u32_e32 v9, vcc, 0, v9, vcc
	s_addc_u32 s13, s15, 0
	global_load_dwordx4 v[4:7], v[22:23], off offset:1024
	s_nop 0
	global_load_dwordx4 v[22:25], v[8:9], off
	global_load_dwordx4 v[18:21], v[8:9], off offset:1024
	v_mov_b32_e32 v9, s13
	v_add_co_u32_e32 v8, vcc, s12, v47
	v_addc_co_u32_e32 v9, vcc, 0, v9, vcc
	s_movk_i32 s14, 0x7f
	s_mov_b32 s15, 0xffffff
	s_waitcnt vmcnt(15)
	v_mad_i64_i32 v[30:31], s[10:11], v46, s41, v[8:9]
	s_waitcnt vmcnt(14)
	v_mad_i64_i32 v[32:33], s[10:11], v50, s41, v[8:9]
	;; [unrolled: 2-line block ×3, first 2 shown]
	global_load_dwordx4 v[34:37], v[30:31], off
	s_nop 0
	global_load_dwordx4 v[30:33], v[32:33], off
	s_waitcnt vmcnt(14)
	v_mad_i64_i32 v[8:9], s[10:11], v56, s41, v[8:9]
	global_load_dwordx4 v[42:45], v[38:39], off
	s_nop 0
	global_load_dwordx4 v[38:41], v[8:9], off
	v_or_b32_e32 v8, 0x400, v47
	v_mov_b32_e32 v9, s13
	v_add_co_u32_e32 v8, vcc, s12, v8
	v_addc_co_u32_e32 v9, vcc, 0, v9, vcc
	v_mad_i64_i32 v[46:47], s[10:11], v46, s41, v[8:9]
	buffer_store_dword v3, off, s[0:3], 0 offset:20
	buffer_store_dword v2, off, s[0:3], 0 offset:16
	v_mad_i64_i32 v[2:3], s[10:11], v55, s41, v[8:9]
	global_load_dwordx4 v[46:49], v[46:47], off
	v_mad_i64_i32 v[50:51], s[10:11], v50, s41, v[8:9]
	global_load_dwordx4 v[70:73], v[2:3], off
	;; [unrolled: 2-line block ×3, first 2 shown]
	global_load_dwordx4 v[74:77], v[2:3], off
	v_or_b32_e32 v50, s27, v53
	v_ashrrev_i32_e32 v51, 31, v50
	v_lshlrev_b64 v[2:3], 2, v[50:51]
	v_mov_b32_e32 v8, s7
	v_add_co_u32_e32 v2, vcc, s6, v2
	s_waitcnt vmcnt(21)
	buffer_store_dword v17, off, s[0:3], 0 offset:44
	buffer_store_dword v16, off, s[0:3], 0 offset:40
	;; [unrolled: 1-line block ×4, first 2 shown]
	s_waitcnt vmcnt(24)
	buffer_store_dword v13, off, s[0:3], 0 offset:60
	buffer_store_dword v12, off, s[0:3], 0 offset:56
	;; [unrolled: 1-line block ×4, first 2 shown]
	v_addc_co_u32_e32 v3, vcc, v8, v3, vcc
	global_load_dword v65, v[2:3], off
	s_load_dword s6, s[4:5], 0x1c
	s_load_dwordx4 s[40:43], s[4:5], 0x80
	s_waitcnt vmcnt(28)
	buffer_store_dword v29, off, s[0:3], 0 offset:76
	buffer_store_dword v28, off, s[0:3], 0 offset:72
	;; [unrolled: 1-line block ×4, first 2 shown]
	v_lshlrev_b32_e32 v27, 5, v53
	v_mov_b32_e32 v2, 0x80
	s_waitcnt vmcnt(25)
	buffer_store_dword v7, off, s[0:3], 0 offset:92
	buffer_store_dword v6, off, s[0:3], 0 offset:88
	;; [unrolled: 1-line block ×4, first 2 shown]
	v_lshl_or_b32 v63, v1, 9, v27
	v_add_u32_e32 v55, 16, v2
	v_add_u32_e32 v61, 32, v2
	;; [unrolled: 1-line block ×7, first 2 shown]
	ds_read_b128 v[2:5], v63
	ds_read_b128 v[6:9], v63 offset:16
	ds_read_b128 v[10:13], v63 offset:2048
	;; [unrolled: 1-line block ×3, first 2 shown]
	s_waitcnt vmcnt(28)
	buffer_store_dword v25, off, s[0:3], 0 offset:108
	buffer_store_dword v24, off, s[0:3], 0 offset:104
	buffer_store_dword v23, off, s[0:3], 0 offset:100
	buffer_store_dword v22, off, s[0:3], 0 offset:96
	s_waitcnt vmcnt(31)
	buffer_store_dword v18, off, s[0:3], 0 offset:112
	buffer_store_dword v19, off, s[0:3], 0 offset:116
	buffer_store_dword v20, off, s[0:3], 0 offset:120
	buffer_store_dword v21, off, s[0:3], 0 offset:124
	;; [unrolled: 5-line block ×8, first 2 shown]
	buffer_store_dword v73, off, s[0:3], 0 offset:220
	buffer_store_dword v72, off, s[0:3], 0 offset:216
	;; [unrolled: 1-line block ×4, first 2 shown]
	s_waitcnt vmcnt(53)
	buffer_store_dword v77, off, s[0:3], 0 offset:252
	s_waitcnt lgkmcnt(0)
	s_load_dword s4, s[40:41], 0x0
	v_mov_b32_e32 v18, s6
	v_and_b32_e32 v51, 63, v0
	s_mov_b32 s12, 0
	s_movk_i32 s13, 0x80
	s_waitcnt lgkmcnt(0)
	v_mul_f32_e32 v22, s4, v18
	v_mov_b32_e32 v24, v22
	v_mov_b32_e32 v25, v22
	;; [unrolled: 1-line block ×5, first 2 shown]
	v_bfrev_b32_e32 v35, 60
	buffer_store_dword v76, off, s[0:3], 0 offset:248
	buffer_store_dword v75, off, s[0:3], 0 offset:244
	;; [unrolled: 1-line block ×3, first 2 shown]
	s_branch .LBB909_15
.LBB909_12:                             ;   in Loop: Header=BB909_15 Depth=1
	s_or_b64 exec, exec, s[10:11]
.LBB909_13:                             ;   in Loop: Header=BB909_15 Depth=1
	s_or_b64 exec, exec, s[6:7]
.LBB909_14:                             ;   in Loop: Header=BB909_15 Depth=1
	s_or_b64 exec, exec, s[4:5]
	v_perm_b32 v41, v37, v32, s16
	v_perm_b32 v40, v23, v34, s16
	;; [unrolled: 1-line block ×4, first 2 shown]
	v_add_u32_e32 v26, s12, v31
	v_mfma_f32_16x16x16bf16_1k v[18:21], v[40:41], v[14:15], v[18:21]
	s_add_i32 s12, s12, 16
	v_mov_b32_e32 v23, v22
	s_cmp_eq_u32 s12, 64
	v_add_u32_e32 v29, 32, v29
	v_mfma_f32_16x16x16bf16_1k v[18:21], v[36:37], v[16:17], v[18:21]
	s_nop 7
	s_nop 2
	v_pk_mul_f32 v[18:19], v[24:25], v[18:19]
	v_pk_mul_f32 v[20:21], v[22:23], v[20:21]
	buffer_store_dword v19, v26, s[0:3], 0 offen offset:4
	buffer_store_dword v18, v26, s[0:3], 0 offen
	buffer_store_dword v21, v26, s[0:3], 0 offen offset:12
	buffer_store_dword v20, v26, s[0:3], 0 offen offset:8
	s_cbranch_scc1 .LBB909_205
.LBB909_15:                             ; =>This Inner Loop Header: Depth=1
	buffer_load_dword v20, v29, s[0:3], 0 offen
	buffer_load_dword v18, v29, s[0:3], 0 offen offset:4
	buffer_load_dword v28, v29, s[0:3], 0 offen offset:8
	;; [unrolled: 1-line block ×3, first 2 shown]
	v_mov_b32_e32 v19, 0
	s_waitcnt vmcnt(3)
	v_cmp_ne_u16_sdwa s[6:7], v20, v33 src0_sel:BYTE_0 src1_sel:DWORD
	s_and_saveexec_b64 s[4:5], s[6:7]
	s_cbranch_execz .LBB909_21
; %bb.16:                               ;   in Loop: Header=BB909_15 Depth=1
	v_cmp_ne_u16_sdwa s[10:11], v20, s13 src0_sel:BYTE_0 src1_sel:DWORD
	v_mov_b32_e32 v19, 0xffff8000
	s_and_saveexec_b64 s[6:7], s[10:11]
	s_cbranch_execz .LBB909_20
; %bb.17:                               ;   in Loop: Header=BB909_15 Depth=1
	v_and_b32_e32 v21, 0x7f, v20
	v_cmp_ne_u32_e32 vcc, s14, v21
	v_mov_b32_e32 v19, 0x7f80
	s_and_saveexec_b64 s[10:11], vcc
	s_cbranch_execz .LBB909_19
; %bb.18:                               ;   in Loop: Header=BB909_15 Depth=1
	v_and_b32_e32 v19, 7, v20
	v_ffbh_u32_e32 v30, v19
	v_min_u32_e32 v30, 32, v30
	v_subrev_u32_e32 v32, 28, v30
	v_lshlrev_b64 v[36:37], v32, v[20:21]
	v_lshrrev_b32_e32 v23, 3, v21
	v_sub_u32_e32 v30, 29, v30
	v_and_b32_e32 v32, 7, v36
	v_cmp_gt_u32_e32 vcc, 8, v21
	v_cndmask_b32_e32 v21, v23, v30, vcc
	v_cndmask_b32_e32 v19, v19, v32, vcc
	v_lshlrev_b32_e32 v23, 24, v20
	v_lshlrev_b32_e32 v19, 20, v19
	v_and_b32_e32 v23, 0x80000000, v23
	v_lshl_add_u32 v21, v21, 23, v35
	v_or3_b32 v19, v23, v21, v19
	v_lshrrev_b32_e32 v19, 16, v19
.LBB909_19:                             ;   in Loop: Header=BB909_15 Depth=1
	s_or_b64 exec, exec, s[10:11]
.LBB909_20:                             ;   in Loop: Header=BB909_15 Depth=1
	s_or_b64 exec, exec, s[6:7]
.LBB909_21:                             ;   in Loop: Header=BB909_15 Depth=1
	s_or_b64 exec, exec, s[4:5]
	v_lshrrev_b16_e32 v30, 8, v20
	v_cmp_ne_u16_e32 vcc, 0, v30
	v_mov_b32_e32 v23, 0
	v_mov_b32_e32 v21, 0
	s_and_saveexec_b64 s[4:5], vcc
	s_cbranch_execz .LBB909_27
; %bb.22:                               ;   in Loop: Header=BB909_15 Depth=1
	v_cmp_ne_u16_e32 vcc, s13, v30
	v_mov_b32_e32 v21, 0xffff8000
	s_and_saveexec_b64 s[6:7], vcc
	s_cbranch_execz .LBB909_26
; %bb.23:                               ;   in Loop: Header=BB909_15 Depth=1
	v_and_b32_e32 v32, 0x7f, v30
	v_cmp_ne_u32_e32 vcc, s14, v32
	v_mov_b32_e32 v21, 0x7f80
	s_and_saveexec_b64 s[10:11], vcc
	s_cbranch_execz .LBB909_25
; %bb.24:                               ;   in Loop: Header=BB909_15 Depth=1
	v_and_b32_e32 v21, 7, v30
	v_ffbh_u32_e32 v36, v21
	v_min_u32_e32 v38, 32, v36
	v_subrev_u32_e32 v36, 28, v38
	v_lshlrev_b64 v[36:37], v36, v[30:31]
	v_lshrrev_b32_e32 v34, 3, v32
	v_sub_u32_e32 v30, 29, v38
	v_and_b32_e32 v36, 7, v36
	v_cmp_gt_u32_e32 vcc, 8, v32
	v_cndmask_b32_e32 v30, v34, v30, vcc
	v_cndmask_b32_e32 v21, v21, v36, vcc
	v_lshlrev_b32_e32 v32, 16, v20
	v_lshlrev_b32_e32 v21, 20, v21
	v_and_b32_e32 v32, 0x80000000, v32
	v_lshl_add_u32 v30, v30, 23, v35
	v_or3_b32 v21, v32, v30, v21
	v_lshrrev_b32_e32 v21, 16, v21
.LBB909_25:                             ;   in Loop: Header=BB909_15 Depth=1
	s_or_b64 exec, exec, s[10:11]
.LBB909_26:                             ;   in Loop: Header=BB909_15 Depth=1
	s_or_b64 exec, exec, s[6:7]
.LBB909_27:                             ;   in Loop: Header=BB909_15 Depth=1
	s_or_b64 exec, exec, s[4:5]
	v_lshrrev_b32_e32 v30, 16, v20
	v_cmp_ne_u16_sdwa s[6:7], v30, v33 src0_sel:BYTE_0 src1_sel:DWORD
	s_and_saveexec_b64 s[4:5], s[6:7]
	s_cbranch_execz .LBB909_33
; %bb.28:                               ;   in Loop: Header=BB909_15 Depth=1
	v_cmp_ne_u16_sdwa s[10:11], v30, s13 src0_sel:BYTE_0 src1_sel:DWORD
	v_mov_b32_e32 v23, 0xffff8000
	s_and_saveexec_b64 s[6:7], s[10:11]
	s_cbranch_execz .LBB909_32
; %bb.29:                               ;   in Loop: Header=BB909_15 Depth=1
	v_bfe_u32 v32, v20, 16, 7
	v_cmp_ne_u32_e32 vcc, s14, v32
	v_mov_b32_e32 v23, 0x7f80
	s_and_saveexec_b64 s[10:11], vcc
	s_cbranch_execz .LBB909_31
; %bb.30:                               ;   in Loop: Header=BB909_15 Depth=1
	v_and_b32_e32 v23, 7, v30
	v_ffbh_u32_e32 v36, v23
	v_min_u32_e32 v38, 32, v36
	v_subrev_u32_e32 v36, 28, v38
	v_lshlrev_b64 v[36:37], v36, v[30:31]
	v_lshrrev_b32_e32 v34, 3, v32
	v_sub_u32_e32 v37, 29, v38
	v_and_b32_e32 v36, 7, v36
	v_cmp_gt_u32_e32 vcc, 8, v32
	v_cndmask_b32_e32 v32, v34, v37, vcc
	v_cndmask_b32_e32 v23, v23, v36, vcc
	v_lshlrev_b32_e32 v30, 24, v30
	v_lshlrev_b32_e32 v23, 20, v23
	v_and_b32_e32 v30, 0x80000000, v30
	v_lshl_add_u32 v32, v32, 23, v35
	v_or3_b32 v23, v30, v32, v23
	v_lshrrev_b32_e32 v23, 16, v23
.LBB909_31:                             ;   in Loop: Header=BB909_15 Depth=1
	s_or_b64 exec, exec, s[10:11]
.LBB909_32:                             ;   in Loop: Header=BB909_15 Depth=1
	s_or_b64 exec, exec, s[6:7]
.LBB909_33:                             ;   in Loop: Header=BB909_15 Depth=1
	s_or_b64 exec, exec, s[4:5]
	v_cmp_lt_u32_e32 vcc, s15, v20
	v_mov_b32_e32 v34, 0
	v_mov_b32_e32 v36, 0
	s_and_saveexec_b64 s[4:5], vcc
	s_cbranch_execz .LBB909_39
; %bb.34:                               ;   in Loop: Header=BB909_15 Depth=1
	v_lshrrev_b32_e32 v30, 24, v20
	v_cmp_ne_u32_e32 vcc, s13, v30
	v_mov_b32_e32 v36, 0xffff8000
	s_and_saveexec_b64 s[6:7], vcc
	s_cbranch_execz .LBB909_38
; %bb.35:                               ;   in Loop: Header=BB909_15 Depth=1
	v_bfe_u32 v20, v20, 24, 7
	v_cmp_ne_u32_e32 vcc, s14, v20
	v_mov_b32_e32 v36, 0x7f80
	s_and_saveexec_b64 s[10:11], vcc
	s_cbranch_execz .LBB909_37
; %bb.36:                               ;   in Loop: Header=BB909_15 Depth=1
	v_and_b32_e32 v32, 7, v30
	v_ffbh_u32_e32 v36, v32
	v_min_u32_e32 v39, 32, v36
	v_subrev_u32_e32 v36, 28, v39
	v_lshlrev_b64 v[36:37], v36, v[30:31]
	v_lshrrev_b32_e32 v38, 3, v20
	v_sub_u32_e32 v37, 29, v39
	v_and_b32_e32 v36, 7, v36
	v_cmp_gt_u32_e32 vcc, 8, v20
	v_cndmask_b32_e32 v20, v38, v37, vcc
	v_cndmask_b32_e32 v32, v32, v36, vcc
	v_lshlrev_b32_e32 v30, 24, v30
	v_lshlrev_b32_e32 v32, 20, v32
	v_and_b32_e32 v30, 0x80000000, v30
	v_lshl_add_u32 v20, v20, 23, v35
	v_or3_b32 v20, v30, v20, v32
	v_lshrrev_b32_e32 v36, 16, v20
.LBB909_37:                             ;   in Loop: Header=BB909_15 Depth=1
	s_or_b64 exec, exec, s[10:11]
.LBB909_38:                             ;   in Loop: Header=BB909_15 Depth=1
	s_or_b64 exec, exec, s[6:7]
.LBB909_39:                             ;   in Loop: Header=BB909_15 Depth=1
	s_or_b64 exec, exec, s[4:5]
	s_waitcnt vmcnt(2)
	v_cmp_ne_u16_sdwa s[6:7], v18, v33 src0_sel:BYTE_0 src1_sel:DWORD
	s_and_saveexec_b64 s[4:5], s[6:7]
	s_cbranch_execz .LBB909_45
; %bb.40:                               ;   in Loop: Header=BB909_15 Depth=1
	v_cmp_ne_u16_sdwa s[10:11], v18, s13 src0_sel:BYTE_0 src1_sel:DWORD
	v_mov_b32_e32 v34, 0xffff8000
	s_and_saveexec_b64 s[6:7], s[10:11]
	s_cbranch_execz .LBB909_44
; %bb.41:                               ;   in Loop: Header=BB909_15 Depth=1
	v_and_b32_e32 v20, 0x7f, v18
	v_cmp_ne_u32_e32 vcc, s14, v20
	v_mov_b32_e32 v34, 0x7f80
	s_and_saveexec_b64 s[10:11], vcc
	s_cbranch_execz .LBB909_43
; %bb.42:                               ;   in Loop: Header=BB909_15 Depth=1
	v_and_b32_e32 v30, 7, v18
	v_ffbh_u32_e32 v34, v30
	v_min_u32_e32 v34, 32, v34
	v_subrev_u32_e32 v37, 28, v34
	v_lshlrev_b64 v[38:39], v37, v[18:19]
	v_lshrrev_b32_e32 v32, 3, v20
	v_sub_u32_e32 v34, 29, v34
	v_and_b32_e32 v37, 7, v38
	v_cmp_gt_u32_e32 vcc, 8, v20
	v_cndmask_b32_e32 v20, v32, v34, vcc
	v_cndmask_b32_e32 v30, v30, v37, vcc
	v_lshlrev_b32_e32 v32, 24, v18
	v_lshlrev_b32_e32 v30, 20, v30
	v_and_b32_e32 v32, 0x80000000, v32
	v_lshl_add_u32 v20, v20, 23, v35
	v_or3_b32 v20, v32, v20, v30
	v_lshrrev_b32_e32 v34, 16, v20
.LBB909_43:                             ;   in Loop: Header=BB909_15 Depth=1
	s_or_b64 exec, exec, s[10:11]
.LBB909_44:                             ;   in Loop: Header=BB909_15 Depth=1
	s_or_b64 exec, exec, s[6:7]
.LBB909_45:                             ;   in Loop: Header=BB909_15 Depth=1
	s_or_b64 exec, exec, s[4:5]
	v_lshrrev_b16_e32 v20, 8, v18
	v_cmp_ne_u16_e32 vcc, 0, v20
	v_mov_b32_e32 v37, 0
	v_mov_b32_e32 v30, 0
	s_and_saveexec_b64 s[4:5], vcc
	s_cbranch_execz .LBB909_51
; %bb.46:                               ;   in Loop: Header=BB909_15 Depth=1
	v_cmp_ne_u16_e32 vcc, s13, v20
	v_mov_b32_e32 v30, 0xffff8000
	s_and_saveexec_b64 s[6:7], vcc
	s_cbranch_execz .LBB909_50
; %bb.47:                               ;   in Loop: Header=BB909_15 Depth=1
	v_and_b32_e32 v32, 0x7f, v20
	v_cmp_ne_u32_e32 vcc, s14, v32
	v_mov_b32_e32 v30, 0x7f80
	s_and_saveexec_b64 s[10:11], vcc
	s_cbranch_execz .LBB909_49
; %bb.48:                               ;   in Loop: Header=BB909_15 Depth=1
	v_and_b32_e32 v30, 7, v20
	v_ffbh_u32_e32 v38, v30
	v_min_u32_e32 v41, 32, v38
	v_subrev_u32_e32 v38, 28, v41
	v_lshlrev_b64 v[38:39], v38, v[20:21]
	v_lshrrev_b32_e32 v40, 3, v32
	v_sub_u32_e32 v20, 29, v41
	v_and_b32_e32 v38, 7, v38
	v_cmp_gt_u32_e32 vcc, 8, v32
	v_cndmask_b32_e32 v20, v40, v20, vcc
	v_cndmask_b32_e32 v30, v30, v38, vcc
	v_lshlrev_b32_e32 v32, 16, v18
	v_lshlrev_b32_e32 v30, 20, v30
	v_and_b32_e32 v32, 0x80000000, v32
	v_lshl_add_u32 v20, v20, 23, v35
	v_or3_b32 v20, v32, v20, v30
	v_lshrrev_b32_e32 v30, 16, v20
.LBB909_49:                             ;   in Loop: Header=BB909_15 Depth=1
	s_or_b64 exec, exec, s[10:11]
.LBB909_50:                             ;   in Loop: Header=BB909_15 Depth=1
	s_or_b64 exec, exec, s[6:7]
.LBB909_51:                             ;   in Loop: Header=BB909_15 Depth=1
	s_or_b64 exec, exec, s[4:5]
	v_lshrrev_b32_e32 v20, 16, v18
	v_cmp_ne_u16_sdwa s[6:7], v20, v33 src0_sel:BYTE_0 src1_sel:DWORD
	s_and_saveexec_b64 s[4:5], s[6:7]
	s_cbranch_execz .LBB909_57
; %bb.52:                               ;   in Loop: Header=BB909_15 Depth=1
	v_cmp_ne_u16_sdwa s[10:11], v20, s13 src0_sel:BYTE_0 src1_sel:DWORD
	v_mov_b32_e32 v37, 0xffff8000
	s_and_saveexec_b64 s[6:7], s[10:11]
	s_cbranch_execz .LBB909_56
; %bb.53:                               ;   in Loop: Header=BB909_15 Depth=1
	v_bfe_u32 v32, v18, 16, 7
	v_cmp_ne_u32_e32 vcc, s14, v32
	v_mov_b32_e32 v37, 0x7f80
	s_and_saveexec_b64 s[10:11], vcc
	s_cbranch_execz .LBB909_55
; %bb.54:                               ;   in Loop: Header=BB909_15 Depth=1
	v_and_b32_e32 v37, 7, v20
	v_ffbh_u32_e32 v38, v37
	v_min_u32_e32 v41, 32, v38
	v_subrev_u32_e32 v38, 28, v41
	v_lshlrev_b64 v[38:39], v38, v[20:21]
	v_lshrrev_b32_e32 v40, 3, v32
	v_sub_u32_e32 v39, 29, v41
	v_and_b32_e32 v38, 7, v38
	v_cmp_gt_u32_e32 vcc, 8, v32
	v_cndmask_b32_e32 v32, v40, v39, vcc
	v_cndmask_b32_e32 v37, v37, v38, vcc
	v_lshlrev_b32_e32 v20, 24, v20
	v_lshlrev_b32_e32 v37, 20, v37
	v_and_b32_e32 v20, 0x80000000, v20
	v_lshl_add_u32 v32, v32, 23, v35
	v_or3_b32 v20, v20, v32, v37
	v_lshrrev_b32_e32 v37, 16, v20
.LBB909_55:                             ;   in Loop: Header=BB909_15 Depth=1
	s_or_b64 exec, exec, s[10:11]
.LBB909_56:                             ;   in Loop: Header=BB909_15 Depth=1
	s_or_b64 exec, exec, s[6:7]
.LBB909_57:                             ;   in Loop: Header=BB909_15 Depth=1
	s_or_b64 exec, exec, s[4:5]
	v_cmp_lt_u32_e32 vcc, s15, v18
	v_mov_b32_e32 v32, 0
	v_mov_b32_e32 v38, 0
	s_and_saveexec_b64 s[4:5], vcc
	s_cbranch_execz .LBB909_63
; %bb.58:                               ;   in Loop: Header=BB909_15 Depth=1
	v_lshrrev_b32_e32 v20, 24, v18
	v_cmp_ne_u32_e32 vcc, s13, v20
	v_mov_b32_e32 v38, 0xffff8000
	s_and_saveexec_b64 s[6:7], vcc
	s_cbranch_execz .LBB909_62
; %bb.59:                               ;   in Loop: Header=BB909_15 Depth=1
	v_bfe_u32 v18, v18, 24, 7
	v_cmp_ne_u32_e32 vcc, s14, v18
	v_mov_b32_e32 v38, 0x7f80
	s_and_saveexec_b64 s[10:11], vcc
	s_cbranch_execz .LBB909_61
; %bb.60:                               ;   in Loop: Header=BB909_15 Depth=1
	v_and_b32_e32 v40, 7, v20
	v_ffbh_u32_e32 v38, v40
	v_min_u32_e32 v42, 32, v38
	v_subrev_u32_e32 v38, 28, v42
	v_lshlrev_b64 v[38:39], v38, v[20:21]
	v_lshrrev_b32_e32 v41, 3, v18
	v_sub_u32_e32 v39, 29, v42
	v_and_b32_e32 v38, 7, v38
	v_cmp_gt_u32_e32 vcc, 8, v18
	v_cndmask_b32_e32 v18, v41, v39, vcc
	v_cndmask_b32_e32 v38, v40, v38, vcc
	v_lshlrev_b32_e32 v20, 24, v20
	v_lshlrev_b32_e32 v38, 20, v38
	v_and_b32_e32 v20, 0x80000000, v20
	v_lshl_add_u32 v18, v18, 23, v35
	v_or3_b32 v18, v20, v18, v38
	v_lshrrev_b32_e32 v38, 16, v18
.LBB909_61:                             ;   in Loop: Header=BB909_15 Depth=1
	s_or_b64 exec, exec, s[10:11]
.LBB909_62:                             ;   in Loop: Header=BB909_15 Depth=1
	s_or_b64 exec, exec, s[6:7]
.LBB909_63:                             ;   in Loop: Header=BB909_15 Depth=1
	s_or_b64 exec, exec, s[4:5]
	v_perm_b32 v41, v36, v23, s16
	v_perm_b32 v40, v21, v19, s16
	;; [unrolled: 1-line block ×4, first 2 shown]
	s_waitcnt vmcnt(1)
	v_cmp_ne_u16_sdwa s[6:7], v28, v33 src0_sel:BYTE_0 src1_sel:DWORD
	v_mfma_f32_16x16x16bf16_1k v[18:21], v[40:41], v[2:3], 0
	v_mfma_f32_16x16x16bf16_1k v[18:21], v[36:37], v[4:5], v[18:21]
	s_and_saveexec_b64 s[4:5], s[6:7]
	s_cbranch_execz .LBB909_69
; %bb.64:                               ;   in Loop: Header=BB909_15 Depth=1
	v_cmp_ne_u16_sdwa s[10:11], v28, s13 src0_sel:BYTE_0 src1_sel:DWORD
	v_mov_b32_e32 v32, 0xffff8000
	s_and_saveexec_b64 s[6:7], s[10:11]
	s_cbranch_execz .LBB909_68
; %bb.65:                               ;   in Loop: Header=BB909_15 Depth=1
	v_and_b32_e32 v23, 0x7f, v28
	v_cmp_ne_u32_e32 vcc, s14, v23
	v_mov_b32_e32 v32, 0x7f80
	s_and_saveexec_b64 s[10:11], vcc
	s_cbranch_execz .LBB909_67
; %bb.66:                               ;   in Loop: Header=BB909_15 Depth=1
	v_and_b32_e32 v30, 7, v28
	v_ffbh_u32_e32 v34, v30
	v_min_u32_e32 v34, 32, v34
	v_subrev_u32_e32 v36, 28, v34
	v_lshlrev_b64 v[36:37], v36, v[28:29]
	v_lshrrev_b32_e32 v32, 3, v23
	v_sub_u32_e32 v34, 29, v34
	v_and_b32_e32 v36, 7, v36
	v_cmp_gt_u32_e32 vcc, 8, v23
	v_cndmask_b32_e32 v23, v32, v34, vcc
	v_cndmask_b32_e32 v30, v30, v36, vcc
	v_lshlrev_b32_e32 v32, 24, v28
	v_lshlrev_b32_e32 v30, 20, v30
	v_and_b32_e32 v32, 0x80000000, v32
	v_lshl_add_u32 v23, v23, 23, v35
	v_or3_b32 v23, v32, v23, v30
	v_lshrrev_b32_e32 v32, 16, v23
.LBB909_67:                             ;   in Loop: Header=BB909_15 Depth=1
	s_or_b64 exec, exec, s[10:11]
.LBB909_68:                             ;   in Loop: Header=BB909_15 Depth=1
	s_or_b64 exec, exec, s[6:7]
.LBB909_69:                             ;   in Loop: Header=BB909_15 Depth=1
	s_or_b64 exec, exec, s[4:5]
	v_lshrrev_b16_e32 v30, 8, v28
	v_cmp_ne_u16_e32 vcc, 0, v30
	v_mov_b32_e32 v36, 0
	v_mov_b32_e32 v34, 0
	s_and_saveexec_b64 s[4:5], vcc
	s_cbranch_execz .LBB909_75
; %bb.70:                               ;   in Loop: Header=BB909_15 Depth=1
	v_cmp_ne_u16_e32 vcc, s13, v30
	v_mov_b32_e32 v34, 0xffff8000
	s_and_saveexec_b64 s[6:7], vcc
	s_cbranch_execz .LBB909_74
; %bb.71:                               ;   in Loop: Header=BB909_15 Depth=1
	v_and_b32_e32 v23, 0x7f, v30
	v_cmp_ne_u32_e32 vcc, s14, v23
	v_mov_b32_e32 v34, 0x7f80
	s_and_saveexec_b64 s[10:11], vcc
	s_cbranch_execz .LBB909_73
; %bb.72:                               ;   in Loop: Header=BB909_15 Depth=1
	v_and_b32_e32 v34, 7, v30
	v_ffbh_u32_e32 v38, v34
	v_min_u32_e32 v40, 32, v38
	v_subrev_u32_e32 v38, 28, v40
	v_lshlrev_b64 v[38:39], v38, v[30:31]
	v_lshrrev_b32_e32 v37, 3, v23
	v_sub_u32_e32 v30, 29, v40
	v_and_b32_e32 v38, 7, v38
	v_cmp_gt_u32_e32 vcc, 8, v23
	v_cndmask_b32_e32 v23, v37, v30, vcc
	v_cndmask_b32_e32 v30, v34, v38, vcc
	v_lshlrev_b32_e32 v34, 16, v28
	v_lshlrev_b32_e32 v30, 20, v30
	v_and_b32_e32 v34, 0x80000000, v34
	v_lshl_add_u32 v23, v23, 23, v35
	v_or3_b32 v23, v34, v23, v30
	v_lshrrev_b32_e32 v34, 16, v23
.LBB909_73:                             ;   in Loop: Header=BB909_15 Depth=1
	s_or_b64 exec, exec, s[10:11]
.LBB909_74:                             ;   in Loop: Header=BB909_15 Depth=1
	s_or_b64 exec, exec, s[6:7]
.LBB909_75:                             ;   in Loop: Header=BB909_15 Depth=1
	s_or_b64 exec, exec, s[4:5]
	v_lshrrev_b32_e32 v30, 16, v28
	v_cmp_ne_u16_sdwa s[6:7], v30, v33 src0_sel:BYTE_0 src1_sel:DWORD
	s_and_saveexec_b64 s[4:5], s[6:7]
	s_cbranch_execz .LBB909_81
; %bb.76:                               ;   in Loop: Header=BB909_15 Depth=1
	v_cmp_ne_u16_sdwa s[10:11], v30, s13 src0_sel:BYTE_0 src1_sel:DWORD
	v_mov_b32_e32 v36, 0xffff8000
	s_and_saveexec_b64 s[6:7], s[10:11]
	s_cbranch_execz .LBB909_80
; %bb.77:                               ;   in Loop: Header=BB909_15 Depth=1
	v_bfe_u32 v23, v28, 16, 7
	v_cmp_ne_u32_e32 vcc, s14, v23
	v_mov_b32_e32 v36, 0x7f80
	s_and_saveexec_b64 s[10:11], vcc
	s_cbranch_execz .LBB909_79
; %bb.78:                               ;   in Loop: Header=BB909_15 Depth=1
	v_and_b32_e32 v38, 7, v30
	v_ffbh_u32_e32 v36, v38
	v_min_u32_e32 v40, 32, v36
	v_subrev_u32_e32 v36, 28, v40
	v_lshlrev_b64 v[36:37], v36, v[30:31]
	v_lshrrev_b32_e32 v39, 3, v23
	v_sub_u32_e32 v37, 29, v40
	v_and_b32_e32 v36, 7, v36
	v_cmp_gt_u32_e32 vcc, 8, v23
	v_cndmask_b32_e32 v23, v39, v37, vcc
	v_cndmask_b32_e32 v36, v38, v36, vcc
	v_lshlrev_b32_e32 v30, 24, v30
	v_lshlrev_b32_e32 v36, 20, v36
	v_and_b32_e32 v30, 0x80000000, v30
	v_lshl_add_u32 v23, v23, 23, v35
	v_or3_b32 v23, v30, v23, v36
	v_lshrrev_b32_e32 v36, 16, v23
.LBB909_79:                             ;   in Loop: Header=BB909_15 Depth=1
	s_or_b64 exec, exec, s[10:11]
.LBB909_80:                             ;   in Loop: Header=BB909_15 Depth=1
	s_or_b64 exec, exec, s[6:7]
.LBB909_81:                             ;   in Loop: Header=BB909_15 Depth=1
	s_or_b64 exec, exec, s[4:5]
	v_cmp_lt_u32_e32 vcc, s15, v28
	v_mov_b32_e32 v37, 0
	v_mov_b32_e32 v38, 0
	s_and_saveexec_b64 s[4:5], vcc
	s_cbranch_execz .LBB909_87
; %bb.82:                               ;   in Loop: Header=BB909_15 Depth=1
	v_lshrrev_b32_e32 v30, 24, v28
	v_cmp_ne_u32_e32 vcc, s13, v30
	v_mov_b32_e32 v38, 0xffff8000
	s_and_saveexec_b64 s[6:7], vcc
	s_cbranch_execz .LBB909_86
; %bb.83:                               ;   in Loop: Header=BB909_15 Depth=1
	v_bfe_u32 v23, v28, 24, 7
	v_cmp_ne_u32_e32 vcc, s14, v23
	v_mov_b32_e32 v38, 0x7f80
	s_and_saveexec_b64 s[10:11], vcc
	s_cbranch_execz .LBB909_85
; %bb.84:                               ;   in Loop: Header=BB909_15 Depth=1
	v_and_b32_e32 v28, 7, v30
	v_ffbh_u32_e32 v38, v28
	v_min_u32_e32 v41, 32, v38
	v_subrev_u32_e32 v38, 28, v41
	v_lshlrev_b64 v[38:39], v38, v[30:31]
	v_lshrrev_b32_e32 v40, 3, v23
	v_sub_u32_e32 v39, 29, v41
	v_and_b32_e32 v38, 7, v38
	v_cmp_gt_u32_e32 vcc, 8, v23
	v_cndmask_b32_e32 v23, v40, v39, vcc
	v_cndmask_b32_e32 v28, v28, v38, vcc
	v_lshlrev_b32_e32 v30, 24, v30
	v_lshlrev_b32_e32 v28, 20, v28
	v_and_b32_e32 v30, 0x80000000, v30
	v_lshl_add_u32 v23, v23, 23, v35
	v_or3_b32 v23, v30, v23, v28
	v_lshrrev_b32_e32 v38, 16, v23
.LBB909_85:                             ;   in Loop: Header=BB909_15 Depth=1
	s_or_b64 exec, exec, s[10:11]
.LBB909_86:                             ;   in Loop: Header=BB909_15 Depth=1
	s_or_b64 exec, exec, s[6:7]
.LBB909_87:                             ;   in Loop: Header=BB909_15 Depth=1
	s_or_b64 exec, exec, s[4:5]
	s_waitcnt vmcnt(0)
	v_cmp_ne_u16_sdwa s[6:7], v26, v33 src0_sel:BYTE_0 src1_sel:DWORD
	s_and_saveexec_b64 s[4:5], s[6:7]
	s_cbranch_execz .LBB909_93
; %bb.88:                               ;   in Loop: Header=BB909_15 Depth=1
	v_cmp_ne_u16_sdwa s[10:11], v26, s13 src0_sel:BYTE_0 src1_sel:DWORD
	v_mov_b32_e32 v37, 0xffff8000
	s_and_saveexec_b64 s[6:7], s[10:11]
	s_cbranch_execz .LBB909_92
; %bb.89:                               ;   in Loop: Header=BB909_15 Depth=1
	v_and_b32_e32 v23, 0x7f, v26
	v_cmp_ne_u32_e32 vcc, s14, v23
	v_mov_b32_e32 v37, 0x7f80
	s_and_saveexec_b64 s[10:11], vcc
	s_cbranch_execz .LBB909_91
; %bb.90:                               ;   in Loop: Header=BB909_15 Depth=1
	v_and_b32_e32 v28, 7, v26
	v_ffbh_u32_e32 v37, v28
	v_min_u32_e32 v37, 32, v37
	v_subrev_u32_e32 v39, 28, v37
	v_lshlrev_b64 v[40:41], v39, v[26:27]
	v_lshrrev_b32_e32 v30, 3, v23
	v_sub_u32_e32 v37, 29, v37
	v_and_b32_e32 v39, 7, v40
	v_cmp_gt_u32_e32 vcc, 8, v23
	v_cndmask_b32_e32 v23, v30, v37, vcc
	v_cndmask_b32_e32 v28, v28, v39, vcc
	v_lshlrev_b32_e32 v30, 24, v26
	v_lshlrev_b32_e32 v28, 20, v28
	v_and_b32_e32 v30, 0x80000000, v30
	v_lshl_add_u32 v23, v23, 23, v35
	v_or3_b32 v23, v30, v23, v28
	v_lshrrev_b32_e32 v37, 16, v23
.LBB909_91:                             ;   in Loop: Header=BB909_15 Depth=1
	s_or_b64 exec, exec, s[10:11]
.LBB909_92:                             ;   in Loop: Header=BB909_15 Depth=1
	s_or_b64 exec, exec, s[6:7]
.LBB909_93:                             ;   in Loop: Header=BB909_15 Depth=1
	s_or_b64 exec, exec, s[4:5]
	v_lshrrev_b16_e32 v28, 8, v26
	v_cmp_ne_u16_e32 vcc, 0, v28
	v_mov_b32_e32 v40, 0
	v_mov_b32_e32 v39, 0
	s_and_saveexec_b64 s[4:5], vcc
	s_cbranch_execz .LBB909_99
; %bb.94:                               ;   in Loop: Header=BB909_15 Depth=1
	v_cmp_ne_u16_e32 vcc, s13, v28
	v_mov_b32_e32 v39, 0xffff8000
	s_and_saveexec_b64 s[6:7], vcc
	s_cbranch_execz .LBB909_98
; %bb.95:                               ;   in Loop: Header=BB909_15 Depth=1
	v_and_b32_e32 v23, 0x7f, v28
	v_cmp_ne_u32_e32 vcc, s14, v23
	v_mov_b32_e32 v39, 0x7f80
	s_and_saveexec_b64 s[10:11], vcc
	s_cbranch_execz .LBB909_97
; %bb.96:                               ;   in Loop: Header=BB909_15 Depth=1
	v_and_b32_e32 v30, 7, v28
	v_ffbh_u32_e32 v41, v30
	v_min_u32_e32 v41, 32, v41
	v_subrev_u32_e32 v42, 28, v41
	v_lshlrev_b64 v[42:43], v42, v[28:29]
	v_lshrrev_b32_e32 v39, 3, v23
	v_sub_u32_e32 v28, 29, v41
	v_and_b32_e32 v41, 7, v42
	v_cmp_gt_u32_e32 vcc, 8, v23
	v_cndmask_b32_e32 v23, v39, v28, vcc
	v_cndmask_b32_e32 v28, v30, v41, vcc
	v_lshlrev_b32_e32 v30, 16, v26
	v_lshlrev_b32_e32 v28, 20, v28
	v_and_b32_e32 v30, 0x80000000, v30
	v_lshl_add_u32 v23, v23, 23, v35
	v_or3_b32 v23, v30, v23, v28
	v_lshrrev_b32_e32 v39, 16, v23
.LBB909_97:                             ;   in Loop: Header=BB909_15 Depth=1
	s_or_b64 exec, exec, s[10:11]
.LBB909_98:                             ;   in Loop: Header=BB909_15 Depth=1
	s_or_b64 exec, exec, s[6:7]
.LBB909_99:                             ;   in Loop: Header=BB909_15 Depth=1
	s_or_b64 exec, exec, s[4:5]
	v_lshrrev_b32_e32 v28, 16, v26
	v_cmp_ne_u16_sdwa s[6:7], v28, v33 src0_sel:BYTE_0 src1_sel:DWORD
	s_and_saveexec_b64 s[4:5], s[6:7]
	s_cbranch_execz .LBB909_105
; %bb.100:                              ;   in Loop: Header=BB909_15 Depth=1
	v_cmp_ne_u16_sdwa s[10:11], v28, s13 src0_sel:BYTE_0 src1_sel:DWORD
	v_mov_b32_e32 v40, 0xffff8000
	s_and_saveexec_b64 s[6:7], s[10:11]
	s_cbranch_execz .LBB909_104
; %bb.101:                              ;   in Loop: Header=BB909_15 Depth=1
	v_bfe_u32 v23, v26, 16, 7
	v_cmp_ne_u32_e32 vcc, s14, v23
	v_mov_b32_e32 v40, 0x7f80
	s_and_saveexec_b64 s[10:11], vcc
	s_cbranch_execz .LBB909_103
; %bb.102:                              ;   in Loop: Header=BB909_15 Depth=1
	v_and_b32_e32 v30, 7, v28
	v_ffbh_u32_e32 v40, v30
	v_min_u32_e32 v43, 32, v40
	v_subrev_u32_e32 v40, 28, v43
	v_lshlrev_b64 v[40:41], v40, v[28:29]
	v_lshrrev_b32_e32 v42, 3, v23
	v_sub_u32_e32 v41, 29, v43
	v_and_b32_e32 v40, 7, v40
	v_cmp_gt_u32_e32 vcc, 8, v23
	v_cndmask_b32_e32 v23, v42, v41, vcc
	v_cndmask_b32_e32 v30, v30, v40, vcc
	v_lshlrev_b32_e32 v28, 24, v28
	v_lshlrev_b32_e32 v30, 20, v30
	v_and_b32_e32 v28, 0x80000000, v28
	v_lshl_add_u32 v23, v23, 23, v35
	v_or3_b32 v23, v28, v23, v30
	v_lshrrev_b32_e32 v40, 16, v23
.LBB909_103:                            ;   in Loop: Header=BB909_15 Depth=1
	s_or_b64 exec, exec, s[10:11]
.LBB909_104:                            ;   in Loop: Header=BB909_15 Depth=1
	s_or_b64 exec, exec, s[6:7]
.LBB909_105:                            ;   in Loop: Header=BB909_15 Depth=1
	s_or_b64 exec, exec, s[4:5]
	v_cmp_lt_u32_e32 vcc, s15, v26
	v_mov_b32_e32 v23, 0
	v_mov_b32_e32 v41, 0
	s_and_saveexec_b64 s[4:5], vcc
	s_cbranch_execz .LBB909_111
; %bb.106:                              ;   in Loop: Header=BB909_15 Depth=1
	v_lshrrev_b32_e32 v28, 24, v26
	v_cmp_ne_u32_e32 vcc, s13, v28
	v_mov_b32_e32 v41, 0xffff8000
	s_and_saveexec_b64 s[6:7], vcc
	s_cbranch_execz .LBB909_110
; %bb.107:                              ;   in Loop: Header=BB909_15 Depth=1
	v_bfe_u32 v26, v26, 24, 7
	v_cmp_ne_u32_e32 vcc, s14, v26
	v_mov_b32_e32 v41, 0x7f80
	s_and_saveexec_b64 s[10:11], vcc
	s_cbranch_execz .LBB909_109
; %bb.108:                              ;   in Loop: Header=BB909_15 Depth=1
	v_and_b32_e32 v30, 7, v28
	v_ffbh_u32_e32 v42, v30
	v_min_u32_e32 v44, 32, v42
	v_subrev_u32_e32 v42, 28, v44
	v_lshlrev_b64 v[42:43], v42, v[28:29]
	v_lshrrev_b32_e32 v41, 3, v26
	v_sub_u32_e32 v43, 29, v44
	v_and_b32_e32 v42, 7, v42
	v_cmp_gt_u32_e32 vcc, 8, v26
	v_cndmask_b32_e32 v26, v41, v43, vcc
	v_cndmask_b32_e32 v30, v30, v42, vcc
	v_lshlrev_b32_e32 v28, 24, v28
	v_lshlrev_b32_e32 v30, 20, v30
	v_and_b32_e32 v28, 0x80000000, v28
	v_lshl_add_u32 v26, v26, 23, v35
	v_or3_b32 v26, v28, v26, v30
	v_lshrrev_b32_e32 v41, 16, v26
.LBB909_109:                            ;   in Loop: Header=BB909_15 Depth=1
	s_or_b64 exec, exec, s[10:11]
.LBB909_110:                            ;   in Loop: Header=BB909_15 Depth=1
	s_or_b64 exec, exec, s[6:7]
.LBB909_111:                            ;   in Loop: Header=BB909_15 Depth=1
	s_or_b64 exec, exec, s[4:5]
	v_perm_b32 v42, v34, v32, s16
	buffer_load_dword v32, v29, s[0:3], 0 offen offset:16
	buffer_load_dword v30, v29, s[0:3], 0 offen offset:20
	;; [unrolled: 1-line block ×4, first 2 shown]
	v_perm_b32 v43, v38, v36, s16
	v_perm_b32 v41, v41, v40, s16
	;; [unrolled: 1-line block ×3, first 2 shown]
	v_mfma_f32_16x16x16bf16_1k v[18:21], v[42:43], v[6:7], v[18:21]
	s_waitcnt vmcnt(3)
	v_cmp_ne_u16_sdwa s[6:7], v32, v33 src0_sel:BYTE_0 src1_sel:DWORD
	v_mfma_f32_16x16x16bf16_1k v[18:21], v[40:41], v[8:9], v[18:21]
	s_and_saveexec_b64 s[4:5], s[6:7]
	s_cbranch_execz .LBB909_117
; %bb.112:                              ;   in Loop: Header=BB909_15 Depth=1
	v_cmp_ne_u16_sdwa s[10:11], v32, s13 src0_sel:BYTE_0 src1_sel:DWORD
	v_mov_b32_e32 v23, 0xffff8000
	s_and_saveexec_b64 s[6:7], s[10:11]
	s_cbranch_execz .LBB909_116
; %bb.113:                              ;   in Loop: Header=BB909_15 Depth=1
	v_and_b32_e32 v34, 0x7f, v32
	v_cmp_ne_u32_e32 vcc, s14, v34
	v_mov_b32_e32 v23, 0x7f80
	s_and_saveexec_b64 s[10:11], vcc
	s_cbranch_execz .LBB909_115
; %bb.114:                              ;   in Loop: Header=BB909_15 Depth=1
	v_and_b32_e32 v23, 7, v32
	v_ffbh_u32_e32 v36, v23
	v_min_u32_e32 v39, 32, v36
	v_subrev_u32_e32 v36, 28, v39
	v_lshlrev_b64 v[36:37], v36, v[32:33]
	v_lshrrev_b32_e32 v38, 3, v34
	v_sub_u32_e32 v37, 29, v39
	v_and_b32_e32 v36, 7, v36
	v_cmp_gt_u32_e32 vcc, 8, v34
	v_cndmask_b32_e32 v34, v38, v37, vcc
	v_cndmask_b32_e32 v23, v23, v36, vcc
	v_lshlrev_b32_e32 v36, 24, v32
	v_lshlrev_b32_e32 v23, 20, v23
	v_and_b32_e32 v36, 0x80000000, v36
	v_lshl_add_u32 v34, v34, 23, v35
	v_or3_b32 v23, v36, v34, v23
	v_lshrrev_b32_e32 v23, 16, v23
.LBB909_115:                            ;   in Loop: Header=BB909_15 Depth=1
	s_or_b64 exec, exec, s[10:11]
.LBB909_116:                            ;   in Loop: Header=BB909_15 Depth=1
	s_or_b64 exec, exec, s[6:7]
.LBB909_117:                            ;   in Loop: Header=BB909_15 Depth=1
	s_or_b64 exec, exec, s[4:5]
	v_lshrrev_b16_e32 v34, 8, v32
	v_cmp_ne_u16_e32 vcc, 0, v34
	v_mov_b32_e32 v37, 0
	v_mov_b32_e32 v36, 0
	s_and_saveexec_b64 s[4:5], vcc
	s_cbranch_execz .LBB909_123
; %bb.118:                              ;   in Loop: Header=BB909_15 Depth=1
	v_cmp_ne_u16_e32 vcc, s13, v34
	v_mov_b32_e32 v36, 0xffff8000
	s_and_saveexec_b64 s[6:7], vcc
	s_cbranch_execz .LBB909_122
; %bb.119:                              ;   in Loop: Header=BB909_15 Depth=1
	v_and_b32_e32 v38, 0x7f, v34
	v_cmp_ne_u32_e32 vcc, s14, v38
	v_mov_b32_e32 v36, 0x7f80
	s_and_saveexec_b64 s[10:11], vcc
	s_cbranch_execz .LBB909_121
; %bb.120:                              ;   in Loop: Header=BB909_15 Depth=1
	v_and_b32_e32 v36, 7, v34
	v_ffbh_u32_e32 v40, v36
	v_min_u32_e32 v42, 32, v40
	v_subrev_u32_e32 v40, 28, v42
	v_lshlrev_b64 v[40:41], v40, v[34:35]
	v_lshrrev_b32_e32 v39, 3, v38
	v_sub_u32_e32 v34, 29, v42
	v_and_b32_e32 v40, 7, v40
	v_cmp_gt_u32_e32 vcc, 8, v38
	v_cndmask_b32_e32 v34, v39, v34, vcc
	v_cndmask_b32_e32 v36, v36, v40, vcc
	v_lshlrev_b32_e32 v38, 16, v32
	v_lshlrev_b32_e32 v36, 20, v36
	v_and_b32_e32 v38, 0x80000000, v38
	v_lshl_add_u32 v34, v34, 23, v35
	v_or3_b32 v34, v38, v34, v36
	v_lshrrev_b32_e32 v36, 16, v34
.LBB909_121:                            ;   in Loop: Header=BB909_15 Depth=1
	s_or_b64 exec, exec, s[10:11]
.LBB909_122:                            ;   in Loop: Header=BB909_15 Depth=1
	s_or_b64 exec, exec, s[6:7]
.LBB909_123:                            ;   in Loop: Header=BB909_15 Depth=1
	s_or_b64 exec, exec, s[4:5]
	v_lshrrev_b32_e32 v34, 16, v32
	v_cmp_ne_u16_sdwa s[6:7], v34, v33 src0_sel:BYTE_0 src1_sel:DWORD
	s_and_saveexec_b64 s[4:5], s[6:7]
	s_cbranch_execz .LBB909_129
; %bb.124:                              ;   in Loop: Header=BB909_15 Depth=1
	v_cmp_ne_u16_sdwa s[10:11], v34, s13 src0_sel:BYTE_0 src1_sel:DWORD
	v_mov_b32_e32 v37, 0xffff8000
	s_and_saveexec_b64 s[6:7], s[10:11]
	s_cbranch_execz .LBB909_128
; %bb.125:                              ;   in Loop: Header=BB909_15 Depth=1
	v_bfe_u32 v38, v32, 16, 7
	v_cmp_ne_u32_e32 vcc, s14, v38
	v_mov_b32_e32 v37, 0x7f80
	s_and_saveexec_b64 s[10:11], vcc
	s_cbranch_execz .LBB909_127
; %bb.126:                              ;   in Loop: Header=BB909_15 Depth=1
	v_and_b32_e32 v37, 7, v34
	v_ffbh_u32_e32 v40, v37
	v_min_u32_e32 v42, 32, v40
	v_subrev_u32_e32 v40, 28, v42
	v_lshlrev_b64 v[40:41], v40, v[34:35]
	v_lshrrev_b32_e32 v39, 3, v38
	v_sub_u32_e32 v41, 29, v42
	v_and_b32_e32 v40, 7, v40
	v_cmp_gt_u32_e32 vcc, 8, v38
	v_cndmask_b32_e32 v38, v39, v41, vcc
	v_cndmask_b32_e32 v37, v37, v40, vcc
	v_lshlrev_b32_e32 v34, 24, v34
	v_lshlrev_b32_e32 v37, 20, v37
	v_and_b32_e32 v34, 0x80000000, v34
	v_lshl_add_u32 v38, v38, 23, v35
	v_or3_b32 v34, v34, v38, v37
	v_lshrrev_b32_e32 v37, 16, v34
.LBB909_127:                            ;   in Loop: Header=BB909_15 Depth=1
	s_or_b64 exec, exec, s[10:11]
.LBB909_128:                            ;   in Loop: Header=BB909_15 Depth=1
	s_or_b64 exec, exec, s[6:7]
.LBB909_129:                            ;   in Loop: Header=BB909_15 Depth=1
	s_or_b64 exec, exec, s[4:5]
	v_cmp_lt_u32_e32 vcc, s15, v32
	v_mov_b32_e32 v38, 0
	v_mov_b32_e32 v39, 0
	s_and_saveexec_b64 s[4:5], vcc
	s_cbranch_execz .LBB909_135
; %bb.130:                              ;   in Loop: Header=BB909_15 Depth=1
	v_lshrrev_b32_e32 v34, 24, v32
	v_cmp_ne_u32_e32 vcc, s13, v34
	v_mov_b32_e32 v39, 0xffff8000
	s_and_saveexec_b64 s[6:7], vcc
	s_cbranch_execz .LBB909_134
; %bb.131:                              ;   in Loop: Header=BB909_15 Depth=1
	v_bfe_u32 v32, v32, 24, 7
	v_cmp_ne_u32_e32 vcc, s14, v32
	v_mov_b32_e32 v39, 0x7f80
	s_and_saveexec_b64 s[10:11], vcc
	s_cbranch_execz .LBB909_133
; %bb.132:                              ;   in Loop: Header=BB909_15 Depth=1
	v_and_b32_e32 v39, 7, v34
	v_ffbh_u32_e32 v40, v39
	v_min_u32_e32 v43, 32, v40
	v_subrev_u32_e32 v40, 28, v43
	v_lshlrev_b64 v[40:41], v40, v[34:35]
	v_lshrrev_b32_e32 v42, 3, v32
	v_sub_u32_e32 v41, 29, v43
	v_and_b32_e32 v40, 7, v40
	v_cmp_gt_u32_e32 vcc, 8, v32
	v_cndmask_b32_e32 v32, v42, v41, vcc
	v_cndmask_b32_e32 v39, v39, v40, vcc
	v_lshlrev_b32_e32 v34, 24, v34
	v_lshlrev_b32_e32 v39, 20, v39
	v_and_b32_e32 v34, 0x80000000, v34
	v_lshl_add_u32 v32, v32, 23, v35
	v_or3_b32 v32, v34, v32, v39
	v_lshrrev_b32_e32 v39, 16, v32
.LBB909_133:                            ;   in Loop: Header=BB909_15 Depth=1
	s_or_b64 exec, exec, s[10:11]
.LBB909_134:                            ;   in Loop: Header=BB909_15 Depth=1
	s_or_b64 exec, exec, s[6:7]
.LBB909_135:                            ;   in Loop: Header=BB909_15 Depth=1
	s_or_b64 exec, exec, s[4:5]
	s_waitcnt vmcnt(2)
	v_cmp_ne_u16_sdwa s[6:7], v30, v33 src0_sel:BYTE_0 src1_sel:DWORD
	s_and_saveexec_b64 s[4:5], s[6:7]
	s_cbranch_execz .LBB909_141
; %bb.136:                              ;   in Loop: Header=BB909_15 Depth=1
	v_cmp_ne_u16_sdwa s[10:11], v30, s13 src0_sel:BYTE_0 src1_sel:DWORD
	v_mov_b32_e32 v38, 0xffff8000
	s_and_saveexec_b64 s[6:7], s[10:11]
	s_cbranch_execz .LBB909_140
; %bb.137:                              ;   in Loop: Header=BB909_15 Depth=1
	v_and_b32_e32 v32, 0x7f, v30
	v_cmp_ne_u32_e32 vcc, s14, v32
	v_mov_b32_e32 v38, 0x7f80
	s_and_saveexec_b64 s[10:11], vcc
	s_cbranch_execz .LBB909_139
; %bb.138:                              ;   in Loop: Header=BB909_15 Depth=1
	v_and_b32_e32 v34, 7, v30
	v_ffbh_u32_e32 v40, v34
	v_min_u32_e32 v42, 32, v40
	v_subrev_u32_e32 v40, 28, v42
	v_lshlrev_b64 v[40:41], v40, v[30:31]
	v_lshrrev_b32_e32 v38, 3, v32
	v_sub_u32_e32 v41, 29, v42
	v_and_b32_e32 v40, 7, v40
	v_cmp_gt_u32_e32 vcc, 8, v32
	v_cndmask_b32_e32 v32, v38, v41, vcc
	v_cndmask_b32_e32 v34, v34, v40, vcc
	v_lshlrev_b32_e32 v38, 24, v30
	v_lshlrev_b32_e32 v34, 20, v34
	v_and_b32_e32 v38, 0x80000000, v38
	v_lshl_add_u32 v32, v32, 23, v35
	v_or3_b32 v32, v38, v32, v34
	v_lshrrev_b32_e32 v38, 16, v32
.LBB909_139:                            ;   in Loop: Header=BB909_15 Depth=1
	s_or_b64 exec, exec, s[10:11]
.LBB909_140:                            ;   in Loop: Header=BB909_15 Depth=1
	s_or_b64 exec, exec, s[6:7]
.LBB909_141:                            ;   in Loop: Header=BB909_15 Depth=1
	s_or_b64 exec, exec, s[4:5]
	v_lshrrev_b16_e32 v32, 8, v30
	v_cmp_ne_u16_e32 vcc, 0, v32
	v_mov_b32_e32 v41, 0
	v_mov_b32_e32 v40, 0
	s_and_saveexec_b64 s[4:5], vcc
	s_cbranch_execz .LBB909_147
; %bb.142:                              ;   in Loop: Header=BB909_15 Depth=1
	v_cmp_ne_u16_e32 vcc, s13, v32
	v_mov_b32_e32 v40, 0xffff8000
	s_and_saveexec_b64 s[6:7], vcc
	s_cbranch_execz .LBB909_146
; %bb.143:                              ;   in Loop: Header=BB909_15 Depth=1
	v_and_b32_e32 v34, 0x7f, v32
	v_cmp_ne_u32_e32 vcc, s14, v34
	v_mov_b32_e32 v40, 0x7f80
	s_and_saveexec_b64 s[10:11], vcc
	s_cbranch_execz .LBB909_145
; %bb.144:                              ;   in Loop: Header=BB909_15 Depth=1
	v_and_b32_e32 v40, 7, v32
	v_ffbh_u32_e32 v42, v40
	v_min_u32_e32 v45, 32, v42
	v_subrev_u32_e32 v42, 28, v45
	v_lshlrev_b64 v[42:43], v42, v[32:33]
	v_lshrrev_b32_e32 v44, 3, v34
	v_sub_u32_e32 v32, 29, v45
	v_and_b32_e32 v42, 7, v42
	v_cmp_gt_u32_e32 vcc, 8, v34
	v_cndmask_b32_e32 v32, v44, v32, vcc
	v_cndmask_b32_e32 v34, v40, v42, vcc
	v_lshlrev_b32_e32 v40, 16, v30
	v_lshlrev_b32_e32 v34, 20, v34
	v_and_b32_e32 v40, 0x80000000, v40
	v_lshl_add_u32 v32, v32, 23, v35
	v_or3_b32 v32, v40, v32, v34
	v_lshrrev_b32_e32 v40, 16, v32
.LBB909_145:                            ;   in Loop: Header=BB909_15 Depth=1
	s_or_b64 exec, exec, s[10:11]
.LBB909_146:                            ;   in Loop: Header=BB909_15 Depth=1
	s_or_b64 exec, exec, s[6:7]
.LBB909_147:                            ;   in Loop: Header=BB909_15 Depth=1
	s_or_b64 exec, exec, s[4:5]
	v_lshrrev_b32_e32 v32, 16, v30
	v_cmp_ne_u16_sdwa s[6:7], v32, v33 src0_sel:BYTE_0 src1_sel:DWORD
	s_and_saveexec_b64 s[4:5], s[6:7]
	s_cbranch_execz .LBB909_153
; %bb.148:                              ;   in Loop: Header=BB909_15 Depth=1
	v_cmp_ne_u16_sdwa s[10:11], v32, s13 src0_sel:BYTE_0 src1_sel:DWORD
	v_mov_b32_e32 v41, 0xffff8000
	s_and_saveexec_b64 s[6:7], s[10:11]
	s_cbranch_execz .LBB909_152
; %bb.149:                              ;   in Loop: Header=BB909_15 Depth=1
	v_bfe_u32 v34, v30, 16, 7
	v_cmp_ne_u32_e32 vcc, s14, v34
	v_mov_b32_e32 v41, 0x7f80
	s_and_saveexec_b64 s[10:11], vcc
	s_cbranch_execz .LBB909_151
; %bb.150:                              ;   in Loop: Header=BB909_15 Depth=1
	v_and_b32_e32 v41, 7, v32
	v_ffbh_u32_e32 v42, v41
	v_min_u32_e32 v45, 32, v42
	v_subrev_u32_e32 v42, 28, v45
	v_lshlrev_b64 v[42:43], v42, v[32:33]
	v_lshrrev_b32_e32 v44, 3, v34
	v_sub_u32_e32 v43, 29, v45
	v_and_b32_e32 v42, 7, v42
	v_cmp_gt_u32_e32 vcc, 8, v34
	v_cndmask_b32_e32 v34, v44, v43, vcc
	v_cndmask_b32_e32 v41, v41, v42, vcc
	v_lshlrev_b32_e32 v32, 24, v32
	v_lshlrev_b32_e32 v41, 20, v41
	v_and_b32_e32 v32, 0x80000000, v32
	v_lshl_add_u32 v34, v34, 23, v35
	v_or3_b32 v32, v32, v34, v41
	v_lshrrev_b32_e32 v41, 16, v32
.LBB909_151:                            ;   in Loop: Header=BB909_15 Depth=1
	s_or_b64 exec, exec, s[10:11]
.LBB909_152:                            ;   in Loop: Header=BB909_15 Depth=1
	s_or_b64 exec, exec, s[6:7]
.LBB909_153:                            ;   in Loop: Header=BB909_15 Depth=1
	s_or_b64 exec, exec, s[4:5]
	v_cmp_lt_u32_e32 vcc, s15, v30
	v_mov_b32_e32 v34, 0
	v_mov_b32_e32 v42, 0
	s_and_saveexec_b64 s[4:5], vcc
	s_cbranch_execz .LBB909_159
; %bb.154:                              ;   in Loop: Header=BB909_15 Depth=1
	v_lshrrev_b32_e32 v32, 24, v30
	v_cmp_ne_u32_e32 vcc, s13, v32
	v_mov_b32_e32 v42, 0xffff8000
	s_and_saveexec_b64 s[6:7], vcc
	s_cbranch_execz .LBB909_158
; %bb.155:                              ;   in Loop: Header=BB909_15 Depth=1
	v_bfe_u32 v30, v30, 24, 7
	v_cmp_ne_u32_e32 vcc, s14, v30
	v_mov_b32_e32 v42, 0x7f80
	s_and_saveexec_b64 s[10:11], vcc
	s_cbranch_execz .LBB909_157
; %bb.156:                              ;   in Loop: Header=BB909_15 Depth=1
	v_and_b32_e32 v44, 7, v32
	v_ffbh_u32_e32 v42, v44
	v_min_u32_e32 v46, 32, v42
	v_subrev_u32_e32 v42, 28, v46
	v_lshlrev_b64 v[42:43], v42, v[32:33]
	v_lshrrev_b32_e32 v45, 3, v30
	v_sub_u32_e32 v43, 29, v46
	v_and_b32_e32 v42, 7, v42
	v_cmp_gt_u32_e32 vcc, 8, v30
	v_cndmask_b32_e32 v30, v45, v43, vcc
	v_cndmask_b32_e32 v42, v44, v42, vcc
	v_lshlrev_b32_e32 v32, 24, v32
	v_lshlrev_b32_e32 v42, 20, v42
	v_and_b32_e32 v32, 0x80000000, v32
	v_lshl_add_u32 v30, v30, 23, v35
	v_or3_b32 v30, v32, v30, v42
	v_lshrrev_b32_e32 v42, 16, v30
.LBB909_157:                            ;   in Loop: Header=BB909_15 Depth=1
	s_or_b64 exec, exec, s[10:11]
.LBB909_158:                            ;   in Loop: Header=BB909_15 Depth=1
	s_or_b64 exec, exec, s[6:7]
.LBB909_159:                            ;   in Loop: Header=BB909_15 Depth=1
	s_or_b64 exec, exec, s[4:5]
	v_perm_b32 v37, v39, v37, s16
	v_perm_b32 v36, v36, v23, s16
	s_waitcnt vmcnt(1)
	v_cmp_ne_u16_sdwa s[6:7], v28, v33 src0_sel:BYTE_0 src1_sel:DWORD
	v_mfma_f32_16x16x16bf16_1k v[18:21], v[36:37], v[10:11], v[18:21]
	v_perm_b32 v37, v42, v41, s16
	v_perm_b32 v36, v40, v38, s16
	s_nop 1
	v_mfma_f32_16x16x16bf16_1k v[18:21], v[36:37], v[12:13], v[18:21]
	s_and_saveexec_b64 s[4:5], s[6:7]
	s_cbranch_execz .LBB909_165
; %bb.160:                              ;   in Loop: Header=BB909_15 Depth=1
	v_cmp_ne_u16_sdwa s[10:11], v28, s13 src0_sel:BYTE_0 src1_sel:DWORD
	v_mov_b32_e32 v34, 0xffff8000
	s_and_saveexec_b64 s[6:7], s[10:11]
	s_cbranch_execz .LBB909_164
; %bb.161:                              ;   in Loop: Header=BB909_15 Depth=1
	v_and_b32_e32 v23, 0x7f, v28
	v_cmp_ne_u32_e32 vcc, s14, v23
	v_mov_b32_e32 v34, 0x7f80
	s_and_saveexec_b64 s[10:11], vcc
	s_cbranch_execz .LBB909_163
; %bb.162:                              ;   in Loop: Header=BB909_15 Depth=1
	v_and_b32_e32 v30, 7, v28
	v_ffbh_u32_e32 v34, v30
	v_min_u32_e32 v34, 32, v34
	v_subrev_u32_e32 v36, 28, v34
	v_lshlrev_b64 v[36:37], v36, v[28:29]
	v_lshrrev_b32_e32 v32, 3, v23
	v_sub_u32_e32 v34, 29, v34
	v_and_b32_e32 v36, 7, v36
	v_cmp_gt_u32_e32 vcc, 8, v23
	v_cndmask_b32_e32 v23, v32, v34, vcc
	v_cndmask_b32_e32 v30, v30, v36, vcc
	v_lshlrev_b32_e32 v32, 24, v28
	v_lshlrev_b32_e32 v30, 20, v30
	v_and_b32_e32 v32, 0x80000000, v32
	v_lshl_add_u32 v23, v23, 23, v35
	v_or3_b32 v23, v32, v23, v30
	v_lshrrev_b32_e32 v34, 16, v23
.LBB909_163:                            ;   in Loop: Header=BB909_15 Depth=1
	s_or_b64 exec, exec, s[10:11]
.LBB909_164:                            ;   in Loop: Header=BB909_15 Depth=1
	s_or_b64 exec, exec, s[6:7]
.LBB909_165:                            ;   in Loop: Header=BB909_15 Depth=1
	s_or_b64 exec, exec, s[4:5]
	v_lshrrev_b16_e32 v30, 8, v28
	v_cmp_ne_u16_e32 vcc, 0, v30
	v_mov_b32_e32 v32, 0
	v_mov_b32_e32 v23, 0
	s_and_saveexec_b64 s[4:5], vcc
	s_cbranch_execz .LBB909_171
; %bb.166:                              ;   in Loop: Header=BB909_15 Depth=1
	v_cmp_ne_u16_e32 vcc, s13, v30
	v_mov_b32_e32 v23, 0xffff8000
	s_and_saveexec_b64 s[6:7], vcc
	s_cbranch_execz .LBB909_170
; %bb.167:                              ;   in Loop: Header=BB909_15 Depth=1
	v_and_b32_e32 v36, 0x7f, v30
	v_cmp_ne_u32_e32 vcc, s14, v36
	v_mov_b32_e32 v23, 0x7f80
	s_and_saveexec_b64 s[10:11], vcc
	s_cbranch_execz .LBB909_169
; %bb.168:                              ;   in Loop: Header=BB909_15 Depth=1
	v_and_b32_e32 v23, 7, v30
	v_ffbh_u32_e32 v38, v23
	v_min_u32_e32 v40, 32, v38
	v_subrev_u32_e32 v38, 28, v40
	v_lshlrev_b64 v[38:39], v38, v[30:31]
	v_lshrrev_b32_e32 v37, 3, v36
	v_sub_u32_e32 v30, 29, v40
	v_and_b32_e32 v38, 7, v38
	v_cmp_gt_u32_e32 vcc, 8, v36
	v_cndmask_b32_e32 v30, v37, v30, vcc
	v_cndmask_b32_e32 v23, v23, v38, vcc
	v_lshlrev_b32_e32 v36, 16, v28
	v_lshlrev_b32_e32 v23, 20, v23
	v_and_b32_e32 v36, 0x80000000, v36
	v_lshl_add_u32 v30, v30, 23, v35
	v_or3_b32 v23, v36, v30, v23
	v_lshrrev_b32_e32 v23, 16, v23
.LBB909_169:                            ;   in Loop: Header=BB909_15 Depth=1
	s_or_b64 exec, exec, s[10:11]
.LBB909_170:                            ;   in Loop: Header=BB909_15 Depth=1
	s_or_b64 exec, exec, s[6:7]
.LBB909_171:                            ;   in Loop: Header=BB909_15 Depth=1
	s_or_b64 exec, exec, s[4:5]
	v_lshrrev_b32_e32 v30, 16, v28
	v_cmp_ne_u16_sdwa s[6:7], v30, v33 src0_sel:BYTE_0 src1_sel:DWORD
	s_and_saveexec_b64 s[4:5], s[6:7]
	s_cbranch_execz .LBB909_177
; %bb.172:                              ;   in Loop: Header=BB909_15 Depth=1
	v_cmp_ne_u16_sdwa s[10:11], v30, s13 src0_sel:BYTE_0 src1_sel:DWORD
	v_mov_b32_e32 v32, 0xffff8000
	s_and_saveexec_b64 s[6:7], s[10:11]
	s_cbranch_execz .LBB909_176
; %bb.173:                              ;   in Loop: Header=BB909_15 Depth=1
	v_bfe_u32 v36, v28, 16, 7
	v_cmp_ne_u32_e32 vcc, s14, v36
	v_mov_b32_e32 v32, 0x7f80
	s_and_saveexec_b64 s[10:11], vcc
	s_cbranch_execz .LBB909_175
; %bb.174:                              ;   in Loop: Header=BB909_15 Depth=1
	v_and_b32_e32 v32, 7, v30
	v_ffbh_u32_e32 v38, v32
	v_min_u32_e32 v40, 32, v38
	v_subrev_u32_e32 v38, 28, v40
	v_lshlrev_b64 v[38:39], v38, v[30:31]
	v_lshrrev_b32_e32 v37, 3, v36
	v_sub_u32_e32 v39, 29, v40
	v_and_b32_e32 v38, 7, v38
	v_cmp_gt_u32_e32 vcc, 8, v36
	v_cndmask_b32_e32 v36, v37, v39, vcc
	v_cndmask_b32_e32 v32, v32, v38, vcc
	v_lshlrev_b32_e32 v30, 24, v30
	v_lshlrev_b32_e32 v32, 20, v32
	v_and_b32_e32 v30, 0x80000000, v30
	v_lshl_add_u32 v36, v36, 23, v35
	v_or3_b32 v30, v30, v36, v32
	v_lshrrev_b32_e32 v32, 16, v30
.LBB909_175:                            ;   in Loop: Header=BB909_15 Depth=1
	s_or_b64 exec, exec, s[10:11]
.LBB909_176:                            ;   in Loop: Header=BB909_15 Depth=1
	s_or_b64 exec, exec, s[6:7]
.LBB909_177:                            ;   in Loop: Header=BB909_15 Depth=1
	s_or_b64 exec, exec, s[4:5]
	v_cmp_lt_u32_e32 vcc, s15, v28
	v_mov_b32_e32 v36, 0
	v_mov_b32_e32 v37, 0
	s_and_saveexec_b64 s[4:5], vcc
	s_cbranch_execz .LBB909_183
; %bb.178:                              ;   in Loop: Header=BB909_15 Depth=1
	v_lshrrev_b32_e32 v30, 24, v28
	v_cmp_ne_u32_e32 vcc, s13, v30
	v_mov_b32_e32 v37, 0xffff8000
	s_and_saveexec_b64 s[6:7], vcc
	s_cbranch_execz .LBB909_182
; %bb.179:                              ;   in Loop: Header=BB909_15 Depth=1
	v_bfe_u32 v28, v28, 24, 7
	v_cmp_ne_u32_e32 vcc, s14, v28
	v_mov_b32_e32 v37, 0x7f80
	s_and_saveexec_b64 s[10:11], vcc
	s_cbranch_execz .LBB909_181
; %bb.180:                              ;   in Loop: Header=BB909_15 Depth=1
	v_and_b32_e32 v37, 7, v30
	v_ffbh_u32_e32 v38, v37
	v_min_u32_e32 v41, 32, v38
	v_subrev_u32_e32 v38, 28, v41
	v_lshlrev_b64 v[38:39], v38, v[30:31]
	v_lshrrev_b32_e32 v40, 3, v28
	v_sub_u32_e32 v39, 29, v41
	v_and_b32_e32 v38, 7, v38
	v_cmp_gt_u32_e32 vcc, 8, v28
	v_cndmask_b32_e32 v28, v40, v39, vcc
	v_cndmask_b32_e32 v37, v37, v38, vcc
	v_lshlrev_b32_e32 v30, 24, v30
	v_lshlrev_b32_e32 v37, 20, v37
	v_and_b32_e32 v30, 0x80000000, v30
	v_lshl_add_u32 v28, v28, 23, v35
	v_or3_b32 v28, v30, v28, v37
	v_lshrrev_b32_e32 v37, 16, v28
.LBB909_181:                            ;   in Loop: Header=BB909_15 Depth=1
	s_or_b64 exec, exec, s[10:11]
.LBB909_182:                            ;   in Loop: Header=BB909_15 Depth=1
	s_or_b64 exec, exec, s[6:7]
.LBB909_183:                            ;   in Loop: Header=BB909_15 Depth=1
	s_or_b64 exec, exec, s[4:5]
	s_waitcnt vmcnt(0)
	v_cmp_ne_u16_sdwa s[6:7], v26, v33 src0_sel:BYTE_0 src1_sel:DWORD
	s_and_saveexec_b64 s[4:5], s[6:7]
	s_cbranch_execz .LBB909_189
; %bb.184:                              ;   in Loop: Header=BB909_15 Depth=1
	v_cmp_ne_u16_sdwa s[10:11], v26, s13 src0_sel:BYTE_0 src1_sel:DWORD
	v_mov_b32_e32 v36, 0xffff8000
	s_and_saveexec_b64 s[6:7], s[10:11]
	s_cbranch_execz .LBB909_188
; %bb.185:                              ;   in Loop: Header=BB909_15 Depth=1
	v_and_b32_e32 v28, 0x7f, v26
	v_cmp_ne_u32_e32 vcc, s14, v28
	v_mov_b32_e32 v36, 0x7f80
	s_and_saveexec_b64 s[10:11], vcc
	s_cbranch_execz .LBB909_187
; %bb.186:                              ;   in Loop: Header=BB909_15 Depth=1
	v_and_b32_e32 v30, 7, v26
	v_ffbh_u32_e32 v38, v30
	v_min_u32_e32 v40, 32, v38
	v_subrev_u32_e32 v38, 28, v40
	v_lshlrev_b64 v[38:39], v38, v[26:27]
	v_lshrrev_b32_e32 v36, 3, v28
	v_sub_u32_e32 v39, 29, v40
	v_and_b32_e32 v38, 7, v38
	v_cmp_gt_u32_e32 vcc, 8, v28
	v_cndmask_b32_e32 v28, v36, v39, vcc
	v_cndmask_b32_e32 v30, v30, v38, vcc
	v_lshlrev_b32_e32 v36, 24, v26
	v_lshlrev_b32_e32 v30, 20, v30
	v_and_b32_e32 v36, 0x80000000, v36
	v_lshl_add_u32 v28, v28, 23, v35
	v_or3_b32 v28, v36, v28, v30
	v_lshrrev_b32_e32 v36, 16, v28
.LBB909_187:                            ;   in Loop: Header=BB909_15 Depth=1
	s_or_b64 exec, exec, s[10:11]
.LBB909_188:                            ;   in Loop: Header=BB909_15 Depth=1
	s_or_b64 exec, exec, s[6:7]
.LBB909_189:                            ;   in Loop: Header=BB909_15 Depth=1
	s_or_b64 exec, exec, s[4:5]
	v_lshrrev_b16_e32 v28, 8, v26
	v_cmp_ne_u16_e32 vcc, 0, v28
	v_mov_b32_e32 v38, 0
	v_mov_b32_e32 v30, 0
	s_and_saveexec_b64 s[4:5], vcc
	s_cbranch_execz .LBB909_195
; %bb.190:                              ;   in Loop: Header=BB909_15 Depth=1
	v_cmp_ne_u16_e32 vcc, s13, v28
	v_mov_b32_e32 v30, 0xffff8000
	s_and_saveexec_b64 s[6:7], vcc
	s_cbranch_execz .LBB909_194
; %bb.191:                              ;   in Loop: Header=BB909_15 Depth=1
	v_and_b32_e32 v39, 0x7f, v28
	v_cmp_ne_u32_e32 vcc, s14, v39
	v_mov_b32_e32 v30, 0x7f80
	s_and_saveexec_b64 s[10:11], vcc
	s_cbranch_execz .LBB909_193
; %bb.192:                              ;   in Loop: Header=BB909_15 Depth=1
	v_and_b32_e32 v30, 7, v28
	v_ffbh_u32_e32 v40, v30
	v_min_u32_e32 v43, 32, v40
	v_subrev_u32_e32 v40, 28, v43
	v_lshlrev_b64 v[40:41], v40, v[28:29]
	v_lshrrev_b32_e32 v42, 3, v39
	v_sub_u32_e32 v28, 29, v43
	v_and_b32_e32 v40, 7, v40
	v_cmp_gt_u32_e32 vcc, 8, v39
	v_cndmask_b32_e32 v28, v42, v28, vcc
	v_cndmask_b32_e32 v30, v30, v40, vcc
	v_lshlrev_b32_e32 v39, 16, v26
	v_lshlrev_b32_e32 v30, 20, v30
	v_and_b32_e32 v39, 0x80000000, v39
	v_lshl_add_u32 v28, v28, 23, v35
	v_or3_b32 v28, v39, v28, v30
	v_lshrrev_b32_e32 v30, 16, v28
.LBB909_193:                            ;   in Loop: Header=BB909_15 Depth=1
	s_or_b64 exec, exec, s[10:11]
.LBB909_194:                            ;   in Loop: Header=BB909_15 Depth=1
	s_or_b64 exec, exec, s[6:7]
.LBB909_195:                            ;   in Loop: Header=BB909_15 Depth=1
	s_or_b64 exec, exec, s[4:5]
	v_lshrrev_b32_e32 v28, 16, v26
	v_cmp_ne_u16_sdwa s[6:7], v28, v33 src0_sel:BYTE_0 src1_sel:DWORD
	s_and_saveexec_b64 s[4:5], s[6:7]
	s_cbranch_execz .LBB909_201
; %bb.196:                              ;   in Loop: Header=BB909_15 Depth=1
	v_cmp_ne_u16_sdwa s[10:11], v28, s13 src0_sel:BYTE_0 src1_sel:DWORD
	v_mov_b32_e32 v38, 0xffff8000
	s_and_saveexec_b64 s[6:7], s[10:11]
	s_cbranch_execz .LBB909_200
; %bb.197:                              ;   in Loop: Header=BB909_15 Depth=1
	v_bfe_u32 v39, v26, 16, 7
	v_cmp_ne_u32_e32 vcc, s14, v39
	v_mov_b32_e32 v38, 0x7f80
	s_and_saveexec_b64 s[10:11], vcc
	s_cbranch_execz .LBB909_199
; %bb.198:                              ;   in Loop: Header=BB909_15 Depth=1
	v_and_b32_e32 v38, 7, v28
	v_ffbh_u32_e32 v40, v38
	v_min_u32_e32 v43, 32, v40
	v_subrev_u32_e32 v40, 28, v43
	v_lshlrev_b64 v[40:41], v40, v[28:29]
	v_lshrrev_b32_e32 v42, 3, v39
	v_sub_u32_e32 v41, 29, v43
	v_and_b32_e32 v40, 7, v40
	v_cmp_gt_u32_e32 vcc, 8, v39
	v_cndmask_b32_e32 v39, v42, v41, vcc
	v_cndmask_b32_e32 v38, v38, v40, vcc
	v_lshlrev_b32_e32 v28, 24, v28
	v_lshlrev_b32_e32 v38, 20, v38
	v_and_b32_e32 v28, 0x80000000, v28
	v_lshl_add_u32 v39, v39, 23, v35
	v_or3_b32 v28, v28, v39, v38
	v_lshrrev_b32_e32 v38, 16, v28
.LBB909_199:                            ;   in Loop: Header=BB909_15 Depth=1
	s_or_b64 exec, exec, s[10:11]
.LBB909_200:                            ;   in Loop: Header=BB909_15 Depth=1
	s_or_b64 exec, exec, s[6:7]
.LBB909_201:                            ;   in Loop: Header=BB909_15 Depth=1
	s_or_b64 exec, exec, s[4:5]
	v_cmp_lt_u32_e32 vcc, s15, v26
	v_mov_b32_e32 v39, 0
	s_and_saveexec_b64 s[4:5], vcc
	s_cbranch_execz .LBB909_14
; %bb.202:                              ;   in Loop: Header=BB909_15 Depth=1
	v_lshrrev_b32_e32 v28, 24, v26
	v_cmp_ne_u32_e32 vcc, s13, v28
	v_mov_b32_e32 v39, 0xffff8000
	s_and_saveexec_b64 s[6:7], vcc
	s_cbranch_execz .LBB909_13
; %bb.203:                              ;   in Loop: Header=BB909_15 Depth=1
	v_bfe_u32 v26, v26, 24, 7
	v_cmp_ne_u32_e32 vcc, s14, v26
	v_mov_b32_e32 v39, 0x7f80
	s_and_saveexec_b64 s[10:11], vcc
	s_cbranch_execz .LBB909_12
; %bb.204:                              ;   in Loop: Header=BB909_15 Depth=1
	v_and_b32_e32 v39, 7, v28
	v_ffbh_u32_e32 v40, v39
	v_min_u32_e32 v43, 32, v40
	v_subrev_u32_e32 v40, 28, v43
	v_lshlrev_b64 v[40:41], v40, v[28:29]
	v_lshrrev_b32_e32 v42, 3, v26
	v_sub_u32_e32 v41, 29, v43
	v_and_b32_e32 v40, 7, v40
	v_cmp_gt_u32_e32 vcc, 8, v26
	v_cndmask_b32_e32 v26, v42, v41, vcc
	v_cndmask_b32_e32 v39, v39, v40, vcc
	v_lshlrev_b32_e32 v28, 24, v28
	v_lshlrev_b32_e32 v39, 20, v39
	v_and_b32_e32 v28, 0x80000000, v28
	v_lshl_add_u32 v26, v26, 23, v35
	v_or3_b32 v26, v28, v26, v39
	v_lshrrev_b32_e32 v39, 16, v26
	s_branch .LBB909_12
.LBB909_205:
	buffer_load_dword v17, off, s[0:3], 0 offset:256
	buffer_load_dword v16, off, s[0:3], 0 offset:260
	;; [unrolled: 1-line block ×16, first 2 shown]
	v_and_b32_e32 v18, 0xc0, v0
	v_add_u32_e32 v18, s22, v18
	v_lshl_or_b32 v18, v1, 2, v18
	v_or_b32_e32 v20, 1, v18
	v_subrev_u32_e32 v24, s33, v20
	v_add_u32_e32 v26, 1, v24
	v_cvt_f32_i32_e32 v25, v24
	v_add_u32_e32 v28, 2, v24
	v_add_u32_e32 v29, 3, v24
	;; [unrolled: 1-line block ×14, first 2 shown]
	v_cvt_f32_i32_e32 v26, v26
	v_cvt_f32_i32_e32 v28, v28
	;; [unrolled: 1-line block ×4, first 2 shown]
	v_mov_b32_e32 v19, 0xff7fffff
	v_or_b32_e32 v21, 2, v18
	v_or_b32_e32 v22, 3, v18
	v_cvt_f32_i32_e32 v30, v30
	v_cvt_f32_i32_e32 v31, v31
	v_cmp_gt_i32_e64 s[28:29], s33, v18
	v_cmp_gt_i32_e64 s[30:31], s33, v20
	s_mov_b32 s52, 0xff7fffff
	v_cmp_gt_i32_e64 s[34:35], s33, v21
	v_cmp_gt_i32_e64 s[36:37], s33, v22
	v_or_b32_e32 v23, 16, v18
	v_cvt_f32_i32_e32 v32, v32
	v_cvt_f32_i32_e32 v33, v33
	v_cmp_gt_i32_e64 s[24:25], s33, v23
	v_cvt_f32_i32_e32 v34, v34
	v_cvt_f32_i32_e32 v35, v35
	;; [unrolled: 1-line block ×7, first 2 shown]
	s_waitcnt vmcnt(15)
	v_fmac_f32_e32 v17, v65, v25
	s_waitcnt vmcnt(14)
	v_fmac_f32_e32 v16, v65, v26
	;; [unrolled: 2-line block ×4, first 2 shown]
	v_cndmask_b32_e64 v20, v19, v16, s[30:31]
	v_cndmask_b32_e64 v21, v19, v15, s[34:35]
	;; [unrolled: 1-line block ×3, first 2 shown]
	s_waitcnt vmcnt(11)
	v_fmac_f32_e32 v13, v65, v30
	s_waitcnt vmcnt(10)
	v_fmac_f32_e32 v12, v65, v31
	;; [unrolled: 2-line block ×9, first 2 shown]
	v_cndmask_b32_e64 v24, v19, v17, s[28:29]
	v_max3_f32 v20, v24, s52, v20
	v_max3_f32 v20, v20, v21, v22
	v_or_b32_e32 v22, 17, v18
	v_cmp_gt_i32_e64 s[38:39], s33, v22
	v_cndmask_b32_e64 v21, v19, v13, s[24:25]
	v_cndmask_b32_e64 v22, v19, v12, s[38:39]
	v_max3_f32 v20, v20, v21, v22
	v_or_b32_e32 v21, 18, v18
	v_or_b32_e32 v22, 19, v18
	v_cmp_gt_i32_e64 s[20:21], s33, v21
	v_cmp_gt_i32_e64 s[22:23], s33, v22
	v_cndmask_b32_e64 v21, v19, v11, s[20:21]
	v_cndmask_b32_e64 v22, v19, v10, s[22:23]
	v_max3_f32 v20, v20, v21, v22
	v_or_b32_e32 v21, 32, v18
	v_or_b32_e32 v22, 33, v18
	v_cmp_gt_i32_e64 s[16:17], s33, v21
	;; [unrolled: 7-line block ×3, first 2 shown]
	v_cmp_gt_i32_e64 s[14:15], s33, v22
	v_cndmask_b32_e64 v21, v19, v7, s[12:13]
	v_cndmask_b32_e64 v22, v19, v6, s[14:15]
	v_max3_f32 v20, v20, v21, v22
	v_or_b32_e32 v21, 48, v18
	v_or_b32_e32 v22, 49, v18
	v_fmac_f32_e32 v5, v65, v38
	v_fmac_f32_e32 v4, v65, v39
	v_cmp_gt_i32_e64 s[6:7], s33, v21
	v_cmp_gt_i32_e64 s[10:11], s33, v22
	v_cndmask_b32_e64 v21, v19, v5, s[6:7]
	v_cndmask_b32_e64 v22, v19, v4, s[10:11]
	v_max3_f32 v20, v20, v21, v22
	v_or_b32_e32 v21, 50, v18
	v_or_b32_e32 v18, 51, v18
	v_fmac_f32_e32 v3, v65, v40
	v_cmp_gt_i32_e32 vcc, s33, v21
	v_cmp_gt_i32_e64 s[4:5], s33, v18
	v_cndmask_b32_e32 v21, v19, v3, vcc
	v_cndmask_b32_e64 v18, v19, v2, s[4:5]
	v_mbcnt_lo_u32_b32 v19, -1, 0
	v_mbcnt_hi_u32_b32 v19, -1, v19
	v_max3_f32 v18, v20, v21, v18
	v_and_b32_e32 v20, 64, v19
	v_add_u32_e32 v20, 64, v20
	v_xor_b32_e32 v21, 32, v19
	v_cmp_lt_i32_e64 s[40:41], v21, v20
	v_cndmask_b32_e64 v21, v19, v21, s[40:41]
	v_lshlrev_b32_e32 v21, 2, v21
	ds_bpermute_b32 v22, v21, v18
	s_waitcnt lgkmcnt(0)
	v_max_f32_e32 v22, v22, v22
	v_max_f32_e32 v18, v18, v22
	v_xor_b32_e32 v22, 16, v19
	v_cmp_lt_i32_e64 s[40:41], v22, v20
	v_cndmask_b32_e64 v19, v19, v22, s[40:41]
	v_lshlrev_b32_e32 v19, 2, v19
	ds_bpermute_b32 v20, v19, v18
	s_waitcnt lgkmcnt(0)
	v_max_f32_e32 v20, v20, v20
	v_max_f32_e32 v18, v18, v20
	v_sub_f32_e32 v17, v17, v18
	v_mul_f32_e32 v17, 0x3fb8aa3b, v17
	v_sub_f32_e32 v16, v16, v18
	v_exp_f32_e32 v17, v17
	v_mul_f32_e32 v16, 0x3fb8aa3b, v16
	v_sub_f32_e32 v15, v15, v18
	v_exp_f32_e32 v16, v16
	;; [unrolled: 3-line block ×4, first 2 shown]
	v_mul_f32_e32 v13, 0x3fb8aa3b, v13
	v_sub_f32_e32 v12, v12, v18
	v_cndmask_b32_e64 v17, 0, v17, s[28:29]
	v_exp_f32_e32 v13, v13
	v_mul_f32_e32 v12, 0x3fb8aa3b, v12
	v_sub_f32_e32 v11, v11, v18
	v_add_f32_e32 v20, 0, v17
	v_cndmask_b32_e64 v16, 0, v16, s[30:31]
	v_exp_f32_e32 v12, v12
	v_mul_f32_e32 v11, 0x3fb8aa3b, v11
	v_sub_f32_e32 v10, v10, v18
	v_add_f32_e32 v20, v20, v16
	;; [unrolled: 5-line block ×4, first 2 shown]
	v_cndmask_b32_e64 v13, 0, v13, s[24:25]
	v_exp_f32_e32 v9, v9
	v_mul_f32_e32 v8, 0x3fb8aa3b, v8
	v_sub_f32_e32 v7, v7, v18
	buffer_store_dword v17, off, s[0:3], 0 offset:256
	buffer_store_dword v16, off, s[0:3], 0 offset:260
	;; [unrolled: 1-line block ×4, first 2 shown]
	v_add_f32_e32 v14, v20, v13
	v_cndmask_b32_e64 v12, 0, v12, s[38:39]
	v_exp_f32_e32 v8, v8
	v_mul_f32_e32 v7, 0x3fb8aa3b, v7
	v_sub_f32_e32 v6, v6, v18
	v_add_f32_e32 v14, v14, v12
	v_cndmask_b32_e64 v11, 0, v11, s[20:21]
	v_exp_f32_e32 v7, v7
	v_mul_f32_e32 v6, 0x3fb8aa3b, v6
	v_sub_f32_e32 v5, v5, v18
	;; [unrolled: 5-line block ×4, first 2 shown]
	buffer_store_dword v13, off, s[0:3], 0 offset:272
	buffer_store_dword v12, off, s[0:3], 0 offset:276
	;; [unrolled: 1-line block ×4, first 2 shown]
	v_add_f32_e32 v10, v14, v9
	v_cndmask_b32_e64 v8, 0, v8, s[18:19]
	v_exp_f32_e32 v4, v4
	v_mul_f32_e32 v3, 0x3fb8aa3b, v3
	v_sub_f32_e32 v2, v2, v18
	v_add_f32_e32 v10, v10, v8
	v_cndmask_b32_e64 v7, 0, v7, s[12:13]
	v_exp_f32_e32 v3, v3
	v_mul_f32_e32 v2, 0x3fb8aa3b, v2
	v_add_f32_e32 v10, v10, v7
	v_cndmask_b32_e64 v6, 0, v6, s[14:15]
	v_exp_f32_e32 v2, v2
	v_add_f32_e32 v10, v10, v6
	v_cndmask_b32_e64 v5, 0, v5, s[6:7]
	buffer_store_dword v9, off, s[0:3], 0 offset:288
	buffer_store_dword v8, off, s[0:3], 0 offset:292
	buffer_store_dword v7, off, s[0:3], 0 offset:296
	buffer_store_dword v6, off, s[0:3], 0 offset:300
	v_add_f32_e32 v6, v10, v5
	v_cndmask_b32_e64 v4, 0, v4, s[10:11]
	v_add_f32_e32 v6, v6, v4
	v_cndmask_b32_e32 v3, 0, v3, vcc
	v_add_f32_e32 v6, v6, v3
	v_cndmask_b32_e64 v2, 0, v2, s[4:5]
	v_add_f32_e32 v6, v6, v2
	ds_bpermute_b32 v7, v21, v6
	buffer_store_dword v5, off, s[0:3], 0 offset:304
	buffer_store_dword v4, off, s[0:3], 0 offset:308
	;; [unrolled: 1-line block ×4, first 2 shown]
	v_cmp_gt_u32_e32 vcc, 16, v51
	s_waitcnt lgkmcnt(0)
	s_barrier
	v_add_f32_e32 v2, v6, v7
	ds_bpermute_b32 v3, v19, v2
	s_waitcnt lgkmcnt(0)
	s_and_saveexec_b64 s[4:5], vcc
	s_cbranch_execz .LBB909_207
; %bb.206:
	v_add_f32_e32 v2, v2, v3
	v_lshlrev_b32_e32 v3, 2, v64
	ds_write2st64_b32 v3, v18, v2 offset1:1
.LBB909_207:
	s_or_b64 exec, exec, s[4:5]
	v_lshlrev_b32_e32 v2, 2, v53
	s_waitcnt lgkmcnt(0)
	s_barrier
	ds_read2_b32 v[14:15], v2 offset1:16
	ds_read2_b32 v[16:17], v2 offset0:32 offset1:48
	ds_read2_b32 v[6:7], v2 offset0:64 offset1:80
	;; [unrolled: 1-line block ×3, first 2 shown]
	s_waitcnt lgkmcnt(0)
	s_barrier
	buffer_load_dword v20, off, s[0:3], 0 offset:264
	buffer_load_dword v21, off, s[0:3], 0 offset:268
	;; [unrolled: 1-line block ×16, first 2 shown]
	v_max3_f32 v18, v14, s52, v15
	v_max3_f32 v18, v18, v16, v17
	v_sub_f32_e32 v14, v14, v18
	v_sub_f32_e32 v15, v15, v18
	v_mul_f32_e32 v14, 0x3fb8aa3b, v14
	v_sub_f32_e32 v16, v16, v18
	v_mul_f32_e32 v15, 0x3fb8aa3b, v15
	v_exp_f32_e32 v14, v14
	v_sub_f32_e32 v17, v17, v18
	v_mul_f32_e32 v16, 0x3fb8aa3b, v16
	v_exp_f32_e32 v15, v15
	v_mul_f32_e32 v17, 0x3fb8aa3b, v17
	v_exp_f32_e32 v16, v16
	v_exp_f32_e32 v17, v17
	v_fma_f32 v6, v14, v6, 0
	v_fmac_f32_e32 v6, v15, v7
	v_fmac_f32_e32 v6, v16, v10
	;; [unrolled: 1-line block ×3, first 2 shown]
	v_cmp_eq_u32_e32 vcc, 1, v62
	v_add_f32_e32 v10, 0x358637bd, v6
	v_cndmask_b32_e32 v14, v14, v15, vcc
	v_cmp_eq_u32_e32 vcc, 2, v62
	v_div_scale_f32 v11, s[4:5], v10, v10, 1.0
	v_cndmask_b32_e32 v7, v14, v16, vcc
	v_rcp_f32_e32 v14, v11
	v_cmp_eq_u32_e32 vcc, 3, v62
	v_cndmask_b32_e32 v7, v7, v17, vcc
	v_div_scale_f32 v15, vcc, 1.0, v10, 1.0
	v_fma_f32 v16, -v11, v14, 1.0
	v_fmac_f32_e32 v14, v16, v14
	v_mul_f32_e32 v16, v15, v14
	v_fma_f32 v17, -v11, v16, v15
	v_fmac_f32_e32 v16, v17, v14
	v_fma_f32 v11, -v11, v16, v15
	v_div_fmas_f32 v11, v11, v14, v16
	v_div_fixup_f32 v10, v11, v10, 1.0
	v_mul_f32_e32 v10, v7, v10
	s_movk_i32 s19, 0x7fff
	s_mov_b32 s20, 0x7060302
	s_lshl_b32 s18, s51, 4
	v_cmp_gt_u32_e32 vcc, 16, v0
	s_waitcnt vmcnt(14)
	v_pk_mul_f32 v[14:15], v[10:11], v[20:21] op_sel_hi:[0,1]
	v_bfe_u32 v20, v14, 16, 1
	s_waitcnt vmcnt(12)
	v_pk_mul_f32 v[16:17], v[10:11], v[22:23] op_sel_hi:[0,1]
	v_bfe_u32 v7, v17, 16, 1
	v_bfe_u32 v11, v16, 16, 1
	v_add3_u32 v11, v16, v11, s19
	v_add3_u32 v7, v17, v7, s19
	buffer_store_dword v16, off, s[0:3], 0 offset:256
	buffer_store_dword v17, off, s[0:3], 0 offset:260
	;; [unrolled: 1-line block ×4, first 2 shown]
	v_add3_u32 v16, v14, v20, s19
	v_perm_b32 v14, v7, v11, s20
	v_lshlrev_b32_e32 v11, 11, v62
	v_lshlrev_b32_e32 v7, 3, v1
	s_waitcnt vmcnt(12)
	v_pk_mul_f32 v[8:9], v[10:11], v[8:9] op_sel_hi:[0,1]
	v_or3_b32 v39, v11, v27, v7
	v_pk_mul_f32 v[12:13], v[10:11], v[12:13] op_sel_hi:[0,1]
	v_bfe_u32 v7, v9, 16, 1
	v_bfe_u32 v11, v8, 16, 1
	buffer_store_dword v8, off, s[0:3], 0 offset:272
	buffer_store_dword v9, off, s[0:3], 0 offset:276
	;; [unrolled: 1-line block ×4, first 2 shown]
	v_add3_u32 v8, v8, v11, s19
	v_add3_u32 v7, v9, v7, s19
	v_bfe_u32 v19, v15, 16, 1
	v_perm_b32 v8, v7, v8, s20
	v_bfe_u32 v7, v13, 16, 1
	v_bfe_u32 v9, v12, 16, 1
	v_add3_u32 v15, v15, v19, s19
	v_add3_u32 v9, v12, v9, s19
	v_add3_u32 v7, v13, v7, s19
	v_perm_b32 v15, v15, v16, s20
	v_perm_b32 v9, v7, v9, s20
	s_waitcnt vmcnt(14)
	v_pk_mul_f32 v[12:13], v[10:11], v[24:25] op_sel_hi:[0,1]
	ds_write2st64_b64 v39, v[14:15], v[8:9] offset1:1
	s_waitcnt vmcnt(12)
	v_pk_mul_f32 v[8:9], v[10:11], v[28:29] op_sel_hi:[0,1]
	v_bfe_u32 v7, v13, 16, 1
	v_bfe_u32 v11, v12, 16, 1
	v_add3_u32 v11, v12, v11, s19
	v_add3_u32 v7, v13, v7, s19
	buffer_store_dword v12, off, s[0:3], 0 offset:288
	buffer_store_dword v13, off, s[0:3], 0 offset:292
	;; [unrolled: 1-line block ×4, first 2 shown]
	v_perm_b32 v12, v7, v11, s20
	v_bfe_u32 v7, v9, 16, 1
	v_bfe_u32 v11, v8, 16, 1
	v_add3_u32 v8, v8, v11, s19
	v_add3_u32 v7, v9, v7, s19
	s_waitcnt vmcnt(14)
	v_pk_mul_f32 v[2:3], v[10:11], v[2:3] op_sel_hi:[0,1]
	v_perm_b32 v13, v7, v8, s20
	v_bfe_u32 v7, v3, 16, 1
	v_bfe_u32 v8, v2, 16, 1
	s_waitcnt vmcnt(12)
	v_pk_mul_f32 v[4:5], v[10:11], v[4:5] op_sel_hi:[0,1]
	buffer_store_dword v2, off, s[0:3], 0 offset:304
	buffer_store_dword v3, off, s[0:3], 0 offset:308
	;; [unrolled: 1-line block ×4, first 2 shown]
	v_add3_u32 v2, v2, v8, s19
	v_add3_u32 v3, v3, v7, s19
	v_perm_b32 v2, v3, v2, s20
	v_bfe_u32 v3, v5, 16, 1
	v_bfe_u32 v7, v4, 16, 1
	v_add3_u32 v4, v4, v7, s19
	v_add3_u32 v3, v5, v3, s19
	v_perm_b32 v3, v3, v4, s20
	ds_write2st64_b64 v39, v[12:13], v[2:3] offset0:2 offset1:3
	s_and_saveexec_b64 s[4:5], vcc
	s_cbranch_execz .LBB909_209
; %bb.208:
	v_mov_b32_e32 v51, 0
	v_mov_b32_e32 v2, s18
	s_mul_i32 s9, s9, s18
	v_mad_u64_u32 v[2:3], s[6:7], s8, v2, v[50:51]
	v_mov_b32_e32 v50, s26
	v_add_u32_e32 v5, s9, v3
	v_mad_u64_u32 v[2:3], s[6:7], v2, s50, v[50:51]
	v_mov_b32_e32 v4, v3
	v_mad_u64_u32 v[4:5], s[6:7], v5, s50, v[4:5]
	v_mov_b32_e32 v3, v4
	v_lshlrev_b64 v[2:3], 2, v[2:3]
	v_mov_b32_e32 v5, s47
	v_add_co_u32_e32 v4, vcc, s46, v2
	v_addc_co_u32_e32 v5, vcc, v5, v3, vcc
	global_store_dword v[4:5], v18, off
	v_mov_b32_e32 v4, s45
	v_add_co_u32_e32 v2, vcc, s44, v2
	v_addc_co_u32_e32 v3, vcc, v4, v3, vcc
	global_store_dword v[2:3], v6, off
.LBB909_209:
	s_or_b64 exec, exec, s[4:5]
	s_waitcnt lgkmcnt(0)
	s_barrier
	s_load_dword s4, s[42:43], 0x0
	ds_read_b128 v[2:5], v63
	ds_read_b128 v[6:9], v63 offset:16
	ds_read_b128 v[10:13], v63 offset:2048
	;; [unrolled: 1-line block ×7, first 2 shown]
	v_mov_b32_e32 v35, 0x80
	v_mov_b32_e32 v41, 0x140
	s_mov_b64 s[10:11], -1
	s_waitcnt lgkmcnt(0)
	s_mov_b32 s5, s4
	s_mov_b32 s6, s4
	;; [unrolled: 1-line block ×3, first 2 shown]
	s_movk_i32 s9, 0x80
	s_movk_i32 s21, 0x7f
	s_mov_b32 s22, 0xffffff
	s_mov_b32 s23, 0x5040100
	v_mov_b32_e32 v43, 0
	v_bfrev_b32_e32 v45, 60
	s_branch .LBB909_213
.LBB909_210:                            ;   in Loop: Header=BB909_213 Depth=1
	s_or_b64 exec, exec, s[16:17]
.LBB909_211:                            ;   in Loop: Header=BB909_213 Depth=1
	s_or_b64 exec, exec, s[14:15]
.LBB909_212:                            ;   in Loop: Header=BB909_213 Depth=1
	s_or_b64 exec, exec, s[12:13]
	v_perm_b32 v47, v49, v47, s23
	v_perm_b32 v46, v44, v46, s23
	s_xor_b64 s[12:13], s[10:11], -1
	s_mov_b64 s[10:11], 0
	v_mov_b32_e32 v61, v56
	v_mfma_f32_16x16x16bf16_1k v[62:65], v[46:47], v[30:31], v[34:37]
	s_and_b64 vcc, exec, s[12:13]
	v_mov_b32_e32 v60, v57
	v_mov_b32_e32 v59, v58
	s_nop 3
	v_perm_b32 v37, v51, v50, s23
	v_perm_b32 v36, v42, v48, s23
	v_mov_b32_e32 v35, v55
	s_nop 0
	v_mfma_f32_16x16x16bf16_1k v[46:49], v[36:37], v[32:33], v[62:65]
	s_nop 7
	s_nop 2
	v_pk_mul_f32 v[46:47], v[46:47], s[4:5]
	v_pk_mul_f32 v[36:37], v[48:49], s[6:7]
	v_bfe_u32 v34, v47, 16, 1
	v_bfe_u32 v38, v46, 16, 1
	;; [unrolled: 1-line block ×4, first 2 shown]
	v_add3_u32 v38, v46, v38, s19
	v_add3_u32 v34, v47, v34, s19
	;; [unrolled: 1-line block ×4, first 2 shown]
	v_perm_b32 v34, v34, v38, s20
	v_perm_b32 v36, v37, v36, s20
	buffer_store_dword v34, v41, s[0:3], 0 offen
	buffer_store_dword v36, v41, s[0:3], 0 offen offset:4
	v_mov_b32_e32 v41, 0x148
	s_cbranch_vccnz .LBB909_595
.LBB909_213:                            ; =>This Inner Loop Header: Depth=1
	buffer_load_dword v36, v35, s[0:3], 0 offen
	buffer_load_dword v34, v35, s[0:3], 0 offen offset:4
	buffer_load_dword v40, v35, s[0:3], 0 offen offset:8
	;; [unrolled: 1-line block ×3, first 2 shown]
	v_mov_b32_e32 v35, 0
	s_waitcnt vmcnt(3)
	v_cmp_ne_u16_sdwa s[14:15], v36, v43 src0_sel:BYTE_0 src1_sel:DWORD
	s_and_saveexec_b64 s[12:13], s[14:15]
	s_cbranch_execz .LBB909_219
; %bb.214:                              ;   in Loop: Header=BB909_213 Depth=1
	v_cmp_ne_u16_sdwa s[16:17], v36, s9 src0_sel:BYTE_0 src1_sel:DWORD
	v_mov_b32_e32 v35, 0xffff8000
	s_and_saveexec_b64 s[14:15], s[16:17]
	s_cbranch_execz .LBB909_218
; %bb.215:                              ;   in Loop: Header=BB909_213 Depth=1
	v_and_b32_e32 v37, 0x7f, v36
	v_cmp_ne_u32_e32 vcc, s21, v37
	v_mov_b32_e32 v35, 0x7f80
	s_and_saveexec_b64 s[16:17], vcc
	s_cbranch_execz .LBB909_217
; %bb.216:                              ;   in Loop: Header=BB909_213 Depth=1
	v_and_b32_e32 v35, 7, v36
	v_ffbh_u32_e32 v44, v35
	v_min_u32_e32 v44, 32, v44
	v_subrev_u32_e32 v46, 28, v44
	v_lshlrev_b64 v[46:47], v46, v[36:37]
	v_lshrrev_b32_e32 v42, 3, v37
	v_sub_u32_e32 v44, 29, v44
	v_and_b32_e32 v46, 7, v46
	v_cmp_gt_u32_e32 vcc, 8, v37
	v_cndmask_b32_e32 v37, v42, v44, vcc
	v_cndmask_b32_e32 v35, v35, v46, vcc
	v_lshlrev_b32_e32 v42, 24, v36
	v_lshlrev_b32_e32 v35, 20, v35
	v_and_b32_e32 v42, 0x80000000, v42
	v_lshl_add_u32 v37, v37, 23, v45
	v_or3_b32 v35, v42, v37, v35
	v_lshrrev_b32_e32 v35, 16, v35
.LBB909_217:                            ;   in Loop: Header=BB909_213 Depth=1
	s_or_b64 exec, exec, s[16:17]
.LBB909_218:                            ;   in Loop: Header=BB909_213 Depth=1
	s_or_b64 exec, exec, s[14:15]
.LBB909_219:                            ;   in Loop: Header=BB909_213 Depth=1
	s_or_b64 exec, exec, s[12:13]
	v_lshrrev_b16_e32 v42, 8, v36
	v_cmp_ne_u16_e32 vcc, 0, v42
	v_mov_b32_e32 v46, 0
	v_mov_b32_e32 v37, 0
	s_and_saveexec_b64 s[12:13], vcc
	s_cbranch_execz .LBB909_225
; %bb.220:                              ;   in Loop: Header=BB909_213 Depth=1
	v_cmp_ne_u16_e32 vcc, s9, v42
	v_mov_b32_e32 v37, 0xffff8000
	s_and_saveexec_b64 s[14:15], vcc
	s_cbranch_execz .LBB909_224
; %bb.221:                              ;   in Loop: Header=BB909_213 Depth=1
	v_and_b32_e32 v44, 0x7f, v42
	v_cmp_ne_u32_e32 vcc, s21, v44
	v_mov_b32_e32 v37, 0x7f80
	s_and_saveexec_b64 s[16:17], vcc
	s_cbranch_execz .LBB909_223
; %bb.222:                              ;   in Loop: Header=BB909_213 Depth=1
	v_and_b32_e32 v37, 7, v42
	v_ffbh_u32_e32 v48, v37
	v_min_u32_e32 v50, 32, v48
	v_subrev_u32_e32 v48, 28, v50
	v_lshlrev_b64 v[48:49], v48, v[42:43]
	v_lshrrev_b32_e32 v47, 3, v44
	v_sub_u32_e32 v42, 29, v50
	v_and_b32_e32 v48, 7, v48
	v_cmp_gt_u32_e32 vcc, 8, v44
	v_cndmask_b32_e32 v42, v47, v42, vcc
	v_cndmask_b32_e32 v37, v37, v48, vcc
	v_lshlrev_b32_e32 v44, 16, v36
	v_lshlrev_b32_e32 v37, 20, v37
	v_and_b32_e32 v44, 0x80000000, v44
	v_lshl_add_u32 v42, v42, 23, v45
	v_or3_b32 v37, v44, v42, v37
	v_lshrrev_b32_e32 v37, 16, v37
.LBB909_223:                            ;   in Loop: Header=BB909_213 Depth=1
	s_or_b64 exec, exec, s[16:17]
.LBB909_224:                            ;   in Loop: Header=BB909_213 Depth=1
	s_or_b64 exec, exec, s[14:15]
.LBB909_225:                            ;   in Loop: Header=BB909_213 Depth=1
	s_or_b64 exec, exec, s[12:13]
	v_lshrrev_b32_e32 v42, 16, v36
	v_cmp_ne_u16_sdwa s[14:15], v42, v43 src0_sel:BYTE_0 src1_sel:DWORD
	s_and_saveexec_b64 s[12:13], s[14:15]
	s_cbranch_execz .LBB909_231
; %bb.226:                              ;   in Loop: Header=BB909_213 Depth=1
	v_cmp_ne_u16_sdwa s[16:17], v42, s9 src0_sel:BYTE_0 src1_sel:DWORD
	v_mov_b32_e32 v46, 0xffff8000
	s_and_saveexec_b64 s[14:15], s[16:17]
	s_cbranch_execz .LBB909_230
; %bb.227:                              ;   in Loop: Header=BB909_213 Depth=1
	v_bfe_u32 v44, v36, 16, 7
	v_cmp_ne_u32_e32 vcc, s21, v44
	v_mov_b32_e32 v46, 0x7f80
	s_and_saveexec_b64 s[16:17], vcc
	s_cbranch_execz .LBB909_229
; %bb.228:                              ;   in Loop: Header=BB909_213 Depth=1
	v_and_b32_e32 v48, 7, v42
	v_ffbh_u32_e32 v46, v48
	v_min_u32_e32 v50, 32, v46
	v_subrev_u32_e32 v46, 28, v50
	v_lshlrev_b64 v[46:47], v46, v[42:43]
	v_lshrrev_b32_e32 v49, 3, v44
	v_sub_u32_e32 v47, 29, v50
	v_and_b32_e32 v46, 7, v46
	v_cmp_gt_u32_e32 vcc, 8, v44
	v_cndmask_b32_e32 v44, v49, v47, vcc
	v_cndmask_b32_e32 v46, v48, v46, vcc
	v_lshlrev_b32_e32 v42, 24, v42
	v_lshlrev_b32_e32 v46, 20, v46
	v_and_b32_e32 v42, 0x80000000, v42
	v_lshl_add_u32 v44, v44, 23, v45
	v_or3_b32 v42, v42, v44, v46
	v_lshrrev_b32_e32 v46, 16, v42
.LBB909_229:                            ;   in Loop: Header=BB909_213 Depth=1
	s_or_b64 exec, exec, s[16:17]
.LBB909_230:                            ;   in Loop: Header=BB909_213 Depth=1
	s_or_b64 exec, exec, s[14:15]
.LBB909_231:                            ;   in Loop: Header=BB909_213 Depth=1
	s_or_b64 exec, exec, s[12:13]
	v_cmp_lt_u32_e32 vcc, s22, v36
	v_mov_b32_e32 v47, 0
	v_mov_b32_e32 v48, 0
	s_and_saveexec_b64 s[12:13], vcc
	s_cbranch_execz .LBB909_237
; %bb.232:                              ;   in Loop: Header=BB909_213 Depth=1
	v_lshrrev_b32_e32 v42, 24, v36
	v_cmp_ne_u32_e32 vcc, s9, v42
	v_mov_b32_e32 v48, 0xffff8000
	s_and_saveexec_b64 s[14:15], vcc
	s_cbranch_execz .LBB909_236
; %bb.233:                              ;   in Loop: Header=BB909_213 Depth=1
	v_bfe_u32 v36, v36, 24, 7
	v_cmp_ne_u32_e32 vcc, s21, v36
	v_mov_b32_e32 v48, 0x7f80
	s_and_saveexec_b64 s[16:17], vcc
	s_cbranch_execz .LBB909_235
; %bb.234:                              ;   in Loop: Header=BB909_213 Depth=1
	v_and_b32_e32 v44, 7, v42
	v_ffbh_u32_e32 v48, v44
	v_min_u32_e32 v51, 32, v48
	v_subrev_u32_e32 v48, 28, v51
	v_lshlrev_b64 v[48:49], v48, v[42:43]
	v_lshrrev_b32_e32 v50, 3, v36
	v_sub_u32_e32 v49, 29, v51
	v_and_b32_e32 v48, 7, v48
	v_cmp_gt_u32_e32 vcc, 8, v36
	v_cndmask_b32_e32 v36, v50, v49, vcc
	v_cndmask_b32_e32 v44, v44, v48, vcc
	v_lshlrev_b32_e32 v42, 24, v42
	v_lshlrev_b32_e32 v44, 20, v44
	v_and_b32_e32 v42, 0x80000000, v42
	v_lshl_add_u32 v36, v36, 23, v45
	v_or3_b32 v36, v42, v36, v44
	v_lshrrev_b32_e32 v48, 16, v36
.LBB909_235:                            ;   in Loop: Header=BB909_213 Depth=1
	s_or_b64 exec, exec, s[16:17]
.LBB909_236:                            ;   in Loop: Header=BB909_213 Depth=1
	s_or_b64 exec, exec, s[14:15]
.LBB909_237:                            ;   in Loop: Header=BB909_213 Depth=1
	s_or_b64 exec, exec, s[12:13]
	s_waitcnt vmcnt(2)
	v_cmp_ne_u16_sdwa s[14:15], v34, v43 src0_sel:BYTE_0 src1_sel:DWORD
	s_and_saveexec_b64 s[12:13], s[14:15]
	s_cbranch_execz .LBB909_243
; %bb.238:                              ;   in Loop: Header=BB909_213 Depth=1
	v_cmp_ne_u16_sdwa s[16:17], v34, s9 src0_sel:BYTE_0 src1_sel:DWORD
	v_mov_b32_e32 v47, 0xffff8000
	s_and_saveexec_b64 s[14:15], s[16:17]
	s_cbranch_execz .LBB909_242
; %bb.239:                              ;   in Loop: Header=BB909_213 Depth=1
	v_and_b32_e32 v36, 0x7f, v34
	v_cmp_ne_u32_e32 vcc, s21, v36
	v_mov_b32_e32 v47, 0x7f80
	s_and_saveexec_b64 s[16:17], vcc
	s_cbranch_execz .LBB909_241
; %bb.240:                              ;   in Loop: Header=BB909_213 Depth=1
	v_and_b32_e32 v42, 7, v34
	v_ffbh_u32_e32 v47, v42
	v_min_u32_e32 v47, 32, v47
	v_subrev_u32_e32 v49, 28, v47
	v_lshlrev_b64 v[50:51], v49, v[34:35]
	v_lshrrev_b32_e32 v44, 3, v36
	v_sub_u32_e32 v47, 29, v47
	v_and_b32_e32 v49, 7, v50
	v_cmp_gt_u32_e32 vcc, 8, v36
	v_cndmask_b32_e32 v36, v44, v47, vcc
	v_cndmask_b32_e32 v42, v42, v49, vcc
	v_lshlrev_b32_e32 v44, 24, v34
	v_lshlrev_b32_e32 v42, 20, v42
	v_and_b32_e32 v44, 0x80000000, v44
	v_lshl_add_u32 v36, v36, 23, v45
	v_or3_b32 v36, v44, v36, v42
	v_lshrrev_b32_e32 v47, 16, v36
.LBB909_241:                            ;   in Loop: Header=BB909_213 Depth=1
	s_or_b64 exec, exec, s[16:17]
.LBB909_242:                            ;   in Loop: Header=BB909_213 Depth=1
	s_or_b64 exec, exec, s[14:15]
.LBB909_243:                            ;   in Loop: Header=BB909_213 Depth=1
	s_or_b64 exec, exec, s[12:13]
	v_lshrrev_b16_e32 v36, 8, v34
	v_cmp_ne_u16_e32 vcc, 0, v36
	v_mov_b32_e32 v49, 0
	v_mov_b32_e32 v42, 0
	s_and_saveexec_b64 s[12:13], vcc
	s_cbranch_execz .LBB909_249
; %bb.244:                              ;   in Loop: Header=BB909_213 Depth=1
	v_cmp_ne_u16_e32 vcc, s9, v36
	v_mov_b32_e32 v42, 0xffff8000
	s_and_saveexec_b64 s[14:15], vcc
	s_cbranch_execz .LBB909_248
; %bb.245:                              ;   in Loop: Header=BB909_213 Depth=1
	v_and_b32_e32 v44, 0x7f, v36
	v_cmp_ne_u32_e32 vcc, s21, v44
	v_mov_b32_e32 v42, 0x7f80
	s_and_saveexec_b64 s[16:17], vcc
	s_cbranch_execz .LBB909_247
; %bb.246:                              ;   in Loop: Header=BB909_213 Depth=1
	v_and_b32_e32 v42, 7, v36
	v_ffbh_u32_e32 v50, v42
	v_min_u32_e32 v63, 32, v50
	v_subrev_u32_e32 v50, 28, v63
	v_lshlrev_b64 v[50:51], v50, v[36:37]
	v_lshrrev_b32_e32 v62, 3, v44
	v_sub_u32_e32 v36, 29, v63
	v_and_b32_e32 v50, 7, v50
	v_cmp_gt_u32_e32 vcc, 8, v44
	v_cndmask_b32_e32 v36, v62, v36, vcc
	v_cndmask_b32_e32 v42, v42, v50, vcc
	v_lshlrev_b32_e32 v44, 16, v34
	v_lshlrev_b32_e32 v42, 20, v42
	v_and_b32_e32 v44, 0x80000000, v44
	v_lshl_add_u32 v36, v36, 23, v45
	v_or3_b32 v36, v44, v36, v42
	v_lshrrev_b32_e32 v42, 16, v36
.LBB909_247:                            ;   in Loop: Header=BB909_213 Depth=1
	s_or_b64 exec, exec, s[16:17]
.LBB909_248:                            ;   in Loop: Header=BB909_213 Depth=1
	s_or_b64 exec, exec, s[14:15]
.LBB909_249:                            ;   in Loop: Header=BB909_213 Depth=1
	s_or_b64 exec, exec, s[12:13]
	v_lshrrev_b32_e32 v36, 16, v34
	v_cmp_ne_u16_sdwa s[14:15], v36, v43 src0_sel:BYTE_0 src1_sel:DWORD
	s_and_saveexec_b64 s[12:13], s[14:15]
	s_cbranch_execz .LBB909_255
; %bb.250:                              ;   in Loop: Header=BB909_213 Depth=1
	v_cmp_ne_u16_sdwa s[16:17], v36, s9 src0_sel:BYTE_0 src1_sel:DWORD
	v_mov_b32_e32 v49, 0xffff8000
	s_and_saveexec_b64 s[14:15], s[16:17]
	s_cbranch_execz .LBB909_254
; %bb.251:                              ;   in Loop: Header=BB909_213 Depth=1
	v_bfe_u32 v44, v34, 16, 7
	v_cmp_ne_u32_e32 vcc, s21, v44
	v_mov_b32_e32 v49, 0x7f80
	s_and_saveexec_b64 s[16:17], vcc
	s_cbranch_execz .LBB909_253
; %bb.252:                              ;   in Loop: Header=BB909_213 Depth=1
	v_and_b32_e32 v49, 7, v36
	v_ffbh_u32_e32 v50, v49
	v_min_u32_e32 v63, 32, v50
	v_subrev_u32_e32 v50, 28, v63
	v_lshlrev_b64 v[50:51], v50, v[36:37]
	v_lshrrev_b32_e32 v62, 3, v44
	v_sub_u32_e32 v51, 29, v63
	v_and_b32_e32 v50, 7, v50
	v_cmp_gt_u32_e32 vcc, 8, v44
	v_cndmask_b32_e32 v44, v62, v51, vcc
	v_cndmask_b32_e32 v49, v49, v50, vcc
	v_lshlrev_b32_e32 v36, 24, v36
	v_lshlrev_b32_e32 v49, 20, v49
	v_and_b32_e32 v36, 0x80000000, v36
	v_lshl_add_u32 v44, v44, 23, v45
	v_or3_b32 v36, v36, v44, v49
	v_lshrrev_b32_e32 v49, 16, v36
.LBB909_253:                            ;   in Loop: Header=BB909_213 Depth=1
	s_or_b64 exec, exec, s[16:17]
.LBB909_254:                            ;   in Loop: Header=BB909_213 Depth=1
	s_or_b64 exec, exec, s[14:15]
.LBB909_255:                            ;   in Loop: Header=BB909_213 Depth=1
	s_or_b64 exec, exec, s[12:13]
	v_cmp_lt_u32_e32 vcc, s22, v34
	v_mov_b32_e32 v44, 0
	v_mov_b32_e32 v50, 0
	s_and_saveexec_b64 s[12:13], vcc
	s_cbranch_execz .LBB909_261
; %bb.256:                              ;   in Loop: Header=BB909_213 Depth=1
	v_lshrrev_b32_e32 v36, 24, v34
	v_cmp_ne_u32_e32 vcc, s9, v36
	v_mov_b32_e32 v50, 0xffff8000
	s_and_saveexec_b64 s[14:15], vcc
	s_cbranch_execz .LBB909_260
; %bb.257:                              ;   in Loop: Header=BB909_213 Depth=1
	v_bfe_u32 v34, v34, 24, 7
	v_cmp_ne_u32_e32 vcc, s21, v34
	v_mov_b32_e32 v50, 0x7f80
	s_and_saveexec_b64 s[16:17], vcc
	s_cbranch_execz .LBB909_259
; %bb.258:                              ;   in Loop: Header=BB909_213 Depth=1
	v_and_b32_e32 v62, 7, v36
	v_ffbh_u32_e32 v50, v62
	v_min_u32_e32 v64, 32, v50
	v_subrev_u32_e32 v50, 28, v64
	v_lshlrev_b64 v[50:51], v50, v[36:37]
	v_lshrrev_b32_e32 v63, 3, v34
	v_sub_u32_e32 v51, 29, v64
	v_and_b32_e32 v50, 7, v50
	v_cmp_gt_u32_e32 vcc, 8, v34
	v_cndmask_b32_e32 v34, v63, v51, vcc
	v_cndmask_b32_e32 v50, v62, v50, vcc
	v_lshlrev_b32_e32 v36, 24, v36
	v_lshlrev_b32_e32 v50, 20, v50
	v_and_b32_e32 v36, 0x80000000, v36
	v_lshl_add_u32 v34, v34, 23, v45
	v_or3_b32 v34, v36, v34, v50
	v_lshrrev_b32_e32 v50, 16, v34
.LBB909_259:                            ;   in Loop: Header=BB909_213 Depth=1
	s_or_b64 exec, exec, s[16:17]
.LBB909_260:                            ;   in Loop: Header=BB909_213 Depth=1
	s_or_b64 exec, exec, s[14:15]
.LBB909_261:                            ;   in Loop: Header=BB909_213 Depth=1
	s_or_b64 exec, exec, s[12:13]
	v_perm_b32 v63, v48, v46, s23
	v_perm_b32 v62, v37, v35, s23
	;; [unrolled: 1-line block ×4, first 2 shown]
	s_waitcnt vmcnt(1)
	v_cmp_ne_u16_sdwa s[14:15], v40, v43 src0_sel:BYTE_0 src1_sel:DWORD
	v_mfma_f32_16x16x16bf16_1k v[34:37], v[62:63], v[2:3], 0
	v_mfma_f32_16x16x16bf16_1k v[34:37], v[48:49], v[4:5], v[34:37]
	s_and_saveexec_b64 s[12:13], s[14:15]
	s_cbranch_execz .LBB909_267
; %bb.262:                              ;   in Loop: Header=BB909_213 Depth=1
	v_cmp_ne_u16_sdwa s[16:17], v40, s9 src0_sel:BYTE_0 src1_sel:DWORD
	v_mov_b32_e32 v44, 0xffff8000
	s_and_saveexec_b64 s[14:15], s[16:17]
	s_cbranch_execz .LBB909_266
; %bb.263:                              ;   in Loop: Header=BB909_213 Depth=1
	v_and_b32_e32 v42, 0x7f, v40
	v_cmp_ne_u32_e32 vcc, s21, v42
	v_mov_b32_e32 v44, 0x7f80
	s_and_saveexec_b64 s[16:17], vcc
	s_cbranch_execz .LBB909_265
; %bb.264:                              ;   in Loop: Header=BB909_213 Depth=1
	v_and_b32_e32 v44, 7, v40
	v_ffbh_u32_e32 v46, v44
	v_min_u32_e32 v49, 32, v46
	v_subrev_u32_e32 v46, 28, v49
	v_lshlrev_b64 v[46:47], v46, v[40:41]
	v_lshrrev_b32_e32 v48, 3, v42
	v_sub_u32_e32 v47, 29, v49
	v_and_b32_e32 v46, 7, v46
	v_cmp_gt_u32_e32 vcc, 8, v42
	v_cndmask_b32_e32 v42, v48, v47, vcc
	v_cndmask_b32_e32 v44, v44, v46, vcc
	v_lshlrev_b32_e32 v46, 24, v40
	v_lshlrev_b32_e32 v44, 20, v44
	v_and_b32_e32 v46, 0x80000000, v46
	v_lshl_add_u32 v42, v42, 23, v45
	v_or3_b32 v42, v46, v42, v44
	v_lshrrev_b32_e32 v44, 16, v42
.LBB909_265:                            ;   in Loop: Header=BB909_213 Depth=1
	s_or_b64 exec, exec, s[16:17]
.LBB909_266:                            ;   in Loop: Header=BB909_213 Depth=1
	s_or_b64 exec, exec, s[14:15]
.LBB909_267:                            ;   in Loop: Header=BB909_213 Depth=1
	s_or_b64 exec, exec, s[12:13]
	v_lshrrev_b16_e32 v42, 8, v40
	v_cmp_ne_u16_e32 vcc, 0, v42
	v_mov_b32_e32 v48, 0
	v_mov_b32_e32 v46, 0
	s_and_saveexec_b64 s[12:13], vcc
	s_cbranch_execz .LBB909_273
; %bb.268:                              ;   in Loop: Header=BB909_213 Depth=1
	v_cmp_ne_u16_e32 vcc, s9, v42
	v_mov_b32_e32 v46, 0xffff8000
	s_and_saveexec_b64 s[14:15], vcc
	s_cbranch_execz .LBB909_272
; %bb.269:                              ;   in Loop: Header=BB909_213 Depth=1
	v_and_b32_e32 v47, 0x7f, v42
	v_cmp_ne_u32_e32 vcc, s21, v47
	v_mov_b32_e32 v46, 0x7f80
	s_and_saveexec_b64 s[16:17], vcc
	s_cbranch_execz .LBB909_271
; %bb.270:                              ;   in Loop: Header=BB909_213 Depth=1
	v_and_b32_e32 v46, 7, v42
	v_ffbh_u32_e32 v50, v46
	v_min_u32_e32 v62, 32, v50
	v_subrev_u32_e32 v50, 28, v62
	v_lshlrev_b64 v[50:51], v50, v[42:43]
	v_lshrrev_b32_e32 v49, 3, v47
	v_sub_u32_e32 v42, 29, v62
	v_and_b32_e32 v50, 7, v50
	v_cmp_gt_u32_e32 vcc, 8, v47
	v_cndmask_b32_e32 v42, v49, v42, vcc
	v_cndmask_b32_e32 v46, v46, v50, vcc
	v_lshlrev_b32_e32 v47, 16, v40
	v_lshlrev_b32_e32 v46, 20, v46
	v_and_b32_e32 v47, 0x80000000, v47
	v_lshl_add_u32 v42, v42, 23, v45
	v_or3_b32 v42, v47, v42, v46
	v_lshrrev_b32_e32 v46, 16, v42
.LBB909_271:                            ;   in Loop: Header=BB909_213 Depth=1
	s_or_b64 exec, exec, s[16:17]
.LBB909_272:                            ;   in Loop: Header=BB909_213 Depth=1
	s_or_b64 exec, exec, s[14:15]
.LBB909_273:                            ;   in Loop: Header=BB909_213 Depth=1
	s_or_b64 exec, exec, s[12:13]
	v_lshrrev_b32_e32 v42, 16, v40
	v_cmp_ne_u16_sdwa s[14:15], v42, v43 src0_sel:BYTE_0 src1_sel:DWORD
	s_and_saveexec_b64 s[12:13], s[14:15]
	s_cbranch_execz .LBB909_279
; %bb.274:                              ;   in Loop: Header=BB909_213 Depth=1
	v_cmp_ne_u16_sdwa s[16:17], v42, s9 src0_sel:BYTE_0 src1_sel:DWORD
	v_mov_b32_e32 v48, 0xffff8000
	s_and_saveexec_b64 s[14:15], s[16:17]
	s_cbranch_execz .LBB909_278
; %bb.275:                              ;   in Loop: Header=BB909_213 Depth=1
	v_bfe_u32 v47, v40, 16, 7
	v_cmp_ne_u32_e32 vcc, s21, v47
	v_mov_b32_e32 v48, 0x7f80
	s_and_saveexec_b64 s[16:17], vcc
	s_cbranch_execz .LBB909_277
; %bb.276:                              ;   in Loop: Header=BB909_213 Depth=1
	v_and_b32_e32 v50, 7, v42
	v_ffbh_u32_e32 v48, v50
	v_min_u32_e32 v62, 32, v48
	v_subrev_u32_e32 v48, 28, v62
	v_lshlrev_b64 v[48:49], v48, v[42:43]
	v_lshrrev_b32_e32 v51, 3, v47
	v_sub_u32_e32 v49, 29, v62
	v_and_b32_e32 v48, 7, v48
	v_cmp_gt_u32_e32 vcc, 8, v47
	v_cndmask_b32_e32 v47, v51, v49, vcc
	v_cndmask_b32_e32 v48, v50, v48, vcc
	v_lshlrev_b32_e32 v42, 24, v42
	v_lshlrev_b32_e32 v48, 20, v48
	v_and_b32_e32 v42, 0x80000000, v42
	v_lshl_add_u32 v47, v47, 23, v45
	v_or3_b32 v42, v42, v47, v48
	v_lshrrev_b32_e32 v48, 16, v42
.LBB909_277:                            ;   in Loop: Header=BB909_213 Depth=1
	s_or_b64 exec, exec, s[16:17]
.LBB909_278:                            ;   in Loop: Header=BB909_213 Depth=1
	s_or_b64 exec, exec, s[14:15]
.LBB909_279:                            ;   in Loop: Header=BB909_213 Depth=1
	s_or_b64 exec, exec, s[12:13]
	v_cmp_lt_u32_e32 vcc, s22, v40
	v_mov_b32_e32 v49, 0
	v_mov_b32_e32 v50, 0
	s_and_saveexec_b64 s[12:13], vcc
	s_cbranch_execz .LBB909_285
; %bb.280:                              ;   in Loop: Header=BB909_213 Depth=1
	v_lshrrev_b32_e32 v42, 24, v40
	v_cmp_ne_u32_e32 vcc, s9, v42
	v_mov_b32_e32 v50, 0xffff8000
	s_and_saveexec_b64 s[14:15], vcc
	s_cbranch_execz .LBB909_284
; %bb.281:                              ;   in Loop: Header=BB909_213 Depth=1
	v_bfe_u32 v40, v40, 24, 7
	v_cmp_ne_u32_e32 vcc, s21, v40
	v_mov_b32_e32 v50, 0x7f80
	s_and_saveexec_b64 s[16:17], vcc
	s_cbranch_execz .LBB909_283
; %bb.282:                              ;   in Loop: Header=BB909_213 Depth=1
	v_and_b32_e32 v47, 7, v42
	v_ffbh_u32_e32 v50, v47
	v_min_u32_e32 v63, 32, v50
	v_subrev_u32_e32 v50, 28, v63
	v_lshlrev_b64 v[50:51], v50, v[42:43]
	v_lshrrev_b32_e32 v62, 3, v40
	v_sub_u32_e32 v51, 29, v63
	v_and_b32_e32 v50, 7, v50
	v_cmp_gt_u32_e32 vcc, 8, v40
	v_cndmask_b32_e32 v40, v62, v51, vcc
	v_cndmask_b32_e32 v47, v47, v50, vcc
	v_lshlrev_b32_e32 v42, 24, v42
	v_lshlrev_b32_e32 v47, 20, v47
	v_and_b32_e32 v42, 0x80000000, v42
	v_lshl_add_u32 v40, v40, 23, v45
	v_or3_b32 v40, v42, v40, v47
	v_lshrrev_b32_e32 v50, 16, v40
.LBB909_283:                            ;   in Loop: Header=BB909_213 Depth=1
	s_or_b64 exec, exec, s[16:17]
.LBB909_284:                            ;   in Loop: Header=BB909_213 Depth=1
	s_or_b64 exec, exec, s[14:15]
.LBB909_285:                            ;   in Loop: Header=BB909_213 Depth=1
	s_or_b64 exec, exec, s[12:13]
	s_waitcnt vmcnt(0)
	v_cmp_ne_u16_sdwa s[14:15], v38, v43 src0_sel:BYTE_0 src1_sel:DWORD
	s_and_saveexec_b64 s[12:13], s[14:15]
	s_cbranch_execz .LBB909_291
; %bb.286:                              ;   in Loop: Header=BB909_213 Depth=1
	v_cmp_ne_u16_sdwa s[16:17], v38, s9 src0_sel:BYTE_0 src1_sel:DWORD
	v_mov_b32_e32 v49, 0xffff8000
	s_and_saveexec_b64 s[14:15], s[16:17]
	s_cbranch_execz .LBB909_290
; %bb.287:                              ;   in Loop: Header=BB909_213 Depth=1
	v_and_b32_e32 v40, 0x7f, v38
	v_cmp_ne_u32_e32 vcc, s21, v40
	v_mov_b32_e32 v49, 0x7f80
	s_and_saveexec_b64 s[16:17], vcc
	s_cbranch_execz .LBB909_289
; %bb.288:                              ;   in Loop: Header=BB909_213 Depth=1
	v_and_b32_e32 v42, 7, v38
	v_ffbh_u32_e32 v49, v42
	v_min_u32_e32 v49, 32, v49
	v_subrev_u32_e32 v51, 28, v49
	v_lshlrev_b64 v[62:63], v51, v[38:39]
	v_lshrrev_b32_e32 v47, 3, v40
	v_sub_u32_e32 v49, 29, v49
	v_and_b32_e32 v51, 7, v62
	v_cmp_gt_u32_e32 vcc, 8, v40
	v_cndmask_b32_e32 v40, v47, v49, vcc
	v_cndmask_b32_e32 v42, v42, v51, vcc
	v_lshlrev_b32_e32 v47, 24, v38
	v_lshlrev_b32_e32 v42, 20, v42
	v_and_b32_e32 v47, 0x80000000, v47
	v_lshl_add_u32 v40, v40, 23, v45
	v_or3_b32 v40, v47, v40, v42
	v_lshrrev_b32_e32 v49, 16, v40
.LBB909_289:                            ;   in Loop: Header=BB909_213 Depth=1
	s_or_b64 exec, exec, s[16:17]
.LBB909_290:                            ;   in Loop: Header=BB909_213 Depth=1
	s_or_b64 exec, exec, s[14:15]
.LBB909_291:                            ;   in Loop: Header=BB909_213 Depth=1
	s_or_b64 exec, exec, s[12:13]
	v_lshrrev_b16_e32 v40, 8, v38
	v_cmp_ne_u16_e32 vcc, 0, v40
	v_mov_b32_e32 v62, 0
	v_mov_b32_e32 v51, 0
	s_and_saveexec_b64 s[12:13], vcc
	s_cbranch_execz .LBB909_297
; %bb.292:                              ;   in Loop: Header=BB909_213 Depth=1
	v_cmp_ne_u16_e32 vcc, s9, v40
	v_mov_b32_e32 v51, 0xffff8000
	s_and_saveexec_b64 s[14:15], vcc
	s_cbranch_execz .LBB909_296
; %bb.293:                              ;   in Loop: Header=BB909_213 Depth=1
	v_and_b32_e32 v42, 0x7f, v40
	v_cmp_ne_u32_e32 vcc, s21, v42
	v_mov_b32_e32 v51, 0x7f80
	s_and_saveexec_b64 s[16:17], vcc
	s_cbranch_execz .LBB909_295
; %bb.294:                              ;   in Loop: Header=BB909_213 Depth=1
	v_and_b32_e32 v47, 7, v40
	v_ffbh_u32_e32 v63, v47
	v_min_u32_e32 v63, 32, v63
	v_subrev_u32_e32 v64, 28, v63
	v_lshlrev_b64 v[64:65], v64, v[40:41]
	v_lshrrev_b32_e32 v51, 3, v42
	v_sub_u32_e32 v40, 29, v63
	v_and_b32_e32 v63, 7, v64
	v_cmp_gt_u32_e32 vcc, 8, v42
	v_cndmask_b32_e32 v40, v51, v40, vcc
	v_cndmask_b32_e32 v42, v47, v63, vcc
	v_lshlrev_b32_e32 v47, 16, v38
	v_lshlrev_b32_e32 v42, 20, v42
	v_and_b32_e32 v47, 0x80000000, v47
	v_lshl_add_u32 v40, v40, 23, v45
	v_or3_b32 v40, v47, v40, v42
	v_lshrrev_b32_e32 v51, 16, v40
.LBB909_295:                            ;   in Loop: Header=BB909_213 Depth=1
	s_or_b64 exec, exec, s[16:17]
.LBB909_296:                            ;   in Loop: Header=BB909_213 Depth=1
	s_or_b64 exec, exec, s[14:15]
.LBB909_297:                            ;   in Loop: Header=BB909_213 Depth=1
	s_or_b64 exec, exec, s[12:13]
	v_lshrrev_b32_e32 v40, 16, v38
	v_cmp_ne_u16_sdwa s[14:15], v40, v43 src0_sel:BYTE_0 src1_sel:DWORD
	s_and_saveexec_b64 s[12:13], s[14:15]
	s_cbranch_execz .LBB909_303
; %bb.298:                              ;   in Loop: Header=BB909_213 Depth=1
	v_cmp_ne_u16_sdwa s[16:17], v40, s9 src0_sel:BYTE_0 src1_sel:DWORD
	v_mov_b32_e32 v62, 0xffff8000
	s_and_saveexec_b64 s[14:15], s[16:17]
	s_cbranch_execz .LBB909_302
; %bb.299:                              ;   in Loop: Header=BB909_213 Depth=1
	v_bfe_u32 v42, v38, 16, 7
	v_cmp_ne_u32_e32 vcc, s21, v42
	v_mov_b32_e32 v62, 0x7f80
	s_and_saveexec_b64 s[16:17], vcc
	s_cbranch_execz .LBB909_301
; %bb.300:                              ;   in Loop: Header=BB909_213 Depth=1
	v_and_b32_e32 v47, 7, v40
	v_ffbh_u32_e32 v62, v47
	v_min_u32_e32 v65, 32, v62
	v_subrev_u32_e32 v62, 28, v65
	v_lshlrev_b64 v[62:63], v62, v[40:41]
	v_lshrrev_b32_e32 v64, 3, v42
	v_sub_u32_e32 v63, 29, v65
	v_and_b32_e32 v62, 7, v62
	v_cmp_gt_u32_e32 vcc, 8, v42
	v_cndmask_b32_e32 v42, v64, v63, vcc
	v_cndmask_b32_e32 v47, v47, v62, vcc
	v_lshlrev_b32_e32 v40, 24, v40
	v_lshlrev_b32_e32 v47, 20, v47
	v_and_b32_e32 v40, 0x80000000, v40
	v_lshl_add_u32 v42, v42, 23, v45
	v_or3_b32 v40, v40, v42, v47
	v_lshrrev_b32_e32 v62, 16, v40
.LBB909_301:                            ;   in Loop: Header=BB909_213 Depth=1
	s_or_b64 exec, exec, s[16:17]
.LBB909_302:                            ;   in Loop: Header=BB909_213 Depth=1
	s_or_b64 exec, exec, s[14:15]
.LBB909_303:                            ;   in Loop: Header=BB909_213 Depth=1
	s_or_b64 exec, exec, s[12:13]
	v_cmp_lt_u32_e32 vcc, s22, v38
	v_mov_b32_e32 v47, 0
	v_mov_b32_e32 v63, 0
	s_and_saveexec_b64 s[12:13], vcc
	s_cbranch_execz .LBB909_309
; %bb.304:                              ;   in Loop: Header=BB909_213 Depth=1
	v_lshrrev_b32_e32 v40, 24, v38
	v_cmp_ne_u32_e32 vcc, s9, v40
	v_mov_b32_e32 v63, 0xffff8000
	s_and_saveexec_b64 s[14:15], vcc
	s_cbranch_execz .LBB909_308
; %bb.305:                              ;   in Loop: Header=BB909_213 Depth=1
	v_bfe_u32 v38, v38, 24, 7
	v_cmp_ne_u32_e32 vcc, s21, v38
	v_mov_b32_e32 v63, 0x7f80
	s_and_saveexec_b64 s[16:17], vcc
	s_cbranch_execz .LBB909_307
; %bb.306:                              ;   in Loop: Header=BB909_213 Depth=1
	v_and_b32_e32 v42, 7, v40
	v_ffbh_u32_e32 v64, v42
	v_min_u32_e32 v66, 32, v64
	v_subrev_u32_e32 v64, 28, v66
	v_lshlrev_b64 v[64:65], v64, v[40:41]
	v_lshrrev_b32_e32 v63, 3, v38
	v_sub_u32_e32 v65, 29, v66
	v_and_b32_e32 v64, 7, v64
	v_cmp_gt_u32_e32 vcc, 8, v38
	v_cndmask_b32_e32 v38, v63, v65, vcc
	v_cndmask_b32_e32 v42, v42, v64, vcc
	v_lshlrev_b32_e32 v40, 24, v40
	v_lshlrev_b32_e32 v42, 20, v42
	v_and_b32_e32 v40, 0x80000000, v40
	v_lshl_add_u32 v38, v38, 23, v45
	v_or3_b32 v38, v40, v38, v42
	v_lshrrev_b32_e32 v63, 16, v38
.LBB909_307:                            ;   in Loop: Header=BB909_213 Depth=1
	s_or_b64 exec, exec, s[16:17]
.LBB909_308:                            ;   in Loop: Header=BB909_213 Depth=1
	s_or_b64 exec, exec, s[14:15]
.LBB909_309:                            ;   in Loop: Header=BB909_213 Depth=1
	s_or_b64 exec, exec, s[12:13]
	v_perm_b32 v64, v46, v44, s23
	buffer_load_dword v44, v61, s[0:3], 0 offen
	buffer_load_dword v42, v61, s[0:3], 0 offen offset:4
	buffer_load_dword v40, v61, s[0:3], 0 offen offset:8
	;; [unrolled: 1-line block ×3, first 2 shown]
	v_perm_b32 v65, v50, v48, s23
	v_perm_b32 v63, v63, v62, s23
	;; [unrolled: 1-line block ×3, first 2 shown]
	v_mfma_f32_16x16x16bf16_1k v[34:37], v[64:65], v[6:7], v[34:37]
	s_waitcnt vmcnt(3)
	v_cmp_ne_u16_sdwa s[14:15], v44, v43 src0_sel:BYTE_0 src1_sel:DWORD
	v_mfma_f32_16x16x16bf16_1k v[34:37], v[62:63], v[8:9], v[34:37]
	s_and_saveexec_b64 s[12:13], s[14:15]
	s_cbranch_execz .LBB909_315
; %bb.310:                              ;   in Loop: Header=BB909_213 Depth=1
	v_cmp_ne_u16_sdwa s[16:17], v44, s9 src0_sel:BYTE_0 src1_sel:DWORD
	v_mov_b32_e32 v47, 0xffff8000
	s_and_saveexec_b64 s[14:15], s[16:17]
	s_cbranch_execz .LBB909_314
; %bb.311:                              ;   in Loop: Header=BB909_213 Depth=1
	v_and_b32_e32 v46, 0x7f, v44
	v_cmp_ne_u32_e32 vcc, s21, v46
	v_mov_b32_e32 v47, 0x7f80
	s_and_saveexec_b64 s[16:17], vcc
	s_cbranch_execz .LBB909_313
; %bb.312:                              ;   in Loop: Header=BB909_213 Depth=1
	v_and_b32_e32 v47, 7, v44
	v_ffbh_u32_e32 v48, v47
	v_min_u32_e32 v51, 32, v48
	v_subrev_u32_e32 v48, 28, v51
	v_lshlrev_b64 v[48:49], v48, v[44:45]
	v_lshrrev_b32_e32 v50, 3, v46
	v_sub_u32_e32 v49, 29, v51
	v_and_b32_e32 v48, 7, v48
	v_cmp_gt_u32_e32 vcc, 8, v46
	v_cndmask_b32_e32 v46, v50, v49, vcc
	v_cndmask_b32_e32 v47, v47, v48, vcc
	v_lshlrev_b32_e32 v48, 24, v44
	v_lshlrev_b32_e32 v47, 20, v47
	v_and_b32_e32 v48, 0x80000000, v48
	v_lshl_add_u32 v46, v46, 23, v45
	v_or3_b32 v46, v48, v46, v47
	v_lshrrev_b32_e32 v47, 16, v46
.LBB909_313:                            ;   in Loop: Header=BB909_213 Depth=1
	s_or_b64 exec, exec, s[16:17]
.LBB909_314:                            ;   in Loop: Header=BB909_213 Depth=1
	s_or_b64 exec, exec, s[14:15]
.LBB909_315:                            ;   in Loop: Header=BB909_213 Depth=1
	s_or_b64 exec, exec, s[12:13]
	v_lshrrev_b16_e32 v46, 8, v44
	v_cmp_ne_u16_e32 vcc, 0, v46
	v_mov_b32_e32 v49, 0
	v_mov_b32_e32 v48, 0
	s_and_saveexec_b64 s[12:13], vcc
	s_cbranch_execz .LBB909_321
; %bb.316:                              ;   in Loop: Header=BB909_213 Depth=1
	v_cmp_ne_u16_e32 vcc, s9, v46
	v_mov_b32_e32 v48, 0xffff8000
	s_and_saveexec_b64 s[14:15], vcc
	s_cbranch_execz .LBB909_320
; %bb.317:                              ;   in Loop: Header=BB909_213 Depth=1
	v_and_b32_e32 v50, 0x7f, v46
	v_cmp_ne_u32_e32 vcc, s21, v50
	v_mov_b32_e32 v48, 0x7f80
	s_and_saveexec_b64 s[16:17], vcc
	s_cbranch_execz .LBB909_319
; %bb.318:                              ;   in Loop: Header=BB909_213 Depth=1
	v_and_b32_e32 v48, 7, v46
	v_ffbh_u32_e32 v61, v48
	v_min_u32_e32 v61, 32, v61
	v_subrev_u32_e32 v62, 28, v61
	v_lshlrev_b64 v[62:63], v62, v[46:47]
	v_lshrrev_b32_e32 v51, 3, v50
	v_sub_u32_e32 v46, 29, v61
	v_and_b32_e32 v61, 7, v62
	v_cmp_gt_u32_e32 vcc, 8, v50
	v_cndmask_b32_e32 v46, v51, v46, vcc
	v_cndmask_b32_e32 v48, v48, v61, vcc
	v_lshlrev_b32_e32 v50, 16, v44
	v_lshlrev_b32_e32 v48, 20, v48
	v_and_b32_e32 v50, 0x80000000, v50
	v_lshl_add_u32 v46, v46, 23, v45
	v_or3_b32 v46, v50, v46, v48
	v_lshrrev_b32_e32 v48, 16, v46
.LBB909_319:                            ;   in Loop: Header=BB909_213 Depth=1
	s_or_b64 exec, exec, s[16:17]
.LBB909_320:                            ;   in Loop: Header=BB909_213 Depth=1
	s_or_b64 exec, exec, s[14:15]
.LBB909_321:                            ;   in Loop: Header=BB909_213 Depth=1
	s_or_b64 exec, exec, s[12:13]
	v_lshrrev_b32_e32 v46, 16, v44
	v_cmp_ne_u16_sdwa s[14:15], v46, v43 src0_sel:BYTE_0 src1_sel:DWORD
	s_and_saveexec_b64 s[12:13], s[14:15]
	s_cbranch_execz .LBB909_327
; %bb.322:                              ;   in Loop: Header=BB909_213 Depth=1
	v_cmp_ne_u16_sdwa s[16:17], v46, s9 src0_sel:BYTE_0 src1_sel:DWORD
	v_mov_b32_e32 v49, 0xffff8000
	s_and_saveexec_b64 s[14:15], s[16:17]
	s_cbranch_execz .LBB909_326
; %bb.323:                              ;   in Loop: Header=BB909_213 Depth=1
	v_bfe_u32 v50, v44, 16, 7
	v_cmp_ne_u32_e32 vcc, s21, v50
	v_mov_b32_e32 v49, 0x7f80
	s_and_saveexec_b64 s[16:17], vcc
	s_cbranch_execz .LBB909_325
; %bb.324:                              ;   in Loop: Header=BB909_213 Depth=1
	v_and_b32_e32 v49, 7, v46
	v_ffbh_u32_e32 v61, v49
	v_min_u32_e32 v61, 32, v61
	v_subrev_u32_e32 v62, 28, v61
	v_lshlrev_b64 v[62:63], v62, v[46:47]
	v_lshrrev_b32_e32 v51, 3, v50
	v_sub_u32_e32 v61, 29, v61
	v_and_b32_e32 v62, 7, v62
	v_cmp_gt_u32_e32 vcc, 8, v50
	v_cndmask_b32_e32 v50, v51, v61, vcc
	v_cndmask_b32_e32 v49, v49, v62, vcc
	v_lshlrev_b32_e32 v46, 24, v46
	v_lshlrev_b32_e32 v49, 20, v49
	v_and_b32_e32 v46, 0x80000000, v46
	v_lshl_add_u32 v50, v50, 23, v45
	v_or3_b32 v46, v46, v50, v49
	v_lshrrev_b32_e32 v49, 16, v46
.LBB909_325:                            ;   in Loop: Header=BB909_213 Depth=1
	s_or_b64 exec, exec, s[16:17]
.LBB909_326:                            ;   in Loop: Header=BB909_213 Depth=1
	s_or_b64 exec, exec, s[14:15]
.LBB909_327:                            ;   in Loop: Header=BB909_213 Depth=1
	s_or_b64 exec, exec, s[12:13]
	v_cmp_lt_u32_e32 vcc, s22, v44
	v_mov_b32_e32 v50, 0
	v_mov_b32_e32 v51, 0
	s_and_saveexec_b64 s[12:13], vcc
	s_cbranch_execz .LBB909_333
; %bb.328:                              ;   in Loop: Header=BB909_213 Depth=1
	v_lshrrev_b32_e32 v46, 24, v44
	v_cmp_ne_u32_e32 vcc, s9, v46
	v_mov_b32_e32 v51, 0xffff8000
	s_and_saveexec_b64 s[14:15], vcc
	s_cbranch_execz .LBB909_332
; %bb.329:                              ;   in Loop: Header=BB909_213 Depth=1
	v_bfe_u32 v44, v44, 24, 7
	v_cmp_ne_u32_e32 vcc, s21, v44
	v_mov_b32_e32 v51, 0x7f80
	s_and_saveexec_b64 s[16:17], vcc
	s_cbranch_execz .LBB909_331
; %bb.330:                              ;   in Loop: Header=BB909_213 Depth=1
	v_and_b32_e32 v51, 7, v46
	v_ffbh_u32_e32 v62, v51
	v_min_u32_e32 v64, 32, v62
	v_subrev_u32_e32 v62, 28, v64
	v_lshlrev_b64 v[62:63], v62, v[46:47]
	v_lshrrev_b32_e32 v61, 3, v44
	v_sub_u32_e32 v63, 29, v64
	v_and_b32_e32 v62, 7, v62
	v_cmp_gt_u32_e32 vcc, 8, v44
	v_cndmask_b32_e32 v44, v61, v63, vcc
	v_cndmask_b32_e32 v51, v51, v62, vcc
	v_lshlrev_b32_e32 v46, 24, v46
	v_lshlrev_b32_e32 v51, 20, v51
	v_and_b32_e32 v46, 0x80000000, v46
	v_lshl_add_u32 v44, v44, 23, v45
	v_or3_b32 v44, v46, v44, v51
	v_lshrrev_b32_e32 v51, 16, v44
.LBB909_331:                            ;   in Loop: Header=BB909_213 Depth=1
	s_or_b64 exec, exec, s[16:17]
.LBB909_332:                            ;   in Loop: Header=BB909_213 Depth=1
	s_or_b64 exec, exec, s[14:15]
.LBB909_333:                            ;   in Loop: Header=BB909_213 Depth=1
	s_or_b64 exec, exec, s[12:13]
	s_waitcnt vmcnt(2)
	v_cmp_ne_u16_sdwa s[14:15], v42, v43 src0_sel:BYTE_0 src1_sel:DWORD
	s_and_saveexec_b64 s[12:13], s[14:15]
	s_cbranch_execz .LBB909_339
; %bb.334:                              ;   in Loop: Header=BB909_213 Depth=1
	v_cmp_ne_u16_sdwa s[16:17], v42, s9 src0_sel:BYTE_0 src1_sel:DWORD
	v_mov_b32_e32 v50, 0xffff8000
	s_and_saveexec_b64 s[14:15], s[16:17]
	s_cbranch_execz .LBB909_338
; %bb.335:                              ;   in Loop: Header=BB909_213 Depth=1
	v_and_b32_e32 v44, 0x7f, v42
	v_cmp_ne_u32_e32 vcc, s21, v44
	v_mov_b32_e32 v50, 0x7f80
	s_and_saveexec_b64 s[16:17], vcc
	s_cbranch_execz .LBB909_337
; %bb.336:                              ;   in Loop: Header=BB909_213 Depth=1
	v_and_b32_e32 v46, 7, v42
	v_ffbh_u32_e32 v61, v46
	v_min_u32_e32 v61, 32, v61
	v_subrev_u32_e32 v62, 28, v61
	v_lshlrev_b64 v[62:63], v62, v[42:43]
	v_lshrrev_b32_e32 v50, 3, v44
	v_sub_u32_e32 v61, 29, v61
	v_and_b32_e32 v62, 7, v62
	v_cmp_gt_u32_e32 vcc, 8, v44
	v_cndmask_b32_e32 v44, v50, v61, vcc
	v_cndmask_b32_e32 v46, v46, v62, vcc
	v_lshlrev_b32_e32 v50, 24, v42
	v_lshlrev_b32_e32 v46, 20, v46
	v_and_b32_e32 v50, 0x80000000, v50
	v_lshl_add_u32 v44, v44, 23, v45
	v_or3_b32 v44, v50, v44, v46
	v_lshrrev_b32_e32 v50, 16, v44
.LBB909_337:                            ;   in Loop: Header=BB909_213 Depth=1
	s_or_b64 exec, exec, s[16:17]
.LBB909_338:                            ;   in Loop: Header=BB909_213 Depth=1
	s_or_b64 exec, exec, s[14:15]
.LBB909_339:                            ;   in Loop: Header=BB909_213 Depth=1
	s_or_b64 exec, exec, s[12:13]
	v_lshrrev_b16_e32 v44, 8, v42
	v_cmp_ne_u16_e32 vcc, 0, v44
	v_mov_b32_e32 v62, 0
	v_mov_b32_e32 v61, 0
	s_and_saveexec_b64 s[12:13], vcc
	s_cbranch_execz .LBB909_345
; %bb.340:                              ;   in Loop: Header=BB909_213 Depth=1
	v_cmp_ne_u16_e32 vcc, s9, v44
	v_mov_b32_e32 v61, 0xffff8000
	s_and_saveexec_b64 s[14:15], vcc
	s_cbranch_execz .LBB909_344
; %bb.341:                              ;   in Loop: Header=BB909_213 Depth=1
	v_and_b32_e32 v46, 0x7f, v44
	v_cmp_ne_u32_e32 vcc, s21, v46
	v_mov_b32_e32 v61, 0x7f80
	s_and_saveexec_b64 s[16:17], vcc
	s_cbranch_execz .LBB909_343
; %bb.342:                              ;   in Loop: Header=BB909_213 Depth=1
	v_and_b32_e32 v61, 7, v44
	v_ffbh_u32_e32 v64, v61
	v_min_u32_e32 v66, 32, v64
	v_subrev_u32_e32 v64, 28, v66
	v_lshlrev_b64 v[64:65], v64, v[44:45]
	v_lshrrev_b32_e32 v63, 3, v46
	v_sub_u32_e32 v44, 29, v66
	v_and_b32_e32 v64, 7, v64
	v_cmp_gt_u32_e32 vcc, 8, v46
	v_cndmask_b32_e32 v44, v63, v44, vcc
	v_cndmask_b32_e32 v46, v61, v64, vcc
	v_lshlrev_b32_e32 v61, 16, v42
	v_lshlrev_b32_e32 v46, 20, v46
	v_and_b32_e32 v61, 0x80000000, v61
	v_lshl_add_u32 v44, v44, 23, v45
	v_or3_b32 v44, v61, v44, v46
	v_lshrrev_b32_e32 v61, 16, v44
.LBB909_343:                            ;   in Loop: Header=BB909_213 Depth=1
	s_or_b64 exec, exec, s[16:17]
.LBB909_344:                            ;   in Loop: Header=BB909_213 Depth=1
	s_or_b64 exec, exec, s[14:15]
.LBB909_345:                            ;   in Loop: Header=BB909_213 Depth=1
	s_or_b64 exec, exec, s[12:13]
	v_lshrrev_b32_e32 v44, 16, v42
	v_cmp_ne_u16_sdwa s[14:15], v44, v43 src0_sel:BYTE_0 src1_sel:DWORD
	s_and_saveexec_b64 s[12:13], s[14:15]
	s_cbranch_execz .LBB909_351
; %bb.346:                              ;   in Loop: Header=BB909_213 Depth=1
	v_cmp_ne_u16_sdwa s[16:17], v44, s9 src0_sel:BYTE_0 src1_sel:DWORD
	v_mov_b32_e32 v62, 0xffff8000
	s_and_saveexec_b64 s[14:15], s[16:17]
	s_cbranch_execz .LBB909_350
; %bb.347:                              ;   in Loop: Header=BB909_213 Depth=1
	v_bfe_u32 v46, v42, 16, 7
	v_cmp_ne_u32_e32 vcc, s21, v46
	v_mov_b32_e32 v62, 0x7f80
	s_and_saveexec_b64 s[16:17], vcc
	s_cbranch_execz .LBB909_349
; %bb.348:                              ;   in Loop: Header=BB909_213 Depth=1
	v_and_b32_e32 v64, 7, v44
	v_ffbh_u32_e32 v62, v64
	v_min_u32_e32 v66, 32, v62
	v_subrev_u32_e32 v62, 28, v66
	v_lshlrev_b64 v[62:63], v62, v[44:45]
	v_lshrrev_b32_e32 v65, 3, v46
	v_sub_u32_e32 v63, 29, v66
	v_and_b32_e32 v62, 7, v62
	v_cmp_gt_u32_e32 vcc, 8, v46
	v_cndmask_b32_e32 v46, v65, v63, vcc
	v_cndmask_b32_e32 v62, v64, v62, vcc
	v_lshlrev_b32_e32 v44, 24, v44
	v_lshlrev_b32_e32 v62, 20, v62
	v_and_b32_e32 v44, 0x80000000, v44
	v_lshl_add_u32 v46, v46, 23, v45
	v_or3_b32 v44, v44, v46, v62
	v_lshrrev_b32_e32 v62, 16, v44
.LBB909_349:                            ;   in Loop: Header=BB909_213 Depth=1
	s_or_b64 exec, exec, s[16:17]
.LBB909_350:                            ;   in Loop: Header=BB909_213 Depth=1
	s_or_b64 exec, exec, s[14:15]
.LBB909_351:                            ;   in Loop: Header=BB909_213 Depth=1
	s_or_b64 exec, exec, s[12:13]
	v_cmp_lt_u32_e32 vcc, s22, v42
	v_mov_b32_e32 v46, 0
	v_mov_b32_e32 v63, 0
	s_and_saveexec_b64 s[12:13], vcc
	s_cbranch_execz .LBB909_357
; %bb.352:                              ;   in Loop: Header=BB909_213 Depth=1
	v_lshrrev_b32_e32 v44, 24, v42
	v_cmp_ne_u32_e32 vcc, s9, v44
	v_mov_b32_e32 v63, 0xffff8000
	s_and_saveexec_b64 s[14:15], vcc
	s_cbranch_execz .LBB909_356
; %bb.353:                              ;   in Loop: Header=BB909_213 Depth=1
	v_bfe_u32 v42, v42, 24, 7
	v_cmp_ne_u32_e32 vcc, s21, v42
	v_mov_b32_e32 v63, 0x7f80
	s_and_saveexec_b64 s[16:17], vcc
	s_cbranch_execz .LBB909_355
; %bb.354:                              ;   in Loop: Header=BB909_213 Depth=1
	v_and_b32_e32 v63, 7, v44
	v_ffbh_u32_e32 v64, v63
	v_min_u32_e32 v67, 32, v64
	v_subrev_u32_e32 v64, 28, v67
	v_lshlrev_b64 v[64:65], v64, v[44:45]
	v_lshrrev_b32_e32 v66, 3, v42
	v_sub_u32_e32 v65, 29, v67
	v_and_b32_e32 v64, 7, v64
	v_cmp_gt_u32_e32 vcc, 8, v42
	v_cndmask_b32_e32 v42, v66, v65, vcc
	v_cndmask_b32_e32 v63, v63, v64, vcc
	v_lshlrev_b32_e32 v44, 24, v44
	v_lshlrev_b32_e32 v63, 20, v63
	v_and_b32_e32 v44, 0x80000000, v44
	v_lshl_add_u32 v42, v42, 23, v45
	v_or3_b32 v42, v44, v42, v63
	v_lshrrev_b32_e32 v63, 16, v42
.LBB909_355:                            ;   in Loop: Header=BB909_213 Depth=1
	s_or_b64 exec, exec, s[16:17]
.LBB909_356:                            ;   in Loop: Header=BB909_213 Depth=1
	s_or_b64 exec, exec, s[14:15]
.LBB909_357:                            ;   in Loop: Header=BB909_213 Depth=1
	s_or_b64 exec, exec, s[12:13]
	v_perm_b32 v49, v51, v49, s23
	v_perm_b32 v48, v48, v47, s23
	s_waitcnt vmcnt(1)
	v_cmp_ne_u16_sdwa s[14:15], v40, v43 src0_sel:BYTE_0 src1_sel:DWORD
	v_mfma_f32_16x16x16bf16_1k v[34:37], v[48:49], v[10:11], v[34:37]
	v_perm_b32 v49, v63, v62, s23
	v_perm_b32 v48, v61, v50, s23
	s_nop 1
	v_mfma_f32_16x16x16bf16_1k v[34:37], v[48:49], v[12:13], v[34:37]
	s_and_saveexec_b64 s[12:13], s[14:15]
	s_cbranch_execz .LBB909_363
; %bb.358:                              ;   in Loop: Header=BB909_213 Depth=1
	v_cmp_ne_u16_sdwa s[16:17], v40, s9 src0_sel:BYTE_0 src1_sel:DWORD
	v_mov_b32_e32 v46, 0xffff8000
	s_and_saveexec_b64 s[14:15], s[16:17]
	s_cbranch_execz .LBB909_362
; %bb.359:                              ;   in Loop: Header=BB909_213 Depth=1
	v_and_b32_e32 v42, 0x7f, v40
	v_cmp_ne_u32_e32 vcc, s21, v42
	v_mov_b32_e32 v46, 0x7f80
	s_and_saveexec_b64 s[16:17], vcc
	s_cbranch_execz .LBB909_361
; %bb.360:                              ;   in Loop: Header=BB909_213 Depth=1
	v_and_b32_e32 v44, 7, v40
	v_ffbh_u32_e32 v46, v44
	v_min_u32_e32 v49, 32, v46
	v_subrev_u32_e32 v46, 28, v49
	v_lshlrev_b64 v[46:47], v46, v[40:41]
	v_lshrrev_b32_e32 v48, 3, v42
	v_sub_u32_e32 v47, 29, v49
	v_and_b32_e32 v46, 7, v46
	v_cmp_gt_u32_e32 vcc, 8, v42
	v_cndmask_b32_e32 v42, v48, v47, vcc
	v_cndmask_b32_e32 v44, v44, v46, vcc
	v_lshlrev_b32_e32 v46, 24, v40
	v_lshlrev_b32_e32 v44, 20, v44
	v_and_b32_e32 v46, 0x80000000, v46
	v_lshl_add_u32 v42, v42, 23, v45
	v_or3_b32 v42, v46, v42, v44
	v_lshrrev_b32_e32 v46, 16, v42
.LBB909_361:                            ;   in Loop: Header=BB909_213 Depth=1
	s_or_b64 exec, exec, s[16:17]
.LBB909_362:                            ;   in Loop: Header=BB909_213 Depth=1
	s_or_b64 exec, exec, s[14:15]
.LBB909_363:                            ;   in Loop: Header=BB909_213 Depth=1
	s_or_b64 exec, exec, s[12:13]
	v_lshrrev_b16_e32 v42, 8, v40
	v_cmp_ne_u16_e32 vcc, 0, v42
	v_mov_b32_e32 v48, 0
	v_mov_b32_e32 v44, 0
	s_and_saveexec_b64 s[12:13], vcc
	s_cbranch_execz .LBB909_369
; %bb.364:                              ;   in Loop: Header=BB909_213 Depth=1
	v_cmp_ne_u16_e32 vcc, s9, v42
	v_mov_b32_e32 v44, 0xffff8000
	s_and_saveexec_b64 s[14:15], vcc
	s_cbranch_execz .LBB909_368
; %bb.365:                              ;   in Loop: Header=BB909_213 Depth=1
	v_and_b32_e32 v47, 0x7f, v42
	v_cmp_ne_u32_e32 vcc, s21, v47
	v_mov_b32_e32 v44, 0x7f80
	s_and_saveexec_b64 s[16:17], vcc
	s_cbranch_execz .LBB909_367
; %bb.366:                              ;   in Loop: Header=BB909_213 Depth=1
	v_and_b32_e32 v44, 7, v42
	v_ffbh_u32_e32 v50, v44
	v_min_u32_e32 v61, 32, v50
	v_subrev_u32_e32 v50, 28, v61
	v_lshlrev_b64 v[50:51], v50, v[42:43]
	v_lshrrev_b32_e32 v49, 3, v47
	v_sub_u32_e32 v42, 29, v61
	v_and_b32_e32 v50, 7, v50
	v_cmp_gt_u32_e32 vcc, 8, v47
	v_cndmask_b32_e32 v42, v49, v42, vcc
	v_cndmask_b32_e32 v44, v44, v50, vcc
	v_lshlrev_b32_e32 v47, 16, v40
	v_lshlrev_b32_e32 v44, 20, v44
	v_and_b32_e32 v47, 0x80000000, v47
	v_lshl_add_u32 v42, v42, 23, v45
	v_or3_b32 v42, v47, v42, v44
	v_lshrrev_b32_e32 v44, 16, v42
.LBB909_367:                            ;   in Loop: Header=BB909_213 Depth=1
	s_or_b64 exec, exec, s[16:17]
.LBB909_368:                            ;   in Loop: Header=BB909_213 Depth=1
	s_or_b64 exec, exec, s[14:15]
.LBB909_369:                            ;   in Loop: Header=BB909_213 Depth=1
	s_or_b64 exec, exec, s[12:13]
	v_lshrrev_b32_e32 v42, 16, v40
	v_cmp_ne_u16_sdwa s[14:15], v42, v43 src0_sel:BYTE_0 src1_sel:DWORD
	s_and_saveexec_b64 s[12:13], s[14:15]
	s_cbranch_execz .LBB909_375
; %bb.370:                              ;   in Loop: Header=BB909_213 Depth=1
	v_cmp_ne_u16_sdwa s[16:17], v42, s9 src0_sel:BYTE_0 src1_sel:DWORD
	v_mov_b32_e32 v48, 0xffff8000
	s_and_saveexec_b64 s[14:15], s[16:17]
	s_cbranch_execz .LBB909_374
; %bb.371:                              ;   in Loop: Header=BB909_213 Depth=1
	v_bfe_u32 v47, v40, 16, 7
	v_cmp_ne_u32_e32 vcc, s21, v47
	v_mov_b32_e32 v48, 0x7f80
	s_and_saveexec_b64 s[16:17], vcc
	s_cbranch_execz .LBB909_373
; %bb.372:                              ;   in Loop: Header=BB909_213 Depth=1
	v_and_b32_e32 v50, 7, v42
	v_ffbh_u32_e32 v48, v50
	v_min_u32_e32 v61, 32, v48
	v_subrev_u32_e32 v48, 28, v61
	v_lshlrev_b64 v[48:49], v48, v[42:43]
	v_lshrrev_b32_e32 v51, 3, v47
	v_sub_u32_e32 v49, 29, v61
	v_and_b32_e32 v48, 7, v48
	v_cmp_gt_u32_e32 vcc, 8, v47
	v_cndmask_b32_e32 v47, v51, v49, vcc
	v_cndmask_b32_e32 v48, v50, v48, vcc
	v_lshlrev_b32_e32 v42, 24, v42
	v_lshlrev_b32_e32 v48, 20, v48
	v_and_b32_e32 v42, 0x80000000, v42
	v_lshl_add_u32 v47, v47, 23, v45
	v_or3_b32 v42, v42, v47, v48
	v_lshrrev_b32_e32 v48, 16, v42
.LBB909_373:                            ;   in Loop: Header=BB909_213 Depth=1
	s_or_b64 exec, exec, s[16:17]
.LBB909_374:                            ;   in Loop: Header=BB909_213 Depth=1
	s_or_b64 exec, exec, s[14:15]
.LBB909_375:                            ;   in Loop: Header=BB909_213 Depth=1
	s_or_b64 exec, exec, s[12:13]
	v_cmp_lt_u32_e32 vcc, s22, v40
	v_mov_b32_e32 v49, 0
	v_mov_b32_e32 v50, 0
	s_and_saveexec_b64 s[12:13], vcc
	s_cbranch_execz .LBB909_381
; %bb.376:                              ;   in Loop: Header=BB909_213 Depth=1
	v_lshrrev_b32_e32 v42, 24, v40
	v_cmp_ne_u32_e32 vcc, s9, v42
	v_mov_b32_e32 v50, 0xffff8000
	s_and_saveexec_b64 s[14:15], vcc
	s_cbranch_execz .LBB909_380
; %bb.377:                              ;   in Loop: Header=BB909_213 Depth=1
	v_bfe_u32 v40, v40, 24, 7
	v_cmp_ne_u32_e32 vcc, s21, v40
	v_mov_b32_e32 v50, 0x7f80
	s_and_saveexec_b64 s[16:17], vcc
	s_cbranch_execz .LBB909_379
; %bb.378:                              ;   in Loop: Header=BB909_213 Depth=1
	v_and_b32_e32 v47, 7, v42
	v_ffbh_u32_e32 v50, v47
	v_min_u32_e32 v62, 32, v50
	v_subrev_u32_e32 v50, 28, v62
	v_lshlrev_b64 v[50:51], v50, v[42:43]
	v_lshrrev_b32_e32 v61, 3, v40
	v_sub_u32_e32 v51, 29, v62
	v_and_b32_e32 v50, 7, v50
	v_cmp_gt_u32_e32 vcc, 8, v40
	v_cndmask_b32_e32 v40, v61, v51, vcc
	v_cndmask_b32_e32 v47, v47, v50, vcc
	v_lshlrev_b32_e32 v42, 24, v42
	v_lshlrev_b32_e32 v47, 20, v47
	v_and_b32_e32 v42, 0x80000000, v42
	v_lshl_add_u32 v40, v40, 23, v45
	v_or3_b32 v40, v42, v40, v47
	v_lshrrev_b32_e32 v50, 16, v40
.LBB909_379:                            ;   in Loop: Header=BB909_213 Depth=1
	s_or_b64 exec, exec, s[16:17]
.LBB909_380:                            ;   in Loop: Header=BB909_213 Depth=1
	s_or_b64 exec, exec, s[14:15]
.LBB909_381:                            ;   in Loop: Header=BB909_213 Depth=1
	s_or_b64 exec, exec, s[12:13]
	s_waitcnt vmcnt(0)
	v_cmp_ne_u16_sdwa s[14:15], v38, v43 src0_sel:BYTE_0 src1_sel:DWORD
	s_and_saveexec_b64 s[12:13], s[14:15]
	s_cbranch_execz .LBB909_387
; %bb.382:                              ;   in Loop: Header=BB909_213 Depth=1
	v_cmp_ne_u16_sdwa s[16:17], v38, s9 src0_sel:BYTE_0 src1_sel:DWORD
	v_mov_b32_e32 v49, 0xffff8000
	s_and_saveexec_b64 s[14:15], s[16:17]
	s_cbranch_execz .LBB909_386
; %bb.383:                              ;   in Loop: Header=BB909_213 Depth=1
	v_and_b32_e32 v40, 0x7f, v38
	v_cmp_ne_u32_e32 vcc, s21, v40
	v_mov_b32_e32 v49, 0x7f80
	s_and_saveexec_b64 s[16:17], vcc
	s_cbranch_execz .LBB909_385
; %bb.384:                              ;   in Loop: Header=BB909_213 Depth=1
	v_and_b32_e32 v42, 7, v38
	v_ffbh_u32_e32 v49, v42
	v_min_u32_e32 v49, 32, v49
	v_subrev_u32_e32 v51, 28, v49
	v_lshlrev_b64 v[62:63], v51, v[38:39]
	v_lshrrev_b32_e32 v47, 3, v40
	v_sub_u32_e32 v49, 29, v49
	v_and_b32_e32 v51, 7, v62
	v_cmp_gt_u32_e32 vcc, 8, v40
	v_cndmask_b32_e32 v40, v47, v49, vcc
	v_cndmask_b32_e32 v42, v42, v51, vcc
	v_lshlrev_b32_e32 v47, 24, v38
	v_lshlrev_b32_e32 v42, 20, v42
	v_and_b32_e32 v47, 0x80000000, v47
	v_lshl_add_u32 v40, v40, 23, v45
	v_or3_b32 v40, v47, v40, v42
	v_lshrrev_b32_e32 v49, 16, v40
.LBB909_385:                            ;   in Loop: Header=BB909_213 Depth=1
	s_or_b64 exec, exec, s[16:17]
.LBB909_386:                            ;   in Loop: Header=BB909_213 Depth=1
	s_or_b64 exec, exec, s[14:15]
.LBB909_387:                            ;   in Loop: Header=BB909_213 Depth=1
	s_or_b64 exec, exec, s[12:13]
	v_lshrrev_b16_e32 v40, 8, v38
	v_cmp_ne_u16_e32 vcc, 0, v40
	v_mov_b32_e32 v61, 0
	v_mov_b32_e32 v51, 0
	s_and_saveexec_b64 s[12:13], vcc
	s_cbranch_execz .LBB909_393
; %bb.388:                              ;   in Loop: Header=BB909_213 Depth=1
	v_cmp_ne_u16_e32 vcc, s9, v40
	v_mov_b32_e32 v51, 0xffff8000
	s_and_saveexec_b64 s[14:15], vcc
	s_cbranch_execz .LBB909_392
; %bb.389:                              ;   in Loop: Header=BB909_213 Depth=1
	v_and_b32_e32 v42, 0x7f, v40
	v_cmp_ne_u32_e32 vcc, s21, v42
	v_mov_b32_e32 v51, 0x7f80
	s_and_saveexec_b64 s[16:17], vcc
	s_cbranch_execz .LBB909_391
; %bb.390:                              ;   in Loop: Header=BB909_213 Depth=1
	v_and_b32_e32 v47, 7, v40
	v_ffbh_u32_e32 v62, v47
	v_min_u32_e32 v64, 32, v62
	v_subrev_u32_e32 v62, 28, v64
	v_lshlrev_b64 v[62:63], v62, v[40:41]
	v_lshrrev_b32_e32 v51, 3, v42
	v_sub_u32_e32 v40, 29, v64
	v_and_b32_e32 v62, 7, v62
	v_cmp_gt_u32_e32 vcc, 8, v42
	v_cndmask_b32_e32 v40, v51, v40, vcc
	v_cndmask_b32_e32 v42, v47, v62, vcc
	v_lshlrev_b32_e32 v47, 16, v38
	v_lshlrev_b32_e32 v42, 20, v42
	v_and_b32_e32 v47, 0x80000000, v47
	v_lshl_add_u32 v40, v40, 23, v45
	v_or3_b32 v40, v47, v40, v42
	v_lshrrev_b32_e32 v51, 16, v40
.LBB909_391:                            ;   in Loop: Header=BB909_213 Depth=1
	s_or_b64 exec, exec, s[16:17]
.LBB909_392:                            ;   in Loop: Header=BB909_213 Depth=1
	s_or_b64 exec, exec, s[14:15]
.LBB909_393:                            ;   in Loop: Header=BB909_213 Depth=1
	s_or_b64 exec, exec, s[12:13]
	v_lshrrev_b32_e32 v40, 16, v38
	v_cmp_ne_u16_sdwa s[14:15], v40, v43 src0_sel:BYTE_0 src1_sel:DWORD
	s_and_saveexec_b64 s[12:13], s[14:15]
	s_cbranch_execz .LBB909_399
; %bb.394:                              ;   in Loop: Header=BB909_213 Depth=1
	v_cmp_ne_u16_sdwa s[16:17], v40, s9 src0_sel:BYTE_0 src1_sel:DWORD
	v_mov_b32_e32 v61, 0xffff8000
	s_and_saveexec_b64 s[14:15], s[16:17]
	s_cbranch_execz .LBB909_398
; %bb.395:                              ;   in Loop: Header=BB909_213 Depth=1
	v_bfe_u32 v42, v38, 16, 7
	v_cmp_ne_u32_e32 vcc, s21, v42
	v_mov_b32_e32 v61, 0x7f80
	s_and_saveexec_b64 s[16:17], vcc
	s_cbranch_execz .LBB909_397
; %bb.396:                              ;   in Loop: Header=BB909_213 Depth=1
	v_and_b32_e32 v47, 7, v40
	v_ffbh_u32_e32 v62, v47
	v_min_u32_e32 v64, 32, v62
	v_subrev_u32_e32 v62, 28, v64
	v_lshlrev_b64 v[62:63], v62, v[40:41]
	v_lshrrev_b32_e32 v61, 3, v42
	v_sub_u32_e32 v63, 29, v64
	v_and_b32_e32 v62, 7, v62
	v_cmp_gt_u32_e32 vcc, 8, v42
	v_cndmask_b32_e32 v42, v61, v63, vcc
	v_cndmask_b32_e32 v47, v47, v62, vcc
	v_lshlrev_b32_e32 v40, 24, v40
	v_lshlrev_b32_e32 v47, 20, v47
	v_and_b32_e32 v40, 0x80000000, v40
	v_lshl_add_u32 v42, v42, 23, v45
	v_or3_b32 v40, v40, v42, v47
	v_lshrrev_b32_e32 v61, 16, v40
.LBB909_397:                            ;   in Loop: Header=BB909_213 Depth=1
	s_or_b64 exec, exec, s[16:17]
.LBB909_398:                            ;   in Loop: Header=BB909_213 Depth=1
	s_or_b64 exec, exec, s[14:15]
.LBB909_399:                            ;   in Loop: Header=BB909_213 Depth=1
	s_or_b64 exec, exec, s[12:13]
	v_cmp_lt_u32_e32 vcc, s22, v38
	v_mov_b32_e32 v47, 0
	v_mov_b32_e32 v62, 0
	s_and_saveexec_b64 s[12:13], vcc
	s_cbranch_execz .LBB909_405
; %bb.400:                              ;   in Loop: Header=BB909_213 Depth=1
	v_lshrrev_b32_e32 v40, 24, v38
	v_cmp_ne_u32_e32 vcc, s9, v40
	v_mov_b32_e32 v62, 0xffff8000
	s_and_saveexec_b64 s[14:15], vcc
	s_cbranch_execz .LBB909_404
; %bb.401:                              ;   in Loop: Header=BB909_213 Depth=1
	v_bfe_u32 v38, v38, 24, 7
	v_cmp_ne_u32_e32 vcc, s21, v38
	v_mov_b32_e32 v62, 0x7f80
	s_and_saveexec_b64 s[16:17], vcc
	s_cbranch_execz .LBB909_403
; %bb.402:                              ;   in Loop: Header=BB909_213 Depth=1
	v_and_b32_e32 v42, 7, v40
	v_ffbh_u32_e32 v62, v42
	v_min_u32_e32 v65, 32, v62
	v_subrev_u32_e32 v62, 28, v65
	v_lshlrev_b64 v[62:63], v62, v[40:41]
	v_lshrrev_b32_e32 v64, 3, v38
	v_sub_u32_e32 v63, 29, v65
	v_and_b32_e32 v62, 7, v62
	v_cmp_gt_u32_e32 vcc, 8, v38
	v_cndmask_b32_e32 v38, v64, v63, vcc
	v_cndmask_b32_e32 v42, v42, v62, vcc
	v_lshlrev_b32_e32 v40, 24, v40
	v_lshlrev_b32_e32 v42, 20, v42
	v_and_b32_e32 v40, 0x80000000, v40
	v_lshl_add_u32 v38, v38, 23, v45
	v_or3_b32 v38, v40, v38, v42
	v_lshrrev_b32_e32 v62, 16, v38
.LBB909_403:                            ;   in Loop: Header=BB909_213 Depth=1
	s_or_b64 exec, exec, s[16:17]
.LBB909_404:                            ;   in Loop: Header=BB909_213 Depth=1
	s_or_b64 exec, exec, s[14:15]
.LBB909_405:                            ;   in Loop: Header=BB909_213 Depth=1
	s_or_b64 exec, exec, s[12:13]
	v_perm_b32 v64, v44, v46, s23
	buffer_load_dword v44, v60, s[0:3], 0 offen
	buffer_load_dword v42, v60, s[0:3], 0 offen offset:4
	buffer_load_dword v40, v60, s[0:3], 0 offen offset:8
	buffer_load_dword v38, v60, s[0:3], 0 offen offset:12
	v_perm_b32 v65, v50, v48, s23
	v_perm_b32 v61, v62, v61, s23
	;; [unrolled: 1-line block ×3, first 2 shown]
	v_mfma_f32_16x16x16bf16_1k v[34:37], v[64:65], v[14:15], v[34:37]
	s_waitcnt vmcnt(3)
	v_cmp_ne_u16_sdwa s[14:15], v44, v43 src0_sel:BYTE_0 src1_sel:DWORD
	v_mfma_f32_16x16x16bf16_1k v[34:37], v[60:61], v[16:17], v[34:37]
	s_and_saveexec_b64 s[12:13], s[14:15]
	s_cbranch_execz .LBB909_411
; %bb.406:                              ;   in Loop: Header=BB909_213 Depth=1
	v_cmp_ne_u16_sdwa s[16:17], v44, s9 src0_sel:BYTE_0 src1_sel:DWORD
	v_mov_b32_e32 v47, 0xffff8000
	s_and_saveexec_b64 s[14:15], s[16:17]
	s_cbranch_execz .LBB909_410
; %bb.407:                              ;   in Loop: Header=BB909_213 Depth=1
	v_and_b32_e32 v46, 0x7f, v44
	v_cmp_ne_u32_e32 vcc, s21, v46
	v_mov_b32_e32 v47, 0x7f80
	s_and_saveexec_b64 s[16:17], vcc
	s_cbranch_execz .LBB909_409
; %bb.408:                              ;   in Loop: Header=BB909_213 Depth=1
	v_and_b32_e32 v47, 7, v44
	v_ffbh_u32_e32 v48, v47
	v_min_u32_e32 v51, 32, v48
	v_subrev_u32_e32 v48, 28, v51
	v_lshlrev_b64 v[48:49], v48, v[44:45]
	v_lshrrev_b32_e32 v50, 3, v46
	v_sub_u32_e32 v49, 29, v51
	v_and_b32_e32 v48, 7, v48
	v_cmp_gt_u32_e32 vcc, 8, v46
	v_cndmask_b32_e32 v46, v50, v49, vcc
	v_cndmask_b32_e32 v47, v47, v48, vcc
	v_lshlrev_b32_e32 v48, 24, v44
	v_lshlrev_b32_e32 v47, 20, v47
	v_and_b32_e32 v48, 0x80000000, v48
	v_lshl_add_u32 v46, v46, 23, v45
	v_or3_b32 v46, v48, v46, v47
	v_lshrrev_b32_e32 v47, 16, v46
.LBB909_409:                            ;   in Loop: Header=BB909_213 Depth=1
	s_or_b64 exec, exec, s[16:17]
.LBB909_410:                            ;   in Loop: Header=BB909_213 Depth=1
	s_or_b64 exec, exec, s[14:15]
.LBB909_411:                            ;   in Loop: Header=BB909_213 Depth=1
	s_or_b64 exec, exec, s[12:13]
	v_lshrrev_b16_e32 v46, 8, v44
	v_cmp_ne_u16_e32 vcc, 0, v46
	v_mov_b32_e32 v49, 0
	v_mov_b32_e32 v48, 0
	s_and_saveexec_b64 s[12:13], vcc
	s_cbranch_execz .LBB909_417
; %bb.412:                              ;   in Loop: Header=BB909_213 Depth=1
	v_cmp_ne_u16_e32 vcc, s9, v46
	v_mov_b32_e32 v48, 0xffff8000
	s_and_saveexec_b64 s[14:15], vcc
	s_cbranch_execz .LBB909_416
; %bb.413:                              ;   in Loop: Header=BB909_213 Depth=1
	v_and_b32_e32 v50, 0x7f, v46
	v_cmp_ne_u32_e32 vcc, s21, v50
	v_mov_b32_e32 v48, 0x7f80
	s_and_saveexec_b64 s[16:17], vcc
	s_cbranch_execz .LBB909_415
; %bb.414:                              ;   in Loop: Header=BB909_213 Depth=1
	v_and_b32_e32 v48, 7, v46
	v_ffbh_u32_e32 v60, v48
	v_min_u32_e32 v62, 32, v60
	v_subrev_u32_e32 v60, 28, v62
	v_lshlrev_b64 v[60:61], v60, v[46:47]
	v_lshrrev_b32_e32 v51, 3, v50
	v_sub_u32_e32 v46, 29, v62
	v_and_b32_e32 v60, 7, v60
	v_cmp_gt_u32_e32 vcc, 8, v50
	v_cndmask_b32_e32 v46, v51, v46, vcc
	v_cndmask_b32_e32 v48, v48, v60, vcc
	v_lshlrev_b32_e32 v50, 16, v44
	v_lshlrev_b32_e32 v48, 20, v48
	v_and_b32_e32 v50, 0x80000000, v50
	v_lshl_add_u32 v46, v46, 23, v45
	v_or3_b32 v46, v50, v46, v48
	v_lshrrev_b32_e32 v48, 16, v46
.LBB909_415:                            ;   in Loop: Header=BB909_213 Depth=1
	s_or_b64 exec, exec, s[16:17]
.LBB909_416:                            ;   in Loop: Header=BB909_213 Depth=1
	s_or_b64 exec, exec, s[14:15]
.LBB909_417:                            ;   in Loop: Header=BB909_213 Depth=1
	s_or_b64 exec, exec, s[12:13]
	v_lshrrev_b32_e32 v46, 16, v44
	v_cmp_ne_u16_sdwa s[14:15], v46, v43 src0_sel:BYTE_0 src1_sel:DWORD
	s_and_saveexec_b64 s[12:13], s[14:15]
	s_cbranch_execz .LBB909_423
; %bb.418:                              ;   in Loop: Header=BB909_213 Depth=1
	v_cmp_ne_u16_sdwa s[16:17], v46, s9 src0_sel:BYTE_0 src1_sel:DWORD
	v_mov_b32_e32 v49, 0xffff8000
	s_and_saveexec_b64 s[14:15], s[16:17]
	s_cbranch_execz .LBB909_422
; %bb.419:                              ;   in Loop: Header=BB909_213 Depth=1
	v_bfe_u32 v50, v44, 16, 7
	v_cmp_ne_u32_e32 vcc, s21, v50
	v_mov_b32_e32 v49, 0x7f80
	s_and_saveexec_b64 s[16:17], vcc
	s_cbranch_execz .LBB909_421
; %bb.420:                              ;   in Loop: Header=BB909_213 Depth=1
	v_and_b32_e32 v49, 7, v46
	v_ffbh_u32_e32 v60, v49
	v_min_u32_e32 v62, 32, v60
	v_subrev_u32_e32 v60, 28, v62
	v_lshlrev_b64 v[60:61], v60, v[46:47]
	v_lshrrev_b32_e32 v51, 3, v50
	v_sub_u32_e32 v61, 29, v62
	v_and_b32_e32 v60, 7, v60
	v_cmp_gt_u32_e32 vcc, 8, v50
	v_cndmask_b32_e32 v50, v51, v61, vcc
	v_cndmask_b32_e32 v49, v49, v60, vcc
	v_lshlrev_b32_e32 v46, 24, v46
	v_lshlrev_b32_e32 v49, 20, v49
	v_and_b32_e32 v46, 0x80000000, v46
	v_lshl_add_u32 v50, v50, 23, v45
	v_or3_b32 v46, v46, v50, v49
	v_lshrrev_b32_e32 v49, 16, v46
.LBB909_421:                            ;   in Loop: Header=BB909_213 Depth=1
	s_or_b64 exec, exec, s[16:17]
.LBB909_422:                            ;   in Loop: Header=BB909_213 Depth=1
	s_or_b64 exec, exec, s[14:15]
.LBB909_423:                            ;   in Loop: Header=BB909_213 Depth=1
	s_or_b64 exec, exec, s[12:13]
	v_cmp_lt_u32_e32 vcc, s22, v44
	v_mov_b32_e32 v50, 0
	v_mov_b32_e32 v51, 0
	s_and_saveexec_b64 s[12:13], vcc
	s_cbranch_execz .LBB909_429
; %bb.424:                              ;   in Loop: Header=BB909_213 Depth=1
	v_lshrrev_b32_e32 v46, 24, v44
	v_cmp_ne_u32_e32 vcc, s9, v46
	v_mov_b32_e32 v51, 0xffff8000
	s_and_saveexec_b64 s[14:15], vcc
	s_cbranch_execz .LBB909_428
; %bb.425:                              ;   in Loop: Header=BB909_213 Depth=1
	v_bfe_u32 v44, v44, 24, 7
	v_cmp_ne_u32_e32 vcc, s21, v44
	v_mov_b32_e32 v51, 0x7f80
	s_and_saveexec_b64 s[16:17], vcc
	s_cbranch_execz .LBB909_427
; %bb.426:                              ;   in Loop: Header=BB909_213 Depth=1
	v_and_b32_e32 v51, 7, v46
	v_ffbh_u32_e32 v60, v51
	v_min_u32_e32 v63, 32, v60
	v_subrev_u32_e32 v60, 28, v63
	v_lshlrev_b64 v[60:61], v60, v[46:47]
	v_lshrrev_b32_e32 v62, 3, v44
	v_sub_u32_e32 v61, 29, v63
	v_and_b32_e32 v60, 7, v60
	v_cmp_gt_u32_e32 vcc, 8, v44
	v_cndmask_b32_e32 v44, v62, v61, vcc
	v_cndmask_b32_e32 v51, v51, v60, vcc
	v_lshlrev_b32_e32 v46, 24, v46
	v_lshlrev_b32_e32 v51, 20, v51
	v_and_b32_e32 v46, 0x80000000, v46
	v_lshl_add_u32 v44, v44, 23, v45
	v_or3_b32 v44, v46, v44, v51
	v_lshrrev_b32_e32 v51, 16, v44
.LBB909_427:                            ;   in Loop: Header=BB909_213 Depth=1
	s_or_b64 exec, exec, s[16:17]
.LBB909_428:                            ;   in Loop: Header=BB909_213 Depth=1
	s_or_b64 exec, exec, s[14:15]
.LBB909_429:                            ;   in Loop: Header=BB909_213 Depth=1
	s_or_b64 exec, exec, s[12:13]
	s_waitcnt vmcnt(2)
	v_cmp_ne_u16_sdwa s[14:15], v42, v43 src0_sel:BYTE_0 src1_sel:DWORD
	s_and_saveexec_b64 s[12:13], s[14:15]
	s_cbranch_execz .LBB909_435
; %bb.430:                              ;   in Loop: Header=BB909_213 Depth=1
	v_cmp_ne_u16_sdwa s[16:17], v42, s9 src0_sel:BYTE_0 src1_sel:DWORD
	v_mov_b32_e32 v50, 0xffff8000
	s_and_saveexec_b64 s[14:15], s[16:17]
	s_cbranch_execz .LBB909_434
; %bb.431:                              ;   in Loop: Header=BB909_213 Depth=1
	v_and_b32_e32 v44, 0x7f, v42
	v_cmp_ne_u32_e32 vcc, s21, v44
	v_mov_b32_e32 v50, 0x7f80
	s_and_saveexec_b64 s[16:17], vcc
	s_cbranch_execz .LBB909_433
; %bb.432:                              ;   in Loop: Header=BB909_213 Depth=1
	v_and_b32_e32 v46, 7, v42
	v_ffbh_u32_e32 v60, v46
	v_min_u32_e32 v62, 32, v60
	v_subrev_u32_e32 v60, 28, v62
	v_lshlrev_b64 v[60:61], v60, v[42:43]
	v_lshrrev_b32_e32 v50, 3, v44
	v_sub_u32_e32 v61, 29, v62
	v_and_b32_e32 v60, 7, v60
	v_cmp_gt_u32_e32 vcc, 8, v44
	v_cndmask_b32_e32 v44, v50, v61, vcc
	v_cndmask_b32_e32 v46, v46, v60, vcc
	v_lshlrev_b32_e32 v50, 24, v42
	v_lshlrev_b32_e32 v46, 20, v46
	v_and_b32_e32 v50, 0x80000000, v50
	v_lshl_add_u32 v44, v44, 23, v45
	v_or3_b32 v44, v50, v44, v46
	v_lshrrev_b32_e32 v50, 16, v44
.LBB909_433:                            ;   in Loop: Header=BB909_213 Depth=1
	s_or_b64 exec, exec, s[16:17]
.LBB909_434:                            ;   in Loop: Header=BB909_213 Depth=1
	s_or_b64 exec, exec, s[14:15]
.LBB909_435:                            ;   in Loop: Header=BB909_213 Depth=1
	s_or_b64 exec, exec, s[12:13]
	v_lshrrev_b16_e32 v44, 8, v42
	v_cmp_ne_u16_e32 vcc, 0, v44
	v_mov_b32_e32 v61, 0
	v_mov_b32_e32 v60, 0
	s_and_saveexec_b64 s[12:13], vcc
	s_cbranch_execz .LBB909_441
; %bb.436:                              ;   in Loop: Header=BB909_213 Depth=1
	v_cmp_ne_u16_e32 vcc, s9, v44
	v_mov_b32_e32 v60, 0xffff8000
	s_and_saveexec_b64 s[14:15], vcc
	s_cbranch_execz .LBB909_440
; %bb.437:                              ;   in Loop: Header=BB909_213 Depth=1
	v_and_b32_e32 v46, 0x7f, v44
	v_cmp_ne_u32_e32 vcc, s21, v46
	v_mov_b32_e32 v60, 0x7f80
	s_and_saveexec_b64 s[16:17], vcc
	s_cbranch_execz .LBB909_439
; %bb.438:                              ;   in Loop: Header=BB909_213 Depth=1
	v_and_b32_e32 v60, 7, v44
	v_ffbh_u32_e32 v62, v60
	v_min_u32_e32 v65, 32, v62
	v_subrev_u32_e32 v62, 28, v65
	v_lshlrev_b64 v[62:63], v62, v[44:45]
	v_lshrrev_b32_e32 v64, 3, v46
	v_sub_u32_e32 v44, 29, v65
	v_and_b32_e32 v62, 7, v62
	v_cmp_gt_u32_e32 vcc, 8, v46
	v_cndmask_b32_e32 v44, v64, v44, vcc
	v_cndmask_b32_e32 v46, v60, v62, vcc
	v_lshlrev_b32_e32 v60, 16, v42
	v_lshlrev_b32_e32 v46, 20, v46
	v_and_b32_e32 v60, 0x80000000, v60
	v_lshl_add_u32 v44, v44, 23, v45
	v_or3_b32 v44, v60, v44, v46
	v_lshrrev_b32_e32 v60, 16, v44
.LBB909_439:                            ;   in Loop: Header=BB909_213 Depth=1
	s_or_b64 exec, exec, s[16:17]
.LBB909_440:                            ;   in Loop: Header=BB909_213 Depth=1
	s_or_b64 exec, exec, s[14:15]
.LBB909_441:                            ;   in Loop: Header=BB909_213 Depth=1
	s_or_b64 exec, exec, s[12:13]
	v_lshrrev_b32_e32 v44, 16, v42
	v_cmp_ne_u16_sdwa s[14:15], v44, v43 src0_sel:BYTE_0 src1_sel:DWORD
	s_and_saveexec_b64 s[12:13], s[14:15]
	s_cbranch_execz .LBB909_447
; %bb.442:                              ;   in Loop: Header=BB909_213 Depth=1
	v_cmp_ne_u16_sdwa s[16:17], v44, s9 src0_sel:BYTE_0 src1_sel:DWORD
	v_mov_b32_e32 v61, 0xffff8000
	s_and_saveexec_b64 s[14:15], s[16:17]
	s_cbranch_execz .LBB909_446
; %bb.443:                              ;   in Loop: Header=BB909_213 Depth=1
	v_bfe_u32 v46, v42, 16, 7
	v_cmp_ne_u32_e32 vcc, s21, v46
	v_mov_b32_e32 v61, 0x7f80
	s_and_saveexec_b64 s[16:17], vcc
	s_cbranch_execz .LBB909_445
; %bb.444:                              ;   in Loop: Header=BB909_213 Depth=1
	v_and_b32_e32 v61, 7, v44
	v_ffbh_u32_e32 v62, v61
	v_min_u32_e32 v65, 32, v62
	v_subrev_u32_e32 v62, 28, v65
	v_lshlrev_b64 v[62:63], v62, v[44:45]
	v_lshrrev_b32_e32 v64, 3, v46
	v_sub_u32_e32 v63, 29, v65
	v_and_b32_e32 v62, 7, v62
	v_cmp_gt_u32_e32 vcc, 8, v46
	v_cndmask_b32_e32 v46, v64, v63, vcc
	v_cndmask_b32_e32 v61, v61, v62, vcc
	v_lshlrev_b32_e32 v44, 24, v44
	v_lshlrev_b32_e32 v61, 20, v61
	v_and_b32_e32 v44, 0x80000000, v44
	v_lshl_add_u32 v46, v46, 23, v45
	v_or3_b32 v44, v44, v46, v61
	v_lshrrev_b32_e32 v61, 16, v44
.LBB909_445:                            ;   in Loop: Header=BB909_213 Depth=1
	s_or_b64 exec, exec, s[16:17]
.LBB909_446:                            ;   in Loop: Header=BB909_213 Depth=1
	s_or_b64 exec, exec, s[14:15]
.LBB909_447:                            ;   in Loop: Header=BB909_213 Depth=1
	s_or_b64 exec, exec, s[12:13]
	v_cmp_lt_u32_e32 vcc, s22, v42
	v_mov_b32_e32 v46, 0
	v_mov_b32_e32 v62, 0
	s_and_saveexec_b64 s[12:13], vcc
	s_cbranch_execz .LBB909_453
; %bb.448:                              ;   in Loop: Header=BB909_213 Depth=1
	v_lshrrev_b32_e32 v44, 24, v42
	v_cmp_ne_u32_e32 vcc, s9, v44
	v_mov_b32_e32 v62, 0xffff8000
	s_and_saveexec_b64 s[14:15], vcc
	s_cbranch_execz .LBB909_452
; %bb.449:                              ;   in Loop: Header=BB909_213 Depth=1
	v_bfe_u32 v42, v42, 24, 7
	v_cmp_ne_u32_e32 vcc, s21, v42
	v_mov_b32_e32 v62, 0x7f80
	s_and_saveexec_b64 s[16:17], vcc
	s_cbranch_execz .LBB909_451
; %bb.450:                              ;   in Loop: Header=BB909_213 Depth=1
	v_and_b32_e32 v64, 7, v44
	v_ffbh_u32_e32 v62, v64
	v_min_u32_e32 v66, 32, v62
	v_subrev_u32_e32 v62, 28, v66
	v_lshlrev_b64 v[62:63], v62, v[44:45]
	v_lshrrev_b32_e32 v65, 3, v42
	v_sub_u32_e32 v63, 29, v66
	v_and_b32_e32 v62, 7, v62
	v_cmp_gt_u32_e32 vcc, 8, v42
	v_cndmask_b32_e32 v42, v65, v63, vcc
	v_cndmask_b32_e32 v62, v64, v62, vcc
	v_lshlrev_b32_e32 v44, 24, v44
	v_lshlrev_b32_e32 v62, 20, v62
	v_and_b32_e32 v44, 0x80000000, v44
	v_lshl_add_u32 v42, v42, 23, v45
	v_or3_b32 v42, v44, v42, v62
	v_lshrrev_b32_e32 v62, 16, v42
.LBB909_451:                            ;   in Loop: Header=BB909_213 Depth=1
	s_or_b64 exec, exec, s[16:17]
.LBB909_452:                            ;   in Loop: Header=BB909_213 Depth=1
	s_or_b64 exec, exec, s[14:15]
.LBB909_453:                            ;   in Loop: Header=BB909_213 Depth=1
	s_or_b64 exec, exec, s[12:13]
	v_perm_b32 v49, v51, v49, s23
	v_perm_b32 v48, v48, v47, s23
	s_waitcnt vmcnt(1)
	v_cmp_ne_u16_sdwa s[14:15], v40, v43 src0_sel:BYTE_0 src1_sel:DWORD
	v_mfma_f32_16x16x16bf16_1k v[34:37], v[48:49], v[18:19], v[34:37]
	v_perm_b32 v49, v62, v61, s23
	v_perm_b32 v48, v60, v50, s23
	s_nop 1
	v_mfma_f32_16x16x16bf16_1k v[34:37], v[48:49], v[20:21], v[34:37]
	s_and_saveexec_b64 s[12:13], s[14:15]
	s_cbranch_execz .LBB909_459
; %bb.454:                              ;   in Loop: Header=BB909_213 Depth=1
	v_cmp_ne_u16_sdwa s[16:17], v40, s9 src0_sel:BYTE_0 src1_sel:DWORD
	v_mov_b32_e32 v46, 0xffff8000
	s_and_saveexec_b64 s[14:15], s[16:17]
	s_cbranch_execz .LBB909_458
; %bb.455:                              ;   in Loop: Header=BB909_213 Depth=1
	v_and_b32_e32 v42, 0x7f, v40
	v_cmp_ne_u32_e32 vcc, s21, v42
	v_mov_b32_e32 v46, 0x7f80
	s_and_saveexec_b64 s[16:17], vcc
	s_cbranch_execz .LBB909_457
; %bb.456:                              ;   in Loop: Header=BB909_213 Depth=1
	v_and_b32_e32 v44, 7, v40
	v_ffbh_u32_e32 v46, v44
	v_min_u32_e32 v49, 32, v46
	v_subrev_u32_e32 v46, 28, v49
	v_lshlrev_b64 v[46:47], v46, v[40:41]
	v_lshrrev_b32_e32 v48, 3, v42
	v_sub_u32_e32 v47, 29, v49
	v_and_b32_e32 v46, 7, v46
	v_cmp_gt_u32_e32 vcc, 8, v42
	v_cndmask_b32_e32 v42, v48, v47, vcc
	v_cndmask_b32_e32 v44, v44, v46, vcc
	v_lshlrev_b32_e32 v46, 24, v40
	v_lshlrev_b32_e32 v44, 20, v44
	v_and_b32_e32 v46, 0x80000000, v46
	v_lshl_add_u32 v42, v42, 23, v45
	v_or3_b32 v42, v46, v42, v44
	v_lshrrev_b32_e32 v46, 16, v42
.LBB909_457:                            ;   in Loop: Header=BB909_213 Depth=1
	s_or_b64 exec, exec, s[16:17]
.LBB909_458:                            ;   in Loop: Header=BB909_213 Depth=1
	s_or_b64 exec, exec, s[14:15]
.LBB909_459:                            ;   in Loop: Header=BB909_213 Depth=1
	s_or_b64 exec, exec, s[12:13]
	v_lshrrev_b16_e32 v42, 8, v40
	v_cmp_ne_u16_e32 vcc, 0, v42
	v_mov_b32_e32 v48, 0
	v_mov_b32_e32 v44, 0
	s_and_saveexec_b64 s[12:13], vcc
	s_cbranch_execz .LBB909_465
; %bb.460:                              ;   in Loop: Header=BB909_213 Depth=1
	v_cmp_ne_u16_e32 vcc, s9, v42
	v_mov_b32_e32 v44, 0xffff8000
	s_and_saveexec_b64 s[14:15], vcc
	s_cbranch_execz .LBB909_464
; %bb.461:                              ;   in Loop: Header=BB909_213 Depth=1
	v_and_b32_e32 v47, 0x7f, v42
	v_cmp_ne_u32_e32 vcc, s21, v47
	v_mov_b32_e32 v44, 0x7f80
	s_and_saveexec_b64 s[16:17], vcc
	s_cbranch_execz .LBB909_463
; %bb.462:                              ;   in Loop: Header=BB909_213 Depth=1
	v_and_b32_e32 v44, 7, v42
	v_ffbh_u32_e32 v50, v44
	v_min_u32_e32 v60, 32, v50
	v_subrev_u32_e32 v50, 28, v60
	v_lshlrev_b64 v[50:51], v50, v[42:43]
	v_lshrrev_b32_e32 v49, 3, v47
	v_sub_u32_e32 v42, 29, v60
	v_and_b32_e32 v50, 7, v50
	v_cmp_gt_u32_e32 vcc, 8, v47
	v_cndmask_b32_e32 v42, v49, v42, vcc
	v_cndmask_b32_e32 v44, v44, v50, vcc
	v_lshlrev_b32_e32 v47, 16, v40
	v_lshlrev_b32_e32 v44, 20, v44
	v_and_b32_e32 v47, 0x80000000, v47
	v_lshl_add_u32 v42, v42, 23, v45
	v_or3_b32 v42, v47, v42, v44
	v_lshrrev_b32_e32 v44, 16, v42
.LBB909_463:                            ;   in Loop: Header=BB909_213 Depth=1
	s_or_b64 exec, exec, s[16:17]
.LBB909_464:                            ;   in Loop: Header=BB909_213 Depth=1
	s_or_b64 exec, exec, s[14:15]
.LBB909_465:                            ;   in Loop: Header=BB909_213 Depth=1
	s_or_b64 exec, exec, s[12:13]
	v_lshrrev_b32_e32 v42, 16, v40
	v_cmp_ne_u16_sdwa s[14:15], v42, v43 src0_sel:BYTE_0 src1_sel:DWORD
	s_and_saveexec_b64 s[12:13], s[14:15]
	s_cbranch_execz .LBB909_471
; %bb.466:                              ;   in Loop: Header=BB909_213 Depth=1
	v_cmp_ne_u16_sdwa s[16:17], v42, s9 src0_sel:BYTE_0 src1_sel:DWORD
	v_mov_b32_e32 v48, 0xffff8000
	s_and_saveexec_b64 s[14:15], s[16:17]
	s_cbranch_execz .LBB909_470
; %bb.467:                              ;   in Loop: Header=BB909_213 Depth=1
	v_bfe_u32 v47, v40, 16, 7
	v_cmp_ne_u32_e32 vcc, s21, v47
	v_mov_b32_e32 v48, 0x7f80
	s_and_saveexec_b64 s[16:17], vcc
	s_cbranch_execz .LBB909_469
; %bb.468:                              ;   in Loop: Header=BB909_213 Depth=1
	v_and_b32_e32 v50, 7, v42
	v_ffbh_u32_e32 v48, v50
	v_min_u32_e32 v60, 32, v48
	v_subrev_u32_e32 v48, 28, v60
	v_lshlrev_b64 v[48:49], v48, v[42:43]
	v_lshrrev_b32_e32 v51, 3, v47
	v_sub_u32_e32 v49, 29, v60
	v_and_b32_e32 v48, 7, v48
	v_cmp_gt_u32_e32 vcc, 8, v47
	v_cndmask_b32_e32 v47, v51, v49, vcc
	v_cndmask_b32_e32 v48, v50, v48, vcc
	v_lshlrev_b32_e32 v42, 24, v42
	v_lshlrev_b32_e32 v48, 20, v48
	v_and_b32_e32 v42, 0x80000000, v42
	v_lshl_add_u32 v47, v47, 23, v45
	v_or3_b32 v42, v42, v47, v48
	v_lshrrev_b32_e32 v48, 16, v42
.LBB909_469:                            ;   in Loop: Header=BB909_213 Depth=1
	s_or_b64 exec, exec, s[16:17]
.LBB909_470:                            ;   in Loop: Header=BB909_213 Depth=1
	s_or_b64 exec, exec, s[14:15]
.LBB909_471:                            ;   in Loop: Header=BB909_213 Depth=1
	s_or_b64 exec, exec, s[12:13]
	v_cmp_lt_u32_e32 vcc, s22, v40
	v_mov_b32_e32 v49, 0
	v_mov_b32_e32 v50, 0
	s_and_saveexec_b64 s[12:13], vcc
	s_cbranch_execz .LBB909_477
; %bb.472:                              ;   in Loop: Header=BB909_213 Depth=1
	v_lshrrev_b32_e32 v42, 24, v40
	v_cmp_ne_u32_e32 vcc, s9, v42
	v_mov_b32_e32 v50, 0xffff8000
	s_and_saveexec_b64 s[14:15], vcc
	s_cbranch_execz .LBB909_476
; %bb.473:                              ;   in Loop: Header=BB909_213 Depth=1
	v_bfe_u32 v40, v40, 24, 7
	v_cmp_ne_u32_e32 vcc, s21, v40
	v_mov_b32_e32 v50, 0x7f80
	s_and_saveexec_b64 s[16:17], vcc
	s_cbranch_execz .LBB909_475
; %bb.474:                              ;   in Loop: Header=BB909_213 Depth=1
	v_and_b32_e32 v47, 7, v42
	v_ffbh_u32_e32 v50, v47
	v_min_u32_e32 v61, 32, v50
	v_subrev_u32_e32 v50, 28, v61
	v_lshlrev_b64 v[50:51], v50, v[42:43]
	v_lshrrev_b32_e32 v60, 3, v40
	v_sub_u32_e32 v51, 29, v61
	v_and_b32_e32 v50, 7, v50
	v_cmp_gt_u32_e32 vcc, 8, v40
	v_cndmask_b32_e32 v40, v60, v51, vcc
	v_cndmask_b32_e32 v47, v47, v50, vcc
	v_lshlrev_b32_e32 v42, 24, v42
	v_lshlrev_b32_e32 v47, 20, v47
	v_and_b32_e32 v42, 0x80000000, v42
	v_lshl_add_u32 v40, v40, 23, v45
	v_or3_b32 v40, v42, v40, v47
	v_lshrrev_b32_e32 v50, 16, v40
.LBB909_475:                            ;   in Loop: Header=BB909_213 Depth=1
	s_or_b64 exec, exec, s[16:17]
.LBB909_476:                            ;   in Loop: Header=BB909_213 Depth=1
	s_or_b64 exec, exec, s[14:15]
.LBB909_477:                            ;   in Loop: Header=BB909_213 Depth=1
	s_or_b64 exec, exec, s[12:13]
	s_waitcnt vmcnt(0)
	v_cmp_ne_u16_sdwa s[14:15], v38, v43 src0_sel:BYTE_0 src1_sel:DWORD
	s_and_saveexec_b64 s[12:13], s[14:15]
	s_cbranch_execz .LBB909_483
; %bb.478:                              ;   in Loop: Header=BB909_213 Depth=1
	v_cmp_ne_u16_sdwa s[16:17], v38, s9 src0_sel:BYTE_0 src1_sel:DWORD
	v_mov_b32_e32 v49, 0xffff8000
	s_and_saveexec_b64 s[14:15], s[16:17]
	s_cbranch_execz .LBB909_482
; %bb.479:                              ;   in Loop: Header=BB909_213 Depth=1
	v_and_b32_e32 v40, 0x7f, v38
	v_cmp_ne_u32_e32 vcc, s21, v40
	v_mov_b32_e32 v49, 0x7f80
	s_and_saveexec_b64 s[16:17], vcc
	s_cbranch_execz .LBB909_481
; %bb.480:                              ;   in Loop: Header=BB909_213 Depth=1
	v_and_b32_e32 v42, 7, v38
	v_ffbh_u32_e32 v49, v42
	v_min_u32_e32 v49, 32, v49
	v_subrev_u32_e32 v51, 28, v49
	v_lshlrev_b64 v[60:61], v51, v[38:39]
	v_lshrrev_b32_e32 v47, 3, v40
	v_sub_u32_e32 v49, 29, v49
	v_and_b32_e32 v51, 7, v60
	v_cmp_gt_u32_e32 vcc, 8, v40
	v_cndmask_b32_e32 v40, v47, v49, vcc
	v_cndmask_b32_e32 v42, v42, v51, vcc
	v_lshlrev_b32_e32 v47, 24, v38
	v_lshlrev_b32_e32 v42, 20, v42
	v_and_b32_e32 v47, 0x80000000, v47
	v_lshl_add_u32 v40, v40, 23, v45
	v_or3_b32 v40, v47, v40, v42
	v_lshrrev_b32_e32 v49, 16, v40
.LBB909_481:                            ;   in Loop: Header=BB909_213 Depth=1
	s_or_b64 exec, exec, s[16:17]
.LBB909_482:                            ;   in Loop: Header=BB909_213 Depth=1
	s_or_b64 exec, exec, s[14:15]
.LBB909_483:                            ;   in Loop: Header=BB909_213 Depth=1
	s_or_b64 exec, exec, s[12:13]
	v_lshrrev_b16_e32 v40, 8, v38
	v_cmp_ne_u16_e32 vcc, 0, v40
	v_mov_b32_e32 v60, 0
	v_mov_b32_e32 v51, 0
	s_and_saveexec_b64 s[12:13], vcc
	s_cbranch_execz .LBB909_489
; %bb.484:                              ;   in Loop: Header=BB909_213 Depth=1
	v_cmp_ne_u16_e32 vcc, s9, v40
	v_mov_b32_e32 v51, 0xffff8000
	s_and_saveexec_b64 s[14:15], vcc
	s_cbranch_execz .LBB909_488
; %bb.485:                              ;   in Loop: Header=BB909_213 Depth=1
	v_and_b32_e32 v42, 0x7f, v40
	v_cmp_ne_u32_e32 vcc, s21, v42
	v_mov_b32_e32 v51, 0x7f80
	s_and_saveexec_b64 s[16:17], vcc
	s_cbranch_execz .LBB909_487
; %bb.486:                              ;   in Loop: Header=BB909_213 Depth=1
	v_and_b32_e32 v47, 7, v40
	v_ffbh_u32_e32 v61, v47
	v_min_u32_e32 v61, 32, v61
	v_subrev_u32_e32 v62, 28, v61
	v_lshlrev_b64 v[62:63], v62, v[40:41]
	v_lshrrev_b32_e32 v51, 3, v42
	v_sub_u32_e32 v40, 29, v61
	v_and_b32_e32 v61, 7, v62
	v_cmp_gt_u32_e32 vcc, 8, v42
	v_cndmask_b32_e32 v40, v51, v40, vcc
	v_cndmask_b32_e32 v42, v47, v61, vcc
	v_lshlrev_b32_e32 v47, 16, v38
	v_lshlrev_b32_e32 v42, 20, v42
	v_and_b32_e32 v47, 0x80000000, v47
	v_lshl_add_u32 v40, v40, 23, v45
	v_or3_b32 v40, v47, v40, v42
	v_lshrrev_b32_e32 v51, 16, v40
.LBB909_487:                            ;   in Loop: Header=BB909_213 Depth=1
	s_or_b64 exec, exec, s[16:17]
.LBB909_488:                            ;   in Loop: Header=BB909_213 Depth=1
	s_or_b64 exec, exec, s[14:15]
.LBB909_489:                            ;   in Loop: Header=BB909_213 Depth=1
	s_or_b64 exec, exec, s[12:13]
	v_lshrrev_b32_e32 v40, 16, v38
	v_cmp_ne_u16_sdwa s[14:15], v40, v43 src0_sel:BYTE_0 src1_sel:DWORD
	s_and_saveexec_b64 s[12:13], s[14:15]
	s_cbranch_execz .LBB909_495
; %bb.490:                              ;   in Loop: Header=BB909_213 Depth=1
	v_cmp_ne_u16_sdwa s[16:17], v40, s9 src0_sel:BYTE_0 src1_sel:DWORD
	v_mov_b32_e32 v60, 0xffff8000
	s_and_saveexec_b64 s[14:15], s[16:17]
	s_cbranch_execz .LBB909_494
; %bb.491:                              ;   in Loop: Header=BB909_213 Depth=1
	v_bfe_u32 v42, v38, 16, 7
	v_cmp_ne_u32_e32 vcc, s21, v42
	v_mov_b32_e32 v60, 0x7f80
	s_and_saveexec_b64 s[16:17], vcc
	s_cbranch_execz .LBB909_493
; %bb.492:                              ;   in Loop: Header=BB909_213 Depth=1
	v_and_b32_e32 v47, 7, v40
	v_ffbh_u32_e32 v60, v47
	v_min_u32_e32 v63, 32, v60
	v_subrev_u32_e32 v60, 28, v63
	v_lshlrev_b64 v[60:61], v60, v[40:41]
	v_lshrrev_b32_e32 v62, 3, v42
	v_sub_u32_e32 v61, 29, v63
	v_and_b32_e32 v60, 7, v60
	v_cmp_gt_u32_e32 vcc, 8, v42
	v_cndmask_b32_e32 v42, v62, v61, vcc
	v_cndmask_b32_e32 v47, v47, v60, vcc
	v_lshlrev_b32_e32 v40, 24, v40
	v_lshlrev_b32_e32 v47, 20, v47
	v_and_b32_e32 v40, 0x80000000, v40
	v_lshl_add_u32 v42, v42, 23, v45
	v_or3_b32 v40, v40, v42, v47
	v_lshrrev_b32_e32 v60, 16, v40
.LBB909_493:                            ;   in Loop: Header=BB909_213 Depth=1
	s_or_b64 exec, exec, s[16:17]
.LBB909_494:                            ;   in Loop: Header=BB909_213 Depth=1
	s_or_b64 exec, exec, s[14:15]
.LBB909_495:                            ;   in Loop: Header=BB909_213 Depth=1
	s_or_b64 exec, exec, s[12:13]
	v_cmp_lt_u32_e32 vcc, s22, v38
	v_mov_b32_e32 v47, 0
	v_mov_b32_e32 v61, 0
	s_and_saveexec_b64 s[12:13], vcc
	s_cbranch_execz .LBB909_501
; %bb.496:                              ;   in Loop: Header=BB909_213 Depth=1
	v_lshrrev_b32_e32 v40, 24, v38
	v_cmp_ne_u32_e32 vcc, s9, v40
	v_mov_b32_e32 v61, 0xffff8000
	s_and_saveexec_b64 s[14:15], vcc
	s_cbranch_execz .LBB909_500
; %bb.497:                              ;   in Loop: Header=BB909_213 Depth=1
	v_bfe_u32 v38, v38, 24, 7
	v_cmp_ne_u32_e32 vcc, s21, v38
	v_mov_b32_e32 v61, 0x7f80
	s_and_saveexec_b64 s[16:17], vcc
	s_cbranch_execz .LBB909_499
; %bb.498:                              ;   in Loop: Header=BB909_213 Depth=1
	v_and_b32_e32 v42, 7, v40
	v_ffbh_u32_e32 v62, v42
	v_min_u32_e32 v64, 32, v62
	v_subrev_u32_e32 v62, 28, v64
	v_lshlrev_b64 v[62:63], v62, v[40:41]
	v_lshrrev_b32_e32 v61, 3, v38
	v_sub_u32_e32 v63, 29, v64
	v_and_b32_e32 v62, 7, v62
	v_cmp_gt_u32_e32 vcc, 8, v38
	v_cndmask_b32_e32 v38, v61, v63, vcc
	v_cndmask_b32_e32 v42, v42, v62, vcc
	v_lshlrev_b32_e32 v40, 24, v40
	v_lshlrev_b32_e32 v42, 20, v42
	v_and_b32_e32 v40, 0x80000000, v40
	v_lshl_add_u32 v38, v38, 23, v45
	v_or3_b32 v38, v40, v38, v42
	v_lshrrev_b32_e32 v61, 16, v38
.LBB909_499:                            ;   in Loop: Header=BB909_213 Depth=1
	s_or_b64 exec, exec, s[16:17]
.LBB909_500:                            ;   in Loop: Header=BB909_213 Depth=1
	s_or_b64 exec, exec, s[14:15]
.LBB909_501:                            ;   in Loop: Header=BB909_213 Depth=1
	s_or_b64 exec, exec, s[12:13]
	v_perm_b32 v62, v44, v46, s23
	buffer_load_dword v44, v59, s[0:3], 0 offen
	buffer_load_dword v42, v59, s[0:3], 0 offen offset:4
	buffer_load_dword v40, v59, s[0:3], 0 offen offset:8
	;; [unrolled: 1-line block ×3, first 2 shown]
	v_perm_b32 v63, v50, v48, s23
	v_perm_b32 v61, v61, v60, s23
	;; [unrolled: 1-line block ×3, first 2 shown]
	v_mfma_f32_16x16x16bf16_1k v[34:37], v[62:63], v[22:23], v[34:37]
	s_waitcnt vmcnt(3)
	v_cmp_ne_u16_sdwa s[14:15], v44, v43 src0_sel:BYTE_0 src1_sel:DWORD
	v_mfma_f32_16x16x16bf16_1k v[34:37], v[60:61], v[24:25], v[34:37]
	s_and_saveexec_b64 s[12:13], s[14:15]
	s_cbranch_execz .LBB909_507
; %bb.502:                              ;   in Loop: Header=BB909_213 Depth=1
	v_cmp_ne_u16_sdwa s[16:17], v44, s9 src0_sel:BYTE_0 src1_sel:DWORD
	v_mov_b32_e32 v47, 0xffff8000
	s_and_saveexec_b64 s[14:15], s[16:17]
	s_cbranch_execz .LBB909_506
; %bb.503:                              ;   in Loop: Header=BB909_213 Depth=1
	v_and_b32_e32 v46, 0x7f, v44
	v_cmp_ne_u32_e32 vcc, s21, v46
	v_mov_b32_e32 v47, 0x7f80
	s_and_saveexec_b64 s[16:17], vcc
	s_cbranch_execz .LBB909_505
; %bb.504:                              ;   in Loop: Header=BB909_213 Depth=1
	v_and_b32_e32 v47, 7, v44
	v_ffbh_u32_e32 v48, v47
	v_min_u32_e32 v51, 32, v48
	v_subrev_u32_e32 v48, 28, v51
	v_lshlrev_b64 v[48:49], v48, v[44:45]
	v_lshrrev_b32_e32 v50, 3, v46
	v_sub_u32_e32 v49, 29, v51
	v_and_b32_e32 v48, 7, v48
	v_cmp_gt_u32_e32 vcc, 8, v46
	v_cndmask_b32_e32 v46, v50, v49, vcc
	v_cndmask_b32_e32 v47, v47, v48, vcc
	v_lshlrev_b32_e32 v48, 24, v44
	v_lshlrev_b32_e32 v47, 20, v47
	v_and_b32_e32 v48, 0x80000000, v48
	v_lshl_add_u32 v46, v46, 23, v45
	v_or3_b32 v46, v48, v46, v47
	v_lshrrev_b32_e32 v47, 16, v46
.LBB909_505:                            ;   in Loop: Header=BB909_213 Depth=1
	s_or_b64 exec, exec, s[16:17]
.LBB909_506:                            ;   in Loop: Header=BB909_213 Depth=1
	s_or_b64 exec, exec, s[14:15]
.LBB909_507:                            ;   in Loop: Header=BB909_213 Depth=1
	s_or_b64 exec, exec, s[12:13]
	v_lshrrev_b16_e32 v46, 8, v44
	v_cmp_ne_u16_e32 vcc, 0, v46
	v_mov_b32_e32 v49, 0
	v_mov_b32_e32 v48, 0
	s_and_saveexec_b64 s[12:13], vcc
	s_cbranch_execz .LBB909_513
; %bb.508:                              ;   in Loop: Header=BB909_213 Depth=1
	v_cmp_ne_u16_e32 vcc, s9, v46
	v_mov_b32_e32 v48, 0xffff8000
	s_and_saveexec_b64 s[14:15], vcc
	s_cbranch_execz .LBB909_512
; %bb.509:                              ;   in Loop: Header=BB909_213 Depth=1
	v_and_b32_e32 v50, 0x7f, v46
	v_cmp_ne_u32_e32 vcc, s21, v50
	v_mov_b32_e32 v48, 0x7f80
	s_and_saveexec_b64 s[16:17], vcc
	s_cbranch_execz .LBB909_511
; %bb.510:                              ;   in Loop: Header=BB909_213 Depth=1
	v_and_b32_e32 v48, 7, v46
	v_ffbh_u32_e32 v59, v48
	v_min_u32_e32 v59, 32, v59
	v_subrev_u32_e32 v60, 28, v59
	v_lshlrev_b64 v[60:61], v60, v[46:47]
	v_lshrrev_b32_e32 v51, 3, v50
	v_sub_u32_e32 v46, 29, v59
	v_and_b32_e32 v59, 7, v60
	v_cmp_gt_u32_e32 vcc, 8, v50
	v_cndmask_b32_e32 v46, v51, v46, vcc
	v_cndmask_b32_e32 v48, v48, v59, vcc
	v_lshlrev_b32_e32 v50, 16, v44
	v_lshlrev_b32_e32 v48, 20, v48
	v_and_b32_e32 v50, 0x80000000, v50
	v_lshl_add_u32 v46, v46, 23, v45
	v_or3_b32 v46, v50, v46, v48
	v_lshrrev_b32_e32 v48, 16, v46
.LBB909_511:                            ;   in Loop: Header=BB909_213 Depth=1
	s_or_b64 exec, exec, s[16:17]
.LBB909_512:                            ;   in Loop: Header=BB909_213 Depth=1
	s_or_b64 exec, exec, s[14:15]
.LBB909_513:                            ;   in Loop: Header=BB909_213 Depth=1
	s_or_b64 exec, exec, s[12:13]
	v_lshrrev_b32_e32 v46, 16, v44
	v_cmp_ne_u16_sdwa s[14:15], v46, v43 src0_sel:BYTE_0 src1_sel:DWORD
	s_and_saveexec_b64 s[12:13], s[14:15]
	s_cbranch_execz .LBB909_519
; %bb.514:                              ;   in Loop: Header=BB909_213 Depth=1
	v_cmp_ne_u16_sdwa s[16:17], v46, s9 src0_sel:BYTE_0 src1_sel:DWORD
	v_mov_b32_e32 v49, 0xffff8000
	s_and_saveexec_b64 s[14:15], s[16:17]
	s_cbranch_execz .LBB909_518
; %bb.515:                              ;   in Loop: Header=BB909_213 Depth=1
	v_bfe_u32 v50, v44, 16, 7
	v_cmp_ne_u32_e32 vcc, s21, v50
	v_mov_b32_e32 v49, 0x7f80
	s_and_saveexec_b64 s[16:17], vcc
	s_cbranch_execz .LBB909_517
; %bb.516:                              ;   in Loop: Header=BB909_213 Depth=1
	v_and_b32_e32 v49, 7, v46
	v_ffbh_u32_e32 v59, v49
	v_min_u32_e32 v59, 32, v59
	v_subrev_u32_e32 v60, 28, v59
	v_lshlrev_b64 v[60:61], v60, v[46:47]
	v_lshrrev_b32_e32 v51, 3, v50
	v_sub_u32_e32 v59, 29, v59
	v_and_b32_e32 v60, 7, v60
	v_cmp_gt_u32_e32 vcc, 8, v50
	v_cndmask_b32_e32 v50, v51, v59, vcc
	v_cndmask_b32_e32 v49, v49, v60, vcc
	v_lshlrev_b32_e32 v46, 24, v46
	v_lshlrev_b32_e32 v49, 20, v49
	v_and_b32_e32 v46, 0x80000000, v46
	v_lshl_add_u32 v50, v50, 23, v45
	v_or3_b32 v46, v46, v50, v49
	v_lshrrev_b32_e32 v49, 16, v46
.LBB909_517:                            ;   in Loop: Header=BB909_213 Depth=1
	s_or_b64 exec, exec, s[16:17]
.LBB909_518:                            ;   in Loop: Header=BB909_213 Depth=1
	s_or_b64 exec, exec, s[14:15]
.LBB909_519:                            ;   in Loop: Header=BB909_213 Depth=1
	s_or_b64 exec, exec, s[12:13]
	v_cmp_lt_u32_e32 vcc, s22, v44
	v_mov_b32_e32 v50, 0
	v_mov_b32_e32 v51, 0
	s_and_saveexec_b64 s[12:13], vcc
	s_cbranch_execz .LBB909_525
; %bb.520:                              ;   in Loop: Header=BB909_213 Depth=1
	v_lshrrev_b32_e32 v46, 24, v44
	v_cmp_ne_u32_e32 vcc, s9, v46
	v_mov_b32_e32 v51, 0xffff8000
	s_and_saveexec_b64 s[14:15], vcc
	s_cbranch_execz .LBB909_524
; %bb.521:                              ;   in Loop: Header=BB909_213 Depth=1
	v_bfe_u32 v44, v44, 24, 7
	v_cmp_ne_u32_e32 vcc, s21, v44
	v_mov_b32_e32 v51, 0x7f80
	s_and_saveexec_b64 s[16:17], vcc
	s_cbranch_execz .LBB909_523
; %bb.522:                              ;   in Loop: Header=BB909_213 Depth=1
	v_and_b32_e32 v51, 7, v46
	v_ffbh_u32_e32 v60, v51
	v_min_u32_e32 v62, 32, v60
	v_subrev_u32_e32 v60, 28, v62
	v_lshlrev_b64 v[60:61], v60, v[46:47]
	v_lshrrev_b32_e32 v59, 3, v44
	v_sub_u32_e32 v61, 29, v62
	v_and_b32_e32 v60, 7, v60
	v_cmp_gt_u32_e32 vcc, 8, v44
	v_cndmask_b32_e32 v44, v59, v61, vcc
	v_cndmask_b32_e32 v51, v51, v60, vcc
	v_lshlrev_b32_e32 v46, 24, v46
	v_lshlrev_b32_e32 v51, 20, v51
	v_and_b32_e32 v46, 0x80000000, v46
	v_lshl_add_u32 v44, v44, 23, v45
	v_or3_b32 v44, v46, v44, v51
	v_lshrrev_b32_e32 v51, 16, v44
.LBB909_523:                            ;   in Loop: Header=BB909_213 Depth=1
	s_or_b64 exec, exec, s[16:17]
.LBB909_524:                            ;   in Loop: Header=BB909_213 Depth=1
	s_or_b64 exec, exec, s[14:15]
.LBB909_525:                            ;   in Loop: Header=BB909_213 Depth=1
	s_or_b64 exec, exec, s[12:13]
	s_waitcnt vmcnt(2)
	v_cmp_ne_u16_sdwa s[14:15], v42, v43 src0_sel:BYTE_0 src1_sel:DWORD
	s_and_saveexec_b64 s[12:13], s[14:15]
	s_cbranch_execz .LBB909_531
; %bb.526:                              ;   in Loop: Header=BB909_213 Depth=1
	v_cmp_ne_u16_sdwa s[16:17], v42, s9 src0_sel:BYTE_0 src1_sel:DWORD
	v_mov_b32_e32 v50, 0xffff8000
	s_and_saveexec_b64 s[14:15], s[16:17]
	s_cbranch_execz .LBB909_530
; %bb.527:                              ;   in Loop: Header=BB909_213 Depth=1
	v_and_b32_e32 v44, 0x7f, v42
	v_cmp_ne_u32_e32 vcc, s21, v44
	v_mov_b32_e32 v50, 0x7f80
	s_and_saveexec_b64 s[16:17], vcc
	s_cbranch_execz .LBB909_529
; %bb.528:                              ;   in Loop: Header=BB909_213 Depth=1
	v_and_b32_e32 v46, 7, v42
	v_ffbh_u32_e32 v59, v46
	v_min_u32_e32 v59, 32, v59
	v_subrev_u32_e32 v60, 28, v59
	v_lshlrev_b64 v[60:61], v60, v[42:43]
	v_lshrrev_b32_e32 v50, 3, v44
	v_sub_u32_e32 v59, 29, v59
	v_and_b32_e32 v60, 7, v60
	v_cmp_gt_u32_e32 vcc, 8, v44
	v_cndmask_b32_e32 v44, v50, v59, vcc
	v_cndmask_b32_e32 v46, v46, v60, vcc
	v_lshlrev_b32_e32 v50, 24, v42
	v_lshlrev_b32_e32 v46, 20, v46
	v_and_b32_e32 v50, 0x80000000, v50
	v_lshl_add_u32 v44, v44, 23, v45
	v_or3_b32 v44, v50, v44, v46
	v_lshrrev_b32_e32 v50, 16, v44
.LBB909_529:                            ;   in Loop: Header=BB909_213 Depth=1
	s_or_b64 exec, exec, s[16:17]
.LBB909_530:                            ;   in Loop: Header=BB909_213 Depth=1
	s_or_b64 exec, exec, s[14:15]
.LBB909_531:                            ;   in Loop: Header=BB909_213 Depth=1
	s_or_b64 exec, exec, s[12:13]
	v_lshrrev_b16_e32 v44, 8, v42
	v_cmp_ne_u16_e32 vcc, 0, v44
	v_mov_b32_e32 v60, 0
	v_mov_b32_e32 v59, 0
	s_and_saveexec_b64 s[12:13], vcc
	s_cbranch_execz .LBB909_537
; %bb.532:                              ;   in Loop: Header=BB909_213 Depth=1
	v_cmp_ne_u16_e32 vcc, s9, v44
	v_mov_b32_e32 v59, 0xffff8000
	s_and_saveexec_b64 s[14:15], vcc
	s_cbranch_execz .LBB909_536
; %bb.533:                              ;   in Loop: Header=BB909_213 Depth=1
	v_and_b32_e32 v46, 0x7f, v44
	v_cmp_ne_u32_e32 vcc, s21, v46
	v_mov_b32_e32 v59, 0x7f80
	s_and_saveexec_b64 s[16:17], vcc
	s_cbranch_execz .LBB909_535
; %bb.534:                              ;   in Loop: Header=BB909_213 Depth=1
	v_and_b32_e32 v59, 7, v44
	v_ffbh_u32_e32 v62, v59
	v_min_u32_e32 v64, 32, v62
	v_subrev_u32_e32 v62, 28, v64
	v_lshlrev_b64 v[62:63], v62, v[44:45]
	v_lshrrev_b32_e32 v61, 3, v46
	v_sub_u32_e32 v44, 29, v64
	v_and_b32_e32 v62, 7, v62
	v_cmp_gt_u32_e32 vcc, 8, v46
	v_cndmask_b32_e32 v44, v61, v44, vcc
	v_cndmask_b32_e32 v46, v59, v62, vcc
	v_lshlrev_b32_e32 v59, 16, v42
	v_lshlrev_b32_e32 v46, 20, v46
	v_and_b32_e32 v59, 0x80000000, v59
	v_lshl_add_u32 v44, v44, 23, v45
	v_or3_b32 v44, v59, v44, v46
	v_lshrrev_b32_e32 v59, 16, v44
.LBB909_535:                            ;   in Loop: Header=BB909_213 Depth=1
	s_or_b64 exec, exec, s[16:17]
.LBB909_536:                            ;   in Loop: Header=BB909_213 Depth=1
	s_or_b64 exec, exec, s[14:15]
.LBB909_537:                            ;   in Loop: Header=BB909_213 Depth=1
	s_or_b64 exec, exec, s[12:13]
	v_lshrrev_b32_e32 v44, 16, v42
	v_cmp_ne_u16_sdwa s[14:15], v44, v43 src0_sel:BYTE_0 src1_sel:DWORD
	s_and_saveexec_b64 s[12:13], s[14:15]
	s_cbranch_execz .LBB909_543
; %bb.538:                              ;   in Loop: Header=BB909_213 Depth=1
	v_cmp_ne_u16_sdwa s[16:17], v44, s9 src0_sel:BYTE_0 src1_sel:DWORD
	v_mov_b32_e32 v60, 0xffff8000
	s_and_saveexec_b64 s[14:15], s[16:17]
	s_cbranch_execz .LBB909_542
; %bb.539:                              ;   in Loop: Header=BB909_213 Depth=1
	v_bfe_u32 v46, v42, 16, 7
	v_cmp_ne_u32_e32 vcc, s21, v46
	v_mov_b32_e32 v60, 0x7f80
	s_and_saveexec_b64 s[16:17], vcc
	s_cbranch_execz .LBB909_541
; %bb.540:                              ;   in Loop: Header=BB909_213 Depth=1
	v_and_b32_e32 v62, 7, v44
	v_ffbh_u32_e32 v60, v62
	v_min_u32_e32 v64, 32, v60
	v_subrev_u32_e32 v60, 28, v64
	v_lshlrev_b64 v[60:61], v60, v[44:45]
	v_lshrrev_b32_e32 v63, 3, v46
	v_sub_u32_e32 v61, 29, v64
	v_and_b32_e32 v60, 7, v60
	v_cmp_gt_u32_e32 vcc, 8, v46
	v_cndmask_b32_e32 v46, v63, v61, vcc
	v_cndmask_b32_e32 v60, v62, v60, vcc
	v_lshlrev_b32_e32 v44, 24, v44
	v_lshlrev_b32_e32 v60, 20, v60
	v_and_b32_e32 v44, 0x80000000, v44
	v_lshl_add_u32 v46, v46, 23, v45
	v_or3_b32 v44, v44, v46, v60
	v_lshrrev_b32_e32 v60, 16, v44
.LBB909_541:                            ;   in Loop: Header=BB909_213 Depth=1
	s_or_b64 exec, exec, s[16:17]
.LBB909_542:                            ;   in Loop: Header=BB909_213 Depth=1
	s_or_b64 exec, exec, s[14:15]
.LBB909_543:                            ;   in Loop: Header=BB909_213 Depth=1
	s_or_b64 exec, exec, s[12:13]
	v_cmp_lt_u32_e32 vcc, s22, v42
	v_mov_b32_e32 v46, 0
	v_mov_b32_e32 v61, 0
	s_and_saveexec_b64 s[12:13], vcc
	s_cbranch_execz .LBB909_549
; %bb.544:                              ;   in Loop: Header=BB909_213 Depth=1
	v_lshrrev_b32_e32 v44, 24, v42
	v_cmp_ne_u32_e32 vcc, s9, v44
	v_mov_b32_e32 v61, 0xffff8000
	s_and_saveexec_b64 s[14:15], vcc
	s_cbranch_execz .LBB909_548
; %bb.545:                              ;   in Loop: Header=BB909_213 Depth=1
	v_bfe_u32 v42, v42, 24, 7
	v_cmp_ne_u32_e32 vcc, s21, v42
	v_mov_b32_e32 v61, 0x7f80
	s_and_saveexec_b64 s[16:17], vcc
	s_cbranch_execz .LBB909_547
; %bb.546:                              ;   in Loop: Header=BB909_213 Depth=1
	v_and_b32_e32 v61, 7, v44
	v_ffbh_u32_e32 v62, v61
	v_min_u32_e32 v65, 32, v62
	v_subrev_u32_e32 v62, 28, v65
	v_lshlrev_b64 v[62:63], v62, v[44:45]
	v_lshrrev_b32_e32 v64, 3, v42
	v_sub_u32_e32 v63, 29, v65
	v_and_b32_e32 v62, 7, v62
	v_cmp_gt_u32_e32 vcc, 8, v42
	v_cndmask_b32_e32 v42, v64, v63, vcc
	v_cndmask_b32_e32 v61, v61, v62, vcc
	v_lshlrev_b32_e32 v44, 24, v44
	v_lshlrev_b32_e32 v61, 20, v61
	v_and_b32_e32 v44, 0x80000000, v44
	v_lshl_add_u32 v42, v42, 23, v45
	v_or3_b32 v42, v44, v42, v61
	v_lshrrev_b32_e32 v61, 16, v42
.LBB909_547:                            ;   in Loop: Header=BB909_213 Depth=1
	s_or_b64 exec, exec, s[16:17]
.LBB909_548:                            ;   in Loop: Header=BB909_213 Depth=1
	s_or_b64 exec, exec, s[14:15]
.LBB909_549:                            ;   in Loop: Header=BB909_213 Depth=1
	s_or_b64 exec, exec, s[12:13]
	v_perm_b32 v49, v51, v49, s23
	v_perm_b32 v48, v48, v47, s23
	s_waitcnt vmcnt(1)
	v_cmp_ne_u16_sdwa s[14:15], v40, v43 src0_sel:BYTE_0 src1_sel:DWORD
	v_mfma_f32_16x16x16bf16_1k v[34:37], v[48:49], v[26:27], v[34:37]
	v_perm_b32 v49, v61, v60, s23
	v_perm_b32 v48, v59, v50, s23
	s_nop 1
	v_mfma_f32_16x16x16bf16_1k v[34:37], v[48:49], v[28:29], v[34:37]
	s_and_saveexec_b64 s[12:13], s[14:15]
	s_cbranch_execz .LBB909_555
; %bb.550:                              ;   in Loop: Header=BB909_213 Depth=1
	v_cmp_ne_u16_sdwa s[16:17], v40, s9 src0_sel:BYTE_0 src1_sel:DWORD
	v_mov_b32_e32 v46, 0xffff8000
	s_and_saveexec_b64 s[14:15], s[16:17]
	s_cbranch_execz .LBB909_554
; %bb.551:                              ;   in Loop: Header=BB909_213 Depth=1
	v_and_b32_e32 v42, 0x7f, v40
	v_cmp_ne_u32_e32 vcc, s21, v42
	v_mov_b32_e32 v46, 0x7f80
	s_and_saveexec_b64 s[16:17], vcc
	s_cbranch_execz .LBB909_553
; %bb.552:                              ;   in Loop: Header=BB909_213 Depth=1
	v_and_b32_e32 v44, 7, v40
	v_ffbh_u32_e32 v46, v44
	v_min_u32_e32 v49, 32, v46
	v_subrev_u32_e32 v46, 28, v49
	v_lshlrev_b64 v[46:47], v46, v[40:41]
	v_lshrrev_b32_e32 v48, 3, v42
	v_sub_u32_e32 v47, 29, v49
	v_and_b32_e32 v46, 7, v46
	v_cmp_gt_u32_e32 vcc, 8, v42
	v_cndmask_b32_e32 v42, v48, v47, vcc
	v_cndmask_b32_e32 v44, v44, v46, vcc
	v_lshlrev_b32_e32 v46, 24, v40
	v_lshlrev_b32_e32 v44, 20, v44
	v_and_b32_e32 v46, 0x80000000, v46
	v_lshl_add_u32 v42, v42, 23, v45
	v_or3_b32 v42, v46, v42, v44
	v_lshrrev_b32_e32 v46, 16, v42
.LBB909_553:                            ;   in Loop: Header=BB909_213 Depth=1
	s_or_b64 exec, exec, s[16:17]
.LBB909_554:                            ;   in Loop: Header=BB909_213 Depth=1
	s_or_b64 exec, exec, s[14:15]
.LBB909_555:                            ;   in Loop: Header=BB909_213 Depth=1
	s_or_b64 exec, exec, s[12:13]
	v_lshrrev_b16_e32 v42, 8, v40
	v_cmp_ne_u16_e32 vcc, 0, v42
	v_mov_b32_e32 v47, 0
	v_mov_b32_e32 v44, 0
	s_and_saveexec_b64 s[12:13], vcc
	s_cbranch_execz .LBB909_561
; %bb.556:                              ;   in Loop: Header=BB909_213 Depth=1
	v_cmp_ne_u16_e32 vcc, s9, v42
	v_mov_b32_e32 v44, 0xffff8000
	s_and_saveexec_b64 s[14:15], vcc
	s_cbranch_execz .LBB909_560
; %bb.557:                              ;   in Loop: Header=BB909_213 Depth=1
	v_and_b32_e32 v48, 0x7f, v42
	v_cmp_ne_u32_e32 vcc, s21, v48
	v_mov_b32_e32 v44, 0x7f80
	s_and_saveexec_b64 s[16:17], vcc
	s_cbranch_execz .LBB909_559
; %bb.558:                              ;   in Loop: Header=BB909_213 Depth=1
	v_and_b32_e32 v44, 7, v42
	v_ffbh_u32_e32 v50, v44
	v_min_u32_e32 v59, 32, v50
	v_subrev_u32_e32 v50, 28, v59
	v_lshlrev_b64 v[50:51], v50, v[42:43]
	v_lshrrev_b32_e32 v49, 3, v48
	v_sub_u32_e32 v42, 29, v59
	v_and_b32_e32 v50, 7, v50
	v_cmp_gt_u32_e32 vcc, 8, v48
	v_cndmask_b32_e32 v42, v49, v42, vcc
	v_cndmask_b32_e32 v44, v44, v50, vcc
	v_lshlrev_b32_e32 v48, 16, v40
	v_lshlrev_b32_e32 v44, 20, v44
	v_and_b32_e32 v48, 0x80000000, v48
	v_lshl_add_u32 v42, v42, 23, v45
	v_or3_b32 v42, v48, v42, v44
	v_lshrrev_b32_e32 v44, 16, v42
.LBB909_559:                            ;   in Loop: Header=BB909_213 Depth=1
	s_or_b64 exec, exec, s[16:17]
.LBB909_560:                            ;   in Loop: Header=BB909_213 Depth=1
	s_or_b64 exec, exec, s[14:15]
.LBB909_561:                            ;   in Loop: Header=BB909_213 Depth=1
	s_or_b64 exec, exec, s[12:13]
	v_lshrrev_b32_e32 v42, 16, v40
	v_cmp_ne_u16_sdwa s[14:15], v42, v43 src0_sel:BYTE_0 src1_sel:DWORD
	s_and_saveexec_b64 s[12:13], s[14:15]
	s_cbranch_execz .LBB909_567
; %bb.562:                              ;   in Loop: Header=BB909_213 Depth=1
	v_cmp_ne_u16_sdwa s[16:17], v42, s9 src0_sel:BYTE_0 src1_sel:DWORD
	v_mov_b32_e32 v47, 0xffff8000
	s_and_saveexec_b64 s[14:15], s[16:17]
	s_cbranch_execz .LBB909_566
; %bb.563:                              ;   in Loop: Header=BB909_213 Depth=1
	v_bfe_u32 v48, v40, 16, 7
	v_cmp_ne_u32_e32 vcc, s21, v48
	v_mov_b32_e32 v47, 0x7f80
	s_and_saveexec_b64 s[16:17], vcc
	s_cbranch_execz .LBB909_565
; %bb.564:                              ;   in Loop: Header=BB909_213 Depth=1
	v_and_b32_e32 v47, 7, v42
	v_ffbh_u32_e32 v50, v47
	v_min_u32_e32 v59, 32, v50
	v_subrev_u32_e32 v50, 28, v59
	v_lshlrev_b64 v[50:51], v50, v[42:43]
	v_lshrrev_b32_e32 v49, 3, v48
	v_sub_u32_e32 v51, 29, v59
	v_and_b32_e32 v50, 7, v50
	v_cmp_gt_u32_e32 vcc, 8, v48
	v_cndmask_b32_e32 v48, v49, v51, vcc
	v_cndmask_b32_e32 v47, v47, v50, vcc
	v_lshlrev_b32_e32 v42, 24, v42
	v_lshlrev_b32_e32 v47, 20, v47
	v_and_b32_e32 v42, 0x80000000, v42
	v_lshl_add_u32 v48, v48, 23, v45
	v_or3_b32 v42, v42, v48, v47
	v_lshrrev_b32_e32 v47, 16, v42
.LBB909_565:                            ;   in Loop: Header=BB909_213 Depth=1
	s_or_b64 exec, exec, s[16:17]
.LBB909_566:                            ;   in Loop: Header=BB909_213 Depth=1
	s_or_b64 exec, exec, s[14:15]
.LBB909_567:                            ;   in Loop: Header=BB909_213 Depth=1
	s_or_b64 exec, exec, s[12:13]
	v_cmp_lt_u32_e32 vcc, s22, v40
	v_mov_b32_e32 v48, 0
	v_mov_b32_e32 v49, 0
	s_and_saveexec_b64 s[12:13], vcc
	s_cbranch_execz .LBB909_573
; %bb.568:                              ;   in Loop: Header=BB909_213 Depth=1
	v_lshrrev_b32_e32 v42, 24, v40
	v_cmp_ne_u32_e32 vcc, s9, v42
	v_mov_b32_e32 v49, 0xffff8000
	s_and_saveexec_b64 s[14:15], vcc
	s_cbranch_execz .LBB909_572
; %bb.569:                              ;   in Loop: Header=BB909_213 Depth=1
	v_bfe_u32 v40, v40, 24, 7
	v_cmp_ne_u32_e32 vcc, s21, v40
	v_mov_b32_e32 v49, 0x7f80
	s_and_saveexec_b64 s[16:17], vcc
	s_cbranch_execz .LBB909_571
; %bb.570:                              ;   in Loop: Header=BB909_213 Depth=1
	v_and_b32_e32 v49, 7, v42
	v_ffbh_u32_e32 v50, v49
	v_min_u32_e32 v60, 32, v50
	v_subrev_u32_e32 v50, 28, v60
	v_lshlrev_b64 v[50:51], v50, v[42:43]
	v_lshrrev_b32_e32 v59, 3, v40
	v_sub_u32_e32 v51, 29, v60
	v_and_b32_e32 v50, 7, v50
	v_cmp_gt_u32_e32 vcc, 8, v40
	v_cndmask_b32_e32 v40, v59, v51, vcc
	v_cndmask_b32_e32 v49, v49, v50, vcc
	v_lshlrev_b32_e32 v42, 24, v42
	v_lshlrev_b32_e32 v49, 20, v49
	v_and_b32_e32 v42, 0x80000000, v42
	v_lshl_add_u32 v40, v40, 23, v45
	v_or3_b32 v40, v42, v40, v49
	v_lshrrev_b32_e32 v49, 16, v40
.LBB909_571:                            ;   in Loop: Header=BB909_213 Depth=1
	s_or_b64 exec, exec, s[16:17]
.LBB909_572:                            ;   in Loop: Header=BB909_213 Depth=1
	s_or_b64 exec, exec, s[14:15]
.LBB909_573:                            ;   in Loop: Header=BB909_213 Depth=1
	s_or_b64 exec, exec, s[12:13]
	s_waitcnt vmcnt(0)
	v_cmp_ne_u16_sdwa s[14:15], v38, v43 src0_sel:BYTE_0 src1_sel:DWORD
	s_and_saveexec_b64 s[12:13], s[14:15]
	s_cbranch_execz .LBB909_579
; %bb.574:                              ;   in Loop: Header=BB909_213 Depth=1
	v_cmp_ne_u16_sdwa s[16:17], v38, s9 src0_sel:BYTE_0 src1_sel:DWORD
	v_mov_b32_e32 v48, 0xffff8000
	s_and_saveexec_b64 s[14:15], s[16:17]
	s_cbranch_execz .LBB909_578
; %bb.575:                              ;   in Loop: Header=BB909_213 Depth=1
	v_and_b32_e32 v40, 0x7f, v38
	v_cmp_ne_u32_e32 vcc, s21, v40
	v_mov_b32_e32 v48, 0x7f80
	s_and_saveexec_b64 s[16:17], vcc
	s_cbranch_execz .LBB909_577
; %bb.576:                              ;   in Loop: Header=BB909_213 Depth=1
	v_and_b32_e32 v42, 7, v38
	v_ffbh_u32_e32 v50, v42
	v_min_u32_e32 v59, 32, v50
	v_subrev_u32_e32 v50, 28, v59
	v_lshlrev_b64 v[50:51], v50, v[38:39]
	v_lshrrev_b32_e32 v48, 3, v40
	v_sub_u32_e32 v51, 29, v59
	v_and_b32_e32 v50, 7, v50
	v_cmp_gt_u32_e32 vcc, 8, v40
	v_cndmask_b32_e32 v40, v48, v51, vcc
	v_cndmask_b32_e32 v42, v42, v50, vcc
	v_lshlrev_b32_e32 v48, 24, v38
	v_lshlrev_b32_e32 v42, 20, v42
	v_and_b32_e32 v48, 0x80000000, v48
	v_lshl_add_u32 v40, v40, 23, v45
	v_or3_b32 v40, v48, v40, v42
	v_lshrrev_b32_e32 v48, 16, v40
.LBB909_577:                            ;   in Loop: Header=BB909_213 Depth=1
	s_or_b64 exec, exec, s[16:17]
.LBB909_578:                            ;   in Loop: Header=BB909_213 Depth=1
	s_or_b64 exec, exec, s[14:15]
.LBB909_579:                            ;   in Loop: Header=BB909_213 Depth=1
	s_or_b64 exec, exec, s[12:13]
	v_lshrrev_b16_e32 v40, 8, v38
	v_cmp_ne_u16_e32 vcc, 0, v40
	v_mov_b32_e32 v50, 0
	v_mov_b32_e32 v42, 0
	s_and_saveexec_b64 s[12:13], vcc
	s_cbranch_execz .LBB909_585
; %bb.580:                              ;   in Loop: Header=BB909_213 Depth=1
	v_cmp_ne_u16_e32 vcc, s9, v40
	v_mov_b32_e32 v42, 0xffff8000
	s_and_saveexec_b64 s[14:15], vcc
	s_cbranch_execz .LBB909_584
; %bb.581:                              ;   in Loop: Header=BB909_213 Depth=1
	v_and_b32_e32 v51, 0x7f, v40
	v_cmp_ne_u32_e32 vcc, s21, v51
	v_mov_b32_e32 v42, 0x7f80
	s_and_saveexec_b64 s[16:17], vcc
	s_cbranch_execz .LBB909_583
; %bb.582:                              ;   in Loop: Header=BB909_213 Depth=1
	v_and_b32_e32 v42, 7, v40
	v_ffbh_u32_e32 v60, v42
	v_min_u32_e32 v62, 32, v60
	v_subrev_u32_e32 v60, 28, v62
	v_lshlrev_b64 v[60:61], v60, v[40:41]
	v_lshrrev_b32_e32 v59, 3, v51
	v_sub_u32_e32 v40, 29, v62
	v_and_b32_e32 v60, 7, v60
	v_cmp_gt_u32_e32 vcc, 8, v51
	v_cndmask_b32_e32 v40, v59, v40, vcc
	v_cndmask_b32_e32 v42, v42, v60, vcc
	v_lshlrev_b32_e32 v51, 16, v38
	v_lshlrev_b32_e32 v42, 20, v42
	v_and_b32_e32 v51, 0x80000000, v51
	v_lshl_add_u32 v40, v40, 23, v45
	v_or3_b32 v40, v51, v40, v42
	v_lshrrev_b32_e32 v42, 16, v40
.LBB909_583:                            ;   in Loop: Header=BB909_213 Depth=1
	s_or_b64 exec, exec, s[16:17]
.LBB909_584:                            ;   in Loop: Header=BB909_213 Depth=1
	s_or_b64 exec, exec, s[14:15]
.LBB909_585:                            ;   in Loop: Header=BB909_213 Depth=1
	s_or_b64 exec, exec, s[12:13]
	v_lshrrev_b32_e32 v40, 16, v38
	v_cmp_ne_u16_sdwa s[14:15], v40, v43 src0_sel:BYTE_0 src1_sel:DWORD
	s_and_saveexec_b64 s[12:13], s[14:15]
	s_cbranch_execz .LBB909_591
; %bb.586:                              ;   in Loop: Header=BB909_213 Depth=1
	v_cmp_ne_u16_sdwa s[16:17], v40, s9 src0_sel:BYTE_0 src1_sel:DWORD
	v_mov_b32_e32 v50, 0xffff8000
	s_and_saveexec_b64 s[14:15], s[16:17]
	s_cbranch_execz .LBB909_590
; %bb.587:                              ;   in Loop: Header=BB909_213 Depth=1
	v_bfe_u32 v51, v38, 16, 7
	v_cmp_ne_u32_e32 vcc, s21, v51
	v_mov_b32_e32 v50, 0x7f80
	s_and_saveexec_b64 s[16:17], vcc
	s_cbranch_execz .LBB909_589
; %bb.588:                              ;   in Loop: Header=BB909_213 Depth=1
	v_and_b32_e32 v50, 7, v40
	v_ffbh_u32_e32 v60, v50
	v_min_u32_e32 v62, 32, v60
	v_subrev_u32_e32 v60, 28, v62
	v_lshlrev_b64 v[60:61], v60, v[40:41]
	v_lshrrev_b32_e32 v59, 3, v51
	v_sub_u32_e32 v61, 29, v62
	v_and_b32_e32 v60, 7, v60
	v_cmp_gt_u32_e32 vcc, 8, v51
	v_cndmask_b32_e32 v51, v59, v61, vcc
	v_cndmask_b32_e32 v50, v50, v60, vcc
	v_lshlrev_b32_e32 v40, 24, v40
	v_lshlrev_b32_e32 v50, 20, v50
	v_and_b32_e32 v40, 0x80000000, v40
	v_lshl_add_u32 v51, v51, 23, v45
	v_or3_b32 v40, v40, v51, v50
	v_lshrrev_b32_e32 v50, 16, v40
.LBB909_589:                            ;   in Loop: Header=BB909_213 Depth=1
	s_or_b64 exec, exec, s[16:17]
.LBB909_590:                            ;   in Loop: Header=BB909_213 Depth=1
	s_or_b64 exec, exec, s[14:15]
.LBB909_591:                            ;   in Loop: Header=BB909_213 Depth=1
	s_or_b64 exec, exec, s[12:13]
	v_cmp_lt_u32_e32 vcc, s22, v38
	v_mov_b32_e32 v51, 0
	s_and_saveexec_b64 s[12:13], vcc
	s_cbranch_execz .LBB909_212
; %bb.592:                              ;   in Loop: Header=BB909_213 Depth=1
	v_lshrrev_b32_e32 v40, 24, v38
	v_cmp_ne_u32_e32 vcc, s9, v40
	v_mov_b32_e32 v51, 0xffff8000
	s_and_saveexec_b64 s[14:15], vcc
	s_cbranch_execz .LBB909_211
; %bb.593:                              ;   in Loop: Header=BB909_213 Depth=1
	v_bfe_u32 v38, v38, 24, 7
	v_cmp_ne_u32_e32 vcc, s21, v38
	v_mov_b32_e32 v51, 0x7f80
	s_and_saveexec_b64 s[16:17], vcc
	s_cbranch_execz .LBB909_210
; %bb.594:                              ;   in Loop: Header=BB909_213 Depth=1
	v_and_b32_e32 v51, 7, v40
	v_ffbh_u32_e32 v60, v51
	v_min_u32_e32 v62, 32, v60
	v_subrev_u32_e32 v60, 28, v62
	v_lshlrev_b64 v[60:61], v60, v[40:41]
	v_lshrrev_b32_e32 v59, 3, v38
	v_sub_u32_e32 v61, 29, v62
	v_and_b32_e32 v60, 7, v60
	v_cmp_gt_u32_e32 vcc, 8, v38
	v_cndmask_b32_e32 v38, v59, v61, vcc
	v_cndmask_b32_e32 v51, v51, v60, vcc
	v_lshlrev_b32_e32 v40, 24, v40
	v_lshlrev_b32_e32 v51, 20, v51
	v_and_b32_e32 v40, 0x80000000, v40
	v_lshl_add_u32 v38, v38, 23, v45
	v_or3_b32 v38, v40, v38, v51
	v_lshrrev_b32_e32 v51, 16, v38
	s_branch .LBB909_210
.LBB909_595:
	s_barrier
	buffer_load_dword v2, off, s[0:3], 0 offset:320
	buffer_load_dword v5, off, s[0:3], 0 offset:332
	;; [unrolled: 1-line block ×4, first 2 shown]
	v_cmp_gt_u32_e32 vcc, 64, v0
	s_waitcnt vmcnt(0)
	ds_write2st64_b64 v39, v[2:3], v[4:5] offset1:1
	s_waitcnt lgkmcnt(0)
	s_barrier
	s_and_saveexec_b64 s[4:5], vcc
	s_cbranch_execz .LBB909_597
; %bb.596:
	s_lshl_b32 s6, s50, 7
	s_mul_i32 s4, s18, s8
	s_mul_hi_u32 s5, s4, s6
	s_mul_i32 s4, s4, s6
	s_lshl_b64 s[4:5], s[4:5], 1
	s_add_u32 s7, s48, s4
	v_lshlrev_b32_e32 v4, 6, v53
	s_addc_u32 s8, s49, s5
	s_lshl_b32 s4, s26, 7
	s_mov_b32 s5, 0
	v_lshl_or_b32 v0, v0, 10, v4
	s_lshl_b64 s[4:5], s[4:5], 1
	v_lshlrev_b32_e32 v2, 5, v1
	v_and_b32_e32 v3, 16, v54
	v_and_b32_e32 v0, 0x1a00, v0
	s_add_u32 s4, s7, s4
	v_or3_b32 v0, v0, v2, v3
	s_addc_u32 s5, s8, s5
	ds_read_b128 v[2:5], v0
	ds_read_b128 v[6:9], v0 offset:128
	ds_read_b128 v[10:13], v0 offset:256
	;; [unrolled: 1-line block ×3, first 2 shown]
	v_mov_b32_e32 v0, s5
	v_add_co_u32_e32 v18, vcc, s4, v52
	v_or_b32_e32 v20, s27, v1
	v_addc_co_u32_e32 v19, vcc, 0, v0, vcc
	v_mad_u64_u32 v[0:1], s[4:5], v20, s6, 0
	v_lshlrev_b64 v[0:1], 1, v[0:1]
	v_add_co_u32_e32 v0, vcc, v18, v0
	v_addc_co_u32_e32 v1, vcc, v19, v1, vcc
	s_waitcnt lgkmcnt(3)
	global_store_dwordx4 v[0:1], v[2:5], off
	v_or_b32_e32 v0, 4, v20
	v_mad_u64_u32 v[0:1], s[4:5], v0, s6, 0
	v_lshlrev_b64 v[0:1], 1, v[0:1]
	v_add_co_u32_e32 v0, vcc, v18, v0
	v_addc_co_u32_e32 v1, vcc, v19, v1, vcc
	s_waitcnt lgkmcnt(2)
	global_store_dwordx4 v[0:1], v[6:9], off
	v_or_b32_e32 v0, 8, v20
	;; [unrolled: 7-line block ×3, first 2 shown]
	v_mad_u64_u32 v[0:1], s[4:5], v0, s6, 0
	v_lshlrev_b64 v[0:1], 1, v[0:1]
	v_add_co_u32_e32 v0, vcc, v18, v0
	v_addc_co_u32_e32 v1, vcc, v19, v1, vcc
	s_waitcnt lgkmcnt(0)
	global_store_dwordx4 v[0:1], v[14:17], off
.LBB909_597:
	s_endpgm
	.section	.rodata,"a",@progbits
	.p2align	6, 0x0
	.amdhsa_kernel _Z39paged_attention_ll4mi_QKV_mfma16_kernelI14__hip_bfloat16hLN4vllm18Fp8KVCacheDataTypeE1ES0_Li16ELi128ELi256ELb1ELi16EL8MFMAType0EEvPKT_PKT0_S9_ifPKiSB_SB_iPKfiiiPfSE_PS4_PT2_iSD_SD_
		.amdhsa_group_segment_fixed_size 8192
		.amdhsa_private_segment_fixed_size 352
		.amdhsa_kernarg_size 400
		.amdhsa_user_sgpr_count 8
		.amdhsa_user_sgpr_private_segment_buffer 1
		.amdhsa_user_sgpr_dispatch_ptr 0
		.amdhsa_user_sgpr_queue_ptr 0
		.amdhsa_user_sgpr_kernarg_segment_ptr 1
		.amdhsa_user_sgpr_dispatch_id 0
		.amdhsa_user_sgpr_flat_scratch_init 1
		.amdhsa_user_sgpr_kernarg_preload_length 0
		.amdhsa_user_sgpr_kernarg_preload_offset 0
		.amdhsa_user_sgpr_private_segment_size 0
		.amdhsa_uses_dynamic_stack 0
		.amdhsa_system_sgpr_private_segment_wavefront_offset 1
		.amdhsa_system_sgpr_workgroup_id_x 1
		.amdhsa_system_sgpr_workgroup_id_y 1
		.amdhsa_system_sgpr_workgroup_id_z 1
		.amdhsa_system_sgpr_workgroup_info 0
		.amdhsa_system_vgpr_workitem_id 0
		.amdhsa_next_free_vgpr 78
		.amdhsa_next_free_sgpr 53
		.amdhsa_accum_offset 80
		.amdhsa_reserve_vcc 1
		.amdhsa_reserve_flat_scratch 0
		.amdhsa_float_round_mode_32 0
		.amdhsa_float_round_mode_16_64 0
		.amdhsa_float_denorm_mode_32 3
		.amdhsa_float_denorm_mode_16_64 3
		.amdhsa_dx10_clamp 1
		.amdhsa_ieee_mode 1
		.amdhsa_fp16_overflow 0
		.amdhsa_tg_split 0
		.amdhsa_exception_fp_ieee_invalid_op 0
		.amdhsa_exception_fp_denorm_src 0
		.amdhsa_exception_fp_ieee_div_zero 0
		.amdhsa_exception_fp_ieee_overflow 0
		.amdhsa_exception_fp_ieee_underflow 0
		.amdhsa_exception_fp_ieee_inexact 0
		.amdhsa_exception_int_div_zero 0
	.end_amdhsa_kernel
	.section	.text._Z39paged_attention_ll4mi_QKV_mfma16_kernelI14__hip_bfloat16hLN4vllm18Fp8KVCacheDataTypeE1ES0_Li16ELi128ELi256ELb1ELi16EL8MFMAType0EEvPKT_PKT0_S9_ifPKiSB_SB_iPKfiiiPfSE_PS4_PT2_iSD_SD_,"axG",@progbits,_Z39paged_attention_ll4mi_QKV_mfma16_kernelI14__hip_bfloat16hLN4vllm18Fp8KVCacheDataTypeE1ES0_Li16ELi128ELi256ELb1ELi16EL8MFMAType0EEvPKT_PKT0_S9_ifPKiSB_SB_iPKfiiiPfSE_PS4_PT2_iSD_SD_,comdat
.Lfunc_end909:
	.size	_Z39paged_attention_ll4mi_QKV_mfma16_kernelI14__hip_bfloat16hLN4vllm18Fp8KVCacheDataTypeE1ES0_Li16ELi128ELi256ELb1ELi16EL8MFMAType0EEvPKT_PKT0_S9_ifPKiSB_SB_iPKfiiiPfSE_PS4_PT2_iSD_SD_, .Lfunc_end909-_Z39paged_attention_ll4mi_QKV_mfma16_kernelI14__hip_bfloat16hLN4vllm18Fp8KVCacheDataTypeE1ES0_Li16ELi128ELi256ELb1ELi16EL8MFMAType0EEvPKT_PKT0_S9_ifPKiSB_SB_iPKfiiiPfSE_PS4_PT2_iSD_SD_
                                        ; -- End function
	.section	.AMDGPU.csdata,"",@progbits
; Kernel info:
; codeLenInByte = 22472
; NumSgprs: 57
; NumVgprs: 78
; NumAgprs: 0
; TotalNumVgprs: 78
; ScratchSize: 352
; MemoryBound: 0
; FloatMode: 240
; IeeeMode: 1
; LDSByteSize: 8192 bytes/workgroup (compile time only)
; SGPRBlocks: 7
; VGPRBlocks: 9
; NumSGPRsForWavesPerEU: 57
; NumVGPRsForWavesPerEU: 78
; AccumOffset: 80
; Occupancy: 6
; WaveLimiterHint : 1
; COMPUTE_PGM_RSRC2:SCRATCH_EN: 1
; COMPUTE_PGM_RSRC2:USER_SGPR: 8
; COMPUTE_PGM_RSRC2:TRAP_HANDLER: 0
; COMPUTE_PGM_RSRC2:TGID_X_EN: 1
; COMPUTE_PGM_RSRC2:TGID_Y_EN: 1
; COMPUTE_PGM_RSRC2:TGID_Z_EN: 1
; COMPUTE_PGM_RSRC2:TIDIG_COMP_CNT: 0
; COMPUTE_PGM_RSRC3_GFX90A:ACCUM_OFFSET: 19
; COMPUTE_PGM_RSRC3_GFX90A:TG_SPLIT: 0
	.section	.text._Z39paged_attention_ll4mi_QKV_mfma16_kernelI14__hip_bfloat16hLN4vllm18Fp8KVCacheDataTypeE1ES0_Li16ELi128ELi256ELb1ELi1EL8MFMAType0EEvPKT_PKT0_S9_ifPKiSB_SB_iPKfiiiPfSE_PS4_PT2_iSD_SD_,"axG",@progbits,_Z39paged_attention_ll4mi_QKV_mfma16_kernelI14__hip_bfloat16hLN4vllm18Fp8KVCacheDataTypeE1ES0_Li16ELi128ELi256ELb1ELi1EL8MFMAType0EEvPKT_PKT0_S9_ifPKiSB_SB_iPKfiiiPfSE_PS4_PT2_iSD_SD_,comdat
	.protected	_Z39paged_attention_ll4mi_QKV_mfma16_kernelI14__hip_bfloat16hLN4vllm18Fp8KVCacheDataTypeE1ES0_Li16ELi128ELi256ELb1ELi1EL8MFMAType0EEvPKT_PKT0_S9_ifPKiSB_SB_iPKfiiiPfSE_PS4_PT2_iSD_SD_ ; -- Begin function _Z39paged_attention_ll4mi_QKV_mfma16_kernelI14__hip_bfloat16hLN4vllm18Fp8KVCacheDataTypeE1ES0_Li16ELi128ELi256ELb1ELi1EL8MFMAType0EEvPKT_PKT0_S9_ifPKiSB_SB_iPKfiiiPfSE_PS4_PT2_iSD_SD_
	.globl	_Z39paged_attention_ll4mi_QKV_mfma16_kernelI14__hip_bfloat16hLN4vllm18Fp8KVCacheDataTypeE1ES0_Li16ELi128ELi256ELb1ELi1EL8MFMAType0EEvPKT_PKT0_S9_ifPKiSB_SB_iPKfiiiPfSE_PS4_PT2_iSD_SD_
	.p2align	8
	.type	_Z39paged_attention_ll4mi_QKV_mfma16_kernelI14__hip_bfloat16hLN4vllm18Fp8KVCacheDataTypeE1ES0_Li16ELi128ELi256ELb1ELi1EL8MFMAType0EEvPKT_PKT0_S9_ifPKiSB_SB_iPKfiiiPfSE_PS4_PT2_iSD_SD_,@function
_Z39paged_attention_ll4mi_QKV_mfma16_kernelI14__hip_bfloat16hLN4vllm18Fp8KVCacheDataTypeE1ES0_Li16ELi128ELi256ELb1ELi1EL8MFMAType0EEvPKT_PKT0_S9_ifPKiSB_SB_iPKfiiiPfSE_PS4_PT2_iSD_SD_: ; @_Z39paged_attention_ll4mi_QKV_mfma16_kernelI14__hip_bfloat16hLN4vllm18Fp8KVCacheDataTypeE1ES0_Li16ELi128ELi256ELb1ELi1EL8MFMAType0EEvPKT_PKT0_S9_ifPKiSB_SB_iPKfiiiPfSE_PS4_PT2_iSD_SD_
; %bb.0:
	s_load_dwordx2 s[6:7], s[4:5], 0x30
	s_add_u32 s0, s0, s11
	s_addc_u32 s1, s1, 0
	s_mov_b32 s28, s9
	s_mov_b64 s[14:15], 0
	s_waitcnt lgkmcnt(0)
	s_cmp_lg_u64 s[6:7], 0
	s_cselect_b64 s[12:13], -1, 0
	s_and_b64 vcc, exec, s[12:13]
	s_cbranch_vccz .LBB910_7
; %bb.1:
	s_add_i32 s16, s8, 1
	s_mov_b32 s17, 0
	s_lshl_b64 s[18:19], s[16:17], 2
	s_add_u32 s18, s6, s18
	s_mov_b32 s9, s17
	s_addc_u32 s19, s7, s19
	s_lshl_b64 s[16:17], s[8:9], 2
	s_add_u32 s16, s6, s16
	s_addc_u32 s17, s7, s17
	s_load_dword s11, s[18:19], 0x0
	s_load_dword s20, s[16:17], 0x0
	s_waitcnt lgkmcnt(0)
	s_sub_i32 s11, s11, s20
	s_cmp_eq_u32 s11, 1
	s_cselect_b64 s[16:17], -1, 0
	s_andn2_b64 vcc, exec, s[14:15]
	s_cbranch_vccnz .LBB910_3
.LBB910_2:
	s_mov_b32 s9, 0
	s_mov_b64 s[16:17], -1
.LBB910_3:
	s_andn2_b64 vcc, exec, s[16:17]
	s_cbranch_vccnz .LBB910_599
; %bb.4:
	s_load_dwordx2 s[16:17], s[4:5], 0x28
	s_lshl_b64 s[14:15], s[8:9], 2
	s_waitcnt lgkmcnt(0)
	s_add_u32 s16, s16, s14
	s_addc_u32 s17, s17, s15
	s_load_dword s29, s[16:17], 0x0
	s_lshl_b32 s20, s28, 8
	s_waitcnt lgkmcnt(0)
	s_cmp_ge_i32 s20, s29
	s_cbranch_scc1 .LBB910_599
; %bb.5:
	s_add_i32 s18, s29, 15
	s_load_dwordx2 s[16:17], s[4:5], 0x20
	s_load_dword s11, s[4:5], 0x38
	s_ashr_i32 s19, s18, 31
	v_and_b32_e32 v1, 0xcf, v0
	s_lshr_b32 s19, s19, 28
	v_add_u32_e32 v1, s20, v1
	s_add_i32 s18, s18, s19
	v_ashrrev_i32_e32 v2, 31, v1
	s_ashr_i32 s23, s18, 4
	v_lshrrev_b32_e32 v4, 28, v2
	s_add_i32 s23, s23, -1
	v_add_u32_e32 v2, v1, v4
	s_waitcnt lgkmcnt(0)
	s_mul_i32 s18, s8, s11
	s_mov_b32 s19, 0
	v_ashrrev_i32_e32 v2, 4, v2
	v_mov_b32_e32 v5, s23
	v_cmp_gt_i32_e32 vcc, s29, v1
	s_lshl_b64 s[18:19], s[18:19], 2
	v_cndmask_b32_e32 v2, v5, v2, vcc
	s_add_u32 s21, s16, s18
	v_ashrrev_i32_e32 v3, 31, v2
	s_addc_u32 s22, s17, s19
	v_lshlrev_b64 v[2:3], 2, v[2:3]
	v_mov_b32_e32 v7, s22
	v_add_co_u32_e32 v6, vcc, s21, v2
	v_or_b32_e32 v2, 16, v1
	v_addc_co_u32_e32 v7, vcc, v7, v3, vcc
	v_add_u32_e32 v3, v2, v4
	v_ashrrev_i32_e32 v3, 4, v3
	v_cmp_gt_i32_e32 vcc, s29, v2
	v_cndmask_b32_e32 v2, v5, v3, vcc
	v_ashrrev_i32_e32 v3, 31, v2
	v_lshlrev_b64 v[2:3], 2, v[2:3]
	v_mov_b32_e32 v9, s22
	v_add_co_u32_e32 v8, vcc, s21, v2
	v_or_b32_e32 v2, 32, v1
	v_addc_co_u32_e32 v9, vcc, v9, v3, vcc
	v_add_u32_e32 v3, v2, v4
	v_ashrrev_i32_e32 v3, 4, v3
	v_cmp_gt_i32_e32 vcc, s29, v2
	v_cndmask_b32_e32 v2, v5, v3, vcc
	v_ashrrev_i32_e32 v3, 31, v2
	v_lshlrev_b64 v[2:3], 2, v[2:3]
	v_mov_b32_e32 v11, s22
	v_add_co_u32_e32 v10, vcc, s21, v2
	v_or_b32_e32 v1, 48, v1
	v_addc_co_u32_e32 v11, vcc, v11, v3, vcc
	v_add_u32_e32 v2, v1, v4
	v_ashrrev_i32_e32 v2, 4, v2
	v_cmp_gt_i32_e32 vcc, s29, v1
	v_cndmask_b32_e32 v2, v5, v2, vcc
	v_ashrrev_i32_e32 v3, 31, v2
	v_lshlrev_b64 v[2:3], 2, v[2:3]
	v_mov_b32_e32 v1, s22
	v_add_co_u32_e32 v12, vcc, s21, v2
	v_addc_co_u32_e32 v13, vcc, v1, v3, vcc
	global_load_dword v5, v[6:7], off
	global_load_dword v4, v[8:9], off
	;; [unrolled: 1-line block ×4, first 2 shown]
	s_load_dwordx2 s[16:17], s[4:5], 0x8
	s_andn2_b64 vcc, exec, s[12:13]
	s_cbranch_vccnz .LBB910_8
; %bb.6:
	s_add_u32 s6, s6, s14
	s_addc_u32 s7, s7, s15
	s_load_dword s11, s[6:7], 0x0
	s_branch .LBB910_9
.LBB910_7:
	s_mov_b64 s[16:17], 0
	s_branch .LBB910_2
.LBB910_8:
	s_mov_b32 s11, s8
.LBB910_9:
	s_load_dwordx2 s[6:7], s[4:5], 0x10
	s_load_dwordx4 s[12:15], s[4:5], 0x48
	v_lshrrev_b32_e32 v27, 6, v0
	v_bfe_u32 v39, v0, 4, 2
	v_and_b32_e32 v41, 15, v0
	v_lshl_or_b32 v1, v27, 2, v39
	v_lshlrev_b32_e32 v6, 3, v41
	v_cmp_eq_u32_e32 vcc, 0, v1
	v_lshlrev_b32_e32 v1, 1, v6
	v_lshlrev_b32_e32 v43, 4, v0
	s_and_saveexec_b64 s[18:19], vcc
	s_cbranch_execz .LBB910_11
; %bb.10:
	s_load_dwordx2 s[24:25], s[4:5], 0x0
	s_waitcnt lgkmcnt(0)
	s_ashr_i32 s15, s12, 31
	s_mul_hi_u32 s26, s11, s12
	s_mul_i32 s15, s11, s15
	s_add_i32 s27, s26, s15
	s_mul_i32 s26, s11, s12
	s_lshl_b64 s[26:27], s[26:27], 1
	s_add_u32 s11, s24, s26
	s_addc_u32 s12, s25, s27
	s_lshl_b32 s24, s10, 7
	s_ashr_i32 s25, s24, 31
	s_lshl_b64 s[24:25], s[24:25], 1
	s_add_u32 s24, s11, s24
	s_addc_u32 s25, s12, s25
	global_load_dwordx4 v[6:9], v1, s[24:25]
	v_lshlrev_b32_e32 v10, 8, v0
	v_lshlrev_b32_e32 v11, 8, v41
	v_and_b32_e32 v10, 0x600, v10
	v_and_b32_e32 v11, 0x800, v11
	;; [unrolled: 1-line block ×3, first 2 shown]
	v_or3_b32 v10, v11, v10, v12
	s_waitcnt vmcnt(0)
	ds_write_b128 v10, v[6:9]
.LBB910_11:
	s_or_b64 exec, exec, s[18:19]
	s_waitcnt lgkmcnt(0)
	s_mul_i32 s12, s10, s14
	s_add_u32 s11, s16, s12
	s_addc_u32 s14, s17, 0
	v_and_b32_e32 v6, 0xf0, v43
	v_mov_b32_e32 v7, s14
	v_add_co_u32_e32 v6, vcc, s11, v6
	v_and_b32_e32 v18, 48, v0
	v_addc_co_u32_e32 v7, vcc, 0, v7, vcc
	v_lshlrev_b32_e32 v10, 4, v18
	s_waitcnt vmcnt(3)
	v_mad_i64_i32 v[8:9], s[14:15], v5, s13, v[6:7]
	v_add_co_u32_e32 v8, vcc, v8, v10
	v_addc_co_u32_e32 v9, vcc, 0, v9, vcc
	s_waitcnt vmcnt(2)
	v_mad_i64_i32 v[4:5], s[14:15], v4, s13, v[6:7]
	v_add_co_u32_e32 v4, vcc, v4, v10
	v_addc_co_u32_e32 v5, vcc, 0, v5, vcc
	s_load_dwordx2 s[52:53], s[4:5], 0x94
	s_waitcnt lgkmcnt(0)
	s_barrier
	global_load_dwordx4 v[20:23], v[8:9], off
	global_load_dwordx4 v[28:31], v[8:9], off offset:1024
	global_load_dwordx4 v[32:35], v[4:5], off
	global_load_dwordx4 v[44:47], v[4:5], off offset:1024
	s_waitcnt vmcnt(5)
	v_mad_i64_i32 v[4:5], s[14:15], v3, s13, v[6:7]
	v_add_co_u32_e32 v4, vcc, v4, v10
	v_addc_co_u32_e32 v5, vcc, 0, v5, vcc
	s_waitcnt vmcnt(4)
	v_mad_i64_i32 v[2:3], s[14:15], v2, s13, v[6:7]
	v_add_co_u32_e32 v2, vcc, v2, v10
	v_addc_co_u32_e32 v3, vcc, 0, v3, vcc
	global_load_dwordx4 v[48:51], v[4:5], off
	global_load_dwordx4 v[52:55], v[4:5], off offset:1024
	global_load_dwordx4 v[56:59], v[2:3], off
	global_load_dwordx4 v[60:63], v[2:3], off offset:1024
	v_lshlrev_b32_e32 v14, 9, v39
	s_load_dwordx2 s[54:55], s[4:5], 0x68
	s_load_dwordx4 s[44:47], s[4:5], 0x58
	ds_read_b128 v[2:5], v14
	ds_read_b128 v[6:9], v14 offset:16
	ds_read_b128 v[10:13], v14 offset:2048
	;; [unrolled: 1-line block ×3, first 2 shown]
	s_mov_b32 s16, 0
	v_cmp_eq_u32_e32 vcc, 0, v41
	s_waitcnt vmcnt(7)
	buffer_store_dword v23, off, s[0:3], 0 offset:12
	buffer_store_dword v22, off, s[0:3], 0 offset:8
	;; [unrolled: 1-line block ×3, first 2 shown]
	buffer_store_dword v20, off, s[0:3], 0
	s_waitcnt vmcnt(10)
	buffer_store_dword v31, off, s[0:3], 0 offset:28
	buffer_store_dword v30, off, s[0:3], 0 offset:24
	buffer_store_dword v29, off, s[0:3], 0 offset:20
	buffer_store_dword v28, off, s[0:3], 0 offset:16
	s_waitcnt vmcnt(13)
	buffer_store_dword v35, off, s[0:3], 0 offset:44
	buffer_store_dword v34, off, s[0:3], 0 offset:40
	buffer_store_dword v33, off, s[0:3], 0 offset:36
	buffer_store_dword v32, off, s[0:3], 0 offset:32
	;; [unrolled: 5-line block ×7, first 2 shown]
	v_mov_b32_e32 v35, 0
	v_mov_b32_e32 v33, 0
	s_and_saveexec_b64 s[14:15], vcc
	s_cbranch_execz .LBB910_13
; %bb.12:
	s_load_dwordx2 s[18:19], s[4:5], 0x40
	s_ashr_i32 s11, s10, 31
	s_lshl_b64 s[24:25], s[10:11], 2
	s_waitcnt lgkmcnt(0)
	s_add_u32 s18, s18, s24
	s_addc_u32 s19, s19, s25
	s_load_dword s11, s[18:19], 0x0
	s_waitcnt lgkmcnt(0)
	v_mov_b32_e32 v33, s11
.LBB910_13:
	s_or_b64 exec, exec, s[14:15]
	v_or_b32_e32 v22, s20, v18
	v_ashrrev_i32_e32 v18, 4, v22
	v_mov_b32_e32 v23, s23
	v_cmp_gt_i32_e32 vcc, s29, v22
	v_cndmask_b32_e32 v18, v23, v18, vcc
	v_ashrrev_i32_e32 v19, 31, v18
	v_lshlrev_b64 v[18:19], 2, v[18:19]
	v_mov_b32_e32 v20, s22
	v_add_co_u32_e32 v18, vcc, s21, v18
	v_addc_co_u32_e32 v19, vcc, v20, v19, vcc
	global_load_dword v26, v[18:19], off
	v_or_b32_e32 v18, 64, v22
	v_ashrrev_i32_e32 v19, 4, v18
	v_cmp_gt_i32_e32 vcc, s29, v18
	v_cndmask_b32_e32 v18, v23, v19, vcc
	v_ashrrev_i32_e32 v19, 31, v18
	v_lshlrev_b64 v[18:19], 2, v[18:19]
	v_add_co_u32_e32 v18, vcc, s21, v18
	v_addc_co_u32_e32 v19, vcc, v20, v19, vcc
	v_or_b32_e32 v20, 0x80, v22
	v_ashrrev_i32_e32 v21, 4, v20
	v_cmp_gt_i32_e32 vcc, s29, v20
	v_cndmask_b32_e32 v20, v23, v21, vcc
	v_ashrrev_i32_e32 v21, 31, v20
	v_lshlrev_b64 v[20:21], 2, v[20:21]
	v_mov_b32_e32 v24, s22
	v_add_co_u32_e32 v20, vcc, s21, v20
	v_addc_co_u32_e32 v21, vcc, v24, v21, vcc
	global_load_dword v28, v[18:19], off
	global_load_dword v32, v[20:21], off
	v_or_b32_e32 v18, 0xc0, v22
	v_ashrrev_i32_e32 v19, 4, v18
	v_cmp_gt_i32_e32 vcc, s29, v18
	v_cndmask_b32_e32 v18, v23, v19, vcc
	v_ashrrev_i32_e32 v19, 31, v18
	v_lshlrev_b64 v[18:19], 2, v[18:19]
	v_mov_b32_e32 v20, s22
	v_add_co_u32_e32 v18, vcc, s21, v18
	v_addc_co_u32_e32 v19, vcc, v20, v19, vcc
	global_load_dword v34, v[18:19], off
	s_add_u32 s11, s6, s12
	v_lshl_or_b32 v29, v27, 4, v41
	s_addc_u32 s6, s7, 0
	v_lshlrev_b32_e32 v18, 4, v29
	v_mov_b32_e32 v19, s6
	v_add_co_u32_e32 v22, vcc, s11, v18
	v_addc_co_u32_e32 v23, vcc, 0, v19, vcc
	v_or_b32_e32 v24, 0x400, v18
	v_mov_b32_e32 v25, s6
	v_add_co_u32_e32 v24, vcc, s11, v24
	v_addc_co_u32_e32 v25, vcc, 0, v25, vcc
	s_movk_i32 s11, 0x80
	v_mov_b32_e32 v36, 0
	s_movk_i32 s14, 0x7f
	s_mov_b32 s15, 0xffffff
	s_mov_b32 s17, 0x5040100
	v_mov_b32_e32 v37, 0x100
	v_bfrev_b32_e32 v38, 60
	s_waitcnt vmcnt(3)
	v_mad_i64_i32 v[18:19], s[6:7], v26, s13, v[22:23]
	global_load_dwordx4 v[18:21], v[18:19], off
	v_mad_i64_i32 v[30:31], s[6:7], v26, s13, v[24:25]
	global_load_dwordx4 v[52:55], v[30:31], off
	s_waitcnt vmcnt(4)
	v_mad_i64_i32 v[30:31], s[6:7], v28, s13, v[22:23]
	global_load_dwordx4 v[56:59], v[30:31], off
	s_waitcnt vmcnt(4)
	;; [unrolled: 3-line block ×3, first 2 shown]
	v_mad_i64_i32 v[22:23], s[6:7], v34, s13, v[22:23]
	global_load_dwordx4 v[64:67], v[22:23], off
	v_mad_i64_i32 v[22:23], s[6:7], v28, s13, v[24:25]
	global_load_dwordx4 v[68:71], v[22:23], off
	;; [unrolled: 2-line block ×4, first 2 shown]
	s_load_dword s6, s[4:5], 0x1c
	s_load_dwordx4 s[48:51], s[4:5], 0x80
	v_mov_b32_e32 v22, 0x80
	v_add_u32_e32 v45, 16, v22
	v_add_u32_e32 v46, 32, v22
	;; [unrolled: 1-line block ×3, first 2 shown]
	s_waitcnt lgkmcnt(0)
	s_load_dword s4, s[48:49], 0x0
	v_add_u32_e32 v51, 64, v22
	v_add_u32_e32 v48, 0x50, v22
	;; [unrolled: 1-line block ×4, first 2 shown]
	v_mov_b32_e32 v22, s6
	s_waitcnt lgkmcnt(0)
	v_mul_f32_e32 v22, s4, v22
	v_and_b32_e32 v31, 63, v0
	v_mov_b32_e32 v24, v22
	v_mov_b32_e32 v25, v22
	s_waitcnt vmcnt(7)
	buffer_store_dword v21, off, s[0:3], 0 offset:140
	buffer_store_dword v20, off, s[0:3], 0 offset:136
	buffer_store_dword v19, off, s[0:3], 0 offset:132
	buffer_store_dword v18, off, s[0:3], 0 offset:128
	s_waitcnt vmcnt(10)
	buffer_store_dword v55, off, s[0:3], 0 offset:156
	buffer_store_dword v54, off, s[0:3], 0 offset:152
	buffer_store_dword v53, off, s[0:3], 0 offset:148
	buffer_store_dword v52, off, s[0:3], 0 offset:144
	;; [unrolled: 5-line block ×8, first 2 shown]
	s_branch .LBB910_17
.LBB910_14:                             ;   in Loop: Header=BB910_17 Depth=1
	s_or_b64 exec, exec, s[12:13]
.LBB910_15:                             ;   in Loop: Header=BB910_17 Depth=1
	s_or_b64 exec, exec, s[6:7]
.LBB910_16:                             ;   in Loop: Header=BB910_17 Depth=1
	s_or_b64 exec, exec, s[4:5]
	v_perm_b32 v55, v40, v34, s17
	v_perm_b32 v54, v23, v32, s17
	;; [unrolled: 1-line block ×4, first 2 shown]
	v_add_u32_e32 v26, s16, v37
	v_mfma_f32_16x16x16bf16_1k v[18:21], v[54:55], v[14:15], v[18:21]
	s_add_i32 s16, s16, 16
	v_mov_b32_e32 v23, v22
	s_cmp_eq_u32 s16, 64
	v_add_u32_e32 v36, 32, v36
	v_mfma_f32_16x16x16bf16_1k v[18:21], v[52:53], v[16:17], v[18:21]
	s_nop 7
	s_nop 2
	v_pk_mul_f32 v[18:19], v[24:25], v[18:19]
	v_pk_mul_f32 v[20:21], v[22:23], v[20:21]
	buffer_store_dword v19, v26, s[0:3], 0 offen offset:4
	buffer_store_dword v18, v26, s[0:3], 0 offen
	buffer_store_dword v21, v26, s[0:3], 0 offen offset:12
	buffer_store_dword v20, v26, s[0:3], 0 offen offset:8
	s_cbranch_scc1 .LBB910_207
.LBB910_17:                             ; =>This Inner Loop Header: Depth=1
	buffer_load_dword v20, v36, s[0:3], 0 offen
	buffer_load_dword v18, v36, s[0:3], 0 offen offset:4
	buffer_load_dword v28, v36, s[0:3], 0 offen offset:8
	;; [unrolled: 1-line block ×3, first 2 shown]
	v_mov_b32_e32 v19, 0
	v_mov_b32_e32 v21, 0
	s_waitcnt vmcnt(3)
	v_cmp_ne_u16_sdwa s[6:7], v20, v35 src0_sel:BYTE_0 src1_sel:DWORD
	s_and_saveexec_b64 s[4:5], s[6:7]
	s_cbranch_execz .LBB910_23
; %bb.18:                               ;   in Loop: Header=BB910_17 Depth=1
	v_cmp_ne_u16_sdwa s[12:13], v20, s11 src0_sel:BYTE_0 src1_sel:DWORD
	v_mov_b32_e32 v21, 0xffff8000
	s_and_saveexec_b64 s[6:7], s[12:13]
	s_cbranch_execz .LBB910_22
; %bb.19:                               ;   in Loop: Header=BB910_17 Depth=1
	v_and_b32_e32 v23, 0x7f, v20
	v_cmp_ne_u32_e32 vcc, s14, v23
	v_mov_b32_e32 v21, 0x7f80
	s_and_saveexec_b64 s[12:13], vcc
	s_cbranch_execz .LBB910_21
; %bb.20:                               ;   in Loop: Header=BB910_17 Depth=1
	v_and_b32_e32 v21, 7, v20
	v_ffbh_u32_e32 v32, v21
	v_min_u32_e32 v32, 32, v32
	v_subrev_u32_e32 v34, 28, v32
	v_lshlrev_b64 v[52:53], v34, v[20:21]
	v_lshrrev_b32_e32 v30, 3, v23
	v_sub_u32_e32 v32, 29, v32
	v_and_b32_e32 v34, 7, v52
	v_cmp_gt_u32_e32 vcc, 8, v23
	v_cndmask_b32_e32 v23, v30, v32, vcc
	v_cndmask_b32_e32 v21, v21, v34, vcc
	v_lshlrev_b32_e32 v30, 24, v20
	v_lshlrev_b32_e32 v21, 20, v21
	v_and_b32_e32 v30, 0x80000000, v30
	v_lshl_add_u32 v23, v23, 23, v38
	v_or3_b32 v21, v30, v23, v21
	v_lshrrev_b32_e32 v21, 16, v21
.LBB910_21:                             ;   in Loop: Header=BB910_17 Depth=1
	s_or_b64 exec, exec, s[12:13]
.LBB910_22:                             ;   in Loop: Header=BB910_17 Depth=1
	s_or_b64 exec, exec, s[6:7]
.LBB910_23:                             ;   in Loop: Header=BB910_17 Depth=1
	s_or_b64 exec, exec, s[4:5]
	v_lshrrev_b16_e32 v30, 8, v20
	v_cmp_ne_u16_e32 vcc, 0, v30
	s_and_saveexec_b64 s[4:5], vcc
	s_cbranch_execz .LBB910_29
; %bb.24:                               ;   in Loop: Header=BB910_17 Depth=1
	v_cmp_ne_u16_e32 vcc, s11, v30
	v_mov_b32_e32 v19, 0xffff8000
	s_and_saveexec_b64 s[6:7], vcc
	s_cbranch_execz .LBB910_28
; %bb.25:                               ;   in Loop: Header=BB910_17 Depth=1
	v_and_b32_e32 v23, 0x7f, v30
	v_cmp_ne_u32_e32 vcc, s14, v23
	v_mov_b32_e32 v19, 0x7f80
	s_and_saveexec_b64 s[12:13], vcc
	s_cbranch_execz .LBB910_27
; %bb.26:                               ;   in Loop: Header=BB910_17 Depth=1
	v_and_b32_e32 v19, 7, v30
	v_ffbh_u32_e32 v34, v19
	v_min_u32_e32 v34, 32, v34
	v_subrev_u32_e32 v40, 28, v34
	v_lshlrev_b64 v[52:53], v40, v[30:31]
	v_lshrrev_b32_e32 v32, 3, v23
	v_sub_u32_e32 v30, 29, v34
	v_and_b32_e32 v34, 7, v52
	v_cmp_gt_u32_e32 vcc, 8, v23
	v_cndmask_b32_e32 v23, v32, v30, vcc
	v_cndmask_b32_e32 v19, v19, v34, vcc
	v_lshlrev_b32_e32 v30, 16, v20
	v_lshlrev_b32_e32 v19, 20, v19
	v_and_b32_e32 v30, 0x80000000, v30
	v_lshl_add_u32 v23, v23, 23, v38
	v_or3_b32 v19, v30, v23, v19
	v_lshrrev_b32_e32 v19, 16, v19
.LBB910_27:                             ;   in Loop: Header=BB910_17 Depth=1
	s_or_b64 exec, exec, s[12:13]
.LBB910_28:                             ;   in Loop: Header=BB910_17 Depth=1
	s_or_b64 exec, exec, s[6:7]
.LBB910_29:                             ;   in Loop: Header=BB910_17 Depth=1
	s_or_b64 exec, exec, s[4:5]
	v_lshrrev_b32_e32 v30, 16, v20
	v_cmp_ne_u16_sdwa s[6:7], v30, v35 src0_sel:BYTE_0 src1_sel:DWORD
	v_mov_b32_e32 v32, 0
	v_mov_b32_e32 v23, 0
	s_and_saveexec_b64 s[4:5], s[6:7]
	s_cbranch_execz .LBB910_35
; %bb.30:                               ;   in Loop: Header=BB910_17 Depth=1
	v_cmp_ne_u16_sdwa s[12:13], v30, s11 src0_sel:BYTE_0 src1_sel:DWORD
	v_mov_b32_e32 v23, 0xffff8000
	s_and_saveexec_b64 s[6:7], s[12:13]
	s_cbranch_execz .LBB910_34
; %bb.31:                               ;   in Loop: Header=BB910_17 Depth=1
	v_bfe_u32 v34, v20, 16, 7
	v_cmp_ne_u32_e32 vcc, s14, v34
	v_mov_b32_e32 v23, 0x7f80
	s_and_saveexec_b64 s[12:13], vcc
	s_cbranch_execz .LBB910_33
; %bb.32:                               ;   in Loop: Header=BB910_17 Depth=1
	v_and_b32_e32 v23, 7, v30
	v_ffbh_u32_e32 v42, v23
	v_min_u32_e32 v42, 32, v42
	v_subrev_u32_e32 v44, 28, v42
	v_lshlrev_b64 v[52:53], v44, v[30:31]
	v_lshrrev_b32_e32 v40, 3, v34
	v_sub_u32_e32 v42, 29, v42
	v_and_b32_e32 v44, 7, v52
	v_cmp_gt_u32_e32 vcc, 8, v34
	v_cndmask_b32_e32 v34, v40, v42, vcc
	v_cndmask_b32_e32 v23, v23, v44, vcc
	v_lshlrev_b32_e32 v30, 24, v30
	v_lshlrev_b32_e32 v23, 20, v23
	v_and_b32_e32 v30, 0x80000000, v30
	v_lshl_add_u32 v34, v34, 23, v38
	v_or3_b32 v23, v30, v34, v23
	v_lshrrev_b32_e32 v23, 16, v23
.LBB910_33:                             ;   in Loop: Header=BB910_17 Depth=1
	s_or_b64 exec, exec, s[12:13]
.LBB910_34:                             ;   in Loop: Header=BB910_17 Depth=1
	s_or_b64 exec, exec, s[6:7]
.LBB910_35:                             ;   in Loop: Header=BB910_17 Depth=1
	s_or_b64 exec, exec, s[4:5]
	v_cmp_lt_u32_e32 vcc, s15, v20
	s_and_saveexec_b64 s[4:5], vcc
	s_cbranch_execz .LBB910_41
; %bb.36:                               ;   in Loop: Header=BB910_17 Depth=1
	v_lshrrev_b32_e32 v30, 24, v20
	v_cmp_ne_u32_e32 vcc, s11, v30
	v_mov_b32_e32 v32, 0xffff8000
	s_and_saveexec_b64 s[6:7], vcc
	s_cbranch_execz .LBB910_40
; %bb.37:                               ;   in Loop: Header=BB910_17 Depth=1
	v_bfe_u32 v20, v20, 24, 7
	v_cmp_ne_u32_e32 vcc, s14, v20
	v_mov_b32_e32 v32, 0x7f80
	s_and_saveexec_b64 s[12:13], vcc
	s_cbranch_execz .LBB910_39
; %bb.38:                               ;   in Loop: Header=BB910_17 Depth=1
	v_and_b32_e32 v32, 7, v30
	v_ffbh_u32_e32 v40, v32
	v_min_u32_e32 v40, 32, v40
	v_subrev_u32_e32 v42, 28, v40
	v_lshlrev_b64 v[52:53], v42, v[30:31]
	v_lshrrev_b32_e32 v34, 3, v20
	v_sub_u32_e32 v40, 29, v40
	v_and_b32_e32 v42, 7, v52
	v_cmp_gt_u32_e32 vcc, 8, v20
	v_cndmask_b32_e32 v20, v34, v40, vcc
	v_cndmask_b32_e32 v32, v32, v42, vcc
	v_lshlrev_b32_e32 v30, 24, v30
	v_lshlrev_b32_e32 v32, 20, v32
	v_and_b32_e32 v30, 0x80000000, v30
	v_lshl_add_u32 v20, v20, 23, v38
	v_or3_b32 v20, v30, v20, v32
	v_lshrrev_b32_e32 v32, 16, v20
.LBB910_39:                             ;   in Loop: Header=BB910_17 Depth=1
	s_or_b64 exec, exec, s[12:13]
.LBB910_40:                             ;   in Loop: Header=BB910_17 Depth=1
	s_or_b64 exec, exec, s[6:7]
.LBB910_41:                             ;   in Loop: Header=BB910_17 Depth=1
	s_or_b64 exec, exec, s[4:5]
	s_waitcnt vmcnt(2)
	v_cmp_ne_u16_sdwa s[6:7], v18, v35 src0_sel:BYTE_0 src1_sel:DWORD
	v_mov_b32_e32 v30, 0
	v_mov_b32_e32 v34, 0
	s_and_saveexec_b64 s[4:5], s[6:7]
	s_cbranch_execz .LBB910_47
; %bb.42:                               ;   in Loop: Header=BB910_17 Depth=1
	v_cmp_ne_u16_sdwa s[12:13], v18, s11 src0_sel:BYTE_0 src1_sel:DWORD
	v_mov_b32_e32 v34, 0xffff8000
	s_and_saveexec_b64 s[6:7], s[12:13]
	s_cbranch_execz .LBB910_46
; %bb.43:                               ;   in Loop: Header=BB910_17 Depth=1
	v_and_b32_e32 v20, 0x7f, v18
	v_cmp_ne_u32_e32 vcc, s14, v20
	v_mov_b32_e32 v34, 0x7f80
	s_and_saveexec_b64 s[12:13], vcc
	s_cbranch_execz .LBB910_45
; %bb.44:                               ;   in Loop: Header=BB910_17 Depth=1
	v_and_b32_e32 v34, 7, v18
	v_ffbh_u32_e32 v42, v34
	v_min_u32_e32 v42, 32, v42
	v_subrev_u32_e32 v44, 28, v42
	v_lshlrev_b64 v[52:53], v44, v[18:19]
	v_lshrrev_b32_e32 v40, 3, v20
	v_sub_u32_e32 v42, 29, v42
	v_and_b32_e32 v44, 7, v52
	v_cmp_gt_u32_e32 vcc, 8, v20
	v_cndmask_b32_e32 v20, v40, v42, vcc
	v_cndmask_b32_e32 v34, v34, v44, vcc
	v_lshlrev_b32_e32 v40, 24, v18
	v_lshlrev_b32_e32 v34, 20, v34
	v_and_b32_e32 v40, 0x80000000, v40
	v_lshl_add_u32 v20, v20, 23, v38
	v_or3_b32 v20, v40, v20, v34
	v_lshrrev_b32_e32 v34, 16, v20
.LBB910_45:                             ;   in Loop: Header=BB910_17 Depth=1
	s_or_b64 exec, exec, s[12:13]
.LBB910_46:                             ;   in Loop: Header=BB910_17 Depth=1
	s_or_b64 exec, exec, s[6:7]
.LBB910_47:                             ;   in Loop: Header=BB910_17 Depth=1
	s_or_b64 exec, exec, s[4:5]
	v_lshrrev_b16_e32 v20, 8, v18
	v_cmp_ne_u16_e32 vcc, 0, v20
	s_and_saveexec_b64 s[4:5], vcc
	s_cbranch_execz .LBB910_53
; %bb.48:                               ;   in Loop: Header=BB910_17 Depth=1
	v_cmp_ne_u16_e32 vcc, s11, v20
	v_mov_b32_e32 v30, 0xffff8000
	s_and_saveexec_b64 s[6:7], vcc
	s_cbranch_execz .LBB910_52
; %bb.49:                               ;   in Loop: Header=BB910_17 Depth=1
	v_and_b32_e32 v40, 0x7f, v20
	v_cmp_ne_u32_e32 vcc, s14, v40
	v_mov_b32_e32 v30, 0x7f80
	s_and_saveexec_b64 s[12:13], vcc
	s_cbranch_execz .LBB910_51
; %bb.50:                               ;   in Loop: Header=BB910_17 Depth=1
	v_and_b32_e32 v30, 7, v20
	v_ffbh_u32_e32 v44, v30
	v_min_u32_e32 v44, 32, v44
	v_subrev_u32_e32 v52, 28, v44
	v_lshlrev_b64 v[52:53], v52, v[20:21]
	v_lshrrev_b32_e32 v42, 3, v40
	v_sub_u32_e32 v20, 29, v44
	v_and_b32_e32 v44, 7, v52
	v_cmp_gt_u32_e32 vcc, 8, v40
	v_cndmask_b32_e32 v20, v42, v20, vcc
	v_cndmask_b32_e32 v30, v30, v44, vcc
	v_lshlrev_b32_e32 v40, 16, v18
	v_lshlrev_b32_e32 v30, 20, v30
	v_and_b32_e32 v40, 0x80000000, v40
	v_lshl_add_u32 v20, v20, 23, v38
	v_or3_b32 v20, v40, v20, v30
	v_lshrrev_b32_e32 v30, 16, v20
.LBB910_51:                             ;   in Loop: Header=BB910_17 Depth=1
	s_or_b64 exec, exec, s[12:13]
.LBB910_52:                             ;   in Loop: Header=BB910_17 Depth=1
	s_or_b64 exec, exec, s[6:7]
.LBB910_53:                             ;   in Loop: Header=BB910_17 Depth=1
	s_or_b64 exec, exec, s[4:5]
	v_lshrrev_b32_e32 v20, 16, v18
	v_cmp_ne_u16_sdwa s[6:7], v20, v35 src0_sel:BYTE_0 src1_sel:DWORD
	v_mov_b32_e32 v42, 0
	v_mov_b32_e32 v40, 0
	s_and_saveexec_b64 s[4:5], s[6:7]
	s_cbranch_execz .LBB910_59
; %bb.54:                               ;   in Loop: Header=BB910_17 Depth=1
	v_cmp_ne_u16_sdwa s[12:13], v20, s11 src0_sel:BYTE_0 src1_sel:DWORD
	v_mov_b32_e32 v40, 0xffff8000
	s_and_saveexec_b64 s[6:7], s[12:13]
	s_cbranch_execz .LBB910_58
; %bb.55:                               ;   in Loop: Header=BB910_17 Depth=1
	v_bfe_u32 v44, v18, 16, 7
	v_cmp_ne_u32_e32 vcc, s14, v44
	v_mov_b32_e32 v40, 0x7f80
	s_and_saveexec_b64 s[12:13], vcc
	s_cbranch_execz .LBB910_57
; %bb.56:                               ;   in Loop: Header=BB910_17 Depth=1
	v_and_b32_e32 v40, 7, v20
	v_ffbh_u32_e32 v52, v40
	v_min_u32_e32 v55, 32, v52
	v_subrev_u32_e32 v52, 28, v55
	v_lshlrev_b64 v[52:53], v52, v[20:21]
	v_lshrrev_b32_e32 v54, 3, v44
	v_sub_u32_e32 v53, 29, v55
	v_and_b32_e32 v52, 7, v52
	v_cmp_gt_u32_e32 vcc, 8, v44
	v_cndmask_b32_e32 v44, v54, v53, vcc
	v_cndmask_b32_e32 v40, v40, v52, vcc
	v_lshlrev_b32_e32 v20, 24, v20
	v_lshlrev_b32_e32 v40, 20, v40
	v_and_b32_e32 v20, 0x80000000, v20
	v_lshl_add_u32 v44, v44, 23, v38
	v_or3_b32 v20, v20, v44, v40
	v_lshrrev_b32_e32 v40, 16, v20
.LBB910_57:                             ;   in Loop: Header=BB910_17 Depth=1
	s_or_b64 exec, exec, s[12:13]
.LBB910_58:                             ;   in Loop: Header=BB910_17 Depth=1
	s_or_b64 exec, exec, s[6:7]
.LBB910_59:                             ;   in Loop: Header=BB910_17 Depth=1
	s_or_b64 exec, exec, s[4:5]
	v_cmp_lt_u32_e32 vcc, s15, v18
	s_and_saveexec_b64 s[4:5], vcc
	s_cbranch_execz .LBB910_65
; %bb.60:                               ;   in Loop: Header=BB910_17 Depth=1
	v_lshrrev_b32_e32 v20, 24, v18
	v_cmp_ne_u32_e32 vcc, s11, v20
	v_mov_b32_e32 v42, 0xffff8000
	s_and_saveexec_b64 s[6:7], vcc
	s_cbranch_execz .LBB910_64
; %bb.61:                               ;   in Loop: Header=BB910_17 Depth=1
	v_bfe_u32 v18, v18, 24, 7
	v_cmp_ne_u32_e32 vcc, s14, v18
	v_mov_b32_e32 v42, 0x7f80
	s_and_saveexec_b64 s[12:13], vcc
	s_cbranch_execz .LBB910_63
; %bb.62:                               ;   in Loop: Header=BB910_17 Depth=1
	v_and_b32_e32 v42, 7, v20
	v_ffbh_u32_e32 v52, v42
	v_min_u32_e32 v54, 32, v52
	v_subrev_u32_e32 v52, 28, v54
	v_lshlrev_b64 v[52:53], v52, v[20:21]
	v_lshrrev_b32_e32 v44, 3, v18
	v_sub_u32_e32 v53, 29, v54
	v_and_b32_e32 v52, 7, v52
	v_cmp_gt_u32_e32 vcc, 8, v18
	v_cndmask_b32_e32 v18, v44, v53, vcc
	v_cndmask_b32_e32 v42, v42, v52, vcc
	v_lshlrev_b32_e32 v20, 24, v20
	v_lshlrev_b32_e32 v42, 20, v42
	v_and_b32_e32 v20, 0x80000000, v20
	v_lshl_add_u32 v18, v18, 23, v38
	v_or3_b32 v18, v20, v18, v42
	v_lshrrev_b32_e32 v42, 16, v18
.LBB910_63:                             ;   in Loop: Header=BB910_17 Depth=1
	s_or_b64 exec, exec, s[12:13]
.LBB910_64:                             ;   in Loop: Header=BB910_17 Depth=1
	s_or_b64 exec, exec, s[6:7]
.LBB910_65:                             ;   in Loop: Header=BB910_17 Depth=1
	s_or_b64 exec, exec, s[4:5]
	v_perm_b32 v53, v32, v23, s17
	v_perm_b32 v52, v19, v21, s17
	s_waitcnt vmcnt(1)
	v_cmp_ne_u16_sdwa s[6:7], v28, v35 src0_sel:BYTE_0 src1_sel:DWORD
	v_mov_b32_e32 v23, 0
	v_mov_b32_e32 v32, 0
	v_mfma_f32_16x16x16bf16_1k v[18:21], v[52:53], v[2:3], 0
	v_perm_b32 v53, v42, v40, s17
	v_perm_b32 v52, v30, v34, s17
	s_nop 1
	v_mfma_f32_16x16x16bf16_1k v[18:21], v[52:53], v[4:5], v[18:21]
	s_and_saveexec_b64 s[4:5], s[6:7]
	s_cbranch_execz .LBB910_71
; %bb.66:                               ;   in Loop: Header=BB910_17 Depth=1
	v_cmp_ne_u16_sdwa s[12:13], v28, s11 src0_sel:BYTE_0 src1_sel:DWORD
	v_mov_b32_e32 v32, 0xffff8000
	s_and_saveexec_b64 s[6:7], s[12:13]
	s_cbranch_execz .LBB910_70
; %bb.67:                               ;   in Loop: Header=BB910_17 Depth=1
	v_and_b32_e32 v30, 0x7f, v28
	v_cmp_ne_u32_e32 vcc, s14, v30
	v_mov_b32_e32 v32, 0x7f80
	s_and_saveexec_b64 s[12:13], vcc
	s_cbranch_execz .LBB910_69
; %bb.68:                               ;   in Loop: Header=BB910_17 Depth=1
	v_and_b32_e32 v32, 7, v28
	v_ffbh_u32_e32 v40, v32
	v_min_u32_e32 v40, 32, v40
	v_subrev_u32_e32 v42, 28, v40
	v_lshlrev_b64 v[52:53], v42, v[28:29]
	v_lshrrev_b32_e32 v34, 3, v30
	v_sub_u32_e32 v40, 29, v40
	v_and_b32_e32 v42, 7, v52
	v_cmp_gt_u32_e32 vcc, 8, v30
	v_cndmask_b32_e32 v30, v34, v40, vcc
	v_cndmask_b32_e32 v32, v32, v42, vcc
	v_lshlrev_b32_e32 v34, 24, v28
	v_lshlrev_b32_e32 v32, 20, v32
	v_and_b32_e32 v34, 0x80000000, v34
	v_lshl_add_u32 v30, v30, 23, v38
	v_or3_b32 v30, v34, v30, v32
	v_lshrrev_b32_e32 v32, 16, v30
.LBB910_69:                             ;   in Loop: Header=BB910_17 Depth=1
	s_or_b64 exec, exec, s[12:13]
.LBB910_70:                             ;   in Loop: Header=BB910_17 Depth=1
	s_or_b64 exec, exec, s[6:7]
.LBB910_71:                             ;   in Loop: Header=BB910_17 Depth=1
	s_or_b64 exec, exec, s[4:5]
	v_lshrrev_b16_e32 v30, 8, v28
	v_cmp_ne_u16_e32 vcc, 0, v30
	s_and_saveexec_b64 s[4:5], vcc
	s_cbranch_execz .LBB910_77
; %bb.72:                               ;   in Loop: Header=BB910_17 Depth=1
	v_cmp_ne_u16_e32 vcc, s11, v30
	v_mov_b32_e32 v23, 0xffff8000
	s_and_saveexec_b64 s[6:7], vcc
	s_cbranch_execz .LBB910_76
; %bb.73:                               ;   in Loop: Header=BB910_17 Depth=1
	v_and_b32_e32 v34, 0x7f, v30
	v_cmp_ne_u32_e32 vcc, s14, v34
	v_mov_b32_e32 v23, 0x7f80
	s_and_saveexec_b64 s[12:13], vcc
	s_cbranch_execz .LBB910_75
; %bb.74:                               ;   in Loop: Header=BB910_17 Depth=1
	v_and_b32_e32 v23, 7, v30
	v_ffbh_u32_e32 v42, v23
	v_min_u32_e32 v42, 32, v42
	v_subrev_u32_e32 v44, 28, v42
	v_lshlrev_b64 v[52:53], v44, v[30:31]
	v_lshrrev_b32_e32 v40, 3, v34
	v_sub_u32_e32 v30, 29, v42
	v_and_b32_e32 v42, 7, v52
	v_cmp_gt_u32_e32 vcc, 8, v34
	v_cndmask_b32_e32 v30, v40, v30, vcc
	v_cndmask_b32_e32 v23, v23, v42, vcc
	v_lshlrev_b32_e32 v34, 16, v28
	v_lshlrev_b32_e32 v23, 20, v23
	v_and_b32_e32 v34, 0x80000000, v34
	v_lshl_add_u32 v30, v30, 23, v38
	v_or3_b32 v23, v34, v30, v23
	v_lshrrev_b32_e32 v23, 16, v23
.LBB910_75:                             ;   in Loop: Header=BB910_17 Depth=1
	s_or_b64 exec, exec, s[12:13]
.LBB910_76:                             ;   in Loop: Header=BB910_17 Depth=1
	s_or_b64 exec, exec, s[6:7]
.LBB910_77:                             ;   in Loop: Header=BB910_17 Depth=1
	s_or_b64 exec, exec, s[4:5]
	v_lshrrev_b32_e32 v30, 16, v28
	v_cmp_ne_u16_sdwa s[6:7], v30, v35 src0_sel:BYTE_0 src1_sel:DWORD
	v_mov_b32_e32 v40, 0
	v_mov_b32_e32 v34, 0
	s_and_saveexec_b64 s[4:5], s[6:7]
	s_cbranch_execz .LBB910_83
; %bb.78:                               ;   in Loop: Header=BB910_17 Depth=1
	v_cmp_ne_u16_sdwa s[12:13], v30, s11 src0_sel:BYTE_0 src1_sel:DWORD
	v_mov_b32_e32 v34, 0xffff8000
	s_and_saveexec_b64 s[6:7], s[12:13]
	s_cbranch_execz .LBB910_82
; %bb.79:                               ;   in Loop: Header=BB910_17 Depth=1
	v_bfe_u32 v42, v28, 16, 7
	v_cmp_ne_u32_e32 vcc, s14, v42
	v_mov_b32_e32 v34, 0x7f80
	s_and_saveexec_b64 s[12:13], vcc
	s_cbranch_execz .LBB910_81
; %bb.80:                               ;   in Loop: Header=BB910_17 Depth=1
	v_and_b32_e32 v34, 7, v30
	v_ffbh_u32_e32 v52, v34
	v_min_u32_e32 v54, 32, v52
	v_subrev_u32_e32 v52, 28, v54
	v_lshlrev_b64 v[52:53], v52, v[30:31]
	v_lshrrev_b32_e32 v44, 3, v42
	v_sub_u32_e32 v53, 29, v54
	v_and_b32_e32 v52, 7, v52
	v_cmp_gt_u32_e32 vcc, 8, v42
	v_cndmask_b32_e32 v42, v44, v53, vcc
	v_cndmask_b32_e32 v34, v34, v52, vcc
	v_lshlrev_b32_e32 v30, 24, v30
	v_lshlrev_b32_e32 v34, 20, v34
	v_and_b32_e32 v30, 0x80000000, v30
	v_lshl_add_u32 v42, v42, 23, v38
	v_or3_b32 v30, v30, v42, v34
	v_lshrrev_b32_e32 v34, 16, v30
.LBB910_81:                             ;   in Loop: Header=BB910_17 Depth=1
	s_or_b64 exec, exec, s[12:13]
.LBB910_82:                             ;   in Loop: Header=BB910_17 Depth=1
	s_or_b64 exec, exec, s[6:7]
.LBB910_83:                             ;   in Loop: Header=BB910_17 Depth=1
	s_or_b64 exec, exec, s[4:5]
	v_cmp_lt_u32_e32 vcc, s15, v28
	s_and_saveexec_b64 s[4:5], vcc
	s_cbranch_execz .LBB910_89
; %bb.84:                               ;   in Loop: Header=BB910_17 Depth=1
	v_lshrrev_b32_e32 v30, 24, v28
	v_cmp_ne_u32_e32 vcc, s11, v30
	v_mov_b32_e32 v40, 0xffff8000
	s_and_saveexec_b64 s[6:7], vcc
	s_cbranch_execz .LBB910_88
; %bb.85:                               ;   in Loop: Header=BB910_17 Depth=1
	v_bfe_u32 v28, v28, 24, 7
	v_cmp_ne_u32_e32 vcc, s14, v28
	v_mov_b32_e32 v40, 0x7f80
	s_and_saveexec_b64 s[12:13], vcc
	s_cbranch_execz .LBB910_87
; %bb.86:                               ;   in Loop: Header=BB910_17 Depth=1
	v_and_b32_e32 v40, 7, v30
	v_ffbh_u32_e32 v44, v40
	v_min_u32_e32 v44, 32, v44
	v_subrev_u32_e32 v52, 28, v44
	v_lshlrev_b64 v[52:53], v52, v[30:31]
	v_lshrrev_b32_e32 v42, 3, v28
	v_sub_u32_e32 v44, 29, v44
	v_and_b32_e32 v52, 7, v52
	v_cmp_gt_u32_e32 vcc, 8, v28
	v_cndmask_b32_e32 v28, v42, v44, vcc
	v_cndmask_b32_e32 v40, v40, v52, vcc
	v_lshlrev_b32_e32 v30, 24, v30
	v_lshlrev_b32_e32 v40, 20, v40
	v_and_b32_e32 v30, 0x80000000, v30
	v_lshl_add_u32 v28, v28, 23, v38
	v_or3_b32 v28, v30, v28, v40
	v_lshrrev_b32_e32 v40, 16, v28
.LBB910_87:                             ;   in Loop: Header=BB910_17 Depth=1
	s_or_b64 exec, exec, s[12:13]
.LBB910_88:                             ;   in Loop: Header=BB910_17 Depth=1
	s_or_b64 exec, exec, s[6:7]
.LBB910_89:                             ;   in Loop: Header=BB910_17 Depth=1
	s_or_b64 exec, exec, s[4:5]
	s_waitcnt vmcnt(0)
	v_cmp_ne_u16_sdwa s[6:7], v26, v35 src0_sel:BYTE_0 src1_sel:DWORD
	v_mov_b32_e32 v42, 0
	v_mov_b32_e32 v44, 0
	s_and_saveexec_b64 s[4:5], s[6:7]
	s_cbranch_execz .LBB910_95
; %bb.90:                               ;   in Loop: Header=BB910_17 Depth=1
	v_cmp_ne_u16_sdwa s[12:13], v26, s11 src0_sel:BYTE_0 src1_sel:DWORD
	v_mov_b32_e32 v44, 0xffff8000
	s_and_saveexec_b64 s[6:7], s[12:13]
	s_cbranch_execz .LBB910_94
; %bb.91:                               ;   in Loop: Header=BB910_17 Depth=1
	v_and_b32_e32 v28, 0x7f, v26
	v_cmp_ne_u32_e32 vcc, s14, v28
	v_mov_b32_e32 v44, 0x7f80
	s_and_saveexec_b64 s[12:13], vcc
	s_cbranch_execz .LBB910_93
; %bb.92:                               ;   in Loop: Header=BB910_17 Depth=1
	v_and_b32_e32 v30, 7, v26
	v_ffbh_u32_e32 v52, v30
	v_min_u32_e32 v54, 32, v52
	v_subrev_u32_e32 v52, 28, v54
	v_lshlrev_b64 v[52:53], v52, v[26:27]
	v_lshrrev_b32_e32 v44, 3, v28
	v_sub_u32_e32 v53, 29, v54
	v_and_b32_e32 v52, 7, v52
	v_cmp_gt_u32_e32 vcc, 8, v28
	v_cndmask_b32_e32 v28, v44, v53, vcc
	v_cndmask_b32_e32 v30, v30, v52, vcc
	v_lshlrev_b32_e32 v44, 24, v26
	v_lshlrev_b32_e32 v30, 20, v30
	v_and_b32_e32 v44, 0x80000000, v44
	v_lshl_add_u32 v28, v28, 23, v38
	v_or3_b32 v28, v44, v28, v30
	v_lshrrev_b32_e32 v44, 16, v28
.LBB910_93:                             ;   in Loop: Header=BB910_17 Depth=1
	s_or_b64 exec, exec, s[12:13]
.LBB910_94:                             ;   in Loop: Header=BB910_17 Depth=1
	s_or_b64 exec, exec, s[6:7]
.LBB910_95:                             ;   in Loop: Header=BB910_17 Depth=1
	s_or_b64 exec, exec, s[4:5]
	v_lshrrev_b16_e32 v28, 8, v26
	v_cmp_ne_u16_e32 vcc, 0, v28
	s_and_saveexec_b64 s[4:5], vcc
	s_cbranch_execz .LBB910_101
; %bb.96:                               ;   in Loop: Header=BB910_17 Depth=1
	v_cmp_ne_u16_e32 vcc, s11, v28
	v_mov_b32_e32 v42, 0xffff8000
	s_and_saveexec_b64 s[6:7], vcc
	s_cbranch_execz .LBB910_100
; %bb.97:                               ;   in Loop: Header=BB910_17 Depth=1
	v_and_b32_e32 v30, 0x7f, v28
	v_cmp_ne_u32_e32 vcc, s14, v30
	v_mov_b32_e32 v42, 0x7f80
	s_and_saveexec_b64 s[12:13], vcc
	s_cbranch_execz .LBB910_99
; %bb.98:                               ;   in Loop: Header=BB910_17 Depth=1
	v_and_b32_e32 v42, 7, v28
	v_ffbh_u32_e32 v52, v42
	v_min_u32_e32 v55, 32, v52
	v_subrev_u32_e32 v52, 28, v55
	v_lshlrev_b64 v[52:53], v52, v[28:29]
	v_lshrrev_b32_e32 v54, 3, v30
	v_sub_u32_e32 v28, 29, v55
	v_and_b32_e32 v52, 7, v52
	v_cmp_gt_u32_e32 vcc, 8, v30
	v_cndmask_b32_e32 v28, v54, v28, vcc
	v_cndmask_b32_e32 v30, v42, v52, vcc
	v_lshlrev_b32_e32 v42, 16, v26
	v_lshlrev_b32_e32 v30, 20, v30
	v_and_b32_e32 v42, 0x80000000, v42
	v_lshl_add_u32 v28, v28, 23, v38
	v_or3_b32 v28, v42, v28, v30
	v_lshrrev_b32_e32 v42, 16, v28
.LBB910_99:                             ;   in Loop: Header=BB910_17 Depth=1
	s_or_b64 exec, exec, s[12:13]
.LBB910_100:                            ;   in Loop: Header=BB910_17 Depth=1
	s_or_b64 exec, exec, s[6:7]
.LBB910_101:                            ;   in Loop: Header=BB910_17 Depth=1
	s_or_b64 exec, exec, s[4:5]
	v_lshrrev_b32_e32 v28, 16, v26
	v_cmp_ne_u16_sdwa s[6:7], v28, v35 src0_sel:BYTE_0 src1_sel:DWORD
	v_mov_b32_e32 v53, 0
	v_mov_b32_e32 v52, 0
	s_and_saveexec_b64 s[4:5], s[6:7]
	s_cbranch_execz .LBB910_107
; %bb.102:                              ;   in Loop: Header=BB910_17 Depth=1
	v_cmp_ne_u16_sdwa s[12:13], v28, s11 src0_sel:BYTE_0 src1_sel:DWORD
	v_mov_b32_e32 v52, 0xffff8000
	s_and_saveexec_b64 s[6:7], s[12:13]
	s_cbranch_execz .LBB910_106
; %bb.103:                              ;   in Loop: Header=BB910_17 Depth=1
	v_bfe_u32 v30, v26, 16, 7
	v_cmp_ne_u32_e32 vcc, s14, v30
	v_mov_b32_e32 v52, 0x7f80
	s_and_saveexec_b64 s[12:13], vcc
	s_cbranch_execz .LBB910_105
; %bb.104:                              ;   in Loop: Header=BB910_17 Depth=1
	v_and_b32_e32 v52, 7, v28
	v_ffbh_u32_e32 v54, v52
	v_min_u32_e32 v57, 32, v54
	v_subrev_u32_e32 v54, 28, v57
	v_lshlrev_b64 v[54:55], v54, v[28:29]
	v_lshrrev_b32_e32 v56, 3, v30
	v_sub_u32_e32 v55, 29, v57
	v_and_b32_e32 v54, 7, v54
	v_cmp_gt_u32_e32 vcc, 8, v30
	v_cndmask_b32_e32 v30, v56, v55, vcc
	v_cndmask_b32_e32 v52, v52, v54, vcc
	v_lshlrev_b32_e32 v28, 24, v28
	v_lshlrev_b32_e32 v52, 20, v52
	v_and_b32_e32 v28, 0x80000000, v28
	v_lshl_add_u32 v30, v30, 23, v38
	v_or3_b32 v28, v28, v30, v52
	v_lshrrev_b32_e32 v52, 16, v28
.LBB910_105:                            ;   in Loop: Header=BB910_17 Depth=1
	s_or_b64 exec, exec, s[12:13]
.LBB910_106:                            ;   in Loop: Header=BB910_17 Depth=1
	s_or_b64 exec, exec, s[6:7]
.LBB910_107:                            ;   in Loop: Header=BB910_17 Depth=1
	s_or_b64 exec, exec, s[4:5]
	v_cmp_lt_u32_e32 vcc, s15, v26
	s_and_saveexec_b64 s[4:5], vcc
	s_cbranch_execz .LBB910_113
; %bb.108:                              ;   in Loop: Header=BB910_17 Depth=1
	v_lshrrev_b32_e32 v28, 24, v26
	v_cmp_ne_u32_e32 vcc, s11, v28
	v_mov_b32_e32 v53, 0xffff8000
	s_and_saveexec_b64 s[6:7], vcc
	s_cbranch_execz .LBB910_112
; %bb.109:                              ;   in Loop: Header=BB910_17 Depth=1
	v_bfe_u32 v26, v26, 24, 7
	v_cmp_ne_u32_e32 vcc, s14, v26
	v_mov_b32_e32 v53, 0x7f80
	s_and_saveexec_b64 s[12:13], vcc
	s_cbranch_execz .LBB910_111
; %bb.110:                              ;   in Loop: Header=BB910_17 Depth=1
	v_and_b32_e32 v30, 7, v28
	v_ffbh_u32_e32 v54, v30
	v_min_u32_e32 v56, 32, v54
	v_subrev_u32_e32 v54, 28, v56
	v_lshlrev_b64 v[54:55], v54, v[28:29]
	v_lshrrev_b32_e32 v53, 3, v26
	v_sub_u32_e32 v55, 29, v56
	v_and_b32_e32 v54, 7, v54
	v_cmp_gt_u32_e32 vcc, 8, v26
	v_cndmask_b32_e32 v26, v53, v55, vcc
	v_cndmask_b32_e32 v30, v30, v54, vcc
	v_lshlrev_b32_e32 v28, 24, v28
	v_lshlrev_b32_e32 v30, 20, v30
	v_and_b32_e32 v28, 0x80000000, v28
	v_lshl_add_u32 v26, v26, 23, v38
	v_or3_b32 v26, v28, v26, v30
	v_lshrrev_b32_e32 v53, 16, v26
.LBB910_111:                            ;   in Loop: Header=BB910_17 Depth=1
	s_or_b64 exec, exec, s[12:13]
.LBB910_112:                            ;   in Loop: Header=BB910_17 Depth=1
	s_or_b64 exec, exec, s[6:7]
.LBB910_113:                            ;   in Loop: Header=BB910_17 Depth=1
	s_or_b64 exec, exec, s[4:5]
	v_perm_b32 v54, v23, v32, s17
	buffer_load_dword v32, v36, s[0:3], 0 offen offset:16
	buffer_load_dword v30, v36, s[0:3], 0 offen offset:20
	buffer_load_dword v28, v36, s[0:3], 0 offen offset:24
	buffer_load_dword v26, v36, s[0:3], 0 offen offset:28
	v_perm_b32 v55, v40, v34, s17
	v_perm_b32 v53, v53, v52, s17
	;; [unrolled: 1-line block ×3, first 2 shown]
	v_mfma_f32_16x16x16bf16_1k v[18:21], v[54:55], v[6:7], v[18:21]
	v_mov_b32_e32 v23, 0
	v_mov_b32_e32 v40, 0
	s_waitcnt vmcnt(3)
	v_cmp_ne_u16_sdwa s[6:7], v32, v35 src0_sel:BYTE_0 src1_sel:DWORD
	v_mfma_f32_16x16x16bf16_1k v[18:21], v[52:53], v[8:9], v[18:21]
	s_and_saveexec_b64 s[4:5], s[6:7]
	s_cbranch_execz .LBB910_119
; %bb.114:                              ;   in Loop: Header=BB910_17 Depth=1
	v_cmp_ne_u16_sdwa s[12:13], v32, s11 src0_sel:BYTE_0 src1_sel:DWORD
	v_mov_b32_e32 v40, 0xffff8000
	s_and_saveexec_b64 s[6:7], s[12:13]
	s_cbranch_execz .LBB910_118
; %bb.115:                              ;   in Loop: Header=BB910_17 Depth=1
	v_and_b32_e32 v34, 0x7f, v32
	v_cmp_ne_u32_e32 vcc, s14, v34
	v_mov_b32_e32 v40, 0x7f80
	s_and_saveexec_b64 s[12:13], vcc
	s_cbranch_execz .LBB910_117
; %bb.116:                              ;   in Loop: Header=BB910_17 Depth=1
	v_and_b32_e32 v40, 7, v32
	v_ffbh_u32_e32 v44, v40
	v_min_u32_e32 v44, 32, v44
	v_subrev_u32_e32 v52, 28, v44
	v_lshlrev_b64 v[52:53], v52, v[32:33]
	v_lshrrev_b32_e32 v42, 3, v34
	v_sub_u32_e32 v44, 29, v44
	v_and_b32_e32 v52, 7, v52
	v_cmp_gt_u32_e32 vcc, 8, v34
	v_cndmask_b32_e32 v34, v42, v44, vcc
	v_cndmask_b32_e32 v40, v40, v52, vcc
	v_lshlrev_b32_e32 v42, 24, v32
	v_lshlrev_b32_e32 v40, 20, v40
	v_and_b32_e32 v42, 0x80000000, v42
	v_lshl_add_u32 v34, v34, 23, v38
	v_or3_b32 v34, v42, v34, v40
	v_lshrrev_b32_e32 v40, 16, v34
.LBB910_117:                            ;   in Loop: Header=BB910_17 Depth=1
	s_or_b64 exec, exec, s[12:13]
.LBB910_118:                            ;   in Loop: Header=BB910_17 Depth=1
	s_or_b64 exec, exec, s[6:7]
.LBB910_119:                            ;   in Loop: Header=BB910_17 Depth=1
	s_or_b64 exec, exec, s[4:5]
	v_lshrrev_b16_e32 v34, 8, v32
	v_cmp_ne_u16_e32 vcc, 0, v34
	s_and_saveexec_b64 s[4:5], vcc
	s_cbranch_execz .LBB910_125
; %bb.120:                              ;   in Loop: Header=BB910_17 Depth=1
	v_cmp_ne_u16_e32 vcc, s11, v34
	v_mov_b32_e32 v23, 0xffff8000
	s_and_saveexec_b64 s[6:7], vcc
	s_cbranch_execz .LBB910_124
; %bb.121:                              ;   in Loop: Header=BB910_17 Depth=1
	v_and_b32_e32 v42, 0x7f, v34
	v_cmp_ne_u32_e32 vcc, s14, v42
	v_mov_b32_e32 v23, 0x7f80
	s_and_saveexec_b64 s[12:13], vcc
	s_cbranch_execz .LBB910_123
; %bb.122:                              ;   in Loop: Header=BB910_17 Depth=1
	v_and_b32_e32 v23, 7, v34
	v_ffbh_u32_e32 v52, v23
	v_min_u32_e32 v54, 32, v52
	v_subrev_u32_e32 v52, 28, v54
	v_lshlrev_b64 v[52:53], v52, v[34:35]
	v_lshrrev_b32_e32 v44, 3, v42
	v_sub_u32_e32 v34, 29, v54
	v_and_b32_e32 v52, 7, v52
	v_cmp_gt_u32_e32 vcc, 8, v42
	v_cndmask_b32_e32 v34, v44, v34, vcc
	v_cndmask_b32_e32 v23, v23, v52, vcc
	v_lshlrev_b32_e32 v42, 16, v32
	v_lshlrev_b32_e32 v23, 20, v23
	v_and_b32_e32 v42, 0x80000000, v42
	v_lshl_add_u32 v34, v34, 23, v38
	v_or3_b32 v23, v42, v34, v23
	v_lshrrev_b32_e32 v23, 16, v23
.LBB910_123:                            ;   in Loop: Header=BB910_17 Depth=1
	s_or_b64 exec, exec, s[12:13]
.LBB910_124:                            ;   in Loop: Header=BB910_17 Depth=1
	s_or_b64 exec, exec, s[6:7]
.LBB910_125:                            ;   in Loop: Header=BB910_17 Depth=1
	s_or_b64 exec, exec, s[4:5]
	v_lshrrev_b32_e32 v34, 16, v32
	v_cmp_ne_u16_sdwa s[6:7], v34, v35 src0_sel:BYTE_0 src1_sel:DWORD
	v_mov_b32_e32 v44, 0
	v_mov_b32_e32 v42, 0
	s_and_saveexec_b64 s[4:5], s[6:7]
	s_cbranch_execz .LBB910_131
; %bb.126:                              ;   in Loop: Header=BB910_17 Depth=1
	v_cmp_ne_u16_sdwa s[12:13], v34, s11 src0_sel:BYTE_0 src1_sel:DWORD
	v_mov_b32_e32 v42, 0xffff8000
	s_and_saveexec_b64 s[6:7], s[12:13]
	s_cbranch_execz .LBB910_130
; %bb.127:                              ;   in Loop: Header=BB910_17 Depth=1
	v_bfe_u32 v52, v32, 16, 7
	v_cmp_ne_u32_e32 vcc, s14, v52
	v_mov_b32_e32 v42, 0x7f80
	s_and_saveexec_b64 s[12:13], vcc
	s_cbranch_execz .LBB910_129
; %bb.128:                              ;   in Loop: Header=BB910_17 Depth=1
	v_and_b32_e32 v42, 7, v34
	v_ffbh_u32_e32 v54, v42
	v_min_u32_e32 v56, 32, v54
	v_subrev_u32_e32 v54, 28, v56
	v_lshlrev_b64 v[54:55], v54, v[34:35]
	v_lshrrev_b32_e32 v53, 3, v52
	v_sub_u32_e32 v55, 29, v56
	v_and_b32_e32 v54, 7, v54
	v_cmp_gt_u32_e32 vcc, 8, v52
	v_cndmask_b32_e32 v52, v53, v55, vcc
	v_cndmask_b32_e32 v42, v42, v54, vcc
	v_lshlrev_b32_e32 v34, 24, v34
	v_lshlrev_b32_e32 v42, 20, v42
	v_and_b32_e32 v34, 0x80000000, v34
	v_lshl_add_u32 v52, v52, 23, v38
	v_or3_b32 v34, v34, v52, v42
	v_lshrrev_b32_e32 v42, 16, v34
.LBB910_129:                            ;   in Loop: Header=BB910_17 Depth=1
	s_or_b64 exec, exec, s[12:13]
.LBB910_130:                            ;   in Loop: Header=BB910_17 Depth=1
	s_or_b64 exec, exec, s[6:7]
.LBB910_131:                            ;   in Loop: Header=BB910_17 Depth=1
	s_or_b64 exec, exec, s[4:5]
	v_cmp_lt_u32_e32 vcc, s15, v32
	s_and_saveexec_b64 s[4:5], vcc
	s_cbranch_execz .LBB910_137
; %bb.132:                              ;   in Loop: Header=BB910_17 Depth=1
	v_lshrrev_b32_e32 v34, 24, v32
	v_cmp_ne_u32_e32 vcc, s11, v34
	v_mov_b32_e32 v44, 0xffff8000
	s_and_saveexec_b64 s[6:7], vcc
	s_cbranch_execz .LBB910_136
; %bb.133:                              ;   in Loop: Header=BB910_17 Depth=1
	v_bfe_u32 v32, v32, 24, 7
	v_cmp_ne_u32_e32 vcc, s14, v32
	v_mov_b32_e32 v44, 0x7f80
	s_and_saveexec_b64 s[12:13], vcc
	s_cbranch_execz .LBB910_135
; %bb.134:                              ;   in Loop: Header=BB910_17 Depth=1
	v_and_b32_e32 v44, 7, v34
	v_ffbh_u32_e32 v52, v44
	v_min_u32_e32 v55, 32, v52
	v_subrev_u32_e32 v52, 28, v55
	v_lshlrev_b64 v[52:53], v52, v[34:35]
	v_lshrrev_b32_e32 v54, 3, v32
	v_sub_u32_e32 v53, 29, v55
	v_and_b32_e32 v52, 7, v52
	v_cmp_gt_u32_e32 vcc, 8, v32
	v_cndmask_b32_e32 v32, v54, v53, vcc
	v_cndmask_b32_e32 v44, v44, v52, vcc
	v_lshlrev_b32_e32 v34, 24, v34
	v_lshlrev_b32_e32 v44, 20, v44
	v_and_b32_e32 v34, 0x80000000, v34
	v_lshl_add_u32 v32, v32, 23, v38
	v_or3_b32 v32, v34, v32, v44
	v_lshrrev_b32_e32 v44, 16, v32
.LBB910_135:                            ;   in Loop: Header=BB910_17 Depth=1
	s_or_b64 exec, exec, s[12:13]
.LBB910_136:                            ;   in Loop: Header=BB910_17 Depth=1
	s_or_b64 exec, exec, s[6:7]
.LBB910_137:                            ;   in Loop: Header=BB910_17 Depth=1
	s_or_b64 exec, exec, s[4:5]
	s_waitcnt vmcnt(2)
	v_cmp_ne_u16_sdwa s[6:7], v30, v35 src0_sel:BYTE_0 src1_sel:DWORD
	v_mov_b32_e32 v34, 0
	v_mov_b32_e32 v52, 0
	s_and_saveexec_b64 s[4:5], s[6:7]
	s_cbranch_execz .LBB910_143
; %bb.138:                              ;   in Loop: Header=BB910_17 Depth=1
	v_cmp_ne_u16_sdwa s[12:13], v30, s11 src0_sel:BYTE_0 src1_sel:DWORD
	v_mov_b32_e32 v52, 0xffff8000
	s_and_saveexec_b64 s[6:7], s[12:13]
	s_cbranch_execz .LBB910_142
; %bb.139:                              ;   in Loop: Header=BB910_17 Depth=1
	v_and_b32_e32 v32, 0x7f, v30
	v_cmp_ne_u32_e32 vcc, s14, v32
	v_mov_b32_e32 v52, 0x7f80
	s_and_saveexec_b64 s[12:13], vcc
	s_cbranch_execz .LBB910_141
; %bb.140:                              ;   in Loop: Header=BB910_17 Depth=1
	v_and_b32_e32 v54, 7, v30
	v_ffbh_u32_e32 v52, v54
	v_min_u32_e32 v56, 32, v52
	v_subrev_u32_e32 v52, 28, v56
	v_lshlrev_b64 v[52:53], v52, v[30:31]
	v_lshrrev_b32_e32 v55, 3, v32
	v_sub_u32_e32 v53, 29, v56
	v_and_b32_e32 v52, 7, v52
	v_cmp_gt_u32_e32 vcc, 8, v32
	v_cndmask_b32_e32 v32, v55, v53, vcc
	v_cndmask_b32_e32 v52, v54, v52, vcc
	v_lshlrev_b32_e32 v53, 24, v30
	v_lshlrev_b32_e32 v52, 20, v52
	v_and_b32_e32 v53, 0x80000000, v53
	v_lshl_add_u32 v32, v32, 23, v38
	v_or3_b32 v32, v53, v32, v52
	v_lshrrev_b32_e32 v52, 16, v32
.LBB910_141:                            ;   in Loop: Header=BB910_17 Depth=1
	s_or_b64 exec, exec, s[12:13]
.LBB910_142:                            ;   in Loop: Header=BB910_17 Depth=1
	s_or_b64 exec, exec, s[6:7]
.LBB910_143:                            ;   in Loop: Header=BB910_17 Depth=1
	s_or_b64 exec, exec, s[4:5]
	v_lshrrev_b16_e32 v32, 8, v30
	v_cmp_ne_u16_e32 vcc, 0, v32
	s_and_saveexec_b64 s[4:5], vcc
	s_cbranch_execz .LBB910_149
; %bb.144:                              ;   in Loop: Header=BB910_17 Depth=1
	v_cmp_ne_u16_e32 vcc, s11, v32
	v_mov_b32_e32 v34, 0xffff8000
	s_and_saveexec_b64 s[6:7], vcc
	s_cbranch_execz .LBB910_148
; %bb.145:                              ;   in Loop: Header=BB910_17 Depth=1
	v_and_b32_e32 v53, 0x7f, v32
	v_cmp_ne_u32_e32 vcc, s14, v53
	v_mov_b32_e32 v34, 0x7f80
	s_and_saveexec_b64 s[12:13], vcc
	s_cbranch_execz .LBB910_147
; %bb.146:                              ;   in Loop: Header=BB910_17 Depth=1
	v_and_b32_e32 v34, 7, v32
	v_ffbh_u32_e32 v54, v34
	v_min_u32_e32 v57, 32, v54
	v_subrev_u32_e32 v54, 28, v57
	v_lshlrev_b64 v[54:55], v54, v[32:33]
	v_lshrrev_b32_e32 v56, 3, v53
	v_sub_u32_e32 v32, 29, v57
	v_and_b32_e32 v54, 7, v54
	v_cmp_gt_u32_e32 vcc, 8, v53
	v_cndmask_b32_e32 v32, v56, v32, vcc
	v_cndmask_b32_e32 v34, v34, v54, vcc
	v_lshlrev_b32_e32 v53, 16, v30
	v_lshlrev_b32_e32 v34, 20, v34
	v_and_b32_e32 v53, 0x80000000, v53
	v_lshl_add_u32 v32, v32, 23, v38
	v_or3_b32 v32, v53, v32, v34
	v_lshrrev_b32_e32 v34, 16, v32
.LBB910_147:                            ;   in Loop: Header=BB910_17 Depth=1
	s_or_b64 exec, exec, s[12:13]
.LBB910_148:                            ;   in Loop: Header=BB910_17 Depth=1
	s_or_b64 exec, exec, s[6:7]
.LBB910_149:                            ;   in Loop: Header=BB910_17 Depth=1
	s_or_b64 exec, exec, s[4:5]
	v_lshrrev_b32_e32 v32, 16, v30
	v_cmp_ne_u16_sdwa s[6:7], v32, v35 src0_sel:BYTE_0 src1_sel:DWORD
	v_mov_b32_e32 v54, 0
	v_mov_b32_e32 v53, 0
	s_and_saveexec_b64 s[4:5], s[6:7]
	s_cbranch_execz .LBB910_155
; %bb.150:                              ;   in Loop: Header=BB910_17 Depth=1
	v_cmp_ne_u16_sdwa s[12:13], v32, s11 src0_sel:BYTE_0 src1_sel:DWORD
	v_mov_b32_e32 v53, 0xffff8000
	s_and_saveexec_b64 s[6:7], s[12:13]
	s_cbranch_execz .LBB910_154
; %bb.151:                              ;   in Loop: Header=BB910_17 Depth=1
	v_bfe_u32 v55, v30, 16, 7
	v_cmp_ne_u32_e32 vcc, s14, v55
	v_mov_b32_e32 v53, 0x7f80
	s_and_saveexec_b64 s[12:13], vcc
	s_cbranch_execz .LBB910_153
; %bb.152:                              ;   in Loop: Header=BB910_17 Depth=1
	v_and_b32_e32 v53, 7, v32
	v_ffbh_u32_e32 v56, v53
	v_min_u32_e32 v59, 32, v56
	v_subrev_u32_e32 v56, 28, v59
	v_lshlrev_b64 v[56:57], v56, v[32:33]
	v_lshrrev_b32_e32 v58, 3, v55
	v_sub_u32_e32 v57, 29, v59
	v_and_b32_e32 v56, 7, v56
	v_cmp_gt_u32_e32 vcc, 8, v55
	v_cndmask_b32_e32 v55, v58, v57, vcc
	v_cndmask_b32_e32 v53, v53, v56, vcc
	v_lshlrev_b32_e32 v32, 24, v32
	v_lshlrev_b32_e32 v53, 20, v53
	v_and_b32_e32 v32, 0x80000000, v32
	v_lshl_add_u32 v55, v55, 23, v38
	v_or3_b32 v32, v32, v55, v53
	v_lshrrev_b32_e32 v53, 16, v32
.LBB910_153:                            ;   in Loop: Header=BB910_17 Depth=1
	s_or_b64 exec, exec, s[12:13]
.LBB910_154:                            ;   in Loop: Header=BB910_17 Depth=1
	s_or_b64 exec, exec, s[6:7]
.LBB910_155:                            ;   in Loop: Header=BB910_17 Depth=1
	s_or_b64 exec, exec, s[4:5]
	v_cmp_lt_u32_e32 vcc, s15, v30
	s_and_saveexec_b64 s[4:5], vcc
	s_cbranch_execz .LBB910_161
; %bb.156:                              ;   in Loop: Header=BB910_17 Depth=1
	v_lshrrev_b32_e32 v32, 24, v30
	v_cmp_ne_u32_e32 vcc, s11, v32
	v_mov_b32_e32 v54, 0xffff8000
	s_and_saveexec_b64 s[6:7], vcc
	s_cbranch_execz .LBB910_160
; %bb.157:                              ;   in Loop: Header=BB910_17 Depth=1
	v_bfe_u32 v30, v30, 24, 7
	v_cmp_ne_u32_e32 vcc, s14, v30
	v_mov_b32_e32 v54, 0x7f80
	s_and_saveexec_b64 s[12:13], vcc
	s_cbranch_execz .LBB910_159
; %bb.158:                              ;   in Loop: Header=BB910_17 Depth=1
	v_and_b32_e32 v56, 7, v32
	v_ffbh_u32_e32 v54, v56
	v_min_u32_e32 v58, 32, v54
	v_subrev_u32_e32 v54, 28, v58
	v_lshlrev_b64 v[54:55], v54, v[32:33]
	v_lshrrev_b32_e32 v57, 3, v30
	v_sub_u32_e32 v55, 29, v58
	v_and_b32_e32 v54, 7, v54
	v_cmp_gt_u32_e32 vcc, 8, v30
	v_cndmask_b32_e32 v30, v57, v55, vcc
	v_cndmask_b32_e32 v54, v56, v54, vcc
	v_lshlrev_b32_e32 v32, 24, v32
	v_lshlrev_b32_e32 v54, 20, v54
	v_and_b32_e32 v32, 0x80000000, v32
	v_lshl_add_u32 v30, v30, 23, v38
	v_or3_b32 v30, v32, v30, v54
	v_lshrrev_b32_e32 v54, 16, v30
.LBB910_159:                            ;   in Loop: Header=BB910_17 Depth=1
	s_or_b64 exec, exec, s[12:13]
.LBB910_160:                            ;   in Loop: Header=BB910_17 Depth=1
	s_or_b64 exec, exec, s[6:7]
.LBB910_161:                            ;   in Loop: Header=BB910_17 Depth=1
	s_or_b64 exec, exec, s[4:5]
	v_perm_b32 v57, v44, v42, s17
	v_perm_b32 v56, v23, v40, s17
	;; [unrolled: 1-line block ×4, first 2 shown]
	s_waitcnt vmcnt(1)
	v_cmp_ne_u16_sdwa s[6:7], v28, v35 src0_sel:BYTE_0 src1_sel:DWORD
	v_mfma_f32_16x16x16bf16_1k v[18:21], v[56:57], v[10:11], v[18:21]
	v_mov_b32_e32 v23, 0
	v_mov_b32_e32 v32, 0
	v_mfma_f32_16x16x16bf16_1k v[18:21], v[52:53], v[12:13], v[18:21]
	s_and_saveexec_b64 s[4:5], s[6:7]
	s_cbranch_execz .LBB910_167
; %bb.162:                              ;   in Loop: Header=BB910_17 Depth=1
	v_cmp_ne_u16_sdwa s[12:13], v28, s11 src0_sel:BYTE_0 src1_sel:DWORD
	v_mov_b32_e32 v32, 0xffff8000
	s_and_saveexec_b64 s[6:7], s[12:13]
	s_cbranch_execz .LBB910_166
; %bb.163:                              ;   in Loop: Header=BB910_17 Depth=1
	v_and_b32_e32 v30, 0x7f, v28
	v_cmp_ne_u32_e32 vcc, s14, v30
	v_mov_b32_e32 v32, 0x7f80
	s_and_saveexec_b64 s[12:13], vcc
	s_cbranch_execz .LBB910_165
; %bb.164:                              ;   in Loop: Header=BB910_17 Depth=1
	v_and_b32_e32 v32, 7, v28
	v_ffbh_u32_e32 v40, v32
	v_min_u32_e32 v40, 32, v40
	v_subrev_u32_e32 v42, 28, v40
	v_lshlrev_b64 v[52:53], v42, v[28:29]
	v_lshrrev_b32_e32 v34, 3, v30
	v_sub_u32_e32 v40, 29, v40
	v_and_b32_e32 v42, 7, v52
	v_cmp_gt_u32_e32 vcc, 8, v30
	v_cndmask_b32_e32 v30, v34, v40, vcc
	v_cndmask_b32_e32 v32, v32, v42, vcc
	v_lshlrev_b32_e32 v34, 24, v28
	v_lshlrev_b32_e32 v32, 20, v32
	v_and_b32_e32 v34, 0x80000000, v34
	v_lshl_add_u32 v30, v30, 23, v38
	v_or3_b32 v30, v34, v30, v32
	v_lshrrev_b32_e32 v32, 16, v30
.LBB910_165:                            ;   in Loop: Header=BB910_17 Depth=1
	s_or_b64 exec, exec, s[12:13]
.LBB910_166:                            ;   in Loop: Header=BB910_17 Depth=1
	s_or_b64 exec, exec, s[6:7]
.LBB910_167:                            ;   in Loop: Header=BB910_17 Depth=1
	s_or_b64 exec, exec, s[4:5]
	v_lshrrev_b16_e32 v30, 8, v28
	v_cmp_ne_u16_e32 vcc, 0, v30
	s_and_saveexec_b64 s[4:5], vcc
	s_cbranch_execz .LBB910_173
; %bb.168:                              ;   in Loop: Header=BB910_17 Depth=1
	v_cmp_ne_u16_e32 vcc, s11, v30
	v_mov_b32_e32 v23, 0xffff8000
	s_and_saveexec_b64 s[6:7], vcc
	s_cbranch_execz .LBB910_172
; %bb.169:                              ;   in Loop: Header=BB910_17 Depth=1
	v_and_b32_e32 v34, 0x7f, v30
	v_cmp_ne_u32_e32 vcc, s14, v34
	v_mov_b32_e32 v23, 0x7f80
	s_and_saveexec_b64 s[12:13], vcc
	s_cbranch_execz .LBB910_171
; %bb.170:                              ;   in Loop: Header=BB910_17 Depth=1
	v_and_b32_e32 v23, 7, v30
	v_ffbh_u32_e32 v42, v23
	v_min_u32_e32 v42, 32, v42
	v_subrev_u32_e32 v44, 28, v42
	v_lshlrev_b64 v[52:53], v44, v[30:31]
	v_lshrrev_b32_e32 v40, 3, v34
	v_sub_u32_e32 v30, 29, v42
	v_and_b32_e32 v42, 7, v52
	v_cmp_gt_u32_e32 vcc, 8, v34
	v_cndmask_b32_e32 v30, v40, v30, vcc
	v_cndmask_b32_e32 v23, v23, v42, vcc
	v_lshlrev_b32_e32 v34, 16, v28
	v_lshlrev_b32_e32 v23, 20, v23
	v_and_b32_e32 v34, 0x80000000, v34
	v_lshl_add_u32 v30, v30, 23, v38
	v_or3_b32 v23, v34, v30, v23
	v_lshrrev_b32_e32 v23, 16, v23
.LBB910_171:                            ;   in Loop: Header=BB910_17 Depth=1
	s_or_b64 exec, exec, s[12:13]
.LBB910_172:                            ;   in Loop: Header=BB910_17 Depth=1
	s_or_b64 exec, exec, s[6:7]
.LBB910_173:                            ;   in Loop: Header=BB910_17 Depth=1
	s_or_b64 exec, exec, s[4:5]
	v_lshrrev_b32_e32 v30, 16, v28
	v_cmp_ne_u16_sdwa s[6:7], v30, v35 src0_sel:BYTE_0 src1_sel:DWORD
	v_mov_b32_e32 v40, 0
	v_mov_b32_e32 v34, 0
	s_and_saveexec_b64 s[4:5], s[6:7]
	s_cbranch_execz .LBB910_179
; %bb.174:                              ;   in Loop: Header=BB910_17 Depth=1
	v_cmp_ne_u16_sdwa s[12:13], v30, s11 src0_sel:BYTE_0 src1_sel:DWORD
	v_mov_b32_e32 v34, 0xffff8000
	s_and_saveexec_b64 s[6:7], s[12:13]
	s_cbranch_execz .LBB910_178
; %bb.175:                              ;   in Loop: Header=BB910_17 Depth=1
	v_bfe_u32 v42, v28, 16, 7
	v_cmp_ne_u32_e32 vcc, s14, v42
	v_mov_b32_e32 v34, 0x7f80
	s_and_saveexec_b64 s[12:13], vcc
	s_cbranch_execz .LBB910_177
; %bb.176:                              ;   in Loop: Header=BB910_17 Depth=1
	v_and_b32_e32 v34, 7, v30
	v_ffbh_u32_e32 v52, v34
	v_min_u32_e32 v54, 32, v52
	v_subrev_u32_e32 v52, 28, v54
	v_lshlrev_b64 v[52:53], v52, v[30:31]
	v_lshrrev_b32_e32 v44, 3, v42
	v_sub_u32_e32 v53, 29, v54
	v_and_b32_e32 v52, 7, v52
	v_cmp_gt_u32_e32 vcc, 8, v42
	v_cndmask_b32_e32 v42, v44, v53, vcc
	v_cndmask_b32_e32 v34, v34, v52, vcc
	v_lshlrev_b32_e32 v30, 24, v30
	v_lshlrev_b32_e32 v34, 20, v34
	v_and_b32_e32 v30, 0x80000000, v30
	v_lshl_add_u32 v42, v42, 23, v38
	v_or3_b32 v30, v30, v42, v34
	v_lshrrev_b32_e32 v34, 16, v30
.LBB910_177:                            ;   in Loop: Header=BB910_17 Depth=1
	s_or_b64 exec, exec, s[12:13]
.LBB910_178:                            ;   in Loop: Header=BB910_17 Depth=1
	s_or_b64 exec, exec, s[6:7]
.LBB910_179:                            ;   in Loop: Header=BB910_17 Depth=1
	s_or_b64 exec, exec, s[4:5]
	v_cmp_lt_u32_e32 vcc, s15, v28
	s_and_saveexec_b64 s[4:5], vcc
	s_cbranch_execz .LBB910_185
; %bb.180:                              ;   in Loop: Header=BB910_17 Depth=1
	v_lshrrev_b32_e32 v30, 24, v28
	v_cmp_ne_u32_e32 vcc, s11, v30
	v_mov_b32_e32 v40, 0xffff8000
	s_and_saveexec_b64 s[6:7], vcc
	s_cbranch_execz .LBB910_184
; %bb.181:                              ;   in Loop: Header=BB910_17 Depth=1
	v_bfe_u32 v28, v28, 24, 7
	v_cmp_ne_u32_e32 vcc, s14, v28
	v_mov_b32_e32 v40, 0x7f80
	s_and_saveexec_b64 s[12:13], vcc
	s_cbranch_execz .LBB910_183
; %bb.182:                              ;   in Loop: Header=BB910_17 Depth=1
	v_and_b32_e32 v40, 7, v30
	v_ffbh_u32_e32 v44, v40
	v_min_u32_e32 v44, 32, v44
	v_subrev_u32_e32 v52, 28, v44
	v_lshlrev_b64 v[52:53], v52, v[30:31]
	v_lshrrev_b32_e32 v42, 3, v28
	v_sub_u32_e32 v44, 29, v44
	v_and_b32_e32 v52, 7, v52
	v_cmp_gt_u32_e32 vcc, 8, v28
	v_cndmask_b32_e32 v28, v42, v44, vcc
	v_cndmask_b32_e32 v40, v40, v52, vcc
	v_lshlrev_b32_e32 v30, 24, v30
	v_lshlrev_b32_e32 v40, 20, v40
	v_and_b32_e32 v30, 0x80000000, v30
	v_lshl_add_u32 v28, v28, 23, v38
	v_or3_b32 v28, v30, v28, v40
	v_lshrrev_b32_e32 v40, 16, v28
.LBB910_183:                            ;   in Loop: Header=BB910_17 Depth=1
	s_or_b64 exec, exec, s[12:13]
.LBB910_184:                            ;   in Loop: Header=BB910_17 Depth=1
	s_or_b64 exec, exec, s[6:7]
.LBB910_185:                            ;   in Loop: Header=BB910_17 Depth=1
	s_or_b64 exec, exec, s[4:5]
	s_waitcnt vmcnt(0)
	v_cmp_ne_u16_sdwa s[6:7], v26, v35 src0_sel:BYTE_0 src1_sel:DWORD
	v_mov_b32_e32 v30, 0
	v_mov_b32_e32 v42, 0
	s_and_saveexec_b64 s[4:5], s[6:7]
	s_cbranch_execz .LBB910_191
; %bb.186:                              ;   in Loop: Header=BB910_17 Depth=1
	v_cmp_ne_u16_sdwa s[12:13], v26, s11 src0_sel:BYTE_0 src1_sel:DWORD
	v_mov_b32_e32 v42, 0xffff8000
	s_and_saveexec_b64 s[6:7], s[12:13]
	s_cbranch_execz .LBB910_190
; %bb.187:                              ;   in Loop: Header=BB910_17 Depth=1
	v_and_b32_e32 v28, 0x7f, v26
	v_cmp_ne_u32_e32 vcc, s14, v28
	v_mov_b32_e32 v42, 0x7f80
	s_and_saveexec_b64 s[12:13], vcc
	s_cbranch_execz .LBB910_189
; %bb.188:                              ;   in Loop: Header=BB910_17 Depth=1
	v_and_b32_e32 v42, 7, v26
	v_ffbh_u32_e32 v52, v42
	v_min_u32_e32 v54, 32, v52
	v_subrev_u32_e32 v52, 28, v54
	v_lshlrev_b64 v[52:53], v52, v[26:27]
	v_lshrrev_b32_e32 v44, 3, v28
	v_sub_u32_e32 v53, 29, v54
	v_and_b32_e32 v52, 7, v52
	v_cmp_gt_u32_e32 vcc, 8, v28
	v_cndmask_b32_e32 v28, v44, v53, vcc
	v_cndmask_b32_e32 v42, v42, v52, vcc
	v_lshlrev_b32_e32 v44, 24, v26
	v_lshlrev_b32_e32 v42, 20, v42
	v_and_b32_e32 v44, 0x80000000, v44
	v_lshl_add_u32 v28, v28, 23, v38
	v_or3_b32 v28, v44, v28, v42
	v_lshrrev_b32_e32 v42, 16, v28
.LBB910_189:                            ;   in Loop: Header=BB910_17 Depth=1
	s_or_b64 exec, exec, s[12:13]
.LBB910_190:                            ;   in Loop: Header=BB910_17 Depth=1
	s_or_b64 exec, exec, s[6:7]
.LBB910_191:                            ;   in Loop: Header=BB910_17 Depth=1
	s_or_b64 exec, exec, s[4:5]
	v_lshrrev_b16_e32 v28, 8, v26
	v_cmp_ne_u16_e32 vcc, 0, v28
	s_and_saveexec_b64 s[4:5], vcc
	s_cbranch_execz .LBB910_197
; %bb.192:                              ;   in Loop: Header=BB910_17 Depth=1
	v_cmp_ne_u16_e32 vcc, s11, v28
	v_mov_b32_e32 v30, 0xffff8000
	s_and_saveexec_b64 s[6:7], vcc
	s_cbranch_execz .LBB910_196
; %bb.193:                              ;   in Loop: Header=BB910_17 Depth=1
	v_and_b32_e32 v44, 0x7f, v28
	v_cmp_ne_u32_e32 vcc, s14, v44
	v_mov_b32_e32 v30, 0x7f80
	s_and_saveexec_b64 s[12:13], vcc
	s_cbranch_execz .LBB910_195
; %bb.194:                              ;   in Loop: Header=BB910_17 Depth=1
	v_and_b32_e32 v30, 7, v28
	v_ffbh_u32_e32 v52, v30
	v_min_u32_e32 v55, 32, v52
	v_subrev_u32_e32 v52, 28, v55
	v_lshlrev_b64 v[52:53], v52, v[28:29]
	v_lshrrev_b32_e32 v54, 3, v44
	v_sub_u32_e32 v28, 29, v55
	v_and_b32_e32 v52, 7, v52
	v_cmp_gt_u32_e32 vcc, 8, v44
	v_cndmask_b32_e32 v28, v54, v28, vcc
	v_cndmask_b32_e32 v30, v30, v52, vcc
	v_lshlrev_b32_e32 v44, 16, v26
	v_lshlrev_b32_e32 v30, 20, v30
	v_and_b32_e32 v44, 0x80000000, v44
	v_lshl_add_u32 v28, v28, 23, v38
	v_or3_b32 v28, v44, v28, v30
	v_lshrrev_b32_e32 v30, 16, v28
.LBB910_195:                            ;   in Loop: Header=BB910_17 Depth=1
	s_or_b64 exec, exec, s[12:13]
.LBB910_196:                            ;   in Loop: Header=BB910_17 Depth=1
	s_or_b64 exec, exec, s[6:7]
.LBB910_197:                            ;   in Loop: Header=BB910_17 Depth=1
	s_or_b64 exec, exec, s[4:5]
	v_lshrrev_b32_e32 v28, 16, v26
	v_cmp_ne_u16_sdwa s[6:7], v28, v35 src0_sel:BYTE_0 src1_sel:DWORD
	v_mov_b32_e32 v52, 0
	v_mov_b32_e32 v44, 0
	s_and_saveexec_b64 s[4:5], s[6:7]
	s_cbranch_execz .LBB910_203
; %bb.198:                              ;   in Loop: Header=BB910_17 Depth=1
	v_cmp_ne_u16_sdwa s[12:13], v28, s11 src0_sel:BYTE_0 src1_sel:DWORD
	v_mov_b32_e32 v44, 0xffff8000
	s_and_saveexec_b64 s[6:7], s[12:13]
	s_cbranch_execz .LBB910_202
; %bb.199:                              ;   in Loop: Header=BB910_17 Depth=1
	v_bfe_u32 v53, v26, 16, 7
	v_cmp_ne_u32_e32 vcc, s14, v53
	v_mov_b32_e32 v44, 0x7f80
	s_and_saveexec_b64 s[12:13], vcc
	s_cbranch_execz .LBB910_201
; %bb.200:                              ;   in Loop: Header=BB910_17 Depth=1
	v_and_b32_e32 v44, 7, v28
	v_ffbh_u32_e32 v54, v44
	v_min_u32_e32 v57, 32, v54
	v_subrev_u32_e32 v54, 28, v57
	v_lshlrev_b64 v[54:55], v54, v[28:29]
	v_lshrrev_b32_e32 v56, 3, v53
	v_sub_u32_e32 v55, 29, v57
	v_and_b32_e32 v54, 7, v54
	v_cmp_gt_u32_e32 vcc, 8, v53
	v_cndmask_b32_e32 v53, v56, v55, vcc
	v_cndmask_b32_e32 v44, v44, v54, vcc
	v_lshlrev_b32_e32 v28, 24, v28
	v_lshlrev_b32_e32 v44, 20, v44
	v_and_b32_e32 v28, 0x80000000, v28
	v_lshl_add_u32 v53, v53, 23, v38
	v_or3_b32 v28, v28, v53, v44
	v_lshrrev_b32_e32 v44, 16, v28
.LBB910_201:                            ;   in Loop: Header=BB910_17 Depth=1
	s_or_b64 exec, exec, s[12:13]
.LBB910_202:                            ;   in Loop: Header=BB910_17 Depth=1
	s_or_b64 exec, exec, s[6:7]
.LBB910_203:                            ;   in Loop: Header=BB910_17 Depth=1
	s_or_b64 exec, exec, s[4:5]
	v_cmp_lt_u32_e32 vcc, s15, v26
	s_and_saveexec_b64 s[4:5], vcc
	s_cbranch_execz .LBB910_16
; %bb.204:                              ;   in Loop: Header=BB910_17 Depth=1
	v_lshrrev_b32_e32 v28, 24, v26
	v_cmp_ne_u32_e32 vcc, s11, v28
	v_mov_b32_e32 v52, 0xffff8000
	s_and_saveexec_b64 s[6:7], vcc
	s_cbranch_execz .LBB910_15
; %bb.205:                              ;   in Loop: Header=BB910_17 Depth=1
	v_bfe_u32 v26, v26, 24, 7
	v_cmp_ne_u32_e32 vcc, s14, v26
	v_mov_b32_e32 v52, 0x7f80
	s_and_saveexec_b64 s[12:13], vcc
	s_cbranch_execz .LBB910_14
; %bb.206:                              ;   in Loop: Header=BB910_17 Depth=1
	v_and_b32_e32 v54, 7, v28
	v_ffbh_u32_e32 v52, v54
	v_min_u32_e32 v56, 32, v52
	v_subrev_u32_e32 v52, 28, v56
	v_lshlrev_b64 v[52:53], v52, v[28:29]
	v_lshrrev_b32_e32 v55, 3, v26
	v_sub_u32_e32 v53, 29, v56
	v_and_b32_e32 v52, 7, v52
	v_cmp_gt_u32_e32 vcc, 8, v26
	v_cndmask_b32_e32 v26, v55, v53, vcc
	v_cndmask_b32_e32 v52, v54, v52, vcc
	v_lshlrev_b32_e32 v28, 24, v28
	v_lshlrev_b32_e32 v52, 20, v52
	v_and_b32_e32 v28, 0x80000000, v28
	v_lshl_add_u32 v26, v26, 23, v38
	v_or3_b32 v26, v28, v26, v52
	v_lshrrev_b32_e32 v52, 16, v26
	s_branch .LBB910_14
.LBB910_207:
	buffer_load_dword v17, off, s[0:3], 0 offset:256
	buffer_load_dword v16, off, s[0:3], 0 offset:260
	;; [unrolled: 1-line block ×16, first 2 shown]
	v_and_b32_e32 v18, 0xc0, v0
	v_add_u32_e32 v18, s20, v18
	v_lshl_or_b32 v18, v39, 2, v18
	v_or_b32_e32 v20, 1, v18
	v_subrev_u32_e32 v24, s29, v20
	v_add_u32_e32 v26, 1, v24
	v_cvt_f32_i32_e32 v25, v24
	v_add_u32_e32 v28, 2, v24
	v_add_u32_e32 v30, 3, v24
	;; [unrolled: 1-line block ×14, first 2 shown]
	v_cvt_f32_i32_e32 v26, v26
	v_cvt_f32_i32_e32 v28, v28
	;; [unrolled: 1-line block ×4, first 2 shown]
	v_mov_b32_e32 v19, 0xff7fffff
	v_or_b32_e32 v21, 2, v18
	v_or_b32_e32 v22, 3, v18
	v_cvt_f32_i32_e32 v32, v32
	v_cvt_f32_i32_e32 v34, v34
	v_cmp_gt_i32_e64 s[30:31], s29, v18
	v_cmp_gt_i32_e64 s[34:35], s29, v20
	s_mov_b32 s33, 0xff7fffff
	v_cmp_gt_i32_e64 s[36:37], s29, v21
	v_cmp_gt_i32_e64 s[38:39], s29, v22
	v_or_b32_e32 v23, 16, v18
	v_cvt_f32_i32_e32 v35, v35
	v_cvt_f32_i32_e32 v36, v36
	v_cmp_gt_i32_e64 s[26:27], s29, v23
	v_cvt_f32_i32_e32 v37, v37
	v_cvt_f32_i32_e32 v38, v38
	;; [unrolled: 1-line block ×7, first 2 shown]
	s_waitcnt vmcnt(15)
	v_fmac_f32_e32 v17, v33, v25
	s_waitcnt vmcnt(14)
	v_fmac_f32_e32 v16, v33, v26
	;; [unrolled: 2-line block ×4, first 2 shown]
	v_cndmask_b32_e64 v20, v19, v16, s[34:35]
	v_cndmask_b32_e64 v21, v19, v15, s[36:37]
	;; [unrolled: 1-line block ×3, first 2 shown]
	s_waitcnt vmcnt(11)
	v_fmac_f32_e32 v13, v33, v32
	s_waitcnt vmcnt(10)
	v_fmac_f32_e32 v12, v33, v34
	;; [unrolled: 2-line block ×9, first 2 shown]
	v_cndmask_b32_e64 v24, v19, v17, s[30:31]
	v_max3_f32 v20, v24, s33, v20
	v_max3_f32 v20, v20, v21, v22
	v_or_b32_e32 v22, 17, v18
	v_cmp_gt_i32_e64 s[40:41], s29, v22
	v_cndmask_b32_e64 v21, v19, v13, s[26:27]
	v_cndmask_b32_e64 v22, v19, v12, s[40:41]
	v_max3_f32 v20, v20, v21, v22
	v_or_b32_e32 v21, 18, v18
	v_or_b32_e32 v22, 19, v18
	v_cmp_gt_i32_e64 s[22:23], s29, v21
	v_cmp_gt_i32_e64 s[24:25], s29, v22
	v_cndmask_b32_e64 v21, v19, v11, s[22:23]
	v_cndmask_b32_e64 v22, v19, v10, s[24:25]
	v_max3_f32 v20, v20, v21, v22
	v_or_b32_e32 v21, 32, v18
	v_or_b32_e32 v22, 33, v18
	v_cmp_gt_i32_e64 s[18:19], s29, v21
	;; [unrolled: 7-line block ×3, first 2 shown]
	v_cmp_gt_i32_e64 s[16:17], s29, v22
	v_cndmask_b32_e64 v21, v19, v7, s[14:15]
	v_cndmask_b32_e64 v22, v19, v6, s[16:17]
	v_max3_f32 v20, v20, v21, v22
	v_or_b32_e32 v21, 48, v18
	v_or_b32_e32 v22, 49, v18
	v_fmac_f32_e32 v5, v33, v44
	v_fmac_f32_e32 v4, v33, v52
	v_cmp_gt_i32_e64 s[6:7], s29, v21
	v_cmp_gt_i32_e64 s[12:13], s29, v22
	v_cndmask_b32_e64 v21, v19, v5, s[6:7]
	v_cndmask_b32_e64 v22, v19, v4, s[12:13]
	v_max3_f32 v20, v20, v21, v22
	v_or_b32_e32 v21, 50, v18
	v_or_b32_e32 v18, 51, v18
	v_fmac_f32_e32 v3, v33, v53
	v_cmp_gt_i32_e32 vcc, s29, v21
	v_cmp_gt_i32_e64 s[4:5], s29, v18
	v_cndmask_b32_e32 v21, v19, v3, vcc
	v_cndmask_b32_e64 v18, v19, v2, s[4:5]
	v_mbcnt_lo_u32_b32 v19, -1, 0
	v_mbcnt_hi_u32_b32 v19, -1, v19
	v_max3_f32 v18, v20, v21, v18
	v_and_b32_e32 v20, 64, v19
	v_add_u32_e32 v20, 64, v20
	v_xor_b32_e32 v21, 32, v19
	v_cmp_lt_i32_e64 s[42:43], v21, v20
	v_cndmask_b32_e64 v21, v19, v21, s[42:43]
	v_lshlrev_b32_e32 v21, 2, v21
	ds_bpermute_b32 v22, v21, v18
	s_waitcnt lgkmcnt(0)
	v_max_f32_e32 v22, v22, v22
	v_max_f32_e32 v18, v18, v22
	v_xor_b32_e32 v22, 16, v19
	v_cmp_lt_i32_e64 s[42:43], v22, v20
	v_cndmask_b32_e64 v19, v19, v22, s[42:43]
	v_lshlrev_b32_e32 v19, 2, v19
	ds_bpermute_b32 v20, v19, v18
	s_waitcnt lgkmcnt(0)
	v_max_f32_e32 v20, v20, v20
	v_max_f32_e32 v18, v18, v20
	v_sub_f32_e32 v17, v17, v18
	v_mul_f32_e32 v17, 0x3fb8aa3b, v17
	v_sub_f32_e32 v16, v16, v18
	v_exp_f32_e32 v17, v17
	v_mul_f32_e32 v16, 0x3fb8aa3b, v16
	v_sub_f32_e32 v15, v15, v18
	v_exp_f32_e32 v16, v16
	;; [unrolled: 3-line block ×4, first 2 shown]
	v_mul_f32_e32 v13, 0x3fb8aa3b, v13
	v_sub_f32_e32 v12, v12, v18
	v_cndmask_b32_e64 v17, 0, v17, s[30:31]
	v_exp_f32_e32 v13, v13
	v_mul_f32_e32 v12, 0x3fb8aa3b, v12
	v_sub_f32_e32 v11, v11, v18
	v_add_f32_e32 v20, 0, v17
	v_cndmask_b32_e64 v16, 0, v16, s[34:35]
	v_exp_f32_e32 v12, v12
	v_mul_f32_e32 v11, 0x3fb8aa3b, v11
	v_sub_f32_e32 v10, v10, v18
	v_add_f32_e32 v20, v20, v16
	;; [unrolled: 5-line block ×4, first 2 shown]
	v_cndmask_b32_e64 v13, 0, v13, s[26:27]
	v_exp_f32_e32 v9, v9
	v_mul_f32_e32 v8, 0x3fb8aa3b, v8
	v_sub_f32_e32 v7, v7, v18
	buffer_store_dword v17, off, s[0:3], 0 offset:256
	buffer_store_dword v16, off, s[0:3], 0 offset:260
	;; [unrolled: 1-line block ×4, first 2 shown]
	v_add_f32_e32 v14, v20, v13
	v_cndmask_b32_e64 v12, 0, v12, s[40:41]
	v_exp_f32_e32 v8, v8
	v_mul_f32_e32 v7, 0x3fb8aa3b, v7
	v_sub_f32_e32 v6, v6, v18
	v_add_f32_e32 v14, v14, v12
	v_cndmask_b32_e64 v11, 0, v11, s[22:23]
	v_exp_f32_e32 v7, v7
	v_mul_f32_e32 v6, 0x3fb8aa3b, v6
	v_sub_f32_e32 v5, v5, v18
	v_add_f32_e32 v14, v14, v11
	v_cndmask_b32_e64 v10, 0, v10, s[24:25]
	v_exp_f32_e32 v6, v6
	v_mul_f32_e32 v5, 0x3fb8aa3b, v5
	v_sub_f32_e32 v4, v4, v18
	v_add_f32_e32 v14, v14, v10
	v_cndmask_b32_e64 v9, 0, v9, s[18:19]
	v_exp_f32_e32 v5, v5
	v_mul_f32_e32 v4, 0x3fb8aa3b, v4
	v_sub_f32_e32 v3, v3, v18
	buffer_store_dword v13, off, s[0:3], 0 offset:272
	buffer_store_dword v12, off, s[0:3], 0 offset:276
	;; [unrolled: 1-line block ×4, first 2 shown]
	v_add_f32_e32 v10, v14, v9
	v_cndmask_b32_e64 v8, 0, v8, s[20:21]
	v_exp_f32_e32 v4, v4
	v_mul_f32_e32 v3, 0x3fb8aa3b, v3
	v_sub_f32_e32 v2, v2, v18
	v_add_f32_e32 v10, v10, v8
	v_cndmask_b32_e64 v7, 0, v7, s[14:15]
	v_exp_f32_e32 v3, v3
	v_mul_f32_e32 v2, 0x3fb8aa3b, v2
	v_add_f32_e32 v10, v10, v7
	v_cndmask_b32_e64 v6, 0, v6, s[16:17]
	v_exp_f32_e32 v2, v2
	v_add_f32_e32 v10, v10, v6
	v_cndmask_b32_e64 v5, 0, v5, s[6:7]
	buffer_store_dword v9, off, s[0:3], 0 offset:288
	buffer_store_dword v8, off, s[0:3], 0 offset:292
	;; [unrolled: 1-line block ×4, first 2 shown]
	v_add_f32_e32 v6, v10, v5
	v_cndmask_b32_e64 v4, 0, v4, s[12:13]
	v_add_f32_e32 v6, v6, v4
	v_cndmask_b32_e32 v3, 0, v3, vcc
	v_add_f32_e32 v6, v6, v3
	v_cndmask_b32_e64 v2, 0, v2, s[4:5]
	v_add_f32_e32 v6, v6, v2
	ds_bpermute_b32 v7, v21, v6
	buffer_store_dword v5, off, s[0:3], 0 offset:304
	buffer_store_dword v4, off, s[0:3], 0 offset:308
	;; [unrolled: 1-line block ×4, first 2 shown]
	v_cmp_lt_u32_e64 s[4:5], 15, v31
	v_cmp_gt_u32_e32 vcc, 16, v31
	s_waitcnt lgkmcnt(0)
	v_add_f32_e32 v2, v6, v7
	ds_bpermute_b32 v3, v19, v2
	s_barrier
	s_waitcnt lgkmcnt(0)
	s_and_saveexec_b64 s[6:7], vcc
	s_cbranch_execz .LBB910_209
; %bb.208:
	v_add_f32_e32 v2, v2, v3
	v_lshlrev_b32_e32 v3, 2, v29
	ds_write2st64_b32 v3, v18, v2 offset1:1
.LBB910_209:
	s_or_b64 exec, exec, s[6:7]
	v_lshlrev_b32_e32 v2, 2, v41
	s_waitcnt lgkmcnt(0)
	s_barrier
	ds_read2_b32 v[12:13], v2 offset1:16
	ds_read2_b32 v[14:15], v2 offset0:32 offset1:48
	ds_read2_b32 v[6:7], v2 offset0:64 offset1:80
	ds_read2_b32 v[16:17], v2 offset0:96 offset1:112
	s_waitcnt lgkmcnt(0)
	s_barrier
	buffer_load_dword v22, off, s[0:3], 0 offset:264
	buffer_load_dword v23, off, s[0:3], 0 offset:268
	;; [unrolled: 1-line block ×16, first 2 shown]
	v_max3_f32 v20, v12, s33, v13
	v_max3_f32 v20, v20, v14, v15
	v_sub_f32_e32 v12, v12, v20
	v_sub_f32_e32 v13, v13, v20
	v_mul_f32_e32 v12, 0x3fb8aa3b, v12
	v_sub_f32_e32 v14, v14, v20
	v_mul_f32_e32 v13, 0x3fb8aa3b, v13
	v_exp_f32_e32 v12, v12
	v_sub_f32_e32 v15, v15, v20
	v_mul_f32_e32 v14, 0x3fb8aa3b, v14
	v_exp_f32_e32 v13, v13
	v_mul_f32_e32 v15, 0x3fb8aa3b, v15
	v_exp_f32_e32 v14, v14
	v_exp_f32_e32 v15, v15
	v_fma_f32 v6, v12, v6, 0
	v_fmac_f32_e32 v6, v13, v7
	v_cmp_eq_u32_e32 vcc, 1, v27
	v_fmac_f32_e32 v6, v14, v16
	v_cndmask_b32_e32 v12, v12, v13, vcc
	v_cmp_eq_u32_e32 vcc, 2, v27
	v_fmac_f32_e32 v6, v15, v17
	v_cndmask_b32_e32 v7, v12, v14, vcc
	v_add_f32_e32 v12, 0x358637bd, v6
	v_div_scale_f32 v13, s[6:7], v12, v12, 1.0
	v_rcp_f32_e32 v14, v13
	v_cmp_eq_u32_e32 vcc, 3, v27
	v_cndmask_b32_e32 v7, v7, v15, vcc
	v_div_scale_f32 v15, vcc, 1.0, v12, 1.0
	v_fma_f32 v16, -v13, v14, 1.0
	v_fmac_f32_e32 v14, v16, v14
	v_mul_f32_e32 v16, v15, v14
	v_fma_f32 v17, -v13, v16, v15
	v_fmac_f32_e32 v16, v17, v14
	v_fma_f32 v13, -v13, v16, v15
	v_div_fmas_f32 v13, v13, v14, v16
	v_div_fixup_f32 v12, v13, v12, 1.0
	v_mul_f32_e32 v12, v7, v12
	s_movk_i32 s11, 0x7fff
	s_mov_b32 s22, 0x7060302
	v_mov_b32_e32 v52, 0
	v_cmp_eq_u32_e32 vcc, 0, v0
	s_waitcnt vmcnt(14)
	v_pk_mul_f32 v[14:15], v[12:13], v[22:23] op_sel_hi:[0,1]
	v_bfe_u32 v21, v15, 16, 1
	s_waitcnt vmcnt(12)
	v_pk_mul_f32 v[16:17], v[12:13], v[24:25] op_sel_hi:[0,1]
	v_bfe_u32 v7, v17, 16, 1
	v_bfe_u32 v13, v16, 16, 1
	;; [unrolled: 1-line block ×3, first 2 shown]
	v_add3_u32 v13, v16, v13, s11
	v_add3_u32 v7, v17, v7, s11
	buffer_store_dword v16, off, s[0:3], 0 offset:256
	buffer_store_dword v17, off, s[0:3], 0 offset:260
	;; [unrolled: 1-line block ×4, first 2 shown]
	v_add3_u32 v16, v14, v22, s11
	v_add3_u32 v15, v15, v21, s11
	v_perm_b32 v14, v7, v13, s22
	v_lshlrev_b32_e32 v13, 3, v39
	v_perm_b32 v15, v15, v16, s22
	v_lshlrev_b32_e32 v7, 5, v41
	v_lshlrev_b32_e32 v16, 11, v27
	s_waitcnt vmcnt(12)
	v_pk_mul_f32 v[8:9], v[12:13], v[8:9] op_sel_hi:[0,1]
	v_or3_b32 v53, v16, v7, v13
	v_pk_mul_f32 v[10:11], v[12:13], v[10:11] op_sel_hi:[0,1]
	v_bfe_u32 v13, v9, 16, 1
	v_bfe_u32 v16, v8, 16, 1
	buffer_store_dword v8, off, s[0:3], 0 offset:272
	buffer_store_dword v9, off, s[0:3], 0 offset:276
	;; [unrolled: 1-line block ×4, first 2 shown]
	v_add3_u32 v8, v8, v16, s11
	v_add3_u32 v9, v9, v13, s11
	v_perm_b32 v8, v9, v8, s22
	v_bfe_u32 v9, v11, 16, 1
	v_bfe_u32 v13, v10, 16, 1
	v_add3_u32 v10, v10, v13, s11
	v_add3_u32 v9, v11, v9, s11
	v_perm_b32 v9, v9, v10, s22
	s_waitcnt vmcnt(14)
	v_pk_mul_f32 v[10:11], v[12:13], v[18:19] op_sel_hi:[0,1]
	ds_write2st64_b64 v53, v[14:15], v[8:9] offset1:1
	s_waitcnt vmcnt(12)
	v_pk_mul_f32 v[8:9], v[12:13], v[28:29] op_sel_hi:[0,1]
	v_bfe_u32 v13, v11, 16, 1
	v_bfe_u32 v14, v10, 16, 1
	buffer_store_dword v10, off, s[0:3], 0 offset:288
	buffer_store_dword v11, off, s[0:3], 0 offset:292
	;; [unrolled: 1-line block ×4, first 2 shown]
	v_add3_u32 v10, v10, v14, s11
	v_add3_u32 v11, v11, v13, s11
	v_perm_b32 v10, v11, v10, s22
	v_bfe_u32 v11, v9, 16, 1
	v_bfe_u32 v13, v8, 16, 1
	v_add3_u32 v8, v8, v13, s11
	v_add3_u32 v9, v9, v11, s11
	s_waitcnt vmcnt(14)
	v_pk_mul_f32 v[2:3], v[12:13], v[2:3] op_sel_hi:[0,1]
	v_perm_b32 v11, v9, v8, s22
	v_bfe_u32 v8, v3, 16, 1
	v_bfe_u32 v9, v2, 16, 1
	s_waitcnt vmcnt(12)
	v_pk_mul_f32 v[4:5], v[12:13], v[4:5] op_sel_hi:[0,1]
	buffer_store_dword v2, off, s[0:3], 0 offset:304
	buffer_store_dword v3, off, s[0:3], 0 offset:308
	;; [unrolled: 1-line block ×4, first 2 shown]
	v_add3_u32 v2, v2, v9, s11
	v_add3_u32 v3, v3, v8, s11
	v_perm_b32 v2, v3, v2, s22
	v_bfe_u32 v3, v5, 16, 1
	v_bfe_u32 v8, v4, 16, 1
	v_add3_u32 v4, v4, v8, s11
	v_add3_u32 v3, v5, v3, s11
	v_perm_b32 v3, v3, v4, s22
	ds_write2st64_b64 v53, v[10:11], v[2:3] offset0:2 offset1:3
	s_and_saveexec_b64 s[6:7], vcc
	s_cbranch_execz .LBB910_211
; %bb.210:
	s_mul_i32 s9, s9, s53
	s_mul_hi_u32 s12, s8, s53
	s_add_i32 s12, s12, s9
	s_mul_i32 s9, s8, s53
	s_add_u32 s9, s9, s10
	s_addc_u32 s12, s12, 0
	s_mul_i32 s12, s12, s52
	s_mul_hi_u32 s13, s9, s52
	s_add_i32 s13, s13, s12
	s_mul_i32 s9, s9, s52
	s_add_u32 s12, s9, s28
	s_addc_u32 s13, s13, 0
	s_lshl_b64 s[12:13], s[12:13], 2
	s_add_u32 s14, s46, s12
	s_addc_u32 s15, s47, s13
	s_add_u32 s12, s44, s12
	s_addc_u32 s13, s45, s13
	global_store_dword v52, v20, s[14:15]
	global_store_dword v52, v6, s[12:13]
.LBB910_211:
	s_or_b64 exec, exec, s[6:7]
	v_lshl_or_b32 v30, v39, 9, v7
	s_waitcnt lgkmcnt(0)
	s_barrier
	s_load_dword s6, s[50:51], 0x0
	ds_read_b128 v[2:5], v30
	ds_read_b128 v[6:9], v30 offset:16
	ds_read_b128 v[10:13], v30 offset:2048
	;; [unrolled: 1-line block ×7, first 2 shown]
	v_mov_b32_e32 v35, 0x80
	v_mov_b32_e32 v54, 0x140
	s_mov_b64 s[14:15], -1
	s_waitcnt lgkmcnt(0)
	s_mov_b32 s7, s6
	s_mov_b32 s12, s6
	;; [unrolled: 1-line block ×3, first 2 shown]
	s_movk_i32 s9, 0x80
	s_movk_i32 s23, 0x7f
	s_mov_b32 s24, 0xffffff
	s_mov_b32 s25, 0x5040100
	v_bfrev_b32_e32 v55, 60
	s_branch .LBB910_215
.LBB910_212:                            ;   in Loop: Header=BB910_215 Depth=1
	s_or_b64 exec, exec, s[20:21]
.LBB910_213:                            ;   in Loop: Header=BB910_215 Depth=1
	s_or_b64 exec, exec, s[18:19]
.LBB910_214:                            ;   in Loop: Header=BB910_215 Depth=1
	s_or_b64 exec, exec, s[16:17]
	v_perm_b32 v51, v51, v50, s25
	v_perm_b32 v50, v44, v46, s25
	s_xor_b64 s[16:17], s[14:15], -1
	s_mov_b64 s[14:15], 0
	v_mov_b32_e32 v46, v47
	v_mfma_f32_16x16x16bf16_1k v[60:63], v[50:51], v[30:31], v[34:37]
	s_and_b64 vcc, exec, s[16:17]
	s_nop 5
	v_perm_b32 v37, v58, v57, s25
	v_perm_b32 v36, v42, v56, s25
	v_mov_b32_e32 v35, v45
	s_nop 0
	v_mfma_f32_16x16x16bf16_1k v[56:59], v[36:37], v[32:33], v[60:63]
	s_nop 7
	s_nop 2
	v_pk_mul_f32 v[50:51], v[56:57], s[6:7]
	v_pk_mul_f32 v[36:37], v[58:59], s[12:13]
	v_bfe_u32 v34, v51, 16, 1
	v_bfe_u32 v38, v50, 16, 1
	;; [unrolled: 1-line block ×4, first 2 shown]
	v_add3_u32 v38, v50, v38, s11
	v_add3_u32 v34, v51, v34, s11
	;; [unrolled: 1-line block ×4, first 2 shown]
	v_perm_b32 v34, v34, v38, s22
	v_perm_b32 v36, v37, v36, s22
	buffer_store_dword v34, v54, s[0:3], 0 offen
	buffer_store_dword v36, v54, s[0:3], 0 offen offset:4
	v_mov_b32_e32 v54, 0x148
	v_mov_b32_e32 v51, v48
	;; [unrolled: 1-line block ×3, first 2 shown]
	s_cbranch_vccnz .LBB910_597
.LBB910_215:                            ; =>This Inner Loop Header: Depth=1
	buffer_load_dword v36, v35, s[0:3], 0 offen
	buffer_load_dword v34, v35, s[0:3], 0 offen offset:4
	buffer_load_dword v40, v35, s[0:3], 0 offen offset:8
	;; [unrolled: 1-line block ×3, first 2 shown]
	v_mov_b32_e32 v35, 0
	v_mov_b32_e32 v37, 0
	s_waitcnt vmcnt(3)
	v_cmp_ne_u16_sdwa s[18:19], v36, v52 src0_sel:BYTE_0 src1_sel:DWORD
	s_and_saveexec_b64 s[16:17], s[18:19]
	s_cbranch_execz .LBB910_221
; %bb.216:                              ;   in Loop: Header=BB910_215 Depth=1
	v_cmp_ne_u16_sdwa s[20:21], v36, s9 src0_sel:BYTE_0 src1_sel:DWORD
	v_mov_b32_e32 v37, 0xffff8000
	s_and_saveexec_b64 s[18:19], s[20:21]
	s_cbranch_execz .LBB910_220
; %bb.217:                              ;   in Loop: Header=BB910_215 Depth=1
	v_and_b32_e32 v42, 0x7f, v36
	v_cmp_ne_u32_e32 vcc, s23, v42
	v_mov_b32_e32 v37, 0x7f80
	s_and_saveexec_b64 s[20:21], vcc
	s_cbranch_execz .LBB910_219
; %bb.218:                              ;   in Loop: Header=BB910_215 Depth=1
	v_and_b32_e32 v37, 7, v36
	v_ffbh_u32_e32 v56, v37
	v_min_u32_e32 v58, 32, v56
	v_subrev_u32_e32 v56, 28, v58
	v_lshlrev_b64 v[56:57], v56, v[36:37]
	v_lshrrev_b32_e32 v44, 3, v42
	v_sub_u32_e32 v57, 29, v58
	v_and_b32_e32 v56, 7, v56
	v_cmp_gt_u32_e32 vcc, 8, v42
	v_cndmask_b32_e32 v42, v44, v57, vcc
	v_cndmask_b32_e32 v37, v37, v56, vcc
	v_lshlrev_b32_e32 v44, 24, v36
	v_lshlrev_b32_e32 v37, 20, v37
	v_and_b32_e32 v44, 0x80000000, v44
	v_lshl_add_u32 v42, v42, 23, v55
	v_or3_b32 v37, v44, v42, v37
	v_lshrrev_b32_e32 v37, 16, v37
.LBB910_219:                            ;   in Loop: Header=BB910_215 Depth=1
	s_or_b64 exec, exec, s[20:21]
.LBB910_220:                            ;   in Loop: Header=BB910_215 Depth=1
	s_or_b64 exec, exec, s[18:19]
.LBB910_221:                            ;   in Loop: Header=BB910_215 Depth=1
	s_or_b64 exec, exec, s[16:17]
	v_lshrrev_b16_e32 v42, 8, v36
	v_cmp_ne_u16_e32 vcc, 0, v42
	s_and_saveexec_b64 s[16:17], vcc
	s_cbranch_execz .LBB910_227
; %bb.222:                              ;   in Loop: Header=BB910_215 Depth=1
	v_cmp_ne_u16_e32 vcc, s9, v42
	v_mov_b32_e32 v35, 0xffff8000
	s_and_saveexec_b64 s[18:19], vcc
	s_cbranch_execz .LBB910_226
; %bb.223:                              ;   in Loop: Header=BB910_215 Depth=1
	v_and_b32_e32 v44, 0x7f, v42
	v_cmp_ne_u32_e32 vcc, s23, v44
	v_mov_b32_e32 v35, 0x7f80
	s_and_saveexec_b64 s[20:21], vcc
	s_cbranch_execz .LBB910_225
; %bb.224:                              ;   in Loop: Header=BB910_215 Depth=1
	v_and_b32_e32 v35, 7, v42
	v_ffbh_u32_e32 v56, v35
	v_min_u32_e32 v59, 32, v56
	v_subrev_u32_e32 v56, 28, v59
	v_lshlrev_b64 v[56:57], v56, v[42:43]
	v_lshrrev_b32_e32 v58, 3, v44
	v_sub_u32_e32 v42, 29, v59
	v_and_b32_e32 v56, 7, v56
	v_cmp_gt_u32_e32 vcc, 8, v44
	v_cndmask_b32_e32 v42, v58, v42, vcc
	v_cndmask_b32_e32 v35, v35, v56, vcc
	v_lshlrev_b32_e32 v44, 16, v36
	v_lshlrev_b32_e32 v35, 20, v35
	v_and_b32_e32 v44, 0x80000000, v44
	v_lshl_add_u32 v42, v42, 23, v55
	v_or3_b32 v35, v44, v42, v35
	v_lshrrev_b32_e32 v35, 16, v35
.LBB910_225:                            ;   in Loop: Header=BB910_215 Depth=1
	s_or_b64 exec, exec, s[20:21]
.LBB910_226:                            ;   in Loop: Header=BB910_215 Depth=1
	s_or_b64 exec, exec, s[18:19]
.LBB910_227:                            ;   in Loop: Header=BB910_215 Depth=1
	s_or_b64 exec, exec, s[16:17]
	v_lshrrev_b32_e32 v42, 16, v36
	v_cmp_ne_u16_sdwa s[18:19], v42, v52 src0_sel:BYTE_0 src1_sel:DWORD
	v_mov_b32_e32 v56, 0
	v_mov_b32_e32 v44, 0
	s_and_saveexec_b64 s[16:17], s[18:19]
	s_cbranch_execz .LBB910_233
; %bb.228:                              ;   in Loop: Header=BB910_215 Depth=1
	v_cmp_ne_u16_sdwa s[20:21], v42, s9 src0_sel:BYTE_0 src1_sel:DWORD
	v_mov_b32_e32 v44, 0xffff8000
	s_and_saveexec_b64 s[18:19], s[20:21]
	s_cbranch_execz .LBB910_232
; %bb.229:                              ;   in Loop: Header=BB910_215 Depth=1
	v_bfe_u32 v57, v36, 16, 7
	v_cmp_ne_u32_e32 vcc, s23, v57
	v_mov_b32_e32 v44, 0x7f80
	s_and_saveexec_b64 s[20:21], vcc
	s_cbranch_execz .LBB910_231
; %bb.230:                              ;   in Loop: Header=BB910_215 Depth=1
	v_and_b32_e32 v44, 7, v42
	v_ffbh_u32_e32 v58, v44
	v_min_u32_e32 v61, 32, v58
	v_subrev_u32_e32 v58, 28, v61
	v_lshlrev_b64 v[58:59], v58, v[42:43]
	v_lshrrev_b32_e32 v60, 3, v57
	v_sub_u32_e32 v59, 29, v61
	v_and_b32_e32 v58, 7, v58
	v_cmp_gt_u32_e32 vcc, 8, v57
	v_cndmask_b32_e32 v57, v60, v59, vcc
	v_cndmask_b32_e32 v44, v44, v58, vcc
	v_lshlrev_b32_e32 v42, 24, v42
	v_lshlrev_b32_e32 v44, 20, v44
	v_and_b32_e32 v42, 0x80000000, v42
	v_lshl_add_u32 v57, v57, 23, v55
	v_or3_b32 v42, v42, v57, v44
	v_lshrrev_b32_e32 v44, 16, v42
.LBB910_231:                            ;   in Loop: Header=BB910_215 Depth=1
	s_or_b64 exec, exec, s[20:21]
.LBB910_232:                            ;   in Loop: Header=BB910_215 Depth=1
	s_or_b64 exec, exec, s[18:19]
.LBB910_233:                            ;   in Loop: Header=BB910_215 Depth=1
	s_or_b64 exec, exec, s[16:17]
	v_cmp_lt_u32_e32 vcc, s24, v36
	s_and_saveexec_b64 s[16:17], vcc
	s_cbranch_execz .LBB910_239
; %bb.234:                              ;   in Loop: Header=BB910_215 Depth=1
	v_lshrrev_b32_e32 v42, 24, v36
	v_cmp_ne_u32_e32 vcc, s9, v42
	v_mov_b32_e32 v56, 0xffff8000
	s_and_saveexec_b64 s[18:19], vcc
	s_cbranch_execz .LBB910_238
; %bb.235:                              ;   in Loop: Header=BB910_215 Depth=1
	v_bfe_u32 v36, v36, 24, 7
	v_cmp_ne_u32_e32 vcc, s23, v36
	v_mov_b32_e32 v56, 0x7f80
	s_and_saveexec_b64 s[20:21], vcc
	s_cbranch_execz .LBB910_237
; %bb.236:                              ;   in Loop: Header=BB910_215 Depth=1
	v_and_b32_e32 v58, 7, v42
	v_ffbh_u32_e32 v56, v58
	v_min_u32_e32 v60, 32, v56
	v_subrev_u32_e32 v56, 28, v60
	v_lshlrev_b64 v[56:57], v56, v[42:43]
	v_lshrrev_b32_e32 v59, 3, v36
	v_sub_u32_e32 v57, 29, v60
	v_and_b32_e32 v56, 7, v56
	v_cmp_gt_u32_e32 vcc, 8, v36
	v_cndmask_b32_e32 v36, v59, v57, vcc
	v_cndmask_b32_e32 v56, v58, v56, vcc
	v_lshlrev_b32_e32 v42, 24, v42
	v_lshlrev_b32_e32 v56, 20, v56
	v_and_b32_e32 v42, 0x80000000, v42
	v_lshl_add_u32 v36, v36, 23, v55
	v_or3_b32 v36, v42, v36, v56
	v_lshrrev_b32_e32 v56, 16, v36
.LBB910_237:                            ;   in Loop: Header=BB910_215 Depth=1
	s_or_b64 exec, exec, s[20:21]
.LBB910_238:                            ;   in Loop: Header=BB910_215 Depth=1
	s_or_b64 exec, exec, s[18:19]
.LBB910_239:                            ;   in Loop: Header=BB910_215 Depth=1
	s_or_b64 exec, exec, s[16:17]
	s_waitcnt vmcnt(2)
	v_cmp_ne_u16_sdwa s[18:19], v34, v52 src0_sel:BYTE_0 src1_sel:DWORD
	v_mov_b32_e32 v42, 0
	v_mov_b32_e32 v57, 0
	s_and_saveexec_b64 s[16:17], s[18:19]
	s_cbranch_execz .LBB910_245
; %bb.240:                              ;   in Loop: Header=BB910_215 Depth=1
	v_cmp_ne_u16_sdwa s[20:21], v34, s9 src0_sel:BYTE_0 src1_sel:DWORD
	v_mov_b32_e32 v57, 0xffff8000
	s_and_saveexec_b64 s[18:19], s[20:21]
	s_cbranch_execz .LBB910_244
; %bb.241:                              ;   in Loop: Header=BB910_215 Depth=1
	v_and_b32_e32 v36, 0x7f, v34
	v_cmp_ne_u32_e32 vcc, s23, v36
	v_mov_b32_e32 v57, 0x7f80
	s_and_saveexec_b64 s[20:21], vcc
	s_cbranch_execz .LBB910_243
; %bb.242:                              ;   in Loop: Header=BB910_215 Depth=1
	v_and_b32_e32 v57, 7, v34
	v_ffbh_u32_e32 v58, v57
	v_min_u32_e32 v61, 32, v58
	v_subrev_u32_e32 v58, 28, v61
	v_lshlrev_b64 v[58:59], v58, v[34:35]
	v_lshrrev_b32_e32 v60, 3, v36
	v_sub_u32_e32 v59, 29, v61
	v_and_b32_e32 v58, 7, v58
	v_cmp_gt_u32_e32 vcc, 8, v36
	v_cndmask_b32_e32 v36, v60, v59, vcc
	v_cndmask_b32_e32 v57, v57, v58, vcc
	v_lshlrev_b32_e32 v58, 24, v34
	v_lshlrev_b32_e32 v57, 20, v57
	v_and_b32_e32 v58, 0x80000000, v58
	v_lshl_add_u32 v36, v36, 23, v55
	v_or3_b32 v36, v58, v36, v57
	v_lshrrev_b32_e32 v57, 16, v36
.LBB910_243:                            ;   in Loop: Header=BB910_215 Depth=1
	s_or_b64 exec, exec, s[20:21]
.LBB910_244:                            ;   in Loop: Header=BB910_215 Depth=1
	s_or_b64 exec, exec, s[18:19]
.LBB910_245:                            ;   in Loop: Header=BB910_215 Depth=1
	s_or_b64 exec, exec, s[16:17]
	v_lshrrev_b16_e32 v36, 8, v34
	v_cmp_ne_u16_e32 vcc, 0, v36
	s_and_saveexec_b64 s[16:17], vcc
	s_cbranch_execz .LBB910_251
; %bb.246:                              ;   in Loop: Header=BB910_215 Depth=1
	v_cmp_ne_u16_e32 vcc, s9, v36
	v_mov_b32_e32 v42, 0xffff8000
	s_and_saveexec_b64 s[18:19], vcc
	s_cbranch_execz .LBB910_250
; %bb.247:                              ;   in Loop: Header=BB910_215 Depth=1
	v_and_b32_e32 v58, 0x7f, v36
	v_cmp_ne_u32_e32 vcc, s23, v58
	v_mov_b32_e32 v42, 0x7f80
	s_and_saveexec_b64 s[20:21], vcc
	s_cbranch_execz .LBB910_249
; %bb.248:                              ;   in Loop: Header=BB910_215 Depth=1
	v_and_b32_e32 v42, 7, v36
	v_ffbh_u32_e32 v60, v42
	v_min_u32_e32 v62, 32, v60
	v_subrev_u32_e32 v60, 28, v62
	v_lshlrev_b64 v[60:61], v60, v[36:37]
	v_lshrrev_b32_e32 v59, 3, v58
	v_sub_u32_e32 v36, 29, v62
	v_and_b32_e32 v60, 7, v60
	v_cmp_gt_u32_e32 vcc, 8, v58
	v_cndmask_b32_e32 v36, v59, v36, vcc
	v_cndmask_b32_e32 v42, v42, v60, vcc
	v_lshlrev_b32_e32 v58, 16, v34
	v_lshlrev_b32_e32 v42, 20, v42
	v_and_b32_e32 v58, 0x80000000, v58
	v_lshl_add_u32 v36, v36, 23, v55
	v_or3_b32 v36, v58, v36, v42
	v_lshrrev_b32_e32 v42, 16, v36
.LBB910_249:                            ;   in Loop: Header=BB910_215 Depth=1
	s_or_b64 exec, exec, s[20:21]
.LBB910_250:                            ;   in Loop: Header=BB910_215 Depth=1
	s_or_b64 exec, exec, s[18:19]
.LBB910_251:                            ;   in Loop: Header=BB910_215 Depth=1
	s_or_b64 exec, exec, s[16:17]
	v_lshrrev_b32_e32 v36, 16, v34
	v_cmp_ne_u16_sdwa s[18:19], v36, v52 src0_sel:BYTE_0 src1_sel:DWORD
	v_mov_b32_e32 v59, 0
	v_mov_b32_e32 v58, 0
	s_and_saveexec_b64 s[16:17], s[18:19]
	s_cbranch_execz .LBB910_257
; %bb.252:                              ;   in Loop: Header=BB910_215 Depth=1
	v_cmp_ne_u16_sdwa s[20:21], v36, s9 src0_sel:BYTE_0 src1_sel:DWORD
	v_mov_b32_e32 v58, 0xffff8000
	s_and_saveexec_b64 s[18:19], s[20:21]
	s_cbranch_execz .LBB910_256
; %bb.253:                              ;   in Loop: Header=BB910_215 Depth=1
	v_bfe_u32 v60, v34, 16, 7
	v_cmp_ne_u32_e32 vcc, s23, v60
	v_mov_b32_e32 v58, 0x7f80
	s_and_saveexec_b64 s[20:21], vcc
	s_cbranch_execz .LBB910_255
; %bb.254:                              ;   in Loop: Header=BB910_215 Depth=1
	v_and_b32_e32 v58, 7, v36
	v_ffbh_u32_e32 v62, v58
	v_min_u32_e32 v64, 32, v62
	v_subrev_u32_e32 v62, 28, v64
	v_lshlrev_b64 v[62:63], v62, v[36:37]
	v_lshrrev_b32_e32 v61, 3, v60
	v_sub_u32_e32 v63, 29, v64
	v_and_b32_e32 v62, 7, v62
	v_cmp_gt_u32_e32 vcc, 8, v60
	v_cndmask_b32_e32 v60, v61, v63, vcc
	v_cndmask_b32_e32 v58, v58, v62, vcc
	v_lshlrev_b32_e32 v36, 24, v36
	v_lshlrev_b32_e32 v58, 20, v58
	v_and_b32_e32 v36, 0x80000000, v36
	v_lshl_add_u32 v60, v60, 23, v55
	v_or3_b32 v36, v36, v60, v58
	v_lshrrev_b32_e32 v58, 16, v36
.LBB910_255:                            ;   in Loop: Header=BB910_215 Depth=1
	s_or_b64 exec, exec, s[20:21]
.LBB910_256:                            ;   in Loop: Header=BB910_215 Depth=1
	s_or_b64 exec, exec, s[18:19]
.LBB910_257:                            ;   in Loop: Header=BB910_215 Depth=1
	s_or_b64 exec, exec, s[16:17]
	v_cmp_lt_u32_e32 vcc, s24, v34
	s_and_saveexec_b64 s[16:17], vcc
	s_cbranch_execz .LBB910_263
; %bb.258:                              ;   in Loop: Header=BB910_215 Depth=1
	v_lshrrev_b32_e32 v36, 24, v34
	v_cmp_ne_u32_e32 vcc, s9, v36
	v_mov_b32_e32 v59, 0xffff8000
	s_and_saveexec_b64 s[18:19], vcc
	s_cbranch_execz .LBB910_262
; %bb.259:                              ;   in Loop: Header=BB910_215 Depth=1
	v_bfe_u32 v34, v34, 24, 7
	v_cmp_ne_u32_e32 vcc, s23, v34
	v_mov_b32_e32 v59, 0x7f80
	s_and_saveexec_b64 s[20:21], vcc
	s_cbranch_execz .LBB910_261
; %bb.260:                              ;   in Loop: Header=BB910_215 Depth=1
	v_and_b32_e32 v59, 7, v36
	v_ffbh_u32_e32 v60, v59
	v_min_u32_e32 v63, 32, v60
	v_subrev_u32_e32 v60, 28, v63
	v_lshlrev_b64 v[60:61], v60, v[36:37]
	v_lshrrev_b32_e32 v62, 3, v34
	v_sub_u32_e32 v61, 29, v63
	v_and_b32_e32 v60, 7, v60
	v_cmp_gt_u32_e32 vcc, 8, v34
	v_cndmask_b32_e32 v34, v62, v61, vcc
	v_cndmask_b32_e32 v59, v59, v60, vcc
	v_lshlrev_b32_e32 v36, 24, v36
	v_lshlrev_b32_e32 v59, 20, v59
	v_and_b32_e32 v36, 0x80000000, v36
	v_lshl_add_u32 v34, v34, 23, v55
	v_or3_b32 v34, v36, v34, v59
	v_lshrrev_b32_e32 v59, 16, v34
.LBB910_261:                            ;   in Loop: Header=BB910_215 Depth=1
	s_or_b64 exec, exec, s[20:21]
.LBB910_262:                            ;   in Loop: Header=BB910_215 Depth=1
	s_or_b64 exec, exec, s[18:19]
.LBB910_263:                            ;   in Loop: Header=BB910_215 Depth=1
	s_or_b64 exec, exec, s[16:17]
	v_perm_b32 v61, v56, v44, s25
	v_perm_b32 v60, v35, v37, s25
	;; [unrolled: 1-line block ×4, first 2 shown]
	s_waitcnt vmcnt(1)
	v_cmp_ne_u16_sdwa s[18:19], v40, v52 src0_sel:BYTE_0 src1_sel:DWORD
	v_mfma_f32_16x16x16bf16_1k v[34:37], v[60:61], v[2:3], 0
	v_mov_b32_e32 v44, 0
	v_mov_b32_e32 v56, 0
	v_mfma_f32_16x16x16bf16_1k v[34:37], v[58:59], v[4:5], v[34:37]
	s_and_saveexec_b64 s[16:17], s[18:19]
	s_cbranch_execz .LBB910_269
; %bb.264:                              ;   in Loop: Header=BB910_215 Depth=1
	v_cmp_ne_u16_sdwa s[20:21], v40, s9 src0_sel:BYTE_0 src1_sel:DWORD
	v_mov_b32_e32 v56, 0xffff8000
	s_and_saveexec_b64 s[18:19], s[20:21]
	s_cbranch_execz .LBB910_268
; %bb.265:                              ;   in Loop: Header=BB910_215 Depth=1
	v_and_b32_e32 v42, 0x7f, v40
	v_cmp_ne_u32_e32 vcc, s23, v42
	v_mov_b32_e32 v56, 0x7f80
	s_and_saveexec_b64 s[20:21], vcc
	s_cbranch_execz .LBB910_267
; %bb.266:                              ;   in Loop: Header=BB910_215 Depth=1
	v_and_b32_e32 v58, 7, v40
	v_ffbh_u32_e32 v56, v58
	v_min_u32_e32 v60, 32, v56
	v_subrev_u32_e32 v56, 28, v60
	v_lshlrev_b64 v[56:57], v56, v[40:41]
	v_lshrrev_b32_e32 v59, 3, v42
	v_sub_u32_e32 v57, 29, v60
	v_and_b32_e32 v56, 7, v56
	v_cmp_gt_u32_e32 vcc, 8, v42
	v_cndmask_b32_e32 v42, v59, v57, vcc
	v_cndmask_b32_e32 v56, v58, v56, vcc
	v_lshlrev_b32_e32 v57, 24, v40
	v_lshlrev_b32_e32 v56, 20, v56
	v_and_b32_e32 v57, 0x80000000, v57
	v_lshl_add_u32 v42, v42, 23, v55
	v_or3_b32 v42, v57, v42, v56
	v_lshrrev_b32_e32 v56, 16, v42
.LBB910_267:                            ;   in Loop: Header=BB910_215 Depth=1
	s_or_b64 exec, exec, s[20:21]
.LBB910_268:                            ;   in Loop: Header=BB910_215 Depth=1
	s_or_b64 exec, exec, s[18:19]
.LBB910_269:                            ;   in Loop: Header=BB910_215 Depth=1
	s_or_b64 exec, exec, s[16:17]
	v_lshrrev_b16_e32 v42, 8, v40
	v_cmp_ne_u16_e32 vcc, 0, v42
	s_and_saveexec_b64 s[16:17], vcc
	s_cbranch_execz .LBB910_275
; %bb.270:                              ;   in Loop: Header=BB910_215 Depth=1
	v_cmp_ne_u16_e32 vcc, s9, v42
	v_mov_b32_e32 v44, 0xffff8000
	s_and_saveexec_b64 s[18:19], vcc
	s_cbranch_execz .LBB910_274
; %bb.271:                              ;   in Loop: Header=BB910_215 Depth=1
	v_and_b32_e32 v57, 0x7f, v42
	v_cmp_ne_u32_e32 vcc, s23, v57
	v_mov_b32_e32 v44, 0x7f80
	s_and_saveexec_b64 s[20:21], vcc
	s_cbranch_execz .LBB910_273
; %bb.272:                              ;   in Loop: Header=BB910_215 Depth=1
	v_and_b32_e32 v44, 7, v42
	v_ffbh_u32_e32 v58, v44
	v_min_u32_e32 v61, 32, v58
	v_subrev_u32_e32 v58, 28, v61
	v_lshlrev_b64 v[58:59], v58, v[42:43]
	v_lshrrev_b32_e32 v60, 3, v57
	v_sub_u32_e32 v42, 29, v61
	v_and_b32_e32 v58, 7, v58
	v_cmp_gt_u32_e32 vcc, 8, v57
	v_cndmask_b32_e32 v42, v60, v42, vcc
	v_cndmask_b32_e32 v44, v44, v58, vcc
	v_lshlrev_b32_e32 v57, 16, v40
	v_lshlrev_b32_e32 v44, 20, v44
	v_and_b32_e32 v57, 0x80000000, v57
	v_lshl_add_u32 v42, v42, 23, v55
	v_or3_b32 v42, v57, v42, v44
	v_lshrrev_b32_e32 v44, 16, v42
.LBB910_273:                            ;   in Loop: Header=BB910_215 Depth=1
	s_or_b64 exec, exec, s[20:21]
.LBB910_274:                            ;   in Loop: Header=BB910_215 Depth=1
	s_or_b64 exec, exec, s[18:19]
.LBB910_275:                            ;   in Loop: Header=BB910_215 Depth=1
	s_or_b64 exec, exec, s[16:17]
	v_lshrrev_b32_e32 v42, 16, v40
	v_cmp_ne_u16_sdwa s[18:19], v42, v52 src0_sel:BYTE_0 src1_sel:DWORD
	v_mov_b32_e32 v58, 0
	v_mov_b32_e32 v57, 0
	s_and_saveexec_b64 s[16:17], s[18:19]
	s_cbranch_execz .LBB910_281
; %bb.276:                              ;   in Loop: Header=BB910_215 Depth=1
	v_cmp_ne_u16_sdwa s[20:21], v42, s9 src0_sel:BYTE_0 src1_sel:DWORD
	v_mov_b32_e32 v57, 0xffff8000
	s_and_saveexec_b64 s[18:19], s[20:21]
	s_cbranch_execz .LBB910_280
; %bb.277:                              ;   in Loop: Header=BB910_215 Depth=1
	v_bfe_u32 v59, v40, 16, 7
	v_cmp_ne_u32_e32 vcc, s23, v59
	v_mov_b32_e32 v57, 0x7f80
	s_and_saveexec_b64 s[20:21], vcc
	s_cbranch_execz .LBB910_279
; %bb.278:                              ;   in Loop: Header=BB910_215 Depth=1
	v_and_b32_e32 v57, 7, v42
	v_ffbh_u32_e32 v60, v57
	v_min_u32_e32 v63, 32, v60
	v_subrev_u32_e32 v60, 28, v63
	v_lshlrev_b64 v[60:61], v60, v[42:43]
	v_lshrrev_b32_e32 v62, 3, v59
	v_sub_u32_e32 v61, 29, v63
	v_and_b32_e32 v60, 7, v60
	v_cmp_gt_u32_e32 vcc, 8, v59
	v_cndmask_b32_e32 v59, v62, v61, vcc
	v_cndmask_b32_e32 v57, v57, v60, vcc
	v_lshlrev_b32_e32 v42, 24, v42
	v_lshlrev_b32_e32 v57, 20, v57
	v_and_b32_e32 v42, 0x80000000, v42
	v_lshl_add_u32 v59, v59, 23, v55
	v_or3_b32 v42, v42, v59, v57
	v_lshrrev_b32_e32 v57, 16, v42
.LBB910_279:                            ;   in Loop: Header=BB910_215 Depth=1
	s_or_b64 exec, exec, s[20:21]
.LBB910_280:                            ;   in Loop: Header=BB910_215 Depth=1
	s_or_b64 exec, exec, s[18:19]
.LBB910_281:                            ;   in Loop: Header=BB910_215 Depth=1
	s_or_b64 exec, exec, s[16:17]
	v_cmp_lt_u32_e32 vcc, s24, v40
	s_and_saveexec_b64 s[16:17], vcc
	s_cbranch_execz .LBB910_287
; %bb.282:                              ;   in Loop: Header=BB910_215 Depth=1
	v_lshrrev_b32_e32 v42, 24, v40
	v_cmp_ne_u32_e32 vcc, s9, v42
	v_mov_b32_e32 v58, 0xffff8000
	s_and_saveexec_b64 s[18:19], vcc
	s_cbranch_execz .LBB910_286
; %bb.283:                              ;   in Loop: Header=BB910_215 Depth=1
	v_bfe_u32 v40, v40, 24, 7
	v_cmp_ne_u32_e32 vcc, s23, v40
	v_mov_b32_e32 v58, 0x7f80
	s_and_saveexec_b64 s[20:21], vcc
	s_cbranch_execz .LBB910_285
; %bb.284:                              ;   in Loop: Header=BB910_215 Depth=1
	v_and_b32_e32 v60, 7, v42
	v_ffbh_u32_e32 v58, v60
	v_min_u32_e32 v62, 32, v58
	v_subrev_u32_e32 v58, 28, v62
	v_lshlrev_b64 v[58:59], v58, v[42:43]
	v_lshrrev_b32_e32 v61, 3, v40
	v_sub_u32_e32 v59, 29, v62
	v_and_b32_e32 v58, 7, v58
	v_cmp_gt_u32_e32 vcc, 8, v40
	v_cndmask_b32_e32 v40, v61, v59, vcc
	v_cndmask_b32_e32 v58, v60, v58, vcc
	v_lshlrev_b32_e32 v42, 24, v42
	v_lshlrev_b32_e32 v58, 20, v58
	v_and_b32_e32 v42, 0x80000000, v42
	v_lshl_add_u32 v40, v40, 23, v55
	v_or3_b32 v40, v42, v40, v58
	v_lshrrev_b32_e32 v58, 16, v40
.LBB910_285:                            ;   in Loop: Header=BB910_215 Depth=1
	s_or_b64 exec, exec, s[20:21]
.LBB910_286:                            ;   in Loop: Header=BB910_215 Depth=1
	s_or_b64 exec, exec, s[18:19]
.LBB910_287:                            ;   in Loop: Header=BB910_215 Depth=1
	s_or_b64 exec, exec, s[16:17]
	s_waitcnt vmcnt(0)
	v_cmp_ne_u16_sdwa s[18:19], v38, v52 src0_sel:BYTE_0 src1_sel:DWORD
	v_mov_b32_e32 v59, 0
	v_mov_b32_e32 v60, 0
	s_and_saveexec_b64 s[16:17], s[18:19]
	s_cbranch_execz .LBB910_293
; %bb.288:                              ;   in Loop: Header=BB910_215 Depth=1
	v_cmp_ne_u16_sdwa s[20:21], v38, s9 src0_sel:BYTE_0 src1_sel:DWORD
	v_mov_b32_e32 v60, 0xffff8000
	s_and_saveexec_b64 s[18:19], s[20:21]
	s_cbranch_execz .LBB910_292
; %bb.289:                              ;   in Loop: Header=BB910_215 Depth=1
	v_and_b32_e32 v40, 0x7f, v38
	v_cmp_ne_u32_e32 vcc, s23, v40
	v_mov_b32_e32 v60, 0x7f80
	s_and_saveexec_b64 s[20:21], vcc
	s_cbranch_execz .LBB910_291
; %bb.290:                              ;   in Loop: Header=BB910_215 Depth=1
	v_and_b32_e32 v42, 7, v38
	v_ffbh_u32_e32 v60, v42
	v_min_u32_e32 v63, 32, v60
	v_subrev_u32_e32 v60, 28, v63
	v_lshlrev_b64 v[60:61], v60, v[38:39]
	v_lshrrev_b32_e32 v62, 3, v40
	v_sub_u32_e32 v61, 29, v63
	v_and_b32_e32 v60, 7, v60
	v_cmp_gt_u32_e32 vcc, 8, v40
	v_cndmask_b32_e32 v40, v62, v61, vcc
	v_cndmask_b32_e32 v42, v42, v60, vcc
	v_lshlrev_b32_e32 v60, 24, v38
	v_lshlrev_b32_e32 v42, 20, v42
	v_and_b32_e32 v60, 0x80000000, v60
	v_lshl_add_u32 v40, v40, 23, v55
	v_or3_b32 v40, v60, v40, v42
	v_lshrrev_b32_e32 v60, 16, v40
.LBB910_291:                            ;   in Loop: Header=BB910_215 Depth=1
	s_or_b64 exec, exec, s[20:21]
.LBB910_292:                            ;   in Loop: Header=BB910_215 Depth=1
	s_or_b64 exec, exec, s[18:19]
.LBB910_293:                            ;   in Loop: Header=BB910_215 Depth=1
	s_or_b64 exec, exec, s[16:17]
	v_lshrrev_b16_e32 v40, 8, v38
	v_cmp_ne_u16_e32 vcc, 0, v40
	s_and_saveexec_b64 s[16:17], vcc
	s_cbranch_execz .LBB910_299
; %bb.294:                              ;   in Loop: Header=BB910_215 Depth=1
	v_cmp_ne_u16_e32 vcc, s9, v40
	v_mov_b32_e32 v59, 0xffff8000
	s_and_saveexec_b64 s[18:19], vcc
	s_cbranch_execz .LBB910_298
; %bb.295:                              ;   in Loop: Header=BB910_215 Depth=1
	v_and_b32_e32 v42, 0x7f, v40
	v_cmp_ne_u32_e32 vcc, s23, v42
	v_mov_b32_e32 v59, 0x7f80
	s_and_saveexec_b64 s[20:21], vcc
	s_cbranch_execz .LBB910_297
; %bb.296:                              ;   in Loop: Header=BB910_215 Depth=1
	v_and_b32_e32 v59, 7, v40
	v_ffbh_u32_e32 v62, v59
	v_min_u32_e32 v64, 32, v62
	v_subrev_u32_e32 v62, 28, v64
	v_lshlrev_b64 v[62:63], v62, v[40:41]
	v_lshrrev_b32_e32 v61, 3, v42
	v_sub_u32_e32 v40, 29, v64
	v_and_b32_e32 v62, 7, v62
	v_cmp_gt_u32_e32 vcc, 8, v42
	v_cndmask_b32_e32 v40, v61, v40, vcc
	v_cndmask_b32_e32 v42, v59, v62, vcc
	v_lshlrev_b32_e32 v59, 16, v38
	v_lshlrev_b32_e32 v42, 20, v42
	v_and_b32_e32 v59, 0x80000000, v59
	v_lshl_add_u32 v40, v40, 23, v55
	v_or3_b32 v40, v59, v40, v42
	v_lshrrev_b32_e32 v59, 16, v40
.LBB910_297:                            ;   in Loop: Header=BB910_215 Depth=1
	s_or_b64 exec, exec, s[20:21]
.LBB910_298:                            ;   in Loop: Header=BB910_215 Depth=1
	s_or_b64 exec, exec, s[18:19]
.LBB910_299:                            ;   in Loop: Header=BB910_215 Depth=1
	s_or_b64 exec, exec, s[16:17]
	v_lshrrev_b32_e32 v40, 16, v38
	v_cmp_ne_u16_sdwa s[18:19], v40, v52 src0_sel:BYTE_0 src1_sel:DWORD
	v_mov_b32_e32 v62, 0
	v_mov_b32_e32 v61, 0
	s_and_saveexec_b64 s[16:17], s[18:19]
	s_cbranch_execz .LBB910_305
; %bb.300:                              ;   in Loop: Header=BB910_215 Depth=1
	v_cmp_ne_u16_sdwa s[20:21], v40, s9 src0_sel:BYTE_0 src1_sel:DWORD
	v_mov_b32_e32 v61, 0xffff8000
	s_and_saveexec_b64 s[18:19], s[20:21]
	s_cbranch_execz .LBB910_304
; %bb.301:                              ;   in Loop: Header=BB910_215 Depth=1
	v_bfe_u32 v42, v38, 16, 7
	v_cmp_ne_u32_e32 vcc, s23, v42
	v_mov_b32_e32 v61, 0x7f80
	s_and_saveexec_b64 s[20:21], vcc
	s_cbranch_execz .LBB910_303
; %bb.302:                              ;   in Loop: Header=BB910_215 Depth=1
	v_and_b32_e32 v61, 7, v40
	v_ffbh_u32_e32 v64, v61
	v_min_u32_e32 v66, 32, v64
	v_subrev_u32_e32 v64, 28, v66
	v_lshlrev_b64 v[64:65], v64, v[40:41]
	v_lshrrev_b32_e32 v63, 3, v42
	v_sub_u32_e32 v65, 29, v66
	v_and_b32_e32 v64, 7, v64
	v_cmp_gt_u32_e32 vcc, 8, v42
	v_cndmask_b32_e32 v42, v63, v65, vcc
	v_cndmask_b32_e32 v61, v61, v64, vcc
	v_lshlrev_b32_e32 v40, 24, v40
	v_lshlrev_b32_e32 v61, 20, v61
	v_and_b32_e32 v40, 0x80000000, v40
	v_lshl_add_u32 v42, v42, 23, v55
	v_or3_b32 v40, v40, v42, v61
	v_lshrrev_b32_e32 v61, 16, v40
.LBB910_303:                            ;   in Loop: Header=BB910_215 Depth=1
	s_or_b64 exec, exec, s[20:21]
.LBB910_304:                            ;   in Loop: Header=BB910_215 Depth=1
	s_or_b64 exec, exec, s[18:19]
.LBB910_305:                            ;   in Loop: Header=BB910_215 Depth=1
	s_or_b64 exec, exec, s[16:17]
	v_cmp_lt_u32_e32 vcc, s24, v38
	s_and_saveexec_b64 s[16:17], vcc
	s_cbranch_execz .LBB910_311
; %bb.306:                              ;   in Loop: Header=BB910_215 Depth=1
	v_lshrrev_b32_e32 v40, 24, v38
	v_cmp_ne_u32_e32 vcc, s9, v40
	v_mov_b32_e32 v62, 0xffff8000
	s_and_saveexec_b64 s[18:19], vcc
	s_cbranch_execz .LBB910_310
; %bb.307:                              ;   in Loop: Header=BB910_215 Depth=1
	v_bfe_u32 v38, v38, 24, 7
	v_cmp_ne_u32_e32 vcc, s23, v38
	v_mov_b32_e32 v62, 0x7f80
	s_and_saveexec_b64 s[20:21], vcc
	s_cbranch_execz .LBB910_309
; %bb.308:                              ;   in Loop: Header=BB910_215 Depth=1
	v_and_b32_e32 v42, 7, v40
	v_ffbh_u32_e32 v62, v42
	v_min_u32_e32 v65, 32, v62
	v_subrev_u32_e32 v62, 28, v65
	v_lshlrev_b64 v[62:63], v62, v[40:41]
	v_lshrrev_b32_e32 v64, 3, v38
	v_sub_u32_e32 v63, 29, v65
	v_and_b32_e32 v62, 7, v62
	v_cmp_gt_u32_e32 vcc, 8, v38
	v_cndmask_b32_e32 v38, v64, v63, vcc
	v_cndmask_b32_e32 v42, v42, v62, vcc
	v_lshlrev_b32_e32 v40, 24, v40
	v_lshlrev_b32_e32 v42, 20, v42
	v_and_b32_e32 v40, 0x80000000, v40
	v_lshl_add_u32 v38, v38, 23, v55
	v_or3_b32 v38, v40, v38, v42
	v_lshrrev_b32_e32 v62, 16, v38
.LBB910_309:                            ;   in Loop: Header=BB910_215 Depth=1
	s_or_b64 exec, exec, s[20:21]
.LBB910_310:                            ;   in Loop: Header=BB910_215 Depth=1
	s_or_b64 exec, exec, s[18:19]
.LBB910_311:                            ;   in Loop: Header=BB910_215 Depth=1
	s_or_b64 exec, exec, s[16:17]
	v_perm_b32 v56, v44, v56, s25
	buffer_load_dword v44, v46, s[0:3], 0 offen
	buffer_load_dword v42, v46, s[0:3], 0 offen offset:4
	buffer_load_dword v40, v46, s[0:3], 0 offen offset:8
	;; [unrolled: 1-line block ×3, first 2 shown]
	v_perm_b32 v57, v58, v57, s25
	s_waitcnt vmcnt(3)
	v_cmp_ne_u16_sdwa s[18:19], v44, v52 src0_sel:BYTE_0 src1_sel:DWORD
	v_mfma_f32_16x16x16bf16_1k v[34:37], v[56:57], v[6:7], v[34:37]
	v_perm_b32 v57, v62, v61, s25
	v_perm_b32 v56, v59, v60, s25
	s_nop 1
	v_mfma_f32_16x16x16bf16_1k v[34:37], v[56:57], v[8:9], v[34:37]
	v_mov_b32_e32 v56, 0
	v_mov_b32_e32 v57, 0
	s_and_saveexec_b64 s[16:17], s[18:19]
	s_cbranch_execz .LBB910_317
; %bb.312:                              ;   in Loop: Header=BB910_215 Depth=1
	v_cmp_ne_u16_sdwa s[20:21], v44, s9 src0_sel:BYTE_0 src1_sel:DWORD
	v_mov_b32_e32 v57, 0xffff8000
	s_and_saveexec_b64 s[18:19], s[20:21]
	s_cbranch_execz .LBB910_316
; %bb.313:                              ;   in Loop: Header=BB910_215 Depth=1
	v_and_b32_e32 v46, 0x7f, v44
	v_cmp_ne_u32_e32 vcc, s23, v46
	v_mov_b32_e32 v57, 0x7f80
	s_and_saveexec_b64 s[20:21], vcc
	s_cbranch_execz .LBB910_315
; %bb.314:                              ;   in Loop: Header=BB910_215 Depth=1
	v_and_b32_e32 v57, 7, v44
	v_ffbh_u32_e32 v58, v57
	v_min_u32_e32 v61, 32, v58
	v_subrev_u32_e32 v58, 28, v61
	v_lshlrev_b64 v[58:59], v58, v[44:45]
	v_lshrrev_b32_e32 v60, 3, v46
	v_sub_u32_e32 v59, 29, v61
	v_and_b32_e32 v58, 7, v58
	v_cmp_gt_u32_e32 vcc, 8, v46
	v_cndmask_b32_e32 v46, v60, v59, vcc
	v_cndmask_b32_e32 v57, v57, v58, vcc
	v_lshlrev_b32_e32 v58, 24, v44
	v_lshlrev_b32_e32 v57, 20, v57
	v_and_b32_e32 v58, 0x80000000, v58
	v_lshl_add_u32 v46, v46, 23, v55
	v_or3_b32 v46, v58, v46, v57
	v_lshrrev_b32_e32 v57, 16, v46
.LBB910_315:                            ;   in Loop: Header=BB910_215 Depth=1
	s_or_b64 exec, exec, s[20:21]
.LBB910_316:                            ;   in Loop: Header=BB910_215 Depth=1
	s_or_b64 exec, exec, s[18:19]
.LBB910_317:                            ;   in Loop: Header=BB910_215 Depth=1
	s_or_b64 exec, exec, s[16:17]
	v_lshrrev_b16_e32 v46, 8, v44
	v_cmp_ne_u16_e32 vcc, 0, v46
	s_and_saveexec_b64 s[16:17], vcc
	s_cbranch_execz .LBB910_323
; %bb.318:                              ;   in Loop: Header=BB910_215 Depth=1
	v_cmp_ne_u16_e32 vcc, s9, v46
	v_mov_b32_e32 v56, 0xffff8000
	s_and_saveexec_b64 s[18:19], vcc
	s_cbranch_execz .LBB910_322
; %bb.319:                              ;   in Loop: Header=BB910_215 Depth=1
	v_and_b32_e32 v58, 0x7f, v46
	v_cmp_ne_u32_e32 vcc, s23, v58
	v_mov_b32_e32 v56, 0x7f80
	s_and_saveexec_b64 s[20:21], vcc
	s_cbranch_execz .LBB910_321
; %bb.320:                              ;   in Loop: Header=BB910_215 Depth=1
	v_and_b32_e32 v56, 7, v46
	v_ffbh_u32_e32 v60, v56
	v_min_u32_e32 v62, 32, v60
	v_subrev_u32_e32 v60, 28, v62
	v_lshlrev_b64 v[60:61], v60, v[46:47]
	v_lshrrev_b32_e32 v59, 3, v58
	v_sub_u32_e32 v46, 29, v62
	v_and_b32_e32 v60, 7, v60
	v_cmp_gt_u32_e32 vcc, 8, v58
	v_cndmask_b32_e32 v46, v59, v46, vcc
	v_cndmask_b32_e32 v56, v56, v60, vcc
	v_lshlrev_b32_e32 v58, 16, v44
	v_lshlrev_b32_e32 v56, 20, v56
	v_and_b32_e32 v58, 0x80000000, v58
	v_lshl_add_u32 v46, v46, 23, v55
	v_or3_b32 v46, v58, v46, v56
	v_lshrrev_b32_e32 v56, 16, v46
.LBB910_321:                            ;   in Loop: Header=BB910_215 Depth=1
	s_or_b64 exec, exec, s[20:21]
.LBB910_322:                            ;   in Loop: Header=BB910_215 Depth=1
	s_or_b64 exec, exec, s[18:19]
.LBB910_323:                            ;   in Loop: Header=BB910_215 Depth=1
	s_or_b64 exec, exec, s[16:17]
	v_lshrrev_b32_e32 v46, 16, v44
	v_cmp_ne_u16_sdwa s[18:19], v46, v52 src0_sel:BYTE_0 src1_sel:DWORD
	v_mov_b32_e32 v59, 0
	v_mov_b32_e32 v58, 0
	s_and_saveexec_b64 s[16:17], s[18:19]
	s_cbranch_execz .LBB910_329
; %bb.324:                              ;   in Loop: Header=BB910_215 Depth=1
	v_cmp_ne_u16_sdwa s[20:21], v46, s9 src0_sel:BYTE_0 src1_sel:DWORD
	v_mov_b32_e32 v58, 0xffff8000
	s_and_saveexec_b64 s[18:19], s[20:21]
	s_cbranch_execz .LBB910_328
; %bb.325:                              ;   in Loop: Header=BB910_215 Depth=1
	v_bfe_u32 v60, v44, 16, 7
	v_cmp_ne_u32_e32 vcc, s23, v60
	v_mov_b32_e32 v58, 0x7f80
	s_and_saveexec_b64 s[20:21], vcc
	s_cbranch_execz .LBB910_327
; %bb.326:                              ;   in Loop: Header=BB910_215 Depth=1
	v_and_b32_e32 v58, 7, v46
	v_ffbh_u32_e32 v62, v58
	v_min_u32_e32 v64, 32, v62
	v_subrev_u32_e32 v62, 28, v64
	v_lshlrev_b64 v[62:63], v62, v[46:47]
	v_lshrrev_b32_e32 v61, 3, v60
	v_sub_u32_e32 v63, 29, v64
	v_and_b32_e32 v62, 7, v62
	v_cmp_gt_u32_e32 vcc, 8, v60
	v_cndmask_b32_e32 v60, v61, v63, vcc
	v_cndmask_b32_e32 v58, v58, v62, vcc
	v_lshlrev_b32_e32 v46, 24, v46
	v_lshlrev_b32_e32 v58, 20, v58
	v_and_b32_e32 v46, 0x80000000, v46
	v_lshl_add_u32 v60, v60, 23, v55
	v_or3_b32 v46, v46, v60, v58
	v_lshrrev_b32_e32 v58, 16, v46
.LBB910_327:                            ;   in Loop: Header=BB910_215 Depth=1
	s_or_b64 exec, exec, s[20:21]
.LBB910_328:                            ;   in Loop: Header=BB910_215 Depth=1
	s_or_b64 exec, exec, s[18:19]
.LBB910_329:                            ;   in Loop: Header=BB910_215 Depth=1
	s_or_b64 exec, exec, s[16:17]
	v_cmp_lt_u32_e32 vcc, s24, v44
	s_and_saveexec_b64 s[16:17], vcc
	s_cbranch_execz .LBB910_335
; %bb.330:                              ;   in Loop: Header=BB910_215 Depth=1
	v_lshrrev_b32_e32 v46, 24, v44
	v_cmp_ne_u32_e32 vcc, s9, v46
	v_mov_b32_e32 v59, 0xffff8000
	s_and_saveexec_b64 s[18:19], vcc
	s_cbranch_execz .LBB910_334
; %bb.331:                              ;   in Loop: Header=BB910_215 Depth=1
	v_bfe_u32 v44, v44, 24, 7
	v_cmp_ne_u32_e32 vcc, s23, v44
	v_mov_b32_e32 v59, 0x7f80
	s_and_saveexec_b64 s[20:21], vcc
	s_cbranch_execz .LBB910_333
; %bb.332:                              ;   in Loop: Header=BB910_215 Depth=1
	v_and_b32_e32 v59, 7, v46
	v_ffbh_u32_e32 v60, v59
	v_min_u32_e32 v63, 32, v60
	v_subrev_u32_e32 v60, 28, v63
	v_lshlrev_b64 v[60:61], v60, v[46:47]
	v_lshrrev_b32_e32 v62, 3, v44
	v_sub_u32_e32 v61, 29, v63
	v_and_b32_e32 v60, 7, v60
	v_cmp_gt_u32_e32 vcc, 8, v44
	v_cndmask_b32_e32 v44, v62, v61, vcc
	v_cndmask_b32_e32 v59, v59, v60, vcc
	v_lshlrev_b32_e32 v46, 24, v46
	v_lshlrev_b32_e32 v59, 20, v59
	v_and_b32_e32 v46, 0x80000000, v46
	v_lshl_add_u32 v44, v44, 23, v55
	v_or3_b32 v44, v46, v44, v59
	v_lshrrev_b32_e32 v59, 16, v44
.LBB910_333:                            ;   in Loop: Header=BB910_215 Depth=1
	s_or_b64 exec, exec, s[20:21]
.LBB910_334:                            ;   in Loop: Header=BB910_215 Depth=1
	s_or_b64 exec, exec, s[18:19]
.LBB910_335:                            ;   in Loop: Header=BB910_215 Depth=1
	s_or_b64 exec, exec, s[16:17]
	s_waitcnt vmcnt(2)
	v_cmp_ne_u16_sdwa s[18:19], v42, v52 src0_sel:BYTE_0 src1_sel:DWORD
	v_mov_b32_e32 v46, 0
	v_mov_b32_e32 v60, 0
	s_and_saveexec_b64 s[16:17], s[18:19]
	s_cbranch_execz .LBB910_341
; %bb.336:                              ;   in Loop: Header=BB910_215 Depth=1
	v_cmp_ne_u16_sdwa s[20:21], v42, s9 src0_sel:BYTE_0 src1_sel:DWORD
	v_mov_b32_e32 v60, 0xffff8000
	s_and_saveexec_b64 s[18:19], s[20:21]
	s_cbranch_execz .LBB910_340
; %bb.337:                              ;   in Loop: Header=BB910_215 Depth=1
	v_and_b32_e32 v44, 0x7f, v42
	v_cmp_ne_u32_e32 vcc, s23, v44
	v_mov_b32_e32 v60, 0x7f80
	s_and_saveexec_b64 s[20:21], vcc
	s_cbranch_execz .LBB910_339
; %bb.338:                              ;   in Loop: Header=BB910_215 Depth=1
	v_and_b32_e32 v62, 7, v42
	v_ffbh_u32_e32 v60, v62
	v_min_u32_e32 v64, 32, v60
	v_subrev_u32_e32 v60, 28, v64
	v_lshlrev_b64 v[60:61], v60, v[42:43]
	v_lshrrev_b32_e32 v63, 3, v44
	v_sub_u32_e32 v61, 29, v64
	v_and_b32_e32 v60, 7, v60
	v_cmp_gt_u32_e32 vcc, 8, v44
	v_cndmask_b32_e32 v44, v63, v61, vcc
	v_cndmask_b32_e32 v60, v62, v60, vcc
	v_lshlrev_b32_e32 v61, 24, v42
	v_lshlrev_b32_e32 v60, 20, v60
	v_and_b32_e32 v61, 0x80000000, v61
	v_lshl_add_u32 v44, v44, 23, v55
	v_or3_b32 v44, v61, v44, v60
	v_lshrrev_b32_e32 v60, 16, v44
.LBB910_339:                            ;   in Loop: Header=BB910_215 Depth=1
	s_or_b64 exec, exec, s[20:21]
.LBB910_340:                            ;   in Loop: Header=BB910_215 Depth=1
	s_or_b64 exec, exec, s[18:19]
.LBB910_341:                            ;   in Loop: Header=BB910_215 Depth=1
	s_or_b64 exec, exec, s[16:17]
	v_lshrrev_b16_e32 v44, 8, v42
	v_cmp_ne_u16_e32 vcc, 0, v44
	s_and_saveexec_b64 s[16:17], vcc
	s_cbranch_execz .LBB910_347
; %bb.342:                              ;   in Loop: Header=BB910_215 Depth=1
	v_cmp_ne_u16_e32 vcc, s9, v44
	v_mov_b32_e32 v46, 0xffff8000
	s_and_saveexec_b64 s[18:19], vcc
	s_cbranch_execz .LBB910_346
; %bb.343:                              ;   in Loop: Header=BB910_215 Depth=1
	v_and_b32_e32 v61, 0x7f, v44
	v_cmp_ne_u32_e32 vcc, s23, v61
	v_mov_b32_e32 v46, 0x7f80
	s_and_saveexec_b64 s[20:21], vcc
	s_cbranch_execz .LBB910_345
; %bb.344:                              ;   in Loop: Header=BB910_215 Depth=1
	v_and_b32_e32 v46, 7, v44
	v_ffbh_u32_e32 v62, v46
	v_min_u32_e32 v65, 32, v62
	v_subrev_u32_e32 v62, 28, v65
	v_lshlrev_b64 v[62:63], v62, v[44:45]
	v_lshrrev_b32_e32 v64, 3, v61
	v_sub_u32_e32 v44, 29, v65
	v_and_b32_e32 v62, 7, v62
	v_cmp_gt_u32_e32 vcc, 8, v61
	v_cndmask_b32_e32 v44, v64, v44, vcc
	v_cndmask_b32_e32 v46, v46, v62, vcc
	v_lshlrev_b32_e32 v61, 16, v42
	v_lshlrev_b32_e32 v46, 20, v46
	v_and_b32_e32 v61, 0x80000000, v61
	v_lshl_add_u32 v44, v44, 23, v55
	v_or3_b32 v44, v61, v44, v46
	v_lshrrev_b32_e32 v46, 16, v44
.LBB910_345:                            ;   in Loop: Header=BB910_215 Depth=1
	s_or_b64 exec, exec, s[20:21]
.LBB910_346:                            ;   in Loop: Header=BB910_215 Depth=1
	s_or_b64 exec, exec, s[18:19]
.LBB910_347:                            ;   in Loop: Header=BB910_215 Depth=1
	s_or_b64 exec, exec, s[16:17]
	v_lshrrev_b32_e32 v44, 16, v42
	v_cmp_ne_u16_sdwa s[18:19], v44, v52 src0_sel:BYTE_0 src1_sel:DWORD
	v_mov_b32_e32 v62, 0
	v_mov_b32_e32 v61, 0
	s_and_saveexec_b64 s[16:17], s[18:19]
	s_cbranch_execz .LBB910_353
; %bb.348:                              ;   in Loop: Header=BB910_215 Depth=1
	v_cmp_ne_u16_sdwa s[20:21], v44, s9 src0_sel:BYTE_0 src1_sel:DWORD
	v_mov_b32_e32 v61, 0xffff8000
	s_and_saveexec_b64 s[18:19], s[20:21]
	s_cbranch_execz .LBB910_352
; %bb.349:                              ;   in Loop: Header=BB910_215 Depth=1
	v_bfe_u32 v63, v42, 16, 7
	v_cmp_ne_u32_e32 vcc, s23, v63
	v_mov_b32_e32 v61, 0x7f80
	s_and_saveexec_b64 s[20:21], vcc
	s_cbranch_execz .LBB910_351
; %bb.350:                              ;   in Loop: Header=BB910_215 Depth=1
	v_and_b32_e32 v61, 7, v44
	v_ffbh_u32_e32 v64, v61
	v_min_u32_e32 v67, 32, v64
	v_subrev_u32_e32 v64, 28, v67
	v_lshlrev_b64 v[64:65], v64, v[44:45]
	v_lshrrev_b32_e32 v66, 3, v63
	v_sub_u32_e32 v65, 29, v67
	v_and_b32_e32 v64, 7, v64
	v_cmp_gt_u32_e32 vcc, 8, v63
	v_cndmask_b32_e32 v63, v66, v65, vcc
	v_cndmask_b32_e32 v61, v61, v64, vcc
	v_lshlrev_b32_e32 v44, 24, v44
	v_lshlrev_b32_e32 v61, 20, v61
	v_and_b32_e32 v44, 0x80000000, v44
	v_lshl_add_u32 v63, v63, 23, v55
	v_or3_b32 v44, v44, v63, v61
	v_lshrrev_b32_e32 v61, 16, v44
.LBB910_351:                            ;   in Loop: Header=BB910_215 Depth=1
	s_or_b64 exec, exec, s[20:21]
.LBB910_352:                            ;   in Loop: Header=BB910_215 Depth=1
	s_or_b64 exec, exec, s[18:19]
.LBB910_353:                            ;   in Loop: Header=BB910_215 Depth=1
	s_or_b64 exec, exec, s[16:17]
	v_cmp_lt_u32_e32 vcc, s24, v42
	s_and_saveexec_b64 s[16:17], vcc
	s_cbranch_execz .LBB910_359
; %bb.354:                              ;   in Loop: Header=BB910_215 Depth=1
	v_lshrrev_b32_e32 v44, 24, v42
	v_cmp_ne_u32_e32 vcc, s9, v44
	v_mov_b32_e32 v62, 0xffff8000
	s_and_saveexec_b64 s[18:19], vcc
	s_cbranch_execz .LBB910_358
; %bb.355:                              ;   in Loop: Header=BB910_215 Depth=1
	v_bfe_u32 v42, v42, 24, 7
	v_cmp_ne_u32_e32 vcc, s23, v42
	v_mov_b32_e32 v62, 0x7f80
	s_and_saveexec_b64 s[20:21], vcc
	s_cbranch_execz .LBB910_357
; %bb.356:                              ;   in Loop: Header=BB910_215 Depth=1
	v_and_b32_e32 v64, 7, v44
	v_ffbh_u32_e32 v62, v64
	v_min_u32_e32 v66, 32, v62
	v_subrev_u32_e32 v62, 28, v66
	v_lshlrev_b64 v[62:63], v62, v[44:45]
	v_lshrrev_b32_e32 v65, 3, v42
	v_sub_u32_e32 v63, 29, v66
	v_and_b32_e32 v62, 7, v62
	v_cmp_gt_u32_e32 vcc, 8, v42
	v_cndmask_b32_e32 v42, v65, v63, vcc
	v_cndmask_b32_e32 v62, v64, v62, vcc
	v_lshlrev_b32_e32 v44, 24, v44
	v_lshlrev_b32_e32 v62, 20, v62
	v_and_b32_e32 v44, 0x80000000, v44
	v_lshl_add_u32 v42, v42, 23, v55
	v_or3_b32 v42, v44, v42, v62
	v_lshrrev_b32_e32 v62, 16, v42
.LBB910_357:                            ;   in Loop: Header=BB910_215 Depth=1
	s_or_b64 exec, exec, s[20:21]
.LBB910_358:                            ;   in Loop: Header=BB910_215 Depth=1
	s_or_b64 exec, exec, s[18:19]
.LBB910_359:                            ;   in Loop: Header=BB910_215 Depth=1
	s_or_b64 exec, exec, s[16:17]
	v_perm_b32 v59, v59, v58, s25
	v_perm_b32 v58, v56, v57, s25
	;; [unrolled: 1-line block ×4, first 2 shown]
	s_waitcnt vmcnt(1)
	v_cmp_ne_u16_sdwa s[18:19], v40, v52 src0_sel:BYTE_0 src1_sel:DWORD
	v_mfma_f32_16x16x16bf16_1k v[34:37], v[58:59], v[10:11], v[34:37]
	v_mov_b32_e32 v44, 0
	v_mov_b32_e32 v46, 0
	v_mfma_f32_16x16x16bf16_1k v[34:37], v[56:57], v[12:13], v[34:37]
	s_and_saveexec_b64 s[16:17], s[18:19]
	s_cbranch_execz .LBB910_365
; %bb.360:                              ;   in Loop: Header=BB910_215 Depth=1
	v_cmp_ne_u16_sdwa s[20:21], v40, s9 src0_sel:BYTE_0 src1_sel:DWORD
	v_mov_b32_e32 v46, 0xffff8000
	s_and_saveexec_b64 s[18:19], s[20:21]
	s_cbranch_execz .LBB910_364
; %bb.361:                              ;   in Loop: Header=BB910_215 Depth=1
	v_and_b32_e32 v42, 0x7f, v40
	v_cmp_ne_u32_e32 vcc, s23, v42
	v_mov_b32_e32 v46, 0x7f80
	s_and_saveexec_b64 s[20:21], vcc
	s_cbranch_execz .LBB910_363
; %bb.362:                              ;   in Loop: Header=BB910_215 Depth=1
	v_and_b32_e32 v46, 7, v40
	v_ffbh_u32_e32 v56, v46
	v_min_u32_e32 v59, 32, v56
	v_subrev_u32_e32 v56, 28, v59
	v_lshlrev_b64 v[56:57], v56, v[40:41]
	v_lshrrev_b32_e32 v58, 3, v42
	v_sub_u32_e32 v57, 29, v59
	v_and_b32_e32 v56, 7, v56
	v_cmp_gt_u32_e32 vcc, 8, v42
	v_cndmask_b32_e32 v42, v58, v57, vcc
	v_cndmask_b32_e32 v46, v46, v56, vcc
	v_lshlrev_b32_e32 v56, 24, v40
	v_lshlrev_b32_e32 v46, 20, v46
	v_and_b32_e32 v56, 0x80000000, v56
	v_lshl_add_u32 v42, v42, 23, v55
	v_or3_b32 v42, v56, v42, v46
	v_lshrrev_b32_e32 v46, 16, v42
.LBB910_363:                            ;   in Loop: Header=BB910_215 Depth=1
	s_or_b64 exec, exec, s[20:21]
.LBB910_364:                            ;   in Loop: Header=BB910_215 Depth=1
	s_or_b64 exec, exec, s[18:19]
.LBB910_365:                            ;   in Loop: Header=BB910_215 Depth=1
	s_or_b64 exec, exec, s[16:17]
	v_lshrrev_b16_e32 v42, 8, v40
	v_cmp_ne_u16_e32 vcc, 0, v42
	s_and_saveexec_b64 s[16:17], vcc
	s_cbranch_execz .LBB910_371
; %bb.366:                              ;   in Loop: Header=BB910_215 Depth=1
	v_cmp_ne_u16_e32 vcc, s9, v42
	v_mov_b32_e32 v44, 0xffff8000
	s_and_saveexec_b64 s[18:19], vcc
	s_cbranch_execz .LBB910_370
; %bb.367:                              ;   in Loop: Header=BB910_215 Depth=1
	v_and_b32_e32 v56, 0x7f, v42
	v_cmp_ne_u32_e32 vcc, s23, v56
	v_mov_b32_e32 v44, 0x7f80
	s_and_saveexec_b64 s[20:21], vcc
	s_cbranch_execz .LBB910_369
; %bb.368:                              ;   in Loop: Header=BB910_215 Depth=1
	v_and_b32_e32 v44, 7, v42
	v_ffbh_u32_e32 v58, v44
	v_min_u32_e32 v60, 32, v58
	v_subrev_u32_e32 v58, 28, v60
	v_lshlrev_b64 v[58:59], v58, v[42:43]
	v_lshrrev_b32_e32 v57, 3, v56
	v_sub_u32_e32 v42, 29, v60
	v_and_b32_e32 v58, 7, v58
	v_cmp_gt_u32_e32 vcc, 8, v56
	v_cndmask_b32_e32 v42, v57, v42, vcc
	v_cndmask_b32_e32 v44, v44, v58, vcc
	v_lshlrev_b32_e32 v56, 16, v40
	v_lshlrev_b32_e32 v44, 20, v44
	v_and_b32_e32 v56, 0x80000000, v56
	v_lshl_add_u32 v42, v42, 23, v55
	v_or3_b32 v42, v56, v42, v44
	v_lshrrev_b32_e32 v44, 16, v42
.LBB910_369:                            ;   in Loop: Header=BB910_215 Depth=1
	s_or_b64 exec, exec, s[20:21]
.LBB910_370:                            ;   in Loop: Header=BB910_215 Depth=1
	s_or_b64 exec, exec, s[18:19]
.LBB910_371:                            ;   in Loop: Header=BB910_215 Depth=1
	s_or_b64 exec, exec, s[16:17]
	v_lshrrev_b32_e32 v42, 16, v40
	v_cmp_ne_u16_sdwa s[18:19], v42, v52 src0_sel:BYTE_0 src1_sel:DWORD
	v_mov_b32_e32 v57, 0
	v_mov_b32_e32 v56, 0
	s_and_saveexec_b64 s[16:17], s[18:19]
	s_cbranch_execz .LBB910_377
; %bb.372:                              ;   in Loop: Header=BB910_215 Depth=1
	v_cmp_ne_u16_sdwa s[20:21], v42, s9 src0_sel:BYTE_0 src1_sel:DWORD
	v_mov_b32_e32 v56, 0xffff8000
	s_and_saveexec_b64 s[18:19], s[20:21]
	s_cbranch_execz .LBB910_376
; %bb.373:                              ;   in Loop: Header=BB910_215 Depth=1
	v_bfe_u32 v58, v40, 16, 7
	v_cmp_ne_u32_e32 vcc, s23, v58
	v_mov_b32_e32 v56, 0x7f80
	s_and_saveexec_b64 s[20:21], vcc
	s_cbranch_execz .LBB910_375
; %bb.374:                              ;   in Loop: Header=BB910_215 Depth=1
	v_and_b32_e32 v56, 7, v42
	v_ffbh_u32_e32 v60, v56
	v_min_u32_e32 v62, 32, v60
	v_subrev_u32_e32 v60, 28, v62
	v_lshlrev_b64 v[60:61], v60, v[42:43]
	v_lshrrev_b32_e32 v59, 3, v58
	v_sub_u32_e32 v61, 29, v62
	v_and_b32_e32 v60, 7, v60
	v_cmp_gt_u32_e32 vcc, 8, v58
	v_cndmask_b32_e32 v58, v59, v61, vcc
	v_cndmask_b32_e32 v56, v56, v60, vcc
	v_lshlrev_b32_e32 v42, 24, v42
	v_lshlrev_b32_e32 v56, 20, v56
	v_and_b32_e32 v42, 0x80000000, v42
	v_lshl_add_u32 v58, v58, 23, v55
	v_or3_b32 v42, v42, v58, v56
	v_lshrrev_b32_e32 v56, 16, v42
.LBB910_375:                            ;   in Loop: Header=BB910_215 Depth=1
	s_or_b64 exec, exec, s[20:21]
.LBB910_376:                            ;   in Loop: Header=BB910_215 Depth=1
	s_or_b64 exec, exec, s[18:19]
.LBB910_377:                            ;   in Loop: Header=BB910_215 Depth=1
	s_or_b64 exec, exec, s[16:17]
	v_cmp_lt_u32_e32 vcc, s24, v40
	s_and_saveexec_b64 s[16:17], vcc
	s_cbranch_execz .LBB910_383
; %bb.378:                              ;   in Loop: Header=BB910_215 Depth=1
	v_lshrrev_b32_e32 v42, 24, v40
	v_cmp_ne_u32_e32 vcc, s9, v42
	v_mov_b32_e32 v57, 0xffff8000
	s_and_saveexec_b64 s[18:19], vcc
	s_cbranch_execz .LBB910_382
; %bb.379:                              ;   in Loop: Header=BB910_215 Depth=1
	v_bfe_u32 v40, v40, 24, 7
	v_cmp_ne_u32_e32 vcc, s23, v40
	v_mov_b32_e32 v57, 0x7f80
	s_and_saveexec_b64 s[20:21], vcc
	s_cbranch_execz .LBB910_381
; %bb.380:                              ;   in Loop: Header=BB910_215 Depth=1
	v_and_b32_e32 v57, 7, v42
	v_ffbh_u32_e32 v58, v57
	v_min_u32_e32 v61, 32, v58
	v_subrev_u32_e32 v58, 28, v61
	v_lshlrev_b64 v[58:59], v58, v[42:43]
	v_lshrrev_b32_e32 v60, 3, v40
	v_sub_u32_e32 v59, 29, v61
	v_and_b32_e32 v58, 7, v58
	v_cmp_gt_u32_e32 vcc, 8, v40
	v_cndmask_b32_e32 v40, v60, v59, vcc
	v_cndmask_b32_e32 v57, v57, v58, vcc
	v_lshlrev_b32_e32 v42, 24, v42
	v_lshlrev_b32_e32 v57, 20, v57
	v_and_b32_e32 v42, 0x80000000, v42
	v_lshl_add_u32 v40, v40, 23, v55
	v_or3_b32 v40, v42, v40, v57
	v_lshrrev_b32_e32 v57, 16, v40
.LBB910_381:                            ;   in Loop: Header=BB910_215 Depth=1
	s_or_b64 exec, exec, s[20:21]
.LBB910_382:                            ;   in Loop: Header=BB910_215 Depth=1
	s_or_b64 exec, exec, s[18:19]
.LBB910_383:                            ;   in Loop: Header=BB910_215 Depth=1
	s_or_b64 exec, exec, s[16:17]
	s_waitcnt vmcnt(0)
	v_cmp_ne_u16_sdwa s[18:19], v38, v52 src0_sel:BYTE_0 src1_sel:DWORD
	v_mov_b32_e32 v58, 0
	v_mov_b32_e32 v59, 0
	s_and_saveexec_b64 s[16:17], s[18:19]
	s_cbranch_execz .LBB910_389
; %bb.384:                              ;   in Loop: Header=BB910_215 Depth=1
	v_cmp_ne_u16_sdwa s[20:21], v38, s9 src0_sel:BYTE_0 src1_sel:DWORD
	v_mov_b32_e32 v59, 0xffff8000
	s_and_saveexec_b64 s[18:19], s[20:21]
	s_cbranch_execz .LBB910_388
; %bb.385:                              ;   in Loop: Header=BB910_215 Depth=1
	v_and_b32_e32 v40, 0x7f, v38
	v_cmp_ne_u32_e32 vcc, s23, v40
	v_mov_b32_e32 v59, 0x7f80
	s_and_saveexec_b64 s[20:21], vcc
	s_cbranch_execz .LBB910_387
; %bb.386:                              ;   in Loop: Header=BB910_215 Depth=1
	v_and_b32_e32 v42, 7, v38
	v_ffbh_u32_e32 v60, v42
	v_min_u32_e32 v62, 32, v60
	v_subrev_u32_e32 v60, 28, v62
	v_lshlrev_b64 v[60:61], v60, v[38:39]
	v_lshrrev_b32_e32 v59, 3, v40
	v_sub_u32_e32 v61, 29, v62
	v_and_b32_e32 v60, 7, v60
	v_cmp_gt_u32_e32 vcc, 8, v40
	v_cndmask_b32_e32 v40, v59, v61, vcc
	v_cndmask_b32_e32 v42, v42, v60, vcc
	v_lshlrev_b32_e32 v59, 24, v38
	v_lshlrev_b32_e32 v42, 20, v42
	v_and_b32_e32 v59, 0x80000000, v59
	v_lshl_add_u32 v40, v40, 23, v55
	v_or3_b32 v40, v59, v40, v42
	v_lshrrev_b32_e32 v59, 16, v40
.LBB910_387:                            ;   in Loop: Header=BB910_215 Depth=1
	s_or_b64 exec, exec, s[20:21]
.LBB910_388:                            ;   in Loop: Header=BB910_215 Depth=1
	s_or_b64 exec, exec, s[18:19]
.LBB910_389:                            ;   in Loop: Header=BB910_215 Depth=1
	s_or_b64 exec, exec, s[16:17]
	v_lshrrev_b16_e32 v40, 8, v38
	v_cmp_ne_u16_e32 vcc, 0, v40
	s_and_saveexec_b64 s[16:17], vcc
	s_cbranch_execz .LBB910_395
; %bb.390:                              ;   in Loop: Header=BB910_215 Depth=1
	v_cmp_ne_u16_e32 vcc, s9, v40
	v_mov_b32_e32 v58, 0xffff8000
	s_and_saveexec_b64 s[18:19], vcc
	s_cbranch_execz .LBB910_394
; %bb.391:                              ;   in Loop: Header=BB910_215 Depth=1
	v_and_b32_e32 v42, 0x7f, v40
	v_cmp_ne_u32_e32 vcc, s23, v42
	v_mov_b32_e32 v58, 0x7f80
	s_and_saveexec_b64 s[20:21], vcc
	s_cbranch_execz .LBB910_393
; %bb.392:                              ;   in Loop: Header=BB910_215 Depth=1
	v_and_b32_e32 v58, 7, v40
	v_ffbh_u32_e32 v60, v58
	v_min_u32_e32 v63, 32, v60
	v_subrev_u32_e32 v60, 28, v63
	v_lshlrev_b64 v[60:61], v60, v[40:41]
	v_lshrrev_b32_e32 v62, 3, v42
	v_sub_u32_e32 v40, 29, v63
	v_and_b32_e32 v60, 7, v60
	v_cmp_gt_u32_e32 vcc, 8, v42
	v_cndmask_b32_e32 v40, v62, v40, vcc
	v_cndmask_b32_e32 v42, v58, v60, vcc
	v_lshlrev_b32_e32 v58, 16, v38
	v_lshlrev_b32_e32 v42, 20, v42
	v_and_b32_e32 v58, 0x80000000, v58
	v_lshl_add_u32 v40, v40, 23, v55
	v_or3_b32 v40, v58, v40, v42
	v_lshrrev_b32_e32 v58, 16, v40
.LBB910_393:                            ;   in Loop: Header=BB910_215 Depth=1
	s_or_b64 exec, exec, s[20:21]
.LBB910_394:                            ;   in Loop: Header=BB910_215 Depth=1
	s_or_b64 exec, exec, s[18:19]
.LBB910_395:                            ;   in Loop: Header=BB910_215 Depth=1
	s_or_b64 exec, exec, s[16:17]
	v_lshrrev_b32_e32 v40, 16, v38
	v_cmp_ne_u16_sdwa s[18:19], v40, v52 src0_sel:BYTE_0 src1_sel:DWORD
	v_mov_b32_e32 v61, 0
	v_mov_b32_e32 v60, 0
	s_and_saveexec_b64 s[16:17], s[18:19]
	s_cbranch_execz .LBB910_401
; %bb.396:                              ;   in Loop: Header=BB910_215 Depth=1
	v_cmp_ne_u16_sdwa s[20:21], v40, s9 src0_sel:BYTE_0 src1_sel:DWORD
	v_mov_b32_e32 v60, 0xffff8000
	s_and_saveexec_b64 s[18:19], s[20:21]
	s_cbranch_execz .LBB910_400
; %bb.397:                              ;   in Loop: Header=BB910_215 Depth=1
	v_bfe_u32 v42, v38, 16, 7
	v_cmp_ne_u32_e32 vcc, s23, v42
	v_mov_b32_e32 v60, 0x7f80
	s_and_saveexec_b64 s[20:21], vcc
	s_cbranch_execz .LBB910_399
; %bb.398:                              ;   in Loop: Header=BB910_215 Depth=1
	v_and_b32_e32 v60, 7, v40
	v_ffbh_u32_e32 v62, v60
	v_min_u32_e32 v65, 32, v62
	v_subrev_u32_e32 v62, 28, v65
	v_lshlrev_b64 v[62:63], v62, v[40:41]
	v_lshrrev_b32_e32 v64, 3, v42
	v_sub_u32_e32 v63, 29, v65
	v_and_b32_e32 v62, 7, v62
	v_cmp_gt_u32_e32 vcc, 8, v42
	v_cndmask_b32_e32 v42, v64, v63, vcc
	v_cndmask_b32_e32 v60, v60, v62, vcc
	v_lshlrev_b32_e32 v40, 24, v40
	v_lshlrev_b32_e32 v60, 20, v60
	v_and_b32_e32 v40, 0x80000000, v40
	v_lshl_add_u32 v42, v42, 23, v55
	v_or3_b32 v40, v40, v42, v60
	v_lshrrev_b32_e32 v60, 16, v40
.LBB910_399:                            ;   in Loop: Header=BB910_215 Depth=1
	s_or_b64 exec, exec, s[20:21]
.LBB910_400:                            ;   in Loop: Header=BB910_215 Depth=1
	s_or_b64 exec, exec, s[18:19]
.LBB910_401:                            ;   in Loop: Header=BB910_215 Depth=1
	s_or_b64 exec, exec, s[16:17]
	v_cmp_lt_u32_e32 vcc, s24, v38
	s_and_saveexec_b64 s[16:17], vcc
	s_cbranch_execz .LBB910_407
; %bb.402:                              ;   in Loop: Header=BB910_215 Depth=1
	v_lshrrev_b32_e32 v40, 24, v38
	v_cmp_ne_u32_e32 vcc, s9, v40
	v_mov_b32_e32 v61, 0xffff8000
	s_and_saveexec_b64 s[18:19], vcc
	s_cbranch_execz .LBB910_406
; %bb.403:                              ;   in Loop: Header=BB910_215 Depth=1
	v_bfe_u32 v38, v38, 24, 7
	v_cmp_ne_u32_e32 vcc, s23, v38
	v_mov_b32_e32 v61, 0x7f80
	s_and_saveexec_b64 s[20:21], vcc
	s_cbranch_execz .LBB910_405
; %bb.404:                              ;   in Loop: Header=BB910_215 Depth=1
	v_and_b32_e32 v42, 7, v40
	v_ffbh_u32_e32 v62, v42
	v_min_u32_e32 v64, 32, v62
	v_subrev_u32_e32 v62, 28, v64
	v_lshlrev_b64 v[62:63], v62, v[40:41]
	v_lshrrev_b32_e32 v61, 3, v38
	v_sub_u32_e32 v63, 29, v64
	v_and_b32_e32 v62, 7, v62
	v_cmp_gt_u32_e32 vcc, 8, v38
	v_cndmask_b32_e32 v38, v61, v63, vcc
	v_cndmask_b32_e32 v42, v42, v62, vcc
	v_lshlrev_b32_e32 v40, 24, v40
	v_lshlrev_b32_e32 v42, 20, v42
	v_and_b32_e32 v40, 0x80000000, v40
	v_lshl_add_u32 v38, v38, 23, v55
	v_or3_b32 v38, v40, v38, v42
	v_lshrrev_b32_e32 v61, 16, v38
.LBB910_405:                            ;   in Loop: Header=BB910_215 Depth=1
	s_or_b64 exec, exec, s[20:21]
.LBB910_406:                            ;   in Loop: Header=BB910_215 Depth=1
	s_or_b64 exec, exec, s[18:19]
.LBB910_407:                            ;   in Loop: Header=BB910_215 Depth=1
	s_or_b64 exec, exec, s[16:17]
	v_perm_b32 v57, v57, v56, s25
	v_perm_b32 v56, v44, v46, s25
	buffer_load_dword v44, v51, s[0:3], 0 offen
	buffer_load_dword v42, v51, s[0:3], 0 offen offset:4
	buffer_load_dword v40, v51, s[0:3], 0 offen offset:8
	;; [unrolled: 1-line block ×3, first 2 shown]
	v_mov_b32_e32 v51, 0
	v_mfma_f32_16x16x16bf16_1k v[34:37], v[56:57], v[14:15], v[34:37]
	v_perm_b32 v57, v61, v60, s25
	v_perm_b32 v56, v58, v59, s25
	s_waitcnt vmcnt(3)
	v_cmp_ne_u16_sdwa s[18:19], v44, v52 src0_sel:BYTE_0 src1_sel:DWORD
	v_mfma_f32_16x16x16bf16_1k v[34:37], v[56:57], v[16:17], v[34:37]
	v_mov_b32_e32 v56, 0
	s_and_saveexec_b64 s[16:17], s[18:19]
	s_cbranch_execz .LBB910_413
; %bb.408:                              ;   in Loop: Header=BB910_215 Depth=1
	v_cmp_ne_u16_sdwa s[20:21], v44, s9 src0_sel:BYTE_0 src1_sel:DWORD
	v_mov_b32_e32 v56, 0xffff8000
	s_and_saveexec_b64 s[18:19], s[20:21]
	s_cbranch_execz .LBB910_412
; %bb.409:                              ;   in Loop: Header=BB910_215 Depth=1
	v_and_b32_e32 v46, 0x7f, v44
	v_cmp_ne_u32_e32 vcc, s23, v46
	v_mov_b32_e32 v56, 0x7f80
	s_and_saveexec_b64 s[20:21], vcc
	s_cbranch_execz .LBB910_411
; %bb.410:                              ;   in Loop: Header=BB910_215 Depth=1
	v_and_b32_e32 v58, 7, v44
	v_ffbh_u32_e32 v56, v58
	v_min_u32_e32 v60, 32, v56
	v_subrev_u32_e32 v56, 28, v60
	v_lshlrev_b64 v[56:57], v56, v[44:45]
	v_lshrrev_b32_e32 v59, 3, v46
	v_sub_u32_e32 v57, 29, v60
	v_and_b32_e32 v56, 7, v56
	v_cmp_gt_u32_e32 vcc, 8, v46
	v_cndmask_b32_e32 v46, v59, v57, vcc
	v_cndmask_b32_e32 v56, v58, v56, vcc
	v_lshlrev_b32_e32 v57, 24, v44
	v_lshlrev_b32_e32 v56, 20, v56
	v_and_b32_e32 v57, 0x80000000, v57
	v_lshl_add_u32 v46, v46, 23, v55
	v_or3_b32 v46, v57, v46, v56
	v_lshrrev_b32_e32 v56, 16, v46
.LBB910_411:                            ;   in Loop: Header=BB910_215 Depth=1
	s_or_b64 exec, exec, s[20:21]
.LBB910_412:                            ;   in Loop: Header=BB910_215 Depth=1
	s_or_b64 exec, exec, s[18:19]
.LBB910_413:                            ;   in Loop: Header=BB910_215 Depth=1
	s_or_b64 exec, exec, s[16:17]
	v_lshrrev_b16_e32 v46, 8, v44
	v_cmp_ne_u16_e32 vcc, 0, v46
	s_and_saveexec_b64 s[16:17], vcc
	s_cbranch_execz .LBB910_419
; %bb.414:                              ;   in Loop: Header=BB910_215 Depth=1
	v_cmp_ne_u16_e32 vcc, s9, v46
	v_mov_b32_e32 v51, 0xffff8000
	s_and_saveexec_b64 s[18:19], vcc
	s_cbranch_execz .LBB910_418
; %bb.415:                              ;   in Loop: Header=BB910_215 Depth=1
	v_and_b32_e32 v57, 0x7f, v46
	v_cmp_ne_u32_e32 vcc, s23, v57
	v_mov_b32_e32 v51, 0x7f80
	s_and_saveexec_b64 s[20:21], vcc
	s_cbranch_execz .LBB910_417
; %bb.416:                              ;   in Loop: Header=BB910_215 Depth=1
	v_and_b32_e32 v51, 7, v46
	v_ffbh_u32_e32 v58, v51
	v_min_u32_e32 v61, 32, v58
	v_subrev_u32_e32 v58, 28, v61
	v_lshlrev_b64 v[58:59], v58, v[46:47]
	v_lshrrev_b32_e32 v60, 3, v57
	v_sub_u32_e32 v46, 29, v61
	v_and_b32_e32 v58, 7, v58
	v_cmp_gt_u32_e32 vcc, 8, v57
	v_cndmask_b32_e32 v46, v60, v46, vcc
	v_cndmask_b32_e32 v51, v51, v58, vcc
	v_lshlrev_b32_e32 v57, 16, v44
	v_lshlrev_b32_e32 v51, 20, v51
	v_and_b32_e32 v57, 0x80000000, v57
	v_lshl_add_u32 v46, v46, 23, v55
	v_or3_b32 v46, v57, v46, v51
	v_lshrrev_b32_e32 v51, 16, v46
.LBB910_417:                            ;   in Loop: Header=BB910_215 Depth=1
	s_or_b64 exec, exec, s[20:21]
.LBB910_418:                            ;   in Loop: Header=BB910_215 Depth=1
	s_or_b64 exec, exec, s[18:19]
.LBB910_419:                            ;   in Loop: Header=BB910_215 Depth=1
	s_or_b64 exec, exec, s[16:17]
	v_lshrrev_b32_e32 v46, 16, v44
	v_cmp_ne_u16_sdwa s[18:19], v46, v52 src0_sel:BYTE_0 src1_sel:DWORD
	v_mov_b32_e32 v58, 0
	v_mov_b32_e32 v57, 0
	s_and_saveexec_b64 s[16:17], s[18:19]
	s_cbranch_execz .LBB910_425
; %bb.420:                              ;   in Loop: Header=BB910_215 Depth=1
	v_cmp_ne_u16_sdwa s[20:21], v46, s9 src0_sel:BYTE_0 src1_sel:DWORD
	v_mov_b32_e32 v57, 0xffff8000
	s_and_saveexec_b64 s[18:19], s[20:21]
	s_cbranch_execz .LBB910_424
; %bb.421:                              ;   in Loop: Header=BB910_215 Depth=1
	v_bfe_u32 v59, v44, 16, 7
	v_cmp_ne_u32_e32 vcc, s23, v59
	v_mov_b32_e32 v57, 0x7f80
	s_and_saveexec_b64 s[20:21], vcc
	s_cbranch_execz .LBB910_423
; %bb.422:                              ;   in Loop: Header=BB910_215 Depth=1
	v_and_b32_e32 v57, 7, v46
	v_ffbh_u32_e32 v60, v57
	v_min_u32_e32 v63, 32, v60
	v_subrev_u32_e32 v60, 28, v63
	v_lshlrev_b64 v[60:61], v60, v[46:47]
	v_lshrrev_b32_e32 v62, 3, v59
	v_sub_u32_e32 v61, 29, v63
	v_and_b32_e32 v60, 7, v60
	v_cmp_gt_u32_e32 vcc, 8, v59
	v_cndmask_b32_e32 v59, v62, v61, vcc
	v_cndmask_b32_e32 v57, v57, v60, vcc
	v_lshlrev_b32_e32 v46, 24, v46
	v_lshlrev_b32_e32 v57, 20, v57
	v_and_b32_e32 v46, 0x80000000, v46
	v_lshl_add_u32 v59, v59, 23, v55
	v_or3_b32 v46, v46, v59, v57
	v_lshrrev_b32_e32 v57, 16, v46
.LBB910_423:                            ;   in Loop: Header=BB910_215 Depth=1
	s_or_b64 exec, exec, s[20:21]
.LBB910_424:                            ;   in Loop: Header=BB910_215 Depth=1
	s_or_b64 exec, exec, s[18:19]
.LBB910_425:                            ;   in Loop: Header=BB910_215 Depth=1
	s_or_b64 exec, exec, s[16:17]
	v_cmp_lt_u32_e32 vcc, s24, v44
	s_and_saveexec_b64 s[16:17], vcc
	s_cbranch_execz .LBB910_431
; %bb.426:                              ;   in Loop: Header=BB910_215 Depth=1
	v_lshrrev_b32_e32 v46, 24, v44
	v_cmp_ne_u32_e32 vcc, s9, v46
	v_mov_b32_e32 v58, 0xffff8000
	s_and_saveexec_b64 s[18:19], vcc
	s_cbranch_execz .LBB910_430
; %bb.427:                              ;   in Loop: Header=BB910_215 Depth=1
	v_bfe_u32 v44, v44, 24, 7
	v_cmp_ne_u32_e32 vcc, s23, v44
	v_mov_b32_e32 v58, 0x7f80
	s_and_saveexec_b64 s[20:21], vcc
	s_cbranch_execz .LBB910_429
; %bb.428:                              ;   in Loop: Header=BB910_215 Depth=1
	v_and_b32_e32 v60, 7, v46
	v_ffbh_u32_e32 v58, v60
	v_min_u32_e32 v62, 32, v58
	v_subrev_u32_e32 v58, 28, v62
	v_lshlrev_b64 v[58:59], v58, v[46:47]
	v_lshrrev_b32_e32 v61, 3, v44
	v_sub_u32_e32 v59, 29, v62
	v_and_b32_e32 v58, 7, v58
	v_cmp_gt_u32_e32 vcc, 8, v44
	v_cndmask_b32_e32 v44, v61, v59, vcc
	v_cndmask_b32_e32 v58, v60, v58, vcc
	v_lshlrev_b32_e32 v46, 24, v46
	v_lshlrev_b32_e32 v58, 20, v58
	v_and_b32_e32 v46, 0x80000000, v46
	v_lshl_add_u32 v44, v44, 23, v55
	v_or3_b32 v44, v46, v44, v58
	v_lshrrev_b32_e32 v58, 16, v44
.LBB910_429:                            ;   in Loop: Header=BB910_215 Depth=1
	s_or_b64 exec, exec, s[20:21]
.LBB910_430:                            ;   in Loop: Header=BB910_215 Depth=1
	s_or_b64 exec, exec, s[18:19]
.LBB910_431:                            ;   in Loop: Header=BB910_215 Depth=1
	s_or_b64 exec, exec, s[16:17]
	s_waitcnt vmcnt(2)
	v_cmp_ne_u16_sdwa s[18:19], v42, v52 src0_sel:BYTE_0 src1_sel:DWORD
	v_mov_b32_e32 v46, 0
	v_mov_b32_e32 v59, 0
	s_and_saveexec_b64 s[16:17], s[18:19]
	s_cbranch_execz .LBB910_437
; %bb.432:                              ;   in Loop: Header=BB910_215 Depth=1
	v_cmp_ne_u16_sdwa s[20:21], v42, s9 src0_sel:BYTE_0 src1_sel:DWORD
	v_mov_b32_e32 v59, 0xffff8000
	s_and_saveexec_b64 s[18:19], s[20:21]
	s_cbranch_execz .LBB910_436
; %bb.433:                              ;   in Loop: Header=BB910_215 Depth=1
	v_and_b32_e32 v44, 0x7f, v42
	v_cmp_ne_u32_e32 vcc, s23, v44
	v_mov_b32_e32 v59, 0x7f80
	s_and_saveexec_b64 s[20:21], vcc
	s_cbranch_execz .LBB910_435
; %bb.434:                              ;   in Loop: Header=BB910_215 Depth=1
	v_and_b32_e32 v59, 7, v42
	v_ffbh_u32_e32 v60, v59
	v_min_u32_e32 v63, 32, v60
	v_subrev_u32_e32 v60, 28, v63
	v_lshlrev_b64 v[60:61], v60, v[42:43]
	v_lshrrev_b32_e32 v62, 3, v44
	v_sub_u32_e32 v61, 29, v63
	v_and_b32_e32 v60, 7, v60
	v_cmp_gt_u32_e32 vcc, 8, v44
	v_cndmask_b32_e32 v44, v62, v61, vcc
	v_cndmask_b32_e32 v59, v59, v60, vcc
	v_lshlrev_b32_e32 v60, 24, v42
	v_lshlrev_b32_e32 v59, 20, v59
	v_and_b32_e32 v60, 0x80000000, v60
	v_lshl_add_u32 v44, v44, 23, v55
	v_or3_b32 v44, v60, v44, v59
	v_lshrrev_b32_e32 v59, 16, v44
.LBB910_435:                            ;   in Loop: Header=BB910_215 Depth=1
	s_or_b64 exec, exec, s[20:21]
.LBB910_436:                            ;   in Loop: Header=BB910_215 Depth=1
	s_or_b64 exec, exec, s[18:19]
.LBB910_437:                            ;   in Loop: Header=BB910_215 Depth=1
	s_or_b64 exec, exec, s[16:17]
	v_lshrrev_b16_e32 v44, 8, v42
	v_cmp_ne_u16_e32 vcc, 0, v44
	s_and_saveexec_b64 s[16:17], vcc
	s_cbranch_execz .LBB910_443
; %bb.438:                              ;   in Loop: Header=BB910_215 Depth=1
	v_cmp_ne_u16_e32 vcc, s9, v44
	v_mov_b32_e32 v46, 0xffff8000
	s_and_saveexec_b64 s[18:19], vcc
	s_cbranch_execz .LBB910_442
; %bb.439:                              ;   in Loop: Header=BB910_215 Depth=1
	v_and_b32_e32 v60, 0x7f, v44
	v_cmp_ne_u32_e32 vcc, s23, v60
	v_mov_b32_e32 v46, 0x7f80
	s_and_saveexec_b64 s[20:21], vcc
	s_cbranch_execz .LBB910_441
; %bb.440:                              ;   in Loop: Header=BB910_215 Depth=1
	v_and_b32_e32 v46, 7, v44
	v_ffbh_u32_e32 v62, v46
	v_min_u32_e32 v64, 32, v62
	v_subrev_u32_e32 v62, 28, v64
	v_lshlrev_b64 v[62:63], v62, v[44:45]
	v_lshrrev_b32_e32 v61, 3, v60
	v_sub_u32_e32 v44, 29, v64
	v_and_b32_e32 v62, 7, v62
	v_cmp_gt_u32_e32 vcc, 8, v60
	v_cndmask_b32_e32 v44, v61, v44, vcc
	v_cndmask_b32_e32 v46, v46, v62, vcc
	v_lshlrev_b32_e32 v60, 16, v42
	v_lshlrev_b32_e32 v46, 20, v46
	v_and_b32_e32 v60, 0x80000000, v60
	v_lshl_add_u32 v44, v44, 23, v55
	v_or3_b32 v44, v60, v44, v46
	v_lshrrev_b32_e32 v46, 16, v44
.LBB910_441:                            ;   in Loop: Header=BB910_215 Depth=1
	s_or_b64 exec, exec, s[20:21]
.LBB910_442:                            ;   in Loop: Header=BB910_215 Depth=1
	s_or_b64 exec, exec, s[18:19]
.LBB910_443:                            ;   in Loop: Header=BB910_215 Depth=1
	s_or_b64 exec, exec, s[16:17]
	v_lshrrev_b32_e32 v44, 16, v42
	v_cmp_ne_u16_sdwa s[18:19], v44, v52 src0_sel:BYTE_0 src1_sel:DWORD
	v_mov_b32_e32 v61, 0
	v_mov_b32_e32 v60, 0
	s_and_saveexec_b64 s[16:17], s[18:19]
	s_cbranch_execz .LBB910_449
; %bb.444:                              ;   in Loop: Header=BB910_215 Depth=1
	v_cmp_ne_u16_sdwa s[20:21], v44, s9 src0_sel:BYTE_0 src1_sel:DWORD
	v_mov_b32_e32 v60, 0xffff8000
	s_and_saveexec_b64 s[18:19], s[20:21]
	s_cbranch_execz .LBB910_448
; %bb.445:                              ;   in Loop: Header=BB910_215 Depth=1
	v_bfe_u32 v62, v42, 16, 7
	v_cmp_ne_u32_e32 vcc, s23, v62
	v_mov_b32_e32 v60, 0x7f80
	s_and_saveexec_b64 s[20:21], vcc
	s_cbranch_execz .LBB910_447
; %bb.446:                              ;   in Loop: Header=BB910_215 Depth=1
	v_and_b32_e32 v60, 7, v44
	v_ffbh_u32_e32 v64, v60
	v_min_u32_e32 v66, 32, v64
	v_subrev_u32_e32 v64, 28, v66
	v_lshlrev_b64 v[64:65], v64, v[44:45]
	v_lshrrev_b32_e32 v63, 3, v62
	v_sub_u32_e32 v65, 29, v66
	v_and_b32_e32 v64, 7, v64
	v_cmp_gt_u32_e32 vcc, 8, v62
	v_cndmask_b32_e32 v62, v63, v65, vcc
	v_cndmask_b32_e32 v60, v60, v64, vcc
	v_lshlrev_b32_e32 v44, 24, v44
	v_lshlrev_b32_e32 v60, 20, v60
	v_and_b32_e32 v44, 0x80000000, v44
	v_lshl_add_u32 v62, v62, 23, v55
	v_or3_b32 v44, v44, v62, v60
	v_lshrrev_b32_e32 v60, 16, v44
.LBB910_447:                            ;   in Loop: Header=BB910_215 Depth=1
	s_or_b64 exec, exec, s[20:21]
.LBB910_448:                            ;   in Loop: Header=BB910_215 Depth=1
	s_or_b64 exec, exec, s[18:19]
.LBB910_449:                            ;   in Loop: Header=BB910_215 Depth=1
	s_or_b64 exec, exec, s[16:17]
	v_cmp_lt_u32_e32 vcc, s24, v42
	s_and_saveexec_b64 s[16:17], vcc
	s_cbranch_execz .LBB910_455
; %bb.450:                              ;   in Loop: Header=BB910_215 Depth=1
	v_lshrrev_b32_e32 v44, 24, v42
	v_cmp_ne_u32_e32 vcc, s9, v44
	v_mov_b32_e32 v61, 0xffff8000
	s_and_saveexec_b64 s[18:19], vcc
	s_cbranch_execz .LBB910_454
; %bb.451:                              ;   in Loop: Header=BB910_215 Depth=1
	v_bfe_u32 v42, v42, 24, 7
	v_cmp_ne_u32_e32 vcc, s23, v42
	v_mov_b32_e32 v61, 0x7f80
	s_and_saveexec_b64 s[20:21], vcc
	s_cbranch_execz .LBB910_453
; %bb.452:                              ;   in Loop: Header=BB910_215 Depth=1
	v_and_b32_e32 v61, 7, v44
	v_ffbh_u32_e32 v62, v61
	v_min_u32_e32 v65, 32, v62
	v_subrev_u32_e32 v62, 28, v65
	v_lshlrev_b64 v[62:63], v62, v[44:45]
	v_lshrrev_b32_e32 v64, 3, v42
	v_sub_u32_e32 v63, 29, v65
	v_and_b32_e32 v62, 7, v62
	v_cmp_gt_u32_e32 vcc, 8, v42
	v_cndmask_b32_e32 v42, v64, v63, vcc
	v_cndmask_b32_e32 v61, v61, v62, vcc
	v_lshlrev_b32_e32 v44, 24, v44
	v_lshlrev_b32_e32 v61, 20, v61
	v_and_b32_e32 v44, 0x80000000, v44
	v_lshl_add_u32 v42, v42, 23, v55
	v_or3_b32 v42, v44, v42, v61
	v_lshrrev_b32_e32 v61, 16, v42
.LBB910_453:                            ;   in Loop: Header=BB910_215 Depth=1
	s_or_b64 exec, exec, s[20:21]
.LBB910_454:                            ;   in Loop: Header=BB910_215 Depth=1
	s_or_b64 exec, exec, s[18:19]
.LBB910_455:                            ;   in Loop: Header=BB910_215 Depth=1
	s_or_b64 exec, exec, s[16:17]
	v_perm_b32 v57, v58, v57, s25
	v_perm_b32 v56, v51, v56, s25
	s_waitcnt vmcnt(1)
	v_cmp_ne_u16_sdwa s[18:19], v40, v52 src0_sel:BYTE_0 src1_sel:DWORD
	v_mov_b32_e32 v44, 0
	v_mfma_f32_16x16x16bf16_1k v[34:37], v[56:57], v[18:19], v[34:37]
	v_perm_b32 v57, v61, v60, s25
	v_perm_b32 v56, v46, v59, s25
	v_mov_b32_e32 v46, 0
	s_nop 0
	v_mfma_f32_16x16x16bf16_1k v[34:37], v[56:57], v[20:21], v[34:37]
	s_and_saveexec_b64 s[16:17], s[18:19]
	s_cbranch_execz .LBB910_461
; %bb.456:                              ;   in Loop: Header=BB910_215 Depth=1
	v_cmp_ne_u16_sdwa s[20:21], v40, s9 src0_sel:BYTE_0 src1_sel:DWORD
	v_mov_b32_e32 v46, 0xffff8000
	s_and_saveexec_b64 s[18:19], s[20:21]
	s_cbranch_execz .LBB910_460
; %bb.457:                              ;   in Loop: Header=BB910_215 Depth=1
	v_and_b32_e32 v42, 0x7f, v40
	v_cmp_ne_u32_e32 vcc, s23, v42
	v_mov_b32_e32 v46, 0x7f80
	s_and_saveexec_b64 s[20:21], vcc
	s_cbranch_execz .LBB910_459
; %bb.458:                              ;   in Loop: Header=BB910_215 Depth=1
	v_and_b32_e32 v46, 7, v40
	v_ffbh_u32_e32 v56, v46
	v_min_u32_e32 v58, 32, v56
	v_subrev_u32_e32 v56, 28, v58
	v_lshlrev_b64 v[56:57], v56, v[40:41]
	v_lshrrev_b32_e32 v51, 3, v42
	v_sub_u32_e32 v57, 29, v58
	v_and_b32_e32 v56, 7, v56
	v_cmp_gt_u32_e32 vcc, 8, v42
	v_cndmask_b32_e32 v42, v51, v57, vcc
	v_cndmask_b32_e32 v46, v46, v56, vcc
	v_lshlrev_b32_e32 v51, 24, v40
	v_lshlrev_b32_e32 v46, 20, v46
	v_and_b32_e32 v51, 0x80000000, v51
	v_lshl_add_u32 v42, v42, 23, v55
	v_or3_b32 v42, v51, v42, v46
	v_lshrrev_b32_e32 v46, 16, v42
.LBB910_459:                            ;   in Loop: Header=BB910_215 Depth=1
	s_or_b64 exec, exec, s[20:21]
.LBB910_460:                            ;   in Loop: Header=BB910_215 Depth=1
	s_or_b64 exec, exec, s[18:19]
.LBB910_461:                            ;   in Loop: Header=BB910_215 Depth=1
	s_or_b64 exec, exec, s[16:17]
	v_lshrrev_b16_e32 v42, 8, v40
	v_cmp_ne_u16_e32 vcc, 0, v42
	s_and_saveexec_b64 s[16:17], vcc
	s_cbranch_execz .LBB910_467
; %bb.462:                              ;   in Loop: Header=BB910_215 Depth=1
	v_cmp_ne_u16_e32 vcc, s9, v42
	v_mov_b32_e32 v44, 0xffff8000
	s_and_saveexec_b64 s[18:19], vcc
	s_cbranch_execz .LBB910_466
; %bb.463:                              ;   in Loop: Header=BB910_215 Depth=1
	v_and_b32_e32 v51, 0x7f, v42
	v_cmp_ne_u32_e32 vcc, s23, v51
	v_mov_b32_e32 v44, 0x7f80
	s_and_saveexec_b64 s[20:21], vcc
	s_cbranch_execz .LBB910_465
; %bb.464:                              ;   in Loop: Header=BB910_215 Depth=1
	v_and_b32_e32 v44, 7, v42
	v_ffbh_u32_e32 v56, v44
	v_min_u32_e32 v59, 32, v56
	v_subrev_u32_e32 v56, 28, v59
	v_lshlrev_b64 v[56:57], v56, v[42:43]
	v_lshrrev_b32_e32 v58, 3, v51
	v_sub_u32_e32 v42, 29, v59
	v_and_b32_e32 v56, 7, v56
	v_cmp_gt_u32_e32 vcc, 8, v51
	v_cndmask_b32_e32 v42, v58, v42, vcc
	v_cndmask_b32_e32 v44, v44, v56, vcc
	v_lshlrev_b32_e32 v51, 16, v40
	v_lshlrev_b32_e32 v44, 20, v44
	v_and_b32_e32 v51, 0x80000000, v51
	v_lshl_add_u32 v42, v42, 23, v55
	v_or3_b32 v42, v51, v42, v44
	v_lshrrev_b32_e32 v44, 16, v42
.LBB910_465:                            ;   in Loop: Header=BB910_215 Depth=1
	s_or_b64 exec, exec, s[20:21]
.LBB910_466:                            ;   in Loop: Header=BB910_215 Depth=1
	s_or_b64 exec, exec, s[18:19]
.LBB910_467:                            ;   in Loop: Header=BB910_215 Depth=1
	s_or_b64 exec, exec, s[16:17]
	v_lshrrev_b32_e32 v42, 16, v40
	v_cmp_ne_u16_sdwa s[18:19], v42, v52 src0_sel:BYTE_0 src1_sel:DWORD
	v_mov_b32_e32 v56, 0
	v_mov_b32_e32 v51, 0
	s_and_saveexec_b64 s[16:17], s[18:19]
	s_cbranch_execz .LBB910_473
; %bb.468:                              ;   in Loop: Header=BB910_215 Depth=1
	v_cmp_ne_u16_sdwa s[20:21], v42, s9 src0_sel:BYTE_0 src1_sel:DWORD
	v_mov_b32_e32 v51, 0xffff8000
	s_and_saveexec_b64 s[18:19], s[20:21]
	s_cbranch_execz .LBB910_472
; %bb.469:                              ;   in Loop: Header=BB910_215 Depth=1
	v_bfe_u32 v57, v40, 16, 7
	v_cmp_ne_u32_e32 vcc, s23, v57
	v_mov_b32_e32 v51, 0x7f80
	s_and_saveexec_b64 s[20:21], vcc
	s_cbranch_execz .LBB910_471
; %bb.470:                              ;   in Loop: Header=BB910_215 Depth=1
	v_and_b32_e32 v51, 7, v42
	v_ffbh_u32_e32 v58, v51
	v_min_u32_e32 v61, 32, v58
	v_subrev_u32_e32 v58, 28, v61
	v_lshlrev_b64 v[58:59], v58, v[42:43]
	v_lshrrev_b32_e32 v60, 3, v57
	v_sub_u32_e32 v59, 29, v61
	v_and_b32_e32 v58, 7, v58
	v_cmp_gt_u32_e32 vcc, 8, v57
	v_cndmask_b32_e32 v57, v60, v59, vcc
	v_cndmask_b32_e32 v51, v51, v58, vcc
	v_lshlrev_b32_e32 v42, 24, v42
	v_lshlrev_b32_e32 v51, 20, v51
	v_and_b32_e32 v42, 0x80000000, v42
	v_lshl_add_u32 v57, v57, 23, v55
	v_or3_b32 v42, v42, v57, v51
	v_lshrrev_b32_e32 v51, 16, v42
.LBB910_471:                            ;   in Loop: Header=BB910_215 Depth=1
	s_or_b64 exec, exec, s[20:21]
.LBB910_472:                            ;   in Loop: Header=BB910_215 Depth=1
	s_or_b64 exec, exec, s[18:19]
.LBB910_473:                            ;   in Loop: Header=BB910_215 Depth=1
	s_or_b64 exec, exec, s[16:17]
	v_cmp_lt_u32_e32 vcc, s24, v40
	s_and_saveexec_b64 s[16:17], vcc
	s_cbranch_execz .LBB910_479
; %bb.474:                              ;   in Loop: Header=BB910_215 Depth=1
	v_lshrrev_b32_e32 v42, 24, v40
	v_cmp_ne_u32_e32 vcc, s9, v42
	v_mov_b32_e32 v56, 0xffff8000
	s_and_saveexec_b64 s[18:19], vcc
	s_cbranch_execz .LBB910_478
; %bb.475:                              ;   in Loop: Header=BB910_215 Depth=1
	v_bfe_u32 v40, v40, 24, 7
	v_cmp_ne_u32_e32 vcc, s23, v40
	v_mov_b32_e32 v56, 0x7f80
	s_and_saveexec_b64 s[20:21], vcc
	s_cbranch_execz .LBB910_477
; %bb.476:                              ;   in Loop: Header=BB910_215 Depth=1
	v_and_b32_e32 v58, 7, v42
	v_ffbh_u32_e32 v56, v58
	v_min_u32_e32 v60, 32, v56
	v_subrev_u32_e32 v56, 28, v60
	v_lshlrev_b64 v[56:57], v56, v[42:43]
	v_lshrrev_b32_e32 v59, 3, v40
	v_sub_u32_e32 v57, 29, v60
	v_and_b32_e32 v56, 7, v56
	v_cmp_gt_u32_e32 vcc, 8, v40
	v_cndmask_b32_e32 v40, v59, v57, vcc
	v_cndmask_b32_e32 v56, v58, v56, vcc
	v_lshlrev_b32_e32 v42, 24, v42
	v_lshlrev_b32_e32 v56, 20, v56
	v_and_b32_e32 v42, 0x80000000, v42
	v_lshl_add_u32 v40, v40, 23, v55
	v_or3_b32 v40, v42, v40, v56
	v_lshrrev_b32_e32 v56, 16, v40
.LBB910_477:                            ;   in Loop: Header=BB910_215 Depth=1
	s_or_b64 exec, exec, s[20:21]
.LBB910_478:                            ;   in Loop: Header=BB910_215 Depth=1
	s_or_b64 exec, exec, s[18:19]
.LBB910_479:                            ;   in Loop: Header=BB910_215 Depth=1
	s_or_b64 exec, exec, s[16:17]
	s_waitcnt vmcnt(0)
	v_cmp_ne_u16_sdwa s[18:19], v38, v52 src0_sel:BYTE_0 src1_sel:DWORD
	v_mov_b32_e32 v57, 0
	v_mov_b32_e32 v58, 0
	s_and_saveexec_b64 s[16:17], s[18:19]
	s_cbranch_execz .LBB910_485
; %bb.480:                              ;   in Loop: Header=BB910_215 Depth=1
	v_cmp_ne_u16_sdwa s[20:21], v38, s9 src0_sel:BYTE_0 src1_sel:DWORD
	v_mov_b32_e32 v58, 0xffff8000
	s_and_saveexec_b64 s[18:19], s[20:21]
	s_cbranch_execz .LBB910_484
; %bb.481:                              ;   in Loop: Header=BB910_215 Depth=1
	v_and_b32_e32 v40, 0x7f, v38
	v_cmp_ne_u32_e32 vcc, s23, v40
	v_mov_b32_e32 v58, 0x7f80
	s_and_saveexec_b64 s[20:21], vcc
	s_cbranch_execz .LBB910_483
; %bb.482:                              ;   in Loop: Header=BB910_215 Depth=1
	v_and_b32_e32 v42, 7, v38
	v_ffbh_u32_e32 v58, v42
	v_min_u32_e32 v61, 32, v58
	v_subrev_u32_e32 v58, 28, v61
	v_lshlrev_b64 v[58:59], v58, v[38:39]
	v_lshrrev_b32_e32 v60, 3, v40
	v_sub_u32_e32 v59, 29, v61
	v_and_b32_e32 v58, 7, v58
	v_cmp_gt_u32_e32 vcc, 8, v40
	v_cndmask_b32_e32 v40, v60, v59, vcc
	v_cndmask_b32_e32 v42, v42, v58, vcc
	v_lshlrev_b32_e32 v58, 24, v38
	v_lshlrev_b32_e32 v42, 20, v42
	v_and_b32_e32 v58, 0x80000000, v58
	v_lshl_add_u32 v40, v40, 23, v55
	v_or3_b32 v40, v58, v40, v42
	v_lshrrev_b32_e32 v58, 16, v40
.LBB910_483:                            ;   in Loop: Header=BB910_215 Depth=1
	s_or_b64 exec, exec, s[20:21]
.LBB910_484:                            ;   in Loop: Header=BB910_215 Depth=1
	s_or_b64 exec, exec, s[18:19]
.LBB910_485:                            ;   in Loop: Header=BB910_215 Depth=1
	s_or_b64 exec, exec, s[16:17]
	v_lshrrev_b16_e32 v40, 8, v38
	v_cmp_ne_u16_e32 vcc, 0, v40
	s_and_saveexec_b64 s[16:17], vcc
	s_cbranch_execz .LBB910_491
; %bb.486:                              ;   in Loop: Header=BB910_215 Depth=1
	v_cmp_ne_u16_e32 vcc, s9, v40
	v_mov_b32_e32 v57, 0xffff8000
	s_and_saveexec_b64 s[18:19], vcc
	s_cbranch_execz .LBB910_490
; %bb.487:                              ;   in Loop: Header=BB910_215 Depth=1
	v_and_b32_e32 v42, 0x7f, v40
	v_cmp_ne_u32_e32 vcc, s23, v42
	v_mov_b32_e32 v57, 0x7f80
	s_and_saveexec_b64 s[20:21], vcc
	s_cbranch_execz .LBB910_489
; %bb.488:                              ;   in Loop: Header=BB910_215 Depth=1
	v_and_b32_e32 v57, 7, v40
	v_ffbh_u32_e32 v60, v57
	v_min_u32_e32 v62, 32, v60
	v_subrev_u32_e32 v60, 28, v62
	v_lshlrev_b64 v[60:61], v60, v[40:41]
	v_lshrrev_b32_e32 v59, 3, v42
	v_sub_u32_e32 v40, 29, v62
	v_and_b32_e32 v60, 7, v60
	v_cmp_gt_u32_e32 vcc, 8, v42
	v_cndmask_b32_e32 v40, v59, v40, vcc
	v_cndmask_b32_e32 v42, v57, v60, vcc
	v_lshlrev_b32_e32 v57, 16, v38
	v_lshlrev_b32_e32 v42, 20, v42
	v_and_b32_e32 v57, 0x80000000, v57
	v_lshl_add_u32 v40, v40, 23, v55
	v_or3_b32 v40, v57, v40, v42
	v_lshrrev_b32_e32 v57, 16, v40
.LBB910_489:                            ;   in Loop: Header=BB910_215 Depth=1
	s_or_b64 exec, exec, s[20:21]
.LBB910_490:                            ;   in Loop: Header=BB910_215 Depth=1
	s_or_b64 exec, exec, s[18:19]
.LBB910_491:                            ;   in Loop: Header=BB910_215 Depth=1
	s_or_b64 exec, exec, s[16:17]
	v_lshrrev_b32_e32 v40, 16, v38
	v_cmp_ne_u16_sdwa s[18:19], v40, v52 src0_sel:BYTE_0 src1_sel:DWORD
	v_mov_b32_e32 v60, 0
	v_mov_b32_e32 v59, 0
	s_and_saveexec_b64 s[16:17], s[18:19]
	s_cbranch_execz .LBB910_497
; %bb.492:                              ;   in Loop: Header=BB910_215 Depth=1
	v_cmp_ne_u16_sdwa s[20:21], v40, s9 src0_sel:BYTE_0 src1_sel:DWORD
	v_mov_b32_e32 v59, 0xffff8000
	s_and_saveexec_b64 s[18:19], s[20:21]
	s_cbranch_execz .LBB910_496
; %bb.493:                              ;   in Loop: Header=BB910_215 Depth=1
	v_bfe_u32 v42, v38, 16, 7
	v_cmp_ne_u32_e32 vcc, s23, v42
	v_mov_b32_e32 v59, 0x7f80
	s_and_saveexec_b64 s[20:21], vcc
	s_cbranch_execz .LBB910_495
; %bb.494:                              ;   in Loop: Header=BB910_215 Depth=1
	v_and_b32_e32 v59, 7, v40
	v_ffbh_u32_e32 v62, v59
	v_min_u32_e32 v64, 32, v62
	v_subrev_u32_e32 v62, 28, v64
	v_lshlrev_b64 v[62:63], v62, v[40:41]
	v_lshrrev_b32_e32 v61, 3, v42
	v_sub_u32_e32 v63, 29, v64
	v_and_b32_e32 v62, 7, v62
	v_cmp_gt_u32_e32 vcc, 8, v42
	v_cndmask_b32_e32 v42, v61, v63, vcc
	v_cndmask_b32_e32 v59, v59, v62, vcc
	v_lshlrev_b32_e32 v40, 24, v40
	v_lshlrev_b32_e32 v59, 20, v59
	v_and_b32_e32 v40, 0x80000000, v40
	v_lshl_add_u32 v42, v42, 23, v55
	v_or3_b32 v40, v40, v42, v59
	v_lshrrev_b32_e32 v59, 16, v40
.LBB910_495:                            ;   in Loop: Header=BB910_215 Depth=1
	s_or_b64 exec, exec, s[20:21]
.LBB910_496:                            ;   in Loop: Header=BB910_215 Depth=1
	s_or_b64 exec, exec, s[18:19]
.LBB910_497:                            ;   in Loop: Header=BB910_215 Depth=1
	s_or_b64 exec, exec, s[16:17]
	v_cmp_lt_u32_e32 vcc, s24, v38
	s_and_saveexec_b64 s[16:17], vcc
	s_cbranch_execz .LBB910_503
; %bb.498:                              ;   in Loop: Header=BB910_215 Depth=1
	v_lshrrev_b32_e32 v40, 24, v38
	v_cmp_ne_u32_e32 vcc, s9, v40
	v_mov_b32_e32 v60, 0xffff8000
	s_and_saveexec_b64 s[18:19], vcc
	s_cbranch_execz .LBB910_502
; %bb.499:                              ;   in Loop: Header=BB910_215 Depth=1
	v_bfe_u32 v38, v38, 24, 7
	v_cmp_ne_u32_e32 vcc, s23, v38
	v_mov_b32_e32 v60, 0x7f80
	s_and_saveexec_b64 s[20:21], vcc
	s_cbranch_execz .LBB910_501
; %bb.500:                              ;   in Loop: Header=BB910_215 Depth=1
	v_and_b32_e32 v42, 7, v40
	v_ffbh_u32_e32 v60, v42
	v_min_u32_e32 v63, 32, v60
	v_subrev_u32_e32 v60, 28, v63
	v_lshlrev_b64 v[60:61], v60, v[40:41]
	v_lshrrev_b32_e32 v62, 3, v38
	v_sub_u32_e32 v61, 29, v63
	v_and_b32_e32 v60, 7, v60
	v_cmp_gt_u32_e32 vcc, 8, v38
	v_cndmask_b32_e32 v38, v62, v61, vcc
	v_cndmask_b32_e32 v42, v42, v60, vcc
	v_lshlrev_b32_e32 v40, 24, v40
	v_lshlrev_b32_e32 v42, 20, v42
	v_and_b32_e32 v40, 0x80000000, v40
	v_lshl_add_u32 v38, v38, 23, v55
	v_or3_b32 v38, v40, v38, v42
	v_lshrrev_b32_e32 v60, 16, v38
.LBB910_501:                            ;   in Loop: Header=BB910_215 Depth=1
	s_or_b64 exec, exec, s[20:21]
.LBB910_502:                            ;   in Loop: Header=BB910_215 Depth=1
	s_or_b64 exec, exec, s[18:19]
.LBB910_503:                            ;   in Loop: Header=BB910_215 Depth=1
	s_or_b64 exec, exec, s[16:17]
	v_perm_b32 v62, v44, v46, s25
	buffer_load_dword v44, v50, s[0:3], 0 offen
	buffer_load_dword v42, v50, s[0:3], 0 offen offset:4
	buffer_load_dword v40, v50, s[0:3], 0 offen offset:8
	;; [unrolled: 1-line block ×3, first 2 shown]
	v_perm_b32 v63, v56, v51, s25
	v_perm_b32 v51, v60, v59, s25
	v_perm_b32 v50, v57, v58, s25
	v_mfma_f32_16x16x16bf16_1k v[34:37], v[62:63], v[22:23], v[34:37]
	s_waitcnt vmcnt(3)
	v_cmp_ne_u16_sdwa s[18:19], v44, v52 src0_sel:BYTE_0 src1_sel:DWORD
	v_mfma_f32_16x16x16bf16_1k v[34:37], v[50:51], v[24:25], v[34:37]
	v_mov_b32_e32 v50, 0
	v_mov_b32_e32 v51, 0
	s_and_saveexec_b64 s[16:17], s[18:19]
	s_cbranch_execz .LBB910_509
; %bb.504:                              ;   in Loop: Header=BB910_215 Depth=1
	v_cmp_ne_u16_sdwa s[20:21], v44, s9 src0_sel:BYTE_0 src1_sel:DWORD
	v_mov_b32_e32 v51, 0xffff8000
	s_and_saveexec_b64 s[18:19], s[20:21]
	s_cbranch_execz .LBB910_508
; %bb.505:                              ;   in Loop: Header=BB910_215 Depth=1
	v_and_b32_e32 v46, 0x7f, v44
	v_cmp_ne_u32_e32 vcc, s23, v46
	v_mov_b32_e32 v51, 0x7f80
	s_and_saveexec_b64 s[20:21], vcc
	s_cbranch_execz .LBB910_507
; %bb.506:                              ;   in Loop: Header=BB910_215 Depth=1
	v_and_b32_e32 v51, 7, v44
	v_ffbh_u32_e32 v56, v51
	v_min_u32_e32 v59, 32, v56
	v_subrev_u32_e32 v56, 28, v59
	v_lshlrev_b64 v[56:57], v56, v[44:45]
	v_lshrrev_b32_e32 v58, 3, v46
	v_sub_u32_e32 v57, 29, v59
	v_and_b32_e32 v56, 7, v56
	v_cmp_gt_u32_e32 vcc, 8, v46
	v_cndmask_b32_e32 v46, v58, v57, vcc
	v_cndmask_b32_e32 v51, v51, v56, vcc
	v_lshlrev_b32_e32 v56, 24, v44
	v_lshlrev_b32_e32 v51, 20, v51
	v_and_b32_e32 v56, 0x80000000, v56
	v_lshl_add_u32 v46, v46, 23, v55
	v_or3_b32 v46, v56, v46, v51
	v_lshrrev_b32_e32 v51, 16, v46
.LBB910_507:                            ;   in Loop: Header=BB910_215 Depth=1
	s_or_b64 exec, exec, s[20:21]
.LBB910_508:                            ;   in Loop: Header=BB910_215 Depth=1
	s_or_b64 exec, exec, s[18:19]
.LBB910_509:                            ;   in Loop: Header=BB910_215 Depth=1
	s_or_b64 exec, exec, s[16:17]
	v_lshrrev_b16_e32 v46, 8, v44
	v_cmp_ne_u16_e32 vcc, 0, v46
	s_and_saveexec_b64 s[16:17], vcc
	s_cbranch_execz .LBB910_515
; %bb.510:                              ;   in Loop: Header=BB910_215 Depth=1
	v_cmp_ne_u16_e32 vcc, s9, v46
	v_mov_b32_e32 v50, 0xffff8000
	s_and_saveexec_b64 s[18:19], vcc
	s_cbranch_execz .LBB910_514
; %bb.511:                              ;   in Loop: Header=BB910_215 Depth=1
	v_and_b32_e32 v56, 0x7f, v46
	v_cmp_ne_u32_e32 vcc, s23, v56
	v_mov_b32_e32 v50, 0x7f80
	s_and_saveexec_b64 s[20:21], vcc
	s_cbranch_execz .LBB910_513
; %bb.512:                              ;   in Loop: Header=BB910_215 Depth=1
	v_and_b32_e32 v50, 7, v46
	v_ffbh_u32_e32 v58, v50
	v_min_u32_e32 v60, 32, v58
	v_subrev_u32_e32 v58, 28, v60
	v_lshlrev_b64 v[58:59], v58, v[46:47]
	v_lshrrev_b32_e32 v57, 3, v56
	v_sub_u32_e32 v46, 29, v60
	v_and_b32_e32 v58, 7, v58
	v_cmp_gt_u32_e32 vcc, 8, v56
	v_cndmask_b32_e32 v46, v57, v46, vcc
	v_cndmask_b32_e32 v50, v50, v58, vcc
	v_lshlrev_b32_e32 v56, 16, v44
	v_lshlrev_b32_e32 v50, 20, v50
	v_and_b32_e32 v56, 0x80000000, v56
	v_lshl_add_u32 v46, v46, 23, v55
	v_or3_b32 v46, v56, v46, v50
	v_lshrrev_b32_e32 v50, 16, v46
.LBB910_513:                            ;   in Loop: Header=BB910_215 Depth=1
	s_or_b64 exec, exec, s[20:21]
.LBB910_514:                            ;   in Loop: Header=BB910_215 Depth=1
	s_or_b64 exec, exec, s[18:19]
.LBB910_515:                            ;   in Loop: Header=BB910_215 Depth=1
	s_or_b64 exec, exec, s[16:17]
	v_lshrrev_b32_e32 v46, 16, v44
	v_cmp_ne_u16_sdwa s[18:19], v46, v52 src0_sel:BYTE_0 src1_sel:DWORD
	v_mov_b32_e32 v57, 0
	v_mov_b32_e32 v56, 0
	s_and_saveexec_b64 s[16:17], s[18:19]
	s_cbranch_execz .LBB910_521
; %bb.516:                              ;   in Loop: Header=BB910_215 Depth=1
	v_cmp_ne_u16_sdwa s[20:21], v46, s9 src0_sel:BYTE_0 src1_sel:DWORD
	v_mov_b32_e32 v56, 0xffff8000
	s_and_saveexec_b64 s[18:19], s[20:21]
	s_cbranch_execz .LBB910_520
; %bb.517:                              ;   in Loop: Header=BB910_215 Depth=1
	v_bfe_u32 v58, v44, 16, 7
	v_cmp_ne_u32_e32 vcc, s23, v58
	v_mov_b32_e32 v56, 0x7f80
	s_and_saveexec_b64 s[20:21], vcc
	s_cbranch_execz .LBB910_519
; %bb.518:                              ;   in Loop: Header=BB910_215 Depth=1
	v_and_b32_e32 v56, 7, v46
	v_ffbh_u32_e32 v60, v56
	v_min_u32_e32 v62, 32, v60
	v_subrev_u32_e32 v60, 28, v62
	v_lshlrev_b64 v[60:61], v60, v[46:47]
	v_lshrrev_b32_e32 v59, 3, v58
	v_sub_u32_e32 v61, 29, v62
	v_and_b32_e32 v60, 7, v60
	v_cmp_gt_u32_e32 vcc, 8, v58
	v_cndmask_b32_e32 v58, v59, v61, vcc
	v_cndmask_b32_e32 v56, v56, v60, vcc
	v_lshlrev_b32_e32 v46, 24, v46
	v_lshlrev_b32_e32 v56, 20, v56
	v_and_b32_e32 v46, 0x80000000, v46
	v_lshl_add_u32 v58, v58, 23, v55
	v_or3_b32 v46, v46, v58, v56
	v_lshrrev_b32_e32 v56, 16, v46
.LBB910_519:                            ;   in Loop: Header=BB910_215 Depth=1
	s_or_b64 exec, exec, s[20:21]
.LBB910_520:                            ;   in Loop: Header=BB910_215 Depth=1
	s_or_b64 exec, exec, s[18:19]
.LBB910_521:                            ;   in Loop: Header=BB910_215 Depth=1
	s_or_b64 exec, exec, s[16:17]
	v_cmp_lt_u32_e32 vcc, s24, v44
	s_and_saveexec_b64 s[16:17], vcc
	s_cbranch_execz .LBB910_527
; %bb.522:                              ;   in Loop: Header=BB910_215 Depth=1
	v_lshrrev_b32_e32 v46, 24, v44
	v_cmp_ne_u32_e32 vcc, s9, v46
	v_mov_b32_e32 v57, 0xffff8000
	s_and_saveexec_b64 s[18:19], vcc
	s_cbranch_execz .LBB910_526
; %bb.523:                              ;   in Loop: Header=BB910_215 Depth=1
	v_bfe_u32 v44, v44, 24, 7
	v_cmp_ne_u32_e32 vcc, s23, v44
	v_mov_b32_e32 v57, 0x7f80
	s_and_saveexec_b64 s[20:21], vcc
	s_cbranch_execz .LBB910_525
; %bb.524:                              ;   in Loop: Header=BB910_215 Depth=1
	v_and_b32_e32 v57, 7, v46
	v_ffbh_u32_e32 v58, v57
	v_min_u32_e32 v61, 32, v58
	v_subrev_u32_e32 v58, 28, v61
	v_lshlrev_b64 v[58:59], v58, v[46:47]
	v_lshrrev_b32_e32 v60, 3, v44
	v_sub_u32_e32 v59, 29, v61
	v_and_b32_e32 v58, 7, v58
	v_cmp_gt_u32_e32 vcc, 8, v44
	v_cndmask_b32_e32 v44, v60, v59, vcc
	v_cndmask_b32_e32 v57, v57, v58, vcc
	v_lshlrev_b32_e32 v46, 24, v46
	v_lshlrev_b32_e32 v57, 20, v57
	v_and_b32_e32 v46, 0x80000000, v46
	v_lshl_add_u32 v44, v44, 23, v55
	v_or3_b32 v44, v46, v44, v57
	v_lshrrev_b32_e32 v57, 16, v44
.LBB910_525:                            ;   in Loop: Header=BB910_215 Depth=1
	s_or_b64 exec, exec, s[20:21]
.LBB910_526:                            ;   in Loop: Header=BB910_215 Depth=1
	s_or_b64 exec, exec, s[18:19]
.LBB910_527:                            ;   in Loop: Header=BB910_215 Depth=1
	s_or_b64 exec, exec, s[16:17]
	s_waitcnt vmcnt(2)
	v_cmp_ne_u16_sdwa s[18:19], v42, v52 src0_sel:BYTE_0 src1_sel:DWORD
	v_mov_b32_e32 v46, 0
	v_mov_b32_e32 v58, 0
	s_and_saveexec_b64 s[16:17], s[18:19]
	s_cbranch_execz .LBB910_533
; %bb.528:                              ;   in Loop: Header=BB910_215 Depth=1
	v_cmp_ne_u16_sdwa s[20:21], v42, s9 src0_sel:BYTE_0 src1_sel:DWORD
	v_mov_b32_e32 v58, 0xffff8000
	s_and_saveexec_b64 s[18:19], s[20:21]
	s_cbranch_execz .LBB910_532
; %bb.529:                              ;   in Loop: Header=BB910_215 Depth=1
	v_and_b32_e32 v44, 0x7f, v42
	v_cmp_ne_u32_e32 vcc, s23, v44
	v_mov_b32_e32 v58, 0x7f80
	s_and_saveexec_b64 s[20:21], vcc
	s_cbranch_execz .LBB910_531
; %bb.530:                              ;   in Loop: Header=BB910_215 Depth=1
	v_and_b32_e32 v60, 7, v42
	v_ffbh_u32_e32 v58, v60
	v_min_u32_e32 v62, 32, v58
	v_subrev_u32_e32 v58, 28, v62
	v_lshlrev_b64 v[58:59], v58, v[42:43]
	v_lshrrev_b32_e32 v61, 3, v44
	v_sub_u32_e32 v59, 29, v62
	v_and_b32_e32 v58, 7, v58
	v_cmp_gt_u32_e32 vcc, 8, v44
	v_cndmask_b32_e32 v44, v61, v59, vcc
	v_cndmask_b32_e32 v58, v60, v58, vcc
	v_lshlrev_b32_e32 v59, 24, v42
	v_lshlrev_b32_e32 v58, 20, v58
	v_and_b32_e32 v59, 0x80000000, v59
	v_lshl_add_u32 v44, v44, 23, v55
	v_or3_b32 v44, v59, v44, v58
	v_lshrrev_b32_e32 v58, 16, v44
.LBB910_531:                            ;   in Loop: Header=BB910_215 Depth=1
	s_or_b64 exec, exec, s[20:21]
.LBB910_532:                            ;   in Loop: Header=BB910_215 Depth=1
	s_or_b64 exec, exec, s[18:19]
.LBB910_533:                            ;   in Loop: Header=BB910_215 Depth=1
	s_or_b64 exec, exec, s[16:17]
	v_lshrrev_b16_e32 v44, 8, v42
	v_cmp_ne_u16_e32 vcc, 0, v44
	s_and_saveexec_b64 s[16:17], vcc
	s_cbranch_execz .LBB910_539
; %bb.534:                              ;   in Loop: Header=BB910_215 Depth=1
	v_cmp_ne_u16_e32 vcc, s9, v44
	v_mov_b32_e32 v46, 0xffff8000
	s_and_saveexec_b64 s[18:19], vcc
	s_cbranch_execz .LBB910_538
; %bb.535:                              ;   in Loop: Header=BB910_215 Depth=1
	v_and_b32_e32 v59, 0x7f, v44
	v_cmp_ne_u32_e32 vcc, s23, v59
	v_mov_b32_e32 v46, 0x7f80
	s_and_saveexec_b64 s[20:21], vcc
	s_cbranch_execz .LBB910_537
; %bb.536:                              ;   in Loop: Header=BB910_215 Depth=1
	v_and_b32_e32 v46, 7, v44
	v_ffbh_u32_e32 v60, v46
	v_min_u32_e32 v63, 32, v60
	v_subrev_u32_e32 v60, 28, v63
	v_lshlrev_b64 v[60:61], v60, v[44:45]
	v_lshrrev_b32_e32 v62, 3, v59
	v_sub_u32_e32 v44, 29, v63
	v_and_b32_e32 v60, 7, v60
	v_cmp_gt_u32_e32 vcc, 8, v59
	v_cndmask_b32_e32 v44, v62, v44, vcc
	v_cndmask_b32_e32 v46, v46, v60, vcc
	v_lshlrev_b32_e32 v59, 16, v42
	v_lshlrev_b32_e32 v46, 20, v46
	v_and_b32_e32 v59, 0x80000000, v59
	v_lshl_add_u32 v44, v44, 23, v55
	v_or3_b32 v44, v59, v44, v46
	v_lshrrev_b32_e32 v46, 16, v44
.LBB910_537:                            ;   in Loop: Header=BB910_215 Depth=1
	s_or_b64 exec, exec, s[20:21]
.LBB910_538:                            ;   in Loop: Header=BB910_215 Depth=1
	s_or_b64 exec, exec, s[18:19]
.LBB910_539:                            ;   in Loop: Header=BB910_215 Depth=1
	s_or_b64 exec, exec, s[16:17]
	v_lshrrev_b32_e32 v44, 16, v42
	v_cmp_ne_u16_sdwa s[18:19], v44, v52 src0_sel:BYTE_0 src1_sel:DWORD
	v_mov_b32_e32 v60, 0
	v_mov_b32_e32 v59, 0
	s_and_saveexec_b64 s[16:17], s[18:19]
	s_cbranch_execz .LBB910_545
; %bb.540:                              ;   in Loop: Header=BB910_215 Depth=1
	v_cmp_ne_u16_sdwa s[20:21], v44, s9 src0_sel:BYTE_0 src1_sel:DWORD
	v_mov_b32_e32 v59, 0xffff8000
	s_and_saveexec_b64 s[18:19], s[20:21]
	s_cbranch_execz .LBB910_544
; %bb.541:                              ;   in Loop: Header=BB910_215 Depth=1
	v_bfe_u32 v61, v42, 16, 7
	v_cmp_ne_u32_e32 vcc, s23, v61
	v_mov_b32_e32 v59, 0x7f80
	s_and_saveexec_b64 s[20:21], vcc
	s_cbranch_execz .LBB910_543
; %bb.542:                              ;   in Loop: Header=BB910_215 Depth=1
	v_and_b32_e32 v59, 7, v44
	v_ffbh_u32_e32 v62, v59
	v_min_u32_e32 v65, 32, v62
	v_subrev_u32_e32 v62, 28, v65
	v_lshlrev_b64 v[62:63], v62, v[44:45]
	v_lshrrev_b32_e32 v64, 3, v61
	v_sub_u32_e32 v63, 29, v65
	v_and_b32_e32 v62, 7, v62
	v_cmp_gt_u32_e32 vcc, 8, v61
	v_cndmask_b32_e32 v61, v64, v63, vcc
	v_cndmask_b32_e32 v59, v59, v62, vcc
	v_lshlrev_b32_e32 v44, 24, v44
	v_lshlrev_b32_e32 v59, 20, v59
	v_and_b32_e32 v44, 0x80000000, v44
	v_lshl_add_u32 v61, v61, 23, v55
	v_or3_b32 v44, v44, v61, v59
	v_lshrrev_b32_e32 v59, 16, v44
.LBB910_543:                            ;   in Loop: Header=BB910_215 Depth=1
	s_or_b64 exec, exec, s[20:21]
.LBB910_544:                            ;   in Loop: Header=BB910_215 Depth=1
	s_or_b64 exec, exec, s[18:19]
.LBB910_545:                            ;   in Loop: Header=BB910_215 Depth=1
	s_or_b64 exec, exec, s[16:17]
	v_cmp_lt_u32_e32 vcc, s24, v42
	s_and_saveexec_b64 s[16:17], vcc
	s_cbranch_execz .LBB910_551
; %bb.546:                              ;   in Loop: Header=BB910_215 Depth=1
	v_lshrrev_b32_e32 v44, 24, v42
	v_cmp_ne_u32_e32 vcc, s9, v44
	v_mov_b32_e32 v60, 0xffff8000
	s_and_saveexec_b64 s[18:19], vcc
	s_cbranch_execz .LBB910_550
; %bb.547:                              ;   in Loop: Header=BB910_215 Depth=1
	v_bfe_u32 v42, v42, 24, 7
	v_cmp_ne_u32_e32 vcc, s23, v42
	v_mov_b32_e32 v60, 0x7f80
	s_and_saveexec_b64 s[20:21], vcc
	s_cbranch_execz .LBB910_549
; %bb.548:                              ;   in Loop: Header=BB910_215 Depth=1
	v_and_b32_e32 v62, 7, v44
	v_ffbh_u32_e32 v60, v62
	v_min_u32_e32 v64, 32, v60
	v_subrev_u32_e32 v60, 28, v64
	v_lshlrev_b64 v[60:61], v60, v[44:45]
	v_lshrrev_b32_e32 v63, 3, v42
	v_sub_u32_e32 v61, 29, v64
	v_and_b32_e32 v60, 7, v60
	v_cmp_gt_u32_e32 vcc, 8, v42
	v_cndmask_b32_e32 v42, v63, v61, vcc
	v_cndmask_b32_e32 v60, v62, v60, vcc
	v_lshlrev_b32_e32 v44, 24, v44
	v_lshlrev_b32_e32 v60, 20, v60
	v_and_b32_e32 v44, 0x80000000, v44
	v_lshl_add_u32 v42, v42, 23, v55
	v_or3_b32 v42, v44, v42, v60
	v_lshrrev_b32_e32 v60, 16, v42
.LBB910_549:                            ;   in Loop: Header=BB910_215 Depth=1
	s_or_b64 exec, exec, s[20:21]
.LBB910_550:                            ;   in Loop: Header=BB910_215 Depth=1
	s_or_b64 exec, exec, s[18:19]
.LBB910_551:                            ;   in Loop: Header=BB910_215 Depth=1
	s_or_b64 exec, exec, s[16:17]
	v_perm_b32 v57, v57, v56, s25
	v_perm_b32 v56, v50, v51, s25
	;; [unrolled: 1-line block ×4, first 2 shown]
	s_waitcnt vmcnt(1)
	v_cmp_ne_u16_sdwa s[18:19], v40, v52 src0_sel:BYTE_0 src1_sel:DWORD
	v_mfma_f32_16x16x16bf16_1k v[34:37], v[56:57], v[26:27], v[34:37]
	v_mov_b32_e32 v44, 0
	v_mov_b32_e32 v46, 0
	v_mfma_f32_16x16x16bf16_1k v[34:37], v[50:51], v[28:29], v[34:37]
	s_and_saveexec_b64 s[16:17], s[18:19]
	s_cbranch_execz .LBB910_557
; %bb.552:                              ;   in Loop: Header=BB910_215 Depth=1
	v_cmp_ne_u16_sdwa s[20:21], v40, s9 src0_sel:BYTE_0 src1_sel:DWORD
	v_mov_b32_e32 v46, 0xffff8000
	s_and_saveexec_b64 s[18:19], s[20:21]
	s_cbranch_execz .LBB910_556
; %bb.553:                              ;   in Loop: Header=BB910_215 Depth=1
	v_and_b32_e32 v42, 0x7f, v40
	v_cmp_ne_u32_e32 vcc, s23, v42
	v_mov_b32_e32 v46, 0x7f80
	s_and_saveexec_b64 s[20:21], vcc
	s_cbranch_execz .LBB910_555
; %bb.554:                              ;   in Loop: Header=BB910_215 Depth=1
	v_and_b32_e32 v46, 7, v40
	v_ffbh_u32_e32 v50, v46
	v_min_u32_e32 v57, 32, v50
	v_subrev_u32_e32 v50, 28, v57
	v_lshlrev_b64 v[50:51], v50, v[40:41]
	v_lshrrev_b32_e32 v56, 3, v42
	v_sub_u32_e32 v51, 29, v57
	v_and_b32_e32 v50, 7, v50
	v_cmp_gt_u32_e32 vcc, 8, v42
	v_cndmask_b32_e32 v42, v56, v51, vcc
	v_cndmask_b32_e32 v46, v46, v50, vcc
	v_lshlrev_b32_e32 v50, 24, v40
	v_lshlrev_b32_e32 v46, 20, v46
	v_and_b32_e32 v50, 0x80000000, v50
	v_lshl_add_u32 v42, v42, 23, v55
	v_or3_b32 v42, v50, v42, v46
	v_lshrrev_b32_e32 v46, 16, v42
.LBB910_555:                            ;   in Loop: Header=BB910_215 Depth=1
	s_or_b64 exec, exec, s[20:21]
.LBB910_556:                            ;   in Loop: Header=BB910_215 Depth=1
	s_or_b64 exec, exec, s[18:19]
.LBB910_557:                            ;   in Loop: Header=BB910_215 Depth=1
	s_or_b64 exec, exec, s[16:17]
	v_lshrrev_b16_e32 v42, 8, v40
	v_cmp_ne_u16_e32 vcc, 0, v42
	s_and_saveexec_b64 s[16:17], vcc
	s_cbranch_execz .LBB910_563
; %bb.558:                              ;   in Loop: Header=BB910_215 Depth=1
	v_cmp_ne_u16_e32 vcc, s9, v42
	v_mov_b32_e32 v44, 0xffff8000
	s_and_saveexec_b64 s[18:19], vcc
	s_cbranch_execz .LBB910_562
; %bb.559:                              ;   in Loop: Header=BB910_215 Depth=1
	v_and_b32_e32 v50, 0x7f, v42
	v_cmp_ne_u32_e32 vcc, s23, v50
	v_mov_b32_e32 v44, 0x7f80
	s_and_saveexec_b64 s[20:21], vcc
	s_cbranch_execz .LBB910_561
; %bb.560:                              ;   in Loop: Header=BB910_215 Depth=1
	v_and_b32_e32 v44, 7, v42
	v_ffbh_u32_e32 v56, v44
	v_min_u32_e32 v58, 32, v56
	v_subrev_u32_e32 v56, 28, v58
	v_lshlrev_b64 v[56:57], v56, v[42:43]
	v_lshrrev_b32_e32 v51, 3, v50
	v_sub_u32_e32 v42, 29, v58
	v_and_b32_e32 v56, 7, v56
	v_cmp_gt_u32_e32 vcc, 8, v50
	v_cndmask_b32_e32 v42, v51, v42, vcc
	v_cndmask_b32_e32 v44, v44, v56, vcc
	v_lshlrev_b32_e32 v50, 16, v40
	v_lshlrev_b32_e32 v44, 20, v44
	v_and_b32_e32 v50, 0x80000000, v50
	v_lshl_add_u32 v42, v42, 23, v55
	v_or3_b32 v42, v50, v42, v44
	v_lshrrev_b32_e32 v44, 16, v42
.LBB910_561:                            ;   in Loop: Header=BB910_215 Depth=1
	s_or_b64 exec, exec, s[20:21]
.LBB910_562:                            ;   in Loop: Header=BB910_215 Depth=1
	s_or_b64 exec, exec, s[18:19]
.LBB910_563:                            ;   in Loop: Header=BB910_215 Depth=1
	s_or_b64 exec, exec, s[16:17]
	v_lshrrev_b32_e32 v42, 16, v40
	v_cmp_ne_u16_sdwa s[18:19], v42, v52 src0_sel:BYTE_0 src1_sel:DWORD
	v_mov_b32_e32 v51, 0
	v_mov_b32_e32 v50, 0
	s_and_saveexec_b64 s[16:17], s[18:19]
	s_cbranch_execz .LBB910_569
; %bb.564:                              ;   in Loop: Header=BB910_215 Depth=1
	v_cmp_ne_u16_sdwa s[20:21], v42, s9 src0_sel:BYTE_0 src1_sel:DWORD
	v_mov_b32_e32 v50, 0xffff8000
	s_and_saveexec_b64 s[18:19], s[20:21]
	s_cbranch_execz .LBB910_568
; %bb.565:                              ;   in Loop: Header=BB910_215 Depth=1
	v_bfe_u32 v56, v40, 16, 7
	v_cmp_ne_u32_e32 vcc, s23, v56
	v_mov_b32_e32 v50, 0x7f80
	s_and_saveexec_b64 s[20:21], vcc
	s_cbranch_execz .LBB910_567
; %bb.566:                              ;   in Loop: Header=BB910_215 Depth=1
	v_and_b32_e32 v50, 7, v42
	v_ffbh_u32_e32 v58, v50
	v_min_u32_e32 v60, 32, v58
	v_subrev_u32_e32 v58, 28, v60
	v_lshlrev_b64 v[58:59], v58, v[42:43]
	v_lshrrev_b32_e32 v57, 3, v56
	v_sub_u32_e32 v59, 29, v60
	v_and_b32_e32 v58, 7, v58
	v_cmp_gt_u32_e32 vcc, 8, v56
	v_cndmask_b32_e32 v56, v57, v59, vcc
	v_cndmask_b32_e32 v50, v50, v58, vcc
	v_lshlrev_b32_e32 v42, 24, v42
	v_lshlrev_b32_e32 v50, 20, v50
	v_and_b32_e32 v42, 0x80000000, v42
	v_lshl_add_u32 v56, v56, 23, v55
	v_or3_b32 v42, v42, v56, v50
	v_lshrrev_b32_e32 v50, 16, v42
.LBB910_567:                            ;   in Loop: Header=BB910_215 Depth=1
	s_or_b64 exec, exec, s[20:21]
.LBB910_568:                            ;   in Loop: Header=BB910_215 Depth=1
	s_or_b64 exec, exec, s[18:19]
.LBB910_569:                            ;   in Loop: Header=BB910_215 Depth=1
	s_or_b64 exec, exec, s[16:17]
	v_cmp_lt_u32_e32 vcc, s24, v40
	s_and_saveexec_b64 s[16:17], vcc
	s_cbranch_execz .LBB910_575
; %bb.570:                              ;   in Loop: Header=BB910_215 Depth=1
	v_lshrrev_b32_e32 v42, 24, v40
	v_cmp_ne_u32_e32 vcc, s9, v42
	v_mov_b32_e32 v51, 0xffff8000
	s_and_saveexec_b64 s[18:19], vcc
	s_cbranch_execz .LBB910_574
; %bb.571:                              ;   in Loop: Header=BB910_215 Depth=1
	v_bfe_u32 v40, v40, 24, 7
	v_cmp_ne_u32_e32 vcc, s23, v40
	v_mov_b32_e32 v51, 0x7f80
	s_and_saveexec_b64 s[20:21], vcc
	s_cbranch_execz .LBB910_573
; %bb.572:                              ;   in Loop: Header=BB910_215 Depth=1
	v_and_b32_e32 v51, 7, v42
	v_ffbh_u32_e32 v56, v51
	v_min_u32_e32 v59, 32, v56
	v_subrev_u32_e32 v56, 28, v59
	v_lshlrev_b64 v[56:57], v56, v[42:43]
	v_lshrrev_b32_e32 v58, 3, v40
	v_sub_u32_e32 v57, 29, v59
	v_and_b32_e32 v56, 7, v56
	v_cmp_gt_u32_e32 vcc, 8, v40
	v_cndmask_b32_e32 v40, v58, v57, vcc
	v_cndmask_b32_e32 v51, v51, v56, vcc
	v_lshlrev_b32_e32 v42, 24, v42
	v_lshlrev_b32_e32 v51, 20, v51
	v_and_b32_e32 v42, 0x80000000, v42
	v_lshl_add_u32 v40, v40, 23, v55
	v_or3_b32 v40, v42, v40, v51
	v_lshrrev_b32_e32 v51, 16, v40
.LBB910_573:                            ;   in Loop: Header=BB910_215 Depth=1
	s_or_b64 exec, exec, s[20:21]
.LBB910_574:                            ;   in Loop: Header=BB910_215 Depth=1
	s_or_b64 exec, exec, s[18:19]
.LBB910_575:                            ;   in Loop: Header=BB910_215 Depth=1
	s_or_b64 exec, exec, s[16:17]
	s_waitcnt vmcnt(0)
	v_cmp_ne_u16_sdwa s[18:19], v38, v52 src0_sel:BYTE_0 src1_sel:DWORD
	v_mov_b32_e32 v42, 0
	v_mov_b32_e32 v56, 0
	s_and_saveexec_b64 s[16:17], s[18:19]
	s_cbranch_execz .LBB910_581
; %bb.576:                              ;   in Loop: Header=BB910_215 Depth=1
	v_cmp_ne_u16_sdwa s[20:21], v38, s9 src0_sel:BYTE_0 src1_sel:DWORD
	v_mov_b32_e32 v56, 0xffff8000
	s_and_saveexec_b64 s[18:19], s[20:21]
	s_cbranch_execz .LBB910_580
; %bb.577:                              ;   in Loop: Header=BB910_215 Depth=1
	v_and_b32_e32 v40, 0x7f, v38
	v_cmp_ne_u32_e32 vcc, s23, v40
	v_mov_b32_e32 v56, 0x7f80
	s_and_saveexec_b64 s[20:21], vcc
	s_cbranch_execz .LBB910_579
; %bb.578:                              ;   in Loop: Header=BB910_215 Depth=1
	v_and_b32_e32 v58, 7, v38
	v_ffbh_u32_e32 v56, v58
	v_min_u32_e32 v60, 32, v56
	v_subrev_u32_e32 v56, 28, v60
	v_lshlrev_b64 v[56:57], v56, v[38:39]
	v_lshrrev_b32_e32 v59, 3, v40
	v_sub_u32_e32 v57, 29, v60
	v_and_b32_e32 v56, 7, v56
	v_cmp_gt_u32_e32 vcc, 8, v40
	v_cndmask_b32_e32 v40, v59, v57, vcc
	v_cndmask_b32_e32 v56, v58, v56, vcc
	v_lshlrev_b32_e32 v57, 24, v38
	v_lshlrev_b32_e32 v56, 20, v56
	v_and_b32_e32 v57, 0x80000000, v57
	v_lshl_add_u32 v40, v40, 23, v55
	v_or3_b32 v40, v57, v40, v56
	v_lshrrev_b32_e32 v56, 16, v40
.LBB910_579:                            ;   in Loop: Header=BB910_215 Depth=1
	s_or_b64 exec, exec, s[20:21]
.LBB910_580:                            ;   in Loop: Header=BB910_215 Depth=1
	s_or_b64 exec, exec, s[18:19]
.LBB910_581:                            ;   in Loop: Header=BB910_215 Depth=1
	s_or_b64 exec, exec, s[16:17]
	v_lshrrev_b16_e32 v40, 8, v38
	v_cmp_ne_u16_e32 vcc, 0, v40
	s_and_saveexec_b64 s[16:17], vcc
	s_cbranch_execz .LBB910_587
; %bb.582:                              ;   in Loop: Header=BB910_215 Depth=1
	v_cmp_ne_u16_e32 vcc, s9, v40
	v_mov_b32_e32 v42, 0xffff8000
	s_and_saveexec_b64 s[18:19], vcc
	s_cbranch_execz .LBB910_586
; %bb.583:                              ;   in Loop: Header=BB910_215 Depth=1
	v_and_b32_e32 v57, 0x7f, v40
	v_cmp_ne_u32_e32 vcc, s23, v57
	v_mov_b32_e32 v42, 0x7f80
	s_and_saveexec_b64 s[20:21], vcc
	s_cbranch_execz .LBB910_585
; %bb.584:                              ;   in Loop: Header=BB910_215 Depth=1
	v_and_b32_e32 v42, 7, v40
	v_ffbh_u32_e32 v58, v42
	v_min_u32_e32 v61, 32, v58
	v_subrev_u32_e32 v58, 28, v61
	v_lshlrev_b64 v[58:59], v58, v[40:41]
	v_lshrrev_b32_e32 v60, 3, v57
	v_sub_u32_e32 v40, 29, v61
	v_and_b32_e32 v58, 7, v58
	v_cmp_gt_u32_e32 vcc, 8, v57
	v_cndmask_b32_e32 v40, v60, v40, vcc
	v_cndmask_b32_e32 v42, v42, v58, vcc
	v_lshlrev_b32_e32 v57, 16, v38
	v_lshlrev_b32_e32 v42, 20, v42
	v_and_b32_e32 v57, 0x80000000, v57
	v_lshl_add_u32 v40, v40, 23, v55
	v_or3_b32 v40, v57, v40, v42
	v_lshrrev_b32_e32 v42, 16, v40
.LBB910_585:                            ;   in Loop: Header=BB910_215 Depth=1
	s_or_b64 exec, exec, s[20:21]
.LBB910_586:                            ;   in Loop: Header=BB910_215 Depth=1
	s_or_b64 exec, exec, s[18:19]
.LBB910_587:                            ;   in Loop: Header=BB910_215 Depth=1
	s_or_b64 exec, exec, s[16:17]
	v_lshrrev_b32_e32 v40, 16, v38
	v_cmp_ne_u16_sdwa s[18:19], v40, v52 src0_sel:BYTE_0 src1_sel:DWORD
	v_mov_b32_e32 v58, 0
	v_mov_b32_e32 v57, 0
	s_and_saveexec_b64 s[16:17], s[18:19]
	s_cbranch_execz .LBB910_593
; %bb.588:                              ;   in Loop: Header=BB910_215 Depth=1
	v_cmp_ne_u16_sdwa s[20:21], v40, s9 src0_sel:BYTE_0 src1_sel:DWORD
	v_mov_b32_e32 v57, 0xffff8000
	s_and_saveexec_b64 s[18:19], s[20:21]
	s_cbranch_execz .LBB910_592
; %bb.589:                              ;   in Loop: Header=BB910_215 Depth=1
	v_bfe_u32 v59, v38, 16, 7
	v_cmp_ne_u32_e32 vcc, s23, v59
	v_mov_b32_e32 v57, 0x7f80
	s_and_saveexec_b64 s[20:21], vcc
	s_cbranch_execz .LBB910_591
; %bb.590:                              ;   in Loop: Header=BB910_215 Depth=1
	v_and_b32_e32 v57, 7, v40
	v_ffbh_u32_e32 v60, v57
	v_min_u32_e32 v63, 32, v60
	v_subrev_u32_e32 v60, 28, v63
	v_lshlrev_b64 v[60:61], v60, v[40:41]
	v_lshrrev_b32_e32 v62, 3, v59
	v_sub_u32_e32 v61, 29, v63
	v_and_b32_e32 v60, 7, v60
	v_cmp_gt_u32_e32 vcc, 8, v59
	v_cndmask_b32_e32 v59, v62, v61, vcc
	v_cndmask_b32_e32 v57, v57, v60, vcc
	v_lshlrev_b32_e32 v40, 24, v40
	v_lshlrev_b32_e32 v57, 20, v57
	v_and_b32_e32 v40, 0x80000000, v40
	v_lshl_add_u32 v59, v59, 23, v55
	v_or3_b32 v40, v40, v59, v57
	v_lshrrev_b32_e32 v57, 16, v40
.LBB910_591:                            ;   in Loop: Header=BB910_215 Depth=1
	s_or_b64 exec, exec, s[20:21]
.LBB910_592:                            ;   in Loop: Header=BB910_215 Depth=1
	s_or_b64 exec, exec, s[18:19]
.LBB910_593:                            ;   in Loop: Header=BB910_215 Depth=1
	s_or_b64 exec, exec, s[16:17]
	v_cmp_lt_u32_e32 vcc, s24, v38
	s_and_saveexec_b64 s[16:17], vcc
	s_cbranch_execz .LBB910_214
; %bb.594:                              ;   in Loop: Header=BB910_215 Depth=1
	v_lshrrev_b32_e32 v40, 24, v38
	v_cmp_ne_u32_e32 vcc, s9, v40
	v_mov_b32_e32 v58, 0xffff8000
	s_and_saveexec_b64 s[18:19], vcc
	s_cbranch_execz .LBB910_213
; %bb.595:                              ;   in Loop: Header=BB910_215 Depth=1
	v_bfe_u32 v38, v38, 24, 7
	v_cmp_ne_u32_e32 vcc, s23, v38
	v_mov_b32_e32 v58, 0x7f80
	s_and_saveexec_b64 s[20:21], vcc
	s_cbranch_execz .LBB910_212
; %bb.596:                              ;   in Loop: Header=BB910_215 Depth=1
	v_and_b32_e32 v60, 7, v40
	v_ffbh_u32_e32 v58, v60
	v_min_u32_e32 v62, 32, v58
	v_subrev_u32_e32 v58, 28, v62
	v_lshlrev_b64 v[58:59], v58, v[40:41]
	v_lshrrev_b32_e32 v61, 3, v38
	v_sub_u32_e32 v59, 29, v62
	v_and_b32_e32 v58, 7, v58
	v_cmp_gt_u32_e32 vcc, 8, v38
	v_cndmask_b32_e32 v38, v61, v59, vcc
	v_cndmask_b32_e32 v58, v60, v58, vcc
	v_lshlrev_b32_e32 v40, 24, v40
	v_lshlrev_b32_e32 v58, 20, v58
	v_and_b32_e32 v40, 0x80000000, v40
	v_lshl_add_u32 v38, v38, 23, v55
	v_or3_b32 v38, v40, v38, v58
	v_lshrrev_b32_e32 v58, 16, v38
	s_branch .LBB910_212
.LBB910_597:
	s_barrier
	buffer_load_dword v2, off, s[0:3], 0 offset:320
	buffer_load_dword v5, off, s[0:3], 0 offset:332
	;; [unrolled: 1-line block ×4, first 2 shown]
	v_cmp_gt_u32_e32 vcc, 64, v0
	s_xor_b64 s[4:5], s[4:5], -1
	s_and_b64 s[4:5], vcc, s[4:5]
	s_waitcnt vmcnt(0)
	ds_write2st64_b64 v53, v[2:3], v[4:5] offset1:1
	s_waitcnt lgkmcnt(0)
	s_barrier
	s_and_saveexec_b64 s[6:7], s[4:5]
	s_cbranch_execz .LBB910_599
; %bb.598:
	s_mul_i32 s4, s53, s8
	s_lshl_b32 s6, s52, 7
	s_mul_hi_u32 s5, s4, s6
	s_mul_i32 s4, s4, s6
	v_lshlrev_b32_e32 v4, 6, v41
	s_lshl_b64 s[4:5], s[4:5], 1
	v_lshl_or_b32 v0, v0, 10, v4
	s_add_u32 s7, s54, s4
	v_lshlrev_b32_e32 v2, 5, v39
	v_and_b32_e32 v3, 16, v43
	v_and_b32_e32 v0, 0x1a00, v0
	s_addc_u32 s8, s55, s5
	s_lshl_b32 s4, s28, 7
	s_mov_b32 s5, 0
	v_or3_b32 v0, v0, v2, v3
	s_lshl_b64 s[4:5], s[4:5], 1
	ds_read_b128 v[2:5], v0
	s_add_u32 s7, s7, s4
	s_addc_u32 s8, s8, s5
	s_mul_hi_u32 s5, s6, s10
	s_mul_i32 s4, s6, s10
	s_lshl_b64 s[4:5], s[4:5], 1
	s_add_u32 s4, s7, s4
	s_addc_u32 s5, s8, s5
	s_waitcnt lgkmcnt(0)
	global_store_dwordx4 v1, v[2:5], s[4:5]
.LBB910_599:
	s_endpgm
	.section	.rodata,"a",@progbits
	.p2align	6, 0x0
	.amdhsa_kernel _Z39paged_attention_ll4mi_QKV_mfma16_kernelI14__hip_bfloat16hLN4vllm18Fp8KVCacheDataTypeE1ES0_Li16ELi128ELi256ELb1ELi1EL8MFMAType0EEvPKT_PKT0_S9_ifPKiSB_SB_iPKfiiiPfSE_PS4_PT2_iSD_SD_
		.amdhsa_group_segment_fixed_size 8192
		.amdhsa_private_segment_fixed_size 352
		.amdhsa_kernarg_size 400
		.amdhsa_user_sgpr_count 8
		.amdhsa_user_sgpr_private_segment_buffer 1
		.amdhsa_user_sgpr_dispatch_ptr 0
		.amdhsa_user_sgpr_queue_ptr 0
		.amdhsa_user_sgpr_kernarg_segment_ptr 1
		.amdhsa_user_sgpr_dispatch_id 0
		.amdhsa_user_sgpr_flat_scratch_init 1
		.amdhsa_user_sgpr_kernarg_preload_length 0
		.amdhsa_user_sgpr_kernarg_preload_offset 0
		.amdhsa_user_sgpr_private_segment_size 0
		.amdhsa_uses_dynamic_stack 0
		.amdhsa_system_sgpr_private_segment_wavefront_offset 1
		.amdhsa_system_sgpr_workgroup_id_x 1
		.amdhsa_system_sgpr_workgroup_id_y 1
		.amdhsa_system_sgpr_workgroup_id_z 1
		.amdhsa_system_sgpr_workgroup_info 0
		.amdhsa_system_vgpr_workitem_id 0
		.amdhsa_next_free_vgpr 80
		.amdhsa_next_free_sgpr 56
		.amdhsa_accum_offset 80
		.amdhsa_reserve_vcc 1
		.amdhsa_reserve_flat_scratch 0
		.amdhsa_float_round_mode_32 0
		.amdhsa_float_round_mode_16_64 0
		.amdhsa_float_denorm_mode_32 3
		.amdhsa_float_denorm_mode_16_64 3
		.amdhsa_dx10_clamp 1
		.amdhsa_ieee_mode 1
		.amdhsa_fp16_overflow 0
		.amdhsa_tg_split 0
		.amdhsa_exception_fp_ieee_invalid_op 0
		.amdhsa_exception_fp_denorm_src 0
		.amdhsa_exception_fp_ieee_div_zero 0
		.amdhsa_exception_fp_ieee_overflow 0
		.amdhsa_exception_fp_ieee_underflow 0
		.amdhsa_exception_fp_ieee_inexact 0
		.amdhsa_exception_int_div_zero 0
	.end_amdhsa_kernel
	.section	.text._Z39paged_attention_ll4mi_QKV_mfma16_kernelI14__hip_bfloat16hLN4vllm18Fp8KVCacheDataTypeE1ES0_Li16ELi128ELi256ELb1ELi1EL8MFMAType0EEvPKT_PKT0_S9_ifPKiSB_SB_iPKfiiiPfSE_PS4_PT2_iSD_SD_,"axG",@progbits,_Z39paged_attention_ll4mi_QKV_mfma16_kernelI14__hip_bfloat16hLN4vllm18Fp8KVCacheDataTypeE1ES0_Li16ELi128ELi256ELb1ELi1EL8MFMAType0EEvPKT_PKT0_S9_ifPKiSB_SB_iPKfiiiPfSE_PS4_PT2_iSD_SD_,comdat
.Lfunc_end910:
	.size	_Z39paged_attention_ll4mi_QKV_mfma16_kernelI14__hip_bfloat16hLN4vllm18Fp8KVCacheDataTypeE1ES0_Li16ELi128ELi256ELb1ELi1EL8MFMAType0EEvPKT_PKT0_S9_ifPKiSB_SB_iPKfiiiPfSE_PS4_PT2_iSD_SD_, .Lfunc_end910-_Z39paged_attention_ll4mi_QKV_mfma16_kernelI14__hip_bfloat16hLN4vllm18Fp8KVCacheDataTypeE1ES0_Li16ELi128ELi256ELb1ELi1EL8MFMAType0EEvPKT_PKT0_S9_ifPKiSB_SB_iPKfiiiPfSE_PS4_PT2_iSD_SD_
                                        ; -- End function
	.section	.AMDGPU.csdata,"",@progbits
; Kernel info:
; codeLenInByte = 22296
; NumSgprs: 60
; NumVgprs: 80
; NumAgprs: 0
; TotalNumVgprs: 80
; ScratchSize: 352
; MemoryBound: 0
; FloatMode: 240
; IeeeMode: 1
; LDSByteSize: 8192 bytes/workgroup (compile time only)
; SGPRBlocks: 7
; VGPRBlocks: 9
; NumSGPRsForWavesPerEU: 60
; NumVGPRsForWavesPerEU: 80
; AccumOffset: 80
; Occupancy: 6
; WaveLimiterHint : 1
; COMPUTE_PGM_RSRC2:SCRATCH_EN: 1
; COMPUTE_PGM_RSRC2:USER_SGPR: 8
; COMPUTE_PGM_RSRC2:TRAP_HANDLER: 0
; COMPUTE_PGM_RSRC2:TGID_X_EN: 1
; COMPUTE_PGM_RSRC2:TGID_Y_EN: 1
; COMPUTE_PGM_RSRC2:TGID_Z_EN: 1
; COMPUTE_PGM_RSRC2:TIDIG_COMP_CNT: 0
; COMPUTE_PGM_RSRC3_GFX90A:ACCUM_OFFSET: 19
; COMPUTE_PGM_RSRC3_GFX90A:TG_SPLIT: 0
	.section	.text._Z39paged_attention_ll4mi_QKV_mfma16_kernelI14__hip_bfloat16hLN4vllm18Fp8KVCacheDataTypeE1ES0_Li16ELi128ELi256ELb1ELi2EL8MFMAType0EEvPKT_PKT0_S9_ifPKiSB_SB_iPKfiiiPfSE_PS4_PT2_iSD_SD_,"axG",@progbits,_Z39paged_attention_ll4mi_QKV_mfma16_kernelI14__hip_bfloat16hLN4vllm18Fp8KVCacheDataTypeE1ES0_Li16ELi128ELi256ELb1ELi2EL8MFMAType0EEvPKT_PKT0_S9_ifPKiSB_SB_iPKfiiiPfSE_PS4_PT2_iSD_SD_,comdat
	.protected	_Z39paged_attention_ll4mi_QKV_mfma16_kernelI14__hip_bfloat16hLN4vllm18Fp8KVCacheDataTypeE1ES0_Li16ELi128ELi256ELb1ELi2EL8MFMAType0EEvPKT_PKT0_S9_ifPKiSB_SB_iPKfiiiPfSE_PS4_PT2_iSD_SD_ ; -- Begin function _Z39paged_attention_ll4mi_QKV_mfma16_kernelI14__hip_bfloat16hLN4vllm18Fp8KVCacheDataTypeE1ES0_Li16ELi128ELi256ELb1ELi2EL8MFMAType0EEvPKT_PKT0_S9_ifPKiSB_SB_iPKfiiiPfSE_PS4_PT2_iSD_SD_
	.globl	_Z39paged_attention_ll4mi_QKV_mfma16_kernelI14__hip_bfloat16hLN4vllm18Fp8KVCacheDataTypeE1ES0_Li16ELi128ELi256ELb1ELi2EL8MFMAType0EEvPKT_PKT0_S9_ifPKiSB_SB_iPKfiiiPfSE_PS4_PT2_iSD_SD_
	.p2align	8
	.type	_Z39paged_attention_ll4mi_QKV_mfma16_kernelI14__hip_bfloat16hLN4vllm18Fp8KVCacheDataTypeE1ES0_Li16ELi128ELi256ELb1ELi2EL8MFMAType0EEvPKT_PKT0_S9_ifPKiSB_SB_iPKfiiiPfSE_PS4_PT2_iSD_SD_,@function
_Z39paged_attention_ll4mi_QKV_mfma16_kernelI14__hip_bfloat16hLN4vllm18Fp8KVCacheDataTypeE1ES0_Li16ELi128ELi256ELb1ELi2EL8MFMAType0EEvPKT_PKT0_S9_ifPKiSB_SB_iPKfiiiPfSE_PS4_PT2_iSD_SD_: ; @_Z39paged_attention_ll4mi_QKV_mfma16_kernelI14__hip_bfloat16hLN4vllm18Fp8KVCacheDataTypeE1ES0_Li16ELi128ELi256ELb1ELi2EL8MFMAType0EEvPKT_PKT0_S9_ifPKiSB_SB_iPKfiiiPfSE_PS4_PT2_iSD_SD_
; %bb.0:
	s_load_dwordx2 s[6:7], s[4:5], 0x30
	s_add_u32 s0, s0, s11
	s_addc_u32 s1, s1, 0
	s_mov_b32 s26, s9
	s_mov_b64 s[14:15], 0
	s_waitcnt lgkmcnt(0)
	s_cmp_lg_u64 s[6:7], 0
	s_cselect_b64 s[12:13], -1, 0
	s_and_b64 vcc, exec, s[12:13]
	s_cbranch_vccz .LBB911_7
; %bb.1:
	s_add_i32 s16, s8, 1
	s_mov_b32 s17, 0
	s_lshl_b64 s[18:19], s[16:17], 2
	s_add_u32 s18, s6, s18
	s_mov_b32 s9, s17
	s_addc_u32 s19, s7, s19
	s_lshl_b64 s[16:17], s[8:9], 2
	s_add_u32 s16, s6, s16
	s_addc_u32 s17, s7, s17
	s_load_dword s11, s[18:19], 0x0
	s_load_dword s20, s[16:17], 0x0
	s_waitcnt lgkmcnt(0)
	s_sub_i32 s11, s11, s20
	s_cmp_eq_u32 s11, 1
	s_cselect_b64 s[16:17], -1, 0
	s_andn2_b64 vcc, exec, s[14:15]
	s_cbranch_vccnz .LBB911_3
.LBB911_2:
	s_mov_b32 s9, 0
	s_mov_b64 s[16:17], -1
.LBB911_3:
	s_andn2_b64 vcc, exec, s[16:17]
	s_cbranch_vccnz .LBB911_599
; %bb.4:
	s_load_dwordx2 s[16:17], s[4:5], 0x28
	s_lshl_b64 s[14:15], s[8:9], 2
	s_waitcnt lgkmcnt(0)
	s_add_u32 s16, s16, s14
	s_addc_u32 s17, s17, s15
	s_load_dword s33, s[16:17], 0x0
	s_lshl_b32 s20, s26, 8
	s_waitcnt lgkmcnt(0)
	s_cmp_ge_i32 s20, s33
	s_cbranch_scc1 .LBB911_599
; %bb.5:
	s_add_i32 s18, s33, 15
	s_load_dwordx2 s[16:17], s[4:5], 0x20
	s_load_dword s11, s[4:5], 0x38
	s_ashr_i32 s19, s18, 31
	v_and_b32_e32 v1, 0xcf, v0
	s_lshr_b32 s19, s19, 28
	v_add_u32_e32 v1, s20, v1
	s_add_i32 s18, s18, s19
	v_ashrrev_i32_e32 v2, 31, v1
	s_ashr_i32 s23, s18, 4
	v_lshrrev_b32_e32 v4, 28, v2
	s_add_i32 s23, s23, -1
	v_add_u32_e32 v2, v1, v4
	s_waitcnt lgkmcnt(0)
	s_mul_i32 s18, s8, s11
	s_mov_b32 s19, 0
	v_ashrrev_i32_e32 v2, 4, v2
	v_mov_b32_e32 v5, s23
	v_cmp_gt_i32_e32 vcc, s33, v1
	s_lshl_b64 s[18:19], s[18:19], 2
	v_cndmask_b32_e32 v2, v5, v2, vcc
	s_add_u32 s21, s16, s18
	v_ashrrev_i32_e32 v3, 31, v2
	s_addc_u32 s22, s17, s19
	v_lshlrev_b64 v[2:3], 2, v[2:3]
	v_mov_b32_e32 v7, s22
	v_add_co_u32_e32 v6, vcc, s21, v2
	v_or_b32_e32 v2, 16, v1
	v_addc_co_u32_e32 v7, vcc, v7, v3, vcc
	v_add_u32_e32 v3, v2, v4
	v_ashrrev_i32_e32 v3, 4, v3
	v_cmp_gt_i32_e32 vcc, s33, v2
	v_cndmask_b32_e32 v2, v5, v3, vcc
	v_ashrrev_i32_e32 v3, 31, v2
	v_lshlrev_b64 v[2:3], 2, v[2:3]
	v_mov_b32_e32 v9, s22
	v_add_co_u32_e32 v8, vcc, s21, v2
	v_or_b32_e32 v2, 32, v1
	v_addc_co_u32_e32 v9, vcc, v9, v3, vcc
	v_add_u32_e32 v3, v2, v4
	v_ashrrev_i32_e32 v3, 4, v3
	v_cmp_gt_i32_e32 vcc, s33, v2
	v_cndmask_b32_e32 v2, v5, v3, vcc
	v_ashrrev_i32_e32 v3, 31, v2
	v_lshlrev_b64 v[2:3], 2, v[2:3]
	v_mov_b32_e32 v11, s22
	v_add_co_u32_e32 v10, vcc, s21, v2
	v_or_b32_e32 v1, 48, v1
	v_addc_co_u32_e32 v11, vcc, v11, v3, vcc
	v_add_u32_e32 v2, v1, v4
	v_ashrrev_i32_e32 v2, 4, v2
	v_cmp_gt_i32_e32 vcc, s33, v1
	v_cndmask_b32_e32 v2, v5, v2, vcc
	v_ashrrev_i32_e32 v3, 31, v2
	v_lshlrev_b64 v[2:3], 2, v[2:3]
	v_mov_b32_e32 v1, s22
	v_add_co_u32_e32 v12, vcc, s21, v2
	v_addc_co_u32_e32 v13, vcc, v1, v3, vcc
	global_load_dword v5, v[6:7], off
	global_load_dword v4, v[8:9], off
	;; [unrolled: 1-line block ×4, first 2 shown]
	s_load_dwordx2 s[16:17], s[4:5], 0x8
	s_andn2_b64 vcc, exec, s[12:13]
	s_cbranch_vccnz .LBB911_8
; %bb.6:
	s_add_u32 s6, s6, s14
	s_addc_u32 s7, s7, s15
	s_load_dword s11, s[6:7], 0x0
	s_branch .LBB911_9
.LBB911_7:
	s_mov_b64 s[16:17], 0
	s_branch .LBB911_2
.LBB911_8:
	s_mov_b32 s11, s8
.LBB911_9:
	s_load_dwordx2 s[6:7], s[4:5], 0x10
	s_load_dwordx4 s[12:15], s[4:5], 0x48
	v_lshrrev_b32_e32 v27, 6, v0
	v_bfe_u32 v39, v0, 4, 2
	v_and_b32_e32 v41, 15, v0
	v_lshl_or_b32 v6, v27, 2, v39
	v_lshlrev_b32_e32 v1, 3, v41
	s_lshl_b32 s27, s10, 1
	v_cmp_gt_u32_e32 vcc, 2, v6
	v_lshlrev_b32_e32 v1, 1, v1
	v_lshlrev_b32_e32 v43, 4, v0
	s_and_saveexec_b64 s[18:19], vcc
	s_cbranch_execz .LBB911_11
; %bb.10:
	s_load_dwordx2 s[24:25], s[4:5], 0x0
	s_waitcnt lgkmcnt(0)
	s_ashr_i32 s15, s12, 31
	s_mul_hi_u32 s28, s11, s12
	s_mul_i32 s15, s11, s15
	s_add_i32 s29, s28, s15
	s_mul_i32 s28, s11, s12
	s_lshl_b64 s[28:29], s[28:29], 1
	v_add_lshl_u32 v8, v39, s27, 7
	s_add_u32 s11, s24, s28
	v_ashrrev_i32_e32 v9, 31, v8
	s_addc_u32 s12, s25, s29
	v_lshlrev_b64 v[8:9], 1, v[8:9]
	v_mov_b32_e32 v7, s12
	v_add_co_u32_e32 v8, vcc, s11, v8
	v_addc_co_u32_e32 v7, vcc, v7, v9, vcc
	v_add_co_u32_e32 v8, vcc, v8, v1
	v_addc_co_u32_e32 v9, vcc, 0, v7, vcc
	global_load_dwordx4 v[8:11], v[8:9], off
	v_lshlrev_b32_e32 v12, 8, v0
	v_lshlrev_b32_e32 v7, 8, v41
	v_and_b32_e32 v12, 0x600, v12
	s_movk_i32 s11, 0x800
	v_and_or_b32 v7, v7, s11, v12
	v_lshlrev_b32_e32 v6, 5, v6
	v_and_b32_e32 v12, 16, v43
	v_or3_b32 v6, v7, v6, v12
	s_waitcnt vmcnt(0)
	ds_write_b128 v6, v[8:11]
.LBB911_11:
	s_or_b64 exec, exec, s[18:19]
	s_waitcnt lgkmcnt(0)
	s_mul_i32 s14, s10, s14
	s_add_u32 s10, s16, s14
	s_addc_u32 s11, s17, 0
	v_and_b32_e32 v6, 0xf0, v43
	v_mov_b32_e32 v7, s11
	v_add_co_u32_e32 v6, vcc, s10, v6
	v_and_b32_e32 v18, 48, v0
	v_addc_co_u32_e32 v7, vcc, 0, v7, vcc
	v_lshlrev_b32_e32 v10, 4, v18
	s_waitcnt vmcnt(3)
	v_mad_i64_i32 v[8:9], s[10:11], v5, s13, v[6:7]
	v_add_co_u32_e32 v8, vcc, v8, v10
	v_addc_co_u32_e32 v9, vcc, 0, v9, vcc
	s_waitcnt vmcnt(2)
	v_mad_i64_i32 v[4:5], s[10:11], v4, s13, v[6:7]
	v_add_co_u32_e32 v4, vcc, v4, v10
	v_addc_co_u32_e32 v5, vcc, 0, v5, vcc
	s_load_dwordx2 s[48:49], s[4:5], 0x94
	s_waitcnt lgkmcnt(0)
	s_barrier
	global_load_dwordx4 v[20:23], v[8:9], off
	global_load_dwordx4 v[28:31], v[8:9], off offset:1024
	global_load_dwordx4 v[32:35], v[4:5], off
	global_load_dwordx4 v[44:47], v[4:5], off offset:1024
	s_waitcnt vmcnt(5)
	v_mad_i64_i32 v[4:5], s[10:11], v3, s13, v[6:7]
	v_add_co_u32_e32 v4, vcc, v4, v10
	v_addc_co_u32_e32 v5, vcc, 0, v5, vcc
	s_waitcnt vmcnt(4)
	v_mad_i64_i32 v[2:3], s[10:11], v2, s13, v[6:7]
	v_add_co_u32_e32 v2, vcc, v2, v10
	v_addc_co_u32_e32 v3, vcc, 0, v3, vcc
	global_load_dwordx4 v[48:51], v[4:5], off
	global_load_dwordx4 v[52:55], v[4:5], off offset:1024
	global_load_dwordx4 v[56:59], v[2:3], off
	global_load_dwordx4 v[60:63], v[2:3], off offset:1024
	v_and_b32_e32 v2, 1, v0
	v_lshlrev_b32_e32 v2, 5, v2
	v_lshl_or_b32 v14, v39, 9, v2
	s_load_dwordx2 s[50:51], s[4:5], 0x68
	s_load_dwordx4 s[44:47], s[4:5], 0x58
	ds_read_b128 v[2:5], v14
	ds_read_b128 v[6:9], v14 offset:16
	ds_read_b128 v[10:13], v14 offset:2048
	;; [unrolled: 1-line block ×3, first 2 shown]
	s_mov_b32 s12, 0
	v_cmp_gt_u32_e32 vcc, 2, v41
	s_waitcnt vmcnt(7)
	buffer_store_dword v23, off, s[0:3], 0 offset:12
	buffer_store_dword v22, off, s[0:3], 0 offset:8
	;; [unrolled: 1-line block ×3, first 2 shown]
	buffer_store_dword v20, off, s[0:3], 0
	s_waitcnt vmcnt(10)
	buffer_store_dword v31, off, s[0:3], 0 offset:28
	buffer_store_dword v30, off, s[0:3], 0 offset:24
	buffer_store_dword v29, off, s[0:3], 0 offset:20
	buffer_store_dword v28, off, s[0:3], 0 offset:16
	s_waitcnt vmcnt(13)
	buffer_store_dword v35, off, s[0:3], 0 offset:44
	buffer_store_dword v34, off, s[0:3], 0 offset:40
	buffer_store_dword v33, off, s[0:3], 0 offset:36
	buffer_store_dword v32, off, s[0:3], 0 offset:32
	;; [unrolled: 5-line block ×7, first 2 shown]
	v_mov_b32_e32 v33, 0
	v_mov_b32_e32 v31, 0
	s_and_saveexec_b64 s[10:11], vcc
	s_cbranch_execz .LBB911_13
; %bb.12:
	s_load_dwordx2 s[16:17], s[4:5], 0x40
	v_or_b32_e32 v20, s27, v41
	v_ashrrev_i32_e32 v21, 31, v20
	v_lshlrev_b64 v[20:21], 2, v[20:21]
	s_waitcnt lgkmcnt(0)
	v_mov_b32_e32 v19, s17
	v_add_co_u32_e32 v20, vcc, s16, v20
	v_addc_co_u32_e32 v21, vcc, v19, v21, vcc
	global_load_dword v31, v[20:21], off
.LBB911_13:
	s_or_b64 exec, exec, s[10:11]
	v_or_b32_e32 v22, s20, v18
	v_ashrrev_i32_e32 v18, 4, v22
	v_mov_b32_e32 v23, s23
	v_cmp_gt_i32_e32 vcc, s33, v22
	v_cndmask_b32_e32 v18, v23, v18, vcc
	v_ashrrev_i32_e32 v19, 31, v18
	v_lshlrev_b64 v[18:19], 2, v[18:19]
	v_mov_b32_e32 v20, s22
	v_add_co_u32_e32 v18, vcc, s21, v18
	v_addc_co_u32_e32 v19, vcc, v20, v19, vcc
	global_load_dword v26, v[18:19], off
	v_or_b32_e32 v18, 64, v22
	v_ashrrev_i32_e32 v19, 4, v18
	v_cmp_gt_i32_e32 vcc, s33, v18
	v_cndmask_b32_e32 v18, v23, v19, vcc
	v_ashrrev_i32_e32 v19, 31, v18
	v_lshlrev_b64 v[18:19], 2, v[18:19]
	v_add_co_u32_e32 v18, vcc, s21, v18
	v_addc_co_u32_e32 v19, vcc, v20, v19, vcc
	v_or_b32_e32 v20, 0x80, v22
	v_ashrrev_i32_e32 v21, 4, v20
	v_cmp_gt_i32_e32 vcc, s33, v20
	v_cndmask_b32_e32 v20, v23, v21, vcc
	v_ashrrev_i32_e32 v21, 31, v20
	v_lshlrev_b64 v[20:21], 2, v[20:21]
	v_mov_b32_e32 v24, s22
	v_add_co_u32_e32 v20, vcc, s21, v20
	v_addc_co_u32_e32 v21, vcc, v24, v21, vcc
	global_load_dword v28, v[18:19], off
	global_load_dword v30, v[20:21], off
	v_or_b32_e32 v18, 0xc0, v22
	v_ashrrev_i32_e32 v19, 4, v18
	v_cmp_gt_i32_e32 vcc, s33, v18
	v_cndmask_b32_e32 v18, v23, v19, vcc
	v_ashrrev_i32_e32 v19, 31, v18
	v_lshlrev_b64 v[18:19], 2, v[18:19]
	v_mov_b32_e32 v20, s22
	v_add_co_u32_e32 v18, vcc, s21, v18
	v_addc_co_u32_e32 v19, vcc, v20, v19, vcc
	global_load_dword v32, v[18:19], off
	s_add_u32 s10, s6, s14
	v_lshl_or_b32 v29, v27, 4, v41
	s_addc_u32 s6, s7, 0
	v_lshlrev_b32_e32 v18, 4, v29
	v_mov_b32_e32 v19, s6
	v_add_co_u32_e32 v22, vcc, s10, v18
	v_addc_co_u32_e32 v23, vcc, 0, v19, vcc
	v_or_b32_e32 v24, 0x400, v18
	v_mov_b32_e32 v25, s6
	v_add_co_u32_e32 v24, vcc, s10, v24
	v_addc_co_u32_e32 v25, vcc, 0, v25, vcc
	v_and_b32_e32 v45, 63, v0
	s_movk_i32 s14, 0x7f
	s_mov_b32 s15, 0xffffff
	s_mov_b32 s16, 0x5040100
	v_mov_b32_e32 v36, 0x100
	v_bfrev_b32_e32 v37, 60
	s_waitcnt vmcnt(3)
	v_mad_i64_i32 v[18:19], s[6:7], v26, s13, v[22:23]
	global_load_dwordx4 v[18:21], v[18:19], off
	v_mad_i64_i32 v[34:35], s[6:7], v26, s13, v[24:25]
	global_load_dwordx4 v[54:57], v[34:35], off
	s_waitcnt vmcnt(4)
	v_mad_i64_i32 v[34:35], s[6:7], v28, s13, v[22:23]
	global_load_dwordx4 v[58:61], v[34:35], off
	s_waitcnt vmcnt(4)
	v_mad_i64_i32 v[34:35], s[6:7], v30, s13, v[22:23]
	global_load_dwordx4 v[62:65], v[34:35], off
	s_waitcnt vmcnt(4)
	v_mad_i64_i32 v[22:23], s[6:7], v32, s13, v[22:23]
	global_load_dwordx4 v[66:69], v[22:23], off
	v_mad_i64_i32 v[22:23], s[6:7], v28, s13, v[24:25]
	global_load_dwordx4 v[70:73], v[22:23], off
	v_mad_i64_i32 v[22:23], s[6:7], v30, s13, v[24:25]
	global_load_dwordx4 v[74:77], v[22:23], off
	v_mad_i64_i32 v[22:23], s[6:7], v32, s13, v[24:25]
	global_load_dwordx4 v[78:81], v[22:23], off
	s_load_dword s6, s[4:5], 0x1c
	s_load_dwordx4 s[40:43], s[4:5], 0x80
	v_mov_b32_e32 v22, 0x80
	v_add_u32_e32 v47, 16, v22
	v_add_u32_e32 v46, 32, v22
	;; [unrolled: 1-line block ×3, first 2 shown]
	s_waitcnt lgkmcnt(0)
	s_load_dword s4, s[40:41], 0x0
	v_add_u32_e32 v52, 64, v22
	v_add_u32_e32 v49, 0x50, v22
	;; [unrolled: 1-line block ×4, first 2 shown]
	v_mov_b32_e32 v22, s6
	s_waitcnt lgkmcnt(0)
	v_mul_f32_e32 v22, s4, v22
	s_movk_i32 s13, 0x80
	v_mov_b32_e32 v35, 0
	v_mov_b32_e32 v24, v22
	;; [unrolled: 1-line block ×3, first 2 shown]
	s_waitcnt vmcnt(7)
	buffer_store_dword v21, off, s[0:3], 0 offset:140
	buffer_store_dword v20, off, s[0:3], 0 offset:136
	buffer_store_dword v19, off, s[0:3], 0 offset:132
	buffer_store_dword v18, off, s[0:3], 0 offset:128
	s_waitcnt vmcnt(10)
	buffer_store_dword v57, off, s[0:3], 0 offset:156
	buffer_store_dword v56, off, s[0:3], 0 offset:152
	buffer_store_dword v55, off, s[0:3], 0 offset:148
	buffer_store_dword v54, off, s[0:3], 0 offset:144
	;; [unrolled: 5-line block ×8, first 2 shown]
	s_branch .LBB911_17
.LBB911_14:                             ;   in Loop: Header=BB911_17 Depth=1
	s_or_b64 exec, exec, s[10:11]
.LBB911_15:                             ;   in Loop: Header=BB911_17 Depth=1
	s_or_b64 exec, exec, s[6:7]
.LBB911_16:                             ;   in Loop: Header=BB911_17 Depth=1
	s_or_b64 exec, exec, s[4:5]
	v_perm_b32 v55, v38, v34, s16
	v_perm_b32 v54, v23, v32, s16
	v_add_u32_e32 v26, s12, v36
	s_add_i32 s12, s12, 16
	v_mov_b32_e32 v23, v22
	v_mfma_f32_16x16x16bf16_1k v[18:21], v[54:55], v[14:15], v[18:21]
	v_perm_b32 v55, v44, v42, s16
	v_perm_b32 v54, v30, v40, s16
	s_cmp_eq_u32 s12, 64
	v_add_u32_e32 v35, 32, v35
	v_mfma_f32_16x16x16bf16_1k v[18:21], v[54:55], v[16:17], v[18:21]
	s_nop 7
	s_nop 2
	v_pk_mul_f32 v[18:19], v[24:25], v[18:19]
	v_pk_mul_f32 v[20:21], v[22:23], v[20:21]
	buffer_store_dword v19, v26, s[0:3], 0 offen offset:4
	buffer_store_dword v18, v26, s[0:3], 0 offen
	buffer_store_dword v21, v26, s[0:3], 0 offen offset:12
	buffer_store_dword v20, v26, s[0:3], 0 offen offset:8
	s_cbranch_scc1 .LBB911_207
.LBB911_17:                             ; =>This Inner Loop Header: Depth=1
	buffer_load_dword v20, v35, s[0:3], 0 offen
	buffer_load_dword v18, v35, s[0:3], 0 offen offset:4
	buffer_load_dword v28, v35, s[0:3], 0 offen offset:8
	;; [unrolled: 1-line block ×3, first 2 shown]
	v_mov_b32_e32 v19, 0
	v_mov_b32_e32 v21, 0
	s_waitcnt vmcnt(3)
	v_cmp_ne_u16_sdwa s[6:7], v20, v33 src0_sel:BYTE_0 src1_sel:DWORD
	s_and_saveexec_b64 s[4:5], s[6:7]
	s_cbranch_execz .LBB911_23
; %bb.18:                               ;   in Loop: Header=BB911_17 Depth=1
	v_cmp_ne_u16_sdwa s[10:11], v20, s13 src0_sel:BYTE_0 src1_sel:DWORD
	v_mov_b32_e32 v21, 0xffff8000
	s_and_saveexec_b64 s[6:7], s[10:11]
	s_cbranch_execz .LBB911_22
; %bb.19:                               ;   in Loop: Header=BB911_17 Depth=1
	v_and_b32_e32 v23, 0x7f, v20
	v_cmp_ne_u32_e32 vcc, s14, v23
	v_mov_b32_e32 v21, 0x7f80
	s_and_saveexec_b64 s[10:11], vcc
	s_cbranch_execz .LBB911_21
; %bb.20:                               ;   in Loop: Header=BB911_17 Depth=1
	v_and_b32_e32 v21, 7, v20
	v_ffbh_u32_e32 v32, v21
	v_min_u32_e32 v32, 32, v32
	v_subrev_u32_e32 v34, 28, v32
	v_lshlrev_b64 v[54:55], v34, v[20:21]
	v_lshrrev_b32_e32 v30, 3, v23
	v_sub_u32_e32 v32, 29, v32
	v_and_b32_e32 v34, 7, v54
	v_cmp_gt_u32_e32 vcc, 8, v23
	v_cndmask_b32_e32 v23, v30, v32, vcc
	v_cndmask_b32_e32 v21, v21, v34, vcc
	v_lshlrev_b32_e32 v30, 24, v20
	v_lshlrev_b32_e32 v21, 20, v21
	v_and_b32_e32 v30, 0x80000000, v30
	v_lshl_add_u32 v23, v23, 23, v37
	v_or3_b32 v21, v30, v23, v21
	v_lshrrev_b32_e32 v21, 16, v21
.LBB911_21:                             ;   in Loop: Header=BB911_17 Depth=1
	s_or_b64 exec, exec, s[10:11]
.LBB911_22:                             ;   in Loop: Header=BB911_17 Depth=1
	s_or_b64 exec, exec, s[6:7]
.LBB911_23:                             ;   in Loop: Header=BB911_17 Depth=1
	s_or_b64 exec, exec, s[4:5]
	v_lshrrev_b16_e32 v30, 8, v20
	v_cmp_ne_u16_e32 vcc, 0, v30
	s_and_saveexec_b64 s[4:5], vcc
	s_cbranch_execz .LBB911_29
; %bb.24:                               ;   in Loop: Header=BB911_17 Depth=1
	v_cmp_ne_u16_e32 vcc, s13, v30
	v_mov_b32_e32 v19, 0xffff8000
	s_and_saveexec_b64 s[6:7], vcc
	s_cbranch_execz .LBB911_28
; %bb.25:                               ;   in Loop: Header=BB911_17 Depth=1
	v_and_b32_e32 v23, 0x7f, v30
	v_cmp_ne_u32_e32 vcc, s14, v23
	v_mov_b32_e32 v19, 0x7f80
	s_and_saveexec_b64 s[10:11], vcc
	s_cbranch_execz .LBB911_27
; %bb.26:                               ;   in Loop: Header=BB911_17 Depth=1
	v_and_b32_e32 v19, 7, v30
	v_ffbh_u32_e32 v34, v19
	v_min_u32_e32 v34, 32, v34
	v_subrev_u32_e32 v38, 28, v34
	v_lshlrev_b64 v[54:55], v38, v[30:31]
	v_lshrrev_b32_e32 v32, 3, v23
	v_sub_u32_e32 v30, 29, v34
	v_and_b32_e32 v34, 7, v54
	v_cmp_gt_u32_e32 vcc, 8, v23
	v_cndmask_b32_e32 v23, v32, v30, vcc
	v_cndmask_b32_e32 v19, v19, v34, vcc
	v_lshlrev_b32_e32 v30, 16, v20
	v_lshlrev_b32_e32 v19, 20, v19
	v_and_b32_e32 v30, 0x80000000, v30
	v_lshl_add_u32 v23, v23, 23, v37
	v_or3_b32 v19, v30, v23, v19
	v_lshrrev_b32_e32 v19, 16, v19
.LBB911_27:                             ;   in Loop: Header=BB911_17 Depth=1
	s_or_b64 exec, exec, s[10:11]
.LBB911_28:                             ;   in Loop: Header=BB911_17 Depth=1
	s_or_b64 exec, exec, s[6:7]
.LBB911_29:                             ;   in Loop: Header=BB911_17 Depth=1
	s_or_b64 exec, exec, s[4:5]
	v_lshrrev_b32_e32 v30, 16, v20
	v_cmp_ne_u16_sdwa s[6:7], v30, v33 src0_sel:BYTE_0 src1_sel:DWORD
	v_mov_b32_e32 v32, 0
	v_mov_b32_e32 v23, 0
	s_and_saveexec_b64 s[4:5], s[6:7]
	s_cbranch_execz .LBB911_35
; %bb.30:                               ;   in Loop: Header=BB911_17 Depth=1
	v_cmp_ne_u16_sdwa s[10:11], v30, s13 src0_sel:BYTE_0 src1_sel:DWORD
	v_mov_b32_e32 v23, 0xffff8000
	s_and_saveexec_b64 s[6:7], s[10:11]
	s_cbranch_execz .LBB911_34
; %bb.31:                               ;   in Loop: Header=BB911_17 Depth=1
	v_bfe_u32 v34, v20, 16, 7
	v_cmp_ne_u32_e32 vcc, s14, v34
	v_mov_b32_e32 v23, 0x7f80
	s_and_saveexec_b64 s[10:11], vcc
	s_cbranch_execz .LBB911_33
; %bb.32:                               ;   in Loop: Header=BB911_17 Depth=1
	v_and_b32_e32 v23, 7, v30
	v_ffbh_u32_e32 v40, v23
	v_min_u32_e32 v40, 32, v40
	v_subrev_u32_e32 v42, 28, v40
	v_lshlrev_b64 v[54:55], v42, v[30:31]
	v_lshrrev_b32_e32 v38, 3, v34
	v_sub_u32_e32 v40, 29, v40
	v_and_b32_e32 v42, 7, v54
	v_cmp_gt_u32_e32 vcc, 8, v34
	v_cndmask_b32_e32 v34, v38, v40, vcc
	v_cndmask_b32_e32 v23, v23, v42, vcc
	v_lshlrev_b32_e32 v30, 24, v30
	v_lshlrev_b32_e32 v23, 20, v23
	v_and_b32_e32 v30, 0x80000000, v30
	v_lshl_add_u32 v34, v34, 23, v37
	v_or3_b32 v23, v30, v34, v23
	v_lshrrev_b32_e32 v23, 16, v23
.LBB911_33:                             ;   in Loop: Header=BB911_17 Depth=1
	s_or_b64 exec, exec, s[10:11]
.LBB911_34:                             ;   in Loop: Header=BB911_17 Depth=1
	s_or_b64 exec, exec, s[6:7]
.LBB911_35:                             ;   in Loop: Header=BB911_17 Depth=1
	s_or_b64 exec, exec, s[4:5]
	v_cmp_lt_u32_e32 vcc, s15, v20
	s_and_saveexec_b64 s[4:5], vcc
	s_cbranch_execz .LBB911_41
; %bb.36:                               ;   in Loop: Header=BB911_17 Depth=1
	v_lshrrev_b32_e32 v30, 24, v20
	v_cmp_ne_u32_e32 vcc, s13, v30
	v_mov_b32_e32 v32, 0xffff8000
	s_and_saveexec_b64 s[6:7], vcc
	s_cbranch_execz .LBB911_40
; %bb.37:                               ;   in Loop: Header=BB911_17 Depth=1
	v_bfe_u32 v20, v20, 24, 7
	v_cmp_ne_u32_e32 vcc, s14, v20
	v_mov_b32_e32 v32, 0x7f80
	s_and_saveexec_b64 s[10:11], vcc
	s_cbranch_execz .LBB911_39
; %bb.38:                               ;   in Loop: Header=BB911_17 Depth=1
	v_and_b32_e32 v32, 7, v30
	v_ffbh_u32_e32 v38, v32
	v_min_u32_e32 v38, 32, v38
	v_subrev_u32_e32 v40, 28, v38
	v_lshlrev_b64 v[54:55], v40, v[30:31]
	v_lshrrev_b32_e32 v34, 3, v20
	v_sub_u32_e32 v38, 29, v38
	v_and_b32_e32 v40, 7, v54
	v_cmp_gt_u32_e32 vcc, 8, v20
	v_cndmask_b32_e32 v20, v34, v38, vcc
	v_cndmask_b32_e32 v32, v32, v40, vcc
	v_lshlrev_b32_e32 v30, 24, v30
	v_lshlrev_b32_e32 v32, 20, v32
	v_and_b32_e32 v30, 0x80000000, v30
	v_lshl_add_u32 v20, v20, 23, v37
	v_or3_b32 v20, v30, v20, v32
	v_lshrrev_b32_e32 v32, 16, v20
.LBB911_39:                             ;   in Loop: Header=BB911_17 Depth=1
	s_or_b64 exec, exec, s[10:11]
.LBB911_40:                             ;   in Loop: Header=BB911_17 Depth=1
	s_or_b64 exec, exec, s[6:7]
.LBB911_41:                             ;   in Loop: Header=BB911_17 Depth=1
	s_or_b64 exec, exec, s[4:5]
	s_waitcnt vmcnt(2)
	v_cmp_ne_u16_sdwa s[6:7], v18, v33 src0_sel:BYTE_0 src1_sel:DWORD
	v_mov_b32_e32 v30, 0
	v_mov_b32_e32 v34, 0
	s_and_saveexec_b64 s[4:5], s[6:7]
	s_cbranch_execz .LBB911_47
; %bb.42:                               ;   in Loop: Header=BB911_17 Depth=1
	v_cmp_ne_u16_sdwa s[10:11], v18, s13 src0_sel:BYTE_0 src1_sel:DWORD
	v_mov_b32_e32 v34, 0xffff8000
	s_and_saveexec_b64 s[6:7], s[10:11]
	s_cbranch_execz .LBB911_46
; %bb.43:                               ;   in Loop: Header=BB911_17 Depth=1
	v_and_b32_e32 v20, 0x7f, v18
	v_cmp_ne_u32_e32 vcc, s14, v20
	v_mov_b32_e32 v34, 0x7f80
	s_and_saveexec_b64 s[10:11], vcc
	s_cbranch_execz .LBB911_45
; %bb.44:                               ;   in Loop: Header=BB911_17 Depth=1
	v_and_b32_e32 v34, 7, v18
	v_ffbh_u32_e32 v40, v34
	v_min_u32_e32 v40, 32, v40
	v_subrev_u32_e32 v42, 28, v40
	v_lshlrev_b64 v[54:55], v42, v[18:19]
	v_lshrrev_b32_e32 v38, 3, v20
	v_sub_u32_e32 v40, 29, v40
	v_and_b32_e32 v42, 7, v54
	v_cmp_gt_u32_e32 vcc, 8, v20
	v_cndmask_b32_e32 v20, v38, v40, vcc
	v_cndmask_b32_e32 v34, v34, v42, vcc
	v_lshlrev_b32_e32 v38, 24, v18
	v_lshlrev_b32_e32 v34, 20, v34
	v_and_b32_e32 v38, 0x80000000, v38
	v_lshl_add_u32 v20, v20, 23, v37
	v_or3_b32 v20, v38, v20, v34
	v_lshrrev_b32_e32 v34, 16, v20
.LBB911_45:                             ;   in Loop: Header=BB911_17 Depth=1
	s_or_b64 exec, exec, s[10:11]
.LBB911_46:                             ;   in Loop: Header=BB911_17 Depth=1
	s_or_b64 exec, exec, s[6:7]
.LBB911_47:                             ;   in Loop: Header=BB911_17 Depth=1
	s_or_b64 exec, exec, s[4:5]
	v_lshrrev_b16_e32 v20, 8, v18
	v_cmp_ne_u16_e32 vcc, 0, v20
	s_and_saveexec_b64 s[4:5], vcc
	s_cbranch_execz .LBB911_53
; %bb.48:                               ;   in Loop: Header=BB911_17 Depth=1
	v_cmp_ne_u16_e32 vcc, s13, v20
	v_mov_b32_e32 v30, 0xffff8000
	s_and_saveexec_b64 s[6:7], vcc
	s_cbranch_execz .LBB911_52
; %bb.49:                               ;   in Loop: Header=BB911_17 Depth=1
	v_and_b32_e32 v38, 0x7f, v20
	v_cmp_ne_u32_e32 vcc, s14, v38
	v_mov_b32_e32 v30, 0x7f80
	s_and_saveexec_b64 s[10:11], vcc
	s_cbranch_execz .LBB911_51
; %bb.50:                               ;   in Loop: Header=BB911_17 Depth=1
	v_and_b32_e32 v30, 7, v20
	v_ffbh_u32_e32 v42, v30
	v_min_u32_e32 v42, 32, v42
	v_subrev_u32_e32 v44, 28, v42
	v_lshlrev_b64 v[54:55], v44, v[20:21]
	v_lshrrev_b32_e32 v40, 3, v38
	v_sub_u32_e32 v20, 29, v42
	v_and_b32_e32 v42, 7, v54
	v_cmp_gt_u32_e32 vcc, 8, v38
	v_cndmask_b32_e32 v20, v40, v20, vcc
	v_cndmask_b32_e32 v30, v30, v42, vcc
	v_lshlrev_b32_e32 v38, 16, v18
	v_lshlrev_b32_e32 v30, 20, v30
	v_and_b32_e32 v38, 0x80000000, v38
	v_lshl_add_u32 v20, v20, 23, v37
	v_or3_b32 v20, v38, v20, v30
	v_lshrrev_b32_e32 v30, 16, v20
.LBB911_51:                             ;   in Loop: Header=BB911_17 Depth=1
	s_or_b64 exec, exec, s[10:11]
.LBB911_52:                             ;   in Loop: Header=BB911_17 Depth=1
	s_or_b64 exec, exec, s[6:7]
.LBB911_53:                             ;   in Loop: Header=BB911_17 Depth=1
	s_or_b64 exec, exec, s[4:5]
	v_lshrrev_b32_e32 v20, 16, v18
	v_cmp_ne_u16_sdwa s[6:7], v20, v33 src0_sel:BYTE_0 src1_sel:DWORD
	v_mov_b32_e32 v40, 0
	v_mov_b32_e32 v38, 0
	s_and_saveexec_b64 s[4:5], s[6:7]
	s_cbranch_execz .LBB911_59
; %bb.54:                               ;   in Loop: Header=BB911_17 Depth=1
	v_cmp_ne_u16_sdwa s[10:11], v20, s13 src0_sel:BYTE_0 src1_sel:DWORD
	v_mov_b32_e32 v38, 0xffff8000
	s_and_saveexec_b64 s[6:7], s[10:11]
	s_cbranch_execz .LBB911_58
; %bb.55:                               ;   in Loop: Header=BB911_17 Depth=1
	v_bfe_u32 v42, v18, 16, 7
	v_cmp_ne_u32_e32 vcc, s14, v42
	v_mov_b32_e32 v38, 0x7f80
	s_and_saveexec_b64 s[10:11], vcc
	s_cbranch_execz .LBB911_57
; %bb.56:                               ;   in Loop: Header=BB911_17 Depth=1
	v_and_b32_e32 v38, 7, v20
	v_ffbh_u32_e32 v53, v38
	v_min_u32_e32 v53, 32, v53
	v_subrev_u32_e32 v54, 28, v53
	v_lshlrev_b64 v[54:55], v54, v[20:21]
	v_lshrrev_b32_e32 v44, 3, v42
	v_sub_u32_e32 v53, 29, v53
	v_and_b32_e32 v54, 7, v54
	v_cmp_gt_u32_e32 vcc, 8, v42
	v_cndmask_b32_e32 v42, v44, v53, vcc
	v_cndmask_b32_e32 v38, v38, v54, vcc
	v_lshlrev_b32_e32 v20, 24, v20
	v_lshlrev_b32_e32 v38, 20, v38
	v_and_b32_e32 v20, 0x80000000, v20
	v_lshl_add_u32 v42, v42, 23, v37
	v_or3_b32 v20, v20, v42, v38
	v_lshrrev_b32_e32 v38, 16, v20
.LBB911_57:                             ;   in Loop: Header=BB911_17 Depth=1
	s_or_b64 exec, exec, s[10:11]
.LBB911_58:                             ;   in Loop: Header=BB911_17 Depth=1
	s_or_b64 exec, exec, s[6:7]
.LBB911_59:                             ;   in Loop: Header=BB911_17 Depth=1
	s_or_b64 exec, exec, s[4:5]
	v_cmp_lt_u32_e32 vcc, s15, v18
	s_and_saveexec_b64 s[4:5], vcc
	s_cbranch_execz .LBB911_65
; %bb.60:                               ;   in Loop: Header=BB911_17 Depth=1
	v_lshrrev_b32_e32 v20, 24, v18
	v_cmp_ne_u32_e32 vcc, s13, v20
	v_mov_b32_e32 v40, 0xffff8000
	s_and_saveexec_b64 s[6:7], vcc
	s_cbranch_execz .LBB911_64
; %bb.61:                               ;   in Loop: Header=BB911_17 Depth=1
	v_bfe_u32 v18, v18, 24, 7
	v_cmp_ne_u32_e32 vcc, s14, v18
	v_mov_b32_e32 v40, 0x7f80
	s_and_saveexec_b64 s[10:11], vcc
	s_cbranch_execz .LBB911_63
; %bb.62:                               ;   in Loop: Header=BB911_17 Depth=1
	v_and_b32_e32 v40, 7, v20
	v_ffbh_u32_e32 v44, v40
	v_min_u32_e32 v44, 32, v44
	v_subrev_u32_e32 v53, 28, v44
	v_lshlrev_b64 v[54:55], v53, v[20:21]
	v_lshrrev_b32_e32 v42, 3, v18
	v_sub_u32_e32 v44, 29, v44
	v_and_b32_e32 v53, 7, v54
	v_cmp_gt_u32_e32 vcc, 8, v18
	v_cndmask_b32_e32 v18, v42, v44, vcc
	v_cndmask_b32_e32 v40, v40, v53, vcc
	v_lshlrev_b32_e32 v20, 24, v20
	v_lshlrev_b32_e32 v40, 20, v40
	v_and_b32_e32 v20, 0x80000000, v20
	v_lshl_add_u32 v18, v18, 23, v37
	v_or3_b32 v18, v20, v18, v40
	v_lshrrev_b32_e32 v40, 16, v18
.LBB911_63:                             ;   in Loop: Header=BB911_17 Depth=1
	s_or_b64 exec, exec, s[10:11]
.LBB911_64:                             ;   in Loop: Header=BB911_17 Depth=1
	s_or_b64 exec, exec, s[6:7]
.LBB911_65:                             ;   in Loop: Header=BB911_17 Depth=1
	s_or_b64 exec, exec, s[4:5]
	v_perm_b32 v55, v32, v23, s16
	v_perm_b32 v54, v19, v21, s16
	s_waitcnt vmcnt(1)
	v_cmp_ne_u16_sdwa s[6:7], v28, v33 src0_sel:BYTE_0 src1_sel:DWORD
	v_mov_b32_e32 v23, 0
	v_mov_b32_e32 v32, 0
	v_mfma_f32_16x16x16bf16_1k v[18:21], v[54:55], v[2:3], 0
	v_perm_b32 v55, v40, v38, s16
	v_perm_b32 v54, v30, v34, s16
	s_nop 1
	v_mfma_f32_16x16x16bf16_1k v[18:21], v[54:55], v[4:5], v[18:21]
	s_and_saveexec_b64 s[4:5], s[6:7]
	s_cbranch_execz .LBB911_71
; %bb.66:                               ;   in Loop: Header=BB911_17 Depth=1
	v_cmp_ne_u16_sdwa s[10:11], v28, s13 src0_sel:BYTE_0 src1_sel:DWORD
	v_mov_b32_e32 v32, 0xffff8000
	s_and_saveexec_b64 s[6:7], s[10:11]
	s_cbranch_execz .LBB911_70
; %bb.67:                               ;   in Loop: Header=BB911_17 Depth=1
	v_and_b32_e32 v30, 0x7f, v28
	v_cmp_ne_u32_e32 vcc, s14, v30
	v_mov_b32_e32 v32, 0x7f80
	s_and_saveexec_b64 s[10:11], vcc
	s_cbranch_execz .LBB911_69
; %bb.68:                               ;   in Loop: Header=BB911_17 Depth=1
	v_and_b32_e32 v32, 7, v28
	v_ffbh_u32_e32 v38, v32
	v_min_u32_e32 v38, 32, v38
	v_subrev_u32_e32 v40, 28, v38
	v_lshlrev_b64 v[54:55], v40, v[28:29]
	v_lshrrev_b32_e32 v34, 3, v30
	v_sub_u32_e32 v38, 29, v38
	v_and_b32_e32 v40, 7, v54
	v_cmp_gt_u32_e32 vcc, 8, v30
	v_cndmask_b32_e32 v30, v34, v38, vcc
	v_cndmask_b32_e32 v32, v32, v40, vcc
	v_lshlrev_b32_e32 v34, 24, v28
	v_lshlrev_b32_e32 v32, 20, v32
	v_and_b32_e32 v34, 0x80000000, v34
	v_lshl_add_u32 v30, v30, 23, v37
	v_or3_b32 v30, v34, v30, v32
	v_lshrrev_b32_e32 v32, 16, v30
.LBB911_69:                             ;   in Loop: Header=BB911_17 Depth=1
	s_or_b64 exec, exec, s[10:11]
.LBB911_70:                             ;   in Loop: Header=BB911_17 Depth=1
	s_or_b64 exec, exec, s[6:7]
.LBB911_71:                             ;   in Loop: Header=BB911_17 Depth=1
	s_or_b64 exec, exec, s[4:5]
	v_lshrrev_b16_e32 v30, 8, v28
	v_cmp_ne_u16_e32 vcc, 0, v30
	s_and_saveexec_b64 s[4:5], vcc
	s_cbranch_execz .LBB911_77
; %bb.72:                               ;   in Loop: Header=BB911_17 Depth=1
	v_cmp_ne_u16_e32 vcc, s13, v30
	v_mov_b32_e32 v23, 0xffff8000
	s_and_saveexec_b64 s[6:7], vcc
	s_cbranch_execz .LBB911_76
; %bb.73:                               ;   in Loop: Header=BB911_17 Depth=1
	v_and_b32_e32 v34, 0x7f, v30
	v_cmp_ne_u32_e32 vcc, s14, v34
	v_mov_b32_e32 v23, 0x7f80
	s_and_saveexec_b64 s[10:11], vcc
	s_cbranch_execz .LBB911_75
; %bb.74:                               ;   in Loop: Header=BB911_17 Depth=1
	v_and_b32_e32 v23, 7, v30
	v_ffbh_u32_e32 v40, v23
	v_min_u32_e32 v40, 32, v40
	v_subrev_u32_e32 v42, 28, v40
	v_lshlrev_b64 v[54:55], v42, v[30:31]
	v_lshrrev_b32_e32 v38, 3, v34
	v_sub_u32_e32 v30, 29, v40
	v_and_b32_e32 v40, 7, v54
	v_cmp_gt_u32_e32 vcc, 8, v34
	v_cndmask_b32_e32 v30, v38, v30, vcc
	v_cndmask_b32_e32 v23, v23, v40, vcc
	v_lshlrev_b32_e32 v34, 16, v28
	v_lshlrev_b32_e32 v23, 20, v23
	v_and_b32_e32 v34, 0x80000000, v34
	v_lshl_add_u32 v30, v30, 23, v37
	v_or3_b32 v23, v34, v30, v23
	v_lshrrev_b32_e32 v23, 16, v23
.LBB911_75:                             ;   in Loop: Header=BB911_17 Depth=1
	s_or_b64 exec, exec, s[10:11]
.LBB911_76:                             ;   in Loop: Header=BB911_17 Depth=1
	s_or_b64 exec, exec, s[6:7]
.LBB911_77:                             ;   in Loop: Header=BB911_17 Depth=1
	s_or_b64 exec, exec, s[4:5]
	v_lshrrev_b32_e32 v30, 16, v28
	v_cmp_ne_u16_sdwa s[6:7], v30, v33 src0_sel:BYTE_0 src1_sel:DWORD
	v_mov_b32_e32 v38, 0
	v_mov_b32_e32 v34, 0
	s_and_saveexec_b64 s[4:5], s[6:7]
	s_cbranch_execz .LBB911_83
; %bb.78:                               ;   in Loop: Header=BB911_17 Depth=1
	v_cmp_ne_u16_sdwa s[10:11], v30, s13 src0_sel:BYTE_0 src1_sel:DWORD
	v_mov_b32_e32 v34, 0xffff8000
	s_and_saveexec_b64 s[6:7], s[10:11]
	s_cbranch_execz .LBB911_82
; %bb.79:                               ;   in Loop: Header=BB911_17 Depth=1
	v_bfe_u32 v40, v28, 16, 7
	v_cmp_ne_u32_e32 vcc, s14, v40
	v_mov_b32_e32 v34, 0x7f80
	s_and_saveexec_b64 s[10:11], vcc
	s_cbranch_execz .LBB911_81
; %bb.80:                               ;   in Loop: Header=BB911_17 Depth=1
	v_and_b32_e32 v34, 7, v30
	v_ffbh_u32_e32 v44, v34
	v_min_u32_e32 v44, 32, v44
	v_subrev_u32_e32 v53, 28, v44
	v_lshlrev_b64 v[54:55], v53, v[30:31]
	v_lshrrev_b32_e32 v42, 3, v40
	v_sub_u32_e32 v44, 29, v44
	v_and_b32_e32 v53, 7, v54
	v_cmp_gt_u32_e32 vcc, 8, v40
	v_cndmask_b32_e32 v40, v42, v44, vcc
	v_cndmask_b32_e32 v34, v34, v53, vcc
	v_lshlrev_b32_e32 v30, 24, v30
	v_lshlrev_b32_e32 v34, 20, v34
	v_and_b32_e32 v30, 0x80000000, v30
	v_lshl_add_u32 v40, v40, 23, v37
	v_or3_b32 v30, v30, v40, v34
	v_lshrrev_b32_e32 v34, 16, v30
.LBB911_81:                             ;   in Loop: Header=BB911_17 Depth=1
	s_or_b64 exec, exec, s[10:11]
.LBB911_82:                             ;   in Loop: Header=BB911_17 Depth=1
	s_or_b64 exec, exec, s[6:7]
.LBB911_83:                             ;   in Loop: Header=BB911_17 Depth=1
	s_or_b64 exec, exec, s[4:5]
	v_cmp_lt_u32_e32 vcc, s15, v28
	s_and_saveexec_b64 s[4:5], vcc
	s_cbranch_execz .LBB911_89
; %bb.84:                               ;   in Loop: Header=BB911_17 Depth=1
	v_lshrrev_b32_e32 v30, 24, v28
	v_cmp_ne_u32_e32 vcc, s13, v30
	v_mov_b32_e32 v38, 0xffff8000
	s_and_saveexec_b64 s[6:7], vcc
	s_cbranch_execz .LBB911_88
; %bb.85:                               ;   in Loop: Header=BB911_17 Depth=1
	v_bfe_u32 v28, v28, 24, 7
	v_cmp_ne_u32_e32 vcc, s14, v28
	v_mov_b32_e32 v38, 0x7f80
	s_and_saveexec_b64 s[10:11], vcc
	s_cbranch_execz .LBB911_87
; %bb.86:                               ;   in Loop: Header=BB911_17 Depth=1
	v_and_b32_e32 v38, 7, v30
	v_ffbh_u32_e32 v42, v38
	v_min_u32_e32 v42, 32, v42
	v_subrev_u32_e32 v44, 28, v42
	v_lshlrev_b64 v[54:55], v44, v[30:31]
	v_lshrrev_b32_e32 v40, 3, v28
	v_sub_u32_e32 v42, 29, v42
	v_and_b32_e32 v44, 7, v54
	v_cmp_gt_u32_e32 vcc, 8, v28
	v_cndmask_b32_e32 v28, v40, v42, vcc
	v_cndmask_b32_e32 v38, v38, v44, vcc
	v_lshlrev_b32_e32 v30, 24, v30
	v_lshlrev_b32_e32 v38, 20, v38
	v_and_b32_e32 v30, 0x80000000, v30
	v_lshl_add_u32 v28, v28, 23, v37
	v_or3_b32 v28, v30, v28, v38
	v_lshrrev_b32_e32 v38, 16, v28
.LBB911_87:                             ;   in Loop: Header=BB911_17 Depth=1
	s_or_b64 exec, exec, s[10:11]
.LBB911_88:                             ;   in Loop: Header=BB911_17 Depth=1
	s_or_b64 exec, exec, s[6:7]
.LBB911_89:                             ;   in Loop: Header=BB911_17 Depth=1
	s_or_b64 exec, exec, s[4:5]
	s_waitcnt vmcnt(0)
	v_cmp_ne_u16_sdwa s[6:7], v26, v33 src0_sel:BYTE_0 src1_sel:DWORD
	v_mov_b32_e32 v40, 0
	v_mov_b32_e32 v42, 0
	s_and_saveexec_b64 s[4:5], s[6:7]
	s_cbranch_execz .LBB911_95
; %bb.90:                               ;   in Loop: Header=BB911_17 Depth=1
	v_cmp_ne_u16_sdwa s[10:11], v26, s13 src0_sel:BYTE_0 src1_sel:DWORD
	v_mov_b32_e32 v42, 0xffff8000
	s_and_saveexec_b64 s[6:7], s[10:11]
	s_cbranch_execz .LBB911_94
; %bb.91:                               ;   in Loop: Header=BB911_17 Depth=1
	v_and_b32_e32 v28, 0x7f, v26
	v_cmp_ne_u32_e32 vcc, s14, v28
	v_mov_b32_e32 v42, 0x7f80
	s_and_saveexec_b64 s[10:11], vcc
	s_cbranch_execz .LBB911_93
; %bb.92:                               ;   in Loop: Header=BB911_17 Depth=1
	v_and_b32_e32 v30, 7, v26
	v_ffbh_u32_e32 v44, v30
	v_min_u32_e32 v44, 32, v44
	v_subrev_u32_e32 v53, 28, v44
	v_lshlrev_b64 v[54:55], v53, v[26:27]
	v_lshrrev_b32_e32 v42, 3, v28
	v_sub_u32_e32 v44, 29, v44
	v_and_b32_e32 v53, 7, v54
	v_cmp_gt_u32_e32 vcc, 8, v28
	v_cndmask_b32_e32 v28, v42, v44, vcc
	v_cndmask_b32_e32 v30, v30, v53, vcc
	v_lshlrev_b32_e32 v42, 24, v26
	v_lshlrev_b32_e32 v30, 20, v30
	v_and_b32_e32 v42, 0x80000000, v42
	v_lshl_add_u32 v28, v28, 23, v37
	v_or3_b32 v28, v42, v28, v30
	v_lshrrev_b32_e32 v42, 16, v28
.LBB911_93:                             ;   in Loop: Header=BB911_17 Depth=1
	s_or_b64 exec, exec, s[10:11]
.LBB911_94:                             ;   in Loop: Header=BB911_17 Depth=1
	s_or_b64 exec, exec, s[6:7]
.LBB911_95:                             ;   in Loop: Header=BB911_17 Depth=1
	s_or_b64 exec, exec, s[4:5]
	v_lshrrev_b16_e32 v28, 8, v26
	v_cmp_ne_u16_e32 vcc, 0, v28
	s_and_saveexec_b64 s[4:5], vcc
	s_cbranch_execz .LBB911_101
; %bb.96:                               ;   in Loop: Header=BB911_17 Depth=1
	v_cmp_ne_u16_e32 vcc, s13, v28
	v_mov_b32_e32 v40, 0xffff8000
	s_and_saveexec_b64 s[6:7], vcc
	s_cbranch_execz .LBB911_100
; %bb.97:                               ;   in Loop: Header=BB911_17 Depth=1
	v_and_b32_e32 v30, 0x7f, v28
	v_cmp_ne_u32_e32 vcc, s14, v30
	v_mov_b32_e32 v40, 0x7f80
	s_and_saveexec_b64 s[10:11], vcc
	s_cbranch_execz .LBB911_99
; %bb.98:                               ;   in Loop: Header=BB911_17 Depth=1
	v_and_b32_e32 v40, 7, v28
	v_ffbh_u32_e32 v53, v40
	v_min_u32_e32 v53, 32, v53
	v_subrev_u32_e32 v54, 28, v53
	v_lshlrev_b64 v[54:55], v54, v[28:29]
	v_lshrrev_b32_e32 v44, 3, v30
	v_sub_u32_e32 v28, 29, v53
	v_and_b32_e32 v53, 7, v54
	v_cmp_gt_u32_e32 vcc, 8, v30
	v_cndmask_b32_e32 v28, v44, v28, vcc
	v_cndmask_b32_e32 v30, v40, v53, vcc
	v_lshlrev_b32_e32 v40, 16, v26
	v_lshlrev_b32_e32 v30, 20, v30
	v_and_b32_e32 v40, 0x80000000, v40
	v_lshl_add_u32 v28, v28, 23, v37
	v_or3_b32 v28, v40, v28, v30
	v_lshrrev_b32_e32 v40, 16, v28
.LBB911_99:                             ;   in Loop: Header=BB911_17 Depth=1
	s_or_b64 exec, exec, s[10:11]
.LBB911_100:                            ;   in Loop: Header=BB911_17 Depth=1
	s_or_b64 exec, exec, s[6:7]
.LBB911_101:                            ;   in Loop: Header=BB911_17 Depth=1
	s_or_b64 exec, exec, s[4:5]
	v_lshrrev_b32_e32 v28, 16, v26
	v_cmp_ne_u16_sdwa s[6:7], v28, v33 src0_sel:BYTE_0 src1_sel:DWORD
	v_mov_b32_e32 v53, 0
	v_mov_b32_e32 v44, 0
	s_and_saveexec_b64 s[4:5], s[6:7]
	s_cbranch_execz .LBB911_107
; %bb.102:                              ;   in Loop: Header=BB911_17 Depth=1
	v_cmp_ne_u16_sdwa s[10:11], v28, s13 src0_sel:BYTE_0 src1_sel:DWORD
	v_mov_b32_e32 v44, 0xffff8000
	s_and_saveexec_b64 s[6:7], s[10:11]
	s_cbranch_execz .LBB911_106
; %bb.103:                              ;   in Loop: Header=BB911_17 Depth=1
	v_bfe_u32 v30, v26, 16, 7
	v_cmp_ne_u32_e32 vcc, s14, v30
	v_mov_b32_e32 v44, 0x7f80
	s_and_saveexec_b64 s[10:11], vcc
	s_cbranch_execz .LBB911_105
; %bb.104:                              ;   in Loop: Header=BB911_17 Depth=1
	v_and_b32_e32 v44, 7, v28
	v_ffbh_u32_e32 v54, v44
	v_min_u32_e32 v57, 32, v54
	v_subrev_u32_e32 v54, 28, v57
	v_lshlrev_b64 v[54:55], v54, v[28:29]
	v_lshrrev_b32_e32 v56, 3, v30
	v_sub_u32_e32 v55, 29, v57
	v_and_b32_e32 v54, 7, v54
	v_cmp_gt_u32_e32 vcc, 8, v30
	v_cndmask_b32_e32 v30, v56, v55, vcc
	v_cndmask_b32_e32 v44, v44, v54, vcc
	v_lshlrev_b32_e32 v28, 24, v28
	v_lshlrev_b32_e32 v44, 20, v44
	v_and_b32_e32 v28, 0x80000000, v28
	v_lshl_add_u32 v30, v30, 23, v37
	v_or3_b32 v28, v28, v30, v44
	v_lshrrev_b32_e32 v44, 16, v28
.LBB911_105:                            ;   in Loop: Header=BB911_17 Depth=1
	s_or_b64 exec, exec, s[10:11]
.LBB911_106:                            ;   in Loop: Header=BB911_17 Depth=1
	s_or_b64 exec, exec, s[6:7]
.LBB911_107:                            ;   in Loop: Header=BB911_17 Depth=1
	s_or_b64 exec, exec, s[4:5]
	v_cmp_lt_u32_e32 vcc, s15, v26
	s_and_saveexec_b64 s[4:5], vcc
	s_cbranch_execz .LBB911_113
; %bb.108:                              ;   in Loop: Header=BB911_17 Depth=1
	v_lshrrev_b32_e32 v28, 24, v26
	v_cmp_ne_u32_e32 vcc, s13, v28
	v_mov_b32_e32 v53, 0xffff8000
	s_and_saveexec_b64 s[6:7], vcc
	s_cbranch_execz .LBB911_112
; %bb.109:                              ;   in Loop: Header=BB911_17 Depth=1
	v_bfe_u32 v26, v26, 24, 7
	v_cmp_ne_u32_e32 vcc, s14, v26
	v_mov_b32_e32 v53, 0x7f80
	s_and_saveexec_b64 s[10:11], vcc
	s_cbranch_execz .LBB911_111
; %bb.110:                              ;   in Loop: Header=BB911_17 Depth=1
	v_and_b32_e32 v30, 7, v28
	v_ffbh_u32_e32 v54, v30
	v_min_u32_e32 v56, 32, v54
	v_subrev_u32_e32 v54, 28, v56
	v_lshlrev_b64 v[54:55], v54, v[28:29]
	v_lshrrev_b32_e32 v53, 3, v26
	v_sub_u32_e32 v55, 29, v56
	v_and_b32_e32 v54, 7, v54
	v_cmp_gt_u32_e32 vcc, 8, v26
	v_cndmask_b32_e32 v26, v53, v55, vcc
	v_cndmask_b32_e32 v30, v30, v54, vcc
	v_lshlrev_b32_e32 v28, 24, v28
	v_lshlrev_b32_e32 v30, 20, v30
	v_and_b32_e32 v28, 0x80000000, v28
	v_lshl_add_u32 v26, v26, 23, v37
	v_or3_b32 v26, v28, v26, v30
	v_lshrrev_b32_e32 v53, 16, v26
.LBB911_111:                            ;   in Loop: Header=BB911_17 Depth=1
	s_or_b64 exec, exec, s[10:11]
.LBB911_112:                            ;   in Loop: Header=BB911_17 Depth=1
	s_or_b64 exec, exec, s[6:7]
.LBB911_113:                            ;   in Loop: Header=BB911_17 Depth=1
	s_or_b64 exec, exec, s[4:5]
	v_perm_b32 v54, v23, v32, s16
	buffer_load_dword v32, v35, s[0:3], 0 offen offset:16
	buffer_load_dword v30, v35, s[0:3], 0 offen offset:20
	;; [unrolled: 1-line block ×4, first 2 shown]
	v_perm_b32 v55, v38, v34, s16
	v_mov_b32_e32 v23, 0
	v_mov_b32_e32 v38, 0
	v_mfma_f32_16x16x16bf16_1k v[18:21], v[54:55], v[6:7], v[18:21]
	v_perm_b32 v55, v53, v44, s16
	v_perm_b32 v54, v40, v42, s16
	s_waitcnt vmcnt(3)
	v_cmp_ne_u16_sdwa s[6:7], v32, v33 src0_sel:BYTE_0 src1_sel:DWORD
	v_mfma_f32_16x16x16bf16_1k v[18:21], v[54:55], v[8:9], v[18:21]
	s_and_saveexec_b64 s[4:5], s[6:7]
	s_cbranch_execz .LBB911_119
; %bb.114:                              ;   in Loop: Header=BB911_17 Depth=1
	v_cmp_ne_u16_sdwa s[10:11], v32, s13 src0_sel:BYTE_0 src1_sel:DWORD
	v_mov_b32_e32 v38, 0xffff8000
	s_and_saveexec_b64 s[6:7], s[10:11]
	s_cbranch_execz .LBB911_118
; %bb.115:                              ;   in Loop: Header=BB911_17 Depth=1
	v_and_b32_e32 v34, 0x7f, v32
	v_cmp_ne_u32_e32 vcc, s14, v34
	v_mov_b32_e32 v38, 0x7f80
	s_and_saveexec_b64 s[10:11], vcc
	s_cbranch_execz .LBB911_117
; %bb.116:                              ;   in Loop: Header=BB911_17 Depth=1
	v_and_b32_e32 v38, 7, v32
	v_ffbh_u32_e32 v42, v38
	v_min_u32_e32 v42, 32, v42
	v_subrev_u32_e32 v44, 28, v42
	v_lshlrev_b64 v[54:55], v44, v[32:33]
	v_lshrrev_b32_e32 v40, 3, v34
	v_sub_u32_e32 v42, 29, v42
	v_and_b32_e32 v44, 7, v54
	v_cmp_gt_u32_e32 vcc, 8, v34
	v_cndmask_b32_e32 v34, v40, v42, vcc
	v_cndmask_b32_e32 v38, v38, v44, vcc
	v_lshlrev_b32_e32 v40, 24, v32
	v_lshlrev_b32_e32 v38, 20, v38
	v_and_b32_e32 v40, 0x80000000, v40
	v_lshl_add_u32 v34, v34, 23, v37
	v_or3_b32 v34, v40, v34, v38
	v_lshrrev_b32_e32 v38, 16, v34
.LBB911_117:                            ;   in Loop: Header=BB911_17 Depth=1
	s_or_b64 exec, exec, s[10:11]
.LBB911_118:                            ;   in Loop: Header=BB911_17 Depth=1
	s_or_b64 exec, exec, s[6:7]
.LBB911_119:                            ;   in Loop: Header=BB911_17 Depth=1
	s_or_b64 exec, exec, s[4:5]
	v_lshrrev_b16_e32 v34, 8, v32
	v_cmp_ne_u16_e32 vcc, 0, v34
	s_and_saveexec_b64 s[4:5], vcc
	s_cbranch_execz .LBB911_125
; %bb.120:                              ;   in Loop: Header=BB911_17 Depth=1
	v_cmp_ne_u16_e32 vcc, s13, v34
	v_mov_b32_e32 v23, 0xffff8000
	s_and_saveexec_b64 s[6:7], vcc
	s_cbranch_execz .LBB911_124
; %bb.121:                              ;   in Loop: Header=BB911_17 Depth=1
	v_and_b32_e32 v40, 0x7f, v34
	v_cmp_ne_u32_e32 vcc, s14, v40
	v_mov_b32_e32 v23, 0x7f80
	s_and_saveexec_b64 s[10:11], vcc
	s_cbranch_execz .LBB911_123
; %bb.122:                              ;   in Loop: Header=BB911_17 Depth=1
	v_and_b32_e32 v23, 7, v34
	v_ffbh_u32_e32 v44, v23
	v_min_u32_e32 v44, 32, v44
	v_subrev_u32_e32 v53, 28, v44
	v_lshlrev_b64 v[54:55], v53, v[34:35]
	v_lshrrev_b32_e32 v42, 3, v40
	v_sub_u32_e32 v34, 29, v44
	v_and_b32_e32 v44, 7, v54
	v_cmp_gt_u32_e32 vcc, 8, v40
	v_cndmask_b32_e32 v34, v42, v34, vcc
	v_cndmask_b32_e32 v23, v23, v44, vcc
	v_lshlrev_b32_e32 v40, 16, v32
	v_lshlrev_b32_e32 v23, 20, v23
	v_and_b32_e32 v40, 0x80000000, v40
	v_lshl_add_u32 v34, v34, 23, v37
	v_or3_b32 v23, v40, v34, v23
	v_lshrrev_b32_e32 v23, 16, v23
.LBB911_123:                            ;   in Loop: Header=BB911_17 Depth=1
	s_or_b64 exec, exec, s[10:11]
.LBB911_124:                            ;   in Loop: Header=BB911_17 Depth=1
	s_or_b64 exec, exec, s[6:7]
.LBB911_125:                            ;   in Loop: Header=BB911_17 Depth=1
	s_or_b64 exec, exec, s[4:5]
	v_lshrrev_b32_e32 v34, 16, v32
	v_cmp_ne_u16_sdwa s[6:7], v34, v33 src0_sel:BYTE_0 src1_sel:DWORD
	v_mov_b32_e32 v42, 0
	v_mov_b32_e32 v40, 0
	s_and_saveexec_b64 s[4:5], s[6:7]
	s_cbranch_execz .LBB911_131
; %bb.126:                              ;   in Loop: Header=BB911_17 Depth=1
	v_cmp_ne_u16_sdwa s[10:11], v34, s13 src0_sel:BYTE_0 src1_sel:DWORD
	v_mov_b32_e32 v40, 0xffff8000
	s_and_saveexec_b64 s[6:7], s[10:11]
	s_cbranch_execz .LBB911_130
; %bb.127:                              ;   in Loop: Header=BB911_17 Depth=1
	v_bfe_u32 v44, v32, 16, 7
	v_cmp_ne_u32_e32 vcc, s14, v44
	v_mov_b32_e32 v40, 0x7f80
	s_and_saveexec_b64 s[10:11], vcc
	s_cbranch_execz .LBB911_129
; %bb.128:                              ;   in Loop: Header=BB911_17 Depth=1
	v_and_b32_e32 v40, 7, v34
	v_ffbh_u32_e32 v54, v40
	v_min_u32_e32 v56, 32, v54
	v_subrev_u32_e32 v54, 28, v56
	v_lshlrev_b64 v[54:55], v54, v[34:35]
	v_lshrrev_b32_e32 v53, 3, v44
	v_sub_u32_e32 v55, 29, v56
	v_and_b32_e32 v54, 7, v54
	v_cmp_gt_u32_e32 vcc, 8, v44
	v_cndmask_b32_e32 v44, v53, v55, vcc
	v_cndmask_b32_e32 v40, v40, v54, vcc
	v_lshlrev_b32_e32 v34, 24, v34
	v_lshlrev_b32_e32 v40, 20, v40
	v_and_b32_e32 v34, 0x80000000, v34
	v_lshl_add_u32 v44, v44, 23, v37
	v_or3_b32 v34, v34, v44, v40
	v_lshrrev_b32_e32 v40, 16, v34
.LBB911_129:                            ;   in Loop: Header=BB911_17 Depth=1
	s_or_b64 exec, exec, s[10:11]
.LBB911_130:                            ;   in Loop: Header=BB911_17 Depth=1
	s_or_b64 exec, exec, s[6:7]
.LBB911_131:                            ;   in Loop: Header=BB911_17 Depth=1
	s_or_b64 exec, exec, s[4:5]
	v_cmp_lt_u32_e32 vcc, s15, v32
	s_and_saveexec_b64 s[4:5], vcc
	s_cbranch_execz .LBB911_137
; %bb.132:                              ;   in Loop: Header=BB911_17 Depth=1
	v_lshrrev_b32_e32 v34, 24, v32
	v_cmp_ne_u32_e32 vcc, s13, v34
	v_mov_b32_e32 v42, 0xffff8000
	s_and_saveexec_b64 s[6:7], vcc
	s_cbranch_execz .LBB911_136
; %bb.133:                              ;   in Loop: Header=BB911_17 Depth=1
	v_bfe_u32 v32, v32, 24, 7
	v_cmp_ne_u32_e32 vcc, s14, v32
	v_mov_b32_e32 v42, 0x7f80
	s_and_saveexec_b64 s[10:11], vcc
	s_cbranch_execz .LBB911_135
; %bb.134:                              ;   in Loop: Header=BB911_17 Depth=1
	v_and_b32_e32 v42, 7, v34
	v_ffbh_u32_e32 v53, v42
	v_min_u32_e32 v53, 32, v53
	v_subrev_u32_e32 v54, 28, v53
	v_lshlrev_b64 v[54:55], v54, v[34:35]
	v_lshrrev_b32_e32 v44, 3, v32
	v_sub_u32_e32 v53, 29, v53
	v_and_b32_e32 v54, 7, v54
	v_cmp_gt_u32_e32 vcc, 8, v32
	v_cndmask_b32_e32 v32, v44, v53, vcc
	v_cndmask_b32_e32 v42, v42, v54, vcc
	v_lshlrev_b32_e32 v34, 24, v34
	v_lshlrev_b32_e32 v42, 20, v42
	v_and_b32_e32 v34, 0x80000000, v34
	v_lshl_add_u32 v32, v32, 23, v37
	v_or3_b32 v32, v34, v32, v42
	v_lshrrev_b32_e32 v42, 16, v32
.LBB911_135:                            ;   in Loop: Header=BB911_17 Depth=1
	s_or_b64 exec, exec, s[10:11]
.LBB911_136:                            ;   in Loop: Header=BB911_17 Depth=1
	s_or_b64 exec, exec, s[6:7]
.LBB911_137:                            ;   in Loop: Header=BB911_17 Depth=1
	s_or_b64 exec, exec, s[4:5]
	s_waitcnt vmcnt(2)
	v_cmp_ne_u16_sdwa s[6:7], v30, v33 src0_sel:BYTE_0 src1_sel:DWORD
	v_mov_b32_e32 v34, 0
	v_mov_b32_e32 v44, 0
	s_and_saveexec_b64 s[4:5], s[6:7]
	s_cbranch_execz .LBB911_143
; %bb.138:                              ;   in Loop: Header=BB911_17 Depth=1
	v_cmp_ne_u16_sdwa s[10:11], v30, s13 src0_sel:BYTE_0 src1_sel:DWORD
	v_mov_b32_e32 v44, 0xffff8000
	s_and_saveexec_b64 s[6:7], s[10:11]
	s_cbranch_execz .LBB911_142
; %bb.139:                              ;   in Loop: Header=BB911_17 Depth=1
	v_and_b32_e32 v32, 0x7f, v30
	v_cmp_ne_u32_e32 vcc, s14, v32
	v_mov_b32_e32 v44, 0x7f80
	s_and_saveexec_b64 s[10:11], vcc
	s_cbranch_execz .LBB911_141
; %bb.140:                              ;   in Loop: Header=BB911_17 Depth=1
	v_and_b32_e32 v44, 7, v30
	v_ffbh_u32_e32 v54, v44
	v_min_u32_e32 v56, 32, v54
	v_subrev_u32_e32 v54, 28, v56
	v_lshlrev_b64 v[54:55], v54, v[30:31]
	v_lshrrev_b32_e32 v53, 3, v32
	v_sub_u32_e32 v55, 29, v56
	v_and_b32_e32 v54, 7, v54
	v_cmp_gt_u32_e32 vcc, 8, v32
	v_cndmask_b32_e32 v32, v53, v55, vcc
	v_cndmask_b32_e32 v44, v44, v54, vcc
	v_lshlrev_b32_e32 v53, 24, v30
	v_lshlrev_b32_e32 v44, 20, v44
	v_and_b32_e32 v53, 0x80000000, v53
	v_lshl_add_u32 v32, v32, 23, v37
	v_or3_b32 v32, v53, v32, v44
	v_lshrrev_b32_e32 v44, 16, v32
.LBB911_141:                            ;   in Loop: Header=BB911_17 Depth=1
	s_or_b64 exec, exec, s[10:11]
.LBB911_142:                            ;   in Loop: Header=BB911_17 Depth=1
	s_or_b64 exec, exec, s[6:7]
.LBB911_143:                            ;   in Loop: Header=BB911_17 Depth=1
	s_or_b64 exec, exec, s[4:5]
	v_lshrrev_b16_e32 v32, 8, v30
	v_cmp_ne_u16_e32 vcc, 0, v32
	s_and_saveexec_b64 s[4:5], vcc
	s_cbranch_execz .LBB911_149
; %bb.144:                              ;   in Loop: Header=BB911_17 Depth=1
	v_cmp_ne_u16_e32 vcc, s13, v32
	v_mov_b32_e32 v34, 0xffff8000
	s_and_saveexec_b64 s[6:7], vcc
	s_cbranch_execz .LBB911_148
; %bb.145:                              ;   in Loop: Header=BB911_17 Depth=1
	v_and_b32_e32 v53, 0x7f, v32
	v_cmp_ne_u32_e32 vcc, s14, v53
	v_mov_b32_e32 v34, 0x7f80
	s_and_saveexec_b64 s[10:11], vcc
	s_cbranch_execz .LBB911_147
; %bb.146:                              ;   in Loop: Header=BB911_17 Depth=1
	v_and_b32_e32 v34, 7, v32
	v_ffbh_u32_e32 v54, v34
	v_min_u32_e32 v57, 32, v54
	v_subrev_u32_e32 v54, 28, v57
	v_lshlrev_b64 v[54:55], v54, v[32:33]
	v_lshrrev_b32_e32 v56, 3, v53
	v_sub_u32_e32 v32, 29, v57
	v_and_b32_e32 v54, 7, v54
	v_cmp_gt_u32_e32 vcc, 8, v53
	v_cndmask_b32_e32 v32, v56, v32, vcc
	v_cndmask_b32_e32 v34, v34, v54, vcc
	v_lshlrev_b32_e32 v53, 16, v30
	v_lshlrev_b32_e32 v34, 20, v34
	v_and_b32_e32 v53, 0x80000000, v53
	v_lshl_add_u32 v32, v32, 23, v37
	v_or3_b32 v32, v53, v32, v34
	v_lshrrev_b32_e32 v34, 16, v32
.LBB911_147:                            ;   in Loop: Header=BB911_17 Depth=1
	s_or_b64 exec, exec, s[10:11]
.LBB911_148:                            ;   in Loop: Header=BB911_17 Depth=1
	s_or_b64 exec, exec, s[6:7]
.LBB911_149:                            ;   in Loop: Header=BB911_17 Depth=1
	s_or_b64 exec, exec, s[4:5]
	v_lshrrev_b32_e32 v32, 16, v30
	v_cmp_ne_u16_sdwa s[6:7], v32, v33 src0_sel:BYTE_0 src1_sel:DWORD
	v_mov_b32_e32 v54, 0
	v_mov_b32_e32 v53, 0
	s_and_saveexec_b64 s[4:5], s[6:7]
	s_cbranch_execz .LBB911_155
; %bb.150:                              ;   in Loop: Header=BB911_17 Depth=1
	v_cmp_ne_u16_sdwa s[10:11], v32, s13 src0_sel:BYTE_0 src1_sel:DWORD
	v_mov_b32_e32 v53, 0xffff8000
	s_and_saveexec_b64 s[6:7], s[10:11]
	s_cbranch_execz .LBB911_154
; %bb.151:                              ;   in Loop: Header=BB911_17 Depth=1
	v_bfe_u32 v55, v30, 16, 7
	v_cmp_ne_u32_e32 vcc, s14, v55
	v_mov_b32_e32 v53, 0x7f80
	s_and_saveexec_b64 s[10:11], vcc
	s_cbranch_execz .LBB911_153
; %bb.152:                              ;   in Loop: Header=BB911_17 Depth=1
	v_and_b32_e32 v53, 7, v32
	v_ffbh_u32_e32 v56, v53
	v_min_u32_e32 v59, 32, v56
	v_subrev_u32_e32 v56, 28, v59
	v_lshlrev_b64 v[56:57], v56, v[32:33]
	v_lshrrev_b32_e32 v58, 3, v55
	v_sub_u32_e32 v57, 29, v59
	v_and_b32_e32 v56, 7, v56
	v_cmp_gt_u32_e32 vcc, 8, v55
	v_cndmask_b32_e32 v55, v58, v57, vcc
	v_cndmask_b32_e32 v53, v53, v56, vcc
	v_lshlrev_b32_e32 v32, 24, v32
	v_lshlrev_b32_e32 v53, 20, v53
	v_and_b32_e32 v32, 0x80000000, v32
	v_lshl_add_u32 v55, v55, 23, v37
	v_or3_b32 v32, v32, v55, v53
	v_lshrrev_b32_e32 v53, 16, v32
.LBB911_153:                            ;   in Loop: Header=BB911_17 Depth=1
	s_or_b64 exec, exec, s[10:11]
.LBB911_154:                            ;   in Loop: Header=BB911_17 Depth=1
	s_or_b64 exec, exec, s[6:7]
.LBB911_155:                            ;   in Loop: Header=BB911_17 Depth=1
	s_or_b64 exec, exec, s[4:5]
	v_cmp_lt_u32_e32 vcc, s15, v30
	s_and_saveexec_b64 s[4:5], vcc
	s_cbranch_execz .LBB911_161
; %bb.156:                              ;   in Loop: Header=BB911_17 Depth=1
	v_lshrrev_b32_e32 v32, 24, v30
	v_cmp_ne_u32_e32 vcc, s13, v32
	v_mov_b32_e32 v54, 0xffff8000
	s_and_saveexec_b64 s[6:7], vcc
	s_cbranch_execz .LBB911_160
; %bb.157:                              ;   in Loop: Header=BB911_17 Depth=1
	v_bfe_u32 v30, v30, 24, 7
	v_cmp_ne_u32_e32 vcc, s14, v30
	v_mov_b32_e32 v54, 0x7f80
	s_and_saveexec_b64 s[10:11], vcc
	s_cbranch_execz .LBB911_159
; %bb.158:                              ;   in Loop: Header=BB911_17 Depth=1
	v_and_b32_e32 v56, 7, v32
	v_ffbh_u32_e32 v54, v56
	v_min_u32_e32 v58, 32, v54
	v_subrev_u32_e32 v54, 28, v58
	v_lshlrev_b64 v[54:55], v54, v[32:33]
	v_lshrrev_b32_e32 v57, 3, v30
	v_sub_u32_e32 v55, 29, v58
	v_and_b32_e32 v54, 7, v54
	v_cmp_gt_u32_e32 vcc, 8, v30
	v_cndmask_b32_e32 v30, v57, v55, vcc
	v_cndmask_b32_e32 v54, v56, v54, vcc
	v_lshlrev_b32_e32 v32, 24, v32
	v_lshlrev_b32_e32 v54, 20, v54
	v_and_b32_e32 v32, 0x80000000, v32
	v_lshl_add_u32 v30, v30, 23, v37
	v_or3_b32 v30, v32, v30, v54
	v_lshrrev_b32_e32 v54, 16, v30
.LBB911_159:                            ;   in Loop: Header=BB911_17 Depth=1
	s_or_b64 exec, exec, s[10:11]
.LBB911_160:                            ;   in Loop: Header=BB911_17 Depth=1
	s_or_b64 exec, exec, s[6:7]
.LBB911_161:                            ;   in Loop: Header=BB911_17 Depth=1
	s_or_b64 exec, exec, s[4:5]
	v_perm_b32 v57, v42, v40, s16
	v_perm_b32 v56, v23, v38, s16
	;; [unrolled: 1-line block ×4, first 2 shown]
	s_waitcnt vmcnt(1)
	v_cmp_ne_u16_sdwa s[6:7], v28, v33 src0_sel:BYTE_0 src1_sel:DWORD
	v_mfma_f32_16x16x16bf16_1k v[18:21], v[56:57], v[10:11], v[18:21]
	v_mov_b32_e32 v23, 0
	v_mov_b32_e32 v32, 0
	v_mfma_f32_16x16x16bf16_1k v[18:21], v[54:55], v[12:13], v[18:21]
	s_and_saveexec_b64 s[4:5], s[6:7]
	s_cbranch_execz .LBB911_167
; %bb.162:                              ;   in Loop: Header=BB911_17 Depth=1
	v_cmp_ne_u16_sdwa s[10:11], v28, s13 src0_sel:BYTE_0 src1_sel:DWORD
	v_mov_b32_e32 v32, 0xffff8000
	s_and_saveexec_b64 s[6:7], s[10:11]
	s_cbranch_execz .LBB911_166
; %bb.163:                              ;   in Loop: Header=BB911_17 Depth=1
	v_and_b32_e32 v30, 0x7f, v28
	v_cmp_ne_u32_e32 vcc, s14, v30
	v_mov_b32_e32 v32, 0x7f80
	s_and_saveexec_b64 s[10:11], vcc
	s_cbranch_execz .LBB911_165
; %bb.164:                              ;   in Loop: Header=BB911_17 Depth=1
	v_and_b32_e32 v32, 7, v28
	v_ffbh_u32_e32 v38, v32
	v_min_u32_e32 v38, 32, v38
	v_subrev_u32_e32 v40, 28, v38
	v_lshlrev_b64 v[54:55], v40, v[28:29]
	v_lshrrev_b32_e32 v34, 3, v30
	v_sub_u32_e32 v38, 29, v38
	v_and_b32_e32 v40, 7, v54
	v_cmp_gt_u32_e32 vcc, 8, v30
	v_cndmask_b32_e32 v30, v34, v38, vcc
	v_cndmask_b32_e32 v32, v32, v40, vcc
	v_lshlrev_b32_e32 v34, 24, v28
	v_lshlrev_b32_e32 v32, 20, v32
	v_and_b32_e32 v34, 0x80000000, v34
	v_lshl_add_u32 v30, v30, 23, v37
	v_or3_b32 v30, v34, v30, v32
	v_lshrrev_b32_e32 v32, 16, v30
.LBB911_165:                            ;   in Loop: Header=BB911_17 Depth=1
	s_or_b64 exec, exec, s[10:11]
.LBB911_166:                            ;   in Loop: Header=BB911_17 Depth=1
	s_or_b64 exec, exec, s[6:7]
.LBB911_167:                            ;   in Loop: Header=BB911_17 Depth=1
	s_or_b64 exec, exec, s[4:5]
	v_lshrrev_b16_e32 v30, 8, v28
	v_cmp_ne_u16_e32 vcc, 0, v30
	s_and_saveexec_b64 s[4:5], vcc
	s_cbranch_execz .LBB911_173
; %bb.168:                              ;   in Loop: Header=BB911_17 Depth=1
	v_cmp_ne_u16_e32 vcc, s13, v30
	v_mov_b32_e32 v23, 0xffff8000
	s_and_saveexec_b64 s[6:7], vcc
	s_cbranch_execz .LBB911_172
; %bb.169:                              ;   in Loop: Header=BB911_17 Depth=1
	v_and_b32_e32 v34, 0x7f, v30
	v_cmp_ne_u32_e32 vcc, s14, v34
	v_mov_b32_e32 v23, 0x7f80
	s_and_saveexec_b64 s[10:11], vcc
	s_cbranch_execz .LBB911_171
; %bb.170:                              ;   in Loop: Header=BB911_17 Depth=1
	v_and_b32_e32 v23, 7, v30
	v_ffbh_u32_e32 v40, v23
	v_min_u32_e32 v40, 32, v40
	v_subrev_u32_e32 v42, 28, v40
	v_lshlrev_b64 v[54:55], v42, v[30:31]
	v_lshrrev_b32_e32 v38, 3, v34
	v_sub_u32_e32 v30, 29, v40
	v_and_b32_e32 v40, 7, v54
	v_cmp_gt_u32_e32 vcc, 8, v34
	v_cndmask_b32_e32 v30, v38, v30, vcc
	v_cndmask_b32_e32 v23, v23, v40, vcc
	v_lshlrev_b32_e32 v34, 16, v28
	v_lshlrev_b32_e32 v23, 20, v23
	v_and_b32_e32 v34, 0x80000000, v34
	v_lshl_add_u32 v30, v30, 23, v37
	v_or3_b32 v23, v34, v30, v23
	v_lshrrev_b32_e32 v23, 16, v23
.LBB911_171:                            ;   in Loop: Header=BB911_17 Depth=1
	s_or_b64 exec, exec, s[10:11]
.LBB911_172:                            ;   in Loop: Header=BB911_17 Depth=1
	s_or_b64 exec, exec, s[6:7]
.LBB911_173:                            ;   in Loop: Header=BB911_17 Depth=1
	s_or_b64 exec, exec, s[4:5]
	v_lshrrev_b32_e32 v30, 16, v28
	v_cmp_ne_u16_sdwa s[6:7], v30, v33 src0_sel:BYTE_0 src1_sel:DWORD
	v_mov_b32_e32 v38, 0
	v_mov_b32_e32 v34, 0
	s_and_saveexec_b64 s[4:5], s[6:7]
	s_cbranch_execz .LBB911_179
; %bb.174:                              ;   in Loop: Header=BB911_17 Depth=1
	v_cmp_ne_u16_sdwa s[10:11], v30, s13 src0_sel:BYTE_0 src1_sel:DWORD
	v_mov_b32_e32 v34, 0xffff8000
	s_and_saveexec_b64 s[6:7], s[10:11]
	s_cbranch_execz .LBB911_178
; %bb.175:                              ;   in Loop: Header=BB911_17 Depth=1
	v_bfe_u32 v40, v28, 16, 7
	v_cmp_ne_u32_e32 vcc, s14, v40
	v_mov_b32_e32 v34, 0x7f80
	s_and_saveexec_b64 s[10:11], vcc
	s_cbranch_execz .LBB911_177
; %bb.176:                              ;   in Loop: Header=BB911_17 Depth=1
	v_and_b32_e32 v34, 7, v30
	v_ffbh_u32_e32 v44, v34
	v_min_u32_e32 v44, 32, v44
	v_subrev_u32_e32 v53, 28, v44
	v_lshlrev_b64 v[54:55], v53, v[30:31]
	v_lshrrev_b32_e32 v42, 3, v40
	v_sub_u32_e32 v44, 29, v44
	v_and_b32_e32 v53, 7, v54
	v_cmp_gt_u32_e32 vcc, 8, v40
	v_cndmask_b32_e32 v40, v42, v44, vcc
	v_cndmask_b32_e32 v34, v34, v53, vcc
	v_lshlrev_b32_e32 v30, 24, v30
	v_lshlrev_b32_e32 v34, 20, v34
	v_and_b32_e32 v30, 0x80000000, v30
	v_lshl_add_u32 v40, v40, 23, v37
	v_or3_b32 v30, v30, v40, v34
	v_lshrrev_b32_e32 v34, 16, v30
.LBB911_177:                            ;   in Loop: Header=BB911_17 Depth=1
	s_or_b64 exec, exec, s[10:11]
.LBB911_178:                            ;   in Loop: Header=BB911_17 Depth=1
	s_or_b64 exec, exec, s[6:7]
.LBB911_179:                            ;   in Loop: Header=BB911_17 Depth=1
	s_or_b64 exec, exec, s[4:5]
	v_cmp_lt_u32_e32 vcc, s15, v28
	s_and_saveexec_b64 s[4:5], vcc
	s_cbranch_execz .LBB911_185
; %bb.180:                              ;   in Loop: Header=BB911_17 Depth=1
	v_lshrrev_b32_e32 v30, 24, v28
	v_cmp_ne_u32_e32 vcc, s13, v30
	v_mov_b32_e32 v38, 0xffff8000
	s_and_saveexec_b64 s[6:7], vcc
	s_cbranch_execz .LBB911_184
; %bb.181:                              ;   in Loop: Header=BB911_17 Depth=1
	v_bfe_u32 v28, v28, 24, 7
	v_cmp_ne_u32_e32 vcc, s14, v28
	v_mov_b32_e32 v38, 0x7f80
	s_and_saveexec_b64 s[10:11], vcc
	s_cbranch_execz .LBB911_183
; %bb.182:                              ;   in Loop: Header=BB911_17 Depth=1
	v_and_b32_e32 v38, 7, v30
	v_ffbh_u32_e32 v42, v38
	v_min_u32_e32 v42, 32, v42
	v_subrev_u32_e32 v44, 28, v42
	v_lshlrev_b64 v[54:55], v44, v[30:31]
	v_lshrrev_b32_e32 v40, 3, v28
	v_sub_u32_e32 v42, 29, v42
	v_and_b32_e32 v44, 7, v54
	v_cmp_gt_u32_e32 vcc, 8, v28
	v_cndmask_b32_e32 v28, v40, v42, vcc
	v_cndmask_b32_e32 v38, v38, v44, vcc
	v_lshlrev_b32_e32 v30, 24, v30
	v_lshlrev_b32_e32 v38, 20, v38
	v_and_b32_e32 v30, 0x80000000, v30
	v_lshl_add_u32 v28, v28, 23, v37
	v_or3_b32 v28, v30, v28, v38
	v_lshrrev_b32_e32 v38, 16, v28
.LBB911_183:                            ;   in Loop: Header=BB911_17 Depth=1
	s_or_b64 exec, exec, s[10:11]
.LBB911_184:                            ;   in Loop: Header=BB911_17 Depth=1
	s_or_b64 exec, exec, s[6:7]
.LBB911_185:                            ;   in Loop: Header=BB911_17 Depth=1
	s_or_b64 exec, exec, s[4:5]
	s_waitcnt vmcnt(0)
	v_cmp_ne_u16_sdwa s[6:7], v26, v33 src0_sel:BYTE_0 src1_sel:DWORD
	v_mov_b32_e32 v30, 0
	v_mov_b32_e32 v40, 0
	s_and_saveexec_b64 s[4:5], s[6:7]
	s_cbranch_execz .LBB911_191
; %bb.186:                              ;   in Loop: Header=BB911_17 Depth=1
	v_cmp_ne_u16_sdwa s[10:11], v26, s13 src0_sel:BYTE_0 src1_sel:DWORD
	v_mov_b32_e32 v40, 0xffff8000
	s_and_saveexec_b64 s[6:7], s[10:11]
	s_cbranch_execz .LBB911_190
; %bb.187:                              ;   in Loop: Header=BB911_17 Depth=1
	v_and_b32_e32 v28, 0x7f, v26
	v_cmp_ne_u32_e32 vcc, s14, v28
	v_mov_b32_e32 v40, 0x7f80
	s_and_saveexec_b64 s[10:11], vcc
	s_cbranch_execz .LBB911_189
; %bb.188:                              ;   in Loop: Header=BB911_17 Depth=1
	v_and_b32_e32 v40, 7, v26
	v_ffbh_u32_e32 v44, v40
	v_min_u32_e32 v44, 32, v44
	v_subrev_u32_e32 v53, 28, v44
	v_lshlrev_b64 v[54:55], v53, v[26:27]
	v_lshrrev_b32_e32 v42, 3, v28
	v_sub_u32_e32 v44, 29, v44
	v_and_b32_e32 v53, 7, v54
	v_cmp_gt_u32_e32 vcc, 8, v28
	v_cndmask_b32_e32 v28, v42, v44, vcc
	v_cndmask_b32_e32 v40, v40, v53, vcc
	v_lshlrev_b32_e32 v42, 24, v26
	v_lshlrev_b32_e32 v40, 20, v40
	v_and_b32_e32 v42, 0x80000000, v42
	v_lshl_add_u32 v28, v28, 23, v37
	v_or3_b32 v28, v42, v28, v40
	v_lshrrev_b32_e32 v40, 16, v28
.LBB911_189:                            ;   in Loop: Header=BB911_17 Depth=1
	s_or_b64 exec, exec, s[10:11]
.LBB911_190:                            ;   in Loop: Header=BB911_17 Depth=1
	s_or_b64 exec, exec, s[6:7]
.LBB911_191:                            ;   in Loop: Header=BB911_17 Depth=1
	s_or_b64 exec, exec, s[4:5]
	v_lshrrev_b16_e32 v28, 8, v26
	v_cmp_ne_u16_e32 vcc, 0, v28
	s_and_saveexec_b64 s[4:5], vcc
	s_cbranch_execz .LBB911_197
; %bb.192:                              ;   in Loop: Header=BB911_17 Depth=1
	v_cmp_ne_u16_e32 vcc, s13, v28
	v_mov_b32_e32 v30, 0xffff8000
	s_and_saveexec_b64 s[6:7], vcc
	s_cbranch_execz .LBB911_196
; %bb.193:                              ;   in Loop: Header=BB911_17 Depth=1
	v_and_b32_e32 v42, 0x7f, v28
	v_cmp_ne_u32_e32 vcc, s14, v42
	v_mov_b32_e32 v30, 0x7f80
	s_and_saveexec_b64 s[10:11], vcc
	s_cbranch_execz .LBB911_195
; %bb.194:                              ;   in Loop: Header=BB911_17 Depth=1
	v_and_b32_e32 v30, 7, v28
	v_ffbh_u32_e32 v53, v30
	v_min_u32_e32 v53, 32, v53
	v_subrev_u32_e32 v54, 28, v53
	v_lshlrev_b64 v[54:55], v54, v[28:29]
	v_lshrrev_b32_e32 v44, 3, v42
	v_sub_u32_e32 v28, 29, v53
	v_and_b32_e32 v53, 7, v54
	v_cmp_gt_u32_e32 vcc, 8, v42
	v_cndmask_b32_e32 v28, v44, v28, vcc
	v_cndmask_b32_e32 v30, v30, v53, vcc
	v_lshlrev_b32_e32 v42, 16, v26
	v_lshlrev_b32_e32 v30, 20, v30
	v_and_b32_e32 v42, 0x80000000, v42
	v_lshl_add_u32 v28, v28, 23, v37
	v_or3_b32 v28, v42, v28, v30
	v_lshrrev_b32_e32 v30, 16, v28
.LBB911_195:                            ;   in Loop: Header=BB911_17 Depth=1
	s_or_b64 exec, exec, s[10:11]
.LBB911_196:                            ;   in Loop: Header=BB911_17 Depth=1
	s_or_b64 exec, exec, s[6:7]
.LBB911_197:                            ;   in Loop: Header=BB911_17 Depth=1
	s_or_b64 exec, exec, s[4:5]
	v_lshrrev_b32_e32 v28, 16, v26
	v_cmp_ne_u16_sdwa s[6:7], v28, v33 src0_sel:BYTE_0 src1_sel:DWORD
	v_mov_b32_e32 v44, 0
	v_mov_b32_e32 v42, 0
	s_and_saveexec_b64 s[4:5], s[6:7]
	s_cbranch_execz .LBB911_203
; %bb.198:                              ;   in Loop: Header=BB911_17 Depth=1
	v_cmp_ne_u16_sdwa s[10:11], v28, s13 src0_sel:BYTE_0 src1_sel:DWORD
	v_mov_b32_e32 v42, 0xffff8000
	s_and_saveexec_b64 s[6:7], s[10:11]
	s_cbranch_execz .LBB911_202
; %bb.199:                              ;   in Loop: Header=BB911_17 Depth=1
	v_bfe_u32 v53, v26, 16, 7
	v_cmp_ne_u32_e32 vcc, s14, v53
	v_mov_b32_e32 v42, 0x7f80
	s_and_saveexec_b64 s[10:11], vcc
	s_cbranch_execz .LBB911_201
; %bb.200:                              ;   in Loop: Header=BB911_17 Depth=1
	v_and_b32_e32 v42, 7, v28
	v_ffbh_u32_e32 v54, v42
	v_min_u32_e32 v57, 32, v54
	v_subrev_u32_e32 v54, 28, v57
	v_lshlrev_b64 v[54:55], v54, v[28:29]
	v_lshrrev_b32_e32 v56, 3, v53
	v_sub_u32_e32 v55, 29, v57
	v_and_b32_e32 v54, 7, v54
	v_cmp_gt_u32_e32 vcc, 8, v53
	v_cndmask_b32_e32 v53, v56, v55, vcc
	v_cndmask_b32_e32 v42, v42, v54, vcc
	v_lshlrev_b32_e32 v28, 24, v28
	v_lshlrev_b32_e32 v42, 20, v42
	v_and_b32_e32 v28, 0x80000000, v28
	v_lshl_add_u32 v53, v53, 23, v37
	v_or3_b32 v28, v28, v53, v42
	v_lshrrev_b32_e32 v42, 16, v28
.LBB911_201:                            ;   in Loop: Header=BB911_17 Depth=1
	s_or_b64 exec, exec, s[10:11]
.LBB911_202:                            ;   in Loop: Header=BB911_17 Depth=1
	s_or_b64 exec, exec, s[6:7]
.LBB911_203:                            ;   in Loop: Header=BB911_17 Depth=1
	s_or_b64 exec, exec, s[4:5]
	v_cmp_lt_u32_e32 vcc, s15, v26
	s_and_saveexec_b64 s[4:5], vcc
	s_cbranch_execz .LBB911_16
; %bb.204:                              ;   in Loop: Header=BB911_17 Depth=1
	v_lshrrev_b32_e32 v28, 24, v26
	v_cmp_ne_u32_e32 vcc, s13, v28
	v_mov_b32_e32 v44, 0xffff8000
	s_and_saveexec_b64 s[6:7], vcc
	s_cbranch_execz .LBB911_15
; %bb.205:                              ;   in Loop: Header=BB911_17 Depth=1
	v_bfe_u32 v26, v26, 24, 7
	v_cmp_ne_u32_e32 vcc, s14, v26
	v_mov_b32_e32 v44, 0x7f80
	s_and_saveexec_b64 s[10:11], vcc
	s_cbranch_execz .LBB911_14
; %bb.206:                              ;   in Loop: Header=BB911_17 Depth=1
	v_and_b32_e32 v44, 7, v28
	v_ffbh_u32_e32 v54, v44
	v_min_u32_e32 v56, 32, v54
	v_subrev_u32_e32 v54, 28, v56
	v_lshlrev_b64 v[54:55], v54, v[28:29]
	v_lshrrev_b32_e32 v53, 3, v26
	v_sub_u32_e32 v55, 29, v56
	v_and_b32_e32 v54, 7, v54
	v_cmp_gt_u32_e32 vcc, 8, v26
	v_cndmask_b32_e32 v26, v53, v55, vcc
	v_cndmask_b32_e32 v44, v44, v54, vcc
	v_lshlrev_b32_e32 v28, 24, v28
	v_lshlrev_b32_e32 v44, 20, v44
	v_and_b32_e32 v28, 0x80000000, v28
	v_lshl_add_u32 v26, v26, 23, v37
	v_or3_b32 v26, v28, v26, v44
	v_lshrrev_b32_e32 v44, 16, v26
	s_branch .LBB911_14
.LBB911_207:
	buffer_load_dword v17, off, s[0:3], 0 offset:256
	buffer_load_dword v16, off, s[0:3], 0 offset:260
	;; [unrolled: 1-line block ×16, first 2 shown]
	v_and_b32_e32 v18, 0xc0, v0
	v_add_u32_e32 v18, s20, v18
	v_lshl_or_b32 v18, v39, 2, v18
	v_or_b32_e32 v20, 1, v18
	v_subrev_u32_e32 v24, s33, v20
	v_add_u32_e32 v26, 1, v24
	v_cvt_f32_i32_e32 v25, v24
	v_add_u32_e32 v28, 2, v24
	v_add_u32_e32 v30, 3, v24
	;; [unrolled: 1-line block ×14, first 2 shown]
	v_cvt_f32_i32_e32 v26, v26
	v_cvt_f32_i32_e32 v28, v28
	;; [unrolled: 1-line block ×4, first 2 shown]
	v_mov_b32_e32 v19, 0xff7fffff
	v_or_b32_e32 v21, 2, v18
	v_or_b32_e32 v22, 3, v18
	v_cvt_f32_i32_e32 v32, v32
	v_cvt_f32_i32_e32 v33, v33
	v_cmp_gt_i32_e64 s[28:29], s33, v18
	v_cmp_gt_i32_e64 s[30:31], s33, v20
	s_mov_b32 s52, 0xff7fffff
	v_cmp_gt_i32_e64 s[34:35], s33, v21
	v_cmp_gt_i32_e64 s[36:37], s33, v22
	v_or_b32_e32 v23, 16, v18
	v_cvt_f32_i32_e32 v34, v34
	v_cvt_f32_i32_e32 v35, v35
	v_cmp_gt_i32_e64 s[24:25], s33, v23
	v_cvt_f32_i32_e32 v36, v36
	v_cvt_f32_i32_e32 v37, v37
	;; [unrolled: 1-line block ×7, first 2 shown]
	s_waitcnt vmcnt(15)
	v_fmac_f32_e32 v17, v31, v25
	s_waitcnt vmcnt(14)
	v_fmac_f32_e32 v16, v31, v26
	;; [unrolled: 2-line block ×4, first 2 shown]
	v_cndmask_b32_e64 v20, v19, v16, s[30:31]
	v_cndmask_b32_e64 v21, v19, v15, s[34:35]
	;; [unrolled: 1-line block ×3, first 2 shown]
	s_waitcnt vmcnt(11)
	v_fmac_f32_e32 v13, v31, v32
	s_waitcnt vmcnt(10)
	v_fmac_f32_e32 v12, v31, v33
	;; [unrolled: 2-line block ×9, first 2 shown]
	v_cndmask_b32_e64 v24, v19, v17, s[28:29]
	v_max3_f32 v20, v24, s52, v20
	v_max3_f32 v20, v20, v21, v22
	v_or_b32_e32 v22, 17, v18
	v_cmp_gt_i32_e64 s[38:39], s33, v22
	v_cndmask_b32_e64 v21, v19, v13, s[24:25]
	v_cndmask_b32_e64 v22, v19, v12, s[38:39]
	v_max3_f32 v20, v20, v21, v22
	v_or_b32_e32 v21, 18, v18
	v_or_b32_e32 v22, 19, v18
	v_cmp_gt_i32_e64 s[20:21], s33, v21
	v_cmp_gt_i32_e64 s[22:23], s33, v22
	v_cndmask_b32_e64 v21, v19, v11, s[20:21]
	v_cndmask_b32_e64 v22, v19, v10, s[22:23]
	v_max3_f32 v20, v20, v21, v22
	v_or_b32_e32 v21, 32, v18
	v_or_b32_e32 v22, 33, v18
	v_cmp_gt_i32_e64 s[16:17], s33, v21
	;; [unrolled: 7-line block ×3, first 2 shown]
	v_cmp_gt_i32_e64 s[14:15], s33, v22
	v_cndmask_b32_e64 v21, v19, v7, s[12:13]
	v_cndmask_b32_e64 v22, v19, v6, s[14:15]
	v_max3_f32 v20, v20, v21, v22
	v_or_b32_e32 v21, 48, v18
	v_or_b32_e32 v22, 49, v18
	v_fmac_f32_e32 v5, v31, v42
	v_fmac_f32_e32 v4, v31, v44
	v_cmp_gt_i32_e64 s[6:7], s33, v21
	v_cmp_gt_i32_e64 s[10:11], s33, v22
	v_cndmask_b32_e64 v21, v19, v5, s[6:7]
	v_cndmask_b32_e64 v22, v19, v4, s[10:11]
	v_max3_f32 v20, v20, v21, v22
	v_or_b32_e32 v21, 50, v18
	v_or_b32_e32 v18, 51, v18
	v_fmac_f32_e32 v3, v31, v53
	v_cmp_gt_i32_e32 vcc, s33, v21
	v_cmp_gt_i32_e64 s[4:5], s33, v18
	v_cndmask_b32_e32 v21, v19, v3, vcc
	v_cndmask_b32_e64 v18, v19, v2, s[4:5]
	v_mbcnt_lo_u32_b32 v19, -1, 0
	v_mbcnt_hi_u32_b32 v19, -1, v19
	v_max3_f32 v18, v20, v21, v18
	v_and_b32_e32 v20, 64, v19
	v_add_u32_e32 v20, 64, v20
	v_xor_b32_e32 v21, 32, v19
	v_cmp_lt_i32_e64 s[40:41], v21, v20
	v_cndmask_b32_e64 v21, v19, v21, s[40:41]
	v_lshlrev_b32_e32 v21, 2, v21
	ds_bpermute_b32 v22, v21, v18
	s_waitcnt lgkmcnt(0)
	v_max_f32_e32 v22, v22, v22
	v_max_f32_e32 v18, v18, v22
	v_xor_b32_e32 v22, 16, v19
	v_cmp_lt_i32_e64 s[40:41], v22, v20
	v_cndmask_b32_e64 v19, v19, v22, s[40:41]
	v_lshlrev_b32_e32 v19, 2, v19
	ds_bpermute_b32 v20, v19, v18
	s_waitcnt lgkmcnt(0)
	v_max_f32_e32 v20, v20, v20
	v_max_f32_e32 v18, v18, v20
	v_sub_f32_e32 v17, v17, v18
	v_mul_f32_e32 v17, 0x3fb8aa3b, v17
	v_sub_f32_e32 v16, v16, v18
	v_exp_f32_e32 v17, v17
	v_mul_f32_e32 v16, 0x3fb8aa3b, v16
	v_sub_f32_e32 v15, v15, v18
	v_exp_f32_e32 v16, v16
	;; [unrolled: 3-line block ×4, first 2 shown]
	v_mul_f32_e32 v13, 0x3fb8aa3b, v13
	v_sub_f32_e32 v12, v12, v18
	v_cndmask_b32_e64 v17, 0, v17, s[28:29]
	v_exp_f32_e32 v13, v13
	v_mul_f32_e32 v12, 0x3fb8aa3b, v12
	v_sub_f32_e32 v11, v11, v18
	v_add_f32_e32 v20, 0, v17
	v_cndmask_b32_e64 v16, 0, v16, s[30:31]
	v_exp_f32_e32 v12, v12
	v_mul_f32_e32 v11, 0x3fb8aa3b, v11
	v_sub_f32_e32 v10, v10, v18
	v_add_f32_e32 v20, v20, v16
	v_cndmask_b32_e64 v15, 0, v15, s[34:35]
	v_exp_f32_e32 v11, v11
	v_mul_f32_e32 v10, 0x3fb8aa3b, v10
	v_sub_f32_e32 v9, v9, v18
	v_add_f32_e32 v20, v20, v15
	v_cndmask_b32_e64 v14, 0, v14, s[36:37]
	v_exp_f32_e32 v10, v10
	v_mul_f32_e32 v9, 0x3fb8aa3b, v9
	v_sub_f32_e32 v8, v8, v18
	v_add_f32_e32 v20, v20, v14
	v_cndmask_b32_e64 v13, 0, v13, s[24:25]
	v_exp_f32_e32 v9, v9
	v_mul_f32_e32 v8, 0x3fb8aa3b, v8
	v_sub_f32_e32 v7, v7, v18
	buffer_store_dword v17, off, s[0:3], 0 offset:256
	buffer_store_dword v16, off, s[0:3], 0 offset:260
	;; [unrolled: 1-line block ×4, first 2 shown]
	v_add_f32_e32 v14, v20, v13
	v_cndmask_b32_e64 v12, 0, v12, s[38:39]
	v_exp_f32_e32 v8, v8
	v_mul_f32_e32 v7, 0x3fb8aa3b, v7
	v_sub_f32_e32 v6, v6, v18
	v_add_f32_e32 v14, v14, v12
	v_cndmask_b32_e64 v11, 0, v11, s[20:21]
	v_exp_f32_e32 v7, v7
	v_mul_f32_e32 v6, 0x3fb8aa3b, v6
	v_sub_f32_e32 v5, v5, v18
	;; [unrolled: 5-line block ×4, first 2 shown]
	buffer_store_dword v13, off, s[0:3], 0 offset:272
	buffer_store_dword v12, off, s[0:3], 0 offset:276
	;; [unrolled: 1-line block ×4, first 2 shown]
	v_add_f32_e32 v10, v14, v9
	v_cndmask_b32_e64 v8, 0, v8, s[18:19]
	v_exp_f32_e32 v4, v4
	v_mul_f32_e32 v3, 0x3fb8aa3b, v3
	v_sub_f32_e32 v2, v2, v18
	v_add_f32_e32 v10, v10, v8
	v_cndmask_b32_e64 v7, 0, v7, s[12:13]
	v_exp_f32_e32 v3, v3
	v_mul_f32_e32 v2, 0x3fb8aa3b, v2
	v_add_f32_e32 v10, v10, v7
	v_cndmask_b32_e64 v6, 0, v6, s[14:15]
	v_exp_f32_e32 v2, v2
	v_add_f32_e32 v10, v10, v6
	v_cndmask_b32_e64 v5, 0, v5, s[6:7]
	buffer_store_dword v9, off, s[0:3], 0 offset:288
	buffer_store_dword v8, off, s[0:3], 0 offset:292
	;; [unrolled: 1-line block ×4, first 2 shown]
	v_add_f32_e32 v6, v10, v5
	v_cndmask_b32_e64 v4, 0, v4, s[10:11]
	v_add_f32_e32 v6, v6, v4
	v_cndmask_b32_e32 v3, 0, v3, vcc
	v_add_f32_e32 v6, v6, v3
	v_cndmask_b32_e64 v2, 0, v2, s[4:5]
	v_add_f32_e32 v6, v6, v2
	ds_bpermute_b32 v7, v21, v6
	buffer_store_dword v5, off, s[0:3], 0 offset:304
	buffer_store_dword v4, off, s[0:3], 0 offset:308
	;; [unrolled: 1-line block ×4, first 2 shown]
	v_cmp_gt_u32_e32 vcc, 16, v45
	s_waitcnt lgkmcnt(0)
	s_barrier
	v_add_f32_e32 v2, v6, v7
	ds_bpermute_b32 v3, v19, v2
	s_waitcnt lgkmcnt(0)
	s_and_saveexec_b64 s[4:5], vcc
	s_cbranch_execz .LBB911_209
; %bb.208:
	v_add_f32_e32 v2, v2, v3
	v_lshlrev_b32_e32 v3, 2, v29
	ds_write2st64_b32 v3, v18, v2 offset1:1
.LBB911_209:
	s_or_b64 exec, exec, s[4:5]
	v_lshlrev_b32_e32 v2, 2, v41
	s_waitcnt lgkmcnt(0)
	s_barrier
	ds_read2_b32 v[14:15], v2 offset1:16
	ds_read2_b32 v[16:17], v2 offset0:32 offset1:48
	ds_read2_b32 v[6:7], v2 offset0:64 offset1:80
	;; [unrolled: 1-line block ×3, first 2 shown]
	s_waitcnt lgkmcnt(0)
	s_barrier
	buffer_load_dword v22, off, s[0:3], 0 offset:264
	buffer_load_dword v23, off, s[0:3], 0 offset:268
	buffer_load_dword v24, off, s[0:3], 0 offset:256
	buffer_load_dword v25, off, s[0:3], 0 offset:260
	buffer_load_dword v10, off, s[0:3], 0 offset:280
	buffer_load_dword v11, off, s[0:3], 0 offset:284
	buffer_load_dword v8, off, s[0:3], 0 offset:272
	buffer_load_dword v9, off, s[0:3], 0 offset:276
	buffer_load_dword v18, off, s[0:3], 0 offset:288
	buffer_load_dword v19, off, s[0:3], 0 offset:292
	buffer_load_dword v28, off, s[0:3], 0 offset:296
	buffer_load_dword v29, off, s[0:3], 0 offset:300
	buffer_load_dword v2, off, s[0:3], 0 offset:304
	buffer_load_dword v3, off, s[0:3], 0 offset:308
	buffer_load_dword v4, off, s[0:3], 0 offset:312
	buffer_load_dword v5, off, s[0:3], 0 offset:316
	v_max3_f32 v20, v14, s52, v15
	v_max3_f32 v20, v20, v16, v17
	v_sub_f32_e32 v14, v14, v20
	v_sub_f32_e32 v15, v15, v20
	v_mul_f32_e32 v14, 0x3fb8aa3b, v14
	v_sub_f32_e32 v16, v16, v20
	v_mul_f32_e32 v15, 0x3fb8aa3b, v15
	v_exp_f32_e32 v14, v14
	v_sub_f32_e32 v17, v17, v20
	v_mul_f32_e32 v16, 0x3fb8aa3b, v16
	v_exp_f32_e32 v15, v15
	v_mul_f32_e32 v17, 0x3fb8aa3b, v17
	v_exp_f32_e32 v16, v16
	v_exp_f32_e32 v17, v17
	v_fma_f32 v6, v14, v6, 0
	v_fmac_f32_e32 v6, v15, v7
	v_fmac_f32_e32 v6, v16, v12
	;; [unrolled: 1-line block ×3, first 2 shown]
	v_cmp_eq_u32_e32 vcc, 1, v27
	v_add_f32_e32 v12, 0x358637bd, v6
	v_cndmask_b32_e32 v14, v14, v15, vcc
	v_cmp_eq_u32_e32 vcc, 2, v27
	v_div_scale_f32 v13, s[4:5], v12, v12, 1.0
	v_cndmask_b32_e32 v7, v14, v16, vcc
	v_rcp_f32_e32 v14, v13
	v_cmp_eq_u32_e32 vcc, 3, v27
	v_cndmask_b32_e32 v7, v7, v17, vcc
	v_div_scale_f32 v15, vcc, 1.0, v12, 1.0
	v_fma_f32 v16, -v13, v14, 1.0
	v_fmac_f32_e32 v14, v16, v14
	v_mul_f32_e32 v16, v15, v14
	v_fma_f32 v17, -v13, v16, v15
	v_fmac_f32_e32 v16, v17, v14
	v_fma_f32 v13, -v13, v16, v15
	v_div_fmas_f32 v13, v13, v14, v16
	v_div_fixup_f32 v12, v13, v12, 1.0
	v_mul_f32_e32 v12, v7, v12
	s_movk_i32 s19, 0x7fff
	s_mov_b32 s20, 0x7060302
	s_lshl_b32 s18, s49, 1
	v_cmp_gt_u32_e32 vcc, 2, v0
	s_waitcnt vmcnt(14)
	v_pk_mul_f32 v[14:15], v[12:13], v[22:23] op_sel_hi:[0,1]
	v_bfe_u32 v21, v15, 16, 1
	s_waitcnt vmcnt(12)
	v_pk_mul_f32 v[16:17], v[12:13], v[24:25] op_sel_hi:[0,1]
	v_bfe_u32 v7, v17, 16, 1
	v_bfe_u32 v13, v16, 16, 1
	;; [unrolled: 1-line block ×3, first 2 shown]
	v_add3_u32 v13, v16, v13, s19
	v_add3_u32 v7, v17, v7, s19
	buffer_store_dword v16, off, s[0:3], 0 offset:256
	buffer_store_dword v17, off, s[0:3], 0 offset:260
	;; [unrolled: 1-line block ×4, first 2 shown]
	v_add3_u32 v16, v14, v22, s19
	v_add3_u32 v15, v15, v21, s19
	v_perm_b32 v14, v7, v13, s20
	v_lshlrev_b32_e32 v13, 3, v39
	v_perm_b32 v15, v15, v16, s20
	v_lshlrev_b32_e32 v7, 5, v41
	v_lshlrev_b32_e32 v16, 11, v27
	s_waitcnt vmcnt(12)
	v_pk_mul_f32 v[8:9], v[12:13], v[8:9] op_sel_hi:[0,1]
	v_or3_b32 v53, v16, v7, v13
	v_pk_mul_f32 v[10:11], v[12:13], v[10:11] op_sel_hi:[0,1]
	v_bfe_u32 v13, v9, 16, 1
	v_bfe_u32 v16, v8, 16, 1
	buffer_store_dword v8, off, s[0:3], 0 offset:272
	buffer_store_dword v9, off, s[0:3], 0 offset:276
	;; [unrolled: 1-line block ×4, first 2 shown]
	v_add3_u32 v8, v8, v16, s19
	v_add3_u32 v9, v9, v13, s19
	v_perm_b32 v8, v9, v8, s20
	v_bfe_u32 v9, v11, 16, 1
	v_bfe_u32 v13, v10, 16, 1
	v_add3_u32 v10, v10, v13, s19
	v_add3_u32 v9, v11, v9, s19
	v_perm_b32 v9, v9, v10, s20
	s_waitcnt vmcnt(14)
	v_pk_mul_f32 v[10:11], v[12:13], v[18:19] op_sel_hi:[0,1]
	ds_write2st64_b64 v53, v[14:15], v[8:9] offset1:1
	s_waitcnt vmcnt(12)
	v_pk_mul_f32 v[8:9], v[12:13], v[28:29] op_sel_hi:[0,1]
	v_bfe_u32 v13, v11, 16, 1
	v_bfe_u32 v14, v10, 16, 1
	buffer_store_dword v10, off, s[0:3], 0 offset:288
	buffer_store_dword v11, off, s[0:3], 0 offset:292
	buffer_store_dword v8, off, s[0:3], 0 offset:296
	buffer_store_dword v9, off, s[0:3], 0 offset:300
	v_add3_u32 v10, v10, v14, s19
	v_add3_u32 v11, v11, v13, s19
	v_perm_b32 v10, v11, v10, s20
	v_bfe_u32 v11, v9, 16, 1
	v_bfe_u32 v13, v8, 16, 1
	v_add3_u32 v8, v8, v13, s19
	v_add3_u32 v9, v9, v11, s19
	s_waitcnt vmcnt(14)
	v_pk_mul_f32 v[2:3], v[12:13], v[2:3] op_sel_hi:[0,1]
	v_perm_b32 v11, v9, v8, s20
	v_bfe_u32 v8, v3, 16, 1
	v_bfe_u32 v9, v2, 16, 1
	s_waitcnt vmcnt(12)
	v_pk_mul_f32 v[4:5], v[12:13], v[4:5] op_sel_hi:[0,1]
	buffer_store_dword v2, off, s[0:3], 0 offset:304
	buffer_store_dword v3, off, s[0:3], 0 offset:308
	;; [unrolled: 1-line block ×4, first 2 shown]
	v_add3_u32 v2, v2, v9, s19
	v_add3_u32 v3, v3, v8, s19
	v_perm_b32 v2, v3, v2, s20
	v_bfe_u32 v3, v5, 16, 1
	v_bfe_u32 v8, v4, 16, 1
	v_add3_u32 v4, v4, v8, s19
	v_add3_u32 v3, v5, v3, s19
	v_perm_b32 v3, v3, v4, s20
	ds_write2st64_b64 v53, v[10:11], v[2:3] offset0:2 offset1:3
	s_and_saveexec_b64 s[4:5], vcc
	s_cbranch_execz .LBB911_211
; %bb.210:
	v_or_b32_e32 v2, s27, v0
	v_mov_b32_e32 v3, 0
	v_mov_b32_e32 v4, s18
	v_mad_u64_u32 v[4:5], s[6:7], s8, v4, v[2:3]
	v_mov_b32_e32 v2, s26
	s_mul_i32 s9, s9, s18
	v_mad_u64_u32 v[2:3], s[6:7], v4, s48, v[2:3]
	v_add_u32_e32 v5, s9, v5
	v_mov_b32_e32 v4, v3
	v_mad_u64_u32 v[4:5], s[6:7], v5, s48, v[4:5]
	v_mov_b32_e32 v3, v4
	v_lshlrev_b64 v[2:3], 2, v[2:3]
	v_mov_b32_e32 v5, s47
	v_add_co_u32_e32 v4, vcc, s46, v2
	v_addc_co_u32_e32 v5, vcc, v5, v3, vcc
	global_store_dword v[4:5], v20, off
	v_mov_b32_e32 v4, s45
	v_add_co_u32_e32 v2, vcc, s44, v2
	v_addc_co_u32_e32 v3, vcc, v4, v3, vcc
	global_store_dword v[2:3], v6, off
.LBB911_211:
	s_or_b64 exec, exec, s[4:5]
	v_lshl_or_b32 v30, v39, 9, v7
	s_waitcnt lgkmcnt(0)
	s_barrier
	s_load_dword s4, s[42:43], 0x0
	ds_read_b128 v[2:5], v30
	ds_read_b128 v[6:9], v30 offset:16
	ds_read_b128 v[10:13], v30 offset:2048
	;; [unrolled: 1-line block ×7, first 2 shown]
	v_mov_b32_e32 v35, 0x80
	v_mov_b32_e32 v54, 0x140
	s_mov_b64 s[10:11], -1
	s_waitcnt lgkmcnt(0)
	s_mov_b32 s5, s4
	s_mov_b32 s6, s4
	;; [unrolled: 1-line block ×3, first 2 shown]
	s_movk_i32 s9, 0x80
	s_movk_i32 s21, 0x7f
	s_mov_b32 s22, 0xffffff
	s_mov_b32 s23, 0x5040100
	v_mov_b32_e32 v55, 0
	v_bfrev_b32_e32 v56, 60
	s_branch .LBB911_215
.LBB911_212:                            ;   in Loop: Header=BB911_215 Depth=1
	s_or_b64 exec, exec, s[16:17]
.LBB911_213:                            ;   in Loop: Header=BB911_215 Depth=1
	s_or_b64 exec, exec, s[14:15]
.LBB911_214:                            ;   in Loop: Header=BB911_215 Depth=1
	s_or_b64 exec, exec, s[12:13]
	v_perm_b32 v61, v57, v51, s23
	v_perm_b32 v60, v44, v46, s23
	s_xor_b64 s[12:13], s[10:11], -1
	s_mov_b64 s[10:11], 0
	v_mov_b32_e32 v46, v48
	v_mfma_f32_16x16x16bf16_1k v[60:63], v[60:61], v[30:31], v[34:37]
	s_and_b64 vcc, exec, s[12:13]
	v_mov_b32_e32 v51, v50
	s_nop 4
	v_perm_b32 v37, v59, v58, s23
	v_perm_b32 v36, v42, v52, s23
	v_mov_b32_e32 v35, v47
	v_mov_b32_e32 v52, v49
	v_mfma_f32_16x16x16bf16_1k v[58:61], v[36:37], v[32:33], v[60:63]
	s_nop 7
	s_nop 2
	v_pk_mul_f32 v[58:59], v[58:59], s[4:5]
	v_pk_mul_f32 v[36:37], v[60:61], s[6:7]
	v_bfe_u32 v34, v59, 16, 1
	v_bfe_u32 v38, v58, 16, 1
	;; [unrolled: 1-line block ×4, first 2 shown]
	v_add3_u32 v38, v58, v38, s19
	v_add3_u32 v34, v59, v34, s19
	;; [unrolled: 1-line block ×4, first 2 shown]
	v_perm_b32 v34, v34, v38, s20
	v_perm_b32 v36, v37, v36, s20
	buffer_store_dword v34, v54, s[0:3], 0 offen
	buffer_store_dword v36, v54, s[0:3], 0 offen offset:4
	v_mov_b32_e32 v54, 0x148
	s_cbranch_vccnz .LBB911_597
.LBB911_215:                            ; =>This Inner Loop Header: Depth=1
	buffer_load_dword v36, v35, s[0:3], 0 offen
	buffer_load_dword v34, v35, s[0:3], 0 offen offset:4
	buffer_load_dword v40, v35, s[0:3], 0 offen offset:8
	;; [unrolled: 1-line block ×3, first 2 shown]
	v_mov_b32_e32 v35, 0
	s_waitcnt vmcnt(3)
	v_cmp_ne_u16_sdwa s[14:15], v36, v55 src0_sel:BYTE_0 src1_sel:DWORD
	s_and_saveexec_b64 s[12:13], s[14:15]
	s_cbranch_execz .LBB911_221
; %bb.216:                              ;   in Loop: Header=BB911_215 Depth=1
	v_cmp_ne_u16_sdwa s[16:17], v36, s9 src0_sel:BYTE_0 src1_sel:DWORD
	v_mov_b32_e32 v35, 0xffff8000
	s_and_saveexec_b64 s[14:15], s[16:17]
	s_cbranch_execz .LBB911_220
; %bb.217:                              ;   in Loop: Header=BB911_215 Depth=1
	v_and_b32_e32 v37, 0x7f, v36
	v_cmp_ne_u32_e32 vcc, s21, v37
	v_mov_b32_e32 v35, 0x7f80
	s_and_saveexec_b64 s[16:17], vcc
	s_cbranch_execz .LBB911_219
; %bb.218:                              ;   in Loop: Header=BB911_215 Depth=1
	v_and_b32_e32 v35, 7, v36
	v_ffbh_u32_e32 v44, v35
	v_min_u32_e32 v44, 32, v44
	v_subrev_u32_e32 v57, 28, v44
	v_lshlrev_b64 v[58:59], v57, v[36:37]
	v_lshrrev_b32_e32 v42, 3, v37
	v_sub_u32_e32 v44, 29, v44
	v_and_b32_e32 v57, 7, v58
	v_cmp_gt_u32_e32 vcc, 8, v37
	v_cndmask_b32_e32 v37, v42, v44, vcc
	v_cndmask_b32_e32 v35, v35, v57, vcc
	v_lshlrev_b32_e32 v42, 24, v36
	v_lshlrev_b32_e32 v35, 20, v35
	v_and_b32_e32 v42, 0x80000000, v42
	v_lshl_add_u32 v37, v37, 23, v56
	v_or3_b32 v35, v42, v37, v35
	v_lshrrev_b32_e32 v35, 16, v35
.LBB911_219:                            ;   in Loop: Header=BB911_215 Depth=1
	s_or_b64 exec, exec, s[16:17]
.LBB911_220:                            ;   in Loop: Header=BB911_215 Depth=1
	s_or_b64 exec, exec, s[14:15]
.LBB911_221:                            ;   in Loop: Header=BB911_215 Depth=1
	s_or_b64 exec, exec, s[12:13]
	v_lshrrev_b16_e32 v42, 8, v36
	v_cmp_ne_u16_e32 vcc, 0, v42
	v_mov_b32_e32 v57, 0
	v_mov_b32_e32 v37, 0
	s_and_saveexec_b64 s[12:13], vcc
	s_cbranch_execz .LBB911_227
; %bb.222:                              ;   in Loop: Header=BB911_215 Depth=1
	v_cmp_ne_u16_e32 vcc, s9, v42
	v_mov_b32_e32 v37, 0xffff8000
	s_and_saveexec_b64 s[14:15], vcc
	s_cbranch_execz .LBB911_226
; %bb.223:                              ;   in Loop: Header=BB911_215 Depth=1
	v_and_b32_e32 v44, 0x7f, v42
	v_cmp_ne_u32_e32 vcc, s21, v44
	v_mov_b32_e32 v37, 0x7f80
	s_and_saveexec_b64 s[16:17], vcc
	s_cbranch_execz .LBB911_225
; %bb.224:                              ;   in Loop: Header=BB911_215 Depth=1
	v_and_b32_e32 v37, 7, v42
	v_ffbh_u32_e32 v58, v37
	v_min_u32_e32 v61, 32, v58
	v_subrev_u32_e32 v58, 28, v61
	v_lshlrev_b64 v[58:59], v58, v[42:43]
	v_lshrrev_b32_e32 v60, 3, v44
	v_sub_u32_e32 v42, 29, v61
	v_and_b32_e32 v58, 7, v58
	v_cmp_gt_u32_e32 vcc, 8, v44
	v_cndmask_b32_e32 v42, v60, v42, vcc
	v_cndmask_b32_e32 v37, v37, v58, vcc
	v_lshlrev_b32_e32 v44, 16, v36
	v_lshlrev_b32_e32 v37, 20, v37
	v_and_b32_e32 v44, 0x80000000, v44
	v_lshl_add_u32 v42, v42, 23, v56
	v_or3_b32 v37, v44, v42, v37
	v_lshrrev_b32_e32 v37, 16, v37
.LBB911_225:                            ;   in Loop: Header=BB911_215 Depth=1
	s_or_b64 exec, exec, s[16:17]
.LBB911_226:                            ;   in Loop: Header=BB911_215 Depth=1
	s_or_b64 exec, exec, s[14:15]
.LBB911_227:                            ;   in Loop: Header=BB911_215 Depth=1
	s_or_b64 exec, exec, s[12:13]
	v_lshrrev_b32_e32 v42, 16, v36
	v_cmp_ne_u16_sdwa s[14:15], v42, v55 src0_sel:BYTE_0 src1_sel:DWORD
	s_and_saveexec_b64 s[12:13], s[14:15]
	s_cbranch_execz .LBB911_233
; %bb.228:                              ;   in Loop: Header=BB911_215 Depth=1
	v_cmp_ne_u16_sdwa s[16:17], v42, s9 src0_sel:BYTE_0 src1_sel:DWORD
	v_mov_b32_e32 v57, 0xffff8000
	s_and_saveexec_b64 s[14:15], s[16:17]
	s_cbranch_execz .LBB911_232
; %bb.229:                              ;   in Loop: Header=BB911_215 Depth=1
	v_bfe_u32 v44, v36, 16, 7
	v_cmp_ne_u32_e32 vcc, s21, v44
	v_mov_b32_e32 v57, 0x7f80
	s_and_saveexec_b64 s[16:17], vcc
	s_cbranch_execz .LBB911_231
; %bb.230:                              ;   in Loop: Header=BB911_215 Depth=1
	v_and_b32_e32 v57, 7, v42
	v_ffbh_u32_e32 v58, v57
	v_min_u32_e32 v61, 32, v58
	v_subrev_u32_e32 v58, 28, v61
	v_lshlrev_b64 v[58:59], v58, v[42:43]
	v_lshrrev_b32_e32 v60, 3, v44
	v_sub_u32_e32 v59, 29, v61
	v_and_b32_e32 v58, 7, v58
	v_cmp_gt_u32_e32 vcc, 8, v44
	v_cndmask_b32_e32 v44, v60, v59, vcc
	v_cndmask_b32_e32 v57, v57, v58, vcc
	v_lshlrev_b32_e32 v42, 24, v42
	v_lshlrev_b32_e32 v57, 20, v57
	v_and_b32_e32 v42, 0x80000000, v42
	v_lshl_add_u32 v44, v44, 23, v56
	v_or3_b32 v42, v42, v44, v57
	v_lshrrev_b32_e32 v57, 16, v42
.LBB911_231:                            ;   in Loop: Header=BB911_215 Depth=1
	s_or_b64 exec, exec, s[16:17]
.LBB911_232:                            ;   in Loop: Header=BB911_215 Depth=1
	s_or_b64 exec, exec, s[14:15]
.LBB911_233:                            ;   in Loop: Header=BB911_215 Depth=1
	s_or_b64 exec, exec, s[12:13]
	v_cmp_lt_u32_e32 vcc, s22, v36
	v_mov_b32_e32 v58, 0
	v_mov_b32_e32 v59, 0
	s_and_saveexec_b64 s[12:13], vcc
	s_cbranch_execz .LBB911_239
; %bb.234:                              ;   in Loop: Header=BB911_215 Depth=1
	v_lshrrev_b32_e32 v42, 24, v36
	v_cmp_ne_u32_e32 vcc, s9, v42
	v_mov_b32_e32 v59, 0xffff8000
	s_and_saveexec_b64 s[14:15], vcc
	s_cbranch_execz .LBB911_238
; %bb.235:                              ;   in Loop: Header=BB911_215 Depth=1
	v_bfe_u32 v36, v36, 24, 7
	v_cmp_ne_u32_e32 vcc, s21, v36
	v_mov_b32_e32 v59, 0x7f80
	s_and_saveexec_b64 s[16:17], vcc
	s_cbranch_execz .LBB911_237
; %bb.236:                              ;   in Loop: Header=BB911_215 Depth=1
	v_and_b32_e32 v44, 7, v42
	v_ffbh_u32_e32 v60, v44
	v_min_u32_e32 v62, 32, v60
	v_subrev_u32_e32 v60, 28, v62
	v_lshlrev_b64 v[60:61], v60, v[42:43]
	v_lshrrev_b32_e32 v59, 3, v36
	v_sub_u32_e32 v61, 29, v62
	v_and_b32_e32 v60, 7, v60
	v_cmp_gt_u32_e32 vcc, 8, v36
	v_cndmask_b32_e32 v36, v59, v61, vcc
	v_cndmask_b32_e32 v44, v44, v60, vcc
	v_lshlrev_b32_e32 v42, 24, v42
	v_lshlrev_b32_e32 v44, 20, v44
	v_and_b32_e32 v42, 0x80000000, v42
	v_lshl_add_u32 v36, v36, 23, v56
	v_or3_b32 v36, v42, v36, v44
	v_lshrrev_b32_e32 v59, 16, v36
.LBB911_237:                            ;   in Loop: Header=BB911_215 Depth=1
	s_or_b64 exec, exec, s[16:17]
.LBB911_238:                            ;   in Loop: Header=BB911_215 Depth=1
	s_or_b64 exec, exec, s[14:15]
.LBB911_239:                            ;   in Loop: Header=BB911_215 Depth=1
	s_or_b64 exec, exec, s[12:13]
	s_waitcnt vmcnt(2)
	v_cmp_ne_u16_sdwa s[14:15], v34, v55 src0_sel:BYTE_0 src1_sel:DWORD
	s_and_saveexec_b64 s[12:13], s[14:15]
	s_cbranch_execz .LBB911_245
; %bb.240:                              ;   in Loop: Header=BB911_215 Depth=1
	v_cmp_ne_u16_sdwa s[16:17], v34, s9 src0_sel:BYTE_0 src1_sel:DWORD
	v_mov_b32_e32 v58, 0xffff8000
	s_and_saveexec_b64 s[14:15], s[16:17]
	s_cbranch_execz .LBB911_244
; %bb.241:                              ;   in Loop: Header=BB911_215 Depth=1
	v_and_b32_e32 v36, 0x7f, v34
	v_cmp_ne_u32_e32 vcc, s21, v36
	v_mov_b32_e32 v58, 0x7f80
	s_and_saveexec_b64 s[16:17], vcc
	s_cbranch_execz .LBB911_243
; %bb.242:                              ;   in Loop: Header=BB911_215 Depth=1
	v_and_b32_e32 v42, 7, v34
	v_ffbh_u32_e32 v58, v42
	v_min_u32_e32 v58, 32, v58
	v_subrev_u32_e32 v60, 28, v58
	v_lshlrev_b64 v[60:61], v60, v[34:35]
	v_lshrrev_b32_e32 v44, 3, v36
	v_sub_u32_e32 v58, 29, v58
	v_and_b32_e32 v60, 7, v60
	v_cmp_gt_u32_e32 vcc, 8, v36
	v_cndmask_b32_e32 v36, v44, v58, vcc
	v_cndmask_b32_e32 v42, v42, v60, vcc
	v_lshlrev_b32_e32 v44, 24, v34
	v_lshlrev_b32_e32 v42, 20, v42
	v_and_b32_e32 v44, 0x80000000, v44
	v_lshl_add_u32 v36, v36, 23, v56
	v_or3_b32 v36, v44, v36, v42
	v_lshrrev_b32_e32 v58, 16, v36
.LBB911_243:                            ;   in Loop: Header=BB911_215 Depth=1
	s_or_b64 exec, exec, s[16:17]
.LBB911_244:                            ;   in Loop: Header=BB911_215 Depth=1
	s_or_b64 exec, exec, s[14:15]
.LBB911_245:                            ;   in Loop: Header=BB911_215 Depth=1
	s_or_b64 exec, exec, s[12:13]
	v_lshrrev_b16_e32 v36, 8, v34
	v_cmp_ne_u16_e32 vcc, 0, v36
	v_mov_b32_e32 v60, 0
	v_mov_b32_e32 v42, 0
	s_and_saveexec_b64 s[12:13], vcc
	s_cbranch_execz .LBB911_251
; %bb.246:                              ;   in Loop: Header=BB911_215 Depth=1
	v_cmp_ne_u16_e32 vcc, s9, v36
	v_mov_b32_e32 v42, 0xffff8000
	s_and_saveexec_b64 s[14:15], vcc
	s_cbranch_execz .LBB911_250
; %bb.247:                              ;   in Loop: Header=BB911_215 Depth=1
	v_and_b32_e32 v44, 0x7f, v36
	v_cmp_ne_u32_e32 vcc, s21, v44
	v_mov_b32_e32 v42, 0x7f80
	s_and_saveexec_b64 s[16:17], vcc
	s_cbranch_execz .LBB911_249
; %bb.248:                              ;   in Loop: Header=BB911_215 Depth=1
	v_and_b32_e32 v42, 7, v36
	v_ffbh_u32_e32 v62, v42
	v_min_u32_e32 v64, 32, v62
	v_subrev_u32_e32 v62, 28, v64
	v_lshlrev_b64 v[62:63], v62, v[36:37]
	v_lshrrev_b32_e32 v61, 3, v44
	v_sub_u32_e32 v36, 29, v64
	v_and_b32_e32 v62, 7, v62
	v_cmp_gt_u32_e32 vcc, 8, v44
	v_cndmask_b32_e32 v36, v61, v36, vcc
	v_cndmask_b32_e32 v42, v42, v62, vcc
	v_lshlrev_b32_e32 v44, 16, v34
	v_lshlrev_b32_e32 v42, 20, v42
	v_and_b32_e32 v44, 0x80000000, v44
	v_lshl_add_u32 v36, v36, 23, v56
	v_or3_b32 v36, v44, v36, v42
	v_lshrrev_b32_e32 v42, 16, v36
.LBB911_249:                            ;   in Loop: Header=BB911_215 Depth=1
	s_or_b64 exec, exec, s[16:17]
.LBB911_250:                            ;   in Loop: Header=BB911_215 Depth=1
	s_or_b64 exec, exec, s[14:15]
.LBB911_251:                            ;   in Loop: Header=BB911_215 Depth=1
	s_or_b64 exec, exec, s[12:13]
	v_lshrrev_b32_e32 v36, 16, v34
	v_cmp_ne_u16_sdwa s[14:15], v36, v55 src0_sel:BYTE_0 src1_sel:DWORD
	s_and_saveexec_b64 s[12:13], s[14:15]
	s_cbranch_execz .LBB911_257
; %bb.252:                              ;   in Loop: Header=BB911_215 Depth=1
	v_cmp_ne_u16_sdwa s[16:17], v36, s9 src0_sel:BYTE_0 src1_sel:DWORD
	v_mov_b32_e32 v60, 0xffff8000
	s_and_saveexec_b64 s[14:15], s[16:17]
	s_cbranch_execz .LBB911_256
; %bb.253:                              ;   in Loop: Header=BB911_215 Depth=1
	v_bfe_u32 v44, v34, 16, 7
	v_cmp_ne_u32_e32 vcc, s21, v44
	v_mov_b32_e32 v60, 0x7f80
	s_and_saveexec_b64 s[16:17], vcc
	s_cbranch_execz .LBB911_255
; %bb.254:                              ;   in Loop: Header=BB911_215 Depth=1
	v_and_b32_e32 v62, 7, v36
	v_ffbh_u32_e32 v60, v62
	v_min_u32_e32 v64, 32, v60
	v_subrev_u32_e32 v60, 28, v64
	v_lshlrev_b64 v[60:61], v60, v[36:37]
	v_lshrrev_b32_e32 v63, 3, v44
	v_sub_u32_e32 v61, 29, v64
	v_and_b32_e32 v60, 7, v60
	v_cmp_gt_u32_e32 vcc, 8, v44
	v_cndmask_b32_e32 v44, v63, v61, vcc
	v_cndmask_b32_e32 v60, v62, v60, vcc
	v_lshlrev_b32_e32 v36, 24, v36
	v_lshlrev_b32_e32 v60, 20, v60
	v_and_b32_e32 v36, 0x80000000, v36
	v_lshl_add_u32 v44, v44, 23, v56
	v_or3_b32 v36, v36, v44, v60
	v_lshrrev_b32_e32 v60, 16, v36
.LBB911_255:                            ;   in Loop: Header=BB911_215 Depth=1
	s_or_b64 exec, exec, s[16:17]
.LBB911_256:                            ;   in Loop: Header=BB911_215 Depth=1
	s_or_b64 exec, exec, s[14:15]
.LBB911_257:                            ;   in Loop: Header=BB911_215 Depth=1
	s_or_b64 exec, exec, s[12:13]
	v_cmp_lt_u32_e32 vcc, s22, v34
	v_mov_b32_e32 v44, 0
	v_mov_b32_e32 v61, 0
	s_and_saveexec_b64 s[12:13], vcc
	s_cbranch_execz .LBB911_263
; %bb.258:                              ;   in Loop: Header=BB911_215 Depth=1
	v_lshrrev_b32_e32 v36, 24, v34
	v_cmp_ne_u32_e32 vcc, s9, v36
	v_mov_b32_e32 v61, 0xffff8000
	s_and_saveexec_b64 s[14:15], vcc
	s_cbranch_execz .LBB911_262
; %bb.259:                              ;   in Loop: Header=BB911_215 Depth=1
	v_bfe_u32 v34, v34, 24, 7
	v_cmp_ne_u32_e32 vcc, s21, v34
	v_mov_b32_e32 v61, 0x7f80
	s_and_saveexec_b64 s[16:17], vcc
	s_cbranch_execz .LBB911_261
; %bb.260:                              ;   in Loop: Header=BB911_215 Depth=1
	v_and_b32_e32 v61, 7, v36
	v_ffbh_u32_e32 v62, v61
	v_min_u32_e32 v65, 32, v62
	v_subrev_u32_e32 v62, 28, v65
	v_lshlrev_b64 v[62:63], v62, v[36:37]
	v_lshrrev_b32_e32 v64, 3, v34
	v_sub_u32_e32 v63, 29, v65
	v_and_b32_e32 v62, 7, v62
	v_cmp_gt_u32_e32 vcc, 8, v34
	v_cndmask_b32_e32 v34, v64, v63, vcc
	v_cndmask_b32_e32 v61, v61, v62, vcc
	v_lshlrev_b32_e32 v36, 24, v36
	v_lshlrev_b32_e32 v61, 20, v61
	v_and_b32_e32 v36, 0x80000000, v36
	v_lshl_add_u32 v34, v34, 23, v56
	v_or3_b32 v34, v36, v34, v61
	v_lshrrev_b32_e32 v61, 16, v34
.LBB911_261:                            ;   in Loop: Header=BB911_215 Depth=1
	s_or_b64 exec, exec, s[16:17]
.LBB911_262:                            ;   in Loop: Header=BB911_215 Depth=1
	s_or_b64 exec, exec, s[14:15]
.LBB911_263:                            ;   in Loop: Header=BB911_215 Depth=1
	s_or_b64 exec, exec, s[12:13]
	v_perm_b32 v63, v59, v57, s23
	v_perm_b32 v62, v37, v35, s23
	v_perm_b32 v59, v61, v60, s23
	v_perm_b32 v58, v42, v58, s23
	s_waitcnt vmcnt(1)
	v_cmp_ne_u16_sdwa s[14:15], v40, v55 src0_sel:BYTE_0 src1_sel:DWORD
	v_mfma_f32_16x16x16bf16_1k v[34:37], v[62:63], v[2:3], 0
	v_mfma_f32_16x16x16bf16_1k v[34:37], v[58:59], v[4:5], v[34:37]
	s_and_saveexec_b64 s[12:13], s[14:15]
	s_cbranch_execz .LBB911_269
; %bb.264:                              ;   in Loop: Header=BB911_215 Depth=1
	v_cmp_ne_u16_sdwa s[16:17], v40, s9 src0_sel:BYTE_0 src1_sel:DWORD
	v_mov_b32_e32 v44, 0xffff8000
	s_and_saveexec_b64 s[14:15], s[16:17]
	s_cbranch_execz .LBB911_268
; %bb.265:                              ;   in Loop: Header=BB911_215 Depth=1
	v_and_b32_e32 v42, 0x7f, v40
	v_cmp_ne_u32_e32 vcc, s21, v42
	v_mov_b32_e32 v44, 0x7f80
	s_and_saveexec_b64 s[16:17], vcc
	s_cbranch_execz .LBB911_267
; %bb.266:                              ;   in Loop: Header=BB911_215 Depth=1
	v_and_b32_e32 v44, 7, v40
	v_ffbh_u32_e32 v58, v44
	v_min_u32_e32 v60, 32, v58
	v_subrev_u32_e32 v58, 28, v60
	v_lshlrev_b64 v[58:59], v58, v[40:41]
	v_lshrrev_b32_e32 v57, 3, v42
	v_sub_u32_e32 v59, 29, v60
	v_and_b32_e32 v58, 7, v58
	v_cmp_gt_u32_e32 vcc, 8, v42
	v_cndmask_b32_e32 v42, v57, v59, vcc
	v_cndmask_b32_e32 v44, v44, v58, vcc
	v_lshlrev_b32_e32 v57, 24, v40
	v_lshlrev_b32_e32 v44, 20, v44
	v_and_b32_e32 v57, 0x80000000, v57
	v_lshl_add_u32 v42, v42, 23, v56
	v_or3_b32 v42, v57, v42, v44
	v_lshrrev_b32_e32 v44, 16, v42
.LBB911_267:                            ;   in Loop: Header=BB911_215 Depth=1
	s_or_b64 exec, exec, s[16:17]
.LBB911_268:                            ;   in Loop: Header=BB911_215 Depth=1
	s_or_b64 exec, exec, s[14:15]
.LBB911_269:                            ;   in Loop: Header=BB911_215 Depth=1
	s_or_b64 exec, exec, s[12:13]
	v_lshrrev_b16_e32 v42, 8, v40
	v_cmp_ne_u16_e32 vcc, 0, v42
	v_mov_b32_e32 v59, 0
	v_mov_b32_e32 v58, 0
	s_and_saveexec_b64 s[12:13], vcc
	s_cbranch_execz .LBB911_275
; %bb.270:                              ;   in Loop: Header=BB911_215 Depth=1
	v_cmp_ne_u16_e32 vcc, s9, v42
	v_mov_b32_e32 v58, 0xffff8000
	s_and_saveexec_b64 s[14:15], vcc
	s_cbranch_execz .LBB911_274
; %bb.271:                              ;   in Loop: Header=BB911_215 Depth=1
	v_and_b32_e32 v57, 0x7f, v42
	v_cmp_ne_u32_e32 vcc, s21, v57
	v_mov_b32_e32 v58, 0x7f80
	s_and_saveexec_b64 s[16:17], vcc
	s_cbranch_execz .LBB911_273
; %bb.272:                              ;   in Loop: Header=BB911_215 Depth=1
	v_and_b32_e32 v58, 7, v42
	v_ffbh_u32_e32 v60, v58
	v_min_u32_e32 v63, 32, v60
	v_subrev_u32_e32 v60, 28, v63
	v_lshlrev_b64 v[60:61], v60, v[42:43]
	v_lshrrev_b32_e32 v62, 3, v57
	v_sub_u32_e32 v42, 29, v63
	v_and_b32_e32 v60, 7, v60
	v_cmp_gt_u32_e32 vcc, 8, v57
	v_cndmask_b32_e32 v42, v62, v42, vcc
	v_cndmask_b32_e32 v57, v58, v60, vcc
	v_lshlrev_b32_e32 v58, 16, v40
	v_lshlrev_b32_e32 v57, 20, v57
	v_and_b32_e32 v58, 0x80000000, v58
	v_lshl_add_u32 v42, v42, 23, v56
	v_or3_b32 v42, v58, v42, v57
	v_lshrrev_b32_e32 v58, 16, v42
.LBB911_273:                            ;   in Loop: Header=BB911_215 Depth=1
	s_or_b64 exec, exec, s[16:17]
.LBB911_274:                            ;   in Loop: Header=BB911_215 Depth=1
	s_or_b64 exec, exec, s[14:15]
.LBB911_275:                            ;   in Loop: Header=BB911_215 Depth=1
	s_or_b64 exec, exec, s[12:13]
	v_lshrrev_b32_e32 v42, 16, v40
	v_cmp_ne_u16_sdwa s[14:15], v42, v55 src0_sel:BYTE_0 src1_sel:DWORD
	s_and_saveexec_b64 s[12:13], s[14:15]
	s_cbranch_execz .LBB911_281
; %bb.276:                              ;   in Loop: Header=BB911_215 Depth=1
	v_cmp_ne_u16_sdwa s[16:17], v42, s9 src0_sel:BYTE_0 src1_sel:DWORD
	v_mov_b32_e32 v59, 0xffff8000
	s_and_saveexec_b64 s[14:15], s[16:17]
	s_cbranch_execz .LBB911_280
; %bb.277:                              ;   in Loop: Header=BB911_215 Depth=1
	v_bfe_u32 v57, v40, 16, 7
	v_cmp_ne_u32_e32 vcc, s21, v57
	v_mov_b32_e32 v59, 0x7f80
	s_and_saveexec_b64 s[16:17], vcc
	s_cbranch_execz .LBB911_279
; %bb.278:                              ;   in Loop: Header=BB911_215 Depth=1
	v_and_b32_e32 v59, 7, v42
	v_ffbh_u32_e32 v60, v59
	v_min_u32_e32 v63, 32, v60
	v_subrev_u32_e32 v60, 28, v63
	v_lshlrev_b64 v[60:61], v60, v[42:43]
	v_lshrrev_b32_e32 v62, 3, v57
	v_sub_u32_e32 v61, 29, v63
	v_and_b32_e32 v60, 7, v60
	v_cmp_gt_u32_e32 vcc, 8, v57
	v_cndmask_b32_e32 v57, v62, v61, vcc
	v_cndmask_b32_e32 v59, v59, v60, vcc
	v_lshlrev_b32_e32 v42, 24, v42
	v_lshlrev_b32_e32 v59, 20, v59
	v_and_b32_e32 v42, 0x80000000, v42
	v_lshl_add_u32 v57, v57, 23, v56
	v_or3_b32 v42, v42, v57, v59
	v_lshrrev_b32_e32 v59, 16, v42
.LBB911_279:                            ;   in Loop: Header=BB911_215 Depth=1
	s_or_b64 exec, exec, s[16:17]
.LBB911_280:                            ;   in Loop: Header=BB911_215 Depth=1
	s_or_b64 exec, exec, s[14:15]
.LBB911_281:                            ;   in Loop: Header=BB911_215 Depth=1
	s_or_b64 exec, exec, s[12:13]
	v_cmp_lt_u32_e32 vcc, s22, v40
	v_mov_b32_e32 v60, 0
	v_mov_b32_e32 v61, 0
	s_and_saveexec_b64 s[12:13], vcc
	s_cbranch_execz .LBB911_287
; %bb.282:                              ;   in Loop: Header=BB911_215 Depth=1
	v_lshrrev_b32_e32 v42, 24, v40
	v_cmp_ne_u32_e32 vcc, s9, v42
	v_mov_b32_e32 v61, 0xffff8000
	s_and_saveexec_b64 s[14:15], vcc
	s_cbranch_execz .LBB911_286
; %bb.283:                              ;   in Loop: Header=BB911_215 Depth=1
	v_bfe_u32 v40, v40, 24, 7
	v_cmp_ne_u32_e32 vcc, s21, v40
	v_mov_b32_e32 v61, 0x7f80
	s_and_saveexec_b64 s[16:17], vcc
	s_cbranch_execz .LBB911_285
; %bb.284:                              ;   in Loop: Header=BB911_215 Depth=1
	v_and_b32_e32 v57, 7, v42
	v_ffbh_u32_e32 v62, v57
	v_min_u32_e32 v64, 32, v62
	v_subrev_u32_e32 v62, 28, v64
	v_lshlrev_b64 v[62:63], v62, v[42:43]
	v_lshrrev_b32_e32 v61, 3, v40
	v_sub_u32_e32 v63, 29, v64
	v_and_b32_e32 v62, 7, v62
	v_cmp_gt_u32_e32 vcc, 8, v40
	v_cndmask_b32_e32 v40, v61, v63, vcc
	v_cndmask_b32_e32 v57, v57, v62, vcc
	v_lshlrev_b32_e32 v42, 24, v42
	v_lshlrev_b32_e32 v57, 20, v57
	v_and_b32_e32 v42, 0x80000000, v42
	v_lshl_add_u32 v40, v40, 23, v56
	v_or3_b32 v40, v42, v40, v57
	v_lshrrev_b32_e32 v61, 16, v40
.LBB911_285:                            ;   in Loop: Header=BB911_215 Depth=1
	s_or_b64 exec, exec, s[16:17]
.LBB911_286:                            ;   in Loop: Header=BB911_215 Depth=1
	s_or_b64 exec, exec, s[14:15]
.LBB911_287:                            ;   in Loop: Header=BB911_215 Depth=1
	s_or_b64 exec, exec, s[12:13]
	s_waitcnt vmcnt(0)
	v_cmp_ne_u16_sdwa s[14:15], v38, v55 src0_sel:BYTE_0 src1_sel:DWORD
	s_and_saveexec_b64 s[12:13], s[14:15]
	s_cbranch_execz .LBB911_293
; %bb.288:                              ;   in Loop: Header=BB911_215 Depth=1
	v_cmp_ne_u16_sdwa s[16:17], v38, s9 src0_sel:BYTE_0 src1_sel:DWORD
	v_mov_b32_e32 v60, 0xffff8000
	s_and_saveexec_b64 s[14:15], s[16:17]
	s_cbranch_execz .LBB911_292
; %bb.289:                              ;   in Loop: Header=BB911_215 Depth=1
	v_and_b32_e32 v40, 0x7f, v38
	v_cmp_ne_u32_e32 vcc, s21, v40
	v_mov_b32_e32 v60, 0x7f80
	s_and_saveexec_b64 s[16:17], vcc
	s_cbranch_execz .LBB911_291
; %bb.290:                              ;   in Loop: Header=BB911_215 Depth=1
	v_and_b32_e32 v42, 7, v38
	v_ffbh_u32_e32 v60, v42
	v_min_u32_e32 v60, 32, v60
	v_subrev_u32_e32 v62, 28, v60
	v_lshlrev_b64 v[62:63], v62, v[38:39]
	v_lshrrev_b32_e32 v57, 3, v40
	v_sub_u32_e32 v60, 29, v60
	v_and_b32_e32 v62, 7, v62
	v_cmp_gt_u32_e32 vcc, 8, v40
	v_cndmask_b32_e32 v40, v57, v60, vcc
	v_cndmask_b32_e32 v42, v42, v62, vcc
	v_lshlrev_b32_e32 v57, 24, v38
	v_lshlrev_b32_e32 v42, 20, v42
	v_and_b32_e32 v57, 0x80000000, v57
	v_lshl_add_u32 v40, v40, 23, v56
	v_or3_b32 v40, v57, v40, v42
	v_lshrrev_b32_e32 v60, 16, v40
.LBB911_291:                            ;   in Loop: Header=BB911_215 Depth=1
	s_or_b64 exec, exec, s[16:17]
.LBB911_292:                            ;   in Loop: Header=BB911_215 Depth=1
	s_or_b64 exec, exec, s[14:15]
.LBB911_293:                            ;   in Loop: Header=BB911_215 Depth=1
	s_or_b64 exec, exec, s[12:13]
	v_lshrrev_b16_e32 v40, 8, v38
	v_cmp_ne_u16_e32 vcc, 0, v40
	v_mov_b32_e32 v63, 0
	v_mov_b32_e32 v62, 0
	s_and_saveexec_b64 s[12:13], vcc
	s_cbranch_execz .LBB911_299
; %bb.294:                              ;   in Loop: Header=BB911_215 Depth=1
	v_cmp_ne_u16_e32 vcc, s9, v40
	v_mov_b32_e32 v62, 0xffff8000
	s_and_saveexec_b64 s[14:15], vcc
	s_cbranch_execz .LBB911_298
; %bb.295:                              ;   in Loop: Header=BB911_215 Depth=1
	v_and_b32_e32 v42, 0x7f, v40
	v_cmp_ne_u32_e32 vcc, s21, v42
	v_mov_b32_e32 v62, 0x7f80
	s_and_saveexec_b64 s[16:17], vcc
	s_cbranch_execz .LBB911_297
; %bb.296:                              ;   in Loop: Header=BB911_215 Depth=1
	v_and_b32_e32 v57, 7, v40
	v_ffbh_u32_e32 v64, v57
	v_min_u32_e32 v66, 32, v64
	v_subrev_u32_e32 v64, 28, v66
	v_lshlrev_b64 v[64:65], v64, v[40:41]
	v_lshrrev_b32_e32 v62, 3, v42
	v_sub_u32_e32 v40, 29, v66
	v_and_b32_e32 v64, 7, v64
	v_cmp_gt_u32_e32 vcc, 8, v42
	v_cndmask_b32_e32 v40, v62, v40, vcc
	v_cndmask_b32_e32 v42, v57, v64, vcc
	v_lshlrev_b32_e32 v57, 16, v38
	v_lshlrev_b32_e32 v42, 20, v42
	v_and_b32_e32 v57, 0x80000000, v57
	v_lshl_add_u32 v40, v40, 23, v56
	v_or3_b32 v40, v57, v40, v42
	v_lshrrev_b32_e32 v62, 16, v40
.LBB911_297:                            ;   in Loop: Header=BB911_215 Depth=1
	s_or_b64 exec, exec, s[16:17]
.LBB911_298:                            ;   in Loop: Header=BB911_215 Depth=1
	s_or_b64 exec, exec, s[14:15]
.LBB911_299:                            ;   in Loop: Header=BB911_215 Depth=1
	s_or_b64 exec, exec, s[12:13]
	v_lshrrev_b32_e32 v40, 16, v38
	v_cmp_ne_u16_sdwa s[14:15], v40, v55 src0_sel:BYTE_0 src1_sel:DWORD
	s_and_saveexec_b64 s[12:13], s[14:15]
	s_cbranch_execz .LBB911_305
; %bb.300:                              ;   in Loop: Header=BB911_215 Depth=1
	v_cmp_ne_u16_sdwa s[16:17], v40, s9 src0_sel:BYTE_0 src1_sel:DWORD
	v_mov_b32_e32 v63, 0xffff8000
	s_and_saveexec_b64 s[14:15], s[16:17]
	s_cbranch_execz .LBB911_304
; %bb.301:                              ;   in Loop: Header=BB911_215 Depth=1
	v_bfe_u32 v42, v38, 16, 7
	v_cmp_ne_u32_e32 vcc, s21, v42
	v_mov_b32_e32 v63, 0x7f80
	s_and_saveexec_b64 s[16:17], vcc
	s_cbranch_execz .LBB911_303
; %bb.302:                              ;   in Loop: Header=BB911_215 Depth=1
	v_and_b32_e32 v57, 7, v40
	v_ffbh_u32_e32 v64, v57
	v_min_u32_e32 v66, 32, v64
	v_subrev_u32_e32 v64, 28, v66
	v_lshlrev_b64 v[64:65], v64, v[40:41]
	v_lshrrev_b32_e32 v63, 3, v42
	v_sub_u32_e32 v65, 29, v66
	v_and_b32_e32 v64, 7, v64
	v_cmp_gt_u32_e32 vcc, 8, v42
	v_cndmask_b32_e32 v42, v63, v65, vcc
	v_cndmask_b32_e32 v57, v57, v64, vcc
	v_lshlrev_b32_e32 v40, 24, v40
	v_lshlrev_b32_e32 v57, 20, v57
	v_and_b32_e32 v40, 0x80000000, v40
	v_lshl_add_u32 v42, v42, 23, v56
	v_or3_b32 v40, v40, v42, v57
	v_lshrrev_b32_e32 v63, 16, v40
.LBB911_303:                            ;   in Loop: Header=BB911_215 Depth=1
	s_or_b64 exec, exec, s[16:17]
.LBB911_304:                            ;   in Loop: Header=BB911_215 Depth=1
	s_or_b64 exec, exec, s[14:15]
.LBB911_305:                            ;   in Loop: Header=BB911_215 Depth=1
	s_or_b64 exec, exec, s[12:13]
	v_cmp_lt_u32_e32 vcc, s22, v38
	v_mov_b32_e32 v57, 0
	v_mov_b32_e32 v64, 0
	s_and_saveexec_b64 s[12:13], vcc
	s_cbranch_execz .LBB911_311
; %bb.306:                              ;   in Loop: Header=BB911_215 Depth=1
	v_lshrrev_b32_e32 v40, 24, v38
	v_cmp_ne_u32_e32 vcc, s9, v40
	v_mov_b32_e32 v64, 0xffff8000
	s_and_saveexec_b64 s[14:15], vcc
	s_cbranch_execz .LBB911_310
; %bb.307:                              ;   in Loop: Header=BB911_215 Depth=1
	v_bfe_u32 v38, v38, 24, 7
	v_cmp_ne_u32_e32 vcc, s21, v38
	v_mov_b32_e32 v64, 0x7f80
	s_and_saveexec_b64 s[16:17], vcc
	s_cbranch_execz .LBB911_309
; %bb.308:                              ;   in Loop: Header=BB911_215 Depth=1
	v_and_b32_e32 v42, 7, v40
	v_ffbh_u32_e32 v64, v42
	v_min_u32_e32 v67, 32, v64
	v_subrev_u32_e32 v64, 28, v67
	v_lshlrev_b64 v[64:65], v64, v[40:41]
	v_lshrrev_b32_e32 v66, 3, v38
	v_sub_u32_e32 v65, 29, v67
	v_and_b32_e32 v64, 7, v64
	v_cmp_gt_u32_e32 vcc, 8, v38
	v_cndmask_b32_e32 v38, v66, v65, vcc
	v_cndmask_b32_e32 v42, v42, v64, vcc
	v_lshlrev_b32_e32 v40, 24, v40
	v_lshlrev_b32_e32 v42, 20, v42
	v_and_b32_e32 v40, 0x80000000, v40
	v_lshl_add_u32 v38, v38, 23, v56
	v_or3_b32 v38, v40, v38, v42
	v_lshrrev_b32_e32 v64, 16, v38
.LBB911_309:                            ;   in Loop: Header=BB911_215 Depth=1
	s_or_b64 exec, exec, s[16:17]
.LBB911_310:                            ;   in Loop: Header=BB911_215 Depth=1
	s_or_b64 exec, exec, s[14:15]
.LBB911_311:                            ;   in Loop: Header=BB911_215 Depth=1
	s_or_b64 exec, exec, s[12:13]
	v_perm_b32 v58, v58, v44, s23
	buffer_load_dword v44, v46, s[0:3], 0 offen
	buffer_load_dword v42, v46, s[0:3], 0 offen offset:4
	buffer_load_dword v40, v46, s[0:3], 0 offen offset:8
	;; [unrolled: 1-line block ×3, first 2 shown]
	v_perm_b32 v59, v61, v59, s23
	s_waitcnt vmcnt(3)
	v_cmp_ne_u16_sdwa s[14:15], v44, v55 src0_sel:BYTE_0 src1_sel:DWORD
	v_mfma_f32_16x16x16bf16_1k v[34:37], v[58:59], v[6:7], v[34:37]
	v_perm_b32 v59, v64, v63, s23
	v_perm_b32 v58, v62, v60, s23
	s_nop 1
	v_mfma_f32_16x16x16bf16_1k v[34:37], v[58:59], v[8:9], v[34:37]
	s_and_saveexec_b64 s[12:13], s[14:15]
	s_cbranch_execz .LBB911_317
; %bb.312:                              ;   in Loop: Header=BB911_215 Depth=1
	v_cmp_ne_u16_sdwa s[16:17], v44, s9 src0_sel:BYTE_0 src1_sel:DWORD
	v_mov_b32_e32 v57, 0xffff8000
	s_and_saveexec_b64 s[14:15], s[16:17]
	s_cbranch_execz .LBB911_316
; %bb.313:                              ;   in Loop: Header=BB911_215 Depth=1
	v_and_b32_e32 v46, 0x7f, v44
	v_cmp_ne_u32_e32 vcc, s21, v46
	v_mov_b32_e32 v57, 0x7f80
	s_and_saveexec_b64 s[16:17], vcc
	s_cbranch_execz .LBB911_315
; %bb.314:                              ;   in Loop: Header=BB911_215 Depth=1
	v_and_b32_e32 v57, 7, v44
	v_ffbh_u32_e32 v58, v57
	v_min_u32_e32 v61, 32, v58
	v_subrev_u32_e32 v58, 28, v61
	v_lshlrev_b64 v[58:59], v58, v[44:45]
	v_lshrrev_b32_e32 v60, 3, v46
	v_sub_u32_e32 v59, 29, v61
	v_and_b32_e32 v58, 7, v58
	v_cmp_gt_u32_e32 vcc, 8, v46
	v_cndmask_b32_e32 v46, v60, v59, vcc
	v_cndmask_b32_e32 v57, v57, v58, vcc
	v_lshlrev_b32_e32 v58, 24, v44
	v_lshlrev_b32_e32 v57, 20, v57
	v_and_b32_e32 v58, 0x80000000, v58
	v_lshl_add_u32 v46, v46, 23, v56
	v_or3_b32 v46, v58, v46, v57
	v_lshrrev_b32_e32 v57, 16, v46
.LBB911_315:                            ;   in Loop: Header=BB911_215 Depth=1
	s_or_b64 exec, exec, s[16:17]
.LBB911_316:                            ;   in Loop: Header=BB911_215 Depth=1
	s_or_b64 exec, exec, s[14:15]
.LBB911_317:                            ;   in Loop: Header=BB911_215 Depth=1
	s_or_b64 exec, exec, s[12:13]
	v_lshrrev_b16_e32 v46, 8, v44
	v_cmp_ne_u16_e32 vcc, 0, v46
	v_mov_b32_e32 v59, 0
	v_mov_b32_e32 v58, 0
	s_and_saveexec_b64 s[12:13], vcc
	s_cbranch_execz .LBB911_323
; %bb.318:                              ;   in Loop: Header=BB911_215 Depth=1
	v_cmp_ne_u16_e32 vcc, s9, v46
	v_mov_b32_e32 v58, 0xffff8000
	s_and_saveexec_b64 s[14:15], vcc
	s_cbranch_execz .LBB911_322
; %bb.319:                              ;   in Loop: Header=BB911_215 Depth=1
	v_and_b32_e32 v60, 0x7f, v46
	v_cmp_ne_u32_e32 vcc, s21, v60
	v_mov_b32_e32 v58, 0x7f80
	s_and_saveexec_b64 s[16:17], vcc
	s_cbranch_execz .LBB911_321
; %bb.320:                              ;   in Loop: Header=BB911_215 Depth=1
	v_and_b32_e32 v58, 7, v46
	v_ffbh_u32_e32 v62, v58
	v_min_u32_e32 v64, 32, v62
	v_subrev_u32_e32 v62, 28, v64
	v_lshlrev_b64 v[62:63], v62, v[46:47]
	v_lshrrev_b32_e32 v61, 3, v60
	v_sub_u32_e32 v46, 29, v64
	v_and_b32_e32 v62, 7, v62
	v_cmp_gt_u32_e32 vcc, 8, v60
	v_cndmask_b32_e32 v46, v61, v46, vcc
	v_cndmask_b32_e32 v58, v58, v62, vcc
	v_lshlrev_b32_e32 v60, 16, v44
	v_lshlrev_b32_e32 v58, 20, v58
	v_and_b32_e32 v60, 0x80000000, v60
	v_lshl_add_u32 v46, v46, 23, v56
	v_or3_b32 v46, v60, v46, v58
	v_lshrrev_b32_e32 v58, 16, v46
.LBB911_321:                            ;   in Loop: Header=BB911_215 Depth=1
	s_or_b64 exec, exec, s[16:17]
.LBB911_322:                            ;   in Loop: Header=BB911_215 Depth=1
	s_or_b64 exec, exec, s[14:15]
.LBB911_323:                            ;   in Loop: Header=BB911_215 Depth=1
	s_or_b64 exec, exec, s[12:13]
	v_lshrrev_b32_e32 v46, 16, v44
	v_cmp_ne_u16_sdwa s[14:15], v46, v55 src0_sel:BYTE_0 src1_sel:DWORD
	s_and_saveexec_b64 s[12:13], s[14:15]
	s_cbranch_execz .LBB911_329
; %bb.324:                              ;   in Loop: Header=BB911_215 Depth=1
	v_cmp_ne_u16_sdwa s[16:17], v46, s9 src0_sel:BYTE_0 src1_sel:DWORD
	v_mov_b32_e32 v59, 0xffff8000
	s_and_saveexec_b64 s[14:15], s[16:17]
	s_cbranch_execz .LBB911_328
; %bb.325:                              ;   in Loop: Header=BB911_215 Depth=1
	v_bfe_u32 v60, v44, 16, 7
	v_cmp_ne_u32_e32 vcc, s21, v60
	v_mov_b32_e32 v59, 0x7f80
	s_and_saveexec_b64 s[16:17], vcc
	s_cbranch_execz .LBB911_327
; %bb.326:                              ;   in Loop: Header=BB911_215 Depth=1
	v_and_b32_e32 v59, 7, v46
	v_ffbh_u32_e32 v62, v59
	v_min_u32_e32 v64, 32, v62
	v_subrev_u32_e32 v62, 28, v64
	v_lshlrev_b64 v[62:63], v62, v[46:47]
	v_lshrrev_b32_e32 v61, 3, v60
	v_sub_u32_e32 v63, 29, v64
	v_and_b32_e32 v62, 7, v62
	v_cmp_gt_u32_e32 vcc, 8, v60
	v_cndmask_b32_e32 v60, v61, v63, vcc
	v_cndmask_b32_e32 v59, v59, v62, vcc
	v_lshlrev_b32_e32 v46, 24, v46
	v_lshlrev_b32_e32 v59, 20, v59
	v_and_b32_e32 v46, 0x80000000, v46
	v_lshl_add_u32 v60, v60, 23, v56
	v_or3_b32 v46, v46, v60, v59
	v_lshrrev_b32_e32 v59, 16, v46
.LBB911_327:                            ;   in Loop: Header=BB911_215 Depth=1
	s_or_b64 exec, exec, s[16:17]
.LBB911_328:                            ;   in Loop: Header=BB911_215 Depth=1
	s_or_b64 exec, exec, s[14:15]
.LBB911_329:                            ;   in Loop: Header=BB911_215 Depth=1
	s_or_b64 exec, exec, s[12:13]
	v_cmp_lt_u32_e32 vcc, s22, v44
	v_mov_b32_e32 v60, 0
	v_mov_b32_e32 v61, 0
	s_and_saveexec_b64 s[12:13], vcc
	s_cbranch_execz .LBB911_335
; %bb.330:                              ;   in Loop: Header=BB911_215 Depth=1
	v_lshrrev_b32_e32 v46, 24, v44
	v_cmp_ne_u32_e32 vcc, s9, v46
	v_mov_b32_e32 v61, 0xffff8000
	s_and_saveexec_b64 s[14:15], vcc
	s_cbranch_execz .LBB911_334
; %bb.331:                              ;   in Loop: Header=BB911_215 Depth=1
	v_bfe_u32 v44, v44, 24, 7
	v_cmp_ne_u32_e32 vcc, s21, v44
	v_mov_b32_e32 v61, 0x7f80
	s_and_saveexec_b64 s[16:17], vcc
	s_cbranch_execz .LBB911_333
; %bb.332:                              ;   in Loop: Header=BB911_215 Depth=1
	v_and_b32_e32 v61, 7, v46
	v_ffbh_u32_e32 v62, v61
	v_min_u32_e32 v65, 32, v62
	v_subrev_u32_e32 v62, 28, v65
	v_lshlrev_b64 v[62:63], v62, v[46:47]
	v_lshrrev_b32_e32 v64, 3, v44
	v_sub_u32_e32 v63, 29, v65
	v_and_b32_e32 v62, 7, v62
	v_cmp_gt_u32_e32 vcc, 8, v44
	v_cndmask_b32_e32 v44, v64, v63, vcc
	v_cndmask_b32_e32 v61, v61, v62, vcc
	v_lshlrev_b32_e32 v46, 24, v46
	v_lshlrev_b32_e32 v61, 20, v61
	v_and_b32_e32 v46, 0x80000000, v46
	v_lshl_add_u32 v44, v44, 23, v56
	v_or3_b32 v44, v46, v44, v61
	v_lshrrev_b32_e32 v61, 16, v44
.LBB911_333:                            ;   in Loop: Header=BB911_215 Depth=1
	s_or_b64 exec, exec, s[16:17]
.LBB911_334:                            ;   in Loop: Header=BB911_215 Depth=1
	s_or_b64 exec, exec, s[14:15]
.LBB911_335:                            ;   in Loop: Header=BB911_215 Depth=1
	s_or_b64 exec, exec, s[12:13]
	s_waitcnt vmcnt(2)
	v_cmp_ne_u16_sdwa s[14:15], v42, v55 src0_sel:BYTE_0 src1_sel:DWORD
	s_and_saveexec_b64 s[12:13], s[14:15]
	s_cbranch_execz .LBB911_341
; %bb.336:                              ;   in Loop: Header=BB911_215 Depth=1
	v_cmp_ne_u16_sdwa s[16:17], v42, s9 src0_sel:BYTE_0 src1_sel:DWORD
	v_mov_b32_e32 v60, 0xffff8000
	s_and_saveexec_b64 s[14:15], s[16:17]
	s_cbranch_execz .LBB911_340
; %bb.337:                              ;   in Loop: Header=BB911_215 Depth=1
	v_and_b32_e32 v44, 0x7f, v42
	v_cmp_ne_u32_e32 vcc, s21, v44
	v_mov_b32_e32 v60, 0x7f80
	s_and_saveexec_b64 s[16:17], vcc
	s_cbranch_execz .LBB911_339
; %bb.338:                              ;   in Loop: Header=BB911_215 Depth=1
	v_and_b32_e32 v46, 7, v42
	v_ffbh_u32_e32 v62, v46
	v_min_u32_e32 v64, 32, v62
	v_subrev_u32_e32 v62, 28, v64
	v_lshlrev_b64 v[62:63], v62, v[42:43]
	v_lshrrev_b32_e32 v60, 3, v44
	v_sub_u32_e32 v63, 29, v64
	v_and_b32_e32 v62, 7, v62
	v_cmp_gt_u32_e32 vcc, 8, v44
	v_cndmask_b32_e32 v44, v60, v63, vcc
	v_cndmask_b32_e32 v46, v46, v62, vcc
	v_lshlrev_b32_e32 v60, 24, v42
	v_lshlrev_b32_e32 v46, 20, v46
	v_and_b32_e32 v60, 0x80000000, v60
	v_lshl_add_u32 v44, v44, 23, v56
	v_or3_b32 v44, v60, v44, v46
	v_lshrrev_b32_e32 v60, 16, v44
.LBB911_339:                            ;   in Loop: Header=BB911_215 Depth=1
	s_or_b64 exec, exec, s[16:17]
.LBB911_340:                            ;   in Loop: Header=BB911_215 Depth=1
	s_or_b64 exec, exec, s[14:15]
.LBB911_341:                            ;   in Loop: Header=BB911_215 Depth=1
	s_or_b64 exec, exec, s[12:13]
	v_lshrrev_b16_e32 v44, 8, v42
	v_cmp_ne_u16_e32 vcc, 0, v44
	v_mov_b32_e32 v63, 0
	v_mov_b32_e32 v62, 0
	s_and_saveexec_b64 s[12:13], vcc
	s_cbranch_execz .LBB911_347
; %bb.342:                              ;   in Loop: Header=BB911_215 Depth=1
	v_cmp_ne_u16_e32 vcc, s9, v44
	v_mov_b32_e32 v62, 0xffff8000
	s_and_saveexec_b64 s[14:15], vcc
	s_cbranch_execz .LBB911_346
; %bb.343:                              ;   in Loop: Header=BB911_215 Depth=1
	v_and_b32_e32 v46, 0x7f, v44
	v_cmp_ne_u32_e32 vcc, s21, v46
	v_mov_b32_e32 v62, 0x7f80
	s_and_saveexec_b64 s[16:17], vcc
	s_cbranch_execz .LBB911_345
; %bb.344:                              ;   in Loop: Header=BB911_215 Depth=1
	v_and_b32_e32 v62, 7, v44
	v_ffbh_u32_e32 v64, v62
	v_min_u32_e32 v67, 32, v64
	v_subrev_u32_e32 v64, 28, v67
	v_lshlrev_b64 v[64:65], v64, v[44:45]
	v_lshrrev_b32_e32 v66, 3, v46
	v_sub_u32_e32 v44, 29, v67
	v_and_b32_e32 v64, 7, v64
	v_cmp_gt_u32_e32 vcc, 8, v46
	v_cndmask_b32_e32 v44, v66, v44, vcc
	v_cndmask_b32_e32 v46, v62, v64, vcc
	v_lshlrev_b32_e32 v62, 16, v42
	v_lshlrev_b32_e32 v46, 20, v46
	v_and_b32_e32 v62, 0x80000000, v62
	v_lshl_add_u32 v44, v44, 23, v56
	v_or3_b32 v44, v62, v44, v46
	v_lshrrev_b32_e32 v62, 16, v44
.LBB911_345:                            ;   in Loop: Header=BB911_215 Depth=1
	s_or_b64 exec, exec, s[16:17]
.LBB911_346:                            ;   in Loop: Header=BB911_215 Depth=1
	s_or_b64 exec, exec, s[14:15]
.LBB911_347:                            ;   in Loop: Header=BB911_215 Depth=1
	s_or_b64 exec, exec, s[12:13]
	v_lshrrev_b32_e32 v44, 16, v42
	v_cmp_ne_u16_sdwa s[14:15], v44, v55 src0_sel:BYTE_0 src1_sel:DWORD
	s_and_saveexec_b64 s[12:13], s[14:15]
	s_cbranch_execz .LBB911_353
; %bb.348:                              ;   in Loop: Header=BB911_215 Depth=1
	v_cmp_ne_u16_sdwa s[16:17], v44, s9 src0_sel:BYTE_0 src1_sel:DWORD
	v_mov_b32_e32 v63, 0xffff8000
	s_and_saveexec_b64 s[14:15], s[16:17]
	s_cbranch_execz .LBB911_352
; %bb.349:                              ;   in Loop: Header=BB911_215 Depth=1
	v_bfe_u32 v46, v42, 16, 7
	v_cmp_ne_u32_e32 vcc, s21, v46
	v_mov_b32_e32 v63, 0x7f80
	s_and_saveexec_b64 s[16:17], vcc
	s_cbranch_execz .LBB911_351
; %bb.350:                              ;   in Loop: Header=BB911_215 Depth=1
	v_and_b32_e32 v63, 7, v44
	v_ffbh_u32_e32 v64, v63
	v_min_u32_e32 v67, 32, v64
	v_subrev_u32_e32 v64, 28, v67
	v_lshlrev_b64 v[64:65], v64, v[44:45]
	v_lshrrev_b32_e32 v66, 3, v46
	v_sub_u32_e32 v65, 29, v67
	v_and_b32_e32 v64, 7, v64
	v_cmp_gt_u32_e32 vcc, 8, v46
	v_cndmask_b32_e32 v46, v66, v65, vcc
	v_cndmask_b32_e32 v63, v63, v64, vcc
	v_lshlrev_b32_e32 v44, 24, v44
	v_lshlrev_b32_e32 v63, 20, v63
	v_and_b32_e32 v44, 0x80000000, v44
	v_lshl_add_u32 v46, v46, 23, v56
	v_or3_b32 v44, v44, v46, v63
	v_lshrrev_b32_e32 v63, 16, v44
.LBB911_351:                            ;   in Loop: Header=BB911_215 Depth=1
	s_or_b64 exec, exec, s[16:17]
.LBB911_352:                            ;   in Loop: Header=BB911_215 Depth=1
	s_or_b64 exec, exec, s[14:15]
.LBB911_353:                            ;   in Loop: Header=BB911_215 Depth=1
	s_or_b64 exec, exec, s[12:13]
	v_cmp_lt_u32_e32 vcc, s22, v42
	v_mov_b32_e32 v46, 0
	v_mov_b32_e32 v64, 0
	s_and_saveexec_b64 s[12:13], vcc
	s_cbranch_execz .LBB911_359
; %bb.354:                              ;   in Loop: Header=BB911_215 Depth=1
	v_lshrrev_b32_e32 v44, 24, v42
	v_cmp_ne_u32_e32 vcc, s9, v44
	v_mov_b32_e32 v64, 0xffff8000
	s_and_saveexec_b64 s[14:15], vcc
	s_cbranch_execz .LBB911_358
; %bb.355:                              ;   in Loop: Header=BB911_215 Depth=1
	v_bfe_u32 v42, v42, 24, 7
	v_cmp_ne_u32_e32 vcc, s21, v42
	v_mov_b32_e32 v64, 0x7f80
	s_and_saveexec_b64 s[16:17], vcc
	s_cbranch_execz .LBB911_357
; %bb.356:                              ;   in Loop: Header=BB911_215 Depth=1
	v_and_b32_e32 v66, 7, v44
	v_ffbh_u32_e32 v64, v66
	v_min_u32_e32 v68, 32, v64
	v_subrev_u32_e32 v64, 28, v68
	v_lshlrev_b64 v[64:65], v64, v[44:45]
	v_lshrrev_b32_e32 v67, 3, v42
	v_sub_u32_e32 v65, 29, v68
	v_and_b32_e32 v64, 7, v64
	v_cmp_gt_u32_e32 vcc, 8, v42
	v_cndmask_b32_e32 v42, v67, v65, vcc
	v_cndmask_b32_e32 v64, v66, v64, vcc
	v_lshlrev_b32_e32 v44, 24, v44
	v_lshlrev_b32_e32 v64, 20, v64
	v_and_b32_e32 v44, 0x80000000, v44
	v_lshl_add_u32 v42, v42, 23, v56
	v_or3_b32 v42, v44, v42, v64
	v_lshrrev_b32_e32 v64, 16, v42
.LBB911_357:                            ;   in Loop: Header=BB911_215 Depth=1
	s_or_b64 exec, exec, s[16:17]
.LBB911_358:                            ;   in Loop: Header=BB911_215 Depth=1
	s_or_b64 exec, exec, s[14:15]
.LBB911_359:                            ;   in Loop: Header=BB911_215 Depth=1
	s_or_b64 exec, exec, s[12:13]
	v_perm_b32 v59, v61, v59, s23
	v_perm_b32 v58, v58, v57, s23
	s_waitcnt vmcnt(1)
	v_cmp_ne_u16_sdwa s[14:15], v40, v55 src0_sel:BYTE_0 src1_sel:DWORD
	v_mfma_f32_16x16x16bf16_1k v[34:37], v[58:59], v[10:11], v[34:37]
	v_perm_b32 v59, v64, v63, s23
	v_perm_b32 v58, v62, v60, s23
	s_nop 1
	v_mfma_f32_16x16x16bf16_1k v[34:37], v[58:59], v[12:13], v[34:37]
	s_and_saveexec_b64 s[12:13], s[14:15]
	s_cbranch_execz .LBB911_365
; %bb.360:                              ;   in Loop: Header=BB911_215 Depth=1
	v_cmp_ne_u16_sdwa s[16:17], v40, s9 src0_sel:BYTE_0 src1_sel:DWORD
	v_mov_b32_e32 v46, 0xffff8000
	s_and_saveexec_b64 s[14:15], s[16:17]
	s_cbranch_execz .LBB911_364
; %bb.361:                              ;   in Loop: Header=BB911_215 Depth=1
	v_and_b32_e32 v42, 0x7f, v40
	v_cmp_ne_u32_e32 vcc, s21, v42
	v_mov_b32_e32 v46, 0x7f80
	s_and_saveexec_b64 s[16:17], vcc
	s_cbranch_execz .LBB911_363
; %bb.362:                              ;   in Loop: Header=BB911_215 Depth=1
	v_and_b32_e32 v44, 7, v40
	v_ffbh_u32_e32 v57, v44
	v_min_u32_e32 v57, 32, v57
	v_subrev_u32_e32 v58, 28, v57
	v_lshlrev_b64 v[58:59], v58, v[40:41]
	v_lshrrev_b32_e32 v46, 3, v42
	v_sub_u32_e32 v57, 29, v57
	v_and_b32_e32 v58, 7, v58
	v_cmp_gt_u32_e32 vcc, 8, v42
	v_cndmask_b32_e32 v42, v46, v57, vcc
	v_cndmask_b32_e32 v44, v44, v58, vcc
	v_lshlrev_b32_e32 v46, 24, v40
	v_lshlrev_b32_e32 v44, 20, v44
	v_and_b32_e32 v46, 0x80000000, v46
	v_lshl_add_u32 v42, v42, 23, v56
	v_or3_b32 v42, v46, v42, v44
	v_lshrrev_b32_e32 v46, 16, v42
.LBB911_363:                            ;   in Loop: Header=BB911_215 Depth=1
	s_or_b64 exec, exec, s[16:17]
.LBB911_364:                            ;   in Loop: Header=BB911_215 Depth=1
	s_or_b64 exec, exec, s[14:15]
.LBB911_365:                            ;   in Loop: Header=BB911_215 Depth=1
	s_or_b64 exec, exec, s[12:13]
	v_lshrrev_b16_e32 v42, 8, v40
	v_cmp_ne_u16_e32 vcc, 0, v42
	v_mov_b32_e32 v58, 0
	v_mov_b32_e32 v44, 0
	s_and_saveexec_b64 s[12:13], vcc
	s_cbranch_execz .LBB911_371
; %bb.366:                              ;   in Loop: Header=BB911_215 Depth=1
	v_cmp_ne_u16_e32 vcc, s9, v42
	v_mov_b32_e32 v44, 0xffff8000
	s_and_saveexec_b64 s[14:15], vcc
	s_cbranch_execz .LBB911_370
; %bb.367:                              ;   in Loop: Header=BB911_215 Depth=1
	v_and_b32_e32 v57, 0x7f, v42
	v_cmp_ne_u32_e32 vcc, s21, v57
	v_mov_b32_e32 v44, 0x7f80
	s_and_saveexec_b64 s[16:17], vcc
	s_cbranch_execz .LBB911_369
; %bb.368:                              ;   in Loop: Header=BB911_215 Depth=1
	v_and_b32_e32 v44, 7, v42
	v_ffbh_u32_e32 v60, v44
	v_min_u32_e32 v62, 32, v60
	v_subrev_u32_e32 v60, 28, v62
	v_lshlrev_b64 v[60:61], v60, v[42:43]
	v_lshrrev_b32_e32 v59, 3, v57
	v_sub_u32_e32 v42, 29, v62
	v_and_b32_e32 v60, 7, v60
	v_cmp_gt_u32_e32 vcc, 8, v57
	v_cndmask_b32_e32 v42, v59, v42, vcc
	v_cndmask_b32_e32 v44, v44, v60, vcc
	v_lshlrev_b32_e32 v57, 16, v40
	v_lshlrev_b32_e32 v44, 20, v44
	v_and_b32_e32 v57, 0x80000000, v57
	v_lshl_add_u32 v42, v42, 23, v56
	v_or3_b32 v42, v57, v42, v44
	v_lshrrev_b32_e32 v44, 16, v42
.LBB911_369:                            ;   in Loop: Header=BB911_215 Depth=1
	s_or_b64 exec, exec, s[16:17]
.LBB911_370:                            ;   in Loop: Header=BB911_215 Depth=1
	s_or_b64 exec, exec, s[14:15]
.LBB911_371:                            ;   in Loop: Header=BB911_215 Depth=1
	s_or_b64 exec, exec, s[12:13]
	v_lshrrev_b32_e32 v42, 16, v40
	v_cmp_ne_u16_sdwa s[14:15], v42, v55 src0_sel:BYTE_0 src1_sel:DWORD
	s_and_saveexec_b64 s[12:13], s[14:15]
	s_cbranch_execz .LBB911_377
; %bb.372:                              ;   in Loop: Header=BB911_215 Depth=1
	v_cmp_ne_u16_sdwa s[16:17], v42, s9 src0_sel:BYTE_0 src1_sel:DWORD
	v_mov_b32_e32 v58, 0xffff8000
	s_and_saveexec_b64 s[14:15], s[16:17]
	s_cbranch_execz .LBB911_376
; %bb.373:                              ;   in Loop: Header=BB911_215 Depth=1
	v_bfe_u32 v57, v40, 16, 7
	v_cmp_ne_u32_e32 vcc, s21, v57
	v_mov_b32_e32 v58, 0x7f80
	s_and_saveexec_b64 s[16:17], vcc
	s_cbranch_execz .LBB911_375
; %bb.374:                              ;   in Loop: Header=BB911_215 Depth=1
	v_and_b32_e32 v60, 7, v42
	v_ffbh_u32_e32 v58, v60
	v_min_u32_e32 v62, 32, v58
	v_subrev_u32_e32 v58, 28, v62
	v_lshlrev_b64 v[58:59], v58, v[42:43]
	v_lshrrev_b32_e32 v61, 3, v57
	v_sub_u32_e32 v59, 29, v62
	v_and_b32_e32 v58, 7, v58
	v_cmp_gt_u32_e32 vcc, 8, v57
	v_cndmask_b32_e32 v57, v61, v59, vcc
	v_cndmask_b32_e32 v58, v60, v58, vcc
	v_lshlrev_b32_e32 v42, 24, v42
	v_lshlrev_b32_e32 v58, 20, v58
	v_and_b32_e32 v42, 0x80000000, v42
	v_lshl_add_u32 v57, v57, 23, v56
	v_or3_b32 v42, v42, v57, v58
	v_lshrrev_b32_e32 v58, 16, v42
.LBB911_375:                            ;   in Loop: Header=BB911_215 Depth=1
	s_or_b64 exec, exec, s[16:17]
.LBB911_376:                            ;   in Loop: Header=BB911_215 Depth=1
	s_or_b64 exec, exec, s[14:15]
.LBB911_377:                            ;   in Loop: Header=BB911_215 Depth=1
	s_or_b64 exec, exec, s[12:13]
	v_cmp_lt_u32_e32 vcc, s22, v40
	v_mov_b32_e32 v59, 0
	v_mov_b32_e32 v60, 0
	s_and_saveexec_b64 s[12:13], vcc
	s_cbranch_execz .LBB911_383
; %bb.378:                              ;   in Loop: Header=BB911_215 Depth=1
	v_lshrrev_b32_e32 v42, 24, v40
	v_cmp_ne_u32_e32 vcc, s9, v42
	v_mov_b32_e32 v60, 0xffff8000
	s_and_saveexec_b64 s[14:15], vcc
	s_cbranch_execz .LBB911_382
; %bb.379:                              ;   in Loop: Header=BB911_215 Depth=1
	v_bfe_u32 v40, v40, 24, 7
	v_cmp_ne_u32_e32 vcc, s21, v40
	v_mov_b32_e32 v60, 0x7f80
	s_and_saveexec_b64 s[16:17], vcc
	s_cbranch_execz .LBB911_381
; %bb.380:                              ;   in Loop: Header=BB911_215 Depth=1
	v_and_b32_e32 v57, 7, v42
	v_ffbh_u32_e32 v60, v57
	v_min_u32_e32 v63, 32, v60
	v_subrev_u32_e32 v60, 28, v63
	v_lshlrev_b64 v[60:61], v60, v[42:43]
	v_lshrrev_b32_e32 v62, 3, v40
	v_sub_u32_e32 v61, 29, v63
	v_and_b32_e32 v60, 7, v60
	v_cmp_gt_u32_e32 vcc, 8, v40
	v_cndmask_b32_e32 v40, v62, v61, vcc
	v_cndmask_b32_e32 v57, v57, v60, vcc
	v_lshlrev_b32_e32 v42, 24, v42
	v_lshlrev_b32_e32 v57, 20, v57
	v_and_b32_e32 v42, 0x80000000, v42
	v_lshl_add_u32 v40, v40, 23, v56
	v_or3_b32 v40, v42, v40, v57
	v_lshrrev_b32_e32 v60, 16, v40
.LBB911_381:                            ;   in Loop: Header=BB911_215 Depth=1
	s_or_b64 exec, exec, s[16:17]
.LBB911_382:                            ;   in Loop: Header=BB911_215 Depth=1
	s_or_b64 exec, exec, s[14:15]
.LBB911_383:                            ;   in Loop: Header=BB911_215 Depth=1
	s_or_b64 exec, exec, s[12:13]
	s_waitcnt vmcnt(0)
	v_cmp_ne_u16_sdwa s[14:15], v38, v55 src0_sel:BYTE_0 src1_sel:DWORD
	s_and_saveexec_b64 s[12:13], s[14:15]
	s_cbranch_execz .LBB911_389
; %bb.384:                              ;   in Loop: Header=BB911_215 Depth=1
	v_cmp_ne_u16_sdwa s[16:17], v38, s9 src0_sel:BYTE_0 src1_sel:DWORD
	v_mov_b32_e32 v59, 0xffff8000
	s_and_saveexec_b64 s[14:15], s[16:17]
	s_cbranch_execz .LBB911_388
; %bb.385:                              ;   in Loop: Header=BB911_215 Depth=1
	v_and_b32_e32 v40, 0x7f, v38
	v_cmp_ne_u32_e32 vcc, s21, v40
	v_mov_b32_e32 v59, 0x7f80
	s_and_saveexec_b64 s[16:17], vcc
	s_cbranch_execz .LBB911_387
; %bb.386:                              ;   in Loop: Header=BB911_215 Depth=1
	v_and_b32_e32 v42, 7, v38
	v_ffbh_u32_e32 v59, v42
	v_min_u32_e32 v59, 32, v59
	v_subrev_u32_e32 v61, 28, v59
	v_lshlrev_b64 v[62:63], v61, v[38:39]
	v_lshrrev_b32_e32 v57, 3, v40
	v_sub_u32_e32 v59, 29, v59
	v_and_b32_e32 v61, 7, v62
	v_cmp_gt_u32_e32 vcc, 8, v40
	v_cndmask_b32_e32 v40, v57, v59, vcc
	v_cndmask_b32_e32 v42, v42, v61, vcc
	v_lshlrev_b32_e32 v57, 24, v38
	v_lshlrev_b32_e32 v42, 20, v42
	v_and_b32_e32 v57, 0x80000000, v57
	v_lshl_add_u32 v40, v40, 23, v56
	v_or3_b32 v40, v57, v40, v42
	v_lshrrev_b32_e32 v59, 16, v40
.LBB911_387:                            ;   in Loop: Header=BB911_215 Depth=1
	s_or_b64 exec, exec, s[16:17]
.LBB911_388:                            ;   in Loop: Header=BB911_215 Depth=1
	s_or_b64 exec, exec, s[14:15]
.LBB911_389:                            ;   in Loop: Header=BB911_215 Depth=1
	s_or_b64 exec, exec, s[12:13]
	v_lshrrev_b16_e32 v40, 8, v38
	v_cmp_ne_u16_e32 vcc, 0, v40
	v_mov_b32_e32 v62, 0
	v_mov_b32_e32 v61, 0
	s_and_saveexec_b64 s[12:13], vcc
	s_cbranch_execz .LBB911_395
; %bb.390:                              ;   in Loop: Header=BB911_215 Depth=1
	v_cmp_ne_u16_e32 vcc, s9, v40
	v_mov_b32_e32 v61, 0xffff8000
	s_and_saveexec_b64 s[14:15], vcc
	s_cbranch_execz .LBB911_394
; %bb.391:                              ;   in Loop: Header=BB911_215 Depth=1
	v_and_b32_e32 v42, 0x7f, v40
	v_cmp_ne_u32_e32 vcc, s21, v42
	v_mov_b32_e32 v61, 0x7f80
	s_and_saveexec_b64 s[16:17], vcc
	s_cbranch_execz .LBB911_393
; %bb.392:                              ;   in Loop: Header=BB911_215 Depth=1
	v_and_b32_e32 v57, 7, v40
	v_ffbh_u32_e32 v63, v57
	v_min_u32_e32 v63, 32, v63
	v_subrev_u32_e32 v64, 28, v63
	v_lshlrev_b64 v[64:65], v64, v[40:41]
	v_lshrrev_b32_e32 v61, 3, v42
	v_sub_u32_e32 v40, 29, v63
	v_and_b32_e32 v63, 7, v64
	v_cmp_gt_u32_e32 vcc, 8, v42
	v_cndmask_b32_e32 v40, v61, v40, vcc
	v_cndmask_b32_e32 v42, v57, v63, vcc
	v_lshlrev_b32_e32 v57, 16, v38
	v_lshlrev_b32_e32 v42, 20, v42
	v_and_b32_e32 v57, 0x80000000, v57
	v_lshl_add_u32 v40, v40, 23, v56
	v_or3_b32 v40, v57, v40, v42
	v_lshrrev_b32_e32 v61, 16, v40
.LBB911_393:                            ;   in Loop: Header=BB911_215 Depth=1
	s_or_b64 exec, exec, s[16:17]
.LBB911_394:                            ;   in Loop: Header=BB911_215 Depth=1
	s_or_b64 exec, exec, s[14:15]
.LBB911_395:                            ;   in Loop: Header=BB911_215 Depth=1
	s_or_b64 exec, exec, s[12:13]
	v_lshrrev_b32_e32 v40, 16, v38
	v_cmp_ne_u16_sdwa s[14:15], v40, v55 src0_sel:BYTE_0 src1_sel:DWORD
	s_and_saveexec_b64 s[12:13], s[14:15]
	s_cbranch_execz .LBB911_401
; %bb.396:                              ;   in Loop: Header=BB911_215 Depth=1
	v_cmp_ne_u16_sdwa s[16:17], v40, s9 src0_sel:BYTE_0 src1_sel:DWORD
	v_mov_b32_e32 v62, 0xffff8000
	s_and_saveexec_b64 s[14:15], s[16:17]
	s_cbranch_execz .LBB911_400
; %bb.397:                              ;   in Loop: Header=BB911_215 Depth=1
	v_bfe_u32 v42, v38, 16, 7
	v_cmp_ne_u32_e32 vcc, s21, v42
	v_mov_b32_e32 v62, 0x7f80
	s_and_saveexec_b64 s[16:17], vcc
	s_cbranch_execz .LBB911_399
; %bb.398:                              ;   in Loop: Header=BB911_215 Depth=1
	v_and_b32_e32 v57, 7, v40
	v_ffbh_u32_e32 v62, v57
	v_min_u32_e32 v65, 32, v62
	v_subrev_u32_e32 v62, 28, v65
	v_lshlrev_b64 v[62:63], v62, v[40:41]
	v_lshrrev_b32_e32 v64, 3, v42
	v_sub_u32_e32 v63, 29, v65
	v_and_b32_e32 v62, 7, v62
	v_cmp_gt_u32_e32 vcc, 8, v42
	v_cndmask_b32_e32 v42, v64, v63, vcc
	v_cndmask_b32_e32 v57, v57, v62, vcc
	v_lshlrev_b32_e32 v40, 24, v40
	v_lshlrev_b32_e32 v57, 20, v57
	v_and_b32_e32 v40, 0x80000000, v40
	v_lshl_add_u32 v42, v42, 23, v56
	v_or3_b32 v40, v40, v42, v57
	v_lshrrev_b32_e32 v62, 16, v40
.LBB911_399:                            ;   in Loop: Header=BB911_215 Depth=1
	s_or_b64 exec, exec, s[16:17]
.LBB911_400:                            ;   in Loop: Header=BB911_215 Depth=1
	s_or_b64 exec, exec, s[14:15]
.LBB911_401:                            ;   in Loop: Header=BB911_215 Depth=1
	s_or_b64 exec, exec, s[12:13]
	v_cmp_lt_u32_e32 vcc, s22, v38
	v_mov_b32_e32 v57, 0
	v_mov_b32_e32 v63, 0
	s_and_saveexec_b64 s[12:13], vcc
	s_cbranch_execz .LBB911_407
; %bb.402:                              ;   in Loop: Header=BB911_215 Depth=1
	v_lshrrev_b32_e32 v40, 24, v38
	v_cmp_ne_u32_e32 vcc, s9, v40
	v_mov_b32_e32 v63, 0xffff8000
	s_and_saveexec_b64 s[14:15], vcc
	s_cbranch_execz .LBB911_406
; %bb.403:                              ;   in Loop: Header=BB911_215 Depth=1
	v_bfe_u32 v38, v38, 24, 7
	v_cmp_ne_u32_e32 vcc, s21, v38
	v_mov_b32_e32 v63, 0x7f80
	s_and_saveexec_b64 s[16:17], vcc
	s_cbranch_execz .LBB911_405
; %bb.404:                              ;   in Loop: Header=BB911_215 Depth=1
	v_and_b32_e32 v42, 7, v40
	v_ffbh_u32_e32 v64, v42
	v_min_u32_e32 v66, 32, v64
	v_subrev_u32_e32 v64, 28, v66
	v_lshlrev_b64 v[64:65], v64, v[40:41]
	v_lshrrev_b32_e32 v63, 3, v38
	v_sub_u32_e32 v65, 29, v66
	v_and_b32_e32 v64, 7, v64
	v_cmp_gt_u32_e32 vcc, 8, v38
	v_cndmask_b32_e32 v38, v63, v65, vcc
	v_cndmask_b32_e32 v42, v42, v64, vcc
	v_lshlrev_b32_e32 v40, 24, v40
	v_lshlrev_b32_e32 v42, 20, v42
	v_and_b32_e32 v40, 0x80000000, v40
	v_lshl_add_u32 v38, v38, 23, v56
	v_or3_b32 v38, v40, v38, v42
	v_lshrrev_b32_e32 v63, 16, v38
.LBB911_405:                            ;   in Loop: Header=BB911_215 Depth=1
	s_or_b64 exec, exec, s[16:17]
.LBB911_406:                            ;   in Loop: Header=BB911_215 Depth=1
	s_or_b64 exec, exec, s[14:15]
.LBB911_407:                            ;   in Loop: Header=BB911_215 Depth=1
	s_or_b64 exec, exec, s[12:13]
	v_perm_b32 v64, v44, v46, s23
	buffer_load_dword v44, v52, s[0:3], 0 offen
	buffer_load_dword v42, v52, s[0:3], 0 offen offset:4
	buffer_load_dword v40, v52, s[0:3], 0 offen offset:8
	;; [unrolled: 1-line block ×3, first 2 shown]
	v_perm_b32 v65, v60, v58, s23
	v_perm_b32 v63, v63, v62, s23
	;; [unrolled: 1-line block ×3, first 2 shown]
	v_mfma_f32_16x16x16bf16_1k v[34:37], v[64:65], v[14:15], v[34:37]
	s_waitcnt vmcnt(3)
	v_cmp_ne_u16_sdwa s[14:15], v44, v55 src0_sel:BYTE_0 src1_sel:DWORD
	v_mfma_f32_16x16x16bf16_1k v[34:37], v[62:63], v[16:17], v[34:37]
	s_and_saveexec_b64 s[12:13], s[14:15]
	s_cbranch_execz .LBB911_413
; %bb.408:                              ;   in Loop: Header=BB911_215 Depth=1
	v_cmp_ne_u16_sdwa s[16:17], v44, s9 src0_sel:BYTE_0 src1_sel:DWORD
	v_mov_b32_e32 v57, 0xffff8000
	s_and_saveexec_b64 s[14:15], s[16:17]
	s_cbranch_execz .LBB911_412
; %bb.409:                              ;   in Loop: Header=BB911_215 Depth=1
	v_and_b32_e32 v46, 0x7f, v44
	v_cmp_ne_u32_e32 vcc, s21, v46
	v_mov_b32_e32 v57, 0x7f80
	s_and_saveexec_b64 s[16:17], vcc
	s_cbranch_execz .LBB911_411
; %bb.410:                              ;   in Loop: Header=BB911_215 Depth=1
	v_and_b32_e32 v52, 7, v44
	v_ffbh_u32_e32 v58, v52
	v_min_u32_e32 v60, 32, v58
	v_subrev_u32_e32 v58, 28, v60
	v_lshlrev_b64 v[58:59], v58, v[44:45]
	v_lshrrev_b32_e32 v57, 3, v46
	v_sub_u32_e32 v59, 29, v60
	v_and_b32_e32 v58, 7, v58
	v_cmp_gt_u32_e32 vcc, 8, v46
	v_cndmask_b32_e32 v46, v57, v59, vcc
	v_cndmask_b32_e32 v52, v52, v58, vcc
	v_lshlrev_b32_e32 v57, 24, v44
	v_lshlrev_b32_e32 v52, 20, v52
	v_and_b32_e32 v57, 0x80000000, v57
	v_lshl_add_u32 v46, v46, 23, v56
	v_or3_b32 v46, v57, v46, v52
	v_lshrrev_b32_e32 v57, 16, v46
.LBB911_411:                            ;   in Loop: Header=BB911_215 Depth=1
	s_or_b64 exec, exec, s[16:17]
.LBB911_412:                            ;   in Loop: Header=BB911_215 Depth=1
	s_or_b64 exec, exec, s[14:15]
.LBB911_413:                            ;   in Loop: Header=BB911_215 Depth=1
	s_or_b64 exec, exec, s[12:13]
	v_lshrrev_b16_e32 v46, 8, v44
	v_cmp_ne_u16_e32 vcc, 0, v46
	v_mov_b32_e32 v58, 0
	v_mov_b32_e32 v52, 0
	s_and_saveexec_b64 s[12:13], vcc
	s_cbranch_execz .LBB911_419
; %bb.414:                              ;   in Loop: Header=BB911_215 Depth=1
	v_cmp_ne_u16_e32 vcc, s9, v46
	v_mov_b32_e32 v52, 0xffff8000
	s_and_saveexec_b64 s[14:15], vcc
	s_cbranch_execz .LBB911_418
; %bb.415:                              ;   in Loop: Header=BB911_215 Depth=1
	v_and_b32_e32 v59, 0x7f, v46
	v_cmp_ne_u32_e32 vcc, s21, v59
	v_mov_b32_e32 v52, 0x7f80
	s_and_saveexec_b64 s[16:17], vcc
	s_cbranch_execz .LBB911_417
; %bb.416:                              ;   in Loop: Header=BB911_215 Depth=1
	v_and_b32_e32 v52, 7, v46
	v_ffbh_u32_e32 v60, v52
	v_min_u32_e32 v63, 32, v60
	v_subrev_u32_e32 v60, 28, v63
	v_lshlrev_b64 v[60:61], v60, v[46:47]
	v_lshrrev_b32_e32 v62, 3, v59
	v_sub_u32_e32 v46, 29, v63
	v_and_b32_e32 v60, 7, v60
	v_cmp_gt_u32_e32 vcc, 8, v59
	v_cndmask_b32_e32 v46, v62, v46, vcc
	v_cndmask_b32_e32 v52, v52, v60, vcc
	v_lshlrev_b32_e32 v59, 16, v44
	v_lshlrev_b32_e32 v52, 20, v52
	v_and_b32_e32 v59, 0x80000000, v59
	v_lshl_add_u32 v46, v46, 23, v56
	v_or3_b32 v46, v59, v46, v52
	v_lshrrev_b32_e32 v52, 16, v46
.LBB911_417:                            ;   in Loop: Header=BB911_215 Depth=1
	s_or_b64 exec, exec, s[16:17]
.LBB911_418:                            ;   in Loop: Header=BB911_215 Depth=1
	s_or_b64 exec, exec, s[14:15]
.LBB911_419:                            ;   in Loop: Header=BB911_215 Depth=1
	s_or_b64 exec, exec, s[12:13]
	v_lshrrev_b32_e32 v46, 16, v44
	v_cmp_ne_u16_sdwa s[14:15], v46, v55 src0_sel:BYTE_0 src1_sel:DWORD
	s_and_saveexec_b64 s[12:13], s[14:15]
	s_cbranch_execz .LBB911_425
; %bb.420:                              ;   in Loop: Header=BB911_215 Depth=1
	v_cmp_ne_u16_sdwa s[16:17], v46, s9 src0_sel:BYTE_0 src1_sel:DWORD
	v_mov_b32_e32 v58, 0xffff8000
	s_and_saveexec_b64 s[14:15], s[16:17]
	s_cbranch_execz .LBB911_424
; %bb.421:                              ;   in Loop: Header=BB911_215 Depth=1
	v_bfe_u32 v59, v44, 16, 7
	v_cmp_ne_u32_e32 vcc, s21, v59
	v_mov_b32_e32 v58, 0x7f80
	s_and_saveexec_b64 s[16:17], vcc
	s_cbranch_execz .LBB911_423
; %bb.422:                              ;   in Loop: Header=BB911_215 Depth=1
	v_and_b32_e32 v58, 7, v46
	v_ffbh_u32_e32 v60, v58
	v_min_u32_e32 v63, 32, v60
	v_subrev_u32_e32 v60, 28, v63
	v_lshlrev_b64 v[60:61], v60, v[46:47]
	v_lshrrev_b32_e32 v62, 3, v59
	v_sub_u32_e32 v61, 29, v63
	v_and_b32_e32 v60, 7, v60
	v_cmp_gt_u32_e32 vcc, 8, v59
	v_cndmask_b32_e32 v59, v62, v61, vcc
	v_cndmask_b32_e32 v58, v58, v60, vcc
	v_lshlrev_b32_e32 v46, 24, v46
	v_lshlrev_b32_e32 v58, 20, v58
	v_and_b32_e32 v46, 0x80000000, v46
	v_lshl_add_u32 v59, v59, 23, v56
	v_or3_b32 v46, v46, v59, v58
	v_lshrrev_b32_e32 v58, 16, v46
.LBB911_423:                            ;   in Loop: Header=BB911_215 Depth=1
	s_or_b64 exec, exec, s[16:17]
.LBB911_424:                            ;   in Loop: Header=BB911_215 Depth=1
	s_or_b64 exec, exec, s[14:15]
.LBB911_425:                            ;   in Loop: Header=BB911_215 Depth=1
	s_or_b64 exec, exec, s[12:13]
	v_cmp_lt_u32_e32 vcc, s22, v44
	v_mov_b32_e32 v59, 0
	v_mov_b32_e32 v60, 0
	s_and_saveexec_b64 s[12:13], vcc
	s_cbranch_execz .LBB911_431
; %bb.426:                              ;   in Loop: Header=BB911_215 Depth=1
	v_lshrrev_b32_e32 v46, 24, v44
	v_cmp_ne_u32_e32 vcc, s9, v46
	v_mov_b32_e32 v60, 0xffff8000
	s_and_saveexec_b64 s[14:15], vcc
	s_cbranch_execz .LBB911_430
; %bb.427:                              ;   in Loop: Header=BB911_215 Depth=1
	v_bfe_u32 v44, v44, 24, 7
	v_cmp_ne_u32_e32 vcc, s21, v44
	v_mov_b32_e32 v60, 0x7f80
	s_and_saveexec_b64 s[16:17], vcc
	s_cbranch_execz .LBB911_429
; %bb.428:                              ;   in Loop: Header=BB911_215 Depth=1
	v_and_b32_e32 v62, 7, v46
	v_ffbh_u32_e32 v60, v62
	v_min_u32_e32 v64, 32, v60
	v_subrev_u32_e32 v60, 28, v64
	v_lshlrev_b64 v[60:61], v60, v[46:47]
	v_lshrrev_b32_e32 v63, 3, v44
	v_sub_u32_e32 v61, 29, v64
	v_and_b32_e32 v60, 7, v60
	v_cmp_gt_u32_e32 vcc, 8, v44
	v_cndmask_b32_e32 v44, v63, v61, vcc
	v_cndmask_b32_e32 v60, v62, v60, vcc
	v_lshlrev_b32_e32 v46, 24, v46
	v_lshlrev_b32_e32 v60, 20, v60
	v_and_b32_e32 v46, 0x80000000, v46
	v_lshl_add_u32 v44, v44, 23, v56
	v_or3_b32 v44, v46, v44, v60
	v_lshrrev_b32_e32 v60, 16, v44
.LBB911_429:                            ;   in Loop: Header=BB911_215 Depth=1
	s_or_b64 exec, exec, s[16:17]
.LBB911_430:                            ;   in Loop: Header=BB911_215 Depth=1
	s_or_b64 exec, exec, s[14:15]
.LBB911_431:                            ;   in Loop: Header=BB911_215 Depth=1
	s_or_b64 exec, exec, s[12:13]
	s_waitcnt vmcnt(2)
	v_cmp_ne_u16_sdwa s[14:15], v42, v55 src0_sel:BYTE_0 src1_sel:DWORD
	s_and_saveexec_b64 s[12:13], s[14:15]
	s_cbranch_execz .LBB911_437
; %bb.432:                              ;   in Loop: Header=BB911_215 Depth=1
	v_cmp_ne_u16_sdwa s[16:17], v42, s9 src0_sel:BYTE_0 src1_sel:DWORD
	v_mov_b32_e32 v59, 0xffff8000
	s_and_saveexec_b64 s[14:15], s[16:17]
	s_cbranch_execz .LBB911_436
; %bb.433:                              ;   in Loop: Header=BB911_215 Depth=1
	v_and_b32_e32 v44, 0x7f, v42
	v_cmp_ne_u32_e32 vcc, s21, v44
	v_mov_b32_e32 v59, 0x7f80
	s_and_saveexec_b64 s[16:17], vcc
	s_cbranch_execz .LBB911_435
; %bb.434:                              ;   in Loop: Header=BB911_215 Depth=1
	v_and_b32_e32 v46, 7, v42
	v_ffbh_u32_e32 v61, v46
	v_min_u32_e32 v61, 32, v61
	v_subrev_u32_e32 v62, 28, v61
	v_lshlrev_b64 v[62:63], v62, v[42:43]
	v_lshrrev_b32_e32 v59, 3, v44
	v_sub_u32_e32 v61, 29, v61
	v_and_b32_e32 v62, 7, v62
	v_cmp_gt_u32_e32 vcc, 8, v44
	v_cndmask_b32_e32 v44, v59, v61, vcc
	v_cndmask_b32_e32 v46, v46, v62, vcc
	v_lshlrev_b32_e32 v59, 24, v42
	v_lshlrev_b32_e32 v46, 20, v46
	v_and_b32_e32 v59, 0x80000000, v59
	v_lshl_add_u32 v44, v44, 23, v56
	v_or3_b32 v44, v59, v44, v46
	v_lshrrev_b32_e32 v59, 16, v44
.LBB911_435:                            ;   in Loop: Header=BB911_215 Depth=1
	s_or_b64 exec, exec, s[16:17]
.LBB911_436:                            ;   in Loop: Header=BB911_215 Depth=1
	s_or_b64 exec, exec, s[14:15]
.LBB911_437:                            ;   in Loop: Header=BB911_215 Depth=1
	s_or_b64 exec, exec, s[12:13]
	v_lshrrev_b16_e32 v44, 8, v42
	v_cmp_ne_u16_e32 vcc, 0, v44
	v_mov_b32_e32 v62, 0
	v_mov_b32_e32 v61, 0
	s_and_saveexec_b64 s[12:13], vcc
	s_cbranch_execz .LBB911_443
; %bb.438:                              ;   in Loop: Header=BB911_215 Depth=1
	v_cmp_ne_u16_e32 vcc, s9, v44
	v_mov_b32_e32 v61, 0xffff8000
	s_and_saveexec_b64 s[14:15], vcc
	s_cbranch_execz .LBB911_442
; %bb.439:                              ;   in Loop: Header=BB911_215 Depth=1
	v_and_b32_e32 v46, 0x7f, v44
	v_cmp_ne_u32_e32 vcc, s21, v46
	v_mov_b32_e32 v61, 0x7f80
	s_and_saveexec_b64 s[16:17], vcc
	s_cbranch_execz .LBB911_441
; %bb.440:                              ;   in Loop: Header=BB911_215 Depth=1
	v_and_b32_e32 v61, 7, v44
	v_ffbh_u32_e32 v64, v61
	v_min_u32_e32 v66, 32, v64
	v_subrev_u32_e32 v64, 28, v66
	v_lshlrev_b64 v[64:65], v64, v[44:45]
	v_lshrrev_b32_e32 v63, 3, v46
	v_sub_u32_e32 v44, 29, v66
	v_and_b32_e32 v64, 7, v64
	v_cmp_gt_u32_e32 vcc, 8, v46
	v_cndmask_b32_e32 v44, v63, v44, vcc
	v_cndmask_b32_e32 v46, v61, v64, vcc
	v_lshlrev_b32_e32 v61, 16, v42
	v_lshlrev_b32_e32 v46, 20, v46
	v_and_b32_e32 v61, 0x80000000, v61
	v_lshl_add_u32 v44, v44, 23, v56
	v_or3_b32 v44, v61, v44, v46
	v_lshrrev_b32_e32 v61, 16, v44
.LBB911_441:                            ;   in Loop: Header=BB911_215 Depth=1
	s_or_b64 exec, exec, s[16:17]
.LBB911_442:                            ;   in Loop: Header=BB911_215 Depth=1
	s_or_b64 exec, exec, s[14:15]
.LBB911_443:                            ;   in Loop: Header=BB911_215 Depth=1
	s_or_b64 exec, exec, s[12:13]
	v_lshrrev_b32_e32 v44, 16, v42
	v_cmp_ne_u16_sdwa s[14:15], v44, v55 src0_sel:BYTE_0 src1_sel:DWORD
	s_and_saveexec_b64 s[12:13], s[14:15]
	s_cbranch_execz .LBB911_449
; %bb.444:                              ;   in Loop: Header=BB911_215 Depth=1
	v_cmp_ne_u16_sdwa s[16:17], v44, s9 src0_sel:BYTE_0 src1_sel:DWORD
	v_mov_b32_e32 v62, 0xffff8000
	s_and_saveexec_b64 s[14:15], s[16:17]
	s_cbranch_execz .LBB911_448
; %bb.445:                              ;   in Loop: Header=BB911_215 Depth=1
	v_bfe_u32 v46, v42, 16, 7
	v_cmp_ne_u32_e32 vcc, s21, v46
	v_mov_b32_e32 v62, 0x7f80
	s_and_saveexec_b64 s[16:17], vcc
	s_cbranch_execz .LBB911_447
; %bb.446:                              ;   in Loop: Header=BB911_215 Depth=1
	v_and_b32_e32 v64, 7, v44
	v_ffbh_u32_e32 v62, v64
	v_min_u32_e32 v66, 32, v62
	v_subrev_u32_e32 v62, 28, v66
	v_lshlrev_b64 v[62:63], v62, v[44:45]
	v_lshrrev_b32_e32 v65, 3, v46
	v_sub_u32_e32 v63, 29, v66
	v_and_b32_e32 v62, 7, v62
	v_cmp_gt_u32_e32 vcc, 8, v46
	v_cndmask_b32_e32 v46, v65, v63, vcc
	v_cndmask_b32_e32 v62, v64, v62, vcc
	v_lshlrev_b32_e32 v44, 24, v44
	v_lshlrev_b32_e32 v62, 20, v62
	v_and_b32_e32 v44, 0x80000000, v44
	v_lshl_add_u32 v46, v46, 23, v56
	v_or3_b32 v44, v44, v46, v62
	v_lshrrev_b32_e32 v62, 16, v44
.LBB911_447:                            ;   in Loop: Header=BB911_215 Depth=1
	s_or_b64 exec, exec, s[16:17]
.LBB911_448:                            ;   in Loop: Header=BB911_215 Depth=1
	s_or_b64 exec, exec, s[14:15]
.LBB911_449:                            ;   in Loop: Header=BB911_215 Depth=1
	s_or_b64 exec, exec, s[12:13]
	v_cmp_lt_u32_e32 vcc, s22, v42
	v_mov_b32_e32 v46, 0
	v_mov_b32_e32 v63, 0
	s_and_saveexec_b64 s[12:13], vcc
	s_cbranch_execz .LBB911_455
; %bb.450:                              ;   in Loop: Header=BB911_215 Depth=1
	v_lshrrev_b32_e32 v44, 24, v42
	v_cmp_ne_u32_e32 vcc, s9, v44
	v_mov_b32_e32 v63, 0xffff8000
	s_and_saveexec_b64 s[14:15], vcc
	s_cbranch_execz .LBB911_454
; %bb.451:                              ;   in Loop: Header=BB911_215 Depth=1
	v_bfe_u32 v42, v42, 24, 7
	v_cmp_ne_u32_e32 vcc, s21, v42
	v_mov_b32_e32 v63, 0x7f80
	s_and_saveexec_b64 s[16:17], vcc
	s_cbranch_execz .LBB911_453
; %bb.452:                              ;   in Loop: Header=BB911_215 Depth=1
	v_and_b32_e32 v63, 7, v44
	v_ffbh_u32_e32 v64, v63
	v_min_u32_e32 v67, 32, v64
	v_subrev_u32_e32 v64, 28, v67
	v_lshlrev_b64 v[64:65], v64, v[44:45]
	v_lshrrev_b32_e32 v66, 3, v42
	v_sub_u32_e32 v65, 29, v67
	v_and_b32_e32 v64, 7, v64
	v_cmp_gt_u32_e32 vcc, 8, v42
	v_cndmask_b32_e32 v42, v66, v65, vcc
	v_cndmask_b32_e32 v63, v63, v64, vcc
	v_lshlrev_b32_e32 v44, 24, v44
	v_lshlrev_b32_e32 v63, 20, v63
	v_and_b32_e32 v44, 0x80000000, v44
	v_lshl_add_u32 v42, v42, 23, v56
	v_or3_b32 v42, v44, v42, v63
	v_lshrrev_b32_e32 v63, 16, v42
.LBB911_453:                            ;   in Loop: Header=BB911_215 Depth=1
	s_or_b64 exec, exec, s[16:17]
.LBB911_454:                            ;   in Loop: Header=BB911_215 Depth=1
	s_or_b64 exec, exec, s[14:15]
.LBB911_455:                            ;   in Loop: Header=BB911_215 Depth=1
	s_or_b64 exec, exec, s[12:13]
	v_perm_b32 v65, v60, v58, s23
	v_perm_b32 v64, v52, v57, s23
	;; [unrolled: 1-line block ×4, first 2 shown]
	s_waitcnt vmcnt(1)
	v_cmp_ne_u16_sdwa s[14:15], v40, v55 src0_sel:BYTE_0 src1_sel:DWORD
	v_mfma_f32_16x16x16bf16_1k v[34:37], v[64:65], v[18:19], v[34:37]
	v_mfma_f32_16x16x16bf16_1k v[34:37], v[62:63], v[20:21], v[34:37]
	s_and_saveexec_b64 s[12:13], s[14:15]
	s_cbranch_execz .LBB911_461
; %bb.456:                              ;   in Loop: Header=BB911_215 Depth=1
	v_cmp_ne_u16_sdwa s[16:17], v40, s9 src0_sel:BYTE_0 src1_sel:DWORD
	v_mov_b32_e32 v46, 0xffff8000
	s_and_saveexec_b64 s[14:15], s[16:17]
	s_cbranch_execz .LBB911_460
; %bb.457:                              ;   in Loop: Header=BB911_215 Depth=1
	v_and_b32_e32 v42, 0x7f, v40
	v_cmp_ne_u32_e32 vcc, s21, v42
	v_mov_b32_e32 v46, 0x7f80
	s_and_saveexec_b64 s[16:17], vcc
	s_cbranch_execz .LBB911_459
; %bb.458:                              ;   in Loop: Header=BB911_215 Depth=1
	v_and_b32_e32 v44, 7, v40
	v_ffbh_u32_e32 v52, v44
	v_min_u32_e32 v52, 32, v52
	v_subrev_u32_e32 v57, 28, v52
	v_lshlrev_b64 v[58:59], v57, v[40:41]
	v_lshrrev_b32_e32 v46, 3, v42
	v_sub_u32_e32 v52, 29, v52
	v_and_b32_e32 v57, 7, v58
	v_cmp_gt_u32_e32 vcc, 8, v42
	v_cndmask_b32_e32 v42, v46, v52, vcc
	v_cndmask_b32_e32 v44, v44, v57, vcc
	v_lshlrev_b32_e32 v46, 24, v40
	v_lshlrev_b32_e32 v44, 20, v44
	v_and_b32_e32 v46, 0x80000000, v46
	v_lshl_add_u32 v42, v42, 23, v56
	v_or3_b32 v42, v46, v42, v44
	v_lshrrev_b32_e32 v46, 16, v42
.LBB911_459:                            ;   in Loop: Header=BB911_215 Depth=1
	s_or_b64 exec, exec, s[16:17]
.LBB911_460:                            ;   in Loop: Header=BB911_215 Depth=1
	s_or_b64 exec, exec, s[14:15]
.LBB911_461:                            ;   in Loop: Header=BB911_215 Depth=1
	s_or_b64 exec, exec, s[12:13]
	v_lshrrev_b16_e32 v42, 8, v40
	v_cmp_ne_u16_e32 vcc, 0, v42
	v_mov_b32_e32 v57, 0
	v_mov_b32_e32 v44, 0
	s_and_saveexec_b64 s[12:13], vcc
	s_cbranch_execz .LBB911_467
; %bb.462:                              ;   in Loop: Header=BB911_215 Depth=1
	v_cmp_ne_u16_e32 vcc, s9, v42
	v_mov_b32_e32 v44, 0xffff8000
	s_and_saveexec_b64 s[14:15], vcc
	s_cbranch_execz .LBB911_466
; %bb.463:                              ;   in Loop: Header=BB911_215 Depth=1
	v_and_b32_e32 v52, 0x7f, v42
	v_cmp_ne_u32_e32 vcc, s21, v52
	v_mov_b32_e32 v44, 0x7f80
	s_and_saveexec_b64 s[16:17], vcc
	s_cbranch_execz .LBB911_465
; %bb.464:                              ;   in Loop: Header=BB911_215 Depth=1
	v_and_b32_e32 v44, 7, v42
	v_ffbh_u32_e32 v58, v44
	v_min_u32_e32 v61, 32, v58
	v_subrev_u32_e32 v58, 28, v61
	v_lshlrev_b64 v[58:59], v58, v[42:43]
	v_lshrrev_b32_e32 v60, 3, v52
	v_sub_u32_e32 v42, 29, v61
	v_and_b32_e32 v58, 7, v58
	v_cmp_gt_u32_e32 vcc, 8, v52
	v_cndmask_b32_e32 v42, v60, v42, vcc
	v_cndmask_b32_e32 v44, v44, v58, vcc
	v_lshlrev_b32_e32 v52, 16, v40
	v_lshlrev_b32_e32 v44, 20, v44
	v_and_b32_e32 v52, 0x80000000, v52
	v_lshl_add_u32 v42, v42, 23, v56
	v_or3_b32 v42, v52, v42, v44
	v_lshrrev_b32_e32 v44, 16, v42
.LBB911_465:                            ;   in Loop: Header=BB911_215 Depth=1
	s_or_b64 exec, exec, s[16:17]
.LBB911_466:                            ;   in Loop: Header=BB911_215 Depth=1
	s_or_b64 exec, exec, s[14:15]
.LBB911_467:                            ;   in Loop: Header=BB911_215 Depth=1
	s_or_b64 exec, exec, s[12:13]
	v_lshrrev_b32_e32 v42, 16, v40
	v_cmp_ne_u16_sdwa s[14:15], v42, v55 src0_sel:BYTE_0 src1_sel:DWORD
	s_and_saveexec_b64 s[12:13], s[14:15]
	s_cbranch_execz .LBB911_473
; %bb.468:                              ;   in Loop: Header=BB911_215 Depth=1
	v_cmp_ne_u16_sdwa s[16:17], v42, s9 src0_sel:BYTE_0 src1_sel:DWORD
	v_mov_b32_e32 v57, 0xffff8000
	s_and_saveexec_b64 s[14:15], s[16:17]
	s_cbranch_execz .LBB911_472
; %bb.469:                              ;   in Loop: Header=BB911_215 Depth=1
	v_bfe_u32 v52, v40, 16, 7
	v_cmp_ne_u32_e32 vcc, s21, v52
	v_mov_b32_e32 v57, 0x7f80
	s_and_saveexec_b64 s[16:17], vcc
	s_cbranch_execz .LBB911_471
; %bb.470:                              ;   in Loop: Header=BB911_215 Depth=1
	v_and_b32_e32 v57, 7, v42
	v_ffbh_u32_e32 v58, v57
	v_min_u32_e32 v61, 32, v58
	v_subrev_u32_e32 v58, 28, v61
	v_lshlrev_b64 v[58:59], v58, v[42:43]
	v_lshrrev_b32_e32 v60, 3, v52
	v_sub_u32_e32 v59, 29, v61
	v_and_b32_e32 v58, 7, v58
	v_cmp_gt_u32_e32 vcc, 8, v52
	v_cndmask_b32_e32 v52, v60, v59, vcc
	v_cndmask_b32_e32 v57, v57, v58, vcc
	v_lshlrev_b32_e32 v42, 24, v42
	v_lshlrev_b32_e32 v57, 20, v57
	v_and_b32_e32 v42, 0x80000000, v42
	v_lshl_add_u32 v52, v52, 23, v56
	v_or3_b32 v42, v42, v52, v57
	v_lshrrev_b32_e32 v57, 16, v42
.LBB911_471:                            ;   in Loop: Header=BB911_215 Depth=1
	s_or_b64 exec, exec, s[16:17]
.LBB911_472:                            ;   in Loop: Header=BB911_215 Depth=1
	s_or_b64 exec, exec, s[14:15]
.LBB911_473:                            ;   in Loop: Header=BB911_215 Depth=1
	s_or_b64 exec, exec, s[12:13]
	v_cmp_lt_u32_e32 vcc, s22, v40
	v_mov_b32_e32 v58, 0
	v_mov_b32_e32 v59, 0
	s_and_saveexec_b64 s[12:13], vcc
	s_cbranch_execz .LBB911_479
; %bb.474:                              ;   in Loop: Header=BB911_215 Depth=1
	v_lshrrev_b32_e32 v42, 24, v40
	v_cmp_ne_u32_e32 vcc, s9, v42
	v_mov_b32_e32 v59, 0xffff8000
	s_and_saveexec_b64 s[14:15], vcc
	s_cbranch_execz .LBB911_478
; %bb.475:                              ;   in Loop: Header=BB911_215 Depth=1
	v_bfe_u32 v40, v40, 24, 7
	v_cmp_ne_u32_e32 vcc, s21, v40
	v_mov_b32_e32 v59, 0x7f80
	s_and_saveexec_b64 s[16:17], vcc
	s_cbranch_execz .LBB911_477
; %bb.476:                              ;   in Loop: Header=BB911_215 Depth=1
	v_and_b32_e32 v52, 7, v42
	v_ffbh_u32_e32 v60, v52
	v_min_u32_e32 v62, 32, v60
	v_subrev_u32_e32 v60, 28, v62
	v_lshlrev_b64 v[60:61], v60, v[42:43]
	v_lshrrev_b32_e32 v59, 3, v40
	v_sub_u32_e32 v61, 29, v62
	v_and_b32_e32 v60, 7, v60
	v_cmp_gt_u32_e32 vcc, 8, v40
	v_cndmask_b32_e32 v40, v59, v61, vcc
	v_cndmask_b32_e32 v52, v52, v60, vcc
	v_lshlrev_b32_e32 v42, 24, v42
	v_lshlrev_b32_e32 v52, 20, v52
	v_and_b32_e32 v42, 0x80000000, v42
	v_lshl_add_u32 v40, v40, 23, v56
	v_or3_b32 v40, v42, v40, v52
	v_lshrrev_b32_e32 v59, 16, v40
.LBB911_477:                            ;   in Loop: Header=BB911_215 Depth=1
	s_or_b64 exec, exec, s[16:17]
.LBB911_478:                            ;   in Loop: Header=BB911_215 Depth=1
	s_or_b64 exec, exec, s[14:15]
.LBB911_479:                            ;   in Loop: Header=BB911_215 Depth=1
	s_or_b64 exec, exec, s[12:13]
	s_waitcnt vmcnt(0)
	v_cmp_ne_u16_sdwa s[14:15], v38, v55 src0_sel:BYTE_0 src1_sel:DWORD
	s_and_saveexec_b64 s[12:13], s[14:15]
	s_cbranch_execz .LBB911_485
; %bb.480:                              ;   in Loop: Header=BB911_215 Depth=1
	v_cmp_ne_u16_sdwa s[16:17], v38, s9 src0_sel:BYTE_0 src1_sel:DWORD
	v_mov_b32_e32 v58, 0xffff8000
	s_and_saveexec_b64 s[14:15], s[16:17]
	s_cbranch_execz .LBB911_484
; %bb.481:                              ;   in Loop: Header=BB911_215 Depth=1
	v_and_b32_e32 v40, 0x7f, v38
	v_cmp_ne_u32_e32 vcc, s21, v40
	v_mov_b32_e32 v58, 0x7f80
	s_and_saveexec_b64 s[16:17], vcc
	s_cbranch_execz .LBB911_483
; %bb.482:                              ;   in Loop: Header=BB911_215 Depth=1
	v_and_b32_e32 v42, 7, v38
	v_ffbh_u32_e32 v58, v42
	v_min_u32_e32 v58, 32, v58
	v_subrev_u32_e32 v60, 28, v58
	v_lshlrev_b64 v[60:61], v60, v[38:39]
	v_lshrrev_b32_e32 v52, 3, v40
	v_sub_u32_e32 v58, 29, v58
	v_and_b32_e32 v60, 7, v60
	v_cmp_gt_u32_e32 vcc, 8, v40
	v_cndmask_b32_e32 v40, v52, v58, vcc
	v_cndmask_b32_e32 v42, v42, v60, vcc
	v_lshlrev_b32_e32 v52, 24, v38
	v_lshlrev_b32_e32 v42, 20, v42
	v_and_b32_e32 v52, 0x80000000, v52
	v_lshl_add_u32 v40, v40, 23, v56
	v_or3_b32 v40, v52, v40, v42
	v_lshrrev_b32_e32 v58, 16, v40
.LBB911_483:                            ;   in Loop: Header=BB911_215 Depth=1
	s_or_b64 exec, exec, s[16:17]
.LBB911_484:                            ;   in Loop: Header=BB911_215 Depth=1
	s_or_b64 exec, exec, s[14:15]
.LBB911_485:                            ;   in Loop: Header=BB911_215 Depth=1
	s_or_b64 exec, exec, s[12:13]
	v_lshrrev_b16_e32 v40, 8, v38
	v_cmp_ne_u16_e32 vcc, 0, v40
	v_mov_b32_e32 v61, 0
	v_mov_b32_e32 v60, 0
	s_and_saveexec_b64 s[12:13], vcc
	s_cbranch_execz .LBB911_491
; %bb.486:                              ;   in Loop: Header=BB911_215 Depth=1
	v_cmp_ne_u16_e32 vcc, s9, v40
	v_mov_b32_e32 v60, 0xffff8000
	s_and_saveexec_b64 s[14:15], vcc
	s_cbranch_execz .LBB911_490
; %bb.487:                              ;   in Loop: Header=BB911_215 Depth=1
	v_and_b32_e32 v42, 0x7f, v40
	v_cmp_ne_u32_e32 vcc, s21, v42
	v_mov_b32_e32 v60, 0x7f80
	s_and_saveexec_b64 s[16:17], vcc
	s_cbranch_execz .LBB911_489
; %bb.488:                              ;   in Loop: Header=BB911_215 Depth=1
	v_and_b32_e32 v52, 7, v40
	v_ffbh_u32_e32 v62, v52
	v_min_u32_e32 v64, 32, v62
	v_subrev_u32_e32 v62, 28, v64
	v_lshlrev_b64 v[62:63], v62, v[40:41]
	v_lshrrev_b32_e32 v60, 3, v42
	v_sub_u32_e32 v40, 29, v64
	v_and_b32_e32 v62, 7, v62
	v_cmp_gt_u32_e32 vcc, 8, v42
	v_cndmask_b32_e32 v40, v60, v40, vcc
	v_cndmask_b32_e32 v42, v52, v62, vcc
	v_lshlrev_b32_e32 v52, 16, v38
	v_lshlrev_b32_e32 v42, 20, v42
	v_and_b32_e32 v52, 0x80000000, v52
	v_lshl_add_u32 v40, v40, 23, v56
	v_or3_b32 v40, v52, v40, v42
	v_lshrrev_b32_e32 v60, 16, v40
.LBB911_489:                            ;   in Loop: Header=BB911_215 Depth=1
	s_or_b64 exec, exec, s[16:17]
.LBB911_490:                            ;   in Loop: Header=BB911_215 Depth=1
	s_or_b64 exec, exec, s[14:15]
.LBB911_491:                            ;   in Loop: Header=BB911_215 Depth=1
	s_or_b64 exec, exec, s[12:13]
	v_lshrrev_b32_e32 v40, 16, v38
	v_cmp_ne_u16_sdwa s[14:15], v40, v55 src0_sel:BYTE_0 src1_sel:DWORD
	s_and_saveexec_b64 s[12:13], s[14:15]
	s_cbranch_execz .LBB911_497
; %bb.492:                              ;   in Loop: Header=BB911_215 Depth=1
	v_cmp_ne_u16_sdwa s[16:17], v40, s9 src0_sel:BYTE_0 src1_sel:DWORD
	v_mov_b32_e32 v61, 0xffff8000
	s_and_saveexec_b64 s[14:15], s[16:17]
	s_cbranch_execz .LBB911_496
; %bb.493:                              ;   in Loop: Header=BB911_215 Depth=1
	v_bfe_u32 v42, v38, 16, 7
	v_cmp_ne_u32_e32 vcc, s21, v42
	v_mov_b32_e32 v61, 0x7f80
	s_and_saveexec_b64 s[16:17], vcc
	s_cbranch_execz .LBB911_495
; %bb.494:                              ;   in Loop: Header=BB911_215 Depth=1
	v_and_b32_e32 v52, 7, v40
	v_ffbh_u32_e32 v62, v52
	v_min_u32_e32 v64, 32, v62
	v_subrev_u32_e32 v62, 28, v64
	v_lshlrev_b64 v[62:63], v62, v[40:41]
	v_lshrrev_b32_e32 v61, 3, v42
	v_sub_u32_e32 v63, 29, v64
	v_and_b32_e32 v62, 7, v62
	v_cmp_gt_u32_e32 vcc, 8, v42
	v_cndmask_b32_e32 v42, v61, v63, vcc
	v_cndmask_b32_e32 v52, v52, v62, vcc
	v_lshlrev_b32_e32 v40, 24, v40
	v_lshlrev_b32_e32 v52, 20, v52
	v_and_b32_e32 v40, 0x80000000, v40
	v_lshl_add_u32 v42, v42, 23, v56
	v_or3_b32 v40, v40, v42, v52
	v_lshrrev_b32_e32 v61, 16, v40
.LBB911_495:                            ;   in Loop: Header=BB911_215 Depth=1
	s_or_b64 exec, exec, s[16:17]
.LBB911_496:                            ;   in Loop: Header=BB911_215 Depth=1
	s_or_b64 exec, exec, s[14:15]
.LBB911_497:                            ;   in Loop: Header=BB911_215 Depth=1
	s_or_b64 exec, exec, s[12:13]
	v_cmp_lt_u32_e32 vcc, s22, v38
	v_mov_b32_e32 v52, 0
	v_mov_b32_e32 v62, 0
	s_and_saveexec_b64 s[12:13], vcc
	s_cbranch_execz .LBB911_503
; %bb.498:                              ;   in Loop: Header=BB911_215 Depth=1
	v_lshrrev_b32_e32 v40, 24, v38
	v_cmp_ne_u32_e32 vcc, s9, v40
	v_mov_b32_e32 v62, 0xffff8000
	s_and_saveexec_b64 s[14:15], vcc
	s_cbranch_execz .LBB911_502
; %bb.499:                              ;   in Loop: Header=BB911_215 Depth=1
	v_bfe_u32 v38, v38, 24, 7
	v_cmp_ne_u32_e32 vcc, s21, v38
	v_mov_b32_e32 v62, 0x7f80
	s_and_saveexec_b64 s[16:17], vcc
	s_cbranch_execz .LBB911_501
; %bb.500:                              ;   in Loop: Header=BB911_215 Depth=1
	v_and_b32_e32 v42, 7, v40
	v_ffbh_u32_e32 v62, v42
	v_min_u32_e32 v65, 32, v62
	v_subrev_u32_e32 v62, 28, v65
	v_lshlrev_b64 v[62:63], v62, v[40:41]
	v_lshrrev_b32_e32 v64, 3, v38
	v_sub_u32_e32 v63, 29, v65
	v_and_b32_e32 v62, 7, v62
	v_cmp_gt_u32_e32 vcc, 8, v38
	v_cndmask_b32_e32 v38, v64, v63, vcc
	v_cndmask_b32_e32 v42, v42, v62, vcc
	v_lshlrev_b32_e32 v40, 24, v40
	v_lshlrev_b32_e32 v42, 20, v42
	v_and_b32_e32 v40, 0x80000000, v40
	v_lshl_add_u32 v38, v38, 23, v56
	v_or3_b32 v38, v40, v38, v42
	v_lshrrev_b32_e32 v62, 16, v38
.LBB911_501:                            ;   in Loop: Header=BB911_215 Depth=1
	s_or_b64 exec, exec, s[16:17]
.LBB911_502:                            ;   in Loop: Header=BB911_215 Depth=1
	s_or_b64 exec, exec, s[14:15]
.LBB911_503:                            ;   in Loop: Header=BB911_215 Depth=1
	s_or_b64 exec, exec, s[12:13]
	v_perm_b32 v64, v44, v46, s23
	buffer_load_dword v44, v51, s[0:3], 0 offen
	buffer_load_dword v42, v51, s[0:3], 0 offen offset:4
	buffer_load_dword v40, v51, s[0:3], 0 offen offset:8
	;; [unrolled: 1-line block ×3, first 2 shown]
	v_perm_b32 v65, v59, v57, s23
	v_perm_b32 v59, v62, v61, s23
	;; [unrolled: 1-line block ×3, first 2 shown]
	v_mfma_f32_16x16x16bf16_1k v[34:37], v[64:65], v[22:23], v[34:37]
	s_waitcnt vmcnt(3)
	v_cmp_ne_u16_sdwa s[14:15], v44, v55 src0_sel:BYTE_0 src1_sel:DWORD
	v_mfma_f32_16x16x16bf16_1k v[34:37], v[58:59], v[24:25], v[34:37]
	s_and_saveexec_b64 s[12:13], s[14:15]
	s_cbranch_execz .LBB911_509
; %bb.504:                              ;   in Loop: Header=BB911_215 Depth=1
	v_cmp_ne_u16_sdwa s[16:17], v44, s9 src0_sel:BYTE_0 src1_sel:DWORD
	v_mov_b32_e32 v52, 0xffff8000
	s_and_saveexec_b64 s[14:15], s[16:17]
	s_cbranch_execz .LBB911_508
; %bb.505:                              ;   in Loop: Header=BB911_215 Depth=1
	v_and_b32_e32 v46, 0x7f, v44
	v_cmp_ne_u32_e32 vcc, s21, v46
	v_mov_b32_e32 v52, 0x7f80
	s_and_saveexec_b64 s[16:17], vcc
	s_cbranch_execz .LBB911_507
; %bb.506:                              ;   in Loop: Header=BB911_215 Depth=1
	v_and_b32_e32 v51, 7, v44
	v_ffbh_u32_e32 v57, v51
	v_min_u32_e32 v57, 32, v57
	v_subrev_u32_e32 v58, 28, v57
	v_lshlrev_b64 v[58:59], v58, v[44:45]
	v_lshrrev_b32_e32 v52, 3, v46
	v_sub_u32_e32 v57, 29, v57
	v_and_b32_e32 v58, 7, v58
	v_cmp_gt_u32_e32 vcc, 8, v46
	v_cndmask_b32_e32 v46, v52, v57, vcc
	v_cndmask_b32_e32 v51, v51, v58, vcc
	v_lshlrev_b32_e32 v52, 24, v44
	v_lshlrev_b32_e32 v51, 20, v51
	v_and_b32_e32 v52, 0x80000000, v52
	v_lshl_add_u32 v46, v46, 23, v56
	v_or3_b32 v46, v52, v46, v51
	v_lshrrev_b32_e32 v52, 16, v46
.LBB911_507:                            ;   in Loop: Header=BB911_215 Depth=1
	s_or_b64 exec, exec, s[16:17]
.LBB911_508:                            ;   in Loop: Header=BB911_215 Depth=1
	s_or_b64 exec, exec, s[14:15]
.LBB911_509:                            ;   in Loop: Header=BB911_215 Depth=1
	s_or_b64 exec, exec, s[12:13]
	v_lshrrev_b16_e32 v46, 8, v44
	v_cmp_ne_u16_e32 vcc, 0, v46
	v_mov_b32_e32 v57, 0
	v_mov_b32_e32 v51, 0
	s_and_saveexec_b64 s[12:13], vcc
	s_cbranch_execz .LBB911_515
; %bb.510:                              ;   in Loop: Header=BB911_215 Depth=1
	v_cmp_ne_u16_e32 vcc, s9, v46
	v_mov_b32_e32 v51, 0xffff8000
	s_and_saveexec_b64 s[14:15], vcc
	s_cbranch_execz .LBB911_514
; %bb.511:                              ;   in Loop: Header=BB911_215 Depth=1
	v_and_b32_e32 v58, 0x7f, v46
	v_cmp_ne_u32_e32 vcc, s21, v58
	v_mov_b32_e32 v51, 0x7f80
	s_and_saveexec_b64 s[16:17], vcc
	s_cbranch_execz .LBB911_513
; %bb.512:                              ;   in Loop: Header=BB911_215 Depth=1
	v_and_b32_e32 v51, 7, v46
	v_ffbh_u32_e32 v60, v51
	v_min_u32_e32 v62, 32, v60
	v_subrev_u32_e32 v60, 28, v62
	v_lshlrev_b64 v[60:61], v60, v[46:47]
	v_lshrrev_b32_e32 v59, 3, v58
	v_sub_u32_e32 v46, 29, v62
	v_and_b32_e32 v60, 7, v60
	v_cmp_gt_u32_e32 vcc, 8, v58
	v_cndmask_b32_e32 v46, v59, v46, vcc
	v_cndmask_b32_e32 v51, v51, v60, vcc
	v_lshlrev_b32_e32 v58, 16, v44
	v_lshlrev_b32_e32 v51, 20, v51
	v_and_b32_e32 v58, 0x80000000, v58
	v_lshl_add_u32 v46, v46, 23, v56
	v_or3_b32 v46, v58, v46, v51
	v_lshrrev_b32_e32 v51, 16, v46
.LBB911_513:                            ;   in Loop: Header=BB911_215 Depth=1
	s_or_b64 exec, exec, s[16:17]
.LBB911_514:                            ;   in Loop: Header=BB911_215 Depth=1
	s_or_b64 exec, exec, s[14:15]
.LBB911_515:                            ;   in Loop: Header=BB911_215 Depth=1
	s_or_b64 exec, exec, s[12:13]
	v_lshrrev_b32_e32 v46, 16, v44
	v_cmp_ne_u16_sdwa s[14:15], v46, v55 src0_sel:BYTE_0 src1_sel:DWORD
	s_and_saveexec_b64 s[12:13], s[14:15]
	s_cbranch_execz .LBB911_521
; %bb.516:                              ;   in Loop: Header=BB911_215 Depth=1
	v_cmp_ne_u16_sdwa s[16:17], v46, s9 src0_sel:BYTE_0 src1_sel:DWORD
	v_mov_b32_e32 v57, 0xffff8000
	s_and_saveexec_b64 s[14:15], s[16:17]
	s_cbranch_execz .LBB911_520
; %bb.517:                              ;   in Loop: Header=BB911_215 Depth=1
	v_bfe_u32 v58, v44, 16, 7
	v_cmp_ne_u32_e32 vcc, s21, v58
	v_mov_b32_e32 v57, 0x7f80
	s_and_saveexec_b64 s[16:17], vcc
	s_cbranch_execz .LBB911_519
; %bb.518:                              ;   in Loop: Header=BB911_215 Depth=1
	v_and_b32_e32 v57, 7, v46
	v_ffbh_u32_e32 v60, v57
	v_min_u32_e32 v62, 32, v60
	v_subrev_u32_e32 v60, 28, v62
	v_lshlrev_b64 v[60:61], v60, v[46:47]
	v_lshrrev_b32_e32 v59, 3, v58
	v_sub_u32_e32 v61, 29, v62
	v_and_b32_e32 v60, 7, v60
	v_cmp_gt_u32_e32 vcc, 8, v58
	v_cndmask_b32_e32 v58, v59, v61, vcc
	v_cndmask_b32_e32 v57, v57, v60, vcc
	v_lshlrev_b32_e32 v46, 24, v46
	v_lshlrev_b32_e32 v57, 20, v57
	v_and_b32_e32 v46, 0x80000000, v46
	v_lshl_add_u32 v58, v58, 23, v56
	v_or3_b32 v46, v46, v58, v57
	v_lshrrev_b32_e32 v57, 16, v46
.LBB911_519:                            ;   in Loop: Header=BB911_215 Depth=1
	s_or_b64 exec, exec, s[16:17]
.LBB911_520:                            ;   in Loop: Header=BB911_215 Depth=1
	s_or_b64 exec, exec, s[14:15]
.LBB911_521:                            ;   in Loop: Header=BB911_215 Depth=1
	s_or_b64 exec, exec, s[12:13]
	v_cmp_lt_u32_e32 vcc, s22, v44
	v_mov_b32_e32 v58, 0
	v_mov_b32_e32 v59, 0
	s_and_saveexec_b64 s[12:13], vcc
	s_cbranch_execz .LBB911_527
; %bb.522:                              ;   in Loop: Header=BB911_215 Depth=1
	v_lshrrev_b32_e32 v46, 24, v44
	v_cmp_ne_u32_e32 vcc, s9, v46
	v_mov_b32_e32 v59, 0xffff8000
	s_and_saveexec_b64 s[14:15], vcc
	s_cbranch_execz .LBB911_526
; %bb.523:                              ;   in Loop: Header=BB911_215 Depth=1
	v_bfe_u32 v44, v44, 24, 7
	v_cmp_ne_u32_e32 vcc, s21, v44
	v_mov_b32_e32 v59, 0x7f80
	s_and_saveexec_b64 s[16:17], vcc
	s_cbranch_execz .LBB911_525
; %bb.524:                              ;   in Loop: Header=BB911_215 Depth=1
	v_and_b32_e32 v59, 7, v46
	v_ffbh_u32_e32 v60, v59
	v_min_u32_e32 v63, 32, v60
	v_subrev_u32_e32 v60, 28, v63
	v_lshlrev_b64 v[60:61], v60, v[46:47]
	v_lshrrev_b32_e32 v62, 3, v44
	v_sub_u32_e32 v61, 29, v63
	v_and_b32_e32 v60, 7, v60
	v_cmp_gt_u32_e32 vcc, 8, v44
	v_cndmask_b32_e32 v44, v62, v61, vcc
	v_cndmask_b32_e32 v59, v59, v60, vcc
	v_lshlrev_b32_e32 v46, 24, v46
	v_lshlrev_b32_e32 v59, 20, v59
	v_and_b32_e32 v46, 0x80000000, v46
	v_lshl_add_u32 v44, v44, 23, v56
	v_or3_b32 v44, v46, v44, v59
	v_lshrrev_b32_e32 v59, 16, v44
.LBB911_525:                            ;   in Loop: Header=BB911_215 Depth=1
	s_or_b64 exec, exec, s[16:17]
.LBB911_526:                            ;   in Loop: Header=BB911_215 Depth=1
	s_or_b64 exec, exec, s[14:15]
.LBB911_527:                            ;   in Loop: Header=BB911_215 Depth=1
	s_or_b64 exec, exec, s[12:13]
	s_waitcnt vmcnt(2)
	v_cmp_ne_u16_sdwa s[14:15], v42, v55 src0_sel:BYTE_0 src1_sel:DWORD
	s_and_saveexec_b64 s[12:13], s[14:15]
	s_cbranch_execz .LBB911_533
; %bb.528:                              ;   in Loop: Header=BB911_215 Depth=1
	v_cmp_ne_u16_sdwa s[16:17], v42, s9 src0_sel:BYTE_0 src1_sel:DWORD
	v_mov_b32_e32 v58, 0xffff8000
	s_and_saveexec_b64 s[14:15], s[16:17]
	s_cbranch_execz .LBB911_532
; %bb.529:                              ;   in Loop: Header=BB911_215 Depth=1
	v_and_b32_e32 v44, 0x7f, v42
	v_cmp_ne_u32_e32 vcc, s21, v44
	v_mov_b32_e32 v58, 0x7f80
	s_and_saveexec_b64 s[16:17], vcc
	s_cbranch_execz .LBB911_531
; %bb.530:                              ;   in Loop: Header=BB911_215 Depth=1
	v_and_b32_e32 v46, 7, v42
	v_ffbh_u32_e32 v60, v46
	v_min_u32_e32 v62, 32, v60
	v_subrev_u32_e32 v60, 28, v62
	v_lshlrev_b64 v[60:61], v60, v[42:43]
	v_lshrrev_b32_e32 v58, 3, v44
	v_sub_u32_e32 v61, 29, v62
	v_and_b32_e32 v60, 7, v60
	v_cmp_gt_u32_e32 vcc, 8, v44
	v_cndmask_b32_e32 v44, v58, v61, vcc
	v_cndmask_b32_e32 v46, v46, v60, vcc
	v_lshlrev_b32_e32 v58, 24, v42
	v_lshlrev_b32_e32 v46, 20, v46
	v_and_b32_e32 v58, 0x80000000, v58
	v_lshl_add_u32 v44, v44, 23, v56
	v_or3_b32 v44, v58, v44, v46
	v_lshrrev_b32_e32 v58, 16, v44
.LBB911_531:                            ;   in Loop: Header=BB911_215 Depth=1
	s_or_b64 exec, exec, s[16:17]
.LBB911_532:                            ;   in Loop: Header=BB911_215 Depth=1
	s_or_b64 exec, exec, s[14:15]
.LBB911_533:                            ;   in Loop: Header=BB911_215 Depth=1
	s_or_b64 exec, exec, s[12:13]
	v_lshrrev_b16_e32 v44, 8, v42
	v_cmp_ne_u16_e32 vcc, 0, v44
	v_mov_b32_e32 v61, 0
	v_mov_b32_e32 v60, 0
	s_and_saveexec_b64 s[12:13], vcc
	s_cbranch_execz .LBB911_539
; %bb.534:                              ;   in Loop: Header=BB911_215 Depth=1
	v_cmp_ne_u16_e32 vcc, s9, v44
	v_mov_b32_e32 v60, 0xffff8000
	s_and_saveexec_b64 s[14:15], vcc
	s_cbranch_execz .LBB911_538
; %bb.535:                              ;   in Loop: Header=BB911_215 Depth=1
	v_and_b32_e32 v46, 0x7f, v44
	v_cmp_ne_u32_e32 vcc, s21, v46
	v_mov_b32_e32 v60, 0x7f80
	s_and_saveexec_b64 s[16:17], vcc
	s_cbranch_execz .LBB911_537
; %bb.536:                              ;   in Loop: Header=BB911_215 Depth=1
	v_and_b32_e32 v60, 7, v44
	v_ffbh_u32_e32 v62, v60
	v_min_u32_e32 v65, 32, v62
	v_subrev_u32_e32 v62, 28, v65
	v_lshlrev_b64 v[62:63], v62, v[44:45]
	v_lshrrev_b32_e32 v64, 3, v46
	v_sub_u32_e32 v44, 29, v65
	v_and_b32_e32 v62, 7, v62
	v_cmp_gt_u32_e32 vcc, 8, v46
	v_cndmask_b32_e32 v44, v64, v44, vcc
	v_cndmask_b32_e32 v46, v60, v62, vcc
	v_lshlrev_b32_e32 v60, 16, v42
	v_lshlrev_b32_e32 v46, 20, v46
	v_and_b32_e32 v60, 0x80000000, v60
	v_lshl_add_u32 v44, v44, 23, v56
	v_or3_b32 v44, v60, v44, v46
	v_lshrrev_b32_e32 v60, 16, v44
.LBB911_537:                            ;   in Loop: Header=BB911_215 Depth=1
	s_or_b64 exec, exec, s[16:17]
.LBB911_538:                            ;   in Loop: Header=BB911_215 Depth=1
	s_or_b64 exec, exec, s[14:15]
.LBB911_539:                            ;   in Loop: Header=BB911_215 Depth=1
	s_or_b64 exec, exec, s[12:13]
	v_lshrrev_b32_e32 v44, 16, v42
	v_cmp_ne_u16_sdwa s[14:15], v44, v55 src0_sel:BYTE_0 src1_sel:DWORD
	s_and_saveexec_b64 s[12:13], s[14:15]
	s_cbranch_execz .LBB911_545
; %bb.540:                              ;   in Loop: Header=BB911_215 Depth=1
	v_cmp_ne_u16_sdwa s[16:17], v44, s9 src0_sel:BYTE_0 src1_sel:DWORD
	v_mov_b32_e32 v61, 0xffff8000
	s_and_saveexec_b64 s[14:15], s[16:17]
	s_cbranch_execz .LBB911_544
; %bb.541:                              ;   in Loop: Header=BB911_215 Depth=1
	v_bfe_u32 v46, v42, 16, 7
	v_cmp_ne_u32_e32 vcc, s21, v46
	v_mov_b32_e32 v61, 0x7f80
	s_and_saveexec_b64 s[16:17], vcc
	s_cbranch_execz .LBB911_543
; %bb.542:                              ;   in Loop: Header=BB911_215 Depth=1
	v_and_b32_e32 v61, 7, v44
	v_ffbh_u32_e32 v62, v61
	v_min_u32_e32 v65, 32, v62
	v_subrev_u32_e32 v62, 28, v65
	v_lshlrev_b64 v[62:63], v62, v[44:45]
	v_lshrrev_b32_e32 v64, 3, v46
	v_sub_u32_e32 v63, 29, v65
	v_and_b32_e32 v62, 7, v62
	v_cmp_gt_u32_e32 vcc, 8, v46
	v_cndmask_b32_e32 v46, v64, v63, vcc
	v_cndmask_b32_e32 v61, v61, v62, vcc
	v_lshlrev_b32_e32 v44, 24, v44
	v_lshlrev_b32_e32 v61, 20, v61
	v_and_b32_e32 v44, 0x80000000, v44
	v_lshl_add_u32 v46, v46, 23, v56
	v_or3_b32 v44, v44, v46, v61
	v_lshrrev_b32_e32 v61, 16, v44
.LBB911_543:                            ;   in Loop: Header=BB911_215 Depth=1
	s_or_b64 exec, exec, s[16:17]
.LBB911_544:                            ;   in Loop: Header=BB911_215 Depth=1
	s_or_b64 exec, exec, s[14:15]
.LBB911_545:                            ;   in Loop: Header=BB911_215 Depth=1
	s_or_b64 exec, exec, s[12:13]
	v_cmp_lt_u32_e32 vcc, s22, v42
	v_mov_b32_e32 v46, 0
	v_mov_b32_e32 v62, 0
	s_and_saveexec_b64 s[12:13], vcc
	s_cbranch_execz .LBB911_551
; %bb.546:                              ;   in Loop: Header=BB911_215 Depth=1
	v_lshrrev_b32_e32 v44, 24, v42
	v_cmp_ne_u32_e32 vcc, s9, v44
	v_mov_b32_e32 v62, 0xffff8000
	s_and_saveexec_b64 s[14:15], vcc
	s_cbranch_execz .LBB911_550
; %bb.547:                              ;   in Loop: Header=BB911_215 Depth=1
	v_bfe_u32 v42, v42, 24, 7
	v_cmp_ne_u32_e32 vcc, s21, v42
	v_mov_b32_e32 v62, 0x7f80
	s_and_saveexec_b64 s[16:17], vcc
	s_cbranch_execz .LBB911_549
; %bb.548:                              ;   in Loop: Header=BB911_215 Depth=1
	v_and_b32_e32 v64, 7, v44
	v_ffbh_u32_e32 v62, v64
	v_min_u32_e32 v66, 32, v62
	v_subrev_u32_e32 v62, 28, v66
	v_lshlrev_b64 v[62:63], v62, v[44:45]
	v_lshrrev_b32_e32 v65, 3, v42
	v_sub_u32_e32 v63, 29, v66
	v_and_b32_e32 v62, 7, v62
	v_cmp_gt_u32_e32 vcc, 8, v42
	v_cndmask_b32_e32 v42, v65, v63, vcc
	v_cndmask_b32_e32 v62, v64, v62, vcc
	v_lshlrev_b32_e32 v44, 24, v44
	v_lshlrev_b32_e32 v62, 20, v62
	v_and_b32_e32 v44, 0x80000000, v44
	v_lshl_add_u32 v42, v42, 23, v56
	v_or3_b32 v42, v44, v42, v62
	v_lshrrev_b32_e32 v62, 16, v42
.LBB911_549:                            ;   in Loop: Header=BB911_215 Depth=1
	s_or_b64 exec, exec, s[16:17]
.LBB911_550:                            ;   in Loop: Header=BB911_215 Depth=1
	s_or_b64 exec, exec, s[14:15]
.LBB911_551:                            ;   in Loop: Header=BB911_215 Depth=1
	s_or_b64 exec, exec, s[12:13]
	v_perm_b32 v65, v59, v57, s23
	v_perm_b32 v64, v51, v52, s23
	;; [unrolled: 1-line block ×4, first 2 shown]
	s_waitcnt vmcnt(1)
	v_cmp_ne_u16_sdwa s[14:15], v40, v55 src0_sel:BYTE_0 src1_sel:DWORD
	v_mfma_f32_16x16x16bf16_1k v[34:37], v[64:65], v[26:27], v[34:37]
	v_mfma_f32_16x16x16bf16_1k v[34:37], v[58:59], v[28:29], v[34:37]
	s_and_saveexec_b64 s[12:13], s[14:15]
	s_cbranch_execz .LBB911_557
; %bb.552:                              ;   in Loop: Header=BB911_215 Depth=1
	v_cmp_ne_u16_sdwa s[16:17], v40, s9 src0_sel:BYTE_0 src1_sel:DWORD
	v_mov_b32_e32 v46, 0xffff8000
	s_and_saveexec_b64 s[14:15], s[16:17]
	s_cbranch_execz .LBB911_556
; %bb.553:                              ;   in Loop: Header=BB911_215 Depth=1
	v_and_b32_e32 v42, 0x7f, v40
	v_cmp_ne_u32_e32 vcc, s21, v42
	v_mov_b32_e32 v46, 0x7f80
	s_and_saveexec_b64 s[16:17], vcc
	s_cbranch_execz .LBB911_555
; %bb.554:                              ;   in Loop: Header=BB911_215 Depth=1
	v_and_b32_e32 v44, 7, v40
	v_ffbh_u32_e32 v51, v44
	v_min_u32_e32 v51, 32, v51
	v_subrev_u32_e32 v52, 28, v51
	v_lshlrev_b64 v[58:59], v52, v[40:41]
	v_lshrrev_b32_e32 v46, 3, v42
	v_sub_u32_e32 v51, 29, v51
	v_and_b32_e32 v52, 7, v58
	v_cmp_gt_u32_e32 vcc, 8, v42
	v_cndmask_b32_e32 v42, v46, v51, vcc
	v_cndmask_b32_e32 v44, v44, v52, vcc
	v_lshlrev_b32_e32 v46, 24, v40
	v_lshlrev_b32_e32 v44, 20, v44
	v_and_b32_e32 v46, 0x80000000, v46
	v_lshl_add_u32 v42, v42, 23, v56
	v_or3_b32 v42, v46, v42, v44
	v_lshrrev_b32_e32 v46, 16, v42
.LBB911_555:                            ;   in Loop: Header=BB911_215 Depth=1
	s_or_b64 exec, exec, s[16:17]
.LBB911_556:                            ;   in Loop: Header=BB911_215 Depth=1
	s_or_b64 exec, exec, s[14:15]
.LBB911_557:                            ;   in Loop: Header=BB911_215 Depth=1
	s_or_b64 exec, exec, s[12:13]
	v_lshrrev_b16_e32 v42, 8, v40
	v_cmp_ne_u16_e32 vcc, 0, v42
	v_mov_b32_e32 v51, 0
	v_mov_b32_e32 v44, 0
	s_and_saveexec_b64 s[12:13], vcc
	s_cbranch_execz .LBB911_563
; %bb.558:                              ;   in Loop: Header=BB911_215 Depth=1
	v_cmp_ne_u16_e32 vcc, s9, v42
	v_mov_b32_e32 v44, 0xffff8000
	s_and_saveexec_b64 s[14:15], vcc
	s_cbranch_execz .LBB911_562
; %bb.559:                              ;   in Loop: Header=BB911_215 Depth=1
	v_and_b32_e32 v52, 0x7f, v42
	v_cmp_ne_u32_e32 vcc, s21, v52
	v_mov_b32_e32 v44, 0x7f80
	s_and_saveexec_b64 s[16:17], vcc
	s_cbranch_execz .LBB911_561
; %bb.560:                              ;   in Loop: Header=BB911_215 Depth=1
	v_and_b32_e32 v44, 7, v42
	v_ffbh_u32_e32 v58, v44
	v_min_u32_e32 v60, 32, v58
	v_subrev_u32_e32 v58, 28, v60
	v_lshlrev_b64 v[58:59], v58, v[42:43]
	v_lshrrev_b32_e32 v57, 3, v52
	v_sub_u32_e32 v42, 29, v60
	v_and_b32_e32 v58, 7, v58
	v_cmp_gt_u32_e32 vcc, 8, v52
	v_cndmask_b32_e32 v42, v57, v42, vcc
	v_cndmask_b32_e32 v44, v44, v58, vcc
	v_lshlrev_b32_e32 v52, 16, v40
	v_lshlrev_b32_e32 v44, 20, v44
	v_and_b32_e32 v52, 0x80000000, v52
	v_lshl_add_u32 v42, v42, 23, v56
	v_or3_b32 v42, v52, v42, v44
	v_lshrrev_b32_e32 v44, 16, v42
.LBB911_561:                            ;   in Loop: Header=BB911_215 Depth=1
	s_or_b64 exec, exec, s[16:17]
.LBB911_562:                            ;   in Loop: Header=BB911_215 Depth=1
	s_or_b64 exec, exec, s[14:15]
.LBB911_563:                            ;   in Loop: Header=BB911_215 Depth=1
	s_or_b64 exec, exec, s[12:13]
	v_lshrrev_b32_e32 v42, 16, v40
	v_cmp_ne_u16_sdwa s[14:15], v42, v55 src0_sel:BYTE_0 src1_sel:DWORD
	s_and_saveexec_b64 s[12:13], s[14:15]
	s_cbranch_execz .LBB911_569
; %bb.564:                              ;   in Loop: Header=BB911_215 Depth=1
	v_cmp_ne_u16_sdwa s[16:17], v42, s9 src0_sel:BYTE_0 src1_sel:DWORD
	v_mov_b32_e32 v51, 0xffff8000
	s_and_saveexec_b64 s[14:15], s[16:17]
	s_cbranch_execz .LBB911_568
; %bb.565:                              ;   in Loop: Header=BB911_215 Depth=1
	v_bfe_u32 v52, v40, 16, 7
	v_cmp_ne_u32_e32 vcc, s21, v52
	v_mov_b32_e32 v51, 0x7f80
	s_and_saveexec_b64 s[16:17], vcc
	s_cbranch_execz .LBB911_567
; %bb.566:                              ;   in Loop: Header=BB911_215 Depth=1
	v_and_b32_e32 v51, 7, v42
	v_ffbh_u32_e32 v58, v51
	v_min_u32_e32 v60, 32, v58
	v_subrev_u32_e32 v58, 28, v60
	v_lshlrev_b64 v[58:59], v58, v[42:43]
	v_lshrrev_b32_e32 v57, 3, v52
	v_sub_u32_e32 v59, 29, v60
	v_and_b32_e32 v58, 7, v58
	v_cmp_gt_u32_e32 vcc, 8, v52
	v_cndmask_b32_e32 v52, v57, v59, vcc
	v_cndmask_b32_e32 v51, v51, v58, vcc
	v_lshlrev_b32_e32 v42, 24, v42
	v_lshlrev_b32_e32 v51, 20, v51
	v_and_b32_e32 v42, 0x80000000, v42
	v_lshl_add_u32 v52, v52, 23, v56
	v_or3_b32 v42, v42, v52, v51
	v_lshrrev_b32_e32 v51, 16, v42
.LBB911_567:                            ;   in Loop: Header=BB911_215 Depth=1
	s_or_b64 exec, exec, s[16:17]
.LBB911_568:                            ;   in Loop: Header=BB911_215 Depth=1
	s_or_b64 exec, exec, s[14:15]
.LBB911_569:                            ;   in Loop: Header=BB911_215 Depth=1
	s_or_b64 exec, exec, s[12:13]
	v_cmp_lt_u32_e32 vcc, s22, v40
	v_mov_b32_e32 v52, 0
	v_mov_b32_e32 v57, 0
	s_and_saveexec_b64 s[12:13], vcc
	s_cbranch_execz .LBB911_575
; %bb.570:                              ;   in Loop: Header=BB911_215 Depth=1
	v_lshrrev_b32_e32 v42, 24, v40
	v_cmp_ne_u32_e32 vcc, s9, v42
	v_mov_b32_e32 v57, 0xffff8000
	s_and_saveexec_b64 s[14:15], vcc
	s_cbranch_execz .LBB911_574
; %bb.571:                              ;   in Loop: Header=BB911_215 Depth=1
	v_bfe_u32 v40, v40, 24, 7
	v_cmp_ne_u32_e32 vcc, s21, v40
	v_mov_b32_e32 v57, 0x7f80
	s_and_saveexec_b64 s[16:17], vcc
	s_cbranch_execz .LBB911_573
; %bb.572:                              ;   in Loop: Header=BB911_215 Depth=1
	v_and_b32_e32 v57, 7, v42
	v_ffbh_u32_e32 v58, v57
	v_min_u32_e32 v61, 32, v58
	v_subrev_u32_e32 v58, 28, v61
	v_lshlrev_b64 v[58:59], v58, v[42:43]
	v_lshrrev_b32_e32 v60, 3, v40
	v_sub_u32_e32 v59, 29, v61
	v_and_b32_e32 v58, 7, v58
	v_cmp_gt_u32_e32 vcc, 8, v40
	v_cndmask_b32_e32 v40, v60, v59, vcc
	v_cndmask_b32_e32 v57, v57, v58, vcc
	v_lshlrev_b32_e32 v42, 24, v42
	v_lshlrev_b32_e32 v57, 20, v57
	v_and_b32_e32 v42, 0x80000000, v42
	v_lshl_add_u32 v40, v40, 23, v56
	v_or3_b32 v40, v42, v40, v57
	v_lshrrev_b32_e32 v57, 16, v40
.LBB911_573:                            ;   in Loop: Header=BB911_215 Depth=1
	s_or_b64 exec, exec, s[16:17]
.LBB911_574:                            ;   in Loop: Header=BB911_215 Depth=1
	s_or_b64 exec, exec, s[14:15]
.LBB911_575:                            ;   in Loop: Header=BB911_215 Depth=1
	s_or_b64 exec, exec, s[12:13]
	s_waitcnt vmcnt(0)
	v_cmp_ne_u16_sdwa s[14:15], v38, v55 src0_sel:BYTE_0 src1_sel:DWORD
	s_and_saveexec_b64 s[12:13], s[14:15]
	s_cbranch_execz .LBB911_581
; %bb.576:                              ;   in Loop: Header=BB911_215 Depth=1
	v_cmp_ne_u16_sdwa s[16:17], v38, s9 src0_sel:BYTE_0 src1_sel:DWORD
	v_mov_b32_e32 v52, 0xffff8000
	s_and_saveexec_b64 s[14:15], s[16:17]
	s_cbranch_execz .LBB911_580
; %bb.577:                              ;   in Loop: Header=BB911_215 Depth=1
	v_and_b32_e32 v40, 0x7f, v38
	v_cmp_ne_u32_e32 vcc, s21, v40
	v_mov_b32_e32 v52, 0x7f80
	s_and_saveexec_b64 s[16:17], vcc
	s_cbranch_execz .LBB911_579
; %bb.578:                              ;   in Loop: Header=BB911_215 Depth=1
	v_and_b32_e32 v42, 7, v38
	v_ffbh_u32_e32 v58, v42
	v_min_u32_e32 v60, 32, v58
	v_subrev_u32_e32 v58, 28, v60
	v_lshlrev_b64 v[58:59], v58, v[38:39]
	v_lshrrev_b32_e32 v52, 3, v40
	v_sub_u32_e32 v59, 29, v60
	v_and_b32_e32 v58, 7, v58
	v_cmp_gt_u32_e32 vcc, 8, v40
	v_cndmask_b32_e32 v40, v52, v59, vcc
	v_cndmask_b32_e32 v42, v42, v58, vcc
	v_lshlrev_b32_e32 v52, 24, v38
	v_lshlrev_b32_e32 v42, 20, v42
	v_and_b32_e32 v52, 0x80000000, v52
	v_lshl_add_u32 v40, v40, 23, v56
	v_or3_b32 v40, v52, v40, v42
	v_lshrrev_b32_e32 v52, 16, v40
.LBB911_579:                            ;   in Loop: Header=BB911_215 Depth=1
	s_or_b64 exec, exec, s[16:17]
.LBB911_580:                            ;   in Loop: Header=BB911_215 Depth=1
	s_or_b64 exec, exec, s[14:15]
.LBB911_581:                            ;   in Loop: Header=BB911_215 Depth=1
	s_or_b64 exec, exec, s[12:13]
	v_lshrrev_b16_e32 v40, 8, v38
	v_cmp_ne_u16_e32 vcc, 0, v40
	v_mov_b32_e32 v58, 0
	v_mov_b32_e32 v42, 0
	s_and_saveexec_b64 s[12:13], vcc
	s_cbranch_execz .LBB911_587
; %bb.582:                              ;   in Loop: Header=BB911_215 Depth=1
	v_cmp_ne_u16_e32 vcc, s9, v40
	v_mov_b32_e32 v42, 0xffff8000
	s_and_saveexec_b64 s[14:15], vcc
	s_cbranch_execz .LBB911_586
; %bb.583:                              ;   in Loop: Header=BB911_215 Depth=1
	v_and_b32_e32 v59, 0x7f, v40
	v_cmp_ne_u32_e32 vcc, s21, v59
	v_mov_b32_e32 v42, 0x7f80
	s_and_saveexec_b64 s[16:17], vcc
	s_cbranch_execz .LBB911_585
; %bb.584:                              ;   in Loop: Header=BB911_215 Depth=1
	v_and_b32_e32 v42, 7, v40
	v_ffbh_u32_e32 v60, v42
	v_min_u32_e32 v63, 32, v60
	v_subrev_u32_e32 v60, 28, v63
	v_lshlrev_b64 v[60:61], v60, v[40:41]
	v_lshrrev_b32_e32 v62, 3, v59
	v_sub_u32_e32 v40, 29, v63
	v_and_b32_e32 v60, 7, v60
	v_cmp_gt_u32_e32 vcc, 8, v59
	v_cndmask_b32_e32 v40, v62, v40, vcc
	v_cndmask_b32_e32 v42, v42, v60, vcc
	v_lshlrev_b32_e32 v59, 16, v38
	v_lshlrev_b32_e32 v42, 20, v42
	v_and_b32_e32 v59, 0x80000000, v59
	v_lshl_add_u32 v40, v40, 23, v56
	v_or3_b32 v40, v59, v40, v42
	v_lshrrev_b32_e32 v42, 16, v40
.LBB911_585:                            ;   in Loop: Header=BB911_215 Depth=1
	s_or_b64 exec, exec, s[16:17]
.LBB911_586:                            ;   in Loop: Header=BB911_215 Depth=1
	s_or_b64 exec, exec, s[14:15]
.LBB911_587:                            ;   in Loop: Header=BB911_215 Depth=1
	s_or_b64 exec, exec, s[12:13]
	v_lshrrev_b32_e32 v40, 16, v38
	v_cmp_ne_u16_sdwa s[14:15], v40, v55 src0_sel:BYTE_0 src1_sel:DWORD
	s_and_saveexec_b64 s[12:13], s[14:15]
	s_cbranch_execz .LBB911_593
; %bb.588:                              ;   in Loop: Header=BB911_215 Depth=1
	v_cmp_ne_u16_sdwa s[16:17], v40, s9 src0_sel:BYTE_0 src1_sel:DWORD
	v_mov_b32_e32 v58, 0xffff8000
	s_and_saveexec_b64 s[14:15], s[16:17]
	s_cbranch_execz .LBB911_592
; %bb.589:                              ;   in Loop: Header=BB911_215 Depth=1
	v_bfe_u32 v59, v38, 16, 7
	v_cmp_ne_u32_e32 vcc, s21, v59
	v_mov_b32_e32 v58, 0x7f80
	s_and_saveexec_b64 s[16:17], vcc
	s_cbranch_execz .LBB911_591
; %bb.590:                              ;   in Loop: Header=BB911_215 Depth=1
	v_and_b32_e32 v58, 7, v40
	v_ffbh_u32_e32 v60, v58
	v_min_u32_e32 v63, 32, v60
	v_subrev_u32_e32 v60, 28, v63
	v_lshlrev_b64 v[60:61], v60, v[40:41]
	v_lshrrev_b32_e32 v62, 3, v59
	v_sub_u32_e32 v61, 29, v63
	v_and_b32_e32 v60, 7, v60
	v_cmp_gt_u32_e32 vcc, 8, v59
	v_cndmask_b32_e32 v59, v62, v61, vcc
	v_cndmask_b32_e32 v58, v58, v60, vcc
	v_lshlrev_b32_e32 v40, 24, v40
	v_lshlrev_b32_e32 v58, 20, v58
	v_and_b32_e32 v40, 0x80000000, v40
	v_lshl_add_u32 v59, v59, 23, v56
	v_or3_b32 v40, v40, v59, v58
	v_lshrrev_b32_e32 v58, 16, v40
.LBB911_591:                            ;   in Loop: Header=BB911_215 Depth=1
	s_or_b64 exec, exec, s[16:17]
.LBB911_592:                            ;   in Loop: Header=BB911_215 Depth=1
	s_or_b64 exec, exec, s[14:15]
.LBB911_593:                            ;   in Loop: Header=BB911_215 Depth=1
	s_or_b64 exec, exec, s[12:13]
	v_cmp_lt_u32_e32 vcc, s22, v38
	v_mov_b32_e32 v59, 0
	s_and_saveexec_b64 s[12:13], vcc
	s_cbranch_execz .LBB911_214
; %bb.594:                              ;   in Loop: Header=BB911_215 Depth=1
	v_lshrrev_b32_e32 v40, 24, v38
	v_cmp_ne_u32_e32 vcc, s9, v40
	v_mov_b32_e32 v59, 0xffff8000
	s_and_saveexec_b64 s[14:15], vcc
	s_cbranch_execz .LBB911_213
; %bb.595:                              ;   in Loop: Header=BB911_215 Depth=1
	v_bfe_u32 v38, v38, 24, 7
	v_cmp_ne_u32_e32 vcc, s21, v38
	v_mov_b32_e32 v59, 0x7f80
	s_and_saveexec_b64 s[16:17], vcc
	s_cbranch_execz .LBB911_212
; %bb.596:                              ;   in Loop: Header=BB911_215 Depth=1
	v_and_b32_e32 v59, 7, v40
	v_ffbh_u32_e32 v60, v59
	v_min_u32_e32 v63, 32, v60
	v_subrev_u32_e32 v60, 28, v63
	v_lshlrev_b64 v[60:61], v60, v[40:41]
	v_lshrrev_b32_e32 v62, 3, v38
	v_sub_u32_e32 v61, 29, v63
	v_and_b32_e32 v60, 7, v60
	v_cmp_gt_u32_e32 vcc, 8, v38
	v_cndmask_b32_e32 v38, v62, v61, vcc
	v_cndmask_b32_e32 v59, v59, v60, vcc
	v_lshlrev_b32_e32 v40, 24, v40
	v_lshlrev_b32_e32 v59, 20, v59
	v_and_b32_e32 v40, 0x80000000, v40
	v_lshl_add_u32 v38, v38, 23, v56
	v_or3_b32 v38, v40, v38, v59
	v_lshrrev_b32_e32 v59, 16, v38
	s_branch .LBB911_212
.LBB911_597:
	s_barrier
	buffer_load_dword v2, off, s[0:3], 0 offset:320
	buffer_load_dword v5, off, s[0:3], 0 offset:332
	;; [unrolled: 1-line block ×4, first 2 shown]
	v_cmp_gt_u32_e32 vcc, 64, v0
	v_cmp_gt_u32_e64 s[4:5], 32, v45
	s_and_b64 s[4:5], vcc, s[4:5]
	s_waitcnt vmcnt(0)
	ds_write2st64_b64 v53, v[2:3], v[4:5] offset1:1
	s_waitcnt lgkmcnt(0)
	s_barrier
	s_and_saveexec_b64 s[6:7], s[4:5]
	s_cbranch_execz .LBB911_599
; %bb.598:
	s_mul_i32 s4, s18, s8
	s_lshl_b32 s6, s48, 7
	s_mul_hi_u32 s5, s4, s6
	s_mul_i32 s4, s4, s6
	v_lshlrev_b32_e32 v4, 6, v41
	s_lshl_b64 s[4:5], s[4:5], 1
	v_lshl_or_b32 v0, v0, 10, v4
	s_add_u32 s7, s50, s4
	v_lshlrev_b32_e32 v2, 5, v39
	v_and_b32_e32 v3, 16, v43
	v_and_b32_e32 v0, 0x1a00, v0
	s_addc_u32 s8, s51, s5
	s_lshl_b32 s4, s26, 7
	s_mov_b32 s5, 0
	v_or3_b32 v0, v0, v2, v3
	s_lshl_b64 s[4:5], s[4:5], 1
	ds_read_b128 v[2:5], v0
	s_add_u32 s7, s7, s4
	v_or_b32_e32 v0, s27, v39
	s_addc_u32 s8, s8, s5
	v_mad_u64_u32 v[6:7], s[4:5], s6, v0, 0
	v_lshlrev_b64 v[6:7], 1, v[6:7]
	v_mov_b32_e32 v0, s8
	v_add_co_u32_e32 v6, vcc, s7, v6
	v_addc_co_u32_e32 v7, vcc, v0, v7, vcc
	v_add_co_u32_e32 v0, vcc, v6, v1
	v_addc_co_u32_e32 v1, vcc, 0, v7, vcc
	s_waitcnt lgkmcnt(0)
	global_store_dwordx4 v[0:1], v[2:5], off
.LBB911_599:
	s_endpgm
	.section	.rodata,"a",@progbits
	.p2align	6, 0x0
	.amdhsa_kernel _Z39paged_attention_ll4mi_QKV_mfma16_kernelI14__hip_bfloat16hLN4vllm18Fp8KVCacheDataTypeE1ES0_Li16ELi128ELi256ELb1ELi2EL8MFMAType0EEvPKT_PKT0_S9_ifPKiSB_SB_iPKfiiiPfSE_PS4_PT2_iSD_SD_
		.amdhsa_group_segment_fixed_size 8192
		.amdhsa_private_segment_fixed_size 352
		.amdhsa_kernarg_size 400
		.amdhsa_user_sgpr_count 8
		.amdhsa_user_sgpr_private_segment_buffer 1
		.amdhsa_user_sgpr_dispatch_ptr 0
		.amdhsa_user_sgpr_queue_ptr 0
		.amdhsa_user_sgpr_kernarg_segment_ptr 1
		.amdhsa_user_sgpr_dispatch_id 0
		.amdhsa_user_sgpr_flat_scratch_init 1
		.amdhsa_user_sgpr_kernarg_preload_length 0
		.amdhsa_user_sgpr_kernarg_preload_offset 0
		.amdhsa_user_sgpr_private_segment_size 0
		.amdhsa_uses_dynamic_stack 0
		.amdhsa_system_sgpr_private_segment_wavefront_offset 1
		.amdhsa_system_sgpr_workgroup_id_x 1
		.amdhsa_system_sgpr_workgroup_id_y 1
		.amdhsa_system_sgpr_workgroup_id_z 1
		.amdhsa_system_sgpr_workgroup_info 0
		.amdhsa_system_vgpr_workitem_id 0
		.amdhsa_next_free_vgpr 82
		.amdhsa_next_free_sgpr 53
		.amdhsa_accum_offset 84
		.amdhsa_reserve_vcc 1
		.amdhsa_reserve_flat_scratch 0
		.amdhsa_float_round_mode_32 0
		.amdhsa_float_round_mode_16_64 0
		.amdhsa_float_denorm_mode_32 3
		.amdhsa_float_denorm_mode_16_64 3
		.amdhsa_dx10_clamp 1
		.amdhsa_ieee_mode 1
		.amdhsa_fp16_overflow 0
		.amdhsa_tg_split 0
		.amdhsa_exception_fp_ieee_invalid_op 0
		.amdhsa_exception_fp_denorm_src 0
		.amdhsa_exception_fp_ieee_div_zero 0
		.amdhsa_exception_fp_ieee_overflow 0
		.amdhsa_exception_fp_ieee_underflow 0
		.amdhsa_exception_fp_ieee_inexact 0
		.amdhsa_exception_int_div_zero 0
	.end_amdhsa_kernel
	.section	.text._Z39paged_attention_ll4mi_QKV_mfma16_kernelI14__hip_bfloat16hLN4vllm18Fp8KVCacheDataTypeE1ES0_Li16ELi128ELi256ELb1ELi2EL8MFMAType0EEvPKT_PKT0_S9_ifPKiSB_SB_iPKfiiiPfSE_PS4_PT2_iSD_SD_,"axG",@progbits,_Z39paged_attention_ll4mi_QKV_mfma16_kernelI14__hip_bfloat16hLN4vllm18Fp8KVCacheDataTypeE1ES0_Li16ELi128ELi256ELb1ELi2EL8MFMAType0EEvPKT_PKT0_S9_ifPKiSB_SB_iPKfiiiPfSE_PS4_PT2_iSD_SD_,comdat
.Lfunc_end911:
	.size	_Z39paged_attention_ll4mi_QKV_mfma16_kernelI14__hip_bfloat16hLN4vllm18Fp8KVCacheDataTypeE1ES0_Li16ELi128ELi256ELb1ELi2EL8MFMAType0EEvPKT_PKT0_S9_ifPKiSB_SB_iPKfiiiPfSE_PS4_PT2_iSD_SD_, .Lfunc_end911-_Z39paged_attention_ll4mi_QKV_mfma16_kernelI14__hip_bfloat16hLN4vllm18Fp8KVCacheDataTypeE1ES0_Li16ELi128ELi256ELb1ELi2EL8MFMAType0EEvPKT_PKT0_S9_ifPKiSB_SB_iPKfiiiPfSE_PS4_PT2_iSD_SD_
                                        ; -- End function
	.section	.AMDGPU.csdata,"",@progbits
; Kernel info:
; codeLenInByte = 22380
; NumSgprs: 57
; NumVgprs: 82
; NumAgprs: 0
; TotalNumVgprs: 82
; ScratchSize: 352
; MemoryBound: 0
; FloatMode: 240
; IeeeMode: 1
; LDSByteSize: 8192 bytes/workgroup (compile time only)
; SGPRBlocks: 7
; VGPRBlocks: 10
; NumSGPRsForWavesPerEU: 57
; NumVGPRsForWavesPerEU: 82
; AccumOffset: 84
; Occupancy: 5
; WaveLimiterHint : 1
; COMPUTE_PGM_RSRC2:SCRATCH_EN: 1
; COMPUTE_PGM_RSRC2:USER_SGPR: 8
; COMPUTE_PGM_RSRC2:TRAP_HANDLER: 0
; COMPUTE_PGM_RSRC2:TGID_X_EN: 1
; COMPUTE_PGM_RSRC2:TGID_Y_EN: 1
; COMPUTE_PGM_RSRC2:TGID_Z_EN: 1
; COMPUTE_PGM_RSRC2:TIDIG_COMP_CNT: 0
; COMPUTE_PGM_RSRC3_GFX90A:ACCUM_OFFSET: 20
; COMPUTE_PGM_RSRC3_GFX90A:TG_SPLIT: 0
	.section	.text._Z39paged_attention_ll4mi_QKV_mfma16_kernelI14__hip_bfloat16hLN4vllm18Fp8KVCacheDataTypeE1ES0_Li16ELi128ELi256ELb1ELi3EL8MFMAType0EEvPKT_PKT0_S9_ifPKiSB_SB_iPKfiiiPfSE_PS4_PT2_iSD_SD_,"axG",@progbits,_Z39paged_attention_ll4mi_QKV_mfma16_kernelI14__hip_bfloat16hLN4vllm18Fp8KVCacheDataTypeE1ES0_Li16ELi128ELi256ELb1ELi3EL8MFMAType0EEvPKT_PKT0_S9_ifPKiSB_SB_iPKfiiiPfSE_PS4_PT2_iSD_SD_,comdat
	.protected	_Z39paged_attention_ll4mi_QKV_mfma16_kernelI14__hip_bfloat16hLN4vllm18Fp8KVCacheDataTypeE1ES0_Li16ELi128ELi256ELb1ELi3EL8MFMAType0EEvPKT_PKT0_S9_ifPKiSB_SB_iPKfiiiPfSE_PS4_PT2_iSD_SD_ ; -- Begin function _Z39paged_attention_ll4mi_QKV_mfma16_kernelI14__hip_bfloat16hLN4vllm18Fp8KVCacheDataTypeE1ES0_Li16ELi128ELi256ELb1ELi3EL8MFMAType0EEvPKT_PKT0_S9_ifPKiSB_SB_iPKfiiiPfSE_PS4_PT2_iSD_SD_
	.globl	_Z39paged_attention_ll4mi_QKV_mfma16_kernelI14__hip_bfloat16hLN4vllm18Fp8KVCacheDataTypeE1ES0_Li16ELi128ELi256ELb1ELi3EL8MFMAType0EEvPKT_PKT0_S9_ifPKiSB_SB_iPKfiiiPfSE_PS4_PT2_iSD_SD_
	.p2align	8
	.type	_Z39paged_attention_ll4mi_QKV_mfma16_kernelI14__hip_bfloat16hLN4vllm18Fp8KVCacheDataTypeE1ES0_Li16ELi128ELi256ELb1ELi3EL8MFMAType0EEvPKT_PKT0_S9_ifPKiSB_SB_iPKfiiiPfSE_PS4_PT2_iSD_SD_,@function
_Z39paged_attention_ll4mi_QKV_mfma16_kernelI14__hip_bfloat16hLN4vllm18Fp8KVCacheDataTypeE1ES0_Li16ELi128ELi256ELb1ELi3EL8MFMAType0EEvPKT_PKT0_S9_ifPKiSB_SB_iPKfiiiPfSE_PS4_PT2_iSD_SD_: ; @_Z39paged_attention_ll4mi_QKV_mfma16_kernelI14__hip_bfloat16hLN4vllm18Fp8KVCacheDataTypeE1ES0_Li16ELi128ELi256ELb1ELi3EL8MFMAType0EEvPKT_PKT0_S9_ifPKiSB_SB_iPKfiiiPfSE_PS4_PT2_iSD_SD_
; %bb.0:
	s_load_dwordx2 s[6:7], s[4:5], 0x30
	s_add_u32 s0, s0, s11
	s_addc_u32 s1, s1, 0
	s_mov_b32 s26, s9
	s_mov_b64 s[14:15], 0
	s_waitcnt lgkmcnt(0)
	s_cmp_lg_u64 s[6:7], 0
	s_cselect_b64 s[12:13], -1, 0
	s_and_b64 vcc, exec, s[12:13]
	s_cbranch_vccz .LBB912_7
; %bb.1:
	s_add_i32 s16, s8, 1
	s_mov_b32 s17, 0
	s_lshl_b64 s[18:19], s[16:17], 2
	s_add_u32 s18, s6, s18
	s_mov_b32 s9, s17
	s_addc_u32 s19, s7, s19
	s_lshl_b64 s[16:17], s[8:9], 2
	s_add_u32 s16, s6, s16
	s_addc_u32 s17, s7, s17
	s_load_dword s11, s[18:19], 0x0
	s_load_dword s20, s[16:17], 0x0
	s_waitcnt lgkmcnt(0)
	s_sub_i32 s11, s11, s20
	s_cmp_eq_u32 s11, 1
	s_cselect_b64 s[16:17], -1, 0
	s_andn2_b64 vcc, exec, s[14:15]
	s_cbranch_vccnz .LBB912_3
.LBB912_2:
	s_mov_b32 s9, 0
	s_mov_b64 s[16:17], -1
.LBB912_3:
	s_andn2_b64 vcc, exec, s[16:17]
	s_cbranch_vccnz .LBB912_599
; %bb.4:
	s_load_dwordx2 s[16:17], s[4:5], 0x28
	s_lshl_b64 s[14:15], s[8:9], 2
	s_waitcnt lgkmcnt(0)
	s_add_u32 s16, s16, s14
	s_addc_u32 s17, s17, s15
	s_load_dword s33, s[16:17], 0x0
	s_lshl_b32 s20, s26, 8
	s_waitcnt lgkmcnt(0)
	s_cmp_ge_i32 s20, s33
	s_cbranch_scc1 .LBB912_599
; %bb.5:
	s_add_i32 s18, s33, 15
	s_load_dwordx2 s[16:17], s[4:5], 0x20
	s_load_dword s11, s[4:5], 0x38
	s_ashr_i32 s19, s18, 31
	v_and_b32_e32 v1, 0xcf, v0
	s_lshr_b32 s19, s19, 28
	v_add_u32_e32 v1, s20, v1
	s_add_i32 s18, s18, s19
	v_ashrrev_i32_e32 v2, 31, v1
	s_ashr_i32 s23, s18, 4
	v_lshrrev_b32_e32 v4, 28, v2
	s_add_i32 s23, s23, -1
	v_add_u32_e32 v2, v1, v4
	s_waitcnt lgkmcnt(0)
	s_mul_i32 s18, s8, s11
	s_mov_b32 s19, 0
	v_ashrrev_i32_e32 v2, 4, v2
	v_mov_b32_e32 v5, s23
	v_cmp_gt_i32_e32 vcc, s33, v1
	s_lshl_b64 s[18:19], s[18:19], 2
	v_cndmask_b32_e32 v2, v5, v2, vcc
	s_add_u32 s21, s16, s18
	v_ashrrev_i32_e32 v3, 31, v2
	s_addc_u32 s22, s17, s19
	v_lshlrev_b64 v[2:3], 2, v[2:3]
	v_mov_b32_e32 v7, s22
	v_add_co_u32_e32 v6, vcc, s21, v2
	v_or_b32_e32 v2, 16, v1
	v_addc_co_u32_e32 v7, vcc, v7, v3, vcc
	v_add_u32_e32 v3, v2, v4
	v_ashrrev_i32_e32 v3, 4, v3
	v_cmp_gt_i32_e32 vcc, s33, v2
	v_cndmask_b32_e32 v2, v5, v3, vcc
	v_ashrrev_i32_e32 v3, 31, v2
	v_lshlrev_b64 v[2:3], 2, v[2:3]
	v_mov_b32_e32 v9, s22
	v_add_co_u32_e32 v8, vcc, s21, v2
	v_or_b32_e32 v2, 32, v1
	v_addc_co_u32_e32 v9, vcc, v9, v3, vcc
	v_add_u32_e32 v3, v2, v4
	v_ashrrev_i32_e32 v3, 4, v3
	v_cmp_gt_i32_e32 vcc, s33, v2
	v_cndmask_b32_e32 v2, v5, v3, vcc
	v_ashrrev_i32_e32 v3, 31, v2
	;; [unrolled: 10-line block ×3, first 2 shown]
	v_lshlrev_b64 v[2:3], 2, v[2:3]
	v_mov_b32_e32 v1, s22
	v_add_co_u32_e32 v12, vcc, s21, v2
	v_addc_co_u32_e32 v13, vcc, v1, v3, vcc
	global_load_dword v5, v[6:7], off
	global_load_dword v4, v[8:9], off
	;; [unrolled: 1-line block ×4, first 2 shown]
	s_load_dwordx2 s[16:17], s[4:5], 0x8
	s_andn2_b64 vcc, exec, s[12:13]
	s_cbranch_vccnz .LBB912_8
; %bb.6:
	s_add_u32 s6, s6, s14
	s_addc_u32 s7, s7, s15
	s_load_dword s11, s[6:7], 0x0
	s_branch .LBB912_9
.LBB912_7:
	s_mov_b64 s[16:17], 0
	s_branch .LBB912_2
.LBB912_8:
	s_mov_b32 s11, s8
.LBB912_9:
	s_load_dwordx2 s[6:7], s[4:5], 0x10
	s_load_dwordx4 s[12:15], s[4:5], 0x48
	v_lshrrev_b32_e32 v27, 6, v0
	v_bfe_u32 v41, v0, 4, 2
	v_and_b32_e32 v43, 15, v0
	s_mul_i32 s27, s10, 3
	v_lshl_or_b32 v6, v27, 2, v41
	v_lshlrev_b32_e32 v1, 3, v43
	v_add_u32_e32 v39, s27, v41
	v_cmp_gt_u32_e32 vcc, 3, v6
	v_lshlrev_b32_e32 v1, 1, v1
	v_lshlrev_b32_e32 v45, 4, v0
	s_and_saveexec_b64 s[18:19], vcc
	s_cbranch_execz .LBB912_11
; %bb.10:
	s_load_dwordx2 s[24:25], s[4:5], 0x0
	s_waitcnt lgkmcnt(0)
	s_ashr_i32 s15, s12, 31
	s_mul_hi_u32 s28, s11, s12
	s_mul_i32 s15, s11, s15
	s_add_i32 s29, s28, s15
	s_mul_i32 s28, s11, s12
	s_lshl_b64 s[28:29], s[28:29], 1
	v_lshlrev_b32_e32 v8, 7, v39
	s_add_u32 s11, s24, s28
	v_ashrrev_i32_e32 v9, 31, v8
	s_addc_u32 s12, s25, s29
	v_lshlrev_b64 v[8:9], 1, v[8:9]
	v_mov_b32_e32 v7, s12
	v_add_co_u32_e32 v8, vcc, s11, v8
	v_addc_co_u32_e32 v7, vcc, v7, v9, vcc
	v_add_co_u32_e32 v8, vcc, v8, v1
	v_addc_co_u32_e32 v9, vcc, 0, v7, vcc
	global_load_dwordx4 v[8:11], v[8:9], off
	v_lshlrev_b32_e32 v12, 8, v0
	v_lshlrev_b32_e32 v7, 8, v43
	v_and_b32_e32 v12, 0x600, v12
	s_movk_i32 s11, 0x800
	v_and_or_b32 v7, v7, s11, v12
	v_lshlrev_b32_e32 v6, 5, v6
	v_and_b32_e32 v12, 16, v45
	v_or3_b32 v6, v7, v6, v12
	s_waitcnt vmcnt(0)
	ds_write_b128 v6, v[8:11]
.LBB912_11:
	s_or_b64 exec, exec, s[18:19]
	s_waitcnt lgkmcnt(0)
	s_mul_i32 s14, s10, s14
	s_add_u32 s10, s16, s14
	s_addc_u32 s11, s17, 0
	v_and_b32_e32 v6, 0xf0, v45
	v_mov_b32_e32 v7, s11
	v_add_co_u32_e32 v6, vcc, s10, v6
	v_and_b32_e32 v18, 48, v0
	v_addc_co_u32_e32 v7, vcc, 0, v7, vcc
	v_lshlrev_b32_e32 v10, 4, v18
	s_waitcnt vmcnt(3)
	v_mad_i64_i32 v[8:9], s[10:11], v5, s13, v[6:7]
	v_add_co_u32_e32 v8, vcc, v8, v10
	v_addc_co_u32_e32 v9, vcc, 0, v9, vcc
	s_waitcnt vmcnt(2)
	v_mad_i64_i32 v[4:5], s[10:11], v4, s13, v[6:7]
	v_add_co_u32_e32 v4, vcc, v4, v10
	v_addc_co_u32_e32 v5, vcc, 0, v5, vcc
	s_load_dwordx2 s[48:49], s[4:5], 0x94
	s_waitcnt lgkmcnt(0)
	s_barrier
	global_load_dwordx4 v[20:23], v[8:9], off
	global_load_dwordx4 v[28:31], v[8:9], off offset:1024
	global_load_dwordx4 v[32:35], v[4:5], off
	global_load_dwordx4 v[46:49], v[4:5], off offset:1024
	s_waitcnt vmcnt(5)
	v_mad_i64_i32 v[4:5], s[10:11], v3, s13, v[6:7]
	v_add_co_u32_e32 v4, vcc, v4, v10
	v_addc_co_u32_e32 v5, vcc, 0, v5, vcc
	s_waitcnt vmcnt(4)
	v_mad_i64_i32 v[2:3], s[10:11], v2, s13, v[6:7]
	v_add_co_u32_e32 v2, vcc, v2, v10
	v_addc_co_u32_e32 v3, vcc, 0, v3, vcc
	global_load_dwordx4 v[50:53], v[4:5], off
	global_load_dwordx4 v[54:57], v[4:5], off offset:1024
	global_load_dwordx4 v[58:61], v[2:3], off
	global_load_dwordx4 v[62:65], v[2:3], off offset:1024
	v_mul_lo_u16_e32 v2, 0x56, v43
	v_mov_b32_e32 v3, 3
	v_mul_lo_u16_sdwa v2, v2, v3 dst_sel:DWORD dst_unused:UNUSED_PAD src0_sel:BYTE_1 src1_sel:DWORD
	v_mov_b32_e32 v4, 5
	v_sub_u16_e32 v2, v43, v2
	v_lshlrev_b32_sdwa v2, v4, v2 dst_sel:DWORD dst_unused:UNUSED_PAD src0_sel:DWORD src1_sel:BYTE_0
	v_lshl_add_u32 v14, v41, 9, v2
	s_load_dwordx2 s[50:51], s[4:5], 0x68
	s_load_dwordx4 s[44:47], s[4:5], 0x58
	ds_read_b128 v[2:5], v14
	ds_read_b128 v[6:9], v14 offset:16
	ds_read_b128 v[10:13], v14 offset:2048
	ds_read_b128 v[14:17], v14 offset:2064
	s_mov_b32 s12, 0
	v_cmp_gt_u32_e32 vcc, 3, v43
	s_waitcnt vmcnt(7)
	buffer_store_dword v23, off, s[0:3], 0 offset:12
	buffer_store_dword v22, off, s[0:3], 0 offset:8
	;; [unrolled: 1-line block ×3, first 2 shown]
	buffer_store_dword v20, off, s[0:3], 0
	s_waitcnt vmcnt(10)
	buffer_store_dword v31, off, s[0:3], 0 offset:28
	buffer_store_dword v30, off, s[0:3], 0 offset:24
	buffer_store_dword v29, off, s[0:3], 0 offset:20
	buffer_store_dword v28, off, s[0:3], 0 offset:16
	s_waitcnt vmcnt(13)
	buffer_store_dword v35, off, s[0:3], 0 offset:44
	buffer_store_dword v34, off, s[0:3], 0 offset:40
	buffer_store_dword v33, off, s[0:3], 0 offset:36
	buffer_store_dword v32, off, s[0:3], 0 offset:32
	;; [unrolled: 5-line block ×7, first 2 shown]
	v_mov_b32_e32 v35, 0
	v_mov_b32_e32 v31, 0
	s_and_saveexec_b64 s[10:11], vcc
	s_cbranch_execz .LBB912_13
; %bb.12:
	s_load_dwordx2 s[16:17], s[4:5], 0x40
	v_add_u32_e32 v20, s27, v43
	v_ashrrev_i32_e32 v21, 31, v20
	v_lshlrev_b64 v[20:21], 2, v[20:21]
	s_waitcnt lgkmcnt(0)
	v_mov_b32_e32 v19, s17
	v_add_co_u32_e32 v20, vcc, s16, v20
	v_addc_co_u32_e32 v21, vcc, v19, v21, vcc
	global_load_dword v31, v[20:21], off
.LBB912_13:
	s_or_b64 exec, exec, s[10:11]
	v_or_b32_e32 v22, s20, v18
	v_ashrrev_i32_e32 v18, 4, v22
	v_mov_b32_e32 v23, s23
	v_cmp_gt_i32_e32 vcc, s33, v22
	v_cndmask_b32_e32 v18, v23, v18, vcc
	v_ashrrev_i32_e32 v19, 31, v18
	v_lshlrev_b64 v[18:19], 2, v[18:19]
	v_mov_b32_e32 v20, s22
	v_add_co_u32_e32 v18, vcc, s21, v18
	v_addc_co_u32_e32 v19, vcc, v20, v19, vcc
	global_load_dword v26, v[18:19], off
	v_or_b32_e32 v18, 64, v22
	v_ashrrev_i32_e32 v19, 4, v18
	v_cmp_gt_i32_e32 vcc, s33, v18
	v_cndmask_b32_e32 v18, v23, v19, vcc
	v_ashrrev_i32_e32 v19, 31, v18
	v_lshlrev_b64 v[18:19], 2, v[18:19]
	v_add_co_u32_e32 v18, vcc, s21, v18
	v_addc_co_u32_e32 v19, vcc, v20, v19, vcc
	v_or_b32_e32 v20, 0x80, v22
	v_ashrrev_i32_e32 v21, 4, v20
	v_cmp_gt_i32_e32 vcc, s33, v20
	v_cndmask_b32_e32 v20, v23, v21, vcc
	v_ashrrev_i32_e32 v21, 31, v20
	v_lshlrev_b64 v[20:21], 2, v[20:21]
	v_mov_b32_e32 v24, s22
	v_add_co_u32_e32 v20, vcc, s21, v20
	v_addc_co_u32_e32 v21, vcc, v24, v21, vcc
	global_load_dword v28, v[18:19], off
	global_load_dword v30, v[20:21], off
	v_or_b32_e32 v18, 0xc0, v22
	v_ashrrev_i32_e32 v19, 4, v18
	v_cmp_gt_i32_e32 vcc, s33, v18
	v_cndmask_b32_e32 v18, v23, v19, vcc
	v_ashrrev_i32_e32 v19, 31, v18
	v_lshlrev_b64 v[18:19], 2, v[18:19]
	v_mov_b32_e32 v20, s22
	v_add_co_u32_e32 v18, vcc, s21, v18
	v_addc_co_u32_e32 v19, vcc, v20, v19, vcc
	global_load_dword v34, v[18:19], off
	s_add_u32 s10, s6, s14
	v_lshl_or_b32 v29, v27, 4, v43
	s_addc_u32 s6, s7, 0
	v_lshlrev_b32_e32 v18, 4, v29
	v_mov_b32_e32 v19, s6
	v_add_co_u32_e32 v22, vcc, s10, v18
	v_addc_co_u32_e32 v23, vcc, 0, v19, vcc
	v_or_b32_e32 v24, 0x400, v18
	v_mov_b32_e32 v25, s6
	v_add_co_u32_e32 v24, vcc, s10, v24
	v_addc_co_u32_e32 v25, vcc, 0, v25, vcc
	v_mov_b32_e32 v36, 0
	s_movk_i32 s14, 0x7f
	s_mov_b32 s15, 0xffffff
	s_mov_b32 s16, 0x5040100
	v_mov_b32_e32 v37, 0x100
	v_bfrev_b32_e32 v38, 60
	s_waitcnt vmcnt(3)
	v_mad_i64_i32 v[18:19], s[6:7], v26, s13, v[22:23]
	global_load_dwordx4 v[18:21], v[18:19], off
	v_mad_i64_i32 v[32:33], s[6:7], v26, s13, v[24:25]
	global_load_dwordx4 v[54:57], v[32:33], off
	s_waitcnt vmcnt(4)
	v_mad_i64_i32 v[32:33], s[6:7], v28, s13, v[22:23]
	global_load_dwordx4 v[58:61], v[32:33], off
	s_waitcnt vmcnt(4)
	;; [unrolled: 3-line block ×3, first 2 shown]
	v_mad_i64_i32 v[22:23], s[6:7], v34, s13, v[22:23]
	global_load_dwordx4 v[66:69], v[22:23], off
	v_mad_i64_i32 v[22:23], s[6:7], v28, s13, v[24:25]
	global_load_dwordx4 v[70:73], v[22:23], off
	;; [unrolled: 2-line block ×4, first 2 shown]
	s_load_dword s6, s[4:5], 0x1c
	s_load_dwordx4 s[40:43], s[4:5], 0x80
	v_mov_b32_e32 v22, 0x80
	v_add_u32_e32 v47, 16, v22
	v_add_u32_e32 v46, 32, v22
	;; [unrolled: 1-line block ×3, first 2 shown]
	s_waitcnt lgkmcnt(0)
	s_load_dword s4, s[40:41], 0x0
	v_add_u32_e32 v52, 64, v22
	v_add_u32_e32 v49, 0x50, v22
	;; [unrolled: 1-line block ×4, first 2 shown]
	v_mov_b32_e32 v22, s6
	s_waitcnt lgkmcnt(0)
	v_mul_f32_e32 v22, s4, v22
	v_and_b32_e32 v33, 63, v0
	s_movk_i32 s13, 0x80
	v_mov_b32_e32 v24, v22
	v_mov_b32_e32 v25, v22
	s_waitcnt vmcnt(7)
	buffer_store_dword v21, off, s[0:3], 0 offset:140
	buffer_store_dword v20, off, s[0:3], 0 offset:136
	buffer_store_dword v19, off, s[0:3], 0 offset:132
	buffer_store_dword v18, off, s[0:3], 0 offset:128
	s_waitcnt vmcnt(10)
	buffer_store_dword v57, off, s[0:3], 0 offset:156
	buffer_store_dword v56, off, s[0:3], 0 offset:152
	buffer_store_dword v55, off, s[0:3], 0 offset:148
	buffer_store_dword v54, off, s[0:3], 0 offset:144
	;; [unrolled: 5-line block ×8, first 2 shown]
	s_branch .LBB912_17
.LBB912_14:                             ;   in Loop: Header=BB912_17 Depth=1
	s_or_b64 exec, exec, s[10:11]
.LBB912_15:                             ;   in Loop: Header=BB912_17 Depth=1
	s_or_b64 exec, exec, s[6:7]
.LBB912_16:                             ;   in Loop: Header=BB912_17 Depth=1
	s_or_b64 exec, exec, s[4:5]
	v_perm_b32 v55, v40, v34, s16
	v_perm_b32 v54, v23, v32, s16
	v_add_u32_e32 v26, s12, v37
	s_add_i32 s12, s12, 16
	v_mov_b32_e32 v23, v22
	v_mfma_f32_16x16x16bf16_1k v[18:21], v[54:55], v[14:15], v[18:21]
	v_perm_b32 v55, v53, v44, s16
	v_perm_b32 v54, v30, v42, s16
	s_cmp_eq_u32 s12, 64
	v_add_u32_e32 v36, 32, v36
	v_mfma_f32_16x16x16bf16_1k v[18:21], v[54:55], v[16:17], v[18:21]
	s_nop 7
	s_nop 2
	v_pk_mul_f32 v[18:19], v[24:25], v[18:19]
	v_pk_mul_f32 v[20:21], v[22:23], v[20:21]
	buffer_store_dword v19, v26, s[0:3], 0 offen offset:4
	buffer_store_dword v18, v26, s[0:3], 0 offen
	buffer_store_dword v21, v26, s[0:3], 0 offen offset:12
	buffer_store_dword v20, v26, s[0:3], 0 offen offset:8
	s_cbranch_scc1 .LBB912_207
.LBB912_17:                             ; =>This Inner Loop Header: Depth=1
	buffer_load_dword v20, v36, s[0:3], 0 offen
	buffer_load_dword v18, v36, s[0:3], 0 offen offset:4
	buffer_load_dword v28, v36, s[0:3], 0 offen offset:8
	;; [unrolled: 1-line block ×3, first 2 shown]
	v_mov_b32_e32 v19, 0
	v_mov_b32_e32 v21, 0
	s_waitcnt vmcnt(3)
	v_cmp_ne_u16_sdwa s[6:7], v20, v35 src0_sel:BYTE_0 src1_sel:DWORD
	s_and_saveexec_b64 s[4:5], s[6:7]
	s_cbranch_execz .LBB912_23
; %bb.18:                               ;   in Loop: Header=BB912_17 Depth=1
	v_cmp_ne_u16_sdwa s[10:11], v20, s13 src0_sel:BYTE_0 src1_sel:DWORD
	v_mov_b32_e32 v21, 0xffff8000
	s_and_saveexec_b64 s[6:7], s[10:11]
	s_cbranch_execz .LBB912_22
; %bb.19:                               ;   in Loop: Header=BB912_17 Depth=1
	v_and_b32_e32 v23, 0x7f, v20
	v_cmp_ne_u32_e32 vcc, s14, v23
	v_mov_b32_e32 v21, 0x7f80
	s_and_saveexec_b64 s[10:11], vcc
	s_cbranch_execz .LBB912_21
; %bb.20:                               ;   in Loop: Header=BB912_17 Depth=1
	v_and_b32_e32 v21, 7, v20
	v_ffbh_u32_e32 v32, v21
	v_min_u32_e32 v32, 32, v32
	v_subrev_u32_e32 v34, 28, v32
	v_lshlrev_b64 v[54:55], v34, v[20:21]
	v_lshrrev_b32_e32 v30, 3, v23
	v_sub_u32_e32 v32, 29, v32
	v_and_b32_e32 v34, 7, v54
	v_cmp_gt_u32_e32 vcc, 8, v23
	v_cndmask_b32_e32 v23, v30, v32, vcc
	v_cndmask_b32_e32 v21, v21, v34, vcc
	v_lshlrev_b32_e32 v30, 24, v20
	v_lshlrev_b32_e32 v21, 20, v21
	v_and_b32_e32 v30, 0x80000000, v30
	v_lshl_add_u32 v23, v23, 23, v38
	v_or3_b32 v21, v30, v23, v21
	v_lshrrev_b32_e32 v21, 16, v21
.LBB912_21:                             ;   in Loop: Header=BB912_17 Depth=1
	s_or_b64 exec, exec, s[10:11]
.LBB912_22:                             ;   in Loop: Header=BB912_17 Depth=1
	s_or_b64 exec, exec, s[6:7]
.LBB912_23:                             ;   in Loop: Header=BB912_17 Depth=1
	s_or_b64 exec, exec, s[4:5]
	v_lshrrev_b16_e32 v30, 8, v20
	v_cmp_ne_u16_e32 vcc, 0, v30
	s_and_saveexec_b64 s[4:5], vcc
	s_cbranch_execz .LBB912_29
; %bb.24:                               ;   in Loop: Header=BB912_17 Depth=1
	v_cmp_ne_u16_e32 vcc, s13, v30
	v_mov_b32_e32 v19, 0xffff8000
	s_and_saveexec_b64 s[6:7], vcc
	s_cbranch_execz .LBB912_28
; %bb.25:                               ;   in Loop: Header=BB912_17 Depth=1
	v_and_b32_e32 v23, 0x7f, v30
	v_cmp_ne_u32_e32 vcc, s14, v23
	v_mov_b32_e32 v19, 0x7f80
	s_and_saveexec_b64 s[10:11], vcc
	s_cbranch_execz .LBB912_27
; %bb.26:                               ;   in Loop: Header=BB912_17 Depth=1
	v_and_b32_e32 v19, 7, v30
	v_ffbh_u32_e32 v34, v19
	v_min_u32_e32 v34, 32, v34
	v_subrev_u32_e32 v40, 28, v34
	v_lshlrev_b64 v[54:55], v40, v[30:31]
	v_lshrrev_b32_e32 v32, 3, v23
	v_sub_u32_e32 v30, 29, v34
	v_and_b32_e32 v34, 7, v54
	v_cmp_gt_u32_e32 vcc, 8, v23
	v_cndmask_b32_e32 v23, v32, v30, vcc
	v_cndmask_b32_e32 v19, v19, v34, vcc
	v_lshlrev_b32_e32 v30, 16, v20
	v_lshlrev_b32_e32 v19, 20, v19
	v_and_b32_e32 v30, 0x80000000, v30
	v_lshl_add_u32 v23, v23, 23, v38
	v_or3_b32 v19, v30, v23, v19
	v_lshrrev_b32_e32 v19, 16, v19
.LBB912_27:                             ;   in Loop: Header=BB912_17 Depth=1
	s_or_b64 exec, exec, s[10:11]
.LBB912_28:                             ;   in Loop: Header=BB912_17 Depth=1
	s_or_b64 exec, exec, s[6:7]
.LBB912_29:                             ;   in Loop: Header=BB912_17 Depth=1
	s_or_b64 exec, exec, s[4:5]
	v_lshrrev_b32_e32 v30, 16, v20
	v_cmp_ne_u16_sdwa s[6:7], v30, v35 src0_sel:BYTE_0 src1_sel:DWORD
	v_mov_b32_e32 v32, 0
	v_mov_b32_e32 v23, 0
	s_and_saveexec_b64 s[4:5], s[6:7]
	s_cbranch_execz .LBB912_35
; %bb.30:                               ;   in Loop: Header=BB912_17 Depth=1
	v_cmp_ne_u16_sdwa s[10:11], v30, s13 src0_sel:BYTE_0 src1_sel:DWORD
	v_mov_b32_e32 v23, 0xffff8000
	s_and_saveexec_b64 s[6:7], s[10:11]
	s_cbranch_execz .LBB912_34
; %bb.31:                               ;   in Loop: Header=BB912_17 Depth=1
	v_bfe_u32 v34, v20, 16, 7
	v_cmp_ne_u32_e32 vcc, s14, v34
	v_mov_b32_e32 v23, 0x7f80
	s_and_saveexec_b64 s[10:11], vcc
	s_cbranch_execz .LBB912_33
; %bb.32:                               ;   in Loop: Header=BB912_17 Depth=1
	v_and_b32_e32 v23, 7, v30
	v_ffbh_u32_e32 v42, v23
	v_min_u32_e32 v42, 32, v42
	v_subrev_u32_e32 v44, 28, v42
	v_lshlrev_b64 v[54:55], v44, v[30:31]
	v_lshrrev_b32_e32 v40, 3, v34
	v_sub_u32_e32 v42, 29, v42
	v_and_b32_e32 v44, 7, v54
	v_cmp_gt_u32_e32 vcc, 8, v34
	v_cndmask_b32_e32 v34, v40, v42, vcc
	v_cndmask_b32_e32 v23, v23, v44, vcc
	v_lshlrev_b32_e32 v30, 24, v30
	v_lshlrev_b32_e32 v23, 20, v23
	v_and_b32_e32 v30, 0x80000000, v30
	v_lshl_add_u32 v34, v34, 23, v38
	v_or3_b32 v23, v30, v34, v23
	v_lshrrev_b32_e32 v23, 16, v23
.LBB912_33:                             ;   in Loop: Header=BB912_17 Depth=1
	s_or_b64 exec, exec, s[10:11]
.LBB912_34:                             ;   in Loop: Header=BB912_17 Depth=1
	s_or_b64 exec, exec, s[6:7]
.LBB912_35:                             ;   in Loop: Header=BB912_17 Depth=1
	s_or_b64 exec, exec, s[4:5]
	v_cmp_lt_u32_e32 vcc, s15, v20
	s_and_saveexec_b64 s[4:5], vcc
	s_cbranch_execz .LBB912_41
; %bb.36:                               ;   in Loop: Header=BB912_17 Depth=1
	v_lshrrev_b32_e32 v30, 24, v20
	v_cmp_ne_u32_e32 vcc, s13, v30
	v_mov_b32_e32 v32, 0xffff8000
	s_and_saveexec_b64 s[6:7], vcc
	s_cbranch_execz .LBB912_40
; %bb.37:                               ;   in Loop: Header=BB912_17 Depth=1
	v_bfe_u32 v20, v20, 24, 7
	v_cmp_ne_u32_e32 vcc, s14, v20
	v_mov_b32_e32 v32, 0x7f80
	s_and_saveexec_b64 s[10:11], vcc
	s_cbranch_execz .LBB912_39
; %bb.38:                               ;   in Loop: Header=BB912_17 Depth=1
	v_and_b32_e32 v32, 7, v30
	v_ffbh_u32_e32 v40, v32
	v_min_u32_e32 v40, 32, v40
	v_subrev_u32_e32 v42, 28, v40
	v_lshlrev_b64 v[54:55], v42, v[30:31]
	v_lshrrev_b32_e32 v34, 3, v20
	v_sub_u32_e32 v40, 29, v40
	v_and_b32_e32 v42, 7, v54
	v_cmp_gt_u32_e32 vcc, 8, v20
	v_cndmask_b32_e32 v20, v34, v40, vcc
	v_cndmask_b32_e32 v32, v32, v42, vcc
	v_lshlrev_b32_e32 v30, 24, v30
	v_lshlrev_b32_e32 v32, 20, v32
	v_and_b32_e32 v30, 0x80000000, v30
	v_lshl_add_u32 v20, v20, 23, v38
	v_or3_b32 v20, v30, v20, v32
	v_lshrrev_b32_e32 v32, 16, v20
.LBB912_39:                             ;   in Loop: Header=BB912_17 Depth=1
	s_or_b64 exec, exec, s[10:11]
.LBB912_40:                             ;   in Loop: Header=BB912_17 Depth=1
	s_or_b64 exec, exec, s[6:7]
.LBB912_41:                             ;   in Loop: Header=BB912_17 Depth=1
	s_or_b64 exec, exec, s[4:5]
	s_waitcnt vmcnt(2)
	v_cmp_ne_u16_sdwa s[6:7], v18, v35 src0_sel:BYTE_0 src1_sel:DWORD
	v_mov_b32_e32 v30, 0
	v_mov_b32_e32 v34, 0
	s_and_saveexec_b64 s[4:5], s[6:7]
	s_cbranch_execz .LBB912_47
; %bb.42:                               ;   in Loop: Header=BB912_17 Depth=1
	v_cmp_ne_u16_sdwa s[10:11], v18, s13 src0_sel:BYTE_0 src1_sel:DWORD
	v_mov_b32_e32 v34, 0xffff8000
	s_and_saveexec_b64 s[6:7], s[10:11]
	s_cbranch_execz .LBB912_46
; %bb.43:                               ;   in Loop: Header=BB912_17 Depth=1
	v_and_b32_e32 v20, 0x7f, v18
	v_cmp_ne_u32_e32 vcc, s14, v20
	v_mov_b32_e32 v34, 0x7f80
	s_and_saveexec_b64 s[10:11], vcc
	s_cbranch_execz .LBB912_45
; %bb.44:                               ;   in Loop: Header=BB912_17 Depth=1
	v_and_b32_e32 v34, 7, v18
	v_ffbh_u32_e32 v42, v34
	v_min_u32_e32 v42, 32, v42
	v_subrev_u32_e32 v44, 28, v42
	v_lshlrev_b64 v[54:55], v44, v[18:19]
	v_lshrrev_b32_e32 v40, 3, v20
	v_sub_u32_e32 v42, 29, v42
	v_and_b32_e32 v44, 7, v54
	v_cmp_gt_u32_e32 vcc, 8, v20
	v_cndmask_b32_e32 v20, v40, v42, vcc
	v_cndmask_b32_e32 v34, v34, v44, vcc
	v_lshlrev_b32_e32 v40, 24, v18
	v_lshlrev_b32_e32 v34, 20, v34
	v_and_b32_e32 v40, 0x80000000, v40
	v_lshl_add_u32 v20, v20, 23, v38
	v_or3_b32 v20, v40, v20, v34
	v_lshrrev_b32_e32 v34, 16, v20
.LBB912_45:                             ;   in Loop: Header=BB912_17 Depth=1
	s_or_b64 exec, exec, s[10:11]
.LBB912_46:                             ;   in Loop: Header=BB912_17 Depth=1
	s_or_b64 exec, exec, s[6:7]
.LBB912_47:                             ;   in Loop: Header=BB912_17 Depth=1
	s_or_b64 exec, exec, s[4:5]
	v_lshrrev_b16_e32 v20, 8, v18
	v_cmp_ne_u16_e32 vcc, 0, v20
	s_and_saveexec_b64 s[4:5], vcc
	s_cbranch_execz .LBB912_53
; %bb.48:                               ;   in Loop: Header=BB912_17 Depth=1
	v_cmp_ne_u16_e32 vcc, s13, v20
	v_mov_b32_e32 v30, 0xffff8000
	s_and_saveexec_b64 s[6:7], vcc
	s_cbranch_execz .LBB912_52
; %bb.49:                               ;   in Loop: Header=BB912_17 Depth=1
	v_and_b32_e32 v40, 0x7f, v20
	v_cmp_ne_u32_e32 vcc, s14, v40
	v_mov_b32_e32 v30, 0x7f80
	s_and_saveexec_b64 s[10:11], vcc
	s_cbranch_execz .LBB912_51
; %bb.50:                               ;   in Loop: Header=BB912_17 Depth=1
	v_and_b32_e32 v30, 7, v20
	v_ffbh_u32_e32 v44, v30
	v_min_u32_e32 v44, 32, v44
	v_subrev_u32_e32 v53, 28, v44
	v_lshlrev_b64 v[54:55], v53, v[20:21]
	v_lshrrev_b32_e32 v42, 3, v40
	v_sub_u32_e32 v20, 29, v44
	v_and_b32_e32 v44, 7, v54
	v_cmp_gt_u32_e32 vcc, 8, v40
	v_cndmask_b32_e32 v20, v42, v20, vcc
	v_cndmask_b32_e32 v30, v30, v44, vcc
	v_lshlrev_b32_e32 v40, 16, v18
	v_lshlrev_b32_e32 v30, 20, v30
	v_and_b32_e32 v40, 0x80000000, v40
	v_lshl_add_u32 v20, v20, 23, v38
	v_or3_b32 v20, v40, v20, v30
	v_lshrrev_b32_e32 v30, 16, v20
.LBB912_51:                             ;   in Loop: Header=BB912_17 Depth=1
	s_or_b64 exec, exec, s[10:11]
.LBB912_52:                             ;   in Loop: Header=BB912_17 Depth=1
	s_or_b64 exec, exec, s[6:7]
.LBB912_53:                             ;   in Loop: Header=BB912_17 Depth=1
	s_or_b64 exec, exec, s[4:5]
	v_lshrrev_b32_e32 v20, 16, v18
	v_cmp_ne_u16_sdwa s[6:7], v20, v35 src0_sel:BYTE_0 src1_sel:DWORD
	v_mov_b32_e32 v42, 0
	v_mov_b32_e32 v40, 0
	s_and_saveexec_b64 s[4:5], s[6:7]
	s_cbranch_execz .LBB912_59
; %bb.54:                               ;   in Loop: Header=BB912_17 Depth=1
	v_cmp_ne_u16_sdwa s[10:11], v20, s13 src0_sel:BYTE_0 src1_sel:DWORD
	v_mov_b32_e32 v40, 0xffff8000
	s_and_saveexec_b64 s[6:7], s[10:11]
	s_cbranch_execz .LBB912_58
; %bb.55:                               ;   in Loop: Header=BB912_17 Depth=1
	v_bfe_u32 v44, v18, 16, 7
	v_cmp_ne_u32_e32 vcc, s14, v44
	v_mov_b32_e32 v40, 0x7f80
	s_and_saveexec_b64 s[10:11], vcc
	s_cbranch_execz .LBB912_57
; %bb.56:                               ;   in Loop: Header=BB912_17 Depth=1
	v_and_b32_e32 v40, 7, v20
	v_ffbh_u32_e32 v54, v40
	v_min_u32_e32 v56, 32, v54
	v_subrev_u32_e32 v54, 28, v56
	v_lshlrev_b64 v[54:55], v54, v[20:21]
	v_lshrrev_b32_e32 v53, 3, v44
	v_sub_u32_e32 v55, 29, v56
	v_and_b32_e32 v54, 7, v54
	v_cmp_gt_u32_e32 vcc, 8, v44
	v_cndmask_b32_e32 v44, v53, v55, vcc
	v_cndmask_b32_e32 v40, v40, v54, vcc
	v_lshlrev_b32_e32 v20, 24, v20
	v_lshlrev_b32_e32 v40, 20, v40
	v_and_b32_e32 v20, 0x80000000, v20
	v_lshl_add_u32 v44, v44, 23, v38
	v_or3_b32 v20, v20, v44, v40
	v_lshrrev_b32_e32 v40, 16, v20
.LBB912_57:                             ;   in Loop: Header=BB912_17 Depth=1
	s_or_b64 exec, exec, s[10:11]
.LBB912_58:                             ;   in Loop: Header=BB912_17 Depth=1
	s_or_b64 exec, exec, s[6:7]
.LBB912_59:                             ;   in Loop: Header=BB912_17 Depth=1
	s_or_b64 exec, exec, s[4:5]
	v_cmp_lt_u32_e32 vcc, s15, v18
	s_and_saveexec_b64 s[4:5], vcc
	s_cbranch_execz .LBB912_65
; %bb.60:                               ;   in Loop: Header=BB912_17 Depth=1
	v_lshrrev_b32_e32 v20, 24, v18
	v_cmp_ne_u32_e32 vcc, s13, v20
	v_mov_b32_e32 v42, 0xffff8000
	s_and_saveexec_b64 s[6:7], vcc
	s_cbranch_execz .LBB912_64
; %bb.61:                               ;   in Loop: Header=BB912_17 Depth=1
	v_bfe_u32 v18, v18, 24, 7
	v_cmp_ne_u32_e32 vcc, s14, v18
	v_mov_b32_e32 v42, 0x7f80
	s_and_saveexec_b64 s[10:11], vcc
	s_cbranch_execz .LBB912_63
; %bb.62:                               ;   in Loop: Header=BB912_17 Depth=1
	v_and_b32_e32 v42, 7, v20
	v_ffbh_u32_e32 v53, v42
	v_min_u32_e32 v53, 32, v53
	v_subrev_u32_e32 v54, 28, v53
	v_lshlrev_b64 v[54:55], v54, v[20:21]
	v_lshrrev_b32_e32 v44, 3, v18
	v_sub_u32_e32 v53, 29, v53
	v_and_b32_e32 v54, 7, v54
	v_cmp_gt_u32_e32 vcc, 8, v18
	v_cndmask_b32_e32 v18, v44, v53, vcc
	v_cndmask_b32_e32 v42, v42, v54, vcc
	v_lshlrev_b32_e32 v20, 24, v20
	v_lshlrev_b32_e32 v42, 20, v42
	v_and_b32_e32 v20, 0x80000000, v20
	v_lshl_add_u32 v18, v18, 23, v38
	v_or3_b32 v18, v20, v18, v42
	v_lshrrev_b32_e32 v42, 16, v18
.LBB912_63:                             ;   in Loop: Header=BB912_17 Depth=1
	s_or_b64 exec, exec, s[10:11]
.LBB912_64:                             ;   in Loop: Header=BB912_17 Depth=1
	s_or_b64 exec, exec, s[6:7]
.LBB912_65:                             ;   in Loop: Header=BB912_17 Depth=1
	s_or_b64 exec, exec, s[4:5]
	v_perm_b32 v55, v32, v23, s16
	v_perm_b32 v54, v19, v21, s16
	s_waitcnt vmcnt(1)
	v_cmp_ne_u16_sdwa s[6:7], v28, v35 src0_sel:BYTE_0 src1_sel:DWORD
	v_mov_b32_e32 v23, 0
	v_mov_b32_e32 v32, 0
	v_mfma_f32_16x16x16bf16_1k v[18:21], v[54:55], v[2:3], 0
	v_perm_b32 v55, v42, v40, s16
	v_perm_b32 v54, v30, v34, s16
	s_nop 1
	v_mfma_f32_16x16x16bf16_1k v[18:21], v[54:55], v[4:5], v[18:21]
	s_and_saveexec_b64 s[4:5], s[6:7]
	s_cbranch_execz .LBB912_71
; %bb.66:                               ;   in Loop: Header=BB912_17 Depth=1
	v_cmp_ne_u16_sdwa s[10:11], v28, s13 src0_sel:BYTE_0 src1_sel:DWORD
	v_mov_b32_e32 v32, 0xffff8000
	s_and_saveexec_b64 s[6:7], s[10:11]
	s_cbranch_execz .LBB912_70
; %bb.67:                               ;   in Loop: Header=BB912_17 Depth=1
	v_and_b32_e32 v30, 0x7f, v28
	v_cmp_ne_u32_e32 vcc, s14, v30
	v_mov_b32_e32 v32, 0x7f80
	s_and_saveexec_b64 s[10:11], vcc
	s_cbranch_execz .LBB912_69
; %bb.68:                               ;   in Loop: Header=BB912_17 Depth=1
	v_and_b32_e32 v32, 7, v28
	v_ffbh_u32_e32 v40, v32
	v_min_u32_e32 v40, 32, v40
	v_subrev_u32_e32 v42, 28, v40
	v_lshlrev_b64 v[54:55], v42, v[28:29]
	v_lshrrev_b32_e32 v34, 3, v30
	v_sub_u32_e32 v40, 29, v40
	v_and_b32_e32 v42, 7, v54
	v_cmp_gt_u32_e32 vcc, 8, v30
	v_cndmask_b32_e32 v30, v34, v40, vcc
	v_cndmask_b32_e32 v32, v32, v42, vcc
	v_lshlrev_b32_e32 v34, 24, v28
	v_lshlrev_b32_e32 v32, 20, v32
	v_and_b32_e32 v34, 0x80000000, v34
	v_lshl_add_u32 v30, v30, 23, v38
	v_or3_b32 v30, v34, v30, v32
	v_lshrrev_b32_e32 v32, 16, v30
.LBB912_69:                             ;   in Loop: Header=BB912_17 Depth=1
	s_or_b64 exec, exec, s[10:11]
.LBB912_70:                             ;   in Loop: Header=BB912_17 Depth=1
	s_or_b64 exec, exec, s[6:7]
.LBB912_71:                             ;   in Loop: Header=BB912_17 Depth=1
	s_or_b64 exec, exec, s[4:5]
	v_lshrrev_b16_e32 v30, 8, v28
	v_cmp_ne_u16_e32 vcc, 0, v30
	s_and_saveexec_b64 s[4:5], vcc
	s_cbranch_execz .LBB912_77
; %bb.72:                               ;   in Loop: Header=BB912_17 Depth=1
	v_cmp_ne_u16_e32 vcc, s13, v30
	v_mov_b32_e32 v23, 0xffff8000
	s_and_saveexec_b64 s[6:7], vcc
	s_cbranch_execz .LBB912_76
; %bb.73:                               ;   in Loop: Header=BB912_17 Depth=1
	v_and_b32_e32 v34, 0x7f, v30
	v_cmp_ne_u32_e32 vcc, s14, v34
	v_mov_b32_e32 v23, 0x7f80
	s_and_saveexec_b64 s[10:11], vcc
	s_cbranch_execz .LBB912_75
; %bb.74:                               ;   in Loop: Header=BB912_17 Depth=1
	v_and_b32_e32 v23, 7, v30
	v_ffbh_u32_e32 v42, v23
	v_min_u32_e32 v42, 32, v42
	v_subrev_u32_e32 v44, 28, v42
	v_lshlrev_b64 v[54:55], v44, v[30:31]
	v_lshrrev_b32_e32 v40, 3, v34
	v_sub_u32_e32 v30, 29, v42
	v_and_b32_e32 v42, 7, v54
	v_cmp_gt_u32_e32 vcc, 8, v34
	v_cndmask_b32_e32 v30, v40, v30, vcc
	v_cndmask_b32_e32 v23, v23, v42, vcc
	v_lshlrev_b32_e32 v34, 16, v28
	v_lshlrev_b32_e32 v23, 20, v23
	v_and_b32_e32 v34, 0x80000000, v34
	v_lshl_add_u32 v30, v30, 23, v38
	v_or3_b32 v23, v34, v30, v23
	v_lshrrev_b32_e32 v23, 16, v23
.LBB912_75:                             ;   in Loop: Header=BB912_17 Depth=1
	s_or_b64 exec, exec, s[10:11]
.LBB912_76:                             ;   in Loop: Header=BB912_17 Depth=1
	s_or_b64 exec, exec, s[6:7]
.LBB912_77:                             ;   in Loop: Header=BB912_17 Depth=1
	s_or_b64 exec, exec, s[4:5]
	v_lshrrev_b32_e32 v30, 16, v28
	v_cmp_ne_u16_sdwa s[6:7], v30, v35 src0_sel:BYTE_0 src1_sel:DWORD
	v_mov_b32_e32 v40, 0
	v_mov_b32_e32 v34, 0
	s_and_saveexec_b64 s[4:5], s[6:7]
	s_cbranch_execz .LBB912_83
; %bb.78:                               ;   in Loop: Header=BB912_17 Depth=1
	v_cmp_ne_u16_sdwa s[10:11], v30, s13 src0_sel:BYTE_0 src1_sel:DWORD
	v_mov_b32_e32 v34, 0xffff8000
	s_and_saveexec_b64 s[6:7], s[10:11]
	s_cbranch_execz .LBB912_82
; %bb.79:                               ;   in Loop: Header=BB912_17 Depth=1
	v_bfe_u32 v42, v28, 16, 7
	v_cmp_ne_u32_e32 vcc, s14, v42
	v_mov_b32_e32 v34, 0x7f80
	s_and_saveexec_b64 s[10:11], vcc
	s_cbranch_execz .LBB912_81
; %bb.80:                               ;   in Loop: Header=BB912_17 Depth=1
	v_and_b32_e32 v34, 7, v30
	v_ffbh_u32_e32 v53, v34
	v_min_u32_e32 v53, 32, v53
	v_subrev_u32_e32 v54, 28, v53
	v_lshlrev_b64 v[54:55], v54, v[30:31]
	v_lshrrev_b32_e32 v44, 3, v42
	v_sub_u32_e32 v53, 29, v53
	v_and_b32_e32 v54, 7, v54
	v_cmp_gt_u32_e32 vcc, 8, v42
	v_cndmask_b32_e32 v42, v44, v53, vcc
	v_cndmask_b32_e32 v34, v34, v54, vcc
	v_lshlrev_b32_e32 v30, 24, v30
	v_lshlrev_b32_e32 v34, 20, v34
	v_and_b32_e32 v30, 0x80000000, v30
	v_lshl_add_u32 v42, v42, 23, v38
	v_or3_b32 v30, v30, v42, v34
	v_lshrrev_b32_e32 v34, 16, v30
.LBB912_81:                             ;   in Loop: Header=BB912_17 Depth=1
	s_or_b64 exec, exec, s[10:11]
.LBB912_82:                             ;   in Loop: Header=BB912_17 Depth=1
	s_or_b64 exec, exec, s[6:7]
.LBB912_83:                             ;   in Loop: Header=BB912_17 Depth=1
	s_or_b64 exec, exec, s[4:5]
	v_cmp_lt_u32_e32 vcc, s15, v28
	s_and_saveexec_b64 s[4:5], vcc
	s_cbranch_execz .LBB912_89
; %bb.84:                               ;   in Loop: Header=BB912_17 Depth=1
	v_lshrrev_b32_e32 v30, 24, v28
	v_cmp_ne_u32_e32 vcc, s13, v30
	v_mov_b32_e32 v40, 0xffff8000
	s_and_saveexec_b64 s[6:7], vcc
	s_cbranch_execz .LBB912_88
; %bb.85:                               ;   in Loop: Header=BB912_17 Depth=1
	v_bfe_u32 v28, v28, 24, 7
	v_cmp_ne_u32_e32 vcc, s14, v28
	v_mov_b32_e32 v40, 0x7f80
	s_and_saveexec_b64 s[10:11], vcc
	s_cbranch_execz .LBB912_87
; %bb.86:                               ;   in Loop: Header=BB912_17 Depth=1
	v_and_b32_e32 v40, 7, v30
	v_ffbh_u32_e32 v44, v40
	v_min_u32_e32 v44, 32, v44
	v_subrev_u32_e32 v53, 28, v44
	v_lshlrev_b64 v[54:55], v53, v[30:31]
	v_lshrrev_b32_e32 v42, 3, v28
	v_sub_u32_e32 v44, 29, v44
	v_and_b32_e32 v53, 7, v54
	v_cmp_gt_u32_e32 vcc, 8, v28
	v_cndmask_b32_e32 v28, v42, v44, vcc
	v_cndmask_b32_e32 v40, v40, v53, vcc
	v_lshlrev_b32_e32 v30, 24, v30
	v_lshlrev_b32_e32 v40, 20, v40
	v_and_b32_e32 v30, 0x80000000, v30
	v_lshl_add_u32 v28, v28, 23, v38
	v_or3_b32 v28, v30, v28, v40
	v_lshrrev_b32_e32 v40, 16, v28
.LBB912_87:                             ;   in Loop: Header=BB912_17 Depth=1
	s_or_b64 exec, exec, s[10:11]
.LBB912_88:                             ;   in Loop: Header=BB912_17 Depth=1
	s_or_b64 exec, exec, s[6:7]
.LBB912_89:                             ;   in Loop: Header=BB912_17 Depth=1
	s_or_b64 exec, exec, s[4:5]
	s_waitcnt vmcnt(0)
	v_cmp_ne_u16_sdwa s[6:7], v26, v35 src0_sel:BYTE_0 src1_sel:DWORD
	v_mov_b32_e32 v42, 0
	v_mov_b32_e32 v44, 0
	s_and_saveexec_b64 s[4:5], s[6:7]
	s_cbranch_execz .LBB912_95
; %bb.90:                               ;   in Loop: Header=BB912_17 Depth=1
	v_cmp_ne_u16_sdwa s[10:11], v26, s13 src0_sel:BYTE_0 src1_sel:DWORD
	v_mov_b32_e32 v44, 0xffff8000
	s_and_saveexec_b64 s[6:7], s[10:11]
	s_cbranch_execz .LBB912_94
; %bb.91:                               ;   in Loop: Header=BB912_17 Depth=1
	v_and_b32_e32 v28, 0x7f, v26
	v_cmp_ne_u32_e32 vcc, s14, v28
	v_mov_b32_e32 v44, 0x7f80
	s_and_saveexec_b64 s[10:11], vcc
	s_cbranch_execz .LBB912_93
; %bb.92:                               ;   in Loop: Header=BB912_17 Depth=1
	v_and_b32_e32 v30, 7, v26
	v_ffbh_u32_e32 v53, v30
	v_min_u32_e32 v53, 32, v53
	v_subrev_u32_e32 v54, 28, v53
	v_lshlrev_b64 v[54:55], v54, v[26:27]
	v_lshrrev_b32_e32 v44, 3, v28
	v_sub_u32_e32 v53, 29, v53
	v_and_b32_e32 v54, 7, v54
	v_cmp_gt_u32_e32 vcc, 8, v28
	v_cndmask_b32_e32 v28, v44, v53, vcc
	v_cndmask_b32_e32 v30, v30, v54, vcc
	v_lshlrev_b32_e32 v44, 24, v26
	v_lshlrev_b32_e32 v30, 20, v30
	v_and_b32_e32 v44, 0x80000000, v44
	v_lshl_add_u32 v28, v28, 23, v38
	v_or3_b32 v28, v44, v28, v30
	v_lshrrev_b32_e32 v44, 16, v28
.LBB912_93:                             ;   in Loop: Header=BB912_17 Depth=1
	s_or_b64 exec, exec, s[10:11]
.LBB912_94:                             ;   in Loop: Header=BB912_17 Depth=1
	s_or_b64 exec, exec, s[6:7]
.LBB912_95:                             ;   in Loop: Header=BB912_17 Depth=1
	s_or_b64 exec, exec, s[4:5]
	v_lshrrev_b16_e32 v28, 8, v26
	v_cmp_ne_u16_e32 vcc, 0, v28
	s_and_saveexec_b64 s[4:5], vcc
	s_cbranch_execz .LBB912_101
; %bb.96:                               ;   in Loop: Header=BB912_17 Depth=1
	v_cmp_ne_u16_e32 vcc, s13, v28
	v_mov_b32_e32 v42, 0xffff8000
	s_and_saveexec_b64 s[6:7], vcc
	s_cbranch_execz .LBB912_100
; %bb.97:                               ;   in Loop: Header=BB912_17 Depth=1
	v_and_b32_e32 v30, 0x7f, v28
	v_cmp_ne_u32_e32 vcc, s14, v30
	v_mov_b32_e32 v42, 0x7f80
	s_and_saveexec_b64 s[10:11], vcc
	s_cbranch_execz .LBB912_99
; %bb.98:                               ;   in Loop: Header=BB912_17 Depth=1
	v_and_b32_e32 v42, 7, v28
	v_ffbh_u32_e32 v54, v42
	v_min_u32_e32 v56, 32, v54
	v_subrev_u32_e32 v54, 28, v56
	v_lshlrev_b64 v[54:55], v54, v[28:29]
	v_lshrrev_b32_e32 v53, 3, v30
	v_sub_u32_e32 v28, 29, v56
	v_and_b32_e32 v54, 7, v54
	v_cmp_gt_u32_e32 vcc, 8, v30
	v_cndmask_b32_e32 v28, v53, v28, vcc
	v_cndmask_b32_e32 v30, v42, v54, vcc
	v_lshlrev_b32_e32 v42, 16, v26
	v_lshlrev_b32_e32 v30, 20, v30
	v_and_b32_e32 v42, 0x80000000, v42
	v_lshl_add_u32 v28, v28, 23, v38
	v_or3_b32 v28, v42, v28, v30
	v_lshrrev_b32_e32 v42, 16, v28
.LBB912_99:                             ;   in Loop: Header=BB912_17 Depth=1
	s_or_b64 exec, exec, s[10:11]
.LBB912_100:                            ;   in Loop: Header=BB912_17 Depth=1
	s_or_b64 exec, exec, s[6:7]
.LBB912_101:                            ;   in Loop: Header=BB912_17 Depth=1
	s_or_b64 exec, exec, s[4:5]
	v_lshrrev_b32_e32 v28, 16, v26
	v_cmp_ne_u16_sdwa s[6:7], v28, v35 src0_sel:BYTE_0 src1_sel:DWORD
	v_mov_b32_e32 v54, 0
	v_mov_b32_e32 v53, 0
	s_and_saveexec_b64 s[4:5], s[6:7]
	s_cbranch_execz .LBB912_107
; %bb.102:                              ;   in Loop: Header=BB912_17 Depth=1
	v_cmp_ne_u16_sdwa s[10:11], v28, s13 src0_sel:BYTE_0 src1_sel:DWORD
	v_mov_b32_e32 v53, 0xffff8000
	s_and_saveexec_b64 s[6:7], s[10:11]
	s_cbranch_execz .LBB912_106
; %bb.103:                              ;   in Loop: Header=BB912_17 Depth=1
	v_bfe_u32 v30, v26, 16, 7
	v_cmp_ne_u32_e32 vcc, s14, v30
	v_mov_b32_e32 v53, 0x7f80
	s_and_saveexec_b64 s[10:11], vcc
	s_cbranch_execz .LBB912_105
; %bb.104:                              ;   in Loop: Header=BB912_17 Depth=1
	v_and_b32_e32 v53, 7, v28
	v_ffbh_u32_e32 v56, v53
	v_min_u32_e32 v58, 32, v56
	v_subrev_u32_e32 v56, 28, v58
	v_lshlrev_b64 v[56:57], v56, v[28:29]
	v_lshrrev_b32_e32 v55, 3, v30
	v_sub_u32_e32 v57, 29, v58
	v_and_b32_e32 v56, 7, v56
	v_cmp_gt_u32_e32 vcc, 8, v30
	v_cndmask_b32_e32 v30, v55, v57, vcc
	v_cndmask_b32_e32 v53, v53, v56, vcc
	v_lshlrev_b32_e32 v28, 24, v28
	v_lshlrev_b32_e32 v53, 20, v53
	v_and_b32_e32 v28, 0x80000000, v28
	v_lshl_add_u32 v30, v30, 23, v38
	v_or3_b32 v28, v28, v30, v53
	v_lshrrev_b32_e32 v53, 16, v28
.LBB912_105:                            ;   in Loop: Header=BB912_17 Depth=1
	s_or_b64 exec, exec, s[10:11]
.LBB912_106:                            ;   in Loop: Header=BB912_17 Depth=1
	s_or_b64 exec, exec, s[6:7]
.LBB912_107:                            ;   in Loop: Header=BB912_17 Depth=1
	s_or_b64 exec, exec, s[4:5]
	v_cmp_lt_u32_e32 vcc, s15, v26
	s_and_saveexec_b64 s[4:5], vcc
	s_cbranch_execz .LBB912_113
; %bb.108:                              ;   in Loop: Header=BB912_17 Depth=1
	v_lshrrev_b32_e32 v28, 24, v26
	v_cmp_ne_u32_e32 vcc, s13, v28
	v_mov_b32_e32 v54, 0xffff8000
	s_and_saveexec_b64 s[6:7], vcc
	s_cbranch_execz .LBB912_112
; %bb.109:                              ;   in Loop: Header=BB912_17 Depth=1
	v_bfe_u32 v26, v26, 24, 7
	v_cmp_ne_u32_e32 vcc, s14, v26
	v_mov_b32_e32 v54, 0x7f80
	s_and_saveexec_b64 s[10:11], vcc
	s_cbranch_execz .LBB912_111
; %bb.110:                              ;   in Loop: Header=BB912_17 Depth=1
	v_and_b32_e32 v30, 7, v28
	v_ffbh_u32_e32 v54, v30
	v_min_u32_e32 v57, 32, v54
	v_subrev_u32_e32 v54, 28, v57
	v_lshlrev_b64 v[54:55], v54, v[28:29]
	v_lshrrev_b32_e32 v56, 3, v26
	v_sub_u32_e32 v55, 29, v57
	v_and_b32_e32 v54, 7, v54
	v_cmp_gt_u32_e32 vcc, 8, v26
	v_cndmask_b32_e32 v26, v56, v55, vcc
	v_cndmask_b32_e32 v30, v30, v54, vcc
	v_lshlrev_b32_e32 v28, 24, v28
	v_lshlrev_b32_e32 v30, 20, v30
	v_and_b32_e32 v28, 0x80000000, v28
	v_lshl_add_u32 v26, v26, 23, v38
	v_or3_b32 v26, v28, v26, v30
	v_lshrrev_b32_e32 v54, 16, v26
.LBB912_111:                            ;   in Loop: Header=BB912_17 Depth=1
	s_or_b64 exec, exec, s[10:11]
.LBB912_112:                            ;   in Loop: Header=BB912_17 Depth=1
	s_or_b64 exec, exec, s[6:7]
.LBB912_113:                            ;   in Loop: Header=BB912_17 Depth=1
	s_or_b64 exec, exec, s[4:5]
	v_perm_b32 v56, v23, v32, s16
	buffer_load_dword v32, v36, s[0:3], 0 offen offset:16
	buffer_load_dword v30, v36, s[0:3], 0 offen offset:20
	;; [unrolled: 1-line block ×4, first 2 shown]
	v_perm_b32 v57, v40, v34, s16
	v_perm_b32 v55, v54, v53, s16
	v_perm_b32 v54, v42, v44, s16
	v_mfma_f32_16x16x16bf16_1k v[18:21], v[56:57], v[6:7], v[18:21]
	v_mov_b32_e32 v23, 0
	v_mov_b32_e32 v40, 0
	s_waitcnt vmcnt(3)
	v_cmp_ne_u16_sdwa s[6:7], v32, v35 src0_sel:BYTE_0 src1_sel:DWORD
	v_mfma_f32_16x16x16bf16_1k v[18:21], v[54:55], v[8:9], v[18:21]
	s_and_saveexec_b64 s[4:5], s[6:7]
	s_cbranch_execz .LBB912_119
; %bb.114:                              ;   in Loop: Header=BB912_17 Depth=1
	v_cmp_ne_u16_sdwa s[10:11], v32, s13 src0_sel:BYTE_0 src1_sel:DWORD
	v_mov_b32_e32 v40, 0xffff8000
	s_and_saveexec_b64 s[6:7], s[10:11]
	s_cbranch_execz .LBB912_118
; %bb.115:                              ;   in Loop: Header=BB912_17 Depth=1
	v_and_b32_e32 v34, 0x7f, v32
	v_cmp_ne_u32_e32 vcc, s14, v34
	v_mov_b32_e32 v40, 0x7f80
	s_and_saveexec_b64 s[10:11], vcc
	s_cbranch_execz .LBB912_117
; %bb.116:                              ;   in Loop: Header=BB912_17 Depth=1
	v_and_b32_e32 v40, 7, v32
	v_ffbh_u32_e32 v44, v40
	v_min_u32_e32 v44, 32, v44
	v_subrev_u32_e32 v53, 28, v44
	v_lshlrev_b64 v[54:55], v53, v[32:33]
	v_lshrrev_b32_e32 v42, 3, v34
	v_sub_u32_e32 v44, 29, v44
	v_and_b32_e32 v53, 7, v54
	v_cmp_gt_u32_e32 vcc, 8, v34
	v_cndmask_b32_e32 v34, v42, v44, vcc
	v_cndmask_b32_e32 v40, v40, v53, vcc
	v_lshlrev_b32_e32 v42, 24, v32
	v_lshlrev_b32_e32 v40, 20, v40
	v_and_b32_e32 v42, 0x80000000, v42
	v_lshl_add_u32 v34, v34, 23, v38
	v_or3_b32 v34, v42, v34, v40
	v_lshrrev_b32_e32 v40, 16, v34
.LBB912_117:                            ;   in Loop: Header=BB912_17 Depth=1
	s_or_b64 exec, exec, s[10:11]
.LBB912_118:                            ;   in Loop: Header=BB912_17 Depth=1
	s_or_b64 exec, exec, s[6:7]
.LBB912_119:                            ;   in Loop: Header=BB912_17 Depth=1
	s_or_b64 exec, exec, s[4:5]
	v_lshrrev_b16_e32 v34, 8, v32
	v_cmp_ne_u16_e32 vcc, 0, v34
	s_and_saveexec_b64 s[4:5], vcc
	s_cbranch_execz .LBB912_125
; %bb.120:                              ;   in Loop: Header=BB912_17 Depth=1
	v_cmp_ne_u16_e32 vcc, s13, v34
	v_mov_b32_e32 v23, 0xffff8000
	s_and_saveexec_b64 s[6:7], vcc
	s_cbranch_execz .LBB912_124
; %bb.121:                              ;   in Loop: Header=BB912_17 Depth=1
	v_and_b32_e32 v42, 0x7f, v34
	v_cmp_ne_u32_e32 vcc, s14, v42
	v_mov_b32_e32 v23, 0x7f80
	s_and_saveexec_b64 s[10:11], vcc
	s_cbranch_execz .LBB912_123
; %bb.122:                              ;   in Loop: Header=BB912_17 Depth=1
	v_and_b32_e32 v23, 7, v34
	v_ffbh_u32_e32 v53, v23
	v_min_u32_e32 v53, 32, v53
	v_subrev_u32_e32 v54, 28, v53
	v_lshlrev_b64 v[54:55], v54, v[34:35]
	v_lshrrev_b32_e32 v44, 3, v42
	v_sub_u32_e32 v34, 29, v53
	v_and_b32_e32 v53, 7, v54
	v_cmp_gt_u32_e32 vcc, 8, v42
	v_cndmask_b32_e32 v34, v44, v34, vcc
	v_cndmask_b32_e32 v23, v23, v53, vcc
	v_lshlrev_b32_e32 v42, 16, v32
	v_lshlrev_b32_e32 v23, 20, v23
	v_and_b32_e32 v42, 0x80000000, v42
	v_lshl_add_u32 v34, v34, 23, v38
	v_or3_b32 v23, v42, v34, v23
	v_lshrrev_b32_e32 v23, 16, v23
.LBB912_123:                            ;   in Loop: Header=BB912_17 Depth=1
	s_or_b64 exec, exec, s[10:11]
.LBB912_124:                            ;   in Loop: Header=BB912_17 Depth=1
	s_or_b64 exec, exec, s[6:7]
.LBB912_125:                            ;   in Loop: Header=BB912_17 Depth=1
	s_or_b64 exec, exec, s[4:5]
	v_lshrrev_b32_e32 v34, 16, v32
	v_cmp_ne_u16_sdwa s[6:7], v34, v35 src0_sel:BYTE_0 src1_sel:DWORD
	v_mov_b32_e32 v44, 0
	v_mov_b32_e32 v42, 0
	s_and_saveexec_b64 s[4:5], s[6:7]
	s_cbranch_execz .LBB912_131
; %bb.126:                              ;   in Loop: Header=BB912_17 Depth=1
	v_cmp_ne_u16_sdwa s[10:11], v34, s13 src0_sel:BYTE_0 src1_sel:DWORD
	v_mov_b32_e32 v42, 0xffff8000
	s_and_saveexec_b64 s[6:7], s[10:11]
	s_cbranch_execz .LBB912_130
; %bb.127:                              ;   in Loop: Header=BB912_17 Depth=1
	v_bfe_u32 v53, v32, 16, 7
	v_cmp_ne_u32_e32 vcc, s14, v53
	v_mov_b32_e32 v42, 0x7f80
	s_and_saveexec_b64 s[10:11], vcc
	s_cbranch_execz .LBB912_129
; %bb.128:                              ;   in Loop: Header=BB912_17 Depth=1
	v_and_b32_e32 v42, 7, v34
	v_ffbh_u32_e32 v54, v42
	v_min_u32_e32 v57, 32, v54
	v_subrev_u32_e32 v54, 28, v57
	v_lshlrev_b64 v[54:55], v54, v[34:35]
	v_lshrrev_b32_e32 v56, 3, v53
	v_sub_u32_e32 v55, 29, v57
	v_and_b32_e32 v54, 7, v54
	v_cmp_gt_u32_e32 vcc, 8, v53
	v_cndmask_b32_e32 v53, v56, v55, vcc
	v_cndmask_b32_e32 v42, v42, v54, vcc
	v_lshlrev_b32_e32 v34, 24, v34
	v_lshlrev_b32_e32 v42, 20, v42
	v_and_b32_e32 v34, 0x80000000, v34
	v_lshl_add_u32 v53, v53, 23, v38
	v_or3_b32 v34, v34, v53, v42
	v_lshrrev_b32_e32 v42, 16, v34
.LBB912_129:                            ;   in Loop: Header=BB912_17 Depth=1
	s_or_b64 exec, exec, s[10:11]
.LBB912_130:                            ;   in Loop: Header=BB912_17 Depth=1
	s_or_b64 exec, exec, s[6:7]
.LBB912_131:                            ;   in Loop: Header=BB912_17 Depth=1
	s_or_b64 exec, exec, s[4:5]
	v_cmp_lt_u32_e32 vcc, s15, v32
	s_and_saveexec_b64 s[4:5], vcc
	s_cbranch_execz .LBB912_137
; %bb.132:                              ;   in Loop: Header=BB912_17 Depth=1
	v_lshrrev_b32_e32 v34, 24, v32
	v_cmp_ne_u32_e32 vcc, s13, v34
	v_mov_b32_e32 v44, 0xffff8000
	s_and_saveexec_b64 s[6:7], vcc
	s_cbranch_execz .LBB912_136
; %bb.133:                              ;   in Loop: Header=BB912_17 Depth=1
	v_bfe_u32 v32, v32, 24, 7
	v_cmp_ne_u32_e32 vcc, s14, v32
	v_mov_b32_e32 v44, 0x7f80
	s_and_saveexec_b64 s[10:11], vcc
	s_cbranch_execz .LBB912_135
; %bb.134:                              ;   in Loop: Header=BB912_17 Depth=1
	v_and_b32_e32 v44, 7, v34
	v_ffbh_u32_e32 v54, v44
	v_min_u32_e32 v56, 32, v54
	v_subrev_u32_e32 v54, 28, v56
	v_lshlrev_b64 v[54:55], v54, v[34:35]
	v_lshrrev_b32_e32 v53, 3, v32
	v_sub_u32_e32 v55, 29, v56
	v_and_b32_e32 v54, 7, v54
	v_cmp_gt_u32_e32 vcc, 8, v32
	v_cndmask_b32_e32 v32, v53, v55, vcc
	v_cndmask_b32_e32 v44, v44, v54, vcc
	v_lshlrev_b32_e32 v34, 24, v34
	v_lshlrev_b32_e32 v44, 20, v44
	v_and_b32_e32 v34, 0x80000000, v34
	v_lshl_add_u32 v32, v32, 23, v38
	v_or3_b32 v32, v34, v32, v44
	v_lshrrev_b32_e32 v44, 16, v32
.LBB912_135:                            ;   in Loop: Header=BB912_17 Depth=1
	s_or_b64 exec, exec, s[10:11]
.LBB912_136:                            ;   in Loop: Header=BB912_17 Depth=1
	s_or_b64 exec, exec, s[6:7]
.LBB912_137:                            ;   in Loop: Header=BB912_17 Depth=1
	s_or_b64 exec, exec, s[4:5]
	s_waitcnt vmcnt(2)
	v_cmp_ne_u16_sdwa s[6:7], v30, v35 src0_sel:BYTE_0 src1_sel:DWORD
	v_mov_b32_e32 v34, 0
	v_mov_b32_e32 v53, 0
	s_and_saveexec_b64 s[4:5], s[6:7]
	s_cbranch_execz .LBB912_143
; %bb.138:                              ;   in Loop: Header=BB912_17 Depth=1
	v_cmp_ne_u16_sdwa s[10:11], v30, s13 src0_sel:BYTE_0 src1_sel:DWORD
	v_mov_b32_e32 v53, 0xffff8000
	s_and_saveexec_b64 s[6:7], s[10:11]
	s_cbranch_execz .LBB912_142
; %bb.139:                              ;   in Loop: Header=BB912_17 Depth=1
	v_and_b32_e32 v32, 0x7f, v30
	v_cmp_ne_u32_e32 vcc, s14, v32
	v_mov_b32_e32 v53, 0x7f80
	s_and_saveexec_b64 s[10:11], vcc
	s_cbranch_execz .LBB912_141
; %bb.140:                              ;   in Loop: Header=BB912_17 Depth=1
	v_and_b32_e32 v53, 7, v30
	v_ffbh_u32_e32 v54, v53
	v_min_u32_e32 v57, 32, v54
	v_subrev_u32_e32 v54, 28, v57
	v_lshlrev_b64 v[54:55], v54, v[30:31]
	v_lshrrev_b32_e32 v56, 3, v32
	v_sub_u32_e32 v55, 29, v57
	v_and_b32_e32 v54, 7, v54
	v_cmp_gt_u32_e32 vcc, 8, v32
	v_cndmask_b32_e32 v32, v56, v55, vcc
	v_cndmask_b32_e32 v53, v53, v54, vcc
	v_lshlrev_b32_e32 v54, 24, v30
	v_lshlrev_b32_e32 v53, 20, v53
	v_and_b32_e32 v54, 0x80000000, v54
	v_lshl_add_u32 v32, v32, 23, v38
	v_or3_b32 v32, v54, v32, v53
	v_lshrrev_b32_e32 v53, 16, v32
.LBB912_141:                            ;   in Loop: Header=BB912_17 Depth=1
	s_or_b64 exec, exec, s[10:11]
.LBB912_142:                            ;   in Loop: Header=BB912_17 Depth=1
	s_or_b64 exec, exec, s[6:7]
.LBB912_143:                            ;   in Loop: Header=BB912_17 Depth=1
	s_or_b64 exec, exec, s[4:5]
	v_lshrrev_b16_e32 v32, 8, v30
	v_cmp_ne_u16_e32 vcc, 0, v32
	s_and_saveexec_b64 s[4:5], vcc
	s_cbranch_execz .LBB912_149
; %bb.144:                              ;   in Loop: Header=BB912_17 Depth=1
	v_cmp_ne_u16_e32 vcc, s13, v32
	v_mov_b32_e32 v34, 0xffff8000
	s_and_saveexec_b64 s[6:7], vcc
	s_cbranch_execz .LBB912_148
; %bb.145:                              ;   in Loop: Header=BB912_17 Depth=1
	v_and_b32_e32 v54, 0x7f, v32
	v_cmp_ne_u32_e32 vcc, s14, v54
	v_mov_b32_e32 v34, 0x7f80
	s_and_saveexec_b64 s[10:11], vcc
	s_cbranch_execz .LBB912_147
; %bb.146:                              ;   in Loop: Header=BB912_17 Depth=1
	v_and_b32_e32 v34, 7, v32
	v_ffbh_u32_e32 v56, v34
	v_min_u32_e32 v58, 32, v56
	v_subrev_u32_e32 v56, 28, v58
	v_lshlrev_b64 v[56:57], v56, v[32:33]
	v_lshrrev_b32_e32 v55, 3, v54
	v_sub_u32_e32 v32, 29, v58
	v_and_b32_e32 v56, 7, v56
	v_cmp_gt_u32_e32 vcc, 8, v54
	v_cndmask_b32_e32 v32, v55, v32, vcc
	v_cndmask_b32_e32 v34, v34, v56, vcc
	v_lshlrev_b32_e32 v54, 16, v30
	v_lshlrev_b32_e32 v34, 20, v34
	v_and_b32_e32 v54, 0x80000000, v54
	v_lshl_add_u32 v32, v32, 23, v38
	v_or3_b32 v32, v54, v32, v34
	v_lshrrev_b32_e32 v34, 16, v32
.LBB912_147:                            ;   in Loop: Header=BB912_17 Depth=1
	s_or_b64 exec, exec, s[10:11]
.LBB912_148:                            ;   in Loop: Header=BB912_17 Depth=1
	s_or_b64 exec, exec, s[6:7]
.LBB912_149:                            ;   in Loop: Header=BB912_17 Depth=1
	s_or_b64 exec, exec, s[4:5]
	v_lshrrev_b32_e32 v32, 16, v30
	v_cmp_ne_u16_sdwa s[6:7], v32, v35 src0_sel:BYTE_0 src1_sel:DWORD
	v_mov_b32_e32 v55, 0
	v_mov_b32_e32 v54, 0
	s_and_saveexec_b64 s[4:5], s[6:7]
	s_cbranch_execz .LBB912_155
; %bb.150:                              ;   in Loop: Header=BB912_17 Depth=1
	v_cmp_ne_u16_sdwa s[10:11], v32, s13 src0_sel:BYTE_0 src1_sel:DWORD
	v_mov_b32_e32 v54, 0xffff8000
	s_and_saveexec_b64 s[6:7], s[10:11]
	s_cbranch_execz .LBB912_154
; %bb.151:                              ;   in Loop: Header=BB912_17 Depth=1
	v_bfe_u32 v56, v30, 16, 7
	v_cmp_ne_u32_e32 vcc, s14, v56
	v_mov_b32_e32 v54, 0x7f80
	s_and_saveexec_b64 s[10:11], vcc
	s_cbranch_execz .LBB912_153
; %bb.152:                              ;   in Loop: Header=BB912_17 Depth=1
	v_and_b32_e32 v54, 7, v32
	v_ffbh_u32_e32 v58, v54
	v_min_u32_e32 v60, 32, v58
	v_subrev_u32_e32 v58, 28, v60
	v_lshlrev_b64 v[58:59], v58, v[32:33]
	v_lshrrev_b32_e32 v57, 3, v56
	v_sub_u32_e32 v59, 29, v60
	v_and_b32_e32 v58, 7, v58
	v_cmp_gt_u32_e32 vcc, 8, v56
	v_cndmask_b32_e32 v56, v57, v59, vcc
	v_cndmask_b32_e32 v54, v54, v58, vcc
	v_lshlrev_b32_e32 v32, 24, v32
	v_lshlrev_b32_e32 v54, 20, v54
	v_and_b32_e32 v32, 0x80000000, v32
	v_lshl_add_u32 v56, v56, 23, v38
	v_or3_b32 v32, v32, v56, v54
	v_lshrrev_b32_e32 v54, 16, v32
.LBB912_153:                            ;   in Loop: Header=BB912_17 Depth=1
	s_or_b64 exec, exec, s[10:11]
.LBB912_154:                            ;   in Loop: Header=BB912_17 Depth=1
	s_or_b64 exec, exec, s[6:7]
.LBB912_155:                            ;   in Loop: Header=BB912_17 Depth=1
	s_or_b64 exec, exec, s[4:5]
	v_cmp_lt_u32_e32 vcc, s15, v30
	s_and_saveexec_b64 s[4:5], vcc
	s_cbranch_execz .LBB912_161
; %bb.156:                              ;   in Loop: Header=BB912_17 Depth=1
	v_lshrrev_b32_e32 v32, 24, v30
	v_cmp_ne_u32_e32 vcc, s13, v32
	v_mov_b32_e32 v55, 0xffff8000
	s_and_saveexec_b64 s[6:7], vcc
	s_cbranch_execz .LBB912_160
; %bb.157:                              ;   in Loop: Header=BB912_17 Depth=1
	v_bfe_u32 v30, v30, 24, 7
	v_cmp_ne_u32_e32 vcc, s14, v30
	v_mov_b32_e32 v55, 0x7f80
	s_and_saveexec_b64 s[10:11], vcc
	s_cbranch_execz .LBB912_159
; %bb.158:                              ;   in Loop: Header=BB912_17 Depth=1
	v_and_b32_e32 v55, 7, v32
	v_ffbh_u32_e32 v56, v55
	v_min_u32_e32 v59, 32, v56
	v_subrev_u32_e32 v56, 28, v59
	v_lshlrev_b64 v[56:57], v56, v[32:33]
	v_lshrrev_b32_e32 v58, 3, v30
	v_sub_u32_e32 v57, 29, v59
	v_and_b32_e32 v56, 7, v56
	v_cmp_gt_u32_e32 vcc, 8, v30
	v_cndmask_b32_e32 v30, v58, v57, vcc
	v_cndmask_b32_e32 v55, v55, v56, vcc
	v_lshlrev_b32_e32 v32, 24, v32
	v_lshlrev_b32_e32 v55, 20, v55
	v_and_b32_e32 v32, 0x80000000, v32
	v_lshl_add_u32 v30, v30, 23, v38
	v_or3_b32 v30, v32, v30, v55
	v_lshrrev_b32_e32 v55, 16, v30
.LBB912_159:                            ;   in Loop: Header=BB912_17 Depth=1
	s_or_b64 exec, exec, s[10:11]
.LBB912_160:                            ;   in Loop: Header=BB912_17 Depth=1
	s_or_b64 exec, exec, s[6:7]
.LBB912_161:                            ;   in Loop: Header=BB912_17 Depth=1
	s_or_b64 exec, exec, s[4:5]
	v_perm_b32 v57, v44, v42, s16
	v_perm_b32 v56, v23, v40, s16
	;; [unrolled: 1-line block ×4, first 2 shown]
	s_waitcnt vmcnt(1)
	v_cmp_ne_u16_sdwa s[6:7], v28, v35 src0_sel:BYTE_0 src1_sel:DWORD
	v_mfma_f32_16x16x16bf16_1k v[18:21], v[56:57], v[10:11], v[18:21]
	v_mov_b32_e32 v23, 0
	v_mov_b32_e32 v32, 0
	v_mfma_f32_16x16x16bf16_1k v[18:21], v[54:55], v[12:13], v[18:21]
	s_and_saveexec_b64 s[4:5], s[6:7]
	s_cbranch_execz .LBB912_167
; %bb.162:                              ;   in Loop: Header=BB912_17 Depth=1
	v_cmp_ne_u16_sdwa s[10:11], v28, s13 src0_sel:BYTE_0 src1_sel:DWORD
	v_mov_b32_e32 v32, 0xffff8000
	s_and_saveexec_b64 s[6:7], s[10:11]
	s_cbranch_execz .LBB912_166
; %bb.163:                              ;   in Loop: Header=BB912_17 Depth=1
	v_and_b32_e32 v30, 0x7f, v28
	v_cmp_ne_u32_e32 vcc, s14, v30
	v_mov_b32_e32 v32, 0x7f80
	s_and_saveexec_b64 s[10:11], vcc
	s_cbranch_execz .LBB912_165
; %bb.164:                              ;   in Loop: Header=BB912_17 Depth=1
	v_and_b32_e32 v32, 7, v28
	v_ffbh_u32_e32 v40, v32
	v_min_u32_e32 v40, 32, v40
	v_subrev_u32_e32 v42, 28, v40
	v_lshlrev_b64 v[54:55], v42, v[28:29]
	v_lshrrev_b32_e32 v34, 3, v30
	v_sub_u32_e32 v40, 29, v40
	v_and_b32_e32 v42, 7, v54
	v_cmp_gt_u32_e32 vcc, 8, v30
	v_cndmask_b32_e32 v30, v34, v40, vcc
	v_cndmask_b32_e32 v32, v32, v42, vcc
	v_lshlrev_b32_e32 v34, 24, v28
	v_lshlrev_b32_e32 v32, 20, v32
	v_and_b32_e32 v34, 0x80000000, v34
	v_lshl_add_u32 v30, v30, 23, v38
	v_or3_b32 v30, v34, v30, v32
	v_lshrrev_b32_e32 v32, 16, v30
.LBB912_165:                            ;   in Loop: Header=BB912_17 Depth=1
	s_or_b64 exec, exec, s[10:11]
.LBB912_166:                            ;   in Loop: Header=BB912_17 Depth=1
	s_or_b64 exec, exec, s[6:7]
.LBB912_167:                            ;   in Loop: Header=BB912_17 Depth=1
	s_or_b64 exec, exec, s[4:5]
	v_lshrrev_b16_e32 v30, 8, v28
	v_cmp_ne_u16_e32 vcc, 0, v30
	s_and_saveexec_b64 s[4:5], vcc
	s_cbranch_execz .LBB912_173
; %bb.168:                              ;   in Loop: Header=BB912_17 Depth=1
	v_cmp_ne_u16_e32 vcc, s13, v30
	v_mov_b32_e32 v23, 0xffff8000
	s_and_saveexec_b64 s[6:7], vcc
	s_cbranch_execz .LBB912_172
; %bb.169:                              ;   in Loop: Header=BB912_17 Depth=1
	v_and_b32_e32 v34, 0x7f, v30
	v_cmp_ne_u32_e32 vcc, s14, v34
	v_mov_b32_e32 v23, 0x7f80
	s_and_saveexec_b64 s[10:11], vcc
	s_cbranch_execz .LBB912_171
; %bb.170:                              ;   in Loop: Header=BB912_17 Depth=1
	v_and_b32_e32 v23, 7, v30
	v_ffbh_u32_e32 v42, v23
	v_min_u32_e32 v42, 32, v42
	v_subrev_u32_e32 v44, 28, v42
	v_lshlrev_b64 v[54:55], v44, v[30:31]
	v_lshrrev_b32_e32 v40, 3, v34
	v_sub_u32_e32 v30, 29, v42
	v_and_b32_e32 v42, 7, v54
	v_cmp_gt_u32_e32 vcc, 8, v34
	v_cndmask_b32_e32 v30, v40, v30, vcc
	v_cndmask_b32_e32 v23, v23, v42, vcc
	v_lshlrev_b32_e32 v34, 16, v28
	v_lshlrev_b32_e32 v23, 20, v23
	v_and_b32_e32 v34, 0x80000000, v34
	v_lshl_add_u32 v30, v30, 23, v38
	v_or3_b32 v23, v34, v30, v23
	v_lshrrev_b32_e32 v23, 16, v23
.LBB912_171:                            ;   in Loop: Header=BB912_17 Depth=1
	s_or_b64 exec, exec, s[10:11]
.LBB912_172:                            ;   in Loop: Header=BB912_17 Depth=1
	s_or_b64 exec, exec, s[6:7]
.LBB912_173:                            ;   in Loop: Header=BB912_17 Depth=1
	s_or_b64 exec, exec, s[4:5]
	v_lshrrev_b32_e32 v30, 16, v28
	v_cmp_ne_u16_sdwa s[6:7], v30, v35 src0_sel:BYTE_0 src1_sel:DWORD
	v_mov_b32_e32 v40, 0
	v_mov_b32_e32 v34, 0
	s_and_saveexec_b64 s[4:5], s[6:7]
	s_cbranch_execz .LBB912_179
; %bb.174:                              ;   in Loop: Header=BB912_17 Depth=1
	v_cmp_ne_u16_sdwa s[10:11], v30, s13 src0_sel:BYTE_0 src1_sel:DWORD
	v_mov_b32_e32 v34, 0xffff8000
	s_and_saveexec_b64 s[6:7], s[10:11]
	s_cbranch_execz .LBB912_178
; %bb.175:                              ;   in Loop: Header=BB912_17 Depth=1
	v_bfe_u32 v42, v28, 16, 7
	v_cmp_ne_u32_e32 vcc, s14, v42
	v_mov_b32_e32 v34, 0x7f80
	s_and_saveexec_b64 s[10:11], vcc
	s_cbranch_execz .LBB912_177
; %bb.176:                              ;   in Loop: Header=BB912_17 Depth=1
	v_and_b32_e32 v34, 7, v30
	v_ffbh_u32_e32 v53, v34
	v_min_u32_e32 v53, 32, v53
	v_subrev_u32_e32 v54, 28, v53
	v_lshlrev_b64 v[54:55], v54, v[30:31]
	v_lshrrev_b32_e32 v44, 3, v42
	v_sub_u32_e32 v53, 29, v53
	v_and_b32_e32 v54, 7, v54
	v_cmp_gt_u32_e32 vcc, 8, v42
	v_cndmask_b32_e32 v42, v44, v53, vcc
	v_cndmask_b32_e32 v34, v34, v54, vcc
	v_lshlrev_b32_e32 v30, 24, v30
	v_lshlrev_b32_e32 v34, 20, v34
	v_and_b32_e32 v30, 0x80000000, v30
	v_lshl_add_u32 v42, v42, 23, v38
	v_or3_b32 v30, v30, v42, v34
	v_lshrrev_b32_e32 v34, 16, v30
.LBB912_177:                            ;   in Loop: Header=BB912_17 Depth=1
	s_or_b64 exec, exec, s[10:11]
.LBB912_178:                            ;   in Loop: Header=BB912_17 Depth=1
	s_or_b64 exec, exec, s[6:7]
.LBB912_179:                            ;   in Loop: Header=BB912_17 Depth=1
	s_or_b64 exec, exec, s[4:5]
	v_cmp_lt_u32_e32 vcc, s15, v28
	s_and_saveexec_b64 s[4:5], vcc
	s_cbranch_execz .LBB912_185
; %bb.180:                              ;   in Loop: Header=BB912_17 Depth=1
	v_lshrrev_b32_e32 v30, 24, v28
	v_cmp_ne_u32_e32 vcc, s13, v30
	v_mov_b32_e32 v40, 0xffff8000
	s_and_saveexec_b64 s[6:7], vcc
	s_cbranch_execz .LBB912_184
; %bb.181:                              ;   in Loop: Header=BB912_17 Depth=1
	v_bfe_u32 v28, v28, 24, 7
	v_cmp_ne_u32_e32 vcc, s14, v28
	v_mov_b32_e32 v40, 0x7f80
	s_and_saveexec_b64 s[10:11], vcc
	s_cbranch_execz .LBB912_183
; %bb.182:                              ;   in Loop: Header=BB912_17 Depth=1
	v_and_b32_e32 v40, 7, v30
	v_ffbh_u32_e32 v44, v40
	v_min_u32_e32 v44, 32, v44
	v_subrev_u32_e32 v53, 28, v44
	v_lshlrev_b64 v[54:55], v53, v[30:31]
	v_lshrrev_b32_e32 v42, 3, v28
	v_sub_u32_e32 v44, 29, v44
	v_and_b32_e32 v53, 7, v54
	v_cmp_gt_u32_e32 vcc, 8, v28
	v_cndmask_b32_e32 v28, v42, v44, vcc
	v_cndmask_b32_e32 v40, v40, v53, vcc
	v_lshlrev_b32_e32 v30, 24, v30
	v_lshlrev_b32_e32 v40, 20, v40
	v_and_b32_e32 v30, 0x80000000, v30
	v_lshl_add_u32 v28, v28, 23, v38
	v_or3_b32 v28, v30, v28, v40
	v_lshrrev_b32_e32 v40, 16, v28
.LBB912_183:                            ;   in Loop: Header=BB912_17 Depth=1
	s_or_b64 exec, exec, s[10:11]
.LBB912_184:                            ;   in Loop: Header=BB912_17 Depth=1
	s_or_b64 exec, exec, s[6:7]
.LBB912_185:                            ;   in Loop: Header=BB912_17 Depth=1
	s_or_b64 exec, exec, s[4:5]
	s_waitcnt vmcnt(0)
	v_cmp_ne_u16_sdwa s[6:7], v26, v35 src0_sel:BYTE_0 src1_sel:DWORD
	v_mov_b32_e32 v30, 0
	v_mov_b32_e32 v42, 0
	s_and_saveexec_b64 s[4:5], s[6:7]
	s_cbranch_execz .LBB912_191
; %bb.186:                              ;   in Loop: Header=BB912_17 Depth=1
	v_cmp_ne_u16_sdwa s[10:11], v26, s13 src0_sel:BYTE_0 src1_sel:DWORD
	v_mov_b32_e32 v42, 0xffff8000
	s_and_saveexec_b64 s[6:7], s[10:11]
	s_cbranch_execz .LBB912_190
; %bb.187:                              ;   in Loop: Header=BB912_17 Depth=1
	v_and_b32_e32 v28, 0x7f, v26
	v_cmp_ne_u32_e32 vcc, s14, v28
	v_mov_b32_e32 v42, 0x7f80
	s_and_saveexec_b64 s[10:11], vcc
	s_cbranch_execz .LBB912_189
; %bb.188:                              ;   in Loop: Header=BB912_17 Depth=1
	v_and_b32_e32 v42, 7, v26
	v_ffbh_u32_e32 v53, v42
	v_min_u32_e32 v53, 32, v53
	v_subrev_u32_e32 v54, 28, v53
	v_lshlrev_b64 v[54:55], v54, v[26:27]
	v_lshrrev_b32_e32 v44, 3, v28
	v_sub_u32_e32 v53, 29, v53
	v_and_b32_e32 v54, 7, v54
	v_cmp_gt_u32_e32 vcc, 8, v28
	v_cndmask_b32_e32 v28, v44, v53, vcc
	v_cndmask_b32_e32 v42, v42, v54, vcc
	v_lshlrev_b32_e32 v44, 24, v26
	v_lshlrev_b32_e32 v42, 20, v42
	v_and_b32_e32 v44, 0x80000000, v44
	v_lshl_add_u32 v28, v28, 23, v38
	v_or3_b32 v28, v44, v28, v42
	v_lshrrev_b32_e32 v42, 16, v28
.LBB912_189:                            ;   in Loop: Header=BB912_17 Depth=1
	s_or_b64 exec, exec, s[10:11]
.LBB912_190:                            ;   in Loop: Header=BB912_17 Depth=1
	s_or_b64 exec, exec, s[6:7]
.LBB912_191:                            ;   in Loop: Header=BB912_17 Depth=1
	s_or_b64 exec, exec, s[4:5]
	v_lshrrev_b16_e32 v28, 8, v26
	v_cmp_ne_u16_e32 vcc, 0, v28
	s_and_saveexec_b64 s[4:5], vcc
	s_cbranch_execz .LBB912_197
; %bb.192:                              ;   in Loop: Header=BB912_17 Depth=1
	v_cmp_ne_u16_e32 vcc, s13, v28
	v_mov_b32_e32 v30, 0xffff8000
	s_and_saveexec_b64 s[6:7], vcc
	s_cbranch_execz .LBB912_196
; %bb.193:                              ;   in Loop: Header=BB912_17 Depth=1
	v_and_b32_e32 v44, 0x7f, v28
	v_cmp_ne_u32_e32 vcc, s14, v44
	v_mov_b32_e32 v30, 0x7f80
	s_and_saveexec_b64 s[10:11], vcc
	s_cbranch_execz .LBB912_195
; %bb.194:                              ;   in Loop: Header=BB912_17 Depth=1
	v_and_b32_e32 v30, 7, v28
	v_ffbh_u32_e32 v54, v30
	v_min_u32_e32 v56, 32, v54
	v_subrev_u32_e32 v54, 28, v56
	v_lshlrev_b64 v[54:55], v54, v[28:29]
	v_lshrrev_b32_e32 v53, 3, v44
	v_sub_u32_e32 v28, 29, v56
	v_and_b32_e32 v54, 7, v54
	v_cmp_gt_u32_e32 vcc, 8, v44
	v_cndmask_b32_e32 v28, v53, v28, vcc
	v_cndmask_b32_e32 v30, v30, v54, vcc
	v_lshlrev_b32_e32 v44, 16, v26
	v_lshlrev_b32_e32 v30, 20, v30
	v_and_b32_e32 v44, 0x80000000, v44
	v_lshl_add_u32 v28, v28, 23, v38
	v_or3_b32 v28, v44, v28, v30
	v_lshrrev_b32_e32 v30, 16, v28
.LBB912_195:                            ;   in Loop: Header=BB912_17 Depth=1
	s_or_b64 exec, exec, s[10:11]
.LBB912_196:                            ;   in Loop: Header=BB912_17 Depth=1
	s_or_b64 exec, exec, s[6:7]
.LBB912_197:                            ;   in Loop: Header=BB912_17 Depth=1
	s_or_b64 exec, exec, s[4:5]
	v_lshrrev_b32_e32 v28, 16, v26
	v_cmp_ne_u16_sdwa s[6:7], v28, v35 src0_sel:BYTE_0 src1_sel:DWORD
	v_mov_b32_e32 v53, 0
	v_mov_b32_e32 v44, 0
	s_and_saveexec_b64 s[4:5], s[6:7]
	s_cbranch_execz .LBB912_203
; %bb.198:                              ;   in Loop: Header=BB912_17 Depth=1
	v_cmp_ne_u16_sdwa s[10:11], v28, s13 src0_sel:BYTE_0 src1_sel:DWORD
	v_mov_b32_e32 v44, 0xffff8000
	s_and_saveexec_b64 s[6:7], s[10:11]
	s_cbranch_execz .LBB912_202
; %bb.199:                              ;   in Loop: Header=BB912_17 Depth=1
	v_bfe_u32 v54, v26, 16, 7
	v_cmp_ne_u32_e32 vcc, s14, v54
	v_mov_b32_e32 v44, 0x7f80
	s_and_saveexec_b64 s[10:11], vcc
	s_cbranch_execz .LBB912_201
; %bb.200:                              ;   in Loop: Header=BB912_17 Depth=1
	v_and_b32_e32 v44, 7, v28
	v_ffbh_u32_e32 v56, v44
	v_min_u32_e32 v58, 32, v56
	v_subrev_u32_e32 v56, 28, v58
	v_lshlrev_b64 v[56:57], v56, v[28:29]
	v_lshrrev_b32_e32 v55, 3, v54
	v_sub_u32_e32 v57, 29, v58
	v_and_b32_e32 v56, 7, v56
	v_cmp_gt_u32_e32 vcc, 8, v54
	v_cndmask_b32_e32 v54, v55, v57, vcc
	v_cndmask_b32_e32 v44, v44, v56, vcc
	v_lshlrev_b32_e32 v28, 24, v28
	v_lshlrev_b32_e32 v44, 20, v44
	v_and_b32_e32 v28, 0x80000000, v28
	v_lshl_add_u32 v54, v54, 23, v38
	v_or3_b32 v28, v28, v54, v44
	v_lshrrev_b32_e32 v44, 16, v28
.LBB912_201:                            ;   in Loop: Header=BB912_17 Depth=1
	s_or_b64 exec, exec, s[10:11]
.LBB912_202:                            ;   in Loop: Header=BB912_17 Depth=1
	s_or_b64 exec, exec, s[6:7]
.LBB912_203:                            ;   in Loop: Header=BB912_17 Depth=1
	s_or_b64 exec, exec, s[4:5]
	v_cmp_lt_u32_e32 vcc, s15, v26
	s_and_saveexec_b64 s[4:5], vcc
	s_cbranch_execz .LBB912_16
; %bb.204:                              ;   in Loop: Header=BB912_17 Depth=1
	v_lshrrev_b32_e32 v28, 24, v26
	v_cmp_ne_u32_e32 vcc, s13, v28
	v_mov_b32_e32 v53, 0xffff8000
	s_and_saveexec_b64 s[6:7], vcc
	s_cbranch_execz .LBB912_15
; %bb.205:                              ;   in Loop: Header=BB912_17 Depth=1
	v_bfe_u32 v26, v26, 24, 7
	v_cmp_ne_u32_e32 vcc, s14, v26
	v_mov_b32_e32 v53, 0x7f80
	s_and_saveexec_b64 s[10:11], vcc
	s_cbranch_execz .LBB912_14
; %bb.206:                              ;   in Loop: Header=BB912_17 Depth=1
	v_and_b32_e32 v53, 7, v28
	v_ffbh_u32_e32 v54, v53
	v_min_u32_e32 v57, 32, v54
	v_subrev_u32_e32 v54, 28, v57
	v_lshlrev_b64 v[54:55], v54, v[28:29]
	v_lshrrev_b32_e32 v56, 3, v26
	v_sub_u32_e32 v55, 29, v57
	v_and_b32_e32 v54, 7, v54
	v_cmp_gt_u32_e32 vcc, 8, v26
	v_cndmask_b32_e32 v26, v56, v55, vcc
	v_cndmask_b32_e32 v53, v53, v54, vcc
	v_lshlrev_b32_e32 v28, 24, v28
	v_lshlrev_b32_e32 v53, 20, v53
	v_and_b32_e32 v28, 0x80000000, v28
	v_lshl_add_u32 v26, v26, 23, v38
	v_or3_b32 v26, v28, v26, v53
	v_lshrrev_b32_e32 v53, 16, v26
	s_branch .LBB912_14
.LBB912_207:
	buffer_load_dword v17, off, s[0:3], 0 offset:256
	buffer_load_dword v16, off, s[0:3], 0 offset:260
	buffer_load_dword v15, off, s[0:3], 0 offset:264
	buffer_load_dword v14, off, s[0:3], 0 offset:268
	buffer_load_dword v13, off, s[0:3], 0 offset:272
	buffer_load_dword v12, off, s[0:3], 0 offset:276
	buffer_load_dword v11, off, s[0:3], 0 offset:280
	buffer_load_dword v10, off, s[0:3], 0 offset:284
	buffer_load_dword v9, off, s[0:3], 0 offset:288
	buffer_load_dword v8, off, s[0:3], 0 offset:292
	buffer_load_dword v7, off, s[0:3], 0 offset:296
	buffer_load_dword v6, off, s[0:3], 0 offset:300
	buffer_load_dword v5, off, s[0:3], 0 offset:304
	buffer_load_dword v4, off, s[0:3], 0 offset:308
	buffer_load_dword v3, off, s[0:3], 0 offset:312
	buffer_load_dword v2, off, s[0:3], 0 offset:316
	v_and_b32_e32 v18, 0xc0, v0
	v_add_u32_e32 v18, s20, v18
	v_lshl_or_b32 v18, v41, 2, v18
	v_or_b32_e32 v20, 1, v18
	v_subrev_u32_e32 v24, s33, v20
	v_add_u32_e32 v26, 1, v24
	v_cvt_f32_i32_e32 v25, v24
	v_add_u32_e32 v28, 2, v24
	v_add_u32_e32 v30, 3, v24
	;; [unrolled: 1-line block ×14, first 2 shown]
	v_cvt_f32_i32_e32 v26, v26
	v_cvt_f32_i32_e32 v28, v28
	;; [unrolled: 1-line block ×4, first 2 shown]
	v_mov_b32_e32 v19, 0xff7fffff
	v_or_b32_e32 v21, 2, v18
	v_or_b32_e32 v22, 3, v18
	v_cvt_f32_i32_e32 v32, v32
	v_cvt_f32_i32_e32 v34, v34
	v_cmp_gt_i32_e64 s[28:29], s33, v18
	v_cmp_gt_i32_e64 s[30:31], s33, v20
	s_mov_b32 s52, 0xff7fffff
	v_cmp_gt_i32_e64 s[34:35], s33, v21
	v_cmp_gt_i32_e64 s[36:37], s33, v22
	v_or_b32_e32 v23, 16, v18
	v_cvt_f32_i32_e32 v35, v35
	v_cvt_f32_i32_e32 v36, v36
	v_cmp_gt_i32_e64 s[24:25], s33, v23
	v_cvt_f32_i32_e32 v37, v37
	v_cvt_f32_i32_e32 v38, v38
	;; [unrolled: 1-line block ×7, first 2 shown]
	s_waitcnt vmcnt(15)
	v_fmac_f32_e32 v17, v31, v25
	s_waitcnt vmcnt(14)
	v_fmac_f32_e32 v16, v31, v26
	;; [unrolled: 2-line block ×4, first 2 shown]
	v_cndmask_b32_e64 v20, v19, v16, s[30:31]
	v_cndmask_b32_e64 v21, v19, v15, s[34:35]
	;; [unrolled: 1-line block ×3, first 2 shown]
	s_waitcnt vmcnt(11)
	v_fmac_f32_e32 v13, v31, v32
	s_waitcnt vmcnt(10)
	v_fmac_f32_e32 v12, v31, v34
	;; [unrolled: 2-line block ×9, first 2 shown]
	v_cndmask_b32_e64 v24, v19, v17, s[28:29]
	v_max3_f32 v20, v24, s52, v20
	v_max3_f32 v20, v20, v21, v22
	v_or_b32_e32 v22, 17, v18
	v_cmp_gt_i32_e64 s[38:39], s33, v22
	v_cndmask_b32_e64 v21, v19, v13, s[24:25]
	v_cndmask_b32_e64 v22, v19, v12, s[38:39]
	v_max3_f32 v20, v20, v21, v22
	v_or_b32_e32 v21, 18, v18
	v_or_b32_e32 v22, 19, v18
	v_cmp_gt_i32_e64 s[20:21], s33, v21
	v_cmp_gt_i32_e64 s[22:23], s33, v22
	v_cndmask_b32_e64 v21, v19, v11, s[20:21]
	v_cndmask_b32_e64 v22, v19, v10, s[22:23]
	v_max3_f32 v20, v20, v21, v22
	v_or_b32_e32 v21, 32, v18
	v_or_b32_e32 v22, 33, v18
	v_cmp_gt_i32_e64 s[16:17], s33, v21
	;; [unrolled: 7-line block ×3, first 2 shown]
	v_cmp_gt_i32_e64 s[14:15], s33, v22
	v_cndmask_b32_e64 v21, v19, v7, s[12:13]
	v_cndmask_b32_e64 v22, v19, v6, s[14:15]
	v_max3_f32 v20, v20, v21, v22
	v_or_b32_e32 v21, 48, v18
	v_or_b32_e32 v22, 49, v18
	v_fmac_f32_e32 v5, v31, v44
	v_fmac_f32_e32 v4, v31, v53
	v_cmp_gt_i32_e64 s[6:7], s33, v21
	v_cmp_gt_i32_e64 s[10:11], s33, v22
	v_cndmask_b32_e64 v21, v19, v5, s[6:7]
	v_cndmask_b32_e64 v22, v19, v4, s[10:11]
	v_max3_f32 v20, v20, v21, v22
	v_or_b32_e32 v21, 50, v18
	v_or_b32_e32 v18, 51, v18
	v_fmac_f32_e32 v3, v31, v54
	v_cmp_gt_i32_e32 vcc, s33, v21
	v_cmp_gt_i32_e64 s[4:5], s33, v18
	v_cndmask_b32_e32 v21, v19, v3, vcc
	v_cndmask_b32_e64 v18, v19, v2, s[4:5]
	v_mbcnt_lo_u32_b32 v19, -1, 0
	v_mbcnt_hi_u32_b32 v19, -1, v19
	v_max3_f32 v18, v20, v21, v18
	v_and_b32_e32 v20, 64, v19
	v_add_u32_e32 v20, 64, v20
	v_xor_b32_e32 v21, 32, v19
	v_cmp_lt_i32_e64 s[40:41], v21, v20
	v_cndmask_b32_e64 v21, v19, v21, s[40:41]
	v_lshlrev_b32_e32 v21, 2, v21
	ds_bpermute_b32 v22, v21, v18
	s_waitcnt lgkmcnt(0)
	v_max_f32_e32 v22, v22, v22
	v_max_f32_e32 v18, v18, v22
	v_xor_b32_e32 v22, 16, v19
	v_cmp_lt_i32_e64 s[40:41], v22, v20
	v_cndmask_b32_e64 v19, v19, v22, s[40:41]
	v_lshlrev_b32_e32 v19, 2, v19
	ds_bpermute_b32 v20, v19, v18
	s_waitcnt lgkmcnt(0)
	v_max_f32_e32 v20, v20, v20
	v_max_f32_e32 v18, v18, v20
	v_sub_f32_e32 v17, v17, v18
	v_mul_f32_e32 v17, 0x3fb8aa3b, v17
	v_sub_f32_e32 v16, v16, v18
	v_exp_f32_e32 v17, v17
	v_mul_f32_e32 v16, 0x3fb8aa3b, v16
	v_sub_f32_e32 v15, v15, v18
	v_exp_f32_e32 v16, v16
	;; [unrolled: 3-line block ×4, first 2 shown]
	v_mul_f32_e32 v13, 0x3fb8aa3b, v13
	v_sub_f32_e32 v12, v12, v18
	v_cndmask_b32_e64 v17, 0, v17, s[28:29]
	v_exp_f32_e32 v13, v13
	v_mul_f32_e32 v12, 0x3fb8aa3b, v12
	v_sub_f32_e32 v11, v11, v18
	v_add_f32_e32 v20, 0, v17
	v_cndmask_b32_e64 v16, 0, v16, s[30:31]
	v_exp_f32_e32 v12, v12
	v_mul_f32_e32 v11, 0x3fb8aa3b, v11
	v_sub_f32_e32 v10, v10, v18
	v_add_f32_e32 v20, v20, v16
	v_cndmask_b32_e64 v15, 0, v15, s[34:35]
	v_exp_f32_e32 v11, v11
	v_mul_f32_e32 v10, 0x3fb8aa3b, v10
	v_sub_f32_e32 v9, v9, v18
	v_add_f32_e32 v20, v20, v15
	v_cndmask_b32_e64 v14, 0, v14, s[36:37]
	v_exp_f32_e32 v10, v10
	v_mul_f32_e32 v9, 0x3fb8aa3b, v9
	v_sub_f32_e32 v8, v8, v18
	v_add_f32_e32 v20, v20, v14
	v_cndmask_b32_e64 v13, 0, v13, s[24:25]
	v_exp_f32_e32 v9, v9
	v_mul_f32_e32 v8, 0x3fb8aa3b, v8
	v_sub_f32_e32 v7, v7, v18
	buffer_store_dword v17, off, s[0:3], 0 offset:256
	buffer_store_dword v16, off, s[0:3], 0 offset:260
	;; [unrolled: 1-line block ×4, first 2 shown]
	v_add_f32_e32 v14, v20, v13
	v_cndmask_b32_e64 v12, 0, v12, s[38:39]
	v_exp_f32_e32 v8, v8
	v_mul_f32_e32 v7, 0x3fb8aa3b, v7
	v_sub_f32_e32 v6, v6, v18
	v_add_f32_e32 v14, v14, v12
	v_cndmask_b32_e64 v11, 0, v11, s[20:21]
	v_exp_f32_e32 v7, v7
	v_mul_f32_e32 v6, 0x3fb8aa3b, v6
	v_sub_f32_e32 v5, v5, v18
	;; [unrolled: 5-line block ×4, first 2 shown]
	buffer_store_dword v13, off, s[0:3], 0 offset:272
	buffer_store_dword v12, off, s[0:3], 0 offset:276
	;; [unrolled: 1-line block ×4, first 2 shown]
	v_add_f32_e32 v10, v14, v9
	v_cndmask_b32_e64 v8, 0, v8, s[18:19]
	v_exp_f32_e32 v4, v4
	v_mul_f32_e32 v3, 0x3fb8aa3b, v3
	v_sub_f32_e32 v2, v2, v18
	v_add_f32_e32 v10, v10, v8
	v_cndmask_b32_e64 v7, 0, v7, s[12:13]
	v_exp_f32_e32 v3, v3
	v_mul_f32_e32 v2, 0x3fb8aa3b, v2
	v_add_f32_e32 v10, v10, v7
	v_cndmask_b32_e64 v6, 0, v6, s[14:15]
	v_exp_f32_e32 v2, v2
	v_add_f32_e32 v10, v10, v6
	v_cndmask_b32_e64 v5, 0, v5, s[6:7]
	buffer_store_dword v9, off, s[0:3], 0 offset:288
	buffer_store_dword v8, off, s[0:3], 0 offset:292
	buffer_store_dword v7, off, s[0:3], 0 offset:296
	buffer_store_dword v6, off, s[0:3], 0 offset:300
	v_add_f32_e32 v6, v10, v5
	v_cndmask_b32_e64 v4, 0, v4, s[10:11]
	v_add_f32_e32 v6, v6, v4
	v_cndmask_b32_e32 v3, 0, v3, vcc
	v_add_f32_e32 v6, v6, v3
	v_cndmask_b32_e64 v2, 0, v2, s[4:5]
	v_add_f32_e32 v6, v6, v2
	ds_bpermute_b32 v7, v21, v6
	buffer_store_dword v5, off, s[0:3], 0 offset:304
	buffer_store_dword v4, off, s[0:3], 0 offset:308
	;; [unrolled: 1-line block ×4, first 2 shown]
	v_cmp_gt_u32_e32 vcc, 16, v33
	s_waitcnt lgkmcnt(0)
	s_barrier
	v_add_f32_e32 v2, v6, v7
	ds_bpermute_b32 v3, v19, v2
	s_waitcnt lgkmcnt(0)
	s_and_saveexec_b64 s[4:5], vcc
	s_cbranch_execz .LBB912_209
; %bb.208:
	v_add_f32_e32 v2, v2, v3
	v_lshlrev_b32_e32 v3, 2, v29
	ds_write2st64_b32 v3, v18, v2 offset1:1
.LBB912_209:
	s_or_b64 exec, exec, s[4:5]
	v_lshlrev_b32_e32 v2, 2, v43
	s_waitcnt lgkmcnt(0)
	s_barrier
	ds_read2_b32 v[14:15], v2 offset1:16
	ds_read2_b32 v[16:17], v2 offset0:32 offset1:48
	ds_read2_b32 v[6:7], v2 offset0:64 offset1:80
	;; [unrolled: 1-line block ×3, first 2 shown]
	s_waitcnt lgkmcnt(0)
	s_barrier
	buffer_load_dword v22, off, s[0:3], 0 offset:264
	buffer_load_dword v23, off, s[0:3], 0 offset:268
	;; [unrolled: 1-line block ×16, first 2 shown]
	v_max3_f32 v20, v14, s52, v15
	v_max3_f32 v20, v20, v16, v17
	v_sub_f32_e32 v14, v14, v20
	v_sub_f32_e32 v15, v15, v20
	v_mul_f32_e32 v14, 0x3fb8aa3b, v14
	v_sub_f32_e32 v16, v16, v20
	v_mul_f32_e32 v15, 0x3fb8aa3b, v15
	v_exp_f32_e32 v14, v14
	v_sub_f32_e32 v17, v17, v20
	v_mul_f32_e32 v16, 0x3fb8aa3b, v16
	v_exp_f32_e32 v15, v15
	v_mul_f32_e32 v17, 0x3fb8aa3b, v17
	v_exp_f32_e32 v16, v16
	v_exp_f32_e32 v17, v17
	v_fma_f32 v6, v14, v6, 0
	v_fmac_f32_e32 v6, v15, v7
	v_fmac_f32_e32 v6, v16, v12
	;; [unrolled: 1-line block ×3, first 2 shown]
	v_cmp_eq_u32_e32 vcc, 1, v27
	v_add_f32_e32 v12, 0x358637bd, v6
	v_cndmask_b32_e32 v14, v14, v15, vcc
	v_cmp_eq_u32_e32 vcc, 2, v27
	v_div_scale_f32 v13, s[4:5], v12, v12, 1.0
	v_cndmask_b32_e32 v7, v14, v16, vcc
	v_rcp_f32_e32 v14, v13
	v_cmp_eq_u32_e32 vcc, 3, v27
	v_cndmask_b32_e32 v7, v7, v17, vcc
	v_div_scale_f32 v15, vcc, 1.0, v12, 1.0
	v_fma_f32 v16, -v13, v14, 1.0
	v_fmac_f32_e32 v14, v16, v14
	v_mul_f32_e32 v16, v15, v14
	v_fma_f32 v17, -v13, v16, v15
	v_fmac_f32_e32 v16, v17, v14
	v_fma_f32 v13, -v13, v16, v15
	v_div_fmas_f32 v13, v13, v14, v16
	v_div_fixup_f32 v12, v13, v12, 1.0
	v_mul_f32_e32 v12, v7, v12
	s_movk_i32 s19, 0x7fff
	s_mov_b32 s20, 0x7060302
	s_mul_i32 s18, s49, 3
	v_cmp_gt_u32_e32 vcc, 3, v0
	s_waitcnt vmcnt(14)
	v_pk_mul_f32 v[14:15], v[12:13], v[22:23] op_sel_hi:[0,1]
	v_bfe_u32 v21, v15, 16, 1
	s_waitcnt vmcnt(12)
	v_pk_mul_f32 v[16:17], v[12:13], v[24:25] op_sel_hi:[0,1]
	v_bfe_u32 v7, v17, 16, 1
	v_bfe_u32 v13, v16, 16, 1
	;; [unrolled: 1-line block ×3, first 2 shown]
	v_add3_u32 v13, v16, v13, s19
	v_add3_u32 v7, v17, v7, s19
	buffer_store_dword v16, off, s[0:3], 0 offset:256
	buffer_store_dword v17, off, s[0:3], 0 offset:260
	;; [unrolled: 1-line block ×4, first 2 shown]
	v_add3_u32 v16, v14, v22, s19
	v_add3_u32 v15, v15, v21, s19
	v_perm_b32 v14, v7, v13, s20
	v_lshlrev_b32_e32 v13, 3, v41
	v_perm_b32 v15, v15, v16, s20
	v_lshlrev_b32_e32 v7, 5, v43
	v_lshlrev_b32_e32 v16, 11, v27
	s_waitcnt vmcnt(12)
	v_pk_mul_f32 v[8:9], v[12:13], v[8:9] op_sel_hi:[0,1]
	v_or3_b32 v53, v16, v7, v13
	v_pk_mul_f32 v[10:11], v[12:13], v[10:11] op_sel_hi:[0,1]
	v_bfe_u32 v13, v9, 16, 1
	v_bfe_u32 v16, v8, 16, 1
	buffer_store_dword v8, off, s[0:3], 0 offset:272
	buffer_store_dword v9, off, s[0:3], 0 offset:276
	;; [unrolled: 1-line block ×4, first 2 shown]
	v_add3_u32 v8, v8, v16, s19
	v_add3_u32 v9, v9, v13, s19
	v_perm_b32 v8, v9, v8, s20
	v_bfe_u32 v9, v11, 16, 1
	v_bfe_u32 v13, v10, 16, 1
	v_add3_u32 v10, v10, v13, s19
	v_add3_u32 v9, v11, v9, s19
	v_perm_b32 v9, v9, v10, s20
	s_waitcnt vmcnt(14)
	v_pk_mul_f32 v[10:11], v[12:13], v[18:19] op_sel_hi:[0,1]
	ds_write2st64_b64 v53, v[14:15], v[8:9] offset1:1
	s_waitcnt vmcnt(12)
	v_pk_mul_f32 v[8:9], v[12:13], v[28:29] op_sel_hi:[0,1]
	v_bfe_u32 v13, v11, 16, 1
	v_bfe_u32 v14, v10, 16, 1
	buffer_store_dword v10, off, s[0:3], 0 offset:288
	buffer_store_dword v11, off, s[0:3], 0 offset:292
	;; [unrolled: 1-line block ×4, first 2 shown]
	v_add3_u32 v10, v10, v14, s19
	v_add3_u32 v11, v11, v13, s19
	v_perm_b32 v10, v11, v10, s20
	v_bfe_u32 v11, v9, 16, 1
	v_bfe_u32 v13, v8, 16, 1
	v_add3_u32 v8, v8, v13, s19
	v_add3_u32 v9, v9, v11, s19
	s_waitcnt vmcnt(14)
	v_pk_mul_f32 v[2:3], v[12:13], v[2:3] op_sel_hi:[0,1]
	v_perm_b32 v11, v9, v8, s20
	v_bfe_u32 v8, v3, 16, 1
	v_bfe_u32 v9, v2, 16, 1
	s_waitcnt vmcnt(12)
	v_pk_mul_f32 v[4:5], v[12:13], v[4:5] op_sel_hi:[0,1]
	buffer_store_dword v2, off, s[0:3], 0 offset:304
	buffer_store_dword v3, off, s[0:3], 0 offset:308
	;; [unrolled: 1-line block ×4, first 2 shown]
	v_add3_u32 v2, v2, v9, s19
	v_add3_u32 v3, v3, v8, s19
	v_perm_b32 v2, v3, v2, s20
	v_bfe_u32 v3, v5, 16, 1
	v_bfe_u32 v8, v4, 16, 1
	v_add3_u32 v4, v4, v8, s19
	v_add3_u32 v3, v5, v3, s19
	v_perm_b32 v3, v3, v4, s20
	ds_write2st64_b64 v53, v[10:11], v[2:3] offset0:2 offset1:3
	s_and_saveexec_b64 s[4:5], vcc
	s_cbranch_execz .LBB912_211
; %bb.210:
	v_add_co_u32_e32 v4, vcc, s27, v43
	v_addc_co_u32_e64 v5, s[6:7], 0, 0, vcc
	v_mov_b32_e32 v2, s18
	v_mad_u64_u32 v[4:5], s[6:7], s8, v2, v[4:5]
	v_mov_b32_e32 v3, 0
	s_mul_i32 s6, s9, s18
	v_mov_b32_e32 v2, s26
	v_add_u32_e32 v5, s6, v5
	v_mad_u64_u32 v[2:3], s[6:7], v4, s48, v[2:3]
	v_mov_b32_e32 v4, v3
	v_mad_u64_u32 v[4:5], s[6:7], v5, s48, v[4:5]
	v_mov_b32_e32 v3, v4
	v_lshlrev_b64 v[2:3], 2, v[2:3]
	v_mov_b32_e32 v5, s47
	v_add_co_u32_e32 v4, vcc, s46, v2
	v_addc_co_u32_e32 v5, vcc, v5, v3, vcc
	global_store_dword v[4:5], v20, off
	v_mov_b32_e32 v4, s45
	v_add_co_u32_e32 v2, vcc, s44, v2
	v_addc_co_u32_e32 v3, vcc, v4, v3, vcc
	global_store_dword v[2:3], v6, off
.LBB912_211:
	s_or_b64 exec, exec, s[4:5]
	v_lshl_or_b32 v30, v41, 9, v7
	s_waitcnt lgkmcnt(0)
	s_barrier
	s_load_dword s4, s[42:43], 0x0
	ds_read_b128 v[2:5], v30
	ds_read_b128 v[6:9], v30 offset:16
	ds_read_b128 v[10:13], v30 offset:2048
	;; [unrolled: 1-line block ×7, first 2 shown]
	v_mov_b32_e32 v35, 0x80
	v_mov_b32_e32 v54, 0x140
	s_mov_b64 s[10:11], -1
	s_waitcnt lgkmcnt(0)
	s_mov_b32 s5, s4
	s_mov_b32 s6, s4
	;; [unrolled: 1-line block ×3, first 2 shown]
	s_movk_i32 s9, 0x80
	s_movk_i32 s21, 0x7f
	s_mov_b32 s22, 0xffffff
	s_mov_b32 s23, 0x5040100
	v_mov_b32_e32 v55, 0
	v_bfrev_b32_e32 v56, 60
	s_branch .LBB912_215
.LBB912_212:                            ;   in Loop: Header=BB912_215 Depth=1
	s_or_b64 exec, exec, s[16:17]
.LBB912_213:                            ;   in Loop: Header=BB912_215 Depth=1
	s_or_b64 exec, exec, s[14:15]
.LBB912_214:                            ;   in Loop: Header=BB912_215 Depth=1
	s_or_b64 exec, exec, s[12:13]
	v_perm_b32 v61, v57, v51, s23
	v_perm_b32 v60, v44, v46, s23
	s_xor_b64 s[12:13], s[10:11], -1
	s_mov_b64 s[10:11], 0
	v_mov_b32_e32 v46, v48
	v_mfma_f32_16x16x16bf16_1k v[60:63], v[60:61], v[30:31], v[34:37]
	s_and_b64 vcc, exec, s[12:13]
	v_mov_b32_e32 v51, v50
	s_nop 4
	v_perm_b32 v37, v59, v58, s23
	v_perm_b32 v36, v42, v52, s23
	v_mov_b32_e32 v35, v47
	v_mov_b32_e32 v52, v49
	v_mfma_f32_16x16x16bf16_1k v[58:61], v[36:37], v[32:33], v[60:63]
	s_nop 7
	s_nop 2
	v_pk_mul_f32 v[58:59], v[58:59], s[4:5]
	v_pk_mul_f32 v[36:37], v[60:61], s[6:7]
	v_bfe_u32 v34, v59, 16, 1
	v_bfe_u32 v38, v58, 16, 1
	;; [unrolled: 1-line block ×4, first 2 shown]
	v_add3_u32 v38, v58, v38, s19
	v_add3_u32 v34, v59, v34, s19
	;; [unrolled: 1-line block ×4, first 2 shown]
	v_perm_b32 v34, v34, v38, s20
	v_perm_b32 v36, v37, v36, s20
	buffer_store_dword v34, v54, s[0:3], 0 offen
	buffer_store_dword v36, v54, s[0:3], 0 offen offset:4
	v_mov_b32_e32 v54, 0x148
	s_cbranch_vccnz .LBB912_597
.LBB912_215:                            ; =>This Inner Loop Header: Depth=1
	buffer_load_dword v36, v35, s[0:3], 0 offen
	buffer_load_dword v34, v35, s[0:3], 0 offen offset:4
	buffer_load_dword v40, v35, s[0:3], 0 offen offset:8
	;; [unrolled: 1-line block ×3, first 2 shown]
	v_mov_b32_e32 v35, 0
	s_waitcnt vmcnt(3)
	v_cmp_ne_u16_sdwa s[14:15], v36, v55 src0_sel:BYTE_0 src1_sel:DWORD
	s_and_saveexec_b64 s[12:13], s[14:15]
	s_cbranch_execz .LBB912_221
; %bb.216:                              ;   in Loop: Header=BB912_215 Depth=1
	v_cmp_ne_u16_sdwa s[16:17], v36, s9 src0_sel:BYTE_0 src1_sel:DWORD
	v_mov_b32_e32 v35, 0xffff8000
	s_and_saveexec_b64 s[14:15], s[16:17]
	s_cbranch_execz .LBB912_220
; %bb.217:                              ;   in Loop: Header=BB912_215 Depth=1
	v_and_b32_e32 v37, 0x7f, v36
	v_cmp_ne_u32_e32 vcc, s21, v37
	v_mov_b32_e32 v35, 0x7f80
	s_and_saveexec_b64 s[16:17], vcc
	s_cbranch_execz .LBB912_219
; %bb.218:                              ;   in Loop: Header=BB912_215 Depth=1
	v_and_b32_e32 v35, 7, v36
	v_ffbh_u32_e32 v44, v35
	v_min_u32_e32 v44, 32, v44
	v_subrev_u32_e32 v57, 28, v44
	v_lshlrev_b64 v[58:59], v57, v[36:37]
	v_lshrrev_b32_e32 v42, 3, v37
	v_sub_u32_e32 v44, 29, v44
	v_and_b32_e32 v57, 7, v58
	v_cmp_gt_u32_e32 vcc, 8, v37
	v_cndmask_b32_e32 v37, v42, v44, vcc
	v_cndmask_b32_e32 v35, v35, v57, vcc
	v_lshlrev_b32_e32 v42, 24, v36
	v_lshlrev_b32_e32 v35, 20, v35
	v_and_b32_e32 v42, 0x80000000, v42
	v_lshl_add_u32 v37, v37, 23, v56
	v_or3_b32 v35, v42, v37, v35
	v_lshrrev_b32_e32 v35, 16, v35
.LBB912_219:                            ;   in Loop: Header=BB912_215 Depth=1
	s_or_b64 exec, exec, s[16:17]
.LBB912_220:                            ;   in Loop: Header=BB912_215 Depth=1
	s_or_b64 exec, exec, s[14:15]
.LBB912_221:                            ;   in Loop: Header=BB912_215 Depth=1
	s_or_b64 exec, exec, s[12:13]
	v_lshrrev_b16_e32 v42, 8, v36
	v_cmp_ne_u16_e32 vcc, 0, v42
	v_mov_b32_e32 v57, 0
	v_mov_b32_e32 v37, 0
	s_and_saveexec_b64 s[12:13], vcc
	s_cbranch_execz .LBB912_227
; %bb.222:                              ;   in Loop: Header=BB912_215 Depth=1
	v_cmp_ne_u16_e32 vcc, s9, v42
	v_mov_b32_e32 v37, 0xffff8000
	s_and_saveexec_b64 s[14:15], vcc
	s_cbranch_execz .LBB912_226
; %bb.223:                              ;   in Loop: Header=BB912_215 Depth=1
	v_and_b32_e32 v44, 0x7f, v42
	v_cmp_ne_u32_e32 vcc, s21, v44
	v_mov_b32_e32 v37, 0x7f80
	s_and_saveexec_b64 s[16:17], vcc
	s_cbranch_execz .LBB912_225
; %bb.224:                              ;   in Loop: Header=BB912_215 Depth=1
	v_and_b32_e32 v37, 7, v42
	v_ffbh_u32_e32 v58, v37
	v_min_u32_e32 v61, 32, v58
	v_subrev_u32_e32 v58, 28, v61
	v_lshlrev_b64 v[58:59], v58, v[42:43]
	v_lshrrev_b32_e32 v60, 3, v44
	v_sub_u32_e32 v42, 29, v61
	v_and_b32_e32 v58, 7, v58
	v_cmp_gt_u32_e32 vcc, 8, v44
	v_cndmask_b32_e32 v42, v60, v42, vcc
	v_cndmask_b32_e32 v37, v37, v58, vcc
	v_lshlrev_b32_e32 v44, 16, v36
	v_lshlrev_b32_e32 v37, 20, v37
	v_and_b32_e32 v44, 0x80000000, v44
	v_lshl_add_u32 v42, v42, 23, v56
	v_or3_b32 v37, v44, v42, v37
	v_lshrrev_b32_e32 v37, 16, v37
.LBB912_225:                            ;   in Loop: Header=BB912_215 Depth=1
	s_or_b64 exec, exec, s[16:17]
.LBB912_226:                            ;   in Loop: Header=BB912_215 Depth=1
	s_or_b64 exec, exec, s[14:15]
.LBB912_227:                            ;   in Loop: Header=BB912_215 Depth=1
	s_or_b64 exec, exec, s[12:13]
	v_lshrrev_b32_e32 v42, 16, v36
	v_cmp_ne_u16_sdwa s[14:15], v42, v55 src0_sel:BYTE_0 src1_sel:DWORD
	s_and_saveexec_b64 s[12:13], s[14:15]
	s_cbranch_execz .LBB912_233
; %bb.228:                              ;   in Loop: Header=BB912_215 Depth=1
	v_cmp_ne_u16_sdwa s[16:17], v42, s9 src0_sel:BYTE_0 src1_sel:DWORD
	v_mov_b32_e32 v57, 0xffff8000
	s_and_saveexec_b64 s[14:15], s[16:17]
	s_cbranch_execz .LBB912_232
; %bb.229:                              ;   in Loop: Header=BB912_215 Depth=1
	v_bfe_u32 v44, v36, 16, 7
	v_cmp_ne_u32_e32 vcc, s21, v44
	v_mov_b32_e32 v57, 0x7f80
	s_and_saveexec_b64 s[16:17], vcc
	s_cbranch_execz .LBB912_231
; %bb.230:                              ;   in Loop: Header=BB912_215 Depth=1
	v_and_b32_e32 v57, 7, v42
	v_ffbh_u32_e32 v58, v57
	v_min_u32_e32 v61, 32, v58
	v_subrev_u32_e32 v58, 28, v61
	v_lshlrev_b64 v[58:59], v58, v[42:43]
	v_lshrrev_b32_e32 v60, 3, v44
	v_sub_u32_e32 v59, 29, v61
	v_and_b32_e32 v58, 7, v58
	v_cmp_gt_u32_e32 vcc, 8, v44
	v_cndmask_b32_e32 v44, v60, v59, vcc
	v_cndmask_b32_e32 v57, v57, v58, vcc
	v_lshlrev_b32_e32 v42, 24, v42
	v_lshlrev_b32_e32 v57, 20, v57
	v_and_b32_e32 v42, 0x80000000, v42
	v_lshl_add_u32 v44, v44, 23, v56
	v_or3_b32 v42, v42, v44, v57
	v_lshrrev_b32_e32 v57, 16, v42
.LBB912_231:                            ;   in Loop: Header=BB912_215 Depth=1
	s_or_b64 exec, exec, s[16:17]
.LBB912_232:                            ;   in Loop: Header=BB912_215 Depth=1
	s_or_b64 exec, exec, s[14:15]
.LBB912_233:                            ;   in Loop: Header=BB912_215 Depth=1
	s_or_b64 exec, exec, s[12:13]
	v_cmp_lt_u32_e32 vcc, s22, v36
	v_mov_b32_e32 v58, 0
	v_mov_b32_e32 v59, 0
	s_and_saveexec_b64 s[12:13], vcc
	s_cbranch_execz .LBB912_239
; %bb.234:                              ;   in Loop: Header=BB912_215 Depth=1
	v_lshrrev_b32_e32 v42, 24, v36
	v_cmp_ne_u32_e32 vcc, s9, v42
	v_mov_b32_e32 v59, 0xffff8000
	s_and_saveexec_b64 s[14:15], vcc
	s_cbranch_execz .LBB912_238
; %bb.235:                              ;   in Loop: Header=BB912_215 Depth=1
	v_bfe_u32 v36, v36, 24, 7
	v_cmp_ne_u32_e32 vcc, s21, v36
	v_mov_b32_e32 v59, 0x7f80
	s_and_saveexec_b64 s[16:17], vcc
	s_cbranch_execz .LBB912_237
; %bb.236:                              ;   in Loop: Header=BB912_215 Depth=1
	v_and_b32_e32 v44, 7, v42
	v_ffbh_u32_e32 v60, v44
	v_min_u32_e32 v62, 32, v60
	v_subrev_u32_e32 v60, 28, v62
	v_lshlrev_b64 v[60:61], v60, v[42:43]
	v_lshrrev_b32_e32 v59, 3, v36
	v_sub_u32_e32 v61, 29, v62
	v_and_b32_e32 v60, 7, v60
	v_cmp_gt_u32_e32 vcc, 8, v36
	v_cndmask_b32_e32 v36, v59, v61, vcc
	v_cndmask_b32_e32 v44, v44, v60, vcc
	v_lshlrev_b32_e32 v42, 24, v42
	v_lshlrev_b32_e32 v44, 20, v44
	v_and_b32_e32 v42, 0x80000000, v42
	v_lshl_add_u32 v36, v36, 23, v56
	v_or3_b32 v36, v42, v36, v44
	v_lshrrev_b32_e32 v59, 16, v36
.LBB912_237:                            ;   in Loop: Header=BB912_215 Depth=1
	s_or_b64 exec, exec, s[16:17]
.LBB912_238:                            ;   in Loop: Header=BB912_215 Depth=1
	s_or_b64 exec, exec, s[14:15]
.LBB912_239:                            ;   in Loop: Header=BB912_215 Depth=1
	s_or_b64 exec, exec, s[12:13]
	s_waitcnt vmcnt(2)
	v_cmp_ne_u16_sdwa s[14:15], v34, v55 src0_sel:BYTE_0 src1_sel:DWORD
	s_and_saveexec_b64 s[12:13], s[14:15]
	s_cbranch_execz .LBB912_245
; %bb.240:                              ;   in Loop: Header=BB912_215 Depth=1
	v_cmp_ne_u16_sdwa s[16:17], v34, s9 src0_sel:BYTE_0 src1_sel:DWORD
	v_mov_b32_e32 v58, 0xffff8000
	s_and_saveexec_b64 s[14:15], s[16:17]
	s_cbranch_execz .LBB912_244
; %bb.241:                              ;   in Loop: Header=BB912_215 Depth=1
	v_and_b32_e32 v36, 0x7f, v34
	v_cmp_ne_u32_e32 vcc, s21, v36
	v_mov_b32_e32 v58, 0x7f80
	s_and_saveexec_b64 s[16:17], vcc
	s_cbranch_execz .LBB912_243
; %bb.242:                              ;   in Loop: Header=BB912_215 Depth=1
	v_and_b32_e32 v42, 7, v34
	v_ffbh_u32_e32 v58, v42
	v_min_u32_e32 v58, 32, v58
	v_subrev_u32_e32 v60, 28, v58
	v_lshlrev_b64 v[60:61], v60, v[34:35]
	v_lshrrev_b32_e32 v44, 3, v36
	v_sub_u32_e32 v58, 29, v58
	v_and_b32_e32 v60, 7, v60
	v_cmp_gt_u32_e32 vcc, 8, v36
	v_cndmask_b32_e32 v36, v44, v58, vcc
	v_cndmask_b32_e32 v42, v42, v60, vcc
	v_lshlrev_b32_e32 v44, 24, v34
	v_lshlrev_b32_e32 v42, 20, v42
	v_and_b32_e32 v44, 0x80000000, v44
	v_lshl_add_u32 v36, v36, 23, v56
	v_or3_b32 v36, v44, v36, v42
	v_lshrrev_b32_e32 v58, 16, v36
.LBB912_243:                            ;   in Loop: Header=BB912_215 Depth=1
	s_or_b64 exec, exec, s[16:17]
.LBB912_244:                            ;   in Loop: Header=BB912_215 Depth=1
	s_or_b64 exec, exec, s[14:15]
.LBB912_245:                            ;   in Loop: Header=BB912_215 Depth=1
	s_or_b64 exec, exec, s[12:13]
	v_lshrrev_b16_e32 v36, 8, v34
	v_cmp_ne_u16_e32 vcc, 0, v36
	v_mov_b32_e32 v60, 0
	v_mov_b32_e32 v42, 0
	s_and_saveexec_b64 s[12:13], vcc
	s_cbranch_execz .LBB912_251
; %bb.246:                              ;   in Loop: Header=BB912_215 Depth=1
	v_cmp_ne_u16_e32 vcc, s9, v36
	v_mov_b32_e32 v42, 0xffff8000
	s_and_saveexec_b64 s[14:15], vcc
	s_cbranch_execz .LBB912_250
; %bb.247:                              ;   in Loop: Header=BB912_215 Depth=1
	v_and_b32_e32 v44, 0x7f, v36
	v_cmp_ne_u32_e32 vcc, s21, v44
	v_mov_b32_e32 v42, 0x7f80
	s_and_saveexec_b64 s[16:17], vcc
	s_cbranch_execz .LBB912_249
; %bb.248:                              ;   in Loop: Header=BB912_215 Depth=1
	v_and_b32_e32 v42, 7, v36
	v_ffbh_u32_e32 v62, v42
	v_min_u32_e32 v64, 32, v62
	v_subrev_u32_e32 v62, 28, v64
	v_lshlrev_b64 v[62:63], v62, v[36:37]
	v_lshrrev_b32_e32 v61, 3, v44
	v_sub_u32_e32 v36, 29, v64
	v_and_b32_e32 v62, 7, v62
	v_cmp_gt_u32_e32 vcc, 8, v44
	v_cndmask_b32_e32 v36, v61, v36, vcc
	v_cndmask_b32_e32 v42, v42, v62, vcc
	v_lshlrev_b32_e32 v44, 16, v34
	v_lshlrev_b32_e32 v42, 20, v42
	v_and_b32_e32 v44, 0x80000000, v44
	v_lshl_add_u32 v36, v36, 23, v56
	v_or3_b32 v36, v44, v36, v42
	v_lshrrev_b32_e32 v42, 16, v36
.LBB912_249:                            ;   in Loop: Header=BB912_215 Depth=1
	s_or_b64 exec, exec, s[16:17]
.LBB912_250:                            ;   in Loop: Header=BB912_215 Depth=1
	s_or_b64 exec, exec, s[14:15]
.LBB912_251:                            ;   in Loop: Header=BB912_215 Depth=1
	s_or_b64 exec, exec, s[12:13]
	v_lshrrev_b32_e32 v36, 16, v34
	v_cmp_ne_u16_sdwa s[14:15], v36, v55 src0_sel:BYTE_0 src1_sel:DWORD
	s_and_saveexec_b64 s[12:13], s[14:15]
	s_cbranch_execz .LBB912_257
; %bb.252:                              ;   in Loop: Header=BB912_215 Depth=1
	v_cmp_ne_u16_sdwa s[16:17], v36, s9 src0_sel:BYTE_0 src1_sel:DWORD
	v_mov_b32_e32 v60, 0xffff8000
	s_and_saveexec_b64 s[14:15], s[16:17]
	s_cbranch_execz .LBB912_256
; %bb.253:                              ;   in Loop: Header=BB912_215 Depth=1
	v_bfe_u32 v44, v34, 16, 7
	v_cmp_ne_u32_e32 vcc, s21, v44
	v_mov_b32_e32 v60, 0x7f80
	s_and_saveexec_b64 s[16:17], vcc
	s_cbranch_execz .LBB912_255
; %bb.254:                              ;   in Loop: Header=BB912_215 Depth=1
	v_and_b32_e32 v62, 7, v36
	v_ffbh_u32_e32 v60, v62
	v_min_u32_e32 v64, 32, v60
	v_subrev_u32_e32 v60, 28, v64
	v_lshlrev_b64 v[60:61], v60, v[36:37]
	v_lshrrev_b32_e32 v63, 3, v44
	v_sub_u32_e32 v61, 29, v64
	v_and_b32_e32 v60, 7, v60
	v_cmp_gt_u32_e32 vcc, 8, v44
	v_cndmask_b32_e32 v44, v63, v61, vcc
	v_cndmask_b32_e32 v60, v62, v60, vcc
	v_lshlrev_b32_e32 v36, 24, v36
	v_lshlrev_b32_e32 v60, 20, v60
	v_and_b32_e32 v36, 0x80000000, v36
	v_lshl_add_u32 v44, v44, 23, v56
	v_or3_b32 v36, v36, v44, v60
	v_lshrrev_b32_e32 v60, 16, v36
.LBB912_255:                            ;   in Loop: Header=BB912_215 Depth=1
	s_or_b64 exec, exec, s[16:17]
.LBB912_256:                            ;   in Loop: Header=BB912_215 Depth=1
	s_or_b64 exec, exec, s[14:15]
.LBB912_257:                            ;   in Loop: Header=BB912_215 Depth=1
	s_or_b64 exec, exec, s[12:13]
	v_cmp_lt_u32_e32 vcc, s22, v34
	v_mov_b32_e32 v44, 0
	v_mov_b32_e32 v61, 0
	s_and_saveexec_b64 s[12:13], vcc
	s_cbranch_execz .LBB912_263
; %bb.258:                              ;   in Loop: Header=BB912_215 Depth=1
	v_lshrrev_b32_e32 v36, 24, v34
	v_cmp_ne_u32_e32 vcc, s9, v36
	v_mov_b32_e32 v61, 0xffff8000
	s_and_saveexec_b64 s[14:15], vcc
	s_cbranch_execz .LBB912_262
; %bb.259:                              ;   in Loop: Header=BB912_215 Depth=1
	v_bfe_u32 v34, v34, 24, 7
	v_cmp_ne_u32_e32 vcc, s21, v34
	v_mov_b32_e32 v61, 0x7f80
	s_and_saveexec_b64 s[16:17], vcc
	s_cbranch_execz .LBB912_261
; %bb.260:                              ;   in Loop: Header=BB912_215 Depth=1
	v_and_b32_e32 v61, 7, v36
	v_ffbh_u32_e32 v62, v61
	v_min_u32_e32 v65, 32, v62
	v_subrev_u32_e32 v62, 28, v65
	v_lshlrev_b64 v[62:63], v62, v[36:37]
	v_lshrrev_b32_e32 v64, 3, v34
	v_sub_u32_e32 v63, 29, v65
	v_and_b32_e32 v62, 7, v62
	v_cmp_gt_u32_e32 vcc, 8, v34
	v_cndmask_b32_e32 v34, v64, v63, vcc
	v_cndmask_b32_e32 v61, v61, v62, vcc
	v_lshlrev_b32_e32 v36, 24, v36
	v_lshlrev_b32_e32 v61, 20, v61
	v_and_b32_e32 v36, 0x80000000, v36
	v_lshl_add_u32 v34, v34, 23, v56
	v_or3_b32 v34, v36, v34, v61
	v_lshrrev_b32_e32 v61, 16, v34
.LBB912_261:                            ;   in Loop: Header=BB912_215 Depth=1
	s_or_b64 exec, exec, s[16:17]
.LBB912_262:                            ;   in Loop: Header=BB912_215 Depth=1
	s_or_b64 exec, exec, s[14:15]
.LBB912_263:                            ;   in Loop: Header=BB912_215 Depth=1
	s_or_b64 exec, exec, s[12:13]
	v_perm_b32 v63, v59, v57, s23
	v_perm_b32 v62, v37, v35, s23
	v_perm_b32 v59, v61, v60, s23
	v_perm_b32 v58, v42, v58, s23
	s_waitcnt vmcnt(1)
	v_cmp_ne_u16_sdwa s[14:15], v40, v55 src0_sel:BYTE_0 src1_sel:DWORD
	v_mfma_f32_16x16x16bf16_1k v[34:37], v[62:63], v[2:3], 0
	v_mfma_f32_16x16x16bf16_1k v[34:37], v[58:59], v[4:5], v[34:37]
	s_and_saveexec_b64 s[12:13], s[14:15]
	s_cbranch_execz .LBB912_269
; %bb.264:                              ;   in Loop: Header=BB912_215 Depth=1
	v_cmp_ne_u16_sdwa s[16:17], v40, s9 src0_sel:BYTE_0 src1_sel:DWORD
	v_mov_b32_e32 v44, 0xffff8000
	s_and_saveexec_b64 s[14:15], s[16:17]
	s_cbranch_execz .LBB912_268
; %bb.265:                              ;   in Loop: Header=BB912_215 Depth=1
	v_and_b32_e32 v42, 0x7f, v40
	v_cmp_ne_u32_e32 vcc, s21, v42
	v_mov_b32_e32 v44, 0x7f80
	s_and_saveexec_b64 s[16:17], vcc
	s_cbranch_execz .LBB912_267
; %bb.266:                              ;   in Loop: Header=BB912_215 Depth=1
	v_and_b32_e32 v44, 7, v40
	v_ffbh_u32_e32 v58, v44
	v_min_u32_e32 v60, 32, v58
	v_subrev_u32_e32 v58, 28, v60
	v_lshlrev_b64 v[58:59], v58, v[40:41]
	v_lshrrev_b32_e32 v57, 3, v42
	v_sub_u32_e32 v59, 29, v60
	v_and_b32_e32 v58, 7, v58
	v_cmp_gt_u32_e32 vcc, 8, v42
	v_cndmask_b32_e32 v42, v57, v59, vcc
	v_cndmask_b32_e32 v44, v44, v58, vcc
	v_lshlrev_b32_e32 v57, 24, v40
	v_lshlrev_b32_e32 v44, 20, v44
	v_and_b32_e32 v57, 0x80000000, v57
	v_lshl_add_u32 v42, v42, 23, v56
	v_or3_b32 v42, v57, v42, v44
	v_lshrrev_b32_e32 v44, 16, v42
.LBB912_267:                            ;   in Loop: Header=BB912_215 Depth=1
	s_or_b64 exec, exec, s[16:17]
.LBB912_268:                            ;   in Loop: Header=BB912_215 Depth=1
	s_or_b64 exec, exec, s[14:15]
.LBB912_269:                            ;   in Loop: Header=BB912_215 Depth=1
	s_or_b64 exec, exec, s[12:13]
	v_lshrrev_b16_e32 v42, 8, v40
	v_cmp_ne_u16_e32 vcc, 0, v42
	v_mov_b32_e32 v59, 0
	v_mov_b32_e32 v58, 0
	s_and_saveexec_b64 s[12:13], vcc
	s_cbranch_execz .LBB912_275
; %bb.270:                              ;   in Loop: Header=BB912_215 Depth=1
	v_cmp_ne_u16_e32 vcc, s9, v42
	v_mov_b32_e32 v58, 0xffff8000
	s_and_saveexec_b64 s[14:15], vcc
	s_cbranch_execz .LBB912_274
; %bb.271:                              ;   in Loop: Header=BB912_215 Depth=1
	v_and_b32_e32 v57, 0x7f, v42
	v_cmp_ne_u32_e32 vcc, s21, v57
	v_mov_b32_e32 v58, 0x7f80
	s_and_saveexec_b64 s[16:17], vcc
	s_cbranch_execz .LBB912_273
; %bb.272:                              ;   in Loop: Header=BB912_215 Depth=1
	v_and_b32_e32 v58, 7, v42
	v_ffbh_u32_e32 v60, v58
	v_min_u32_e32 v63, 32, v60
	v_subrev_u32_e32 v60, 28, v63
	v_lshlrev_b64 v[60:61], v60, v[42:43]
	v_lshrrev_b32_e32 v62, 3, v57
	v_sub_u32_e32 v42, 29, v63
	v_and_b32_e32 v60, 7, v60
	v_cmp_gt_u32_e32 vcc, 8, v57
	v_cndmask_b32_e32 v42, v62, v42, vcc
	v_cndmask_b32_e32 v57, v58, v60, vcc
	v_lshlrev_b32_e32 v58, 16, v40
	v_lshlrev_b32_e32 v57, 20, v57
	v_and_b32_e32 v58, 0x80000000, v58
	v_lshl_add_u32 v42, v42, 23, v56
	v_or3_b32 v42, v58, v42, v57
	v_lshrrev_b32_e32 v58, 16, v42
.LBB912_273:                            ;   in Loop: Header=BB912_215 Depth=1
	s_or_b64 exec, exec, s[16:17]
.LBB912_274:                            ;   in Loop: Header=BB912_215 Depth=1
	s_or_b64 exec, exec, s[14:15]
.LBB912_275:                            ;   in Loop: Header=BB912_215 Depth=1
	s_or_b64 exec, exec, s[12:13]
	v_lshrrev_b32_e32 v42, 16, v40
	v_cmp_ne_u16_sdwa s[14:15], v42, v55 src0_sel:BYTE_0 src1_sel:DWORD
	s_and_saveexec_b64 s[12:13], s[14:15]
	s_cbranch_execz .LBB912_281
; %bb.276:                              ;   in Loop: Header=BB912_215 Depth=1
	v_cmp_ne_u16_sdwa s[16:17], v42, s9 src0_sel:BYTE_0 src1_sel:DWORD
	v_mov_b32_e32 v59, 0xffff8000
	s_and_saveexec_b64 s[14:15], s[16:17]
	s_cbranch_execz .LBB912_280
; %bb.277:                              ;   in Loop: Header=BB912_215 Depth=1
	v_bfe_u32 v57, v40, 16, 7
	v_cmp_ne_u32_e32 vcc, s21, v57
	v_mov_b32_e32 v59, 0x7f80
	s_and_saveexec_b64 s[16:17], vcc
	s_cbranch_execz .LBB912_279
; %bb.278:                              ;   in Loop: Header=BB912_215 Depth=1
	v_and_b32_e32 v59, 7, v42
	v_ffbh_u32_e32 v60, v59
	v_min_u32_e32 v63, 32, v60
	v_subrev_u32_e32 v60, 28, v63
	v_lshlrev_b64 v[60:61], v60, v[42:43]
	v_lshrrev_b32_e32 v62, 3, v57
	v_sub_u32_e32 v61, 29, v63
	v_and_b32_e32 v60, 7, v60
	v_cmp_gt_u32_e32 vcc, 8, v57
	v_cndmask_b32_e32 v57, v62, v61, vcc
	v_cndmask_b32_e32 v59, v59, v60, vcc
	v_lshlrev_b32_e32 v42, 24, v42
	v_lshlrev_b32_e32 v59, 20, v59
	v_and_b32_e32 v42, 0x80000000, v42
	v_lshl_add_u32 v57, v57, 23, v56
	v_or3_b32 v42, v42, v57, v59
	v_lshrrev_b32_e32 v59, 16, v42
.LBB912_279:                            ;   in Loop: Header=BB912_215 Depth=1
	s_or_b64 exec, exec, s[16:17]
.LBB912_280:                            ;   in Loop: Header=BB912_215 Depth=1
	s_or_b64 exec, exec, s[14:15]
.LBB912_281:                            ;   in Loop: Header=BB912_215 Depth=1
	s_or_b64 exec, exec, s[12:13]
	v_cmp_lt_u32_e32 vcc, s22, v40
	v_mov_b32_e32 v60, 0
	v_mov_b32_e32 v61, 0
	s_and_saveexec_b64 s[12:13], vcc
	s_cbranch_execz .LBB912_287
; %bb.282:                              ;   in Loop: Header=BB912_215 Depth=1
	v_lshrrev_b32_e32 v42, 24, v40
	v_cmp_ne_u32_e32 vcc, s9, v42
	v_mov_b32_e32 v61, 0xffff8000
	s_and_saveexec_b64 s[14:15], vcc
	s_cbranch_execz .LBB912_286
; %bb.283:                              ;   in Loop: Header=BB912_215 Depth=1
	v_bfe_u32 v40, v40, 24, 7
	v_cmp_ne_u32_e32 vcc, s21, v40
	v_mov_b32_e32 v61, 0x7f80
	s_and_saveexec_b64 s[16:17], vcc
	s_cbranch_execz .LBB912_285
; %bb.284:                              ;   in Loop: Header=BB912_215 Depth=1
	v_and_b32_e32 v57, 7, v42
	v_ffbh_u32_e32 v62, v57
	v_min_u32_e32 v64, 32, v62
	v_subrev_u32_e32 v62, 28, v64
	v_lshlrev_b64 v[62:63], v62, v[42:43]
	v_lshrrev_b32_e32 v61, 3, v40
	v_sub_u32_e32 v63, 29, v64
	v_and_b32_e32 v62, 7, v62
	v_cmp_gt_u32_e32 vcc, 8, v40
	v_cndmask_b32_e32 v40, v61, v63, vcc
	v_cndmask_b32_e32 v57, v57, v62, vcc
	v_lshlrev_b32_e32 v42, 24, v42
	v_lshlrev_b32_e32 v57, 20, v57
	v_and_b32_e32 v42, 0x80000000, v42
	v_lshl_add_u32 v40, v40, 23, v56
	v_or3_b32 v40, v42, v40, v57
	v_lshrrev_b32_e32 v61, 16, v40
.LBB912_285:                            ;   in Loop: Header=BB912_215 Depth=1
	s_or_b64 exec, exec, s[16:17]
.LBB912_286:                            ;   in Loop: Header=BB912_215 Depth=1
	s_or_b64 exec, exec, s[14:15]
.LBB912_287:                            ;   in Loop: Header=BB912_215 Depth=1
	s_or_b64 exec, exec, s[12:13]
	s_waitcnt vmcnt(0)
	v_cmp_ne_u16_sdwa s[14:15], v38, v55 src0_sel:BYTE_0 src1_sel:DWORD
	s_and_saveexec_b64 s[12:13], s[14:15]
	s_cbranch_execz .LBB912_293
; %bb.288:                              ;   in Loop: Header=BB912_215 Depth=1
	v_cmp_ne_u16_sdwa s[16:17], v38, s9 src0_sel:BYTE_0 src1_sel:DWORD
	v_mov_b32_e32 v60, 0xffff8000
	s_and_saveexec_b64 s[14:15], s[16:17]
	s_cbranch_execz .LBB912_292
; %bb.289:                              ;   in Loop: Header=BB912_215 Depth=1
	v_and_b32_e32 v40, 0x7f, v38
	v_cmp_ne_u32_e32 vcc, s21, v40
	v_mov_b32_e32 v60, 0x7f80
	s_and_saveexec_b64 s[16:17], vcc
	s_cbranch_execz .LBB912_291
; %bb.290:                              ;   in Loop: Header=BB912_215 Depth=1
	v_and_b32_e32 v42, 7, v38
	v_ffbh_u32_e32 v60, v42
	v_min_u32_e32 v60, 32, v60
	v_subrev_u32_e32 v62, 28, v60
	v_lshlrev_b64 v[62:63], v62, v[38:39]
	v_lshrrev_b32_e32 v57, 3, v40
	v_sub_u32_e32 v60, 29, v60
	v_and_b32_e32 v62, 7, v62
	v_cmp_gt_u32_e32 vcc, 8, v40
	v_cndmask_b32_e32 v40, v57, v60, vcc
	v_cndmask_b32_e32 v42, v42, v62, vcc
	v_lshlrev_b32_e32 v57, 24, v38
	v_lshlrev_b32_e32 v42, 20, v42
	v_and_b32_e32 v57, 0x80000000, v57
	v_lshl_add_u32 v40, v40, 23, v56
	v_or3_b32 v40, v57, v40, v42
	v_lshrrev_b32_e32 v60, 16, v40
.LBB912_291:                            ;   in Loop: Header=BB912_215 Depth=1
	s_or_b64 exec, exec, s[16:17]
.LBB912_292:                            ;   in Loop: Header=BB912_215 Depth=1
	s_or_b64 exec, exec, s[14:15]
.LBB912_293:                            ;   in Loop: Header=BB912_215 Depth=1
	s_or_b64 exec, exec, s[12:13]
	v_lshrrev_b16_e32 v40, 8, v38
	v_cmp_ne_u16_e32 vcc, 0, v40
	v_mov_b32_e32 v63, 0
	v_mov_b32_e32 v62, 0
	s_and_saveexec_b64 s[12:13], vcc
	s_cbranch_execz .LBB912_299
; %bb.294:                              ;   in Loop: Header=BB912_215 Depth=1
	v_cmp_ne_u16_e32 vcc, s9, v40
	v_mov_b32_e32 v62, 0xffff8000
	s_and_saveexec_b64 s[14:15], vcc
	s_cbranch_execz .LBB912_298
; %bb.295:                              ;   in Loop: Header=BB912_215 Depth=1
	v_and_b32_e32 v42, 0x7f, v40
	v_cmp_ne_u32_e32 vcc, s21, v42
	v_mov_b32_e32 v62, 0x7f80
	s_and_saveexec_b64 s[16:17], vcc
	s_cbranch_execz .LBB912_297
; %bb.296:                              ;   in Loop: Header=BB912_215 Depth=1
	v_and_b32_e32 v57, 7, v40
	v_ffbh_u32_e32 v64, v57
	v_min_u32_e32 v66, 32, v64
	v_subrev_u32_e32 v64, 28, v66
	v_lshlrev_b64 v[64:65], v64, v[40:41]
	v_lshrrev_b32_e32 v62, 3, v42
	v_sub_u32_e32 v40, 29, v66
	v_and_b32_e32 v64, 7, v64
	v_cmp_gt_u32_e32 vcc, 8, v42
	v_cndmask_b32_e32 v40, v62, v40, vcc
	v_cndmask_b32_e32 v42, v57, v64, vcc
	v_lshlrev_b32_e32 v57, 16, v38
	v_lshlrev_b32_e32 v42, 20, v42
	v_and_b32_e32 v57, 0x80000000, v57
	v_lshl_add_u32 v40, v40, 23, v56
	v_or3_b32 v40, v57, v40, v42
	v_lshrrev_b32_e32 v62, 16, v40
.LBB912_297:                            ;   in Loop: Header=BB912_215 Depth=1
	s_or_b64 exec, exec, s[16:17]
.LBB912_298:                            ;   in Loop: Header=BB912_215 Depth=1
	s_or_b64 exec, exec, s[14:15]
.LBB912_299:                            ;   in Loop: Header=BB912_215 Depth=1
	s_or_b64 exec, exec, s[12:13]
	v_lshrrev_b32_e32 v40, 16, v38
	v_cmp_ne_u16_sdwa s[14:15], v40, v55 src0_sel:BYTE_0 src1_sel:DWORD
	s_and_saveexec_b64 s[12:13], s[14:15]
	s_cbranch_execz .LBB912_305
; %bb.300:                              ;   in Loop: Header=BB912_215 Depth=1
	v_cmp_ne_u16_sdwa s[16:17], v40, s9 src0_sel:BYTE_0 src1_sel:DWORD
	v_mov_b32_e32 v63, 0xffff8000
	s_and_saveexec_b64 s[14:15], s[16:17]
	s_cbranch_execz .LBB912_304
; %bb.301:                              ;   in Loop: Header=BB912_215 Depth=1
	v_bfe_u32 v42, v38, 16, 7
	v_cmp_ne_u32_e32 vcc, s21, v42
	v_mov_b32_e32 v63, 0x7f80
	s_and_saveexec_b64 s[16:17], vcc
	s_cbranch_execz .LBB912_303
; %bb.302:                              ;   in Loop: Header=BB912_215 Depth=1
	v_and_b32_e32 v57, 7, v40
	v_ffbh_u32_e32 v64, v57
	v_min_u32_e32 v66, 32, v64
	v_subrev_u32_e32 v64, 28, v66
	v_lshlrev_b64 v[64:65], v64, v[40:41]
	v_lshrrev_b32_e32 v63, 3, v42
	v_sub_u32_e32 v65, 29, v66
	v_and_b32_e32 v64, 7, v64
	v_cmp_gt_u32_e32 vcc, 8, v42
	v_cndmask_b32_e32 v42, v63, v65, vcc
	v_cndmask_b32_e32 v57, v57, v64, vcc
	v_lshlrev_b32_e32 v40, 24, v40
	v_lshlrev_b32_e32 v57, 20, v57
	v_and_b32_e32 v40, 0x80000000, v40
	v_lshl_add_u32 v42, v42, 23, v56
	v_or3_b32 v40, v40, v42, v57
	v_lshrrev_b32_e32 v63, 16, v40
.LBB912_303:                            ;   in Loop: Header=BB912_215 Depth=1
	s_or_b64 exec, exec, s[16:17]
.LBB912_304:                            ;   in Loop: Header=BB912_215 Depth=1
	s_or_b64 exec, exec, s[14:15]
.LBB912_305:                            ;   in Loop: Header=BB912_215 Depth=1
	s_or_b64 exec, exec, s[12:13]
	v_cmp_lt_u32_e32 vcc, s22, v38
	v_mov_b32_e32 v57, 0
	v_mov_b32_e32 v64, 0
	s_and_saveexec_b64 s[12:13], vcc
	s_cbranch_execz .LBB912_311
; %bb.306:                              ;   in Loop: Header=BB912_215 Depth=1
	v_lshrrev_b32_e32 v40, 24, v38
	v_cmp_ne_u32_e32 vcc, s9, v40
	v_mov_b32_e32 v64, 0xffff8000
	s_and_saveexec_b64 s[14:15], vcc
	s_cbranch_execz .LBB912_310
; %bb.307:                              ;   in Loop: Header=BB912_215 Depth=1
	v_bfe_u32 v38, v38, 24, 7
	v_cmp_ne_u32_e32 vcc, s21, v38
	v_mov_b32_e32 v64, 0x7f80
	s_and_saveexec_b64 s[16:17], vcc
	s_cbranch_execz .LBB912_309
; %bb.308:                              ;   in Loop: Header=BB912_215 Depth=1
	v_and_b32_e32 v42, 7, v40
	v_ffbh_u32_e32 v64, v42
	v_min_u32_e32 v67, 32, v64
	v_subrev_u32_e32 v64, 28, v67
	v_lshlrev_b64 v[64:65], v64, v[40:41]
	v_lshrrev_b32_e32 v66, 3, v38
	v_sub_u32_e32 v65, 29, v67
	v_and_b32_e32 v64, 7, v64
	v_cmp_gt_u32_e32 vcc, 8, v38
	v_cndmask_b32_e32 v38, v66, v65, vcc
	v_cndmask_b32_e32 v42, v42, v64, vcc
	v_lshlrev_b32_e32 v40, 24, v40
	v_lshlrev_b32_e32 v42, 20, v42
	v_and_b32_e32 v40, 0x80000000, v40
	v_lshl_add_u32 v38, v38, 23, v56
	v_or3_b32 v38, v40, v38, v42
	v_lshrrev_b32_e32 v64, 16, v38
.LBB912_309:                            ;   in Loop: Header=BB912_215 Depth=1
	s_or_b64 exec, exec, s[16:17]
.LBB912_310:                            ;   in Loop: Header=BB912_215 Depth=1
	s_or_b64 exec, exec, s[14:15]
.LBB912_311:                            ;   in Loop: Header=BB912_215 Depth=1
	s_or_b64 exec, exec, s[12:13]
	v_perm_b32 v58, v58, v44, s23
	buffer_load_dword v44, v46, s[0:3], 0 offen
	buffer_load_dword v42, v46, s[0:3], 0 offen offset:4
	buffer_load_dword v40, v46, s[0:3], 0 offen offset:8
	buffer_load_dword v38, v46, s[0:3], 0 offen offset:12
	v_perm_b32 v59, v61, v59, s23
	s_waitcnt vmcnt(3)
	v_cmp_ne_u16_sdwa s[14:15], v44, v55 src0_sel:BYTE_0 src1_sel:DWORD
	v_mfma_f32_16x16x16bf16_1k v[34:37], v[58:59], v[6:7], v[34:37]
	v_perm_b32 v59, v64, v63, s23
	v_perm_b32 v58, v62, v60, s23
	s_nop 1
	v_mfma_f32_16x16x16bf16_1k v[34:37], v[58:59], v[8:9], v[34:37]
	s_and_saveexec_b64 s[12:13], s[14:15]
	s_cbranch_execz .LBB912_317
; %bb.312:                              ;   in Loop: Header=BB912_215 Depth=1
	v_cmp_ne_u16_sdwa s[16:17], v44, s9 src0_sel:BYTE_0 src1_sel:DWORD
	v_mov_b32_e32 v57, 0xffff8000
	s_and_saveexec_b64 s[14:15], s[16:17]
	s_cbranch_execz .LBB912_316
; %bb.313:                              ;   in Loop: Header=BB912_215 Depth=1
	v_and_b32_e32 v46, 0x7f, v44
	v_cmp_ne_u32_e32 vcc, s21, v46
	v_mov_b32_e32 v57, 0x7f80
	s_and_saveexec_b64 s[16:17], vcc
	s_cbranch_execz .LBB912_315
; %bb.314:                              ;   in Loop: Header=BB912_215 Depth=1
	v_and_b32_e32 v57, 7, v44
	v_ffbh_u32_e32 v58, v57
	v_min_u32_e32 v61, 32, v58
	v_subrev_u32_e32 v58, 28, v61
	v_lshlrev_b64 v[58:59], v58, v[44:45]
	v_lshrrev_b32_e32 v60, 3, v46
	v_sub_u32_e32 v59, 29, v61
	v_and_b32_e32 v58, 7, v58
	v_cmp_gt_u32_e32 vcc, 8, v46
	v_cndmask_b32_e32 v46, v60, v59, vcc
	v_cndmask_b32_e32 v57, v57, v58, vcc
	v_lshlrev_b32_e32 v58, 24, v44
	v_lshlrev_b32_e32 v57, 20, v57
	v_and_b32_e32 v58, 0x80000000, v58
	v_lshl_add_u32 v46, v46, 23, v56
	v_or3_b32 v46, v58, v46, v57
	v_lshrrev_b32_e32 v57, 16, v46
.LBB912_315:                            ;   in Loop: Header=BB912_215 Depth=1
	s_or_b64 exec, exec, s[16:17]
.LBB912_316:                            ;   in Loop: Header=BB912_215 Depth=1
	s_or_b64 exec, exec, s[14:15]
.LBB912_317:                            ;   in Loop: Header=BB912_215 Depth=1
	s_or_b64 exec, exec, s[12:13]
	v_lshrrev_b16_e32 v46, 8, v44
	v_cmp_ne_u16_e32 vcc, 0, v46
	v_mov_b32_e32 v59, 0
	v_mov_b32_e32 v58, 0
	s_and_saveexec_b64 s[12:13], vcc
	s_cbranch_execz .LBB912_323
; %bb.318:                              ;   in Loop: Header=BB912_215 Depth=1
	v_cmp_ne_u16_e32 vcc, s9, v46
	v_mov_b32_e32 v58, 0xffff8000
	s_and_saveexec_b64 s[14:15], vcc
	s_cbranch_execz .LBB912_322
; %bb.319:                              ;   in Loop: Header=BB912_215 Depth=1
	v_and_b32_e32 v60, 0x7f, v46
	v_cmp_ne_u32_e32 vcc, s21, v60
	v_mov_b32_e32 v58, 0x7f80
	s_and_saveexec_b64 s[16:17], vcc
	s_cbranch_execz .LBB912_321
; %bb.320:                              ;   in Loop: Header=BB912_215 Depth=1
	v_and_b32_e32 v58, 7, v46
	v_ffbh_u32_e32 v62, v58
	v_min_u32_e32 v64, 32, v62
	v_subrev_u32_e32 v62, 28, v64
	v_lshlrev_b64 v[62:63], v62, v[46:47]
	v_lshrrev_b32_e32 v61, 3, v60
	v_sub_u32_e32 v46, 29, v64
	v_and_b32_e32 v62, 7, v62
	v_cmp_gt_u32_e32 vcc, 8, v60
	v_cndmask_b32_e32 v46, v61, v46, vcc
	v_cndmask_b32_e32 v58, v58, v62, vcc
	v_lshlrev_b32_e32 v60, 16, v44
	v_lshlrev_b32_e32 v58, 20, v58
	v_and_b32_e32 v60, 0x80000000, v60
	v_lshl_add_u32 v46, v46, 23, v56
	v_or3_b32 v46, v60, v46, v58
	v_lshrrev_b32_e32 v58, 16, v46
.LBB912_321:                            ;   in Loop: Header=BB912_215 Depth=1
	s_or_b64 exec, exec, s[16:17]
.LBB912_322:                            ;   in Loop: Header=BB912_215 Depth=1
	s_or_b64 exec, exec, s[14:15]
.LBB912_323:                            ;   in Loop: Header=BB912_215 Depth=1
	s_or_b64 exec, exec, s[12:13]
	v_lshrrev_b32_e32 v46, 16, v44
	v_cmp_ne_u16_sdwa s[14:15], v46, v55 src0_sel:BYTE_0 src1_sel:DWORD
	s_and_saveexec_b64 s[12:13], s[14:15]
	s_cbranch_execz .LBB912_329
; %bb.324:                              ;   in Loop: Header=BB912_215 Depth=1
	v_cmp_ne_u16_sdwa s[16:17], v46, s9 src0_sel:BYTE_0 src1_sel:DWORD
	v_mov_b32_e32 v59, 0xffff8000
	s_and_saveexec_b64 s[14:15], s[16:17]
	s_cbranch_execz .LBB912_328
; %bb.325:                              ;   in Loop: Header=BB912_215 Depth=1
	v_bfe_u32 v60, v44, 16, 7
	v_cmp_ne_u32_e32 vcc, s21, v60
	v_mov_b32_e32 v59, 0x7f80
	s_and_saveexec_b64 s[16:17], vcc
	s_cbranch_execz .LBB912_327
; %bb.326:                              ;   in Loop: Header=BB912_215 Depth=1
	v_and_b32_e32 v59, 7, v46
	v_ffbh_u32_e32 v62, v59
	v_min_u32_e32 v64, 32, v62
	v_subrev_u32_e32 v62, 28, v64
	v_lshlrev_b64 v[62:63], v62, v[46:47]
	v_lshrrev_b32_e32 v61, 3, v60
	v_sub_u32_e32 v63, 29, v64
	v_and_b32_e32 v62, 7, v62
	v_cmp_gt_u32_e32 vcc, 8, v60
	v_cndmask_b32_e32 v60, v61, v63, vcc
	v_cndmask_b32_e32 v59, v59, v62, vcc
	v_lshlrev_b32_e32 v46, 24, v46
	v_lshlrev_b32_e32 v59, 20, v59
	v_and_b32_e32 v46, 0x80000000, v46
	v_lshl_add_u32 v60, v60, 23, v56
	v_or3_b32 v46, v46, v60, v59
	v_lshrrev_b32_e32 v59, 16, v46
.LBB912_327:                            ;   in Loop: Header=BB912_215 Depth=1
	s_or_b64 exec, exec, s[16:17]
.LBB912_328:                            ;   in Loop: Header=BB912_215 Depth=1
	s_or_b64 exec, exec, s[14:15]
.LBB912_329:                            ;   in Loop: Header=BB912_215 Depth=1
	s_or_b64 exec, exec, s[12:13]
	v_cmp_lt_u32_e32 vcc, s22, v44
	v_mov_b32_e32 v60, 0
	v_mov_b32_e32 v61, 0
	s_and_saveexec_b64 s[12:13], vcc
	s_cbranch_execz .LBB912_335
; %bb.330:                              ;   in Loop: Header=BB912_215 Depth=1
	v_lshrrev_b32_e32 v46, 24, v44
	v_cmp_ne_u32_e32 vcc, s9, v46
	v_mov_b32_e32 v61, 0xffff8000
	s_and_saveexec_b64 s[14:15], vcc
	s_cbranch_execz .LBB912_334
; %bb.331:                              ;   in Loop: Header=BB912_215 Depth=1
	v_bfe_u32 v44, v44, 24, 7
	v_cmp_ne_u32_e32 vcc, s21, v44
	v_mov_b32_e32 v61, 0x7f80
	s_and_saveexec_b64 s[16:17], vcc
	s_cbranch_execz .LBB912_333
; %bb.332:                              ;   in Loop: Header=BB912_215 Depth=1
	v_and_b32_e32 v61, 7, v46
	v_ffbh_u32_e32 v62, v61
	v_min_u32_e32 v65, 32, v62
	v_subrev_u32_e32 v62, 28, v65
	v_lshlrev_b64 v[62:63], v62, v[46:47]
	v_lshrrev_b32_e32 v64, 3, v44
	v_sub_u32_e32 v63, 29, v65
	v_and_b32_e32 v62, 7, v62
	v_cmp_gt_u32_e32 vcc, 8, v44
	v_cndmask_b32_e32 v44, v64, v63, vcc
	v_cndmask_b32_e32 v61, v61, v62, vcc
	v_lshlrev_b32_e32 v46, 24, v46
	v_lshlrev_b32_e32 v61, 20, v61
	v_and_b32_e32 v46, 0x80000000, v46
	v_lshl_add_u32 v44, v44, 23, v56
	v_or3_b32 v44, v46, v44, v61
	v_lshrrev_b32_e32 v61, 16, v44
.LBB912_333:                            ;   in Loop: Header=BB912_215 Depth=1
	s_or_b64 exec, exec, s[16:17]
.LBB912_334:                            ;   in Loop: Header=BB912_215 Depth=1
	s_or_b64 exec, exec, s[14:15]
.LBB912_335:                            ;   in Loop: Header=BB912_215 Depth=1
	s_or_b64 exec, exec, s[12:13]
	s_waitcnt vmcnt(2)
	v_cmp_ne_u16_sdwa s[14:15], v42, v55 src0_sel:BYTE_0 src1_sel:DWORD
	s_and_saveexec_b64 s[12:13], s[14:15]
	s_cbranch_execz .LBB912_341
; %bb.336:                              ;   in Loop: Header=BB912_215 Depth=1
	v_cmp_ne_u16_sdwa s[16:17], v42, s9 src0_sel:BYTE_0 src1_sel:DWORD
	v_mov_b32_e32 v60, 0xffff8000
	s_and_saveexec_b64 s[14:15], s[16:17]
	s_cbranch_execz .LBB912_340
; %bb.337:                              ;   in Loop: Header=BB912_215 Depth=1
	v_and_b32_e32 v44, 0x7f, v42
	v_cmp_ne_u32_e32 vcc, s21, v44
	v_mov_b32_e32 v60, 0x7f80
	s_and_saveexec_b64 s[16:17], vcc
	s_cbranch_execz .LBB912_339
; %bb.338:                              ;   in Loop: Header=BB912_215 Depth=1
	v_and_b32_e32 v46, 7, v42
	v_ffbh_u32_e32 v62, v46
	v_min_u32_e32 v64, 32, v62
	v_subrev_u32_e32 v62, 28, v64
	v_lshlrev_b64 v[62:63], v62, v[42:43]
	v_lshrrev_b32_e32 v60, 3, v44
	v_sub_u32_e32 v63, 29, v64
	v_and_b32_e32 v62, 7, v62
	v_cmp_gt_u32_e32 vcc, 8, v44
	v_cndmask_b32_e32 v44, v60, v63, vcc
	v_cndmask_b32_e32 v46, v46, v62, vcc
	v_lshlrev_b32_e32 v60, 24, v42
	v_lshlrev_b32_e32 v46, 20, v46
	v_and_b32_e32 v60, 0x80000000, v60
	v_lshl_add_u32 v44, v44, 23, v56
	v_or3_b32 v44, v60, v44, v46
	v_lshrrev_b32_e32 v60, 16, v44
.LBB912_339:                            ;   in Loop: Header=BB912_215 Depth=1
	s_or_b64 exec, exec, s[16:17]
.LBB912_340:                            ;   in Loop: Header=BB912_215 Depth=1
	s_or_b64 exec, exec, s[14:15]
.LBB912_341:                            ;   in Loop: Header=BB912_215 Depth=1
	s_or_b64 exec, exec, s[12:13]
	v_lshrrev_b16_e32 v44, 8, v42
	v_cmp_ne_u16_e32 vcc, 0, v44
	v_mov_b32_e32 v63, 0
	v_mov_b32_e32 v62, 0
	s_and_saveexec_b64 s[12:13], vcc
	s_cbranch_execz .LBB912_347
; %bb.342:                              ;   in Loop: Header=BB912_215 Depth=1
	v_cmp_ne_u16_e32 vcc, s9, v44
	v_mov_b32_e32 v62, 0xffff8000
	s_and_saveexec_b64 s[14:15], vcc
	s_cbranch_execz .LBB912_346
; %bb.343:                              ;   in Loop: Header=BB912_215 Depth=1
	v_and_b32_e32 v46, 0x7f, v44
	v_cmp_ne_u32_e32 vcc, s21, v46
	v_mov_b32_e32 v62, 0x7f80
	s_and_saveexec_b64 s[16:17], vcc
	s_cbranch_execz .LBB912_345
; %bb.344:                              ;   in Loop: Header=BB912_215 Depth=1
	v_and_b32_e32 v62, 7, v44
	v_ffbh_u32_e32 v64, v62
	v_min_u32_e32 v67, 32, v64
	v_subrev_u32_e32 v64, 28, v67
	v_lshlrev_b64 v[64:65], v64, v[44:45]
	v_lshrrev_b32_e32 v66, 3, v46
	v_sub_u32_e32 v44, 29, v67
	v_and_b32_e32 v64, 7, v64
	v_cmp_gt_u32_e32 vcc, 8, v46
	v_cndmask_b32_e32 v44, v66, v44, vcc
	v_cndmask_b32_e32 v46, v62, v64, vcc
	v_lshlrev_b32_e32 v62, 16, v42
	v_lshlrev_b32_e32 v46, 20, v46
	v_and_b32_e32 v62, 0x80000000, v62
	v_lshl_add_u32 v44, v44, 23, v56
	v_or3_b32 v44, v62, v44, v46
	v_lshrrev_b32_e32 v62, 16, v44
.LBB912_345:                            ;   in Loop: Header=BB912_215 Depth=1
	s_or_b64 exec, exec, s[16:17]
.LBB912_346:                            ;   in Loop: Header=BB912_215 Depth=1
	s_or_b64 exec, exec, s[14:15]
.LBB912_347:                            ;   in Loop: Header=BB912_215 Depth=1
	s_or_b64 exec, exec, s[12:13]
	v_lshrrev_b32_e32 v44, 16, v42
	v_cmp_ne_u16_sdwa s[14:15], v44, v55 src0_sel:BYTE_0 src1_sel:DWORD
	s_and_saveexec_b64 s[12:13], s[14:15]
	s_cbranch_execz .LBB912_353
; %bb.348:                              ;   in Loop: Header=BB912_215 Depth=1
	v_cmp_ne_u16_sdwa s[16:17], v44, s9 src0_sel:BYTE_0 src1_sel:DWORD
	v_mov_b32_e32 v63, 0xffff8000
	s_and_saveexec_b64 s[14:15], s[16:17]
	s_cbranch_execz .LBB912_352
; %bb.349:                              ;   in Loop: Header=BB912_215 Depth=1
	v_bfe_u32 v46, v42, 16, 7
	v_cmp_ne_u32_e32 vcc, s21, v46
	v_mov_b32_e32 v63, 0x7f80
	s_and_saveexec_b64 s[16:17], vcc
	s_cbranch_execz .LBB912_351
; %bb.350:                              ;   in Loop: Header=BB912_215 Depth=1
	v_and_b32_e32 v63, 7, v44
	v_ffbh_u32_e32 v64, v63
	v_min_u32_e32 v67, 32, v64
	v_subrev_u32_e32 v64, 28, v67
	v_lshlrev_b64 v[64:65], v64, v[44:45]
	v_lshrrev_b32_e32 v66, 3, v46
	v_sub_u32_e32 v65, 29, v67
	v_and_b32_e32 v64, 7, v64
	v_cmp_gt_u32_e32 vcc, 8, v46
	v_cndmask_b32_e32 v46, v66, v65, vcc
	v_cndmask_b32_e32 v63, v63, v64, vcc
	v_lshlrev_b32_e32 v44, 24, v44
	v_lshlrev_b32_e32 v63, 20, v63
	v_and_b32_e32 v44, 0x80000000, v44
	v_lshl_add_u32 v46, v46, 23, v56
	v_or3_b32 v44, v44, v46, v63
	v_lshrrev_b32_e32 v63, 16, v44
.LBB912_351:                            ;   in Loop: Header=BB912_215 Depth=1
	s_or_b64 exec, exec, s[16:17]
.LBB912_352:                            ;   in Loop: Header=BB912_215 Depth=1
	s_or_b64 exec, exec, s[14:15]
.LBB912_353:                            ;   in Loop: Header=BB912_215 Depth=1
	s_or_b64 exec, exec, s[12:13]
	v_cmp_lt_u32_e32 vcc, s22, v42
	v_mov_b32_e32 v46, 0
	v_mov_b32_e32 v64, 0
	s_and_saveexec_b64 s[12:13], vcc
	s_cbranch_execz .LBB912_359
; %bb.354:                              ;   in Loop: Header=BB912_215 Depth=1
	v_lshrrev_b32_e32 v44, 24, v42
	v_cmp_ne_u32_e32 vcc, s9, v44
	v_mov_b32_e32 v64, 0xffff8000
	s_and_saveexec_b64 s[14:15], vcc
	s_cbranch_execz .LBB912_358
; %bb.355:                              ;   in Loop: Header=BB912_215 Depth=1
	v_bfe_u32 v42, v42, 24, 7
	v_cmp_ne_u32_e32 vcc, s21, v42
	v_mov_b32_e32 v64, 0x7f80
	s_and_saveexec_b64 s[16:17], vcc
	s_cbranch_execz .LBB912_357
; %bb.356:                              ;   in Loop: Header=BB912_215 Depth=1
	v_and_b32_e32 v66, 7, v44
	v_ffbh_u32_e32 v64, v66
	v_min_u32_e32 v68, 32, v64
	v_subrev_u32_e32 v64, 28, v68
	v_lshlrev_b64 v[64:65], v64, v[44:45]
	v_lshrrev_b32_e32 v67, 3, v42
	v_sub_u32_e32 v65, 29, v68
	v_and_b32_e32 v64, 7, v64
	v_cmp_gt_u32_e32 vcc, 8, v42
	v_cndmask_b32_e32 v42, v67, v65, vcc
	v_cndmask_b32_e32 v64, v66, v64, vcc
	v_lshlrev_b32_e32 v44, 24, v44
	v_lshlrev_b32_e32 v64, 20, v64
	v_and_b32_e32 v44, 0x80000000, v44
	v_lshl_add_u32 v42, v42, 23, v56
	v_or3_b32 v42, v44, v42, v64
	v_lshrrev_b32_e32 v64, 16, v42
.LBB912_357:                            ;   in Loop: Header=BB912_215 Depth=1
	s_or_b64 exec, exec, s[16:17]
.LBB912_358:                            ;   in Loop: Header=BB912_215 Depth=1
	s_or_b64 exec, exec, s[14:15]
.LBB912_359:                            ;   in Loop: Header=BB912_215 Depth=1
	s_or_b64 exec, exec, s[12:13]
	v_perm_b32 v59, v61, v59, s23
	v_perm_b32 v58, v58, v57, s23
	s_waitcnt vmcnt(1)
	v_cmp_ne_u16_sdwa s[14:15], v40, v55 src0_sel:BYTE_0 src1_sel:DWORD
	v_mfma_f32_16x16x16bf16_1k v[34:37], v[58:59], v[10:11], v[34:37]
	v_perm_b32 v59, v64, v63, s23
	v_perm_b32 v58, v62, v60, s23
	s_nop 1
	v_mfma_f32_16x16x16bf16_1k v[34:37], v[58:59], v[12:13], v[34:37]
	s_and_saveexec_b64 s[12:13], s[14:15]
	s_cbranch_execz .LBB912_365
; %bb.360:                              ;   in Loop: Header=BB912_215 Depth=1
	v_cmp_ne_u16_sdwa s[16:17], v40, s9 src0_sel:BYTE_0 src1_sel:DWORD
	v_mov_b32_e32 v46, 0xffff8000
	s_and_saveexec_b64 s[14:15], s[16:17]
	s_cbranch_execz .LBB912_364
; %bb.361:                              ;   in Loop: Header=BB912_215 Depth=1
	v_and_b32_e32 v42, 0x7f, v40
	v_cmp_ne_u32_e32 vcc, s21, v42
	v_mov_b32_e32 v46, 0x7f80
	s_and_saveexec_b64 s[16:17], vcc
	s_cbranch_execz .LBB912_363
; %bb.362:                              ;   in Loop: Header=BB912_215 Depth=1
	v_and_b32_e32 v44, 7, v40
	v_ffbh_u32_e32 v57, v44
	v_min_u32_e32 v57, 32, v57
	v_subrev_u32_e32 v58, 28, v57
	v_lshlrev_b64 v[58:59], v58, v[40:41]
	v_lshrrev_b32_e32 v46, 3, v42
	v_sub_u32_e32 v57, 29, v57
	v_and_b32_e32 v58, 7, v58
	v_cmp_gt_u32_e32 vcc, 8, v42
	v_cndmask_b32_e32 v42, v46, v57, vcc
	v_cndmask_b32_e32 v44, v44, v58, vcc
	v_lshlrev_b32_e32 v46, 24, v40
	v_lshlrev_b32_e32 v44, 20, v44
	v_and_b32_e32 v46, 0x80000000, v46
	v_lshl_add_u32 v42, v42, 23, v56
	v_or3_b32 v42, v46, v42, v44
	v_lshrrev_b32_e32 v46, 16, v42
.LBB912_363:                            ;   in Loop: Header=BB912_215 Depth=1
	s_or_b64 exec, exec, s[16:17]
.LBB912_364:                            ;   in Loop: Header=BB912_215 Depth=1
	s_or_b64 exec, exec, s[14:15]
.LBB912_365:                            ;   in Loop: Header=BB912_215 Depth=1
	s_or_b64 exec, exec, s[12:13]
	v_lshrrev_b16_e32 v42, 8, v40
	v_cmp_ne_u16_e32 vcc, 0, v42
	v_mov_b32_e32 v58, 0
	v_mov_b32_e32 v44, 0
	s_and_saveexec_b64 s[12:13], vcc
	s_cbranch_execz .LBB912_371
; %bb.366:                              ;   in Loop: Header=BB912_215 Depth=1
	v_cmp_ne_u16_e32 vcc, s9, v42
	v_mov_b32_e32 v44, 0xffff8000
	s_and_saveexec_b64 s[14:15], vcc
	s_cbranch_execz .LBB912_370
; %bb.367:                              ;   in Loop: Header=BB912_215 Depth=1
	v_and_b32_e32 v57, 0x7f, v42
	v_cmp_ne_u32_e32 vcc, s21, v57
	v_mov_b32_e32 v44, 0x7f80
	s_and_saveexec_b64 s[16:17], vcc
	s_cbranch_execz .LBB912_369
; %bb.368:                              ;   in Loop: Header=BB912_215 Depth=1
	v_and_b32_e32 v44, 7, v42
	v_ffbh_u32_e32 v60, v44
	v_min_u32_e32 v62, 32, v60
	v_subrev_u32_e32 v60, 28, v62
	v_lshlrev_b64 v[60:61], v60, v[42:43]
	v_lshrrev_b32_e32 v59, 3, v57
	v_sub_u32_e32 v42, 29, v62
	v_and_b32_e32 v60, 7, v60
	v_cmp_gt_u32_e32 vcc, 8, v57
	v_cndmask_b32_e32 v42, v59, v42, vcc
	v_cndmask_b32_e32 v44, v44, v60, vcc
	v_lshlrev_b32_e32 v57, 16, v40
	v_lshlrev_b32_e32 v44, 20, v44
	v_and_b32_e32 v57, 0x80000000, v57
	v_lshl_add_u32 v42, v42, 23, v56
	v_or3_b32 v42, v57, v42, v44
	v_lshrrev_b32_e32 v44, 16, v42
.LBB912_369:                            ;   in Loop: Header=BB912_215 Depth=1
	s_or_b64 exec, exec, s[16:17]
.LBB912_370:                            ;   in Loop: Header=BB912_215 Depth=1
	s_or_b64 exec, exec, s[14:15]
.LBB912_371:                            ;   in Loop: Header=BB912_215 Depth=1
	s_or_b64 exec, exec, s[12:13]
	v_lshrrev_b32_e32 v42, 16, v40
	v_cmp_ne_u16_sdwa s[14:15], v42, v55 src0_sel:BYTE_0 src1_sel:DWORD
	s_and_saveexec_b64 s[12:13], s[14:15]
	s_cbranch_execz .LBB912_377
; %bb.372:                              ;   in Loop: Header=BB912_215 Depth=1
	v_cmp_ne_u16_sdwa s[16:17], v42, s9 src0_sel:BYTE_0 src1_sel:DWORD
	v_mov_b32_e32 v58, 0xffff8000
	s_and_saveexec_b64 s[14:15], s[16:17]
	s_cbranch_execz .LBB912_376
; %bb.373:                              ;   in Loop: Header=BB912_215 Depth=1
	v_bfe_u32 v57, v40, 16, 7
	v_cmp_ne_u32_e32 vcc, s21, v57
	v_mov_b32_e32 v58, 0x7f80
	s_and_saveexec_b64 s[16:17], vcc
	s_cbranch_execz .LBB912_375
; %bb.374:                              ;   in Loop: Header=BB912_215 Depth=1
	v_and_b32_e32 v60, 7, v42
	v_ffbh_u32_e32 v58, v60
	v_min_u32_e32 v62, 32, v58
	v_subrev_u32_e32 v58, 28, v62
	v_lshlrev_b64 v[58:59], v58, v[42:43]
	v_lshrrev_b32_e32 v61, 3, v57
	v_sub_u32_e32 v59, 29, v62
	v_and_b32_e32 v58, 7, v58
	v_cmp_gt_u32_e32 vcc, 8, v57
	v_cndmask_b32_e32 v57, v61, v59, vcc
	v_cndmask_b32_e32 v58, v60, v58, vcc
	v_lshlrev_b32_e32 v42, 24, v42
	v_lshlrev_b32_e32 v58, 20, v58
	v_and_b32_e32 v42, 0x80000000, v42
	v_lshl_add_u32 v57, v57, 23, v56
	v_or3_b32 v42, v42, v57, v58
	v_lshrrev_b32_e32 v58, 16, v42
.LBB912_375:                            ;   in Loop: Header=BB912_215 Depth=1
	s_or_b64 exec, exec, s[16:17]
.LBB912_376:                            ;   in Loop: Header=BB912_215 Depth=1
	s_or_b64 exec, exec, s[14:15]
.LBB912_377:                            ;   in Loop: Header=BB912_215 Depth=1
	s_or_b64 exec, exec, s[12:13]
	v_cmp_lt_u32_e32 vcc, s22, v40
	v_mov_b32_e32 v59, 0
	v_mov_b32_e32 v60, 0
	s_and_saveexec_b64 s[12:13], vcc
	s_cbranch_execz .LBB912_383
; %bb.378:                              ;   in Loop: Header=BB912_215 Depth=1
	v_lshrrev_b32_e32 v42, 24, v40
	v_cmp_ne_u32_e32 vcc, s9, v42
	v_mov_b32_e32 v60, 0xffff8000
	s_and_saveexec_b64 s[14:15], vcc
	s_cbranch_execz .LBB912_382
; %bb.379:                              ;   in Loop: Header=BB912_215 Depth=1
	v_bfe_u32 v40, v40, 24, 7
	v_cmp_ne_u32_e32 vcc, s21, v40
	v_mov_b32_e32 v60, 0x7f80
	s_and_saveexec_b64 s[16:17], vcc
	s_cbranch_execz .LBB912_381
; %bb.380:                              ;   in Loop: Header=BB912_215 Depth=1
	v_and_b32_e32 v57, 7, v42
	v_ffbh_u32_e32 v60, v57
	v_min_u32_e32 v63, 32, v60
	v_subrev_u32_e32 v60, 28, v63
	v_lshlrev_b64 v[60:61], v60, v[42:43]
	v_lshrrev_b32_e32 v62, 3, v40
	v_sub_u32_e32 v61, 29, v63
	v_and_b32_e32 v60, 7, v60
	v_cmp_gt_u32_e32 vcc, 8, v40
	v_cndmask_b32_e32 v40, v62, v61, vcc
	v_cndmask_b32_e32 v57, v57, v60, vcc
	v_lshlrev_b32_e32 v42, 24, v42
	v_lshlrev_b32_e32 v57, 20, v57
	v_and_b32_e32 v42, 0x80000000, v42
	v_lshl_add_u32 v40, v40, 23, v56
	v_or3_b32 v40, v42, v40, v57
	v_lshrrev_b32_e32 v60, 16, v40
.LBB912_381:                            ;   in Loop: Header=BB912_215 Depth=1
	s_or_b64 exec, exec, s[16:17]
.LBB912_382:                            ;   in Loop: Header=BB912_215 Depth=1
	s_or_b64 exec, exec, s[14:15]
.LBB912_383:                            ;   in Loop: Header=BB912_215 Depth=1
	s_or_b64 exec, exec, s[12:13]
	s_waitcnt vmcnt(0)
	v_cmp_ne_u16_sdwa s[14:15], v38, v55 src0_sel:BYTE_0 src1_sel:DWORD
	s_and_saveexec_b64 s[12:13], s[14:15]
	s_cbranch_execz .LBB912_389
; %bb.384:                              ;   in Loop: Header=BB912_215 Depth=1
	v_cmp_ne_u16_sdwa s[16:17], v38, s9 src0_sel:BYTE_0 src1_sel:DWORD
	v_mov_b32_e32 v59, 0xffff8000
	s_and_saveexec_b64 s[14:15], s[16:17]
	s_cbranch_execz .LBB912_388
; %bb.385:                              ;   in Loop: Header=BB912_215 Depth=1
	v_and_b32_e32 v40, 0x7f, v38
	v_cmp_ne_u32_e32 vcc, s21, v40
	v_mov_b32_e32 v59, 0x7f80
	s_and_saveexec_b64 s[16:17], vcc
	s_cbranch_execz .LBB912_387
; %bb.386:                              ;   in Loop: Header=BB912_215 Depth=1
	v_and_b32_e32 v42, 7, v38
	v_ffbh_u32_e32 v59, v42
	v_min_u32_e32 v59, 32, v59
	v_subrev_u32_e32 v61, 28, v59
	v_lshlrev_b64 v[62:63], v61, v[38:39]
	v_lshrrev_b32_e32 v57, 3, v40
	v_sub_u32_e32 v59, 29, v59
	v_and_b32_e32 v61, 7, v62
	v_cmp_gt_u32_e32 vcc, 8, v40
	v_cndmask_b32_e32 v40, v57, v59, vcc
	v_cndmask_b32_e32 v42, v42, v61, vcc
	v_lshlrev_b32_e32 v57, 24, v38
	v_lshlrev_b32_e32 v42, 20, v42
	v_and_b32_e32 v57, 0x80000000, v57
	v_lshl_add_u32 v40, v40, 23, v56
	v_or3_b32 v40, v57, v40, v42
	v_lshrrev_b32_e32 v59, 16, v40
.LBB912_387:                            ;   in Loop: Header=BB912_215 Depth=1
	s_or_b64 exec, exec, s[16:17]
.LBB912_388:                            ;   in Loop: Header=BB912_215 Depth=1
	s_or_b64 exec, exec, s[14:15]
.LBB912_389:                            ;   in Loop: Header=BB912_215 Depth=1
	s_or_b64 exec, exec, s[12:13]
	v_lshrrev_b16_e32 v40, 8, v38
	v_cmp_ne_u16_e32 vcc, 0, v40
	v_mov_b32_e32 v62, 0
	v_mov_b32_e32 v61, 0
	s_and_saveexec_b64 s[12:13], vcc
	s_cbranch_execz .LBB912_395
; %bb.390:                              ;   in Loop: Header=BB912_215 Depth=1
	v_cmp_ne_u16_e32 vcc, s9, v40
	v_mov_b32_e32 v61, 0xffff8000
	s_and_saveexec_b64 s[14:15], vcc
	s_cbranch_execz .LBB912_394
; %bb.391:                              ;   in Loop: Header=BB912_215 Depth=1
	v_and_b32_e32 v42, 0x7f, v40
	v_cmp_ne_u32_e32 vcc, s21, v42
	v_mov_b32_e32 v61, 0x7f80
	s_and_saveexec_b64 s[16:17], vcc
	s_cbranch_execz .LBB912_393
; %bb.392:                              ;   in Loop: Header=BB912_215 Depth=1
	v_and_b32_e32 v57, 7, v40
	v_ffbh_u32_e32 v63, v57
	v_min_u32_e32 v63, 32, v63
	v_subrev_u32_e32 v64, 28, v63
	v_lshlrev_b64 v[64:65], v64, v[40:41]
	v_lshrrev_b32_e32 v61, 3, v42
	v_sub_u32_e32 v40, 29, v63
	v_and_b32_e32 v63, 7, v64
	v_cmp_gt_u32_e32 vcc, 8, v42
	v_cndmask_b32_e32 v40, v61, v40, vcc
	v_cndmask_b32_e32 v42, v57, v63, vcc
	v_lshlrev_b32_e32 v57, 16, v38
	v_lshlrev_b32_e32 v42, 20, v42
	v_and_b32_e32 v57, 0x80000000, v57
	v_lshl_add_u32 v40, v40, 23, v56
	v_or3_b32 v40, v57, v40, v42
	v_lshrrev_b32_e32 v61, 16, v40
.LBB912_393:                            ;   in Loop: Header=BB912_215 Depth=1
	s_or_b64 exec, exec, s[16:17]
.LBB912_394:                            ;   in Loop: Header=BB912_215 Depth=1
	s_or_b64 exec, exec, s[14:15]
.LBB912_395:                            ;   in Loop: Header=BB912_215 Depth=1
	s_or_b64 exec, exec, s[12:13]
	v_lshrrev_b32_e32 v40, 16, v38
	v_cmp_ne_u16_sdwa s[14:15], v40, v55 src0_sel:BYTE_0 src1_sel:DWORD
	s_and_saveexec_b64 s[12:13], s[14:15]
	s_cbranch_execz .LBB912_401
; %bb.396:                              ;   in Loop: Header=BB912_215 Depth=1
	v_cmp_ne_u16_sdwa s[16:17], v40, s9 src0_sel:BYTE_0 src1_sel:DWORD
	v_mov_b32_e32 v62, 0xffff8000
	s_and_saveexec_b64 s[14:15], s[16:17]
	s_cbranch_execz .LBB912_400
; %bb.397:                              ;   in Loop: Header=BB912_215 Depth=1
	v_bfe_u32 v42, v38, 16, 7
	v_cmp_ne_u32_e32 vcc, s21, v42
	v_mov_b32_e32 v62, 0x7f80
	s_and_saveexec_b64 s[16:17], vcc
	s_cbranch_execz .LBB912_399
; %bb.398:                              ;   in Loop: Header=BB912_215 Depth=1
	v_and_b32_e32 v57, 7, v40
	v_ffbh_u32_e32 v62, v57
	v_min_u32_e32 v65, 32, v62
	v_subrev_u32_e32 v62, 28, v65
	v_lshlrev_b64 v[62:63], v62, v[40:41]
	v_lshrrev_b32_e32 v64, 3, v42
	v_sub_u32_e32 v63, 29, v65
	v_and_b32_e32 v62, 7, v62
	v_cmp_gt_u32_e32 vcc, 8, v42
	v_cndmask_b32_e32 v42, v64, v63, vcc
	v_cndmask_b32_e32 v57, v57, v62, vcc
	v_lshlrev_b32_e32 v40, 24, v40
	v_lshlrev_b32_e32 v57, 20, v57
	v_and_b32_e32 v40, 0x80000000, v40
	v_lshl_add_u32 v42, v42, 23, v56
	v_or3_b32 v40, v40, v42, v57
	v_lshrrev_b32_e32 v62, 16, v40
.LBB912_399:                            ;   in Loop: Header=BB912_215 Depth=1
	s_or_b64 exec, exec, s[16:17]
.LBB912_400:                            ;   in Loop: Header=BB912_215 Depth=1
	s_or_b64 exec, exec, s[14:15]
.LBB912_401:                            ;   in Loop: Header=BB912_215 Depth=1
	s_or_b64 exec, exec, s[12:13]
	v_cmp_lt_u32_e32 vcc, s22, v38
	v_mov_b32_e32 v57, 0
	v_mov_b32_e32 v63, 0
	s_and_saveexec_b64 s[12:13], vcc
	s_cbranch_execz .LBB912_407
; %bb.402:                              ;   in Loop: Header=BB912_215 Depth=1
	v_lshrrev_b32_e32 v40, 24, v38
	v_cmp_ne_u32_e32 vcc, s9, v40
	v_mov_b32_e32 v63, 0xffff8000
	s_and_saveexec_b64 s[14:15], vcc
	s_cbranch_execz .LBB912_406
; %bb.403:                              ;   in Loop: Header=BB912_215 Depth=1
	v_bfe_u32 v38, v38, 24, 7
	v_cmp_ne_u32_e32 vcc, s21, v38
	v_mov_b32_e32 v63, 0x7f80
	s_and_saveexec_b64 s[16:17], vcc
	s_cbranch_execz .LBB912_405
; %bb.404:                              ;   in Loop: Header=BB912_215 Depth=1
	v_and_b32_e32 v42, 7, v40
	v_ffbh_u32_e32 v64, v42
	v_min_u32_e32 v66, 32, v64
	v_subrev_u32_e32 v64, 28, v66
	v_lshlrev_b64 v[64:65], v64, v[40:41]
	v_lshrrev_b32_e32 v63, 3, v38
	v_sub_u32_e32 v65, 29, v66
	v_and_b32_e32 v64, 7, v64
	v_cmp_gt_u32_e32 vcc, 8, v38
	v_cndmask_b32_e32 v38, v63, v65, vcc
	v_cndmask_b32_e32 v42, v42, v64, vcc
	v_lshlrev_b32_e32 v40, 24, v40
	v_lshlrev_b32_e32 v42, 20, v42
	v_and_b32_e32 v40, 0x80000000, v40
	v_lshl_add_u32 v38, v38, 23, v56
	v_or3_b32 v38, v40, v38, v42
	v_lshrrev_b32_e32 v63, 16, v38
.LBB912_405:                            ;   in Loop: Header=BB912_215 Depth=1
	s_or_b64 exec, exec, s[16:17]
.LBB912_406:                            ;   in Loop: Header=BB912_215 Depth=1
	s_or_b64 exec, exec, s[14:15]
.LBB912_407:                            ;   in Loop: Header=BB912_215 Depth=1
	s_or_b64 exec, exec, s[12:13]
	v_perm_b32 v64, v44, v46, s23
	buffer_load_dword v44, v52, s[0:3], 0 offen
	buffer_load_dword v42, v52, s[0:3], 0 offen offset:4
	buffer_load_dword v40, v52, s[0:3], 0 offen offset:8
	;; [unrolled: 1-line block ×3, first 2 shown]
	v_perm_b32 v65, v60, v58, s23
	v_perm_b32 v63, v63, v62, s23
	;; [unrolled: 1-line block ×3, first 2 shown]
	v_mfma_f32_16x16x16bf16_1k v[34:37], v[64:65], v[14:15], v[34:37]
	s_waitcnt vmcnt(3)
	v_cmp_ne_u16_sdwa s[14:15], v44, v55 src0_sel:BYTE_0 src1_sel:DWORD
	v_mfma_f32_16x16x16bf16_1k v[34:37], v[62:63], v[16:17], v[34:37]
	s_and_saveexec_b64 s[12:13], s[14:15]
	s_cbranch_execz .LBB912_413
; %bb.408:                              ;   in Loop: Header=BB912_215 Depth=1
	v_cmp_ne_u16_sdwa s[16:17], v44, s9 src0_sel:BYTE_0 src1_sel:DWORD
	v_mov_b32_e32 v57, 0xffff8000
	s_and_saveexec_b64 s[14:15], s[16:17]
	s_cbranch_execz .LBB912_412
; %bb.409:                              ;   in Loop: Header=BB912_215 Depth=1
	v_and_b32_e32 v46, 0x7f, v44
	v_cmp_ne_u32_e32 vcc, s21, v46
	v_mov_b32_e32 v57, 0x7f80
	s_and_saveexec_b64 s[16:17], vcc
	s_cbranch_execz .LBB912_411
; %bb.410:                              ;   in Loop: Header=BB912_215 Depth=1
	v_and_b32_e32 v52, 7, v44
	v_ffbh_u32_e32 v58, v52
	v_min_u32_e32 v60, 32, v58
	v_subrev_u32_e32 v58, 28, v60
	v_lshlrev_b64 v[58:59], v58, v[44:45]
	v_lshrrev_b32_e32 v57, 3, v46
	v_sub_u32_e32 v59, 29, v60
	v_and_b32_e32 v58, 7, v58
	v_cmp_gt_u32_e32 vcc, 8, v46
	v_cndmask_b32_e32 v46, v57, v59, vcc
	v_cndmask_b32_e32 v52, v52, v58, vcc
	v_lshlrev_b32_e32 v57, 24, v44
	v_lshlrev_b32_e32 v52, 20, v52
	v_and_b32_e32 v57, 0x80000000, v57
	v_lshl_add_u32 v46, v46, 23, v56
	v_or3_b32 v46, v57, v46, v52
	v_lshrrev_b32_e32 v57, 16, v46
.LBB912_411:                            ;   in Loop: Header=BB912_215 Depth=1
	s_or_b64 exec, exec, s[16:17]
.LBB912_412:                            ;   in Loop: Header=BB912_215 Depth=1
	s_or_b64 exec, exec, s[14:15]
.LBB912_413:                            ;   in Loop: Header=BB912_215 Depth=1
	s_or_b64 exec, exec, s[12:13]
	v_lshrrev_b16_e32 v46, 8, v44
	v_cmp_ne_u16_e32 vcc, 0, v46
	v_mov_b32_e32 v58, 0
	v_mov_b32_e32 v52, 0
	s_and_saveexec_b64 s[12:13], vcc
	s_cbranch_execz .LBB912_419
; %bb.414:                              ;   in Loop: Header=BB912_215 Depth=1
	v_cmp_ne_u16_e32 vcc, s9, v46
	v_mov_b32_e32 v52, 0xffff8000
	s_and_saveexec_b64 s[14:15], vcc
	s_cbranch_execz .LBB912_418
; %bb.415:                              ;   in Loop: Header=BB912_215 Depth=1
	v_and_b32_e32 v59, 0x7f, v46
	v_cmp_ne_u32_e32 vcc, s21, v59
	v_mov_b32_e32 v52, 0x7f80
	s_and_saveexec_b64 s[16:17], vcc
	s_cbranch_execz .LBB912_417
; %bb.416:                              ;   in Loop: Header=BB912_215 Depth=1
	v_and_b32_e32 v52, 7, v46
	v_ffbh_u32_e32 v60, v52
	v_min_u32_e32 v63, 32, v60
	v_subrev_u32_e32 v60, 28, v63
	v_lshlrev_b64 v[60:61], v60, v[46:47]
	v_lshrrev_b32_e32 v62, 3, v59
	v_sub_u32_e32 v46, 29, v63
	v_and_b32_e32 v60, 7, v60
	v_cmp_gt_u32_e32 vcc, 8, v59
	v_cndmask_b32_e32 v46, v62, v46, vcc
	v_cndmask_b32_e32 v52, v52, v60, vcc
	v_lshlrev_b32_e32 v59, 16, v44
	v_lshlrev_b32_e32 v52, 20, v52
	v_and_b32_e32 v59, 0x80000000, v59
	v_lshl_add_u32 v46, v46, 23, v56
	v_or3_b32 v46, v59, v46, v52
	v_lshrrev_b32_e32 v52, 16, v46
.LBB912_417:                            ;   in Loop: Header=BB912_215 Depth=1
	s_or_b64 exec, exec, s[16:17]
.LBB912_418:                            ;   in Loop: Header=BB912_215 Depth=1
	s_or_b64 exec, exec, s[14:15]
.LBB912_419:                            ;   in Loop: Header=BB912_215 Depth=1
	s_or_b64 exec, exec, s[12:13]
	v_lshrrev_b32_e32 v46, 16, v44
	v_cmp_ne_u16_sdwa s[14:15], v46, v55 src0_sel:BYTE_0 src1_sel:DWORD
	s_and_saveexec_b64 s[12:13], s[14:15]
	s_cbranch_execz .LBB912_425
; %bb.420:                              ;   in Loop: Header=BB912_215 Depth=1
	v_cmp_ne_u16_sdwa s[16:17], v46, s9 src0_sel:BYTE_0 src1_sel:DWORD
	v_mov_b32_e32 v58, 0xffff8000
	s_and_saveexec_b64 s[14:15], s[16:17]
	s_cbranch_execz .LBB912_424
; %bb.421:                              ;   in Loop: Header=BB912_215 Depth=1
	v_bfe_u32 v59, v44, 16, 7
	v_cmp_ne_u32_e32 vcc, s21, v59
	v_mov_b32_e32 v58, 0x7f80
	s_and_saveexec_b64 s[16:17], vcc
	s_cbranch_execz .LBB912_423
; %bb.422:                              ;   in Loop: Header=BB912_215 Depth=1
	v_and_b32_e32 v58, 7, v46
	v_ffbh_u32_e32 v60, v58
	v_min_u32_e32 v63, 32, v60
	v_subrev_u32_e32 v60, 28, v63
	v_lshlrev_b64 v[60:61], v60, v[46:47]
	v_lshrrev_b32_e32 v62, 3, v59
	v_sub_u32_e32 v61, 29, v63
	v_and_b32_e32 v60, 7, v60
	v_cmp_gt_u32_e32 vcc, 8, v59
	v_cndmask_b32_e32 v59, v62, v61, vcc
	v_cndmask_b32_e32 v58, v58, v60, vcc
	v_lshlrev_b32_e32 v46, 24, v46
	v_lshlrev_b32_e32 v58, 20, v58
	v_and_b32_e32 v46, 0x80000000, v46
	v_lshl_add_u32 v59, v59, 23, v56
	v_or3_b32 v46, v46, v59, v58
	v_lshrrev_b32_e32 v58, 16, v46
.LBB912_423:                            ;   in Loop: Header=BB912_215 Depth=1
	s_or_b64 exec, exec, s[16:17]
.LBB912_424:                            ;   in Loop: Header=BB912_215 Depth=1
	s_or_b64 exec, exec, s[14:15]
.LBB912_425:                            ;   in Loop: Header=BB912_215 Depth=1
	s_or_b64 exec, exec, s[12:13]
	v_cmp_lt_u32_e32 vcc, s22, v44
	v_mov_b32_e32 v59, 0
	v_mov_b32_e32 v60, 0
	s_and_saveexec_b64 s[12:13], vcc
	s_cbranch_execz .LBB912_431
; %bb.426:                              ;   in Loop: Header=BB912_215 Depth=1
	v_lshrrev_b32_e32 v46, 24, v44
	v_cmp_ne_u32_e32 vcc, s9, v46
	v_mov_b32_e32 v60, 0xffff8000
	s_and_saveexec_b64 s[14:15], vcc
	s_cbranch_execz .LBB912_430
; %bb.427:                              ;   in Loop: Header=BB912_215 Depth=1
	v_bfe_u32 v44, v44, 24, 7
	v_cmp_ne_u32_e32 vcc, s21, v44
	v_mov_b32_e32 v60, 0x7f80
	s_and_saveexec_b64 s[16:17], vcc
	s_cbranch_execz .LBB912_429
; %bb.428:                              ;   in Loop: Header=BB912_215 Depth=1
	v_and_b32_e32 v62, 7, v46
	v_ffbh_u32_e32 v60, v62
	v_min_u32_e32 v64, 32, v60
	v_subrev_u32_e32 v60, 28, v64
	v_lshlrev_b64 v[60:61], v60, v[46:47]
	v_lshrrev_b32_e32 v63, 3, v44
	v_sub_u32_e32 v61, 29, v64
	v_and_b32_e32 v60, 7, v60
	v_cmp_gt_u32_e32 vcc, 8, v44
	v_cndmask_b32_e32 v44, v63, v61, vcc
	v_cndmask_b32_e32 v60, v62, v60, vcc
	v_lshlrev_b32_e32 v46, 24, v46
	v_lshlrev_b32_e32 v60, 20, v60
	v_and_b32_e32 v46, 0x80000000, v46
	v_lshl_add_u32 v44, v44, 23, v56
	v_or3_b32 v44, v46, v44, v60
	v_lshrrev_b32_e32 v60, 16, v44
.LBB912_429:                            ;   in Loop: Header=BB912_215 Depth=1
	s_or_b64 exec, exec, s[16:17]
.LBB912_430:                            ;   in Loop: Header=BB912_215 Depth=1
	s_or_b64 exec, exec, s[14:15]
.LBB912_431:                            ;   in Loop: Header=BB912_215 Depth=1
	s_or_b64 exec, exec, s[12:13]
	s_waitcnt vmcnt(2)
	v_cmp_ne_u16_sdwa s[14:15], v42, v55 src0_sel:BYTE_0 src1_sel:DWORD
	s_and_saveexec_b64 s[12:13], s[14:15]
	s_cbranch_execz .LBB912_437
; %bb.432:                              ;   in Loop: Header=BB912_215 Depth=1
	v_cmp_ne_u16_sdwa s[16:17], v42, s9 src0_sel:BYTE_0 src1_sel:DWORD
	v_mov_b32_e32 v59, 0xffff8000
	s_and_saveexec_b64 s[14:15], s[16:17]
	s_cbranch_execz .LBB912_436
; %bb.433:                              ;   in Loop: Header=BB912_215 Depth=1
	v_and_b32_e32 v44, 0x7f, v42
	v_cmp_ne_u32_e32 vcc, s21, v44
	v_mov_b32_e32 v59, 0x7f80
	s_and_saveexec_b64 s[16:17], vcc
	s_cbranch_execz .LBB912_435
; %bb.434:                              ;   in Loop: Header=BB912_215 Depth=1
	v_and_b32_e32 v46, 7, v42
	v_ffbh_u32_e32 v61, v46
	v_min_u32_e32 v61, 32, v61
	v_subrev_u32_e32 v62, 28, v61
	v_lshlrev_b64 v[62:63], v62, v[42:43]
	v_lshrrev_b32_e32 v59, 3, v44
	v_sub_u32_e32 v61, 29, v61
	v_and_b32_e32 v62, 7, v62
	v_cmp_gt_u32_e32 vcc, 8, v44
	v_cndmask_b32_e32 v44, v59, v61, vcc
	v_cndmask_b32_e32 v46, v46, v62, vcc
	v_lshlrev_b32_e32 v59, 24, v42
	v_lshlrev_b32_e32 v46, 20, v46
	v_and_b32_e32 v59, 0x80000000, v59
	v_lshl_add_u32 v44, v44, 23, v56
	v_or3_b32 v44, v59, v44, v46
	v_lshrrev_b32_e32 v59, 16, v44
.LBB912_435:                            ;   in Loop: Header=BB912_215 Depth=1
	s_or_b64 exec, exec, s[16:17]
.LBB912_436:                            ;   in Loop: Header=BB912_215 Depth=1
	s_or_b64 exec, exec, s[14:15]
.LBB912_437:                            ;   in Loop: Header=BB912_215 Depth=1
	s_or_b64 exec, exec, s[12:13]
	v_lshrrev_b16_e32 v44, 8, v42
	v_cmp_ne_u16_e32 vcc, 0, v44
	v_mov_b32_e32 v62, 0
	v_mov_b32_e32 v61, 0
	s_and_saveexec_b64 s[12:13], vcc
	s_cbranch_execz .LBB912_443
; %bb.438:                              ;   in Loop: Header=BB912_215 Depth=1
	v_cmp_ne_u16_e32 vcc, s9, v44
	v_mov_b32_e32 v61, 0xffff8000
	s_and_saveexec_b64 s[14:15], vcc
	s_cbranch_execz .LBB912_442
; %bb.439:                              ;   in Loop: Header=BB912_215 Depth=1
	v_and_b32_e32 v46, 0x7f, v44
	v_cmp_ne_u32_e32 vcc, s21, v46
	v_mov_b32_e32 v61, 0x7f80
	s_and_saveexec_b64 s[16:17], vcc
	s_cbranch_execz .LBB912_441
; %bb.440:                              ;   in Loop: Header=BB912_215 Depth=1
	v_and_b32_e32 v61, 7, v44
	v_ffbh_u32_e32 v64, v61
	v_min_u32_e32 v66, 32, v64
	v_subrev_u32_e32 v64, 28, v66
	v_lshlrev_b64 v[64:65], v64, v[44:45]
	v_lshrrev_b32_e32 v63, 3, v46
	v_sub_u32_e32 v44, 29, v66
	v_and_b32_e32 v64, 7, v64
	v_cmp_gt_u32_e32 vcc, 8, v46
	v_cndmask_b32_e32 v44, v63, v44, vcc
	v_cndmask_b32_e32 v46, v61, v64, vcc
	v_lshlrev_b32_e32 v61, 16, v42
	v_lshlrev_b32_e32 v46, 20, v46
	v_and_b32_e32 v61, 0x80000000, v61
	v_lshl_add_u32 v44, v44, 23, v56
	v_or3_b32 v44, v61, v44, v46
	v_lshrrev_b32_e32 v61, 16, v44
.LBB912_441:                            ;   in Loop: Header=BB912_215 Depth=1
	s_or_b64 exec, exec, s[16:17]
.LBB912_442:                            ;   in Loop: Header=BB912_215 Depth=1
	s_or_b64 exec, exec, s[14:15]
.LBB912_443:                            ;   in Loop: Header=BB912_215 Depth=1
	s_or_b64 exec, exec, s[12:13]
	v_lshrrev_b32_e32 v44, 16, v42
	v_cmp_ne_u16_sdwa s[14:15], v44, v55 src0_sel:BYTE_0 src1_sel:DWORD
	s_and_saveexec_b64 s[12:13], s[14:15]
	s_cbranch_execz .LBB912_449
; %bb.444:                              ;   in Loop: Header=BB912_215 Depth=1
	v_cmp_ne_u16_sdwa s[16:17], v44, s9 src0_sel:BYTE_0 src1_sel:DWORD
	v_mov_b32_e32 v62, 0xffff8000
	s_and_saveexec_b64 s[14:15], s[16:17]
	s_cbranch_execz .LBB912_448
; %bb.445:                              ;   in Loop: Header=BB912_215 Depth=1
	v_bfe_u32 v46, v42, 16, 7
	v_cmp_ne_u32_e32 vcc, s21, v46
	v_mov_b32_e32 v62, 0x7f80
	s_and_saveexec_b64 s[16:17], vcc
	s_cbranch_execz .LBB912_447
; %bb.446:                              ;   in Loop: Header=BB912_215 Depth=1
	v_and_b32_e32 v64, 7, v44
	v_ffbh_u32_e32 v62, v64
	v_min_u32_e32 v66, 32, v62
	v_subrev_u32_e32 v62, 28, v66
	v_lshlrev_b64 v[62:63], v62, v[44:45]
	v_lshrrev_b32_e32 v65, 3, v46
	v_sub_u32_e32 v63, 29, v66
	v_and_b32_e32 v62, 7, v62
	v_cmp_gt_u32_e32 vcc, 8, v46
	v_cndmask_b32_e32 v46, v65, v63, vcc
	v_cndmask_b32_e32 v62, v64, v62, vcc
	v_lshlrev_b32_e32 v44, 24, v44
	v_lshlrev_b32_e32 v62, 20, v62
	v_and_b32_e32 v44, 0x80000000, v44
	v_lshl_add_u32 v46, v46, 23, v56
	v_or3_b32 v44, v44, v46, v62
	v_lshrrev_b32_e32 v62, 16, v44
.LBB912_447:                            ;   in Loop: Header=BB912_215 Depth=1
	s_or_b64 exec, exec, s[16:17]
.LBB912_448:                            ;   in Loop: Header=BB912_215 Depth=1
	s_or_b64 exec, exec, s[14:15]
.LBB912_449:                            ;   in Loop: Header=BB912_215 Depth=1
	s_or_b64 exec, exec, s[12:13]
	v_cmp_lt_u32_e32 vcc, s22, v42
	v_mov_b32_e32 v46, 0
	v_mov_b32_e32 v63, 0
	s_and_saveexec_b64 s[12:13], vcc
	s_cbranch_execz .LBB912_455
; %bb.450:                              ;   in Loop: Header=BB912_215 Depth=1
	v_lshrrev_b32_e32 v44, 24, v42
	v_cmp_ne_u32_e32 vcc, s9, v44
	v_mov_b32_e32 v63, 0xffff8000
	s_and_saveexec_b64 s[14:15], vcc
	s_cbranch_execz .LBB912_454
; %bb.451:                              ;   in Loop: Header=BB912_215 Depth=1
	v_bfe_u32 v42, v42, 24, 7
	v_cmp_ne_u32_e32 vcc, s21, v42
	v_mov_b32_e32 v63, 0x7f80
	s_and_saveexec_b64 s[16:17], vcc
	s_cbranch_execz .LBB912_453
; %bb.452:                              ;   in Loop: Header=BB912_215 Depth=1
	v_and_b32_e32 v63, 7, v44
	v_ffbh_u32_e32 v64, v63
	v_min_u32_e32 v67, 32, v64
	v_subrev_u32_e32 v64, 28, v67
	v_lshlrev_b64 v[64:65], v64, v[44:45]
	v_lshrrev_b32_e32 v66, 3, v42
	v_sub_u32_e32 v65, 29, v67
	v_and_b32_e32 v64, 7, v64
	v_cmp_gt_u32_e32 vcc, 8, v42
	v_cndmask_b32_e32 v42, v66, v65, vcc
	v_cndmask_b32_e32 v63, v63, v64, vcc
	v_lshlrev_b32_e32 v44, 24, v44
	v_lshlrev_b32_e32 v63, 20, v63
	v_and_b32_e32 v44, 0x80000000, v44
	v_lshl_add_u32 v42, v42, 23, v56
	v_or3_b32 v42, v44, v42, v63
	v_lshrrev_b32_e32 v63, 16, v42
.LBB912_453:                            ;   in Loop: Header=BB912_215 Depth=1
	s_or_b64 exec, exec, s[16:17]
.LBB912_454:                            ;   in Loop: Header=BB912_215 Depth=1
	s_or_b64 exec, exec, s[14:15]
.LBB912_455:                            ;   in Loop: Header=BB912_215 Depth=1
	s_or_b64 exec, exec, s[12:13]
	v_perm_b32 v65, v60, v58, s23
	v_perm_b32 v64, v52, v57, s23
	;; [unrolled: 1-line block ×4, first 2 shown]
	s_waitcnt vmcnt(1)
	v_cmp_ne_u16_sdwa s[14:15], v40, v55 src0_sel:BYTE_0 src1_sel:DWORD
	v_mfma_f32_16x16x16bf16_1k v[34:37], v[64:65], v[18:19], v[34:37]
	v_mfma_f32_16x16x16bf16_1k v[34:37], v[62:63], v[20:21], v[34:37]
	s_and_saveexec_b64 s[12:13], s[14:15]
	s_cbranch_execz .LBB912_461
; %bb.456:                              ;   in Loop: Header=BB912_215 Depth=1
	v_cmp_ne_u16_sdwa s[16:17], v40, s9 src0_sel:BYTE_0 src1_sel:DWORD
	v_mov_b32_e32 v46, 0xffff8000
	s_and_saveexec_b64 s[14:15], s[16:17]
	s_cbranch_execz .LBB912_460
; %bb.457:                              ;   in Loop: Header=BB912_215 Depth=1
	v_and_b32_e32 v42, 0x7f, v40
	v_cmp_ne_u32_e32 vcc, s21, v42
	v_mov_b32_e32 v46, 0x7f80
	s_and_saveexec_b64 s[16:17], vcc
	s_cbranch_execz .LBB912_459
; %bb.458:                              ;   in Loop: Header=BB912_215 Depth=1
	v_and_b32_e32 v44, 7, v40
	v_ffbh_u32_e32 v52, v44
	v_min_u32_e32 v52, 32, v52
	v_subrev_u32_e32 v57, 28, v52
	v_lshlrev_b64 v[58:59], v57, v[40:41]
	v_lshrrev_b32_e32 v46, 3, v42
	v_sub_u32_e32 v52, 29, v52
	v_and_b32_e32 v57, 7, v58
	v_cmp_gt_u32_e32 vcc, 8, v42
	v_cndmask_b32_e32 v42, v46, v52, vcc
	v_cndmask_b32_e32 v44, v44, v57, vcc
	v_lshlrev_b32_e32 v46, 24, v40
	v_lshlrev_b32_e32 v44, 20, v44
	v_and_b32_e32 v46, 0x80000000, v46
	v_lshl_add_u32 v42, v42, 23, v56
	v_or3_b32 v42, v46, v42, v44
	v_lshrrev_b32_e32 v46, 16, v42
.LBB912_459:                            ;   in Loop: Header=BB912_215 Depth=1
	s_or_b64 exec, exec, s[16:17]
.LBB912_460:                            ;   in Loop: Header=BB912_215 Depth=1
	s_or_b64 exec, exec, s[14:15]
.LBB912_461:                            ;   in Loop: Header=BB912_215 Depth=1
	s_or_b64 exec, exec, s[12:13]
	v_lshrrev_b16_e32 v42, 8, v40
	v_cmp_ne_u16_e32 vcc, 0, v42
	v_mov_b32_e32 v57, 0
	v_mov_b32_e32 v44, 0
	s_and_saveexec_b64 s[12:13], vcc
	s_cbranch_execz .LBB912_467
; %bb.462:                              ;   in Loop: Header=BB912_215 Depth=1
	v_cmp_ne_u16_e32 vcc, s9, v42
	v_mov_b32_e32 v44, 0xffff8000
	s_and_saveexec_b64 s[14:15], vcc
	s_cbranch_execz .LBB912_466
; %bb.463:                              ;   in Loop: Header=BB912_215 Depth=1
	v_and_b32_e32 v52, 0x7f, v42
	v_cmp_ne_u32_e32 vcc, s21, v52
	v_mov_b32_e32 v44, 0x7f80
	s_and_saveexec_b64 s[16:17], vcc
	s_cbranch_execz .LBB912_465
; %bb.464:                              ;   in Loop: Header=BB912_215 Depth=1
	v_and_b32_e32 v44, 7, v42
	v_ffbh_u32_e32 v58, v44
	v_min_u32_e32 v61, 32, v58
	v_subrev_u32_e32 v58, 28, v61
	v_lshlrev_b64 v[58:59], v58, v[42:43]
	v_lshrrev_b32_e32 v60, 3, v52
	v_sub_u32_e32 v42, 29, v61
	v_and_b32_e32 v58, 7, v58
	v_cmp_gt_u32_e32 vcc, 8, v52
	v_cndmask_b32_e32 v42, v60, v42, vcc
	v_cndmask_b32_e32 v44, v44, v58, vcc
	v_lshlrev_b32_e32 v52, 16, v40
	v_lshlrev_b32_e32 v44, 20, v44
	v_and_b32_e32 v52, 0x80000000, v52
	v_lshl_add_u32 v42, v42, 23, v56
	v_or3_b32 v42, v52, v42, v44
	v_lshrrev_b32_e32 v44, 16, v42
.LBB912_465:                            ;   in Loop: Header=BB912_215 Depth=1
	s_or_b64 exec, exec, s[16:17]
.LBB912_466:                            ;   in Loop: Header=BB912_215 Depth=1
	s_or_b64 exec, exec, s[14:15]
.LBB912_467:                            ;   in Loop: Header=BB912_215 Depth=1
	s_or_b64 exec, exec, s[12:13]
	v_lshrrev_b32_e32 v42, 16, v40
	v_cmp_ne_u16_sdwa s[14:15], v42, v55 src0_sel:BYTE_0 src1_sel:DWORD
	s_and_saveexec_b64 s[12:13], s[14:15]
	s_cbranch_execz .LBB912_473
; %bb.468:                              ;   in Loop: Header=BB912_215 Depth=1
	v_cmp_ne_u16_sdwa s[16:17], v42, s9 src0_sel:BYTE_0 src1_sel:DWORD
	v_mov_b32_e32 v57, 0xffff8000
	s_and_saveexec_b64 s[14:15], s[16:17]
	s_cbranch_execz .LBB912_472
; %bb.469:                              ;   in Loop: Header=BB912_215 Depth=1
	v_bfe_u32 v52, v40, 16, 7
	v_cmp_ne_u32_e32 vcc, s21, v52
	v_mov_b32_e32 v57, 0x7f80
	s_and_saveexec_b64 s[16:17], vcc
	s_cbranch_execz .LBB912_471
; %bb.470:                              ;   in Loop: Header=BB912_215 Depth=1
	v_and_b32_e32 v57, 7, v42
	v_ffbh_u32_e32 v58, v57
	v_min_u32_e32 v61, 32, v58
	v_subrev_u32_e32 v58, 28, v61
	v_lshlrev_b64 v[58:59], v58, v[42:43]
	v_lshrrev_b32_e32 v60, 3, v52
	v_sub_u32_e32 v59, 29, v61
	v_and_b32_e32 v58, 7, v58
	v_cmp_gt_u32_e32 vcc, 8, v52
	v_cndmask_b32_e32 v52, v60, v59, vcc
	v_cndmask_b32_e32 v57, v57, v58, vcc
	v_lshlrev_b32_e32 v42, 24, v42
	v_lshlrev_b32_e32 v57, 20, v57
	v_and_b32_e32 v42, 0x80000000, v42
	v_lshl_add_u32 v52, v52, 23, v56
	v_or3_b32 v42, v42, v52, v57
	v_lshrrev_b32_e32 v57, 16, v42
.LBB912_471:                            ;   in Loop: Header=BB912_215 Depth=1
	s_or_b64 exec, exec, s[16:17]
.LBB912_472:                            ;   in Loop: Header=BB912_215 Depth=1
	s_or_b64 exec, exec, s[14:15]
.LBB912_473:                            ;   in Loop: Header=BB912_215 Depth=1
	s_or_b64 exec, exec, s[12:13]
	v_cmp_lt_u32_e32 vcc, s22, v40
	v_mov_b32_e32 v58, 0
	v_mov_b32_e32 v59, 0
	s_and_saveexec_b64 s[12:13], vcc
	s_cbranch_execz .LBB912_479
; %bb.474:                              ;   in Loop: Header=BB912_215 Depth=1
	v_lshrrev_b32_e32 v42, 24, v40
	v_cmp_ne_u32_e32 vcc, s9, v42
	v_mov_b32_e32 v59, 0xffff8000
	s_and_saveexec_b64 s[14:15], vcc
	s_cbranch_execz .LBB912_478
; %bb.475:                              ;   in Loop: Header=BB912_215 Depth=1
	v_bfe_u32 v40, v40, 24, 7
	v_cmp_ne_u32_e32 vcc, s21, v40
	v_mov_b32_e32 v59, 0x7f80
	s_and_saveexec_b64 s[16:17], vcc
	s_cbranch_execz .LBB912_477
; %bb.476:                              ;   in Loop: Header=BB912_215 Depth=1
	v_and_b32_e32 v52, 7, v42
	v_ffbh_u32_e32 v60, v52
	v_min_u32_e32 v62, 32, v60
	v_subrev_u32_e32 v60, 28, v62
	v_lshlrev_b64 v[60:61], v60, v[42:43]
	v_lshrrev_b32_e32 v59, 3, v40
	v_sub_u32_e32 v61, 29, v62
	v_and_b32_e32 v60, 7, v60
	v_cmp_gt_u32_e32 vcc, 8, v40
	v_cndmask_b32_e32 v40, v59, v61, vcc
	v_cndmask_b32_e32 v52, v52, v60, vcc
	v_lshlrev_b32_e32 v42, 24, v42
	v_lshlrev_b32_e32 v52, 20, v52
	v_and_b32_e32 v42, 0x80000000, v42
	v_lshl_add_u32 v40, v40, 23, v56
	v_or3_b32 v40, v42, v40, v52
	v_lshrrev_b32_e32 v59, 16, v40
.LBB912_477:                            ;   in Loop: Header=BB912_215 Depth=1
	s_or_b64 exec, exec, s[16:17]
.LBB912_478:                            ;   in Loop: Header=BB912_215 Depth=1
	s_or_b64 exec, exec, s[14:15]
.LBB912_479:                            ;   in Loop: Header=BB912_215 Depth=1
	s_or_b64 exec, exec, s[12:13]
	s_waitcnt vmcnt(0)
	v_cmp_ne_u16_sdwa s[14:15], v38, v55 src0_sel:BYTE_0 src1_sel:DWORD
	s_and_saveexec_b64 s[12:13], s[14:15]
	s_cbranch_execz .LBB912_485
; %bb.480:                              ;   in Loop: Header=BB912_215 Depth=1
	v_cmp_ne_u16_sdwa s[16:17], v38, s9 src0_sel:BYTE_0 src1_sel:DWORD
	v_mov_b32_e32 v58, 0xffff8000
	s_and_saveexec_b64 s[14:15], s[16:17]
	s_cbranch_execz .LBB912_484
; %bb.481:                              ;   in Loop: Header=BB912_215 Depth=1
	v_and_b32_e32 v40, 0x7f, v38
	v_cmp_ne_u32_e32 vcc, s21, v40
	v_mov_b32_e32 v58, 0x7f80
	s_and_saveexec_b64 s[16:17], vcc
	s_cbranch_execz .LBB912_483
; %bb.482:                              ;   in Loop: Header=BB912_215 Depth=1
	v_and_b32_e32 v42, 7, v38
	v_ffbh_u32_e32 v58, v42
	v_min_u32_e32 v58, 32, v58
	v_subrev_u32_e32 v60, 28, v58
	v_lshlrev_b64 v[60:61], v60, v[38:39]
	v_lshrrev_b32_e32 v52, 3, v40
	v_sub_u32_e32 v58, 29, v58
	v_and_b32_e32 v60, 7, v60
	v_cmp_gt_u32_e32 vcc, 8, v40
	v_cndmask_b32_e32 v40, v52, v58, vcc
	v_cndmask_b32_e32 v42, v42, v60, vcc
	v_lshlrev_b32_e32 v52, 24, v38
	v_lshlrev_b32_e32 v42, 20, v42
	v_and_b32_e32 v52, 0x80000000, v52
	v_lshl_add_u32 v40, v40, 23, v56
	v_or3_b32 v40, v52, v40, v42
	v_lshrrev_b32_e32 v58, 16, v40
.LBB912_483:                            ;   in Loop: Header=BB912_215 Depth=1
	s_or_b64 exec, exec, s[16:17]
.LBB912_484:                            ;   in Loop: Header=BB912_215 Depth=1
	s_or_b64 exec, exec, s[14:15]
.LBB912_485:                            ;   in Loop: Header=BB912_215 Depth=1
	s_or_b64 exec, exec, s[12:13]
	v_lshrrev_b16_e32 v40, 8, v38
	v_cmp_ne_u16_e32 vcc, 0, v40
	v_mov_b32_e32 v61, 0
	v_mov_b32_e32 v60, 0
	s_and_saveexec_b64 s[12:13], vcc
	s_cbranch_execz .LBB912_491
; %bb.486:                              ;   in Loop: Header=BB912_215 Depth=1
	v_cmp_ne_u16_e32 vcc, s9, v40
	v_mov_b32_e32 v60, 0xffff8000
	s_and_saveexec_b64 s[14:15], vcc
	s_cbranch_execz .LBB912_490
; %bb.487:                              ;   in Loop: Header=BB912_215 Depth=1
	v_and_b32_e32 v42, 0x7f, v40
	v_cmp_ne_u32_e32 vcc, s21, v42
	v_mov_b32_e32 v60, 0x7f80
	s_and_saveexec_b64 s[16:17], vcc
	s_cbranch_execz .LBB912_489
; %bb.488:                              ;   in Loop: Header=BB912_215 Depth=1
	v_and_b32_e32 v52, 7, v40
	v_ffbh_u32_e32 v62, v52
	v_min_u32_e32 v64, 32, v62
	v_subrev_u32_e32 v62, 28, v64
	v_lshlrev_b64 v[62:63], v62, v[40:41]
	v_lshrrev_b32_e32 v60, 3, v42
	v_sub_u32_e32 v40, 29, v64
	v_and_b32_e32 v62, 7, v62
	v_cmp_gt_u32_e32 vcc, 8, v42
	v_cndmask_b32_e32 v40, v60, v40, vcc
	v_cndmask_b32_e32 v42, v52, v62, vcc
	v_lshlrev_b32_e32 v52, 16, v38
	v_lshlrev_b32_e32 v42, 20, v42
	v_and_b32_e32 v52, 0x80000000, v52
	v_lshl_add_u32 v40, v40, 23, v56
	v_or3_b32 v40, v52, v40, v42
	v_lshrrev_b32_e32 v60, 16, v40
.LBB912_489:                            ;   in Loop: Header=BB912_215 Depth=1
	s_or_b64 exec, exec, s[16:17]
.LBB912_490:                            ;   in Loop: Header=BB912_215 Depth=1
	s_or_b64 exec, exec, s[14:15]
.LBB912_491:                            ;   in Loop: Header=BB912_215 Depth=1
	s_or_b64 exec, exec, s[12:13]
	v_lshrrev_b32_e32 v40, 16, v38
	v_cmp_ne_u16_sdwa s[14:15], v40, v55 src0_sel:BYTE_0 src1_sel:DWORD
	s_and_saveexec_b64 s[12:13], s[14:15]
	s_cbranch_execz .LBB912_497
; %bb.492:                              ;   in Loop: Header=BB912_215 Depth=1
	v_cmp_ne_u16_sdwa s[16:17], v40, s9 src0_sel:BYTE_0 src1_sel:DWORD
	v_mov_b32_e32 v61, 0xffff8000
	s_and_saveexec_b64 s[14:15], s[16:17]
	s_cbranch_execz .LBB912_496
; %bb.493:                              ;   in Loop: Header=BB912_215 Depth=1
	v_bfe_u32 v42, v38, 16, 7
	v_cmp_ne_u32_e32 vcc, s21, v42
	v_mov_b32_e32 v61, 0x7f80
	s_and_saveexec_b64 s[16:17], vcc
	s_cbranch_execz .LBB912_495
; %bb.494:                              ;   in Loop: Header=BB912_215 Depth=1
	v_and_b32_e32 v52, 7, v40
	v_ffbh_u32_e32 v62, v52
	v_min_u32_e32 v64, 32, v62
	v_subrev_u32_e32 v62, 28, v64
	v_lshlrev_b64 v[62:63], v62, v[40:41]
	v_lshrrev_b32_e32 v61, 3, v42
	v_sub_u32_e32 v63, 29, v64
	v_and_b32_e32 v62, 7, v62
	v_cmp_gt_u32_e32 vcc, 8, v42
	v_cndmask_b32_e32 v42, v61, v63, vcc
	v_cndmask_b32_e32 v52, v52, v62, vcc
	v_lshlrev_b32_e32 v40, 24, v40
	v_lshlrev_b32_e32 v52, 20, v52
	v_and_b32_e32 v40, 0x80000000, v40
	v_lshl_add_u32 v42, v42, 23, v56
	v_or3_b32 v40, v40, v42, v52
	v_lshrrev_b32_e32 v61, 16, v40
.LBB912_495:                            ;   in Loop: Header=BB912_215 Depth=1
	s_or_b64 exec, exec, s[16:17]
.LBB912_496:                            ;   in Loop: Header=BB912_215 Depth=1
	s_or_b64 exec, exec, s[14:15]
.LBB912_497:                            ;   in Loop: Header=BB912_215 Depth=1
	s_or_b64 exec, exec, s[12:13]
	v_cmp_lt_u32_e32 vcc, s22, v38
	v_mov_b32_e32 v52, 0
	v_mov_b32_e32 v62, 0
	s_and_saveexec_b64 s[12:13], vcc
	s_cbranch_execz .LBB912_503
; %bb.498:                              ;   in Loop: Header=BB912_215 Depth=1
	v_lshrrev_b32_e32 v40, 24, v38
	v_cmp_ne_u32_e32 vcc, s9, v40
	v_mov_b32_e32 v62, 0xffff8000
	s_and_saveexec_b64 s[14:15], vcc
	s_cbranch_execz .LBB912_502
; %bb.499:                              ;   in Loop: Header=BB912_215 Depth=1
	v_bfe_u32 v38, v38, 24, 7
	v_cmp_ne_u32_e32 vcc, s21, v38
	v_mov_b32_e32 v62, 0x7f80
	s_and_saveexec_b64 s[16:17], vcc
	s_cbranch_execz .LBB912_501
; %bb.500:                              ;   in Loop: Header=BB912_215 Depth=1
	v_and_b32_e32 v42, 7, v40
	v_ffbh_u32_e32 v62, v42
	v_min_u32_e32 v65, 32, v62
	v_subrev_u32_e32 v62, 28, v65
	v_lshlrev_b64 v[62:63], v62, v[40:41]
	v_lshrrev_b32_e32 v64, 3, v38
	v_sub_u32_e32 v63, 29, v65
	v_and_b32_e32 v62, 7, v62
	v_cmp_gt_u32_e32 vcc, 8, v38
	v_cndmask_b32_e32 v38, v64, v63, vcc
	v_cndmask_b32_e32 v42, v42, v62, vcc
	v_lshlrev_b32_e32 v40, 24, v40
	v_lshlrev_b32_e32 v42, 20, v42
	v_and_b32_e32 v40, 0x80000000, v40
	v_lshl_add_u32 v38, v38, 23, v56
	v_or3_b32 v38, v40, v38, v42
	v_lshrrev_b32_e32 v62, 16, v38
.LBB912_501:                            ;   in Loop: Header=BB912_215 Depth=1
	s_or_b64 exec, exec, s[16:17]
.LBB912_502:                            ;   in Loop: Header=BB912_215 Depth=1
	s_or_b64 exec, exec, s[14:15]
.LBB912_503:                            ;   in Loop: Header=BB912_215 Depth=1
	s_or_b64 exec, exec, s[12:13]
	v_perm_b32 v64, v44, v46, s23
	buffer_load_dword v44, v51, s[0:3], 0 offen
	buffer_load_dword v42, v51, s[0:3], 0 offen offset:4
	buffer_load_dword v40, v51, s[0:3], 0 offen offset:8
	;; [unrolled: 1-line block ×3, first 2 shown]
	v_perm_b32 v65, v59, v57, s23
	v_perm_b32 v59, v62, v61, s23
	;; [unrolled: 1-line block ×3, first 2 shown]
	v_mfma_f32_16x16x16bf16_1k v[34:37], v[64:65], v[22:23], v[34:37]
	s_waitcnt vmcnt(3)
	v_cmp_ne_u16_sdwa s[14:15], v44, v55 src0_sel:BYTE_0 src1_sel:DWORD
	v_mfma_f32_16x16x16bf16_1k v[34:37], v[58:59], v[24:25], v[34:37]
	s_and_saveexec_b64 s[12:13], s[14:15]
	s_cbranch_execz .LBB912_509
; %bb.504:                              ;   in Loop: Header=BB912_215 Depth=1
	v_cmp_ne_u16_sdwa s[16:17], v44, s9 src0_sel:BYTE_0 src1_sel:DWORD
	v_mov_b32_e32 v52, 0xffff8000
	s_and_saveexec_b64 s[14:15], s[16:17]
	s_cbranch_execz .LBB912_508
; %bb.505:                              ;   in Loop: Header=BB912_215 Depth=1
	v_and_b32_e32 v46, 0x7f, v44
	v_cmp_ne_u32_e32 vcc, s21, v46
	v_mov_b32_e32 v52, 0x7f80
	s_and_saveexec_b64 s[16:17], vcc
	s_cbranch_execz .LBB912_507
; %bb.506:                              ;   in Loop: Header=BB912_215 Depth=1
	v_and_b32_e32 v51, 7, v44
	v_ffbh_u32_e32 v57, v51
	v_min_u32_e32 v57, 32, v57
	v_subrev_u32_e32 v58, 28, v57
	v_lshlrev_b64 v[58:59], v58, v[44:45]
	v_lshrrev_b32_e32 v52, 3, v46
	v_sub_u32_e32 v57, 29, v57
	v_and_b32_e32 v58, 7, v58
	v_cmp_gt_u32_e32 vcc, 8, v46
	v_cndmask_b32_e32 v46, v52, v57, vcc
	v_cndmask_b32_e32 v51, v51, v58, vcc
	v_lshlrev_b32_e32 v52, 24, v44
	v_lshlrev_b32_e32 v51, 20, v51
	v_and_b32_e32 v52, 0x80000000, v52
	v_lshl_add_u32 v46, v46, 23, v56
	v_or3_b32 v46, v52, v46, v51
	v_lshrrev_b32_e32 v52, 16, v46
.LBB912_507:                            ;   in Loop: Header=BB912_215 Depth=1
	s_or_b64 exec, exec, s[16:17]
.LBB912_508:                            ;   in Loop: Header=BB912_215 Depth=1
	s_or_b64 exec, exec, s[14:15]
.LBB912_509:                            ;   in Loop: Header=BB912_215 Depth=1
	s_or_b64 exec, exec, s[12:13]
	v_lshrrev_b16_e32 v46, 8, v44
	v_cmp_ne_u16_e32 vcc, 0, v46
	v_mov_b32_e32 v57, 0
	v_mov_b32_e32 v51, 0
	s_and_saveexec_b64 s[12:13], vcc
	s_cbranch_execz .LBB912_515
; %bb.510:                              ;   in Loop: Header=BB912_215 Depth=1
	v_cmp_ne_u16_e32 vcc, s9, v46
	v_mov_b32_e32 v51, 0xffff8000
	s_and_saveexec_b64 s[14:15], vcc
	s_cbranch_execz .LBB912_514
; %bb.511:                              ;   in Loop: Header=BB912_215 Depth=1
	v_and_b32_e32 v58, 0x7f, v46
	v_cmp_ne_u32_e32 vcc, s21, v58
	v_mov_b32_e32 v51, 0x7f80
	s_and_saveexec_b64 s[16:17], vcc
	s_cbranch_execz .LBB912_513
; %bb.512:                              ;   in Loop: Header=BB912_215 Depth=1
	v_and_b32_e32 v51, 7, v46
	v_ffbh_u32_e32 v60, v51
	v_min_u32_e32 v62, 32, v60
	v_subrev_u32_e32 v60, 28, v62
	v_lshlrev_b64 v[60:61], v60, v[46:47]
	v_lshrrev_b32_e32 v59, 3, v58
	v_sub_u32_e32 v46, 29, v62
	v_and_b32_e32 v60, 7, v60
	v_cmp_gt_u32_e32 vcc, 8, v58
	v_cndmask_b32_e32 v46, v59, v46, vcc
	v_cndmask_b32_e32 v51, v51, v60, vcc
	v_lshlrev_b32_e32 v58, 16, v44
	v_lshlrev_b32_e32 v51, 20, v51
	v_and_b32_e32 v58, 0x80000000, v58
	v_lshl_add_u32 v46, v46, 23, v56
	v_or3_b32 v46, v58, v46, v51
	v_lshrrev_b32_e32 v51, 16, v46
.LBB912_513:                            ;   in Loop: Header=BB912_215 Depth=1
	s_or_b64 exec, exec, s[16:17]
.LBB912_514:                            ;   in Loop: Header=BB912_215 Depth=1
	s_or_b64 exec, exec, s[14:15]
.LBB912_515:                            ;   in Loop: Header=BB912_215 Depth=1
	s_or_b64 exec, exec, s[12:13]
	v_lshrrev_b32_e32 v46, 16, v44
	v_cmp_ne_u16_sdwa s[14:15], v46, v55 src0_sel:BYTE_0 src1_sel:DWORD
	s_and_saveexec_b64 s[12:13], s[14:15]
	s_cbranch_execz .LBB912_521
; %bb.516:                              ;   in Loop: Header=BB912_215 Depth=1
	v_cmp_ne_u16_sdwa s[16:17], v46, s9 src0_sel:BYTE_0 src1_sel:DWORD
	v_mov_b32_e32 v57, 0xffff8000
	s_and_saveexec_b64 s[14:15], s[16:17]
	s_cbranch_execz .LBB912_520
; %bb.517:                              ;   in Loop: Header=BB912_215 Depth=1
	v_bfe_u32 v58, v44, 16, 7
	v_cmp_ne_u32_e32 vcc, s21, v58
	v_mov_b32_e32 v57, 0x7f80
	s_and_saveexec_b64 s[16:17], vcc
	s_cbranch_execz .LBB912_519
; %bb.518:                              ;   in Loop: Header=BB912_215 Depth=1
	v_and_b32_e32 v57, 7, v46
	v_ffbh_u32_e32 v60, v57
	v_min_u32_e32 v62, 32, v60
	v_subrev_u32_e32 v60, 28, v62
	v_lshlrev_b64 v[60:61], v60, v[46:47]
	v_lshrrev_b32_e32 v59, 3, v58
	v_sub_u32_e32 v61, 29, v62
	v_and_b32_e32 v60, 7, v60
	v_cmp_gt_u32_e32 vcc, 8, v58
	v_cndmask_b32_e32 v58, v59, v61, vcc
	v_cndmask_b32_e32 v57, v57, v60, vcc
	v_lshlrev_b32_e32 v46, 24, v46
	v_lshlrev_b32_e32 v57, 20, v57
	v_and_b32_e32 v46, 0x80000000, v46
	v_lshl_add_u32 v58, v58, 23, v56
	v_or3_b32 v46, v46, v58, v57
	v_lshrrev_b32_e32 v57, 16, v46
.LBB912_519:                            ;   in Loop: Header=BB912_215 Depth=1
	s_or_b64 exec, exec, s[16:17]
.LBB912_520:                            ;   in Loop: Header=BB912_215 Depth=1
	s_or_b64 exec, exec, s[14:15]
.LBB912_521:                            ;   in Loop: Header=BB912_215 Depth=1
	s_or_b64 exec, exec, s[12:13]
	v_cmp_lt_u32_e32 vcc, s22, v44
	v_mov_b32_e32 v58, 0
	v_mov_b32_e32 v59, 0
	s_and_saveexec_b64 s[12:13], vcc
	s_cbranch_execz .LBB912_527
; %bb.522:                              ;   in Loop: Header=BB912_215 Depth=1
	v_lshrrev_b32_e32 v46, 24, v44
	v_cmp_ne_u32_e32 vcc, s9, v46
	v_mov_b32_e32 v59, 0xffff8000
	s_and_saveexec_b64 s[14:15], vcc
	s_cbranch_execz .LBB912_526
; %bb.523:                              ;   in Loop: Header=BB912_215 Depth=1
	v_bfe_u32 v44, v44, 24, 7
	v_cmp_ne_u32_e32 vcc, s21, v44
	v_mov_b32_e32 v59, 0x7f80
	s_and_saveexec_b64 s[16:17], vcc
	s_cbranch_execz .LBB912_525
; %bb.524:                              ;   in Loop: Header=BB912_215 Depth=1
	v_and_b32_e32 v59, 7, v46
	v_ffbh_u32_e32 v60, v59
	v_min_u32_e32 v63, 32, v60
	v_subrev_u32_e32 v60, 28, v63
	v_lshlrev_b64 v[60:61], v60, v[46:47]
	v_lshrrev_b32_e32 v62, 3, v44
	v_sub_u32_e32 v61, 29, v63
	v_and_b32_e32 v60, 7, v60
	v_cmp_gt_u32_e32 vcc, 8, v44
	v_cndmask_b32_e32 v44, v62, v61, vcc
	v_cndmask_b32_e32 v59, v59, v60, vcc
	v_lshlrev_b32_e32 v46, 24, v46
	v_lshlrev_b32_e32 v59, 20, v59
	v_and_b32_e32 v46, 0x80000000, v46
	v_lshl_add_u32 v44, v44, 23, v56
	v_or3_b32 v44, v46, v44, v59
	v_lshrrev_b32_e32 v59, 16, v44
.LBB912_525:                            ;   in Loop: Header=BB912_215 Depth=1
	s_or_b64 exec, exec, s[16:17]
.LBB912_526:                            ;   in Loop: Header=BB912_215 Depth=1
	s_or_b64 exec, exec, s[14:15]
.LBB912_527:                            ;   in Loop: Header=BB912_215 Depth=1
	s_or_b64 exec, exec, s[12:13]
	s_waitcnt vmcnt(2)
	v_cmp_ne_u16_sdwa s[14:15], v42, v55 src0_sel:BYTE_0 src1_sel:DWORD
	s_and_saveexec_b64 s[12:13], s[14:15]
	s_cbranch_execz .LBB912_533
; %bb.528:                              ;   in Loop: Header=BB912_215 Depth=1
	v_cmp_ne_u16_sdwa s[16:17], v42, s9 src0_sel:BYTE_0 src1_sel:DWORD
	v_mov_b32_e32 v58, 0xffff8000
	s_and_saveexec_b64 s[14:15], s[16:17]
	s_cbranch_execz .LBB912_532
; %bb.529:                              ;   in Loop: Header=BB912_215 Depth=1
	v_and_b32_e32 v44, 0x7f, v42
	v_cmp_ne_u32_e32 vcc, s21, v44
	v_mov_b32_e32 v58, 0x7f80
	s_and_saveexec_b64 s[16:17], vcc
	s_cbranch_execz .LBB912_531
; %bb.530:                              ;   in Loop: Header=BB912_215 Depth=1
	v_and_b32_e32 v46, 7, v42
	v_ffbh_u32_e32 v60, v46
	v_min_u32_e32 v62, 32, v60
	v_subrev_u32_e32 v60, 28, v62
	v_lshlrev_b64 v[60:61], v60, v[42:43]
	v_lshrrev_b32_e32 v58, 3, v44
	v_sub_u32_e32 v61, 29, v62
	v_and_b32_e32 v60, 7, v60
	v_cmp_gt_u32_e32 vcc, 8, v44
	v_cndmask_b32_e32 v44, v58, v61, vcc
	v_cndmask_b32_e32 v46, v46, v60, vcc
	v_lshlrev_b32_e32 v58, 24, v42
	v_lshlrev_b32_e32 v46, 20, v46
	v_and_b32_e32 v58, 0x80000000, v58
	v_lshl_add_u32 v44, v44, 23, v56
	v_or3_b32 v44, v58, v44, v46
	v_lshrrev_b32_e32 v58, 16, v44
.LBB912_531:                            ;   in Loop: Header=BB912_215 Depth=1
	s_or_b64 exec, exec, s[16:17]
.LBB912_532:                            ;   in Loop: Header=BB912_215 Depth=1
	s_or_b64 exec, exec, s[14:15]
.LBB912_533:                            ;   in Loop: Header=BB912_215 Depth=1
	s_or_b64 exec, exec, s[12:13]
	v_lshrrev_b16_e32 v44, 8, v42
	v_cmp_ne_u16_e32 vcc, 0, v44
	v_mov_b32_e32 v61, 0
	v_mov_b32_e32 v60, 0
	s_and_saveexec_b64 s[12:13], vcc
	s_cbranch_execz .LBB912_539
; %bb.534:                              ;   in Loop: Header=BB912_215 Depth=1
	v_cmp_ne_u16_e32 vcc, s9, v44
	v_mov_b32_e32 v60, 0xffff8000
	s_and_saveexec_b64 s[14:15], vcc
	s_cbranch_execz .LBB912_538
; %bb.535:                              ;   in Loop: Header=BB912_215 Depth=1
	v_and_b32_e32 v46, 0x7f, v44
	v_cmp_ne_u32_e32 vcc, s21, v46
	v_mov_b32_e32 v60, 0x7f80
	s_and_saveexec_b64 s[16:17], vcc
	s_cbranch_execz .LBB912_537
; %bb.536:                              ;   in Loop: Header=BB912_215 Depth=1
	v_and_b32_e32 v60, 7, v44
	v_ffbh_u32_e32 v62, v60
	v_min_u32_e32 v65, 32, v62
	v_subrev_u32_e32 v62, 28, v65
	v_lshlrev_b64 v[62:63], v62, v[44:45]
	v_lshrrev_b32_e32 v64, 3, v46
	v_sub_u32_e32 v44, 29, v65
	v_and_b32_e32 v62, 7, v62
	v_cmp_gt_u32_e32 vcc, 8, v46
	v_cndmask_b32_e32 v44, v64, v44, vcc
	v_cndmask_b32_e32 v46, v60, v62, vcc
	v_lshlrev_b32_e32 v60, 16, v42
	v_lshlrev_b32_e32 v46, 20, v46
	v_and_b32_e32 v60, 0x80000000, v60
	v_lshl_add_u32 v44, v44, 23, v56
	v_or3_b32 v44, v60, v44, v46
	v_lshrrev_b32_e32 v60, 16, v44
.LBB912_537:                            ;   in Loop: Header=BB912_215 Depth=1
	s_or_b64 exec, exec, s[16:17]
.LBB912_538:                            ;   in Loop: Header=BB912_215 Depth=1
	s_or_b64 exec, exec, s[14:15]
.LBB912_539:                            ;   in Loop: Header=BB912_215 Depth=1
	s_or_b64 exec, exec, s[12:13]
	v_lshrrev_b32_e32 v44, 16, v42
	v_cmp_ne_u16_sdwa s[14:15], v44, v55 src0_sel:BYTE_0 src1_sel:DWORD
	s_and_saveexec_b64 s[12:13], s[14:15]
	s_cbranch_execz .LBB912_545
; %bb.540:                              ;   in Loop: Header=BB912_215 Depth=1
	v_cmp_ne_u16_sdwa s[16:17], v44, s9 src0_sel:BYTE_0 src1_sel:DWORD
	v_mov_b32_e32 v61, 0xffff8000
	s_and_saveexec_b64 s[14:15], s[16:17]
	s_cbranch_execz .LBB912_544
; %bb.541:                              ;   in Loop: Header=BB912_215 Depth=1
	v_bfe_u32 v46, v42, 16, 7
	v_cmp_ne_u32_e32 vcc, s21, v46
	v_mov_b32_e32 v61, 0x7f80
	s_and_saveexec_b64 s[16:17], vcc
	s_cbranch_execz .LBB912_543
; %bb.542:                              ;   in Loop: Header=BB912_215 Depth=1
	v_and_b32_e32 v61, 7, v44
	v_ffbh_u32_e32 v62, v61
	v_min_u32_e32 v65, 32, v62
	v_subrev_u32_e32 v62, 28, v65
	v_lshlrev_b64 v[62:63], v62, v[44:45]
	v_lshrrev_b32_e32 v64, 3, v46
	v_sub_u32_e32 v63, 29, v65
	v_and_b32_e32 v62, 7, v62
	v_cmp_gt_u32_e32 vcc, 8, v46
	v_cndmask_b32_e32 v46, v64, v63, vcc
	v_cndmask_b32_e32 v61, v61, v62, vcc
	v_lshlrev_b32_e32 v44, 24, v44
	v_lshlrev_b32_e32 v61, 20, v61
	v_and_b32_e32 v44, 0x80000000, v44
	v_lshl_add_u32 v46, v46, 23, v56
	v_or3_b32 v44, v44, v46, v61
	v_lshrrev_b32_e32 v61, 16, v44
.LBB912_543:                            ;   in Loop: Header=BB912_215 Depth=1
	s_or_b64 exec, exec, s[16:17]
.LBB912_544:                            ;   in Loop: Header=BB912_215 Depth=1
	s_or_b64 exec, exec, s[14:15]
.LBB912_545:                            ;   in Loop: Header=BB912_215 Depth=1
	s_or_b64 exec, exec, s[12:13]
	v_cmp_lt_u32_e32 vcc, s22, v42
	v_mov_b32_e32 v46, 0
	v_mov_b32_e32 v62, 0
	s_and_saveexec_b64 s[12:13], vcc
	s_cbranch_execz .LBB912_551
; %bb.546:                              ;   in Loop: Header=BB912_215 Depth=1
	v_lshrrev_b32_e32 v44, 24, v42
	v_cmp_ne_u32_e32 vcc, s9, v44
	v_mov_b32_e32 v62, 0xffff8000
	s_and_saveexec_b64 s[14:15], vcc
	s_cbranch_execz .LBB912_550
; %bb.547:                              ;   in Loop: Header=BB912_215 Depth=1
	v_bfe_u32 v42, v42, 24, 7
	v_cmp_ne_u32_e32 vcc, s21, v42
	v_mov_b32_e32 v62, 0x7f80
	s_and_saveexec_b64 s[16:17], vcc
	s_cbranch_execz .LBB912_549
; %bb.548:                              ;   in Loop: Header=BB912_215 Depth=1
	v_and_b32_e32 v64, 7, v44
	v_ffbh_u32_e32 v62, v64
	v_min_u32_e32 v66, 32, v62
	v_subrev_u32_e32 v62, 28, v66
	v_lshlrev_b64 v[62:63], v62, v[44:45]
	v_lshrrev_b32_e32 v65, 3, v42
	v_sub_u32_e32 v63, 29, v66
	v_and_b32_e32 v62, 7, v62
	v_cmp_gt_u32_e32 vcc, 8, v42
	v_cndmask_b32_e32 v42, v65, v63, vcc
	v_cndmask_b32_e32 v62, v64, v62, vcc
	v_lshlrev_b32_e32 v44, 24, v44
	v_lshlrev_b32_e32 v62, 20, v62
	v_and_b32_e32 v44, 0x80000000, v44
	v_lshl_add_u32 v42, v42, 23, v56
	v_or3_b32 v42, v44, v42, v62
	v_lshrrev_b32_e32 v62, 16, v42
.LBB912_549:                            ;   in Loop: Header=BB912_215 Depth=1
	s_or_b64 exec, exec, s[16:17]
.LBB912_550:                            ;   in Loop: Header=BB912_215 Depth=1
	s_or_b64 exec, exec, s[14:15]
.LBB912_551:                            ;   in Loop: Header=BB912_215 Depth=1
	s_or_b64 exec, exec, s[12:13]
	v_perm_b32 v65, v59, v57, s23
	v_perm_b32 v64, v51, v52, s23
	;; [unrolled: 1-line block ×4, first 2 shown]
	s_waitcnt vmcnt(1)
	v_cmp_ne_u16_sdwa s[14:15], v40, v55 src0_sel:BYTE_0 src1_sel:DWORD
	v_mfma_f32_16x16x16bf16_1k v[34:37], v[64:65], v[26:27], v[34:37]
	v_mfma_f32_16x16x16bf16_1k v[34:37], v[58:59], v[28:29], v[34:37]
	s_and_saveexec_b64 s[12:13], s[14:15]
	s_cbranch_execz .LBB912_557
; %bb.552:                              ;   in Loop: Header=BB912_215 Depth=1
	v_cmp_ne_u16_sdwa s[16:17], v40, s9 src0_sel:BYTE_0 src1_sel:DWORD
	v_mov_b32_e32 v46, 0xffff8000
	s_and_saveexec_b64 s[14:15], s[16:17]
	s_cbranch_execz .LBB912_556
; %bb.553:                              ;   in Loop: Header=BB912_215 Depth=1
	v_and_b32_e32 v42, 0x7f, v40
	v_cmp_ne_u32_e32 vcc, s21, v42
	v_mov_b32_e32 v46, 0x7f80
	s_and_saveexec_b64 s[16:17], vcc
	s_cbranch_execz .LBB912_555
; %bb.554:                              ;   in Loop: Header=BB912_215 Depth=1
	v_and_b32_e32 v44, 7, v40
	v_ffbh_u32_e32 v51, v44
	v_min_u32_e32 v51, 32, v51
	v_subrev_u32_e32 v52, 28, v51
	v_lshlrev_b64 v[58:59], v52, v[40:41]
	v_lshrrev_b32_e32 v46, 3, v42
	v_sub_u32_e32 v51, 29, v51
	v_and_b32_e32 v52, 7, v58
	v_cmp_gt_u32_e32 vcc, 8, v42
	v_cndmask_b32_e32 v42, v46, v51, vcc
	v_cndmask_b32_e32 v44, v44, v52, vcc
	v_lshlrev_b32_e32 v46, 24, v40
	v_lshlrev_b32_e32 v44, 20, v44
	v_and_b32_e32 v46, 0x80000000, v46
	v_lshl_add_u32 v42, v42, 23, v56
	v_or3_b32 v42, v46, v42, v44
	v_lshrrev_b32_e32 v46, 16, v42
.LBB912_555:                            ;   in Loop: Header=BB912_215 Depth=1
	s_or_b64 exec, exec, s[16:17]
.LBB912_556:                            ;   in Loop: Header=BB912_215 Depth=1
	s_or_b64 exec, exec, s[14:15]
.LBB912_557:                            ;   in Loop: Header=BB912_215 Depth=1
	s_or_b64 exec, exec, s[12:13]
	v_lshrrev_b16_e32 v42, 8, v40
	v_cmp_ne_u16_e32 vcc, 0, v42
	v_mov_b32_e32 v51, 0
	v_mov_b32_e32 v44, 0
	s_and_saveexec_b64 s[12:13], vcc
	s_cbranch_execz .LBB912_563
; %bb.558:                              ;   in Loop: Header=BB912_215 Depth=1
	v_cmp_ne_u16_e32 vcc, s9, v42
	v_mov_b32_e32 v44, 0xffff8000
	s_and_saveexec_b64 s[14:15], vcc
	s_cbranch_execz .LBB912_562
; %bb.559:                              ;   in Loop: Header=BB912_215 Depth=1
	v_and_b32_e32 v52, 0x7f, v42
	v_cmp_ne_u32_e32 vcc, s21, v52
	v_mov_b32_e32 v44, 0x7f80
	s_and_saveexec_b64 s[16:17], vcc
	s_cbranch_execz .LBB912_561
; %bb.560:                              ;   in Loop: Header=BB912_215 Depth=1
	v_and_b32_e32 v44, 7, v42
	v_ffbh_u32_e32 v58, v44
	v_min_u32_e32 v60, 32, v58
	v_subrev_u32_e32 v58, 28, v60
	v_lshlrev_b64 v[58:59], v58, v[42:43]
	v_lshrrev_b32_e32 v57, 3, v52
	v_sub_u32_e32 v42, 29, v60
	v_and_b32_e32 v58, 7, v58
	v_cmp_gt_u32_e32 vcc, 8, v52
	v_cndmask_b32_e32 v42, v57, v42, vcc
	v_cndmask_b32_e32 v44, v44, v58, vcc
	v_lshlrev_b32_e32 v52, 16, v40
	v_lshlrev_b32_e32 v44, 20, v44
	v_and_b32_e32 v52, 0x80000000, v52
	v_lshl_add_u32 v42, v42, 23, v56
	v_or3_b32 v42, v52, v42, v44
	v_lshrrev_b32_e32 v44, 16, v42
.LBB912_561:                            ;   in Loop: Header=BB912_215 Depth=1
	s_or_b64 exec, exec, s[16:17]
.LBB912_562:                            ;   in Loop: Header=BB912_215 Depth=1
	s_or_b64 exec, exec, s[14:15]
.LBB912_563:                            ;   in Loop: Header=BB912_215 Depth=1
	s_or_b64 exec, exec, s[12:13]
	v_lshrrev_b32_e32 v42, 16, v40
	v_cmp_ne_u16_sdwa s[14:15], v42, v55 src0_sel:BYTE_0 src1_sel:DWORD
	s_and_saveexec_b64 s[12:13], s[14:15]
	s_cbranch_execz .LBB912_569
; %bb.564:                              ;   in Loop: Header=BB912_215 Depth=1
	v_cmp_ne_u16_sdwa s[16:17], v42, s9 src0_sel:BYTE_0 src1_sel:DWORD
	v_mov_b32_e32 v51, 0xffff8000
	s_and_saveexec_b64 s[14:15], s[16:17]
	s_cbranch_execz .LBB912_568
; %bb.565:                              ;   in Loop: Header=BB912_215 Depth=1
	v_bfe_u32 v52, v40, 16, 7
	v_cmp_ne_u32_e32 vcc, s21, v52
	v_mov_b32_e32 v51, 0x7f80
	s_and_saveexec_b64 s[16:17], vcc
	s_cbranch_execz .LBB912_567
; %bb.566:                              ;   in Loop: Header=BB912_215 Depth=1
	v_and_b32_e32 v51, 7, v42
	v_ffbh_u32_e32 v58, v51
	v_min_u32_e32 v60, 32, v58
	v_subrev_u32_e32 v58, 28, v60
	v_lshlrev_b64 v[58:59], v58, v[42:43]
	v_lshrrev_b32_e32 v57, 3, v52
	v_sub_u32_e32 v59, 29, v60
	v_and_b32_e32 v58, 7, v58
	v_cmp_gt_u32_e32 vcc, 8, v52
	v_cndmask_b32_e32 v52, v57, v59, vcc
	v_cndmask_b32_e32 v51, v51, v58, vcc
	v_lshlrev_b32_e32 v42, 24, v42
	v_lshlrev_b32_e32 v51, 20, v51
	v_and_b32_e32 v42, 0x80000000, v42
	v_lshl_add_u32 v52, v52, 23, v56
	v_or3_b32 v42, v42, v52, v51
	v_lshrrev_b32_e32 v51, 16, v42
.LBB912_567:                            ;   in Loop: Header=BB912_215 Depth=1
	s_or_b64 exec, exec, s[16:17]
.LBB912_568:                            ;   in Loop: Header=BB912_215 Depth=1
	s_or_b64 exec, exec, s[14:15]
.LBB912_569:                            ;   in Loop: Header=BB912_215 Depth=1
	s_or_b64 exec, exec, s[12:13]
	v_cmp_lt_u32_e32 vcc, s22, v40
	v_mov_b32_e32 v52, 0
	v_mov_b32_e32 v57, 0
	s_and_saveexec_b64 s[12:13], vcc
	s_cbranch_execz .LBB912_575
; %bb.570:                              ;   in Loop: Header=BB912_215 Depth=1
	v_lshrrev_b32_e32 v42, 24, v40
	v_cmp_ne_u32_e32 vcc, s9, v42
	v_mov_b32_e32 v57, 0xffff8000
	s_and_saveexec_b64 s[14:15], vcc
	s_cbranch_execz .LBB912_574
; %bb.571:                              ;   in Loop: Header=BB912_215 Depth=1
	v_bfe_u32 v40, v40, 24, 7
	v_cmp_ne_u32_e32 vcc, s21, v40
	v_mov_b32_e32 v57, 0x7f80
	s_and_saveexec_b64 s[16:17], vcc
	s_cbranch_execz .LBB912_573
; %bb.572:                              ;   in Loop: Header=BB912_215 Depth=1
	v_and_b32_e32 v57, 7, v42
	v_ffbh_u32_e32 v58, v57
	v_min_u32_e32 v61, 32, v58
	v_subrev_u32_e32 v58, 28, v61
	v_lshlrev_b64 v[58:59], v58, v[42:43]
	v_lshrrev_b32_e32 v60, 3, v40
	v_sub_u32_e32 v59, 29, v61
	v_and_b32_e32 v58, 7, v58
	v_cmp_gt_u32_e32 vcc, 8, v40
	v_cndmask_b32_e32 v40, v60, v59, vcc
	v_cndmask_b32_e32 v57, v57, v58, vcc
	v_lshlrev_b32_e32 v42, 24, v42
	v_lshlrev_b32_e32 v57, 20, v57
	v_and_b32_e32 v42, 0x80000000, v42
	v_lshl_add_u32 v40, v40, 23, v56
	v_or3_b32 v40, v42, v40, v57
	v_lshrrev_b32_e32 v57, 16, v40
.LBB912_573:                            ;   in Loop: Header=BB912_215 Depth=1
	s_or_b64 exec, exec, s[16:17]
.LBB912_574:                            ;   in Loop: Header=BB912_215 Depth=1
	s_or_b64 exec, exec, s[14:15]
.LBB912_575:                            ;   in Loop: Header=BB912_215 Depth=1
	s_or_b64 exec, exec, s[12:13]
	s_waitcnt vmcnt(0)
	v_cmp_ne_u16_sdwa s[14:15], v38, v55 src0_sel:BYTE_0 src1_sel:DWORD
	s_and_saveexec_b64 s[12:13], s[14:15]
	s_cbranch_execz .LBB912_581
; %bb.576:                              ;   in Loop: Header=BB912_215 Depth=1
	v_cmp_ne_u16_sdwa s[16:17], v38, s9 src0_sel:BYTE_0 src1_sel:DWORD
	v_mov_b32_e32 v52, 0xffff8000
	s_and_saveexec_b64 s[14:15], s[16:17]
	s_cbranch_execz .LBB912_580
; %bb.577:                              ;   in Loop: Header=BB912_215 Depth=1
	v_and_b32_e32 v40, 0x7f, v38
	v_cmp_ne_u32_e32 vcc, s21, v40
	v_mov_b32_e32 v52, 0x7f80
	s_and_saveexec_b64 s[16:17], vcc
	s_cbranch_execz .LBB912_579
; %bb.578:                              ;   in Loop: Header=BB912_215 Depth=1
	v_and_b32_e32 v42, 7, v38
	v_ffbh_u32_e32 v58, v42
	v_min_u32_e32 v60, 32, v58
	v_subrev_u32_e32 v58, 28, v60
	v_lshlrev_b64 v[58:59], v58, v[38:39]
	v_lshrrev_b32_e32 v52, 3, v40
	v_sub_u32_e32 v59, 29, v60
	v_and_b32_e32 v58, 7, v58
	v_cmp_gt_u32_e32 vcc, 8, v40
	v_cndmask_b32_e32 v40, v52, v59, vcc
	v_cndmask_b32_e32 v42, v42, v58, vcc
	v_lshlrev_b32_e32 v52, 24, v38
	v_lshlrev_b32_e32 v42, 20, v42
	v_and_b32_e32 v52, 0x80000000, v52
	v_lshl_add_u32 v40, v40, 23, v56
	v_or3_b32 v40, v52, v40, v42
	v_lshrrev_b32_e32 v52, 16, v40
.LBB912_579:                            ;   in Loop: Header=BB912_215 Depth=1
	s_or_b64 exec, exec, s[16:17]
.LBB912_580:                            ;   in Loop: Header=BB912_215 Depth=1
	s_or_b64 exec, exec, s[14:15]
.LBB912_581:                            ;   in Loop: Header=BB912_215 Depth=1
	s_or_b64 exec, exec, s[12:13]
	v_lshrrev_b16_e32 v40, 8, v38
	v_cmp_ne_u16_e32 vcc, 0, v40
	v_mov_b32_e32 v58, 0
	v_mov_b32_e32 v42, 0
	s_and_saveexec_b64 s[12:13], vcc
	s_cbranch_execz .LBB912_587
; %bb.582:                              ;   in Loop: Header=BB912_215 Depth=1
	v_cmp_ne_u16_e32 vcc, s9, v40
	v_mov_b32_e32 v42, 0xffff8000
	s_and_saveexec_b64 s[14:15], vcc
	s_cbranch_execz .LBB912_586
; %bb.583:                              ;   in Loop: Header=BB912_215 Depth=1
	v_and_b32_e32 v59, 0x7f, v40
	v_cmp_ne_u32_e32 vcc, s21, v59
	v_mov_b32_e32 v42, 0x7f80
	s_and_saveexec_b64 s[16:17], vcc
	s_cbranch_execz .LBB912_585
; %bb.584:                              ;   in Loop: Header=BB912_215 Depth=1
	v_and_b32_e32 v42, 7, v40
	v_ffbh_u32_e32 v60, v42
	v_min_u32_e32 v63, 32, v60
	v_subrev_u32_e32 v60, 28, v63
	v_lshlrev_b64 v[60:61], v60, v[40:41]
	v_lshrrev_b32_e32 v62, 3, v59
	v_sub_u32_e32 v40, 29, v63
	v_and_b32_e32 v60, 7, v60
	v_cmp_gt_u32_e32 vcc, 8, v59
	v_cndmask_b32_e32 v40, v62, v40, vcc
	v_cndmask_b32_e32 v42, v42, v60, vcc
	v_lshlrev_b32_e32 v59, 16, v38
	v_lshlrev_b32_e32 v42, 20, v42
	v_and_b32_e32 v59, 0x80000000, v59
	v_lshl_add_u32 v40, v40, 23, v56
	v_or3_b32 v40, v59, v40, v42
	v_lshrrev_b32_e32 v42, 16, v40
.LBB912_585:                            ;   in Loop: Header=BB912_215 Depth=1
	s_or_b64 exec, exec, s[16:17]
.LBB912_586:                            ;   in Loop: Header=BB912_215 Depth=1
	s_or_b64 exec, exec, s[14:15]
.LBB912_587:                            ;   in Loop: Header=BB912_215 Depth=1
	s_or_b64 exec, exec, s[12:13]
	v_lshrrev_b32_e32 v40, 16, v38
	v_cmp_ne_u16_sdwa s[14:15], v40, v55 src0_sel:BYTE_0 src1_sel:DWORD
	s_and_saveexec_b64 s[12:13], s[14:15]
	s_cbranch_execz .LBB912_593
; %bb.588:                              ;   in Loop: Header=BB912_215 Depth=1
	v_cmp_ne_u16_sdwa s[16:17], v40, s9 src0_sel:BYTE_0 src1_sel:DWORD
	v_mov_b32_e32 v58, 0xffff8000
	s_and_saveexec_b64 s[14:15], s[16:17]
	s_cbranch_execz .LBB912_592
; %bb.589:                              ;   in Loop: Header=BB912_215 Depth=1
	v_bfe_u32 v59, v38, 16, 7
	v_cmp_ne_u32_e32 vcc, s21, v59
	v_mov_b32_e32 v58, 0x7f80
	s_and_saveexec_b64 s[16:17], vcc
	s_cbranch_execz .LBB912_591
; %bb.590:                              ;   in Loop: Header=BB912_215 Depth=1
	v_and_b32_e32 v58, 7, v40
	v_ffbh_u32_e32 v60, v58
	v_min_u32_e32 v63, 32, v60
	v_subrev_u32_e32 v60, 28, v63
	v_lshlrev_b64 v[60:61], v60, v[40:41]
	v_lshrrev_b32_e32 v62, 3, v59
	v_sub_u32_e32 v61, 29, v63
	v_and_b32_e32 v60, 7, v60
	v_cmp_gt_u32_e32 vcc, 8, v59
	v_cndmask_b32_e32 v59, v62, v61, vcc
	v_cndmask_b32_e32 v58, v58, v60, vcc
	v_lshlrev_b32_e32 v40, 24, v40
	v_lshlrev_b32_e32 v58, 20, v58
	v_and_b32_e32 v40, 0x80000000, v40
	v_lshl_add_u32 v59, v59, 23, v56
	v_or3_b32 v40, v40, v59, v58
	v_lshrrev_b32_e32 v58, 16, v40
.LBB912_591:                            ;   in Loop: Header=BB912_215 Depth=1
	s_or_b64 exec, exec, s[16:17]
.LBB912_592:                            ;   in Loop: Header=BB912_215 Depth=1
	s_or_b64 exec, exec, s[14:15]
.LBB912_593:                            ;   in Loop: Header=BB912_215 Depth=1
	s_or_b64 exec, exec, s[12:13]
	v_cmp_lt_u32_e32 vcc, s22, v38
	v_mov_b32_e32 v59, 0
	s_and_saveexec_b64 s[12:13], vcc
	s_cbranch_execz .LBB912_214
; %bb.594:                              ;   in Loop: Header=BB912_215 Depth=1
	v_lshrrev_b32_e32 v40, 24, v38
	v_cmp_ne_u32_e32 vcc, s9, v40
	v_mov_b32_e32 v59, 0xffff8000
	s_and_saveexec_b64 s[14:15], vcc
	s_cbranch_execz .LBB912_213
; %bb.595:                              ;   in Loop: Header=BB912_215 Depth=1
	v_bfe_u32 v38, v38, 24, 7
	v_cmp_ne_u32_e32 vcc, s21, v38
	v_mov_b32_e32 v59, 0x7f80
	s_and_saveexec_b64 s[16:17], vcc
	s_cbranch_execz .LBB912_212
; %bb.596:                              ;   in Loop: Header=BB912_215 Depth=1
	v_and_b32_e32 v59, 7, v40
	v_ffbh_u32_e32 v60, v59
	v_min_u32_e32 v63, 32, v60
	v_subrev_u32_e32 v60, 28, v63
	v_lshlrev_b64 v[60:61], v60, v[40:41]
	v_lshrrev_b32_e32 v62, 3, v38
	v_sub_u32_e32 v61, 29, v63
	v_and_b32_e32 v60, 7, v60
	v_cmp_gt_u32_e32 vcc, 8, v38
	v_cndmask_b32_e32 v38, v62, v61, vcc
	v_cndmask_b32_e32 v59, v59, v60, vcc
	v_lshlrev_b32_e32 v40, 24, v40
	v_lshlrev_b32_e32 v59, 20, v59
	v_and_b32_e32 v40, 0x80000000, v40
	v_lshl_add_u32 v38, v38, 23, v56
	v_or3_b32 v38, v40, v38, v59
	v_lshrrev_b32_e32 v59, 16, v38
	s_branch .LBB912_212
.LBB912_597:
	s_barrier
	buffer_load_dword v2, off, s[0:3], 0 offset:320
	buffer_load_dword v5, off, s[0:3], 0 offset:332
	;; [unrolled: 1-line block ×4, first 2 shown]
	v_cmp_gt_u32_e32 vcc, 64, v0
	v_cmp_ne_u32_e64 s[4:5], 3, v41
	s_and_b64 s[4:5], vcc, s[4:5]
	s_waitcnt vmcnt(0)
	ds_write2st64_b64 v53, v[2:3], v[4:5] offset1:1
	s_waitcnt lgkmcnt(0)
	s_barrier
	s_and_saveexec_b64 s[6:7], s[4:5]
	s_cbranch_execz .LBB912_599
; %bb.598:
	s_mul_i32 s4, s18, s8
	s_lshl_b32 s6, s48, 7
	s_mul_hi_u32 s5, s4, s6
	s_mul_i32 s4, s4, s6
	s_lshl_b64 s[4:5], s[4:5], 1
	s_add_u32 s7, s50, s4
	v_lshlrev_b32_e32 v4, 6, v43
	s_addc_u32 s8, s51, s5
	s_lshl_b32 s4, s26, 7
	s_mov_b32 s5, 0
	v_lshl_or_b32 v0, v0, 10, v4
	s_lshl_b64 s[4:5], s[4:5], 1
	v_lshlrev_b32_e32 v2, 5, v41
	v_and_b32_e32 v3, 16, v45
	v_and_b32_e32 v0, 0x1a00, v0
	s_add_u32 s7, s7, s4
	v_or3_b32 v0, v0, v2, v3
	s_addc_u32 s8, s8, s5
	v_mad_u64_u32 v[6:7], s[4:5], s6, v39, 0
	ds_read_b128 v[2:5], v0
	v_lshlrev_b64 v[6:7], 1, v[6:7]
	v_mov_b32_e32 v0, s8
	v_add_co_u32_e32 v6, vcc, s7, v6
	v_addc_co_u32_e32 v7, vcc, v0, v7, vcc
	v_add_co_u32_e32 v0, vcc, v6, v1
	v_addc_co_u32_e32 v1, vcc, 0, v7, vcc
	s_waitcnt lgkmcnt(0)
	global_store_dwordx4 v[0:1], v[2:5], off
.LBB912_599:
	s_endpgm
	.section	.rodata,"a",@progbits
	.p2align	6, 0x0
	.amdhsa_kernel _Z39paged_attention_ll4mi_QKV_mfma16_kernelI14__hip_bfloat16hLN4vllm18Fp8KVCacheDataTypeE1ES0_Li16ELi128ELi256ELb1ELi3EL8MFMAType0EEvPKT_PKT0_S9_ifPKiSB_SB_iPKfiiiPfSE_PS4_PT2_iSD_SD_
		.amdhsa_group_segment_fixed_size 8192
		.amdhsa_private_segment_fixed_size 352
		.amdhsa_kernarg_size 400
		.amdhsa_user_sgpr_count 8
		.amdhsa_user_sgpr_private_segment_buffer 1
		.amdhsa_user_sgpr_dispatch_ptr 0
		.amdhsa_user_sgpr_queue_ptr 0
		.amdhsa_user_sgpr_kernarg_segment_ptr 1
		.amdhsa_user_sgpr_dispatch_id 0
		.amdhsa_user_sgpr_flat_scratch_init 1
		.amdhsa_user_sgpr_kernarg_preload_length 0
		.amdhsa_user_sgpr_kernarg_preload_offset 0
		.amdhsa_user_sgpr_private_segment_size 0
		.amdhsa_uses_dynamic_stack 0
		.amdhsa_system_sgpr_private_segment_wavefront_offset 1
		.amdhsa_system_sgpr_workgroup_id_x 1
		.amdhsa_system_sgpr_workgroup_id_y 1
		.amdhsa_system_sgpr_workgroup_id_z 1
		.amdhsa_system_sgpr_workgroup_info 0
		.amdhsa_system_vgpr_workitem_id 0
		.amdhsa_next_free_vgpr 82
		.amdhsa_next_free_sgpr 53
		.amdhsa_accum_offset 84
		.amdhsa_reserve_vcc 1
		.amdhsa_reserve_flat_scratch 0
		.amdhsa_float_round_mode_32 0
		.amdhsa_float_round_mode_16_64 0
		.amdhsa_float_denorm_mode_32 3
		.amdhsa_float_denorm_mode_16_64 3
		.amdhsa_dx10_clamp 1
		.amdhsa_ieee_mode 1
		.amdhsa_fp16_overflow 0
		.amdhsa_tg_split 0
		.amdhsa_exception_fp_ieee_invalid_op 0
		.amdhsa_exception_fp_denorm_src 0
		.amdhsa_exception_fp_ieee_div_zero 0
		.amdhsa_exception_fp_ieee_overflow 0
		.amdhsa_exception_fp_ieee_underflow 0
		.amdhsa_exception_fp_ieee_inexact 0
		.amdhsa_exception_int_div_zero 0
	.end_amdhsa_kernel
	.section	.text._Z39paged_attention_ll4mi_QKV_mfma16_kernelI14__hip_bfloat16hLN4vllm18Fp8KVCacheDataTypeE1ES0_Li16ELi128ELi256ELb1ELi3EL8MFMAType0EEvPKT_PKT0_S9_ifPKiSB_SB_iPKfiiiPfSE_PS4_PT2_iSD_SD_,"axG",@progbits,_Z39paged_attention_ll4mi_QKV_mfma16_kernelI14__hip_bfloat16hLN4vllm18Fp8KVCacheDataTypeE1ES0_Li16ELi128ELi256ELb1ELi3EL8MFMAType0EEvPKT_PKT0_S9_ifPKiSB_SB_iPKfiiiPfSE_PS4_PT2_iSD_SD_,comdat
.Lfunc_end912:
	.size	_Z39paged_attention_ll4mi_QKV_mfma16_kernelI14__hip_bfloat16hLN4vllm18Fp8KVCacheDataTypeE1ES0_Li16ELi128ELi256ELb1ELi3EL8MFMAType0EEvPKT_PKT0_S9_ifPKiSB_SB_iPKfiiiPfSE_PS4_PT2_iSD_SD_, .Lfunc_end912-_Z39paged_attention_ll4mi_QKV_mfma16_kernelI14__hip_bfloat16hLN4vllm18Fp8KVCacheDataTypeE1ES0_Li16ELi128ELi256ELb1ELi3EL8MFMAType0EEvPKT_PKT0_S9_ifPKiSB_SB_iPKfiiiPfSE_PS4_PT2_iSD_SD_
                                        ; -- End function
	.section	.AMDGPU.csdata,"",@progbits
; Kernel info:
; codeLenInByte = 22412
; NumSgprs: 57
; NumVgprs: 82
; NumAgprs: 0
; TotalNumVgprs: 82
; ScratchSize: 352
; MemoryBound: 0
; FloatMode: 240
; IeeeMode: 1
; LDSByteSize: 8192 bytes/workgroup (compile time only)
; SGPRBlocks: 7
; VGPRBlocks: 10
; NumSGPRsForWavesPerEU: 57
; NumVGPRsForWavesPerEU: 82
; AccumOffset: 84
; Occupancy: 5
; WaveLimiterHint : 1
; COMPUTE_PGM_RSRC2:SCRATCH_EN: 1
; COMPUTE_PGM_RSRC2:USER_SGPR: 8
; COMPUTE_PGM_RSRC2:TRAP_HANDLER: 0
; COMPUTE_PGM_RSRC2:TGID_X_EN: 1
; COMPUTE_PGM_RSRC2:TGID_Y_EN: 1
; COMPUTE_PGM_RSRC2:TGID_Z_EN: 1
; COMPUTE_PGM_RSRC2:TIDIG_COMP_CNT: 0
; COMPUTE_PGM_RSRC3_GFX90A:ACCUM_OFFSET: 20
; COMPUTE_PGM_RSRC3_GFX90A:TG_SPLIT: 0
	.section	.text._Z39paged_attention_ll4mi_QKV_mfma16_kernelI14__hip_bfloat16hLN4vllm18Fp8KVCacheDataTypeE1ES0_Li16ELi128ELi256ELb1ELi4EL8MFMAType0EEvPKT_PKT0_S9_ifPKiSB_SB_iPKfiiiPfSE_PS4_PT2_iSD_SD_,"axG",@progbits,_Z39paged_attention_ll4mi_QKV_mfma16_kernelI14__hip_bfloat16hLN4vllm18Fp8KVCacheDataTypeE1ES0_Li16ELi128ELi256ELb1ELi4EL8MFMAType0EEvPKT_PKT0_S9_ifPKiSB_SB_iPKfiiiPfSE_PS4_PT2_iSD_SD_,comdat
	.protected	_Z39paged_attention_ll4mi_QKV_mfma16_kernelI14__hip_bfloat16hLN4vllm18Fp8KVCacheDataTypeE1ES0_Li16ELi128ELi256ELb1ELi4EL8MFMAType0EEvPKT_PKT0_S9_ifPKiSB_SB_iPKfiiiPfSE_PS4_PT2_iSD_SD_ ; -- Begin function _Z39paged_attention_ll4mi_QKV_mfma16_kernelI14__hip_bfloat16hLN4vllm18Fp8KVCacheDataTypeE1ES0_Li16ELi128ELi256ELb1ELi4EL8MFMAType0EEvPKT_PKT0_S9_ifPKiSB_SB_iPKfiiiPfSE_PS4_PT2_iSD_SD_
	.globl	_Z39paged_attention_ll4mi_QKV_mfma16_kernelI14__hip_bfloat16hLN4vllm18Fp8KVCacheDataTypeE1ES0_Li16ELi128ELi256ELb1ELi4EL8MFMAType0EEvPKT_PKT0_S9_ifPKiSB_SB_iPKfiiiPfSE_PS4_PT2_iSD_SD_
	.p2align	8
	.type	_Z39paged_attention_ll4mi_QKV_mfma16_kernelI14__hip_bfloat16hLN4vllm18Fp8KVCacheDataTypeE1ES0_Li16ELi128ELi256ELb1ELi4EL8MFMAType0EEvPKT_PKT0_S9_ifPKiSB_SB_iPKfiiiPfSE_PS4_PT2_iSD_SD_,@function
_Z39paged_attention_ll4mi_QKV_mfma16_kernelI14__hip_bfloat16hLN4vllm18Fp8KVCacheDataTypeE1ES0_Li16ELi128ELi256ELb1ELi4EL8MFMAType0EEvPKT_PKT0_S9_ifPKiSB_SB_iPKfiiiPfSE_PS4_PT2_iSD_SD_: ; @_Z39paged_attention_ll4mi_QKV_mfma16_kernelI14__hip_bfloat16hLN4vllm18Fp8KVCacheDataTypeE1ES0_Li16ELi128ELi256ELb1ELi4EL8MFMAType0EEvPKT_PKT0_S9_ifPKiSB_SB_iPKfiiiPfSE_PS4_PT2_iSD_SD_
; %bb.0:
	s_load_dwordx2 s[6:7], s[4:5], 0x30
	s_add_u32 s0, s0, s11
	s_addc_u32 s1, s1, 0
	s_mov_b32 s28, s9
	s_mov_b64 s[14:15], 0
	s_waitcnt lgkmcnt(0)
	s_cmp_lg_u64 s[6:7], 0
	s_cselect_b64 s[12:13], -1, 0
	s_and_b64 vcc, exec, s[12:13]
	s_cbranch_vccz .LBB913_7
; %bb.1:
	s_add_i32 s16, s8, 1
	s_mov_b32 s17, 0
	s_lshl_b64 s[18:19], s[16:17], 2
	s_add_u32 s18, s6, s18
	s_mov_b32 s9, s17
	s_addc_u32 s19, s7, s19
	s_lshl_b64 s[16:17], s[8:9], 2
	s_add_u32 s16, s6, s16
	s_addc_u32 s17, s7, s17
	s_load_dword s11, s[18:19], 0x0
	s_load_dword s20, s[16:17], 0x0
	s_waitcnt lgkmcnt(0)
	s_sub_i32 s11, s11, s20
	s_cmp_eq_u32 s11, 1
	s_cselect_b64 s[16:17], -1, 0
	s_andn2_b64 vcc, exec, s[14:15]
	s_cbranch_vccnz .LBB913_3
.LBB913_2:
	s_mov_b32 s9, 0
	s_mov_b64 s[16:17], -1
.LBB913_3:
	s_andn2_b64 vcc, exec, s[16:17]
	s_cbranch_vccnz .LBB913_599
; %bb.4:
	s_load_dwordx2 s[16:17], s[4:5], 0x28
	s_lshl_b64 s[14:15], s[8:9], 2
	s_waitcnt lgkmcnt(0)
	s_add_u32 s16, s16, s14
	s_addc_u32 s17, s17, s15
	s_load_dword s33, s[16:17], 0x0
	s_lshl_b32 s22, s28, 8
	s_waitcnt lgkmcnt(0)
	s_cmp_ge_i32 s22, s33
	s_cbranch_scc1 .LBB913_599
; %bb.5:
	s_add_i32 s18, s33, 15
	s_load_dwordx2 s[16:17], s[4:5], 0x20
	s_load_dword s11, s[4:5], 0x38
	s_ashr_i32 s19, s18, 31
	v_and_b32_e32 v1, 0xcf, v0
	s_lshr_b32 s19, s19, 28
	v_add_u32_e32 v1, s22, v1
	s_add_i32 s18, s18, s19
	v_ashrrev_i32_e32 v2, 31, v1
	s_ashr_i32 s25, s18, 4
	v_lshrrev_b32_e32 v4, 28, v2
	s_add_i32 s25, s25, -1
	v_add_u32_e32 v2, v1, v4
	s_waitcnt lgkmcnt(0)
	s_mul_i32 s18, s8, s11
	s_mov_b32 s19, 0
	v_ashrrev_i32_e32 v2, 4, v2
	v_mov_b32_e32 v5, s25
	v_cmp_gt_i32_e32 vcc, s33, v1
	s_lshl_b64 s[18:19], s[18:19], 2
	v_cndmask_b32_e32 v2, v5, v2, vcc
	s_add_u32 s23, s16, s18
	v_ashrrev_i32_e32 v3, 31, v2
	s_addc_u32 s24, s17, s19
	v_lshlrev_b64 v[2:3], 2, v[2:3]
	v_mov_b32_e32 v7, s24
	v_add_co_u32_e32 v6, vcc, s23, v2
	v_or_b32_e32 v2, 16, v1
	v_addc_co_u32_e32 v7, vcc, v7, v3, vcc
	v_add_u32_e32 v3, v2, v4
	v_ashrrev_i32_e32 v3, 4, v3
	v_cmp_gt_i32_e32 vcc, s33, v2
	v_cndmask_b32_e32 v2, v5, v3, vcc
	v_ashrrev_i32_e32 v3, 31, v2
	v_lshlrev_b64 v[2:3], 2, v[2:3]
	v_mov_b32_e32 v9, s24
	v_add_co_u32_e32 v8, vcc, s23, v2
	v_or_b32_e32 v2, 32, v1
	v_addc_co_u32_e32 v9, vcc, v9, v3, vcc
	v_add_u32_e32 v3, v2, v4
	v_ashrrev_i32_e32 v3, 4, v3
	v_cmp_gt_i32_e32 vcc, s33, v2
	v_cndmask_b32_e32 v2, v5, v3, vcc
	v_ashrrev_i32_e32 v3, 31, v2
	;; [unrolled: 10-line block ×3, first 2 shown]
	v_lshlrev_b64 v[2:3], 2, v[2:3]
	v_mov_b32_e32 v1, s24
	v_add_co_u32_e32 v12, vcc, s23, v2
	v_addc_co_u32_e32 v13, vcc, v1, v3, vcc
	global_load_dword v5, v[6:7], off
	global_load_dword v4, v[8:9], off
	;; [unrolled: 1-line block ×4, first 2 shown]
	s_load_dwordx2 s[18:19], s[4:5], 0x8
	s_andn2_b64 vcc, exec, s[12:13]
	s_cbranch_vccnz .LBB913_8
; %bb.6:
	s_add_u32 s6, s6, s14
	s_addc_u32 s7, s7, s15
	s_load_dword s11, s[6:7], 0x0
	s_branch .LBB913_9
.LBB913_7:
	s_mov_b64 s[16:17], 0
	s_branch .LBB913_2
.LBB913_8:
	s_mov_b32 s11, s8
.LBB913_9:
	s_load_dwordx2 s[16:17], s[4:5], 0x10
	s_load_dwordx4 s[12:15], s[4:5], 0x48
	v_and_b32_e32 v41, 15, v0
	v_bfe_u32 v27, v0, 4, 2
	s_lshl_b32 s29, s10, 2
	v_lshlrev_b32_e32 v1, 3, v41
	v_lshrrev_b32_e32 v29, 6, v0
	v_or_b32_e32 v39, s29, v27
	v_cmp_gt_u32_e64 s[6:7], 64, v0
	v_lshlrev_b32_e32 v1, 1, v1
	v_lshlrev_b32_e32 v43, 5, v27
	;; [unrolled: 1-line block ×3, first 2 shown]
	s_and_saveexec_b64 s[20:21], s[6:7]
	s_cbranch_execz .LBB913_11
; %bb.10:
	s_load_dwordx2 s[26:27], s[4:5], 0x0
	s_waitcnt lgkmcnt(0)
	s_ashr_i32 s15, s12, 31
	s_mul_hi_u32 s30, s11, s12
	s_mul_i32 s15, s11, s15
	s_add_i32 s31, s30, s15
	s_mul_i32 s30, s11, s12
	s_lshl_b64 s[30:31], s[30:31], 1
	v_lshlrev_b32_e32 v6, 7, v39
	s_add_u32 s11, s26, s30
	v_ashrrev_i32_e32 v7, 31, v6
	s_addc_u32 s12, s27, s31
	v_lshlrev_b64 v[6:7], 1, v[6:7]
	v_mov_b32_e32 v8, s12
	v_add_co_u32_e32 v6, vcc, s11, v6
	v_addc_co_u32_e32 v7, vcc, v8, v7, vcc
	v_add_co_u32_e32 v6, vcc, v6, v1
	v_addc_co_u32_e32 v7, vcc, 0, v7, vcc
	global_load_dwordx4 v[6:9], v[6:7], off
	v_lshlrev_b32_e32 v11, 8, v0
	v_lshlrev_b32_e32 v10, 8, v41
	v_and_b32_e32 v11, 0x600, v11
	s_movk_i32 s11, 0x800
	v_and_or_b32 v10, v10, s11, v11
	v_lshl_or_b32 v11, v29, 7, v43
	v_and_b32_e32 v12, 16, v45
	v_or3_b32 v10, v10, v11, v12
	s_waitcnt vmcnt(0)
	ds_write_b128 v10, v[6:9]
.LBB913_11:
	s_or_b64 exec, exec, s[20:21]
	s_waitcnt lgkmcnt(0)
	s_mul_i32 s12, s10, s14
	s_add_u32 s10, s18, s12
	s_addc_u32 s11, s19, 0
	v_and_b32_e32 v6, 0xf0, v45
	v_mov_b32_e32 v7, s11
	v_add_co_u32_e32 v6, vcc, s10, v6
	v_and_b32_e32 v18, 48, v0
	v_addc_co_u32_e32 v7, vcc, 0, v7, vcc
	v_lshlrev_b32_e32 v10, 4, v18
	s_waitcnt vmcnt(3)
	v_mad_i64_i32 v[8:9], s[10:11], v5, s13, v[6:7]
	v_add_co_u32_e32 v8, vcc, v8, v10
	v_addc_co_u32_e32 v9, vcc, 0, v9, vcc
	s_waitcnt vmcnt(2)
	v_mad_i64_i32 v[4:5], s[10:11], v4, s13, v[6:7]
	v_add_co_u32_e32 v4, vcc, v4, v10
	v_addc_co_u32_e32 v5, vcc, 0, v5, vcc
	s_load_dwordx2 s[52:53], s[4:5], 0x94
	s_waitcnt lgkmcnt(0)
	s_barrier
	global_load_dwordx4 v[20:23], v[8:9], off
	global_load_dwordx4 v[30:33], v[8:9], off offset:1024
	global_load_dwordx4 v[34:37], v[4:5], off
	global_load_dwordx4 v[46:49], v[4:5], off offset:1024
	s_waitcnt vmcnt(5)
	v_mad_i64_i32 v[4:5], s[10:11], v3, s13, v[6:7]
	v_add_co_u32_e32 v4, vcc, v4, v10
	v_addc_co_u32_e32 v5, vcc, 0, v5, vcc
	s_waitcnt vmcnt(4)
	v_mad_i64_i32 v[2:3], s[10:11], v2, s13, v[6:7]
	v_add_co_u32_e32 v2, vcc, v2, v10
	v_addc_co_u32_e32 v3, vcc, 0, v3, vcc
	global_load_dwordx4 v[50:53], v[4:5], off
	global_load_dwordx4 v[54:57], v[4:5], off offset:1024
	global_load_dwordx4 v[58:61], v[2:3], off
	global_load_dwordx4 v[62:65], v[2:3], off offset:1024
	v_and_b32_e32 v2, 3, v0
	v_lshlrev_b32_e32 v2, 5, v2
	v_lshl_or_b32 v14, v27, 9, v2
	s_load_dwordx2 s[54:55], s[4:5], 0x68
	s_load_dwordx4 s[44:47], s[4:5], 0x58
	ds_read_b128 v[2:5], v14
	ds_read_b128 v[6:9], v14 offset:16
	ds_read_b128 v[10:13], v14 offset:2048
	;; [unrolled: 1-line block ×3, first 2 shown]
	s_mov_b32 s14, 0
	v_cmp_gt_u32_e32 vcc, 4, v41
	s_waitcnt vmcnt(7)
	buffer_store_dword v23, off, s[0:3], 0 offset:12
	buffer_store_dword v22, off, s[0:3], 0 offset:8
	buffer_store_dword v21, off, s[0:3], 0 offset:4
	buffer_store_dword v20, off, s[0:3], 0
	s_waitcnt vmcnt(10)
	buffer_store_dword v33, off, s[0:3], 0 offset:28
	buffer_store_dword v32, off, s[0:3], 0 offset:24
	buffer_store_dword v31, off, s[0:3], 0 offset:20
	buffer_store_dword v30, off, s[0:3], 0 offset:16
	s_waitcnt vmcnt(13)
	buffer_store_dword v37, off, s[0:3], 0 offset:44
	buffer_store_dword v36, off, s[0:3], 0 offset:40
	buffer_store_dword v35, off, s[0:3], 0 offset:36
	buffer_store_dword v34, off, s[0:3], 0 offset:32
	s_waitcnt vmcnt(16)
	buffer_store_dword v49, off, s[0:3], 0 offset:60
	buffer_store_dword v48, off, s[0:3], 0 offset:56
	buffer_store_dword v47, off, s[0:3], 0 offset:52
	buffer_store_dword v46, off, s[0:3], 0 offset:48
	s_waitcnt vmcnt(19)
	buffer_store_dword v53, off, s[0:3], 0 offset:76
	buffer_store_dword v52, off, s[0:3], 0 offset:72
	buffer_store_dword v51, off, s[0:3], 0 offset:68
	buffer_store_dword v50, off, s[0:3], 0 offset:64
	s_waitcnt vmcnt(22)
	buffer_store_dword v57, off, s[0:3], 0 offset:92
	buffer_store_dword v56, off, s[0:3], 0 offset:88
	buffer_store_dword v55, off, s[0:3], 0 offset:84
	buffer_store_dword v54, off, s[0:3], 0 offset:80
	s_waitcnt vmcnt(25)
	buffer_store_dword v61, off, s[0:3], 0 offset:108
	buffer_store_dword v60, off, s[0:3], 0 offset:104
	buffer_store_dword v59, off, s[0:3], 0 offset:100
	buffer_store_dword v58, off, s[0:3], 0 offset:96
	s_waitcnt vmcnt(28)
	buffer_store_dword v62, off, s[0:3], 0 offset:112
	buffer_store_dword v63, off, s[0:3], 0 offset:116
	buffer_store_dword v64, off, s[0:3], 0 offset:120
	buffer_store_dword v65, off, s[0:3], 0 offset:124
	v_mov_b32_e32 v36, 0
	v_mov_b32_e32 v33, 0
	s_and_saveexec_b64 s[10:11], vcc
	s_cbranch_execz .LBB913_13
; %bb.12:
	s_load_dwordx2 s[18:19], s[4:5], 0x40
	v_or_b32_e32 v20, s29, v41
	v_ashrrev_i32_e32 v21, 31, v20
	v_lshlrev_b64 v[20:21], 2, v[20:21]
	s_waitcnt lgkmcnt(0)
	v_mov_b32_e32 v19, s19
	v_add_co_u32_e32 v20, vcc, s18, v20
	v_addc_co_u32_e32 v21, vcc, v19, v21, vcc
	global_load_dword v33, v[20:21], off
.LBB913_13:
	s_or_b64 exec, exec, s[10:11]
	v_or_b32_e32 v22, s22, v18
	v_ashrrev_i32_e32 v18, 4, v22
	v_mov_b32_e32 v23, s25
	v_cmp_gt_i32_e32 vcc, s33, v22
	v_cndmask_b32_e32 v18, v23, v18, vcc
	v_ashrrev_i32_e32 v19, 31, v18
	v_lshlrev_b64 v[18:19], 2, v[18:19]
	v_mov_b32_e32 v20, s24
	v_add_co_u32_e32 v18, vcc, s23, v18
	v_addc_co_u32_e32 v19, vcc, v20, v19, vcc
	global_load_dword v26, v[18:19], off
	v_or_b32_e32 v18, 64, v22
	v_ashrrev_i32_e32 v19, 4, v18
	v_cmp_gt_i32_e32 vcc, s33, v18
	v_cndmask_b32_e32 v18, v23, v19, vcc
	v_ashrrev_i32_e32 v19, 31, v18
	v_lshlrev_b64 v[18:19], 2, v[18:19]
	v_add_co_u32_e32 v18, vcc, s23, v18
	v_addc_co_u32_e32 v19, vcc, v20, v19, vcc
	v_or_b32_e32 v20, 0x80, v22
	v_ashrrev_i32_e32 v21, 4, v20
	v_cmp_gt_i32_e32 vcc, s33, v20
	v_cndmask_b32_e32 v20, v23, v21, vcc
	v_ashrrev_i32_e32 v21, 31, v20
	v_lshlrev_b64 v[20:21], 2, v[20:21]
	v_mov_b32_e32 v24, s24
	v_add_co_u32_e32 v20, vcc, s23, v20
	v_addc_co_u32_e32 v21, vcc, v24, v21, vcc
	global_load_dword v28, v[18:19], off
	global_load_dword v30, v[20:21], off
	v_or_b32_e32 v18, 0xc0, v22
	v_ashrrev_i32_e32 v19, 4, v18
	v_cmp_gt_i32_e32 vcc, s33, v18
	v_cndmask_b32_e32 v18, v23, v19, vcc
	v_ashrrev_i32_e32 v19, 31, v18
	v_lshlrev_b64 v[18:19], 2, v[18:19]
	v_mov_b32_e32 v20, s24
	v_add_co_u32_e32 v18, vcc, s23, v18
	v_addc_co_u32_e32 v19, vcc, v20, v19, vcc
	global_load_dword v32, v[18:19], off
	s_add_u32 s12, s16, s12
	v_lshl_or_b32 v31, v29, 4, v41
	s_addc_u32 s10, s17, 0
	v_lshlrev_b32_e32 v18, 4, v31
	v_mov_b32_e32 v19, s10
	v_add_co_u32_e32 v22, vcc, s12, v18
	v_addc_co_u32_e32 v23, vcc, 0, v19, vcc
	v_or_b32_e32 v24, 0x400, v18
	v_mov_b32_e32 v25, s10
	v_add_co_u32_e32 v24, vcc, s12, v24
	v_addc_co_u32_e32 v25, vcc, 0, v25, vcc
	s_movk_i32 s15, 0x80
	v_mov_b32_e32 v37, 0
	s_movk_i32 s16, 0x7f
	s_mov_b32 s17, 0xffffff
	s_mov_b32 s18, 0x5040100
	v_mov_b32_e32 v38, 0x100
	v_bfrev_b32_e32 v40, 60
	s_waitcnt vmcnt(3)
	v_mad_i64_i32 v[18:19], s[10:11], v26, s13, v[22:23]
	global_load_dwordx4 v[18:21], v[18:19], off
	v_mad_i64_i32 v[34:35], s[10:11], v26, s13, v[24:25]
	global_load_dwordx4 v[54:57], v[34:35], off
	s_waitcnt vmcnt(4)
	v_mad_i64_i32 v[34:35], s[10:11], v28, s13, v[22:23]
	global_load_dwordx4 v[58:61], v[34:35], off
	s_waitcnt vmcnt(4)
	;; [unrolled: 3-line block ×3, first 2 shown]
	v_mad_i64_i32 v[22:23], s[10:11], v32, s13, v[22:23]
	global_load_dwordx4 v[66:69], v[22:23], off
	v_mad_i64_i32 v[22:23], s[10:11], v28, s13, v[24:25]
	global_load_dwordx4 v[70:73], v[22:23], off
	v_mad_i64_i32 v[22:23], s[10:11], v30, s13, v[24:25]
	global_load_dwordx4 v[74:77], v[22:23], off
	v_mad_i64_i32 v[22:23], s[10:11], v32, s13, v[24:25]
	global_load_dwordx4 v[78:81], v[22:23], off
	s_load_dword s10, s[4:5], 0x1c
	s_load_dwordx4 s[48:51], s[4:5], 0x80
	v_mov_b32_e32 v22, 0x80
	v_add_u32_e32 v47, 16, v22
	v_add_u32_e32 v46, 32, v22
	;; [unrolled: 1-line block ×3, first 2 shown]
	s_waitcnt lgkmcnt(0)
	s_load_dword s4, s[48:49], 0x0
	v_add_u32_e32 v52, 64, v22
	v_add_u32_e32 v49, 0x50, v22
	v_add_u32_e32 v51, 0x60, v22
	v_add_u32_e32 v50, 0x70, v22
	v_mov_b32_e32 v22, s10
	s_waitcnt lgkmcnt(0)
	v_mul_f32_e32 v22, s4, v22
	v_and_b32_e32 v35, 63, v0
	v_mov_b32_e32 v24, v22
	v_mov_b32_e32 v25, v22
	s_waitcnt vmcnt(7)
	buffer_store_dword v21, off, s[0:3], 0 offset:140
	buffer_store_dword v20, off, s[0:3], 0 offset:136
	buffer_store_dword v19, off, s[0:3], 0 offset:132
	buffer_store_dword v18, off, s[0:3], 0 offset:128
	s_waitcnt vmcnt(10)
	buffer_store_dword v57, off, s[0:3], 0 offset:156
	buffer_store_dword v56, off, s[0:3], 0 offset:152
	buffer_store_dword v55, off, s[0:3], 0 offset:148
	buffer_store_dword v54, off, s[0:3], 0 offset:144
	s_waitcnt vmcnt(13)
	buffer_store_dword v61, off, s[0:3], 0 offset:172
	buffer_store_dword v60, off, s[0:3], 0 offset:168
	buffer_store_dword v59, off, s[0:3], 0 offset:164
	buffer_store_dword v58, off, s[0:3], 0 offset:160
	s_waitcnt vmcnt(16)
	buffer_store_dword v65, off, s[0:3], 0 offset:204
	buffer_store_dword v64, off, s[0:3], 0 offset:200
	buffer_store_dword v63, off, s[0:3], 0 offset:196
	buffer_store_dword v62, off, s[0:3], 0 offset:192
	s_waitcnt vmcnt(19)
	buffer_store_dword v69, off, s[0:3], 0 offset:236
	buffer_store_dword v68, off, s[0:3], 0 offset:232
	buffer_store_dword v67, off, s[0:3], 0 offset:228
	buffer_store_dword v66, off, s[0:3], 0 offset:224
	s_waitcnt vmcnt(22)
	buffer_store_dword v73, off, s[0:3], 0 offset:188
	buffer_store_dword v72, off, s[0:3], 0 offset:184
	buffer_store_dword v71, off, s[0:3], 0 offset:180
	buffer_store_dword v70, off, s[0:3], 0 offset:176
	s_waitcnt vmcnt(25)
	buffer_store_dword v77, off, s[0:3], 0 offset:220
	buffer_store_dword v76, off, s[0:3], 0 offset:216
	buffer_store_dword v75, off, s[0:3], 0 offset:212
	buffer_store_dword v74, off, s[0:3], 0 offset:208
	s_waitcnt vmcnt(28)
	buffer_store_dword v81, off, s[0:3], 0 offset:252
	buffer_store_dword v80, off, s[0:3], 0 offset:248
	buffer_store_dword v79, off, s[0:3], 0 offset:244
	buffer_store_dword v78, off, s[0:3], 0 offset:240
	s_branch .LBB913_17
.LBB913_14:                             ;   in Loop: Header=BB913_17 Depth=1
	s_or_b64 exec, exec, s[12:13]
.LBB913_15:                             ;   in Loop: Header=BB913_17 Depth=1
	s_or_b64 exec, exec, s[10:11]
.LBB913_16:                             ;   in Loop: Header=BB913_17 Depth=1
	s_or_b64 exec, exec, s[4:5]
	v_perm_b32 v57, v42, v34, s18
	v_perm_b32 v56, v23, v32, s18
	;; [unrolled: 1-line block ×4, first 2 shown]
	v_add_u32_e32 v26, s14, v38
	v_mfma_f32_16x16x16bf16_1k v[18:21], v[56:57], v[14:15], v[18:21]
	s_add_i32 s14, s14, 16
	v_mov_b32_e32 v23, v22
	s_cmp_eq_u32 s14, 64
	v_add_u32_e32 v37, 32, v37
	v_mfma_f32_16x16x16bf16_1k v[18:21], v[54:55], v[16:17], v[18:21]
	s_nop 7
	s_nop 2
	v_pk_mul_f32 v[18:19], v[24:25], v[18:19]
	v_pk_mul_f32 v[20:21], v[22:23], v[20:21]
	buffer_store_dword v19, v26, s[0:3], 0 offen offset:4
	buffer_store_dword v18, v26, s[0:3], 0 offen
	buffer_store_dword v21, v26, s[0:3], 0 offen offset:12
	buffer_store_dword v20, v26, s[0:3], 0 offen offset:8
	s_cbranch_scc1 .LBB913_207
.LBB913_17:                             ; =>This Inner Loop Header: Depth=1
	buffer_load_dword v20, v37, s[0:3], 0 offen
	buffer_load_dword v18, v37, s[0:3], 0 offen offset:4
	buffer_load_dword v28, v37, s[0:3], 0 offen offset:8
	;; [unrolled: 1-line block ×3, first 2 shown]
	v_mov_b32_e32 v19, 0
	v_mov_b32_e32 v21, 0
	s_waitcnt vmcnt(3)
	v_cmp_ne_u16_sdwa s[10:11], v20, v36 src0_sel:BYTE_0 src1_sel:DWORD
	s_and_saveexec_b64 s[4:5], s[10:11]
	s_cbranch_execz .LBB913_23
; %bb.18:                               ;   in Loop: Header=BB913_17 Depth=1
	v_cmp_ne_u16_sdwa s[12:13], v20, s15 src0_sel:BYTE_0 src1_sel:DWORD
	v_mov_b32_e32 v21, 0xffff8000
	s_and_saveexec_b64 s[10:11], s[12:13]
	s_cbranch_execz .LBB913_22
; %bb.19:                               ;   in Loop: Header=BB913_17 Depth=1
	v_and_b32_e32 v23, 0x7f, v20
	v_cmp_ne_u32_e32 vcc, s16, v23
	v_mov_b32_e32 v21, 0x7f80
	s_and_saveexec_b64 s[12:13], vcc
	s_cbranch_execz .LBB913_21
; %bb.20:                               ;   in Loop: Header=BB913_17 Depth=1
	v_and_b32_e32 v21, 7, v20
	v_ffbh_u32_e32 v32, v21
	v_min_u32_e32 v32, 32, v32
	v_subrev_u32_e32 v34, 28, v32
	v_lshlrev_b64 v[54:55], v34, v[20:21]
	v_lshrrev_b32_e32 v30, 3, v23
	v_sub_u32_e32 v32, 29, v32
	v_and_b32_e32 v34, 7, v54
	v_cmp_gt_u32_e32 vcc, 8, v23
	v_cndmask_b32_e32 v23, v30, v32, vcc
	v_cndmask_b32_e32 v21, v21, v34, vcc
	v_lshlrev_b32_e32 v30, 24, v20
	v_lshlrev_b32_e32 v21, 20, v21
	v_and_b32_e32 v30, 0x80000000, v30
	v_lshl_add_u32 v23, v23, 23, v40
	v_or3_b32 v21, v30, v23, v21
	v_lshrrev_b32_e32 v21, 16, v21
.LBB913_21:                             ;   in Loop: Header=BB913_17 Depth=1
	s_or_b64 exec, exec, s[12:13]
.LBB913_22:                             ;   in Loop: Header=BB913_17 Depth=1
	s_or_b64 exec, exec, s[10:11]
.LBB913_23:                             ;   in Loop: Header=BB913_17 Depth=1
	s_or_b64 exec, exec, s[4:5]
	v_lshrrev_b16_e32 v30, 8, v20
	v_cmp_ne_u16_e32 vcc, 0, v30
	s_and_saveexec_b64 s[4:5], vcc
	s_cbranch_execz .LBB913_29
; %bb.24:                               ;   in Loop: Header=BB913_17 Depth=1
	v_cmp_ne_u16_e32 vcc, s15, v30
	v_mov_b32_e32 v19, 0xffff8000
	s_and_saveexec_b64 s[10:11], vcc
	s_cbranch_execz .LBB913_28
; %bb.25:                               ;   in Loop: Header=BB913_17 Depth=1
	v_and_b32_e32 v23, 0x7f, v30
	v_cmp_ne_u32_e32 vcc, s16, v23
	v_mov_b32_e32 v19, 0x7f80
	s_and_saveexec_b64 s[12:13], vcc
	s_cbranch_execz .LBB913_27
; %bb.26:                               ;   in Loop: Header=BB913_17 Depth=1
	v_and_b32_e32 v19, 7, v30
	v_ffbh_u32_e32 v34, v19
	v_min_u32_e32 v34, 32, v34
	v_subrev_u32_e32 v42, 28, v34
	v_lshlrev_b64 v[54:55], v42, v[30:31]
	v_lshrrev_b32_e32 v32, 3, v23
	v_sub_u32_e32 v30, 29, v34
	v_and_b32_e32 v34, 7, v54
	v_cmp_gt_u32_e32 vcc, 8, v23
	v_cndmask_b32_e32 v23, v32, v30, vcc
	v_cndmask_b32_e32 v19, v19, v34, vcc
	v_lshlrev_b32_e32 v30, 16, v20
	v_lshlrev_b32_e32 v19, 20, v19
	v_and_b32_e32 v30, 0x80000000, v30
	v_lshl_add_u32 v23, v23, 23, v40
	v_or3_b32 v19, v30, v23, v19
	v_lshrrev_b32_e32 v19, 16, v19
.LBB913_27:                             ;   in Loop: Header=BB913_17 Depth=1
	s_or_b64 exec, exec, s[12:13]
.LBB913_28:                             ;   in Loop: Header=BB913_17 Depth=1
	s_or_b64 exec, exec, s[10:11]
.LBB913_29:                             ;   in Loop: Header=BB913_17 Depth=1
	s_or_b64 exec, exec, s[4:5]
	v_lshrrev_b32_e32 v30, 16, v20
	v_cmp_ne_u16_sdwa s[10:11], v30, v36 src0_sel:BYTE_0 src1_sel:DWORD
	v_mov_b32_e32 v32, 0
	v_mov_b32_e32 v23, 0
	s_and_saveexec_b64 s[4:5], s[10:11]
	s_cbranch_execz .LBB913_35
; %bb.30:                               ;   in Loop: Header=BB913_17 Depth=1
	v_cmp_ne_u16_sdwa s[12:13], v30, s15 src0_sel:BYTE_0 src1_sel:DWORD
	v_mov_b32_e32 v23, 0xffff8000
	s_and_saveexec_b64 s[10:11], s[12:13]
	s_cbranch_execz .LBB913_34
; %bb.31:                               ;   in Loop: Header=BB913_17 Depth=1
	v_bfe_u32 v34, v20, 16, 7
	v_cmp_ne_u32_e32 vcc, s16, v34
	v_mov_b32_e32 v23, 0x7f80
	s_and_saveexec_b64 s[12:13], vcc
	s_cbranch_execz .LBB913_33
; %bb.32:                               ;   in Loop: Header=BB913_17 Depth=1
	v_and_b32_e32 v23, 7, v30
	v_ffbh_u32_e32 v44, v23
	v_min_u32_e32 v44, 32, v44
	v_subrev_u32_e32 v53, 28, v44
	v_lshlrev_b64 v[54:55], v53, v[30:31]
	v_lshrrev_b32_e32 v42, 3, v34
	v_sub_u32_e32 v44, 29, v44
	v_and_b32_e32 v53, 7, v54
	v_cmp_gt_u32_e32 vcc, 8, v34
	v_cndmask_b32_e32 v34, v42, v44, vcc
	v_cndmask_b32_e32 v23, v23, v53, vcc
	v_lshlrev_b32_e32 v30, 24, v30
	v_lshlrev_b32_e32 v23, 20, v23
	v_and_b32_e32 v30, 0x80000000, v30
	v_lshl_add_u32 v34, v34, 23, v40
	v_or3_b32 v23, v30, v34, v23
	v_lshrrev_b32_e32 v23, 16, v23
.LBB913_33:                             ;   in Loop: Header=BB913_17 Depth=1
	s_or_b64 exec, exec, s[12:13]
.LBB913_34:                             ;   in Loop: Header=BB913_17 Depth=1
	s_or_b64 exec, exec, s[10:11]
.LBB913_35:                             ;   in Loop: Header=BB913_17 Depth=1
	s_or_b64 exec, exec, s[4:5]
	v_cmp_lt_u32_e32 vcc, s17, v20
	s_and_saveexec_b64 s[4:5], vcc
	s_cbranch_execz .LBB913_41
; %bb.36:                               ;   in Loop: Header=BB913_17 Depth=1
	v_lshrrev_b32_e32 v30, 24, v20
	v_cmp_ne_u32_e32 vcc, s15, v30
	v_mov_b32_e32 v32, 0xffff8000
	s_and_saveexec_b64 s[10:11], vcc
	s_cbranch_execz .LBB913_40
; %bb.37:                               ;   in Loop: Header=BB913_17 Depth=1
	v_bfe_u32 v20, v20, 24, 7
	v_cmp_ne_u32_e32 vcc, s16, v20
	v_mov_b32_e32 v32, 0x7f80
	s_and_saveexec_b64 s[12:13], vcc
	s_cbranch_execz .LBB913_39
; %bb.38:                               ;   in Loop: Header=BB913_17 Depth=1
	v_and_b32_e32 v32, 7, v30
	v_ffbh_u32_e32 v42, v32
	v_min_u32_e32 v42, 32, v42
	v_subrev_u32_e32 v44, 28, v42
	v_lshlrev_b64 v[54:55], v44, v[30:31]
	v_lshrrev_b32_e32 v34, 3, v20
	v_sub_u32_e32 v42, 29, v42
	v_and_b32_e32 v44, 7, v54
	v_cmp_gt_u32_e32 vcc, 8, v20
	v_cndmask_b32_e32 v20, v34, v42, vcc
	v_cndmask_b32_e32 v32, v32, v44, vcc
	v_lshlrev_b32_e32 v30, 24, v30
	v_lshlrev_b32_e32 v32, 20, v32
	v_and_b32_e32 v30, 0x80000000, v30
	v_lshl_add_u32 v20, v20, 23, v40
	v_or3_b32 v20, v30, v20, v32
	v_lshrrev_b32_e32 v32, 16, v20
.LBB913_39:                             ;   in Loop: Header=BB913_17 Depth=1
	s_or_b64 exec, exec, s[12:13]
.LBB913_40:                             ;   in Loop: Header=BB913_17 Depth=1
	s_or_b64 exec, exec, s[10:11]
.LBB913_41:                             ;   in Loop: Header=BB913_17 Depth=1
	s_or_b64 exec, exec, s[4:5]
	s_waitcnt vmcnt(2)
	v_cmp_ne_u16_sdwa s[10:11], v18, v36 src0_sel:BYTE_0 src1_sel:DWORD
	v_mov_b32_e32 v30, 0
	v_mov_b32_e32 v34, 0
	s_and_saveexec_b64 s[4:5], s[10:11]
	s_cbranch_execz .LBB913_47
; %bb.42:                               ;   in Loop: Header=BB913_17 Depth=1
	v_cmp_ne_u16_sdwa s[12:13], v18, s15 src0_sel:BYTE_0 src1_sel:DWORD
	v_mov_b32_e32 v34, 0xffff8000
	s_and_saveexec_b64 s[10:11], s[12:13]
	s_cbranch_execz .LBB913_46
; %bb.43:                               ;   in Loop: Header=BB913_17 Depth=1
	v_and_b32_e32 v20, 0x7f, v18
	v_cmp_ne_u32_e32 vcc, s16, v20
	v_mov_b32_e32 v34, 0x7f80
	s_and_saveexec_b64 s[12:13], vcc
	s_cbranch_execz .LBB913_45
; %bb.44:                               ;   in Loop: Header=BB913_17 Depth=1
	v_and_b32_e32 v34, 7, v18
	v_ffbh_u32_e32 v44, v34
	v_min_u32_e32 v44, 32, v44
	v_subrev_u32_e32 v53, 28, v44
	v_lshlrev_b64 v[54:55], v53, v[18:19]
	v_lshrrev_b32_e32 v42, 3, v20
	v_sub_u32_e32 v44, 29, v44
	v_and_b32_e32 v53, 7, v54
	v_cmp_gt_u32_e32 vcc, 8, v20
	v_cndmask_b32_e32 v20, v42, v44, vcc
	v_cndmask_b32_e32 v34, v34, v53, vcc
	v_lshlrev_b32_e32 v42, 24, v18
	v_lshlrev_b32_e32 v34, 20, v34
	v_and_b32_e32 v42, 0x80000000, v42
	v_lshl_add_u32 v20, v20, 23, v40
	v_or3_b32 v20, v42, v20, v34
	v_lshrrev_b32_e32 v34, 16, v20
.LBB913_45:                             ;   in Loop: Header=BB913_17 Depth=1
	s_or_b64 exec, exec, s[12:13]
.LBB913_46:                             ;   in Loop: Header=BB913_17 Depth=1
	s_or_b64 exec, exec, s[10:11]
.LBB913_47:                             ;   in Loop: Header=BB913_17 Depth=1
	s_or_b64 exec, exec, s[4:5]
	v_lshrrev_b16_e32 v20, 8, v18
	v_cmp_ne_u16_e32 vcc, 0, v20
	s_and_saveexec_b64 s[4:5], vcc
	s_cbranch_execz .LBB913_53
; %bb.48:                               ;   in Loop: Header=BB913_17 Depth=1
	v_cmp_ne_u16_e32 vcc, s15, v20
	v_mov_b32_e32 v30, 0xffff8000
	s_and_saveexec_b64 s[10:11], vcc
	s_cbranch_execz .LBB913_52
; %bb.49:                               ;   in Loop: Header=BB913_17 Depth=1
	v_and_b32_e32 v42, 0x7f, v20
	v_cmp_ne_u32_e32 vcc, s16, v42
	v_mov_b32_e32 v30, 0x7f80
	s_and_saveexec_b64 s[12:13], vcc
	s_cbranch_execz .LBB913_51
; %bb.50:                               ;   in Loop: Header=BB913_17 Depth=1
	v_and_b32_e32 v30, 7, v20
	v_ffbh_u32_e32 v53, v30
	v_min_u32_e32 v53, 32, v53
	v_subrev_u32_e32 v54, 28, v53
	v_lshlrev_b64 v[54:55], v54, v[20:21]
	v_lshrrev_b32_e32 v44, 3, v42
	v_sub_u32_e32 v20, 29, v53
	v_and_b32_e32 v53, 7, v54
	v_cmp_gt_u32_e32 vcc, 8, v42
	v_cndmask_b32_e32 v20, v44, v20, vcc
	v_cndmask_b32_e32 v30, v30, v53, vcc
	v_lshlrev_b32_e32 v42, 16, v18
	v_lshlrev_b32_e32 v30, 20, v30
	v_and_b32_e32 v42, 0x80000000, v42
	v_lshl_add_u32 v20, v20, 23, v40
	v_or3_b32 v20, v42, v20, v30
	v_lshrrev_b32_e32 v30, 16, v20
.LBB913_51:                             ;   in Loop: Header=BB913_17 Depth=1
	s_or_b64 exec, exec, s[12:13]
.LBB913_52:                             ;   in Loop: Header=BB913_17 Depth=1
	s_or_b64 exec, exec, s[10:11]
.LBB913_53:                             ;   in Loop: Header=BB913_17 Depth=1
	s_or_b64 exec, exec, s[4:5]
	v_lshrrev_b32_e32 v20, 16, v18
	v_cmp_ne_u16_sdwa s[10:11], v20, v36 src0_sel:BYTE_0 src1_sel:DWORD
	v_mov_b32_e32 v44, 0
	v_mov_b32_e32 v42, 0
	s_and_saveexec_b64 s[4:5], s[10:11]
	s_cbranch_execz .LBB913_59
; %bb.54:                               ;   in Loop: Header=BB913_17 Depth=1
	v_cmp_ne_u16_sdwa s[12:13], v20, s15 src0_sel:BYTE_0 src1_sel:DWORD
	v_mov_b32_e32 v42, 0xffff8000
	s_and_saveexec_b64 s[10:11], s[12:13]
	s_cbranch_execz .LBB913_58
; %bb.55:                               ;   in Loop: Header=BB913_17 Depth=1
	v_bfe_u32 v53, v18, 16, 7
	v_cmp_ne_u32_e32 vcc, s16, v53
	v_mov_b32_e32 v42, 0x7f80
	s_and_saveexec_b64 s[12:13], vcc
	s_cbranch_execz .LBB913_57
; %bb.56:                               ;   in Loop: Header=BB913_17 Depth=1
	v_and_b32_e32 v42, 7, v20
	v_ffbh_u32_e32 v54, v42
	v_min_u32_e32 v57, 32, v54
	v_subrev_u32_e32 v54, 28, v57
	v_lshlrev_b64 v[54:55], v54, v[20:21]
	v_lshrrev_b32_e32 v56, 3, v53
	v_sub_u32_e32 v55, 29, v57
	v_and_b32_e32 v54, 7, v54
	v_cmp_gt_u32_e32 vcc, 8, v53
	v_cndmask_b32_e32 v53, v56, v55, vcc
	v_cndmask_b32_e32 v42, v42, v54, vcc
	v_lshlrev_b32_e32 v20, 24, v20
	v_lshlrev_b32_e32 v42, 20, v42
	v_and_b32_e32 v20, 0x80000000, v20
	v_lshl_add_u32 v53, v53, 23, v40
	v_or3_b32 v20, v20, v53, v42
	v_lshrrev_b32_e32 v42, 16, v20
.LBB913_57:                             ;   in Loop: Header=BB913_17 Depth=1
	s_or_b64 exec, exec, s[12:13]
.LBB913_58:                             ;   in Loop: Header=BB913_17 Depth=1
	s_or_b64 exec, exec, s[10:11]
.LBB913_59:                             ;   in Loop: Header=BB913_17 Depth=1
	s_or_b64 exec, exec, s[4:5]
	v_cmp_lt_u32_e32 vcc, s17, v18
	s_and_saveexec_b64 s[4:5], vcc
	s_cbranch_execz .LBB913_65
; %bb.60:                               ;   in Loop: Header=BB913_17 Depth=1
	v_lshrrev_b32_e32 v20, 24, v18
	v_cmp_ne_u32_e32 vcc, s15, v20
	v_mov_b32_e32 v44, 0xffff8000
	s_and_saveexec_b64 s[10:11], vcc
	s_cbranch_execz .LBB913_64
; %bb.61:                               ;   in Loop: Header=BB913_17 Depth=1
	v_bfe_u32 v18, v18, 24, 7
	v_cmp_ne_u32_e32 vcc, s16, v18
	v_mov_b32_e32 v44, 0x7f80
	s_and_saveexec_b64 s[12:13], vcc
	s_cbranch_execz .LBB913_63
; %bb.62:                               ;   in Loop: Header=BB913_17 Depth=1
	v_and_b32_e32 v44, 7, v20
	v_ffbh_u32_e32 v54, v44
	v_min_u32_e32 v56, 32, v54
	v_subrev_u32_e32 v54, 28, v56
	v_lshlrev_b64 v[54:55], v54, v[20:21]
	v_lshrrev_b32_e32 v53, 3, v18
	v_sub_u32_e32 v55, 29, v56
	v_and_b32_e32 v54, 7, v54
	v_cmp_gt_u32_e32 vcc, 8, v18
	v_cndmask_b32_e32 v18, v53, v55, vcc
	v_cndmask_b32_e32 v44, v44, v54, vcc
	v_lshlrev_b32_e32 v20, 24, v20
	v_lshlrev_b32_e32 v44, 20, v44
	v_and_b32_e32 v20, 0x80000000, v20
	v_lshl_add_u32 v18, v18, 23, v40
	v_or3_b32 v18, v20, v18, v44
	v_lshrrev_b32_e32 v44, 16, v18
.LBB913_63:                             ;   in Loop: Header=BB913_17 Depth=1
	s_or_b64 exec, exec, s[12:13]
.LBB913_64:                             ;   in Loop: Header=BB913_17 Depth=1
	s_or_b64 exec, exec, s[10:11]
.LBB913_65:                             ;   in Loop: Header=BB913_17 Depth=1
	s_or_b64 exec, exec, s[4:5]
	v_perm_b32 v55, v32, v23, s18
	v_perm_b32 v54, v19, v21, s18
	s_waitcnt vmcnt(1)
	v_cmp_ne_u16_sdwa s[10:11], v28, v36 src0_sel:BYTE_0 src1_sel:DWORD
	v_mov_b32_e32 v23, 0
	v_mov_b32_e32 v32, 0
	v_mfma_f32_16x16x16bf16_1k v[18:21], v[54:55], v[2:3], 0
	v_perm_b32 v55, v44, v42, s18
	v_perm_b32 v54, v30, v34, s18
	s_nop 1
	v_mfma_f32_16x16x16bf16_1k v[18:21], v[54:55], v[4:5], v[18:21]
	s_and_saveexec_b64 s[4:5], s[10:11]
	s_cbranch_execz .LBB913_71
; %bb.66:                               ;   in Loop: Header=BB913_17 Depth=1
	v_cmp_ne_u16_sdwa s[12:13], v28, s15 src0_sel:BYTE_0 src1_sel:DWORD
	v_mov_b32_e32 v32, 0xffff8000
	s_and_saveexec_b64 s[10:11], s[12:13]
	s_cbranch_execz .LBB913_70
; %bb.67:                               ;   in Loop: Header=BB913_17 Depth=1
	v_and_b32_e32 v30, 0x7f, v28
	v_cmp_ne_u32_e32 vcc, s16, v30
	v_mov_b32_e32 v32, 0x7f80
	s_and_saveexec_b64 s[12:13], vcc
	s_cbranch_execz .LBB913_69
; %bb.68:                               ;   in Loop: Header=BB913_17 Depth=1
	v_and_b32_e32 v32, 7, v28
	v_ffbh_u32_e32 v42, v32
	v_min_u32_e32 v42, 32, v42
	v_subrev_u32_e32 v44, 28, v42
	v_lshlrev_b64 v[54:55], v44, v[28:29]
	v_lshrrev_b32_e32 v34, 3, v30
	v_sub_u32_e32 v42, 29, v42
	v_and_b32_e32 v44, 7, v54
	v_cmp_gt_u32_e32 vcc, 8, v30
	v_cndmask_b32_e32 v30, v34, v42, vcc
	v_cndmask_b32_e32 v32, v32, v44, vcc
	v_lshlrev_b32_e32 v34, 24, v28
	v_lshlrev_b32_e32 v32, 20, v32
	v_and_b32_e32 v34, 0x80000000, v34
	v_lshl_add_u32 v30, v30, 23, v40
	v_or3_b32 v30, v34, v30, v32
	v_lshrrev_b32_e32 v32, 16, v30
.LBB913_69:                             ;   in Loop: Header=BB913_17 Depth=1
	s_or_b64 exec, exec, s[12:13]
.LBB913_70:                             ;   in Loop: Header=BB913_17 Depth=1
	s_or_b64 exec, exec, s[10:11]
.LBB913_71:                             ;   in Loop: Header=BB913_17 Depth=1
	s_or_b64 exec, exec, s[4:5]
	v_lshrrev_b16_e32 v30, 8, v28
	v_cmp_ne_u16_e32 vcc, 0, v30
	s_and_saveexec_b64 s[4:5], vcc
	s_cbranch_execz .LBB913_77
; %bb.72:                               ;   in Loop: Header=BB913_17 Depth=1
	v_cmp_ne_u16_e32 vcc, s15, v30
	v_mov_b32_e32 v23, 0xffff8000
	s_and_saveexec_b64 s[10:11], vcc
	s_cbranch_execz .LBB913_76
; %bb.73:                               ;   in Loop: Header=BB913_17 Depth=1
	v_and_b32_e32 v34, 0x7f, v30
	v_cmp_ne_u32_e32 vcc, s16, v34
	v_mov_b32_e32 v23, 0x7f80
	s_and_saveexec_b64 s[12:13], vcc
	s_cbranch_execz .LBB913_75
; %bb.74:                               ;   in Loop: Header=BB913_17 Depth=1
	v_and_b32_e32 v23, 7, v30
	v_ffbh_u32_e32 v44, v23
	v_min_u32_e32 v44, 32, v44
	v_subrev_u32_e32 v53, 28, v44
	v_lshlrev_b64 v[54:55], v53, v[30:31]
	v_lshrrev_b32_e32 v42, 3, v34
	v_sub_u32_e32 v30, 29, v44
	v_and_b32_e32 v44, 7, v54
	v_cmp_gt_u32_e32 vcc, 8, v34
	v_cndmask_b32_e32 v30, v42, v30, vcc
	v_cndmask_b32_e32 v23, v23, v44, vcc
	v_lshlrev_b32_e32 v34, 16, v28
	v_lshlrev_b32_e32 v23, 20, v23
	v_and_b32_e32 v34, 0x80000000, v34
	v_lshl_add_u32 v30, v30, 23, v40
	v_or3_b32 v23, v34, v30, v23
	v_lshrrev_b32_e32 v23, 16, v23
.LBB913_75:                             ;   in Loop: Header=BB913_17 Depth=1
	s_or_b64 exec, exec, s[12:13]
.LBB913_76:                             ;   in Loop: Header=BB913_17 Depth=1
	s_or_b64 exec, exec, s[10:11]
.LBB913_77:                             ;   in Loop: Header=BB913_17 Depth=1
	s_or_b64 exec, exec, s[4:5]
	v_lshrrev_b32_e32 v30, 16, v28
	v_cmp_ne_u16_sdwa s[10:11], v30, v36 src0_sel:BYTE_0 src1_sel:DWORD
	v_mov_b32_e32 v42, 0
	v_mov_b32_e32 v34, 0
	s_and_saveexec_b64 s[4:5], s[10:11]
	s_cbranch_execz .LBB913_83
; %bb.78:                               ;   in Loop: Header=BB913_17 Depth=1
	v_cmp_ne_u16_sdwa s[12:13], v30, s15 src0_sel:BYTE_0 src1_sel:DWORD
	v_mov_b32_e32 v34, 0xffff8000
	s_and_saveexec_b64 s[10:11], s[12:13]
	s_cbranch_execz .LBB913_82
; %bb.79:                               ;   in Loop: Header=BB913_17 Depth=1
	v_bfe_u32 v44, v28, 16, 7
	v_cmp_ne_u32_e32 vcc, s16, v44
	v_mov_b32_e32 v34, 0x7f80
	s_and_saveexec_b64 s[12:13], vcc
	s_cbranch_execz .LBB913_81
; %bb.80:                               ;   in Loop: Header=BB913_17 Depth=1
	v_and_b32_e32 v34, 7, v30
	v_ffbh_u32_e32 v54, v34
	v_min_u32_e32 v56, 32, v54
	v_subrev_u32_e32 v54, 28, v56
	v_lshlrev_b64 v[54:55], v54, v[30:31]
	v_lshrrev_b32_e32 v53, 3, v44
	v_sub_u32_e32 v55, 29, v56
	v_and_b32_e32 v54, 7, v54
	v_cmp_gt_u32_e32 vcc, 8, v44
	v_cndmask_b32_e32 v44, v53, v55, vcc
	v_cndmask_b32_e32 v34, v34, v54, vcc
	v_lshlrev_b32_e32 v30, 24, v30
	v_lshlrev_b32_e32 v34, 20, v34
	v_and_b32_e32 v30, 0x80000000, v30
	v_lshl_add_u32 v44, v44, 23, v40
	v_or3_b32 v30, v30, v44, v34
	v_lshrrev_b32_e32 v34, 16, v30
.LBB913_81:                             ;   in Loop: Header=BB913_17 Depth=1
	s_or_b64 exec, exec, s[12:13]
.LBB913_82:                             ;   in Loop: Header=BB913_17 Depth=1
	s_or_b64 exec, exec, s[10:11]
.LBB913_83:                             ;   in Loop: Header=BB913_17 Depth=1
	s_or_b64 exec, exec, s[4:5]
	v_cmp_lt_u32_e32 vcc, s17, v28
	s_and_saveexec_b64 s[4:5], vcc
	s_cbranch_execz .LBB913_89
; %bb.84:                               ;   in Loop: Header=BB913_17 Depth=1
	v_lshrrev_b32_e32 v30, 24, v28
	v_cmp_ne_u32_e32 vcc, s15, v30
	v_mov_b32_e32 v42, 0xffff8000
	s_and_saveexec_b64 s[10:11], vcc
	s_cbranch_execz .LBB913_88
; %bb.85:                               ;   in Loop: Header=BB913_17 Depth=1
	v_bfe_u32 v28, v28, 24, 7
	v_cmp_ne_u32_e32 vcc, s16, v28
	v_mov_b32_e32 v42, 0x7f80
	s_and_saveexec_b64 s[12:13], vcc
	s_cbranch_execz .LBB913_87
; %bb.86:                               ;   in Loop: Header=BB913_17 Depth=1
	v_and_b32_e32 v42, 7, v30
	v_ffbh_u32_e32 v53, v42
	v_min_u32_e32 v53, 32, v53
	v_subrev_u32_e32 v54, 28, v53
	v_lshlrev_b64 v[54:55], v54, v[30:31]
	v_lshrrev_b32_e32 v44, 3, v28
	v_sub_u32_e32 v53, 29, v53
	v_and_b32_e32 v54, 7, v54
	v_cmp_gt_u32_e32 vcc, 8, v28
	v_cndmask_b32_e32 v28, v44, v53, vcc
	v_cndmask_b32_e32 v42, v42, v54, vcc
	v_lshlrev_b32_e32 v30, 24, v30
	v_lshlrev_b32_e32 v42, 20, v42
	v_and_b32_e32 v30, 0x80000000, v30
	v_lshl_add_u32 v28, v28, 23, v40
	v_or3_b32 v28, v30, v28, v42
	v_lshrrev_b32_e32 v42, 16, v28
.LBB913_87:                             ;   in Loop: Header=BB913_17 Depth=1
	s_or_b64 exec, exec, s[12:13]
.LBB913_88:                             ;   in Loop: Header=BB913_17 Depth=1
	s_or_b64 exec, exec, s[10:11]
.LBB913_89:                             ;   in Loop: Header=BB913_17 Depth=1
	s_or_b64 exec, exec, s[4:5]
	s_waitcnt vmcnt(0)
	v_cmp_ne_u16_sdwa s[10:11], v26, v36 src0_sel:BYTE_0 src1_sel:DWORD
	v_mov_b32_e32 v44, 0
	v_mov_b32_e32 v53, 0
	s_and_saveexec_b64 s[4:5], s[10:11]
	s_cbranch_execz .LBB913_95
; %bb.90:                               ;   in Loop: Header=BB913_17 Depth=1
	v_cmp_ne_u16_sdwa s[12:13], v26, s15 src0_sel:BYTE_0 src1_sel:DWORD
	v_mov_b32_e32 v53, 0xffff8000
	s_and_saveexec_b64 s[10:11], s[12:13]
	s_cbranch_execz .LBB913_94
; %bb.91:                               ;   in Loop: Header=BB913_17 Depth=1
	v_and_b32_e32 v28, 0x7f, v26
	v_cmp_ne_u32_e32 vcc, s16, v28
	v_mov_b32_e32 v53, 0x7f80
	s_and_saveexec_b64 s[12:13], vcc
	s_cbranch_execz .LBB913_93
; %bb.92:                               ;   in Loop: Header=BB913_17 Depth=1
	v_and_b32_e32 v30, 7, v26
	v_ffbh_u32_e32 v54, v30
	v_min_u32_e32 v56, 32, v54
	v_subrev_u32_e32 v54, 28, v56
	v_lshlrev_b64 v[54:55], v54, v[26:27]
	v_lshrrev_b32_e32 v53, 3, v28
	v_sub_u32_e32 v55, 29, v56
	v_and_b32_e32 v54, 7, v54
	v_cmp_gt_u32_e32 vcc, 8, v28
	v_cndmask_b32_e32 v28, v53, v55, vcc
	v_cndmask_b32_e32 v30, v30, v54, vcc
	v_lshlrev_b32_e32 v53, 24, v26
	v_lshlrev_b32_e32 v30, 20, v30
	v_and_b32_e32 v53, 0x80000000, v53
	v_lshl_add_u32 v28, v28, 23, v40
	v_or3_b32 v28, v53, v28, v30
	v_lshrrev_b32_e32 v53, 16, v28
.LBB913_93:                             ;   in Loop: Header=BB913_17 Depth=1
	s_or_b64 exec, exec, s[12:13]
.LBB913_94:                             ;   in Loop: Header=BB913_17 Depth=1
	s_or_b64 exec, exec, s[10:11]
.LBB913_95:                             ;   in Loop: Header=BB913_17 Depth=1
	s_or_b64 exec, exec, s[4:5]
	v_lshrrev_b16_e32 v28, 8, v26
	v_cmp_ne_u16_e32 vcc, 0, v28
	s_and_saveexec_b64 s[4:5], vcc
	s_cbranch_execz .LBB913_101
; %bb.96:                               ;   in Loop: Header=BB913_17 Depth=1
	v_cmp_ne_u16_e32 vcc, s15, v28
	v_mov_b32_e32 v44, 0xffff8000
	s_and_saveexec_b64 s[10:11], vcc
	s_cbranch_execz .LBB913_100
; %bb.97:                               ;   in Loop: Header=BB913_17 Depth=1
	v_and_b32_e32 v30, 0x7f, v28
	v_cmp_ne_u32_e32 vcc, s16, v30
	v_mov_b32_e32 v44, 0x7f80
	s_and_saveexec_b64 s[12:13], vcc
	s_cbranch_execz .LBB913_99
; %bb.98:                               ;   in Loop: Header=BB913_17 Depth=1
	v_and_b32_e32 v44, 7, v28
	v_ffbh_u32_e32 v54, v44
	v_min_u32_e32 v57, 32, v54
	v_subrev_u32_e32 v54, 28, v57
	v_lshlrev_b64 v[54:55], v54, v[28:29]
	v_lshrrev_b32_e32 v56, 3, v30
	v_sub_u32_e32 v28, 29, v57
	v_and_b32_e32 v54, 7, v54
	v_cmp_gt_u32_e32 vcc, 8, v30
	v_cndmask_b32_e32 v28, v56, v28, vcc
	v_cndmask_b32_e32 v30, v44, v54, vcc
	v_lshlrev_b32_e32 v44, 16, v26
	v_lshlrev_b32_e32 v30, 20, v30
	v_and_b32_e32 v44, 0x80000000, v44
	v_lshl_add_u32 v28, v28, 23, v40
	v_or3_b32 v28, v44, v28, v30
	v_lshrrev_b32_e32 v44, 16, v28
.LBB913_99:                             ;   in Loop: Header=BB913_17 Depth=1
	s_or_b64 exec, exec, s[12:13]
.LBB913_100:                            ;   in Loop: Header=BB913_17 Depth=1
	s_or_b64 exec, exec, s[10:11]
.LBB913_101:                            ;   in Loop: Header=BB913_17 Depth=1
	s_or_b64 exec, exec, s[4:5]
	v_lshrrev_b32_e32 v28, 16, v26
	v_cmp_ne_u16_sdwa s[10:11], v28, v36 src0_sel:BYTE_0 src1_sel:DWORD
	v_mov_b32_e32 v55, 0
	v_mov_b32_e32 v54, 0
	s_and_saveexec_b64 s[4:5], s[10:11]
	s_cbranch_execz .LBB913_107
; %bb.102:                              ;   in Loop: Header=BB913_17 Depth=1
	v_cmp_ne_u16_sdwa s[12:13], v28, s15 src0_sel:BYTE_0 src1_sel:DWORD
	v_mov_b32_e32 v54, 0xffff8000
	s_and_saveexec_b64 s[10:11], s[12:13]
	s_cbranch_execz .LBB913_106
; %bb.103:                              ;   in Loop: Header=BB913_17 Depth=1
	v_bfe_u32 v30, v26, 16, 7
	v_cmp_ne_u32_e32 vcc, s16, v30
	v_mov_b32_e32 v54, 0x7f80
	s_and_saveexec_b64 s[12:13], vcc
	s_cbranch_execz .LBB913_105
; %bb.104:                              ;   in Loop: Header=BB913_17 Depth=1
	v_and_b32_e32 v54, 7, v28
	v_ffbh_u32_e32 v56, v54
	v_min_u32_e32 v59, 32, v56
	v_subrev_u32_e32 v56, 28, v59
	v_lshlrev_b64 v[56:57], v56, v[28:29]
	v_lshrrev_b32_e32 v58, 3, v30
	v_sub_u32_e32 v57, 29, v59
	v_and_b32_e32 v56, 7, v56
	v_cmp_gt_u32_e32 vcc, 8, v30
	v_cndmask_b32_e32 v30, v58, v57, vcc
	v_cndmask_b32_e32 v54, v54, v56, vcc
	v_lshlrev_b32_e32 v28, 24, v28
	v_lshlrev_b32_e32 v54, 20, v54
	v_and_b32_e32 v28, 0x80000000, v28
	v_lshl_add_u32 v30, v30, 23, v40
	v_or3_b32 v28, v28, v30, v54
	v_lshrrev_b32_e32 v54, 16, v28
.LBB913_105:                            ;   in Loop: Header=BB913_17 Depth=1
	s_or_b64 exec, exec, s[12:13]
.LBB913_106:                            ;   in Loop: Header=BB913_17 Depth=1
	s_or_b64 exec, exec, s[10:11]
.LBB913_107:                            ;   in Loop: Header=BB913_17 Depth=1
	s_or_b64 exec, exec, s[4:5]
	v_cmp_lt_u32_e32 vcc, s17, v26
	s_and_saveexec_b64 s[4:5], vcc
	s_cbranch_execz .LBB913_113
; %bb.108:                              ;   in Loop: Header=BB913_17 Depth=1
	v_lshrrev_b32_e32 v28, 24, v26
	v_cmp_ne_u32_e32 vcc, s15, v28
	v_mov_b32_e32 v55, 0xffff8000
	s_and_saveexec_b64 s[10:11], vcc
	s_cbranch_execz .LBB913_112
; %bb.109:                              ;   in Loop: Header=BB913_17 Depth=1
	v_bfe_u32 v26, v26, 24, 7
	v_cmp_ne_u32_e32 vcc, s16, v26
	v_mov_b32_e32 v55, 0x7f80
	s_and_saveexec_b64 s[12:13], vcc
	s_cbranch_execz .LBB913_111
; %bb.110:                              ;   in Loop: Header=BB913_17 Depth=1
	v_and_b32_e32 v30, 7, v28
	v_ffbh_u32_e32 v56, v30
	v_min_u32_e32 v58, 32, v56
	v_subrev_u32_e32 v56, 28, v58
	v_lshlrev_b64 v[56:57], v56, v[28:29]
	v_lshrrev_b32_e32 v55, 3, v26
	v_sub_u32_e32 v57, 29, v58
	v_and_b32_e32 v56, 7, v56
	v_cmp_gt_u32_e32 vcc, 8, v26
	v_cndmask_b32_e32 v26, v55, v57, vcc
	v_cndmask_b32_e32 v30, v30, v56, vcc
	v_lshlrev_b32_e32 v28, 24, v28
	v_lshlrev_b32_e32 v30, 20, v30
	v_and_b32_e32 v28, 0x80000000, v28
	v_lshl_add_u32 v26, v26, 23, v40
	v_or3_b32 v26, v28, v26, v30
	v_lshrrev_b32_e32 v55, 16, v26
.LBB913_111:                            ;   in Loop: Header=BB913_17 Depth=1
	s_or_b64 exec, exec, s[12:13]
.LBB913_112:                            ;   in Loop: Header=BB913_17 Depth=1
	s_or_b64 exec, exec, s[10:11]
.LBB913_113:                            ;   in Loop: Header=BB913_17 Depth=1
	s_or_b64 exec, exec, s[4:5]
	v_perm_b32 v56, v23, v32, s18
	buffer_load_dword v32, v37, s[0:3], 0 offen offset:16
	buffer_load_dword v30, v37, s[0:3], 0 offen offset:20
	;; [unrolled: 1-line block ×4, first 2 shown]
	v_perm_b32 v57, v42, v34, s18
	v_perm_b32 v55, v55, v54, s18
	;; [unrolled: 1-line block ×3, first 2 shown]
	v_mfma_f32_16x16x16bf16_1k v[18:21], v[56:57], v[6:7], v[18:21]
	v_mov_b32_e32 v23, 0
	v_mov_b32_e32 v42, 0
	s_waitcnt vmcnt(3)
	v_cmp_ne_u16_sdwa s[10:11], v32, v36 src0_sel:BYTE_0 src1_sel:DWORD
	v_mfma_f32_16x16x16bf16_1k v[18:21], v[54:55], v[8:9], v[18:21]
	s_and_saveexec_b64 s[4:5], s[10:11]
	s_cbranch_execz .LBB913_119
; %bb.114:                              ;   in Loop: Header=BB913_17 Depth=1
	v_cmp_ne_u16_sdwa s[12:13], v32, s15 src0_sel:BYTE_0 src1_sel:DWORD
	v_mov_b32_e32 v42, 0xffff8000
	s_and_saveexec_b64 s[10:11], s[12:13]
	s_cbranch_execz .LBB913_118
; %bb.115:                              ;   in Loop: Header=BB913_17 Depth=1
	v_and_b32_e32 v34, 0x7f, v32
	v_cmp_ne_u32_e32 vcc, s16, v34
	v_mov_b32_e32 v42, 0x7f80
	s_and_saveexec_b64 s[12:13], vcc
	s_cbranch_execz .LBB913_117
; %bb.116:                              ;   in Loop: Header=BB913_17 Depth=1
	v_and_b32_e32 v42, 7, v32
	v_ffbh_u32_e32 v53, v42
	v_min_u32_e32 v53, 32, v53
	v_subrev_u32_e32 v54, 28, v53
	v_lshlrev_b64 v[54:55], v54, v[32:33]
	v_lshrrev_b32_e32 v44, 3, v34
	v_sub_u32_e32 v53, 29, v53
	v_and_b32_e32 v54, 7, v54
	v_cmp_gt_u32_e32 vcc, 8, v34
	v_cndmask_b32_e32 v34, v44, v53, vcc
	v_cndmask_b32_e32 v42, v42, v54, vcc
	v_lshlrev_b32_e32 v44, 24, v32
	v_lshlrev_b32_e32 v42, 20, v42
	v_and_b32_e32 v44, 0x80000000, v44
	v_lshl_add_u32 v34, v34, 23, v40
	v_or3_b32 v34, v44, v34, v42
	v_lshrrev_b32_e32 v42, 16, v34
.LBB913_117:                            ;   in Loop: Header=BB913_17 Depth=1
	s_or_b64 exec, exec, s[12:13]
.LBB913_118:                            ;   in Loop: Header=BB913_17 Depth=1
	s_or_b64 exec, exec, s[10:11]
.LBB913_119:                            ;   in Loop: Header=BB913_17 Depth=1
	s_or_b64 exec, exec, s[4:5]
	v_lshrrev_b16_e32 v34, 8, v32
	v_cmp_ne_u16_e32 vcc, 0, v34
	s_and_saveexec_b64 s[4:5], vcc
	s_cbranch_execz .LBB913_125
; %bb.120:                              ;   in Loop: Header=BB913_17 Depth=1
	v_cmp_ne_u16_e32 vcc, s15, v34
	v_mov_b32_e32 v23, 0xffff8000
	s_and_saveexec_b64 s[10:11], vcc
	s_cbranch_execz .LBB913_124
; %bb.121:                              ;   in Loop: Header=BB913_17 Depth=1
	v_and_b32_e32 v44, 0x7f, v34
	v_cmp_ne_u32_e32 vcc, s16, v44
	v_mov_b32_e32 v23, 0x7f80
	s_and_saveexec_b64 s[12:13], vcc
	s_cbranch_execz .LBB913_123
; %bb.122:                              ;   in Loop: Header=BB913_17 Depth=1
	v_and_b32_e32 v23, 7, v34
	v_ffbh_u32_e32 v54, v23
	v_min_u32_e32 v56, 32, v54
	v_subrev_u32_e32 v54, 28, v56
	v_lshlrev_b64 v[54:55], v54, v[34:35]
	v_lshrrev_b32_e32 v53, 3, v44
	v_sub_u32_e32 v34, 29, v56
	v_and_b32_e32 v54, 7, v54
	v_cmp_gt_u32_e32 vcc, 8, v44
	v_cndmask_b32_e32 v34, v53, v34, vcc
	v_cndmask_b32_e32 v23, v23, v54, vcc
	v_lshlrev_b32_e32 v44, 16, v32
	v_lshlrev_b32_e32 v23, 20, v23
	v_and_b32_e32 v44, 0x80000000, v44
	v_lshl_add_u32 v34, v34, 23, v40
	v_or3_b32 v23, v44, v34, v23
	v_lshrrev_b32_e32 v23, 16, v23
.LBB913_123:                            ;   in Loop: Header=BB913_17 Depth=1
	s_or_b64 exec, exec, s[12:13]
.LBB913_124:                            ;   in Loop: Header=BB913_17 Depth=1
	s_or_b64 exec, exec, s[10:11]
.LBB913_125:                            ;   in Loop: Header=BB913_17 Depth=1
	s_or_b64 exec, exec, s[4:5]
	v_lshrrev_b32_e32 v34, 16, v32
	v_cmp_ne_u16_sdwa s[10:11], v34, v36 src0_sel:BYTE_0 src1_sel:DWORD
	v_mov_b32_e32 v53, 0
	v_mov_b32_e32 v44, 0
	s_and_saveexec_b64 s[4:5], s[10:11]
	s_cbranch_execz .LBB913_131
; %bb.126:                              ;   in Loop: Header=BB913_17 Depth=1
	v_cmp_ne_u16_sdwa s[12:13], v34, s15 src0_sel:BYTE_0 src1_sel:DWORD
	v_mov_b32_e32 v44, 0xffff8000
	s_and_saveexec_b64 s[10:11], s[12:13]
	s_cbranch_execz .LBB913_130
; %bb.127:                              ;   in Loop: Header=BB913_17 Depth=1
	v_bfe_u32 v54, v32, 16, 7
	v_cmp_ne_u32_e32 vcc, s16, v54
	v_mov_b32_e32 v44, 0x7f80
	s_and_saveexec_b64 s[12:13], vcc
	s_cbranch_execz .LBB913_129
; %bb.128:                              ;   in Loop: Header=BB913_17 Depth=1
	v_and_b32_e32 v44, 7, v34
	v_ffbh_u32_e32 v56, v44
	v_min_u32_e32 v58, 32, v56
	v_subrev_u32_e32 v56, 28, v58
	v_lshlrev_b64 v[56:57], v56, v[34:35]
	v_lshrrev_b32_e32 v55, 3, v54
	v_sub_u32_e32 v57, 29, v58
	v_and_b32_e32 v56, 7, v56
	v_cmp_gt_u32_e32 vcc, 8, v54
	v_cndmask_b32_e32 v54, v55, v57, vcc
	v_cndmask_b32_e32 v44, v44, v56, vcc
	v_lshlrev_b32_e32 v34, 24, v34
	v_lshlrev_b32_e32 v44, 20, v44
	v_and_b32_e32 v34, 0x80000000, v34
	v_lshl_add_u32 v54, v54, 23, v40
	v_or3_b32 v34, v34, v54, v44
	v_lshrrev_b32_e32 v44, 16, v34
.LBB913_129:                            ;   in Loop: Header=BB913_17 Depth=1
	s_or_b64 exec, exec, s[12:13]
.LBB913_130:                            ;   in Loop: Header=BB913_17 Depth=1
	s_or_b64 exec, exec, s[10:11]
.LBB913_131:                            ;   in Loop: Header=BB913_17 Depth=1
	s_or_b64 exec, exec, s[4:5]
	v_cmp_lt_u32_e32 vcc, s17, v32
	s_and_saveexec_b64 s[4:5], vcc
	s_cbranch_execz .LBB913_137
; %bb.132:                              ;   in Loop: Header=BB913_17 Depth=1
	v_lshrrev_b32_e32 v34, 24, v32
	v_cmp_ne_u32_e32 vcc, s15, v34
	v_mov_b32_e32 v53, 0xffff8000
	s_and_saveexec_b64 s[10:11], vcc
	s_cbranch_execz .LBB913_136
; %bb.133:                              ;   in Loop: Header=BB913_17 Depth=1
	v_bfe_u32 v32, v32, 24, 7
	v_cmp_ne_u32_e32 vcc, s16, v32
	v_mov_b32_e32 v53, 0x7f80
	s_and_saveexec_b64 s[12:13], vcc
	s_cbranch_execz .LBB913_135
; %bb.134:                              ;   in Loop: Header=BB913_17 Depth=1
	v_and_b32_e32 v53, 7, v34
	v_ffbh_u32_e32 v54, v53
	v_min_u32_e32 v57, 32, v54
	v_subrev_u32_e32 v54, 28, v57
	v_lshlrev_b64 v[54:55], v54, v[34:35]
	v_lshrrev_b32_e32 v56, 3, v32
	v_sub_u32_e32 v55, 29, v57
	v_and_b32_e32 v54, 7, v54
	v_cmp_gt_u32_e32 vcc, 8, v32
	v_cndmask_b32_e32 v32, v56, v55, vcc
	v_cndmask_b32_e32 v53, v53, v54, vcc
	v_lshlrev_b32_e32 v34, 24, v34
	v_lshlrev_b32_e32 v53, 20, v53
	v_and_b32_e32 v34, 0x80000000, v34
	v_lshl_add_u32 v32, v32, 23, v40
	v_or3_b32 v32, v34, v32, v53
	v_lshrrev_b32_e32 v53, 16, v32
.LBB913_135:                            ;   in Loop: Header=BB913_17 Depth=1
	s_or_b64 exec, exec, s[12:13]
.LBB913_136:                            ;   in Loop: Header=BB913_17 Depth=1
	s_or_b64 exec, exec, s[10:11]
.LBB913_137:                            ;   in Loop: Header=BB913_17 Depth=1
	s_or_b64 exec, exec, s[4:5]
	s_waitcnt vmcnt(2)
	v_cmp_ne_u16_sdwa s[10:11], v30, v36 src0_sel:BYTE_0 src1_sel:DWORD
	v_mov_b32_e32 v34, 0
	v_mov_b32_e32 v54, 0
	s_and_saveexec_b64 s[4:5], s[10:11]
	s_cbranch_execz .LBB913_143
; %bb.138:                              ;   in Loop: Header=BB913_17 Depth=1
	v_cmp_ne_u16_sdwa s[12:13], v30, s15 src0_sel:BYTE_0 src1_sel:DWORD
	v_mov_b32_e32 v54, 0xffff8000
	s_and_saveexec_b64 s[10:11], s[12:13]
	s_cbranch_execz .LBB913_142
; %bb.139:                              ;   in Loop: Header=BB913_17 Depth=1
	v_and_b32_e32 v32, 0x7f, v30
	v_cmp_ne_u32_e32 vcc, s16, v32
	v_mov_b32_e32 v54, 0x7f80
	s_and_saveexec_b64 s[12:13], vcc
	s_cbranch_execz .LBB913_141
; %bb.140:                              ;   in Loop: Header=BB913_17 Depth=1
	v_and_b32_e32 v56, 7, v30
	v_ffbh_u32_e32 v54, v56
	v_min_u32_e32 v58, 32, v54
	v_subrev_u32_e32 v54, 28, v58
	v_lshlrev_b64 v[54:55], v54, v[30:31]
	v_lshrrev_b32_e32 v57, 3, v32
	v_sub_u32_e32 v55, 29, v58
	v_and_b32_e32 v54, 7, v54
	v_cmp_gt_u32_e32 vcc, 8, v32
	v_cndmask_b32_e32 v32, v57, v55, vcc
	v_cndmask_b32_e32 v54, v56, v54, vcc
	v_lshlrev_b32_e32 v55, 24, v30
	v_lshlrev_b32_e32 v54, 20, v54
	v_and_b32_e32 v55, 0x80000000, v55
	v_lshl_add_u32 v32, v32, 23, v40
	v_or3_b32 v32, v55, v32, v54
	v_lshrrev_b32_e32 v54, 16, v32
.LBB913_141:                            ;   in Loop: Header=BB913_17 Depth=1
	s_or_b64 exec, exec, s[12:13]
.LBB913_142:                            ;   in Loop: Header=BB913_17 Depth=1
	s_or_b64 exec, exec, s[10:11]
.LBB913_143:                            ;   in Loop: Header=BB913_17 Depth=1
	s_or_b64 exec, exec, s[4:5]
	v_lshrrev_b16_e32 v32, 8, v30
	v_cmp_ne_u16_e32 vcc, 0, v32
	s_and_saveexec_b64 s[4:5], vcc
	s_cbranch_execz .LBB913_149
; %bb.144:                              ;   in Loop: Header=BB913_17 Depth=1
	v_cmp_ne_u16_e32 vcc, s15, v32
	v_mov_b32_e32 v34, 0xffff8000
	s_and_saveexec_b64 s[10:11], vcc
	s_cbranch_execz .LBB913_148
; %bb.145:                              ;   in Loop: Header=BB913_17 Depth=1
	v_and_b32_e32 v55, 0x7f, v32
	v_cmp_ne_u32_e32 vcc, s16, v55
	v_mov_b32_e32 v34, 0x7f80
	s_and_saveexec_b64 s[12:13], vcc
	s_cbranch_execz .LBB913_147
; %bb.146:                              ;   in Loop: Header=BB913_17 Depth=1
	v_and_b32_e32 v34, 7, v32
	v_ffbh_u32_e32 v56, v34
	v_min_u32_e32 v59, 32, v56
	v_subrev_u32_e32 v56, 28, v59
	v_lshlrev_b64 v[56:57], v56, v[32:33]
	v_lshrrev_b32_e32 v58, 3, v55
	v_sub_u32_e32 v32, 29, v59
	v_and_b32_e32 v56, 7, v56
	v_cmp_gt_u32_e32 vcc, 8, v55
	v_cndmask_b32_e32 v32, v58, v32, vcc
	v_cndmask_b32_e32 v34, v34, v56, vcc
	v_lshlrev_b32_e32 v55, 16, v30
	v_lshlrev_b32_e32 v34, 20, v34
	v_and_b32_e32 v55, 0x80000000, v55
	v_lshl_add_u32 v32, v32, 23, v40
	v_or3_b32 v32, v55, v32, v34
	v_lshrrev_b32_e32 v34, 16, v32
.LBB913_147:                            ;   in Loop: Header=BB913_17 Depth=1
	s_or_b64 exec, exec, s[12:13]
.LBB913_148:                            ;   in Loop: Header=BB913_17 Depth=1
	s_or_b64 exec, exec, s[10:11]
.LBB913_149:                            ;   in Loop: Header=BB913_17 Depth=1
	s_or_b64 exec, exec, s[4:5]
	v_lshrrev_b32_e32 v32, 16, v30
	v_cmp_ne_u16_sdwa s[10:11], v32, v36 src0_sel:BYTE_0 src1_sel:DWORD
	v_mov_b32_e32 v56, 0
	v_mov_b32_e32 v55, 0
	s_and_saveexec_b64 s[4:5], s[10:11]
	s_cbranch_execz .LBB913_155
; %bb.150:                              ;   in Loop: Header=BB913_17 Depth=1
	v_cmp_ne_u16_sdwa s[12:13], v32, s15 src0_sel:BYTE_0 src1_sel:DWORD
	v_mov_b32_e32 v55, 0xffff8000
	s_and_saveexec_b64 s[10:11], s[12:13]
	s_cbranch_execz .LBB913_154
; %bb.151:                              ;   in Loop: Header=BB913_17 Depth=1
	v_bfe_u32 v57, v30, 16, 7
	v_cmp_ne_u32_e32 vcc, s16, v57
	v_mov_b32_e32 v55, 0x7f80
	s_and_saveexec_b64 s[12:13], vcc
	s_cbranch_execz .LBB913_153
; %bb.152:                              ;   in Loop: Header=BB913_17 Depth=1
	v_and_b32_e32 v55, 7, v32
	v_ffbh_u32_e32 v58, v55
	v_min_u32_e32 v61, 32, v58
	v_subrev_u32_e32 v58, 28, v61
	v_lshlrev_b64 v[58:59], v58, v[32:33]
	v_lshrrev_b32_e32 v60, 3, v57
	v_sub_u32_e32 v59, 29, v61
	v_and_b32_e32 v58, 7, v58
	v_cmp_gt_u32_e32 vcc, 8, v57
	v_cndmask_b32_e32 v57, v60, v59, vcc
	v_cndmask_b32_e32 v55, v55, v58, vcc
	v_lshlrev_b32_e32 v32, 24, v32
	v_lshlrev_b32_e32 v55, 20, v55
	v_and_b32_e32 v32, 0x80000000, v32
	v_lshl_add_u32 v57, v57, 23, v40
	v_or3_b32 v32, v32, v57, v55
	v_lshrrev_b32_e32 v55, 16, v32
.LBB913_153:                            ;   in Loop: Header=BB913_17 Depth=1
	s_or_b64 exec, exec, s[12:13]
.LBB913_154:                            ;   in Loop: Header=BB913_17 Depth=1
	s_or_b64 exec, exec, s[10:11]
.LBB913_155:                            ;   in Loop: Header=BB913_17 Depth=1
	s_or_b64 exec, exec, s[4:5]
	v_cmp_lt_u32_e32 vcc, s17, v30
	s_and_saveexec_b64 s[4:5], vcc
	s_cbranch_execz .LBB913_161
; %bb.156:                              ;   in Loop: Header=BB913_17 Depth=1
	v_lshrrev_b32_e32 v32, 24, v30
	v_cmp_ne_u32_e32 vcc, s15, v32
	v_mov_b32_e32 v56, 0xffff8000
	s_and_saveexec_b64 s[10:11], vcc
	s_cbranch_execz .LBB913_160
; %bb.157:                              ;   in Loop: Header=BB913_17 Depth=1
	v_bfe_u32 v30, v30, 24, 7
	v_cmp_ne_u32_e32 vcc, s16, v30
	v_mov_b32_e32 v56, 0x7f80
	s_and_saveexec_b64 s[12:13], vcc
	s_cbranch_execz .LBB913_159
; %bb.158:                              ;   in Loop: Header=BB913_17 Depth=1
	v_and_b32_e32 v58, 7, v32
	v_ffbh_u32_e32 v56, v58
	v_min_u32_e32 v60, 32, v56
	v_subrev_u32_e32 v56, 28, v60
	v_lshlrev_b64 v[56:57], v56, v[32:33]
	v_lshrrev_b32_e32 v59, 3, v30
	v_sub_u32_e32 v57, 29, v60
	v_and_b32_e32 v56, 7, v56
	v_cmp_gt_u32_e32 vcc, 8, v30
	v_cndmask_b32_e32 v30, v59, v57, vcc
	v_cndmask_b32_e32 v56, v58, v56, vcc
	v_lshlrev_b32_e32 v32, 24, v32
	v_lshlrev_b32_e32 v56, 20, v56
	v_and_b32_e32 v32, 0x80000000, v32
	v_lshl_add_u32 v30, v30, 23, v40
	v_or3_b32 v30, v32, v30, v56
	v_lshrrev_b32_e32 v56, 16, v30
.LBB913_159:                            ;   in Loop: Header=BB913_17 Depth=1
	s_or_b64 exec, exec, s[12:13]
.LBB913_160:                            ;   in Loop: Header=BB913_17 Depth=1
	s_or_b64 exec, exec, s[10:11]
.LBB913_161:                            ;   in Loop: Header=BB913_17 Depth=1
	s_or_b64 exec, exec, s[4:5]
	v_perm_b32 v59, v53, v44, s18
	v_perm_b32 v58, v23, v42, s18
	;; [unrolled: 1-line block ×4, first 2 shown]
	s_waitcnt vmcnt(1)
	v_cmp_ne_u16_sdwa s[10:11], v28, v36 src0_sel:BYTE_0 src1_sel:DWORD
	v_mfma_f32_16x16x16bf16_1k v[18:21], v[58:59], v[10:11], v[18:21]
	v_mov_b32_e32 v23, 0
	v_mov_b32_e32 v32, 0
	v_mfma_f32_16x16x16bf16_1k v[18:21], v[54:55], v[12:13], v[18:21]
	s_and_saveexec_b64 s[4:5], s[10:11]
	s_cbranch_execz .LBB913_167
; %bb.162:                              ;   in Loop: Header=BB913_17 Depth=1
	v_cmp_ne_u16_sdwa s[12:13], v28, s15 src0_sel:BYTE_0 src1_sel:DWORD
	v_mov_b32_e32 v32, 0xffff8000
	s_and_saveexec_b64 s[10:11], s[12:13]
	s_cbranch_execz .LBB913_166
; %bb.163:                              ;   in Loop: Header=BB913_17 Depth=1
	v_and_b32_e32 v30, 0x7f, v28
	v_cmp_ne_u32_e32 vcc, s16, v30
	v_mov_b32_e32 v32, 0x7f80
	s_and_saveexec_b64 s[12:13], vcc
	s_cbranch_execz .LBB913_165
; %bb.164:                              ;   in Loop: Header=BB913_17 Depth=1
	v_and_b32_e32 v32, 7, v28
	v_ffbh_u32_e32 v42, v32
	v_min_u32_e32 v42, 32, v42
	v_subrev_u32_e32 v44, 28, v42
	v_lshlrev_b64 v[54:55], v44, v[28:29]
	v_lshrrev_b32_e32 v34, 3, v30
	v_sub_u32_e32 v42, 29, v42
	v_and_b32_e32 v44, 7, v54
	v_cmp_gt_u32_e32 vcc, 8, v30
	v_cndmask_b32_e32 v30, v34, v42, vcc
	v_cndmask_b32_e32 v32, v32, v44, vcc
	v_lshlrev_b32_e32 v34, 24, v28
	v_lshlrev_b32_e32 v32, 20, v32
	v_and_b32_e32 v34, 0x80000000, v34
	v_lshl_add_u32 v30, v30, 23, v40
	v_or3_b32 v30, v34, v30, v32
	v_lshrrev_b32_e32 v32, 16, v30
.LBB913_165:                            ;   in Loop: Header=BB913_17 Depth=1
	s_or_b64 exec, exec, s[12:13]
.LBB913_166:                            ;   in Loop: Header=BB913_17 Depth=1
	s_or_b64 exec, exec, s[10:11]
.LBB913_167:                            ;   in Loop: Header=BB913_17 Depth=1
	s_or_b64 exec, exec, s[4:5]
	v_lshrrev_b16_e32 v30, 8, v28
	v_cmp_ne_u16_e32 vcc, 0, v30
	s_and_saveexec_b64 s[4:5], vcc
	s_cbranch_execz .LBB913_173
; %bb.168:                              ;   in Loop: Header=BB913_17 Depth=1
	v_cmp_ne_u16_e32 vcc, s15, v30
	v_mov_b32_e32 v23, 0xffff8000
	s_and_saveexec_b64 s[10:11], vcc
	s_cbranch_execz .LBB913_172
; %bb.169:                              ;   in Loop: Header=BB913_17 Depth=1
	v_and_b32_e32 v34, 0x7f, v30
	v_cmp_ne_u32_e32 vcc, s16, v34
	v_mov_b32_e32 v23, 0x7f80
	s_and_saveexec_b64 s[12:13], vcc
	s_cbranch_execz .LBB913_171
; %bb.170:                              ;   in Loop: Header=BB913_17 Depth=1
	v_and_b32_e32 v23, 7, v30
	v_ffbh_u32_e32 v44, v23
	v_min_u32_e32 v44, 32, v44
	v_subrev_u32_e32 v53, 28, v44
	v_lshlrev_b64 v[54:55], v53, v[30:31]
	v_lshrrev_b32_e32 v42, 3, v34
	v_sub_u32_e32 v30, 29, v44
	v_and_b32_e32 v44, 7, v54
	v_cmp_gt_u32_e32 vcc, 8, v34
	v_cndmask_b32_e32 v30, v42, v30, vcc
	v_cndmask_b32_e32 v23, v23, v44, vcc
	v_lshlrev_b32_e32 v34, 16, v28
	v_lshlrev_b32_e32 v23, 20, v23
	v_and_b32_e32 v34, 0x80000000, v34
	v_lshl_add_u32 v30, v30, 23, v40
	v_or3_b32 v23, v34, v30, v23
	v_lshrrev_b32_e32 v23, 16, v23
.LBB913_171:                            ;   in Loop: Header=BB913_17 Depth=1
	s_or_b64 exec, exec, s[12:13]
.LBB913_172:                            ;   in Loop: Header=BB913_17 Depth=1
	s_or_b64 exec, exec, s[10:11]
.LBB913_173:                            ;   in Loop: Header=BB913_17 Depth=1
	s_or_b64 exec, exec, s[4:5]
	v_lshrrev_b32_e32 v30, 16, v28
	v_cmp_ne_u16_sdwa s[10:11], v30, v36 src0_sel:BYTE_0 src1_sel:DWORD
	v_mov_b32_e32 v42, 0
	v_mov_b32_e32 v34, 0
	s_and_saveexec_b64 s[4:5], s[10:11]
	s_cbranch_execz .LBB913_179
; %bb.174:                              ;   in Loop: Header=BB913_17 Depth=1
	v_cmp_ne_u16_sdwa s[12:13], v30, s15 src0_sel:BYTE_0 src1_sel:DWORD
	v_mov_b32_e32 v34, 0xffff8000
	s_and_saveexec_b64 s[10:11], s[12:13]
	s_cbranch_execz .LBB913_178
; %bb.175:                              ;   in Loop: Header=BB913_17 Depth=1
	v_bfe_u32 v44, v28, 16, 7
	v_cmp_ne_u32_e32 vcc, s16, v44
	v_mov_b32_e32 v34, 0x7f80
	s_and_saveexec_b64 s[12:13], vcc
	s_cbranch_execz .LBB913_177
; %bb.176:                              ;   in Loop: Header=BB913_17 Depth=1
	v_and_b32_e32 v34, 7, v30
	v_ffbh_u32_e32 v54, v34
	v_min_u32_e32 v56, 32, v54
	v_subrev_u32_e32 v54, 28, v56
	v_lshlrev_b64 v[54:55], v54, v[30:31]
	v_lshrrev_b32_e32 v53, 3, v44
	v_sub_u32_e32 v55, 29, v56
	v_and_b32_e32 v54, 7, v54
	v_cmp_gt_u32_e32 vcc, 8, v44
	v_cndmask_b32_e32 v44, v53, v55, vcc
	v_cndmask_b32_e32 v34, v34, v54, vcc
	v_lshlrev_b32_e32 v30, 24, v30
	v_lshlrev_b32_e32 v34, 20, v34
	v_and_b32_e32 v30, 0x80000000, v30
	v_lshl_add_u32 v44, v44, 23, v40
	v_or3_b32 v30, v30, v44, v34
	v_lshrrev_b32_e32 v34, 16, v30
.LBB913_177:                            ;   in Loop: Header=BB913_17 Depth=1
	s_or_b64 exec, exec, s[12:13]
.LBB913_178:                            ;   in Loop: Header=BB913_17 Depth=1
	s_or_b64 exec, exec, s[10:11]
.LBB913_179:                            ;   in Loop: Header=BB913_17 Depth=1
	s_or_b64 exec, exec, s[4:5]
	v_cmp_lt_u32_e32 vcc, s17, v28
	s_and_saveexec_b64 s[4:5], vcc
	s_cbranch_execz .LBB913_185
; %bb.180:                              ;   in Loop: Header=BB913_17 Depth=1
	v_lshrrev_b32_e32 v30, 24, v28
	v_cmp_ne_u32_e32 vcc, s15, v30
	v_mov_b32_e32 v42, 0xffff8000
	s_and_saveexec_b64 s[10:11], vcc
	s_cbranch_execz .LBB913_184
; %bb.181:                              ;   in Loop: Header=BB913_17 Depth=1
	v_bfe_u32 v28, v28, 24, 7
	v_cmp_ne_u32_e32 vcc, s16, v28
	v_mov_b32_e32 v42, 0x7f80
	s_and_saveexec_b64 s[12:13], vcc
	s_cbranch_execz .LBB913_183
; %bb.182:                              ;   in Loop: Header=BB913_17 Depth=1
	v_and_b32_e32 v42, 7, v30
	v_ffbh_u32_e32 v53, v42
	v_min_u32_e32 v53, 32, v53
	v_subrev_u32_e32 v54, 28, v53
	v_lshlrev_b64 v[54:55], v54, v[30:31]
	v_lshrrev_b32_e32 v44, 3, v28
	v_sub_u32_e32 v53, 29, v53
	v_and_b32_e32 v54, 7, v54
	v_cmp_gt_u32_e32 vcc, 8, v28
	v_cndmask_b32_e32 v28, v44, v53, vcc
	v_cndmask_b32_e32 v42, v42, v54, vcc
	v_lshlrev_b32_e32 v30, 24, v30
	v_lshlrev_b32_e32 v42, 20, v42
	v_and_b32_e32 v30, 0x80000000, v30
	v_lshl_add_u32 v28, v28, 23, v40
	v_or3_b32 v28, v30, v28, v42
	v_lshrrev_b32_e32 v42, 16, v28
.LBB913_183:                            ;   in Loop: Header=BB913_17 Depth=1
	s_or_b64 exec, exec, s[12:13]
.LBB913_184:                            ;   in Loop: Header=BB913_17 Depth=1
	s_or_b64 exec, exec, s[10:11]
.LBB913_185:                            ;   in Loop: Header=BB913_17 Depth=1
	s_or_b64 exec, exec, s[4:5]
	s_waitcnt vmcnt(0)
	v_cmp_ne_u16_sdwa s[10:11], v26, v36 src0_sel:BYTE_0 src1_sel:DWORD
	v_mov_b32_e32 v30, 0
	v_mov_b32_e32 v44, 0
	s_and_saveexec_b64 s[4:5], s[10:11]
	s_cbranch_execz .LBB913_191
; %bb.186:                              ;   in Loop: Header=BB913_17 Depth=1
	v_cmp_ne_u16_sdwa s[12:13], v26, s15 src0_sel:BYTE_0 src1_sel:DWORD
	v_mov_b32_e32 v44, 0xffff8000
	s_and_saveexec_b64 s[10:11], s[12:13]
	s_cbranch_execz .LBB913_190
; %bb.187:                              ;   in Loop: Header=BB913_17 Depth=1
	v_and_b32_e32 v28, 0x7f, v26
	v_cmp_ne_u32_e32 vcc, s16, v28
	v_mov_b32_e32 v44, 0x7f80
	s_and_saveexec_b64 s[12:13], vcc
	s_cbranch_execz .LBB913_189
; %bb.188:                              ;   in Loop: Header=BB913_17 Depth=1
	v_and_b32_e32 v44, 7, v26
	v_ffbh_u32_e32 v54, v44
	v_min_u32_e32 v56, 32, v54
	v_subrev_u32_e32 v54, 28, v56
	v_lshlrev_b64 v[54:55], v54, v[26:27]
	v_lshrrev_b32_e32 v53, 3, v28
	v_sub_u32_e32 v55, 29, v56
	v_and_b32_e32 v54, 7, v54
	v_cmp_gt_u32_e32 vcc, 8, v28
	v_cndmask_b32_e32 v28, v53, v55, vcc
	v_cndmask_b32_e32 v44, v44, v54, vcc
	v_lshlrev_b32_e32 v53, 24, v26
	v_lshlrev_b32_e32 v44, 20, v44
	v_and_b32_e32 v53, 0x80000000, v53
	v_lshl_add_u32 v28, v28, 23, v40
	v_or3_b32 v28, v53, v28, v44
	v_lshrrev_b32_e32 v44, 16, v28
.LBB913_189:                            ;   in Loop: Header=BB913_17 Depth=1
	s_or_b64 exec, exec, s[12:13]
.LBB913_190:                            ;   in Loop: Header=BB913_17 Depth=1
	s_or_b64 exec, exec, s[10:11]
.LBB913_191:                            ;   in Loop: Header=BB913_17 Depth=1
	s_or_b64 exec, exec, s[4:5]
	v_lshrrev_b16_e32 v28, 8, v26
	v_cmp_ne_u16_e32 vcc, 0, v28
	s_and_saveexec_b64 s[4:5], vcc
	s_cbranch_execz .LBB913_197
; %bb.192:                              ;   in Loop: Header=BB913_17 Depth=1
	v_cmp_ne_u16_e32 vcc, s15, v28
	v_mov_b32_e32 v30, 0xffff8000
	s_and_saveexec_b64 s[10:11], vcc
	s_cbranch_execz .LBB913_196
; %bb.193:                              ;   in Loop: Header=BB913_17 Depth=1
	v_and_b32_e32 v53, 0x7f, v28
	v_cmp_ne_u32_e32 vcc, s16, v53
	v_mov_b32_e32 v30, 0x7f80
	s_and_saveexec_b64 s[12:13], vcc
	s_cbranch_execz .LBB913_195
; %bb.194:                              ;   in Loop: Header=BB913_17 Depth=1
	v_and_b32_e32 v30, 7, v28
	v_ffbh_u32_e32 v54, v30
	v_min_u32_e32 v57, 32, v54
	v_subrev_u32_e32 v54, 28, v57
	v_lshlrev_b64 v[54:55], v54, v[28:29]
	v_lshrrev_b32_e32 v56, 3, v53
	v_sub_u32_e32 v28, 29, v57
	v_and_b32_e32 v54, 7, v54
	v_cmp_gt_u32_e32 vcc, 8, v53
	v_cndmask_b32_e32 v28, v56, v28, vcc
	v_cndmask_b32_e32 v30, v30, v54, vcc
	v_lshlrev_b32_e32 v53, 16, v26
	v_lshlrev_b32_e32 v30, 20, v30
	v_and_b32_e32 v53, 0x80000000, v53
	v_lshl_add_u32 v28, v28, 23, v40
	v_or3_b32 v28, v53, v28, v30
	v_lshrrev_b32_e32 v30, 16, v28
.LBB913_195:                            ;   in Loop: Header=BB913_17 Depth=1
	s_or_b64 exec, exec, s[12:13]
.LBB913_196:                            ;   in Loop: Header=BB913_17 Depth=1
	s_or_b64 exec, exec, s[10:11]
.LBB913_197:                            ;   in Loop: Header=BB913_17 Depth=1
	s_or_b64 exec, exec, s[4:5]
	v_lshrrev_b32_e32 v28, 16, v26
	v_cmp_ne_u16_sdwa s[10:11], v28, v36 src0_sel:BYTE_0 src1_sel:DWORD
	v_mov_b32_e32 v54, 0
	v_mov_b32_e32 v53, 0
	s_and_saveexec_b64 s[4:5], s[10:11]
	s_cbranch_execz .LBB913_203
; %bb.198:                              ;   in Loop: Header=BB913_17 Depth=1
	v_cmp_ne_u16_sdwa s[12:13], v28, s15 src0_sel:BYTE_0 src1_sel:DWORD
	v_mov_b32_e32 v53, 0xffff8000
	s_and_saveexec_b64 s[10:11], s[12:13]
	s_cbranch_execz .LBB913_202
; %bb.199:                              ;   in Loop: Header=BB913_17 Depth=1
	v_bfe_u32 v55, v26, 16, 7
	v_cmp_ne_u32_e32 vcc, s16, v55
	v_mov_b32_e32 v53, 0x7f80
	s_and_saveexec_b64 s[12:13], vcc
	s_cbranch_execz .LBB913_201
; %bb.200:                              ;   in Loop: Header=BB913_17 Depth=1
	v_and_b32_e32 v53, 7, v28
	v_ffbh_u32_e32 v56, v53
	v_min_u32_e32 v59, 32, v56
	v_subrev_u32_e32 v56, 28, v59
	v_lshlrev_b64 v[56:57], v56, v[28:29]
	v_lshrrev_b32_e32 v58, 3, v55
	v_sub_u32_e32 v57, 29, v59
	v_and_b32_e32 v56, 7, v56
	v_cmp_gt_u32_e32 vcc, 8, v55
	v_cndmask_b32_e32 v55, v58, v57, vcc
	v_cndmask_b32_e32 v53, v53, v56, vcc
	v_lshlrev_b32_e32 v28, 24, v28
	v_lshlrev_b32_e32 v53, 20, v53
	v_and_b32_e32 v28, 0x80000000, v28
	v_lshl_add_u32 v55, v55, 23, v40
	v_or3_b32 v28, v28, v55, v53
	v_lshrrev_b32_e32 v53, 16, v28
.LBB913_201:                            ;   in Loop: Header=BB913_17 Depth=1
	s_or_b64 exec, exec, s[12:13]
.LBB913_202:                            ;   in Loop: Header=BB913_17 Depth=1
	s_or_b64 exec, exec, s[10:11]
.LBB913_203:                            ;   in Loop: Header=BB913_17 Depth=1
	s_or_b64 exec, exec, s[4:5]
	v_cmp_lt_u32_e32 vcc, s17, v26
	s_and_saveexec_b64 s[4:5], vcc
	s_cbranch_execz .LBB913_16
; %bb.204:                              ;   in Loop: Header=BB913_17 Depth=1
	v_lshrrev_b32_e32 v28, 24, v26
	v_cmp_ne_u32_e32 vcc, s15, v28
	v_mov_b32_e32 v54, 0xffff8000
	s_and_saveexec_b64 s[10:11], vcc
	s_cbranch_execz .LBB913_15
; %bb.205:                              ;   in Loop: Header=BB913_17 Depth=1
	v_bfe_u32 v26, v26, 24, 7
	v_cmp_ne_u32_e32 vcc, s16, v26
	v_mov_b32_e32 v54, 0x7f80
	s_and_saveexec_b64 s[12:13], vcc
	s_cbranch_execz .LBB913_14
; %bb.206:                              ;   in Loop: Header=BB913_17 Depth=1
	v_and_b32_e32 v56, 7, v28
	v_ffbh_u32_e32 v54, v56
	v_min_u32_e32 v58, 32, v54
	v_subrev_u32_e32 v54, 28, v58
	v_lshlrev_b64 v[54:55], v54, v[28:29]
	v_lshrrev_b32_e32 v57, 3, v26
	v_sub_u32_e32 v55, 29, v58
	v_and_b32_e32 v54, 7, v54
	v_cmp_gt_u32_e32 vcc, 8, v26
	v_cndmask_b32_e32 v26, v57, v55, vcc
	v_cndmask_b32_e32 v54, v56, v54, vcc
	v_lshlrev_b32_e32 v28, 24, v28
	v_lshlrev_b32_e32 v54, 20, v54
	v_and_b32_e32 v28, 0x80000000, v28
	v_lshl_add_u32 v26, v26, 23, v40
	v_or3_b32 v26, v28, v26, v54
	v_lshrrev_b32_e32 v54, 16, v26
	s_branch .LBB913_14
.LBB913_207:
	buffer_load_dword v17, off, s[0:3], 0 offset:256
	buffer_load_dword v16, off, s[0:3], 0 offset:260
	;; [unrolled: 1-line block ×16, first 2 shown]
	v_and_b32_e32 v18, 0xc0, v0
	v_add_u32_e32 v18, s22, v18
	v_lshl_or_b32 v18, v27, 2, v18
	v_or_b32_e32 v20, 1, v18
	v_subrev_u32_e32 v24, s33, v20
	v_add_u32_e32 v26, 1, v24
	v_cvt_f32_i32_e32 v25, v24
	v_add_u32_e32 v28, 2, v24
	v_add_u32_e32 v30, 3, v24
	;; [unrolled: 1-line block ×14, first 2 shown]
	v_cvt_f32_i32_e32 v26, v26
	v_cvt_f32_i32_e32 v28, v28
	;; [unrolled: 1-line block ×4, first 2 shown]
	v_mov_b32_e32 v19, 0xff7fffff
	v_or_b32_e32 v21, 2, v18
	v_or_b32_e32 v22, 3, v18
	v_cvt_f32_i32_e32 v32, v32
	v_cvt_f32_i32_e32 v34, v34
	v_cmp_gt_i32_e64 s[30:31], s33, v18
	v_cmp_gt_i32_e64 s[34:35], s33, v20
	s_mov_b32 s48, 0xff7fffff
	v_cmp_gt_i32_e64 s[36:37], s33, v21
	v_cmp_gt_i32_e64 s[38:39], s33, v22
	v_or_b32_e32 v23, 16, v18
	v_cvt_f32_i32_e32 v36, v36
	v_cvt_f32_i32_e32 v37, v37
	v_cmp_gt_i32_e64 s[26:27], s33, v23
	v_cvt_f32_i32_e32 v38, v38
	v_cvt_f32_i32_e32 v40, v40
	;; [unrolled: 1-line block ×7, first 2 shown]
	s_waitcnt vmcnt(15)
	v_fmac_f32_e32 v17, v33, v25
	s_waitcnt vmcnt(14)
	v_fmac_f32_e32 v16, v33, v26
	;; [unrolled: 2-line block ×4, first 2 shown]
	v_cndmask_b32_e64 v20, v19, v16, s[34:35]
	v_cndmask_b32_e64 v21, v19, v15, s[36:37]
	;; [unrolled: 1-line block ×3, first 2 shown]
	s_waitcnt vmcnt(11)
	v_fmac_f32_e32 v13, v33, v32
	s_waitcnt vmcnt(10)
	v_fmac_f32_e32 v12, v33, v34
	;; [unrolled: 2-line block ×9, first 2 shown]
	v_cndmask_b32_e64 v24, v19, v17, s[30:31]
	v_max3_f32 v20, v24, s48, v20
	v_max3_f32 v20, v20, v21, v22
	v_or_b32_e32 v22, 17, v18
	v_cmp_gt_i32_e64 s[40:41], s33, v22
	v_cndmask_b32_e64 v21, v19, v13, s[26:27]
	v_cndmask_b32_e64 v22, v19, v12, s[40:41]
	v_max3_f32 v20, v20, v21, v22
	v_or_b32_e32 v21, 18, v18
	v_or_b32_e32 v22, 19, v18
	v_cmp_gt_i32_e64 s[22:23], s33, v21
	v_cmp_gt_i32_e64 s[24:25], s33, v22
	v_cndmask_b32_e64 v21, v19, v11, s[22:23]
	v_cndmask_b32_e64 v22, v19, v10, s[24:25]
	v_max3_f32 v20, v20, v21, v22
	v_or_b32_e32 v21, 32, v18
	v_or_b32_e32 v22, 33, v18
	v_cmp_gt_i32_e64 s[18:19], s33, v21
	;; [unrolled: 7-line block ×3, first 2 shown]
	v_cmp_gt_i32_e64 s[16:17], s33, v22
	v_cndmask_b32_e64 v21, v19, v7, s[14:15]
	v_cndmask_b32_e64 v22, v19, v6, s[16:17]
	v_max3_f32 v20, v20, v21, v22
	v_or_b32_e32 v21, 48, v18
	v_or_b32_e32 v22, 49, v18
	v_fmac_f32_e32 v5, v33, v53
	v_fmac_f32_e32 v4, v33, v54
	v_cmp_gt_i32_e64 s[10:11], s33, v21
	v_cmp_gt_i32_e64 s[12:13], s33, v22
	v_cndmask_b32_e64 v21, v19, v5, s[10:11]
	v_cndmask_b32_e64 v22, v19, v4, s[12:13]
	v_max3_f32 v20, v20, v21, v22
	v_or_b32_e32 v21, 50, v18
	v_or_b32_e32 v18, 51, v18
	v_fmac_f32_e32 v3, v33, v55
	v_cmp_gt_i32_e32 vcc, s33, v21
	v_cmp_gt_i32_e64 s[4:5], s33, v18
	v_cndmask_b32_e32 v21, v19, v3, vcc
	v_cndmask_b32_e64 v18, v19, v2, s[4:5]
	v_mbcnt_lo_u32_b32 v19, -1, 0
	v_mbcnt_hi_u32_b32 v19, -1, v19
	v_max3_f32 v18, v20, v21, v18
	v_and_b32_e32 v20, 64, v19
	v_add_u32_e32 v20, 64, v20
	v_xor_b32_e32 v21, 32, v19
	v_cmp_lt_i32_e64 s[42:43], v21, v20
	v_cndmask_b32_e64 v21, v19, v21, s[42:43]
	v_lshlrev_b32_e32 v21, 2, v21
	ds_bpermute_b32 v22, v21, v18
	s_waitcnt lgkmcnt(0)
	v_max_f32_e32 v22, v22, v22
	v_max_f32_e32 v18, v18, v22
	v_xor_b32_e32 v22, 16, v19
	v_cmp_lt_i32_e64 s[42:43], v22, v20
	v_cndmask_b32_e64 v19, v19, v22, s[42:43]
	v_lshlrev_b32_e32 v19, 2, v19
	ds_bpermute_b32 v20, v19, v18
	s_waitcnt lgkmcnt(0)
	v_max_f32_e32 v20, v20, v20
	v_max_f32_e32 v18, v18, v20
	v_sub_f32_e32 v17, v17, v18
	v_mul_f32_e32 v17, 0x3fb8aa3b, v17
	v_sub_f32_e32 v16, v16, v18
	v_exp_f32_e32 v17, v17
	v_mul_f32_e32 v16, 0x3fb8aa3b, v16
	v_sub_f32_e32 v15, v15, v18
	v_exp_f32_e32 v16, v16
	;; [unrolled: 3-line block ×4, first 2 shown]
	v_mul_f32_e32 v13, 0x3fb8aa3b, v13
	v_sub_f32_e32 v12, v12, v18
	v_cndmask_b32_e64 v17, 0, v17, s[30:31]
	v_exp_f32_e32 v13, v13
	v_mul_f32_e32 v12, 0x3fb8aa3b, v12
	v_sub_f32_e32 v11, v11, v18
	v_add_f32_e32 v20, 0, v17
	v_cndmask_b32_e64 v16, 0, v16, s[34:35]
	v_exp_f32_e32 v12, v12
	v_mul_f32_e32 v11, 0x3fb8aa3b, v11
	v_sub_f32_e32 v10, v10, v18
	v_add_f32_e32 v20, v20, v16
	;; [unrolled: 5-line block ×4, first 2 shown]
	v_cndmask_b32_e64 v13, 0, v13, s[26:27]
	v_exp_f32_e32 v9, v9
	v_mul_f32_e32 v8, 0x3fb8aa3b, v8
	v_sub_f32_e32 v7, v7, v18
	buffer_store_dword v17, off, s[0:3], 0 offset:256
	buffer_store_dword v16, off, s[0:3], 0 offset:260
	;; [unrolled: 1-line block ×4, first 2 shown]
	v_add_f32_e32 v14, v20, v13
	v_cndmask_b32_e64 v12, 0, v12, s[40:41]
	v_exp_f32_e32 v8, v8
	v_mul_f32_e32 v7, 0x3fb8aa3b, v7
	v_sub_f32_e32 v6, v6, v18
	v_add_f32_e32 v14, v14, v12
	v_cndmask_b32_e64 v11, 0, v11, s[22:23]
	v_exp_f32_e32 v7, v7
	v_mul_f32_e32 v6, 0x3fb8aa3b, v6
	v_sub_f32_e32 v5, v5, v18
	;; [unrolled: 5-line block ×4, first 2 shown]
	buffer_store_dword v13, off, s[0:3], 0 offset:272
	buffer_store_dword v12, off, s[0:3], 0 offset:276
	;; [unrolled: 1-line block ×4, first 2 shown]
	v_add_f32_e32 v10, v14, v9
	v_cndmask_b32_e64 v8, 0, v8, s[20:21]
	v_exp_f32_e32 v4, v4
	v_mul_f32_e32 v3, 0x3fb8aa3b, v3
	v_sub_f32_e32 v2, v2, v18
	v_add_f32_e32 v10, v10, v8
	v_cndmask_b32_e64 v7, 0, v7, s[14:15]
	v_exp_f32_e32 v3, v3
	v_mul_f32_e32 v2, 0x3fb8aa3b, v2
	v_add_f32_e32 v10, v10, v7
	v_cndmask_b32_e64 v6, 0, v6, s[16:17]
	v_exp_f32_e32 v2, v2
	v_add_f32_e32 v10, v10, v6
	v_cndmask_b32_e64 v5, 0, v5, s[10:11]
	buffer_store_dword v9, off, s[0:3], 0 offset:288
	buffer_store_dword v8, off, s[0:3], 0 offset:292
	;; [unrolled: 1-line block ×4, first 2 shown]
	v_add_f32_e32 v6, v10, v5
	v_cndmask_b32_e64 v4, 0, v4, s[12:13]
	v_add_f32_e32 v6, v6, v4
	v_cndmask_b32_e32 v3, 0, v3, vcc
	v_add_f32_e32 v6, v6, v3
	v_cndmask_b32_e64 v2, 0, v2, s[4:5]
	v_add_f32_e32 v6, v6, v2
	ds_bpermute_b32 v7, v21, v6
	buffer_store_dword v5, off, s[0:3], 0 offset:304
	buffer_store_dword v4, off, s[0:3], 0 offset:308
	buffer_store_dword v3, off, s[0:3], 0 offset:312
	buffer_store_dword v2, off, s[0:3], 0 offset:316
	v_cmp_gt_u32_e32 vcc, 16, v35
	s_waitcnt lgkmcnt(0)
	s_barrier
	v_add_f32_e32 v2, v6, v7
	ds_bpermute_b32 v3, v19, v2
	s_waitcnt lgkmcnt(0)
	s_and_saveexec_b64 s[4:5], vcc
	s_cbranch_execz .LBB913_209
; %bb.208:
	v_add_f32_e32 v2, v2, v3
	v_lshlrev_b32_e32 v3, 2, v31
	ds_write2st64_b32 v3, v18, v2 offset1:1
.LBB913_209:
	s_or_b64 exec, exec, s[4:5]
	v_lshlrev_b32_e32 v2, 2, v41
	s_waitcnt lgkmcnt(0)
	s_barrier
	ds_read2_b32 v[14:15], v2 offset1:16
	ds_read2_b32 v[16:17], v2 offset0:32 offset1:48
	ds_read2_b32 v[6:7], v2 offset0:64 offset1:80
	;; [unrolled: 1-line block ×3, first 2 shown]
	s_waitcnt lgkmcnt(0)
	s_barrier
	buffer_load_dword v22, off, s[0:3], 0 offset:264
	buffer_load_dword v23, off, s[0:3], 0 offset:268
	buffer_load_dword v24, off, s[0:3], 0 offset:256
	buffer_load_dword v25, off, s[0:3], 0 offset:260
	buffer_load_dword v10, off, s[0:3], 0 offset:280
	buffer_load_dword v11, off, s[0:3], 0 offset:284
	buffer_load_dword v8, off, s[0:3], 0 offset:272
	buffer_load_dword v9, off, s[0:3], 0 offset:276
	buffer_load_dword v18, off, s[0:3], 0 offset:288
	buffer_load_dword v19, off, s[0:3], 0 offset:292
	buffer_load_dword v30, off, s[0:3], 0 offset:296
	buffer_load_dword v31, off, s[0:3], 0 offset:300
	buffer_load_dword v2, off, s[0:3], 0 offset:304
	buffer_load_dword v3, off, s[0:3], 0 offset:308
	buffer_load_dword v4, off, s[0:3], 0 offset:312
	buffer_load_dword v5, off, s[0:3], 0 offset:316
	v_max3_f32 v20, v14, s48, v15
	v_max3_f32 v20, v20, v16, v17
	v_sub_f32_e32 v14, v14, v20
	v_sub_f32_e32 v15, v15, v20
	v_mul_f32_e32 v14, 0x3fb8aa3b, v14
	v_sub_f32_e32 v16, v16, v20
	v_mul_f32_e32 v15, 0x3fb8aa3b, v15
	v_exp_f32_e32 v14, v14
	v_sub_f32_e32 v17, v17, v20
	v_mul_f32_e32 v16, 0x3fb8aa3b, v16
	v_exp_f32_e32 v15, v15
	v_mul_f32_e32 v17, 0x3fb8aa3b, v17
	v_exp_f32_e32 v16, v16
	v_exp_f32_e32 v17, v17
	v_fma_f32 v6, v14, v6, 0
	v_fmac_f32_e32 v6, v15, v7
	v_fmac_f32_e32 v6, v16, v12
	;; [unrolled: 1-line block ×3, first 2 shown]
	v_cmp_eq_u32_e32 vcc, 1, v29
	v_add_f32_e32 v12, 0x358637bd, v6
	v_cndmask_b32_e32 v14, v14, v15, vcc
	v_cmp_eq_u32_e32 vcc, 2, v29
	v_div_scale_f32 v13, s[4:5], v12, v12, 1.0
	v_cndmask_b32_e32 v7, v14, v16, vcc
	v_rcp_f32_e32 v14, v13
	v_cmp_eq_u32_e32 vcc, 3, v29
	v_cndmask_b32_e32 v7, v7, v17, vcc
	v_div_scale_f32 v15, vcc, 1.0, v12, 1.0
	v_fma_f32 v16, -v13, v14, 1.0
	v_fmac_f32_e32 v14, v16, v14
	v_mul_f32_e32 v16, v15, v14
	v_fma_f32 v17, -v13, v16, v15
	v_fmac_f32_e32 v16, v17, v14
	v_fma_f32 v13, -v13, v16, v15
	v_div_fmas_f32 v13, v13, v14, v16
	v_div_fixup_f32 v12, v13, v12, 1.0
	v_mul_f32_e32 v12, v7, v12
	s_movk_i32 s21, 0x7fff
	s_mov_b32 s22, 0x7060302
	s_lshl_b32 s20, s53, 2
	v_cmp_gt_u32_e32 vcc, 4, v0
	s_waitcnt vmcnt(14)
	v_pk_mul_f32 v[14:15], v[12:13], v[22:23] op_sel_hi:[0,1]
	v_bfe_u32 v21, v15, 16, 1
	s_waitcnt vmcnt(12)
	v_pk_mul_f32 v[16:17], v[12:13], v[24:25] op_sel_hi:[0,1]
	v_bfe_u32 v7, v17, 16, 1
	v_bfe_u32 v13, v16, 16, 1
	;; [unrolled: 1-line block ×3, first 2 shown]
	v_add3_u32 v13, v16, v13, s21
	v_add3_u32 v7, v17, v7, s21
	buffer_store_dword v16, off, s[0:3], 0 offset:256
	buffer_store_dword v17, off, s[0:3], 0 offset:260
	;; [unrolled: 1-line block ×4, first 2 shown]
	v_add3_u32 v16, v14, v22, s21
	v_add3_u32 v15, v15, v21, s21
	v_perm_b32 v14, v7, v13, s22
	v_lshlrev_b32_e32 v13, 3, v27
	v_perm_b32 v15, v15, v16, s22
	v_lshlrev_b32_e32 v7, 5, v41
	v_lshlrev_b32_e32 v16, 11, v29
	s_waitcnt vmcnt(12)
	v_pk_mul_f32 v[8:9], v[12:13], v[8:9] op_sel_hi:[0,1]
	v_or3_b32 v53, v16, v7, v13
	v_pk_mul_f32 v[10:11], v[12:13], v[10:11] op_sel_hi:[0,1]
	v_bfe_u32 v13, v9, 16, 1
	v_bfe_u32 v16, v8, 16, 1
	buffer_store_dword v8, off, s[0:3], 0 offset:272
	buffer_store_dword v9, off, s[0:3], 0 offset:276
	;; [unrolled: 1-line block ×4, first 2 shown]
	v_add3_u32 v8, v8, v16, s21
	v_add3_u32 v9, v9, v13, s21
	v_perm_b32 v8, v9, v8, s22
	v_bfe_u32 v9, v11, 16, 1
	v_bfe_u32 v13, v10, 16, 1
	v_add3_u32 v10, v10, v13, s21
	v_add3_u32 v9, v11, v9, s21
	v_perm_b32 v9, v9, v10, s22
	s_waitcnt vmcnt(14)
	v_pk_mul_f32 v[10:11], v[12:13], v[18:19] op_sel_hi:[0,1]
	ds_write2st64_b64 v53, v[14:15], v[8:9] offset1:1
	s_waitcnt vmcnt(12)
	v_pk_mul_f32 v[8:9], v[12:13], v[30:31] op_sel_hi:[0,1]
	v_bfe_u32 v13, v11, 16, 1
	v_bfe_u32 v14, v10, 16, 1
	buffer_store_dword v10, off, s[0:3], 0 offset:288
	buffer_store_dword v11, off, s[0:3], 0 offset:292
	;; [unrolled: 1-line block ×4, first 2 shown]
	v_add3_u32 v10, v10, v14, s21
	v_add3_u32 v11, v11, v13, s21
	v_perm_b32 v10, v11, v10, s22
	v_bfe_u32 v11, v9, 16, 1
	v_bfe_u32 v13, v8, 16, 1
	v_add3_u32 v8, v8, v13, s21
	v_add3_u32 v9, v9, v11, s21
	s_waitcnt vmcnt(14)
	v_pk_mul_f32 v[2:3], v[12:13], v[2:3] op_sel_hi:[0,1]
	v_perm_b32 v11, v9, v8, s22
	v_bfe_u32 v8, v3, 16, 1
	v_bfe_u32 v9, v2, 16, 1
	s_waitcnt vmcnt(12)
	v_pk_mul_f32 v[4:5], v[12:13], v[4:5] op_sel_hi:[0,1]
	buffer_store_dword v2, off, s[0:3], 0 offset:304
	buffer_store_dword v3, off, s[0:3], 0 offset:308
	buffer_store_dword v4, off, s[0:3], 0 offset:312
	buffer_store_dword v5, off, s[0:3], 0 offset:316
	v_add3_u32 v2, v2, v9, s21
	v_add3_u32 v3, v3, v8, s21
	v_perm_b32 v2, v3, v2, s22
	v_bfe_u32 v3, v5, 16, 1
	v_bfe_u32 v8, v4, 16, 1
	v_add3_u32 v4, v4, v8, s21
	v_add3_u32 v3, v5, v3, s21
	v_perm_b32 v3, v3, v4, s22
	ds_write2st64_b64 v53, v[10:11], v[2:3] offset0:2 offset1:3
	s_and_saveexec_b64 s[4:5], vcc
	s_cbranch_execz .LBB913_211
; %bb.210:
	v_or_b32_e32 v2, s29, v0
	v_mov_b32_e32 v3, 0
	v_mov_b32_e32 v4, s20
	v_mad_u64_u32 v[4:5], s[10:11], s8, v4, v[2:3]
	v_mov_b32_e32 v2, s28
	s_mul_i32 s9, s9, s20
	v_mad_u64_u32 v[2:3], s[10:11], v4, s52, v[2:3]
	v_add_u32_e32 v5, s9, v5
	v_mov_b32_e32 v4, v3
	v_mad_u64_u32 v[4:5], s[10:11], v5, s52, v[4:5]
	v_mov_b32_e32 v3, v4
	v_lshlrev_b64 v[2:3], 2, v[2:3]
	v_mov_b32_e32 v5, s47
	v_add_co_u32_e32 v4, vcc, s46, v2
	v_addc_co_u32_e32 v5, vcc, v5, v3, vcc
	global_store_dword v[4:5], v20, off
	v_mov_b32_e32 v4, s45
	v_add_co_u32_e32 v2, vcc, s44, v2
	v_addc_co_u32_e32 v3, vcc, v4, v3, vcc
	global_store_dword v[2:3], v6, off
.LBB913_211:
	s_or_b64 exec, exec, s[4:5]
	v_lshl_or_b32 v30, v27, 9, v7
	s_waitcnt lgkmcnt(0)
	s_barrier
	s_load_dword s4, s[50:51], 0x0
	ds_read_b128 v[2:5], v30
	ds_read_b128 v[6:9], v30 offset:16
	ds_read_b128 v[10:13], v30 offset:2048
	;; [unrolled: 1-line block ×7, first 2 shown]
	v_mov_b32_e32 v35, 0x80
	v_mov_b32_e32 v54, 0x140
	s_mov_b64 s[12:13], -1
	s_waitcnt lgkmcnt(0)
	s_mov_b32 s5, s4
	s_mov_b32 s10, s4
	;; [unrolled: 1-line block ×3, first 2 shown]
	s_movk_i32 s9, 0x80
	s_movk_i32 s23, 0x7f
	s_mov_b32 s24, 0xffffff
	s_mov_b32 s25, 0x5040100
	v_mov_b32_e32 v55, 0
	v_bfrev_b32_e32 v56, 60
	s_branch .LBB913_215
.LBB913_212:                            ;   in Loop: Header=BB913_215 Depth=1
	s_or_b64 exec, exec, s[18:19]
.LBB913_213:                            ;   in Loop: Header=BB913_215 Depth=1
	s_or_b64 exec, exec, s[16:17]
.LBB913_214:                            ;   in Loop: Header=BB913_215 Depth=1
	s_or_b64 exec, exec, s[14:15]
	v_perm_b32 v61, v57, v51, s25
	v_perm_b32 v60, v44, v46, s25
	s_xor_b64 s[14:15], s[12:13], -1
	s_mov_b64 s[12:13], 0
	v_mov_b32_e32 v46, v48
	v_mfma_f32_16x16x16bf16_1k v[60:63], v[60:61], v[30:31], v[34:37]
	s_and_b64 vcc, exec, s[14:15]
	v_mov_b32_e32 v51, v50
	s_nop 4
	v_perm_b32 v37, v59, v58, s25
	v_perm_b32 v36, v42, v52, s25
	v_mov_b32_e32 v35, v47
	v_mov_b32_e32 v52, v49
	v_mfma_f32_16x16x16bf16_1k v[58:61], v[36:37], v[32:33], v[60:63]
	s_nop 7
	s_nop 2
	v_pk_mul_f32 v[58:59], v[58:59], s[4:5]
	v_pk_mul_f32 v[36:37], v[60:61], s[10:11]
	v_bfe_u32 v34, v59, 16, 1
	v_bfe_u32 v38, v58, 16, 1
	;; [unrolled: 1-line block ×4, first 2 shown]
	v_add3_u32 v38, v58, v38, s21
	v_add3_u32 v34, v59, v34, s21
	v_add3_u32 v36, v36, v42, s21
	v_add3_u32 v37, v37, v40, s21
	v_perm_b32 v34, v34, v38, s22
	v_perm_b32 v36, v37, v36, s22
	buffer_store_dword v34, v54, s[0:3], 0 offen
	buffer_store_dword v36, v54, s[0:3], 0 offen offset:4
	v_mov_b32_e32 v54, 0x148
	s_cbranch_vccnz .LBB913_597
.LBB913_215:                            ; =>This Inner Loop Header: Depth=1
	buffer_load_dword v36, v35, s[0:3], 0 offen
	buffer_load_dword v34, v35, s[0:3], 0 offen offset:4
	buffer_load_dword v40, v35, s[0:3], 0 offen offset:8
	;; [unrolled: 1-line block ×3, first 2 shown]
	v_mov_b32_e32 v35, 0
	s_waitcnt vmcnt(3)
	v_cmp_ne_u16_sdwa s[16:17], v36, v55 src0_sel:BYTE_0 src1_sel:DWORD
	s_and_saveexec_b64 s[14:15], s[16:17]
	s_cbranch_execz .LBB913_221
; %bb.216:                              ;   in Loop: Header=BB913_215 Depth=1
	v_cmp_ne_u16_sdwa s[18:19], v36, s9 src0_sel:BYTE_0 src1_sel:DWORD
	v_mov_b32_e32 v35, 0xffff8000
	s_and_saveexec_b64 s[16:17], s[18:19]
	s_cbranch_execz .LBB913_220
; %bb.217:                              ;   in Loop: Header=BB913_215 Depth=1
	v_and_b32_e32 v37, 0x7f, v36
	v_cmp_ne_u32_e32 vcc, s23, v37
	v_mov_b32_e32 v35, 0x7f80
	s_and_saveexec_b64 s[18:19], vcc
	s_cbranch_execz .LBB913_219
; %bb.218:                              ;   in Loop: Header=BB913_215 Depth=1
	v_and_b32_e32 v35, 7, v36
	v_ffbh_u32_e32 v44, v35
	v_min_u32_e32 v44, 32, v44
	v_subrev_u32_e32 v57, 28, v44
	v_lshlrev_b64 v[58:59], v57, v[36:37]
	v_lshrrev_b32_e32 v42, 3, v37
	v_sub_u32_e32 v44, 29, v44
	v_and_b32_e32 v57, 7, v58
	v_cmp_gt_u32_e32 vcc, 8, v37
	v_cndmask_b32_e32 v37, v42, v44, vcc
	v_cndmask_b32_e32 v35, v35, v57, vcc
	v_lshlrev_b32_e32 v42, 24, v36
	v_lshlrev_b32_e32 v35, 20, v35
	v_and_b32_e32 v42, 0x80000000, v42
	v_lshl_add_u32 v37, v37, 23, v56
	v_or3_b32 v35, v42, v37, v35
	v_lshrrev_b32_e32 v35, 16, v35
.LBB913_219:                            ;   in Loop: Header=BB913_215 Depth=1
	s_or_b64 exec, exec, s[18:19]
.LBB913_220:                            ;   in Loop: Header=BB913_215 Depth=1
	s_or_b64 exec, exec, s[16:17]
.LBB913_221:                            ;   in Loop: Header=BB913_215 Depth=1
	s_or_b64 exec, exec, s[14:15]
	v_lshrrev_b16_e32 v42, 8, v36
	v_cmp_ne_u16_e32 vcc, 0, v42
	v_mov_b32_e32 v57, 0
	v_mov_b32_e32 v37, 0
	s_and_saveexec_b64 s[14:15], vcc
	s_cbranch_execz .LBB913_227
; %bb.222:                              ;   in Loop: Header=BB913_215 Depth=1
	v_cmp_ne_u16_e32 vcc, s9, v42
	v_mov_b32_e32 v37, 0xffff8000
	s_and_saveexec_b64 s[16:17], vcc
	s_cbranch_execz .LBB913_226
; %bb.223:                              ;   in Loop: Header=BB913_215 Depth=1
	v_and_b32_e32 v44, 0x7f, v42
	v_cmp_ne_u32_e32 vcc, s23, v44
	v_mov_b32_e32 v37, 0x7f80
	s_and_saveexec_b64 s[18:19], vcc
	s_cbranch_execz .LBB913_225
; %bb.224:                              ;   in Loop: Header=BB913_215 Depth=1
	v_and_b32_e32 v37, 7, v42
	v_ffbh_u32_e32 v58, v37
	v_min_u32_e32 v61, 32, v58
	v_subrev_u32_e32 v58, 28, v61
	v_lshlrev_b64 v[58:59], v58, v[42:43]
	v_lshrrev_b32_e32 v60, 3, v44
	v_sub_u32_e32 v42, 29, v61
	v_and_b32_e32 v58, 7, v58
	v_cmp_gt_u32_e32 vcc, 8, v44
	v_cndmask_b32_e32 v42, v60, v42, vcc
	v_cndmask_b32_e32 v37, v37, v58, vcc
	v_lshlrev_b32_e32 v44, 16, v36
	v_lshlrev_b32_e32 v37, 20, v37
	v_and_b32_e32 v44, 0x80000000, v44
	v_lshl_add_u32 v42, v42, 23, v56
	v_or3_b32 v37, v44, v42, v37
	v_lshrrev_b32_e32 v37, 16, v37
.LBB913_225:                            ;   in Loop: Header=BB913_215 Depth=1
	s_or_b64 exec, exec, s[18:19]
.LBB913_226:                            ;   in Loop: Header=BB913_215 Depth=1
	s_or_b64 exec, exec, s[16:17]
.LBB913_227:                            ;   in Loop: Header=BB913_215 Depth=1
	s_or_b64 exec, exec, s[14:15]
	v_lshrrev_b32_e32 v42, 16, v36
	v_cmp_ne_u16_sdwa s[16:17], v42, v55 src0_sel:BYTE_0 src1_sel:DWORD
	s_and_saveexec_b64 s[14:15], s[16:17]
	s_cbranch_execz .LBB913_233
; %bb.228:                              ;   in Loop: Header=BB913_215 Depth=1
	v_cmp_ne_u16_sdwa s[18:19], v42, s9 src0_sel:BYTE_0 src1_sel:DWORD
	v_mov_b32_e32 v57, 0xffff8000
	s_and_saveexec_b64 s[16:17], s[18:19]
	s_cbranch_execz .LBB913_232
; %bb.229:                              ;   in Loop: Header=BB913_215 Depth=1
	v_bfe_u32 v44, v36, 16, 7
	v_cmp_ne_u32_e32 vcc, s23, v44
	v_mov_b32_e32 v57, 0x7f80
	s_and_saveexec_b64 s[18:19], vcc
	s_cbranch_execz .LBB913_231
; %bb.230:                              ;   in Loop: Header=BB913_215 Depth=1
	v_and_b32_e32 v57, 7, v42
	v_ffbh_u32_e32 v58, v57
	v_min_u32_e32 v61, 32, v58
	v_subrev_u32_e32 v58, 28, v61
	v_lshlrev_b64 v[58:59], v58, v[42:43]
	v_lshrrev_b32_e32 v60, 3, v44
	v_sub_u32_e32 v59, 29, v61
	v_and_b32_e32 v58, 7, v58
	v_cmp_gt_u32_e32 vcc, 8, v44
	v_cndmask_b32_e32 v44, v60, v59, vcc
	v_cndmask_b32_e32 v57, v57, v58, vcc
	v_lshlrev_b32_e32 v42, 24, v42
	v_lshlrev_b32_e32 v57, 20, v57
	v_and_b32_e32 v42, 0x80000000, v42
	v_lshl_add_u32 v44, v44, 23, v56
	v_or3_b32 v42, v42, v44, v57
	v_lshrrev_b32_e32 v57, 16, v42
.LBB913_231:                            ;   in Loop: Header=BB913_215 Depth=1
	s_or_b64 exec, exec, s[18:19]
.LBB913_232:                            ;   in Loop: Header=BB913_215 Depth=1
	s_or_b64 exec, exec, s[16:17]
.LBB913_233:                            ;   in Loop: Header=BB913_215 Depth=1
	s_or_b64 exec, exec, s[14:15]
	v_cmp_lt_u32_e32 vcc, s24, v36
	v_mov_b32_e32 v58, 0
	v_mov_b32_e32 v59, 0
	s_and_saveexec_b64 s[14:15], vcc
	s_cbranch_execz .LBB913_239
; %bb.234:                              ;   in Loop: Header=BB913_215 Depth=1
	v_lshrrev_b32_e32 v42, 24, v36
	v_cmp_ne_u32_e32 vcc, s9, v42
	v_mov_b32_e32 v59, 0xffff8000
	s_and_saveexec_b64 s[16:17], vcc
	s_cbranch_execz .LBB913_238
; %bb.235:                              ;   in Loop: Header=BB913_215 Depth=1
	v_bfe_u32 v36, v36, 24, 7
	v_cmp_ne_u32_e32 vcc, s23, v36
	v_mov_b32_e32 v59, 0x7f80
	s_and_saveexec_b64 s[18:19], vcc
	s_cbranch_execz .LBB913_237
; %bb.236:                              ;   in Loop: Header=BB913_215 Depth=1
	v_and_b32_e32 v44, 7, v42
	v_ffbh_u32_e32 v60, v44
	v_min_u32_e32 v62, 32, v60
	v_subrev_u32_e32 v60, 28, v62
	v_lshlrev_b64 v[60:61], v60, v[42:43]
	v_lshrrev_b32_e32 v59, 3, v36
	v_sub_u32_e32 v61, 29, v62
	v_and_b32_e32 v60, 7, v60
	v_cmp_gt_u32_e32 vcc, 8, v36
	v_cndmask_b32_e32 v36, v59, v61, vcc
	v_cndmask_b32_e32 v44, v44, v60, vcc
	v_lshlrev_b32_e32 v42, 24, v42
	v_lshlrev_b32_e32 v44, 20, v44
	v_and_b32_e32 v42, 0x80000000, v42
	v_lshl_add_u32 v36, v36, 23, v56
	v_or3_b32 v36, v42, v36, v44
	v_lshrrev_b32_e32 v59, 16, v36
.LBB913_237:                            ;   in Loop: Header=BB913_215 Depth=1
	s_or_b64 exec, exec, s[18:19]
.LBB913_238:                            ;   in Loop: Header=BB913_215 Depth=1
	s_or_b64 exec, exec, s[16:17]
.LBB913_239:                            ;   in Loop: Header=BB913_215 Depth=1
	s_or_b64 exec, exec, s[14:15]
	s_waitcnt vmcnt(2)
	v_cmp_ne_u16_sdwa s[16:17], v34, v55 src0_sel:BYTE_0 src1_sel:DWORD
	s_and_saveexec_b64 s[14:15], s[16:17]
	s_cbranch_execz .LBB913_245
; %bb.240:                              ;   in Loop: Header=BB913_215 Depth=1
	v_cmp_ne_u16_sdwa s[18:19], v34, s9 src0_sel:BYTE_0 src1_sel:DWORD
	v_mov_b32_e32 v58, 0xffff8000
	s_and_saveexec_b64 s[16:17], s[18:19]
	s_cbranch_execz .LBB913_244
; %bb.241:                              ;   in Loop: Header=BB913_215 Depth=1
	v_and_b32_e32 v36, 0x7f, v34
	v_cmp_ne_u32_e32 vcc, s23, v36
	v_mov_b32_e32 v58, 0x7f80
	s_and_saveexec_b64 s[18:19], vcc
	s_cbranch_execz .LBB913_243
; %bb.242:                              ;   in Loop: Header=BB913_215 Depth=1
	v_and_b32_e32 v42, 7, v34
	v_ffbh_u32_e32 v58, v42
	v_min_u32_e32 v58, 32, v58
	v_subrev_u32_e32 v60, 28, v58
	v_lshlrev_b64 v[60:61], v60, v[34:35]
	v_lshrrev_b32_e32 v44, 3, v36
	v_sub_u32_e32 v58, 29, v58
	v_and_b32_e32 v60, 7, v60
	v_cmp_gt_u32_e32 vcc, 8, v36
	v_cndmask_b32_e32 v36, v44, v58, vcc
	v_cndmask_b32_e32 v42, v42, v60, vcc
	v_lshlrev_b32_e32 v44, 24, v34
	v_lshlrev_b32_e32 v42, 20, v42
	v_and_b32_e32 v44, 0x80000000, v44
	v_lshl_add_u32 v36, v36, 23, v56
	v_or3_b32 v36, v44, v36, v42
	v_lshrrev_b32_e32 v58, 16, v36
.LBB913_243:                            ;   in Loop: Header=BB913_215 Depth=1
	s_or_b64 exec, exec, s[18:19]
.LBB913_244:                            ;   in Loop: Header=BB913_215 Depth=1
	s_or_b64 exec, exec, s[16:17]
.LBB913_245:                            ;   in Loop: Header=BB913_215 Depth=1
	s_or_b64 exec, exec, s[14:15]
	v_lshrrev_b16_e32 v36, 8, v34
	v_cmp_ne_u16_e32 vcc, 0, v36
	v_mov_b32_e32 v60, 0
	v_mov_b32_e32 v42, 0
	s_and_saveexec_b64 s[14:15], vcc
	s_cbranch_execz .LBB913_251
; %bb.246:                              ;   in Loop: Header=BB913_215 Depth=1
	v_cmp_ne_u16_e32 vcc, s9, v36
	v_mov_b32_e32 v42, 0xffff8000
	s_and_saveexec_b64 s[16:17], vcc
	s_cbranch_execz .LBB913_250
; %bb.247:                              ;   in Loop: Header=BB913_215 Depth=1
	v_and_b32_e32 v44, 0x7f, v36
	v_cmp_ne_u32_e32 vcc, s23, v44
	v_mov_b32_e32 v42, 0x7f80
	s_and_saveexec_b64 s[18:19], vcc
	s_cbranch_execz .LBB913_249
; %bb.248:                              ;   in Loop: Header=BB913_215 Depth=1
	v_and_b32_e32 v42, 7, v36
	v_ffbh_u32_e32 v62, v42
	v_min_u32_e32 v64, 32, v62
	v_subrev_u32_e32 v62, 28, v64
	v_lshlrev_b64 v[62:63], v62, v[36:37]
	v_lshrrev_b32_e32 v61, 3, v44
	v_sub_u32_e32 v36, 29, v64
	v_and_b32_e32 v62, 7, v62
	v_cmp_gt_u32_e32 vcc, 8, v44
	v_cndmask_b32_e32 v36, v61, v36, vcc
	v_cndmask_b32_e32 v42, v42, v62, vcc
	v_lshlrev_b32_e32 v44, 16, v34
	v_lshlrev_b32_e32 v42, 20, v42
	v_and_b32_e32 v44, 0x80000000, v44
	v_lshl_add_u32 v36, v36, 23, v56
	v_or3_b32 v36, v44, v36, v42
	v_lshrrev_b32_e32 v42, 16, v36
.LBB913_249:                            ;   in Loop: Header=BB913_215 Depth=1
	s_or_b64 exec, exec, s[18:19]
.LBB913_250:                            ;   in Loop: Header=BB913_215 Depth=1
	s_or_b64 exec, exec, s[16:17]
.LBB913_251:                            ;   in Loop: Header=BB913_215 Depth=1
	s_or_b64 exec, exec, s[14:15]
	v_lshrrev_b32_e32 v36, 16, v34
	v_cmp_ne_u16_sdwa s[16:17], v36, v55 src0_sel:BYTE_0 src1_sel:DWORD
	s_and_saveexec_b64 s[14:15], s[16:17]
	s_cbranch_execz .LBB913_257
; %bb.252:                              ;   in Loop: Header=BB913_215 Depth=1
	v_cmp_ne_u16_sdwa s[18:19], v36, s9 src0_sel:BYTE_0 src1_sel:DWORD
	v_mov_b32_e32 v60, 0xffff8000
	s_and_saveexec_b64 s[16:17], s[18:19]
	s_cbranch_execz .LBB913_256
; %bb.253:                              ;   in Loop: Header=BB913_215 Depth=1
	v_bfe_u32 v44, v34, 16, 7
	v_cmp_ne_u32_e32 vcc, s23, v44
	v_mov_b32_e32 v60, 0x7f80
	s_and_saveexec_b64 s[18:19], vcc
	s_cbranch_execz .LBB913_255
; %bb.254:                              ;   in Loop: Header=BB913_215 Depth=1
	v_and_b32_e32 v62, 7, v36
	v_ffbh_u32_e32 v60, v62
	v_min_u32_e32 v64, 32, v60
	v_subrev_u32_e32 v60, 28, v64
	v_lshlrev_b64 v[60:61], v60, v[36:37]
	v_lshrrev_b32_e32 v63, 3, v44
	v_sub_u32_e32 v61, 29, v64
	v_and_b32_e32 v60, 7, v60
	v_cmp_gt_u32_e32 vcc, 8, v44
	v_cndmask_b32_e32 v44, v63, v61, vcc
	v_cndmask_b32_e32 v60, v62, v60, vcc
	v_lshlrev_b32_e32 v36, 24, v36
	v_lshlrev_b32_e32 v60, 20, v60
	v_and_b32_e32 v36, 0x80000000, v36
	v_lshl_add_u32 v44, v44, 23, v56
	v_or3_b32 v36, v36, v44, v60
	v_lshrrev_b32_e32 v60, 16, v36
.LBB913_255:                            ;   in Loop: Header=BB913_215 Depth=1
	s_or_b64 exec, exec, s[18:19]
.LBB913_256:                            ;   in Loop: Header=BB913_215 Depth=1
	s_or_b64 exec, exec, s[16:17]
.LBB913_257:                            ;   in Loop: Header=BB913_215 Depth=1
	s_or_b64 exec, exec, s[14:15]
	v_cmp_lt_u32_e32 vcc, s24, v34
	v_mov_b32_e32 v44, 0
	v_mov_b32_e32 v61, 0
	s_and_saveexec_b64 s[14:15], vcc
	s_cbranch_execz .LBB913_263
; %bb.258:                              ;   in Loop: Header=BB913_215 Depth=1
	v_lshrrev_b32_e32 v36, 24, v34
	v_cmp_ne_u32_e32 vcc, s9, v36
	v_mov_b32_e32 v61, 0xffff8000
	s_and_saveexec_b64 s[16:17], vcc
	s_cbranch_execz .LBB913_262
; %bb.259:                              ;   in Loop: Header=BB913_215 Depth=1
	v_bfe_u32 v34, v34, 24, 7
	v_cmp_ne_u32_e32 vcc, s23, v34
	v_mov_b32_e32 v61, 0x7f80
	s_and_saveexec_b64 s[18:19], vcc
	s_cbranch_execz .LBB913_261
; %bb.260:                              ;   in Loop: Header=BB913_215 Depth=1
	v_and_b32_e32 v61, 7, v36
	v_ffbh_u32_e32 v62, v61
	v_min_u32_e32 v65, 32, v62
	v_subrev_u32_e32 v62, 28, v65
	v_lshlrev_b64 v[62:63], v62, v[36:37]
	v_lshrrev_b32_e32 v64, 3, v34
	v_sub_u32_e32 v63, 29, v65
	v_and_b32_e32 v62, 7, v62
	v_cmp_gt_u32_e32 vcc, 8, v34
	v_cndmask_b32_e32 v34, v64, v63, vcc
	v_cndmask_b32_e32 v61, v61, v62, vcc
	v_lshlrev_b32_e32 v36, 24, v36
	v_lshlrev_b32_e32 v61, 20, v61
	v_and_b32_e32 v36, 0x80000000, v36
	v_lshl_add_u32 v34, v34, 23, v56
	v_or3_b32 v34, v36, v34, v61
	v_lshrrev_b32_e32 v61, 16, v34
.LBB913_261:                            ;   in Loop: Header=BB913_215 Depth=1
	s_or_b64 exec, exec, s[18:19]
.LBB913_262:                            ;   in Loop: Header=BB913_215 Depth=1
	s_or_b64 exec, exec, s[16:17]
.LBB913_263:                            ;   in Loop: Header=BB913_215 Depth=1
	s_or_b64 exec, exec, s[14:15]
	v_perm_b32 v63, v59, v57, s25
	v_perm_b32 v62, v37, v35, s25
	;; [unrolled: 1-line block ×4, first 2 shown]
	s_waitcnt vmcnt(1)
	v_cmp_ne_u16_sdwa s[16:17], v40, v55 src0_sel:BYTE_0 src1_sel:DWORD
	v_mfma_f32_16x16x16bf16_1k v[34:37], v[62:63], v[2:3], 0
	v_mfma_f32_16x16x16bf16_1k v[34:37], v[58:59], v[4:5], v[34:37]
	s_and_saveexec_b64 s[14:15], s[16:17]
	s_cbranch_execz .LBB913_269
; %bb.264:                              ;   in Loop: Header=BB913_215 Depth=1
	v_cmp_ne_u16_sdwa s[18:19], v40, s9 src0_sel:BYTE_0 src1_sel:DWORD
	v_mov_b32_e32 v44, 0xffff8000
	s_and_saveexec_b64 s[16:17], s[18:19]
	s_cbranch_execz .LBB913_268
; %bb.265:                              ;   in Loop: Header=BB913_215 Depth=1
	v_and_b32_e32 v42, 0x7f, v40
	v_cmp_ne_u32_e32 vcc, s23, v42
	v_mov_b32_e32 v44, 0x7f80
	s_and_saveexec_b64 s[18:19], vcc
	s_cbranch_execz .LBB913_267
; %bb.266:                              ;   in Loop: Header=BB913_215 Depth=1
	v_and_b32_e32 v44, 7, v40
	v_ffbh_u32_e32 v58, v44
	v_min_u32_e32 v60, 32, v58
	v_subrev_u32_e32 v58, 28, v60
	v_lshlrev_b64 v[58:59], v58, v[40:41]
	v_lshrrev_b32_e32 v57, 3, v42
	v_sub_u32_e32 v59, 29, v60
	v_and_b32_e32 v58, 7, v58
	v_cmp_gt_u32_e32 vcc, 8, v42
	v_cndmask_b32_e32 v42, v57, v59, vcc
	v_cndmask_b32_e32 v44, v44, v58, vcc
	v_lshlrev_b32_e32 v57, 24, v40
	v_lshlrev_b32_e32 v44, 20, v44
	v_and_b32_e32 v57, 0x80000000, v57
	v_lshl_add_u32 v42, v42, 23, v56
	v_or3_b32 v42, v57, v42, v44
	v_lshrrev_b32_e32 v44, 16, v42
.LBB913_267:                            ;   in Loop: Header=BB913_215 Depth=1
	s_or_b64 exec, exec, s[18:19]
.LBB913_268:                            ;   in Loop: Header=BB913_215 Depth=1
	s_or_b64 exec, exec, s[16:17]
.LBB913_269:                            ;   in Loop: Header=BB913_215 Depth=1
	s_or_b64 exec, exec, s[14:15]
	v_lshrrev_b16_e32 v42, 8, v40
	v_cmp_ne_u16_e32 vcc, 0, v42
	v_mov_b32_e32 v59, 0
	v_mov_b32_e32 v58, 0
	s_and_saveexec_b64 s[14:15], vcc
	s_cbranch_execz .LBB913_275
; %bb.270:                              ;   in Loop: Header=BB913_215 Depth=1
	v_cmp_ne_u16_e32 vcc, s9, v42
	v_mov_b32_e32 v58, 0xffff8000
	s_and_saveexec_b64 s[16:17], vcc
	s_cbranch_execz .LBB913_274
; %bb.271:                              ;   in Loop: Header=BB913_215 Depth=1
	v_and_b32_e32 v57, 0x7f, v42
	v_cmp_ne_u32_e32 vcc, s23, v57
	v_mov_b32_e32 v58, 0x7f80
	s_and_saveexec_b64 s[18:19], vcc
	s_cbranch_execz .LBB913_273
; %bb.272:                              ;   in Loop: Header=BB913_215 Depth=1
	v_and_b32_e32 v58, 7, v42
	v_ffbh_u32_e32 v60, v58
	v_min_u32_e32 v63, 32, v60
	v_subrev_u32_e32 v60, 28, v63
	v_lshlrev_b64 v[60:61], v60, v[42:43]
	v_lshrrev_b32_e32 v62, 3, v57
	v_sub_u32_e32 v42, 29, v63
	v_and_b32_e32 v60, 7, v60
	v_cmp_gt_u32_e32 vcc, 8, v57
	v_cndmask_b32_e32 v42, v62, v42, vcc
	v_cndmask_b32_e32 v57, v58, v60, vcc
	v_lshlrev_b32_e32 v58, 16, v40
	v_lshlrev_b32_e32 v57, 20, v57
	v_and_b32_e32 v58, 0x80000000, v58
	v_lshl_add_u32 v42, v42, 23, v56
	v_or3_b32 v42, v58, v42, v57
	v_lshrrev_b32_e32 v58, 16, v42
.LBB913_273:                            ;   in Loop: Header=BB913_215 Depth=1
	s_or_b64 exec, exec, s[18:19]
.LBB913_274:                            ;   in Loop: Header=BB913_215 Depth=1
	s_or_b64 exec, exec, s[16:17]
.LBB913_275:                            ;   in Loop: Header=BB913_215 Depth=1
	s_or_b64 exec, exec, s[14:15]
	v_lshrrev_b32_e32 v42, 16, v40
	v_cmp_ne_u16_sdwa s[16:17], v42, v55 src0_sel:BYTE_0 src1_sel:DWORD
	s_and_saveexec_b64 s[14:15], s[16:17]
	s_cbranch_execz .LBB913_281
; %bb.276:                              ;   in Loop: Header=BB913_215 Depth=1
	v_cmp_ne_u16_sdwa s[18:19], v42, s9 src0_sel:BYTE_0 src1_sel:DWORD
	v_mov_b32_e32 v59, 0xffff8000
	s_and_saveexec_b64 s[16:17], s[18:19]
	s_cbranch_execz .LBB913_280
; %bb.277:                              ;   in Loop: Header=BB913_215 Depth=1
	v_bfe_u32 v57, v40, 16, 7
	v_cmp_ne_u32_e32 vcc, s23, v57
	v_mov_b32_e32 v59, 0x7f80
	s_and_saveexec_b64 s[18:19], vcc
	s_cbranch_execz .LBB913_279
; %bb.278:                              ;   in Loop: Header=BB913_215 Depth=1
	v_and_b32_e32 v59, 7, v42
	v_ffbh_u32_e32 v60, v59
	v_min_u32_e32 v63, 32, v60
	v_subrev_u32_e32 v60, 28, v63
	v_lshlrev_b64 v[60:61], v60, v[42:43]
	v_lshrrev_b32_e32 v62, 3, v57
	v_sub_u32_e32 v61, 29, v63
	v_and_b32_e32 v60, 7, v60
	v_cmp_gt_u32_e32 vcc, 8, v57
	v_cndmask_b32_e32 v57, v62, v61, vcc
	v_cndmask_b32_e32 v59, v59, v60, vcc
	v_lshlrev_b32_e32 v42, 24, v42
	v_lshlrev_b32_e32 v59, 20, v59
	v_and_b32_e32 v42, 0x80000000, v42
	v_lshl_add_u32 v57, v57, 23, v56
	v_or3_b32 v42, v42, v57, v59
	v_lshrrev_b32_e32 v59, 16, v42
.LBB913_279:                            ;   in Loop: Header=BB913_215 Depth=1
	s_or_b64 exec, exec, s[18:19]
.LBB913_280:                            ;   in Loop: Header=BB913_215 Depth=1
	s_or_b64 exec, exec, s[16:17]
.LBB913_281:                            ;   in Loop: Header=BB913_215 Depth=1
	s_or_b64 exec, exec, s[14:15]
	v_cmp_lt_u32_e32 vcc, s24, v40
	v_mov_b32_e32 v60, 0
	v_mov_b32_e32 v61, 0
	s_and_saveexec_b64 s[14:15], vcc
	s_cbranch_execz .LBB913_287
; %bb.282:                              ;   in Loop: Header=BB913_215 Depth=1
	v_lshrrev_b32_e32 v42, 24, v40
	v_cmp_ne_u32_e32 vcc, s9, v42
	v_mov_b32_e32 v61, 0xffff8000
	s_and_saveexec_b64 s[16:17], vcc
	s_cbranch_execz .LBB913_286
; %bb.283:                              ;   in Loop: Header=BB913_215 Depth=1
	v_bfe_u32 v40, v40, 24, 7
	v_cmp_ne_u32_e32 vcc, s23, v40
	v_mov_b32_e32 v61, 0x7f80
	s_and_saveexec_b64 s[18:19], vcc
	s_cbranch_execz .LBB913_285
; %bb.284:                              ;   in Loop: Header=BB913_215 Depth=1
	v_and_b32_e32 v57, 7, v42
	v_ffbh_u32_e32 v62, v57
	v_min_u32_e32 v64, 32, v62
	v_subrev_u32_e32 v62, 28, v64
	v_lshlrev_b64 v[62:63], v62, v[42:43]
	v_lshrrev_b32_e32 v61, 3, v40
	v_sub_u32_e32 v63, 29, v64
	v_and_b32_e32 v62, 7, v62
	v_cmp_gt_u32_e32 vcc, 8, v40
	v_cndmask_b32_e32 v40, v61, v63, vcc
	v_cndmask_b32_e32 v57, v57, v62, vcc
	v_lshlrev_b32_e32 v42, 24, v42
	v_lshlrev_b32_e32 v57, 20, v57
	v_and_b32_e32 v42, 0x80000000, v42
	v_lshl_add_u32 v40, v40, 23, v56
	v_or3_b32 v40, v42, v40, v57
	v_lshrrev_b32_e32 v61, 16, v40
.LBB913_285:                            ;   in Loop: Header=BB913_215 Depth=1
	s_or_b64 exec, exec, s[18:19]
.LBB913_286:                            ;   in Loop: Header=BB913_215 Depth=1
	s_or_b64 exec, exec, s[16:17]
.LBB913_287:                            ;   in Loop: Header=BB913_215 Depth=1
	s_or_b64 exec, exec, s[14:15]
	s_waitcnt vmcnt(0)
	v_cmp_ne_u16_sdwa s[16:17], v38, v55 src0_sel:BYTE_0 src1_sel:DWORD
	s_and_saveexec_b64 s[14:15], s[16:17]
	s_cbranch_execz .LBB913_293
; %bb.288:                              ;   in Loop: Header=BB913_215 Depth=1
	v_cmp_ne_u16_sdwa s[18:19], v38, s9 src0_sel:BYTE_0 src1_sel:DWORD
	v_mov_b32_e32 v60, 0xffff8000
	s_and_saveexec_b64 s[16:17], s[18:19]
	s_cbranch_execz .LBB913_292
; %bb.289:                              ;   in Loop: Header=BB913_215 Depth=1
	v_and_b32_e32 v40, 0x7f, v38
	v_cmp_ne_u32_e32 vcc, s23, v40
	v_mov_b32_e32 v60, 0x7f80
	s_and_saveexec_b64 s[18:19], vcc
	s_cbranch_execz .LBB913_291
; %bb.290:                              ;   in Loop: Header=BB913_215 Depth=1
	v_and_b32_e32 v42, 7, v38
	v_ffbh_u32_e32 v60, v42
	v_min_u32_e32 v60, 32, v60
	v_subrev_u32_e32 v62, 28, v60
	v_lshlrev_b64 v[62:63], v62, v[38:39]
	v_lshrrev_b32_e32 v57, 3, v40
	v_sub_u32_e32 v60, 29, v60
	v_and_b32_e32 v62, 7, v62
	v_cmp_gt_u32_e32 vcc, 8, v40
	v_cndmask_b32_e32 v40, v57, v60, vcc
	v_cndmask_b32_e32 v42, v42, v62, vcc
	v_lshlrev_b32_e32 v57, 24, v38
	v_lshlrev_b32_e32 v42, 20, v42
	v_and_b32_e32 v57, 0x80000000, v57
	v_lshl_add_u32 v40, v40, 23, v56
	v_or3_b32 v40, v57, v40, v42
	v_lshrrev_b32_e32 v60, 16, v40
.LBB913_291:                            ;   in Loop: Header=BB913_215 Depth=1
	s_or_b64 exec, exec, s[18:19]
.LBB913_292:                            ;   in Loop: Header=BB913_215 Depth=1
	s_or_b64 exec, exec, s[16:17]
.LBB913_293:                            ;   in Loop: Header=BB913_215 Depth=1
	s_or_b64 exec, exec, s[14:15]
	v_lshrrev_b16_e32 v40, 8, v38
	v_cmp_ne_u16_e32 vcc, 0, v40
	v_mov_b32_e32 v63, 0
	v_mov_b32_e32 v62, 0
	s_and_saveexec_b64 s[14:15], vcc
	s_cbranch_execz .LBB913_299
; %bb.294:                              ;   in Loop: Header=BB913_215 Depth=1
	v_cmp_ne_u16_e32 vcc, s9, v40
	v_mov_b32_e32 v62, 0xffff8000
	s_and_saveexec_b64 s[16:17], vcc
	s_cbranch_execz .LBB913_298
; %bb.295:                              ;   in Loop: Header=BB913_215 Depth=1
	v_and_b32_e32 v42, 0x7f, v40
	v_cmp_ne_u32_e32 vcc, s23, v42
	v_mov_b32_e32 v62, 0x7f80
	s_and_saveexec_b64 s[18:19], vcc
	s_cbranch_execz .LBB913_297
; %bb.296:                              ;   in Loop: Header=BB913_215 Depth=1
	v_and_b32_e32 v57, 7, v40
	v_ffbh_u32_e32 v64, v57
	v_min_u32_e32 v66, 32, v64
	v_subrev_u32_e32 v64, 28, v66
	v_lshlrev_b64 v[64:65], v64, v[40:41]
	v_lshrrev_b32_e32 v62, 3, v42
	v_sub_u32_e32 v40, 29, v66
	v_and_b32_e32 v64, 7, v64
	v_cmp_gt_u32_e32 vcc, 8, v42
	v_cndmask_b32_e32 v40, v62, v40, vcc
	v_cndmask_b32_e32 v42, v57, v64, vcc
	v_lshlrev_b32_e32 v57, 16, v38
	v_lshlrev_b32_e32 v42, 20, v42
	v_and_b32_e32 v57, 0x80000000, v57
	v_lshl_add_u32 v40, v40, 23, v56
	v_or3_b32 v40, v57, v40, v42
	v_lshrrev_b32_e32 v62, 16, v40
.LBB913_297:                            ;   in Loop: Header=BB913_215 Depth=1
	s_or_b64 exec, exec, s[18:19]
.LBB913_298:                            ;   in Loop: Header=BB913_215 Depth=1
	s_or_b64 exec, exec, s[16:17]
.LBB913_299:                            ;   in Loop: Header=BB913_215 Depth=1
	s_or_b64 exec, exec, s[14:15]
	v_lshrrev_b32_e32 v40, 16, v38
	v_cmp_ne_u16_sdwa s[16:17], v40, v55 src0_sel:BYTE_0 src1_sel:DWORD
	s_and_saveexec_b64 s[14:15], s[16:17]
	s_cbranch_execz .LBB913_305
; %bb.300:                              ;   in Loop: Header=BB913_215 Depth=1
	v_cmp_ne_u16_sdwa s[18:19], v40, s9 src0_sel:BYTE_0 src1_sel:DWORD
	v_mov_b32_e32 v63, 0xffff8000
	s_and_saveexec_b64 s[16:17], s[18:19]
	s_cbranch_execz .LBB913_304
; %bb.301:                              ;   in Loop: Header=BB913_215 Depth=1
	v_bfe_u32 v42, v38, 16, 7
	v_cmp_ne_u32_e32 vcc, s23, v42
	v_mov_b32_e32 v63, 0x7f80
	s_and_saveexec_b64 s[18:19], vcc
	s_cbranch_execz .LBB913_303
; %bb.302:                              ;   in Loop: Header=BB913_215 Depth=1
	v_and_b32_e32 v57, 7, v40
	v_ffbh_u32_e32 v64, v57
	v_min_u32_e32 v66, 32, v64
	v_subrev_u32_e32 v64, 28, v66
	v_lshlrev_b64 v[64:65], v64, v[40:41]
	v_lshrrev_b32_e32 v63, 3, v42
	v_sub_u32_e32 v65, 29, v66
	v_and_b32_e32 v64, 7, v64
	v_cmp_gt_u32_e32 vcc, 8, v42
	v_cndmask_b32_e32 v42, v63, v65, vcc
	v_cndmask_b32_e32 v57, v57, v64, vcc
	v_lshlrev_b32_e32 v40, 24, v40
	v_lshlrev_b32_e32 v57, 20, v57
	v_and_b32_e32 v40, 0x80000000, v40
	v_lshl_add_u32 v42, v42, 23, v56
	v_or3_b32 v40, v40, v42, v57
	v_lshrrev_b32_e32 v63, 16, v40
.LBB913_303:                            ;   in Loop: Header=BB913_215 Depth=1
	s_or_b64 exec, exec, s[18:19]
.LBB913_304:                            ;   in Loop: Header=BB913_215 Depth=1
	s_or_b64 exec, exec, s[16:17]
.LBB913_305:                            ;   in Loop: Header=BB913_215 Depth=1
	s_or_b64 exec, exec, s[14:15]
	v_cmp_lt_u32_e32 vcc, s24, v38
	v_mov_b32_e32 v57, 0
	v_mov_b32_e32 v64, 0
	s_and_saveexec_b64 s[14:15], vcc
	s_cbranch_execz .LBB913_311
; %bb.306:                              ;   in Loop: Header=BB913_215 Depth=1
	v_lshrrev_b32_e32 v40, 24, v38
	v_cmp_ne_u32_e32 vcc, s9, v40
	v_mov_b32_e32 v64, 0xffff8000
	s_and_saveexec_b64 s[16:17], vcc
	s_cbranch_execz .LBB913_310
; %bb.307:                              ;   in Loop: Header=BB913_215 Depth=1
	v_bfe_u32 v38, v38, 24, 7
	v_cmp_ne_u32_e32 vcc, s23, v38
	v_mov_b32_e32 v64, 0x7f80
	s_and_saveexec_b64 s[18:19], vcc
	s_cbranch_execz .LBB913_309
; %bb.308:                              ;   in Loop: Header=BB913_215 Depth=1
	v_and_b32_e32 v42, 7, v40
	v_ffbh_u32_e32 v64, v42
	v_min_u32_e32 v67, 32, v64
	v_subrev_u32_e32 v64, 28, v67
	v_lshlrev_b64 v[64:65], v64, v[40:41]
	v_lshrrev_b32_e32 v66, 3, v38
	v_sub_u32_e32 v65, 29, v67
	v_and_b32_e32 v64, 7, v64
	v_cmp_gt_u32_e32 vcc, 8, v38
	v_cndmask_b32_e32 v38, v66, v65, vcc
	v_cndmask_b32_e32 v42, v42, v64, vcc
	v_lshlrev_b32_e32 v40, 24, v40
	v_lshlrev_b32_e32 v42, 20, v42
	v_and_b32_e32 v40, 0x80000000, v40
	v_lshl_add_u32 v38, v38, 23, v56
	v_or3_b32 v38, v40, v38, v42
	v_lshrrev_b32_e32 v64, 16, v38
.LBB913_309:                            ;   in Loop: Header=BB913_215 Depth=1
	s_or_b64 exec, exec, s[18:19]
.LBB913_310:                            ;   in Loop: Header=BB913_215 Depth=1
	s_or_b64 exec, exec, s[16:17]
.LBB913_311:                            ;   in Loop: Header=BB913_215 Depth=1
	s_or_b64 exec, exec, s[14:15]
	v_perm_b32 v58, v58, v44, s25
	buffer_load_dword v44, v46, s[0:3], 0 offen
	buffer_load_dword v42, v46, s[0:3], 0 offen offset:4
	buffer_load_dword v40, v46, s[0:3], 0 offen offset:8
	;; [unrolled: 1-line block ×3, first 2 shown]
	v_perm_b32 v59, v61, v59, s25
	s_waitcnt vmcnt(3)
	v_cmp_ne_u16_sdwa s[16:17], v44, v55 src0_sel:BYTE_0 src1_sel:DWORD
	v_mfma_f32_16x16x16bf16_1k v[34:37], v[58:59], v[6:7], v[34:37]
	v_perm_b32 v59, v64, v63, s25
	v_perm_b32 v58, v62, v60, s25
	s_nop 1
	v_mfma_f32_16x16x16bf16_1k v[34:37], v[58:59], v[8:9], v[34:37]
	s_and_saveexec_b64 s[14:15], s[16:17]
	s_cbranch_execz .LBB913_317
; %bb.312:                              ;   in Loop: Header=BB913_215 Depth=1
	v_cmp_ne_u16_sdwa s[18:19], v44, s9 src0_sel:BYTE_0 src1_sel:DWORD
	v_mov_b32_e32 v57, 0xffff8000
	s_and_saveexec_b64 s[16:17], s[18:19]
	s_cbranch_execz .LBB913_316
; %bb.313:                              ;   in Loop: Header=BB913_215 Depth=1
	v_and_b32_e32 v46, 0x7f, v44
	v_cmp_ne_u32_e32 vcc, s23, v46
	v_mov_b32_e32 v57, 0x7f80
	s_and_saveexec_b64 s[18:19], vcc
	s_cbranch_execz .LBB913_315
; %bb.314:                              ;   in Loop: Header=BB913_215 Depth=1
	v_and_b32_e32 v57, 7, v44
	v_ffbh_u32_e32 v58, v57
	v_min_u32_e32 v61, 32, v58
	v_subrev_u32_e32 v58, 28, v61
	v_lshlrev_b64 v[58:59], v58, v[44:45]
	v_lshrrev_b32_e32 v60, 3, v46
	v_sub_u32_e32 v59, 29, v61
	v_and_b32_e32 v58, 7, v58
	v_cmp_gt_u32_e32 vcc, 8, v46
	v_cndmask_b32_e32 v46, v60, v59, vcc
	v_cndmask_b32_e32 v57, v57, v58, vcc
	v_lshlrev_b32_e32 v58, 24, v44
	v_lshlrev_b32_e32 v57, 20, v57
	v_and_b32_e32 v58, 0x80000000, v58
	v_lshl_add_u32 v46, v46, 23, v56
	v_or3_b32 v46, v58, v46, v57
	v_lshrrev_b32_e32 v57, 16, v46
.LBB913_315:                            ;   in Loop: Header=BB913_215 Depth=1
	s_or_b64 exec, exec, s[18:19]
.LBB913_316:                            ;   in Loop: Header=BB913_215 Depth=1
	s_or_b64 exec, exec, s[16:17]
.LBB913_317:                            ;   in Loop: Header=BB913_215 Depth=1
	s_or_b64 exec, exec, s[14:15]
	v_lshrrev_b16_e32 v46, 8, v44
	v_cmp_ne_u16_e32 vcc, 0, v46
	v_mov_b32_e32 v59, 0
	v_mov_b32_e32 v58, 0
	s_and_saveexec_b64 s[14:15], vcc
	s_cbranch_execz .LBB913_323
; %bb.318:                              ;   in Loop: Header=BB913_215 Depth=1
	v_cmp_ne_u16_e32 vcc, s9, v46
	v_mov_b32_e32 v58, 0xffff8000
	s_and_saveexec_b64 s[16:17], vcc
	s_cbranch_execz .LBB913_322
; %bb.319:                              ;   in Loop: Header=BB913_215 Depth=1
	v_and_b32_e32 v60, 0x7f, v46
	v_cmp_ne_u32_e32 vcc, s23, v60
	v_mov_b32_e32 v58, 0x7f80
	s_and_saveexec_b64 s[18:19], vcc
	s_cbranch_execz .LBB913_321
; %bb.320:                              ;   in Loop: Header=BB913_215 Depth=1
	v_and_b32_e32 v58, 7, v46
	v_ffbh_u32_e32 v62, v58
	v_min_u32_e32 v64, 32, v62
	v_subrev_u32_e32 v62, 28, v64
	v_lshlrev_b64 v[62:63], v62, v[46:47]
	v_lshrrev_b32_e32 v61, 3, v60
	v_sub_u32_e32 v46, 29, v64
	v_and_b32_e32 v62, 7, v62
	v_cmp_gt_u32_e32 vcc, 8, v60
	v_cndmask_b32_e32 v46, v61, v46, vcc
	v_cndmask_b32_e32 v58, v58, v62, vcc
	v_lshlrev_b32_e32 v60, 16, v44
	v_lshlrev_b32_e32 v58, 20, v58
	v_and_b32_e32 v60, 0x80000000, v60
	v_lshl_add_u32 v46, v46, 23, v56
	v_or3_b32 v46, v60, v46, v58
	v_lshrrev_b32_e32 v58, 16, v46
.LBB913_321:                            ;   in Loop: Header=BB913_215 Depth=1
	s_or_b64 exec, exec, s[18:19]
.LBB913_322:                            ;   in Loop: Header=BB913_215 Depth=1
	s_or_b64 exec, exec, s[16:17]
.LBB913_323:                            ;   in Loop: Header=BB913_215 Depth=1
	s_or_b64 exec, exec, s[14:15]
	v_lshrrev_b32_e32 v46, 16, v44
	v_cmp_ne_u16_sdwa s[16:17], v46, v55 src0_sel:BYTE_0 src1_sel:DWORD
	s_and_saveexec_b64 s[14:15], s[16:17]
	s_cbranch_execz .LBB913_329
; %bb.324:                              ;   in Loop: Header=BB913_215 Depth=1
	v_cmp_ne_u16_sdwa s[18:19], v46, s9 src0_sel:BYTE_0 src1_sel:DWORD
	v_mov_b32_e32 v59, 0xffff8000
	s_and_saveexec_b64 s[16:17], s[18:19]
	s_cbranch_execz .LBB913_328
; %bb.325:                              ;   in Loop: Header=BB913_215 Depth=1
	v_bfe_u32 v60, v44, 16, 7
	v_cmp_ne_u32_e32 vcc, s23, v60
	v_mov_b32_e32 v59, 0x7f80
	s_and_saveexec_b64 s[18:19], vcc
	s_cbranch_execz .LBB913_327
; %bb.326:                              ;   in Loop: Header=BB913_215 Depth=1
	v_and_b32_e32 v59, 7, v46
	v_ffbh_u32_e32 v62, v59
	v_min_u32_e32 v64, 32, v62
	v_subrev_u32_e32 v62, 28, v64
	v_lshlrev_b64 v[62:63], v62, v[46:47]
	v_lshrrev_b32_e32 v61, 3, v60
	v_sub_u32_e32 v63, 29, v64
	v_and_b32_e32 v62, 7, v62
	v_cmp_gt_u32_e32 vcc, 8, v60
	v_cndmask_b32_e32 v60, v61, v63, vcc
	v_cndmask_b32_e32 v59, v59, v62, vcc
	v_lshlrev_b32_e32 v46, 24, v46
	v_lshlrev_b32_e32 v59, 20, v59
	v_and_b32_e32 v46, 0x80000000, v46
	v_lshl_add_u32 v60, v60, 23, v56
	v_or3_b32 v46, v46, v60, v59
	v_lshrrev_b32_e32 v59, 16, v46
.LBB913_327:                            ;   in Loop: Header=BB913_215 Depth=1
	s_or_b64 exec, exec, s[18:19]
.LBB913_328:                            ;   in Loop: Header=BB913_215 Depth=1
	s_or_b64 exec, exec, s[16:17]
.LBB913_329:                            ;   in Loop: Header=BB913_215 Depth=1
	s_or_b64 exec, exec, s[14:15]
	v_cmp_lt_u32_e32 vcc, s24, v44
	v_mov_b32_e32 v60, 0
	v_mov_b32_e32 v61, 0
	s_and_saveexec_b64 s[14:15], vcc
	s_cbranch_execz .LBB913_335
; %bb.330:                              ;   in Loop: Header=BB913_215 Depth=1
	v_lshrrev_b32_e32 v46, 24, v44
	v_cmp_ne_u32_e32 vcc, s9, v46
	v_mov_b32_e32 v61, 0xffff8000
	s_and_saveexec_b64 s[16:17], vcc
	s_cbranch_execz .LBB913_334
; %bb.331:                              ;   in Loop: Header=BB913_215 Depth=1
	v_bfe_u32 v44, v44, 24, 7
	v_cmp_ne_u32_e32 vcc, s23, v44
	v_mov_b32_e32 v61, 0x7f80
	s_and_saveexec_b64 s[18:19], vcc
	s_cbranch_execz .LBB913_333
; %bb.332:                              ;   in Loop: Header=BB913_215 Depth=1
	v_and_b32_e32 v61, 7, v46
	v_ffbh_u32_e32 v62, v61
	v_min_u32_e32 v65, 32, v62
	v_subrev_u32_e32 v62, 28, v65
	v_lshlrev_b64 v[62:63], v62, v[46:47]
	v_lshrrev_b32_e32 v64, 3, v44
	v_sub_u32_e32 v63, 29, v65
	v_and_b32_e32 v62, 7, v62
	v_cmp_gt_u32_e32 vcc, 8, v44
	v_cndmask_b32_e32 v44, v64, v63, vcc
	v_cndmask_b32_e32 v61, v61, v62, vcc
	v_lshlrev_b32_e32 v46, 24, v46
	v_lshlrev_b32_e32 v61, 20, v61
	v_and_b32_e32 v46, 0x80000000, v46
	v_lshl_add_u32 v44, v44, 23, v56
	v_or3_b32 v44, v46, v44, v61
	v_lshrrev_b32_e32 v61, 16, v44
.LBB913_333:                            ;   in Loop: Header=BB913_215 Depth=1
	s_or_b64 exec, exec, s[18:19]
.LBB913_334:                            ;   in Loop: Header=BB913_215 Depth=1
	s_or_b64 exec, exec, s[16:17]
.LBB913_335:                            ;   in Loop: Header=BB913_215 Depth=1
	s_or_b64 exec, exec, s[14:15]
	s_waitcnt vmcnt(2)
	v_cmp_ne_u16_sdwa s[16:17], v42, v55 src0_sel:BYTE_0 src1_sel:DWORD
	s_and_saveexec_b64 s[14:15], s[16:17]
	s_cbranch_execz .LBB913_341
; %bb.336:                              ;   in Loop: Header=BB913_215 Depth=1
	v_cmp_ne_u16_sdwa s[18:19], v42, s9 src0_sel:BYTE_0 src1_sel:DWORD
	v_mov_b32_e32 v60, 0xffff8000
	s_and_saveexec_b64 s[16:17], s[18:19]
	s_cbranch_execz .LBB913_340
; %bb.337:                              ;   in Loop: Header=BB913_215 Depth=1
	v_and_b32_e32 v44, 0x7f, v42
	v_cmp_ne_u32_e32 vcc, s23, v44
	v_mov_b32_e32 v60, 0x7f80
	s_and_saveexec_b64 s[18:19], vcc
	s_cbranch_execz .LBB913_339
; %bb.338:                              ;   in Loop: Header=BB913_215 Depth=1
	v_and_b32_e32 v46, 7, v42
	v_ffbh_u32_e32 v62, v46
	v_min_u32_e32 v64, 32, v62
	v_subrev_u32_e32 v62, 28, v64
	v_lshlrev_b64 v[62:63], v62, v[42:43]
	v_lshrrev_b32_e32 v60, 3, v44
	v_sub_u32_e32 v63, 29, v64
	v_and_b32_e32 v62, 7, v62
	v_cmp_gt_u32_e32 vcc, 8, v44
	v_cndmask_b32_e32 v44, v60, v63, vcc
	v_cndmask_b32_e32 v46, v46, v62, vcc
	v_lshlrev_b32_e32 v60, 24, v42
	v_lshlrev_b32_e32 v46, 20, v46
	v_and_b32_e32 v60, 0x80000000, v60
	v_lshl_add_u32 v44, v44, 23, v56
	v_or3_b32 v44, v60, v44, v46
	v_lshrrev_b32_e32 v60, 16, v44
.LBB913_339:                            ;   in Loop: Header=BB913_215 Depth=1
	s_or_b64 exec, exec, s[18:19]
.LBB913_340:                            ;   in Loop: Header=BB913_215 Depth=1
	s_or_b64 exec, exec, s[16:17]
.LBB913_341:                            ;   in Loop: Header=BB913_215 Depth=1
	s_or_b64 exec, exec, s[14:15]
	v_lshrrev_b16_e32 v44, 8, v42
	v_cmp_ne_u16_e32 vcc, 0, v44
	v_mov_b32_e32 v63, 0
	v_mov_b32_e32 v62, 0
	s_and_saveexec_b64 s[14:15], vcc
	s_cbranch_execz .LBB913_347
; %bb.342:                              ;   in Loop: Header=BB913_215 Depth=1
	v_cmp_ne_u16_e32 vcc, s9, v44
	v_mov_b32_e32 v62, 0xffff8000
	s_and_saveexec_b64 s[16:17], vcc
	s_cbranch_execz .LBB913_346
; %bb.343:                              ;   in Loop: Header=BB913_215 Depth=1
	v_and_b32_e32 v46, 0x7f, v44
	v_cmp_ne_u32_e32 vcc, s23, v46
	v_mov_b32_e32 v62, 0x7f80
	s_and_saveexec_b64 s[18:19], vcc
	s_cbranch_execz .LBB913_345
; %bb.344:                              ;   in Loop: Header=BB913_215 Depth=1
	v_and_b32_e32 v62, 7, v44
	v_ffbh_u32_e32 v64, v62
	v_min_u32_e32 v67, 32, v64
	v_subrev_u32_e32 v64, 28, v67
	v_lshlrev_b64 v[64:65], v64, v[44:45]
	v_lshrrev_b32_e32 v66, 3, v46
	v_sub_u32_e32 v44, 29, v67
	v_and_b32_e32 v64, 7, v64
	v_cmp_gt_u32_e32 vcc, 8, v46
	v_cndmask_b32_e32 v44, v66, v44, vcc
	v_cndmask_b32_e32 v46, v62, v64, vcc
	v_lshlrev_b32_e32 v62, 16, v42
	v_lshlrev_b32_e32 v46, 20, v46
	v_and_b32_e32 v62, 0x80000000, v62
	v_lshl_add_u32 v44, v44, 23, v56
	v_or3_b32 v44, v62, v44, v46
	v_lshrrev_b32_e32 v62, 16, v44
.LBB913_345:                            ;   in Loop: Header=BB913_215 Depth=1
	s_or_b64 exec, exec, s[18:19]
.LBB913_346:                            ;   in Loop: Header=BB913_215 Depth=1
	s_or_b64 exec, exec, s[16:17]
.LBB913_347:                            ;   in Loop: Header=BB913_215 Depth=1
	s_or_b64 exec, exec, s[14:15]
	v_lshrrev_b32_e32 v44, 16, v42
	v_cmp_ne_u16_sdwa s[16:17], v44, v55 src0_sel:BYTE_0 src1_sel:DWORD
	s_and_saveexec_b64 s[14:15], s[16:17]
	s_cbranch_execz .LBB913_353
; %bb.348:                              ;   in Loop: Header=BB913_215 Depth=1
	v_cmp_ne_u16_sdwa s[18:19], v44, s9 src0_sel:BYTE_0 src1_sel:DWORD
	v_mov_b32_e32 v63, 0xffff8000
	s_and_saveexec_b64 s[16:17], s[18:19]
	s_cbranch_execz .LBB913_352
; %bb.349:                              ;   in Loop: Header=BB913_215 Depth=1
	v_bfe_u32 v46, v42, 16, 7
	v_cmp_ne_u32_e32 vcc, s23, v46
	v_mov_b32_e32 v63, 0x7f80
	s_and_saveexec_b64 s[18:19], vcc
	s_cbranch_execz .LBB913_351
; %bb.350:                              ;   in Loop: Header=BB913_215 Depth=1
	v_and_b32_e32 v63, 7, v44
	v_ffbh_u32_e32 v64, v63
	v_min_u32_e32 v67, 32, v64
	v_subrev_u32_e32 v64, 28, v67
	v_lshlrev_b64 v[64:65], v64, v[44:45]
	v_lshrrev_b32_e32 v66, 3, v46
	v_sub_u32_e32 v65, 29, v67
	v_and_b32_e32 v64, 7, v64
	v_cmp_gt_u32_e32 vcc, 8, v46
	v_cndmask_b32_e32 v46, v66, v65, vcc
	v_cndmask_b32_e32 v63, v63, v64, vcc
	v_lshlrev_b32_e32 v44, 24, v44
	v_lshlrev_b32_e32 v63, 20, v63
	v_and_b32_e32 v44, 0x80000000, v44
	v_lshl_add_u32 v46, v46, 23, v56
	v_or3_b32 v44, v44, v46, v63
	v_lshrrev_b32_e32 v63, 16, v44
.LBB913_351:                            ;   in Loop: Header=BB913_215 Depth=1
	s_or_b64 exec, exec, s[18:19]
.LBB913_352:                            ;   in Loop: Header=BB913_215 Depth=1
	s_or_b64 exec, exec, s[16:17]
.LBB913_353:                            ;   in Loop: Header=BB913_215 Depth=1
	s_or_b64 exec, exec, s[14:15]
	v_cmp_lt_u32_e32 vcc, s24, v42
	v_mov_b32_e32 v46, 0
	v_mov_b32_e32 v64, 0
	s_and_saveexec_b64 s[14:15], vcc
	s_cbranch_execz .LBB913_359
; %bb.354:                              ;   in Loop: Header=BB913_215 Depth=1
	v_lshrrev_b32_e32 v44, 24, v42
	v_cmp_ne_u32_e32 vcc, s9, v44
	v_mov_b32_e32 v64, 0xffff8000
	s_and_saveexec_b64 s[16:17], vcc
	s_cbranch_execz .LBB913_358
; %bb.355:                              ;   in Loop: Header=BB913_215 Depth=1
	v_bfe_u32 v42, v42, 24, 7
	v_cmp_ne_u32_e32 vcc, s23, v42
	v_mov_b32_e32 v64, 0x7f80
	s_and_saveexec_b64 s[18:19], vcc
	s_cbranch_execz .LBB913_357
; %bb.356:                              ;   in Loop: Header=BB913_215 Depth=1
	v_and_b32_e32 v66, 7, v44
	v_ffbh_u32_e32 v64, v66
	v_min_u32_e32 v68, 32, v64
	v_subrev_u32_e32 v64, 28, v68
	v_lshlrev_b64 v[64:65], v64, v[44:45]
	v_lshrrev_b32_e32 v67, 3, v42
	v_sub_u32_e32 v65, 29, v68
	v_and_b32_e32 v64, 7, v64
	v_cmp_gt_u32_e32 vcc, 8, v42
	v_cndmask_b32_e32 v42, v67, v65, vcc
	v_cndmask_b32_e32 v64, v66, v64, vcc
	v_lshlrev_b32_e32 v44, 24, v44
	v_lshlrev_b32_e32 v64, 20, v64
	v_and_b32_e32 v44, 0x80000000, v44
	v_lshl_add_u32 v42, v42, 23, v56
	v_or3_b32 v42, v44, v42, v64
	v_lshrrev_b32_e32 v64, 16, v42
.LBB913_357:                            ;   in Loop: Header=BB913_215 Depth=1
	s_or_b64 exec, exec, s[18:19]
.LBB913_358:                            ;   in Loop: Header=BB913_215 Depth=1
	s_or_b64 exec, exec, s[16:17]
.LBB913_359:                            ;   in Loop: Header=BB913_215 Depth=1
	s_or_b64 exec, exec, s[14:15]
	v_perm_b32 v59, v61, v59, s25
	v_perm_b32 v58, v58, v57, s25
	s_waitcnt vmcnt(1)
	v_cmp_ne_u16_sdwa s[16:17], v40, v55 src0_sel:BYTE_0 src1_sel:DWORD
	v_mfma_f32_16x16x16bf16_1k v[34:37], v[58:59], v[10:11], v[34:37]
	v_perm_b32 v59, v64, v63, s25
	v_perm_b32 v58, v62, v60, s25
	s_nop 1
	v_mfma_f32_16x16x16bf16_1k v[34:37], v[58:59], v[12:13], v[34:37]
	s_and_saveexec_b64 s[14:15], s[16:17]
	s_cbranch_execz .LBB913_365
; %bb.360:                              ;   in Loop: Header=BB913_215 Depth=1
	v_cmp_ne_u16_sdwa s[18:19], v40, s9 src0_sel:BYTE_0 src1_sel:DWORD
	v_mov_b32_e32 v46, 0xffff8000
	s_and_saveexec_b64 s[16:17], s[18:19]
	s_cbranch_execz .LBB913_364
; %bb.361:                              ;   in Loop: Header=BB913_215 Depth=1
	v_and_b32_e32 v42, 0x7f, v40
	v_cmp_ne_u32_e32 vcc, s23, v42
	v_mov_b32_e32 v46, 0x7f80
	s_and_saveexec_b64 s[18:19], vcc
	s_cbranch_execz .LBB913_363
; %bb.362:                              ;   in Loop: Header=BB913_215 Depth=1
	v_and_b32_e32 v44, 7, v40
	v_ffbh_u32_e32 v57, v44
	v_min_u32_e32 v57, 32, v57
	v_subrev_u32_e32 v58, 28, v57
	v_lshlrev_b64 v[58:59], v58, v[40:41]
	v_lshrrev_b32_e32 v46, 3, v42
	v_sub_u32_e32 v57, 29, v57
	v_and_b32_e32 v58, 7, v58
	v_cmp_gt_u32_e32 vcc, 8, v42
	v_cndmask_b32_e32 v42, v46, v57, vcc
	v_cndmask_b32_e32 v44, v44, v58, vcc
	v_lshlrev_b32_e32 v46, 24, v40
	v_lshlrev_b32_e32 v44, 20, v44
	v_and_b32_e32 v46, 0x80000000, v46
	v_lshl_add_u32 v42, v42, 23, v56
	v_or3_b32 v42, v46, v42, v44
	v_lshrrev_b32_e32 v46, 16, v42
.LBB913_363:                            ;   in Loop: Header=BB913_215 Depth=1
	s_or_b64 exec, exec, s[18:19]
.LBB913_364:                            ;   in Loop: Header=BB913_215 Depth=1
	s_or_b64 exec, exec, s[16:17]
.LBB913_365:                            ;   in Loop: Header=BB913_215 Depth=1
	s_or_b64 exec, exec, s[14:15]
	v_lshrrev_b16_e32 v42, 8, v40
	v_cmp_ne_u16_e32 vcc, 0, v42
	v_mov_b32_e32 v58, 0
	v_mov_b32_e32 v44, 0
	s_and_saveexec_b64 s[14:15], vcc
	s_cbranch_execz .LBB913_371
; %bb.366:                              ;   in Loop: Header=BB913_215 Depth=1
	v_cmp_ne_u16_e32 vcc, s9, v42
	v_mov_b32_e32 v44, 0xffff8000
	s_and_saveexec_b64 s[16:17], vcc
	s_cbranch_execz .LBB913_370
; %bb.367:                              ;   in Loop: Header=BB913_215 Depth=1
	v_and_b32_e32 v57, 0x7f, v42
	v_cmp_ne_u32_e32 vcc, s23, v57
	v_mov_b32_e32 v44, 0x7f80
	s_and_saveexec_b64 s[18:19], vcc
	s_cbranch_execz .LBB913_369
; %bb.368:                              ;   in Loop: Header=BB913_215 Depth=1
	v_and_b32_e32 v44, 7, v42
	v_ffbh_u32_e32 v60, v44
	v_min_u32_e32 v62, 32, v60
	v_subrev_u32_e32 v60, 28, v62
	v_lshlrev_b64 v[60:61], v60, v[42:43]
	v_lshrrev_b32_e32 v59, 3, v57
	v_sub_u32_e32 v42, 29, v62
	v_and_b32_e32 v60, 7, v60
	v_cmp_gt_u32_e32 vcc, 8, v57
	v_cndmask_b32_e32 v42, v59, v42, vcc
	v_cndmask_b32_e32 v44, v44, v60, vcc
	v_lshlrev_b32_e32 v57, 16, v40
	v_lshlrev_b32_e32 v44, 20, v44
	v_and_b32_e32 v57, 0x80000000, v57
	v_lshl_add_u32 v42, v42, 23, v56
	v_or3_b32 v42, v57, v42, v44
	v_lshrrev_b32_e32 v44, 16, v42
.LBB913_369:                            ;   in Loop: Header=BB913_215 Depth=1
	s_or_b64 exec, exec, s[18:19]
.LBB913_370:                            ;   in Loop: Header=BB913_215 Depth=1
	s_or_b64 exec, exec, s[16:17]
.LBB913_371:                            ;   in Loop: Header=BB913_215 Depth=1
	s_or_b64 exec, exec, s[14:15]
	v_lshrrev_b32_e32 v42, 16, v40
	v_cmp_ne_u16_sdwa s[16:17], v42, v55 src0_sel:BYTE_0 src1_sel:DWORD
	s_and_saveexec_b64 s[14:15], s[16:17]
	s_cbranch_execz .LBB913_377
; %bb.372:                              ;   in Loop: Header=BB913_215 Depth=1
	v_cmp_ne_u16_sdwa s[18:19], v42, s9 src0_sel:BYTE_0 src1_sel:DWORD
	v_mov_b32_e32 v58, 0xffff8000
	s_and_saveexec_b64 s[16:17], s[18:19]
	s_cbranch_execz .LBB913_376
; %bb.373:                              ;   in Loop: Header=BB913_215 Depth=1
	v_bfe_u32 v57, v40, 16, 7
	v_cmp_ne_u32_e32 vcc, s23, v57
	v_mov_b32_e32 v58, 0x7f80
	s_and_saveexec_b64 s[18:19], vcc
	s_cbranch_execz .LBB913_375
; %bb.374:                              ;   in Loop: Header=BB913_215 Depth=1
	v_and_b32_e32 v60, 7, v42
	v_ffbh_u32_e32 v58, v60
	v_min_u32_e32 v62, 32, v58
	v_subrev_u32_e32 v58, 28, v62
	v_lshlrev_b64 v[58:59], v58, v[42:43]
	v_lshrrev_b32_e32 v61, 3, v57
	v_sub_u32_e32 v59, 29, v62
	v_and_b32_e32 v58, 7, v58
	v_cmp_gt_u32_e32 vcc, 8, v57
	v_cndmask_b32_e32 v57, v61, v59, vcc
	v_cndmask_b32_e32 v58, v60, v58, vcc
	v_lshlrev_b32_e32 v42, 24, v42
	v_lshlrev_b32_e32 v58, 20, v58
	v_and_b32_e32 v42, 0x80000000, v42
	v_lshl_add_u32 v57, v57, 23, v56
	v_or3_b32 v42, v42, v57, v58
	v_lshrrev_b32_e32 v58, 16, v42
.LBB913_375:                            ;   in Loop: Header=BB913_215 Depth=1
	s_or_b64 exec, exec, s[18:19]
.LBB913_376:                            ;   in Loop: Header=BB913_215 Depth=1
	s_or_b64 exec, exec, s[16:17]
.LBB913_377:                            ;   in Loop: Header=BB913_215 Depth=1
	s_or_b64 exec, exec, s[14:15]
	v_cmp_lt_u32_e32 vcc, s24, v40
	v_mov_b32_e32 v59, 0
	v_mov_b32_e32 v60, 0
	s_and_saveexec_b64 s[14:15], vcc
	s_cbranch_execz .LBB913_383
; %bb.378:                              ;   in Loop: Header=BB913_215 Depth=1
	v_lshrrev_b32_e32 v42, 24, v40
	v_cmp_ne_u32_e32 vcc, s9, v42
	v_mov_b32_e32 v60, 0xffff8000
	s_and_saveexec_b64 s[16:17], vcc
	s_cbranch_execz .LBB913_382
; %bb.379:                              ;   in Loop: Header=BB913_215 Depth=1
	v_bfe_u32 v40, v40, 24, 7
	v_cmp_ne_u32_e32 vcc, s23, v40
	v_mov_b32_e32 v60, 0x7f80
	s_and_saveexec_b64 s[18:19], vcc
	s_cbranch_execz .LBB913_381
; %bb.380:                              ;   in Loop: Header=BB913_215 Depth=1
	v_and_b32_e32 v57, 7, v42
	v_ffbh_u32_e32 v60, v57
	v_min_u32_e32 v63, 32, v60
	v_subrev_u32_e32 v60, 28, v63
	v_lshlrev_b64 v[60:61], v60, v[42:43]
	v_lshrrev_b32_e32 v62, 3, v40
	v_sub_u32_e32 v61, 29, v63
	v_and_b32_e32 v60, 7, v60
	v_cmp_gt_u32_e32 vcc, 8, v40
	v_cndmask_b32_e32 v40, v62, v61, vcc
	v_cndmask_b32_e32 v57, v57, v60, vcc
	v_lshlrev_b32_e32 v42, 24, v42
	v_lshlrev_b32_e32 v57, 20, v57
	v_and_b32_e32 v42, 0x80000000, v42
	v_lshl_add_u32 v40, v40, 23, v56
	v_or3_b32 v40, v42, v40, v57
	v_lshrrev_b32_e32 v60, 16, v40
.LBB913_381:                            ;   in Loop: Header=BB913_215 Depth=1
	s_or_b64 exec, exec, s[18:19]
.LBB913_382:                            ;   in Loop: Header=BB913_215 Depth=1
	s_or_b64 exec, exec, s[16:17]
.LBB913_383:                            ;   in Loop: Header=BB913_215 Depth=1
	s_or_b64 exec, exec, s[14:15]
	s_waitcnt vmcnt(0)
	v_cmp_ne_u16_sdwa s[16:17], v38, v55 src0_sel:BYTE_0 src1_sel:DWORD
	s_and_saveexec_b64 s[14:15], s[16:17]
	s_cbranch_execz .LBB913_389
; %bb.384:                              ;   in Loop: Header=BB913_215 Depth=1
	v_cmp_ne_u16_sdwa s[18:19], v38, s9 src0_sel:BYTE_0 src1_sel:DWORD
	v_mov_b32_e32 v59, 0xffff8000
	s_and_saveexec_b64 s[16:17], s[18:19]
	s_cbranch_execz .LBB913_388
; %bb.385:                              ;   in Loop: Header=BB913_215 Depth=1
	v_and_b32_e32 v40, 0x7f, v38
	v_cmp_ne_u32_e32 vcc, s23, v40
	v_mov_b32_e32 v59, 0x7f80
	s_and_saveexec_b64 s[18:19], vcc
	s_cbranch_execz .LBB913_387
; %bb.386:                              ;   in Loop: Header=BB913_215 Depth=1
	v_and_b32_e32 v42, 7, v38
	v_ffbh_u32_e32 v59, v42
	v_min_u32_e32 v59, 32, v59
	v_subrev_u32_e32 v61, 28, v59
	v_lshlrev_b64 v[62:63], v61, v[38:39]
	v_lshrrev_b32_e32 v57, 3, v40
	v_sub_u32_e32 v59, 29, v59
	v_and_b32_e32 v61, 7, v62
	v_cmp_gt_u32_e32 vcc, 8, v40
	v_cndmask_b32_e32 v40, v57, v59, vcc
	v_cndmask_b32_e32 v42, v42, v61, vcc
	v_lshlrev_b32_e32 v57, 24, v38
	v_lshlrev_b32_e32 v42, 20, v42
	v_and_b32_e32 v57, 0x80000000, v57
	v_lshl_add_u32 v40, v40, 23, v56
	v_or3_b32 v40, v57, v40, v42
	v_lshrrev_b32_e32 v59, 16, v40
.LBB913_387:                            ;   in Loop: Header=BB913_215 Depth=1
	s_or_b64 exec, exec, s[18:19]
.LBB913_388:                            ;   in Loop: Header=BB913_215 Depth=1
	s_or_b64 exec, exec, s[16:17]
.LBB913_389:                            ;   in Loop: Header=BB913_215 Depth=1
	s_or_b64 exec, exec, s[14:15]
	v_lshrrev_b16_e32 v40, 8, v38
	v_cmp_ne_u16_e32 vcc, 0, v40
	v_mov_b32_e32 v62, 0
	v_mov_b32_e32 v61, 0
	s_and_saveexec_b64 s[14:15], vcc
	s_cbranch_execz .LBB913_395
; %bb.390:                              ;   in Loop: Header=BB913_215 Depth=1
	v_cmp_ne_u16_e32 vcc, s9, v40
	v_mov_b32_e32 v61, 0xffff8000
	s_and_saveexec_b64 s[16:17], vcc
	s_cbranch_execz .LBB913_394
; %bb.391:                              ;   in Loop: Header=BB913_215 Depth=1
	v_and_b32_e32 v42, 0x7f, v40
	v_cmp_ne_u32_e32 vcc, s23, v42
	v_mov_b32_e32 v61, 0x7f80
	s_and_saveexec_b64 s[18:19], vcc
	s_cbranch_execz .LBB913_393
; %bb.392:                              ;   in Loop: Header=BB913_215 Depth=1
	v_and_b32_e32 v57, 7, v40
	v_ffbh_u32_e32 v63, v57
	v_min_u32_e32 v63, 32, v63
	v_subrev_u32_e32 v64, 28, v63
	v_lshlrev_b64 v[64:65], v64, v[40:41]
	v_lshrrev_b32_e32 v61, 3, v42
	v_sub_u32_e32 v40, 29, v63
	v_and_b32_e32 v63, 7, v64
	v_cmp_gt_u32_e32 vcc, 8, v42
	v_cndmask_b32_e32 v40, v61, v40, vcc
	v_cndmask_b32_e32 v42, v57, v63, vcc
	v_lshlrev_b32_e32 v57, 16, v38
	v_lshlrev_b32_e32 v42, 20, v42
	v_and_b32_e32 v57, 0x80000000, v57
	v_lshl_add_u32 v40, v40, 23, v56
	v_or3_b32 v40, v57, v40, v42
	v_lshrrev_b32_e32 v61, 16, v40
.LBB913_393:                            ;   in Loop: Header=BB913_215 Depth=1
	s_or_b64 exec, exec, s[18:19]
.LBB913_394:                            ;   in Loop: Header=BB913_215 Depth=1
	s_or_b64 exec, exec, s[16:17]
.LBB913_395:                            ;   in Loop: Header=BB913_215 Depth=1
	s_or_b64 exec, exec, s[14:15]
	v_lshrrev_b32_e32 v40, 16, v38
	v_cmp_ne_u16_sdwa s[16:17], v40, v55 src0_sel:BYTE_0 src1_sel:DWORD
	s_and_saveexec_b64 s[14:15], s[16:17]
	s_cbranch_execz .LBB913_401
; %bb.396:                              ;   in Loop: Header=BB913_215 Depth=1
	v_cmp_ne_u16_sdwa s[18:19], v40, s9 src0_sel:BYTE_0 src1_sel:DWORD
	v_mov_b32_e32 v62, 0xffff8000
	s_and_saveexec_b64 s[16:17], s[18:19]
	s_cbranch_execz .LBB913_400
; %bb.397:                              ;   in Loop: Header=BB913_215 Depth=1
	v_bfe_u32 v42, v38, 16, 7
	v_cmp_ne_u32_e32 vcc, s23, v42
	v_mov_b32_e32 v62, 0x7f80
	s_and_saveexec_b64 s[18:19], vcc
	s_cbranch_execz .LBB913_399
; %bb.398:                              ;   in Loop: Header=BB913_215 Depth=1
	v_and_b32_e32 v57, 7, v40
	v_ffbh_u32_e32 v62, v57
	v_min_u32_e32 v65, 32, v62
	v_subrev_u32_e32 v62, 28, v65
	v_lshlrev_b64 v[62:63], v62, v[40:41]
	v_lshrrev_b32_e32 v64, 3, v42
	v_sub_u32_e32 v63, 29, v65
	v_and_b32_e32 v62, 7, v62
	v_cmp_gt_u32_e32 vcc, 8, v42
	v_cndmask_b32_e32 v42, v64, v63, vcc
	v_cndmask_b32_e32 v57, v57, v62, vcc
	v_lshlrev_b32_e32 v40, 24, v40
	v_lshlrev_b32_e32 v57, 20, v57
	v_and_b32_e32 v40, 0x80000000, v40
	v_lshl_add_u32 v42, v42, 23, v56
	v_or3_b32 v40, v40, v42, v57
	v_lshrrev_b32_e32 v62, 16, v40
.LBB913_399:                            ;   in Loop: Header=BB913_215 Depth=1
	s_or_b64 exec, exec, s[18:19]
.LBB913_400:                            ;   in Loop: Header=BB913_215 Depth=1
	s_or_b64 exec, exec, s[16:17]
.LBB913_401:                            ;   in Loop: Header=BB913_215 Depth=1
	s_or_b64 exec, exec, s[14:15]
	v_cmp_lt_u32_e32 vcc, s24, v38
	v_mov_b32_e32 v57, 0
	v_mov_b32_e32 v63, 0
	s_and_saveexec_b64 s[14:15], vcc
	s_cbranch_execz .LBB913_407
; %bb.402:                              ;   in Loop: Header=BB913_215 Depth=1
	v_lshrrev_b32_e32 v40, 24, v38
	v_cmp_ne_u32_e32 vcc, s9, v40
	v_mov_b32_e32 v63, 0xffff8000
	s_and_saveexec_b64 s[16:17], vcc
	s_cbranch_execz .LBB913_406
; %bb.403:                              ;   in Loop: Header=BB913_215 Depth=1
	v_bfe_u32 v38, v38, 24, 7
	v_cmp_ne_u32_e32 vcc, s23, v38
	v_mov_b32_e32 v63, 0x7f80
	s_and_saveexec_b64 s[18:19], vcc
	s_cbranch_execz .LBB913_405
; %bb.404:                              ;   in Loop: Header=BB913_215 Depth=1
	v_and_b32_e32 v42, 7, v40
	v_ffbh_u32_e32 v64, v42
	v_min_u32_e32 v66, 32, v64
	v_subrev_u32_e32 v64, 28, v66
	v_lshlrev_b64 v[64:65], v64, v[40:41]
	v_lshrrev_b32_e32 v63, 3, v38
	v_sub_u32_e32 v65, 29, v66
	v_and_b32_e32 v64, 7, v64
	v_cmp_gt_u32_e32 vcc, 8, v38
	v_cndmask_b32_e32 v38, v63, v65, vcc
	v_cndmask_b32_e32 v42, v42, v64, vcc
	v_lshlrev_b32_e32 v40, 24, v40
	v_lshlrev_b32_e32 v42, 20, v42
	v_and_b32_e32 v40, 0x80000000, v40
	v_lshl_add_u32 v38, v38, 23, v56
	v_or3_b32 v38, v40, v38, v42
	v_lshrrev_b32_e32 v63, 16, v38
.LBB913_405:                            ;   in Loop: Header=BB913_215 Depth=1
	s_or_b64 exec, exec, s[18:19]
.LBB913_406:                            ;   in Loop: Header=BB913_215 Depth=1
	s_or_b64 exec, exec, s[16:17]
.LBB913_407:                            ;   in Loop: Header=BB913_215 Depth=1
	s_or_b64 exec, exec, s[14:15]
	v_perm_b32 v64, v44, v46, s25
	buffer_load_dword v44, v52, s[0:3], 0 offen
	buffer_load_dword v42, v52, s[0:3], 0 offen offset:4
	buffer_load_dword v40, v52, s[0:3], 0 offen offset:8
	;; [unrolled: 1-line block ×3, first 2 shown]
	v_perm_b32 v65, v60, v58, s25
	v_perm_b32 v63, v63, v62, s25
	;; [unrolled: 1-line block ×3, first 2 shown]
	v_mfma_f32_16x16x16bf16_1k v[34:37], v[64:65], v[14:15], v[34:37]
	s_waitcnt vmcnt(3)
	v_cmp_ne_u16_sdwa s[16:17], v44, v55 src0_sel:BYTE_0 src1_sel:DWORD
	v_mfma_f32_16x16x16bf16_1k v[34:37], v[62:63], v[16:17], v[34:37]
	s_and_saveexec_b64 s[14:15], s[16:17]
	s_cbranch_execz .LBB913_413
; %bb.408:                              ;   in Loop: Header=BB913_215 Depth=1
	v_cmp_ne_u16_sdwa s[18:19], v44, s9 src0_sel:BYTE_0 src1_sel:DWORD
	v_mov_b32_e32 v57, 0xffff8000
	s_and_saveexec_b64 s[16:17], s[18:19]
	s_cbranch_execz .LBB913_412
; %bb.409:                              ;   in Loop: Header=BB913_215 Depth=1
	v_and_b32_e32 v46, 0x7f, v44
	v_cmp_ne_u32_e32 vcc, s23, v46
	v_mov_b32_e32 v57, 0x7f80
	s_and_saveexec_b64 s[18:19], vcc
	s_cbranch_execz .LBB913_411
; %bb.410:                              ;   in Loop: Header=BB913_215 Depth=1
	v_and_b32_e32 v52, 7, v44
	v_ffbh_u32_e32 v58, v52
	v_min_u32_e32 v60, 32, v58
	v_subrev_u32_e32 v58, 28, v60
	v_lshlrev_b64 v[58:59], v58, v[44:45]
	v_lshrrev_b32_e32 v57, 3, v46
	v_sub_u32_e32 v59, 29, v60
	v_and_b32_e32 v58, 7, v58
	v_cmp_gt_u32_e32 vcc, 8, v46
	v_cndmask_b32_e32 v46, v57, v59, vcc
	v_cndmask_b32_e32 v52, v52, v58, vcc
	v_lshlrev_b32_e32 v57, 24, v44
	v_lshlrev_b32_e32 v52, 20, v52
	v_and_b32_e32 v57, 0x80000000, v57
	v_lshl_add_u32 v46, v46, 23, v56
	v_or3_b32 v46, v57, v46, v52
	v_lshrrev_b32_e32 v57, 16, v46
.LBB913_411:                            ;   in Loop: Header=BB913_215 Depth=1
	s_or_b64 exec, exec, s[18:19]
.LBB913_412:                            ;   in Loop: Header=BB913_215 Depth=1
	s_or_b64 exec, exec, s[16:17]
.LBB913_413:                            ;   in Loop: Header=BB913_215 Depth=1
	s_or_b64 exec, exec, s[14:15]
	v_lshrrev_b16_e32 v46, 8, v44
	v_cmp_ne_u16_e32 vcc, 0, v46
	v_mov_b32_e32 v58, 0
	v_mov_b32_e32 v52, 0
	s_and_saveexec_b64 s[14:15], vcc
	s_cbranch_execz .LBB913_419
; %bb.414:                              ;   in Loop: Header=BB913_215 Depth=1
	v_cmp_ne_u16_e32 vcc, s9, v46
	v_mov_b32_e32 v52, 0xffff8000
	s_and_saveexec_b64 s[16:17], vcc
	s_cbranch_execz .LBB913_418
; %bb.415:                              ;   in Loop: Header=BB913_215 Depth=1
	v_and_b32_e32 v59, 0x7f, v46
	v_cmp_ne_u32_e32 vcc, s23, v59
	v_mov_b32_e32 v52, 0x7f80
	s_and_saveexec_b64 s[18:19], vcc
	s_cbranch_execz .LBB913_417
; %bb.416:                              ;   in Loop: Header=BB913_215 Depth=1
	v_and_b32_e32 v52, 7, v46
	v_ffbh_u32_e32 v60, v52
	v_min_u32_e32 v63, 32, v60
	v_subrev_u32_e32 v60, 28, v63
	v_lshlrev_b64 v[60:61], v60, v[46:47]
	v_lshrrev_b32_e32 v62, 3, v59
	v_sub_u32_e32 v46, 29, v63
	v_and_b32_e32 v60, 7, v60
	v_cmp_gt_u32_e32 vcc, 8, v59
	v_cndmask_b32_e32 v46, v62, v46, vcc
	v_cndmask_b32_e32 v52, v52, v60, vcc
	v_lshlrev_b32_e32 v59, 16, v44
	v_lshlrev_b32_e32 v52, 20, v52
	v_and_b32_e32 v59, 0x80000000, v59
	v_lshl_add_u32 v46, v46, 23, v56
	v_or3_b32 v46, v59, v46, v52
	v_lshrrev_b32_e32 v52, 16, v46
.LBB913_417:                            ;   in Loop: Header=BB913_215 Depth=1
	s_or_b64 exec, exec, s[18:19]
.LBB913_418:                            ;   in Loop: Header=BB913_215 Depth=1
	s_or_b64 exec, exec, s[16:17]
.LBB913_419:                            ;   in Loop: Header=BB913_215 Depth=1
	s_or_b64 exec, exec, s[14:15]
	v_lshrrev_b32_e32 v46, 16, v44
	v_cmp_ne_u16_sdwa s[16:17], v46, v55 src0_sel:BYTE_0 src1_sel:DWORD
	s_and_saveexec_b64 s[14:15], s[16:17]
	s_cbranch_execz .LBB913_425
; %bb.420:                              ;   in Loop: Header=BB913_215 Depth=1
	v_cmp_ne_u16_sdwa s[18:19], v46, s9 src0_sel:BYTE_0 src1_sel:DWORD
	v_mov_b32_e32 v58, 0xffff8000
	s_and_saveexec_b64 s[16:17], s[18:19]
	s_cbranch_execz .LBB913_424
; %bb.421:                              ;   in Loop: Header=BB913_215 Depth=1
	v_bfe_u32 v59, v44, 16, 7
	v_cmp_ne_u32_e32 vcc, s23, v59
	v_mov_b32_e32 v58, 0x7f80
	s_and_saveexec_b64 s[18:19], vcc
	s_cbranch_execz .LBB913_423
; %bb.422:                              ;   in Loop: Header=BB913_215 Depth=1
	v_and_b32_e32 v58, 7, v46
	v_ffbh_u32_e32 v60, v58
	v_min_u32_e32 v63, 32, v60
	v_subrev_u32_e32 v60, 28, v63
	v_lshlrev_b64 v[60:61], v60, v[46:47]
	v_lshrrev_b32_e32 v62, 3, v59
	v_sub_u32_e32 v61, 29, v63
	v_and_b32_e32 v60, 7, v60
	v_cmp_gt_u32_e32 vcc, 8, v59
	v_cndmask_b32_e32 v59, v62, v61, vcc
	v_cndmask_b32_e32 v58, v58, v60, vcc
	v_lshlrev_b32_e32 v46, 24, v46
	v_lshlrev_b32_e32 v58, 20, v58
	v_and_b32_e32 v46, 0x80000000, v46
	v_lshl_add_u32 v59, v59, 23, v56
	v_or3_b32 v46, v46, v59, v58
	v_lshrrev_b32_e32 v58, 16, v46
.LBB913_423:                            ;   in Loop: Header=BB913_215 Depth=1
	s_or_b64 exec, exec, s[18:19]
.LBB913_424:                            ;   in Loop: Header=BB913_215 Depth=1
	s_or_b64 exec, exec, s[16:17]
.LBB913_425:                            ;   in Loop: Header=BB913_215 Depth=1
	s_or_b64 exec, exec, s[14:15]
	v_cmp_lt_u32_e32 vcc, s24, v44
	v_mov_b32_e32 v59, 0
	v_mov_b32_e32 v60, 0
	s_and_saveexec_b64 s[14:15], vcc
	s_cbranch_execz .LBB913_431
; %bb.426:                              ;   in Loop: Header=BB913_215 Depth=1
	v_lshrrev_b32_e32 v46, 24, v44
	v_cmp_ne_u32_e32 vcc, s9, v46
	v_mov_b32_e32 v60, 0xffff8000
	s_and_saveexec_b64 s[16:17], vcc
	s_cbranch_execz .LBB913_430
; %bb.427:                              ;   in Loop: Header=BB913_215 Depth=1
	v_bfe_u32 v44, v44, 24, 7
	v_cmp_ne_u32_e32 vcc, s23, v44
	v_mov_b32_e32 v60, 0x7f80
	s_and_saveexec_b64 s[18:19], vcc
	s_cbranch_execz .LBB913_429
; %bb.428:                              ;   in Loop: Header=BB913_215 Depth=1
	v_and_b32_e32 v62, 7, v46
	v_ffbh_u32_e32 v60, v62
	v_min_u32_e32 v64, 32, v60
	v_subrev_u32_e32 v60, 28, v64
	v_lshlrev_b64 v[60:61], v60, v[46:47]
	v_lshrrev_b32_e32 v63, 3, v44
	v_sub_u32_e32 v61, 29, v64
	v_and_b32_e32 v60, 7, v60
	v_cmp_gt_u32_e32 vcc, 8, v44
	v_cndmask_b32_e32 v44, v63, v61, vcc
	v_cndmask_b32_e32 v60, v62, v60, vcc
	v_lshlrev_b32_e32 v46, 24, v46
	v_lshlrev_b32_e32 v60, 20, v60
	v_and_b32_e32 v46, 0x80000000, v46
	v_lshl_add_u32 v44, v44, 23, v56
	v_or3_b32 v44, v46, v44, v60
	v_lshrrev_b32_e32 v60, 16, v44
.LBB913_429:                            ;   in Loop: Header=BB913_215 Depth=1
	s_or_b64 exec, exec, s[18:19]
.LBB913_430:                            ;   in Loop: Header=BB913_215 Depth=1
	s_or_b64 exec, exec, s[16:17]
.LBB913_431:                            ;   in Loop: Header=BB913_215 Depth=1
	s_or_b64 exec, exec, s[14:15]
	s_waitcnt vmcnt(2)
	v_cmp_ne_u16_sdwa s[16:17], v42, v55 src0_sel:BYTE_0 src1_sel:DWORD
	s_and_saveexec_b64 s[14:15], s[16:17]
	s_cbranch_execz .LBB913_437
; %bb.432:                              ;   in Loop: Header=BB913_215 Depth=1
	v_cmp_ne_u16_sdwa s[18:19], v42, s9 src0_sel:BYTE_0 src1_sel:DWORD
	v_mov_b32_e32 v59, 0xffff8000
	s_and_saveexec_b64 s[16:17], s[18:19]
	s_cbranch_execz .LBB913_436
; %bb.433:                              ;   in Loop: Header=BB913_215 Depth=1
	v_and_b32_e32 v44, 0x7f, v42
	v_cmp_ne_u32_e32 vcc, s23, v44
	v_mov_b32_e32 v59, 0x7f80
	s_and_saveexec_b64 s[18:19], vcc
	s_cbranch_execz .LBB913_435
; %bb.434:                              ;   in Loop: Header=BB913_215 Depth=1
	v_and_b32_e32 v46, 7, v42
	v_ffbh_u32_e32 v61, v46
	v_min_u32_e32 v61, 32, v61
	v_subrev_u32_e32 v62, 28, v61
	v_lshlrev_b64 v[62:63], v62, v[42:43]
	v_lshrrev_b32_e32 v59, 3, v44
	v_sub_u32_e32 v61, 29, v61
	v_and_b32_e32 v62, 7, v62
	v_cmp_gt_u32_e32 vcc, 8, v44
	v_cndmask_b32_e32 v44, v59, v61, vcc
	v_cndmask_b32_e32 v46, v46, v62, vcc
	v_lshlrev_b32_e32 v59, 24, v42
	v_lshlrev_b32_e32 v46, 20, v46
	v_and_b32_e32 v59, 0x80000000, v59
	v_lshl_add_u32 v44, v44, 23, v56
	v_or3_b32 v44, v59, v44, v46
	v_lshrrev_b32_e32 v59, 16, v44
.LBB913_435:                            ;   in Loop: Header=BB913_215 Depth=1
	s_or_b64 exec, exec, s[18:19]
.LBB913_436:                            ;   in Loop: Header=BB913_215 Depth=1
	s_or_b64 exec, exec, s[16:17]
.LBB913_437:                            ;   in Loop: Header=BB913_215 Depth=1
	s_or_b64 exec, exec, s[14:15]
	v_lshrrev_b16_e32 v44, 8, v42
	v_cmp_ne_u16_e32 vcc, 0, v44
	v_mov_b32_e32 v62, 0
	v_mov_b32_e32 v61, 0
	s_and_saveexec_b64 s[14:15], vcc
	s_cbranch_execz .LBB913_443
; %bb.438:                              ;   in Loop: Header=BB913_215 Depth=1
	v_cmp_ne_u16_e32 vcc, s9, v44
	v_mov_b32_e32 v61, 0xffff8000
	s_and_saveexec_b64 s[16:17], vcc
	s_cbranch_execz .LBB913_442
; %bb.439:                              ;   in Loop: Header=BB913_215 Depth=1
	v_and_b32_e32 v46, 0x7f, v44
	v_cmp_ne_u32_e32 vcc, s23, v46
	v_mov_b32_e32 v61, 0x7f80
	s_and_saveexec_b64 s[18:19], vcc
	s_cbranch_execz .LBB913_441
; %bb.440:                              ;   in Loop: Header=BB913_215 Depth=1
	v_and_b32_e32 v61, 7, v44
	v_ffbh_u32_e32 v64, v61
	v_min_u32_e32 v66, 32, v64
	v_subrev_u32_e32 v64, 28, v66
	v_lshlrev_b64 v[64:65], v64, v[44:45]
	v_lshrrev_b32_e32 v63, 3, v46
	v_sub_u32_e32 v44, 29, v66
	v_and_b32_e32 v64, 7, v64
	v_cmp_gt_u32_e32 vcc, 8, v46
	v_cndmask_b32_e32 v44, v63, v44, vcc
	v_cndmask_b32_e32 v46, v61, v64, vcc
	v_lshlrev_b32_e32 v61, 16, v42
	v_lshlrev_b32_e32 v46, 20, v46
	v_and_b32_e32 v61, 0x80000000, v61
	v_lshl_add_u32 v44, v44, 23, v56
	v_or3_b32 v44, v61, v44, v46
	v_lshrrev_b32_e32 v61, 16, v44
.LBB913_441:                            ;   in Loop: Header=BB913_215 Depth=1
	s_or_b64 exec, exec, s[18:19]
.LBB913_442:                            ;   in Loop: Header=BB913_215 Depth=1
	s_or_b64 exec, exec, s[16:17]
.LBB913_443:                            ;   in Loop: Header=BB913_215 Depth=1
	s_or_b64 exec, exec, s[14:15]
	v_lshrrev_b32_e32 v44, 16, v42
	v_cmp_ne_u16_sdwa s[16:17], v44, v55 src0_sel:BYTE_0 src1_sel:DWORD
	s_and_saveexec_b64 s[14:15], s[16:17]
	s_cbranch_execz .LBB913_449
; %bb.444:                              ;   in Loop: Header=BB913_215 Depth=1
	v_cmp_ne_u16_sdwa s[18:19], v44, s9 src0_sel:BYTE_0 src1_sel:DWORD
	v_mov_b32_e32 v62, 0xffff8000
	s_and_saveexec_b64 s[16:17], s[18:19]
	s_cbranch_execz .LBB913_448
; %bb.445:                              ;   in Loop: Header=BB913_215 Depth=1
	v_bfe_u32 v46, v42, 16, 7
	v_cmp_ne_u32_e32 vcc, s23, v46
	v_mov_b32_e32 v62, 0x7f80
	s_and_saveexec_b64 s[18:19], vcc
	s_cbranch_execz .LBB913_447
; %bb.446:                              ;   in Loop: Header=BB913_215 Depth=1
	v_and_b32_e32 v64, 7, v44
	v_ffbh_u32_e32 v62, v64
	v_min_u32_e32 v66, 32, v62
	v_subrev_u32_e32 v62, 28, v66
	v_lshlrev_b64 v[62:63], v62, v[44:45]
	v_lshrrev_b32_e32 v65, 3, v46
	v_sub_u32_e32 v63, 29, v66
	v_and_b32_e32 v62, 7, v62
	v_cmp_gt_u32_e32 vcc, 8, v46
	v_cndmask_b32_e32 v46, v65, v63, vcc
	v_cndmask_b32_e32 v62, v64, v62, vcc
	v_lshlrev_b32_e32 v44, 24, v44
	v_lshlrev_b32_e32 v62, 20, v62
	v_and_b32_e32 v44, 0x80000000, v44
	v_lshl_add_u32 v46, v46, 23, v56
	v_or3_b32 v44, v44, v46, v62
	v_lshrrev_b32_e32 v62, 16, v44
.LBB913_447:                            ;   in Loop: Header=BB913_215 Depth=1
	s_or_b64 exec, exec, s[18:19]
.LBB913_448:                            ;   in Loop: Header=BB913_215 Depth=1
	s_or_b64 exec, exec, s[16:17]
.LBB913_449:                            ;   in Loop: Header=BB913_215 Depth=1
	s_or_b64 exec, exec, s[14:15]
	v_cmp_lt_u32_e32 vcc, s24, v42
	v_mov_b32_e32 v46, 0
	v_mov_b32_e32 v63, 0
	s_and_saveexec_b64 s[14:15], vcc
	s_cbranch_execz .LBB913_455
; %bb.450:                              ;   in Loop: Header=BB913_215 Depth=1
	v_lshrrev_b32_e32 v44, 24, v42
	v_cmp_ne_u32_e32 vcc, s9, v44
	v_mov_b32_e32 v63, 0xffff8000
	s_and_saveexec_b64 s[16:17], vcc
	s_cbranch_execz .LBB913_454
; %bb.451:                              ;   in Loop: Header=BB913_215 Depth=1
	v_bfe_u32 v42, v42, 24, 7
	v_cmp_ne_u32_e32 vcc, s23, v42
	v_mov_b32_e32 v63, 0x7f80
	s_and_saveexec_b64 s[18:19], vcc
	s_cbranch_execz .LBB913_453
; %bb.452:                              ;   in Loop: Header=BB913_215 Depth=1
	v_and_b32_e32 v63, 7, v44
	v_ffbh_u32_e32 v64, v63
	v_min_u32_e32 v67, 32, v64
	v_subrev_u32_e32 v64, 28, v67
	v_lshlrev_b64 v[64:65], v64, v[44:45]
	v_lshrrev_b32_e32 v66, 3, v42
	v_sub_u32_e32 v65, 29, v67
	v_and_b32_e32 v64, 7, v64
	v_cmp_gt_u32_e32 vcc, 8, v42
	v_cndmask_b32_e32 v42, v66, v65, vcc
	v_cndmask_b32_e32 v63, v63, v64, vcc
	v_lshlrev_b32_e32 v44, 24, v44
	v_lshlrev_b32_e32 v63, 20, v63
	v_and_b32_e32 v44, 0x80000000, v44
	v_lshl_add_u32 v42, v42, 23, v56
	v_or3_b32 v42, v44, v42, v63
	v_lshrrev_b32_e32 v63, 16, v42
.LBB913_453:                            ;   in Loop: Header=BB913_215 Depth=1
	s_or_b64 exec, exec, s[18:19]
.LBB913_454:                            ;   in Loop: Header=BB913_215 Depth=1
	s_or_b64 exec, exec, s[16:17]
.LBB913_455:                            ;   in Loop: Header=BB913_215 Depth=1
	s_or_b64 exec, exec, s[14:15]
	v_perm_b32 v65, v60, v58, s25
	v_perm_b32 v64, v52, v57, s25
	;; [unrolled: 1-line block ×4, first 2 shown]
	s_waitcnt vmcnt(1)
	v_cmp_ne_u16_sdwa s[16:17], v40, v55 src0_sel:BYTE_0 src1_sel:DWORD
	v_mfma_f32_16x16x16bf16_1k v[34:37], v[64:65], v[18:19], v[34:37]
	v_mfma_f32_16x16x16bf16_1k v[34:37], v[62:63], v[20:21], v[34:37]
	s_and_saveexec_b64 s[14:15], s[16:17]
	s_cbranch_execz .LBB913_461
; %bb.456:                              ;   in Loop: Header=BB913_215 Depth=1
	v_cmp_ne_u16_sdwa s[18:19], v40, s9 src0_sel:BYTE_0 src1_sel:DWORD
	v_mov_b32_e32 v46, 0xffff8000
	s_and_saveexec_b64 s[16:17], s[18:19]
	s_cbranch_execz .LBB913_460
; %bb.457:                              ;   in Loop: Header=BB913_215 Depth=1
	v_and_b32_e32 v42, 0x7f, v40
	v_cmp_ne_u32_e32 vcc, s23, v42
	v_mov_b32_e32 v46, 0x7f80
	s_and_saveexec_b64 s[18:19], vcc
	s_cbranch_execz .LBB913_459
; %bb.458:                              ;   in Loop: Header=BB913_215 Depth=1
	v_and_b32_e32 v44, 7, v40
	v_ffbh_u32_e32 v52, v44
	v_min_u32_e32 v52, 32, v52
	v_subrev_u32_e32 v57, 28, v52
	v_lshlrev_b64 v[58:59], v57, v[40:41]
	v_lshrrev_b32_e32 v46, 3, v42
	v_sub_u32_e32 v52, 29, v52
	v_and_b32_e32 v57, 7, v58
	v_cmp_gt_u32_e32 vcc, 8, v42
	v_cndmask_b32_e32 v42, v46, v52, vcc
	v_cndmask_b32_e32 v44, v44, v57, vcc
	v_lshlrev_b32_e32 v46, 24, v40
	v_lshlrev_b32_e32 v44, 20, v44
	v_and_b32_e32 v46, 0x80000000, v46
	v_lshl_add_u32 v42, v42, 23, v56
	v_or3_b32 v42, v46, v42, v44
	v_lshrrev_b32_e32 v46, 16, v42
.LBB913_459:                            ;   in Loop: Header=BB913_215 Depth=1
	s_or_b64 exec, exec, s[18:19]
.LBB913_460:                            ;   in Loop: Header=BB913_215 Depth=1
	s_or_b64 exec, exec, s[16:17]
.LBB913_461:                            ;   in Loop: Header=BB913_215 Depth=1
	s_or_b64 exec, exec, s[14:15]
	v_lshrrev_b16_e32 v42, 8, v40
	v_cmp_ne_u16_e32 vcc, 0, v42
	v_mov_b32_e32 v57, 0
	v_mov_b32_e32 v44, 0
	s_and_saveexec_b64 s[14:15], vcc
	s_cbranch_execz .LBB913_467
; %bb.462:                              ;   in Loop: Header=BB913_215 Depth=1
	v_cmp_ne_u16_e32 vcc, s9, v42
	v_mov_b32_e32 v44, 0xffff8000
	s_and_saveexec_b64 s[16:17], vcc
	s_cbranch_execz .LBB913_466
; %bb.463:                              ;   in Loop: Header=BB913_215 Depth=1
	v_and_b32_e32 v52, 0x7f, v42
	v_cmp_ne_u32_e32 vcc, s23, v52
	v_mov_b32_e32 v44, 0x7f80
	s_and_saveexec_b64 s[18:19], vcc
	s_cbranch_execz .LBB913_465
; %bb.464:                              ;   in Loop: Header=BB913_215 Depth=1
	v_and_b32_e32 v44, 7, v42
	v_ffbh_u32_e32 v58, v44
	v_min_u32_e32 v61, 32, v58
	v_subrev_u32_e32 v58, 28, v61
	v_lshlrev_b64 v[58:59], v58, v[42:43]
	v_lshrrev_b32_e32 v60, 3, v52
	v_sub_u32_e32 v42, 29, v61
	v_and_b32_e32 v58, 7, v58
	v_cmp_gt_u32_e32 vcc, 8, v52
	v_cndmask_b32_e32 v42, v60, v42, vcc
	v_cndmask_b32_e32 v44, v44, v58, vcc
	v_lshlrev_b32_e32 v52, 16, v40
	v_lshlrev_b32_e32 v44, 20, v44
	v_and_b32_e32 v52, 0x80000000, v52
	v_lshl_add_u32 v42, v42, 23, v56
	v_or3_b32 v42, v52, v42, v44
	v_lshrrev_b32_e32 v44, 16, v42
.LBB913_465:                            ;   in Loop: Header=BB913_215 Depth=1
	s_or_b64 exec, exec, s[18:19]
.LBB913_466:                            ;   in Loop: Header=BB913_215 Depth=1
	s_or_b64 exec, exec, s[16:17]
.LBB913_467:                            ;   in Loop: Header=BB913_215 Depth=1
	s_or_b64 exec, exec, s[14:15]
	v_lshrrev_b32_e32 v42, 16, v40
	v_cmp_ne_u16_sdwa s[16:17], v42, v55 src0_sel:BYTE_0 src1_sel:DWORD
	s_and_saveexec_b64 s[14:15], s[16:17]
	s_cbranch_execz .LBB913_473
; %bb.468:                              ;   in Loop: Header=BB913_215 Depth=1
	v_cmp_ne_u16_sdwa s[18:19], v42, s9 src0_sel:BYTE_0 src1_sel:DWORD
	v_mov_b32_e32 v57, 0xffff8000
	s_and_saveexec_b64 s[16:17], s[18:19]
	s_cbranch_execz .LBB913_472
; %bb.469:                              ;   in Loop: Header=BB913_215 Depth=1
	v_bfe_u32 v52, v40, 16, 7
	v_cmp_ne_u32_e32 vcc, s23, v52
	v_mov_b32_e32 v57, 0x7f80
	s_and_saveexec_b64 s[18:19], vcc
	s_cbranch_execz .LBB913_471
; %bb.470:                              ;   in Loop: Header=BB913_215 Depth=1
	v_and_b32_e32 v57, 7, v42
	v_ffbh_u32_e32 v58, v57
	v_min_u32_e32 v61, 32, v58
	v_subrev_u32_e32 v58, 28, v61
	v_lshlrev_b64 v[58:59], v58, v[42:43]
	v_lshrrev_b32_e32 v60, 3, v52
	v_sub_u32_e32 v59, 29, v61
	v_and_b32_e32 v58, 7, v58
	v_cmp_gt_u32_e32 vcc, 8, v52
	v_cndmask_b32_e32 v52, v60, v59, vcc
	v_cndmask_b32_e32 v57, v57, v58, vcc
	v_lshlrev_b32_e32 v42, 24, v42
	v_lshlrev_b32_e32 v57, 20, v57
	v_and_b32_e32 v42, 0x80000000, v42
	v_lshl_add_u32 v52, v52, 23, v56
	v_or3_b32 v42, v42, v52, v57
	v_lshrrev_b32_e32 v57, 16, v42
.LBB913_471:                            ;   in Loop: Header=BB913_215 Depth=1
	s_or_b64 exec, exec, s[18:19]
.LBB913_472:                            ;   in Loop: Header=BB913_215 Depth=1
	s_or_b64 exec, exec, s[16:17]
.LBB913_473:                            ;   in Loop: Header=BB913_215 Depth=1
	s_or_b64 exec, exec, s[14:15]
	v_cmp_lt_u32_e32 vcc, s24, v40
	v_mov_b32_e32 v58, 0
	v_mov_b32_e32 v59, 0
	s_and_saveexec_b64 s[14:15], vcc
	s_cbranch_execz .LBB913_479
; %bb.474:                              ;   in Loop: Header=BB913_215 Depth=1
	v_lshrrev_b32_e32 v42, 24, v40
	v_cmp_ne_u32_e32 vcc, s9, v42
	v_mov_b32_e32 v59, 0xffff8000
	s_and_saveexec_b64 s[16:17], vcc
	s_cbranch_execz .LBB913_478
; %bb.475:                              ;   in Loop: Header=BB913_215 Depth=1
	v_bfe_u32 v40, v40, 24, 7
	v_cmp_ne_u32_e32 vcc, s23, v40
	v_mov_b32_e32 v59, 0x7f80
	s_and_saveexec_b64 s[18:19], vcc
	s_cbranch_execz .LBB913_477
; %bb.476:                              ;   in Loop: Header=BB913_215 Depth=1
	v_and_b32_e32 v52, 7, v42
	v_ffbh_u32_e32 v60, v52
	v_min_u32_e32 v62, 32, v60
	v_subrev_u32_e32 v60, 28, v62
	v_lshlrev_b64 v[60:61], v60, v[42:43]
	v_lshrrev_b32_e32 v59, 3, v40
	v_sub_u32_e32 v61, 29, v62
	v_and_b32_e32 v60, 7, v60
	v_cmp_gt_u32_e32 vcc, 8, v40
	v_cndmask_b32_e32 v40, v59, v61, vcc
	v_cndmask_b32_e32 v52, v52, v60, vcc
	v_lshlrev_b32_e32 v42, 24, v42
	v_lshlrev_b32_e32 v52, 20, v52
	v_and_b32_e32 v42, 0x80000000, v42
	v_lshl_add_u32 v40, v40, 23, v56
	v_or3_b32 v40, v42, v40, v52
	v_lshrrev_b32_e32 v59, 16, v40
.LBB913_477:                            ;   in Loop: Header=BB913_215 Depth=1
	s_or_b64 exec, exec, s[18:19]
.LBB913_478:                            ;   in Loop: Header=BB913_215 Depth=1
	s_or_b64 exec, exec, s[16:17]
.LBB913_479:                            ;   in Loop: Header=BB913_215 Depth=1
	s_or_b64 exec, exec, s[14:15]
	s_waitcnt vmcnt(0)
	v_cmp_ne_u16_sdwa s[16:17], v38, v55 src0_sel:BYTE_0 src1_sel:DWORD
	s_and_saveexec_b64 s[14:15], s[16:17]
	s_cbranch_execz .LBB913_485
; %bb.480:                              ;   in Loop: Header=BB913_215 Depth=1
	v_cmp_ne_u16_sdwa s[18:19], v38, s9 src0_sel:BYTE_0 src1_sel:DWORD
	v_mov_b32_e32 v58, 0xffff8000
	s_and_saveexec_b64 s[16:17], s[18:19]
	s_cbranch_execz .LBB913_484
; %bb.481:                              ;   in Loop: Header=BB913_215 Depth=1
	v_and_b32_e32 v40, 0x7f, v38
	v_cmp_ne_u32_e32 vcc, s23, v40
	v_mov_b32_e32 v58, 0x7f80
	s_and_saveexec_b64 s[18:19], vcc
	s_cbranch_execz .LBB913_483
; %bb.482:                              ;   in Loop: Header=BB913_215 Depth=1
	v_and_b32_e32 v42, 7, v38
	v_ffbh_u32_e32 v58, v42
	v_min_u32_e32 v58, 32, v58
	v_subrev_u32_e32 v60, 28, v58
	v_lshlrev_b64 v[60:61], v60, v[38:39]
	v_lshrrev_b32_e32 v52, 3, v40
	v_sub_u32_e32 v58, 29, v58
	v_and_b32_e32 v60, 7, v60
	v_cmp_gt_u32_e32 vcc, 8, v40
	v_cndmask_b32_e32 v40, v52, v58, vcc
	v_cndmask_b32_e32 v42, v42, v60, vcc
	v_lshlrev_b32_e32 v52, 24, v38
	v_lshlrev_b32_e32 v42, 20, v42
	v_and_b32_e32 v52, 0x80000000, v52
	v_lshl_add_u32 v40, v40, 23, v56
	v_or3_b32 v40, v52, v40, v42
	v_lshrrev_b32_e32 v58, 16, v40
.LBB913_483:                            ;   in Loop: Header=BB913_215 Depth=1
	s_or_b64 exec, exec, s[18:19]
.LBB913_484:                            ;   in Loop: Header=BB913_215 Depth=1
	s_or_b64 exec, exec, s[16:17]
.LBB913_485:                            ;   in Loop: Header=BB913_215 Depth=1
	s_or_b64 exec, exec, s[14:15]
	v_lshrrev_b16_e32 v40, 8, v38
	v_cmp_ne_u16_e32 vcc, 0, v40
	v_mov_b32_e32 v61, 0
	v_mov_b32_e32 v60, 0
	s_and_saveexec_b64 s[14:15], vcc
	s_cbranch_execz .LBB913_491
; %bb.486:                              ;   in Loop: Header=BB913_215 Depth=1
	v_cmp_ne_u16_e32 vcc, s9, v40
	v_mov_b32_e32 v60, 0xffff8000
	s_and_saveexec_b64 s[16:17], vcc
	s_cbranch_execz .LBB913_490
; %bb.487:                              ;   in Loop: Header=BB913_215 Depth=1
	v_and_b32_e32 v42, 0x7f, v40
	v_cmp_ne_u32_e32 vcc, s23, v42
	v_mov_b32_e32 v60, 0x7f80
	s_and_saveexec_b64 s[18:19], vcc
	s_cbranch_execz .LBB913_489
; %bb.488:                              ;   in Loop: Header=BB913_215 Depth=1
	v_and_b32_e32 v52, 7, v40
	v_ffbh_u32_e32 v62, v52
	v_min_u32_e32 v64, 32, v62
	v_subrev_u32_e32 v62, 28, v64
	v_lshlrev_b64 v[62:63], v62, v[40:41]
	v_lshrrev_b32_e32 v60, 3, v42
	v_sub_u32_e32 v40, 29, v64
	v_and_b32_e32 v62, 7, v62
	v_cmp_gt_u32_e32 vcc, 8, v42
	v_cndmask_b32_e32 v40, v60, v40, vcc
	v_cndmask_b32_e32 v42, v52, v62, vcc
	v_lshlrev_b32_e32 v52, 16, v38
	v_lshlrev_b32_e32 v42, 20, v42
	v_and_b32_e32 v52, 0x80000000, v52
	v_lshl_add_u32 v40, v40, 23, v56
	v_or3_b32 v40, v52, v40, v42
	v_lshrrev_b32_e32 v60, 16, v40
.LBB913_489:                            ;   in Loop: Header=BB913_215 Depth=1
	s_or_b64 exec, exec, s[18:19]
.LBB913_490:                            ;   in Loop: Header=BB913_215 Depth=1
	s_or_b64 exec, exec, s[16:17]
.LBB913_491:                            ;   in Loop: Header=BB913_215 Depth=1
	s_or_b64 exec, exec, s[14:15]
	v_lshrrev_b32_e32 v40, 16, v38
	v_cmp_ne_u16_sdwa s[16:17], v40, v55 src0_sel:BYTE_0 src1_sel:DWORD
	s_and_saveexec_b64 s[14:15], s[16:17]
	s_cbranch_execz .LBB913_497
; %bb.492:                              ;   in Loop: Header=BB913_215 Depth=1
	v_cmp_ne_u16_sdwa s[18:19], v40, s9 src0_sel:BYTE_0 src1_sel:DWORD
	v_mov_b32_e32 v61, 0xffff8000
	s_and_saveexec_b64 s[16:17], s[18:19]
	s_cbranch_execz .LBB913_496
; %bb.493:                              ;   in Loop: Header=BB913_215 Depth=1
	v_bfe_u32 v42, v38, 16, 7
	v_cmp_ne_u32_e32 vcc, s23, v42
	v_mov_b32_e32 v61, 0x7f80
	s_and_saveexec_b64 s[18:19], vcc
	s_cbranch_execz .LBB913_495
; %bb.494:                              ;   in Loop: Header=BB913_215 Depth=1
	v_and_b32_e32 v52, 7, v40
	v_ffbh_u32_e32 v62, v52
	v_min_u32_e32 v64, 32, v62
	v_subrev_u32_e32 v62, 28, v64
	v_lshlrev_b64 v[62:63], v62, v[40:41]
	v_lshrrev_b32_e32 v61, 3, v42
	v_sub_u32_e32 v63, 29, v64
	v_and_b32_e32 v62, 7, v62
	v_cmp_gt_u32_e32 vcc, 8, v42
	v_cndmask_b32_e32 v42, v61, v63, vcc
	v_cndmask_b32_e32 v52, v52, v62, vcc
	v_lshlrev_b32_e32 v40, 24, v40
	v_lshlrev_b32_e32 v52, 20, v52
	v_and_b32_e32 v40, 0x80000000, v40
	v_lshl_add_u32 v42, v42, 23, v56
	v_or3_b32 v40, v40, v42, v52
	v_lshrrev_b32_e32 v61, 16, v40
.LBB913_495:                            ;   in Loop: Header=BB913_215 Depth=1
	s_or_b64 exec, exec, s[18:19]
.LBB913_496:                            ;   in Loop: Header=BB913_215 Depth=1
	s_or_b64 exec, exec, s[16:17]
.LBB913_497:                            ;   in Loop: Header=BB913_215 Depth=1
	s_or_b64 exec, exec, s[14:15]
	v_cmp_lt_u32_e32 vcc, s24, v38
	v_mov_b32_e32 v52, 0
	v_mov_b32_e32 v62, 0
	s_and_saveexec_b64 s[14:15], vcc
	s_cbranch_execz .LBB913_503
; %bb.498:                              ;   in Loop: Header=BB913_215 Depth=1
	v_lshrrev_b32_e32 v40, 24, v38
	v_cmp_ne_u32_e32 vcc, s9, v40
	v_mov_b32_e32 v62, 0xffff8000
	s_and_saveexec_b64 s[16:17], vcc
	s_cbranch_execz .LBB913_502
; %bb.499:                              ;   in Loop: Header=BB913_215 Depth=1
	v_bfe_u32 v38, v38, 24, 7
	v_cmp_ne_u32_e32 vcc, s23, v38
	v_mov_b32_e32 v62, 0x7f80
	s_and_saveexec_b64 s[18:19], vcc
	s_cbranch_execz .LBB913_501
; %bb.500:                              ;   in Loop: Header=BB913_215 Depth=1
	v_and_b32_e32 v42, 7, v40
	v_ffbh_u32_e32 v62, v42
	v_min_u32_e32 v65, 32, v62
	v_subrev_u32_e32 v62, 28, v65
	v_lshlrev_b64 v[62:63], v62, v[40:41]
	v_lshrrev_b32_e32 v64, 3, v38
	v_sub_u32_e32 v63, 29, v65
	v_and_b32_e32 v62, 7, v62
	v_cmp_gt_u32_e32 vcc, 8, v38
	v_cndmask_b32_e32 v38, v64, v63, vcc
	v_cndmask_b32_e32 v42, v42, v62, vcc
	v_lshlrev_b32_e32 v40, 24, v40
	v_lshlrev_b32_e32 v42, 20, v42
	v_and_b32_e32 v40, 0x80000000, v40
	v_lshl_add_u32 v38, v38, 23, v56
	v_or3_b32 v38, v40, v38, v42
	v_lshrrev_b32_e32 v62, 16, v38
.LBB913_501:                            ;   in Loop: Header=BB913_215 Depth=1
	s_or_b64 exec, exec, s[18:19]
.LBB913_502:                            ;   in Loop: Header=BB913_215 Depth=1
	s_or_b64 exec, exec, s[16:17]
.LBB913_503:                            ;   in Loop: Header=BB913_215 Depth=1
	s_or_b64 exec, exec, s[14:15]
	v_perm_b32 v64, v44, v46, s25
	buffer_load_dword v44, v51, s[0:3], 0 offen
	buffer_load_dword v42, v51, s[0:3], 0 offen offset:4
	buffer_load_dword v40, v51, s[0:3], 0 offen offset:8
	;; [unrolled: 1-line block ×3, first 2 shown]
	v_perm_b32 v65, v59, v57, s25
	v_perm_b32 v59, v62, v61, s25
	;; [unrolled: 1-line block ×3, first 2 shown]
	v_mfma_f32_16x16x16bf16_1k v[34:37], v[64:65], v[22:23], v[34:37]
	s_waitcnt vmcnt(3)
	v_cmp_ne_u16_sdwa s[16:17], v44, v55 src0_sel:BYTE_0 src1_sel:DWORD
	v_mfma_f32_16x16x16bf16_1k v[34:37], v[58:59], v[24:25], v[34:37]
	s_and_saveexec_b64 s[14:15], s[16:17]
	s_cbranch_execz .LBB913_509
; %bb.504:                              ;   in Loop: Header=BB913_215 Depth=1
	v_cmp_ne_u16_sdwa s[18:19], v44, s9 src0_sel:BYTE_0 src1_sel:DWORD
	v_mov_b32_e32 v52, 0xffff8000
	s_and_saveexec_b64 s[16:17], s[18:19]
	s_cbranch_execz .LBB913_508
; %bb.505:                              ;   in Loop: Header=BB913_215 Depth=1
	v_and_b32_e32 v46, 0x7f, v44
	v_cmp_ne_u32_e32 vcc, s23, v46
	v_mov_b32_e32 v52, 0x7f80
	s_and_saveexec_b64 s[18:19], vcc
	s_cbranch_execz .LBB913_507
; %bb.506:                              ;   in Loop: Header=BB913_215 Depth=1
	v_and_b32_e32 v51, 7, v44
	v_ffbh_u32_e32 v57, v51
	v_min_u32_e32 v57, 32, v57
	v_subrev_u32_e32 v58, 28, v57
	v_lshlrev_b64 v[58:59], v58, v[44:45]
	v_lshrrev_b32_e32 v52, 3, v46
	v_sub_u32_e32 v57, 29, v57
	v_and_b32_e32 v58, 7, v58
	v_cmp_gt_u32_e32 vcc, 8, v46
	v_cndmask_b32_e32 v46, v52, v57, vcc
	v_cndmask_b32_e32 v51, v51, v58, vcc
	v_lshlrev_b32_e32 v52, 24, v44
	v_lshlrev_b32_e32 v51, 20, v51
	v_and_b32_e32 v52, 0x80000000, v52
	v_lshl_add_u32 v46, v46, 23, v56
	v_or3_b32 v46, v52, v46, v51
	v_lshrrev_b32_e32 v52, 16, v46
.LBB913_507:                            ;   in Loop: Header=BB913_215 Depth=1
	s_or_b64 exec, exec, s[18:19]
.LBB913_508:                            ;   in Loop: Header=BB913_215 Depth=1
	s_or_b64 exec, exec, s[16:17]
.LBB913_509:                            ;   in Loop: Header=BB913_215 Depth=1
	s_or_b64 exec, exec, s[14:15]
	v_lshrrev_b16_e32 v46, 8, v44
	v_cmp_ne_u16_e32 vcc, 0, v46
	v_mov_b32_e32 v57, 0
	v_mov_b32_e32 v51, 0
	s_and_saveexec_b64 s[14:15], vcc
	s_cbranch_execz .LBB913_515
; %bb.510:                              ;   in Loop: Header=BB913_215 Depth=1
	v_cmp_ne_u16_e32 vcc, s9, v46
	v_mov_b32_e32 v51, 0xffff8000
	s_and_saveexec_b64 s[16:17], vcc
	s_cbranch_execz .LBB913_514
; %bb.511:                              ;   in Loop: Header=BB913_215 Depth=1
	v_and_b32_e32 v58, 0x7f, v46
	v_cmp_ne_u32_e32 vcc, s23, v58
	v_mov_b32_e32 v51, 0x7f80
	s_and_saveexec_b64 s[18:19], vcc
	s_cbranch_execz .LBB913_513
; %bb.512:                              ;   in Loop: Header=BB913_215 Depth=1
	v_and_b32_e32 v51, 7, v46
	v_ffbh_u32_e32 v60, v51
	v_min_u32_e32 v62, 32, v60
	v_subrev_u32_e32 v60, 28, v62
	v_lshlrev_b64 v[60:61], v60, v[46:47]
	v_lshrrev_b32_e32 v59, 3, v58
	v_sub_u32_e32 v46, 29, v62
	v_and_b32_e32 v60, 7, v60
	v_cmp_gt_u32_e32 vcc, 8, v58
	v_cndmask_b32_e32 v46, v59, v46, vcc
	v_cndmask_b32_e32 v51, v51, v60, vcc
	v_lshlrev_b32_e32 v58, 16, v44
	v_lshlrev_b32_e32 v51, 20, v51
	v_and_b32_e32 v58, 0x80000000, v58
	v_lshl_add_u32 v46, v46, 23, v56
	v_or3_b32 v46, v58, v46, v51
	v_lshrrev_b32_e32 v51, 16, v46
.LBB913_513:                            ;   in Loop: Header=BB913_215 Depth=1
	s_or_b64 exec, exec, s[18:19]
.LBB913_514:                            ;   in Loop: Header=BB913_215 Depth=1
	s_or_b64 exec, exec, s[16:17]
.LBB913_515:                            ;   in Loop: Header=BB913_215 Depth=1
	s_or_b64 exec, exec, s[14:15]
	v_lshrrev_b32_e32 v46, 16, v44
	v_cmp_ne_u16_sdwa s[16:17], v46, v55 src0_sel:BYTE_0 src1_sel:DWORD
	s_and_saveexec_b64 s[14:15], s[16:17]
	s_cbranch_execz .LBB913_521
; %bb.516:                              ;   in Loop: Header=BB913_215 Depth=1
	v_cmp_ne_u16_sdwa s[18:19], v46, s9 src0_sel:BYTE_0 src1_sel:DWORD
	v_mov_b32_e32 v57, 0xffff8000
	s_and_saveexec_b64 s[16:17], s[18:19]
	s_cbranch_execz .LBB913_520
; %bb.517:                              ;   in Loop: Header=BB913_215 Depth=1
	v_bfe_u32 v58, v44, 16, 7
	v_cmp_ne_u32_e32 vcc, s23, v58
	v_mov_b32_e32 v57, 0x7f80
	s_and_saveexec_b64 s[18:19], vcc
	s_cbranch_execz .LBB913_519
; %bb.518:                              ;   in Loop: Header=BB913_215 Depth=1
	v_and_b32_e32 v57, 7, v46
	v_ffbh_u32_e32 v60, v57
	v_min_u32_e32 v62, 32, v60
	v_subrev_u32_e32 v60, 28, v62
	v_lshlrev_b64 v[60:61], v60, v[46:47]
	v_lshrrev_b32_e32 v59, 3, v58
	v_sub_u32_e32 v61, 29, v62
	v_and_b32_e32 v60, 7, v60
	v_cmp_gt_u32_e32 vcc, 8, v58
	v_cndmask_b32_e32 v58, v59, v61, vcc
	v_cndmask_b32_e32 v57, v57, v60, vcc
	v_lshlrev_b32_e32 v46, 24, v46
	v_lshlrev_b32_e32 v57, 20, v57
	v_and_b32_e32 v46, 0x80000000, v46
	v_lshl_add_u32 v58, v58, 23, v56
	v_or3_b32 v46, v46, v58, v57
	v_lshrrev_b32_e32 v57, 16, v46
.LBB913_519:                            ;   in Loop: Header=BB913_215 Depth=1
	s_or_b64 exec, exec, s[18:19]
.LBB913_520:                            ;   in Loop: Header=BB913_215 Depth=1
	s_or_b64 exec, exec, s[16:17]
.LBB913_521:                            ;   in Loop: Header=BB913_215 Depth=1
	s_or_b64 exec, exec, s[14:15]
	v_cmp_lt_u32_e32 vcc, s24, v44
	v_mov_b32_e32 v58, 0
	v_mov_b32_e32 v59, 0
	s_and_saveexec_b64 s[14:15], vcc
	s_cbranch_execz .LBB913_527
; %bb.522:                              ;   in Loop: Header=BB913_215 Depth=1
	v_lshrrev_b32_e32 v46, 24, v44
	v_cmp_ne_u32_e32 vcc, s9, v46
	v_mov_b32_e32 v59, 0xffff8000
	s_and_saveexec_b64 s[16:17], vcc
	s_cbranch_execz .LBB913_526
; %bb.523:                              ;   in Loop: Header=BB913_215 Depth=1
	v_bfe_u32 v44, v44, 24, 7
	v_cmp_ne_u32_e32 vcc, s23, v44
	v_mov_b32_e32 v59, 0x7f80
	s_and_saveexec_b64 s[18:19], vcc
	s_cbranch_execz .LBB913_525
; %bb.524:                              ;   in Loop: Header=BB913_215 Depth=1
	v_and_b32_e32 v59, 7, v46
	v_ffbh_u32_e32 v60, v59
	v_min_u32_e32 v63, 32, v60
	v_subrev_u32_e32 v60, 28, v63
	v_lshlrev_b64 v[60:61], v60, v[46:47]
	v_lshrrev_b32_e32 v62, 3, v44
	v_sub_u32_e32 v61, 29, v63
	v_and_b32_e32 v60, 7, v60
	v_cmp_gt_u32_e32 vcc, 8, v44
	v_cndmask_b32_e32 v44, v62, v61, vcc
	v_cndmask_b32_e32 v59, v59, v60, vcc
	v_lshlrev_b32_e32 v46, 24, v46
	v_lshlrev_b32_e32 v59, 20, v59
	v_and_b32_e32 v46, 0x80000000, v46
	v_lshl_add_u32 v44, v44, 23, v56
	v_or3_b32 v44, v46, v44, v59
	v_lshrrev_b32_e32 v59, 16, v44
.LBB913_525:                            ;   in Loop: Header=BB913_215 Depth=1
	s_or_b64 exec, exec, s[18:19]
.LBB913_526:                            ;   in Loop: Header=BB913_215 Depth=1
	s_or_b64 exec, exec, s[16:17]
.LBB913_527:                            ;   in Loop: Header=BB913_215 Depth=1
	s_or_b64 exec, exec, s[14:15]
	s_waitcnt vmcnt(2)
	v_cmp_ne_u16_sdwa s[16:17], v42, v55 src0_sel:BYTE_0 src1_sel:DWORD
	s_and_saveexec_b64 s[14:15], s[16:17]
	s_cbranch_execz .LBB913_533
; %bb.528:                              ;   in Loop: Header=BB913_215 Depth=1
	v_cmp_ne_u16_sdwa s[18:19], v42, s9 src0_sel:BYTE_0 src1_sel:DWORD
	v_mov_b32_e32 v58, 0xffff8000
	s_and_saveexec_b64 s[16:17], s[18:19]
	s_cbranch_execz .LBB913_532
; %bb.529:                              ;   in Loop: Header=BB913_215 Depth=1
	v_and_b32_e32 v44, 0x7f, v42
	v_cmp_ne_u32_e32 vcc, s23, v44
	v_mov_b32_e32 v58, 0x7f80
	s_and_saveexec_b64 s[18:19], vcc
	s_cbranch_execz .LBB913_531
; %bb.530:                              ;   in Loop: Header=BB913_215 Depth=1
	v_and_b32_e32 v46, 7, v42
	v_ffbh_u32_e32 v60, v46
	v_min_u32_e32 v62, 32, v60
	v_subrev_u32_e32 v60, 28, v62
	v_lshlrev_b64 v[60:61], v60, v[42:43]
	v_lshrrev_b32_e32 v58, 3, v44
	v_sub_u32_e32 v61, 29, v62
	v_and_b32_e32 v60, 7, v60
	v_cmp_gt_u32_e32 vcc, 8, v44
	v_cndmask_b32_e32 v44, v58, v61, vcc
	v_cndmask_b32_e32 v46, v46, v60, vcc
	v_lshlrev_b32_e32 v58, 24, v42
	v_lshlrev_b32_e32 v46, 20, v46
	v_and_b32_e32 v58, 0x80000000, v58
	v_lshl_add_u32 v44, v44, 23, v56
	v_or3_b32 v44, v58, v44, v46
	v_lshrrev_b32_e32 v58, 16, v44
.LBB913_531:                            ;   in Loop: Header=BB913_215 Depth=1
	s_or_b64 exec, exec, s[18:19]
.LBB913_532:                            ;   in Loop: Header=BB913_215 Depth=1
	s_or_b64 exec, exec, s[16:17]
.LBB913_533:                            ;   in Loop: Header=BB913_215 Depth=1
	s_or_b64 exec, exec, s[14:15]
	v_lshrrev_b16_e32 v44, 8, v42
	v_cmp_ne_u16_e32 vcc, 0, v44
	v_mov_b32_e32 v61, 0
	v_mov_b32_e32 v60, 0
	s_and_saveexec_b64 s[14:15], vcc
	s_cbranch_execz .LBB913_539
; %bb.534:                              ;   in Loop: Header=BB913_215 Depth=1
	v_cmp_ne_u16_e32 vcc, s9, v44
	v_mov_b32_e32 v60, 0xffff8000
	s_and_saveexec_b64 s[16:17], vcc
	s_cbranch_execz .LBB913_538
; %bb.535:                              ;   in Loop: Header=BB913_215 Depth=1
	v_and_b32_e32 v46, 0x7f, v44
	v_cmp_ne_u32_e32 vcc, s23, v46
	v_mov_b32_e32 v60, 0x7f80
	s_and_saveexec_b64 s[18:19], vcc
	s_cbranch_execz .LBB913_537
; %bb.536:                              ;   in Loop: Header=BB913_215 Depth=1
	v_and_b32_e32 v60, 7, v44
	v_ffbh_u32_e32 v62, v60
	v_min_u32_e32 v65, 32, v62
	v_subrev_u32_e32 v62, 28, v65
	v_lshlrev_b64 v[62:63], v62, v[44:45]
	v_lshrrev_b32_e32 v64, 3, v46
	v_sub_u32_e32 v44, 29, v65
	v_and_b32_e32 v62, 7, v62
	v_cmp_gt_u32_e32 vcc, 8, v46
	v_cndmask_b32_e32 v44, v64, v44, vcc
	v_cndmask_b32_e32 v46, v60, v62, vcc
	v_lshlrev_b32_e32 v60, 16, v42
	v_lshlrev_b32_e32 v46, 20, v46
	v_and_b32_e32 v60, 0x80000000, v60
	v_lshl_add_u32 v44, v44, 23, v56
	v_or3_b32 v44, v60, v44, v46
	v_lshrrev_b32_e32 v60, 16, v44
.LBB913_537:                            ;   in Loop: Header=BB913_215 Depth=1
	s_or_b64 exec, exec, s[18:19]
.LBB913_538:                            ;   in Loop: Header=BB913_215 Depth=1
	s_or_b64 exec, exec, s[16:17]
.LBB913_539:                            ;   in Loop: Header=BB913_215 Depth=1
	s_or_b64 exec, exec, s[14:15]
	v_lshrrev_b32_e32 v44, 16, v42
	v_cmp_ne_u16_sdwa s[16:17], v44, v55 src0_sel:BYTE_0 src1_sel:DWORD
	s_and_saveexec_b64 s[14:15], s[16:17]
	s_cbranch_execz .LBB913_545
; %bb.540:                              ;   in Loop: Header=BB913_215 Depth=1
	v_cmp_ne_u16_sdwa s[18:19], v44, s9 src0_sel:BYTE_0 src1_sel:DWORD
	v_mov_b32_e32 v61, 0xffff8000
	s_and_saveexec_b64 s[16:17], s[18:19]
	s_cbranch_execz .LBB913_544
; %bb.541:                              ;   in Loop: Header=BB913_215 Depth=1
	v_bfe_u32 v46, v42, 16, 7
	v_cmp_ne_u32_e32 vcc, s23, v46
	v_mov_b32_e32 v61, 0x7f80
	s_and_saveexec_b64 s[18:19], vcc
	s_cbranch_execz .LBB913_543
; %bb.542:                              ;   in Loop: Header=BB913_215 Depth=1
	v_and_b32_e32 v61, 7, v44
	v_ffbh_u32_e32 v62, v61
	v_min_u32_e32 v65, 32, v62
	v_subrev_u32_e32 v62, 28, v65
	v_lshlrev_b64 v[62:63], v62, v[44:45]
	v_lshrrev_b32_e32 v64, 3, v46
	v_sub_u32_e32 v63, 29, v65
	v_and_b32_e32 v62, 7, v62
	v_cmp_gt_u32_e32 vcc, 8, v46
	v_cndmask_b32_e32 v46, v64, v63, vcc
	v_cndmask_b32_e32 v61, v61, v62, vcc
	v_lshlrev_b32_e32 v44, 24, v44
	v_lshlrev_b32_e32 v61, 20, v61
	v_and_b32_e32 v44, 0x80000000, v44
	v_lshl_add_u32 v46, v46, 23, v56
	v_or3_b32 v44, v44, v46, v61
	v_lshrrev_b32_e32 v61, 16, v44
.LBB913_543:                            ;   in Loop: Header=BB913_215 Depth=1
	s_or_b64 exec, exec, s[18:19]
.LBB913_544:                            ;   in Loop: Header=BB913_215 Depth=1
	s_or_b64 exec, exec, s[16:17]
.LBB913_545:                            ;   in Loop: Header=BB913_215 Depth=1
	s_or_b64 exec, exec, s[14:15]
	v_cmp_lt_u32_e32 vcc, s24, v42
	v_mov_b32_e32 v46, 0
	v_mov_b32_e32 v62, 0
	s_and_saveexec_b64 s[14:15], vcc
	s_cbranch_execz .LBB913_551
; %bb.546:                              ;   in Loop: Header=BB913_215 Depth=1
	v_lshrrev_b32_e32 v44, 24, v42
	v_cmp_ne_u32_e32 vcc, s9, v44
	v_mov_b32_e32 v62, 0xffff8000
	s_and_saveexec_b64 s[16:17], vcc
	s_cbranch_execz .LBB913_550
; %bb.547:                              ;   in Loop: Header=BB913_215 Depth=1
	v_bfe_u32 v42, v42, 24, 7
	v_cmp_ne_u32_e32 vcc, s23, v42
	v_mov_b32_e32 v62, 0x7f80
	s_and_saveexec_b64 s[18:19], vcc
	s_cbranch_execz .LBB913_549
; %bb.548:                              ;   in Loop: Header=BB913_215 Depth=1
	v_and_b32_e32 v64, 7, v44
	v_ffbh_u32_e32 v62, v64
	v_min_u32_e32 v66, 32, v62
	v_subrev_u32_e32 v62, 28, v66
	v_lshlrev_b64 v[62:63], v62, v[44:45]
	v_lshrrev_b32_e32 v65, 3, v42
	v_sub_u32_e32 v63, 29, v66
	v_and_b32_e32 v62, 7, v62
	v_cmp_gt_u32_e32 vcc, 8, v42
	v_cndmask_b32_e32 v42, v65, v63, vcc
	v_cndmask_b32_e32 v62, v64, v62, vcc
	v_lshlrev_b32_e32 v44, 24, v44
	v_lshlrev_b32_e32 v62, 20, v62
	v_and_b32_e32 v44, 0x80000000, v44
	v_lshl_add_u32 v42, v42, 23, v56
	v_or3_b32 v42, v44, v42, v62
	v_lshrrev_b32_e32 v62, 16, v42
.LBB913_549:                            ;   in Loop: Header=BB913_215 Depth=1
	s_or_b64 exec, exec, s[18:19]
.LBB913_550:                            ;   in Loop: Header=BB913_215 Depth=1
	s_or_b64 exec, exec, s[16:17]
.LBB913_551:                            ;   in Loop: Header=BB913_215 Depth=1
	s_or_b64 exec, exec, s[14:15]
	v_perm_b32 v65, v59, v57, s25
	v_perm_b32 v64, v51, v52, s25
	;; [unrolled: 1-line block ×4, first 2 shown]
	s_waitcnt vmcnt(1)
	v_cmp_ne_u16_sdwa s[16:17], v40, v55 src0_sel:BYTE_0 src1_sel:DWORD
	v_mfma_f32_16x16x16bf16_1k v[34:37], v[64:65], v[26:27], v[34:37]
	v_mfma_f32_16x16x16bf16_1k v[34:37], v[58:59], v[28:29], v[34:37]
	s_and_saveexec_b64 s[14:15], s[16:17]
	s_cbranch_execz .LBB913_557
; %bb.552:                              ;   in Loop: Header=BB913_215 Depth=1
	v_cmp_ne_u16_sdwa s[18:19], v40, s9 src0_sel:BYTE_0 src1_sel:DWORD
	v_mov_b32_e32 v46, 0xffff8000
	s_and_saveexec_b64 s[16:17], s[18:19]
	s_cbranch_execz .LBB913_556
; %bb.553:                              ;   in Loop: Header=BB913_215 Depth=1
	v_and_b32_e32 v42, 0x7f, v40
	v_cmp_ne_u32_e32 vcc, s23, v42
	v_mov_b32_e32 v46, 0x7f80
	s_and_saveexec_b64 s[18:19], vcc
	s_cbranch_execz .LBB913_555
; %bb.554:                              ;   in Loop: Header=BB913_215 Depth=1
	v_and_b32_e32 v44, 7, v40
	v_ffbh_u32_e32 v51, v44
	v_min_u32_e32 v51, 32, v51
	v_subrev_u32_e32 v52, 28, v51
	v_lshlrev_b64 v[58:59], v52, v[40:41]
	v_lshrrev_b32_e32 v46, 3, v42
	v_sub_u32_e32 v51, 29, v51
	v_and_b32_e32 v52, 7, v58
	v_cmp_gt_u32_e32 vcc, 8, v42
	v_cndmask_b32_e32 v42, v46, v51, vcc
	v_cndmask_b32_e32 v44, v44, v52, vcc
	v_lshlrev_b32_e32 v46, 24, v40
	v_lshlrev_b32_e32 v44, 20, v44
	v_and_b32_e32 v46, 0x80000000, v46
	v_lshl_add_u32 v42, v42, 23, v56
	v_or3_b32 v42, v46, v42, v44
	v_lshrrev_b32_e32 v46, 16, v42
.LBB913_555:                            ;   in Loop: Header=BB913_215 Depth=1
	s_or_b64 exec, exec, s[18:19]
.LBB913_556:                            ;   in Loop: Header=BB913_215 Depth=1
	s_or_b64 exec, exec, s[16:17]
.LBB913_557:                            ;   in Loop: Header=BB913_215 Depth=1
	s_or_b64 exec, exec, s[14:15]
	v_lshrrev_b16_e32 v42, 8, v40
	v_cmp_ne_u16_e32 vcc, 0, v42
	v_mov_b32_e32 v51, 0
	v_mov_b32_e32 v44, 0
	s_and_saveexec_b64 s[14:15], vcc
	s_cbranch_execz .LBB913_563
; %bb.558:                              ;   in Loop: Header=BB913_215 Depth=1
	v_cmp_ne_u16_e32 vcc, s9, v42
	v_mov_b32_e32 v44, 0xffff8000
	s_and_saveexec_b64 s[16:17], vcc
	s_cbranch_execz .LBB913_562
; %bb.559:                              ;   in Loop: Header=BB913_215 Depth=1
	v_and_b32_e32 v52, 0x7f, v42
	v_cmp_ne_u32_e32 vcc, s23, v52
	v_mov_b32_e32 v44, 0x7f80
	s_and_saveexec_b64 s[18:19], vcc
	s_cbranch_execz .LBB913_561
; %bb.560:                              ;   in Loop: Header=BB913_215 Depth=1
	v_and_b32_e32 v44, 7, v42
	v_ffbh_u32_e32 v58, v44
	v_min_u32_e32 v60, 32, v58
	v_subrev_u32_e32 v58, 28, v60
	v_lshlrev_b64 v[58:59], v58, v[42:43]
	v_lshrrev_b32_e32 v57, 3, v52
	v_sub_u32_e32 v42, 29, v60
	v_and_b32_e32 v58, 7, v58
	v_cmp_gt_u32_e32 vcc, 8, v52
	v_cndmask_b32_e32 v42, v57, v42, vcc
	v_cndmask_b32_e32 v44, v44, v58, vcc
	v_lshlrev_b32_e32 v52, 16, v40
	v_lshlrev_b32_e32 v44, 20, v44
	v_and_b32_e32 v52, 0x80000000, v52
	v_lshl_add_u32 v42, v42, 23, v56
	v_or3_b32 v42, v52, v42, v44
	v_lshrrev_b32_e32 v44, 16, v42
.LBB913_561:                            ;   in Loop: Header=BB913_215 Depth=1
	s_or_b64 exec, exec, s[18:19]
.LBB913_562:                            ;   in Loop: Header=BB913_215 Depth=1
	s_or_b64 exec, exec, s[16:17]
.LBB913_563:                            ;   in Loop: Header=BB913_215 Depth=1
	s_or_b64 exec, exec, s[14:15]
	v_lshrrev_b32_e32 v42, 16, v40
	v_cmp_ne_u16_sdwa s[16:17], v42, v55 src0_sel:BYTE_0 src1_sel:DWORD
	s_and_saveexec_b64 s[14:15], s[16:17]
	s_cbranch_execz .LBB913_569
; %bb.564:                              ;   in Loop: Header=BB913_215 Depth=1
	v_cmp_ne_u16_sdwa s[18:19], v42, s9 src0_sel:BYTE_0 src1_sel:DWORD
	v_mov_b32_e32 v51, 0xffff8000
	s_and_saveexec_b64 s[16:17], s[18:19]
	s_cbranch_execz .LBB913_568
; %bb.565:                              ;   in Loop: Header=BB913_215 Depth=1
	v_bfe_u32 v52, v40, 16, 7
	v_cmp_ne_u32_e32 vcc, s23, v52
	v_mov_b32_e32 v51, 0x7f80
	s_and_saveexec_b64 s[18:19], vcc
	s_cbranch_execz .LBB913_567
; %bb.566:                              ;   in Loop: Header=BB913_215 Depth=1
	v_and_b32_e32 v51, 7, v42
	v_ffbh_u32_e32 v58, v51
	v_min_u32_e32 v60, 32, v58
	v_subrev_u32_e32 v58, 28, v60
	v_lshlrev_b64 v[58:59], v58, v[42:43]
	v_lshrrev_b32_e32 v57, 3, v52
	v_sub_u32_e32 v59, 29, v60
	v_and_b32_e32 v58, 7, v58
	v_cmp_gt_u32_e32 vcc, 8, v52
	v_cndmask_b32_e32 v52, v57, v59, vcc
	v_cndmask_b32_e32 v51, v51, v58, vcc
	v_lshlrev_b32_e32 v42, 24, v42
	v_lshlrev_b32_e32 v51, 20, v51
	v_and_b32_e32 v42, 0x80000000, v42
	v_lshl_add_u32 v52, v52, 23, v56
	v_or3_b32 v42, v42, v52, v51
	v_lshrrev_b32_e32 v51, 16, v42
.LBB913_567:                            ;   in Loop: Header=BB913_215 Depth=1
	s_or_b64 exec, exec, s[18:19]
.LBB913_568:                            ;   in Loop: Header=BB913_215 Depth=1
	s_or_b64 exec, exec, s[16:17]
.LBB913_569:                            ;   in Loop: Header=BB913_215 Depth=1
	s_or_b64 exec, exec, s[14:15]
	v_cmp_lt_u32_e32 vcc, s24, v40
	v_mov_b32_e32 v52, 0
	v_mov_b32_e32 v57, 0
	s_and_saveexec_b64 s[14:15], vcc
	s_cbranch_execz .LBB913_575
; %bb.570:                              ;   in Loop: Header=BB913_215 Depth=1
	v_lshrrev_b32_e32 v42, 24, v40
	v_cmp_ne_u32_e32 vcc, s9, v42
	v_mov_b32_e32 v57, 0xffff8000
	s_and_saveexec_b64 s[16:17], vcc
	s_cbranch_execz .LBB913_574
; %bb.571:                              ;   in Loop: Header=BB913_215 Depth=1
	v_bfe_u32 v40, v40, 24, 7
	v_cmp_ne_u32_e32 vcc, s23, v40
	v_mov_b32_e32 v57, 0x7f80
	s_and_saveexec_b64 s[18:19], vcc
	s_cbranch_execz .LBB913_573
; %bb.572:                              ;   in Loop: Header=BB913_215 Depth=1
	v_and_b32_e32 v57, 7, v42
	v_ffbh_u32_e32 v58, v57
	v_min_u32_e32 v61, 32, v58
	v_subrev_u32_e32 v58, 28, v61
	v_lshlrev_b64 v[58:59], v58, v[42:43]
	v_lshrrev_b32_e32 v60, 3, v40
	v_sub_u32_e32 v59, 29, v61
	v_and_b32_e32 v58, 7, v58
	v_cmp_gt_u32_e32 vcc, 8, v40
	v_cndmask_b32_e32 v40, v60, v59, vcc
	v_cndmask_b32_e32 v57, v57, v58, vcc
	v_lshlrev_b32_e32 v42, 24, v42
	v_lshlrev_b32_e32 v57, 20, v57
	v_and_b32_e32 v42, 0x80000000, v42
	v_lshl_add_u32 v40, v40, 23, v56
	v_or3_b32 v40, v42, v40, v57
	v_lshrrev_b32_e32 v57, 16, v40
.LBB913_573:                            ;   in Loop: Header=BB913_215 Depth=1
	s_or_b64 exec, exec, s[18:19]
.LBB913_574:                            ;   in Loop: Header=BB913_215 Depth=1
	s_or_b64 exec, exec, s[16:17]
.LBB913_575:                            ;   in Loop: Header=BB913_215 Depth=1
	s_or_b64 exec, exec, s[14:15]
	s_waitcnt vmcnt(0)
	v_cmp_ne_u16_sdwa s[16:17], v38, v55 src0_sel:BYTE_0 src1_sel:DWORD
	s_and_saveexec_b64 s[14:15], s[16:17]
	s_cbranch_execz .LBB913_581
; %bb.576:                              ;   in Loop: Header=BB913_215 Depth=1
	v_cmp_ne_u16_sdwa s[18:19], v38, s9 src0_sel:BYTE_0 src1_sel:DWORD
	v_mov_b32_e32 v52, 0xffff8000
	s_and_saveexec_b64 s[16:17], s[18:19]
	s_cbranch_execz .LBB913_580
; %bb.577:                              ;   in Loop: Header=BB913_215 Depth=1
	v_and_b32_e32 v40, 0x7f, v38
	v_cmp_ne_u32_e32 vcc, s23, v40
	v_mov_b32_e32 v52, 0x7f80
	s_and_saveexec_b64 s[18:19], vcc
	s_cbranch_execz .LBB913_579
; %bb.578:                              ;   in Loop: Header=BB913_215 Depth=1
	v_and_b32_e32 v42, 7, v38
	v_ffbh_u32_e32 v58, v42
	v_min_u32_e32 v60, 32, v58
	v_subrev_u32_e32 v58, 28, v60
	v_lshlrev_b64 v[58:59], v58, v[38:39]
	v_lshrrev_b32_e32 v52, 3, v40
	v_sub_u32_e32 v59, 29, v60
	v_and_b32_e32 v58, 7, v58
	v_cmp_gt_u32_e32 vcc, 8, v40
	v_cndmask_b32_e32 v40, v52, v59, vcc
	v_cndmask_b32_e32 v42, v42, v58, vcc
	v_lshlrev_b32_e32 v52, 24, v38
	v_lshlrev_b32_e32 v42, 20, v42
	v_and_b32_e32 v52, 0x80000000, v52
	v_lshl_add_u32 v40, v40, 23, v56
	v_or3_b32 v40, v52, v40, v42
	v_lshrrev_b32_e32 v52, 16, v40
.LBB913_579:                            ;   in Loop: Header=BB913_215 Depth=1
	s_or_b64 exec, exec, s[18:19]
.LBB913_580:                            ;   in Loop: Header=BB913_215 Depth=1
	s_or_b64 exec, exec, s[16:17]
.LBB913_581:                            ;   in Loop: Header=BB913_215 Depth=1
	s_or_b64 exec, exec, s[14:15]
	v_lshrrev_b16_e32 v40, 8, v38
	v_cmp_ne_u16_e32 vcc, 0, v40
	v_mov_b32_e32 v58, 0
	v_mov_b32_e32 v42, 0
	s_and_saveexec_b64 s[14:15], vcc
	s_cbranch_execz .LBB913_587
; %bb.582:                              ;   in Loop: Header=BB913_215 Depth=1
	v_cmp_ne_u16_e32 vcc, s9, v40
	v_mov_b32_e32 v42, 0xffff8000
	s_and_saveexec_b64 s[16:17], vcc
	s_cbranch_execz .LBB913_586
; %bb.583:                              ;   in Loop: Header=BB913_215 Depth=1
	v_and_b32_e32 v59, 0x7f, v40
	v_cmp_ne_u32_e32 vcc, s23, v59
	v_mov_b32_e32 v42, 0x7f80
	s_and_saveexec_b64 s[18:19], vcc
	s_cbranch_execz .LBB913_585
; %bb.584:                              ;   in Loop: Header=BB913_215 Depth=1
	v_and_b32_e32 v42, 7, v40
	v_ffbh_u32_e32 v60, v42
	v_min_u32_e32 v63, 32, v60
	v_subrev_u32_e32 v60, 28, v63
	v_lshlrev_b64 v[60:61], v60, v[40:41]
	v_lshrrev_b32_e32 v62, 3, v59
	v_sub_u32_e32 v40, 29, v63
	v_and_b32_e32 v60, 7, v60
	v_cmp_gt_u32_e32 vcc, 8, v59
	v_cndmask_b32_e32 v40, v62, v40, vcc
	v_cndmask_b32_e32 v42, v42, v60, vcc
	v_lshlrev_b32_e32 v59, 16, v38
	v_lshlrev_b32_e32 v42, 20, v42
	v_and_b32_e32 v59, 0x80000000, v59
	v_lshl_add_u32 v40, v40, 23, v56
	v_or3_b32 v40, v59, v40, v42
	v_lshrrev_b32_e32 v42, 16, v40
.LBB913_585:                            ;   in Loop: Header=BB913_215 Depth=1
	s_or_b64 exec, exec, s[18:19]
.LBB913_586:                            ;   in Loop: Header=BB913_215 Depth=1
	s_or_b64 exec, exec, s[16:17]
.LBB913_587:                            ;   in Loop: Header=BB913_215 Depth=1
	s_or_b64 exec, exec, s[14:15]
	v_lshrrev_b32_e32 v40, 16, v38
	v_cmp_ne_u16_sdwa s[16:17], v40, v55 src0_sel:BYTE_0 src1_sel:DWORD
	s_and_saveexec_b64 s[14:15], s[16:17]
	s_cbranch_execz .LBB913_593
; %bb.588:                              ;   in Loop: Header=BB913_215 Depth=1
	v_cmp_ne_u16_sdwa s[18:19], v40, s9 src0_sel:BYTE_0 src1_sel:DWORD
	v_mov_b32_e32 v58, 0xffff8000
	s_and_saveexec_b64 s[16:17], s[18:19]
	s_cbranch_execz .LBB913_592
; %bb.589:                              ;   in Loop: Header=BB913_215 Depth=1
	v_bfe_u32 v59, v38, 16, 7
	v_cmp_ne_u32_e32 vcc, s23, v59
	v_mov_b32_e32 v58, 0x7f80
	s_and_saveexec_b64 s[18:19], vcc
	s_cbranch_execz .LBB913_591
; %bb.590:                              ;   in Loop: Header=BB913_215 Depth=1
	v_and_b32_e32 v58, 7, v40
	v_ffbh_u32_e32 v60, v58
	v_min_u32_e32 v63, 32, v60
	v_subrev_u32_e32 v60, 28, v63
	v_lshlrev_b64 v[60:61], v60, v[40:41]
	v_lshrrev_b32_e32 v62, 3, v59
	v_sub_u32_e32 v61, 29, v63
	v_and_b32_e32 v60, 7, v60
	v_cmp_gt_u32_e32 vcc, 8, v59
	v_cndmask_b32_e32 v59, v62, v61, vcc
	v_cndmask_b32_e32 v58, v58, v60, vcc
	v_lshlrev_b32_e32 v40, 24, v40
	v_lshlrev_b32_e32 v58, 20, v58
	v_and_b32_e32 v40, 0x80000000, v40
	v_lshl_add_u32 v59, v59, 23, v56
	v_or3_b32 v40, v40, v59, v58
	v_lshrrev_b32_e32 v58, 16, v40
.LBB913_591:                            ;   in Loop: Header=BB913_215 Depth=1
	s_or_b64 exec, exec, s[18:19]
.LBB913_592:                            ;   in Loop: Header=BB913_215 Depth=1
	s_or_b64 exec, exec, s[16:17]
.LBB913_593:                            ;   in Loop: Header=BB913_215 Depth=1
	s_or_b64 exec, exec, s[14:15]
	v_cmp_lt_u32_e32 vcc, s24, v38
	v_mov_b32_e32 v59, 0
	s_and_saveexec_b64 s[14:15], vcc
	s_cbranch_execz .LBB913_214
; %bb.594:                              ;   in Loop: Header=BB913_215 Depth=1
	v_lshrrev_b32_e32 v40, 24, v38
	v_cmp_ne_u32_e32 vcc, s9, v40
	v_mov_b32_e32 v59, 0xffff8000
	s_and_saveexec_b64 s[16:17], vcc
	s_cbranch_execz .LBB913_213
; %bb.595:                              ;   in Loop: Header=BB913_215 Depth=1
	v_bfe_u32 v38, v38, 24, 7
	v_cmp_ne_u32_e32 vcc, s23, v38
	v_mov_b32_e32 v59, 0x7f80
	s_and_saveexec_b64 s[18:19], vcc
	s_cbranch_execz .LBB913_212
; %bb.596:                              ;   in Loop: Header=BB913_215 Depth=1
	v_and_b32_e32 v59, 7, v40
	v_ffbh_u32_e32 v60, v59
	v_min_u32_e32 v63, 32, v60
	v_subrev_u32_e32 v60, 28, v63
	v_lshlrev_b64 v[60:61], v60, v[40:41]
	v_lshrrev_b32_e32 v62, 3, v38
	v_sub_u32_e32 v61, 29, v63
	v_and_b32_e32 v60, 7, v60
	v_cmp_gt_u32_e32 vcc, 8, v38
	v_cndmask_b32_e32 v38, v62, v61, vcc
	v_cndmask_b32_e32 v59, v59, v60, vcc
	v_lshlrev_b32_e32 v40, 24, v40
	v_lshlrev_b32_e32 v59, 20, v59
	v_and_b32_e32 v40, 0x80000000, v40
	v_lshl_add_u32 v38, v38, 23, v56
	v_or3_b32 v38, v40, v38, v59
	v_lshrrev_b32_e32 v59, 16, v38
	s_branch .LBB913_212
.LBB913_597:
	s_barrier
	buffer_load_dword v2, off, s[0:3], 0 offset:320
	buffer_load_dword v5, off, s[0:3], 0 offset:332
	;; [unrolled: 1-line block ×4, first 2 shown]
	s_waitcnt vmcnt(0)
	ds_write2st64_b64 v53, v[2:3], v[4:5] offset1:1
	s_waitcnt lgkmcnt(0)
	s_barrier
	s_and_saveexec_b64 s[4:5], s[6:7]
	s_cbranch_execz .LBB913_599
; %bb.598:
	s_lshl_b32 s6, s52, 7
	s_mul_i32 s4, s20, s8
	s_mul_hi_u32 s5, s4, s6
	s_mul_i32 s4, s4, s6
	s_lshl_b64 s[4:5], s[4:5], 1
	s_add_u32 s7, s54, s4
	v_lshlrev_b32_e32 v3, 6, v41
	s_addc_u32 s8, s55, s5
	s_lshl_b32 s4, s28, 7
	s_mov_b32 s5, 0
	v_lshl_or_b32 v0, v0, 10, v3
	s_lshl_b64 s[4:5], s[4:5], 1
	v_and_b32_e32 v2, 16, v45
	v_and_b32_e32 v0, 0x1a00, v0
	s_add_u32 s7, s7, s4
	v_or3_b32 v0, v0, v43, v2
	s_addc_u32 s8, s8, s5
	v_mad_u64_u32 v[6:7], s[4:5], s6, v39, 0
	ds_read_b128 v[2:5], v0
	v_lshlrev_b64 v[6:7], 1, v[6:7]
	v_mov_b32_e32 v0, s8
	v_add_co_u32_e32 v6, vcc, s7, v6
	v_addc_co_u32_e32 v7, vcc, v0, v7, vcc
	v_add_co_u32_e32 v0, vcc, v6, v1
	v_addc_co_u32_e32 v1, vcc, 0, v7, vcc
	s_waitcnt lgkmcnt(0)
	global_store_dwordx4 v[0:1], v[2:5], off
.LBB913_599:
	s_endpgm
	.section	.rodata,"a",@progbits
	.p2align	6, 0x0
	.amdhsa_kernel _Z39paged_attention_ll4mi_QKV_mfma16_kernelI14__hip_bfloat16hLN4vllm18Fp8KVCacheDataTypeE1ES0_Li16ELi128ELi256ELb1ELi4EL8MFMAType0EEvPKT_PKT0_S9_ifPKiSB_SB_iPKfiiiPfSE_PS4_PT2_iSD_SD_
		.amdhsa_group_segment_fixed_size 8192
		.amdhsa_private_segment_fixed_size 352
		.amdhsa_kernarg_size 400
		.amdhsa_user_sgpr_count 8
		.amdhsa_user_sgpr_private_segment_buffer 1
		.amdhsa_user_sgpr_dispatch_ptr 0
		.amdhsa_user_sgpr_queue_ptr 0
		.amdhsa_user_sgpr_kernarg_segment_ptr 1
		.amdhsa_user_sgpr_dispatch_id 0
		.amdhsa_user_sgpr_flat_scratch_init 1
		.amdhsa_user_sgpr_kernarg_preload_length 0
		.amdhsa_user_sgpr_kernarg_preload_offset 0
		.amdhsa_user_sgpr_private_segment_size 0
		.amdhsa_uses_dynamic_stack 0
		.amdhsa_system_sgpr_private_segment_wavefront_offset 1
		.amdhsa_system_sgpr_workgroup_id_x 1
		.amdhsa_system_sgpr_workgroup_id_y 1
		.amdhsa_system_sgpr_workgroup_id_z 1
		.amdhsa_system_sgpr_workgroup_info 0
		.amdhsa_system_vgpr_workitem_id 0
		.amdhsa_next_free_vgpr 82
		.amdhsa_next_free_sgpr 56
		.amdhsa_accum_offset 84
		.amdhsa_reserve_vcc 1
		.amdhsa_reserve_flat_scratch 0
		.amdhsa_float_round_mode_32 0
		.amdhsa_float_round_mode_16_64 0
		.amdhsa_float_denorm_mode_32 3
		.amdhsa_float_denorm_mode_16_64 3
		.amdhsa_dx10_clamp 1
		.amdhsa_ieee_mode 1
		.amdhsa_fp16_overflow 0
		.amdhsa_tg_split 0
		.amdhsa_exception_fp_ieee_invalid_op 0
		.amdhsa_exception_fp_denorm_src 0
		.amdhsa_exception_fp_ieee_div_zero 0
		.amdhsa_exception_fp_ieee_overflow 0
		.amdhsa_exception_fp_ieee_underflow 0
		.amdhsa_exception_fp_ieee_inexact 0
		.amdhsa_exception_int_div_zero 0
	.end_amdhsa_kernel
	.section	.text._Z39paged_attention_ll4mi_QKV_mfma16_kernelI14__hip_bfloat16hLN4vllm18Fp8KVCacheDataTypeE1ES0_Li16ELi128ELi256ELb1ELi4EL8MFMAType0EEvPKT_PKT0_S9_ifPKiSB_SB_iPKfiiiPfSE_PS4_PT2_iSD_SD_,"axG",@progbits,_Z39paged_attention_ll4mi_QKV_mfma16_kernelI14__hip_bfloat16hLN4vllm18Fp8KVCacheDataTypeE1ES0_Li16ELi128ELi256ELb1ELi4EL8MFMAType0EEvPKT_PKT0_S9_ifPKiSB_SB_iPKfiiiPfSE_PS4_PT2_iSD_SD_,comdat
.Lfunc_end913:
	.size	_Z39paged_attention_ll4mi_QKV_mfma16_kernelI14__hip_bfloat16hLN4vllm18Fp8KVCacheDataTypeE1ES0_Li16ELi128ELi256ELb1ELi4EL8MFMAType0EEvPKT_PKT0_S9_ifPKiSB_SB_iPKfiiiPfSE_PS4_PT2_iSD_SD_, .Lfunc_end913-_Z39paged_attention_ll4mi_QKV_mfma16_kernelI14__hip_bfloat16hLN4vllm18Fp8KVCacheDataTypeE1ES0_Li16ELi128ELi256ELb1ELi4EL8MFMAType0EEvPKT_PKT0_S9_ifPKiSB_SB_iPKfiiiPfSE_PS4_PT2_iSD_SD_
                                        ; -- End function
	.section	.AMDGPU.csdata,"",@progbits
; Kernel info:
; codeLenInByte = 22360
; NumSgprs: 60
; NumVgprs: 82
; NumAgprs: 0
; TotalNumVgprs: 82
; ScratchSize: 352
; MemoryBound: 0
; FloatMode: 240
; IeeeMode: 1
; LDSByteSize: 8192 bytes/workgroup (compile time only)
; SGPRBlocks: 7
; VGPRBlocks: 10
; NumSGPRsForWavesPerEU: 60
; NumVGPRsForWavesPerEU: 82
; AccumOffset: 84
; Occupancy: 5
; WaveLimiterHint : 1
; COMPUTE_PGM_RSRC2:SCRATCH_EN: 1
; COMPUTE_PGM_RSRC2:USER_SGPR: 8
; COMPUTE_PGM_RSRC2:TRAP_HANDLER: 0
; COMPUTE_PGM_RSRC2:TGID_X_EN: 1
; COMPUTE_PGM_RSRC2:TGID_Y_EN: 1
; COMPUTE_PGM_RSRC2:TGID_Z_EN: 1
; COMPUTE_PGM_RSRC2:TIDIG_COMP_CNT: 0
; COMPUTE_PGM_RSRC3_GFX90A:ACCUM_OFFSET: 20
; COMPUTE_PGM_RSRC3_GFX90A:TG_SPLIT: 0
	.section	.text._Z39paged_attention_ll4mi_QKV_mfma16_kernelI14__hip_bfloat16hLN4vllm18Fp8KVCacheDataTypeE1ES0_Li16ELi128ELi256ELb0ELi5EL8MFMAType0EEvPKT_PKT0_S9_ifPKiSB_SB_iPKfiiiPfSE_PS4_PT2_iSD_SD_,"axG",@progbits,_Z39paged_attention_ll4mi_QKV_mfma16_kernelI14__hip_bfloat16hLN4vllm18Fp8KVCacheDataTypeE1ES0_Li16ELi128ELi256ELb0ELi5EL8MFMAType0EEvPKT_PKT0_S9_ifPKiSB_SB_iPKfiiiPfSE_PS4_PT2_iSD_SD_,comdat
	.protected	_Z39paged_attention_ll4mi_QKV_mfma16_kernelI14__hip_bfloat16hLN4vllm18Fp8KVCacheDataTypeE1ES0_Li16ELi128ELi256ELb0ELi5EL8MFMAType0EEvPKT_PKT0_S9_ifPKiSB_SB_iPKfiiiPfSE_PS4_PT2_iSD_SD_ ; -- Begin function _Z39paged_attention_ll4mi_QKV_mfma16_kernelI14__hip_bfloat16hLN4vllm18Fp8KVCacheDataTypeE1ES0_Li16ELi128ELi256ELb0ELi5EL8MFMAType0EEvPKT_PKT0_S9_ifPKiSB_SB_iPKfiiiPfSE_PS4_PT2_iSD_SD_
	.globl	_Z39paged_attention_ll4mi_QKV_mfma16_kernelI14__hip_bfloat16hLN4vllm18Fp8KVCacheDataTypeE1ES0_Li16ELi128ELi256ELb0ELi5EL8MFMAType0EEvPKT_PKT0_S9_ifPKiSB_SB_iPKfiiiPfSE_PS4_PT2_iSD_SD_
	.p2align	8
	.type	_Z39paged_attention_ll4mi_QKV_mfma16_kernelI14__hip_bfloat16hLN4vllm18Fp8KVCacheDataTypeE1ES0_Li16ELi128ELi256ELb0ELi5EL8MFMAType0EEvPKT_PKT0_S9_ifPKiSB_SB_iPKfiiiPfSE_PS4_PT2_iSD_SD_,@function
_Z39paged_attention_ll4mi_QKV_mfma16_kernelI14__hip_bfloat16hLN4vllm18Fp8KVCacheDataTypeE1ES0_Li16ELi128ELi256ELb0ELi5EL8MFMAType0EEvPKT_PKT0_S9_ifPKiSB_SB_iPKfiiiPfSE_PS4_PT2_iSD_SD_: ; @_Z39paged_attention_ll4mi_QKV_mfma16_kernelI14__hip_bfloat16hLN4vllm18Fp8KVCacheDataTypeE1ES0_Li16ELi128ELi256ELb0ELi5EL8MFMAType0EEvPKT_PKT0_S9_ifPKiSB_SB_iPKfiiiPfSE_PS4_PT2_iSD_SD_
; %bb.0:
	s_load_dwordx2 s[6:7], s[4:5], 0x30
	s_add_u32 s0, s0, s11
	s_addc_u32 s1, s1, 0
	s_mov_b32 s24, s9
	s_mov_b64 s[12:13], 0
	s_waitcnt lgkmcnt(0)
	s_cmp_lg_u64 s[6:7], 0
	s_cselect_b64 s[16:17], -1, 0
	s_and_b64 vcc, exec, s[16:17]
	s_cbranch_vccz .LBB914_7
; %bb.1:
	s_add_i32 s14, s8, 1
	s_mov_b32 s15, 0
	s_lshl_b64 s[18:19], s[14:15], 2
	s_add_u32 s18, s6, s18
	s_mov_b32 s9, s15
	s_addc_u32 s19, s7, s19
	s_lshl_b64 s[14:15], s[8:9], 2
	s_add_u32 s14, s6, s14
	s_addc_u32 s15, s7, s15
	s_load_dword s11, s[18:19], 0x0
	s_load_dword s20, s[14:15], 0x0
	s_waitcnt lgkmcnt(0)
	s_sub_i32 s11, s11, s20
	s_cmp_eq_u32 s11, 1
	s_cselect_b64 s[14:15], -1, 0
	s_andn2_b64 vcc, exec, s[12:13]
	s_cbranch_vccnz .LBB914_3
.LBB914_2:
	s_mov_b32 s9, 0
	s_mov_b64 s[14:15], -1
.LBB914_3:
	s_andn2_b64 vcc, exec, s[14:15]
	s_cbranch_vccnz .LBB914_598
; %bb.4:
	s_load_dwordx2 s[12:13], s[4:5], 0x28
	s_lshl_b64 s[18:19], s[8:9], 2
	s_waitcnt lgkmcnt(0)
	s_add_u32 s12, s12, s18
	s_addc_u32 s13, s13, s19
	s_load_dword s33, s[12:13], 0x0
	s_lshl_b32 s20, s24, 8
	s_waitcnt lgkmcnt(0)
	s_cmp_ge_i32 s20, s33
	s_cbranch_scc1 .LBB914_598
; %bb.5:
	s_add_i32 s14, s33, 15
	s_load_dwordx2 s[12:13], s[4:5], 0x20
	s_load_dword s11, s[4:5], 0x38
	s_ashr_i32 s15, s14, 31
	v_and_b32_e32 v1, 0xcf, v0
	s_lshr_b32 s15, s15, 28
	v_add_u32_e32 v1, s20, v1
	s_add_i32 s14, s14, s15
	v_ashrrev_i32_e32 v2, 31, v1
	s_ashr_i32 s22, s14, 4
	v_lshrrev_b32_e32 v8, 28, v2
	s_add_i32 s22, s22, -1
	v_add_u32_e32 v2, v1, v8
	s_waitcnt lgkmcnt(0)
	s_mul_i32 s14, s8, s11
	s_mov_b32 s15, 0
	v_ashrrev_i32_e32 v2, 4, v2
	v_mov_b32_e32 v9, s22
	v_cmp_gt_i32_e32 vcc, s33, v1
	s_lshl_b64 s[14:15], s[14:15], 2
	v_cndmask_b32_e32 v2, v9, v2, vcc
	s_add_u32 s11, s12, s14
	v_ashrrev_i32_e32 v3, 31, v2
	s_addc_u32 s21, s13, s15
	v_lshlrev_b64 v[2:3], 2, v[2:3]
	v_mov_b32_e32 v5, s21
	v_add_co_u32_e32 v4, vcc, s11, v2
	v_or_b32_e32 v2, 16, v1
	v_addc_co_u32_e32 v5, vcc, v5, v3, vcc
	v_add_u32_e32 v3, v2, v8
	v_ashrrev_i32_e32 v3, 4, v3
	v_cmp_gt_i32_e32 vcc, s33, v2
	v_cndmask_b32_e32 v2, v9, v3, vcc
	v_ashrrev_i32_e32 v3, 31, v2
	v_lshlrev_b64 v[2:3], 2, v[2:3]
	v_mov_b32_e32 v7, s21
	v_add_co_u32_e32 v6, vcc, s11, v2
	v_or_b32_e32 v2, 32, v1
	v_addc_co_u32_e32 v7, vcc, v7, v3, vcc
	v_add_u32_e32 v3, v2, v8
	v_ashrrev_i32_e32 v3, 4, v3
	v_cmp_gt_i32_e32 vcc, s33, v2
	v_cndmask_b32_e32 v2, v9, v3, vcc
	v_ashrrev_i32_e32 v3, 31, v2
	v_lshlrev_b64 v[2:3], 2, v[2:3]
	v_mov_b32_e32 v11, s21
	v_add_co_u32_e32 v10, vcc, s11, v2
	v_or_b32_e32 v1, 48, v1
	v_addc_co_u32_e32 v11, vcc, v11, v3, vcc
	v_add_u32_e32 v2, v1, v8
	v_ashrrev_i32_e32 v2, 4, v2
	v_cmp_gt_i32_e32 vcc, s33, v1
	v_cndmask_b32_e32 v2, v9, v2, vcc
	v_ashrrev_i32_e32 v3, 31, v2
	v_lshlrev_b64 v[2:3], 2, v[2:3]
	v_mov_b32_e32 v1, s21
	v_add_co_u32_e32 v12, vcc, s11, v2
	v_addc_co_u32_e32 v13, vcc, v1, v3, vcc
	global_load_dword v2, v[4:5], off
	global_load_dword v9, v[6:7], off
	;; [unrolled: 1-line block ×4, first 2 shown]
	s_load_dwordx4 s[12:15], s[4:5], 0x8
	s_andn2_b64 vcc, exec, s[16:17]
	s_cbranch_vccnz .LBB914_8
; %bb.6:
	s_add_u32 s6, s6, s18
	s_addc_u32 s7, s7, s19
	s_load_dword s16, s[6:7], 0x0
	s_branch .LBB914_9
.LBB914_7:
	s_mov_b64 s[14:15], 0
	s_branch .LBB914_2
.LBB914_8:
	s_mov_b32 s16, s8
.LBB914_9:
	s_load_dwordx2 s[48:49], s[4:5], 0x68
	s_load_dwordx8 s[40:47], s[4:5], 0x48
	v_lshrrev_b32_e32 v62, 6, v0
	v_bfe_u32 v1, v0, 4, 2
	v_and_b32_e32 v55, 15, v0
	v_lshl_or_b32 v3, v62, 2, v1
	v_lshlrev_b32_e32 v4, 3, v55
	s_mul_i32 s25, s10, 5
	v_cmp_gt_u32_e32 vcc, 5, v3
	v_lshlrev_b32_e32 v54, 1, v4
	v_lshlrev_b32_e32 v56, 4, v0
	s_and_saveexec_b64 s[6:7], vcc
	s_cbranch_execz .LBB914_11
; %bb.10:
	s_load_dwordx2 s[18:19], s[4:5], 0x0
	s_waitcnt lgkmcnt(0)
	s_ashr_i32 s17, s40, 31
	s_mul_hi_u32 s23, s16, s40
	s_mul_i32 s17, s16, s17
	s_add_i32 s17, s23, s17
	s_mul_i32 s16, s16, s40
	s_lshl_b64 s[16:17], s[16:17], 1
	v_add_lshl_u32 v4, v3, s25, 7
	s_add_u32 s16, s18, s16
	v_ashrrev_i32_e32 v5, 31, v4
	s_addc_u32 s17, s19, s17
	v_lshlrev_b64 v[4:5], 1, v[4:5]
	v_mov_b32_e32 v6, s17
	v_add_co_u32_e32 v4, vcc, s16, v4
	v_addc_co_u32_e32 v5, vcc, v6, v5, vcc
	v_add_co_u32_e32 v4, vcc, v4, v54
	v_addc_co_u32_e32 v5, vcc, 0, v5, vcc
	global_load_dwordx4 v[4:7], v[4:5], off
	v_lshlrev_b32_e32 v11, 8, v0
	v_lshlrev_b32_e32 v10, 8, v55
	v_and_b32_e32 v11, 0x600, v11
	s_movk_i32 s16, 0x800
	v_and_or_b32 v10, v10, s16, v11
	v_lshlrev_b32_e32 v3, 5, v3
	v_and_b32_e32 v11, 16, v56
	v_or3_b32 v3, v10, v3, v11
	s_waitcnt vmcnt(0)
	ds_write_b128 v3, v[4:7]
.LBB914_11:
	s_or_b64 exec, exec, s[6:7]
	s_waitcnt lgkmcnt(0)
	s_mul_i32 s10, s10, s42
	s_add_u32 s6, s12, s10
	s_addc_u32 s7, s13, 0
	v_and_b32_e32 v3, 0xf0, v56
	v_mov_b32_e32 v4, s7
	v_add_co_u32_e32 v18, vcc, s6, v3
	v_and_b32_e32 v10, 48, v0
	v_addc_co_u32_e32 v19, vcc, 0, v4, vcc
	v_lshlrev_b32_e32 v21, 4, v10
	s_waitcnt vmcnt(3)
	v_mad_i64_i32 v[2:3], s[6:7], v2, s41, v[18:19]
	v_add_co_u32_e32 v6, vcc, v2, v21
	v_addc_co_u32_e32 v7, vcc, 0, v3, vcc
	v_or_b32_e32 v16, s20, v10
	v_ashrrev_i32_e32 v10, 4, v16
	v_mov_b32_e32 v17, s22
	v_cmp_gt_i32_e32 vcc, s33, v16
	v_cndmask_b32_e32 v10, v17, v10, vcc
	v_ashrrev_i32_e32 v11, 31, v10
	v_lshlrev_b64 v[10:11], 2, v[10:11]
	v_mov_b32_e32 v12, s21
	v_add_co_u32_e32 v10, vcc, s11, v10
	v_addc_co_u32_e32 v11, vcc, v12, v11, vcc
	v_or_b32_e32 v12, 64, v16
	v_ashrrev_i32_e32 v13, 4, v12
	v_cmp_gt_i32_e32 vcc, s33, v12
	v_cndmask_b32_e32 v12, v17, v13, vcc
	v_ashrrev_i32_e32 v13, 31, v12
	v_lshlrev_b64 v[12:13], 2, v[12:13]
	v_mov_b32_e32 v14, s21
	v_add_co_u32_e32 v12, vcc, s11, v12
	v_addc_co_u32_e32 v13, vcc, v14, v13, vcc
	v_or_b32_e32 v14, 0x80, v16
	v_ashrrev_i32_e32 v15, 4, v14
	v_cmp_gt_i32_e32 vcc, s33, v14
	v_cndmask_b32_e32 v14, v17, v15, vcc
	v_ashrrev_i32_e32 v15, 31, v14
	v_lshlrev_b64 v[14:15], 2, v[14:15]
	v_mov_b32_e32 v22, s21
	v_add_co_u32_e32 v14, vcc, s11, v14
	s_load_dwordx2 s[50:51], s[4:5], 0x94
	s_waitcnt lgkmcnt(0)
	s_barrier
	global_load_dwordx4 v[2:5], v[6:7], off
	v_addc_co_u32_e32 v15, vcc, v22, v15, vcc
	global_load_dword v50, v[10:11], off
	global_load_dword v57, v[12:13], off
	;; [unrolled: 1-line block ×3, first 2 shown]
	v_or_b32_e32 v10, 0xc0, v16
	v_ashrrev_i32_e32 v11, 4, v10
	v_cmp_gt_i32_e32 vcc, s33, v10
	v_cndmask_b32_e32 v10, v17, v11, vcc
	v_ashrrev_i32_e32 v11, 31, v10
	v_lshlrev_b64 v[10:11], 2, v[10:11]
	v_mov_b32_e32 v12, s21
	v_add_co_u32_e32 v10, vcc, s11, v10
	v_addc_co_u32_e32 v11, vcc, v12, v11, vcc
	global_load_dword v61, v[10:11], off
	global_load_dwordx4 v[14:17], v[6:7], off offset:1024
	s_waitcnt vmcnt(8)
	v_mad_i64_i32 v[6:7], s[6:7], v9, s41, v[18:19]
	v_add_co_u32_e32 v6, vcc, v6, v21
	v_addc_co_u32_e32 v7, vcc, 0, v7, vcc
	global_load_dwordx4 v[42:45], v[6:7], off
	global_load_dwordx4 v[10:13], v[6:7], off offset:1024
	s_waitcnt vmcnt(9)
	v_mad_i64_i32 v[6:7], s[6:7], v8, s41, v[18:19]
	v_add_co_u32_e32 v22, vcc, v6, v21
	v_addc_co_u32_e32 v23, vcc, 0, v7, vcc
	s_waitcnt vmcnt(8)
	v_mad_i64_i32 v[18:19], s[6:7], v20, s41, v[18:19]
	v_add_co_u32_e32 v30, vcc, v18, v21
	s_add_u32 s10, s14, s10
	v_lshl_or_b32 v63, v62, 4, v55
	v_addc_co_u32_e32 v31, vcc, 0, v19, vcc
	s_addc_u32 s11, s15, 0
	global_load_dwordx4 v[6:9], v[22:23], off
	v_mov_b32_e32 v51, s11
	global_load_dwordx4 v[22:25], v[22:23], off offset:1024
	s_mov_b32 s12, 0
	s_movk_i32 s13, 0x80
	s_movk_i32 s14, 0x7f
	s_mov_b32 s15, 0xffffff
	s_mov_b32 s16, 0x5040100
	s_waitcnt vmcnt(9)
	buffer_store_dword v5, off, s[0:3], 0 offset:12
	v_lshlrev_b32_e32 v5, 4, v63
	global_load_dwordx4 v[26:29], v[30:31], off
	global_load_dwordx4 v[18:21], v[30:31], off offset:1024
	v_mov_b32_e32 v30, s11
	v_add_co_u32_e32 v38, vcc, s10, v5
	v_addc_co_u32_e32 v39, vcc, 0, v30, vcc
	s_waitcnt vmcnt(11)
	v_mad_i64_i32 v[30:31], s[6:7], v50, s41, v[38:39]
	s_waitcnt vmcnt(10)
	v_mad_i64_i32 v[32:33], s[6:7], v57, s41, v[38:39]
	;; [unrolled: 2-line block ×4, first 2 shown]
	global_load_dwordx4 v[34:37], v[30:31], off
	s_nop 0
	global_load_dwordx4 v[30:33], v[32:33], off
	s_nop 0
	;; [unrolled: 2-line block ×3, first 2 shown]
	global_load_dwordx4 v[38:41], v[38:39], off
	v_or_b32_e32 v5, 0x400, v5
	v_add_co_u32_e32 v58, vcc, s10, v5
	v_addc_co_u32_e32 v59, vcc, 0, v51, vcc
	buffer_store_dword v4, off, s[0:3], 0 offset:8
	v_mad_i64_i32 v[4:5], s[6:7], v57, s41, v[58:59]
	buffer_store_dword v3, off, s[0:3], 0 offset:4
	buffer_store_dword v2, off, s[0:3], 0
	v_mad_i64_i32 v[2:3], s[6:7], v61, s41, v[58:59]
	global_load_dwordx4 v[64:67], v[4:5], off
	global_load_dwordx4 v[72:75], v[2:3], off
	v_mad_i64_i32 v[50:51], s[6:7], v50, s41, v[58:59]
	global_load_dwordx4 v[50:53], v[50:51], off
	v_mad_i64_i32 v[4:5], s[6:7], v60, s41, v[58:59]
	global_load_dwordx4 v[68:71], v[4:5], off
	v_mov_b32_e32 v2, 0x80
	s_waitcnt vmcnt(18)
	buffer_store_dword v17, off, s[0:3], 0 offset:28
	buffer_store_dword v16, off, s[0:3], 0 offset:24
	buffer_store_dword v15, off, s[0:3], 0 offset:20
	buffer_store_dword v14, off, s[0:3], 0 offset:16
	s_waitcnt vmcnt(21)
	buffer_store_dword v45, off, s[0:3], 0 offset:44
	buffer_store_dword v44, off, s[0:3], 0 offset:40
	;; [unrolled: 1-line block ×4, first 2 shown]
	v_add_u32_e32 v43, 16, v2
	v_add_u32_e32 v61, 32, v2
	;; [unrolled: 1-line block ×7, first 2 shown]
	v_mul_lo_u16_e32 v2, 52, v55
	v_mov_b32_e32 v3, 5
	s_load_dword s6, s[4:5], 0x1c
	s_load_dwordx4 s[40:43], s[4:5], 0x80
	v_mul_lo_u16_sdwa v2, v2, v3 dst_sel:DWORD dst_unused:UNUSED_PAD src0_sel:BYTE_1 src1_sel:DWORD
	v_sub_u16_e32 v2, v55, v2
	v_lshlrev_b32_sdwa v2, v3, v2 dst_sel:DWORD dst_unused:UNUSED_PAD src0_sel:DWORD src1_sel:BYTE_0
	s_waitcnt vmcnt(24)
	buffer_store_dword v13, off, s[0:3], 0 offset:60
	buffer_store_dword v12, off, s[0:3], 0 offset:56
	;; [unrolled: 1-line block ×4, first 2 shown]
	s_waitcnt vmcnt(27)
	buffer_store_dword v9, off, s[0:3], 0 offset:76
	buffer_store_dword v8, off, s[0:3], 0 offset:72
	buffer_store_dword v7, off, s[0:3], 0 offset:68
	buffer_store_dword v6, off, s[0:3], 0 offset:64
	v_lshl_add_u32 v14, v1, 9, v2
	ds_read_b128 v[2:5], v14
	ds_read_b128 v[6:9], v14 offset:16
	ds_read_b128 v[10:13], v14 offset:2048
	;; [unrolled: 1-line block ×3, first 2 shown]
	s_waitcnt vmcnt(30)
	buffer_store_dword v25, off, s[0:3], 0 offset:92
	buffer_store_dword v24, off, s[0:3], 0 offset:88
	buffer_store_dword v23, off, s[0:3], 0 offset:84
	buffer_store_dword v22, off, s[0:3], 0 offset:80
	s_waitcnt vmcnt(32)
	buffer_store_dword v29, off, s[0:3], 0 offset:108
	buffer_store_dword v28, off, s[0:3], 0 offset:104
	buffer_store_dword v27, off, s[0:3], 0 offset:100
	buffer_store_dword v26, off, s[0:3], 0 offset:96
	;; [unrolled: 5-line block ×8, first 2 shown]
	buffer_store_dword v67, off, s[0:3], 0 offset:188
	buffer_store_dword v66, off, s[0:3], 0 offset:184
	;; [unrolled: 1-line block ×4, first 2 shown]
	s_waitcnt vmcnt(52)
	buffer_store_dword v71, off, s[0:3], 0 offset:220
	buffer_store_dword v70, off, s[0:3], 0 offset:216
	;; [unrolled: 1-line block ×5, first 2 shown]
	s_waitcnt lgkmcnt(0)
	s_load_dword s4, s[40:41], 0x0
	v_mov_b32_e32 v18, s6
	v_and_b32_e32 v42, 63, v0
	v_mov_b32_e32 v27, 0
	v_mov_b32_e32 v29, 0x100
	s_waitcnt lgkmcnt(0)
	v_mul_f32_e32 v22, s4, v18
	v_mov_b32_e32 v24, v22
	v_mov_b32_e32 v25, v22
	;; [unrolled: 1-line block ×3, first 2 shown]
	v_bfrev_b32_e32 v33, 60
	buffer_store_dword v74, off, s[0:3], 0 offset:248
	buffer_store_dword v73, off, s[0:3], 0 offset:244
	;; [unrolled: 1-line block ×3, first 2 shown]
	s_branch .LBB914_15
.LBB914_12:                             ;   in Loop: Header=BB914_15 Depth=1
	s_or_b64 exec, exec, s[10:11]
.LBB914_13:                             ;   in Loop: Header=BB914_15 Depth=1
	s_or_b64 exec, exec, s[6:7]
.LBB914_14:                             ;   in Loop: Header=BB914_15 Depth=1
	s_or_b64 exec, exec, s[4:5]
	v_perm_b32 v41, v36, v32, s16
	v_perm_b32 v40, v23, v34, s16
	;; [unrolled: 1-line block ×4, first 2 shown]
	v_add_u32_e32 v26, s12, v29
	v_mfma_f32_16x16x16bf16_1k v[18:21], v[40:41], v[14:15], v[18:21]
	s_add_i32 s12, s12, 16
	v_mov_b32_e32 v23, v22
	s_cmp_eq_u32 s12, 64
	v_add_u32_e32 v27, 32, v27
	v_mfma_f32_16x16x16bf16_1k v[18:21], v[36:37], v[16:17], v[18:21]
	s_nop 7
	s_nop 2
	v_pk_mul_f32 v[18:19], v[24:25], v[18:19]
	v_pk_mul_f32 v[20:21], v[22:23], v[20:21]
	buffer_store_dword v19, v26, s[0:3], 0 offen offset:4
	buffer_store_dword v18, v26, s[0:3], 0 offen
	buffer_store_dword v21, v26, s[0:3], 0 offen offset:12
	buffer_store_dword v20, v26, s[0:3], 0 offen offset:8
	s_cbranch_scc1 .LBB914_205
.LBB914_15:                             ; =>This Inner Loop Header: Depth=1
	buffer_load_dword v20, v27, s[0:3], 0 offen
	buffer_load_dword v18, v27, s[0:3], 0 offen offset:4
	buffer_load_dword v28, v27, s[0:3], 0 offen offset:8
	;; [unrolled: 1-line block ×3, first 2 shown]
	v_mov_b32_e32 v19, 0
	s_waitcnt vmcnt(3)
	v_cmp_ne_u16_sdwa s[6:7], v20, v31 src0_sel:BYTE_0 src1_sel:DWORD
	s_and_saveexec_b64 s[4:5], s[6:7]
	s_cbranch_execz .LBB914_21
; %bb.16:                               ;   in Loop: Header=BB914_15 Depth=1
	v_cmp_ne_u16_sdwa s[10:11], v20, s13 src0_sel:BYTE_0 src1_sel:DWORD
	v_mov_b32_e32 v19, 0xffff8000
	s_and_saveexec_b64 s[6:7], s[10:11]
	s_cbranch_execz .LBB914_20
; %bb.17:                               ;   in Loop: Header=BB914_15 Depth=1
	v_and_b32_e32 v21, 0x7f, v20
	v_cmp_ne_u32_e32 vcc, s14, v21
	v_mov_b32_e32 v19, 0x7f80
	s_and_saveexec_b64 s[10:11], vcc
	s_cbranch_execz .LBB914_19
; %bb.18:                               ;   in Loop: Header=BB914_15 Depth=1
	v_and_b32_e32 v19, 7, v20
	v_ffbh_u32_e32 v30, v19
	v_min_u32_e32 v30, 32, v30
	v_subrev_u32_e32 v32, 28, v30
	v_lshlrev_b64 v[34:35], v32, v[20:21]
	v_lshrrev_b32_e32 v23, 3, v21
	v_sub_u32_e32 v30, 29, v30
	v_and_b32_e32 v32, 7, v34
	v_cmp_gt_u32_e32 vcc, 8, v21
	v_cndmask_b32_e32 v21, v23, v30, vcc
	v_cndmask_b32_e32 v19, v19, v32, vcc
	v_lshlrev_b32_e32 v23, 24, v20
	v_lshlrev_b32_e32 v19, 20, v19
	v_and_b32_e32 v23, 0x80000000, v23
	v_lshl_add_u32 v21, v21, 23, v33
	v_or3_b32 v19, v23, v21, v19
	v_lshrrev_b32_e32 v19, 16, v19
.LBB914_19:                             ;   in Loop: Header=BB914_15 Depth=1
	s_or_b64 exec, exec, s[10:11]
.LBB914_20:                             ;   in Loop: Header=BB914_15 Depth=1
	s_or_b64 exec, exec, s[6:7]
.LBB914_21:                             ;   in Loop: Header=BB914_15 Depth=1
	s_or_b64 exec, exec, s[4:5]
	v_lshrrev_b16_e32 v30, 8, v20
	v_cmp_ne_u16_e32 vcc, 0, v30
	v_mov_b32_e32 v23, 0
	v_mov_b32_e32 v21, 0
	s_and_saveexec_b64 s[4:5], vcc
	s_cbranch_execz .LBB914_27
; %bb.22:                               ;   in Loop: Header=BB914_15 Depth=1
	v_cmp_ne_u16_e32 vcc, s13, v30
	v_mov_b32_e32 v21, 0xffff8000
	s_and_saveexec_b64 s[6:7], vcc
	s_cbranch_execz .LBB914_26
; %bb.23:                               ;   in Loop: Header=BB914_15 Depth=1
	v_and_b32_e32 v32, 0x7f, v30
	v_cmp_ne_u32_e32 vcc, s14, v32
	v_mov_b32_e32 v21, 0x7f80
	s_and_saveexec_b64 s[10:11], vcc
	s_cbranch_execz .LBB914_25
; %bb.24:                               ;   in Loop: Header=BB914_15 Depth=1
	v_and_b32_e32 v21, 7, v30
	v_ffbh_u32_e32 v34, v21
	v_min_u32_e32 v37, 32, v34
	v_subrev_u32_e32 v34, 28, v37
	v_lshlrev_b64 v[34:35], v34, v[30:31]
	v_lshrrev_b32_e32 v36, 3, v32
	v_sub_u32_e32 v30, 29, v37
	v_and_b32_e32 v34, 7, v34
	v_cmp_gt_u32_e32 vcc, 8, v32
	v_cndmask_b32_e32 v30, v36, v30, vcc
	v_cndmask_b32_e32 v21, v21, v34, vcc
	v_lshlrev_b32_e32 v32, 16, v20
	v_lshlrev_b32_e32 v21, 20, v21
	v_and_b32_e32 v32, 0x80000000, v32
	v_lshl_add_u32 v30, v30, 23, v33
	v_or3_b32 v21, v32, v30, v21
	v_lshrrev_b32_e32 v21, 16, v21
.LBB914_25:                             ;   in Loop: Header=BB914_15 Depth=1
	s_or_b64 exec, exec, s[10:11]
.LBB914_26:                             ;   in Loop: Header=BB914_15 Depth=1
	s_or_b64 exec, exec, s[6:7]
.LBB914_27:                             ;   in Loop: Header=BB914_15 Depth=1
	s_or_b64 exec, exec, s[4:5]
	v_lshrrev_b32_e32 v30, 16, v20
	v_cmp_ne_u16_sdwa s[6:7], v30, v31 src0_sel:BYTE_0 src1_sel:DWORD
	s_and_saveexec_b64 s[4:5], s[6:7]
	s_cbranch_execz .LBB914_33
; %bb.28:                               ;   in Loop: Header=BB914_15 Depth=1
	v_cmp_ne_u16_sdwa s[10:11], v30, s13 src0_sel:BYTE_0 src1_sel:DWORD
	v_mov_b32_e32 v23, 0xffff8000
	s_and_saveexec_b64 s[6:7], s[10:11]
	s_cbranch_execz .LBB914_32
; %bb.29:                               ;   in Loop: Header=BB914_15 Depth=1
	v_bfe_u32 v32, v20, 16, 7
	v_cmp_ne_u32_e32 vcc, s14, v32
	v_mov_b32_e32 v23, 0x7f80
	s_and_saveexec_b64 s[10:11], vcc
	s_cbranch_execz .LBB914_31
; %bb.30:                               ;   in Loop: Header=BB914_15 Depth=1
	v_and_b32_e32 v23, 7, v30
	v_ffbh_u32_e32 v34, v23
	v_min_u32_e32 v37, 32, v34
	v_subrev_u32_e32 v34, 28, v37
	v_lshlrev_b64 v[34:35], v34, v[30:31]
	v_lshrrev_b32_e32 v36, 3, v32
	v_sub_u32_e32 v35, 29, v37
	v_and_b32_e32 v34, 7, v34
	v_cmp_gt_u32_e32 vcc, 8, v32
	v_cndmask_b32_e32 v32, v36, v35, vcc
	v_cndmask_b32_e32 v23, v23, v34, vcc
	v_lshlrev_b32_e32 v30, 24, v30
	v_lshlrev_b32_e32 v23, 20, v23
	v_and_b32_e32 v30, 0x80000000, v30
	v_lshl_add_u32 v32, v32, 23, v33
	v_or3_b32 v23, v30, v32, v23
	v_lshrrev_b32_e32 v23, 16, v23
.LBB914_31:                             ;   in Loop: Header=BB914_15 Depth=1
	s_or_b64 exec, exec, s[10:11]
.LBB914_32:                             ;   in Loop: Header=BB914_15 Depth=1
	s_or_b64 exec, exec, s[6:7]
.LBB914_33:                             ;   in Loop: Header=BB914_15 Depth=1
	s_or_b64 exec, exec, s[4:5]
	v_cmp_lt_u32_e32 vcc, s15, v20
	v_mov_b32_e32 v34, 0
	v_mov_b32_e32 v35, 0
	s_and_saveexec_b64 s[4:5], vcc
	s_cbranch_execz .LBB914_39
; %bb.34:                               ;   in Loop: Header=BB914_15 Depth=1
	v_lshrrev_b32_e32 v30, 24, v20
	v_cmp_ne_u32_e32 vcc, s13, v30
	v_mov_b32_e32 v35, 0xffff8000
	s_and_saveexec_b64 s[6:7], vcc
	s_cbranch_execz .LBB914_38
; %bb.35:                               ;   in Loop: Header=BB914_15 Depth=1
	v_bfe_u32 v20, v20, 24, 7
	v_cmp_ne_u32_e32 vcc, s14, v20
	v_mov_b32_e32 v35, 0x7f80
	s_and_saveexec_b64 s[10:11], vcc
	s_cbranch_execz .LBB914_37
; %bb.36:                               ;   in Loop: Header=BB914_15 Depth=1
	v_and_b32_e32 v32, 7, v30
	v_ffbh_u32_e32 v36, v32
	v_min_u32_e32 v38, 32, v36
	v_subrev_u32_e32 v36, 28, v38
	v_lshlrev_b64 v[36:37], v36, v[30:31]
	v_lshrrev_b32_e32 v35, 3, v20
	v_sub_u32_e32 v37, 29, v38
	v_and_b32_e32 v36, 7, v36
	v_cmp_gt_u32_e32 vcc, 8, v20
	v_cndmask_b32_e32 v20, v35, v37, vcc
	v_cndmask_b32_e32 v32, v32, v36, vcc
	v_lshlrev_b32_e32 v30, 24, v30
	v_lshlrev_b32_e32 v32, 20, v32
	v_and_b32_e32 v30, 0x80000000, v30
	v_lshl_add_u32 v20, v20, 23, v33
	v_or3_b32 v20, v30, v20, v32
	v_lshrrev_b32_e32 v35, 16, v20
.LBB914_37:                             ;   in Loop: Header=BB914_15 Depth=1
	s_or_b64 exec, exec, s[10:11]
.LBB914_38:                             ;   in Loop: Header=BB914_15 Depth=1
	s_or_b64 exec, exec, s[6:7]
.LBB914_39:                             ;   in Loop: Header=BB914_15 Depth=1
	s_or_b64 exec, exec, s[4:5]
	s_waitcnt vmcnt(2)
	v_cmp_ne_u16_sdwa s[6:7], v18, v31 src0_sel:BYTE_0 src1_sel:DWORD
	s_and_saveexec_b64 s[4:5], s[6:7]
	s_cbranch_execz .LBB914_45
; %bb.40:                               ;   in Loop: Header=BB914_15 Depth=1
	v_cmp_ne_u16_sdwa s[10:11], v18, s13 src0_sel:BYTE_0 src1_sel:DWORD
	v_mov_b32_e32 v34, 0xffff8000
	s_and_saveexec_b64 s[6:7], s[10:11]
	s_cbranch_execz .LBB914_44
; %bb.41:                               ;   in Loop: Header=BB914_15 Depth=1
	v_and_b32_e32 v20, 0x7f, v18
	v_cmp_ne_u32_e32 vcc, s14, v20
	v_mov_b32_e32 v34, 0x7f80
	s_and_saveexec_b64 s[10:11], vcc
	s_cbranch_execz .LBB914_43
; %bb.42:                               ;   in Loop: Header=BB914_15 Depth=1
	v_and_b32_e32 v30, 7, v18
	v_ffbh_u32_e32 v34, v30
	v_min_u32_e32 v34, 32, v34
	v_subrev_u32_e32 v36, 28, v34
	v_lshlrev_b64 v[36:37], v36, v[18:19]
	v_lshrrev_b32_e32 v32, 3, v20
	v_sub_u32_e32 v34, 29, v34
	v_and_b32_e32 v36, 7, v36
	v_cmp_gt_u32_e32 vcc, 8, v20
	v_cndmask_b32_e32 v20, v32, v34, vcc
	v_cndmask_b32_e32 v30, v30, v36, vcc
	v_lshlrev_b32_e32 v32, 24, v18
	v_lshlrev_b32_e32 v30, 20, v30
	v_and_b32_e32 v32, 0x80000000, v32
	v_lshl_add_u32 v20, v20, 23, v33
	v_or3_b32 v20, v32, v20, v30
	v_lshrrev_b32_e32 v34, 16, v20
.LBB914_43:                             ;   in Loop: Header=BB914_15 Depth=1
	s_or_b64 exec, exec, s[10:11]
.LBB914_44:                             ;   in Loop: Header=BB914_15 Depth=1
	s_or_b64 exec, exec, s[6:7]
.LBB914_45:                             ;   in Loop: Header=BB914_15 Depth=1
	s_or_b64 exec, exec, s[4:5]
	v_lshrrev_b16_e32 v20, 8, v18
	v_cmp_ne_u16_e32 vcc, 0, v20
	v_mov_b32_e32 v36, 0
	v_mov_b32_e32 v30, 0
	s_and_saveexec_b64 s[4:5], vcc
	s_cbranch_execz .LBB914_51
; %bb.46:                               ;   in Loop: Header=BB914_15 Depth=1
	v_cmp_ne_u16_e32 vcc, s13, v20
	v_mov_b32_e32 v30, 0xffff8000
	s_and_saveexec_b64 s[6:7], vcc
	s_cbranch_execz .LBB914_50
; %bb.47:                               ;   in Loop: Header=BB914_15 Depth=1
	v_and_b32_e32 v32, 0x7f, v20
	v_cmp_ne_u32_e32 vcc, s14, v32
	v_mov_b32_e32 v30, 0x7f80
	s_and_saveexec_b64 s[10:11], vcc
	s_cbranch_execz .LBB914_49
; %bb.48:                               ;   in Loop: Header=BB914_15 Depth=1
	v_and_b32_e32 v30, 7, v20
	v_ffbh_u32_e32 v38, v30
	v_min_u32_e32 v40, 32, v38
	v_subrev_u32_e32 v38, 28, v40
	v_lshlrev_b64 v[38:39], v38, v[20:21]
	v_lshrrev_b32_e32 v37, 3, v32
	v_sub_u32_e32 v20, 29, v40
	v_and_b32_e32 v38, 7, v38
	v_cmp_gt_u32_e32 vcc, 8, v32
	v_cndmask_b32_e32 v20, v37, v20, vcc
	v_cndmask_b32_e32 v30, v30, v38, vcc
	v_lshlrev_b32_e32 v32, 16, v18
	v_lshlrev_b32_e32 v30, 20, v30
	v_and_b32_e32 v32, 0x80000000, v32
	v_lshl_add_u32 v20, v20, 23, v33
	v_or3_b32 v20, v32, v20, v30
	v_lshrrev_b32_e32 v30, 16, v20
.LBB914_49:                             ;   in Loop: Header=BB914_15 Depth=1
	s_or_b64 exec, exec, s[10:11]
.LBB914_50:                             ;   in Loop: Header=BB914_15 Depth=1
	s_or_b64 exec, exec, s[6:7]
.LBB914_51:                             ;   in Loop: Header=BB914_15 Depth=1
	s_or_b64 exec, exec, s[4:5]
	v_lshrrev_b32_e32 v20, 16, v18
	v_cmp_ne_u16_sdwa s[6:7], v20, v31 src0_sel:BYTE_0 src1_sel:DWORD
	s_and_saveexec_b64 s[4:5], s[6:7]
	s_cbranch_execz .LBB914_57
; %bb.52:                               ;   in Loop: Header=BB914_15 Depth=1
	v_cmp_ne_u16_sdwa s[10:11], v20, s13 src0_sel:BYTE_0 src1_sel:DWORD
	v_mov_b32_e32 v36, 0xffff8000
	s_and_saveexec_b64 s[6:7], s[10:11]
	s_cbranch_execz .LBB914_56
; %bb.53:                               ;   in Loop: Header=BB914_15 Depth=1
	v_bfe_u32 v32, v18, 16, 7
	v_cmp_ne_u32_e32 vcc, s14, v32
	v_mov_b32_e32 v36, 0x7f80
	s_and_saveexec_b64 s[10:11], vcc
	s_cbranch_execz .LBB914_55
; %bb.54:                               ;   in Loop: Header=BB914_15 Depth=1
	v_and_b32_e32 v38, 7, v20
	v_ffbh_u32_e32 v36, v38
	v_min_u32_e32 v40, 32, v36
	v_subrev_u32_e32 v36, 28, v40
	v_lshlrev_b64 v[36:37], v36, v[20:21]
	v_lshrrev_b32_e32 v39, 3, v32
	v_sub_u32_e32 v37, 29, v40
	v_and_b32_e32 v36, 7, v36
	v_cmp_gt_u32_e32 vcc, 8, v32
	v_cndmask_b32_e32 v32, v39, v37, vcc
	v_cndmask_b32_e32 v36, v38, v36, vcc
	v_lshlrev_b32_e32 v20, 24, v20
	v_lshlrev_b32_e32 v36, 20, v36
	v_and_b32_e32 v20, 0x80000000, v20
	v_lshl_add_u32 v32, v32, 23, v33
	v_or3_b32 v20, v20, v32, v36
	v_lshrrev_b32_e32 v36, 16, v20
.LBB914_55:                             ;   in Loop: Header=BB914_15 Depth=1
	s_or_b64 exec, exec, s[10:11]
.LBB914_56:                             ;   in Loop: Header=BB914_15 Depth=1
	s_or_b64 exec, exec, s[6:7]
.LBB914_57:                             ;   in Loop: Header=BB914_15 Depth=1
	s_or_b64 exec, exec, s[4:5]
	v_cmp_lt_u32_e32 vcc, s15, v18
	v_mov_b32_e32 v32, 0
	v_mov_b32_e32 v37, 0
	s_and_saveexec_b64 s[4:5], vcc
	s_cbranch_execz .LBB914_63
; %bb.58:                               ;   in Loop: Header=BB914_15 Depth=1
	v_lshrrev_b32_e32 v20, 24, v18
	v_cmp_ne_u32_e32 vcc, s13, v20
	v_mov_b32_e32 v37, 0xffff8000
	s_and_saveexec_b64 s[6:7], vcc
	s_cbranch_execz .LBB914_62
; %bb.59:                               ;   in Loop: Header=BB914_15 Depth=1
	v_bfe_u32 v18, v18, 24, 7
	v_cmp_ne_u32_e32 vcc, s14, v18
	v_mov_b32_e32 v37, 0x7f80
	s_and_saveexec_b64 s[10:11], vcc
	s_cbranch_execz .LBB914_61
; %bb.60:                               ;   in Loop: Header=BB914_15 Depth=1
	v_and_b32_e32 v37, 7, v20
	v_ffbh_u32_e32 v38, v37
	v_min_u32_e32 v41, 32, v38
	v_subrev_u32_e32 v38, 28, v41
	v_lshlrev_b64 v[38:39], v38, v[20:21]
	v_lshrrev_b32_e32 v40, 3, v18
	v_sub_u32_e32 v39, 29, v41
	v_and_b32_e32 v38, 7, v38
	v_cmp_gt_u32_e32 vcc, 8, v18
	v_cndmask_b32_e32 v18, v40, v39, vcc
	v_cndmask_b32_e32 v37, v37, v38, vcc
	v_lshlrev_b32_e32 v20, 24, v20
	v_lshlrev_b32_e32 v37, 20, v37
	v_and_b32_e32 v20, 0x80000000, v20
	v_lshl_add_u32 v18, v18, 23, v33
	v_or3_b32 v18, v20, v18, v37
	v_lshrrev_b32_e32 v37, 16, v18
.LBB914_61:                             ;   in Loop: Header=BB914_15 Depth=1
	s_or_b64 exec, exec, s[10:11]
.LBB914_62:                             ;   in Loop: Header=BB914_15 Depth=1
	s_or_b64 exec, exec, s[6:7]
.LBB914_63:                             ;   in Loop: Header=BB914_15 Depth=1
	s_or_b64 exec, exec, s[4:5]
	v_perm_b32 v39, v35, v23, s16
	v_perm_b32 v38, v21, v19, s16
	;; [unrolled: 1-line block ×4, first 2 shown]
	s_waitcnt vmcnt(1)
	v_cmp_ne_u16_sdwa s[6:7], v28, v31 src0_sel:BYTE_0 src1_sel:DWORD
	v_mfma_f32_16x16x16bf16_1k v[18:21], v[38:39], v[2:3], 0
	v_mfma_f32_16x16x16bf16_1k v[18:21], v[34:35], v[4:5], v[18:21]
	s_and_saveexec_b64 s[4:5], s[6:7]
	s_cbranch_execz .LBB914_69
; %bb.64:                               ;   in Loop: Header=BB914_15 Depth=1
	v_cmp_ne_u16_sdwa s[10:11], v28, s13 src0_sel:BYTE_0 src1_sel:DWORD
	v_mov_b32_e32 v32, 0xffff8000
	s_and_saveexec_b64 s[6:7], s[10:11]
	s_cbranch_execz .LBB914_68
; %bb.65:                               ;   in Loop: Header=BB914_15 Depth=1
	v_and_b32_e32 v23, 0x7f, v28
	v_cmp_ne_u32_e32 vcc, s14, v23
	v_mov_b32_e32 v32, 0x7f80
	s_and_saveexec_b64 s[10:11], vcc
	s_cbranch_execz .LBB914_67
; %bb.66:                               ;   in Loop: Header=BB914_15 Depth=1
	v_and_b32_e32 v30, 7, v28
	v_ffbh_u32_e32 v34, v30
	v_min_u32_e32 v36, 32, v34
	v_subrev_u32_e32 v34, 28, v36
	v_lshlrev_b64 v[34:35], v34, v[28:29]
	v_lshrrev_b32_e32 v32, 3, v23
	v_sub_u32_e32 v35, 29, v36
	v_and_b32_e32 v34, 7, v34
	v_cmp_gt_u32_e32 vcc, 8, v23
	v_cndmask_b32_e32 v23, v32, v35, vcc
	v_cndmask_b32_e32 v30, v30, v34, vcc
	v_lshlrev_b32_e32 v32, 24, v28
	v_lshlrev_b32_e32 v30, 20, v30
	v_and_b32_e32 v32, 0x80000000, v32
	v_lshl_add_u32 v23, v23, 23, v33
	v_or3_b32 v23, v32, v23, v30
	v_lshrrev_b32_e32 v32, 16, v23
.LBB914_67:                             ;   in Loop: Header=BB914_15 Depth=1
	s_or_b64 exec, exec, s[10:11]
.LBB914_68:                             ;   in Loop: Header=BB914_15 Depth=1
	s_or_b64 exec, exec, s[6:7]
.LBB914_69:                             ;   in Loop: Header=BB914_15 Depth=1
	s_or_b64 exec, exec, s[4:5]
	v_lshrrev_b16_e32 v30, 8, v28
	v_cmp_ne_u16_e32 vcc, 0, v30
	v_mov_b32_e32 v35, 0
	v_mov_b32_e32 v34, 0
	s_and_saveexec_b64 s[4:5], vcc
	s_cbranch_execz .LBB914_75
; %bb.70:                               ;   in Loop: Header=BB914_15 Depth=1
	v_cmp_ne_u16_e32 vcc, s13, v30
	v_mov_b32_e32 v34, 0xffff8000
	s_and_saveexec_b64 s[6:7], vcc
	s_cbranch_execz .LBB914_74
; %bb.71:                               ;   in Loop: Header=BB914_15 Depth=1
	v_and_b32_e32 v23, 0x7f, v30
	v_cmp_ne_u32_e32 vcc, s14, v23
	v_mov_b32_e32 v34, 0x7f80
	s_and_saveexec_b64 s[10:11], vcc
	s_cbranch_execz .LBB914_73
; %bb.72:                               ;   in Loop: Header=BB914_15 Depth=1
	v_and_b32_e32 v34, 7, v30
	v_ffbh_u32_e32 v36, v34
	v_min_u32_e32 v39, 32, v36
	v_subrev_u32_e32 v36, 28, v39
	v_lshlrev_b64 v[36:37], v36, v[30:31]
	v_lshrrev_b32_e32 v38, 3, v23
	v_sub_u32_e32 v30, 29, v39
	v_and_b32_e32 v36, 7, v36
	v_cmp_gt_u32_e32 vcc, 8, v23
	v_cndmask_b32_e32 v23, v38, v30, vcc
	v_cndmask_b32_e32 v30, v34, v36, vcc
	v_lshlrev_b32_e32 v34, 16, v28
	v_lshlrev_b32_e32 v30, 20, v30
	v_and_b32_e32 v34, 0x80000000, v34
	v_lshl_add_u32 v23, v23, 23, v33
	v_or3_b32 v23, v34, v23, v30
	v_lshrrev_b32_e32 v34, 16, v23
.LBB914_73:                             ;   in Loop: Header=BB914_15 Depth=1
	s_or_b64 exec, exec, s[10:11]
.LBB914_74:                             ;   in Loop: Header=BB914_15 Depth=1
	s_or_b64 exec, exec, s[6:7]
.LBB914_75:                             ;   in Loop: Header=BB914_15 Depth=1
	s_or_b64 exec, exec, s[4:5]
	v_lshrrev_b32_e32 v30, 16, v28
	v_cmp_ne_u16_sdwa s[6:7], v30, v31 src0_sel:BYTE_0 src1_sel:DWORD
	s_and_saveexec_b64 s[4:5], s[6:7]
	s_cbranch_execz .LBB914_81
; %bb.76:                               ;   in Loop: Header=BB914_15 Depth=1
	v_cmp_ne_u16_sdwa s[10:11], v30, s13 src0_sel:BYTE_0 src1_sel:DWORD
	v_mov_b32_e32 v35, 0xffff8000
	s_and_saveexec_b64 s[6:7], s[10:11]
	s_cbranch_execz .LBB914_80
; %bb.77:                               ;   in Loop: Header=BB914_15 Depth=1
	v_bfe_u32 v23, v28, 16, 7
	v_cmp_ne_u32_e32 vcc, s14, v23
	v_mov_b32_e32 v35, 0x7f80
	s_and_saveexec_b64 s[10:11], vcc
	s_cbranch_execz .LBB914_79
; %bb.78:                               ;   in Loop: Header=BB914_15 Depth=1
	v_and_b32_e32 v35, 7, v30
	v_ffbh_u32_e32 v36, v35
	v_min_u32_e32 v39, 32, v36
	v_subrev_u32_e32 v36, 28, v39
	v_lshlrev_b64 v[36:37], v36, v[30:31]
	v_lshrrev_b32_e32 v38, 3, v23
	v_sub_u32_e32 v37, 29, v39
	v_and_b32_e32 v36, 7, v36
	v_cmp_gt_u32_e32 vcc, 8, v23
	v_cndmask_b32_e32 v23, v38, v37, vcc
	v_cndmask_b32_e32 v35, v35, v36, vcc
	v_lshlrev_b32_e32 v30, 24, v30
	v_lshlrev_b32_e32 v35, 20, v35
	v_and_b32_e32 v30, 0x80000000, v30
	v_lshl_add_u32 v23, v23, 23, v33
	v_or3_b32 v23, v30, v23, v35
	v_lshrrev_b32_e32 v35, 16, v23
.LBB914_79:                             ;   in Loop: Header=BB914_15 Depth=1
	s_or_b64 exec, exec, s[10:11]
.LBB914_80:                             ;   in Loop: Header=BB914_15 Depth=1
	s_or_b64 exec, exec, s[6:7]
.LBB914_81:                             ;   in Loop: Header=BB914_15 Depth=1
	s_or_b64 exec, exec, s[4:5]
	v_cmp_lt_u32_e32 vcc, s15, v28
	v_mov_b32_e32 v36, 0
	v_mov_b32_e32 v37, 0
	s_and_saveexec_b64 s[4:5], vcc
	s_cbranch_execz .LBB914_87
; %bb.82:                               ;   in Loop: Header=BB914_15 Depth=1
	v_lshrrev_b32_e32 v30, 24, v28
	v_cmp_ne_u32_e32 vcc, s13, v30
	v_mov_b32_e32 v37, 0xffff8000
	s_and_saveexec_b64 s[6:7], vcc
	s_cbranch_execz .LBB914_86
; %bb.83:                               ;   in Loop: Header=BB914_15 Depth=1
	v_bfe_u32 v23, v28, 24, 7
	v_cmp_ne_u32_e32 vcc, s14, v23
	v_mov_b32_e32 v37, 0x7f80
	s_and_saveexec_b64 s[10:11], vcc
	s_cbranch_execz .LBB914_85
; %bb.84:                               ;   in Loop: Header=BB914_15 Depth=1
	v_and_b32_e32 v28, 7, v30
	v_ffbh_u32_e32 v38, v28
	v_min_u32_e32 v40, 32, v38
	v_subrev_u32_e32 v38, 28, v40
	v_lshlrev_b64 v[38:39], v38, v[30:31]
	v_lshrrev_b32_e32 v37, 3, v23
	v_sub_u32_e32 v39, 29, v40
	v_and_b32_e32 v38, 7, v38
	v_cmp_gt_u32_e32 vcc, 8, v23
	v_cndmask_b32_e32 v23, v37, v39, vcc
	v_cndmask_b32_e32 v28, v28, v38, vcc
	v_lshlrev_b32_e32 v30, 24, v30
	v_lshlrev_b32_e32 v28, 20, v28
	v_and_b32_e32 v30, 0x80000000, v30
	v_lshl_add_u32 v23, v23, 23, v33
	v_or3_b32 v23, v30, v23, v28
	v_lshrrev_b32_e32 v37, 16, v23
.LBB914_85:                             ;   in Loop: Header=BB914_15 Depth=1
	s_or_b64 exec, exec, s[10:11]
.LBB914_86:                             ;   in Loop: Header=BB914_15 Depth=1
	s_or_b64 exec, exec, s[6:7]
.LBB914_87:                             ;   in Loop: Header=BB914_15 Depth=1
	s_or_b64 exec, exec, s[4:5]
	s_waitcnt vmcnt(0)
	v_cmp_ne_u16_sdwa s[6:7], v26, v31 src0_sel:BYTE_0 src1_sel:DWORD
	s_and_saveexec_b64 s[4:5], s[6:7]
	s_cbranch_execz .LBB914_93
; %bb.88:                               ;   in Loop: Header=BB914_15 Depth=1
	v_cmp_ne_u16_sdwa s[10:11], v26, s13 src0_sel:BYTE_0 src1_sel:DWORD
	v_mov_b32_e32 v36, 0xffff8000
	s_and_saveexec_b64 s[6:7], s[10:11]
	s_cbranch_execz .LBB914_92
; %bb.89:                               ;   in Loop: Header=BB914_15 Depth=1
	v_and_b32_e32 v23, 0x7f, v26
	v_cmp_ne_u32_e32 vcc, s14, v23
	v_mov_b32_e32 v36, 0x7f80
	s_and_saveexec_b64 s[10:11], vcc
	s_cbranch_execz .LBB914_91
; %bb.90:                               ;   in Loop: Header=BB914_15 Depth=1
	v_and_b32_e32 v28, 7, v26
	v_ffbh_u32_e32 v36, v28
	v_min_u32_e32 v36, 32, v36
	v_subrev_u32_e32 v38, 28, v36
	v_lshlrev_b64 v[38:39], v38, v[26:27]
	v_lshrrev_b32_e32 v30, 3, v23
	v_sub_u32_e32 v36, 29, v36
	v_and_b32_e32 v38, 7, v38
	v_cmp_gt_u32_e32 vcc, 8, v23
	v_cndmask_b32_e32 v23, v30, v36, vcc
	v_cndmask_b32_e32 v28, v28, v38, vcc
	v_lshlrev_b32_e32 v30, 24, v26
	v_lshlrev_b32_e32 v28, 20, v28
	v_and_b32_e32 v30, 0x80000000, v30
	v_lshl_add_u32 v23, v23, 23, v33
	v_or3_b32 v23, v30, v23, v28
	v_lshrrev_b32_e32 v36, 16, v23
.LBB914_91:                             ;   in Loop: Header=BB914_15 Depth=1
	s_or_b64 exec, exec, s[10:11]
.LBB914_92:                             ;   in Loop: Header=BB914_15 Depth=1
	s_or_b64 exec, exec, s[6:7]
.LBB914_93:                             ;   in Loop: Header=BB914_15 Depth=1
	s_or_b64 exec, exec, s[4:5]
	v_lshrrev_b16_e32 v28, 8, v26
	v_cmp_ne_u16_e32 vcc, 0, v28
	v_mov_b32_e32 v39, 0
	v_mov_b32_e32 v38, 0
	s_and_saveexec_b64 s[4:5], vcc
	s_cbranch_execz .LBB914_99
; %bb.94:                               ;   in Loop: Header=BB914_15 Depth=1
	v_cmp_ne_u16_e32 vcc, s13, v28
	v_mov_b32_e32 v38, 0xffff8000
	s_and_saveexec_b64 s[6:7], vcc
	s_cbranch_execz .LBB914_98
; %bb.95:                               ;   in Loop: Header=BB914_15 Depth=1
	v_and_b32_e32 v23, 0x7f, v28
	v_cmp_ne_u32_e32 vcc, s14, v23
	v_mov_b32_e32 v38, 0x7f80
	s_and_saveexec_b64 s[10:11], vcc
	s_cbranch_execz .LBB914_97
; %bb.96:                               ;   in Loop: Header=BB914_15 Depth=1
	v_and_b32_e32 v30, 7, v28
	v_ffbh_u32_e32 v40, v30
	v_min_u32_e32 v44, 32, v40
	v_subrev_u32_e32 v40, 28, v44
	v_lshlrev_b64 v[40:41], v40, v[28:29]
	v_lshrrev_b32_e32 v38, 3, v23
	v_sub_u32_e32 v28, 29, v44
	v_and_b32_e32 v40, 7, v40
	v_cmp_gt_u32_e32 vcc, 8, v23
	v_cndmask_b32_e32 v23, v38, v28, vcc
	v_cndmask_b32_e32 v28, v30, v40, vcc
	v_lshlrev_b32_e32 v30, 16, v26
	v_lshlrev_b32_e32 v28, 20, v28
	v_and_b32_e32 v30, 0x80000000, v30
	v_lshl_add_u32 v23, v23, 23, v33
	v_or3_b32 v23, v30, v23, v28
	v_lshrrev_b32_e32 v38, 16, v23
.LBB914_97:                             ;   in Loop: Header=BB914_15 Depth=1
	s_or_b64 exec, exec, s[10:11]
.LBB914_98:                             ;   in Loop: Header=BB914_15 Depth=1
	s_or_b64 exec, exec, s[6:7]
.LBB914_99:                             ;   in Loop: Header=BB914_15 Depth=1
	s_or_b64 exec, exec, s[4:5]
	v_lshrrev_b32_e32 v28, 16, v26
	v_cmp_ne_u16_sdwa s[6:7], v28, v31 src0_sel:BYTE_0 src1_sel:DWORD
	s_and_saveexec_b64 s[4:5], s[6:7]
	s_cbranch_execz .LBB914_105
; %bb.100:                              ;   in Loop: Header=BB914_15 Depth=1
	v_cmp_ne_u16_sdwa s[10:11], v28, s13 src0_sel:BYTE_0 src1_sel:DWORD
	v_mov_b32_e32 v39, 0xffff8000
	s_and_saveexec_b64 s[6:7], s[10:11]
	s_cbranch_execz .LBB914_104
; %bb.101:                              ;   in Loop: Header=BB914_15 Depth=1
	v_bfe_u32 v23, v26, 16, 7
	v_cmp_ne_u32_e32 vcc, s14, v23
	v_mov_b32_e32 v39, 0x7f80
	s_and_saveexec_b64 s[10:11], vcc
	s_cbranch_execz .LBB914_103
; %bb.102:                              ;   in Loop: Header=BB914_15 Depth=1
	v_and_b32_e32 v30, 7, v28
	v_ffbh_u32_e32 v40, v30
	v_min_u32_e32 v44, 32, v40
	v_subrev_u32_e32 v40, 28, v44
	v_lshlrev_b64 v[40:41], v40, v[28:29]
	v_lshrrev_b32_e32 v39, 3, v23
	v_sub_u32_e32 v41, 29, v44
	v_and_b32_e32 v40, 7, v40
	v_cmp_gt_u32_e32 vcc, 8, v23
	v_cndmask_b32_e32 v23, v39, v41, vcc
	v_cndmask_b32_e32 v30, v30, v40, vcc
	v_lshlrev_b32_e32 v28, 24, v28
	v_lshlrev_b32_e32 v30, 20, v30
	v_and_b32_e32 v28, 0x80000000, v28
	v_lshl_add_u32 v23, v23, 23, v33
	v_or3_b32 v23, v28, v23, v30
	v_lshrrev_b32_e32 v39, 16, v23
.LBB914_103:                            ;   in Loop: Header=BB914_15 Depth=1
	s_or_b64 exec, exec, s[10:11]
.LBB914_104:                            ;   in Loop: Header=BB914_15 Depth=1
	s_or_b64 exec, exec, s[6:7]
.LBB914_105:                            ;   in Loop: Header=BB914_15 Depth=1
	s_or_b64 exec, exec, s[4:5]
	v_cmp_lt_u32_e32 vcc, s15, v26
	v_mov_b32_e32 v23, 0
	v_mov_b32_e32 v40, 0
	s_and_saveexec_b64 s[4:5], vcc
	s_cbranch_execz .LBB914_111
; %bb.106:                              ;   in Loop: Header=BB914_15 Depth=1
	v_lshrrev_b32_e32 v28, 24, v26
	v_cmp_ne_u32_e32 vcc, s13, v28
	v_mov_b32_e32 v40, 0xffff8000
	s_and_saveexec_b64 s[6:7], vcc
	s_cbranch_execz .LBB914_110
; %bb.107:                              ;   in Loop: Header=BB914_15 Depth=1
	v_bfe_u32 v26, v26, 24, 7
	v_cmp_ne_u32_e32 vcc, s14, v26
	v_mov_b32_e32 v40, 0x7f80
	s_and_saveexec_b64 s[10:11], vcc
	s_cbranch_execz .LBB914_109
; %bb.108:                              ;   in Loop: Header=BB914_15 Depth=1
	v_and_b32_e32 v30, 7, v28
	v_ffbh_u32_e32 v40, v30
	v_min_u32_e32 v46, 32, v40
	v_subrev_u32_e32 v40, 28, v46
	v_lshlrev_b64 v[40:41], v40, v[28:29]
	v_lshrrev_b32_e32 v44, 3, v26
	v_sub_u32_e32 v41, 29, v46
	v_and_b32_e32 v40, 7, v40
	v_cmp_gt_u32_e32 vcc, 8, v26
	v_cndmask_b32_e32 v26, v44, v41, vcc
	v_cndmask_b32_e32 v30, v30, v40, vcc
	v_lshlrev_b32_e32 v28, 24, v28
	v_lshlrev_b32_e32 v30, 20, v30
	v_and_b32_e32 v28, 0x80000000, v28
	v_lshl_add_u32 v26, v26, 23, v33
	v_or3_b32 v26, v28, v26, v30
	v_lshrrev_b32_e32 v40, 16, v26
.LBB914_109:                            ;   in Loop: Header=BB914_15 Depth=1
	s_or_b64 exec, exec, s[10:11]
.LBB914_110:                            ;   in Loop: Header=BB914_15 Depth=1
	s_or_b64 exec, exec, s[6:7]
.LBB914_111:                            ;   in Loop: Header=BB914_15 Depth=1
	s_or_b64 exec, exec, s[4:5]
	v_perm_b32 v34, v34, v32, s16
	buffer_load_dword v32, v27, s[0:3], 0 offen offset:16
	buffer_load_dword v30, v27, s[0:3], 0 offen offset:20
	;; [unrolled: 1-line block ×4, first 2 shown]
	v_perm_b32 v35, v37, v35, s16
	s_waitcnt vmcnt(3)
	v_cmp_ne_u16_sdwa s[6:7], v32, v31 src0_sel:BYTE_0 src1_sel:DWORD
	v_mfma_f32_16x16x16bf16_1k v[18:21], v[34:35], v[6:7], v[18:21]
	v_perm_b32 v35, v40, v39, s16
	v_perm_b32 v34, v38, v36, s16
	s_nop 1
	v_mfma_f32_16x16x16bf16_1k v[18:21], v[34:35], v[8:9], v[18:21]
	s_and_saveexec_b64 s[4:5], s[6:7]
	s_cbranch_execz .LBB914_117
; %bb.112:                              ;   in Loop: Header=BB914_15 Depth=1
	v_cmp_ne_u16_sdwa s[10:11], v32, s13 src0_sel:BYTE_0 src1_sel:DWORD
	v_mov_b32_e32 v23, 0xffff8000
	s_and_saveexec_b64 s[6:7], s[10:11]
	s_cbranch_execz .LBB914_116
; %bb.113:                              ;   in Loop: Header=BB914_15 Depth=1
	v_and_b32_e32 v34, 0x7f, v32
	v_cmp_ne_u32_e32 vcc, s14, v34
	v_mov_b32_e32 v23, 0x7f80
	s_and_saveexec_b64 s[10:11], vcc
	s_cbranch_execz .LBB914_115
; %bb.114:                              ;   in Loop: Header=BB914_15 Depth=1
	v_and_b32_e32 v23, 7, v32
	v_ffbh_u32_e32 v36, v23
	v_min_u32_e32 v38, 32, v36
	v_subrev_u32_e32 v36, 28, v38
	v_lshlrev_b64 v[36:37], v36, v[32:33]
	v_lshrrev_b32_e32 v35, 3, v34
	v_sub_u32_e32 v37, 29, v38
	v_and_b32_e32 v36, 7, v36
	v_cmp_gt_u32_e32 vcc, 8, v34
	v_cndmask_b32_e32 v34, v35, v37, vcc
	v_cndmask_b32_e32 v23, v23, v36, vcc
	v_lshlrev_b32_e32 v35, 24, v32
	v_lshlrev_b32_e32 v23, 20, v23
	v_and_b32_e32 v35, 0x80000000, v35
	v_lshl_add_u32 v34, v34, 23, v33
	v_or3_b32 v23, v35, v34, v23
	v_lshrrev_b32_e32 v23, 16, v23
.LBB914_115:                            ;   in Loop: Header=BB914_15 Depth=1
	s_or_b64 exec, exec, s[10:11]
.LBB914_116:                            ;   in Loop: Header=BB914_15 Depth=1
	s_or_b64 exec, exec, s[6:7]
.LBB914_117:                            ;   in Loop: Header=BB914_15 Depth=1
	s_or_b64 exec, exec, s[4:5]
	v_lshrrev_b16_e32 v34, 8, v32
	v_cmp_ne_u16_e32 vcc, 0, v34
	v_mov_b32_e32 v36, 0
	v_mov_b32_e32 v35, 0
	s_and_saveexec_b64 s[4:5], vcc
	s_cbranch_execz .LBB914_123
; %bb.118:                              ;   in Loop: Header=BB914_15 Depth=1
	v_cmp_ne_u16_e32 vcc, s13, v34
	v_mov_b32_e32 v35, 0xffff8000
	s_and_saveexec_b64 s[6:7], vcc
	s_cbranch_execz .LBB914_122
; %bb.119:                              ;   in Loop: Header=BB914_15 Depth=1
	v_and_b32_e32 v37, 0x7f, v34
	v_cmp_ne_u32_e32 vcc, s14, v37
	v_mov_b32_e32 v35, 0x7f80
	s_and_saveexec_b64 s[10:11], vcc
	s_cbranch_execz .LBB914_121
; %bb.120:                              ;   in Loop: Header=BB914_15 Depth=1
	v_and_b32_e32 v38, 7, v34
	v_ffbh_u32_e32 v35, v38
	v_min_u32_e32 v40, 32, v35
	v_subrev_u32_e32 v35, 28, v40
	v_lshlrev_b64 v[34:35], v35, v[34:35]
	v_lshrrev_b32_e32 v39, 3, v37
	v_sub_u32_e32 v35, 29, v40
	v_and_b32_e32 v34, 7, v34
	v_cmp_gt_u32_e32 vcc, 8, v37
	v_cndmask_b32_e32 v35, v39, v35, vcc
	v_cndmask_b32_e32 v34, v38, v34, vcc
	v_lshlrev_b32_e32 v37, 16, v32
	v_lshlrev_b32_e32 v34, 20, v34
	v_and_b32_e32 v37, 0x80000000, v37
	v_lshl_add_u32 v35, v35, 23, v33
	v_or3_b32 v34, v37, v35, v34
	v_lshrrev_b32_e32 v35, 16, v34
.LBB914_121:                            ;   in Loop: Header=BB914_15 Depth=1
	s_or_b64 exec, exec, s[10:11]
.LBB914_122:                            ;   in Loop: Header=BB914_15 Depth=1
	s_or_b64 exec, exec, s[6:7]
.LBB914_123:                            ;   in Loop: Header=BB914_15 Depth=1
	s_or_b64 exec, exec, s[4:5]
	v_lshrrev_b32_e32 v34, 16, v32
	v_cmp_ne_u16_sdwa s[6:7], v34, v31 src0_sel:BYTE_0 src1_sel:DWORD
	s_and_saveexec_b64 s[4:5], s[6:7]
	s_cbranch_execz .LBB914_129
; %bb.124:                              ;   in Loop: Header=BB914_15 Depth=1
	v_cmp_ne_u16_sdwa s[10:11], v34, s13 src0_sel:BYTE_0 src1_sel:DWORD
	v_mov_b32_e32 v36, 0xffff8000
	s_and_saveexec_b64 s[6:7], s[10:11]
	s_cbranch_execz .LBB914_128
; %bb.125:                              ;   in Loop: Header=BB914_15 Depth=1
	v_bfe_u32 v37, v32, 16, 7
	v_cmp_ne_u32_e32 vcc, s14, v37
	v_mov_b32_e32 v36, 0x7f80
	s_and_saveexec_b64 s[10:11], vcc
	s_cbranch_execz .LBB914_127
; %bb.126:                              ;   in Loop: Header=BB914_15 Depth=1
	v_and_b32_e32 v36, 7, v34
	v_ffbh_u32_e32 v38, v36
	v_min_u32_e32 v41, 32, v38
	v_subrev_u32_e32 v38, 28, v41
	v_lshlrev_b64 v[38:39], v38, v[34:35]
	v_lshrrev_b32_e32 v40, 3, v37
	v_sub_u32_e32 v39, 29, v41
	v_and_b32_e32 v38, 7, v38
	v_cmp_gt_u32_e32 vcc, 8, v37
	v_cndmask_b32_e32 v37, v40, v39, vcc
	v_cndmask_b32_e32 v36, v36, v38, vcc
	v_lshlrev_b32_e32 v34, 24, v34
	v_lshlrev_b32_e32 v36, 20, v36
	v_and_b32_e32 v34, 0x80000000, v34
	v_lshl_add_u32 v37, v37, 23, v33
	v_or3_b32 v34, v34, v37, v36
	v_lshrrev_b32_e32 v36, 16, v34
.LBB914_127:                            ;   in Loop: Header=BB914_15 Depth=1
	s_or_b64 exec, exec, s[10:11]
.LBB914_128:                            ;   in Loop: Header=BB914_15 Depth=1
	s_or_b64 exec, exec, s[6:7]
.LBB914_129:                            ;   in Loop: Header=BB914_15 Depth=1
	s_or_b64 exec, exec, s[4:5]
	v_cmp_lt_u32_e32 vcc, s15, v32
	v_mov_b32_e32 v37, 0
	v_mov_b32_e32 v38, 0
	s_and_saveexec_b64 s[4:5], vcc
	s_cbranch_execz .LBB914_135
; %bb.130:                              ;   in Loop: Header=BB914_15 Depth=1
	v_lshrrev_b32_e32 v34, 24, v32
	v_cmp_ne_u32_e32 vcc, s13, v34
	v_mov_b32_e32 v38, 0xffff8000
	s_and_saveexec_b64 s[6:7], vcc
	s_cbranch_execz .LBB914_134
; %bb.131:                              ;   in Loop: Header=BB914_15 Depth=1
	v_bfe_u32 v32, v32, 24, 7
	v_cmp_ne_u32_e32 vcc, s14, v32
	v_mov_b32_e32 v38, 0x7f80
	s_and_saveexec_b64 s[10:11], vcc
	s_cbranch_execz .LBB914_133
; %bb.132:                              ;   in Loop: Header=BB914_15 Depth=1
	v_and_b32_e32 v40, 7, v34
	v_ffbh_u32_e32 v38, v40
	v_min_u32_e32 v44, 32, v38
	v_subrev_u32_e32 v38, 28, v44
	v_lshlrev_b64 v[38:39], v38, v[34:35]
	v_lshrrev_b32_e32 v41, 3, v32
	v_sub_u32_e32 v39, 29, v44
	v_and_b32_e32 v38, 7, v38
	v_cmp_gt_u32_e32 vcc, 8, v32
	v_cndmask_b32_e32 v32, v41, v39, vcc
	v_cndmask_b32_e32 v38, v40, v38, vcc
	v_lshlrev_b32_e32 v34, 24, v34
	v_lshlrev_b32_e32 v38, 20, v38
	v_and_b32_e32 v34, 0x80000000, v34
	v_lshl_add_u32 v32, v32, 23, v33
	v_or3_b32 v32, v34, v32, v38
	v_lshrrev_b32_e32 v38, 16, v32
.LBB914_133:                            ;   in Loop: Header=BB914_15 Depth=1
	s_or_b64 exec, exec, s[10:11]
.LBB914_134:                            ;   in Loop: Header=BB914_15 Depth=1
	s_or_b64 exec, exec, s[6:7]
.LBB914_135:                            ;   in Loop: Header=BB914_15 Depth=1
	s_or_b64 exec, exec, s[4:5]
	s_waitcnt vmcnt(2)
	v_cmp_ne_u16_sdwa s[6:7], v30, v31 src0_sel:BYTE_0 src1_sel:DWORD
	s_and_saveexec_b64 s[4:5], s[6:7]
	s_cbranch_execz .LBB914_141
; %bb.136:                              ;   in Loop: Header=BB914_15 Depth=1
	v_cmp_ne_u16_sdwa s[10:11], v30, s13 src0_sel:BYTE_0 src1_sel:DWORD
	v_mov_b32_e32 v37, 0xffff8000
	s_and_saveexec_b64 s[6:7], s[10:11]
	s_cbranch_execz .LBB914_140
; %bb.137:                              ;   in Loop: Header=BB914_15 Depth=1
	v_and_b32_e32 v32, 0x7f, v30
	v_cmp_ne_u32_e32 vcc, s14, v32
	v_mov_b32_e32 v37, 0x7f80
	s_and_saveexec_b64 s[10:11], vcc
	s_cbranch_execz .LBB914_139
; %bb.138:                              ;   in Loop: Header=BB914_15 Depth=1
	v_and_b32_e32 v34, 7, v30
	v_ffbh_u32_e32 v39, v34
	v_min_u32_e32 v39, 32, v39
	v_subrev_u32_e32 v40, 28, v39
	v_lshlrev_b64 v[40:41], v40, v[30:31]
	v_lshrrev_b32_e32 v37, 3, v32
	v_sub_u32_e32 v39, 29, v39
	v_and_b32_e32 v40, 7, v40
	v_cmp_gt_u32_e32 vcc, 8, v32
	v_cndmask_b32_e32 v32, v37, v39, vcc
	v_cndmask_b32_e32 v34, v34, v40, vcc
	v_lshlrev_b32_e32 v37, 24, v30
	v_lshlrev_b32_e32 v34, 20, v34
	v_and_b32_e32 v37, 0x80000000, v37
	v_lshl_add_u32 v32, v32, 23, v33
	v_or3_b32 v32, v37, v32, v34
	v_lshrrev_b32_e32 v37, 16, v32
.LBB914_139:                            ;   in Loop: Header=BB914_15 Depth=1
	s_or_b64 exec, exec, s[10:11]
.LBB914_140:                            ;   in Loop: Header=BB914_15 Depth=1
	s_or_b64 exec, exec, s[6:7]
.LBB914_141:                            ;   in Loop: Header=BB914_15 Depth=1
	s_or_b64 exec, exec, s[4:5]
	v_lshrrev_b16_e32 v32, 8, v30
	v_cmp_ne_u16_e32 vcc, 0, v32
	v_mov_b32_e32 v40, 0
	v_mov_b32_e32 v39, 0
	s_and_saveexec_b64 s[4:5], vcc
	s_cbranch_execz .LBB914_147
; %bb.142:                              ;   in Loop: Header=BB914_15 Depth=1
	v_cmp_ne_u16_e32 vcc, s13, v32
	v_mov_b32_e32 v39, 0xffff8000
	s_and_saveexec_b64 s[6:7], vcc
	s_cbranch_execz .LBB914_146
; %bb.143:                              ;   in Loop: Header=BB914_15 Depth=1
	v_and_b32_e32 v34, 0x7f, v32
	v_cmp_ne_u32_e32 vcc, s14, v34
	v_mov_b32_e32 v39, 0x7f80
	s_and_saveexec_b64 s[10:11], vcc
	s_cbranch_execz .LBB914_145
; %bb.144:                              ;   in Loop: Header=BB914_15 Depth=1
	v_and_b32_e32 v39, 7, v32
	v_ffbh_u32_e32 v44, v39
	v_min_u32_e32 v44, 32, v44
	v_subrev_u32_e32 v46, 28, v44
	v_lshlrev_b64 v[46:47], v46, v[32:33]
	v_lshrrev_b32_e32 v41, 3, v34
	v_sub_u32_e32 v32, 29, v44
	v_and_b32_e32 v44, 7, v46
	v_cmp_gt_u32_e32 vcc, 8, v34
	v_cndmask_b32_e32 v32, v41, v32, vcc
	v_cndmask_b32_e32 v34, v39, v44, vcc
	v_lshlrev_b32_e32 v39, 16, v30
	v_lshlrev_b32_e32 v34, 20, v34
	v_and_b32_e32 v39, 0x80000000, v39
	v_lshl_add_u32 v32, v32, 23, v33
	v_or3_b32 v32, v39, v32, v34
	v_lshrrev_b32_e32 v39, 16, v32
.LBB914_145:                            ;   in Loop: Header=BB914_15 Depth=1
	s_or_b64 exec, exec, s[10:11]
.LBB914_146:                            ;   in Loop: Header=BB914_15 Depth=1
	s_or_b64 exec, exec, s[6:7]
.LBB914_147:                            ;   in Loop: Header=BB914_15 Depth=1
	s_or_b64 exec, exec, s[4:5]
	v_lshrrev_b32_e32 v32, 16, v30
	v_cmp_ne_u16_sdwa s[6:7], v32, v31 src0_sel:BYTE_0 src1_sel:DWORD
	s_and_saveexec_b64 s[4:5], s[6:7]
	s_cbranch_execz .LBB914_153
; %bb.148:                              ;   in Loop: Header=BB914_15 Depth=1
	v_cmp_ne_u16_sdwa s[10:11], v32, s13 src0_sel:BYTE_0 src1_sel:DWORD
	v_mov_b32_e32 v40, 0xffff8000
	s_and_saveexec_b64 s[6:7], s[10:11]
	s_cbranch_execz .LBB914_152
; %bb.149:                              ;   in Loop: Header=BB914_15 Depth=1
	v_bfe_u32 v34, v30, 16, 7
	v_cmp_ne_u32_e32 vcc, s14, v34
	v_mov_b32_e32 v40, 0x7f80
	s_and_saveexec_b64 s[10:11], vcc
	s_cbranch_execz .LBB914_151
; %bb.150:                              ;   in Loop: Header=BB914_15 Depth=1
	v_and_b32_e32 v44, 7, v32
	v_ffbh_u32_e32 v40, v44
	v_min_u32_e32 v47, 32, v40
	v_subrev_u32_e32 v40, 28, v47
	v_lshlrev_b64 v[40:41], v40, v[32:33]
	v_lshrrev_b32_e32 v46, 3, v34
	v_sub_u32_e32 v41, 29, v47
	v_and_b32_e32 v40, 7, v40
	v_cmp_gt_u32_e32 vcc, 8, v34
	v_cndmask_b32_e32 v34, v46, v41, vcc
	v_cndmask_b32_e32 v40, v44, v40, vcc
	v_lshlrev_b32_e32 v32, 24, v32
	v_lshlrev_b32_e32 v40, 20, v40
	v_and_b32_e32 v32, 0x80000000, v32
	v_lshl_add_u32 v34, v34, 23, v33
	v_or3_b32 v32, v32, v34, v40
	v_lshrrev_b32_e32 v40, 16, v32
.LBB914_151:                            ;   in Loop: Header=BB914_15 Depth=1
	s_or_b64 exec, exec, s[10:11]
.LBB914_152:                            ;   in Loop: Header=BB914_15 Depth=1
	s_or_b64 exec, exec, s[6:7]
.LBB914_153:                            ;   in Loop: Header=BB914_15 Depth=1
	s_or_b64 exec, exec, s[4:5]
	v_cmp_lt_u32_e32 vcc, s15, v30
	v_mov_b32_e32 v34, 0
	v_mov_b32_e32 v41, 0
	s_and_saveexec_b64 s[4:5], vcc
	s_cbranch_execz .LBB914_159
; %bb.154:                              ;   in Loop: Header=BB914_15 Depth=1
	v_lshrrev_b32_e32 v32, 24, v30
	v_cmp_ne_u32_e32 vcc, s13, v32
	v_mov_b32_e32 v41, 0xffff8000
	s_and_saveexec_b64 s[6:7], vcc
	s_cbranch_execz .LBB914_158
; %bb.155:                              ;   in Loop: Header=BB914_15 Depth=1
	v_bfe_u32 v30, v30, 24, 7
	v_cmp_ne_u32_e32 vcc, s14, v30
	v_mov_b32_e32 v41, 0x7f80
	s_and_saveexec_b64 s[10:11], vcc
	s_cbranch_execz .LBB914_157
; %bb.156:                              ;   in Loop: Header=BB914_15 Depth=1
	v_and_b32_e32 v41, 7, v32
	v_ffbh_u32_e32 v46, v41
	v_min_u32_e32 v48, 32, v46
	v_subrev_u32_e32 v46, 28, v48
	v_lshlrev_b64 v[46:47], v46, v[32:33]
	v_lshrrev_b32_e32 v44, 3, v30
	v_sub_u32_e32 v47, 29, v48
	v_and_b32_e32 v46, 7, v46
	v_cmp_gt_u32_e32 vcc, 8, v30
	v_cndmask_b32_e32 v30, v44, v47, vcc
	v_cndmask_b32_e32 v41, v41, v46, vcc
	v_lshlrev_b32_e32 v32, 24, v32
	v_lshlrev_b32_e32 v41, 20, v41
	v_and_b32_e32 v32, 0x80000000, v32
	v_lshl_add_u32 v30, v30, 23, v33
	v_or3_b32 v30, v32, v30, v41
	v_lshrrev_b32_e32 v41, 16, v30
.LBB914_157:                            ;   in Loop: Header=BB914_15 Depth=1
	s_or_b64 exec, exec, s[10:11]
.LBB914_158:                            ;   in Loop: Header=BB914_15 Depth=1
	s_or_b64 exec, exec, s[6:7]
.LBB914_159:                            ;   in Loop: Header=BB914_15 Depth=1
	s_or_b64 exec, exec, s[4:5]
	v_perm_b32 v47, v38, v36, s16
	v_perm_b32 v46, v35, v23, s16
	;; [unrolled: 1-line block ×4, first 2 shown]
	s_waitcnt vmcnt(1)
	v_cmp_ne_u16_sdwa s[6:7], v28, v31 src0_sel:BYTE_0 src1_sel:DWORD
	v_mfma_f32_16x16x16bf16_1k v[18:21], v[46:47], v[10:11], v[18:21]
	v_mfma_f32_16x16x16bf16_1k v[18:21], v[40:41], v[12:13], v[18:21]
	s_and_saveexec_b64 s[4:5], s[6:7]
	s_cbranch_execz .LBB914_165
; %bb.160:                              ;   in Loop: Header=BB914_15 Depth=1
	v_cmp_ne_u16_sdwa s[10:11], v28, s13 src0_sel:BYTE_0 src1_sel:DWORD
	v_mov_b32_e32 v34, 0xffff8000
	s_and_saveexec_b64 s[6:7], s[10:11]
	s_cbranch_execz .LBB914_164
; %bb.161:                              ;   in Loop: Header=BB914_15 Depth=1
	v_and_b32_e32 v23, 0x7f, v28
	v_cmp_ne_u32_e32 vcc, s14, v23
	v_mov_b32_e32 v34, 0x7f80
	s_and_saveexec_b64 s[10:11], vcc
	s_cbranch_execz .LBB914_163
; %bb.162:                              ;   in Loop: Header=BB914_15 Depth=1
	v_and_b32_e32 v30, 7, v28
	v_ffbh_u32_e32 v34, v30
	v_min_u32_e32 v36, 32, v34
	v_subrev_u32_e32 v34, 28, v36
	v_lshlrev_b64 v[34:35], v34, v[28:29]
	v_lshrrev_b32_e32 v32, 3, v23
	v_sub_u32_e32 v35, 29, v36
	v_and_b32_e32 v34, 7, v34
	v_cmp_gt_u32_e32 vcc, 8, v23
	v_cndmask_b32_e32 v23, v32, v35, vcc
	v_cndmask_b32_e32 v30, v30, v34, vcc
	v_lshlrev_b32_e32 v32, 24, v28
	v_lshlrev_b32_e32 v30, 20, v30
	v_and_b32_e32 v32, 0x80000000, v32
	v_lshl_add_u32 v23, v23, 23, v33
	v_or3_b32 v23, v32, v23, v30
	v_lshrrev_b32_e32 v34, 16, v23
.LBB914_163:                            ;   in Loop: Header=BB914_15 Depth=1
	s_or_b64 exec, exec, s[10:11]
.LBB914_164:                            ;   in Loop: Header=BB914_15 Depth=1
	s_or_b64 exec, exec, s[6:7]
.LBB914_165:                            ;   in Loop: Header=BB914_15 Depth=1
	s_or_b64 exec, exec, s[4:5]
	v_lshrrev_b16_e32 v30, 8, v28
	v_cmp_ne_u16_e32 vcc, 0, v30
	v_mov_b32_e32 v32, 0
	v_mov_b32_e32 v23, 0
	s_and_saveexec_b64 s[4:5], vcc
	s_cbranch_execz .LBB914_171
; %bb.166:                              ;   in Loop: Header=BB914_15 Depth=1
	v_cmp_ne_u16_e32 vcc, s13, v30
	v_mov_b32_e32 v23, 0xffff8000
	s_and_saveexec_b64 s[6:7], vcc
	s_cbranch_execz .LBB914_170
; %bb.167:                              ;   in Loop: Header=BB914_15 Depth=1
	v_and_b32_e32 v35, 0x7f, v30
	v_cmp_ne_u32_e32 vcc, s14, v35
	v_mov_b32_e32 v23, 0x7f80
	s_and_saveexec_b64 s[10:11], vcc
	s_cbranch_execz .LBB914_169
; %bb.168:                              ;   in Loop: Header=BB914_15 Depth=1
	v_and_b32_e32 v23, 7, v30
	v_ffbh_u32_e32 v36, v23
	v_min_u32_e32 v39, 32, v36
	v_subrev_u32_e32 v36, 28, v39
	v_lshlrev_b64 v[36:37], v36, v[30:31]
	v_lshrrev_b32_e32 v38, 3, v35
	v_sub_u32_e32 v30, 29, v39
	v_and_b32_e32 v36, 7, v36
	v_cmp_gt_u32_e32 vcc, 8, v35
	v_cndmask_b32_e32 v30, v38, v30, vcc
	v_cndmask_b32_e32 v23, v23, v36, vcc
	v_lshlrev_b32_e32 v35, 16, v28
	v_lshlrev_b32_e32 v23, 20, v23
	v_and_b32_e32 v35, 0x80000000, v35
	v_lshl_add_u32 v30, v30, 23, v33
	v_or3_b32 v23, v35, v30, v23
	v_lshrrev_b32_e32 v23, 16, v23
.LBB914_169:                            ;   in Loop: Header=BB914_15 Depth=1
	s_or_b64 exec, exec, s[10:11]
.LBB914_170:                            ;   in Loop: Header=BB914_15 Depth=1
	s_or_b64 exec, exec, s[6:7]
.LBB914_171:                            ;   in Loop: Header=BB914_15 Depth=1
	s_or_b64 exec, exec, s[4:5]
	v_lshrrev_b32_e32 v30, 16, v28
	v_cmp_ne_u16_sdwa s[6:7], v30, v31 src0_sel:BYTE_0 src1_sel:DWORD
	s_and_saveexec_b64 s[4:5], s[6:7]
	s_cbranch_execz .LBB914_177
; %bb.172:                              ;   in Loop: Header=BB914_15 Depth=1
	v_cmp_ne_u16_sdwa s[10:11], v30, s13 src0_sel:BYTE_0 src1_sel:DWORD
	v_mov_b32_e32 v32, 0xffff8000
	s_and_saveexec_b64 s[6:7], s[10:11]
	s_cbranch_execz .LBB914_176
; %bb.173:                              ;   in Loop: Header=BB914_15 Depth=1
	v_bfe_u32 v35, v28, 16, 7
	v_cmp_ne_u32_e32 vcc, s14, v35
	v_mov_b32_e32 v32, 0x7f80
	s_and_saveexec_b64 s[10:11], vcc
	s_cbranch_execz .LBB914_175
; %bb.174:                              ;   in Loop: Header=BB914_15 Depth=1
	v_and_b32_e32 v32, 7, v30
	v_ffbh_u32_e32 v36, v32
	v_min_u32_e32 v39, 32, v36
	v_subrev_u32_e32 v36, 28, v39
	v_lshlrev_b64 v[36:37], v36, v[30:31]
	v_lshrrev_b32_e32 v38, 3, v35
	v_sub_u32_e32 v37, 29, v39
	v_and_b32_e32 v36, 7, v36
	v_cmp_gt_u32_e32 vcc, 8, v35
	v_cndmask_b32_e32 v35, v38, v37, vcc
	v_cndmask_b32_e32 v32, v32, v36, vcc
	v_lshlrev_b32_e32 v30, 24, v30
	v_lshlrev_b32_e32 v32, 20, v32
	v_and_b32_e32 v30, 0x80000000, v30
	v_lshl_add_u32 v35, v35, 23, v33
	v_or3_b32 v30, v30, v35, v32
	v_lshrrev_b32_e32 v32, 16, v30
.LBB914_175:                            ;   in Loop: Header=BB914_15 Depth=1
	s_or_b64 exec, exec, s[10:11]
.LBB914_176:                            ;   in Loop: Header=BB914_15 Depth=1
	s_or_b64 exec, exec, s[6:7]
.LBB914_177:                            ;   in Loop: Header=BB914_15 Depth=1
	s_or_b64 exec, exec, s[4:5]
	v_cmp_lt_u32_e32 vcc, s15, v28
	v_mov_b32_e32 v35, 0
	v_mov_b32_e32 v36, 0
	s_and_saveexec_b64 s[4:5], vcc
	s_cbranch_execz .LBB914_183
; %bb.178:                              ;   in Loop: Header=BB914_15 Depth=1
	v_lshrrev_b32_e32 v30, 24, v28
	v_cmp_ne_u32_e32 vcc, s13, v30
	v_mov_b32_e32 v36, 0xffff8000
	s_and_saveexec_b64 s[6:7], vcc
	s_cbranch_execz .LBB914_182
; %bb.179:                              ;   in Loop: Header=BB914_15 Depth=1
	v_bfe_u32 v28, v28, 24, 7
	v_cmp_ne_u32_e32 vcc, s14, v28
	v_mov_b32_e32 v36, 0x7f80
	s_and_saveexec_b64 s[10:11], vcc
	s_cbranch_execz .LBB914_181
; %bb.180:                              ;   in Loop: Header=BB914_15 Depth=1
	v_and_b32_e32 v38, 7, v30
	v_ffbh_u32_e32 v36, v38
	v_min_u32_e32 v40, 32, v36
	v_subrev_u32_e32 v36, 28, v40
	v_lshlrev_b64 v[36:37], v36, v[30:31]
	v_lshrrev_b32_e32 v39, 3, v28
	v_sub_u32_e32 v37, 29, v40
	v_and_b32_e32 v36, 7, v36
	v_cmp_gt_u32_e32 vcc, 8, v28
	v_cndmask_b32_e32 v28, v39, v37, vcc
	v_cndmask_b32_e32 v36, v38, v36, vcc
	v_lshlrev_b32_e32 v30, 24, v30
	v_lshlrev_b32_e32 v36, 20, v36
	v_and_b32_e32 v30, 0x80000000, v30
	v_lshl_add_u32 v28, v28, 23, v33
	v_or3_b32 v28, v30, v28, v36
	v_lshrrev_b32_e32 v36, 16, v28
.LBB914_181:                            ;   in Loop: Header=BB914_15 Depth=1
	s_or_b64 exec, exec, s[10:11]
.LBB914_182:                            ;   in Loop: Header=BB914_15 Depth=1
	s_or_b64 exec, exec, s[6:7]
.LBB914_183:                            ;   in Loop: Header=BB914_15 Depth=1
	s_or_b64 exec, exec, s[4:5]
	s_waitcnt vmcnt(0)
	v_cmp_ne_u16_sdwa s[6:7], v26, v31 src0_sel:BYTE_0 src1_sel:DWORD
	s_and_saveexec_b64 s[4:5], s[6:7]
	s_cbranch_execz .LBB914_189
; %bb.184:                              ;   in Loop: Header=BB914_15 Depth=1
	v_cmp_ne_u16_sdwa s[10:11], v26, s13 src0_sel:BYTE_0 src1_sel:DWORD
	v_mov_b32_e32 v35, 0xffff8000
	s_and_saveexec_b64 s[6:7], s[10:11]
	s_cbranch_execz .LBB914_188
; %bb.185:                              ;   in Loop: Header=BB914_15 Depth=1
	v_and_b32_e32 v28, 0x7f, v26
	v_cmp_ne_u32_e32 vcc, s14, v28
	v_mov_b32_e32 v35, 0x7f80
	s_and_saveexec_b64 s[10:11], vcc
	s_cbranch_execz .LBB914_187
; %bb.186:                              ;   in Loop: Header=BB914_15 Depth=1
	v_and_b32_e32 v30, 7, v26
	v_ffbh_u32_e32 v37, v30
	v_min_u32_e32 v37, 32, v37
	v_subrev_u32_e32 v38, 28, v37
	v_lshlrev_b64 v[38:39], v38, v[26:27]
	v_lshrrev_b32_e32 v35, 3, v28
	v_sub_u32_e32 v37, 29, v37
	v_and_b32_e32 v38, 7, v38
	v_cmp_gt_u32_e32 vcc, 8, v28
	v_cndmask_b32_e32 v28, v35, v37, vcc
	v_cndmask_b32_e32 v30, v30, v38, vcc
	v_lshlrev_b32_e32 v35, 24, v26
	v_lshlrev_b32_e32 v30, 20, v30
	v_and_b32_e32 v35, 0x80000000, v35
	v_lshl_add_u32 v28, v28, 23, v33
	v_or3_b32 v28, v35, v28, v30
	v_lshrrev_b32_e32 v35, 16, v28
.LBB914_187:                            ;   in Loop: Header=BB914_15 Depth=1
	s_or_b64 exec, exec, s[10:11]
.LBB914_188:                            ;   in Loop: Header=BB914_15 Depth=1
	s_or_b64 exec, exec, s[6:7]
.LBB914_189:                            ;   in Loop: Header=BB914_15 Depth=1
	s_or_b64 exec, exec, s[4:5]
	v_lshrrev_b16_e32 v28, 8, v26
	v_cmp_ne_u16_e32 vcc, 0, v28
	v_mov_b32_e32 v37, 0
	v_mov_b32_e32 v30, 0
	s_and_saveexec_b64 s[4:5], vcc
	s_cbranch_execz .LBB914_195
; %bb.190:                              ;   in Loop: Header=BB914_15 Depth=1
	v_cmp_ne_u16_e32 vcc, s13, v28
	v_mov_b32_e32 v30, 0xffff8000
	s_and_saveexec_b64 s[6:7], vcc
	s_cbranch_execz .LBB914_194
; %bb.191:                              ;   in Loop: Header=BB914_15 Depth=1
	v_and_b32_e32 v38, 0x7f, v28
	v_cmp_ne_u32_e32 vcc, s14, v38
	v_mov_b32_e32 v30, 0x7f80
	s_and_saveexec_b64 s[10:11], vcc
	s_cbranch_execz .LBB914_193
; %bb.192:                              ;   in Loop: Header=BB914_15 Depth=1
	v_and_b32_e32 v30, 7, v28
	v_ffbh_u32_e32 v40, v30
	v_min_u32_e32 v44, 32, v40
	v_subrev_u32_e32 v40, 28, v44
	v_lshlrev_b64 v[40:41], v40, v[28:29]
	v_lshrrev_b32_e32 v39, 3, v38
	v_sub_u32_e32 v28, 29, v44
	v_and_b32_e32 v40, 7, v40
	v_cmp_gt_u32_e32 vcc, 8, v38
	v_cndmask_b32_e32 v28, v39, v28, vcc
	v_cndmask_b32_e32 v30, v30, v40, vcc
	v_lshlrev_b32_e32 v38, 16, v26
	v_lshlrev_b32_e32 v30, 20, v30
	v_and_b32_e32 v38, 0x80000000, v38
	v_lshl_add_u32 v28, v28, 23, v33
	v_or3_b32 v28, v38, v28, v30
	v_lshrrev_b32_e32 v30, 16, v28
.LBB914_193:                            ;   in Loop: Header=BB914_15 Depth=1
	s_or_b64 exec, exec, s[10:11]
.LBB914_194:                            ;   in Loop: Header=BB914_15 Depth=1
	s_or_b64 exec, exec, s[6:7]
.LBB914_195:                            ;   in Loop: Header=BB914_15 Depth=1
	s_or_b64 exec, exec, s[4:5]
	v_lshrrev_b32_e32 v28, 16, v26
	v_cmp_ne_u16_sdwa s[6:7], v28, v31 src0_sel:BYTE_0 src1_sel:DWORD
	s_and_saveexec_b64 s[4:5], s[6:7]
	s_cbranch_execz .LBB914_201
; %bb.196:                              ;   in Loop: Header=BB914_15 Depth=1
	v_cmp_ne_u16_sdwa s[10:11], v28, s13 src0_sel:BYTE_0 src1_sel:DWORD
	v_mov_b32_e32 v37, 0xffff8000
	s_and_saveexec_b64 s[6:7], s[10:11]
	s_cbranch_execz .LBB914_200
; %bb.197:                              ;   in Loop: Header=BB914_15 Depth=1
	v_bfe_u32 v38, v26, 16, 7
	v_cmp_ne_u32_e32 vcc, s14, v38
	v_mov_b32_e32 v37, 0x7f80
	s_and_saveexec_b64 s[10:11], vcc
	s_cbranch_execz .LBB914_199
; %bb.198:                              ;   in Loop: Header=BB914_15 Depth=1
	v_and_b32_e32 v37, 7, v28
	v_ffbh_u32_e32 v40, v37
	v_min_u32_e32 v44, 32, v40
	v_subrev_u32_e32 v40, 28, v44
	v_lshlrev_b64 v[40:41], v40, v[28:29]
	v_lshrrev_b32_e32 v39, 3, v38
	v_sub_u32_e32 v41, 29, v44
	v_and_b32_e32 v40, 7, v40
	v_cmp_gt_u32_e32 vcc, 8, v38
	v_cndmask_b32_e32 v38, v39, v41, vcc
	v_cndmask_b32_e32 v37, v37, v40, vcc
	v_lshlrev_b32_e32 v28, 24, v28
	v_lshlrev_b32_e32 v37, 20, v37
	v_and_b32_e32 v28, 0x80000000, v28
	v_lshl_add_u32 v38, v38, 23, v33
	v_or3_b32 v28, v28, v38, v37
	v_lshrrev_b32_e32 v37, 16, v28
.LBB914_199:                            ;   in Loop: Header=BB914_15 Depth=1
	s_or_b64 exec, exec, s[10:11]
.LBB914_200:                            ;   in Loop: Header=BB914_15 Depth=1
	s_or_b64 exec, exec, s[6:7]
.LBB914_201:                            ;   in Loop: Header=BB914_15 Depth=1
	s_or_b64 exec, exec, s[4:5]
	v_cmp_lt_u32_e32 vcc, s15, v26
	v_mov_b32_e32 v38, 0
	s_and_saveexec_b64 s[4:5], vcc
	s_cbranch_execz .LBB914_14
; %bb.202:                              ;   in Loop: Header=BB914_15 Depth=1
	v_lshrrev_b32_e32 v28, 24, v26
	v_cmp_ne_u32_e32 vcc, s13, v28
	v_mov_b32_e32 v38, 0xffff8000
	s_and_saveexec_b64 s[6:7], vcc
	s_cbranch_execz .LBB914_13
; %bb.203:                              ;   in Loop: Header=BB914_15 Depth=1
	v_bfe_u32 v26, v26, 24, 7
	v_cmp_ne_u32_e32 vcc, s14, v26
	v_mov_b32_e32 v38, 0x7f80
	s_and_saveexec_b64 s[10:11], vcc
	s_cbranch_execz .LBB914_12
; %bb.204:                              ;   in Loop: Header=BB914_15 Depth=1
	v_and_b32_e32 v40, 7, v28
	v_ffbh_u32_e32 v38, v40
	v_min_u32_e32 v44, 32, v38
	v_subrev_u32_e32 v38, 28, v44
	v_lshlrev_b64 v[38:39], v38, v[28:29]
	v_lshrrev_b32_e32 v41, 3, v26
	v_sub_u32_e32 v39, 29, v44
	v_and_b32_e32 v38, 7, v38
	v_cmp_gt_u32_e32 vcc, 8, v26
	v_cndmask_b32_e32 v26, v41, v39, vcc
	v_cndmask_b32_e32 v38, v40, v38, vcc
	v_lshlrev_b32_e32 v28, 24, v28
	v_lshlrev_b32_e32 v38, 20, v38
	v_and_b32_e32 v28, 0x80000000, v28
	v_lshl_add_u32 v26, v26, 23, v33
	v_or3_b32 v26, v28, v26, v38
	v_lshrrev_b32_e32 v38, 16, v26
	s_branch .LBB914_12
.LBB914_205:
	buffer_load_dword v13, off, s[0:3], 0 offset:256
	buffer_load_dword v14, off, s[0:3], 0 offset:260
	;; [unrolled: 1-line block ×16, first 2 shown]
	v_and_b32_e32 v12, 0xc0, v0
	v_add_u32_e32 v12, s20, v12
	v_lshl_or_b32 v12, v1, 2, v12
	v_or_b32_e32 v23, 1, v12
	v_mov_b32_e32 v19, 0xff7fffff
	v_or_b32_e32 v24, 2, v12
	v_or_b32_e32 v25, 3, v12
	v_cmp_gt_i32_e64 s[26:27], s33, v12
	v_cmp_gt_i32_e64 s[28:29], s33, v23
	s_mov_b32 s52, 0xff7fffff
	v_or_b32_e32 v26, 16, v12
	v_or_b32_e32 v27, 17, v12
	;; [unrolled: 1-line block ×12, first 2 shown]
	v_cmp_gt_i32_e64 s[30:31], s33, v24
	v_cmp_gt_i32_e64 s[34:35], s33, v25
	v_mbcnt_lo_u32_b32 v20, -1, 0
	v_cmp_gt_i32_e64 s[36:37], s33, v26
	v_cmp_gt_i32_e64 s[38:39], s33, v27
	v_mbcnt_hi_u32_b32 v20, -1, v20
	v_cmp_gt_i32_e64 s[20:21], s33, v28
	v_cmp_gt_i32_e64 s[22:23], s33, v29
	v_and_b32_e32 v21, 64, v20
	v_cmp_gt_i32_e64 s[16:17], s33, v30
	v_cmp_gt_i32_e64 s[18:19], s33, v31
	v_xor_b32_e32 v22, 32, v20
	v_add_u32_e32 v21, 64, v21
	v_cmp_gt_i32_e64 s[12:13], s33, v32
	v_cmp_gt_i32_e64 s[14:15], s33, v33
	v_cmp_lt_i32_e32 vcc, v22, v21
	v_cmp_gt_i32_e64 s[6:7], s33, v34
	v_cmp_gt_i32_e64 s[10:11], s33, v35
	v_cndmask_b32_e32 v22, v20, v22, vcc
	v_cmp_gt_i32_e32 vcc, s33, v36
	v_cmp_gt_i32_e64 s[4:5], s33, v37
	v_lshlrev_b32_e32 v22, 2, v22
	s_waitcnt vmcnt(15)
	v_cndmask_b32_e64 v12, v19, v13, s[26:27]
	s_waitcnt vmcnt(14)
	v_cndmask_b32_e64 v23, v19, v14, s[28:29]
	;; [unrolled: 2-line block ×4, first 2 shown]
	v_max3_f32 v12, v12, s52, v23
	s_waitcnt vmcnt(11)
	v_cndmask_b32_e64 v26, v19, v17, s[36:37]
	s_waitcnt vmcnt(10)
	v_cndmask_b32_e64 v27, v19, v18, s[38:39]
	v_max3_f32 v12, v12, v24, v25
	s_waitcnt vmcnt(9)
	v_cndmask_b32_e64 v28, v19, v11, s[20:21]
	s_waitcnt vmcnt(8)
	v_cndmask_b32_e64 v29, v19, v10, s[22:23]
	;; [unrolled: 5-line block ×5, first 2 shown]
	v_max3_f32 v12, v12, v32, v33
	s_waitcnt vmcnt(1)
	v_cndmask_b32_e32 v36, v19, v3, vcc
	s_waitcnt vmcnt(0)
	v_cndmask_b32_e64 v19, v19, v2, s[4:5]
	v_max3_f32 v12, v12, v34, v35
	v_max3_f32 v12, v12, v36, v19
	ds_bpermute_b32 v19, v22, v12
	v_xor_b32_e32 v23, 16, v20
	v_cmp_lt_i32_e64 s[40:41], v23, v21
	v_cndmask_b32_e64 v20, v20, v23, s[40:41]
	v_lshlrev_b32_e32 v20, 2, v20
	s_waitcnt lgkmcnt(0)
	v_max_f32_e32 v19, v19, v19
	v_max_f32_e32 v12, v12, v19
	ds_bpermute_b32 v19, v20, v12
	s_waitcnt lgkmcnt(0)
	v_max_f32_e32 v19, v19, v19
	v_max_f32_e32 v12, v12, v19
	v_sub_f32_e32 v13, v13, v12
	v_sub_f32_e32 v14, v14, v12
	;; [unrolled: 1-line block ×3, first 2 shown]
	v_mul_f32_e32 v13, 0x3fb8aa3b, v13
	v_mul_f32_e32 v14, 0x3fb8aa3b, v14
	;; [unrolled: 1-line block ×3, first 2 shown]
	v_exp_f32_e32 v13, v13
	v_exp_f32_e32 v14, v14
	;; [unrolled: 1-line block ×3, first 2 shown]
	v_sub_f32_e32 v16, v16, v12
	v_cndmask_b32_e64 v13, 0, v13, s[26:27]
	v_mul_f32_e32 v16, 0x3fb8aa3b, v16
	v_cndmask_b32_e64 v14, 0, v14, s[28:29]
	v_cndmask_b32_e64 v15, 0, v15, s[30:31]
	v_add_f32_e32 v19, 0, v13
	buffer_store_dword v13, off, s[0:3], 0 offset:256
	buffer_store_dword v14, off, s[0:3], 0 offset:260
	;; [unrolled: 1-line block ×3, first 2 shown]
	v_sub_f32_e32 v13, v17, v12
	v_exp_f32_e32 v16, v16
	v_add_f32_e32 v19, v19, v14
	v_mul_f32_e32 v13, 0x3fb8aa3b, v13
	v_sub_f32_e32 v14, v18, v12
	v_exp_f32_e32 v13, v13
	v_mul_f32_e32 v14, 0x3fb8aa3b, v14
	v_sub_f32_e32 v11, v11, v12
	v_exp_f32_e32 v14, v14
	;; [unrolled: 3-line block ×3, first 2 shown]
	v_mul_f32_e32 v10, 0x3fb8aa3b, v10
	v_sub_f32_e32 v9, v9, v12
	v_cndmask_b32_e64 v16, 0, v16, s[34:35]
	v_add_f32_e32 v19, v19, v15
	v_exp_f32_e32 v10, v10
	v_mul_f32_e32 v9, 0x3fb8aa3b, v9
	v_sub_f32_e32 v8, v8, v12
	v_add_f32_e32 v19, v19, v16
	v_cndmask_b32_e64 v13, 0, v13, s[36:37]
	v_exp_f32_e32 v9, v9
	v_mul_f32_e32 v8, 0x3fb8aa3b, v8
	v_sub_f32_e32 v7, v7, v12
	v_add_f32_e32 v15, v19, v13
	v_cndmask_b32_e64 v14, 0, v14, s[38:39]
	;; [unrolled: 5-line block ×5, first 2 shown]
	v_exp_f32_e32 v5, v5
	v_mul_f32_e32 v4, 0x3fb8aa3b, v4
	v_sub_f32_e32 v3, v3, v12
	buffer_store_dword v16, off, s[0:3], 0 offset:268
	buffer_store_dword v13, off, s[0:3], 0 offset:272
	;; [unrolled: 1-line block ×5, first 2 shown]
	v_add_f32_e32 v10, v15, v9
	v_cndmask_b32_e64 v8, 0, v8, s[18:19]
	v_exp_f32_e32 v4, v4
	v_mul_f32_e32 v3, 0x3fb8aa3b, v3
	v_sub_f32_e32 v2, v2, v12
	v_add_f32_e32 v10, v10, v8
	v_cndmask_b32_e64 v7, 0, v7, s[12:13]
	v_exp_f32_e32 v3, v3
	v_mul_f32_e32 v2, 0x3fb8aa3b, v2
	v_add_f32_e32 v10, v10, v7
	v_cndmask_b32_e64 v6, 0, v6, s[14:15]
	v_exp_f32_e32 v2, v2
	v_add_f32_e32 v10, v10, v6
	v_cndmask_b32_e64 v5, 0, v5, s[6:7]
	buffer_store_dword v9, off, s[0:3], 0 offset:288
	buffer_store_dword v8, off, s[0:3], 0 offset:292
	;; [unrolled: 1-line block ×4, first 2 shown]
	v_add_f32_e32 v6, v10, v5
	v_cndmask_b32_e64 v4, 0, v4, s[10:11]
	v_add_f32_e32 v6, v6, v4
	v_cndmask_b32_e32 v3, 0, v3, vcc
	v_add_f32_e32 v6, v6, v3
	v_cndmask_b32_e64 v2, 0, v2, s[4:5]
	v_add_f32_e32 v6, v6, v2
	ds_bpermute_b32 v7, v22, v6
	buffer_store_dword v5, off, s[0:3], 0 offset:304
	buffer_store_dword v4, off, s[0:3], 0 offset:308
	;; [unrolled: 1-line block ×4, first 2 shown]
	v_cmp_gt_u32_e64 s[4:5], 16, v42
	s_waitcnt lgkmcnt(0)
	s_barrier
	v_add_f32_e32 v2, v6, v7
	ds_bpermute_b32 v3, v20, v2
	s_waitcnt lgkmcnt(0)
	s_and_saveexec_b64 s[6:7], s[4:5]
	s_cbranch_execz .LBB914_207
; %bb.206:
	v_add_f32_e32 v2, v2, v3
	v_lshlrev_b32_e32 v3, 2, v63
	ds_write2st64_b32 v3, v12, v2 offset1:1
.LBB914_207:
	s_or_b64 exec, exec, s[6:7]
	v_lshlrev_b32_e32 v2, 2, v55
	s_waitcnt lgkmcnt(0)
	s_barrier
	ds_read2_b32 v[14:15], v2 offset1:16
	ds_read2_b32 v[16:17], v2 offset0:32 offset1:48
	ds_read2_b32 v[6:7], v2 offset0:64 offset1:80
	;; [unrolled: 1-line block ×3, first 2 shown]
	s_waitcnt lgkmcnt(0)
	s_barrier
	buffer_load_dword v22, off, s[0:3], 0 offset:264
	buffer_load_dword v23, off, s[0:3], 0 offset:268
	;; [unrolled: 1-line block ×16, first 2 shown]
	v_max3_f32 v20, v14, s52, v15
	v_max3_f32 v20, v20, v16, v17
	v_sub_f32_e32 v14, v14, v20
	v_sub_f32_e32 v15, v15, v20
	v_mul_f32_e32 v14, 0x3fb8aa3b, v14
	v_sub_f32_e32 v16, v16, v20
	v_mul_f32_e32 v15, 0x3fb8aa3b, v15
	v_exp_f32_e32 v14, v14
	v_sub_f32_e32 v17, v17, v20
	v_mul_f32_e32 v16, 0x3fb8aa3b, v16
	v_exp_f32_e32 v15, v15
	v_mul_f32_e32 v17, 0x3fb8aa3b, v17
	v_exp_f32_e32 v16, v16
	v_exp_f32_e32 v17, v17
	v_fma_f32 v6, v14, v6, 0
	v_fmac_f32_e32 v6, v15, v7
	v_fmac_f32_e32 v6, v16, v12
	;; [unrolled: 1-line block ×3, first 2 shown]
	v_cmp_eq_u32_e32 vcc, 1, v62
	v_add_f32_e32 v12, 0x358637bd, v6
	v_cndmask_b32_e32 v14, v14, v15, vcc
	v_cmp_eq_u32_e32 vcc, 2, v62
	v_div_scale_f32 v13, s[6:7], v12, v12, 1.0
	v_cndmask_b32_e32 v7, v14, v16, vcc
	v_rcp_f32_e32 v14, v13
	v_cmp_eq_u32_e32 vcc, 3, v62
	v_cndmask_b32_e32 v7, v7, v17, vcc
	v_div_scale_f32 v15, vcc, 1.0, v12, 1.0
	v_fma_f32 v16, -v13, v14, 1.0
	v_fmac_f32_e32 v14, v16, v14
	v_mul_f32_e32 v16, v15, v14
	v_fma_f32 v17, -v13, v16, v15
	v_fmac_f32_e32 v16, v17, v14
	v_fma_f32 v13, -v13, v16, v15
	v_div_fmas_f32 v13, v13, v14, v16
	v_div_fixup_f32 v12, v13, v12, 1.0
	v_mul_f32_e32 v12, v7, v12
	s_movk_i32 s21, 0x7fff
	s_mov_b32 s22, 0x7060302
	s_mul_i32 s20, s51, 5
	v_cmp_gt_u32_e32 vcc, 5, v0
	s_waitcnt vmcnt(14)
	v_pk_mul_f32 v[14:15], v[12:13], v[22:23] op_sel_hi:[0,1]
	v_bfe_u32 v21, v15, 16, 1
	s_waitcnt vmcnt(12)
	v_pk_mul_f32 v[16:17], v[12:13], v[24:25] op_sel_hi:[0,1]
	v_bfe_u32 v7, v17, 16, 1
	v_bfe_u32 v13, v16, 16, 1
	;; [unrolled: 1-line block ×3, first 2 shown]
	v_add3_u32 v13, v16, v13, s21
	v_add3_u32 v7, v17, v7, s21
	buffer_store_dword v16, off, s[0:3], 0 offset:256
	buffer_store_dword v17, off, s[0:3], 0 offset:260
	;; [unrolled: 1-line block ×4, first 2 shown]
	v_add3_u32 v16, v14, v22, s21
	v_add3_u32 v15, v15, v21, s21
	v_perm_b32 v14, v7, v13, s22
	v_lshlrev_b32_e32 v13, 3, v1
	v_perm_b32 v15, v15, v16, s22
	v_lshlrev_b32_e32 v7, 5, v55
	v_lshlrev_b32_e32 v16, 11, v62
	s_waitcnt vmcnt(12)
	v_pk_mul_f32 v[8:9], v[12:13], v[8:9] op_sel_hi:[0,1]
	v_or3_b32 v39, v16, v7, v13
	v_pk_mul_f32 v[10:11], v[12:13], v[10:11] op_sel_hi:[0,1]
	v_bfe_u32 v13, v9, 16, 1
	v_bfe_u32 v16, v8, 16, 1
	buffer_store_dword v8, off, s[0:3], 0 offset:272
	buffer_store_dword v9, off, s[0:3], 0 offset:276
	;; [unrolled: 1-line block ×4, first 2 shown]
	v_add3_u32 v8, v8, v16, s21
	v_add3_u32 v9, v9, v13, s21
	v_perm_b32 v8, v9, v8, s22
	v_bfe_u32 v9, v11, 16, 1
	v_bfe_u32 v13, v10, 16, 1
	v_add3_u32 v10, v10, v13, s21
	v_add3_u32 v9, v11, v9, s21
	v_perm_b32 v9, v9, v10, s22
	s_waitcnt vmcnt(14)
	v_pk_mul_f32 v[10:11], v[12:13], v[18:19] op_sel_hi:[0,1]
	ds_write2st64_b64 v39, v[14:15], v[8:9] offset1:1
	s_waitcnt vmcnt(12)
	v_pk_mul_f32 v[8:9], v[12:13], v[26:27] op_sel_hi:[0,1]
	v_bfe_u32 v13, v11, 16, 1
	v_bfe_u32 v14, v10, 16, 1
	buffer_store_dword v10, off, s[0:3], 0 offset:288
	buffer_store_dword v11, off, s[0:3], 0 offset:292
	;; [unrolled: 1-line block ×4, first 2 shown]
	v_add3_u32 v10, v10, v14, s21
	v_add3_u32 v11, v11, v13, s21
	v_perm_b32 v10, v11, v10, s22
	v_bfe_u32 v11, v9, 16, 1
	v_bfe_u32 v13, v8, 16, 1
	v_add3_u32 v8, v8, v13, s21
	v_add3_u32 v9, v9, v11, s21
	s_waitcnt vmcnt(14)
	v_pk_mul_f32 v[2:3], v[12:13], v[2:3] op_sel_hi:[0,1]
	v_perm_b32 v11, v9, v8, s22
	v_bfe_u32 v8, v3, 16, 1
	v_bfe_u32 v9, v2, 16, 1
	s_waitcnt vmcnt(12)
	v_pk_mul_f32 v[4:5], v[12:13], v[4:5] op_sel_hi:[0,1]
	buffer_store_dword v2, off, s[0:3], 0 offset:304
	buffer_store_dword v3, off, s[0:3], 0 offset:308
	;; [unrolled: 1-line block ×4, first 2 shown]
	v_add3_u32 v2, v2, v9, s21
	v_add3_u32 v3, v3, v8, s21
	v_perm_b32 v2, v3, v2, s22
	v_bfe_u32 v3, v5, 16, 1
	v_bfe_u32 v8, v4, 16, 1
	v_add3_u32 v4, v4, v8, s21
	v_add3_u32 v3, v5, v3, s21
	v_perm_b32 v3, v3, v4, s22
	ds_write2st64_b64 v39, v[10:11], v[2:3] offset0:2 offset1:3
	s_and_saveexec_b64 s[6:7], vcc
	s_cbranch_execz .LBB914_209
; %bb.208:
	v_add_co_u32_e32 v4, vcc, s25, v55
	v_addc_co_u32_e64 v5, s[10:11], 0, 0, vcc
	v_mov_b32_e32 v2, s20
	v_mov_b32_e32 v3, 0
	v_mad_u64_u32 v[4:5], s[10:11], s8, v2, v[4:5]
	v_mov_b32_e32 v2, s24
	s_mul_i32 s9, s9, s20
	v_mad_u64_u32 v[2:3], s[10:11], v4, s50, v[2:3]
	v_add_u32_e32 v5, s9, v5
	v_mov_b32_e32 v4, v3
	v_mad_u64_u32 v[4:5], s[10:11], v5, s50, v[4:5]
	v_mov_b32_e32 v3, v4
	v_lshlrev_b64 v[2:3], 2, v[2:3]
	v_mov_b32_e32 v5, s47
	v_add_co_u32_e32 v4, vcc, s46, v2
	v_addc_co_u32_e32 v5, vcc, v5, v3, vcc
	global_store_dword v[4:5], v20, off
	v_mov_b32_e32 v4, s45
	v_add_co_u32_e32 v2, vcc, s44, v2
	v_addc_co_u32_e32 v3, vcc, v4, v3, vcc
	global_store_dword v[2:3], v6, off
.LBB914_209:
	s_or_b64 exec, exec, s[6:7]
	v_lshl_or_b32 v30, v1, 9, v7
	s_waitcnt lgkmcnt(0)
	s_barrier
	s_load_dword s6, s[42:43], 0x0
	ds_read_b128 v[2:5], v30
	ds_read_b128 v[6:9], v30 offset:16
	ds_read_b128 v[10:13], v30 offset:2048
	;; [unrolled: 1-line block ×7, first 2 shown]
	v_mov_b32_e32 v35, 0x80
	v_mov_b32_e32 v41, 0x140
	s_mov_b64 s[12:13], -1
	s_waitcnt lgkmcnt(0)
	s_mov_b32 s7, s6
	s_mov_b32 s10, s6
	;; [unrolled: 1-line block ×3, first 2 shown]
	s_movk_i32 s9, 0x80
	s_movk_i32 s23, 0x7f
	s_mov_b32 s26, 0xffffff
	s_mov_b32 s27, 0x5040100
	v_mov_b32_e32 v47, 0
	v_bfrev_b32_e32 v48, 60
	s_branch .LBB914_213
.LBB914_210:                            ;   in Loop: Header=BB914_213 Depth=1
	s_or_b64 exec, exec, s[18:19]
.LBB914_211:                            ;   in Loop: Header=BB914_213 Depth=1
	s_or_b64 exec, exec, s[16:17]
.LBB914_212:                            ;   in Loop: Header=BB914_213 Depth=1
	s_or_b64 exec, exec, s[14:15]
	v_perm_b32 v61, v51, v49, s27
	v_perm_b32 v60, v44, v46, s27
	s_xor_b64 s[14:15], s[12:13], -1
	s_mov_b64 s[12:13], 0
	s_and_b64 vcc, exec, s[14:15]
	v_mfma_f32_16x16x16bf16_1k v[62:65], v[60:61], v[30:31], v[34:37]
	v_mov_b32_e32 v61, v45
	v_mov_b32_e32 v60, v57
	;; [unrolled: 1-line block ×3, first 2 shown]
	s_nop 3
	v_perm_b32 v37, v53, v52, s27
	v_perm_b32 v36, v42, v50, s27
	v_mov_b32_e32 v35, v43
	s_nop 0
	v_mfma_f32_16x16x16bf16_1k v[50:53], v[36:37], v[32:33], v[62:65]
	s_nop 7
	s_nop 2
	v_pk_mul_f32 v[50:51], v[50:51], s[6:7]
	v_pk_mul_f32 v[36:37], v[52:53], s[10:11]
	v_bfe_u32 v34, v51, 16, 1
	v_bfe_u32 v38, v50, 16, 1
	;; [unrolled: 1-line block ×4, first 2 shown]
	v_add3_u32 v38, v50, v38, s21
	v_add3_u32 v34, v51, v34, s21
	;; [unrolled: 1-line block ×4, first 2 shown]
	v_perm_b32 v34, v34, v38, s22
	v_perm_b32 v36, v37, v36, s22
	buffer_store_dword v34, v41, s[0:3], 0 offen
	buffer_store_dword v36, v41, s[0:3], 0 offen offset:4
	v_mov_b32_e32 v41, 0x148
	s_cbranch_vccnz .LBB914_595
.LBB914_213:                            ; =>This Inner Loop Header: Depth=1
	buffer_load_dword v36, v35, s[0:3], 0 offen
	buffer_load_dword v34, v35, s[0:3], 0 offen offset:4
	buffer_load_dword v40, v35, s[0:3], 0 offen offset:8
	;; [unrolled: 1-line block ×3, first 2 shown]
	v_mov_b32_e32 v35, 0
	s_waitcnt vmcnt(3)
	v_cmp_ne_u16_sdwa s[16:17], v36, v47 src0_sel:BYTE_0 src1_sel:DWORD
	s_and_saveexec_b64 s[14:15], s[16:17]
	s_cbranch_execz .LBB914_219
; %bb.214:                              ;   in Loop: Header=BB914_213 Depth=1
	v_cmp_ne_u16_sdwa s[18:19], v36, s9 src0_sel:BYTE_0 src1_sel:DWORD
	v_mov_b32_e32 v35, 0xffff8000
	s_and_saveexec_b64 s[16:17], s[18:19]
	s_cbranch_execz .LBB914_218
; %bb.215:                              ;   in Loop: Header=BB914_213 Depth=1
	v_and_b32_e32 v37, 0x7f, v36
	v_cmp_ne_u32_e32 vcc, s23, v37
	v_mov_b32_e32 v35, 0x7f80
	s_and_saveexec_b64 s[18:19], vcc
	s_cbranch_execz .LBB914_217
; %bb.216:                              ;   in Loop: Header=BB914_213 Depth=1
	v_and_b32_e32 v35, 7, v36
	v_ffbh_u32_e32 v44, v35
	v_min_u32_e32 v44, 32, v44
	v_subrev_u32_e32 v46, 28, v44
	v_lshlrev_b64 v[50:51], v46, v[36:37]
	v_lshrrev_b32_e32 v42, 3, v37
	v_sub_u32_e32 v44, 29, v44
	v_and_b32_e32 v46, 7, v50
	v_cmp_gt_u32_e32 vcc, 8, v37
	v_cndmask_b32_e32 v37, v42, v44, vcc
	v_cndmask_b32_e32 v35, v35, v46, vcc
	v_lshlrev_b32_e32 v42, 24, v36
	v_lshlrev_b32_e32 v35, 20, v35
	v_and_b32_e32 v42, 0x80000000, v42
	v_lshl_add_u32 v37, v37, 23, v48
	v_or3_b32 v35, v42, v37, v35
	v_lshrrev_b32_e32 v35, 16, v35
.LBB914_217:                            ;   in Loop: Header=BB914_213 Depth=1
	s_or_b64 exec, exec, s[18:19]
.LBB914_218:                            ;   in Loop: Header=BB914_213 Depth=1
	s_or_b64 exec, exec, s[16:17]
.LBB914_219:                            ;   in Loop: Header=BB914_213 Depth=1
	s_or_b64 exec, exec, s[14:15]
	v_lshrrev_b16_e32 v42, 8, v36
	v_cmp_ne_u16_e32 vcc, 0, v42
	v_mov_b32_e32 v46, 0
	v_mov_b32_e32 v37, 0
	s_and_saveexec_b64 s[14:15], vcc
	s_cbranch_execz .LBB914_225
; %bb.220:                              ;   in Loop: Header=BB914_213 Depth=1
	v_cmp_ne_u16_e32 vcc, s9, v42
	v_mov_b32_e32 v37, 0xffff8000
	s_and_saveexec_b64 s[16:17], vcc
	s_cbranch_execz .LBB914_224
; %bb.221:                              ;   in Loop: Header=BB914_213 Depth=1
	v_and_b32_e32 v44, 0x7f, v42
	v_cmp_ne_u32_e32 vcc, s23, v44
	v_mov_b32_e32 v37, 0x7f80
	s_and_saveexec_b64 s[18:19], vcc
	s_cbranch_execz .LBB914_223
; %bb.222:                              ;   in Loop: Header=BB914_213 Depth=1
	v_and_b32_e32 v37, 7, v42
	v_ffbh_u32_e32 v50, v37
	v_min_u32_e32 v52, 32, v50
	v_subrev_u32_e32 v50, 28, v52
	v_lshlrev_b64 v[50:51], v50, v[42:43]
	v_lshrrev_b32_e32 v49, 3, v44
	v_sub_u32_e32 v42, 29, v52
	v_and_b32_e32 v50, 7, v50
	v_cmp_gt_u32_e32 vcc, 8, v44
	v_cndmask_b32_e32 v42, v49, v42, vcc
	v_cndmask_b32_e32 v37, v37, v50, vcc
	v_lshlrev_b32_e32 v44, 16, v36
	v_lshlrev_b32_e32 v37, 20, v37
	v_and_b32_e32 v44, 0x80000000, v44
	v_lshl_add_u32 v42, v42, 23, v48
	v_or3_b32 v37, v44, v42, v37
	v_lshrrev_b32_e32 v37, 16, v37
.LBB914_223:                            ;   in Loop: Header=BB914_213 Depth=1
	s_or_b64 exec, exec, s[18:19]
.LBB914_224:                            ;   in Loop: Header=BB914_213 Depth=1
	s_or_b64 exec, exec, s[16:17]
.LBB914_225:                            ;   in Loop: Header=BB914_213 Depth=1
	s_or_b64 exec, exec, s[14:15]
	v_lshrrev_b32_e32 v42, 16, v36
	v_cmp_ne_u16_sdwa s[16:17], v42, v47 src0_sel:BYTE_0 src1_sel:DWORD
	s_and_saveexec_b64 s[14:15], s[16:17]
	s_cbranch_execz .LBB914_231
; %bb.226:                              ;   in Loop: Header=BB914_213 Depth=1
	v_cmp_ne_u16_sdwa s[18:19], v42, s9 src0_sel:BYTE_0 src1_sel:DWORD
	v_mov_b32_e32 v46, 0xffff8000
	s_and_saveexec_b64 s[16:17], s[18:19]
	s_cbranch_execz .LBB914_230
; %bb.227:                              ;   in Loop: Header=BB914_213 Depth=1
	v_bfe_u32 v44, v36, 16, 7
	v_cmp_ne_u32_e32 vcc, s23, v44
	v_mov_b32_e32 v46, 0x7f80
	s_and_saveexec_b64 s[18:19], vcc
	s_cbranch_execz .LBB914_229
; %bb.228:                              ;   in Loop: Header=BB914_213 Depth=1
	v_and_b32_e32 v46, 7, v42
	v_ffbh_u32_e32 v50, v46
	v_min_u32_e32 v52, 32, v50
	v_subrev_u32_e32 v50, 28, v52
	v_lshlrev_b64 v[50:51], v50, v[42:43]
	v_lshrrev_b32_e32 v49, 3, v44
	v_sub_u32_e32 v51, 29, v52
	v_and_b32_e32 v50, 7, v50
	v_cmp_gt_u32_e32 vcc, 8, v44
	v_cndmask_b32_e32 v44, v49, v51, vcc
	v_cndmask_b32_e32 v46, v46, v50, vcc
	v_lshlrev_b32_e32 v42, 24, v42
	v_lshlrev_b32_e32 v46, 20, v46
	v_and_b32_e32 v42, 0x80000000, v42
	v_lshl_add_u32 v44, v44, 23, v48
	v_or3_b32 v42, v42, v44, v46
	v_lshrrev_b32_e32 v46, 16, v42
.LBB914_229:                            ;   in Loop: Header=BB914_213 Depth=1
	s_or_b64 exec, exec, s[18:19]
.LBB914_230:                            ;   in Loop: Header=BB914_213 Depth=1
	s_or_b64 exec, exec, s[16:17]
.LBB914_231:                            ;   in Loop: Header=BB914_213 Depth=1
	s_or_b64 exec, exec, s[14:15]
	v_cmp_lt_u32_e32 vcc, s26, v36
	v_mov_b32_e32 v49, 0
	v_mov_b32_e32 v50, 0
	s_and_saveexec_b64 s[14:15], vcc
	s_cbranch_execz .LBB914_237
; %bb.232:                              ;   in Loop: Header=BB914_213 Depth=1
	v_lshrrev_b32_e32 v42, 24, v36
	v_cmp_ne_u32_e32 vcc, s9, v42
	v_mov_b32_e32 v50, 0xffff8000
	s_and_saveexec_b64 s[16:17], vcc
	s_cbranch_execz .LBB914_236
; %bb.233:                              ;   in Loop: Header=BB914_213 Depth=1
	v_bfe_u32 v36, v36, 24, 7
	v_cmp_ne_u32_e32 vcc, s23, v36
	v_mov_b32_e32 v50, 0x7f80
	s_and_saveexec_b64 s[18:19], vcc
	s_cbranch_execz .LBB914_235
; %bb.234:                              ;   in Loop: Header=BB914_213 Depth=1
	v_and_b32_e32 v44, 7, v42
	v_ffbh_u32_e32 v50, v44
	v_min_u32_e32 v53, 32, v50
	v_subrev_u32_e32 v50, 28, v53
	v_lshlrev_b64 v[50:51], v50, v[42:43]
	v_lshrrev_b32_e32 v52, 3, v36
	v_sub_u32_e32 v51, 29, v53
	v_and_b32_e32 v50, 7, v50
	v_cmp_gt_u32_e32 vcc, 8, v36
	v_cndmask_b32_e32 v36, v52, v51, vcc
	v_cndmask_b32_e32 v44, v44, v50, vcc
	v_lshlrev_b32_e32 v42, 24, v42
	v_lshlrev_b32_e32 v44, 20, v44
	v_and_b32_e32 v42, 0x80000000, v42
	v_lshl_add_u32 v36, v36, 23, v48
	v_or3_b32 v36, v42, v36, v44
	v_lshrrev_b32_e32 v50, 16, v36
.LBB914_235:                            ;   in Loop: Header=BB914_213 Depth=1
	s_or_b64 exec, exec, s[18:19]
.LBB914_236:                            ;   in Loop: Header=BB914_213 Depth=1
	s_or_b64 exec, exec, s[16:17]
.LBB914_237:                            ;   in Loop: Header=BB914_213 Depth=1
	s_or_b64 exec, exec, s[14:15]
	s_waitcnt vmcnt(2)
	v_cmp_ne_u16_sdwa s[16:17], v34, v47 src0_sel:BYTE_0 src1_sel:DWORD
	s_and_saveexec_b64 s[14:15], s[16:17]
	s_cbranch_execz .LBB914_243
; %bb.238:                              ;   in Loop: Header=BB914_213 Depth=1
	v_cmp_ne_u16_sdwa s[18:19], v34, s9 src0_sel:BYTE_0 src1_sel:DWORD
	v_mov_b32_e32 v49, 0xffff8000
	s_and_saveexec_b64 s[16:17], s[18:19]
	s_cbranch_execz .LBB914_242
; %bb.239:                              ;   in Loop: Header=BB914_213 Depth=1
	v_and_b32_e32 v36, 0x7f, v34
	v_cmp_ne_u32_e32 vcc, s23, v36
	v_mov_b32_e32 v49, 0x7f80
	s_and_saveexec_b64 s[18:19], vcc
	s_cbranch_execz .LBB914_241
; %bb.240:                              ;   in Loop: Header=BB914_213 Depth=1
	v_and_b32_e32 v42, 7, v34
	v_ffbh_u32_e32 v49, v42
	v_min_u32_e32 v49, 32, v49
	v_subrev_u32_e32 v51, 28, v49
	v_lshlrev_b64 v[52:53], v51, v[34:35]
	v_lshrrev_b32_e32 v44, 3, v36
	v_sub_u32_e32 v49, 29, v49
	v_and_b32_e32 v51, 7, v52
	v_cmp_gt_u32_e32 vcc, 8, v36
	v_cndmask_b32_e32 v36, v44, v49, vcc
	v_cndmask_b32_e32 v42, v42, v51, vcc
	v_lshlrev_b32_e32 v44, 24, v34
	v_lshlrev_b32_e32 v42, 20, v42
	v_and_b32_e32 v44, 0x80000000, v44
	v_lshl_add_u32 v36, v36, 23, v48
	v_or3_b32 v36, v44, v36, v42
	v_lshrrev_b32_e32 v49, 16, v36
.LBB914_241:                            ;   in Loop: Header=BB914_213 Depth=1
	s_or_b64 exec, exec, s[18:19]
.LBB914_242:                            ;   in Loop: Header=BB914_213 Depth=1
	s_or_b64 exec, exec, s[16:17]
.LBB914_243:                            ;   in Loop: Header=BB914_213 Depth=1
	s_or_b64 exec, exec, s[14:15]
	v_lshrrev_b16_e32 v36, 8, v34
	v_cmp_ne_u16_e32 vcc, 0, v36
	v_mov_b32_e32 v51, 0
	v_mov_b32_e32 v42, 0
	s_and_saveexec_b64 s[14:15], vcc
	s_cbranch_execz .LBB914_249
; %bb.244:                              ;   in Loop: Header=BB914_213 Depth=1
	v_cmp_ne_u16_e32 vcc, s9, v36
	v_mov_b32_e32 v42, 0xffff8000
	s_and_saveexec_b64 s[16:17], vcc
	s_cbranch_execz .LBB914_248
; %bb.245:                              ;   in Loop: Header=BB914_213 Depth=1
	v_and_b32_e32 v44, 0x7f, v36
	v_cmp_ne_u32_e32 vcc, s23, v44
	v_mov_b32_e32 v42, 0x7f80
	s_and_saveexec_b64 s[18:19], vcc
	s_cbranch_execz .LBB914_247
; %bb.246:                              ;   in Loop: Header=BB914_213 Depth=1
	v_and_b32_e32 v42, 7, v36
	v_ffbh_u32_e32 v52, v42
	v_min_u32_e32 v63, 32, v52
	v_subrev_u32_e32 v52, 28, v63
	v_lshlrev_b64 v[52:53], v52, v[36:37]
	v_lshrrev_b32_e32 v62, 3, v44
	v_sub_u32_e32 v36, 29, v63
	v_and_b32_e32 v52, 7, v52
	v_cmp_gt_u32_e32 vcc, 8, v44
	v_cndmask_b32_e32 v36, v62, v36, vcc
	v_cndmask_b32_e32 v42, v42, v52, vcc
	v_lshlrev_b32_e32 v44, 16, v34
	v_lshlrev_b32_e32 v42, 20, v42
	v_and_b32_e32 v44, 0x80000000, v44
	v_lshl_add_u32 v36, v36, 23, v48
	v_or3_b32 v36, v44, v36, v42
	v_lshrrev_b32_e32 v42, 16, v36
.LBB914_247:                            ;   in Loop: Header=BB914_213 Depth=1
	s_or_b64 exec, exec, s[18:19]
.LBB914_248:                            ;   in Loop: Header=BB914_213 Depth=1
	s_or_b64 exec, exec, s[16:17]
.LBB914_249:                            ;   in Loop: Header=BB914_213 Depth=1
	s_or_b64 exec, exec, s[14:15]
	v_lshrrev_b32_e32 v36, 16, v34
	v_cmp_ne_u16_sdwa s[16:17], v36, v47 src0_sel:BYTE_0 src1_sel:DWORD
	s_and_saveexec_b64 s[14:15], s[16:17]
	s_cbranch_execz .LBB914_255
; %bb.250:                              ;   in Loop: Header=BB914_213 Depth=1
	v_cmp_ne_u16_sdwa s[18:19], v36, s9 src0_sel:BYTE_0 src1_sel:DWORD
	v_mov_b32_e32 v51, 0xffff8000
	s_and_saveexec_b64 s[16:17], s[18:19]
	s_cbranch_execz .LBB914_254
; %bb.251:                              ;   in Loop: Header=BB914_213 Depth=1
	v_bfe_u32 v44, v34, 16, 7
	v_cmp_ne_u32_e32 vcc, s23, v44
	v_mov_b32_e32 v51, 0x7f80
	s_and_saveexec_b64 s[18:19], vcc
	s_cbranch_execz .LBB914_253
; %bb.252:                              ;   in Loop: Header=BB914_213 Depth=1
	v_and_b32_e32 v51, 7, v36
	v_ffbh_u32_e32 v52, v51
	v_min_u32_e32 v63, 32, v52
	v_subrev_u32_e32 v52, 28, v63
	v_lshlrev_b64 v[52:53], v52, v[36:37]
	v_lshrrev_b32_e32 v62, 3, v44
	v_sub_u32_e32 v53, 29, v63
	v_and_b32_e32 v52, 7, v52
	v_cmp_gt_u32_e32 vcc, 8, v44
	v_cndmask_b32_e32 v44, v62, v53, vcc
	v_cndmask_b32_e32 v51, v51, v52, vcc
	v_lshlrev_b32_e32 v36, 24, v36
	v_lshlrev_b32_e32 v51, 20, v51
	v_and_b32_e32 v36, 0x80000000, v36
	v_lshl_add_u32 v44, v44, 23, v48
	v_or3_b32 v36, v36, v44, v51
	v_lshrrev_b32_e32 v51, 16, v36
.LBB914_253:                            ;   in Loop: Header=BB914_213 Depth=1
	s_or_b64 exec, exec, s[18:19]
.LBB914_254:                            ;   in Loop: Header=BB914_213 Depth=1
	s_or_b64 exec, exec, s[16:17]
.LBB914_255:                            ;   in Loop: Header=BB914_213 Depth=1
	s_or_b64 exec, exec, s[14:15]
	v_cmp_lt_u32_e32 vcc, s26, v34
	v_mov_b32_e32 v44, 0
	v_mov_b32_e32 v52, 0
	s_and_saveexec_b64 s[14:15], vcc
	s_cbranch_execz .LBB914_261
; %bb.256:                              ;   in Loop: Header=BB914_213 Depth=1
	v_lshrrev_b32_e32 v36, 24, v34
	v_cmp_ne_u32_e32 vcc, s9, v36
	v_mov_b32_e32 v52, 0xffff8000
	s_and_saveexec_b64 s[16:17], vcc
	s_cbranch_execz .LBB914_260
; %bb.257:                              ;   in Loop: Header=BB914_213 Depth=1
	v_bfe_u32 v34, v34, 24, 7
	v_cmp_ne_u32_e32 vcc, s23, v34
	v_mov_b32_e32 v52, 0x7f80
	s_and_saveexec_b64 s[18:19], vcc
	s_cbranch_execz .LBB914_259
; %bb.258:                              ;   in Loop: Header=BB914_213 Depth=1
	v_and_b32_e32 v62, 7, v36
	v_ffbh_u32_e32 v52, v62
	v_min_u32_e32 v64, 32, v52
	v_subrev_u32_e32 v52, 28, v64
	v_lshlrev_b64 v[52:53], v52, v[36:37]
	v_lshrrev_b32_e32 v63, 3, v34
	v_sub_u32_e32 v53, 29, v64
	v_and_b32_e32 v52, 7, v52
	v_cmp_gt_u32_e32 vcc, 8, v34
	v_cndmask_b32_e32 v34, v63, v53, vcc
	v_cndmask_b32_e32 v52, v62, v52, vcc
	v_lshlrev_b32_e32 v36, 24, v36
	v_lshlrev_b32_e32 v52, 20, v52
	v_and_b32_e32 v36, 0x80000000, v36
	v_lshl_add_u32 v34, v34, 23, v48
	v_or3_b32 v34, v36, v34, v52
	v_lshrrev_b32_e32 v52, 16, v34
.LBB914_259:                            ;   in Loop: Header=BB914_213 Depth=1
	s_or_b64 exec, exec, s[18:19]
.LBB914_260:                            ;   in Loop: Header=BB914_213 Depth=1
	s_or_b64 exec, exec, s[16:17]
.LBB914_261:                            ;   in Loop: Header=BB914_213 Depth=1
	s_or_b64 exec, exec, s[14:15]
	v_perm_b32 v63, v50, v46, s27
	v_perm_b32 v62, v37, v35, s27
	;; [unrolled: 1-line block ×4, first 2 shown]
	s_waitcnt vmcnt(1)
	v_cmp_ne_u16_sdwa s[16:17], v40, v47 src0_sel:BYTE_0 src1_sel:DWORD
	v_mfma_f32_16x16x16bf16_1k v[34:37], v[62:63], v[2:3], 0
	v_mfma_f32_16x16x16bf16_1k v[34:37], v[50:51], v[4:5], v[34:37]
	s_and_saveexec_b64 s[14:15], s[16:17]
	s_cbranch_execz .LBB914_267
; %bb.262:                              ;   in Loop: Header=BB914_213 Depth=1
	v_cmp_ne_u16_sdwa s[18:19], v40, s9 src0_sel:BYTE_0 src1_sel:DWORD
	v_mov_b32_e32 v44, 0xffff8000
	s_and_saveexec_b64 s[16:17], s[18:19]
	s_cbranch_execz .LBB914_266
; %bb.263:                              ;   in Loop: Header=BB914_213 Depth=1
	v_and_b32_e32 v42, 0x7f, v40
	v_cmp_ne_u32_e32 vcc, s23, v42
	v_mov_b32_e32 v44, 0x7f80
	s_and_saveexec_b64 s[18:19], vcc
	s_cbranch_execz .LBB914_265
; %bb.264:                              ;   in Loop: Header=BB914_213 Depth=1
	v_and_b32_e32 v44, 7, v40
	v_ffbh_u32_e32 v49, v44
	v_min_u32_e32 v49, 32, v49
	v_subrev_u32_e32 v50, 28, v49
	v_lshlrev_b64 v[50:51], v50, v[40:41]
	v_lshrrev_b32_e32 v46, 3, v42
	v_sub_u32_e32 v49, 29, v49
	v_and_b32_e32 v50, 7, v50
	v_cmp_gt_u32_e32 vcc, 8, v42
	v_cndmask_b32_e32 v42, v46, v49, vcc
	v_cndmask_b32_e32 v44, v44, v50, vcc
	v_lshlrev_b32_e32 v46, 24, v40
	v_lshlrev_b32_e32 v44, 20, v44
	v_and_b32_e32 v46, 0x80000000, v46
	v_lshl_add_u32 v42, v42, 23, v48
	v_or3_b32 v42, v46, v42, v44
	v_lshrrev_b32_e32 v44, 16, v42
.LBB914_265:                            ;   in Loop: Header=BB914_213 Depth=1
	s_or_b64 exec, exec, s[18:19]
.LBB914_266:                            ;   in Loop: Header=BB914_213 Depth=1
	s_or_b64 exec, exec, s[16:17]
.LBB914_267:                            ;   in Loop: Header=BB914_213 Depth=1
	s_or_b64 exec, exec, s[14:15]
	v_lshrrev_b16_e32 v42, 8, v40
	v_cmp_ne_u16_e32 vcc, 0, v42
	v_mov_b32_e32 v50, 0
	v_mov_b32_e32 v46, 0
	s_and_saveexec_b64 s[14:15], vcc
	s_cbranch_execz .LBB914_273
; %bb.268:                              ;   in Loop: Header=BB914_213 Depth=1
	v_cmp_ne_u16_e32 vcc, s9, v42
	v_mov_b32_e32 v46, 0xffff8000
	s_and_saveexec_b64 s[16:17], vcc
	s_cbranch_execz .LBB914_272
; %bb.269:                              ;   in Loop: Header=BB914_213 Depth=1
	v_and_b32_e32 v49, 0x7f, v42
	v_cmp_ne_u32_e32 vcc, s23, v49
	v_mov_b32_e32 v46, 0x7f80
	s_and_saveexec_b64 s[18:19], vcc
	s_cbranch_execz .LBB914_271
; %bb.270:                              ;   in Loop: Header=BB914_213 Depth=1
	v_and_b32_e32 v46, 7, v42
	v_ffbh_u32_e32 v52, v46
	v_min_u32_e32 v62, 32, v52
	v_subrev_u32_e32 v52, 28, v62
	v_lshlrev_b64 v[52:53], v52, v[42:43]
	v_lshrrev_b32_e32 v51, 3, v49
	v_sub_u32_e32 v42, 29, v62
	v_and_b32_e32 v52, 7, v52
	v_cmp_gt_u32_e32 vcc, 8, v49
	v_cndmask_b32_e32 v42, v51, v42, vcc
	v_cndmask_b32_e32 v46, v46, v52, vcc
	v_lshlrev_b32_e32 v49, 16, v40
	v_lshlrev_b32_e32 v46, 20, v46
	v_and_b32_e32 v49, 0x80000000, v49
	v_lshl_add_u32 v42, v42, 23, v48
	v_or3_b32 v42, v49, v42, v46
	v_lshrrev_b32_e32 v46, 16, v42
.LBB914_271:                            ;   in Loop: Header=BB914_213 Depth=1
	s_or_b64 exec, exec, s[18:19]
.LBB914_272:                            ;   in Loop: Header=BB914_213 Depth=1
	s_or_b64 exec, exec, s[16:17]
.LBB914_273:                            ;   in Loop: Header=BB914_213 Depth=1
	s_or_b64 exec, exec, s[14:15]
	v_lshrrev_b32_e32 v42, 16, v40
	v_cmp_ne_u16_sdwa s[16:17], v42, v47 src0_sel:BYTE_0 src1_sel:DWORD
	s_and_saveexec_b64 s[14:15], s[16:17]
	s_cbranch_execz .LBB914_279
; %bb.274:                              ;   in Loop: Header=BB914_213 Depth=1
	v_cmp_ne_u16_sdwa s[18:19], v42, s9 src0_sel:BYTE_0 src1_sel:DWORD
	v_mov_b32_e32 v50, 0xffff8000
	s_and_saveexec_b64 s[16:17], s[18:19]
	s_cbranch_execz .LBB914_278
; %bb.275:                              ;   in Loop: Header=BB914_213 Depth=1
	v_bfe_u32 v49, v40, 16, 7
	v_cmp_ne_u32_e32 vcc, s23, v49
	v_mov_b32_e32 v50, 0x7f80
	s_and_saveexec_b64 s[18:19], vcc
	s_cbranch_execz .LBB914_277
; %bb.276:                              ;   in Loop: Header=BB914_213 Depth=1
	v_and_b32_e32 v52, 7, v42
	v_ffbh_u32_e32 v50, v52
	v_min_u32_e32 v62, 32, v50
	v_subrev_u32_e32 v50, 28, v62
	v_lshlrev_b64 v[50:51], v50, v[42:43]
	v_lshrrev_b32_e32 v53, 3, v49
	v_sub_u32_e32 v51, 29, v62
	v_and_b32_e32 v50, 7, v50
	v_cmp_gt_u32_e32 vcc, 8, v49
	v_cndmask_b32_e32 v49, v53, v51, vcc
	v_cndmask_b32_e32 v50, v52, v50, vcc
	v_lshlrev_b32_e32 v42, 24, v42
	v_lshlrev_b32_e32 v50, 20, v50
	v_and_b32_e32 v42, 0x80000000, v42
	v_lshl_add_u32 v49, v49, 23, v48
	v_or3_b32 v42, v42, v49, v50
	v_lshrrev_b32_e32 v50, 16, v42
.LBB914_277:                            ;   in Loop: Header=BB914_213 Depth=1
	s_or_b64 exec, exec, s[18:19]
.LBB914_278:                            ;   in Loop: Header=BB914_213 Depth=1
	s_or_b64 exec, exec, s[16:17]
.LBB914_279:                            ;   in Loop: Header=BB914_213 Depth=1
	s_or_b64 exec, exec, s[14:15]
	v_cmp_lt_u32_e32 vcc, s26, v40
	v_mov_b32_e32 v51, 0
	v_mov_b32_e32 v52, 0
	s_and_saveexec_b64 s[14:15], vcc
	s_cbranch_execz .LBB914_285
; %bb.280:                              ;   in Loop: Header=BB914_213 Depth=1
	v_lshrrev_b32_e32 v42, 24, v40
	v_cmp_ne_u32_e32 vcc, s9, v42
	v_mov_b32_e32 v52, 0xffff8000
	s_and_saveexec_b64 s[16:17], vcc
	s_cbranch_execz .LBB914_284
; %bb.281:                              ;   in Loop: Header=BB914_213 Depth=1
	v_bfe_u32 v40, v40, 24, 7
	v_cmp_ne_u32_e32 vcc, s23, v40
	v_mov_b32_e32 v52, 0x7f80
	s_and_saveexec_b64 s[18:19], vcc
	s_cbranch_execz .LBB914_283
; %bb.282:                              ;   in Loop: Header=BB914_213 Depth=1
	v_and_b32_e32 v49, 7, v42
	v_ffbh_u32_e32 v52, v49
	v_min_u32_e32 v63, 32, v52
	v_subrev_u32_e32 v52, 28, v63
	v_lshlrev_b64 v[52:53], v52, v[42:43]
	v_lshrrev_b32_e32 v62, 3, v40
	v_sub_u32_e32 v53, 29, v63
	v_and_b32_e32 v52, 7, v52
	v_cmp_gt_u32_e32 vcc, 8, v40
	v_cndmask_b32_e32 v40, v62, v53, vcc
	v_cndmask_b32_e32 v49, v49, v52, vcc
	v_lshlrev_b32_e32 v42, 24, v42
	v_lshlrev_b32_e32 v49, 20, v49
	v_and_b32_e32 v42, 0x80000000, v42
	v_lshl_add_u32 v40, v40, 23, v48
	v_or3_b32 v40, v42, v40, v49
	v_lshrrev_b32_e32 v52, 16, v40
.LBB914_283:                            ;   in Loop: Header=BB914_213 Depth=1
	s_or_b64 exec, exec, s[18:19]
.LBB914_284:                            ;   in Loop: Header=BB914_213 Depth=1
	s_or_b64 exec, exec, s[16:17]
.LBB914_285:                            ;   in Loop: Header=BB914_213 Depth=1
	s_or_b64 exec, exec, s[14:15]
	s_waitcnt vmcnt(0)
	v_cmp_ne_u16_sdwa s[16:17], v38, v47 src0_sel:BYTE_0 src1_sel:DWORD
	s_and_saveexec_b64 s[14:15], s[16:17]
	s_cbranch_execz .LBB914_291
; %bb.286:                              ;   in Loop: Header=BB914_213 Depth=1
	v_cmp_ne_u16_sdwa s[18:19], v38, s9 src0_sel:BYTE_0 src1_sel:DWORD
	v_mov_b32_e32 v51, 0xffff8000
	s_and_saveexec_b64 s[16:17], s[18:19]
	s_cbranch_execz .LBB914_290
; %bb.287:                              ;   in Loop: Header=BB914_213 Depth=1
	v_and_b32_e32 v40, 0x7f, v38
	v_cmp_ne_u32_e32 vcc, s23, v40
	v_mov_b32_e32 v51, 0x7f80
	s_and_saveexec_b64 s[18:19], vcc
	s_cbranch_execz .LBB914_289
; %bb.288:                              ;   in Loop: Header=BB914_213 Depth=1
	v_and_b32_e32 v42, 7, v38
	v_ffbh_u32_e32 v51, v42
	v_min_u32_e32 v51, 32, v51
	v_subrev_u32_e32 v53, 28, v51
	v_lshlrev_b64 v[62:63], v53, v[38:39]
	v_lshrrev_b32_e32 v49, 3, v40
	v_sub_u32_e32 v51, 29, v51
	v_and_b32_e32 v53, 7, v62
	v_cmp_gt_u32_e32 vcc, 8, v40
	v_cndmask_b32_e32 v40, v49, v51, vcc
	v_cndmask_b32_e32 v42, v42, v53, vcc
	v_lshlrev_b32_e32 v49, 24, v38
	v_lshlrev_b32_e32 v42, 20, v42
	v_and_b32_e32 v49, 0x80000000, v49
	v_lshl_add_u32 v40, v40, 23, v48
	v_or3_b32 v40, v49, v40, v42
	v_lshrrev_b32_e32 v51, 16, v40
.LBB914_289:                            ;   in Loop: Header=BB914_213 Depth=1
	s_or_b64 exec, exec, s[18:19]
.LBB914_290:                            ;   in Loop: Header=BB914_213 Depth=1
	s_or_b64 exec, exec, s[16:17]
.LBB914_291:                            ;   in Loop: Header=BB914_213 Depth=1
	s_or_b64 exec, exec, s[14:15]
	v_lshrrev_b16_e32 v40, 8, v38
	v_cmp_ne_u16_e32 vcc, 0, v40
	v_mov_b32_e32 v62, 0
	v_mov_b32_e32 v53, 0
	s_and_saveexec_b64 s[14:15], vcc
	s_cbranch_execz .LBB914_297
; %bb.292:                              ;   in Loop: Header=BB914_213 Depth=1
	v_cmp_ne_u16_e32 vcc, s9, v40
	v_mov_b32_e32 v53, 0xffff8000
	s_and_saveexec_b64 s[16:17], vcc
	s_cbranch_execz .LBB914_296
; %bb.293:                              ;   in Loop: Header=BB914_213 Depth=1
	v_and_b32_e32 v42, 0x7f, v40
	v_cmp_ne_u32_e32 vcc, s23, v42
	v_mov_b32_e32 v53, 0x7f80
	s_and_saveexec_b64 s[18:19], vcc
	s_cbranch_execz .LBB914_295
; %bb.294:                              ;   in Loop: Header=BB914_213 Depth=1
	v_and_b32_e32 v49, 7, v40
	v_ffbh_u32_e32 v63, v49
	v_min_u32_e32 v63, 32, v63
	v_subrev_u32_e32 v64, 28, v63
	v_lshlrev_b64 v[64:65], v64, v[40:41]
	v_lshrrev_b32_e32 v53, 3, v42
	v_sub_u32_e32 v40, 29, v63
	v_and_b32_e32 v63, 7, v64
	v_cmp_gt_u32_e32 vcc, 8, v42
	v_cndmask_b32_e32 v40, v53, v40, vcc
	v_cndmask_b32_e32 v42, v49, v63, vcc
	v_lshlrev_b32_e32 v49, 16, v38
	v_lshlrev_b32_e32 v42, 20, v42
	v_and_b32_e32 v49, 0x80000000, v49
	v_lshl_add_u32 v40, v40, 23, v48
	v_or3_b32 v40, v49, v40, v42
	v_lshrrev_b32_e32 v53, 16, v40
.LBB914_295:                            ;   in Loop: Header=BB914_213 Depth=1
	s_or_b64 exec, exec, s[18:19]
.LBB914_296:                            ;   in Loop: Header=BB914_213 Depth=1
	s_or_b64 exec, exec, s[16:17]
.LBB914_297:                            ;   in Loop: Header=BB914_213 Depth=1
	s_or_b64 exec, exec, s[14:15]
	v_lshrrev_b32_e32 v40, 16, v38
	v_cmp_ne_u16_sdwa s[16:17], v40, v47 src0_sel:BYTE_0 src1_sel:DWORD
	s_and_saveexec_b64 s[14:15], s[16:17]
	s_cbranch_execz .LBB914_303
; %bb.298:                              ;   in Loop: Header=BB914_213 Depth=1
	v_cmp_ne_u16_sdwa s[18:19], v40, s9 src0_sel:BYTE_0 src1_sel:DWORD
	v_mov_b32_e32 v62, 0xffff8000
	s_and_saveexec_b64 s[16:17], s[18:19]
	s_cbranch_execz .LBB914_302
; %bb.299:                              ;   in Loop: Header=BB914_213 Depth=1
	v_bfe_u32 v42, v38, 16, 7
	v_cmp_ne_u32_e32 vcc, s23, v42
	v_mov_b32_e32 v62, 0x7f80
	s_and_saveexec_b64 s[18:19], vcc
	s_cbranch_execz .LBB914_301
; %bb.300:                              ;   in Loop: Header=BB914_213 Depth=1
	v_and_b32_e32 v49, 7, v40
	v_ffbh_u32_e32 v62, v49
	v_min_u32_e32 v65, 32, v62
	v_subrev_u32_e32 v62, 28, v65
	v_lshlrev_b64 v[62:63], v62, v[40:41]
	v_lshrrev_b32_e32 v64, 3, v42
	v_sub_u32_e32 v63, 29, v65
	v_and_b32_e32 v62, 7, v62
	v_cmp_gt_u32_e32 vcc, 8, v42
	v_cndmask_b32_e32 v42, v64, v63, vcc
	v_cndmask_b32_e32 v49, v49, v62, vcc
	v_lshlrev_b32_e32 v40, 24, v40
	v_lshlrev_b32_e32 v49, 20, v49
	v_and_b32_e32 v40, 0x80000000, v40
	v_lshl_add_u32 v42, v42, 23, v48
	v_or3_b32 v40, v40, v42, v49
	v_lshrrev_b32_e32 v62, 16, v40
.LBB914_301:                            ;   in Loop: Header=BB914_213 Depth=1
	s_or_b64 exec, exec, s[18:19]
.LBB914_302:                            ;   in Loop: Header=BB914_213 Depth=1
	s_or_b64 exec, exec, s[16:17]
.LBB914_303:                            ;   in Loop: Header=BB914_213 Depth=1
	s_or_b64 exec, exec, s[14:15]
	v_cmp_lt_u32_e32 vcc, s26, v38
	v_mov_b32_e32 v49, 0
	v_mov_b32_e32 v63, 0
	s_and_saveexec_b64 s[14:15], vcc
	s_cbranch_execz .LBB914_309
; %bb.304:                              ;   in Loop: Header=BB914_213 Depth=1
	v_lshrrev_b32_e32 v40, 24, v38
	v_cmp_ne_u32_e32 vcc, s9, v40
	v_mov_b32_e32 v63, 0xffff8000
	s_and_saveexec_b64 s[16:17], vcc
	s_cbranch_execz .LBB914_308
; %bb.305:                              ;   in Loop: Header=BB914_213 Depth=1
	v_bfe_u32 v38, v38, 24, 7
	v_cmp_ne_u32_e32 vcc, s23, v38
	v_mov_b32_e32 v63, 0x7f80
	s_and_saveexec_b64 s[18:19], vcc
	s_cbranch_execz .LBB914_307
; %bb.306:                              ;   in Loop: Header=BB914_213 Depth=1
	v_and_b32_e32 v42, 7, v40
	v_ffbh_u32_e32 v64, v42
	v_min_u32_e32 v66, 32, v64
	v_subrev_u32_e32 v64, 28, v66
	v_lshlrev_b64 v[64:65], v64, v[40:41]
	v_lshrrev_b32_e32 v63, 3, v38
	v_sub_u32_e32 v65, 29, v66
	v_and_b32_e32 v64, 7, v64
	v_cmp_gt_u32_e32 vcc, 8, v38
	v_cndmask_b32_e32 v38, v63, v65, vcc
	v_cndmask_b32_e32 v42, v42, v64, vcc
	v_lshlrev_b32_e32 v40, 24, v40
	v_lshlrev_b32_e32 v42, 20, v42
	v_and_b32_e32 v40, 0x80000000, v40
	v_lshl_add_u32 v38, v38, 23, v48
	v_or3_b32 v38, v40, v38, v42
	v_lshrrev_b32_e32 v63, 16, v38
.LBB914_307:                            ;   in Loop: Header=BB914_213 Depth=1
	s_or_b64 exec, exec, s[18:19]
.LBB914_308:                            ;   in Loop: Header=BB914_213 Depth=1
	s_or_b64 exec, exec, s[16:17]
.LBB914_309:                            ;   in Loop: Header=BB914_213 Depth=1
	s_or_b64 exec, exec, s[14:15]
	v_perm_b32 v64, v46, v44, s27
	buffer_load_dword v44, v61, s[0:3], 0 offen
	buffer_load_dword v42, v61, s[0:3], 0 offen offset:4
	buffer_load_dword v40, v61, s[0:3], 0 offen offset:8
	;; [unrolled: 1-line block ×3, first 2 shown]
	v_perm_b32 v65, v52, v50, s27
	v_perm_b32 v63, v63, v62, s27
	;; [unrolled: 1-line block ×3, first 2 shown]
	v_mfma_f32_16x16x16bf16_1k v[34:37], v[64:65], v[6:7], v[34:37]
	s_waitcnt vmcnt(3)
	v_cmp_ne_u16_sdwa s[16:17], v44, v47 src0_sel:BYTE_0 src1_sel:DWORD
	v_mfma_f32_16x16x16bf16_1k v[34:37], v[62:63], v[8:9], v[34:37]
	s_and_saveexec_b64 s[14:15], s[16:17]
	s_cbranch_execz .LBB914_315
; %bb.310:                              ;   in Loop: Header=BB914_213 Depth=1
	v_cmp_ne_u16_sdwa s[18:19], v44, s9 src0_sel:BYTE_0 src1_sel:DWORD
	v_mov_b32_e32 v49, 0xffff8000
	s_and_saveexec_b64 s[16:17], s[18:19]
	s_cbranch_execz .LBB914_314
; %bb.311:                              ;   in Loop: Header=BB914_213 Depth=1
	v_and_b32_e32 v46, 0x7f, v44
	v_cmp_ne_u32_e32 vcc, s23, v46
	v_mov_b32_e32 v49, 0x7f80
	s_and_saveexec_b64 s[18:19], vcc
	s_cbranch_execz .LBB914_313
; %bb.312:                              ;   in Loop: Header=BB914_213 Depth=1
	v_and_b32_e32 v49, 7, v44
	v_ffbh_u32_e32 v50, v49
	v_min_u32_e32 v53, 32, v50
	v_subrev_u32_e32 v50, 28, v53
	v_lshlrev_b64 v[50:51], v50, v[44:45]
	v_lshrrev_b32_e32 v52, 3, v46
	v_sub_u32_e32 v51, 29, v53
	v_and_b32_e32 v50, 7, v50
	v_cmp_gt_u32_e32 vcc, 8, v46
	v_cndmask_b32_e32 v46, v52, v51, vcc
	v_cndmask_b32_e32 v49, v49, v50, vcc
	v_lshlrev_b32_e32 v50, 24, v44
	v_lshlrev_b32_e32 v49, 20, v49
	v_and_b32_e32 v50, 0x80000000, v50
	v_lshl_add_u32 v46, v46, 23, v48
	v_or3_b32 v46, v50, v46, v49
	v_lshrrev_b32_e32 v49, 16, v46
.LBB914_313:                            ;   in Loop: Header=BB914_213 Depth=1
	s_or_b64 exec, exec, s[18:19]
.LBB914_314:                            ;   in Loop: Header=BB914_213 Depth=1
	s_or_b64 exec, exec, s[16:17]
.LBB914_315:                            ;   in Loop: Header=BB914_213 Depth=1
	s_or_b64 exec, exec, s[14:15]
	v_lshrrev_b16_e32 v46, 8, v44
	v_cmp_ne_u16_e32 vcc, 0, v46
	v_mov_b32_e32 v51, 0
	v_mov_b32_e32 v50, 0
	s_and_saveexec_b64 s[14:15], vcc
	s_cbranch_execz .LBB914_321
; %bb.316:                              ;   in Loop: Header=BB914_213 Depth=1
	v_cmp_ne_u16_e32 vcc, s9, v46
	v_mov_b32_e32 v50, 0xffff8000
	s_and_saveexec_b64 s[16:17], vcc
	s_cbranch_execz .LBB914_320
; %bb.317:                              ;   in Loop: Header=BB914_213 Depth=1
	v_and_b32_e32 v52, 0x7f, v46
	v_cmp_ne_u32_e32 vcc, s23, v52
	v_mov_b32_e32 v50, 0x7f80
	s_and_saveexec_b64 s[18:19], vcc
	s_cbranch_execz .LBB914_319
; %bb.318:                              ;   in Loop: Header=BB914_213 Depth=1
	v_and_b32_e32 v50, 7, v46
	v_ffbh_u32_e32 v61, v50
	v_min_u32_e32 v61, 32, v61
	v_subrev_u32_e32 v62, 28, v61
	v_lshlrev_b64 v[62:63], v62, v[46:47]
	v_lshrrev_b32_e32 v53, 3, v52
	v_sub_u32_e32 v46, 29, v61
	v_and_b32_e32 v61, 7, v62
	v_cmp_gt_u32_e32 vcc, 8, v52
	v_cndmask_b32_e32 v46, v53, v46, vcc
	v_cndmask_b32_e32 v50, v50, v61, vcc
	v_lshlrev_b32_e32 v52, 16, v44
	v_lshlrev_b32_e32 v50, 20, v50
	v_and_b32_e32 v52, 0x80000000, v52
	v_lshl_add_u32 v46, v46, 23, v48
	v_or3_b32 v46, v52, v46, v50
	v_lshrrev_b32_e32 v50, 16, v46
.LBB914_319:                            ;   in Loop: Header=BB914_213 Depth=1
	s_or_b64 exec, exec, s[18:19]
.LBB914_320:                            ;   in Loop: Header=BB914_213 Depth=1
	s_or_b64 exec, exec, s[16:17]
.LBB914_321:                            ;   in Loop: Header=BB914_213 Depth=1
	s_or_b64 exec, exec, s[14:15]
	v_lshrrev_b32_e32 v46, 16, v44
	v_cmp_ne_u16_sdwa s[16:17], v46, v47 src0_sel:BYTE_0 src1_sel:DWORD
	s_and_saveexec_b64 s[14:15], s[16:17]
	s_cbranch_execz .LBB914_327
; %bb.322:                              ;   in Loop: Header=BB914_213 Depth=1
	v_cmp_ne_u16_sdwa s[18:19], v46, s9 src0_sel:BYTE_0 src1_sel:DWORD
	v_mov_b32_e32 v51, 0xffff8000
	s_and_saveexec_b64 s[16:17], s[18:19]
	s_cbranch_execz .LBB914_326
; %bb.323:                              ;   in Loop: Header=BB914_213 Depth=1
	v_bfe_u32 v52, v44, 16, 7
	v_cmp_ne_u32_e32 vcc, s23, v52
	v_mov_b32_e32 v51, 0x7f80
	s_and_saveexec_b64 s[18:19], vcc
	s_cbranch_execz .LBB914_325
; %bb.324:                              ;   in Loop: Header=BB914_213 Depth=1
	v_and_b32_e32 v51, 7, v46
	v_ffbh_u32_e32 v61, v51
	v_min_u32_e32 v61, 32, v61
	v_subrev_u32_e32 v62, 28, v61
	v_lshlrev_b64 v[62:63], v62, v[46:47]
	v_lshrrev_b32_e32 v53, 3, v52
	v_sub_u32_e32 v61, 29, v61
	v_and_b32_e32 v62, 7, v62
	v_cmp_gt_u32_e32 vcc, 8, v52
	v_cndmask_b32_e32 v52, v53, v61, vcc
	v_cndmask_b32_e32 v51, v51, v62, vcc
	v_lshlrev_b32_e32 v46, 24, v46
	v_lshlrev_b32_e32 v51, 20, v51
	v_and_b32_e32 v46, 0x80000000, v46
	v_lshl_add_u32 v52, v52, 23, v48
	v_or3_b32 v46, v46, v52, v51
	v_lshrrev_b32_e32 v51, 16, v46
.LBB914_325:                            ;   in Loop: Header=BB914_213 Depth=1
	s_or_b64 exec, exec, s[18:19]
.LBB914_326:                            ;   in Loop: Header=BB914_213 Depth=1
	s_or_b64 exec, exec, s[16:17]
.LBB914_327:                            ;   in Loop: Header=BB914_213 Depth=1
	s_or_b64 exec, exec, s[14:15]
	v_cmp_lt_u32_e32 vcc, s26, v44
	v_mov_b32_e32 v52, 0
	v_mov_b32_e32 v53, 0
	s_and_saveexec_b64 s[14:15], vcc
	s_cbranch_execz .LBB914_333
; %bb.328:                              ;   in Loop: Header=BB914_213 Depth=1
	v_lshrrev_b32_e32 v46, 24, v44
	v_cmp_ne_u32_e32 vcc, s9, v46
	v_mov_b32_e32 v53, 0xffff8000
	s_and_saveexec_b64 s[16:17], vcc
	s_cbranch_execz .LBB914_332
; %bb.329:                              ;   in Loop: Header=BB914_213 Depth=1
	v_bfe_u32 v44, v44, 24, 7
	v_cmp_ne_u32_e32 vcc, s23, v44
	v_mov_b32_e32 v53, 0x7f80
	s_and_saveexec_b64 s[18:19], vcc
	s_cbranch_execz .LBB914_331
; %bb.330:                              ;   in Loop: Header=BB914_213 Depth=1
	v_and_b32_e32 v53, 7, v46
	v_ffbh_u32_e32 v62, v53
	v_min_u32_e32 v64, 32, v62
	v_subrev_u32_e32 v62, 28, v64
	v_lshlrev_b64 v[62:63], v62, v[46:47]
	v_lshrrev_b32_e32 v61, 3, v44
	v_sub_u32_e32 v63, 29, v64
	v_and_b32_e32 v62, 7, v62
	v_cmp_gt_u32_e32 vcc, 8, v44
	v_cndmask_b32_e32 v44, v61, v63, vcc
	v_cndmask_b32_e32 v53, v53, v62, vcc
	v_lshlrev_b32_e32 v46, 24, v46
	v_lshlrev_b32_e32 v53, 20, v53
	v_and_b32_e32 v46, 0x80000000, v46
	v_lshl_add_u32 v44, v44, 23, v48
	v_or3_b32 v44, v46, v44, v53
	v_lshrrev_b32_e32 v53, 16, v44
.LBB914_331:                            ;   in Loop: Header=BB914_213 Depth=1
	s_or_b64 exec, exec, s[18:19]
.LBB914_332:                            ;   in Loop: Header=BB914_213 Depth=1
	s_or_b64 exec, exec, s[16:17]
.LBB914_333:                            ;   in Loop: Header=BB914_213 Depth=1
	s_or_b64 exec, exec, s[14:15]
	s_waitcnt vmcnt(2)
	v_cmp_ne_u16_sdwa s[16:17], v42, v47 src0_sel:BYTE_0 src1_sel:DWORD
	s_and_saveexec_b64 s[14:15], s[16:17]
	s_cbranch_execz .LBB914_339
; %bb.334:                              ;   in Loop: Header=BB914_213 Depth=1
	v_cmp_ne_u16_sdwa s[18:19], v42, s9 src0_sel:BYTE_0 src1_sel:DWORD
	v_mov_b32_e32 v52, 0xffff8000
	s_and_saveexec_b64 s[16:17], s[18:19]
	s_cbranch_execz .LBB914_338
; %bb.335:                              ;   in Loop: Header=BB914_213 Depth=1
	v_and_b32_e32 v44, 0x7f, v42
	v_cmp_ne_u32_e32 vcc, s23, v44
	v_mov_b32_e32 v52, 0x7f80
	s_and_saveexec_b64 s[18:19], vcc
	s_cbranch_execz .LBB914_337
; %bb.336:                              ;   in Loop: Header=BB914_213 Depth=1
	v_and_b32_e32 v46, 7, v42
	v_ffbh_u32_e32 v61, v46
	v_min_u32_e32 v61, 32, v61
	v_subrev_u32_e32 v62, 28, v61
	v_lshlrev_b64 v[62:63], v62, v[42:43]
	v_lshrrev_b32_e32 v52, 3, v44
	v_sub_u32_e32 v61, 29, v61
	v_and_b32_e32 v62, 7, v62
	v_cmp_gt_u32_e32 vcc, 8, v44
	v_cndmask_b32_e32 v44, v52, v61, vcc
	v_cndmask_b32_e32 v46, v46, v62, vcc
	v_lshlrev_b32_e32 v52, 24, v42
	v_lshlrev_b32_e32 v46, 20, v46
	v_and_b32_e32 v52, 0x80000000, v52
	v_lshl_add_u32 v44, v44, 23, v48
	v_or3_b32 v44, v52, v44, v46
	v_lshrrev_b32_e32 v52, 16, v44
.LBB914_337:                            ;   in Loop: Header=BB914_213 Depth=1
	s_or_b64 exec, exec, s[18:19]
.LBB914_338:                            ;   in Loop: Header=BB914_213 Depth=1
	s_or_b64 exec, exec, s[16:17]
.LBB914_339:                            ;   in Loop: Header=BB914_213 Depth=1
	s_or_b64 exec, exec, s[14:15]
	v_lshrrev_b16_e32 v44, 8, v42
	v_cmp_ne_u16_e32 vcc, 0, v44
	v_mov_b32_e32 v62, 0
	v_mov_b32_e32 v61, 0
	s_and_saveexec_b64 s[14:15], vcc
	s_cbranch_execz .LBB914_345
; %bb.340:                              ;   in Loop: Header=BB914_213 Depth=1
	v_cmp_ne_u16_e32 vcc, s9, v44
	v_mov_b32_e32 v61, 0xffff8000
	s_and_saveexec_b64 s[16:17], vcc
	s_cbranch_execz .LBB914_344
; %bb.341:                              ;   in Loop: Header=BB914_213 Depth=1
	v_and_b32_e32 v46, 0x7f, v44
	v_cmp_ne_u32_e32 vcc, s23, v46
	v_mov_b32_e32 v61, 0x7f80
	s_and_saveexec_b64 s[18:19], vcc
	s_cbranch_execz .LBB914_343
; %bb.342:                              ;   in Loop: Header=BB914_213 Depth=1
	v_and_b32_e32 v61, 7, v44
	v_ffbh_u32_e32 v64, v61
	v_min_u32_e32 v66, 32, v64
	v_subrev_u32_e32 v64, 28, v66
	v_lshlrev_b64 v[64:65], v64, v[44:45]
	v_lshrrev_b32_e32 v63, 3, v46
	v_sub_u32_e32 v44, 29, v66
	v_and_b32_e32 v64, 7, v64
	v_cmp_gt_u32_e32 vcc, 8, v46
	v_cndmask_b32_e32 v44, v63, v44, vcc
	v_cndmask_b32_e32 v46, v61, v64, vcc
	v_lshlrev_b32_e32 v61, 16, v42
	v_lshlrev_b32_e32 v46, 20, v46
	v_and_b32_e32 v61, 0x80000000, v61
	v_lshl_add_u32 v44, v44, 23, v48
	v_or3_b32 v44, v61, v44, v46
	v_lshrrev_b32_e32 v61, 16, v44
.LBB914_343:                            ;   in Loop: Header=BB914_213 Depth=1
	s_or_b64 exec, exec, s[18:19]
.LBB914_344:                            ;   in Loop: Header=BB914_213 Depth=1
	s_or_b64 exec, exec, s[16:17]
.LBB914_345:                            ;   in Loop: Header=BB914_213 Depth=1
	s_or_b64 exec, exec, s[14:15]
	v_lshrrev_b32_e32 v44, 16, v42
	v_cmp_ne_u16_sdwa s[16:17], v44, v47 src0_sel:BYTE_0 src1_sel:DWORD
	s_and_saveexec_b64 s[14:15], s[16:17]
	s_cbranch_execz .LBB914_351
; %bb.346:                              ;   in Loop: Header=BB914_213 Depth=1
	v_cmp_ne_u16_sdwa s[18:19], v44, s9 src0_sel:BYTE_0 src1_sel:DWORD
	v_mov_b32_e32 v62, 0xffff8000
	s_and_saveexec_b64 s[16:17], s[18:19]
	s_cbranch_execz .LBB914_350
; %bb.347:                              ;   in Loop: Header=BB914_213 Depth=1
	v_bfe_u32 v46, v42, 16, 7
	v_cmp_ne_u32_e32 vcc, s23, v46
	v_mov_b32_e32 v62, 0x7f80
	s_and_saveexec_b64 s[18:19], vcc
	s_cbranch_execz .LBB914_349
; %bb.348:                              ;   in Loop: Header=BB914_213 Depth=1
	v_and_b32_e32 v64, 7, v44
	v_ffbh_u32_e32 v62, v64
	v_min_u32_e32 v66, 32, v62
	v_subrev_u32_e32 v62, 28, v66
	v_lshlrev_b64 v[62:63], v62, v[44:45]
	v_lshrrev_b32_e32 v65, 3, v46
	v_sub_u32_e32 v63, 29, v66
	v_and_b32_e32 v62, 7, v62
	v_cmp_gt_u32_e32 vcc, 8, v46
	v_cndmask_b32_e32 v46, v65, v63, vcc
	v_cndmask_b32_e32 v62, v64, v62, vcc
	v_lshlrev_b32_e32 v44, 24, v44
	v_lshlrev_b32_e32 v62, 20, v62
	v_and_b32_e32 v44, 0x80000000, v44
	v_lshl_add_u32 v46, v46, 23, v48
	v_or3_b32 v44, v44, v46, v62
	v_lshrrev_b32_e32 v62, 16, v44
.LBB914_349:                            ;   in Loop: Header=BB914_213 Depth=1
	s_or_b64 exec, exec, s[18:19]
.LBB914_350:                            ;   in Loop: Header=BB914_213 Depth=1
	s_or_b64 exec, exec, s[16:17]
.LBB914_351:                            ;   in Loop: Header=BB914_213 Depth=1
	s_or_b64 exec, exec, s[14:15]
	v_cmp_lt_u32_e32 vcc, s26, v42
	v_mov_b32_e32 v46, 0
	v_mov_b32_e32 v63, 0
	s_and_saveexec_b64 s[14:15], vcc
	s_cbranch_execz .LBB914_357
; %bb.352:                              ;   in Loop: Header=BB914_213 Depth=1
	v_lshrrev_b32_e32 v44, 24, v42
	v_cmp_ne_u32_e32 vcc, s9, v44
	v_mov_b32_e32 v63, 0xffff8000
	s_and_saveexec_b64 s[16:17], vcc
	s_cbranch_execz .LBB914_356
; %bb.353:                              ;   in Loop: Header=BB914_213 Depth=1
	v_bfe_u32 v42, v42, 24, 7
	v_cmp_ne_u32_e32 vcc, s23, v42
	v_mov_b32_e32 v63, 0x7f80
	s_and_saveexec_b64 s[18:19], vcc
	s_cbranch_execz .LBB914_355
; %bb.354:                              ;   in Loop: Header=BB914_213 Depth=1
	v_and_b32_e32 v63, 7, v44
	v_ffbh_u32_e32 v64, v63
	v_min_u32_e32 v67, 32, v64
	v_subrev_u32_e32 v64, 28, v67
	v_lshlrev_b64 v[64:65], v64, v[44:45]
	v_lshrrev_b32_e32 v66, 3, v42
	v_sub_u32_e32 v65, 29, v67
	v_and_b32_e32 v64, 7, v64
	v_cmp_gt_u32_e32 vcc, 8, v42
	v_cndmask_b32_e32 v42, v66, v65, vcc
	v_cndmask_b32_e32 v63, v63, v64, vcc
	v_lshlrev_b32_e32 v44, 24, v44
	v_lshlrev_b32_e32 v63, 20, v63
	v_and_b32_e32 v44, 0x80000000, v44
	v_lshl_add_u32 v42, v42, 23, v48
	v_or3_b32 v42, v44, v42, v63
	v_lshrrev_b32_e32 v63, 16, v42
.LBB914_355:                            ;   in Loop: Header=BB914_213 Depth=1
	s_or_b64 exec, exec, s[18:19]
.LBB914_356:                            ;   in Loop: Header=BB914_213 Depth=1
	s_or_b64 exec, exec, s[16:17]
.LBB914_357:                            ;   in Loop: Header=BB914_213 Depth=1
	s_or_b64 exec, exec, s[14:15]
	v_perm_b32 v51, v53, v51, s27
	v_perm_b32 v50, v50, v49, s27
	s_waitcnt vmcnt(1)
	v_cmp_ne_u16_sdwa s[16:17], v40, v47 src0_sel:BYTE_0 src1_sel:DWORD
	v_mfma_f32_16x16x16bf16_1k v[34:37], v[50:51], v[10:11], v[34:37]
	v_perm_b32 v51, v63, v62, s27
	v_perm_b32 v50, v61, v52, s27
	s_nop 1
	v_mfma_f32_16x16x16bf16_1k v[34:37], v[50:51], v[12:13], v[34:37]
	s_and_saveexec_b64 s[14:15], s[16:17]
	s_cbranch_execz .LBB914_363
; %bb.358:                              ;   in Loop: Header=BB914_213 Depth=1
	v_cmp_ne_u16_sdwa s[18:19], v40, s9 src0_sel:BYTE_0 src1_sel:DWORD
	v_mov_b32_e32 v46, 0xffff8000
	s_and_saveexec_b64 s[16:17], s[18:19]
	s_cbranch_execz .LBB914_362
; %bb.359:                              ;   in Loop: Header=BB914_213 Depth=1
	v_and_b32_e32 v42, 0x7f, v40
	v_cmp_ne_u32_e32 vcc, s23, v42
	v_mov_b32_e32 v46, 0x7f80
	s_and_saveexec_b64 s[18:19], vcc
	s_cbranch_execz .LBB914_361
; %bb.360:                              ;   in Loop: Header=BB914_213 Depth=1
	v_and_b32_e32 v44, 7, v40
	v_ffbh_u32_e32 v49, v44
	v_min_u32_e32 v49, 32, v49
	v_subrev_u32_e32 v50, 28, v49
	v_lshlrev_b64 v[50:51], v50, v[40:41]
	v_lshrrev_b32_e32 v46, 3, v42
	v_sub_u32_e32 v49, 29, v49
	v_and_b32_e32 v50, 7, v50
	v_cmp_gt_u32_e32 vcc, 8, v42
	v_cndmask_b32_e32 v42, v46, v49, vcc
	v_cndmask_b32_e32 v44, v44, v50, vcc
	v_lshlrev_b32_e32 v46, 24, v40
	v_lshlrev_b32_e32 v44, 20, v44
	v_and_b32_e32 v46, 0x80000000, v46
	v_lshl_add_u32 v42, v42, 23, v48
	v_or3_b32 v42, v46, v42, v44
	v_lshrrev_b32_e32 v46, 16, v42
.LBB914_361:                            ;   in Loop: Header=BB914_213 Depth=1
	s_or_b64 exec, exec, s[18:19]
.LBB914_362:                            ;   in Loop: Header=BB914_213 Depth=1
	s_or_b64 exec, exec, s[16:17]
.LBB914_363:                            ;   in Loop: Header=BB914_213 Depth=1
	s_or_b64 exec, exec, s[14:15]
	v_lshrrev_b16_e32 v42, 8, v40
	v_cmp_ne_u16_e32 vcc, 0, v42
	v_mov_b32_e32 v50, 0
	v_mov_b32_e32 v44, 0
	s_and_saveexec_b64 s[14:15], vcc
	s_cbranch_execz .LBB914_369
; %bb.364:                              ;   in Loop: Header=BB914_213 Depth=1
	v_cmp_ne_u16_e32 vcc, s9, v42
	v_mov_b32_e32 v44, 0xffff8000
	s_and_saveexec_b64 s[16:17], vcc
	s_cbranch_execz .LBB914_368
; %bb.365:                              ;   in Loop: Header=BB914_213 Depth=1
	v_and_b32_e32 v49, 0x7f, v42
	v_cmp_ne_u32_e32 vcc, s23, v49
	v_mov_b32_e32 v44, 0x7f80
	s_and_saveexec_b64 s[18:19], vcc
	s_cbranch_execz .LBB914_367
; %bb.366:                              ;   in Loop: Header=BB914_213 Depth=1
	v_and_b32_e32 v44, 7, v42
	v_ffbh_u32_e32 v52, v44
	v_min_u32_e32 v61, 32, v52
	v_subrev_u32_e32 v52, 28, v61
	v_lshlrev_b64 v[52:53], v52, v[42:43]
	v_lshrrev_b32_e32 v51, 3, v49
	v_sub_u32_e32 v42, 29, v61
	v_and_b32_e32 v52, 7, v52
	v_cmp_gt_u32_e32 vcc, 8, v49
	v_cndmask_b32_e32 v42, v51, v42, vcc
	v_cndmask_b32_e32 v44, v44, v52, vcc
	v_lshlrev_b32_e32 v49, 16, v40
	v_lshlrev_b32_e32 v44, 20, v44
	v_and_b32_e32 v49, 0x80000000, v49
	v_lshl_add_u32 v42, v42, 23, v48
	v_or3_b32 v42, v49, v42, v44
	v_lshrrev_b32_e32 v44, 16, v42
.LBB914_367:                            ;   in Loop: Header=BB914_213 Depth=1
	s_or_b64 exec, exec, s[18:19]
.LBB914_368:                            ;   in Loop: Header=BB914_213 Depth=1
	s_or_b64 exec, exec, s[16:17]
.LBB914_369:                            ;   in Loop: Header=BB914_213 Depth=1
	s_or_b64 exec, exec, s[14:15]
	v_lshrrev_b32_e32 v42, 16, v40
	v_cmp_ne_u16_sdwa s[16:17], v42, v47 src0_sel:BYTE_0 src1_sel:DWORD
	s_and_saveexec_b64 s[14:15], s[16:17]
	s_cbranch_execz .LBB914_375
; %bb.370:                              ;   in Loop: Header=BB914_213 Depth=1
	v_cmp_ne_u16_sdwa s[18:19], v42, s9 src0_sel:BYTE_0 src1_sel:DWORD
	v_mov_b32_e32 v50, 0xffff8000
	s_and_saveexec_b64 s[16:17], s[18:19]
	s_cbranch_execz .LBB914_374
; %bb.371:                              ;   in Loop: Header=BB914_213 Depth=1
	v_bfe_u32 v49, v40, 16, 7
	v_cmp_ne_u32_e32 vcc, s23, v49
	v_mov_b32_e32 v50, 0x7f80
	s_and_saveexec_b64 s[18:19], vcc
	s_cbranch_execz .LBB914_373
; %bb.372:                              ;   in Loop: Header=BB914_213 Depth=1
	v_and_b32_e32 v52, 7, v42
	v_ffbh_u32_e32 v50, v52
	v_min_u32_e32 v61, 32, v50
	v_subrev_u32_e32 v50, 28, v61
	v_lshlrev_b64 v[50:51], v50, v[42:43]
	v_lshrrev_b32_e32 v53, 3, v49
	v_sub_u32_e32 v51, 29, v61
	v_and_b32_e32 v50, 7, v50
	v_cmp_gt_u32_e32 vcc, 8, v49
	v_cndmask_b32_e32 v49, v53, v51, vcc
	v_cndmask_b32_e32 v50, v52, v50, vcc
	v_lshlrev_b32_e32 v42, 24, v42
	v_lshlrev_b32_e32 v50, 20, v50
	v_and_b32_e32 v42, 0x80000000, v42
	v_lshl_add_u32 v49, v49, 23, v48
	v_or3_b32 v42, v42, v49, v50
	v_lshrrev_b32_e32 v50, 16, v42
.LBB914_373:                            ;   in Loop: Header=BB914_213 Depth=1
	s_or_b64 exec, exec, s[18:19]
.LBB914_374:                            ;   in Loop: Header=BB914_213 Depth=1
	s_or_b64 exec, exec, s[16:17]
.LBB914_375:                            ;   in Loop: Header=BB914_213 Depth=1
	s_or_b64 exec, exec, s[14:15]
	v_cmp_lt_u32_e32 vcc, s26, v40
	v_mov_b32_e32 v51, 0
	v_mov_b32_e32 v52, 0
	s_and_saveexec_b64 s[14:15], vcc
	s_cbranch_execz .LBB914_381
; %bb.376:                              ;   in Loop: Header=BB914_213 Depth=1
	v_lshrrev_b32_e32 v42, 24, v40
	v_cmp_ne_u32_e32 vcc, s9, v42
	v_mov_b32_e32 v52, 0xffff8000
	s_and_saveexec_b64 s[16:17], vcc
	s_cbranch_execz .LBB914_380
; %bb.377:                              ;   in Loop: Header=BB914_213 Depth=1
	v_bfe_u32 v40, v40, 24, 7
	v_cmp_ne_u32_e32 vcc, s23, v40
	v_mov_b32_e32 v52, 0x7f80
	s_and_saveexec_b64 s[18:19], vcc
	s_cbranch_execz .LBB914_379
; %bb.378:                              ;   in Loop: Header=BB914_213 Depth=1
	v_and_b32_e32 v49, 7, v42
	v_ffbh_u32_e32 v52, v49
	v_min_u32_e32 v62, 32, v52
	v_subrev_u32_e32 v52, 28, v62
	v_lshlrev_b64 v[52:53], v52, v[42:43]
	v_lshrrev_b32_e32 v61, 3, v40
	v_sub_u32_e32 v53, 29, v62
	v_and_b32_e32 v52, 7, v52
	v_cmp_gt_u32_e32 vcc, 8, v40
	v_cndmask_b32_e32 v40, v61, v53, vcc
	v_cndmask_b32_e32 v49, v49, v52, vcc
	v_lshlrev_b32_e32 v42, 24, v42
	v_lshlrev_b32_e32 v49, 20, v49
	v_and_b32_e32 v42, 0x80000000, v42
	v_lshl_add_u32 v40, v40, 23, v48
	v_or3_b32 v40, v42, v40, v49
	v_lshrrev_b32_e32 v52, 16, v40
.LBB914_379:                            ;   in Loop: Header=BB914_213 Depth=1
	s_or_b64 exec, exec, s[18:19]
.LBB914_380:                            ;   in Loop: Header=BB914_213 Depth=1
	s_or_b64 exec, exec, s[16:17]
.LBB914_381:                            ;   in Loop: Header=BB914_213 Depth=1
	s_or_b64 exec, exec, s[14:15]
	s_waitcnt vmcnt(0)
	v_cmp_ne_u16_sdwa s[16:17], v38, v47 src0_sel:BYTE_0 src1_sel:DWORD
	s_and_saveexec_b64 s[14:15], s[16:17]
	s_cbranch_execz .LBB914_387
; %bb.382:                              ;   in Loop: Header=BB914_213 Depth=1
	v_cmp_ne_u16_sdwa s[18:19], v38, s9 src0_sel:BYTE_0 src1_sel:DWORD
	v_mov_b32_e32 v51, 0xffff8000
	s_and_saveexec_b64 s[16:17], s[18:19]
	s_cbranch_execz .LBB914_386
; %bb.383:                              ;   in Loop: Header=BB914_213 Depth=1
	v_and_b32_e32 v40, 0x7f, v38
	v_cmp_ne_u32_e32 vcc, s23, v40
	v_mov_b32_e32 v51, 0x7f80
	s_and_saveexec_b64 s[18:19], vcc
	s_cbranch_execz .LBB914_385
; %bb.384:                              ;   in Loop: Header=BB914_213 Depth=1
	v_and_b32_e32 v42, 7, v38
	v_ffbh_u32_e32 v51, v42
	v_min_u32_e32 v51, 32, v51
	v_subrev_u32_e32 v53, 28, v51
	v_lshlrev_b64 v[62:63], v53, v[38:39]
	v_lshrrev_b32_e32 v49, 3, v40
	v_sub_u32_e32 v51, 29, v51
	v_and_b32_e32 v53, 7, v62
	v_cmp_gt_u32_e32 vcc, 8, v40
	v_cndmask_b32_e32 v40, v49, v51, vcc
	v_cndmask_b32_e32 v42, v42, v53, vcc
	v_lshlrev_b32_e32 v49, 24, v38
	v_lshlrev_b32_e32 v42, 20, v42
	v_and_b32_e32 v49, 0x80000000, v49
	v_lshl_add_u32 v40, v40, 23, v48
	v_or3_b32 v40, v49, v40, v42
	v_lshrrev_b32_e32 v51, 16, v40
.LBB914_385:                            ;   in Loop: Header=BB914_213 Depth=1
	s_or_b64 exec, exec, s[18:19]
.LBB914_386:                            ;   in Loop: Header=BB914_213 Depth=1
	s_or_b64 exec, exec, s[16:17]
.LBB914_387:                            ;   in Loop: Header=BB914_213 Depth=1
	s_or_b64 exec, exec, s[14:15]
	v_lshrrev_b16_e32 v40, 8, v38
	v_cmp_ne_u16_e32 vcc, 0, v40
	v_mov_b32_e32 v61, 0
	v_mov_b32_e32 v53, 0
	s_and_saveexec_b64 s[14:15], vcc
	s_cbranch_execz .LBB914_393
; %bb.388:                              ;   in Loop: Header=BB914_213 Depth=1
	v_cmp_ne_u16_e32 vcc, s9, v40
	v_mov_b32_e32 v53, 0xffff8000
	s_and_saveexec_b64 s[16:17], vcc
	s_cbranch_execz .LBB914_392
; %bb.389:                              ;   in Loop: Header=BB914_213 Depth=1
	v_and_b32_e32 v42, 0x7f, v40
	v_cmp_ne_u32_e32 vcc, s23, v42
	v_mov_b32_e32 v53, 0x7f80
	s_and_saveexec_b64 s[18:19], vcc
	s_cbranch_execz .LBB914_391
; %bb.390:                              ;   in Loop: Header=BB914_213 Depth=1
	v_and_b32_e32 v49, 7, v40
	v_ffbh_u32_e32 v62, v49
	v_min_u32_e32 v64, 32, v62
	v_subrev_u32_e32 v62, 28, v64
	v_lshlrev_b64 v[62:63], v62, v[40:41]
	v_lshrrev_b32_e32 v53, 3, v42
	v_sub_u32_e32 v40, 29, v64
	v_and_b32_e32 v62, 7, v62
	v_cmp_gt_u32_e32 vcc, 8, v42
	v_cndmask_b32_e32 v40, v53, v40, vcc
	v_cndmask_b32_e32 v42, v49, v62, vcc
	v_lshlrev_b32_e32 v49, 16, v38
	v_lshlrev_b32_e32 v42, 20, v42
	v_and_b32_e32 v49, 0x80000000, v49
	v_lshl_add_u32 v40, v40, 23, v48
	v_or3_b32 v40, v49, v40, v42
	v_lshrrev_b32_e32 v53, 16, v40
.LBB914_391:                            ;   in Loop: Header=BB914_213 Depth=1
	s_or_b64 exec, exec, s[18:19]
.LBB914_392:                            ;   in Loop: Header=BB914_213 Depth=1
	s_or_b64 exec, exec, s[16:17]
.LBB914_393:                            ;   in Loop: Header=BB914_213 Depth=1
	s_or_b64 exec, exec, s[14:15]
	v_lshrrev_b32_e32 v40, 16, v38
	v_cmp_ne_u16_sdwa s[16:17], v40, v47 src0_sel:BYTE_0 src1_sel:DWORD
	s_and_saveexec_b64 s[14:15], s[16:17]
	s_cbranch_execz .LBB914_399
; %bb.394:                              ;   in Loop: Header=BB914_213 Depth=1
	v_cmp_ne_u16_sdwa s[18:19], v40, s9 src0_sel:BYTE_0 src1_sel:DWORD
	v_mov_b32_e32 v61, 0xffff8000
	s_and_saveexec_b64 s[16:17], s[18:19]
	s_cbranch_execz .LBB914_398
; %bb.395:                              ;   in Loop: Header=BB914_213 Depth=1
	v_bfe_u32 v42, v38, 16, 7
	v_cmp_ne_u32_e32 vcc, s23, v42
	v_mov_b32_e32 v61, 0x7f80
	s_and_saveexec_b64 s[18:19], vcc
	s_cbranch_execz .LBB914_397
; %bb.396:                              ;   in Loop: Header=BB914_213 Depth=1
	v_and_b32_e32 v49, 7, v40
	v_ffbh_u32_e32 v62, v49
	v_min_u32_e32 v64, 32, v62
	v_subrev_u32_e32 v62, 28, v64
	v_lshlrev_b64 v[62:63], v62, v[40:41]
	v_lshrrev_b32_e32 v61, 3, v42
	v_sub_u32_e32 v63, 29, v64
	v_and_b32_e32 v62, 7, v62
	v_cmp_gt_u32_e32 vcc, 8, v42
	v_cndmask_b32_e32 v42, v61, v63, vcc
	v_cndmask_b32_e32 v49, v49, v62, vcc
	v_lshlrev_b32_e32 v40, 24, v40
	v_lshlrev_b32_e32 v49, 20, v49
	v_and_b32_e32 v40, 0x80000000, v40
	v_lshl_add_u32 v42, v42, 23, v48
	v_or3_b32 v40, v40, v42, v49
	v_lshrrev_b32_e32 v61, 16, v40
.LBB914_397:                            ;   in Loop: Header=BB914_213 Depth=1
	s_or_b64 exec, exec, s[18:19]
.LBB914_398:                            ;   in Loop: Header=BB914_213 Depth=1
	s_or_b64 exec, exec, s[16:17]
.LBB914_399:                            ;   in Loop: Header=BB914_213 Depth=1
	s_or_b64 exec, exec, s[14:15]
	v_cmp_lt_u32_e32 vcc, s26, v38
	v_mov_b32_e32 v49, 0
	v_mov_b32_e32 v62, 0
	s_and_saveexec_b64 s[14:15], vcc
	s_cbranch_execz .LBB914_405
; %bb.400:                              ;   in Loop: Header=BB914_213 Depth=1
	v_lshrrev_b32_e32 v40, 24, v38
	v_cmp_ne_u32_e32 vcc, s9, v40
	v_mov_b32_e32 v62, 0xffff8000
	s_and_saveexec_b64 s[16:17], vcc
	s_cbranch_execz .LBB914_404
; %bb.401:                              ;   in Loop: Header=BB914_213 Depth=1
	v_bfe_u32 v38, v38, 24, 7
	v_cmp_ne_u32_e32 vcc, s23, v38
	v_mov_b32_e32 v62, 0x7f80
	s_and_saveexec_b64 s[18:19], vcc
	s_cbranch_execz .LBB914_403
; %bb.402:                              ;   in Loop: Header=BB914_213 Depth=1
	v_and_b32_e32 v42, 7, v40
	v_ffbh_u32_e32 v62, v42
	v_min_u32_e32 v65, 32, v62
	v_subrev_u32_e32 v62, 28, v65
	v_lshlrev_b64 v[62:63], v62, v[40:41]
	v_lshrrev_b32_e32 v64, 3, v38
	v_sub_u32_e32 v63, 29, v65
	v_and_b32_e32 v62, 7, v62
	v_cmp_gt_u32_e32 vcc, 8, v38
	v_cndmask_b32_e32 v38, v64, v63, vcc
	v_cndmask_b32_e32 v42, v42, v62, vcc
	v_lshlrev_b32_e32 v40, 24, v40
	v_lshlrev_b32_e32 v42, 20, v42
	v_and_b32_e32 v40, 0x80000000, v40
	v_lshl_add_u32 v38, v38, 23, v48
	v_or3_b32 v38, v40, v38, v42
	v_lshrrev_b32_e32 v62, 16, v38
.LBB914_403:                            ;   in Loop: Header=BB914_213 Depth=1
	s_or_b64 exec, exec, s[18:19]
.LBB914_404:                            ;   in Loop: Header=BB914_213 Depth=1
	s_or_b64 exec, exec, s[16:17]
.LBB914_405:                            ;   in Loop: Header=BB914_213 Depth=1
	s_or_b64 exec, exec, s[14:15]
	v_perm_b32 v64, v44, v46, s27
	buffer_load_dword v44, v60, s[0:3], 0 offen
	buffer_load_dword v42, v60, s[0:3], 0 offen offset:4
	buffer_load_dword v40, v60, s[0:3], 0 offen offset:8
	;; [unrolled: 1-line block ×3, first 2 shown]
	v_perm_b32 v65, v52, v50, s27
	v_perm_b32 v61, v62, v61, s27
	;; [unrolled: 1-line block ×3, first 2 shown]
	v_mfma_f32_16x16x16bf16_1k v[34:37], v[64:65], v[14:15], v[34:37]
	s_waitcnt vmcnt(3)
	v_cmp_ne_u16_sdwa s[16:17], v44, v47 src0_sel:BYTE_0 src1_sel:DWORD
	v_mfma_f32_16x16x16bf16_1k v[34:37], v[60:61], v[16:17], v[34:37]
	s_and_saveexec_b64 s[14:15], s[16:17]
	s_cbranch_execz .LBB914_411
; %bb.406:                              ;   in Loop: Header=BB914_213 Depth=1
	v_cmp_ne_u16_sdwa s[18:19], v44, s9 src0_sel:BYTE_0 src1_sel:DWORD
	v_mov_b32_e32 v49, 0xffff8000
	s_and_saveexec_b64 s[16:17], s[18:19]
	s_cbranch_execz .LBB914_410
; %bb.407:                              ;   in Loop: Header=BB914_213 Depth=1
	v_and_b32_e32 v46, 0x7f, v44
	v_cmp_ne_u32_e32 vcc, s23, v46
	v_mov_b32_e32 v49, 0x7f80
	s_and_saveexec_b64 s[18:19], vcc
	s_cbranch_execz .LBB914_409
; %bb.408:                              ;   in Loop: Header=BB914_213 Depth=1
	v_and_b32_e32 v49, 7, v44
	v_ffbh_u32_e32 v50, v49
	v_min_u32_e32 v53, 32, v50
	v_subrev_u32_e32 v50, 28, v53
	v_lshlrev_b64 v[50:51], v50, v[44:45]
	v_lshrrev_b32_e32 v52, 3, v46
	v_sub_u32_e32 v51, 29, v53
	v_and_b32_e32 v50, 7, v50
	v_cmp_gt_u32_e32 vcc, 8, v46
	v_cndmask_b32_e32 v46, v52, v51, vcc
	v_cndmask_b32_e32 v49, v49, v50, vcc
	v_lshlrev_b32_e32 v50, 24, v44
	v_lshlrev_b32_e32 v49, 20, v49
	v_and_b32_e32 v50, 0x80000000, v50
	v_lshl_add_u32 v46, v46, 23, v48
	v_or3_b32 v46, v50, v46, v49
	v_lshrrev_b32_e32 v49, 16, v46
.LBB914_409:                            ;   in Loop: Header=BB914_213 Depth=1
	s_or_b64 exec, exec, s[18:19]
.LBB914_410:                            ;   in Loop: Header=BB914_213 Depth=1
	s_or_b64 exec, exec, s[16:17]
.LBB914_411:                            ;   in Loop: Header=BB914_213 Depth=1
	s_or_b64 exec, exec, s[14:15]
	v_lshrrev_b16_e32 v46, 8, v44
	v_cmp_ne_u16_e32 vcc, 0, v46
	v_mov_b32_e32 v51, 0
	v_mov_b32_e32 v50, 0
	s_and_saveexec_b64 s[14:15], vcc
	s_cbranch_execz .LBB914_417
; %bb.412:                              ;   in Loop: Header=BB914_213 Depth=1
	v_cmp_ne_u16_e32 vcc, s9, v46
	v_mov_b32_e32 v50, 0xffff8000
	s_and_saveexec_b64 s[16:17], vcc
	s_cbranch_execz .LBB914_416
; %bb.413:                              ;   in Loop: Header=BB914_213 Depth=1
	v_and_b32_e32 v52, 0x7f, v46
	v_cmp_ne_u32_e32 vcc, s23, v52
	v_mov_b32_e32 v50, 0x7f80
	s_and_saveexec_b64 s[18:19], vcc
	s_cbranch_execz .LBB914_415
; %bb.414:                              ;   in Loop: Header=BB914_213 Depth=1
	v_and_b32_e32 v50, 7, v46
	v_ffbh_u32_e32 v60, v50
	v_min_u32_e32 v62, 32, v60
	v_subrev_u32_e32 v60, 28, v62
	v_lshlrev_b64 v[60:61], v60, v[46:47]
	v_lshrrev_b32_e32 v53, 3, v52
	v_sub_u32_e32 v46, 29, v62
	v_and_b32_e32 v60, 7, v60
	v_cmp_gt_u32_e32 vcc, 8, v52
	v_cndmask_b32_e32 v46, v53, v46, vcc
	v_cndmask_b32_e32 v50, v50, v60, vcc
	v_lshlrev_b32_e32 v52, 16, v44
	v_lshlrev_b32_e32 v50, 20, v50
	v_and_b32_e32 v52, 0x80000000, v52
	v_lshl_add_u32 v46, v46, 23, v48
	v_or3_b32 v46, v52, v46, v50
	v_lshrrev_b32_e32 v50, 16, v46
.LBB914_415:                            ;   in Loop: Header=BB914_213 Depth=1
	s_or_b64 exec, exec, s[18:19]
.LBB914_416:                            ;   in Loop: Header=BB914_213 Depth=1
	s_or_b64 exec, exec, s[16:17]
.LBB914_417:                            ;   in Loop: Header=BB914_213 Depth=1
	s_or_b64 exec, exec, s[14:15]
	v_lshrrev_b32_e32 v46, 16, v44
	v_cmp_ne_u16_sdwa s[16:17], v46, v47 src0_sel:BYTE_0 src1_sel:DWORD
	s_and_saveexec_b64 s[14:15], s[16:17]
	s_cbranch_execz .LBB914_423
; %bb.418:                              ;   in Loop: Header=BB914_213 Depth=1
	v_cmp_ne_u16_sdwa s[18:19], v46, s9 src0_sel:BYTE_0 src1_sel:DWORD
	v_mov_b32_e32 v51, 0xffff8000
	s_and_saveexec_b64 s[16:17], s[18:19]
	s_cbranch_execz .LBB914_422
; %bb.419:                              ;   in Loop: Header=BB914_213 Depth=1
	v_bfe_u32 v52, v44, 16, 7
	v_cmp_ne_u32_e32 vcc, s23, v52
	v_mov_b32_e32 v51, 0x7f80
	s_and_saveexec_b64 s[18:19], vcc
	s_cbranch_execz .LBB914_421
; %bb.420:                              ;   in Loop: Header=BB914_213 Depth=1
	v_and_b32_e32 v51, 7, v46
	v_ffbh_u32_e32 v60, v51
	v_min_u32_e32 v62, 32, v60
	v_subrev_u32_e32 v60, 28, v62
	v_lshlrev_b64 v[60:61], v60, v[46:47]
	v_lshrrev_b32_e32 v53, 3, v52
	v_sub_u32_e32 v61, 29, v62
	v_and_b32_e32 v60, 7, v60
	v_cmp_gt_u32_e32 vcc, 8, v52
	v_cndmask_b32_e32 v52, v53, v61, vcc
	v_cndmask_b32_e32 v51, v51, v60, vcc
	v_lshlrev_b32_e32 v46, 24, v46
	v_lshlrev_b32_e32 v51, 20, v51
	v_and_b32_e32 v46, 0x80000000, v46
	v_lshl_add_u32 v52, v52, 23, v48
	v_or3_b32 v46, v46, v52, v51
	v_lshrrev_b32_e32 v51, 16, v46
.LBB914_421:                            ;   in Loop: Header=BB914_213 Depth=1
	s_or_b64 exec, exec, s[18:19]
.LBB914_422:                            ;   in Loop: Header=BB914_213 Depth=1
	s_or_b64 exec, exec, s[16:17]
.LBB914_423:                            ;   in Loop: Header=BB914_213 Depth=1
	s_or_b64 exec, exec, s[14:15]
	v_cmp_lt_u32_e32 vcc, s26, v44
	v_mov_b32_e32 v52, 0
	v_mov_b32_e32 v53, 0
	s_and_saveexec_b64 s[14:15], vcc
	s_cbranch_execz .LBB914_429
; %bb.424:                              ;   in Loop: Header=BB914_213 Depth=1
	v_lshrrev_b32_e32 v46, 24, v44
	v_cmp_ne_u32_e32 vcc, s9, v46
	v_mov_b32_e32 v53, 0xffff8000
	s_and_saveexec_b64 s[16:17], vcc
	s_cbranch_execz .LBB914_428
; %bb.425:                              ;   in Loop: Header=BB914_213 Depth=1
	v_bfe_u32 v44, v44, 24, 7
	v_cmp_ne_u32_e32 vcc, s23, v44
	v_mov_b32_e32 v53, 0x7f80
	s_and_saveexec_b64 s[18:19], vcc
	s_cbranch_execz .LBB914_427
; %bb.426:                              ;   in Loop: Header=BB914_213 Depth=1
	v_and_b32_e32 v53, 7, v46
	v_ffbh_u32_e32 v60, v53
	v_min_u32_e32 v63, 32, v60
	v_subrev_u32_e32 v60, 28, v63
	v_lshlrev_b64 v[60:61], v60, v[46:47]
	v_lshrrev_b32_e32 v62, 3, v44
	v_sub_u32_e32 v61, 29, v63
	v_and_b32_e32 v60, 7, v60
	v_cmp_gt_u32_e32 vcc, 8, v44
	v_cndmask_b32_e32 v44, v62, v61, vcc
	v_cndmask_b32_e32 v53, v53, v60, vcc
	v_lshlrev_b32_e32 v46, 24, v46
	v_lshlrev_b32_e32 v53, 20, v53
	v_and_b32_e32 v46, 0x80000000, v46
	v_lshl_add_u32 v44, v44, 23, v48
	v_or3_b32 v44, v46, v44, v53
	v_lshrrev_b32_e32 v53, 16, v44
.LBB914_427:                            ;   in Loop: Header=BB914_213 Depth=1
	s_or_b64 exec, exec, s[18:19]
.LBB914_428:                            ;   in Loop: Header=BB914_213 Depth=1
	s_or_b64 exec, exec, s[16:17]
.LBB914_429:                            ;   in Loop: Header=BB914_213 Depth=1
	s_or_b64 exec, exec, s[14:15]
	s_waitcnt vmcnt(2)
	v_cmp_ne_u16_sdwa s[16:17], v42, v47 src0_sel:BYTE_0 src1_sel:DWORD
	s_and_saveexec_b64 s[14:15], s[16:17]
	s_cbranch_execz .LBB914_435
; %bb.430:                              ;   in Loop: Header=BB914_213 Depth=1
	v_cmp_ne_u16_sdwa s[18:19], v42, s9 src0_sel:BYTE_0 src1_sel:DWORD
	v_mov_b32_e32 v52, 0xffff8000
	s_and_saveexec_b64 s[16:17], s[18:19]
	s_cbranch_execz .LBB914_434
; %bb.431:                              ;   in Loop: Header=BB914_213 Depth=1
	v_and_b32_e32 v44, 0x7f, v42
	v_cmp_ne_u32_e32 vcc, s23, v44
	v_mov_b32_e32 v52, 0x7f80
	s_and_saveexec_b64 s[18:19], vcc
	s_cbranch_execz .LBB914_433
; %bb.432:                              ;   in Loop: Header=BB914_213 Depth=1
	v_and_b32_e32 v46, 7, v42
	v_ffbh_u32_e32 v60, v46
	v_min_u32_e32 v62, 32, v60
	v_subrev_u32_e32 v60, 28, v62
	v_lshlrev_b64 v[60:61], v60, v[42:43]
	v_lshrrev_b32_e32 v52, 3, v44
	v_sub_u32_e32 v61, 29, v62
	v_and_b32_e32 v60, 7, v60
	v_cmp_gt_u32_e32 vcc, 8, v44
	v_cndmask_b32_e32 v44, v52, v61, vcc
	v_cndmask_b32_e32 v46, v46, v60, vcc
	v_lshlrev_b32_e32 v52, 24, v42
	v_lshlrev_b32_e32 v46, 20, v46
	v_and_b32_e32 v52, 0x80000000, v52
	v_lshl_add_u32 v44, v44, 23, v48
	v_or3_b32 v44, v52, v44, v46
	v_lshrrev_b32_e32 v52, 16, v44
.LBB914_433:                            ;   in Loop: Header=BB914_213 Depth=1
	s_or_b64 exec, exec, s[18:19]
.LBB914_434:                            ;   in Loop: Header=BB914_213 Depth=1
	s_or_b64 exec, exec, s[16:17]
.LBB914_435:                            ;   in Loop: Header=BB914_213 Depth=1
	s_or_b64 exec, exec, s[14:15]
	v_lshrrev_b16_e32 v44, 8, v42
	v_cmp_ne_u16_e32 vcc, 0, v44
	v_mov_b32_e32 v61, 0
	v_mov_b32_e32 v60, 0
	s_and_saveexec_b64 s[14:15], vcc
	s_cbranch_execz .LBB914_441
; %bb.436:                              ;   in Loop: Header=BB914_213 Depth=1
	v_cmp_ne_u16_e32 vcc, s9, v44
	v_mov_b32_e32 v60, 0xffff8000
	s_and_saveexec_b64 s[16:17], vcc
	s_cbranch_execz .LBB914_440
; %bb.437:                              ;   in Loop: Header=BB914_213 Depth=1
	v_and_b32_e32 v46, 0x7f, v44
	v_cmp_ne_u32_e32 vcc, s23, v46
	v_mov_b32_e32 v60, 0x7f80
	s_and_saveexec_b64 s[18:19], vcc
	s_cbranch_execz .LBB914_439
; %bb.438:                              ;   in Loop: Header=BB914_213 Depth=1
	v_and_b32_e32 v60, 7, v44
	v_ffbh_u32_e32 v62, v60
	v_min_u32_e32 v65, 32, v62
	v_subrev_u32_e32 v62, 28, v65
	v_lshlrev_b64 v[62:63], v62, v[44:45]
	v_lshrrev_b32_e32 v64, 3, v46
	v_sub_u32_e32 v44, 29, v65
	v_and_b32_e32 v62, 7, v62
	v_cmp_gt_u32_e32 vcc, 8, v46
	v_cndmask_b32_e32 v44, v64, v44, vcc
	v_cndmask_b32_e32 v46, v60, v62, vcc
	v_lshlrev_b32_e32 v60, 16, v42
	v_lshlrev_b32_e32 v46, 20, v46
	v_and_b32_e32 v60, 0x80000000, v60
	v_lshl_add_u32 v44, v44, 23, v48
	v_or3_b32 v44, v60, v44, v46
	v_lshrrev_b32_e32 v60, 16, v44
.LBB914_439:                            ;   in Loop: Header=BB914_213 Depth=1
	s_or_b64 exec, exec, s[18:19]
.LBB914_440:                            ;   in Loop: Header=BB914_213 Depth=1
	s_or_b64 exec, exec, s[16:17]
.LBB914_441:                            ;   in Loop: Header=BB914_213 Depth=1
	s_or_b64 exec, exec, s[14:15]
	v_lshrrev_b32_e32 v44, 16, v42
	v_cmp_ne_u16_sdwa s[16:17], v44, v47 src0_sel:BYTE_0 src1_sel:DWORD
	s_and_saveexec_b64 s[14:15], s[16:17]
	s_cbranch_execz .LBB914_447
; %bb.442:                              ;   in Loop: Header=BB914_213 Depth=1
	v_cmp_ne_u16_sdwa s[18:19], v44, s9 src0_sel:BYTE_0 src1_sel:DWORD
	v_mov_b32_e32 v61, 0xffff8000
	s_and_saveexec_b64 s[16:17], s[18:19]
	s_cbranch_execz .LBB914_446
; %bb.443:                              ;   in Loop: Header=BB914_213 Depth=1
	v_bfe_u32 v46, v42, 16, 7
	v_cmp_ne_u32_e32 vcc, s23, v46
	v_mov_b32_e32 v61, 0x7f80
	s_and_saveexec_b64 s[18:19], vcc
	s_cbranch_execz .LBB914_445
; %bb.444:                              ;   in Loop: Header=BB914_213 Depth=1
	v_and_b32_e32 v61, 7, v44
	v_ffbh_u32_e32 v62, v61
	v_min_u32_e32 v65, 32, v62
	v_subrev_u32_e32 v62, 28, v65
	v_lshlrev_b64 v[62:63], v62, v[44:45]
	v_lshrrev_b32_e32 v64, 3, v46
	v_sub_u32_e32 v63, 29, v65
	v_and_b32_e32 v62, 7, v62
	v_cmp_gt_u32_e32 vcc, 8, v46
	v_cndmask_b32_e32 v46, v64, v63, vcc
	v_cndmask_b32_e32 v61, v61, v62, vcc
	v_lshlrev_b32_e32 v44, 24, v44
	v_lshlrev_b32_e32 v61, 20, v61
	v_and_b32_e32 v44, 0x80000000, v44
	v_lshl_add_u32 v46, v46, 23, v48
	v_or3_b32 v44, v44, v46, v61
	v_lshrrev_b32_e32 v61, 16, v44
.LBB914_445:                            ;   in Loop: Header=BB914_213 Depth=1
	s_or_b64 exec, exec, s[18:19]
.LBB914_446:                            ;   in Loop: Header=BB914_213 Depth=1
	s_or_b64 exec, exec, s[16:17]
.LBB914_447:                            ;   in Loop: Header=BB914_213 Depth=1
	s_or_b64 exec, exec, s[14:15]
	v_cmp_lt_u32_e32 vcc, s26, v42
	v_mov_b32_e32 v46, 0
	v_mov_b32_e32 v62, 0
	s_and_saveexec_b64 s[14:15], vcc
	s_cbranch_execz .LBB914_453
; %bb.448:                              ;   in Loop: Header=BB914_213 Depth=1
	v_lshrrev_b32_e32 v44, 24, v42
	v_cmp_ne_u32_e32 vcc, s9, v44
	v_mov_b32_e32 v62, 0xffff8000
	s_and_saveexec_b64 s[16:17], vcc
	s_cbranch_execz .LBB914_452
; %bb.449:                              ;   in Loop: Header=BB914_213 Depth=1
	v_bfe_u32 v42, v42, 24, 7
	v_cmp_ne_u32_e32 vcc, s23, v42
	v_mov_b32_e32 v62, 0x7f80
	s_and_saveexec_b64 s[18:19], vcc
	s_cbranch_execz .LBB914_451
; %bb.450:                              ;   in Loop: Header=BB914_213 Depth=1
	v_and_b32_e32 v64, 7, v44
	v_ffbh_u32_e32 v62, v64
	v_min_u32_e32 v66, 32, v62
	v_subrev_u32_e32 v62, 28, v66
	v_lshlrev_b64 v[62:63], v62, v[44:45]
	v_lshrrev_b32_e32 v65, 3, v42
	v_sub_u32_e32 v63, 29, v66
	v_and_b32_e32 v62, 7, v62
	v_cmp_gt_u32_e32 vcc, 8, v42
	v_cndmask_b32_e32 v42, v65, v63, vcc
	v_cndmask_b32_e32 v62, v64, v62, vcc
	v_lshlrev_b32_e32 v44, 24, v44
	v_lshlrev_b32_e32 v62, 20, v62
	v_and_b32_e32 v44, 0x80000000, v44
	v_lshl_add_u32 v42, v42, 23, v48
	v_or3_b32 v42, v44, v42, v62
	v_lshrrev_b32_e32 v62, 16, v42
.LBB914_451:                            ;   in Loop: Header=BB914_213 Depth=1
	s_or_b64 exec, exec, s[18:19]
.LBB914_452:                            ;   in Loop: Header=BB914_213 Depth=1
	s_or_b64 exec, exec, s[16:17]
.LBB914_453:                            ;   in Loop: Header=BB914_213 Depth=1
	s_or_b64 exec, exec, s[14:15]
	v_perm_b32 v51, v53, v51, s27
	v_perm_b32 v50, v50, v49, s27
	s_waitcnt vmcnt(1)
	v_cmp_ne_u16_sdwa s[16:17], v40, v47 src0_sel:BYTE_0 src1_sel:DWORD
	v_mfma_f32_16x16x16bf16_1k v[34:37], v[50:51], v[18:19], v[34:37]
	v_perm_b32 v51, v62, v61, s27
	v_perm_b32 v50, v60, v52, s27
	s_nop 1
	v_mfma_f32_16x16x16bf16_1k v[34:37], v[50:51], v[20:21], v[34:37]
	s_and_saveexec_b64 s[14:15], s[16:17]
	s_cbranch_execz .LBB914_459
; %bb.454:                              ;   in Loop: Header=BB914_213 Depth=1
	v_cmp_ne_u16_sdwa s[18:19], v40, s9 src0_sel:BYTE_0 src1_sel:DWORD
	v_mov_b32_e32 v46, 0xffff8000
	s_and_saveexec_b64 s[16:17], s[18:19]
	s_cbranch_execz .LBB914_458
; %bb.455:                              ;   in Loop: Header=BB914_213 Depth=1
	v_and_b32_e32 v42, 0x7f, v40
	v_cmp_ne_u32_e32 vcc, s23, v42
	v_mov_b32_e32 v46, 0x7f80
	s_and_saveexec_b64 s[18:19], vcc
	s_cbranch_execz .LBB914_457
; %bb.456:                              ;   in Loop: Header=BB914_213 Depth=1
	v_and_b32_e32 v44, 7, v40
	v_ffbh_u32_e32 v49, v44
	v_min_u32_e32 v49, 32, v49
	v_subrev_u32_e32 v50, 28, v49
	v_lshlrev_b64 v[50:51], v50, v[40:41]
	v_lshrrev_b32_e32 v46, 3, v42
	v_sub_u32_e32 v49, 29, v49
	v_and_b32_e32 v50, 7, v50
	v_cmp_gt_u32_e32 vcc, 8, v42
	v_cndmask_b32_e32 v42, v46, v49, vcc
	v_cndmask_b32_e32 v44, v44, v50, vcc
	v_lshlrev_b32_e32 v46, 24, v40
	v_lshlrev_b32_e32 v44, 20, v44
	v_and_b32_e32 v46, 0x80000000, v46
	v_lshl_add_u32 v42, v42, 23, v48
	v_or3_b32 v42, v46, v42, v44
	v_lshrrev_b32_e32 v46, 16, v42
.LBB914_457:                            ;   in Loop: Header=BB914_213 Depth=1
	s_or_b64 exec, exec, s[18:19]
.LBB914_458:                            ;   in Loop: Header=BB914_213 Depth=1
	s_or_b64 exec, exec, s[16:17]
.LBB914_459:                            ;   in Loop: Header=BB914_213 Depth=1
	s_or_b64 exec, exec, s[14:15]
	v_lshrrev_b16_e32 v42, 8, v40
	v_cmp_ne_u16_e32 vcc, 0, v42
	v_mov_b32_e32 v50, 0
	v_mov_b32_e32 v44, 0
	s_and_saveexec_b64 s[14:15], vcc
	s_cbranch_execz .LBB914_465
; %bb.460:                              ;   in Loop: Header=BB914_213 Depth=1
	v_cmp_ne_u16_e32 vcc, s9, v42
	v_mov_b32_e32 v44, 0xffff8000
	s_and_saveexec_b64 s[16:17], vcc
	s_cbranch_execz .LBB914_464
; %bb.461:                              ;   in Loop: Header=BB914_213 Depth=1
	v_and_b32_e32 v49, 0x7f, v42
	v_cmp_ne_u32_e32 vcc, s23, v49
	v_mov_b32_e32 v44, 0x7f80
	s_and_saveexec_b64 s[18:19], vcc
	s_cbranch_execz .LBB914_463
; %bb.462:                              ;   in Loop: Header=BB914_213 Depth=1
	v_and_b32_e32 v44, 7, v42
	v_ffbh_u32_e32 v52, v44
	v_min_u32_e32 v60, 32, v52
	v_subrev_u32_e32 v52, 28, v60
	v_lshlrev_b64 v[52:53], v52, v[42:43]
	v_lshrrev_b32_e32 v51, 3, v49
	v_sub_u32_e32 v42, 29, v60
	v_and_b32_e32 v52, 7, v52
	v_cmp_gt_u32_e32 vcc, 8, v49
	v_cndmask_b32_e32 v42, v51, v42, vcc
	v_cndmask_b32_e32 v44, v44, v52, vcc
	v_lshlrev_b32_e32 v49, 16, v40
	v_lshlrev_b32_e32 v44, 20, v44
	v_and_b32_e32 v49, 0x80000000, v49
	v_lshl_add_u32 v42, v42, 23, v48
	v_or3_b32 v42, v49, v42, v44
	v_lshrrev_b32_e32 v44, 16, v42
.LBB914_463:                            ;   in Loop: Header=BB914_213 Depth=1
	s_or_b64 exec, exec, s[18:19]
.LBB914_464:                            ;   in Loop: Header=BB914_213 Depth=1
	s_or_b64 exec, exec, s[16:17]
.LBB914_465:                            ;   in Loop: Header=BB914_213 Depth=1
	s_or_b64 exec, exec, s[14:15]
	v_lshrrev_b32_e32 v42, 16, v40
	v_cmp_ne_u16_sdwa s[16:17], v42, v47 src0_sel:BYTE_0 src1_sel:DWORD
	s_and_saveexec_b64 s[14:15], s[16:17]
	s_cbranch_execz .LBB914_471
; %bb.466:                              ;   in Loop: Header=BB914_213 Depth=1
	v_cmp_ne_u16_sdwa s[18:19], v42, s9 src0_sel:BYTE_0 src1_sel:DWORD
	v_mov_b32_e32 v50, 0xffff8000
	s_and_saveexec_b64 s[16:17], s[18:19]
	s_cbranch_execz .LBB914_470
; %bb.467:                              ;   in Loop: Header=BB914_213 Depth=1
	v_bfe_u32 v49, v40, 16, 7
	v_cmp_ne_u32_e32 vcc, s23, v49
	v_mov_b32_e32 v50, 0x7f80
	s_and_saveexec_b64 s[18:19], vcc
	s_cbranch_execz .LBB914_469
; %bb.468:                              ;   in Loop: Header=BB914_213 Depth=1
	v_and_b32_e32 v52, 7, v42
	v_ffbh_u32_e32 v50, v52
	v_min_u32_e32 v60, 32, v50
	v_subrev_u32_e32 v50, 28, v60
	v_lshlrev_b64 v[50:51], v50, v[42:43]
	v_lshrrev_b32_e32 v53, 3, v49
	v_sub_u32_e32 v51, 29, v60
	v_and_b32_e32 v50, 7, v50
	v_cmp_gt_u32_e32 vcc, 8, v49
	v_cndmask_b32_e32 v49, v53, v51, vcc
	v_cndmask_b32_e32 v50, v52, v50, vcc
	v_lshlrev_b32_e32 v42, 24, v42
	v_lshlrev_b32_e32 v50, 20, v50
	v_and_b32_e32 v42, 0x80000000, v42
	v_lshl_add_u32 v49, v49, 23, v48
	v_or3_b32 v42, v42, v49, v50
	v_lshrrev_b32_e32 v50, 16, v42
.LBB914_469:                            ;   in Loop: Header=BB914_213 Depth=1
	s_or_b64 exec, exec, s[18:19]
.LBB914_470:                            ;   in Loop: Header=BB914_213 Depth=1
	s_or_b64 exec, exec, s[16:17]
.LBB914_471:                            ;   in Loop: Header=BB914_213 Depth=1
	s_or_b64 exec, exec, s[14:15]
	v_cmp_lt_u32_e32 vcc, s26, v40
	v_mov_b32_e32 v51, 0
	v_mov_b32_e32 v52, 0
	s_and_saveexec_b64 s[14:15], vcc
	s_cbranch_execz .LBB914_477
; %bb.472:                              ;   in Loop: Header=BB914_213 Depth=1
	v_lshrrev_b32_e32 v42, 24, v40
	v_cmp_ne_u32_e32 vcc, s9, v42
	v_mov_b32_e32 v52, 0xffff8000
	s_and_saveexec_b64 s[16:17], vcc
	s_cbranch_execz .LBB914_476
; %bb.473:                              ;   in Loop: Header=BB914_213 Depth=1
	v_bfe_u32 v40, v40, 24, 7
	v_cmp_ne_u32_e32 vcc, s23, v40
	v_mov_b32_e32 v52, 0x7f80
	s_and_saveexec_b64 s[18:19], vcc
	s_cbranch_execz .LBB914_475
; %bb.474:                              ;   in Loop: Header=BB914_213 Depth=1
	v_and_b32_e32 v49, 7, v42
	v_ffbh_u32_e32 v52, v49
	v_min_u32_e32 v61, 32, v52
	v_subrev_u32_e32 v52, 28, v61
	v_lshlrev_b64 v[52:53], v52, v[42:43]
	v_lshrrev_b32_e32 v60, 3, v40
	v_sub_u32_e32 v53, 29, v61
	v_and_b32_e32 v52, 7, v52
	v_cmp_gt_u32_e32 vcc, 8, v40
	v_cndmask_b32_e32 v40, v60, v53, vcc
	v_cndmask_b32_e32 v49, v49, v52, vcc
	v_lshlrev_b32_e32 v42, 24, v42
	v_lshlrev_b32_e32 v49, 20, v49
	v_and_b32_e32 v42, 0x80000000, v42
	v_lshl_add_u32 v40, v40, 23, v48
	v_or3_b32 v40, v42, v40, v49
	v_lshrrev_b32_e32 v52, 16, v40
.LBB914_475:                            ;   in Loop: Header=BB914_213 Depth=1
	s_or_b64 exec, exec, s[18:19]
.LBB914_476:                            ;   in Loop: Header=BB914_213 Depth=1
	s_or_b64 exec, exec, s[16:17]
.LBB914_477:                            ;   in Loop: Header=BB914_213 Depth=1
	s_or_b64 exec, exec, s[14:15]
	s_waitcnt vmcnt(0)
	v_cmp_ne_u16_sdwa s[16:17], v38, v47 src0_sel:BYTE_0 src1_sel:DWORD
	s_and_saveexec_b64 s[14:15], s[16:17]
	s_cbranch_execz .LBB914_483
; %bb.478:                              ;   in Loop: Header=BB914_213 Depth=1
	v_cmp_ne_u16_sdwa s[18:19], v38, s9 src0_sel:BYTE_0 src1_sel:DWORD
	v_mov_b32_e32 v51, 0xffff8000
	s_and_saveexec_b64 s[16:17], s[18:19]
	s_cbranch_execz .LBB914_482
; %bb.479:                              ;   in Loop: Header=BB914_213 Depth=1
	v_and_b32_e32 v40, 0x7f, v38
	v_cmp_ne_u32_e32 vcc, s23, v40
	v_mov_b32_e32 v51, 0x7f80
	s_and_saveexec_b64 s[18:19], vcc
	s_cbranch_execz .LBB914_481
; %bb.480:                              ;   in Loop: Header=BB914_213 Depth=1
	v_and_b32_e32 v42, 7, v38
	v_ffbh_u32_e32 v51, v42
	v_min_u32_e32 v51, 32, v51
	v_subrev_u32_e32 v53, 28, v51
	v_lshlrev_b64 v[60:61], v53, v[38:39]
	v_lshrrev_b32_e32 v49, 3, v40
	v_sub_u32_e32 v51, 29, v51
	v_and_b32_e32 v53, 7, v60
	v_cmp_gt_u32_e32 vcc, 8, v40
	v_cndmask_b32_e32 v40, v49, v51, vcc
	v_cndmask_b32_e32 v42, v42, v53, vcc
	v_lshlrev_b32_e32 v49, 24, v38
	v_lshlrev_b32_e32 v42, 20, v42
	v_and_b32_e32 v49, 0x80000000, v49
	v_lshl_add_u32 v40, v40, 23, v48
	v_or3_b32 v40, v49, v40, v42
	v_lshrrev_b32_e32 v51, 16, v40
.LBB914_481:                            ;   in Loop: Header=BB914_213 Depth=1
	s_or_b64 exec, exec, s[18:19]
.LBB914_482:                            ;   in Loop: Header=BB914_213 Depth=1
	s_or_b64 exec, exec, s[16:17]
.LBB914_483:                            ;   in Loop: Header=BB914_213 Depth=1
	s_or_b64 exec, exec, s[14:15]
	v_lshrrev_b16_e32 v40, 8, v38
	v_cmp_ne_u16_e32 vcc, 0, v40
	v_mov_b32_e32 v60, 0
	v_mov_b32_e32 v53, 0
	s_and_saveexec_b64 s[14:15], vcc
	s_cbranch_execz .LBB914_489
; %bb.484:                              ;   in Loop: Header=BB914_213 Depth=1
	v_cmp_ne_u16_e32 vcc, s9, v40
	v_mov_b32_e32 v53, 0xffff8000
	s_and_saveexec_b64 s[16:17], vcc
	s_cbranch_execz .LBB914_488
; %bb.485:                              ;   in Loop: Header=BB914_213 Depth=1
	v_and_b32_e32 v42, 0x7f, v40
	v_cmp_ne_u32_e32 vcc, s23, v42
	v_mov_b32_e32 v53, 0x7f80
	s_and_saveexec_b64 s[18:19], vcc
	s_cbranch_execz .LBB914_487
; %bb.486:                              ;   in Loop: Header=BB914_213 Depth=1
	v_and_b32_e32 v49, 7, v40
	v_ffbh_u32_e32 v61, v49
	v_min_u32_e32 v61, 32, v61
	v_subrev_u32_e32 v62, 28, v61
	v_lshlrev_b64 v[62:63], v62, v[40:41]
	v_lshrrev_b32_e32 v53, 3, v42
	v_sub_u32_e32 v40, 29, v61
	v_and_b32_e32 v61, 7, v62
	v_cmp_gt_u32_e32 vcc, 8, v42
	v_cndmask_b32_e32 v40, v53, v40, vcc
	v_cndmask_b32_e32 v42, v49, v61, vcc
	v_lshlrev_b32_e32 v49, 16, v38
	v_lshlrev_b32_e32 v42, 20, v42
	v_and_b32_e32 v49, 0x80000000, v49
	v_lshl_add_u32 v40, v40, 23, v48
	v_or3_b32 v40, v49, v40, v42
	v_lshrrev_b32_e32 v53, 16, v40
.LBB914_487:                            ;   in Loop: Header=BB914_213 Depth=1
	s_or_b64 exec, exec, s[18:19]
.LBB914_488:                            ;   in Loop: Header=BB914_213 Depth=1
	s_or_b64 exec, exec, s[16:17]
.LBB914_489:                            ;   in Loop: Header=BB914_213 Depth=1
	s_or_b64 exec, exec, s[14:15]
	v_lshrrev_b32_e32 v40, 16, v38
	v_cmp_ne_u16_sdwa s[16:17], v40, v47 src0_sel:BYTE_0 src1_sel:DWORD
	s_and_saveexec_b64 s[14:15], s[16:17]
	s_cbranch_execz .LBB914_495
; %bb.490:                              ;   in Loop: Header=BB914_213 Depth=1
	v_cmp_ne_u16_sdwa s[18:19], v40, s9 src0_sel:BYTE_0 src1_sel:DWORD
	v_mov_b32_e32 v60, 0xffff8000
	s_and_saveexec_b64 s[16:17], s[18:19]
	s_cbranch_execz .LBB914_494
; %bb.491:                              ;   in Loop: Header=BB914_213 Depth=1
	v_bfe_u32 v42, v38, 16, 7
	v_cmp_ne_u32_e32 vcc, s23, v42
	v_mov_b32_e32 v60, 0x7f80
	s_and_saveexec_b64 s[18:19], vcc
	s_cbranch_execz .LBB914_493
; %bb.492:                              ;   in Loop: Header=BB914_213 Depth=1
	v_and_b32_e32 v49, 7, v40
	v_ffbh_u32_e32 v60, v49
	v_min_u32_e32 v63, 32, v60
	v_subrev_u32_e32 v60, 28, v63
	v_lshlrev_b64 v[60:61], v60, v[40:41]
	v_lshrrev_b32_e32 v62, 3, v42
	v_sub_u32_e32 v61, 29, v63
	v_and_b32_e32 v60, 7, v60
	v_cmp_gt_u32_e32 vcc, 8, v42
	v_cndmask_b32_e32 v42, v62, v61, vcc
	v_cndmask_b32_e32 v49, v49, v60, vcc
	v_lshlrev_b32_e32 v40, 24, v40
	v_lshlrev_b32_e32 v49, 20, v49
	v_and_b32_e32 v40, 0x80000000, v40
	v_lshl_add_u32 v42, v42, 23, v48
	v_or3_b32 v40, v40, v42, v49
	v_lshrrev_b32_e32 v60, 16, v40
.LBB914_493:                            ;   in Loop: Header=BB914_213 Depth=1
	s_or_b64 exec, exec, s[18:19]
.LBB914_494:                            ;   in Loop: Header=BB914_213 Depth=1
	s_or_b64 exec, exec, s[16:17]
.LBB914_495:                            ;   in Loop: Header=BB914_213 Depth=1
	s_or_b64 exec, exec, s[14:15]
	v_cmp_lt_u32_e32 vcc, s26, v38
	v_mov_b32_e32 v49, 0
	v_mov_b32_e32 v61, 0
	s_and_saveexec_b64 s[14:15], vcc
	s_cbranch_execz .LBB914_501
; %bb.496:                              ;   in Loop: Header=BB914_213 Depth=1
	v_lshrrev_b32_e32 v40, 24, v38
	v_cmp_ne_u32_e32 vcc, s9, v40
	v_mov_b32_e32 v61, 0xffff8000
	s_and_saveexec_b64 s[16:17], vcc
	s_cbranch_execz .LBB914_500
; %bb.497:                              ;   in Loop: Header=BB914_213 Depth=1
	v_bfe_u32 v38, v38, 24, 7
	v_cmp_ne_u32_e32 vcc, s23, v38
	v_mov_b32_e32 v61, 0x7f80
	s_and_saveexec_b64 s[18:19], vcc
	s_cbranch_execz .LBB914_499
; %bb.498:                              ;   in Loop: Header=BB914_213 Depth=1
	v_and_b32_e32 v42, 7, v40
	v_ffbh_u32_e32 v62, v42
	v_min_u32_e32 v64, 32, v62
	v_subrev_u32_e32 v62, 28, v64
	v_lshlrev_b64 v[62:63], v62, v[40:41]
	v_lshrrev_b32_e32 v61, 3, v38
	v_sub_u32_e32 v63, 29, v64
	v_and_b32_e32 v62, 7, v62
	v_cmp_gt_u32_e32 vcc, 8, v38
	v_cndmask_b32_e32 v38, v61, v63, vcc
	v_cndmask_b32_e32 v42, v42, v62, vcc
	v_lshlrev_b32_e32 v40, 24, v40
	v_lshlrev_b32_e32 v42, 20, v42
	v_and_b32_e32 v40, 0x80000000, v40
	v_lshl_add_u32 v38, v38, 23, v48
	v_or3_b32 v38, v40, v38, v42
	v_lshrrev_b32_e32 v61, 16, v38
.LBB914_499:                            ;   in Loop: Header=BB914_213 Depth=1
	s_or_b64 exec, exec, s[18:19]
.LBB914_500:                            ;   in Loop: Header=BB914_213 Depth=1
	s_or_b64 exec, exec, s[16:17]
.LBB914_501:                            ;   in Loop: Header=BB914_213 Depth=1
	s_or_b64 exec, exec, s[14:15]
	v_perm_b32 v62, v44, v46, s27
	buffer_load_dword v44, v59, s[0:3], 0 offen
	buffer_load_dword v42, v59, s[0:3], 0 offen offset:4
	buffer_load_dword v40, v59, s[0:3], 0 offen offset:8
	;; [unrolled: 1-line block ×3, first 2 shown]
	v_perm_b32 v63, v52, v50, s27
	v_perm_b32 v61, v61, v60, s27
	;; [unrolled: 1-line block ×3, first 2 shown]
	v_mfma_f32_16x16x16bf16_1k v[34:37], v[62:63], v[22:23], v[34:37]
	s_waitcnt vmcnt(3)
	v_cmp_ne_u16_sdwa s[16:17], v44, v47 src0_sel:BYTE_0 src1_sel:DWORD
	v_mfma_f32_16x16x16bf16_1k v[34:37], v[60:61], v[24:25], v[34:37]
	s_and_saveexec_b64 s[14:15], s[16:17]
	s_cbranch_execz .LBB914_507
; %bb.502:                              ;   in Loop: Header=BB914_213 Depth=1
	v_cmp_ne_u16_sdwa s[18:19], v44, s9 src0_sel:BYTE_0 src1_sel:DWORD
	v_mov_b32_e32 v49, 0xffff8000
	s_and_saveexec_b64 s[16:17], s[18:19]
	s_cbranch_execz .LBB914_506
; %bb.503:                              ;   in Loop: Header=BB914_213 Depth=1
	v_and_b32_e32 v46, 0x7f, v44
	v_cmp_ne_u32_e32 vcc, s23, v46
	v_mov_b32_e32 v49, 0x7f80
	s_and_saveexec_b64 s[18:19], vcc
	s_cbranch_execz .LBB914_505
; %bb.504:                              ;   in Loop: Header=BB914_213 Depth=1
	v_and_b32_e32 v49, 7, v44
	v_ffbh_u32_e32 v50, v49
	v_min_u32_e32 v53, 32, v50
	v_subrev_u32_e32 v50, 28, v53
	v_lshlrev_b64 v[50:51], v50, v[44:45]
	v_lshrrev_b32_e32 v52, 3, v46
	v_sub_u32_e32 v51, 29, v53
	v_and_b32_e32 v50, 7, v50
	v_cmp_gt_u32_e32 vcc, 8, v46
	v_cndmask_b32_e32 v46, v52, v51, vcc
	v_cndmask_b32_e32 v49, v49, v50, vcc
	v_lshlrev_b32_e32 v50, 24, v44
	v_lshlrev_b32_e32 v49, 20, v49
	v_and_b32_e32 v50, 0x80000000, v50
	v_lshl_add_u32 v46, v46, 23, v48
	v_or3_b32 v46, v50, v46, v49
	v_lshrrev_b32_e32 v49, 16, v46
.LBB914_505:                            ;   in Loop: Header=BB914_213 Depth=1
	s_or_b64 exec, exec, s[18:19]
.LBB914_506:                            ;   in Loop: Header=BB914_213 Depth=1
	s_or_b64 exec, exec, s[16:17]
.LBB914_507:                            ;   in Loop: Header=BB914_213 Depth=1
	s_or_b64 exec, exec, s[14:15]
	v_lshrrev_b16_e32 v46, 8, v44
	v_cmp_ne_u16_e32 vcc, 0, v46
	v_mov_b32_e32 v51, 0
	v_mov_b32_e32 v50, 0
	s_and_saveexec_b64 s[14:15], vcc
	s_cbranch_execz .LBB914_513
; %bb.508:                              ;   in Loop: Header=BB914_213 Depth=1
	v_cmp_ne_u16_e32 vcc, s9, v46
	v_mov_b32_e32 v50, 0xffff8000
	s_and_saveexec_b64 s[16:17], vcc
	s_cbranch_execz .LBB914_512
; %bb.509:                              ;   in Loop: Header=BB914_213 Depth=1
	v_and_b32_e32 v52, 0x7f, v46
	v_cmp_ne_u32_e32 vcc, s23, v52
	v_mov_b32_e32 v50, 0x7f80
	s_and_saveexec_b64 s[18:19], vcc
	s_cbranch_execz .LBB914_511
; %bb.510:                              ;   in Loop: Header=BB914_213 Depth=1
	v_and_b32_e32 v50, 7, v46
	v_ffbh_u32_e32 v59, v50
	v_min_u32_e32 v59, 32, v59
	v_subrev_u32_e32 v60, 28, v59
	v_lshlrev_b64 v[60:61], v60, v[46:47]
	v_lshrrev_b32_e32 v53, 3, v52
	v_sub_u32_e32 v46, 29, v59
	v_and_b32_e32 v59, 7, v60
	v_cmp_gt_u32_e32 vcc, 8, v52
	v_cndmask_b32_e32 v46, v53, v46, vcc
	v_cndmask_b32_e32 v50, v50, v59, vcc
	v_lshlrev_b32_e32 v52, 16, v44
	v_lshlrev_b32_e32 v50, 20, v50
	v_and_b32_e32 v52, 0x80000000, v52
	v_lshl_add_u32 v46, v46, 23, v48
	v_or3_b32 v46, v52, v46, v50
	v_lshrrev_b32_e32 v50, 16, v46
.LBB914_511:                            ;   in Loop: Header=BB914_213 Depth=1
	s_or_b64 exec, exec, s[18:19]
.LBB914_512:                            ;   in Loop: Header=BB914_213 Depth=1
	s_or_b64 exec, exec, s[16:17]
.LBB914_513:                            ;   in Loop: Header=BB914_213 Depth=1
	s_or_b64 exec, exec, s[14:15]
	v_lshrrev_b32_e32 v46, 16, v44
	v_cmp_ne_u16_sdwa s[16:17], v46, v47 src0_sel:BYTE_0 src1_sel:DWORD
	s_and_saveexec_b64 s[14:15], s[16:17]
	s_cbranch_execz .LBB914_519
; %bb.514:                              ;   in Loop: Header=BB914_213 Depth=1
	v_cmp_ne_u16_sdwa s[18:19], v46, s9 src0_sel:BYTE_0 src1_sel:DWORD
	v_mov_b32_e32 v51, 0xffff8000
	s_and_saveexec_b64 s[16:17], s[18:19]
	s_cbranch_execz .LBB914_518
; %bb.515:                              ;   in Loop: Header=BB914_213 Depth=1
	v_bfe_u32 v52, v44, 16, 7
	v_cmp_ne_u32_e32 vcc, s23, v52
	v_mov_b32_e32 v51, 0x7f80
	s_and_saveexec_b64 s[18:19], vcc
	s_cbranch_execz .LBB914_517
; %bb.516:                              ;   in Loop: Header=BB914_213 Depth=1
	v_and_b32_e32 v51, 7, v46
	v_ffbh_u32_e32 v59, v51
	v_min_u32_e32 v59, 32, v59
	v_subrev_u32_e32 v60, 28, v59
	v_lshlrev_b64 v[60:61], v60, v[46:47]
	v_lshrrev_b32_e32 v53, 3, v52
	v_sub_u32_e32 v59, 29, v59
	v_and_b32_e32 v60, 7, v60
	v_cmp_gt_u32_e32 vcc, 8, v52
	v_cndmask_b32_e32 v52, v53, v59, vcc
	v_cndmask_b32_e32 v51, v51, v60, vcc
	v_lshlrev_b32_e32 v46, 24, v46
	v_lshlrev_b32_e32 v51, 20, v51
	v_and_b32_e32 v46, 0x80000000, v46
	v_lshl_add_u32 v52, v52, 23, v48
	v_or3_b32 v46, v46, v52, v51
	v_lshrrev_b32_e32 v51, 16, v46
.LBB914_517:                            ;   in Loop: Header=BB914_213 Depth=1
	s_or_b64 exec, exec, s[18:19]
.LBB914_518:                            ;   in Loop: Header=BB914_213 Depth=1
	s_or_b64 exec, exec, s[16:17]
.LBB914_519:                            ;   in Loop: Header=BB914_213 Depth=1
	s_or_b64 exec, exec, s[14:15]
	v_cmp_lt_u32_e32 vcc, s26, v44
	v_mov_b32_e32 v52, 0
	v_mov_b32_e32 v53, 0
	s_and_saveexec_b64 s[14:15], vcc
	s_cbranch_execz .LBB914_525
; %bb.520:                              ;   in Loop: Header=BB914_213 Depth=1
	v_lshrrev_b32_e32 v46, 24, v44
	v_cmp_ne_u32_e32 vcc, s9, v46
	v_mov_b32_e32 v53, 0xffff8000
	s_and_saveexec_b64 s[16:17], vcc
	s_cbranch_execz .LBB914_524
; %bb.521:                              ;   in Loop: Header=BB914_213 Depth=1
	v_bfe_u32 v44, v44, 24, 7
	v_cmp_ne_u32_e32 vcc, s23, v44
	v_mov_b32_e32 v53, 0x7f80
	s_and_saveexec_b64 s[18:19], vcc
	s_cbranch_execz .LBB914_523
; %bb.522:                              ;   in Loop: Header=BB914_213 Depth=1
	v_and_b32_e32 v53, 7, v46
	v_ffbh_u32_e32 v60, v53
	v_min_u32_e32 v62, 32, v60
	v_subrev_u32_e32 v60, 28, v62
	v_lshlrev_b64 v[60:61], v60, v[46:47]
	v_lshrrev_b32_e32 v59, 3, v44
	v_sub_u32_e32 v61, 29, v62
	v_and_b32_e32 v60, 7, v60
	v_cmp_gt_u32_e32 vcc, 8, v44
	v_cndmask_b32_e32 v44, v59, v61, vcc
	v_cndmask_b32_e32 v53, v53, v60, vcc
	v_lshlrev_b32_e32 v46, 24, v46
	v_lshlrev_b32_e32 v53, 20, v53
	v_and_b32_e32 v46, 0x80000000, v46
	v_lshl_add_u32 v44, v44, 23, v48
	v_or3_b32 v44, v46, v44, v53
	v_lshrrev_b32_e32 v53, 16, v44
.LBB914_523:                            ;   in Loop: Header=BB914_213 Depth=1
	s_or_b64 exec, exec, s[18:19]
.LBB914_524:                            ;   in Loop: Header=BB914_213 Depth=1
	s_or_b64 exec, exec, s[16:17]
.LBB914_525:                            ;   in Loop: Header=BB914_213 Depth=1
	s_or_b64 exec, exec, s[14:15]
	s_waitcnt vmcnt(2)
	v_cmp_ne_u16_sdwa s[16:17], v42, v47 src0_sel:BYTE_0 src1_sel:DWORD
	s_and_saveexec_b64 s[14:15], s[16:17]
	s_cbranch_execz .LBB914_531
; %bb.526:                              ;   in Loop: Header=BB914_213 Depth=1
	v_cmp_ne_u16_sdwa s[18:19], v42, s9 src0_sel:BYTE_0 src1_sel:DWORD
	v_mov_b32_e32 v52, 0xffff8000
	s_and_saveexec_b64 s[16:17], s[18:19]
	s_cbranch_execz .LBB914_530
; %bb.527:                              ;   in Loop: Header=BB914_213 Depth=1
	v_and_b32_e32 v44, 0x7f, v42
	v_cmp_ne_u32_e32 vcc, s23, v44
	v_mov_b32_e32 v52, 0x7f80
	s_and_saveexec_b64 s[18:19], vcc
	s_cbranch_execz .LBB914_529
; %bb.528:                              ;   in Loop: Header=BB914_213 Depth=1
	v_and_b32_e32 v46, 7, v42
	v_ffbh_u32_e32 v59, v46
	v_min_u32_e32 v59, 32, v59
	v_subrev_u32_e32 v60, 28, v59
	v_lshlrev_b64 v[60:61], v60, v[42:43]
	v_lshrrev_b32_e32 v52, 3, v44
	v_sub_u32_e32 v59, 29, v59
	v_and_b32_e32 v60, 7, v60
	v_cmp_gt_u32_e32 vcc, 8, v44
	v_cndmask_b32_e32 v44, v52, v59, vcc
	v_cndmask_b32_e32 v46, v46, v60, vcc
	v_lshlrev_b32_e32 v52, 24, v42
	v_lshlrev_b32_e32 v46, 20, v46
	v_and_b32_e32 v52, 0x80000000, v52
	v_lshl_add_u32 v44, v44, 23, v48
	v_or3_b32 v44, v52, v44, v46
	v_lshrrev_b32_e32 v52, 16, v44
.LBB914_529:                            ;   in Loop: Header=BB914_213 Depth=1
	s_or_b64 exec, exec, s[18:19]
.LBB914_530:                            ;   in Loop: Header=BB914_213 Depth=1
	s_or_b64 exec, exec, s[16:17]
.LBB914_531:                            ;   in Loop: Header=BB914_213 Depth=1
	s_or_b64 exec, exec, s[14:15]
	v_lshrrev_b16_e32 v44, 8, v42
	v_cmp_ne_u16_e32 vcc, 0, v44
	v_mov_b32_e32 v60, 0
	v_mov_b32_e32 v59, 0
	s_and_saveexec_b64 s[14:15], vcc
	s_cbranch_execz .LBB914_537
; %bb.532:                              ;   in Loop: Header=BB914_213 Depth=1
	v_cmp_ne_u16_e32 vcc, s9, v44
	v_mov_b32_e32 v59, 0xffff8000
	s_and_saveexec_b64 s[16:17], vcc
	s_cbranch_execz .LBB914_536
; %bb.533:                              ;   in Loop: Header=BB914_213 Depth=1
	v_and_b32_e32 v46, 0x7f, v44
	v_cmp_ne_u32_e32 vcc, s23, v46
	v_mov_b32_e32 v59, 0x7f80
	s_and_saveexec_b64 s[18:19], vcc
	s_cbranch_execz .LBB914_535
; %bb.534:                              ;   in Loop: Header=BB914_213 Depth=1
	v_and_b32_e32 v59, 7, v44
	v_ffbh_u32_e32 v62, v59
	v_min_u32_e32 v64, 32, v62
	v_subrev_u32_e32 v62, 28, v64
	v_lshlrev_b64 v[62:63], v62, v[44:45]
	v_lshrrev_b32_e32 v61, 3, v46
	v_sub_u32_e32 v44, 29, v64
	v_and_b32_e32 v62, 7, v62
	v_cmp_gt_u32_e32 vcc, 8, v46
	v_cndmask_b32_e32 v44, v61, v44, vcc
	v_cndmask_b32_e32 v46, v59, v62, vcc
	v_lshlrev_b32_e32 v59, 16, v42
	v_lshlrev_b32_e32 v46, 20, v46
	v_and_b32_e32 v59, 0x80000000, v59
	v_lshl_add_u32 v44, v44, 23, v48
	v_or3_b32 v44, v59, v44, v46
	v_lshrrev_b32_e32 v59, 16, v44
.LBB914_535:                            ;   in Loop: Header=BB914_213 Depth=1
	s_or_b64 exec, exec, s[18:19]
.LBB914_536:                            ;   in Loop: Header=BB914_213 Depth=1
	s_or_b64 exec, exec, s[16:17]
.LBB914_537:                            ;   in Loop: Header=BB914_213 Depth=1
	s_or_b64 exec, exec, s[14:15]
	v_lshrrev_b32_e32 v44, 16, v42
	v_cmp_ne_u16_sdwa s[16:17], v44, v47 src0_sel:BYTE_0 src1_sel:DWORD
	s_and_saveexec_b64 s[14:15], s[16:17]
	s_cbranch_execz .LBB914_543
; %bb.538:                              ;   in Loop: Header=BB914_213 Depth=1
	v_cmp_ne_u16_sdwa s[18:19], v44, s9 src0_sel:BYTE_0 src1_sel:DWORD
	v_mov_b32_e32 v60, 0xffff8000
	s_and_saveexec_b64 s[16:17], s[18:19]
	s_cbranch_execz .LBB914_542
; %bb.539:                              ;   in Loop: Header=BB914_213 Depth=1
	v_bfe_u32 v46, v42, 16, 7
	v_cmp_ne_u32_e32 vcc, s23, v46
	v_mov_b32_e32 v60, 0x7f80
	s_and_saveexec_b64 s[18:19], vcc
	s_cbranch_execz .LBB914_541
; %bb.540:                              ;   in Loop: Header=BB914_213 Depth=1
	v_and_b32_e32 v62, 7, v44
	v_ffbh_u32_e32 v60, v62
	v_min_u32_e32 v64, 32, v60
	v_subrev_u32_e32 v60, 28, v64
	v_lshlrev_b64 v[60:61], v60, v[44:45]
	v_lshrrev_b32_e32 v63, 3, v46
	v_sub_u32_e32 v61, 29, v64
	v_and_b32_e32 v60, 7, v60
	v_cmp_gt_u32_e32 vcc, 8, v46
	v_cndmask_b32_e32 v46, v63, v61, vcc
	v_cndmask_b32_e32 v60, v62, v60, vcc
	v_lshlrev_b32_e32 v44, 24, v44
	v_lshlrev_b32_e32 v60, 20, v60
	v_and_b32_e32 v44, 0x80000000, v44
	v_lshl_add_u32 v46, v46, 23, v48
	v_or3_b32 v44, v44, v46, v60
	v_lshrrev_b32_e32 v60, 16, v44
.LBB914_541:                            ;   in Loop: Header=BB914_213 Depth=1
	s_or_b64 exec, exec, s[18:19]
.LBB914_542:                            ;   in Loop: Header=BB914_213 Depth=1
	s_or_b64 exec, exec, s[16:17]
.LBB914_543:                            ;   in Loop: Header=BB914_213 Depth=1
	s_or_b64 exec, exec, s[14:15]
	v_cmp_lt_u32_e32 vcc, s26, v42
	v_mov_b32_e32 v46, 0
	v_mov_b32_e32 v61, 0
	s_and_saveexec_b64 s[14:15], vcc
	s_cbranch_execz .LBB914_549
; %bb.544:                              ;   in Loop: Header=BB914_213 Depth=1
	v_lshrrev_b32_e32 v44, 24, v42
	v_cmp_ne_u32_e32 vcc, s9, v44
	v_mov_b32_e32 v61, 0xffff8000
	s_and_saveexec_b64 s[16:17], vcc
	s_cbranch_execz .LBB914_548
; %bb.545:                              ;   in Loop: Header=BB914_213 Depth=1
	v_bfe_u32 v42, v42, 24, 7
	v_cmp_ne_u32_e32 vcc, s23, v42
	v_mov_b32_e32 v61, 0x7f80
	s_and_saveexec_b64 s[18:19], vcc
	s_cbranch_execz .LBB914_547
; %bb.546:                              ;   in Loop: Header=BB914_213 Depth=1
	v_and_b32_e32 v61, 7, v44
	v_ffbh_u32_e32 v62, v61
	v_min_u32_e32 v65, 32, v62
	v_subrev_u32_e32 v62, 28, v65
	v_lshlrev_b64 v[62:63], v62, v[44:45]
	v_lshrrev_b32_e32 v64, 3, v42
	v_sub_u32_e32 v63, 29, v65
	v_and_b32_e32 v62, 7, v62
	v_cmp_gt_u32_e32 vcc, 8, v42
	v_cndmask_b32_e32 v42, v64, v63, vcc
	v_cndmask_b32_e32 v61, v61, v62, vcc
	v_lshlrev_b32_e32 v44, 24, v44
	v_lshlrev_b32_e32 v61, 20, v61
	v_and_b32_e32 v44, 0x80000000, v44
	v_lshl_add_u32 v42, v42, 23, v48
	v_or3_b32 v42, v44, v42, v61
	v_lshrrev_b32_e32 v61, 16, v42
.LBB914_547:                            ;   in Loop: Header=BB914_213 Depth=1
	s_or_b64 exec, exec, s[18:19]
.LBB914_548:                            ;   in Loop: Header=BB914_213 Depth=1
	s_or_b64 exec, exec, s[16:17]
.LBB914_549:                            ;   in Loop: Header=BB914_213 Depth=1
	s_or_b64 exec, exec, s[14:15]
	v_perm_b32 v51, v53, v51, s27
	v_perm_b32 v50, v50, v49, s27
	s_waitcnt vmcnt(1)
	v_cmp_ne_u16_sdwa s[16:17], v40, v47 src0_sel:BYTE_0 src1_sel:DWORD
	v_mfma_f32_16x16x16bf16_1k v[34:37], v[50:51], v[26:27], v[34:37]
	v_perm_b32 v51, v61, v60, s27
	v_perm_b32 v50, v59, v52, s27
	s_nop 1
	v_mfma_f32_16x16x16bf16_1k v[34:37], v[50:51], v[28:29], v[34:37]
	s_and_saveexec_b64 s[14:15], s[16:17]
	s_cbranch_execz .LBB914_555
; %bb.550:                              ;   in Loop: Header=BB914_213 Depth=1
	v_cmp_ne_u16_sdwa s[18:19], v40, s9 src0_sel:BYTE_0 src1_sel:DWORD
	v_mov_b32_e32 v46, 0xffff8000
	s_and_saveexec_b64 s[16:17], s[18:19]
	s_cbranch_execz .LBB914_554
; %bb.551:                              ;   in Loop: Header=BB914_213 Depth=1
	v_and_b32_e32 v42, 0x7f, v40
	v_cmp_ne_u32_e32 vcc, s23, v42
	v_mov_b32_e32 v46, 0x7f80
	s_and_saveexec_b64 s[18:19], vcc
	s_cbranch_execz .LBB914_553
; %bb.552:                              ;   in Loop: Header=BB914_213 Depth=1
	v_and_b32_e32 v44, 7, v40
	v_ffbh_u32_e32 v49, v44
	v_min_u32_e32 v49, 32, v49
	v_subrev_u32_e32 v50, 28, v49
	v_lshlrev_b64 v[50:51], v50, v[40:41]
	v_lshrrev_b32_e32 v46, 3, v42
	v_sub_u32_e32 v49, 29, v49
	v_and_b32_e32 v50, 7, v50
	v_cmp_gt_u32_e32 vcc, 8, v42
	v_cndmask_b32_e32 v42, v46, v49, vcc
	v_cndmask_b32_e32 v44, v44, v50, vcc
	v_lshlrev_b32_e32 v46, 24, v40
	v_lshlrev_b32_e32 v44, 20, v44
	v_and_b32_e32 v46, 0x80000000, v46
	v_lshl_add_u32 v42, v42, 23, v48
	v_or3_b32 v42, v46, v42, v44
	v_lshrrev_b32_e32 v46, 16, v42
.LBB914_553:                            ;   in Loop: Header=BB914_213 Depth=1
	s_or_b64 exec, exec, s[18:19]
.LBB914_554:                            ;   in Loop: Header=BB914_213 Depth=1
	s_or_b64 exec, exec, s[16:17]
.LBB914_555:                            ;   in Loop: Header=BB914_213 Depth=1
	s_or_b64 exec, exec, s[14:15]
	v_lshrrev_b16_e32 v42, 8, v40
	v_cmp_ne_u16_e32 vcc, 0, v42
	v_mov_b32_e32 v49, 0
	v_mov_b32_e32 v44, 0
	s_and_saveexec_b64 s[14:15], vcc
	s_cbranch_execz .LBB914_561
; %bb.556:                              ;   in Loop: Header=BB914_213 Depth=1
	v_cmp_ne_u16_e32 vcc, s9, v42
	v_mov_b32_e32 v44, 0xffff8000
	s_and_saveexec_b64 s[16:17], vcc
	s_cbranch_execz .LBB914_560
; %bb.557:                              ;   in Loop: Header=BB914_213 Depth=1
	v_and_b32_e32 v50, 0x7f, v42
	v_cmp_ne_u32_e32 vcc, s23, v50
	v_mov_b32_e32 v44, 0x7f80
	s_and_saveexec_b64 s[18:19], vcc
	s_cbranch_execz .LBB914_559
; %bb.558:                              ;   in Loop: Header=BB914_213 Depth=1
	v_and_b32_e32 v44, 7, v42
	v_ffbh_u32_e32 v52, v44
	v_min_u32_e32 v59, 32, v52
	v_subrev_u32_e32 v52, 28, v59
	v_lshlrev_b64 v[52:53], v52, v[42:43]
	v_lshrrev_b32_e32 v51, 3, v50
	v_sub_u32_e32 v42, 29, v59
	v_and_b32_e32 v52, 7, v52
	v_cmp_gt_u32_e32 vcc, 8, v50
	v_cndmask_b32_e32 v42, v51, v42, vcc
	v_cndmask_b32_e32 v44, v44, v52, vcc
	v_lshlrev_b32_e32 v50, 16, v40
	v_lshlrev_b32_e32 v44, 20, v44
	v_and_b32_e32 v50, 0x80000000, v50
	v_lshl_add_u32 v42, v42, 23, v48
	v_or3_b32 v42, v50, v42, v44
	v_lshrrev_b32_e32 v44, 16, v42
.LBB914_559:                            ;   in Loop: Header=BB914_213 Depth=1
	s_or_b64 exec, exec, s[18:19]
.LBB914_560:                            ;   in Loop: Header=BB914_213 Depth=1
	s_or_b64 exec, exec, s[16:17]
.LBB914_561:                            ;   in Loop: Header=BB914_213 Depth=1
	s_or_b64 exec, exec, s[14:15]
	v_lshrrev_b32_e32 v42, 16, v40
	v_cmp_ne_u16_sdwa s[16:17], v42, v47 src0_sel:BYTE_0 src1_sel:DWORD
	s_and_saveexec_b64 s[14:15], s[16:17]
	s_cbranch_execz .LBB914_567
; %bb.562:                              ;   in Loop: Header=BB914_213 Depth=1
	v_cmp_ne_u16_sdwa s[18:19], v42, s9 src0_sel:BYTE_0 src1_sel:DWORD
	v_mov_b32_e32 v49, 0xffff8000
	s_and_saveexec_b64 s[16:17], s[18:19]
	s_cbranch_execz .LBB914_566
; %bb.563:                              ;   in Loop: Header=BB914_213 Depth=1
	v_bfe_u32 v50, v40, 16, 7
	v_cmp_ne_u32_e32 vcc, s23, v50
	v_mov_b32_e32 v49, 0x7f80
	s_and_saveexec_b64 s[18:19], vcc
	s_cbranch_execz .LBB914_565
; %bb.564:                              ;   in Loop: Header=BB914_213 Depth=1
	v_and_b32_e32 v49, 7, v42
	v_ffbh_u32_e32 v52, v49
	v_min_u32_e32 v59, 32, v52
	v_subrev_u32_e32 v52, 28, v59
	v_lshlrev_b64 v[52:53], v52, v[42:43]
	v_lshrrev_b32_e32 v51, 3, v50
	v_sub_u32_e32 v53, 29, v59
	v_and_b32_e32 v52, 7, v52
	v_cmp_gt_u32_e32 vcc, 8, v50
	v_cndmask_b32_e32 v50, v51, v53, vcc
	v_cndmask_b32_e32 v49, v49, v52, vcc
	v_lshlrev_b32_e32 v42, 24, v42
	v_lshlrev_b32_e32 v49, 20, v49
	v_and_b32_e32 v42, 0x80000000, v42
	v_lshl_add_u32 v50, v50, 23, v48
	v_or3_b32 v42, v42, v50, v49
	v_lshrrev_b32_e32 v49, 16, v42
.LBB914_565:                            ;   in Loop: Header=BB914_213 Depth=1
	s_or_b64 exec, exec, s[18:19]
.LBB914_566:                            ;   in Loop: Header=BB914_213 Depth=1
	s_or_b64 exec, exec, s[16:17]
.LBB914_567:                            ;   in Loop: Header=BB914_213 Depth=1
	s_or_b64 exec, exec, s[14:15]
	v_cmp_lt_u32_e32 vcc, s26, v40
	v_mov_b32_e32 v50, 0
	v_mov_b32_e32 v51, 0
	s_and_saveexec_b64 s[14:15], vcc
	s_cbranch_execz .LBB914_573
; %bb.568:                              ;   in Loop: Header=BB914_213 Depth=1
	v_lshrrev_b32_e32 v42, 24, v40
	v_cmp_ne_u32_e32 vcc, s9, v42
	v_mov_b32_e32 v51, 0xffff8000
	s_and_saveexec_b64 s[16:17], vcc
	s_cbranch_execz .LBB914_572
; %bb.569:                              ;   in Loop: Header=BB914_213 Depth=1
	v_bfe_u32 v40, v40, 24, 7
	v_cmp_ne_u32_e32 vcc, s23, v40
	v_mov_b32_e32 v51, 0x7f80
	s_and_saveexec_b64 s[18:19], vcc
	s_cbranch_execz .LBB914_571
; %bb.570:                              ;   in Loop: Header=BB914_213 Depth=1
	v_and_b32_e32 v51, 7, v42
	v_ffbh_u32_e32 v52, v51
	v_min_u32_e32 v60, 32, v52
	v_subrev_u32_e32 v52, 28, v60
	v_lshlrev_b64 v[52:53], v52, v[42:43]
	v_lshrrev_b32_e32 v59, 3, v40
	v_sub_u32_e32 v53, 29, v60
	v_and_b32_e32 v52, 7, v52
	v_cmp_gt_u32_e32 vcc, 8, v40
	v_cndmask_b32_e32 v40, v59, v53, vcc
	v_cndmask_b32_e32 v51, v51, v52, vcc
	v_lshlrev_b32_e32 v42, 24, v42
	v_lshlrev_b32_e32 v51, 20, v51
	v_and_b32_e32 v42, 0x80000000, v42
	v_lshl_add_u32 v40, v40, 23, v48
	v_or3_b32 v40, v42, v40, v51
	v_lshrrev_b32_e32 v51, 16, v40
.LBB914_571:                            ;   in Loop: Header=BB914_213 Depth=1
	s_or_b64 exec, exec, s[18:19]
.LBB914_572:                            ;   in Loop: Header=BB914_213 Depth=1
	s_or_b64 exec, exec, s[16:17]
.LBB914_573:                            ;   in Loop: Header=BB914_213 Depth=1
	s_or_b64 exec, exec, s[14:15]
	s_waitcnt vmcnt(0)
	v_cmp_ne_u16_sdwa s[16:17], v38, v47 src0_sel:BYTE_0 src1_sel:DWORD
	s_and_saveexec_b64 s[14:15], s[16:17]
	s_cbranch_execz .LBB914_579
; %bb.574:                              ;   in Loop: Header=BB914_213 Depth=1
	v_cmp_ne_u16_sdwa s[18:19], v38, s9 src0_sel:BYTE_0 src1_sel:DWORD
	v_mov_b32_e32 v50, 0xffff8000
	s_and_saveexec_b64 s[16:17], s[18:19]
	s_cbranch_execz .LBB914_578
; %bb.575:                              ;   in Loop: Header=BB914_213 Depth=1
	v_and_b32_e32 v40, 0x7f, v38
	v_cmp_ne_u32_e32 vcc, s23, v40
	v_mov_b32_e32 v50, 0x7f80
	s_and_saveexec_b64 s[18:19], vcc
	s_cbranch_execz .LBB914_577
; %bb.576:                              ;   in Loop: Header=BB914_213 Depth=1
	v_and_b32_e32 v42, 7, v38
	v_ffbh_u32_e32 v52, v42
	v_min_u32_e32 v59, 32, v52
	v_subrev_u32_e32 v52, 28, v59
	v_lshlrev_b64 v[52:53], v52, v[38:39]
	v_lshrrev_b32_e32 v50, 3, v40
	v_sub_u32_e32 v53, 29, v59
	v_and_b32_e32 v52, 7, v52
	v_cmp_gt_u32_e32 vcc, 8, v40
	v_cndmask_b32_e32 v40, v50, v53, vcc
	v_cndmask_b32_e32 v42, v42, v52, vcc
	v_lshlrev_b32_e32 v50, 24, v38
	v_lshlrev_b32_e32 v42, 20, v42
	v_and_b32_e32 v50, 0x80000000, v50
	v_lshl_add_u32 v40, v40, 23, v48
	v_or3_b32 v40, v50, v40, v42
	v_lshrrev_b32_e32 v50, 16, v40
.LBB914_577:                            ;   in Loop: Header=BB914_213 Depth=1
	s_or_b64 exec, exec, s[18:19]
.LBB914_578:                            ;   in Loop: Header=BB914_213 Depth=1
	s_or_b64 exec, exec, s[16:17]
.LBB914_579:                            ;   in Loop: Header=BB914_213 Depth=1
	s_or_b64 exec, exec, s[14:15]
	v_lshrrev_b16_e32 v40, 8, v38
	v_cmp_ne_u16_e32 vcc, 0, v40
	v_mov_b32_e32 v52, 0
	v_mov_b32_e32 v42, 0
	s_and_saveexec_b64 s[14:15], vcc
	s_cbranch_execz .LBB914_585
; %bb.580:                              ;   in Loop: Header=BB914_213 Depth=1
	v_cmp_ne_u16_e32 vcc, s9, v40
	v_mov_b32_e32 v42, 0xffff8000
	s_and_saveexec_b64 s[16:17], vcc
	s_cbranch_execz .LBB914_584
; %bb.581:                              ;   in Loop: Header=BB914_213 Depth=1
	v_and_b32_e32 v53, 0x7f, v40
	v_cmp_ne_u32_e32 vcc, s23, v53
	v_mov_b32_e32 v42, 0x7f80
	s_and_saveexec_b64 s[18:19], vcc
	s_cbranch_execz .LBB914_583
; %bb.582:                              ;   in Loop: Header=BB914_213 Depth=1
	v_and_b32_e32 v42, 7, v40
	v_ffbh_u32_e32 v60, v42
	v_min_u32_e32 v62, 32, v60
	v_subrev_u32_e32 v60, 28, v62
	v_lshlrev_b64 v[60:61], v60, v[40:41]
	v_lshrrev_b32_e32 v59, 3, v53
	v_sub_u32_e32 v40, 29, v62
	v_and_b32_e32 v60, 7, v60
	v_cmp_gt_u32_e32 vcc, 8, v53
	v_cndmask_b32_e32 v40, v59, v40, vcc
	v_cndmask_b32_e32 v42, v42, v60, vcc
	v_lshlrev_b32_e32 v53, 16, v38
	v_lshlrev_b32_e32 v42, 20, v42
	v_and_b32_e32 v53, 0x80000000, v53
	v_lshl_add_u32 v40, v40, 23, v48
	v_or3_b32 v40, v53, v40, v42
	v_lshrrev_b32_e32 v42, 16, v40
.LBB914_583:                            ;   in Loop: Header=BB914_213 Depth=1
	s_or_b64 exec, exec, s[18:19]
.LBB914_584:                            ;   in Loop: Header=BB914_213 Depth=1
	s_or_b64 exec, exec, s[16:17]
.LBB914_585:                            ;   in Loop: Header=BB914_213 Depth=1
	s_or_b64 exec, exec, s[14:15]
	v_lshrrev_b32_e32 v40, 16, v38
	v_cmp_ne_u16_sdwa s[16:17], v40, v47 src0_sel:BYTE_0 src1_sel:DWORD
	s_and_saveexec_b64 s[14:15], s[16:17]
	s_cbranch_execz .LBB914_591
; %bb.586:                              ;   in Loop: Header=BB914_213 Depth=1
	v_cmp_ne_u16_sdwa s[18:19], v40, s9 src0_sel:BYTE_0 src1_sel:DWORD
	v_mov_b32_e32 v52, 0xffff8000
	s_and_saveexec_b64 s[16:17], s[18:19]
	s_cbranch_execz .LBB914_590
; %bb.587:                              ;   in Loop: Header=BB914_213 Depth=1
	v_bfe_u32 v53, v38, 16, 7
	v_cmp_ne_u32_e32 vcc, s23, v53
	v_mov_b32_e32 v52, 0x7f80
	s_and_saveexec_b64 s[18:19], vcc
	s_cbranch_execz .LBB914_589
; %bb.588:                              ;   in Loop: Header=BB914_213 Depth=1
	v_and_b32_e32 v52, 7, v40
	v_ffbh_u32_e32 v60, v52
	v_min_u32_e32 v62, 32, v60
	v_subrev_u32_e32 v60, 28, v62
	v_lshlrev_b64 v[60:61], v60, v[40:41]
	v_lshrrev_b32_e32 v59, 3, v53
	v_sub_u32_e32 v61, 29, v62
	v_and_b32_e32 v60, 7, v60
	v_cmp_gt_u32_e32 vcc, 8, v53
	v_cndmask_b32_e32 v53, v59, v61, vcc
	v_cndmask_b32_e32 v52, v52, v60, vcc
	v_lshlrev_b32_e32 v40, 24, v40
	v_lshlrev_b32_e32 v52, 20, v52
	v_and_b32_e32 v40, 0x80000000, v40
	v_lshl_add_u32 v53, v53, 23, v48
	v_or3_b32 v40, v40, v53, v52
	v_lshrrev_b32_e32 v52, 16, v40
.LBB914_589:                            ;   in Loop: Header=BB914_213 Depth=1
	s_or_b64 exec, exec, s[18:19]
.LBB914_590:                            ;   in Loop: Header=BB914_213 Depth=1
	s_or_b64 exec, exec, s[16:17]
.LBB914_591:                            ;   in Loop: Header=BB914_213 Depth=1
	s_or_b64 exec, exec, s[14:15]
	v_cmp_lt_u32_e32 vcc, s26, v38
	v_mov_b32_e32 v53, 0
	s_and_saveexec_b64 s[14:15], vcc
	s_cbranch_execz .LBB914_212
; %bb.592:                              ;   in Loop: Header=BB914_213 Depth=1
	v_lshrrev_b32_e32 v40, 24, v38
	v_cmp_ne_u32_e32 vcc, s9, v40
	v_mov_b32_e32 v53, 0xffff8000
	s_and_saveexec_b64 s[16:17], vcc
	s_cbranch_execz .LBB914_211
; %bb.593:                              ;   in Loop: Header=BB914_213 Depth=1
	v_bfe_u32 v38, v38, 24, 7
	v_cmp_ne_u32_e32 vcc, s23, v38
	v_mov_b32_e32 v53, 0x7f80
	s_and_saveexec_b64 s[18:19], vcc
	s_cbranch_execz .LBB914_210
; %bb.594:                              ;   in Loop: Header=BB914_213 Depth=1
	v_and_b32_e32 v53, 7, v40
	v_ffbh_u32_e32 v60, v53
	v_min_u32_e32 v62, 32, v60
	v_subrev_u32_e32 v60, 28, v62
	v_lshlrev_b64 v[60:61], v60, v[40:41]
	v_lshrrev_b32_e32 v59, 3, v38
	v_sub_u32_e32 v61, 29, v62
	v_and_b32_e32 v60, 7, v60
	v_cmp_gt_u32_e32 vcc, 8, v38
	v_cndmask_b32_e32 v38, v59, v61, vcc
	v_cndmask_b32_e32 v53, v53, v60, vcc
	v_lshlrev_b32_e32 v40, 24, v40
	v_lshlrev_b32_e32 v53, 20, v53
	v_and_b32_e32 v40, 0x80000000, v40
	v_lshl_add_u32 v38, v38, 23, v48
	v_or3_b32 v38, v40, v38, v53
	v_lshrrev_b32_e32 v53, 16, v38
	s_branch .LBB914_210
.LBB914_595:
	s_barrier
	buffer_load_dword v2, off, s[0:3], 0 offset:320
	buffer_load_dword v5, off, s[0:3], 0 offset:332
	;; [unrolled: 1-line block ×4, first 2 shown]
	v_cmp_gt_u32_e32 vcc, 64, v0
	s_waitcnt vmcnt(0)
	ds_write2st64_b64 v39, v[2:3], v[4:5] offset1:1
	s_waitcnt lgkmcnt(0)
	s_barrier
	s_and_saveexec_b64 s[6:7], vcc
	s_cbranch_execz .LBB914_598
; %bb.596:
	s_lshl_b32 s6, s50, 7
	s_mul_i32 s7, s20, s8
	s_mul_hi_u32 s11, s7, s6
	s_mul_i32 s10, s7, s6
	s_lshl_b64 s[10:11], s[10:11], 1
	v_lshlrev_b32_e32 v4, 6, v55
	s_add_u32 s7, s48, s10
	v_lshl_or_b32 v0, v0, 10, v4
	s_mov_b32 s9, 0
	s_addc_u32 s10, s49, s11
	s_lshl_b32 s8, s24, 7
	v_lshlrev_b32_e32 v2, 5, v1
	v_and_b32_e32 v3, 16, v56
	v_and_b32_e32 v0, 0x1a00, v0
	s_lshl_b64 s[8:9], s[8:9], 1
	v_or3_b32 v0, v0, v2, v3
	s_add_u32 s7, s7, s8
	s_addc_u32 s8, s10, s9
	ds_read_b128 v[4:7], v0
	v_add_u32_e32 v8, s25, v1
	v_mov_b32_e32 v3, s8
	v_add_co_u32_e32 v2, vcc, s7, v54
	v_mad_u64_u32 v[8:9], s[8:9], v8, s6, 0
	v_addc_co_u32_e32 v3, vcc, 0, v3, vcc
	v_lshlrev_b64 v[8:9], 1, v[8:9]
	v_add_co_u32_e32 v8, vcc, v2, v8
	v_addc_co_u32_e32 v9, vcc, v3, v9, vcc
	s_waitcnt lgkmcnt(0)
	global_store_dwordx4 v[8:9], v[4:7], off
	s_and_b64 exec, exec, s[4:5]
	s_cbranch_execz .LBB914_598
; %bb.597:
	ds_read_b128 v[4:7], v0 offset:128
	v_add3_u32 v0, s25, v1, 4
	v_mad_u64_u32 v[0:1], s[4:5], v0, s6, 0
	v_lshlrev_b64 v[0:1], 1, v[0:1]
	v_add_co_u32_e32 v0, vcc, v2, v0
	v_addc_co_u32_e32 v1, vcc, v3, v1, vcc
	s_waitcnt lgkmcnt(0)
	global_store_dwordx4 v[0:1], v[4:7], off
.LBB914_598:
	s_endpgm
	.section	.rodata,"a",@progbits
	.p2align	6, 0x0
	.amdhsa_kernel _Z39paged_attention_ll4mi_QKV_mfma16_kernelI14__hip_bfloat16hLN4vllm18Fp8KVCacheDataTypeE1ES0_Li16ELi128ELi256ELb0ELi5EL8MFMAType0EEvPKT_PKT0_S9_ifPKiSB_SB_iPKfiiiPfSE_PS4_PT2_iSD_SD_
		.amdhsa_group_segment_fixed_size 8192
		.amdhsa_private_segment_fixed_size 352
		.amdhsa_kernarg_size 400
		.amdhsa_user_sgpr_count 8
		.amdhsa_user_sgpr_private_segment_buffer 1
		.amdhsa_user_sgpr_dispatch_ptr 0
		.amdhsa_user_sgpr_queue_ptr 0
		.amdhsa_user_sgpr_kernarg_segment_ptr 1
		.amdhsa_user_sgpr_dispatch_id 0
		.amdhsa_user_sgpr_flat_scratch_init 1
		.amdhsa_user_sgpr_kernarg_preload_length 0
		.amdhsa_user_sgpr_kernarg_preload_offset 0
		.amdhsa_user_sgpr_private_segment_size 0
		.amdhsa_uses_dynamic_stack 0
		.amdhsa_system_sgpr_private_segment_wavefront_offset 1
		.amdhsa_system_sgpr_workgroup_id_x 1
		.amdhsa_system_sgpr_workgroup_id_y 1
		.amdhsa_system_sgpr_workgroup_id_z 1
		.amdhsa_system_sgpr_workgroup_info 0
		.amdhsa_system_vgpr_workitem_id 0
		.amdhsa_next_free_vgpr 76
		.amdhsa_next_free_sgpr 53
		.amdhsa_accum_offset 76
		.amdhsa_reserve_vcc 1
		.amdhsa_reserve_flat_scratch 0
		.amdhsa_float_round_mode_32 0
		.amdhsa_float_round_mode_16_64 0
		.amdhsa_float_denorm_mode_32 3
		.amdhsa_float_denorm_mode_16_64 3
		.amdhsa_dx10_clamp 1
		.amdhsa_ieee_mode 1
		.amdhsa_fp16_overflow 0
		.amdhsa_tg_split 0
		.amdhsa_exception_fp_ieee_invalid_op 0
		.amdhsa_exception_fp_denorm_src 0
		.amdhsa_exception_fp_ieee_div_zero 0
		.amdhsa_exception_fp_ieee_overflow 0
		.amdhsa_exception_fp_ieee_underflow 0
		.amdhsa_exception_fp_ieee_inexact 0
		.amdhsa_exception_int_div_zero 0
	.end_amdhsa_kernel
	.section	.text._Z39paged_attention_ll4mi_QKV_mfma16_kernelI14__hip_bfloat16hLN4vllm18Fp8KVCacheDataTypeE1ES0_Li16ELi128ELi256ELb0ELi5EL8MFMAType0EEvPKT_PKT0_S9_ifPKiSB_SB_iPKfiiiPfSE_PS4_PT2_iSD_SD_,"axG",@progbits,_Z39paged_attention_ll4mi_QKV_mfma16_kernelI14__hip_bfloat16hLN4vllm18Fp8KVCacheDataTypeE1ES0_Li16ELi128ELi256ELb0ELi5EL8MFMAType0EEvPKT_PKT0_S9_ifPKiSB_SB_iPKfiiiPfSE_PS4_PT2_iSD_SD_,comdat
.Lfunc_end914:
	.size	_Z39paged_attention_ll4mi_QKV_mfma16_kernelI14__hip_bfloat16hLN4vllm18Fp8KVCacheDataTypeE1ES0_Li16ELi128ELi256ELb0ELi5EL8MFMAType0EEvPKT_PKT0_S9_ifPKiSB_SB_iPKfiiiPfSE_PS4_PT2_iSD_SD_, .Lfunc_end914-_Z39paged_attention_ll4mi_QKV_mfma16_kernelI14__hip_bfloat16hLN4vllm18Fp8KVCacheDataTypeE1ES0_Li16ELi128ELi256ELb0ELi5EL8MFMAType0EEvPKT_PKT0_S9_ifPKiSB_SB_iPKfiiiPfSE_PS4_PT2_iSD_SD_
                                        ; -- End function
	.section	.AMDGPU.csdata,"",@progbits
; Kernel info:
; codeLenInByte = 22204
; NumSgprs: 57
; NumVgprs: 76
; NumAgprs: 0
; TotalNumVgprs: 76
; ScratchSize: 352
; MemoryBound: 0
; FloatMode: 240
; IeeeMode: 1
; LDSByteSize: 8192 bytes/workgroup (compile time only)
; SGPRBlocks: 7
; VGPRBlocks: 9
; NumSGPRsForWavesPerEU: 57
; NumVGPRsForWavesPerEU: 76
; AccumOffset: 76
; Occupancy: 6
; WaveLimiterHint : 1
; COMPUTE_PGM_RSRC2:SCRATCH_EN: 1
; COMPUTE_PGM_RSRC2:USER_SGPR: 8
; COMPUTE_PGM_RSRC2:TRAP_HANDLER: 0
; COMPUTE_PGM_RSRC2:TGID_X_EN: 1
; COMPUTE_PGM_RSRC2:TGID_Y_EN: 1
; COMPUTE_PGM_RSRC2:TGID_Z_EN: 1
; COMPUTE_PGM_RSRC2:TIDIG_COMP_CNT: 0
; COMPUTE_PGM_RSRC3_GFX90A:ACCUM_OFFSET: 18
; COMPUTE_PGM_RSRC3_GFX90A:TG_SPLIT: 0
	.section	.text._Z39paged_attention_ll4mi_QKV_mfma16_kernelI14__hip_bfloat16hLN4vllm18Fp8KVCacheDataTypeE1ES0_Li16ELi128ELi256ELb0ELi6EL8MFMAType0EEvPKT_PKT0_S9_ifPKiSB_SB_iPKfiiiPfSE_PS4_PT2_iSD_SD_,"axG",@progbits,_Z39paged_attention_ll4mi_QKV_mfma16_kernelI14__hip_bfloat16hLN4vllm18Fp8KVCacheDataTypeE1ES0_Li16ELi128ELi256ELb0ELi6EL8MFMAType0EEvPKT_PKT0_S9_ifPKiSB_SB_iPKfiiiPfSE_PS4_PT2_iSD_SD_,comdat
	.protected	_Z39paged_attention_ll4mi_QKV_mfma16_kernelI14__hip_bfloat16hLN4vllm18Fp8KVCacheDataTypeE1ES0_Li16ELi128ELi256ELb0ELi6EL8MFMAType0EEvPKT_PKT0_S9_ifPKiSB_SB_iPKfiiiPfSE_PS4_PT2_iSD_SD_ ; -- Begin function _Z39paged_attention_ll4mi_QKV_mfma16_kernelI14__hip_bfloat16hLN4vllm18Fp8KVCacheDataTypeE1ES0_Li16ELi128ELi256ELb0ELi6EL8MFMAType0EEvPKT_PKT0_S9_ifPKiSB_SB_iPKfiiiPfSE_PS4_PT2_iSD_SD_
	.globl	_Z39paged_attention_ll4mi_QKV_mfma16_kernelI14__hip_bfloat16hLN4vllm18Fp8KVCacheDataTypeE1ES0_Li16ELi128ELi256ELb0ELi6EL8MFMAType0EEvPKT_PKT0_S9_ifPKiSB_SB_iPKfiiiPfSE_PS4_PT2_iSD_SD_
	.p2align	8
	.type	_Z39paged_attention_ll4mi_QKV_mfma16_kernelI14__hip_bfloat16hLN4vllm18Fp8KVCacheDataTypeE1ES0_Li16ELi128ELi256ELb0ELi6EL8MFMAType0EEvPKT_PKT0_S9_ifPKiSB_SB_iPKfiiiPfSE_PS4_PT2_iSD_SD_,@function
_Z39paged_attention_ll4mi_QKV_mfma16_kernelI14__hip_bfloat16hLN4vllm18Fp8KVCacheDataTypeE1ES0_Li16ELi128ELi256ELb0ELi6EL8MFMAType0EEvPKT_PKT0_S9_ifPKiSB_SB_iPKfiiiPfSE_PS4_PT2_iSD_SD_: ; @_Z39paged_attention_ll4mi_QKV_mfma16_kernelI14__hip_bfloat16hLN4vllm18Fp8KVCacheDataTypeE1ES0_Li16ELi128ELi256ELb0ELi6EL8MFMAType0EEvPKT_PKT0_S9_ifPKiSB_SB_iPKfiiiPfSE_PS4_PT2_iSD_SD_
; %bb.0:
	s_load_dwordx2 s[6:7], s[4:5], 0x30
	s_add_u32 s0, s0, s11
	s_addc_u32 s1, s1, 0
	s_mov_b32 s24, s9
	s_mov_b64 s[12:13], 0
	s_waitcnt lgkmcnt(0)
	s_cmp_lg_u64 s[6:7], 0
	s_cselect_b64 s[16:17], -1, 0
	s_and_b64 vcc, exec, s[16:17]
	s_cbranch_vccz .LBB915_7
; %bb.1:
	s_add_i32 s14, s8, 1
	s_mov_b32 s15, 0
	s_lshl_b64 s[18:19], s[14:15], 2
	s_add_u32 s18, s6, s18
	s_mov_b32 s9, s15
	s_addc_u32 s19, s7, s19
	s_lshl_b64 s[14:15], s[8:9], 2
	s_add_u32 s14, s6, s14
	s_addc_u32 s15, s7, s15
	s_load_dword s11, s[18:19], 0x0
	s_load_dword s20, s[14:15], 0x0
	s_waitcnt lgkmcnt(0)
	s_sub_i32 s11, s11, s20
	s_cmp_eq_u32 s11, 1
	s_cselect_b64 s[14:15], -1, 0
	s_andn2_b64 vcc, exec, s[12:13]
	s_cbranch_vccnz .LBB915_3
.LBB915_2:
	s_mov_b32 s9, 0
	s_mov_b64 s[14:15], -1
.LBB915_3:
	s_andn2_b64 vcc, exec, s[14:15]
	s_cbranch_vccnz .LBB915_598
; %bb.4:
	s_load_dwordx2 s[12:13], s[4:5], 0x28
	s_lshl_b64 s[18:19], s[8:9], 2
	s_waitcnt lgkmcnt(0)
	s_add_u32 s12, s12, s18
	s_addc_u32 s13, s13, s19
	s_load_dword s33, s[12:13], 0x0
	s_lshl_b32 s20, s24, 8
	s_waitcnt lgkmcnt(0)
	s_cmp_ge_i32 s20, s33
	s_cbranch_scc1 .LBB915_598
; %bb.5:
	s_add_i32 s14, s33, 15
	s_load_dwordx2 s[12:13], s[4:5], 0x20
	s_load_dword s11, s[4:5], 0x38
	s_ashr_i32 s15, s14, 31
	v_and_b32_e32 v1, 0xcf, v0
	s_lshr_b32 s15, s15, 28
	v_add_u32_e32 v1, s20, v1
	s_add_i32 s14, s14, s15
	v_ashrrev_i32_e32 v2, 31, v1
	s_ashr_i32 s22, s14, 4
	v_lshrrev_b32_e32 v8, 28, v2
	s_add_i32 s22, s22, -1
	v_add_u32_e32 v2, v1, v8
	s_waitcnt lgkmcnt(0)
	s_mul_i32 s14, s8, s11
	s_mov_b32 s15, 0
	v_ashrrev_i32_e32 v2, 4, v2
	v_mov_b32_e32 v9, s22
	v_cmp_gt_i32_e32 vcc, s33, v1
	s_lshl_b64 s[14:15], s[14:15], 2
	v_cndmask_b32_e32 v2, v9, v2, vcc
	s_add_u32 s11, s12, s14
	v_ashrrev_i32_e32 v3, 31, v2
	s_addc_u32 s21, s13, s15
	v_lshlrev_b64 v[2:3], 2, v[2:3]
	v_mov_b32_e32 v5, s21
	v_add_co_u32_e32 v4, vcc, s11, v2
	v_or_b32_e32 v2, 16, v1
	v_addc_co_u32_e32 v5, vcc, v5, v3, vcc
	v_add_u32_e32 v3, v2, v8
	v_ashrrev_i32_e32 v3, 4, v3
	v_cmp_gt_i32_e32 vcc, s33, v2
	v_cndmask_b32_e32 v2, v9, v3, vcc
	v_ashrrev_i32_e32 v3, 31, v2
	v_lshlrev_b64 v[2:3], 2, v[2:3]
	v_mov_b32_e32 v7, s21
	v_add_co_u32_e32 v6, vcc, s11, v2
	v_or_b32_e32 v2, 32, v1
	v_addc_co_u32_e32 v7, vcc, v7, v3, vcc
	v_add_u32_e32 v3, v2, v8
	v_ashrrev_i32_e32 v3, 4, v3
	v_cmp_gt_i32_e32 vcc, s33, v2
	v_cndmask_b32_e32 v2, v9, v3, vcc
	v_ashrrev_i32_e32 v3, 31, v2
	;; [unrolled: 10-line block ×3, first 2 shown]
	v_lshlrev_b64 v[2:3], 2, v[2:3]
	v_mov_b32_e32 v1, s21
	v_add_co_u32_e32 v12, vcc, s11, v2
	v_addc_co_u32_e32 v13, vcc, v1, v3, vcc
	global_load_dword v2, v[4:5], off
	global_load_dword v9, v[6:7], off
	;; [unrolled: 1-line block ×4, first 2 shown]
	s_load_dwordx4 s[12:15], s[4:5], 0x8
	s_andn2_b64 vcc, exec, s[16:17]
	s_cbranch_vccnz .LBB915_8
; %bb.6:
	s_add_u32 s6, s6, s18
	s_addc_u32 s7, s7, s19
	s_load_dword s16, s[6:7], 0x0
	s_branch .LBB915_9
.LBB915_7:
	s_mov_b64 s[14:15], 0
	s_branch .LBB915_2
.LBB915_8:
	s_mov_b32 s16, s8
.LBB915_9:
	s_load_dwordx2 s[48:49], s[4:5], 0x68
	s_load_dwordx8 s[40:47], s[4:5], 0x48
	v_lshrrev_b32_e32 v60, 6, v0
	v_bfe_u32 v1, v0, 4, 2
	v_and_b32_e32 v55, 15, v0
	v_lshl_or_b32 v3, v60, 2, v1
	v_lshlrev_b32_e32 v4, 3, v55
	s_mul_i32 s25, s10, 6
	v_cmp_gt_u32_e32 vcc, 6, v3
	v_lshlrev_b32_e32 v54, 1, v4
	v_lshlrev_b32_e32 v56, 4, v0
	s_and_saveexec_b64 s[6:7], vcc
	s_cbranch_execz .LBB915_11
; %bb.10:
	s_load_dwordx2 s[18:19], s[4:5], 0x0
	s_waitcnt lgkmcnt(0)
	s_ashr_i32 s17, s40, 31
	s_mul_hi_u32 s23, s16, s40
	s_mul_i32 s17, s16, s17
	s_add_i32 s17, s23, s17
	s_mul_i32 s16, s16, s40
	s_lshl_b64 s[16:17], s[16:17], 1
	v_add_lshl_u32 v4, v3, s25, 7
	s_add_u32 s16, s18, s16
	v_ashrrev_i32_e32 v5, 31, v4
	s_addc_u32 s17, s19, s17
	v_lshlrev_b64 v[4:5], 1, v[4:5]
	v_mov_b32_e32 v6, s17
	v_add_co_u32_e32 v4, vcc, s16, v4
	v_addc_co_u32_e32 v5, vcc, v6, v5, vcc
	v_add_co_u32_e32 v4, vcc, v4, v54
	v_addc_co_u32_e32 v5, vcc, 0, v5, vcc
	global_load_dwordx4 v[4:7], v[4:5], off
	v_lshlrev_b32_e32 v11, 8, v0
	v_lshlrev_b32_e32 v10, 8, v55
	v_and_b32_e32 v11, 0x600, v11
	s_movk_i32 s16, 0x800
	v_and_or_b32 v10, v10, s16, v11
	v_lshlrev_b32_e32 v3, 5, v3
	v_and_b32_e32 v11, 16, v56
	v_or3_b32 v3, v10, v3, v11
	s_waitcnt vmcnt(0)
	ds_write_b128 v3, v[4:7]
.LBB915_11:
	s_or_b64 exec, exec, s[6:7]
	s_waitcnt lgkmcnt(0)
	s_mul_i32 s10, s10, s42
	s_add_u32 s6, s12, s10
	s_addc_u32 s7, s13, 0
	v_and_b32_e32 v3, 0xf0, v56
	v_mov_b32_e32 v4, s7
	v_add_co_u32_e32 v18, vcc, s6, v3
	v_and_b32_e32 v10, 48, v0
	v_addc_co_u32_e32 v19, vcc, 0, v4, vcc
	v_lshlrev_b32_e32 v21, 4, v10
	s_waitcnt vmcnt(3)
	v_mad_i64_i32 v[2:3], s[6:7], v2, s41, v[18:19]
	v_add_co_u32_e32 v6, vcc, v2, v21
	v_addc_co_u32_e32 v7, vcc, 0, v3, vcc
	v_or_b32_e32 v16, s20, v10
	v_ashrrev_i32_e32 v10, 4, v16
	v_mov_b32_e32 v17, s22
	v_cmp_gt_i32_e32 vcc, s33, v16
	v_cndmask_b32_e32 v10, v17, v10, vcc
	v_ashrrev_i32_e32 v11, 31, v10
	v_lshlrev_b64 v[10:11], 2, v[10:11]
	v_mov_b32_e32 v12, s21
	v_add_co_u32_e32 v10, vcc, s11, v10
	v_addc_co_u32_e32 v11, vcc, v12, v11, vcc
	v_or_b32_e32 v12, 64, v16
	v_ashrrev_i32_e32 v13, 4, v12
	v_cmp_gt_i32_e32 vcc, s33, v12
	v_cndmask_b32_e32 v12, v17, v13, vcc
	v_ashrrev_i32_e32 v13, 31, v12
	v_lshlrev_b64 v[12:13], 2, v[12:13]
	v_mov_b32_e32 v14, s21
	v_add_co_u32_e32 v12, vcc, s11, v12
	v_addc_co_u32_e32 v13, vcc, v14, v13, vcc
	v_or_b32_e32 v14, 0x80, v16
	v_ashrrev_i32_e32 v15, 4, v14
	v_cmp_gt_i32_e32 vcc, s33, v14
	v_cndmask_b32_e32 v14, v17, v15, vcc
	v_ashrrev_i32_e32 v15, 31, v14
	v_lshlrev_b64 v[14:15], 2, v[14:15]
	v_mov_b32_e32 v22, s21
	v_add_co_u32_e32 v14, vcc, s11, v14
	s_load_dwordx2 s[50:51], s[4:5], 0x94
	s_waitcnt lgkmcnt(0)
	s_barrier
	global_load_dwordx4 v[2:5], v[6:7], off
	v_addc_co_u32_e32 v15, vcc, v22, v15, vcc
	global_load_dword v50, v[10:11], off
	global_load_dword v57, v[12:13], off
	global_load_dword v62, v[14:15], off
	v_or_b32_e32 v10, 0xc0, v16
	v_ashrrev_i32_e32 v11, 4, v10
	v_cmp_gt_i32_e32 vcc, s33, v10
	v_cndmask_b32_e32 v10, v17, v11, vcc
	v_ashrrev_i32_e32 v11, 31, v10
	v_lshlrev_b64 v[10:11], 2, v[10:11]
	v_mov_b32_e32 v12, s21
	v_add_co_u32_e32 v10, vcc, s11, v10
	v_addc_co_u32_e32 v11, vcc, v12, v11, vcc
	global_load_dword v63, v[10:11], off
	global_load_dwordx4 v[14:17], v[6:7], off offset:1024
	s_waitcnt vmcnt(8)
	v_mad_i64_i32 v[6:7], s[6:7], v9, s41, v[18:19]
	v_add_co_u32_e32 v6, vcc, v6, v21
	v_addc_co_u32_e32 v7, vcc, 0, v7, vcc
	global_load_dwordx4 v[46:49], v[6:7], off
	global_load_dwordx4 v[10:13], v[6:7], off offset:1024
	s_waitcnt vmcnt(9)
	v_mad_i64_i32 v[6:7], s[6:7], v8, s41, v[18:19]
	v_add_co_u32_e32 v22, vcc, v6, v21
	v_addc_co_u32_e32 v23, vcc, 0, v7, vcc
	global_load_dwordx4 v[6:9], v[22:23], off
	s_add_u32 s10, s14, s10
	v_lshl_or_b32 v61, v60, 4, v55
	s_addc_u32 s11, s15, 0
	v_lshlrev_b32_e32 v51, 4, v61
	s_mov_b32 s12, 0
	s_waitcnt vmcnt(8)
	buffer_store_dword v5, off, s[0:3], 0 offset:12
	buffer_store_dword v4, off, s[0:3], 0 offset:8
	v_mad_i64_i32 v[4:5], s[6:7], v20, s41, v[18:19]
	v_add_co_u32_e32 v4, vcc, v4, v21
	v_addc_co_u32_e32 v5, vcc, 0, v5, vcc
	global_load_dwordx4 v[22:25], v[22:23], off offset:1024
	s_nop 0
	global_load_dwordx4 v[26:29], v[4:5], off
	global_load_dwordx4 v[18:21], v[4:5], off offset:1024
	v_mov_b32_e32 v5, s11
	v_add_co_u32_e32 v4, vcc, s10, v51
	v_addc_co_u32_e32 v5, vcc, 0, v5, vcc
	s_waitcnt vmcnt(12)
	v_mad_i64_i32 v[30:31], s[6:7], v50, s41, v[4:5]
	s_waitcnt vmcnt(11)
	v_mad_i64_i32 v[32:33], s[6:7], v57, s41, v[4:5]
	;; [unrolled: 2-line block ×3, first 2 shown]
	global_load_dwordx4 v[34:37], v[30:31], off
	s_nop 0
	global_load_dwordx4 v[30:33], v[32:33], off
	s_waitcnt vmcnt(11)
	v_mad_i64_i32 v[4:5], s[6:7], v63, s41, v[4:5]
	global_load_dwordx4 v[42:45], v[38:39], off
	s_nop 0
	global_load_dwordx4 v[38:41], v[4:5], off
	v_or_b32_e32 v4, 0x400, v51
	v_mov_b32_e32 v5, s11
	v_add_co_u32_e32 v4, vcc, s10, v4
	v_addc_co_u32_e32 v5, vcc, 0, v5, vcc
	v_mad_i64_i32 v[50:51], s[6:7], v50, s41, v[4:5]
	buffer_store_dword v3, off, s[0:3], 0 offset:4
	buffer_store_dword v2, off, s[0:3], 0
	v_mad_i64_i32 v[2:3], s[6:7], v62, s41, v[4:5]
	global_load_dwordx4 v[50:53], v[50:51], off
	v_mad_i64_i32 v[58:59], s[6:7], v57, s41, v[4:5]
	global_load_dwordx4 v[68:71], v[2:3], off
	;; [unrolled: 2-line block ×3, first 2 shown]
	global_load_dwordx4 v[72:75], v[2:3], off
	v_mov_b32_e32 v2, 0x80
	s_waitcnt vmcnt(18)
	buffer_store_dword v17, off, s[0:3], 0 offset:28
	buffer_store_dword v16, off, s[0:3], 0 offset:24
	;; [unrolled: 1-line block ×4, first 2 shown]
	s_waitcnt vmcnt(21)
	buffer_store_dword v49, off, s[0:3], 0 offset:44
	buffer_store_dword v48, off, s[0:3], 0 offset:40
	;; [unrolled: 1-line block ×4, first 2 shown]
	v_add_u32_e32 v47, 16, v2
	v_add_u32_e32 v46, 32, v2
	;; [unrolled: 1-line block ×7, first 2 shown]
	v_mul_lo_u16_e32 v2, 43, v55
	v_mov_b32_e32 v3, 6
	s_load_dword s6, s[4:5], 0x1c
	s_load_dwordx4 s[40:43], s[4:5], 0x80
	v_mul_lo_u16_sdwa v2, v2, v3 dst_sel:DWORD dst_unused:UNUSED_PAD src0_sel:BYTE_1 src1_sel:DWORD
	v_sub_u16_e32 v2, v55, v2
	v_mov_b32_e32 v3, 5
	v_lshlrev_b32_sdwa v2, v3, v2 dst_sel:DWORD dst_unused:UNUSED_PAD src0_sel:DWORD src1_sel:BYTE_0
	s_waitcnt vmcnt(24)
	buffer_store_dword v13, off, s[0:3], 0 offset:60
	buffer_store_dword v12, off, s[0:3], 0 offset:56
	;; [unrolled: 1-line block ×4, first 2 shown]
	s_waitcnt vmcnt(27)
	buffer_store_dword v9, off, s[0:3], 0 offset:76
	buffer_store_dword v8, off, s[0:3], 0 offset:72
	;; [unrolled: 1-line block ×4, first 2 shown]
	v_lshl_add_u32 v14, v1, 9, v2
	ds_read_b128 v[2:5], v14
	ds_read_b128 v[6:9], v14 offset:16
	ds_read_b128 v[10:13], v14 offset:2048
	;; [unrolled: 1-line block ×3, first 2 shown]
	s_waitcnt vmcnt(28)
	buffer_store_dword v25, off, s[0:3], 0 offset:92
	buffer_store_dword v24, off, s[0:3], 0 offset:88
	buffer_store_dword v23, off, s[0:3], 0 offset:84
	buffer_store_dword v22, off, s[0:3], 0 offset:80
	s_waitcnt vmcnt(31)
	buffer_store_dword v29, off, s[0:3], 0 offset:108
	buffer_store_dword v28, off, s[0:3], 0 offset:104
	buffer_store_dword v27, off, s[0:3], 0 offset:100
	buffer_store_dword v26, off, s[0:3], 0 offset:96
	;; [unrolled: 5-line block ×9, first 2 shown]
	buffer_store_dword v71, off, s[0:3], 0 offset:220
	buffer_store_dword v70, off, s[0:3], 0 offset:216
	;; [unrolled: 1-line block ×4, first 2 shown]
	s_waitcnt vmcnt(56)
	buffer_store_dword v75, off, s[0:3], 0 offset:252
	s_waitcnt lgkmcnt(0)
	s_load_dword s4, s[40:41], 0x0
	v_mov_b32_e32 v18, s6
	v_and_b32_e32 v62, 63, v0
	s_movk_i32 s13, 0x80
	v_mov_b32_e32 v27, 0
	s_waitcnt lgkmcnt(0)
	v_mul_f32_e32 v22, s4, v18
	v_mov_b32_e32 v24, v22
	v_mov_b32_e32 v25, v22
	s_movk_i32 s14, 0x7f
	s_mov_b32 s15, 0xffffff
	s_mov_b32 s16, 0x5040100
	v_mov_b32_e32 v29, 0x100
	v_mov_b32_e32 v31, 0
	v_bfrev_b32_e32 v33, 60
	buffer_store_dword v74, off, s[0:3], 0 offset:248
	buffer_store_dword v73, off, s[0:3], 0 offset:244
	;; [unrolled: 1-line block ×3, first 2 shown]
	s_branch .LBB915_15
.LBB915_12:                             ;   in Loop: Header=BB915_15 Depth=1
	s_or_b64 exec, exec, s[10:11]
.LBB915_13:                             ;   in Loop: Header=BB915_15 Depth=1
	s_or_b64 exec, exec, s[6:7]
.LBB915_14:                             ;   in Loop: Header=BB915_15 Depth=1
	s_or_b64 exec, exec, s[4:5]
	v_perm_b32 v41, v36, v32, s16
	v_perm_b32 v40, v23, v34, s16
	;; [unrolled: 1-line block ×4, first 2 shown]
	v_add_u32_e32 v26, s12, v29
	v_mfma_f32_16x16x16bf16_1k v[18:21], v[40:41], v[14:15], v[18:21]
	s_add_i32 s12, s12, 16
	v_mov_b32_e32 v23, v22
	s_cmp_eq_u32 s12, 64
	v_add_u32_e32 v27, 32, v27
	v_mfma_f32_16x16x16bf16_1k v[18:21], v[36:37], v[16:17], v[18:21]
	s_nop 7
	s_nop 2
	v_pk_mul_f32 v[18:19], v[24:25], v[18:19]
	v_pk_mul_f32 v[20:21], v[22:23], v[20:21]
	buffer_store_dword v19, v26, s[0:3], 0 offen offset:4
	buffer_store_dword v18, v26, s[0:3], 0 offen
	buffer_store_dword v21, v26, s[0:3], 0 offen offset:12
	buffer_store_dword v20, v26, s[0:3], 0 offen offset:8
	s_cbranch_scc1 .LBB915_205
.LBB915_15:                             ; =>This Inner Loop Header: Depth=1
	buffer_load_dword v20, v27, s[0:3], 0 offen
	buffer_load_dword v18, v27, s[0:3], 0 offen offset:4
	buffer_load_dword v28, v27, s[0:3], 0 offen offset:8
	;; [unrolled: 1-line block ×3, first 2 shown]
	v_mov_b32_e32 v19, 0
	s_waitcnt vmcnt(3)
	v_cmp_ne_u16_sdwa s[6:7], v20, v31 src0_sel:BYTE_0 src1_sel:DWORD
	s_and_saveexec_b64 s[4:5], s[6:7]
	s_cbranch_execz .LBB915_21
; %bb.16:                               ;   in Loop: Header=BB915_15 Depth=1
	v_cmp_ne_u16_sdwa s[10:11], v20, s13 src0_sel:BYTE_0 src1_sel:DWORD
	v_mov_b32_e32 v19, 0xffff8000
	s_and_saveexec_b64 s[6:7], s[10:11]
	s_cbranch_execz .LBB915_20
; %bb.17:                               ;   in Loop: Header=BB915_15 Depth=1
	v_and_b32_e32 v21, 0x7f, v20
	v_cmp_ne_u32_e32 vcc, s14, v21
	v_mov_b32_e32 v19, 0x7f80
	s_and_saveexec_b64 s[10:11], vcc
	s_cbranch_execz .LBB915_19
; %bb.18:                               ;   in Loop: Header=BB915_15 Depth=1
	v_and_b32_e32 v19, 7, v20
	v_ffbh_u32_e32 v30, v19
	v_min_u32_e32 v30, 32, v30
	v_subrev_u32_e32 v32, 28, v30
	v_lshlrev_b64 v[34:35], v32, v[20:21]
	v_lshrrev_b32_e32 v23, 3, v21
	v_sub_u32_e32 v30, 29, v30
	v_and_b32_e32 v32, 7, v34
	v_cmp_gt_u32_e32 vcc, 8, v21
	v_cndmask_b32_e32 v21, v23, v30, vcc
	v_cndmask_b32_e32 v19, v19, v32, vcc
	v_lshlrev_b32_e32 v23, 24, v20
	v_lshlrev_b32_e32 v19, 20, v19
	v_and_b32_e32 v23, 0x80000000, v23
	v_lshl_add_u32 v21, v21, 23, v33
	v_or3_b32 v19, v23, v21, v19
	v_lshrrev_b32_e32 v19, 16, v19
.LBB915_19:                             ;   in Loop: Header=BB915_15 Depth=1
	s_or_b64 exec, exec, s[10:11]
.LBB915_20:                             ;   in Loop: Header=BB915_15 Depth=1
	s_or_b64 exec, exec, s[6:7]
.LBB915_21:                             ;   in Loop: Header=BB915_15 Depth=1
	s_or_b64 exec, exec, s[4:5]
	v_lshrrev_b16_e32 v30, 8, v20
	v_cmp_ne_u16_e32 vcc, 0, v30
	v_mov_b32_e32 v23, 0
	v_mov_b32_e32 v21, 0
	s_and_saveexec_b64 s[4:5], vcc
	s_cbranch_execz .LBB915_27
; %bb.22:                               ;   in Loop: Header=BB915_15 Depth=1
	v_cmp_ne_u16_e32 vcc, s13, v30
	v_mov_b32_e32 v21, 0xffff8000
	s_and_saveexec_b64 s[6:7], vcc
	s_cbranch_execz .LBB915_26
; %bb.23:                               ;   in Loop: Header=BB915_15 Depth=1
	v_and_b32_e32 v32, 0x7f, v30
	v_cmp_ne_u32_e32 vcc, s14, v32
	v_mov_b32_e32 v21, 0x7f80
	s_and_saveexec_b64 s[10:11], vcc
	s_cbranch_execz .LBB915_25
; %bb.24:                               ;   in Loop: Header=BB915_15 Depth=1
	v_and_b32_e32 v21, 7, v30
	v_ffbh_u32_e32 v34, v21
	v_min_u32_e32 v37, 32, v34
	v_subrev_u32_e32 v34, 28, v37
	v_lshlrev_b64 v[34:35], v34, v[30:31]
	v_lshrrev_b32_e32 v36, 3, v32
	v_sub_u32_e32 v30, 29, v37
	v_and_b32_e32 v34, 7, v34
	v_cmp_gt_u32_e32 vcc, 8, v32
	v_cndmask_b32_e32 v30, v36, v30, vcc
	v_cndmask_b32_e32 v21, v21, v34, vcc
	v_lshlrev_b32_e32 v32, 16, v20
	v_lshlrev_b32_e32 v21, 20, v21
	v_and_b32_e32 v32, 0x80000000, v32
	v_lshl_add_u32 v30, v30, 23, v33
	v_or3_b32 v21, v32, v30, v21
	v_lshrrev_b32_e32 v21, 16, v21
.LBB915_25:                             ;   in Loop: Header=BB915_15 Depth=1
	s_or_b64 exec, exec, s[10:11]
.LBB915_26:                             ;   in Loop: Header=BB915_15 Depth=1
	s_or_b64 exec, exec, s[6:7]
.LBB915_27:                             ;   in Loop: Header=BB915_15 Depth=1
	s_or_b64 exec, exec, s[4:5]
	v_lshrrev_b32_e32 v30, 16, v20
	v_cmp_ne_u16_sdwa s[6:7], v30, v31 src0_sel:BYTE_0 src1_sel:DWORD
	s_and_saveexec_b64 s[4:5], s[6:7]
	s_cbranch_execz .LBB915_33
; %bb.28:                               ;   in Loop: Header=BB915_15 Depth=1
	v_cmp_ne_u16_sdwa s[10:11], v30, s13 src0_sel:BYTE_0 src1_sel:DWORD
	v_mov_b32_e32 v23, 0xffff8000
	s_and_saveexec_b64 s[6:7], s[10:11]
	s_cbranch_execz .LBB915_32
; %bb.29:                               ;   in Loop: Header=BB915_15 Depth=1
	v_bfe_u32 v32, v20, 16, 7
	v_cmp_ne_u32_e32 vcc, s14, v32
	v_mov_b32_e32 v23, 0x7f80
	s_and_saveexec_b64 s[10:11], vcc
	s_cbranch_execz .LBB915_31
; %bb.30:                               ;   in Loop: Header=BB915_15 Depth=1
	v_and_b32_e32 v23, 7, v30
	v_ffbh_u32_e32 v34, v23
	v_min_u32_e32 v37, 32, v34
	v_subrev_u32_e32 v34, 28, v37
	v_lshlrev_b64 v[34:35], v34, v[30:31]
	v_lshrrev_b32_e32 v36, 3, v32
	v_sub_u32_e32 v35, 29, v37
	v_and_b32_e32 v34, 7, v34
	v_cmp_gt_u32_e32 vcc, 8, v32
	v_cndmask_b32_e32 v32, v36, v35, vcc
	v_cndmask_b32_e32 v23, v23, v34, vcc
	v_lshlrev_b32_e32 v30, 24, v30
	v_lshlrev_b32_e32 v23, 20, v23
	v_and_b32_e32 v30, 0x80000000, v30
	v_lshl_add_u32 v32, v32, 23, v33
	v_or3_b32 v23, v30, v32, v23
	v_lshrrev_b32_e32 v23, 16, v23
.LBB915_31:                             ;   in Loop: Header=BB915_15 Depth=1
	s_or_b64 exec, exec, s[10:11]
.LBB915_32:                             ;   in Loop: Header=BB915_15 Depth=1
	s_or_b64 exec, exec, s[6:7]
.LBB915_33:                             ;   in Loop: Header=BB915_15 Depth=1
	s_or_b64 exec, exec, s[4:5]
	v_cmp_lt_u32_e32 vcc, s15, v20
	v_mov_b32_e32 v34, 0
	v_mov_b32_e32 v35, 0
	s_and_saveexec_b64 s[4:5], vcc
	s_cbranch_execz .LBB915_39
; %bb.34:                               ;   in Loop: Header=BB915_15 Depth=1
	v_lshrrev_b32_e32 v30, 24, v20
	v_cmp_ne_u32_e32 vcc, s13, v30
	v_mov_b32_e32 v35, 0xffff8000
	s_and_saveexec_b64 s[6:7], vcc
	s_cbranch_execz .LBB915_38
; %bb.35:                               ;   in Loop: Header=BB915_15 Depth=1
	v_bfe_u32 v20, v20, 24, 7
	v_cmp_ne_u32_e32 vcc, s14, v20
	v_mov_b32_e32 v35, 0x7f80
	s_and_saveexec_b64 s[10:11], vcc
	s_cbranch_execz .LBB915_37
; %bb.36:                               ;   in Loop: Header=BB915_15 Depth=1
	v_and_b32_e32 v32, 7, v30
	v_ffbh_u32_e32 v36, v32
	v_min_u32_e32 v38, 32, v36
	v_subrev_u32_e32 v36, 28, v38
	v_lshlrev_b64 v[36:37], v36, v[30:31]
	v_lshrrev_b32_e32 v35, 3, v20
	v_sub_u32_e32 v37, 29, v38
	v_and_b32_e32 v36, 7, v36
	v_cmp_gt_u32_e32 vcc, 8, v20
	v_cndmask_b32_e32 v20, v35, v37, vcc
	v_cndmask_b32_e32 v32, v32, v36, vcc
	v_lshlrev_b32_e32 v30, 24, v30
	v_lshlrev_b32_e32 v32, 20, v32
	v_and_b32_e32 v30, 0x80000000, v30
	v_lshl_add_u32 v20, v20, 23, v33
	v_or3_b32 v20, v30, v20, v32
	v_lshrrev_b32_e32 v35, 16, v20
.LBB915_37:                             ;   in Loop: Header=BB915_15 Depth=1
	s_or_b64 exec, exec, s[10:11]
.LBB915_38:                             ;   in Loop: Header=BB915_15 Depth=1
	s_or_b64 exec, exec, s[6:7]
.LBB915_39:                             ;   in Loop: Header=BB915_15 Depth=1
	s_or_b64 exec, exec, s[4:5]
	s_waitcnt vmcnt(2)
	v_cmp_ne_u16_sdwa s[6:7], v18, v31 src0_sel:BYTE_0 src1_sel:DWORD
	s_and_saveexec_b64 s[4:5], s[6:7]
	s_cbranch_execz .LBB915_45
; %bb.40:                               ;   in Loop: Header=BB915_15 Depth=1
	v_cmp_ne_u16_sdwa s[10:11], v18, s13 src0_sel:BYTE_0 src1_sel:DWORD
	v_mov_b32_e32 v34, 0xffff8000
	s_and_saveexec_b64 s[6:7], s[10:11]
	s_cbranch_execz .LBB915_44
; %bb.41:                               ;   in Loop: Header=BB915_15 Depth=1
	v_and_b32_e32 v20, 0x7f, v18
	v_cmp_ne_u32_e32 vcc, s14, v20
	v_mov_b32_e32 v34, 0x7f80
	s_and_saveexec_b64 s[10:11], vcc
	s_cbranch_execz .LBB915_43
; %bb.42:                               ;   in Loop: Header=BB915_15 Depth=1
	v_and_b32_e32 v30, 7, v18
	v_ffbh_u32_e32 v34, v30
	v_min_u32_e32 v34, 32, v34
	v_subrev_u32_e32 v36, 28, v34
	v_lshlrev_b64 v[36:37], v36, v[18:19]
	v_lshrrev_b32_e32 v32, 3, v20
	v_sub_u32_e32 v34, 29, v34
	v_and_b32_e32 v36, 7, v36
	v_cmp_gt_u32_e32 vcc, 8, v20
	v_cndmask_b32_e32 v20, v32, v34, vcc
	v_cndmask_b32_e32 v30, v30, v36, vcc
	v_lshlrev_b32_e32 v32, 24, v18
	v_lshlrev_b32_e32 v30, 20, v30
	v_and_b32_e32 v32, 0x80000000, v32
	v_lshl_add_u32 v20, v20, 23, v33
	v_or3_b32 v20, v32, v20, v30
	v_lshrrev_b32_e32 v34, 16, v20
.LBB915_43:                             ;   in Loop: Header=BB915_15 Depth=1
	s_or_b64 exec, exec, s[10:11]
.LBB915_44:                             ;   in Loop: Header=BB915_15 Depth=1
	s_or_b64 exec, exec, s[6:7]
.LBB915_45:                             ;   in Loop: Header=BB915_15 Depth=1
	s_or_b64 exec, exec, s[4:5]
	v_lshrrev_b16_e32 v20, 8, v18
	v_cmp_ne_u16_e32 vcc, 0, v20
	v_mov_b32_e32 v36, 0
	v_mov_b32_e32 v30, 0
	s_and_saveexec_b64 s[4:5], vcc
	s_cbranch_execz .LBB915_51
; %bb.46:                               ;   in Loop: Header=BB915_15 Depth=1
	v_cmp_ne_u16_e32 vcc, s13, v20
	v_mov_b32_e32 v30, 0xffff8000
	s_and_saveexec_b64 s[6:7], vcc
	s_cbranch_execz .LBB915_50
; %bb.47:                               ;   in Loop: Header=BB915_15 Depth=1
	v_and_b32_e32 v32, 0x7f, v20
	v_cmp_ne_u32_e32 vcc, s14, v32
	v_mov_b32_e32 v30, 0x7f80
	s_and_saveexec_b64 s[10:11], vcc
	s_cbranch_execz .LBB915_49
; %bb.48:                               ;   in Loop: Header=BB915_15 Depth=1
	v_and_b32_e32 v30, 7, v20
	v_ffbh_u32_e32 v38, v30
	v_min_u32_e32 v40, 32, v38
	v_subrev_u32_e32 v38, 28, v40
	v_lshlrev_b64 v[38:39], v38, v[20:21]
	v_lshrrev_b32_e32 v37, 3, v32
	v_sub_u32_e32 v20, 29, v40
	v_and_b32_e32 v38, 7, v38
	v_cmp_gt_u32_e32 vcc, 8, v32
	v_cndmask_b32_e32 v20, v37, v20, vcc
	v_cndmask_b32_e32 v30, v30, v38, vcc
	v_lshlrev_b32_e32 v32, 16, v18
	v_lshlrev_b32_e32 v30, 20, v30
	v_and_b32_e32 v32, 0x80000000, v32
	v_lshl_add_u32 v20, v20, 23, v33
	v_or3_b32 v20, v32, v20, v30
	v_lshrrev_b32_e32 v30, 16, v20
.LBB915_49:                             ;   in Loop: Header=BB915_15 Depth=1
	s_or_b64 exec, exec, s[10:11]
.LBB915_50:                             ;   in Loop: Header=BB915_15 Depth=1
	s_or_b64 exec, exec, s[6:7]
.LBB915_51:                             ;   in Loop: Header=BB915_15 Depth=1
	s_or_b64 exec, exec, s[4:5]
	v_lshrrev_b32_e32 v20, 16, v18
	v_cmp_ne_u16_sdwa s[6:7], v20, v31 src0_sel:BYTE_0 src1_sel:DWORD
	s_and_saveexec_b64 s[4:5], s[6:7]
	s_cbranch_execz .LBB915_57
; %bb.52:                               ;   in Loop: Header=BB915_15 Depth=1
	v_cmp_ne_u16_sdwa s[10:11], v20, s13 src0_sel:BYTE_0 src1_sel:DWORD
	v_mov_b32_e32 v36, 0xffff8000
	s_and_saveexec_b64 s[6:7], s[10:11]
	s_cbranch_execz .LBB915_56
; %bb.53:                               ;   in Loop: Header=BB915_15 Depth=1
	v_bfe_u32 v32, v18, 16, 7
	v_cmp_ne_u32_e32 vcc, s14, v32
	v_mov_b32_e32 v36, 0x7f80
	s_and_saveexec_b64 s[10:11], vcc
	s_cbranch_execz .LBB915_55
; %bb.54:                               ;   in Loop: Header=BB915_15 Depth=1
	v_and_b32_e32 v38, 7, v20
	v_ffbh_u32_e32 v36, v38
	v_min_u32_e32 v40, 32, v36
	v_subrev_u32_e32 v36, 28, v40
	v_lshlrev_b64 v[36:37], v36, v[20:21]
	v_lshrrev_b32_e32 v39, 3, v32
	v_sub_u32_e32 v37, 29, v40
	v_and_b32_e32 v36, 7, v36
	v_cmp_gt_u32_e32 vcc, 8, v32
	v_cndmask_b32_e32 v32, v39, v37, vcc
	v_cndmask_b32_e32 v36, v38, v36, vcc
	v_lshlrev_b32_e32 v20, 24, v20
	v_lshlrev_b32_e32 v36, 20, v36
	v_and_b32_e32 v20, 0x80000000, v20
	v_lshl_add_u32 v32, v32, 23, v33
	v_or3_b32 v20, v20, v32, v36
	v_lshrrev_b32_e32 v36, 16, v20
.LBB915_55:                             ;   in Loop: Header=BB915_15 Depth=1
	s_or_b64 exec, exec, s[10:11]
.LBB915_56:                             ;   in Loop: Header=BB915_15 Depth=1
	s_or_b64 exec, exec, s[6:7]
.LBB915_57:                             ;   in Loop: Header=BB915_15 Depth=1
	s_or_b64 exec, exec, s[4:5]
	v_cmp_lt_u32_e32 vcc, s15, v18
	v_mov_b32_e32 v32, 0
	v_mov_b32_e32 v37, 0
	s_and_saveexec_b64 s[4:5], vcc
	s_cbranch_execz .LBB915_63
; %bb.58:                               ;   in Loop: Header=BB915_15 Depth=1
	v_lshrrev_b32_e32 v20, 24, v18
	v_cmp_ne_u32_e32 vcc, s13, v20
	v_mov_b32_e32 v37, 0xffff8000
	s_and_saveexec_b64 s[6:7], vcc
	s_cbranch_execz .LBB915_62
; %bb.59:                               ;   in Loop: Header=BB915_15 Depth=1
	v_bfe_u32 v18, v18, 24, 7
	v_cmp_ne_u32_e32 vcc, s14, v18
	v_mov_b32_e32 v37, 0x7f80
	s_and_saveexec_b64 s[10:11], vcc
	s_cbranch_execz .LBB915_61
; %bb.60:                               ;   in Loop: Header=BB915_15 Depth=1
	v_and_b32_e32 v37, 7, v20
	v_ffbh_u32_e32 v38, v37
	v_min_u32_e32 v41, 32, v38
	v_subrev_u32_e32 v38, 28, v41
	v_lshlrev_b64 v[38:39], v38, v[20:21]
	v_lshrrev_b32_e32 v40, 3, v18
	v_sub_u32_e32 v39, 29, v41
	v_and_b32_e32 v38, 7, v38
	v_cmp_gt_u32_e32 vcc, 8, v18
	v_cndmask_b32_e32 v18, v40, v39, vcc
	v_cndmask_b32_e32 v37, v37, v38, vcc
	v_lshlrev_b32_e32 v20, 24, v20
	v_lshlrev_b32_e32 v37, 20, v37
	v_and_b32_e32 v20, 0x80000000, v20
	v_lshl_add_u32 v18, v18, 23, v33
	v_or3_b32 v18, v20, v18, v37
	v_lshrrev_b32_e32 v37, 16, v18
.LBB915_61:                             ;   in Loop: Header=BB915_15 Depth=1
	s_or_b64 exec, exec, s[10:11]
.LBB915_62:                             ;   in Loop: Header=BB915_15 Depth=1
	s_or_b64 exec, exec, s[6:7]
.LBB915_63:                             ;   in Loop: Header=BB915_15 Depth=1
	s_or_b64 exec, exec, s[4:5]
	v_perm_b32 v39, v35, v23, s16
	v_perm_b32 v38, v21, v19, s16
	;; [unrolled: 1-line block ×4, first 2 shown]
	s_waitcnt vmcnt(1)
	v_cmp_ne_u16_sdwa s[6:7], v28, v31 src0_sel:BYTE_0 src1_sel:DWORD
	v_mfma_f32_16x16x16bf16_1k v[18:21], v[38:39], v[2:3], 0
	v_mfma_f32_16x16x16bf16_1k v[18:21], v[34:35], v[4:5], v[18:21]
	s_and_saveexec_b64 s[4:5], s[6:7]
	s_cbranch_execz .LBB915_69
; %bb.64:                               ;   in Loop: Header=BB915_15 Depth=1
	v_cmp_ne_u16_sdwa s[10:11], v28, s13 src0_sel:BYTE_0 src1_sel:DWORD
	v_mov_b32_e32 v32, 0xffff8000
	s_and_saveexec_b64 s[6:7], s[10:11]
	s_cbranch_execz .LBB915_68
; %bb.65:                               ;   in Loop: Header=BB915_15 Depth=1
	v_and_b32_e32 v23, 0x7f, v28
	v_cmp_ne_u32_e32 vcc, s14, v23
	v_mov_b32_e32 v32, 0x7f80
	s_and_saveexec_b64 s[10:11], vcc
	s_cbranch_execz .LBB915_67
; %bb.66:                               ;   in Loop: Header=BB915_15 Depth=1
	v_and_b32_e32 v30, 7, v28
	v_ffbh_u32_e32 v34, v30
	v_min_u32_e32 v36, 32, v34
	v_subrev_u32_e32 v34, 28, v36
	v_lshlrev_b64 v[34:35], v34, v[28:29]
	v_lshrrev_b32_e32 v32, 3, v23
	v_sub_u32_e32 v35, 29, v36
	v_and_b32_e32 v34, 7, v34
	v_cmp_gt_u32_e32 vcc, 8, v23
	v_cndmask_b32_e32 v23, v32, v35, vcc
	v_cndmask_b32_e32 v30, v30, v34, vcc
	v_lshlrev_b32_e32 v32, 24, v28
	v_lshlrev_b32_e32 v30, 20, v30
	v_and_b32_e32 v32, 0x80000000, v32
	v_lshl_add_u32 v23, v23, 23, v33
	v_or3_b32 v23, v32, v23, v30
	v_lshrrev_b32_e32 v32, 16, v23
.LBB915_67:                             ;   in Loop: Header=BB915_15 Depth=1
	s_or_b64 exec, exec, s[10:11]
.LBB915_68:                             ;   in Loop: Header=BB915_15 Depth=1
	s_or_b64 exec, exec, s[6:7]
.LBB915_69:                             ;   in Loop: Header=BB915_15 Depth=1
	s_or_b64 exec, exec, s[4:5]
	v_lshrrev_b16_e32 v30, 8, v28
	v_cmp_ne_u16_e32 vcc, 0, v30
	v_mov_b32_e32 v35, 0
	v_mov_b32_e32 v34, 0
	s_and_saveexec_b64 s[4:5], vcc
	s_cbranch_execz .LBB915_75
; %bb.70:                               ;   in Loop: Header=BB915_15 Depth=1
	v_cmp_ne_u16_e32 vcc, s13, v30
	v_mov_b32_e32 v34, 0xffff8000
	s_and_saveexec_b64 s[6:7], vcc
	s_cbranch_execz .LBB915_74
; %bb.71:                               ;   in Loop: Header=BB915_15 Depth=1
	v_and_b32_e32 v23, 0x7f, v30
	v_cmp_ne_u32_e32 vcc, s14, v23
	v_mov_b32_e32 v34, 0x7f80
	s_and_saveexec_b64 s[10:11], vcc
	s_cbranch_execz .LBB915_73
; %bb.72:                               ;   in Loop: Header=BB915_15 Depth=1
	v_and_b32_e32 v34, 7, v30
	v_ffbh_u32_e32 v36, v34
	v_min_u32_e32 v39, 32, v36
	v_subrev_u32_e32 v36, 28, v39
	v_lshlrev_b64 v[36:37], v36, v[30:31]
	v_lshrrev_b32_e32 v38, 3, v23
	v_sub_u32_e32 v30, 29, v39
	v_and_b32_e32 v36, 7, v36
	v_cmp_gt_u32_e32 vcc, 8, v23
	v_cndmask_b32_e32 v23, v38, v30, vcc
	v_cndmask_b32_e32 v30, v34, v36, vcc
	v_lshlrev_b32_e32 v34, 16, v28
	v_lshlrev_b32_e32 v30, 20, v30
	v_and_b32_e32 v34, 0x80000000, v34
	v_lshl_add_u32 v23, v23, 23, v33
	v_or3_b32 v23, v34, v23, v30
	v_lshrrev_b32_e32 v34, 16, v23
.LBB915_73:                             ;   in Loop: Header=BB915_15 Depth=1
	s_or_b64 exec, exec, s[10:11]
.LBB915_74:                             ;   in Loop: Header=BB915_15 Depth=1
	s_or_b64 exec, exec, s[6:7]
.LBB915_75:                             ;   in Loop: Header=BB915_15 Depth=1
	s_or_b64 exec, exec, s[4:5]
	v_lshrrev_b32_e32 v30, 16, v28
	v_cmp_ne_u16_sdwa s[6:7], v30, v31 src0_sel:BYTE_0 src1_sel:DWORD
	s_and_saveexec_b64 s[4:5], s[6:7]
	s_cbranch_execz .LBB915_81
; %bb.76:                               ;   in Loop: Header=BB915_15 Depth=1
	v_cmp_ne_u16_sdwa s[10:11], v30, s13 src0_sel:BYTE_0 src1_sel:DWORD
	v_mov_b32_e32 v35, 0xffff8000
	s_and_saveexec_b64 s[6:7], s[10:11]
	s_cbranch_execz .LBB915_80
; %bb.77:                               ;   in Loop: Header=BB915_15 Depth=1
	v_bfe_u32 v23, v28, 16, 7
	v_cmp_ne_u32_e32 vcc, s14, v23
	v_mov_b32_e32 v35, 0x7f80
	s_and_saveexec_b64 s[10:11], vcc
	s_cbranch_execz .LBB915_79
; %bb.78:                               ;   in Loop: Header=BB915_15 Depth=1
	v_and_b32_e32 v35, 7, v30
	v_ffbh_u32_e32 v36, v35
	v_min_u32_e32 v39, 32, v36
	v_subrev_u32_e32 v36, 28, v39
	v_lshlrev_b64 v[36:37], v36, v[30:31]
	v_lshrrev_b32_e32 v38, 3, v23
	v_sub_u32_e32 v37, 29, v39
	v_and_b32_e32 v36, 7, v36
	v_cmp_gt_u32_e32 vcc, 8, v23
	v_cndmask_b32_e32 v23, v38, v37, vcc
	v_cndmask_b32_e32 v35, v35, v36, vcc
	v_lshlrev_b32_e32 v30, 24, v30
	v_lshlrev_b32_e32 v35, 20, v35
	v_and_b32_e32 v30, 0x80000000, v30
	v_lshl_add_u32 v23, v23, 23, v33
	v_or3_b32 v23, v30, v23, v35
	v_lshrrev_b32_e32 v35, 16, v23
.LBB915_79:                             ;   in Loop: Header=BB915_15 Depth=1
	s_or_b64 exec, exec, s[10:11]
.LBB915_80:                             ;   in Loop: Header=BB915_15 Depth=1
	s_or_b64 exec, exec, s[6:7]
.LBB915_81:                             ;   in Loop: Header=BB915_15 Depth=1
	s_or_b64 exec, exec, s[4:5]
	v_cmp_lt_u32_e32 vcc, s15, v28
	v_mov_b32_e32 v36, 0
	v_mov_b32_e32 v37, 0
	s_and_saveexec_b64 s[4:5], vcc
	s_cbranch_execz .LBB915_87
; %bb.82:                               ;   in Loop: Header=BB915_15 Depth=1
	v_lshrrev_b32_e32 v30, 24, v28
	v_cmp_ne_u32_e32 vcc, s13, v30
	v_mov_b32_e32 v37, 0xffff8000
	s_and_saveexec_b64 s[6:7], vcc
	s_cbranch_execz .LBB915_86
; %bb.83:                               ;   in Loop: Header=BB915_15 Depth=1
	v_bfe_u32 v23, v28, 24, 7
	v_cmp_ne_u32_e32 vcc, s14, v23
	v_mov_b32_e32 v37, 0x7f80
	s_and_saveexec_b64 s[10:11], vcc
	s_cbranch_execz .LBB915_85
; %bb.84:                               ;   in Loop: Header=BB915_15 Depth=1
	v_and_b32_e32 v28, 7, v30
	v_ffbh_u32_e32 v38, v28
	v_min_u32_e32 v40, 32, v38
	v_subrev_u32_e32 v38, 28, v40
	v_lshlrev_b64 v[38:39], v38, v[30:31]
	v_lshrrev_b32_e32 v37, 3, v23
	v_sub_u32_e32 v39, 29, v40
	v_and_b32_e32 v38, 7, v38
	v_cmp_gt_u32_e32 vcc, 8, v23
	v_cndmask_b32_e32 v23, v37, v39, vcc
	v_cndmask_b32_e32 v28, v28, v38, vcc
	v_lshlrev_b32_e32 v30, 24, v30
	v_lshlrev_b32_e32 v28, 20, v28
	v_and_b32_e32 v30, 0x80000000, v30
	v_lshl_add_u32 v23, v23, 23, v33
	v_or3_b32 v23, v30, v23, v28
	v_lshrrev_b32_e32 v37, 16, v23
.LBB915_85:                             ;   in Loop: Header=BB915_15 Depth=1
	s_or_b64 exec, exec, s[10:11]
.LBB915_86:                             ;   in Loop: Header=BB915_15 Depth=1
	s_or_b64 exec, exec, s[6:7]
.LBB915_87:                             ;   in Loop: Header=BB915_15 Depth=1
	s_or_b64 exec, exec, s[4:5]
	s_waitcnt vmcnt(0)
	v_cmp_ne_u16_sdwa s[6:7], v26, v31 src0_sel:BYTE_0 src1_sel:DWORD
	s_and_saveexec_b64 s[4:5], s[6:7]
	s_cbranch_execz .LBB915_93
; %bb.88:                               ;   in Loop: Header=BB915_15 Depth=1
	v_cmp_ne_u16_sdwa s[10:11], v26, s13 src0_sel:BYTE_0 src1_sel:DWORD
	v_mov_b32_e32 v36, 0xffff8000
	s_and_saveexec_b64 s[6:7], s[10:11]
	s_cbranch_execz .LBB915_92
; %bb.89:                               ;   in Loop: Header=BB915_15 Depth=1
	v_and_b32_e32 v23, 0x7f, v26
	v_cmp_ne_u32_e32 vcc, s14, v23
	v_mov_b32_e32 v36, 0x7f80
	s_and_saveexec_b64 s[10:11], vcc
	s_cbranch_execz .LBB915_91
; %bb.90:                               ;   in Loop: Header=BB915_15 Depth=1
	v_and_b32_e32 v28, 7, v26
	v_ffbh_u32_e32 v36, v28
	v_min_u32_e32 v36, 32, v36
	v_subrev_u32_e32 v38, 28, v36
	v_lshlrev_b64 v[38:39], v38, v[26:27]
	v_lshrrev_b32_e32 v30, 3, v23
	v_sub_u32_e32 v36, 29, v36
	v_and_b32_e32 v38, 7, v38
	v_cmp_gt_u32_e32 vcc, 8, v23
	v_cndmask_b32_e32 v23, v30, v36, vcc
	v_cndmask_b32_e32 v28, v28, v38, vcc
	v_lshlrev_b32_e32 v30, 24, v26
	v_lshlrev_b32_e32 v28, 20, v28
	v_and_b32_e32 v30, 0x80000000, v30
	v_lshl_add_u32 v23, v23, 23, v33
	v_or3_b32 v23, v30, v23, v28
	v_lshrrev_b32_e32 v36, 16, v23
.LBB915_91:                             ;   in Loop: Header=BB915_15 Depth=1
	s_or_b64 exec, exec, s[10:11]
.LBB915_92:                             ;   in Loop: Header=BB915_15 Depth=1
	s_or_b64 exec, exec, s[6:7]
.LBB915_93:                             ;   in Loop: Header=BB915_15 Depth=1
	s_or_b64 exec, exec, s[4:5]
	v_lshrrev_b16_e32 v28, 8, v26
	v_cmp_ne_u16_e32 vcc, 0, v28
	v_mov_b32_e32 v39, 0
	v_mov_b32_e32 v38, 0
	s_and_saveexec_b64 s[4:5], vcc
	s_cbranch_execz .LBB915_99
; %bb.94:                               ;   in Loop: Header=BB915_15 Depth=1
	v_cmp_ne_u16_e32 vcc, s13, v28
	v_mov_b32_e32 v38, 0xffff8000
	s_and_saveexec_b64 s[6:7], vcc
	s_cbranch_execz .LBB915_98
; %bb.95:                               ;   in Loop: Header=BB915_15 Depth=1
	v_and_b32_e32 v23, 0x7f, v28
	v_cmp_ne_u32_e32 vcc, s14, v23
	v_mov_b32_e32 v38, 0x7f80
	s_and_saveexec_b64 s[10:11], vcc
	s_cbranch_execz .LBB915_97
; %bb.96:                               ;   in Loop: Header=BB915_15 Depth=1
	v_and_b32_e32 v30, 7, v28
	v_ffbh_u32_e32 v40, v30
	v_min_u32_e32 v42, 32, v40
	v_subrev_u32_e32 v40, 28, v42
	v_lshlrev_b64 v[40:41], v40, v[28:29]
	v_lshrrev_b32_e32 v38, 3, v23
	v_sub_u32_e32 v28, 29, v42
	v_and_b32_e32 v40, 7, v40
	v_cmp_gt_u32_e32 vcc, 8, v23
	v_cndmask_b32_e32 v23, v38, v28, vcc
	v_cndmask_b32_e32 v28, v30, v40, vcc
	v_lshlrev_b32_e32 v30, 16, v26
	v_lshlrev_b32_e32 v28, 20, v28
	v_and_b32_e32 v30, 0x80000000, v30
	v_lshl_add_u32 v23, v23, 23, v33
	v_or3_b32 v23, v30, v23, v28
	v_lshrrev_b32_e32 v38, 16, v23
.LBB915_97:                             ;   in Loop: Header=BB915_15 Depth=1
	s_or_b64 exec, exec, s[10:11]
.LBB915_98:                             ;   in Loop: Header=BB915_15 Depth=1
	s_or_b64 exec, exec, s[6:7]
.LBB915_99:                             ;   in Loop: Header=BB915_15 Depth=1
	s_or_b64 exec, exec, s[4:5]
	v_lshrrev_b32_e32 v28, 16, v26
	v_cmp_ne_u16_sdwa s[6:7], v28, v31 src0_sel:BYTE_0 src1_sel:DWORD
	s_and_saveexec_b64 s[4:5], s[6:7]
	s_cbranch_execz .LBB915_105
; %bb.100:                              ;   in Loop: Header=BB915_15 Depth=1
	v_cmp_ne_u16_sdwa s[10:11], v28, s13 src0_sel:BYTE_0 src1_sel:DWORD
	v_mov_b32_e32 v39, 0xffff8000
	s_and_saveexec_b64 s[6:7], s[10:11]
	s_cbranch_execz .LBB915_104
; %bb.101:                              ;   in Loop: Header=BB915_15 Depth=1
	v_bfe_u32 v23, v26, 16, 7
	v_cmp_ne_u32_e32 vcc, s14, v23
	v_mov_b32_e32 v39, 0x7f80
	s_and_saveexec_b64 s[10:11], vcc
	s_cbranch_execz .LBB915_103
; %bb.102:                              ;   in Loop: Header=BB915_15 Depth=1
	v_and_b32_e32 v30, 7, v28
	v_ffbh_u32_e32 v40, v30
	v_min_u32_e32 v42, 32, v40
	v_subrev_u32_e32 v40, 28, v42
	v_lshlrev_b64 v[40:41], v40, v[28:29]
	v_lshrrev_b32_e32 v39, 3, v23
	v_sub_u32_e32 v41, 29, v42
	v_and_b32_e32 v40, 7, v40
	v_cmp_gt_u32_e32 vcc, 8, v23
	v_cndmask_b32_e32 v23, v39, v41, vcc
	v_cndmask_b32_e32 v30, v30, v40, vcc
	v_lshlrev_b32_e32 v28, 24, v28
	v_lshlrev_b32_e32 v30, 20, v30
	v_and_b32_e32 v28, 0x80000000, v28
	v_lshl_add_u32 v23, v23, 23, v33
	v_or3_b32 v23, v28, v23, v30
	v_lshrrev_b32_e32 v39, 16, v23
.LBB915_103:                            ;   in Loop: Header=BB915_15 Depth=1
	s_or_b64 exec, exec, s[10:11]
.LBB915_104:                            ;   in Loop: Header=BB915_15 Depth=1
	s_or_b64 exec, exec, s[6:7]
.LBB915_105:                            ;   in Loop: Header=BB915_15 Depth=1
	s_or_b64 exec, exec, s[4:5]
	v_cmp_lt_u32_e32 vcc, s15, v26
	v_mov_b32_e32 v23, 0
	v_mov_b32_e32 v40, 0
	s_and_saveexec_b64 s[4:5], vcc
	s_cbranch_execz .LBB915_111
; %bb.106:                              ;   in Loop: Header=BB915_15 Depth=1
	v_lshrrev_b32_e32 v28, 24, v26
	v_cmp_ne_u32_e32 vcc, s13, v28
	v_mov_b32_e32 v40, 0xffff8000
	s_and_saveexec_b64 s[6:7], vcc
	s_cbranch_execz .LBB915_110
; %bb.107:                              ;   in Loop: Header=BB915_15 Depth=1
	v_bfe_u32 v26, v26, 24, 7
	v_cmp_ne_u32_e32 vcc, s14, v26
	v_mov_b32_e32 v40, 0x7f80
	s_and_saveexec_b64 s[10:11], vcc
	s_cbranch_execz .LBB915_109
; %bb.108:                              ;   in Loop: Header=BB915_15 Depth=1
	v_and_b32_e32 v30, 7, v28
	v_ffbh_u32_e32 v40, v30
	v_min_u32_e32 v43, 32, v40
	v_subrev_u32_e32 v40, 28, v43
	v_lshlrev_b64 v[40:41], v40, v[28:29]
	v_lshrrev_b32_e32 v42, 3, v26
	v_sub_u32_e32 v41, 29, v43
	v_and_b32_e32 v40, 7, v40
	v_cmp_gt_u32_e32 vcc, 8, v26
	v_cndmask_b32_e32 v26, v42, v41, vcc
	v_cndmask_b32_e32 v30, v30, v40, vcc
	v_lshlrev_b32_e32 v28, 24, v28
	v_lshlrev_b32_e32 v30, 20, v30
	v_and_b32_e32 v28, 0x80000000, v28
	v_lshl_add_u32 v26, v26, 23, v33
	v_or3_b32 v26, v28, v26, v30
	v_lshrrev_b32_e32 v40, 16, v26
.LBB915_109:                            ;   in Loop: Header=BB915_15 Depth=1
	s_or_b64 exec, exec, s[10:11]
.LBB915_110:                            ;   in Loop: Header=BB915_15 Depth=1
	s_or_b64 exec, exec, s[6:7]
.LBB915_111:                            ;   in Loop: Header=BB915_15 Depth=1
	s_or_b64 exec, exec, s[4:5]
	v_perm_b32 v34, v34, v32, s16
	buffer_load_dword v32, v27, s[0:3], 0 offen offset:16
	buffer_load_dword v30, v27, s[0:3], 0 offen offset:20
	buffer_load_dword v28, v27, s[0:3], 0 offen offset:24
	buffer_load_dword v26, v27, s[0:3], 0 offen offset:28
	v_perm_b32 v35, v37, v35, s16
	s_waitcnt vmcnt(3)
	v_cmp_ne_u16_sdwa s[6:7], v32, v31 src0_sel:BYTE_0 src1_sel:DWORD
	v_mfma_f32_16x16x16bf16_1k v[18:21], v[34:35], v[6:7], v[18:21]
	v_perm_b32 v35, v40, v39, s16
	v_perm_b32 v34, v38, v36, s16
	s_nop 1
	v_mfma_f32_16x16x16bf16_1k v[18:21], v[34:35], v[8:9], v[18:21]
	s_and_saveexec_b64 s[4:5], s[6:7]
	s_cbranch_execz .LBB915_117
; %bb.112:                              ;   in Loop: Header=BB915_15 Depth=1
	v_cmp_ne_u16_sdwa s[10:11], v32, s13 src0_sel:BYTE_0 src1_sel:DWORD
	v_mov_b32_e32 v23, 0xffff8000
	s_and_saveexec_b64 s[6:7], s[10:11]
	s_cbranch_execz .LBB915_116
; %bb.113:                              ;   in Loop: Header=BB915_15 Depth=1
	v_and_b32_e32 v34, 0x7f, v32
	v_cmp_ne_u32_e32 vcc, s14, v34
	v_mov_b32_e32 v23, 0x7f80
	s_and_saveexec_b64 s[10:11], vcc
	s_cbranch_execz .LBB915_115
; %bb.114:                              ;   in Loop: Header=BB915_15 Depth=1
	v_and_b32_e32 v23, 7, v32
	v_ffbh_u32_e32 v36, v23
	v_min_u32_e32 v38, 32, v36
	v_subrev_u32_e32 v36, 28, v38
	v_lshlrev_b64 v[36:37], v36, v[32:33]
	v_lshrrev_b32_e32 v35, 3, v34
	v_sub_u32_e32 v37, 29, v38
	v_and_b32_e32 v36, 7, v36
	v_cmp_gt_u32_e32 vcc, 8, v34
	v_cndmask_b32_e32 v34, v35, v37, vcc
	v_cndmask_b32_e32 v23, v23, v36, vcc
	v_lshlrev_b32_e32 v35, 24, v32
	v_lshlrev_b32_e32 v23, 20, v23
	v_and_b32_e32 v35, 0x80000000, v35
	v_lshl_add_u32 v34, v34, 23, v33
	v_or3_b32 v23, v35, v34, v23
	v_lshrrev_b32_e32 v23, 16, v23
.LBB915_115:                            ;   in Loop: Header=BB915_15 Depth=1
	s_or_b64 exec, exec, s[10:11]
.LBB915_116:                            ;   in Loop: Header=BB915_15 Depth=1
	s_or_b64 exec, exec, s[6:7]
.LBB915_117:                            ;   in Loop: Header=BB915_15 Depth=1
	s_or_b64 exec, exec, s[4:5]
	v_lshrrev_b16_e32 v34, 8, v32
	v_cmp_ne_u16_e32 vcc, 0, v34
	v_mov_b32_e32 v36, 0
	v_mov_b32_e32 v35, 0
	s_and_saveexec_b64 s[4:5], vcc
	s_cbranch_execz .LBB915_123
; %bb.118:                              ;   in Loop: Header=BB915_15 Depth=1
	v_cmp_ne_u16_e32 vcc, s13, v34
	v_mov_b32_e32 v35, 0xffff8000
	s_and_saveexec_b64 s[6:7], vcc
	s_cbranch_execz .LBB915_122
; %bb.119:                              ;   in Loop: Header=BB915_15 Depth=1
	v_and_b32_e32 v37, 0x7f, v34
	v_cmp_ne_u32_e32 vcc, s14, v37
	v_mov_b32_e32 v35, 0x7f80
	s_and_saveexec_b64 s[10:11], vcc
	s_cbranch_execz .LBB915_121
; %bb.120:                              ;   in Loop: Header=BB915_15 Depth=1
	v_and_b32_e32 v38, 7, v34
	v_ffbh_u32_e32 v35, v38
	v_min_u32_e32 v40, 32, v35
	v_subrev_u32_e32 v35, 28, v40
	v_lshlrev_b64 v[34:35], v35, v[34:35]
	v_lshrrev_b32_e32 v39, 3, v37
	v_sub_u32_e32 v35, 29, v40
	v_and_b32_e32 v34, 7, v34
	v_cmp_gt_u32_e32 vcc, 8, v37
	v_cndmask_b32_e32 v35, v39, v35, vcc
	v_cndmask_b32_e32 v34, v38, v34, vcc
	v_lshlrev_b32_e32 v37, 16, v32
	v_lshlrev_b32_e32 v34, 20, v34
	v_and_b32_e32 v37, 0x80000000, v37
	v_lshl_add_u32 v35, v35, 23, v33
	v_or3_b32 v34, v37, v35, v34
	v_lshrrev_b32_e32 v35, 16, v34
.LBB915_121:                            ;   in Loop: Header=BB915_15 Depth=1
	s_or_b64 exec, exec, s[10:11]
.LBB915_122:                            ;   in Loop: Header=BB915_15 Depth=1
	s_or_b64 exec, exec, s[6:7]
.LBB915_123:                            ;   in Loop: Header=BB915_15 Depth=1
	s_or_b64 exec, exec, s[4:5]
	v_lshrrev_b32_e32 v34, 16, v32
	v_cmp_ne_u16_sdwa s[6:7], v34, v31 src0_sel:BYTE_0 src1_sel:DWORD
	s_and_saveexec_b64 s[4:5], s[6:7]
	s_cbranch_execz .LBB915_129
; %bb.124:                              ;   in Loop: Header=BB915_15 Depth=1
	v_cmp_ne_u16_sdwa s[10:11], v34, s13 src0_sel:BYTE_0 src1_sel:DWORD
	v_mov_b32_e32 v36, 0xffff8000
	s_and_saveexec_b64 s[6:7], s[10:11]
	s_cbranch_execz .LBB915_128
; %bb.125:                              ;   in Loop: Header=BB915_15 Depth=1
	v_bfe_u32 v37, v32, 16, 7
	v_cmp_ne_u32_e32 vcc, s14, v37
	v_mov_b32_e32 v36, 0x7f80
	s_and_saveexec_b64 s[10:11], vcc
	s_cbranch_execz .LBB915_127
; %bb.126:                              ;   in Loop: Header=BB915_15 Depth=1
	v_and_b32_e32 v36, 7, v34
	v_ffbh_u32_e32 v38, v36
	v_min_u32_e32 v41, 32, v38
	v_subrev_u32_e32 v38, 28, v41
	v_lshlrev_b64 v[38:39], v38, v[34:35]
	v_lshrrev_b32_e32 v40, 3, v37
	v_sub_u32_e32 v39, 29, v41
	v_and_b32_e32 v38, 7, v38
	v_cmp_gt_u32_e32 vcc, 8, v37
	v_cndmask_b32_e32 v37, v40, v39, vcc
	v_cndmask_b32_e32 v36, v36, v38, vcc
	v_lshlrev_b32_e32 v34, 24, v34
	v_lshlrev_b32_e32 v36, 20, v36
	v_and_b32_e32 v34, 0x80000000, v34
	v_lshl_add_u32 v37, v37, 23, v33
	v_or3_b32 v34, v34, v37, v36
	v_lshrrev_b32_e32 v36, 16, v34
.LBB915_127:                            ;   in Loop: Header=BB915_15 Depth=1
	s_or_b64 exec, exec, s[10:11]
.LBB915_128:                            ;   in Loop: Header=BB915_15 Depth=1
	s_or_b64 exec, exec, s[6:7]
.LBB915_129:                            ;   in Loop: Header=BB915_15 Depth=1
	s_or_b64 exec, exec, s[4:5]
	v_cmp_lt_u32_e32 vcc, s15, v32
	v_mov_b32_e32 v37, 0
	v_mov_b32_e32 v38, 0
	s_and_saveexec_b64 s[4:5], vcc
	s_cbranch_execz .LBB915_135
; %bb.130:                              ;   in Loop: Header=BB915_15 Depth=1
	v_lshrrev_b32_e32 v34, 24, v32
	v_cmp_ne_u32_e32 vcc, s13, v34
	v_mov_b32_e32 v38, 0xffff8000
	s_and_saveexec_b64 s[6:7], vcc
	s_cbranch_execz .LBB915_134
; %bb.131:                              ;   in Loop: Header=BB915_15 Depth=1
	v_bfe_u32 v32, v32, 24, 7
	v_cmp_ne_u32_e32 vcc, s14, v32
	v_mov_b32_e32 v38, 0x7f80
	s_and_saveexec_b64 s[10:11], vcc
	s_cbranch_execz .LBB915_133
; %bb.132:                              ;   in Loop: Header=BB915_15 Depth=1
	v_and_b32_e32 v40, 7, v34
	v_ffbh_u32_e32 v38, v40
	v_min_u32_e32 v42, 32, v38
	v_subrev_u32_e32 v38, 28, v42
	v_lshlrev_b64 v[38:39], v38, v[34:35]
	v_lshrrev_b32_e32 v41, 3, v32
	v_sub_u32_e32 v39, 29, v42
	v_and_b32_e32 v38, 7, v38
	v_cmp_gt_u32_e32 vcc, 8, v32
	v_cndmask_b32_e32 v32, v41, v39, vcc
	v_cndmask_b32_e32 v38, v40, v38, vcc
	v_lshlrev_b32_e32 v34, 24, v34
	v_lshlrev_b32_e32 v38, 20, v38
	v_and_b32_e32 v34, 0x80000000, v34
	v_lshl_add_u32 v32, v32, 23, v33
	v_or3_b32 v32, v34, v32, v38
	v_lshrrev_b32_e32 v38, 16, v32
.LBB915_133:                            ;   in Loop: Header=BB915_15 Depth=1
	s_or_b64 exec, exec, s[10:11]
.LBB915_134:                            ;   in Loop: Header=BB915_15 Depth=1
	s_or_b64 exec, exec, s[6:7]
.LBB915_135:                            ;   in Loop: Header=BB915_15 Depth=1
	s_or_b64 exec, exec, s[4:5]
	s_waitcnt vmcnt(2)
	v_cmp_ne_u16_sdwa s[6:7], v30, v31 src0_sel:BYTE_0 src1_sel:DWORD
	s_and_saveexec_b64 s[4:5], s[6:7]
	s_cbranch_execz .LBB915_141
; %bb.136:                              ;   in Loop: Header=BB915_15 Depth=1
	v_cmp_ne_u16_sdwa s[10:11], v30, s13 src0_sel:BYTE_0 src1_sel:DWORD
	v_mov_b32_e32 v37, 0xffff8000
	s_and_saveexec_b64 s[6:7], s[10:11]
	s_cbranch_execz .LBB915_140
; %bb.137:                              ;   in Loop: Header=BB915_15 Depth=1
	v_and_b32_e32 v32, 0x7f, v30
	v_cmp_ne_u32_e32 vcc, s14, v32
	v_mov_b32_e32 v37, 0x7f80
	s_and_saveexec_b64 s[10:11], vcc
	s_cbranch_execz .LBB915_139
; %bb.138:                              ;   in Loop: Header=BB915_15 Depth=1
	v_and_b32_e32 v34, 7, v30
	v_ffbh_u32_e32 v39, v34
	v_min_u32_e32 v39, 32, v39
	v_subrev_u32_e32 v40, 28, v39
	v_lshlrev_b64 v[40:41], v40, v[30:31]
	v_lshrrev_b32_e32 v37, 3, v32
	v_sub_u32_e32 v39, 29, v39
	v_and_b32_e32 v40, 7, v40
	v_cmp_gt_u32_e32 vcc, 8, v32
	v_cndmask_b32_e32 v32, v37, v39, vcc
	v_cndmask_b32_e32 v34, v34, v40, vcc
	v_lshlrev_b32_e32 v37, 24, v30
	v_lshlrev_b32_e32 v34, 20, v34
	v_and_b32_e32 v37, 0x80000000, v37
	v_lshl_add_u32 v32, v32, 23, v33
	v_or3_b32 v32, v37, v32, v34
	v_lshrrev_b32_e32 v37, 16, v32
.LBB915_139:                            ;   in Loop: Header=BB915_15 Depth=1
	s_or_b64 exec, exec, s[10:11]
.LBB915_140:                            ;   in Loop: Header=BB915_15 Depth=1
	s_or_b64 exec, exec, s[6:7]
.LBB915_141:                            ;   in Loop: Header=BB915_15 Depth=1
	s_or_b64 exec, exec, s[4:5]
	v_lshrrev_b16_e32 v32, 8, v30
	v_cmp_ne_u16_e32 vcc, 0, v32
	v_mov_b32_e32 v40, 0
	v_mov_b32_e32 v39, 0
	s_and_saveexec_b64 s[4:5], vcc
	s_cbranch_execz .LBB915_147
; %bb.142:                              ;   in Loop: Header=BB915_15 Depth=1
	v_cmp_ne_u16_e32 vcc, s13, v32
	v_mov_b32_e32 v39, 0xffff8000
	s_and_saveexec_b64 s[6:7], vcc
	s_cbranch_execz .LBB915_146
; %bb.143:                              ;   in Loop: Header=BB915_15 Depth=1
	v_and_b32_e32 v34, 0x7f, v32
	v_cmp_ne_u32_e32 vcc, s14, v34
	v_mov_b32_e32 v39, 0x7f80
	s_and_saveexec_b64 s[10:11], vcc
	s_cbranch_execz .LBB915_145
; %bb.144:                              ;   in Loop: Header=BB915_15 Depth=1
	v_and_b32_e32 v39, 7, v32
	v_ffbh_u32_e32 v42, v39
	v_min_u32_e32 v44, 32, v42
	v_subrev_u32_e32 v42, 28, v44
	v_lshlrev_b64 v[42:43], v42, v[32:33]
	v_lshrrev_b32_e32 v41, 3, v34
	v_sub_u32_e32 v32, 29, v44
	v_and_b32_e32 v42, 7, v42
	v_cmp_gt_u32_e32 vcc, 8, v34
	v_cndmask_b32_e32 v32, v41, v32, vcc
	v_cndmask_b32_e32 v34, v39, v42, vcc
	v_lshlrev_b32_e32 v39, 16, v30
	v_lshlrev_b32_e32 v34, 20, v34
	v_and_b32_e32 v39, 0x80000000, v39
	v_lshl_add_u32 v32, v32, 23, v33
	v_or3_b32 v32, v39, v32, v34
	v_lshrrev_b32_e32 v39, 16, v32
.LBB915_145:                            ;   in Loop: Header=BB915_15 Depth=1
	s_or_b64 exec, exec, s[10:11]
.LBB915_146:                            ;   in Loop: Header=BB915_15 Depth=1
	s_or_b64 exec, exec, s[6:7]
.LBB915_147:                            ;   in Loop: Header=BB915_15 Depth=1
	s_or_b64 exec, exec, s[4:5]
	v_lshrrev_b32_e32 v32, 16, v30
	v_cmp_ne_u16_sdwa s[6:7], v32, v31 src0_sel:BYTE_0 src1_sel:DWORD
	s_and_saveexec_b64 s[4:5], s[6:7]
	s_cbranch_execz .LBB915_153
; %bb.148:                              ;   in Loop: Header=BB915_15 Depth=1
	v_cmp_ne_u16_sdwa s[10:11], v32, s13 src0_sel:BYTE_0 src1_sel:DWORD
	v_mov_b32_e32 v40, 0xffff8000
	s_and_saveexec_b64 s[6:7], s[10:11]
	s_cbranch_execz .LBB915_152
; %bb.149:                              ;   in Loop: Header=BB915_15 Depth=1
	v_bfe_u32 v34, v30, 16, 7
	v_cmp_ne_u32_e32 vcc, s14, v34
	v_mov_b32_e32 v40, 0x7f80
	s_and_saveexec_b64 s[10:11], vcc
	s_cbranch_execz .LBB915_151
; %bb.150:                              ;   in Loop: Header=BB915_15 Depth=1
	v_and_b32_e32 v42, 7, v32
	v_ffbh_u32_e32 v40, v42
	v_min_u32_e32 v44, 32, v40
	v_subrev_u32_e32 v40, 28, v44
	v_lshlrev_b64 v[40:41], v40, v[32:33]
	v_lshrrev_b32_e32 v43, 3, v34
	v_sub_u32_e32 v41, 29, v44
	v_and_b32_e32 v40, 7, v40
	v_cmp_gt_u32_e32 vcc, 8, v34
	v_cndmask_b32_e32 v34, v43, v41, vcc
	v_cndmask_b32_e32 v40, v42, v40, vcc
	v_lshlrev_b32_e32 v32, 24, v32
	v_lshlrev_b32_e32 v40, 20, v40
	v_and_b32_e32 v32, 0x80000000, v32
	v_lshl_add_u32 v34, v34, 23, v33
	v_or3_b32 v32, v32, v34, v40
	v_lshrrev_b32_e32 v40, 16, v32
.LBB915_151:                            ;   in Loop: Header=BB915_15 Depth=1
	s_or_b64 exec, exec, s[10:11]
.LBB915_152:                            ;   in Loop: Header=BB915_15 Depth=1
	s_or_b64 exec, exec, s[6:7]
.LBB915_153:                            ;   in Loop: Header=BB915_15 Depth=1
	s_or_b64 exec, exec, s[4:5]
	v_cmp_lt_u32_e32 vcc, s15, v30
	v_mov_b32_e32 v34, 0
	v_mov_b32_e32 v41, 0
	s_and_saveexec_b64 s[4:5], vcc
	s_cbranch_execz .LBB915_159
; %bb.154:                              ;   in Loop: Header=BB915_15 Depth=1
	v_lshrrev_b32_e32 v32, 24, v30
	v_cmp_ne_u32_e32 vcc, s13, v32
	v_mov_b32_e32 v41, 0xffff8000
	s_and_saveexec_b64 s[6:7], vcc
	s_cbranch_execz .LBB915_158
; %bb.155:                              ;   in Loop: Header=BB915_15 Depth=1
	v_bfe_u32 v30, v30, 24, 7
	v_cmp_ne_u32_e32 vcc, s14, v30
	v_mov_b32_e32 v41, 0x7f80
	s_and_saveexec_b64 s[10:11], vcc
	s_cbranch_execz .LBB915_157
; %bb.156:                              ;   in Loop: Header=BB915_15 Depth=1
	v_and_b32_e32 v41, 7, v32
	v_ffbh_u32_e32 v42, v41
	v_min_u32_e32 v45, 32, v42
	v_subrev_u32_e32 v42, 28, v45
	v_lshlrev_b64 v[42:43], v42, v[32:33]
	v_lshrrev_b32_e32 v44, 3, v30
	v_sub_u32_e32 v43, 29, v45
	v_and_b32_e32 v42, 7, v42
	v_cmp_gt_u32_e32 vcc, 8, v30
	v_cndmask_b32_e32 v30, v44, v43, vcc
	v_cndmask_b32_e32 v41, v41, v42, vcc
	v_lshlrev_b32_e32 v32, 24, v32
	v_lshlrev_b32_e32 v41, 20, v41
	v_and_b32_e32 v32, 0x80000000, v32
	v_lshl_add_u32 v30, v30, 23, v33
	v_or3_b32 v30, v32, v30, v41
	v_lshrrev_b32_e32 v41, 16, v30
.LBB915_157:                            ;   in Loop: Header=BB915_15 Depth=1
	s_or_b64 exec, exec, s[10:11]
.LBB915_158:                            ;   in Loop: Header=BB915_15 Depth=1
	s_or_b64 exec, exec, s[6:7]
.LBB915_159:                            ;   in Loop: Header=BB915_15 Depth=1
	s_or_b64 exec, exec, s[4:5]
	v_perm_b32 v43, v38, v36, s16
	v_perm_b32 v42, v35, v23, s16
	;; [unrolled: 1-line block ×4, first 2 shown]
	s_waitcnt vmcnt(1)
	v_cmp_ne_u16_sdwa s[6:7], v28, v31 src0_sel:BYTE_0 src1_sel:DWORD
	v_mfma_f32_16x16x16bf16_1k v[18:21], v[42:43], v[10:11], v[18:21]
	v_mfma_f32_16x16x16bf16_1k v[18:21], v[40:41], v[12:13], v[18:21]
	s_and_saveexec_b64 s[4:5], s[6:7]
	s_cbranch_execz .LBB915_165
; %bb.160:                              ;   in Loop: Header=BB915_15 Depth=1
	v_cmp_ne_u16_sdwa s[10:11], v28, s13 src0_sel:BYTE_0 src1_sel:DWORD
	v_mov_b32_e32 v34, 0xffff8000
	s_and_saveexec_b64 s[6:7], s[10:11]
	s_cbranch_execz .LBB915_164
; %bb.161:                              ;   in Loop: Header=BB915_15 Depth=1
	v_and_b32_e32 v23, 0x7f, v28
	v_cmp_ne_u32_e32 vcc, s14, v23
	v_mov_b32_e32 v34, 0x7f80
	s_and_saveexec_b64 s[10:11], vcc
	s_cbranch_execz .LBB915_163
; %bb.162:                              ;   in Loop: Header=BB915_15 Depth=1
	v_and_b32_e32 v30, 7, v28
	v_ffbh_u32_e32 v34, v30
	v_min_u32_e32 v36, 32, v34
	v_subrev_u32_e32 v34, 28, v36
	v_lshlrev_b64 v[34:35], v34, v[28:29]
	v_lshrrev_b32_e32 v32, 3, v23
	v_sub_u32_e32 v35, 29, v36
	v_and_b32_e32 v34, 7, v34
	v_cmp_gt_u32_e32 vcc, 8, v23
	v_cndmask_b32_e32 v23, v32, v35, vcc
	v_cndmask_b32_e32 v30, v30, v34, vcc
	v_lshlrev_b32_e32 v32, 24, v28
	v_lshlrev_b32_e32 v30, 20, v30
	v_and_b32_e32 v32, 0x80000000, v32
	v_lshl_add_u32 v23, v23, 23, v33
	v_or3_b32 v23, v32, v23, v30
	v_lshrrev_b32_e32 v34, 16, v23
.LBB915_163:                            ;   in Loop: Header=BB915_15 Depth=1
	s_or_b64 exec, exec, s[10:11]
.LBB915_164:                            ;   in Loop: Header=BB915_15 Depth=1
	s_or_b64 exec, exec, s[6:7]
.LBB915_165:                            ;   in Loop: Header=BB915_15 Depth=1
	s_or_b64 exec, exec, s[4:5]
	v_lshrrev_b16_e32 v30, 8, v28
	v_cmp_ne_u16_e32 vcc, 0, v30
	v_mov_b32_e32 v32, 0
	v_mov_b32_e32 v23, 0
	s_and_saveexec_b64 s[4:5], vcc
	s_cbranch_execz .LBB915_171
; %bb.166:                              ;   in Loop: Header=BB915_15 Depth=1
	v_cmp_ne_u16_e32 vcc, s13, v30
	v_mov_b32_e32 v23, 0xffff8000
	s_and_saveexec_b64 s[6:7], vcc
	s_cbranch_execz .LBB915_170
; %bb.167:                              ;   in Loop: Header=BB915_15 Depth=1
	v_and_b32_e32 v35, 0x7f, v30
	v_cmp_ne_u32_e32 vcc, s14, v35
	v_mov_b32_e32 v23, 0x7f80
	s_and_saveexec_b64 s[10:11], vcc
	s_cbranch_execz .LBB915_169
; %bb.168:                              ;   in Loop: Header=BB915_15 Depth=1
	v_and_b32_e32 v23, 7, v30
	v_ffbh_u32_e32 v36, v23
	v_min_u32_e32 v39, 32, v36
	v_subrev_u32_e32 v36, 28, v39
	v_lshlrev_b64 v[36:37], v36, v[30:31]
	v_lshrrev_b32_e32 v38, 3, v35
	v_sub_u32_e32 v30, 29, v39
	v_and_b32_e32 v36, 7, v36
	v_cmp_gt_u32_e32 vcc, 8, v35
	v_cndmask_b32_e32 v30, v38, v30, vcc
	v_cndmask_b32_e32 v23, v23, v36, vcc
	v_lshlrev_b32_e32 v35, 16, v28
	v_lshlrev_b32_e32 v23, 20, v23
	v_and_b32_e32 v35, 0x80000000, v35
	v_lshl_add_u32 v30, v30, 23, v33
	v_or3_b32 v23, v35, v30, v23
	v_lshrrev_b32_e32 v23, 16, v23
.LBB915_169:                            ;   in Loop: Header=BB915_15 Depth=1
	s_or_b64 exec, exec, s[10:11]
.LBB915_170:                            ;   in Loop: Header=BB915_15 Depth=1
	s_or_b64 exec, exec, s[6:7]
.LBB915_171:                            ;   in Loop: Header=BB915_15 Depth=1
	s_or_b64 exec, exec, s[4:5]
	v_lshrrev_b32_e32 v30, 16, v28
	v_cmp_ne_u16_sdwa s[6:7], v30, v31 src0_sel:BYTE_0 src1_sel:DWORD
	s_and_saveexec_b64 s[4:5], s[6:7]
	s_cbranch_execz .LBB915_177
; %bb.172:                              ;   in Loop: Header=BB915_15 Depth=1
	v_cmp_ne_u16_sdwa s[10:11], v30, s13 src0_sel:BYTE_0 src1_sel:DWORD
	v_mov_b32_e32 v32, 0xffff8000
	s_and_saveexec_b64 s[6:7], s[10:11]
	s_cbranch_execz .LBB915_176
; %bb.173:                              ;   in Loop: Header=BB915_15 Depth=1
	v_bfe_u32 v35, v28, 16, 7
	v_cmp_ne_u32_e32 vcc, s14, v35
	v_mov_b32_e32 v32, 0x7f80
	s_and_saveexec_b64 s[10:11], vcc
	s_cbranch_execz .LBB915_175
; %bb.174:                              ;   in Loop: Header=BB915_15 Depth=1
	v_and_b32_e32 v32, 7, v30
	v_ffbh_u32_e32 v36, v32
	v_min_u32_e32 v39, 32, v36
	v_subrev_u32_e32 v36, 28, v39
	v_lshlrev_b64 v[36:37], v36, v[30:31]
	v_lshrrev_b32_e32 v38, 3, v35
	v_sub_u32_e32 v37, 29, v39
	v_and_b32_e32 v36, 7, v36
	v_cmp_gt_u32_e32 vcc, 8, v35
	v_cndmask_b32_e32 v35, v38, v37, vcc
	v_cndmask_b32_e32 v32, v32, v36, vcc
	v_lshlrev_b32_e32 v30, 24, v30
	v_lshlrev_b32_e32 v32, 20, v32
	v_and_b32_e32 v30, 0x80000000, v30
	v_lshl_add_u32 v35, v35, 23, v33
	v_or3_b32 v30, v30, v35, v32
	v_lshrrev_b32_e32 v32, 16, v30
.LBB915_175:                            ;   in Loop: Header=BB915_15 Depth=1
	s_or_b64 exec, exec, s[10:11]
.LBB915_176:                            ;   in Loop: Header=BB915_15 Depth=1
	s_or_b64 exec, exec, s[6:7]
.LBB915_177:                            ;   in Loop: Header=BB915_15 Depth=1
	s_or_b64 exec, exec, s[4:5]
	v_cmp_lt_u32_e32 vcc, s15, v28
	v_mov_b32_e32 v35, 0
	v_mov_b32_e32 v36, 0
	s_and_saveexec_b64 s[4:5], vcc
	s_cbranch_execz .LBB915_183
; %bb.178:                              ;   in Loop: Header=BB915_15 Depth=1
	v_lshrrev_b32_e32 v30, 24, v28
	v_cmp_ne_u32_e32 vcc, s13, v30
	v_mov_b32_e32 v36, 0xffff8000
	s_and_saveexec_b64 s[6:7], vcc
	s_cbranch_execz .LBB915_182
; %bb.179:                              ;   in Loop: Header=BB915_15 Depth=1
	v_bfe_u32 v28, v28, 24, 7
	v_cmp_ne_u32_e32 vcc, s14, v28
	v_mov_b32_e32 v36, 0x7f80
	s_and_saveexec_b64 s[10:11], vcc
	s_cbranch_execz .LBB915_181
; %bb.180:                              ;   in Loop: Header=BB915_15 Depth=1
	v_and_b32_e32 v38, 7, v30
	v_ffbh_u32_e32 v36, v38
	v_min_u32_e32 v40, 32, v36
	v_subrev_u32_e32 v36, 28, v40
	v_lshlrev_b64 v[36:37], v36, v[30:31]
	v_lshrrev_b32_e32 v39, 3, v28
	v_sub_u32_e32 v37, 29, v40
	v_and_b32_e32 v36, 7, v36
	v_cmp_gt_u32_e32 vcc, 8, v28
	v_cndmask_b32_e32 v28, v39, v37, vcc
	v_cndmask_b32_e32 v36, v38, v36, vcc
	v_lshlrev_b32_e32 v30, 24, v30
	v_lshlrev_b32_e32 v36, 20, v36
	v_and_b32_e32 v30, 0x80000000, v30
	v_lshl_add_u32 v28, v28, 23, v33
	v_or3_b32 v28, v30, v28, v36
	v_lshrrev_b32_e32 v36, 16, v28
.LBB915_181:                            ;   in Loop: Header=BB915_15 Depth=1
	s_or_b64 exec, exec, s[10:11]
.LBB915_182:                            ;   in Loop: Header=BB915_15 Depth=1
	s_or_b64 exec, exec, s[6:7]
.LBB915_183:                            ;   in Loop: Header=BB915_15 Depth=1
	s_or_b64 exec, exec, s[4:5]
	s_waitcnt vmcnt(0)
	v_cmp_ne_u16_sdwa s[6:7], v26, v31 src0_sel:BYTE_0 src1_sel:DWORD
	s_and_saveexec_b64 s[4:5], s[6:7]
	s_cbranch_execz .LBB915_189
; %bb.184:                              ;   in Loop: Header=BB915_15 Depth=1
	v_cmp_ne_u16_sdwa s[10:11], v26, s13 src0_sel:BYTE_0 src1_sel:DWORD
	v_mov_b32_e32 v35, 0xffff8000
	s_and_saveexec_b64 s[6:7], s[10:11]
	s_cbranch_execz .LBB915_188
; %bb.185:                              ;   in Loop: Header=BB915_15 Depth=1
	v_and_b32_e32 v28, 0x7f, v26
	v_cmp_ne_u32_e32 vcc, s14, v28
	v_mov_b32_e32 v35, 0x7f80
	s_and_saveexec_b64 s[10:11], vcc
	s_cbranch_execz .LBB915_187
; %bb.186:                              ;   in Loop: Header=BB915_15 Depth=1
	v_and_b32_e32 v30, 7, v26
	v_ffbh_u32_e32 v37, v30
	v_min_u32_e32 v37, 32, v37
	v_subrev_u32_e32 v38, 28, v37
	v_lshlrev_b64 v[38:39], v38, v[26:27]
	v_lshrrev_b32_e32 v35, 3, v28
	v_sub_u32_e32 v37, 29, v37
	v_and_b32_e32 v38, 7, v38
	v_cmp_gt_u32_e32 vcc, 8, v28
	v_cndmask_b32_e32 v28, v35, v37, vcc
	v_cndmask_b32_e32 v30, v30, v38, vcc
	v_lshlrev_b32_e32 v35, 24, v26
	v_lshlrev_b32_e32 v30, 20, v30
	v_and_b32_e32 v35, 0x80000000, v35
	v_lshl_add_u32 v28, v28, 23, v33
	v_or3_b32 v28, v35, v28, v30
	v_lshrrev_b32_e32 v35, 16, v28
.LBB915_187:                            ;   in Loop: Header=BB915_15 Depth=1
	s_or_b64 exec, exec, s[10:11]
.LBB915_188:                            ;   in Loop: Header=BB915_15 Depth=1
	s_or_b64 exec, exec, s[6:7]
.LBB915_189:                            ;   in Loop: Header=BB915_15 Depth=1
	s_or_b64 exec, exec, s[4:5]
	v_lshrrev_b16_e32 v28, 8, v26
	v_cmp_ne_u16_e32 vcc, 0, v28
	v_mov_b32_e32 v37, 0
	v_mov_b32_e32 v30, 0
	s_and_saveexec_b64 s[4:5], vcc
	s_cbranch_execz .LBB915_195
; %bb.190:                              ;   in Loop: Header=BB915_15 Depth=1
	v_cmp_ne_u16_e32 vcc, s13, v28
	v_mov_b32_e32 v30, 0xffff8000
	s_and_saveexec_b64 s[6:7], vcc
	s_cbranch_execz .LBB915_194
; %bb.191:                              ;   in Loop: Header=BB915_15 Depth=1
	v_and_b32_e32 v38, 0x7f, v28
	v_cmp_ne_u32_e32 vcc, s14, v38
	v_mov_b32_e32 v30, 0x7f80
	s_and_saveexec_b64 s[10:11], vcc
	s_cbranch_execz .LBB915_193
; %bb.192:                              ;   in Loop: Header=BB915_15 Depth=1
	v_and_b32_e32 v30, 7, v28
	v_ffbh_u32_e32 v40, v30
	v_min_u32_e32 v42, 32, v40
	v_subrev_u32_e32 v40, 28, v42
	v_lshlrev_b64 v[40:41], v40, v[28:29]
	v_lshrrev_b32_e32 v39, 3, v38
	v_sub_u32_e32 v28, 29, v42
	v_and_b32_e32 v40, 7, v40
	v_cmp_gt_u32_e32 vcc, 8, v38
	v_cndmask_b32_e32 v28, v39, v28, vcc
	v_cndmask_b32_e32 v30, v30, v40, vcc
	v_lshlrev_b32_e32 v38, 16, v26
	v_lshlrev_b32_e32 v30, 20, v30
	v_and_b32_e32 v38, 0x80000000, v38
	v_lshl_add_u32 v28, v28, 23, v33
	v_or3_b32 v28, v38, v28, v30
	v_lshrrev_b32_e32 v30, 16, v28
.LBB915_193:                            ;   in Loop: Header=BB915_15 Depth=1
	s_or_b64 exec, exec, s[10:11]
.LBB915_194:                            ;   in Loop: Header=BB915_15 Depth=1
	s_or_b64 exec, exec, s[6:7]
.LBB915_195:                            ;   in Loop: Header=BB915_15 Depth=1
	s_or_b64 exec, exec, s[4:5]
	v_lshrrev_b32_e32 v28, 16, v26
	v_cmp_ne_u16_sdwa s[6:7], v28, v31 src0_sel:BYTE_0 src1_sel:DWORD
	s_and_saveexec_b64 s[4:5], s[6:7]
	s_cbranch_execz .LBB915_201
; %bb.196:                              ;   in Loop: Header=BB915_15 Depth=1
	v_cmp_ne_u16_sdwa s[10:11], v28, s13 src0_sel:BYTE_0 src1_sel:DWORD
	v_mov_b32_e32 v37, 0xffff8000
	s_and_saveexec_b64 s[6:7], s[10:11]
	s_cbranch_execz .LBB915_200
; %bb.197:                              ;   in Loop: Header=BB915_15 Depth=1
	v_bfe_u32 v38, v26, 16, 7
	v_cmp_ne_u32_e32 vcc, s14, v38
	v_mov_b32_e32 v37, 0x7f80
	s_and_saveexec_b64 s[10:11], vcc
	s_cbranch_execz .LBB915_199
; %bb.198:                              ;   in Loop: Header=BB915_15 Depth=1
	v_and_b32_e32 v37, 7, v28
	v_ffbh_u32_e32 v40, v37
	v_min_u32_e32 v42, 32, v40
	v_subrev_u32_e32 v40, 28, v42
	v_lshlrev_b64 v[40:41], v40, v[28:29]
	v_lshrrev_b32_e32 v39, 3, v38
	v_sub_u32_e32 v41, 29, v42
	v_and_b32_e32 v40, 7, v40
	v_cmp_gt_u32_e32 vcc, 8, v38
	v_cndmask_b32_e32 v38, v39, v41, vcc
	v_cndmask_b32_e32 v37, v37, v40, vcc
	v_lshlrev_b32_e32 v28, 24, v28
	v_lshlrev_b32_e32 v37, 20, v37
	v_and_b32_e32 v28, 0x80000000, v28
	v_lshl_add_u32 v38, v38, 23, v33
	v_or3_b32 v28, v28, v38, v37
	v_lshrrev_b32_e32 v37, 16, v28
.LBB915_199:                            ;   in Loop: Header=BB915_15 Depth=1
	s_or_b64 exec, exec, s[10:11]
.LBB915_200:                            ;   in Loop: Header=BB915_15 Depth=1
	s_or_b64 exec, exec, s[6:7]
.LBB915_201:                            ;   in Loop: Header=BB915_15 Depth=1
	s_or_b64 exec, exec, s[4:5]
	v_cmp_lt_u32_e32 vcc, s15, v26
	v_mov_b32_e32 v38, 0
	s_and_saveexec_b64 s[4:5], vcc
	s_cbranch_execz .LBB915_14
; %bb.202:                              ;   in Loop: Header=BB915_15 Depth=1
	v_lshrrev_b32_e32 v28, 24, v26
	v_cmp_ne_u32_e32 vcc, s13, v28
	v_mov_b32_e32 v38, 0xffff8000
	s_and_saveexec_b64 s[6:7], vcc
	s_cbranch_execz .LBB915_13
; %bb.203:                              ;   in Loop: Header=BB915_15 Depth=1
	v_bfe_u32 v26, v26, 24, 7
	v_cmp_ne_u32_e32 vcc, s14, v26
	v_mov_b32_e32 v38, 0x7f80
	s_and_saveexec_b64 s[10:11], vcc
	s_cbranch_execz .LBB915_12
; %bb.204:                              ;   in Loop: Header=BB915_15 Depth=1
	v_and_b32_e32 v40, 7, v28
	v_ffbh_u32_e32 v38, v40
	v_min_u32_e32 v42, 32, v38
	v_subrev_u32_e32 v38, 28, v42
	v_lshlrev_b64 v[38:39], v38, v[28:29]
	v_lshrrev_b32_e32 v41, 3, v26
	v_sub_u32_e32 v39, 29, v42
	v_and_b32_e32 v38, 7, v38
	v_cmp_gt_u32_e32 vcc, 8, v26
	v_cndmask_b32_e32 v26, v41, v39, vcc
	v_cndmask_b32_e32 v38, v40, v38, vcc
	v_lshlrev_b32_e32 v28, 24, v28
	v_lshlrev_b32_e32 v38, 20, v38
	v_and_b32_e32 v28, 0x80000000, v28
	v_lshl_add_u32 v26, v26, 23, v33
	v_or3_b32 v26, v28, v26, v38
	v_lshrrev_b32_e32 v38, 16, v26
	s_branch .LBB915_12
.LBB915_205:
	buffer_load_dword v13, off, s[0:3], 0 offset:256
	buffer_load_dword v14, off, s[0:3], 0 offset:260
	;; [unrolled: 1-line block ×16, first 2 shown]
	v_and_b32_e32 v12, 0xc0, v0
	v_add_u32_e32 v12, s20, v12
	v_lshl_or_b32 v12, v1, 2, v12
	v_or_b32_e32 v23, 1, v12
	v_mov_b32_e32 v19, 0xff7fffff
	v_or_b32_e32 v24, 2, v12
	v_or_b32_e32 v25, 3, v12
	v_cmp_gt_i32_e64 s[26:27], s33, v12
	v_cmp_gt_i32_e64 s[28:29], s33, v23
	s_mov_b32 s52, 0xff7fffff
	v_or_b32_e32 v26, 16, v12
	v_or_b32_e32 v27, 17, v12
	;; [unrolled: 1-line block ×12, first 2 shown]
	v_cmp_gt_i32_e64 s[30:31], s33, v24
	v_cmp_gt_i32_e64 s[34:35], s33, v25
	v_mbcnt_lo_u32_b32 v20, -1, 0
	v_cmp_gt_i32_e64 s[36:37], s33, v26
	v_cmp_gt_i32_e64 s[38:39], s33, v27
	v_mbcnt_hi_u32_b32 v20, -1, v20
	v_cmp_gt_i32_e64 s[20:21], s33, v28
	v_cmp_gt_i32_e64 s[22:23], s33, v29
	v_and_b32_e32 v21, 64, v20
	v_cmp_gt_i32_e64 s[16:17], s33, v30
	v_cmp_gt_i32_e64 s[18:19], s33, v31
	v_xor_b32_e32 v22, 32, v20
	v_add_u32_e32 v21, 64, v21
	v_cmp_gt_i32_e64 s[12:13], s33, v32
	v_cmp_gt_i32_e64 s[14:15], s33, v33
	v_cmp_lt_i32_e32 vcc, v22, v21
	v_cmp_gt_i32_e64 s[6:7], s33, v34
	v_cmp_gt_i32_e64 s[10:11], s33, v35
	v_cndmask_b32_e32 v22, v20, v22, vcc
	v_cmp_gt_i32_e32 vcc, s33, v36
	v_cmp_gt_i32_e64 s[4:5], s33, v37
	v_lshlrev_b32_e32 v22, 2, v22
	s_waitcnt vmcnt(15)
	v_cndmask_b32_e64 v12, v19, v13, s[26:27]
	s_waitcnt vmcnt(14)
	v_cndmask_b32_e64 v23, v19, v14, s[28:29]
	s_waitcnt vmcnt(13)
	v_cndmask_b32_e64 v24, v19, v15, s[30:31]
	s_waitcnt vmcnt(12)
	v_cndmask_b32_e64 v25, v19, v16, s[34:35]
	v_max3_f32 v12, v12, s52, v23
	s_waitcnt vmcnt(11)
	v_cndmask_b32_e64 v26, v19, v17, s[36:37]
	s_waitcnt vmcnt(10)
	v_cndmask_b32_e64 v27, v19, v18, s[38:39]
	v_max3_f32 v12, v12, v24, v25
	s_waitcnt vmcnt(9)
	v_cndmask_b32_e64 v28, v19, v11, s[20:21]
	s_waitcnt vmcnt(8)
	v_cndmask_b32_e64 v29, v19, v10, s[22:23]
	;; [unrolled: 5-line block ×5, first 2 shown]
	v_max3_f32 v12, v12, v32, v33
	s_waitcnt vmcnt(1)
	v_cndmask_b32_e32 v36, v19, v3, vcc
	s_waitcnt vmcnt(0)
	v_cndmask_b32_e64 v19, v19, v2, s[4:5]
	v_max3_f32 v12, v12, v34, v35
	v_max3_f32 v12, v12, v36, v19
	ds_bpermute_b32 v19, v22, v12
	v_xor_b32_e32 v23, 16, v20
	v_cmp_lt_i32_e64 s[40:41], v23, v21
	v_cndmask_b32_e64 v20, v20, v23, s[40:41]
	v_lshlrev_b32_e32 v20, 2, v20
	s_waitcnt lgkmcnt(0)
	v_max_f32_e32 v19, v19, v19
	v_max_f32_e32 v12, v12, v19
	ds_bpermute_b32 v19, v20, v12
	s_waitcnt lgkmcnt(0)
	v_max_f32_e32 v19, v19, v19
	v_max_f32_e32 v12, v12, v19
	v_sub_f32_e32 v13, v13, v12
	v_sub_f32_e32 v14, v14, v12
	;; [unrolled: 1-line block ×3, first 2 shown]
	v_mul_f32_e32 v13, 0x3fb8aa3b, v13
	v_mul_f32_e32 v14, 0x3fb8aa3b, v14
	;; [unrolled: 1-line block ×3, first 2 shown]
	v_exp_f32_e32 v13, v13
	v_exp_f32_e32 v14, v14
	v_exp_f32_e32 v15, v15
	v_sub_f32_e32 v16, v16, v12
	v_cndmask_b32_e64 v13, 0, v13, s[26:27]
	v_mul_f32_e32 v16, 0x3fb8aa3b, v16
	v_cndmask_b32_e64 v14, 0, v14, s[28:29]
	v_cndmask_b32_e64 v15, 0, v15, s[30:31]
	v_add_f32_e32 v19, 0, v13
	buffer_store_dword v13, off, s[0:3], 0 offset:256
	buffer_store_dword v14, off, s[0:3], 0 offset:260
	;; [unrolled: 1-line block ×3, first 2 shown]
	v_sub_f32_e32 v13, v17, v12
	v_exp_f32_e32 v16, v16
	v_add_f32_e32 v19, v19, v14
	v_mul_f32_e32 v13, 0x3fb8aa3b, v13
	v_sub_f32_e32 v14, v18, v12
	v_exp_f32_e32 v13, v13
	v_mul_f32_e32 v14, 0x3fb8aa3b, v14
	v_sub_f32_e32 v11, v11, v12
	v_exp_f32_e32 v14, v14
	v_mul_f32_e32 v11, 0x3fb8aa3b, v11
	v_sub_f32_e32 v10, v10, v12
	v_exp_f32_e32 v11, v11
	v_mul_f32_e32 v10, 0x3fb8aa3b, v10
	v_sub_f32_e32 v9, v9, v12
	v_cndmask_b32_e64 v16, 0, v16, s[34:35]
	v_add_f32_e32 v19, v19, v15
	v_exp_f32_e32 v10, v10
	v_mul_f32_e32 v9, 0x3fb8aa3b, v9
	v_sub_f32_e32 v8, v8, v12
	v_add_f32_e32 v19, v19, v16
	v_cndmask_b32_e64 v13, 0, v13, s[36:37]
	v_exp_f32_e32 v9, v9
	v_mul_f32_e32 v8, 0x3fb8aa3b, v8
	v_sub_f32_e32 v7, v7, v12
	v_add_f32_e32 v15, v19, v13
	v_cndmask_b32_e64 v14, 0, v14, s[38:39]
	;; [unrolled: 5-line block ×5, first 2 shown]
	v_exp_f32_e32 v5, v5
	v_mul_f32_e32 v4, 0x3fb8aa3b, v4
	v_sub_f32_e32 v3, v3, v12
	buffer_store_dword v16, off, s[0:3], 0 offset:268
	buffer_store_dword v13, off, s[0:3], 0 offset:272
	;; [unrolled: 1-line block ×5, first 2 shown]
	v_add_f32_e32 v10, v15, v9
	v_cndmask_b32_e64 v8, 0, v8, s[18:19]
	v_exp_f32_e32 v4, v4
	v_mul_f32_e32 v3, 0x3fb8aa3b, v3
	v_sub_f32_e32 v2, v2, v12
	v_add_f32_e32 v10, v10, v8
	v_cndmask_b32_e64 v7, 0, v7, s[12:13]
	v_exp_f32_e32 v3, v3
	v_mul_f32_e32 v2, 0x3fb8aa3b, v2
	v_add_f32_e32 v10, v10, v7
	v_cndmask_b32_e64 v6, 0, v6, s[14:15]
	v_exp_f32_e32 v2, v2
	v_add_f32_e32 v10, v10, v6
	v_cndmask_b32_e64 v5, 0, v5, s[6:7]
	buffer_store_dword v9, off, s[0:3], 0 offset:288
	buffer_store_dword v8, off, s[0:3], 0 offset:292
	;; [unrolled: 1-line block ×4, first 2 shown]
	v_add_f32_e32 v6, v10, v5
	v_cndmask_b32_e64 v4, 0, v4, s[10:11]
	v_add_f32_e32 v6, v6, v4
	v_cndmask_b32_e32 v3, 0, v3, vcc
	v_add_f32_e32 v6, v6, v3
	v_cndmask_b32_e64 v2, 0, v2, s[4:5]
	v_add_f32_e32 v6, v6, v2
	ds_bpermute_b32 v7, v22, v6
	buffer_store_dword v5, off, s[0:3], 0 offset:304
	buffer_store_dword v4, off, s[0:3], 0 offset:308
	;; [unrolled: 1-line block ×4, first 2 shown]
	v_cmp_gt_u32_e32 vcc, 16, v62
	s_waitcnt lgkmcnt(0)
	s_barrier
	v_add_f32_e32 v2, v6, v7
	ds_bpermute_b32 v3, v20, v2
	s_waitcnt lgkmcnt(0)
	s_and_saveexec_b64 s[4:5], vcc
	s_cbranch_execz .LBB915_207
; %bb.206:
	v_add_f32_e32 v2, v2, v3
	v_lshlrev_b32_e32 v3, 2, v61
	ds_write2st64_b32 v3, v12, v2 offset1:1
.LBB915_207:
	s_or_b64 exec, exec, s[4:5]
	v_lshlrev_b32_e32 v2, 2, v55
	s_waitcnt lgkmcnt(0)
	s_barrier
	ds_read2_b32 v[14:15], v2 offset1:16
	ds_read2_b32 v[16:17], v2 offset0:32 offset1:48
	ds_read2_b32 v[6:7], v2 offset0:64 offset1:80
	;; [unrolled: 1-line block ×3, first 2 shown]
	s_waitcnt lgkmcnt(0)
	s_barrier
	buffer_load_dword v22, off, s[0:3], 0 offset:264
	buffer_load_dword v23, off, s[0:3], 0 offset:268
	buffer_load_dword v24, off, s[0:3], 0 offset:256
	buffer_load_dword v25, off, s[0:3], 0 offset:260
	buffer_load_dword v10, off, s[0:3], 0 offset:280
	buffer_load_dword v11, off, s[0:3], 0 offset:284
	buffer_load_dword v8, off, s[0:3], 0 offset:272
	buffer_load_dword v9, off, s[0:3], 0 offset:276
	buffer_load_dword v18, off, s[0:3], 0 offset:288
	buffer_load_dword v19, off, s[0:3], 0 offset:292
	buffer_load_dword v26, off, s[0:3], 0 offset:296
	buffer_load_dword v27, off, s[0:3], 0 offset:300
	buffer_load_dword v2, off, s[0:3], 0 offset:304
	buffer_load_dword v3, off, s[0:3], 0 offset:308
	buffer_load_dword v4, off, s[0:3], 0 offset:312
	buffer_load_dword v5, off, s[0:3], 0 offset:316
	v_max3_f32 v20, v14, s52, v15
	v_max3_f32 v20, v20, v16, v17
	v_sub_f32_e32 v14, v14, v20
	v_sub_f32_e32 v15, v15, v20
	v_mul_f32_e32 v14, 0x3fb8aa3b, v14
	v_sub_f32_e32 v16, v16, v20
	v_mul_f32_e32 v15, 0x3fb8aa3b, v15
	v_exp_f32_e32 v14, v14
	v_sub_f32_e32 v17, v17, v20
	v_mul_f32_e32 v16, 0x3fb8aa3b, v16
	v_exp_f32_e32 v15, v15
	v_mul_f32_e32 v17, 0x3fb8aa3b, v17
	v_exp_f32_e32 v16, v16
	v_exp_f32_e32 v17, v17
	v_fma_f32 v6, v14, v6, 0
	v_fmac_f32_e32 v6, v15, v7
	v_fmac_f32_e32 v6, v16, v12
	;; [unrolled: 1-line block ×3, first 2 shown]
	v_cmp_eq_u32_e32 vcc, 1, v60
	v_add_f32_e32 v12, 0x358637bd, v6
	v_cndmask_b32_e32 v14, v14, v15, vcc
	v_cmp_eq_u32_e32 vcc, 2, v60
	v_div_scale_f32 v13, s[4:5], v12, v12, 1.0
	v_cndmask_b32_e32 v7, v14, v16, vcc
	v_rcp_f32_e32 v14, v13
	v_cmp_eq_u32_e32 vcc, 3, v60
	v_cndmask_b32_e32 v7, v7, v17, vcc
	v_div_scale_f32 v15, vcc, 1.0, v12, 1.0
	v_fma_f32 v16, -v13, v14, 1.0
	v_fmac_f32_e32 v14, v16, v14
	v_mul_f32_e32 v16, v15, v14
	v_fma_f32 v17, -v13, v16, v15
	v_fmac_f32_e32 v16, v17, v14
	v_fma_f32 v13, -v13, v16, v15
	v_div_fmas_f32 v13, v13, v14, v16
	v_div_fixup_f32 v12, v13, v12, 1.0
	v_mul_f32_e32 v12, v7, v12
	s_movk_i32 s19, 0x7fff
	s_mov_b32 s20, 0x7060302
	s_mul_i32 s18, s51, 6
	v_cmp_gt_u32_e32 vcc, 6, v0
	s_waitcnt vmcnt(14)
	v_pk_mul_f32 v[14:15], v[12:13], v[22:23] op_sel_hi:[0,1]
	v_bfe_u32 v21, v15, 16, 1
	s_waitcnt vmcnt(12)
	v_pk_mul_f32 v[16:17], v[12:13], v[24:25] op_sel_hi:[0,1]
	v_bfe_u32 v7, v17, 16, 1
	v_bfe_u32 v13, v16, 16, 1
	;; [unrolled: 1-line block ×3, first 2 shown]
	v_add3_u32 v13, v16, v13, s19
	v_add3_u32 v7, v17, v7, s19
	buffer_store_dword v16, off, s[0:3], 0 offset:256
	buffer_store_dword v17, off, s[0:3], 0 offset:260
	;; [unrolled: 1-line block ×4, first 2 shown]
	v_add3_u32 v16, v14, v22, s19
	v_add3_u32 v15, v15, v21, s19
	v_perm_b32 v14, v7, v13, s20
	v_lshlrev_b32_e32 v13, 3, v1
	v_perm_b32 v15, v15, v16, s20
	v_lshlrev_b32_e32 v7, 5, v55
	v_lshlrev_b32_e32 v16, 11, v60
	s_waitcnt vmcnt(12)
	v_pk_mul_f32 v[8:9], v[12:13], v[8:9] op_sel_hi:[0,1]
	v_or3_b32 v39, v16, v7, v13
	v_pk_mul_f32 v[10:11], v[12:13], v[10:11] op_sel_hi:[0,1]
	v_bfe_u32 v13, v9, 16, 1
	v_bfe_u32 v16, v8, 16, 1
	buffer_store_dword v8, off, s[0:3], 0 offset:272
	buffer_store_dword v9, off, s[0:3], 0 offset:276
	;; [unrolled: 1-line block ×4, first 2 shown]
	v_add3_u32 v8, v8, v16, s19
	v_add3_u32 v9, v9, v13, s19
	v_perm_b32 v8, v9, v8, s20
	v_bfe_u32 v9, v11, 16, 1
	v_bfe_u32 v13, v10, 16, 1
	v_add3_u32 v10, v10, v13, s19
	v_add3_u32 v9, v11, v9, s19
	v_perm_b32 v9, v9, v10, s20
	s_waitcnt vmcnt(14)
	v_pk_mul_f32 v[10:11], v[12:13], v[18:19] op_sel_hi:[0,1]
	ds_write2st64_b64 v39, v[14:15], v[8:9] offset1:1
	s_waitcnt vmcnt(12)
	v_pk_mul_f32 v[8:9], v[12:13], v[26:27] op_sel_hi:[0,1]
	v_bfe_u32 v13, v11, 16, 1
	v_bfe_u32 v14, v10, 16, 1
	buffer_store_dword v10, off, s[0:3], 0 offset:288
	buffer_store_dword v11, off, s[0:3], 0 offset:292
	;; [unrolled: 1-line block ×4, first 2 shown]
	v_add3_u32 v10, v10, v14, s19
	v_add3_u32 v11, v11, v13, s19
	v_perm_b32 v10, v11, v10, s20
	v_bfe_u32 v11, v9, 16, 1
	v_bfe_u32 v13, v8, 16, 1
	v_add3_u32 v8, v8, v13, s19
	v_add3_u32 v9, v9, v11, s19
	s_waitcnt vmcnt(14)
	v_pk_mul_f32 v[2:3], v[12:13], v[2:3] op_sel_hi:[0,1]
	v_perm_b32 v11, v9, v8, s20
	v_bfe_u32 v8, v3, 16, 1
	v_bfe_u32 v9, v2, 16, 1
	s_waitcnt vmcnt(12)
	v_pk_mul_f32 v[4:5], v[12:13], v[4:5] op_sel_hi:[0,1]
	buffer_store_dword v2, off, s[0:3], 0 offset:304
	buffer_store_dword v3, off, s[0:3], 0 offset:308
	;; [unrolled: 1-line block ×4, first 2 shown]
	v_add3_u32 v2, v2, v9, s19
	v_add3_u32 v3, v3, v8, s19
	v_perm_b32 v2, v3, v2, s20
	v_bfe_u32 v3, v5, 16, 1
	v_bfe_u32 v8, v4, 16, 1
	v_add3_u32 v4, v4, v8, s19
	v_add3_u32 v3, v5, v3, s19
	v_perm_b32 v3, v3, v4, s20
	ds_write2st64_b64 v39, v[10:11], v[2:3] offset0:2 offset1:3
	s_and_saveexec_b64 s[4:5], vcc
	s_cbranch_execz .LBB915_209
; %bb.208:
	v_add_co_u32_e32 v4, vcc, s25, v55
	v_addc_co_u32_e64 v5, s[6:7], 0, 0, vcc
	v_mov_b32_e32 v2, s18
	v_mad_u64_u32 v[4:5], s[6:7], s8, v2, v[4:5]
	v_mov_b32_e32 v3, 0
	s_mul_i32 s6, s9, s18
	v_mov_b32_e32 v2, s24
	v_add_u32_e32 v5, s6, v5
	v_mad_u64_u32 v[2:3], s[6:7], v4, s50, v[2:3]
	v_mov_b32_e32 v4, v3
	v_mad_u64_u32 v[4:5], s[6:7], v5, s50, v[4:5]
	v_mov_b32_e32 v3, v4
	v_lshlrev_b64 v[2:3], 2, v[2:3]
	v_mov_b32_e32 v5, s47
	v_add_co_u32_e32 v4, vcc, s46, v2
	v_addc_co_u32_e32 v5, vcc, v5, v3, vcc
	global_store_dword v[4:5], v20, off
	v_mov_b32_e32 v4, s45
	v_add_co_u32_e32 v2, vcc, s44, v2
	v_addc_co_u32_e32 v3, vcc, v4, v3, vcc
	global_store_dword v[2:3], v6, off
.LBB915_209:
	s_or_b64 exec, exec, s[4:5]
	v_lshl_or_b32 v30, v1, 9, v7
	s_waitcnt lgkmcnt(0)
	s_barrier
	s_load_dword s4, s[42:43], 0x0
	ds_read_b128 v[2:5], v30
	ds_read_b128 v[6:9], v30 offset:16
	ds_read_b128 v[10:13], v30 offset:2048
	;; [unrolled: 1-line block ×7, first 2 shown]
	v_mov_b32_e32 v35, 0x80
	v_mov_b32_e32 v41, 0x140
	s_mov_b64 s[10:11], -1
	s_waitcnt lgkmcnt(0)
	s_mov_b32 s5, s4
	s_mov_b32 s6, s4
	;; [unrolled: 1-line block ×3, first 2 shown]
	s_movk_i32 s9, 0x80
	s_movk_i32 s21, 0x7f
	s_mov_b32 s22, 0xffffff
	s_mov_b32 s23, 0x5040100
	v_mov_b32_e32 v43, 0
	v_bfrev_b32_e32 v45, 60
	s_branch .LBB915_213
.LBB915_210:                            ;   in Loop: Header=BB915_213 Depth=1
	s_or_b64 exec, exec, s[16:17]
.LBB915_211:                            ;   in Loop: Header=BB915_213 Depth=1
	s_or_b64 exec, exec, s[14:15]
.LBB915_212:                            ;   in Loop: Header=BB915_213 Depth=1
	s_or_b64 exec, exec, s[12:13]
	v_perm_b32 v61, v52, v50, s23
	v_perm_b32 v60, v44, v46, s23
	s_xor_b64 s[12:13], s[10:11], -1
	s_mov_b64 s[10:11], 0
	v_mov_b32_e32 v46, v48
	v_mfma_f32_16x16x16bf16_1k v[60:63], v[60:61], v[30:31], v[34:37]
	s_and_b64 vcc, exec, s[12:13]
	v_mov_b32_e32 v59, v49
	s_nop 4
	v_perm_b32 v37, v58, v53, s23
	v_perm_b32 v36, v42, v51, s23
	v_mov_b32_e32 v35, v47
	v_mov_b32_e32 v58, v57
	v_mfma_f32_16x16x16bf16_1k v[50:53], v[36:37], v[32:33], v[60:63]
	s_nop 7
	s_nop 2
	v_pk_mul_f32 v[50:51], v[50:51], s[4:5]
	v_pk_mul_f32 v[36:37], v[52:53], s[6:7]
	v_bfe_u32 v34, v51, 16, 1
	v_bfe_u32 v38, v50, 16, 1
	;; [unrolled: 1-line block ×4, first 2 shown]
	v_add3_u32 v38, v50, v38, s19
	v_add3_u32 v34, v51, v34, s19
	;; [unrolled: 1-line block ×4, first 2 shown]
	v_perm_b32 v34, v34, v38, s20
	v_perm_b32 v36, v37, v36, s20
	buffer_store_dword v34, v41, s[0:3], 0 offen
	buffer_store_dword v36, v41, s[0:3], 0 offen offset:4
	v_mov_b32_e32 v41, 0x148
	s_cbranch_vccnz .LBB915_595
.LBB915_213:                            ; =>This Inner Loop Header: Depth=1
	buffer_load_dword v36, v35, s[0:3], 0 offen
	buffer_load_dword v34, v35, s[0:3], 0 offen offset:4
	buffer_load_dword v40, v35, s[0:3], 0 offen offset:8
	;; [unrolled: 1-line block ×3, first 2 shown]
	v_mov_b32_e32 v35, 0
	s_waitcnt vmcnt(3)
	v_cmp_ne_u16_sdwa s[14:15], v36, v43 src0_sel:BYTE_0 src1_sel:DWORD
	s_and_saveexec_b64 s[12:13], s[14:15]
	s_cbranch_execz .LBB915_219
; %bb.214:                              ;   in Loop: Header=BB915_213 Depth=1
	v_cmp_ne_u16_sdwa s[16:17], v36, s9 src0_sel:BYTE_0 src1_sel:DWORD
	v_mov_b32_e32 v35, 0xffff8000
	s_and_saveexec_b64 s[14:15], s[16:17]
	s_cbranch_execz .LBB915_218
; %bb.215:                              ;   in Loop: Header=BB915_213 Depth=1
	v_and_b32_e32 v37, 0x7f, v36
	v_cmp_ne_u32_e32 vcc, s21, v37
	v_mov_b32_e32 v35, 0x7f80
	s_and_saveexec_b64 s[16:17], vcc
	s_cbranch_execz .LBB915_217
; %bb.216:                              ;   in Loop: Header=BB915_213 Depth=1
	v_and_b32_e32 v35, 7, v36
	v_ffbh_u32_e32 v44, v35
	v_min_u32_e32 v44, 32, v44
	v_subrev_u32_e32 v50, 28, v44
	v_lshlrev_b64 v[50:51], v50, v[36:37]
	v_lshrrev_b32_e32 v42, 3, v37
	v_sub_u32_e32 v44, 29, v44
	v_and_b32_e32 v50, 7, v50
	v_cmp_gt_u32_e32 vcc, 8, v37
	v_cndmask_b32_e32 v37, v42, v44, vcc
	v_cndmask_b32_e32 v35, v35, v50, vcc
	v_lshlrev_b32_e32 v42, 24, v36
	v_lshlrev_b32_e32 v35, 20, v35
	v_and_b32_e32 v42, 0x80000000, v42
	v_lshl_add_u32 v37, v37, 23, v45
	v_or3_b32 v35, v42, v37, v35
	v_lshrrev_b32_e32 v35, 16, v35
.LBB915_217:                            ;   in Loop: Header=BB915_213 Depth=1
	s_or_b64 exec, exec, s[16:17]
.LBB915_218:                            ;   in Loop: Header=BB915_213 Depth=1
	s_or_b64 exec, exec, s[14:15]
.LBB915_219:                            ;   in Loop: Header=BB915_213 Depth=1
	s_or_b64 exec, exec, s[12:13]
	v_lshrrev_b16_e32 v42, 8, v36
	v_cmp_ne_u16_e32 vcc, 0, v42
	v_mov_b32_e32 v50, 0
	v_mov_b32_e32 v37, 0
	s_and_saveexec_b64 s[12:13], vcc
	s_cbranch_execz .LBB915_225
; %bb.220:                              ;   in Loop: Header=BB915_213 Depth=1
	v_cmp_ne_u16_e32 vcc, s9, v42
	v_mov_b32_e32 v37, 0xffff8000
	s_and_saveexec_b64 s[14:15], vcc
	s_cbranch_execz .LBB915_224
; %bb.221:                              ;   in Loop: Header=BB915_213 Depth=1
	v_and_b32_e32 v44, 0x7f, v42
	v_cmp_ne_u32_e32 vcc, s21, v44
	v_mov_b32_e32 v37, 0x7f80
	s_and_saveexec_b64 s[16:17], vcc
	s_cbranch_execz .LBB915_223
; %bb.222:                              ;   in Loop: Header=BB915_213 Depth=1
	v_and_b32_e32 v37, 7, v42
	v_ffbh_u32_e32 v52, v37
	v_min_u32_e32 v60, 32, v52
	v_subrev_u32_e32 v52, 28, v60
	v_lshlrev_b64 v[52:53], v52, v[42:43]
	v_lshrrev_b32_e32 v51, 3, v44
	v_sub_u32_e32 v42, 29, v60
	v_and_b32_e32 v52, 7, v52
	v_cmp_gt_u32_e32 vcc, 8, v44
	v_cndmask_b32_e32 v42, v51, v42, vcc
	v_cndmask_b32_e32 v37, v37, v52, vcc
	v_lshlrev_b32_e32 v44, 16, v36
	v_lshlrev_b32_e32 v37, 20, v37
	v_and_b32_e32 v44, 0x80000000, v44
	v_lshl_add_u32 v42, v42, 23, v45
	v_or3_b32 v37, v44, v42, v37
	v_lshrrev_b32_e32 v37, 16, v37
.LBB915_223:                            ;   in Loop: Header=BB915_213 Depth=1
	s_or_b64 exec, exec, s[16:17]
.LBB915_224:                            ;   in Loop: Header=BB915_213 Depth=1
	s_or_b64 exec, exec, s[14:15]
.LBB915_225:                            ;   in Loop: Header=BB915_213 Depth=1
	s_or_b64 exec, exec, s[12:13]
	v_lshrrev_b32_e32 v42, 16, v36
	v_cmp_ne_u16_sdwa s[14:15], v42, v43 src0_sel:BYTE_0 src1_sel:DWORD
	s_and_saveexec_b64 s[12:13], s[14:15]
	s_cbranch_execz .LBB915_231
; %bb.226:                              ;   in Loop: Header=BB915_213 Depth=1
	v_cmp_ne_u16_sdwa s[16:17], v42, s9 src0_sel:BYTE_0 src1_sel:DWORD
	v_mov_b32_e32 v50, 0xffff8000
	s_and_saveexec_b64 s[14:15], s[16:17]
	s_cbranch_execz .LBB915_230
; %bb.227:                              ;   in Loop: Header=BB915_213 Depth=1
	v_bfe_u32 v44, v36, 16, 7
	v_cmp_ne_u32_e32 vcc, s21, v44
	v_mov_b32_e32 v50, 0x7f80
	s_and_saveexec_b64 s[16:17], vcc
	s_cbranch_execz .LBB915_229
; %bb.228:                              ;   in Loop: Header=BB915_213 Depth=1
	v_and_b32_e32 v52, 7, v42
	v_ffbh_u32_e32 v50, v52
	v_min_u32_e32 v60, 32, v50
	v_subrev_u32_e32 v50, 28, v60
	v_lshlrev_b64 v[50:51], v50, v[42:43]
	v_lshrrev_b32_e32 v53, 3, v44
	v_sub_u32_e32 v51, 29, v60
	v_and_b32_e32 v50, 7, v50
	v_cmp_gt_u32_e32 vcc, 8, v44
	v_cndmask_b32_e32 v44, v53, v51, vcc
	v_cndmask_b32_e32 v50, v52, v50, vcc
	v_lshlrev_b32_e32 v42, 24, v42
	v_lshlrev_b32_e32 v50, 20, v50
	v_and_b32_e32 v42, 0x80000000, v42
	v_lshl_add_u32 v44, v44, 23, v45
	v_or3_b32 v42, v42, v44, v50
	v_lshrrev_b32_e32 v50, 16, v42
.LBB915_229:                            ;   in Loop: Header=BB915_213 Depth=1
	s_or_b64 exec, exec, s[16:17]
.LBB915_230:                            ;   in Loop: Header=BB915_213 Depth=1
	s_or_b64 exec, exec, s[14:15]
.LBB915_231:                            ;   in Loop: Header=BB915_213 Depth=1
	s_or_b64 exec, exec, s[12:13]
	v_cmp_lt_u32_e32 vcc, s22, v36
	v_mov_b32_e32 v51, 0
	v_mov_b32_e32 v52, 0
	s_and_saveexec_b64 s[12:13], vcc
	s_cbranch_execz .LBB915_237
; %bb.232:                              ;   in Loop: Header=BB915_213 Depth=1
	v_lshrrev_b32_e32 v42, 24, v36
	v_cmp_ne_u32_e32 vcc, s9, v42
	v_mov_b32_e32 v52, 0xffff8000
	s_and_saveexec_b64 s[14:15], vcc
	s_cbranch_execz .LBB915_236
; %bb.233:                              ;   in Loop: Header=BB915_213 Depth=1
	v_bfe_u32 v36, v36, 24, 7
	v_cmp_ne_u32_e32 vcc, s21, v36
	v_mov_b32_e32 v52, 0x7f80
	s_and_saveexec_b64 s[16:17], vcc
	s_cbranch_execz .LBB915_235
; %bb.234:                              ;   in Loop: Header=BB915_213 Depth=1
	v_and_b32_e32 v44, 7, v42
	v_ffbh_u32_e32 v52, v44
	v_min_u32_e32 v61, 32, v52
	v_subrev_u32_e32 v52, 28, v61
	v_lshlrev_b64 v[52:53], v52, v[42:43]
	v_lshrrev_b32_e32 v60, 3, v36
	v_sub_u32_e32 v53, 29, v61
	v_and_b32_e32 v52, 7, v52
	v_cmp_gt_u32_e32 vcc, 8, v36
	v_cndmask_b32_e32 v36, v60, v53, vcc
	v_cndmask_b32_e32 v44, v44, v52, vcc
	v_lshlrev_b32_e32 v42, 24, v42
	v_lshlrev_b32_e32 v44, 20, v44
	v_and_b32_e32 v42, 0x80000000, v42
	v_lshl_add_u32 v36, v36, 23, v45
	v_or3_b32 v36, v42, v36, v44
	v_lshrrev_b32_e32 v52, 16, v36
.LBB915_235:                            ;   in Loop: Header=BB915_213 Depth=1
	s_or_b64 exec, exec, s[16:17]
.LBB915_236:                            ;   in Loop: Header=BB915_213 Depth=1
	s_or_b64 exec, exec, s[14:15]
.LBB915_237:                            ;   in Loop: Header=BB915_213 Depth=1
	s_or_b64 exec, exec, s[12:13]
	s_waitcnt vmcnt(2)
	v_cmp_ne_u16_sdwa s[14:15], v34, v43 src0_sel:BYTE_0 src1_sel:DWORD
	s_and_saveexec_b64 s[12:13], s[14:15]
	s_cbranch_execz .LBB915_243
; %bb.238:                              ;   in Loop: Header=BB915_213 Depth=1
	v_cmp_ne_u16_sdwa s[16:17], v34, s9 src0_sel:BYTE_0 src1_sel:DWORD
	v_mov_b32_e32 v51, 0xffff8000
	s_and_saveexec_b64 s[14:15], s[16:17]
	s_cbranch_execz .LBB915_242
; %bb.239:                              ;   in Loop: Header=BB915_213 Depth=1
	v_and_b32_e32 v36, 0x7f, v34
	v_cmp_ne_u32_e32 vcc, s21, v36
	v_mov_b32_e32 v51, 0x7f80
	s_and_saveexec_b64 s[16:17], vcc
	s_cbranch_execz .LBB915_241
; %bb.240:                              ;   in Loop: Header=BB915_213 Depth=1
	v_and_b32_e32 v42, 7, v34
	v_ffbh_u32_e32 v51, v42
	v_min_u32_e32 v51, 32, v51
	v_subrev_u32_e32 v53, 28, v51
	v_lshlrev_b64 v[60:61], v53, v[34:35]
	v_lshrrev_b32_e32 v44, 3, v36
	v_sub_u32_e32 v51, 29, v51
	v_and_b32_e32 v53, 7, v60
	v_cmp_gt_u32_e32 vcc, 8, v36
	v_cndmask_b32_e32 v36, v44, v51, vcc
	v_cndmask_b32_e32 v42, v42, v53, vcc
	v_lshlrev_b32_e32 v44, 24, v34
	v_lshlrev_b32_e32 v42, 20, v42
	v_and_b32_e32 v44, 0x80000000, v44
	v_lshl_add_u32 v36, v36, 23, v45
	v_or3_b32 v36, v44, v36, v42
	v_lshrrev_b32_e32 v51, 16, v36
.LBB915_241:                            ;   in Loop: Header=BB915_213 Depth=1
	s_or_b64 exec, exec, s[16:17]
.LBB915_242:                            ;   in Loop: Header=BB915_213 Depth=1
	s_or_b64 exec, exec, s[14:15]
.LBB915_243:                            ;   in Loop: Header=BB915_213 Depth=1
	s_or_b64 exec, exec, s[12:13]
	v_lshrrev_b16_e32 v36, 8, v34
	v_cmp_ne_u16_e32 vcc, 0, v36
	v_mov_b32_e32 v53, 0
	v_mov_b32_e32 v42, 0
	s_and_saveexec_b64 s[12:13], vcc
	s_cbranch_execz .LBB915_249
; %bb.244:                              ;   in Loop: Header=BB915_213 Depth=1
	v_cmp_ne_u16_e32 vcc, s9, v36
	v_mov_b32_e32 v42, 0xffff8000
	s_and_saveexec_b64 s[14:15], vcc
	s_cbranch_execz .LBB915_248
; %bb.245:                              ;   in Loop: Header=BB915_213 Depth=1
	v_and_b32_e32 v44, 0x7f, v36
	v_cmp_ne_u32_e32 vcc, s21, v44
	v_mov_b32_e32 v42, 0x7f80
	s_and_saveexec_b64 s[16:17], vcc
	s_cbranch_execz .LBB915_247
; %bb.246:                              ;   in Loop: Header=BB915_213 Depth=1
	v_and_b32_e32 v42, 7, v36
	v_ffbh_u32_e32 v60, v42
	v_min_u32_e32 v63, 32, v60
	v_subrev_u32_e32 v60, 28, v63
	v_lshlrev_b64 v[60:61], v60, v[36:37]
	v_lshrrev_b32_e32 v62, 3, v44
	v_sub_u32_e32 v36, 29, v63
	v_and_b32_e32 v60, 7, v60
	v_cmp_gt_u32_e32 vcc, 8, v44
	v_cndmask_b32_e32 v36, v62, v36, vcc
	v_cndmask_b32_e32 v42, v42, v60, vcc
	v_lshlrev_b32_e32 v44, 16, v34
	v_lshlrev_b32_e32 v42, 20, v42
	v_and_b32_e32 v44, 0x80000000, v44
	v_lshl_add_u32 v36, v36, 23, v45
	v_or3_b32 v36, v44, v36, v42
	v_lshrrev_b32_e32 v42, 16, v36
.LBB915_247:                            ;   in Loop: Header=BB915_213 Depth=1
	s_or_b64 exec, exec, s[16:17]
.LBB915_248:                            ;   in Loop: Header=BB915_213 Depth=1
	s_or_b64 exec, exec, s[14:15]
.LBB915_249:                            ;   in Loop: Header=BB915_213 Depth=1
	s_or_b64 exec, exec, s[12:13]
	v_lshrrev_b32_e32 v36, 16, v34
	v_cmp_ne_u16_sdwa s[14:15], v36, v43 src0_sel:BYTE_0 src1_sel:DWORD
	s_and_saveexec_b64 s[12:13], s[14:15]
	s_cbranch_execz .LBB915_255
; %bb.250:                              ;   in Loop: Header=BB915_213 Depth=1
	v_cmp_ne_u16_sdwa s[16:17], v36, s9 src0_sel:BYTE_0 src1_sel:DWORD
	v_mov_b32_e32 v53, 0xffff8000
	s_and_saveexec_b64 s[14:15], s[16:17]
	s_cbranch_execz .LBB915_254
; %bb.251:                              ;   in Loop: Header=BB915_213 Depth=1
	v_bfe_u32 v44, v34, 16, 7
	v_cmp_ne_u32_e32 vcc, s21, v44
	v_mov_b32_e32 v53, 0x7f80
	s_and_saveexec_b64 s[16:17], vcc
	s_cbranch_execz .LBB915_253
; %bb.252:                              ;   in Loop: Header=BB915_213 Depth=1
	v_and_b32_e32 v53, 7, v36
	v_ffbh_u32_e32 v60, v53
	v_min_u32_e32 v63, 32, v60
	v_subrev_u32_e32 v60, 28, v63
	v_lshlrev_b64 v[60:61], v60, v[36:37]
	v_lshrrev_b32_e32 v62, 3, v44
	v_sub_u32_e32 v61, 29, v63
	v_and_b32_e32 v60, 7, v60
	v_cmp_gt_u32_e32 vcc, 8, v44
	v_cndmask_b32_e32 v44, v62, v61, vcc
	v_cndmask_b32_e32 v53, v53, v60, vcc
	v_lshlrev_b32_e32 v36, 24, v36
	v_lshlrev_b32_e32 v53, 20, v53
	v_and_b32_e32 v36, 0x80000000, v36
	v_lshl_add_u32 v44, v44, 23, v45
	v_or3_b32 v36, v36, v44, v53
	v_lshrrev_b32_e32 v53, 16, v36
.LBB915_253:                            ;   in Loop: Header=BB915_213 Depth=1
	s_or_b64 exec, exec, s[16:17]
.LBB915_254:                            ;   in Loop: Header=BB915_213 Depth=1
	s_or_b64 exec, exec, s[14:15]
.LBB915_255:                            ;   in Loop: Header=BB915_213 Depth=1
	s_or_b64 exec, exec, s[12:13]
	v_cmp_lt_u32_e32 vcc, s22, v34
	v_mov_b32_e32 v44, 0
	v_mov_b32_e32 v60, 0
	s_and_saveexec_b64 s[12:13], vcc
	s_cbranch_execz .LBB915_261
; %bb.256:                              ;   in Loop: Header=BB915_213 Depth=1
	v_lshrrev_b32_e32 v36, 24, v34
	v_cmp_ne_u32_e32 vcc, s9, v36
	v_mov_b32_e32 v60, 0xffff8000
	s_and_saveexec_b64 s[14:15], vcc
	s_cbranch_execz .LBB915_260
; %bb.257:                              ;   in Loop: Header=BB915_213 Depth=1
	v_bfe_u32 v34, v34, 24, 7
	v_cmp_ne_u32_e32 vcc, s21, v34
	v_mov_b32_e32 v60, 0x7f80
	s_and_saveexec_b64 s[16:17], vcc
	s_cbranch_execz .LBB915_259
; %bb.258:                              ;   in Loop: Header=BB915_213 Depth=1
	v_and_b32_e32 v62, 7, v36
	v_ffbh_u32_e32 v60, v62
	v_min_u32_e32 v64, 32, v60
	v_subrev_u32_e32 v60, 28, v64
	v_lshlrev_b64 v[60:61], v60, v[36:37]
	v_lshrrev_b32_e32 v63, 3, v34
	v_sub_u32_e32 v61, 29, v64
	v_and_b32_e32 v60, 7, v60
	v_cmp_gt_u32_e32 vcc, 8, v34
	v_cndmask_b32_e32 v34, v63, v61, vcc
	v_cndmask_b32_e32 v60, v62, v60, vcc
	v_lshlrev_b32_e32 v36, 24, v36
	v_lshlrev_b32_e32 v60, 20, v60
	v_and_b32_e32 v36, 0x80000000, v36
	v_lshl_add_u32 v34, v34, 23, v45
	v_or3_b32 v34, v36, v34, v60
	v_lshrrev_b32_e32 v60, 16, v34
.LBB915_259:                            ;   in Loop: Header=BB915_213 Depth=1
	s_or_b64 exec, exec, s[16:17]
.LBB915_260:                            ;   in Loop: Header=BB915_213 Depth=1
	s_or_b64 exec, exec, s[14:15]
.LBB915_261:                            ;   in Loop: Header=BB915_213 Depth=1
	s_or_b64 exec, exec, s[12:13]
	v_perm_b32 v63, v52, v50, s23
	v_perm_b32 v62, v37, v35, s23
	;; [unrolled: 1-line block ×4, first 2 shown]
	s_waitcnt vmcnt(1)
	v_cmp_ne_u16_sdwa s[14:15], v40, v43 src0_sel:BYTE_0 src1_sel:DWORD
	v_mfma_f32_16x16x16bf16_1k v[34:37], v[62:63], v[2:3], 0
	v_mfma_f32_16x16x16bf16_1k v[34:37], v[52:53], v[4:5], v[34:37]
	s_and_saveexec_b64 s[12:13], s[14:15]
	s_cbranch_execz .LBB915_267
; %bb.262:                              ;   in Loop: Header=BB915_213 Depth=1
	v_cmp_ne_u16_sdwa s[16:17], v40, s9 src0_sel:BYTE_0 src1_sel:DWORD
	v_mov_b32_e32 v44, 0xffff8000
	s_and_saveexec_b64 s[14:15], s[16:17]
	s_cbranch_execz .LBB915_266
; %bb.263:                              ;   in Loop: Header=BB915_213 Depth=1
	v_and_b32_e32 v42, 0x7f, v40
	v_cmp_ne_u32_e32 vcc, s21, v42
	v_mov_b32_e32 v44, 0x7f80
	s_and_saveexec_b64 s[16:17], vcc
	s_cbranch_execz .LBB915_265
; %bb.264:                              ;   in Loop: Header=BB915_213 Depth=1
	v_and_b32_e32 v44, 7, v40
	v_ffbh_u32_e32 v50, v44
	v_min_u32_e32 v53, 32, v50
	v_subrev_u32_e32 v50, 28, v53
	v_lshlrev_b64 v[50:51], v50, v[40:41]
	v_lshrrev_b32_e32 v52, 3, v42
	v_sub_u32_e32 v51, 29, v53
	v_and_b32_e32 v50, 7, v50
	v_cmp_gt_u32_e32 vcc, 8, v42
	v_cndmask_b32_e32 v42, v52, v51, vcc
	v_cndmask_b32_e32 v44, v44, v50, vcc
	v_lshlrev_b32_e32 v50, 24, v40
	v_lshlrev_b32_e32 v44, 20, v44
	v_and_b32_e32 v50, 0x80000000, v50
	v_lshl_add_u32 v42, v42, 23, v45
	v_or3_b32 v42, v50, v42, v44
	v_lshrrev_b32_e32 v44, 16, v42
.LBB915_265:                            ;   in Loop: Header=BB915_213 Depth=1
	s_or_b64 exec, exec, s[16:17]
.LBB915_266:                            ;   in Loop: Header=BB915_213 Depth=1
	s_or_b64 exec, exec, s[14:15]
.LBB915_267:                            ;   in Loop: Header=BB915_213 Depth=1
	s_or_b64 exec, exec, s[12:13]
	v_lshrrev_b16_e32 v42, 8, v40
	v_cmp_ne_u16_e32 vcc, 0, v42
	v_mov_b32_e32 v52, 0
	v_mov_b32_e32 v51, 0
	s_and_saveexec_b64 s[12:13], vcc
	s_cbranch_execz .LBB915_273
; %bb.268:                              ;   in Loop: Header=BB915_213 Depth=1
	v_cmp_ne_u16_e32 vcc, s9, v42
	v_mov_b32_e32 v51, 0xffff8000
	s_and_saveexec_b64 s[14:15], vcc
	s_cbranch_execz .LBB915_272
; %bb.269:                              ;   in Loop: Header=BB915_213 Depth=1
	v_and_b32_e32 v50, 0x7f, v42
	v_cmp_ne_u32_e32 vcc, s21, v50
	v_mov_b32_e32 v51, 0x7f80
	s_and_saveexec_b64 s[16:17], vcc
	s_cbranch_execz .LBB915_271
; %bb.270:                              ;   in Loop: Header=BB915_213 Depth=1
	v_and_b32_e32 v51, 7, v42
	v_ffbh_u32_e32 v60, v51
	v_min_u32_e32 v62, 32, v60
	v_subrev_u32_e32 v60, 28, v62
	v_lshlrev_b64 v[60:61], v60, v[42:43]
	v_lshrrev_b32_e32 v53, 3, v50
	v_sub_u32_e32 v42, 29, v62
	v_and_b32_e32 v60, 7, v60
	v_cmp_gt_u32_e32 vcc, 8, v50
	v_cndmask_b32_e32 v42, v53, v42, vcc
	v_cndmask_b32_e32 v50, v51, v60, vcc
	v_lshlrev_b32_e32 v51, 16, v40
	v_lshlrev_b32_e32 v50, 20, v50
	v_and_b32_e32 v51, 0x80000000, v51
	v_lshl_add_u32 v42, v42, 23, v45
	v_or3_b32 v42, v51, v42, v50
	v_lshrrev_b32_e32 v51, 16, v42
.LBB915_271:                            ;   in Loop: Header=BB915_213 Depth=1
	s_or_b64 exec, exec, s[16:17]
.LBB915_272:                            ;   in Loop: Header=BB915_213 Depth=1
	s_or_b64 exec, exec, s[14:15]
.LBB915_273:                            ;   in Loop: Header=BB915_213 Depth=1
	s_or_b64 exec, exec, s[12:13]
	v_lshrrev_b32_e32 v42, 16, v40
	v_cmp_ne_u16_sdwa s[14:15], v42, v43 src0_sel:BYTE_0 src1_sel:DWORD
	s_and_saveexec_b64 s[12:13], s[14:15]
	s_cbranch_execz .LBB915_279
; %bb.274:                              ;   in Loop: Header=BB915_213 Depth=1
	v_cmp_ne_u16_sdwa s[16:17], v42, s9 src0_sel:BYTE_0 src1_sel:DWORD
	v_mov_b32_e32 v52, 0xffff8000
	s_and_saveexec_b64 s[14:15], s[16:17]
	s_cbranch_execz .LBB915_278
; %bb.275:                              ;   in Loop: Header=BB915_213 Depth=1
	v_bfe_u32 v50, v40, 16, 7
	v_cmp_ne_u32_e32 vcc, s21, v50
	v_mov_b32_e32 v52, 0x7f80
	s_and_saveexec_b64 s[16:17], vcc
	s_cbranch_execz .LBB915_277
; %bb.276:                              ;   in Loop: Header=BB915_213 Depth=1
	v_and_b32_e32 v60, 7, v42
	v_ffbh_u32_e32 v52, v60
	v_min_u32_e32 v62, 32, v52
	v_subrev_u32_e32 v52, 28, v62
	v_lshlrev_b64 v[52:53], v52, v[42:43]
	v_lshrrev_b32_e32 v61, 3, v50
	v_sub_u32_e32 v53, 29, v62
	v_and_b32_e32 v52, 7, v52
	v_cmp_gt_u32_e32 vcc, 8, v50
	v_cndmask_b32_e32 v50, v61, v53, vcc
	v_cndmask_b32_e32 v52, v60, v52, vcc
	v_lshlrev_b32_e32 v42, 24, v42
	v_lshlrev_b32_e32 v52, 20, v52
	v_and_b32_e32 v42, 0x80000000, v42
	v_lshl_add_u32 v50, v50, 23, v45
	v_or3_b32 v42, v42, v50, v52
	v_lshrrev_b32_e32 v52, 16, v42
.LBB915_277:                            ;   in Loop: Header=BB915_213 Depth=1
	s_or_b64 exec, exec, s[16:17]
.LBB915_278:                            ;   in Loop: Header=BB915_213 Depth=1
	s_or_b64 exec, exec, s[14:15]
.LBB915_279:                            ;   in Loop: Header=BB915_213 Depth=1
	s_or_b64 exec, exec, s[12:13]
	v_cmp_lt_u32_e32 vcc, s22, v40
	v_mov_b32_e32 v53, 0
	v_mov_b32_e32 v60, 0
	s_and_saveexec_b64 s[12:13], vcc
	s_cbranch_execz .LBB915_285
; %bb.280:                              ;   in Loop: Header=BB915_213 Depth=1
	v_lshrrev_b32_e32 v42, 24, v40
	v_cmp_ne_u32_e32 vcc, s9, v42
	v_mov_b32_e32 v60, 0xffff8000
	s_and_saveexec_b64 s[14:15], vcc
	s_cbranch_execz .LBB915_284
; %bb.281:                              ;   in Loop: Header=BB915_213 Depth=1
	v_bfe_u32 v40, v40, 24, 7
	v_cmp_ne_u32_e32 vcc, s21, v40
	v_mov_b32_e32 v60, 0x7f80
	s_and_saveexec_b64 s[16:17], vcc
	s_cbranch_execz .LBB915_283
; %bb.282:                              ;   in Loop: Header=BB915_213 Depth=1
	v_and_b32_e32 v50, 7, v42
	v_ffbh_u32_e32 v60, v50
	v_min_u32_e32 v63, 32, v60
	v_subrev_u32_e32 v60, 28, v63
	v_lshlrev_b64 v[60:61], v60, v[42:43]
	v_lshrrev_b32_e32 v62, 3, v40
	v_sub_u32_e32 v61, 29, v63
	v_and_b32_e32 v60, 7, v60
	v_cmp_gt_u32_e32 vcc, 8, v40
	v_cndmask_b32_e32 v40, v62, v61, vcc
	v_cndmask_b32_e32 v50, v50, v60, vcc
	v_lshlrev_b32_e32 v42, 24, v42
	v_lshlrev_b32_e32 v50, 20, v50
	v_and_b32_e32 v42, 0x80000000, v42
	v_lshl_add_u32 v40, v40, 23, v45
	v_or3_b32 v40, v42, v40, v50
	v_lshrrev_b32_e32 v60, 16, v40
.LBB915_283:                            ;   in Loop: Header=BB915_213 Depth=1
	s_or_b64 exec, exec, s[16:17]
.LBB915_284:                            ;   in Loop: Header=BB915_213 Depth=1
	s_or_b64 exec, exec, s[14:15]
.LBB915_285:                            ;   in Loop: Header=BB915_213 Depth=1
	s_or_b64 exec, exec, s[12:13]
	s_waitcnt vmcnt(0)
	v_cmp_ne_u16_sdwa s[14:15], v38, v43 src0_sel:BYTE_0 src1_sel:DWORD
	s_and_saveexec_b64 s[12:13], s[14:15]
	s_cbranch_execz .LBB915_291
; %bb.286:                              ;   in Loop: Header=BB915_213 Depth=1
	v_cmp_ne_u16_sdwa s[16:17], v38, s9 src0_sel:BYTE_0 src1_sel:DWORD
	v_mov_b32_e32 v53, 0xffff8000
	s_and_saveexec_b64 s[14:15], s[16:17]
	s_cbranch_execz .LBB915_290
; %bb.287:                              ;   in Loop: Header=BB915_213 Depth=1
	v_and_b32_e32 v40, 0x7f, v38
	v_cmp_ne_u32_e32 vcc, s21, v40
	v_mov_b32_e32 v53, 0x7f80
	s_and_saveexec_b64 s[16:17], vcc
	s_cbranch_execz .LBB915_289
; %bb.288:                              ;   in Loop: Header=BB915_213 Depth=1
	v_and_b32_e32 v42, 7, v38
	v_ffbh_u32_e32 v53, v42
	v_min_u32_e32 v53, 32, v53
	v_subrev_u32_e32 v61, 28, v53
	v_lshlrev_b64 v[62:63], v61, v[38:39]
	v_lshrrev_b32_e32 v50, 3, v40
	v_sub_u32_e32 v53, 29, v53
	v_and_b32_e32 v61, 7, v62
	v_cmp_gt_u32_e32 vcc, 8, v40
	v_cndmask_b32_e32 v40, v50, v53, vcc
	v_cndmask_b32_e32 v42, v42, v61, vcc
	v_lshlrev_b32_e32 v50, 24, v38
	v_lshlrev_b32_e32 v42, 20, v42
	v_and_b32_e32 v50, 0x80000000, v50
	v_lshl_add_u32 v40, v40, 23, v45
	v_or3_b32 v40, v50, v40, v42
	v_lshrrev_b32_e32 v53, 16, v40
.LBB915_289:                            ;   in Loop: Header=BB915_213 Depth=1
	s_or_b64 exec, exec, s[16:17]
.LBB915_290:                            ;   in Loop: Header=BB915_213 Depth=1
	s_or_b64 exec, exec, s[14:15]
.LBB915_291:                            ;   in Loop: Header=BB915_213 Depth=1
	s_or_b64 exec, exec, s[12:13]
	v_lshrrev_b16_e32 v40, 8, v38
	v_cmp_ne_u16_e32 vcc, 0, v40
	v_mov_b32_e32 v62, 0
	v_mov_b32_e32 v61, 0
	s_and_saveexec_b64 s[12:13], vcc
	s_cbranch_execz .LBB915_297
; %bb.292:                              ;   in Loop: Header=BB915_213 Depth=1
	v_cmp_ne_u16_e32 vcc, s9, v40
	v_mov_b32_e32 v61, 0xffff8000
	s_and_saveexec_b64 s[14:15], vcc
	s_cbranch_execz .LBB915_296
; %bb.293:                              ;   in Loop: Header=BB915_213 Depth=1
	v_and_b32_e32 v42, 0x7f, v40
	v_cmp_ne_u32_e32 vcc, s21, v42
	v_mov_b32_e32 v61, 0x7f80
	s_and_saveexec_b64 s[16:17], vcc
	s_cbranch_execz .LBB915_295
; %bb.294:                              ;   in Loop: Header=BB915_213 Depth=1
	v_and_b32_e32 v50, 7, v40
	v_ffbh_u32_e32 v63, v50
	v_min_u32_e32 v63, 32, v63
	v_subrev_u32_e32 v64, 28, v63
	v_lshlrev_b64 v[64:65], v64, v[40:41]
	v_lshrrev_b32_e32 v61, 3, v42
	v_sub_u32_e32 v40, 29, v63
	v_and_b32_e32 v63, 7, v64
	v_cmp_gt_u32_e32 vcc, 8, v42
	v_cndmask_b32_e32 v40, v61, v40, vcc
	v_cndmask_b32_e32 v42, v50, v63, vcc
	v_lshlrev_b32_e32 v50, 16, v38
	v_lshlrev_b32_e32 v42, 20, v42
	v_and_b32_e32 v50, 0x80000000, v50
	v_lshl_add_u32 v40, v40, 23, v45
	v_or3_b32 v40, v50, v40, v42
	v_lshrrev_b32_e32 v61, 16, v40
.LBB915_295:                            ;   in Loop: Header=BB915_213 Depth=1
	s_or_b64 exec, exec, s[16:17]
.LBB915_296:                            ;   in Loop: Header=BB915_213 Depth=1
	s_or_b64 exec, exec, s[14:15]
.LBB915_297:                            ;   in Loop: Header=BB915_213 Depth=1
	s_or_b64 exec, exec, s[12:13]
	v_lshrrev_b32_e32 v40, 16, v38
	v_cmp_ne_u16_sdwa s[14:15], v40, v43 src0_sel:BYTE_0 src1_sel:DWORD
	s_and_saveexec_b64 s[12:13], s[14:15]
	s_cbranch_execz .LBB915_303
; %bb.298:                              ;   in Loop: Header=BB915_213 Depth=1
	v_cmp_ne_u16_sdwa s[16:17], v40, s9 src0_sel:BYTE_0 src1_sel:DWORD
	v_mov_b32_e32 v62, 0xffff8000
	s_and_saveexec_b64 s[14:15], s[16:17]
	s_cbranch_execz .LBB915_302
; %bb.299:                              ;   in Loop: Header=BB915_213 Depth=1
	v_bfe_u32 v42, v38, 16, 7
	v_cmp_ne_u32_e32 vcc, s21, v42
	v_mov_b32_e32 v62, 0x7f80
	s_and_saveexec_b64 s[16:17], vcc
	s_cbranch_execz .LBB915_301
; %bb.300:                              ;   in Loop: Header=BB915_213 Depth=1
	v_and_b32_e32 v50, 7, v40
	v_ffbh_u32_e32 v62, v50
	v_min_u32_e32 v65, 32, v62
	v_subrev_u32_e32 v62, 28, v65
	v_lshlrev_b64 v[62:63], v62, v[40:41]
	v_lshrrev_b32_e32 v64, 3, v42
	v_sub_u32_e32 v63, 29, v65
	v_and_b32_e32 v62, 7, v62
	v_cmp_gt_u32_e32 vcc, 8, v42
	v_cndmask_b32_e32 v42, v64, v63, vcc
	v_cndmask_b32_e32 v50, v50, v62, vcc
	v_lshlrev_b32_e32 v40, 24, v40
	v_lshlrev_b32_e32 v50, 20, v50
	v_and_b32_e32 v40, 0x80000000, v40
	v_lshl_add_u32 v42, v42, 23, v45
	v_or3_b32 v40, v40, v42, v50
	v_lshrrev_b32_e32 v62, 16, v40
.LBB915_301:                            ;   in Loop: Header=BB915_213 Depth=1
	s_or_b64 exec, exec, s[16:17]
.LBB915_302:                            ;   in Loop: Header=BB915_213 Depth=1
	s_or_b64 exec, exec, s[14:15]
.LBB915_303:                            ;   in Loop: Header=BB915_213 Depth=1
	s_or_b64 exec, exec, s[12:13]
	v_cmp_lt_u32_e32 vcc, s22, v38
	v_mov_b32_e32 v50, 0
	v_mov_b32_e32 v63, 0
	s_and_saveexec_b64 s[12:13], vcc
	s_cbranch_execz .LBB915_309
; %bb.304:                              ;   in Loop: Header=BB915_213 Depth=1
	v_lshrrev_b32_e32 v40, 24, v38
	v_cmp_ne_u32_e32 vcc, s9, v40
	v_mov_b32_e32 v63, 0xffff8000
	s_and_saveexec_b64 s[14:15], vcc
	s_cbranch_execz .LBB915_308
; %bb.305:                              ;   in Loop: Header=BB915_213 Depth=1
	v_bfe_u32 v38, v38, 24, 7
	v_cmp_ne_u32_e32 vcc, s21, v38
	v_mov_b32_e32 v63, 0x7f80
	s_and_saveexec_b64 s[16:17], vcc
	s_cbranch_execz .LBB915_307
; %bb.306:                              ;   in Loop: Header=BB915_213 Depth=1
	v_and_b32_e32 v42, 7, v40
	v_ffbh_u32_e32 v64, v42
	v_min_u32_e32 v66, 32, v64
	v_subrev_u32_e32 v64, 28, v66
	v_lshlrev_b64 v[64:65], v64, v[40:41]
	v_lshrrev_b32_e32 v63, 3, v38
	v_sub_u32_e32 v65, 29, v66
	v_and_b32_e32 v64, 7, v64
	v_cmp_gt_u32_e32 vcc, 8, v38
	v_cndmask_b32_e32 v38, v63, v65, vcc
	v_cndmask_b32_e32 v42, v42, v64, vcc
	v_lshlrev_b32_e32 v40, 24, v40
	v_lshlrev_b32_e32 v42, 20, v42
	v_and_b32_e32 v40, 0x80000000, v40
	v_lshl_add_u32 v38, v38, 23, v45
	v_or3_b32 v38, v40, v38, v42
	v_lshrrev_b32_e32 v63, 16, v38
.LBB915_307:                            ;   in Loop: Header=BB915_213 Depth=1
	s_or_b64 exec, exec, s[16:17]
.LBB915_308:                            ;   in Loop: Header=BB915_213 Depth=1
	s_or_b64 exec, exec, s[14:15]
.LBB915_309:                            ;   in Loop: Header=BB915_213 Depth=1
	s_or_b64 exec, exec, s[12:13]
	v_perm_b32 v64, v51, v44, s23
	buffer_load_dword v44, v46, s[0:3], 0 offen
	buffer_load_dword v42, v46, s[0:3], 0 offen offset:4
	buffer_load_dword v40, v46, s[0:3], 0 offen offset:8
	;; [unrolled: 1-line block ×3, first 2 shown]
	v_perm_b32 v65, v60, v52, s23
	v_perm_b32 v63, v63, v62, s23
	;; [unrolled: 1-line block ×3, first 2 shown]
	v_mfma_f32_16x16x16bf16_1k v[34:37], v[64:65], v[6:7], v[34:37]
	s_waitcnt vmcnt(3)
	v_cmp_ne_u16_sdwa s[14:15], v44, v43 src0_sel:BYTE_0 src1_sel:DWORD
	v_mfma_f32_16x16x16bf16_1k v[34:37], v[62:63], v[8:9], v[34:37]
	s_and_saveexec_b64 s[12:13], s[14:15]
	s_cbranch_execz .LBB915_315
; %bb.310:                              ;   in Loop: Header=BB915_213 Depth=1
	v_cmp_ne_u16_sdwa s[16:17], v44, s9 src0_sel:BYTE_0 src1_sel:DWORD
	v_mov_b32_e32 v50, 0xffff8000
	s_and_saveexec_b64 s[14:15], s[16:17]
	s_cbranch_execz .LBB915_314
; %bb.311:                              ;   in Loop: Header=BB915_213 Depth=1
	v_and_b32_e32 v46, 0x7f, v44
	v_cmp_ne_u32_e32 vcc, s21, v46
	v_mov_b32_e32 v50, 0x7f80
	s_and_saveexec_b64 s[16:17], vcc
	s_cbranch_execz .LBB915_313
; %bb.312:                              ;   in Loop: Header=BB915_213 Depth=1
	v_and_b32_e32 v52, 7, v44
	v_ffbh_u32_e32 v50, v52
	v_min_u32_e32 v60, 32, v50
	v_subrev_u32_e32 v50, 28, v60
	v_lshlrev_b64 v[50:51], v50, v[44:45]
	v_lshrrev_b32_e32 v53, 3, v46
	v_sub_u32_e32 v51, 29, v60
	v_and_b32_e32 v50, 7, v50
	v_cmp_gt_u32_e32 vcc, 8, v46
	v_cndmask_b32_e32 v46, v53, v51, vcc
	v_cndmask_b32_e32 v50, v52, v50, vcc
	v_lshlrev_b32_e32 v51, 24, v44
	v_lshlrev_b32_e32 v50, 20, v50
	v_and_b32_e32 v51, 0x80000000, v51
	v_lshl_add_u32 v46, v46, 23, v45
	v_or3_b32 v46, v51, v46, v50
	v_lshrrev_b32_e32 v50, 16, v46
.LBB915_313:                            ;   in Loop: Header=BB915_213 Depth=1
	s_or_b64 exec, exec, s[16:17]
.LBB915_314:                            ;   in Loop: Header=BB915_213 Depth=1
	s_or_b64 exec, exec, s[14:15]
.LBB915_315:                            ;   in Loop: Header=BB915_213 Depth=1
	s_or_b64 exec, exec, s[12:13]
	v_lshrrev_b16_e32 v46, 8, v44
	v_cmp_ne_u16_e32 vcc, 0, v46
	v_mov_b32_e32 v52, 0
	v_mov_b32_e32 v51, 0
	s_and_saveexec_b64 s[12:13], vcc
	s_cbranch_execz .LBB915_321
; %bb.316:                              ;   in Loop: Header=BB915_213 Depth=1
	v_cmp_ne_u16_e32 vcc, s9, v46
	v_mov_b32_e32 v51, 0xffff8000
	s_and_saveexec_b64 s[14:15], vcc
	s_cbranch_execz .LBB915_320
; %bb.317:                              ;   in Loop: Header=BB915_213 Depth=1
	v_and_b32_e32 v53, 0x7f, v46
	v_cmp_ne_u32_e32 vcc, s21, v53
	v_mov_b32_e32 v51, 0x7f80
	s_and_saveexec_b64 s[16:17], vcc
	s_cbranch_execz .LBB915_319
; %bb.318:                              ;   in Loop: Header=BB915_213 Depth=1
	v_and_b32_e32 v51, 7, v46
	v_ffbh_u32_e32 v60, v51
	v_min_u32_e32 v63, 32, v60
	v_subrev_u32_e32 v60, 28, v63
	v_lshlrev_b64 v[60:61], v60, v[46:47]
	v_lshrrev_b32_e32 v62, 3, v53
	v_sub_u32_e32 v46, 29, v63
	v_and_b32_e32 v60, 7, v60
	v_cmp_gt_u32_e32 vcc, 8, v53
	v_cndmask_b32_e32 v46, v62, v46, vcc
	v_cndmask_b32_e32 v51, v51, v60, vcc
	v_lshlrev_b32_e32 v53, 16, v44
	v_lshlrev_b32_e32 v51, 20, v51
	v_and_b32_e32 v53, 0x80000000, v53
	v_lshl_add_u32 v46, v46, 23, v45
	v_or3_b32 v46, v53, v46, v51
	v_lshrrev_b32_e32 v51, 16, v46
.LBB915_319:                            ;   in Loop: Header=BB915_213 Depth=1
	s_or_b64 exec, exec, s[16:17]
.LBB915_320:                            ;   in Loop: Header=BB915_213 Depth=1
	s_or_b64 exec, exec, s[14:15]
.LBB915_321:                            ;   in Loop: Header=BB915_213 Depth=1
	s_or_b64 exec, exec, s[12:13]
	v_lshrrev_b32_e32 v46, 16, v44
	v_cmp_ne_u16_sdwa s[14:15], v46, v43 src0_sel:BYTE_0 src1_sel:DWORD
	s_and_saveexec_b64 s[12:13], s[14:15]
	s_cbranch_execz .LBB915_327
; %bb.322:                              ;   in Loop: Header=BB915_213 Depth=1
	v_cmp_ne_u16_sdwa s[16:17], v46, s9 src0_sel:BYTE_0 src1_sel:DWORD
	v_mov_b32_e32 v52, 0xffff8000
	s_and_saveexec_b64 s[14:15], s[16:17]
	s_cbranch_execz .LBB915_326
; %bb.323:                              ;   in Loop: Header=BB915_213 Depth=1
	v_bfe_u32 v53, v44, 16, 7
	v_cmp_ne_u32_e32 vcc, s21, v53
	v_mov_b32_e32 v52, 0x7f80
	s_and_saveexec_b64 s[16:17], vcc
	s_cbranch_execz .LBB915_325
; %bb.324:                              ;   in Loop: Header=BB915_213 Depth=1
	v_and_b32_e32 v52, 7, v46
	v_ffbh_u32_e32 v60, v52
	v_min_u32_e32 v63, 32, v60
	v_subrev_u32_e32 v60, 28, v63
	v_lshlrev_b64 v[60:61], v60, v[46:47]
	v_lshrrev_b32_e32 v62, 3, v53
	v_sub_u32_e32 v61, 29, v63
	v_and_b32_e32 v60, 7, v60
	v_cmp_gt_u32_e32 vcc, 8, v53
	v_cndmask_b32_e32 v53, v62, v61, vcc
	v_cndmask_b32_e32 v52, v52, v60, vcc
	v_lshlrev_b32_e32 v46, 24, v46
	v_lshlrev_b32_e32 v52, 20, v52
	v_and_b32_e32 v46, 0x80000000, v46
	v_lshl_add_u32 v53, v53, 23, v45
	v_or3_b32 v46, v46, v53, v52
	v_lshrrev_b32_e32 v52, 16, v46
.LBB915_325:                            ;   in Loop: Header=BB915_213 Depth=1
	s_or_b64 exec, exec, s[16:17]
.LBB915_326:                            ;   in Loop: Header=BB915_213 Depth=1
	s_or_b64 exec, exec, s[14:15]
.LBB915_327:                            ;   in Loop: Header=BB915_213 Depth=1
	s_or_b64 exec, exec, s[12:13]
	v_cmp_lt_u32_e32 vcc, s22, v44
	v_mov_b32_e32 v53, 0
	v_mov_b32_e32 v60, 0
	s_and_saveexec_b64 s[12:13], vcc
	s_cbranch_execz .LBB915_333
; %bb.328:                              ;   in Loop: Header=BB915_213 Depth=1
	v_lshrrev_b32_e32 v46, 24, v44
	v_cmp_ne_u32_e32 vcc, s9, v46
	v_mov_b32_e32 v60, 0xffff8000
	s_and_saveexec_b64 s[14:15], vcc
	s_cbranch_execz .LBB915_332
; %bb.329:                              ;   in Loop: Header=BB915_213 Depth=1
	v_bfe_u32 v44, v44, 24, 7
	v_cmp_ne_u32_e32 vcc, s21, v44
	v_mov_b32_e32 v60, 0x7f80
	s_and_saveexec_b64 s[16:17], vcc
	s_cbranch_execz .LBB915_331
; %bb.330:                              ;   in Loop: Header=BB915_213 Depth=1
	v_and_b32_e32 v62, 7, v46
	v_ffbh_u32_e32 v60, v62
	v_min_u32_e32 v64, 32, v60
	v_subrev_u32_e32 v60, 28, v64
	v_lshlrev_b64 v[60:61], v60, v[46:47]
	v_lshrrev_b32_e32 v63, 3, v44
	v_sub_u32_e32 v61, 29, v64
	v_and_b32_e32 v60, 7, v60
	v_cmp_gt_u32_e32 vcc, 8, v44
	v_cndmask_b32_e32 v44, v63, v61, vcc
	v_cndmask_b32_e32 v60, v62, v60, vcc
	v_lshlrev_b32_e32 v46, 24, v46
	v_lshlrev_b32_e32 v60, 20, v60
	v_and_b32_e32 v46, 0x80000000, v46
	v_lshl_add_u32 v44, v44, 23, v45
	v_or3_b32 v44, v46, v44, v60
	v_lshrrev_b32_e32 v60, 16, v44
.LBB915_331:                            ;   in Loop: Header=BB915_213 Depth=1
	s_or_b64 exec, exec, s[16:17]
.LBB915_332:                            ;   in Loop: Header=BB915_213 Depth=1
	s_or_b64 exec, exec, s[14:15]
.LBB915_333:                            ;   in Loop: Header=BB915_213 Depth=1
	s_or_b64 exec, exec, s[12:13]
	s_waitcnt vmcnt(2)
	v_cmp_ne_u16_sdwa s[14:15], v42, v43 src0_sel:BYTE_0 src1_sel:DWORD
	s_and_saveexec_b64 s[12:13], s[14:15]
	s_cbranch_execz .LBB915_339
; %bb.334:                              ;   in Loop: Header=BB915_213 Depth=1
	v_cmp_ne_u16_sdwa s[16:17], v42, s9 src0_sel:BYTE_0 src1_sel:DWORD
	v_mov_b32_e32 v53, 0xffff8000
	s_and_saveexec_b64 s[14:15], s[16:17]
	s_cbranch_execz .LBB915_338
; %bb.335:                              ;   in Loop: Header=BB915_213 Depth=1
	v_and_b32_e32 v44, 0x7f, v42
	v_cmp_ne_u32_e32 vcc, s21, v44
	v_mov_b32_e32 v53, 0x7f80
	s_and_saveexec_b64 s[16:17], vcc
	s_cbranch_execz .LBB915_337
; %bb.336:                              ;   in Loop: Header=BB915_213 Depth=1
	v_and_b32_e32 v46, 7, v42
	v_ffbh_u32_e32 v61, v46
	v_min_u32_e32 v61, 32, v61
	v_subrev_u32_e32 v62, 28, v61
	v_lshlrev_b64 v[62:63], v62, v[42:43]
	v_lshrrev_b32_e32 v53, 3, v44
	v_sub_u32_e32 v61, 29, v61
	v_and_b32_e32 v62, 7, v62
	v_cmp_gt_u32_e32 vcc, 8, v44
	v_cndmask_b32_e32 v44, v53, v61, vcc
	v_cndmask_b32_e32 v46, v46, v62, vcc
	v_lshlrev_b32_e32 v53, 24, v42
	v_lshlrev_b32_e32 v46, 20, v46
	v_and_b32_e32 v53, 0x80000000, v53
	v_lshl_add_u32 v44, v44, 23, v45
	v_or3_b32 v44, v53, v44, v46
	v_lshrrev_b32_e32 v53, 16, v44
.LBB915_337:                            ;   in Loop: Header=BB915_213 Depth=1
	s_or_b64 exec, exec, s[16:17]
.LBB915_338:                            ;   in Loop: Header=BB915_213 Depth=1
	s_or_b64 exec, exec, s[14:15]
.LBB915_339:                            ;   in Loop: Header=BB915_213 Depth=1
	s_or_b64 exec, exec, s[12:13]
	v_lshrrev_b16_e32 v44, 8, v42
	v_cmp_ne_u16_e32 vcc, 0, v44
	v_mov_b32_e32 v62, 0
	v_mov_b32_e32 v61, 0
	s_and_saveexec_b64 s[12:13], vcc
	s_cbranch_execz .LBB915_345
; %bb.340:                              ;   in Loop: Header=BB915_213 Depth=1
	v_cmp_ne_u16_e32 vcc, s9, v44
	v_mov_b32_e32 v61, 0xffff8000
	s_and_saveexec_b64 s[14:15], vcc
	s_cbranch_execz .LBB915_344
; %bb.341:                              ;   in Loop: Header=BB915_213 Depth=1
	v_and_b32_e32 v46, 0x7f, v44
	v_cmp_ne_u32_e32 vcc, s21, v46
	v_mov_b32_e32 v61, 0x7f80
	s_and_saveexec_b64 s[16:17], vcc
	s_cbranch_execz .LBB915_343
; %bb.342:                              ;   in Loop: Header=BB915_213 Depth=1
	v_and_b32_e32 v61, 7, v44
	v_ffbh_u32_e32 v64, v61
	v_min_u32_e32 v66, 32, v64
	v_subrev_u32_e32 v64, 28, v66
	v_lshlrev_b64 v[64:65], v64, v[44:45]
	v_lshrrev_b32_e32 v63, 3, v46
	v_sub_u32_e32 v44, 29, v66
	v_and_b32_e32 v64, 7, v64
	v_cmp_gt_u32_e32 vcc, 8, v46
	v_cndmask_b32_e32 v44, v63, v44, vcc
	v_cndmask_b32_e32 v46, v61, v64, vcc
	v_lshlrev_b32_e32 v61, 16, v42
	v_lshlrev_b32_e32 v46, 20, v46
	v_and_b32_e32 v61, 0x80000000, v61
	v_lshl_add_u32 v44, v44, 23, v45
	v_or3_b32 v44, v61, v44, v46
	v_lshrrev_b32_e32 v61, 16, v44
.LBB915_343:                            ;   in Loop: Header=BB915_213 Depth=1
	s_or_b64 exec, exec, s[16:17]
.LBB915_344:                            ;   in Loop: Header=BB915_213 Depth=1
	s_or_b64 exec, exec, s[14:15]
.LBB915_345:                            ;   in Loop: Header=BB915_213 Depth=1
	s_or_b64 exec, exec, s[12:13]
	v_lshrrev_b32_e32 v44, 16, v42
	v_cmp_ne_u16_sdwa s[14:15], v44, v43 src0_sel:BYTE_0 src1_sel:DWORD
	s_and_saveexec_b64 s[12:13], s[14:15]
	s_cbranch_execz .LBB915_351
; %bb.346:                              ;   in Loop: Header=BB915_213 Depth=1
	v_cmp_ne_u16_sdwa s[16:17], v44, s9 src0_sel:BYTE_0 src1_sel:DWORD
	v_mov_b32_e32 v62, 0xffff8000
	s_and_saveexec_b64 s[14:15], s[16:17]
	s_cbranch_execz .LBB915_350
; %bb.347:                              ;   in Loop: Header=BB915_213 Depth=1
	v_bfe_u32 v46, v42, 16, 7
	v_cmp_ne_u32_e32 vcc, s21, v46
	v_mov_b32_e32 v62, 0x7f80
	s_and_saveexec_b64 s[16:17], vcc
	s_cbranch_execz .LBB915_349
; %bb.348:                              ;   in Loop: Header=BB915_213 Depth=1
	v_and_b32_e32 v64, 7, v44
	v_ffbh_u32_e32 v62, v64
	v_min_u32_e32 v66, 32, v62
	v_subrev_u32_e32 v62, 28, v66
	v_lshlrev_b64 v[62:63], v62, v[44:45]
	v_lshrrev_b32_e32 v65, 3, v46
	v_sub_u32_e32 v63, 29, v66
	v_and_b32_e32 v62, 7, v62
	v_cmp_gt_u32_e32 vcc, 8, v46
	v_cndmask_b32_e32 v46, v65, v63, vcc
	v_cndmask_b32_e32 v62, v64, v62, vcc
	v_lshlrev_b32_e32 v44, 24, v44
	v_lshlrev_b32_e32 v62, 20, v62
	v_and_b32_e32 v44, 0x80000000, v44
	v_lshl_add_u32 v46, v46, 23, v45
	v_or3_b32 v44, v44, v46, v62
	v_lshrrev_b32_e32 v62, 16, v44
.LBB915_349:                            ;   in Loop: Header=BB915_213 Depth=1
	s_or_b64 exec, exec, s[16:17]
.LBB915_350:                            ;   in Loop: Header=BB915_213 Depth=1
	s_or_b64 exec, exec, s[14:15]
.LBB915_351:                            ;   in Loop: Header=BB915_213 Depth=1
	s_or_b64 exec, exec, s[12:13]
	v_cmp_lt_u32_e32 vcc, s22, v42
	v_mov_b32_e32 v46, 0
	v_mov_b32_e32 v63, 0
	s_and_saveexec_b64 s[12:13], vcc
	s_cbranch_execz .LBB915_357
; %bb.352:                              ;   in Loop: Header=BB915_213 Depth=1
	v_lshrrev_b32_e32 v44, 24, v42
	v_cmp_ne_u32_e32 vcc, s9, v44
	v_mov_b32_e32 v63, 0xffff8000
	s_and_saveexec_b64 s[14:15], vcc
	s_cbranch_execz .LBB915_356
; %bb.353:                              ;   in Loop: Header=BB915_213 Depth=1
	v_bfe_u32 v42, v42, 24, 7
	v_cmp_ne_u32_e32 vcc, s21, v42
	v_mov_b32_e32 v63, 0x7f80
	s_and_saveexec_b64 s[16:17], vcc
	s_cbranch_execz .LBB915_355
; %bb.354:                              ;   in Loop: Header=BB915_213 Depth=1
	v_and_b32_e32 v63, 7, v44
	v_ffbh_u32_e32 v64, v63
	v_min_u32_e32 v67, 32, v64
	v_subrev_u32_e32 v64, 28, v67
	v_lshlrev_b64 v[64:65], v64, v[44:45]
	v_lshrrev_b32_e32 v66, 3, v42
	v_sub_u32_e32 v65, 29, v67
	v_and_b32_e32 v64, 7, v64
	v_cmp_gt_u32_e32 vcc, 8, v42
	v_cndmask_b32_e32 v42, v66, v65, vcc
	v_cndmask_b32_e32 v63, v63, v64, vcc
	v_lshlrev_b32_e32 v44, 24, v44
	v_lshlrev_b32_e32 v63, 20, v63
	v_and_b32_e32 v44, 0x80000000, v44
	v_lshl_add_u32 v42, v42, 23, v45
	v_or3_b32 v42, v44, v42, v63
	v_lshrrev_b32_e32 v63, 16, v42
.LBB915_355:                            ;   in Loop: Header=BB915_213 Depth=1
	s_or_b64 exec, exec, s[16:17]
.LBB915_356:                            ;   in Loop: Header=BB915_213 Depth=1
	s_or_b64 exec, exec, s[14:15]
.LBB915_357:                            ;   in Loop: Header=BB915_213 Depth=1
	s_or_b64 exec, exec, s[12:13]
	v_perm_b32 v65, v60, v52, s23
	v_perm_b32 v64, v51, v50, s23
	;; [unrolled: 1-line block ×4, first 2 shown]
	s_waitcnt vmcnt(1)
	v_cmp_ne_u16_sdwa s[14:15], v40, v43 src0_sel:BYTE_0 src1_sel:DWORD
	v_mfma_f32_16x16x16bf16_1k v[34:37], v[64:65], v[10:11], v[34:37]
	v_mfma_f32_16x16x16bf16_1k v[34:37], v[50:51], v[12:13], v[34:37]
	s_and_saveexec_b64 s[12:13], s[14:15]
	s_cbranch_execz .LBB915_363
; %bb.358:                              ;   in Loop: Header=BB915_213 Depth=1
	v_cmp_ne_u16_sdwa s[16:17], v40, s9 src0_sel:BYTE_0 src1_sel:DWORD
	v_mov_b32_e32 v46, 0xffff8000
	s_and_saveexec_b64 s[14:15], s[16:17]
	s_cbranch_execz .LBB915_362
; %bb.359:                              ;   in Loop: Header=BB915_213 Depth=1
	v_and_b32_e32 v42, 0x7f, v40
	v_cmp_ne_u32_e32 vcc, s21, v42
	v_mov_b32_e32 v46, 0x7f80
	s_and_saveexec_b64 s[16:17], vcc
	s_cbranch_execz .LBB915_361
; %bb.360:                              ;   in Loop: Header=BB915_213 Depth=1
	v_and_b32_e32 v44, 7, v40
	v_ffbh_u32_e32 v50, v44
	v_min_u32_e32 v52, 32, v50
	v_subrev_u32_e32 v50, 28, v52
	v_lshlrev_b64 v[50:51], v50, v[40:41]
	v_lshrrev_b32_e32 v46, 3, v42
	v_sub_u32_e32 v51, 29, v52
	v_and_b32_e32 v50, 7, v50
	v_cmp_gt_u32_e32 vcc, 8, v42
	v_cndmask_b32_e32 v42, v46, v51, vcc
	v_cndmask_b32_e32 v44, v44, v50, vcc
	v_lshlrev_b32_e32 v46, 24, v40
	v_lshlrev_b32_e32 v44, 20, v44
	v_and_b32_e32 v46, 0x80000000, v46
	v_lshl_add_u32 v42, v42, 23, v45
	v_or3_b32 v42, v46, v42, v44
	v_lshrrev_b32_e32 v46, 16, v42
.LBB915_361:                            ;   in Loop: Header=BB915_213 Depth=1
	s_or_b64 exec, exec, s[16:17]
.LBB915_362:                            ;   in Loop: Header=BB915_213 Depth=1
	s_or_b64 exec, exec, s[14:15]
.LBB915_363:                            ;   in Loop: Header=BB915_213 Depth=1
	s_or_b64 exec, exec, s[12:13]
	v_lshrrev_b16_e32 v42, 8, v40
	v_cmp_ne_u16_e32 vcc, 0, v42
	v_mov_b32_e32 v51, 0
	v_mov_b32_e32 v44, 0
	s_and_saveexec_b64 s[12:13], vcc
	s_cbranch_execz .LBB915_369
; %bb.364:                              ;   in Loop: Header=BB915_213 Depth=1
	v_cmp_ne_u16_e32 vcc, s9, v42
	v_mov_b32_e32 v44, 0xffff8000
	s_and_saveexec_b64 s[14:15], vcc
	s_cbranch_execz .LBB915_368
; %bb.365:                              ;   in Loop: Header=BB915_213 Depth=1
	v_and_b32_e32 v50, 0x7f, v42
	v_cmp_ne_u32_e32 vcc, s21, v50
	v_mov_b32_e32 v44, 0x7f80
	s_and_saveexec_b64 s[16:17], vcc
	s_cbranch_execz .LBB915_367
; %bb.366:                              ;   in Loop: Header=BB915_213 Depth=1
	v_and_b32_e32 v44, 7, v42
	v_ffbh_u32_e32 v52, v44
	v_min_u32_e32 v61, 32, v52
	v_subrev_u32_e32 v52, 28, v61
	v_lshlrev_b64 v[52:53], v52, v[42:43]
	v_lshrrev_b32_e32 v60, 3, v50
	v_sub_u32_e32 v42, 29, v61
	v_and_b32_e32 v52, 7, v52
	v_cmp_gt_u32_e32 vcc, 8, v50
	v_cndmask_b32_e32 v42, v60, v42, vcc
	v_cndmask_b32_e32 v44, v44, v52, vcc
	v_lshlrev_b32_e32 v50, 16, v40
	v_lshlrev_b32_e32 v44, 20, v44
	v_and_b32_e32 v50, 0x80000000, v50
	v_lshl_add_u32 v42, v42, 23, v45
	v_or3_b32 v42, v50, v42, v44
	v_lshrrev_b32_e32 v44, 16, v42
.LBB915_367:                            ;   in Loop: Header=BB915_213 Depth=1
	s_or_b64 exec, exec, s[16:17]
.LBB915_368:                            ;   in Loop: Header=BB915_213 Depth=1
	s_or_b64 exec, exec, s[14:15]
.LBB915_369:                            ;   in Loop: Header=BB915_213 Depth=1
	s_or_b64 exec, exec, s[12:13]
	v_lshrrev_b32_e32 v42, 16, v40
	v_cmp_ne_u16_sdwa s[14:15], v42, v43 src0_sel:BYTE_0 src1_sel:DWORD
	s_and_saveexec_b64 s[12:13], s[14:15]
	s_cbranch_execz .LBB915_375
; %bb.370:                              ;   in Loop: Header=BB915_213 Depth=1
	v_cmp_ne_u16_sdwa s[16:17], v42, s9 src0_sel:BYTE_0 src1_sel:DWORD
	v_mov_b32_e32 v51, 0xffff8000
	s_and_saveexec_b64 s[14:15], s[16:17]
	s_cbranch_execz .LBB915_374
; %bb.371:                              ;   in Loop: Header=BB915_213 Depth=1
	v_bfe_u32 v50, v40, 16, 7
	v_cmp_ne_u32_e32 vcc, s21, v50
	v_mov_b32_e32 v51, 0x7f80
	s_and_saveexec_b64 s[16:17], vcc
	s_cbranch_execz .LBB915_373
; %bb.372:                              ;   in Loop: Header=BB915_213 Depth=1
	v_and_b32_e32 v51, 7, v42
	v_ffbh_u32_e32 v52, v51
	v_min_u32_e32 v61, 32, v52
	v_subrev_u32_e32 v52, 28, v61
	v_lshlrev_b64 v[52:53], v52, v[42:43]
	v_lshrrev_b32_e32 v60, 3, v50
	v_sub_u32_e32 v53, 29, v61
	v_and_b32_e32 v52, 7, v52
	v_cmp_gt_u32_e32 vcc, 8, v50
	v_cndmask_b32_e32 v50, v60, v53, vcc
	v_cndmask_b32_e32 v51, v51, v52, vcc
	v_lshlrev_b32_e32 v42, 24, v42
	v_lshlrev_b32_e32 v51, 20, v51
	v_and_b32_e32 v42, 0x80000000, v42
	v_lshl_add_u32 v50, v50, 23, v45
	v_or3_b32 v42, v42, v50, v51
	v_lshrrev_b32_e32 v51, 16, v42
.LBB915_373:                            ;   in Loop: Header=BB915_213 Depth=1
	s_or_b64 exec, exec, s[16:17]
.LBB915_374:                            ;   in Loop: Header=BB915_213 Depth=1
	s_or_b64 exec, exec, s[14:15]
.LBB915_375:                            ;   in Loop: Header=BB915_213 Depth=1
	s_or_b64 exec, exec, s[12:13]
	v_cmp_lt_u32_e32 vcc, s22, v40
	v_mov_b32_e32 v52, 0
	v_mov_b32_e32 v53, 0
	s_and_saveexec_b64 s[12:13], vcc
	s_cbranch_execz .LBB915_381
; %bb.376:                              ;   in Loop: Header=BB915_213 Depth=1
	v_lshrrev_b32_e32 v42, 24, v40
	v_cmp_ne_u32_e32 vcc, s9, v42
	v_mov_b32_e32 v53, 0xffff8000
	s_and_saveexec_b64 s[14:15], vcc
	s_cbranch_execz .LBB915_380
; %bb.377:                              ;   in Loop: Header=BB915_213 Depth=1
	v_bfe_u32 v40, v40, 24, 7
	v_cmp_ne_u32_e32 vcc, s21, v40
	v_mov_b32_e32 v53, 0x7f80
	s_and_saveexec_b64 s[16:17], vcc
	s_cbranch_execz .LBB915_379
; %bb.378:                              ;   in Loop: Header=BB915_213 Depth=1
	v_and_b32_e32 v50, 7, v42
	v_ffbh_u32_e32 v60, v50
	v_min_u32_e32 v62, 32, v60
	v_subrev_u32_e32 v60, 28, v62
	v_lshlrev_b64 v[60:61], v60, v[42:43]
	v_lshrrev_b32_e32 v53, 3, v40
	v_sub_u32_e32 v61, 29, v62
	v_and_b32_e32 v60, 7, v60
	v_cmp_gt_u32_e32 vcc, 8, v40
	v_cndmask_b32_e32 v40, v53, v61, vcc
	v_cndmask_b32_e32 v50, v50, v60, vcc
	v_lshlrev_b32_e32 v42, 24, v42
	v_lshlrev_b32_e32 v50, 20, v50
	v_and_b32_e32 v42, 0x80000000, v42
	v_lshl_add_u32 v40, v40, 23, v45
	v_or3_b32 v40, v42, v40, v50
	v_lshrrev_b32_e32 v53, 16, v40
.LBB915_379:                            ;   in Loop: Header=BB915_213 Depth=1
	s_or_b64 exec, exec, s[16:17]
.LBB915_380:                            ;   in Loop: Header=BB915_213 Depth=1
	s_or_b64 exec, exec, s[14:15]
.LBB915_381:                            ;   in Loop: Header=BB915_213 Depth=1
	s_or_b64 exec, exec, s[12:13]
	s_waitcnt vmcnt(0)
	v_cmp_ne_u16_sdwa s[14:15], v38, v43 src0_sel:BYTE_0 src1_sel:DWORD
	s_and_saveexec_b64 s[12:13], s[14:15]
	s_cbranch_execz .LBB915_387
; %bb.382:                              ;   in Loop: Header=BB915_213 Depth=1
	v_cmp_ne_u16_sdwa s[16:17], v38, s9 src0_sel:BYTE_0 src1_sel:DWORD
	v_mov_b32_e32 v52, 0xffff8000
	s_and_saveexec_b64 s[14:15], s[16:17]
	s_cbranch_execz .LBB915_386
; %bb.383:                              ;   in Loop: Header=BB915_213 Depth=1
	v_and_b32_e32 v40, 0x7f, v38
	v_cmp_ne_u32_e32 vcc, s21, v40
	v_mov_b32_e32 v52, 0x7f80
	s_and_saveexec_b64 s[16:17], vcc
	s_cbranch_execz .LBB915_385
; %bb.384:                              ;   in Loop: Header=BB915_213 Depth=1
	v_and_b32_e32 v42, 7, v38
	v_ffbh_u32_e32 v52, v42
	v_min_u32_e32 v52, 32, v52
	v_subrev_u32_e32 v60, 28, v52
	v_lshlrev_b64 v[60:61], v60, v[38:39]
	v_lshrrev_b32_e32 v50, 3, v40
	v_sub_u32_e32 v52, 29, v52
	v_and_b32_e32 v60, 7, v60
	v_cmp_gt_u32_e32 vcc, 8, v40
	v_cndmask_b32_e32 v40, v50, v52, vcc
	v_cndmask_b32_e32 v42, v42, v60, vcc
	v_lshlrev_b32_e32 v50, 24, v38
	v_lshlrev_b32_e32 v42, 20, v42
	v_and_b32_e32 v50, 0x80000000, v50
	v_lshl_add_u32 v40, v40, 23, v45
	v_or3_b32 v40, v50, v40, v42
	v_lshrrev_b32_e32 v52, 16, v40
.LBB915_385:                            ;   in Loop: Header=BB915_213 Depth=1
	s_or_b64 exec, exec, s[16:17]
.LBB915_386:                            ;   in Loop: Header=BB915_213 Depth=1
	s_or_b64 exec, exec, s[14:15]
.LBB915_387:                            ;   in Loop: Header=BB915_213 Depth=1
	s_or_b64 exec, exec, s[12:13]
	v_lshrrev_b16_e32 v40, 8, v38
	v_cmp_ne_u16_e32 vcc, 0, v40
	v_mov_b32_e32 v61, 0
	v_mov_b32_e32 v60, 0
	s_and_saveexec_b64 s[12:13], vcc
	s_cbranch_execz .LBB915_393
; %bb.388:                              ;   in Loop: Header=BB915_213 Depth=1
	v_cmp_ne_u16_e32 vcc, s9, v40
	v_mov_b32_e32 v60, 0xffff8000
	s_and_saveexec_b64 s[14:15], vcc
	s_cbranch_execz .LBB915_392
; %bb.389:                              ;   in Loop: Header=BB915_213 Depth=1
	v_and_b32_e32 v42, 0x7f, v40
	v_cmp_ne_u32_e32 vcc, s21, v42
	v_mov_b32_e32 v60, 0x7f80
	s_and_saveexec_b64 s[16:17], vcc
	s_cbranch_execz .LBB915_391
; %bb.390:                              ;   in Loop: Header=BB915_213 Depth=1
	v_and_b32_e32 v50, 7, v40
	v_ffbh_u32_e32 v62, v50
	v_min_u32_e32 v64, 32, v62
	v_subrev_u32_e32 v62, 28, v64
	v_lshlrev_b64 v[62:63], v62, v[40:41]
	v_lshrrev_b32_e32 v60, 3, v42
	v_sub_u32_e32 v40, 29, v64
	v_and_b32_e32 v62, 7, v62
	v_cmp_gt_u32_e32 vcc, 8, v42
	v_cndmask_b32_e32 v40, v60, v40, vcc
	v_cndmask_b32_e32 v42, v50, v62, vcc
	v_lshlrev_b32_e32 v50, 16, v38
	v_lshlrev_b32_e32 v42, 20, v42
	v_and_b32_e32 v50, 0x80000000, v50
	v_lshl_add_u32 v40, v40, 23, v45
	v_or3_b32 v40, v50, v40, v42
	v_lshrrev_b32_e32 v60, 16, v40
.LBB915_391:                            ;   in Loop: Header=BB915_213 Depth=1
	s_or_b64 exec, exec, s[16:17]
.LBB915_392:                            ;   in Loop: Header=BB915_213 Depth=1
	s_or_b64 exec, exec, s[14:15]
.LBB915_393:                            ;   in Loop: Header=BB915_213 Depth=1
	s_or_b64 exec, exec, s[12:13]
	v_lshrrev_b32_e32 v40, 16, v38
	v_cmp_ne_u16_sdwa s[14:15], v40, v43 src0_sel:BYTE_0 src1_sel:DWORD
	s_and_saveexec_b64 s[12:13], s[14:15]
	s_cbranch_execz .LBB915_399
; %bb.394:                              ;   in Loop: Header=BB915_213 Depth=1
	v_cmp_ne_u16_sdwa s[16:17], v40, s9 src0_sel:BYTE_0 src1_sel:DWORD
	v_mov_b32_e32 v61, 0xffff8000
	s_and_saveexec_b64 s[14:15], s[16:17]
	s_cbranch_execz .LBB915_398
; %bb.395:                              ;   in Loop: Header=BB915_213 Depth=1
	v_bfe_u32 v42, v38, 16, 7
	v_cmp_ne_u32_e32 vcc, s21, v42
	v_mov_b32_e32 v61, 0x7f80
	s_and_saveexec_b64 s[16:17], vcc
	s_cbranch_execz .LBB915_397
; %bb.396:                              ;   in Loop: Header=BB915_213 Depth=1
	v_and_b32_e32 v50, 7, v40
	v_ffbh_u32_e32 v62, v50
	v_min_u32_e32 v64, 32, v62
	v_subrev_u32_e32 v62, 28, v64
	v_lshlrev_b64 v[62:63], v62, v[40:41]
	v_lshrrev_b32_e32 v61, 3, v42
	v_sub_u32_e32 v63, 29, v64
	v_and_b32_e32 v62, 7, v62
	v_cmp_gt_u32_e32 vcc, 8, v42
	v_cndmask_b32_e32 v42, v61, v63, vcc
	v_cndmask_b32_e32 v50, v50, v62, vcc
	v_lshlrev_b32_e32 v40, 24, v40
	v_lshlrev_b32_e32 v50, 20, v50
	v_and_b32_e32 v40, 0x80000000, v40
	v_lshl_add_u32 v42, v42, 23, v45
	v_or3_b32 v40, v40, v42, v50
	v_lshrrev_b32_e32 v61, 16, v40
.LBB915_397:                            ;   in Loop: Header=BB915_213 Depth=1
	s_or_b64 exec, exec, s[16:17]
.LBB915_398:                            ;   in Loop: Header=BB915_213 Depth=1
	s_or_b64 exec, exec, s[14:15]
.LBB915_399:                            ;   in Loop: Header=BB915_213 Depth=1
	s_or_b64 exec, exec, s[12:13]
	v_cmp_lt_u32_e32 vcc, s22, v38
	v_mov_b32_e32 v50, 0
	v_mov_b32_e32 v62, 0
	s_and_saveexec_b64 s[12:13], vcc
	s_cbranch_execz .LBB915_405
; %bb.400:                              ;   in Loop: Header=BB915_213 Depth=1
	v_lshrrev_b32_e32 v40, 24, v38
	v_cmp_ne_u32_e32 vcc, s9, v40
	v_mov_b32_e32 v62, 0xffff8000
	s_and_saveexec_b64 s[14:15], vcc
	s_cbranch_execz .LBB915_404
; %bb.401:                              ;   in Loop: Header=BB915_213 Depth=1
	v_bfe_u32 v38, v38, 24, 7
	v_cmp_ne_u32_e32 vcc, s21, v38
	v_mov_b32_e32 v62, 0x7f80
	s_and_saveexec_b64 s[16:17], vcc
	s_cbranch_execz .LBB915_403
; %bb.402:                              ;   in Loop: Header=BB915_213 Depth=1
	v_and_b32_e32 v42, 7, v40
	v_ffbh_u32_e32 v62, v42
	v_min_u32_e32 v65, 32, v62
	v_subrev_u32_e32 v62, 28, v65
	v_lshlrev_b64 v[62:63], v62, v[40:41]
	v_lshrrev_b32_e32 v64, 3, v38
	v_sub_u32_e32 v63, 29, v65
	v_and_b32_e32 v62, 7, v62
	v_cmp_gt_u32_e32 vcc, 8, v38
	v_cndmask_b32_e32 v38, v64, v63, vcc
	v_cndmask_b32_e32 v42, v42, v62, vcc
	v_lshlrev_b32_e32 v40, 24, v40
	v_lshlrev_b32_e32 v42, 20, v42
	v_and_b32_e32 v40, 0x80000000, v40
	v_lshl_add_u32 v38, v38, 23, v45
	v_or3_b32 v38, v40, v38, v42
	v_lshrrev_b32_e32 v62, 16, v38
.LBB915_403:                            ;   in Loop: Header=BB915_213 Depth=1
	s_or_b64 exec, exec, s[16:17]
.LBB915_404:                            ;   in Loop: Header=BB915_213 Depth=1
	s_or_b64 exec, exec, s[14:15]
.LBB915_405:                            ;   in Loop: Header=BB915_213 Depth=1
	s_or_b64 exec, exec, s[12:13]
	v_perm_b32 v64, v44, v46, s23
	buffer_load_dword v44, v59, s[0:3], 0 offen
	buffer_load_dword v42, v59, s[0:3], 0 offen offset:4
	buffer_load_dword v40, v59, s[0:3], 0 offen offset:8
	buffer_load_dword v38, v59, s[0:3], 0 offen offset:12
	v_perm_b32 v65, v53, v51, s23
	v_perm_b32 v53, v62, v61, s23
	v_perm_b32 v52, v60, v52, s23
	v_mfma_f32_16x16x16bf16_1k v[34:37], v[64:65], v[14:15], v[34:37]
	s_waitcnt vmcnt(3)
	v_cmp_ne_u16_sdwa s[14:15], v44, v43 src0_sel:BYTE_0 src1_sel:DWORD
	v_mfma_f32_16x16x16bf16_1k v[34:37], v[52:53], v[16:17], v[34:37]
	s_and_saveexec_b64 s[12:13], s[14:15]
	s_cbranch_execz .LBB915_411
; %bb.406:                              ;   in Loop: Header=BB915_213 Depth=1
	v_cmp_ne_u16_sdwa s[16:17], v44, s9 src0_sel:BYTE_0 src1_sel:DWORD
	v_mov_b32_e32 v50, 0xffff8000
	s_and_saveexec_b64 s[14:15], s[16:17]
	s_cbranch_execz .LBB915_410
; %bb.407:                              ;   in Loop: Header=BB915_213 Depth=1
	v_and_b32_e32 v46, 0x7f, v44
	v_cmp_ne_u32_e32 vcc, s21, v46
	v_mov_b32_e32 v50, 0x7f80
	s_and_saveexec_b64 s[16:17], vcc
	s_cbranch_execz .LBB915_409
; %bb.408:                              ;   in Loop: Header=BB915_213 Depth=1
	v_and_b32_e32 v52, 7, v44
	v_ffbh_u32_e32 v50, v52
	v_min_u32_e32 v59, 32, v50
	v_subrev_u32_e32 v50, 28, v59
	v_lshlrev_b64 v[50:51], v50, v[44:45]
	v_lshrrev_b32_e32 v53, 3, v46
	v_sub_u32_e32 v51, 29, v59
	v_and_b32_e32 v50, 7, v50
	v_cmp_gt_u32_e32 vcc, 8, v46
	v_cndmask_b32_e32 v46, v53, v51, vcc
	v_cndmask_b32_e32 v50, v52, v50, vcc
	v_lshlrev_b32_e32 v51, 24, v44
	v_lshlrev_b32_e32 v50, 20, v50
	v_and_b32_e32 v51, 0x80000000, v51
	v_lshl_add_u32 v46, v46, 23, v45
	v_or3_b32 v46, v51, v46, v50
	v_lshrrev_b32_e32 v50, 16, v46
.LBB915_409:                            ;   in Loop: Header=BB915_213 Depth=1
	s_or_b64 exec, exec, s[16:17]
.LBB915_410:                            ;   in Loop: Header=BB915_213 Depth=1
	s_or_b64 exec, exec, s[14:15]
.LBB915_411:                            ;   in Loop: Header=BB915_213 Depth=1
	s_or_b64 exec, exec, s[12:13]
	v_lshrrev_b16_e32 v46, 8, v44
	v_cmp_ne_u16_e32 vcc, 0, v46
	v_mov_b32_e32 v52, 0
	v_mov_b32_e32 v51, 0
	s_and_saveexec_b64 s[12:13], vcc
	s_cbranch_execz .LBB915_417
; %bb.412:                              ;   in Loop: Header=BB915_213 Depth=1
	v_cmp_ne_u16_e32 vcc, s9, v46
	v_mov_b32_e32 v51, 0xffff8000
	s_and_saveexec_b64 s[14:15], vcc
	s_cbranch_execz .LBB915_416
; %bb.413:                              ;   in Loop: Header=BB915_213 Depth=1
	v_and_b32_e32 v53, 0x7f, v46
	v_cmp_ne_u32_e32 vcc, s21, v53
	v_mov_b32_e32 v51, 0x7f80
	s_and_saveexec_b64 s[16:17], vcc
	s_cbranch_execz .LBB915_415
; %bb.414:                              ;   in Loop: Header=BB915_213 Depth=1
	v_and_b32_e32 v51, 7, v46
	v_ffbh_u32_e32 v60, v51
	v_min_u32_e32 v62, 32, v60
	v_subrev_u32_e32 v60, 28, v62
	v_lshlrev_b64 v[60:61], v60, v[46:47]
	v_lshrrev_b32_e32 v59, 3, v53
	v_sub_u32_e32 v46, 29, v62
	v_and_b32_e32 v60, 7, v60
	v_cmp_gt_u32_e32 vcc, 8, v53
	v_cndmask_b32_e32 v46, v59, v46, vcc
	v_cndmask_b32_e32 v51, v51, v60, vcc
	v_lshlrev_b32_e32 v53, 16, v44
	v_lshlrev_b32_e32 v51, 20, v51
	v_and_b32_e32 v53, 0x80000000, v53
	v_lshl_add_u32 v46, v46, 23, v45
	v_or3_b32 v46, v53, v46, v51
	v_lshrrev_b32_e32 v51, 16, v46
.LBB915_415:                            ;   in Loop: Header=BB915_213 Depth=1
	s_or_b64 exec, exec, s[16:17]
.LBB915_416:                            ;   in Loop: Header=BB915_213 Depth=1
	s_or_b64 exec, exec, s[14:15]
.LBB915_417:                            ;   in Loop: Header=BB915_213 Depth=1
	s_or_b64 exec, exec, s[12:13]
	v_lshrrev_b32_e32 v46, 16, v44
	v_cmp_ne_u16_sdwa s[14:15], v46, v43 src0_sel:BYTE_0 src1_sel:DWORD
	s_and_saveexec_b64 s[12:13], s[14:15]
	s_cbranch_execz .LBB915_423
; %bb.418:                              ;   in Loop: Header=BB915_213 Depth=1
	v_cmp_ne_u16_sdwa s[16:17], v46, s9 src0_sel:BYTE_0 src1_sel:DWORD
	v_mov_b32_e32 v52, 0xffff8000
	s_and_saveexec_b64 s[14:15], s[16:17]
	s_cbranch_execz .LBB915_422
; %bb.419:                              ;   in Loop: Header=BB915_213 Depth=1
	v_bfe_u32 v53, v44, 16, 7
	v_cmp_ne_u32_e32 vcc, s21, v53
	v_mov_b32_e32 v52, 0x7f80
	s_and_saveexec_b64 s[16:17], vcc
	s_cbranch_execz .LBB915_421
; %bb.420:                              ;   in Loop: Header=BB915_213 Depth=1
	v_and_b32_e32 v52, 7, v46
	v_ffbh_u32_e32 v60, v52
	v_min_u32_e32 v62, 32, v60
	v_subrev_u32_e32 v60, 28, v62
	v_lshlrev_b64 v[60:61], v60, v[46:47]
	v_lshrrev_b32_e32 v59, 3, v53
	v_sub_u32_e32 v61, 29, v62
	v_and_b32_e32 v60, 7, v60
	v_cmp_gt_u32_e32 vcc, 8, v53
	v_cndmask_b32_e32 v53, v59, v61, vcc
	v_cndmask_b32_e32 v52, v52, v60, vcc
	v_lshlrev_b32_e32 v46, 24, v46
	v_lshlrev_b32_e32 v52, 20, v52
	v_and_b32_e32 v46, 0x80000000, v46
	v_lshl_add_u32 v53, v53, 23, v45
	v_or3_b32 v46, v46, v53, v52
	v_lshrrev_b32_e32 v52, 16, v46
.LBB915_421:                            ;   in Loop: Header=BB915_213 Depth=1
	s_or_b64 exec, exec, s[16:17]
.LBB915_422:                            ;   in Loop: Header=BB915_213 Depth=1
	s_or_b64 exec, exec, s[14:15]
.LBB915_423:                            ;   in Loop: Header=BB915_213 Depth=1
	s_or_b64 exec, exec, s[12:13]
	v_cmp_lt_u32_e32 vcc, s22, v44
	v_mov_b32_e32 v53, 0
	v_mov_b32_e32 v59, 0
	s_and_saveexec_b64 s[12:13], vcc
	s_cbranch_execz .LBB915_429
; %bb.424:                              ;   in Loop: Header=BB915_213 Depth=1
	v_lshrrev_b32_e32 v46, 24, v44
	v_cmp_ne_u32_e32 vcc, s9, v46
	v_mov_b32_e32 v59, 0xffff8000
	s_and_saveexec_b64 s[14:15], vcc
	s_cbranch_execz .LBB915_428
; %bb.425:                              ;   in Loop: Header=BB915_213 Depth=1
	v_bfe_u32 v44, v44, 24, 7
	v_cmp_ne_u32_e32 vcc, s21, v44
	v_mov_b32_e32 v59, 0x7f80
	s_and_saveexec_b64 s[16:17], vcc
	s_cbranch_execz .LBB915_427
; %bb.426:                              ;   in Loop: Header=BB915_213 Depth=1
	v_and_b32_e32 v59, 7, v46
	v_ffbh_u32_e32 v60, v59
	v_min_u32_e32 v63, 32, v60
	v_subrev_u32_e32 v60, 28, v63
	v_lshlrev_b64 v[60:61], v60, v[46:47]
	v_lshrrev_b32_e32 v62, 3, v44
	v_sub_u32_e32 v61, 29, v63
	v_and_b32_e32 v60, 7, v60
	v_cmp_gt_u32_e32 vcc, 8, v44
	v_cndmask_b32_e32 v44, v62, v61, vcc
	v_cndmask_b32_e32 v59, v59, v60, vcc
	v_lshlrev_b32_e32 v46, 24, v46
	v_lshlrev_b32_e32 v59, 20, v59
	v_and_b32_e32 v46, 0x80000000, v46
	v_lshl_add_u32 v44, v44, 23, v45
	v_or3_b32 v44, v46, v44, v59
	v_lshrrev_b32_e32 v59, 16, v44
.LBB915_427:                            ;   in Loop: Header=BB915_213 Depth=1
	s_or_b64 exec, exec, s[16:17]
.LBB915_428:                            ;   in Loop: Header=BB915_213 Depth=1
	s_or_b64 exec, exec, s[14:15]
.LBB915_429:                            ;   in Loop: Header=BB915_213 Depth=1
	s_or_b64 exec, exec, s[12:13]
	s_waitcnt vmcnt(2)
	v_cmp_ne_u16_sdwa s[14:15], v42, v43 src0_sel:BYTE_0 src1_sel:DWORD
	s_and_saveexec_b64 s[12:13], s[14:15]
	s_cbranch_execz .LBB915_435
; %bb.430:                              ;   in Loop: Header=BB915_213 Depth=1
	v_cmp_ne_u16_sdwa s[16:17], v42, s9 src0_sel:BYTE_0 src1_sel:DWORD
	v_mov_b32_e32 v53, 0xffff8000
	s_and_saveexec_b64 s[14:15], s[16:17]
	s_cbranch_execz .LBB915_434
; %bb.431:                              ;   in Loop: Header=BB915_213 Depth=1
	v_and_b32_e32 v44, 0x7f, v42
	v_cmp_ne_u32_e32 vcc, s21, v44
	v_mov_b32_e32 v53, 0x7f80
	s_and_saveexec_b64 s[16:17], vcc
	s_cbranch_execz .LBB915_433
; %bb.432:                              ;   in Loop: Header=BB915_213 Depth=1
	v_and_b32_e32 v46, 7, v42
	v_ffbh_u32_e32 v60, v46
	v_min_u32_e32 v62, 32, v60
	v_subrev_u32_e32 v60, 28, v62
	v_lshlrev_b64 v[60:61], v60, v[42:43]
	v_lshrrev_b32_e32 v53, 3, v44
	v_sub_u32_e32 v61, 29, v62
	v_and_b32_e32 v60, 7, v60
	v_cmp_gt_u32_e32 vcc, 8, v44
	v_cndmask_b32_e32 v44, v53, v61, vcc
	v_cndmask_b32_e32 v46, v46, v60, vcc
	v_lshlrev_b32_e32 v53, 24, v42
	v_lshlrev_b32_e32 v46, 20, v46
	v_and_b32_e32 v53, 0x80000000, v53
	v_lshl_add_u32 v44, v44, 23, v45
	v_or3_b32 v44, v53, v44, v46
	v_lshrrev_b32_e32 v53, 16, v44
.LBB915_433:                            ;   in Loop: Header=BB915_213 Depth=1
	s_or_b64 exec, exec, s[16:17]
.LBB915_434:                            ;   in Loop: Header=BB915_213 Depth=1
	s_or_b64 exec, exec, s[14:15]
.LBB915_435:                            ;   in Loop: Header=BB915_213 Depth=1
	s_or_b64 exec, exec, s[12:13]
	v_lshrrev_b16_e32 v44, 8, v42
	v_cmp_ne_u16_e32 vcc, 0, v44
	v_mov_b32_e32 v61, 0
	v_mov_b32_e32 v60, 0
	s_and_saveexec_b64 s[12:13], vcc
	s_cbranch_execz .LBB915_441
; %bb.436:                              ;   in Loop: Header=BB915_213 Depth=1
	v_cmp_ne_u16_e32 vcc, s9, v44
	v_mov_b32_e32 v60, 0xffff8000
	s_and_saveexec_b64 s[14:15], vcc
	s_cbranch_execz .LBB915_440
; %bb.437:                              ;   in Loop: Header=BB915_213 Depth=1
	v_and_b32_e32 v46, 0x7f, v44
	v_cmp_ne_u32_e32 vcc, s21, v46
	v_mov_b32_e32 v60, 0x7f80
	s_and_saveexec_b64 s[16:17], vcc
	s_cbranch_execz .LBB915_439
; %bb.438:                              ;   in Loop: Header=BB915_213 Depth=1
	v_and_b32_e32 v60, 7, v44
	v_ffbh_u32_e32 v62, v60
	v_min_u32_e32 v65, 32, v62
	v_subrev_u32_e32 v62, 28, v65
	v_lshlrev_b64 v[62:63], v62, v[44:45]
	v_lshrrev_b32_e32 v64, 3, v46
	v_sub_u32_e32 v44, 29, v65
	v_and_b32_e32 v62, 7, v62
	v_cmp_gt_u32_e32 vcc, 8, v46
	v_cndmask_b32_e32 v44, v64, v44, vcc
	v_cndmask_b32_e32 v46, v60, v62, vcc
	v_lshlrev_b32_e32 v60, 16, v42
	v_lshlrev_b32_e32 v46, 20, v46
	v_and_b32_e32 v60, 0x80000000, v60
	v_lshl_add_u32 v44, v44, 23, v45
	v_or3_b32 v44, v60, v44, v46
	v_lshrrev_b32_e32 v60, 16, v44
.LBB915_439:                            ;   in Loop: Header=BB915_213 Depth=1
	s_or_b64 exec, exec, s[16:17]
.LBB915_440:                            ;   in Loop: Header=BB915_213 Depth=1
	s_or_b64 exec, exec, s[14:15]
.LBB915_441:                            ;   in Loop: Header=BB915_213 Depth=1
	s_or_b64 exec, exec, s[12:13]
	v_lshrrev_b32_e32 v44, 16, v42
	v_cmp_ne_u16_sdwa s[14:15], v44, v43 src0_sel:BYTE_0 src1_sel:DWORD
	s_and_saveexec_b64 s[12:13], s[14:15]
	s_cbranch_execz .LBB915_447
; %bb.442:                              ;   in Loop: Header=BB915_213 Depth=1
	v_cmp_ne_u16_sdwa s[16:17], v44, s9 src0_sel:BYTE_0 src1_sel:DWORD
	v_mov_b32_e32 v61, 0xffff8000
	s_and_saveexec_b64 s[14:15], s[16:17]
	s_cbranch_execz .LBB915_446
; %bb.443:                              ;   in Loop: Header=BB915_213 Depth=1
	v_bfe_u32 v46, v42, 16, 7
	v_cmp_ne_u32_e32 vcc, s21, v46
	v_mov_b32_e32 v61, 0x7f80
	s_and_saveexec_b64 s[16:17], vcc
	s_cbranch_execz .LBB915_445
; %bb.444:                              ;   in Loop: Header=BB915_213 Depth=1
	v_and_b32_e32 v61, 7, v44
	v_ffbh_u32_e32 v62, v61
	v_min_u32_e32 v65, 32, v62
	v_subrev_u32_e32 v62, 28, v65
	v_lshlrev_b64 v[62:63], v62, v[44:45]
	v_lshrrev_b32_e32 v64, 3, v46
	v_sub_u32_e32 v63, 29, v65
	v_and_b32_e32 v62, 7, v62
	v_cmp_gt_u32_e32 vcc, 8, v46
	v_cndmask_b32_e32 v46, v64, v63, vcc
	v_cndmask_b32_e32 v61, v61, v62, vcc
	v_lshlrev_b32_e32 v44, 24, v44
	v_lshlrev_b32_e32 v61, 20, v61
	v_and_b32_e32 v44, 0x80000000, v44
	v_lshl_add_u32 v46, v46, 23, v45
	v_or3_b32 v44, v44, v46, v61
	v_lshrrev_b32_e32 v61, 16, v44
.LBB915_445:                            ;   in Loop: Header=BB915_213 Depth=1
	s_or_b64 exec, exec, s[16:17]
.LBB915_446:                            ;   in Loop: Header=BB915_213 Depth=1
	s_or_b64 exec, exec, s[14:15]
.LBB915_447:                            ;   in Loop: Header=BB915_213 Depth=1
	s_or_b64 exec, exec, s[12:13]
	v_cmp_lt_u32_e32 vcc, s22, v42
	v_mov_b32_e32 v46, 0
	v_mov_b32_e32 v62, 0
	s_and_saveexec_b64 s[12:13], vcc
	s_cbranch_execz .LBB915_453
; %bb.448:                              ;   in Loop: Header=BB915_213 Depth=1
	v_lshrrev_b32_e32 v44, 24, v42
	v_cmp_ne_u32_e32 vcc, s9, v44
	v_mov_b32_e32 v62, 0xffff8000
	s_and_saveexec_b64 s[14:15], vcc
	s_cbranch_execz .LBB915_452
; %bb.449:                              ;   in Loop: Header=BB915_213 Depth=1
	v_bfe_u32 v42, v42, 24, 7
	v_cmp_ne_u32_e32 vcc, s21, v42
	v_mov_b32_e32 v62, 0x7f80
	s_and_saveexec_b64 s[16:17], vcc
	s_cbranch_execz .LBB915_451
; %bb.450:                              ;   in Loop: Header=BB915_213 Depth=1
	v_and_b32_e32 v64, 7, v44
	v_ffbh_u32_e32 v62, v64
	v_min_u32_e32 v66, 32, v62
	v_subrev_u32_e32 v62, 28, v66
	v_lshlrev_b64 v[62:63], v62, v[44:45]
	v_lshrrev_b32_e32 v65, 3, v42
	v_sub_u32_e32 v63, 29, v66
	v_and_b32_e32 v62, 7, v62
	v_cmp_gt_u32_e32 vcc, 8, v42
	v_cndmask_b32_e32 v42, v65, v63, vcc
	v_cndmask_b32_e32 v62, v64, v62, vcc
	v_lshlrev_b32_e32 v44, 24, v44
	v_lshlrev_b32_e32 v62, 20, v62
	v_and_b32_e32 v44, 0x80000000, v44
	v_lshl_add_u32 v42, v42, 23, v45
	v_or3_b32 v42, v44, v42, v62
	v_lshrrev_b32_e32 v62, 16, v42
.LBB915_451:                            ;   in Loop: Header=BB915_213 Depth=1
	s_or_b64 exec, exec, s[16:17]
.LBB915_452:                            ;   in Loop: Header=BB915_213 Depth=1
	s_or_b64 exec, exec, s[14:15]
.LBB915_453:                            ;   in Loop: Header=BB915_213 Depth=1
	s_or_b64 exec, exec, s[12:13]
	v_perm_b32 v65, v59, v52, s23
	v_perm_b32 v64, v51, v50, s23
	v_perm_b32 v51, v62, v61, s23
	v_perm_b32 v50, v60, v53, s23
	s_waitcnt vmcnt(1)
	v_cmp_ne_u16_sdwa s[14:15], v40, v43 src0_sel:BYTE_0 src1_sel:DWORD
	v_mfma_f32_16x16x16bf16_1k v[34:37], v[64:65], v[18:19], v[34:37]
	v_mfma_f32_16x16x16bf16_1k v[34:37], v[50:51], v[20:21], v[34:37]
	s_and_saveexec_b64 s[12:13], s[14:15]
	s_cbranch_execz .LBB915_459
; %bb.454:                              ;   in Loop: Header=BB915_213 Depth=1
	v_cmp_ne_u16_sdwa s[16:17], v40, s9 src0_sel:BYTE_0 src1_sel:DWORD
	v_mov_b32_e32 v46, 0xffff8000
	s_and_saveexec_b64 s[14:15], s[16:17]
	s_cbranch_execz .LBB915_458
; %bb.455:                              ;   in Loop: Header=BB915_213 Depth=1
	v_and_b32_e32 v42, 0x7f, v40
	v_cmp_ne_u32_e32 vcc, s21, v42
	v_mov_b32_e32 v46, 0x7f80
	s_and_saveexec_b64 s[16:17], vcc
	s_cbranch_execz .LBB915_457
; %bb.456:                              ;   in Loop: Header=BB915_213 Depth=1
	v_and_b32_e32 v44, 7, v40
	v_ffbh_u32_e32 v50, v44
	v_min_u32_e32 v52, 32, v50
	v_subrev_u32_e32 v50, 28, v52
	v_lshlrev_b64 v[50:51], v50, v[40:41]
	v_lshrrev_b32_e32 v46, 3, v42
	v_sub_u32_e32 v51, 29, v52
	v_and_b32_e32 v50, 7, v50
	v_cmp_gt_u32_e32 vcc, 8, v42
	v_cndmask_b32_e32 v42, v46, v51, vcc
	v_cndmask_b32_e32 v44, v44, v50, vcc
	v_lshlrev_b32_e32 v46, 24, v40
	v_lshlrev_b32_e32 v44, 20, v44
	v_and_b32_e32 v46, 0x80000000, v46
	v_lshl_add_u32 v42, v42, 23, v45
	v_or3_b32 v42, v46, v42, v44
	v_lshrrev_b32_e32 v46, 16, v42
.LBB915_457:                            ;   in Loop: Header=BB915_213 Depth=1
	s_or_b64 exec, exec, s[16:17]
.LBB915_458:                            ;   in Loop: Header=BB915_213 Depth=1
	s_or_b64 exec, exec, s[14:15]
.LBB915_459:                            ;   in Loop: Header=BB915_213 Depth=1
	s_or_b64 exec, exec, s[12:13]
	v_lshrrev_b16_e32 v42, 8, v40
	v_cmp_ne_u16_e32 vcc, 0, v42
	v_mov_b32_e32 v51, 0
	v_mov_b32_e32 v44, 0
	s_and_saveexec_b64 s[12:13], vcc
	s_cbranch_execz .LBB915_465
; %bb.460:                              ;   in Loop: Header=BB915_213 Depth=1
	v_cmp_ne_u16_e32 vcc, s9, v42
	v_mov_b32_e32 v44, 0xffff8000
	s_and_saveexec_b64 s[14:15], vcc
	s_cbranch_execz .LBB915_464
; %bb.461:                              ;   in Loop: Header=BB915_213 Depth=1
	v_and_b32_e32 v50, 0x7f, v42
	v_cmp_ne_u32_e32 vcc, s21, v50
	v_mov_b32_e32 v44, 0x7f80
	s_and_saveexec_b64 s[16:17], vcc
	s_cbranch_execz .LBB915_463
; %bb.462:                              ;   in Loop: Header=BB915_213 Depth=1
	v_and_b32_e32 v44, 7, v42
	v_ffbh_u32_e32 v52, v44
	v_min_u32_e32 v60, 32, v52
	v_subrev_u32_e32 v52, 28, v60
	v_lshlrev_b64 v[52:53], v52, v[42:43]
	v_lshrrev_b32_e32 v59, 3, v50
	v_sub_u32_e32 v42, 29, v60
	v_and_b32_e32 v52, 7, v52
	v_cmp_gt_u32_e32 vcc, 8, v50
	v_cndmask_b32_e32 v42, v59, v42, vcc
	v_cndmask_b32_e32 v44, v44, v52, vcc
	v_lshlrev_b32_e32 v50, 16, v40
	v_lshlrev_b32_e32 v44, 20, v44
	v_and_b32_e32 v50, 0x80000000, v50
	v_lshl_add_u32 v42, v42, 23, v45
	v_or3_b32 v42, v50, v42, v44
	v_lshrrev_b32_e32 v44, 16, v42
.LBB915_463:                            ;   in Loop: Header=BB915_213 Depth=1
	s_or_b64 exec, exec, s[16:17]
.LBB915_464:                            ;   in Loop: Header=BB915_213 Depth=1
	s_or_b64 exec, exec, s[14:15]
.LBB915_465:                            ;   in Loop: Header=BB915_213 Depth=1
	s_or_b64 exec, exec, s[12:13]
	v_lshrrev_b32_e32 v42, 16, v40
	v_cmp_ne_u16_sdwa s[14:15], v42, v43 src0_sel:BYTE_0 src1_sel:DWORD
	s_and_saveexec_b64 s[12:13], s[14:15]
	s_cbranch_execz .LBB915_471
; %bb.466:                              ;   in Loop: Header=BB915_213 Depth=1
	v_cmp_ne_u16_sdwa s[16:17], v42, s9 src0_sel:BYTE_0 src1_sel:DWORD
	v_mov_b32_e32 v51, 0xffff8000
	s_and_saveexec_b64 s[14:15], s[16:17]
	s_cbranch_execz .LBB915_470
; %bb.467:                              ;   in Loop: Header=BB915_213 Depth=1
	v_bfe_u32 v50, v40, 16, 7
	v_cmp_ne_u32_e32 vcc, s21, v50
	v_mov_b32_e32 v51, 0x7f80
	s_and_saveexec_b64 s[16:17], vcc
	s_cbranch_execz .LBB915_469
; %bb.468:                              ;   in Loop: Header=BB915_213 Depth=1
	v_and_b32_e32 v51, 7, v42
	v_ffbh_u32_e32 v52, v51
	v_min_u32_e32 v60, 32, v52
	v_subrev_u32_e32 v52, 28, v60
	v_lshlrev_b64 v[52:53], v52, v[42:43]
	v_lshrrev_b32_e32 v59, 3, v50
	v_sub_u32_e32 v53, 29, v60
	v_and_b32_e32 v52, 7, v52
	v_cmp_gt_u32_e32 vcc, 8, v50
	v_cndmask_b32_e32 v50, v59, v53, vcc
	v_cndmask_b32_e32 v51, v51, v52, vcc
	v_lshlrev_b32_e32 v42, 24, v42
	v_lshlrev_b32_e32 v51, 20, v51
	v_and_b32_e32 v42, 0x80000000, v42
	v_lshl_add_u32 v50, v50, 23, v45
	v_or3_b32 v42, v42, v50, v51
	v_lshrrev_b32_e32 v51, 16, v42
.LBB915_469:                            ;   in Loop: Header=BB915_213 Depth=1
	s_or_b64 exec, exec, s[16:17]
.LBB915_470:                            ;   in Loop: Header=BB915_213 Depth=1
	s_or_b64 exec, exec, s[14:15]
.LBB915_471:                            ;   in Loop: Header=BB915_213 Depth=1
	s_or_b64 exec, exec, s[12:13]
	v_cmp_lt_u32_e32 vcc, s22, v40
	v_mov_b32_e32 v52, 0
	v_mov_b32_e32 v53, 0
	s_and_saveexec_b64 s[12:13], vcc
	s_cbranch_execz .LBB915_477
; %bb.472:                              ;   in Loop: Header=BB915_213 Depth=1
	v_lshrrev_b32_e32 v42, 24, v40
	v_cmp_ne_u32_e32 vcc, s9, v42
	v_mov_b32_e32 v53, 0xffff8000
	s_and_saveexec_b64 s[14:15], vcc
	s_cbranch_execz .LBB915_476
; %bb.473:                              ;   in Loop: Header=BB915_213 Depth=1
	v_bfe_u32 v40, v40, 24, 7
	v_cmp_ne_u32_e32 vcc, s21, v40
	v_mov_b32_e32 v53, 0x7f80
	s_and_saveexec_b64 s[16:17], vcc
	s_cbranch_execz .LBB915_475
; %bb.474:                              ;   in Loop: Header=BB915_213 Depth=1
	v_and_b32_e32 v50, 7, v42
	v_ffbh_u32_e32 v59, v50
	v_min_u32_e32 v59, 32, v59
	v_subrev_u32_e32 v60, 28, v59
	v_lshlrev_b64 v[60:61], v60, v[42:43]
	v_lshrrev_b32_e32 v53, 3, v40
	v_sub_u32_e32 v59, 29, v59
	v_and_b32_e32 v60, 7, v60
	v_cmp_gt_u32_e32 vcc, 8, v40
	v_cndmask_b32_e32 v40, v53, v59, vcc
	v_cndmask_b32_e32 v50, v50, v60, vcc
	v_lshlrev_b32_e32 v42, 24, v42
	v_lshlrev_b32_e32 v50, 20, v50
	v_and_b32_e32 v42, 0x80000000, v42
	v_lshl_add_u32 v40, v40, 23, v45
	v_or3_b32 v40, v42, v40, v50
	v_lshrrev_b32_e32 v53, 16, v40
.LBB915_475:                            ;   in Loop: Header=BB915_213 Depth=1
	s_or_b64 exec, exec, s[16:17]
.LBB915_476:                            ;   in Loop: Header=BB915_213 Depth=1
	s_or_b64 exec, exec, s[14:15]
.LBB915_477:                            ;   in Loop: Header=BB915_213 Depth=1
	s_or_b64 exec, exec, s[12:13]
	s_waitcnt vmcnt(0)
	v_cmp_ne_u16_sdwa s[14:15], v38, v43 src0_sel:BYTE_0 src1_sel:DWORD
	s_and_saveexec_b64 s[12:13], s[14:15]
	s_cbranch_execz .LBB915_483
; %bb.478:                              ;   in Loop: Header=BB915_213 Depth=1
	v_cmp_ne_u16_sdwa s[16:17], v38, s9 src0_sel:BYTE_0 src1_sel:DWORD
	v_mov_b32_e32 v52, 0xffff8000
	s_and_saveexec_b64 s[14:15], s[16:17]
	s_cbranch_execz .LBB915_482
; %bb.479:                              ;   in Loop: Header=BB915_213 Depth=1
	v_and_b32_e32 v40, 0x7f, v38
	v_cmp_ne_u32_e32 vcc, s21, v40
	v_mov_b32_e32 v52, 0x7f80
	s_and_saveexec_b64 s[16:17], vcc
	s_cbranch_execz .LBB915_481
; %bb.480:                              ;   in Loop: Header=BB915_213 Depth=1
	v_and_b32_e32 v42, 7, v38
	v_ffbh_u32_e32 v52, v42
	v_min_u32_e32 v52, 32, v52
	v_subrev_u32_e32 v59, 28, v52
	v_lshlrev_b64 v[60:61], v59, v[38:39]
	v_lshrrev_b32_e32 v50, 3, v40
	v_sub_u32_e32 v52, 29, v52
	v_and_b32_e32 v59, 7, v60
	v_cmp_gt_u32_e32 vcc, 8, v40
	v_cndmask_b32_e32 v40, v50, v52, vcc
	v_cndmask_b32_e32 v42, v42, v59, vcc
	v_lshlrev_b32_e32 v50, 24, v38
	v_lshlrev_b32_e32 v42, 20, v42
	v_and_b32_e32 v50, 0x80000000, v50
	v_lshl_add_u32 v40, v40, 23, v45
	v_or3_b32 v40, v50, v40, v42
	v_lshrrev_b32_e32 v52, 16, v40
.LBB915_481:                            ;   in Loop: Header=BB915_213 Depth=1
	s_or_b64 exec, exec, s[16:17]
.LBB915_482:                            ;   in Loop: Header=BB915_213 Depth=1
	s_or_b64 exec, exec, s[14:15]
.LBB915_483:                            ;   in Loop: Header=BB915_213 Depth=1
	s_or_b64 exec, exec, s[12:13]
	v_lshrrev_b16_e32 v40, 8, v38
	v_cmp_ne_u16_e32 vcc, 0, v40
	v_mov_b32_e32 v60, 0
	v_mov_b32_e32 v59, 0
	s_and_saveexec_b64 s[12:13], vcc
	s_cbranch_execz .LBB915_489
; %bb.484:                              ;   in Loop: Header=BB915_213 Depth=1
	v_cmp_ne_u16_e32 vcc, s9, v40
	v_mov_b32_e32 v59, 0xffff8000
	s_and_saveexec_b64 s[14:15], vcc
	s_cbranch_execz .LBB915_488
; %bb.485:                              ;   in Loop: Header=BB915_213 Depth=1
	v_and_b32_e32 v42, 0x7f, v40
	v_cmp_ne_u32_e32 vcc, s21, v42
	v_mov_b32_e32 v59, 0x7f80
	s_and_saveexec_b64 s[16:17], vcc
	s_cbranch_execz .LBB915_487
; %bb.486:                              ;   in Loop: Header=BB915_213 Depth=1
	v_and_b32_e32 v50, 7, v40
	v_ffbh_u32_e32 v61, v50
	v_min_u32_e32 v61, 32, v61
	v_subrev_u32_e32 v62, 28, v61
	v_lshlrev_b64 v[62:63], v62, v[40:41]
	v_lshrrev_b32_e32 v59, 3, v42
	v_sub_u32_e32 v40, 29, v61
	v_and_b32_e32 v61, 7, v62
	v_cmp_gt_u32_e32 vcc, 8, v42
	v_cndmask_b32_e32 v40, v59, v40, vcc
	v_cndmask_b32_e32 v42, v50, v61, vcc
	v_lshlrev_b32_e32 v50, 16, v38
	v_lshlrev_b32_e32 v42, 20, v42
	v_and_b32_e32 v50, 0x80000000, v50
	v_lshl_add_u32 v40, v40, 23, v45
	v_or3_b32 v40, v50, v40, v42
	v_lshrrev_b32_e32 v59, 16, v40
.LBB915_487:                            ;   in Loop: Header=BB915_213 Depth=1
	s_or_b64 exec, exec, s[16:17]
.LBB915_488:                            ;   in Loop: Header=BB915_213 Depth=1
	s_or_b64 exec, exec, s[14:15]
.LBB915_489:                            ;   in Loop: Header=BB915_213 Depth=1
	s_or_b64 exec, exec, s[12:13]
	v_lshrrev_b32_e32 v40, 16, v38
	v_cmp_ne_u16_sdwa s[14:15], v40, v43 src0_sel:BYTE_0 src1_sel:DWORD
	s_and_saveexec_b64 s[12:13], s[14:15]
	s_cbranch_execz .LBB915_495
; %bb.490:                              ;   in Loop: Header=BB915_213 Depth=1
	v_cmp_ne_u16_sdwa s[16:17], v40, s9 src0_sel:BYTE_0 src1_sel:DWORD
	v_mov_b32_e32 v60, 0xffff8000
	s_and_saveexec_b64 s[14:15], s[16:17]
	s_cbranch_execz .LBB915_494
; %bb.491:                              ;   in Loop: Header=BB915_213 Depth=1
	v_bfe_u32 v42, v38, 16, 7
	v_cmp_ne_u32_e32 vcc, s21, v42
	v_mov_b32_e32 v60, 0x7f80
	s_and_saveexec_b64 s[16:17], vcc
	s_cbranch_execz .LBB915_493
; %bb.492:                              ;   in Loop: Header=BB915_213 Depth=1
	v_and_b32_e32 v50, 7, v40
	v_ffbh_u32_e32 v60, v50
	v_min_u32_e32 v63, 32, v60
	v_subrev_u32_e32 v60, 28, v63
	v_lshlrev_b64 v[60:61], v60, v[40:41]
	v_lshrrev_b32_e32 v62, 3, v42
	v_sub_u32_e32 v61, 29, v63
	v_and_b32_e32 v60, 7, v60
	v_cmp_gt_u32_e32 vcc, 8, v42
	v_cndmask_b32_e32 v42, v62, v61, vcc
	v_cndmask_b32_e32 v50, v50, v60, vcc
	v_lshlrev_b32_e32 v40, 24, v40
	v_lshlrev_b32_e32 v50, 20, v50
	v_and_b32_e32 v40, 0x80000000, v40
	v_lshl_add_u32 v42, v42, 23, v45
	v_or3_b32 v40, v40, v42, v50
	v_lshrrev_b32_e32 v60, 16, v40
.LBB915_493:                            ;   in Loop: Header=BB915_213 Depth=1
	s_or_b64 exec, exec, s[16:17]
.LBB915_494:                            ;   in Loop: Header=BB915_213 Depth=1
	s_or_b64 exec, exec, s[14:15]
.LBB915_495:                            ;   in Loop: Header=BB915_213 Depth=1
	s_or_b64 exec, exec, s[12:13]
	v_cmp_lt_u32_e32 vcc, s22, v38
	v_mov_b32_e32 v50, 0
	v_mov_b32_e32 v61, 0
	s_and_saveexec_b64 s[12:13], vcc
	s_cbranch_execz .LBB915_501
; %bb.496:                              ;   in Loop: Header=BB915_213 Depth=1
	v_lshrrev_b32_e32 v40, 24, v38
	v_cmp_ne_u32_e32 vcc, s9, v40
	v_mov_b32_e32 v61, 0xffff8000
	s_and_saveexec_b64 s[14:15], vcc
	s_cbranch_execz .LBB915_500
; %bb.497:                              ;   in Loop: Header=BB915_213 Depth=1
	v_bfe_u32 v38, v38, 24, 7
	v_cmp_ne_u32_e32 vcc, s21, v38
	v_mov_b32_e32 v61, 0x7f80
	s_and_saveexec_b64 s[16:17], vcc
	s_cbranch_execz .LBB915_499
; %bb.498:                              ;   in Loop: Header=BB915_213 Depth=1
	v_and_b32_e32 v42, 7, v40
	v_ffbh_u32_e32 v62, v42
	v_min_u32_e32 v64, 32, v62
	v_subrev_u32_e32 v62, 28, v64
	v_lshlrev_b64 v[62:63], v62, v[40:41]
	v_lshrrev_b32_e32 v61, 3, v38
	v_sub_u32_e32 v63, 29, v64
	v_and_b32_e32 v62, 7, v62
	v_cmp_gt_u32_e32 vcc, 8, v38
	v_cndmask_b32_e32 v38, v61, v63, vcc
	v_cndmask_b32_e32 v42, v42, v62, vcc
	v_lshlrev_b32_e32 v40, 24, v40
	v_lshlrev_b32_e32 v42, 20, v42
	v_and_b32_e32 v40, 0x80000000, v40
	v_lshl_add_u32 v38, v38, 23, v45
	v_or3_b32 v38, v40, v38, v42
	v_lshrrev_b32_e32 v61, 16, v38
.LBB915_499:                            ;   in Loop: Header=BB915_213 Depth=1
	s_or_b64 exec, exec, s[16:17]
.LBB915_500:                            ;   in Loop: Header=BB915_213 Depth=1
	s_or_b64 exec, exec, s[14:15]
.LBB915_501:                            ;   in Loop: Header=BB915_213 Depth=1
	s_or_b64 exec, exec, s[12:13]
	v_perm_b32 v62, v44, v46, s23
	buffer_load_dword v44, v58, s[0:3], 0 offen
	buffer_load_dword v42, v58, s[0:3], 0 offen offset:4
	buffer_load_dword v40, v58, s[0:3], 0 offen offset:8
	;; [unrolled: 1-line block ×3, first 2 shown]
	v_perm_b32 v63, v53, v51, s23
	v_perm_b32 v53, v61, v60, s23
	;; [unrolled: 1-line block ×3, first 2 shown]
	v_mfma_f32_16x16x16bf16_1k v[34:37], v[62:63], v[22:23], v[34:37]
	s_waitcnt vmcnt(3)
	v_cmp_ne_u16_sdwa s[14:15], v44, v43 src0_sel:BYTE_0 src1_sel:DWORD
	v_mfma_f32_16x16x16bf16_1k v[34:37], v[52:53], v[24:25], v[34:37]
	s_and_saveexec_b64 s[12:13], s[14:15]
	s_cbranch_execz .LBB915_507
; %bb.502:                              ;   in Loop: Header=BB915_213 Depth=1
	v_cmp_ne_u16_sdwa s[16:17], v44, s9 src0_sel:BYTE_0 src1_sel:DWORD
	v_mov_b32_e32 v50, 0xffff8000
	s_and_saveexec_b64 s[14:15], s[16:17]
	s_cbranch_execz .LBB915_506
; %bb.503:                              ;   in Loop: Header=BB915_213 Depth=1
	v_and_b32_e32 v46, 0x7f, v44
	v_cmp_ne_u32_e32 vcc, s21, v46
	v_mov_b32_e32 v50, 0x7f80
	s_and_saveexec_b64 s[16:17], vcc
	s_cbranch_execz .LBB915_505
; %bb.504:                              ;   in Loop: Header=BB915_213 Depth=1
	v_and_b32_e32 v52, 7, v44
	v_ffbh_u32_e32 v50, v52
	v_min_u32_e32 v58, 32, v50
	v_subrev_u32_e32 v50, 28, v58
	v_lshlrev_b64 v[50:51], v50, v[44:45]
	v_lshrrev_b32_e32 v53, 3, v46
	v_sub_u32_e32 v51, 29, v58
	v_and_b32_e32 v50, 7, v50
	v_cmp_gt_u32_e32 vcc, 8, v46
	v_cndmask_b32_e32 v46, v53, v51, vcc
	v_cndmask_b32_e32 v50, v52, v50, vcc
	v_lshlrev_b32_e32 v51, 24, v44
	v_lshlrev_b32_e32 v50, 20, v50
	v_and_b32_e32 v51, 0x80000000, v51
	v_lshl_add_u32 v46, v46, 23, v45
	v_or3_b32 v46, v51, v46, v50
	v_lshrrev_b32_e32 v50, 16, v46
.LBB915_505:                            ;   in Loop: Header=BB915_213 Depth=1
	s_or_b64 exec, exec, s[16:17]
.LBB915_506:                            ;   in Loop: Header=BB915_213 Depth=1
	s_or_b64 exec, exec, s[14:15]
.LBB915_507:                            ;   in Loop: Header=BB915_213 Depth=1
	s_or_b64 exec, exec, s[12:13]
	v_lshrrev_b16_e32 v46, 8, v44
	v_cmp_ne_u16_e32 vcc, 0, v46
	v_mov_b32_e32 v52, 0
	v_mov_b32_e32 v51, 0
	s_and_saveexec_b64 s[12:13], vcc
	s_cbranch_execz .LBB915_513
; %bb.508:                              ;   in Loop: Header=BB915_213 Depth=1
	v_cmp_ne_u16_e32 vcc, s9, v46
	v_mov_b32_e32 v51, 0xffff8000
	s_and_saveexec_b64 s[14:15], vcc
	s_cbranch_execz .LBB915_512
; %bb.509:                              ;   in Loop: Header=BB915_213 Depth=1
	v_and_b32_e32 v53, 0x7f, v46
	v_cmp_ne_u32_e32 vcc, s21, v53
	v_mov_b32_e32 v51, 0x7f80
	s_and_saveexec_b64 s[16:17], vcc
	s_cbranch_execz .LBB915_511
; %bb.510:                              ;   in Loop: Header=BB915_213 Depth=1
	v_and_b32_e32 v51, 7, v46
	v_ffbh_u32_e32 v58, v51
	v_min_u32_e32 v61, 32, v58
	v_subrev_u32_e32 v58, 28, v61
	v_lshlrev_b64 v[58:59], v58, v[46:47]
	v_lshrrev_b32_e32 v60, 3, v53
	v_sub_u32_e32 v46, 29, v61
	v_and_b32_e32 v58, 7, v58
	v_cmp_gt_u32_e32 vcc, 8, v53
	v_cndmask_b32_e32 v46, v60, v46, vcc
	v_cndmask_b32_e32 v51, v51, v58, vcc
	v_lshlrev_b32_e32 v53, 16, v44
	v_lshlrev_b32_e32 v51, 20, v51
	v_and_b32_e32 v53, 0x80000000, v53
	v_lshl_add_u32 v46, v46, 23, v45
	v_or3_b32 v46, v53, v46, v51
	v_lshrrev_b32_e32 v51, 16, v46
.LBB915_511:                            ;   in Loop: Header=BB915_213 Depth=1
	s_or_b64 exec, exec, s[16:17]
.LBB915_512:                            ;   in Loop: Header=BB915_213 Depth=1
	s_or_b64 exec, exec, s[14:15]
.LBB915_513:                            ;   in Loop: Header=BB915_213 Depth=1
	s_or_b64 exec, exec, s[12:13]
	v_lshrrev_b32_e32 v46, 16, v44
	v_cmp_ne_u16_sdwa s[14:15], v46, v43 src0_sel:BYTE_0 src1_sel:DWORD
	s_and_saveexec_b64 s[12:13], s[14:15]
	s_cbranch_execz .LBB915_519
; %bb.514:                              ;   in Loop: Header=BB915_213 Depth=1
	v_cmp_ne_u16_sdwa s[16:17], v46, s9 src0_sel:BYTE_0 src1_sel:DWORD
	v_mov_b32_e32 v52, 0xffff8000
	s_and_saveexec_b64 s[14:15], s[16:17]
	s_cbranch_execz .LBB915_518
; %bb.515:                              ;   in Loop: Header=BB915_213 Depth=1
	v_bfe_u32 v53, v44, 16, 7
	v_cmp_ne_u32_e32 vcc, s21, v53
	v_mov_b32_e32 v52, 0x7f80
	s_and_saveexec_b64 s[16:17], vcc
	s_cbranch_execz .LBB915_517
; %bb.516:                              ;   in Loop: Header=BB915_213 Depth=1
	v_and_b32_e32 v52, 7, v46
	v_ffbh_u32_e32 v58, v52
	v_min_u32_e32 v61, 32, v58
	v_subrev_u32_e32 v58, 28, v61
	v_lshlrev_b64 v[58:59], v58, v[46:47]
	v_lshrrev_b32_e32 v60, 3, v53
	v_sub_u32_e32 v59, 29, v61
	v_and_b32_e32 v58, 7, v58
	v_cmp_gt_u32_e32 vcc, 8, v53
	v_cndmask_b32_e32 v53, v60, v59, vcc
	v_cndmask_b32_e32 v52, v52, v58, vcc
	v_lshlrev_b32_e32 v46, 24, v46
	v_lshlrev_b32_e32 v52, 20, v52
	v_and_b32_e32 v46, 0x80000000, v46
	v_lshl_add_u32 v53, v53, 23, v45
	v_or3_b32 v46, v46, v53, v52
	v_lshrrev_b32_e32 v52, 16, v46
.LBB915_517:                            ;   in Loop: Header=BB915_213 Depth=1
	s_or_b64 exec, exec, s[16:17]
.LBB915_518:                            ;   in Loop: Header=BB915_213 Depth=1
	s_or_b64 exec, exec, s[14:15]
.LBB915_519:                            ;   in Loop: Header=BB915_213 Depth=1
	s_or_b64 exec, exec, s[12:13]
	v_cmp_lt_u32_e32 vcc, s22, v44
	v_mov_b32_e32 v53, 0
	v_mov_b32_e32 v58, 0
	s_and_saveexec_b64 s[12:13], vcc
	s_cbranch_execz .LBB915_525
; %bb.520:                              ;   in Loop: Header=BB915_213 Depth=1
	v_lshrrev_b32_e32 v46, 24, v44
	v_cmp_ne_u32_e32 vcc, s9, v46
	v_mov_b32_e32 v58, 0xffff8000
	s_and_saveexec_b64 s[14:15], vcc
	s_cbranch_execz .LBB915_524
; %bb.521:                              ;   in Loop: Header=BB915_213 Depth=1
	v_bfe_u32 v44, v44, 24, 7
	v_cmp_ne_u32_e32 vcc, s21, v44
	v_mov_b32_e32 v58, 0x7f80
	s_and_saveexec_b64 s[16:17], vcc
	s_cbranch_execz .LBB915_523
; %bb.522:                              ;   in Loop: Header=BB915_213 Depth=1
	v_and_b32_e32 v60, 7, v46
	v_ffbh_u32_e32 v58, v60
	v_min_u32_e32 v62, 32, v58
	v_subrev_u32_e32 v58, 28, v62
	v_lshlrev_b64 v[58:59], v58, v[46:47]
	v_lshrrev_b32_e32 v61, 3, v44
	v_sub_u32_e32 v59, 29, v62
	v_and_b32_e32 v58, 7, v58
	v_cmp_gt_u32_e32 vcc, 8, v44
	v_cndmask_b32_e32 v44, v61, v59, vcc
	v_cndmask_b32_e32 v58, v60, v58, vcc
	v_lshlrev_b32_e32 v46, 24, v46
	v_lshlrev_b32_e32 v58, 20, v58
	v_and_b32_e32 v46, 0x80000000, v46
	v_lshl_add_u32 v44, v44, 23, v45
	v_or3_b32 v44, v46, v44, v58
	v_lshrrev_b32_e32 v58, 16, v44
.LBB915_523:                            ;   in Loop: Header=BB915_213 Depth=1
	s_or_b64 exec, exec, s[16:17]
.LBB915_524:                            ;   in Loop: Header=BB915_213 Depth=1
	s_or_b64 exec, exec, s[14:15]
.LBB915_525:                            ;   in Loop: Header=BB915_213 Depth=1
	s_or_b64 exec, exec, s[12:13]
	s_waitcnt vmcnt(2)
	v_cmp_ne_u16_sdwa s[14:15], v42, v43 src0_sel:BYTE_0 src1_sel:DWORD
	s_and_saveexec_b64 s[12:13], s[14:15]
	s_cbranch_execz .LBB915_531
; %bb.526:                              ;   in Loop: Header=BB915_213 Depth=1
	v_cmp_ne_u16_sdwa s[16:17], v42, s9 src0_sel:BYTE_0 src1_sel:DWORD
	v_mov_b32_e32 v53, 0xffff8000
	s_and_saveexec_b64 s[14:15], s[16:17]
	s_cbranch_execz .LBB915_530
; %bb.527:                              ;   in Loop: Header=BB915_213 Depth=1
	v_and_b32_e32 v44, 0x7f, v42
	v_cmp_ne_u32_e32 vcc, s21, v44
	v_mov_b32_e32 v53, 0x7f80
	s_and_saveexec_b64 s[16:17], vcc
	s_cbranch_execz .LBB915_529
; %bb.528:                              ;   in Loop: Header=BB915_213 Depth=1
	v_and_b32_e32 v46, 7, v42
	v_ffbh_u32_e32 v59, v46
	v_min_u32_e32 v59, 32, v59
	v_subrev_u32_e32 v60, 28, v59
	v_lshlrev_b64 v[60:61], v60, v[42:43]
	v_lshrrev_b32_e32 v53, 3, v44
	v_sub_u32_e32 v59, 29, v59
	v_and_b32_e32 v60, 7, v60
	v_cmp_gt_u32_e32 vcc, 8, v44
	v_cndmask_b32_e32 v44, v53, v59, vcc
	v_cndmask_b32_e32 v46, v46, v60, vcc
	v_lshlrev_b32_e32 v53, 24, v42
	v_lshlrev_b32_e32 v46, 20, v46
	v_and_b32_e32 v53, 0x80000000, v53
	v_lshl_add_u32 v44, v44, 23, v45
	v_or3_b32 v44, v53, v44, v46
	v_lshrrev_b32_e32 v53, 16, v44
.LBB915_529:                            ;   in Loop: Header=BB915_213 Depth=1
	s_or_b64 exec, exec, s[16:17]
.LBB915_530:                            ;   in Loop: Header=BB915_213 Depth=1
	s_or_b64 exec, exec, s[14:15]
.LBB915_531:                            ;   in Loop: Header=BB915_213 Depth=1
	s_or_b64 exec, exec, s[12:13]
	v_lshrrev_b16_e32 v44, 8, v42
	v_cmp_ne_u16_e32 vcc, 0, v44
	v_mov_b32_e32 v60, 0
	v_mov_b32_e32 v59, 0
	s_and_saveexec_b64 s[12:13], vcc
	s_cbranch_execz .LBB915_537
; %bb.532:                              ;   in Loop: Header=BB915_213 Depth=1
	v_cmp_ne_u16_e32 vcc, s9, v44
	v_mov_b32_e32 v59, 0xffff8000
	s_and_saveexec_b64 s[14:15], vcc
	s_cbranch_execz .LBB915_536
; %bb.533:                              ;   in Loop: Header=BB915_213 Depth=1
	v_and_b32_e32 v46, 0x7f, v44
	v_cmp_ne_u32_e32 vcc, s21, v46
	v_mov_b32_e32 v59, 0x7f80
	s_and_saveexec_b64 s[16:17], vcc
	s_cbranch_execz .LBB915_535
; %bb.534:                              ;   in Loop: Header=BB915_213 Depth=1
	v_and_b32_e32 v59, 7, v44
	v_ffbh_u32_e32 v62, v59
	v_min_u32_e32 v64, 32, v62
	v_subrev_u32_e32 v62, 28, v64
	v_lshlrev_b64 v[62:63], v62, v[44:45]
	v_lshrrev_b32_e32 v61, 3, v46
	v_sub_u32_e32 v44, 29, v64
	v_and_b32_e32 v62, 7, v62
	v_cmp_gt_u32_e32 vcc, 8, v46
	v_cndmask_b32_e32 v44, v61, v44, vcc
	v_cndmask_b32_e32 v46, v59, v62, vcc
	v_lshlrev_b32_e32 v59, 16, v42
	v_lshlrev_b32_e32 v46, 20, v46
	v_and_b32_e32 v59, 0x80000000, v59
	v_lshl_add_u32 v44, v44, 23, v45
	v_or3_b32 v44, v59, v44, v46
	v_lshrrev_b32_e32 v59, 16, v44
.LBB915_535:                            ;   in Loop: Header=BB915_213 Depth=1
	s_or_b64 exec, exec, s[16:17]
.LBB915_536:                            ;   in Loop: Header=BB915_213 Depth=1
	s_or_b64 exec, exec, s[14:15]
.LBB915_537:                            ;   in Loop: Header=BB915_213 Depth=1
	s_or_b64 exec, exec, s[12:13]
	v_lshrrev_b32_e32 v44, 16, v42
	v_cmp_ne_u16_sdwa s[14:15], v44, v43 src0_sel:BYTE_0 src1_sel:DWORD
	s_and_saveexec_b64 s[12:13], s[14:15]
	s_cbranch_execz .LBB915_543
; %bb.538:                              ;   in Loop: Header=BB915_213 Depth=1
	v_cmp_ne_u16_sdwa s[16:17], v44, s9 src0_sel:BYTE_0 src1_sel:DWORD
	v_mov_b32_e32 v60, 0xffff8000
	s_and_saveexec_b64 s[14:15], s[16:17]
	s_cbranch_execz .LBB915_542
; %bb.539:                              ;   in Loop: Header=BB915_213 Depth=1
	v_bfe_u32 v46, v42, 16, 7
	v_cmp_ne_u32_e32 vcc, s21, v46
	v_mov_b32_e32 v60, 0x7f80
	s_and_saveexec_b64 s[16:17], vcc
	s_cbranch_execz .LBB915_541
; %bb.540:                              ;   in Loop: Header=BB915_213 Depth=1
	v_and_b32_e32 v62, 7, v44
	v_ffbh_u32_e32 v60, v62
	v_min_u32_e32 v64, 32, v60
	v_subrev_u32_e32 v60, 28, v64
	v_lshlrev_b64 v[60:61], v60, v[44:45]
	v_lshrrev_b32_e32 v63, 3, v46
	v_sub_u32_e32 v61, 29, v64
	v_and_b32_e32 v60, 7, v60
	v_cmp_gt_u32_e32 vcc, 8, v46
	v_cndmask_b32_e32 v46, v63, v61, vcc
	v_cndmask_b32_e32 v60, v62, v60, vcc
	v_lshlrev_b32_e32 v44, 24, v44
	v_lshlrev_b32_e32 v60, 20, v60
	v_and_b32_e32 v44, 0x80000000, v44
	v_lshl_add_u32 v46, v46, 23, v45
	v_or3_b32 v44, v44, v46, v60
	v_lshrrev_b32_e32 v60, 16, v44
.LBB915_541:                            ;   in Loop: Header=BB915_213 Depth=1
	s_or_b64 exec, exec, s[16:17]
.LBB915_542:                            ;   in Loop: Header=BB915_213 Depth=1
	s_or_b64 exec, exec, s[14:15]
.LBB915_543:                            ;   in Loop: Header=BB915_213 Depth=1
	s_or_b64 exec, exec, s[12:13]
	v_cmp_lt_u32_e32 vcc, s22, v42
	v_mov_b32_e32 v46, 0
	v_mov_b32_e32 v61, 0
	s_and_saveexec_b64 s[12:13], vcc
	s_cbranch_execz .LBB915_549
; %bb.544:                              ;   in Loop: Header=BB915_213 Depth=1
	v_lshrrev_b32_e32 v44, 24, v42
	v_cmp_ne_u32_e32 vcc, s9, v44
	v_mov_b32_e32 v61, 0xffff8000
	s_and_saveexec_b64 s[14:15], vcc
	s_cbranch_execz .LBB915_548
; %bb.545:                              ;   in Loop: Header=BB915_213 Depth=1
	v_bfe_u32 v42, v42, 24, 7
	v_cmp_ne_u32_e32 vcc, s21, v42
	v_mov_b32_e32 v61, 0x7f80
	s_and_saveexec_b64 s[16:17], vcc
	s_cbranch_execz .LBB915_547
; %bb.546:                              ;   in Loop: Header=BB915_213 Depth=1
	v_and_b32_e32 v61, 7, v44
	v_ffbh_u32_e32 v62, v61
	v_min_u32_e32 v65, 32, v62
	v_subrev_u32_e32 v62, 28, v65
	v_lshlrev_b64 v[62:63], v62, v[44:45]
	v_lshrrev_b32_e32 v64, 3, v42
	v_sub_u32_e32 v63, 29, v65
	v_and_b32_e32 v62, 7, v62
	v_cmp_gt_u32_e32 vcc, 8, v42
	v_cndmask_b32_e32 v42, v64, v63, vcc
	v_cndmask_b32_e32 v61, v61, v62, vcc
	v_lshlrev_b32_e32 v44, 24, v44
	v_lshlrev_b32_e32 v61, 20, v61
	v_and_b32_e32 v44, 0x80000000, v44
	v_lshl_add_u32 v42, v42, 23, v45
	v_or3_b32 v42, v44, v42, v61
	v_lshrrev_b32_e32 v61, 16, v42
.LBB915_547:                            ;   in Loop: Header=BB915_213 Depth=1
	s_or_b64 exec, exec, s[16:17]
.LBB915_548:                            ;   in Loop: Header=BB915_213 Depth=1
	s_or_b64 exec, exec, s[14:15]
.LBB915_549:                            ;   in Loop: Header=BB915_213 Depth=1
	s_or_b64 exec, exec, s[12:13]
	v_perm_b32 v63, v58, v52, s23
	v_perm_b32 v62, v51, v50, s23
	;; [unrolled: 1-line block ×4, first 2 shown]
	s_waitcnt vmcnt(1)
	v_cmp_ne_u16_sdwa s[14:15], v40, v43 src0_sel:BYTE_0 src1_sel:DWORD
	v_mfma_f32_16x16x16bf16_1k v[34:37], v[62:63], v[26:27], v[34:37]
	v_mfma_f32_16x16x16bf16_1k v[34:37], v[50:51], v[28:29], v[34:37]
	s_and_saveexec_b64 s[12:13], s[14:15]
	s_cbranch_execz .LBB915_555
; %bb.550:                              ;   in Loop: Header=BB915_213 Depth=1
	v_cmp_ne_u16_sdwa s[16:17], v40, s9 src0_sel:BYTE_0 src1_sel:DWORD
	v_mov_b32_e32 v46, 0xffff8000
	s_and_saveexec_b64 s[14:15], s[16:17]
	s_cbranch_execz .LBB915_554
; %bb.551:                              ;   in Loop: Header=BB915_213 Depth=1
	v_and_b32_e32 v42, 0x7f, v40
	v_cmp_ne_u32_e32 vcc, s21, v42
	v_mov_b32_e32 v46, 0x7f80
	s_and_saveexec_b64 s[16:17], vcc
	s_cbranch_execz .LBB915_553
; %bb.552:                              ;   in Loop: Header=BB915_213 Depth=1
	v_and_b32_e32 v44, 7, v40
	v_ffbh_u32_e32 v50, v44
	v_min_u32_e32 v52, 32, v50
	v_subrev_u32_e32 v50, 28, v52
	v_lshlrev_b64 v[50:51], v50, v[40:41]
	v_lshrrev_b32_e32 v46, 3, v42
	v_sub_u32_e32 v51, 29, v52
	v_and_b32_e32 v50, 7, v50
	v_cmp_gt_u32_e32 vcc, 8, v42
	v_cndmask_b32_e32 v42, v46, v51, vcc
	v_cndmask_b32_e32 v44, v44, v50, vcc
	v_lshlrev_b32_e32 v46, 24, v40
	v_lshlrev_b32_e32 v44, 20, v44
	v_and_b32_e32 v46, 0x80000000, v46
	v_lshl_add_u32 v42, v42, 23, v45
	v_or3_b32 v42, v46, v42, v44
	v_lshrrev_b32_e32 v46, 16, v42
.LBB915_553:                            ;   in Loop: Header=BB915_213 Depth=1
	s_or_b64 exec, exec, s[16:17]
.LBB915_554:                            ;   in Loop: Header=BB915_213 Depth=1
	s_or_b64 exec, exec, s[14:15]
.LBB915_555:                            ;   in Loop: Header=BB915_213 Depth=1
	s_or_b64 exec, exec, s[12:13]
	v_lshrrev_b16_e32 v42, 8, v40
	v_cmp_ne_u16_e32 vcc, 0, v42
	v_mov_b32_e32 v50, 0
	v_mov_b32_e32 v44, 0
	s_and_saveexec_b64 s[12:13], vcc
	s_cbranch_execz .LBB915_561
; %bb.556:                              ;   in Loop: Header=BB915_213 Depth=1
	v_cmp_ne_u16_e32 vcc, s9, v42
	v_mov_b32_e32 v44, 0xffff8000
	s_and_saveexec_b64 s[14:15], vcc
	s_cbranch_execz .LBB915_560
; %bb.557:                              ;   in Loop: Header=BB915_213 Depth=1
	v_and_b32_e32 v51, 0x7f, v42
	v_cmp_ne_u32_e32 vcc, s21, v51
	v_mov_b32_e32 v44, 0x7f80
	s_and_saveexec_b64 s[16:17], vcc
	s_cbranch_execz .LBB915_559
; %bb.558:                              ;   in Loop: Header=BB915_213 Depth=1
	v_and_b32_e32 v44, 7, v42
	v_ffbh_u32_e32 v52, v44
	v_min_u32_e32 v59, 32, v52
	v_subrev_u32_e32 v52, 28, v59
	v_lshlrev_b64 v[52:53], v52, v[42:43]
	v_lshrrev_b32_e32 v58, 3, v51
	v_sub_u32_e32 v42, 29, v59
	v_and_b32_e32 v52, 7, v52
	v_cmp_gt_u32_e32 vcc, 8, v51
	v_cndmask_b32_e32 v42, v58, v42, vcc
	v_cndmask_b32_e32 v44, v44, v52, vcc
	v_lshlrev_b32_e32 v51, 16, v40
	v_lshlrev_b32_e32 v44, 20, v44
	v_and_b32_e32 v51, 0x80000000, v51
	v_lshl_add_u32 v42, v42, 23, v45
	v_or3_b32 v42, v51, v42, v44
	v_lshrrev_b32_e32 v44, 16, v42
.LBB915_559:                            ;   in Loop: Header=BB915_213 Depth=1
	s_or_b64 exec, exec, s[16:17]
.LBB915_560:                            ;   in Loop: Header=BB915_213 Depth=1
	s_or_b64 exec, exec, s[14:15]
.LBB915_561:                            ;   in Loop: Header=BB915_213 Depth=1
	s_or_b64 exec, exec, s[12:13]
	v_lshrrev_b32_e32 v42, 16, v40
	v_cmp_ne_u16_sdwa s[14:15], v42, v43 src0_sel:BYTE_0 src1_sel:DWORD
	s_and_saveexec_b64 s[12:13], s[14:15]
	s_cbranch_execz .LBB915_567
; %bb.562:                              ;   in Loop: Header=BB915_213 Depth=1
	v_cmp_ne_u16_sdwa s[16:17], v42, s9 src0_sel:BYTE_0 src1_sel:DWORD
	v_mov_b32_e32 v50, 0xffff8000
	s_and_saveexec_b64 s[14:15], s[16:17]
	s_cbranch_execz .LBB915_566
; %bb.563:                              ;   in Loop: Header=BB915_213 Depth=1
	v_bfe_u32 v51, v40, 16, 7
	v_cmp_ne_u32_e32 vcc, s21, v51
	v_mov_b32_e32 v50, 0x7f80
	s_and_saveexec_b64 s[16:17], vcc
	s_cbranch_execz .LBB915_565
; %bb.564:                              ;   in Loop: Header=BB915_213 Depth=1
	v_and_b32_e32 v50, 7, v42
	v_ffbh_u32_e32 v52, v50
	v_min_u32_e32 v59, 32, v52
	v_subrev_u32_e32 v52, 28, v59
	v_lshlrev_b64 v[52:53], v52, v[42:43]
	v_lshrrev_b32_e32 v58, 3, v51
	v_sub_u32_e32 v53, 29, v59
	v_and_b32_e32 v52, 7, v52
	v_cmp_gt_u32_e32 vcc, 8, v51
	v_cndmask_b32_e32 v51, v58, v53, vcc
	v_cndmask_b32_e32 v50, v50, v52, vcc
	v_lshlrev_b32_e32 v42, 24, v42
	v_lshlrev_b32_e32 v50, 20, v50
	v_and_b32_e32 v42, 0x80000000, v42
	v_lshl_add_u32 v51, v51, 23, v45
	v_or3_b32 v42, v42, v51, v50
	v_lshrrev_b32_e32 v50, 16, v42
.LBB915_565:                            ;   in Loop: Header=BB915_213 Depth=1
	s_or_b64 exec, exec, s[16:17]
.LBB915_566:                            ;   in Loop: Header=BB915_213 Depth=1
	s_or_b64 exec, exec, s[14:15]
.LBB915_567:                            ;   in Loop: Header=BB915_213 Depth=1
	s_or_b64 exec, exec, s[12:13]
	v_cmp_lt_u32_e32 vcc, s22, v40
	v_mov_b32_e32 v51, 0
	v_mov_b32_e32 v52, 0
	s_and_saveexec_b64 s[12:13], vcc
	s_cbranch_execz .LBB915_573
; %bb.568:                              ;   in Loop: Header=BB915_213 Depth=1
	v_lshrrev_b32_e32 v42, 24, v40
	v_cmp_ne_u32_e32 vcc, s9, v42
	v_mov_b32_e32 v52, 0xffff8000
	s_and_saveexec_b64 s[14:15], vcc
	s_cbranch_execz .LBB915_572
; %bb.569:                              ;   in Loop: Header=BB915_213 Depth=1
	v_bfe_u32 v40, v40, 24, 7
	v_cmp_ne_u32_e32 vcc, s21, v40
	v_mov_b32_e32 v52, 0x7f80
	s_and_saveexec_b64 s[16:17], vcc
	s_cbranch_execz .LBB915_571
; %bb.570:                              ;   in Loop: Header=BB915_213 Depth=1
	v_and_b32_e32 v58, 7, v42
	v_ffbh_u32_e32 v52, v58
	v_min_u32_e32 v60, 32, v52
	v_subrev_u32_e32 v52, 28, v60
	v_lshlrev_b64 v[52:53], v52, v[42:43]
	v_lshrrev_b32_e32 v59, 3, v40
	v_sub_u32_e32 v53, 29, v60
	v_and_b32_e32 v52, 7, v52
	v_cmp_gt_u32_e32 vcc, 8, v40
	v_cndmask_b32_e32 v40, v59, v53, vcc
	v_cndmask_b32_e32 v52, v58, v52, vcc
	v_lshlrev_b32_e32 v42, 24, v42
	v_lshlrev_b32_e32 v52, 20, v52
	v_and_b32_e32 v42, 0x80000000, v42
	v_lshl_add_u32 v40, v40, 23, v45
	v_or3_b32 v40, v42, v40, v52
	v_lshrrev_b32_e32 v52, 16, v40
.LBB915_571:                            ;   in Loop: Header=BB915_213 Depth=1
	s_or_b64 exec, exec, s[16:17]
.LBB915_572:                            ;   in Loop: Header=BB915_213 Depth=1
	s_or_b64 exec, exec, s[14:15]
.LBB915_573:                            ;   in Loop: Header=BB915_213 Depth=1
	s_or_b64 exec, exec, s[12:13]
	s_waitcnt vmcnt(0)
	v_cmp_ne_u16_sdwa s[14:15], v38, v43 src0_sel:BYTE_0 src1_sel:DWORD
	s_and_saveexec_b64 s[12:13], s[14:15]
	s_cbranch_execz .LBB915_579
; %bb.574:                              ;   in Loop: Header=BB915_213 Depth=1
	v_cmp_ne_u16_sdwa s[16:17], v38, s9 src0_sel:BYTE_0 src1_sel:DWORD
	v_mov_b32_e32 v51, 0xffff8000
	s_and_saveexec_b64 s[14:15], s[16:17]
	s_cbranch_execz .LBB915_578
; %bb.575:                              ;   in Loop: Header=BB915_213 Depth=1
	v_and_b32_e32 v40, 0x7f, v38
	v_cmp_ne_u32_e32 vcc, s21, v40
	v_mov_b32_e32 v51, 0x7f80
	s_and_saveexec_b64 s[16:17], vcc
	s_cbranch_execz .LBB915_577
; %bb.576:                              ;   in Loop: Header=BB915_213 Depth=1
	v_and_b32_e32 v42, 7, v38
	v_ffbh_u32_e32 v53, v42
	v_min_u32_e32 v53, 32, v53
	v_subrev_u32_e32 v58, 28, v53
	v_lshlrev_b64 v[58:59], v58, v[38:39]
	v_lshrrev_b32_e32 v51, 3, v40
	v_sub_u32_e32 v53, 29, v53
	v_and_b32_e32 v58, 7, v58
	v_cmp_gt_u32_e32 vcc, 8, v40
	v_cndmask_b32_e32 v40, v51, v53, vcc
	v_cndmask_b32_e32 v42, v42, v58, vcc
	v_lshlrev_b32_e32 v51, 24, v38
	v_lshlrev_b32_e32 v42, 20, v42
	v_and_b32_e32 v51, 0x80000000, v51
	v_lshl_add_u32 v40, v40, 23, v45
	v_or3_b32 v40, v51, v40, v42
	v_lshrrev_b32_e32 v51, 16, v40
.LBB915_577:                            ;   in Loop: Header=BB915_213 Depth=1
	s_or_b64 exec, exec, s[16:17]
.LBB915_578:                            ;   in Loop: Header=BB915_213 Depth=1
	s_or_b64 exec, exec, s[14:15]
.LBB915_579:                            ;   in Loop: Header=BB915_213 Depth=1
	s_or_b64 exec, exec, s[12:13]
	v_lshrrev_b16_e32 v40, 8, v38
	v_cmp_ne_u16_e32 vcc, 0, v40
	v_mov_b32_e32 v53, 0
	v_mov_b32_e32 v42, 0
	s_and_saveexec_b64 s[12:13], vcc
	s_cbranch_execz .LBB915_585
; %bb.580:                              ;   in Loop: Header=BB915_213 Depth=1
	v_cmp_ne_u16_e32 vcc, s9, v40
	v_mov_b32_e32 v42, 0xffff8000
	s_and_saveexec_b64 s[14:15], vcc
	s_cbranch_execz .LBB915_584
; %bb.581:                              ;   in Loop: Header=BB915_213 Depth=1
	v_and_b32_e32 v58, 0x7f, v40
	v_cmp_ne_u32_e32 vcc, s21, v58
	v_mov_b32_e32 v42, 0x7f80
	s_and_saveexec_b64 s[16:17], vcc
	s_cbranch_execz .LBB915_583
; %bb.582:                              ;   in Loop: Header=BB915_213 Depth=1
	v_and_b32_e32 v42, 7, v40
	v_ffbh_u32_e32 v60, v42
	v_min_u32_e32 v62, 32, v60
	v_subrev_u32_e32 v60, 28, v62
	v_lshlrev_b64 v[60:61], v60, v[40:41]
	v_lshrrev_b32_e32 v59, 3, v58
	v_sub_u32_e32 v40, 29, v62
	v_and_b32_e32 v60, 7, v60
	v_cmp_gt_u32_e32 vcc, 8, v58
	v_cndmask_b32_e32 v40, v59, v40, vcc
	v_cndmask_b32_e32 v42, v42, v60, vcc
	v_lshlrev_b32_e32 v58, 16, v38
	v_lshlrev_b32_e32 v42, 20, v42
	v_and_b32_e32 v58, 0x80000000, v58
	v_lshl_add_u32 v40, v40, 23, v45
	v_or3_b32 v40, v58, v40, v42
	v_lshrrev_b32_e32 v42, 16, v40
.LBB915_583:                            ;   in Loop: Header=BB915_213 Depth=1
	s_or_b64 exec, exec, s[16:17]
.LBB915_584:                            ;   in Loop: Header=BB915_213 Depth=1
	s_or_b64 exec, exec, s[14:15]
.LBB915_585:                            ;   in Loop: Header=BB915_213 Depth=1
	s_or_b64 exec, exec, s[12:13]
	v_lshrrev_b32_e32 v40, 16, v38
	v_cmp_ne_u16_sdwa s[14:15], v40, v43 src0_sel:BYTE_0 src1_sel:DWORD
	s_and_saveexec_b64 s[12:13], s[14:15]
	s_cbranch_execz .LBB915_591
; %bb.586:                              ;   in Loop: Header=BB915_213 Depth=1
	v_cmp_ne_u16_sdwa s[16:17], v40, s9 src0_sel:BYTE_0 src1_sel:DWORD
	v_mov_b32_e32 v53, 0xffff8000
	s_and_saveexec_b64 s[14:15], s[16:17]
	s_cbranch_execz .LBB915_590
; %bb.587:                              ;   in Loop: Header=BB915_213 Depth=1
	v_bfe_u32 v58, v38, 16, 7
	v_cmp_ne_u32_e32 vcc, s21, v58
	v_mov_b32_e32 v53, 0x7f80
	s_and_saveexec_b64 s[16:17], vcc
	s_cbranch_execz .LBB915_589
; %bb.588:                              ;   in Loop: Header=BB915_213 Depth=1
	v_and_b32_e32 v53, 7, v40
	v_ffbh_u32_e32 v60, v53
	v_min_u32_e32 v62, 32, v60
	v_subrev_u32_e32 v60, 28, v62
	v_lshlrev_b64 v[60:61], v60, v[40:41]
	v_lshrrev_b32_e32 v59, 3, v58
	v_sub_u32_e32 v61, 29, v62
	v_and_b32_e32 v60, 7, v60
	v_cmp_gt_u32_e32 vcc, 8, v58
	v_cndmask_b32_e32 v58, v59, v61, vcc
	v_cndmask_b32_e32 v53, v53, v60, vcc
	v_lshlrev_b32_e32 v40, 24, v40
	v_lshlrev_b32_e32 v53, 20, v53
	v_and_b32_e32 v40, 0x80000000, v40
	v_lshl_add_u32 v58, v58, 23, v45
	v_or3_b32 v40, v40, v58, v53
	v_lshrrev_b32_e32 v53, 16, v40
.LBB915_589:                            ;   in Loop: Header=BB915_213 Depth=1
	s_or_b64 exec, exec, s[16:17]
.LBB915_590:                            ;   in Loop: Header=BB915_213 Depth=1
	s_or_b64 exec, exec, s[14:15]
.LBB915_591:                            ;   in Loop: Header=BB915_213 Depth=1
	s_or_b64 exec, exec, s[12:13]
	v_cmp_lt_u32_e32 vcc, s22, v38
	v_mov_b32_e32 v58, 0
	s_and_saveexec_b64 s[12:13], vcc
	s_cbranch_execz .LBB915_212
; %bb.592:                              ;   in Loop: Header=BB915_213 Depth=1
	v_lshrrev_b32_e32 v40, 24, v38
	v_cmp_ne_u32_e32 vcc, s9, v40
	v_mov_b32_e32 v58, 0xffff8000
	s_and_saveexec_b64 s[14:15], vcc
	s_cbranch_execz .LBB915_211
; %bb.593:                              ;   in Loop: Header=BB915_213 Depth=1
	v_bfe_u32 v38, v38, 24, 7
	v_cmp_ne_u32_e32 vcc, s21, v38
	v_mov_b32_e32 v58, 0x7f80
	s_and_saveexec_b64 s[16:17], vcc
	s_cbranch_execz .LBB915_210
; %bb.594:                              ;   in Loop: Header=BB915_213 Depth=1
	v_and_b32_e32 v60, 7, v40
	v_ffbh_u32_e32 v58, v60
	v_min_u32_e32 v62, 32, v58
	v_subrev_u32_e32 v58, 28, v62
	v_lshlrev_b64 v[58:59], v58, v[40:41]
	v_lshrrev_b32_e32 v61, 3, v38
	v_sub_u32_e32 v59, 29, v62
	v_and_b32_e32 v58, 7, v58
	v_cmp_gt_u32_e32 vcc, 8, v38
	v_cndmask_b32_e32 v38, v61, v59, vcc
	v_cndmask_b32_e32 v58, v60, v58, vcc
	v_lshlrev_b32_e32 v40, 24, v40
	v_lshlrev_b32_e32 v58, 20, v58
	v_and_b32_e32 v40, 0x80000000, v40
	v_lshl_add_u32 v38, v38, 23, v45
	v_or3_b32 v38, v40, v38, v58
	v_lshrrev_b32_e32 v58, 16, v38
	s_branch .LBB915_210
.LBB915_595:
	s_barrier
	buffer_load_dword v2, off, s[0:3], 0 offset:320
	buffer_load_dword v5, off, s[0:3], 0 offset:332
	;; [unrolled: 1-line block ×4, first 2 shown]
	v_cmp_gt_u32_e32 vcc, 64, v0
	s_waitcnt vmcnt(0)
	ds_write2st64_b64 v39, v[2:3], v[4:5] offset1:1
	s_waitcnt lgkmcnt(0)
	s_barrier
	s_and_saveexec_b64 s[4:5], vcc
	s_cbranch_execz .LBB915_598
; %bb.596:
	s_lshl_b32 s4, s50, 7
	s_mul_i32 s5, s18, s8
	s_mul_hi_u32 s9, s5, s4
	s_mul_i32 s8, s5, s4
	s_lshl_b64 s[8:9], s[8:9], 1
	s_add_u32 s5, s48, s8
	v_lshlrev_b32_e32 v5, 6, v55
	s_mov_b32 s7, 0
	s_addc_u32 s8, s49, s9
	s_lshl_b32 s6, s24, 7
	v_lshl_or_b32 v0, v0, 10, v5
	s_lshl_b64 s[6:7], s[6:7], 1
	v_lshlrev_b32_e32 v3, 5, v1
	v_and_b32_e32 v4, 16, v56
	v_and_b32_e32 v0, 0x1a00, v0
	s_add_u32 s5, s5, s6
	v_or_b32_e32 v2, 4, v1
	v_or3_b32 v0, v0, v3, v4
	s_addc_u32 s6, s8, s7
	v_add_u32_e32 v1, s25, v1
	v_mov_b32_e32 v4, s6
	v_add_co_u32_e32 v3, vcc, s5, v54
	ds_read_b128 v[6:9], v0
	v_mad_u64_u32 v[10:11], s[6:7], v1, s4, 0
	v_addc_co_u32_e32 v4, vcc, 0, v4, vcc
	v_lshlrev_b64 v[10:11], 1, v[10:11]
	v_add_co_u32_e32 v10, vcc, v3, v10
	v_addc_co_u32_e32 v11, vcc, v4, v11, vcc
	v_cmp_gt_u32_e32 vcc, 6, v2
	s_waitcnt lgkmcnt(0)
	global_store_dwordx4 v[10:11], v[6:9], off
	s_and_b64 exec, exec, vcc
	s_cbranch_execz .LBB915_598
; %bb.597:
	ds_read_b128 v[6:9], v0 offset:128
	v_add_u32_e32 v0, s25, v2
	v_mad_u64_u32 v[0:1], s[4:5], v0, s4, 0
	v_lshlrev_b64 v[0:1], 1, v[0:1]
	v_add_co_u32_e32 v0, vcc, v3, v0
	v_addc_co_u32_e32 v1, vcc, v4, v1, vcc
	s_waitcnt lgkmcnt(0)
	global_store_dwordx4 v[0:1], v[6:9], off
.LBB915_598:
	s_endpgm
	.section	.rodata,"a",@progbits
	.p2align	6, 0x0
	.amdhsa_kernel _Z39paged_attention_ll4mi_QKV_mfma16_kernelI14__hip_bfloat16hLN4vllm18Fp8KVCacheDataTypeE1ES0_Li16ELi128ELi256ELb0ELi6EL8MFMAType0EEvPKT_PKT0_S9_ifPKiSB_SB_iPKfiiiPfSE_PS4_PT2_iSD_SD_
		.amdhsa_group_segment_fixed_size 8192
		.amdhsa_private_segment_fixed_size 352
		.amdhsa_kernarg_size 400
		.amdhsa_user_sgpr_count 8
		.amdhsa_user_sgpr_private_segment_buffer 1
		.amdhsa_user_sgpr_dispatch_ptr 0
		.amdhsa_user_sgpr_queue_ptr 0
		.amdhsa_user_sgpr_kernarg_segment_ptr 1
		.amdhsa_user_sgpr_dispatch_id 0
		.amdhsa_user_sgpr_flat_scratch_init 1
		.amdhsa_user_sgpr_kernarg_preload_length 0
		.amdhsa_user_sgpr_kernarg_preload_offset 0
		.amdhsa_user_sgpr_private_segment_size 0
		.amdhsa_uses_dynamic_stack 0
		.amdhsa_system_sgpr_private_segment_wavefront_offset 1
		.amdhsa_system_sgpr_workgroup_id_x 1
		.amdhsa_system_sgpr_workgroup_id_y 1
		.amdhsa_system_sgpr_workgroup_id_z 1
		.amdhsa_system_sgpr_workgroup_info 0
		.amdhsa_system_vgpr_workitem_id 0
		.amdhsa_next_free_vgpr 76
		.amdhsa_next_free_sgpr 53
		.amdhsa_accum_offset 76
		.amdhsa_reserve_vcc 1
		.amdhsa_reserve_flat_scratch 0
		.amdhsa_float_round_mode_32 0
		.amdhsa_float_round_mode_16_64 0
		.amdhsa_float_denorm_mode_32 3
		.amdhsa_float_denorm_mode_16_64 3
		.amdhsa_dx10_clamp 1
		.amdhsa_ieee_mode 1
		.amdhsa_fp16_overflow 0
		.amdhsa_tg_split 0
		.amdhsa_exception_fp_ieee_invalid_op 0
		.amdhsa_exception_fp_denorm_src 0
		.amdhsa_exception_fp_ieee_div_zero 0
		.amdhsa_exception_fp_ieee_overflow 0
		.amdhsa_exception_fp_ieee_underflow 0
		.amdhsa_exception_fp_ieee_inexact 0
		.amdhsa_exception_int_div_zero 0
	.end_amdhsa_kernel
	.section	.text._Z39paged_attention_ll4mi_QKV_mfma16_kernelI14__hip_bfloat16hLN4vllm18Fp8KVCacheDataTypeE1ES0_Li16ELi128ELi256ELb0ELi6EL8MFMAType0EEvPKT_PKT0_S9_ifPKiSB_SB_iPKfiiiPfSE_PS4_PT2_iSD_SD_,"axG",@progbits,_Z39paged_attention_ll4mi_QKV_mfma16_kernelI14__hip_bfloat16hLN4vllm18Fp8KVCacheDataTypeE1ES0_Li16ELi128ELi256ELb0ELi6EL8MFMAType0EEvPKT_PKT0_S9_ifPKiSB_SB_iPKfiiiPfSE_PS4_PT2_iSD_SD_,comdat
.Lfunc_end915:
	.size	_Z39paged_attention_ll4mi_QKV_mfma16_kernelI14__hip_bfloat16hLN4vllm18Fp8KVCacheDataTypeE1ES0_Li16ELi128ELi256ELb0ELi6EL8MFMAType0EEvPKT_PKT0_S9_ifPKiSB_SB_iPKfiiiPfSE_PS4_PT2_iSD_SD_, .Lfunc_end915-_Z39paged_attention_ll4mi_QKV_mfma16_kernelI14__hip_bfloat16hLN4vllm18Fp8KVCacheDataTypeE1ES0_Li16ELi128ELi256ELb0ELi6EL8MFMAType0EEvPKT_PKT0_S9_ifPKiSB_SB_iPKfiiiPfSE_PS4_PT2_iSD_SD_
                                        ; -- End function
	.section	.AMDGPU.csdata,"",@progbits
; Kernel info:
; codeLenInByte = 22192
; NumSgprs: 57
; NumVgprs: 76
; NumAgprs: 0
; TotalNumVgprs: 76
; ScratchSize: 352
; MemoryBound: 0
; FloatMode: 240
; IeeeMode: 1
; LDSByteSize: 8192 bytes/workgroup (compile time only)
; SGPRBlocks: 7
; VGPRBlocks: 9
; NumSGPRsForWavesPerEU: 57
; NumVGPRsForWavesPerEU: 76
; AccumOffset: 76
; Occupancy: 6
; WaveLimiterHint : 1
; COMPUTE_PGM_RSRC2:SCRATCH_EN: 1
; COMPUTE_PGM_RSRC2:USER_SGPR: 8
; COMPUTE_PGM_RSRC2:TRAP_HANDLER: 0
; COMPUTE_PGM_RSRC2:TGID_X_EN: 1
; COMPUTE_PGM_RSRC2:TGID_Y_EN: 1
; COMPUTE_PGM_RSRC2:TGID_Z_EN: 1
; COMPUTE_PGM_RSRC2:TIDIG_COMP_CNT: 0
; COMPUTE_PGM_RSRC3_GFX90A:ACCUM_OFFSET: 18
; COMPUTE_PGM_RSRC3_GFX90A:TG_SPLIT: 0
	.section	.text._Z39paged_attention_ll4mi_QKV_mfma16_kernelI14__hip_bfloat16hLN4vllm18Fp8KVCacheDataTypeE1ES0_Li16ELi128ELi256ELb0ELi7EL8MFMAType0EEvPKT_PKT0_S9_ifPKiSB_SB_iPKfiiiPfSE_PS4_PT2_iSD_SD_,"axG",@progbits,_Z39paged_attention_ll4mi_QKV_mfma16_kernelI14__hip_bfloat16hLN4vllm18Fp8KVCacheDataTypeE1ES0_Li16ELi128ELi256ELb0ELi7EL8MFMAType0EEvPKT_PKT0_S9_ifPKiSB_SB_iPKfiiiPfSE_PS4_PT2_iSD_SD_,comdat
	.protected	_Z39paged_attention_ll4mi_QKV_mfma16_kernelI14__hip_bfloat16hLN4vllm18Fp8KVCacheDataTypeE1ES0_Li16ELi128ELi256ELb0ELi7EL8MFMAType0EEvPKT_PKT0_S9_ifPKiSB_SB_iPKfiiiPfSE_PS4_PT2_iSD_SD_ ; -- Begin function _Z39paged_attention_ll4mi_QKV_mfma16_kernelI14__hip_bfloat16hLN4vllm18Fp8KVCacheDataTypeE1ES0_Li16ELi128ELi256ELb0ELi7EL8MFMAType0EEvPKT_PKT0_S9_ifPKiSB_SB_iPKfiiiPfSE_PS4_PT2_iSD_SD_
	.globl	_Z39paged_attention_ll4mi_QKV_mfma16_kernelI14__hip_bfloat16hLN4vllm18Fp8KVCacheDataTypeE1ES0_Li16ELi128ELi256ELb0ELi7EL8MFMAType0EEvPKT_PKT0_S9_ifPKiSB_SB_iPKfiiiPfSE_PS4_PT2_iSD_SD_
	.p2align	8
	.type	_Z39paged_attention_ll4mi_QKV_mfma16_kernelI14__hip_bfloat16hLN4vllm18Fp8KVCacheDataTypeE1ES0_Li16ELi128ELi256ELb0ELi7EL8MFMAType0EEvPKT_PKT0_S9_ifPKiSB_SB_iPKfiiiPfSE_PS4_PT2_iSD_SD_,@function
_Z39paged_attention_ll4mi_QKV_mfma16_kernelI14__hip_bfloat16hLN4vllm18Fp8KVCacheDataTypeE1ES0_Li16ELi128ELi256ELb0ELi7EL8MFMAType0EEvPKT_PKT0_S9_ifPKiSB_SB_iPKfiiiPfSE_PS4_PT2_iSD_SD_: ; @_Z39paged_attention_ll4mi_QKV_mfma16_kernelI14__hip_bfloat16hLN4vllm18Fp8KVCacheDataTypeE1ES0_Li16ELi128ELi256ELb0ELi7EL8MFMAType0EEvPKT_PKT0_S9_ifPKiSB_SB_iPKfiiiPfSE_PS4_PT2_iSD_SD_
; %bb.0:
	s_load_dwordx2 s[6:7], s[4:5], 0x30
	s_add_u32 s0, s0, s11
	s_addc_u32 s1, s1, 0
	s_mov_b32 s24, s9
	s_mov_b64 s[12:13], 0
	s_waitcnt lgkmcnt(0)
	s_cmp_lg_u64 s[6:7], 0
	s_cselect_b64 s[16:17], -1, 0
	s_and_b64 vcc, exec, s[16:17]
	s_cbranch_vccz .LBB916_7
; %bb.1:
	s_add_i32 s14, s8, 1
	s_mov_b32 s15, 0
	s_lshl_b64 s[18:19], s[14:15], 2
	s_add_u32 s18, s6, s18
	s_mov_b32 s9, s15
	s_addc_u32 s19, s7, s19
	s_lshl_b64 s[14:15], s[8:9], 2
	s_add_u32 s14, s6, s14
	s_addc_u32 s15, s7, s15
	s_load_dword s11, s[18:19], 0x0
	s_load_dword s20, s[14:15], 0x0
	s_waitcnt lgkmcnt(0)
	s_sub_i32 s11, s11, s20
	s_cmp_eq_u32 s11, 1
	s_cselect_b64 s[14:15], -1, 0
	s_andn2_b64 vcc, exec, s[12:13]
	s_cbranch_vccnz .LBB916_3
.LBB916_2:
	s_mov_b32 s9, 0
	s_mov_b64 s[14:15], -1
.LBB916_3:
	s_andn2_b64 vcc, exec, s[14:15]
	s_cbranch_vccnz .LBB916_598
; %bb.4:
	s_load_dwordx2 s[12:13], s[4:5], 0x28
	s_lshl_b64 s[18:19], s[8:9], 2
	s_waitcnt lgkmcnt(0)
	s_add_u32 s12, s12, s18
	s_addc_u32 s13, s13, s19
	s_load_dword s33, s[12:13], 0x0
	s_lshl_b32 s20, s24, 8
	s_waitcnt lgkmcnt(0)
	s_cmp_ge_i32 s20, s33
	s_cbranch_scc1 .LBB916_598
; %bb.5:
	s_add_i32 s14, s33, 15
	s_load_dwordx2 s[12:13], s[4:5], 0x20
	s_load_dword s11, s[4:5], 0x38
	s_ashr_i32 s15, s14, 31
	v_and_b32_e32 v1, 0xcf, v0
	s_lshr_b32 s15, s15, 28
	v_add_u32_e32 v1, s20, v1
	s_add_i32 s14, s14, s15
	v_ashrrev_i32_e32 v2, 31, v1
	s_ashr_i32 s22, s14, 4
	v_lshrrev_b32_e32 v8, 28, v2
	s_add_i32 s22, s22, -1
	v_add_u32_e32 v2, v1, v8
	s_waitcnt lgkmcnt(0)
	s_mul_i32 s14, s8, s11
	s_mov_b32 s15, 0
	v_ashrrev_i32_e32 v2, 4, v2
	v_mov_b32_e32 v9, s22
	v_cmp_gt_i32_e32 vcc, s33, v1
	s_lshl_b64 s[14:15], s[14:15], 2
	v_cndmask_b32_e32 v2, v9, v2, vcc
	s_add_u32 s11, s12, s14
	v_ashrrev_i32_e32 v3, 31, v2
	s_addc_u32 s21, s13, s15
	v_lshlrev_b64 v[2:3], 2, v[2:3]
	v_mov_b32_e32 v5, s21
	v_add_co_u32_e32 v4, vcc, s11, v2
	v_or_b32_e32 v2, 16, v1
	v_addc_co_u32_e32 v5, vcc, v5, v3, vcc
	v_add_u32_e32 v3, v2, v8
	v_ashrrev_i32_e32 v3, 4, v3
	v_cmp_gt_i32_e32 vcc, s33, v2
	v_cndmask_b32_e32 v2, v9, v3, vcc
	v_ashrrev_i32_e32 v3, 31, v2
	v_lshlrev_b64 v[2:3], 2, v[2:3]
	v_mov_b32_e32 v7, s21
	v_add_co_u32_e32 v6, vcc, s11, v2
	v_or_b32_e32 v2, 32, v1
	v_addc_co_u32_e32 v7, vcc, v7, v3, vcc
	v_add_u32_e32 v3, v2, v8
	v_ashrrev_i32_e32 v3, 4, v3
	v_cmp_gt_i32_e32 vcc, s33, v2
	v_cndmask_b32_e32 v2, v9, v3, vcc
	v_ashrrev_i32_e32 v3, 31, v2
	;; [unrolled: 10-line block ×3, first 2 shown]
	v_lshlrev_b64 v[2:3], 2, v[2:3]
	v_mov_b32_e32 v1, s21
	v_add_co_u32_e32 v12, vcc, s11, v2
	v_addc_co_u32_e32 v13, vcc, v1, v3, vcc
	global_load_dword v2, v[4:5], off
	global_load_dword v9, v[6:7], off
	;; [unrolled: 1-line block ×4, first 2 shown]
	s_load_dwordx4 s[12:15], s[4:5], 0x8
	s_andn2_b64 vcc, exec, s[16:17]
	s_cbranch_vccnz .LBB916_8
; %bb.6:
	s_add_u32 s6, s6, s18
	s_addc_u32 s7, s7, s19
	s_load_dword s16, s[6:7], 0x0
	s_branch .LBB916_9
.LBB916_7:
	s_mov_b64 s[14:15], 0
	s_branch .LBB916_2
.LBB916_8:
	s_mov_b32 s16, s8
.LBB916_9:
	s_load_dwordx2 s[48:49], s[4:5], 0x68
	s_load_dwordx8 s[40:47], s[4:5], 0x48
	v_lshrrev_b32_e32 v60, 6, v0
	v_bfe_u32 v1, v0, 4, 2
	v_and_b32_e32 v55, 15, v0
	v_lshl_or_b32 v3, v60, 2, v1
	v_lshlrev_b32_e32 v4, 3, v55
	s_mul_i32 s25, s10, 7
	v_cmp_gt_u32_e32 vcc, 7, v3
	v_lshlrev_b32_e32 v54, 1, v4
	v_lshlrev_b32_e32 v56, 4, v0
	s_and_saveexec_b64 s[6:7], vcc
	s_cbranch_execz .LBB916_11
; %bb.10:
	s_load_dwordx2 s[18:19], s[4:5], 0x0
	s_waitcnt lgkmcnt(0)
	s_ashr_i32 s17, s40, 31
	s_mul_hi_u32 s23, s16, s40
	s_mul_i32 s17, s16, s17
	s_add_i32 s17, s23, s17
	s_mul_i32 s16, s16, s40
	s_lshl_b64 s[16:17], s[16:17], 1
	v_add_lshl_u32 v4, v3, s25, 7
	s_add_u32 s16, s18, s16
	v_ashrrev_i32_e32 v5, 31, v4
	s_addc_u32 s17, s19, s17
	v_lshlrev_b64 v[4:5], 1, v[4:5]
	v_mov_b32_e32 v6, s17
	v_add_co_u32_e32 v4, vcc, s16, v4
	v_addc_co_u32_e32 v5, vcc, v6, v5, vcc
	v_add_co_u32_e32 v4, vcc, v4, v54
	v_addc_co_u32_e32 v5, vcc, 0, v5, vcc
	global_load_dwordx4 v[4:7], v[4:5], off
	v_lshlrev_b32_e32 v11, 8, v0
	v_lshlrev_b32_e32 v10, 8, v55
	v_and_b32_e32 v11, 0x600, v11
	s_movk_i32 s16, 0x800
	v_and_or_b32 v10, v10, s16, v11
	v_lshlrev_b32_e32 v3, 5, v3
	v_and_b32_e32 v11, 16, v56
	v_or3_b32 v3, v10, v3, v11
	s_waitcnt vmcnt(0)
	ds_write_b128 v3, v[4:7]
.LBB916_11:
	s_or_b64 exec, exec, s[6:7]
	s_waitcnt lgkmcnt(0)
	s_mul_i32 s10, s10, s42
	s_add_u32 s6, s12, s10
	s_addc_u32 s7, s13, 0
	v_and_b32_e32 v3, 0xf0, v56
	v_mov_b32_e32 v4, s7
	v_add_co_u32_e32 v18, vcc, s6, v3
	v_and_b32_e32 v10, 48, v0
	v_addc_co_u32_e32 v19, vcc, 0, v4, vcc
	v_lshlrev_b32_e32 v21, 4, v10
	s_waitcnt vmcnt(3)
	v_mad_i64_i32 v[2:3], s[6:7], v2, s41, v[18:19]
	v_add_co_u32_e32 v6, vcc, v2, v21
	v_addc_co_u32_e32 v7, vcc, 0, v3, vcc
	v_or_b32_e32 v16, s20, v10
	v_ashrrev_i32_e32 v10, 4, v16
	v_mov_b32_e32 v17, s22
	v_cmp_gt_i32_e32 vcc, s33, v16
	v_cndmask_b32_e32 v10, v17, v10, vcc
	v_ashrrev_i32_e32 v11, 31, v10
	v_lshlrev_b64 v[10:11], 2, v[10:11]
	v_mov_b32_e32 v12, s21
	v_add_co_u32_e32 v10, vcc, s11, v10
	v_addc_co_u32_e32 v11, vcc, v12, v11, vcc
	v_or_b32_e32 v12, 64, v16
	v_ashrrev_i32_e32 v13, 4, v12
	v_cmp_gt_i32_e32 vcc, s33, v12
	v_cndmask_b32_e32 v12, v17, v13, vcc
	v_ashrrev_i32_e32 v13, 31, v12
	v_lshlrev_b64 v[12:13], 2, v[12:13]
	v_mov_b32_e32 v14, s21
	v_add_co_u32_e32 v12, vcc, s11, v12
	v_addc_co_u32_e32 v13, vcc, v14, v13, vcc
	v_or_b32_e32 v14, 0x80, v16
	v_ashrrev_i32_e32 v15, 4, v14
	v_cmp_gt_i32_e32 vcc, s33, v14
	v_cndmask_b32_e32 v14, v17, v15, vcc
	v_ashrrev_i32_e32 v15, 31, v14
	v_lshlrev_b64 v[14:15], 2, v[14:15]
	v_mov_b32_e32 v22, s21
	v_add_co_u32_e32 v14, vcc, s11, v14
	s_load_dwordx2 s[50:51], s[4:5], 0x94
	s_waitcnt lgkmcnt(0)
	s_barrier
	global_load_dwordx4 v[2:5], v[6:7], off
	v_addc_co_u32_e32 v15, vcc, v22, v15, vcc
	global_load_dword v50, v[10:11], off
	global_load_dword v57, v[12:13], off
	;; [unrolled: 1-line block ×3, first 2 shown]
	v_or_b32_e32 v10, 0xc0, v16
	v_ashrrev_i32_e32 v11, 4, v10
	v_cmp_gt_i32_e32 vcc, s33, v10
	v_cndmask_b32_e32 v10, v17, v11, vcc
	v_ashrrev_i32_e32 v11, 31, v10
	v_lshlrev_b64 v[10:11], 2, v[10:11]
	v_mov_b32_e32 v12, s21
	v_add_co_u32_e32 v10, vcc, s11, v10
	v_addc_co_u32_e32 v11, vcc, v12, v11, vcc
	global_load_dword v63, v[10:11], off
	global_load_dwordx4 v[14:17], v[6:7], off offset:1024
	s_waitcnt vmcnt(8)
	v_mad_i64_i32 v[6:7], s[6:7], v9, s41, v[18:19]
	v_add_co_u32_e32 v6, vcc, v6, v21
	v_addc_co_u32_e32 v7, vcc, 0, v7, vcc
	global_load_dwordx4 v[46:49], v[6:7], off
	global_load_dwordx4 v[10:13], v[6:7], off offset:1024
	s_waitcnt vmcnt(9)
	v_mad_i64_i32 v[6:7], s[6:7], v8, s41, v[18:19]
	v_add_co_u32_e32 v22, vcc, v6, v21
	v_addc_co_u32_e32 v23, vcc, 0, v7, vcc
	global_load_dwordx4 v[6:9], v[22:23], off
	s_add_u32 s10, s14, s10
	v_lshl_or_b32 v61, v60, 4, v55
	s_addc_u32 s11, s15, 0
	v_lshlrev_b32_e32 v51, 4, v61
	s_mov_b32 s12, 0
	s_waitcnt vmcnt(8)
	buffer_store_dword v5, off, s[0:3], 0 offset:12
	buffer_store_dword v4, off, s[0:3], 0 offset:8
	v_mad_i64_i32 v[4:5], s[6:7], v20, s41, v[18:19]
	v_add_co_u32_e32 v4, vcc, v4, v21
	v_addc_co_u32_e32 v5, vcc, 0, v5, vcc
	global_load_dwordx4 v[22:25], v[22:23], off offset:1024
	s_nop 0
	global_load_dwordx4 v[26:29], v[4:5], off
	global_load_dwordx4 v[18:21], v[4:5], off offset:1024
	v_mov_b32_e32 v5, s11
	v_add_co_u32_e32 v4, vcc, s10, v51
	v_addc_co_u32_e32 v5, vcc, 0, v5, vcc
	s_waitcnt vmcnt(12)
	v_mad_i64_i32 v[30:31], s[6:7], v50, s41, v[4:5]
	s_waitcnt vmcnt(11)
	v_mad_i64_i32 v[32:33], s[6:7], v57, s41, v[4:5]
	;; [unrolled: 2-line block ×3, first 2 shown]
	global_load_dwordx4 v[34:37], v[30:31], off
	s_nop 0
	global_load_dwordx4 v[30:33], v[32:33], off
	s_waitcnt vmcnt(11)
	v_mad_i64_i32 v[4:5], s[6:7], v63, s41, v[4:5]
	global_load_dwordx4 v[42:45], v[38:39], off
	s_nop 0
	global_load_dwordx4 v[38:41], v[4:5], off
	v_or_b32_e32 v4, 0x400, v51
	v_mov_b32_e32 v5, s11
	v_add_co_u32_e32 v4, vcc, s10, v4
	v_addc_co_u32_e32 v5, vcc, 0, v5, vcc
	v_mad_i64_i32 v[50:51], s[6:7], v50, s41, v[4:5]
	buffer_store_dword v3, off, s[0:3], 0 offset:4
	buffer_store_dword v2, off, s[0:3], 0
	v_mad_i64_i32 v[2:3], s[6:7], v62, s41, v[4:5]
	global_load_dwordx4 v[50:53], v[50:51], off
	v_mad_i64_i32 v[58:59], s[6:7], v57, s41, v[4:5]
	global_load_dwordx4 v[68:71], v[2:3], off
	;; [unrolled: 2-line block ×3, first 2 shown]
	global_load_dwordx4 v[72:75], v[2:3], off
	v_mov_b32_e32 v2, 0x80
	s_waitcnt vmcnt(18)
	buffer_store_dword v17, off, s[0:3], 0 offset:28
	buffer_store_dword v16, off, s[0:3], 0 offset:24
	;; [unrolled: 1-line block ×4, first 2 shown]
	s_waitcnt vmcnt(21)
	buffer_store_dword v49, off, s[0:3], 0 offset:44
	buffer_store_dword v48, off, s[0:3], 0 offset:40
	;; [unrolled: 1-line block ×4, first 2 shown]
	v_add_u32_e32 v47, 16, v2
	v_add_u32_e32 v46, 32, v2
	;; [unrolled: 1-line block ×7, first 2 shown]
	v_mul_lo_u16_e32 v2, 37, v55
	v_mov_b32_e32 v3, 7
	s_load_dword s6, s[4:5], 0x1c
	s_load_dwordx4 s[40:43], s[4:5], 0x80
	v_mul_lo_u16_sdwa v2, v2, v3 dst_sel:DWORD dst_unused:UNUSED_PAD src0_sel:BYTE_1 src1_sel:DWORD
	v_sub_u16_e32 v2, v55, v2
	v_mov_b32_e32 v3, 5
	v_lshlrev_b32_sdwa v2, v3, v2 dst_sel:DWORD dst_unused:UNUSED_PAD src0_sel:DWORD src1_sel:BYTE_0
	s_waitcnt vmcnt(24)
	buffer_store_dword v13, off, s[0:3], 0 offset:60
	buffer_store_dword v12, off, s[0:3], 0 offset:56
	;; [unrolled: 1-line block ×4, first 2 shown]
	s_waitcnt vmcnt(27)
	buffer_store_dword v9, off, s[0:3], 0 offset:76
	buffer_store_dword v8, off, s[0:3], 0 offset:72
	;; [unrolled: 1-line block ×4, first 2 shown]
	v_lshl_add_u32 v14, v1, 9, v2
	ds_read_b128 v[2:5], v14
	ds_read_b128 v[6:9], v14 offset:16
	ds_read_b128 v[10:13], v14 offset:2048
	;; [unrolled: 1-line block ×3, first 2 shown]
	s_waitcnt vmcnt(28)
	buffer_store_dword v25, off, s[0:3], 0 offset:92
	buffer_store_dword v24, off, s[0:3], 0 offset:88
	buffer_store_dword v23, off, s[0:3], 0 offset:84
	buffer_store_dword v22, off, s[0:3], 0 offset:80
	s_waitcnt vmcnt(31)
	buffer_store_dword v29, off, s[0:3], 0 offset:108
	buffer_store_dword v28, off, s[0:3], 0 offset:104
	buffer_store_dword v27, off, s[0:3], 0 offset:100
	buffer_store_dword v26, off, s[0:3], 0 offset:96
	;; [unrolled: 5-line block ×9, first 2 shown]
	buffer_store_dword v71, off, s[0:3], 0 offset:220
	buffer_store_dword v70, off, s[0:3], 0 offset:216
	;; [unrolled: 1-line block ×4, first 2 shown]
	s_waitcnt vmcnt(56)
	buffer_store_dword v75, off, s[0:3], 0 offset:252
	s_waitcnt lgkmcnt(0)
	s_load_dword s4, s[40:41], 0x0
	v_mov_b32_e32 v18, s6
	v_and_b32_e32 v62, 63, v0
	s_movk_i32 s13, 0x80
	v_mov_b32_e32 v27, 0
	s_waitcnt lgkmcnt(0)
	v_mul_f32_e32 v22, s4, v18
	v_mov_b32_e32 v24, v22
	v_mov_b32_e32 v25, v22
	s_movk_i32 s14, 0x7f
	s_mov_b32 s15, 0xffffff
	s_mov_b32 s16, 0x5040100
	v_mov_b32_e32 v29, 0x100
	v_mov_b32_e32 v31, 0
	v_bfrev_b32_e32 v33, 60
	buffer_store_dword v74, off, s[0:3], 0 offset:248
	buffer_store_dword v73, off, s[0:3], 0 offset:244
	;; [unrolled: 1-line block ×3, first 2 shown]
	s_branch .LBB916_15
.LBB916_12:                             ;   in Loop: Header=BB916_15 Depth=1
	s_or_b64 exec, exec, s[10:11]
.LBB916_13:                             ;   in Loop: Header=BB916_15 Depth=1
	s_or_b64 exec, exec, s[6:7]
.LBB916_14:                             ;   in Loop: Header=BB916_15 Depth=1
	s_or_b64 exec, exec, s[4:5]
	v_perm_b32 v41, v36, v32, s16
	v_perm_b32 v40, v23, v34, s16
	;; [unrolled: 1-line block ×4, first 2 shown]
	v_add_u32_e32 v26, s12, v29
	v_mfma_f32_16x16x16bf16_1k v[18:21], v[40:41], v[14:15], v[18:21]
	s_add_i32 s12, s12, 16
	v_mov_b32_e32 v23, v22
	s_cmp_eq_u32 s12, 64
	v_add_u32_e32 v27, 32, v27
	v_mfma_f32_16x16x16bf16_1k v[18:21], v[36:37], v[16:17], v[18:21]
	s_nop 7
	s_nop 2
	v_pk_mul_f32 v[18:19], v[24:25], v[18:19]
	v_pk_mul_f32 v[20:21], v[22:23], v[20:21]
	buffer_store_dword v19, v26, s[0:3], 0 offen offset:4
	buffer_store_dword v18, v26, s[0:3], 0 offen
	buffer_store_dword v21, v26, s[0:3], 0 offen offset:12
	buffer_store_dword v20, v26, s[0:3], 0 offen offset:8
	s_cbranch_scc1 .LBB916_205
.LBB916_15:                             ; =>This Inner Loop Header: Depth=1
	buffer_load_dword v20, v27, s[0:3], 0 offen
	buffer_load_dword v18, v27, s[0:3], 0 offen offset:4
	buffer_load_dword v28, v27, s[0:3], 0 offen offset:8
	;; [unrolled: 1-line block ×3, first 2 shown]
	v_mov_b32_e32 v19, 0
	s_waitcnt vmcnt(3)
	v_cmp_ne_u16_sdwa s[6:7], v20, v31 src0_sel:BYTE_0 src1_sel:DWORD
	s_and_saveexec_b64 s[4:5], s[6:7]
	s_cbranch_execz .LBB916_21
; %bb.16:                               ;   in Loop: Header=BB916_15 Depth=1
	v_cmp_ne_u16_sdwa s[10:11], v20, s13 src0_sel:BYTE_0 src1_sel:DWORD
	v_mov_b32_e32 v19, 0xffff8000
	s_and_saveexec_b64 s[6:7], s[10:11]
	s_cbranch_execz .LBB916_20
; %bb.17:                               ;   in Loop: Header=BB916_15 Depth=1
	v_and_b32_e32 v21, 0x7f, v20
	v_cmp_ne_u32_e32 vcc, s14, v21
	v_mov_b32_e32 v19, 0x7f80
	s_and_saveexec_b64 s[10:11], vcc
	s_cbranch_execz .LBB916_19
; %bb.18:                               ;   in Loop: Header=BB916_15 Depth=1
	v_and_b32_e32 v19, 7, v20
	v_ffbh_u32_e32 v30, v19
	v_min_u32_e32 v30, 32, v30
	v_subrev_u32_e32 v32, 28, v30
	v_lshlrev_b64 v[34:35], v32, v[20:21]
	v_lshrrev_b32_e32 v23, 3, v21
	v_sub_u32_e32 v30, 29, v30
	v_and_b32_e32 v32, 7, v34
	v_cmp_gt_u32_e32 vcc, 8, v21
	v_cndmask_b32_e32 v21, v23, v30, vcc
	v_cndmask_b32_e32 v19, v19, v32, vcc
	v_lshlrev_b32_e32 v23, 24, v20
	v_lshlrev_b32_e32 v19, 20, v19
	v_and_b32_e32 v23, 0x80000000, v23
	v_lshl_add_u32 v21, v21, 23, v33
	v_or3_b32 v19, v23, v21, v19
	v_lshrrev_b32_e32 v19, 16, v19
.LBB916_19:                             ;   in Loop: Header=BB916_15 Depth=1
	s_or_b64 exec, exec, s[10:11]
.LBB916_20:                             ;   in Loop: Header=BB916_15 Depth=1
	s_or_b64 exec, exec, s[6:7]
.LBB916_21:                             ;   in Loop: Header=BB916_15 Depth=1
	s_or_b64 exec, exec, s[4:5]
	v_lshrrev_b16_e32 v30, 8, v20
	v_cmp_ne_u16_e32 vcc, 0, v30
	v_mov_b32_e32 v23, 0
	v_mov_b32_e32 v21, 0
	s_and_saveexec_b64 s[4:5], vcc
	s_cbranch_execz .LBB916_27
; %bb.22:                               ;   in Loop: Header=BB916_15 Depth=1
	v_cmp_ne_u16_e32 vcc, s13, v30
	v_mov_b32_e32 v21, 0xffff8000
	s_and_saveexec_b64 s[6:7], vcc
	s_cbranch_execz .LBB916_26
; %bb.23:                               ;   in Loop: Header=BB916_15 Depth=1
	v_and_b32_e32 v32, 0x7f, v30
	v_cmp_ne_u32_e32 vcc, s14, v32
	v_mov_b32_e32 v21, 0x7f80
	s_and_saveexec_b64 s[10:11], vcc
	s_cbranch_execz .LBB916_25
; %bb.24:                               ;   in Loop: Header=BB916_15 Depth=1
	v_and_b32_e32 v21, 7, v30
	v_ffbh_u32_e32 v34, v21
	v_min_u32_e32 v37, 32, v34
	v_subrev_u32_e32 v34, 28, v37
	v_lshlrev_b64 v[34:35], v34, v[30:31]
	v_lshrrev_b32_e32 v36, 3, v32
	v_sub_u32_e32 v30, 29, v37
	v_and_b32_e32 v34, 7, v34
	v_cmp_gt_u32_e32 vcc, 8, v32
	v_cndmask_b32_e32 v30, v36, v30, vcc
	v_cndmask_b32_e32 v21, v21, v34, vcc
	v_lshlrev_b32_e32 v32, 16, v20
	v_lshlrev_b32_e32 v21, 20, v21
	v_and_b32_e32 v32, 0x80000000, v32
	v_lshl_add_u32 v30, v30, 23, v33
	v_or3_b32 v21, v32, v30, v21
	v_lshrrev_b32_e32 v21, 16, v21
.LBB916_25:                             ;   in Loop: Header=BB916_15 Depth=1
	s_or_b64 exec, exec, s[10:11]
.LBB916_26:                             ;   in Loop: Header=BB916_15 Depth=1
	s_or_b64 exec, exec, s[6:7]
.LBB916_27:                             ;   in Loop: Header=BB916_15 Depth=1
	s_or_b64 exec, exec, s[4:5]
	v_lshrrev_b32_e32 v30, 16, v20
	v_cmp_ne_u16_sdwa s[6:7], v30, v31 src0_sel:BYTE_0 src1_sel:DWORD
	s_and_saveexec_b64 s[4:5], s[6:7]
	s_cbranch_execz .LBB916_33
; %bb.28:                               ;   in Loop: Header=BB916_15 Depth=1
	v_cmp_ne_u16_sdwa s[10:11], v30, s13 src0_sel:BYTE_0 src1_sel:DWORD
	v_mov_b32_e32 v23, 0xffff8000
	s_and_saveexec_b64 s[6:7], s[10:11]
	s_cbranch_execz .LBB916_32
; %bb.29:                               ;   in Loop: Header=BB916_15 Depth=1
	v_bfe_u32 v32, v20, 16, 7
	v_cmp_ne_u32_e32 vcc, s14, v32
	v_mov_b32_e32 v23, 0x7f80
	s_and_saveexec_b64 s[10:11], vcc
	s_cbranch_execz .LBB916_31
; %bb.30:                               ;   in Loop: Header=BB916_15 Depth=1
	v_and_b32_e32 v23, 7, v30
	v_ffbh_u32_e32 v34, v23
	v_min_u32_e32 v37, 32, v34
	v_subrev_u32_e32 v34, 28, v37
	v_lshlrev_b64 v[34:35], v34, v[30:31]
	v_lshrrev_b32_e32 v36, 3, v32
	v_sub_u32_e32 v35, 29, v37
	v_and_b32_e32 v34, 7, v34
	v_cmp_gt_u32_e32 vcc, 8, v32
	v_cndmask_b32_e32 v32, v36, v35, vcc
	v_cndmask_b32_e32 v23, v23, v34, vcc
	v_lshlrev_b32_e32 v30, 24, v30
	v_lshlrev_b32_e32 v23, 20, v23
	v_and_b32_e32 v30, 0x80000000, v30
	v_lshl_add_u32 v32, v32, 23, v33
	v_or3_b32 v23, v30, v32, v23
	v_lshrrev_b32_e32 v23, 16, v23
.LBB916_31:                             ;   in Loop: Header=BB916_15 Depth=1
	s_or_b64 exec, exec, s[10:11]
.LBB916_32:                             ;   in Loop: Header=BB916_15 Depth=1
	s_or_b64 exec, exec, s[6:7]
.LBB916_33:                             ;   in Loop: Header=BB916_15 Depth=1
	s_or_b64 exec, exec, s[4:5]
	v_cmp_lt_u32_e32 vcc, s15, v20
	v_mov_b32_e32 v34, 0
	v_mov_b32_e32 v35, 0
	s_and_saveexec_b64 s[4:5], vcc
	s_cbranch_execz .LBB916_39
; %bb.34:                               ;   in Loop: Header=BB916_15 Depth=1
	v_lshrrev_b32_e32 v30, 24, v20
	v_cmp_ne_u32_e32 vcc, s13, v30
	v_mov_b32_e32 v35, 0xffff8000
	s_and_saveexec_b64 s[6:7], vcc
	s_cbranch_execz .LBB916_38
; %bb.35:                               ;   in Loop: Header=BB916_15 Depth=1
	v_bfe_u32 v20, v20, 24, 7
	v_cmp_ne_u32_e32 vcc, s14, v20
	v_mov_b32_e32 v35, 0x7f80
	s_and_saveexec_b64 s[10:11], vcc
	s_cbranch_execz .LBB916_37
; %bb.36:                               ;   in Loop: Header=BB916_15 Depth=1
	v_and_b32_e32 v32, 7, v30
	v_ffbh_u32_e32 v36, v32
	v_min_u32_e32 v38, 32, v36
	v_subrev_u32_e32 v36, 28, v38
	v_lshlrev_b64 v[36:37], v36, v[30:31]
	v_lshrrev_b32_e32 v35, 3, v20
	v_sub_u32_e32 v37, 29, v38
	v_and_b32_e32 v36, 7, v36
	v_cmp_gt_u32_e32 vcc, 8, v20
	v_cndmask_b32_e32 v20, v35, v37, vcc
	v_cndmask_b32_e32 v32, v32, v36, vcc
	v_lshlrev_b32_e32 v30, 24, v30
	v_lshlrev_b32_e32 v32, 20, v32
	v_and_b32_e32 v30, 0x80000000, v30
	v_lshl_add_u32 v20, v20, 23, v33
	v_or3_b32 v20, v30, v20, v32
	v_lshrrev_b32_e32 v35, 16, v20
.LBB916_37:                             ;   in Loop: Header=BB916_15 Depth=1
	s_or_b64 exec, exec, s[10:11]
.LBB916_38:                             ;   in Loop: Header=BB916_15 Depth=1
	s_or_b64 exec, exec, s[6:7]
.LBB916_39:                             ;   in Loop: Header=BB916_15 Depth=1
	s_or_b64 exec, exec, s[4:5]
	s_waitcnt vmcnt(2)
	v_cmp_ne_u16_sdwa s[6:7], v18, v31 src0_sel:BYTE_0 src1_sel:DWORD
	s_and_saveexec_b64 s[4:5], s[6:7]
	s_cbranch_execz .LBB916_45
; %bb.40:                               ;   in Loop: Header=BB916_15 Depth=1
	v_cmp_ne_u16_sdwa s[10:11], v18, s13 src0_sel:BYTE_0 src1_sel:DWORD
	v_mov_b32_e32 v34, 0xffff8000
	s_and_saveexec_b64 s[6:7], s[10:11]
	s_cbranch_execz .LBB916_44
; %bb.41:                               ;   in Loop: Header=BB916_15 Depth=1
	v_and_b32_e32 v20, 0x7f, v18
	v_cmp_ne_u32_e32 vcc, s14, v20
	v_mov_b32_e32 v34, 0x7f80
	s_and_saveexec_b64 s[10:11], vcc
	s_cbranch_execz .LBB916_43
; %bb.42:                               ;   in Loop: Header=BB916_15 Depth=1
	v_and_b32_e32 v30, 7, v18
	v_ffbh_u32_e32 v34, v30
	v_min_u32_e32 v34, 32, v34
	v_subrev_u32_e32 v36, 28, v34
	v_lshlrev_b64 v[36:37], v36, v[18:19]
	v_lshrrev_b32_e32 v32, 3, v20
	v_sub_u32_e32 v34, 29, v34
	v_and_b32_e32 v36, 7, v36
	v_cmp_gt_u32_e32 vcc, 8, v20
	v_cndmask_b32_e32 v20, v32, v34, vcc
	v_cndmask_b32_e32 v30, v30, v36, vcc
	v_lshlrev_b32_e32 v32, 24, v18
	v_lshlrev_b32_e32 v30, 20, v30
	v_and_b32_e32 v32, 0x80000000, v32
	v_lshl_add_u32 v20, v20, 23, v33
	v_or3_b32 v20, v32, v20, v30
	v_lshrrev_b32_e32 v34, 16, v20
.LBB916_43:                             ;   in Loop: Header=BB916_15 Depth=1
	s_or_b64 exec, exec, s[10:11]
.LBB916_44:                             ;   in Loop: Header=BB916_15 Depth=1
	s_or_b64 exec, exec, s[6:7]
.LBB916_45:                             ;   in Loop: Header=BB916_15 Depth=1
	s_or_b64 exec, exec, s[4:5]
	v_lshrrev_b16_e32 v20, 8, v18
	v_cmp_ne_u16_e32 vcc, 0, v20
	v_mov_b32_e32 v36, 0
	v_mov_b32_e32 v30, 0
	s_and_saveexec_b64 s[4:5], vcc
	s_cbranch_execz .LBB916_51
; %bb.46:                               ;   in Loop: Header=BB916_15 Depth=1
	v_cmp_ne_u16_e32 vcc, s13, v20
	v_mov_b32_e32 v30, 0xffff8000
	s_and_saveexec_b64 s[6:7], vcc
	s_cbranch_execz .LBB916_50
; %bb.47:                               ;   in Loop: Header=BB916_15 Depth=1
	v_and_b32_e32 v32, 0x7f, v20
	v_cmp_ne_u32_e32 vcc, s14, v32
	v_mov_b32_e32 v30, 0x7f80
	s_and_saveexec_b64 s[10:11], vcc
	s_cbranch_execz .LBB916_49
; %bb.48:                               ;   in Loop: Header=BB916_15 Depth=1
	v_and_b32_e32 v30, 7, v20
	v_ffbh_u32_e32 v38, v30
	v_min_u32_e32 v40, 32, v38
	v_subrev_u32_e32 v38, 28, v40
	v_lshlrev_b64 v[38:39], v38, v[20:21]
	v_lshrrev_b32_e32 v37, 3, v32
	v_sub_u32_e32 v20, 29, v40
	v_and_b32_e32 v38, 7, v38
	v_cmp_gt_u32_e32 vcc, 8, v32
	v_cndmask_b32_e32 v20, v37, v20, vcc
	v_cndmask_b32_e32 v30, v30, v38, vcc
	v_lshlrev_b32_e32 v32, 16, v18
	v_lshlrev_b32_e32 v30, 20, v30
	v_and_b32_e32 v32, 0x80000000, v32
	v_lshl_add_u32 v20, v20, 23, v33
	v_or3_b32 v20, v32, v20, v30
	v_lshrrev_b32_e32 v30, 16, v20
.LBB916_49:                             ;   in Loop: Header=BB916_15 Depth=1
	s_or_b64 exec, exec, s[10:11]
.LBB916_50:                             ;   in Loop: Header=BB916_15 Depth=1
	s_or_b64 exec, exec, s[6:7]
.LBB916_51:                             ;   in Loop: Header=BB916_15 Depth=1
	s_or_b64 exec, exec, s[4:5]
	v_lshrrev_b32_e32 v20, 16, v18
	v_cmp_ne_u16_sdwa s[6:7], v20, v31 src0_sel:BYTE_0 src1_sel:DWORD
	s_and_saveexec_b64 s[4:5], s[6:7]
	s_cbranch_execz .LBB916_57
; %bb.52:                               ;   in Loop: Header=BB916_15 Depth=1
	v_cmp_ne_u16_sdwa s[10:11], v20, s13 src0_sel:BYTE_0 src1_sel:DWORD
	v_mov_b32_e32 v36, 0xffff8000
	s_and_saveexec_b64 s[6:7], s[10:11]
	s_cbranch_execz .LBB916_56
; %bb.53:                               ;   in Loop: Header=BB916_15 Depth=1
	v_bfe_u32 v32, v18, 16, 7
	v_cmp_ne_u32_e32 vcc, s14, v32
	v_mov_b32_e32 v36, 0x7f80
	s_and_saveexec_b64 s[10:11], vcc
	s_cbranch_execz .LBB916_55
; %bb.54:                               ;   in Loop: Header=BB916_15 Depth=1
	v_and_b32_e32 v38, 7, v20
	v_ffbh_u32_e32 v36, v38
	v_min_u32_e32 v40, 32, v36
	v_subrev_u32_e32 v36, 28, v40
	v_lshlrev_b64 v[36:37], v36, v[20:21]
	v_lshrrev_b32_e32 v39, 3, v32
	v_sub_u32_e32 v37, 29, v40
	v_and_b32_e32 v36, 7, v36
	v_cmp_gt_u32_e32 vcc, 8, v32
	v_cndmask_b32_e32 v32, v39, v37, vcc
	v_cndmask_b32_e32 v36, v38, v36, vcc
	v_lshlrev_b32_e32 v20, 24, v20
	v_lshlrev_b32_e32 v36, 20, v36
	v_and_b32_e32 v20, 0x80000000, v20
	v_lshl_add_u32 v32, v32, 23, v33
	v_or3_b32 v20, v20, v32, v36
	v_lshrrev_b32_e32 v36, 16, v20
.LBB916_55:                             ;   in Loop: Header=BB916_15 Depth=1
	s_or_b64 exec, exec, s[10:11]
.LBB916_56:                             ;   in Loop: Header=BB916_15 Depth=1
	s_or_b64 exec, exec, s[6:7]
.LBB916_57:                             ;   in Loop: Header=BB916_15 Depth=1
	s_or_b64 exec, exec, s[4:5]
	v_cmp_lt_u32_e32 vcc, s15, v18
	v_mov_b32_e32 v32, 0
	v_mov_b32_e32 v37, 0
	s_and_saveexec_b64 s[4:5], vcc
	s_cbranch_execz .LBB916_63
; %bb.58:                               ;   in Loop: Header=BB916_15 Depth=1
	v_lshrrev_b32_e32 v20, 24, v18
	v_cmp_ne_u32_e32 vcc, s13, v20
	v_mov_b32_e32 v37, 0xffff8000
	s_and_saveexec_b64 s[6:7], vcc
	s_cbranch_execz .LBB916_62
; %bb.59:                               ;   in Loop: Header=BB916_15 Depth=1
	v_bfe_u32 v18, v18, 24, 7
	v_cmp_ne_u32_e32 vcc, s14, v18
	v_mov_b32_e32 v37, 0x7f80
	s_and_saveexec_b64 s[10:11], vcc
	s_cbranch_execz .LBB916_61
; %bb.60:                               ;   in Loop: Header=BB916_15 Depth=1
	v_and_b32_e32 v37, 7, v20
	v_ffbh_u32_e32 v38, v37
	v_min_u32_e32 v41, 32, v38
	v_subrev_u32_e32 v38, 28, v41
	v_lshlrev_b64 v[38:39], v38, v[20:21]
	v_lshrrev_b32_e32 v40, 3, v18
	v_sub_u32_e32 v39, 29, v41
	v_and_b32_e32 v38, 7, v38
	v_cmp_gt_u32_e32 vcc, 8, v18
	v_cndmask_b32_e32 v18, v40, v39, vcc
	v_cndmask_b32_e32 v37, v37, v38, vcc
	v_lshlrev_b32_e32 v20, 24, v20
	v_lshlrev_b32_e32 v37, 20, v37
	v_and_b32_e32 v20, 0x80000000, v20
	v_lshl_add_u32 v18, v18, 23, v33
	v_or3_b32 v18, v20, v18, v37
	v_lshrrev_b32_e32 v37, 16, v18
.LBB916_61:                             ;   in Loop: Header=BB916_15 Depth=1
	s_or_b64 exec, exec, s[10:11]
.LBB916_62:                             ;   in Loop: Header=BB916_15 Depth=1
	s_or_b64 exec, exec, s[6:7]
.LBB916_63:                             ;   in Loop: Header=BB916_15 Depth=1
	s_or_b64 exec, exec, s[4:5]
	v_perm_b32 v39, v35, v23, s16
	v_perm_b32 v38, v21, v19, s16
	;; [unrolled: 1-line block ×4, first 2 shown]
	s_waitcnt vmcnt(1)
	v_cmp_ne_u16_sdwa s[6:7], v28, v31 src0_sel:BYTE_0 src1_sel:DWORD
	v_mfma_f32_16x16x16bf16_1k v[18:21], v[38:39], v[2:3], 0
	v_mfma_f32_16x16x16bf16_1k v[18:21], v[34:35], v[4:5], v[18:21]
	s_and_saveexec_b64 s[4:5], s[6:7]
	s_cbranch_execz .LBB916_69
; %bb.64:                               ;   in Loop: Header=BB916_15 Depth=1
	v_cmp_ne_u16_sdwa s[10:11], v28, s13 src0_sel:BYTE_0 src1_sel:DWORD
	v_mov_b32_e32 v32, 0xffff8000
	s_and_saveexec_b64 s[6:7], s[10:11]
	s_cbranch_execz .LBB916_68
; %bb.65:                               ;   in Loop: Header=BB916_15 Depth=1
	v_and_b32_e32 v23, 0x7f, v28
	v_cmp_ne_u32_e32 vcc, s14, v23
	v_mov_b32_e32 v32, 0x7f80
	s_and_saveexec_b64 s[10:11], vcc
	s_cbranch_execz .LBB916_67
; %bb.66:                               ;   in Loop: Header=BB916_15 Depth=1
	v_and_b32_e32 v30, 7, v28
	v_ffbh_u32_e32 v34, v30
	v_min_u32_e32 v36, 32, v34
	v_subrev_u32_e32 v34, 28, v36
	v_lshlrev_b64 v[34:35], v34, v[28:29]
	v_lshrrev_b32_e32 v32, 3, v23
	v_sub_u32_e32 v35, 29, v36
	v_and_b32_e32 v34, 7, v34
	v_cmp_gt_u32_e32 vcc, 8, v23
	v_cndmask_b32_e32 v23, v32, v35, vcc
	v_cndmask_b32_e32 v30, v30, v34, vcc
	v_lshlrev_b32_e32 v32, 24, v28
	v_lshlrev_b32_e32 v30, 20, v30
	v_and_b32_e32 v32, 0x80000000, v32
	v_lshl_add_u32 v23, v23, 23, v33
	v_or3_b32 v23, v32, v23, v30
	v_lshrrev_b32_e32 v32, 16, v23
.LBB916_67:                             ;   in Loop: Header=BB916_15 Depth=1
	s_or_b64 exec, exec, s[10:11]
.LBB916_68:                             ;   in Loop: Header=BB916_15 Depth=1
	s_or_b64 exec, exec, s[6:7]
.LBB916_69:                             ;   in Loop: Header=BB916_15 Depth=1
	s_or_b64 exec, exec, s[4:5]
	v_lshrrev_b16_e32 v30, 8, v28
	v_cmp_ne_u16_e32 vcc, 0, v30
	v_mov_b32_e32 v35, 0
	v_mov_b32_e32 v34, 0
	s_and_saveexec_b64 s[4:5], vcc
	s_cbranch_execz .LBB916_75
; %bb.70:                               ;   in Loop: Header=BB916_15 Depth=1
	v_cmp_ne_u16_e32 vcc, s13, v30
	v_mov_b32_e32 v34, 0xffff8000
	s_and_saveexec_b64 s[6:7], vcc
	s_cbranch_execz .LBB916_74
; %bb.71:                               ;   in Loop: Header=BB916_15 Depth=1
	v_and_b32_e32 v23, 0x7f, v30
	v_cmp_ne_u32_e32 vcc, s14, v23
	v_mov_b32_e32 v34, 0x7f80
	s_and_saveexec_b64 s[10:11], vcc
	s_cbranch_execz .LBB916_73
; %bb.72:                               ;   in Loop: Header=BB916_15 Depth=1
	v_and_b32_e32 v34, 7, v30
	v_ffbh_u32_e32 v36, v34
	v_min_u32_e32 v39, 32, v36
	v_subrev_u32_e32 v36, 28, v39
	v_lshlrev_b64 v[36:37], v36, v[30:31]
	v_lshrrev_b32_e32 v38, 3, v23
	v_sub_u32_e32 v30, 29, v39
	v_and_b32_e32 v36, 7, v36
	v_cmp_gt_u32_e32 vcc, 8, v23
	v_cndmask_b32_e32 v23, v38, v30, vcc
	v_cndmask_b32_e32 v30, v34, v36, vcc
	v_lshlrev_b32_e32 v34, 16, v28
	v_lshlrev_b32_e32 v30, 20, v30
	v_and_b32_e32 v34, 0x80000000, v34
	v_lshl_add_u32 v23, v23, 23, v33
	v_or3_b32 v23, v34, v23, v30
	v_lshrrev_b32_e32 v34, 16, v23
.LBB916_73:                             ;   in Loop: Header=BB916_15 Depth=1
	s_or_b64 exec, exec, s[10:11]
.LBB916_74:                             ;   in Loop: Header=BB916_15 Depth=1
	s_or_b64 exec, exec, s[6:7]
.LBB916_75:                             ;   in Loop: Header=BB916_15 Depth=1
	s_or_b64 exec, exec, s[4:5]
	v_lshrrev_b32_e32 v30, 16, v28
	v_cmp_ne_u16_sdwa s[6:7], v30, v31 src0_sel:BYTE_0 src1_sel:DWORD
	s_and_saveexec_b64 s[4:5], s[6:7]
	s_cbranch_execz .LBB916_81
; %bb.76:                               ;   in Loop: Header=BB916_15 Depth=1
	v_cmp_ne_u16_sdwa s[10:11], v30, s13 src0_sel:BYTE_0 src1_sel:DWORD
	v_mov_b32_e32 v35, 0xffff8000
	s_and_saveexec_b64 s[6:7], s[10:11]
	s_cbranch_execz .LBB916_80
; %bb.77:                               ;   in Loop: Header=BB916_15 Depth=1
	v_bfe_u32 v23, v28, 16, 7
	v_cmp_ne_u32_e32 vcc, s14, v23
	v_mov_b32_e32 v35, 0x7f80
	s_and_saveexec_b64 s[10:11], vcc
	s_cbranch_execz .LBB916_79
; %bb.78:                               ;   in Loop: Header=BB916_15 Depth=1
	v_and_b32_e32 v35, 7, v30
	v_ffbh_u32_e32 v36, v35
	v_min_u32_e32 v39, 32, v36
	v_subrev_u32_e32 v36, 28, v39
	v_lshlrev_b64 v[36:37], v36, v[30:31]
	v_lshrrev_b32_e32 v38, 3, v23
	v_sub_u32_e32 v37, 29, v39
	v_and_b32_e32 v36, 7, v36
	v_cmp_gt_u32_e32 vcc, 8, v23
	v_cndmask_b32_e32 v23, v38, v37, vcc
	v_cndmask_b32_e32 v35, v35, v36, vcc
	v_lshlrev_b32_e32 v30, 24, v30
	v_lshlrev_b32_e32 v35, 20, v35
	v_and_b32_e32 v30, 0x80000000, v30
	v_lshl_add_u32 v23, v23, 23, v33
	v_or3_b32 v23, v30, v23, v35
	v_lshrrev_b32_e32 v35, 16, v23
.LBB916_79:                             ;   in Loop: Header=BB916_15 Depth=1
	s_or_b64 exec, exec, s[10:11]
.LBB916_80:                             ;   in Loop: Header=BB916_15 Depth=1
	s_or_b64 exec, exec, s[6:7]
.LBB916_81:                             ;   in Loop: Header=BB916_15 Depth=1
	s_or_b64 exec, exec, s[4:5]
	v_cmp_lt_u32_e32 vcc, s15, v28
	v_mov_b32_e32 v36, 0
	v_mov_b32_e32 v37, 0
	s_and_saveexec_b64 s[4:5], vcc
	s_cbranch_execz .LBB916_87
; %bb.82:                               ;   in Loop: Header=BB916_15 Depth=1
	v_lshrrev_b32_e32 v30, 24, v28
	v_cmp_ne_u32_e32 vcc, s13, v30
	v_mov_b32_e32 v37, 0xffff8000
	s_and_saveexec_b64 s[6:7], vcc
	s_cbranch_execz .LBB916_86
; %bb.83:                               ;   in Loop: Header=BB916_15 Depth=1
	v_bfe_u32 v23, v28, 24, 7
	v_cmp_ne_u32_e32 vcc, s14, v23
	v_mov_b32_e32 v37, 0x7f80
	s_and_saveexec_b64 s[10:11], vcc
	s_cbranch_execz .LBB916_85
; %bb.84:                               ;   in Loop: Header=BB916_15 Depth=1
	v_and_b32_e32 v28, 7, v30
	v_ffbh_u32_e32 v38, v28
	v_min_u32_e32 v40, 32, v38
	v_subrev_u32_e32 v38, 28, v40
	v_lshlrev_b64 v[38:39], v38, v[30:31]
	v_lshrrev_b32_e32 v37, 3, v23
	v_sub_u32_e32 v39, 29, v40
	v_and_b32_e32 v38, 7, v38
	v_cmp_gt_u32_e32 vcc, 8, v23
	v_cndmask_b32_e32 v23, v37, v39, vcc
	v_cndmask_b32_e32 v28, v28, v38, vcc
	v_lshlrev_b32_e32 v30, 24, v30
	v_lshlrev_b32_e32 v28, 20, v28
	v_and_b32_e32 v30, 0x80000000, v30
	v_lshl_add_u32 v23, v23, 23, v33
	v_or3_b32 v23, v30, v23, v28
	v_lshrrev_b32_e32 v37, 16, v23
.LBB916_85:                             ;   in Loop: Header=BB916_15 Depth=1
	s_or_b64 exec, exec, s[10:11]
.LBB916_86:                             ;   in Loop: Header=BB916_15 Depth=1
	s_or_b64 exec, exec, s[6:7]
.LBB916_87:                             ;   in Loop: Header=BB916_15 Depth=1
	s_or_b64 exec, exec, s[4:5]
	s_waitcnt vmcnt(0)
	v_cmp_ne_u16_sdwa s[6:7], v26, v31 src0_sel:BYTE_0 src1_sel:DWORD
	s_and_saveexec_b64 s[4:5], s[6:7]
	s_cbranch_execz .LBB916_93
; %bb.88:                               ;   in Loop: Header=BB916_15 Depth=1
	v_cmp_ne_u16_sdwa s[10:11], v26, s13 src0_sel:BYTE_0 src1_sel:DWORD
	v_mov_b32_e32 v36, 0xffff8000
	s_and_saveexec_b64 s[6:7], s[10:11]
	s_cbranch_execz .LBB916_92
; %bb.89:                               ;   in Loop: Header=BB916_15 Depth=1
	v_and_b32_e32 v23, 0x7f, v26
	v_cmp_ne_u32_e32 vcc, s14, v23
	v_mov_b32_e32 v36, 0x7f80
	s_and_saveexec_b64 s[10:11], vcc
	s_cbranch_execz .LBB916_91
; %bb.90:                               ;   in Loop: Header=BB916_15 Depth=1
	v_and_b32_e32 v28, 7, v26
	v_ffbh_u32_e32 v36, v28
	v_min_u32_e32 v36, 32, v36
	v_subrev_u32_e32 v38, 28, v36
	v_lshlrev_b64 v[38:39], v38, v[26:27]
	v_lshrrev_b32_e32 v30, 3, v23
	v_sub_u32_e32 v36, 29, v36
	v_and_b32_e32 v38, 7, v38
	v_cmp_gt_u32_e32 vcc, 8, v23
	v_cndmask_b32_e32 v23, v30, v36, vcc
	v_cndmask_b32_e32 v28, v28, v38, vcc
	v_lshlrev_b32_e32 v30, 24, v26
	v_lshlrev_b32_e32 v28, 20, v28
	v_and_b32_e32 v30, 0x80000000, v30
	v_lshl_add_u32 v23, v23, 23, v33
	v_or3_b32 v23, v30, v23, v28
	v_lshrrev_b32_e32 v36, 16, v23
.LBB916_91:                             ;   in Loop: Header=BB916_15 Depth=1
	s_or_b64 exec, exec, s[10:11]
.LBB916_92:                             ;   in Loop: Header=BB916_15 Depth=1
	s_or_b64 exec, exec, s[6:7]
.LBB916_93:                             ;   in Loop: Header=BB916_15 Depth=1
	s_or_b64 exec, exec, s[4:5]
	v_lshrrev_b16_e32 v28, 8, v26
	v_cmp_ne_u16_e32 vcc, 0, v28
	v_mov_b32_e32 v39, 0
	v_mov_b32_e32 v38, 0
	s_and_saveexec_b64 s[4:5], vcc
	s_cbranch_execz .LBB916_99
; %bb.94:                               ;   in Loop: Header=BB916_15 Depth=1
	v_cmp_ne_u16_e32 vcc, s13, v28
	v_mov_b32_e32 v38, 0xffff8000
	s_and_saveexec_b64 s[6:7], vcc
	s_cbranch_execz .LBB916_98
; %bb.95:                               ;   in Loop: Header=BB916_15 Depth=1
	v_and_b32_e32 v23, 0x7f, v28
	v_cmp_ne_u32_e32 vcc, s14, v23
	v_mov_b32_e32 v38, 0x7f80
	s_and_saveexec_b64 s[10:11], vcc
	s_cbranch_execz .LBB916_97
; %bb.96:                               ;   in Loop: Header=BB916_15 Depth=1
	v_and_b32_e32 v30, 7, v28
	v_ffbh_u32_e32 v40, v30
	v_min_u32_e32 v42, 32, v40
	v_subrev_u32_e32 v40, 28, v42
	v_lshlrev_b64 v[40:41], v40, v[28:29]
	v_lshrrev_b32_e32 v38, 3, v23
	v_sub_u32_e32 v28, 29, v42
	v_and_b32_e32 v40, 7, v40
	v_cmp_gt_u32_e32 vcc, 8, v23
	v_cndmask_b32_e32 v23, v38, v28, vcc
	v_cndmask_b32_e32 v28, v30, v40, vcc
	v_lshlrev_b32_e32 v30, 16, v26
	v_lshlrev_b32_e32 v28, 20, v28
	v_and_b32_e32 v30, 0x80000000, v30
	v_lshl_add_u32 v23, v23, 23, v33
	v_or3_b32 v23, v30, v23, v28
	v_lshrrev_b32_e32 v38, 16, v23
.LBB916_97:                             ;   in Loop: Header=BB916_15 Depth=1
	s_or_b64 exec, exec, s[10:11]
.LBB916_98:                             ;   in Loop: Header=BB916_15 Depth=1
	s_or_b64 exec, exec, s[6:7]
.LBB916_99:                             ;   in Loop: Header=BB916_15 Depth=1
	s_or_b64 exec, exec, s[4:5]
	v_lshrrev_b32_e32 v28, 16, v26
	v_cmp_ne_u16_sdwa s[6:7], v28, v31 src0_sel:BYTE_0 src1_sel:DWORD
	s_and_saveexec_b64 s[4:5], s[6:7]
	s_cbranch_execz .LBB916_105
; %bb.100:                              ;   in Loop: Header=BB916_15 Depth=1
	v_cmp_ne_u16_sdwa s[10:11], v28, s13 src0_sel:BYTE_0 src1_sel:DWORD
	v_mov_b32_e32 v39, 0xffff8000
	s_and_saveexec_b64 s[6:7], s[10:11]
	s_cbranch_execz .LBB916_104
; %bb.101:                              ;   in Loop: Header=BB916_15 Depth=1
	v_bfe_u32 v23, v26, 16, 7
	v_cmp_ne_u32_e32 vcc, s14, v23
	v_mov_b32_e32 v39, 0x7f80
	s_and_saveexec_b64 s[10:11], vcc
	s_cbranch_execz .LBB916_103
; %bb.102:                              ;   in Loop: Header=BB916_15 Depth=1
	v_and_b32_e32 v30, 7, v28
	v_ffbh_u32_e32 v40, v30
	v_min_u32_e32 v42, 32, v40
	v_subrev_u32_e32 v40, 28, v42
	v_lshlrev_b64 v[40:41], v40, v[28:29]
	v_lshrrev_b32_e32 v39, 3, v23
	v_sub_u32_e32 v41, 29, v42
	v_and_b32_e32 v40, 7, v40
	v_cmp_gt_u32_e32 vcc, 8, v23
	v_cndmask_b32_e32 v23, v39, v41, vcc
	v_cndmask_b32_e32 v30, v30, v40, vcc
	v_lshlrev_b32_e32 v28, 24, v28
	v_lshlrev_b32_e32 v30, 20, v30
	v_and_b32_e32 v28, 0x80000000, v28
	v_lshl_add_u32 v23, v23, 23, v33
	v_or3_b32 v23, v28, v23, v30
	v_lshrrev_b32_e32 v39, 16, v23
.LBB916_103:                            ;   in Loop: Header=BB916_15 Depth=1
	s_or_b64 exec, exec, s[10:11]
.LBB916_104:                            ;   in Loop: Header=BB916_15 Depth=1
	s_or_b64 exec, exec, s[6:7]
.LBB916_105:                            ;   in Loop: Header=BB916_15 Depth=1
	s_or_b64 exec, exec, s[4:5]
	v_cmp_lt_u32_e32 vcc, s15, v26
	v_mov_b32_e32 v23, 0
	v_mov_b32_e32 v40, 0
	s_and_saveexec_b64 s[4:5], vcc
	s_cbranch_execz .LBB916_111
; %bb.106:                              ;   in Loop: Header=BB916_15 Depth=1
	v_lshrrev_b32_e32 v28, 24, v26
	v_cmp_ne_u32_e32 vcc, s13, v28
	v_mov_b32_e32 v40, 0xffff8000
	s_and_saveexec_b64 s[6:7], vcc
	s_cbranch_execz .LBB916_110
; %bb.107:                              ;   in Loop: Header=BB916_15 Depth=1
	v_bfe_u32 v26, v26, 24, 7
	v_cmp_ne_u32_e32 vcc, s14, v26
	v_mov_b32_e32 v40, 0x7f80
	s_and_saveexec_b64 s[10:11], vcc
	s_cbranch_execz .LBB916_109
; %bb.108:                              ;   in Loop: Header=BB916_15 Depth=1
	v_and_b32_e32 v30, 7, v28
	v_ffbh_u32_e32 v40, v30
	v_min_u32_e32 v43, 32, v40
	v_subrev_u32_e32 v40, 28, v43
	v_lshlrev_b64 v[40:41], v40, v[28:29]
	v_lshrrev_b32_e32 v42, 3, v26
	v_sub_u32_e32 v41, 29, v43
	v_and_b32_e32 v40, 7, v40
	v_cmp_gt_u32_e32 vcc, 8, v26
	v_cndmask_b32_e32 v26, v42, v41, vcc
	v_cndmask_b32_e32 v30, v30, v40, vcc
	v_lshlrev_b32_e32 v28, 24, v28
	v_lshlrev_b32_e32 v30, 20, v30
	v_and_b32_e32 v28, 0x80000000, v28
	v_lshl_add_u32 v26, v26, 23, v33
	v_or3_b32 v26, v28, v26, v30
	v_lshrrev_b32_e32 v40, 16, v26
.LBB916_109:                            ;   in Loop: Header=BB916_15 Depth=1
	s_or_b64 exec, exec, s[10:11]
.LBB916_110:                            ;   in Loop: Header=BB916_15 Depth=1
	s_or_b64 exec, exec, s[6:7]
.LBB916_111:                            ;   in Loop: Header=BB916_15 Depth=1
	s_or_b64 exec, exec, s[4:5]
	v_perm_b32 v34, v34, v32, s16
	buffer_load_dword v32, v27, s[0:3], 0 offen offset:16
	buffer_load_dword v30, v27, s[0:3], 0 offen offset:20
	buffer_load_dword v28, v27, s[0:3], 0 offen offset:24
	buffer_load_dword v26, v27, s[0:3], 0 offen offset:28
	v_perm_b32 v35, v37, v35, s16
	s_waitcnt vmcnt(3)
	v_cmp_ne_u16_sdwa s[6:7], v32, v31 src0_sel:BYTE_0 src1_sel:DWORD
	v_mfma_f32_16x16x16bf16_1k v[18:21], v[34:35], v[6:7], v[18:21]
	v_perm_b32 v35, v40, v39, s16
	v_perm_b32 v34, v38, v36, s16
	s_nop 1
	v_mfma_f32_16x16x16bf16_1k v[18:21], v[34:35], v[8:9], v[18:21]
	s_and_saveexec_b64 s[4:5], s[6:7]
	s_cbranch_execz .LBB916_117
; %bb.112:                              ;   in Loop: Header=BB916_15 Depth=1
	v_cmp_ne_u16_sdwa s[10:11], v32, s13 src0_sel:BYTE_0 src1_sel:DWORD
	v_mov_b32_e32 v23, 0xffff8000
	s_and_saveexec_b64 s[6:7], s[10:11]
	s_cbranch_execz .LBB916_116
; %bb.113:                              ;   in Loop: Header=BB916_15 Depth=1
	v_and_b32_e32 v34, 0x7f, v32
	v_cmp_ne_u32_e32 vcc, s14, v34
	v_mov_b32_e32 v23, 0x7f80
	s_and_saveexec_b64 s[10:11], vcc
	s_cbranch_execz .LBB916_115
; %bb.114:                              ;   in Loop: Header=BB916_15 Depth=1
	v_and_b32_e32 v23, 7, v32
	v_ffbh_u32_e32 v36, v23
	v_min_u32_e32 v38, 32, v36
	v_subrev_u32_e32 v36, 28, v38
	v_lshlrev_b64 v[36:37], v36, v[32:33]
	v_lshrrev_b32_e32 v35, 3, v34
	v_sub_u32_e32 v37, 29, v38
	v_and_b32_e32 v36, 7, v36
	v_cmp_gt_u32_e32 vcc, 8, v34
	v_cndmask_b32_e32 v34, v35, v37, vcc
	v_cndmask_b32_e32 v23, v23, v36, vcc
	v_lshlrev_b32_e32 v35, 24, v32
	v_lshlrev_b32_e32 v23, 20, v23
	v_and_b32_e32 v35, 0x80000000, v35
	v_lshl_add_u32 v34, v34, 23, v33
	v_or3_b32 v23, v35, v34, v23
	v_lshrrev_b32_e32 v23, 16, v23
.LBB916_115:                            ;   in Loop: Header=BB916_15 Depth=1
	s_or_b64 exec, exec, s[10:11]
.LBB916_116:                            ;   in Loop: Header=BB916_15 Depth=1
	s_or_b64 exec, exec, s[6:7]
.LBB916_117:                            ;   in Loop: Header=BB916_15 Depth=1
	s_or_b64 exec, exec, s[4:5]
	v_lshrrev_b16_e32 v34, 8, v32
	v_cmp_ne_u16_e32 vcc, 0, v34
	v_mov_b32_e32 v36, 0
	v_mov_b32_e32 v35, 0
	s_and_saveexec_b64 s[4:5], vcc
	s_cbranch_execz .LBB916_123
; %bb.118:                              ;   in Loop: Header=BB916_15 Depth=1
	v_cmp_ne_u16_e32 vcc, s13, v34
	v_mov_b32_e32 v35, 0xffff8000
	s_and_saveexec_b64 s[6:7], vcc
	s_cbranch_execz .LBB916_122
; %bb.119:                              ;   in Loop: Header=BB916_15 Depth=1
	v_and_b32_e32 v37, 0x7f, v34
	v_cmp_ne_u32_e32 vcc, s14, v37
	v_mov_b32_e32 v35, 0x7f80
	s_and_saveexec_b64 s[10:11], vcc
	s_cbranch_execz .LBB916_121
; %bb.120:                              ;   in Loop: Header=BB916_15 Depth=1
	v_and_b32_e32 v38, 7, v34
	v_ffbh_u32_e32 v35, v38
	v_min_u32_e32 v40, 32, v35
	v_subrev_u32_e32 v35, 28, v40
	v_lshlrev_b64 v[34:35], v35, v[34:35]
	v_lshrrev_b32_e32 v39, 3, v37
	v_sub_u32_e32 v35, 29, v40
	v_and_b32_e32 v34, 7, v34
	v_cmp_gt_u32_e32 vcc, 8, v37
	v_cndmask_b32_e32 v35, v39, v35, vcc
	v_cndmask_b32_e32 v34, v38, v34, vcc
	v_lshlrev_b32_e32 v37, 16, v32
	v_lshlrev_b32_e32 v34, 20, v34
	v_and_b32_e32 v37, 0x80000000, v37
	v_lshl_add_u32 v35, v35, 23, v33
	v_or3_b32 v34, v37, v35, v34
	v_lshrrev_b32_e32 v35, 16, v34
.LBB916_121:                            ;   in Loop: Header=BB916_15 Depth=1
	s_or_b64 exec, exec, s[10:11]
.LBB916_122:                            ;   in Loop: Header=BB916_15 Depth=1
	s_or_b64 exec, exec, s[6:7]
.LBB916_123:                            ;   in Loop: Header=BB916_15 Depth=1
	s_or_b64 exec, exec, s[4:5]
	v_lshrrev_b32_e32 v34, 16, v32
	v_cmp_ne_u16_sdwa s[6:7], v34, v31 src0_sel:BYTE_0 src1_sel:DWORD
	s_and_saveexec_b64 s[4:5], s[6:7]
	s_cbranch_execz .LBB916_129
; %bb.124:                              ;   in Loop: Header=BB916_15 Depth=1
	v_cmp_ne_u16_sdwa s[10:11], v34, s13 src0_sel:BYTE_0 src1_sel:DWORD
	v_mov_b32_e32 v36, 0xffff8000
	s_and_saveexec_b64 s[6:7], s[10:11]
	s_cbranch_execz .LBB916_128
; %bb.125:                              ;   in Loop: Header=BB916_15 Depth=1
	v_bfe_u32 v37, v32, 16, 7
	v_cmp_ne_u32_e32 vcc, s14, v37
	v_mov_b32_e32 v36, 0x7f80
	s_and_saveexec_b64 s[10:11], vcc
	s_cbranch_execz .LBB916_127
; %bb.126:                              ;   in Loop: Header=BB916_15 Depth=1
	v_and_b32_e32 v36, 7, v34
	v_ffbh_u32_e32 v38, v36
	v_min_u32_e32 v41, 32, v38
	v_subrev_u32_e32 v38, 28, v41
	v_lshlrev_b64 v[38:39], v38, v[34:35]
	v_lshrrev_b32_e32 v40, 3, v37
	v_sub_u32_e32 v39, 29, v41
	v_and_b32_e32 v38, 7, v38
	v_cmp_gt_u32_e32 vcc, 8, v37
	v_cndmask_b32_e32 v37, v40, v39, vcc
	v_cndmask_b32_e32 v36, v36, v38, vcc
	v_lshlrev_b32_e32 v34, 24, v34
	v_lshlrev_b32_e32 v36, 20, v36
	v_and_b32_e32 v34, 0x80000000, v34
	v_lshl_add_u32 v37, v37, 23, v33
	v_or3_b32 v34, v34, v37, v36
	v_lshrrev_b32_e32 v36, 16, v34
.LBB916_127:                            ;   in Loop: Header=BB916_15 Depth=1
	s_or_b64 exec, exec, s[10:11]
.LBB916_128:                            ;   in Loop: Header=BB916_15 Depth=1
	s_or_b64 exec, exec, s[6:7]
.LBB916_129:                            ;   in Loop: Header=BB916_15 Depth=1
	s_or_b64 exec, exec, s[4:5]
	v_cmp_lt_u32_e32 vcc, s15, v32
	v_mov_b32_e32 v37, 0
	v_mov_b32_e32 v38, 0
	s_and_saveexec_b64 s[4:5], vcc
	s_cbranch_execz .LBB916_135
; %bb.130:                              ;   in Loop: Header=BB916_15 Depth=1
	v_lshrrev_b32_e32 v34, 24, v32
	v_cmp_ne_u32_e32 vcc, s13, v34
	v_mov_b32_e32 v38, 0xffff8000
	s_and_saveexec_b64 s[6:7], vcc
	s_cbranch_execz .LBB916_134
; %bb.131:                              ;   in Loop: Header=BB916_15 Depth=1
	v_bfe_u32 v32, v32, 24, 7
	v_cmp_ne_u32_e32 vcc, s14, v32
	v_mov_b32_e32 v38, 0x7f80
	s_and_saveexec_b64 s[10:11], vcc
	s_cbranch_execz .LBB916_133
; %bb.132:                              ;   in Loop: Header=BB916_15 Depth=1
	v_and_b32_e32 v40, 7, v34
	v_ffbh_u32_e32 v38, v40
	v_min_u32_e32 v42, 32, v38
	v_subrev_u32_e32 v38, 28, v42
	v_lshlrev_b64 v[38:39], v38, v[34:35]
	v_lshrrev_b32_e32 v41, 3, v32
	v_sub_u32_e32 v39, 29, v42
	v_and_b32_e32 v38, 7, v38
	v_cmp_gt_u32_e32 vcc, 8, v32
	v_cndmask_b32_e32 v32, v41, v39, vcc
	v_cndmask_b32_e32 v38, v40, v38, vcc
	v_lshlrev_b32_e32 v34, 24, v34
	v_lshlrev_b32_e32 v38, 20, v38
	v_and_b32_e32 v34, 0x80000000, v34
	v_lshl_add_u32 v32, v32, 23, v33
	v_or3_b32 v32, v34, v32, v38
	v_lshrrev_b32_e32 v38, 16, v32
.LBB916_133:                            ;   in Loop: Header=BB916_15 Depth=1
	s_or_b64 exec, exec, s[10:11]
.LBB916_134:                            ;   in Loop: Header=BB916_15 Depth=1
	s_or_b64 exec, exec, s[6:7]
.LBB916_135:                            ;   in Loop: Header=BB916_15 Depth=1
	s_or_b64 exec, exec, s[4:5]
	s_waitcnt vmcnt(2)
	v_cmp_ne_u16_sdwa s[6:7], v30, v31 src0_sel:BYTE_0 src1_sel:DWORD
	s_and_saveexec_b64 s[4:5], s[6:7]
	s_cbranch_execz .LBB916_141
; %bb.136:                              ;   in Loop: Header=BB916_15 Depth=1
	v_cmp_ne_u16_sdwa s[10:11], v30, s13 src0_sel:BYTE_0 src1_sel:DWORD
	v_mov_b32_e32 v37, 0xffff8000
	s_and_saveexec_b64 s[6:7], s[10:11]
	s_cbranch_execz .LBB916_140
; %bb.137:                              ;   in Loop: Header=BB916_15 Depth=1
	v_and_b32_e32 v32, 0x7f, v30
	v_cmp_ne_u32_e32 vcc, s14, v32
	v_mov_b32_e32 v37, 0x7f80
	s_and_saveexec_b64 s[10:11], vcc
	s_cbranch_execz .LBB916_139
; %bb.138:                              ;   in Loop: Header=BB916_15 Depth=1
	v_and_b32_e32 v34, 7, v30
	v_ffbh_u32_e32 v39, v34
	v_min_u32_e32 v39, 32, v39
	v_subrev_u32_e32 v40, 28, v39
	v_lshlrev_b64 v[40:41], v40, v[30:31]
	v_lshrrev_b32_e32 v37, 3, v32
	v_sub_u32_e32 v39, 29, v39
	v_and_b32_e32 v40, 7, v40
	v_cmp_gt_u32_e32 vcc, 8, v32
	v_cndmask_b32_e32 v32, v37, v39, vcc
	v_cndmask_b32_e32 v34, v34, v40, vcc
	v_lshlrev_b32_e32 v37, 24, v30
	v_lshlrev_b32_e32 v34, 20, v34
	v_and_b32_e32 v37, 0x80000000, v37
	v_lshl_add_u32 v32, v32, 23, v33
	v_or3_b32 v32, v37, v32, v34
	v_lshrrev_b32_e32 v37, 16, v32
.LBB916_139:                            ;   in Loop: Header=BB916_15 Depth=1
	s_or_b64 exec, exec, s[10:11]
.LBB916_140:                            ;   in Loop: Header=BB916_15 Depth=1
	s_or_b64 exec, exec, s[6:7]
.LBB916_141:                            ;   in Loop: Header=BB916_15 Depth=1
	s_or_b64 exec, exec, s[4:5]
	v_lshrrev_b16_e32 v32, 8, v30
	v_cmp_ne_u16_e32 vcc, 0, v32
	v_mov_b32_e32 v40, 0
	v_mov_b32_e32 v39, 0
	s_and_saveexec_b64 s[4:5], vcc
	s_cbranch_execz .LBB916_147
; %bb.142:                              ;   in Loop: Header=BB916_15 Depth=1
	v_cmp_ne_u16_e32 vcc, s13, v32
	v_mov_b32_e32 v39, 0xffff8000
	s_and_saveexec_b64 s[6:7], vcc
	s_cbranch_execz .LBB916_146
; %bb.143:                              ;   in Loop: Header=BB916_15 Depth=1
	v_and_b32_e32 v34, 0x7f, v32
	v_cmp_ne_u32_e32 vcc, s14, v34
	v_mov_b32_e32 v39, 0x7f80
	s_and_saveexec_b64 s[10:11], vcc
	s_cbranch_execz .LBB916_145
; %bb.144:                              ;   in Loop: Header=BB916_15 Depth=1
	v_and_b32_e32 v39, 7, v32
	v_ffbh_u32_e32 v42, v39
	v_min_u32_e32 v44, 32, v42
	v_subrev_u32_e32 v42, 28, v44
	v_lshlrev_b64 v[42:43], v42, v[32:33]
	v_lshrrev_b32_e32 v41, 3, v34
	v_sub_u32_e32 v32, 29, v44
	v_and_b32_e32 v42, 7, v42
	v_cmp_gt_u32_e32 vcc, 8, v34
	v_cndmask_b32_e32 v32, v41, v32, vcc
	v_cndmask_b32_e32 v34, v39, v42, vcc
	v_lshlrev_b32_e32 v39, 16, v30
	v_lshlrev_b32_e32 v34, 20, v34
	v_and_b32_e32 v39, 0x80000000, v39
	v_lshl_add_u32 v32, v32, 23, v33
	v_or3_b32 v32, v39, v32, v34
	v_lshrrev_b32_e32 v39, 16, v32
.LBB916_145:                            ;   in Loop: Header=BB916_15 Depth=1
	s_or_b64 exec, exec, s[10:11]
.LBB916_146:                            ;   in Loop: Header=BB916_15 Depth=1
	s_or_b64 exec, exec, s[6:7]
.LBB916_147:                            ;   in Loop: Header=BB916_15 Depth=1
	s_or_b64 exec, exec, s[4:5]
	v_lshrrev_b32_e32 v32, 16, v30
	v_cmp_ne_u16_sdwa s[6:7], v32, v31 src0_sel:BYTE_0 src1_sel:DWORD
	s_and_saveexec_b64 s[4:5], s[6:7]
	s_cbranch_execz .LBB916_153
; %bb.148:                              ;   in Loop: Header=BB916_15 Depth=1
	v_cmp_ne_u16_sdwa s[10:11], v32, s13 src0_sel:BYTE_0 src1_sel:DWORD
	v_mov_b32_e32 v40, 0xffff8000
	s_and_saveexec_b64 s[6:7], s[10:11]
	s_cbranch_execz .LBB916_152
; %bb.149:                              ;   in Loop: Header=BB916_15 Depth=1
	v_bfe_u32 v34, v30, 16, 7
	v_cmp_ne_u32_e32 vcc, s14, v34
	v_mov_b32_e32 v40, 0x7f80
	s_and_saveexec_b64 s[10:11], vcc
	s_cbranch_execz .LBB916_151
; %bb.150:                              ;   in Loop: Header=BB916_15 Depth=1
	v_and_b32_e32 v42, 7, v32
	v_ffbh_u32_e32 v40, v42
	v_min_u32_e32 v44, 32, v40
	v_subrev_u32_e32 v40, 28, v44
	v_lshlrev_b64 v[40:41], v40, v[32:33]
	v_lshrrev_b32_e32 v43, 3, v34
	v_sub_u32_e32 v41, 29, v44
	v_and_b32_e32 v40, 7, v40
	v_cmp_gt_u32_e32 vcc, 8, v34
	v_cndmask_b32_e32 v34, v43, v41, vcc
	v_cndmask_b32_e32 v40, v42, v40, vcc
	v_lshlrev_b32_e32 v32, 24, v32
	v_lshlrev_b32_e32 v40, 20, v40
	v_and_b32_e32 v32, 0x80000000, v32
	v_lshl_add_u32 v34, v34, 23, v33
	v_or3_b32 v32, v32, v34, v40
	v_lshrrev_b32_e32 v40, 16, v32
.LBB916_151:                            ;   in Loop: Header=BB916_15 Depth=1
	s_or_b64 exec, exec, s[10:11]
.LBB916_152:                            ;   in Loop: Header=BB916_15 Depth=1
	s_or_b64 exec, exec, s[6:7]
.LBB916_153:                            ;   in Loop: Header=BB916_15 Depth=1
	s_or_b64 exec, exec, s[4:5]
	v_cmp_lt_u32_e32 vcc, s15, v30
	v_mov_b32_e32 v34, 0
	v_mov_b32_e32 v41, 0
	s_and_saveexec_b64 s[4:5], vcc
	s_cbranch_execz .LBB916_159
; %bb.154:                              ;   in Loop: Header=BB916_15 Depth=1
	v_lshrrev_b32_e32 v32, 24, v30
	v_cmp_ne_u32_e32 vcc, s13, v32
	v_mov_b32_e32 v41, 0xffff8000
	s_and_saveexec_b64 s[6:7], vcc
	s_cbranch_execz .LBB916_158
; %bb.155:                              ;   in Loop: Header=BB916_15 Depth=1
	v_bfe_u32 v30, v30, 24, 7
	v_cmp_ne_u32_e32 vcc, s14, v30
	v_mov_b32_e32 v41, 0x7f80
	s_and_saveexec_b64 s[10:11], vcc
	s_cbranch_execz .LBB916_157
; %bb.156:                              ;   in Loop: Header=BB916_15 Depth=1
	v_and_b32_e32 v41, 7, v32
	v_ffbh_u32_e32 v42, v41
	v_min_u32_e32 v45, 32, v42
	v_subrev_u32_e32 v42, 28, v45
	v_lshlrev_b64 v[42:43], v42, v[32:33]
	v_lshrrev_b32_e32 v44, 3, v30
	v_sub_u32_e32 v43, 29, v45
	v_and_b32_e32 v42, 7, v42
	v_cmp_gt_u32_e32 vcc, 8, v30
	v_cndmask_b32_e32 v30, v44, v43, vcc
	v_cndmask_b32_e32 v41, v41, v42, vcc
	v_lshlrev_b32_e32 v32, 24, v32
	v_lshlrev_b32_e32 v41, 20, v41
	v_and_b32_e32 v32, 0x80000000, v32
	v_lshl_add_u32 v30, v30, 23, v33
	v_or3_b32 v30, v32, v30, v41
	v_lshrrev_b32_e32 v41, 16, v30
.LBB916_157:                            ;   in Loop: Header=BB916_15 Depth=1
	s_or_b64 exec, exec, s[10:11]
.LBB916_158:                            ;   in Loop: Header=BB916_15 Depth=1
	s_or_b64 exec, exec, s[6:7]
.LBB916_159:                            ;   in Loop: Header=BB916_15 Depth=1
	s_or_b64 exec, exec, s[4:5]
	v_perm_b32 v43, v38, v36, s16
	v_perm_b32 v42, v35, v23, s16
	;; [unrolled: 1-line block ×4, first 2 shown]
	s_waitcnt vmcnt(1)
	v_cmp_ne_u16_sdwa s[6:7], v28, v31 src0_sel:BYTE_0 src1_sel:DWORD
	v_mfma_f32_16x16x16bf16_1k v[18:21], v[42:43], v[10:11], v[18:21]
	v_mfma_f32_16x16x16bf16_1k v[18:21], v[40:41], v[12:13], v[18:21]
	s_and_saveexec_b64 s[4:5], s[6:7]
	s_cbranch_execz .LBB916_165
; %bb.160:                              ;   in Loop: Header=BB916_15 Depth=1
	v_cmp_ne_u16_sdwa s[10:11], v28, s13 src0_sel:BYTE_0 src1_sel:DWORD
	v_mov_b32_e32 v34, 0xffff8000
	s_and_saveexec_b64 s[6:7], s[10:11]
	s_cbranch_execz .LBB916_164
; %bb.161:                              ;   in Loop: Header=BB916_15 Depth=1
	v_and_b32_e32 v23, 0x7f, v28
	v_cmp_ne_u32_e32 vcc, s14, v23
	v_mov_b32_e32 v34, 0x7f80
	s_and_saveexec_b64 s[10:11], vcc
	s_cbranch_execz .LBB916_163
; %bb.162:                              ;   in Loop: Header=BB916_15 Depth=1
	v_and_b32_e32 v30, 7, v28
	v_ffbh_u32_e32 v34, v30
	v_min_u32_e32 v36, 32, v34
	v_subrev_u32_e32 v34, 28, v36
	v_lshlrev_b64 v[34:35], v34, v[28:29]
	v_lshrrev_b32_e32 v32, 3, v23
	v_sub_u32_e32 v35, 29, v36
	v_and_b32_e32 v34, 7, v34
	v_cmp_gt_u32_e32 vcc, 8, v23
	v_cndmask_b32_e32 v23, v32, v35, vcc
	v_cndmask_b32_e32 v30, v30, v34, vcc
	v_lshlrev_b32_e32 v32, 24, v28
	v_lshlrev_b32_e32 v30, 20, v30
	v_and_b32_e32 v32, 0x80000000, v32
	v_lshl_add_u32 v23, v23, 23, v33
	v_or3_b32 v23, v32, v23, v30
	v_lshrrev_b32_e32 v34, 16, v23
.LBB916_163:                            ;   in Loop: Header=BB916_15 Depth=1
	s_or_b64 exec, exec, s[10:11]
.LBB916_164:                            ;   in Loop: Header=BB916_15 Depth=1
	s_or_b64 exec, exec, s[6:7]
.LBB916_165:                            ;   in Loop: Header=BB916_15 Depth=1
	s_or_b64 exec, exec, s[4:5]
	v_lshrrev_b16_e32 v30, 8, v28
	v_cmp_ne_u16_e32 vcc, 0, v30
	v_mov_b32_e32 v32, 0
	v_mov_b32_e32 v23, 0
	s_and_saveexec_b64 s[4:5], vcc
	s_cbranch_execz .LBB916_171
; %bb.166:                              ;   in Loop: Header=BB916_15 Depth=1
	v_cmp_ne_u16_e32 vcc, s13, v30
	v_mov_b32_e32 v23, 0xffff8000
	s_and_saveexec_b64 s[6:7], vcc
	s_cbranch_execz .LBB916_170
; %bb.167:                              ;   in Loop: Header=BB916_15 Depth=1
	v_and_b32_e32 v35, 0x7f, v30
	v_cmp_ne_u32_e32 vcc, s14, v35
	v_mov_b32_e32 v23, 0x7f80
	s_and_saveexec_b64 s[10:11], vcc
	s_cbranch_execz .LBB916_169
; %bb.168:                              ;   in Loop: Header=BB916_15 Depth=1
	v_and_b32_e32 v23, 7, v30
	v_ffbh_u32_e32 v36, v23
	v_min_u32_e32 v39, 32, v36
	v_subrev_u32_e32 v36, 28, v39
	v_lshlrev_b64 v[36:37], v36, v[30:31]
	v_lshrrev_b32_e32 v38, 3, v35
	v_sub_u32_e32 v30, 29, v39
	v_and_b32_e32 v36, 7, v36
	v_cmp_gt_u32_e32 vcc, 8, v35
	v_cndmask_b32_e32 v30, v38, v30, vcc
	v_cndmask_b32_e32 v23, v23, v36, vcc
	v_lshlrev_b32_e32 v35, 16, v28
	v_lshlrev_b32_e32 v23, 20, v23
	v_and_b32_e32 v35, 0x80000000, v35
	v_lshl_add_u32 v30, v30, 23, v33
	v_or3_b32 v23, v35, v30, v23
	v_lshrrev_b32_e32 v23, 16, v23
.LBB916_169:                            ;   in Loop: Header=BB916_15 Depth=1
	s_or_b64 exec, exec, s[10:11]
.LBB916_170:                            ;   in Loop: Header=BB916_15 Depth=1
	s_or_b64 exec, exec, s[6:7]
.LBB916_171:                            ;   in Loop: Header=BB916_15 Depth=1
	s_or_b64 exec, exec, s[4:5]
	v_lshrrev_b32_e32 v30, 16, v28
	v_cmp_ne_u16_sdwa s[6:7], v30, v31 src0_sel:BYTE_0 src1_sel:DWORD
	s_and_saveexec_b64 s[4:5], s[6:7]
	s_cbranch_execz .LBB916_177
; %bb.172:                              ;   in Loop: Header=BB916_15 Depth=1
	v_cmp_ne_u16_sdwa s[10:11], v30, s13 src0_sel:BYTE_0 src1_sel:DWORD
	v_mov_b32_e32 v32, 0xffff8000
	s_and_saveexec_b64 s[6:7], s[10:11]
	s_cbranch_execz .LBB916_176
; %bb.173:                              ;   in Loop: Header=BB916_15 Depth=1
	v_bfe_u32 v35, v28, 16, 7
	v_cmp_ne_u32_e32 vcc, s14, v35
	v_mov_b32_e32 v32, 0x7f80
	s_and_saveexec_b64 s[10:11], vcc
	s_cbranch_execz .LBB916_175
; %bb.174:                              ;   in Loop: Header=BB916_15 Depth=1
	v_and_b32_e32 v32, 7, v30
	v_ffbh_u32_e32 v36, v32
	v_min_u32_e32 v39, 32, v36
	v_subrev_u32_e32 v36, 28, v39
	v_lshlrev_b64 v[36:37], v36, v[30:31]
	v_lshrrev_b32_e32 v38, 3, v35
	v_sub_u32_e32 v37, 29, v39
	v_and_b32_e32 v36, 7, v36
	v_cmp_gt_u32_e32 vcc, 8, v35
	v_cndmask_b32_e32 v35, v38, v37, vcc
	v_cndmask_b32_e32 v32, v32, v36, vcc
	v_lshlrev_b32_e32 v30, 24, v30
	v_lshlrev_b32_e32 v32, 20, v32
	v_and_b32_e32 v30, 0x80000000, v30
	v_lshl_add_u32 v35, v35, 23, v33
	v_or3_b32 v30, v30, v35, v32
	v_lshrrev_b32_e32 v32, 16, v30
.LBB916_175:                            ;   in Loop: Header=BB916_15 Depth=1
	s_or_b64 exec, exec, s[10:11]
.LBB916_176:                            ;   in Loop: Header=BB916_15 Depth=1
	s_or_b64 exec, exec, s[6:7]
.LBB916_177:                            ;   in Loop: Header=BB916_15 Depth=1
	s_or_b64 exec, exec, s[4:5]
	v_cmp_lt_u32_e32 vcc, s15, v28
	v_mov_b32_e32 v35, 0
	v_mov_b32_e32 v36, 0
	s_and_saveexec_b64 s[4:5], vcc
	s_cbranch_execz .LBB916_183
; %bb.178:                              ;   in Loop: Header=BB916_15 Depth=1
	v_lshrrev_b32_e32 v30, 24, v28
	v_cmp_ne_u32_e32 vcc, s13, v30
	v_mov_b32_e32 v36, 0xffff8000
	s_and_saveexec_b64 s[6:7], vcc
	s_cbranch_execz .LBB916_182
; %bb.179:                              ;   in Loop: Header=BB916_15 Depth=1
	v_bfe_u32 v28, v28, 24, 7
	v_cmp_ne_u32_e32 vcc, s14, v28
	v_mov_b32_e32 v36, 0x7f80
	s_and_saveexec_b64 s[10:11], vcc
	s_cbranch_execz .LBB916_181
; %bb.180:                              ;   in Loop: Header=BB916_15 Depth=1
	v_and_b32_e32 v38, 7, v30
	v_ffbh_u32_e32 v36, v38
	v_min_u32_e32 v40, 32, v36
	v_subrev_u32_e32 v36, 28, v40
	v_lshlrev_b64 v[36:37], v36, v[30:31]
	v_lshrrev_b32_e32 v39, 3, v28
	v_sub_u32_e32 v37, 29, v40
	v_and_b32_e32 v36, 7, v36
	v_cmp_gt_u32_e32 vcc, 8, v28
	v_cndmask_b32_e32 v28, v39, v37, vcc
	v_cndmask_b32_e32 v36, v38, v36, vcc
	v_lshlrev_b32_e32 v30, 24, v30
	v_lshlrev_b32_e32 v36, 20, v36
	v_and_b32_e32 v30, 0x80000000, v30
	v_lshl_add_u32 v28, v28, 23, v33
	v_or3_b32 v28, v30, v28, v36
	v_lshrrev_b32_e32 v36, 16, v28
.LBB916_181:                            ;   in Loop: Header=BB916_15 Depth=1
	s_or_b64 exec, exec, s[10:11]
.LBB916_182:                            ;   in Loop: Header=BB916_15 Depth=1
	s_or_b64 exec, exec, s[6:7]
.LBB916_183:                            ;   in Loop: Header=BB916_15 Depth=1
	s_or_b64 exec, exec, s[4:5]
	s_waitcnt vmcnt(0)
	v_cmp_ne_u16_sdwa s[6:7], v26, v31 src0_sel:BYTE_0 src1_sel:DWORD
	s_and_saveexec_b64 s[4:5], s[6:7]
	s_cbranch_execz .LBB916_189
; %bb.184:                              ;   in Loop: Header=BB916_15 Depth=1
	v_cmp_ne_u16_sdwa s[10:11], v26, s13 src0_sel:BYTE_0 src1_sel:DWORD
	v_mov_b32_e32 v35, 0xffff8000
	s_and_saveexec_b64 s[6:7], s[10:11]
	s_cbranch_execz .LBB916_188
; %bb.185:                              ;   in Loop: Header=BB916_15 Depth=1
	v_and_b32_e32 v28, 0x7f, v26
	v_cmp_ne_u32_e32 vcc, s14, v28
	v_mov_b32_e32 v35, 0x7f80
	s_and_saveexec_b64 s[10:11], vcc
	s_cbranch_execz .LBB916_187
; %bb.186:                              ;   in Loop: Header=BB916_15 Depth=1
	v_and_b32_e32 v30, 7, v26
	v_ffbh_u32_e32 v37, v30
	v_min_u32_e32 v37, 32, v37
	v_subrev_u32_e32 v38, 28, v37
	v_lshlrev_b64 v[38:39], v38, v[26:27]
	v_lshrrev_b32_e32 v35, 3, v28
	v_sub_u32_e32 v37, 29, v37
	v_and_b32_e32 v38, 7, v38
	v_cmp_gt_u32_e32 vcc, 8, v28
	v_cndmask_b32_e32 v28, v35, v37, vcc
	v_cndmask_b32_e32 v30, v30, v38, vcc
	v_lshlrev_b32_e32 v35, 24, v26
	v_lshlrev_b32_e32 v30, 20, v30
	v_and_b32_e32 v35, 0x80000000, v35
	v_lshl_add_u32 v28, v28, 23, v33
	v_or3_b32 v28, v35, v28, v30
	v_lshrrev_b32_e32 v35, 16, v28
.LBB916_187:                            ;   in Loop: Header=BB916_15 Depth=1
	s_or_b64 exec, exec, s[10:11]
.LBB916_188:                            ;   in Loop: Header=BB916_15 Depth=1
	s_or_b64 exec, exec, s[6:7]
.LBB916_189:                            ;   in Loop: Header=BB916_15 Depth=1
	s_or_b64 exec, exec, s[4:5]
	v_lshrrev_b16_e32 v28, 8, v26
	v_cmp_ne_u16_e32 vcc, 0, v28
	v_mov_b32_e32 v37, 0
	v_mov_b32_e32 v30, 0
	s_and_saveexec_b64 s[4:5], vcc
	s_cbranch_execz .LBB916_195
; %bb.190:                              ;   in Loop: Header=BB916_15 Depth=1
	v_cmp_ne_u16_e32 vcc, s13, v28
	v_mov_b32_e32 v30, 0xffff8000
	s_and_saveexec_b64 s[6:7], vcc
	s_cbranch_execz .LBB916_194
; %bb.191:                              ;   in Loop: Header=BB916_15 Depth=1
	v_and_b32_e32 v38, 0x7f, v28
	v_cmp_ne_u32_e32 vcc, s14, v38
	v_mov_b32_e32 v30, 0x7f80
	s_and_saveexec_b64 s[10:11], vcc
	s_cbranch_execz .LBB916_193
; %bb.192:                              ;   in Loop: Header=BB916_15 Depth=1
	v_and_b32_e32 v30, 7, v28
	v_ffbh_u32_e32 v40, v30
	v_min_u32_e32 v42, 32, v40
	v_subrev_u32_e32 v40, 28, v42
	v_lshlrev_b64 v[40:41], v40, v[28:29]
	v_lshrrev_b32_e32 v39, 3, v38
	v_sub_u32_e32 v28, 29, v42
	v_and_b32_e32 v40, 7, v40
	v_cmp_gt_u32_e32 vcc, 8, v38
	v_cndmask_b32_e32 v28, v39, v28, vcc
	v_cndmask_b32_e32 v30, v30, v40, vcc
	v_lshlrev_b32_e32 v38, 16, v26
	v_lshlrev_b32_e32 v30, 20, v30
	v_and_b32_e32 v38, 0x80000000, v38
	v_lshl_add_u32 v28, v28, 23, v33
	v_or3_b32 v28, v38, v28, v30
	v_lshrrev_b32_e32 v30, 16, v28
.LBB916_193:                            ;   in Loop: Header=BB916_15 Depth=1
	s_or_b64 exec, exec, s[10:11]
.LBB916_194:                            ;   in Loop: Header=BB916_15 Depth=1
	s_or_b64 exec, exec, s[6:7]
.LBB916_195:                            ;   in Loop: Header=BB916_15 Depth=1
	s_or_b64 exec, exec, s[4:5]
	v_lshrrev_b32_e32 v28, 16, v26
	v_cmp_ne_u16_sdwa s[6:7], v28, v31 src0_sel:BYTE_0 src1_sel:DWORD
	s_and_saveexec_b64 s[4:5], s[6:7]
	s_cbranch_execz .LBB916_201
; %bb.196:                              ;   in Loop: Header=BB916_15 Depth=1
	v_cmp_ne_u16_sdwa s[10:11], v28, s13 src0_sel:BYTE_0 src1_sel:DWORD
	v_mov_b32_e32 v37, 0xffff8000
	s_and_saveexec_b64 s[6:7], s[10:11]
	s_cbranch_execz .LBB916_200
; %bb.197:                              ;   in Loop: Header=BB916_15 Depth=1
	v_bfe_u32 v38, v26, 16, 7
	v_cmp_ne_u32_e32 vcc, s14, v38
	v_mov_b32_e32 v37, 0x7f80
	s_and_saveexec_b64 s[10:11], vcc
	s_cbranch_execz .LBB916_199
; %bb.198:                              ;   in Loop: Header=BB916_15 Depth=1
	v_and_b32_e32 v37, 7, v28
	v_ffbh_u32_e32 v40, v37
	v_min_u32_e32 v42, 32, v40
	v_subrev_u32_e32 v40, 28, v42
	v_lshlrev_b64 v[40:41], v40, v[28:29]
	v_lshrrev_b32_e32 v39, 3, v38
	v_sub_u32_e32 v41, 29, v42
	v_and_b32_e32 v40, 7, v40
	v_cmp_gt_u32_e32 vcc, 8, v38
	v_cndmask_b32_e32 v38, v39, v41, vcc
	v_cndmask_b32_e32 v37, v37, v40, vcc
	v_lshlrev_b32_e32 v28, 24, v28
	v_lshlrev_b32_e32 v37, 20, v37
	v_and_b32_e32 v28, 0x80000000, v28
	v_lshl_add_u32 v38, v38, 23, v33
	v_or3_b32 v28, v28, v38, v37
	v_lshrrev_b32_e32 v37, 16, v28
.LBB916_199:                            ;   in Loop: Header=BB916_15 Depth=1
	s_or_b64 exec, exec, s[10:11]
.LBB916_200:                            ;   in Loop: Header=BB916_15 Depth=1
	s_or_b64 exec, exec, s[6:7]
.LBB916_201:                            ;   in Loop: Header=BB916_15 Depth=1
	s_or_b64 exec, exec, s[4:5]
	v_cmp_lt_u32_e32 vcc, s15, v26
	v_mov_b32_e32 v38, 0
	s_and_saveexec_b64 s[4:5], vcc
	s_cbranch_execz .LBB916_14
; %bb.202:                              ;   in Loop: Header=BB916_15 Depth=1
	v_lshrrev_b32_e32 v28, 24, v26
	v_cmp_ne_u32_e32 vcc, s13, v28
	v_mov_b32_e32 v38, 0xffff8000
	s_and_saveexec_b64 s[6:7], vcc
	s_cbranch_execz .LBB916_13
; %bb.203:                              ;   in Loop: Header=BB916_15 Depth=1
	v_bfe_u32 v26, v26, 24, 7
	v_cmp_ne_u32_e32 vcc, s14, v26
	v_mov_b32_e32 v38, 0x7f80
	s_and_saveexec_b64 s[10:11], vcc
	s_cbranch_execz .LBB916_12
; %bb.204:                              ;   in Loop: Header=BB916_15 Depth=1
	v_and_b32_e32 v40, 7, v28
	v_ffbh_u32_e32 v38, v40
	v_min_u32_e32 v42, 32, v38
	v_subrev_u32_e32 v38, 28, v42
	v_lshlrev_b64 v[38:39], v38, v[28:29]
	v_lshrrev_b32_e32 v41, 3, v26
	v_sub_u32_e32 v39, 29, v42
	v_and_b32_e32 v38, 7, v38
	v_cmp_gt_u32_e32 vcc, 8, v26
	v_cndmask_b32_e32 v26, v41, v39, vcc
	v_cndmask_b32_e32 v38, v40, v38, vcc
	v_lshlrev_b32_e32 v28, 24, v28
	v_lshlrev_b32_e32 v38, 20, v38
	v_and_b32_e32 v28, 0x80000000, v28
	v_lshl_add_u32 v26, v26, 23, v33
	v_or3_b32 v26, v28, v26, v38
	v_lshrrev_b32_e32 v38, 16, v26
	s_branch .LBB916_12
.LBB916_205:
	buffer_load_dword v13, off, s[0:3], 0 offset:256
	buffer_load_dword v14, off, s[0:3], 0 offset:260
	;; [unrolled: 1-line block ×16, first 2 shown]
	v_and_b32_e32 v12, 0xc0, v0
	v_add_u32_e32 v12, s20, v12
	v_lshl_or_b32 v12, v1, 2, v12
	v_or_b32_e32 v23, 1, v12
	v_mov_b32_e32 v19, 0xff7fffff
	v_or_b32_e32 v24, 2, v12
	v_or_b32_e32 v25, 3, v12
	v_cmp_gt_i32_e64 s[26:27], s33, v12
	v_cmp_gt_i32_e64 s[28:29], s33, v23
	s_mov_b32 s52, 0xff7fffff
	v_or_b32_e32 v26, 16, v12
	v_or_b32_e32 v27, 17, v12
	;; [unrolled: 1-line block ×12, first 2 shown]
	v_cmp_gt_i32_e64 s[30:31], s33, v24
	v_cmp_gt_i32_e64 s[34:35], s33, v25
	v_mbcnt_lo_u32_b32 v20, -1, 0
	v_cmp_gt_i32_e64 s[36:37], s33, v26
	v_cmp_gt_i32_e64 s[38:39], s33, v27
	v_mbcnt_hi_u32_b32 v20, -1, v20
	v_cmp_gt_i32_e64 s[20:21], s33, v28
	v_cmp_gt_i32_e64 s[22:23], s33, v29
	v_and_b32_e32 v21, 64, v20
	v_cmp_gt_i32_e64 s[16:17], s33, v30
	v_cmp_gt_i32_e64 s[18:19], s33, v31
	v_xor_b32_e32 v22, 32, v20
	v_add_u32_e32 v21, 64, v21
	v_cmp_gt_i32_e64 s[12:13], s33, v32
	v_cmp_gt_i32_e64 s[14:15], s33, v33
	v_cmp_lt_i32_e32 vcc, v22, v21
	v_cmp_gt_i32_e64 s[6:7], s33, v34
	v_cmp_gt_i32_e64 s[10:11], s33, v35
	v_cndmask_b32_e32 v22, v20, v22, vcc
	v_cmp_gt_i32_e32 vcc, s33, v36
	v_cmp_gt_i32_e64 s[4:5], s33, v37
	v_lshlrev_b32_e32 v22, 2, v22
	s_waitcnt vmcnt(15)
	v_cndmask_b32_e64 v12, v19, v13, s[26:27]
	s_waitcnt vmcnt(14)
	v_cndmask_b32_e64 v23, v19, v14, s[28:29]
	s_waitcnt vmcnt(13)
	v_cndmask_b32_e64 v24, v19, v15, s[30:31]
	s_waitcnt vmcnt(12)
	v_cndmask_b32_e64 v25, v19, v16, s[34:35]
	v_max3_f32 v12, v12, s52, v23
	s_waitcnt vmcnt(11)
	v_cndmask_b32_e64 v26, v19, v17, s[36:37]
	s_waitcnt vmcnt(10)
	v_cndmask_b32_e64 v27, v19, v18, s[38:39]
	v_max3_f32 v12, v12, v24, v25
	s_waitcnt vmcnt(9)
	v_cndmask_b32_e64 v28, v19, v11, s[20:21]
	s_waitcnt vmcnt(8)
	v_cndmask_b32_e64 v29, v19, v10, s[22:23]
	v_max3_f32 v12, v12, v26, v27
	s_waitcnt vmcnt(7)
	v_cndmask_b32_e64 v30, v19, v9, s[16:17]
	s_waitcnt vmcnt(6)
	v_cndmask_b32_e64 v31, v19, v8, s[18:19]
	v_max3_f32 v12, v12, v28, v29
	s_waitcnt vmcnt(5)
	v_cndmask_b32_e64 v32, v19, v7, s[12:13]
	s_waitcnt vmcnt(4)
	v_cndmask_b32_e64 v33, v19, v6, s[14:15]
	v_max3_f32 v12, v12, v30, v31
	s_waitcnt vmcnt(3)
	v_cndmask_b32_e64 v34, v19, v5, s[6:7]
	s_waitcnt vmcnt(2)
	v_cndmask_b32_e64 v35, v19, v4, s[10:11]
	v_max3_f32 v12, v12, v32, v33
	s_waitcnt vmcnt(1)
	v_cndmask_b32_e32 v36, v19, v3, vcc
	s_waitcnt vmcnt(0)
	v_cndmask_b32_e64 v19, v19, v2, s[4:5]
	v_max3_f32 v12, v12, v34, v35
	v_max3_f32 v12, v12, v36, v19
	ds_bpermute_b32 v19, v22, v12
	v_xor_b32_e32 v23, 16, v20
	v_cmp_lt_i32_e64 s[40:41], v23, v21
	v_cndmask_b32_e64 v20, v20, v23, s[40:41]
	v_lshlrev_b32_e32 v20, 2, v20
	s_waitcnt lgkmcnt(0)
	v_max_f32_e32 v19, v19, v19
	v_max_f32_e32 v12, v12, v19
	ds_bpermute_b32 v19, v20, v12
	s_waitcnt lgkmcnt(0)
	v_max_f32_e32 v19, v19, v19
	v_max_f32_e32 v12, v12, v19
	v_sub_f32_e32 v13, v13, v12
	v_sub_f32_e32 v14, v14, v12
	;; [unrolled: 1-line block ×3, first 2 shown]
	v_mul_f32_e32 v13, 0x3fb8aa3b, v13
	v_mul_f32_e32 v14, 0x3fb8aa3b, v14
	v_mul_f32_e32 v15, 0x3fb8aa3b, v15
	v_exp_f32_e32 v13, v13
	v_exp_f32_e32 v14, v14
	;; [unrolled: 1-line block ×3, first 2 shown]
	v_sub_f32_e32 v16, v16, v12
	v_cndmask_b32_e64 v13, 0, v13, s[26:27]
	v_mul_f32_e32 v16, 0x3fb8aa3b, v16
	v_cndmask_b32_e64 v14, 0, v14, s[28:29]
	v_cndmask_b32_e64 v15, 0, v15, s[30:31]
	v_add_f32_e32 v19, 0, v13
	buffer_store_dword v13, off, s[0:3], 0 offset:256
	buffer_store_dword v14, off, s[0:3], 0 offset:260
	;; [unrolled: 1-line block ×3, first 2 shown]
	v_sub_f32_e32 v13, v17, v12
	v_exp_f32_e32 v16, v16
	v_add_f32_e32 v19, v19, v14
	v_mul_f32_e32 v13, 0x3fb8aa3b, v13
	v_sub_f32_e32 v14, v18, v12
	v_exp_f32_e32 v13, v13
	v_mul_f32_e32 v14, 0x3fb8aa3b, v14
	v_sub_f32_e32 v11, v11, v12
	v_exp_f32_e32 v14, v14
	;; [unrolled: 3-line block ×3, first 2 shown]
	v_mul_f32_e32 v10, 0x3fb8aa3b, v10
	v_sub_f32_e32 v9, v9, v12
	v_cndmask_b32_e64 v16, 0, v16, s[34:35]
	v_add_f32_e32 v19, v19, v15
	v_exp_f32_e32 v10, v10
	v_mul_f32_e32 v9, 0x3fb8aa3b, v9
	v_sub_f32_e32 v8, v8, v12
	v_add_f32_e32 v19, v19, v16
	v_cndmask_b32_e64 v13, 0, v13, s[36:37]
	v_exp_f32_e32 v9, v9
	v_mul_f32_e32 v8, 0x3fb8aa3b, v8
	v_sub_f32_e32 v7, v7, v12
	v_add_f32_e32 v15, v19, v13
	v_cndmask_b32_e64 v14, 0, v14, s[38:39]
	;; [unrolled: 5-line block ×5, first 2 shown]
	v_exp_f32_e32 v5, v5
	v_mul_f32_e32 v4, 0x3fb8aa3b, v4
	v_sub_f32_e32 v3, v3, v12
	buffer_store_dword v16, off, s[0:3], 0 offset:268
	buffer_store_dword v13, off, s[0:3], 0 offset:272
	;; [unrolled: 1-line block ×5, first 2 shown]
	v_add_f32_e32 v10, v15, v9
	v_cndmask_b32_e64 v8, 0, v8, s[18:19]
	v_exp_f32_e32 v4, v4
	v_mul_f32_e32 v3, 0x3fb8aa3b, v3
	v_sub_f32_e32 v2, v2, v12
	v_add_f32_e32 v10, v10, v8
	v_cndmask_b32_e64 v7, 0, v7, s[12:13]
	v_exp_f32_e32 v3, v3
	v_mul_f32_e32 v2, 0x3fb8aa3b, v2
	v_add_f32_e32 v10, v10, v7
	v_cndmask_b32_e64 v6, 0, v6, s[14:15]
	v_exp_f32_e32 v2, v2
	v_add_f32_e32 v10, v10, v6
	v_cndmask_b32_e64 v5, 0, v5, s[6:7]
	buffer_store_dword v9, off, s[0:3], 0 offset:288
	buffer_store_dword v8, off, s[0:3], 0 offset:292
	buffer_store_dword v7, off, s[0:3], 0 offset:296
	buffer_store_dword v6, off, s[0:3], 0 offset:300
	v_add_f32_e32 v6, v10, v5
	v_cndmask_b32_e64 v4, 0, v4, s[10:11]
	v_add_f32_e32 v6, v6, v4
	v_cndmask_b32_e32 v3, 0, v3, vcc
	v_add_f32_e32 v6, v6, v3
	v_cndmask_b32_e64 v2, 0, v2, s[4:5]
	v_add_f32_e32 v6, v6, v2
	ds_bpermute_b32 v7, v22, v6
	buffer_store_dword v5, off, s[0:3], 0 offset:304
	buffer_store_dword v4, off, s[0:3], 0 offset:308
	buffer_store_dword v3, off, s[0:3], 0 offset:312
	buffer_store_dword v2, off, s[0:3], 0 offset:316
	v_cmp_gt_u32_e32 vcc, 16, v62
	s_waitcnt lgkmcnt(0)
	s_barrier
	v_add_f32_e32 v2, v6, v7
	ds_bpermute_b32 v3, v20, v2
	s_waitcnt lgkmcnt(0)
	s_and_saveexec_b64 s[4:5], vcc
	s_cbranch_execz .LBB916_207
; %bb.206:
	v_add_f32_e32 v2, v2, v3
	v_lshlrev_b32_e32 v3, 2, v61
	ds_write2st64_b32 v3, v12, v2 offset1:1
.LBB916_207:
	s_or_b64 exec, exec, s[4:5]
	v_lshlrev_b32_e32 v2, 2, v55
	s_waitcnt lgkmcnt(0)
	s_barrier
	ds_read2_b32 v[14:15], v2 offset1:16
	ds_read2_b32 v[16:17], v2 offset0:32 offset1:48
	ds_read2_b32 v[6:7], v2 offset0:64 offset1:80
	ds_read2_b32 v[12:13], v2 offset0:96 offset1:112
	s_waitcnt lgkmcnt(0)
	s_barrier
	buffer_load_dword v22, off, s[0:3], 0 offset:264
	buffer_load_dword v23, off, s[0:3], 0 offset:268
	;; [unrolled: 1-line block ×16, first 2 shown]
	v_max3_f32 v20, v14, s52, v15
	v_max3_f32 v20, v20, v16, v17
	v_sub_f32_e32 v14, v14, v20
	v_sub_f32_e32 v15, v15, v20
	v_mul_f32_e32 v14, 0x3fb8aa3b, v14
	v_sub_f32_e32 v16, v16, v20
	v_mul_f32_e32 v15, 0x3fb8aa3b, v15
	v_exp_f32_e32 v14, v14
	v_sub_f32_e32 v17, v17, v20
	v_mul_f32_e32 v16, 0x3fb8aa3b, v16
	v_exp_f32_e32 v15, v15
	v_mul_f32_e32 v17, 0x3fb8aa3b, v17
	v_exp_f32_e32 v16, v16
	v_exp_f32_e32 v17, v17
	v_fma_f32 v6, v14, v6, 0
	v_fmac_f32_e32 v6, v15, v7
	v_fmac_f32_e32 v6, v16, v12
	;; [unrolled: 1-line block ×3, first 2 shown]
	v_cmp_eq_u32_e32 vcc, 1, v60
	v_add_f32_e32 v12, 0x358637bd, v6
	v_cndmask_b32_e32 v14, v14, v15, vcc
	v_cmp_eq_u32_e32 vcc, 2, v60
	v_div_scale_f32 v13, s[4:5], v12, v12, 1.0
	v_cndmask_b32_e32 v7, v14, v16, vcc
	v_rcp_f32_e32 v14, v13
	v_cmp_eq_u32_e32 vcc, 3, v60
	v_cndmask_b32_e32 v7, v7, v17, vcc
	v_div_scale_f32 v15, vcc, 1.0, v12, 1.0
	v_fma_f32 v16, -v13, v14, 1.0
	v_fmac_f32_e32 v14, v16, v14
	v_mul_f32_e32 v16, v15, v14
	v_fma_f32 v17, -v13, v16, v15
	v_fmac_f32_e32 v16, v17, v14
	v_fma_f32 v13, -v13, v16, v15
	v_div_fmas_f32 v13, v13, v14, v16
	v_div_fixup_f32 v12, v13, v12, 1.0
	v_mul_f32_e32 v12, v7, v12
	s_movk_i32 s19, 0x7fff
	s_mov_b32 s20, 0x7060302
	s_mul_i32 s18, s51, 7
	v_cmp_gt_u32_e32 vcc, 7, v0
	s_waitcnt vmcnt(14)
	v_pk_mul_f32 v[14:15], v[12:13], v[22:23] op_sel_hi:[0,1]
	v_bfe_u32 v21, v15, 16, 1
	s_waitcnt vmcnt(12)
	v_pk_mul_f32 v[16:17], v[12:13], v[24:25] op_sel_hi:[0,1]
	v_bfe_u32 v7, v17, 16, 1
	v_bfe_u32 v13, v16, 16, 1
	;; [unrolled: 1-line block ×3, first 2 shown]
	v_add3_u32 v13, v16, v13, s19
	v_add3_u32 v7, v17, v7, s19
	buffer_store_dword v16, off, s[0:3], 0 offset:256
	buffer_store_dword v17, off, s[0:3], 0 offset:260
	;; [unrolled: 1-line block ×4, first 2 shown]
	v_add3_u32 v16, v14, v22, s19
	v_add3_u32 v15, v15, v21, s19
	v_perm_b32 v14, v7, v13, s20
	v_lshlrev_b32_e32 v13, 3, v1
	v_perm_b32 v15, v15, v16, s20
	v_lshlrev_b32_e32 v7, 5, v55
	v_lshlrev_b32_e32 v16, 11, v60
	s_waitcnt vmcnt(12)
	v_pk_mul_f32 v[8:9], v[12:13], v[8:9] op_sel_hi:[0,1]
	v_or3_b32 v39, v16, v7, v13
	v_pk_mul_f32 v[10:11], v[12:13], v[10:11] op_sel_hi:[0,1]
	v_bfe_u32 v13, v9, 16, 1
	v_bfe_u32 v16, v8, 16, 1
	buffer_store_dword v8, off, s[0:3], 0 offset:272
	buffer_store_dword v9, off, s[0:3], 0 offset:276
	;; [unrolled: 1-line block ×4, first 2 shown]
	v_add3_u32 v8, v8, v16, s19
	v_add3_u32 v9, v9, v13, s19
	v_perm_b32 v8, v9, v8, s20
	v_bfe_u32 v9, v11, 16, 1
	v_bfe_u32 v13, v10, 16, 1
	v_add3_u32 v10, v10, v13, s19
	v_add3_u32 v9, v11, v9, s19
	v_perm_b32 v9, v9, v10, s20
	s_waitcnt vmcnt(14)
	v_pk_mul_f32 v[10:11], v[12:13], v[18:19] op_sel_hi:[0,1]
	ds_write2st64_b64 v39, v[14:15], v[8:9] offset1:1
	s_waitcnt vmcnt(12)
	v_pk_mul_f32 v[8:9], v[12:13], v[26:27] op_sel_hi:[0,1]
	v_bfe_u32 v13, v11, 16, 1
	v_bfe_u32 v14, v10, 16, 1
	buffer_store_dword v10, off, s[0:3], 0 offset:288
	buffer_store_dword v11, off, s[0:3], 0 offset:292
	buffer_store_dword v8, off, s[0:3], 0 offset:296
	buffer_store_dword v9, off, s[0:3], 0 offset:300
	v_add3_u32 v10, v10, v14, s19
	v_add3_u32 v11, v11, v13, s19
	v_perm_b32 v10, v11, v10, s20
	v_bfe_u32 v11, v9, 16, 1
	v_bfe_u32 v13, v8, 16, 1
	v_add3_u32 v8, v8, v13, s19
	v_add3_u32 v9, v9, v11, s19
	s_waitcnt vmcnt(14)
	v_pk_mul_f32 v[2:3], v[12:13], v[2:3] op_sel_hi:[0,1]
	v_perm_b32 v11, v9, v8, s20
	v_bfe_u32 v8, v3, 16, 1
	v_bfe_u32 v9, v2, 16, 1
	s_waitcnt vmcnt(12)
	v_pk_mul_f32 v[4:5], v[12:13], v[4:5] op_sel_hi:[0,1]
	buffer_store_dword v2, off, s[0:3], 0 offset:304
	buffer_store_dword v3, off, s[0:3], 0 offset:308
	;; [unrolled: 1-line block ×4, first 2 shown]
	v_add3_u32 v2, v2, v9, s19
	v_add3_u32 v3, v3, v8, s19
	v_perm_b32 v2, v3, v2, s20
	v_bfe_u32 v3, v5, 16, 1
	v_bfe_u32 v8, v4, 16, 1
	v_add3_u32 v4, v4, v8, s19
	v_add3_u32 v3, v5, v3, s19
	v_perm_b32 v3, v3, v4, s20
	ds_write2st64_b64 v39, v[10:11], v[2:3] offset0:2 offset1:3
	s_and_saveexec_b64 s[4:5], vcc
	s_cbranch_execz .LBB916_209
; %bb.208:
	v_add_co_u32_e32 v4, vcc, s25, v55
	v_addc_co_u32_e64 v5, s[6:7], 0, 0, vcc
	v_mov_b32_e32 v2, s18
	v_mad_u64_u32 v[4:5], s[6:7], s8, v2, v[4:5]
	v_mov_b32_e32 v3, 0
	s_mul_i32 s6, s9, s18
	v_mov_b32_e32 v2, s24
	v_add_u32_e32 v5, s6, v5
	v_mad_u64_u32 v[2:3], s[6:7], v4, s50, v[2:3]
	v_mov_b32_e32 v4, v3
	v_mad_u64_u32 v[4:5], s[6:7], v5, s50, v[4:5]
	v_mov_b32_e32 v3, v4
	v_lshlrev_b64 v[2:3], 2, v[2:3]
	v_mov_b32_e32 v5, s47
	v_add_co_u32_e32 v4, vcc, s46, v2
	v_addc_co_u32_e32 v5, vcc, v5, v3, vcc
	global_store_dword v[4:5], v20, off
	v_mov_b32_e32 v4, s45
	v_add_co_u32_e32 v2, vcc, s44, v2
	v_addc_co_u32_e32 v3, vcc, v4, v3, vcc
	global_store_dword v[2:3], v6, off
.LBB916_209:
	s_or_b64 exec, exec, s[4:5]
	v_lshl_or_b32 v30, v1, 9, v7
	s_waitcnt lgkmcnt(0)
	s_barrier
	s_load_dword s4, s[42:43], 0x0
	ds_read_b128 v[2:5], v30
	ds_read_b128 v[6:9], v30 offset:16
	ds_read_b128 v[10:13], v30 offset:2048
	;; [unrolled: 1-line block ×7, first 2 shown]
	v_mov_b32_e32 v35, 0x80
	v_mov_b32_e32 v41, 0x140
	s_mov_b64 s[10:11], -1
	s_waitcnt lgkmcnt(0)
	s_mov_b32 s5, s4
	s_mov_b32 s6, s4
	;; [unrolled: 1-line block ×3, first 2 shown]
	s_movk_i32 s9, 0x80
	s_movk_i32 s21, 0x7f
	s_mov_b32 s22, 0xffffff
	s_mov_b32 s23, 0x5040100
	v_mov_b32_e32 v43, 0
	v_bfrev_b32_e32 v45, 60
	s_branch .LBB916_213
.LBB916_210:                            ;   in Loop: Header=BB916_213 Depth=1
	s_or_b64 exec, exec, s[16:17]
.LBB916_211:                            ;   in Loop: Header=BB916_213 Depth=1
	s_or_b64 exec, exec, s[14:15]
.LBB916_212:                            ;   in Loop: Header=BB916_213 Depth=1
	s_or_b64 exec, exec, s[12:13]
	v_perm_b32 v61, v52, v50, s23
	v_perm_b32 v60, v44, v46, s23
	s_xor_b64 s[12:13], s[10:11], -1
	s_mov_b64 s[10:11], 0
	v_mov_b32_e32 v46, v48
	v_mfma_f32_16x16x16bf16_1k v[60:63], v[60:61], v[30:31], v[34:37]
	s_and_b64 vcc, exec, s[12:13]
	v_mov_b32_e32 v59, v49
	s_nop 4
	v_perm_b32 v37, v58, v53, s23
	v_perm_b32 v36, v42, v51, s23
	v_mov_b32_e32 v35, v47
	v_mov_b32_e32 v58, v57
	v_mfma_f32_16x16x16bf16_1k v[50:53], v[36:37], v[32:33], v[60:63]
	s_nop 7
	s_nop 2
	v_pk_mul_f32 v[50:51], v[50:51], s[4:5]
	v_pk_mul_f32 v[36:37], v[52:53], s[6:7]
	v_bfe_u32 v34, v51, 16, 1
	v_bfe_u32 v38, v50, 16, 1
	;; [unrolled: 1-line block ×4, first 2 shown]
	v_add3_u32 v38, v50, v38, s19
	v_add3_u32 v34, v51, v34, s19
	;; [unrolled: 1-line block ×4, first 2 shown]
	v_perm_b32 v34, v34, v38, s20
	v_perm_b32 v36, v37, v36, s20
	buffer_store_dword v34, v41, s[0:3], 0 offen
	buffer_store_dword v36, v41, s[0:3], 0 offen offset:4
	v_mov_b32_e32 v41, 0x148
	s_cbranch_vccnz .LBB916_595
.LBB916_213:                            ; =>This Inner Loop Header: Depth=1
	buffer_load_dword v36, v35, s[0:3], 0 offen
	buffer_load_dword v34, v35, s[0:3], 0 offen offset:4
	buffer_load_dword v40, v35, s[0:3], 0 offen offset:8
	;; [unrolled: 1-line block ×3, first 2 shown]
	v_mov_b32_e32 v35, 0
	s_waitcnt vmcnt(3)
	v_cmp_ne_u16_sdwa s[14:15], v36, v43 src0_sel:BYTE_0 src1_sel:DWORD
	s_and_saveexec_b64 s[12:13], s[14:15]
	s_cbranch_execz .LBB916_219
; %bb.214:                              ;   in Loop: Header=BB916_213 Depth=1
	v_cmp_ne_u16_sdwa s[16:17], v36, s9 src0_sel:BYTE_0 src1_sel:DWORD
	v_mov_b32_e32 v35, 0xffff8000
	s_and_saveexec_b64 s[14:15], s[16:17]
	s_cbranch_execz .LBB916_218
; %bb.215:                              ;   in Loop: Header=BB916_213 Depth=1
	v_and_b32_e32 v37, 0x7f, v36
	v_cmp_ne_u32_e32 vcc, s21, v37
	v_mov_b32_e32 v35, 0x7f80
	s_and_saveexec_b64 s[16:17], vcc
	s_cbranch_execz .LBB916_217
; %bb.216:                              ;   in Loop: Header=BB916_213 Depth=1
	v_and_b32_e32 v35, 7, v36
	v_ffbh_u32_e32 v44, v35
	v_min_u32_e32 v44, 32, v44
	v_subrev_u32_e32 v50, 28, v44
	v_lshlrev_b64 v[50:51], v50, v[36:37]
	v_lshrrev_b32_e32 v42, 3, v37
	v_sub_u32_e32 v44, 29, v44
	v_and_b32_e32 v50, 7, v50
	v_cmp_gt_u32_e32 vcc, 8, v37
	v_cndmask_b32_e32 v37, v42, v44, vcc
	v_cndmask_b32_e32 v35, v35, v50, vcc
	v_lshlrev_b32_e32 v42, 24, v36
	v_lshlrev_b32_e32 v35, 20, v35
	v_and_b32_e32 v42, 0x80000000, v42
	v_lshl_add_u32 v37, v37, 23, v45
	v_or3_b32 v35, v42, v37, v35
	v_lshrrev_b32_e32 v35, 16, v35
.LBB916_217:                            ;   in Loop: Header=BB916_213 Depth=1
	s_or_b64 exec, exec, s[16:17]
.LBB916_218:                            ;   in Loop: Header=BB916_213 Depth=1
	s_or_b64 exec, exec, s[14:15]
.LBB916_219:                            ;   in Loop: Header=BB916_213 Depth=1
	s_or_b64 exec, exec, s[12:13]
	v_lshrrev_b16_e32 v42, 8, v36
	v_cmp_ne_u16_e32 vcc, 0, v42
	v_mov_b32_e32 v50, 0
	v_mov_b32_e32 v37, 0
	s_and_saveexec_b64 s[12:13], vcc
	s_cbranch_execz .LBB916_225
; %bb.220:                              ;   in Loop: Header=BB916_213 Depth=1
	v_cmp_ne_u16_e32 vcc, s9, v42
	v_mov_b32_e32 v37, 0xffff8000
	s_and_saveexec_b64 s[14:15], vcc
	s_cbranch_execz .LBB916_224
; %bb.221:                              ;   in Loop: Header=BB916_213 Depth=1
	v_and_b32_e32 v44, 0x7f, v42
	v_cmp_ne_u32_e32 vcc, s21, v44
	v_mov_b32_e32 v37, 0x7f80
	s_and_saveexec_b64 s[16:17], vcc
	s_cbranch_execz .LBB916_223
; %bb.222:                              ;   in Loop: Header=BB916_213 Depth=1
	v_and_b32_e32 v37, 7, v42
	v_ffbh_u32_e32 v52, v37
	v_min_u32_e32 v60, 32, v52
	v_subrev_u32_e32 v52, 28, v60
	v_lshlrev_b64 v[52:53], v52, v[42:43]
	v_lshrrev_b32_e32 v51, 3, v44
	v_sub_u32_e32 v42, 29, v60
	v_and_b32_e32 v52, 7, v52
	v_cmp_gt_u32_e32 vcc, 8, v44
	v_cndmask_b32_e32 v42, v51, v42, vcc
	v_cndmask_b32_e32 v37, v37, v52, vcc
	v_lshlrev_b32_e32 v44, 16, v36
	v_lshlrev_b32_e32 v37, 20, v37
	v_and_b32_e32 v44, 0x80000000, v44
	v_lshl_add_u32 v42, v42, 23, v45
	v_or3_b32 v37, v44, v42, v37
	v_lshrrev_b32_e32 v37, 16, v37
.LBB916_223:                            ;   in Loop: Header=BB916_213 Depth=1
	s_or_b64 exec, exec, s[16:17]
.LBB916_224:                            ;   in Loop: Header=BB916_213 Depth=1
	s_or_b64 exec, exec, s[14:15]
.LBB916_225:                            ;   in Loop: Header=BB916_213 Depth=1
	s_or_b64 exec, exec, s[12:13]
	v_lshrrev_b32_e32 v42, 16, v36
	v_cmp_ne_u16_sdwa s[14:15], v42, v43 src0_sel:BYTE_0 src1_sel:DWORD
	s_and_saveexec_b64 s[12:13], s[14:15]
	s_cbranch_execz .LBB916_231
; %bb.226:                              ;   in Loop: Header=BB916_213 Depth=1
	v_cmp_ne_u16_sdwa s[16:17], v42, s9 src0_sel:BYTE_0 src1_sel:DWORD
	v_mov_b32_e32 v50, 0xffff8000
	s_and_saveexec_b64 s[14:15], s[16:17]
	s_cbranch_execz .LBB916_230
; %bb.227:                              ;   in Loop: Header=BB916_213 Depth=1
	v_bfe_u32 v44, v36, 16, 7
	v_cmp_ne_u32_e32 vcc, s21, v44
	v_mov_b32_e32 v50, 0x7f80
	s_and_saveexec_b64 s[16:17], vcc
	s_cbranch_execz .LBB916_229
; %bb.228:                              ;   in Loop: Header=BB916_213 Depth=1
	v_and_b32_e32 v52, 7, v42
	v_ffbh_u32_e32 v50, v52
	v_min_u32_e32 v60, 32, v50
	v_subrev_u32_e32 v50, 28, v60
	v_lshlrev_b64 v[50:51], v50, v[42:43]
	v_lshrrev_b32_e32 v53, 3, v44
	v_sub_u32_e32 v51, 29, v60
	v_and_b32_e32 v50, 7, v50
	v_cmp_gt_u32_e32 vcc, 8, v44
	v_cndmask_b32_e32 v44, v53, v51, vcc
	v_cndmask_b32_e32 v50, v52, v50, vcc
	v_lshlrev_b32_e32 v42, 24, v42
	v_lshlrev_b32_e32 v50, 20, v50
	v_and_b32_e32 v42, 0x80000000, v42
	v_lshl_add_u32 v44, v44, 23, v45
	v_or3_b32 v42, v42, v44, v50
	v_lshrrev_b32_e32 v50, 16, v42
.LBB916_229:                            ;   in Loop: Header=BB916_213 Depth=1
	s_or_b64 exec, exec, s[16:17]
.LBB916_230:                            ;   in Loop: Header=BB916_213 Depth=1
	s_or_b64 exec, exec, s[14:15]
.LBB916_231:                            ;   in Loop: Header=BB916_213 Depth=1
	s_or_b64 exec, exec, s[12:13]
	v_cmp_lt_u32_e32 vcc, s22, v36
	v_mov_b32_e32 v51, 0
	v_mov_b32_e32 v52, 0
	s_and_saveexec_b64 s[12:13], vcc
	s_cbranch_execz .LBB916_237
; %bb.232:                              ;   in Loop: Header=BB916_213 Depth=1
	v_lshrrev_b32_e32 v42, 24, v36
	v_cmp_ne_u32_e32 vcc, s9, v42
	v_mov_b32_e32 v52, 0xffff8000
	s_and_saveexec_b64 s[14:15], vcc
	s_cbranch_execz .LBB916_236
; %bb.233:                              ;   in Loop: Header=BB916_213 Depth=1
	v_bfe_u32 v36, v36, 24, 7
	v_cmp_ne_u32_e32 vcc, s21, v36
	v_mov_b32_e32 v52, 0x7f80
	s_and_saveexec_b64 s[16:17], vcc
	s_cbranch_execz .LBB916_235
; %bb.234:                              ;   in Loop: Header=BB916_213 Depth=1
	v_and_b32_e32 v44, 7, v42
	v_ffbh_u32_e32 v52, v44
	v_min_u32_e32 v61, 32, v52
	v_subrev_u32_e32 v52, 28, v61
	v_lshlrev_b64 v[52:53], v52, v[42:43]
	v_lshrrev_b32_e32 v60, 3, v36
	v_sub_u32_e32 v53, 29, v61
	v_and_b32_e32 v52, 7, v52
	v_cmp_gt_u32_e32 vcc, 8, v36
	v_cndmask_b32_e32 v36, v60, v53, vcc
	v_cndmask_b32_e32 v44, v44, v52, vcc
	v_lshlrev_b32_e32 v42, 24, v42
	v_lshlrev_b32_e32 v44, 20, v44
	v_and_b32_e32 v42, 0x80000000, v42
	v_lshl_add_u32 v36, v36, 23, v45
	v_or3_b32 v36, v42, v36, v44
	v_lshrrev_b32_e32 v52, 16, v36
.LBB916_235:                            ;   in Loop: Header=BB916_213 Depth=1
	s_or_b64 exec, exec, s[16:17]
.LBB916_236:                            ;   in Loop: Header=BB916_213 Depth=1
	s_or_b64 exec, exec, s[14:15]
.LBB916_237:                            ;   in Loop: Header=BB916_213 Depth=1
	s_or_b64 exec, exec, s[12:13]
	s_waitcnt vmcnt(2)
	v_cmp_ne_u16_sdwa s[14:15], v34, v43 src0_sel:BYTE_0 src1_sel:DWORD
	s_and_saveexec_b64 s[12:13], s[14:15]
	s_cbranch_execz .LBB916_243
; %bb.238:                              ;   in Loop: Header=BB916_213 Depth=1
	v_cmp_ne_u16_sdwa s[16:17], v34, s9 src0_sel:BYTE_0 src1_sel:DWORD
	v_mov_b32_e32 v51, 0xffff8000
	s_and_saveexec_b64 s[14:15], s[16:17]
	s_cbranch_execz .LBB916_242
; %bb.239:                              ;   in Loop: Header=BB916_213 Depth=1
	v_and_b32_e32 v36, 0x7f, v34
	v_cmp_ne_u32_e32 vcc, s21, v36
	v_mov_b32_e32 v51, 0x7f80
	s_and_saveexec_b64 s[16:17], vcc
	s_cbranch_execz .LBB916_241
; %bb.240:                              ;   in Loop: Header=BB916_213 Depth=1
	v_and_b32_e32 v42, 7, v34
	v_ffbh_u32_e32 v51, v42
	v_min_u32_e32 v51, 32, v51
	v_subrev_u32_e32 v53, 28, v51
	v_lshlrev_b64 v[60:61], v53, v[34:35]
	v_lshrrev_b32_e32 v44, 3, v36
	v_sub_u32_e32 v51, 29, v51
	v_and_b32_e32 v53, 7, v60
	v_cmp_gt_u32_e32 vcc, 8, v36
	v_cndmask_b32_e32 v36, v44, v51, vcc
	v_cndmask_b32_e32 v42, v42, v53, vcc
	v_lshlrev_b32_e32 v44, 24, v34
	v_lshlrev_b32_e32 v42, 20, v42
	v_and_b32_e32 v44, 0x80000000, v44
	v_lshl_add_u32 v36, v36, 23, v45
	v_or3_b32 v36, v44, v36, v42
	v_lshrrev_b32_e32 v51, 16, v36
.LBB916_241:                            ;   in Loop: Header=BB916_213 Depth=1
	s_or_b64 exec, exec, s[16:17]
.LBB916_242:                            ;   in Loop: Header=BB916_213 Depth=1
	s_or_b64 exec, exec, s[14:15]
.LBB916_243:                            ;   in Loop: Header=BB916_213 Depth=1
	s_or_b64 exec, exec, s[12:13]
	v_lshrrev_b16_e32 v36, 8, v34
	v_cmp_ne_u16_e32 vcc, 0, v36
	v_mov_b32_e32 v53, 0
	v_mov_b32_e32 v42, 0
	s_and_saveexec_b64 s[12:13], vcc
	s_cbranch_execz .LBB916_249
; %bb.244:                              ;   in Loop: Header=BB916_213 Depth=1
	v_cmp_ne_u16_e32 vcc, s9, v36
	v_mov_b32_e32 v42, 0xffff8000
	s_and_saveexec_b64 s[14:15], vcc
	s_cbranch_execz .LBB916_248
; %bb.245:                              ;   in Loop: Header=BB916_213 Depth=1
	v_and_b32_e32 v44, 0x7f, v36
	v_cmp_ne_u32_e32 vcc, s21, v44
	v_mov_b32_e32 v42, 0x7f80
	s_and_saveexec_b64 s[16:17], vcc
	s_cbranch_execz .LBB916_247
; %bb.246:                              ;   in Loop: Header=BB916_213 Depth=1
	v_and_b32_e32 v42, 7, v36
	v_ffbh_u32_e32 v60, v42
	v_min_u32_e32 v63, 32, v60
	v_subrev_u32_e32 v60, 28, v63
	v_lshlrev_b64 v[60:61], v60, v[36:37]
	v_lshrrev_b32_e32 v62, 3, v44
	v_sub_u32_e32 v36, 29, v63
	v_and_b32_e32 v60, 7, v60
	v_cmp_gt_u32_e32 vcc, 8, v44
	v_cndmask_b32_e32 v36, v62, v36, vcc
	v_cndmask_b32_e32 v42, v42, v60, vcc
	v_lshlrev_b32_e32 v44, 16, v34
	v_lshlrev_b32_e32 v42, 20, v42
	v_and_b32_e32 v44, 0x80000000, v44
	v_lshl_add_u32 v36, v36, 23, v45
	v_or3_b32 v36, v44, v36, v42
	v_lshrrev_b32_e32 v42, 16, v36
.LBB916_247:                            ;   in Loop: Header=BB916_213 Depth=1
	s_or_b64 exec, exec, s[16:17]
.LBB916_248:                            ;   in Loop: Header=BB916_213 Depth=1
	s_or_b64 exec, exec, s[14:15]
.LBB916_249:                            ;   in Loop: Header=BB916_213 Depth=1
	s_or_b64 exec, exec, s[12:13]
	v_lshrrev_b32_e32 v36, 16, v34
	v_cmp_ne_u16_sdwa s[14:15], v36, v43 src0_sel:BYTE_0 src1_sel:DWORD
	s_and_saveexec_b64 s[12:13], s[14:15]
	s_cbranch_execz .LBB916_255
; %bb.250:                              ;   in Loop: Header=BB916_213 Depth=1
	v_cmp_ne_u16_sdwa s[16:17], v36, s9 src0_sel:BYTE_0 src1_sel:DWORD
	v_mov_b32_e32 v53, 0xffff8000
	s_and_saveexec_b64 s[14:15], s[16:17]
	s_cbranch_execz .LBB916_254
; %bb.251:                              ;   in Loop: Header=BB916_213 Depth=1
	v_bfe_u32 v44, v34, 16, 7
	v_cmp_ne_u32_e32 vcc, s21, v44
	v_mov_b32_e32 v53, 0x7f80
	s_and_saveexec_b64 s[16:17], vcc
	s_cbranch_execz .LBB916_253
; %bb.252:                              ;   in Loop: Header=BB916_213 Depth=1
	v_and_b32_e32 v53, 7, v36
	v_ffbh_u32_e32 v60, v53
	v_min_u32_e32 v63, 32, v60
	v_subrev_u32_e32 v60, 28, v63
	v_lshlrev_b64 v[60:61], v60, v[36:37]
	v_lshrrev_b32_e32 v62, 3, v44
	v_sub_u32_e32 v61, 29, v63
	v_and_b32_e32 v60, 7, v60
	v_cmp_gt_u32_e32 vcc, 8, v44
	v_cndmask_b32_e32 v44, v62, v61, vcc
	v_cndmask_b32_e32 v53, v53, v60, vcc
	v_lshlrev_b32_e32 v36, 24, v36
	v_lshlrev_b32_e32 v53, 20, v53
	v_and_b32_e32 v36, 0x80000000, v36
	v_lshl_add_u32 v44, v44, 23, v45
	v_or3_b32 v36, v36, v44, v53
	v_lshrrev_b32_e32 v53, 16, v36
.LBB916_253:                            ;   in Loop: Header=BB916_213 Depth=1
	s_or_b64 exec, exec, s[16:17]
.LBB916_254:                            ;   in Loop: Header=BB916_213 Depth=1
	s_or_b64 exec, exec, s[14:15]
.LBB916_255:                            ;   in Loop: Header=BB916_213 Depth=1
	s_or_b64 exec, exec, s[12:13]
	v_cmp_lt_u32_e32 vcc, s22, v34
	v_mov_b32_e32 v44, 0
	v_mov_b32_e32 v60, 0
	s_and_saveexec_b64 s[12:13], vcc
	s_cbranch_execz .LBB916_261
; %bb.256:                              ;   in Loop: Header=BB916_213 Depth=1
	v_lshrrev_b32_e32 v36, 24, v34
	v_cmp_ne_u32_e32 vcc, s9, v36
	v_mov_b32_e32 v60, 0xffff8000
	s_and_saveexec_b64 s[14:15], vcc
	s_cbranch_execz .LBB916_260
; %bb.257:                              ;   in Loop: Header=BB916_213 Depth=1
	v_bfe_u32 v34, v34, 24, 7
	v_cmp_ne_u32_e32 vcc, s21, v34
	v_mov_b32_e32 v60, 0x7f80
	s_and_saveexec_b64 s[16:17], vcc
	s_cbranch_execz .LBB916_259
; %bb.258:                              ;   in Loop: Header=BB916_213 Depth=1
	v_and_b32_e32 v62, 7, v36
	v_ffbh_u32_e32 v60, v62
	v_min_u32_e32 v64, 32, v60
	v_subrev_u32_e32 v60, 28, v64
	v_lshlrev_b64 v[60:61], v60, v[36:37]
	v_lshrrev_b32_e32 v63, 3, v34
	v_sub_u32_e32 v61, 29, v64
	v_and_b32_e32 v60, 7, v60
	v_cmp_gt_u32_e32 vcc, 8, v34
	v_cndmask_b32_e32 v34, v63, v61, vcc
	v_cndmask_b32_e32 v60, v62, v60, vcc
	v_lshlrev_b32_e32 v36, 24, v36
	v_lshlrev_b32_e32 v60, 20, v60
	v_and_b32_e32 v36, 0x80000000, v36
	v_lshl_add_u32 v34, v34, 23, v45
	v_or3_b32 v34, v36, v34, v60
	v_lshrrev_b32_e32 v60, 16, v34
.LBB916_259:                            ;   in Loop: Header=BB916_213 Depth=1
	s_or_b64 exec, exec, s[16:17]
.LBB916_260:                            ;   in Loop: Header=BB916_213 Depth=1
	s_or_b64 exec, exec, s[14:15]
.LBB916_261:                            ;   in Loop: Header=BB916_213 Depth=1
	s_or_b64 exec, exec, s[12:13]
	v_perm_b32 v63, v52, v50, s23
	v_perm_b32 v62, v37, v35, s23
	;; [unrolled: 1-line block ×4, first 2 shown]
	s_waitcnt vmcnt(1)
	v_cmp_ne_u16_sdwa s[14:15], v40, v43 src0_sel:BYTE_0 src1_sel:DWORD
	v_mfma_f32_16x16x16bf16_1k v[34:37], v[62:63], v[2:3], 0
	v_mfma_f32_16x16x16bf16_1k v[34:37], v[52:53], v[4:5], v[34:37]
	s_and_saveexec_b64 s[12:13], s[14:15]
	s_cbranch_execz .LBB916_267
; %bb.262:                              ;   in Loop: Header=BB916_213 Depth=1
	v_cmp_ne_u16_sdwa s[16:17], v40, s9 src0_sel:BYTE_0 src1_sel:DWORD
	v_mov_b32_e32 v44, 0xffff8000
	s_and_saveexec_b64 s[14:15], s[16:17]
	s_cbranch_execz .LBB916_266
; %bb.263:                              ;   in Loop: Header=BB916_213 Depth=1
	v_and_b32_e32 v42, 0x7f, v40
	v_cmp_ne_u32_e32 vcc, s21, v42
	v_mov_b32_e32 v44, 0x7f80
	s_and_saveexec_b64 s[16:17], vcc
	s_cbranch_execz .LBB916_265
; %bb.264:                              ;   in Loop: Header=BB916_213 Depth=1
	v_and_b32_e32 v44, 7, v40
	v_ffbh_u32_e32 v50, v44
	v_min_u32_e32 v53, 32, v50
	v_subrev_u32_e32 v50, 28, v53
	v_lshlrev_b64 v[50:51], v50, v[40:41]
	v_lshrrev_b32_e32 v52, 3, v42
	v_sub_u32_e32 v51, 29, v53
	v_and_b32_e32 v50, 7, v50
	v_cmp_gt_u32_e32 vcc, 8, v42
	v_cndmask_b32_e32 v42, v52, v51, vcc
	v_cndmask_b32_e32 v44, v44, v50, vcc
	v_lshlrev_b32_e32 v50, 24, v40
	v_lshlrev_b32_e32 v44, 20, v44
	v_and_b32_e32 v50, 0x80000000, v50
	v_lshl_add_u32 v42, v42, 23, v45
	v_or3_b32 v42, v50, v42, v44
	v_lshrrev_b32_e32 v44, 16, v42
.LBB916_265:                            ;   in Loop: Header=BB916_213 Depth=1
	s_or_b64 exec, exec, s[16:17]
.LBB916_266:                            ;   in Loop: Header=BB916_213 Depth=1
	s_or_b64 exec, exec, s[14:15]
.LBB916_267:                            ;   in Loop: Header=BB916_213 Depth=1
	s_or_b64 exec, exec, s[12:13]
	v_lshrrev_b16_e32 v42, 8, v40
	v_cmp_ne_u16_e32 vcc, 0, v42
	v_mov_b32_e32 v52, 0
	v_mov_b32_e32 v51, 0
	s_and_saveexec_b64 s[12:13], vcc
	s_cbranch_execz .LBB916_273
; %bb.268:                              ;   in Loop: Header=BB916_213 Depth=1
	v_cmp_ne_u16_e32 vcc, s9, v42
	v_mov_b32_e32 v51, 0xffff8000
	s_and_saveexec_b64 s[14:15], vcc
	s_cbranch_execz .LBB916_272
; %bb.269:                              ;   in Loop: Header=BB916_213 Depth=1
	v_and_b32_e32 v50, 0x7f, v42
	v_cmp_ne_u32_e32 vcc, s21, v50
	v_mov_b32_e32 v51, 0x7f80
	s_and_saveexec_b64 s[16:17], vcc
	s_cbranch_execz .LBB916_271
; %bb.270:                              ;   in Loop: Header=BB916_213 Depth=1
	v_and_b32_e32 v51, 7, v42
	v_ffbh_u32_e32 v60, v51
	v_min_u32_e32 v62, 32, v60
	v_subrev_u32_e32 v60, 28, v62
	v_lshlrev_b64 v[60:61], v60, v[42:43]
	v_lshrrev_b32_e32 v53, 3, v50
	v_sub_u32_e32 v42, 29, v62
	v_and_b32_e32 v60, 7, v60
	v_cmp_gt_u32_e32 vcc, 8, v50
	v_cndmask_b32_e32 v42, v53, v42, vcc
	v_cndmask_b32_e32 v50, v51, v60, vcc
	v_lshlrev_b32_e32 v51, 16, v40
	v_lshlrev_b32_e32 v50, 20, v50
	v_and_b32_e32 v51, 0x80000000, v51
	v_lshl_add_u32 v42, v42, 23, v45
	v_or3_b32 v42, v51, v42, v50
	v_lshrrev_b32_e32 v51, 16, v42
.LBB916_271:                            ;   in Loop: Header=BB916_213 Depth=1
	s_or_b64 exec, exec, s[16:17]
.LBB916_272:                            ;   in Loop: Header=BB916_213 Depth=1
	s_or_b64 exec, exec, s[14:15]
.LBB916_273:                            ;   in Loop: Header=BB916_213 Depth=1
	s_or_b64 exec, exec, s[12:13]
	v_lshrrev_b32_e32 v42, 16, v40
	v_cmp_ne_u16_sdwa s[14:15], v42, v43 src0_sel:BYTE_0 src1_sel:DWORD
	s_and_saveexec_b64 s[12:13], s[14:15]
	s_cbranch_execz .LBB916_279
; %bb.274:                              ;   in Loop: Header=BB916_213 Depth=1
	v_cmp_ne_u16_sdwa s[16:17], v42, s9 src0_sel:BYTE_0 src1_sel:DWORD
	v_mov_b32_e32 v52, 0xffff8000
	s_and_saveexec_b64 s[14:15], s[16:17]
	s_cbranch_execz .LBB916_278
; %bb.275:                              ;   in Loop: Header=BB916_213 Depth=1
	v_bfe_u32 v50, v40, 16, 7
	v_cmp_ne_u32_e32 vcc, s21, v50
	v_mov_b32_e32 v52, 0x7f80
	s_and_saveexec_b64 s[16:17], vcc
	s_cbranch_execz .LBB916_277
; %bb.276:                              ;   in Loop: Header=BB916_213 Depth=1
	v_and_b32_e32 v60, 7, v42
	v_ffbh_u32_e32 v52, v60
	v_min_u32_e32 v62, 32, v52
	v_subrev_u32_e32 v52, 28, v62
	v_lshlrev_b64 v[52:53], v52, v[42:43]
	v_lshrrev_b32_e32 v61, 3, v50
	v_sub_u32_e32 v53, 29, v62
	v_and_b32_e32 v52, 7, v52
	v_cmp_gt_u32_e32 vcc, 8, v50
	v_cndmask_b32_e32 v50, v61, v53, vcc
	v_cndmask_b32_e32 v52, v60, v52, vcc
	v_lshlrev_b32_e32 v42, 24, v42
	v_lshlrev_b32_e32 v52, 20, v52
	v_and_b32_e32 v42, 0x80000000, v42
	v_lshl_add_u32 v50, v50, 23, v45
	v_or3_b32 v42, v42, v50, v52
	v_lshrrev_b32_e32 v52, 16, v42
.LBB916_277:                            ;   in Loop: Header=BB916_213 Depth=1
	s_or_b64 exec, exec, s[16:17]
.LBB916_278:                            ;   in Loop: Header=BB916_213 Depth=1
	s_or_b64 exec, exec, s[14:15]
.LBB916_279:                            ;   in Loop: Header=BB916_213 Depth=1
	s_or_b64 exec, exec, s[12:13]
	v_cmp_lt_u32_e32 vcc, s22, v40
	v_mov_b32_e32 v53, 0
	v_mov_b32_e32 v60, 0
	s_and_saveexec_b64 s[12:13], vcc
	s_cbranch_execz .LBB916_285
; %bb.280:                              ;   in Loop: Header=BB916_213 Depth=1
	v_lshrrev_b32_e32 v42, 24, v40
	v_cmp_ne_u32_e32 vcc, s9, v42
	v_mov_b32_e32 v60, 0xffff8000
	s_and_saveexec_b64 s[14:15], vcc
	s_cbranch_execz .LBB916_284
; %bb.281:                              ;   in Loop: Header=BB916_213 Depth=1
	v_bfe_u32 v40, v40, 24, 7
	v_cmp_ne_u32_e32 vcc, s21, v40
	v_mov_b32_e32 v60, 0x7f80
	s_and_saveexec_b64 s[16:17], vcc
	s_cbranch_execz .LBB916_283
; %bb.282:                              ;   in Loop: Header=BB916_213 Depth=1
	v_and_b32_e32 v50, 7, v42
	v_ffbh_u32_e32 v60, v50
	v_min_u32_e32 v63, 32, v60
	v_subrev_u32_e32 v60, 28, v63
	v_lshlrev_b64 v[60:61], v60, v[42:43]
	v_lshrrev_b32_e32 v62, 3, v40
	v_sub_u32_e32 v61, 29, v63
	v_and_b32_e32 v60, 7, v60
	v_cmp_gt_u32_e32 vcc, 8, v40
	v_cndmask_b32_e32 v40, v62, v61, vcc
	v_cndmask_b32_e32 v50, v50, v60, vcc
	v_lshlrev_b32_e32 v42, 24, v42
	v_lshlrev_b32_e32 v50, 20, v50
	v_and_b32_e32 v42, 0x80000000, v42
	v_lshl_add_u32 v40, v40, 23, v45
	v_or3_b32 v40, v42, v40, v50
	v_lshrrev_b32_e32 v60, 16, v40
.LBB916_283:                            ;   in Loop: Header=BB916_213 Depth=1
	s_or_b64 exec, exec, s[16:17]
.LBB916_284:                            ;   in Loop: Header=BB916_213 Depth=1
	s_or_b64 exec, exec, s[14:15]
.LBB916_285:                            ;   in Loop: Header=BB916_213 Depth=1
	s_or_b64 exec, exec, s[12:13]
	s_waitcnt vmcnt(0)
	v_cmp_ne_u16_sdwa s[14:15], v38, v43 src0_sel:BYTE_0 src1_sel:DWORD
	s_and_saveexec_b64 s[12:13], s[14:15]
	s_cbranch_execz .LBB916_291
; %bb.286:                              ;   in Loop: Header=BB916_213 Depth=1
	v_cmp_ne_u16_sdwa s[16:17], v38, s9 src0_sel:BYTE_0 src1_sel:DWORD
	v_mov_b32_e32 v53, 0xffff8000
	s_and_saveexec_b64 s[14:15], s[16:17]
	s_cbranch_execz .LBB916_290
; %bb.287:                              ;   in Loop: Header=BB916_213 Depth=1
	v_and_b32_e32 v40, 0x7f, v38
	v_cmp_ne_u32_e32 vcc, s21, v40
	v_mov_b32_e32 v53, 0x7f80
	s_and_saveexec_b64 s[16:17], vcc
	s_cbranch_execz .LBB916_289
; %bb.288:                              ;   in Loop: Header=BB916_213 Depth=1
	v_and_b32_e32 v42, 7, v38
	v_ffbh_u32_e32 v53, v42
	v_min_u32_e32 v53, 32, v53
	v_subrev_u32_e32 v61, 28, v53
	v_lshlrev_b64 v[62:63], v61, v[38:39]
	v_lshrrev_b32_e32 v50, 3, v40
	v_sub_u32_e32 v53, 29, v53
	v_and_b32_e32 v61, 7, v62
	v_cmp_gt_u32_e32 vcc, 8, v40
	v_cndmask_b32_e32 v40, v50, v53, vcc
	v_cndmask_b32_e32 v42, v42, v61, vcc
	v_lshlrev_b32_e32 v50, 24, v38
	v_lshlrev_b32_e32 v42, 20, v42
	v_and_b32_e32 v50, 0x80000000, v50
	v_lshl_add_u32 v40, v40, 23, v45
	v_or3_b32 v40, v50, v40, v42
	v_lshrrev_b32_e32 v53, 16, v40
.LBB916_289:                            ;   in Loop: Header=BB916_213 Depth=1
	s_or_b64 exec, exec, s[16:17]
.LBB916_290:                            ;   in Loop: Header=BB916_213 Depth=1
	s_or_b64 exec, exec, s[14:15]
.LBB916_291:                            ;   in Loop: Header=BB916_213 Depth=1
	s_or_b64 exec, exec, s[12:13]
	v_lshrrev_b16_e32 v40, 8, v38
	v_cmp_ne_u16_e32 vcc, 0, v40
	v_mov_b32_e32 v62, 0
	v_mov_b32_e32 v61, 0
	s_and_saveexec_b64 s[12:13], vcc
	s_cbranch_execz .LBB916_297
; %bb.292:                              ;   in Loop: Header=BB916_213 Depth=1
	v_cmp_ne_u16_e32 vcc, s9, v40
	v_mov_b32_e32 v61, 0xffff8000
	s_and_saveexec_b64 s[14:15], vcc
	s_cbranch_execz .LBB916_296
; %bb.293:                              ;   in Loop: Header=BB916_213 Depth=1
	v_and_b32_e32 v42, 0x7f, v40
	v_cmp_ne_u32_e32 vcc, s21, v42
	v_mov_b32_e32 v61, 0x7f80
	s_and_saveexec_b64 s[16:17], vcc
	s_cbranch_execz .LBB916_295
; %bb.294:                              ;   in Loop: Header=BB916_213 Depth=1
	v_and_b32_e32 v50, 7, v40
	v_ffbh_u32_e32 v63, v50
	v_min_u32_e32 v63, 32, v63
	v_subrev_u32_e32 v64, 28, v63
	v_lshlrev_b64 v[64:65], v64, v[40:41]
	v_lshrrev_b32_e32 v61, 3, v42
	v_sub_u32_e32 v40, 29, v63
	v_and_b32_e32 v63, 7, v64
	v_cmp_gt_u32_e32 vcc, 8, v42
	v_cndmask_b32_e32 v40, v61, v40, vcc
	v_cndmask_b32_e32 v42, v50, v63, vcc
	v_lshlrev_b32_e32 v50, 16, v38
	v_lshlrev_b32_e32 v42, 20, v42
	v_and_b32_e32 v50, 0x80000000, v50
	v_lshl_add_u32 v40, v40, 23, v45
	v_or3_b32 v40, v50, v40, v42
	v_lshrrev_b32_e32 v61, 16, v40
.LBB916_295:                            ;   in Loop: Header=BB916_213 Depth=1
	s_or_b64 exec, exec, s[16:17]
.LBB916_296:                            ;   in Loop: Header=BB916_213 Depth=1
	s_or_b64 exec, exec, s[14:15]
.LBB916_297:                            ;   in Loop: Header=BB916_213 Depth=1
	s_or_b64 exec, exec, s[12:13]
	v_lshrrev_b32_e32 v40, 16, v38
	v_cmp_ne_u16_sdwa s[14:15], v40, v43 src0_sel:BYTE_0 src1_sel:DWORD
	s_and_saveexec_b64 s[12:13], s[14:15]
	s_cbranch_execz .LBB916_303
; %bb.298:                              ;   in Loop: Header=BB916_213 Depth=1
	v_cmp_ne_u16_sdwa s[16:17], v40, s9 src0_sel:BYTE_0 src1_sel:DWORD
	v_mov_b32_e32 v62, 0xffff8000
	s_and_saveexec_b64 s[14:15], s[16:17]
	s_cbranch_execz .LBB916_302
; %bb.299:                              ;   in Loop: Header=BB916_213 Depth=1
	v_bfe_u32 v42, v38, 16, 7
	v_cmp_ne_u32_e32 vcc, s21, v42
	v_mov_b32_e32 v62, 0x7f80
	s_and_saveexec_b64 s[16:17], vcc
	s_cbranch_execz .LBB916_301
; %bb.300:                              ;   in Loop: Header=BB916_213 Depth=1
	v_and_b32_e32 v50, 7, v40
	v_ffbh_u32_e32 v62, v50
	v_min_u32_e32 v65, 32, v62
	v_subrev_u32_e32 v62, 28, v65
	v_lshlrev_b64 v[62:63], v62, v[40:41]
	v_lshrrev_b32_e32 v64, 3, v42
	v_sub_u32_e32 v63, 29, v65
	v_and_b32_e32 v62, 7, v62
	v_cmp_gt_u32_e32 vcc, 8, v42
	v_cndmask_b32_e32 v42, v64, v63, vcc
	v_cndmask_b32_e32 v50, v50, v62, vcc
	v_lshlrev_b32_e32 v40, 24, v40
	v_lshlrev_b32_e32 v50, 20, v50
	v_and_b32_e32 v40, 0x80000000, v40
	v_lshl_add_u32 v42, v42, 23, v45
	v_or3_b32 v40, v40, v42, v50
	v_lshrrev_b32_e32 v62, 16, v40
.LBB916_301:                            ;   in Loop: Header=BB916_213 Depth=1
	s_or_b64 exec, exec, s[16:17]
.LBB916_302:                            ;   in Loop: Header=BB916_213 Depth=1
	s_or_b64 exec, exec, s[14:15]
.LBB916_303:                            ;   in Loop: Header=BB916_213 Depth=1
	s_or_b64 exec, exec, s[12:13]
	v_cmp_lt_u32_e32 vcc, s22, v38
	v_mov_b32_e32 v50, 0
	v_mov_b32_e32 v63, 0
	s_and_saveexec_b64 s[12:13], vcc
	s_cbranch_execz .LBB916_309
; %bb.304:                              ;   in Loop: Header=BB916_213 Depth=1
	v_lshrrev_b32_e32 v40, 24, v38
	v_cmp_ne_u32_e32 vcc, s9, v40
	v_mov_b32_e32 v63, 0xffff8000
	s_and_saveexec_b64 s[14:15], vcc
	s_cbranch_execz .LBB916_308
; %bb.305:                              ;   in Loop: Header=BB916_213 Depth=1
	v_bfe_u32 v38, v38, 24, 7
	v_cmp_ne_u32_e32 vcc, s21, v38
	v_mov_b32_e32 v63, 0x7f80
	s_and_saveexec_b64 s[16:17], vcc
	s_cbranch_execz .LBB916_307
; %bb.306:                              ;   in Loop: Header=BB916_213 Depth=1
	v_and_b32_e32 v42, 7, v40
	v_ffbh_u32_e32 v64, v42
	v_min_u32_e32 v66, 32, v64
	v_subrev_u32_e32 v64, 28, v66
	v_lshlrev_b64 v[64:65], v64, v[40:41]
	v_lshrrev_b32_e32 v63, 3, v38
	v_sub_u32_e32 v65, 29, v66
	v_and_b32_e32 v64, 7, v64
	v_cmp_gt_u32_e32 vcc, 8, v38
	v_cndmask_b32_e32 v38, v63, v65, vcc
	v_cndmask_b32_e32 v42, v42, v64, vcc
	v_lshlrev_b32_e32 v40, 24, v40
	v_lshlrev_b32_e32 v42, 20, v42
	v_and_b32_e32 v40, 0x80000000, v40
	v_lshl_add_u32 v38, v38, 23, v45
	v_or3_b32 v38, v40, v38, v42
	v_lshrrev_b32_e32 v63, 16, v38
.LBB916_307:                            ;   in Loop: Header=BB916_213 Depth=1
	s_or_b64 exec, exec, s[16:17]
.LBB916_308:                            ;   in Loop: Header=BB916_213 Depth=1
	s_or_b64 exec, exec, s[14:15]
.LBB916_309:                            ;   in Loop: Header=BB916_213 Depth=1
	s_or_b64 exec, exec, s[12:13]
	v_perm_b32 v64, v51, v44, s23
	buffer_load_dword v44, v46, s[0:3], 0 offen
	buffer_load_dword v42, v46, s[0:3], 0 offen offset:4
	buffer_load_dword v40, v46, s[0:3], 0 offen offset:8
	;; [unrolled: 1-line block ×3, first 2 shown]
	v_perm_b32 v65, v60, v52, s23
	v_perm_b32 v63, v63, v62, s23
	;; [unrolled: 1-line block ×3, first 2 shown]
	v_mfma_f32_16x16x16bf16_1k v[34:37], v[64:65], v[6:7], v[34:37]
	s_waitcnt vmcnt(3)
	v_cmp_ne_u16_sdwa s[14:15], v44, v43 src0_sel:BYTE_0 src1_sel:DWORD
	v_mfma_f32_16x16x16bf16_1k v[34:37], v[62:63], v[8:9], v[34:37]
	s_and_saveexec_b64 s[12:13], s[14:15]
	s_cbranch_execz .LBB916_315
; %bb.310:                              ;   in Loop: Header=BB916_213 Depth=1
	v_cmp_ne_u16_sdwa s[16:17], v44, s9 src0_sel:BYTE_0 src1_sel:DWORD
	v_mov_b32_e32 v50, 0xffff8000
	s_and_saveexec_b64 s[14:15], s[16:17]
	s_cbranch_execz .LBB916_314
; %bb.311:                              ;   in Loop: Header=BB916_213 Depth=1
	v_and_b32_e32 v46, 0x7f, v44
	v_cmp_ne_u32_e32 vcc, s21, v46
	v_mov_b32_e32 v50, 0x7f80
	s_and_saveexec_b64 s[16:17], vcc
	s_cbranch_execz .LBB916_313
; %bb.312:                              ;   in Loop: Header=BB916_213 Depth=1
	v_and_b32_e32 v52, 7, v44
	v_ffbh_u32_e32 v50, v52
	v_min_u32_e32 v60, 32, v50
	v_subrev_u32_e32 v50, 28, v60
	v_lshlrev_b64 v[50:51], v50, v[44:45]
	v_lshrrev_b32_e32 v53, 3, v46
	v_sub_u32_e32 v51, 29, v60
	v_and_b32_e32 v50, 7, v50
	v_cmp_gt_u32_e32 vcc, 8, v46
	v_cndmask_b32_e32 v46, v53, v51, vcc
	v_cndmask_b32_e32 v50, v52, v50, vcc
	v_lshlrev_b32_e32 v51, 24, v44
	v_lshlrev_b32_e32 v50, 20, v50
	v_and_b32_e32 v51, 0x80000000, v51
	v_lshl_add_u32 v46, v46, 23, v45
	v_or3_b32 v46, v51, v46, v50
	v_lshrrev_b32_e32 v50, 16, v46
.LBB916_313:                            ;   in Loop: Header=BB916_213 Depth=1
	s_or_b64 exec, exec, s[16:17]
.LBB916_314:                            ;   in Loop: Header=BB916_213 Depth=1
	s_or_b64 exec, exec, s[14:15]
.LBB916_315:                            ;   in Loop: Header=BB916_213 Depth=1
	s_or_b64 exec, exec, s[12:13]
	v_lshrrev_b16_e32 v46, 8, v44
	v_cmp_ne_u16_e32 vcc, 0, v46
	v_mov_b32_e32 v52, 0
	v_mov_b32_e32 v51, 0
	s_and_saveexec_b64 s[12:13], vcc
	s_cbranch_execz .LBB916_321
; %bb.316:                              ;   in Loop: Header=BB916_213 Depth=1
	v_cmp_ne_u16_e32 vcc, s9, v46
	v_mov_b32_e32 v51, 0xffff8000
	s_and_saveexec_b64 s[14:15], vcc
	s_cbranch_execz .LBB916_320
; %bb.317:                              ;   in Loop: Header=BB916_213 Depth=1
	v_and_b32_e32 v53, 0x7f, v46
	v_cmp_ne_u32_e32 vcc, s21, v53
	v_mov_b32_e32 v51, 0x7f80
	s_and_saveexec_b64 s[16:17], vcc
	s_cbranch_execz .LBB916_319
; %bb.318:                              ;   in Loop: Header=BB916_213 Depth=1
	v_and_b32_e32 v51, 7, v46
	v_ffbh_u32_e32 v60, v51
	v_min_u32_e32 v63, 32, v60
	v_subrev_u32_e32 v60, 28, v63
	v_lshlrev_b64 v[60:61], v60, v[46:47]
	v_lshrrev_b32_e32 v62, 3, v53
	v_sub_u32_e32 v46, 29, v63
	v_and_b32_e32 v60, 7, v60
	v_cmp_gt_u32_e32 vcc, 8, v53
	v_cndmask_b32_e32 v46, v62, v46, vcc
	v_cndmask_b32_e32 v51, v51, v60, vcc
	v_lshlrev_b32_e32 v53, 16, v44
	v_lshlrev_b32_e32 v51, 20, v51
	v_and_b32_e32 v53, 0x80000000, v53
	v_lshl_add_u32 v46, v46, 23, v45
	v_or3_b32 v46, v53, v46, v51
	v_lshrrev_b32_e32 v51, 16, v46
.LBB916_319:                            ;   in Loop: Header=BB916_213 Depth=1
	s_or_b64 exec, exec, s[16:17]
.LBB916_320:                            ;   in Loop: Header=BB916_213 Depth=1
	s_or_b64 exec, exec, s[14:15]
.LBB916_321:                            ;   in Loop: Header=BB916_213 Depth=1
	s_or_b64 exec, exec, s[12:13]
	v_lshrrev_b32_e32 v46, 16, v44
	v_cmp_ne_u16_sdwa s[14:15], v46, v43 src0_sel:BYTE_0 src1_sel:DWORD
	s_and_saveexec_b64 s[12:13], s[14:15]
	s_cbranch_execz .LBB916_327
; %bb.322:                              ;   in Loop: Header=BB916_213 Depth=1
	v_cmp_ne_u16_sdwa s[16:17], v46, s9 src0_sel:BYTE_0 src1_sel:DWORD
	v_mov_b32_e32 v52, 0xffff8000
	s_and_saveexec_b64 s[14:15], s[16:17]
	s_cbranch_execz .LBB916_326
; %bb.323:                              ;   in Loop: Header=BB916_213 Depth=1
	v_bfe_u32 v53, v44, 16, 7
	v_cmp_ne_u32_e32 vcc, s21, v53
	v_mov_b32_e32 v52, 0x7f80
	s_and_saveexec_b64 s[16:17], vcc
	s_cbranch_execz .LBB916_325
; %bb.324:                              ;   in Loop: Header=BB916_213 Depth=1
	v_and_b32_e32 v52, 7, v46
	v_ffbh_u32_e32 v60, v52
	v_min_u32_e32 v63, 32, v60
	v_subrev_u32_e32 v60, 28, v63
	v_lshlrev_b64 v[60:61], v60, v[46:47]
	v_lshrrev_b32_e32 v62, 3, v53
	v_sub_u32_e32 v61, 29, v63
	v_and_b32_e32 v60, 7, v60
	v_cmp_gt_u32_e32 vcc, 8, v53
	v_cndmask_b32_e32 v53, v62, v61, vcc
	v_cndmask_b32_e32 v52, v52, v60, vcc
	v_lshlrev_b32_e32 v46, 24, v46
	v_lshlrev_b32_e32 v52, 20, v52
	v_and_b32_e32 v46, 0x80000000, v46
	v_lshl_add_u32 v53, v53, 23, v45
	v_or3_b32 v46, v46, v53, v52
	v_lshrrev_b32_e32 v52, 16, v46
.LBB916_325:                            ;   in Loop: Header=BB916_213 Depth=1
	s_or_b64 exec, exec, s[16:17]
.LBB916_326:                            ;   in Loop: Header=BB916_213 Depth=1
	s_or_b64 exec, exec, s[14:15]
.LBB916_327:                            ;   in Loop: Header=BB916_213 Depth=1
	s_or_b64 exec, exec, s[12:13]
	v_cmp_lt_u32_e32 vcc, s22, v44
	v_mov_b32_e32 v53, 0
	v_mov_b32_e32 v60, 0
	s_and_saveexec_b64 s[12:13], vcc
	s_cbranch_execz .LBB916_333
; %bb.328:                              ;   in Loop: Header=BB916_213 Depth=1
	v_lshrrev_b32_e32 v46, 24, v44
	v_cmp_ne_u32_e32 vcc, s9, v46
	v_mov_b32_e32 v60, 0xffff8000
	s_and_saveexec_b64 s[14:15], vcc
	s_cbranch_execz .LBB916_332
; %bb.329:                              ;   in Loop: Header=BB916_213 Depth=1
	v_bfe_u32 v44, v44, 24, 7
	v_cmp_ne_u32_e32 vcc, s21, v44
	v_mov_b32_e32 v60, 0x7f80
	s_and_saveexec_b64 s[16:17], vcc
	s_cbranch_execz .LBB916_331
; %bb.330:                              ;   in Loop: Header=BB916_213 Depth=1
	v_and_b32_e32 v62, 7, v46
	v_ffbh_u32_e32 v60, v62
	v_min_u32_e32 v64, 32, v60
	v_subrev_u32_e32 v60, 28, v64
	v_lshlrev_b64 v[60:61], v60, v[46:47]
	v_lshrrev_b32_e32 v63, 3, v44
	v_sub_u32_e32 v61, 29, v64
	v_and_b32_e32 v60, 7, v60
	v_cmp_gt_u32_e32 vcc, 8, v44
	v_cndmask_b32_e32 v44, v63, v61, vcc
	v_cndmask_b32_e32 v60, v62, v60, vcc
	v_lshlrev_b32_e32 v46, 24, v46
	v_lshlrev_b32_e32 v60, 20, v60
	v_and_b32_e32 v46, 0x80000000, v46
	v_lshl_add_u32 v44, v44, 23, v45
	v_or3_b32 v44, v46, v44, v60
	v_lshrrev_b32_e32 v60, 16, v44
.LBB916_331:                            ;   in Loop: Header=BB916_213 Depth=1
	s_or_b64 exec, exec, s[16:17]
.LBB916_332:                            ;   in Loop: Header=BB916_213 Depth=1
	s_or_b64 exec, exec, s[14:15]
.LBB916_333:                            ;   in Loop: Header=BB916_213 Depth=1
	s_or_b64 exec, exec, s[12:13]
	s_waitcnt vmcnt(2)
	v_cmp_ne_u16_sdwa s[14:15], v42, v43 src0_sel:BYTE_0 src1_sel:DWORD
	s_and_saveexec_b64 s[12:13], s[14:15]
	s_cbranch_execz .LBB916_339
; %bb.334:                              ;   in Loop: Header=BB916_213 Depth=1
	v_cmp_ne_u16_sdwa s[16:17], v42, s9 src0_sel:BYTE_0 src1_sel:DWORD
	v_mov_b32_e32 v53, 0xffff8000
	s_and_saveexec_b64 s[14:15], s[16:17]
	s_cbranch_execz .LBB916_338
; %bb.335:                              ;   in Loop: Header=BB916_213 Depth=1
	v_and_b32_e32 v44, 0x7f, v42
	v_cmp_ne_u32_e32 vcc, s21, v44
	v_mov_b32_e32 v53, 0x7f80
	s_and_saveexec_b64 s[16:17], vcc
	s_cbranch_execz .LBB916_337
; %bb.336:                              ;   in Loop: Header=BB916_213 Depth=1
	v_and_b32_e32 v46, 7, v42
	v_ffbh_u32_e32 v61, v46
	v_min_u32_e32 v61, 32, v61
	v_subrev_u32_e32 v62, 28, v61
	v_lshlrev_b64 v[62:63], v62, v[42:43]
	v_lshrrev_b32_e32 v53, 3, v44
	v_sub_u32_e32 v61, 29, v61
	v_and_b32_e32 v62, 7, v62
	v_cmp_gt_u32_e32 vcc, 8, v44
	v_cndmask_b32_e32 v44, v53, v61, vcc
	v_cndmask_b32_e32 v46, v46, v62, vcc
	v_lshlrev_b32_e32 v53, 24, v42
	v_lshlrev_b32_e32 v46, 20, v46
	v_and_b32_e32 v53, 0x80000000, v53
	v_lshl_add_u32 v44, v44, 23, v45
	v_or3_b32 v44, v53, v44, v46
	v_lshrrev_b32_e32 v53, 16, v44
.LBB916_337:                            ;   in Loop: Header=BB916_213 Depth=1
	s_or_b64 exec, exec, s[16:17]
.LBB916_338:                            ;   in Loop: Header=BB916_213 Depth=1
	s_or_b64 exec, exec, s[14:15]
.LBB916_339:                            ;   in Loop: Header=BB916_213 Depth=1
	s_or_b64 exec, exec, s[12:13]
	v_lshrrev_b16_e32 v44, 8, v42
	v_cmp_ne_u16_e32 vcc, 0, v44
	v_mov_b32_e32 v62, 0
	v_mov_b32_e32 v61, 0
	s_and_saveexec_b64 s[12:13], vcc
	s_cbranch_execz .LBB916_345
; %bb.340:                              ;   in Loop: Header=BB916_213 Depth=1
	v_cmp_ne_u16_e32 vcc, s9, v44
	v_mov_b32_e32 v61, 0xffff8000
	s_and_saveexec_b64 s[14:15], vcc
	s_cbranch_execz .LBB916_344
; %bb.341:                              ;   in Loop: Header=BB916_213 Depth=1
	v_and_b32_e32 v46, 0x7f, v44
	v_cmp_ne_u32_e32 vcc, s21, v46
	v_mov_b32_e32 v61, 0x7f80
	s_and_saveexec_b64 s[16:17], vcc
	s_cbranch_execz .LBB916_343
; %bb.342:                              ;   in Loop: Header=BB916_213 Depth=1
	v_and_b32_e32 v61, 7, v44
	v_ffbh_u32_e32 v64, v61
	v_min_u32_e32 v66, 32, v64
	v_subrev_u32_e32 v64, 28, v66
	v_lshlrev_b64 v[64:65], v64, v[44:45]
	v_lshrrev_b32_e32 v63, 3, v46
	v_sub_u32_e32 v44, 29, v66
	v_and_b32_e32 v64, 7, v64
	v_cmp_gt_u32_e32 vcc, 8, v46
	v_cndmask_b32_e32 v44, v63, v44, vcc
	v_cndmask_b32_e32 v46, v61, v64, vcc
	v_lshlrev_b32_e32 v61, 16, v42
	v_lshlrev_b32_e32 v46, 20, v46
	v_and_b32_e32 v61, 0x80000000, v61
	v_lshl_add_u32 v44, v44, 23, v45
	v_or3_b32 v44, v61, v44, v46
	v_lshrrev_b32_e32 v61, 16, v44
.LBB916_343:                            ;   in Loop: Header=BB916_213 Depth=1
	s_or_b64 exec, exec, s[16:17]
.LBB916_344:                            ;   in Loop: Header=BB916_213 Depth=1
	s_or_b64 exec, exec, s[14:15]
.LBB916_345:                            ;   in Loop: Header=BB916_213 Depth=1
	s_or_b64 exec, exec, s[12:13]
	v_lshrrev_b32_e32 v44, 16, v42
	v_cmp_ne_u16_sdwa s[14:15], v44, v43 src0_sel:BYTE_0 src1_sel:DWORD
	s_and_saveexec_b64 s[12:13], s[14:15]
	s_cbranch_execz .LBB916_351
; %bb.346:                              ;   in Loop: Header=BB916_213 Depth=1
	v_cmp_ne_u16_sdwa s[16:17], v44, s9 src0_sel:BYTE_0 src1_sel:DWORD
	v_mov_b32_e32 v62, 0xffff8000
	s_and_saveexec_b64 s[14:15], s[16:17]
	s_cbranch_execz .LBB916_350
; %bb.347:                              ;   in Loop: Header=BB916_213 Depth=1
	v_bfe_u32 v46, v42, 16, 7
	v_cmp_ne_u32_e32 vcc, s21, v46
	v_mov_b32_e32 v62, 0x7f80
	s_and_saveexec_b64 s[16:17], vcc
	s_cbranch_execz .LBB916_349
; %bb.348:                              ;   in Loop: Header=BB916_213 Depth=1
	v_and_b32_e32 v64, 7, v44
	v_ffbh_u32_e32 v62, v64
	v_min_u32_e32 v66, 32, v62
	v_subrev_u32_e32 v62, 28, v66
	v_lshlrev_b64 v[62:63], v62, v[44:45]
	v_lshrrev_b32_e32 v65, 3, v46
	v_sub_u32_e32 v63, 29, v66
	v_and_b32_e32 v62, 7, v62
	v_cmp_gt_u32_e32 vcc, 8, v46
	v_cndmask_b32_e32 v46, v65, v63, vcc
	v_cndmask_b32_e32 v62, v64, v62, vcc
	v_lshlrev_b32_e32 v44, 24, v44
	v_lshlrev_b32_e32 v62, 20, v62
	v_and_b32_e32 v44, 0x80000000, v44
	v_lshl_add_u32 v46, v46, 23, v45
	v_or3_b32 v44, v44, v46, v62
	v_lshrrev_b32_e32 v62, 16, v44
.LBB916_349:                            ;   in Loop: Header=BB916_213 Depth=1
	s_or_b64 exec, exec, s[16:17]
.LBB916_350:                            ;   in Loop: Header=BB916_213 Depth=1
	s_or_b64 exec, exec, s[14:15]
.LBB916_351:                            ;   in Loop: Header=BB916_213 Depth=1
	s_or_b64 exec, exec, s[12:13]
	v_cmp_lt_u32_e32 vcc, s22, v42
	v_mov_b32_e32 v46, 0
	v_mov_b32_e32 v63, 0
	s_and_saveexec_b64 s[12:13], vcc
	s_cbranch_execz .LBB916_357
; %bb.352:                              ;   in Loop: Header=BB916_213 Depth=1
	v_lshrrev_b32_e32 v44, 24, v42
	v_cmp_ne_u32_e32 vcc, s9, v44
	v_mov_b32_e32 v63, 0xffff8000
	s_and_saveexec_b64 s[14:15], vcc
	s_cbranch_execz .LBB916_356
; %bb.353:                              ;   in Loop: Header=BB916_213 Depth=1
	v_bfe_u32 v42, v42, 24, 7
	v_cmp_ne_u32_e32 vcc, s21, v42
	v_mov_b32_e32 v63, 0x7f80
	s_and_saveexec_b64 s[16:17], vcc
	s_cbranch_execz .LBB916_355
; %bb.354:                              ;   in Loop: Header=BB916_213 Depth=1
	v_and_b32_e32 v63, 7, v44
	v_ffbh_u32_e32 v64, v63
	v_min_u32_e32 v67, 32, v64
	v_subrev_u32_e32 v64, 28, v67
	v_lshlrev_b64 v[64:65], v64, v[44:45]
	v_lshrrev_b32_e32 v66, 3, v42
	v_sub_u32_e32 v65, 29, v67
	v_and_b32_e32 v64, 7, v64
	v_cmp_gt_u32_e32 vcc, 8, v42
	v_cndmask_b32_e32 v42, v66, v65, vcc
	v_cndmask_b32_e32 v63, v63, v64, vcc
	v_lshlrev_b32_e32 v44, 24, v44
	v_lshlrev_b32_e32 v63, 20, v63
	v_and_b32_e32 v44, 0x80000000, v44
	v_lshl_add_u32 v42, v42, 23, v45
	v_or3_b32 v42, v44, v42, v63
	v_lshrrev_b32_e32 v63, 16, v42
.LBB916_355:                            ;   in Loop: Header=BB916_213 Depth=1
	s_or_b64 exec, exec, s[16:17]
.LBB916_356:                            ;   in Loop: Header=BB916_213 Depth=1
	s_or_b64 exec, exec, s[14:15]
.LBB916_357:                            ;   in Loop: Header=BB916_213 Depth=1
	s_or_b64 exec, exec, s[12:13]
	v_perm_b32 v65, v60, v52, s23
	v_perm_b32 v64, v51, v50, s23
	;; [unrolled: 1-line block ×4, first 2 shown]
	s_waitcnt vmcnt(1)
	v_cmp_ne_u16_sdwa s[14:15], v40, v43 src0_sel:BYTE_0 src1_sel:DWORD
	v_mfma_f32_16x16x16bf16_1k v[34:37], v[64:65], v[10:11], v[34:37]
	v_mfma_f32_16x16x16bf16_1k v[34:37], v[50:51], v[12:13], v[34:37]
	s_and_saveexec_b64 s[12:13], s[14:15]
	s_cbranch_execz .LBB916_363
; %bb.358:                              ;   in Loop: Header=BB916_213 Depth=1
	v_cmp_ne_u16_sdwa s[16:17], v40, s9 src0_sel:BYTE_0 src1_sel:DWORD
	v_mov_b32_e32 v46, 0xffff8000
	s_and_saveexec_b64 s[14:15], s[16:17]
	s_cbranch_execz .LBB916_362
; %bb.359:                              ;   in Loop: Header=BB916_213 Depth=1
	v_and_b32_e32 v42, 0x7f, v40
	v_cmp_ne_u32_e32 vcc, s21, v42
	v_mov_b32_e32 v46, 0x7f80
	s_and_saveexec_b64 s[16:17], vcc
	s_cbranch_execz .LBB916_361
; %bb.360:                              ;   in Loop: Header=BB916_213 Depth=1
	v_and_b32_e32 v44, 7, v40
	v_ffbh_u32_e32 v50, v44
	v_min_u32_e32 v52, 32, v50
	v_subrev_u32_e32 v50, 28, v52
	v_lshlrev_b64 v[50:51], v50, v[40:41]
	v_lshrrev_b32_e32 v46, 3, v42
	v_sub_u32_e32 v51, 29, v52
	v_and_b32_e32 v50, 7, v50
	v_cmp_gt_u32_e32 vcc, 8, v42
	v_cndmask_b32_e32 v42, v46, v51, vcc
	v_cndmask_b32_e32 v44, v44, v50, vcc
	v_lshlrev_b32_e32 v46, 24, v40
	v_lshlrev_b32_e32 v44, 20, v44
	v_and_b32_e32 v46, 0x80000000, v46
	v_lshl_add_u32 v42, v42, 23, v45
	v_or3_b32 v42, v46, v42, v44
	v_lshrrev_b32_e32 v46, 16, v42
.LBB916_361:                            ;   in Loop: Header=BB916_213 Depth=1
	s_or_b64 exec, exec, s[16:17]
.LBB916_362:                            ;   in Loop: Header=BB916_213 Depth=1
	s_or_b64 exec, exec, s[14:15]
.LBB916_363:                            ;   in Loop: Header=BB916_213 Depth=1
	s_or_b64 exec, exec, s[12:13]
	v_lshrrev_b16_e32 v42, 8, v40
	v_cmp_ne_u16_e32 vcc, 0, v42
	v_mov_b32_e32 v51, 0
	v_mov_b32_e32 v44, 0
	s_and_saveexec_b64 s[12:13], vcc
	s_cbranch_execz .LBB916_369
; %bb.364:                              ;   in Loop: Header=BB916_213 Depth=1
	v_cmp_ne_u16_e32 vcc, s9, v42
	v_mov_b32_e32 v44, 0xffff8000
	s_and_saveexec_b64 s[14:15], vcc
	s_cbranch_execz .LBB916_368
; %bb.365:                              ;   in Loop: Header=BB916_213 Depth=1
	v_and_b32_e32 v50, 0x7f, v42
	v_cmp_ne_u32_e32 vcc, s21, v50
	v_mov_b32_e32 v44, 0x7f80
	s_and_saveexec_b64 s[16:17], vcc
	s_cbranch_execz .LBB916_367
; %bb.366:                              ;   in Loop: Header=BB916_213 Depth=1
	v_and_b32_e32 v44, 7, v42
	v_ffbh_u32_e32 v52, v44
	v_min_u32_e32 v61, 32, v52
	v_subrev_u32_e32 v52, 28, v61
	v_lshlrev_b64 v[52:53], v52, v[42:43]
	v_lshrrev_b32_e32 v60, 3, v50
	v_sub_u32_e32 v42, 29, v61
	v_and_b32_e32 v52, 7, v52
	v_cmp_gt_u32_e32 vcc, 8, v50
	v_cndmask_b32_e32 v42, v60, v42, vcc
	v_cndmask_b32_e32 v44, v44, v52, vcc
	v_lshlrev_b32_e32 v50, 16, v40
	v_lshlrev_b32_e32 v44, 20, v44
	v_and_b32_e32 v50, 0x80000000, v50
	v_lshl_add_u32 v42, v42, 23, v45
	v_or3_b32 v42, v50, v42, v44
	v_lshrrev_b32_e32 v44, 16, v42
.LBB916_367:                            ;   in Loop: Header=BB916_213 Depth=1
	s_or_b64 exec, exec, s[16:17]
.LBB916_368:                            ;   in Loop: Header=BB916_213 Depth=1
	s_or_b64 exec, exec, s[14:15]
.LBB916_369:                            ;   in Loop: Header=BB916_213 Depth=1
	s_or_b64 exec, exec, s[12:13]
	v_lshrrev_b32_e32 v42, 16, v40
	v_cmp_ne_u16_sdwa s[14:15], v42, v43 src0_sel:BYTE_0 src1_sel:DWORD
	s_and_saveexec_b64 s[12:13], s[14:15]
	s_cbranch_execz .LBB916_375
; %bb.370:                              ;   in Loop: Header=BB916_213 Depth=1
	v_cmp_ne_u16_sdwa s[16:17], v42, s9 src0_sel:BYTE_0 src1_sel:DWORD
	v_mov_b32_e32 v51, 0xffff8000
	s_and_saveexec_b64 s[14:15], s[16:17]
	s_cbranch_execz .LBB916_374
; %bb.371:                              ;   in Loop: Header=BB916_213 Depth=1
	v_bfe_u32 v50, v40, 16, 7
	v_cmp_ne_u32_e32 vcc, s21, v50
	v_mov_b32_e32 v51, 0x7f80
	s_and_saveexec_b64 s[16:17], vcc
	s_cbranch_execz .LBB916_373
; %bb.372:                              ;   in Loop: Header=BB916_213 Depth=1
	v_and_b32_e32 v51, 7, v42
	v_ffbh_u32_e32 v52, v51
	v_min_u32_e32 v61, 32, v52
	v_subrev_u32_e32 v52, 28, v61
	v_lshlrev_b64 v[52:53], v52, v[42:43]
	v_lshrrev_b32_e32 v60, 3, v50
	v_sub_u32_e32 v53, 29, v61
	v_and_b32_e32 v52, 7, v52
	v_cmp_gt_u32_e32 vcc, 8, v50
	v_cndmask_b32_e32 v50, v60, v53, vcc
	v_cndmask_b32_e32 v51, v51, v52, vcc
	v_lshlrev_b32_e32 v42, 24, v42
	v_lshlrev_b32_e32 v51, 20, v51
	v_and_b32_e32 v42, 0x80000000, v42
	v_lshl_add_u32 v50, v50, 23, v45
	v_or3_b32 v42, v42, v50, v51
	v_lshrrev_b32_e32 v51, 16, v42
.LBB916_373:                            ;   in Loop: Header=BB916_213 Depth=1
	s_or_b64 exec, exec, s[16:17]
.LBB916_374:                            ;   in Loop: Header=BB916_213 Depth=1
	s_or_b64 exec, exec, s[14:15]
.LBB916_375:                            ;   in Loop: Header=BB916_213 Depth=1
	s_or_b64 exec, exec, s[12:13]
	v_cmp_lt_u32_e32 vcc, s22, v40
	v_mov_b32_e32 v52, 0
	v_mov_b32_e32 v53, 0
	s_and_saveexec_b64 s[12:13], vcc
	s_cbranch_execz .LBB916_381
; %bb.376:                              ;   in Loop: Header=BB916_213 Depth=1
	v_lshrrev_b32_e32 v42, 24, v40
	v_cmp_ne_u32_e32 vcc, s9, v42
	v_mov_b32_e32 v53, 0xffff8000
	s_and_saveexec_b64 s[14:15], vcc
	s_cbranch_execz .LBB916_380
; %bb.377:                              ;   in Loop: Header=BB916_213 Depth=1
	v_bfe_u32 v40, v40, 24, 7
	v_cmp_ne_u32_e32 vcc, s21, v40
	v_mov_b32_e32 v53, 0x7f80
	s_and_saveexec_b64 s[16:17], vcc
	s_cbranch_execz .LBB916_379
; %bb.378:                              ;   in Loop: Header=BB916_213 Depth=1
	v_and_b32_e32 v50, 7, v42
	v_ffbh_u32_e32 v60, v50
	v_min_u32_e32 v62, 32, v60
	v_subrev_u32_e32 v60, 28, v62
	v_lshlrev_b64 v[60:61], v60, v[42:43]
	v_lshrrev_b32_e32 v53, 3, v40
	v_sub_u32_e32 v61, 29, v62
	v_and_b32_e32 v60, 7, v60
	v_cmp_gt_u32_e32 vcc, 8, v40
	v_cndmask_b32_e32 v40, v53, v61, vcc
	v_cndmask_b32_e32 v50, v50, v60, vcc
	v_lshlrev_b32_e32 v42, 24, v42
	v_lshlrev_b32_e32 v50, 20, v50
	v_and_b32_e32 v42, 0x80000000, v42
	v_lshl_add_u32 v40, v40, 23, v45
	v_or3_b32 v40, v42, v40, v50
	v_lshrrev_b32_e32 v53, 16, v40
.LBB916_379:                            ;   in Loop: Header=BB916_213 Depth=1
	s_or_b64 exec, exec, s[16:17]
.LBB916_380:                            ;   in Loop: Header=BB916_213 Depth=1
	s_or_b64 exec, exec, s[14:15]
.LBB916_381:                            ;   in Loop: Header=BB916_213 Depth=1
	s_or_b64 exec, exec, s[12:13]
	s_waitcnt vmcnt(0)
	v_cmp_ne_u16_sdwa s[14:15], v38, v43 src0_sel:BYTE_0 src1_sel:DWORD
	s_and_saveexec_b64 s[12:13], s[14:15]
	s_cbranch_execz .LBB916_387
; %bb.382:                              ;   in Loop: Header=BB916_213 Depth=1
	v_cmp_ne_u16_sdwa s[16:17], v38, s9 src0_sel:BYTE_0 src1_sel:DWORD
	v_mov_b32_e32 v52, 0xffff8000
	s_and_saveexec_b64 s[14:15], s[16:17]
	s_cbranch_execz .LBB916_386
; %bb.383:                              ;   in Loop: Header=BB916_213 Depth=1
	v_and_b32_e32 v40, 0x7f, v38
	v_cmp_ne_u32_e32 vcc, s21, v40
	v_mov_b32_e32 v52, 0x7f80
	s_and_saveexec_b64 s[16:17], vcc
	s_cbranch_execz .LBB916_385
; %bb.384:                              ;   in Loop: Header=BB916_213 Depth=1
	v_and_b32_e32 v42, 7, v38
	v_ffbh_u32_e32 v52, v42
	v_min_u32_e32 v52, 32, v52
	v_subrev_u32_e32 v60, 28, v52
	v_lshlrev_b64 v[60:61], v60, v[38:39]
	v_lshrrev_b32_e32 v50, 3, v40
	v_sub_u32_e32 v52, 29, v52
	v_and_b32_e32 v60, 7, v60
	v_cmp_gt_u32_e32 vcc, 8, v40
	v_cndmask_b32_e32 v40, v50, v52, vcc
	v_cndmask_b32_e32 v42, v42, v60, vcc
	v_lshlrev_b32_e32 v50, 24, v38
	v_lshlrev_b32_e32 v42, 20, v42
	v_and_b32_e32 v50, 0x80000000, v50
	v_lshl_add_u32 v40, v40, 23, v45
	v_or3_b32 v40, v50, v40, v42
	v_lshrrev_b32_e32 v52, 16, v40
.LBB916_385:                            ;   in Loop: Header=BB916_213 Depth=1
	s_or_b64 exec, exec, s[16:17]
.LBB916_386:                            ;   in Loop: Header=BB916_213 Depth=1
	s_or_b64 exec, exec, s[14:15]
.LBB916_387:                            ;   in Loop: Header=BB916_213 Depth=1
	s_or_b64 exec, exec, s[12:13]
	v_lshrrev_b16_e32 v40, 8, v38
	v_cmp_ne_u16_e32 vcc, 0, v40
	v_mov_b32_e32 v61, 0
	v_mov_b32_e32 v60, 0
	s_and_saveexec_b64 s[12:13], vcc
	s_cbranch_execz .LBB916_393
; %bb.388:                              ;   in Loop: Header=BB916_213 Depth=1
	v_cmp_ne_u16_e32 vcc, s9, v40
	v_mov_b32_e32 v60, 0xffff8000
	s_and_saveexec_b64 s[14:15], vcc
	s_cbranch_execz .LBB916_392
; %bb.389:                              ;   in Loop: Header=BB916_213 Depth=1
	v_and_b32_e32 v42, 0x7f, v40
	v_cmp_ne_u32_e32 vcc, s21, v42
	v_mov_b32_e32 v60, 0x7f80
	s_and_saveexec_b64 s[16:17], vcc
	s_cbranch_execz .LBB916_391
; %bb.390:                              ;   in Loop: Header=BB916_213 Depth=1
	v_and_b32_e32 v50, 7, v40
	v_ffbh_u32_e32 v62, v50
	v_min_u32_e32 v64, 32, v62
	v_subrev_u32_e32 v62, 28, v64
	v_lshlrev_b64 v[62:63], v62, v[40:41]
	v_lshrrev_b32_e32 v60, 3, v42
	v_sub_u32_e32 v40, 29, v64
	v_and_b32_e32 v62, 7, v62
	v_cmp_gt_u32_e32 vcc, 8, v42
	v_cndmask_b32_e32 v40, v60, v40, vcc
	v_cndmask_b32_e32 v42, v50, v62, vcc
	v_lshlrev_b32_e32 v50, 16, v38
	v_lshlrev_b32_e32 v42, 20, v42
	v_and_b32_e32 v50, 0x80000000, v50
	v_lshl_add_u32 v40, v40, 23, v45
	v_or3_b32 v40, v50, v40, v42
	v_lshrrev_b32_e32 v60, 16, v40
.LBB916_391:                            ;   in Loop: Header=BB916_213 Depth=1
	s_or_b64 exec, exec, s[16:17]
.LBB916_392:                            ;   in Loop: Header=BB916_213 Depth=1
	s_or_b64 exec, exec, s[14:15]
.LBB916_393:                            ;   in Loop: Header=BB916_213 Depth=1
	s_or_b64 exec, exec, s[12:13]
	v_lshrrev_b32_e32 v40, 16, v38
	v_cmp_ne_u16_sdwa s[14:15], v40, v43 src0_sel:BYTE_0 src1_sel:DWORD
	s_and_saveexec_b64 s[12:13], s[14:15]
	s_cbranch_execz .LBB916_399
; %bb.394:                              ;   in Loop: Header=BB916_213 Depth=1
	v_cmp_ne_u16_sdwa s[16:17], v40, s9 src0_sel:BYTE_0 src1_sel:DWORD
	v_mov_b32_e32 v61, 0xffff8000
	s_and_saveexec_b64 s[14:15], s[16:17]
	s_cbranch_execz .LBB916_398
; %bb.395:                              ;   in Loop: Header=BB916_213 Depth=1
	v_bfe_u32 v42, v38, 16, 7
	v_cmp_ne_u32_e32 vcc, s21, v42
	v_mov_b32_e32 v61, 0x7f80
	s_and_saveexec_b64 s[16:17], vcc
	s_cbranch_execz .LBB916_397
; %bb.396:                              ;   in Loop: Header=BB916_213 Depth=1
	v_and_b32_e32 v50, 7, v40
	v_ffbh_u32_e32 v62, v50
	v_min_u32_e32 v64, 32, v62
	v_subrev_u32_e32 v62, 28, v64
	v_lshlrev_b64 v[62:63], v62, v[40:41]
	v_lshrrev_b32_e32 v61, 3, v42
	v_sub_u32_e32 v63, 29, v64
	v_and_b32_e32 v62, 7, v62
	v_cmp_gt_u32_e32 vcc, 8, v42
	v_cndmask_b32_e32 v42, v61, v63, vcc
	v_cndmask_b32_e32 v50, v50, v62, vcc
	v_lshlrev_b32_e32 v40, 24, v40
	v_lshlrev_b32_e32 v50, 20, v50
	v_and_b32_e32 v40, 0x80000000, v40
	v_lshl_add_u32 v42, v42, 23, v45
	v_or3_b32 v40, v40, v42, v50
	v_lshrrev_b32_e32 v61, 16, v40
.LBB916_397:                            ;   in Loop: Header=BB916_213 Depth=1
	s_or_b64 exec, exec, s[16:17]
.LBB916_398:                            ;   in Loop: Header=BB916_213 Depth=1
	s_or_b64 exec, exec, s[14:15]
.LBB916_399:                            ;   in Loop: Header=BB916_213 Depth=1
	s_or_b64 exec, exec, s[12:13]
	v_cmp_lt_u32_e32 vcc, s22, v38
	v_mov_b32_e32 v50, 0
	v_mov_b32_e32 v62, 0
	s_and_saveexec_b64 s[12:13], vcc
	s_cbranch_execz .LBB916_405
; %bb.400:                              ;   in Loop: Header=BB916_213 Depth=1
	v_lshrrev_b32_e32 v40, 24, v38
	v_cmp_ne_u32_e32 vcc, s9, v40
	v_mov_b32_e32 v62, 0xffff8000
	s_and_saveexec_b64 s[14:15], vcc
	s_cbranch_execz .LBB916_404
; %bb.401:                              ;   in Loop: Header=BB916_213 Depth=1
	v_bfe_u32 v38, v38, 24, 7
	v_cmp_ne_u32_e32 vcc, s21, v38
	v_mov_b32_e32 v62, 0x7f80
	s_and_saveexec_b64 s[16:17], vcc
	s_cbranch_execz .LBB916_403
; %bb.402:                              ;   in Loop: Header=BB916_213 Depth=1
	v_and_b32_e32 v42, 7, v40
	v_ffbh_u32_e32 v62, v42
	v_min_u32_e32 v65, 32, v62
	v_subrev_u32_e32 v62, 28, v65
	v_lshlrev_b64 v[62:63], v62, v[40:41]
	v_lshrrev_b32_e32 v64, 3, v38
	v_sub_u32_e32 v63, 29, v65
	v_and_b32_e32 v62, 7, v62
	v_cmp_gt_u32_e32 vcc, 8, v38
	v_cndmask_b32_e32 v38, v64, v63, vcc
	v_cndmask_b32_e32 v42, v42, v62, vcc
	v_lshlrev_b32_e32 v40, 24, v40
	v_lshlrev_b32_e32 v42, 20, v42
	v_and_b32_e32 v40, 0x80000000, v40
	v_lshl_add_u32 v38, v38, 23, v45
	v_or3_b32 v38, v40, v38, v42
	v_lshrrev_b32_e32 v62, 16, v38
.LBB916_403:                            ;   in Loop: Header=BB916_213 Depth=1
	s_or_b64 exec, exec, s[16:17]
.LBB916_404:                            ;   in Loop: Header=BB916_213 Depth=1
	s_or_b64 exec, exec, s[14:15]
.LBB916_405:                            ;   in Loop: Header=BB916_213 Depth=1
	s_or_b64 exec, exec, s[12:13]
	v_perm_b32 v64, v44, v46, s23
	buffer_load_dword v44, v59, s[0:3], 0 offen
	buffer_load_dword v42, v59, s[0:3], 0 offen offset:4
	buffer_load_dword v40, v59, s[0:3], 0 offen offset:8
	buffer_load_dword v38, v59, s[0:3], 0 offen offset:12
	v_perm_b32 v65, v53, v51, s23
	v_perm_b32 v53, v62, v61, s23
	;; [unrolled: 1-line block ×3, first 2 shown]
	v_mfma_f32_16x16x16bf16_1k v[34:37], v[64:65], v[14:15], v[34:37]
	s_waitcnt vmcnt(3)
	v_cmp_ne_u16_sdwa s[14:15], v44, v43 src0_sel:BYTE_0 src1_sel:DWORD
	v_mfma_f32_16x16x16bf16_1k v[34:37], v[52:53], v[16:17], v[34:37]
	s_and_saveexec_b64 s[12:13], s[14:15]
	s_cbranch_execz .LBB916_411
; %bb.406:                              ;   in Loop: Header=BB916_213 Depth=1
	v_cmp_ne_u16_sdwa s[16:17], v44, s9 src0_sel:BYTE_0 src1_sel:DWORD
	v_mov_b32_e32 v50, 0xffff8000
	s_and_saveexec_b64 s[14:15], s[16:17]
	s_cbranch_execz .LBB916_410
; %bb.407:                              ;   in Loop: Header=BB916_213 Depth=1
	v_and_b32_e32 v46, 0x7f, v44
	v_cmp_ne_u32_e32 vcc, s21, v46
	v_mov_b32_e32 v50, 0x7f80
	s_and_saveexec_b64 s[16:17], vcc
	s_cbranch_execz .LBB916_409
; %bb.408:                              ;   in Loop: Header=BB916_213 Depth=1
	v_and_b32_e32 v52, 7, v44
	v_ffbh_u32_e32 v50, v52
	v_min_u32_e32 v59, 32, v50
	v_subrev_u32_e32 v50, 28, v59
	v_lshlrev_b64 v[50:51], v50, v[44:45]
	v_lshrrev_b32_e32 v53, 3, v46
	v_sub_u32_e32 v51, 29, v59
	v_and_b32_e32 v50, 7, v50
	v_cmp_gt_u32_e32 vcc, 8, v46
	v_cndmask_b32_e32 v46, v53, v51, vcc
	v_cndmask_b32_e32 v50, v52, v50, vcc
	v_lshlrev_b32_e32 v51, 24, v44
	v_lshlrev_b32_e32 v50, 20, v50
	v_and_b32_e32 v51, 0x80000000, v51
	v_lshl_add_u32 v46, v46, 23, v45
	v_or3_b32 v46, v51, v46, v50
	v_lshrrev_b32_e32 v50, 16, v46
.LBB916_409:                            ;   in Loop: Header=BB916_213 Depth=1
	s_or_b64 exec, exec, s[16:17]
.LBB916_410:                            ;   in Loop: Header=BB916_213 Depth=1
	s_or_b64 exec, exec, s[14:15]
.LBB916_411:                            ;   in Loop: Header=BB916_213 Depth=1
	s_or_b64 exec, exec, s[12:13]
	v_lshrrev_b16_e32 v46, 8, v44
	v_cmp_ne_u16_e32 vcc, 0, v46
	v_mov_b32_e32 v52, 0
	v_mov_b32_e32 v51, 0
	s_and_saveexec_b64 s[12:13], vcc
	s_cbranch_execz .LBB916_417
; %bb.412:                              ;   in Loop: Header=BB916_213 Depth=1
	v_cmp_ne_u16_e32 vcc, s9, v46
	v_mov_b32_e32 v51, 0xffff8000
	s_and_saveexec_b64 s[14:15], vcc
	s_cbranch_execz .LBB916_416
; %bb.413:                              ;   in Loop: Header=BB916_213 Depth=1
	v_and_b32_e32 v53, 0x7f, v46
	v_cmp_ne_u32_e32 vcc, s21, v53
	v_mov_b32_e32 v51, 0x7f80
	s_and_saveexec_b64 s[16:17], vcc
	s_cbranch_execz .LBB916_415
; %bb.414:                              ;   in Loop: Header=BB916_213 Depth=1
	v_and_b32_e32 v51, 7, v46
	v_ffbh_u32_e32 v60, v51
	v_min_u32_e32 v62, 32, v60
	v_subrev_u32_e32 v60, 28, v62
	v_lshlrev_b64 v[60:61], v60, v[46:47]
	v_lshrrev_b32_e32 v59, 3, v53
	v_sub_u32_e32 v46, 29, v62
	v_and_b32_e32 v60, 7, v60
	v_cmp_gt_u32_e32 vcc, 8, v53
	v_cndmask_b32_e32 v46, v59, v46, vcc
	v_cndmask_b32_e32 v51, v51, v60, vcc
	v_lshlrev_b32_e32 v53, 16, v44
	v_lshlrev_b32_e32 v51, 20, v51
	v_and_b32_e32 v53, 0x80000000, v53
	v_lshl_add_u32 v46, v46, 23, v45
	v_or3_b32 v46, v53, v46, v51
	v_lshrrev_b32_e32 v51, 16, v46
.LBB916_415:                            ;   in Loop: Header=BB916_213 Depth=1
	s_or_b64 exec, exec, s[16:17]
.LBB916_416:                            ;   in Loop: Header=BB916_213 Depth=1
	s_or_b64 exec, exec, s[14:15]
.LBB916_417:                            ;   in Loop: Header=BB916_213 Depth=1
	s_or_b64 exec, exec, s[12:13]
	v_lshrrev_b32_e32 v46, 16, v44
	v_cmp_ne_u16_sdwa s[14:15], v46, v43 src0_sel:BYTE_0 src1_sel:DWORD
	s_and_saveexec_b64 s[12:13], s[14:15]
	s_cbranch_execz .LBB916_423
; %bb.418:                              ;   in Loop: Header=BB916_213 Depth=1
	v_cmp_ne_u16_sdwa s[16:17], v46, s9 src0_sel:BYTE_0 src1_sel:DWORD
	v_mov_b32_e32 v52, 0xffff8000
	s_and_saveexec_b64 s[14:15], s[16:17]
	s_cbranch_execz .LBB916_422
; %bb.419:                              ;   in Loop: Header=BB916_213 Depth=1
	v_bfe_u32 v53, v44, 16, 7
	v_cmp_ne_u32_e32 vcc, s21, v53
	v_mov_b32_e32 v52, 0x7f80
	s_and_saveexec_b64 s[16:17], vcc
	s_cbranch_execz .LBB916_421
; %bb.420:                              ;   in Loop: Header=BB916_213 Depth=1
	v_and_b32_e32 v52, 7, v46
	v_ffbh_u32_e32 v60, v52
	v_min_u32_e32 v62, 32, v60
	v_subrev_u32_e32 v60, 28, v62
	v_lshlrev_b64 v[60:61], v60, v[46:47]
	v_lshrrev_b32_e32 v59, 3, v53
	v_sub_u32_e32 v61, 29, v62
	v_and_b32_e32 v60, 7, v60
	v_cmp_gt_u32_e32 vcc, 8, v53
	v_cndmask_b32_e32 v53, v59, v61, vcc
	v_cndmask_b32_e32 v52, v52, v60, vcc
	v_lshlrev_b32_e32 v46, 24, v46
	v_lshlrev_b32_e32 v52, 20, v52
	v_and_b32_e32 v46, 0x80000000, v46
	v_lshl_add_u32 v53, v53, 23, v45
	v_or3_b32 v46, v46, v53, v52
	v_lshrrev_b32_e32 v52, 16, v46
.LBB916_421:                            ;   in Loop: Header=BB916_213 Depth=1
	s_or_b64 exec, exec, s[16:17]
.LBB916_422:                            ;   in Loop: Header=BB916_213 Depth=1
	s_or_b64 exec, exec, s[14:15]
.LBB916_423:                            ;   in Loop: Header=BB916_213 Depth=1
	s_or_b64 exec, exec, s[12:13]
	v_cmp_lt_u32_e32 vcc, s22, v44
	v_mov_b32_e32 v53, 0
	v_mov_b32_e32 v59, 0
	s_and_saveexec_b64 s[12:13], vcc
	s_cbranch_execz .LBB916_429
; %bb.424:                              ;   in Loop: Header=BB916_213 Depth=1
	v_lshrrev_b32_e32 v46, 24, v44
	v_cmp_ne_u32_e32 vcc, s9, v46
	v_mov_b32_e32 v59, 0xffff8000
	s_and_saveexec_b64 s[14:15], vcc
	s_cbranch_execz .LBB916_428
; %bb.425:                              ;   in Loop: Header=BB916_213 Depth=1
	v_bfe_u32 v44, v44, 24, 7
	v_cmp_ne_u32_e32 vcc, s21, v44
	v_mov_b32_e32 v59, 0x7f80
	s_and_saveexec_b64 s[16:17], vcc
	s_cbranch_execz .LBB916_427
; %bb.426:                              ;   in Loop: Header=BB916_213 Depth=1
	v_and_b32_e32 v59, 7, v46
	v_ffbh_u32_e32 v60, v59
	v_min_u32_e32 v63, 32, v60
	v_subrev_u32_e32 v60, 28, v63
	v_lshlrev_b64 v[60:61], v60, v[46:47]
	v_lshrrev_b32_e32 v62, 3, v44
	v_sub_u32_e32 v61, 29, v63
	v_and_b32_e32 v60, 7, v60
	v_cmp_gt_u32_e32 vcc, 8, v44
	v_cndmask_b32_e32 v44, v62, v61, vcc
	v_cndmask_b32_e32 v59, v59, v60, vcc
	v_lshlrev_b32_e32 v46, 24, v46
	v_lshlrev_b32_e32 v59, 20, v59
	v_and_b32_e32 v46, 0x80000000, v46
	v_lshl_add_u32 v44, v44, 23, v45
	v_or3_b32 v44, v46, v44, v59
	v_lshrrev_b32_e32 v59, 16, v44
.LBB916_427:                            ;   in Loop: Header=BB916_213 Depth=1
	s_or_b64 exec, exec, s[16:17]
.LBB916_428:                            ;   in Loop: Header=BB916_213 Depth=1
	s_or_b64 exec, exec, s[14:15]
.LBB916_429:                            ;   in Loop: Header=BB916_213 Depth=1
	s_or_b64 exec, exec, s[12:13]
	s_waitcnt vmcnt(2)
	v_cmp_ne_u16_sdwa s[14:15], v42, v43 src0_sel:BYTE_0 src1_sel:DWORD
	s_and_saveexec_b64 s[12:13], s[14:15]
	s_cbranch_execz .LBB916_435
; %bb.430:                              ;   in Loop: Header=BB916_213 Depth=1
	v_cmp_ne_u16_sdwa s[16:17], v42, s9 src0_sel:BYTE_0 src1_sel:DWORD
	v_mov_b32_e32 v53, 0xffff8000
	s_and_saveexec_b64 s[14:15], s[16:17]
	s_cbranch_execz .LBB916_434
; %bb.431:                              ;   in Loop: Header=BB916_213 Depth=1
	v_and_b32_e32 v44, 0x7f, v42
	v_cmp_ne_u32_e32 vcc, s21, v44
	v_mov_b32_e32 v53, 0x7f80
	s_and_saveexec_b64 s[16:17], vcc
	s_cbranch_execz .LBB916_433
; %bb.432:                              ;   in Loop: Header=BB916_213 Depth=1
	v_and_b32_e32 v46, 7, v42
	v_ffbh_u32_e32 v60, v46
	v_min_u32_e32 v62, 32, v60
	v_subrev_u32_e32 v60, 28, v62
	v_lshlrev_b64 v[60:61], v60, v[42:43]
	v_lshrrev_b32_e32 v53, 3, v44
	v_sub_u32_e32 v61, 29, v62
	v_and_b32_e32 v60, 7, v60
	v_cmp_gt_u32_e32 vcc, 8, v44
	v_cndmask_b32_e32 v44, v53, v61, vcc
	v_cndmask_b32_e32 v46, v46, v60, vcc
	v_lshlrev_b32_e32 v53, 24, v42
	v_lshlrev_b32_e32 v46, 20, v46
	v_and_b32_e32 v53, 0x80000000, v53
	v_lshl_add_u32 v44, v44, 23, v45
	v_or3_b32 v44, v53, v44, v46
	v_lshrrev_b32_e32 v53, 16, v44
.LBB916_433:                            ;   in Loop: Header=BB916_213 Depth=1
	s_or_b64 exec, exec, s[16:17]
.LBB916_434:                            ;   in Loop: Header=BB916_213 Depth=1
	s_or_b64 exec, exec, s[14:15]
.LBB916_435:                            ;   in Loop: Header=BB916_213 Depth=1
	s_or_b64 exec, exec, s[12:13]
	v_lshrrev_b16_e32 v44, 8, v42
	v_cmp_ne_u16_e32 vcc, 0, v44
	v_mov_b32_e32 v61, 0
	v_mov_b32_e32 v60, 0
	s_and_saveexec_b64 s[12:13], vcc
	s_cbranch_execz .LBB916_441
; %bb.436:                              ;   in Loop: Header=BB916_213 Depth=1
	v_cmp_ne_u16_e32 vcc, s9, v44
	v_mov_b32_e32 v60, 0xffff8000
	s_and_saveexec_b64 s[14:15], vcc
	s_cbranch_execz .LBB916_440
; %bb.437:                              ;   in Loop: Header=BB916_213 Depth=1
	v_and_b32_e32 v46, 0x7f, v44
	v_cmp_ne_u32_e32 vcc, s21, v46
	v_mov_b32_e32 v60, 0x7f80
	s_and_saveexec_b64 s[16:17], vcc
	s_cbranch_execz .LBB916_439
; %bb.438:                              ;   in Loop: Header=BB916_213 Depth=1
	v_and_b32_e32 v60, 7, v44
	v_ffbh_u32_e32 v62, v60
	v_min_u32_e32 v65, 32, v62
	v_subrev_u32_e32 v62, 28, v65
	v_lshlrev_b64 v[62:63], v62, v[44:45]
	v_lshrrev_b32_e32 v64, 3, v46
	v_sub_u32_e32 v44, 29, v65
	v_and_b32_e32 v62, 7, v62
	v_cmp_gt_u32_e32 vcc, 8, v46
	v_cndmask_b32_e32 v44, v64, v44, vcc
	v_cndmask_b32_e32 v46, v60, v62, vcc
	v_lshlrev_b32_e32 v60, 16, v42
	v_lshlrev_b32_e32 v46, 20, v46
	v_and_b32_e32 v60, 0x80000000, v60
	v_lshl_add_u32 v44, v44, 23, v45
	v_or3_b32 v44, v60, v44, v46
	v_lshrrev_b32_e32 v60, 16, v44
.LBB916_439:                            ;   in Loop: Header=BB916_213 Depth=1
	s_or_b64 exec, exec, s[16:17]
.LBB916_440:                            ;   in Loop: Header=BB916_213 Depth=1
	s_or_b64 exec, exec, s[14:15]
.LBB916_441:                            ;   in Loop: Header=BB916_213 Depth=1
	s_or_b64 exec, exec, s[12:13]
	v_lshrrev_b32_e32 v44, 16, v42
	v_cmp_ne_u16_sdwa s[14:15], v44, v43 src0_sel:BYTE_0 src1_sel:DWORD
	s_and_saveexec_b64 s[12:13], s[14:15]
	s_cbranch_execz .LBB916_447
; %bb.442:                              ;   in Loop: Header=BB916_213 Depth=1
	v_cmp_ne_u16_sdwa s[16:17], v44, s9 src0_sel:BYTE_0 src1_sel:DWORD
	v_mov_b32_e32 v61, 0xffff8000
	s_and_saveexec_b64 s[14:15], s[16:17]
	s_cbranch_execz .LBB916_446
; %bb.443:                              ;   in Loop: Header=BB916_213 Depth=1
	v_bfe_u32 v46, v42, 16, 7
	v_cmp_ne_u32_e32 vcc, s21, v46
	v_mov_b32_e32 v61, 0x7f80
	s_and_saveexec_b64 s[16:17], vcc
	s_cbranch_execz .LBB916_445
; %bb.444:                              ;   in Loop: Header=BB916_213 Depth=1
	v_and_b32_e32 v61, 7, v44
	v_ffbh_u32_e32 v62, v61
	v_min_u32_e32 v65, 32, v62
	v_subrev_u32_e32 v62, 28, v65
	v_lshlrev_b64 v[62:63], v62, v[44:45]
	v_lshrrev_b32_e32 v64, 3, v46
	v_sub_u32_e32 v63, 29, v65
	v_and_b32_e32 v62, 7, v62
	v_cmp_gt_u32_e32 vcc, 8, v46
	v_cndmask_b32_e32 v46, v64, v63, vcc
	v_cndmask_b32_e32 v61, v61, v62, vcc
	v_lshlrev_b32_e32 v44, 24, v44
	v_lshlrev_b32_e32 v61, 20, v61
	v_and_b32_e32 v44, 0x80000000, v44
	v_lshl_add_u32 v46, v46, 23, v45
	v_or3_b32 v44, v44, v46, v61
	v_lshrrev_b32_e32 v61, 16, v44
.LBB916_445:                            ;   in Loop: Header=BB916_213 Depth=1
	s_or_b64 exec, exec, s[16:17]
.LBB916_446:                            ;   in Loop: Header=BB916_213 Depth=1
	s_or_b64 exec, exec, s[14:15]
.LBB916_447:                            ;   in Loop: Header=BB916_213 Depth=1
	s_or_b64 exec, exec, s[12:13]
	v_cmp_lt_u32_e32 vcc, s22, v42
	v_mov_b32_e32 v46, 0
	v_mov_b32_e32 v62, 0
	s_and_saveexec_b64 s[12:13], vcc
	s_cbranch_execz .LBB916_453
; %bb.448:                              ;   in Loop: Header=BB916_213 Depth=1
	v_lshrrev_b32_e32 v44, 24, v42
	v_cmp_ne_u32_e32 vcc, s9, v44
	v_mov_b32_e32 v62, 0xffff8000
	s_and_saveexec_b64 s[14:15], vcc
	s_cbranch_execz .LBB916_452
; %bb.449:                              ;   in Loop: Header=BB916_213 Depth=1
	v_bfe_u32 v42, v42, 24, 7
	v_cmp_ne_u32_e32 vcc, s21, v42
	v_mov_b32_e32 v62, 0x7f80
	s_and_saveexec_b64 s[16:17], vcc
	s_cbranch_execz .LBB916_451
; %bb.450:                              ;   in Loop: Header=BB916_213 Depth=1
	v_and_b32_e32 v64, 7, v44
	v_ffbh_u32_e32 v62, v64
	v_min_u32_e32 v66, 32, v62
	v_subrev_u32_e32 v62, 28, v66
	v_lshlrev_b64 v[62:63], v62, v[44:45]
	v_lshrrev_b32_e32 v65, 3, v42
	v_sub_u32_e32 v63, 29, v66
	v_and_b32_e32 v62, 7, v62
	v_cmp_gt_u32_e32 vcc, 8, v42
	v_cndmask_b32_e32 v42, v65, v63, vcc
	v_cndmask_b32_e32 v62, v64, v62, vcc
	v_lshlrev_b32_e32 v44, 24, v44
	v_lshlrev_b32_e32 v62, 20, v62
	v_and_b32_e32 v44, 0x80000000, v44
	v_lshl_add_u32 v42, v42, 23, v45
	v_or3_b32 v42, v44, v42, v62
	v_lshrrev_b32_e32 v62, 16, v42
.LBB916_451:                            ;   in Loop: Header=BB916_213 Depth=1
	s_or_b64 exec, exec, s[16:17]
.LBB916_452:                            ;   in Loop: Header=BB916_213 Depth=1
	s_or_b64 exec, exec, s[14:15]
.LBB916_453:                            ;   in Loop: Header=BB916_213 Depth=1
	s_or_b64 exec, exec, s[12:13]
	v_perm_b32 v65, v59, v52, s23
	v_perm_b32 v64, v51, v50, s23
	v_perm_b32 v51, v62, v61, s23
	v_perm_b32 v50, v60, v53, s23
	s_waitcnt vmcnt(1)
	v_cmp_ne_u16_sdwa s[14:15], v40, v43 src0_sel:BYTE_0 src1_sel:DWORD
	v_mfma_f32_16x16x16bf16_1k v[34:37], v[64:65], v[18:19], v[34:37]
	v_mfma_f32_16x16x16bf16_1k v[34:37], v[50:51], v[20:21], v[34:37]
	s_and_saveexec_b64 s[12:13], s[14:15]
	s_cbranch_execz .LBB916_459
; %bb.454:                              ;   in Loop: Header=BB916_213 Depth=1
	v_cmp_ne_u16_sdwa s[16:17], v40, s9 src0_sel:BYTE_0 src1_sel:DWORD
	v_mov_b32_e32 v46, 0xffff8000
	s_and_saveexec_b64 s[14:15], s[16:17]
	s_cbranch_execz .LBB916_458
; %bb.455:                              ;   in Loop: Header=BB916_213 Depth=1
	v_and_b32_e32 v42, 0x7f, v40
	v_cmp_ne_u32_e32 vcc, s21, v42
	v_mov_b32_e32 v46, 0x7f80
	s_and_saveexec_b64 s[16:17], vcc
	s_cbranch_execz .LBB916_457
; %bb.456:                              ;   in Loop: Header=BB916_213 Depth=1
	v_and_b32_e32 v44, 7, v40
	v_ffbh_u32_e32 v50, v44
	v_min_u32_e32 v52, 32, v50
	v_subrev_u32_e32 v50, 28, v52
	v_lshlrev_b64 v[50:51], v50, v[40:41]
	v_lshrrev_b32_e32 v46, 3, v42
	v_sub_u32_e32 v51, 29, v52
	v_and_b32_e32 v50, 7, v50
	v_cmp_gt_u32_e32 vcc, 8, v42
	v_cndmask_b32_e32 v42, v46, v51, vcc
	v_cndmask_b32_e32 v44, v44, v50, vcc
	v_lshlrev_b32_e32 v46, 24, v40
	v_lshlrev_b32_e32 v44, 20, v44
	v_and_b32_e32 v46, 0x80000000, v46
	v_lshl_add_u32 v42, v42, 23, v45
	v_or3_b32 v42, v46, v42, v44
	v_lshrrev_b32_e32 v46, 16, v42
.LBB916_457:                            ;   in Loop: Header=BB916_213 Depth=1
	s_or_b64 exec, exec, s[16:17]
.LBB916_458:                            ;   in Loop: Header=BB916_213 Depth=1
	s_or_b64 exec, exec, s[14:15]
.LBB916_459:                            ;   in Loop: Header=BB916_213 Depth=1
	s_or_b64 exec, exec, s[12:13]
	v_lshrrev_b16_e32 v42, 8, v40
	v_cmp_ne_u16_e32 vcc, 0, v42
	v_mov_b32_e32 v51, 0
	v_mov_b32_e32 v44, 0
	s_and_saveexec_b64 s[12:13], vcc
	s_cbranch_execz .LBB916_465
; %bb.460:                              ;   in Loop: Header=BB916_213 Depth=1
	v_cmp_ne_u16_e32 vcc, s9, v42
	v_mov_b32_e32 v44, 0xffff8000
	s_and_saveexec_b64 s[14:15], vcc
	s_cbranch_execz .LBB916_464
; %bb.461:                              ;   in Loop: Header=BB916_213 Depth=1
	v_and_b32_e32 v50, 0x7f, v42
	v_cmp_ne_u32_e32 vcc, s21, v50
	v_mov_b32_e32 v44, 0x7f80
	s_and_saveexec_b64 s[16:17], vcc
	s_cbranch_execz .LBB916_463
; %bb.462:                              ;   in Loop: Header=BB916_213 Depth=1
	v_and_b32_e32 v44, 7, v42
	v_ffbh_u32_e32 v52, v44
	v_min_u32_e32 v60, 32, v52
	v_subrev_u32_e32 v52, 28, v60
	v_lshlrev_b64 v[52:53], v52, v[42:43]
	v_lshrrev_b32_e32 v59, 3, v50
	v_sub_u32_e32 v42, 29, v60
	v_and_b32_e32 v52, 7, v52
	v_cmp_gt_u32_e32 vcc, 8, v50
	v_cndmask_b32_e32 v42, v59, v42, vcc
	v_cndmask_b32_e32 v44, v44, v52, vcc
	v_lshlrev_b32_e32 v50, 16, v40
	v_lshlrev_b32_e32 v44, 20, v44
	v_and_b32_e32 v50, 0x80000000, v50
	v_lshl_add_u32 v42, v42, 23, v45
	v_or3_b32 v42, v50, v42, v44
	v_lshrrev_b32_e32 v44, 16, v42
.LBB916_463:                            ;   in Loop: Header=BB916_213 Depth=1
	s_or_b64 exec, exec, s[16:17]
.LBB916_464:                            ;   in Loop: Header=BB916_213 Depth=1
	s_or_b64 exec, exec, s[14:15]
.LBB916_465:                            ;   in Loop: Header=BB916_213 Depth=1
	s_or_b64 exec, exec, s[12:13]
	v_lshrrev_b32_e32 v42, 16, v40
	v_cmp_ne_u16_sdwa s[14:15], v42, v43 src0_sel:BYTE_0 src1_sel:DWORD
	s_and_saveexec_b64 s[12:13], s[14:15]
	s_cbranch_execz .LBB916_471
; %bb.466:                              ;   in Loop: Header=BB916_213 Depth=1
	v_cmp_ne_u16_sdwa s[16:17], v42, s9 src0_sel:BYTE_0 src1_sel:DWORD
	v_mov_b32_e32 v51, 0xffff8000
	s_and_saveexec_b64 s[14:15], s[16:17]
	s_cbranch_execz .LBB916_470
; %bb.467:                              ;   in Loop: Header=BB916_213 Depth=1
	v_bfe_u32 v50, v40, 16, 7
	v_cmp_ne_u32_e32 vcc, s21, v50
	v_mov_b32_e32 v51, 0x7f80
	s_and_saveexec_b64 s[16:17], vcc
	s_cbranch_execz .LBB916_469
; %bb.468:                              ;   in Loop: Header=BB916_213 Depth=1
	v_and_b32_e32 v51, 7, v42
	v_ffbh_u32_e32 v52, v51
	v_min_u32_e32 v60, 32, v52
	v_subrev_u32_e32 v52, 28, v60
	v_lshlrev_b64 v[52:53], v52, v[42:43]
	v_lshrrev_b32_e32 v59, 3, v50
	v_sub_u32_e32 v53, 29, v60
	v_and_b32_e32 v52, 7, v52
	v_cmp_gt_u32_e32 vcc, 8, v50
	v_cndmask_b32_e32 v50, v59, v53, vcc
	v_cndmask_b32_e32 v51, v51, v52, vcc
	v_lshlrev_b32_e32 v42, 24, v42
	v_lshlrev_b32_e32 v51, 20, v51
	v_and_b32_e32 v42, 0x80000000, v42
	v_lshl_add_u32 v50, v50, 23, v45
	v_or3_b32 v42, v42, v50, v51
	v_lshrrev_b32_e32 v51, 16, v42
.LBB916_469:                            ;   in Loop: Header=BB916_213 Depth=1
	s_or_b64 exec, exec, s[16:17]
.LBB916_470:                            ;   in Loop: Header=BB916_213 Depth=1
	s_or_b64 exec, exec, s[14:15]
.LBB916_471:                            ;   in Loop: Header=BB916_213 Depth=1
	s_or_b64 exec, exec, s[12:13]
	v_cmp_lt_u32_e32 vcc, s22, v40
	v_mov_b32_e32 v52, 0
	v_mov_b32_e32 v53, 0
	s_and_saveexec_b64 s[12:13], vcc
	s_cbranch_execz .LBB916_477
; %bb.472:                              ;   in Loop: Header=BB916_213 Depth=1
	v_lshrrev_b32_e32 v42, 24, v40
	v_cmp_ne_u32_e32 vcc, s9, v42
	v_mov_b32_e32 v53, 0xffff8000
	s_and_saveexec_b64 s[14:15], vcc
	s_cbranch_execz .LBB916_476
; %bb.473:                              ;   in Loop: Header=BB916_213 Depth=1
	v_bfe_u32 v40, v40, 24, 7
	v_cmp_ne_u32_e32 vcc, s21, v40
	v_mov_b32_e32 v53, 0x7f80
	s_and_saveexec_b64 s[16:17], vcc
	s_cbranch_execz .LBB916_475
; %bb.474:                              ;   in Loop: Header=BB916_213 Depth=1
	v_and_b32_e32 v50, 7, v42
	v_ffbh_u32_e32 v59, v50
	v_min_u32_e32 v59, 32, v59
	v_subrev_u32_e32 v60, 28, v59
	v_lshlrev_b64 v[60:61], v60, v[42:43]
	v_lshrrev_b32_e32 v53, 3, v40
	v_sub_u32_e32 v59, 29, v59
	v_and_b32_e32 v60, 7, v60
	v_cmp_gt_u32_e32 vcc, 8, v40
	v_cndmask_b32_e32 v40, v53, v59, vcc
	v_cndmask_b32_e32 v50, v50, v60, vcc
	v_lshlrev_b32_e32 v42, 24, v42
	v_lshlrev_b32_e32 v50, 20, v50
	v_and_b32_e32 v42, 0x80000000, v42
	v_lshl_add_u32 v40, v40, 23, v45
	v_or3_b32 v40, v42, v40, v50
	v_lshrrev_b32_e32 v53, 16, v40
.LBB916_475:                            ;   in Loop: Header=BB916_213 Depth=1
	s_or_b64 exec, exec, s[16:17]
.LBB916_476:                            ;   in Loop: Header=BB916_213 Depth=1
	s_or_b64 exec, exec, s[14:15]
.LBB916_477:                            ;   in Loop: Header=BB916_213 Depth=1
	s_or_b64 exec, exec, s[12:13]
	s_waitcnt vmcnt(0)
	v_cmp_ne_u16_sdwa s[14:15], v38, v43 src0_sel:BYTE_0 src1_sel:DWORD
	s_and_saveexec_b64 s[12:13], s[14:15]
	s_cbranch_execz .LBB916_483
; %bb.478:                              ;   in Loop: Header=BB916_213 Depth=1
	v_cmp_ne_u16_sdwa s[16:17], v38, s9 src0_sel:BYTE_0 src1_sel:DWORD
	v_mov_b32_e32 v52, 0xffff8000
	s_and_saveexec_b64 s[14:15], s[16:17]
	s_cbranch_execz .LBB916_482
; %bb.479:                              ;   in Loop: Header=BB916_213 Depth=1
	v_and_b32_e32 v40, 0x7f, v38
	v_cmp_ne_u32_e32 vcc, s21, v40
	v_mov_b32_e32 v52, 0x7f80
	s_and_saveexec_b64 s[16:17], vcc
	s_cbranch_execz .LBB916_481
; %bb.480:                              ;   in Loop: Header=BB916_213 Depth=1
	v_and_b32_e32 v42, 7, v38
	v_ffbh_u32_e32 v52, v42
	v_min_u32_e32 v52, 32, v52
	v_subrev_u32_e32 v59, 28, v52
	v_lshlrev_b64 v[60:61], v59, v[38:39]
	v_lshrrev_b32_e32 v50, 3, v40
	v_sub_u32_e32 v52, 29, v52
	v_and_b32_e32 v59, 7, v60
	v_cmp_gt_u32_e32 vcc, 8, v40
	v_cndmask_b32_e32 v40, v50, v52, vcc
	v_cndmask_b32_e32 v42, v42, v59, vcc
	v_lshlrev_b32_e32 v50, 24, v38
	v_lshlrev_b32_e32 v42, 20, v42
	v_and_b32_e32 v50, 0x80000000, v50
	v_lshl_add_u32 v40, v40, 23, v45
	v_or3_b32 v40, v50, v40, v42
	v_lshrrev_b32_e32 v52, 16, v40
.LBB916_481:                            ;   in Loop: Header=BB916_213 Depth=1
	s_or_b64 exec, exec, s[16:17]
.LBB916_482:                            ;   in Loop: Header=BB916_213 Depth=1
	s_or_b64 exec, exec, s[14:15]
.LBB916_483:                            ;   in Loop: Header=BB916_213 Depth=1
	s_or_b64 exec, exec, s[12:13]
	v_lshrrev_b16_e32 v40, 8, v38
	v_cmp_ne_u16_e32 vcc, 0, v40
	v_mov_b32_e32 v60, 0
	v_mov_b32_e32 v59, 0
	s_and_saveexec_b64 s[12:13], vcc
	s_cbranch_execz .LBB916_489
; %bb.484:                              ;   in Loop: Header=BB916_213 Depth=1
	v_cmp_ne_u16_e32 vcc, s9, v40
	v_mov_b32_e32 v59, 0xffff8000
	s_and_saveexec_b64 s[14:15], vcc
	s_cbranch_execz .LBB916_488
; %bb.485:                              ;   in Loop: Header=BB916_213 Depth=1
	v_and_b32_e32 v42, 0x7f, v40
	v_cmp_ne_u32_e32 vcc, s21, v42
	v_mov_b32_e32 v59, 0x7f80
	s_and_saveexec_b64 s[16:17], vcc
	s_cbranch_execz .LBB916_487
; %bb.486:                              ;   in Loop: Header=BB916_213 Depth=1
	v_and_b32_e32 v50, 7, v40
	v_ffbh_u32_e32 v61, v50
	v_min_u32_e32 v61, 32, v61
	v_subrev_u32_e32 v62, 28, v61
	v_lshlrev_b64 v[62:63], v62, v[40:41]
	v_lshrrev_b32_e32 v59, 3, v42
	v_sub_u32_e32 v40, 29, v61
	v_and_b32_e32 v61, 7, v62
	v_cmp_gt_u32_e32 vcc, 8, v42
	v_cndmask_b32_e32 v40, v59, v40, vcc
	v_cndmask_b32_e32 v42, v50, v61, vcc
	v_lshlrev_b32_e32 v50, 16, v38
	v_lshlrev_b32_e32 v42, 20, v42
	v_and_b32_e32 v50, 0x80000000, v50
	v_lshl_add_u32 v40, v40, 23, v45
	v_or3_b32 v40, v50, v40, v42
	v_lshrrev_b32_e32 v59, 16, v40
.LBB916_487:                            ;   in Loop: Header=BB916_213 Depth=1
	s_or_b64 exec, exec, s[16:17]
.LBB916_488:                            ;   in Loop: Header=BB916_213 Depth=1
	s_or_b64 exec, exec, s[14:15]
.LBB916_489:                            ;   in Loop: Header=BB916_213 Depth=1
	s_or_b64 exec, exec, s[12:13]
	v_lshrrev_b32_e32 v40, 16, v38
	v_cmp_ne_u16_sdwa s[14:15], v40, v43 src0_sel:BYTE_0 src1_sel:DWORD
	s_and_saveexec_b64 s[12:13], s[14:15]
	s_cbranch_execz .LBB916_495
; %bb.490:                              ;   in Loop: Header=BB916_213 Depth=1
	v_cmp_ne_u16_sdwa s[16:17], v40, s9 src0_sel:BYTE_0 src1_sel:DWORD
	v_mov_b32_e32 v60, 0xffff8000
	s_and_saveexec_b64 s[14:15], s[16:17]
	s_cbranch_execz .LBB916_494
; %bb.491:                              ;   in Loop: Header=BB916_213 Depth=1
	v_bfe_u32 v42, v38, 16, 7
	v_cmp_ne_u32_e32 vcc, s21, v42
	v_mov_b32_e32 v60, 0x7f80
	s_and_saveexec_b64 s[16:17], vcc
	s_cbranch_execz .LBB916_493
; %bb.492:                              ;   in Loop: Header=BB916_213 Depth=1
	v_and_b32_e32 v50, 7, v40
	v_ffbh_u32_e32 v60, v50
	v_min_u32_e32 v63, 32, v60
	v_subrev_u32_e32 v60, 28, v63
	v_lshlrev_b64 v[60:61], v60, v[40:41]
	v_lshrrev_b32_e32 v62, 3, v42
	v_sub_u32_e32 v61, 29, v63
	v_and_b32_e32 v60, 7, v60
	v_cmp_gt_u32_e32 vcc, 8, v42
	v_cndmask_b32_e32 v42, v62, v61, vcc
	v_cndmask_b32_e32 v50, v50, v60, vcc
	v_lshlrev_b32_e32 v40, 24, v40
	v_lshlrev_b32_e32 v50, 20, v50
	v_and_b32_e32 v40, 0x80000000, v40
	v_lshl_add_u32 v42, v42, 23, v45
	v_or3_b32 v40, v40, v42, v50
	v_lshrrev_b32_e32 v60, 16, v40
.LBB916_493:                            ;   in Loop: Header=BB916_213 Depth=1
	s_or_b64 exec, exec, s[16:17]
.LBB916_494:                            ;   in Loop: Header=BB916_213 Depth=1
	s_or_b64 exec, exec, s[14:15]
.LBB916_495:                            ;   in Loop: Header=BB916_213 Depth=1
	s_or_b64 exec, exec, s[12:13]
	v_cmp_lt_u32_e32 vcc, s22, v38
	v_mov_b32_e32 v50, 0
	v_mov_b32_e32 v61, 0
	s_and_saveexec_b64 s[12:13], vcc
	s_cbranch_execz .LBB916_501
; %bb.496:                              ;   in Loop: Header=BB916_213 Depth=1
	v_lshrrev_b32_e32 v40, 24, v38
	v_cmp_ne_u32_e32 vcc, s9, v40
	v_mov_b32_e32 v61, 0xffff8000
	s_and_saveexec_b64 s[14:15], vcc
	s_cbranch_execz .LBB916_500
; %bb.497:                              ;   in Loop: Header=BB916_213 Depth=1
	v_bfe_u32 v38, v38, 24, 7
	v_cmp_ne_u32_e32 vcc, s21, v38
	v_mov_b32_e32 v61, 0x7f80
	s_and_saveexec_b64 s[16:17], vcc
	s_cbranch_execz .LBB916_499
; %bb.498:                              ;   in Loop: Header=BB916_213 Depth=1
	v_and_b32_e32 v42, 7, v40
	v_ffbh_u32_e32 v62, v42
	v_min_u32_e32 v64, 32, v62
	v_subrev_u32_e32 v62, 28, v64
	v_lshlrev_b64 v[62:63], v62, v[40:41]
	v_lshrrev_b32_e32 v61, 3, v38
	v_sub_u32_e32 v63, 29, v64
	v_and_b32_e32 v62, 7, v62
	v_cmp_gt_u32_e32 vcc, 8, v38
	v_cndmask_b32_e32 v38, v61, v63, vcc
	v_cndmask_b32_e32 v42, v42, v62, vcc
	v_lshlrev_b32_e32 v40, 24, v40
	v_lshlrev_b32_e32 v42, 20, v42
	v_and_b32_e32 v40, 0x80000000, v40
	v_lshl_add_u32 v38, v38, 23, v45
	v_or3_b32 v38, v40, v38, v42
	v_lshrrev_b32_e32 v61, 16, v38
.LBB916_499:                            ;   in Loop: Header=BB916_213 Depth=1
	s_or_b64 exec, exec, s[16:17]
.LBB916_500:                            ;   in Loop: Header=BB916_213 Depth=1
	s_or_b64 exec, exec, s[14:15]
.LBB916_501:                            ;   in Loop: Header=BB916_213 Depth=1
	s_or_b64 exec, exec, s[12:13]
	v_perm_b32 v62, v44, v46, s23
	buffer_load_dword v44, v58, s[0:3], 0 offen
	buffer_load_dword v42, v58, s[0:3], 0 offen offset:4
	buffer_load_dword v40, v58, s[0:3], 0 offen offset:8
	;; [unrolled: 1-line block ×3, first 2 shown]
	v_perm_b32 v63, v53, v51, s23
	v_perm_b32 v53, v61, v60, s23
	;; [unrolled: 1-line block ×3, first 2 shown]
	v_mfma_f32_16x16x16bf16_1k v[34:37], v[62:63], v[22:23], v[34:37]
	s_waitcnt vmcnt(3)
	v_cmp_ne_u16_sdwa s[14:15], v44, v43 src0_sel:BYTE_0 src1_sel:DWORD
	v_mfma_f32_16x16x16bf16_1k v[34:37], v[52:53], v[24:25], v[34:37]
	s_and_saveexec_b64 s[12:13], s[14:15]
	s_cbranch_execz .LBB916_507
; %bb.502:                              ;   in Loop: Header=BB916_213 Depth=1
	v_cmp_ne_u16_sdwa s[16:17], v44, s9 src0_sel:BYTE_0 src1_sel:DWORD
	v_mov_b32_e32 v50, 0xffff8000
	s_and_saveexec_b64 s[14:15], s[16:17]
	s_cbranch_execz .LBB916_506
; %bb.503:                              ;   in Loop: Header=BB916_213 Depth=1
	v_and_b32_e32 v46, 0x7f, v44
	v_cmp_ne_u32_e32 vcc, s21, v46
	v_mov_b32_e32 v50, 0x7f80
	s_and_saveexec_b64 s[16:17], vcc
	s_cbranch_execz .LBB916_505
; %bb.504:                              ;   in Loop: Header=BB916_213 Depth=1
	v_and_b32_e32 v52, 7, v44
	v_ffbh_u32_e32 v50, v52
	v_min_u32_e32 v58, 32, v50
	v_subrev_u32_e32 v50, 28, v58
	v_lshlrev_b64 v[50:51], v50, v[44:45]
	v_lshrrev_b32_e32 v53, 3, v46
	v_sub_u32_e32 v51, 29, v58
	v_and_b32_e32 v50, 7, v50
	v_cmp_gt_u32_e32 vcc, 8, v46
	v_cndmask_b32_e32 v46, v53, v51, vcc
	v_cndmask_b32_e32 v50, v52, v50, vcc
	v_lshlrev_b32_e32 v51, 24, v44
	v_lshlrev_b32_e32 v50, 20, v50
	v_and_b32_e32 v51, 0x80000000, v51
	v_lshl_add_u32 v46, v46, 23, v45
	v_or3_b32 v46, v51, v46, v50
	v_lshrrev_b32_e32 v50, 16, v46
.LBB916_505:                            ;   in Loop: Header=BB916_213 Depth=1
	s_or_b64 exec, exec, s[16:17]
.LBB916_506:                            ;   in Loop: Header=BB916_213 Depth=1
	s_or_b64 exec, exec, s[14:15]
.LBB916_507:                            ;   in Loop: Header=BB916_213 Depth=1
	s_or_b64 exec, exec, s[12:13]
	v_lshrrev_b16_e32 v46, 8, v44
	v_cmp_ne_u16_e32 vcc, 0, v46
	v_mov_b32_e32 v52, 0
	v_mov_b32_e32 v51, 0
	s_and_saveexec_b64 s[12:13], vcc
	s_cbranch_execz .LBB916_513
; %bb.508:                              ;   in Loop: Header=BB916_213 Depth=1
	v_cmp_ne_u16_e32 vcc, s9, v46
	v_mov_b32_e32 v51, 0xffff8000
	s_and_saveexec_b64 s[14:15], vcc
	s_cbranch_execz .LBB916_512
; %bb.509:                              ;   in Loop: Header=BB916_213 Depth=1
	v_and_b32_e32 v53, 0x7f, v46
	v_cmp_ne_u32_e32 vcc, s21, v53
	v_mov_b32_e32 v51, 0x7f80
	s_and_saveexec_b64 s[16:17], vcc
	s_cbranch_execz .LBB916_511
; %bb.510:                              ;   in Loop: Header=BB916_213 Depth=1
	v_and_b32_e32 v51, 7, v46
	v_ffbh_u32_e32 v58, v51
	v_min_u32_e32 v61, 32, v58
	v_subrev_u32_e32 v58, 28, v61
	v_lshlrev_b64 v[58:59], v58, v[46:47]
	v_lshrrev_b32_e32 v60, 3, v53
	v_sub_u32_e32 v46, 29, v61
	v_and_b32_e32 v58, 7, v58
	v_cmp_gt_u32_e32 vcc, 8, v53
	v_cndmask_b32_e32 v46, v60, v46, vcc
	v_cndmask_b32_e32 v51, v51, v58, vcc
	v_lshlrev_b32_e32 v53, 16, v44
	v_lshlrev_b32_e32 v51, 20, v51
	v_and_b32_e32 v53, 0x80000000, v53
	v_lshl_add_u32 v46, v46, 23, v45
	v_or3_b32 v46, v53, v46, v51
	v_lshrrev_b32_e32 v51, 16, v46
.LBB916_511:                            ;   in Loop: Header=BB916_213 Depth=1
	s_or_b64 exec, exec, s[16:17]
.LBB916_512:                            ;   in Loop: Header=BB916_213 Depth=1
	s_or_b64 exec, exec, s[14:15]
.LBB916_513:                            ;   in Loop: Header=BB916_213 Depth=1
	s_or_b64 exec, exec, s[12:13]
	v_lshrrev_b32_e32 v46, 16, v44
	v_cmp_ne_u16_sdwa s[14:15], v46, v43 src0_sel:BYTE_0 src1_sel:DWORD
	s_and_saveexec_b64 s[12:13], s[14:15]
	s_cbranch_execz .LBB916_519
; %bb.514:                              ;   in Loop: Header=BB916_213 Depth=1
	v_cmp_ne_u16_sdwa s[16:17], v46, s9 src0_sel:BYTE_0 src1_sel:DWORD
	v_mov_b32_e32 v52, 0xffff8000
	s_and_saveexec_b64 s[14:15], s[16:17]
	s_cbranch_execz .LBB916_518
; %bb.515:                              ;   in Loop: Header=BB916_213 Depth=1
	v_bfe_u32 v53, v44, 16, 7
	v_cmp_ne_u32_e32 vcc, s21, v53
	v_mov_b32_e32 v52, 0x7f80
	s_and_saveexec_b64 s[16:17], vcc
	s_cbranch_execz .LBB916_517
; %bb.516:                              ;   in Loop: Header=BB916_213 Depth=1
	v_and_b32_e32 v52, 7, v46
	v_ffbh_u32_e32 v58, v52
	v_min_u32_e32 v61, 32, v58
	v_subrev_u32_e32 v58, 28, v61
	v_lshlrev_b64 v[58:59], v58, v[46:47]
	v_lshrrev_b32_e32 v60, 3, v53
	v_sub_u32_e32 v59, 29, v61
	v_and_b32_e32 v58, 7, v58
	v_cmp_gt_u32_e32 vcc, 8, v53
	v_cndmask_b32_e32 v53, v60, v59, vcc
	v_cndmask_b32_e32 v52, v52, v58, vcc
	v_lshlrev_b32_e32 v46, 24, v46
	v_lshlrev_b32_e32 v52, 20, v52
	v_and_b32_e32 v46, 0x80000000, v46
	v_lshl_add_u32 v53, v53, 23, v45
	v_or3_b32 v46, v46, v53, v52
	v_lshrrev_b32_e32 v52, 16, v46
.LBB916_517:                            ;   in Loop: Header=BB916_213 Depth=1
	s_or_b64 exec, exec, s[16:17]
.LBB916_518:                            ;   in Loop: Header=BB916_213 Depth=1
	s_or_b64 exec, exec, s[14:15]
.LBB916_519:                            ;   in Loop: Header=BB916_213 Depth=1
	s_or_b64 exec, exec, s[12:13]
	v_cmp_lt_u32_e32 vcc, s22, v44
	v_mov_b32_e32 v53, 0
	v_mov_b32_e32 v58, 0
	s_and_saveexec_b64 s[12:13], vcc
	s_cbranch_execz .LBB916_525
; %bb.520:                              ;   in Loop: Header=BB916_213 Depth=1
	v_lshrrev_b32_e32 v46, 24, v44
	v_cmp_ne_u32_e32 vcc, s9, v46
	v_mov_b32_e32 v58, 0xffff8000
	s_and_saveexec_b64 s[14:15], vcc
	s_cbranch_execz .LBB916_524
; %bb.521:                              ;   in Loop: Header=BB916_213 Depth=1
	v_bfe_u32 v44, v44, 24, 7
	v_cmp_ne_u32_e32 vcc, s21, v44
	v_mov_b32_e32 v58, 0x7f80
	s_and_saveexec_b64 s[16:17], vcc
	s_cbranch_execz .LBB916_523
; %bb.522:                              ;   in Loop: Header=BB916_213 Depth=1
	v_and_b32_e32 v60, 7, v46
	v_ffbh_u32_e32 v58, v60
	v_min_u32_e32 v62, 32, v58
	v_subrev_u32_e32 v58, 28, v62
	v_lshlrev_b64 v[58:59], v58, v[46:47]
	v_lshrrev_b32_e32 v61, 3, v44
	v_sub_u32_e32 v59, 29, v62
	v_and_b32_e32 v58, 7, v58
	v_cmp_gt_u32_e32 vcc, 8, v44
	v_cndmask_b32_e32 v44, v61, v59, vcc
	v_cndmask_b32_e32 v58, v60, v58, vcc
	v_lshlrev_b32_e32 v46, 24, v46
	v_lshlrev_b32_e32 v58, 20, v58
	v_and_b32_e32 v46, 0x80000000, v46
	v_lshl_add_u32 v44, v44, 23, v45
	v_or3_b32 v44, v46, v44, v58
	v_lshrrev_b32_e32 v58, 16, v44
.LBB916_523:                            ;   in Loop: Header=BB916_213 Depth=1
	s_or_b64 exec, exec, s[16:17]
.LBB916_524:                            ;   in Loop: Header=BB916_213 Depth=1
	s_or_b64 exec, exec, s[14:15]
.LBB916_525:                            ;   in Loop: Header=BB916_213 Depth=1
	s_or_b64 exec, exec, s[12:13]
	s_waitcnt vmcnt(2)
	v_cmp_ne_u16_sdwa s[14:15], v42, v43 src0_sel:BYTE_0 src1_sel:DWORD
	s_and_saveexec_b64 s[12:13], s[14:15]
	s_cbranch_execz .LBB916_531
; %bb.526:                              ;   in Loop: Header=BB916_213 Depth=1
	v_cmp_ne_u16_sdwa s[16:17], v42, s9 src0_sel:BYTE_0 src1_sel:DWORD
	v_mov_b32_e32 v53, 0xffff8000
	s_and_saveexec_b64 s[14:15], s[16:17]
	s_cbranch_execz .LBB916_530
; %bb.527:                              ;   in Loop: Header=BB916_213 Depth=1
	v_and_b32_e32 v44, 0x7f, v42
	v_cmp_ne_u32_e32 vcc, s21, v44
	v_mov_b32_e32 v53, 0x7f80
	s_and_saveexec_b64 s[16:17], vcc
	s_cbranch_execz .LBB916_529
; %bb.528:                              ;   in Loop: Header=BB916_213 Depth=1
	v_and_b32_e32 v46, 7, v42
	v_ffbh_u32_e32 v59, v46
	v_min_u32_e32 v59, 32, v59
	v_subrev_u32_e32 v60, 28, v59
	v_lshlrev_b64 v[60:61], v60, v[42:43]
	v_lshrrev_b32_e32 v53, 3, v44
	v_sub_u32_e32 v59, 29, v59
	v_and_b32_e32 v60, 7, v60
	v_cmp_gt_u32_e32 vcc, 8, v44
	v_cndmask_b32_e32 v44, v53, v59, vcc
	v_cndmask_b32_e32 v46, v46, v60, vcc
	v_lshlrev_b32_e32 v53, 24, v42
	v_lshlrev_b32_e32 v46, 20, v46
	v_and_b32_e32 v53, 0x80000000, v53
	v_lshl_add_u32 v44, v44, 23, v45
	v_or3_b32 v44, v53, v44, v46
	v_lshrrev_b32_e32 v53, 16, v44
.LBB916_529:                            ;   in Loop: Header=BB916_213 Depth=1
	s_or_b64 exec, exec, s[16:17]
.LBB916_530:                            ;   in Loop: Header=BB916_213 Depth=1
	s_or_b64 exec, exec, s[14:15]
.LBB916_531:                            ;   in Loop: Header=BB916_213 Depth=1
	s_or_b64 exec, exec, s[12:13]
	v_lshrrev_b16_e32 v44, 8, v42
	v_cmp_ne_u16_e32 vcc, 0, v44
	v_mov_b32_e32 v60, 0
	v_mov_b32_e32 v59, 0
	s_and_saveexec_b64 s[12:13], vcc
	s_cbranch_execz .LBB916_537
; %bb.532:                              ;   in Loop: Header=BB916_213 Depth=1
	v_cmp_ne_u16_e32 vcc, s9, v44
	v_mov_b32_e32 v59, 0xffff8000
	s_and_saveexec_b64 s[14:15], vcc
	s_cbranch_execz .LBB916_536
; %bb.533:                              ;   in Loop: Header=BB916_213 Depth=1
	v_and_b32_e32 v46, 0x7f, v44
	v_cmp_ne_u32_e32 vcc, s21, v46
	v_mov_b32_e32 v59, 0x7f80
	s_and_saveexec_b64 s[16:17], vcc
	s_cbranch_execz .LBB916_535
; %bb.534:                              ;   in Loop: Header=BB916_213 Depth=1
	v_and_b32_e32 v59, 7, v44
	v_ffbh_u32_e32 v62, v59
	v_min_u32_e32 v64, 32, v62
	v_subrev_u32_e32 v62, 28, v64
	v_lshlrev_b64 v[62:63], v62, v[44:45]
	v_lshrrev_b32_e32 v61, 3, v46
	v_sub_u32_e32 v44, 29, v64
	v_and_b32_e32 v62, 7, v62
	v_cmp_gt_u32_e32 vcc, 8, v46
	v_cndmask_b32_e32 v44, v61, v44, vcc
	v_cndmask_b32_e32 v46, v59, v62, vcc
	v_lshlrev_b32_e32 v59, 16, v42
	v_lshlrev_b32_e32 v46, 20, v46
	v_and_b32_e32 v59, 0x80000000, v59
	v_lshl_add_u32 v44, v44, 23, v45
	v_or3_b32 v44, v59, v44, v46
	v_lshrrev_b32_e32 v59, 16, v44
.LBB916_535:                            ;   in Loop: Header=BB916_213 Depth=1
	s_or_b64 exec, exec, s[16:17]
.LBB916_536:                            ;   in Loop: Header=BB916_213 Depth=1
	s_or_b64 exec, exec, s[14:15]
.LBB916_537:                            ;   in Loop: Header=BB916_213 Depth=1
	s_or_b64 exec, exec, s[12:13]
	v_lshrrev_b32_e32 v44, 16, v42
	v_cmp_ne_u16_sdwa s[14:15], v44, v43 src0_sel:BYTE_0 src1_sel:DWORD
	s_and_saveexec_b64 s[12:13], s[14:15]
	s_cbranch_execz .LBB916_543
; %bb.538:                              ;   in Loop: Header=BB916_213 Depth=1
	v_cmp_ne_u16_sdwa s[16:17], v44, s9 src0_sel:BYTE_0 src1_sel:DWORD
	v_mov_b32_e32 v60, 0xffff8000
	s_and_saveexec_b64 s[14:15], s[16:17]
	s_cbranch_execz .LBB916_542
; %bb.539:                              ;   in Loop: Header=BB916_213 Depth=1
	v_bfe_u32 v46, v42, 16, 7
	v_cmp_ne_u32_e32 vcc, s21, v46
	v_mov_b32_e32 v60, 0x7f80
	s_and_saveexec_b64 s[16:17], vcc
	s_cbranch_execz .LBB916_541
; %bb.540:                              ;   in Loop: Header=BB916_213 Depth=1
	v_and_b32_e32 v62, 7, v44
	v_ffbh_u32_e32 v60, v62
	v_min_u32_e32 v64, 32, v60
	v_subrev_u32_e32 v60, 28, v64
	v_lshlrev_b64 v[60:61], v60, v[44:45]
	v_lshrrev_b32_e32 v63, 3, v46
	v_sub_u32_e32 v61, 29, v64
	v_and_b32_e32 v60, 7, v60
	v_cmp_gt_u32_e32 vcc, 8, v46
	v_cndmask_b32_e32 v46, v63, v61, vcc
	v_cndmask_b32_e32 v60, v62, v60, vcc
	v_lshlrev_b32_e32 v44, 24, v44
	v_lshlrev_b32_e32 v60, 20, v60
	v_and_b32_e32 v44, 0x80000000, v44
	v_lshl_add_u32 v46, v46, 23, v45
	v_or3_b32 v44, v44, v46, v60
	v_lshrrev_b32_e32 v60, 16, v44
.LBB916_541:                            ;   in Loop: Header=BB916_213 Depth=1
	s_or_b64 exec, exec, s[16:17]
.LBB916_542:                            ;   in Loop: Header=BB916_213 Depth=1
	s_or_b64 exec, exec, s[14:15]
.LBB916_543:                            ;   in Loop: Header=BB916_213 Depth=1
	s_or_b64 exec, exec, s[12:13]
	v_cmp_lt_u32_e32 vcc, s22, v42
	v_mov_b32_e32 v46, 0
	v_mov_b32_e32 v61, 0
	s_and_saveexec_b64 s[12:13], vcc
	s_cbranch_execz .LBB916_549
; %bb.544:                              ;   in Loop: Header=BB916_213 Depth=1
	v_lshrrev_b32_e32 v44, 24, v42
	v_cmp_ne_u32_e32 vcc, s9, v44
	v_mov_b32_e32 v61, 0xffff8000
	s_and_saveexec_b64 s[14:15], vcc
	s_cbranch_execz .LBB916_548
; %bb.545:                              ;   in Loop: Header=BB916_213 Depth=1
	v_bfe_u32 v42, v42, 24, 7
	v_cmp_ne_u32_e32 vcc, s21, v42
	v_mov_b32_e32 v61, 0x7f80
	s_and_saveexec_b64 s[16:17], vcc
	s_cbranch_execz .LBB916_547
; %bb.546:                              ;   in Loop: Header=BB916_213 Depth=1
	v_and_b32_e32 v61, 7, v44
	v_ffbh_u32_e32 v62, v61
	v_min_u32_e32 v65, 32, v62
	v_subrev_u32_e32 v62, 28, v65
	v_lshlrev_b64 v[62:63], v62, v[44:45]
	v_lshrrev_b32_e32 v64, 3, v42
	v_sub_u32_e32 v63, 29, v65
	v_and_b32_e32 v62, 7, v62
	v_cmp_gt_u32_e32 vcc, 8, v42
	v_cndmask_b32_e32 v42, v64, v63, vcc
	v_cndmask_b32_e32 v61, v61, v62, vcc
	v_lshlrev_b32_e32 v44, 24, v44
	v_lshlrev_b32_e32 v61, 20, v61
	v_and_b32_e32 v44, 0x80000000, v44
	v_lshl_add_u32 v42, v42, 23, v45
	v_or3_b32 v42, v44, v42, v61
	v_lshrrev_b32_e32 v61, 16, v42
.LBB916_547:                            ;   in Loop: Header=BB916_213 Depth=1
	s_or_b64 exec, exec, s[16:17]
.LBB916_548:                            ;   in Loop: Header=BB916_213 Depth=1
	s_or_b64 exec, exec, s[14:15]
.LBB916_549:                            ;   in Loop: Header=BB916_213 Depth=1
	s_or_b64 exec, exec, s[12:13]
	v_perm_b32 v63, v58, v52, s23
	v_perm_b32 v62, v51, v50, s23
	v_perm_b32 v51, v61, v60, s23
	v_perm_b32 v50, v59, v53, s23
	s_waitcnt vmcnt(1)
	v_cmp_ne_u16_sdwa s[14:15], v40, v43 src0_sel:BYTE_0 src1_sel:DWORD
	v_mfma_f32_16x16x16bf16_1k v[34:37], v[62:63], v[26:27], v[34:37]
	v_mfma_f32_16x16x16bf16_1k v[34:37], v[50:51], v[28:29], v[34:37]
	s_and_saveexec_b64 s[12:13], s[14:15]
	s_cbranch_execz .LBB916_555
; %bb.550:                              ;   in Loop: Header=BB916_213 Depth=1
	v_cmp_ne_u16_sdwa s[16:17], v40, s9 src0_sel:BYTE_0 src1_sel:DWORD
	v_mov_b32_e32 v46, 0xffff8000
	s_and_saveexec_b64 s[14:15], s[16:17]
	s_cbranch_execz .LBB916_554
; %bb.551:                              ;   in Loop: Header=BB916_213 Depth=1
	v_and_b32_e32 v42, 0x7f, v40
	v_cmp_ne_u32_e32 vcc, s21, v42
	v_mov_b32_e32 v46, 0x7f80
	s_and_saveexec_b64 s[16:17], vcc
	s_cbranch_execz .LBB916_553
; %bb.552:                              ;   in Loop: Header=BB916_213 Depth=1
	v_and_b32_e32 v44, 7, v40
	v_ffbh_u32_e32 v50, v44
	v_min_u32_e32 v52, 32, v50
	v_subrev_u32_e32 v50, 28, v52
	v_lshlrev_b64 v[50:51], v50, v[40:41]
	v_lshrrev_b32_e32 v46, 3, v42
	v_sub_u32_e32 v51, 29, v52
	v_and_b32_e32 v50, 7, v50
	v_cmp_gt_u32_e32 vcc, 8, v42
	v_cndmask_b32_e32 v42, v46, v51, vcc
	v_cndmask_b32_e32 v44, v44, v50, vcc
	v_lshlrev_b32_e32 v46, 24, v40
	v_lshlrev_b32_e32 v44, 20, v44
	v_and_b32_e32 v46, 0x80000000, v46
	v_lshl_add_u32 v42, v42, 23, v45
	v_or3_b32 v42, v46, v42, v44
	v_lshrrev_b32_e32 v46, 16, v42
.LBB916_553:                            ;   in Loop: Header=BB916_213 Depth=1
	s_or_b64 exec, exec, s[16:17]
.LBB916_554:                            ;   in Loop: Header=BB916_213 Depth=1
	s_or_b64 exec, exec, s[14:15]
.LBB916_555:                            ;   in Loop: Header=BB916_213 Depth=1
	s_or_b64 exec, exec, s[12:13]
	v_lshrrev_b16_e32 v42, 8, v40
	v_cmp_ne_u16_e32 vcc, 0, v42
	v_mov_b32_e32 v50, 0
	v_mov_b32_e32 v44, 0
	s_and_saveexec_b64 s[12:13], vcc
	s_cbranch_execz .LBB916_561
; %bb.556:                              ;   in Loop: Header=BB916_213 Depth=1
	v_cmp_ne_u16_e32 vcc, s9, v42
	v_mov_b32_e32 v44, 0xffff8000
	s_and_saveexec_b64 s[14:15], vcc
	s_cbranch_execz .LBB916_560
; %bb.557:                              ;   in Loop: Header=BB916_213 Depth=1
	v_and_b32_e32 v51, 0x7f, v42
	v_cmp_ne_u32_e32 vcc, s21, v51
	v_mov_b32_e32 v44, 0x7f80
	s_and_saveexec_b64 s[16:17], vcc
	s_cbranch_execz .LBB916_559
; %bb.558:                              ;   in Loop: Header=BB916_213 Depth=1
	v_and_b32_e32 v44, 7, v42
	v_ffbh_u32_e32 v52, v44
	v_min_u32_e32 v59, 32, v52
	v_subrev_u32_e32 v52, 28, v59
	v_lshlrev_b64 v[52:53], v52, v[42:43]
	v_lshrrev_b32_e32 v58, 3, v51
	v_sub_u32_e32 v42, 29, v59
	v_and_b32_e32 v52, 7, v52
	v_cmp_gt_u32_e32 vcc, 8, v51
	v_cndmask_b32_e32 v42, v58, v42, vcc
	v_cndmask_b32_e32 v44, v44, v52, vcc
	v_lshlrev_b32_e32 v51, 16, v40
	v_lshlrev_b32_e32 v44, 20, v44
	v_and_b32_e32 v51, 0x80000000, v51
	v_lshl_add_u32 v42, v42, 23, v45
	v_or3_b32 v42, v51, v42, v44
	v_lshrrev_b32_e32 v44, 16, v42
.LBB916_559:                            ;   in Loop: Header=BB916_213 Depth=1
	s_or_b64 exec, exec, s[16:17]
.LBB916_560:                            ;   in Loop: Header=BB916_213 Depth=1
	s_or_b64 exec, exec, s[14:15]
.LBB916_561:                            ;   in Loop: Header=BB916_213 Depth=1
	s_or_b64 exec, exec, s[12:13]
	v_lshrrev_b32_e32 v42, 16, v40
	v_cmp_ne_u16_sdwa s[14:15], v42, v43 src0_sel:BYTE_0 src1_sel:DWORD
	s_and_saveexec_b64 s[12:13], s[14:15]
	s_cbranch_execz .LBB916_567
; %bb.562:                              ;   in Loop: Header=BB916_213 Depth=1
	v_cmp_ne_u16_sdwa s[16:17], v42, s9 src0_sel:BYTE_0 src1_sel:DWORD
	v_mov_b32_e32 v50, 0xffff8000
	s_and_saveexec_b64 s[14:15], s[16:17]
	s_cbranch_execz .LBB916_566
; %bb.563:                              ;   in Loop: Header=BB916_213 Depth=1
	v_bfe_u32 v51, v40, 16, 7
	v_cmp_ne_u32_e32 vcc, s21, v51
	v_mov_b32_e32 v50, 0x7f80
	s_and_saveexec_b64 s[16:17], vcc
	s_cbranch_execz .LBB916_565
; %bb.564:                              ;   in Loop: Header=BB916_213 Depth=1
	v_and_b32_e32 v50, 7, v42
	v_ffbh_u32_e32 v52, v50
	v_min_u32_e32 v59, 32, v52
	v_subrev_u32_e32 v52, 28, v59
	v_lshlrev_b64 v[52:53], v52, v[42:43]
	v_lshrrev_b32_e32 v58, 3, v51
	v_sub_u32_e32 v53, 29, v59
	v_and_b32_e32 v52, 7, v52
	v_cmp_gt_u32_e32 vcc, 8, v51
	v_cndmask_b32_e32 v51, v58, v53, vcc
	v_cndmask_b32_e32 v50, v50, v52, vcc
	v_lshlrev_b32_e32 v42, 24, v42
	v_lshlrev_b32_e32 v50, 20, v50
	v_and_b32_e32 v42, 0x80000000, v42
	v_lshl_add_u32 v51, v51, 23, v45
	v_or3_b32 v42, v42, v51, v50
	v_lshrrev_b32_e32 v50, 16, v42
.LBB916_565:                            ;   in Loop: Header=BB916_213 Depth=1
	s_or_b64 exec, exec, s[16:17]
.LBB916_566:                            ;   in Loop: Header=BB916_213 Depth=1
	s_or_b64 exec, exec, s[14:15]
.LBB916_567:                            ;   in Loop: Header=BB916_213 Depth=1
	s_or_b64 exec, exec, s[12:13]
	v_cmp_lt_u32_e32 vcc, s22, v40
	v_mov_b32_e32 v51, 0
	v_mov_b32_e32 v52, 0
	s_and_saveexec_b64 s[12:13], vcc
	s_cbranch_execz .LBB916_573
; %bb.568:                              ;   in Loop: Header=BB916_213 Depth=1
	v_lshrrev_b32_e32 v42, 24, v40
	v_cmp_ne_u32_e32 vcc, s9, v42
	v_mov_b32_e32 v52, 0xffff8000
	s_and_saveexec_b64 s[14:15], vcc
	s_cbranch_execz .LBB916_572
; %bb.569:                              ;   in Loop: Header=BB916_213 Depth=1
	v_bfe_u32 v40, v40, 24, 7
	v_cmp_ne_u32_e32 vcc, s21, v40
	v_mov_b32_e32 v52, 0x7f80
	s_and_saveexec_b64 s[16:17], vcc
	s_cbranch_execz .LBB916_571
; %bb.570:                              ;   in Loop: Header=BB916_213 Depth=1
	v_and_b32_e32 v58, 7, v42
	v_ffbh_u32_e32 v52, v58
	v_min_u32_e32 v60, 32, v52
	v_subrev_u32_e32 v52, 28, v60
	v_lshlrev_b64 v[52:53], v52, v[42:43]
	v_lshrrev_b32_e32 v59, 3, v40
	v_sub_u32_e32 v53, 29, v60
	v_and_b32_e32 v52, 7, v52
	v_cmp_gt_u32_e32 vcc, 8, v40
	v_cndmask_b32_e32 v40, v59, v53, vcc
	v_cndmask_b32_e32 v52, v58, v52, vcc
	v_lshlrev_b32_e32 v42, 24, v42
	v_lshlrev_b32_e32 v52, 20, v52
	v_and_b32_e32 v42, 0x80000000, v42
	v_lshl_add_u32 v40, v40, 23, v45
	v_or3_b32 v40, v42, v40, v52
	v_lshrrev_b32_e32 v52, 16, v40
.LBB916_571:                            ;   in Loop: Header=BB916_213 Depth=1
	s_or_b64 exec, exec, s[16:17]
.LBB916_572:                            ;   in Loop: Header=BB916_213 Depth=1
	s_or_b64 exec, exec, s[14:15]
.LBB916_573:                            ;   in Loop: Header=BB916_213 Depth=1
	s_or_b64 exec, exec, s[12:13]
	s_waitcnt vmcnt(0)
	v_cmp_ne_u16_sdwa s[14:15], v38, v43 src0_sel:BYTE_0 src1_sel:DWORD
	s_and_saveexec_b64 s[12:13], s[14:15]
	s_cbranch_execz .LBB916_579
; %bb.574:                              ;   in Loop: Header=BB916_213 Depth=1
	v_cmp_ne_u16_sdwa s[16:17], v38, s9 src0_sel:BYTE_0 src1_sel:DWORD
	v_mov_b32_e32 v51, 0xffff8000
	s_and_saveexec_b64 s[14:15], s[16:17]
	s_cbranch_execz .LBB916_578
; %bb.575:                              ;   in Loop: Header=BB916_213 Depth=1
	v_and_b32_e32 v40, 0x7f, v38
	v_cmp_ne_u32_e32 vcc, s21, v40
	v_mov_b32_e32 v51, 0x7f80
	s_and_saveexec_b64 s[16:17], vcc
	s_cbranch_execz .LBB916_577
; %bb.576:                              ;   in Loop: Header=BB916_213 Depth=1
	v_and_b32_e32 v42, 7, v38
	v_ffbh_u32_e32 v53, v42
	v_min_u32_e32 v53, 32, v53
	v_subrev_u32_e32 v58, 28, v53
	v_lshlrev_b64 v[58:59], v58, v[38:39]
	v_lshrrev_b32_e32 v51, 3, v40
	v_sub_u32_e32 v53, 29, v53
	v_and_b32_e32 v58, 7, v58
	v_cmp_gt_u32_e32 vcc, 8, v40
	v_cndmask_b32_e32 v40, v51, v53, vcc
	v_cndmask_b32_e32 v42, v42, v58, vcc
	v_lshlrev_b32_e32 v51, 24, v38
	v_lshlrev_b32_e32 v42, 20, v42
	v_and_b32_e32 v51, 0x80000000, v51
	v_lshl_add_u32 v40, v40, 23, v45
	v_or3_b32 v40, v51, v40, v42
	v_lshrrev_b32_e32 v51, 16, v40
.LBB916_577:                            ;   in Loop: Header=BB916_213 Depth=1
	s_or_b64 exec, exec, s[16:17]
.LBB916_578:                            ;   in Loop: Header=BB916_213 Depth=1
	s_or_b64 exec, exec, s[14:15]
.LBB916_579:                            ;   in Loop: Header=BB916_213 Depth=1
	s_or_b64 exec, exec, s[12:13]
	v_lshrrev_b16_e32 v40, 8, v38
	v_cmp_ne_u16_e32 vcc, 0, v40
	v_mov_b32_e32 v53, 0
	v_mov_b32_e32 v42, 0
	s_and_saveexec_b64 s[12:13], vcc
	s_cbranch_execz .LBB916_585
; %bb.580:                              ;   in Loop: Header=BB916_213 Depth=1
	v_cmp_ne_u16_e32 vcc, s9, v40
	v_mov_b32_e32 v42, 0xffff8000
	s_and_saveexec_b64 s[14:15], vcc
	s_cbranch_execz .LBB916_584
; %bb.581:                              ;   in Loop: Header=BB916_213 Depth=1
	v_and_b32_e32 v58, 0x7f, v40
	v_cmp_ne_u32_e32 vcc, s21, v58
	v_mov_b32_e32 v42, 0x7f80
	s_and_saveexec_b64 s[16:17], vcc
	s_cbranch_execz .LBB916_583
; %bb.582:                              ;   in Loop: Header=BB916_213 Depth=1
	v_and_b32_e32 v42, 7, v40
	v_ffbh_u32_e32 v60, v42
	v_min_u32_e32 v62, 32, v60
	v_subrev_u32_e32 v60, 28, v62
	v_lshlrev_b64 v[60:61], v60, v[40:41]
	v_lshrrev_b32_e32 v59, 3, v58
	v_sub_u32_e32 v40, 29, v62
	v_and_b32_e32 v60, 7, v60
	v_cmp_gt_u32_e32 vcc, 8, v58
	v_cndmask_b32_e32 v40, v59, v40, vcc
	v_cndmask_b32_e32 v42, v42, v60, vcc
	v_lshlrev_b32_e32 v58, 16, v38
	v_lshlrev_b32_e32 v42, 20, v42
	v_and_b32_e32 v58, 0x80000000, v58
	v_lshl_add_u32 v40, v40, 23, v45
	v_or3_b32 v40, v58, v40, v42
	v_lshrrev_b32_e32 v42, 16, v40
.LBB916_583:                            ;   in Loop: Header=BB916_213 Depth=1
	s_or_b64 exec, exec, s[16:17]
.LBB916_584:                            ;   in Loop: Header=BB916_213 Depth=1
	s_or_b64 exec, exec, s[14:15]
.LBB916_585:                            ;   in Loop: Header=BB916_213 Depth=1
	s_or_b64 exec, exec, s[12:13]
	v_lshrrev_b32_e32 v40, 16, v38
	v_cmp_ne_u16_sdwa s[14:15], v40, v43 src0_sel:BYTE_0 src1_sel:DWORD
	s_and_saveexec_b64 s[12:13], s[14:15]
	s_cbranch_execz .LBB916_591
; %bb.586:                              ;   in Loop: Header=BB916_213 Depth=1
	v_cmp_ne_u16_sdwa s[16:17], v40, s9 src0_sel:BYTE_0 src1_sel:DWORD
	v_mov_b32_e32 v53, 0xffff8000
	s_and_saveexec_b64 s[14:15], s[16:17]
	s_cbranch_execz .LBB916_590
; %bb.587:                              ;   in Loop: Header=BB916_213 Depth=1
	v_bfe_u32 v58, v38, 16, 7
	v_cmp_ne_u32_e32 vcc, s21, v58
	v_mov_b32_e32 v53, 0x7f80
	s_and_saveexec_b64 s[16:17], vcc
	s_cbranch_execz .LBB916_589
; %bb.588:                              ;   in Loop: Header=BB916_213 Depth=1
	v_and_b32_e32 v53, 7, v40
	v_ffbh_u32_e32 v60, v53
	v_min_u32_e32 v62, 32, v60
	v_subrev_u32_e32 v60, 28, v62
	v_lshlrev_b64 v[60:61], v60, v[40:41]
	v_lshrrev_b32_e32 v59, 3, v58
	v_sub_u32_e32 v61, 29, v62
	v_and_b32_e32 v60, 7, v60
	v_cmp_gt_u32_e32 vcc, 8, v58
	v_cndmask_b32_e32 v58, v59, v61, vcc
	v_cndmask_b32_e32 v53, v53, v60, vcc
	v_lshlrev_b32_e32 v40, 24, v40
	v_lshlrev_b32_e32 v53, 20, v53
	v_and_b32_e32 v40, 0x80000000, v40
	v_lshl_add_u32 v58, v58, 23, v45
	v_or3_b32 v40, v40, v58, v53
	v_lshrrev_b32_e32 v53, 16, v40
.LBB916_589:                            ;   in Loop: Header=BB916_213 Depth=1
	s_or_b64 exec, exec, s[16:17]
.LBB916_590:                            ;   in Loop: Header=BB916_213 Depth=1
	s_or_b64 exec, exec, s[14:15]
.LBB916_591:                            ;   in Loop: Header=BB916_213 Depth=1
	s_or_b64 exec, exec, s[12:13]
	v_cmp_lt_u32_e32 vcc, s22, v38
	v_mov_b32_e32 v58, 0
	s_and_saveexec_b64 s[12:13], vcc
	s_cbranch_execz .LBB916_212
; %bb.592:                              ;   in Loop: Header=BB916_213 Depth=1
	v_lshrrev_b32_e32 v40, 24, v38
	v_cmp_ne_u32_e32 vcc, s9, v40
	v_mov_b32_e32 v58, 0xffff8000
	s_and_saveexec_b64 s[14:15], vcc
	s_cbranch_execz .LBB916_211
; %bb.593:                              ;   in Loop: Header=BB916_213 Depth=1
	v_bfe_u32 v38, v38, 24, 7
	v_cmp_ne_u32_e32 vcc, s21, v38
	v_mov_b32_e32 v58, 0x7f80
	s_and_saveexec_b64 s[16:17], vcc
	s_cbranch_execz .LBB916_210
; %bb.594:                              ;   in Loop: Header=BB916_213 Depth=1
	v_and_b32_e32 v60, 7, v40
	v_ffbh_u32_e32 v58, v60
	v_min_u32_e32 v62, 32, v58
	v_subrev_u32_e32 v58, 28, v62
	v_lshlrev_b64 v[58:59], v58, v[40:41]
	v_lshrrev_b32_e32 v61, 3, v38
	v_sub_u32_e32 v59, 29, v62
	v_and_b32_e32 v58, 7, v58
	v_cmp_gt_u32_e32 vcc, 8, v38
	v_cndmask_b32_e32 v38, v61, v59, vcc
	v_cndmask_b32_e32 v58, v60, v58, vcc
	v_lshlrev_b32_e32 v40, 24, v40
	v_lshlrev_b32_e32 v58, 20, v58
	v_and_b32_e32 v40, 0x80000000, v40
	v_lshl_add_u32 v38, v38, 23, v45
	v_or3_b32 v38, v40, v38, v58
	v_lshrrev_b32_e32 v58, 16, v38
	s_branch .LBB916_210
.LBB916_595:
	s_barrier
	buffer_load_dword v2, off, s[0:3], 0 offset:320
	buffer_load_dword v5, off, s[0:3], 0 offset:332
	;; [unrolled: 1-line block ×4, first 2 shown]
	v_cmp_gt_u32_e32 vcc, 64, v0
	s_waitcnt vmcnt(0)
	ds_write2st64_b64 v39, v[2:3], v[4:5] offset1:1
	s_waitcnt lgkmcnt(0)
	s_barrier
	s_and_saveexec_b64 s[4:5], vcc
	s_cbranch_execz .LBB916_598
; %bb.596:
	s_lshl_b32 s4, s50, 7
	s_mul_i32 s5, s18, s8
	s_mul_hi_u32 s9, s5, s4
	s_mul_i32 s8, s5, s4
	s_lshl_b64 s[8:9], s[8:9], 1
	s_add_u32 s5, s48, s8
	v_lshlrev_b32_e32 v4, 6, v55
	s_mov_b32 s7, 0
	s_addc_u32 s8, s49, s9
	s_lshl_b32 s6, s24, 7
	v_lshl_or_b32 v0, v0, 10, v4
	s_lshl_b64 s[6:7], s[6:7], 1
	v_lshlrev_b32_e32 v2, 5, v1
	v_and_b32_e32 v3, 16, v56
	v_and_b32_e32 v0, 0x1a00, v0
	s_add_u32 s5, s5, s6
	v_or3_b32 v0, v0, v2, v3
	s_addc_u32 s6, s8, s7
	v_add_u32_e32 v8, s25, v1
	v_mov_b32_e32 v3, s6
	v_add_co_u32_e32 v2, vcc, s5, v54
	ds_read_b128 v[4:7], v0
	v_mad_u64_u32 v[8:9], s[6:7], v8, s4, 0
	v_addc_co_u32_e32 v3, vcc, 0, v3, vcc
	v_lshlrev_b64 v[8:9], 1, v[8:9]
	v_add_co_u32_e32 v8, vcc, v2, v8
	v_addc_co_u32_e32 v9, vcc, v3, v9, vcc
	v_cmp_ne_u32_e32 vcc, 3, v1
	s_waitcnt lgkmcnt(0)
	global_store_dwordx4 v[8:9], v[4:7], off
	s_and_b64 exec, exec, vcc
	s_cbranch_execz .LBB916_598
; %bb.597:
	ds_read_b128 v[4:7], v0 offset:128
	v_add3_u32 v0, s25, v1, 4
	v_mad_u64_u32 v[0:1], s[4:5], v0, s4, 0
	v_lshlrev_b64 v[0:1], 1, v[0:1]
	v_add_co_u32_e32 v0, vcc, v2, v0
	v_addc_co_u32_e32 v1, vcc, v3, v1, vcc
	s_waitcnt lgkmcnt(0)
	global_store_dwordx4 v[0:1], v[4:7], off
.LBB916_598:
	s_endpgm
	.section	.rodata,"a",@progbits
	.p2align	6, 0x0
	.amdhsa_kernel _Z39paged_attention_ll4mi_QKV_mfma16_kernelI14__hip_bfloat16hLN4vllm18Fp8KVCacheDataTypeE1ES0_Li16ELi128ELi256ELb0ELi7EL8MFMAType0EEvPKT_PKT0_S9_ifPKiSB_SB_iPKfiiiPfSE_PS4_PT2_iSD_SD_
		.amdhsa_group_segment_fixed_size 8192
		.amdhsa_private_segment_fixed_size 352
		.amdhsa_kernarg_size 400
		.amdhsa_user_sgpr_count 8
		.amdhsa_user_sgpr_private_segment_buffer 1
		.amdhsa_user_sgpr_dispatch_ptr 0
		.amdhsa_user_sgpr_queue_ptr 0
		.amdhsa_user_sgpr_kernarg_segment_ptr 1
		.amdhsa_user_sgpr_dispatch_id 0
		.amdhsa_user_sgpr_flat_scratch_init 1
		.amdhsa_user_sgpr_kernarg_preload_length 0
		.amdhsa_user_sgpr_kernarg_preload_offset 0
		.amdhsa_user_sgpr_private_segment_size 0
		.amdhsa_uses_dynamic_stack 0
		.amdhsa_system_sgpr_private_segment_wavefront_offset 1
		.amdhsa_system_sgpr_workgroup_id_x 1
		.amdhsa_system_sgpr_workgroup_id_y 1
		.amdhsa_system_sgpr_workgroup_id_z 1
		.amdhsa_system_sgpr_workgroup_info 0
		.amdhsa_system_vgpr_workitem_id 0
		.amdhsa_next_free_vgpr 76
		.amdhsa_next_free_sgpr 53
		.amdhsa_accum_offset 76
		.amdhsa_reserve_vcc 1
		.amdhsa_reserve_flat_scratch 0
		.amdhsa_float_round_mode_32 0
		.amdhsa_float_round_mode_16_64 0
		.amdhsa_float_denorm_mode_32 3
		.amdhsa_float_denorm_mode_16_64 3
		.amdhsa_dx10_clamp 1
		.amdhsa_ieee_mode 1
		.amdhsa_fp16_overflow 0
		.amdhsa_tg_split 0
		.amdhsa_exception_fp_ieee_invalid_op 0
		.amdhsa_exception_fp_denorm_src 0
		.amdhsa_exception_fp_ieee_div_zero 0
		.amdhsa_exception_fp_ieee_overflow 0
		.amdhsa_exception_fp_ieee_underflow 0
		.amdhsa_exception_fp_ieee_inexact 0
		.amdhsa_exception_int_div_zero 0
	.end_amdhsa_kernel
	.section	.text._Z39paged_attention_ll4mi_QKV_mfma16_kernelI14__hip_bfloat16hLN4vllm18Fp8KVCacheDataTypeE1ES0_Li16ELi128ELi256ELb0ELi7EL8MFMAType0EEvPKT_PKT0_S9_ifPKiSB_SB_iPKfiiiPfSE_PS4_PT2_iSD_SD_,"axG",@progbits,_Z39paged_attention_ll4mi_QKV_mfma16_kernelI14__hip_bfloat16hLN4vllm18Fp8KVCacheDataTypeE1ES0_Li16ELi128ELi256ELb0ELi7EL8MFMAType0EEvPKT_PKT0_S9_ifPKiSB_SB_iPKfiiiPfSE_PS4_PT2_iSD_SD_,comdat
.Lfunc_end916:
	.size	_Z39paged_attention_ll4mi_QKV_mfma16_kernelI14__hip_bfloat16hLN4vllm18Fp8KVCacheDataTypeE1ES0_Li16ELi128ELi256ELb0ELi7EL8MFMAType0EEvPKT_PKT0_S9_ifPKiSB_SB_iPKfiiiPfSE_PS4_PT2_iSD_SD_, .Lfunc_end916-_Z39paged_attention_ll4mi_QKV_mfma16_kernelI14__hip_bfloat16hLN4vllm18Fp8KVCacheDataTypeE1ES0_Li16ELi128ELi256ELb0ELi7EL8MFMAType0EEvPKT_PKT0_S9_ifPKiSB_SB_iPKfiiiPfSE_PS4_PT2_iSD_SD_
                                        ; -- End function
	.section	.AMDGPU.csdata,"",@progbits
; Kernel info:
; codeLenInByte = 22192
; NumSgprs: 57
; NumVgprs: 76
; NumAgprs: 0
; TotalNumVgprs: 76
; ScratchSize: 352
; MemoryBound: 0
; FloatMode: 240
; IeeeMode: 1
; LDSByteSize: 8192 bytes/workgroup (compile time only)
; SGPRBlocks: 7
; VGPRBlocks: 9
; NumSGPRsForWavesPerEU: 57
; NumVGPRsForWavesPerEU: 76
; AccumOffset: 76
; Occupancy: 6
; WaveLimiterHint : 1
; COMPUTE_PGM_RSRC2:SCRATCH_EN: 1
; COMPUTE_PGM_RSRC2:USER_SGPR: 8
; COMPUTE_PGM_RSRC2:TRAP_HANDLER: 0
; COMPUTE_PGM_RSRC2:TGID_X_EN: 1
; COMPUTE_PGM_RSRC2:TGID_Y_EN: 1
; COMPUTE_PGM_RSRC2:TGID_Z_EN: 1
; COMPUTE_PGM_RSRC2:TIDIG_COMP_CNT: 0
; COMPUTE_PGM_RSRC3_GFX90A:ACCUM_OFFSET: 18
; COMPUTE_PGM_RSRC3_GFX90A:TG_SPLIT: 0
	.section	.text._Z39paged_attention_ll4mi_QKV_mfma16_kernelI14__hip_bfloat16hLN4vllm18Fp8KVCacheDataTypeE1ES0_Li16ELi128ELi256ELb0ELi8EL8MFMAType0EEvPKT_PKT0_S9_ifPKiSB_SB_iPKfiiiPfSE_PS4_PT2_iSD_SD_,"axG",@progbits,_Z39paged_attention_ll4mi_QKV_mfma16_kernelI14__hip_bfloat16hLN4vllm18Fp8KVCacheDataTypeE1ES0_Li16ELi128ELi256ELb0ELi8EL8MFMAType0EEvPKT_PKT0_S9_ifPKiSB_SB_iPKfiiiPfSE_PS4_PT2_iSD_SD_,comdat
	.protected	_Z39paged_attention_ll4mi_QKV_mfma16_kernelI14__hip_bfloat16hLN4vllm18Fp8KVCacheDataTypeE1ES0_Li16ELi128ELi256ELb0ELi8EL8MFMAType0EEvPKT_PKT0_S9_ifPKiSB_SB_iPKfiiiPfSE_PS4_PT2_iSD_SD_ ; -- Begin function _Z39paged_attention_ll4mi_QKV_mfma16_kernelI14__hip_bfloat16hLN4vllm18Fp8KVCacheDataTypeE1ES0_Li16ELi128ELi256ELb0ELi8EL8MFMAType0EEvPKT_PKT0_S9_ifPKiSB_SB_iPKfiiiPfSE_PS4_PT2_iSD_SD_
	.globl	_Z39paged_attention_ll4mi_QKV_mfma16_kernelI14__hip_bfloat16hLN4vllm18Fp8KVCacheDataTypeE1ES0_Li16ELi128ELi256ELb0ELi8EL8MFMAType0EEvPKT_PKT0_S9_ifPKiSB_SB_iPKfiiiPfSE_PS4_PT2_iSD_SD_
	.p2align	8
	.type	_Z39paged_attention_ll4mi_QKV_mfma16_kernelI14__hip_bfloat16hLN4vllm18Fp8KVCacheDataTypeE1ES0_Li16ELi128ELi256ELb0ELi8EL8MFMAType0EEvPKT_PKT0_S9_ifPKiSB_SB_iPKfiiiPfSE_PS4_PT2_iSD_SD_,@function
_Z39paged_attention_ll4mi_QKV_mfma16_kernelI14__hip_bfloat16hLN4vllm18Fp8KVCacheDataTypeE1ES0_Li16ELi128ELi256ELb0ELi8EL8MFMAType0EEvPKT_PKT0_S9_ifPKiSB_SB_iPKfiiiPfSE_PS4_PT2_iSD_SD_: ; @_Z39paged_attention_ll4mi_QKV_mfma16_kernelI14__hip_bfloat16hLN4vllm18Fp8KVCacheDataTypeE1ES0_Li16ELi128ELi256ELb0ELi8EL8MFMAType0EEvPKT_PKT0_S9_ifPKiSB_SB_iPKfiiiPfSE_PS4_PT2_iSD_SD_
; %bb.0:
	s_load_dwordx2 s[6:7], s[4:5], 0x30
	s_add_u32 s0, s0, s11
	s_addc_u32 s1, s1, 0
	s_mov_b32 s24, s9
	s_mov_b64 s[12:13], 0
	s_waitcnt lgkmcnt(0)
	s_cmp_lg_u64 s[6:7], 0
	s_cselect_b64 s[16:17], -1, 0
	s_and_b64 vcc, exec, s[16:17]
	s_cbranch_vccz .LBB917_7
; %bb.1:
	s_add_i32 s14, s8, 1
	s_mov_b32 s15, 0
	s_lshl_b64 s[18:19], s[14:15], 2
	s_add_u32 s18, s6, s18
	s_mov_b32 s9, s15
	s_addc_u32 s19, s7, s19
	s_lshl_b64 s[14:15], s[8:9], 2
	s_add_u32 s14, s6, s14
	s_addc_u32 s15, s7, s15
	s_load_dword s11, s[18:19], 0x0
	s_load_dword s20, s[14:15], 0x0
	s_waitcnt lgkmcnt(0)
	s_sub_i32 s11, s11, s20
	s_cmp_eq_u32 s11, 1
	s_cselect_b64 s[14:15], -1, 0
	s_andn2_b64 vcc, exec, s[12:13]
	s_cbranch_vccnz .LBB917_3
.LBB917_2:
	s_mov_b32 s9, 0
	s_mov_b64 s[14:15], -1
.LBB917_3:
	s_andn2_b64 vcc, exec, s[14:15]
	s_cbranch_vccnz .LBB917_597
; %bb.4:
	s_load_dwordx2 s[12:13], s[4:5], 0x28
	s_lshl_b64 s[18:19], s[8:9], 2
	s_waitcnt lgkmcnt(0)
	s_add_u32 s12, s12, s18
	s_addc_u32 s13, s13, s19
	s_load_dword s33, s[12:13], 0x0
	s_lshl_b32 s20, s24, 8
	s_waitcnt lgkmcnt(0)
	s_cmp_ge_i32 s20, s33
	s_cbranch_scc1 .LBB917_597
; %bb.5:
	s_add_i32 s14, s33, 15
	s_load_dwordx2 s[12:13], s[4:5], 0x20
	s_load_dword s11, s[4:5], 0x38
	s_ashr_i32 s15, s14, 31
	v_and_b32_e32 v1, 0xcf, v0
	s_lshr_b32 s15, s15, 28
	v_add_u32_e32 v1, s20, v1
	s_add_i32 s14, s14, s15
	v_ashrrev_i32_e32 v2, 31, v1
	s_ashr_i32 s22, s14, 4
	v_lshrrev_b32_e32 v6, 28, v2
	s_add_i32 s22, s22, -1
	v_add_u32_e32 v2, v1, v6
	s_waitcnt lgkmcnt(0)
	s_mul_i32 s14, s8, s11
	s_mov_b32 s15, 0
	v_ashrrev_i32_e32 v2, 4, v2
	v_mov_b32_e32 v7, s22
	v_cmp_gt_i32_e32 vcc, s33, v1
	s_lshl_b64 s[14:15], s[14:15], 2
	v_cndmask_b32_e32 v2, v7, v2, vcc
	s_add_u32 s11, s12, s14
	v_ashrrev_i32_e32 v3, 31, v2
	s_addc_u32 s21, s13, s15
	v_lshlrev_b64 v[2:3], 2, v[2:3]
	v_mov_b32_e32 v5, s21
	v_add_co_u32_e32 v4, vcc, s11, v2
	v_or_b32_e32 v2, 16, v1
	v_addc_co_u32_e32 v5, vcc, v5, v3, vcc
	v_add_u32_e32 v3, v2, v6
	v_ashrrev_i32_e32 v3, 4, v3
	v_cmp_gt_i32_e32 vcc, s33, v2
	v_cndmask_b32_e32 v2, v7, v3, vcc
	v_ashrrev_i32_e32 v3, 31, v2
	v_lshlrev_b64 v[2:3], 2, v[2:3]
	v_mov_b32_e32 v9, s21
	v_add_co_u32_e32 v8, vcc, s11, v2
	v_or_b32_e32 v2, 32, v1
	v_addc_co_u32_e32 v9, vcc, v9, v3, vcc
	v_add_u32_e32 v3, v2, v6
	v_ashrrev_i32_e32 v3, 4, v3
	v_cmp_gt_i32_e32 vcc, s33, v2
	v_cndmask_b32_e32 v2, v7, v3, vcc
	v_ashrrev_i32_e32 v3, 31, v2
	;; [unrolled: 10-line block ×3, first 2 shown]
	v_lshlrev_b64 v[2:3], 2, v[2:3]
	v_mov_b32_e32 v1, s21
	v_add_co_u32_e32 v12, vcc, s11, v2
	v_addc_co_u32_e32 v13, vcc, v1, v3, vcc
	global_load_dword v2, v[4:5], off
	global_load_dword v6, v[8:9], off
	;; [unrolled: 1-line block ×4, first 2 shown]
	s_load_dwordx4 s[12:15], s[4:5], 0x8
	s_andn2_b64 vcc, exec, s[16:17]
	s_cbranch_vccnz .LBB917_8
; %bb.6:
	s_add_u32 s6, s6, s18
	s_addc_u32 s7, s7, s19
	s_load_dword s17, s[6:7], 0x0
	s_branch .LBB917_9
.LBB917_7:
	s_mov_b64 s[14:15], 0
	s_branch .LBB917_2
.LBB917_8:
	s_mov_b32 s17, s8
.LBB917_9:
	s_load_dwordx2 s[48:49], s[4:5], 0x68
	s_load_dwordx8 s[40:47], s[4:5], 0x48
	v_and_b32_e32 v51, 15, v0
	v_lshlrev_b32_e32 v3, 3, v51
	s_movk_i32 s16, 0x80
	v_lshrrev_b32_e32 v60, 6, v0
	v_bfe_u32 v1, v0, 4, 2
	s_lshl_b32 s25, s10, 3
	v_cmp_gt_u32_e32 vcc, s16, v0
	v_lshlrev_b32_e32 v50, 1, v3
	v_lshlrev_b32_e32 v52, 4, v0
	s_and_saveexec_b64 s[6:7], vcc
	s_cbranch_execz .LBB917_11
; %bb.10:
	s_load_dwordx2 s[18:19], s[4:5], 0x0
	s_waitcnt lgkmcnt(0)
	s_ashr_i32 s23, s40, 31
	s_mul_hi_u32 s26, s17, s40
	s_mul_i32 s23, s17, s23
	v_lshl_or_b32 v3, v60, 2, v1
	s_add_i32 s27, s26, s23
	s_mul_i32 s26, s17, s40
	s_lshl_b64 s[26:27], s[26:27], 1
	v_add_lshl_u32 v4, v3, s25, 7
	s_add_u32 s17, s18, s26
	v_ashrrev_i32_e32 v5, 31, v4
	s_addc_u32 s18, s19, s27
	v_lshlrev_b64 v[4:5], 1, v[4:5]
	v_mov_b32_e32 v7, s18
	v_add_co_u32_e32 v4, vcc, s17, v4
	v_addc_co_u32_e32 v5, vcc, v7, v5, vcc
	v_add_co_u32_e32 v4, vcc, v4, v50
	v_addc_co_u32_e32 v5, vcc, 0, v5, vcc
	global_load_dwordx4 v[8:11], v[4:5], off
	v_lshlrev_b32_e32 v5, 8, v0
	v_lshlrev_b32_e32 v4, 8, v51
	v_and_b32_e32 v5, 0x600, v5
	s_movk_i32 s17, 0x800
	v_and_or_b32 v4, v4, s17, v5
	v_lshlrev_b32_e32 v3, 5, v3
	v_and_b32_e32 v5, 16, v52
	v_or3_b32 v3, v4, v3, v5
	s_waitcnt vmcnt(0)
	ds_write_b128 v3, v[8:11]
.LBB917_11:
	s_or_b64 exec, exec, s[6:7]
	v_and_b32_e32 v3, 48, v0
	v_or_b32_e32 v7, s20, v3
	v_ashrrev_i32_e32 v4, 4, v7
	v_mov_b32_e32 v12, s22
	v_cmp_gt_i32_e32 vcc, s33, v7
	v_cndmask_b32_e32 v4, v12, v4, vcc
	v_ashrrev_i32_e32 v5, 31, v4
	v_lshlrev_b64 v[4:5], 2, v[4:5]
	v_mov_b32_e32 v8, s21
	v_add_co_u32_e32 v4, vcc, s11, v4
	v_addc_co_u32_e32 v5, vcc, v8, v5, vcc
	v_or_b32_e32 v8, 64, v7
	v_ashrrev_i32_e32 v9, 4, v8
	v_cmp_gt_i32_e32 vcc, s33, v8
	v_cndmask_b32_e32 v8, v12, v9, vcc
	v_ashrrev_i32_e32 v9, 31, v8
	v_lshlrev_b64 v[8:9], 2, v[8:9]
	v_mov_b32_e32 v10, s21
	v_add_co_u32_e32 v8, vcc, s11, v8
	v_addc_co_u32_e32 v9, vcc, v10, v9, vcc
	v_or_b32_e32 v10, 0x80, v7
	v_ashrrev_i32_e32 v11, 4, v10
	v_cmp_gt_i32_e32 vcc, s33, v10
	v_cndmask_b32_e32 v10, v12, v11, vcc
	v_ashrrev_i32_e32 v11, 31, v10
	v_lshlrev_b64 v[10:11], 2, v[10:11]
	v_mov_b32_e32 v13, s21
	v_add_co_u32_e32 v10, vcc, s11, v10
	s_load_dwordx2 s[50:51], s[4:5], 0x94
	s_waitcnt lgkmcnt(0)
	s_barrier
	v_addc_co_u32_e32 v11, vcc, v13, v11, vcc
	global_load_dword v53, v[4:5], off
	global_load_dword v58, v[8:9], off
	;; [unrolled: 1-line block ×3, first 2 shown]
	v_or_b32_e32 v4, 0xc0, v7
	v_ashrrev_i32_e32 v5, 4, v4
	v_cmp_gt_i32_e32 vcc, s33, v4
	v_cndmask_b32_e32 v4, v12, v5, vcc
	v_ashrrev_i32_e32 v5, 31, v4
	v_lshlrev_b64 v[4:5], 2, v[4:5]
	v_mov_b32_e32 v7, s21
	v_add_co_u32_e32 v4, vcc, s11, v4
	v_addc_co_u32_e32 v5, vcc, v7, v5, vcc
	global_load_dword v62, v[4:5], off
	s_mul_i32 s10, s10, s42
	s_add_u32 s6, s12, s10
	s_addc_u32 s7, s13, 0
	v_and_b32_e32 v4, 0xf0, v52
	v_mov_b32_e32 v5, s7
	v_add_co_u32_e32 v20, vcc, s6, v4
	v_addc_co_u32_e32 v21, vcc, 0, v5, vcc
	v_lshlrev_b32_e32 v28, 4, v3
	s_waitcnt vmcnt(7)
	v_mad_i64_i32 v[2:3], s[6:7], v2, s41, v[20:21]
	v_add_co_u32_e32 v8, vcc, v2, v28
	v_addc_co_u32_e32 v9, vcc, 0, v3, vcc
	s_waitcnt vmcnt(6)
	v_mad_i64_i32 v[6:7], s[6:7], v6, s41, v[20:21]
	v_add_co_u32_e32 v22, vcc, v6, v28
	v_addc_co_u32_e32 v23, vcc, 0, v7, vcc
	global_load_dwordx4 v[10:13], v[8:9], off
	global_load_dwordx4 v[2:5], v[8:9], off offset:1024
	s_nop 0
	global_load_dwordx4 v[6:9], v[22:23], off
	global_load_dwordx4 v[14:17], v[22:23], off offset:1024
	s_waitcnt vmcnt(9)
	v_mad_i64_i32 v[22:23], s[6:7], v19, s41, v[20:21]
	v_add_co_u32_e32 v26, vcc, v22, v28
	v_addc_co_u32_e32 v27, vcc, 0, v23, vcc
	s_waitcnt vmcnt(8)
	v_mad_i64_i32 v[18:19], s[6:7], v18, s41, v[20:21]
	v_add_co_u32_e32 v34, vcc, v18, v28
	s_add_u32 s10, s14, s10
	v_lshl_or_b32 v61, v60, 4, v51
	v_addc_co_u32_e32 v35, vcc, 0, v19, vcc
	s_addc_u32 s11, s15, 0
	v_lshlrev_b32_e32 v54, 4, v61
	global_load_dwordx4 v[30:33], v[26:27], off
	global_load_dwordx4 v[22:25], v[26:27], off offset:1024
	s_nop 0
	global_load_dwordx4 v[26:29], v[34:35], off
	global_load_dwordx4 v[18:21], v[34:35], off offset:1024
	v_mov_b32_e32 v34, s11
	v_add_co_u32_e32 v42, vcc, s10, v54
	v_addc_co_u32_e32 v43, vcc, 0, v34, vcc
	v_or_b32_e32 v54, 0x400, v54
	v_mov_b32_e32 v55, s11
	v_add_co_u32_e32 v54, vcc, s10, v54
	v_addc_co_u32_e32 v55, vcc, 0, v55, vcc
	s_mov_b32 s12, 0
	s_movk_i32 s13, 0x7f
	s_mov_b32 s14, 0xffffff
	s_mov_b32 s15, 0x5040100
	s_waitcnt vmcnt(11)
	v_mad_i64_i32 v[34:35], s[6:7], v53, s41, v[42:43]
	s_waitcnt vmcnt(10)
	v_mad_i64_i32 v[36:37], s[6:7], v58, s41, v[42:43]
	;; [unrolled: 2-line block ×3, first 2 shown]
	global_load_dwordx4 v[38:41], v[34:35], off
	s_nop 0
	global_load_dwordx4 v[34:37], v[36:37], off
	v_mad_i64_i32 v[56:57], s[6:7], v53, s41, v[54:55]
	s_waitcnt vmcnt(10)
	v_mad_i64_i32 v[42:43], s[6:7], v62, s41, v[42:43]
	global_load_dwordx4 v[46:49], v[44:45], off
	s_nop 0
	global_load_dwordx4 v[42:45], v[42:43], off
	s_nop 0
	global_load_dwordx4 v[64:67], v[56:57], off
	v_mad_i64_i32 v[56:57], s[6:7], v58, s41, v[54:55]
	global_load_dwordx4 v[68:71], v[56:57], off
	v_mad_i64_i32 v[56:57], s[6:7], v59, s41, v[54:55]
	v_mad_i64_i32 v[54:55], s[6:7], v62, s41, v[54:55]
	global_load_dwordx4 v[72:75], v[56:57], off
	global_load_dwordx4 v[76:79], v[54:55], off
	s_waitcnt vmcnt(15)
	buffer_store_dword v13, off, s[0:3], 0 offset:12
	buffer_store_dword v12, off, s[0:3], 0 offset:8
	;; [unrolled: 1-line block ×3, first 2 shown]
	buffer_store_dword v10, off, s[0:3], 0
	s_waitcnt vmcnt(18)
	buffer_store_dword v5, off, s[0:3], 0 offset:28
	buffer_store_dword v4, off, s[0:3], 0 offset:24
	buffer_store_dword v3, off, s[0:3], 0 offset:20
	buffer_store_dword v2, off, s[0:3], 0 offset:16
	s_waitcnt vmcnt(21)
	buffer_store_dword v9, off, s[0:3], 0 offset:44
	buffer_store_dword v8, off, s[0:3], 0 offset:40
	;; [unrolled: 1-line block ×4, first 2 shown]
	s_load_dword s6, s[4:5], 0x1c
	s_load_dwordx4 s[40:43], s[4:5], 0x80
	v_mov_b32_e32 v2, 0x80
	v_add_u32_e32 v53, 16, v2
	v_add_u32_e32 v59, 32, v2
	v_add_u32_e32 v54, 48, v2
	v_add_u32_e32 v58, 64, v2
	v_add_u32_e32 v55, 0x50, v2
	v_add_u32_e32 v57, 0x60, v2
	v_add_u32_e32 v56, 0x70, v2
	v_and_b32_e32 v2, 7, v0
	v_lshlrev_b32_e32 v2, 5, v2
	s_waitcnt vmcnt(24)
	buffer_store_dword v17, off, s[0:3], 0 offset:60
	buffer_store_dword v16, off, s[0:3], 0 offset:56
	;; [unrolled: 1-line block ×4, first 2 shown]
	s_waitcnt vmcnt(27)
	buffer_store_dword v33, off, s[0:3], 0 offset:76
	buffer_store_dword v32, off, s[0:3], 0 offset:72
	;; [unrolled: 1-line block ×4, first 2 shown]
	v_lshl_or_b32 v14, v1, 9, v2
	ds_read_b128 v[2:5], v14
	ds_read_b128 v[6:9], v14 offset:16
	ds_read_b128 v[10:13], v14 offset:2048
	;; [unrolled: 1-line block ×3, first 2 shown]
	v_and_b32_e32 v62, 63, v0
	v_mov_b32_e32 v31, 0
	v_bfrev_b32_e32 v33, 60
	s_waitcnt vmcnt(30)
	buffer_store_dword v25, off, s[0:3], 0 offset:92
	buffer_store_dword v24, off, s[0:3], 0 offset:88
	buffer_store_dword v23, off, s[0:3], 0 offset:84
	buffer_store_dword v22, off, s[0:3], 0 offset:80
	s_waitcnt vmcnt(33)
	buffer_store_dword v29, off, s[0:3], 0 offset:108
	buffer_store_dword v28, off, s[0:3], 0 offset:104
	buffer_store_dword v27, off, s[0:3], 0 offset:100
	buffer_store_dword v26, off, s[0:3], 0 offset:96
	;; [unrolled: 5-line block ×10, first 2 shown]
	s_waitcnt vmcnt(60)
	buffer_store_dword v79, off, s[0:3], 0 offset:252
	s_waitcnt lgkmcnt(0)
	s_load_dword s4, s[40:41], 0x0
	v_mov_b32_e32 v18, s6
	v_mov_b32_e32 v27, 0
	;; [unrolled: 1-line block ×3, first 2 shown]
	buffer_store_dword v78, off, s[0:3], 0 offset:248
	buffer_store_dword v77, off, s[0:3], 0 offset:244
	;; [unrolled: 1-line block ×3, first 2 shown]
	s_waitcnt lgkmcnt(0)
	v_mul_f32_e32 v22, s4, v18
	v_mov_b32_e32 v24, v22
	v_mov_b32_e32 v25, v22
	s_branch .LBB917_15
.LBB917_12:                             ;   in Loop: Header=BB917_15 Depth=1
	s_or_b64 exec, exec, s[10:11]
.LBB917_13:                             ;   in Loop: Header=BB917_15 Depth=1
	s_or_b64 exec, exec, s[6:7]
.LBB917_14:                             ;   in Loop: Header=BB917_15 Depth=1
	s_or_b64 exec, exec, s[4:5]
	v_perm_b32 v41, v36, v32, s15
	v_perm_b32 v40, v23, v34, s15
	;; [unrolled: 1-line block ×4, first 2 shown]
	v_add_u32_e32 v26, s12, v29
	v_mfma_f32_16x16x16bf16_1k v[18:21], v[40:41], v[14:15], v[18:21]
	s_add_i32 s12, s12, 16
	v_mov_b32_e32 v23, v22
	s_cmp_eq_u32 s12, 64
	v_add_u32_e32 v27, 32, v27
	v_mfma_f32_16x16x16bf16_1k v[18:21], v[36:37], v[16:17], v[18:21]
	s_nop 7
	s_nop 2
	v_pk_mul_f32 v[18:19], v[24:25], v[18:19]
	v_pk_mul_f32 v[20:21], v[22:23], v[20:21]
	buffer_store_dword v19, v26, s[0:3], 0 offen offset:4
	buffer_store_dword v18, v26, s[0:3], 0 offen
	buffer_store_dword v21, v26, s[0:3], 0 offen offset:12
	buffer_store_dword v20, v26, s[0:3], 0 offen offset:8
	s_cbranch_scc1 .LBB917_205
.LBB917_15:                             ; =>This Inner Loop Header: Depth=1
	buffer_load_dword v20, v27, s[0:3], 0 offen
	buffer_load_dword v18, v27, s[0:3], 0 offen offset:4
	buffer_load_dword v28, v27, s[0:3], 0 offen offset:8
	;; [unrolled: 1-line block ×3, first 2 shown]
	v_mov_b32_e32 v19, 0
	s_waitcnt vmcnt(3)
	v_cmp_ne_u16_sdwa s[6:7], v20, v31 src0_sel:BYTE_0 src1_sel:DWORD
	s_and_saveexec_b64 s[4:5], s[6:7]
	s_cbranch_execz .LBB917_21
; %bb.16:                               ;   in Loop: Header=BB917_15 Depth=1
	v_cmp_ne_u16_sdwa s[10:11], v20, s16 src0_sel:BYTE_0 src1_sel:DWORD
	v_mov_b32_e32 v19, 0xffff8000
	s_and_saveexec_b64 s[6:7], s[10:11]
	s_cbranch_execz .LBB917_20
; %bb.17:                               ;   in Loop: Header=BB917_15 Depth=1
	v_and_b32_e32 v21, 0x7f, v20
	v_cmp_ne_u32_e32 vcc, s13, v21
	v_mov_b32_e32 v19, 0x7f80
	s_and_saveexec_b64 s[10:11], vcc
	s_cbranch_execz .LBB917_19
; %bb.18:                               ;   in Loop: Header=BB917_15 Depth=1
	v_and_b32_e32 v19, 7, v20
	v_ffbh_u32_e32 v30, v19
	v_min_u32_e32 v30, 32, v30
	v_subrev_u32_e32 v32, 28, v30
	v_lshlrev_b64 v[34:35], v32, v[20:21]
	v_lshrrev_b32_e32 v23, 3, v21
	v_sub_u32_e32 v30, 29, v30
	v_and_b32_e32 v32, 7, v34
	v_cmp_gt_u32_e32 vcc, 8, v21
	v_cndmask_b32_e32 v21, v23, v30, vcc
	v_cndmask_b32_e32 v19, v19, v32, vcc
	v_lshlrev_b32_e32 v23, 24, v20
	v_lshlrev_b32_e32 v19, 20, v19
	v_and_b32_e32 v23, 0x80000000, v23
	v_lshl_add_u32 v21, v21, 23, v33
	v_or3_b32 v19, v23, v21, v19
	v_lshrrev_b32_e32 v19, 16, v19
.LBB917_19:                             ;   in Loop: Header=BB917_15 Depth=1
	s_or_b64 exec, exec, s[10:11]
.LBB917_20:                             ;   in Loop: Header=BB917_15 Depth=1
	s_or_b64 exec, exec, s[6:7]
.LBB917_21:                             ;   in Loop: Header=BB917_15 Depth=1
	s_or_b64 exec, exec, s[4:5]
	v_lshrrev_b16_e32 v30, 8, v20
	v_cmp_ne_u16_e32 vcc, 0, v30
	v_mov_b32_e32 v23, 0
	v_mov_b32_e32 v21, 0
	s_and_saveexec_b64 s[4:5], vcc
	s_cbranch_execz .LBB917_27
; %bb.22:                               ;   in Loop: Header=BB917_15 Depth=1
	v_cmp_ne_u16_e32 vcc, s16, v30
	v_mov_b32_e32 v21, 0xffff8000
	s_and_saveexec_b64 s[6:7], vcc
	s_cbranch_execz .LBB917_26
; %bb.23:                               ;   in Loop: Header=BB917_15 Depth=1
	v_and_b32_e32 v32, 0x7f, v30
	v_cmp_ne_u32_e32 vcc, s13, v32
	v_mov_b32_e32 v21, 0x7f80
	s_and_saveexec_b64 s[10:11], vcc
	s_cbranch_execz .LBB917_25
; %bb.24:                               ;   in Loop: Header=BB917_15 Depth=1
	v_and_b32_e32 v21, 7, v30
	v_ffbh_u32_e32 v34, v21
	v_min_u32_e32 v37, 32, v34
	v_subrev_u32_e32 v34, 28, v37
	v_lshlrev_b64 v[34:35], v34, v[30:31]
	v_lshrrev_b32_e32 v36, 3, v32
	v_sub_u32_e32 v30, 29, v37
	v_and_b32_e32 v34, 7, v34
	v_cmp_gt_u32_e32 vcc, 8, v32
	v_cndmask_b32_e32 v30, v36, v30, vcc
	v_cndmask_b32_e32 v21, v21, v34, vcc
	v_lshlrev_b32_e32 v32, 16, v20
	v_lshlrev_b32_e32 v21, 20, v21
	v_and_b32_e32 v32, 0x80000000, v32
	v_lshl_add_u32 v30, v30, 23, v33
	v_or3_b32 v21, v32, v30, v21
	v_lshrrev_b32_e32 v21, 16, v21
.LBB917_25:                             ;   in Loop: Header=BB917_15 Depth=1
	s_or_b64 exec, exec, s[10:11]
.LBB917_26:                             ;   in Loop: Header=BB917_15 Depth=1
	s_or_b64 exec, exec, s[6:7]
.LBB917_27:                             ;   in Loop: Header=BB917_15 Depth=1
	s_or_b64 exec, exec, s[4:5]
	v_lshrrev_b32_e32 v30, 16, v20
	v_cmp_ne_u16_sdwa s[6:7], v30, v31 src0_sel:BYTE_0 src1_sel:DWORD
	s_and_saveexec_b64 s[4:5], s[6:7]
	s_cbranch_execz .LBB917_33
; %bb.28:                               ;   in Loop: Header=BB917_15 Depth=1
	v_cmp_ne_u16_sdwa s[10:11], v30, s16 src0_sel:BYTE_0 src1_sel:DWORD
	v_mov_b32_e32 v23, 0xffff8000
	s_and_saveexec_b64 s[6:7], s[10:11]
	s_cbranch_execz .LBB917_32
; %bb.29:                               ;   in Loop: Header=BB917_15 Depth=1
	v_bfe_u32 v32, v20, 16, 7
	v_cmp_ne_u32_e32 vcc, s13, v32
	v_mov_b32_e32 v23, 0x7f80
	s_and_saveexec_b64 s[10:11], vcc
	s_cbranch_execz .LBB917_31
; %bb.30:                               ;   in Loop: Header=BB917_15 Depth=1
	v_and_b32_e32 v23, 7, v30
	v_ffbh_u32_e32 v34, v23
	v_min_u32_e32 v37, 32, v34
	v_subrev_u32_e32 v34, 28, v37
	v_lshlrev_b64 v[34:35], v34, v[30:31]
	v_lshrrev_b32_e32 v36, 3, v32
	v_sub_u32_e32 v35, 29, v37
	v_and_b32_e32 v34, 7, v34
	v_cmp_gt_u32_e32 vcc, 8, v32
	v_cndmask_b32_e32 v32, v36, v35, vcc
	v_cndmask_b32_e32 v23, v23, v34, vcc
	v_lshlrev_b32_e32 v30, 24, v30
	v_lshlrev_b32_e32 v23, 20, v23
	v_and_b32_e32 v30, 0x80000000, v30
	v_lshl_add_u32 v32, v32, 23, v33
	v_or3_b32 v23, v30, v32, v23
	v_lshrrev_b32_e32 v23, 16, v23
.LBB917_31:                             ;   in Loop: Header=BB917_15 Depth=1
	s_or_b64 exec, exec, s[10:11]
.LBB917_32:                             ;   in Loop: Header=BB917_15 Depth=1
	s_or_b64 exec, exec, s[6:7]
.LBB917_33:                             ;   in Loop: Header=BB917_15 Depth=1
	s_or_b64 exec, exec, s[4:5]
	v_cmp_lt_u32_e32 vcc, s14, v20
	v_mov_b32_e32 v34, 0
	v_mov_b32_e32 v35, 0
	s_and_saveexec_b64 s[4:5], vcc
	s_cbranch_execz .LBB917_39
; %bb.34:                               ;   in Loop: Header=BB917_15 Depth=1
	v_lshrrev_b32_e32 v30, 24, v20
	v_cmp_ne_u32_e32 vcc, s16, v30
	v_mov_b32_e32 v35, 0xffff8000
	s_and_saveexec_b64 s[6:7], vcc
	s_cbranch_execz .LBB917_38
; %bb.35:                               ;   in Loop: Header=BB917_15 Depth=1
	v_bfe_u32 v20, v20, 24, 7
	v_cmp_ne_u32_e32 vcc, s13, v20
	v_mov_b32_e32 v35, 0x7f80
	s_and_saveexec_b64 s[10:11], vcc
	s_cbranch_execz .LBB917_37
; %bb.36:                               ;   in Loop: Header=BB917_15 Depth=1
	v_and_b32_e32 v32, 7, v30
	v_ffbh_u32_e32 v36, v32
	v_min_u32_e32 v38, 32, v36
	v_subrev_u32_e32 v36, 28, v38
	v_lshlrev_b64 v[36:37], v36, v[30:31]
	v_lshrrev_b32_e32 v35, 3, v20
	v_sub_u32_e32 v37, 29, v38
	v_and_b32_e32 v36, 7, v36
	v_cmp_gt_u32_e32 vcc, 8, v20
	v_cndmask_b32_e32 v20, v35, v37, vcc
	v_cndmask_b32_e32 v32, v32, v36, vcc
	v_lshlrev_b32_e32 v30, 24, v30
	v_lshlrev_b32_e32 v32, 20, v32
	v_and_b32_e32 v30, 0x80000000, v30
	v_lshl_add_u32 v20, v20, 23, v33
	v_or3_b32 v20, v30, v20, v32
	v_lshrrev_b32_e32 v35, 16, v20
.LBB917_37:                             ;   in Loop: Header=BB917_15 Depth=1
	s_or_b64 exec, exec, s[10:11]
.LBB917_38:                             ;   in Loop: Header=BB917_15 Depth=1
	s_or_b64 exec, exec, s[6:7]
.LBB917_39:                             ;   in Loop: Header=BB917_15 Depth=1
	s_or_b64 exec, exec, s[4:5]
	s_waitcnt vmcnt(2)
	v_cmp_ne_u16_sdwa s[6:7], v18, v31 src0_sel:BYTE_0 src1_sel:DWORD
	s_and_saveexec_b64 s[4:5], s[6:7]
	s_cbranch_execz .LBB917_45
; %bb.40:                               ;   in Loop: Header=BB917_15 Depth=1
	v_cmp_ne_u16_sdwa s[10:11], v18, s16 src0_sel:BYTE_0 src1_sel:DWORD
	v_mov_b32_e32 v34, 0xffff8000
	s_and_saveexec_b64 s[6:7], s[10:11]
	s_cbranch_execz .LBB917_44
; %bb.41:                               ;   in Loop: Header=BB917_15 Depth=1
	v_and_b32_e32 v20, 0x7f, v18
	v_cmp_ne_u32_e32 vcc, s13, v20
	v_mov_b32_e32 v34, 0x7f80
	s_and_saveexec_b64 s[10:11], vcc
	s_cbranch_execz .LBB917_43
; %bb.42:                               ;   in Loop: Header=BB917_15 Depth=1
	v_and_b32_e32 v30, 7, v18
	v_ffbh_u32_e32 v34, v30
	v_min_u32_e32 v34, 32, v34
	v_subrev_u32_e32 v36, 28, v34
	v_lshlrev_b64 v[36:37], v36, v[18:19]
	v_lshrrev_b32_e32 v32, 3, v20
	v_sub_u32_e32 v34, 29, v34
	v_and_b32_e32 v36, 7, v36
	v_cmp_gt_u32_e32 vcc, 8, v20
	v_cndmask_b32_e32 v20, v32, v34, vcc
	v_cndmask_b32_e32 v30, v30, v36, vcc
	v_lshlrev_b32_e32 v32, 24, v18
	v_lshlrev_b32_e32 v30, 20, v30
	v_and_b32_e32 v32, 0x80000000, v32
	v_lshl_add_u32 v20, v20, 23, v33
	v_or3_b32 v20, v32, v20, v30
	v_lshrrev_b32_e32 v34, 16, v20
.LBB917_43:                             ;   in Loop: Header=BB917_15 Depth=1
	s_or_b64 exec, exec, s[10:11]
.LBB917_44:                             ;   in Loop: Header=BB917_15 Depth=1
	s_or_b64 exec, exec, s[6:7]
.LBB917_45:                             ;   in Loop: Header=BB917_15 Depth=1
	s_or_b64 exec, exec, s[4:5]
	v_lshrrev_b16_e32 v20, 8, v18
	v_cmp_ne_u16_e32 vcc, 0, v20
	v_mov_b32_e32 v36, 0
	v_mov_b32_e32 v30, 0
	s_and_saveexec_b64 s[4:5], vcc
	s_cbranch_execz .LBB917_51
; %bb.46:                               ;   in Loop: Header=BB917_15 Depth=1
	v_cmp_ne_u16_e32 vcc, s16, v20
	v_mov_b32_e32 v30, 0xffff8000
	s_and_saveexec_b64 s[6:7], vcc
	s_cbranch_execz .LBB917_50
; %bb.47:                               ;   in Loop: Header=BB917_15 Depth=1
	v_and_b32_e32 v32, 0x7f, v20
	v_cmp_ne_u32_e32 vcc, s13, v32
	v_mov_b32_e32 v30, 0x7f80
	s_and_saveexec_b64 s[10:11], vcc
	s_cbranch_execz .LBB917_49
; %bb.48:                               ;   in Loop: Header=BB917_15 Depth=1
	v_and_b32_e32 v30, 7, v20
	v_ffbh_u32_e32 v38, v30
	v_min_u32_e32 v40, 32, v38
	v_subrev_u32_e32 v38, 28, v40
	v_lshlrev_b64 v[38:39], v38, v[20:21]
	v_lshrrev_b32_e32 v37, 3, v32
	v_sub_u32_e32 v20, 29, v40
	v_and_b32_e32 v38, 7, v38
	v_cmp_gt_u32_e32 vcc, 8, v32
	v_cndmask_b32_e32 v20, v37, v20, vcc
	v_cndmask_b32_e32 v30, v30, v38, vcc
	v_lshlrev_b32_e32 v32, 16, v18
	v_lshlrev_b32_e32 v30, 20, v30
	v_and_b32_e32 v32, 0x80000000, v32
	v_lshl_add_u32 v20, v20, 23, v33
	v_or3_b32 v20, v32, v20, v30
	v_lshrrev_b32_e32 v30, 16, v20
.LBB917_49:                             ;   in Loop: Header=BB917_15 Depth=1
	s_or_b64 exec, exec, s[10:11]
.LBB917_50:                             ;   in Loop: Header=BB917_15 Depth=1
	s_or_b64 exec, exec, s[6:7]
.LBB917_51:                             ;   in Loop: Header=BB917_15 Depth=1
	s_or_b64 exec, exec, s[4:5]
	v_lshrrev_b32_e32 v20, 16, v18
	v_cmp_ne_u16_sdwa s[6:7], v20, v31 src0_sel:BYTE_0 src1_sel:DWORD
	s_and_saveexec_b64 s[4:5], s[6:7]
	s_cbranch_execz .LBB917_57
; %bb.52:                               ;   in Loop: Header=BB917_15 Depth=1
	v_cmp_ne_u16_sdwa s[10:11], v20, s16 src0_sel:BYTE_0 src1_sel:DWORD
	v_mov_b32_e32 v36, 0xffff8000
	s_and_saveexec_b64 s[6:7], s[10:11]
	s_cbranch_execz .LBB917_56
; %bb.53:                               ;   in Loop: Header=BB917_15 Depth=1
	v_bfe_u32 v32, v18, 16, 7
	v_cmp_ne_u32_e32 vcc, s13, v32
	v_mov_b32_e32 v36, 0x7f80
	s_and_saveexec_b64 s[10:11], vcc
	s_cbranch_execz .LBB917_55
; %bb.54:                               ;   in Loop: Header=BB917_15 Depth=1
	v_and_b32_e32 v38, 7, v20
	v_ffbh_u32_e32 v36, v38
	v_min_u32_e32 v40, 32, v36
	v_subrev_u32_e32 v36, 28, v40
	v_lshlrev_b64 v[36:37], v36, v[20:21]
	v_lshrrev_b32_e32 v39, 3, v32
	v_sub_u32_e32 v37, 29, v40
	v_and_b32_e32 v36, 7, v36
	v_cmp_gt_u32_e32 vcc, 8, v32
	v_cndmask_b32_e32 v32, v39, v37, vcc
	v_cndmask_b32_e32 v36, v38, v36, vcc
	v_lshlrev_b32_e32 v20, 24, v20
	v_lshlrev_b32_e32 v36, 20, v36
	v_and_b32_e32 v20, 0x80000000, v20
	v_lshl_add_u32 v32, v32, 23, v33
	v_or3_b32 v20, v20, v32, v36
	v_lshrrev_b32_e32 v36, 16, v20
.LBB917_55:                             ;   in Loop: Header=BB917_15 Depth=1
	s_or_b64 exec, exec, s[10:11]
.LBB917_56:                             ;   in Loop: Header=BB917_15 Depth=1
	s_or_b64 exec, exec, s[6:7]
.LBB917_57:                             ;   in Loop: Header=BB917_15 Depth=1
	s_or_b64 exec, exec, s[4:5]
	v_cmp_lt_u32_e32 vcc, s14, v18
	v_mov_b32_e32 v32, 0
	v_mov_b32_e32 v37, 0
	s_and_saveexec_b64 s[4:5], vcc
	s_cbranch_execz .LBB917_63
; %bb.58:                               ;   in Loop: Header=BB917_15 Depth=1
	v_lshrrev_b32_e32 v20, 24, v18
	v_cmp_ne_u32_e32 vcc, s16, v20
	v_mov_b32_e32 v37, 0xffff8000
	s_and_saveexec_b64 s[6:7], vcc
	s_cbranch_execz .LBB917_62
; %bb.59:                               ;   in Loop: Header=BB917_15 Depth=1
	v_bfe_u32 v18, v18, 24, 7
	v_cmp_ne_u32_e32 vcc, s13, v18
	v_mov_b32_e32 v37, 0x7f80
	s_and_saveexec_b64 s[10:11], vcc
	s_cbranch_execz .LBB917_61
; %bb.60:                               ;   in Loop: Header=BB917_15 Depth=1
	v_and_b32_e32 v37, 7, v20
	v_ffbh_u32_e32 v38, v37
	v_min_u32_e32 v41, 32, v38
	v_subrev_u32_e32 v38, 28, v41
	v_lshlrev_b64 v[38:39], v38, v[20:21]
	v_lshrrev_b32_e32 v40, 3, v18
	v_sub_u32_e32 v39, 29, v41
	v_and_b32_e32 v38, 7, v38
	v_cmp_gt_u32_e32 vcc, 8, v18
	v_cndmask_b32_e32 v18, v40, v39, vcc
	v_cndmask_b32_e32 v37, v37, v38, vcc
	v_lshlrev_b32_e32 v20, 24, v20
	v_lshlrev_b32_e32 v37, 20, v37
	v_and_b32_e32 v20, 0x80000000, v20
	v_lshl_add_u32 v18, v18, 23, v33
	v_or3_b32 v18, v20, v18, v37
	v_lshrrev_b32_e32 v37, 16, v18
.LBB917_61:                             ;   in Loop: Header=BB917_15 Depth=1
	s_or_b64 exec, exec, s[10:11]
.LBB917_62:                             ;   in Loop: Header=BB917_15 Depth=1
	s_or_b64 exec, exec, s[6:7]
.LBB917_63:                             ;   in Loop: Header=BB917_15 Depth=1
	s_or_b64 exec, exec, s[4:5]
	v_perm_b32 v39, v35, v23, s15
	v_perm_b32 v38, v21, v19, s15
	;; [unrolled: 1-line block ×4, first 2 shown]
	s_waitcnt vmcnt(1)
	v_cmp_ne_u16_sdwa s[6:7], v28, v31 src0_sel:BYTE_0 src1_sel:DWORD
	v_mfma_f32_16x16x16bf16_1k v[18:21], v[38:39], v[2:3], 0
	v_mfma_f32_16x16x16bf16_1k v[18:21], v[34:35], v[4:5], v[18:21]
	s_and_saveexec_b64 s[4:5], s[6:7]
	s_cbranch_execz .LBB917_69
; %bb.64:                               ;   in Loop: Header=BB917_15 Depth=1
	v_cmp_ne_u16_sdwa s[10:11], v28, s16 src0_sel:BYTE_0 src1_sel:DWORD
	v_mov_b32_e32 v32, 0xffff8000
	s_and_saveexec_b64 s[6:7], s[10:11]
	s_cbranch_execz .LBB917_68
; %bb.65:                               ;   in Loop: Header=BB917_15 Depth=1
	v_and_b32_e32 v23, 0x7f, v28
	v_cmp_ne_u32_e32 vcc, s13, v23
	v_mov_b32_e32 v32, 0x7f80
	s_and_saveexec_b64 s[10:11], vcc
	s_cbranch_execz .LBB917_67
; %bb.66:                               ;   in Loop: Header=BB917_15 Depth=1
	v_and_b32_e32 v30, 7, v28
	v_ffbh_u32_e32 v34, v30
	v_min_u32_e32 v36, 32, v34
	v_subrev_u32_e32 v34, 28, v36
	v_lshlrev_b64 v[34:35], v34, v[28:29]
	v_lshrrev_b32_e32 v32, 3, v23
	v_sub_u32_e32 v35, 29, v36
	v_and_b32_e32 v34, 7, v34
	v_cmp_gt_u32_e32 vcc, 8, v23
	v_cndmask_b32_e32 v23, v32, v35, vcc
	v_cndmask_b32_e32 v30, v30, v34, vcc
	v_lshlrev_b32_e32 v32, 24, v28
	v_lshlrev_b32_e32 v30, 20, v30
	v_and_b32_e32 v32, 0x80000000, v32
	v_lshl_add_u32 v23, v23, 23, v33
	v_or3_b32 v23, v32, v23, v30
	v_lshrrev_b32_e32 v32, 16, v23
.LBB917_67:                             ;   in Loop: Header=BB917_15 Depth=1
	s_or_b64 exec, exec, s[10:11]
.LBB917_68:                             ;   in Loop: Header=BB917_15 Depth=1
	s_or_b64 exec, exec, s[6:7]
.LBB917_69:                             ;   in Loop: Header=BB917_15 Depth=1
	s_or_b64 exec, exec, s[4:5]
	v_lshrrev_b16_e32 v30, 8, v28
	v_cmp_ne_u16_e32 vcc, 0, v30
	v_mov_b32_e32 v35, 0
	v_mov_b32_e32 v34, 0
	s_and_saveexec_b64 s[4:5], vcc
	s_cbranch_execz .LBB917_75
; %bb.70:                               ;   in Loop: Header=BB917_15 Depth=1
	v_cmp_ne_u16_e32 vcc, s16, v30
	v_mov_b32_e32 v34, 0xffff8000
	s_and_saveexec_b64 s[6:7], vcc
	s_cbranch_execz .LBB917_74
; %bb.71:                               ;   in Loop: Header=BB917_15 Depth=1
	v_and_b32_e32 v23, 0x7f, v30
	v_cmp_ne_u32_e32 vcc, s13, v23
	v_mov_b32_e32 v34, 0x7f80
	s_and_saveexec_b64 s[10:11], vcc
	s_cbranch_execz .LBB917_73
; %bb.72:                               ;   in Loop: Header=BB917_15 Depth=1
	v_and_b32_e32 v34, 7, v30
	v_ffbh_u32_e32 v36, v34
	v_min_u32_e32 v39, 32, v36
	v_subrev_u32_e32 v36, 28, v39
	v_lshlrev_b64 v[36:37], v36, v[30:31]
	v_lshrrev_b32_e32 v38, 3, v23
	v_sub_u32_e32 v30, 29, v39
	v_and_b32_e32 v36, 7, v36
	v_cmp_gt_u32_e32 vcc, 8, v23
	v_cndmask_b32_e32 v23, v38, v30, vcc
	v_cndmask_b32_e32 v30, v34, v36, vcc
	v_lshlrev_b32_e32 v34, 16, v28
	v_lshlrev_b32_e32 v30, 20, v30
	v_and_b32_e32 v34, 0x80000000, v34
	v_lshl_add_u32 v23, v23, 23, v33
	v_or3_b32 v23, v34, v23, v30
	v_lshrrev_b32_e32 v34, 16, v23
.LBB917_73:                             ;   in Loop: Header=BB917_15 Depth=1
	s_or_b64 exec, exec, s[10:11]
.LBB917_74:                             ;   in Loop: Header=BB917_15 Depth=1
	s_or_b64 exec, exec, s[6:7]
.LBB917_75:                             ;   in Loop: Header=BB917_15 Depth=1
	s_or_b64 exec, exec, s[4:5]
	v_lshrrev_b32_e32 v30, 16, v28
	v_cmp_ne_u16_sdwa s[6:7], v30, v31 src0_sel:BYTE_0 src1_sel:DWORD
	s_and_saveexec_b64 s[4:5], s[6:7]
	s_cbranch_execz .LBB917_81
; %bb.76:                               ;   in Loop: Header=BB917_15 Depth=1
	v_cmp_ne_u16_sdwa s[10:11], v30, s16 src0_sel:BYTE_0 src1_sel:DWORD
	v_mov_b32_e32 v35, 0xffff8000
	s_and_saveexec_b64 s[6:7], s[10:11]
	s_cbranch_execz .LBB917_80
; %bb.77:                               ;   in Loop: Header=BB917_15 Depth=1
	v_bfe_u32 v23, v28, 16, 7
	v_cmp_ne_u32_e32 vcc, s13, v23
	v_mov_b32_e32 v35, 0x7f80
	s_and_saveexec_b64 s[10:11], vcc
	s_cbranch_execz .LBB917_79
; %bb.78:                               ;   in Loop: Header=BB917_15 Depth=1
	v_and_b32_e32 v35, 7, v30
	v_ffbh_u32_e32 v36, v35
	v_min_u32_e32 v39, 32, v36
	v_subrev_u32_e32 v36, 28, v39
	v_lshlrev_b64 v[36:37], v36, v[30:31]
	v_lshrrev_b32_e32 v38, 3, v23
	v_sub_u32_e32 v37, 29, v39
	v_and_b32_e32 v36, 7, v36
	v_cmp_gt_u32_e32 vcc, 8, v23
	v_cndmask_b32_e32 v23, v38, v37, vcc
	v_cndmask_b32_e32 v35, v35, v36, vcc
	v_lshlrev_b32_e32 v30, 24, v30
	v_lshlrev_b32_e32 v35, 20, v35
	v_and_b32_e32 v30, 0x80000000, v30
	v_lshl_add_u32 v23, v23, 23, v33
	v_or3_b32 v23, v30, v23, v35
	v_lshrrev_b32_e32 v35, 16, v23
.LBB917_79:                             ;   in Loop: Header=BB917_15 Depth=1
	s_or_b64 exec, exec, s[10:11]
.LBB917_80:                             ;   in Loop: Header=BB917_15 Depth=1
	s_or_b64 exec, exec, s[6:7]
.LBB917_81:                             ;   in Loop: Header=BB917_15 Depth=1
	s_or_b64 exec, exec, s[4:5]
	v_cmp_lt_u32_e32 vcc, s14, v28
	v_mov_b32_e32 v36, 0
	v_mov_b32_e32 v37, 0
	s_and_saveexec_b64 s[4:5], vcc
	s_cbranch_execz .LBB917_87
; %bb.82:                               ;   in Loop: Header=BB917_15 Depth=1
	v_lshrrev_b32_e32 v30, 24, v28
	v_cmp_ne_u32_e32 vcc, s16, v30
	v_mov_b32_e32 v37, 0xffff8000
	s_and_saveexec_b64 s[6:7], vcc
	s_cbranch_execz .LBB917_86
; %bb.83:                               ;   in Loop: Header=BB917_15 Depth=1
	v_bfe_u32 v23, v28, 24, 7
	v_cmp_ne_u32_e32 vcc, s13, v23
	v_mov_b32_e32 v37, 0x7f80
	s_and_saveexec_b64 s[10:11], vcc
	s_cbranch_execz .LBB917_85
; %bb.84:                               ;   in Loop: Header=BB917_15 Depth=1
	v_and_b32_e32 v28, 7, v30
	v_ffbh_u32_e32 v38, v28
	v_min_u32_e32 v40, 32, v38
	v_subrev_u32_e32 v38, 28, v40
	v_lshlrev_b64 v[38:39], v38, v[30:31]
	v_lshrrev_b32_e32 v37, 3, v23
	v_sub_u32_e32 v39, 29, v40
	v_and_b32_e32 v38, 7, v38
	v_cmp_gt_u32_e32 vcc, 8, v23
	v_cndmask_b32_e32 v23, v37, v39, vcc
	v_cndmask_b32_e32 v28, v28, v38, vcc
	v_lshlrev_b32_e32 v30, 24, v30
	v_lshlrev_b32_e32 v28, 20, v28
	v_and_b32_e32 v30, 0x80000000, v30
	v_lshl_add_u32 v23, v23, 23, v33
	v_or3_b32 v23, v30, v23, v28
	v_lshrrev_b32_e32 v37, 16, v23
.LBB917_85:                             ;   in Loop: Header=BB917_15 Depth=1
	s_or_b64 exec, exec, s[10:11]
.LBB917_86:                             ;   in Loop: Header=BB917_15 Depth=1
	s_or_b64 exec, exec, s[6:7]
.LBB917_87:                             ;   in Loop: Header=BB917_15 Depth=1
	s_or_b64 exec, exec, s[4:5]
	s_waitcnt vmcnt(0)
	v_cmp_ne_u16_sdwa s[6:7], v26, v31 src0_sel:BYTE_0 src1_sel:DWORD
	s_and_saveexec_b64 s[4:5], s[6:7]
	s_cbranch_execz .LBB917_93
; %bb.88:                               ;   in Loop: Header=BB917_15 Depth=1
	v_cmp_ne_u16_sdwa s[10:11], v26, s16 src0_sel:BYTE_0 src1_sel:DWORD
	v_mov_b32_e32 v36, 0xffff8000
	s_and_saveexec_b64 s[6:7], s[10:11]
	s_cbranch_execz .LBB917_92
; %bb.89:                               ;   in Loop: Header=BB917_15 Depth=1
	v_and_b32_e32 v23, 0x7f, v26
	v_cmp_ne_u32_e32 vcc, s13, v23
	v_mov_b32_e32 v36, 0x7f80
	s_and_saveexec_b64 s[10:11], vcc
	s_cbranch_execz .LBB917_91
; %bb.90:                               ;   in Loop: Header=BB917_15 Depth=1
	v_and_b32_e32 v28, 7, v26
	v_ffbh_u32_e32 v36, v28
	v_min_u32_e32 v36, 32, v36
	v_subrev_u32_e32 v38, 28, v36
	v_lshlrev_b64 v[38:39], v38, v[26:27]
	v_lshrrev_b32_e32 v30, 3, v23
	v_sub_u32_e32 v36, 29, v36
	v_and_b32_e32 v38, 7, v38
	v_cmp_gt_u32_e32 vcc, 8, v23
	v_cndmask_b32_e32 v23, v30, v36, vcc
	v_cndmask_b32_e32 v28, v28, v38, vcc
	v_lshlrev_b32_e32 v30, 24, v26
	v_lshlrev_b32_e32 v28, 20, v28
	v_and_b32_e32 v30, 0x80000000, v30
	v_lshl_add_u32 v23, v23, 23, v33
	v_or3_b32 v23, v30, v23, v28
	v_lshrrev_b32_e32 v36, 16, v23
.LBB917_91:                             ;   in Loop: Header=BB917_15 Depth=1
	s_or_b64 exec, exec, s[10:11]
.LBB917_92:                             ;   in Loop: Header=BB917_15 Depth=1
	s_or_b64 exec, exec, s[6:7]
.LBB917_93:                             ;   in Loop: Header=BB917_15 Depth=1
	s_or_b64 exec, exec, s[4:5]
	v_lshrrev_b16_e32 v28, 8, v26
	v_cmp_ne_u16_e32 vcc, 0, v28
	v_mov_b32_e32 v39, 0
	v_mov_b32_e32 v38, 0
	s_and_saveexec_b64 s[4:5], vcc
	s_cbranch_execz .LBB917_99
; %bb.94:                               ;   in Loop: Header=BB917_15 Depth=1
	v_cmp_ne_u16_e32 vcc, s16, v28
	v_mov_b32_e32 v38, 0xffff8000
	s_and_saveexec_b64 s[6:7], vcc
	s_cbranch_execz .LBB917_98
; %bb.95:                               ;   in Loop: Header=BB917_15 Depth=1
	v_and_b32_e32 v23, 0x7f, v28
	v_cmp_ne_u32_e32 vcc, s13, v23
	v_mov_b32_e32 v38, 0x7f80
	s_and_saveexec_b64 s[10:11], vcc
	s_cbranch_execz .LBB917_97
; %bb.96:                               ;   in Loop: Header=BB917_15 Depth=1
	v_and_b32_e32 v30, 7, v28
	v_ffbh_u32_e32 v40, v30
	v_min_u32_e32 v42, 32, v40
	v_subrev_u32_e32 v40, 28, v42
	v_lshlrev_b64 v[40:41], v40, v[28:29]
	v_lshrrev_b32_e32 v38, 3, v23
	v_sub_u32_e32 v28, 29, v42
	v_and_b32_e32 v40, 7, v40
	v_cmp_gt_u32_e32 vcc, 8, v23
	v_cndmask_b32_e32 v23, v38, v28, vcc
	v_cndmask_b32_e32 v28, v30, v40, vcc
	v_lshlrev_b32_e32 v30, 16, v26
	v_lshlrev_b32_e32 v28, 20, v28
	v_and_b32_e32 v30, 0x80000000, v30
	v_lshl_add_u32 v23, v23, 23, v33
	v_or3_b32 v23, v30, v23, v28
	v_lshrrev_b32_e32 v38, 16, v23
.LBB917_97:                             ;   in Loop: Header=BB917_15 Depth=1
	s_or_b64 exec, exec, s[10:11]
.LBB917_98:                             ;   in Loop: Header=BB917_15 Depth=1
	s_or_b64 exec, exec, s[6:7]
.LBB917_99:                             ;   in Loop: Header=BB917_15 Depth=1
	s_or_b64 exec, exec, s[4:5]
	v_lshrrev_b32_e32 v28, 16, v26
	v_cmp_ne_u16_sdwa s[6:7], v28, v31 src0_sel:BYTE_0 src1_sel:DWORD
	s_and_saveexec_b64 s[4:5], s[6:7]
	s_cbranch_execz .LBB917_105
; %bb.100:                              ;   in Loop: Header=BB917_15 Depth=1
	v_cmp_ne_u16_sdwa s[10:11], v28, s16 src0_sel:BYTE_0 src1_sel:DWORD
	v_mov_b32_e32 v39, 0xffff8000
	s_and_saveexec_b64 s[6:7], s[10:11]
	s_cbranch_execz .LBB917_104
; %bb.101:                              ;   in Loop: Header=BB917_15 Depth=1
	v_bfe_u32 v23, v26, 16, 7
	v_cmp_ne_u32_e32 vcc, s13, v23
	v_mov_b32_e32 v39, 0x7f80
	s_and_saveexec_b64 s[10:11], vcc
	s_cbranch_execz .LBB917_103
; %bb.102:                              ;   in Loop: Header=BB917_15 Depth=1
	v_and_b32_e32 v30, 7, v28
	v_ffbh_u32_e32 v40, v30
	v_min_u32_e32 v42, 32, v40
	v_subrev_u32_e32 v40, 28, v42
	v_lshlrev_b64 v[40:41], v40, v[28:29]
	v_lshrrev_b32_e32 v39, 3, v23
	v_sub_u32_e32 v41, 29, v42
	v_and_b32_e32 v40, 7, v40
	v_cmp_gt_u32_e32 vcc, 8, v23
	v_cndmask_b32_e32 v23, v39, v41, vcc
	v_cndmask_b32_e32 v30, v30, v40, vcc
	v_lshlrev_b32_e32 v28, 24, v28
	v_lshlrev_b32_e32 v30, 20, v30
	v_and_b32_e32 v28, 0x80000000, v28
	v_lshl_add_u32 v23, v23, 23, v33
	v_or3_b32 v23, v28, v23, v30
	v_lshrrev_b32_e32 v39, 16, v23
.LBB917_103:                            ;   in Loop: Header=BB917_15 Depth=1
	s_or_b64 exec, exec, s[10:11]
.LBB917_104:                            ;   in Loop: Header=BB917_15 Depth=1
	s_or_b64 exec, exec, s[6:7]
.LBB917_105:                            ;   in Loop: Header=BB917_15 Depth=1
	s_or_b64 exec, exec, s[4:5]
	v_cmp_lt_u32_e32 vcc, s14, v26
	v_mov_b32_e32 v23, 0
	v_mov_b32_e32 v40, 0
	s_and_saveexec_b64 s[4:5], vcc
	s_cbranch_execz .LBB917_111
; %bb.106:                              ;   in Loop: Header=BB917_15 Depth=1
	v_lshrrev_b32_e32 v28, 24, v26
	v_cmp_ne_u32_e32 vcc, s16, v28
	v_mov_b32_e32 v40, 0xffff8000
	s_and_saveexec_b64 s[6:7], vcc
	s_cbranch_execz .LBB917_110
; %bb.107:                              ;   in Loop: Header=BB917_15 Depth=1
	v_bfe_u32 v26, v26, 24, 7
	v_cmp_ne_u32_e32 vcc, s13, v26
	v_mov_b32_e32 v40, 0x7f80
	s_and_saveexec_b64 s[10:11], vcc
	s_cbranch_execz .LBB917_109
; %bb.108:                              ;   in Loop: Header=BB917_15 Depth=1
	v_and_b32_e32 v30, 7, v28
	v_ffbh_u32_e32 v40, v30
	v_min_u32_e32 v43, 32, v40
	v_subrev_u32_e32 v40, 28, v43
	v_lshlrev_b64 v[40:41], v40, v[28:29]
	v_lshrrev_b32_e32 v42, 3, v26
	v_sub_u32_e32 v41, 29, v43
	v_and_b32_e32 v40, 7, v40
	v_cmp_gt_u32_e32 vcc, 8, v26
	v_cndmask_b32_e32 v26, v42, v41, vcc
	v_cndmask_b32_e32 v30, v30, v40, vcc
	v_lshlrev_b32_e32 v28, 24, v28
	v_lshlrev_b32_e32 v30, 20, v30
	v_and_b32_e32 v28, 0x80000000, v28
	v_lshl_add_u32 v26, v26, 23, v33
	v_or3_b32 v26, v28, v26, v30
	v_lshrrev_b32_e32 v40, 16, v26
.LBB917_109:                            ;   in Loop: Header=BB917_15 Depth=1
	s_or_b64 exec, exec, s[10:11]
.LBB917_110:                            ;   in Loop: Header=BB917_15 Depth=1
	s_or_b64 exec, exec, s[6:7]
.LBB917_111:                            ;   in Loop: Header=BB917_15 Depth=1
	s_or_b64 exec, exec, s[4:5]
	v_perm_b32 v34, v34, v32, s15
	buffer_load_dword v32, v27, s[0:3], 0 offen offset:16
	buffer_load_dword v30, v27, s[0:3], 0 offen offset:20
	;; [unrolled: 1-line block ×4, first 2 shown]
	v_perm_b32 v35, v37, v35, s15
	s_waitcnt vmcnt(3)
	v_cmp_ne_u16_sdwa s[6:7], v32, v31 src0_sel:BYTE_0 src1_sel:DWORD
	v_mfma_f32_16x16x16bf16_1k v[18:21], v[34:35], v[6:7], v[18:21]
	v_perm_b32 v35, v40, v39, s15
	v_perm_b32 v34, v38, v36, s15
	s_nop 1
	v_mfma_f32_16x16x16bf16_1k v[18:21], v[34:35], v[8:9], v[18:21]
	s_and_saveexec_b64 s[4:5], s[6:7]
	s_cbranch_execz .LBB917_117
; %bb.112:                              ;   in Loop: Header=BB917_15 Depth=1
	v_cmp_ne_u16_sdwa s[10:11], v32, s16 src0_sel:BYTE_0 src1_sel:DWORD
	v_mov_b32_e32 v23, 0xffff8000
	s_and_saveexec_b64 s[6:7], s[10:11]
	s_cbranch_execz .LBB917_116
; %bb.113:                              ;   in Loop: Header=BB917_15 Depth=1
	v_and_b32_e32 v34, 0x7f, v32
	v_cmp_ne_u32_e32 vcc, s13, v34
	v_mov_b32_e32 v23, 0x7f80
	s_and_saveexec_b64 s[10:11], vcc
	s_cbranch_execz .LBB917_115
; %bb.114:                              ;   in Loop: Header=BB917_15 Depth=1
	v_and_b32_e32 v23, 7, v32
	v_ffbh_u32_e32 v36, v23
	v_min_u32_e32 v38, 32, v36
	v_subrev_u32_e32 v36, 28, v38
	v_lshlrev_b64 v[36:37], v36, v[32:33]
	v_lshrrev_b32_e32 v35, 3, v34
	v_sub_u32_e32 v37, 29, v38
	v_and_b32_e32 v36, 7, v36
	v_cmp_gt_u32_e32 vcc, 8, v34
	v_cndmask_b32_e32 v34, v35, v37, vcc
	v_cndmask_b32_e32 v23, v23, v36, vcc
	v_lshlrev_b32_e32 v35, 24, v32
	v_lshlrev_b32_e32 v23, 20, v23
	v_and_b32_e32 v35, 0x80000000, v35
	v_lshl_add_u32 v34, v34, 23, v33
	v_or3_b32 v23, v35, v34, v23
	v_lshrrev_b32_e32 v23, 16, v23
.LBB917_115:                            ;   in Loop: Header=BB917_15 Depth=1
	s_or_b64 exec, exec, s[10:11]
.LBB917_116:                            ;   in Loop: Header=BB917_15 Depth=1
	s_or_b64 exec, exec, s[6:7]
.LBB917_117:                            ;   in Loop: Header=BB917_15 Depth=1
	s_or_b64 exec, exec, s[4:5]
	v_lshrrev_b16_e32 v34, 8, v32
	v_cmp_ne_u16_e32 vcc, 0, v34
	v_mov_b32_e32 v36, 0
	v_mov_b32_e32 v35, 0
	s_and_saveexec_b64 s[4:5], vcc
	s_cbranch_execz .LBB917_123
; %bb.118:                              ;   in Loop: Header=BB917_15 Depth=1
	v_cmp_ne_u16_e32 vcc, s16, v34
	v_mov_b32_e32 v35, 0xffff8000
	s_and_saveexec_b64 s[6:7], vcc
	s_cbranch_execz .LBB917_122
; %bb.119:                              ;   in Loop: Header=BB917_15 Depth=1
	v_and_b32_e32 v37, 0x7f, v34
	v_cmp_ne_u32_e32 vcc, s13, v37
	v_mov_b32_e32 v35, 0x7f80
	s_and_saveexec_b64 s[10:11], vcc
	s_cbranch_execz .LBB917_121
; %bb.120:                              ;   in Loop: Header=BB917_15 Depth=1
	v_and_b32_e32 v38, 7, v34
	v_ffbh_u32_e32 v35, v38
	v_min_u32_e32 v40, 32, v35
	v_subrev_u32_e32 v35, 28, v40
	v_lshlrev_b64 v[34:35], v35, v[34:35]
	v_lshrrev_b32_e32 v39, 3, v37
	v_sub_u32_e32 v35, 29, v40
	v_and_b32_e32 v34, 7, v34
	v_cmp_gt_u32_e32 vcc, 8, v37
	v_cndmask_b32_e32 v35, v39, v35, vcc
	v_cndmask_b32_e32 v34, v38, v34, vcc
	v_lshlrev_b32_e32 v37, 16, v32
	v_lshlrev_b32_e32 v34, 20, v34
	v_and_b32_e32 v37, 0x80000000, v37
	v_lshl_add_u32 v35, v35, 23, v33
	v_or3_b32 v34, v37, v35, v34
	v_lshrrev_b32_e32 v35, 16, v34
.LBB917_121:                            ;   in Loop: Header=BB917_15 Depth=1
	s_or_b64 exec, exec, s[10:11]
.LBB917_122:                            ;   in Loop: Header=BB917_15 Depth=1
	s_or_b64 exec, exec, s[6:7]
.LBB917_123:                            ;   in Loop: Header=BB917_15 Depth=1
	s_or_b64 exec, exec, s[4:5]
	v_lshrrev_b32_e32 v34, 16, v32
	v_cmp_ne_u16_sdwa s[6:7], v34, v31 src0_sel:BYTE_0 src1_sel:DWORD
	s_and_saveexec_b64 s[4:5], s[6:7]
	s_cbranch_execz .LBB917_129
; %bb.124:                              ;   in Loop: Header=BB917_15 Depth=1
	v_cmp_ne_u16_sdwa s[10:11], v34, s16 src0_sel:BYTE_0 src1_sel:DWORD
	v_mov_b32_e32 v36, 0xffff8000
	s_and_saveexec_b64 s[6:7], s[10:11]
	s_cbranch_execz .LBB917_128
; %bb.125:                              ;   in Loop: Header=BB917_15 Depth=1
	v_bfe_u32 v37, v32, 16, 7
	v_cmp_ne_u32_e32 vcc, s13, v37
	v_mov_b32_e32 v36, 0x7f80
	s_and_saveexec_b64 s[10:11], vcc
	s_cbranch_execz .LBB917_127
; %bb.126:                              ;   in Loop: Header=BB917_15 Depth=1
	v_and_b32_e32 v36, 7, v34
	v_ffbh_u32_e32 v38, v36
	v_min_u32_e32 v41, 32, v38
	v_subrev_u32_e32 v38, 28, v41
	v_lshlrev_b64 v[38:39], v38, v[34:35]
	v_lshrrev_b32_e32 v40, 3, v37
	v_sub_u32_e32 v39, 29, v41
	v_and_b32_e32 v38, 7, v38
	v_cmp_gt_u32_e32 vcc, 8, v37
	v_cndmask_b32_e32 v37, v40, v39, vcc
	v_cndmask_b32_e32 v36, v36, v38, vcc
	v_lshlrev_b32_e32 v34, 24, v34
	v_lshlrev_b32_e32 v36, 20, v36
	v_and_b32_e32 v34, 0x80000000, v34
	v_lshl_add_u32 v37, v37, 23, v33
	v_or3_b32 v34, v34, v37, v36
	v_lshrrev_b32_e32 v36, 16, v34
.LBB917_127:                            ;   in Loop: Header=BB917_15 Depth=1
	s_or_b64 exec, exec, s[10:11]
.LBB917_128:                            ;   in Loop: Header=BB917_15 Depth=1
	s_or_b64 exec, exec, s[6:7]
.LBB917_129:                            ;   in Loop: Header=BB917_15 Depth=1
	s_or_b64 exec, exec, s[4:5]
	v_cmp_lt_u32_e32 vcc, s14, v32
	v_mov_b32_e32 v37, 0
	v_mov_b32_e32 v38, 0
	s_and_saveexec_b64 s[4:5], vcc
	s_cbranch_execz .LBB917_135
; %bb.130:                              ;   in Loop: Header=BB917_15 Depth=1
	v_lshrrev_b32_e32 v34, 24, v32
	v_cmp_ne_u32_e32 vcc, s16, v34
	v_mov_b32_e32 v38, 0xffff8000
	s_and_saveexec_b64 s[6:7], vcc
	s_cbranch_execz .LBB917_134
; %bb.131:                              ;   in Loop: Header=BB917_15 Depth=1
	v_bfe_u32 v32, v32, 24, 7
	v_cmp_ne_u32_e32 vcc, s13, v32
	v_mov_b32_e32 v38, 0x7f80
	s_and_saveexec_b64 s[10:11], vcc
	s_cbranch_execz .LBB917_133
; %bb.132:                              ;   in Loop: Header=BB917_15 Depth=1
	v_and_b32_e32 v40, 7, v34
	v_ffbh_u32_e32 v38, v40
	v_min_u32_e32 v42, 32, v38
	v_subrev_u32_e32 v38, 28, v42
	v_lshlrev_b64 v[38:39], v38, v[34:35]
	v_lshrrev_b32_e32 v41, 3, v32
	v_sub_u32_e32 v39, 29, v42
	v_and_b32_e32 v38, 7, v38
	v_cmp_gt_u32_e32 vcc, 8, v32
	v_cndmask_b32_e32 v32, v41, v39, vcc
	v_cndmask_b32_e32 v38, v40, v38, vcc
	v_lshlrev_b32_e32 v34, 24, v34
	v_lshlrev_b32_e32 v38, 20, v38
	v_and_b32_e32 v34, 0x80000000, v34
	v_lshl_add_u32 v32, v32, 23, v33
	v_or3_b32 v32, v34, v32, v38
	v_lshrrev_b32_e32 v38, 16, v32
.LBB917_133:                            ;   in Loop: Header=BB917_15 Depth=1
	s_or_b64 exec, exec, s[10:11]
.LBB917_134:                            ;   in Loop: Header=BB917_15 Depth=1
	s_or_b64 exec, exec, s[6:7]
.LBB917_135:                            ;   in Loop: Header=BB917_15 Depth=1
	s_or_b64 exec, exec, s[4:5]
	s_waitcnt vmcnt(2)
	v_cmp_ne_u16_sdwa s[6:7], v30, v31 src0_sel:BYTE_0 src1_sel:DWORD
	s_and_saveexec_b64 s[4:5], s[6:7]
	s_cbranch_execz .LBB917_141
; %bb.136:                              ;   in Loop: Header=BB917_15 Depth=1
	v_cmp_ne_u16_sdwa s[10:11], v30, s16 src0_sel:BYTE_0 src1_sel:DWORD
	v_mov_b32_e32 v37, 0xffff8000
	s_and_saveexec_b64 s[6:7], s[10:11]
	s_cbranch_execz .LBB917_140
; %bb.137:                              ;   in Loop: Header=BB917_15 Depth=1
	v_and_b32_e32 v32, 0x7f, v30
	v_cmp_ne_u32_e32 vcc, s13, v32
	v_mov_b32_e32 v37, 0x7f80
	s_and_saveexec_b64 s[10:11], vcc
	s_cbranch_execz .LBB917_139
; %bb.138:                              ;   in Loop: Header=BB917_15 Depth=1
	v_and_b32_e32 v34, 7, v30
	v_ffbh_u32_e32 v39, v34
	v_min_u32_e32 v39, 32, v39
	v_subrev_u32_e32 v40, 28, v39
	v_lshlrev_b64 v[40:41], v40, v[30:31]
	v_lshrrev_b32_e32 v37, 3, v32
	v_sub_u32_e32 v39, 29, v39
	v_and_b32_e32 v40, 7, v40
	v_cmp_gt_u32_e32 vcc, 8, v32
	v_cndmask_b32_e32 v32, v37, v39, vcc
	v_cndmask_b32_e32 v34, v34, v40, vcc
	v_lshlrev_b32_e32 v37, 24, v30
	v_lshlrev_b32_e32 v34, 20, v34
	v_and_b32_e32 v37, 0x80000000, v37
	v_lshl_add_u32 v32, v32, 23, v33
	v_or3_b32 v32, v37, v32, v34
	v_lshrrev_b32_e32 v37, 16, v32
.LBB917_139:                            ;   in Loop: Header=BB917_15 Depth=1
	s_or_b64 exec, exec, s[10:11]
.LBB917_140:                            ;   in Loop: Header=BB917_15 Depth=1
	s_or_b64 exec, exec, s[6:7]
.LBB917_141:                            ;   in Loop: Header=BB917_15 Depth=1
	s_or_b64 exec, exec, s[4:5]
	v_lshrrev_b16_e32 v32, 8, v30
	v_cmp_ne_u16_e32 vcc, 0, v32
	v_mov_b32_e32 v40, 0
	v_mov_b32_e32 v39, 0
	s_and_saveexec_b64 s[4:5], vcc
	s_cbranch_execz .LBB917_147
; %bb.142:                              ;   in Loop: Header=BB917_15 Depth=1
	v_cmp_ne_u16_e32 vcc, s16, v32
	v_mov_b32_e32 v39, 0xffff8000
	s_and_saveexec_b64 s[6:7], vcc
	s_cbranch_execz .LBB917_146
; %bb.143:                              ;   in Loop: Header=BB917_15 Depth=1
	v_and_b32_e32 v34, 0x7f, v32
	v_cmp_ne_u32_e32 vcc, s13, v34
	v_mov_b32_e32 v39, 0x7f80
	s_and_saveexec_b64 s[10:11], vcc
	s_cbranch_execz .LBB917_145
; %bb.144:                              ;   in Loop: Header=BB917_15 Depth=1
	v_and_b32_e32 v39, 7, v32
	v_ffbh_u32_e32 v42, v39
	v_min_u32_e32 v44, 32, v42
	v_subrev_u32_e32 v42, 28, v44
	v_lshlrev_b64 v[42:43], v42, v[32:33]
	v_lshrrev_b32_e32 v41, 3, v34
	v_sub_u32_e32 v32, 29, v44
	v_and_b32_e32 v42, 7, v42
	v_cmp_gt_u32_e32 vcc, 8, v34
	v_cndmask_b32_e32 v32, v41, v32, vcc
	v_cndmask_b32_e32 v34, v39, v42, vcc
	v_lshlrev_b32_e32 v39, 16, v30
	v_lshlrev_b32_e32 v34, 20, v34
	v_and_b32_e32 v39, 0x80000000, v39
	v_lshl_add_u32 v32, v32, 23, v33
	v_or3_b32 v32, v39, v32, v34
	v_lshrrev_b32_e32 v39, 16, v32
.LBB917_145:                            ;   in Loop: Header=BB917_15 Depth=1
	s_or_b64 exec, exec, s[10:11]
.LBB917_146:                            ;   in Loop: Header=BB917_15 Depth=1
	s_or_b64 exec, exec, s[6:7]
.LBB917_147:                            ;   in Loop: Header=BB917_15 Depth=1
	s_or_b64 exec, exec, s[4:5]
	v_lshrrev_b32_e32 v32, 16, v30
	v_cmp_ne_u16_sdwa s[6:7], v32, v31 src0_sel:BYTE_0 src1_sel:DWORD
	s_and_saveexec_b64 s[4:5], s[6:7]
	s_cbranch_execz .LBB917_153
; %bb.148:                              ;   in Loop: Header=BB917_15 Depth=1
	v_cmp_ne_u16_sdwa s[10:11], v32, s16 src0_sel:BYTE_0 src1_sel:DWORD
	v_mov_b32_e32 v40, 0xffff8000
	s_and_saveexec_b64 s[6:7], s[10:11]
	s_cbranch_execz .LBB917_152
; %bb.149:                              ;   in Loop: Header=BB917_15 Depth=1
	v_bfe_u32 v34, v30, 16, 7
	v_cmp_ne_u32_e32 vcc, s13, v34
	v_mov_b32_e32 v40, 0x7f80
	s_and_saveexec_b64 s[10:11], vcc
	s_cbranch_execz .LBB917_151
; %bb.150:                              ;   in Loop: Header=BB917_15 Depth=1
	v_and_b32_e32 v42, 7, v32
	v_ffbh_u32_e32 v40, v42
	v_min_u32_e32 v44, 32, v40
	v_subrev_u32_e32 v40, 28, v44
	v_lshlrev_b64 v[40:41], v40, v[32:33]
	v_lshrrev_b32_e32 v43, 3, v34
	v_sub_u32_e32 v41, 29, v44
	v_and_b32_e32 v40, 7, v40
	v_cmp_gt_u32_e32 vcc, 8, v34
	v_cndmask_b32_e32 v34, v43, v41, vcc
	v_cndmask_b32_e32 v40, v42, v40, vcc
	v_lshlrev_b32_e32 v32, 24, v32
	v_lshlrev_b32_e32 v40, 20, v40
	v_and_b32_e32 v32, 0x80000000, v32
	v_lshl_add_u32 v34, v34, 23, v33
	v_or3_b32 v32, v32, v34, v40
	v_lshrrev_b32_e32 v40, 16, v32
.LBB917_151:                            ;   in Loop: Header=BB917_15 Depth=1
	s_or_b64 exec, exec, s[10:11]
.LBB917_152:                            ;   in Loop: Header=BB917_15 Depth=1
	s_or_b64 exec, exec, s[6:7]
.LBB917_153:                            ;   in Loop: Header=BB917_15 Depth=1
	s_or_b64 exec, exec, s[4:5]
	v_cmp_lt_u32_e32 vcc, s14, v30
	v_mov_b32_e32 v34, 0
	v_mov_b32_e32 v41, 0
	s_and_saveexec_b64 s[4:5], vcc
	s_cbranch_execz .LBB917_159
; %bb.154:                              ;   in Loop: Header=BB917_15 Depth=1
	v_lshrrev_b32_e32 v32, 24, v30
	v_cmp_ne_u32_e32 vcc, s16, v32
	v_mov_b32_e32 v41, 0xffff8000
	s_and_saveexec_b64 s[6:7], vcc
	s_cbranch_execz .LBB917_158
; %bb.155:                              ;   in Loop: Header=BB917_15 Depth=1
	v_bfe_u32 v30, v30, 24, 7
	v_cmp_ne_u32_e32 vcc, s13, v30
	v_mov_b32_e32 v41, 0x7f80
	s_and_saveexec_b64 s[10:11], vcc
	s_cbranch_execz .LBB917_157
; %bb.156:                              ;   in Loop: Header=BB917_15 Depth=1
	v_and_b32_e32 v41, 7, v32
	v_ffbh_u32_e32 v42, v41
	v_min_u32_e32 v45, 32, v42
	v_subrev_u32_e32 v42, 28, v45
	v_lshlrev_b64 v[42:43], v42, v[32:33]
	v_lshrrev_b32_e32 v44, 3, v30
	v_sub_u32_e32 v43, 29, v45
	v_and_b32_e32 v42, 7, v42
	v_cmp_gt_u32_e32 vcc, 8, v30
	v_cndmask_b32_e32 v30, v44, v43, vcc
	v_cndmask_b32_e32 v41, v41, v42, vcc
	v_lshlrev_b32_e32 v32, 24, v32
	v_lshlrev_b32_e32 v41, 20, v41
	v_and_b32_e32 v32, 0x80000000, v32
	v_lshl_add_u32 v30, v30, 23, v33
	v_or3_b32 v30, v32, v30, v41
	v_lshrrev_b32_e32 v41, 16, v30
.LBB917_157:                            ;   in Loop: Header=BB917_15 Depth=1
	s_or_b64 exec, exec, s[10:11]
.LBB917_158:                            ;   in Loop: Header=BB917_15 Depth=1
	s_or_b64 exec, exec, s[6:7]
.LBB917_159:                            ;   in Loop: Header=BB917_15 Depth=1
	s_or_b64 exec, exec, s[4:5]
	v_perm_b32 v43, v38, v36, s15
	v_perm_b32 v42, v35, v23, s15
	;; [unrolled: 1-line block ×4, first 2 shown]
	s_waitcnt vmcnt(1)
	v_cmp_ne_u16_sdwa s[6:7], v28, v31 src0_sel:BYTE_0 src1_sel:DWORD
	v_mfma_f32_16x16x16bf16_1k v[18:21], v[42:43], v[10:11], v[18:21]
	v_mfma_f32_16x16x16bf16_1k v[18:21], v[40:41], v[12:13], v[18:21]
	s_and_saveexec_b64 s[4:5], s[6:7]
	s_cbranch_execz .LBB917_165
; %bb.160:                              ;   in Loop: Header=BB917_15 Depth=1
	v_cmp_ne_u16_sdwa s[10:11], v28, s16 src0_sel:BYTE_0 src1_sel:DWORD
	v_mov_b32_e32 v34, 0xffff8000
	s_and_saveexec_b64 s[6:7], s[10:11]
	s_cbranch_execz .LBB917_164
; %bb.161:                              ;   in Loop: Header=BB917_15 Depth=1
	v_and_b32_e32 v23, 0x7f, v28
	v_cmp_ne_u32_e32 vcc, s13, v23
	v_mov_b32_e32 v34, 0x7f80
	s_and_saveexec_b64 s[10:11], vcc
	s_cbranch_execz .LBB917_163
; %bb.162:                              ;   in Loop: Header=BB917_15 Depth=1
	v_and_b32_e32 v30, 7, v28
	v_ffbh_u32_e32 v34, v30
	v_min_u32_e32 v36, 32, v34
	v_subrev_u32_e32 v34, 28, v36
	v_lshlrev_b64 v[34:35], v34, v[28:29]
	v_lshrrev_b32_e32 v32, 3, v23
	v_sub_u32_e32 v35, 29, v36
	v_and_b32_e32 v34, 7, v34
	v_cmp_gt_u32_e32 vcc, 8, v23
	v_cndmask_b32_e32 v23, v32, v35, vcc
	v_cndmask_b32_e32 v30, v30, v34, vcc
	v_lshlrev_b32_e32 v32, 24, v28
	v_lshlrev_b32_e32 v30, 20, v30
	v_and_b32_e32 v32, 0x80000000, v32
	v_lshl_add_u32 v23, v23, 23, v33
	v_or3_b32 v23, v32, v23, v30
	v_lshrrev_b32_e32 v34, 16, v23
.LBB917_163:                            ;   in Loop: Header=BB917_15 Depth=1
	s_or_b64 exec, exec, s[10:11]
.LBB917_164:                            ;   in Loop: Header=BB917_15 Depth=1
	s_or_b64 exec, exec, s[6:7]
.LBB917_165:                            ;   in Loop: Header=BB917_15 Depth=1
	s_or_b64 exec, exec, s[4:5]
	v_lshrrev_b16_e32 v30, 8, v28
	v_cmp_ne_u16_e32 vcc, 0, v30
	v_mov_b32_e32 v32, 0
	v_mov_b32_e32 v23, 0
	s_and_saveexec_b64 s[4:5], vcc
	s_cbranch_execz .LBB917_171
; %bb.166:                              ;   in Loop: Header=BB917_15 Depth=1
	v_cmp_ne_u16_e32 vcc, s16, v30
	v_mov_b32_e32 v23, 0xffff8000
	s_and_saveexec_b64 s[6:7], vcc
	s_cbranch_execz .LBB917_170
; %bb.167:                              ;   in Loop: Header=BB917_15 Depth=1
	v_and_b32_e32 v35, 0x7f, v30
	v_cmp_ne_u32_e32 vcc, s13, v35
	v_mov_b32_e32 v23, 0x7f80
	s_and_saveexec_b64 s[10:11], vcc
	s_cbranch_execz .LBB917_169
; %bb.168:                              ;   in Loop: Header=BB917_15 Depth=1
	v_and_b32_e32 v23, 7, v30
	v_ffbh_u32_e32 v36, v23
	v_min_u32_e32 v39, 32, v36
	v_subrev_u32_e32 v36, 28, v39
	v_lshlrev_b64 v[36:37], v36, v[30:31]
	v_lshrrev_b32_e32 v38, 3, v35
	v_sub_u32_e32 v30, 29, v39
	v_and_b32_e32 v36, 7, v36
	v_cmp_gt_u32_e32 vcc, 8, v35
	v_cndmask_b32_e32 v30, v38, v30, vcc
	v_cndmask_b32_e32 v23, v23, v36, vcc
	v_lshlrev_b32_e32 v35, 16, v28
	v_lshlrev_b32_e32 v23, 20, v23
	v_and_b32_e32 v35, 0x80000000, v35
	v_lshl_add_u32 v30, v30, 23, v33
	v_or3_b32 v23, v35, v30, v23
	v_lshrrev_b32_e32 v23, 16, v23
.LBB917_169:                            ;   in Loop: Header=BB917_15 Depth=1
	s_or_b64 exec, exec, s[10:11]
.LBB917_170:                            ;   in Loop: Header=BB917_15 Depth=1
	s_or_b64 exec, exec, s[6:7]
.LBB917_171:                            ;   in Loop: Header=BB917_15 Depth=1
	s_or_b64 exec, exec, s[4:5]
	v_lshrrev_b32_e32 v30, 16, v28
	v_cmp_ne_u16_sdwa s[6:7], v30, v31 src0_sel:BYTE_0 src1_sel:DWORD
	s_and_saveexec_b64 s[4:5], s[6:7]
	s_cbranch_execz .LBB917_177
; %bb.172:                              ;   in Loop: Header=BB917_15 Depth=1
	v_cmp_ne_u16_sdwa s[10:11], v30, s16 src0_sel:BYTE_0 src1_sel:DWORD
	v_mov_b32_e32 v32, 0xffff8000
	s_and_saveexec_b64 s[6:7], s[10:11]
	s_cbranch_execz .LBB917_176
; %bb.173:                              ;   in Loop: Header=BB917_15 Depth=1
	v_bfe_u32 v35, v28, 16, 7
	v_cmp_ne_u32_e32 vcc, s13, v35
	v_mov_b32_e32 v32, 0x7f80
	s_and_saveexec_b64 s[10:11], vcc
	s_cbranch_execz .LBB917_175
; %bb.174:                              ;   in Loop: Header=BB917_15 Depth=1
	v_and_b32_e32 v32, 7, v30
	v_ffbh_u32_e32 v36, v32
	v_min_u32_e32 v39, 32, v36
	v_subrev_u32_e32 v36, 28, v39
	v_lshlrev_b64 v[36:37], v36, v[30:31]
	v_lshrrev_b32_e32 v38, 3, v35
	v_sub_u32_e32 v37, 29, v39
	v_and_b32_e32 v36, 7, v36
	v_cmp_gt_u32_e32 vcc, 8, v35
	v_cndmask_b32_e32 v35, v38, v37, vcc
	v_cndmask_b32_e32 v32, v32, v36, vcc
	v_lshlrev_b32_e32 v30, 24, v30
	v_lshlrev_b32_e32 v32, 20, v32
	v_and_b32_e32 v30, 0x80000000, v30
	v_lshl_add_u32 v35, v35, 23, v33
	v_or3_b32 v30, v30, v35, v32
	v_lshrrev_b32_e32 v32, 16, v30
.LBB917_175:                            ;   in Loop: Header=BB917_15 Depth=1
	s_or_b64 exec, exec, s[10:11]
.LBB917_176:                            ;   in Loop: Header=BB917_15 Depth=1
	s_or_b64 exec, exec, s[6:7]
.LBB917_177:                            ;   in Loop: Header=BB917_15 Depth=1
	s_or_b64 exec, exec, s[4:5]
	v_cmp_lt_u32_e32 vcc, s14, v28
	v_mov_b32_e32 v35, 0
	v_mov_b32_e32 v36, 0
	s_and_saveexec_b64 s[4:5], vcc
	s_cbranch_execz .LBB917_183
; %bb.178:                              ;   in Loop: Header=BB917_15 Depth=1
	v_lshrrev_b32_e32 v30, 24, v28
	v_cmp_ne_u32_e32 vcc, s16, v30
	v_mov_b32_e32 v36, 0xffff8000
	s_and_saveexec_b64 s[6:7], vcc
	s_cbranch_execz .LBB917_182
; %bb.179:                              ;   in Loop: Header=BB917_15 Depth=1
	v_bfe_u32 v28, v28, 24, 7
	v_cmp_ne_u32_e32 vcc, s13, v28
	v_mov_b32_e32 v36, 0x7f80
	s_and_saveexec_b64 s[10:11], vcc
	s_cbranch_execz .LBB917_181
; %bb.180:                              ;   in Loop: Header=BB917_15 Depth=1
	v_and_b32_e32 v38, 7, v30
	v_ffbh_u32_e32 v36, v38
	v_min_u32_e32 v40, 32, v36
	v_subrev_u32_e32 v36, 28, v40
	v_lshlrev_b64 v[36:37], v36, v[30:31]
	v_lshrrev_b32_e32 v39, 3, v28
	v_sub_u32_e32 v37, 29, v40
	v_and_b32_e32 v36, 7, v36
	v_cmp_gt_u32_e32 vcc, 8, v28
	v_cndmask_b32_e32 v28, v39, v37, vcc
	v_cndmask_b32_e32 v36, v38, v36, vcc
	v_lshlrev_b32_e32 v30, 24, v30
	v_lshlrev_b32_e32 v36, 20, v36
	v_and_b32_e32 v30, 0x80000000, v30
	v_lshl_add_u32 v28, v28, 23, v33
	v_or3_b32 v28, v30, v28, v36
	v_lshrrev_b32_e32 v36, 16, v28
.LBB917_181:                            ;   in Loop: Header=BB917_15 Depth=1
	s_or_b64 exec, exec, s[10:11]
.LBB917_182:                            ;   in Loop: Header=BB917_15 Depth=1
	s_or_b64 exec, exec, s[6:7]
.LBB917_183:                            ;   in Loop: Header=BB917_15 Depth=1
	s_or_b64 exec, exec, s[4:5]
	s_waitcnt vmcnt(0)
	v_cmp_ne_u16_sdwa s[6:7], v26, v31 src0_sel:BYTE_0 src1_sel:DWORD
	s_and_saveexec_b64 s[4:5], s[6:7]
	s_cbranch_execz .LBB917_189
; %bb.184:                              ;   in Loop: Header=BB917_15 Depth=1
	v_cmp_ne_u16_sdwa s[10:11], v26, s16 src0_sel:BYTE_0 src1_sel:DWORD
	v_mov_b32_e32 v35, 0xffff8000
	s_and_saveexec_b64 s[6:7], s[10:11]
	s_cbranch_execz .LBB917_188
; %bb.185:                              ;   in Loop: Header=BB917_15 Depth=1
	v_and_b32_e32 v28, 0x7f, v26
	v_cmp_ne_u32_e32 vcc, s13, v28
	v_mov_b32_e32 v35, 0x7f80
	s_and_saveexec_b64 s[10:11], vcc
	s_cbranch_execz .LBB917_187
; %bb.186:                              ;   in Loop: Header=BB917_15 Depth=1
	v_and_b32_e32 v30, 7, v26
	v_ffbh_u32_e32 v37, v30
	v_min_u32_e32 v37, 32, v37
	v_subrev_u32_e32 v38, 28, v37
	v_lshlrev_b64 v[38:39], v38, v[26:27]
	v_lshrrev_b32_e32 v35, 3, v28
	v_sub_u32_e32 v37, 29, v37
	v_and_b32_e32 v38, 7, v38
	v_cmp_gt_u32_e32 vcc, 8, v28
	v_cndmask_b32_e32 v28, v35, v37, vcc
	v_cndmask_b32_e32 v30, v30, v38, vcc
	v_lshlrev_b32_e32 v35, 24, v26
	v_lshlrev_b32_e32 v30, 20, v30
	v_and_b32_e32 v35, 0x80000000, v35
	v_lshl_add_u32 v28, v28, 23, v33
	v_or3_b32 v28, v35, v28, v30
	v_lshrrev_b32_e32 v35, 16, v28
.LBB917_187:                            ;   in Loop: Header=BB917_15 Depth=1
	s_or_b64 exec, exec, s[10:11]
.LBB917_188:                            ;   in Loop: Header=BB917_15 Depth=1
	s_or_b64 exec, exec, s[6:7]
.LBB917_189:                            ;   in Loop: Header=BB917_15 Depth=1
	s_or_b64 exec, exec, s[4:5]
	v_lshrrev_b16_e32 v28, 8, v26
	v_cmp_ne_u16_e32 vcc, 0, v28
	v_mov_b32_e32 v37, 0
	v_mov_b32_e32 v30, 0
	s_and_saveexec_b64 s[4:5], vcc
	s_cbranch_execz .LBB917_195
; %bb.190:                              ;   in Loop: Header=BB917_15 Depth=1
	v_cmp_ne_u16_e32 vcc, s16, v28
	v_mov_b32_e32 v30, 0xffff8000
	s_and_saveexec_b64 s[6:7], vcc
	s_cbranch_execz .LBB917_194
; %bb.191:                              ;   in Loop: Header=BB917_15 Depth=1
	v_and_b32_e32 v38, 0x7f, v28
	v_cmp_ne_u32_e32 vcc, s13, v38
	v_mov_b32_e32 v30, 0x7f80
	s_and_saveexec_b64 s[10:11], vcc
	s_cbranch_execz .LBB917_193
; %bb.192:                              ;   in Loop: Header=BB917_15 Depth=1
	v_and_b32_e32 v30, 7, v28
	v_ffbh_u32_e32 v40, v30
	v_min_u32_e32 v42, 32, v40
	v_subrev_u32_e32 v40, 28, v42
	v_lshlrev_b64 v[40:41], v40, v[28:29]
	v_lshrrev_b32_e32 v39, 3, v38
	v_sub_u32_e32 v28, 29, v42
	v_and_b32_e32 v40, 7, v40
	v_cmp_gt_u32_e32 vcc, 8, v38
	v_cndmask_b32_e32 v28, v39, v28, vcc
	v_cndmask_b32_e32 v30, v30, v40, vcc
	v_lshlrev_b32_e32 v38, 16, v26
	v_lshlrev_b32_e32 v30, 20, v30
	v_and_b32_e32 v38, 0x80000000, v38
	v_lshl_add_u32 v28, v28, 23, v33
	v_or3_b32 v28, v38, v28, v30
	v_lshrrev_b32_e32 v30, 16, v28
.LBB917_193:                            ;   in Loop: Header=BB917_15 Depth=1
	s_or_b64 exec, exec, s[10:11]
.LBB917_194:                            ;   in Loop: Header=BB917_15 Depth=1
	s_or_b64 exec, exec, s[6:7]
.LBB917_195:                            ;   in Loop: Header=BB917_15 Depth=1
	s_or_b64 exec, exec, s[4:5]
	v_lshrrev_b32_e32 v28, 16, v26
	v_cmp_ne_u16_sdwa s[6:7], v28, v31 src0_sel:BYTE_0 src1_sel:DWORD
	s_and_saveexec_b64 s[4:5], s[6:7]
	s_cbranch_execz .LBB917_201
; %bb.196:                              ;   in Loop: Header=BB917_15 Depth=1
	v_cmp_ne_u16_sdwa s[10:11], v28, s16 src0_sel:BYTE_0 src1_sel:DWORD
	v_mov_b32_e32 v37, 0xffff8000
	s_and_saveexec_b64 s[6:7], s[10:11]
	s_cbranch_execz .LBB917_200
; %bb.197:                              ;   in Loop: Header=BB917_15 Depth=1
	v_bfe_u32 v38, v26, 16, 7
	v_cmp_ne_u32_e32 vcc, s13, v38
	v_mov_b32_e32 v37, 0x7f80
	s_and_saveexec_b64 s[10:11], vcc
	s_cbranch_execz .LBB917_199
; %bb.198:                              ;   in Loop: Header=BB917_15 Depth=1
	v_and_b32_e32 v37, 7, v28
	v_ffbh_u32_e32 v40, v37
	v_min_u32_e32 v42, 32, v40
	v_subrev_u32_e32 v40, 28, v42
	v_lshlrev_b64 v[40:41], v40, v[28:29]
	v_lshrrev_b32_e32 v39, 3, v38
	v_sub_u32_e32 v41, 29, v42
	v_and_b32_e32 v40, 7, v40
	v_cmp_gt_u32_e32 vcc, 8, v38
	v_cndmask_b32_e32 v38, v39, v41, vcc
	v_cndmask_b32_e32 v37, v37, v40, vcc
	v_lshlrev_b32_e32 v28, 24, v28
	v_lshlrev_b32_e32 v37, 20, v37
	v_and_b32_e32 v28, 0x80000000, v28
	v_lshl_add_u32 v38, v38, 23, v33
	v_or3_b32 v28, v28, v38, v37
	v_lshrrev_b32_e32 v37, 16, v28
.LBB917_199:                            ;   in Loop: Header=BB917_15 Depth=1
	s_or_b64 exec, exec, s[10:11]
.LBB917_200:                            ;   in Loop: Header=BB917_15 Depth=1
	s_or_b64 exec, exec, s[6:7]
.LBB917_201:                            ;   in Loop: Header=BB917_15 Depth=1
	s_or_b64 exec, exec, s[4:5]
	v_cmp_lt_u32_e32 vcc, s14, v26
	v_mov_b32_e32 v38, 0
	s_and_saveexec_b64 s[4:5], vcc
	s_cbranch_execz .LBB917_14
; %bb.202:                              ;   in Loop: Header=BB917_15 Depth=1
	v_lshrrev_b32_e32 v28, 24, v26
	v_cmp_ne_u32_e32 vcc, s16, v28
	v_mov_b32_e32 v38, 0xffff8000
	s_and_saveexec_b64 s[6:7], vcc
	s_cbranch_execz .LBB917_13
; %bb.203:                              ;   in Loop: Header=BB917_15 Depth=1
	v_bfe_u32 v26, v26, 24, 7
	v_cmp_ne_u32_e32 vcc, s13, v26
	v_mov_b32_e32 v38, 0x7f80
	s_and_saveexec_b64 s[10:11], vcc
	s_cbranch_execz .LBB917_12
; %bb.204:                              ;   in Loop: Header=BB917_15 Depth=1
	v_and_b32_e32 v40, 7, v28
	v_ffbh_u32_e32 v38, v40
	v_min_u32_e32 v42, 32, v38
	v_subrev_u32_e32 v38, 28, v42
	v_lshlrev_b64 v[38:39], v38, v[28:29]
	v_lshrrev_b32_e32 v41, 3, v26
	v_sub_u32_e32 v39, 29, v42
	v_and_b32_e32 v38, 7, v38
	v_cmp_gt_u32_e32 vcc, 8, v26
	v_cndmask_b32_e32 v26, v41, v39, vcc
	v_cndmask_b32_e32 v38, v40, v38, vcc
	v_lshlrev_b32_e32 v28, 24, v28
	v_lshlrev_b32_e32 v38, 20, v38
	v_and_b32_e32 v28, 0x80000000, v28
	v_lshl_add_u32 v26, v26, 23, v33
	v_or3_b32 v26, v28, v26, v38
	v_lshrrev_b32_e32 v38, 16, v26
	s_branch .LBB917_12
.LBB917_205:
	buffer_load_dword v13, off, s[0:3], 0 offset:256
	buffer_load_dword v14, off, s[0:3], 0 offset:260
	;; [unrolled: 1-line block ×16, first 2 shown]
	v_and_b32_e32 v12, 0xc0, v0
	v_add_u32_e32 v12, s20, v12
	v_lshl_or_b32 v12, v1, 2, v12
	v_or_b32_e32 v23, 1, v12
	v_mov_b32_e32 v19, 0xff7fffff
	v_or_b32_e32 v24, 2, v12
	v_or_b32_e32 v25, 3, v12
	v_cmp_gt_i32_e64 s[26:27], s33, v12
	v_cmp_gt_i32_e64 s[28:29], s33, v23
	s_mov_b32 s52, 0xff7fffff
	v_or_b32_e32 v26, 16, v12
	v_or_b32_e32 v27, 17, v12
	;; [unrolled: 1-line block ×12, first 2 shown]
	v_cmp_gt_i32_e64 s[30:31], s33, v24
	v_cmp_gt_i32_e64 s[34:35], s33, v25
	v_mbcnt_lo_u32_b32 v20, -1, 0
	v_cmp_gt_i32_e64 s[36:37], s33, v26
	v_cmp_gt_i32_e64 s[38:39], s33, v27
	v_mbcnt_hi_u32_b32 v20, -1, v20
	v_cmp_gt_i32_e64 s[20:21], s33, v28
	v_cmp_gt_i32_e64 s[22:23], s33, v29
	v_and_b32_e32 v21, 64, v20
	v_cmp_gt_i32_e64 s[16:17], s33, v30
	v_cmp_gt_i32_e64 s[18:19], s33, v31
	v_xor_b32_e32 v22, 32, v20
	v_add_u32_e32 v21, 64, v21
	v_cmp_gt_i32_e64 s[12:13], s33, v32
	v_cmp_gt_i32_e64 s[14:15], s33, v33
	v_cmp_lt_i32_e32 vcc, v22, v21
	v_cmp_gt_i32_e64 s[6:7], s33, v34
	v_cmp_gt_i32_e64 s[10:11], s33, v35
	v_cndmask_b32_e32 v22, v20, v22, vcc
	v_cmp_gt_i32_e32 vcc, s33, v36
	v_cmp_gt_i32_e64 s[4:5], s33, v37
	v_lshlrev_b32_e32 v22, 2, v22
	s_waitcnt vmcnt(15)
	v_cndmask_b32_e64 v12, v19, v13, s[26:27]
	s_waitcnt vmcnt(14)
	v_cndmask_b32_e64 v23, v19, v14, s[28:29]
	;; [unrolled: 2-line block ×4, first 2 shown]
	v_max3_f32 v12, v12, s52, v23
	s_waitcnt vmcnt(11)
	v_cndmask_b32_e64 v26, v19, v17, s[36:37]
	s_waitcnt vmcnt(10)
	v_cndmask_b32_e64 v27, v19, v18, s[38:39]
	v_max3_f32 v12, v12, v24, v25
	s_waitcnt vmcnt(9)
	v_cndmask_b32_e64 v28, v19, v11, s[20:21]
	s_waitcnt vmcnt(8)
	v_cndmask_b32_e64 v29, v19, v10, s[22:23]
	;; [unrolled: 5-line block ×5, first 2 shown]
	v_max3_f32 v12, v12, v32, v33
	s_waitcnt vmcnt(1)
	v_cndmask_b32_e32 v36, v19, v3, vcc
	s_waitcnt vmcnt(0)
	v_cndmask_b32_e64 v19, v19, v2, s[4:5]
	v_max3_f32 v12, v12, v34, v35
	v_max3_f32 v12, v12, v36, v19
	ds_bpermute_b32 v19, v22, v12
	v_xor_b32_e32 v23, 16, v20
	v_cmp_lt_i32_e64 s[40:41], v23, v21
	v_cndmask_b32_e64 v20, v20, v23, s[40:41]
	v_lshlrev_b32_e32 v20, 2, v20
	s_waitcnt lgkmcnt(0)
	v_max_f32_e32 v19, v19, v19
	v_max_f32_e32 v12, v12, v19
	ds_bpermute_b32 v19, v20, v12
	s_waitcnt lgkmcnt(0)
	v_max_f32_e32 v19, v19, v19
	v_max_f32_e32 v12, v12, v19
	v_sub_f32_e32 v13, v13, v12
	v_sub_f32_e32 v14, v14, v12
	;; [unrolled: 1-line block ×3, first 2 shown]
	v_mul_f32_e32 v13, 0x3fb8aa3b, v13
	v_mul_f32_e32 v14, 0x3fb8aa3b, v14
	;; [unrolled: 1-line block ×3, first 2 shown]
	v_exp_f32_e32 v13, v13
	v_exp_f32_e32 v14, v14
	;; [unrolled: 1-line block ×3, first 2 shown]
	v_sub_f32_e32 v16, v16, v12
	v_cndmask_b32_e64 v13, 0, v13, s[26:27]
	v_mul_f32_e32 v16, 0x3fb8aa3b, v16
	v_cndmask_b32_e64 v14, 0, v14, s[28:29]
	v_cndmask_b32_e64 v15, 0, v15, s[30:31]
	v_add_f32_e32 v19, 0, v13
	buffer_store_dword v13, off, s[0:3], 0 offset:256
	buffer_store_dword v14, off, s[0:3], 0 offset:260
	;; [unrolled: 1-line block ×3, first 2 shown]
	v_sub_f32_e32 v13, v17, v12
	v_exp_f32_e32 v16, v16
	v_add_f32_e32 v19, v19, v14
	v_mul_f32_e32 v13, 0x3fb8aa3b, v13
	v_sub_f32_e32 v14, v18, v12
	v_exp_f32_e32 v13, v13
	v_mul_f32_e32 v14, 0x3fb8aa3b, v14
	v_sub_f32_e32 v11, v11, v12
	v_exp_f32_e32 v14, v14
	;; [unrolled: 3-line block ×3, first 2 shown]
	v_mul_f32_e32 v10, 0x3fb8aa3b, v10
	v_sub_f32_e32 v9, v9, v12
	v_cndmask_b32_e64 v16, 0, v16, s[34:35]
	v_add_f32_e32 v19, v19, v15
	v_exp_f32_e32 v10, v10
	v_mul_f32_e32 v9, 0x3fb8aa3b, v9
	v_sub_f32_e32 v8, v8, v12
	v_add_f32_e32 v19, v19, v16
	v_cndmask_b32_e64 v13, 0, v13, s[36:37]
	v_exp_f32_e32 v9, v9
	v_mul_f32_e32 v8, 0x3fb8aa3b, v8
	v_sub_f32_e32 v7, v7, v12
	v_add_f32_e32 v15, v19, v13
	v_cndmask_b32_e64 v14, 0, v14, s[38:39]
	;; [unrolled: 5-line block ×5, first 2 shown]
	v_exp_f32_e32 v5, v5
	v_mul_f32_e32 v4, 0x3fb8aa3b, v4
	v_sub_f32_e32 v3, v3, v12
	buffer_store_dword v16, off, s[0:3], 0 offset:268
	buffer_store_dword v13, off, s[0:3], 0 offset:272
	;; [unrolled: 1-line block ×5, first 2 shown]
	v_add_f32_e32 v10, v15, v9
	v_cndmask_b32_e64 v8, 0, v8, s[18:19]
	v_exp_f32_e32 v4, v4
	v_mul_f32_e32 v3, 0x3fb8aa3b, v3
	v_sub_f32_e32 v2, v2, v12
	v_add_f32_e32 v10, v10, v8
	v_cndmask_b32_e64 v7, 0, v7, s[12:13]
	v_exp_f32_e32 v3, v3
	v_mul_f32_e32 v2, 0x3fb8aa3b, v2
	v_add_f32_e32 v10, v10, v7
	v_cndmask_b32_e64 v6, 0, v6, s[14:15]
	v_exp_f32_e32 v2, v2
	v_add_f32_e32 v10, v10, v6
	v_cndmask_b32_e64 v5, 0, v5, s[6:7]
	buffer_store_dword v9, off, s[0:3], 0 offset:288
	buffer_store_dword v8, off, s[0:3], 0 offset:292
	;; [unrolled: 1-line block ×4, first 2 shown]
	v_add_f32_e32 v6, v10, v5
	v_cndmask_b32_e64 v4, 0, v4, s[10:11]
	v_add_f32_e32 v6, v6, v4
	v_cndmask_b32_e32 v3, 0, v3, vcc
	v_add_f32_e32 v6, v6, v3
	v_cndmask_b32_e64 v2, 0, v2, s[4:5]
	v_add_f32_e32 v6, v6, v2
	ds_bpermute_b32 v7, v22, v6
	buffer_store_dword v5, off, s[0:3], 0 offset:304
	buffer_store_dword v4, off, s[0:3], 0 offset:308
	;; [unrolled: 1-line block ×4, first 2 shown]
	v_cmp_gt_u32_e32 vcc, 16, v62
	s_waitcnt lgkmcnt(0)
	s_barrier
	v_add_f32_e32 v2, v6, v7
	ds_bpermute_b32 v3, v20, v2
	s_waitcnt lgkmcnt(0)
	s_and_saveexec_b64 s[4:5], vcc
	s_cbranch_execz .LBB917_207
; %bb.206:
	v_add_f32_e32 v2, v2, v3
	v_lshlrev_b32_e32 v3, 2, v61
	ds_write2st64_b32 v3, v12, v2 offset1:1
.LBB917_207:
	s_or_b64 exec, exec, s[4:5]
	v_lshlrev_b32_e32 v2, 2, v51
	s_waitcnt lgkmcnt(0)
	s_barrier
	ds_read2_b32 v[14:15], v2 offset1:16
	ds_read2_b32 v[16:17], v2 offset0:32 offset1:48
	ds_read2_b32 v[6:7], v2 offset0:64 offset1:80
	;; [unrolled: 1-line block ×3, first 2 shown]
	s_waitcnt lgkmcnt(0)
	s_barrier
	buffer_load_dword v22, off, s[0:3], 0 offset:264
	buffer_load_dword v23, off, s[0:3], 0 offset:268
	buffer_load_dword v24, off, s[0:3], 0 offset:256
	buffer_load_dword v25, off, s[0:3], 0 offset:260
	buffer_load_dword v10, off, s[0:3], 0 offset:280
	buffer_load_dword v11, off, s[0:3], 0 offset:284
	buffer_load_dword v8, off, s[0:3], 0 offset:272
	buffer_load_dword v9, off, s[0:3], 0 offset:276
	buffer_load_dword v18, off, s[0:3], 0 offset:288
	buffer_load_dword v19, off, s[0:3], 0 offset:292
	buffer_load_dword v26, off, s[0:3], 0 offset:296
	buffer_load_dword v27, off, s[0:3], 0 offset:300
	buffer_load_dword v2, off, s[0:3], 0 offset:304
	buffer_load_dword v3, off, s[0:3], 0 offset:308
	buffer_load_dword v4, off, s[0:3], 0 offset:312
	buffer_load_dword v5, off, s[0:3], 0 offset:316
	v_max3_f32 v20, v14, s52, v15
	v_max3_f32 v20, v20, v16, v17
	v_sub_f32_e32 v14, v14, v20
	v_sub_f32_e32 v15, v15, v20
	v_mul_f32_e32 v14, 0x3fb8aa3b, v14
	v_sub_f32_e32 v16, v16, v20
	v_mul_f32_e32 v15, 0x3fb8aa3b, v15
	v_exp_f32_e32 v14, v14
	v_sub_f32_e32 v17, v17, v20
	v_mul_f32_e32 v16, 0x3fb8aa3b, v16
	v_exp_f32_e32 v15, v15
	v_mul_f32_e32 v17, 0x3fb8aa3b, v17
	v_exp_f32_e32 v16, v16
	v_exp_f32_e32 v17, v17
	v_fma_f32 v6, v14, v6, 0
	v_fmac_f32_e32 v6, v15, v7
	v_fmac_f32_e32 v6, v16, v12
	;; [unrolled: 1-line block ×3, first 2 shown]
	v_cmp_eq_u32_e32 vcc, 1, v60
	v_add_f32_e32 v12, 0x358637bd, v6
	v_cndmask_b32_e32 v14, v14, v15, vcc
	v_cmp_eq_u32_e32 vcc, 2, v60
	v_div_scale_f32 v13, s[4:5], v12, v12, 1.0
	v_cndmask_b32_e32 v7, v14, v16, vcc
	v_rcp_f32_e32 v14, v13
	v_cmp_eq_u32_e32 vcc, 3, v60
	v_cndmask_b32_e32 v7, v7, v17, vcc
	v_div_scale_f32 v15, vcc, 1.0, v12, 1.0
	v_fma_f32 v16, -v13, v14, 1.0
	v_fmac_f32_e32 v14, v16, v14
	v_mul_f32_e32 v16, v15, v14
	v_fma_f32 v17, -v13, v16, v15
	v_fmac_f32_e32 v16, v17, v14
	v_fma_f32 v13, -v13, v16, v15
	v_div_fmas_f32 v13, v13, v14, v16
	v_div_fixup_f32 v12, v13, v12, 1.0
	v_mul_f32_e32 v12, v7, v12
	s_movk_i32 s19, 0x7fff
	s_mov_b32 s20, 0x7060302
	s_lshl_b32 s18, s51, 3
	v_cmp_gt_u32_e32 vcc, 8, v0
	s_waitcnt vmcnt(14)
	v_pk_mul_f32 v[14:15], v[12:13], v[22:23] op_sel_hi:[0,1]
	v_bfe_u32 v21, v15, 16, 1
	s_waitcnt vmcnt(12)
	v_pk_mul_f32 v[16:17], v[12:13], v[24:25] op_sel_hi:[0,1]
	v_bfe_u32 v7, v17, 16, 1
	v_bfe_u32 v13, v16, 16, 1
	v_bfe_u32 v22, v14, 16, 1
	v_add3_u32 v13, v16, v13, s19
	v_add3_u32 v7, v17, v7, s19
	buffer_store_dword v16, off, s[0:3], 0 offset:256
	buffer_store_dword v17, off, s[0:3], 0 offset:260
	;; [unrolled: 1-line block ×4, first 2 shown]
	v_add3_u32 v16, v14, v22, s19
	v_add3_u32 v15, v15, v21, s19
	v_perm_b32 v14, v7, v13, s20
	v_lshlrev_b32_e32 v13, 3, v1
	v_perm_b32 v15, v15, v16, s20
	v_lshlrev_b32_e32 v7, 5, v51
	v_lshlrev_b32_e32 v16, 11, v60
	s_waitcnt vmcnt(12)
	v_pk_mul_f32 v[8:9], v[12:13], v[8:9] op_sel_hi:[0,1]
	v_or3_b32 v39, v16, v7, v13
	v_pk_mul_f32 v[10:11], v[12:13], v[10:11] op_sel_hi:[0,1]
	v_bfe_u32 v13, v9, 16, 1
	v_bfe_u32 v16, v8, 16, 1
	buffer_store_dword v8, off, s[0:3], 0 offset:272
	buffer_store_dword v9, off, s[0:3], 0 offset:276
	buffer_store_dword v10, off, s[0:3], 0 offset:280
	buffer_store_dword v11, off, s[0:3], 0 offset:284
	v_add3_u32 v8, v8, v16, s19
	v_add3_u32 v9, v9, v13, s19
	v_perm_b32 v8, v9, v8, s20
	v_bfe_u32 v9, v11, 16, 1
	v_bfe_u32 v13, v10, 16, 1
	v_add3_u32 v10, v10, v13, s19
	v_add3_u32 v9, v11, v9, s19
	v_perm_b32 v9, v9, v10, s20
	s_waitcnt vmcnt(14)
	v_pk_mul_f32 v[10:11], v[12:13], v[18:19] op_sel_hi:[0,1]
	ds_write2st64_b64 v39, v[14:15], v[8:9] offset1:1
	s_waitcnt vmcnt(12)
	v_pk_mul_f32 v[8:9], v[12:13], v[26:27] op_sel_hi:[0,1]
	v_bfe_u32 v13, v11, 16, 1
	v_bfe_u32 v14, v10, 16, 1
	buffer_store_dword v10, off, s[0:3], 0 offset:288
	buffer_store_dword v11, off, s[0:3], 0 offset:292
	;; [unrolled: 1-line block ×4, first 2 shown]
	v_add3_u32 v10, v10, v14, s19
	v_add3_u32 v11, v11, v13, s19
	v_perm_b32 v10, v11, v10, s20
	v_bfe_u32 v11, v9, 16, 1
	v_bfe_u32 v13, v8, 16, 1
	v_add3_u32 v8, v8, v13, s19
	v_add3_u32 v9, v9, v11, s19
	s_waitcnt vmcnt(14)
	v_pk_mul_f32 v[2:3], v[12:13], v[2:3] op_sel_hi:[0,1]
	v_perm_b32 v11, v9, v8, s20
	v_bfe_u32 v8, v3, 16, 1
	v_bfe_u32 v9, v2, 16, 1
	s_waitcnt vmcnt(12)
	v_pk_mul_f32 v[4:5], v[12:13], v[4:5] op_sel_hi:[0,1]
	buffer_store_dword v2, off, s[0:3], 0 offset:304
	buffer_store_dword v3, off, s[0:3], 0 offset:308
	;; [unrolled: 1-line block ×4, first 2 shown]
	v_add3_u32 v2, v2, v9, s19
	v_add3_u32 v3, v3, v8, s19
	v_perm_b32 v2, v3, v2, s20
	v_bfe_u32 v3, v5, 16, 1
	v_bfe_u32 v8, v4, 16, 1
	v_add3_u32 v4, v4, v8, s19
	v_add3_u32 v3, v5, v3, s19
	v_perm_b32 v3, v3, v4, s20
	ds_write2st64_b64 v39, v[10:11], v[2:3] offset0:2 offset1:3
	s_and_saveexec_b64 s[4:5], vcc
	s_cbranch_execz .LBB917_209
; %bb.208:
	v_or_b32_e32 v2, s25, v0
	v_mov_b32_e32 v3, 0
	v_mov_b32_e32 v4, s18
	v_mad_u64_u32 v[4:5], s[6:7], s8, v4, v[2:3]
	v_mov_b32_e32 v2, s24
	s_mul_i32 s9, s9, s18
	v_mad_u64_u32 v[2:3], s[6:7], v4, s50, v[2:3]
	v_add_u32_e32 v5, s9, v5
	v_mov_b32_e32 v4, v3
	v_mad_u64_u32 v[4:5], s[6:7], v5, s50, v[4:5]
	v_mov_b32_e32 v3, v4
	v_lshlrev_b64 v[2:3], 2, v[2:3]
	v_mov_b32_e32 v5, s47
	v_add_co_u32_e32 v4, vcc, s46, v2
	v_addc_co_u32_e32 v5, vcc, v5, v3, vcc
	global_store_dword v[4:5], v20, off
	v_mov_b32_e32 v4, s45
	v_add_co_u32_e32 v2, vcc, s44, v2
	v_addc_co_u32_e32 v3, vcc, v4, v3, vcc
	global_store_dword v[2:3], v6, off
.LBB917_209:
	s_or_b64 exec, exec, s[4:5]
	v_lshl_or_b32 v30, v1, 9, v7
	s_waitcnt lgkmcnt(0)
	s_barrier
	s_load_dword s4, s[42:43], 0x0
	ds_read_b128 v[2:5], v30
	ds_read_b128 v[6:9], v30 offset:16
	ds_read_b128 v[10:13], v30 offset:2048
	;; [unrolled: 1-line block ×7, first 2 shown]
	v_mov_b32_e32 v35, 0x80
	v_mov_b32_e32 v41, 0x140
	s_mov_b64 s[10:11], -1
	s_waitcnt lgkmcnt(0)
	s_mov_b32 s5, s4
	s_mov_b32 s6, s4
	;; [unrolled: 1-line block ×3, first 2 shown]
	s_movk_i32 s9, 0x80
	s_movk_i32 s21, 0x7f
	s_mov_b32 s22, 0xffffff
	s_mov_b32 s23, 0x5040100
	v_mov_b32_e32 v43, 0
	v_bfrev_b32_e32 v45, 60
	s_branch .LBB917_213
.LBB917_210:                            ;   in Loop: Header=BB917_213 Depth=1
	s_or_b64 exec, exec, s[16:17]
.LBB917_211:                            ;   in Loop: Header=BB917_213 Depth=1
	s_or_b64 exec, exec, s[14:15]
.LBB917_212:                            ;   in Loop: Header=BB917_213 Depth=1
	s_or_b64 exec, exec, s[12:13]
	v_perm_b32 v47, v49, v47, s23
	v_perm_b32 v46, v44, v46, s23
	s_xor_b64 s[12:13], s[10:11], -1
	s_mov_b64 s[10:11], 0
	v_mov_b32_e32 v59, v54
	v_mfma_f32_16x16x16bf16_1k v[60:63], v[46:47], v[30:31], v[34:37]
	s_and_b64 vcc, exec, s[12:13]
	s_nop 5
	v_perm_b32 v37, v58, v57, s23
	v_perm_b32 v36, v42, v48, s23
	v_mov_b32_e32 v35, v53
	v_mov_b32_e32 v58, v55
	v_mfma_f32_16x16x16bf16_1k v[46:49], v[36:37], v[32:33], v[60:63]
	v_mov_b32_e32 v57, v56
	s_nop 7
	s_nop 1
	v_pk_mul_f32 v[46:47], v[46:47], s[4:5]
	v_pk_mul_f32 v[36:37], v[48:49], s[6:7]
	v_bfe_u32 v34, v47, 16, 1
	v_bfe_u32 v38, v46, 16, 1
	;; [unrolled: 1-line block ×4, first 2 shown]
	v_add3_u32 v38, v46, v38, s19
	v_add3_u32 v34, v47, v34, s19
	;; [unrolled: 1-line block ×4, first 2 shown]
	v_perm_b32 v34, v34, v38, s20
	v_perm_b32 v36, v37, v36, s20
	buffer_store_dword v34, v41, s[0:3], 0 offen
	buffer_store_dword v36, v41, s[0:3], 0 offen offset:4
	v_mov_b32_e32 v41, 0x148
	s_cbranch_vccnz .LBB917_595
.LBB917_213:                            ; =>This Inner Loop Header: Depth=1
	buffer_load_dword v36, v35, s[0:3], 0 offen
	buffer_load_dword v34, v35, s[0:3], 0 offen offset:4
	buffer_load_dword v40, v35, s[0:3], 0 offen offset:8
	;; [unrolled: 1-line block ×3, first 2 shown]
	v_mov_b32_e32 v35, 0
	s_waitcnt vmcnt(3)
	v_cmp_ne_u16_sdwa s[14:15], v36, v43 src0_sel:BYTE_0 src1_sel:DWORD
	s_and_saveexec_b64 s[12:13], s[14:15]
	s_cbranch_execz .LBB917_219
; %bb.214:                              ;   in Loop: Header=BB917_213 Depth=1
	v_cmp_ne_u16_sdwa s[16:17], v36, s9 src0_sel:BYTE_0 src1_sel:DWORD
	v_mov_b32_e32 v35, 0xffff8000
	s_and_saveexec_b64 s[14:15], s[16:17]
	s_cbranch_execz .LBB917_218
; %bb.215:                              ;   in Loop: Header=BB917_213 Depth=1
	v_and_b32_e32 v37, 0x7f, v36
	v_cmp_ne_u32_e32 vcc, s21, v37
	v_mov_b32_e32 v35, 0x7f80
	s_and_saveexec_b64 s[16:17], vcc
	s_cbranch_execz .LBB917_217
; %bb.216:                              ;   in Loop: Header=BB917_213 Depth=1
	v_and_b32_e32 v35, 7, v36
	v_ffbh_u32_e32 v44, v35
	v_min_u32_e32 v44, 32, v44
	v_subrev_u32_e32 v46, 28, v44
	v_lshlrev_b64 v[46:47], v46, v[36:37]
	v_lshrrev_b32_e32 v42, 3, v37
	v_sub_u32_e32 v44, 29, v44
	v_and_b32_e32 v46, 7, v46
	v_cmp_gt_u32_e32 vcc, 8, v37
	v_cndmask_b32_e32 v37, v42, v44, vcc
	v_cndmask_b32_e32 v35, v35, v46, vcc
	v_lshlrev_b32_e32 v42, 24, v36
	v_lshlrev_b32_e32 v35, 20, v35
	v_and_b32_e32 v42, 0x80000000, v42
	v_lshl_add_u32 v37, v37, 23, v45
	v_or3_b32 v35, v42, v37, v35
	v_lshrrev_b32_e32 v35, 16, v35
.LBB917_217:                            ;   in Loop: Header=BB917_213 Depth=1
	s_or_b64 exec, exec, s[16:17]
.LBB917_218:                            ;   in Loop: Header=BB917_213 Depth=1
	s_or_b64 exec, exec, s[14:15]
.LBB917_219:                            ;   in Loop: Header=BB917_213 Depth=1
	s_or_b64 exec, exec, s[12:13]
	v_lshrrev_b16_e32 v42, 8, v36
	v_cmp_ne_u16_e32 vcc, 0, v42
	v_mov_b32_e32 v46, 0
	v_mov_b32_e32 v37, 0
	s_and_saveexec_b64 s[12:13], vcc
	s_cbranch_execz .LBB917_225
; %bb.220:                              ;   in Loop: Header=BB917_213 Depth=1
	v_cmp_ne_u16_e32 vcc, s9, v42
	v_mov_b32_e32 v37, 0xffff8000
	s_and_saveexec_b64 s[14:15], vcc
	s_cbranch_execz .LBB917_224
; %bb.221:                              ;   in Loop: Header=BB917_213 Depth=1
	v_and_b32_e32 v44, 0x7f, v42
	v_cmp_ne_u32_e32 vcc, s21, v44
	v_mov_b32_e32 v37, 0x7f80
	s_and_saveexec_b64 s[16:17], vcc
	s_cbranch_execz .LBB917_223
; %bb.222:                              ;   in Loop: Header=BB917_213 Depth=1
	v_and_b32_e32 v37, 7, v42
	v_ffbh_u32_e32 v48, v37
	v_min_u32_e32 v60, 32, v48
	v_subrev_u32_e32 v48, 28, v60
	v_lshlrev_b64 v[48:49], v48, v[42:43]
	v_lshrrev_b32_e32 v47, 3, v44
	v_sub_u32_e32 v42, 29, v60
	v_and_b32_e32 v48, 7, v48
	v_cmp_gt_u32_e32 vcc, 8, v44
	v_cndmask_b32_e32 v42, v47, v42, vcc
	v_cndmask_b32_e32 v37, v37, v48, vcc
	v_lshlrev_b32_e32 v44, 16, v36
	v_lshlrev_b32_e32 v37, 20, v37
	v_and_b32_e32 v44, 0x80000000, v44
	v_lshl_add_u32 v42, v42, 23, v45
	v_or3_b32 v37, v44, v42, v37
	v_lshrrev_b32_e32 v37, 16, v37
.LBB917_223:                            ;   in Loop: Header=BB917_213 Depth=1
	s_or_b64 exec, exec, s[16:17]
.LBB917_224:                            ;   in Loop: Header=BB917_213 Depth=1
	s_or_b64 exec, exec, s[14:15]
.LBB917_225:                            ;   in Loop: Header=BB917_213 Depth=1
	s_or_b64 exec, exec, s[12:13]
	v_lshrrev_b32_e32 v42, 16, v36
	v_cmp_ne_u16_sdwa s[14:15], v42, v43 src0_sel:BYTE_0 src1_sel:DWORD
	s_and_saveexec_b64 s[12:13], s[14:15]
	s_cbranch_execz .LBB917_231
; %bb.226:                              ;   in Loop: Header=BB917_213 Depth=1
	v_cmp_ne_u16_sdwa s[16:17], v42, s9 src0_sel:BYTE_0 src1_sel:DWORD
	v_mov_b32_e32 v46, 0xffff8000
	s_and_saveexec_b64 s[14:15], s[16:17]
	s_cbranch_execz .LBB917_230
; %bb.227:                              ;   in Loop: Header=BB917_213 Depth=1
	v_bfe_u32 v44, v36, 16, 7
	v_cmp_ne_u32_e32 vcc, s21, v44
	v_mov_b32_e32 v46, 0x7f80
	s_and_saveexec_b64 s[16:17], vcc
	s_cbranch_execz .LBB917_229
; %bb.228:                              ;   in Loop: Header=BB917_213 Depth=1
	v_and_b32_e32 v48, 7, v42
	v_ffbh_u32_e32 v46, v48
	v_min_u32_e32 v60, 32, v46
	v_subrev_u32_e32 v46, 28, v60
	v_lshlrev_b64 v[46:47], v46, v[42:43]
	v_lshrrev_b32_e32 v49, 3, v44
	v_sub_u32_e32 v47, 29, v60
	v_and_b32_e32 v46, 7, v46
	v_cmp_gt_u32_e32 vcc, 8, v44
	v_cndmask_b32_e32 v44, v49, v47, vcc
	v_cndmask_b32_e32 v46, v48, v46, vcc
	v_lshlrev_b32_e32 v42, 24, v42
	v_lshlrev_b32_e32 v46, 20, v46
	v_and_b32_e32 v42, 0x80000000, v42
	v_lshl_add_u32 v44, v44, 23, v45
	v_or3_b32 v42, v42, v44, v46
	v_lshrrev_b32_e32 v46, 16, v42
.LBB917_229:                            ;   in Loop: Header=BB917_213 Depth=1
	s_or_b64 exec, exec, s[16:17]
.LBB917_230:                            ;   in Loop: Header=BB917_213 Depth=1
	s_or_b64 exec, exec, s[14:15]
.LBB917_231:                            ;   in Loop: Header=BB917_213 Depth=1
	s_or_b64 exec, exec, s[12:13]
	v_cmp_lt_u32_e32 vcc, s22, v36
	v_mov_b32_e32 v47, 0
	v_mov_b32_e32 v48, 0
	s_and_saveexec_b64 s[12:13], vcc
	s_cbranch_execz .LBB917_237
; %bb.232:                              ;   in Loop: Header=BB917_213 Depth=1
	v_lshrrev_b32_e32 v42, 24, v36
	v_cmp_ne_u32_e32 vcc, s9, v42
	v_mov_b32_e32 v48, 0xffff8000
	s_and_saveexec_b64 s[14:15], vcc
	s_cbranch_execz .LBB917_236
; %bb.233:                              ;   in Loop: Header=BB917_213 Depth=1
	v_bfe_u32 v36, v36, 24, 7
	v_cmp_ne_u32_e32 vcc, s21, v36
	v_mov_b32_e32 v48, 0x7f80
	s_and_saveexec_b64 s[16:17], vcc
	s_cbranch_execz .LBB917_235
; %bb.234:                              ;   in Loop: Header=BB917_213 Depth=1
	v_and_b32_e32 v44, 7, v42
	v_ffbh_u32_e32 v48, v44
	v_min_u32_e32 v61, 32, v48
	v_subrev_u32_e32 v48, 28, v61
	v_lshlrev_b64 v[48:49], v48, v[42:43]
	v_lshrrev_b32_e32 v60, 3, v36
	v_sub_u32_e32 v49, 29, v61
	v_and_b32_e32 v48, 7, v48
	v_cmp_gt_u32_e32 vcc, 8, v36
	v_cndmask_b32_e32 v36, v60, v49, vcc
	v_cndmask_b32_e32 v44, v44, v48, vcc
	v_lshlrev_b32_e32 v42, 24, v42
	v_lshlrev_b32_e32 v44, 20, v44
	v_and_b32_e32 v42, 0x80000000, v42
	v_lshl_add_u32 v36, v36, 23, v45
	v_or3_b32 v36, v42, v36, v44
	v_lshrrev_b32_e32 v48, 16, v36
.LBB917_235:                            ;   in Loop: Header=BB917_213 Depth=1
	s_or_b64 exec, exec, s[16:17]
.LBB917_236:                            ;   in Loop: Header=BB917_213 Depth=1
	s_or_b64 exec, exec, s[14:15]
.LBB917_237:                            ;   in Loop: Header=BB917_213 Depth=1
	s_or_b64 exec, exec, s[12:13]
	s_waitcnt vmcnt(2)
	v_cmp_ne_u16_sdwa s[14:15], v34, v43 src0_sel:BYTE_0 src1_sel:DWORD
	s_and_saveexec_b64 s[12:13], s[14:15]
	s_cbranch_execz .LBB917_243
; %bb.238:                              ;   in Loop: Header=BB917_213 Depth=1
	v_cmp_ne_u16_sdwa s[16:17], v34, s9 src0_sel:BYTE_0 src1_sel:DWORD
	v_mov_b32_e32 v47, 0xffff8000
	s_and_saveexec_b64 s[14:15], s[16:17]
	s_cbranch_execz .LBB917_242
; %bb.239:                              ;   in Loop: Header=BB917_213 Depth=1
	v_and_b32_e32 v36, 0x7f, v34
	v_cmp_ne_u32_e32 vcc, s21, v36
	v_mov_b32_e32 v47, 0x7f80
	s_and_saveexec_b64 s[16:17], vcc
	s_cbranch_execz .LBB917_241
; %bb.240:                              ;   in Loop: Header=BB917_213 Depth=1
	v_and_b32_e32 v42, 7, v34
	v_ffbh_u32_e32 v47, v42
	v_min_u32_e32 v47, 32, v47
	v_subrev_u32_e32 v49, 28, v47
	v_lshlrev_b64 v[60:61], v49, v[34:35]
	v_lshrrev_b32_e32 v44, 3, v36
	v_sub_u32_e32 v47, 29, v47
	v_and_b32_e32 v49, 7, v60
	v_cmp_gt_u32_e32 vcc, 8, v36
	v_cndmask_b32_e32 v36, v44, v47, vcc
	v_cndmask_b32_e32 v42, v42, v49, vcc
	v_lshlrev_b32_e32 v44, 24, v34
	v_lshlrev_b32_e32 v42, 20, v42
	v_and_b32_e32 v44, 0x80000000, v44
	v_lshl_add_u32 v36, v36, 23, v45
	v_or3_b32 v36, v44, v36, v42
	v_lshrrev_b32_e32 v47, 16, v36
.LBB917_241:                            ;   in Loop: Header=BB917_213 Depth=1
	s_or_b64 exec, exec, s[16:17]
.LBB917_242:                            ;   in Loop: Header=BB917_213 Depth=1
	s_or_b64 exec, exec, s[14:15]
.LBB917_243:                            ;   in Loop: Header=BB917_213 Depth=1
	s_or_b64 exec, exec, s[12:13]
	v_lshrrev_b16_e32 v36, 8, v34
	v_cmp_ne_u16_e32 vcc, 0, v36
	v_mov_b32_e32 v49, 0
	v_mov_b32_e32 v42, 0
	s_and_saveexec_b64 s[12:13], vcc
	s_cbranch_execz .LBB917_249
; %bb.244:                              ;   in Loop: Header=BB917_213 Depth=1
	v_cmp_ne_u16_e32 vcc, s9, v36
	v_mov_b32_e32 v42, 0xffff8000
	s_and_saveexec_b64 s[14:15], vcc
	s_cbranch_execz .LBB917_248
; %bb.245:                              ;   in Loop: Header=BB917_213 Depth=1
	v_and_b32_e32 v44, 0x7f, v36
	v_cmp_ne_u32_e32 vcc, s21, v44
	v_mov_b32_e32 v42, 0x7f80
	s_and_saveexec_b64 s[16:17], vcc
	s_cbranch_execz .LBB917_247
; %bb.246:                              ;   in Loop: Header=BB917_213 Depth=1
	v_and_b32_e32 v42, 7, v36
	v_ffbh_u32_e32 v60, v42
	v_min_u32_e32 v63, 32, v60
	v_subrev_u32_e32 v60, 28, v63
	v_lshlrev_b64 v[60:61], v60, v[36:37]
	v_lshrrev_b32_e32 v62, 3, v44
	v_sub_u32_e32 v36, 29, v63
	v_and_b32_e32 v60, 7, v60
	v_cmp_gt_u32_e32 vcc, 8, v44
	v_cndmask_b32_e32 v36, v62, v36, vcc
	v_cndmask_b32_e32 v42, v42, v60, vcc
	v_lshlrev_b32_e32 v44, 16, v34
	v_lshlrev_b32_e32 v42, 20, v42
	v_and_b32_e32 v44, 0x80000000, v44
	v_lshl_add_u32 v36, v36, 23, v45
	v_or3_b32 v36, v44, v36, v42
	v_lshrrev_b32_e32 v42, 16, v36
.LBB917_247:                            ;   in Loop: Header=BB917_213 Depth=1
	s_or_b64 exec, exec, s[16:17]
.LBB917_248:                            ;   in Loop: Header=BB917_213 Depth=1
	s_or_b64 exec, exec, s[14:15]
.LBB917_249:                            ;   in Loop: Header=BB917_213 Depth=1
	s_or_b64 exec, exec, s[12:13]
	v_lshrrev_b32_e32 v36, 16, v34
	v_cmp_ne_u16_sdwa s[14:15], v36, v43 src0_sel:BYTE_0 src1_sel:DWORD
	s_and_saveexec_b64 s[12:13], s[14:15]
	s_cbranch_execz .LBB917_255
; %bb.250:                              ;   in Loop: Header=BB917_213 Depth=1
	v_cmp_ne_u16_sdwa s[16:17], v36, s9 src0_sel:BYTE_0 src1_sel:DWORD
	v_mov_b32_e32 v49, 0xffff8000
	s_and_saveexec_b64 s[14:15], s[16:17]
	s_cbranch_execz .LBB917_254
; %bb.251:                              ;   in Loop: Header=BB917_213 Depth=1
	v_bfe_u32 v44, v34, 16, 7
	v_cmp_ne_u32_e32 vcc, s21, v44
	v_mov_b32_e32 v49, 0x7f80
	s_and_saveexec_b64 s[16:17], vcc
	s_cbranch_execz .LBB917_253
; %bb.252:                              ;   in Loop: Header=BB917_213 Depth=1
	v_and_b32_e32 v49, 7, v36
	v_ffbh_u32_e32 v60, v49
	v_min_u32_e32 v63, 32, v60
	v_subrev_u32_e32 v60, 28, v63
	v_lshlrev_b64 v[60:61], v60, v[36:37]
	v_lshrrev_b32_e32 v62, 3, v44
	v_sub_u32_e32 v61, 29, v63
	v_and_b32_e32 v60, 7, v60
	v_cmp_gt_u32_e32 vcc, 8, v44
	v_cndmask_b32_e32 v44, v62, v61, vcc
	v_cndmask_b32_e32 v49, v49, v60, vcc
	v_lshlrev_b32_e32 v36, 24, v36
	v_lshlrev_b32_e32 v49, 20, v49
	v_and_b32_e32 v36, 0x80000000, v36
	v_lshl_add_u32 v44, v44, 23, v45
	v_or3_b32 v36, v36, v44, v49
	v_lshrrev_b32_e32 v49, 16, v36
.LBB917_253:                            ;   in Loop: Header=BB917_213 Depth=1
	s_or_b64 exec, exec, s[16:17]
.LBB917_254:                            ;   in Loop: Header=BB917_213 Depth=1
	s_or_b64 exec, exec, s[14:15]
.LBB917_255:                            ;   in Loop: Header=BB917_213 Depth=1
	s_or_b64 exec, exec, s[12:13]
	v_cmp_lt_u32_e32 vcc, s22, v34
	v_mov_b32_e32 v44, 0
	v_mov_b32_e32 v60, 0
	s_and_saveexec_b64 s[12:13], vcc
	s_cbranch_execz .LBB917_261
; %bb.256:                              ;   in Loop: Header=BB917_213 Depth=1
	v_lshrrev_b32_e32 v36, 24, v34
	v_cmp_ne_u32_e32 vcc, s9, v36
	v_mov_b32_e32 v60, 0xffff8000
	s_and_saveexec_b64 s[14:15], vcc
	s_cbranch_execz .LBB917_260
; %bb.257:                              ;   in Loop: Header=BB917_213 Depth=1
	v_bfe_u32 v34, v34, 24, 7
	v_cmp_ne_u32_e32 vcc, s21, v34
	v_mov_b32_e32 v60, 0x7f80
	s_and_saveexec_b64 s[16:17], vcc
	s_cbranch_execz .LBB917_259
; %bb.258:                              ;   in Loop: Header=BB917_213 Depth=1
	v_and_b32_e32 v62, 7, v36
	v_ffbh_u32_e32 v60, v62
	v_min_u32_e32 v64, 32, v60
	v_subrev_u32_e32 v60, 28, v64
	v_lshlrev_b64 v[60:61], v60, v[36:37]
	v_lshrrev_b32_e32 v63, 3, v34
	v_sub_u32_e32 v61, 29, v64
	v_and_b32_e32 v60, 7, v60
	v_cmp_gt_u32_e32 vcc, 8, v34
	v_cndmask_b32_e32 v34, v63, v61, vcc
	v_cndmask_b32_e32 v60, v62, v60, vcc
	v_lshlrev_b32_e32 v36, 24, v36
	v_lshlrev_b32_e32 v60, 20, v60
	v_and_b32_e32 v36, 0x80000000, v36
	v_lshl_add_u32 v34, v34, 23, v45
	v_or3_b32 v34, v36, v34, v60
	v_lshrrev_b32_e32 v60, 16, v34
.LBB917_259:                            ;   in Loop: Header=BB917_213 Depth=1
	s_or_b64 exec, exec, s[16:17]
.LBB917_260:                            ;   in Loop: Header=BB917_213 Depth=1
	s_or_b64 exec, exec, s[14:15]
.LBB917_261:                            ;   in Loop: Header=BB917_213 Depth=1
	s_or_b64 exec, exec, s[12:13]
	v_perm_b32 v63, v48, v46, s23
	v_perm_b32 v62, v37, v35, s23
	;; [unrolled: 1-line block ×4, first 2 shown]
	s_waitcnt vmcnt(1)
	v_cmp_ne_u16_sdwa s[14:15], v40, v43 src0_sel:BYTE_0 src1_sel:DWORD
	v_mfma_f32_16x16x16bf16_1k v[34:37], v[62:63], v[2:3], 0
	v_mfma_f32_16x16x16bf16_1k v[34:37], v[48:49], v[4:5], v[34:37]
	s_and_saveexec_b64 s[12:13], s[14:15]
	s_cbranch_execz .LBB917_267
; %bb.262:                              ;   in Loop: Header=BB917_213 Depth=1
	v_cmp_ne_u16_sdwa s[16:17], v40, s9 src0_sel:BYTE_0 src1_sel:DWORD
	v_mov_b32_e32 v44, 0xffff8000
	s_and_saveexec_b64 s[14:15], s[16:17]
	s_cbranch_execz .LBB917_266
; %bb.263:                              ;   in Loop: Header=BB917_213 Depth=1
	v_and_b32_e32 v42, 0x7f, v40
	v_cmp_ne_u32_e32 vcc, s21, v42
	v_mov_b32_e32 v44, 0x7f80
	s_and_saveexec_b64 s[16:17], vcc
	s_cbranch_execz .LBB917_265
; %bb.264:                              ;   in Loop: Header=BB917_213 Depth=1
	v_and_b32_e32 v44, 7, v40
	v_ffbh_u32_e32 v46, v44
	v_min_u32_e32 v49, 32, v46
	v_subrev_u32_e32 v46, 28, v49
	v_lshlrev_b64 v[46:47], v46, v[40:41]
	v_lshrrev_b32_e32 v48, 3, v42
	v_sub_u32_e32 v47, 29, v49
	v_and_b32_e32 v46, 7, v46
	v_cmp_gt_u32_e32 vcc, 8, v42
	v_cndmask_b32_e32 v42, v48, v47, vcc
	v_cndmask_b32_e32 v44, v44, v46, vcc
	v_lshlrev_b32_e32 v46, 24, v40
	v_lshlrev_b32_e32 v44, 20, v44
	v_and_b32_e32 v46, 0x80000000, v46
	v_lshl_add_u32 v42, v42, 23, v45
	v_or3_b32 v42, v46, v42, v44
	v_lshrrev_b32_e32 v44, 16, v42
.LBB917_265:                            ;   in Loop: Header=BB917_213 Depth=1
	s_or_b64 exec, exec, s[16:17]
.LBB917_266:                            ;   in Loop: Header=BB917_213 Depth=1
	s_or_b64 exec, exec, s[14:15]
.LBB917_267:                            ;   in Loop: Header=BB917_213 Depth=1
	s_or_b64 exec, exec, s[12:13]
	v_lshrrev_b16_e32 v42, 8, v40
	v_cmp_ne_u16_e32 vcc, 0, v42
	v_mov_b32_e32 v48, 0
	v_mov_b32_e32 v46, 0
	s_and_saveexec_b64 s[12:13], vcc
	s_cbranch_execz .LBB917_273
; %bb.268:                              ;   in Loop: Header=BB917_213 Depth=1
	v_cmp_ne_u16_e32 vcc, s9, v42
	v_mov_b32_e32 v46, 0xffff8000
	s_and_saveexec_b64 s[14:15], vcc
	s_cbranch_execz .LBB917_272
; %bb.269:                              ;   in Loop: Header=BB917_213 Depth=1
	v_and_b32_e32 v47, 0x7f, v42
	v_cmp_ne_u32_e32 vcc, s21, v47
	v_mov_b32_e32 v46, 0x7f80
	s_and_saveexec_b64 s[16:17], vcc
	s_cbranch_execz .LBB917_271
; %bb.270:                              ;   in Loop: Header=BB917_213 Depth=1
	v_and_b32_e32 v46, 7, v42
	v_ffbh_u32_e32 v60, v46
	v_min_u32_e32 v62, 32, v60
	v_subrev_u32_e32 v60, 28, v62
	v_lshlrev_b64 v[60:61], v60, v[42:43]
	v_lshrrev_b32_e32 v49, 3, v47
	v_sub_u32_e32 v42, 29, v62
	v_and_b32_e32 v60, 7, v60
	v_cmp_gt_u32_e32 vcc, 8, v47
	v_cndmask_b32_e32 v42, v49, v42, vcc
	v_cndmask_b32_e32 v46, v46, v60, vcc
	v_lshlrev_b32_e32 v47, 16, v40
	v_lshlrev_b32_e32 v46, 20, v46
	v_and_b32_e32 v47, 0x80000000, v47
	v_lshl_add_u32 v42, v42, 23, v45
	v_or3_b32 v42, v47, v42, v46
	v_lshrrev_b32_e32 v46, 16, v42
.LBB917_271:                            ;   in Loop: Header=BB917_213 Depth=1
	s_or_b64 exec, exec, s[16:17]
.LBB917_272:                            ;   in Loop: Header=BB917_213 Depth=1
	s_or_b64 exec, exec, s[14:15]
.LBB917_273:                            ;   in Loop: Header=BB917_213 Depth=1
	s_or_b64 exec, exec, s[12:13]
	v_lshrrev_b32_e32 v42, 16, v40
	v_cmp_ne_u16_sdwa s[14:15], v42, v43 src0_sel:BYTE_0 src1_sel:DWORD
	s_and_saveexec_b64 s[12:13], s[14:15]
	s_cbranch_execz .LBB917_279
; %bb.274:                              ;   in Loop: Header=BB917_213 Depth=1
	v_cmp_ne_u16_sdwa s[16:17], v42, s9 src0_sel:BYTE_0 src1_sel:DWORD
	v_mov_b32_e32 v48, 0xffff8000
	s_and_saveexec_b64 s[14:15], s[16:17]
	s_cbranch_execz .LBB917_278
; %bb.275:                              ;   in Loop: Header=BB917_213 Depth=1
	v_bfe_u32 v47, v40, 16, 7
	v_cmp_ne_u32_e32 vcc, s21, v47
	v_mov_b32_e32 v48, 0x7f80
	s_and_saveexec_b64 s[16:17], vcc
	s_cbranch_execz .LBB917_277
; %bb.276:                              ;   in Loop: Header=BB917_213 Depth=1
	v_and_b32_e32 v60, 7, v42
	v_ffbh_u32_e32 v48, v60
	v_min_u32_e32 v62, 32, v48
	v_subrev_u32_e32 v48, 28, v62
	v_lshlrev_b64 v[48:49], v48, v[42:43]
	v_lshrrev_b32_e32 v61, 3, v47
	v_sub_u32_e32 v49, 29, v62
	v_and_b32_e32 v48, 7, v48
	v_cmp_gt_u32_e32 vcc, 8, v47
	v_cndmask_b32_e32 v47, v61, v49, vcc
	v_cndmask_b32_e32 v48, v60, v48, vcc
	v_lshlrev_b32_e32 v42, 24, v42
	v_lshlrev_b32_e32 v48, 20, v48
	v_and_b32_e32 v42, 0x80000000, v42
	v_lshl_add_u32 v47, v47, 23, v45
	v_or3_b32 v42, v42, v47, v48
	v_lshrrev_b32_e32 v48, 16, v42
.LBB917_277:                            ;   in Loop: Header=BB917_213 Depth=1
	s_or_b64 exec, exec, s[16:17]
.LBB917_278:                            ;   in Loop: Header=BB917_213 Depth=1
	s_or_b64 exec, exec, s[14:15]
.LBB917_279:                            ;   in Loop: Header=BB917_213 Depth=1
	s_or_b64 exec, exec, s[12:13]
	v_cmp_lt_u32_e32 vcc, s22, v40
	v_mov_b32_e32 v49, 0
	v_mov_b32_e32 v60, 0
	s_and_saveexec_b64 s[12:13], vcc
	s_cbranch_execz .LBB917_285
; %bb.280:                              ;   in Loop: Header=BB917_213 Depth=1
	v_lshrrev_b32_e32 v42, 24, v40
	v_cmp_ne_u32_e32 vcc, s9, v42
	v_mov_b32_e32 v60, 0xffff8000
	s_and_saveexec_b64 s[14:15], vcc
	s_cbranch_execz .LBB917_284
; %bb.281:                              ;   in Loop: Header=BB917_213 Depth=1
	v_bfe_u32 v40, v40, 24, 7
	v_cmp_ne_u32_e32 vcc, s21, v40
	v_mov_b32_e32 v60, 0x7f80
	s_and_saveexec_b64 s[16:17], vcc
	s_cbranch_execz .LBB917_283
; %bb.282:                              ;   in Loop: Header=BB917_213 Depth=1
	v_and_b32_e32 v47, 7, v42
	v_ffbh_u32_e32 v60, v47
	v_min_u32_e32 v63, 32, v60
	v_subrev_u32_e32 v60, 28, v63
	v_lshlrev_b64 v[60:61], v60, v[42:43]
	v_lshrrev_b32_e32 v62, 3, v40
	v_sub_u32_e32 v61, 29, v63
	v_and_b32_e32 v60, 7, v60
	v_cmp_gt_u32_e32 vcc, 8, v40
	v_cndmask_b32_e32 v40, v62, v61, vcc
	v_cndmask_b32_e32 v47, v47, v60, vcc
	v_lshlrev_b32_e32 v42, 24, v42
	v_lshlrev_b32_e32 v47, 20, v47
	v_and_b32_e32 v42, 0x80000000, v42
	v_lshl_add_u32 v40, v40, 23, v45
	v_or3_b32 v40, v42, v40, v47
	v_lshrrev_b32_e32 v60, 16, v40
.LBB917_283:                            ;   in Loop: Header=BB917_213 Depth=1
	s_or_b64 exec, exec, s[16:17]
.LBB917_284:                            ;   in Loop: Header=BB917_213 Depth=1
	s_or_b64 exec, exec, s[14:15]
.LBB917_285:                            ;   in Loop: Header=BB917_213 Depth=1
	s_or_b64 exec, exec, s[12:13]
	s_waitcnt vmcnt(0)
	v_cmp_ne_u16_sdwa s[14:15], v38, v43 src0_sel:BYTE_0 src1_sel:DWORD
	s_and_saveexec_b64 s[12:13], s[14:15]
	s_cbranch_execz .LBB917_291
; %bb.286:                              ;   in Loop: Header=BB917_213 Depth=1
	v_cmp_ne_u16_sdwa s[16:17], v38, s9 src0_sel:BYTE_0 src1_sel:DWORD
	v_mov_b32_e32 v49, 0xffff8000
	s_and_saveexec_b64 s[14:15], s[16:17]
	s_cbranch_execz .LBB917_290
; %bb.287:                              ;   in Loop: Header=BB917_213 Depth=1
	v_and_b32_e32 v40, 0x7f, v38
	v_cmp_ne_u32_e32 vcc, s21, v40
	v_mov_b32_e32 v49, 0x7f80
	s_and_saveexec_b64 s[16:17], vcc
	s_cbranch_execz .LBB917_289
; %bb.288:                              ;   in Loop: Header=BB917_213 Depth=1
	v_and_b32_e32 v42, 7, v38
	v_ffbh_u32_e32 v49, v42
	v_min_u32_e32 v49, 32, v49
	v_subrev_u32_e32 v61, 28, v49
	v_lshlrev_b64 v[62:63], v61, v[38:39]
	v_lshrrev_b32_e32 v47, 3, v40
	v_sub_u32_e32 v49, 29, v49
	v_and_b32_e32 v61, 7, v62
	v_cmp_gt_u32_e32 vcc, 8, v40
	v_cndmask_b32_e32 v40, v47, v49, vcc
	v_cndmask_b32_e32 v42, v42, v61, vcc
	v_lshlrev_b32_e32 v47, 24, v38
	v_lshlrev_b32_e32 v42, 20, v42
	v_and_b32_e32 v47, 0x80000000, v47
	v_lshl_add_u32 v40, v40, 23, v45
	v_or3_b32 v40, v47, v40, v42
	v_lshrrev_b32_e32 v49, 16, v40
.LBB917_289:                            ;   in Loop: Header=BB917_213 Depth=1
	s_or_b64 exec, exec, s[16:17]
.LBB917_290:                            ;   in Loop: Header=BB917_213 Depth=1
	s_or_b64 exec, exec, s[14:15]
.LBB917_291:                            ;   in Loop: Header=BB917_213 Depth=1
	s_or_b64 exec, exec, s[12:13]
	v_lshrrev_b16_e32 v40, 8, v38
	v_cmp_ne_u16_e32 vcc, 0, v40
	v_mov_b32_e32 v62, 0
	v_mov_b32_e32 v61, 0
	s_and_saveexec_b64 s[12:13], vcc
	s_cbranch_execz .LBB917_297
; %bb.292:                              ;   in Loop: Header=BB917_213 Depth=1
	v_cmp_ne_u16_e32 vcc, s9, v40
	v_mov_b32_e32 v61, 0xffff8000
	s_and_saveexec_b64 s[14:15], vcc
	s_cbranch_execz .LBB917_296
; %bb.293:                              ;   in Loop: Header=BB917_213 Depth=1
	v_and_b32_e32 v42, 0x7f, v40
	v_cmp_ne_u32_e32 vcc, s21, v42
	v_mov_b32_e32 v61, 0x7f80
	s_and_saveexec_b64 s[16:17], vcc
	s_cbranch_execz .LBB917_295
; %bb.294:                              ;   in Loop: Header=BB917_213 Depth=1
	v_and_b32_e32 v47, 7, v40
	v_ffbh_u32_e32 v63, v47
	v_min_u32_e32 v63, 32, v63
	v_subrev_u32_e32 v64, 28, v63
	v_lshlrev_b64 v[64:65], v64, v[40:41]
	v_lshrrev_b32_e32 v61, 3, v42
	v_sub_u32_e32 v40, 29, v63
	v_and_b32_e32 v63, 7, v64
	v_cmp_gt_u32_e32 vcc, 8, v42
	v_cndmask_b32_e32 v40, v61, v40, vcc
	v_cndmask_b32_e32 v42, v47, v63, vcc
	v_lshlrev_b32_e32 v47, 16, v38
	v_lshlrev_b32_e32 v42, 20, v42
	v_and_b32_e32 v47, 0x80000000, v47
	v_lshl_add_u32 v40, v40, 23, v45
	v_or3_b32 v40, v47, v40, v42
	v_lshrrev_b32_e32 v61, 16, v40
.LBB917_295:                            ;   in Loop: Header=BB917_213 Depth=1
	s_or_b64 exec, exec, s[16:17]
.LBB917_296:                            ;   in Loop: Header=BB917_213 Depth=1
	s_or_b64 exec, exec, s[14:15]
.LBB917_297:                            ;   in Loop: Header=BB917_213 Depth=1
	s_or_b64 exec, exec, s[12:13]
	v_lshrrev_b32_e32 v40, 16, v38
	v_cmp_ne_u16_sdwa s[14:15], v40, v43 src0_sel:BYTE_0 src1_sel:DWORD
	s_and_saveexec_b64 s[12:13], s[14:15]
	s_cbranch_execz .LBB917_303
; %bb.298:                              ;   in Loop: Header=BB917_213 Depth=1
	v_cmp_ne_u16_sdwa s[16:17], v40, s9 src0_sel:BYTE_0 src1_sel:DWORD
	v_mov_b32_e32 v62, 0xffff8000
	s_and_saveexec_b64 s[14:15], s[16:17]
	s_cbranch_execz .LBB917_302
; %bb.299:                              ;   in Loop: Header=BB917_213 Depth=1
	v_bfe_u32 v42, v38, 16, 7
	v_cmp_ne_u32_e32 vcc, s21, v42
	v_mov_b32_e32 v62, 0x7f80
	s_and_saveexec_b64 s[16:17], vcc
	s_cbranch_execz .LBB917_301
; %bb.300:                              ;   in Loop: Header=BB917_213 Depth=1
	v_and_b32_e32 v47, 7, v40
	v_ffbh_u32_e32 v62, v47
	v_min_u32_e32 v65, 32, v62
	v_subrev_u32_e32 v62, 28, v65
	v_lshlrev_b64 v[62:63], v62, v[40:41]
	v_lshrrev_b32_e32 v64, 3, v42
	v_sub_u32_e32 v63, 29, v65
	v_and_b32_e32 v62, 7, v62
	v_cmp_gt_u32_e32 vcc, 8, v42
	v_cndmask_b32_e32 v42, v64, v63, vcc
	v_cndmask_b32_e32 v47, v47, v62, vcc
	v_lshlrev_b32_e32 v40, 24, v40
	v_lshlrev_b32_e32 v47, 20, v47
	v_and_b32_e32 v40, 0x80000000, v40
	v_lshl_add_u32 v42, v42, 23, v45
	v_or3_b32 v40, v40, v42, v47
	v_lshrrev_b32_e32 v62, 16, v40
.LBB917_301:                            ;   in Loop: Header=BB917_213 Depth=1
	s_or_b64 exec, exec, s[16:17]
.LBB917_302:                            ;   in Loop: Header=BB917_213 Depth=1
	s_or_b64 exec, exec, s[14:15]
.LBB917_303:                            ;   in Loop: Header=BB917_213 Depth=1
	s_or_b64 exec, exec, s[12:13]
	v_cmp_lt_u32_e32 vcc, s22, v38
	v_mov_b32_e32 v47, 0
	v_mov_b32_e32 v63, 0
	s_and_saveexec_b64 s[12:13], vcc
	s_cbranch_execz .LBB917_309
; %bb.304:                              ;   in Loop: Header=BB917_213 Depth=1
	v_lshrrev_b32_e32 v40, 24, v38
	v_cmp_ne_u32_e32 vcc, s9, v40
	v_mov_b32_e32 v63, 0xffff8000
	s_and_saveexec_b64 s[14:15], vcc
	s_cbranch_execz .LBB917_308
; %bb.305:                              ;   in Loop: Header=BB917_213 Depth=1
	v_bfe_u32 v38, v38, 24, 7
	v_cmp_ne_u32_e32 vcc, s21, v38
	v_mov_b32_e32 v63, 0x7f80
	s_and_saveexec_b64 s[16:17], vcc
	s_cbranch_execz .LBB917_307
; %bb.306:                              ;   in Loop: Header=BB917_213 Depth=1
	v_and_b32_e32 v42, 7, v40
	v_ffbh_u32_e32 v64, v42
	v_min_u32_e32 v66, 32, v64
	v_subrev_u32_e32 v64, 28, v66
	v_lshlrev_b64 v[64:65], v64, v[40:41]
	v_lshrrev_b32_e32 v63, 3, v38
	v_sub_u32_e32 v65, 29, v66
	v_and_b32_e32 v64, 7, v64
	v_cmp_gt_u32_e32 vcc, 8, v38
	v_cndmask_b32_e32 v38, v63, v65, vcc
	v_cndmask_b32_e32 v42, v42, v64, vcc
	v_lshlrev_b32_e32 v40, 24, v40
	v_lshlrev_b32_e32 v42, 20, v42
	v_and_b32_e32 v40, 0x80000000, v40
	v_lshl_add_u32 v38, v38, 23, v45
	v_or3_b32 v38, v40, v38, v42
	v_lshrrev_b32_e32 v63, 16, v38
.LBB917_307:                            ;   in Loop: Header=BB917_213 Depth=1
	s_or_b64 exec, exec, s[16:17]
.LBB917_308:                            ;   in Loop: Header=BB917_213 Depth=1
	s_or_b64 exec, exec, s[14:15]
.LBB917_309:                            ;   in Loop: Header=BB917_213 Depth=1
	s_or_b64 exec, exec, s[12:13]
	v_perm_b32 v64, v46, v44, s23
	buffer_load_dword v44, v59, s[0:3], 0 offen
	buffer_load_dword v42, v59, s[0:3], 0 offen offset:4
	buffer_load_dword v40, v59, s[0:3], 0 offen offset:8
	;; [unrolled: 1-line block ×3, first 2 shown]
	v_perm_b32 v65, v60, v48, s23
	v_perm_b32 v63, v63, v62, s23
	;; [unrolled: 1-line block ×3, first 2 shown]
	v_mfma_f32_16x16x16bf16_1k v[34:37], v[64:65], v[6:7], v[34:37]
	s_waitcnt vmcnt(3)
	v_cmp_ne_u16_sdwa s[14:15], v44, v43 src0_sel:BYTE_0 src1_sel:DWORD
	v_mfma_f32_16x16x16bf16_1k v[34:37], v[62:63], v[8:9], v[34:37]
	s_and_saveexec_b64 s[12:13], s[14:15]
	s_cbranch_execz .LBB917_315
; %bb.310:                              ;   in Loop: Header=BB917_213 Depth=1
	v_cmp_ne_u16_sdwa s[16:17], v44, s9 src0_sel:BYTE_0 src1_sel:DWORD
	v_mov_b32_e32 v47, 0xffff8000
	s_and_saveexec_b64 s[14:15], s[16:17]
	s_cbranch_execz .LBB917_314
; %bb.311:                              ;   in Loop: Header=BB917_213 Depth=1
	v_and_b32_e32 v46, 0x7f, v44
	v_cmp_ne_u32_e32 vcc, s21, v46
	v_mov_b32_e32 v47, 0x7f80
	s_and_saveexec_b64 s[16:17], vcc
	s_cbranch_execz .LBB917_313
; %bb.312:                              ;   in Loop: Header=BB917_213 Depth=1
	v_and_b32_e32 v47, 7, v44
	v_ffbh_u32_e32 v48, v47
	v_min_u32_e32 v60, 32, v48
	v_subrev_u32_e32 v48, 28, v60
	v_lshlrev_b64 v[48:49], v48, v[44:45]
	v_lshrrev_b32_e32 v59, 3, v46
	v_sub_u32_e32 v49, 29, v60
	v_and_b32_e32 v48, 7, v48
	v_cmp_gt_u32_e32 vcc, 8, v46
	v_cndmask_b32_e32 v46, v59, v49, vcc
	v_cndmask_b32_e32 v47, v47, v48, vcc
	v_lshlrev_b32_e32 v48, 24, v44
	v_lshlrev_b32_e32 v47, 20, v47
	v_and_b32_e32 v48, 0x80000000, v48
	v_lshl_add_u32 v46, v46, 23, v45
	v_or3_b32 v46, v48, v46, v47
	v_lshrrev_b32_e32 v47, 16, v46
.LBB917_313:                            ;   in Loop: Header=BB917_213 Depth=1
	s_or_b64 exec, exec, s[16:17]
.LBB917_314:                            ;   in Loop: Header=BB917_213 Depth=1
	s_or_b64 exec, exec, s[14:15]
.LBB917_315:                            ;   in Loop: Header=BB917_213 Depth=1
	s_or_b64 exec, exec, s[12:13]
	v_lshrrev_b16_e32 v46, 8, v44
	v_cmp_ne_u16_e32 vcc, 0, v46
	v_mov_b32_e32 v49, 0
	v_mov_b32_e32 v48, 0
	s_and_saveexec_b64 s[12:13], vcc
	s_cbranch_execz .LBB917_321
; %bb.316:                              ;   in Loop: Header=BB917_213 Depth=1
	v_cmp_ne_u16_e32 vcc, s9, v46
	v_mov_b32_e32 v48, 0xffff8000
	s_and_saveexec_b64 s[14:15], vcc
	s_cbranch_execz .LBB917_320
; %bb.317:                              ;   in Loop: Header=BB917_213 Depth=1
	v_and_b32_e32 v59, 0x7f, v46
	v_cmp_ne_u32_e32 vcc, s21, v59
	v_mov_b32_e32 v48, 0x7f80
	s_and_saveexec_b64 s[16:17], vcc
	s_cbranch_execz .LBB917_319
; %bb.318:                              ;   in Loop: Header=BB917_213 Depth=1
	v_and_b32_e32 v48, 7, v46
	v_ffbh_u32_e32 v60, v48
	v_min_u32_e32 v63, 32, v60
	v_subrev_u32_e32 v60, 28, v63
	v_lshlrev_b64 v[60:61], v60, v[46:47]
	v_lshrrev_b32_e32 v62, 3, v59
	v_sub_u32_e32 v46, 29, v63
	v_and_b32_e32 v60, 7, v60
	v_cmp_gt_u32_e32 vcc, 8, v59
	v_cndmask_b32_e32 v46, v62, v46, vcc
	v_cndmask_b32_e32 v48, v48, v60, vcc
	v_lshlrev_b32_e32 v59, 16, v44
	v_lshlrev_b32_e32 v48, 20, v48
	v_and_b32_e32 v59, 0x80000000, v59
	v_lshl_add_u32 v46, v46, 23, v45
	v_or3_b32 v46, v59, v46, v48
	v_lshrrev_b32_e32 v48, 16, v46
.LBB917_319:                            ;   in Loop: Header=BB917_213 Depth=1
	s_or_b64 exec, exec, s[16:17]
.LBB917_320:                            ;   in Loop: Header=BB917_213 Depth=1
	s_or_b64 exec, exec, s[14:15]
.LBB917_321:                            ;   in Loop: Header=BB917_213 Depth=1
	s_or_b64 exec, exec, s[12:13]
	v_lshrrev_b32_e32 v46, 16, v44
	v_cmp_ne_u16_sdwa s[14:15], v46, v43 src0_sel:BYTE_0 src1_sel:DWORD
	s_and_saveexec_b64 s[12:13], s[14:15]
	s_cbranch_execz .LBB917_327
; %bb.322:                              ;   in Loop: Header=BB917_213 Depth=1
	v_cmp_ne_u16_sdwa s[16:17], v46, s9 src0_sel:BYTE_0 src1_sel:DWORD
	v_mov_b32_e32 v49, 0xffff8000
	s_and_saveexec_b64 s[14:15], s[16:17]
	s_cbranch_execz .LBB917_326
; %bb.323:                              ;   in Loop: Header=BB917_213 Depth=1
	v_bfe_u32 v59, v44, 16, 7
	v_cmp_ne_u32_e32 vcc, s21, v59
	v_mov_b32_e32 v49, 0x7f80
	s_and_saveexec_b64 s[16:17], vcc
	s_cbranch_execz .LBB917_325
; %bb.324:                              ;   in Loop: Header=BB917_213 Depth=1
	v_and_b32_e32 v49, 7, v46
	v_ffbh_u32_e32 v60, v49
	v_min_u32_e32 v63, 32, v60
	v_subrev_u32_e32 v60, 28, v63
	v_lshlrev_b64 v[60:61], v60, v[46:47]
	v_lshrrev_b32_e32 v62, 3, v59
	v_sub_u32_e32 v61, 29, v63
	v_and_b32_e32 v60, 7, v60
	v_cmp_gt_u32_e32 vcc, 8, v59
	v_cndmask_b32_e32 v59, v62, v61, vcc
	v_cndmask_b32_e32 v49, v49, v60, vcc
	v_lshlrev_b32_e32 v46, 24, v46
	v_lshlrev_b32_e32 v49, 20, v49
	v_and_b32_e32 v46, 0x80000000, v46
	v_lshl_add_u32 v59, v59, 23, v45
	v_or3_b32 v46, v46, v59, v49
	v_lshrrev_b32_e32 v49, 16, v46
.LBB917_325:                            ;   in Loop: Header=BB917_213 Depth=1
	s_or_b64 exec, exec, s[16:17]
.LBB917_326:                            ;   in Loop: Header=BB917_213 Depth=1
	s_or_b64 exec, exec, s[14:15]
.LBB917_327:                            ;   in Loop: Header=BB917_213 Depth=1
	s_or_b64 exec, exec, s[12:13]
	v_cmp_lt_u32_e32 vcc, s22, v44
	v_mov_b32_e32 v59, 0
	v_mov_b32_e32 v60, 0
	s_and_saveexec_b64 s[12:13], vcc
	s_cbranch_execz .LBB917_333
; %bb.328:                              ;   in Loop: Header=BB917_213 Depth=1
	v_lshrrev_b32_e32 v46, 24, v44
	v_cmp_ne_u32_e32 vcc, s9, v46
	v_mov_b32_e32 v60, 0xffff8000
	s_and_saveexec_b64 s[14:15], vcc
	s_cbranch_execz .LBB917_332
; %bb.329:                              ;   in Loop: Header=BB917_213 Depth=1
	v_bfe_u32 v44, v44, 24, 7
	v_cmp_ne_u32_e32 vcc, s21, v44
	v_mov_b32_e32 v60, 0x7f80
	s_and_saveexec_b64 s[16:17], vcc
	s_cbranch_execz .LBB917_331
; %bb.330:                              ;   in Loop: Header=BB917_213 Depth=1
	v_and_b32_e32 v62, 7, v46
	v_ffbh_u32_e32 v60, v62
	v_min_u32_e32 v64, 32, v60
	v_subrev_u32_e32 v60, 28, v64
	v_lshlrev_b64 v[60:61], v60, v[46:47]
	v_lshrrev_b32_e32 v63, 3, v44
	v_sub_u32_e32 v61, 29, v64
	v_and_b32_e32 v60, 7, v60
	v_cmp_gt_u32_e32 vcc, 8, v44
	v_cndmask_b32_e32 v44, v63, v61, vcc
	v_cndmask_b32_e32 v60, v62, v60, vcc
	v_lshlrev_b32_e32 v46, 24, v46
	v_lshlrev_b32_e32 v60, 20, v60
	v_and_b32_e32 v46, 0x80000000, v46
	v_lshl_add_u32 v44, v44, 23, v45
	v_or3_b32 v44, v46, v44, v60
	v_lshrrev_b32_e32 v60, 16, v44
.LBB917_331:                            ;   in Loop: Header=BB917_213 Depth=1
	s_or_b64 exec, exec, s[16:17]
.LBB917_332:                            ;   in Loop: Header=BB917_213 Depth=1
	s_or_b64 exec, exec, s[14:15]
.LBB917_333:                            ;   in Loop: Header=BB917_213 Depth=1
	s_or_b64 exec, exec, s[12:13]
	s_waitcnt vmcnt(2)
	v_cmp_ne_u16_sdwa s[14:15], v42, v43 src0_sel:BYTE_0 src1_sel:DWORD
	s_and_saveexec_b64 s[12:13], s[14:15]
	s_cbranch_execz .LBB917_339
; %bb.334:                              ;   in Loop: Header=BB917_213 Depth=1
	v_cmp_ne_u16_sdwa s[16:17], v42, s9 src0_sel:BYTE_0 src1_sel:DWORD
	v_mov_b32_e32 v59, 0xffff8000
	s_and_saveexec_b64 s[14:15], s[16:17]
	s_cbranch_execz .LBB917_338
; %bb.335:                              ;   in Loop: Header=BB917_213 Depth=1
	v_and_b32_e32 v44, 0x7f, v42
	v_cmp_ne_u32_e32 vcc, s21, v44
	v_mov_b32_e32 v59, 0x7f80
	s_and_saveexec_b64 s[16:17], vcc
	s_cbranch_execz .LBB917_337
; %bb.336:                              ;   in Loop: Header=BB917_213 Depth=1
	v_and_b32_e32 v46, 7, v42
	v_ffbh_u32_e32 v61, v46
	v_min_u32_e32 v61, 32, v61
	v_subrev_u32_e32 v62, 28, v61
	v_lshlrev_b64 v[62:63], v62, v[42:43]
	v_lshrrev_b32_e32 v59, 3, v44
	v_sub_u32_e32 v61, 29, v61
	v_and_b32_e32 v62, 7, v62
	v_cmp_gt_u32_e32 vcc, 8, v44
	v_cndmask_b32_e32 v44, v59, v61, vcc
	v_cndmask_b32_e32 v46, v46, v62, vcc
	v_lshlrev_b32_e32 v59, 24, v42
	v_lshlrev_b32_e32 v46, 20, v46
	v_and_b32_e32 v59, 0x80000000, v59
	v_lshl_add_u32 v44, v44, 23, v45
	v_or3_b32 v44, v59, v44, v46
	v_lshrrev_b32_e32 v59, 16, v44
.LBB917_337:                            ;   in Loop: Header=BB917_213 Depth=1
	s_or_b64 exec, exec, s[16:17]
.LBB917_338:                            ;   in Loop: Header=BB917_213 Depth=1
	s_or_b64 exec, exec, s[14:15]
.LBB917_339:                            ;   in Loop: Header=BB917_213 Depth=1
	s_or_b64 exec, exec, s[12:13]
	v_lshrrev_b16_e32 v44, 8, v42
	v_cmp_ne_u16_e32 vcc, 0, v44
	v_mov_b32_e32 v62, 0
	v_mov_b32_e32 v61, 0
	s_and_saveexec_b64 s[12:13], vcc
	s_cbranch_execz .LBB917_345
; %bb.340:                              ;   in Loop: Header=BB917_213 Depth=1
	v_cmp_ne_u16_e32 vcc, s9, v44
	v_mov_b32_e32 v61, 0xffff8000
	s_and_saveexec_b64 s[14:15], vcc
	s_cbranch_execz .LBB917_344
; %bb.341:                              ;   in Loop: Header=BB917_213 Depth=1
	v_and_b32_e32 v46, 0x7f, v44
	v_cmp_ne_u32_e32 vcc, s21, v46
	v_mov_b32_e32 v61, 0x7f80
	s_and_saveexec_b64 s[16:17], vcc
	s_cbranch_execz .LBB917_343
; %bb.342:                              ;   in Loop: Header=BB917_213 Depth=1
	v_and_b32_e32 v61, 7, v44
	v_ffbh_u32_e32 v64, v61
	v_min_u32_e32 v66, 32, v64
	v_subrev_u32_e32 v64, 28, v66
	v_lshlrev_b64 v[64:65], v64, v[44:45]
	v_lshrrev_b32_e32 v63, 3, v46
	v_sub_u32_e32 v44, 29, v66
	v_and_b32_e32 v64, 7, v64
	v_cmp_gt_u32_e32 vcc, 8, v46
	v_cndmask_b32_e32 v44, v63, v44, vcc
	v_cndmask_b32_e32 v46, v61, v64, vcc
	v_lshlrev_b32_e32 v61, 16, v42
	v_lshlrev_b32_e32 v46, 20, v46
	v_and_b32_e32 v61, 0x80000000, v61
	v_lshl_add_u32 v44, v44, 23, v45
	v_or3_b32 v44, v61, v44, v46
	v_lshrrev_b32_e32 v61, 16, v44
.LBB917_343:                            ;   in Loop: Header=BB917_213 Depth=1
	s_or_b64 exec, exec, s[16:17]
.LBB917_344:                            ;   in Loop: Header=BB917_213 Depth=1
	s_or_b64 exec, exec, s[14:15]
.LBB917_345:                            ;   in Loop: Header=BB917_213 Depth=1
	s_or_b64 exec, exec, s[12:13]
	v_lshrrev_b32_e32 v44, 16, v42
	v_cmp_ne_u16_sdwa s[14:15], v44, v43 src0_sel:BYTE_0 src1_sel:DWORD
	s_and_saveexec_b64 s[12:13], s[14:15]
	s_cbranch_execz .LBB917_351
; %bb.346:                              ;   in Loop: Header=BB917_213 Depth=1
	v_cmp_ne_u16_sdwa s[16:17], v44, s9 src0_sel:BYTE_0 src1_sel:DWORD
	v_mov_b32_e32 v62, 0xffff8000
	s_and_saveexec_b64 s[14:15], s[16:17]
	s_cbranch_execz .LBB917_350
; %bb.347:                              ;   in Loop: Header=BB917_213 Depth=1
	v_bfe_u32 v46, v42, 16, 7
	v_cmp_ne_u32_e32 vcc, s21, v46
	v_mov_b32_e32 v62, 0x7f80
	s_and_saveexec_b64 s[16:17], vcc
	s_cbranch_execz .LBB917_349
; %bb.348:                              ;   in Loop: Header=BB917_213 Depth=1
	v_and_b32_e32 v64, 7, v44
	v_ffbh_u32_e32 v62, v64
	v_min_u32_e32 v66, 32, v62
	v_subrev_u32_e32 v62, 28, v66
	v_lshlrev_b64 v[62:63], v62, v[44:45]
	v_lshrrev_b32_e32 v65, 3, v46
	v_sub_u32_e32 v63, 29, v66
	v_and_b32_e32 v62, 7, v62
	v_cmp_gt_u32_e32 vcc, 8, v46
	v_cndmask_b32_e32 v46, v65, v63, vcc
	v_cndmask_b32_e32 v62, v64, v62, vcc
	v_lshlrev_b32_e32 v44, 24, v44
	v_lshlrev_b32_e32 v62, 20, v62
	v_and_b32_e32 v44, 0x80000000, v44
	v_lshl_add_u32 v46, v46, 23, v45
	v_or3_b32 v44, v44, v46, v62
	v_lshrrev_b32_e32 v62, 16, v44
.LBB917_349:                            ;   in Loop: Header=BB917_213 Depth=1
	s_or_b64 exec, exec, s[16:17]
.LBB917_350:                            ;   in Loop: Header=BB917_213 Depth=1
	s_or_b64 exec, exec, s[14:15]
.LBB917_351:                            ;   in Loop: Header=BB917_213 Depth=1
	s_or_b64 exec, exec, s[12:13]
	v_cmp_lt_u32_e32 vcc, s22, v42
	v_mov_b32_e32 v46, 0
	v_mov_b32_e32 v63, 0
	s_and_saveexec_b64 s[12:13], vcc
	s_cbranch_execz .LBB917_357
; %bb.352:                              ;   in Loop: Header=BB917_213 Depth=1
	v_lshrrev_b32_e32 v44, 24, v42
	v_cmp_ne_u32_e32 vcc, s9, v44
	v_mov_b32_e32 v63, 0xffff8000
	s_and_saveexec_b64 s[14:15], vcc
	s_cbranch_execz .LBB917_356
; %bb.353:                              ;   in Loop: Header=BB917_213 Depth=1
	v_bfe_u32 v42, v42, 24, 7
	v_cmp_ne_u32_e32 vcc, s21, v42
	v_mov_b32_e32 v63, 0x7f80
	s_and_saveexec_b64 s[16:17], vcc
	s_cbranch_execz .LBB917_355
; %bb.354:                              ;   in Loop: Header=BB917_213 Depth=1
	v_and_b32_e32 v63, 7, v44
	v_ffbh_u32_e32 v64, v63
	v_min_u32_e32 v67, 32, v64
	v_subrev_u32_e32 v64, 28, v67
	v_lshlrev_b64 v[64:65], v64, v[44:45]
	v_lshrrev_b32_e32 v66, 3, v42
	v_sub_u32_e32 v65, 29, v67
	v_and_b32_e32 v64, 7, v64
	v_cmp_gt_u32_e32 vcc, 8, v42
	v_cndmask_b32_e32 v42, v66, v65, vcc
	v_cndmask_b32_e32 v63, v63, v64, vcc
	v_lshlrev_b32_e32 v44, 24, v44
	v_lshlrev_b32_e32 v63, 20, v63
	v_and_b32_e32 v44, 0x80000000, v44
	v_lshl_add_u32 v42, v42, 23, v45
	v_or3_b32 v42, v44, v42, v63
	v_lshrrev_b32_e32 v63, 16, v42
.LBB917_355:                            ;   in Loop: Header=BB917_213 Depth=1
	s_or_b64 exec, exec, s[16:17]
.LBB917_356:                            ;   in Loop: Header=BB917_213 Depth=1
	s_or_b64 exec, exec, s[14:15]
.LBB917_357:                            ;   in Loop: Header=BB917_213 Depth=1
	s_or_b64 exec, exec, s[12:13]
	v_perm_b32 v49, v60, v49, s23
	v_perm_b32 v48, v48, v47, s23
	s_waitcnt vmcnt(1)
	v_cmp_ne_u16_sdwa s[14:15], v40, v43 src0_sel:BYTE_0 src1_sel:DWORD
	v_mfma_f32_16x16x16bf16_1k v[34:37], v[48:49], v[10:11], v[34:37]
	v_perm_b32 v49, v63, v62, s23
	v_perm_b32 v48, v61, v59, s23
	s_nop 1
	v_mfma_f32_16x16x16bf16_1k v[34:37], v[48:49], v[12:13], v[34:37]
	s_and_saveexec_b64 s[12:13], s[14:15]
	s_cbranch_execz .LBB917_363
; %bb.358:                              ;   in Loop: Header=BB917_213 Depth=1
	v_cmp_ne_u16_sdwa s[16:17], v40, s9 src0_sel:BYTE_0 src1_sel:DWORD
	v_mov_b32_e32 v46, 0xffff8000
	s_and_saveexec_b64 s[14:15], s[16:17]
	s_cbranch_execz .LBB917_362
; %bb.359:                              ;   in Loop: Header=BB917_213 Depth=1
	v_and_b32_e32 v42, 0x7f, v40
	v_cmp_ne_u32_e32 vcc, s21, v42
	v_mov_b32_e32 v46, 0x7f80
	s_and_saveexec_b64 s[16:17], vcc
	s_cbranch_execz .LBB917_361
; %bb.360:                              ;   in Loop: Header=BB917_213 Depth=1
	v_and_b32_e32 v44, 7, v40
	v_ffbh_u32_e32 v46, v44
	v_min_u32_e32 v49, 32, v46
	v_subrev_u32_e32 v46, 28, v49
	v_lshlrev_b64 v[46:47], v46, v[40:41]
	v_lshrrev_b32_e32 v48, 3, v42
	v_sub_u32_e32 v47, 29, v49
	v_and_b32_e32 v46, 7, v46
	v_cmp_gt_u32_e32 vcc, 8, v42
	v_cndmask_b32_e32 v42, v48, v47, vcc
	v_cndmask_b32_e32 v44, v44, v46, vcc
	v_lshlrev_b32_e32 v46, 24, v40
	v_lshlrev_b32_e32 v44, 20, v44
	v_and_b32_e32 v46, 0x80000000, v46
	v_lshl_add_u32 v42, v42, 23, v45
	v_or3_b32 v42, v46, v42, v44
	v_lshrrev_b32_e32 v46, 16, v42
.LBB917_361:                            ;   in Loop: Header=BB917_213 Depth=1
	s_or_b64 exec, exec, s[16:17]
.LBB917_362:                            ;   in Loop: Header=BB917_213 Depth=1
	s_or_b64 exec, exec, s[14:15]
.LBB917_363:                            ;   in Loop: Header=BB917_213 Depth=1
	s_or_b64 exec, exec, s[12:13]
	v_lshrrev_b16_e32 v42, 8, v40
	v_cmp_ne_u16_e32 vcc, 0, v42
	v_mov_b32_e32 v48, 0
	v_mov_b32_e32 v44, 0
	s_and_saveexec_b64 s[12:13], vcc
	s_cbranch_execz .LBB917_369
; %bb.364:                              ;   in Loop: Header=BB917_213 Depth=1
	v_cmp_ne_u16_e32 vcc, s9, v42
	v_mov_b32_e32 v44, 0xffff8000
	s_and_saveexec_b64 s[14:15], vcc
	s_cbranch_execz .LBB917_368
; %bb.365:                              ;   in Loop: Header=BB917_213 Depth=1
	v_and_b32_e32 v47, 0x7f, v42
	v_cmp_ne_u32_e32 vcc, s21, v47
	v_mov_b32_e32 v44, 0x7f80
	s_and_saveexec_b64 s[16:17], vcc
	s_cbranch_execz .LBB917_367
; %bb.366:                              ;   in Loop: Header=BB917_213 Depth=1
	v_and_b32_e32 v44, 7, v42
	v_ffbh_u32_e32 v59, v44
	v_min_u32_e32 v59, 32, v59
	v_subrev_u32_e32 v60, 28, v59
	v_lshlrev_b64 v[60:61], v60, v[42:43]
	v_lshrrev_b32_e32 v49, 3, v47
	v_sub_u32_e32 v42, 29, v59
	v_and_b32_e32 v59, 7, v60
	v_cmp_gt_u32_e32 vcc, 8, v47
	v_cndmask_b32_e32 v42, v49, v42, vcc
	v_cndmask_b32_e32 v44, v44, v59, vcc
	v_lshlrev_b32_e32 v47, 16, v40
	v_lshlrev_b32_e32 v44, 20, v44
	v_and_b32_e32 v47, 0x80000000, v47
	v_lshl_add_u32 v42, v42, 23, v45
	v_or3_b32 v42, v47, v42, v44
	v_lshrrev_b32_e32 v44, 16, v42
.LBB917_367:                            ;   in Loop: Header=BB917_213 Depth=1
	s_or_b64 exec, exec, s[16:17]
.LBB917_368:                            ;   in Loop: Header=BB917_213 Depth=1
	s_or_b64 exec, exec, s[14:15]
.LBB917_369:                            ;   in Loop: Header=BB917_213 Depth=1
	s_or_b64 exec, exec, s[12:13]
	v_lshrrev_b32_e32 v42, 16, v40
	v_cmp_ne_u16_sdwa s[14:15], v42, v43 src0_sel:BYTE_0 src1_sel:DWORD
	s_and_saveexec_b64 s[12:13], s[14:15]
	s_cbranch_execz .LBB917_375
; %bb.370:                              ;   in Loop: Header=BB917_213 Depth=1
	v_cmp_ne_u16_sdwa s[16:17], v42, s9 src0_sel:BYTE_0 src1_sel:DWORD
	v_mov_b32_e32 v48, 0xffff8000
	s_and_saveexec_b64 s[14:15], s[16:17]
	s_cbranch_execz .LBB917_374
; %bb.371:                              ;   in Loop: Header=BB917_213 Depth=1
	v_bfe_u32 v47, v40, 16, 7
	v_cmp_ne_u32_e32 vcc, s21, v47
	v_mov_b32_e32 v48, 0x7f80
	s_and_saveexec_b64 s[16:17], vcc
	s_cbranch_execz .LBB917_373
; %bb.372:                              ;   in Loop: Header=BB917_213 Depth=1
	v_and_b32_e32 v59, 7, v42
	v_ffbh_u32_e32 v48, v59
	v_min_u32_e32 v61, 32, v48
	v_subrev_u32_e32 v48, 28, v61
	v_lshlrev_b64 v[48:49], v48, v[42:43]
	v_lshrrev_b32_e32 v60, 3, v47
	v_sub_u32_e32 v49, 29, v61
	v_and_b32_e32 v48, 7, v48
	v_cmp_gt_u32_e32 vcc, 8, v47
	v_cndmask_b32_e32 v47, v60, v49, vcc
	v_cndmask_b32_e32 v48, v59, v48, vcc
	v_lshlrev_b32_e32 v42, 24, v42
	v_lshlrev_b32_e32 v48, 20, v48
	v_and_b32_e32 v42, 0x80000000, v42
	v_lshl_add_u32 v47, v47, 23, v45
	v_or3_b32 v42, v42, v47, v48
	v_lshrrev_b32_e32 v48, 16, v42
.LBB917_373:                            ;   in Loop: Header=BB917_213 Depth=1
	s_or_b64 exec, exec, s[16:17]
.LBB917_374:                            ;   in Loop: Header=BB917_213 Depth=1
	s_or_b64 exec, exec, s[14:15]
.LBB917_375:                            ;   in Loop: Header=BB917_213 Depth=1
	s_or_b64 exec, exec, s[12:13]
	v_cmp_lt_u32_e32 vcc, s22, v40
	v_mov_b32_e32 v49, 0
	v_mov_b32_e32 v59, 0
	s_and_saveexec_b64 s[12:13], vcc
	s_cbranch_execz .LBB917_381
; %bb.376:                              ;   in Loop: Header=BB917_213 Depth=1
	v_lshrrev_b32_e32 v42, 24, v40
	v_cmp_ne_u32_e32 vcc, s9, v42
	v_mov_b32_e32 v59, 0xffff8000
	s_and_saveexec_b64 s[14:15], vcc
	s_cbranch_execz .LBB917_380
; %bb.377:                              ;   in Loop: Header=BB917_213 Depth=1
	v_bfe_u32 v40, v40, 24, 7
	v_cmp_ne_u32_e32 vcc, s21, v40
	v_mov_b32_e32 v59, 0x7f80
	s_and_saveexec_b64 s[16:17], vcc
	s_cbranch_execz .LBB917_379
; %bb.378:                              ;   in Loop: Header=BB917_213 Depth=1
	v_and_b32_e32 v47, 7, v42
	v_ffbh_u32_e32 v60, v47
	v_min_u32_e32 v62, 32, v60
	v_subrev_u32_e32 v60, 28, v62
	v_lshlrev_b64 v[60:61], v60, v[42:43]
	v_lshrrev_b32_e32 v59, 3, v40
	v_sub_u32_e32 v61, 29, v62
	v_and_b32_e32 v60, 7, v60
	v_cmp_gt_u32_e32 vcc, 8, v40
	v_cndmask_b32_e32 v40, v59, v61, vcc
	v_cndmask_b32_e32 v47, v47, v60, vcc
	v_lshlrev_b32_e32 v42, 24, v42
	v_lshlrev_b32_e32 v47, 20, v47
	v_and_b32_e32 v42, 0x80000000, v42
	v_lshl_add_u32 v40, v40, 23, v45
	v_or3_b32 v40, v42, v40, v47
	v_lshrrev_b32_e32 v59, 16, v40
.LBB917_379:                            ;   in Loop: Header=BB917_213 Depth=1
	s_or_b64 exec, exec, s[16:17]
.LBB917_380:                            ;   in Loop: Header=BB917_213 Depth=1
	s_or_b64 exec, exec, s[14:15]
.LBB917_381:                            ;   in Loop: Header=BB917_213 Depth=1
	s_or_b64 exec, exec, s[12:13]
	s_waitcnt vmcnt(0)
	v_cmp_ne_u16_sdwa s[14:15], v38, v43 src0_sel:BYTE_0 src1_sel:DWORD
	s_and_saveexec_b64 s[12:13], s[14:15]
	s_cbranch_execz .LBB917_387
; %bb.382:                              ;   in Loop: Header=BB917_213 Depth=1
	v_cmp_ne_u16_sdwa s[16:17], v38, s9 src0_sel:BYTE_0 src1_sel:DWORD
	v_mov_b32_e32 v49, 0xffff8000
	s_and_saveexec_b64 s[14:15], s[16:17]
	s_cbranch_execz .LBB917_386
; %bb.383:                              ;   in Loop: Header=BB917_213 Depth=1
	v_and_b32_e32 v40, 0x7f, v38
	v_cmp_ne_u32_e32 vcc, s21, v40
	v_mov_b32_e32 v49, 0x7f80
	s_and_saveexec_b64 s[16:17], vcc
	s_cbranch_execz .LBB917_385
; %bb.384:                              ;   in Loop: Header=BB917_213 Depth=1
	v_and_b32_e32 v42, 7, v38
	v_ffbh_u32_e32 v49, v42
	v_min_u32_e32 v49, 32, v49
	v_subrev_u32_e32 v60, 28, v49
	v_lshlrev_b64 v[60:61], v60, v[38:39]
	v_lshrrev_b32_e32 v47, 3, v40
	v_sub_u32_e32 v49, 29, v49
	v_and_b32_e32 v60, 7, v60
	v_cmp_gt_u32_e32 vcc, 8, v40
	v_cndmask_b32_e32 v40, v47, v49, vcc
	v_cndmask_b32_e32 v42, v42, v60, vcc
	v_lshlrev_b32_e32 v47, 24, v38
	v_lshlrev_b32_e32 v42, 20, v42
	v_and_b32_e32 v47, 0x80000000, v47
	v_lshl_add_u32 v40, v40, 23, v45
	v_or3_b32 v40, v47, v40, v42
	v_lshrrev_b32_e32 v49, 16, v40
.LBB917_385:                            ;   in Loop: Header=BB917_213 Depth=1
	s_or_b64 exec, exec, s[16:17]
.LBB917_386:                            ;   in Loop: Header=BB917_213 Depth=1
	s_or_b64 exec, exec, s[14:15]
.LBB917_387:                            ;   in Loop: Header=BB917_213 Depth=1
	s_or_b64 exec, exec, s[12:13]
	v_lshrrev_b16_e32 v40, 8, v38
	v_cmp_ne_u16_e32 vcc, 0, v40
	v_mov_b32_e32 v61, 0
	v_mov_b32_e32 v60, 0
	s_and_saveexec_b64 s[12:13], vcc
	s_cbranch_execz .LBB917_393
; %bb.388:                              ;   in Loop: Header=BB917_213 Depth=1
	v_cmp_ne_u16_e32 vcc, s9, v40
	v_mov_b32_e32 v60, 0xffff8000
	s_and_saveexec_b64 s[14:15], vcc
	s_cbranch_execz .LBB917_392
; %bb.389:                              ;   in Loop: Header=BB917_213 Depth=1
	v_and_b32_e32 v42, 0x7f, v40
	v_cmp_ne_u32_e32 vcc, s21, v42
	v_mov_b32_e32 v60, 0x7f80
	s_and_saveexec_b64 s[16:17], vcc
	s_cbranch_execz .LBB917_391
; %bb.390:                              ;   in Loop: Header=BB917_213 Depth=1
	v_and_b32_e32 v47, 7, v40
	v_ffbh_u32_e32 v62, v47
	v_min_u32_e32 v64, 32, v62
	v_subrev_u32_e32 v62, 28, v64
	v_lshlrev_b64 v[62:63], v62, v[40:41]
	v_lshrrev_b32_e32 v60, 3, v42
	v_sub_u32_e32 v40, 29, v64
	v_and_b32_e32 v62, 7, v62
	v_cmp_gt_u32_e32 vcc, 8, v42
	v_cndmask_b32_e32 v40, v60, v40, vcc
	v_cndmask_b32_e32 v42, v47, v62, vcc
	v_lshlrev_b32_e32 v47, 16, v38
	v_lshlrev_b32_e32 v42, 20, v42
	v_and_b32_e32 v47, 0x80000000, v47
	v_lshl_add_u32 v40, v40, 23, v45
	v_or3_b32 v40, v47, v40, v42
	v_lshrrev_b32_e32 v60, 16, v40
.LBB917_391:                            ;   in Loop: Header=BB917_213 Depth=1
	s_or_b64 exec, exec, s[16:17]
.LBB917_392:                            ;   in Loop: Header=BB917_213 Depth=1
	s_or_b64 exec, exec, s[14:15]
.LBB917_393:                            ;   in Loop: Header=BB917_213 Depth=1
	s_or_b64 exec, exec, s[12:13]
	v_lshrrev_b32_e32 v40, 16, v38
	v_cmp_ne_u16_sdwa s[14:15], v40, v43 src0_sel:BYTE_0 src1_sel:DWORD
	s_and_saveexec_b64 s[12:13], s[14:15]
	s_cbranch_execz .LBB917_399
; %bb.394:                              ;   in Loop: Header=BB917_213 Depth=1
	v_cmp_ne_u16_sdwa s[16:17], v40, s9 src0_sel:BYTE_0 src1_sel:DWORD
	v_mov_b32_e32 v61, 0xffff8000
	s_and_saveexec_b64 s[14:15], s[16:17]
	s_cbranch_execz .LBB917_398
; %bb.395:                              ;   in Loop: Header=BB917_213 Depth=1
	v_bfe_u32 v42, v38, 16, 7
	v_cmp_ne_u32_e32 vcc, s21, v42
	v_mov_b32_e32 v61, 0x7f80
	s_and_saveexec_b64 s[16:17], vcc
	s_cbranch_execz .LBB917_397
; %bb.396:                              ;   in Loop: Header=BB917_213 Depth=1
	v_and_b32_e32 v47, 7, v40
	v_ffbh_u32_e32 v62, v47
	v_min_u32_e32 v64, 32, v62
	v_subrev_u32_e32 v62, 28, v64
	v_lshlrev_b64 v[62:63], v62, v[40:41]
	v_lshrrev_b32_e32 v61, 3, v42
	v_sub_u32_e32 v63, 29, v64
	v_and_b32_e32 v62, 7, v62
	v_cmp_gt_u32_e32 vcc, 8, v42
	v_cndmask_b32_e32 v42, v61, v63, vcc
	v_cndmask_b32_e32 v47, v47, v62, vcc
	v_lshlrev_b32_e32 v40, 24, v40
	v_lshlrev_b32_e32 v47, 20, v47
	v_and_b32_e32 v40, 0x80000000, v40
	v_lshl_add_u32 v42, v42, 23, v45
	v_or3_b32 v40, v40, v42, v47
	v_lshrrev_b32_e32 v61, 16, v40
.LBB917_397:                            ;   in Loop: Header=BB917_213 Depth=1
	s_or_b64 exec, exec, s[16:17]
.LBB917_398:                            ;   in Loop: Header=BB917_213 Depth=1
	s_or_b64 exec, exec, s[14:15]
.LBB917_399:                            ;   in Loop: Header=BB917_213 Depth=1
	s_or_b64 exec, exec, s[12:13]
	v_cmp_lt_u32_e32 vcc, s22, v38
	v_mov_b32_e32 v47, 0
	v_mov_b32_e32 v62, 0
	s_and_saveexec_b64 s[12:13], vcc
	s_cbranch_execz .LBB917_405
; %bb.400:                              ;   in Loop: Header=BB917_213 Depth=1
	v_lshrrev_b32_e32 v40, 24, v38
	v_cmp_ne_u32_e32 vcc, s9, v40
	v_mov_b32_e32 v62, 0xffff8000
	s_and_saveexec_b64 s[14:15], vcc
	s_cbranch_execz .LBB917_404
; %bb.401:                              ;   in Loop: Header=BB917_213 Depth=1
	v_bfe_u32 v38, v38, 24, 7
	v_cmp_ne_u32_e32 vcc, s21, v38
	v_mov_b32_e32 v62, 0x7f80
	s_and_saveexec_b64 s[16:17], vcc
	s_cbranch_execz .LBB917_403
; %bb.402:                              ;   in Loop: Header=BB917_213 Depth=1
	v_and_b32_e32 v42, 7, v40
	v_ffbh_u32_e32 v62, v42
	v_min_u32_e32 v65, 32, v62
	v_subrev_u32_e32 v62, 28, v65
	v_lshlrev_b64 v[62:63], v62, v[40:41]
	v_lshrrev_b32_e32 v64, 3, v38
	v_sub_u32_e32 v63, 29, v65
	v_and_b32_e32 v62, 7, v62
	v_cmp_gt_u32_e32 vcc, 8, v38
	v_cndmask_b32_e32 v38, v64, v63, vcc
	v_cndmask_b32_e32 v42, v42, v62, vcc
	v_lshlrev_b32_e32 v40, 24, v40
	v_lshlrev_b32_e32 v42, 20, v42
	v_and_b32_e32 v40, 0x80000000, v40
	v_lshl_add_u32 v38, v38, 23, v45
	v_or3_b32 v38, v40, v38, v42
	v_lshrrev_b32_e32 v62, 16, v38
.LBB917_403:                            ;   in Loop: Header=BB917_213 Depth=1
	s_or_b64 exec, exec, s[16:17]
.LBB917_404:                            ;   in Loop: Header=BB917_213 Depth=1
	s_or_b64 exec, exec, s[14:15]
.LBB917_405:                            ;   in Loop: Header=BB917_213 Depth=1
	s_or_b64 exec, exec, s[12:13]
	v_perm_b32 v64, v44, v46, s23
	buffer_load_dword v44, v58, s[0:3], 0 offen
	buffer_load_dword v42, v58, s[0:3], 0 offen offset:4
	buffer_load_dword v40, v58, s[0:3], 0 offen offset:8
	;; [unrolled: 1-line block ×3, first 2 shown]
	v_perm_b32 v65, v59, v48, s23
	v_perm_b32 v59, v62, v61, s23
	;; [unrolled: 1-line block ×3, first 2 shown]
	v_mfma_f32_16x16x16bf16_1k v[34:37], v[64:65], v[14:15], v[34:37]
	s_waitcnt vmcnt(3)
	v_cmp_ne_u16_sdwa s[14:15], v44, v43 src0_sel:BYTE_0 src1_sel:DWORD
	v_mfma_f32_16x16x16bf16_1k v[34:37], v[58:59], v[16:17], v[34:37]
	s_and_saveexec_b64 s[12:13], s[14:15]
	s_cbranch_execz .LBB917_411
; %bb.406:                              ;   in Loop: Header=BB917_213 Depth=1
	v_cmp_ne_u16_sdwa s[16:17], v44, s9 src0_sel:BYTE_0 src1_sel:DWORD
	v_mov_b32_e32 v47, 0xffff8000
	s_and_saveexec_b64 s[14:15], s[16:17]
	s_cbranch_execz .LBB917_410
; %bb.407:                              ;   in Loop: Header=BB917_213 Depth=1
	v_and_b32_e32 v46, 0x7f, v44
	v_cmp_ne_u32_e32 vcc, s21, v46
	v_mov_b32_e32 v47, 0x7f80
	s_and_saveexec_b64 s[16:17], vcc
	s_cbranch_execz .LBB917_409
; %bb.408:                              ;   in Loop: Header=BB917_213 Depth=1
	v_and_b32_e32 v47, 7, v44
	v_ffbh_u32_e32 v48, v47
	v_min_u32_e32 v59, 32, v48
	v_subrev_u32_e32 v48, 28, v59
	v_lshlrev_b64 v[48:49], v48, v[44:45]
	v_lshrrev_b32_e32 v58, 3, v46
	v_sub_u32_e32 v49, 29, v59
	v_and_b32_e32 v48, 7, v48
	v_cmp_gt_u32_e32 vcc, 8, v46
	v_cndmask_b32_e32 v46, v58, v49, vcc
	v_cndmask_b32_e32 v47, v47, v48, vcc
	v_lshlrev_b32_e32 v48, 24, v44
	v_lshlrev_b32_e32 v47, 20, v47
	v_and_b32_e32 v48, 0x80000000, v48
	v_lshl_add_u32 v46, v46, 23, v45
	v_or3_b32 v46, v48, v46, v47
	v_lshrrev_b32_e32 v47, 16, v46
.LBB917_409:                            ;   in Loop: Header=BB917_213 Depth=1
	s_or_b64 exec, exec, s[16:17]
.LBB917_410:                            ;   in Loop: Header=BB917_213 Depth=1
	s_or_b64 exec, exec, s[14:15]
.LBB917_411:                            ;   in Loop: Header=BB917_213 Depth=1
	s_or_b64 exec, exec, s[12:13]
	v_lshrrev_b16_e32 v46, 8, v44
	v_cmp_ne_u16_e32 vcc, 0, v46
	v_mov_b32_e32 v49, 0
	v_mov_b32_e32 v48, 0
	s_and_saveexec_b64 s[12:13], vcc
	s_cbranch_execz .LBB917_417
; %bb.412:                              ;   in Loop: Header=BB917_213 Depth=1
	v_cmp_ne_u16_e32 vcc, s9, v46
	v_mov_b32_e32 v48, 0xffff8000
	s_and_saveexec_b64 s[14:15], vcc
	s_cbranch_execz .LBB917_416
; %bb.413:                              ;   in Loop: Header=BB917_213 Depth=1
	v_and_b32_e32 v58, 0x7f, v46
	v_cmp_ne_u32_e32 vcc, s21, v58
	v_mov_b32_e32 v48, 0x7f80
	s_and_saveexec_b64 s[16:17], vcc
	s_cbranch_execz .LBB917_415
; %bb.414:                              ;   in Loop: Header=BB917_213 Depth=1
	v_and_b32_e32 v48, 7, v46
	v_ffbh_u32_e32 v60, v48
	v_min_u32_e32 v62, 32, v60
	v_subrev_u32_e32 v60, 28, v62
	v_lshlrev_b64 v[60:61], v60, v[46:47]
	v_lshrrev_b32_e32 v59, 3, v58
	v_sub_u32_e32 v46, 29, v62
	v_and_b32_e32 v60, 7, v60
	v_cmp_gt_u32_e32 vcc, 8, v58
	v_cndmask_b32_e32 v46, v59, v46, vcc
	v_cndmask_b32_e32 v48, v48, v60, vcc
	v_lshlrev_b32_e32 v58, 16, v44
	v_lshlrev_b32_e32 v48, 20, v48
	v_and_b32_e32 v58, 0x80000000, v58
	v_lshl_add_u32 v46, v46, 23, v45
	v_or3_b32 v46, v58, v46, v48
	v_lshrrev_b32_e32 v48, 16, v46
.LBB917_415:                            ;   in Loop: Header=BB917_213 Depth=1
	s_or_b64 exec, exec, s[16:17]
.LBB917_416:                            ;   in Loop: Header=BB917_213 Depth=1
	s_or_b64 exec, exec, s[14:15]
.LBB917_417:                            ;   in Loop: Header=BB917_213 Depth=1
	s_or_b64 exec, exec, s[12:13]
	v_lshrrev_b32_e32 v46, 16, v44
	v_cmp_ne_u16_sdwa s[14:15], v46, v43 src0_sel:BYTE_0 src1_sel:DWORD
	s_and_saveexec_b64 s[12:13], s[14:15]
	s_cbranch_execz .LBB917_423
; %bb.418:                              ;   in Loop: Header=BB917_213 Depth=1
	v_cmp_ne_u16_sdwa s[16:17], v46, s9 src0_sel:BYTE_0 src1_sel:DWORD
	v_mov_b32_e32 v49, 0xffff8000
	s_and_saveexec_b64 s[14:15], s[16:17]
	s_cbranch_execz .LBB917_422
; %bb.419:                              ;   in Loop: Header=BB917_213 Depth=1
	v_bfe_u32 v58, v44, 16, 7
	v_cmp_ne_u32_e32 vcc, s21, v58
	v_mov_b32_e32 v49, 0x7f80
	s_and_saveexec_b64 s[16:17], vcc
	s_cbranch_execz .LBB917_421
; %bb.420:                              ;   in Loop: Header=BB917_213 Depth=1
	v_and_b32_e32 v49, 7, v46
	v_ffbh_u32_e32 v60, v49
	v_min_u32_e32 v62, 32, v60
	v_subrev_u32_e32 v60, 28, v62
	v_lshlrev_b64 v[60:61], v60, v[46:47]
	v_lshrrev_b32_e32 v59, 3, v58
	v_sub_u32_e32 v61, 29, v62
	v_and_b32_e32 v60, 7, v60
	v_cmp_gt_u32_e32 vcc, 8, v58
	v_cndmask_b32_e32 v58, v59, v61, vcc
	v_cndmask_b32_e32 v49, v49, v60, vcc
	v_lshlrev_b32_e32 v46, 24, v46
	v_lshlrev_b32_e32 v49, 20, v49
	v_and_b32_e32 v46, 0x80000000, v46
	v_lshl_add_u32 v58, v58, 23, v45
	v_or3_b32 v46, v46, v58, v49
	v_lshrrev_b32_e32 v49, 16, v46
.LBB917_421:                            ;   in Loop: Header=BB917_213 Depth=1
	s_or_b64 exec, exec, s[16:17]
.LBB917_422:                            ;   in Loop: Header=BB917_213 Depth=1
	s_or_b64 exec, exec, s[14:15]
.LBB917_423:                            ;   in Loop: Header=BB917_213 Depth=1
	s_or_b64 exec, exec, s[12:13]
	v_cmp_lt_u32_e32 vcc, s22, v44
	v_mov_b32_e32 v58, 0
	v_mov_b32_e32 v59, 0
	s_and_saveexec_b64 s[12:13], vcc
	s_cbranch_execz .LBB917_429
; %bb.424:                              ;   in Loop: Header=BB917_213 Depth=1
	v_lshrrev_b32_e32 v46, 24, v44
	v_cmp_ne_u32_e32 vcc, s9, v46
	v_mov_b32_e32 v59, 0xffff8000
	s_and_saveexec_b64 s[14:15], vcc
	s_cbranch_execz .LBB917_428
; %bb.425:                              ;   in Loop: Header=BB917_213 Depth=1
	v_bfe_u32 v44, v44, 24, 7
	v_cmp_ne_u32_e32 vcc, s21, v44
	v_mov_b32_e32 v59, 0x7f80
	s_and_saveexec_b64 s[16:17], vcc
	s_cbranch_execz .LBB917_427
; %bb.426:                              ;   in Loop: Header=BB917_213 Depth=1
	v_and_b32_e32 v59, 7, v46
	v_ffbh_u32_e32 v60, v59
	v_min_u32_e32 v63, 32, v60
	v_subrev_u32_e32 v60, 28, v63
	v_lshlrev_b64 v[60:61], v60, v[46:47]
	v_lshrrev_b32_e32 v62, 3, v44
	v_sub_u32_e32 v61, 29, v63
	v_and_b32_e32 v60, 7, v60
	v_cmp_gt_u32_e32 vcc, 8, v44
	v_cndmask_b32_e32 v44, v62, v61, vcc
	v_cndmask_b32_e32 v59, v59, v60, vcc
	v_lshlrev_b32_e32 v46, 24, v46
	v_lshlrev_b32_e32 v59, 20, v59
	v_and_b32_e32 v46, 0x80000000, v46
	v_lshl_add_u32 v44, v44, 23, v45
	v_or3_b32 v44, v46, v44, v59
	v_lshrrev_b32_e32 v59, 16, v44
.LBB917_427:                            ;   in Loop: Header=BB917_213 Depth=1
	s_or_b64 exec, exec, s[16:17]
.LBB917_428:                            ;   in Loop: Header=BB917_213 Depth=1
	s_or_b64 exec, exec, s[14:15]
.LBB917_429:                            ;   in Loop: Header=BB917_213 Depth=1
	s_or_b64 exec, exec, s[12:13]
	s_waitcnt vmcnt(2)
	v_cmp_ne_u16_sdwa s[14:15], v42, v43 src0_sel:BYTE_0 src1_sel:DWORD
	s_and_saveexec_b64 s[12:13], s[14:15]
	s_cbranch_execz .LBB917_435
; %bb.430:                              ;   in Loop: Header=BB917_213 Depth=1
	v_cmp_ne_u16_sdwa s[16:17], v42, s9 src0_sel:BYTE_0 src1_sel:DWORD
	v_mov_b32_e32 v58, 0xffff8000
	s_and_saveexec_b64 s[14:15], s[16:17]
	s_cbranch_execz .LBB917_434
; %bb.431:                              ;   in Loop: Header=BB917_213 Depth=1
	v_and_b32_e32 v44, 0x7f, v42
	v_cmp_ne_u32_e32 vcc, s21, v44
	v_mov_b32_e32 v58, 0x7f80
	s_and_saveexec_b64 s[16:17], vcc
	s_cbranch_execz .LBB917_433
; %bb.432:                              ;   in Loop: Header=BB917_213 Depth=1
	v_and_b32_e32 v46, 7, v42
	v_ffbh_u32_e32 v60, v46
	v_min_u32_e32 v62, 32, v60
	v_subrev_u32_e32 v60, 28, v62
	v_lshlrev_b64 v[60:61], v60, v[42:43]
	v_lshrrev_b32_e32 v58, 3, v44
	v_sub_u32_e32 v61, 29, v62
	v_and_b32_e32 v60, 7, v60
	v_cmp_gt_u32_e32 vcc, 8, v44
	v_cndmask_b32_e32 v44, v58, v61, vcc
	v_cndmask_b32_e32 v46, v46, v60, vcc
	v_lshlrev_b32_e32 v58, 24, v42
	v_lshlrev_b32_e32 v46, 20, v46
	v_and_b32_e32 v58, 0x80000000, v58
	v_lshl_add_u32 v44, v44, 23, v45
	v_or3_b32 v44, v58, v44, v46
	v_lshrrev_b32_e32 v58, 16, v44
.LBB917_433:                            ;   in Loop: Header=BB917_213 Depth=1
	s_or_b64 exec, exec, s[16:17]
.LBB917_434:                            ;   in Loop: Header=BB917_213 Depth=1
	s_or_b64 exec, exec, s[14:15]
.LBB917_435:                            ;   in Loop: Header=BB917_213 Depth=1
	s_or_b64 exec, exec, s[12:13]
	v_lshrrev_b16_e32 v44, 8, v42
	v_cmp_ne_u16_e32 vcc, 0, v44
	v_mov_b32_e32 v61, 0
	v_mov_b32_e32 v60, 0
	s_and_saveexec_b64 s[12:13], vcc
	s_cbranch_execz .LBB917_441
; %bb.436:                              ;   in Loop: Header=BB917_213 Depth=1
	v_cmp_ne_u16_e32 vcc, s9, v44
	v_mov_b32_e32 v60, 0xffff8000
	s_and_saveexec_b64 s[14:15], vcc
	s_cbranch_execz .LBB917_440
; %bb.437:                              ;   in Loop: Header=BB917_213 Depth=1
	v_and_b32_e32 v46, 0x7f, v44
	v_cmp_ne_u32_e32 vcc, s21, v46
	v_mov_b32_e32 v60, 0x7f80
	s_and_saveexec_b64 s[16:17], vcc
	s_cbranch_execz .LBB917_439
; %bb.438:                              ;   in Loop: Header=BB917_213 Depth=1
	v_and_b32_e32 v60, 7, v44
	v_ffbh_u32_e32 v62, v60
	v_min_u32_e32 v65, 32, v62
	v_subrev_u32_e32 v62, 28, v65
	v_lshlrev_b64 v[62:63], v62, v[44:45]
	v_lshrrev_b32_e32 v64, 3, v46
	v_sub_u32_e32 v44, 29, v65
	v_and_b32_e32 v62, 7, v62
	v_cmp_gt_u32_e32 vcc, 8, v46
	v_cndmask_b32_e32 v44, v64, v44, vcc
	v_cndmask_b32_e32 v46, v60, v62, vcc
	v_lshlrev_b32_e32 v60, 16, v42
	v_lshlrev_b32_e32 v46, 20, v46
	v_and_b32_e32 v60, 0x80000000, v60
	v_lshl_add_u32 v44, v44, 23, v45
	v_or3_b32 v44, v60, v44, v46
	v_lshrrev_b32_e32 v60, 16, v44
.LBB917_439:                            ;   in Loop: Header=BB917_213 Depth=1
	s_or_b64 exec, exec, s[16:17]
.LBB917_440:                            ;   in Loop: Header=BB917_213 Depth=1
	s_or_b64 exec, exec, s[14:15]
.LBB917_441:                            ;   in Loop: Header=BB917_213 Depth=1
	s_or_b64 exec, exec, s[12:13]
	v_lshrrev_b32_e32 v44, 16, v42
	v_cmp_ne_u16_sdwa s[14:15], v44, v43 src0_sel:BYTE_0 src1_sel:DWORD
	s_and_saveexec_b64 s[12:13], s[14:15]
	s_cbranch_execz .LBB917_447
; %bb.442:                              ;   in Loop: Header=BB917_213 Depth=1
	v_cmp_ne_u16_sdwa s[16:17], v44, s9 src0_sel:BYTE_0 src1_sel:DWORD
	v_mov_b32_e32 v61, 0xffff8000
	s_and_saveexec_b64 s[14:15], s[16:17]
	s_cbranch_execz .LBB917_446
; %bb.443:                              ;   in Loop: Header=BB917_213 Depth=1
	v_bfe_u32 v46, v42, 16, 7
	v_cmp_ne_u32_e32 vcc, s21, v46
	v_mov_b32_e32 v61, 0x7f80
	s_and_saveexec_b64 s[16:17], vcc
	s_cbranch_execz .LBB917_445
; %bb.444:                              ;   in Loop: Header=BB917_213 Depth=1
	v_and_b32_e32 v61, 7, v44
	v_ffbh_u32_e32 v62, v61
	v_min_u32_e32 v65, 32, v62
	v_subrev_u32_e32 v62, 28, v65
	v_lshlrev_b64 v[62:63], v62, v[44:45]
	v_lshrrev_b32_e32 v64, 3, v46
	v_sub_u32_e32 v63, 29, v65
	v_and_b32_e32 v62, 7, v62
	v_cmp_gt_u32_e32 vcc, 8, v46
	v_cndmask_b32_e32 v46, v64, v63, vcc
	v_cndmask_b32_e32 v61, v61, v62, vcc
	v_lshlrev_b32_e32 v44, 24, v44
	v_lshlrev_b32_e32 v61, 20, v61
	v_and_b32_e32 v44, 0x80000000, v44
	v_lshl_add_u32 v46, v46, 23, v45
	v_or3_b32 v44, v44, v46, v61
	v_lshrrev_b32_e32 v61, 16, v44
.LBB917_445:                            ;   in Loop: Header=BB917_213 Depth=1
	s_or_b64 exec, exec, s[16:17]
.LBB917_446:                            ;   in Loop: Header=BB917_213 Depth=1
	s_or_b64 exec, exec, s[14:15]
.LBB917_447:                            ;   in Loop: Header=BB917_213 Depth=1
	s_or_b64 exec, exec, s[12:13]
	v_cmp_lt_u32_e32 vcc, s22, v42
	v_mov_b32_e32 v46, 0
	v_mov_b32_e32 v62, 0
	s_and_saveexec_b64 s[12:13], vcc
	s_cbranch_execz .LBB917_453
; %bb.448:                              ;   in Loop: Header=BB917_213 Depth=1
	v_lshrrev_b32_e32 v44, 24, v42
	v_cmp_ne_u32_e32 vcc, s9, v44
	v_mov_b32_e32 v62, 0xffff8000
	s_and_saveexec_b64 s[14:15], vcc
	s_cbranch_execz .LBB917_452
; %bb.449:                              ;   in Loop: Header=BB917_213 Depth=1
	v_bfe_u32 v42, v42, 24, 7
	v_cmp_ne_u32_e32 vcc, s21, v42
	v_mov_b32_e32 v62, 0x7f80
	s_and_saveexec_b64 s[16:17], vcc
	s_cbranch_execz .LBB917_451
; %bb.450:                              ;   in Loop: Header=BB917_213 Depth=1
	v_and_b32_e32 v64, 7, v44
	v_ffbh_u32_e32 v62, v64
	v_min_u32_e32 v66, 32, v62
	v_subrev_u32_e32 v62, 28, v66
	v_lshlrev_b64 v[62:63], v62, v[44:45]
	v_lshrrev_b32_e32 v65, 3, v42
	v_sub_u32_e32 v63, 29, v66
	v_and_b32_e32 v62, 7, v62
	v_cmp_gt_u32_e32 vcc, 8, v42
	v_cndmask_b32_e32 v42, v65, v63, vcc
	v_cndmask_b32_e32 v62, v64, v62, vcc
	v_lshlrev_b32_e32 v44, 24, v44
	v_lshlrev_b32_e32 v62, 20, v62
	v_and_b32_e32 v44, 0x80000000, v44
	v_lshl_add_u32 v42, v42, 23, v45
	v_or3_b32 v42, v44, v42, v62
	v_lshrrev_b32_e32 v62, 16, v42
.LBB917_451:                            ;   in Loop: Header=BB917_213 Depth=1
	s_or_b64 exec, exec, s[16:17]
.LBB917_452:                            ;   in Loop: Header=BB917_213 Depth=1
	s_or_b64 exec, exec, s[14:15]
.LBB917_453:                            ;   in Loop: Header=BB917_213 Depth=1
	s_or_b64 exec, exec, s[12:13]
	v_perm_b32 v49, v59, v49, s23
	v_perm_b32 v48, v48, v47, s23
	s_waitcnt vmcnt(1)
	v_cmp_ne_u16_sdwa s[14:15], v40, v43 src0_sel:BYTE_0 src1_sel:DWORD
	v_mfma_f32_16x16x16bf16_1k v[34:37], v[48:49], v[18:19], v[34:37]
	v_perm_b32 v49, v62, v61, s23
	v_perm_b32 v48, v60, v58, s23
	s_nop 1
	v_mfma_f32_16x16x16bf16_1k v[34:37], v[48:49], v[20:21], v[34:37]
	s_and_saveexec_b64 s[12:13], s[14:15]
	s_cbranch_execz .LBB917_459
; %bb.454:                              ;   in Loop: Header=BB917_213 Depth=1
	v_cmp_ne_u16_sdwa s[16:17], v40, s9 src0_sel:BYTE_0 src1_sel:DWORD
	v_mov_b32_e32 v46, 0xffff8000
	s_and_saveexec_b64 s[14:15], s[16:17]
	s_cbranch_execz .LBB917_458
; %bb.455:                              ;   in Loop: Header=BB917_213 Depth=1
	v_and_b32_e32 v42, 0x7f, v40
	v_cmp_ne_u32_e32 vcc, s21, v42
	v_mov_b32_e32 v46, 0x7f80
	s_and_saveexec_b64 s[16:17], vcc
	s_cbranch_execz .LBB917_457
; %bb.456:                              ;   in Loop: Header=BB917_213 Depth=1
	v_and_b32_e32 v44, 7, v40
	v_ffbh_u32_e32 v46, v44
	v_min_u32_e32 v49, 32, v46
	v_subrev_u32_e32 v46, 28, v49
	v_lshlrev_b64 v[46:47], v46, v[40:41]
	v_lshrrev_b32_e32 v48, 3, v42
	v_sub_u32_e32 v47, 29, v49
	v_and_b32_e32 v46, 7, v46
	v_cmp_gt_u32_e32 vcc, 8, v42
	v_cndmask_b32_e32 v42, v48, v47, vcc
	v_cndmask_b32_e32 v44, v44, v46, vcc
	v_lshlrev_b32_e32 v46, 24, v40
	v_lshlrev_b32_e32 v44, 20, v44
	v_and_b32_e32 v46, 0x80000000, v46
	v_lshl_add_u32 v42, v42, 23, v45
	v_or3_b32 v42, v46, v42, v44
	v_lshrrev_b32_e32 v46, 16, v42
.LBB917_457:                            ;   in Loop: Header=BB917_213 Depth=1
	s_or_b64 exec, exec, s[16:17]
.LBB917_458:                            ;   in Loop: Header=BB917_213 Depth=1
	s_or_b64 exec, exec, s[14:15]
.LBB917_459:                            ;   in Loop: Header=BB917_213 Depth=1
	s_or_b64 exec, exec, s[12:13]
	v_lshrrev_b16_e32 v42, 8, v40
	v_cmp_ne_u16_e32 vcc, 0, v42
	v_mov_b32_e32 v48, 0
	v_mov_b32_e32 v44, 0
	s_and_saveexec_b64 s[12:13], vcc
	s_cbranch_execz .LBB917_465
; %bb.460:                              ;   in Loop: Header=BB917_213 Depth=1
	v_cmp_ne_u16_e32 vcc, s9, v42
	v_mov_b32_e32 v44, 0xffff8000
	s_and_saveexec_b64 s[14:15], vcc
	s_cbranch_execz .LBB917_464
; %bb.461:                              ;   in Loop: Header=BB917_213 Depth=1
	v_and_b32_e32 v47, 0x7f, v42
	v_cmp_ne_u32_e32 vcc, s21, v47
	v_mov_b32_e32 v44, 0x7f80
	s_and_saveexec_b64 s[16:17], vcc
	s_cbranch_execz .LBB917_463
; %bb.462:                              ;   in Loop: Header=BB917_213 Depth=1
	v_and_b32_e32 v44, 7, v42
	v_ffbh_u32_e32 v58, v44
	v_min_u32_e32 v60, 32, v58
	v_subrev_u32_e32 v58, 28, v60
	v_lshlrev_b64 v[58:59], v58, v[42:43]
	v_lshrrev_b32_e32 v49, 3, v47
	v_sub_u32_e32 v42, 29, v60
	v_and_b32_e32 v58, 7, v58
	v_cmp_gt_u32_e32 vcc, 8, v47
	v_cndmask_b32_e32 v42, v49, v42, vcc
	v_cndmask_b32_e32 v44, v44, v58, vcc
	v_lshlrev_b32_e32 v47, 16, v40
	v_lshlrev_b32_e32 v44, 20, v44
	v_and_b32_e32 v47, 0x80000000, v47
	v_lshl_add_u32 v42, v42, 23, v45
	v_or3_b32 v42, v47, v42, v44
	v_lshrrev_b32_e32 v44, 16, v42
.LBB917_463:                            ;   in Loop: Header=BB917_213 Depth=1
	s_or_b64 exec, exec, s[16:17]
.LBB917_464:                            ;   in Loop: Header=BB917_213 Depth=1
	s_or_b64 exec, exec, s[14:15]
.LBB917_465:                            ;   in Loop: Header=BB917_213 Depth=1
	s_or_b64 exec, exec, s[12:13]
	v_lshrrev_b32_e32 v42, 16, v40
	v_cmp_ne_u16_sdwa s[14:15], v42, v43 src0_sel:BYTE_0 src1_sel:DWORD
	s_and_saveexec_b64 s[12:13], s[14:15]
	s_cbranch_execz .LBB917_471
; %bb.466:                              ;   in Loop: Header=BB917_213 Depth=1
	v_cmp_ne_u16_sdwa s[16:17], v42, s9 src0_sel:BYTE_0 src1_sel:DWORD
	v_mov_b32_e32 v48, 0xffff8000
	s_and_saveexec_b64 s[14:15], s[16:17]
	s_cbranch_execz .LBB917_470
; %bb.467:                              ;   in Loop: Header=BB917_213 Depth=1
	v_bfe_u32 v47, v40, 16, 7
	v_cmp_ne_u32_e32 vcc, s21, v47
	v_mov_b32_e32 v48, 0x7f80
	s_and_saveexec_b64 s[16:17], vcc
	s_cbranch_execz .LBB917_469
; %bb.468:                              ;   in Loop: Header=BB917_213 Depth=1
	v_and_b32_e32 v58, 7, v42
	v_ffbh_u32_e32 v48, v58
	v_min_u32_e32 v60, 32, v48
	v_subrev_u32_e32 v48, 28, v60
	v_lshlrev_b64 v[48:49], v48, v[42:43]
	v_lshrrev_b32_e32 v59, 3, v47
	v_sub_u32_e32 v49, 29, v60
	v_and_b32_e32 v48, 7, v48
	v_cmp_gt_u32_e32 vcc, 8, v47
	v_cndmask_b32_e32 v47, v59, v49, vcc
	v_cndmask_b32_e32 v48, v58, v48, vcc
	v_lshlrev_b32_e32 v42, 24, v42
	v_lshlrev_b32_e32 v48, 20, v48
	v_and_b32_e32 v42, 0x80000000, v42
	v_lshl_add_u32 v47, v47, 23, v45
	v_or3_b32 v42, v42, v47, v48
	v_lshrrev_b32_e32 v48, 16, v42
.LBB917_469:                            ;   in Loop: Header=BB917_213 Depth=1
	s_or_b64 exec, exec, s[16:17]
.LBB917_470:                            ;   in Loop: Header=BB917_213 Depth=1
	s_or_b64 exec, exec, s[14:15]
.LBB917_471:                            ;   in Loop: Header=BB917_213 Depth=1
	s_or_b64 exec, exec, s[12:13]
	v_cmp_lt_u32_e32 vcc, s22, v40
	v_mov_b32_e32 v49, 0
	v_mov_b32_e32 v58, 0
	s_and_saveexec_b64 s[12:13], vcc
	s_cbranch_execz .LBB917_477
; %bb.472:                              ;   in Loop: Header=BB917_213 Depth=1
	v_lshrrev_b32_e32 v42, 24, v40
	v_cmp_ne_u32_e32 vcc, s9, v42
	v_mov_b32_e32 v58, 0xffff8000
	s_and_saveexec_b64 s[14:15], vcc
	s_cbranch_execz .LBB917_476
; %bb.473:                              ;   in Loop: Header=BB917_213 Depth=1
	v_bfe_u32 v40, v40, 24, 7
	v_cmp_ne_u32_e32 vcc, s21, v40
	v_mov_b32_e32 v58, 0x7f80
	s_and_saveexec_b64 s[16:17], vcc
	s_cbranch_execz .LBB917_475
; %bb.474:                              ;   in Loop: Header=BB917_213 Depth=1
	v_and_b32_e32 v47, 7, v42
	v_ffbh_u32_e32 v58, v47
	v_min_u32_e32 v61, 32, v58
	v_subrev_u32_e32 v58, 28, v61
	v_lshlrev_b64 v[58:59], v58, v[42:43]
	v_lshrrev_b32_e32 v60, 3, v40
	v_sub_u32_e32 v59, 29, v61
	v_and_b32_e32 v58, 7, v58
	v_cmp_gt_u32_e32 vcc, 8, v40
	v_cndmask_b32_e32 v40, v60, v59, vcc
	v_cndmask_b32_e32 v47, v47, v58, vcc
	v_lshlrev_b32_e32 v42, 24, v42
	v_lshlrev_b32_e32 v47, 20, v47
	v_and_b32_e32 v42, 0x80000000, v42
	v_lshl_add_u32 v40, v40, 23, v45
	v_or3_b32 v40, v42, v40, v47
	v_lshrrev_b32_e32 v58, 16, v40
.LBB917_475:                            ;   in Loop: Header=BB917_213 Depth=1
	s_or_b64 exec, exec, s[16:17]
.LBB917_476:                            ;   in Loop: Header=BB917_213 Depth=1
	s_or_b64 exec, exec, s[14:15]
.LBB917_477:                            ;   in Loop: Header=BB917_213 Depth=1
	s_or_b64 exec, exec, s[12:13]
	s_waitcnt vmcnt(0)
	v_cmp_ne_u16_sdwa s[14:15], v38, v43 src0_sel:BYTE_0 src1_sel:DWORD
	s_and_saveexec_b64 s[12:13], s[14:15]
	s_cbranch_execz .LBB917_483
; %bb.478:                              ;   in Loop: Header=BB917_213 Depth=1
	v_cmp_ne_u16_sdwa s[16:17], v38, s9 src0_sel:BYTE_0 src1_sel:DWORD
	v_mov_b32_e32 v49, 0xffff8000
	s_and_saveexec_b64 s[14:15], s[16:17]
	s_cbranch_execz .LBB917_482
; %bb.479:                              ;   in Loop: Header=BB917_213 Depth=1
	v_and_b32_e32 v40, 0x7f, v38
	v_cmp_ne_u32_e32 vcc, s21, v40
	v_mov_b32_e32 v49, 0x7f80
	s_and_saveexec_b64 s[16:17], vcc
	s_cbranch_execz .LBB917_481
; %bb.480:                              ;   in Loop: Header=BB917_213 Depth=1
	v_and_b32_e32 v42, 7, v38
	v_ffbh_u32_e32 v49, v42
	v_min_u32_e32 v49, 32, v49
	v_subrev_u32_e32 v59, 28, v49
	v_lshlrev_b64 v[60:61], v59, v[38:39]
	v_lshrrev_b32_e32 v47, 3, v40
	v_sub_u32_e32 v49, 29, v49
	v_and_b32_e32 v59, 7, v60
	v_cmp_gt_u32_e32 vcc, 8, v40
	v_cndmask_b32_e32 v40, v47, v49, vcc
	v_cndmask_b32_e32 v42, v42, v59, vcc
	v_lshlrev_b32_e32 v47, 24, v38
	v_lshlrev_b32_e32 v42, 20, v42
	v_and_b32_e32 v47, 0x80000000, v47
	v_lshl_add_u32 v40, v40, 23, v45
	v_or3_b32 v40, v47, v40, v42
	v_lshrrev_b32_e32 v49, 16, v40
.LBB917_481:                            ;   in Loop: Header=BB917_213 Depth=1
	s_or_b64 exec, exec, s[16:17]
.LBB917_482:                            ;   in Loop: Header=BB917_213 Depth=1
	s_or_b64 exec, exec, s[14:15]
.LBB917_483:                            ;   in Loop: Header=BB917_213 Depth=1
	s_or_b64 exec, exec, s[12:13]
	v_lshrrev_b16_e32 v40, 8, v38
	v_cmp_ne_u16_e32 vcc, 0, v40
	v_mov_b32_e32 v60, 0
	v_mov_b32_e32 v59, 0
	s_and_saveexec_b64 s[12:13], vcc
	s_cbranch_execz .LBB917_489
; %bb.484:                              ;   in Loop: Header=BB917_213 Depth=1
	v_cmp_ne_u16_e32 vcc, s9, v40
	v_mov_b32_e32 v59, 0xffff8000
	s_and_saveexec_b64 s[14:15], vcc
	s_cbranch_execz .LBB917_488
; %bb.485:                              ;   in Loop: Header=BB917_213 Depth=1
	v_and_b32_e32 v42, 0x7f, v40
	v_cmp_ne_u32_e32 vcc, s21, v42
	v_mov_b32_e32 v59, 0x7f80
	s_and_saveexec_b64 s[16:17], vcc
	s_cbranch_execz .LBB917_487
; %bb.486:                              ;   in Loop: Header=BB917_213 Depth=1
	v_and_b32_e32 v47, 7, v40
	v_ffbh_u32_e32 v61, v47
	v_min_u32_e32 v61, 32, v61
	v_subrev_u32_e32 v62, 28, v61
	v_lshlrev_b64 v[62:63], v62, v[40:41]
	v_lshrrev_b32_e32 v59, 3, v42
	v_sub_u32_e32 v40, 29, v61
	v_and_b32_e32 v61, 7, v62
	v_cmp_gt_u32_e32 vcc, 8, v42
	v_cndmask_b32_e32 v40, v59, v40, vcc
	v_cndmask_b32_e32 v42, v47, v61, vcc
	v_lshlrev_b32_e32 v47, 16, v38
	v_lshlrev_b32_e32 v42, 20, v42
	v_and_b32_e32 v47, 0x80000000, v47
	v_lshl_add_u32 v40, v40, 23, v45
	v_or3_b32 v40, v47, v40, v42
	v_lshrrev_b32_e32 v59, 16, v40
.LBB917_487:                            ;   in Loop: Header=BB917_213 Depth=1
	s_or_b64 exec, exec, s[16:17]
.LBB917_488:                            ;   in Loop: Header=BB917_213 Depth=1
	s_or_b64 exec, exec, s[14:15]
.LBB917_489:                            ;   in Loop: Header=BB917_213 Depth=1
	s_or_b64 exec, exec, s[12:13]
	v_lshrrev_b32_e32 v40, 16, v38
	v_cmp_ne_u16_sdwa s[14:15], v40, v43 src0_sel:BYTE_0 src1_sel:DWORD
	s_and_saveexec_b64 s[12:13], s[14:15]
	s_cbranch_execz .LBB917_495
; %bb.490:                              ;   in Loop: Header=BB917_213 Depth=1
	v_cmp_ne_u16_sdwa s[16:17], v40, s9 src0_sel:BYTE_0 src1_sel:DWORD
	v_mov_b32_e32 v60, 0xffff8000
	s_and_saveexec_b64 s[14:15], s[16:17]
	s_cbranch_execz .LBB917_494
; %bb.491:                              ;   in Loop: Header=BB917_213 Depth=1
	v_bfe_u32 v42, v38, 16, 7
	v_cmp_ne_u32_e32 vcc, s21, v42
	v_mov_b32_e32 v60, 0x7f80
	s_and_saveexec_b64 s[16:17], vcc
	s_cbranch_execz .LBB917_493
; %bb.492:                              ;   in Loop: Header=BB917_213 Depth=1
	v_and_b32_e32 v47, 7, v40
	v_ffbh_u32_e32 v60, v47
	v_min_u32_e32 v63, 32, v60
	v_subrev_u32_e32 v60, 28, v63
	v_lshlrev_b64 v[60:61], v60, v[40:41]
	v_lshrrev_b32_e32 v62, 3, v42
	v_sub_u32_e32 v61, 29, v63
	v_and_b32_e32 v60, 7, v60
	v_cmp_gt_u32_e32 vcc, 8, v42
	v_cndmask_b32_e32 v42, v62, v61, vcc
	v_cndmask_b32_e32 v47, v47, v60, vcc
	v_lshlrev_b32_e32 v40, 24, v40
	v_lshlrev_b32_e32 v47, 20, v47
	v_and_b32_e32 v40, 0x80000000, v40
	v_lshl_add_u32 v42, v42, 23, v45
	v_or3_b32 v40, v40, v42, v47
	v_lshrrev_b32_e32 v60, 16, v40
.LBB917_493:                            ;   in Loop: Header=BB917_213 Depth=1
	s_or_b64 exec, exec, s[16:17]
.LBB917_494:                            ;   in Loop: Header=BB917_213 Depth=1
	s_or_b64 exec, exec, s[14:15]
.LBB917_495:                            ;   in Loop: Header=BB917_213 Depth=1
	s_or_b64 exec, exec, s[12:13]
	v_cmp_lt_u32_e32 vcc, s22, v38
	v_mov_b32_e32 v47, 0
	v_mov_b32_e32 v61, 0
	s_and_saveexec_b64 s[12:13], vcc
	s_cbranch_execz .LBB917_501
; %bb.496:                              ;   in Loop: Header=BB917_213 Depth=1
	v_lshrrev_b32_e32 v40, 24, v38
	v_cmp_ne_u32_e32 vcc, s9, v40
	v_mov_b32_e32 v61, 0xffff8000
	s_and_saveexec_b64 s[14:15], vcc
	s_cbranch_execz .LBB917_500
; %bb.497:                              ;   in Loop: Header=BB917_213 Depth=1
	v_bfe_u32 v38, v38, 24, 7
	v_cmp_ne_u32_e32 vcc, s21, v38
	v_mov_b32_e32 v61, 0x7f80
	s_and_saveexec_b64 s[16:17], vcc
	s_cbranch_execz .LBB917_499
; %bb.498:                              ;   in Loop: Header=BB917_213 Depth=1
	v_and_b32_e32 v42, 7, v40
	v_ffbh_u32_e32 v62, v42
	v_min_u32_e32 v64, 32, v62
	v_subrev_u32_e32 v62, 28, v64
	v_lshlrev_b64 v[62:63], v62, v[40:41]
	v_lshrrev_b32_e32 v61, 3, v38
	v_sub_u32_e32 v63, 29, v64
	v_and_b32_e32 v62, 7, v62
	v_cmp_gt_u32_e32 vcc, 8, v38
	v_cndmask_b32_e32 v38, v61, v63, vcc
	v_cndmask_b32_e32 v42, v42, v62, vcc
	v_lshlrev_b32_e32 v40, 24, v40
	v_lshlrev_b32_e32 v42, 20, v42
	v_and_b32_e32 v40, 0x80000000, v40
	v_lshl_add_u32 v38, v38, 23, v45
	v_or3_b32 v38, v40, v38, v42
	v_lshrrev_b32_e32 v61, 16, v38
.LBB917_499:                            ;   in Loop: Header=BB917_213 Depth=1
	s_or_b64 exec, exec, s[16:17]
.LBB917_500:                            ;   in Loop: Header=BB917_213 Depth=1
	s_or_b64 exec, exec, s[14:15]
.LBB917_501:                            ;   in Loop: Header=BB917_213 Depth=1
	s_or_b64 exec, exec, s[12:13]
	v_perm_b32 v62, v44, v46, s23
	buffer_load_dword v44, v57, s[0:3], 0 offen
	buffer_load_dword v42, v57, s[0:3], 0 offen offset:4
	buffer_load_dword v40, v57, s[0:3], 0 offen offset:8
	;; [unrolled: 1-line block ×3, first 2 shown]
	v_perm_b32 v63, v58, v48, s23
	v_perm_b32 v61, v61, v60, s23
	;; [unrolled: 1-line block ×3, first 2 shown]
	v_mfma_f32_16x16x16bf16_1k v[34:37], v[62:63], v[22:23], v[34:37]
	s_waitcnt vmcnt(3)
	v_cmp_ne_u16_sdwa s[14:15], v44, v43 src0_sel:BYTE_0 src1_sel:DWORD
	v_mfma_f32_16x16x16bf16_1k v[34:37], v[60:61], v[24:25], v[34:37]
	s_and_saveexec_b64 s[12:13], s[14:15]
	s_cbranch_execz .LBB917_507
; %bb.502:                              ;   in Loop: Header=BB917_213 Depth=1
	v_cmp_ne_u16_sdwa s[16:17], v44, s9 src0_sel:BYTE_0 src1_sel:DWORD
	v_mov_b32_e32 v47, 0xffff8000
	s_and_saveexec_b64 s[14:15], s[16:17]
	s_cbranch_execz .LBB917_506
; %bb.503:                              ;   in Loop: Header=BB917_213 Depth=1
	v_and_b32_e32 v46, 0x7f, v44
	v_cmp_ne_u32_e32 vcc, s21, v46
	v_mov_b32_e32 v47, 0x7f80
	s_and_saveexec_b64 s[16:17], vcc
	s_cbranch_execz .LBB917_505
; %bb.504:                              ;   in Loop: Header=BB917_213 Depth=1
	v_and_b32_e32 v47, 7, v44
	v_ffbh_u32_e32 v48, v47
	v_min_u32_e32 v58, 32, v48
	v_subrev_u32_e32 v48, 28, v58
	v_lshlrev_b64 v[48:49], v48, v[44:45]
	v_lshrrev_b32_e32 v57, 3, v46
	v_sub_u32_e32 v49, 29, v58
	v_and_b32_e32 v48, 7, v48
	v_cmp_gt_u32_e32 vcc, 8, v46
	v_cndmask_b32_e32 v46, v57, v49, vcc
	v_cndmask_b32_e32 v47, v47, v48, vcc
	v_lshlrev_b32_e32 v48, 24, v44
	v_lshlrev_b32_e32 v47, 20, v47
	v_and_b32_e32 v48, 0x80000000, v48
	v_lshl_add_u32 v46, v46, 23, v45
	v_or3_b32 v46, v48, v46, v47
	v_lshrrev_b32_e32 v47, 16, v46
.LBB917_505:                            ;   in Loop: Header=BB917_213 Depth=1
	s_or_b64 exec, exec, s[16:17]
.LBB917_506:                            ;   in Loop: Header=BB917_213 Depth=1
	s_or_b64 exec, exec, s[14:15]
.LBB917_507:                            ;   in Loop: Header=BB917_213 Depth=1
	s_or_b64 exec, exec, s[12:13]
	v_lshrrev_b16_e32 v46, 8, v44
	v_cmp_ne_u16_e32 vcc, 0, v46
	v_mov_b32_e32 v49, 0
	v_mov_b32_e32 v48, 0
	s_and_saveexec_b64 s[12:13], vcc
	s_cbranch_execz .LBB917_513
; %bb.508:                              ;   in Loop: Header=BB917_213 Depth=1
	v_cmp_ne_u16_e32 vcc, s9, v46
	v_mov_b32_e32 v48, 0xffff8000
	s_and_saveexec_b64 s[14:15], vcc
	s_cbranch_execz .LBB917_512
; %bb.509:                              ;   in Loop: Header=BB917_213 Depth=1
	v_and_b32_e32 v57, 0x7f, v46
	v_cmp_ne_u32_e32 vcc, s21, v57
	v_mov_b32_e32 v48, 0x7f80
	s_and_saveexec_b64 s[16:17], vcc
	s_cbranch_execz .LBB917_511
; %bb.510:                              ;   in Loop: Header=BB917_213 Depth=1
	v_and_b32_e32 v48, 7, v46
	v_ffbh_u32_e32 v58, v48
	v_min_u32_e32 v61, 32, v58
	v_subrev_u32_e32 v58, 28, v61
	v_lshlrev_b64 v[58:59], v58, v[46:47]
	v_lshrrev_b32_e32 v60, 3, v57
	v_sub_u32_e32 v46, 29, v61
	v_and_b32_e32 v58, 7, v58
	v_cmp_gt_u32_e32 vcc, 8, v57
	v_cndmask_b32_e32 v46, v60, v46, vcc
	v_cndmask_b32_e32 v48, v48, v58, vcc
	v_lshlrev_b32_e32 v57, 16, v44
	v_lshlrev_b32_e32 v48, 20, v48
	v_and_b32_e32 v57, 0x80000000, v57
	v_lshl_add_u32 v46, v46, 23, v45
	v_or3_b32 v46, v57, v46, v48
	v_lshrrev_b32_e32 v48, 16, v46
.LBB917_511:                            ;   in Loop: Header=BB917_213 Depth=1
	s_or_b64 exec, exec, s[16:17]
.LBB917_512:                            ;   in Loop: Header=BB917_213 Depth=1
	s_or_b64 exec, exec, s[14:15]
.LBB917_513:                            ;   in Loop: Header=BB917_213 Depth=1
	s_or_b64 exec, exec, s[12:13]
	v_lshrrev_b32_e32 v46, 16, v44
	v_cmp_ne_u16_sdwa s[14:15], v46, v43 src0_sel:BYTE_0 src1_sel:DWORD
	s_and_saveexec_b64 s[12:13], s[14:15]
	s_cbranch_execz .LBB917_519
; %bb.514:                              ;   in Loop: Header=BB917_213 Depth=1
	v_cmp_ne_u16_sdwa s[16:17], v46, s9 src0_sel:BYTE_0 src1_sel:DWORD
	v_mov_b32_e32 v49, 0xffff8000
	s_and_saveexec_b64 s[14:15], s[16:17]
	s_cbranch_execz .LBB917_518
; %bb.515:                              ;   in Loop: Header=BB917_213 Depth=1
	v_bfe_u32 v57, v44, 16, 7
	v_cmp_ne_u32_e32 vcc, s21, v57
	v_mov_b32_e32 v49, 0x7f80
	s_and_saveexec_b64 s[16:17], vcc
	s_cbranch_execz .LBB917_517
; %bb.516:                              ;   in Loop: Header=BB917_213 Depth=1
	v_and_b32_e32 v49, 7, v46
	v_ffbh_u32_e32 v58, v49
	v_min_u32_e32 v61, 32, v58
	v_subrev_u32_e32 v58, 28, v61
	v_lshlrev_b64 v[58:59], v58, v[46:47]
	v_lshrrev_b32_e32 v60, 3, v57
	v_sub_u32_e32 v59, 29, v61
	v_and_b32_e32 v58, 7, v58
	v_cmp_gt_u32_e32 vcc, 8, v57
	v_cndmask_b32_e32 v57, v60, v59, vcc
	v_cndmask_b32_e32 v49, v49, v58, vcc
	v_lshlrev_b32_e32 v46, 24, v46
	v_lshlrev_b32_e32 v49, 20, v49
	v_and_b32_e32 v46, 0x80000000, v46
	v_lshl_add_u32 v57, v57, 23, v45
	v_or3_b32 v46, v46, v57, v49
	v_lshrrev_b32_e32 v49, 16, v46
.LBB917_517:                            ;   in Loop: Header=BB917_213 Depth=1
	s_or_b64 exec, exec, s[16:17]
.LBB917_518:                            ;   in Loop: Header=BB917_213 Depth=1
	s_or_b64 exec, exec, s[14:15]
.LBB917_519:                            ;   in Loop: Header=BB917_213 Depth=1
	s_or_b64 exec, exec, s[12:13]
	v_cmp_lt_u32_e32 vcc, s22, v44
	v_mov_b32_e32 v57, 0
	v_mov_b32_e32 v58, 0
	s_and_saveexec_b64 s[12:13], vcc
	s_cbranch_execz .LBB917_525
; %bb.520:                              ;   in Loop: Header=BB917_213 Depth=1
	v_lshrrev_b32_e32 v46, 24, v44
	v_cmp_ne_u32_e32 vcc, s9, v46
	v_mov_b32_e32 v58, 0xffff8000
	s_and_saveexec_b64 s[14:15], vcc
	s_cbranch_execz .LBB917_524
; %bb.521:                              ;   in Loop: Header=BB917_213 Depth=1
	v_bfe_u32 v44, v44, 24, 7
	v_cmp_ne_u32_e32 vcc, s21, v44
	v_mov_b32_e32 v58, 0x7f80
	s_and_saveexec_b64 s[16:17], vcc
	s_cbranch_execz .LBB917_523
; %bb.522:                              ;   in Loop: Header=BB917_213 Depth=1
	v_and_b32_e32 v60, 7, v46
	v_ffbh_u32_e32 v58, v60
	v_min_u32_e32 v62, 32, v58
	v_subrev_u32_e32 v58, 28, v62
	v_lshlrev_b64 v[58:59], v58, v[46:47]
	v_lshrrev_b32_e32 v61, 3, v44
	v_sub_u32_e32 v59, 29, v62
	v_and_b32_e32 v58, 7, v58
	v_cmp_gt_u32_e32 vcc, 8, v44
	v_cndmask_b32_e32 v44, v61, v59, vcc
	v_cndmask_b32_e32 v58, v60, v58, vcc
	v_lshlrev_b32_e32 v46, 24, v46
	v_lshlrev_b32_e32 v58, 20, v58
	v_and_b32_e32 v46, 0x80000000, v46
	v_lshl_add_u32 v44, v44, 23, v45
	v_or3_b32 v44, v46, v44, v58
	v_lshrrev_b32_e32 v58, 16, v44
.LBB917_523:                            ;   in Loop: Header=BB917_213 Depth=1
	s_or_b64 exec, exec, s[16:17]
.LBB917_524:                            ;   in Loop: Header=BB917_213 Depth=1
	s_or_b64 exec, exec, s[14:15]
.LBB917_525:                            ;   in Loop: Header=BB917_213 Depth=1
	s_or_b64 exec, exec, s[12:13]
	s_waitcnt vmcnt(2)
	v_cmp_ne_u16_sdwa s[14:15], v42, v43 src0_sel:BYTE_0 src1_sel:DWORD
	s_and_saveexec_b64 s[12:13], s[14:15]
	s_cbranch_execz .LBB917_531
; %bb.526:                              ;   in Loop: Header=BB917_213 Depth=1
	v_cmp_ne_u16_sdwa s[16:17], v42, s9 src0_sel:BYTE_0 src1_sel:DWORD
	v_mov_b32_e32 v57, 0xffff8000
	s_and_saveexec_b64 s[14:15], s[16:17]
	s_cbranch_execz .LBB917_530
; %bb.527:                              ;   in Loop: Header=BB917_213 Depth=1
	v_and_b32_e32 v44, 0x7f, v42
	v_cmp_ne_u32_e32 vcc, s21, v44
	v_mov_b32_e32 v57, 0x7f80
	s_and_saveexec_b64 s[16:17], vcc
	s_cbranch_execz .LBB917_529
; %bb.528:                              ;   in Loop: Header=BB917_213 Depth=1
	v_and_b32_e32 v46, 7, v42
	v_ffbh_u32_e32 v59, v46
	v_min_u32_e32 v59, 32, v59
	v_subrev_u32_e32 v60, 28, v59
	v_lshlrev_b64 v[60:61], v60, v[42:43]
	v_lshrrev_b32_e32 v57, 3, v44
	v_sub_u32_e32 v59, 29, v59
	v_and_b32_e32 v60, 7, v60
	v_cmp_gt_u32_e32 vcc, 8, v44
	v_cndmask_b32_e32 v44, v57, v59, vcc
	v_cndmask_b32_e32 v46, v46, v60, vcc
	v_lshlrev_b32_e32 v57, 24, v42
	v_lshlrev_b32_e32 v46, 20, v46
	v_and_b32_e32 v57, 0x80000000, v57
	v_lshl_add_u32 v44, v44, 23, v45
	v_or3_b32 v44, v57, v44, v46
	v_lshrrev_b32_e32 v57, 16, v44
.LBB917_529:                            ;   in Loop: Header=BB917_213 Depth=1
	s_or_b64 exec, exec, s[16:17]
.LBB917_530:                            ;   in Loop: Header=BB917_213 Depth=1
	s_or_b64 exec, exec, s[14:15]
.LBB917_531:                            ;   in Loop: Header=BB917_213 Depth=1
	s_or_b64 exec, exec, s[12:13]
	v_lshrrev_b16_e32 v44, 8, v42
	v_cmp_ne_u16_e32 vcc, 0, v44
	v_mov_b32_e32 v60, 0
	v_mov_b32_e32 v59, 0
	s_and_saveexec_b64 s[12:13], vcc
	s_cbranch_execz .LBB917_537
; %bb.532:                              ;   in Loop: Header=BB917_213 Depth=1
	v_cmp_ne_u16_e32 vcc, s9, v44
	v_mov_b32_e32 v59, 0xffff8000
	s_and_saveexec_b64 s[14:15], vcc
	s_cbranch_execz .LBB917_536
; %bb.533:                              ;   in Loop: Header=BB917_213 Depth=1
	v_and_b32_e32 v46, 0x7f, v44
	v_cmp_ne_u32_e32 vcc, s21, v46
	v_mov_b32_e32 v59, 0x7f80
	s_and_saveexec_b64 s[16:17], vcc
	s_cbranch_execz .LBB917_535
; %bb.534:                              ;   in Loop: Header=BB917_213 Depth=1
	v_and_b32_e32 v59, 7, v44
	v_ffbh_u32_e32 v62, v59
	v_min_u32_e32 v64, 32, v62
	v_subrev_u32_e32 v62, 28, v64
	v_lshlrev_b64 v[62:63], v62, v[44:45]
	v_lshrrev_b32_e32 v61, 3, v46
	v_sub_u32_e32 v44, 29, v64
	v_and_b32_e32 v62, 7, v62
	v_cmp_gt_u32_e32 vcc, 8, v46
	v_cndmask_b32_e32 v44, v61, v44, vcc
	v_cndmask_b32_e32 v46, v59, v62, vcc
	v_lshlrev_b32_e32 v59, 16, v42
	v_lshlrev_b32_e32 v46, 20, v46
	v_and_b32_e32 v59, 0x80000000, v59
	v_lshl_add_u32 v44, v44, 23, v45
	v_or3_b32 v44, v59, v44, v46
	v_lshrrev_b32_e32 v59, 16, v44
.LBB917_535:                            ;   in Loop: Header=BB917_213 Depth=1
	s_or_b64 exec, exec, s[16:17]
.LBB917_536:                            ;   in Loop: Header=BB917_213 Depth=1
	s_or_b64 exec, exec, s[14:15]
.LBB917_537:                            ;   in Loop: Header=BB917_213 Depth=1
	s_or_b64 exec, exec, s[12:13]
	v_lshrrev_b32_e32 v44, 16, v42
	v_cmp_ne_u16_sdwa s[14:15], v44, v43 src0_sel:BYTE_0 src1_sel:DWORD
	s_and_saveexec_b64 s[12:13], s[14:15]
	s_cbranch_execz .LBB917_543
; %bb.538:                              ;   in Loop: Header=BB917_213 Depth=1
	v_cmp_ne_u16_sdwa s[16:17], v44, s9 src0_sel:BYTE_0 src1_sel:DWORD
	v_mov_b32_e32 v60, 0xffff8000
	s_and_saveexec_b64 s[14:15], s[16:17]
	s_cbranch_execz .LBB917_542
; %bb.539:                              ;   in Loop: Header=BB917_213 Depth=1
	v_bfe_u32 v46, v42, 16, 7
	v_cmp_ne_u32_e32 vcc, s21, v46
	v_mov_b32_e32 v60, 0x7f80
	s_and_saveexec_b64 s[16:17], vcc
	s_cbranch_execz .LBB917_541
; %bb.540:                              ;   in Loop: Header=BB917_213 Depth=1
	v_and_b32_e32 v62, 7, v44
	v_ffbh_u32_e32 v60, v62
	v_min_u32_e32 v64, 32, v60
	v_subrev_u32_e32 v60, 28, v64
	v_lshlrev_b64 v[60:61], v60, v[44:45]
	v_lshrrev_b32_e32 v63, 3, v46
	v_sub_u32_e32 v61, 29, v64
	v_and_b32_e32 v60, 7, v60
	v_cmp_gt_u32_e32 vcc, 8, v46
	v_cndmask_b32_e32 v46, v63, v61, vcc
	v_cndmask_b32_e32 v60, v62, v60, vcc
	v_lshlrev_b32_e32 v44, 24, v44
	v_lshlrev_b32_e32 v60, 20, v60
	v_and_b32_e32 v44, 0x80000000, v44
	v_lshl_add_u32 v46, v46, 23, v45
	v_or3_b32 v44, v44, v46, v60
	v_lshrrev_b32_e32 v60, 16, v44
.LBB917_541:                            ;   in Loop: Header=BB917_213 Depth=1
	s_or_b64 exec, exec, s[16:17]
.LBB917_542:                            ;   in Loop: Header=BB917_213 Depth=1
	s_or_b64 exec, exec, s[14:15]
.LBB917_543:                            ;   in Loop: Header=BB917_213 Depth=1
	s_or_b64 exec, exec, s[12:13]
	v_cmp_lt_u32_e32 vcc, s22, v42
	v_mov_b32_e32 v46, 0
	v_mov_b32_e32 v61, 0
	s_and_saveexec_b64 s[12:13], vcc
	s_cbranch_execz .LBB917_549
; %bb.544:                              ;   in Loop: Header=BB917_213 Depth=1
	v_lshrrev_b32_e32 v44, 24, v42
	v_cmp_ne_u32_e32 vcc, s9, v44
	v_mov_b32_e32 v61, 0xffff8000
	s_and_saveexec_b64 s[14:15], vcc
	s_cbranch_execz .LBB917_548
; %bb.545:                              ;   in Loop: Header=BB917_213 Depth=1
	v_bfe_u32 v42, v42, 24, 7
	v_cmp_ne_u32_e32 vcc, s21, v42
	v_mov_b32_e32 v61, 0x7f80
	s_and_saveexec_b64 s[16:17], vcc
	s_cbranch_execz .LBB917_547
; %bb.546:                              ;   in Loop: Header=BB917_213 Depth=1
	v_and_b32_e32 v61, 7, v44
	v_ffbh_u32_e32 v62, v61
	v_min_u32_e32 v65, 32, v62
	v_subrev_u32_e32 v62, 28, v65
	v_lshlrev_b64 v[62:63], v62, v[44:45]
	v_lshrrev_b32_e32 v64, 3, v42
	v_sub_u32_e32 v63, 29, v65
	v_and_b32_e32 v62, 7, v62
	v_cmp_gt_u32_e32 vcc, 8, v42
	v_cndmask_b32_e32 v42, v64, v63, vcc
	v_cndmask_b32_e32 v61, v61, v62, vcc
	v_lshlrev_b32_e32 v44, 24, v44
	v_lshlrev_b32_e32 v61, 20, v61
	v_and_b32_e32 v44, 0x80000000, v44
	v_lshl_add_u32 v42, v42, 23, v45
	v_or3_b32 v42, v44, v42, v61
	v_lshrrev_b32_e32 v61, 16, v42
.LBB917_547:                            ;   in Loop: Header=BB917_213 Depth=1
	s_or_b64 exec, exec, s[16:17]
.LBB917_548:                            ;   in Loop: Header=BB917_213 Depth=1
	s_or_b64 exec, exec, s[14:15]
.LBB917_549:                            ;   in Loop: Header=BB917_213 Depth=1
	s_or_b64 exec, exec, s[12:13]
	v_perm_b32 v49, v58, v49, s23
	v_perm_b32 v48, v48, v47, s23
	s_waitcnt vmcnt(1)
	v_cmp_ne_u16_sdwa s[14:15], v40, v43 src0_sel:BYTE_0 src1_sel:DWORD
	v_mfma_f32_16x16x16bf16_1k v[34:37], v[48:49], v[26:27], v[34:37]
	v_perm_b32 v49, v61, v60, s23
	v_perm_b32 v48, v59, v57, s23
	s_nop 1
	v_mfma_f32_16x16x16bf16_1k v[34:37], v[48:49], v[28:29], v[34:37]
	s_and_saveexec_b64 s[12:13], s[14:15]
	s_cbranch_execz .LBB917_555
; %bb.550:                              ;   in Loop: Header=BB917_213 Depth=1
	v_cmp_ne_u16_sdwa s[16:17], v40, s9 src0_sel:BYTE_0 src1_sel:DWORD
	v_mov_b32_e32 v46, 0xffff8000
	s_and_saveexec_b64 s[14:15], s[16:17]
	s_cbranch_execz .LBB917_554
; %bb.551:                              ;   in Loop: Header=BB917_213 Depth=1
	v_and_b32_e32 v42, 0x7f, v40
	v_cmp_ne_u32_e32 vcc, s21, v42
	v_mov_b32_e32 v46, 0x7f80
	s_and_saveexec_b64 s[16:17], vcc
	s_cbranch_execz .LBB917_553
; %bb.552:                              ;   in Loop: Header=BB917_213 Depth=1
	v_and_b32_e32 v44, 7, v40
	v_ffbh_u32_e32 v46, v44
	v_min_u32_e32 v49, 32, v46
	v_subrev_u32_e32 v46, 28, v49
	v_lshlrev_b64 v[46:47], v46, v[40:41]
	v_lshrrev_b32_e32 v48, 3, v42
	v_sub_u32_e32 v47, 29, v49
	v_and_b32_e32 v46, 7, v46
	v_cmp_gt_u32_e32 vcc, 8, v42
	v_cndmask_b32_e32 v42, v48, v47, vcc
	v_cndmask_b32_e32 v44, v44, v46, vcc
	v_lshlrev_b32_e32 v46, 24, v40
	v_lshlrev_b32_e32 v44, 20, v44
	v_and_b32_e32 v46, 0x80000000, v46
	v_lshl_add_u32 v42, v42, 23, v45
	v_or3_b32 v42, v46, v42, v44
	v_lshrrev_b32_e32 v46, 16, v42
.LBB917_553:                            ;   in Loop: Header=BB917_213 Depth=1
	s_or_b64 exec, exec, s[16:17]
.LBB917_554:                            ;   in Loop: Header=BB917_213 Depth=1
	s_or_b64 exec, exec, s[14:15]
.LBB917_555:                            ;   in Loop: Header=BB917_213 Depth=1
	s_or_b64 exec, exec, s[12:13]
	v_lshrrev_b16_e32 v42, 8, v40
	v_cmp_ne_u16_e32 vcc, 0, v42
	v_mov_b32_e32 v47, 0
	v_mov_b32_e32 v44, 0
	s_and_saveexec_b64 s[12:13], vcc
	s_cbranch_execz .LBB917_561
; %bb.556:                              ;   in Loop: Header=BB917_213 Depth=1
	v_cmp_ne_u16_e32 vcc, s9, v42
	v_mov_b32_e32 v44, 0xffff8000
	s_and_saveexec_b64 s[14:15], vcc
	s_cbranch_execz .LBB917_560
; %bb.557:                              ;   in Loop: Header=BB917_213 Depth=1
	v_and_b32_e32 v48, 0x7f, v42
	v_cmp_ne_u32_e32 vcc, s21, v48
	v_mov_b32_e32 v44, 0x7f80
	s_and_saveexec_b64 s[16:17], vcc
	s_cbranch_execz .LBB917_559
; %bb.558:                              ;   in Loop: Header=BB917_213 Depth=1
	v_and_b32_e32 v44, 7, v42
	v_ffbh_u32_e32 v57, v44
	v_min_u32_e32 v57, 32, v57
	v_subrev_u32_e32 v58, 28, v57
	v_lshlrev_b64 v[58:59], v58, v[42:43]
	v_lshrrev_b32_e32 v49, 3, v48
	v_sub_u32_e32 v42, 29, v57
	v_and_b32_e32 v57, 7, v58
	v_cmp_gt_u32_e32 vcc, 8, v48
	v_cndmask_b32_e32 v42, v49, v42, vcc
	v_cndmask_b32_e32 v44, v44, v57, vcc
	v_lshlrev_b32_e32 v48, 16, v40
	v_lshlrev_b32_e32 v44, 20, v44
	v_and_b32_e32 v48, 0x80000000, v48
	v_lshl_add_u32 v42, v42, 23, v45
	v_or3_b32 v42, v48, v42, v44
	v_lshrrev_b32_e32 v44, 16, v42
.LBB917_559:                            ;   in Loop: Header=BB917_213 Depth=1
	s_or_b64 exec, exec, s[16:17]
.LBB917_560:                            ;   in Loop: Header=BB917_213 Depth=1
	s_or_b64 exec, exec, s[14:15]
.LBB917_561:                            ;   in Loop: Header=BB917_213 Depth=1
	s_or_b64 exec, exec, s[12:13]
	v_lshrrev_b32_e32 v42, 16, v40
	v_cmp_ne_u16_sdwa s[14:15], v42, v43 src0_sel:BYTE_0 src1_sel:DWORD
	s_and_saveexec_b64 s[12:13], s[14:15]
	s_cbranch_execz .LBB917_567
; %bb.562:                              ;   in Loop: Header=BB917_213 Depth=1
	v_cmp_ne_u16_sdwa s[16:17], v42, s9 src0_sel:BYTE_0 src1_sel:DWORD
	v_mov_b32_e32 v47, 0xffff8000
	s_and_saveexec_b64 s[14:15], s[16:17]
	s_cbranch_execz .LBB917_566
; %bb.563:                              ;   in Loop: Header=BB917_213 Depth=1
	v_bfe_u32 v48, v40, 16, 7
	v_cmp_ne_u32_e32 vcc, s21, v48
	v_mov_b32_e32 v47, 0x7f80
	s_and_saveexec_b64 s[16:17], vcc
	s_cbranch_execz .LBB917_565
; %bb.564:                              ;   in Loop: Header=BB917_213 Depth=1
	v_and_b32_e32 v47, 7, v42
	v_ffbh_u32_e32 v57, v47
	v_min_u32_e32 v57, 32, v57
	v_subrev_u32_e32 v58, 28, v57
	v_lshlrev_b64 v[58:59], v58, v[42:43]
	v_lshrrev_b32_e32 v49, 3, v48
	v_sub_u32_e32 v57, 29, v57
	v_and_b32_e32 v58, 7, v58
	v_cmp_gt_u32_e32 vcc, 8, v48
	v_cndmask_b32_e32 v48, v49, v57, vcc
	v_cndmask_b32_e32 v47, v47, v58, vcc
	v_lshlrev_b32_e32 v42, 24, v42
	v_lshlrev_b32_e32 v47, 20, v47
	v_and_b32_e32 v42, 0x80000000, v42
	v_lshl_add_u32 v48, v48, 23, v45
	v_or3_b32 v42, v42, v48, v47
	v_lshrrev_b32_e32 v47, 16, v42
.LBB917_565:                            ;   in Loop: Header=BB917_213 Depth=1
	s_or_b64 exec, exec, s[16:17]
.LBB917_566:                            ;   in Loop: Header=BB917_213 Depth=1
	s_or_b64 exec, exec, s[14:15]
.LBB917_567:                            ;   in Loop: Header=BB917_213 Depth=1
	s_or_b64 exec, exec, s[12:13]
	v_cmp_lt_u32_e32 vcc, s22, v40
	v_mov_b32_e32 v48, 0
	v_mov_b32_e32 v49, 0
	s_and_saveexec_b64 s[12:13], vcc
	s_cbranch_execz .LBB917_573
; %bb.568:                              ;   in Loop: Header=BB917_213 Depth=1
	v_lshrrev_b32_e32 v42, 24, v40
	v_cmp_ne_u32_e32 vcc, s9, v42
	v_mov_b32_e32 v49, 0xffff8000
	s_and_saveexec_b64 s[14:15], vcc
	s_cbranch_execz .LBB917_572
; %bb.569:                              ;   in Loop: Header=BB917_213 Depth=1
	v_bfe_u32 v40, v40, 24, 7
	v_cmp_ne_u32_e32 vcc, s21, v40
	v_mov_b32_e32 v49, 0x7f80
	s_and_saveexec_b64 s[16:17], vcc
	s_cbranch_execz .LBB917_571
; %bb.570:                              ;   in Loop: Header=BB917_213 Depth=1
	v_and_b32_e32 v49, 7, v42
	v_ffbh_u32_e32 v58, v49
	v_min_u32_e32 v60, 32, v58
	v_subrev_u32_e32 v58, 28, v60
	v_lshlrev_b64 v[58:59], v58, v[42:43]
	v_lshrrev_b32_e32 v57, 3, v40
	v_sub_u32_e32 v59, 29, v60
	v_and_b32_e32 v58, 7, v58
	v_cmp_gt_u32_e32 vcc, 8, v40
	v_cndmask_b32_e32 v40, v57, v59, vcc
	v_cndmask_b32_e32 v49, v49, v58, vcc
	v_lshlrev_b32_e32 v42, 24, v42
	v_lshlrev_b32_e32 v49, 20, v49
	v_and_b32_e32 v42, 0x80000000, v42
	v_lshl_add_u32 v40, v40, 23, v45
	v_or3_b32 v40, v42, v40, v49
	v_lshrrev_b32_e32 v49, 16, v40
.LBB917_571:                            ;   in Loop: Header=BB917_213 Depth=1
	s_or_b64 exec, exec, s[16:17]
.LBB917_572:                            ;   in Loop: Header=BB917_213 Depth=1
	s_or_b64 exec, exec, s[14:15]
.LBB917_573:                            ;   in Loop: Header=BB917_213 Depth=1
	s_or_b64 exec, exec, s[12:13]
	s_waitcnt vmcnt(0)
	v_cmp_ne_u16_sdwa s[14:15], v38, v43 src0_sel:BYTE_0 src1_sel:DWORD
	s_and_saveexec_b64 s[12:13], s[14:15]
	s_cbranch_execz .LBB917_579
; %bb.574:                              ;   in Loop: Header=BB917_213 Depth=1
	v_cmp_ne_u16_sdwa s[16:17], v38, s9 src0_sel:BYTE_0 src1_sel:DWORD
	v_mov_b32_e32 v48, 0xffff8000
	s_and_saveexec_b64 s[14:15], s[16:17]
	s_cbranch_execz .LBB917_578
; %bb.575:                              ;   in Loop: Header=BB917_213 Depth=1
	v_and_b32_e32 v40, 0x7f, v38
	v_cmp_ne_u32_e32 vcc, s21, v40
	v_mov_b32_e32 v48, 0x7f80
	s_and_saveexec_b64 s[16:17], vcc
	s_cbranch_execz .LBB917_577
; %bb.576:                              ;   in Loop: Header=BB917_213 Depth=1
	v_and_b32_e32 v42, 7, v38
	v_ffbh_u32_e32 v57, v42
	v_min_u32_e32 v57, 32, v57
	v_subrev_u32_e32 v58, 28, v57
	v_lshlrev_b64 v[58:59], v58, v[38:39]
	v_lshrrev_b32_e32 v48, 3, v40
	v_sub_u32_e32 v57, 29, v57
	v_and_b32_e32 v58, 7, v58
	v_cmp_gt_u32_e32 vcc, 8, v40
	v_cndmask_b32_e32 v40, v48, v57, vcc
	v_cndmask_b32_e32 v42, v42, v58, vcc
	v_lshlrev_b32_e32 v48, 24, v38
	v_lshlrev_b32_e32 v42, 20, v42
	v_and_b32_e32 v48, 0x80000000, v48
	v_lshl_add_u32 v40, v40, 23, v45
	v_or3_b32 v40, v48, v40, v42
	v_lshrrev_b32_e32 v48, 16, v40
.LBB917_577:                            ;   in Loop: Header=BB917_213 Depth=1
	s_or_b64 exec, exec, s[16:17]
.LBB917_578:                            ;   in Loop: Header=BB917_213 Depth=1
	s_or_b64 exec, exec, s[14:15]
.LBB917_579:                            ;   in Loop: Header=BB917_213 Depth=1
	s_or_b64 exec, exec, s[12:13]
	v_lshrrev_b16_e32 v40, 8, v38
	v_cmp_ne_u16_e32 vcc, 0, v40
	v_mov_b32_e32 v57, 0
	v_mov_b32_e32 v42, 0
	s_and_saveexec_b64 s[12:13], vcc
	s_cbranch_execz .LBB917_585
; %bb.580:                              ;   in Loop: Header=BB917_213 Depth=1
	v_cmp_ne_u16_e32 vcc, s9, v40
	v_mov_b32_e32 v42, 0xffff8000
	s_and_saveexec_b64 s[14:15], vcc
	s_cbranch_execz .LBB917_584
; %bb.581:                              ;   in Loop: Header=BB917_213 Depth=1
	v_and_b32_e32 v58, 0x7f, v40
	v_cmp_ne_u32_e32 vcc, s21, v58
	v_mov_b32_e32 v42, 0x7f80
	s_and_saveexec_b64 s[16:17], vcc
	s_cbranch_execz .LBB917_583
; %bb.582:                              ;   in Loop: Header=BB917_213 Depth=1
	v_and_b32_e32 v42, 7, v40
	v_ffbh_u32_e32 v60, v42
	v_min_u32_e32 v62, 32, v60
	v_subrev_u32_e32 v60, 28, v62
	v_lshlrev_b64 v[60:61], v60, v[40:41]
	v_lshrrev_b32_e32 v59, 3, v58
	v_sub_u32_e32 v40, 29, v62
	v_and_b32_e32 v60, 7, v60
	v_cmp_gt_u32_e32 vcc, 8, v58
	v_cndmask_b32_e32 v40, v59, v40, vcc
	v_cndmask_b32_e32 v42, v42, v60, vcc
	v_lshlrev_b32_e32 v58, 16, v38
	v_lshlrev_b32_e32 v42, 20, v42
	v_and_b32_e32 v58, 0x80000000, v58
	v_lshl_add_u32 v40, v40, 23, v45
	v_or3_b32 v40, v58, v40, v42
	v_lshrrev_b32_e32 v42, 16, v40
.LBB917_583:                            ;   in Loop: Header=BB917_213 Depth=1
	s_or_b64 exec, exec, s[16:17]
.LBB917_584:                            ;   in Loop: Header=BB917_213 Depth=1
	s_or_b64 exec, exec, s[14:15]
.LBB917_585:                            ;   in Loop: Header=BB917_213 Depth=1
	s_or_b64 exec, exec, s[12:13]
	v_lshrrev_b32_e32 v40, 16, v38
	v_cmp_ne_u16_sdwa s[14:15], v40, v43 src0_sel:BYTE_0 src1_sel:DWORD
	s_and_saveexec_b64 s[12:13], s[14:15]
	s_cbranch_execz .LBB917_591
; %bb.586:                              ;   in Loop: Header=BB917_213 Depth=1
	v_cmp_ne_u16_sdwa s[16:17], v40, s9 src0_sel:BYTE_0 src1_sel:DWORD
	v_mov_b32_e32 v57, 0xffff8000
	s_and_saveexec_b64 s[14:15], s[16:17]
	s_cbranch_execz .LBB917_590
; %bb.587:                              ;   in Loop: Header=BB917_213 Depth=1
	v_bfe_u32 v58, v38, 16, 7
	v_cmp_ne_u32_e32 vcc, s21, v58
	v_mov_b32_e32 v57, 0x7f80
	s_and_saveexec_b64 s[16:17], vcc
	s_cbranch_execz .LBB917_589
; %bb.588:                              ;   in Loop: Header=BB917_213 Depth=1
	v_and_b32_e32 v57, 7, v40
	v_ffbh_u32_e32 v60, v57
	v_min_u32_e32 v62, 32, v60
	v_subrev_u32_e32 v60, 28, v62
	v_lshlrev_b64 v[60:61], v60, v[40:41]
	v_lshrrev_b32_e32 v59, 3, v58
	v_sub_u32_e32 v61, 29, v62
	v_and_b32_e32 v60, 7, v60
	v_cmp_gt_u32_e32 vcc, 8, v58
	v_cndmask_b32_e32 v58, v59, v61, vcc
	v_cndmask_b32_e32 v57, v57, v60, vcc
	v_lshlrev_b32_e32 v40, 24, v40
	v_lshlrev_b32_e32 v57, 20, v57
	v_and_b32_e32 v40, 0x80000000, v40
	v_lshl_add_u32 v58, v58, 23, v45
	v_or3_b32 v40, v40, v58, v57
	v_lshrrev_b32_e32 v57, 16, v40
.LBB917_589:                            ;   in Loop: Header=BB917_213 Depth=1
	s_or_b64 exec, exec, s[16:17]
.LBB917_590:                            ;   in Loop: Header=BB917_213 Depth=1
	s_or_b64 exec, exec, s[14:15]
.LBB917_591:                            ;   in Loop: Header=BB917_213 Depth=1
	s_or_b64 exec, exec, s[12:13]
	v_cmp_lt_u32_e32 vcc, s22, v38
	v_mov_b32_e32 v58, 0
	s_and_saveexec_b64 s[12:13], vcc
	s_cbranch_execz .LBB917_212
; %bb.592:                              ;   in Loop: Header=BB917_213 Depth=1
	v_lshrrev_b32_e32 v40, 24, v38
	v_cmp_ne_u32_e32 vcc, s9, v40
	v_mov_b32_e32 v58, 0xffff8000
	s_and_saveexec_b64 s[14:15], vcc
	s_cbranch_execz .LBB917_211
; %bb.593:                              ;   in Loop: Header=BB917_213 Depth=1
	v_bfe_u32 v38, v38, 24, 7
	v_cmp_ne_u32_e32 vcc, s21, v38
	v_mov_b32_e32 v58, 0x7f80
	s_and_saveexec_b64 s[16:17], vcc
	s_cbranch_execz .LBB917_210
; %bb.594:                              ;   in Loop: Header=BB917_213 Depth=1
	v_and_b32_e32 v60, 7, v40
	v_ffbh_u32_e32 v58, v60
	v_min_u32_e32 v62, 32, v58
	v_subrev_u32_e32 v58, 28, v62
	v_lshlrev_b64 v[58:59], v58, v[40:41]
	v_lshrrev_b32_e32 v61, 3, v38
	v_sub_u32_e32 v59, 29, v62
	v_and_b32_e32 v58, 7, v58
	v_cmp_gt_u32_e32 vcc, 8, v38
	v_cndmask_b32_e32 v38, v61, v59, vcc
	v_cndmask_b32_e32 v58, v60, v58, vcc
	v_lshlrev_b32_e32 v40, 24, v40
	v_lshlrev_b32_e32 v58, 20, v58
	v_and_b32_e32 v40, 0x80000000, v40
	v_lshl_add_u32 v38, v38, 23, v45
	v_or3_b32 v38, v40, v38, v58
	v_lshrrev_b32_e32 v58, 16, v38
	s_branch .LBB917_210
.LBB917_595:
	s_barrier
	buffer_load_dword v2, off, s[0:3], 0 offset:320
	buffer_load_dword v5, off, s[0:3], 0 offset:332
	;; [unrolled: 1-line block ×4, first 2 shown]
	v_cmp_gt_u32_e32 vcc, 64, v0
	s_waitcnt vmcnt(0)
	ds_write2st64_b64 v39, v[2:3], v[4:5] offset1:1
	s_waitcnt lgkmcnt(0)
	s_barrier
	s_and_saveexec_b64 s[4:5], vcc
	s_cbranch_execz .LBB917_597
; %bb.596:
	s_lshl_b32 s6, s50, 7
	s_mul_i32 s4, s18, s8
	s_mul_hi_u32 s5, s4, s6
	s_mul_i32 s4, s4, s6
	s_lshl_b64 s[4:5], s[4:5], 1
	s_add_u32 s7, s48, s4
	v_lshlrev_b32_e32 v4, 6, v51
	s_addc_u32 s8, s49, s5
	s_lshl_b32 s4, s24, 7
	s_mov_b32 s5, 0
	v_lshl_or_b32 v0, v0, 10, v4
	s_lshl_b64 s[4:5], s[4:5], 1
	v_lshlrev_b32_e32 v2, 5, v1
	v_and_b32_e32 v3, 16, v52
	v_and_b32_e32 v0, 0x1a00, v0
	s_add_u32 s4, s7, s4
	v_or3_b32 v0, v0, v2, v3
	s_addc_u32 s5, s8, s5
	ds_read_b128 v[2:5], v0
	ds_read_b128 v[6:9], v0 offset:128
	v_mov_b32_e32 v0, s5
	v_add_co_u32_e32 v10, vcc, s4, v50
	v_or_b32_e32 v12, s25, v1
	v_addc_co_u32_e32 v11, vcc, 0, v0, vcc
	v_mad_u64_u32 v[0:1], s[4:5], v12, s6, 0
	v_lshlrev_b64 v[0:1], 1, v[0:1]
	v_add_co_u32_e32 v0, vcc, v10, v0
	v_addc_co_u32_e32 v1, vcc, v11, v1, vcc
	s_waitcnt lgkmcnt(1)
	global_store_dwordx4 v[0:1], v[2:5], off
	v_or_b32_e32 v0, 4, v12
	v_mad_u64_u32 v[0:1], s[4:5], v0, s6, 0
	v_lshlrev_b64 v[0:1], 1, v[0:1]
	v_add_co_u32_e32 v0, vcc, v10, v0
	v_addc_co_u32_e32 v1, vcc, v11, v1, vcc
	s_waitcnt lgkmcnt(0)
	global_store_dwordx4 v[0:1], v[6:9], off
.LBB917_597:
	s_endpgm
	.section	.rodata,"a",@progbits
	.p2align	6, 0x0
	.amdhsa_kernel _Z39paged_attention_ll4mi_QKV_mfma16_kernelI14__hip_bfloat16hLN4vllm18Fp8KVCacheDataTypeE1ES0_Li16ELi128ELi256ELb0ELi8EL8MFMAType0EEvPKT_PKT0_S9_ifPKiSB_SB_iPKfiiiPfSE_PS4_PT2_iSD_SD_
		.amdhsa_group_segment_fixed_size 8192
		.amdhsa_private_segment_fixed_size 352
		.amdhsa_kernarg_size 400
		.amdhsa_user_sgpr_count 8
		.amdhsa_user_sgpr_private_segment_buffer 1
		.amdhsa_user_sgpr_dispatch_ptr 0
		.amdhsa_user_sgpr_queue_ptr 0
		.amdhsa_user_sgpr_kernarg_segment_ptr 1
		.amdhsa_user_sgpr_dispatch_id 0
		.amdhsa_user_sgpr_flat_scratch_init 1
		.amdhsa_user_sgpr_kernarg_preload_length 0
		.amdhsa_user_sgpr_kernarg_preload_offset 0
		.amdhsa_user_sgpr_private_segment_size 0
		.amdhsa_uses_dynamic_stack 0
		.amdhsa_system_sgpr_private_segment_wavefront_offset 1
		.amdhsa_system_sgpr_workgroup_id_x 1
		.amdhsa_system_sgpr_workgroup_id_y 1
		.amdhsa_system_sgpr_workgroup_id_z 1
		.amdhsa_system_sgpr_workgroup_info 0
		.amdhsa_system_vgpr_workitem_id 0
		.amdhsa_next_free_vgpr 80
		.amdhsa_next_free_sgpr 53
		.amdhsa_accum_offset 80
		.amdhsa_reserve_vcc 1
		.amdhsa_reserve_flat_scratch 0
		.amdhsa_float_round_mode_32 0
		.amdhsa_float_round_mode_16_64 0
		.amdhsa_float_denorm_mode_32 3
		.amdhsa_float_denorm_mode_16_64 3
		.amdhsa_dx10_clamp 1
		.amdhsa_ieee_mode 1
		.amdhsa_fp16_overflow 0
		.amdhsa_tg_split 0
		.amdhsa_exception_fp_ieee_invalid_op 0
		.amdhsa_exception_fp_denorm_src 0
		.amdhsa_exception_fp_ieee_div_zero 0
		.amdhsa_exception_fp_ieee_overflow 0
		.amdhsa_exception_fp_ieee_underflow 0
		.amdhsa_exception_fp_ieee_inexact 0
		.amdhsa_exception_int_div_zero 0
	.end_amdhsa_kernel
	.section	.text._Z39paged_attention_ll4mi_QKV_mfma16_kernelI14__hip_bfloat16hLN4vllm18Fp8KVCacheDataTypeE1ES0_Li16ELi128ELi256ELb0ELi8EL8MFMAType0EEvPKT_PKT0_S9_ifPKiSB_SB_iPKfiiiPfSE_PS4_PT2_iSD_SD_,"axG",@progbits,_Z39paged_attention_ll4mi_QKV_mfma16_kernelI14__hip_bfloat16hLN4vllm18Fp8KVCacheDataTypeE1ES0_Li16ELi128ELi256ELb0ELi8EL8MFMAType0EEvPKT_PKT0_S9_ifPKiSB_SB_iPKfiiiPfSE_PS4_PT2_iSD_SD_,comdat
.Lfunc_end917:
	.size	_Z39paged_attention_ll4mi_QKV_mfma16_kernelI14__hip_bfloat16hLN4vllm18Fp8KVCacheDataTypeE1ES0_Li16ELi128ELi256ELb0ELi8EL8MFMAType0EEvPKT_PKT0_S9_ifPKiSB_SB_iPKfiiiPfSE_PS4_PT2_iSD_SD_, .Lfunc_end917-_Z39paged_attention_ll4mi_QKV_mfma16_kernelI14__hip_bfloat16hLN4vllm18Fp8KVCacheDataTypeE1ES0_Li16ELi128ELi256ELb0ELi8EL8MFMAType0EEvPKT_PKT0_S9_ifPKiSB_SB_iPKfiiiPfSE_PS4_PT2_iSD_SD_
                                        ; -- End function
	.section	.AMDGPU.csdata,"",@progbits
; Kernel info:
; codeLenInByte = 22168
; NumSgprs: 57
; NumVgprs: 80
; NumAgprs: 0
; TotalNumVgprs: 80
; ScratchSize: 352
; MemoryBound: 0
; FloatMode: 240
; IeeeMode: 1
; LDSByteSize: 8192 bytes/workgroup (compile time only)
; SGPRBlocks: 7
; VGPRBlocks: 9
; NumSGPRsForWavesPerEU: 57
; NumVGPRsForWavesPerEU: 80
; AccumOffset: 80
; Occupancy: 6
; WaveLimiterHint : 1
; COMPUTE_PGM_RSRC2:SCRATCH_EN: 1
; COMPUTE_PGM_RSRC2:USER_SGPR: 8
; COMPUTE_PGM_RSRC2:TRAP_HANDLER: 0
; COMPUTE_PGM_RSRC2:TGID_X_EN: 1
; COMPUTE_PGM_RSRC2:TGID_Y_EN: 1
; COMPUTE_PGM_RSRC2:TGID_Z_EN: 1
; COMPUTE_PGM_RSRC2:TIDIG_COMP_CNT: 0
; COMPUTE_PGM_RSRC3_GFX90A:ACCUM_OFFSET: 19
; COMPUTE_PGM_RSRC3_GFX90A:TG_SPLIT: 0
	.section	.text._Z39paged_attention_ll4mi_QKV_mfma16_kernelI14__hip_bfloat16hLN4vllm18Fp8KVCacheDataTypeE1ES0_Li16ELi128ELi256ELb0ELi9EL8MFMAType0EEvPKT_PKT0_S9_ifPKiSB_SB_iPKfiiiPfSE_PS4_PT2_iSD_SD_,"axG",@progbits,_Z39paged_attention_ll4mi_QKV_mfma16_kernelI14__hip_bfloat16hLN4vllm18Fp8KVCacheDataTypeE1ES0_Li16ELi128ELi256ELb0ELi9EL8MFMAType0EEvPKT_PKT0_S9_ifPKiSB_SB_iPKfiiiPfSE_PS4_PT2_iSD_SD_,comdat
	.protected	_Z39paged_attention_ll4mi_QKV_mfma16_kernelI14__hip_bfloat16hLN4vllm18Fp8KVCacheDataTypeE1ES0_Li16ELi128ELi256ELb0ELi9EL8MFMAType0EEvPKT_PKT0_S9_ifPKiSB_SB_iPKfiiiPfSE_PS4_PT2_iSD_SD_ ; -- Begin function _Z39paged_attention_ll4mi_QKV_mfma16_kernelI14__hip_bfloat16hLN4vllm18Fp8KVCacheDataTypeE1ES0_Li16ELi128ELi256ELb0ELi9EL8MFMAType0EEvPKT_PKT0_S9_ifPKiSB_SB_iPKfiiiPfSE_PS4_PT2_iSD_SD_
	.globl	_Z39paged_attention_ll4mi_QKV_mfma16_kernelI14__hip_bfloat16hLN4vllm18Fp8KVCacheDataTypeE1ES0_Li16ELi128ELi256ELb0ELi9EL8MFMAType0EEvPKT_PKT0_S9_ifPKiSB_SB_iPKfiiiPfSE_PS4_PT2_iSD_SD_
	.p2align	8
	.type	_Z39paged_attention_ll4mi_QKV_mfma16_kernelI14__hip_bfloat16hLN4vllm18Fp8KVCacheDataTypeE1ES0_Li16ELi128ELi256ELb0ELi9EL8MFMAType0EEvPKT_PKT0_S9_ifPKiSB_SB_iPKfiiiPfSE_PS4_PT2_iSD_SD_,@function
_Z39paged_attention_ll4mi_QKV_mfma16_kernelI14__hip_bfloat16hLN4vllm18Fp8KVCacheDataTypeE1ES0_Li16ELi128ELi256ELb0ELi9EL8MFMAType0EEvPKT_PKT0_S9_ifPKiSB_SB_iPKfiiiPfSE_PS4_PT2_iSD_SD_: ; @_Z39paged_attention_ll4mi_QKV_mfma16_kernelI14__hip_bfloat16hLN4vllm18Fp8KVCacheDataTypeE1ES0_Li16ELi128ELi256ELb0ELi9EL8MFMAType0EEvPKT_PKT0_S9_ifPKiSB_SB_iPKfiiiPfSE_PS4_PT2_iSD_SD_
; %bb.0:
	s_load_dwordx2 s[6:7], s[4:5], 0x30
	s_add_u32 s0, s0, s11
	s_addc_u32 s1, s1, 0
	s_mov_b32 s24, s9
	s_mov_b64 s[12:13], 0
	s_waitcnt lgkmcnt(0)
	s_cmp_lg_u64 s[6:7], 0
	s_cselect_b64 s[16:17], -1, 0
	s_and_b64 vcc, exec, s[16:17]
	s_cbranch_vccz .LBB918_7
; %bb.1:
	s_add_i32 s14, s8, 1
	s_mov_b32 s15, 0
	s_lshl_b64 s[18:19], s[14:15], 2
	s_add_u32 s18, s6, s18
	s_mov_b32 s9, s15
	s_addc_u32 s19, s7, s19
	s_lshl_b64 s[14:15], s[8:9], 2
	s_add_u32 s14, s6, s14
	s_addc_u32 s15, s7, s15
	s_load_dword s11, s[18:19], 0x0
	s_load_dword s20, s[14:15], 0x0
	s_waitcnt lgkmcnt(0)
	s_sub_i32 s11, s11, s20
	s_cmp_eq_u32 s11, 1
	s_cselect_b64 s[14:15], -1, 0
	s_andn2_b64 vcc, exec, s[12:13]
	s_cbranch_vccnz .LBB918_3
.LBB918_2:
	s_mov_b32 s9, 0
	s_mov_b64 s[14:15], -1
.LBB918_3:
	s_andn2_b64 vcc, exec, s[14:15]
	s_cbranch_vccnz .LBB918_598
; %bb.4:
	s_load_dwordx2 s[12:13], s[4:5], 0x28
	s_lshl_b64 s[18:19], s[8:9], 2
	s_waitcnt lgkmcnt(0)
	s_add_u32 s12, s12, s18
	s_addc_u32 s13, s13, s19
	s_load_dword s33, s[12:13], 0x0
	s_lshl_b32 s20, s24, 8
	s_waitcnt lgkmcnt(0)
	s_cmp_ge_i32 s20, s33
	s_cbranch_scc1 .LBB918_598
; %bb.5:
	s_add_i32 s14, s33, 15
	s_load_dwordx2 s[12:13], s[4:5], 0x20
	s_load_dword s11, s[4:5], 0x38
	s_ashr_i32 s15, s14, 31
	v_and_b32_e32 v1, 0xcf, v0
	s_lshr_b32 s15, s15, 28
	v_add_u32_e32 v1, s20, v1
	s_add_i32 s14, s14, s15
	v_ashrrev_i32_e32 v2, 31, v1
	s_ashr_i32 s22, s14, 4
	v_lshrrev_b32_e32 v6, 28, v2
	s_add_i32 s22, s22, -1
	v_add_u32_e32 v2, v1, v6
	s_waitcnt lgkmcnt(0)
	s_mul_i32 s14, s8, s11
	s_mov_b32 s15, 0
	v_ashrrev_i32_e32 v2, 4, v2
	v_mov_b32_e32 v7, s22
	v_cmp_gt_i32_e32 vcc, s33, v1
	s_lshl_b64 s[14:15], s[14:15], 2
	v_cndmask_b32_e32 v2, v7, v2, vcc
	s_add_u32 s11, s12, s14
	v_ashrrev_i32_e32 v3, 31, v2
	s_addc_u32 s21, s13, s15
	v_lshlrev_b64 v[2:3], 2, v[2:3]
	v_mov_b32_e32 v5, s21
	v_add_co_u32_e32 v4, vcc, s11, v2
	v_or_b32_e32 v2, 16, v1
	v_addc_co_u32_e32 v5, vcc, v5, v3, vcc
	v_add_u32_e32 v3, v2, v6
	v_ashrrev_i32_e32 v3, 4, v3
	v_cmp_gt_i32_e32 vcc, s33, v2
	v_cndmask_b32_e32 v2, v7, v3, vcc
	v_ashrrev_i32_e32 v3, 31, v2
	v_lshlrev_b64 v[2:3], 2, v[2:3]
	v_mov_b32_e32 v9, s21
	v_add_co_u32_e32 v8, vcc, s11, v2
	v_or_b32_e32 v2, 32, v1
	v_addc_co_u32_e32 v9, vcc, v9, v3, vcc
	v_add_u32_e32 v3, v2, v6
	v_ashrrev_i32_e32 v3, 4, v3
	v_cmp_gt_i32_e32 vcc, s33, v2
	v_cndmask_b32_e32 v2, v7, v3, vcc
	v_ashrrev_i32_e32 v3, 31, v2
	;; [unrolled: 10-line block ×3, first 2 shown]
	v_lshlrev_b64 v[2:3], 2, v[2:3]
	v_mov_b32_e32 v1, s21
	v_add_co_u32_e32 v12, vcc, s11, v2
	v_addc_co_u32_e32 v13, vcc, v1, v3, vcc
	global_load_dword v3, v[4:5], off
	global_load_dword v2, v[8:9], off
	;; [unrolled: 1-line block ×4, first 2 shown]
	s_load_dwordx4 s[12:15], s[4:5], 0x8
	s_andn2_b64 vcc, exec, s[16:17]
	s_cbranch_vccnz .LBB918_8
; %bb.6:
	s_add_u32 s6, s6, s18
	s_addc_u32 s7, s7, s19
	s_load_dword s16, s[6:7], 0x0
	s_branch .LBB918_9
.LBB918_7:
	s_mov_b64 s[14:15], 0
	s_branch .LBB918_2
.LBB918_8:
	s_mov_b32 s16, s8
.LBB918_9:
	s_load_dwordx2 s[48:49], s[4:5], 0x68
	s_load_dwordx8 s[40:47], s[4:5], 0x48
	v_lshrrev_b32_e32 v62, 6, v0
	v_bfe_u32 v1, v0, 4, 2
	v_and_b32_e32 v55, 15, v0
	v_lshl_or_b32 v4, v62, 2, v1
	v_lshlrev_b32_e32 v5, 3, v55
	s_mul_i32 s25, s10, 9
	v_cmp_gt_u32_e32 vcc, 9, v4
	v_lshlrev_b32_e32 v54, 1, v5
	v_lshlrev_b32_e32 v56, 4, v0
	s_and_saveexec_b64 s[6:7], vcc
	s_cbranch_execz .LBB918_11
; %bb.10:
	s_load_dwordx2 s[18:19], s[4:5], 0x0
	s_waitcnt lgkmcnt(0)
	s_ashr_i32 s17, s40, 31
	s_mul_hi_u32 s23, s16, s40
	s_mul_i32 s17, s16, s17
	s_add_i32 s17, s23, s17
	s_mul_i32 s16, s16, s40
	s_lshl_b64 s[16:17], s[16:17], 1
	v_add_lshl_u32 v8, v4, s25, 7
	s_add_u32 s16, s18, s16
	v_ashrrev_i32_e32 v9, 31, v8
	s_addc_u32 s17, s19, s17
	v_lshlrev_b64 v[8:9], 1, v[8:9]
	v_mov_b32_e32 v5, s17
	v_add_co_u32_e32 v7, vcc, s16, v8
	v_addc_co_u32_e32 v5, vcc, v5, v9, vcc
	v_add_co_u32_e32 v8, vcc, v7, v54
	v_addc_co_u32_e32 v9, vcc, 0, v5, vcc
	global_load_dwordx4 v[8:11], v[8:9], off
	v_lshlrev_b32_e32 v7, 8, v0
	v_lshlrev_b32_e32 v5, 8, v55
	v_and_b32_e32 v7, 0x600, v7
	s_movk_i32 s16, 0x800
	v_and_or_b32 v5, v5, s16, v7
	v_lshlrev_b32_e32 v4, 5, v4
	v_and_b32_e32 v7, 16, v56
	v_or3_b32 v4, v5, v4, v7
	s_waitcnt vmcnt(0)
	ds_write_b128 v4, v[8:11]
.LBB918_11:
	s_or_b64 exec, exec, s[6:7]
	v_and_b32_e32 v7, 48, v0
	v_or_b32_e32 v14, s20, v7
	v_ashrrev_i32_e32 v4, 4, v14
	v_mov_b32_e32 v15, s22
	v_cmp_gt_i32_e32 vcc, s33, v14
	v_cndmask_b32_e32 v4, v15, v4, vcc
	v_ashrrev_i32_e32 v5, 31, v4
	v_lshlrev_b64 v[4:5], 2, v[4:5]
	v_mov_b32_e32 v8, s21
	v_add_co_u32_e32 v4, vcc, s11, v4
	v_addc_co_u32_e32 v5, vcc, v8, v5, vcc
	v_or_b32_e32 v8, 64, v14
	v_ashrrev_i32_e32 v9, 4, v8
	v_cmp_gt_i32_e32 vcc, s33, v8
	v_cndmask_b32_e32 v8, v15, v9, vcc
	v_ashrrev_i32_e32 v9, 31, v8
	v_lshlrev_b64 v[8:9], 2, v[8:9]
	v_mov_b32_e32 v10, s21
	v_add_co_u32_e32 v8, vcc, s11, v8
	v_addc_co_u32_e32 v9, vcc, v10, v9, vcc
	v_or_b32_e32 v10, 0x80, v14
	v_ashrrev_i32_e32 v11, 4, v10
	v_cmp_gt_i32_e32 vcc, s33, v10
	v_cndmask_b32_e32 v10, v15, v11, vcc
	v_ashrrev_i32_e32 v11, 31, v10
	v_lshlrev_b64 v[10:11], 2, v[10:11]
	v_mov_b32_e32 v16, s21
	v_add_co_u32_e32 v10, vcc, s11, v10
	s_load_dwordx2 s[50:51], s[4:5], 0x94
	s_waitcnt lgkmcnt(0)
	s_barrier
	v_addc_co_u32_e32 v11, vcc, v16, v11, vcc
	global_load_dword v50, v[4:5], off
	global_load_dword v57, v[8:9], off
	;; [unrolled: 1-line block ×3, first 2 shown]
	v_or_b32_e32 v4, 0xc0, v14
	v_ashrrev_i32_e32 v5, 4, v4
	v_cmp_gt_i32_e32 vcc, s33, v4
	v_cndmask_b32_e32 v4, v15, v5, vcc
	v_ashrrev_i32_e32 v5, 31, v4
	v_lshlrev_b64 v[4:5], 2, v[4:5]
	v_mov_b32_e32 v8, s21
	v_add_co_u32_e32 v4, vcc, s11, v4
	v_addc_co_u32_e32 v5, vcc, v8, v5, vcc
	s_mul_i32 s10, s10, s42
	global_load_dword v72, v[4:5], off
	s_add_u32 s6, s12, s10
	s_addc_u32 s7, s13, 0
	v_and_b32_e32 v12, 0xf0, v56
	v_mov_b32_e32 v13, s7
	v_add_co_u32_e32 v20, vcc, s6, v12
	v_addc_co_u32_e32 v21, vcc, 0, v13, vcc
	v_lshlrev_b32_e32 v28, 4, v7
	s_waitcnt vmcnt(7)
	v_mad_i64_i32 v[4:5], s[6:7], v3, s41, v[20:21]
	v_add_co_u32_e32 v4, vcc, v4, v28
	v_addc_co_u32_e32 v5, vcc, 0, v5, vcc
	global_load_dwordx4 v[38:41], v[4:5], off
	global_load_dwordx4 v[10:13], v[4:5], off offset:1024
	s_waitcnt vmcnt(8)
	v_mad_i64_i32 v[2:3], s[6:7], v2, s41, v[20:21]
	v_add_co_u32_e32 v8, vcc, v2, v28
	v_addc_co_u32_e32 v9, vcc, 0, v3, vcc
	s_waitcnt vmcnt(7)
	v_mad_i64_i32 v[6:7], s[6:7], v6, s41, v[20:21]
	v_add_co_u32_e32 v26, vcc, v6, v28
	v_addc_co_u32_e32 v27, vcc, 0, v7, vcc
	s_waitcnt vmcnt(6)
	v_mad_i64_i32 v[18:19], s[6:7], v18, s41, v[20:21]
	v_add_co_u32_e32 v30, vcc, v18, v28
	s_add_u32 s10, s14, s10
	v_lshl_or_b32 v63, v62, 4, v55
	global_load_dwordx4 v[14:17], v[8:9], off
	global_load_dwordx4 v[2:5], v[8:9], off offset:1024
	v_addc_co_u32_e32 v31, vcc, 0, v19, vcc
	s_addc_u32 s11, s15, 0
	v_lshlrev_b32_e32 v51, 4, v63
	global_load_dwordx4 v[6:9], v[26:27], off
	global_load_dwordx4 v[22:25], v[26:27], off offset:1024
	s_nop 0
	global_load_dwordx4 v[26:29], v[30:31], off
	global_load_dwordx4 v[18:21], v[30:31], off offset:1024
	v_mov_b32_e32 v30, s11
	v_add_co_u32_e32 v42, vcc, s10, v51
	v_addc_co_u32_e32 v43, vcc, 0, v30, vcc
	v_or_b32_e32 v51, 0x400, v51
	v_mov_b32_e32 v52, s11
	v_add_co_u32_e32 v58, vcc, s10, v51
	v_addc_co_u32_e32 v59, vcc, 0, v52, vcc
	v_cmp_gt_u32_e32 vcc, 9, v55
	s_mov_b32 s12, 0
	s_movk_i32 s13, 0x80
	s_movk_i32 s14, 0x7f
	s_mov_b32 s15, 0xffffff
	s_mov_b32 s16, 0x5040100
	s_waitcnt vmcnt(11)
	v_mad_i64_i32 v[30:31], s[6:7], v50, s41, v[42:43]
	s_waitcnt vmcnt(10)
	v_mad_i64_i32 v[32:33], s[6:7], v57, s41, v[42:43]
	;; [unrolled: 2-line block ×3, first 2 shown]
	global_load_dwordx4 v[34:37], v[30:31], off
	s_nop 0
	global_load_dwordx4 v[30:33], v[32:33], off
	v_mad_i64_i32 v[50:51], s[6:7], v50, s41, v[58:59]
	v_mad_i64_i32 v[60:61], s[6:7], v57, s41, v[58:59]
	s_waitcnt vmcnt(10)
	v_mad_i64_i32 v[42:43], s[6:7], v72, s41, v[42:43]
	global_load_dwordx4 v[46:49], v[44:45], off
	s_nop 0
	global_load_dwordx4 v[42:45], v[42:43], off
	s_nop 0
	global_load_dwordx4 v[50:53], v[50:51], off
	s_nop 0
	global_load_dwordx4 v[64:67], v[60:61], off
	s_waitcnt vmcnt(13)
	buffer_store_dword v41, off, s[0:3], 0 offset:12
	buffer_store_dword v40, off, s[0:3], 0 offset:8
	v_mad_i64_i32 v[40:41], s[6:7], v68, s41, v[58:59]
	global_load_dwordx4 v[68:71], v[40:41], off
	v_mad_i64_i32 v[40:41], s[6:7], v72, s41, v[58:59]
	global_load_dwordx4 v[72:75], v[40:41], off
	s_nop 0
	buffer_store_dword v39, off, s[0:3], 0 offset:4
	buffer_store_dword v38, off, s[0:3], 0
	s_waitcnt vmcnt(18)
	buffer_store_dword v13, off, s[0:3], 0 offset:28
	buffer_store_dword v12, off, s[0:3], 0 offset:24
	;; [unrolled: 1-line block ×4, first 2 shown]
	s_waitcnt vmcnt(21)
	buffer_store_dword v17, off, s[0:3], 0 offset:44
	buffer_store_dword v16, off, s[0:3], 0 offset:40
	;; [unrolled: 1-line block ×4, first 2 shown]
	s_load_dword s6, s[4:5], 0x1c
	s_load_dwordx4 s[40:43], s[4:5], 0x80
	s_waitcnt vmcnt(24)
	buffer_store_dword v5, off, s[0:3], 0 offset:60
	buffer_store_dword v4, off, s[0:3], 0 offset:56
	;; [unrolled: 1-line block ×4, first 2 shown]
	v_add_u32_e32 v2, -9, v55
	v_cndmask_b32_e32 v2, v2, v55, vcc
	v_lshlrev_b32_e32 v2, 5, v2
	v_mov_b32_e32 v10, 0x80
	s_waitcnt vmcnt(27)
	buffer_store_dword v9, off, s[0:3], 0 offset:76
	buffer_store_dword v8, off, s[0:3], 0 offset:72
	buffer_store_dword v7, off, s[0:3], 0 offset:68
	buffer_store_dword v6, off, s[0:3], 0 offset:64
	v_lshl_add_u32 v14, v1, 9, v2
	v_add_u32_e32 v39, 16, v10
	v_add_u32_e32 v61, 32, v10
	;; [unrolled: 1-line block ×7, first 2 shown]
	ds_read_b128 v[2:5], v14
	ds_read_b128 v[6:9], v14 offset:16
	ds_read_b128 v[10:13], v14 offset:2048
	;; [unrolled: 1-line block ×3, first 2 shown]
	s_waitcnt vmcnt(30)
	buffer_store_dword v25, off, s[0:3], 0 offset:92
	buffer_store_dword v24, off, s[0:3], 0 offset:88
	buffer_store_dword v23, off, s[0:3], 0 offset:84
	buffer_store_dword v22, off, s[0:3], 0 offset:80
	s_waitcnt vmcnt(33)
	buffer_store_dword v29, off, s[0:3], 0 offset:108
	buffer_store_dword v28, off, s[0:3], 0 offset:104
	buffer_store_dword v27, off, s[0:3], 0 offset:100
	buffer_store_dword v26, off, s[0:3], 0 offset:96
	;; [unrolled: 5-line block ×3, first 2 shown]
	s_waitcnt lgkmcnt(0)
	v_mov_b32_e32 v18, s6
	v_and_b32_e32 v38, 63, v0
	v_mov_b32_e32 v27, 0
	s_waitcnt vmcnt(39)
	buffer_store_dword v37, off, s[0:3], 0 offset:140
	buffer_store_dword v36, off, s[0:3], 0 offset:136
	buffer_store_dword v35, off, s[0:3], 0 offset:132
	buffer_store_dword v34, off, s[0:3], 0 offset:128
	s_waitcnt vmcnt(42)
	buffer_store_dword v33, off, s[0:3], 0 offset:172
	buffer_store_dword v32, off, s[0:3], 0 offset:168
	buffer_store_dword v31, off, s[0:3], 0 offset:164
	buffer_store_dword v30, off, s[0:3], 0 offset:160
	;; [unrolled: 5-line block ×7, first 2 shown]
	s_waitcnt vmcnt(58)
	buffer_store_dword v75, off, s[0:3], 0 offset:252
	s_load_dword s4, s[40:41], 0x0
	v_mov_b32_e32 v29, 0x100
	v_mov_b32_e32 v31, 0
	v_bfrev_b32_e32 v33, 60
	buffer_store_dword v74, off, s[0:3], 0 offset:248
	buffer_store_dword v73, off, s[0:3], 0 offset:244
	;; [unrolled: 1-line block ×3, first 2 shown]
	s_waitcnt lgkmcnt(0)
	v_mul_f32_e32 v22, s4, v18
	v_mov_b32_e32 v24, v22
	v_mov_b32_e32 v25, v22
	s_branch .LBB918_15
.LBB918_12:                             ;   in Loop: Header=BB918_15 Depth=1
	s_or_b64 exec, exec, s[10:11]
.LBB918_13:                             ;   in Loop: Header=BB918_15 Depth=1
	s_or_b64 exec, exec, s[6:7]
.LBB918_14:                             ;   in Loop: Header=BB918_15 Depth=1
	s_or_b64 exec, exec, s[4:5]
	v_perm_b32 v43, v36, v32, s16
	v_perm_b32 v42, v23, v34, s16
	;; [unrolled: 1-line block ×4, first 2 shown]
	v_add_u32_e32 v26, s12, v29
	v_mfma_f32_16x16x16bf16_1k v[18:21], v[42:43], v[14:15], v[18:21]
	s_add_i32 s12, s12, 16
	v_mov_b32_e32 v23, v22
	s_cmp_eq_u32 s12, 64
	v_add_u32_e32 v27, 32, v27
	v_mfma_f32_16x16x16bf16_1k v[18:21], v[36:37], v[16:17], v[18:21]
	s_nop 7
	s_nop 2
	v_pk_mul_f32 v[18:19], v[24:25], v[18:19]
	v_pk_mul_f32 v[20:21], v[22:23], v[20:21]
	buffer_store_dword v19, v26, s[0:3], 0 offen offset:4
	buffer_store_dword v18, v26, s[0:3], 0 offen
	buffer_store_dword v21, v26, s[0:3], 0 offen offset:12
	buffer_store_dword v20, v26, s[0:3], 0 offen offset:8
	s_cbranch_scc1 .LBB918_205
.LBB918_15:                             ; =>This Inner Loop Header: Depth=1
	buffer_load_dword v20, v27, s[0:3], 0 offen
	buffer_load_dword v18, v27, s[0:3], 0 offen offset:4
	buffer_load_dword v28, v27, s[0:3], 0 offen offset:8
	;; [unrolled: 1-line block ×3, first 2 shown]
	v_mov_b32_e32 v19, 0
	s_waitcnt vmcnt(3)
	v_cmp_ne_u16_sdwa s[6:7], v20, v31 src0_sel:BYTE_0 src1_sel:DWORD
	s_and_saveexec_b64 s[4:5], s[6:7]
	s_cbranch_execz .LBB918_21
; %bb.16:                               ;   in Loop: Header=BB918_15 Depth=1
	v_cmp_ne_u16_sdwa s[10:11], v20, s13 src0_sel:BYTE_0 src1_sel:DWORD
	v_mov_b32_e32 v19, 0xffff8000
	s_and_saveexec_b64 s[6:7], s[10:11]
	s_cbranch_execz .LBB918_20
; %bb.17:                               ;   in Loop: Header=BB918_15 Depth=1
	v_and_b32_e32 v21, 0x7f, v20
	v_cmp_ne_u32_e32 vcc, s14, v21
	v_mov_b32_e32 v19, 0x7f80
	s_and_saveexec_b64 s[10:11], vcc
	s_cbranch_execz .LBB918_19
; %bb.18:                               ;   in Loop: Header=BB918_15 Depth=1
	v_and_b32_e32 v19, 7, v20
	v_ffbh_u32_e32 v30, v19
	v_min_u32_e32 v30, 32, v30
	v_subrev_u32_e32 v32, 28, v30
	v_lshlrev_b64 v[34:35], v32, v[20:21]
	v_lshrrev_b32_e32 v23, 3, v21
	v_sub_u32_e32 v30, 29, v30
	v_and_b32_e32 v32, 7, v34
	v_cmp_gt_u32_e32 vcc, 8, v21
	v_cndmask_b32_e32 v21, v23, v30, vcc
	v_cndmask_b32_e32 v19, v19, v32, vcc
	v_lshlrev_b32_e32 v23, 24, v20
	v_lshlrev_b32_e32 v19, 20, v19
	v_and_b32_e32 v23, 0x80000000, v23
	v_lshl_add_u32 v21, v21, 23, v33
	v_or3_b32 v19, v23, v21, v19
	v_lshrrev_b32_e32 v19, 16, v19
.LBB918_19:                             ;   in Loop: Header=BB918_15 Depth=1
	s_or_b64 exec, exec, s[10:11]
.LBB918_20:                             ;   in Loop: Header=BB918_15 Depth=1
	s_or_b64 exec, exec, s[6:7]
.LBB918_21:                             ;   in Loop: Header=BB918_15 Depth=1
	s_or_b64 exec, exec, s[4:5]
	v_lshrrev_b16_e32 v30, 8, v20
	v_cmp_ne_u16_e32 vcc, 0, v30
	v_mov_b32_e32 v23, 0
	v_mov_b32_e32 v21, 0
	s_and_saveexec_b64 s[4:5], vcc
	s_cbranch_execz .LBB918_27
; %bb.22:                               ;   in Loop: Header=BB918_15 Depth=1
	v_cmp_ne_u16_e32 vcc, s13, v30
	v_mov_b32_e32 v21, 0xffff8000
	s_and_saveexec_b64 s[6:7], vcc
	s_cbranch_execz .LBB918_26
; %bb.23:                               ;   in Loop: Header=BB918_15 Depth=1
	v_and_b32_e32 v32, 0x7f, v30
	v_cmp_ne_u32_e32 vcc, s14, v32
	v_mov_b32_e32 v21, 0x7f80
	s_and_saveexec_b64 s[10:11], vcc
	s_cbranch_execz .LBB918_25
; %bb.24:                               ;   in Loop: Header=BB918_15 Depth=1
	v_and_b32_e32 v21, 7, v30
	v_ffbh_u32_e32 v34, v21
	v_min_u32_e32 v37, 32, v34
	v_subrev_u32_e32 v34, 28, v37
	v_lshlrev_b64 v[34:35], v34, v[30:31]
	v_lshrrev_b32_e32 v36, 3, v32
	v_sub_u32_e32 v30, 29, v37
	v_and_b32_e32 v34, 7, v34
	v_cmp_gt_u32_e32 vcc, 8, v32
	v_cndmask_b32_e32 v30, v36, v30, vcc
	v_cndmask_b32_e32 v21, v21, v34, vcc
	v_lshlrev_b32_e32 v32, 16, v20
	v_lshlrev_b32_e32 v21, 20, v21
	v_and_b32_e32 v32, 0x80000000, v32
	v_lshl_add_u32 v30, v30, 23, v33
	v_or3_b32 v21, v32, v30, v21
	v_lshrrev_b32_e32 v21, 16, v21
.LBB918_25:                             ;   in Loop: Header=BB918_15 Depth=1
	s_or_b64 exec, exec, s[10:11]
.LBB918_26:                             ;   in Loop: Header=BB918_15 Depth=1
	s_or_b64 exec, exec, s[6:7]
.LBB918_27:                             ;   in Loop: Header=BB918_15 Depth=1
	s_or_b64 exec, exec, s[4:5]
	v_lshrrev_b32_e32 v30, 16, v20
	v_cmp_ne_u16_sdwa s[6:7], v30, v31 src0_sel:BYTE_0 src1_sel:DWORD
	s_and_saveexec_b64 s[4:5], s[6:7]
	s_cbranch_execz .LBB918_33
; %bb.28:                               ;   in Loop: Header=BB918_15 Depth=1
	v_cmp_ne_u16_sdwa s[10:11], v30, s13 src0_sel:BYTE_0 src1_sel:DWORD
	v_mov_b32_e32 v23, 0xffff8000
	s_and_saveexec_b64 s[6:7], s[10:11]
	s_cbranch_execz .LBB918_32
; %bb.29:                               ;   in Loop: Header=BB918_15 Depth=1
	v_bfe_u32 v32, v20, 16, 7
	v_cmp_ne_u32_e32 vcc, s14, v32
	v_mov_b32_e32 v23, 0x7f80
	s_and_saveexec_b64 s[10:11], vcc
	s_cbranch_execz .LBB918_31
; %bb.30:                               ;   in Loop: Header=BB918_15 Depth=1
	v_and_b32_e32 v23, 7, v30
	v_ffbh_u32_e32 v34, v23
	v_min_u32_e32 v37, 32, v34
	v_subrev_u32_e32 v34, 28, v37
	v_lshlrev_b64 v[34:35], v34, v[30:31]
	v_lshrrev_b32_e32 v36, 3, v32
	v_sub_u32_e32 v35, 29, v37
	v_and_b32_e32 v34, 7, v34
	v_cmp_gt_u32_e32 vcc, 8, v32
	v_cndmask_b32_e32 v32, v36, v35, vcc
	v_cndmask_b32_e32 v23, v23, v34, vcc
	v_lshlrev_b32_e32 v30, 24, v30
	v_lshlrev_b32_e32 v23, 20, v23
	v_and_b32_e32 v30, 0x80000000, v30
	v_lshl_add_u32 v32, v32, 23, v33
	v_or3_b32 v23, v30, v32, v23
	v_lshrrev_b32_e32 v23, 16, v23
.LBB918_31:                             ;   in Loop: Header=BB918_15 Depth=1
	s_or_b64 exec, exec, s[10:11]
.LBB918_32:                             ;   in Loop: Header=BB918_15 Depth=1
	s_or_b64 exec, exec, s[6:7]
.LBB918_33:                             ;   in Loop: Header=BB918_15 Depth=1
	s_or_b64 exec, exec, s[4:5]
	v_cmp_lt_u32_e32 vcc, s15, v20
	v_mov_b32_e32 v34, 0
	v_mov_b32_e32 v35, 0
	s_and_saveexec_b64 s[4:5], vcc
	s_cbranch_execz .LBB918_39
; %bb.34:                               ;   in Loop: Header=BB918_15 Depth=1
	v_lshrrev_b32_e32 v30, 24, v20
	v_cmp_ne_u32_e32 vcc, s13, v30
	v_mov_b32_e32 v35, 0xffff8000
	s_and_saveexec_b64 s[6:7], vcc
	s_cbranch_execz .LBB918_38
; %bb.35:                               ;   in Loop: Header=BB918_15 Depth=1
	v_bfe_u32 v20, v20, 24, 7
	v_cmp_ne_u32_e32 vcc, s14, v20
	v_mov_b32_e32 v35, 0x7f80
	s_and_saveexec_b64 s[10:11], vcc
	s_cbranch_execz .LBB918_37
; %bb.36:                               ;   in Loop: Header=BB918_15 Depth=1
	v_and_b32_e32 v32, 7, v30
	v_ffbh_u32_e32 v36, v32
	v_min_u32_e32 v40, 32, v36
	v_subrev_u32_e32 v36, 28, v40
	v_lshlrev_b64 v[36:37], v36, v[30:31]
	v_lshrrev_b32_e32 v35, 3, v20
	v_sub_u32_e32 v37, 29, v40
	v_and_b32_e32 v36, 7, v36
	v_cmp_gt_u32_e32 vcc, 8, v20
	v_cndmask_b32_e32 v20, v35, v37, vcc
	v_cndmask_b32_e32 v32, v32, v36, vcc
	v_lshlrev_b32_e32 v30, 24, v30
	v_lshlrev_b32_e32 v32, 20, v32
	v_and_b32_e32 v30, 0x80000000, v30
	v_lshl_add_u32 v20, v20, 23, v33
	v_or3_b32 v20, v30, v20, v32
	v_lshrrev_b32_e32 v35, 16, v20
.LBB918_37:                             ;   in Loop: Header=BB918_15 Depth=1
	s_or_b64 exec, exec, s[10:11]
.LBB918_38:                             ;   in Loop: Header=BB918_15 Depth=1
	s_or_b64 exec, exec, s[6:7]
.LBB918_39:                             ;   in Loop: Header=BB918_15 Depth=1
	s_or_b64 exec, exec, s[4:5]
	s_waitcnt vmcnt(2)
	v_cmp_ne_u16_sdwa s[6:7], v18, v31 src0_sel:BYTE_0 src1_sel:DWORD
	s_and_saveexec_b64 s[4:5], s[6:7]
	s_cbranch_execz .LBB918_45
; %bb.40:                               ;   in Loop: Header=BB918_15 Depth=1
	v_cmp_ne_u16_sdwa s[10:11], v18, s13 src0_sel:BYTE_0 src1_sel:DWORD
	v_mov_b32_e32 v34, 0xffff8000
	s_and_saveexec_b64 s[6:7], s[10:11]
	s_cbranch_execz .LBB918_44
; %bb.41:                               ;   in Loop: Header=BB918_15 Depth=1
	v_and_b32_e32 v20, 0x7f, v18
	v_cmp_ne_u32_e32 vcc, s14, v20
	v_mov_b32_e32 v34, 0x7f80
	s_and_saveexec_b64 s[10:11], vcc
	s_cbranch_execz .LBB918_43
; %bb.42:                               ;   in Loop: Header=BB918_15 Depth=1
	v_and_b32_e32 v30, 7, v18
	v_ffbh_u32_e32 v34, v30
	v_min_u32_e32 v34, 32, v34
	v_subrev_u32_e32 v36, 28, v34
	v_lshlrev_b64 v[36:37], v36, v[18:19]
	v_lshrrev_b32_e32 v32, 3, v20
	v_sub_u32_e32 v34, 29, v34
	v_and_b32_e32 v36, 7, v36
	v_cmp_gt_u32_e32 vcc, 8, v20
	v_cndmask_b32_e32 v20, v32, v34, vcc
	v_cndmask_b32_e32 v30, v30, v36, vcc
	v_lshlrev_b32_e32 v32, 24, v18
	v_lshlrev_b32_e32 v30, 20, v30
	v_and_b32_e32 v32, 0x80000000, v32
	v_lshl_add_u32 v20, v20, 23, v33
	v_or3_b32 v20, v32, v20, v30
	v_lshrrev_b32_e32 v34, 16, v20
.LBB918_43:                             ;   in Loop: Header=BB918_15 Depth=1
	s_or_b64 exec, exec, s[10:11]
.LBB918_44:                             ;   in Loop: Header=BB918_15 Depth=1
	s_or_b64 exec, exec, s[6:7]
.LBB918_45:                             ;   in Loop: Header=BB918_15 Depth=1
	s_or_b64 exec, exec, s[4:5]
	v_lshrrev_b16_e32 v20, 8, v18
	v_cmp_ne_u16_e32 vcc, 0, v20
	v_mov_b32_e32 v36, 0
	v_mov_b32_e32 v30, 0
	s_and_saveexec_b64 s[4:5], vcc
	s_cbranch_execz .LBB918_51
; %bb.46:                               ;   in Loop: Header=BB918_15 Depth=1
	v_cmp_ne_u16_e32 vcc, s13, v20
	v_mov_b32_e32 v30, 0xffff8000
	s_and_saveexec_b64 s[6:7], vcc
	s_cbranch_execz .LBB918_50
; %bb.47:                               ;   in Loop: Header=BB918_15 Depth=1
	v_and_b32_e32 v32, 0x7f, v20
	v_cmp_ne_u32_e32 vcc, s14, v32
	v_mov_b32_e32 v30, 0x7f80
	s_and_saveexec_b64 s[10:11], vcc
	s_cbranch_execz .LBB918_49
; %bb.48:                               ;   in Loop: Header=BB918_15 Depth=1
	v_and_b32_e32 v30, 7, v20
	v_ffbh_u32_e32 v40, v30
	v_min_u32_e32 v40, 32, v40
	v_subrev_u32_e32 v42, 28, v40
	v_lshlrev_b64 v[42:43], v42, v[20:21]
	v_lshrrev_b32_e32 v37, 3, v32
	v_sub_u32_e32 v20, 29, v40
	v_and_b32_e32 v40, 7, v42
	v_cmp_gt_u32_e32 vcc, 8, v32
	v_cndmask_b32_e32 v20, v37, v20, vcc
	v_cndmask_b32_e32 v30, v30, v40, vcc
	v_lshlrev_b32_e32 v32, 16, v18
	v_lshlrev_b32_e32 v30, 20, v30
	v_and_b32_e32 v32, 0x80000000, v32
	v_lshl_add_u32 v20, v20, 23, v33
	v_or3_b32 v20, v32, v20, v30
	v_lshrrev_b32_e32 v30, 16, v20
.LBB918_49:                             ;   in Loop: Header=BB918_15 Depth=1
	s_or_b64 exec, exec, s[10:11]
.LBB918_50:                             ;   in Loop: Header=BB918_15 Depth=1
	s_or_b64 exec, exec, s[6:7]
.LBB918_51:                             ;   in Loop: Header=BB918_15 Depth=1
	s_or_b64 exec, exec, s[4:5]
	v_lshrrev_b32_e32 v20, 16, v18
	v_cmp_ne_u16_sdwa s[6:7], v20, v31 src0_sel:BYTE_0 src1_sel:DWORD
	s_and_saveexec_b64 s[4:5], s[6:7]
	s_cbranch_execz .LBB918_57
; %bb.52:                               ;   in Loop: Header=BB918_15 Depth=1
	v_cmp_ne_u16_sdwa s[10:11], v20, s13 src0_sel:BYTE_0 src1_sel:DWORD
	v_mov_b32_e32 v36, 0xffff8000
	s_and_saveexec_b64 s[6:7], s[10:11]
	s_cbranch_execz .LBB918_56
; %bb.53:                               ;   in Loop: Header=BB918_15 Depth=1
	v_bfe_u32 v32, v18, 16, 7
	v_cmp_ne_u32_e32 vcc, s14, v32
	v_mov_b32_e32 v36, 0x7f80
	s_and_saveexec_b64 s[10:11], vcc
	s_cbranch_execz .LBB918_55
; %bb.54:                               ;   in Loop: Header=BB918_15 Depth=1
	v_and_b32_e32 v40, 7, v20
	v_ffbh_u32_e32 v36, v40
	v_min_u32_e32 v43, 32, v36
	v_subrev_u32_e32 v36, 28, v43
	v_lshlrev_b64 v[36:37], v36, v[20:21]
	v_lshrrev_b32_e32 v42, 3, v32
	v_sub_u32_e32 v37, 29, v43
	v_and_b32_e32 v36, 7, v36
	v_cmp_gt_u32_e32 vcc, 8, v32
	v_cndmask_b32_e32 v32, v42, v37, vcc
	v_cndmask_b32_e32 v36, v40, v36, vcc
	v_lshlrev_b32_e32 v20, 24, v20
	v_lshlrev_b32_e32 v36, 20, v36
	v_and_b32_e32 v20, 0x80000000, v20
	v_lshl_add_u32 v32, v32, 23, v33
	v_or3_b32 v20, v20, v32, v36
	v_lshrrev_b32_e32 v36, 16, v20
.LBB918_55:                             ;   in Loop: Header=BB918_15 Depth=1
	s_or_b64 exec, exec, s[10:11]
.LBB918_56:                             ;   in Loop: Header=BB918_15 Depth=1
	s_or_b64 exec, exec, s[6:7]
.LBB918_57:                             ;   in Loop: Header=BB918_15 Depth=1
	s_or_b64 exec, exec, s[4:5]
	v_cmp_lt_u32_e32 vcc, s15, v18
	v_mov_b32_e32 v32, 0
	v_mov_b32_e32 v37, 0
	s_and_saveexec_b64 s[4:5], vcc
	s_cbranch_execz .LBB918_63
; %bb.58:                               ;   in Loop: Header=BB918_15 Depth=1
	v_lshrrev_b32_e32 v20, 24, v18
	v_cmp_ne_u32_e32 vcc, s13, v20
	v_mov_b32_e32 v37, 0xffff8000
	s_and_saveexec_b64 s[6:7], vcc
	s_cbranch_execz .LBB918_62
; %bb.59:                               ;   in Loop: Header=BB918_15 Depth=1
	v_bfe_u32 v18, v18, 24, 7
	v_cmp_ne_u32_e32 vcc, s14, v18
	v_mov_b32_e32 v37, 0x7f80
	s_and_saveexec_b64 s[10:11], vcc
	s_cbranch_execz .LBB918_61
; %bb.60:                               ;   in Loop: Header=BB918_15 Depth=1
	v_and_b32_e32 v37, 7, v20
	v_ffbh_u32_e32 v42, v37
	v_min_u32_e32 v44, 32, v42
	v_subrev_u32_e32 v42, 28, v44
	v_lshlrev_b64 v[42:43], v42, v[20:21]
	v_lshrrev_b32_e32 v40, 3, v18
	v_sub_u32_e32 v43, 29, v44
	v_and_b32_e32 v42, 7, v42
	v_cmp_gt_u32_e32 vcc, 8, v18
	v_cndmask_b32_e32 v18, v40, v43, vcc
	v_cndmask_b32_e32 v37, v37, v42, vcc
	v_lshlrev_b32_e32 v20, 24, v20
	v_lshlrev_b32_e32 v37, 20, v37
	v_and_b32_e32 v20, 0x80000000, v20
	v_lshl_add_u32 v18, v18, 23, v33
	v_or3_b32 v18, v20, v18, v37
	v_lshrrev_b32_e32 v37, 16, v18
.LBB918_61:                             ;   in Loop: Header=BB918_15 Depth=1
	s_or_b64 exec, exec, s[10:11]
.LBB918_62:                             ;   in Loop: Header=BB918_15 Depth=1
	s_or_b64 exec, exec, s[6:7]
.LBB918_63:                             ;   in Loop: Header=BB918_15 Depth=1
	s_or_b64 exec, exec, s[4:5]
	v_perm_b32 v43, v35, v23, s16
	v_perm_b32 v42, v21, v19, s16
	;; [unrolled: 1-line block ×4, first 2 shown]
	s_waitcnt vmcnt(1)
	v_cmp_ne_u16_sdwa s[6:7], v28, v31 src0_sel:BYTE_0 src1_sel:DWORD
	v_mfma_f32_16x16x16bf16_1k v[18:21], v[42:43], v[2:3], 0
	v_mfma_f32_16x16x16bf16_1k v[18:21], v[34:35], v[4:5], v[18:21]
	s_and_saveexec_b64 s[4:5], s[6:7]
	s_cbranch_execz .LBB918_69
; %bb.64:                               ;   in Loop: Header=BB918_15 Depth=1
	v_cmp_ne_u16_sdwa s[10:11], v28, s13 src0_sel:BYTE_0 src1_sel:DWORD
	v_mov_b32_e32 v32, 0xffff8000
	s_and_saveexec_b64 s[6:7], s[10:11]
	s_cbranch_execz .LBB918_68
; %bb.65:                               ;   in Loop: Header=BB918_15 Depth=1
	v_and_b32_e32 v23, 0x7f, v28
	v_cmp_ne_u32_e32 vcc, s14, v23
	v_mov_b32_e32 v32, 0x7f80
	s_and_saveexec_b64 s[10:11], vcc
	s_cbranch_execz .LBB918_67
; %bb.66:                               ;   in Loop: Header=BB918_15 Depth=1
	v_and_b32_e32 v30, 7, v28
	v_ffbh_u32_e32 v34, v30
	v_min_u32_e32 v36, 32, v34
	v_subrev_u32_e32 v34, 28, v36
	v_lshlrev_b64 v[34:35], v34, v[28:29]
	v_lshrrev_b32_e32 v32, 3, v23
	v_sub_u32_e32 v35, 29, v36
	v_and_b32_e32 v34, 7, v34
	v_cmp_gt_u32_e32 vcc, 8, v23
	v_cndmask_b32_e32 v23, v32, v35, vcc
	v_cndmask_b32_e32 v30, v30, v34, vcc
	v_lshlrev_b32_e32 v32, 24, v28
	v_lshlrev_b32_e32 v30, 20, v30
	v_and_b32_e32 v32, 0x80000000, v32
	v_lshl_add_u32 v23, v23, 23, v33
	v_or3_b32 v23, v32, v23, v30
	v_lshrrev_b32_e32 v32, 16, v23
.LBB918_67:                             ;   in Loop: Header=BB918_15 Depth=1
	s_or_b64 exec, exec, s[10:11]
.LBB918_68:                             ;   in Loop: Header=BB918_15 Depth=1
	s_or_b64 exec, exec, s[6:7]
.LBB918_69:                             ;   in Loop: Header=BB918_15 Depth=1
	s_or_b64 exec, exec, s[4:5]
	v_lshrrev_b16_e32 v30, 8, v28
	v_cmp_ne_u16_e32 vcc, 0, v30
	v_mov_b32_e32 v35, 0
	v_mov_b32_e32 v34, 0
	s_and_saveexec_b64 s[4:5], vcc
	s_cbranch_execz .LBB918_75
; %bb.70:                               ;   in Loop: Header=BB918_15 Depth=1
	v_cmp_ne_u16_e32 vcc, s13, v30
	v_mov_b32_e32 v34, 0xffff8000
	s_and_saveexec_b64 s[6:7], vcc
	s_cbranch_execz .LBB918_74
; %bb.71:                               ;   in Loop: Header=BB918_15 Depth=1
	v_and_b32_e32 v23, 0x7f, v30
	v_cmp_ne_u32_e32 vcc, s14, v23
	v_mov_b32_e32 v34, 0x7f80
	s_and_saveexec_b64 s[10:11], vcc
	s_cbranch_execz .LBB918_73
; %bb.72:                               ;   in Loop: Header=BB918_15 Depth=1
	v_and_b32_e32 v34, 7, v30
	v_ffbh_u32_e32 v36, v34
	v_min_u32_e32 v42, 32, v36
	v_subrev_u32_e32 v36, 28, v42
	v_lshlrev_b64 v[36:37], v36, v[30:31]
	v_lshrrev_b32_e32 v40, 3, v23
	v_sub_u32_e32 v30, 29, v42
	v_and_b32_e32 v36, 7, v36
	v_cmp_gt_u32_e32 vcc, 8, v23
	v_cndmask_b32_e32 v23, v40, v30, vcc
	v_cndmask_b32_e32 v30, v34, v36, vcc
	v_lshlrev_b32_e32 v34, 16, v28
	v_lshlrev_b32_e32 v30, 20, v30
	v_and_b32_e32 v34, 0x80000000, v34
	v_lshl_add_u32 v23, v23, 23, v33
	v_or3_b32 v23, v34, v23, v30
	v_lshrrev_b32_e32 v34, 16, v23
.LBB918_73:                             ;   in Loop: Header=BB918_15 Depth=1
	s_or_b64 exec, exec, s[10:11]
.LBB918_74:                             ;   in Loop: Header=BB918_15 Depth=1
	s_or_b64 exec, exec, s[6:7]
.LBB918_75:                             ;   in Loop: Header=BB918_15 Depth=1
	s_or_b64 exec, exec, s[4:5]
	v_lshrrev_b32_e32 v30, 16, v28
	v_cmp_ne_u16_sdwa s[6:7], v30, v31 src0_sel:BYTE_0 src1_sel:DWORD
	s_and_saveexec_b64 s[4:5], s[6:7]
	s_cbranch_execz .LBB918_81
; %bb.76:                               ;   in Loop: Header=BB918_15 Depth=1
	v_cmp_ne_u16_sdwa s[10:11], v30, s13 src0_sel:BYTE_0 src1_sel:DWORD
	v_mov_b32_e32 v35, 0xffff8000
	s_and_saveexec_b64 s[6:7], s[10:11]
	s_cbranch_execz .LBB918_80
; %bb.77:                               ;   in Loop: Header=BB918_15 Depth=1
	v_bfe_u32 v23, v28, 16, 7
	v_cmp_ne_u32_e32 vcc, s14, v23
	v_mov_b32_e32 v35, 0x7f80
	s_and_saveexec_b64 s[10:11], vcc
	s_cbranch_execz .LBB918_79
; %bb.78:                               ;   in Loop: Header=BB918_15 Depth=1
	v_and_b32_e32 v35, 7, v30
	v_ffbh_u32_e32 v36, v35
	v_min_u32_e32 v42, 32, v36
	v_subrev_u32_e32 v36, 28, v42
	v_lshlrev_b64 v[36:37], v36, v[30:31]
	v_lshrrev_b32_e32 v40, 3, v23
	v_sub_u32_e32 v37, 29, v42
	v_and_b32_e32 v36, 7, v36
	v_cmp_gt_u32_e32 vcc, 8, v23
	v_cndmask_b32_e32 v23, v40, v37, vcc
	v_cndmask_b32_e32 v35, v35, v36, vcc
	v_lshlrev_b32_e32 v30, 24, v30
	v_lshlrev_b32_e32 v35, 20, v35
	v_and_b32_e32 v30, 0x80000000, v30
	v_lshl_add_u32 v23, v23, 23, v33
	v_or3_b32 v23, v30, v23, v35
	v_lshrrev_b32_e32 v35, 16, v23
.LBB918_79:                             ;   in Loop: Header=BB918_15 Depth=1
	s_or_b64 exec, exec, s[10:11]
.LBB918_80:                             ;   in Loop: Header=BB918_15 Depth=1
	s_or_b64 exec, exec, s[6:7]
.LBB918_81:                             ;   in Loop: Header=BB918_15 Depth=1
	s_or_b64 exec, exec, s[4:5]
	v_cmp_lt_u32_e32 vcc, s15, v28
	v_mov_b32_e32 v36, 0
	v_mov_b32_e32 v37, 0
	s_and_saveexec_b64 s[4:5], vcc
	s_cbranch_execz .LBB918_87
; %bb.82:                               ;   in Loop: Header=BB918_15 Depth=1
	v_lshrrev_b32_e32 v30, 24, v28
	v_cmp_ne_u32_e32 vcc, s13, v30
	v_mov_b32_e32 v37, 0xffff8000
	s_and_saveexec_b64 s[6:7], vcc
	s_cbranch_execz .LBB918_86
; %bb.83:                               ;   in Loop: Header=BB918_15 Depth=1
	v_bfe_u32 v23, v28, 24, 7
	v_cmp_ne_u32_e32 vcc, s14, v23
	v_mov_b32_e32 v37, 0x7f80
	s_and_saveexec_b64 s[10:11], vcc
	s_cbranch_execz .LBB918_85
; %bb.84:                               ;   in Loop: Header=BB918_15 Depth=1
	v_and_b32_e32 v28, 7, v30
	v_ffbh_u32_e32 v40, v28
	v_min_u32_e32 v40, 32, v40
	v_subrev_u32_e32 v42, 28, v40
	v_lshlrev_b64 v[42:43], v42, v[30:31]
	v_lshrrev_b32_e32 v37, 3, v23
	v_sub_u32_e32 v40, 29, v40
	v_and_b32_e32 v42, 7, v42
	v_cmp_gt_u32_e32 vcc, 8, v23
	v_cndmask_b32_e32 v23, v37, v40, vcc
	v_cndmask_b32_e32 v28, v28, v42, vcc
	v_lshlrev_b32_e32 v30, 24, v30
	v_lshlrev_b32_e32 v28, 20, v28
	v_and_b32_e32 v30, 0x80000000, v30
	v_lshl_add_u32 v23, v23, 23, v33
	v_or3_b32 v23, v30, v23, v28
	v_lshrrev_b32_e32 v37, 16, v23
.LBB918_85:                             ;   in Loop: Header=BB918_15 Depth=1
	s_or_b64 exec, exec, s[10:11]
.LBB918_86:                             ;   in Loop: Header=BB918_15 Depth=1
	s_or_b64 exec, exec, s[6:7]
.LBB918_87:                             ;   in Loop: Header=BB918_15 Depth=1
	s_or_b64 exec, exec, s[4:5]
	s_waitcnt vmcnt(0)
	v_cmp_ne_u16_sdwa s[6:7], v26, v31 src0_sel:BYTE_0 src1_sel:DWORD
	s_and_saveexec_b64 s[4:5], s[6:7]
	s_cbranch_execz .LBB918_93
; %bb.88:                               ;   in Loop: Header=BB918_15 Depth=1
	v_cmp_ne_u16_sdwa s[10:11], v26, s13 src0_sel:BYTE_0 src1_sel:DWORD
	v_mov_b32_e32 v36, 0xffff8000
	s_and_saveexec_b64 s[6:7], s[10:11]
	s_cbranch_execz .LBB918_92
; %bb.89:                               ;   in Loop: Header=BB918_15 Depth=1
	v_and_b32_e32 v23, 0x7f, v26
	v_cmp_ne_u32_e32 vcc, s14, v23
	v_mov_b32_e32 v36, 0x7f80
	s_and_saveexec_b64 s[10:11], vcc
	s_cbranch_execz .LBB918_91
; %bb.90:                               ;   in Loop: Header=BB918_15 Depth=1
	v_and_b32_e32 v28, 7, v26
	v_ffbh_u32_e32 v36, v28
	v_min_u32_e32 v36, 32, v36
	v_subrev_u32_e32 v40, 28, v36
	v_lshlrev_b64 v[42:43], v40, v[26:27]
	v_lshrrev_b32_e32 v30, 3, v23
	v_sub_u32_e32 v36, 29, v36
	v_and_b32_e32 v40, 7, v42
	v_cmp_gt_u32_e32 vcc, 8, v23
	v_cndmask_b32_e32 v23, v30, v36, vcc
	v_cndmask_b32_e32 v28, v28, v40, vcc
	v_lshlrev_b32_e32 v30, 24, v26
	v_lshlrev_b32_e32 v28, 20, v28
	v_and_b32_e32 v30, 0x80000000, v30
	v_lshl_add_u32 v23, v23, 23, v33
	v_or3_b32 v23, v30, v23, v28
	v_lshrrev_b32_e32 v36, 16, v23
.LBB918_91:                             ;   in Loop: Header=BB918_15 Depth=1
	s_or_b64 exec, exec, s[10:11]
.LBB918_92:                             ;   in Loop: Header=BB918_15 Depth=1
	s_or_b64 exec, exec, s[6:7]
.LBB918_93:                             ;   in Loop: Header=BB918_15 Depth=1
	s_or_b64 exec, exec, s[4:5]
	v_lshrrev_b16_e32 v28, 8, v26
	v_cmp_ne_u16_e32 vcc, 0, v28
	v_mov_b32_e32 v42, 0
	v_mov_b32_e32 v40, 0
	s_and_saveexec_b64 s[4:5], vcc
	s_cbranch_execz .LBB918_99
; %bb.94:                               ;   in Loop: Header=BB918_15 Depth=1
	v_cmp_ne_u16_e32 vcc, s13, v28
	v_mov_b32_e32 v40, 0xffff8000
	s_and_saveexec_b64 s[6:7], vcc
	s_cbranch_execz .LBB918_98
; %bb.95:                               ;   in Loop: Header=BB918_15 Depth=1
	v_and_b32_e32 v23, 0x7f, v28
	v_cmp_ne_u32_e32 vcc, s14, v23
	v_mov_b32_e32 v40, 0x7f80
	s_and_saveexec_b64 s[10:11], vcc
	s_cbranch_execz .LBB918_97
; %bb.96:                               ;   in Loop: Header=BB918_15 Depth=1
	v_and_b32_e32 v30, 7, v28
	v_ffbh_u32_e32 v43, v30
	v_min_u32_e32 v43, 32, v43
	v_subrev_u32_e32 v44, 28, v43
	v_lshlrev_b64 v[44:45], v44, v[28:29]
	v_lshrrev_b32_e32 v40, 3, v23
	v_sub_u32_e32 v28, 29, v43
	v_and_b32_e32 v43, 7, v44
	v_cmp_gt_u32_e32 vcc, 8, v23
	v_cndmask_b32_e32 v23, v40, v28, vcc
	v_cndmask_b32_e32 v28, v30, v43, vcc
	v_lshlrev_b32_e32 v30, 16, v26
	v_lshlrev_b32_e32 v28, 20, v28
	v_and_b32_e32 v30, 0x80000000, v30
	v_lshl_add_u32 v23, v23, 23, v33
	v_or3_b32 v23, v30, v23, v28
	v_lshrrev_b32_e32 v40, 16, v23
.LBB918_97:                             ;   in Loop: Header=BB918_15 Depth=1
	s_or_b64 exec, exec, s[10:11]
.LBB918_98:                             ;   in Loop: Header=BB918_15 Depth=1
	s_or_b64 exec, exec, s[6:7]
.LBB918_99:                             ;   in Loop: Header=BB918_15 Depth=1
	s_or_b64 exec, exec, s[4:5]
	v_lshrrev_b32_e32 v28, 16, v26
	v_cmp_ne_u16_sdwa s[6:7], v28, v31 src0_sel:BYTE_0 src1_sel:DWORD
	s_and_saveexec_b64 s[4:5], s[6:7]
	s_cbranch_execz .LBB918_105
; %bb.100:                              ;   in Loop: Header=BB918_15 Depth=1
	v_cmp_ne_u16_sdwa s[10:11], v28, s13 src0_sel:BYTE_0 src1_sel:DWORD
	v_mov_b32_e32 v42, 0xffff8000
	s_and_saveexec_b64 s[6:7], s[10:11]
	s_cbranch_execz .LBB918_104
; %bb.101:                              ;   in Loop: Header=BB918_15 Depth=1
	v_bfe_u32 v23, v26, 16, 7
	v_cmp_ne_u32_e32 vcc, s14, v23
	v_mov_b32_e32 v42, 0x7f80
	s_and_saveexec_b64 s[10:11], vcc
	s_cbranch_execz .LBB918_103
; %bb.102:                              ;   in Loop: Header=BB918_15 Depth=1
	v_and_b32_e32 v30, 7, v28
	v_ffbh_u32_e32 v42, v30
	v_min_u32_e32 v45, 32, v42
	v_subrev_u32_e32 v42, 28, v45
	v_lshlrev_b64 v[42:43], v42, v[28:29]
	v_lshrrev_b32_e32 v44, 3, v23
	v_sub_u32_e32 v43, 29, v45
	v_and_b32_e32 v42, 7, v42
	v_cmp_gt_u32_e32 vcc, 8, v23
	v_cndmask_b32_e32 v23, v44, v43, vcc
	v_cndmask_b32_e32 v30, v30, v42, vcc
	v_lshlrev_b32_e32 v28, 24, v28
	v_lshlrev_b32_e32 v30, 20, v30
	v_and_b32_e32 v28, 0x80000000, v28
	v_lshl_add_u32 v23, v23, 23, v33
	v_or3_b32 v23, v28, v23, v30
	v_lshrrev_b32_e32 v42, 16, v23
.LBB918_103:                            ;   in Loop: Header=BB918_15 Depth=1
	s_or_b64 exec, exec, s[10:11]
.LBB918_104:                            ;   in Loop: Header=BB918_15 Depth=1
	s_or_b64 exec, exec, s[6:7]
.LBB918_105:                            ;   in Loop: Header=BB918_15 Depth=1
	s_or_b64 exec, exec, s[4:5]
	v_cmp_lt_u32_e32 vcc, s15, v26
	v_mov_b32_e32 v23, 0
	v_mov_b32_e32 v43, 0
	s_and_saveexec_b64 s[4:5], vcc
	s_cbranch_execz .LBB918_111
; %bb.106:                              ;   in Loop: Header=BB918_15 Depth=1
	v_lshrrev_b32_e32 v28, 24, v26
	v_cmp_ne_u32_e32 vcc, s13, v28
	v_mov_b32_e32 v43, 0xffff8000
	s_and_saveexec_b64 s[6:7], vcc
	s_cbranch_execz .LBB918_110
; %bb.107:                              ;   in Loop: Header=BB918_15 Depth=1
	v_bfe_u32 v26, v26, 24, 7
	v_cmp_ne_u32_e32 vcc, s14, v26
	v_mov_b32_e32 v43, 0x7f80
	s_and_saveexec_b64 s[10:11], vcc
	s_cbranch_execz .LBB918_109
; %bb.108:                              ;   in Loop: Header=BB918_15 Depth=1
	v_and_b32_e32 v30, 7, v28
	v_ffbh_u32_e32 v44, v30
	v_min_u32_e32 v46, 32, v44
	v_subrev_u32_e32 v44, 28, v46
	v_lshlrev_b64 v[44:45], v44, v[28:29]
	v_lshrrev_b32_e32 v43, 3, v26
	v_sub_u32_e32 v45, 29, v46
	v_and_b32_e32 v44, 7, v44
	v_cmp_gt_u32_e32 vcc, 8, v26
	v_cndmask_b32_e32 v26, v43, v45, vcc
	v_cndmask_b32_e32 v30, v30, v44, vcc
	v_lshlrev_b32_e32 v28, 24, v28
	v_lshlrev_b32_e32 v30, 20, v30
	v_and_b32_e32 v28, 0x80000000, v28
	v_lshl_add_u32 v26, v26, 23, v33
	v_or3_b32 v26, v28, v26, v30
	v_lshrrev_b32_e32 v43, 16, v26
.LBB918_109:                            ;   in Loop: Header=BB918_15 Depth=1
	s_or_b64 exec, exec, s[10:11]
.LBB918_110:                            ;   in Loop: Header=BB918_15 Depth=1
	s_or_b64 exec, exec, s[6:7]
.LBB918_111:                            ;   in Loop: Header=BB918_15 Depth=1
	s_or_b64 exec, exec, s[4:5]
	v_perm_b32 v34, v34, v32, s16
	buffer_load_dword v32, v27, s[0:3], 0 offen offset:16
	buffer_load_dword v30, v27, s[0:3], 0 offen offset:20
	;; [unrolled: 1-line block ×4, first 2 shown]
	v_perm_b32 v35, v37, v35, s16
	s_waitcnt vmcnt(3)
	v_cmp_ne_u16_sdwa s[6:7], v32, v31 src0_sel:BYTE_0 src1_sel:DWORD
	v_mfma_f32_16x16x16bf16_1k v[18:21], v[34:35], v[6:7], v[18:21]
	v_perm_b32 v35, v43, v42, s16
	v_perm_b32 v34, v40, v36, s16
	s_nop 1
	v_mfma_f32_16x16x16bf16_1k v[18:21], v[34:35], v[8:9], v[18:21]
	s_and_saveexec_b64 s[4:5], s[6:7]
	s_cbranch_execz .LBB918_117
; %bb.112:                              ;   in Loop: Header=BB918_15 Depth=1
	v_cmp_ne_u16_sdwa s[10:11], v32, s13 src0_sel:BYTE_0 src1_sel:DWORD
	v_mov_b32_e32 v23, 0xffff8000
	s_and_saveexec_b64 s[6:7], s[10:11]
	s_cbranch_execz .LBB918_116
; %bb.113:                              ;   in Loop: Header=BB918_15 Depth=1
	v_and_b32_e32 v34, 0x7f, v32
	v_cmp_ne_u32_e32 vcc, s14, v34
	v_mov_b32_e32 v23, 0x7f80
	s_and_saveexec_b64 s[10:11], vcc
	s_cbranch_execz .LBB918_115
; %bb.114:                              ;   in Loop: Header=BB918_15 Depth=1
	v_and_b32_e32 v23, 7, v32
	v_ffbh_u32_e32 v36, v23
	v_min_u32_e32 v40, 32, v36
	v_subrev_u32_e32 v36, 28, v40
	v_lshlrev_b64 v[36:37], v36, v[32:33]
	v_lshrrev_b32_e32 v35, 3, v34
	v_sub_u32_e32 v37, 29, v40
	v_and_b32_e32 v36, 7, v36
	v_cmp_gt_u32_e32 vcc, 8, v34
	v_cndmask_b32_e32 v34, v35, v37, vcc
	v_cndmask_b32_e32 v23, v23, v36, vcc
	v_lshlrev_b32_e32 v35, 24, v32
	v_lshlrev_b32_e32 v23, 20, v23
	v_and_b32_e32 v35, 0x80000000, v35
	v_lshl_add_u32 v34, v34, 23, v33
	v_or3_b32 v23, v35, v34, v23
	v_lshrrev_b32_e32 v23, 16, v23
.LBB918_115:                            ;   in Loop: Header=BB918_15 Depth=1
	s_or_b64 exec, exec, s[10:11]
.LBB918_116:                            ;   in Loop: Header=BB918_15 Depth=1
	s_or_b64 exec, exec, s[6:7]
.LBB918_117:                            ;   in Loop: Header=BB918_15 Depth=1
	s_or_b64 exec, exec, s[4:5]
	v_lshrrev_b16_e32 v34, 8, v32
	v_cmp_ne_u16_e32 vcc, 0, v34
	v_mov_b32_e32 v36, 0
	v_mov_b32_e32 v35, 0
	s_and_saveexec_b64 s[4:5], vcc
	s_cbranch_execz .LBB918_123
; %bb.118:                              ;   in Loop: Header=BB918_15 Depth=1
	v_cmp_ne_u16_e32 vcc, s13, v34
	v_mov_b32_e32 v35, 0xffff8000
	s_and_saveexec_b64 s[6:7], vcc
	s_cbranch_execz .LBB918_122
; %bb.119:                              ;   in Loop: Header=BB918_15 Depth=1
	v_and_b32_e32 v37, 0x7f, v34
	v_cmp_ne_u32_e32 vcc, s14, v37
	v_mov_b32_e32 v35, 0x7f80
	s_and_saveexec_b64 s[10:11], vcc
	s_cbranch_execz .LBB918_121
; %bb.120:                              ;   in Loop: Header=BB918_15 Depth=1
	v_and_b32_e32 v40, 7, v34
	v_ffbh_u32_e32 v35, v40
	v_min_u32_e32 v43, 32, v35
	v_subrev_u32_e32 v35, 28, v43
	v_lshlrev_b64 v[34:35], v35, v[34:35]
	v_lshrrev_b32_e32 v42, 3, v37
	v_sub_u32_e32 v35, 29, v43
	v_and_b32_e32 v34, 7, v34
	v_cmp_gt_u32_e32 vcc, 8, v37
	v_cndmask_b32_e32 v35, v42, v35, vcc
	v_cndmask_b32_e32 v34, v40, v34, vcc
	v_lshlrev_b32_e32 v37, 16, v32
	v_lshlrev_b32_e32 v34, 20, v34
	v_and_b32_e32 v37, 0x80000000, v37
	v_lshl_add_u32 v35, v35, 23, v33
	v_or3_b32 v34, v37, v35, v34
	v_lshrrev_b32_e32 v35, 16, v34
.LBB918_121:                            ;   in Loop: Header=BB918_15 Depth=1
	s_or_b64 exec, exec, s[10:11]
.LBB918_122:                            ;   in Loop: Header=BB918_15 Depth=1
	s_or_b64 exec, exec, s[6:7]
.LBB918_123:                            ;   in Loop: Header=BB918_15 Depth=1
	s_or_b64 exec, exec, s[4:5]
	v_lshrrev_b32_e32 v34, 16, v32
	v_cmp_ne_u16_sdwa s[6:7], v34, v31 src0_sel:BYTE_0 src1_sel:DWORD
	s_and_saveexec_b64 s[4:5], s[6:7]
	s_cbranch_execz .LBB918_129
; %bb.124:                              ;   in Loop: Header=BB918_15 Depth=1
	v_cmp_ne_u16_sdwa s[10:11], v34, s13 src0_sel:BYTE_0 src1_sel:DWORD
	v_mov_b32_e32 v36, 0xffff8000
	s_and_saveexec_b64 s[6:7], s[10:11]
	s_cbranch_execz .LBB918_128
; %bb.125:                              ;   in Loop: Header=BB918_15 Depth=1
	v_bfe_u32 v37, v32, 16, 7
	v_cmp_ne_u32_e32 vcc, s14, v37
	v_mov_b32_e32 v36, 0x7f80
	s_and_saveexec_b64 s[10:11], vcc
	s_cbranch_execz .LBB918_127
; %bb.126:                              ;   in Loop: Header=BB918_15 Depth=1
	v_and_b32_e32 v36, 7, v34
	v_ffbh_u32_e32 v42, v36
	v_min_u32_e32 v44, 32, v42
	v_subrev_u32_e32 v42, 28, v44
	v_lshlrev_b64 v[42:43], v42, v[34:35]
	v_lshrrev_b32_e32 v40, 3, v37
	v_sub_u32_e32 v43, 29, v44
	v_and_b32_e32 v42, 7, v42
	v_cmp_gt_u32_e32 vcc, 8, v37
	v_cndmask_b32_e32 v37, v40, v43, vcc
	v_cndmask_b32_e32 v36, v36, v42, vcc
	v_lshlrev_b32_e32 v34, 24, v34
	v_lshlrev_b32_e32 v36, 20, v36
	v_and_b32_e32 v34, 0x80000000, v34
	v_lshl_add_u32 v37, v37, 23, v33
	v_or3_b32 v34, v34, v37, v36
	v_lshrrev_b32_e32 v36, 16, v34
.LBB918_127:                            ;   in Loop: Header=BB918_15 Depth=1
	s_or_b64 exec, exec, s[10:11]
.LBB918_128:                            ;   in Loop: Header=BB918_15 Depth=1
	s_or_b64 exec, exec, s[6:7]
.LBB918_129:                            ;   in Loop: Header=BB918_15 Depth=1
	s_or_b64 exec, exec, s[4:5]
	v_cmp_lt_u32_e32 vcc, s15, v32
	v_mov_b32_e32 v37, 0
	v_mov_b32_e32 v40, 0
	s_and_saveexec_b64 s[4:5], vcc
	s_cbranch_execz .LBB918_135
; %bb.130:                              ;   in Loop: Header=BB918_15 Depth=1
	v_lshrrev_b32_e32 v34, 24, v32
	v_cmp_ne_u32_e32 vcc, s13, v34
	v_mov_b32_e32 v40, 0xffff8000
	s_and_saveexec_b64 s[6:7], vcc
	s_cbranch_execz .LBB918_134
; %bb.131:                              ;   in Loop: Header=BB918_15 Depth=1
	v_bfe_u32 v32, v32, 24, 7
	v_cmp_ne_u32_e32 vcc, s14, v32
	v_mov_b32_e32 v40, 0x7f80
	s_and_saveexec_b64 s[10:11], vcc
	s_cbranch_execz .LBB918_133
; %bb.132:                              ;   in Loop: Header=BB918_15 Depth=1
	v_and_b32_e32 v40, 7, v34
	v_ffbh_u32_e32 v42, v40
	v_min_u32_e32 v45, 32, v42
	v_subrev_u32_e32 v42, 28, v45
	v_lshlrev_b64 v[42:43], v42, v[34:35]
	v_lshrrev_b32_e32 v44, 3, v32
	v_sub_u32_e32 v43, 29, v45
	v_and_b32_e32 v42, 7, v42
	v_cmp_gt_u32_e32 vcc, 8, v32
	v_cndmask_b32_e32 v32, v44, v43, vcc
	v_cndmask_b32_e32 v40, v40, v42, vcc
	v_lshlrev_b32_e32 v34, 24, v34
	v_lshlrev_b32_e32 v40, 20, v40
	v_and_b32_e32 v34, 0x80000000, v34
	v_lshl_add_u32 v32, v32, 23, v33
	v_or3_b32 v32, v34, v32, v40
	v_lshrrev_b32_e32 v40, 16, v32
.LBB918_133:                            ;   in Loop: Header=BB918_15 Depth=1
	s_or_b64 exec, exec, s[10:11]
.LBB918_134:                            ;   in Loop: Header=BB918_15 Depth=1
	s_or_b64 exec, exec, s[6:7]
.LBB918_135:                            ;   in Loop: Header=BB918_15 Depth=1
	s_or_b64 exec, exec, s[4:5]
	s_waitcnt vmcnt(2)
	v_cmp_ne_u16_sdwa s[6:7], v30, v31 src0_sel:BYTE_0 src1_sel:DWORD
	s_and_saveexec_b64 s[4:5], s[6:7]
	s_cbranch_execz .LBB918_141
; %bb.136:                              ;   in Loop: Header=BB918_15 Depth=1
	v_cmp_ne_u16_sdwa s[10:11], v30, s13 src0_sel:BYTE_0 src1_sel:DWORD
	v_mov_b32_e32 v37, 0xffff8000
	s_and_saveexec_b64 s[6:7], s[10:11]
	s_cbranch_execz .LBB918_140
; %bb.137:                              ;   in Loop: Header=BB918_15 Depth=1
	v_and_b32_e32 v32, 0x7f, v30
	v_cmp_ne_u32_e32 vcc, s14, v32
	v_mov_b32_e32 v37, 0x7f80
	s_and_saveexec_b64 s[10:11], vcc
	s_cbranch_execz .LBB918_139
; %bb.138:                              ;   in Loop: Header=BB918_15 Depth=1
	v_and_b32_e32 v34, 7, v30
	v_ffbh_u32_e32 v42, v34
	v_min_u32_e32 v44, 32, v42
	v_subrev_u32_e32 v42, 28, v44
	v_lshlrev_b64 v[42:43], v42, v[30:31]
	v_lshrrev_b32_e32 v37, 3, v32
	v_sub_u32_e32 v43, 29, v44
	v_and_b32_e32 v42, 7, v42
	v_cmp_gt_u32_e32 vcc, 8, v32
	v_cndmask_b32_e32 v32, v37, v43, vcc
	v_cndmask_b32_e32 v34, v34, v42, vcc
	v_lshlrev_b32_e32 v37, 24, v30
	v_lshlrev_b32_e32 v34, 20, v34
	v_and_b32_e32 v37, 0x80000000, v37
	v_lshl_add_u32 v32, v32, 23, v33
	v_or3_b32 v32, v37, v32, v34
	v_lshrrev_b32_e32 v37, 16, v32
.LBB918_139:                            ;   in Loop: Header=BB918_15 Depth=1
	s_or_b64 exec, exec, s[10:11]
.LBB918_140:                            ;   in Loop: Header=BB918_15 Depth=1
	s_or_b64 exec, exec, s[6:7]
.LBB918_141:                            ;   in Loop: Header=BB918_15 Depth=1
	s_or_b64 exec, exec, s[4:5]
	v_lshrrev_b16_e32 v32, 8, v30
	v_cmp_ne_u16_e32 vcc, 0, v32
	v_mov_b32_e32 v43, 0
	v_mov_b32_e32 v42, 0
	s_and_saveexec_b64 s[4:5], vcc
	s_cbranch_execz .LBB918_147
; %bb.142:                              ;   in Loop: Header=BB918_15 Depth=1
	v_cmp_ne_u16_e32 vcc, s13, v32
	v_mov_b32_e32 v42, 0xffff8000
	s_and_saveexec_b64 s[6:7], vcc
	s_cbranch_execz .LBB918_146
; %bb.143:                              ;   in Loop: Header=BB918_15 Depth=1
	v_and_b32_e32 v34, 0x7f, v32
	v_cmp_ne_u32_e32 vcc, s14, v34
	v_mov_b32_e32 v42, 0x7f80
	s_and_saveexec_b64 s[10:11], vcc
	s_cbranch_execz .LBB918_145
; %bb.144:                              ;   in Loop: Header=BB918_15 Depth=1
	v_and_b32_e32 v42, 7, v32
	v_ffbh_u32_e32 v44, v42
	v_min_u32_e32 v47, 32, v44
	v_subrev_u32_e32 v44, 28, v47
	v_lshlrev_b64 v[44:45], v44, v[32:33]
	v_lshrrev_b32_e32 v46, 3, v34
	v_sub_u32_e32 v32, 29, v47
	v_and_b32_e32 v44, 7, v44
	v_cmp_gt_u32_e32 vcc, 8, v34
	v_cndmask_b32_e32 v32, v46, v32, vcc
	v_cndmask_b32_e32 v34, v42, v44, vcc
	v_lshlrev_b32_e32 v42, 16, v30
	v_lshlrev_b32_e32 v34, 20, v34
	v_and_b32_e32 v42, 0x80000000, v42
	v_lshl_add_u32 v32, v32, 23, v33
	v_or3_b32 v32, v42, v32, v34
	v_lshrrev_b32_e32 v42, 16, v32
.LBB918_145:                            ;   in Loop: Header=BB918_15 Depth=1
	s_or_b64 exec, exec, s[10:11]
.LBB918_146:                            ;   in Loop: Header=BB918_15 Depth=1
	s_or_b64 exec, exec, s[6:7]
.LBB918_147:                            ;   in Loop: Header=BB918_15 Depth=1
	s_or_b64 exec, exec, s[4:5]
	v_lshrrev_b32_e32 v32, 16, v30
	v_cmp_ne_u16_sdwa s[6:7], v32, v31 src0_sel:BYTE_0 src1_sel:DWORD
	s_and_saveexec_b64 s[4:5], s[6:7]
	s_cbranch_execz .LBB918_153
; %bb.148:                              ;   in Loop: Header=BB918_15 Depth=1
	v_cmp_ne_u16_sdwa s[10:11], v32, s13 src0_sel:BYTE_0 src1_sel:DWORD
	v_mov_b32_e32 v43, 0xffff8000
	s_and_saveexec_b64 s[6:7], s[10:11]
	s_cbranch_execz .LBB918_152
; %bb.149:                              ;   in Loop: Header=BB918_15 Depth=1
	v_bfe_u32 v34, v30, 16, 7
	v_cmp_ne_u32_e32 vcc, s14, v34
	v_mov_b32_e32 v43, 0x7f80
	s_and_saveexec_b64 s[10:11], vcc
	s_cbranch_execz .LBB918_151
; %bb.150:                              ;   in Loop: Header=BB918_15 Depth=1
	v_and_b32_e32 v43, 7, v32
	v_ffbh_u32_e32 v44, v43
	v_min_u32_e32 v47, 32, v44
	v_subrev_u32_e32 v44, 28, v47
	v_lshlrev_b64 v[44:45], v44, v[32:33]
	v_lshrrev_b32_e32 v46, 3, v34
	v_sub_u32_e32 v45, 29, v47
	v_and_b32_e32 v44, 7, v44
	v_cmp_gt_u32_e32 vcc, 8, v34
	v_cndmask_b32_e32 v34, v46, v45, vcc
	v_cndmask_b32_e32 v43, v43, v44, vcc
	v_lshlrev_b32_e32 v32, 24, v32
	v_lshlrev_b32_e32 v43, 20, v43
	v_and_b32_e32 v32, 0x80000000, v32
	v_lshl_add_u32 v34, v34, 23, v33
	v_or3_b32 v32, v32, v34, v43
	v_lshrrev_b32_e32 v43, 16, v32
.LBB918_151:                            ;   in Loop: Header=BB918_15 Depth=1
	s_or_b64 exec, exec, s[10:11]
.LBB918_152:                            ;   in Loop: Header=BB918_15 Depth=1
	s_or_b64 exec, exec, s[6:7]
.LBB918_153:                            ;   in Loop: Header=BB918_15 Depth=1
	s_or_b64 exec, exec, s[4:5]
	v_cmp_lt_u32_e32 vcc, s15, v30
	v_mov_b32_e32 v34, 0
	v_mov_b32_e32 v44, 0
	s_and_saveexec_b64 s[4:5], vcc
	s_cbranch_execz .LBB918_159
; %bb.154:                              ;   in Loop: Header=BB918_15 Depth=1
	v_lshrrev_b32_e32 v32, 24, v30
	v_cmp_ne_u32_e32 vcc, s13, v32
	v_mov_b32_e32 v44, 0xffff8000
	s_and_saveexec_b64 s[6:7], vcc
	s_cbranch_execz .LBB918_158
; %bb.155:                              ;   in Loop: Header=BB918_15 Depth=1
	v_bfe_u32 v30, v30, 24, 7
	v_cmp_ne_u32_e32 vcc, s14, v30
	v_mov_b32_e32 v44, 0x7f80
	s_and_saveexec_b64 s[10:11], vcc
	s_cbranch_execz .LBB918_157
; %bb.156:                              ;   in Loop: Header=BB918_15 Depth=1
	v_and_b32_e32 v46, 7, v32
	v_ffbh_u32_e32 v44, v46
	v_min_u32_e32 v48, 32, v44
	v_subrev_u32_e32 v44, 28, v48
	v_lshlrev_b64 v[44:45], v44, v[32:33]
	v_lshrrev_b32_e32 v47, 3, v30
	v_sub_u32_e32 v45, 29, v48
	v_and_b32_e32 v44, 7, v44
	v_cmp_gt_u32_e32 vcc, 8, v30
	v_cndmask_b32_e32 v30, v47, v45, vcc
	v_cndmask_b32_e32 v44, v46, v44, vcc
	v_lshlrev_b32_e32 v32, 24, v32
	v_lshlrev_b32_e32 v44, 20, v44
	v_and_b32_e32 v32, 0x80000000, v32
	v_lshl_add_u32 v30, v30, 23, v33
	v_or3_b32 v30, v32, v30, v44
	v_lshrrev_b32_e32 v44, 16, v30
.LBB918_157:                            ;   in Loop: Header=BB918_15 Depth=1
	s_or_b64 exec, exec, s[10:11]
.LBB918_158:                            ;   in Loop: Header=BB918_15 Depth=1
	s_or_b64 exec, exec, s[6:7]
.LBB918_159:                            ;   in Loop: Header=BB918_15 Depth=1
	s_or_b64 exec, exec, s[4:5]
	v_perm_b32 v47, v40, v36, s16
	v_perm_b32 v46, v35, v23, s16
	;; [unrolled: 1-line block ×4, first 2 shown]
	s_waitcnt vmcnt(1)
	v_cmp_ne_u16_sdwa s[6:7], v28, v31 src0_sel:BYTE_0 src1_sel:DWORD
	v_mfma_f32_16x16x16bf16_1k v[18:21], v[46:47], v[10:11], v[18:21]
	v_mfma_f32_16x16x16bf16_1k v[18:21], v[42:43], v[12:13], v[18:21]
	s_and_saveexec_b64 s[4:5], s[6:7]
	s_cbranch_execz .LBB918_165
; %bb.160:                              ;   in Loop: Header=BB918_15 Depth=1
	v_cmp_ne_u16_sdwa s[10:11], v28, s13 src0_sel:BYTE_0 src1_sel:DWORD
	v_mov_b32_e32 v34, 0xffff8000
	s_and_saveexec_b64 s[6:7], s[10:11]
	s_cbranch_execz .LBB918_164
; %bb.161:                              ;   in Loop: Header=BB918_15 Depth=1
	v_and_b32_e32 v23, 0x7f, v28
	v_cmp_ne_u32_e32 vcc, s14, v23
	v_mov_b32_e32 v34, 0x7f80
	s_and_saveexec_b64 s[10:11], vcc
	s_cbranch_execz .LBB918_163
; %bb.162:                              ;   in Loop: Header=BB918_15 Depth=1
	v_and_b32_e32 v30, 7, v28
	v_ffbh_u32_e32 v34, v30
	v_min_u32_e32 v36, 32, v34
	v_subrev_u32_e32 v34, 28, v36
	v_lshlrev_b64 v[34:35], v34, v[28:29]
	v_lshrrev_b32_e32 v32, 3, v23
	v_sub_u32_e32 v35, 29, v36
	v_and_b32_e32 v34, 7, v34
	v_cmp_gt_u32_e32 vcc, 8, v23
	v_cndmask_b32_e32 v23, v32, v35, vcc
	v_cndmask_b32_e32 v30, v30, v34, vcc
	v_lshlrev_b32_e32 v32, 24, v28
	v_lshlrev_b32_e32 v30, 20, v30
	v_and_b32_e32 v32, 0x80000000, v32
	v_lshl_add_u32 v23, v23, 23, v33
	v_or3_b32 v23, v32, v23, v30
	v_lshrrev_b32_e32 v34, 16, v23
.LBB918_163:                            ;   in Loop: Header=BB918_15 Depth=1
	s_or_b64 exec, exec, s[10:11]
.LBB918_164:                            ;   in Loop: Header=BB918_15 Depth=1
	s_or_b64 exec, exec, s[6:7]
.LBB918_165:                            ;   in Loop: Header=BB918_15 Depth=1
	s_or_b64 exec, exec, s[4:5]
	v_lshrrev_b16_e32 v30, 8, v28
	v_cmp_ne_u16_e32 vcc, 0, v30
	v_mov_b32_e32 v32, 0
	v_mov_b32_e32 v23, 0
	s_and_saveexec_b64 s[4:5], vcc
	s_cbranch_execz .LBB918_171
; %bb.166:                              ;   in Loop: Header=BB918_15 Depth=1
	v_cmp_ne_u16_e32 vcc, s13, v30
	v_mov_b32_e32 v23, 0xffff8000
	s_and_saveexec_b64 s[6:7], vcc
	s_cbranch_execz .LBB918_170
; %bb.167:                              ;   in Loop: Header=BB918_15 Depth=1
	v_and_b32_e32 v35, 0x7f, v30
	v_cmp_ne_u32_e32 vcc, s14, v35
	v_mov_b32_e32 v23, 0x7f80
	s_and_saveexec_b64 s[10:11], vcc
	s_cbranch_execz .LBB918_169
; %bb.168:                              ;   in Loop: Header=BB918_15 Depth=1
	v_and_b32_e32 v23, 7, v30
	v_ffbh_u32_e32 v36, v23
	v_min_u32_e32 v42, 32, v36
	v_subrev_u32_e32 v36, 28, v42
	v_lshlrev_b64 v[36:37], v36, v[30:31]
	v_lshrrev_b32_e32 v40, 3, v35
	v_sub_u32_e32 v30, 29, v42
	v_and_b32_e32 v36, 7, v36
	v_cmp_gt_u32_e32 vcc, 8, v35
	v_cndmask_b32_e32 v30, v40, v30, vcc
	v_cndmask_b32_e32 v23, v23, v36, vcc
	v_lshlrev_b32_e32 v35, 16, v28
	v_lshlrev_b32_e32 v23, 20, v23
	v_and_b32_e32 v35, 0x80000000, v35
	v_lshl_add_u32 v30, v30, 23, v33
	v_or3_b32 v23, v35, v30, v23
	v_lshrrev_b32_e32 v23, 16, v23
.LBB918_169:                            ;   in Loop: Header=BB918_15 Depth=1
	s_or_b64 exec, exec, s[10:11]
.LBB918_170:                            ;   in Loop: Header=BB918_15 Depth=1
	s_or_b64 exec, exec, s[6:7]
.LBB918_171:                            ;   in Loop: Header=BB918_15 Depth=1
	s_or_b64 exec, exec, s[4:5]
	v_lshrrev_b32_e32 v30, 16, v28
	v_cmp_ne_u16_sdwa s[6:7], v30, v31 src0_sel:BYTE_0 src1_sel:DWORD
	s_and_saveexec_b64 s[4:5], s[6:7]
	s_cbranch_execz .LBB918_177
; %bb.172:                              ;   in Loop: Header=BB918_15 Depth=1
	v_cmp_ne_u16_sdwa s[10:11], v30, s13 src0_sel:BYTE_0 src1_sel:DWORD
	v_mov_b32_e32 v32, 0xffff8000
	s_and_saveexec_b64 s[6:7], s[10:11]
	s_cbranch_execz .LBB918_176
; %bb.173:                              ;   in Loop: Header=BB918_15 Depth=1
	v_bfe_u32 v35, v28, 16, 7
	v_cmp_ne_u32_e32 vcc, s14, v35
	v_mov_b32_e32 v32, 0x7f80
	s_and_saveexec_b64 s[10:11], vcc
	s_cbranch_execz .LBB918_175
; %bb.174:                              ;   in Loop: Header=BB918_15 Depth=1
	v_and_b32_e32 v32, 7, v30
	v_ffbh_u32_e32 v36, v32
	v_min_u32_e32 v42, 32, v36
	v_subrev_u32_e32 v36, 28, v42
	v_lshlrev_b64 v[36:37], v36, v[30:31]
	v_lshrrev_b32_e32 v40, 3, v35
	v_sub_u32_e32 v37, 29, v42
	v_and_b32_e32 v36, 7, v36
	v_cmp_gt_u32_e32 vcc, 8, v35
	v_cndmask_b32_e32 v35, v40, v37, vcc
	v_cndmask_b32_e32 v32, v32, v36, vcc
	v_lshlrev_b32_e32 v30, 24, v30
	v_lshlrev_b32_e32 v32, 20, v32
	v_and_b32_e32 v30, 0x80000000, v30
	v_lshl_add_u32 v35, v35, 23, v33
	v_or3_b32 v30, v30, v35, v32
	v_lshrrev_b32_e32 v32, 16, v30
.LBB918_175:                            ;   in Loop: Header=BB918_15 Depth=1
	s_or_b64 exec, exec, s[10:11]
.LBB918_176:                            ;   in Loop: Header=BB918_15 Depth=1
	s_or_b64 exec, exec, s[6:7]
.LBB918_177:                            ;   in Loop: Header=BB918_15 Depth=1
	s_or_b64 exec, exec, s[4:5]
	v_cmp_lt_u32_e32 vcc, s15, v28
	v_mov_b32_e32 v35, 0
	v_mov_b32_e32 v36, 0
	s_and_saveexec_b64 s[4:5], vcc
	s_cbranch_execz .LBB918_183
; %bb.178:                              ;   in Loop: Header=BB918_15 Depth=1
	v_lshrrev_b32_e32 v30, 24, v28
	v_cmp_ne_u32_e32 vcc, s13, v30
	v_mov_b32_e32 v36, 0xffff8000
	s_and_saveexec_b64 s[6:7], vcc
	s_cbranch_execz .LBB918_182
; %bb.179:                              ;   in Loop: Header=BB918_15 Depth=1
	v_bfe_u32 v28, v28, 24, 7
	v_cmp_ne_u32_e32 vcc, s14, v28
	v_mov_b32_e32 v36, 0x7f80
	s_and_saveexec_b64 s[10:11], vcc
	s_cbranch_execz .LBB918_181
; %bb.180:                              ;   in Loop: Header=BB918_15 Depth=1
	v_and_b32_e32 v40, 7, v30
	v_ffbh_u32_e32 v36, v40
	v_min_u32_e32 v43, 32, v36
	v_subrev_u32_e32 v36, 28, v43
	v_lshlrev_b64 v[36:37], v36, v[30:31]
	v_lshrrev_b32_e32 v42, 3, v28
	v_sub_u32_e32 v37, 29, v43
	v_and_b32_e32 v36, 7, v36
	v_cmp_gt_u32_e32 vcc, 8, v28
	v_cndmask_b32_e32 v28, v42, v37, vcc
	v_cndmask_b32_e32 v36, v40, v36, vcc
	v_lshlrev_b32_e32 v30, 24, v30
	v_lshlrev_b32_e32 v36, 20, v36
	v_and_b32_e32 v30, 0x80000000, v30
	v_lshl_add_u32 v28, v28, 23, v33
	v_or3_b32 v28, v30, v28, v36
	v_lshrrev_b32_e32 v36, 16, v28
.LBB918_181:                            ;   in Loop: Header=BB918_15 Depth=1
	s_or_b64 exec, exec, s[10:11]
.LBB918_182:                            ;   in Loop: Header=BB918_15 Depth=1
	s_or_b64 exec, exec, s[6:7]
.LBB918_183:                            ;   in Loop: Header=BB918_15 Depth=1
	s_or_b64 exec, exec, s[4:5]
	s_waitcnt vmcnt(0)
	v_cmp_ne_u16_sdwa s[6:7], v26, v31 src0_sel:BYTE_0 src1_sel:DWORD
	s_and_saveexec_b64 s[4:5], s[6:7]
	s_cbranch_execz .LBB918_189
; %bb.184:                              ;   in Loop: Header=BB918_15 Depth=1
	v_cmp_ne_u16_sdwa s[10:11], v26, s13 src0_sel:BYTE_0 src1_sel:DWORD
	v_mov_b32_e32 v35, 0xffff8000
	s_and_saveexec_b64 s[6:7], s[10:11]
	s_cbranch_execz .LBB918_188
; %bb.185:                              ;   in Loop: Header=BB918_15 Depth=1
	v_and_b32_e32 v28, 0x7f, v26
	v_cmp_ne_u32_e32 vcc, s14, v28
	v_mov_b32_e32 v35, 0x7f80
	s_and_saveexec_b64 s[10:11], vcc
	s_cbranch_execz .LBB918_187
; %bb.186:                              ;   in Loop: Header=BB918_15 Depth=1
	v_and_b32_e32 v30, 7, v26
	v_ffbh_u32_e32 v37, v30
	v_min_u32_e32 v37, 32, v37
	v_subrev_u32_e32 v40, 28, v37
	v_lshlrev_b64 v[42:43], v40, v[26:27]
	v_lshrrev_b32_e32 v35, 3, v28
	v_sub_u32_e32 v37, 29, v37
	v_and_b32_e32 v40, 7, v42
	v_cmp_gt_u32_e32 vcc, 8, v28
	v_cndmask_b32_e32 v28, v35, v37, vcc
	v_cndmask_b32_e32 v30, v30, v40, vcc
	v_lshlrev_b32_e32 v35, 24, v26
	v_lshlrev_b32_e32 v30, 20, v30
	v_and_b32_e32 v35, 0x80000000, v35
	v_lshl_add_u32 v28, v28, 23, v33
	v_or3_b32 v28, v35, v28, v30
	v_lshrrev_b32_e32 v35, 16, v28
.LBB918_187:                            ;   in Loop: Header=BB918_15 Depth=1
	s_or_b64 exec, exec, s[10:11]
.LBB918_188:                            ;   in Loop: Header=BB918_15 Depth=1
	s_or_b64 exec, exec, s[6:7]
.LBB918_189:                            ;   in Loop: Header=BB918_15 Depth=1
	s_or_b64 exec, exec, s[4:5]
	v_lshrrev_b16_e32 v28, 8, v26
	v_cmp_ne_u16_e32 vcc, 0, v28
	v_mov_b32_e32 v37, 0
	v_mov_b32_e32 v30, 0
	s_and_saveexec_b64 s[4:5], vcc
	s_cbranch_execz .LBB918_195
; %bb.190:                              ;   in Loop: Header=BB918_15 Depth=1
	v_cmp_ne_u16_e32 vcc, s13, v28
	v_mov_b32_e32 v30, 0xffff8000
	s_and_saveexec_b64 s[6:7], vcc
	s_cbranch_execz .LBB918_194
; %bb.191:                              ;   in Loop: Header=BB918_15 Depth=1
	v_and_b32_e32 v40, 0x7f, v28
	v_cmp_ne_u32_e32 vcc, s14, v40
	v_mov_b32_e32 v30, 0x7f80
	s_and_saveexec_b64 s[10:11], vcc
	s_cbranch_execz .LBB918_193
; %bb.192:                              ;   in Loop: Header=BB918_15 Depth=1
	v_and_b32_e32 v30, 7, v28
	v_ffbh_u32_e32 v42, v30
	v_min_u32_e32 v45, 32, v42
	v_subrev_u32_e32 v42, 28, v45
	v_lshlrev_b64 v[42:43], v42, v[28:29]
	v_lshrrev_b32_e32 v44, 3, v40
	v_sub_u32_e32 v28, 29, v45
	v_and_b32_e32 v42, 7, v42
	v_cmp_gt_u32_e32 vcc, 8, v40
	v_cndmask_b32_e32 v28, v44, v28, vcc
	v_cndmask_b32_e32 v30, v30, v42, vcc
	v_lshlrev_b32_e32 v40, 16, v26
	v_lshlrev_b32_e32 v30, 20, v30
	v_and_b32_e32 v40, 0x80000000, v40
	v_lshl_add_u32 v28, v28, 23, v33
	v_or3_b32 v28, v40, v28, v30
	v_lshrrev_b32_e32 v30, 16, v28
.LBB918_193:                            ;   in Loop: Header=BB918_15 Depth=1
	s_or_b64 exec, exec, s[10:11]
.LBB918_194:                            ;   in Loop: Header=BB918_15 Depth=1
	s_or_b64 exec, exec, s[6:7]
.LBB918_195:                            ;   in Loop: Header=BB918_15 Depth=1
	s_or_b64 exec, exec, s[4:5]
	v_lshrrev_b32_e32 v28, 16, v26
	v_cmp_ne_u16_sdwa s[6:7], v28, v31 src0_sel:BYTE_0 src1_sel:DWORD
	s_and_saveexec_b64 s[4:5], s[6:7]
	s_cbranch_execz .LBB918_201
; %bb.196:                              ;   in Loop: Header=BB918_15 Depth=1
	v_cmp_ne_u16_sdwa s[10:11], v28, s13 src0_sel:BYTE_0 src1_sel:DWORD
	v_mov_b32_e32 v37, 0xffff8000
	s_and_saveexec_b64 s[6:7], s[10:11]
	s_cbranch_execz .LBB918_200
; %bb.197:                              ;   in Loop: Header=BB918_15 Depth=1
	v_bfe_u32 v40, v26, 16, 7
	v_cmp_ne_u32_e32 vcc, s14, v40
	v_mov_b32_e32 v37, 0x7f80
	s_and_saveexec_b64 s[10:11], vcc
	s_cbranch_execz .LBB918_199
; %bb.198:                              ;   in Loop: Header=BB918_15 Depth=1
	v_and_b32_e32 v37, 7, v28
	v_ffbh_u32_e32 v42, v37
	v_min_u32_e32 v45, 32, v42
	v_subrev_u32_e32 v42, 28, v45
	v_lshlrev_b64 v[42:43], v42, v[28:29]
	v_lshrrev_b32_e32 v44, 3, v40
	v_sub_u32_e32 v43, 29, v45
	v_and_b32_e32 v42, 7, v42
	v_cmp_gt_u32_e32 vcc, 8, v40
	v_cndmask_b32_e32 v40, v44, v43, vcc
	v_cndmask_b32_e32 v37, v37, v42, vcc
	v_lshlrev_b32_e32 v28, 24, v28
	v_lshlrev_b32_e32 v37, 20, v37
	v_and_b32_e32 v28, 0x80000000, v28
	v_lshl_add_u32 v40, v40, 23, v33
	v_or3_b32 v28, v28, v40, v37
	v_lshrrev_b32_e32 v37, 16, v28
.LBB918_199:                            ;   in Loop: Header=BB918_15 Depth=1
	s_or_b64 exec, exec, s[10:11]
.LBB918_200:                            ;   in Loop: Header=BB918_15 Depth=1
	s_or_b64 exec, exec, s[6:7]
.LBB918_201:                            ;   in Loop: Header=BB918_15 Depth=1
	s_or_b64 exec, exec, s[4:5]
	v_cmp_lt_u32_e32 vcc, s15, v26
	v_mov_b32_e32 v40, 0
	s_and_saveexec_b64 s[4:5], vcc
	s_cbranch_execz .LBB918_14
; %bb.202:                              ;   in Loop: Header=BB918_15 Depth=1
	v_lshrrev_b32_e32 v28, 24, v26
	v_cmp_ne_u32_e32 vcc, s13, v28
	v_mov_b32_e32 v40, 0xffff8000
	s_and_saveexec_b64 s[6:7], vcc
	s_cbranch_execz .LBB918_13
; %bb.203:                              ;   in Loop: Header=BB918_15 Depth=1
	v_bfe_u32 v26, v26, 24, 7
	v_cmp_ne_u32_e32 vcc, s14, v26
	v_mov_b32_e32 v40, 0x7f80
	s_and_saveexec_b64 s[10:11], vcc
	s_cbranch_execz .LBB918_12
; %bb.204:                              ;   in Loop: Header=BB918_15 Depth=1
	v_and_b32_e32 v40, 7, v28
	v_ffbh_u32_e32 v42, v40
	v_min_u32_e32 v45, 32, v42
	v_subrev_u32_e32 v42, 28, v45
	v_lshlrev_b64 v[42:43], v42, v[28:29]
	v_lshrrev_b32_e32 v44, 3, v26
	v_sub_u32_e32 v43, 29, v45
	v_and_b32_e32 v42, 7, v42
	v_cmp_gt_u32_e32 vcc, 8, v26
	v_cndmask_b32_e32 v26, v44, v43, vcc
	v_cndmask_b32_e32 v40, v40, v42, vcc
	v_lshlrev_b32_e32 v28, 24, v28
	v_lshlrev_b32_e32 v40, 20, v40
	v_and_b32_e32 v28, 0x80000000, v28
	v_lshl_add_u32 v26, v26, 23, v33
	v_or3_b32 v26, v28, v26, v40
	v_lshrrev_b32_e32 v40, 16, v26
	s_branch .LBB918_12
.LBB918_205:
	buffer_load_dword v13, off, s[0:3], 0 offset:256
	buffer_load_dword v14, off, s[0:3], 0 offset:260
	;; [unrolled: 1-line block ×16, first 2 shown]
	v_and_b32_e32 v12, 0xc0, v0
	v_add_u32_e32 v12, s20, v12
	v_lshl_or_b32 v12, v1, 2, v12
	v_or_b32_e32 v23, 1, v12
	v_mov_b32_e32 v19, 0xff7fffff
	v_or_b32_e32 v24, 2, v12
	v_or_b32_e32 v25, 3, v12
	v_cmp_gt_i32_e64 s[26:27], s33, v12
	v_cmp_gt_i32_e64 s[28:29], s33, v23
	s_mov_b32 s52, 0xff7fffff
	v_or_b32_e32 v26, 16, v12
	v_or_b32_e32 v27, 17, v12
	;; [unrolled: 1-line block ×12, first 2 shown]
	v_cmp_gt_i32_e64 s[30:31], s33, v24
	v_cmp_gt_i32_e64 s[34:35], s33, v25
	v_mbcnt_lo_u32_b32 v20, -1, 0
	v_cmp_gt_i32_e64 s[36:37], s33, v26
	v_cmp_gt_i32_e64 s[38:39], s33, v27
	v_mbcnt_hi_u32_b32 v20, -1, v20
	v_cmp_gt_i32_e64 s[20:21], s33, v28
	v_cmp_gt_i32_e64 s[22:23], s33, v29
	v_and_b32_e32 v21, 64, v20
	v_cmp_gt_i32_e64 s[16:17], s33, v30
	v_cmp_gt_i32_e64 s[18:19], s33, v31
	v_xor_b32_e32 v22, 32, v20
	v_add_u32_e32 v21, 64, v21
	v_cmp_gt_i32_e64 s[12:13], s33, v32
	v_cmp_gt_i32_e64 s[14:15], s33, v33
	v_cmp_lt_i32_e32 vcc, v22, v21
	v_cmp_gt_i32_e64 s[6:7], s33, v34
	v_cmp_gt_i32_e64 s[10:11], s33, v35
	v_cndmask_b32_e32 v22, v20, v22, vcc
	v_cmp_gt_i32_e32 vcc, s33, v36
	v_cmp_gt_i32_e64 s[4:5], s33, v37
	v_lshlrev_b32_e32 v22, 2, v22
	s_waitcnt vmcnt(15)
	v_cndmask_b32_e64 v12, v19, v13, s[26:27]
	s_waitcnt vmcnt(14)
	v_cndmask_b32_e64 v23, v19, v14, s[28:29]
	s_waitcnt vmcnt(13)
	v_cndmask_b32_e64 v24, v19, v15, s[30:31]
	s_waitcnt vmcnt(12)
	v_cndmask_b32_e64 v25, v19, v16, s[34:35]
	v_max3_f32 v12, v12, s52, v23
	s_waitcnt vmcnt(11)
	v_cndmask_b32_e64 v26, v19, v17, s[36:37]
	s_waitcnt vmcnt(10)
	v_cndmask_b32_e64 v27, v19, v18, s[38:39]
	v_max3_f32 v12, v12, v24, v25
	s_waitcnt vmcnt(9)
	v_cndmask_b32_e64 v28, v19, v11, s[20:21]
	s_waitcnt vmcnt(8)
	v_cndmask_b32_e64 v29, v19, v10, s[22:23]
	;; [unrolled: 5-line block ×5, first 2 shown]
	v_max3_f32 v12, v12, v32, v33
	s_waitcnt vmcnt(1)
	v_cndmask_b32_e32 v36, v19, v3, vcc
	s_waitcnt vmcnt(0)
	v_cndmask_b32_e64 v19, v19, v2, s[4:5]
	v_max3_f32 v12, v12, v34, v35
	v_max3_f32 v12, v12, v36, v19
	ds_bpermute_b32 v19, v22, v12
	v_xor_b32_e32 v23, 16, v20
	v_cmp_lt_i32_e64 s[40:41], v23, v21
	v_cndmask_b32_e64 v20, v20, v23, s[40:41]
	v_lshlrev_b32_e32 v20, 2, v20
	s_waitcnt lgkmcnt(0)
	v_max_f32_e32 v19, v19, v19
	v_max_f32_e32 v12, v12, v19
	ds_bpermute_b32 v19, v20, v12
	s_waitcnt lgkmcnt(0)
	v_max_f32_e32 v19, v19, v19
	v_max_f32_e32 v12, v12, v19
	v_sub_f32_e32 v13, v13, v12
	v_sub_f32_e32 v14, v14, v12
	;; [unrolled: 1-line block ×3, first 2 shown]
	v_mul_f32_e32 v13, 0x3fb8aa3b, v13
	v_mul_f32_e32 v14, 0x3fb8aa3b, v14
	;; [unrolled: 1-line block ×3, first 2 shown]
	v_exp_f32_e32 v13, v13
	v_exp_f32_e32 v14, v14
	;; [unrolled: 1-line block ×3, first 2 shown]
	v_sub_f32_e32 v16, v16, v12
	v_cndmask_b32_e64 v13, 0, v13, s[26:27]
	v_mul_f32_e32 v16, 0x3fb8aa3b, v16
	v_cndmask_b32_e64 v14, 0, v14, s[28:29]
	v_cndmask_b32_e64 v15, 0, v15, s[30:31]
	v_add_f32_e32 v19, 0, v13
	buffer_store_dword v13, off, s[0:3], 0 offset:256
	buffer_store_dword v14, off, s[0:3], 0 offset:260
	;; [unrolled: 1-line block ×3, first 2 shown]
	v_sub_f32_e32 v13, v17, v12
	v_exp_f32_e32 v16, v16
	v_add_f32_e32 v19, v19, v14
	v_mul_f32_e32 v13, 0x3fb8aa3b, v13
	v_sub_f32_e32 v14, v18, v12
	v_exp_f32_e32 v13, v13
	v_mul_f32_e32 v14, 0x3fb8aa3b, v14
	v_sub_f32_e32 v11, v11, v12
	v_exp_f32_e32 v14, v14
	;; [unrolled: 3-line block ×3, first 2 shown]
	v_mul_f32_e32 v10, 0x3fb8aa3b, v10
	v_sub_f32_e32 v9, v9, v12
	v_cndmask_b32_e64 v16, 0, v16, s[34:35]
	v_add_f32_e32 v19, v19, v15
	v_exp_f32_e32 v10, v10
	v_mul_f32_e32 v9, 0x3fb8aa3b, v9
	v_sub_f32_e32 v8, v8, v12
	v_add_f32_e32 v19, v19, v16
	v_cndmask_b32_e64 v13, 0, v13, s[36:37]
	v_exp_f32_e32 v9, v9
	v_mul_f32_e32 v8, 0x3fb8aa3b, v8
	v_sub_f32_e32 v7, v7, v12
	v_add_f32_e32 v15, v19, v13
	v_cndmask_b32_e64 v14, 0, v14, s[38:39]
	;; [unrolled: 5-line block ×5, first 2 shown]
	v_exp_f32_e32 v5, v5
	v_mul_f32_e32 v4, 0x3fb8aa3b, v4
	v_sub_f32_e32 v3, v3, v12
	buffer_store_dword v16, off, s[0:3], 0 offset:268
	buffer_store_dword v13, off, s[0:3], 0 offset:272
	;; [unrolled: 1-line block ×5, first 2 shown]
	v_add_f32_e32 v10, v15, v9
	v_cndmask_b32_e64 v8, 0, v8, s[18:19]
	v_exp_f32_e32 v4, v4
	v_mul_f32_e32 v3, 0x3fb8aa3b, v3
	v_sub_f32_e32 v2, v2, v12
	v_add_f32_e32 v10, v10, v8
	v_cndmask_b32_e64 v7, 0, v7, s[12:13]
	v_exp_f32_e32 v3, v3
	v_mul_f32_e32 v2, 0x3fb8aa3b, v2
	v_add_f32_e32 v10, v10, v7
	v_cndmask_b32_e64 v6, 0, v6, s[14:15]
	v_exp_f32_e32 v2, v2
	v_add_f32_e32 v10, v10, v6
	v_cndmask_b32_e64 v5, 0, v5, s[6:7]
	buffer_store_dword v9, off, s[0:3], 0 offset:288
	buffer_store_dword v8, off, s[0:3], 0 offset:292
	;; [unrolled: 1-line block ×4, first 2 shown]
	v_add_f32_e32 v6, v10, v5
	v_cndmask_b32_e64 v4, 0, v4, s[10:11]
	v_add_f32_e32 v6, v6, v4
	v_cndmask_b32_e32 v3, 0, v3, vcc
	v_add_f32_e32 v6, v6, v3
	v_cndmask_b32_e64 v2, 0, v2, s[4:5]
	v_add_f32_e32 v6, v6, v2
	ds_bpermute_b32 v7, v22, v6
	buffer_store_dword v5, off, s[0:3], 0 offset:304
	buffer_store_dword v4, off, s[0:3], 0 offset:308
	;; [unrolled: 1-line block ×4, first 2 shown]
	v_cmp_gt_u32_e64 s[4:5], 16, v38
	s_waitcnt lgkmcnt(0)
	s_barrier
	v_add_f32_e32 v2, v6, v7
	ds_bpermute_b32 v3, v20, v2
	s_waitcnt lgkmcnt(0)
	s_and_saveexec_b64 s[6:7], s[4:5]
	s_cbranch_execz .LBB918_207
; %bb.206:
	v_add_f32_e32 v2, v2, v3
	v_lshlrev_b32_e32 v3, 2, v63
	ds_write2st64_b32 v3, v12, v2 offset1:1
.LBB918_207:
	s_or_b64 exec, exec, s[6:7]
	v_lshlrev_b32_e32 v2, 2, v55
	s_waitcnt lgkmcnt(0)
	s_barrier
	ds_read2_b32 v[14:15], v2 offset1:16
	ds_read2_b32 v[16:17], v2 offset0:32 offset1:48
	ds_read2_b32 v[6:7], v2 offset0:64 offset1:80
	;; [unrolled: 1-line block ×3, first 2 shown]
	s_waitcnt lgkmcnt(0)
	s_barrier
	buffer_load_dword v22, off, s[0:3], 0 offset:264
	buffer_load_dword v23, off, s[0:3], 0 offset:268
	;; [unrolled: 1-line block ×16, first 2 shown]
	v_max3_f32 v20, v14, s52, v15
	v_max3_f32 v20, v20, v16, v17
	v_sub_f32_e32 v14, v14, v20
	v_sub_f32_e32 v15, v15, v20
	v_mul_f32_e32 v14, 0x3fb8aa3b, v14
	v_sub_f32_e32 v16, v16, v20
	v_mul_f32_e32 v15, 0x3fb8aa3b, v15
	v_exp_f32_e32 v14, v14
	v_sub_f32_e32 v17, v17, v20
	v_mul_f32_e32 v16, 0x3fb8aa3b, v16
	v_exp_f32_e32 v15, v15
	v_mul_f32_e32 v17, 0x3fb8aa3b, v17
	v_exp_f32_e32 v16, v16
	v_exp_f32_e32 v17, v17
	v_fma_f32 v6, v14, v6, 0
	v_fmac_f32_e32 v6, v15, v7
	v_fmac_f32_e32 v6, v16, v12
	;; [unrolled: 1-line block ×3, first 2 shown]
	v_cmp_eq_u32_e32 vcc, 1, v62
	v_add_f32_e32 v12, 0x358637bd, v6
	v_cndmask_b32_e32 v14, v14, v15, vcc
	v_cmp_eq_u32_e32 vcc, 2, v62
	v_div_scale_f32 v13, s[6:7], v12, v12, 1.0
	v_cndmask_b32_e32 v7, v14, v16, vcc
	v_rcp_f32_e32 v14, v13
	v_cmp_eq_u32_e32 vcc, 3, v62
	v_cndmask_b32_e32 v7, v7, v17, vcc
	v_div_scale_f32 v15, vcc, 1.0, v12, 1.0
	v_fma_f32 v16, -v13, v14, 1.0
	v_fmac_f32_e32 v14, v16, v14
	v_mul_f32_e32 v16, v15, v14
	v_fma_f32 v17, -v13, v16, v15
	v_fmac_f32_e32 v16, v17, v14
	v_fma_f32 v13, -v13, v16, v15
	v_div_fmas_f32 v13, v13, v14, v16
	v_div_fixup_f32 v12, v13, v12, 1.0
	v_mul_f32_e32 v12, v7, v12
	s_movk_i32 s21, 0x7fff
	s_mov_b32 s22, 0x7060302
	s_mul_i32 s20, s51, 9
	v_cmp_gt_u32_e32 vcc, 9, v0
	s_waitcnt vmcnt(14)
	v_pk_mul_f32 v[14:15], v[12:13], v[22:23] op_sel_hi:[0,1]
	v_bfe_u32 v21, v15, 16, 1
	s_waitcnt vmcnt(12)
	v_pk_mul_f32 v[16:17], v[12:13], v[24:25] op_sel_hi:[0,1]
	v_bfe_u32 v7, v17, 16, 1
	v_bfe_u32 v13, v16, 16, 1
	;; [unrolled: 1-line block ×3, first 2 shown]
	v_add3_u32 v13, v16, v13, s21
	v_add3_u32 v7, v17, v7, s21
	buffer_store_dword v16, off, s[0:3], 0 offset:256
	buffer_store_dword v17, off, s[0:3], 0 offset:260
	;; [unrolled: 1-line block ×4, first 2 shown]
	v_add3_u32 v16, v14, v22, s21
	v_add3_u32 v15, v15, v21, s21
	v_perm_b32 v14, v7, v13, s22
	v_lshlrev_b32_e32 v13, 3, v1
	v_perm_b32 v15, v15, v16, s22
	v_lshlrev_b32_e32 v7, 5, v55
	v_lshlrev_b32_e32 v16, 11, v62
	s_waitcnt vmcnt(12)
	v_pk_mul_f32 v[8:9], v[12:13], v[8:9] op_sel_hi:[0,1]
	v_or3_b32 v43, v16, v7, v13
	v_pk_mul_f32 v[10:11], v[12:13], v[10:11] op_sel_hi:[0,1]
	v_bfe_u32 v13, v9, 16, 1
	v_bfe_u32 v16, v8, 16, 1
	buffer_store_dword v8, off, s[0:3], 0 offset:272
	buffer_store_dword v9, off, s[0:3], 0 offset:276
	;; [unrolled: 1-line block ×4, first 2 shown]
	v_add3_u32 v8, v8, v16, s21
	v_add3_u32 v9, v9, v13, s21
	v_perm_b32 v8, v9, v8, s22
	v_bfe_u32 v9, v11, 16, 1
	v_bfe_u32 v13, v10, 16, 1
	v_add3_u32 v10, v10, v13, s21
	v_add3_u32 v9, v11, v9, s21
	v_perm_b32 v9, v9, v10, s22
	s_waitcnt vmcnt(14)
	v_pk_mul_f32 v[10:11], v[12:13], v[18:19] op_sel_hi:[0,1]
	ds_write2st64_b64 v43, v[14:15], v[8:9] offset1:1
	s_waitcnt vmcnt(12)
	v_pk_mul_f32 v[8:9], v[12:13], v[26:27] op_sel_hi:[0,1]
	v_bfe_u32 v13, v11, 16, 1
	v_bfe_u32 v14, v10, 16, 1
	buffer_store_dword v10, off, s[0:3], 0 offset:288
	buffer_store_dword v11, off, s[0:3], 0 offset:292
	;; [unrolled: 1-line block ×4, first 2 shown]
	v_add3_u32 v10, v10, v14, s21
	v_add3_u32 v11, v11, v13, s21
	v_perm_b32 v10, v11, v10, s22
	v_bfe_u32 v11, v9, 16, 1
	v_bfe_u32 v13, v8, 16, 1
	v_add3_u32 v8, v8, v13, s21
	v_add3_u32 v9, v9, v11, s21
	s_waitcnt vmcnt(14)
	v_pk_mul_f32 v[2:3], v[12:13], v[2:3] op_sel_hi:[0,1]
	v_perm_b32 v11, v9, v8, s22
	v_bfe_u32 v8, v3, 16, 1
	v_bfe_u32 v9, v2, 16, 1
	s_waitcnt vmcnt(12)
	v_pk_mul_f32 v[4:5], v[12:13], v[4:5] op_sel_hi:[0,1]
	buffer_store_dword v2, off, s[0:3], 0 offset:304
	buffer_store_dword v3, off, s[0:3], 0 offset:308
	;; [unrolled: 1-line block ×4, first 2 shown]
	v_add3_u32 v2, v2, v9, s21
	v_add3_u32 v3, v3, v8, s21
	v_perm_b32 v2, v3, v2, s22
	v_bfe_u32 v3, v5, 16, 1
	v_bfe_u32 v8, v4, 16, 1
	v_add3_u32 v4, v4, v8, s21
	v_add3_u32 v3, v5, v3, s21
	v_perm_b32 v3, v3, v4, s22
	ds_write2st64_b64 v43, v[10:11], v[2:3] offset0:2 offset1:3
	s_and_saveexec_b64 s[6:7], vcc
	s_cbranch_execz .LBB918_209
; %bb.208:
	v_add_co_u32_e32 v4, vcc, s25, v55
	v_addc_co_u32_e64 v5, s[10:11], 0, 0, vcc
	v_mov_b32_e32 v2, s20
	v_mov_b32_e32 v3, 0
	v_mad_u64_u32 v[4:5], s[10:11], s8, v2, v[4:5]
	v_mov_b32_e32 v2, s24
	s_mul_i32 s9, s9, s20
	v_mad_u64_u32 v[2:3], s[10:11], v4, s50, v[2:3]
	v_add_u32_e32 v5, s9, v5
	v_mov_b32_e32 v4, v3
	v_mad_u64_u32 v[4:5], s[10:11], v5, s50, v[4:5]
	v_mov_b32_e32 v3, v4
	v_lshlrev_b64 v[2:3], 2, v[2:3]
	v_mov_b32_e32 v5, s47
	v_add_co_u32_e32 v4, vcc, s46, v2
	v_addc_co_u32_e32 v5, vcc, v5, v3, vcc
	global_store_dword v[4:5], v20, off
	v_mov_b32_e32 v4, s45
	v_add_co_u32_e32 v2, vcc, s44, v2
	v_addc_co_u32_e32 v3, vcc, v4, v3, vcc
	global_store_dword v[2:3], v6, off
.LBB918_209:
	s_or_b64 exec, exec, s[6:7]
	v_lshl_or_b32 v30, v1, 9, v7
	s_waitcnt lgkmcnt(0)
	s_barrier
	s_load_dword s6, s[42:43], 0x0
	ds_read_b128 v[2:5], v30
	ds_read_b128 v[6:9], v30 offset:16
	ds_read_b128 v[10:13], v30 offset:2048
	;; [unrolled: 1-line block ×7, first 2 shown]
	v_mov_b32_e32 v35, 0x80
	v_mov_b32_e32 v45, 0x140
	s_mov_b64 s[12:13], -1
	s_waitcnt lgkmcnt(0)
	s_mov_b32 s7, s6
	s_mov_b32 s10, s6
	;; [unrolled: 1-line block ×3, first 2 shown]
	s_movk_i32 s9, 0x80
	s_movk_i32 s23, 0x7f
	s_mov_b32 s26, 0xffffff
	s_mov_b32 s27, 0x5040100
	v_mov_b32_e32 v47, 0
	v_bfrev_b32_e32 v48, 60
	s_branch .LBB918_213
.LBB918_210:                            ;   in Loop: Header=BB918_213 Depth=1
	s_or_b64 exec, exec, s[18:19]
.LBB918_211:                            ;   in Loop: Header=BB918_213 Depth=1
	s_or_b64 exec, exec, s[16:17]
.LBB918_212:                            ;   in Loop: Header=BB918_213 Depth=1
	s_or_b64 exec, exec, s[14:15]
	v_perm_b32 v61, v51, v49, s27
	v_perm_b32 v60, v44, v46, s27
	s_xor_b64 s[14:15], s[12:13], -1
	s_mov_b64 s[12:13], 0
	s_and_b64 vcc, exec, s[14:15]
	v_mfma_f32_16x16x16bf16_1k v[62:65], v[60:61], v[30:31], v[34:37]
	v_mov_b32_e32 v61, v41
	v_mov_b32_e32 v60, v57
	;; [unrolled: 1-line block ×3, first 2 shown]
	s_nop 3
	v_perm_b32 v37, v53, v52, s27
	v_perm_b32 v36, v42, v50, s27
	v_mov_b32_e32 v35, v39
	s_nop 0
	v_mfma_f32_16x16x16bf16_1k v[50:53], v[36:37], v[32:33], v[62:65]
	s_nop 7
	s_nop 2
	v_pk_mul_f32 v[50:51], v[50:51], s[6:7]
	v_pk_mul_f32 v[36:37], v[52:53], s[10:11]
	v_bfe_u32 v34, v51, 16, 1
	v_bfe_u32 v38, v50, 16, 1
	;; [unrolled: 1-line block ×4, first 2 shown]
	v_add3_u32 v38, v50, v38, s21
	v_add3_u32 v34, v51, v34, s21
	;; [unrolled: 1-line block ×4, first 2 shown]
	v_perm_b32 v34, v34, v38, s22
	v_perm_b32 v36, v37, v36, s22
	buffer_store_dword v34, v45, s[0:3], 0 offen
	buffer_store_dword v36, v45, s[0:3], 0 offen offset:4
	v_mov_b32_e32 v45, 0x148
	s_cbranch_vccnz .LBB918_595
.LBB918_213:                            ; =>This Inner Loop Header: Depth=1
	buffer_load_dword v36, v35, s[0:3], 0 offen
	buffer_load_dword v34, v35, s[0:3], 0 offen offset:4
	buffer_load_dword v40, v35, s[0:3], 0 offen offset:8
	;; [unrolled: 1-line block ×3, first 2 shown]
	v_mov_b32_e32 v35, 0
	s_waitcnt vmcnt(3)
	v_cmp_ne_u16_sdwa s[16:17], v36, v47 src0_sel:BYTE_0 src1_sel:DWORD
	s_and_saveexec_b64 s[14:15], s[16:17]
	s_cbranch_execz .LBB918_219
; %bb.214:                              ;   in Loop: Header=BB918_213 Depth=1
	v_cmp_ne_u16_sdwa s[18:19], v36, s9 src0_sel:BYTE_0 src1_sel:DWORD
	v_mov_b32_e32 v35, 0xffff8000
	s_and_saveexec_b64 s[16:17], s[18:19]
	s_cbranch_execz .LBB918_218
; %bb.215:                              ;   in Loop: Header=BB918_213 Depth=1
	v_and_b32_e32 v37, 0x7f, v36
	v_cmp_ne_u32_e32 vcc, s23, v37
	v_mov_b32_e32 v35, 0x7f80
	s_and_saveexec_b64 s[18:19], vcc
	s_cbranch_execz .LBB918_217
; %bb.216:                              ;   in Loop: Header=BB918_213 Depth=1
	v_and_b32_e32 v35, 7, v36
	v_ffbh_u32_e32 v44, v35
	v_min_u32_e32 v44, 32, v44
	v_subrev_u32_e32 v46, 28, v44
	v_lshlrev_b64 v[50:51], v46, v[36:37]
	v_lshrrev_b32_e32 v42, 3, v37
	v_sub_u32_e32 v44, 29, v44
	v_and_b32_e32 v46, 7, v50
	v_cmp_gt_u32_e32 vcc, 8, v37
	v_cndmask_b32_e32 v37, v42, v44, vcc
	v_cndmask_b32_e32 v35, v35, v46, vcc
	v_lshlrev_b32_e32 v42, 24, v36
	v_lshlrev_b32_e32 v35, 20, v35
	v_and_b32_e32 v42, 0x80000000, v42
	v_lshl_add_u32 v37, v37, 23, v48
	v_or3_b32 v35, v42, v37, v35
	v_lshrrev_b32_e32 v35, 16, v35
.LBB918_217:                            ;   in Loop: Header=BB918_213 Depth=1
	s_or_b64 exec, exec, s[18:19]
.LBB918_218:                            ;   in Loop: Header=BB918_213 Depth=1
	s_or_b64 exec, exec, s[16:17]
.LBB918_219:                            ;   in Loop: Header=BB918_213 Depth=1
	s_or_b64 exec, exec, s[14:15]
	v_lshrrev_b16_e32 v42, 8, v36
	v_cmp_ne_u16_e32 vcc, 0, v42
	v_mov_b32_e32 v46, 0
	v_mov_b32_e32 v37, 0
	s_and_saveexec_b64 s[14:15], vcc
	s_cbranch_execz .LBB918_225
; %bb.220:                              ;   in Loop: Header=BB918_213 Depth=1
	v_cmp_ne_u16_e32 vcc, s9, v42
	v_mov_b32_e32 v37, 0xffff8000
	s_and_saveexec_b64 s[16:17], vcc
	s_cbranch_execz .LBB918_224
; %bb.221:                              ;   in Loop: Header=BB918_213 Depth=1
	v_and_b32_e32 v44, 0x7f, v42
	v_cmp_ne_u32_e32 vcc, s23, v44
	v_mov_b32_e32 v37, 0x7f80
	s_and_saveexec_b64 s[18:19], vcc
	s_cbranch_execz .LBB918_223
; %bb.222:                              ;   in Loop: Header=BB918_213 Depth=1
	v_and_b32_e32 v37, 7, v42
	v_ffbh_u32_e32 v50, v37
	v_min_u32_e32 v52, 32, v50
	v_subrev_u32_e32 v50, 28, v52
	v_lshlrev_b64 v[50:51], v50, v[42:43]
	v_lshrrev_b32_e32 v49, 3, v44
	v_sub_u32_e32 v42, 29, v52
	v_and_b32_e32 v50, 7, v50
	v_cmp_gt_u32_e32 vcc, 8, v44
	v_cndmask_b32_e32 v42, v49, v42, vcc
	v_cndmask_b32_e32 v37, v37, v50, vcc
	v_lshlrev_b32_e32 v44, 16, v36
	v_lshlrev_b32_e32 v37, 20, v37
	v_and_b32_e32 v44, 0x80000000, v44
	v_lshl_add_u32 v42, v42, 23, v48
	v_or3_b32 v37, v44, v42, v37
	v_lshrrev_b32_e32 v37, 16, v37
.LBB918_223:                            ;   in Loop: Header=BB918_213 Depth=1
	s_or_b64 exec, exec, s[18:19]
.LBB918_224:                            ;   in Loop: Header=BB918_213 Depth=1
	s_or_b64 exec, exec, s[16:17]
.LBB918_225:                            ;   in Loop: Header=BB918_213 Depth=1
	s_or_b64 exec, exec, s[14:15]
	v_lshrrev_b32_e32 v42, 16, v36
	v_cmp_ne_u16_sdwa s[16:17], v42, v47 src0_sel:BYTE_0 src1_sel:DWORD
	s_and_saveexec_b64 s[14:15], s[16:17]
	s_cbranch_execz .LBB918_231
; %bb.226:                              ;   in Loop: Header=BB918_213 Depth=1
	v_cmp_ne_u16_sdwa s[18:19], v42, s9 src0_sel:BYTE_0 src1_sel:DWORD
	v_mov_b32_e32 v46, 0xffff8000
	s_and_saveexec_b64 s[16:17], s[18:19]
	s_cbranch_execz .LBB918_230
; %bb.227:                              ;   in Loop: Header=BB918_213 Depth=1
	v_bfe_u32 v44, v36, 16, 7
	v_cmp_ne_u32_e32 vcc, s23, v44
	v_mov_b32_e32 v46, 0x7f80
	s_and_saveexec_b64 s[18:19], vcc
	s_cbranch_execz .LBB918_229
; %bb.228:                              ;   in Loop: Header=BB918_213 Depth=1
	v_and_b32_e32 v46, 7, v42
	v_ffbh_u32_e32 v50, v46
	v_min_u32_e32 v52, 32, v50
	v_subrev_u32_e32 v50, 28, v52
	v_lshlrev_b64 v[50:51], v50, v[42:43]
	v_lshrrev_b32_e32 v49, 3, v44
	v_sub_u32_e32 v51, 29, v52
	v_and_b32_e32 v50, 7, v50
	v_cmp_gt_u32_e32 vcc, 8, v44
	v_cndmask_b32_e32 v44, v49, v51, vcc
	v_cndmask_b32_e32 v46, v46, v50, vcc
	v_lshlrev_b32_e32 v42, 24, v42
	v_lshlrev_b32_e32 v46, 20, v46
	v_and_b32_e32 v42, 0x80000000, v42
	v_lshl_add_u32 v44, v44, 23, v48
	v_or3_b32 v42, v42, v44, v46
	v_lshrrev_b32_e32 v46, 16, v42
.LBB918_229:                            ;   in Loop: Header=BB918_213 Depth=1
	s_or_b64 exec, exec, s[18:19]
.LBB918_230:                            ;   in Loop: Header=BB918_213 Depth=1
	s_or_b64 exec, exec, s[16:17]
.LBB918_231:                            ;   in Loop: Header=BB918_213 Depth=1
	s_or_b64 exec, exec, s[14:15]
	v_cmp_lt_u32_e32 vcc, s26, v36
	v_mov_b32_e32 v49, 0
	v_mov_b32_e32 v50, 0
	s_and_saveexec_b64 s[14:15], vcc
	s_cbranch_execz .LBB918_237
; %bb.232:                              ;   in Loop: Header=BB918_213 Depth=1
	v_lshrrev_b32_e32 v42, 24, v36
	v_cmp_ne_u32_e32 vcc, s9, v42
	v_mov_b32_e32 v50, 0xffff8000
	s_and_saveexec_b64 s[16:17], vcc
	s_cbranch_execz .LBB918_236
; %bb.233:                              ;   in Loop: Header=BB918_213 Depth=1
	v_bfe_u32 v36, v36, 24, 7
	v_cmp_ne_u32_e32 vcc, s23, v36
	v_mov_b32_e32 v50, 0x7f80
	s_and_saveexec_b64 s[18:19], vcc
	s_cbranch_execz .LBB918_235
; %bb.234:                              ;   in Loop: Header=BB918_213 Depth=1
	v_and_b32_e32 v44, 7, v42
	v_ffbh_u32_e32 v50, v44
	v_min_u32_e32 v53, 32, v50
	v_subrev_u32_e32 v50, 28, v53
	v_lshlrev_b64 v[50:51], v50, v[42:43]
	v_lshrrev_b32_e32 v52, 3, v36
	v_sub_u32_e32 v51, 29, v53
	v_and_b32_e32 v50, 7, v50
	v_cmp_gt_u32_e32 vcc, 8, v36
	v_cndmask_b32_e32 v36, v52, v51, vcc
	v_cndmask_b32_e32 v44, v44, v50, vcc
	v_lshlrev_b32_e32 v42, 24, v42
	v_lshlrev_b32_e32 v44, 20, v44
	v_and_b32_e32 v42, 0x80000000, v42
	v_lshl_add_u32 v36, v36, 23, v48
	v_or3_b32 v36, v42, v36, v44
	v_lshrrev_b32_e32 v50, 16, v36
.LBB918_235:                            ;   in Loop: Header=BB918_213 Depth=1
	s_or_b64 exec, exec, s[18:19]
.LBB918_236:                            ;   in Loop: Header=BB918_213 Depth=1
	s_or_b64 exec, exec, s[16:17]
.LBB918_237:                            ;   in Loop: Header=BB918_213 Depth=1
	s_or_b64 exec, exec, s[14:15]
	s_waitcnt vmcnt(2)
	v_cmp_ne_u16_sdwa s[16:17], v34, v47 src0_sel:BYTE_0 src1_sel:DWORD
	s_and_saveexec_b64 s[14:15], s[16:17]
	s_cbranch_execz .LBB918_243
; %bb.238:                              ;   in Loop: Header=BB918_213 Depth=1
	v_cmp_ne_u16_sdwa s[18:19], v34, s9 src0_sel:BYTE_0 src1_sel:DWORD
	v_mov_b32_e32 v49, 0xffff8000
	s_and_saveexec_b64 s[16:17], s[18:19]
	s_cbranch_execz .LBB918_242
; %bb.239:                              ;   in Loop: Header=BB918_213 Depth=1
	v_and_b32_e32 v36, 0x7f, v34
	v_cmp_ne_u32_e32 vcc, s23, v36
	v_mov_b32_e32 v49, 0x7f80
	s_and_saveexec_b64 s[18:19], vcc
	s_cbranch_execz .LBB918_241
; %bb.240:                              ;   in Loop: Header=BB918_213 Depth=1
	v_and_b32_e32 v42, 7, v34
	v_ffbh_u32_e32 v49, v42
	v_min_u32_e32 v49, 32, v49
	v_subrev_u32_e32 v51, 28, v49
	v_lshlrev_b64 v[52:53], v51, v[34:35]
	v_lshrrev_b32_e32 v44, 3, v36
	v_sub_u32_e32 v49, 29, v49
	v_and_b32_e32 v51, 7, v52
	v_cmp_gt_u32_e32 vcc, 8, v36
	v_cndmask_b32_e32 v36, v44, v49, vcc
	v_cndmask_b32_e32 v42, v42, v51, vcc
	v_lshlrev_b32_e32 v44, 24, v34
	v_lshlrev_b32_e32 v42, 20, v42
	v_and_b32_e32 v44, 0x80000000, v44
	v_lshl_add_u32 v36, v36, 23, v48
	v_or3_b32 v36, v44, v36, v42
	v_lshrrev_b32_e32 v49, 16, v36
.LBB918_241:                            ;   in Loop: Header=BB918_213 Depth=1
	s_or_b64 exec, exec, s[18:19]
.LBB918_242:                            ;   in Loop: Header=BB918_213 Depth=1
	s_or_b64 exec, exec, s[16:17]
.LBB918_243:                            ;   in Loop: Header=BB918_213 Depth=1
	s_or_b64 exec, exec, s[14:15]
	v_lshrrev_b16_e32 v36, 8, v34
	v_cmp_ne_u16_e32 vcc, 0, v36
	v_mov_b32_e32 v51, 0
	v_mov_b32_e32 v42, 0
	s_and_saveexec_b64 s[14:15], vcc
	s_cbranch_execz .LBB918_249
; %bb.244:                              ;   in Loop: Header=BB918_213 Depth=1
	v_cmp_ne_u16_e32 vcc, s9, v36
	v_mov_b32_e32 v42, 0xffff8000
	s_and_saveexec_b64 s[16:17], vcc
	s_cbranch_execz .LBB918_248
; %bb.245:                              ;   in Loop: Header=BB918_213 Depth=1
	v_and_b32_e32 v44, 0x7f, v36
	v_cmp_ne_u32_e32 vcc, s23, v44
	v_mov_b32_e32 v42, 0x7f80
	s_and_saveexec_b64 s[18:19], vcc
	s_cbranch_execz .LBB918_247
; %bb.246:                              ;   in Loop: Header=BB918_213 Depth=1
	v_and_b32_e32 v42, 7, v36
	v_ffbh_u32_e32 v52, v42
	v_min_u32_e32 v63, 32, v52
	v_subrev_u32_e32 v52, 28, v63
	v_lshlrev_b64 v[52:53], v52, v[36:37]
	v_lshrrev_b32_e32 v62, 3, v44
	v_sub_u32_e32 v36, 29, v63
	v_and_b32_e32 v52, 7, v52
	v_cmp_gt_u32_e32 vcc, 8, v44
	v_cndmask_b32_e32 v36, v62, v36, vcc
	v_cndmask_b32_e32 v42, v42, v52, vcc
	v_lshlrev_b32_e32 v44, 16, v34
	v_lshlrev_b32_e32 v42, 20, v42
	v_and_b32_e32 v44, 0x80000000, v44
	v_lshl_add_u32 v36, v36, 23, v48
	v_or3_b32 v36, v44, v36, v42
	v_lshrrev_b32_e32 v42, 16, v36
.LBB918_247:                            ;   in Loop: Header=BB918_213 Depth=1
	s_or_b64 exec, exec, s[18:19]
.LBB918_248:                            ;   in Loop: Header=BB918_213 Depth=1
	s_or_b64 exec, exec, s[16:17]
.LBB918_249:                            ;   in Loop: Header=BB918_213 Depth=1
	s_or_b64 exec, exec, s[14:15]
	v_lshrrev_b32_e32 v36, 16, v34
	v_cmp_ne_u16_sdwa s[16:17], v36, v47 src0_sel:BYTE_0 src1_sel:DWORD
	s_and_saveexec_b64 s[14:15], s[16:17]
	s_cbranch_execz .LBB918_255
; %bb.250:                              ;   in Loop: Header=BB918_213 Depth=1
	v_cmp_ne_u16_sdwa s[18:19], v36, s9 src0_sel:BYTE_0 src1_sel:DWORD
	v_mov_b32_e32 v51, 0xffff8000
	s_and_saveexec_b64 s[16:17], s[18:19]
	s_cbranch_execz .LBB918_254
; %bb.251:                              ;   in Loop: Header=BB918_213 Depth=1
	v_bfe_u32 v44, v34, 16, 7
	v_cmp_ne_u32_e32 vcc, s23, v44
	v_mov_b32_e32 v51, 0x7f80
	s_and_saveexec_b64 s[18:19], vcc
	s_cbranch_execz .LBB918_253
; %bb.252:                              ;   in Loop: Header=BB918_213 Depth=1
	v_and_b32_e32 v51, 7, v36
	v_ffbh_u32_e32 v52, v51
	v_min_u32_e32 v63, 32, v52
	v_subrev_u32_e32 v52, 28, v63
	v_lshlrev_b64 v[52:53], v52, v[36:37]
	v_lshrrev_b32_e32 v62, 3, v44
	v_sub_u32_e32 v53, 29, v63
	v_and_b32_e32 v52, 7, v52
	v_cmp_gt_u32_e32 vcc, 8, v44
	v_cndmask_b32_e32 v44, v62, v53, vcc
	v_cndmask_b32_e32 v51, v51, v52, vcc
	v_lshlrev_b32_e32 v36, 24, v36
	v_lshlrev_b32_e32 v51, 20, v51
	v_and_b32_e32 v36, 0x80000000, v36
	v_lshl_add_u32 v44, v44, 23, v48
	v_or3_b32 v36, v36, v44, v51
	v_lshrrev_b32_e32 v51, 16, v36
.LBB918_253:                            ;   in Loop: Header=BB918_213 Depth=1
	s_or_b64 exec, exec, s[18:19]
.LBB918_254:                            ;   in Loop: Header=BB918_213 Depth=1
	s_or_b64 exec, exec, s[16:17]
.LBB918_255:                            ;   in Loop: Header=BB918_213 Depth=1
	s_or_b64 exec, exec, s[14:15]
	v_cmp_lt_u32_e32 vcc, s26, v34
	v_mov_b32_e32 v44, 0
	v_mov_b32_e32 v52, 0
	s_and_saveexec_b64 s[14:15], vcc
	s_cbranch_execz .LBB918_261
; %bb.256:                              ;   in Loop: Header=BB918_213 Depth=1
	v_lshrrev_b32_e32 v36, 24, v34
	v_cmp_ne_u32_e32 vcc, s9, v36
	v_mov_b32_e32 v52, 0xffff8000
	s_and_saveexec_b64 s[16:17], vcc
	s_cbranch_execz .LBB918_260
; %bb.257:                              ;   in Loop: Header=BB918_213 Depth=1
	v_bfe_u32 v34, v34, 24, 7
	v_cmp_ne_u32_e32 vcc, s23, v34
	v_mov_b32_e32 v52, 0x7f80
	s_and_saveexec_b64 s[18:19], vcc
	s_cbranch_execz .LBB918_259
; %bb.258:                              ;   in Loop: Header=BB918_213 Depth=1
	v_and_b32_e32 v62, 7, v36
	v_ffbh_u32_e32 v52, v62
	v_min_u32_e32 v64, 32, v52
	v_subrev_u32_e32 v52, 28, v64
	v_lshlrev_b64 v[52:53], v52, v[36:37]
	v_lshrrev_b32_e32 v63, 3, v34
	v_sub_u32_e32 v53, 29, v64
	v_and_b32_e32 v52, 7, v52
	v_cmp_gt_u32_e32 vcc, 8, v34
	v_cndmask_b32_e32 v34, v63, v53, vcc
	v_cndmask_b32_e32 v52, v62, v52, vcc
	v_lshlrev_b32_e32 v36, 24, v36
	v_lshlrev_b32_e32 v52, 20, v52
	v_and_b32_e32 v36, 0x80000000, v36
	v_lshl_add_u32 v34, v34, 23, v48
	v_or3_b32 v34, v36, v34, v52
	v_lshrrev_b32_e32 v52, 16, v34
.LBB918_259:                            ;   in Loop: Header=BB918_213 Depth=1
	s_or_b64 exec, exec, s[18:19]
.LBB918_260:                            ;   in Loop: Header=BB918_213 Depth=1
	s_or_b64 exec, exec, s[16:17]
.LBB918_261:                            ;   in Loop: Header=BB918_213 Depth=1
	s_or_b64 exec, exec, s[14:15]
	v_perm_b32 v63, v50, v46, s27
	v_perm_b32 v62, v37, v35, s27
	;; [unrolled: 1-line block ×4, first 2 shown]
	s_waitcnt vmcnt(1)
	v_cmp_ne_u16_sdwa s[16:17], v40, v47 src0_sel:BYTE_0 src1_sel:DWORD
	v_mfma_f32_16x16x16bf16_1k v[34:37], v[62:63], v[2:3], 0
	v_mfma_f32_16x16x16bf16_1k v[34:37], v[50:51], v[4:5], v[34:37]
	s_and_saveexec_b64 s[14:15], s[16:17]
	s_cbranch_execz .LBB918_267
; %bb.262:                              ;   in Loop: Header=BB918_213 Depth=1
	v_cmp_ne_u16_sdwa s[18:19], v40, s9 src0_sel:BYTE_0 src1_sel:DWORD
	v_mov_b32_e32 v44, 0xffff8000
	s_and_saveexec_b64 s[16:17], s[18:19]
	s_cbranch_execz .LBB918_266
; %bb.263:                              ;   in Loop: Header=BB918_213 Depth=1
	v_and_b32_e32 v42, 0x7f, v40
	v_cmp_ne_u32_e32 vcc, s23, v42
	v_mov_b32_e32 v44, 0x7f80
	s_and_saveexec_b64 s[18:19], vcc
	s_cbranch_execz .LBB918_265
; %bb.264:                              ;   in Loop: Header=BB918_213 Depth=1
	v_and_b32_e32 v44, 7, v40
	v_ffbh_u32_e32 v49, v44
	v_min_u32_e32 v49, 32, v49
	v_subrev_u32_e32 v50, 28, v49
	v_lshlrev_b64 v[50:51], v50, v[40:41]
	v_lshrrev_b32_e32 v46, 3, v42
	v_sub_u32_e32 v49, 29, v49
	v_and_b32_e32 v50, 7, v50
	v_cmp_gt_u32_e32 vcc, 8, v42
	v_cndmask_b32_e32 v42, v46, v49, vcc
	v_cndmask_b32_e32 v44, v44, v50, vcc
	v_lshlrev_b32_e32 v46, 24, v40
	v_lshlrev_b32_e32 v44, 20, v44
	v_and_b32_e32 v46, 0x80000000, v46
	v_lshl_add_u32 v42, v42, 23, v48
	v_or3_b32 v42, v46, v42, v44
	v_lshrrev_b32_e32 v44, 16, v42
.LBB918_265:                            ;   in Loop: Header=BB918_213 Depth=1
	s_or_b64 exec, exec, s[18:19]
.LBB918_266:                            ;   in Loop: Header=BB918_213 Depth=1
	s_or_b64 exec, exec, s[16:17]
.LBB918_267:                            ;   in Loop: Header=BB918_213 Depth=1
	s_or_b64 exec, exec, s[14:15]
	v_lshrrev_b16_e32 v42, 8, v40
	v_cmp_ne_u16_e32 vcc, 0, v42
	v_mov_b32_e32 v50, 0
	v_mov_b32_e32 v46, 0
	s_and_saveexec_b64 s[14:15], vcc
	s_cbranch_execz .LBB918_273
; %bb.268:                              ;   in Loop: Header=BB918_213 Depth=1
	v_cmp_ne_u16_e32 vcc, s9, v42
	v_mov_b32_e32 v46, 0xffff8000
	s_and_saveexec_b64 s[16:17], vcc
	s_cbranch_execz .LBB918_272
; %bb.269:                              ;   in Loop: Header=BB918_213 Depth=1
	v_and_b32_e32 v49, 0x7f, v42
	v_cmp_ne_u32_e32 vcc, s23, v49
	v_mov_b32_e32 v46, 0x7f80
	s_and_saveexec_b64 s[18:19], vcc
	s_cbranch_execz .LBB918_271
; %bb.270:                              ;   in Loop: Header=BB918_213 Depth=1
	v_and_b32_e32 v46, 7, v42
	v_ffbh_u32_e32 v52, v46
	v_min_u32_e32 v62, 32, v52
	v_subrev_u32_e32 v52, 28, v62
	v_lshlrev_b64 v[52:53], v52, v[42:43]
	v_lshrrev_b32_e32 v51, 3, v49
	v_sub_u32_e32 v42, 29, v62
	v_and_b32_e32 v52, 7, v52
	v_cmp_gt_u32_e32 vcc, 8, v49
	v_cndmask_b32_e32 v42, v51, v42, vcc
	v_cndmask_b32_e32 v46, v46, v52, vcc
	v_lshlrev_b32_e32 v49, 16, v40
	v_lshlrev_b32_e32 v46, 20, v46
	v_and_b32_e32 v49, 0x80000000, v49
	v_lshl_add_u32 v42, v42, 23, v48
	v_or3_b32 v42, v49, v42, v46
	v_lshrrev_b32_e32 v46, 16, v42
.LBB918_271:                            ;   in Loop: Header=BB918_213 Depth=1
	s_or_b64 exec, exec, s[18:19]
.LBB918_272:                            ;   in Loop: Header=BB918_213 Depth=1
	s_or_b64 exec, exec, s[16:17]
.LBB918_273:                            ;   in Loop: Header=BB918_213 Depth=1
	s_or_b64 exec, exec, s[14:15]
	v_lshrrev_b32_e32 v42, 16, v40
	v_cmp_ne_u16_sdwa s[16:17], v42, v47 src0_sel:BYTE_0 src1_sel:DWORD
	s_and_saveexec_b64 s[14:15], s[16:17]
	s_cbranch_execz .LBB918_279
; %bb.274:                              ;   in Loop: Header=BB918_213 Depth=1
	v_cmp_ne_u16_sdwa s[18:19], v42, s9 src0_sel:BYTE_0 src1_sel:DWORD
	v_mov_b32_e32 v50, 0xffff8000
	s_and_saveexec_b64 s[16:17], s[18:19]
	s_cbranch_execz .LBB918_278
; %bb.275:                              ;   in Loop: Header=BB918_213 Depth=1
	v_bfe_u32 v49, v40, 16, 7
	v_cmp_ne_u32_e32 vcc, s23, v49
	v_mov_b32_e32 v50, 0x7f80
	s_and_saveexec_b64 s[18:19], vcc
	s_cbranch_execz .LBB918_277
; %bb.276:                              ;   in Loop: Header=BB918_213 Depth=1
	v_and_b32_e32 v52, 7, v42
	v_ffbh_u32_e32 v50, v52
	v_min_u32_e32 v62, 32, v50
	v_subrev_u32_e32 v50, 28, v62
	v_lshlrev_b64 v[50:51], v50, v[42:43]
	v_lshrrev_b32_e32 v53, 3, v49
	v_sub_u32_e32 v51, 29, v62
	v_and_b32_e32 v50, 7, v50
	v_cmp_gt_u32_e32 vcc, 8, v49
	v_cndmask_b32_e32 v49, v53, v51, vcc
	v_cndmask_b32_e32 v50, v52, v50, vcc
	v_lshlrev_b32_e32 v42, 24, v42
	v_lshlrev_b32_e32 v50, 20, v50
	v_and_b32_e32 v42, 0x80000000, v42
	v_lshl_add_u32 v49, v49, 23, v48
	v_or3_b32 v42, v42, v49, v50
	v_lshrrev_b32_e32 v50, 16, v42
.LBB918_277:                            ;   in Loop: Header=BB918_213 Depth=1
	s_or_b64 exec, exec, s[18:19]
.LBB918_278:                            ;   in Loop: Header=BB918_213 Depth=1
	s_or_b64 exec, exec, s[16:17]
.LBB918_279:                            ;   in Loop: Header=BB918_213 Depth=1
	s_or_b64 exec, exec, s[14:15]
	v_cmp_lt_u32_e32 vcc, s26, v40
	v_mov_b32_e32 v51, 0
	v_mov_b32_e32 v52, 0
	s_and_saveexec_b64 s[14:15], vcc
	s_cbranch_execz .LBB918_285
; %bb.280:                              ;   in Loop: Header=BB918_213 Depth=1
	v_lshrrev_b32_e32 v42, 24, v40
	v_cmp_ne_u32_e32 vcc, s9, v42
	v_mov_b32_e32 v52, 0xffff8000
	s_and_saveexec_b64 s[16:17], vcc
	s_cbranch_execz .LBB918_284
; %bb.281:                              ;   in Loop: Header=BB918_213 Depth=1
	v_bfe_u32 v40, v40, 24, 7
	v_cmp_ne_u32_e32 vcc, s23, v40
	v_mov_b32_e32 v52, 0x7f80
	s_and_saveexec_b64 s[18:19], vcc
	s_cbranch_execz .LBB918_283
; %bb.282:                              ;   in Loop: Header=BB918_213 Depth=1
	v_and_b32_e32 v49, 7, v42
	v_ffbh_u32_e32 v52, v49
	v_min_u32_e32 v63, 32, v52
	v_subrev_u32_e32 v52, 28, v63
	v_lshlrev_b64 v[52:53], v52, v[42:43]
	v_lshrrev_b32_e32 v62, 3, v40
	v_sub_u32_e32 v53, 29, v63
	v_and_b32_e32 v52, 7, v52
	v_cmp_gt_u32_e32 vcc, 8, v40
	v_cndmask_b32_e32 v40, v62, v53, vcc
	v_cndmask_b32_e32 v49, v49, v52, vcc
	v_lshlrev_b32_e32 v42, 24, v42
	v_lshlrev_b32_e32 v49, 20, v49
	v_and_b32_e32 v42, 0x80000000, v42
	v_lshl_add_u32 v40, v40, 23, v48
	v_or3_b32 v40, v42, v40, v49
	v_lshrrev_b32_e32 v52, 16, v40
.LBB918_283:                            ;   in Loop: Header=BB918_213 Depth=1
	s_or_b64 exec, exec, s[18:19]
.LBB918_284:                            ;   in Loop: Header=BB918_213 Depth=1
	s_or_b64 exec, exec, s[16:17]
.LBB918_285:                            ;   in Loop: Header=BB918_213 Depth=1
	s_or_b64 exec, exec, s[14:15]
	s_waitcnt vmcnt(0)
	v_cmp_ne_u16_sdwa s[16:17], v38, v47 src0_sel:BYTE_0 src1_sel:DWORD
	s_and_saveexec_b64 s[14:15], s[16:17]
	s_cbranch_execz .LBB918_291
; %bb.286:                              ;   in Loop: Header=BB918_213 Depth=1
	v_cmp_ne_u16_sdwa s[18:19], v38, s9 src0_sel:BYTE_0 src1_sel:DWORD
	v_mov_b32_e32 v51, 0xffff8000
	s_and_saveexec_b64 s[16:17], s[18:19]
	s_cbranch_execz .LBB918_290
; %bb.287:                              ;   in Loop: Header=BB918_213 Depth=1
	v_and_b32_e32 v40, 0x7f, v38
	v_cmp_ne_u32_e32 vcc, s23, v40
	v_mov_b32_e32 v51, 0x7f80
	s_and_saveexec_b64 s[18:19], vcc
	s_cbranch_execz .LBB918_289
; %bb.288:                              ;   in Loop: Header=BB918_213 Depth=1
	v_and_b32_e32 v42, 7, v38
	v_ffbh_u32_e32 v51, v42
	v_min_u32_e32 v51, 32, v51
	v_subrev_u32_e32 v53, 28, v51
	v_lshlrev_b64 v[62:63], v53, v[38:39]
	v_lshrrev_b32_e32 v49, 3, v40
	v_sub_u32_e32 v51, 29, v51
	v_and_b32_e32 v53, 7, v62
	v_cmp_gt_u32_e32 vcc, 8, v40
	v_cndmask_b32_e32 v40, v49, v51, vcc
	v_cndmask_b32_e32 v42, v42, v53, vcc
	v_lshlrev_b32_e32 v49, 24, v38
	v_lshlrev_b32_e32 v42, 20, v42
	v_and_b32_e32 v49, 0x80000000, v49
	v_lshl_add_u32 v40, v40, 23, v48
	v_or3_b32 v40, v49, v40, v42
	v_lshrrev_b32_e32 v51, 16, v40
.LBB918_289:                            ;   in Loop: Header=BB918_213 Depth=1
	s_or_b64 exec, exec, s[18:19]
.LBB918_290:                            ;   in Loop: Header=BB918_213 Depth=1
	s_or_b64 exec, exec, s[16:17]
.LBB918_291:                            ;   in Loop: Header=BB918_213 Depth=1
	s_or_b64 exec, exec, s[14:15]
	v_lshrrev_b16_e32 v40, 8, v38
	v_cmp_ne_u16_e32 vcc, 0, v40
	v_mov_b32_e32 v62, 0
	v_mov_b32_e32 v53, 0
	s_and_saveexec_b64 s[14:15], vcc
	s_cbranch_execz .LBB918_297
; %bb.292:                              ;   in Loop: Header=BB918_213 Depth=1
	v_cmp_ne_u16_e32 vcc, s9, v40
	v_mov_b32_e32 v53, 0xffff8000
	s_and_saveexec_b64 s[16:17], vcc
	s_cbranch_execz .LBB918_296
; %bb.293:                              ;   in Loop: Header=BB918_213 Depth=1
	v_and_b32_e32 v42, 0x7f, v40
	v_cmp_ne_u32_e32 vcc, s23, v42
	v_mov_b32_e32 v53, 0x7f80
	s_and_saveexec_b64 s[18:19], vcc
	s_cbranch_execz .LBB918_295
; %bb.294:                              ;   in Loop: Header=BB918_213 Depth=1
	v_and_b32_e32 v49, 7, v40
	v_ffbh_u32_e32 v63, v49
	v_min_u32_e32 v63, 32, v63
	v_subrev_u32_e32 v64, 28, v63
	v_lshlrev_b64 v[64:65], v64, v[40:41]
	v_lshrrev_b32_e32 v53, 3, v42
	v_sub_u32_e32 v40, 29, v63
	v_and_b32_e32 v63, 7, v64
	v_cmp_gt_u32_e32 vcc, 8, v42
	v_cndmask_b32_e32 v40, v53, v40, vcc
	v_cndmask_b32_e32 v42, v49, v63, vcc
	v_lshlrev_b32_e32 v49, 16, v38
	v_lshlrev_b32_e32 v42, 20, v42
	v_and_b32_e32 v49, 0x80000000, v49
	v_lshl_add_u32 v40, v40, 23, v48
	v_or3_b32 v40, v49, v40, v42
	v_lshrrev_b32_e32 v53, 16, v40
.LBB918_295:                            ;   in Loop: Header=BB918_213 Depth=1
	s_or_b64 exec, exec, s[18:19]
.LBB918_296:                            ;   in Loop: Header=BB918_213 Depth=1
	s_or_b64 exec, exec, s[16:17]
.LBB918_297:                            ;   in Loop: Header=BB918_213 Depth=1
	s_or_b64 exec, exec, s[14:15]
	v_lshrrev_b32_e32 v40, 16, v38
	v_cmp_ne_u16_sdwa s[16:17], v40, v47 src0_sel:BYTE_0 src1_sel:DWORD
	s_and_saveexec_b64 s[14:15], s[16:17]
	s_cbranch_execz .LBB918_303
; %bb.298:                              ;   in Loop: Header=BB918_213 Depth=1
	v_cmp_ne_u16_sdwa s[18:19], v40, s9 src0_sel:BYTE_0 src1_sel:DWORD
	v_mov_b32_e32 v62, 0xffff8000
	s_and_saveexec_b64 s[16:17], s[18:19]
	s_cbranch_execz .LBB918_302
; %bb.299:                              ;   in Loop: Header=BB918_213 Depth=1
	v_bfe_u32 v42, v38, 16, 7
	v_cmp_ne_u32_e32 vcc, s23, v42
	v_mov_b32_e32 v62, 0x7f80
	s_and_saveexec_b64 s[18:19], vcc
	s_cbranch_execz .LBB918_301
; %bb.300:                              ;   in Loop: Header=BB918_213 Depth=1
	v_and_b32_e32 v49, 7, v40
	v_ffbh_u32_e32 v62, v49
	v_min_u32_e32 v65, 32, v62
	v_subrev_u32_e32 v62, 28, v65
	v_lshlrev_b64 v[62:63], v62, v[40:41]
	v_lshrrev_b32_e32 v64, 3, v42
	v_sub_u32_e32 v63, 29, v65
	v_and_b32_e32 v62, 7, v62
	v_cmp_gt_u32_e32 vcc, 8, v42
	v_cndmask_b32_e32 v42, v64, v63, vcc
	v_cndmask_b32_e32 v49, v49, v62, vcc
	v_lshlrev_b32_e32 v40, 24, v40
	v_lshlrev_b32_e32 v49, 20, v49
	v_and_b32_e32 v40, 0x80000000, v40
	v_lshl_add_u32 v42, v42, 23, v48
	v_or3_b32 v40, v40, v42, v49
	v_lshrrev_b32_e32 v62, 16, v40
.LBB918_301:                            ;   in Loop: Header=BB918_213 Depth=1
	s_or_b64 exec, exec, s[18:19]
.LBB918_302:                            ;   in Loop: Header=BB918_213 Depth=1
	s_or_b64 exec, exec, s[16:17]
.LBB918_303:                            ;   in Loop: Header=BB918_213 Depth=1
	s_or_b64 exec, exec, s[14:15]
	v_cmp_lt_u32_e32 vcc, s26, v38
	v_mov_b32_e32 v49, 0
	v_mov_b32_e32 v63, 0
	s_and_saveexec_b64 s[14:15], vcc
	s_cbranch_execz .LBB918_309
; %bb.304:                              ;   in Loop: Header=BB918_213 Depth=1
	v_lshrrev_b32_e32 v40, 24, v38
	v_cmp_ne_u32_e32 vcc, s9, v40
	v_mov_b32_e32 v63, 0xffff8000
	s_and_saveexec_b64 s[16:17], vcc
	s_cbranch_execz .LBB918_308
; %bb.305:                              ;   in Loop: Header=BB918_213 Depth=1
	v_bfe_u32 v38, v38, 24, 7
	v_cmp_ne_u32_e32 vcc, s23, v38
	v_mov_b32_e32 v63, 0x7f80
	s_and_saveexec_b64 s[18:19], vcc
	s_cbranch_execz .LBB918_307
; %bb.306:                              ;   in Loop: Header=BB918_213 Depth=1
	v_and_b32_e32 v42, 7, v40
	v_ffbh_u32_e32 v64, v42
	v_min_u32_e32 v66, 32, v64
	v_subrev_u32_e32 v64, 28, v66
	v_lshlrev_b64 v[64:65], v64, v[40:41]
	v_lshrrev_b32_e32 v63, 3, v38
	v_sub_u32_e32 v65, 29, v66
	v_and_b32_e32 v64, 7, v64
	v_cmp_gt_u32_e32 vcc, 8, v38
	v_cndmask_b32_e32 v38, v63, v65, vcc
	v_cndmask_b32_e32 v42, v42, v64, vcc
	v_lshlrev_b32_e32 v40, 24, v40
	v_lshlrev_b32_e32 v42, 20, v42
	v_and_b32_e32 v40, 0x80000000, v40
	v_lshl_add_u32 v38, v38, 23, v48
	v_or3_b32 v38, v40, v38, v42
	v_lshrrev_b32_e32 v63, 16, v38
.LBB918_307:                            ;   in Loop: Header=BB918_213 Depth=1
	s_or_b64 exec, exec, s[18:19]
.LBB918_308:                            ;   in Loop: Header=BB918_213 Depth=1
	s_or_b64 exec, exec, s[16:17]
.LBB918_309:                            ;   in Loop: Header=BB918_213 Depth=1
	s_or_b64 exec, exec, s[14:15]
	v_perm_b32 v64, v46, v44, s27
	buffer_load_dword v44, v61, s[0:3], 0 offen
	buffer_load_dword v42, v61, s[0:3], 0 offen offset:4
	buffer_load_dword v40, v61, s[0:3], 0 offen offset:8
	;; [unrolled: 1-line block ×3, first 2 shown]
	v_perm_b32 v65, v52, v50, s27
	v_perm_b32 v63, v63, v62, s27
	;; [unrolled: 1-line block ×3, first 2 shown]
	v_mfma_f32_16x16x16bf16_1k v[34:37], v[64:65], v[6:7], v[34:37]
	s_waitcnt vmcnt(3)
	v_cmp_ne_u16_sdwa s[16:17], v44, v47 src0_sel:BYTE_0 src1_sel:DWORD
	v_mfma_f32_16x16x16bf16_1k v[34:37], v[62:63], v[8:9], v[34:37]
	s_and_saveexec_b64 s[14:15], s[16:17]
	s_cbranch_execz .LBB918_315
; %bb.310:                              ;   in Loop: Header=BB918_213 Depth=1
	v_cmp_ne_u16_sdwa s[18:19], v44, s9 src0_sel:BYTE_0 src1_sel:DWORD
	v_mov_b32_e32 v49, 0xffff8000
	s_and_saveexec_b64 s[16:17], s[18:19]
	s_cbranch_execz .LBB918_314
; %bb.311:                              ;   in Loop: Header=BB918_213 Depth=1
	v_and_b32_e32 v46, 0x7f, v44
	v_cmp_ne_u32_e32 vcc, s23, v46
	v_mov_b32_e32 v49, 0x7f80
	s_and_saveexec_b64 s[18:19], vcc
	s_cbranch_execz .LBB918_313
; %bb.312:                              ;   in Loop: Header=BB918_213 Depth=1
	v_and_b32_e32 v49, 7, v44
	v_ffbh_u32_e32 v50, v49
	v_min_u32_e32 v53, 32, v50
	v_subrev_u32_e32 v50, 28, v53
	v_lshlrev_b64 v[50:51], v50, v[44:45]
	v_lshrrev_b32_e32 v52, 3, v46
	v_sub_u32_e32 v51, 29, v53
	v_and_b32_e32 v50, 7, v50
	v_cmp_gt_u32_e32 vcc, 8, v46
	v_cndmask_b32_e32 v46, v52, v51, vcc
	v_cndmask_b32_e32 v49, v49, v50, vcc
	v_lshlrev_b32_e32 v50, 24, v44
	v_lshlrev_b32_e32 v49, 20, v49
	v_and_b32_e32 v50, 0x80000000, v50
	v_lshl_add_u32 v46, v46, 23, v48
	v_or3_b32 v46, v50, v46, v49
	v_lshrrev_b32_e32 v49, 16, v46
.LBB918_313:                            ;   in Loop: Header=BB918_213 Depth=1
	s_or_b64 exec, exec, s[18:19]
.LBB918_314:                            ;   in Loop: Header=BB918_213 Depth=1
	s_or_b64 exec, exec, s[16:17]
.LBB918_315:                            ;   in Loop: Header=BB918_213 Depth=1
	s_or_b64 exec, exec, s[14:15]
	v_lshrrev_b16_e32 v46, 8, v44
	v_cmp_ne_u16_e32 vcc, 0, v46
	v_mov_b32_e32 v51, 0
	v_mov_b32_e32 v50, 0
	s_and_saveexec_b64 s[14:15], vcc
	s_cbranch_execz .LBB918_321
; %bb.316:                              ;   in Loop: Header=BB918_213 Depth=1
	v_cmp_ne_u16_e32 vcc, s9, v46
	v_mov_b32_e32 v50, 0xffff8000
	s_and_saveexec_b64 s[16:17], vcc
	s_cbranch_execz .LBB918_320
; %bb.317:                              ;   in Loop: Header=BB918_213 Depth=1
	v_and_b32_e32 v52, 0x7f, v46
	v_cmp_ne_u32_e32 vcc, s23, v52
	v_mov_b32_e32 v50, 0x7f80
	s_and_saveexec_b64 s[18:19], vcc
	s_cbranch_execz .LBB918_319
; %bb.318:                              ;   in Loop: Header=BB918_213 Depth=1
	v_and_b32_e32 v50, 7, v46
	v_ffbh_u32_e32 v61, v50
	v_min_u32_e32 v61, 32, v61
	v_subrev_u32_e32 v62, 28, v61
	v_lshlrev_b64 v[62:63], v62, v[46:47]
	v_lshrrev_b32_e32 v53, 3, v52
	v_sub_u32_e32 v46, 29, v61
	v_and_b32_e32 v61, 7, v62
	v_cmp_gt_u32_e32 vcc, 8, v52
	v_cndmask_b32_e32 v46, v53, v46, vcc
	v_cndmask_b32_e32 v50, v50, v61, vcc
	v_lshlrev_b32_e32 v52, 16, v44
	v_lshlrev_b32_e32 v50, 20, v50
	v_and_b32_e32 v52, 0x80000000, v52
	v_lshl_add_u32 v46, v46, 23, v48
	v_or3_b32 v46, v52, v46, v50
	v_lshrrev_b32_e32 v50, 16, v46
.LBB918_319:                            ;   in Loop: Header=BB918_213 Depth=1
	s_or_b64 exec, exec, s[18:19]
.LBB918_320:                            ;   in Loop: Header=BB918_213 Depth=1
	s_or_b64 exec, exec, s[16:17]
.LBB918_321:                            ;   in Loop: Header=BB918_213 Depth=1
	s_or_b64 exec, exec, s[14:15]
	v_lshrrev_b32_e32 v46, 16, v44
	v_cmp_ne_u16_sdwa s[16:17], v46, v47 src0_sel:BYTE_0 src1_sel:DWORD
	s_and_saveexec_b64 s[14:15], s[16:17]
	s_cbranch_execz .LBB918_327
; %bb.322:                              ;   in Loop: Header=BB918_213 Depth=1
	v_cmp_ne_u16_sdwa s[18:19], v46, s9 src0_sel:BYTE_0 src1_sel:DWORD
	v_mov_b32_e32 v51, 0xffff8000
	s_and_saveexec_b64 s[16:17], s[18:19]
	s_cbranch_execz .LBB918_326
; %bb.323:                              ;   in Loop: Header=BB918_213 Depth=1
	v_bfe_u32 v52, v44, 16, 7
	v_cmp_ne_u32_e32 vcc, s23, v52
	v_mov_b32_e32 v51, 0x7f80
	s_and_saveexec_b64 s[18:19], vcc
	s_cbranch_execz .LBB918_325
; %bb.324:                              ;   in Loop: Header=BB918_213 Depth=1
	v_and_b32_e32 v51, 7, v46
	v_ffbh_u32_e32 v61, v51
	v_min_u32_e32 v61, 32, v61
	v_subrev_u32_e32 v62, 28, v61
	v_lshlrev_b64 v[62:63], v62, v[46:47]
	v_lshrrev_b32_e32 v53, 3, v52
	v_sub_u32_e32 v61, 29, v61
	v_and_b32_e32 v62, 7, v62
	v_cmp_gt_u32_e32 vcc, 8, v52
	v_cndmask_b32_e32 v52, v53, v61, vcc
	v_cndmask_b32_e32 v51, v51, v62, vcc
	v_lshlrev_b32_e32 v46, 24, v46
	v_lshlrev_b32_e32 v51, 20, v51
	v_and_b32_e32 v46, 0x80000000, v46
	v_lshl_add_u32 v52, v52, 23, v48
	v_or3_b32 v46, v46, v52, v51
	v_lshrrev_b32_e32 v51, 16, v46
.LBB918_325:                            ;   in Loop: Header=BB918_213 Depth=1
	s_or_b64 exec, exec, s[18:19]
.LBB918_326:                            ;   in Loop: Header=BB918_213 Depth=1
	s_or_b64 exec, exec, s[16:17]
.LBB918_327:                            ;   in Loop: Header=BB918_213 Depth=1
	s_or_b64 exec, exec, s[14:15]
	v_cmp_lt_u32_e32 vcc, s26, v44
	v_mov_b32_e32 v52, 0
	v_mov_b32_e32 v53, 0
	s_and_saveexec_b64 s[14:15], vcc
	s_cbranch_execz .LBB918_333
; %bb.328:                              ;   in Loop: Header=BB918_213 Depth=1
	v_lshrrev_b32_e32 v46, 24, v44
	v_cmp_ne_u32_e32 vcc, s9, v46
	v_mov_b32_e32 v53, 0xffff8000
	s_and_saveexec_b64 s[16:17], vcc
	s_cbranch_execz .LBB918_332
; %bb.329:                              ;   in Loop: Header=BB918_213 Depth=1
	v_bfe_u32 v44, v44, 24, 7
	v_cmp_ne_u32_e32 vcc, s23, v44
	v_mov_b32_e32 v53, 0x7f80
	s_and_saveexec_b64 s[18:19], vcc
	s_cbranch_execz .LBB918_331
; %bb.330:                              ;   in Loop: Header=BB918_213 Depth=1
	v_and_b32_e32 v53, 7, v46
	v_ffbh_u32_e32 v62, v53
	v_min_u32_e32 v64, 32, v62
	v_subrev_u32_e32 v62, 28, v64
	v_lshlrev_b64 v[62:63], v62, v[46:47]
	v_lshrrev_b32_e32 v61, 3, v44
	v_sub_u32_e32 v63, 29, v64
	v_and_b32_e32 v62, 7, v62
	v_cmp_gt_u32_e32 vcc, 8, v44
	v_cndmask_b32_e32 v44, v61, v63, vcc
	v_cndmask_b32_e32 v53, v53, v62, vcc
	v_lshlrev_b32_e32 v46, 24, v46
	v_lshlrev_b32_e32 v53, 20, v53
	v_and_b32_e32 v46, 0x80000000, v46
	v_lshl_add_u32 v44, v44, 23, v48
	v_or3_b32 v44, v46, v44, v53
	v_lshrrev_b32_e32 v53, 16, v44
.LBB918_331:                            ;   in Loop: Header=BB918_213 Depth=1
	s_or_b64 exec, exec, s[18:19]
.LBB918_332:                            ;   in Loop: Header=BB918_213 Depth=1
	s_or_b64 exec, exec, s[16:17]
.LBB918_333:                            ;   in Loop: Header=BB918_213 Depth=1
	s_or_b64 exec, exec, s[14:15]
	s_waitcnt vmcnt(2)
	v_cmp_ne_u16_sdwa s[16:17], v42, v47 src0_sel:BYTE_0 src1_sel:DWORD
	s_and_saveexec_b64 s[14:15], s[16:17]
	s_cbranch_execz .LBB918_339
; %bb.334:                              ;   in Loop: Header=BB918_213 Depth=1
	v_cmp_ne_u16_sdwa s[18:19], v42, s9 src0_sel:BYTE_0 src1_sel:DWORD
	v_mov_b32_e32 v52, 0xffff8000
	s_and_saveexec_b64 s[16:17], s[18:19]
	s_cbranch_execz .LBB918_338
; %bb.335:                              ;   in Loop: Header=BB918_213 Depth=1
	v_and_b32_e32 v44, 0x7f, v42
	v_cmp_ne_u32_e32 vcc, s23, v44
	v_mov_b32_e32 v52, 0x7f80
	s_and_saveexec_b64 s[18:19], vcc
	s_cbranch_execz .LBB918_337
; %bb.336:                              ;   in Loop: Header=BB918_213 Depth=1
	v_and_b32_e32 v46, 7, v42
	v_ffbh_u32_e32 v61, v46
	v_min_u32_e32 v61, 32, v61
	v_subrev_u32_e32 v62, 28, v61
	v_lshlrev_b64 v[62:63], v62, v[42:43]
	v_lshrrev_b32_e32 v52, 3, v44
	v_sub_u32_e32 v61, 29, v61
	v_and_b32_e32 v62, 7, v62
	v_cmp_gt_u32_e32 vcc, 8, v44
	v_cndmask_b32_e32 v44, v52, v61, vcc
	v_cndmask_b32_e32 v46, v46, v62, vcc
	v_lshlrev_b32_e32 v52, 24, v42
	v_lshlrev_b32_e32 v46, 20, v46
	v_and_b32_e32 v52, 0x80000000, v52
	v_lshl_add_u32 v44, v44, 23, v48
	v_or3_b32 v44, v52, v44, v46
	v_lshrrev_b32_e32 v52, 16, v44
.LBB918_337:                            ;   in Loop: Header=BB918_213 Depth=1
	s_or_b64 exec, exec, s[18:19]
.LBB918_338:                            ;   in Loop: Header=BB918_213 Depth=1
	s_or_b64 exec, exec, s[16:17]
.LBB918_339:                            ;   in Loop: Header=BB918_213 Depth=1
	s_or_b64 exec, exec, s[14:15]
	v_lshrrev_b16_e32 v44, 8, v42
	v_cmp_ne_u16_e32 vcc, 0, v44
	v_mov_b32_e32 v62, 0
	v_mov_b32_e32 v61, 0
	s_and_saveexec_b64 s[14:15], vcc
	s_cbranch_execz .LBB918_345
; %bb.340:                              ;   in Loop: Header=BB918_213 Depth=1
	v_cmp_ne_u16_e32 vcc, s9, v44
	v_mov_b32_e32 v61, 0xffff8000
	s_and_saveexec_b64 s[16:17], vcc
	s_cbranch_execz .LBB918_344
; %bb.341:                              ;   in Loop: Header=BB918_213 Depth=1
	v_and_b32_e32 v46, 0x7f, v44
	v_cmp_ne_u32_e32 vcc, s23, v46
	v_mov_b32_e32 v61, 0x7f80
	s_and_saveexec_b64 s[18:19], vcc
	s_cbranch_execz .LBB918_343
; %bb.342:                              ;   in Loop: Header=BB918_213 Depth=1
	v_and_b32_e32 v61, 7, v44
	v_ffbh_u32_e32 v64, v61
	v_min_u32_e32 v66, 32, v64
	v_subrev_u32_e32 v64, 28, v66
	v_lshlrev_b64 v[64:65], v64, v[44:45]
	v_lshrrev_b32_e32 v63, 3, v46
	v_sub_u32_e32 v44, 29, v66
	v_and_b32_e32 v64, 7, v64
	v_cmp_gt_u32_e32 vcc, 8, v46
	v_cndmask_b32_e32 v44, v63, v44, vcc
	v_cndmask_b32_e32 v46, v61, v64, vcc
	v_lshlrev_b32_e32 v61, 16, v42
	v_lshlrev_b32_e32 v46, 20, v46
	v_and_b32_e32 v61, 0x80000000, v61
	v_lshl_add_u32 v44, v44, 23, v48
	v_or3_b32 v44, v61, v44, v46
	v_lshrrev_b32_e32 v61, 16, v44
.LBB918_343:                            ;   in Loop: Header=BB918_213 Depth=1
	s_or_b64 exec, exec, s[18:19]
.LBB918_344:                            ;   in Loop: Header=BB918_213 Depth=1
	s_or_b64 exec, exec, s[16:17]
.LBB918_345:                            ;   in Loop: Header=BB918_213 Depth=1
	s_or_b64 exec, exec, s[14:15]
	v_lshrrev_b32_e32 v44, 16, v42
	v_cmp_ne_u16_sdwa s[16:17], v44, v47 src0_sel:BYTE_0 src1_sel:DWORD
	s_and_saveexec_b64 s[14:15], s[16:17]
	s_cbranch_execz .LBB918_351
; %bb.346:                              ;   in Loop: Header=BB918_213 Depth=1
	v_cmp_ne_u16_sdwa s[18:19], v44, s9 src0_sel:BYTE_0 src1_sel:DWORD
	v_mov_b32_e32 v62, 0xffff8000
	s_and_saveexec_b64 s[16:17], s[18:19]
	s_cbranch_execz .LBB918_350
; %bb.347:                              ;   in Loop: Header=BB918_213 Depth=1
	v_bfe_u32 v46, v42, 16, 7
	v_cmp_ne_u32_e32 vcc, s23, v46
	v_mov_b32_e32 v62, 0x7f80
	s_and_saveexec_b64 s[18:19], vcc
	s_cbranch_execz .LBB918_349
; %bb.348:                              ;   in Loop: Header=BB918_213 Depth=1
	v_and_b32_e32 v64, 7, v44
	v_ffbh_u32_e32 v62, v64
	v_min_u32_e32 v66, 32, v62
	v_subrev_u32_e32 v62, 28, v66
	v_lshlrev_b64 v[62:63], v62, v[44:45]
	v_lshrrev_b32_e32 v65, 3, v46
	v_sub_u32_e32 v63, 29, v66
	v_and_b32_e32 v62, 7, v62
	v_cmp_gt_u32_e32 vcc, 8, v46
	v_cndmask_b32_e32 v46, v65, v63, vcc
	v_cndmask_b32_e32 v62, v64, v62, vcc
	v_lshlrev_b32_e32 v44, 24, v44
	v_lshlrev_b32_e32 v62, 20, v62
	v_and_b32_e32 v44, 0x80000000, v44
	v_lshl_add_u32 v46, v46, 23, v48
	v_or3_b32 v44, v44, v46, v62
	v_lshrrev_b32_e32 v62, 16, v44
.LBB918_349:                            ;   in Loop: Header=BB918_213 Depth=1
	s_or_b64 exec, exec, s[18:19]
.LBB918_350:                            ;   in Loop: Header=BB918_213 Depth=1
	s_or_b64 exec, exec, s[16:17]
.LBB918_351:                            ;   in Loop: Header=BB918_213 Depth=1
	s_or_b64 exec, exec, s[14:15]
	v_cmp_lt_u32_e32 vcc, s26, v42
	v_mov_b32_e32 v46, 0
	v_mov_b32_e32 v63, 0
	s_and_saveexec_b64 s[14:15], vcc
	s_cbranch_execz .LBB918_357
; %bb.352:                              ;   in Loop: Header=BB918_213 Depth=1
	v_lshrrev_b32_e32 v44, 24, v42
	v_cmp_ne_u32_e32 vcc, s9, v44
	v_mov_b32_e32 v63, 0xffff8000
	s_and_saveexec_b64 s[16:17], vcc
	s_cbranch_execz .LBB918_356
; %bb.353:                              ;   in Loop: Header=BB918_213 Depth=1
	v_bfe_u32 v42, v42, 24, 7
	v_cmp_ne_u32_e32 vcc, s23, v42
	v_mov_b32_e32 v63, 0x7f80
	s_and_saveexec_b64 s[18:19], vcc
	s_cbranch_execz .LBB918_355
; %bb.354:                              ;   in Loop: Header=BB918_213 Depth=1
	v_and_b32_e32 v63, 7, v44
	v_ffbh_u32_e32 v64, v63
	v_min_u32_e32 v67, 32, v64
	v_subrev_u32_e32 v64, 28, v67
	v_lshlrev_b64 v[64:65], v64, v[44:45]
	v_lshrrev_b32_e32 v66, 3, v42
	v_sub_u32_e32 v65, 29, v67
	v_and_b32_e32 v64, 7, v64
	v_cmp_gt_u32_e32 vcc, 8, v42
	v_cndmask_b32_e32 v42, v66, v65, vcc
	v_cndmask_b32_e32 v63, v63, v64, vcc
	v_lshlrev_b32_e32 v44, 24, v44
	v_lshlrev_b32_e32 v63, 20, v63
	v_and_b32_e32 v44, 0x80000000, v44
	v_lshl_add_u32 v42, v42, 23, v48
	v_or3_b32 v42, v44, v42, v63
	v_lshrrev_b32_e32 v63, 16, v42
.LBB918_355:                            ;   in Loop: Header=BB918_213 Depth=1
	s_or_b64 exec, exec, s[18:19]
.LBB918_356:                            ;   in Loop: Header=BB918_213 Depth=1
	s_or_b64 exec, exec, s[16:17]
.LBB918_357:                            ;   in Loop: Header=BB918_213 Depth=1
	s_or_b64 exec, exec, s[14:15]
	v_perm_b32 v51, v53, v51, s27
	v_perm_b32 v50, v50, v49, s27
	s_waitcnt vmcnt(1)
	v_cmp_ne_u16_sdwa s[16:17], v40, v47 src0_sel:BYTE_0 src1_sel:DWORD
	v_mfma_f32_16x16x16bf16_1k v[34:37], v[50:51], v[10:11], v[34:37]
	v_perm_b32 v51, v63, v62, s27
	v_perm_b32 v50, v61, v52, s27
	s_nop 1
	v_mfma_f32_16x16x16bf16_1k v[34:37], v[50:51], v[12:13], v[34:37]
	s_and_saveexec_b64 s[14:15], s[16:17]
	s_cbranch_execz .LBB918_363
; %bb.358:                              ;   in Loop: Header=BB918_213 Depth=1
	v_cmp_ne_u16_sdwa s[18:19], v40, s9 src0_sel:BYTE_0 src1_sel:DWORD
	v_mov_b32_e32 v46, 0xffff8000
	s_and_saveexec_b64 s[16:17], s[18:19]
	s_cbranch_execz .LBB918_362
; %bb.359:                              ;   in Loop: Header=BB918_213 Depth=1
	v_and_b32_e32 v42, 0x7f, v40
	v_cmp_ne_u32_e32 vcc, s23, v42
	v_mov_b32_e32 v46, 0x7f80
	s_and_saveexec_b64 s[18:19], vcc
	s_cbranch_execz .LBB918_361
; %bb.360:                              ;   in Loop: Header=BB918_213 Depth=1
	v_and_b32_e32 v44, 7, v40
	v_ffbh_u32_e32 v49, v44
	v_min_u32_e32 v49, 32, v49
	v_subrev_u32_e32 v50, 28, v49
	v_lshlrev_b64 v[50:51], v50, v[40:41]
	v_lshrrev_b32_e32 v46, 3, v42
	v_sub_u32_e32 v49, 29, v49
	v_and_b32_e32 v50, 7, v50
	v_cmp_gt_u32_e32 vcc, 8, v42
	v_cndmask_b32_e32 v42, v46, v49, vcc
	v_cndmask_b32_e32 v44, v44, v50, vcc
	v_lshlrev_b32_e32 v46, 24, v40
	v_lshlrev_b32_e32 v44, 20, v44
	v_and_b32_e32 v46, 0x80000000, v46
	v_lshl_add_u32 v42, v42, 23, v48
	v_or3_b32 v42, v46, v42, v44
	v_lshrrev_b32_e32 v46, 16, v42
.LBB918_361:                            ;   in Loop: Header=BB918_213 Depth=1
	s_or_b64 exec, exec, s[18:19]
.LBB918_362:                            ;   in Loop: Header=BB918_213 Depth=1
	s_or_b64 exec, exec, s[16:17]
.LBB918_363:                            ;   in Loop: Header=BB918_213 Depth=1
	s_or_b64 exec, exec, s[14:15]
	v_lshrrev_b16_e32 v42, 8, v40
	v_cmp_ne_u16_e32 vcc, 0, v42
	v_mov_b32_e32 v50, 0
	v_mov_b32_e32 v44, 0
	s_and_saveexec_b64 s[14:15], vcc
	s_cbranch_execz .LBB918_369
; %bb.364:                              ;   in Loop: Header=BB918_213 Depth=1
	v_cmp_ne_u16_e32 vcc, s9, v42
	v_mov_b32_e32 v44, 0xffff8000
	s_and_saveexec_b64 s[16:17], vcc
	s_cbranch_execz .LBB918_368
; %bb.365:                              ;   in Loop: Header=BB918_213 Depth=1
	v_and_b32_e32 v49, 0x7f, v42
	v_cmp_ne_u32_e32 vcc, s23, v49
	v_mov_b32_e32 v44, 0x7f80
	s_and_saveexec_b64 s[18:19], vcc
	s_cbranch_execz .LBB918_367
; %bb.366:                              ;   in Loop: Header=BB918_213 Depth=1
	v_and_b32_e32 v44, 7, v42
	v_ffbh_u32_e32 v52, v44
	v_min_u32_e32 v61, 32, v52
	v_subrev_u32_e32 v52, 28, v61
	v_lshlrev_b64 v[52:53], v52, v[42:43]
	v_lshrrev_b32_e32 v51, 3, v49
	v_sub_u32_e32 v42, 29, v61
	v_and_b32_e32 v52, 7, v52
	v_cmp_gt_u32_e32 vcc, 8, v49
	v_cndmask_b32_e32 v42, v51, v42, vcc
	v_cndmask_b32_e32 v44, v44, v52, vcc
	v_lshlrev_b32_e32 v49, 16, v40
	v_lshlrev_b32_e32 v44, 20, v44
	v_and_b32_e32 v49, 0x80000000, v49
	v_lshl_add_u32 v42, v42, 23, v48
	v_or3_b32 v42, v49, v42, v44
	v_lshrrev_b32_e32 v44, 16, v42
.LBB918_367:                            ;   in Loop: Header=BB918_213 Depth=1
	s_or_b64 exec, exec, s[18:19]
.LBB918_368:                            ;   in Loop: Header=BB918_213 Depth=1
	s_or_b64 exec, exec, s[16:17]
.LBB918_369:                            ;   in Loop: Header=BB918_213 Depth=1
	s_or_b64 exec, exec, s[14:15]
	v_lshrrev_b32_e32 v42, 16, v40
	v_cmp_ne_u16_sdwa s[16:17], v42, v47 src0_sel:BYTE_0 src1_sel:DWORD
	s_and_saveexec_b64 s[14:15], s[16:17]
	s_cbranch_execz .LBB918_375
; %bb.370:                              ;   in Loop: Header=BB918_213 Depth=1
	v_cmp_ne_u16_sdwa s[18:19], v42, s9 src0_sel:BYTE_0 src1_sel:DWORD
	v_mov_b32_e32 v50, 0xffff8000
	s_and_saveexec_b64 s[16:17], s[18:19]
	s_cbranch_execz .LBB918_374
; %bb.371:                              ;   in Loop: Header=BB918_213 Depth=1
	v_bfe_u32 v49, v40, 16, 7
	v_cmp_ne_u32_e32 vcc, s23, v49
	v_mov_b32_e32 v50, 0x7f80
	s_and_saveexec_b64 s[18:19], vcc
	s_cbranch_execz .LBB918_373
; %bb.372:                              ;   in Loop: Header=BB918_213 Depth=1
	v_and_b32_e32 v52, 7, v42
	v_ffbh_u32_e32 v50, v52
	v_min_u32_e32 v61, 32, v50
	v_subrev_u32_e32 v50, 28, v61
	v_lshlrev_b64 v[50:51], v50, v[42:43]
	v_lshrrev_b32_e32 v53, 3, v49
	v_sub_u32_e32 v51, 29, v61
	v_and_b32_e32 v50, 7, v50
	v_cmp_gt_u32_e32 vcc, 8, v49
	v_cndmask_b32_e32 v49, v53, v51, vcc
	v_cndmask_b32_e32 v50, v52, v50, vcc
	v_lshlrev_b32_e32 v42, 24, v42
	v_lshlrev_b32_e32 v50, 20, v50
	v_and_b32_e32 v42, 0x80000000, v42
	v_lshl_add_u32 v49, v49, 23, v48
	v_or3_b32 v42, v42, v49, v50
	v_lshrrev_b32_e32 v50, 16, v42
.LBB918_373:                            ;   in Loop: Header=BB918_213 Depth=1
	s_or_b64 exec, exec, s[18:19]
.LBB918_374:                            ;   in Loop: Header=BB918_213 Depth=1
	s_or_b64 exec, exec, s[16:17]
.LBB918_375:                            ;   in Loop: Header=BB918_213 Depth=1
	s_or_b64 exec, exec, s[14:15]
	v_cmp_lt_u32_e32 vcc, s26, v40
	v_mov_b32_e32 v51, 0
	v_mov_b32_e32 v52, 0
	s_and_saveexec_b64 s[14:15], vcc
	s_cbranch_execz .LBB918_381
; %bb.376:                              ;   in Loop: Header=BB918_213 Depth=1
	v_lshrrev_b32_e32 v42, 24, v40
	v_cmp_ne_u32_e32 vcc, s9, v42
	v_mov_b32_e32 v52, 0xffff8000
	s_and_saveexec_b64 s[16:17], vcc
	s_cbranch_execz .LBB918_380
; %bb.377:                              ;   in Loop: Header=BB918_213 Depth=1
	v_bfe_u32 v40, v40, 24, 7
	v_cmp_ne_u32_e32 vcc, s23, v40
	v_mov_b32_e32 v52, 0x7f80
	s_and_saveexec_b64 s[18:19], vcc
	s_cbranch_execz .LBB918_379
; %bb.378:                              ;   in Loop: Header=BB918_213 Depth=1
	v_and_b32_e32 v49, 7, v42
	v_ffbh_u32_e32 v52, v49
	v_min_u32_e32 v62, 32, v52
	v_subrev_u32_e32 v52, 28, v62
	v_lshlrev_b64 v[52:53], v52, v[42:43]
	v_lshrrev_b32_e32 v61, 3, v40
	v_sub_u32_e32 v53, 29, v62
	v_and_b32_e32 v52, 7, v52
	v_cmp_gt_u32_e32 vcc, 8, v40
	v_cndmask_b32_e32 v40, v61, v53, vcc
	v_cndmask_b32_e32 v49, v49, v52, vcc
	v_lshlrev_b32_e32 v42, 24, v42
	v_lshlrev_b32_e32 v49, 20, v49
	v_and_b32_e32 v42, 0x80000000, v42
	v_lshl_add_u32 v40, v40, 23, v48
	v_or3_b32 v40, v42, v40, v49
	v_lshrrev_b32_e32 v52, 16, v40
.LBB918_379:                            ;   in Loop: Header=BB918_213 Depth=1
	s_or_b64 exec, exec, s[18:19]
.LBB918_380:                            ;   in Loop: Header=BB918_213 Depth=1
	s_or_b64 exec, exec, s[16:17]
.LBB918_381:                            ;   in Loop: Header=BB918_213 Depth=1
	s_or_b64 exec, exec, s[14:15]
	s_waitcnt vmcnt(0)
	v_cmp_ne_u16_sdwa s[16:17], v38, v47 src0_sel:BYTE_0 src1_sel:DWORD
	s_and_saveexec_b64 s[14:15], s[16:17]
	s_cbranch_execz .LBB918_387
; %bb.382:                              ;   in Loop: Header=BB918_213 Depth=1
	v_cmp_ne_u16_sdwa s[18:19], v38, s9 src0_sel:BYTE_0 src1_sel:DWORD
	v_mov_b32_e32 v51, 0xffff8000
	s_and_saveexec_b64 s[16:17], s[18:19]
	s_cbranch_execz .LBB918_386
; %bb.383:                              ;   in Loop: Header=BB918_213 Depth=1
	v_and_b32_e32 v40, 0x7f, v38
	v_cmp_ne_u32_e32 vcc, s23, v40
	v_mov_b32_e32 v51, 0x7f80
	s_and_saveexec_b64 s[18:19], vcc
	s_cbranch_execz .LBB918_385
; %bb.384:                              ;   in Loop: Header=BB918_213 Depth=1
	v_and_b32_e32 v42, 7, v38
	v_ffbh_u32_e32 v51, v42
	v_min_u32_e32 v51, 32, v51
	v_subrev_u32_e32 v53, 28, v51
	v_lshlrev_b64 v[62:63], v53, v[38:39]
	v_lshrrev_b32_e32 v49, 3, v40
	v_sub_u32_e32 v51, 29, v51
	v_and_b32_e32 v53, 7, v62
	v_cmp_gt_u32_e32 vcc, 8, v40
	v_cndmask_b32_e32 v40, v49, v51, vcc
	v_cndmask_b32_e32 v42, v42, v53, vcc
	v_lshlrev_b32_e32 v49, 24, v38
	v_lshlrev_b32_e32 v42, 20, v42
	v_and_b32_e32 v49, 0x80000000, v49
	v_lshl_add_u32 v40, v40, 23, v48
	v_or3_b32 v40, v49, v40, v42
	v_lshrrev_b32_e32 v51, 16, v40
.LBB918_385:                            ;   in Loop: Header=BB918_213 Depth=1
	s_or_b64 exec, exec, s[18:19]
.LBB918_386:                            ;   in Loop: Header=BB918_213 Depth=1
	s_or_b64 exec, exec, s[16:17]
.LBB918_387:                            ;   in Loop: Header=BB918_213 Depth=1
	s_or_b64 exec, exec, s[14:15]
	v_lshrrev_b16_e32 v40, 8, v38
	v_cmp_ne_u16_e32 vcc, 0, v40
	v_mov_b32_e32 v61, 0
	v_mov_b32_e32 v53, 0
	s_and_saveexec_b64 s[14:15], vcc
	s_cbranch_execz .LBB918_393
; %bb.388:                              ;   in Loop: Header=BB918_213 Depth=1
	v_cmp_ne_u16_e32 vcc, s9, v40
	v_mov_b32_e32 v53, 0xffff8000
	s_and_saveexec_b64 s[16:17], vcc
	s_cbranch_execz .LBB918_392
; %bb.389:                              ;   in Loop: Header=BB918_213 Depth=1
	v_and_b32_e32 v42, 0x7f, v40
	v_cmp_ne_u32_e32 vcc, s23, v42
	v_mov_b32_e32 v53, 0x7f80
	s_and_saveexec_b64 s[18:19], vcc
	s_cbranch_execz .LBB918_391
; %bb.390:                              ;   in Loop: Header=BB918_213 Depth=1
	v_and_b32_e32 v49, 7, v40
	v_ffbh_u32_e32 v62, v49
	v_min_u32_e32 v64, 32, v62
	v_subrev_u32_e32 v62, 28, v64
	v_lshlrev_b64 v[62:63], v62, v[40:41]
	v_lshrrev_b32_e32 v53, 3, v42
	v_sub_u32_e32 v40, 29, v64
	v_and_b32_e32 v62, 7, v62
	v_cmp_gt_u32_e32 vcc, 8, v42
	v_cndmask_b32_e32 v40, v53, v40, vcc
	v_cndmask_b32_e32 v42, v49, v62, vcc
	v_lshlrev_b32_e32 v49, 16, v38
	v_lshlrev_b32_e32 v42, 20, v42
	v_and_b32_e32 v49, 0x80000000, v49
	v_lshl_add_u32 v40, v40, 23, v48
	v_or3_b32 v40, v49, v40, v42
	v_lshrrev_b32_e32 v53, 16, v40
.LBB918_391:                            ;   in Loop: Header=BB918_213 Depth=1
	s_or_b64 exec, exec, s[18:19]
.LBB918_392:                            ;   in Loop: Header=BB918_213 Depth=1
	s_or_b64 exec, exec, s[16:17]
.LBB918_393:                            ;   in Loop: Header=BB918_213 Depth=1
	s_or_b64 exec, exec, s[14:15]
	v_lshrrev_b32_e32 v40, 16, v38
	v_cmp_ne_u16_sdwa s[16:17], v40, v47 src0_sel:BYTE_0 src1_sel:DWORD
	s_and_saveexec_b64 s[14:15], s[16:17]
	s_cbranch_execz .LBB918_399
; %bb.394:                              ;   in Loop: Header=BB918_213 Depth=1
	v_cmp_ne_u16_sdwa s[18:19], v40, s9 src0_sel:BYTE_0 src1_sel:DWORD
	v_mov_b32_e32 v61, 0xffff8000
	s_and_saveexec_b64 s[16:17], s[18:19]
	s_cbranch_execz .LBB918_398
; %bb.395:                              ;   in Loop: Header=BB918_213 Depth=1
	v_bfe_u32 v42, v38, 16, 7
	v_cmp_ne_u32_e32 vcc, s23, v42
	v_mov_b32_e32 v61, 0x7f80
	s_and_saveexec_b64 s[18:19], vcc
	s_cbranch_execz .LBB918_397
; %bb.396:                              ;   in Loop: Header=BB918_213 Depth=1
	v_and_b32_e32 v49, 7, v40
	v_ffbh_u32_e32 v62, v49
	v_min_u32_e32 v64, 32, v62
	v_subrev_u32_e32 v62, 28, v64
	v_lshlrev_b64 v[62:63], v62, v[40:41]
	v_lshrrev_b32_e32 v61, 3, v42
	v_sub_u32_e32 v63, 29, v64
	v_and_b32_e32 v62, 7, v62
	v_cmp_gt_u32_e32 vcc, 8, v42
	v_cndmask_b32_e32 v42, v61, v63, vcc
	v_cndmask_b32_e32 v49, v49, v62, vcc
	v_lshlrev_b32_e32 v40, 24, v40
	v_lshlrev_b32_e32 v49, 20, v49
	v_and_b32_e32 v40, 0x80000000, v40
	v_lshl_add_u32 v42, v42, 23, v48
	v_or3_b32 v40, v40, v42, v49
	v_lshrrev_b32_e32 v61, 16, v40
.LBB918_397:                            ;   in Loop: Header=BB918_213 Depth=1
	s_or_b64 exec, exec, s[18:19]
.LBB918_398:                            ;   in Loop: Header=BB918_213 Depth=1
	s_or_b64 exec, exec, s[16:17]
.LBB918_399:                            ;   in Loop: Header=BB918_213 Depth=1
	s_or_b64 exec, exec, s[14:15]
	v_cmp_lt_u32_e32 vcc, s26, v38
	v_mov_b32_e32 v49, 0
	v_mov_b32_e32 v62, 0
	s_and_saveexec_b64 s[14:15], vcc
	s_cbranch_execz .LBB918_405
; %bb.400:                              ;   in Loop: Header=BB918_213 Depth=1
	v_lshrrev_b32_e32 v40, 24, v38
	v_cmp_ne_u32_e32 vcc, s9, v40
	v_mov_b32_e32 v62, 0xffff8000
	s_and_saveexec_b64 s[16:17], vcc
	s_cbranch_execz .LBB918_404
; %bb.401:                              ;   in Loop: Header=BB918_213 Depth=1
	v_bfe_u32 v38, v38, 24, 7
	v_cmp_ne_u32_e32 vcc, s23, v38
	v_mov_b32_e32 v62, 0x7f80
	s_and_saveexec_b64 s[18:19], vcc
	s_cbranch_execz .LBB918_403
; %bb.402:                              ;   in Loop: Header=BB918_213 Depth=1
	v_and_b32_e32 v42, 7, v40
	v_ffbh_u32_e32 v62, v42
	v_min_u32_e32 v65, 32, v62
	v_subrev_u32_e32 v62, 28, v65
	v_lshlrev_b64 v[62:63], v62, v[40:41]
	v_lshrrev_b32_e32 v64, 3, v38
	v_sub_u32_e32 v63, 29, v65
	v_and_b32_e32 v62, 7, v62
	v_cmp_gt_u32_e32 vcc, 8, v38
	v_cndmask_b32_e32 v38, v64, v63, vcc
	v_cndmask_b32_e32 v42, v42, v62, vcc
	v_lshlrev_b32_e32 v40, 24, v40
	v_lshlrev_b32_e32 v42, 20, v42
	v_and_b32_e32 v40, 0x80000000, v40
	v_lshl_add_u32 v38, v38, 23, v48
	v_or3_b32 v38, v40, v38, v42
	v_lshrrev_b32_e32 v62, 16, v38
.LBB918_403:                            ;   in Loop: Header=BB918_213 Depth=1
	s_or_b64 exec, exec, s[18:19]
.LBB918_404:                            ;   in Loop: Header=BB918_213 Depth=1
	s_or_b64 exec, exec, s[16:17]
.LBB918_405:                            ;   in Loop: Header=BB918_213 Depth=1
	s_or_b64 exec, exec, s[14:15]
	v_perm_b32 v64, v44, v46, s27
	buffer_load_dword v44, v60, s[0:3], 0 offen
	buffer_load_dword v42, v60, s[0:3], 0 offen offset:4
	buffer_load_dword v40, v60, s[0:3], 0 offen offset:8
	;; [unrolled: 1-line block ×3, first 2 shown]
	v_perm_b32 v65, v52, v50, s27
	v_perm_b32 v61, v62, v61, s27
	;; [unrolled: 1-line block ×3, first 2 shown]
	v_mfma_f32_16x16x16bf16_1k v[34:37], v[64:65], v[14:15], v[34:37]
	s_waitcnt vmcnt(3)
	v_cmp_ne_u16_sdwa s[16:17], v44, v47 src0_sel:BYTE_0 src1_sel:DWORD
	v_mfma_f32_16x16x16bf16_1k v[34:37], v[60:61], v[16:17], v[34:37]
	s_and_saveexec_b64 s[14:15], s[16:17]
	s_cbranch_execz .LBB918_411
; %bb.406:                              ;   in Loop: Header=BB918_213 Depth=1
	v_cmp_ne_u16_sdwa s[18:19], v44, s9 src0_sel:BYTE_0 src1_sel:DWORD
	v_mov_b32_e32 v49, 0xffff8000
	s_and_saveexec_b64 s[16:17], s[18:19]
	s_cbranch_execz .LBB918_410
; %bb.407:                              ;   in Loop: Header=BB918_213 Depth=1
	v_and_b32_e32 v46, 0x7f, v44
	v_cmp_ne_u32_e32 vcc, s23, v46
	v_mov_b32_e32 v49, 0x7f80
	s_and_saveexec_b64 s[18:19], vcc
	s_cbranch_execz .LBB918_409
; %bb.408:                              ;   in Loop: Header=BB918_213 Depth=1
	v_and_b32_e32 v49, 7, v44
	v_ffbh_u32_e32 v50, v49
	v_min_u32_e32 v53, 32, v50
	v_subrev_u32_e32 v50, 28, v53
	v_lshlrev_b64 v[50:51], v50, v[44:45]
	v_lshrrev_b32_e32 v52, 3, v46
	v_sub_u32_e32 v51, 29, v53
	v_and_b32_e32 v50, 7, v50
	v_cmp_gt_u32_e32 vcc, 8, v46
	v_cndmask_b32_e32 v46, v52, v51, vcc
	v_cndmask_b32_e32 v49, v49, v50, vcc
	v_lshlrev_b32_e32 v50, 24, v44
	v_lshlrev_b32_e32 v49, 20, v49
	v_and_b32_e32 v50, 0x80000000, v50
	v_lshl_add_u32 v46, v46, 23, v48
	v_or3_b32 v46, v50, v46, v49
	v_lshrrev_b32_e32 v49, 16, v46
.LBB918_409:                            ;   in Loop: Header=BB918_213 Depth=1
	s_or_b64 exec, exec, s[18:19]
.LBB918_410:                            ;   in Loop: Header=BB918_213 Depth=1
	s_or_b64 exec, exec, s[16:17]
.LBB918_411:                            ;   in Loop: Header=BB918_213 Depth=1
	s_or_b64 exec, exec, s[14:15]
	v_lshrrev_b16_e32 v46, 8, v44
	v_cmp_ne_u16_e32 vcc, 0, v46
	v_mov_b32_e32 v51, 0
	v_mov_b32_e32 v50, 0
	s_and_saveexec_b64 s[14:15], vcc
	s_cbranch_execz .LBB918_417
; %bb.412:                              ;   in Loop: Header=BB918_213 Depth=1
	v_cmp_ne_u16_e32 vcc, s9, v46
	v_mov_b32_e32 v50, 0xffff8000
	s_and_saveexec_b64 s[16:17], vcc
	s_cbranch_execz .LBB918_416
; %bb.413:                              ;   in Loop: Header=BB918_213 Depth=1
	v_and_b32_e32 v52, 0x7f, v46
	v_cmp_ne_u32_e32 vcc, s23, v52
	v_mov_b32_e32 v50, 0x7f80
	s_and_saveexec_b64 s[18:19], vcc
	s_cbranch_execz .LBB918_415
; %bb.414:                              ;   in Loop: Header=BB918_213 Depth=1
	v_and_b32_e32 v50, 7, v46
	v_ffbh_u32_e32 v60, v50
	v_min_u32_e32 v62, 32, v60
	v_subrev_u32_e32 v60, 28, v62
	v_lshlrev_b64 v[60:61], v60, v[46:47]
	v_lshrrev_b32_e32 v53, 3, v52
	v_sub_u32_e32 v46, 29, v62
	v_and_b32_e32 v60, 7, v60
	v_cmp_gt_u32_e32 vcc, 8, v52
	v_cndmask_b32_e32 v46, v53, v46, vcc
	v_cndmask_b32_e32 v50, v50, v60, vcc
	v_lshlrev_b32_e32 v52, 16, v44
	v_lshlrev_b32_e32 v50, 20, v50
	v_and_b32_e32 v52, 0x80000000, v52
	v_lshl_add_u32 v46, v46, 23, v48
	v_or3_b32 v46, v52, v46, v50
	v_lshrrev_b32_e32 v50, 16, v46
.LBB918_415:                            ;   in Loop: Header=BB918_213 Depth=1
	s_or_b64 exec, exec, s[18:19]
.LBB918_416:                            ;   in Loop: Header=BB918_213 Depth=1
	s_or_b64 exec, exec, s[16:17]
.LBB918_417:                            ;   in Loop: Header=BB918_213 Depth=1
	s_or_b64 exec, exec, s[14:15]
	v_lshrrev_b32_e32 v46, 16, v44
	v_cmp_ne_u16_sdwa s[16:17], v46, v47 src0_sel:BYTE_0 src1_sel:DWORD
	s_and_saveexec_b64 s[14:15], s[16:17]
	s_cbranch_execz .LBB918_423
; %bb.418:                              ;   in Loop: Header=BB918_213 Depth=1
	v_cmp_ne_u16_sdwa s[18:19], v46, s9 src0_sel:BYTE_0 src1_sel:DWORD
	v_mov_b32_e32 v51, 0xffff8000
	s_and_saveexec_b64 s[16:17], s[18:19]
	s_cbranch_execz .LBB918_422
; %bb.419:                              ;   in Loop: Header=BB918_213 Depth=1
	v_bfe_u32 v52, v44, 16, 7
	v_cmp_ne_u32_e32 vcc, s23, v52
	v_mov_b32_e32 v51, 0x7f80
	s_and_saveexec_b64 s[18:19], vcc
	s_cbranch_execz .LBB918_421
; %bb.420:                              ;   in Loop: Header=BB918_213 Depth=1
	v_and_b32_e32 v51, 7, v46
	v_ffbh_u32_e32 v60, v51
	v_min_u32_e32 v62, 32, v60
	v_subrev_u32_e32 v60, 28, v62
	v_lshlrev_b64 v[60:61], v60, v[46:47]
	v_lshrrev_b32_e32 v53, 3, v52
	v_sub_u32_e32 v61, 29, v62
	v_and_b32_e32 v60, 7, v60
	v_cmp_gt_u32_e32 vcc, 8, v52
	v_cndmask_b32_e32 v52, v53, v61, vcc
	v_cndmask_b32_e32 v51, v51, v60, vcc
	v_lshlrev_b32_e32 v46, 24, v46
	v_lshlrev_b32_e32 v51, 20, v51
	v_and_b32_e32 v46, 0x80000000, v46
	v_lshl_add_u32 v52, v52, 23, v48
	v_or3_b32 v46, v46, v52, v51
	v_lshrrev_b32_e32 v51, 16, v46
.LBB918_421:                            ;   in Loop: Header=BB918_213 Depth=1
	s_or_b64 exec, exec, s[18:19]
.LBB918_422:                            ;   in Loop: Header=BB918_213 Depth=1
	s_or_b64 exec, exec, s[16:17]
.LBB918_423:                            ;   in Loop: Header=BB918_213 Depth=1
	s_or_b64 exec, exec, s[14:15]
	v_cmp_lt_u32_e32 vcc, s26, v44
	v_mov_b32_e32 v52, 0
	v_mov_b32_e32 v53, 0
	s_and_saveexec_b64 s[14:15], vcc
	s_cbranch_execz .LBB918_429
; %bb.424:                              ;   in Loop: Header=BB918_213 Depth=1
	v_lshrrev_b32_e32 v46, 24, v44
	v_cmp_ne_u32_e32 vcc, s9, v46
	v_mov_b32_e32 v53, 0xffff8000
	s_and_saveexec_b64 s[16:17], vcc
	s_cbranch_execz .LBB918_428
; %bb.425:                              ;   in Loop: Header=BB918_213 Depth=1
	v_bfe_u32 v44, v44, 24, 7
	v_cmp_ne_u32_e32 vcc, s23, v44
	v_mov_b32_e32 v53, 0x7f80
	s_and_saveexec_b64 s[18:19], vcc
	s_cbranch_execz .LBB918_427
; %bb.426:                              ;   in Loop: Header=BB918_213 Depth=1
	v_and_b32_e32 v53, 7, v46
	v_ffbh_u32_e32 v60, v53
	v_min_u32_e32 v63, 32, v60
	v_subrev_u32_e32 v60, 28, v63
	v_lshlrev_b64 v[60:61], v60, v[46:47]
	v_lshrrev_b32_e32 v62, 3, v44
	v_sub_u32_e32 v61, 29, v63
	v_and_b32_e32 v60, 7, v60
	v_cmp_gt_u32_e32 vcc, 8, v44
	v_cndmask_b32_e32 v44, v62, v61, vcc
	v_cndmask_b32_e32 v53, v53, v60, vcc
	v_lshlrev_b32_e32 v46, 24, v46
	v_lshlrev_b32_e32 v53, 20, v53
	v_and_b32_e32 v46, 0x80000000, v46
	v_lshl_add_u32 v44, v44, 23, v48
	v_or3_b32 v44, v46, v44, v53
	v_lshrrev_b32_e32 v53, 16, v44
.LBB918_427:                            ;   in Loop: Header=BB918_213 Depth=1
	s_or_b64 exec, exec, s[18:19]
.LBB918_428:                            ;   in Loop: Header=BB918_213 Depth=1
	s_or_b64 exec, exec, s[16:17]
.LBB918_429:                            ;   in Loop: Header=BB918_213 Depth=1
	s_or_b64 exec, exec, s[14:15]
	s_waitcnt vmcnt(2)
	v_cmp_ne_u16_sdwa s[16:17], v42, v47 src0_sel:BYTE_0 src1_sel:DWORD
	s_and_saveexec_b64 s[14:15], s[16:17]
	s_cbranch_execz .LBB918_435
; %bb.430:                              ;   in Loop: Header=BB918_213 Depth=1
	v_cmp_ne_u16_sdwa s[18:19], v42, s9 src0_sel:BYTE_0 src1_sel:DWORD
	v_mov_b32_e32 v52, 0xffff8000
	s_and_saveexec_b64 s[16:17], s[18:19]
	s_cbranch_execz .LBB918_434
; %bb.431:                              ;   in Loop: Header=BB918_213 Depth=1
	v_and_b32_e32 v44, 0x7f, v42
	v_cmp_ne_u32_e32 vcc, s23, v44
	v_mov_b32_e32 v52, 0x7f80
	s_and_saveexec_b64 s[18:19], vcc
	s_cbranch_execz .LBB918_433
; %bb.432:                              ;   in Loop: Header=BB918_213 Depth=1
	v_and_b32_e32 v46, 7, v42
	v_ffbh_u32_e32 v60, v46
	v_min_u32_e32 v62, 32, v60
	v_subrev_u32_e32 v60, 28, v62
	v_lshlrev_b64 v[60:61], v60, v[42:43]
	v_lshrrev_b32_e32 v52, 3, v44
	v_sub_u32_e32 v61, 29, v62
	v_and_b32_e32 v60, 7, v60
	v_cmp_gt_u32_e32 vcc, 8, v44
	v_cndmask_b32_e32 v44, v52, v61, vcc
	v_cndmask_b32_e32 v46, v46, v60, vcc
	v_lshlrev_b32_e32 v52, 24, v42
	v_lshlrev_b32_e32 v46, 20, v46
	v_and_b32_e32 v52, 0x80000000, v52
	v_lshl_add_u32 v44, v44, 23, v48
	v_or3_b32 v44, v52, v44, v46
	v_lshrrev_b32_e32 v52, 16, v44
.LBB918_433:                            ;   in Loop: Header=BB918_213 Depth=1
	s_or_b64 exec, exec, s[18:19]
.LBB918_434:                            ;   in Loop: Header=BB918_213 Depth=1
	s_or_b64 exec, exec, s[16:17]
.LBB918_435:                            ;   in Loop: Header=BB918_213 Depth=1
	s_or_b64 exec, exec, s[14:15]
	v_lshrrev_b16_e32 v44, 8, v42
	v_cmp_ne_u16_e32 vcc, 0, v44
	v_mov_b32_e32 v61, 0
	v_mov_b32_e32 v60, 0
	s_and_saveexec_b64 s[14:15], vcc
	s_cbranch_execz .LBB918_441
; %bb.436:                              ;   in Loop: Header=BB918_213 Depth=1
	v_cmp_ne_u16_e32 vcc, s9, v44
	v_mov_b32_e32 v60, 0xffff8000
	s_and_saveexec_b64 s[16:17], vcc
	s_cbranch_execz .LBB918_440
; %bb.437:                              ;   in Loop: Header=BB918_213 Depth=1
	v_and_b32_e32 v46, 0x7f, v44
	v_cmp_ne_u32_e32 vcc, s23, v46
	v_mov_b32_e32 v60, 0x7f80
	s_and_saveexec_b64 s[18:19], vcc
	s_cbranch_execz .LBB918_439
; %bb.438:                              ;   in Loop: Header=BB918_213 Depth=1
	v_and_b32_e32 v60, 7, v44
	v_ffbh_u32_e32 v62, v60
	v_min_u32_e32 v65, 32, v62
	v_subrev_u32_e32 v62, 28, v65
	v_lshlrev_b64 v[62:63], v62, v[44:45]
	v_lshrrev_b32_e32 v64, 3, v46
	v_sub_u32_e32 v44, 29, v65
	v_and_b32_e32 v62, 7, v62
	v_cmp_gt_u32_e32 vcc, 8, v46
	v_cndmask_b32_e32 v44, v64, v44, vcc
	v_cndmask_b32_e32 v46, v60, v62, vcc
	v_lshlrev_b32_e32 v60, 16, v42
	v_lshlrev_b32_e32 v46, 20, v46
	v_and_b32_e32 v60, 0x80000000, v60
	v_lshl_add_u32 v44, v44, 23, v48
	v_or3_b32 v44, v60, v44, v46
	v_lshrrev_b32_e32 v60, 16, v44
.LBB918_439:                            ;   in Loop: Header=BB918_213 Depth=1
	s_or_b64 exec, exec, s[18:19]
.LBB918_440:                            ;   in Loop: Header=BB918_213 Depth=1
	s_or_b64 exec, exec, s[16:17]
.LBB918_441:                            ;   in Loop: Header=BB918_213 Depth=1
	s_or_b64 exec, exec, s[14:15]
	v_lshrrev_b32_e32 v44, 16, v42
	v_cmp_ne_u16_sdwa s[16:17], v44, v47 src0_sel:BYTE_0 src1_sel:DWORD
	s_and_saveexec_b64 s[14:15], s[16:17]
	s_cbranch_execz .LBB918_447
; %bb.442:                              ;   in Loop: Header=BB918_213 Depth=1
	v_cmp_ne_u16_sdwa s[18:19], v44, s9 src0_sel:BYTE_0 src1_sel:DWORD
	v_mov_b32_e32 v61, 0xffff8000
	s_and_saveexec_b64 s[16:17], s[18:19]
	s_cbranch_execz .LBB918_446
; %bb.443:                              ;   in Loop: Header=BB918_213 Depth=1
	v_bfe_u32 v46, v42, 16, 7
	v_cmp_ne_u32_e32 vcc, s23, v46
	v_mov_b32_e32 v61, 0x7f80
	s_and_saveexec_b64 s[18:19], vcc
	s_cbranch_execz .LBB918_445
; %bb.444:                              ;   in Loop: Header=BB918_213 Depth=1
	v_and_b32_e32 v61, 7, v44
	v_ffbh_u32_e32 v62, v61
	v_min_u32_e32 v65, 32, v62
	v_subrev_u32_e32 v62, 28, v65
	v_lshlrev_b64 v[62:63], v62, v[44:45]
	v_lshrrev_b32_e32 v64, 3, v46
	v_sub_u32_e32 v63, 29, v65
	v_and_b32_e32 v62, 7, v62
	v_cmp_gt_u32_e32 vcc, 8, v46
	v_cndmask_b32_e32 v46, v64, v63, vcc
	v_cndmask_b32_e32 v61, v61, v62, vcc
	v_lshlrev_b32_e32 v44, 24, v44
	v_lshlrev_b32_e32 v61, 20, v61
	v_and_b32_e32 v44, 0x80000000, v44
	v_lshl_add_u32 v46, v46, 23, v48
	v_or3_b32 v44, v44, v46, v61
	v_lshrrev_b32_e32 v61, 16, v44
.LBB918_445:                            ;   in Loop: Header=BB918_213 Depth=1
	s_or_b64 exec, exec, s[18:19]
.LBB918_446:                            ;   in Loop: Header=BB918_213 Depth=1
	s_or_b64 exec, exec, s[16:17]
.LBB918_447:                            ;   in Loop: Header=BB918_213 Depth=1
	s_or_b64 exec, exec, s[14:15]
	v_cmp_lt_u32_e32 vcc, s26, v42
	v_mov_b32_e32 v46, 0
	v_mov_b32_e32 v62, 0
	s_and_saveexec_b64 s[14:15], vcc
	s_cbranch_execz .LBB918_453
; %bb.448:                              ;   in Loop: Header=BB918_213 Depth=1
	v_lshrrev_b32_e32 v44, 24, v42
	v_cmp_ne_u32_e32 vcc, s9, v44
	v_mov_b32_e32 v62, 0xffff8000
	s_and_saveexec_b64 s[16:17], vcc
	s_cbranch_execz .LBB918_452
; %bb.449:                              ;   in Loop: Header=BB918_213 Depth=1
	v_bfe_u32 v42, v42, 24, 7
	v_cmp_ne_u32_e32 vcc, s23, v42
	v_mov_b32_e32 v62, 0x7f80
	s_and_saveexec_b64 s[18:19], vcc
	s_cbranch_execz .LBB918_451
; %bb.450:                              ;   in Loop: Header=BB918_213 Depth=1
	v_and_b32_e32 v64, 7, v44
	v_ffbh_u32_e32 v62, v64
	v_min_u32_e32 v66, 32, v62
	v_subrev_u32_e32 v62, 28, v66
	v_lshlrev_b64 v[62:63], v62, v[44:45]
	v_lshrrev_b32_e32 v65, 3, v42
	v_sub_u32_e32 v63, 29, v66
	v_and_b32_e32 v62, 7, v62
	v_cmp_gt_u32_e32 vcc, 8, v42
	v_cndmask_b32_e32 v42, v65, v63, vcc
	v_cndmask_b32_e32 v62, v64, v62, vcc
	v_lshlrev_b32_e32 v44, 24, v44
	v_lshlrev_b32_e32 v62, 20, v62
	v_and_b32_e32 v44, 0x80000000, v44
	v_lshl_add_u32 v42, v42, 23, v48
	v_or3_b32 v42, v44, v42, v62
	v_lshrrev_b32_e32 v62, 16, v42
.LBB918_451:                            ;   in Loop: Header=BB918_213 Depth=1
	s_or_b64 exec, exec, s[18:19]
.LBB918_452:                            ;   in Loop: Header=BB918_213 Depth=1
	s_or_b64 exec, exec, s[16:17]
.LBB918_453:                            ;   in Loop: Header=BB918_213 Depth=1
	s_or_b64 exec, exec, s[14:15]
	v_perm_b32 v51, v53, v51, s27
	v_perm_b32 v50, v50, v49, s27
	s_waitcnt vmcnt(1)
	v_cmp_ne_u16_sdwa s[16:17], v40, v47 src0_sel:BYTE_0 src1_sel:DWORD
	v_mfma_f32_16x16x16bf16_1k v[34:37], v[50:51], v[18:19], v[34:37]
	v_perm_b32 v51, v62, v61, s27
	v_perm_b32 v50, v60, v52, s27
	s_nop 1
	v_mfma_f32_16x16x16bf16_1k v[34:37], v[50:51], v[20:21], v[34:37]
	s_and_saveexec_b64 s[14:15], s[16:17]
	s_cbranch_execz .LBB918_459
; %bb.454:                              ;   in Loop: Header=BB918_213 Depth=1
	v_cmp_ne_u16_sdwa s[18:19], v40, s9 src0_sel:BYTE_0 src1_sel:DWORD
	v_mov_b32_e32 v46, 0xffff8000
	s_and_saveexec_b64 s[16:17], s[18:19]
	s_cbranch_execz .LBB918_458
; %bb.455:                              ;   in Loop: Header=BB918_213 Depth=1
	v_and_b32_e32 v42, 0x7f, v40
	v_cmp_ne_u32_e32 vcc, s23, v42
	v_mov_b32_e32 v46, 0x7f80
	s_and_saveexec_b64 s[18:19], vcc
	s_cbranch_execz .LBB918_457
; %bb.456:                              ;   in Loop: Header=BB918_213 Depth=1
	v_and_b32_e32 v44, 7, v40
	v_ffbh_u32_e32 v49, v44
	v_min_u32_e32 v49, 32, v49
	v_subrev_u32_e32 v50, 28, v49
	v_lshlrev_b64 v[50:51], v50, v[40:41]
	v_lshrrev_b32_e32 v46, 3, v42
	v_sub_u32_e32 v49, 29, v49
	v_and_b32_e32 v50, 7, v50
	v_cmp_gt_u32_e32 vcc, 8, v42
	v_cndmask_b32_e32 v42, v46, v49, vcc
	v_cndmask_b32_e32 v44, v44, v50, vcc
	v_lshlrev_b32_e32 v46, 24, v40
	v_lshlrev_b32_e32 v44, 20, v44
	v_and_b32_e32 v46, 0x80000000, v46
	v_lshl_add_u32 v42, v42, 23, v48
	v_or3_b32 v42, v46, v42, v44
	v_lshrrev_b32_e32 v46, 16, v42
.LBB918_457:                            ;   in Loop: Header=BB918_213 Depth=1
	s_or_b64 exec, exec, s[18:19]
.LBB918_458:                            ;   in Loop: Header=BB918_213 Depth=1
	s_or_b64 exec, exec, s[16:17]
.LBB918_459:                            ;   in Loop: Header=BB918_213 Depth=1
	s_or_b64 exec, exec, s[14:15]
	v_lshrrev_b16_e32 v42, 8, v40
	v_cmp_ne_u16_e32 vcc, 0, v42
	v_mov_b32_e32 v50, 0
	v_mov_b32_e32 v44, 0
	s_and_saveexec_b64 s[14:15], vcc
	s_cbranch_execz .LBB918_465
; %bb.460:                              ;   in Loop: Header=BB918_213 Depth=1
	v_cmp_ne_u16_e32 vcc, s9, v42
	v_mov_b32_e32 v44, 0xffff8000
	s_and_saveexec_b64 s[16:17], vcc
	s_cbranch_execz .LBB918_464
; %bb.461:                              ;   in Loop: Header=BB918_213 Depth=1
	v_and_b32_e32 v49, 0x7f, v42
	v_cmp_ne_u32_e32 vcc, s23, v49
	v_mov_b32_e32 v44, 0x7f80
	s_and_saveexec_b64 s[18:19], vcc
	s_cbranch_execz .LBB918_463
; %bb.462:                              ;   in Loop: Header=BB918_213 Depth=1
	v_and_b32_e32 v44, 7, v42
	v_ffbh_u32_e32 v52, v44
	v_min_u32_e32 v60, 32, v52
	v_subrev_u32_e32 v52, 28, v60
	v_lshlrev_b64 v[52:53], v52, v[42:43]
	v_lshrrev_b32_e32 v51, 3, v49
	v_sub_u32_e32 v42, 29, v60
	v_and_b32_e32 v52, 7, v52
	v_cmp_gt_u32_e32 vcc, 8, v49
	v_cndmask_b32_e32 v42, v51, v42, vcc
	v_cndmask_b32_e32 v44, v44, v52, vcc
	v_lshlrev_b32_e32 v49, 16, v40
	v_lshlrev_b32_e32 v44, 20, v44
	v_and_b32_e32 v49, 0x80000000, v49
	v_lshl_add_u32 v42, v42, 23, v48
	v_or3_b32 v42, v49, v42, v44
	v_lshrrev_b32_e32 v44, 16, v42
.LBB918_463:                            ;   in Loop: Header=BB918_213 Depth=1
	s_or_b64 exec, exec, s[18:19]
.LBB918_464:                            ;   in Loop: Header=BB918_213 Depth=1
	s_or_b64 exec, exec, s[16:17]
.LBB918_465:                            ;   in Loop: Header=BB918_213 Depth=1
	s_or_b64 exec, exec, s[14:15]
	v_lshrrev_b32_e32 v42, 16, v40
	v_cmp_ne_u16_sdwa s[16:17], v42, v47 src0_sel:BYTE_0 src1_sel:DWORD
	s_and_saveexec_b64 s[14:15], s[16:17]
	s_cbranch_execz .LBB918_471
; %bb.466:                              ;   in Loop: Header=BB918_213 Depth=1
	v_cmp_ne_u16_sdwa s[18:19], v42, s9 src0_sel:BYTE_0 src1_sel:DWORD
	v_mov_b32_e32 v50, 0xffff8000
	s_and_saveexec_b64 s[16:17], s[18:19]
	s_cbranch_execz .LBB918_470
; %bb.467:                              ;   in Loop: Header=BB918_213 Depth=1
	v_bfe_u32 v49, v40, 16, 7
	v_cmp_ne_u32_e32 vcc, s23, v49
	v_mov_b32_e32 v50, 0x7f80
	s_and_saveexec_b64 s[18:19], vcc
	s_cbranch_execz .LBB918_469
; %bb.468:                              ;   in Loop: Header=BB918_213 Depth=1
	v_and_b32_e32 v52, 7, v42
	v_ffbh_u32_e32 v50, v52
	v_min_u32_e32 v60, 32, v50
	v_subrev_u32_e32 v50, 28, v60
	v_lshlrev_b64 v[50:51], v50, v[42:43]
	v_lshrrev_b32_e32 v53, 3, v49
	v_sub_u32_e32 v51, 29, v60
	v_and_b32_e32 v50, 7, v50
	v_cmp_gt_u32_e32 vcc, 8, v49
	v_cndmask_b32_e32 v49, v53, v51, vcc
	v_cndmask_b32_e32 v50, v52, v50, vcc
	v_lshlrev_b32_e32 v42, 24, v42
	v_lshlrev_b32_e32 v50, 20, v50
	v_and_b32_e32 v42, 0x80000000, v42
	v_lshl_add_u32 v49, v49, 23, v48
	v_or3_b32 v42, v42, v49, v50
	v_lshrrev_b32_e32 v50, 16, v42
.LBB918_469:                            ;   in Loop: Header=BB918_213 Depth=1
	s_or_b64 exec, exec, s[18:19]
.LBB918_470:                            ;   in Loop: Header=BB918_213 Depth=1
	s_or_b64 exec, exec, s[16:17]
.LBB918_471:                            ;   in Loop: Header=BB918_213 Depth=1
	s_or_b64 exec, exec, s[14:15]
	v_cmp_lt_u32_e32 vcc, s26, v40
	v_mov_b32_e32 v51, 0
	v_mov_b32_e32 v52, 0
	s_and_saveexec_b64 s[14:15], vcc
	s_cbranch_execz .LBB918_477
; %bb.472:                              ;   in Loop: Header=BB918_213 Depth=1
	v_lshrrev_b32_e32 v42, 24, v40
	v_cmp_ne_u32_e32 vcc, s9, v42
	v_mov_b32_e32 v52, 0xffff8000
	s_and_saveexec_b64 s[16:17], vcc
	s_cbranch_execz .LBB918_476
; %bb.473:                              ;   in Loop: Header=BB918_213 Depth=1
	v_bfe_u32 v40, v40, 24, 7
	v_cmp_ne_u32_e32 vcc, s23, v40
	v_mov_b32_e32 v52, 0x7f80
	s_and_saveexec_b64 s[18:19], vcc
	s_cbranch_execz .LBB918_475
; %bb.474:                              ;   in Loop: Header=BB918_213 Depth=1
	v_and_b32_e32 v49, 7, v42
	v_ffbh_u32_e32 v52, v49
	v_min_u32_e32 v61, 32, v52
	v_subrev_u32_e32 v52, 28, v61
	v_lshlrev_b64 v[52:53], v52, v[42:43]
	v_lshrrev_b32_e32 v60, 3, v40
	v_sub_u32_e32 v53, 29, v61
	v_and_b32_e32 v52, 7, v52
	v_cmp_gt_u32_e32 vcc, 8, v40
	v_cndmask_b32_e32 v40, v60, v53, vcc
	v_cndmask_b32_e32 v49, v49, v52, vcc
	v_lshlrev_b32_e32 v42, 24, v42
	v_lshlrev_b32_e32 v49, 20, v49
	v_and_b32_e32 v42, 0x80000000, v42
	v_lshl_add_u32 v40, v40, 23, v48
	v_or3_b32 v40, v42, v40, v49
	v_lshrrev_b32_e32 v52, 16, v40
.LBB918_475:                            ;   in Loop: Header=BB918_213 Depth=1
	s_or_b64 exec, exec, s[18:19]
.LBB918_476:                            ;   in Loop: Header=BB918_213 Depth=1
	s_or_b64 exec, exec, s[16:17]
.LBB918_477:                            ;   in Loop: Header=BB918_213 Depth=1
	s_or_b64 exec, exec, s[14:15]
	s_waitcnt vmcnt(0)
	v_cmp_ne_u16_sdwa s[16:17], v38, v47 src0_sel:BYTE_0 src1_sel:DWORD
	s_and_saveexec_b64 s[14:15], s[16:17]
	s_cbranch_execz .LBB918_483
; %bb.478:                              ;   in Loop: Header=BB918_213 Depth=1
	v_cmp_ne_u16_sdwa s[18:19], v38, s9 src0_sel:BYTE_0 src1_sel:DWORD
	v_mov_b32_e32 v51, 0xffff8000
	s_and_saveexec_b64 s[16:17], s[18:19]
	s_cbranch_execz .LBB918_482
; %bb.479:                              ;   in Loop: Header=BB918_213 Depth=1
	v_and_b32_e32 v40, 0x7f, v38
	v_cmp_ne_u32_e32 vcc, s23, v40
	v_mov_b32_e32 v51, 0x7f80
	s_and_saveexec_b64 s[18:19], vcc
	s_cbranch_execz .LBB918_481
; %bb.480:                              ;   in Loop: Header=BB918_213 Depth=1
	v_and_b32_e32 v42, 7, v38
	v_ffbh_u32_e32 v51, v42
	v_min_u32_e32 v51, 32, v51
	v_subrev_u32_e32 v53, 28, v51
	v_lshlrev_b64 v[60:61], v53, v[38:39]
	v_lshrrev_b32_e32 v49, 3, v40
	v_sub_u32_e32 v51, 29, v51
	v_and_b32_e32 v53, 7, v60
	v_cmp_gt_u32_e32 vcc, 8, v40
	v_cndmask_b32_e32 v40, v49, v51, vcc
	v_cndmask_b32_e32 v42, v42, v53, vcc
	v_lshlrev_b32_e32 v49, 24, v38
	v_lshlrev_b32_e32 v42, 20, v42
	v_and_b32_e32 v49, 0x80000000, v49
	v_lshl_add_u32 v40, v40, 23, v48
	v_or3_b32 v40, v49, v40, v42
	v_lshrrev_b32_e32 v51, 16, v40
.LBB918_481:                            ;   in Loop: Header=BB918_213 Depth=1
	s_or_b64 exec, exec, s[18:19]
.LBB918_482:                            ;   in Loop: Header=BB918_213 Depth=1
	s_or_b64 exec, exec, s[16:17]
.LBB918_483:                            ;   in Loop: Header=BB918_213 Depth=1
	s_or_b64 exec, exec, s[14:15]
	v_lshrrev_b16_e32 v40, 8, v38
	v_cmp_ne_u16_e32 vcc, 0, v40
	v_mov_b32_e32 v60, 0
	v_mov_b32_e32 v53, 0
	s_and_saveexec_b64 s[14:15], vcc
	s_cbranch_execz .LBB918_489
; %bb.484:                              ;   in Loop: Header=BB918_213 Depth=1
	v_cmp_ne_u16_e32 vcc, s9, v40
	v_mov_b32_e32 v53, 0xffff8000
	s_and_saveexec_b64 s[16:17], vcc
	s_cbranch_execz .LBB918_488
; %bb.485:                              ;   in Loop: Header=BB918_213 Depth=1
	v_and_b32_e32 v42, 0x7f, v40
	v_cmp_ne_u32_e32 vcc, s23, v42
	v_mov_b32_e32 v53, 0x7f80
	s_and_saveexec_b64 s[18:19], vcc
	s_cbranch_execz .LBB918_487
; %bb.486:                              ;   in Loop: Header=BB918_213 Depth=1
	v_and_b32_e32 v49, 7, v40
	v_ffbh_u32_e32 v61, v49
	v_min_u32_e32 v61, 32, v61
	v_subrev_u32_e32 v62, 28, v61
	v_lshlrev_b64 v[62:63], v62, v[40:41]
	v_lshrrev_b32_e32 v53, 3, v42
	v_sub_u32_e32 v40, 29, v61
	v_and_b32_e32 v61, 7, v62
	v_cmp_gt_u32_e32 vcc, 8, v42
	v_cndmask_b32_e32 v40, v53, v40, vcc
	v_cndmask_b32_e32 v42, v49, v61, vcc
	v_lshlrev_b32_e32 v49, 16, v38
	v_lshlrev_b32_e32 v42, 20, v42
	v_and_b32_e32 v49, 0x80000000, v49
	v_lshl_add_u32 v40, v40, 23, v48
	v_or3_b32 v40, v49, v40, v42
	v_lshrrev_b32_e32 v53, 16, v40
.LBB918_487:                            ;   in Loop: Header=BB918_213 Depth=1
	s_or_b64 exec, exec, s[18:19]
.LBB918_488:                            ;   in Loop: Header=BB918_213 Depth=1
	s_or_b64 exec, exec, s[16:17]
.LBB918_489:                            ;   in Loop: Header=BB918_213 Depth=1
	s_or_b64 exec, exec, s[14:15]
	v_lshrrev_b32_e32 v40, 16, v38
	v_cmp_ne_u16_sdwa s[16:17], v40, v47 src0_sel:BYTE_0 src1_sel:DWORD
	s_and_saveexec_b64 s[14:15], s[16:17]
	s_cbranch_execz .LBB918_495
; %bb.490:                              ;   in Loop: Header=BB918_213 Depth=1
	v_cmp_ne_u16_sdwa s[18:19], v40, s9 src0_sel:BYTE_0 src1_sel:DWORD
	v_mov_b32_e32 v60, 0xffff8000
	s_and_saveexec_b64 s[16:17], s[18:19]
	s_cbranch_execz .LBB918_494
; %bb.491:                              ;   in Loop: Header=BB918_213 Depth=1
	v_bfe_u32 v42, v38, 16, 7
	v_cmp_ne_u32_e32 vcc, s23, v42
	v_mov_b32_e32 v60, 0x7f80
	s_and_saveexec_b64 s[18:19], vcc
	s_cbranch_execz .LBB918_493
; %bb.492:                              ;   in Loop: Header=BB918_213 Depth=1
	v_and_b32_e32 v49, 7, v40
	v_ffbh_u32_e32 v60, v49
	v_min_u32_e32 v63, 32, v60
	v_subrev_u32_e32 v60, 28, v63
	v_lshlrev_b64 v[60:61], v60, v[40:41]
	v_lshrrev_b32_e32 v62, 3, v42
	v_sub_u32_e32 v61, 29, v63
	v_and_b32_e32 v60, 7, v60
	v_cmp_gt_u32_e32 vcc, 8, v42
	v_cndmask_b32_e32 v42, v62, v61, vcc
	v_cndmask_b32_e32 v49, v49, v60, vcc
	v_lshlrev_b32_e32 v40, 24, v40
	v_lshlrev_b32_e32 v49, 20, v49
	v_and_b32_e32 v40, 0x80000000, v40
	v_lshl_add_u32 v42, v42, 23, v48
	v_or3_b32 v40, v40, v42, v49
	v_lshrrev_b32_e32 v60, 16, v40
.LBB918_493:                            ;   in Loop: Header=BB918_213 Depth=1
	s_or_b64 exec, exec, s[18:19]
.LBB918_494:                            ;   in Loop: Header=BB918_213 Depth=1
	s_or_b64 exec, exec, s[16:17]
.LBB918_495:                            ;   in Loop: Header=BB918_213 Depth=1
	s_or_b64 exec, exec, s[14:15]
	v_cmp_lt_u32_e32 vcc, s26, v38
	v_mov_b32_e32 v49, 0
	v_mov_b32_e32 v61, 0
	s_and_saveexec_b64 s[14:15], vcc
	s_cbranch_execz .LBB918_501
; %bb.496:                              ;   in Loop: Header=BB918_213 Depth=1
	v_lshrrev_b32_e32 v40, 24, v38
	v_cmp_ne_u32_e32 vcc, s9, v40
	v_mov_b32_e32 v61, 0xffff8000
	s_and_saveexec_b64 s[16:17], vcc
	s_cbranch_execz .LBB918_500
; %bb.497:                              ;   in Loop: Header=BB918_213 Depth=1
	v_bfe_u32 v38, v38, 24, 7
	v_cmp_ne_u32_e32 vcc, s23, v38
	v_mov_b32_e32 v61, 0x7f80
	s_and_saveexec_b64 s[18:19], vcc
	s_cbranch_execz .LBB918_499
; %bb.498:                              ;   in Loop: Header=BB918_213 Depth=1
	v_and_b32_e32 v42, 7, v40
	v_ffbh_u32_e32 v62, v42
	v_min_u32_e32 v64, 32, v62
	v_subrev_u32_e32 v62, 28, v64
	v_lshlrev_b64 v[62:63], v62, v[40:41]
	v_lshrrev_b32_e32 v61, 3, v38
	v_sub_u32_e32 v63, 29, v64
	v_and_b32_e32 v62, 7, v62
	v_cmp_gt_u32_e32 vcc, 8, v38
	v_cndmask_b32_e32 v38, v61, v63, vcc
	v_cndmask_b32_e32 v42, v42, v62, vcc
	v_lshlrev_b32_e32 v40, 24, v40
	v_lshlrev_b32_e32 v42, 20, v42
	v_and_b32_e32 v40, 0x80000000, v40
	v_lshl_add_u32 v38, v38, 23, v48
	v_or3_b32 v38, v40, v38, v42
	v_lshrrev_b32_e32 v61, 16, v38
.LBB918_499:                            ;   in Loop: Header=BB918_213 Depth=1
	s_or_b64 exec, exec, s[18:19]
.LBB918_500:                            ;   in Loop: Header=BB918_213 Depth=1
	s_or_b64 exec, exec, s[16:17]
.LBB918_501:                            ;   in Loop: Header=BB918_213 Depth=1
	s_or_b64 exec, exec, s[14:15]
	v_perm_b32 v62, v44, v46, s27
	buffer_load_dword v44, v59, s[0:3], 0 offen
	buffer_load_dword v42, v59, s[0:3], 0 offen offset:4
	buffer_load_dword v40, v59, s[0:3], 0 offen offset:8
	;; [unrolled: 1-line block ×3, first 2 shown]
	v_perm_b32 v63, v52, v50, s27
	v_perm_b32 v61, v61, v60, s27
	;; [unrolled: 1-line block ×3, first 2 shown]
	v_mfma_f32_16x16x16bf16_1k v[34:37], v[62:63], v[22:23], v[34:37]
	s_waitcnt vmcnt(3)
	v_cmp_ne_u16_sdwa s[16:17], v44, v47 src0_sel:BYTE_0 src1_sel:DWORD
	v_mfma_f32_16x16x16bf16_1k v[34:37], v[60:61], v[24:25], v[34:37]
	s_and_saveexec_b64 s[14:15], s[16:17]
	s_cbranch_execz .LBB918_507
; %bb.502:                              ;   in Loop: Header=BB918_213 Depth=1
	v_cmp_ne_u16_sdwa s[18:19], v44, s9 src0_sel:BYTE_0 src1_sel:DWORD
	v_mov_b32_e32 v49, 0xffff8000
	s_and_saveexec_b64 s[16:17], s[18:19]
	s_cbranch_execz .LBB918_506
; %bb.503:                              ;   in Loop: Header=BB918_213 Depth=1
	v_and_b32_e32 v46, 0x7f, v44
	v_cmp_ne_u32_e32 vcc, s23, v46
	v_mov_b32_e32 v49, 0x7f80
	s_and_saveexec_b64 s[18:19], vcc
	s_cbranch_execz .LBB918_505
; %bb.504:                              ;   in Loop: Header=BB918_213 Depth=1
	v_and_b32_e32 v49, 7, v44
	v_ffbh_u32_e32 v50, v49
	v_min_u32_e32 v53, 32, v50
	v_subrev_u32_e32 v50, 28, v53
	v_lshlrev_b64 v[50:51], v50, v[44:45]
	v_lshrrev_b32_e32 v52, 3, v46
	v_sub_u32_e32 v51, 29, v53
	v_and_b32_e32 v50, 7, v50
	v_cmp_gt_u32_e32 vcc, 8, v46
	v_cndmask_b32_e32 v46, v52, v51, vcc
	v_cndmask_b32_e32 v49, v49, v50, vcc
	v_lshlrev_b32_e32 v50, 24, v44
	v_lshlrev_b32_e32 v49, 20, v49
	v_and_b32_e32 v50, 0x80000000, v50
	v_lshl_add_u32 v46, v46, 23, v48
	v_or3_b32 v46, v50, v46, v49
	v_lshrrev_b32_e32 v49, 16, v46
.LBB918_505:                            ;   in Loop: Header=BB918_213 Depth=1
	s_or_b64 exec, exec, s[18:19]
.LBB918_506:                            ;   in Loop: Header=BB918_213 Depth=1
	s_or_b64 exec, exec, s[16:17]
.LBB918_507:                            ;   in Loop: Header=BB918_213 Depth=1
	s_or_b64 exec, exec, s[14:15]
	v_lshrrev_b16_e32 v46, 8, v44
	v_cmp_ne_u16_e32 vcc, 0, v46
	v_mov_b32_e32 v51, 0
	v_mov_b32_e32 v50, 0
	s_and_saveexec_b64 s[14:15], vcc
	s_cbranch_execz .LBB918_513
; %bb.508:                              ;   in Loop: Header=BB918_213 Depth=1
	v_cmp_ne_u16_e32 vcc, s9, v46
	v_mov_b32_e32 v50, 0xffff8000
	s_and_saveexec_b64 s[16:17], vcc
	s_cbranch_execz .LBB918_512
; %bb.509:                              ;   in Loop: Header=BB918_213 Depth=1
	v_and_b32_e32 v52, 0x7f, v46
	v_cmp_ne_u32_e32 vcc, s23, v52
	v_mov_b32_e32 v50, 0x7f80
	s_and_saveexec_b64 s[18:19], vcc
	s_cbranch_execz .LBB918_511
; %bb.510:                              ;   in Loop: Header=BB918_213 Depth=1
	v_and_b32_e32 v50, 7, v46
	v_ffbh_u32_e32 v59, v50
	v_min_u32_e32 v59, 32, v59
	v_subrev_u32_e32 v60, 28, v59
	v_lshlrev_b64 v[60:61], v60, v[46:47]
	v_lshrrev_b32_e32 v53, 3, v52
	v_sub_u32_e32 v46, 29, v59
	v_and_b32_e32 v59, 7, v60
	v_cmp_gt_u32_e32 vcc, 8, v52
	v_cndmask_b32_e32 v46, v53, v46, vcc
	v_cndmask_b32_e32 v50, v50, v59, vcc
	v_lshlrev_b32_e32 v52, 16, v44
	v_lshlrev_b32_e32 v50, 20, v50
	v_and_b32_e32 v52, 0x80000000, v52
	v_lshl_add_u32 v46, v46, 23, v48
	v_or3_b32 v46, v52, v46, v50
	v_lshrrev_b32_e32 v50, 16, v46
.LBB918_511:                            ;   in Loop: Header=BB918_213 Depth=1
	s_or_b64 exec, exec, s[18:19]
.LBB918_512:                            ;   in Loop: Header=BB918_213 Depth=1
	s_or_b64 exec, exec, s[16:17]
.LBB918_513:                            ;   in Loop: Header=BB918_213 Depth=1
	s_or_b64 exec, exec, s[14:15]
	v_lshrrev_b32_e32 v46, 16, v44
	v_cmp_ne_u16_sdwa s[16:17], v46, v47 src0_sel:BYTE_0 src1_sel:DWORD
	s_and_saveexec_b64 s[14:15], s[16:17]
	s_cbranch_execz .LBB918_519
; %bb.514:                              ;   in Loop: Header=BB918_213 Depth=1
	v_cmp_ne_u16_sdwa s[18:19], v46, s9 src0_sel:BYTE_0 src1_sel:DWORD
	v_mov_b32_e32 v51, 0xffff8000
	s_and_saveexec_b64 s[16:17], s[18:19]
	s_cbranch_execz .LBB918_518
; %bb.515:                              ;   in Loop: Header=BB918_213 Depth=1
	v_bfe_u32 v52, v44, 16, 7
	v_cmp_ne_u32_e32 vcc, s23, v52
	v_mov_b32_e32 v51, 0x7f80
	s_and_saveexec_b64 s[18:19], vcc
	s_cbranch_execz .LBB918_517
; %bb.516:                              ;   in Loop: Header=BB918_213 Depth=1
	v_and_b32_e32 v51, 7, v46
	v_ffbh_u32_e32 v59, v51
	v_min_u32_e32 v59, 32, v59
	v_subrev_u32_e32 v60, 28, v59
	v_lshlrev_b64 v[60:61], v60, v[46:47]
	v_lshrrev_b32_e32 v53, 3, v52
	v_sub_u32_e32 v59, 29, v59
	v_and_b32_e32 v60, 7, v60
	v_cmp_gt_u32_e32 vcc, 8, v52
	v_cndmask_b32_e32 v52, v53, v59, vcc
	v_cndmask_b32_e32 v51, v51, v60, vcc
	v_lshlrev_b32_e32 v46, 24, v46
	v_lshlrev_b32_e32 v51, 20, v51
	v_and_b32_e32 v46, 0x80000000, v46
	v_lshl_add_u32 v52, v52, 23, v48
	v_or3_b32 v46, v46, v52, v51
	v_lshrrev_b32_e32 v51, 16, v46
.LBB918_517:                            ;   in Loop: Header=BB918_213 Depth=1
	s_or_b64 exec, exec, s[18:19]
.LBB918_518:                            ;   in Loop: Header=BB918_213 Depth=1
	s_or_b64 exec, exec, s[16:17]
.LBB918_519:                            ;   in Loop: Header=BB918_213 Depth=1
	s_or_b64 exec, exec, s[14:15]
	v_cmp_lt_u32_e32 vcc, s26, v44
	v_mov_b32_e32 v52, 0
	v_mov_b32_e32 v53, 0
	s_and_saveexec_b64 s[14:15], vcc
	s_cbranch_execz .LBB918_525
; %bb.520:                              ;   in Loop: Header=BB918_213 Depth=1
	v_lshrrev_b32_e32 v46, 24, v44
	v_cmp_ne_u32_e32 vcc, s9, v46
	v_mov_b32_e32 v53, 0xffff8000
	s_and_saveexec_b64 s[16:17], vcc
	s_cbranch_execz .LBB918_524
; %bb.521:                              ;   in Loop: Header=BB918_213 Depth=1
	v_bfe_u32 v44, v44, 24, 7
	v_cmp_ne_u32_e32 vcc, s23, v44
	v_mov_b32_e32 v53, 0x7f80
	s_and_saveexec_b64 s[18:19], vcc
	s_cbranch_execz .LBB918_523
; %bb.522:                              ;   in Loop: Header=BB918_213 Depth=1
	v_and_b32_e32 v53, 7, v46
	v_ffbh_u32_e32 v60, v53
	v_min_u32_e32 v62, 32, v60
	v_subrev_u32_e32 v60, 28, v62
	v_lshlrev_b64 v[60:61], v60, v[46:47]
	v_lshrrev_b32_e32 v59, 3, v44
	v_sub_u32_e32 v61, 29, v62
	v_and_b32_e32 v60, 7, v60
	v_cmp_gt_u32_e32 vcc, 8, v44
	v_cndmask_b32_e32 v44, v59, v61, vcc
	v_cndmask_b32_e32 v53, v53, v60, vcc
	v_lshlrev_b32_e32 v46, 24, v46
	v_lshlrev_b32_e32 v53, 20, v53
	v_and_b32_e32 v46, 0x80000000, v46
	v_lshl_add_u32 v44, v44, 23, v48
	v_or3_b32 v44, v46, v44, v53
	v_lshrrev_b32_e32 v53, 16, v44
.LBB918_523:                            ;   in Loop: Header=BB918_213 Depth=1
	s_or_b64 exec, exec, s[18:19]
.LBB918_524:                            ;   in Loop: Header=BB918_213 Depth=1
	s_or_b64 exec, exec, s[16:17]
.LBB918_525:                            ;   in Loop: Header=BB918_213 Depth=1
	s_or_b64 exec, exec, s[14:15]
	s_waitcnt vmcnt(2)
	v_cmp_ne_u16_sdwa s[16:17], v42, v47 src0_sel:BYTE_0 src1_sel:DWORD
	s_and_saveexec_b64 s[14:15], s[16:17]
	s_cbranch_execz .LBB918_531
; %bb.526:                              ;   in Loop: Header=BB918_213 Depth=1
	v_cmp_ne_u16_sdwa s[18:19], v42, s9 src0_sel:BYTE_0 src1_sel:DWORD
	v_mov_b32_e32 v52, 0xffff8000
	s_and_saveexec_b64 s[16:17], s[18:19]
	s_cbranch_execz .LBB918_530
; %bb.527:                              ;   in Loop: Header=BB918_213 Depth=1
	v_and_b32_e32 v44, 0x7f, v42
	v_cmp_ne_u32_e32 vcc, s23, v44
	v_mov_b32_e32 v52, 0x7f80
	s_and_saveexec_b64 s[18:19], vcc
	s_cbranch_execz .LBB918_529
; %bb.528:                              ;   in Loop: Header=BB918_213 Depth=1
	v_and_b32_e32 v46, 7, v42
	v_ffbh_u32_e32 v59, v46
	v_min_u32_e32 v59, 32, v59
	v_subrev_u32_e32 v60, 28, v59
	v_lshlrev_b64 v[60:61], v60, v[42:43]
	v_lshrrev_b32_e32 v52, 3, v44
	v_sub_u32_e32 v59, 29, v59
	v_and_b32_e32 v60, 7, v60
	v_cmp_gt_u32_e32 vcc, 8, v44
	v_cndmask_b32_e32 v44, v52, v59, vcc
	v_cndmask_b32_e32 v46, v46, v60, vcc
	v_lshlrev_b32_e32 v52, 24, v42
	v_lshlrev_b32_e32 v46, 20, v46
	v_and_b32_e32 v52, 0x80000000, v52
	v_lshl_add_u32 v44, v44, 23, v48
	v_or3_b32 v44, v52, v44, v46
	v_lshrrev_b32_e32 v52, 16, v44
.LBB918_529:                            ;   in Loop: Header=BB918_213 Depth=1
	s_or_b64 exec, exec, s[18:19]
.LBB918_530:                            ;   in Loop: Header=BB918_213 Depth=1
	s_or_b64 exec, exec, s[16:17]
.LBB918_531:                            ;   in Loop: Header=BB918_213 Depth=1
	s_or_b64 exec, exec, s[14:15]
	v_lshrrev_b16_e32 v44, 8, v42
	v_cmp_ne_u16_e32 vcc, 0, v44
	v_mov_b32_e32 v60, 0
	v_mov_b32_e32 v59, 0
	s_and_saveexec_b64 s[14:15], vcc
	s_cbranch_execz .LBB918_537
; %bb.532:                              ;   in Loop: Header=BB918_213 Depth=1
	v_cmp_ne_u16_e32 vcc, s9, v44
	v_mov_b32_e32 v59, 0xffff8000
	s_and_saveexec_b64 s[16:17], vcc
	s_cbranch_execz .LBB918_536
; %bb.533:                              ;   in Loop: Header=BB918_213 Depth=1
	v_and_b32_e32 v46, 0x7f, v44
	v_cmp_ne_u32_e32 vcc, s23, v46
	v_mov_b32_e32 v59, 0x7f80
	s_and_saveexec_b64 s[18:19], vcc
	s_cbranch_execz .LBB918_535
; %bb.534:                              ;   in Loop: Header=BB918_213 Depth=1
	v_and_b32_e32 v59, 7, v44
	v_ffbh_u32_e32 v62, v59
	v_min_u32_e32 v64, 32, v62
	v_subrev_u32_e32 v62, 28, v64
	v_lshlrev_b64 v[62:63], v62, v[44:45]
	v_lshrrev_b32_e32 v61, 3, v46
	v_sub_u32_e32 v44, 29, v64
	v_and_b32_e32 v62, 7, v62
	v_cmp_gt_u32_e32 vcc, 8, v46
	v_cndmask_b32_e32 v44, v61, v44, vcc
	v_cndmask_b32_e32 v46, v59, v62, vcc
	v_lshlrev_b32_e32 v59, 16, v42
	v_lshlrev_b32_e32 v46, 20, v46
	v_and_b32_e32 v59, 0x80000000, v59
	v_lshl_add_u32 v44, v44, 23, v48
	v_or3_b32 v44, v59, v44, v46
	v_lshrrev_b32_e32 v59, 16, v44
.LBB918_535:                            ;   in Loop: Header=BB918_213 Depth=1
	s_or_b64 exec, exec, s[18:19]
.LBB918_536:                            ;   in Loop: Header=BB918_213 Depth=1
	s_or_b64 exec, exec, s[16:17]
.LBB918_537:                            ;   in Loop: Header=BB918_213 Depth=1
	s_or_b64 exec, exec, s[14:15]
	v_lshrrev_b32_e32 v44, 16, v42
	v_cmp_ne_u16_sdwa s[16:17], v44, v47 src0_sel:BYTE_0 src1_sel:DWORD
	s_and_saveexec_b64 s[14:15], s[16:17]
	s_cbranch_execz .LBB918_543
; %bb.538:                              ;   in Loop: Header=BB918_213 Depth=1
	v_cmp_ne_u16_sdwa s[18:19], v44, s9 src0_sel:BYTE_0 src1_sel:DWORD
	v_mov_b32_e32 v60, 0xffff8000
	s_and_saveexec_b64 s[16:17], s[18:19]
	s_cbranch_execz .LBB918_542
; %bb.539:                              ;   in Loop: Header=BB918_213 Depth=1
	v_bfe_u32 v46, v42, 16, 7
	v_cmp_ne_u32_e32 vcc, s23, v46
	v_mov_b32_e32 v60, 0x7f80
	s_and_saveexec_b64 s[18:19], vcc
	s_cbranch_execz .LBB918_541
; %bb.540:                              ;   in Loop: Header=BB918_213 Depth=1
	v_and_b32_e32 v62, 7, v44
	v_ffbh_u32_e32 v60, v62
	v_min_u32_e32 v64, 32, v60
	v_subrev_u32_e32 v60, 28, v64
	v_lshlrev_b64 v[60:61], v60, v[44:45]
	v_lshrrev_b32_e32 v63, 3, v46
	v_sub_u32_e32 v61, 29, v64
	v_and_b32_e32 v60, 7, v60
	v_cmp_gt_u32_e32 vcc, 8, v46
	v_cndmask_b32_e32 v46, v63, v61, vcc
	v_cndmask_b32_e32 v60, v62, v60, vcc
	v_lshlrev_b32_e32 v44, 24, v44
	v_lshlrev_b32_e32 v60, 20, v60
	v_and_b32_e32 v44, 0x80000000, v44
	v_lshl_add_u32 v46, v46, 23, v48
	v_or3_b32 v44, v44, v46, v60
	v_lshrrev_b32_e32 v60, 16, v44
.LBB918_541:                            ;   in Loop: Header=BB918_213 Depth=1
	s_or_b64 exec, exec, s[18:19]
.LBB918_542:                            ;   in Loop: Header=BB918_213 Depth=1
	s_or_b64 exec, exec, s[16:17]
.LBB918_543:                            ;   in Loop: Header=BB918_213 Depth=1
	s_or_b64 exec, exec, s[14:15]
	v_cmp_lt_u32_e32 vcc, s26, v42
	v_mov_b32_e32 v46, 0
	v_mov_b32_e32 v61, 0
	s_and_saveexec_b64 s[14:15], vcc
	s_cbranch_execz .LBB918_549
; %bb.544:                              ;   in Loop: Header=BB918_213 Depth=1
	v_lshrrev_b32_e32 v44, 24, v42
	v_cmp_ne_u32_e32 vcc, s9, v44
	v_mov_b32_e32 v61, 0xffff8000
	s_and_saveexec_b64 s[16:17], vcc
	s_cbranch_execz .LBB918_548
; %bb.545:                              ;   in Loop: Header=BB918_213 Depth=1
	v_bfe_u32 v42, v42, 24, 7
	v_cmp_ne_u32_e32 vcc, s23, v42
	v_mov_b32_e32 v61, 0x7f80
	s_and_saveexec_b64 s[18:19], vcc
	s_cbranch_execz .LBB918_547
; %bb.546:                              ;   in Loop: Header=BB918_213 Depth=1
	v_and_b32_e32 v61, 7, v44
	v_ffbh_u32_e32 v62, v61
	v_min_u32_e32 v65, 32, v62
	v_subrev_u32_e32 v62, 28, v65
	v_lshlrev_b64 v[62:63], v62, v[44:45]
	v_lshrrev_b32_e32 v64, 3, v42
	v_sub_u32_e32 v63, 29, v65
	v_and_b32_e32 v62, 7, v62
	v_cmp_gt_u32_e32 vcc, 8, v42
	v_cndmask_b32_e32 v42, v64, v63, vcc
	v_cndmask_b32_e32 v61, v61, v62, vcc
	v_lshlrev_b32_e32 v44, 24, v44
	v_lshlrev_b32_e32 v61, 20, v61
	v_and_b32_e32 v44, 0x80000000, v44
	v_lshl_add_u32 v42, v42, 23, v48
	v_or3_b32 v42, v44, v42, v61
	v_lshrrev_b32_e32 v61, 16, v42
.LBB918_547:                            ;   in Loop: Header=BB918_213 Depth=1
	s_or_b64 exec, exec, s[18:19]
.LBB918_548:                            ;   in Loop: Header=BB918_213 Depth=1
	s_or_b64 exec, exec, s[16:17]
.LBB918_549:                            ;   in Loop: Header=BB918_213 Depth=1
	s_or_b64 exec, exec, s[14:15]
	v_perm_b32 v51, v53, v51, s27
	v_perm_b32 v50, v50, v49, s27
	s_waitcnt vmcnt(1)
	v_cmp_ne_u16_sdwa s[16:17], v40, v47 src0_sel:BYTE_0 src1_sel:DWORD
	v_mfma_f32_16x16x16bf16_1k v[34:37], v[50:51], v[26:27], v[34:37]
	v_perm_b32 v51, v61, v60, s27
	v_perm_b32 v50, v59, v52, s27
	s_nop 1
	v_mfma_f32_16x16x16bf16_1k v[34:37], v[50:51], v[28:29], v[34:37]
	s_and_saveexec_b64 s[14:15], s[16:17]
	s_cbranch_execz .LBB918_555
; %bb.550:                              ;   in Loop: Header=BB918_213 Depth=1
	v_cmp_ne_u16_sdwa s[18:19], v40, s9 src0_sel:BYTE_0 src1_sel:DWORD
	v_mov_b32_e32 v46, 0xffff8000
	s_and_saveexec_b64 s[16:17], s[18:19]
	s_cbranch_execz .LBB918_554
; %bb.551:                              ;   in Loop: Header=BB918_213 Depth=1
	v_and_b32_e32 v42, 0x7f, v40
	v_cmp_ne_u32_e32 vcc, s23, v42
	v_mov_b32_e32 v46, 0x7f80
	s_and_saveexec_b64 s[18:19], vcc
	s_cbranch_execz .LBB918_553
; %bb.552:                              ;   in Loop: Header=BB918_213 Depth=1
	v_and_b32_e32 v44, 7, v40
	v_ffbh_u32_e32 v49, v44
	v_min_u32_e32 v49, 32, v49
	v_subrev_u32_e32 v50, 28, v49
	v_lshlrev_b64 v[50:51], v50, v[40:41]
	v_lshrrev_b32_e32 v46, 3, v42
	v_sub_u32_e32 v49, 29, v49
	v_and_b32_e32 v50, 7, v50
	v_cmp_gt_u32_e32 vcc, 8, v42
	v_cndmask_b32_e32 v42, v46, v49, vcc
	v_cndmask_b32_e32 v44, v44, v50, vcc
	v_lshlrev_b32_e32 v46, 24, v40
	v_lshlrev_b32_e32 v44, 20, v44
	v_and_b32_e32 v46, 0x80000000, v46
	v_lshl_add_u32 v42, v42, 23, v48
	v_or3_b32 v42, v46, v42, v44
	v_lshrrev_b32_e32 v46, 16, v42
.LBB918_553:                            ;   in Loop: Header=BB918_213 Depth=1
	s_or_b64 exec, exec, s[18:19]
.LBB918_554:                            ;   in Loop: Header=BB918_213 Depth=1
	s_or_b64 exec, exec, s[16:17]
.LBB918_555:                            ;   in Loop: Header=BB918_213 Depth=1
	s_or_b64 exec, exec, s[14:15]
	v_lshrrev_b16_e32 v42, 8, v40
	v_cmp_ne_u16_e32 vcc, 0, v42
	v_mov_b32_e32 v49, 0
	v_mov_b32_e32 v44, 0
	s_and_saveexec_b64 s[14:15], vcc
	s_cbranch_execz .LBB918_561
; %bb.556:                              ;   in Loop: Header=BB918_213 Depth=1
	v_cmp_ne_u16_e32 vcc, s9, v42
	v_mov_b32_e32 v44, 0xffff8000
	s_and_saveexec_b64 s[16:17], vcc
	s_cbranch_execz .LBB918_560
; %bb.557:                              ;   in Loop: Header=BB918_213 Depth=1
	v_and_b32_e32 v50, 0x7f, v42
	v_cmp_ne_u32_e32 vcc, s23, v50
	v_mov_b32_e32 v44, 0x7f80
	s_and_saveexec_b64 s[18:19], vcc
	s_cbranch_execz .LBB918_559
; %bb.558:                              ;   in Loop: Header=BB918_213 Depth=1
	v_and_b32_e32 v44, 7, v42
	v_ffbh_u32_e32 v52, v44
	v_min_u32_e32 v59, 32, v52
	v_subrev_u32_e32 v52, 28, v59
	v_lshlrev_b64 v[52:53], v52, v[42:43]
	v_lshrrev_b32_e32 v51, 3, v50
	v_sub_u32_e32 v42, 29, v59
	v_and_b32_e32 v52, 7, v52
	v_cmp_gt_u32_e32 vcc, 8, v50
	v_cndmask_b32_e32 v42, v51, v42, vcc
	v_cndmask_b32_e32 v44, v44, v52, vcc
	v_lshlrev_b32_e32 v50, 16, v40
	v_lshlrev_b32_e32 v44, 20, v44
	v_and_b32_e32 v50, 0x80000000, v50
	v_lshl_add_u32 v42, v42, 23, v48
	v_or3_b32 v42, v50, v42, v44
	v_lshrrev_b32_e32 v44, 16, v42
.LBB918_559:                            ;   in Loop: Header=BB918_213 Depth=1
	s_or_b64 exec, exec, s[18:19]
.LBB918_560:                            ;   in Loop: Header=BB918_213 Depth=1
	s_or_b64 exec, exec, s[16:17]
.LBB918_561:                            ;   in Loop: Header=BB918_213 Depth=1
	s_or_b64 exec, exec, s[14:15]
	v_lshrrev_b32_e32 v42, 16, v40
	v_cmp_ne_u16_sdwa s[16:17], v42, v47 src0_sel:BYTE_0 src1_sel:DWORD
	s_and_saveexec_b64 s[14:15], s[16:17]
	s_cbranch_execz .LBB918_567
; %bb.562:                              ;   in Loop: Header=BB918_213 Depth=1
	v_cmp_ne_u16_sdwa s[18:19], v42, s9 src0_sel:BYTE_0 src1_sel:DWORD
	v_mov_b32_e32 v49, 0xffff8000
	s_and_saveexec_b64 s[16:17], s[18:19]
	s_cbranch_execz .LBB918_566
; %bb.563:                              ;   in Loop: Header=BB918_213 Depth=1
	v_bfe_u32 v50, v40, 16, 7
	v_cmp_ne_u32_e32 vcc, s23, v50
	v_mov_b32_e32 v49, 0x7f80
	s_and_saveexec_b64 s[18:19], vcc
	s_cbranch_execz .LBB918_565
; %bb.564:                              ;   in Loop: Header=BB918_213 Depth=1
	v_and_b32_e32 v49, 7, v42
	v_ffbh_u32_e32 v52, v49
	v_min_u32_e32 v59, 32, v52
	v_subrev_u32_e32 v52, 28, v59
	v_lshlrev_b64 v[52:53], v52, v[42:43]
	v_lshrrev_b32_e32 v51, 3, v50
	v_sub_u32_e32 v53, 29, v59
	v_and_b32_e32 v52, 7, v52
	v_cmp_gt_u32_e32 vcc, 8, v50
	v_cndmask_b32_e32 v50, v51, v53, vcc
	v_cndmask_b32_e32 v49, v49, v52, vcc
	v_lshlrev_b32_e32 v42, 24, v42
	v_lshlrev_b32_e32 v49, 20, v49
	v_and_b32_e32 v42, 0x80000000, v42
	v_lshl_add_u32 v50, v50, 23, v48
	v_or3_b32 v42, v42, v50, v49
	v_lshrrev_b32_e32 v49, 16, v42
.LBB918_565:                            ;   in Loop: Header=BB918_213 Depth=1
	s_or_b64 exec, exec, s[18:19]
.LBB918_566:                            ;   in Loop: Header=BB918_213 Depth=1
	s_or_b64 exec, exec, s[16:17]
.LBB918_567:                            ;   in Loop: Header=BB918_213 Depth=1
	s_or_b64 exec, exec, s[14:15]
	v_cmp_lt_u32_e32 vcc, s26, v40
	v_mov_b32_e32 v50, 0
	v_mov_b32_e32 v51, 0
	s_and_saveexec_b64 s[14:15], vcc
	s_cbranch_execz .LBB918_573
; %bb.568:                              ;   in Loop: Header=BB918_213 Depth=1
	v_lshrrev_b32_e32 v42, 24, v40
	v_cmp_ne_u32_e32 vcc, s9, v42
	v_mov_b32_e32 v51, 0xffff8000
	s_and_saveexec_b64 s[16:17], vcc
	s_cbranch_execz .LBB918_572
; %bb.569:                              ;   in Loop: Header=BB918_213 Depth=1
	v_bfe_u32 v40, v40, 24, 7
	v_cmp_ne_u32_e32 vcc, s23, v40
	v_mov_b32_e32 v51, 0x7f80
	s_and_saveexec_b64 s[18:19], vcc
	s_cbranch_execz .LBB918_571
; %bb.570:                              ;   in Loop: Header=BB918_213 Depth=1
	v_and_b32_e32 v51, 7, v42
	v_ffbh_u32_e32 v52, v51
	v_min_u32_e32 v60, 32, v52
	v_subrev_u32_e32 v52, 28, v60
	v_lshlrev_b64 v[52:53], v52, v[42:43]
	v_lshrrev_b32_e32 v59, 3, v40
	v_sub_u32_e32 v53, 29, v60
	v_and_b32_e32 v52, 7, v52
	v_cmp_gt_u32_e32 vcc, 8, v40
	v_cndmask_b32_e32 v40, v59, v53, vcc
	v_cndmask_b32_e32 v51, v51, v52, vcc
	v_lshlrev_b32_e32 v42, 24, v42
	v_lshlrev_b32_e32 v51, 20, v51
	v_and_b32_e32 v42, 0x80000000, v42
	v_lshl_add_u32 v40, v40, 23, v48
	v_or3_b32 v40, v42, v40, v51
	v_lshrrev_b32_e32 v51, 16, v40
.LBB918_571:                            ;   in Loop: Header=BB918_213 Depth=1
	s_or_b64 exec, exec, s[18:19]
.LBB918_572:                            ;   in Loop: Header=BB918_213 Depth=1
	s_or_b64 exec, exec, s[16:17]
.LBB918_573:                            ;   in Loop: Header=BB918_213 Depth=1
	s_or_b64 exec, exec, s[14:15]
	s_waitcnt vmcnt(0)
	v_cmp_ne_u16_sdwa s[16:17], v38, v47 src0_sel:BYTE_0 src1_sel:DWORD
	s_and_saveexec_b64 s[14:15], s[16:17]
	s_cbranch_execz .LBB918_579
; %bb.574:                              ;   in Loop: Header=BB918_213 Depth=1
	v_cmp_ne_u16_sdwa s[18:19], v38, s9 src0_sel:BYTE_0 src1_sel:DWORD
	v_mov_b32_e32 v50, 0xffff8000
	s_and_saveexec_b64 s[16:17], s[18:19]
	s_cbranch_execz .LBB918_578
; %bb.575:                              ;   in Loop: Header=BB918_213 Depth=1
	v_and_b32_e32 v40, 0x7f, v38
	v_cmp_ne_u32_e32 vcc, s23, v40
	v_mov_b32_e32 v50, 0x7f80
	s_and_saveexec_b64 s[18:19], vcc
	s_cbranch_execz .LBB918_577
; %bb.576:                              ;   in Loop: Header=BB918_213 Depth=1
	v_and_b32_e32 v42, 7, v38
	v_ffbh_u32_e32 v52, v42
	v_min_u32_e32 v59, 32, v52
	v_subrev_u32_e32 v52, 28, v59
	v_lshlrev_b64 v[52:53], v52, v[38:39]
	v_lshrrev_b32_e32 v50, 3, v40
	v_sub_u32_e32 v53, 29, v59
	v_and_b32_e32 v52, 7, v52
	v_cmp_gt_u32_e32 vcc, 8, v40
	v_cndmask_b32_e32 v40, v50, v53, vcc
	v_cndmask_b32_e32 v42, v42, v52, vcc
	v_lshlrev_b32_e32 v50, 24, v38
	v_lshlrev_b32_e32 v42, 20, v42
	v_and_b32_e32 v50, 0x80000000, v50
	v_lshl_add_u32 v40, v40, 23, v48
	v_or3_b32 v40, v50, v40, v42
	v_lshrrev_b32_e32 v50, 16, v40
.LBB918_577:                            ;   in Loop: Header=BB918_213 Depth=1
	s_or_b64 exec, exec, s[18:19]
.LBB918_578:                            ;   in Loop: Header=BB918_213 Depth=1
	s_or_b64 exec, exec, s[16:17]
.LBB918_579:                            ;   in Loop: Header=BB918_213 Depth=1
	s_or_b64 exec, exec, s[14:15]
	v_lshrrev_b16_e32 v40, 8, v38
	v_cmp_ne_u16_e32 vcc, 0, v40
	v_mov_b32_e32 v52, 0
	v_mov_b32_e32 v42, 0
	s_and_saveexec_b64 s[14:15], vcc
	s_cbranch_execz .LBB918_585
; %bb.580:                              ;   in Loop: Header=BB918_213 Depth=1
	v_cmp_ne_u16_e32 vcc, s9, v40
	v_mov_b32_e32 v42, 0xffff8000
	s_and_saveexec_b64 s[16:17], vcc
	s_cbranch_execz .LBB918_584
; %bb.581:                              ;   in Loop: Header=BB918_213 Depth=1
	v_and_b32_e32 v53, 0x7f, v40
	v_cmp_ne_u32_e32 vcc, s23, v53
	v_mov_b32_e32 v42, 0x7f80
	s_and_saveexec_b64 s[18:19], vcc
	s_cbranch_execz .LBB918_583
; %bb.582:                              ;   in Loop: Header=BB918_213 Depth=1
	v_and_b32_e32 v42, 7, v40
	v_ffbh_u32_e32 v60, v42
	v_min_u32_e32 v62, 32, v60
	v_subrev_u32_e32 v60, 28, v62
	v_lshlrev_b64 v[60:61], v60, v[40:41]
	v_lshrrev_b32_e32 v59, 3, v53
	v_sub_u32_e32 v40, 29, v62
	v_and_b32_e32 v60, 7, v60
	v_cmp_gt_u32_e32 vcc, 8, v53
	v_cndmask_b32_e32 v40, v59, v40, vcc
	v_cndmask_b32_e32 v42, v42, v60, vcc
	v_lshlrev_b32_e32 v53, 16, v38
	v_lshlrev_b32_e32 v42, 20, v42
	v_and_b32_e32 v53, 0x80000000, v53
	v_lshl_add_u32 v40, v40, 23, v48
	v_or3_b32 v40, v53, v40, v42
	v_lshrrev_b32_e32 v42, 16, v40
.LBB918_583:                            ;   in Loop: Header=BB918_213 Depth=1
	s_or_b64 exec, exec, s[18:19]
.LBB918_584:                            ;   in Loop: Header=BB918_213 Depth=1
	s_or_b64 exec, exec, s[16:17]
.LBB918_585:                            ;   in Loop: Header=BB918_213 Depth=1
	s_or_b64 exec, exec, s[14:15]
	v_lshrrev_b32_e32 v40, 16, v38
	v_cmp_ne_u16_sdwa s[16:17], v40, v47 src0_sel:BYTE_0 src1_sel:DWORD
	s_and_saveexec_b64 s[14:15], s[16:17]
	s_cbranch_execz .LBB918_591
; %bb.586:                              ;   in Loop: Header=BB918_213 Depth=1
	v_cmp_ne_u16_sdwa s[18:19], v40, s9 src0_sel:BYTE_0 src1_sel:DWORD
	v_mov_b32_e32 v52, 0xffff8000
	s_and_saveexec_b64 s[16:17], s[18:19]
	s_cbranch_execz .LBB918_590
; %bb.587:                              ;   in Loop: Header=BB918_213 Depth=1
	v_bfe_u32 v53, v38, 16, 7
	v_cmp_ne_u32_e32 vcc, s23, v53
	v_mov_b32_e32 v52, 0x7f80
	s_and_saveexec_b64 s[18:19], vcc
	s_cbranch_execz .LBB918_589
; %bb.588:                              ;   in Loop: Header=BB918_213 Depth=1
	v_and_b32_e32 v52, 7, v40
	v_ffbh_u32_e32 v60, v52
	v_min_u32_e32 v62, 32, v60
	v_subrev_u32_e32 v60, 28, v62
	v_lshlrev_b64 v[60:61], v60, v[40:41]
	v_lshrrev_b32_e32 v59, 3, v53
	v_sub_u32_e32 v61, 29, v62
	v_and_b32_e32 v60, 7, v60
	v_cmp_gt_u32_e32 vcc, 8, v53
	v_cndmask_b32_e32 v53, v59, v61, vcc
	v_cndmask_b32_e32 v52, v52, v60, vcc
	v_lshlrev_b32_e32 v40, 24, v40
	v_lshlrev_b32_e32 v52, 20, v52
	v_and_b32_e32 v40, 0x80000000, v40
	v_lshl_add_u32 v53, v53, 23, v48
	v_or3_b32 v40, v40, v53, v52
	v_lshrrev_b32_e32 v52, 16, v40
.LBB918_589:                            ;   in Loop: Header=BB918_213 Depth=1
	s_or_b64 exec, exec, s[18:19]
.LBB918_590:                            ;   in Loop: Header=BB918_213 Depth=1
	s_or_b64 exec, exec, s[16:17]
.LBB918_591:                            ;   in Loop: Header=BB918_213 Depth=1
	s_or_b64 exec, exec, s[14:15]
	v_cmp_lt_u32_e32 vcc, s26, v38
	v_mov_b32_e32 v53, 0
	s_and_saveexec_b64 s[14:15], vcc
	s_cbranch_execz .LBB918_212
; %bb.592:                              ;   in Loop: Header=BB918_213 Depth=1
	v_lshrrev_b32_e32 v40, 24, v38
	v_cmp_ne_u32_e32 vcc, s9, v40
	v_mov_b32_e32 v53, 0xffff8000
	s_and_saveexec_b64 s[16:17], vcc
	s_cbranch_execz .LBB918_211
; %bb.593:                              ;   in Loop: Header=BB918_213 Depth=1
	v_bfe_u32 v38, v38, 24, 7
	v_cmp_ne_u32_e32 vcc, s23, v38
	v_mov_b32_e32 v53, 0x7f80
	s_and_saveexec_b64 s[18:19], vcc
	s_cbranch_execz .LBB918_210
; %bb.594:                              ;   in Loop: Header=BB918_213 Depth=1
	v_and_b32_e32 v53, 7, v40
	v_ffbh_u32_e32 v60, v53
	v_min_u32_e32 v62, 32, v60
	v_subrev_u32_e32 v60, 28, v62
	v_lshlrev_b64 v[60:61], v60, v[40:41]
	v_lshrrev_b32_e32 v59, 3, v38
	v_sub_u32_e32 v61, 29, v62
	v_and_b32_e32 v60, 7, v60
	v_cmp_gt_u32_e32 vcc, 8, v38
	v_cndmask_b32_e32 v38, v59, v61, vcc
	v_cndmask_b32_e32 v53, v53, v60, vcc
	v_lshlrev_b32_e32 v40, 24, v40
	v_lshlrev_b32_e32 v53, 20, v53
	v_and_b32_e32 v40, 0x80000000, v40
	v_lshl_add_u32 v38, v38, 23, v48
	v_or3_b32 v38, v40, v38, v53
	v_lshrrev_b32_e32 v53, 16, v38
	s_branch .LBB918_210
.LBB918_595:
	s_barrier
	buffer_load_dword v2, off, s[0:3], 0 offset:320
	buffer_load_dword v5, off, s[0:3], 0 offset:332
	;; [unrolled: 1-line block ×4, first 2 shown]
	v_cmp_gt_u32_e32 vcc, 64, v0
	s_waitcnt vmcnt(0)
	ds_write2st64_b64 v43, v[2:3], v[4:5] offset1:1
	s_waitcnt lgkmcnt(0)
	s_barrier
	s_and_saveexec_b64 s[6:7], vcc
	s_cbranch_execz .LBB918_598
; %bb.596:
	s_lshl_b32 s6, s50, 7
	s_mul_i32 s7, s20, s8
	s_mul_hi_u32 s11, s7, s6
	s_mul_i32 s10, s7, s6
	s_lshl_b64 s[10:11], s[10:11], 1
	v_lshlrev_b32_e32 v4, 6, v55
	s_add_u32 s7, s48, s10
	v_lshl_or_b32 v0, v0, 10, v4
	s_mov_b32 s9, 0
	s_addc_u32 s10, s49, s11
	s_lshl_b32 s8, s24, 7
	v_lshlrev_b32_e32 v2, 5, v1
	v_and_b32_e32 v3, 16, v56
	v_and_b32_e32 v0, 0x1a00, v0
	s_lshl_b64 s[8:9], s[8:9], 1
	v_or3_b32 v0, v0, v2, v3
	s_add_u32 s7, s7, s8
	s_addc_u32 s8, s10, s9
	ds_read_b128 v[4:7], v0 offset:128
	ds_read_b128 v[8:11], v0
	v_add_u32_e32 v14, s25, v1
	v_mov_b32_e32 v3, s8
	v_add_co_u32_e32 v2, vcc, s7, v54
	v_mad_u64_u32 v[12:13], s[8:9], v14, s6, 0
	v_addc_co_u32_e32 v3, vcc, 0, v3, vcc
	v_lshlrev_b64 v[12:13], 1, v[12:13]
	v_add_co_u32_e32 v12, vcc, v2, v12
	v_addc_co_u32_e32 v13, vcc, v3, v13, vcc
	s_waitcnt lgkmcnt(0)
	global_store_dwordx4 v[12:13], v[8:11], off
	s_nop 0
	v_add_u32_e32 v8, 4, v14
	v_mad_u64_u32 v[8:9], s[8:9], v8, s6, 0
	v_lshlrev_b64 v[8:9], 1, v[8:9]
	v_add_co_u32_e32 v8, vcc, v2, v8
	v_addc_co_u32_e32 v9, vcc, v3, v9, vcc
	global_store_dwordx4 v[8:9], v[4:7], off
	s_and_b64 exec, exec, s[4:5]
	s_cbranch_execz .LBB918_598
; %bb.597:
	ds_read_b128 v[4:7], v0 offset:256
	v_add3_u32 v0, s25, v1, 8
	v_mad_u64_u32 v[0:1], s[4:5], v0, s6, 0
	v_lshlrev_b64 v[0:1], 1, v[0:1]
	v_add_co_u32_e32 v0, vcc, v2, v0
	v_addc_co_u32_e32 v1, vcc, v3, v1, vcc
	s_waitcnt lgkmcnt(0)
	global_store_dwordx4 v[0:1], v[4:7], off
.LBB918_598:
	s_endpgm
	.section	.rodata,"a",@progbits
	.p2align	6, 0x0
	.amdhsa_kernel _Z39paged_attention_ll4mi_QKV_mfma16_kernelI14__hip_bfloat16hLN4vllm18Fp8KVCacheDataTypeE1ES0_Li16ELi128ELi256ELb0ELi9EL8MFMAType0EEvPKT_PKT0_S9_ifPKiSB_SB_iPKfiiiPfSE_PS4_PT2_iSD_SD_
		.amdhsa_group_segment_fixed_size 8192
		.amdhsa_private_segment_fixed_size 352
		.amdhsa_kernarg_size 400
		.amdhsa_user_sgpr_count 8
		.amdhsa_user_sgpr_private_segment_buffer 1
		.amdhsa_user_sgpr_dispatch_ptr 0
		.amdhsa_user_sgpr_queue_ptr 0
		.amdhsa_user_sgpr_kernarg_segment_ptr 1
		.amdhsa_user_sgpr_dispatch_id 0
		.amdhsa_user_sgpr_flat_scratch_init 1
		.amdhsa_user_sgpr_kernarg_preload_length 0
		.amdhsa_user_sgpr_kernarg_preload_offset 0
		.amdhsa_user_sgpr_private_segment_size 0
		.amdhsa_uses_dynamic_stack 0
		.amdhsa_system_sgpr_private_segment_wavefront_offset 1
		.amdhsa_system_sgpr_workgroup_id_x 1
		.amdhsa_system_sgpr_workgroup_id_y 1
		.amdhsa_system_sgpr_workgroup_id_z 1
		.amdhsa_system_sgpr_workgroup_info 0
		.amdhsa_system_vgpr_workitem_id 0
		.amdhsa_next_free_vgpr 76
		.amdhsa_next_free_sgpr 53
		.amdhsa_accum_offset 76
		.amdhsa_reserve_vcc 1
		.amdhsa_reserve_flat_scratch 0
		.amdhsa_float_round_mode_32 0
		.amdhsa_float_round_mode_16_64 0
		.amdhsa_float_denorm_mode_32 3
		.amdhsa_float_denorm_mode_16_64 3
		.amdhsa_dx10_clamp 1
		.amdhsa_ieee_mode 1
		.amdhsa_fp16_overflow 0
		.amdhsa_tg_split 0
		.amdhsa_exception_fp_ieee_invalid_op 0
		.amdhsa_exception_fp_denorm_src 0
		.amdhsa_exception_fp_ieee_div_zero 0
		.amdhsa_exception_fp_ieee_overflow 0
		.amdhsa_exception_fp_ieee_underflow 0
		.amdhsa_exception_fp_ieee_inexact 0
		.amdhsa_exception_int_div_zero 0
	.end_amdhsa_kernel
	.section	.text._Z39paged_attention_ll4mi_QKV_mfma16_kernelI14__hip_bfloat16hLN4vllm18Fp8KVCacheDataTypeE1ES0_Li16ELi128ELi256ELb0ELi9EL8MFMAType0EEvPKT_PKT0_S9_ifPKiSB_SB_iPKfiiiPfSE_PS4_PT2_iSD_SD_,"axG",@progbits,_Z39paged_attention_ll4mi_QKV_mfma16_kernelI14__hip_bfloat16hLN4vllm18Fp8KVCacheDataTypeE1ES0_Li16ELi128ELi256ELb0ELi9EL8MFMAType0EEvPKT_PKT0_S9_ifPKiSB_SB_iPKfiiiPfSE_PS4_PT2_iSD_SD_,comdat
.Lfunc_end918:
	.size	_Z39paged_attention_ll4mi_QKV_mfma16_kernelI14__hip_bfloat16hLN4vllm18Fp8KVCacheDataTypeE1ES0_Li16ELi128ELi256ELb0ELi9EL8MFMAType0EEvPKT_PKT0_S9_ifPKiSB_SB_iPKfiiiPfSE_PS4_PT2_iSD_SD_, .Lfunc_end918-_Z39paged_attention_ll4mi_QKV_mfma16_kernelI14__hip_bfloat16hLN4vllm18Fp8KVCacheDataTypeE1ES0_Li16ELi128ELi256ELb0ELi9EL8MFMAType0EEvPKT_PKT0_S9_ifPKiSB_SB_iPKfiiiPfSE_PS4_PT2_iSD_SD_
                                        ; -- End function
	.section	.AMDGPU.csdata,"",@progbits
; Kernel info:
; codeLenInByte = 22256
; NumSgprs: 57
; NumVgprs: 76
; NumAgprs: 0
; TotalNumVgprs: 76
; ScratchSize: 352
; MemoryBound: 0
; FloatMode: 240
; IeeeMode: 1
; LDSByteSize: 8192 bytes/workgroup (compile time only)
; SGPRBlocks: 7
; VGPRBlocks: 9
; NumSGPRsForWavesPerEU: 57
; NumVGPRsForWavesPerEU: 76
; AccumOffset: 76
; Occupancy: 6
; WaveLimiterHint : 1
; COMPUTE_PGM_RSRC2:SCRATCH_EN: 1
; COMPUTE_PGM_RSRC2:USER_SGPR: 8
; COMPUTE_PGM_RSRC2:TRAP_HANDLER: 0
; COMPUTE_PGM_RSRC2:TGID_X_EN: 1
; COMPUTE_PGM_RSRC2:TGID_Y_EN: 1
; COMPUTE_PGM_RSRC2:TGID_Z_EN: 1
; COMPUTE_PGM_RSRC2:TIDIG_COMP_CNT: 0
; COMPUTE_PGM_RSRC3_GFX90A:ACCUM_OFFSET: 18
; COMPUTE_PGM_RSRC3_GFX90A:TG_SPLIT: 0
	.section	.text._Z39paged_attention_ll4mi_QKV_mfma16_kernelI14__hip_bfloat16hLN4vllm18Fp8KVCacheDataTypeE1ES0_Li16ELi128ELi256ELb0ELi10EL8MFMAType0EEvPKT_PKT0_S9_ifPKiSB_SB_iPKfiiiPfSE_PS4_PT2_iSD_SD_,"axG",@progbits,_Z39paged_attention_ll4mi_QKV_mfma16_kernelI14__hip_bfloat16hLN4vllm18Fp8KVCacheDataTypeE1ES0_Li16ELi128ELi256ELb0ELi10EL8MFMAType0EEvPKT_PKT0_S9_ifPKiSB_SB_iPKfiiiPfSE_PS4_PT2_iSD_SD_,comdat
	.protected	_Z39paged_attention_ll4mi_QKV_mfma16_kernelI14__hip_bfloat16hLN4vllm18Fp8KVCacheDataTypeE1ES0_Li16ELi128ELi256ELb0ELi10EL8MFMAType0EEvPKT_PKT0_S9_ifPKiSB_SB_iPKfiiiPfSE_PS4_PT2_iSD_SD_ ; -- Begin function _Z39paged_attention_ll4mi_QKV_mfma16_kernelI14__hip_bfloat16hLN4vllm18Fp8KVCacheDataTypeE1ES0_Li16ELi128ELi256ELb0ELi10EL8MFMAType0EEvPKT_PKT0_S9_ifPKiSB_SB_iPKfiiiPfSE_PS4_PT2_iSD_SD_
	.globl	_Z39paged_attention_ll4mi_QKV_mfma16_kernelI14__hip_bfloat16hLN4vllm18Fp8KVCacheDataTypeE1ES0_Li16ELi128ELi256ELb0ELi10EL8MFMAType0EEvPKT_PKT0_S9_ifPKiSB_SB_iPKfiiiPfSE_PS4_PT2_iSD_SD_
	.p2align	8
	.type	_Z39paged_attention_ll4mi_QKV_mfma16_kernelI14__hip_bfloat16hLN4vllm18Fp8KVCacheDataTypeE1ES0_Li16ELi128ELi256ELb0ELi10EL8MFMAType0EEvPKT_PKT0_S9_ifPKiSB_SB_iPKfiiiPfSE_PS4_PT2_iSD_SD_,@function
_Z39paged_attention_ll4mi_QKV_mfma16_kernelI14__hip_bfloat16hLN4vllm18Fp8KVCacheDataTypeE1ES0_Li16ELi128ELi256ELb0ELi10EL8MFMAType0EEvPKT_PKT0_S9_ifPKiSB_SB_iPKfiiiPfSE_PS4_PT2_iSD_SD_: ; @_Z39paged_attention_ll4mi_QKV_mfma16_kernelI14__hip_bfloat16hLN4vllm18Fp8KVCacheDataTypeE1ES0_Li16ELi128ELi256ELb0ELi10EL8MFMAType0EEvPKT_PKT0_S9_ifPKiSB_SB_iPKfiiiPfSE_PS4_PT2_iSD_SD_
; %bb.0:
	s_load_dwordx2 s[6:7], s[4:5], 0x30
	s_add_u32 s0, s0, s11
	s_addc_u32 s1, s1, 0
	s_mov_b32 s24, s9
	s_mov_b64 s[12:13], 0
	s_waitcnt lgkmcnt(0)
	s_cmp_lg_u64 s[6:7], 0
	s_cselect_b64 s[16:17], -1, 0
	s_and_b64 vcc, exec, s[16:17]
	s_cbranch_vccz .LBB919_7
; %bb.1:
	s_add_i32 s14, s8, 1
	s_mov_b32 s15, 0
	s_lshl_b64 s[18:19], s[14:15], 2
	s_add_u32 s18, s6, s18
	s_mov_b32 s9, s15
	s_addc_u32 s19, s7, s19
	s_lshl_b64 s[14:15], s[8:9], 2
	s_add_u32 s14, s6, s14
	s_addc_u32 s15, s7, s15
	s_load_dword s11, s[18:19], 0x0
	s_load_dword s20, s[14:15], 0x0
	s_waitcnt lgkmcnt(0)
	s_sub_i32 s11, s11, s20
	s_cmp_eq_u32 s11, 1
	s_cselect_b64 s[14:15], -1, 0
	s_andn2_b64 vcc, exec, s[12:13]
	s_cbranch_vccnz .LBB919_3
.LBB919_2:
	s_mov_b32 s9, 0
	s_mov_b64 s[14:15], -1
.LBB919_3:
	s_andn2_b64 vcc, exec, s[14:15]
	s_cbranch_vccnz .LBB919_598
; %bb.4:
	s_load_dwordx2 s[12:13], s[4:5], 0x28
	s_lshl_b64 s[18:19], s[8:9], 2
	s_waitcnt lgkmcnt(0)
	s_add_u32 s12, s12, s18
	s_addc_u32 s13, s13, s19
	s_load_dword s33, s[12:13], 0x0
	s_lshl_b32 s20, s24, 8
	s_waitcnt lgkmcnt(0)
	s_cmp_ge_i32 s20, s33
	s_cbranch_scc1 .LBB919_598
; %bb.5:
	s_add_i32 s14, s33, 15
	s_load_dwordx2 s[12:13], s[4:5], 0x20
	s_load_dword s11, s[4:5], 0x38
	s_ashr_i32 s15, s14, 31
	v_and_b32_e32 v1, 0xcf, v0
	s_lshr_b32 s15, s15, 28
	v_add_u32_e32 v1, s20, v1
	s_add_i32 s14, s14, s15
	v_ashrrev_i32_e32 v2, 31, v1
	s_ashr_i32 s22, s14, 4
	v_lshrrev_b32_e32 v6, 28, v2
	s_add_i32 s22, s22, -1
	v_add_u32_e32 v2, v1, v6
	s_waitcnt lgkmcnt(0)
	s_mul_i32 s14, s8, s11
	s_mov_b32 s15, 0
	v_ashrrev_i32_e32 v2, 4, v2
	v_mov_b32_e32 v7, s22
	v_cmp_gt_i32_e32 vcc, s33, v1
	s_lshl_b64 s[14:15], s[14:15], 2
	v_cndmask_b32_e32 v2, v7, v2, vcc
	s_add_u32 s11, s12, s14
	v_ashrrev_i32_e32 v3, 31, v2
	s_addc_u32 s21, s13, s15
	v_lshlrev_b64 v[2:3], 2, v[2:3]
	v_mov_b32_e32 v5, s21
	v_add_co_u32_e32 v4, vcc, s11, v2
	v_or_b32_e32 v2, 16, v1
	v_addc_co_u32_e32 v5, vcc, v5, v3, vcc
	v_add_u32_e32 v3, v2, v6
	v_ashrrev_i32_e32 v3, 4, v3
	v_cmp_gt_i32_e32 vcc, s33, v2
	v_cndmask_b32_e32 v2, v7, v3, vcc
	v_ashrrev_i32_e32 v3, 31, v2
	v_lshlrev_b64 v[2:3], 2, v[2:3]
	v_mov_b32_e32 v9, s21
	v_add_co_u32_e32 v8, vcc, s11, v2
	v_or_b32_e32 v2, 32, v1
	v_addc_co_u32_e32 v9, vcc, v9, v3, vcc
	v_add_u32_e32 v3, v2, v6
	v_ashrrev_i32_e32 v3, 4, v3
	v_cmp_gt_i32_e32 vcc, s33, v2
	v_cndmask_b32_e32 v2, v7, v3, vcc
	v_ashrrev_i32_e32 v3, 31, v2
	;; [unrolled: 10-line block ×3, first 2 shown]
	v_lshlrev_b64 v[2:3], 2, v[2:3]
	v_mov_b32_e32 v1, s21
	v_add_co_u32_e32 v12, vcc, s11, v2
	v_addc_co_u32_e32 v13, vcc, v1, v3, vcc
	global_load_dword v3, v[4:5], off
	global_load_dword v2, v[8:9], off
	;; [unrolled: 1-line block ×4, first 2 shown]
	s_load_dwordx4 s[12:15], s[4:5], 0x8
	s_andn2_b64 vcc, exec, s[16:17]
	s_cbranch_vccnz .LBB919_8
; %bb.6:
	s_add_u32 s6, s6, s18
	s_addc_u32 s7, s7, s19
	s_load_dword s16, s[6:7], 0x0
	s_branch .LBB919_9
.LBB919_7:
	s_mov_b64 s[14:15], 0
	s_branch .LBB919_2
.LBB919_8:
	s_mov_b32 s16, s8
.LBB919_9:
	s_load_dwordx2 s[48:49], s[4:5], 0x68
	s_load_dwordx8 s[40:47], s[4:5], 0x48
	v_lshrrev_b32_e32 v62, 6, v0
	v_bfe_u32 v1, v0, 4, 2
	v_and_b32_e32 v55, 15, v0
	v_lshl_or_b32 v4, v62, 2, v1
	v_lshlrev_b32_e32 v5, 3, v55
	s_mul_i32 s25, s10, 10
	v_cmp_gt_u32_e32 vcc, 10, v4
	v_lshlrev_b32_e32 v54, 1, v5
	v_lshlrev_b32_e32 v56, 4, v0
	s_and_saveexec_b64 s[6:7], vcc
	s_cbranch_execz .LBB919_11
; %bb.10:
	s_load_dwordx2 s[18:19], s[4:5], 0x0
	s_waitcnt lgkmcnt(0)
	s_ashr_i32 s17, s40, 31
	s_mul_hi_u32 s23, s16, s40
	s_mul_i32 s17, s16, s17
	s_add_i32 s17, s23, s17
	s_mul_i32 s16, s16, s40
	s_lshl_b64 s[16:17], s[16:17], 1
	v_add_lshl_u32 v8, v4, s25, 7
	s_add_u32 s16, s18, s16
	v_ashrrev_i32_e32 v9, 31, v8
	s_addc_u32 s17, s19, s17
	v_lshlrev_b64 v[8:9], 1, v[8:9]
	v_mov_b32_e32 v5, s17
	v_add_co_u32_e32 v7, vcc, s16, v8
	v_addc_co_u32_e32 v5, vcc, v5, v9, vcc
	v_add_co_u32_e32 v8, vcc, v7, v54
	v_addc_co_u32_e32 v9, vcc, 0, v5, vcc
	global_load_dwordx4 v[8:11], v[8:9], off
	v_lshlrev_b32_e32 v7, 8, v0
	v_lshlrev_b32_e32 v5, 8, v55
	v_and_b32_e32 v7, 0x600, v7
	s_movk_i32 s16, 0x800
	v_and_or_b32 v5, v5, s16, v7
	v_lshlrev_b32_e32 v4, 5, v4
	v_and_b32_e32 v7, 16, v56
	v_or3_b32 v4, v5, v4, v7
	s_waitcnt vmcnt(0)
	ds_write_b128 v4, v[8:11]
.LBB919_11:
	s_or_b64 exec, exec, s[6:7]
	v_and_b32_e32 v7, 48, v0
	v_or_b32_e32 v14, s20, v7
	v_ashrrev_i32_e32 v4, 4, v14
	v_mov_b32_e32 v15, s22
	v_cmp_gt_i32_e32 vcc, s33, v14
	v_cndmask_b32_e32 v4, v15, v4, vcc
	v_ashrrev_i32_e32 v5, 31, v4
	v_lshlrev_b64 v[4:5], 2, v[4:5]
	v_mov_b32_e32 v8, s21
	v_add_co_u32_e32 v4, vcc, s11, v4
	v_addc_co_u32_e32 v5, vcc, v8, v5, vcc
	v_or_b32_e32 v8, 64, v14
	v_ashrrev_i32_e32 v9, 4, v8
	v_cmp_gt_i32_e32 vcc, s33, v8
	v_cndmask_b32_e32 v8, v15, v9, vcc
	v_ashrrev_i32_e32 v9, 31, v8
	v_lshlrev_b64 v[8:9], 2, v[8:9]
	v_mov_b32_e32 v10, s21
	v_add_co_u32_e32 v8, vcc, s11, v8
	v_addc_co_u32_e32 v9, vcc, v10, v9, vcc
	v_or_b32_e32 v10, 0x80, v14
	v_ashrrev_i32_e32 v11, 4, v10
	v_cmp_gt_i32_e32 vcc, s33, v10
	v_cndmask_b32_e32 v10, v15, v11, vcc
	v_ashrrev_i32_e32 v11, 31, v10
	v_lshlrev_b64 v[10:11], 2, v[10:11]
	v_mov_b32_e32 v16, s21
	v_add_co_u32_e32 v10, vcc, s11, v10
	s_load_dwordx2 s[50:51], s[4:5], 0x94
	s_waitcnt lgkmcnt(0)
	s_barrier
	v_addc_co_u32_e32 v11, vcc, v16, v11, vcc
	global_load_dword v50, v[4:5], off
	global_load_dword v57, v[8:9], off
	;; [unrolled: 1-line block ×3, first 2 shown]
	v_or_b32_e32 v4, 0xc0, v14
	v_ashrrev_i32_e32 v5, 4, v4
	v_cmp_gt_i32_e32 vcc, s33, v4
	v_cndmask_b32_e32 v4, v15, v5, vcc
	v_ashrrev_i32_e32 v5, 31, v4
	v_lshlrev_b64 v[4:5], 2, v[4:5]
	v_mov_b32_e32 v8, s21
	v_add_co_u32_e32 v4, vcc, s11, v4
	v_addc_co_u32_e32 v5, vcc, v8, v5, vcc
	s_mul_i32 s10, s10, s42
	global_load_dword v72, v[4:5], off
	s_add_u32 s6, s12, s10
	s_addc_u32 s7, s13, 0
	v_and_b32_e32 v12, 0xf0, v56
	v_mov_b32_e32 v13, s7
	v_add_co_u32_e32 v20, vcc, s6, v12
	v_addc_co_u32_e32 v21, vcc, 0, v13, vcc
	v_lshlrev_b32_e32 v28, 4, v7
	s_waitcnt vmcnt(7)
	v_mad_i64_i32 v[4:5], s[6:7], v3, s41, v[20:21]
	v_add_co_u32_e32 v4, vcc, v4, v28
	v_addc_co_u32_e32 v5, vcc, 0, v5, vcc
	global_load_dwordx4 v[38:41], v[4:5], off
	global_load_dwordx4 v[10:13], v[4:5], off offset:1024
	s_waitcnt vmcnt(8)
	v_mad_i64_i32 v[2:3], s[6:7], v2, s41, v[20:21]
	v_add_co_u32_e32 v8, vcc, v2, v28
	v_addc_co_u32_e32 v9, vcc, 0, v3, vcc
	s_waitcnt vmcnt(7)
	v_mad_i64_i32 v[6:7], s[6:7], v6, s41, v[20:21]
	v_add_co_u32_e32 v26, vcc, v6, v28
	v_addc_co_u32_e32 v27, vcc, 0, v7, vcc
	s_waitcnt vmcnt(6)
	v_mad_i64_i32 v[18:19], s[6:7], v18, s41, v[20:21]
	v_add_co_u32_e32 v30, vcc, v18, v28
	s_add_u32 s10, s14, s10
	v_lshl_or_b32 v63, v62, 4, v55
	global_load_dwordx4 v[14:17], v[8:9], off
	global_load_dwordx4 v[2:5], v[8:9], off offset:1024
	v_addc_co_u32_e32 v31, vcc, 0, v19, vcc
	s_addc_u32 s11, s15, 0
	v_lshlrev_b32_e32 v51, 4, v63
	global_load_dwordx4 v[6:9], v[26:27], off
	global_load_dwordx4 v[22:25], v[26:27], off offset:1024
	s_nop 0
	global_load_dwordx4 v[26:29], v[30:31], off
	global_load_dwordx4 v[18:21], v[30:31], off offset:1024
	v_mov_b32_e32 v30, s11
	v_add_co_u32_e32 v42, vcc, s10, v51
	v_addc_co_u32_e32 v43, vcc, 0, v30, vcc
	v_or_b32_e32 v51, 0x400, v51
	v_mov_b32_e32 v52, s11
	v_add_co_u32_e32 v58, vcc, s10, v51
	v_addc_co_u32_e32 v59, vcc, 0, v52, vcc
	v_cmp_gt_u32_e32 vcc, 10, v55
	s_mov_b32 s12, 0
	s_movk_i32 s13, 0x80
	s_movk_i32 s14, 0x7f
	s_mov_b32 s15, 0xffffff
	s_mov_b32 s16, 0x5040100
	s_waitcnt vmcnt(11)
	v_mad_i64_i32 v[30:31], s[6:7], v50, s41, v[42:43]
	s_waitcnt vmcnt(10)
	v_mad_i64_i32 v[32:33], s[6:7], v57, s41, v[42:43]
	;; [unrolled: 2-line block ×3, first 2 shown]
	global_load_dwordx4 v[34:37], v[30:31], off
	s_nop 0
	global_load_dwordx4 v[30:33], v[32:33], off
	v_mad_i64_i32 v[50:51], s[6:7], v50, s41, v[58:59]
	v_mad_i64_i32 v[60:61], s[6:7], v57, s41, v[58:59]
	s_waitcnt vmcnt(10)
	v_mad_i64_i32 v[42:43], s[6:7], v72, s41, v[42:43]
	global_load_dwordx4 v[46:49], v[44:45], off
	s_nop 0
	global_load_dwordx4 v[42:45], v[42:43], off
	s_nop 0
	;; [unrolled: 2-line block ×3, first 2 shown]
	global_load_dwordx4 v[64:67], v[60:61], off
	s_waitcnt vmcnt(13)
	buffer_store_dword v41, off, s[0:3], 0 offset:12
	buffer_store_dword v40, off, s[0:3], 0 offset:8
	v_mad_i64_i32 v[40:41], s[6:7], v68, s41, v[58:59]
	global_load_dwordx4 v[68:71], v[40:41], off
	v_mad_i64_i32 v[40:41], s[6:7], v72, s41, v[58:59]
	global_load_dwordx4 v[72:75], v[40:41], off
	s_nop 0
	buffer_store_dword v39, off, s[0:3], 0 offset:4
	buffer_store_dword v38, off, s[0:3], 0
	s_waitcnt vmcnt(18)
	buffer_store_dword v13, off, s[0:3], 0 offset:28
	buffer_store_dword v12, off, s[0:3], 0 offset:24
	;; [unrolled: 1-line block ×4, first 2 shown]
	s_waitcnt vmcnt(21)
	buffer_store_dword v17, off, s[0:3], 0 offset:44
	buffer_store_dword v16, off, s[0:3], 0 offset:40
	;; [unrolled: 1-line block ×4, first 2 shown]
	s_load_dword s6, s[4:5], 0x1c
	s_load_dwordx4 s[40:43], s[4:5], 0x80
	s_waitcnt vmcnt(24)
	buffer_store_dword v5, off, s[0:3], 0 offset:60
	buffer_store_dword v4, off, s[0:3], 0 offset:56
	;; [unrolled: 1-line block ×4, first 2 shown]
	v_add_u32_e32 v2, -10, v55
	v_cndmask_b32_e32 v2, v2, v55, vcc
	v_lshlrev_b32_e32 v2, 5, v2
	v_mov_b32_e32 v10, 0x80
	s_waitcnt vmcnt(27)
	buffer_store_dword v9, off, s[0:3], 0 offset:76
	buffer_store_dword v8, off, s[0:3], 0 offset:72
	;; [unrolled: 1-line block ×4, first 2 shown]
	v_lshl_add_u32 v14, v1, 9, v2
	v_add_u32_e32 v39, 16, v10
	v_add_u32_e32 v61, 32, v10
	;; [unrolled: 1-line block ×7, first 2 shown]
	ds_read_b128 v[2:5], v14
	ds_read_b128 v[6:9], v14 offset:16
	ds_read_b128 v[10:13], v14 offset:2048
	;; [unrolled: 1-line block ×3, first 2 shown]
	s_waitcnt vmcnt(30)
	buffer_store_dword v25, off, s[0:3], 0 offset:92
	buffer_store_dword v24, off, s[0:3], 0 offset:88
	buffer_store_dword v23, off, s[0:3], 0 offset:84
	buffer_store_dword v22, off, s[0:3], 0 offset:80
	s_waitcnt vmcnt(33)
	buffer_store_dword v29, off, s[0:3], 0 offset:108
	buffer_store_dword v28, off, s[0:3], 0 offset:104
	buffer_store_dword v27, off, s[0:3], 0 offset:100
	buffer_store_dword v26, off, s[0:3], 0 offset:96
	;; [unrolled: 5-line block ×3, first 2 shown]
	s_waitcnt lgkmcnt(0)
	v_mov_b32_e32 v18, s6
	v_and_b32_e32 v38, 63, v0
	v_mov_b32_e32 v27, 0
	s_waitcnt vmcnt(39)
	buffer_store_dword v37, off, s[0:3], 0 offset:140
	buffer_store_dword v36, off, s[0:3], 0 offset:136
	buffer_store_dword v35, off, s[0:3], 0 offset:132
	buffer_store_dword v34, off, s[0:3], 0 offset:128
	s_waitcnt vmcnt(42)
	buffer_store_dword v33, off, s[0:3], 0 offset:172
	buffer_store_dword v32, off, s[0:3], 0 offset:168
	buffer_store_dword v31, off, s[0:3], 0 offset:164
	buffer_store_dword v30, off, s[0:3], 0 offset:160
	;; [unrolled: 5-line block ×7, first 2 shown]
	s_waitcnt vmcnt(58)
	buffer_store_dword v75, off, s[0:3], 0 offset:252
	s_load_dword s4, s[40:41], 0x0
	v_mov_b32_e32 v29, 0x100
	v_mov_b32_e32 v31, 0
	v_bfrev_b32_e32 v33, 60
	buffer_store_dword v74, off, s[0:3], 0 offset:248
	buffer_store_dword v73, off, s[0:3], 0 offset:244
	buffer_store_dword v72, off, s[0:3], 0 offset:240
	s_waitcnt lgkmcnt(0)
	v_mul_f32_e32 v22, s4, v18
	v_mov_b32_e32 v24, v22
	v_mov_b32_e32 v25, v22
	s_branch .LBB919_15
.LBB919_12:                             ;   in Loop: Header=BB919_15 Depth=1
	s_or_b64 exec, exec, s[10:11]
.LBB919_13:                             ;   in Loop: Header=BB919_15 Depth=1
	s_or_b64 exec, exec, s[6:7]
.LBB919_14:                             ;   in Loop: Header=BB919_15 Depth=1
	s_or_b64 exec, exec, s[4:5]
	v_perm_b32 v43, v36, v32, s16
	v_perm_b32 v42, v23, v34, s16
	;; [unrolled: 1-line block ×4, first 2 shown]
	v_add_u32_e32 v26, s12, v29
	v_mfma_f32_16x16x16bf16_1k v[18:21], v[42:43], v[14:15], v[18:21]
	s_add_i32 s12, s12, 16
	v_mov_b32_e32 v23, v22
	s_cmp_eq_u32 s12, 64
	v_add_u32_e32 v27, 32, v27
	v_mfma_f32_16x16x16bf16_1k v[18:21], v[36:37], v[16:17], v[18:21]
	s_nop 7
	s_nop 2
	v_pk_mul_f32 v[18:19], v[24:25], v[18:19]
	v_pk_mul_f32 v[20:21], v[22:23], v[20:21]
	buffer_store_dword v19, v26, s[0:3], 0 offen offset:4
	buffer_store_dword v18, v26, s[0:3], 0 offen
	buffer_store_dword v21, v26, s[0:3], 0 offen offset:12
	buffer_store_dword v20, v26, s[0:3], 0 offen offset:8
	s_cbranch_scc1 .LBB919_205
.LBB919_15:                             ; =>This Inner Loop Header: Depth=1
	buffer_load_dword v20, v27, s[0:3], 0 offen
	buffer_load_dword v18, v27, s[0:3], 0 offen offset:4
	buffer_load_dword v28, v27, s[0:3], 0 offen offset:8
	;; [unrolled: 1-line block ×3, first 2 shown]
	v_mov_b32_e32 v19, 0
	s_waitcnt vmcnt(3)
	v_cmp_ne_u16_sdwa s[6:7], v20, v31 src0_sel:BYTE_0 src1_sel:DWORD
	s_and_saveexec_b64 s[4:5], s[6:7]
	s_cbranch_execz .LBB919_21
; %bb.16:                               ;   in Loop: Header=BB919_15 Depth=1
	v_cmp_ne_u16_sdwa s[10:11], v20, s13 src0_sel:BYTE_0 src1_sel:DWORD
	v_mov_b32_e32 v19, 0xffff8000
	s_and_saveexec_b64 s[6:7], s[10:11]
	s_cbranch_execz .LBB919_20
; %bb.17:                               ;   in Loop: Header=BB919_15 Depth=1
	v_and_b32_e32 v21, 0x7f, v20
	v_cmp_ne_u32_e32 vcc, s14, v21
	v_mov_b32_e32 v19, 0x7f80
	s_and_saveexec_b64 s[10:11], vcc
	s_cbranch_execz .LBB919_19
; %bb.18:                               ;   in Loop: Header=BB919_15 Depth=1
	v_and_b32_e32 v19, 7, v20
	v_ffbh_u32_e32 v30, v19
	v_min_u32_e32 v30, 32, v30
	v_subrev_u32_e32 v32, 28, v30
	v_lshlrev_b64 v[34:35], v32, v[20:21]
	v_lshrrev_b32_e32 v23, 3, v21
	v_sub_u32_e32 v30, 29, v30
	v_and_b32_e32 v32, 7, v34
	v_cmp_gt_u32_e32 vcc, 8, v21
	v_cndmask_b32_e32 v21, v23, v30, vcc
	v_cndmask_b32_e32 v19, v19, v32, vcc
	v_lshlrev_b32_e32 v23, 24, v20
	v_lshlrev_b32_e32 v19, 20, v19
	v_and_b32_e32 v23, 0x80000000, v23
	v_lshl_add_u32 v21, v21, 23, v33
	v_or3_b32 v19, v23, v21, v19
	v_lshrrev_b32_e32 v19, 16, v19
.LBB919_19:                             ;   in Loop: Header=BB919_15 Depth=1
	s_or_b64 exec, exec, s[10:11]
.LBB919_20:                             ;   in Loop: Header=BB919_15 Depth=1
	s_or_b64 exec, exec, s[6:7]
.LBB919_21:                             ;   in Loop: Header=BB919_15 Depth=1
	s_or_b64 exec, exec, s[4:5]
	v_lshrrev_b16_e32 v30, 8, v20
	v_cmp_ne_u16_e32 vcc, 0, v30
	v_mov_b32_e32 v23, 0
	v_mov_b32_e32 v21, 0
	s_and_saveexec_b64 s[4:5], vcc
	s_cbranch_execz .LBB919_27
; %bb.22:                               ;   in Loop: Header=BB919_15 Depth=1
	v_cmp_ne_u16_e32 vcc, s13, v30
	v_mov_b32_e32 v21, 0xffff8000
	s_and_saveexec_b64 s[6:7], vcc
	s_cbranch_execz .LBB919_26
; %bb.23:                               ;   in Loop: Header=BB919_15 Depth=1
	v_and_b32_e32 v32, 0x7f, v30
	v_cmp_ne_u32_e32 vcc, s14, v32
	v_mov_b32_e32 v21, 0x7f80
	s_and_saveexec_b64 s[10:11], vcc
	s_cbranch_execz .LBB919_25
; %bb.24:                               ;   in Loop: Header=BB919_15 Depth=1
	v_and_b32_e32 v21, 7, v30
	v_ffbh_u32_e32 v34, v21
	v_min_u32_e32 v37, 32, v34
	v_subrev_u32_e32 v34, 28, v37
	v_lshlrev_b64 v[34:35], v34, v[30:31]
	v_lshrrev_b32_e32 v36, 3, v32
	v_sub_u32_e32 v30, 29, v37
	v_and_b32_e32 v34, 7, v34
	v_cmp_gt_u32_e32 vcc, 8, v32
	v_cndmask_b32_e32 v30, v36, v30, vcc
	v_cndmask_b32_e32 v21, v21, v34, vcc
	v_lshlrev_b32_e32 v32, 16, v20
	v_lshlrev_b32_e32 v21, 20, v21
	v_and_b32_e32 v32, 0x80000000, v32
	v_lshl_add_u32 v30, v30, 23, v33
	v_or3_b32 v21, v32, v30, v21
	v_lshrrev_b32_e32 v21, 16, v21
.LBB919_25:                             ;   in Loop: Header=BB919_15 Depth=1
	s_or_b64 exec, exec, s[10:11]
.LBB919_26:                             ;   in Loop: Header=BB919_15 Depth=1
	s_or_b64 exec, exec, s[6:7]
.LBB919_27:                             ;   in Loop: Header=BB919_15 Depth=1
	s_or_b64 exec, exec, s[4:5]
	v_lshrrev_b32_e32 v30, 16, v20
	v_cmp_ne_u16_sdwa s[6:7], v30, v31 src0_sel:BYTE_0 src1_sel:DWORD
	s_and_saveexec_b64 s[4:5], s[6:7]
	s_cbranch_execz .LBB919_33
; %bb.28:                               ;   in Loop: Header=BB919_15 Depth=1
	v_cmp_ne_u16_sdwa s[10:11], v30, s13 src0_sel:BYTE_0 src1_sel:DWORD
	v_mov_b32_e32 v23, 0xffff8000
	s_and_saveexec_b64 s[6:7], s[10:11]
	s_cbranch_execz .LBB919_32
; %bb.29:                               ;   in Loop: Header=BB919_15 Depth=1
	v_bfe_u32 v32, v20, 16, 7
	v_cmp_ne_u32_e32 vcc, s14, v32
	v_mov_b32_e32 v23, 0x7f80
	s_and_saveexec_b64 s[10:11], vcc
	s_cbranch_execz .LBB919_31
; %bb.30:                               ;   in Loop: Header=BB919_15 Depth=1
	v_and_b32_e32 v23, 7, v30
	v_ffbh_u32_e32 v34, v23
	v_min_u32_e32 v37, 32, v34
	v_subrev_u32_e32 v34, 28, v37
	v_lshlrev_b64 v[34:35], v34, v[30:31]
	v_lshrrev_b32_e32 v36, 3, v32
	v_sub_u32_e32 v35, 29, v37
	v_and_b32_e32 v34, 7, v34
	v_cmp_gt_u32_e32 vcc, 8, v32
	v_cndmask_b32_e32 v32, v36, v35, vcc
	v_cndmask_b32_e32 v23, v23, v34, vcc
	v_lshlrev_b32_e32 v30, 24, v30
	v_lshlrev_b32_e32 v23, 20, v23
	v_and_b32_e32 v30, 0x80000000, v30
	v_lshl_add_u32 v32, v32, 23, v33
	v_or3_b32 v23, v30, v32, v23
	v_lshrrev_b32_e32 v23, 16, v23
.LBB919_31:                             ;   in Loop: Header=BB919_15 Depth=1
	s_or_b64 exec, exec, s[10:11]
.LBB919_32:                             ;   in Loop: Header=BB919_15 Depth=1
	s_or_b64 exec, exec, s[6:7]
.LBB919_33:                             ;   in Loop: Header=BB919_15 Depth=1
	s_or_b64 exec, exec, s[4:5]
	v_cmp_lt_u32_e32 vcc, s15, v20
	v_mov_b32_e32 v34, 0
	v_mov_b32_e32 v35, 0
	s_and_saveexec_b64 s[4:5], vcc
	s_cbranch_execz .LBB919_39
; %bb.34:                               ;   in Loop: Header=BB919_15 Depth=1
	v_lshrrev_b32_e32 v30, 24, v20
	v_cmp_ne_u32_e32 vcc, s13, v30
	v_mov_b32_e32 v35, 0xffff8000
	s_and_saveexec_b64 s[6:7], vcc
	s_cbranch_execz .LBB919_38
; %bb.35:                               ;   in Loop: Header=BB919_15 Depth=1
	v_bfe_u32 v20, v20, 24, 7
	v_cmp_ne_u32_e32 vcc, s14, v20
	v_mov_b32_e32 v35, 0x7f80
	s_and_saveexec_b64 s[10:11], vcc
	s_cbranch_execz .LBB919_37
; %bb.36:                               ;   in Loop: Header=BB919_15 Depth=1
	v_and_b32_e32 v32, 7, v30
	v_ffbh_u32_e32 v36, v32
	v_min_u32_e32 v40, 32, v36
	v_subrev_u32_e32 v36, 28, v40
	v_lshlrev_b64 v[36:37], v36, v[30:31]
	v_lshrrev_b32_e32 v35, 3, v20
	v_sub_u32_e32 v37, 29, v40
	v_and_b32_e32 v36, 7, v36
	v_cmp_gt_u32_e32 vcc, 8, v20
	v_cndmask_b32_e32 v20, v35, v37, vcc
	v_cndmask_b32_e32 v32, v32, v36, vcc
	v_lshlrev_b32_e32 v30, 24, v30
	v_lshlrev_b32_e32 v32, 20, v32
	v_and_b32_e32 v30, 0x80000000, v30
	v_lshl_add_u32 v20, v20, 23, v33
	v_or3_b32 v20, v30, v20, v32
	v_lshrrev_b32_e32 v35, 16, v20
.LBB919_37:                             ;   in Loop: Header=BB919_15 Depth=1
	s_or_b64 exec, exec, s[10:11]
.LBB919_38:                             ;   in Loop: Header=BB919_15 Depth=1
	s_or_b64 exec, exec, s[6:7]
.LBB919_39:                             ;   in Loop: Header=BB919_15 Depth=1
	s_or_b64 exec, exec, s[4:5]
	s_waitcnt vmcnt(2)
	v_cmp_ne_u16_sdwa s[6:7], v18, v31 src0_sel:BYTE_0 src1_sel:DWORD
	s_and_saveexec_b64 s[4:5], s[6:7]
	s_cbranch_execz .LBB919_45
; %bb.40:                               ;   in Loop: Header=BB919_15 Depth=1
	v_cmp_ne_u16_sdwa s[10:11], v18, s13 src0_sel:BYTE_0 src1_sel:DWORD
	v_mov_b32_e32 v34, 0xffff8000
	s_and_saveexec_b64 s[6:7], s[10:11]
	s_cbranch_execz .LBB919_44
; %bb.41:                               ;   in Loop: Header=BB919_15 Depth=1
	v_and_b32_e32 v20, 0x7f, v18
	v_cmp_ne_u32_e32 vcc, s14, v20
	v_mov_b32_e32 v34, 0x7f80
	s_and_saveexec_b64 s[10:11], vcc
	s_cbranch_execz .LBB919_43
; %bb.42:                               ;   in Loop: Header=BB919_15 Depth=1
	v_and_b32_e32 v30, 7, v18
	v_ffbh_u32_e32 v34, v30
	v_min_u32_e32 v34, 32, v34
	v_subrev_u32_e32 v36, 28, v34
	v_lshlrev_b64 v[36:37], v36, v[18:19]
	v_lshrrev_b32_e32 v32, 3, v20
	v_sub_u32_e32 v34, 29, v34
	v_and_b32_e32 v36, 7, v36
	v_cmp_gt_u32_e32 vcc, 8, v20
	v_cndmask_b32_e32 v20, v32, v34, vcc
	v_cndmask_b32_e32 v30, v30, v36, vcc
	v_lshlrev_b32_e32 v32, 24, v18
	v_lshlrev_b32_e32 v30, 20, v30
	v_and_b32_e32 v32, 0x80000000, v32
	v_lshl_add_u32 v20, v20, 23, v33
	v_or3_b32 v20, v32, v20, v30
	v_lshrrev_b32_e32 v34, 16, v20
.LBB919_43:                             ;   in Loop: Header=BB919_15 Depth=1
	s_or_b64 exec, exec, s[10:11]
.LBB919_44:                             ;   in Loop: Header=BB919_15 Depth=1
	s_or_b64 exec, exec, s[6:7]
.LBB919_45:                             ;   in Loop: Header=BB919_15 Depth=1
	s_or_b64 exec, exec, s[4:5]
	v_lshrrev_b16_e32 v20, 8, v18
	v_cmp_ne_u16_e32 vcc, 0, v20
	v_mov_b32_e32 v36, 0
	v_mov_b32_e32 v30, 0
	s_and_saveexec_b64 s[4:5], vcc
	s_cbranch_execz .LBB919_51
; %bb.46:                               ;   in Loop: Header=BB919_15 Depth=1
	v_cmp_ne_u16_e32 vcc, s13, v20
	v_mov_b32_e32 v30, 0xffff8000
	s_and_saveexec_b64 s[6:7], vcc
	s_cbranch_execz .LBB919_50
; %bb.47:                               ;   in Loop: Header=BB919_15 Depth=1
	v_and_b32_e32 v32, 0x7f, v20
	v_cmp_ne_u32_e32 vcc, s14, v32
	v_mov_b32_e32 v30, 0x7f80
	s_and_saveexec_b64 s[10:11], vcc
	s_cbranch_execz .LBB919_49
; %bb.48:                               ;   in Loop: Header=BB919_15 Depth=1
	v_and_b32_e32 v30, 7, v20
	v_ffbh_u32_e32 v40, v30
	v_min_u32_e32 v40, 32, v40
	v_subrev_u32_e32 v42, 28, v40
	v_lshlrev_b64 v[42:43], v42, v[20:21]
	v_lshrrev_b32_e32 v37, 3, v32
	v_sub_u32_e32 v20, 29, v40
	v_and_b32_e32 v40, 7, v42
	v_cmp_gt_u32_e32 vcc, 8, v32
	v_cndmask_b32_e32 v20, v37, v20, vcc
	v_cndmask_b32_e32 v30, v30, v40, vcc
	v_lshlrev_b32_e32 v32, 16, v18
	v_lshlrev_b32_e32 v30, 20, v30
	v_and_b32_e32 v32, 0x80000000, v32
	v_lshl_add_u32 v20, v20, 23, v33
	v_or3_b32 v20, v32, v20, v30
	v_lshrrev_b32_e32 v30, 16, v20
.LBB919_49:                             ;   in Loop: Header=BB919_15 Depth=1
	s_or_b64 exec, exec, s[10:11]
.LBB919_50:                             ;   in Loop: Header=BB919_15 Depth=1
	s_or_b64 exec, exec, s[6:7]
.LBB919_51:                             ;   in Loop: Header=BB919_15 Depth=1
	s_or_b64 exec, exec, s[4:5]
	v_lshrrev_b32_e32 v20, 16, v18
	v_cmp_ne_u16_sdwa s[6:7], v20, v31 src0_sel:BYTE_0 src1_sel:DWORD
	s_and_saveexec_b64 s[4:5], s[6:7]
	s_cbranch_execz .LBB919_57
; %bb.52:                               ;   in Loop: Header=BB919_15 Depth=1
	v_cmp_ne_u16_sdwa s[10:11], v20, s13 src0_sel:BYTE_0 src1_sel:DWORD
	v_mov_b32_e32 v36, 0xffff8000
	s_and_saveexec_b64 s[6:7], s[10:11]
	s_cbranch_execz .LBB919_56
; %bb.53:                               ;   in Loop: Header=BB919_15 Depth=1
	v_bfe_u32 v32, v18, 16, 7
	v_cmp_ne_u32_e32 vcc, s14, v32
	v_mov_b32_e32 v36, 0x7f80
	s_and_saveexec_b64 s[10:11], vcc
	s_cbranch_execz .LBB919_55
; %bb.54:                               ;   in Loop: Header=BB919_15 Depth=1
	v_and_b32_e32 v40, 7, v20
	v_ffbh_u32_e32 v36, v40
	v_min_u32_e32 v43, 32, v36
	v_subrev_u32_e32 v36, 28, v43
	v_lshlrev_b64 v[36:37], v36, v[20:21]
	v_lshrrev_b32_e32 v42, 3, v32
	v_sub_u32_e32 v37, 29, v43
	v_and_b32_e32 v36, 7, v36
	v_cmp_gt_u32_e32 vcc, 8, v32
	v_cndmask_b32_e32 v32, v42, v37, vcc
	v_cndmask_b32_e32 v36, v40, v36, vcc
	v_lshlrev_b32_e32 v20, 24, v20
	v_lshlrev_b32_e32 v36, 20, v36
	v_and_b32_e32 v20, 0x80000000, v20
	v_lshl_add_u32 v32, v32, 23, v33
	v_or3_b32 v20, v20, v32, v36
	v_lshrrev_b32_e32 v36, 16, v20
.LBB919_55:                             ;   in Loop: Header=BB919_15 Depth=1
	s_or_b64 exec, exec, s[10:11]
.LBB919_56:                             ;   in Loop: Header=BB919_15 Depth=1
	s_or_b64 exec, exec, s[6:7]
.LBB919_57:                             ;   in Loop: Header=BB919_15 Depth=1
	s_or_b64 exec, exec, s[4:5]
	v_cmp_lt_u32_e32 vcc, s15, v18
	v_mov_b32_e32 v32, 0
	v_mov_b32_e32 v37, 0
	s_and_saveexec_b64 s[4:5], vcc
	s_cbranch_execz .LBB919_63
; %bb.58:                               ;   in Loop: Header=BB919_15 Depth=1
	v_lshrrev_b32_e32 v20, 24, v18
	v_cmp_ne_u32_e32 vcc, s13, v20
	v_mov_b32_e32 v37, 0xffff8000
	s_and_saveexec_b64 s[6:7], vcc
	s_cbranch_execz .LBB919_62
; %bb.59:                               ;   in Loop: Header=BB919_15 Depth=1
	v_bfe_u32 v18, v18, 24, 7
	v_cmp_ne_u32_e32 vcc, s14, v18
	v_mov_b32_e32 v37, 0x7f80
	s_and_saveexec_b64 s[10:11], vcc
	s_cbranch_execz .LBB919_61
; %bb.60:                               ;   in Loop: Header=BB919_15 Depth=1
	v_and_b32_e32 v37, 7, v20
	v_ffbh_u32_e32 v42, v37
	v_min_u32_e32 v44, 32, v42
	v_subrev_u32_e32 v42, 28, v44
	v_lshlrev_b64 v[42:43], v42, v[20:21]
	v_lshrrev_b32_e32 v40, 3, v18
	v_sub_u32_e32 v43, 29, v44
	v_and_b32_e32 v42, 7, v42
	v_cmp_gt_u32_e32 vcc, 8, v18
	v_cndmask_b32_e32 v18, v40, v43, vcc
	v_cndmask_b32_e32 v37, v37, v42, vcc
	v_lshlrev_b32_e32 v20, 24, v20
	v_lshlrev_b32_e32 v37, 20, v37
	v_and_b32_e32 v20, 0x80000000, v20
	v_lshl_add_u32 v18, v18, 23, v33
	v_or3_b32 v18, v20, v18, v37
	v_lshrrev_b32_e32 v37, 16, v18
.LBB919_61:                             ;   in Loop: Header=BB919_15 Depth=1
	s_or_b64 exec, exec, s[10:11]
.LBB919_62:                             ;   in Loop: Header=BB919_15 Depth=1
	s_or_b64 exec, exec, s[6:7]
.LBB919_63:                             ;   in Loop: Header=BB919_15 Depth=1
	s_or_b64 exec, exec, s[4:5]
	v_perm_b32 v43, v35, v23, s16
	v_perm_b32 v42, v21, v19, s16
	;; [unrolled: 1-line block ×4, first 2 shown]
	s_waitcnt vmcnt(1)
	v_cmp_ne_u16_sdwa s[6:7], v28, v31 src0_sel:BYTE_0 src1_sel:DWORD
	v_mfma_f32_16x16x16bf16_1k v[18:21], v[42:43], v[2:3], 0
	v_mfma_f32_16x16x16bf16_1k v[18:21], v[34:35], v[4:5], v[18:21]
	s_and_saveexec_b64 s[4:5], s[6:7]
	s_cbranch_execz .LBB919_69
; %bb.64:                               ;   in Loop: Header=BB919_15 Depth=1
	v_cmp_ne_u16_sdwa s[10:11], v28, s13 src0_sel:BYTE_0 src1_sel:DWORD
	v_mov_b32_e32 v32, 0xffff8000
	s_and_saveexec_b64 s[6:7], s[10:11]
	s_cbranch_execz .LBB919_68
; %bb.65:                               ;   in Loop: Header=BB919_15 Depth=1
	v_and_b32_e32 v23, 0x7f, v28
	v_cmp_ne_u32_e32 vcc, s14, v23
	v_mov_b32_e32 v32, 0x7f80
	s_and_saveexec_b64 s[10:11], vcc
	s_cbranch_execz .LBB919_67
; %bb.66:                               ;   in Loop: Header=BB919_15 Depth=1
	v_and_b32_e32 v30, 7, v28
	v_ffbh_u32_e32 v34, v30
	v_min_u32_e32 v36, 32, v34
	v_subrev_u32_e32 v34, 28, v36
	v_lshlrev_b64 v[34:35], v34, v[28:29]
	v_lshrrev_b32_e32 v32, 3, v23
	v_sub_u32_e32 v35, 29, v36
	v_and_b32_e32 v34, 7, v34
	v_cmp_gt_u32_e32 vcc, 8, v23
	v_cndmask_b32_e32 v23, v32, v35, vcc
	v_cndmask_b32_e32 v30, v30, v34, vcc
	v_lshlrev_b32_e32 v32, 24, v28
	v_lshlrev_b32_e32 v30, 20, v30
	v_and_b32_e32 v32, 0x80000000, v32
	v_lshl_add_u32 v23, v23, 23, v33
	v_or3_b32 v23, v32, v23, v30
	v_lshrrev_b32_e32 v32, 16, v23
.LBB919_67:                             ;   in Loop: Header=BB919_15 Depth=1
	s_or_b64 exec, exec, s[10:11]
.LBB919_68:                             ;   in Loop: Header=BB919_15 Depth=1
	s_or_b64 exec, exec, s[6:7]
.LBB919_69:                             ;   in Loop: Header=BB919_15 Depth=1
	s_or_b64 exec, exec, s[4:5]
	v_lshrrev_b16_e32 v30, 8, v28
	v_cmp_ne_u16_e32 vcc, 0, v30
	v_mov_b32_e32 v35, 0
	v_mov_b32_e32 v34, 0
	s_and_saveexec_b64 s[4:5], vcc
	s_cbranch_execz .LBB919_75
; %bb.70:                               ;   in Loop: Header=BB919_15 Depth=1
	v_cmp_ne_u16_e32 vcc, s13, v30
	v_mov_b32_e32 v34, 0xffff8000
	s_and_saveexec_b64 s[6:7], vcc
	s_cbranch_execz .LBB919_74
; %bb.71:                               ;   in Loop: Header=BB919_15 Depth=1
	v_and_b32_e32 v23, 0x7f, v30
	v_cmp_ne_u32_e32 vcc, s14, v23
	v_mov_b32_e32 v34, 0x7f80
	s_and_saveexec_b64 s[10:11], vcc
	s_cbranch_execz .LBB919_73
; %bb.72:                               ;   in Loop: Header=BB919_15 Depth=1
	v_and_b32_e32 v34, 7, v30
	v_ffbh_u32_e32 v36, v34
	v_min_u32_e32 v42, 32, v36
	v_subrev_u32_e32 v36, 28, v42
	v_lshlrev_b64 v[36:37], v36, v[30:31]
	v_lshrrev_b32_e32 v40, 3, v23
	v_sub_u32_e32 v30, 29, v42
	v_and_b32_e32 v36, 7, v36
	v_cmp_gt_u32_e32 vcc, 8, v23
	v_cndmask_b32_e32 v23, v40, v30, vcc
	v_cndmask_b32_e32 v30, v34, v36, vcc
	v_lshlrev_b32_e32 v34, 16, v28
	v_lshlrev_b32_e32 v30, 20, v30
	v_and_b32_e32 v34, 0x80000000, v34
	v_lshl_add_u32 v23, v23, 23, v33
	v_or3_b32 v23, v34, v23, v30
	v_lshrrev_b32_e32 v34, 16, v23
.LBB919_73:                             ;   in Loop: Header=BB919_15 Depth=1
	s_or_b64 exec, exec, s[10:11]
.LBB919_74:                             ;   in Loop: Header=BB919_15 Depth=1
	s_or_b64 exec, exec, s[6:7]
.LBB919_75:                             ;   in Loop: Header=BB919_15 Depth=1
	s_or_b64 exec, exec, s[4:5]
	v_lshrrev_b32_e32 v30, 16, v28
	v_cmp_ne_u16_sdwa s[6:7], v30, v31 src0_sel:BYTE_0 src1_sel:DWORD
	s_and_saveexec_b64 s[4:5], s[6:7]
	s_cbranch_execz .LBB919_81
; %bb.76:                               ;   in Loop: Header=BB919_15 Depth=1
	v_cmp_ne_u16_sdwa s[10:11], v30, s13 src0_sel:BYTE_0 src1_sel:DWORD
	v_mov_b32_e32 v35, 0xffff8000
	s_and_saveexec_b64 s[6:7], s[10:11]
	s_cbranch_execz .LBB919_80
; %bb.77:                               ;   in Loop: Header=BB919_15 Depth=1
	v_bfe_u32 v23, v28, 16, 7
	v_cmp_ne_u32_e32 vcc, s14, v23
	v_mov_b32_e32 v35, 0x7f80
	s_and_saveexec_b64 s[10:11], vcc
	s_cbranch_execz .LBB919_79
; %bb.78:                               ;   in Loop: Header=BB919_15 Depth=1
	v_and_b32_e32 v35, 7, v30
	v_ffbh_u32_e32 v36, v35
	v_min_u32_e32 v42, 32, v36
	v_subrev_u32_e32 v36, 28, v42
	v_lshlrev_b64 v[36:37], v36, v[30:31]
	v_lshrrev_b32_e32 v40, 3, v23
	v_sub_u32_e32 v37, 29, v42
	v_and_b32_e32 v36, 7, v36
	v_cmp_gt_u32_e32 vcc, 8, v23
	v_cndmask_b32_e32 v23, v40, v37, vcc
	v_cndmask_b32_e32 v35, v35, v36, vcc
	v_lshlrev_b32_e32 v30, 24, v30
	v_lshlrev_b32_e32 v35, 20, v35
	v_and_b32_e32 v30, 0x80000000, v30
	v_lshl_add_u32 v23, v23, 23, v33
	v_or3_b32 v23, v30, v23, v35
	v_lshrrev_b32_e32 v35, 16, v23
.LBB919_79:                             ;   in Loop: Header=BB919_15 Depth=1
	s_or_b64 exec, exec, s[10:11]
.LBB919_80:                             ;   in Loop: Header=BB919_15 Depth=1
	s_or_b64 exec, exec, s[6:7]
.LBB919_81:                             ;   in Loop: Header=BB919_15 Depth=1
	s_or_b64 exec, exec, s[4:5]
	v_cmp_lt_u32_e32 vcc, s15, v28
	v_mov_b32_e32 v36, 0
	v_mov_b32_e32 v37, 0
	s_and_saveexec_b64 s[4:5], vcc
	s_cbranch_execz .LBB919_87
; %bb.82:                               ;   in Loop: Header=BB919_15 Depth=1
	v_lshrrev_b32_e32 v30, 24, v28
	v_cmp_ne_u32_e32 vcc, s13, v30
	v_mov_b32_e32 v37, 0xffff8000
	s_and_saveexec_b64 s[6:7], vcc
	s_cbranch_execz .LBB919_86
; %bb.83:                               ;   in Loop: Header=BB919_15 Depth=1
	v_bfe_u32 v23, v28, 24, 7
	v_cmp_ne_u32_e32 vcc, s14, v23
	v_mov_b32_e32 v37, 0x7f80
	s_and_saveexec_b64 s[10:11], vcc
	s_cbranch_execz .LBB919_85
; %bb.84:                               ;   in Loop: Header=BB919_15 Depth=1
	v_and_b32_e32 v28, 7, v30
	v_ffbh_u32_e32 v40, v28
	v_min_u32_e32 v40, 32, v40
	v_subrev_u32_e32 v42, 28, v40
	v_lshlrev_b64 v[42:43], v42, v[30:31]
	v_lshrrev_b32_e32 v37, 3, v23
	v_sub_u32_e32 v40, 29, v40
	v_and_b32_e32 v42, 7, v42
	v_cmp_gt_u32_e32 vcc, 8, v23
	v_cndmask_b32_e32 v23, v37, v40, vcc
	v_cndmask_b32_e32 v28, v28, v42, vcc
	v_lshlrev_b32_e32 v30, 24, v30
	v_lshlrev_b32_e32 v28, 20, v28
	v_and_b32_e32 v30, 0x80000000, v30
	v_lshl_add_u32 v23, v23, 23, v33
	v_or3_b32 v23, v30, v23, v28
	v_lshrrev_b32_e32 v37, 16, v23
.LBB919_85:                             ;   in Loop: Header=BB919_15 Depth=1
	s_or_b64 exec, exec, s[10:11]
.LBB919_86:                             ;   in Loop: Header=BB919_15 Depth=1
	s_or_b64 exec, exec, s[6:7]
.LBB919_87:                             ;   in Loop: Header=BB919_15 Depth=1
	s_or_b64 exec, exec, s[4:5]
	s_waitcnt vmcnt(0)
	v_cmp_ne_u16_sdwa s[6:7], v26, v31 src0_sel:BYTE_0 src1_sel:DWORD
	s_and_saveexec_b64 s[4:5], s[6:7]
	s_cbranch_execz .LBB919_93
; %bb.88:                               ;   in Loop: Header=BB919_15 Depth=1
	v_cmp_ne_u16_sdwa s[10:11], v26, s13 src0_sel:BYTE_0 src1_sel:DWORD
	v_mov_b32_e32 v36, 0xffff8000
	s_and_saveexec_b64 s[6:7], s[10:11]
	s_cbranch_execz .LBB919_92
; %bb.89:                               ;   in Loop: Header=BB919_15 Depth=1
	v_and_b32_e32 v23, 0x7f, v26
	v_cmp_ne_u32_e32 vcc, s14, v23
	v_mov_b32_e32 v36, 0x7f80
	s_and_saveexec_b64 s[10:11], vcc
	s_cbranch_execz .LBB919_91
; %bb.90:                               ;   in Loop: Header=BB919_15 Depth=1
	v_and_b32_e32 v28, 7, v26
	v_ffbh_u32_e32 v36, v28
	v_min_u32_e32 v36, 32, v36
	v_subrev_u32_e32 v40, 28, v36
	v_lshlrev_b64 v[42:43], v40, v[26:27]
	v_lshrrev_b32_e32 v30, 3, v23
	v_sub_u32_e32 v36, 29, v36
	v_and_b32_e32 v40, 7, v42
	v_cmp_gt_u32_e32 vcc, 8, v23
	v_cndmask_b32_e32 v23, v30, v36, vcc
	v_cndmask_b32_e32 v28, v28, v40, vcc
	v_lshlrev_b32_e32 v30, 24, v26
	v_lshlrev_b32_e32 v28, 20, v28
	v_and_b32_e32 v30, 0x80000000, v30
	v_lshl_add_u32 v23, v23, 23, v33
	v_or3_b32 v23, v30, v23, v28
	v_lshrrev_b32_e32 v36, 16, v23
.LBB919_91:                             ;   in Loop: Header=BB919_15 Depth=1
	s_or_b64 exec, exec, s[10:11]
.LBB919_92:                             ;   in Loop: Header=BB919_15 Depth=1
	s_or_b64 exec, exec, s[6:7]
.LBB919_93:                             ;   in Loop: Header=BB919_15 Depth=1
	s_or_b64 exec, exec, s[4:5]
	v_lshrrev_b16_e32 v28, 8, v26
	v_cmp_ne_u16_e32 vcc, 0, v28
	v_mov_b32_e32 v42, 0
	v_mov_b32_e32 v40, 0
	s_and_saveexec_b64 s[4:5], vcc
	s_cbranch_execz .LBB919_99
; %bb.94:                               ;   in Loop: Header=BB919_15 Depth=1
	v_cmp_ne_u16_e32 vcc, s13, v28
	v_mov_b32_e32 v40, 0xffff8000
	s_and_saveexec_b64 s[6:7], vcc
	s_cbranch_execz .LBB919_98
; %bb.95:                               ;   in Loop: Header=BB919_15 Depth=1
	v_and_b32_e32 v23, 0x7f, v28
	v_cmp_ne_u32_e32 vcc, s14, v23
	v_mov_b32_e32 v40, 0x7f80
	s_and_saveexec_b64 s[10:11], vcc
	s_cbranch_execz .LBB919_97
; %bb.96:                               ;   in Loop: Header=BB919_15 Depth=1
	v_and_b32_e32 v30, 7, v28
	v_ffbh_u32_e32 v43, v30
	v_min_u32_e32 v43, 32, v43
	v_subrev_u32_e32 v44, 28, v43
	v_lshlrev_b64 v[44:45], v44, v[28:29]
	v_lshrrev_b32_e32 v40, 3, v23
	v_sub_u32_e32 v28, 29, v43
	v_and_b32_e32 v43, 7, v44
	v_cmp_gt_u32_e32 vcc, 8, v23
	v_cndmask_b32_e32 v23, v40, v28, vcc
	v_cndmask_b32_e32 v28, v30, v43, vcc
	v_lshlrev_b32_e32 v30, 16, v26
	v_lshlrev_b32_e32 v28, 20, v28
	v_and_b32_e32 v30, 0x80000000, v30
	v_lshl_add_u32 v23, v23, 23, v33
	v_or3_b32 v23, v30, v23, v28
	v_lshrrev_b32_e32 v40, 16, v23
.LBB919_97:                             ;   in Loop: Header=BB919_15 Depth=1
	s_or_b64 exec, exec, s[10:11]
.LBB919_98:                             ;   in Loop: Header=BB919_15 Depth=1
	s_or_b64 exec, exec, s[6:7]
.LBB919_99:                             ;   in Loop: Header=BB919_15 Depth=1
	s_or_b64 exec, exec, s[4:5]
	v_lshrrev_b32_e32 v28, 16, v26
	v_cmp_ne_u16_sdwa s[6:7], v28, v31 src0_sel:BYTE_0 src1_sel:DWORD
	s_and_saveexec_b64 s[4:5], s[6:7]
	s_cbranch_execz .LBB919_105
; %bb.100:                              ;   in Loop: Header=BB919_15 Depth=1
	v_cmp_ne_u16_sdwa s[10:11], v28, s13 src0_sel:BYTE_0 src1_sel:DWORD
	v_mov_b32_e32 v42, 0xffff8000
	s_and_saveexec_b64 s[6:7], s[10:11]
	s_cbranch_execz .LBB919_104
; %bb.101:                              ;   in Loop: Header=BB919_15 Depth=1
	v_bfe_u32 v23, v26, 16, 7
	v_cmp_ne_u32_e32 vcc, s14, v23
	v_mov_b32_e32 v42, 0x7f80
	s_and_saveexec_b64 s[10:11], vcc
	s_cbranch_execz .LBB919_103
; %bb.102:                              ;   in Loop: Header=BB919_15 Depth=1
	v_and_b32_e32 v30, 7, v28
	v_ffbh_u32_e32 v42, v30
	v_min_u32_e32 v45, 32, v42
	v_subrev_u32_e32 v42, 28, v45
	v_lshlrev_b64 v[42:43], v42, v[28:29]
	v_lshrrev_b32_e32 v44, 3, v23
	v_sub_u32_e32 v43, 29, v45
	v_and_b32_e32 v42, 7, v42
	v_cmp_gt_u32_e32 vcc, 8, v23
	v_cndmask_b32_e32 v23, v44, v43, vcc
	v_cndmask_b32_e32 v30, v30, v42, vcc
	v_lshlrev_b32_e32 v28, 24, v28
	v_lshlrev_b32_e32 v30, 20, v30
	v_and_b32_e32 v28, 0x80000000, v28
	v_lshl_add_u32 v23, v23, 23, v33
	v_or3_b32 v23, v28, v23, v30
	v_lshrrev_b32_e32 v42, 16, v23
.LBB919_103:                            ;   in Loop: Header=BB919_15 Depth=1
	s_or_b64 exec, exec, s[10:11]
.LBB919_104:                            ;   in Loop: Header=BB919_15 Depth=1
	s_or_b64 exec, exec, s[6:7]
.LBB919_105:                            ;   in Loop: Header=BB919_15 Depth=1
	s_or_b64 exec, exec, s[4:5]
	v_cmp_lt_u32_e32 vcc, s15, v26
	v_mov_b32_e32 v23, 0
	v_mov_b32_e32 v43, 0
	s_and_saveexec_b64 s[4:5], vcc
	s_cbranch_execz .LBB919_111
; %bb.106:                              ;   in Loop: Header=BB919_15 Depth=1
	v_lshrrev_b32_e32 v28, 24, v26
	v_cmp_ne_u32_e32 vcc, s13, v28
	v_mov_b32_e32 v43, 0xffff8000
	s_and_saveexec_b64 s[6:7], vcc
	s_cbranch_execz .LBB919_110
; %bb.107:                              ;   in Loop: Header=BB919_15 Depth=1
	v_bfe_u32 v26, v26, 24, 7
	v_cmp_ne_u32_e32 vcc, s14, v26
	v_mov_b32_e32 v43, 0x7f80
	s_and_saveexec_b64 s[10:11], vcc
	s_cbranch_execz .LBB919_109
; %bb.108:                              ;   in Loop: Header=BB919_15 Depth=1
	v_and_b32_e32 v30, 7, v28
	v_ffbh_u32_e32 v44, v30
	v_min_u32_e32 v46, 32, v44
	v_subrev_u32_e32 v44, 28, v46
	v_lshlrev_b64 v[44:45], v44, v[28:29]
	v_lshrrev_b32_e32 v43, 3, v26
	v_sub_u32_e32 v45, 29, v46
	v_and_b32_e32 v44, 7, v44
	v_cmp_gt_u32_e32 vcc, 8, v26
	v_cndmask_b32_e32 v26, v43, v45, vcc
	v_cndmask_b32_e32 v30, v30, v44, vcc
	v_lshlrev_b32_e32 v28, 24, v28
	v_lshlrev_b32_e32 v30, 20, v30
	v_and_b32_e32 v28, 0x80000000, v28
	v_lshl_add_u32 v26, v26, 23, v33
	v_or3_b32 v26, v28, v26, v30
	v_lshrrev_b32_e32 v43, 16, v26
.LBB919_109:                            ;   in Loop: Header=BB919_15 Depth=1
	s_or_b64 exec, exec, s[10:11]
.LBB919_110:                            ;   in Loop: Header=BB919_15 Depth=1
	s_or_b64 exec, exec, s[6:7]
.LBB919_111:                            ;   in Loop: Header=BB919_15 Depth=1
	s_or_b64 exec, exec, s[4:5]
	v_perm_b32 v34, v34, v32, s16
	buffer_load_dword v32, v27, s[0:3], 0 offen offset:16
	buffer_load_dword v30, v27, s[0:3], 0 offen offset:20
	;; [unrolled: 1-line block ×4, first 2 shown]
	v_perm_b32 v35, v37, v35, s16
	s_waitcnt vmcnt(3)
	v_cmp_ne_u16_sdwa s[6:7], v32, v31 src0_sel:BYTE_0 src1_sel:DWORD
	v_mfma_f32_16x16x16bf16_1k v[18:21], v[34:35], v[6:7], v[18:21]
	v_perm_b32 v35, v43, v42, s16
	v_perm_b32 v34, v40, v36, s16
	s_nop 1
	v_mfma_f32_16x16x16bf16_1k v[18:21], v[34:35], v[8:9], v[18:21]
	s_and_saveexec_b64 s[4:5], s[6:7]
	s_cbranch_execz .LBB919_117
; %bb.112:                              ;   in Loop: Header=BB919_15 Depth=1
	v_cmp_ne_u16_sdwa s[10:11], v32, s13 src0_sel:BYTE_0 src1_sel:DWORD
	v_mov_b32_e32 v23, 0xffff8000
	s_and_saveexec_b64 s[6:7], s[10:11]
	s_cbranch_execz .LBB919_116
; %bb.113:                              ;   in Loop: Header=BB919_15 Depth=1
	v_and_b32_e32 v34, 0x7f, v32
	v_cmp_ne_u32_e32 vcc, s14, v34
	v_mov_b32_e32 v23, 0x7f80
	s_and_saveexec_b64 s[10:11], vcc
	s_cbranch_execz .LBB919_115
; %bb.114:                              ;   in Loop: Header=BB919_15 Depth=1
	v_and_b32_e32 v23, 7, v32
	v_ffbh_u32_e32 v36, v23
	v_min_u32_e32 v40, 32, v36
	v_subrev_u32_e32 v36, 28, v40
	v_lshlrev_b64 v[36:37], v36, v[32:33]
	v_lshrrev_b32_e32 v35, 3, v34
	v_sub_u32_e32 v37, 29, v40
	v_and_b32_e32 v36, 7, v36
	v_cmp_gt_u32_e32 vcc, 8, v34
	v_cndmask_b32_e32 v34, v35, v37, vcc
	v_cndmask_b32_e32 v23, v23, v36, vcc
	v_lshlrev_b32_e32 v35, 24, v32
	v_lshlrev_b32_e32 v23, 20, v23
	v_and_b32_e32 v35, 0x80000000, v35
	v_lshl_add_u32 v34, v34, 23, v33
	v_or3_b32 v23, v35, v34, v23
	v_lshrrev_b32_e32 v23, 16, v23
.LBB919_115:                            ;   in Loop: Header=BB919_15 Depth=1
	s_or_b64 exec, exec, s[10:11]
.LBB919_116:                            ;   in Loop: Header=BB919_15 Depth=1
	s_or_b64 exec, exec, s[6:7]
.LBB919_117:                            ;   in Loop: Header=BB919_15 Depth=1
	s_or_b64 exec, exec, s[4:5]
	v_lshrrev_b16_e32 v34, 8, v32
	v_cmp_ne_u16_e32 vcc, 0, v34
	v_mov_b32_e32 v36, 0
	v_mov_b32_e32 v35, 0
	s_and_saveexec_b64 s[4:5], vcc
	s_cbranch_execz .LBB919_123
; %bb.118:                              ;   in Loop: Header=BB919_15 Depth=1
	v_cmp_ne_u16_e32 vcc, s13, v34
	v_mov_b32_e32 v35, 0xffff8000
	s_and_saveexec_b64 s[6:7], vcc
	s_cbranch_execz .LBB919_122
; %bb.119:                              ;   in Loop: Header=BB919_15 Depth=1
	v_and_b32_e32 v37, 0x7f, v34
	v_cmp_ne_u32_e32 vcc, s14, v37
	v_mov_b32_e32 v35, 0x7f80
	s_and_saveexec_b64 s[10:11], vcc
	s_cbranch_execz .LBB919_121
; %bb.120:                              ;   in Loop: Header=BB919_15 Depth=1
	v_and_b32_e32 v40, 7, v34
	v_ffbh_u32_e32 v35, v40
	v_min_u32_e32 v43, 32, v35
	v_subrev_u32_e32 v35, 28, v43
	v_lshlrev_b64 v[34:35], v35, v[34:35]
	v_lshrrev_b32_e32 v42, 3, v37
	v_sub_u32_e32 v35, 29, v43
	v_and_b32_e32 v34, 7, v34
	v_cmp_gt_u32_e32 vcc, 8, v37
	v_cndmask_b32_e32 v35, v42, v35, vcc
	v_cndmask_b32_e32 v34, v40, v34, vcc
	v_lshlrev_b32_e32 v37, 16, v32
	v_lshlrev_b32_e32 v34, 20, v34
	v_and_b32_e32 v37, 0x80000000, v37
	v_lshl_add_u32 v35, v35, 23, v33
	v_or3_b32 v34, v37, v35, v34
	v_lshrrev_b32_e32 v35, 16, v34
.LBB919_121:                            ;   in Loop: Header=BB919_15 Depth=1
	s_or_b64 exec, exec, s[10:11]
.LBB919_122:                            ;   in Loop: Header=BB919_15 Depth=1
	s_or_b64 exec, exec, s[6:7]
.LBB919_123:                            ;   in Loop: Header=BB919_15 Depth=1
	s_or_b64 exec, exec, s[4:5]
	v_lshrrev_b32_e32 v34, 16, v32
	v_cmp_ne_u16_sdwa s[6:7], v34, v31 src0_sel:BYTE_0 src1_sel:DWORD
	s_and_saveexec_b64 s[4:5], s[6:7]
	s_cbranch_execz .LBB919_129
; %bb.124:                              ;   in Loop: Header=BB919_15 Depth=1
	v_cmp_ne_u16_sdwa s[10:11], v34, s13 src0_sel:BYTE_0 src1_sel:DWORD
	v_mov_b32_e32 v36, 0xffff8000
	s_and_saveexec_b64 s[6:7], s[10:11]
	s_cbranch_execz .LBB919_128
; %bb.125:                              ;   in Loop: Header=BB919_15 Depth=1
	v_bfe_u32 v37, v32, 16, 7
	v_cmp_ne_u32_e32 vcc, s14, v37
	v_mov_b32_e32 v36, 0x7f80
	s_and_saveexec_b64 s[10:11], vcc
	s_cbranch_execz .LBB919_127
; %bb.126:                              ;   in Loop: Header=BB919_15 Depth=1
	v_and_b32_e32 v36, 7, v34
	v_ffbh_u32_e32 v42, v36
	v_min_u32_e32 v44, 32, v42
	v_subrev_u32_e32 v42, 28, v44
	v_lshlrev_b64 v[42:43], v42, v[34:35]
	v_lshrrev_b32_e32 v40, 3, v37
	v_sub_u32_e32 v43, 29, v44
	v_and_b32_e32 v42, 7, v42
	v_cmp_gt_u32_e32 vcc, 8, v37
	v_cndmask_b32_e32 v37, v40, v43, vcc
	v_cndmask_b32_e32 v36, v36, v42, vcc
	v_lshlrev_b32_e32 v34, 24, v34
	v_lshlrev_b32_e32 v36, 20, v36
	v_and_b32_e32 v34, 0x80000000, v34
	v_lshl_add_u32 v37, v37, 23, v33
	v_or3_b32 v34, v34, v37, v36
	v_lshrrev_b32_e32 v36, 16, v34
.LBB919_127:                            ;   in Loop: Header=BB919_15 Depth=1
	s_or_b64 exec, exec, s[10:11]
.LBB919_128:                            ;   in Loop: Header=BB919_15 Depth=1
	s_or_b64 exec, exec, s[6:7]
.LBB919_129:                            ;   in Loop: Header=BB919_15 Depth=1
	s_or_b64 exec, exec, s[4:5]
	v_cmp_lt_u32_e32 vcc, s15, v32
	v_mov_b32_e32 v37, 0
	v_mov_b32_e32 v40, 0
	s_and_saveexec_b64 s[4:5], vcc
	s_cbranch_execz .LBB919_135
; %bb.130:                              ;   in Loop: Header=BB919_15 Depth=1
	v_lshrrev_b32_e32 v34, 24, v32
	v_cmp_ne_u32_e32 vcc, s13, v34
	v_mov_b32_e32 v40, 0xffff8000
	s_and_saveexec_b64 s[6:7], vcc
	s_cbranch_execz .LBB919_134
; %bb.131:                              ;   in Loop: Header=BB919_15 Depth=1
	v_bfe_u32 v32, v32, 24, 7
	v_cmp_ne_u32_e32 vcc, s14, v32
	v_mov_b32_e32 v40, 0x7f80
	s_and_saveexec_b64 s[10:11], vcc
	s_cbranch_execz .LBB919_133
; %bb.132:                              ;   in Loop: Header=BB919_15 Depth=1
	v_and_b32_e32 v40, 7, v34
	v_ffbh_u32_e32 v42, v40
	v_min_u32_e32 v45, 32, v42
	v_subrev_u32_e32 v42, 28, v45
	v_lshlrev_b64 v[42:43], v42, v[34:35]
	v_lshrrev_b32_e32 v44, 3, v32
	v_sub_u32_e32 v43, 29, v45
	v_and_b32_e32 v42, 7, v42
	v_cmp_gt_u32_e32 vcc, 8, v32
	v_cndmask_b32_e32 v32, v44, v43, vcc
	v_cndmask_b32_e32 v40, v40, v42, vcc
	v_lshlrev_b32_e32 v34, 24, v34
	v_lshlrev_b32_e32 v40, 20, v40
	v_and_b32_e32 v34, 0x80000000, v34
	v_lshl_add_u32 v32, v32, 23, v33
	v_or3_b32 v32, v34, v32, v40
	v_lshrrev_b32_e32 v40, 16, v32
.LBB919_133:                            ;   in Loop: Header=BB919_15 Depth=1
	s_or_b64 exec, exec, s[10:11]
.LBB919_134:                            ;   in Loop: Header=BB919_15 Depth=1
	s_or_b64 exec, exec, s[6:7]
.LBB919_135:                            ;   in Loop: Header=BB919_15 Depth=1
	s_or_b64 exec, exec, s[4:5]
	s_waitcnt vmcnt(2)
	v_cmp_ne_u16_sdwa s[6:7], v30, v31 src0_sel:BYTE_0 src1_sel:DWORD
	s_and_saveexec_b64 s[4:5], s[6:7]
	s_cbranch_execz .LBB919_141
; %bb.136:                              ;   in Loop: Header=BB919_15 Depth=1
	v_cmp_ne_u16_sdwa s[10:11], v30, s13 src0_sel:BYTE_0 src1_sel:DWORD
	v_mov_b32_e32 v37, 0xffff8000
	s_and_saveexec_b64 s[6:7], s[10:11]
	s_cbranch_execz .LBB919_140
; %bb.137:                              ;   in Loop: Header=BB919_15 Depth=1
	v_and_b32_e32 v32, 0x7f, v30
	v_cmp_ne_u32_e32 vcc, s14, v32
	v_mov_b32_e32 v37, 0x7f80
	s_and_saveexec_b64 s[10:11], vcc
	s_cbranch_execz .LBB919_139
; %bb.138:                              ;   in Loop: Header=BB919_15 Depth=1
	v_and_b32_e32 v34, 7, v30
	v_ffbh_u32_e32 v42, v34
	v_min_u32_e32 v44, 32, v42
	v_subrev_u32_e32 v42, 28, v44
	v_lshlrev_b64 v[42:43], v42, v[30:31]
	v_lshrrev_b32_e32 v37, 3, v32
	v_sub_u32_e32 v43, 29, v44
	v_and_b32_e32 v42, 7, v42
	v_cmp_gt_u32_e32 vcc, 8, v32
	v_cndmask_b32_e32 v32, v37, v43, vcc
	v_cndmask_b32_e32 v34, v34, v42, vcc
	v_lshlrev_b32_e32 v37, 24, v30
	v_lshlrev_b32_e32 v34, 20, v34
	v_and_b32_e32 v37, 0x80000000, v37
	v_lshl_add_u32 v32, v32, 23, v33
	v_or3_b32 v32, v37, v32, v34
	v_lshrrev_b32_e32 v37, 16, v32
.LBB919_139:                            ;   in Loop: Header=BB919_15 Depth=1
	s_or_b64 exec, exec, s[10:11]
.LBB919_140:                            ;   in Loop: Header=BB919_15 Depth=1
	s_or_b64 exec, exec, s[6:7]
.LBB919_141:                            ;   in Loop: Header=BB919_15 Depth=1
	s_or_b64 exec, exec, s[4:5]
	v_lshrrev_b16_e32 v32, 8, v30
	v_cmp_ne_u16_e32 vcc, 0, v32
	v_mov_b32_e32 v43, 0
	v_mov_b32_e32 v42, 0
	s_and_saveexec_b64 s[4:5], vcc
	s_cbranch_execz .LBB919_147
; %bb.142:                              ;   in Loop: Header=BB919_15 Depth=1
	v_cmp_ne_u16_e32 vcc, s13, v32
	v_mov_b32_e32 v42, 0xffff8000
	s_and_saveexec_b64 s[6:7], vcc
	s_cbranch_execz .LBB919_146
; %bb.143:                              ;   in Loop: Header=BB919_15 Depth=1
	v_and_b32_e32 v34, 0x7f, v32
	v_cmp_ne_u32_e32 vcc, s14, v34
	v_mov_b32_e32 v42, 0x7f80
	s_and_saveexec_b64 s[10:11], vcc
	s_cbranch_execz .LBB919_145
; %bb.144:                              ;   in Loop: Header=BB919_15 Depth=1
	v_and_b32_e32 v42, 7, v32
	v_ffbh_u32_e32 v44, v42
	v_min_u32_e32 v47, 32, v44
	v_subrev_u32_e32 v44, 28, v47
	v_lshlrev_b64 v[44:45], v44, v[32:33]
	v_lshrrev_b32_e32 v46, 3, v34
	v_sub_u32_e32 v32, 29, v47
	v_and_b32_e32 v44, 7, v44
	v_cmp_gt_u32_e32 vcc, 8, v34
	v_cndmask_b32_e32 v32, v46, v32, vcc
	v_cndmask_b32_e32 v34, v42, v44, vcc
	v_lshlrev_b32_e32 v42, 16, v30
	v_lshlrev_b32_e32 v34, 20, v34
	v_and_b32_e32 v42, 0x80000000, v42
	v_lshl_add_u32 v32, v32, 23, v33
	v_or3_b32 v32, v42, v32, v34
	v_lshrrev_b32_e32 v42, 16, v32
.LBB919_145:                            ;   in Loop: Header=BB919_15 Depth=1
	s_or_b64 exec, exec, s[10:11]
.LBB919_146:                            ;   in Loop: Header=BB919_15 Depth=1
	s_or_b64 exec, exec, s[6:7]
.LBB919_147:                            ;   in Loop: Header=BB919_15 Depth=1
	s_or_b64 exec, exec, s[4:5]
	v_lshrrev_b32_e32 v32, 16, v30
	v_cmp_ne_u16_sdwa s[6:7], v32, v31 src0_sel:BYTE_0 src1_sel:DWORD
	s_and_saveexec_b64 s[4:5], s[6:7]
	s_cbranch_execz .LBB919_153
; %bb.148:                              ;   in Loop: Header=BB919_15 Depth=1
	v_cmp_ne_u16_sdwa s[10:11], v32, s13 src0_sel:BYTE_0 src1_sel:DWORD
	v_mov_b32_e32 v43, 0xffff8000
	s_and_saveexec_b64 s[6:7], s[10:11]
	s_cbranch_execz .LBB919_152
; %bb.149:                              ;   in Loop: Header=BB919_15 Depth=1
	v_bfe_u32 v34, v30, 16, 7
	v_cmp_ne_u32_e32 vcc, s14, v34
	v_mov_b32_e32 v43, 0x7f80
	s_and_saveexec_b64 s[10:11], vcc
	s_cbranch_execz .LBB919_151
; %bb.150:                              ;   in Loop: Header=BB919_15 Depth=1
	v_and_b32_e32 v43, 7, v32
	v_ffbh_u32_e32 v44, v43
	v_min_u32_e32 v47, 32, v44
	v_subrev_u32_e32 v44, 28, v47
	v_lshlrev_b64 v[44:45], v44, v[32:33]
	v_lshrrev_b32_e32 v46, 3, v34
	v_sub_u32_e32 v45, 29, v47
	v_and_b32_e32 v44, 7, v44
	v_cmp_gt_u32_e32 vcc, 8, v34
	v_cndmask_b32_e32 v34, v46, v45, vcc
	v_cndmask_b32_e32 v43, v43, v44, vcc
	v_lshlrev_b32_e32 v32, 24, v32
	v_lshlrev_b32_e32 v43, 20, v43
	v_and_b32_e32 v32, 0x80000000, v32
	v_lshl_add_u32 v34, v34, 23, v33
	v_or3_b32 v32, v32, v34, v43
	v_lshrrev_b32_e32 v43, 16, v32
.LBB919_151:                            ;   in Loop: Header=BB919_15 Depth=1
	s_or_b64 exec, exec, s[10:11]
.LBB919_152:                            ;   in Loop: Header=BB919_15 Depth=1
	s_or_b64 exec, exec, s[6:7]
.LBB919_153:                            ;   in Loop: Header=BB919_15 Depth=1
	s_or_b64 exec, exec, s[4:5]
	v_cmp_lt_u32_e32 vcc, s15, v30
	v_mov_b32_e32 v34, 0
	v_mov_b32_e32 v44, 0
	s_and_saveexec_b64 s[4:5], vcc
	s_cbranch_execz .LBB919_159
; %bb.154:                              ;   in Loop: Header=BB919_15 Depth=1
	v_lshrrev_b32_e32 v32, 24, v30
	v_cmp_ne_u32_e32 vcc, s13, v32
	v_mov_b32_e32 v44, 0xffff8000
	s_and_saveexec_b64 s[6:7], vcc
	s_cbranch_execz .LBB919_158
; %bb.155:                              ;   in Loop: Header=BB919_15 Depth=1
	v_bfe_u32 v30, v30, 24, 7
	v_cmp_ne_u32_e32 vcc, s14, v30
	v_mov_b32_e32 v44, 0x7f80
	s_and_saveexec_b64 s[10:11], vcc
	s_cbranch_execz .LBB919_157
; %bb.156:                              ;   in Loop: Header=BB919_15 Depth=1
	v_and_b32_e32 v46, 7, v32
	v_ffbh_u32_e32 v44, v46
	v_min_u32_e32 v48, 32, v44
	v_subrev_u32_e32 v44, 28, v48
	v_lshlrev_b64 v[44:45], v44, v[32:33]
	v_lshrrev_b32_e32 v47, 3, v30
	v_sub_u32_e32 v45, 29, v48
	v_and_b32_e32 v44, 7, v44
	v_cmp_gt_u32_e32 vcc, 8, v30
	v_cndmask_b32_e32 v30, v47, v45, vcc
	v_cndmask_b32_e32 v44, v46, v44, vcc
	v_lshlrev_b32_e32 v32, 24, v32
	v_lshlrev_b32_e32 v44, 20, v44
	v_and_b32_e32 v32, 0x80000000, v32
	v_lshl_add_u32 v30, v30, 23, v33
	v_or3_b32 v30, v32, v30, v44
	v_lshrrev_b32_e32 v44, 16, v30
.LBB919_157:                            ;   in Loop: Header=BB919_15 Depth=1
	s_or_b64 exec, exec, s[10:11]
.LBB919_158:                            ;   in Loop: Header=BB919_15 Depth=1
	s_or_b64 exec, exec, s[6:7]
.LBB919_159:                            ;   in Loop: Header=BB919_15 Depth=1
	s_or_b64 exec, exec, s[4:5]
	v_perm_b32 v47, v40, v36, s16
	v_perm_b32 v46, v35, v23, s16
	;; [unrolled: 1-line block ×4, first 2 shown]
	s_waitcnt vmcnt(1)
	v_cmp_ne_u16_sdwa s[6:7], v28, v31 src0_sel:BYTE_0 src1_sel:DWORD
	v_mfma_f32_16x16x16bf16_1k v[18:21], v[46:47], v[10:11], v[18:21]
	v_mfma_f32_16x16x16bf16_1k v[18:21], v[42:43], v[12:13], v[18:21]
	s_and_saveexec_b64 s[4:5], s[6:7]
	s_cbranch_execz .LBB919_165
; %bb.160:                              ;   in Loop: Header=BB919_15 Depth=1
	v_cmp_ne_u16_sdwa s[10:11], v28, s13 src0_sel:BYTE_0 src1_sel:DWORD
	v_mov_b32_e32 v34, 0xffff8000
	s_and_saveexec_b64 s[6:7], s[10:11]
	s_cbranch_execz .LBB919_164
; %bb.161:                              ;   in Loop: Header=BB919_15 Depth=1
	v_and_b32_e32 v23, 0x7f, v28
	v_cmp_ne_u32_e32 vcc, s14, v23
	v_mov_b32_e32 v34, 0x7f80
	s_and_saveexec_b64 s[10:11], vcc
	s_cbranch_execz .LBB919_163
; %bb.162:                              ;   in Loop: Header=BB919_15 Depth=1
	v_and_b32_e32 v30, 7, v28
	v_ffbh_u32_e32 v34, v30
	v_min_u32_e32 v36, 32, v34
	v_subrev_u32_e32 v34, 28, v36
	v_lshlrev_b64 v[34:35], v34, v[28:29]
	v_lshrrev_b32_e32 v32, 3, v23
	v_sub_u32_e32 v35, 29, v36
	v_and_b32_e32 v34, 7, v34
	v_cmp_gt_u32_e32 vcc, 8, v23
	v_cndmask_b32_e32 v23, v32, v35, vcc
	v_cndmask_b32_e32 v30, v30, v34, vcc
	v_lshlrev_b32_e32 v32, 24, v28
	v_lshlrev_b32_e32 v30, 20, v30
	v_and_b32_e32 v32, 0x80000000, v32
	v_lshl_add_u32 v23, v23, 23, v33
	v_or3_b32 v23, v32, v23, v30
	v_lshrrev_b32_e32 v34, 16, v23
.LBB919_163:                            ;   in Loop: Header=BB919_15 Depth=1
	s_or_b64 exec, exec, s[10:11]
.LBB919_164:                            ;   in Loop: Header=BB919_15 Depth=1
	s_or_b64 exec, exec, s[6:7]
.LBB919_165:                            ;   in Loop: Header=BB919_15 Depth=1
	s_or_b64 exec, exec, s[4:5]
	v_lshrrev_b16_e32 v30, 8, v28
	v_cmp_ne_u16_e32 vcc, 0, v30
	v_mov_b32_e32 v32, 0
	v_mov_b32_e32 v23, 0
	s_and_saveexec_b64 s[4:5], vcc
	s_cbranch_execz .LBB919_171
; %bb.166:                              ;   in Loop: Header=BB919_15 Depth=1
	v_cmp_ne_u16_e32 vcc, s13, v30
	v_mov_b32_e32 v23, 0xffff8000
	s_and_saveexec_b64 s[6:7], vcc
	s_cbranch_execz .LBB919_170
; %bb.167:                              ;   in Loop: Header=BB919_15 Depth=1
	v_and_b32_e32 v35, 0x7f, v30
	v_cmp_ne_u32_e32 vcc, s14, v35
	v_mov_b32_e32 v23, 0x7f80
	s_and_saveexec_b64 s[10:11], vcc
	s_cbranch_execz .LBB919_169
; %bb.168:                              ;   in Loop: Header=BB919_15 Depth=1
	v_and_b32_e32 v23, 7, v30
	v_ffbh_u32_e32 v36, v23
	v_min_u32_e32 v42, 32, v36
	v_subrev_u32_e32 v36, 28, v42
	v_lshlrev_b64 v[36:37], v36, v[30:31]
	v_lshrrev_b32_e32 v40, 3, v35
	v_sub_u32_e32 v30, 29, v42
	v_and_b32_e32 v36, 7, v36
	v_cmp_gt_u32_e32 vcc, 8, v35
	v_cndmask_b32_e32 v30, v40, v30, vcc
	v_cndmask_b32_e32 v23, v23, v36, vcc
	v_lshlrev_b32_e32 v35, 16, v28
	v_lshlrev_b32_e32 v23, 20, v23
	v_and_b32_e32 v35, 0x80000000, v35
	v_lshl_add_u32 v30, v30, 23, v33
	v_or3_b32 v23, v35, v30, v23
	v_lshrrev_b32_e32 v23, 16, v23
.LBB919_169:                            ;   in Loop: Header=BB919_15 Depth=1
	s_or_b64 exec, exec, s[10:11]
.LBB919_170:                            ;   in Loop: Header=BB919_15 Depth=1
	s_or_b64 exec, exec, s[6:7]
.LBB919_171:                            ;   in Loop: Header=BB919_15 Depth=1
	s_or_b64 exec, exec, s[4:5]
	v_lshrrev_b32_e32 v30, 16, v28
	v_cmp_ne_u16_sdwa s[6:7], v30, v31 src0_sel:BYTE_0 src1_sel:DWORD
	s_and_saveexec_b64 s[4:5], s[6:7]
	s_cbranch_execz .LBB919_177
; %bb.172:                              ;   in Loop: Header=BB919_15 Depth=1
	v_cmp_ne_u16_sdwa s[10:11], v30, s13 src0_sel:BYTE_0 src1_sel:DWORD
	v_mov_b32_e32 v32, 0xffff8000
	s_and_saveexec_b64 s[6:7], s[10:11]
	s_cbranch_execz .LBB919_176
; %bb.173:                              ;   in Loop: Header=BB919_15 Depth=1
	v_bfe_u32 v35, v28, 16, 7
	v_cmp_ne_u32_e32 vcc, s14, v35
	v_mov_b32_e32 v32, 0x7f80
	s_and_saveexec_b64 s[10:11], vcc
	s_cbranch_execz .LBB919_175
; %bb.174:                              ;   in Loop: Header=BB919_15 Depth=1
	v_and_b32_e32 v32, 7, v30
	v_ffbh_u32_e32 v36, v32
	v_min_u32_e32 v42, 32, v36
	v_subrev_u32_e32 v36, 28, v42
	v_lshlrev_b64 v[36:37], v36, v[30:31]
	v_lshrrev_b32_e32 v40, 3, v35
	v_sub_u32_e32 v37, 29, v42
	v_and_b32_e32 v36, 7, v36
	v_cmp_gt_u32_e32 vcc, 8, v35
	v_cndmask_b32_e32 v35, v40, v37, vcc
	v_cndmask_b32_e32 v32, v32, v36, vcc
	v_lshlrev_b32_e32 v30, 24, v30
	v_lshlrev_b32_e32 v32, 20, v32
	v_and_b32_e32 v30, 0x80000000, v30
	v_lshl_add_u32 v35, v35, 23, v33
	v_or3_b32 v30, v30, v35, v32
	v_lshrrev_b32_e32 v32, 16, v30
.LBB919_175:                            ;   in Loop: Header=BB919_15 Depth=1
	s_or_b64 exec, exec, s[10:11]
.LBB919_176:                            ;   in Loop: Header=BB919_15 Depth=1
	s_or_b64 exec, exec, s[6:7]
.LBB919_177:                            ;   in Loop: Header=BB919_15 Depth=1
	s_or_b64 exec, exec, s[4:5]
	v_cmp_lt_u32_e32 vcc, s15, v28
	v_mov_b32_e32 v35, 0
	v_mov_b32_e32 v36, 0
	s_and_saveexec_b64 s[4:5], vcc
	s_cbranch_execz .LBB919_183
; %bb.178:                              ;   in Loop: Header=BB919_15 Depth=1
	v_lshrrev_b32_e32 v30, 24, v28
	v_cmp_ne_u32_e32 vcc, s13, v30
	v_mov_b32_e32 v36, 0xffff8000
	s_and_saveexec_b64 s[6:7], vcc
	s_cbranch_execz .LBB919_182
; %bb.179:                              ;   in Loop: Header=BB919_15 Depth=1
	v_bfe_u32 v28, v28, 24, 7
	v_cmp_ne_u32_e32 vcc, s14, v28
	v_mov_b32_e32 v36, 0x7f80
	s_and_saveexec_b64 s[10:11], vcc
	s_cbranch_execz .LBB919_181
; %bb.180:                              ;   in Loop: Header=BB919_15 Depth=1
	v_and_b32_e32 v40, 7, v30
	v_ffbh_u32_e32 v36, v40
	v_min_u32_e32 v43, 32, v36
	v_subrev_u32_e32 v36, 28, v43
	v_lshlrev_b64 v[36:37], v36, v[30:31]
	v_lshrrev_b32_e32 v42, 3, v28
	v_sub_u32_e32 v37, 29, v43
	v_and_b32_e32 v36, 7, v36
	v_cmp_gt_u32_e32 vcc, 8, v28
	v_cndmask_b32_e32 v28, v42, v37, vcc
	v_cndmask_b32_e32 v36, v40, v36, vcc
	v_lshlrev_b32_e32 v30, 24, v30
	v_lshlrev_b32_e32 v36, 20, v36
	v_and_b32_e32 v30, 0x80000000, v30
	v_lshl_add_u32 v28, v28, 23, v33
	v_or3_b32 v28, v30, v28, v36
	v_lshrrev_b32_e32 v36, 16, v28
.LBB919_181:                            ;   in Loop: Header=BB919_15 Depth=1
	s_or_b64 exec, exec, s[10:11]
.LBB919_182:                            ;   in Loop: Header=BB919_15 Depth=1
	s_or_b64 exec, exec, s[6:7]
.LBB919_183:                            ;   in Loop: Header=BB919_15 Depth=1
	s_or_b64 exec, exec, s[4:5]
	s_waitcnt vmcnt(0)
	v_cmp_ne_u16_sdwa s[6:7], v26, v31 src0_sel:BYTE_0 src1_sel:DWORD
	s_and_saveexec_b64 s[4:5], s[6:7]
	s_cbranch_execz .LBB919_189
; %bb.184:                              ;   in Loop: Header=BB919_15 Depth=1
	v_cmp_ne_u16_sdwa s[10:11], v26, s13 src0_sel:BYTE_0 src1_sel:DWORD
	v_mov_b32_e32 v35, 0xffff8000
	s_and_saveexec_b64 s[6:7], s[10:11]
	s_cbranch_execz .LBB919_188
; %bb.185:                              ;   in Loop: Header=BB919_15 Depth=1
	v_and_b32_e32 v28, 0x7f, v26
	v_cmp_ne_u32_e32 vcc, s14, v28
	v_mov_b32_e32 v35, 0x7f80
	s_and_saveexec_b64 s[10:11], vcc
	s_cbranch_execz .LBB919_187
; %bb.186:                              ;   in Loop: Header=BB919_15 Depth=1
	v_and_b32_e32 v30, 7, v26
	v_ffbh_u32_e32 v37, v30
	v_min_u32_e32 v37, 32, v37
	v_subrev_u32_e32 v40, 28, v37
	v_lshlrev_b64 v[42:43], v40, v[26:27]
	v_lshrrev_b32_e32 v35, 3, v28
	v_sub_u32_e32 v37, 29, v37
	v_and_b32_e32 v40, 7, v42
	v_cmp_gt_u32_e32 vcc, 8, v28
	v_cndmask_b32_e32 v28, v35, v37, vcc
	v_cndmask_b32_e32 v30, v30, v40, vcc
	v_lshlrev_b32_e32 v35, 24, v26
	v_lshlrev_b32_e32 v30, 20, v30
	v_and_b32_e32 v35, 0x80000000, v35
	v_lshl_add_u32 v28, v28, 23, v33
	v_or3_b32 v28, v35, v28, v30
	v_lshrrev_b32_e32 v35, 16, v28
.LBB919_187:                            ;   in Loop: Header=BB919_15 Depth=1
	s_or_b64 exec, exec, s[10:11]
.LBB919_188:                            ;   in Loop: Header=BB919_15 Depth=1
	s_or_b64 exec, exec, s[6:7]
.LBB919_189:                            ;   in Loop: Header=BB919_15 Depth=1
	s_or_b64 exec, exec, s[4:5]
	v_lshrrev_b16_e32 v28, 8, v26
	v_cmp_ne_u16_e32 vcc, 0, v28
	v_mov_b32_e32 v37, 0
	v_mov_b32_e32 v30, 0
	s_and_saveexec_b64 s[4:5], vcc
	s_cbranch_execz .LBB919_195
; %bb.190:                              ;   in Loop: Header=BB919_15 Depth=1
	v_cmp_ne_u16_e32 vcc, s13, v28
	v_mov_b32_e32 v30, 0xffff8000
	s_and_saveexec_b64 s[6:7], vcc
	s_cbranch_execz .LBB919_194
; %bb.191:                              ;   in Loop: Header=BB919_15 Depth=1
	v_and_b32_e32 v40, 0x7f, v28
	v_cmp_ne_u32_e32 vcc, s14, v40
	v_mov_b32_e32 v30, 0x7f80
	s_and_saveexec_b64 s[10:11], vcc
	s_cbranch_execz .LBB919_193
; %bb.192:                              ;   in Loop: Header=BB919_15 Depth=1
	v_and_b32_e32 v30, 7, v28
	v_ffbh_u32_e32 v42, v30
	v_min_u32_e32 v45, 32, v42
	v_subrev_u32_e32 v42, 28, v45
	v_lshlrev_b64 v[42:43], v42, v[28:29]
	v_lshrrev_b32_e32 v44, 3, v40
	v_sub_u32_e32 v28, 29, v45
	v_and_b32_e32 v42, 7, v42
	v_cmp_gt_u32_e32 vcc, 8, v40
	v_cndmask_b32_e32 v28, v44, v28, vcc
	v_cndmask_b32_e32 v30, v30, v42, vcc
	v_lshlrev_b32_e32 v40, 16, v26
	v_lshlrev_b32_e32 v30, 20, v30
	v_and_b32_e32 v40, 0x80000000, v40
	v_lshl_add_u32 v28, v28, 23, v33
	v_or3_b32 v28, v40, v28, v30
	v_lshrrev_b32_e32 v30, 16, v28
.LBB919_193:                            ;   in Loop: Header=BB919_15 Depth=1
	s_or_b64 exec, exec, s[10:11]
.LBB919_194:                            ;   in Loop: Header=BB919_15 Depth=1
	s_or_b64 exec, exec, s[6:7]
.LBB919_195:                            ;   in Loop: Header=BB919_15 Depth=1
	s_or_b64 exec, exec, s[4:5]
	v_lshrrev_b32_e32 v28, 16, v26
	v_cmp_ne_u16_sdwa s[6:7], v28, v31 src0_sel:BYTE_0 src1_sel:DWORD
	s_and_saveexec_b64 s[4:5], s[6:7]
	s_cbranch_execz .LBB919_201
; %bb.196:                              ;   in Loop: Header=BB919_15 Depth=1
	v_cmp_ne_u16_sdwa s[10:11], v28, s13 src0_sel:BYTE_0 src1_sel:DWORD
	v_mov_b32_e32 v37, 0xffff8000
	s_and_saveexec_b64 s[6:7], s[10:11]
	s_cbranch_execz .LBB919_200
; %bb.197:                              ;   in Loop: Header=BB919_15 Depth=1
	v_bfe_u32 v40, v26, 16, 7
	v_cmp_ne_u32_e32 vcc, s14, v40
	v_mov_b32_e32 v37, 0x7f80
	s_and_saveexec_b64 s[10:11], vcc
	s_cbranch_execz .LBB919_199
; %bb.198:                              ;   in Loop: Header=BB919_15 Depth=1
	v_and_b32_e32 v37, 7, v28
	v_ffbh_u32_e32 v42, v37
	v_min_u32_e32 v45, 32, v42
	v_subrev_u32_e32 v42, 28, v45
	v_lshlrev_b64 v[42:43], v42, v[28:29]
	v_lshrrev_b32_e32 v44, 3, v40
	v_sub_u32_e32 v43, 29, v45
	v_and_b32_e32 v42, 7, v42
	v_cmp_gt_u32_e32 vcc, 8, v40
	v_cndmask_b32_e32 v40, v44, v43, vcc
	v_cndmask_b32_e32 v37, v37, v42, vcc
	v_lshlrev_b32_e32 v28, 24, v28
	v_lshlrev_b32_e32 v37, 20, v37
	v_and_b32_e32 v28, 0x80000000, v28
	v_lshl_add_u32 v40, v40, 23, v33
	v_or3_b32 v28, v28, v40, v37
	v_lshrrev_b32_e32 v37, 16, v28
.LBB919_199:                            ;   in Loop: Header=BB919_15 Depth=1
	s_or_b64 exec, exec, s[10:11]
.LBB919_200:                            ;   in Loop: Header=BB919_15 Depth=1
	s_or_b64 exec, exec, s[6:7]
.LBB919_201:                            ;   in Loop: Header=BB919_15 Depth=1
	s_or_b64 exec, exec, s[4:5]
	v_cmp_lt_u32_e32 vcc, s15, v26
	v_mov_b32_e32 v40, 0
	s_and_saveexec_b64 s[4:5], vcc
	s_cbranch_execz .LBB919_14
; %bb.202:                              ;   in Loop: Header=BB919_15 Depth=1
	v_lshrrev_b32_e32 v28, 24, v26
	v_cmp_ne_u32_e32 vcc, s13, v28
	v_mov_b32_e32 v40, 0xffff8000
	s_and_saveexec_b64 s[6:7], vcc
	s_cbranch_execz .LBB919_13
; %bb.203:                              ;   in Loop: Header=BB919_15 Depth=1
	v_bfe_u32 v26, v26, 24, 7
	v_cmp_ne_u32_e32 vcc, s14, v26
	v_mov_b32_e32 v40, 0x7f80
	s_and_saveexec_b64 s[10:11], vcc
	s_cbranch_execz .LBB919_12
; %bb.204:                              ;   in Loop: Header=BB919_15 Depth=1
	v_and_b32_e32 v40, 7, v28
	v_ffbh_u32_e32 v42, v40
	v_min_u32_e32 v45, 32, v42
	v_subrev_u32_e32 v42, 28, v45
	v_lshlrev_b64 v[42:43], v42, v[28:29]
	v_lshrrev_b32_e32 v44, 3, v26
	v_sub_u32_e32 v43, 29, v45
	v_and_b32_e32 v42, 7, v42
	v_cmp_gt_u32_e32 vcc, 8, v26
	v_cndmask_b32_e32 v26, v44, v43, vcc
	v_cndmask_b32_e32 v40, v40, v42, vcc
	v_lshlrev_b32_e32 v28, 24, v28
	v_lshlrev_b32_e32 v40, 20, v40
	v_and_b32_e32 v28, 0x80000000, v28
	v_lshl_add_u32 v26, v26, 23, v33
	v_or3_b32 v26, v28, v26, v40
	v_lshrrev_b32_e32 v40, 16, v26
	s_branch .LBB919_12
.LBB919_205:
	buffer_load_dword v13, off, s[0:3], 0 offset:256
	buffer_load_dword v14, off, s[0:3], 0 offset:260
	;; [unrolled: 1-line block ×16, first 2 shown]
	v_and_b32_e32 v12, 0xc0, v0
	v_add_u32_e32 v12, s20, v12
	v_lshl_or_b32 v12, v1, 2, v12
	v_or_b32_e32 v23, 1, v12
	v_mov_b32_e32 v19, 0xff7fffff
	v_or_b32_e32 v24, 2, v12
	v_or_b32_e32 v25, 3, v12
	v_cmp_gt_i32_e64 s[26:27], s33, v12
	v_cmp_gt_i32_e64 s[28:29], s33, v23
	s_mov_b32 s52, 0xff7fffff
	v_or_b32_e32 v26, 16, v12
	v_or_b32_e32 v27, 17, v12
	;; [unrolled: 1-line block ×12, first 2 shown]
	v_cmp_gt_i32_e64 s[30:31], s33, v24
	v_cmp_gt_i32_e64 s[34:35], s33, v25
	v_mbcnt_lo_u32_b32 v20, -1, 0
	v_cmp_gt_i32_e64 s[36:37], s33, v26
	v_cmp_gt_i32_e64 s[38:39], s33, v27
	v_mbcnt_hi_u32_b32 v20, -1, v20
	v_cmp_gt_i32_e64 s[20:21], s33, v28
	v_cmp_gt_i32_e64 s[22:23], s33, v29
	v_and_b32_e32 v21, 64, v20
	v_cmp_gt_i32_e64 s[16:17], s33, v30
	v_cmp_gt_i32_e64 s[18:19], s33, v31
	v_xor_b32_e32 v22, 32, v20
	v_add_u32_e32 v21, 64, v21
	v_cmp_gt_i32_e64 s[12:13], s33, v32
	v_cmp_gt_i32_e64 s[14:15], s33, v33
	v_cmp_lt_i32_e32 vcc, v22, v21
	v_cmp_gt_i32_e64 s[6:7], s33, v34
	v_cmp_gt_i32_e64 s[10:11], s33, v35
	v_cndmask_b32_e32 v22, v20, v22, vcc
	v_cmp_gt_i32_e32 vcc, s33, v36
	v_cmp_gt_i32_e64 s[4:5], s33, v37
	v_lshlrev_b32_e32 v22, 2, v22
	s_waitcnt vmcnt(15)
	v_cndmask_b32_e64 v12, v19, v13, s[26:27]
	s_waitcnt vmcnt(14)
	v_cndmask_b32_e64 v23, v19, v14, s[28:29]
	;; [unrolled: 2-line block ×4, first 2 shown]
	v_max3_f32 v12, v12, s52, v23
	s_waitcnt vmcnt(11)
	v_cndmask_b32_e64 v26, v19, v17, s[36:37]
	s_waitcnt vmcnt(10)
	v_cndmask_b32_e64 v27, v19, v18, s[38:39]
	v_max3_f32 v12, v12, v24, v25
	s_waitcnt vmcnt(9)
	v_cndmask_b32_e64 v28, v19, v11, s[20:21]
	s_waitcnt vmcnt(8)
	v_cndmask_b32_e64 v29, v19, v10, s[22:23]
	;; [unrolled: 5-line block ×5, first 2 shown]
	v_max3_f32 v12, v12, v32, v33
	s_waitcnt vmcnt(1)
	v_cndmask_b32_e32 v36, v19, v3, vcc
	s_waitcnt vmcnt(0)
	v_cndmask_b32_e64 v19, v19, v2, s[4:5]
	v_max3_f32 v12, v12, v34, v35
	v_max3_f32 v12, v12, v36, v19
	ds_bpermute_b32 v19, v22, v12
	v_xor_b32_e32 v23, 16, v20
	v_cmp_lt_i32_e64 s[40:41], v23, v21
	v_cndmask_b32_e64 v20, v20, v23, s[40:41]
	v_lshlrev_b32_e32 v20, 2, v20
	s_waitcnt lgkmcnt(0)
	v_max_f32_e32 v19, v19, v19
	v_max_f32_e32 v12, v12, v19
	ds_bpermute_b32 v19, v20, v12
	s_waitcnt lgkmcnt(0)
	v_max_f32_e32 v19, v19, v19
	v_max_f32_e32 v12, v12, v19
	v_sub_f32_e32 v13, v13, v12
	v_sub_f32_e32 v14, v14, v12
	;; [unrolled: 1-line block ×3, first 2 shown]
	v_mul_f32_e32 v13, 0x3fb8aa3b, v13
	v_mul_f32_e32 v14, 0x3fb8aa3b, v14
	;; [unrolled: 1-line block ×3, first 2 shown]
	v_exp_f32_e32 v13, v13
	v_exp_f32_e32 v14, v14
	;; [unrolled: 1-line block ×3, first 2 shown]
	v_sub_f32_e32 v16, v16, v12
	v_cndmask_b32_e64 v13, 0, v13, s[26:27]
	v_mul_f32_e32 v16, 0x3fb8aa3b, v16
	v_cndmask_b32_e64 v14, 0, v14, s[28:29]
	v_cndmask_b32_e64 v15, 0, v15, s[30:31]
	v_add_f32_e32 v19, 0, v13
	buffer_store_dword v13, off, s[0:3], 0 offset:256
	buffer_store_dword v14, off, s[0:3], 0 offset:260
	;; [unrolled: 1-line block ×3, first 2 shown]
	v_sub_f32_e32 v13, v17, v12
	v_exp_f32_e32 v16, v16
	v_add_f32_e32 v19, v19, v14
	v_mul_f32_e32 v13, 0x3fb8aa3b, v13
	v_sub_f32_e32 v14, v18, v12
	v_exp_f32_e32 v13, v13
	v_mul_f32_e32 v14, 0x3fb8aa3b, v14
	v_sub_f32_e32 v11, v11, v12
	v_exp_f32_e32 v14, v14
	;; [unrolled: 3-line block ×3, first 2 shown]
	v_mul_f32_e32 v10, 0x3fb8aa3b, v10
	v_sub_f32_e32 v9, v9, v12
	v_cndmask_b32_e64 v16, 0, v16, s[34:35]
	v_add_f32_e32 v19, v19, v15
	v_exp_f32_e32 v10, v10
	v_mul_f32_e32 v9, 0x3fb8aa3b, v9
	v_sub_f32_e32 v8, v8, v12
	v_add_f32_e32 v19, v19, v16
	v_cndmask_b32_e64 v13, 0, v13, s[36:37]
	v_exp_f32_e32 v9, v9
	v_mul_f32_e32 v8, 0x3fb8aa3b, v8
	v_sub_f32_e32 v7, v7, v12
	v_add_f32_e32 v15, v19, v13
	v_cndmask_b32_e64 v14, 0, v14, s[38:39]
	;; [unrolled: 5-line block ×5, first 2 shown]
	v_exp_f32_e32 v5, v5
	v_mul_f32_e32 v4, 0x3fb8aa3b, v4
	v_sub_f32_e32 v3, v3, v12
	buffer_store_dword v16, off, s[0:3], 0 offset:268
	buffer_store_dword v13, off, s[0:3], 0 offset:272
	;; [unrolled: 1-line block ×5, first 2 shown]
	v_add_f32_e32 v10, v15, v9
	v_cndmask_b32_e64 v8, 0, v8, s[18:19]
	v_exp_f32_e32 v4, v4
	v_mul_f32_e32 v3, 0x3fb8aa3b, v3
	v_sub_f32_e32 v2, v2, v12
	v_add_f32_e32 v10, v10, v8
	v_cndmask_b32_e64 v7, 0, v7, s[12:13]
	v_exp_f32_e32 v3, v3
	v_mul_f32_e32 v2, 0x3fb8aa3b, v2
	v_add_f32_e32 v10, v10, v7
	v_cndmask_b32_e64 v6, 0, v6, s[14:15]
	v_exp_f32_e32 v2, v2
	v_add_f32_e32 v10, v10, v6
	v_cndmask_b32_e64 v5, 0, v5, s[6:7]
	buffer_store_dword v9, off, s[0:3], 0 offset:288
	buffer_store_dword v8, off, s[0:3], 0 offset:292
	;; [unrolled: 1-line block ×4, first 2 shown]
	v_add_f32_e32 v6, v10, v5
	v_cndmask_b32_e64 v4, 0, v4, s[10:11]
	v_add_f32_e32 v6, v6, v4
	v_cndmask_b32_e32 v3, 0, v3, vcc
	v_add_f32_e32 v6, v6, v3
	v_cndmask_b32_e64 v2, 0, v2, s[4:5]
	v_add_f32_e32 v6, v6, v2
	ds_bpermute_b32 v7, v22, v6
	buffer_store_dword v5, off, s[0:3], 0 offset:304
	buffer_store_dword v4, off, s[0:3], 0 offset:308
	;; [unrolled: 1-line block ×4, first 2 shown]
	v_cmp_gt_u32_e32 vcc, 16, v38
	s_waitcnt lgkmcnt(0)
	s_barrier
	v_add_f32_e32 v2, v6, v7
	ds_bpermute_b32 v3, v20, v2
	s_waitcnt lgkmcnt(0)
	s_and_saveexec_b64 s[4:5], vcc
	s_cbranch_execz .LBB919_207
; %bb.206:
	v_add_f32_e32 v2, v2, v3
	v_lshlrev_b32_e32 v3, 2, v63
	ds_write2st64_b32 v3, v12, v2 offset1:1
.LBB919_207:
	s_or_b64 exec, exec, s[4:5]
	v_lshlrev_b32_e32 v2, 2, v55
	s_waitcnt lgkmcnt(0)
	s_barrier
	ds_read2_b32 v[14:15], v2 offset1:16
	ds_read2_b32 v[16:17], v2 offset0:32 offset1:48
	ds_read2_b32 v[6:7], v2 offset0:64 offset1:80
	;; [unrolled: 1-line block ×3, first 2 shown]
	s_waitcnt lgkmcnt(0)
	s_barrier
	buffer_load_dword v22, off, s[0:3], 0 offset:264
	buffer_load_dword v23, off, s[0:3], 0 offset:268
	;; [unrolled: 1-line block ×16, first 2 shown]
	v_max3_f32 v20, v14, s52, v15
	v_max3_f32 v20, v20, v16, v17
	v_sub_f32_e32 v14, v14, v20
	v_sub_f32_e32 v15, v15, v20
	v_mul_f32_e32 v14, 0x3fb8aa3b, v14
	v_sub_f32_e32 v16, v16, v20
	v_mul_f32_e32 v15, 0x3fb8aa3b, v15
	v_exp_f32_e32 v14, v14
	v_sub_f32_e32 v17, v17, v20
	v_mul_f32_e32 v16, 0x3fb8aa3b, v16
	v_exp_f32_e32 v15, v15
	v_mul_f32_e32 v17, 0x3fb8aa3b, v17
	v_exp_f32_e32 v16, v16
	v_exp_f32_e32 v17, v17
	v_fma_f32 v6, v14, v6, 0
	v_fmac_f32_e32 v6, v15, v7
	v_fmac_f32_e32 v6, v16, v12
	;; [unrolled: 1-line block ×3, first 2 shown]
	v_cmp_eq_u32_e32 vcc, 1, v62
	v_add_f32_e32 v12, 0x358637bd, v6
	v_cndmask_b32_e32 v14, v14, v15, vcc
	v_cmp_eq_u32_e32 vcc, 2, v62
	v_div_scale_f32 v13, s[4:5], v12, v12, 1.0
	v_cndmask_b32_e32 v7, v14, v16, vcc
	v_rcp_f32_e32 v14, v13
	v_cmp_eq_u32_e32 vcc, 3, v62
	v_cndmask_b32_e32 v7, v7, v17, vcc
	v_div_scale_f32 v15, vcc, 1.0, v12, 1.0
	v_fma_f32 v16, -v13, v14, 1.0
	v_fmac_f32_e32 v14, v16, v14
	v_mul_f32_e32 v16, v15, v14
	v_fma_f32 v17, -v13, v16, v15
	v_fmac_f32_e32 v16, v17, v14
	v_fma_f32 v13, -v13, v16, v15
	v_div_fmas_f32 v13, v13, v14, v16
	v_div_fixup_f32 v12, v13, v12, 1.0
	v_mul_f32_e32 v12, v7, v12
	s_movk_i32 s19, 0x7fff
	s_mov_b32 s20, 0x7060302
	s_mul_i32 s18, s51, 10
	v_cmp_gt_u32_e32 vcc, 10, v0
	s_waitcnt vmcnt(14)
	v_pk_mul_f32 v[14:15], v[12:13], v[22:23] op_sel_hi:[0,1]
	v_bfe_u32 v21, v15, 16, 1
	s_waitcnt vmcnt(12)
	v_pk_mul_f32 v[16:17], v[12:13], v[24:25] op_sel_hi:[0,1]
	v_bfe_u32 v7, v17, 16, 1
	v_bfe_u32 v13, v16, 16, 1
	;; [unrolled: 1-line block ×3, first 2 shown]
	v_add3_u32 v13, v16, v13, s19
	v_add3_u32 v7, v17, v7, s19
	buffer_store_dword v16, off, s[0:3], 0 offset:256
	buffer_store_dword v17, off, s[0:3], 0 offset:260
	;; [unrolled: 1-line block ×4, first 2 shown]
	v_add3_u32 v16, v14, v22, s19
	v_add3_u32 v15, v15, v21, s19
	v_perm_b32 v14, v7, v13, s20
	v_lshlrev_b32_e32 v13, 3, v1
	v_perm_b32 v15, v15, v16, s20
	v_lshlrev_b32_e32 v7, 5, v55
	v_lshlrev_b32_e32 v16, 11, v62
	s_waitcnt vmcnt(12)
	v_pk_mul_f32 v[8:9], v[12:13], v[8:9] op_sel_hi:[0,1]
	v_or3_b32 v43, v16, v7, v13
	v_pk_mul_f32 v[10:11], v[12:13], v[10:11] op_sel_hi:[0,1]
	v_bfe_u32 v13, v9, 16, 1
	v_bfe_u32 v16, v8, 16, 1
	buffer_store_dword v8, off, s[0:3], 0 offset:272
	buffer_store_dword v9, off, s[0:3], 0 offset:276
	;; [unrolled: 1-line block ×4, first 2 shown]
	v_add3_u32 v8, v8, v16, s19
	v_add3_u32 v9, v9, v13, s19
	v_perm_b32 v8, v9, v8, s20
	v_bfe_u32 v9, v11, 16, 1
	v_bfe_u32 v13, v10, 16, 1
	v_add3_u32 v10, v10, v13, s19
	v_add3_u32 v9, v11, v9, s19
	v_perm_b32 v9, v9, v10, s20
	s_waitcnt vmcnt(14)
	v_pk_mul_f32 v[10:11], v[12:13], v[18:19] op_sel_hi:[0,1]
	ds_write2st64_b64 v43, v[14:15], v[8:9] offset1:1
	s_waitcnt vmcnt(12)
	v_pk_mul_f32 v[8:9], v[12:13], v[26:27] op_sel_hi:[0,1]
	v_bfe_u32 v13, v11, 16, 1
	v_bfe_u32 v14, v10, 16, 1
	buffer_store_dword v10, off, s[0:3], 0 offset:288
	buffer_store_dword v11, off, s[0:3], 0 offset:292
	;; [unrolled: 1-line block ×4, first 2 shown]
	v_add3_u32 v10, v10, v14, s19
	v_add3_u32 v11, v11, v13, s19
	v_perm_b32 v10, v11, v10, s20
	v_bfe_u32 v11, v9, 16, 1
	v_bfe_u32 v13, v8, 16, 1
	v_add3_u32 v8, v8, v13, s19
	v_add3_u32 v9, v9, v11, s19
	s_waitcnt vmcnt(14)
	v_pk_mul_f32 v[2:3], v[12:13], v[2:3] op_sel_hi:[0,1]
	v_perm_b32 v11, v9, v8, s20
	v_bfe_u32 v8, v3, 16, 1
	v_bfe_u32 v9, v2, 16, 1
	s_waitcnt vmcnt(12)
	v_pk_mul_f32 v[4:5], v[12:13], v[4:5] op_sel_hi:[0,1]
	buffer_store_dword v2, off, s[0:3], 0 offset:304
	buffer_store_dword v3, off, s[0:3], 0 offset:308
	;; [unrolled: 1-line block ×4, first 2 shown]
	v_add3_u32 v2, v2, v9, s19
	v_add3_u32 v3, v3, v8, s19
	v_perm_b32 v2, v3, v2, s20
	v_bfe_u32 v3, v5, 16, 1
	v_bfe_u32 v8, v4, 16, 1
	v_add3_u32 v4, v4, v8, s19
	v_add3_u32 v3, v5, v3, s19
	v_perm_b32 v3, v3, v4, s20
	ds_write2st64_b64 v43, v[10:11], v[2:3] offset0:2 offset1:3
	s_and_saveexec_b64 s[4:5], vcc
	s_cbranch_execz .LBB919_209
; %bb.208:
	v_add_co_u32_e32 v4, vcc, s25, v55
	v_addc_co_u32_e64 v5, s[6:7], 0, 0, vcc
	v_mov_b32_e32 v2, s18
	v_mad_u64_u32 v[4:5], s[6:7], s8, v2, v[4:5]
	v_mov_b32_e32 v3, 0
	s_mul_i32 s6, s9, s18
	v_mov_b32_e32 v2, s24
	v_add_u32_e32 v5, s6, v5
	v_mad_u64_u32 v[2:3], s[6:7], v4, s50, v[2:3]
	v_mov_b32_e32 v4, v3
	v_mad_u64_u32 v[4:5], s[6:7], v5, s50, v[4:5]
	v_mov_b32_e32 v3, v4
	v_lshlrev_b64 v[2:3], 2, v[2:3]
	v_mov_b32_e32 v5, s47
	v_add_co_u32_e32 v4, vcc, s46, v2
	v_addc_co_u32_e32 v5, vcc, v5, v3, vcc
	global_store_dword v[4:5], v20, off
	v_mov_b32_e32 v4, s45
	v_add_co_u32_e32 v2, vcc, s44, v2
	v_addc_co_u32_e32 v3, vcc, v4, v3, vcc
	global_store_dword v[2:3], v6, off
.LBB919_209:
	s_or_b64 exec, exec, s[4:5]
	v_lshl_or_b32 v30, v1, 9, v7
	s_waitcnt lgkmcnt(0)
	s_barrier
	s_load_dword s4, s[42:43], 0x0
	ds_read_b128 v[2:5], v30
	ds_read_b128 v[6:9], v30 offset:16
	ds_read_b128 v[10:13], v30 offset:2048
	;; [unrolled: 1-line block ×7, first 2 shown]
	v_mov_b32_e32 v35, 0x80
	v_mov_b32_e32 v45, 0x140
	s_mov_b64 s[10:11], -1
	s_waitcnt lgkmcnt(0)
	s_mov_b32 s5, s4
	s_mov_b32 s6, s4
	;; [unrolled: 1-line block ×3, first 2 shown]
	s_movk_i32 s9, 0x80
	s_movk_i32 s21, 0x7f
	s_mov_b32 s22, 0xffffff
	s_mov_b32 s23, 0x5040100
	v_mov_b32_e32 v47, 0
	v_bfrev_b32_e32 v48, 60
	s_branch .LBB919_213
.LBB919_210:                            ;   in Loop: Header=BB919_213 Depth=1
	s_or_b64 exec, exec, s[16:17]
.LBB919_211:                            ;   in Loop: Header=BB919_213 Depth=1
	s_or_b64 exec, exec, s[14:15]
.LBB919_212:                            ;   in Loop: Header=BB919_213 Depth=1
	s_or_b64 exec, exec, s[12:13]
	v_perm_b32 v61, v51, v49, s23
	v_perm_b32 v60, v44, v46, s23
	s_xor_b64 s[12:13], s[10:11], -1
	s_mov_b64 s[10:11], 0
	s_and_b64 vcc, exec, s[12:13]
	v_mfma_f32_16x16x16bf16_1k v[62:65], v[60:61], v[30:31], v[34:37]
	v_mov_b32_e32 v61, v41
	v_mov_b32_e32 v60, v57
	;; [unrolled: 1-line block ×3, first 2 shown]
	s_nop 3
	v_perm_b32 v37, v53, v52, s23
	v_perm_b32 v36, v42, v50, s23
	v_mov_b32_e32 v35, v39
	s_nop 0
	v_mfma_f32_16x16x16bf16_1k v[50:53], v[36:37], v[32:33], v[62:65]
	s_nop 7
	s_nop 2
	v_pk_mul_f32 v[50:51], v[50:51], s[4:5]
	v_pk_mul_f32 v[36:37], v[52:53], s[6:7]
	v_bfe_u32 v34, v51, 16, 1
	v_bfe_u32 v38, v50, 16, 1
	;; [unrolled: 1-line block ×4, first 2 shown]
	v_add3_u32 v38, v50, v38, s19
	v_add3_u32 v34, v51, v34, s19
	;; [unrolled: 1-line block ×4, first 2 shown]
	v_perm_b32 v34, v34, v38, s20
	v_perm_b32 v36, v37, v36, s20
	buffer_store_dword v34, v45, s[0:3], 0 offen
	buffer_store_dword v36, v45, s[0:3], 0 offen offset:4
	v_mov_b32_e32 v45, 0x148
	s_cbranch_vccnz .LBB919_595
.LBB919_213:                            ; =>This Inner Loop Header: Depth=1
	buffer_load_dword v36, v35, s[0:3], 0 offen
	buffer_load_dword v34, v35, s[0:3], 0 offen offset:4
	buffer_load_dword v40, v35, s[0:3], 0 offen offset:8
	;; [unrolled: 1-line block ×3, first 2 shown]
	v_mov_b32_e32 v35, 0
	s_waitcnt vmcnt(3)
	v_cmp_ne_u16_sdwa s[14:15], v36, v47 src0_sel:BYTE_0 src1_sel:DWORD
	s_and_saveexec_b64 s[12:13], s[14:15]
	s_cbranch_execz .LBB919_219
; %bb.214:                              ;   in Loop: Header=BB919_213 Depth=1
	v_cmp_ne_u16_sdwa s[16:17], v36, s9 src0_sel:BYTE_0 src1_sel:DWORD
	v_mov_b32_e32 v35, 0xffff8000
	s_and_saveexec_b64 s[14:15], s[16:17]
	s_cbranch_execz .LBB919_218
; %bb.215:                              ;   in Loop: Header=BB919_213 Depth=1
	v_and_b32_e32 v37, 0x7f, v36
	v_cmp_ne_u32_e32 vcc, s21, v37
	v_mov_b32_e32 v35, 0x7f80
	s_and_saveexec_b64 s[16:17], vcc
	s_cbranch_execz .LBB919_217
; %bb.216:                              ;   in Loop: Header=BB919_213 Depth=1
	v_and_b32_e32 v35, 7, v36
	v_ffbh_u32_e32 v44, v35
	v_min_u32_e32 v44, 32, v44
	v_subrev_u32_e32 v46, 28, v44
	v_lshlrev_b64 v[50:51], v46, v[36:37]
	v_lshrrev_b32_e32 v42, 3, v37
	v_sub_u32_e32 v44, 29, v44
	v_and_b32_e32 v46, 7, v50
	v_cmp_gt_u32_e32 vcc, 8, v37
	v_cndmask_b32_e32 v37, v42, v44, vcc
	v_cndmask_b32_e32 v35, v35, v46, vcc
	v_lshlrev_b32_e32 v42, 24, v36
	v_lshlrev_b32_e32 v35, 20, v35
	v_and_b32_e32 v42, 0x80000000, v42
	v_lshl_add_u32 v37, v37, 23, v48
	v_or3_b32 v35, v42, v37, v35
	v_lshrrev_b32_e32 v35, 16, v35
.LBB919_217:                            ;   in Loop: Header=BB919_213 Depth=1
	s_or_b64 exec, exec, s[16:17]
.LBB919_218:                            ;   in Loop: Header=BB919_213 Depth=1
	s_or_b64 exec, exec, s[14:15]
.LBB919_219:                            ;   in Loop: Header=BB919_213 Depth=1
	s_or_b64 exec, exec, s[12:13]
	v_lshrrev_b16_e32 v42, 8, v36
	v_cmp_ne_u16_e32 vcc, 0, v42
	v_mov_b32_e32 v46, 0
	v_mov_b32_e32 v37, 0
	s_and_saveexec_b64 s[12:13], vcc
	s_cbranch_execz .LBB919_225
; %bb.220:                              ;   in Loop: Header=BB919_213 Depth=1
	v_cmp_ne_u16_e32 vcc, s9, v42
	v_mov_b32_e32 v37, 0xffff8000
	s_and_saveexec_b64 s[14:15], vcc
	s_cbranch_execz .LBB919_224
; %bb.221:                              ;   in Loop: Header=BB919_213 Depth=1
	v_and_b32_e32 v44, 0x7f, v42
	v_cmp_ne_u32_e32 vcc, s21, v44
	v_mov_b32_e32 v37, 0x7f80
	s_and_saveexec_b64 s[16:17], vcc
	s_cbranch_execz .LBB919_223
; %bb.222:                              ;   in Loop: Header=BB919_213 Depth=1
	v_and_b32_e32 v37, 7, v42
	v_ffbh_u32_e32 v50, v37
	v_min_u32_e32 v52, 32, v50
	v_subrev_u32_e32 v50, 28, v52
	v_lshlrev_b64 v[50:51], v50, v[42:43]
	v_lshrrev_b32_e32 v49, 3, v44
	v_sub_u32_e32 v42, 29, v52
	v_and_b32_e32 v50, 7, v50
	v_cmp_gt_u32_e32 vcc, 8, v44
	v_cndmask_b32_e32 v42, v49, v42, vcc
	v_cndmask_b32_e32 v37, v37, v50, vcc
	v_lshlrev_b32_e32 v44, 16, v36
	v_lshlrev_b32_e32 v37, 20, v37
	v_and_b32_e32 v44, 0x80000000, v44
	v_lshl_add_u32 v42, v42, 23, v48
	v_or3_b32 v37, v44, v42, v37
	v_lshrrev_b32_e32 v37, 16, v37
.LBB919_223:                            ;   in Loop: Header=BB919_213 Depth=1
	s_or_b64 exec, exec, s[16:17]
.LBB919_224:                            ;   in Loop: Header=BB919_213 Depth=1
	s_or_b64 exec, exec, s[14:15]
.LBB919_225:                            ;   in Loop: Header=BB919_213 Depth=1
	s_or_b64 exec, exec, s[12:13]
	v_lshrrev_b32_e32 v42, 16, v36
	v_cmp_ne_u16_sdwa s[14:15], v42, v47 src0_sel:BYTE_0 src1_sel:DWORD
	s_and_saveexec_b64 s[12:13], s[14:15]
	s_cbranch_execz .LBB919_231
; %bb.226:                              ;   in Loop: Header=BB919_213 Depth=1
	v_cmp_ne_u16_sdwa s[16:17], v42, s9 src0_sel:BYTE_0 src1_sel:DWORD
	v_mov_b32_e32 v46, 0xffff8000
	s_and_saveexec_b64 s[14:15], s[16:17]
	s_cbranch_execz .LBB919_230
; %bb.227:                              ;   in Loop: Header=BB919_213 Depth=1
	v_bfe_u32 v44, v36, 16, 7
	v_cmp_ne_u32_e32 vcc, s21, v44
	v_mov_b32_e32 v46, 0x7f80
	s_and_saveexec_b64 s[16:17], vcc
	s_cbranch_execz .LBB919_229
; %bb.228:                              ;   in Loop: Header=BB919_213 Depth=1
	v_and_b32_e32 v46, 7, v42
	v_ffbh_u32_e32 v50, v46
	v_min_u32_e32 v52, 32, v50
	v_subrev_u32_e32 v50, 28, v52
	v_lshlrev_b64 v[50:51], v50, v[42:43]
	v_lshrrev_b32_e32 v49, 3, v44
	v_sub_u32_e32 v51, 29, v52
	v_and_b32_e32 v50, 7, v50
	v_cmp_gt_u32_e32 vcc, 8, v44
	v_cndmask_b32_e32 v44, v49, v51, vcc
	v_cndmask_b32_e32 v46, v46, v50, vcc
	v_lshlrev_b32_e32 v42, 24, v42
	v_lshlrev_b32_e32 v46, 20, v46
	v_and_b32_e32 v42, 0x80000000, v42
	v_lshl_add_u32 v44, v44, 23, v48
	v_or3_b32 v42, v42, v44, v46
	v_lshrrev_b32_e32 v46, 16, v42
.LBB919_229:                            ;   in Loop: Header=BB919_213 Depth=1
	s_or_b64 exec, exec, s[16:17]
.LBB919_230:                            ;   in Loop: Header=BB919_213 Depth=1
	s_or_b64 exec, exec, s[14:15]
.LBB919_231:                            ;   in Loop: Header=BB919_213 Depth=1
	s_or_b64 exec, exec, s[12:13]
	v_cmp_lt_u32_e32 vcc, s22, v36
	v_mov_b32_e32 v49, 0
	v_mov_b32_e32 v50, 0
	s_and_saveexec_b64 s[12:13], vcc
	s_cbranch_execz .LBB919_237
; %bb.232:                              ;   in Loop: Header=BB919_213 Depth=1
	v_lshrrev_b32_e32 v42, 24, v36
	v_cmp_ne_u32_e32 vcc, s9, v42
	v_mov_b32_e32 v50, 0xffff8000
	s_and_saveexec_b64 s[14:15], vcc
	s_cbranch_execz .LBB919_236
; %bb.233:                              ;   in Loop: Header=BB919_213 Depth=1
	v_bfe_u32 v36, v36, 24, 7
	v_cmp_ne_u32_e32 vcc, s21, v36
	v_mov_b32_e32 v50, 0x7f80
	s_and_saveexec_b64 s[16:17], vcc
	s_cbranch_execz .LBB919_235
; %bb.234:                              ;   in Loop: Header=BB919_213 Depth=1
	v_and_b32_e32 v44, 7, v42
	v_ffbh_u32_e32 v50, v44
	v_min_u32_e32 v53, 32, v50
	v_subrev_u32_e32 v50, 28, v53
	v_lshlrev_b64 v[50:51], v50, v[42:43]
	v_lshrrev_b32_e32 v52, 3, v36
	v_sub_u32_e32 v51, 29, v53
	v_and_b32_e32 v50, 7, v50
	v_cmp_gt_u32_e32 vcc, 8, v36
	v_cndmask_b32_e32 v36, v52, v51, vcc
	v_cndmask_b32_e32 v44, v44, v50, vcc
	v_lshlrev_b32_e32 v42, 24, v42
	v_lshlrev_b32_e32 v44, 20, v44
	v_and_b32_e32 v42, 0x80000000, v42
	v_lshl_add_u32 v36, v36, 23, v48
	v_or3_b32 v36, v42, v36, v44
	v_lshrrev_b32_e32 v50, 16, v36
.LBB919_235:                            ;   in Loop: Header=BB919_213 Depth=1
	s_or_b64 exec, exec, s[16:17]
.LBB919_236:                            ;   in Loop: Header=BB919_213 Depth=1
	s_or_b64 exec, exec, s[14:15]
.LBB919_237:                            ;   in Loop: Header=BB919_213 Depth=1
	s_or_b64 exec, exec, s[12:13]
	s_waitcnt vmcnt(2)
	v_cmp_ne_u16_sdwa s[14:15], v34, v47 src0_sel:BYTE_0 src1_sel:DWORD
	s_and_saveexec_b64 s[12:13], s[14:15]
	s_cbranch_execz .LBB919_243
; %bb.238:                              ;   in Loop: Header=BB919_213 Depth=1
	v_cmp_ne_u16_sdwa s[16:17], v34, s9 src0_sel:BYTE_0 src1_sel:DWORD
	v_mov_b32_e32 v49, 0xffff8000
	s_and_saveexec_b64 s[14:15], s[16:17]
	s_cbranch_execz .LBB919_242
; %bb.239:                              ;   in Loop: Header=BB919_213 Depth=1
	v_and_b32_e32 v36, 0x7f, v34
	v_cmp_ne_u32_e32 vcc, s21, v36
	v_mov_b32_e32 v49, 0x7f80
	s_and_saveexec_b64 s[16:17], vcc
	s_cbranch_execz .LBB919_241
; %bb.240:                              ;   in Loop: Header=BB919_213 Depth=1
	v_and_b32_e32 v42, 7, v34
	v_ffbh_u32_e32 v49, v42
	v_min_u32_e32 v49, 32, v49
	v_subrev_u32_e32 v51, 28, v49
	v_lshlrev_b64 v[52:53], v51, v[34:35]
	v_lshrrev_b32_e32 v44, 3, v36
	v_sub_u32_e32 v49, 29, v49
	v_and_b32_e32 v51, 7, v52
	v_cmp_gt_u32_e32 vcc, 8, v36
	v_cndmask_b32_e32 v36, v44, v49, vcc
	v_cndmask_b32_e32 v42, v42, v51, vcc
	v_lshlrev_b32_e32 v44, 24, v34
	v_lshlrev_b32_e32 v42, 20, v42
	v_and_b32_e32 v44, 0x80000000, v44
	v_lshl_add_u32 v36, v36, 23, v48
	v_or3_b32 v36, v44, v36, v42
	v_lshrrev_b32_e32 v49, 16, v36
.LBB919_241:                            ;   in Loop: Header=BB919_213 Depth=1
	s_or_b64 exec, exec, s[16:17]
.LBB919_242:                            ;   in Loop: Header=BB919_213 Depth=1
	s_or_b64 exec, exec, s[14:15]
.LBB919_243:                            ;   in Loop: Header=BB919_213 Depth=1
	s_or_b64 exec, exec, s[12:13]
	v_lshrrev_b16_e32 v36, 8, v34
	v_cmp_ne_u16_e32 vcc, 0, v36
	v_mov_b32_e32 v51, 0
	v_mov_b32_e32 v42, 0
	s_and_saveexec_b64 s[12:13], vcc
	s_cbranch_execz .LBB919_249
; %bb.244:                              ;   in Loop: Header=BB919_213 Depth=1
	v_cmp_ne_u16_e32 vcc, s9, v36
	v_mov_b32_e32 v42, 0xffff8000
	s_and_saveexec_b64 s[14:15], vcc
	s_cbranch_execz .LBB919_248
; %bb.245:                              ;   in Loop: Header=BB919_213 Depth=1
	v_and_b32_e32 v44, 0x7f, v36
	v_cmp_ne_u32_e32 vcc, s21, v44
	v_mov_b32_e32 v42, 0x7f80
	s_and_saveexec_b64 s[16:17], vcc
	s_cbranch_execz .LBB919_247
; %bb.246:                              ;   in Loop: Header=BB919_213 Depth=1
	v_and_b32_e32 v42, 7, v36
	v_ffbh_u32_e32 v52, v42
	v_min_u32_e32 v63, 32, v52
	v_subrev_u32_e32 v52, 28, v63
	v_lshlrev_b64 v[52:53], v52, v[36:37]
	v_lshrrev_b32_e32 v62, 3, v44
	v_sub_u32_e32 v36, 29, v63
	v_and_b32_e32 v52, 7, v52
	v_cmp_gt_u32_e32 vcc, 8, v44
	v_cndmask_b32_e32 v36, v62, v36, vcc
	v_cndmask_b32_e32 v42, v42, v52, vcc
	v_lshlrev_b32_e32 v44, 16, v34
	v_lshlrev_b32_e32 v42, 20, v42
	v_and_b32_e32 v44, 0x80000000, v44
	v_lshl_add_u32 v36, v36, 23, v48
	v_or3_b32 v36, v44, v36, v42
	v_lshrrev_b32_e32 v42, 16, v36
.LBB919_247:                            ;   in Loop: Header=BB919_213 Depth=1
	s_or_b64 exec, exec, s[16:17]
.LBB919_248:                            ;   in Loop: Header=BB919_213 Depth=1
	s_or_b64 exec, exec, s[14:15]
.LBB919_249:                            ;   in Loop: Header=BB919_213 Depth=1
	s_or_b64 exec, exec, s[12:13]
	v_lshrrev_b32_e32 v36, 16, v34
	v_cmp_ne_u16_sdwa s[14:15], v36, v47 src0_sel:BYTE_0 src1_sel:DWORD
	s_and_saveexec_b64 s[12:13], s[14:15]
	s_cbranch_execz .LBB919_255
; %bb.250:                              ;   in Loop: Header=BB919_213 Depth=1
	v_cmp_ne_u16_sdwa s[16:17], v36, s9 src0_sel:BYTE_0 src1_sel:DWORD
	v_mov_b32_e32 v51, 0xffff8000
	s_and_saveexec_b64 s[14:15], s[16:17]
	s_cbranch_execz .LBB919_254
; %bb.251:                              ;   in Loop: Header=BB919_213 Depth=1
	v_bfe_u32 v44, v34, 16, 7
	v_cmp_ne_u32_e32 vcc, s21, v44
	v_mov_b32_e32 v51, 0x7f80
	s_and_saveexec_b64 s[16:17], vcc
	s_cbranch_execz .LBB919_253
; %bb.252:                              ;   in Loop: Header=BB919_213 Depth=1
	v_and_b32_e32 v51, 7, v36
	v_ffbh_u32_e32 v52, v51
	v_min_u32_e32 v63, 32, v52
	v_subrev_u32_e32 v52, 28, v63
	v_lshlrev_b64 v[52:53], v52, v[36:37]
	v_lshrrev_b32_e32 v62, 3, v44
	v_sub_u32_e32 v53, 29, v63
	v_and_b32_e32 v52, 7, v52
	v_cmp_gt_u32_e32 vcc, 8, v44
	v_cndmask_b32_e32 v44, v62, v53, vcc
	v_cndmask_b32_e32 v51, v51, v52, vcc
	v_lshlrev_b32_e32 v36, 24, v36
	v_lshlrev_b32_e32 v51, 20, v51
	v_and_b32_e32 v36, 0x80000000, v36
	v_lshl_add_u32 v44, v44, 23, v48
	v_or3_b32 v36, v36, v44, v51
	v_lshrrev_b32_e32 v51, 16, v36
.LBB919_253:                            ;   in Loop: Header=BB919_213 Depth=1
	s_or_b64 exec, exec, s[16:17]
.LBB919_254:                            ;   in Loop: Header=BB919_213 Depth=1
	s_or_b64 exec, exec, s[14:15]
.LBB919_255:                            ;   in Loop: Header=BB919_213 Depth=1
	s_or_b64 exec, exec, s[12:13]
	v_cmp_lt_u32_e32 vcc, s22, v34
	v_mov_b32_e32 v44, 0
	v_mov_b32_e32 v52, 0
	s_and_saveexec_b64 s[12:13], vcc
	s_cbranch_execz .LBB919_261
; %bb.256:                              ;   in Loop: Header=BB919_213 Depth=1
	v_lshrrev_b32_e32 v36, 24, v34
	v_cmp_ne_u32_e32 vcc, s9, v36
	v_mov_b32_e32 v52, 0xffff8000
	s_and_saveexec_b64 s[14:15], vcc
	s_cbranch_execz .LBB919_260
; %bb.257:                              ;   in Loop: Header=BB919_213 Depth=1
	v_bfe_u32 v34, v34, 24, 7
	v_cmp_ne_u32_e32 vcc, s21, v34
	v_mov_b32_e32 v52, 0x7f80
	s_and_saveexec_b64 s[16:17], vcc
	s_cbranch_execz .LBB919_259
; %bb.258:                              ;   in Loop: Header=BB919_213 Depth=1
	v_and_b32_e32 v62, 7, v36
	v_ffbh_u32_e32 v52, v62
	v_min_u32_e32 v64, 32, v52
	v_subrev_u32_e32 v52, 28, v64
	v_lshlrev_b64 v[52:53], v52, v[36:37]
	v_lshrrev_b32_e32 v63, 3, v34
	v_sub_u32_e32 v53, 29, v64
	v_and_b32_e32 v52, 7, v52
	v_cmp_gt_u32_e32 vcc, 8, v34
	v_cndmask_b32_e32 v34, v63, v53, vcc
	v_cndmask_b32_e32 v52, v62, v52, vcc
	v_lshlrev_b32_e32 v36, 24, v36
	v_lshlrev_b32_e32 v52, 20, v52
	v_and_b32_e32 v36, 0x80000000, v36
	v_lshl_add_u32 v34, v34, 23, v48
	v_or3_b32 v34, v36, v34, v52
	v_lshrrev_b32_e32 v52, 16, v34
.LBB919_259:                            ;   in Loop: Header=BB919_213 Depth=1
	s_or_b64 exec, exec, s[16:17]
.LBB919_260:                            ;   in Loop: Header=BB919_213 Depth=1
	s_or_b64 exec, exec, s[14:15]
.LBB919_261:                            ;   in Loop: Header=BB919_213 Depth=1
	s_or_b64 exec, exec, s[12:13]
	v_perm_b32 v63, v50, v46, s23
	v_perm_b32 v62, v37, v35, s23
	;; [unrolled: 1-line block ×4, first 2 shown]
	s_waitcnt vmcnt(1)
	v_cmp_ne_u16_sdwa s[14:15], v40, v47 src0_sel:BYTE_0 src1_sel:DWORD
	v_mfma_f32_16x16x16bf16_1k v[34:37], v[62:63], v[2:3], 0
	v_mfma_f32_16x16x16bf16_1k v[34:37], v[50:51], v[4:5], v[34:37]
	s_and_saveexec_b64 s[12:13], s[14:15]
	s_cbranch_execz .LBB919_267
; %bb.262:                              ;   in Loop: Header=BB919_213 Depth=1
	v_cmp_ne_u16_sdwa s[16:17], v40, s9 src0_sel:BYTE_0 src1_sel:DWORD
	v_mov_b32_e32 v44, 0xffff8000
	s_and_saveexec_b64 s[14:15], s[16:17]
	s_cbranch_execz .LBB919_266
; %bb.263:                              ;   in Loop: Header=BB919_213 Depth=1
	v_and_b32_e32 v42, 0x7f, v40
	v_cmp_ne_u32_e32 vcc, s21, v42
	v_mov_b32_e32 v44, 0x7f80
	s_and_saveexec_b64 s[16:17], vcc
	s_cbranch_execz .LBB919_265
; %bb.264:                              ;   in Loop: Header=BB919_213 Depth=1
	v_and_b32_e32 v44, 7, v40
	v_ffbh_u32_e32 v49, v44
	v_min_u32_e32 v49, 32, v49
	v_subrev_u32_e32 v50, 28, v49
	v_lshlrev_b64 v[50:51], v50, v[40:41]
	v_lshrrev_b32_e32 v46, 3, v42
	v_sub_u32_e32 v49, 29, v49
	v_and_b32_e32 v50, 7, v50
	v_cmp_gt_u32_e32 vcc, 8, v42
	v_cndmask_b32_e32 v42, v46, v49, vcc
	v_cndmask_b32_e32 v44, v44, v50, vcc
	v_lshlrev_b32_e32 v46, 24, v40
	v_lshlrev_b32_e32 v44, 20, v44
	v_and_b32_e32 v46, 0x80000000, v46
	v_lshl_add_u32 v42, v42, 23, v48
	v_or3_b32 v42, v46, v42, v44
	v_lshrrev_b32_e32 v44, 16, v42
.LBB919_265:                            ;   in Loop: Header=BB919_213 Depth=1
	s_or_b64 exec, exec, s[16:17]
.LBB919_266:                            ;   in Loop: Header=BB919_213 Depth=1
	s_or_b64 exec, exec, s[14:15]
.LBB919_267:                            ;   in Loop: Header=BB919_213 Depth=1
	s_or_b64 exec, exec, s[12:13]
	v_lshrrev_b16_e32 v42, 8, v40
	v_cmp_ne_u16_e32 vcc, 0, v42
	v_mov_b32_e32 v50, 0
	v_mov_b32_e32 v46, 0
	s_and_saveexec_b64 s[12:13], vcc
	s_cbranch_execz .LBB919_273
; %bb.268:                              ;   in Loop: Header=BB919_213 Depth=1
	v_cmp_ne_u16_e32 vcc, s9, v42
	v_mov_b32_e32 v46, 0xffff8000
	s_and_saveexec_b64 s[14:15], vcc
	s_cbranch_execz .LBB919_272
; %bb.269:                              ;   in Loop: Header=BB919_213 Depth=1
	v_and_b32_e32 v49, 0x7f, v42
	v_cmp_ne_u32_e32 vcc, s21, v49
	v_mov_b32_e32 v46, 0x7f80
	s_and_saveexec_b64 s[16:17], vcc
	s_cbranch_execz .LBB919_271
; %bb.270:                              ;   in Loop: Header=BB919_213 Depth=1
	v_and_b32_e32 v46, 7, v42
	v_ffbh_u32_e32 v52, v46
	v_min_u32_e32 v62, 32, v52
	v_subrev_u32_e32 v52, 28, v62
	v_lshlrev_b64 v[52:53], v52, v[42:43]
	v_lshrrev_b32_e32 v51, 3, v49
	v_sub_u32_e32 v42, 29, v62
	v_and_b32_e32 v52, 7, v52
	v_cmp_gt_u32_e32 vcc, 8, v49
	v_cndmask_b32_e32 v42, v51, v42, vcc
	v_cndmask_b32_e32 v46, v46, v52, vcc
	v_lshlrev_b32_e32 v49, 16, v40
	v_lshlrev_b32_e32 v46, 20, v46
	v_and_b32_e32 v49, 0x80000000, v49
	v_lshl_add_u32 v42, v42, 23, v48
	v_or3_b32 v42, v49, v42, v46
	v_lshrrev_b32_e32 v46, 16, v42
.LBB919_271:                            ;   in Loop: Header=BB919_213 Depth=1
	s_or_b64 exec, exec, s[16:17]
.LBB919_272:                            ;   in Loop: Header=BB919_213 Depth=1
	s_or_b64 exec, exec, s[14:15]
.LBB919_273:                            ;   in Loop: Header=BB919_213 Depth=1
	s_or_b64 exec, exec, s[12:13]
	v_lshrrev_b32_e32 v42, 16, v40
	v_cmp_ne_u16_sdwa s[14:15], v42, v47 src0_sel:BYTE_0 src1_sel:DWORD
	s_and_saveexec_b64 s[12:13], s[14:15]
	s_cbranch_execz .LBB919_279
; %bb.274:                              ;   in Loop: Header=BB919_213 Depth=1
	v_cmp_ne_u16_sdwa s[16:17], v42, s9 src0_sel:BYTE_0 src1_sel:DWORD
	v_mov_b32_e32 v50, 0xffff8000
	s_and_saveexec_b64 s[14:15], s[16:17]
	s_cbranch_execz .LBB919_278
; %bb.275:                              ;   in Loop: Header=BB919_213 Depth=1
	v_bfe_u32 v49, v40, 16, 7
	v_cmp_ne_u32_e32 vcc, s21, v49
	v_mov_b32_e32 v50, 0x7f80
	s_and_saveexec_b64 s[16:17], vcc
	s_cbranch_execz .LBB919_277
; %bb.276:                              ;   in Loop: Header=BB919_213 Depth=1
	v_and_b32_e32 v52, 7, v42
	v_ffbh_u32_e32 v50, v52
	v_min_u32_e32 v62, 32, v50
	v_subrev_u32_e32 v50, 28, v62
	v_lshlrev_b64 v[50:51], v50, v[42:43]
	v_lshrrev_b32_e32 v53, 3, v49
	v_sub_u32_e32 v51, 29, v62
	v_and_b32_e32 v50, 7, v50
	v_cmp_gt_u32_e32 vcc, 8, v49
	v_cndmask_b32_e32 v49, v53, v51, vcc
	v_cndmask_b32_e32 v50, v52, v50, vcc
	v_lshlrev_b32_e32 v42, 24, v42
	v_lshlrev_b32_e32 v50, 20, v50
	v_and_b32_e32 v42, 0x80000000, v42
	v_lshl_add_u32 v49, v49, 23, v48
	v_or3_b32 v42, v42, v49, v50
	v_lshrrev_b32_e32 v50, 16, v42
.LBB919_277:                            ;   in Loop: Header=BB919_213 Depth=1
	s_or_b64 exec, exec, s[16:17]
.LBB919_278:                            ;   in Loop: Header=BB919_213 Depth=1
	s_or_b64 exec, exec, s[14:15]
.LBB919_279:                            ;   in Loop: Header=BB919_213 Depth=1
	s_or_b64 exec, exec, s[12:13]
	v_cmp_lt_u32_e32 vcc, s22, v40
	v_mov_b32_e32 v51, 0
	v_mov_b32_e32 v52, 0
	s_and_saveexec_b64 s[12:13], vcc
	s_cbranch_execz .LBB919_285
; %bb.280:                              ;   in Loop: Header=BB919_213 Depth=1
	v_lshrrev_b32_e32 v42, 24, v40
	v_cmp_ne_u32_e32 vcc, s9, v42
	v_mov_b32_e32 v52, 0xffff8000
	s_and_saveexec_b64 s[14:15], vcc
	s_cbranch_execz .LBB919_284
; %bb.281:                              ;   in Loop: Header=BB919_213 Depth=1
	v_bfe_u32 v40, v40, 24, 7
	v_cmp_ne_u32_e32 vcc, s21, v40
	v_mov_b32_e32 v52, 0x7f80
	s_and_saveexec_b64 s[16:17], vcc
	s_cbranch_execz .LBB919_283
; %bb.282:                              ;   in Loop: Header=BB919_213 Depth=1
	v_and_b32_e32 v49, 7, v42
	v_ffbh_u32_e32 v52, v49
	v_min_u32_e32 v63, 32, v52
	v_subrev_u32_e32 v52, 28, v63
	v_lshlrev_b64 v[52:53], v52, v[42:43]
	v_lshrrev_b32_e32 v62, 3, v40
	v_sub_u32_e32 v53, 29, v63
	v_and_b32_e32 v52, 7, v52
	v_cmp_gt_u32_e32 vcc, 8, v40
	v_cndmask_b32_e32 v40, v62, v53, vcc
	v_cndmask_b32_e32 v49, v49, v52, vcc
	v_lshlrev_b32_e32 v42, 24, v42
	v_lshlrev_b32_e32 v49, 20, v49
	v_and_b32_e32 v42, 0x80000000, v42
	v_lshl_add_u32 v40, v40, 23, v48
	v_or3_b32 v40, v42, v40, v49
	v_lshrrev_b32_e32 v52, 16, v40
.LBB919_283:                            ;   in Loop: Header=BB919_213 Depth=1
	s_or_b64 exec, exec, s[16:17]
.LBB919_284:                            ;   in Loop: Header=BB919_213 Depth=1
	s_or_b64 exec, exec, s[14:15]
.LBB919_285:                            ;   in Loop: Header=BB919_213 Depth=1
	s_or_b64 exec, exec, s[12:13]
	s_waitcnt vmcnt(0)
	v_cmp_ne_u16_sdwa s[14:15], v38, v47 src0_sel:BYTE_0 src1_sel:DWORD
	s_and_saveexec_b64 s[12:13], s[14:15]
	s_cbranch_execz .LBB919_291
; %bb.286:                              ;   in Loop: Header=BB919_213 Depth=1
	v_cmp_ne_u16_sdwa s[16:17], v38, s9 src0_sel:BYTE_0 src1_sel:DWORD
	v_mov_b32_e32 v51, 0xffff8000
	s_and_saveexec_b64 s[14:15], s[16:17]
	s_cbranch_execz .LBB919_290
; %bb.287:                              ;   in Loop: Header=BB919_213 Depth=1
	v_and_b32_e32 v40, 0x7f, v38
	v_cmp_ne_u32_e32 vcc, s21, v40
	v_mov_b32_e32 v51, 0x7f80
	s_and_saveexec_b64 s[16:17], vcc
	s_cbranch_execz .LBB919_289
; %bb.288:                              ;   in Loop: Header=BB919_213 Depth=1
	v_and_b32_e32 v42, 7, v38
	v_ffbh_u32_e32 v51, v42
	v_min_u32_e32 v51, 32, v51
	v_subrev_u32_e32 v53, 28, v51
	v_lshlrev_b64 v[62:63], v53, v[38:39]
	v_lshrrev_b32_e32 v49, 3, v40
	v_sub_u32_e32 v51, 29, v51
	v_and_b32_e32 v53, 7, v62
	v_cmp_gt_u32_e32 vcc, 8, v40
	v_cndmask_b32_e32 v40, v49, v51, vcc
	v_cndmask_b32_e32 v42, v42, v53, vcc
	v_lshlrev_b32_e32 v49, 24, v38
	v_lshlrev_b32_e32 v42, 20, v42
	v_and_b32_e32 v49, 0x80000000, v49
	v_lshl_add_u32 v40, v40, 23, v48
	v_or3_b32 v40, v49, v40, v42
	v_lshrrev_b32_e32 v51, 16, v40
.LBB919_289:                            ;   in Loop: Header=BB919_213 Depth=1
	s_or_b64 exec, exec, s[16:17]
.LBB919_290:                            ;   in Loop: Header=BB919_213 Depth=1
	s_or_b64 exec, exec, s[14:15]
.LBB919_291:                            ;   in Loop: Header=BB919_213 Depth=1
	s_or_b64 exec, exec, s[12:13]
	v_lshrrev_b16_e32 v40, 8, v38
	v_cmp_ne_u16_e32 vcc, 0, v40
	v_mov_b32_e32 v62, 0
	v_mov_b32_e32 v53, 0
	s_and_saveexec_b64 s[12:13], vcc
	s_cbranch_execz .LBB919_297
; %bb.292:                              ;   in Loop: Header=BB919_213 Depth=1
	v_cmp_ne_u16_e32 vcc, s9, v40
	v_mov_b32_e32 v53, 0xffff8000
	s_and_saveexec_b64 s[14:15], vcc
	s_cbranch_execz .LBB919_296
; %bb.293:                              ;   in Loop: Header=BB919_213 Depth=1
	v_and_b32_e32 v42, 0x7f, v40
	v_cmp_ne_u32_e32 vcc, s21, v42
	v_mov_b32_e32 v53, 0x7f80
	s_and_saveexec_b64 s[16:17], vcc
	s_cbranch_execz .LBB919_295
; %bb.294:                              ;   in Loop: Header=BB919_213 Depth=1
	v_and_b32_e32 v49, 7, v40
	v_ffbh_u32_e32 v63, v49
	v_min_u32_e32 v63, 32, v63
	v_subrev_u32_e32 v64, 28, v63
	v_lshlrev_b64 v[64:65], v64, v[40:41]
	v_lshrrev_b32_e32 v53, 3, v42
	v_sub_u32_e32 v40, 29, v63
	v_and_b32_e32 v63, 7, v64
	v_cmp_gt_u32_e32 vcc, 8, v42
	v_cndmask_b32_e32 v40, v53, v40, vcc
	v_cndmask_b32_e32 v42, v49, v63, vcc
	v_lshlrev_b32_e32 v49, 16, v38
	v_lshlrev_b32_e32 v42, 20, v42
	v_and_b32_e32 v49, 0x80000000, v49
	v_lshl_add_u32 v40, v40, 23, v48
	v_or3_b32 v40, v49, v40, v42
	v_lshrrev_b32_e32 v53, 16, v40
.LBB919_295:                            ;   in Loop: Header=BB919_213 Depth=1
	s_or_b64 exec, exec, s[16:17]
.LBB919_296:                            ;   in Loop: Header=BB919_213 Depth=1
	s_or_b64 exec, exec, s[14:15]
.LBB919_297:                            ;   in Loop: Header=BB919_213 Depth=1
	s_or_b64 exec, exec, s[12:13]
	v_lshrrev_b32_e32 v40, 16, v38
	v_cmp_ne_u16_sdwa s[14:15], v40, v47 src0_sel:BYTE_0 src1_sel:DWORD
	s_and_saveexec_b64 s[12:13], s[14:15]
	s_cbranch_execz .LBB919_303
; %bb.298:                              ;   in Loop: Header=BB919_213 Depth=1
	v_cmp_ne_u16_sdwa s[16:17], v40, s9 src0_sel:BYTE_0 src1_sel:DWORD
	v_mov_b32_e32 v62, 0xffff8000
	s_and_saveexec_b64 s[14:15], s[16:17]
	s_cbranch_execz .LBB919_302
; %bb.299:                              ;   in Loop: Header=BB919_213 Depth=1
	v_bfe_u32 v42, v38, 16, 7
	v_cmp_ne_u32_e32 vcc, s21, v42
	v_mov_b32_e32 v62, 0x7f80
	s_and_saveexec_b64 s[16:17], vcc
	s_cbranch_execz .LBB919_301
; %bb.300:                              ;   in Loop: Header=BB919_213 Depth=1
	v_and_b32_e32 v49, 7, v40
	v_ffbh_u32_e32 v62, v49
	v_min_u32_e32 v65, 32, v62
	v_subrev_u32_e32 v62, 28, v65
	v_lshlrev_b64 v[62:63], v62, v[40:41]
	v_lshrrev_b32_e32 v64, 3, v42
	v_sub_u32_e32 v63, 29, v65
	v_and_b32_e32 v62, 7, v62
	v_cmp_gt_u32_e32 vcc, 8, v42
	v_cndmask_b32_e32 v42, v64, v63, vcc
	v_cndmask_b32_e32 v49, v49, v62, vcc
	v_lshlrev_b32_e32 v40, 24, v40
	v_lshlrev_b32_e32 v49, 20, v49
	v_and_b32_e32 v40, 0x80000000, v40
	v_lshl_add_u32 v42, v42, 23, v48
	v_or3_b32 v40, v40, v42, v49
	v_lshrrev_b32_e32 v62, 16, v40
.LBB919_301:                            ;   in Loop: Header=BB919_213 Depth=1
	s_or_b64 exec, exec, s[16:17]
.LBB919_302:                            ;   in Loop: Header=BB919_213 Depth=1
	s_or_b64 exec, exec, s[14:15]
.LBB919_303:                            ;   in Loop: Header=BB919_213 Depth=1
	s_or_b64 exec, exec, s[12:13]
	v_cmp_lt_u32_e32 vcc, s22, v38
	v_mov_b32_e32 v49, 0
	v_mov_b32_e32 v63, 0
	s_and_saveexec_b64 s[12:13], vcc
	s_cbranch_execz .LBB919_309
; %bb.304:                              ;   in Loop: Header=BB919_213 Depth=1
	v_lshrrev_b32_e32 v40, 24, v38
	v_cmp_ne_u32_e32 vcc, s9, v40
	v_mov_b32_e32 v63, 0xffff8000
	s_and_saveexec_b64 s[14:15], vcc
	s_cbranch_execz .LBB919_308
; %bb.305:                              ;   in Loop: Header=BB919_213 Depth=1
	v_bfe_u32 v38, v38, 24, 7
	v_cmp_ne_u32_e32 vcc, s21, v38
	v_mov_b32_e32 v63, 0x7f80
	s_and_saveexec_b64 s[16:17], vcc
	s_cbranch_execz .LBB919_307
; %bb.306:                              ;   in Loop: Header=BB919_213 Depth=1
	v_and_b32_e32 v42, 7, v40
	v_ffbh_u32_e32 v64, v42
	v_min_u32_e32 v66, 32, v64
	v_subrev_u32_e32 v64, 28, v66
	v_lshlrev_b64 v[64:65], v64, v[40:41]
	v_lshrrev_b32_e32 v63, 3, v38
	v_sub_u32_e32 v65, 29, v66
	v_and_b32_e32 v64, 7, v64
	v_cmp_gt_u32_e32 vcc, 8, v38
	v_cndmask_b32_e32 v38, v63, v65, vcc
	v_cndmask_b32_e32 v42, v42, v64, vcc
	v_lshlrev_b32_e32 v40, 24, v40
	v_lshlrev_b32_e32 v42, 20, v42
	v_and_b32_e32 v40, 0x80000000, v40
	v_lshl_add_u32 v38, v38, 23, v48
	v_or3_b32 v38, v40, v38, v42
	v_lshrrev_b32_e32 v63, 16, v38
.LBB919_307:                            ;   in Loop: Header=BB919_213 Depth=1
	s_or_b64 exec, exec, s[16:17]
.LBB919_308:                            ;   in Loop: Header=BB919_213 Depth=1
	s_or_b64 exec, exec, s[14:15]
.LBB919_309:                            ;   in Loop: Header=BB919_213 Depth=1
	s_or_b64 exec, exec, s[12:13]
	v_perm_b32 v64, v46, v44, s23
	buffer_load_dword v44, v61, s[0:3], 0 offen
	buffer_load_dword v42, v61, s[0:3], 0 offen offset:4
	buffer_load_dword v40, v61, s[0:3], 0 offen offset:8
	;; [unrolled: 1-line block ×3, first 2 shown]
	v_perm_b32 v65, v52, v50, s23
	v_perm_b32 v63, v63, v62, s23
	;; [unrolled: 1-line block ×3, first 2 shown]
	v_mfma_f32_16x16x16bf16_1k v[34:37], v[64:65], v[6:7], v[34:37]
	s_waitcnt vmcnt(3)
	v_cmp_ne_u16_sdwa s[14:15], v44, v47 src0_sel:BYTE_0 src1_sel:DWORD
	v_mfma_f32_16x16x16bf16_1k v[34:37], v[62:63], v[8:9], v[34:37]
	s_and_saveexec_b64 s[12:13], s[14:15]
	s_cbranch_execz .LBB919_315
; %bb.310:                              ;   in Loop: Header=BB919_213 Depth=1
	v_cmp_ne_u16_sdwa s[16:17], v44, s9 src0_sel:BYTE_0 src1_sel:DWORD
	v_mov_b32_e32 v49, 0xffff8000
	s_and_saveexec_b64 s[14:15], s[16:17]
	s_cbranch_execz .LBB919_314
; %bb.311:                              ;   in Loop: Header=BB919_213 Depth=1
	v_and_b32_e32 v46, 0x7f, v44
	v_cmp_ne_u32_e32 vcc, s21, v46
	v_mov_b32_e32 v49, 0x7f80
	s_and_saveexec_b64 s[16:17], vcc
	s_cbranch_execz .LBB919_313
; %bb.312:                              ;   in Loop: Header=BB919_213 Depth=1
	v_and_b32_e32 v49, 7, v44
	v_ffbh_u32_e32 v50, v49
	v_min_u32_e32 v53, 32, v50
	v_subrev_u32_e32 v50, 28, v53
	v_lshlrev_b64 v[50:51], v50, v[44:45]
	v_lshrrev_b32_e32 v52, 3, v46
	v_sub_u32_e32 v51, 29, v53
	v_and_b32_e32 v50, 7, v50
	v_cmp_gt_u32_e32 vcc, 8, v46
	v_cndmask_b32_e32 v46, v52, v51, vcc
	v_cndmask_b32_e32 v49, v49, v50, vcc
	v_lshlrev_b32_e32 v50, 24, v44
	v_lshlrev_b32_e32 v49, 20, v49
	v_and_b32_e32 v50, 0x80000000, v50
	v_lshl_add_u32 v46, v46, 23, v48
	v_or3_b32 v46, v50, v46, v49
	v_lshrrev_b32_e32 v49, 16, v46
.LBB919_313:                            ;   in Loop: Header=BB919_213 Depth=1
	s_or_b64 exec, exec, s[16:17]
.LBB919_314:                            ;   in Loop: Header=BB919_213 Depth=1
	s_or_b64 exec, exec, s[14:15]
.LBB919_315:                            ;   in Loop: Header=BB919_213 Depth=1
	s_or_b64 exec, exec, s[12:13]
	v_lshrrev_b16_e32 v46, 8, v44
	v_cmp_ne_u16_e32 vcc, 0, v46
	v_mov_b32_e32 v51, 0
	v_mov_b32_e32 v50, 0
	s_and_saveexec_b64 s[12:13], vcc
	s_cbranch_execz .LBB919_321
; %bb.316:                              ;   in Loop: Header=BB919_213 Depth=1
	v_cmp_ne_u16_e32 vcc, s9, v46
	v_mov_b32_e32 v50, 0xffff8000
	s_and_saveexec_b64 s[14:15], vcc
	s_cbranch_execz .LBB919_320
; %bb.317:                              ;   in Loop: Header=BB919_213 Depth=1
	v_and_b32_e32 v52, 0x7f, v46
	v_cmp_ne_u32_e32 vcc, s21, v52
	v_mov_b32_e32 v50, 0x7f80
	s_and_saveexec_b64 s[16:17], vcc
	s_cbranch_execz .LBB919_319
; %bb.318:                              ;   in Loop: Header=BB919_213 Depth=1
	v_and_b32_e32 v50, 7, v46
	v_ffbh_u32_e32 v61, v50
	v_min_u32_e32 v61, 32, v61
	v_subrev_u32_e32 v62, 28, v61
	v_lshlrev_b64 v[62:63], v62, v[46:47]
	v_lshrrev_b32_e32 v53, 3, v52
	v_sub_u32_e32 v46, 29, v61
	v_and_b32_e32 v61, 7, v62
	v_cmp_gt_u32_e32 vcc, 8, v52
	v_cndmask_b32_e32 v46, v53, v46, vcc
	v_cndmask_b32_e32 v50, v50, v61, vcc
	v_lshlrev_b32_e32 v52, 16, v44
	v_lshlrev_b32_e32 v50, 20, v50
	v_and_b32_e32 v52, 0x80000000, v52
	v_lshl_add_u32 v46, v46, 23, v48
	v_or3_b32 v46, v52, v46, v50
	v_lshrrev_b32_e32 v50, 16, v46
.LBB919_319:                            ;   in Loop: Header=BB919_213 Depth=1
	s_or_b64 exec, exec, s[16:17]
.LBB919_320:                            ;   in Loop: Header=BB919_213 Depth=1
	s_or_b64 exec, exec, s[14:15]
.LBB919_321:                            ;   in Loop: Header=BB919_213 Depth=1
	s_or_b64 exec, exec, s[12:13]
	v_lshrrev_b32_e32 v46, 16, v44
	v_cmp_ne_u16_sdwa s[14:15], v46, v47 src0_sel:BYTE_0 src1_sel:DWORD
	s_and_saveexec_b64 s[12:13], s[14:15]
	s_cbranch_execz .LBB919_327
; %bb.322:                              ;   in Loop: Header=BB919_213 Depth=1
	v_cmp_ne_u16_sdwa s[16:17], v46, s9 src0_sel:BYTE_0 src1_sel:DWORD
	v_mov_b32_e32 v51, 0xffff8000
	s_and_saveexec_b64 s[14:15], s[16:17]
	s_cbranch_execz .LBB919_326
; %bb.323:                              ;   in Loop: Header=BB919_213 Depth=1
	v_bfe_u32 v52, v44, 16, 7
	v_cmp_ne_u32_e32 vcc, s21, v52
	v_mov_b32_e32 v51, 0x7f80
	s_and_saveexec_b64 s[16:17], vcc
	s_cbranch_execz .LBB919_325
; %bb.324:                              ;   in Loop: Header=BB919_213 Depth=1
	v_and_b32_e32 v51, 7, v46
	v_ffbh_u32_e32 v61, v51
	v_min_u32_e32 v61, 32, v61
	v_subrev_u32_e32 v62, 28, v61
	v_lshlrev_b64 v[62:63], v62, v[46:47]
	v_lshrrev_b32_e32 v53, 3, v52
	v_sub_u32_e32 v61, 29, v61
	v_and_b32_e32 v62, 7, v62
	v_cmp_gt_u32_e32 vcc, 8, v52
	v_cndmask_b32_e32 v52, v53, v61, vcc
	v_cndmask_b32_e32 v51, v51, v62, vcc
	v_lshlrev_b32_e32 v46, 24, v46
	v_lshlrev_b32_e32 v51, 20, v51
	v_and_b32_e32 v46, 0x80000000, v46
	v_lshl_add_u32 v52, v52, 23, v48
	v_or3_b32 v46, v46, v52, v51
	v_lshrrev_b32_e32 v51, 16, v46
.LBB919_325:                            ;   in Loop: Header=BB919_213 Depth=1
	s_or_b64 exec, exec, s[16:17]
.LBB919_326:                            ;   in Loop: Header=BB919_213 Depth=1
	s_or_b64 exec, exec, s[14:15]
.LBB919_327:                            ;   in Loop: Header=BB919_213 Depth=1
	s_or_b64 exec, exec, s[12:13]
	v_cmp_lt_u32_e32 vcc, s22, v44
	v_mov_b32_e32 v52, 0
	v_mov_b32_e32 v53, 0
	s_and_saveexec_b64 s[12:13], vcc
	s_cbranch_execz .LBB919_333
; %bb.328:                              ;   in Loop: Header=BB919_213 Depth=1
	v_lshrrev_b32_e32 v46, 24, v44
	v_cmp_ne_u32_e32 vcc, s9, v46
	v_mov_b32_e32 v53, 0xffff8000
	s_and_saveexec_b64 s[14:15], vcc
	s_cbranch_execz .LBB919_332
; %bb.329:                              ;   in Loop: Header=BB919_213 Depth=1
	v_bfe_u32 v44, v44, 24, 7
	v_cmp_ne_u32_e32 vcc, s21, v44
	v_mov_b32_e32 v53, 0x7f80
	s_and_saveexec_b64 s[16:17], vcc
	s_cbranch_execz .LBB919_331
; %bb.330:                              ;   in Loop: Header=BB919_213 Depth=1
	v_and_b32_e32 v53, 7, v46
	v_ffbh_u32_e32 v62, v53
	v_min_u32_e32 v64, 32, v62
	v_subrev_u32_e32 v62, 28, v64
	v_lshlrev_b64 v[62:63], v62, v[46:47]
	v_lshrrev_b32_e32 v61, 3, v44
	v_sub_u32_e32 v63, 29, v64
	v_and_b32_e32 v62, 7, v62
	v_cmp_gt_u32_e32 vcc, 8, v44
	v_cndmask_b32_e32 v44, v61, v63, vcc
	v_cndmask_b32_e32 v53, v53, v62, vcc
	v_lshlrev_b32_e32 v46, 24, v46
	v_lshlrev_b32_e32 v53, 20, v53
	v_and_b32_e32 v46, 0x80000000, v46
	v_lshl_add_u32 v44, v44, 23, v48
	v_or3_b32 v44, v46, v44, v53
	v_lshrrev_b32_e32 v53, 16, v44
.LBB919_331:                            ;   in Loop: Header=BB919_213 Depth=1
	s_or_b64 exec, exec, s[16:17]
.LBB919_332:                            ;   in Loop: Header=BB919_213 Depth=1
	s_or_b64 exec, exec, s[14:15]
.LBB919_333:                            ;   in Loop: Header=BB919_213 Depth=1
	s_or_b64 exec, exec, s[12:13]
	s_waitcnt vmcnt(2)
	v_cmp_ne_u16_sdwa s[14:15], v42, v47 src0_sel:BYTE_0 src1_sel:DWORD
	s_and_saveexec_b64 s[12:13], s[14:15]
	s_cbranch_execz .LBB919_339
; %bb.334:                              ;   in Loop: Header=BB919_213 Depth=1
	v_cmp_ne_u16_sdwa s[16:17], v42, s9 src0_sel:BYTE_0 src1_sel:DWORD
	v_mov_b32_e32 v52, 0xffff8000
	s_and_saveexec_b64 s[14:15], s[16:17]
	s_cbranch_execz .LBB919_338
; %bb.335:                              ;   in Loop: Header=BB919_213 Depth=1
	v_and_b32_e32 v44, 0x7f, v42
	v_cmp_ne_u32_e32 vcc, s21, v44
	v_mov_b32_e32 v52, 0x7f80
	s_and_saveexec_b64 s[16:17], vcc
	s_cbranch_execz .LBB919_337
; %bb.336:                              ;   in Loop: Header=BB919_213 Depth=1
	v_and_b32_e32 v46, 7, v42
	v_ffbh_u32_e32 v61, v46
	v_min_u32_e32 v61, 32, v61
	v_subrev_u32_e32 v62, 28, v61
	v_lshlrev_b64 v[62:63], v62, v[42:43]
	v_lshrrev_b32_e32 v52, 3, v44
	v_sub_u32_e32 v61, 29, v61
	v_and_b32_e32 v62, 7, v62
	v_cmp_gt_u32_e32 vcc, 8, v44
	v_cndmask_b32_e32 v44, v52, v61, vcc
	v_cndmask_b32_e32 v46, v46, v62, vcc
	v_lshlrev_b32_e32 v52, 24, v42
	v_lshlrev_b32_e32 v46, 20, v46
	v_and_b32_e32 v52, 0x80000000, v52
	v_lshl_add_u32 v44, v44, 23, v48
	v_or3_b32 v44, v52, v44, v46
	v_lshrrev_b32_e32 v52, 16, v44
.LBB919_337:                            ;   in Loop: Header=BB919_213 Depth=1
	s_or_b64 exec, exec, s[16:17]
.LBB919_338:                            ;   in Loop: Header=BB919_213 Depth=1
	s_or_b64 exec, exec, s[14:15]
.LBB919_339:                            ;   in Loop: Header=BB919_213 Depth=1
	s_or_b64 exec, exec, s[12:13]
	v_lshrrev_b16_e32 v44, 8, v42
	v_cmp_ne_u16_e32 vcc, 0, v44
	v_mov_b32_e32 v62, 0
	v_mov_b32_e32 v61, 0
	s_and_saveexec_b64 s[12:13], vcc
	s_cbranch_execz .LBB919_345
; %bb.340:                              ;   in Loop: Header=BB919_213 Depth=1
	v_cmp_ne_u16_e32 vcc, s9, v44
	v_mov_b32_e32 v61, 0xffff8000
	s_and_saveexec_b64 s[14:15], vcc
	s_cbranch_execz .LBB919_344
; %bb.341:                              ;   in Loop: Header=BB919_213 Depth=1
	v_and_b32_e32 v46, 0x7f, v44
	v_cmp_ne_u32_e32 vcc, s21, v46
	v_mov_b32_e32 v61, 0x7f80
	s_and_saveexec_b64 s[16:17], vcc
	s_cbranch_execz .LBB919_343
; %bb.342:                              ;   in Loop: Header=BB919_213 Depth=1
	v_and_b32_e32 v61, 7, v44
	v_ffbh_u32_e32 v64, v61
	v_min_u32_e32 v66, 32, v64
	v_subrev_u32_e32 v64, 28, v66
	v_lshlrev_b64 v[64:65], v64, v[44:45]
	v_lshrrev_b32_e32 v63, 3, v46
	v_sub_u32_e32 v44, 29, v66
	v_and_b32_e32 v64, 7, v64
	v_cmp_gt_u32_e32 vcc, 8, v46
	v_cndmask_b32_e32 v44, v63, v44, vcc
	v_cndmask_b32_e32 v46, v61, v64, vcc
	v_lshlrev_b32_e32 v61, 16, v42
	v_lshlrev_b32_e32 v46, 20, v46
	v_and_b32_e32 v61, 0x80000000, v61
	v_lshl_add_u32 v44, v44, 23, v48
	v_or3_b32 v44, v61, v44, v46
	v_lshrrev_b32_e32 v61, 16, v44
.LBB919_343:                            ;   in Loop: Header=BB919_213 Depth=1
	s_or_b64 exec, exec, s[16:17]
.LBB919_344:                            ;   in Loop: Header=BB919_213 Depth=1
	s_or_b64 exec, exec, s[14:15]
.LBB919_345:                            ;   in Loop: Header=BB919_213 Depth=1
	s_or_b64 exec, exec, s[12:13]
	v_lshrrev_b32_e32 v44, 16, v42
	v_cmp_ne_u16_sdwa s[14:15], v44, v47 src0_sel:BYTE_0 src1_sel:DWORD
	s_and_saveexec_b64 s[12:13], s[14:15]
	s_cbranch_execz .LBB919_351
; %bb.346:                              ;   in Loop: Header=BB919_213 Depth=1
	v_cmp_ne_u16_sdwa s[16:17], v44, s9 src0_sel:BYTE_0 src1_sel:DWORD
	v_mov_b32_e32 v62, 0xffff8000
	s_and_saveexec_b64 s[14:15], s[16:17]
	s_cbranch_execz .LBB919_350
; %bb.347:                              ;   in Loop: Header=BB919_213 Depth=1
	v_bfe_u32 v46, v42, 16, 7
	v_cmp_ne_u32_e32 vcc, s21, v46
	v_mov_b32_e32 v62, 0x7f80
	s_and_saveexec_b64 s[16:17], vcc
	s_cbranch_execz .LBB919_349
; %bb.348:                              ;   in Loop: Header=BB919_213 Depth=1
	v_and_b32_e32 v64, 7, v44
	v_ffbh_u32_e32 v62, v64
	v_min_u32_e32 v66, 32, v62
	v_subrev_u32_e32 v62, 28, v66
	v_lshlrev_b64 v[62:63], v62, v[44:45]
	v_lshrrev_b32_e32 v65, 3, v46
	v_sub_u32_e32 v63, 29, v66
	v_and_b32_e32 v62, 7, v62
	v_cmp_gt_u32_e32 vcc, 8, v46
	v_cndmask_b32_e32 v46, v65, v63, vcc
	v_cndmask_b32_e32 v62, v64, v62, vcc
	v_lshlrev_b32_e32 v44, 24, v44
	v_lshlrev_b32_e32 v62, 20, v62
	v_and_b32_e32 v44, 0x80000000, v44
	v_lshl_add_u32 v46, v46, 23, v48
	v_or3_b32 v44, v44, v46, v62
	v_lshrrev_b32_e32 v62, 16, v44
.LBB919_349:                            ;   in Loop: Header=BB919_213 Depth=1
	s_or_b64 exec, exec, s[16:17]
.LBB919_350:                            ;   in Loop: Header=BB919_213 Depth=1
	s_or_b64 exec, exec, s[14:15]
.LBB919_351:                            ;   in Loop: Header=BB919_213 Depth=1
	s_or_b64 exec, exec, s[12:13]
	v_cmp_lt_u32_e32 vcc, s22, v42
	v_mov_b32_e32 v46, 0
	v_mov_b32_e32 v63, 0
	s_and_saveexec_b64 s[12:13], vcc
	s_cbranch_execz .LBB919_357
; %bb.352:                              ;   in Loop: Header=BB919_213 Depth=1
	v_lshrrev_b32_e32 v44, 24, v42
	v_cmp_ne_u32_e32 vcc, s9, v44
	v_mov_b32_e32 v63, 0xffff8000
	s_and_saveexec_b64 s[14:15], vcc
	s_cbranch_execz .LBB919_356
; %bb.353:                              ;   in Loop: Header=BB919_213 Depth=1
	v_bfe_u32 v42, v42, 24, 7
	v_cmp_ne_u32_e32 vcc, s21, v42
	v_mov_b32_e32 v63, 0x7f80
	s_and_saveexec_b64 s[16:17], vcc
	s_cbranch_execz .LBB919_355
; %bb.354:                              ;   in Loop: Header=BB919_213 Depth=1
	v_and_b32_e32 v63, 7, v44
	v_ffbh_u32_e32 v64, v63
	v_min_u32_e32 v67, 32, v64
	v_subrev_u32_e32 v64, 28, v67
	v_lshlrev_b64 v[64:65], v64, v[44:45]
	v_lshrrev_b32_e32 v66, 3, v42
	v_sub_u32_e32 v65, 29, v67
	v_and_b32_e32 v64, 7, v64
	v_cmp_gt_u32_e32 vcc, 8, v42
	v_cndmask_b32_e32 v42, v66, v65, vcc
	v_cndmask_b32_e32 v63, v63, v64, vcc
	v_lshlrev_b32_e32 v44, 24, v44
	v_lshlrev_b32_e32 v63, 20, v63
	v_and_b32_e32 v44, 0x80000000, v44
	v_lshl_add_u32 v42, v42, 23, v48
	v_or3_b32 v42, v44, v42, v63
	v_lshrrev_b32_e32 v63, 16, v42
.LBB919_355:                            ;   in Loop: Header=BB919_213 Depth=1
	s_or_b64 exec, exec, s[16:17]
.LBB919_356:                            ;   in Loop: Header=BB919_213 Depth=1
	s_or_b64 exec, exec, s[14:15]
.LBB919_357:                            ;   in Loop: Header=BB919_213 Depth=1
	s_or_b64 exec, exec, s[12:13]
	v_perm_b32 v51, v53, v51, s23
	v_perm_b32 v50, v50, v49, s23
	s_waitcnt vmcnt(1)
	v_cmp_ne_u16_sdwa s[14:15], v40, v47 src0_sel:BYTE_0 src1_sel:DWORD
	v_mfma_f32_16x16x16bf16_1k v[34:37], v[50:51], v[10:11], v[34:37]
	v_perm_b32 v51, v63, v62, s23
	v_perm_b32 v50, v61, v52, s23
	s_nop 1
	v_mfma_f32_16x16x16bf16_1k v[34:37], v[50:51], v[12:13], v[34:37]
	s_and_saveexec_b64 s[12:13], s[14:15]
	s_cbranch_execz .LBB919_363
; %bb.358:                              ;   in Loop: Header=BB919_213 Depth=1
	v_cmp_ne_u16_sdwa s[16:17], v40, s9 src0_sel:BYTE_0 src1_sel:DWORD
	v_mov_b32_e32 v46, 0xffff8000
	s_and_saveexec_b64 s[14:15], s[16:17]
	s_cbranch_execz .LBB919_362
; %bb.359:                              ;   in Loop: Header=BB919_213 Depth=1
	v_and_b32_e32 v42, 0x7f, v40
	v_cmp_ne_u32_e32 vcc, s21, v42
	v_mov_b32_e32 v46, 0x7f80
	s_and_saveexec_b64 s[16:17], vcc
	s_cbranch_execz .LBB919_361
; %bb.360:                              ;   in Loop: Header=BB919_213 Depth=1
	v_and_b32_e32 v44, 7, v40
	v_ffbh_u32_e32 v49, v44
	v_min_u32_e32 v49, 32, v49
	v_subrev_u32_e32 v50, 28, v49
	v_lshlrev_b64 v[50:51], v50, v[40:41]
	v_lshrrev_b32_e32 v46, 3, v42
	v_sub_u32_e32 v49, 29, v49
	v_and_b32_e32 v50, 7, v50
	v_cmp_gt_u32_e32 vcc, 8, v42
	v_cndmask_b32_e32 v42, v46, v49, vcc
	v_cndmask_b32_e32 v44, v44, v50, vcc
	v_lshlrev_b32_e32 v46, 24, v40
	v_lshlrev_b32_e32 v44, 20, v44
	v_and_b32_e32 v46, 0x80000000, v46
	v_lshl_add_u32 v42, v42, 23, v48
	v_or3_b32 v42, v46, v42, v44
	v_lshrrev_b32_e32 v46, 16, v42
.LBB919_361:                            ;   in Loop: Header=BB919_213 Depth=1
	s_or_b64 exec, exec, s[16:17]
.LBB919_362:                            ;   in Loop: Header=BB919_213 Depth=1
	s_or_b64 exec, exec, s[14:15]
.LBB919_363:                            ;   in Loop: Header=BB919_213 Depth=1
	s_or_b64 exec, exec, s[12:13]
	v_lshrrev_b16_e32 v42, 8, v40
	v_cmp_ne_u16_e32 vcc, 0, v42
	v_mov_b32_e32 v50, 0
	v_mov_b32_e32 v44, 0
	s_and_saveexec_b64 s[12:13], vcc
	s_cbranch_execz .LBB919_369
; %bb.364:                              ;   in Loop: Header=BB919_213 Depth=1
	v_cmp_ne_u16_e32 vcc, s9, v42
	v_mov_b32_e32 v44, 0xffff8000
	s_and_saveexec_b64 s[14:15], vcc
	s_cbranch_execz .LBB919_368
; %bb.365:                              ;   in Loop: Header=BB919_213 Depth=1
	v_and_b32_e32 v49, 0x7f, v42
	v_cmp_ne_u32_e32 vcc, s21, v49
	v_mov_b32_e32 v44, 0x7f80
	s_and_saveexec_b64 s[16:17], vcc
	s_cbranch_execz .LBB919_367
; %bb.366:                              ;   in Loop: Header=BB919_213 Depth=1
	v_and_b32_e32 v44, 7, v42
	v_ffbh_u32_e32 v52, v44
	v_min_u32_e32 v61, 32, v52
	v_subrev_u32_e32 v52, 28, v61
	v_lshlrev_b64 v[52:53], v52, v[42:43]
	v_lshrrev_b32_e32 v51, 3, v49
	v_sub_u32_e32 v42, 29, v61
	v_and_b32_e32 v52, 7, v52
	v_cmp_gt_u32_e32 vcc, 8, v49
	v_cndmask_b32_e32 v42, v51, v42, vcc
	v_cndmask_b32_e32 v44, v44, v52, vcc
	v_lshlrev_b32_e32 v49, 16, v40
	v_lshlrev_b32_e32 v44, 20, v44
	v_and_b32_e32 v49, 0x80000000, v49
	v_lshl_add_u32 v42, v42, 23, v48
	v_or3_b32 v42, v49, v42, v44
	v_lshrrev_b32_e32 v44, 16, v42
.LBB919_367:                            ;   in Loop: Header=BB919_213 Depth=1
	s_or_b64 exec, exec, s[16:17]
.LBB919_368:                            ;   in Loop: Header=BB919_213 Depth=1
	s_or_b64 exec, exec, s[14:15]
.LBB919_369:                            ;   in Loop: Header=BB919_213 Depth=1
	s_or_b64 exec, exec, s[12:13]
	v_lshrrev_b32_e32 v42, 16, v40
	v_cmp_ne_u16_sdwa s[14:15], v42, v47 src0_sel:BYTE_0 src1_sel:DWORD
	s_and_saveexec_b64 s[12:13], s[14:15]
	s_cbranch_execz .LBB919_375
; %bb.370:                              ;   in Loop: Header=BB919_213 Depth=1
	v_cmp_ne_u16_sdwa s[16:17], v42, s9 src0_sel:BYTE_0 src1_sel:DWORD
	v_mov_b32_e32 v50, 0xffff8000
	s_and_saveexec_b64 s[14:15], s[16:17]
	s_cbranch_execz .LBB919_374
; %bb.371:                              ;   in Loop: Header=BB919_213 Depth=1
	v_bfe_u32 v49, v40, 16, 7
	v_cmp_ne_u32_e32 vcc, s21, v49
	v_mov_b32_e32 v50, 0x7f80
	s_and_saveexec_b64 s[16:17], vcc
	s_cbranch_execz .LBB919_373
; %bb.372:                              ;   in Loop: Header=BB919_213 Depth=1
	v_and_b32_e32 v52, 7, v42
	v_ffbh_u32_e32 v50, v52
	v_min_u32_e32 v61, 32, v50
	v_subrev_u32_e32 v50, 28, v61
	v_lshlrev_b64 v[50:51], v50, v[42:43]
	v_lshrrev_b32_e32 v53, 3, v49
	v_sub_u32_e32 v51, 29, v61
	v_and_b32_e32 v50, 7, v50
	v_cmp_gt_u32_e32 vcc, 8, v49
	v_cndmask_b32_e32 v49, v53, v51, vcc
	v_cndmask_b32_e32 v50, v52, v50, vcc
	v_lshlrev_b32_e32 v42, 24, v42
	v_lshlrev_b32_e32 v50, 20, v50
	v_and_b32_e32 v42, 0x80000000, v42
	v_lshl_add_u32 v49, v49, 23, v48
	v_or3_b32 v42, v42, v49, v50
	v_lshrrev_b32_e32 v50, 16, v42
.LBB919_373:                            ;   in Loop: Header=BB919_213 Depth=1
	s_or_b64 exec, exec, s[16:17]
.LBB919_374:                            ;   in Loop: Header=BB919_213 Depth=1
	s_or_b64 exec, exec, s[14:15]
.LBB919_375:                            ;   in Loop: Header=BB919_213 Depth=1
	s_or_b64 exec, exec, s[12:13]
	v_cmp_lt_u32_e32 vcc, s22, v40
	v_mov_b32_e32 v51, 0
	v_mov_b32_e32 v52, 0
	s_and_saveexec_b64 s[12:13], vcc
	s_cbranch_execz .LBB919_381
; %bb.376:                              ;   in Loop: Header=BB919_213 Depth=1
	v_lshrrev_b32_e32 v42, 24, v40
	v_cmp_ne_u32_e32 vcc, s9, v42
	v_mov_b32_e32 v52, 0xffff8000
	s_and_saveexec_b64 s[14:15], vcc
	s_cbranch_execz .LBB919_380
; %bb.377:                              ;   in Loop: Header=BB919_213 Depth=1
	v_bfe_u32 v40, v40, 24, 7
	v_cmp_ne_u32_e32 vcc, s21, v40
	v_mov_b32_e32 v52, 0x7f80
	s_and_saveexec_b64 s[16:17], vcc
	s_cbranch_execz .LBB919_379
; %bb.378:                              ;   in Loop: Header=BB919_213 Depth=1
	v_and_b32_e32 v49, 7, v42
	v_ffbh_u32_e32 v52, v49
	v_min_u32_e32 v62, 32, v52
	v_subrev_u32_e32 v52, 28, v62
	v_lshlrev_b64 v[52:53], v52, v[42:43]
	v_lshrrev_b32_e32 v61, 3, v40
	v_sub_u32_e32 v53, 29, v62
	v_and_b32_e32 v52, 7, v52
	v_cmp_gt_u32_e32 vcc, 8, v40
	v_cndmask_b32_e32 v40, v61, v53, vcc
	v_cndmask_b32_e32 v49, v49, v52, vcc
	v_lshlrev_b32_e32 v42, 24, v42
	v_lshlrev_b32_e32 v49, 20, v49
	v_and_b32_e32 v42, 0x80000000, v42
	v_lshl_add_u32 v40, v40, 23, v48
	v_or3_b32 v40, v42, v40, v49
	v_lshrrev_b32_e32 v52, 16, v40
.LBB919_379:                            ;   in Loop: Header=BB919_213 Depth=1
	s_or_b64 exec, exec, s[16:17]
.LBB919_380:                            ;   in Loop: Header=BB919_213 Depth=1
	s_or_b64 exec, exec, s[14:15]
.LBB919_381:                            ;   in Loop: Header=BB919_213 Depth=1
	s_or_b64 exec, exec, s[12:13]
	s_waitcnt vmcnt(0)
	v_cmp_ne_u16_sdwa s[14:15], v38, v47 src0_sel:BYTE_0 src1_sel:DWORD
	s_and_saveexec_b64 s[12:13], s[14:15]
	s_cbranch_execz .LBB919_387
; %bb.382:                              ;   in Loop: Header=BB919_213 Depth=1
	v_cmp_ne_u16_sdwa s[16:17], v38, s9 src0_sel:BYTE_0 src1_sel:DWORD
	v_mov_b32_e32 v51, 0xffff8000
	s_and_saveexec_b64 s[14:15], s[16:17]
	s_cbranch_execz .LBB919_386
; %bb.383:                              ;   in Loop: Header=BB919_213 Depth=1
	v_and_b32_e32 v40, 0x7f, v38
	v_cmp_ne_u32_e32 vcc, s21, v40
	v_mov_b32_e32 v51, 0x7f80
	s_and_saveexec_b64 s[16:17], vcc
	s_cbranch_execz .LBB919_385
; %bb.384:                              ;   in Loop: Header=BB919_213 Depth=1
	v_and_b32_e32 v42, 7, v38
	v_ffbh_u32_e32 v51, v42
	v_min_u32_e32 v51, 32, v51
	v_subrev_u32_e32 v53, 28, v51
	v_lshlrev_b64 v[62:63], v53, v[38:39]
	v_lshrrev_b32_e32 v49, 3, v40
	v_sub_u32_e32 v51, 29, v51
	v_and_b32_e32 v53, 7, v62
	v_cmp_gt_u32_e32 vcc, 8, v40
	v_cndmask_b32_e32 v40, v49, v51, vcc
	v_cndmask_b32_e32 v42, v42, v53, vcc
	v_lshlrev_b32_e32 v49, 24, v38
	v_lshlrev_b32_e32 v42, 20, v42
	v_and_b32_e32 v49, 0x80000000, v49
	v_lshl_add_u32 v40, v40, 23, v48
	v_or3_b32 v40, v49, v40, v42
	v_lshrrev_b32_e32 v51, 16, v40
.LBB919_385:                            ;   in Loop: Header=BB919_213 Depth=1
	s_or_b64 exec, exec, s[16:17]
.LBB919_386:                            ;   in Loop: Header=BB919_213 Depth=1
	s_or_b64 exec, exec, s[14:15]
.LBB919_387:                            ;   in Loop: Header=BB919_213 Depth=1
	s_or_b64 exec, exec, s[12:13]
	v_lshrrev_b16_e32 v40, 8, v38
	v_cmp_ne_u16_e32 vcc, 0, v40
	v_mov_b32_e32 v61, 0
	v_mov_b32_e32 v53, 0
	s_and_saveexec_b64 s[12:13], vcc
	s_cbranch_execz .LBB919_393
; %bb.388:                              ;   in Loop: Header=BB919_213 Depth=1
	v_cmp_ne_u16_e32 vcc, s9, v40
	v_mov_b32_e32 v53, 0xffff8000
	s_and_saveexec_b64 s[14:15], vcc
	s_cbranch_execz .LBB919_392
; %bb.389:                              ;   in Loop: Header=BB919_213 Depth=1
	v_and_b32_e32 v42, 0x7f, v40
	v_cmp_ne_u32_e32 vcc, s21, v42
	v_mov_b32_e32 v53, 0x7f80
	s_and_saveexec_b64 s[16:17], vcc
	s_cbranch_execz .LBB919_391
; %bb.390:                              ;   in Loop: Header=BB919_213 Depth=1
	v_and_b32_e32 v49, 7, v40
	v_ffbh_u32_e32 v62, v49
	v_min_u32_e32 v64, 32, v62
	v_subrev_u32_e32 v62, 28, v64
	v_lshlrev_b64 v[62:63], v62, v[40:41]
	v_lshrrev_b32_e32 v53, 3, v42
	v_sub_u32_e32 v40, 29, v64
	v_and_b32_e32 v62, 7, v62
	v_cmp_gt_u32_e32 vcc, 8, v42
	v_cndmask_b32_e32 v40, v53, v40, vcc
	v_cndmask_b32_e32 v42, v49, v62, vcc
	v_lshlrev_b32_e32 v49, 16, v38
	v_lshlrev_b32_e32 v42, 20, v42
	v_and_b32_e32 v49, 0x80000000, v49
	v_lshl_add_u32 v40, v40, 23, v48
	v_or3_b32 v40, v49, v40, v42
	v_lshrrev_b32_e32 v53, 16, v40
.LBB919_391:                            ;   in Loop: Header=BB919_213 Depth=1
	s_or_b64 exec, exec, s[16:17]
.LBB919_392:                            ;   in Loop: Header=BB919_213 Depth=1
	s_or_b64 exec, exec, s[14:15]
.LBB919_393:                            ;   in Loop: Header=BB919_213 Depth=1
	s_or_b64 exec, exec, s[12:13]
	v_lshrrev_b32_e32 v40, 16, v38
	v_cmp_ne_u16_sdwa s[14:15], v40, v47 src0_sel:BYTE_0 src1_sel:DWORD
	s_and_saveexec_b64 s[12:13], s[14:15]
	s_cbranch_execz .LBB919_399
; %bb.394:                              ;   in Loop: Header=BB919_213 Depth=1
	v_cmp_ne_u16_sdwa s[16:17], v40, s9 src0_sel:BYTE_0 src1_sel:DWORD
	v_mov_b32_e32 v61, 0xffff8000
	s_and_saveexec_b64 s[14:15], s[16:17]
	s_cbranch_execz .LBB919_398
; %bb.395:                              ;   in Loop: Header=BB919_213 Depth=1
	v_bfe_u32 v42, v38, 16, 7
	v_cmp_ne_u32_e32 vcc, s21, v42
	v_mov_b32_e32 v61, 0x7f80
	s_and_saveexec_b64 s[16:17], vcc
	s_cbranch_execz .LBB919_397
; %bb.396:                              ;   in Loop: Header=BB919_213 Depth=1
	v_and_b32_e32 v49, 7, v40
	v_ffbh_u32_e32 v62, v49
	v_min_u32_e32 v64, 32, v62
	v_subrev_u32_e32 v62, 28, v64
	v_lshlrev_b64 v[62:63], v62, v[40:41]
	v_lshrrev_b32_e32 v61, 3, v42
	v_sub_u32_e32 v63, 29, v64
	v_and_b32_e32 v62, 7, v62
	v_cmp_gt_u32_e32 vcc, 8, v42
	v_cndmask_b32_e32 v42, v61, v63, vcc
	v_cndmask_b32_e32 v49, v49, v62, vcc
	v_lshlrev_b32_e32 v40, 24, v40
	v_lshlrev_b32_e32 v49, 20, v49
	v_and_b32_e32 v40, 0x80000000, v40
	v_lshl_add_u32 v42, v42, 23, v48
	v_or3_b32 v40, v40, v42, v49
	v_lshrrev_b32_e32 v61, 16, v40
.LBB919_397:                            ;   in Loop: Header=BB919_213 Depth=1
	s_or_b64 exec, exec, s[16:17]
.LBB919_398:                            ;   in Loop: Header=BB919_213 Depth=1
	s_or_b64 exec, exec, s[14:15]
.LBB919_399:                            ;   in Loop: Header=BB919_213 Depth=1
	s_or_b64 exec, exec, s[12:13]
	v_cmp_lt_u32_e32 vcc, s22, v38
	v_mov_b32_e32 v49, 0
	v_mov_b32_e32 v62, 0
	s_and_saveexec_b64 s[12:13], vcc
	s_cbranch_execz .LBB919_405
; %bb.400:                              ;   in Loop: Header=BB919_213 Depth=1
	v_lshrrev_b32_e32 v40, 24, v38
	v_cmp_ne_u32_e32 vcc, s9, v40
	v_mov_b32_e32 v62, 0xffff8000
	s_and_saveexec_b64 s[14:15], vcc
	s_cbranch_execz .LBB919_404
; %bb.401:                              ;   in Loop: Header=BB919_213 Depth=1
	v_bfe_u32 v38, v38, 24, 7
	v_cmp_ne_u32_e32 vcc, s21, v38
	v_mov_b32_e32 v62, 0x7f80
	s_and_saveexec_b64 s[16:17], vcc
	s_cbranch_execz .LBB919_403
; %bb.402:                              ;   in Loop: Header=BB919_213 Depth=1
	v_and_b32_e32 v42, 7, v40
	v_ffbh_u32_e32 v62, v42
	v_min_u32_e32 v65, 32, v62
	v_subrev_u32_e32 v62, 28, v65
	v_lshlrev_b64 v[62:63], v62, v[40:41]
	v_lshrrev_b32_e32 v64, 3, v38
	v_sub_u32_e32 v63, 29, v65
	v_and_b32_e32 v62, 7, v62
	v_cmp_gt_u32_e32 vcc, 8, v38
	v_cndmask_b32_e32 v38, v64, v63, vcc
	v_cndmask_b32_e32 v42, v42, v62, vcc
	v_lshlrev_b32_e32 v40, 24, v40
	v_lshlrev_b32_e32 v42, 20, v42
	v_and_b32_e32 v40, 0x80000000, v40
	v_lshl_add_u32 v38, v38, 23, v48
	v_or3_b32 v38, v40, v38, v42
	v_lshrrev_b32_e32 v62, 16, v38
.LBB919_403:                            ;   in Loop: Header=BB919_213 Depth=1
	s_or_b64 exec, exec, s[16:17]
.LBB919_404:                            ;   in Loop: Header=BB919_213 Depth=1
	s_or_b64 exec, exec, s[14:15]
.LBB919_405:                            ;   in Loop: Header=BB919_213 Depth=1
	s_or_b64 exec, exec, s[12:13]
	v_perm_b32 v64, v44, v46, s23
	buffer_load_dword v44, v60, s[0:3], 0 offen
	buffer_load_dword v42, v60, s[0:3], 0 offen offset:4
	buffer_load_dword v40, v60, s[0:3], 0 offen offset:8
	;; [unrolled: 1-line block ×3, first 2 shown]
	v_perm_b32 v65, v52, v50, s23
	v_perm_b32 v61, v62, v61, s23
	;; [unrolled: 1-line block ×3, first 2 shown]
	v_mfma_f32_16x16x16bf16_1k v[34:37], v[64:65], v[14:15], v[34:37]
	s_waitcnt vmcnt(3)
	v_cmp_ne_u16_sdwa s[14:15], v44, v47 src0_sel:BYTE_0 src1_sel:DWORD
	v_mfma_f32_16x16x16bf16_1k v[34:37], v[60:61], v[16:17], v[34:37]
	s_and_saveexec_b64 s[12:13], s[14:15]
	s_cbranch_execz .LBB919_411
; %bb.406:                              ;   in Loop: Header=BB919_213 Depth=1
	v_cmp_ne_u16_sdwa s[16:17], v44, s9 src0_sel:BYTE_0 src1_sel:DWORD
	v_mov_b32_e32 v49, 0xffff8000
	s_and_saveexec_b64 s[14:15], s[16:17]
	s_cbranch_execz .LBB919_410
; %bb.407:                              ;   in Loop: Header=BB919_213 Depth=1
	v_and_b32_e32 v46, 0x7f, v44
	v_cmp_ne_u32_e32 vcc, s21, v46
	v_mov_b32_e32 v49, 0x7f80
	s_and_saveexec_b64 s[16:17], vcc
	s_cbranch_execz .LBB919_409
; %bb.408:                              ;   in Loop: Header=BB919_213 Depth=1
	v_and_b32_e32 v49, 7, v44
	v_ffbh_u32_e32 v50, v49
	v_min_u32_e32 v53, 32, v50
	v_subrev_u32_e32 v50, 28, v53
	v_lshlrev_b64 v[50:51], v50, v[44:45]
	v_lshrrev_b32_e32 v52, 3, v46
	v_sub_u32_e32 v51, 29, v53
	v_and_b32_e32 v50, 7, v50
	v_cmp_gt_u32_e32 vcc, 8, v46
	v_cndmask_b32_e32 v46, v52, v51, vcc
	v_cndmask_b32_e32 v49, v49, v50, vcc
	v_lshlrev_b32_e32 v50, 24, v44
	v_lshlrev_b32_e32 v49, 20, v49
	v_and_b32_e32 v50, 0x80000000, v50
	v_lshl_add_u32 v46, v46, 23, v48
	v_or3_b32 v46, v50, v46, v49
	v_lshrrev_b32_e32 v49, 16, v46
.LBB919_409:                            ;   in Loop: Header=BB919_213 Depth=1
	s_or_b64 exec, exec, s[16:17]
.LBB919_410:                            ;   in Loop: Header=BB919_213 Depth=1
	s_or_b64 exec, exec, s[14:15]
.LBB919_411:                            ;   in Loop: Header=BB919_213 Depth=1
	s_or_b64 exec, exec, s[12:13]
	v_lshrrev_b16_e32 v46, 8, v44
	v_cmp_ne_u16_e32 vcc, 0, v46
	v_mov_b32_e32 v51, 0
	v_mov_b32_e32 v50, 0
	s_and_saveexec_b64 s[12:13], vcc
	s_cbranch_execz .LBB919_417
; %bb.412:                              ;   in Loop: Header=BB919_213 Depth=1
	v_cmp_ne_u16_e32 vcc, s9, v46
	v_mov_b32_e32 v50, 0xffff8000
	s_and_saveexec_b64 s[14:15], vcc
	s_cbranch_execz .LBB919_416
; %bb.413:                              ;   in Loop: Header=BB919_213 Depth=1
	v_and_b32_e32 v52, 0x7f, v46
	v_cmp_ne_u32_e32 vcc, s21, v52
	v_mov_b32_e32 v50, 0x7f80
	s_and_saveexec_b64 s[16:17], vcc
	s_cbranch_execz .LBB919_415
; %bb.414:                              ;   in Loop: Header=BB919_213 Depth=1
	v_and_b32_e32 v50, 7, v46
	v_ffbh_u32_e32 v60, v50
	v_min_u32_e32 v62, 32, v60
	v_subrev_u32_e32 v60, 28, v62
	v_lshlrev_b64 v[60:61], v60, v[46:47]
	v_lshrrev_b32_e32 v53, 3, v52
	v_sub_u32_e32 v46, 29, v62
	v_and_b32_e32 v60, 7, v60
	v_cmp_gt_u32_e32 vcc, 8, v52
	v_cndmask_b32_e32 v46, v53, v46, vcc
	v_cndmask_b32_e32 v50, v50, v60, vcc
	v_lshlrev_b32_e32 v52, 16, v44
	v_lshlrev_b32_e32 v50, 20, v50
	v_and_b32_e32 v52, 0x80000000, v52
	v_lshl_add_u32 v46, v46, 23, v48
	v_or3_b32 v46, v52, v46, v50
	v_lshrrev_b32_e32 v50, 16, v46
.LBB919_415:                            ;   in Loop: Header=BB919_213 Depth=1
	s_or_b64 exec, exec, s[16:17]
.LBB919_416:                            ;   in Loop: Header=BB919_213 Depth=1
	s_or_b64 exec, exec, s[14:15]
.LBB919_417:                            ;   in Loop: Header=BB919_213 Depth=1
	s_or_b64 exec, exec, s[12:13]
	v_lshrrev_b32_e32 v46, 16, v44
	v_cmp_ne_u16_sdwa s[14:15], v46, v47 src0_sel:BYTE_0 src1_sel:DWORD
	s_and_saveexec_b64 s[12:13], s[14:15]
	s_cbranch_execz .LBB919_423
; %bb.418:                              ;   in Loop: Header=BB919_213 Depth=1
	v_cmp_ne_u16_sdwa s[16:17], v46, s9 src0_sel:BYTE_0 src1_sel:DWORD
	v_mov_b32_e32 v51, 0xffff8000
	s_and_saveexec_b64 s[14:15], s[16:17]
	s_cbranch_execz .LBB919_422
; %bb.419:                              ;   in Loop: Header=BB919_213 Depth=1
	v_bfe_u32 v52, v44, 16, 7
	v_cmp_ne_u32_e32 vcc, s21, v52
	v_mov_b32_e32 v51, 0x7f80
	s_and_saveexec_b64 s[16:17], vcc
	s_cbranch_execz .LBB919_421
; %bb.420:                              ;   in Loop: Header=BB919_213 Depth=1
	v_and_b32_e32 v51, 7, v46
	v_ffbh_u32_e32 v60, v51
	v_min_u32_e32 v62, 32, v60
	v_subrev_u32_e32 v60, 28, v62
	v_lshlrev_b64 v[60:61], v60, v[46:47]
	v_lshrrev_b32_e32 v53, 3, v52
	v_sub_u32_e32 v61, 29, v62
	v_and_b32_e32 v60, 7, v60
	v_cmp_gt_u32_e32 vcc, 8, v52
	v_cndmask_b32_e32 v52, v53, v61, vcc
	v_cndmask_b32_e32 v51, v51, v60, vcc
	v_lshlrev_b32_e32 v46, 24, v46
	v_lshlrev_b32_e32 v51, 20, v51
	v_and_b32_e32 v46, 0x80000000, v46
	v_lshl_add_u32 v52, v52, 23, v48
	v_or3_b32 v46, v46, v52, v51
	v_lshrrev_b32_e32 v51, 16, v46
.LBB919_421:                            ;   in Loop: Header=BB919_213 Depth=1
	s_or_b64 exec, exec, s[16:17]
.LBB919_422:                            ;   in Loop: Header=BB919_213 Depth=1
	s_or_b64 exec, exec, s[14:15]
.LBB919_423:                            ;   in Loop: Header=BB919_213 Depth=1
	s_or_b64 exec, exec, s[12:13]
	v_cmp_lt_u32_e32 vcc, s22, v44
	v_mov_b32_e32 v52, 0
	v_mov_b32_e32 v53, 0
	s_and_saveexec_b64 s[12:13], vcc
	s_cbranch_execz .LBB919_429
; %bb.424:                              ;   in Loop: Header=BB919_213 Depth=1
	v_lshrrev_b32_e32 v46, 24, v44
	v_cmp_ne_u32_e32 vcc, s9, v46
	v_mov_b32_e32 v53, 0xffff8000
	s_and_saveexec_b64 s[14:15], vcc
	s_cbranch_execz .LBB919_428
; %bb.425:                              ;   in Loop: Header=BB919_213 Depth=1
	v_bfe_u32 v44, v44, 24, 7
	v_cmp_ne_u32_e32 vcc, s21, v44
	v_mov_b32_e32 v53, 0x7f80
	s_and_saveexec_b64 s[16:17], vcc
	s_cbranch_execz .LBB919_427
; %bb.426:                              ;   in Loop: Header=BB919_213 Depth=1
	v_and_b32_e32 v53, 7, v46
	v_ffbh_u32_e32 v60, v53
	v_min_u32_e32 v63, 32, v60
	v_subrev_u32_e32 v60, 28, v63
	v_lshlrev_b64 v[60:61], v60, v[46:47]
	v_lshrrev_b32_e32 v62, 3, v44
	v_sub_u32_e32 v61, 29, v63
	v_and_b32_e32 v60, 7, v60
	v_cmp_gt_u32_e32 vcc, 8, v44
	v_cndmask_b32_e32 v44, v62, v61, vcc
	v_cndmask_b32_e32 v53, v53, v60, vcc
	v_lshlrev_b32_e32 v46, 24, v46
	v_lshlrev_b32_e32 v53, 20, v53
	v_and_b32_e32 v46, 0x80000000, v46
	v_lshl_add_u32 v44, v44, 23, v48
	v_or3_b32 v44, v46, v44, v53
	v_lshrrev_b32_e32 v53, 16, v44
.LBB919_427:                            ;   in Loop: Header=BB919_213 Depth=1
	s_or_b64 exec, exec, s[16:17]
.LBB919_428:                            ;   in Loop: Header=BB919_213 Depth=1
	s_or_b64 exec, exec, s[14:15]
.LBB919_429:                            ;   in Loop: Header=BB919_213 Depth=1
	s_or_b64 exec, exec, s[12:13]
	s_waitcnt vmcnt(2)
	v_cmp_ne_u16_sdwa s[14:15], v42, v47 src0_sel:BYTE_0 src1_sel:DWORD
	s_and_saveexec_b64 s[12:13], s[14:15]
	s_cbranch_execz .LBB919_435
; %bb.430:                              ;   in Loop: Header=BB919_213 Depth=1
	v_cmp_ne_u16_sdwa s[16:17], v42, s9 src0_sel:BYTE_0 src1_sel:DWORD
	v_mov_b32_e32 v52, 0xffff8000
	s_and_saveexec_b64 s[14:15], s[16:17]
	s_cbranch_execz .LBB919_434
; %bb.431:                              ;   in Loop: Header=BB919_213 Depth=1
	v_and_b32_e32 v44, 0x7f, v42
	v_cmp_ne_u32_e32 vcc, s21, v44
	v_mov_b32_e32 v52, 0x7f80
	s_and_saveexec_b64 s[16:17], vcc
	s_cbranch_execz .LBB919_433
; %bb.432:                              ;   in Loop: Header=BB919_213 Depth=1
	v_and_b32_e32 v46, 7, v42
	v_ffbh_u32_e32 v60, v46
	v_min_u32_e32 v62, 32, v60
	v_subrev_u32_e32 v60, 28, v62
	v_lshlrev_b64 v[60:61], v60, v[42:43]
	v_lshrrev_b32_e32 v52, 3, v44
	v_sub_u32_e32 v61, 29, v62
	v_and_b32_e32 v60, 7, v60
	v_cmp_gt_u32_e32 vcc, 8, v44
	v_cndmask_b32_e32 v44, v52, v61, vcc
	v_cndmask_b32_e32 v46, v46, v60, vcc
	v_lshlrev_b32_e32 v52, 24, v42
	v_lshlrev_b32_e32 v46, 20, v46
	v_and_b32_e32 v52, 0x80000000, v52
	v_lshl_add_u32 v44, v44, 23, v48
	v_or3_b32 v44, v52, v44, v46
	v_lshrrev_b32_e32 v52, 16, v44
.LBB919_433:                            ;   in Loop: Header=BB919_213 Depth=1
	s_or_b64 exec, exec, s[16:17]
.LBB919_434:                            ;   in Loop: Header=BB919_213 Depth=1
	s_or_b64 exec, exec, s[14:15]
.LBB919_435:                            ;   in Loop: Header=BB919_213 Depth=1
	s_or_b64 exec, exec, s[12:13]
	v_lshrrev_b16_e32 v44, 8, v42
	v_cmp_ne_u16_e32 vcc, 0, v44
	v_mov_b32_e32 v61, 0
	v_mov_b32_e32 v60, 0
	s_and_saveexec_b64 s[12:13], vcc
	s_cbranch_execz .LBB919_441
; %bb.436:                              ;   in Loop: Header=BB919_213 Depth=1
	v_cmp_ne_u16_e32 vcc, s9, v44
	v_mov_b32_e32 v60, 0xffff8000
	s_and_saveexec_b64 s[14:15], vcc
	s_cbranch_execz .LBB919_440
; %bb.437:                              ;   in Loop: Header=BB919_213 Depth=1
	v_and_b32_e32 v46, 0x7f, v44
	v_cmp_ne_u32_e32 vcc, s21, v46
	v_mov_b32_e32 v60, 0x7f80
	s_and_saveexec_b64 s[16:17], vcc
	s_cbranch_execz .LBB919_439
; %bb.438:                              ;   in Loop: Header=BB919_213 Depth=1
	v_and_b32_e32 v60, 7, v44
	v_ffbh_u32_e32 v62, v60
	v_min_u32_e32 v65, 32, v62
	v_subrev_u32_e32 v62, 28, v65
	v_lshlrev_b64 v[62:63], v62, v[44:45]
	v_lshrrev_b32_e32 v64, 3, v46
	v_sub_u32_e32 v44, 29, v65
	v_and_b32_e32 v62, 7, v62
	v_cmp_gt_u32_e32 vcc, 8, v46
	v_cndmask_b32_e32 v44, v64, v44, vcc
	v_cndmask_b32_e32 v46, v60, v62, vcc
	v_lshlrev_b32_e32 v60, 16, v42
	v_lshlrev_b32_e32 v46, 20, v46
	v_and_b32_e32 v60, 0x80000000, v60
	v_lshl_add_u32 v44, v44, 23, v48
	v_or3_b32 v44, v60, v44, v46
	v_lshrrev_b32_e32 v60, 16, v44
.LBB919_439:                            ;   in Loop: Header=BB919_213 Depth=1
	s_or_b64 exec, exec, s[16:17]
.LBB919_440:                            ;   in Loop: Header=BB919_213 Depth=1
	s_or_b64 exec, exec, s[14:15]
.LBB919_441:                            ;   in Loop: Header=BB919_213 Depth=1
	s_or_b64 exec, exec, s[12:13]
	v_lshrrev_b32_e32 v44, 16, v42
	v_cmp_ne_u16_sdwa s[14:15], v44, v47 src0_sel:BYTE_0 src1_sel:DWORD
	s_and_saveexec_b64 s[12:13], s[14:15]
	s_cbranch_execz .LBB919_447
; %bb.442:                              ;   in Loop: Header=BB919_213 Depth=1
	v_cmp_ne_u16_sdwa s[16:17], v44, s9 src0_sel:BYTE_0 src1_sel:DWORD
	v_mov_b32_e32 v61, 0xffff8000
	s_and_saveexec_b64 s[14:15], s[16:17]
	s_cbranch_execz .LBB919_446
; %bb.443:                              ;   in Loop: Header=BB919_213 Depth=1
	v_bfe_u32 v46, v42, 16, 7
	v_cmp_ne_u32_e32 vcc, s21, v46
	v_mov_b32_e32 v61, 0x7f80
	s_and_saveexec_b64 s[16:17], vcc
	s_cbranch_execz .LBB919_445
; %bb.444:                              ;   in Loop: Header=BB919_213 Depth=1
	v_and_b32_e32 v61, 7, v44
	v_ffbh_u32_e32 v62, v61
	v_min_u32_e32 v65, 32, v62
	v_subrev_u32_e32 v62, 28, v65
	v_lshlrev_b64 v[62:63], v62, v[44:45]
	v_lshrrev_b32_e32 v64, 3, v46
	v_sub_u32_e32 v63, 29, v65
	v_and_b32_e32 v62, 7, v62
	v_cmp_gt_u32_e32 vcc, 8, v46
	v_cndmask_b32_e32 v46, v64, v63, vcc
	v_cndmask_b32_e32 v61, v61, v62, vcc
	v_lshlrev_b32_e32 v44, 24, v44
	v_lshlrev_b32_e32 v61, 20, v61
	v_and_b32_e32 v44, 0x80000000, v44
	v_lshl_add_u32 v46, v46, 23, v48
	v_or3_b32 v44, v44, v46, v61
	v_lshrrev_b32_e32 v61, 16, v44
.LBB919_445:                            ;   in Loop: Header=BB919_213 Depth=1
	s_or_b64 exec, exec, s[16:17]
.LBB919_446:                            ;   in Loop: Header=BB919_213 Depth=1
	s_or_b64 exec, exec, s[14:15]
.LBB919_447:                            ;   in Loop: Header=BB919_213 Depth=1
	s_or_b64 exec, exec, s[12:13]
	v_cmp_lt_u32_e32 vcc, s22, v42
	v_mov_b32_e32 v46, 0
	v_mov_b32_e32 v62, 0
	s_and_saveexec_b64 s[12:13], vcc
	s_cbranch_execz .LBB919_453
; %bb.448:                              ;   in Loop: Header=BB919_213 Depth=1
	v_lshrrev_b32_e32 v44, 24, v42
	v_cmp_ne_u32_e32 vcc, s9, v44
	v_mov_b32_e32 v62, 0xffff8000
	s_and_saveexec_b64 s[14:15], vcc
	s_cbranch_execz .LBB919_452
; %bb.449:                              ;   in Loop: Header=BB919_213 Depth=1
	v_bfe_u32 v42, v42, 24, 7
	v_cmp_ne_u32_e32 vcc, s21, v42
	v_mov_b32_e32 v62, 0x7f80
	s_and_saveexec_b64 s[16:17], vcc
	s_cbranch_execz .LBB919_451
; %bb.450:                              ;   in Loop: Header=BB919_213 Depth=1
	v_and_b32_e32 v64, 7, v44
	v_ffbh_u32_e32 v62, v64
	v_min_u32_e32 v66, 32, v62
	v_subrev_u32_e32 v62, 28, v66
	v_lshlrev_b64 v[62:63], v62, v[44:45]
	v_lshrrev_b32_e32 v65, 3, v42
	v_sub_u32_e32 v63, 29, v66
	v_and_b32_e32 v62, 7, v62
	v_cmp_gt_u32_e32 vcc, 8, v42
	v_cndmask_b32_e32 v42, v65, v63, vcc
	v_cndmask_b32_e32 v62, v64, v62, vcc
	v_lshlrev_b32_e32 v44, 24, v44
	v_lshlrev_b32_e32 v62, 20, v62
	v_and_b32_e32 v44, 0x80000000, v44
	v_lshl_add_u32 v42, v42, 23, v48
	v_or3_b32 v42, v44, v42, v62
	v_lshrrev_b32_e32 v62, 16, v42
.LBB919_451:                            ;   in Loop: Header=BB919_213 Depth=1
	s_or_b64 exec, exec, s[16:17]
.LBB919_452:                            ;   in Loop: Header=BB919_213 Depth=1
	s_or_b64 exec, exec, s[14:15]
.LBB919_453:                            ;   in Loop: Header=BB919_213 Depth=1
	s_or_b64 exec, exec, s[12:13]
	v_perm_b32 v51, v53, v51, s23
	v_perm_b32 v50, v50, v49, s23
	s_waitcnt vmcnt(1)
	v_cmp_ne_u16_sdwa s[14:15], v40, v47 src0_sel:BYTE_0 src1_sel:DWORD
	v_mfma_f32_16x16x16bf16_1k v[34:37], v[50:51], v[18:19], v[34:37]
	v_perm_b32 v51, v62, v61, s23
	v_perm_b32 v50, v60, v52, s23
	s_nop 1
	v_mfma_f32_16x16x16bf16_1k v[34:37], v[50:51], v[20:21], v[34:37]
	s_and_saveexec_b64 s[12:13], s[14:15]
	s_cbranch_execz .LBB919_459
; %bb.454:                              ;   in Loop: Header=BB919_213 Depth=1
	v_cmp_ne_u16_sdwa s[16:17], v40, s9 src0_sel:BYTE_0 src1_sel:DWORD
	v_mov_b32_e32 v46, 0xffff8000
	s_and_saveexec_b64 s[14:15], s[16:17]
	s_cbranch_execz .LBB919_458
; %bb.455:                              ;   in Loop: Header=BB919_213 Depth=1
	v_and_b32_e32 v42, 0x7f, v40
	v_cmp_ne_u32_e32 vcc, s21, v42
	v_mov_b32_e32 v46, 0x7f80
	s_and_saveexec_b64 s[16:17], vcc
	s_cbranch_execz .LBB919_457
; %bb.456:                              ;   in Loop: Header=BB919_213 Depth=1
	v_and_b32_e32 v44, 7, v40
	v_ffbh_u32_e32 v49, v44
	v_min_u32_e32 v49, 32, v49
	v_subrev_u32_e32 v50, 28, v49
	v_lshlrev_b64 v[50:51], v50, v[40:41]
	v_lshrrev_b32_e32 v46, 3, v42
	v_sub_u32_e32 v49, 29, v49
	v_and_b32_e32 v50, 7, v50
	v_cmp_gt_u32_e32 vcc, 8, v42
	v_cndmask_b32_e32 v42, v46, v49, vcc
	v_cndmask_b32_e32 v44, v44, v50, vcc
	v_lshlrev_b32_e32 v46, 24, v40
	v_lshlrev_b32_e32 v44, 20, v44
	v_and_b32_e32 v46, 0x80000000, v46
	v_lshl_add_u32 v42, v42, 23, v48
	v_or3_b32 v42, v46, v42, v44
	v_lshrrev_b32_e32 v46, 16, v42
.LBB919_457:                            ;   in Loop: Header=BB919_213 Depth=1
	s_or_b64 exec, exec, s[16:17]
.LBB919_458:                            ;   in Loop: Header=BB919_213 Depth=1
	s_or_b64 exec, exec, s[14:15]
.LBB919_459:                            ;   in Loop: Header=BB919_213 Depth=1
	s_or_b64 exec, exec, s[12:13]
	v_lshrrev_b16_e32 v42, 8, v40
	v_cmp_ne_u16_e32 vcc, 0, v42
	v_mov_b32_e32 v50, 0
	v_mov_b32_e32 v44, 0
	s_and_saveexec_b64 s[12:13], vcc
	s_cbranch_execz .LBB919_465
; %bb.460:                              ;   in Loop: Header=BB919_213 Depth=1
	v_cmp_ne_u16_e32 vcc, s9, v42
	v_mov_b32_e32 v44, 0xffff8000
	s_and_saveexec_b64 s[14:15], vcc
	s_cbranch_execz .LBB919_464
; %bb.461:                              ;   in Loop: Header=BB919_213 Depth=1
	v_and_b32_e32 v49, 0x7f, v42
	v_cmp_ne_u32_e32 vcc, s21, v49
	v_mov_b32_e32 v44, 0x7f80
	s_and_saveexec_b64 s[16:17], vcc
	s_cbranch_execz .LBB919_463
; %bb.462:                              ;   in Loop: Header=BB919_213 Depth=1
	v_and_b32_e32 v44, 7, v42
	v_ffbh_u32_e32 v52, v44
	v_min_u32_e32 v60, 32, v52
	v_subrev_u32_e32 v52, 28, v60
	v_lshlrev_b64 v[52:53], v52, v[42:43]
	v_lshrrev_b32_e32 v51, 3, v49
	v_sub_u32_e32 v42, 29, v60
	v_and_b32_e32 v52, 7, v52
	v_cmp_gt_u32_e32 vcc, 8, v49
	v_cndmask_b32_e32 v42, v51, v42, vcc
	v_cndmask_b32_e32 v44, v44, v52, vcc
	v_lshlrev_b32_e32 v49, 16, v40
	v_lshlrev_b32_e32 v44, 20, v44
	v_and_b32_e32 v49, 0x80000000, v49
	v_lshl_add_u32 v42, v42, 23, v48
	v_or3_b32 v42, v49, v42, v44
	v_lshrrev_b32_e32 v44, 16, v42
.LBB919_463:                            ;   in Loop: Header=BB919_213 Depth=1
	s_or_b64 exec, exec, s[16:17]
.LBB919_464:                            ;   in Loop: Header=BB919_213 Depth=1
	s_or_b64 exec, exec, s[14:15]
.LBB919_465:                            ;   in Loop: Header=BB919_213 Depth=1
	s_or_b64 exec, exec, s[12:13]
	v_lshrrev_b32_e32 v42, 16, v40
	v_cmp_ne_u16_sdwa s[14:15], v42, v47 src0_sel:BYTE_0 src1_sel:DWORD
	s_and_saveexec_b64 s[12:13], s[14:15]
	s_cbranch_execz .LBB919_471
; %bb.466:                              ;   in Loop: Header=BB919_213 Depth=1
	v_cmp_ne_u16_sdwa s[16:17], v42, s9 src0_sel:BYTE_0 src1_sel:DWORD
	v_mov_b32_e32 v50, 0xffff8000
	s_and_saveexec_b64 s[14:15], s[16:17]
	s_cbranch_execz .LBB919_470
; %bb.467:                              ;   in Loop: Header=BB919_213 Depth=1
	v_bfe_u32 v49, v40, 16, 7
	v_cmp_ne_u32_e32 vcc, s21, v49
	v_mov_b32_e32 v50, 0x7f80
	s_and_saveexec_b64 s[16:17], vcc
	s_cbranch_execz .LBB919_469
; %bb.468:                              ;   in Loop: Header=BB919_213 Depth=1
	v_and_b32_e32 v52, 7, v42
	v_ffbh_u32_e32 v50, v52
	v_min_u32_e32 v60, 32, v50
	v_subrev_u32_e32 v50, 28, v60
	v_lshlrev_b64 v[50:51], v50, v[42:43]
	v_lshrrev_b32_e32 v53, 3, v49
	v_sub_u32_e32 v51, 29, v60
	v_and_b32_e32 v50, 7, v50
	v_cmp_gt_u32_e32 vcc, 8, v49
	v_cndmask_b32_e32 v49, v53, v51, vcc
	v_cndmask_b32_e32 v50, v52, v50, vcc
	v_lshlrev_b32_e32 v42, 24, v42
	v_lshlrev_b32_e32 v50, 20, v50
	v_and_b32_e32 v42, 0x80000000, v42
	v_lshl_add_u32 v49, v49, 23, v48
	v_or3_b32 v42, v42, v49, v50
	v_lshrrev_b32_e32 v50, 16, v42
.LBB919_469:                            ;   in Loop: Header=BB919_213 Depth=1
	s_or_b64 exec, exec, s[16:17]
.LBB919_470:                            ;   in Loop: Header=BB919_213 Depth=1
	s_or_b64 exec, exec, s[14:15]
.LBB919_471:                            ;   in Loop: Header=BB919_213 Depth=1
	s_or_b64 exec, exec, s[12:13]
	v_cmp_lt_u32_e32 vcc, s22, v40
	v_mov_b32_e32 v51, 0
	v_mov_b32_e32 v52, 0
	s_and_saveexec_b64 s[12:13], vcc
	s_cbranch_execz .LBB919_477
; %bb.472:                              ;   in Loop: Header=BB919_213 Depth=1
	v_lshrrev_b32_e32 v42, 24, v40
	v_cmp_ne_u32_e32 vcc, s9, v42
	v_mov_b32_e32 v52, 0xffff8000
	s_and_saveexec_b64 s[14:15], vcc
	s_cbranch_execz .LBB919_476
; %bb.473:                              ;   in Loop: Header=BB919_213 Depth=1
	v_bfe_u32 v40, v40, 24, 7
	v_cmp_ne_u32_e32 vcc, s21, v40
	v_mov_b32_e32 v52, 0x7f80
	s_and_saveexec_b64 s[16:17], vcc
	s_cbranch_execz .LBB919_475
; %bb.474:                              ;   in Loop: Header=BB919_213 Depth=1
	v_and_b32_e32 v49, 7, v42
	v_ffbh_u32_e32 v52, v49
	v_min_u32_e32 v61, 32, v52
	v_subrev_u32_e32 v52, 28, v61
	v_lshlrev_b64 v[52:53], v52, v[42:43]
	v_lshrrev_b32_e32 v60, 3, v40
	v_sub_u32_e32 v53, 29, v61
	v_and_b32_e32 v52, 7, v52
	v_cmp_gt_u32_e32 vcc, 8, v40
	v_cndmask_b32_e32 v40, v60, v53, vcc
	v_cndmask_b32_e32 v49, v49, v52, vcc
	v_lshlrev_b32_e32 v42, 24, v42
	v_lshlrev_b32_e32 v49, 20, v49
	v_and_b32_e32 v42, 0x80000000, v42
	v_lshl_add_u32 v40, v40, 23, v48
	v_or3_b32 v40, v42, v40, v49
	v_lshrrev_b32_e32 v52, 16, v40
.LBB919_475:                            ;   in Loop: Header=BB919_213 Depth=1
	s_or_b64 exec, exec, s[16:17]
.LBB919_476:                            ;   in Loop: Header=BB919_213 Depth=1
	s_or_b64 exec, exec, s[14:15]
.LBB919_477:                            ;   in Loop: Header=BB919_213 Depth=1
	s_or_b64 exec, exec, s[12:13]
	s_waitcnt vmcnt(0)
	v_cmp_ne_u16_sdwa s[14:15], v38, v47 src0_sel:BYTE_0 src1_sel:DWORD
	s_and_saveexec_b64 s[12:13], s[14:15]
	s_cbranch_execz .LBB919_483
; %bb.478:                              ;   in Loop: Header=BB919_213 Depth=1
	v_cmp_ne_u16_sdwa s[16:17], v38, s9 src0_sel:BYTE_0 src1_sel:DWORD
	v_mov_b32_e32 v51, 0xffff8000
	s_and_saveexec_b64 s[14:15], s[16:17]
	s_cbranch_execz .LBB919_482
; %bb.479:                              ;   in Loop: Header=BB919_213 Depth=1
	v_and_b32_e32 v40, 0x7f, v38
	v_cmp_ne_u32_e32 vcc, s21, v40
	v_mov_b32_e32 v51, 0x7f80
	s_and_saveexec_b64 s[16:17], vcc
	s_cbranch_execz .LBB919_481
; %bb.480:                              ;   in Loop: Header=BB919_213 Depth=1
	v_and_b32_e32 v42, 7, v38
	v_ffbh_u32_e32 v51, v42
	v_min_u32_e32 v51, 32, v51
	v_subrev_u32_e32 v53, 28, v51
	v_lshlrev_b64 v[60:61], v53, v[38:39]
	v_lshrrev_b32_e32 v49, 3, v40
	v_sub_u32_e32 v51, 29, v51
	v_and_b32_e32 v53, 7, v60
	v_cmp_gt_u32_e32 vcc, 8, v40
	v_cndmask_b32_e32 v40, v49, v51, vcc
	v_cndmask_b32_e32 v42, v42, v53, vcc
	v_lshlrev_b32_e32 v49, 24, v38
	v_lshlrev_b32_e32 v42, 20, v42
	v_and_b32_e32 v49, 0x80000000, v49
	v_lshl_add_u32 v40, v40, 23, v48
	v_or3_b32 v40, v49, v40, v42
	v_lshrrev_b32_e32 v51, 16, v40
.LBB919_481:                            ;   in Loop: Header=BB919_213 Depth=1
	s_or_b64 exec, exec, s[16:17]
.LBB919_482:                            ;   in Loop: Header=BB919_213 Depth=1
	s_or_b64 exec, exec, s[14:15]
.LBB919_483:                            ;   in Loop: Header=BB919_213 Depth=1
	s_or_b64 exec, exec, s[12:13]
	v_lshrrev_b16_e32 v40, 8, v38
	v_cmp_ne_u16_e32 vcc, 0, v40
	v_mov_b32_e32 v60, 0
	v_mov_b32_e32 v53, 0
	s_and_saveexec_b64 s[12:13], vcc
	s_cbranch_execz .LBB919_489
; %bb.484:                              ;   in Loop: Header=BB919_213 Depth=1
	v_cmp_ne_u16_e32 vcc, s9, v40
	v_mov_b32_e32 v53, 0xffff8000
	s_and_saveexec_b64 s[14:15], vcc
	s_cbranch_execz .LBB919_488
; %bb.485:                              ;   in Loop: Header=BB919_213 Depth=1
	v_and_b32_e32 v42, 0x7f, v40
	v_cmp_ne_u32_e32 vcc, s21, v42
	v_mov_b32_e32 v53, 0x7f80
	s_and_saveexec_b64 s[16:17], vcc
	s_cbranch_execz .LBB919_487
; %bb.486:                              ;   in Loop: Header=BB919_213 Depth=1
	v_and_b32_e32 v49, 7, v40
	v_ffbh_u32_e32 v61, v49
	v_min_u32_e32 v61, 32, v61
	v_subrev_u32_e32 v62, 28, v61
	v_lshlrev_b64 v[62:63], v62, v[40:41]
	v_lshrrev_b32_e32 v53, 3, v42
	v_sub_u32_e32 v40, 29, v61
	v_and_b32_e32 v61, 7, v62
	v_cmp_gt_u32_e32 vcc, 8, v42
	v_cndmask_b32_e32 v40, v53, v40, vcc
	v_cndmask_b32_e32 v42, v49, v61, vcc
	v_lshlrev_b32_e32 v49, 16, v38
	v_lshlrev_b32_e32 v42, 20, v42
	v_and_b32_e32 v49, 0x80000000, v49
	v_lshl_add_u32 v40, v40, 23, v48
	v_or3_b32 v40, v49, v40, v42
	v_lshrrev_b32_e32 v53, 16, v40
.LBB919_487:                            ;   in Loop: Header=BB919_213 Depth=1
	s_or_b64 exec, exec, s[16:17]
.LBB919_488:                            ;   in Loop: Header=BB919_213 Depth=1
	s_or_b64 exec, exec, s[14:15]
.LBB919_489:                            ;   in Loop: Header=BB919_213 Depth=1
	s_or_b64 exec, exec, s[12:13]
	v_lshrrev_b32_e32 v40, 16, v38
	v_cmp_ne_u16_sdwa s[14:15], v40, v47 src0_sel:BYTE_0 src1_sel:DWORD
	s_and_saveexec_b64 s[12:13], s[14:15]
	s_cbranch_execz .LBB919_495
; %bb.490:                              ;   in Loop: Header=BB919_213 Depth=1
	v_cmp_ne_u16_sdwa s[16:17], v40, s9 src0_sel:BYTE_0 src1_sel:DWORD
	v_mov_b32_e32 v60, 0xffff8000
	s_and_saveexec_b64 s[14:15], s[16:17]
	s_cbranch_execz .LBB919_494
; %bb.491:                              ;   in Loop: Header=BB919_213 Depth=1
	v_bfe_u32 v42, v38, 16, 7
	v_cmp_ne_u32_e32 vcc, s21, v42
	v_mov_b32_e32 v60, 0x7f80
	s_and_saveexec_b64 s[16:17], vcc
	s_cbranch_execz .LBB919_493
; %bb.492:                              ;   in Loop: Header=BB919_213 Depth=1
	v_and_b32_e32 v49, 7, v40
	v_ffbh_u32_e32 v60, v49
	v_min_u32_e32 v63, 32, v60
	v_subrev_u32_e32 v60, 28, v63
	v_lshlrev_b64 v[60:61], v60, v[40:41]
	v_lshrrev_b32_e32 v62, 3, v42
	v_sub_u32_e32 v61, 29, v63
	v_and_b32_e32 v60, 7, v60
	v_cmp_gt_u32_e32 vcc, 8, v42
	v_cndmask_b32_e32 v42, v62, v61, vcc
	v_cndmask_b32_e32 v49, v49, v60, vcc
	v_lshlrev_b32_e32 v40, 24, v40
	v_lshlrev_b32_e32 v49, 20, v49
	v_and_b32_e32 v40, 0x80000000, v40
	v_lshl_add_u32 v42, v42, 23, v48
	v_or3_b32 v40, v40, v42, v49
	v_lshrrev_b32_e32 v60, 16, v40
.LBB919_493:                            ;   in Loop: Header=BB919_213 Depth=1
	s_or_b64 exec, exec, s[16:17]
.LBB919_494:                            ;   in Loop: Header=BB919_213 Depth=1
	s_or_b64 exec, exec, s[14:15]
.LBB919_495:                            ;   in Loop: Header=BB919_213 Depth=1
	s_or_b64 exec, exec, s[12:13]
	v_cmp_lt_u32_e32 vcc, s22, v38
	v_mov_b32_e32 v49, 0
	v_mov_b32_e32 v61, 0
	s_and_saveexec_b64 s[12:13], vcc
	s_cbranch_execz .LBB919_501
; %bb.496:                              ;   in Loop: Header=BB919_213 Depth=1
	v_lshrrev_b32_e32 v40, 24, v38
	v_cmp_ne_u32_e32 vcc, s9, v40
	v_mov_b32_e32 v61, 0xffff8000
	s_and_saveexec_b64 s[14:15], vcc
	s_cbranch_execz .LBB919_500
; %bb.497:                              ;   in Loop: Header=BB919_213 Depth=1
	v_bfe_u32 v38, v38, 24, 7
	v_cmp_ne_u32_e32 vcc, s21, v38
	v_mov_b32_e32 v61, 0x7f80
	s_and_saveexec_b64 s[16:17], vcc
	s_cbranch_execz .LBB919_499
; %bb.498:                              ;   in Loop: Header=BB919_213 Depth=1
	v_and_b32_e32 v42, 7, v40
	v_ffbh_u32_e32 v62, v42
	v_min_u32_e32 v64, 32, v62
	v_subrev_u32_e32 v62, 28, v64
	v_lshlrev_b64 v[62:63], v62, v[40:41]
	v_lshrrev_b32_e32 v61, 3, v38
	v_sub_u32_e32 v63, 29, v64
	v_and_b32_e32 v62, 7, v62
	v_cmp_gt_u32_e32 vcc, 8, v38
	v_cndmask_b32_e32 v38, v61, v63, vcc
	v_cndmask_b32_e32 v42, v42, v62, vcc
	v_lshlrev_b32_e32 v40, 24, v40
	v_lshlrev_b32_e32 v42, 20, v42
	v_and_b32_e32 v40, 0x80000000, v40
	v_lshl_add_u32 v38, v38, 23, v48
	v_or3_b32 v38, v40, v38, v42
	v_lshrrev_b32_e32 v61, 16, v38
.LBB919_499:                            ;   in Loop: Header=BB919_213 Depth=1
	s_or_b64 exec, exec, s[16:17]
.LBB919_500:                            ;   in Loop: Header=BB919_213 Depth=1
	s_or_b64 exec, exec, s[14:15]
.LBB919_501:                            ;   in Loop: Header=BB919_213 Depth=1
	s_or_b64 exec, exec, s[12:13]
	v_perm_b32 v62, v44, v46, s23
	buffer_load_dword v44, v59, s[0:3], 0 offen
	buffer_load_dword v42, v59, s[0:3], 0 offen offset:4
	buffer_load_dword v40, v59, s[0:3], 0 offen offset:8
	;; [unrolled: 1-line block ×3, first 2 shown]
	v_perm_b32 v63, v52, v50, s23
	v_perm_b32 v61, v61, v60, s23
	;; [unrolled: 1-line block ×3, first 2 shown]
	v_mfma_f32_16x16x16bf16_1k v[34:37], v[62:63], v[22:23], v[34:37]
	s_waitcnt vmcnt(3)
	v_cmp_ne_u16_sdwa s[14:15], v44, v47 src0_sel:BYTE_0 src1_sel:DWORD
	v_mfma_f32_16x16x16bf16_1k v[34:37], v[60:61], v[24:25], v[34:37]
	s_and_saveexec_b64 s[12:13], s[14:15]
	s_cbranch_execz .LBB919_507
; %bb.502:                              ;   in Loop: Header=BB919_213 Depth=1
	v_cmp_ne_u16_sdwa s[16:17], v44, s9 src0_sel:BYTE_0 src1_sel:DWORD
	v_mov_b32_e32 v49, 0xffff8000
	s_and_saveexec_b64 s[14:15], s[16:17]
	s_cbranch_execz .LBB919_506
; %bb.503:                              ;   in Loop: Header=BB919_213 Depth=1
	v_and_b32_e32 v46, 0x7f, v44
	v_cmp_ne_u32_e32 vcc, s21, v46
	v_mov_b32_e32 v49, 0x7f80
	s_and_saveexec_b64 s[16:17], vcc
	s_cbranch_execz .LBB919_505
; %bb.504:                              ;   in Loop: Header=BB919_213 Depth=1
	v_and_b32_e32 v49, 7, v44
	v_ffbh_u32_e32 v50, v49
	v_min_u32_e32 v53, 32, v50
	v_subrev_u32_e32 v50, 28, v53
	v_lshlrev_b64 v[50:51], v50, v[44:45]
	v_lshrrev_b32_e32 v52, 3, v46
	v_sub_u32_e32 v51, 29, v53
	v_and_b32_e32 v50, 7, v50
	v_cmp_gt_u32_e32 vcc, 8, v46
	v_cndmask_b32_e32 v46, v52, v51, vcc
	v_cndmask_b32_e32 v49, v49, v50, vcc
	v_lshlrev_b32_e32 v50, 24, v44
	v_lshlrev_b32_e32 v49, 20, v49
	v_and_b32_e32 v50, 0x80000000, v50
	v_lshl_add_u32 v46, v46, 23, v48
	v_or3_b32 v46, v50, v46, v49
	v_lshrrev_b32_e32 v49, 16, v46
.LBB919_505:                            ;   in Loop: Header=BB919_213 Depth=1
	s_or_b64 exec, exec, s[16:17]
.LBB919_506:                            ;   in Loop: Header=BB919_213 Depth=1
	s_or_b64 exec, exec, s[14:15]
.LBB919_507:                            ;   in Loop: Header=BB919_213 Depth=1
	s_or_b64 exec, exec, s[12:13]
	v_lshrrev_b16_e32 v46, 8, v44
	v_cmp_ne_u16_e32 vcc, 0, v46
	v_mov_b32_e32 v51, 0
	v_mov_b32_e32 v50, 0
	s_and_saveexec_b64 s[12:13], vcc
	s_cbranch_execz .LBB919_513
; %bb.508:                              ;   in Loop: Header=BB919_213 Depth=1
	v_cmp_ne_u16_e32 vcc, s9, v46
	v_mov_b32_e32 v50, 0xffff8000
	s_and_saveexec_b64 s[14:15], vcc
	s_cbranch_execz .LBB919_512
; %bb.509:                              ;   in Loop: Header=BB919_213 Depth=1
	v_and_b32_e32 v52, 0x7f, v46
	v_cmp_ne_u32_e32 vcc, s21, v52
	v_mov_b32_e32 v50, 0x7f80
	s_and_saveexec_b64 s[16:17], vcc
	s_cbranch_execz .LBB919_511
; %bb.510:                              ;   in Loop: Header=BB919_213 Depth=1
	v_and_b32_e32 v50, 7, v46
	v_ffbh_u32_e32 v59, v50
	v_min_u32_e32 v59, 32, v59
	v_subrev_u32_e32 v60, 28, v59
	v_lshlrev_b64 v[60:61], v60, v[46:47]
	v_lshrrev_b32_e32 v53, 3, v52
	v_sub_u32_e32 v46, 29, v59
	v_and_b32_e32 v59, 7, v60
	v_cmp_gt_u32_e32 vcc, 8, v52
	v_cndmask_b32_e32 v46, v53, v46, vcc
	v_cndmask_b32_e32 v50, v50, v59, vcc
	v_lshlrev_b32_e32 v52, 16, v44
	v_lshlrev_b32_e32 v50, 20, v50
	v_and_b32_e32 v52, 0x80000000, v52
	v_lshl_add_u32 v46, v46, 23, v48
	v_or3_b32 v46, v52, v46, v50
	v_lshrrev_b32_e32 v50, 16, v46
.LBB919_511:                            ;   in Loop: Header=BB919_213 Depth=1
	s_or_b64 exec, exec, s[16:17]
.LBB919_512:                            ;   in Loop: Header=BB919_213 Depth=1
	s_or_b64 exec, exec, s[14:15]
.LBB919_513:                            ;   in Loop: Header=BB919_213 Depth=1
	s_or_b64 exec, exec, s[12:13]
	v_lshrrev_b32_e32 v46, 16, v44
	v_cmp_ne_u16_sdwa s[14:15], v46, v47 src0_sel:BYTE_0 src1_sel:DWORD
	s_and_saveexec_b64 s[12:13], s[14:15]
	s_cbranch_execz .LBB919_519
; %bb.514:                              ;   in Loop: Header=BB919_213 Depth=1
	v_cmp_ne_u16_sdwa s[16:17], v46, s9 src0_sel:BYTE_0 src1_sel:DWORD
	v_mov_b32_e32 v51, 0xffff8000
	s_and_saveexec_b64 s[14:15], s[16:17]
	s_cbranch_execz .LBB919_518
; %bb.515:                              ;   in Loop: Header=BB919_213 Depth=1
	v_bfe_u32 v52, v44, 16, 7
	v_cmp_ne_u32_e32 vcc, s21, v52
	v_mov_b32_e32 v51, 0x7f80
	s_and_saveexec_b64 s[16:17], vcc
	s_cbranch_execz .LBB919_517
; %bb.516:                              ;   in Loop: Header=BB919_213 Depth=1
	v_and_b32_e32 v51, 7, v46
	v_ffbh_u32_e32 v59, v51
	v_min_u32_e32 v59, 32, v59
	v_subrev_u32_e32 v60, 28, v59
	v_lshlrev_b64 v[60:61], v60, v[46:47]
	v_lshrrev_b32_e32 v53, 3, v52
	v_sub_u32_e32 v59, 29, v59
	v_and_b32_e32 v60, 7, v60
	v_cmp_gt_u32_e32 vcc, 8, v52
	v_cndmask_b32_e32 v52, v53, v59, vcc
	v_cndmask_b32_e32 v51, v51, v60, vcc
	v_lshlrev_b32_e32 v46, 24, v46
	v_lshlrev_b32_e32 v51, 20, v51
	v_and_b32_e32 v46, 0x80000000, v46
	v_lshl_add_u32 v52, v52, 23, v48
	v_or3_b32 v46, v46, v52, v51
	v_lshrrev_b32_e32 v51, 16, v46
.LBB919_517:                            ;   in Loop: Header=BB919_213 Depth=1
	s_or_b64 exec, exec, s[16:17]
.LBB919_518:                            ;   in Loop: Header=BB919_213 Depth=1
	s_or_b64 exec, exec, s[14:15]
.LBB919_519:                            ;   in Loop: Header=BB919_213 Depth=1
	s_or_b64 exec, exec, s[12:13]
	v_cmp_lt_u32_e32 vcc, s22, v44
	v_mov_b32_e32 v52, 0
	v_mov_b32_e32 v53, 0
	s_and_saveexec_b64 s[12:13], vcc
	s_cbranch_execz .LBB919_525
; %bb.520:                              ;   in Loop: Header=BB919_213 Depth=1
	v_lshrrev_b32_e32 v46, 24, v44
	v_cmp_ne_u32_e32 vcc, s9, v46
	v_mov_b32_e32 v53, 0xffff8000
	s_and_saveexec_b64 s[14:15], vcc
	s_cbranch_execz .LBB919_524
; %bb.521:                              ;   in Loop: Header=BB919_213 Depth=1
	v_bfe_u32 v44, v44, 24, 7
	v_cmp_ne_u32_e32 vcc, s21, v44
	v_mov_b32_e32 v53, 0x7f80
	s_and_saveexec_b64 s[16:17], vcc
	s_cbranch_execz .LBB919_523
; %bb.522:                              ;   in Loop: Header=BB919_213 Depth=1
	v_and_b32_e32 v53, 7, v46
	v_ffbh_u32_e32 v60, v53
	v_min_u32_e32 v62, 32, v60
	v_subrev_u32_e32 v60, 28, v62
	v_lshlrev_b64 v[60:61], v60, v[46:47]
	v_lshrrev_b32_e32 v59, 3, v44
	v_sub_u32_e32 v61, 29, v62
	v_and_b32_e32 v60, 7, v60
	v_cmp_gt_u32_e32 vcc, 8, v44
	v_cndmask_b32_e32 v44, v59, v61, vcc
	v_cndmask_b32_e32 v53, v53, v60, vcc
	v_lshlrev_b32_e32 v46, 24, v46
	v_lshlrev_b32_e32 v53, 20, v53
	v_and_b32_e32 v46, 0x80000000, v46
	v_lshl_add_u32 v44, v44, 23, v48
	v_or3_b32 v44, v46, v44, v53
	v_lshrrev_b32_e32 v53, 16, v44
.LBB919_523:                            ;   in Loop: Header=BB919_213 Depth=1
	s_or_b64 exec, exec, s[16:17]
.LBB919_524:                            ;   in Loop: Header=BB919_213 Depth=1
	s_or_b64 exec, exec, s[14:15]
.LBB919_525:                            ;   in Loop: Header=BB919_213 Depth=1
	s_or_b64 exec, exec, s[12:13]
	s_waitcnt vmcnt(2)
	v_cmp_ne_u16_sdwa s[14:15], v42, v47 src0_sel:BYTE_0 src1_sel:DWORD
	s_and_saveexec_b64 s[12:13], s[14:15]
	s_cbranch_execz .LBB919_531
; %bb.526:                              ;   in Loop: Header=BB919_213 Depth=1
	v_cmp_ne_u16_sdwa s[16:17], v42, s9 src0_sel:BYTE_0 src1_sel:DWORD
	v_mov_b32_e32 v52, 0xffff8000
	s_and_saveexec_b64 s[14:15], s[16:17]
	s_cbranch_execz .LBB919_530
; %bb.527:                              ;   in Loop: Header=BB919_213 Depth=1
	v_and_b32_e32 v44, 0x7f, v42
	v_cmp_ne_u32_e32 vcc, s21, v44
	v_mov_b32_e32 v52, 0x7f80
	s_and_saveexec_b64 s[16:17], vcc
	s_cbranch_execz .LBB919_529
; %bb.528:                              ;   in Loop: Header=BB919_213 Depth=1
	v_and_b32_e32 v46, 7, v42
	v_ffbh_u32_e32 v59, v46
	v_min_u32_e32 v59, 32, v59
	v_subrev_u32_e32 v60, 28, v59
	v_lshlrev_b64 v[60:61], v60, v[42:43]
	v_lshrrev_b32_e32 v52, 3, v44
	v_sub_u32_e32 v59, 29, v59
	v_and_b32_e32 v60, 7, v60
	v_cmp_gt_u32_e32 vcc, 8, v44
	v_cndmask_b32_e32 v44, v52, v59, vcc
	v_cndmask_b32_e32 v46, v46, v60, vcc
	v_lshlrev_b32_e32 v52, 24, v42
	v_lshlrev_b32_e32 v46, 20, v46
	v_and_b32_e32 v52, 0x80000000, v52
	v_lshl_add_u32 v44, v44, 23, v48
	v_or3_b32 v44, v52, v44, v46
	v_lshrrev_b32_e32 v52, 16, v44
.LBB919_529:                            ;   in Loop: Header=BB919_213 Depth=1
	s_or_b64 exec, exec, s[16:17]
.LBB919_530:                            ;   in Loop: Header=BB919_213 Depth=1
	s_or_b64 exec, exec, s[14:15]
.LBB919_531:                            ;   in Loop: Header=BB919_213 Depth=1
	s_or_b64 exec, exec, s[12:13]
	v_lshrrev_b16_e32 v44, 8, v42
	v_cmp_ne_u16_e32 vcc, 0, v44
	v_mov_b32_e32 v60, 0
	v_mov_b32_e32 v59, 0
	s_and_saveexec_b64 s[12:13], vcc
	s_cbranch_execz .LBB919_537
; %bb.532:                              ;   in Loop: Header=BB919_213 Depth=1
	v_cmp_ne_u16_e32 vcc, s9, v44
	v_mov_b32_e32 v59, 0xffff8000
	s_and_saveexec_b64 s[14:15], vcc
	s_cbranch_execz .LBB919_536
; %bb.533:                              ;   in Loop: Header=BB919_213 Depth=1
	v_and_b32_e32 v46, 0x7f, v44
	v_cmp_ne_u32_e32 vcc, s21, v46
	v_mov_b32_e32 v59, 0x7f80
	s_and_saveexec_b64 s[16:17], vcc
	s_cbranch_execz .LBB919_535
; %bb.534:                              ;   in Loop: Header=BB919_213 Depth=1
	v_and_b32_e32 v59, 7, v44
	v_ffbh_u32_e32 v62, v59
	v_min_u32_e32 v64, 32, v62
	v_subrev_u32_e32 v62, 28, v64
	v_lshlrev_b64 v[62:63], v62, v[44:45]
	v_lshrrev_b32_e32 v61, 3, v46
	v_sub_u32_e32 v44, 29, v64
	v_and_b32_e32 v62, 7, v62
	v_cmp_gt_u32_e32 vcc, 8, v46
	v_cndmask_b32_e32 v44, v61, v44, vcc
	v_cndmask_b32_e32 v46, v59, v62, vcc
	v_lshlrev_b32_e32 v59, 16, v42
	v_lshlrev_b32_e32 v46, 20, v46
	v_and_b32_e32 v59, 0x80000000, v59
	v_lshl_add_u32 v44, v44, 23, v48
	v_or3_b32 v44, v59, v44, v46
	v_lshrrev_b32_e32 v59, 16, v44
.LBB919_535:                            ;   in Loop: Header=BB919_213 Depth=1
	s_or_b64 exec, exec, s[16:17]
.LBB919_536:                            ;   in Loop: Header=BB919_213 Depth=1
	s_or_b64 exec, exec, s[14:15]
.LBB919_537:                            ;   in Loop: Header=BB919_213 Depth=1
	s_or_b64 exec, exec, s[12:13]
	v_lshrrev_b32_e32 v44, 16, v42
	v_cmp_ne_u16_sdwa s[14:15], v44, v47 src0_sel:BYTE_0 src1_sel:DWORD
	s_and_saveexec_b64 s[12:13], s[14:15]
	s_cbranch_execz .LBB919_543
; %bb.538:                              ;   in Loop: Header=BB919_213 Depth=1
	v_cmp_ne_u16_sdwa s[16:17], v44, s9 src0_sel:BYTE_0 src1_sel:DWORD
	v_mov_b32_e32 v60, 0xffff8000
	s_and_saveexec_b64 s[14:15], s[16:17]
	s_cbranch_execz .LBB919_542
; %bb.539:                              ;   in Loop: Header=BB919_213 Depth=1
	v_bfe_u32 v46, v42, 16, 7
	v_cmp_ne_u32_e32 vcc, s21, v46
	v_mov_b32_e32 v60, 0x7f80
	s_and_saveexec_b64 s[16:17], vcc
	s_cbranch_execz .LBB919_541
; %bb.540:                              ;   in Loop: Header=BB919_213 Depth=1
	v_and_b32_e32 v62, 7, v44
	v_ffbh_u32_e32 v60, v62
	v_min_u32_e32 v64, 32, v60
	v_subrev_u32_e32 v60, 28, v64
	v_lshlrev_b64 v[60:61], v60, v[44:45]
	v_lshrrev_b32_e32 v63, 3, v46
	v_sub_u32_e32 v61, 29, v64
	v_and_b32_e32 v60, 7, v60
	v_cmp_gt_u32_e32 vcc, 8, v46
	v_cndmask_b32_e32 v46, v63, v61, vcc
	v_cndmask_b32_e32 v60, v62, v60, vcc
	v_lshlrev_b32_e32 v44, 24, v44
	v_lshlrev_b32_e32 v60, 20, v60
	v_and_b32_e32 v44, 0x80000000, v44
	v_lshl_add_u32 v46, v46, 23, v48
	v_or3_b32 v44, v44, v46, v60
	v_lshrrev_b32_e32 v60, 16, v44
.LBB919_541:                            ;   in Loop: Header=BB919_213 Depth=1
	s_or_b64 exec, exec, s[16:17]
.LBB919_542:                            ;   in Loop: Header=BB919_213 Depth=1
	s_or_b64 exec, exec, s[14:15]
.LBB919_543:                            ;   in Loop: Header=BB919_213 Depth=1
	s_or_b64 exec, exec, s[12:13]
	v_cmp_lt_u32_e32 vcc, s22, v42
	v_mov_b32_e32 v46, 0
	v_mov_b32_e32 v61, 0
	s_and_saveexec_b64 s[12:13], vcc
	s_cbranch_execz .LBB919_549
; %bb.544:                              ;   in Loop: Header=BB919_213 Depth=1
	v_lshrrev_b32_e32 v44, 24, v42
	v_cmp_ne_u32_e32 vcc, s9, v44
	v_mov_b32_e32 v61, 0xffff8000
	s_and_saveexec_b64 s[14:15], vcc
	s_cbranch_execz .LBB919_548
; %bb.545:                              ;   in Loop: Header=BB919_213 Depth=1
	v_bfe_u32 v42, v42, 24, 7
	v_cmp_ne_u32_e32 vcc, s21, v42
	v_mov_b32_e32 v61, 0x7f80
	s_and_saveexec_b64 s[16:17], vcc
	s_cbranch_execz .LBB919_547
; %bb.546:                              ;   in Loop: Header=BB919_213 Depth=1
	v_and_b32_e32 v61, 7, v44
	v_ffbh_u32_e32 v62, v61
	v_min_u32_e32 v65, 32, v62
	v_subrev_u32_e32 v62, 28, v65
	v_lshlrev_b64 v[62:63], v62, v[44:45]
	v_lshrrev_b32_e32 v64, 3, v42
	v_sub_u32_e32 v63, 29, v65
	v_and_b32_e32 v62, 7, v62
	v_cmp_gt_u32_e32 vcc, 8, v42
	v_cndmask_b32_e32 v42, v64, v63, vcc
	v_cndmask_b32_e32 v61, v61, v62, vcc
	v_lshlrev_b32_e32 v44, 24, v44
	v_lshlrev_b32_e32 v61, 20, v61
	v_and_b32_e32 v44, 0x80000000, v44
	v_lshl_add_u32 v42, v42, 23, v48
	v_or3_b32 v42, v44, v42, v61
	v_lshrrev_b32_e32 v61, 16, v42
.LBB919_547:                            ;   in Loop: Header=BB919_213 Depth=1
	s_or_b64 exec, exec, s[16:17]
.LBB919_548:                            ;   in Loop: Header=BB919_213 Depth=1
	s_or_b64 exec, exec, s[14:15]
.LBB919_549:                            ;   in Loop: Header=BB919_213 Depth=1
	s_or_b64 exec, exec, s[12:13]
	v_perm_b32 v51, v53, v51, s23
	v_perm_b32 v50, v50, v49, s23
	s_waitcnt vmcnt(1)
	v_cmp_ne_u16_sdwa s[14:15], v40, v47 src0_sel:BYTE_0 src1_sel:DWORD
	v_mfma_f32_16x16x16bf16_1k v[34:37], v[50:51], v[26:27], v[34:37]
	v_perm_b32 v51, v61, v60, s23
	v_perm_b32 v50, v59, v52, s23
	s_nop 1
	v_mfma_f32_16x16x16bf16_1k v[34:37], v[50:51], v[28:29], v[34:37]
	s_and_saveexec_b64 s[12:13], s[14:15]
	s_cbranch_execz .LBB919_555
; %bb.550:                              ;   in Loop: Header=BB919_213 Depth=1
	v_cmp_ne_u16_sdwa s[16:17], v40, s9 src0_sel:BYTE_0 src1_sel:DWORD
	v_mov_b32_e32 v46, 0xffff8000
	s_and_saveexec_b64 s[14:15], s[16:17]
	s_cbranch_execz .LBB919_554
; %bb.551:                              ;   in Loop: Header=BB919_213 Depth=1
	v_and_b32_e32 v42, 0x7f, v40
	v_cmp_ne_u32_e32 vcc, s21, v42
	v_mov_b32_e32 v46, 0x7f80
	s_and_saveexec_b64 s[16:17], vcc
	s_cbranch_execz .LBB919_553
; %bb.552:                              ;   in Loop: Header=BB919_213 Depth=1
	v_and_b32_e32 v44, 7, v40
	v_ffbh_u32_e32 v49, v44
	v_min_u32_e32 v49, 32, v49
	v_subrev_u32_e32 v50, 28, v49
	v_lshlrev_b64 v[50:51], v50, v[40:41]
	v_lshrrev_b32_e32 v46, 3, v42
	v_sub_u32_e32 v49, 29, v49
	v_and_b32_e32 v50, 7, v50
	v_cmp_gt_u32_e32 vcc, 8, v42
	v_cndmask_b32_e32 v42, v46, v49, vcc
	v_cndmask_b32_e32 v44, v44, v50, vcc
	v_lshlrev_b32_e32 v46, 24, v40
	v_lshlrev_b32_e32 v44, 20, v44
	v_and_b32_e32 v46, 0x80000000, v46
	v_lshl_add_u32 v42, v42, 23, v48
	v_or3_b32 v42, v46, v42, v44
	v_lshrrev_b32_e32 v46, 16, v42
.LBB919_553:                            ;   in Loop: Header=BB919_213 Depth=1
	s_or_b64 exec, exec, s[16:17]
.LBB919_554:                            ;   in Loop: Header=BB919_213 Depth=1
	s_or_b64 exec, exec, s[14:15]
.LBB919_555:                            ;   in Loop: Header=BB919_213 Depth=1
	s_or_b64 exec, exec, s[12:13]
	v_lshrrev_b16_e32 v42, 8, v40
	v_cmp_ne_u16_e32 vcc, 0, v42
	v_mov_b32_e32 v49, 0
	v_mov_b32_e32 v44, 0
	s_and_saveexec_b64 s[12:13], vcc
	s_cbranch_execz .LBB919_561
; %bb.556:                              ;   in Loop: Header=BB919_213 Depth=1
	v_cmp_ne_u16_e32 vcc, s9, v42
	v_mov_b32_e32 v44, 0xffff8000
	s_and_saveexec_b64 s[14:15], vcc
	s_cbranch_execz .LBB919_560
; %bb.557:                              ;   in Loop: Header=BB919_213 Depth=1
	v_and_b32_e32 v50, 0x7f, v42
	v_cmp_ne_u32_e32 vcc, s21, v50
	v_mov_b32_e32 v44, 0x7f80
	s_and_saveexec_b64 s[16:17], vcc
	s_cbranch_execz .LBB919_559
; %bb.558:                              ;   in Loop: Header=BB919_213 Depth=1
	v_and_b32_e32 v44, 7, v42
	v_ffbh_u32_e32 v52, v44
	v_min_u32_e32 v59, 32, v52
	v_subrev_u32_e32 v52, 28, v59
	v_lshlrev_b64 v[52:53], v52, v[42:43]
	v_lshrrev_b32_e32 v51, 3, v50
	v_sub_u32_e32 v42, 29, v59
	v_and_b32_e32 v52, 7, v52
	v_cmp_gt_u32_e32 vcc, 8, v50
	v_cndmask_b32_e32 v42, v51, v42, vcc
	v_cndmask_b32_e32 v44, v44, v52, vcc
	v_lshlrev_b32_e32 v50, 16, v40
	v_lshlrev_b32_e32 v44, 20, v44
	v_and_b32_e32 v50, 0x80000000, v50
	v_lshl_add_u32 v42, v42, 23, v48
	v_or3_b32 v42, v50, v42, v44
	v_lshrrev_b32_e32 v44, 16, v42
.LBB919_559:                            ;   in Loop: Header=BB919_213 Depth=1
	s_or_b64 exec, exec, s[16:17]
.LBB919_560:                            ;   in Loop: Header=BB919_213 Depth=1
	s_or_b64 exec, exec, s[14:15]
.LBB919_561:                            ;   in Loop: Header=BB919_213 Depth=1
	s_or_b64 exec, exec, s[12:13]
	v_lshrrev_b32_e32 v42, 16, v40
	v_cmp_ne_u16_sdwa s[14:15], v42, v47 src0_sel:BYTE_0 src1_sel:DWORD
	s_and_saveexec_b64 s[12:13], s[14:15]
	s_cbranch_execz .LBB919_567
; %bb.562:                              ;   in Loop: Header=BB919_213 Depth=1
	v_cmp_ne_u16_sdwa s[16:17], v42, s9 src0_sel:BYTE_0 src1_sel:DWORD
	v_mov_b32_e32 v49, 0xffff8000
	s_and_saveexec_b64 s[14:15], s[16:17]
	s_cbranch_execz .LBB919_566
; %bb.563:                              ;   in Loop: Header=BB919_213 Depth=1
	v_bfe_u32 v50, v40, 16, 7
	v_cmp_ne_u32_e32 vcc, s21, v50
	v_mov_b32_e32 v49, 0x7f80
	s_and_saveexec_b64 s[16:17], vcc
	s_cbranch_execz .LBB919_565
; %bb.564:                              ;   in Loop: Header=BB919_213 Depth=1
	v_and_b32_e32 v49, 7, v42
	v_ffbh_u32_e32 v52, v49
	v_min_u32_e32 v59, 32, v52
	v_subrev_u32_e32 v52, 28, v59
	v_lshlrev_b64 v[52:53], v52, v[42:43]
	v_lshrrev_b32_e32 v51, 3, v50
	v_sub_u32_e32 v53, 29, v59
	v_and_b32_e32 v52, 7, v52
	v_cmp_gt_u32_e32 vcc, 8, v50
	v_cndmask_b32_e32 v50, v51, v53, vcc
	v_cndmask_b32_e32 v49, v49, v52, vcc
	v_lshlrev_b32_e32 v42, 24, v42
	v_lshlrev_b32_e32 v49, 20, v49
	v_and_b32_e32 v42, 0x80000000, v42
	v_lshl_add_u32 v50, v50, 23, v48
	v_or3_b32 v42, v42, v50, v49
	v_lshrrev_b32_e32 v49, 16, v42
.LBB919_565:                            ;   in Loop: Header=BB919_213 Depth=1
	s_or_b64 exec, exec, s[16:17]
.LBB919_566:                            ;   in Loop: Header=BB919_213 Depth=1
	s_or_b64 exec, exec, s[14:15]
.LBB919_567:                            ;   in Loop: Header=BB919_213 Depth=1
	s_or_b64 exec, exec, s[12:13]
	v_cmp_lt_u32_e32 vcc, s22, v40
	v_mov_b32_e32 v50, 0
	v_mov_b32_e32 v51, 0
	s_and_saveexec_b64 s[12:13], vcc
	s_cbranch_execz .LBB919_573
; %bb.568:                              ;   in Loop: Header=BB919_213 Depth=1
	v_lshrrev_b32_e32 v42, 24, v40
	v_cmp_ne_u32_e32 vcc, s9, v42
	v_mov_b32_e32 v51, 0xffff8000
	s_and_saveexec_b64 s[14:15], vcc
	s_cbranch_execz .LBB919_572
; %bb.569:                              ;   in Loop: Header=BB919_213 Depth=1
	v_bfe_u32 v40, v40, 24, 7
	v_cmp_ne_u32_e32 vcc, s21, v40
	v_mov_b32_e32 v51, 0x7f80
	s_and_saveexec_b64 s[16:17], vcc
	s_cbranch_execz .LBB919_571
; %bb.570:                              ;   in Loop: Header=BB919_213 Depth=1
	v_and_b32_e32 v51, 7, v42
	v_ffbh_u32_e32 v52, v51
	v_min_u32_e32 v60, 32, v52
	v_subrev_u32_e32 v52, 28, v60
	v_lshlrev_b64 v[52:53], v52, v[42:43]
	v_lshrrev_b32_e32 v59, 3, v40
	v_sub_u32_e32 v53, 29, v60
	v_and_b32_e32 v52, 7, v52
	v_cmp_gt_u32_e32 vcc, 8, v40
	v_cndmask_b32_e32 v40, v59, v53, vcc
	v_cndmask_b32_e32 v51, v51, v52, vcc
	v_lshlrev_b32_e32 v42, 24, v42
	v_lshlrev_b32_e32 v51, 20, v51
	v_and_b32_e32 v42, 0x80000000, v42
	v_lshl_add_u32 v40, v40, 23, v48
	v_or3_b32 v40, v42, v40, v51
	v_lshrrev_b32_e32 v51, 16, v40
.LBB919_571:                            ;   in Loop: Header=BB919_213 Depth=1
	s_or_b64 exec, exec, s[16:17]
.LBB919_572:                            ;   in Loop: Header=BB919_213 Depth=1
	s_or_b64 exec, exec, s[14:15]
.LBB919_573:                            ;   in Loop: Header=BB919_213 Depth=1
	s_or_b64 exec, exec, s[12:13]
	s_waitcnt vmcnt(0)
	v_cmp_ne_u16_sdwa s[14:15], v38, v47 src0_sel:BYTE_0 src1_sel:DWORD
	s_and_saveexec_b64 s[12:13], s[14:15]
	s_cbranch_execz .LBB919_579
; %bb.574:                              ;   in Loop: Header=BB919_213 Depth=1
	v_cmp_ne_u16_sdwa s[16:17], v38, s9 src0_sel:BYTE_0 src1_sel:DWORD
	v_mov_b32_e32 v50, 0xffff8000
	s_and_saveexec_b64 s[14:15], s[16:17]
	s_cbranch_execz .LBB919_578
; %bb.575:                              ;   in Loop: Header=BB919_213 Depth=1
	v_and_b32_e32 v40, 0x7f, v38
	v_cmp_ne_u32_e32 vcc, s21, v40
	v_mov_b32_e32 v50, 0x7f80
	s_and_saveexec_b64 s[16:17], vcc
	s_cbranch_execz .LBB919_577
; %bb.576:                              ;   in Loop: Header=BB919_213 Depth=1
	v_and_b32_e32 v42, 7, v38
	v_ffbh_u32_e32 v52, v42
	v_min_u32_e32 v59, 32, v52
	v_subrev_u32_e32 v52, 28, v59
	v_lshlrev_b64 v[52:53], v52, v[38:39]
	v_lshrrev_b32_e32 v50, 3, v40
	v_sub_u32_e32 v53, 29, v59
	v_and_b32_e32 v52, 7, v52
	v_cmp_gt_u32_e32 vcc, 8, v40
	v_cndmask_b32_e32 v40, v50, v53, vcc
	v_cndmask_b32_e32 v42, v42, v52, vcc
	v_lshlrev_b32_e32 v50, 24, v38
	v_lshlrev_b32_e32 v42, 20, v42
	v_and_b32_e32 v50, 0x80000000, v50
	v_lshl_add_u32 v40, v40, 23, v48
	v_or3_b32 v40, v50, v40, v42
	v_lshrrev_b32_e32 v50, 16, v40
.LBB919_577:                            ;   in Loop: Header=BB919_213 Depth=1
	s_or_b64 exec, exec, s[16:17]
.LBB919_578:                            ;   in Loop: Header=BB919_213 Depth=1
	s_or_b64 exec, exec, s[14:15]
.LBB919_579:                            ;   in Loop: Header=BB919_213 Depth=1
	s_or_b64 exec, exec, s[12:13]
	v_lshrrev_b16_e32 v40, 8, v38
	v_cmp_ne_u16_e32 vcc, 0, v40
	v_mov_b32_e32 v52, 0
	v_mov_b32_e32 v42, 0
	s_and_saveexec_b64 s[12:13], vcc
	s_cbranch_execz .LBB919_585
; %bb.580:                              ;   in Loop: Header=BB919_213 Depth=1
	v_cmp_ne_u16_e32 vcc, s9, v40
	v_mov_b32_e32 v42, 0xffff8000
	s_and_saveexec_b64 s[14:15], vcc
	s_cbranch_execz .LBB919_584
; %bb.581:                              ;   in Loop: Header=BB919_213 Depth=1
	v_and_b32_e32 v53, 0x7f, v40
	v_cmp_ne_u32_e32 vcc, s21, v53
	v_mov_b32_e32 v42, 0x7f80
	s_and_saveexec_b64 s[16:17], vcc
	s_cbranch_execz .LBB919_583
; %bb.582:                              ;   in Loop: Header=BB919_213 Depth=1
	v_and_b32_e32 v42, 7, v40
	v_ffbh_u32_e32 v60, v42
	v_min_u32_e32 v62, 32, v60
	v_subrev_u32_e32 v60, 28, v62
	v_lshlrev_b64 v[60:61], v60, v[40:41]
	v_lshrrev_b32_e32 v59, 3, v53
	v_sub_u32_e32 v40, 29, v62
	v_and_b32_e32 v60, 7, v60
	v_cmp_gt_u32_e32 vcc, 8, v53
	v_cndmask_b32_e32 v40, v59, v40, vcc
	v_cndmask_b32_e32 v42, v42, v60, vcc
	v_lshlrev_b32_e32 v53, 16, v38
	v_lshlrev_b32_e32 v42, 20, v42
	v_and_b32_e32 v53, 0x80000000, v53
	v_lshl_add_u32 v40, v40, 23, v48
	v_or3_b32 v40, v53, v40, v42
	v_lshrrev_b32_e32 v42, 16, v40
.LBB919_583:                            ;   in Loop: Header=BB919_213 Depth=1
	s_or_b64 exec, exec, s[16:17]
.LBB919_584:                            ;   in Loop: Header=BB919_213 Depth=1
	s_or_b64 exec, exec, s[14:15]
.LBB919_585:                            ;   in Loop: Header=BB919_213 Depth=1
	s_or_b64 exec, exec, s[12:13]
	v_lshrrev_b32_e32 v40, 16, v38
	v_cmp_ne_u16_sdwa s[14:15], v40, v47 src0_sel:BYTE_0 src1_sel:DWORD
	s_and_saveexec_b64 s[12:13], s[14:15]
	s_cbranch_execz .LBB919_591
; %bb.586:                              ;   in Loop: Header=BB919_213 Depth=1
	v_cmp_ne_u16_sdwa s[16:17], v40, s9 src0_sel:BYTE_0 src1_sel:DWORD
	v_mov_b32_e32 v52, 0xffff8000
	s_and_saveexec_b64 s[14:15], s[16:17]
	s_cbranch_execz .LBB919_590
; %bb.587:                              ;   in Loop: Header=BB919_213 Depth=1
	v_bfe_u32 v53, v38, 16, 7
	v_cmp_ne_u32_e32 vcc, s21, v53
	v_mov_b32_e32 v52, 0x7f80
	s_and_saveexec_b64 s[16:17], vcc
	s_cbranch_execz .LBB919_589
; %bb.588:                              ;   in Loop: Header=BB919_213 Depth=1
	v_and_b32_e32 v52, 7, v40
	v_ffbh_u32_e32 v60, v52
	v_min_u32_e32 v62, 32, v60
	v_subrev_u32_e32 v60, 28, v62
	v_lshlrev_b64 v[60:61], v60, v[40:41]
	v_lshrrev_b32_e32 v59, 3, v53
	v_sub_u32_e32 v61, 29, v62
	v_and_b32_e32 v60, 7, v60
	v_cmp_gt_u32_e32 vcc, 8, v53
	v_cndmask_b32_e32 v53, v59, v61, vcc
	v_cndmask_b32_e32 v52, v52, v60, vcc
	v_lshlrev_b32_e32 v40, 24, v40
	v_lshlrev_b32_e32 v52, 20, v52
	v_and_b32_e32 v40, 0x80000000, v40
	v_lshl_add_u32 v53, v53, 23, v48
	v_or3_b32 v40, v40, v53, v52
	v_lshrrev_b32_e32 v52, 16, v40
.LBB919_589:                            ;   in Loop: Header=BB919_213 Depth=1
	s_or_b64 exec, exec, s[16:17]
.LBB919_590:                            ;   in Loop: Header=BB919_213 Depth=1
	s_or_b64 exec, exec, s[14:15]
.LBB919_591:                            ;   in Loop: Header=BB919_213 Depth=1
	s_or_b64 exec, exec, s[12:13]
	v_cmp_lt_u32_e32 vcc, s22, v38
	v_mov_b32_e32 v53, 0
	s_and_saveexec_b64 s[12:13], vcc
	s_cbranch_execz .LBB919_212
; %bb.592:                              ;   in Loop: Header=BB919_213 Depth=1
	v_lshrrev_b32_e32 v40, 24, v38
	v_cmp_ne_u32_e32 vcc, s9, v40
	v_mov_b32_e32 v53, 0xffff8000
	s_and_saveexec_b64 s[14:15], vcc
	s_cbranch_execz .LBB919_211
; %bb.593:                              ;   in Loop: Header=BB919_213 Depth=1
	v_bfe_u32 v38, v38, 24, 7
	v_cmp_ne_u32_e32 vcc, s21, v38
	v_mov_b32_e32 v53, 0x7f80
	s_and_saveexec_b64 s[16:17], vcc
	s_cbranch_execz .LBB919_210
; %bb.594:                              ;   in Loop: Header=BB919_213 Depth=1
	v_and_b32_e32 v53, 7, v40
	v_ffbh_u32_e32 v60, v53
	v_min_u32_e32 v62, 32, v60
	v_subrev_u32_e32 v60, 28, v62
	v_lshlrev_b64 v[60:61], v60, v[40:41]
	v_lshrrev_b32_e32 v59, 3, v38
	v_sub_u32_e32 v61, 29, v62
	v_and_b32_e32 v60, 7, v60
	v_cmp_gt_u32_e32 vcc, 8, v38
	v_cndmask_b32_e32 v38, v59, v61, vcc
	v_cndmask_b32_e32 v53, v53, v60, vcc
	v_lshlrev_b32_e32 v40, 24, v40
	v_lshlrev_b32_e32 v53, 20, v53
	v_and_b32_e32 v40, 0x80000000, v40
	v_lshl_add_u32 v38, v38, 23, v48
	v_or3_b32 v38, v40, v38, v53
	v_lshrrev_b32_e32 v53, 16, v38
	s_branch .LBB919_210
.LBB919_595:
	s_barrier
	buffer_load_dword v2, off, s[0:3], 0 offset:320
	buffer_load_dword v5, off, s[0:3], 0 offset:332
	;; [unrolled: 1-line block ×4, first 2 shown]
	v_cmp_gt_u32_e32 vcc, 64, v0
	s_waitcnt vmcnt(0)
	ds_write2st64_b64 v43, v[2:3], v[4:5] offset1:1
	s_waitcnt lgkmcnt(0)
	s_barrier
	s_and_saveexec_b64 s[4:5], vcc
	s_cbranch_execz .LBB919_598
; %bb.596:
	s_lshl_b32 s4, s50, 7
	s_mul_i32 s5, s18, s8
	s_mul_hi_u32 s9, s5, s4
	s_mul_i32 s8, s5, s4
	s_lshl_b64 s[8:9], s[8:9], 1
	v_lshlrev_b32_e32 v4, 6, v55
	s_add_u32 s5, s48, s8
	v_lshl_or_b32 v0, v0, 10, v4
	s_mov_b32 s7, 0
	s_addc_u32 s8, s49, s9
	s_lshl_b32 s6, s24, 7
	v_lshlrev_b32_e32 v2, 5, v1
	v_and_b32_e32 v3, 16, v56
	v_and_b32_e32 v0, 0x1a00, v0
	s_lshl_b64 s[6:7], s[6:7], 1
	v_or3_b32 v0, v0, v2, v3
	s_add_u32 s5, s5, s6
	v_or_b32_e32 v2, 8, v1
	s_addc_u32 s6, s8, s7
	ds_read_b128 v[6:9], v0 offset:128
	ds_read_b128 v[10:13], v0
	v_add_u32_e32 v1, s25, v1
	v_mov_b32_e32 v4, s6
	v_add_co_u32_e32 v3, vcc, s5, v54
	v_mad_u64_u32 v[14:15], s[6:7], v1, s4, 0
	v_addc_co_u32_e32 v4, vcc, 0, v4, vcc
	v_lshlrev_b64 v[14:15], 1, v[14:15]
	v_add_co_u32_e32 v14, vcc, v3, v14
	v_addc_co_u32_e32 v15, vcc, v4, v15, vcc
	v_add_u32_e32 v1, 4, v1
	s_waitcnt lgkmcnt(0)
	global_store_dwordx4 v[14:15], v[10:13], off
	s_nop 0
	v_mad_u64_u32 v[10:11], s[6:7], v1, s4, 0
	v_lshlrev_b64 v[10:11], 1, v[10:11]
	v_add_co_u32_e32 v10, vcc, v3, v10
	v_addc_co_u32_e32 v11, vcc, v4, v11, vcc
	v_cmp_gt_u32_e32 vcc, 10, v2
	global_store_dwordx4 v[10:11], v[6:9], off
	s_and_b64 exec, exec, vcc
	s_cbranch_execz .LBB919_598
; %bb.597:
	ds_read_b128 v[6:9], v0 offset:256
	v_add_u32_e32 v0, s25, v2
	v_mad_u64_u32 v[0:1], s[4:5], v0, s4, 0
	v_lshlrev_b64 v[0:1], 1, v[0:1]
	v_add_co_u32_e32 v0, vcc, v3, v0
	v_addc_co_u32_e32 v1, vcc, v4, v1, vcc
	s_waitcnt lgkmcnt(0)
	global_store_dwordx4 v[0:1], v[6:9], off
.LBB919_598:
	s_endpgm
	.section	.rodata,"a",@progbits
	.p2align	6, 0x0
	.amdhsa_kernel _Z39paged_attention_ll4mi_QKV_mfma16_kernelI14__hip_bfloat16hLN4vllm18Fp8KVCacheDataTypeE1ES0_Li16ELi128ELi256ELb0ELi10EL8MFMAType0EEvPKT_PKT0_S9_ifPKiSB_SB_iPKfiiiPfSE_PS4_PT2_iSD_SD_
		.amdhsa_group_segment_fixed_size 8192
		.amdhsa_private_segment_fixed_size 352
		.amdhsa_kernarg_size 400
		.amdhsa_user_sgpr_count 8
		.amdhsa_user_sgpr_private_segment_buffer 1
		.amdhsa_user_sgpr_dispatch_ptr 0
		.amdhsa_user_sgpr_queue_ptr 0
		.amdhsa_user_sgpr_kernarg_segment_ptr 1
		.amdhsa_user_sgpr_dispatch_id 0
		.amdhsa_user_sgpr_flat_scratch_init 1
		.amdhsa_user_sgpr_kernarg_preload_length 0
		.amdhsa_user_sgpr_kernarg_preload_offset 0
		.amdhsa_user_sgpr_private_segment_size 0
		.amdhsa_uses_dynamic_stack 0
		.amdhsa_system_sgpr_private_segment_wavefront_offset 1
		.amdhsa_system_sgpr_workgroup_id_x 1
		.amdhsa_system_sgpr_workgroup_id_y 1
		.amdhsa_system_sgpr_workgroup_id_z 1
		.amdhsa_system_sgpr_workgroup_info 0
		.amdhsa_system_vgpr_workitem_id 0
		.amdhsa_next_free_vgpr 76
		.amdhsa_next_free_sgpr 53
		.amdhsa_accum_offset 76
		.amdhsa_reserve_vcc 1
		.amdhsa_reserve_flat_scratch 0
		.amdhsa_float_round_mode_32 0
		.amdhsa_float_round_mode_16_64 0
		.amdhsa_float_denorm_mode_32 3
		.amdhsa_float_denorm_mode_16_64 3
		.amdhsa_dx10_clamp 1
		.amdhsa_ieee_mode 1
		.amdhsa_fp16_overflow 0
		.amdhsa_tg_split 0
		.amdhsa_exception_fp_ieee_invalid_op 0
		.amdhsa_exception_fp_denorm_src 0
		.amdhsa_exception_fp_ieee_div_zero 0
		.amdhsa_exception_fp_ieee_overflow 0
		.amdhsa_exception_fp_ieee_underflow 0
		.amdhsa_exception_fp_ieee_inexact 0
		.amdhsa_exception_int_div_zero 0
	.end_amdhsa_kernel
	.section	.text._Z39paged_attention_ll4mi_QKV_mfma16_kernelI14__hip_bfloat16hLN4vllm18Fp8KVCacheDataTypeE1ES0_Li16ELi128ELi256ELb0ELi10EL8MFMAType0EEvPKT_PKT0_S9_ifPKiSB_SB_iPKfiiiPfSE_PS4_PT2_iSD_SD_,"axG",@progbits,_Z39paged_attention_ll4mi_QKV_mfma16_kernelI14__hip_bfloat16hLN4vllm18Fp8KVCacheDataTypeE1ES0_Li16ELi128ELi256ELb0ELi10EL8MFMAType0EEvPKT_PKT0_S9_ifPKiSB_SB_iPKfiiiPfSE_PS4_PT2_iSD_SD_,comdat
.Lfunc_end919:
	.size	_Z39paged_attention_ll4mi_QKV_mfma16_kernelI14__hip_bfloat16hLN4vllm18Fp8KVCacheDataTypeE1ES0_Li16ELi128ELi256ELb0ELi10EL8MFMAType0EEvPKT_PKT0_S9_ifPKiSB_SB_iPKfiiiPfSE_PS4_PT2_iSD_SD_, .Lfunc_end919-_Z39paged_attention_ll4mi_QKV_mfma16_kernelI14__hip_bfloat16hLN4vllm18Fp8KVCacheDataTypeE1ES0_Li16ELi128ELi256ELb0ELi10EL8MFMAType0EEvPKT_PKT0_S9_ifPKiSB_SB_iPKfiiiPfSE_PS4_PT2_iSD_SD_
                                        ; -- End function
	.section	.AMDGPU.csdata,"",@progbits
; Kernel info:
; codeLenInByte = 22256
; NumSgprs: 57
; NumVgprs: 76
; NumAgprs: 0
; TotalNumVgprs: 76
; ScratchSize: 352
; MemoryBound: 0
; FloatMode: 240
; IeeeMode: 1
; LDSByteSize: 8192 bytes/workgroup (compile time only)
; SGPRBlocks: 7
; VGPRBlocks: 9
; NumSGPRsForWavesPerEU: 57
; NumVGPRsForWavesPerEU: 76
; AccumOffset: 76
; Occupancy: 6
; WaveLimiterHint : 1
; COMPUTE_PGM_RSRC2:SCRATCH_EN: 1
; COMPUTE_PGM_RSRC2:USER_SGPR: 8
; COMPUTE_PGM_RSRC2:TRAP_HANDLER: 0
; COMPUTE_PGM_RSRC2:TGID_X_EN: 1
; COMPUTE_PGM_RSRC2:TGID_Y_EN: 1
; COMPUTE_PGM_RSRC2:TGID_Z_EN: 1
; COMPUTE_PGM_RSRC2:TIDIG_COMP_CNT: 0
; COMPUTE_PGM_RSRC3_GFX90A:ACCUM_OFFSET: 18
; COMPUTE_PGM_RSRC3_GFX90A:TG_SPLIT: 0
	.section	.text._Z39paged_attention_ll4mi_QKV_mfma16_kernelI14__hip_bfloat16hLN4vllm18Fp8KVCacheDataTypeE1ES0_Li16ELi128ELi256ELb0ELi11EL8MFMAType0EEvPKT_PKT0_S9_ifPKiSB_SB_iPKfiiiPfSE_PS4_PT2_iSD_SD_,"axG",@progbits,_Z39paged_attention_ll4mi_QKV_mfma16_kernelI14__hip_bfloat16hLN4vllm18Fp8KVCacheDataTypeE1ES0_Li16ELi128ELi256ELb0ELi11EL8MFMAType0EEvPKT_PKT0_S9_ifPKiSB_SB_iPKfiiiPfSE_PS4_PT2_iSD_SD_,comdat
	.protected	_Z39paged_attention_ll4mi_QKV_mfma16_kernelI14__hip_bfloat16hLN4vllm18Fp8KVCacheDataTypeE1ES0_Li16ELi128ELi256ELb0ELi11EL8MFMAType0EEvPKT_PKT0_S9_ifPKiSB_SB_iPKfiiiPfSE_PS4_PT2_iSD_SD_ ; -- Begin function _Z39paged_attention_ll4mi_QKV_mfma16_kernelI14__hip_bfloat16hLN4vllm18Fp8KVCacheDataTypeE1ES0_Li16ELi128ELi256ELb0ELi11EL8MFMAType0EEvPKT_PKT0_S9_ifPKiSB_SB_iPKfiiiPfSE_PS4_PT2_iSD_SD_
	.globl	_Z39paged_attention_ll4mi_QKV_mfma16_kernelI14__hip_bfloat16hLN4vllm18Fp8KVCacheDataTypeE1ES0_Li16ELi128ELi256ELb0ELi11EL8MFMAType0EEvPKT_PKT0_S9_ifPKiSB_SB_iPKfiiiPfSE_PS4_PT2_iSD_SD_
	.p2align	8
	.type	_Z39paged_attention_ll4mi_QKV_mfma16_kernelI14__hip_bfloat16hLN4vllm18Fp8KVCacheDataTypeE1ES0_Li16ELi128ELi256ELb0ELi11EL8MFMAType0EEvPKT_PKT0_S9_ifPKiSB_SB_iPKfiiiPfSE_PS4_PT2_iSD_SD_,@function
_Z39paged_attention_ll4mi_QKV_mfma16_kernelI14__hip_bfloat16hLN4vllm18Fp8KVCacheDataTypeE1ES0_Li16ELi128ELi256ELb0ELi11EL8MFMAType0EEvPKT_PKT0_S9_ifPKiSB_SB_iPKfiiiPfSE_PS4_PT2_iSD_SD_: ; @_Z39paged_attention_ll4mi_QKV_mfma16_kernelI14__hip_bfloat16hLN4vllm18Fp8KVCacheDataTypeE1ES0_Li16ELi128ELi256ELb0ELi11EL8MFMAType0EEvPKT_PKT0_S9_ifPKiSB_SB_iPKfiiiPfSE_PS4_PT2_iSD_SD_
; %bb.0:
	s_load_dwordx2 s[6:7], s[4:5], 0x30
	s_add_u32 s0, s0, s11
	s_addc_u32 s1, s1, 0
	s_mov_b32 s24, s9
	s_mov_b64 s[12:13], 0
	s_waitcnt lgkmcnt(0)
	s_cmp_lg_u64 s[6:7], 0
	s_cselect_b64 s[16:17], -1, 0
	s_and_b64 vcc, exec, s[16:17]
	s_cbranch_vccz .LBB920_7
; %bb.1:
	s_add_i32 s14, s8, 1
	s_mov_b32 s15, 0
	s_lshl_b64 s[18:19], s[14:15], 2
	s_add_u32 s18, s6, s18
	s_mov_b32 s9, s15
	s_addc_u32 s19, s7, s19
	s_lshl_b64 s[14:15], s[8:9], 2
	s_add_u32 s14, s6, s14
	s_addc_u32 s15, s7, s15
	s_load_dword s11, s[18:19], 0x0
	s_load_dword s20, s[14:15], 0x0
	s_waitcnt lgkmcnt(0)
	s_sub_i32 s11, s11, s20
	s_cmp_eq_u32 s11, 1
	s_cselect_b64 s[14:15], -1, 0
	s_andn2_b64 vcc, exec, s[12:13]
	s_cbranch_vccnz .LBB920_3
.LBB920_2:
	s_mov_b32 s9, 0
	s_mov_b64 s[14:15], -1
.LBB920_3:
	s_andn2_b64 vcc, exec, s[14:15]
	s_cbranch_vccnz .LBB920_598
; %bb.4:
	s_load_dwordx2 s[12:13], s[4:5], 0x28
	s_lshl_b64 s[18:19], s[8:9], 2
	s_waitcnt lgkmcnt(0)
	s_add_u32 s12, s12, s18
	s_addc_u32 s13, s13, s19
	s_load_dword s33, s[12:13], 0x0
	s_lshl_b32 s20, s24, 8
	s_waitcnt lgkmcnt(0)
	s_cmp_ge_i32 s20, s33
	s_cbranch_scc1 .LBB920_598
; %bb.5:
	s_add_i32 s14, s33, 15
	s_load_dwordx2 s[12:13], s[4:5], 0x20
	s_load_dword s11, s[4:5], 0x38
	s_ashr_i32 s15, s14, 31
	v_and_b32_e32 v1, 0xcf, v0
	s_lshr_b32 s15, s15, 28
	v_add_u32_e32 v1, s20, v1
	s_add_i32 s14, s14, s15
	v_ashrrev_i32_e32 v2, 31, v1
	s_ashr_i32 s22, s14, 4
	v_lshrrev_b32_e32 v6, 28, v2
	s_add_i32 s22, s22, -1
	v_add_u32_e32 v2, v1, v6
	s_waitcnt lgkmcnt(0)
	s_mul_i32 s14, s8, s11
	s_mov_b32 s15, 0
	v_ashrrev_i32_e32 v2, 4, v2
	v_mov_b32_e32 v7, s22
	v_cmp_gt_i32_e32 vcc, s33, v1
	s_lshl_b64 s[14:15], s[14:15], 2
	v_cndmask_b32_e32 v2, v7, v2, vcc
	s_add_u32 s11, s12, s14
	v_ashrrev_i32_e32 v3, 31, v2
	s_addc_u32 s21, s13, s15
	v_lshlrev_b64 v[2:3], 2, v[2:3]
	v_mov_b32_e32 v5, s21
	v_add_co_u32_e32 v4, vcc, s11, v2
	v_or_b32_e32 v2, 16, v1
	v_addc_co_u32_e32 v5, vcc, v5, v3, vcc
	v_add_u32_e32 v3, v2, v6
	v_ashrrev_i32_e32 v3, 4, v3
	v_cmp_gt_i32_e32 vcc, s33, v2
	v_cndmask_b32_e32 v2, v7, v3, vcc
	v_ashrrev_i32_e32 v3, 31, v2
	v_lshlrev_b64 v[2:3], 2, v[2:3]
	v_mov_b32_e32 v9, s21
	v_add_co_u32_e32 v8, vcc, s11, v2
	v_or_b32_e32 v2, 32, v1
	v_addc_co_u32_e32 v9, vcc, v9, v3, vcc
	v_add_u32_e32 v3, v2, v6
	v_ashrrev_i32_e32 v3, 4, v3
	v_cmp_gt_i32_e32 vcc, s33, v2
	v_cndmask_b32_e32 v2, v7, v3, vcc
	v_ashrrev_i32_e32 v3, 31, v2
	;; [unrolled: 10-line block ×3, first 2 shown]
	v_lshlrev_b64 v[2:3], 2, v[2:3]
	v_mov_b32_e32 v1, s21
	v_add_co_u32_e32 v12, vcc, s11, v2
	v_addc_co_u32_e32 v13, vcc, v1, v3, vcc
	global_load_dword v3, v[4:5], off
	global_load_dword v2, v[8:9], off
	;; [unrolled: 1-line block ×4, first 2 shown]
	s_load_dwordx4 s[12:15], s[4:5], 0x8
	s_andn2_b64 vcc, exec, s[16:17]
	s_cbranch_vccnz .LBB920_8
; %bb.6:
	s_add_u32 s6, s6, s18
	s_addc_u32 s7, s7, s19
	s_load_dword s16, s[6:7], 0x0
	s_branch .LBB920_9
.LBB920_7:
	s_mov_b64 s[14:15], 0
	s_branch .LBB920_2
.LBB920_8:
	s_mov_b32 s16, s8
.LBB920_9:
	s_load_dwordx2 s[48:49], s[4:5], 0x68
	s_load_dwordx8 s[40:47], s[4:5], 0x48
	v_lshrrev_b32_e32 v62, 6, v0
	v_bfe_u32 v1, v0, 4, 2
	v_and_b32_e32 v55, 15, v0
	v_lshl_or_b32 v4, v62, 2, v1
	v_lshlrev_b32_e32 v5, 3, v55
	s_mul_i32 s25, s10, 11
	v_cmp_gt_u32_e32 vcc, 11, v4
	v_lshlrev_b32_e32 v54, 1, v5
	v_lshlrev_b32_e32 v56, 4, v0
	s_and_saveexec_b64 s[6:7], vcc
	s_cbranch_execz .LBB920_11
; %bb.10:
	s_load_dwordx2 s[18:19], s[4:5], 0x0
	s_waitcnt lgkmcnt(0)
	s_ashr_i32 s17, s40, 31
	s_mul_hi_u32 s23, s16, s40
	s_mul_i32 s17, s16, s17
	s_add_i32 s17, s23, s17
	s_mul_i32 s16, s16, s40
	s_lshl_b64 s[16:17], s[16:17], 1
	v_add_lshl_u32 v8, v4, s25, 7
	s_add_u32 s16, s18, s16
	v_ashrrev_i32_e32 v9, 31, v8
	s_addc_u32 s17, s19, s17
	v_lshlrev_b64 v[8:9], 1, v[8:9]
	v_mov_b32_e32 v5, s17
	v_add_co_u32_e32 v7, vcc, s16, v8
	v_addc_co_u32_e32 v5, vcc, v5, v9, vcc
	v_add_co_u32_e32 v8, vcc, v7, v54
	v_addc_co_u32_e32 v9, vcc, 0, v5, vcc
	global_load_dwordx4 v[8:11], v[8:9], off
	v_lshlrev_b32_e32 v7, 8, v0
	v_lshlrev_b32_e32 v5, 8, v55
	v_and_b32_e32 v7, 0x600, v7
	s_movk_i32 s16, 0x800
	v_and_or_b32 v5, v5, s16, v7
	v_lshlrev_b32_e32 v4, 5, v4
	v_and_b32_e32 v7, 16, v56
	v_or3_b32 v4, v5, v4, v7
	s_waitcnt vmcnt(0)
	ds_write_b128 v4, v[8:11]
.LBB920_11:
	s_or_b64 exec, exec, s[6:7]
	v_and_b32_e32 v7, 48, v0
	v_or_b32_e32 v14, s20, v7
	v_ashrrev_i32_e32 v4, 4, v14
	v_mov_b32_e32 v15, s22
	v_cmp_gt_i32_e32 vcc, s33, v14
	v_cndmask_b32_e32 v4, v15, v4, vcc
	v_ashrrev_i32_e32 v5, 31, v4
	v_lshlrev_b64 v[4:5], 2, v[4:5]
	v_mov_b32_e32 v8, s21
	v_add_co_u32_e32 v4, vcc, s11, v4
	v_addc_co_u32_e32 v5, vcc, v8, v5, vcc
	v_or_b32_e32 v8, 64, v14
	v_ashrrev_i32_e32 v9, 4, v8
	v_cmp_gt_i32_e32 vcc, s33, v8
	v_cndmask_b32_e32 v8, v15, v9, vcc
	v_ashrrev_i32_e32 v9, 31, v8
	v_lshlrev_b64 v[8:9], 2, v[8:9]
	v_mov_b32_e32 v10, s21
	v_add_co_u32_e32 v8, vcc, s11, v8
	v_addc_co_u32_e32 v9, vcc, v10, v9, vcc
	v_or_b32_e32 v10, 0x80, v14
	v_ashrrev_i32_e32 v11, 4, v10
	v_cmp_gt_i32_e32 vcc, s33, v10
	v_cndmask_b32_e32 v10, v15, v11, vcc
	v_ashrrev_i32_e32 v11, 31, v10
	v_lshlrev_b64 v[10:11], 2, v[10:11]
	v_mov_b32_e32 v16, s21
	v_add_co_u32_e32 v10, vcc, s11, v10
	s_load_dwordx2 s[50:51], s[4:5], 0x94
	s_waitcnt lgkmcnt(0)
	s_barrier
	v_addc_co_u32_e32 v11, vcc, v16, v11, vcc
	global_load_dword v50, v[4:5], off
	global_load_dword v57, v[8:9], off
	;; [unrolled: 1-line block ×3, first 2 shown]
	v_or_b32_e32 v4, 0xc0, v14
	v_ashrrev_i32_e32 v5, 4, v4
	v_cmp_gt_i32_e32 vcc, s33, v4
	v_cndmask_b32_e32 v4, v15, v5, vcc
	v_ashrrev_i32_e32 v5, 31, v4
	v_lshlrev_b64 v[4:5], 2, v[4:5]
	v_mov_b32_e32 v8, s21
	v_add_co_u32_e32 v4, vcc, s11, v4
	v_addc_co_u32_e32 v5, vcc, v8, v5, vcc
	s_mul_i32 s10, s10, s42
	global_load_dword v72, v[4:5], off
	s_add_u32 s6, s12, s10
	s_addc_u32 s7, s13, 0
	v_and_b32_e32 v12, 0xf0, v56
	v_mov_b32_e32 v13, s7
	v_add_co_u32_e32 v20, vcc, s6, v12
	v_addc_co_u32_e32 v21, vcc, 0, v13, vcc
	v_lshlrev_b32_e32 v28, 4, v7
	s_waitcnt vmcnt(7)
	v_mad_i64_i32 v[4:5], s[6:7], v3, s41, v[20:21]
	v_add_co_u32_e32 v4, vcc, v4, v28
	v_addc_co_u32_e32 v5, vcc, 0, v5, vcc
	global_load_dwordx4 v[38:41], v[4:5], off
	global_load_dwordx4 v[10:13], v[4:5], off offset:1024
	s_waitcnt vmcnt(8)
	v_mad_i64_i32 v[2:3], s[6:7], v2, s41, v[20:21]
	v_add_co_u32_e32 v8, vcc, v2, v28
	v_addc_co_u32_e32 v9, vcc, 0, v3, vcc
	s_waitcnt vmcnt(7)
	v_mad_i64_i32 v[6:7], s[6:7], v6, s41, v[20:21]
	v_add_co_u32_e32 v26, vcc, v6, v28
	v_addc_co_u32_e32 v27, vcc, 0, v7, vcc
	s_waitcnt vmcnt(6)
	v_mad_i64_i32 v[18:19], s[6:7], v18, s41, v[20:21]
	v_add_co_u32_e32 v30, vcc, v18, v28
	s_add_u32 s10, s14, s10
	v_lshl_or_b32 v63, v62, 4, v55
	global_load_dwordx4 v[14:17], v[8:9], off
	global_load_dwordx4 v[2:5], v[8:9], off offset:1024
	v_addc_co_u32_e32 v31, vcc, 0, v19, vcc
	s_addc_u32 s11, s15, 0
	v_lshlrev_b32_e32 v51, 4, v63
	global_load_dwordx4 v[6:9], v[26:27], off
	global_load_dwordx4 v[22:25], v[26:27], off offset:1024
	s_nop 0
	global_load_dwordx4 v[26:29], v[30:31], off
	global_load_dwordx4 v[18:21], v[30:31], off offset:1024
	v_mov_b32_e32 v30, s11
	v_add_co_u32_e32 v42, vcc, s10, v51
	v_addc_co_u32_e32 v43, vcc, 0, v30, vcc
	v_or_b32_e32 v51, 0x400, v51
	v_mov_b32_e32 v52, s11
	v_add_co_u32_e32 v58, vcc, s10, v51
	v_addc_co_u32_e32 v59, vcc, 0, v52, vcc
	v_cmp_gt_u32_e32 vcc, 11, v55
	s_mov_b32 s12, 0
	s_movk_i32 s13, 0x80
	s_movk_i32 s14, 0x7f
	s_mov_b32 s15, 0xffffff
	s_mov_b32 s16, 0x5040100
	s_waitcnt vmcnt(11)
	v_mad_i64_i32 v[30:31], s[6:7], v50, s41, v[42:43]
	s_waitcnt vmcnt(10)
	v_mad_i64_i32 v[32:33], s[6:7], v57, s41, v[42:43]
	s_waitcnt vmcnt(9)
	v_mad_i64_i32 v[44:45], s[6:7], v68, s41, v[42:43]
	global_load_dwordx4 v[34:37], v[30:31], off
	s_nop 0
	global_load_dwordx4 v[30:33], v[32:33], off
	v_mad_i64_i32 v[50:51], s[6:7], v50, s41, v[58:59]
	v_mad_i64_i32 v[60:61], s[6:7], v57, s41, v[58:59]
	s_waitcnt vmcnt(10)
	v_mad_i64_i32 v[42:43], s[6:7], v72, s41, v[42:43]
	global_load_dwordx4 v[46:49], v[44:45], off
	s_nop 0
	global_load_dwordx4 v[42:45], v[42:43], off
	s_nop 0
	;; [unrolled: 2-line block ×3, first 2 shown]
	global_load_dwordx4 v[64:67], v[60:61], off
	s_waitcnt vmcnt(13)
	buffer_store_dword v41, off, s[0:3], 0 offset:12
	buffer_store_dword v40, off, s[0:3], 0 offset:8
	v_mad_i64_i32 v[40:41], s[6:7], v68, s41, v[58:59]
	global_load_dwordx4 v[68:71], v[40:41], off
	v_mad_i64_i32 v[40:41], s[6:7], v72, s41, v[58:59]
	global_load_dwordx4 v[72:75], v[40:41], off
	s_nop 0
	buffer_store_dword v39, off, s[0:3], 0 offset:4
	buffer_store_dword v38, off, s[0:3], 0
	s_waitcnt vmcnt(18)
	buffer_store_dword v13, off, s[0:3], 0 offset:28
	buffer_store_dword v12, off, s[0:3], 0 offset:24
	;; [unrolled: 1-line block ×4, first 2 shown]
	s_waitcnt vmcnt(21)
	buffer_store_dword v17, off, s[0:3], 0 offset:44
	buffer_store_dword v16, off, s[0:3], 0 offset:40
	;; [unrolled: 1-line block ×4, first 2 shown]
	s_load_dword s6, s[4:5], 0x1c
	s_load_dwordx4 s[40:43], s[4:5], 0x80
	s_waitcnt vmcnt(24)
	buffer_store_dword v5, off, s[0:3], 0 offset:60
	buffer_store_dword v4, off, s[0:3], 0 offset:56
	;; [unrolled: 1-line block ×4, first 2 shown]
	v_add_u32_e32 v2, -11, v55
	v_cndmask_b32_e32 v2, v2, v55, vcc
	v_lshlrev_b32_e32 v2, 5, v2
	v_mov_b32_e32 v10, 0x80
	s_waitcnt vmcnt(27)
	buffer_store_dword v9, off, s[0:3], 0 offset:76
	buffer_store_dword v8, off, s[0:3], 0 offset:72
	;; [unrolled: 1-line block ×4, first 2 shown]
	v_lshl_add_u32 v14, v1, 9, v2
	v_add_u32_e32 v39, 16, v10
	v_add_u32_e32 v61, 32, v10
	;; [unrolled: 1-line block ×7, first 2 shown]
	ds_read_b128 v[2:5], v14
	ds_read_b128 v[6:9], v14 offset:16
	ds_read_b128 v[10:13], v14 offset:2048
	ds_read_b128 v[14:17], v14 offset:2064
	s_waitcnt vmcnt(30)
	buffer_store_dword v25, off, s[0:3], 0 offset:92
	buffer_store_dword v24, off, s[0:3], 0 offset:88
	buffer_store_dword v23, off, s[0:3], 0 offset:84
	buffer_store_dword v22, off, s[0:3], 0 offset:80
	s_waitcnt vmcnt(33)
	buffer_store_dword v29, off, s[0:3], 0 offset:108
	buffer_store_dword v28, off, s[0:3], 0 offset:104
	buffer_store_dword v27, off, s[0:3], 0 offset:100
	buffer_store_dword v26, off, s[0:3], 0 offset:96
	;; [unrolled: 5-line block ×3, first 2 shown]
	s_waitcnt lgkmcnt(0)
	v_mov_b32_e32 v18, s6
	v_and_b32_e32 v38, 63, v0
	v_mov_b32_e32 v27, 0
	s_waitcnt vmcnt(39)
	buffer_store_dword v37, off, s[0:3], 0 offset:140
	buffer_store_dword v36, off, s[0:3], 0 offset:136
	buffer_store_dword v35, off, s[0:3], 0 offset:132
	buffer_store_dword v34, off, s[0:3], 0 offset:128
	s_waitcnt vmcnt(42)
	buffer_store_dword v33, off, s[0:3], 0 offset:172
	buffer_store_dword v32, off, s[0:3], 0 offset:168
	buffer_store_dword v31, off, s[0:3], 0 offset:164
	buffer_store_dword v30, off, s[0:3], 0 offset:160
	;; [unrolled: 5-line block ×7, first 2 shown]
	s_waitcnt vmcnt(58)
	buffer_store_dword v75, off, s[0:3], 0 offset:252
	s_load_dword s4, s[40:41], 0x0
	v_mov_b32_e32 v29, 0x100
	v_mov_b32_e32 v31, 0
	v_bfrev_b32_e32 v33, 60
	buffer_store_dword v74, off, s[0:3], 0 offset:248
	buffer_store_dword v73, off, s[0:3], 0 offset:244
	;; [unrolled: 1-line block ×3, first 2 shown]
	s_waitcnt lgkmcnt(0)
	v_mul_f32_e32 v22, s4, v18
	v_mov_b32_e32 v24, v22
	v_mov_b32_e32 v25, v22
	s_branch .LBB920_15
.LBB920_12:                             ;   in Loop: Header=BB920_15 Depth=1
	s_or_b64 exec, exec, s[10:11]
.LBB920_13:                             ;   in Loop: Header=BB920_15 Depth=1
	s_or_b64 exec, exec, s[6:7]
.LBB920_14:                             ;   in Loop: Header=BB920_15 Depth=1
	s_or_b64 exec, exec, s[4:5]
	v_perm_b32 v43, v36, v32, s16
	v_perm_b32 v42, v23, v34, s16
	;; [unrolled: 1-line block ×4, first 2 shown]
	v_add_u32_e32 v26, s12, v29
	v_mfma_f32_16x16x16bf16_1k v[18:21], v[42:43], v[14:15], v[18:21]
	s_add_i32 s12, s12, 16
	v_mov_b32_e32 v23, v22
	s_cmp_eq_u32 s12, 64
	v_add_u32_e32 v27, 32, v27
	v_mfma_f32_16x16x16bf16_1k v[18:21], v[36:37], v[16:17], v[18:21]
	s_nop 7
	s_nop 2
	v_pk_mul_f32 v[18:19], v[24:25], v[18:19]
	v_pk_mul_f32 v[20:21], v[22:23], v[20:21]
	buffer_store_dword v19, v26, s[0:3], 0 offen offset:4
	buffer_store_dword v18, v26, s[0:3], 0 offen
	buffer_store_dword v21, v26, s[0:3], 0 offen offset:12
	buffer_store_dword v20, v26, s[0:3], 0 offen offset:8
	s_cbranch_scc1 .LBB920_205
.LBB920_15:                             ; =>This Inner Loop Header: Depth=1
	buffer_load_dword v20, v27, s[0:3], 0 offen
	buffer_load_dword v18, v27, s[0:3], 0 offen offset:4
	buffer_load_dword v28, v27, s[0:3], 0 offen offset:8
	;; [unrolled: 1-line block ×3, first 2 shown]
	v_mov_b32_e32 v19, 0
	s_waitcnt vmcnt(3)
	v_cmp_ne_u16_sdwa s[6:7], v20, v31 src0_sel:BYTE_0 src1_sel:DWORD
	s_and_saveexec_b64 s[4:5], s[6:7]
	s_cbranch_execz .LBB920_21
; %bb.16:                               ;   in Loop: Header=BB920_15 Depth=1
	v_cmp_ne_u16_sdwa s[10:11], v20, s13 src0_sel:BYTE_0 src1_sel:DWORD
	v_mov_b32_e32 v19, 0xffff8000
	s_and_saveexec_b64 s[6:7], s[10:11]
	s_cbranch_execz .LBB920_20
; %bb.17:                               ;   in Loop: Header=BB920_15 Depth=1
	v_and_b32_e32 v21, 0x7f, v20
	v_cmp_ne_u32_e32 vcc, s14, v21
	v_mov_b32_e32 v19, 0x7f80
	s_and_saveexec_b64 s[10:11], vcc
	s_cbranch_execz .LBB920_19
; %bb.18:                               ;   in Loop: Header=BB920_15 Depth=1
	v_and_b32_e32 v19, 7, v20
	v_ffbh_u32_e32 v30, v19
	v_min_u32_e32 v30, 32, v30
	v_subrev_u32_e32 v32, 28, v30
	v_lshlrev_b64 v[34:35], v32, v[20:21]
	v_lshrrev_b32_e32 v23, 3, v21
	v_sub_u32_e32 v30, 29, v30
	v_and_b32_e32 v32, 7, v34
	v_cmp_gt_u32_e32 vcc, 8, v21
	v_cndmask_b32_e32 v21, v23, v30, vcc
	v_cndmask_b32_e32 v19, v19, v32, vcc
	v_lshlrev_b32_e32 v23, 24, v20
	v_lshlrev_b32_e32 v19, 20, v19
	v_and_b32_e32 v23, 0x80000000, v23
	v_lshl_add_u32 v21, v21, 23, v33
	v_or3_b32 v19, v23, v21, v19
	v_lshrrev_b32_e32 v19, 16, v19
.LBB920_19:                             ;   in Loop: Header=BB920_15 Depth=1
	s_or_b64 exec, exec, s[10:11]
.LBB920_20:                             ;   in Loop: Header=BB920_15 Depth=1
	s_or_b64 exec, exec, s[6:7]
.LBB920_21:                             ;   in Loop: Header=BB920_15 Depth=1
	s_or_b64 exec, exec, s[4:5]
	v_lshrrev_b16_e32 v30, 8, v20
	v_cmp_ne_u16_e32 vcc, 0, v30
	v_mov_b32_e32 v23, 0
	v_mov_b32_e32 v21, 0
	s_and_saveexec_b64 s[4:5], vcc
	s_cbranch_execz .LBB920_27
; %bb.22:                               ;   in Loop: Header=BB920_15 Depth=1
	v_cmp_ne_u16_e32 vcc, s13, v30
	v_mov_b32_e32 v21, 0xffff8000
	s_and_saveexec_b64 s[6:7], vcc
	s_cbranch_execz .LBB920_26
; %bb.23:                               ;   in Loop: Header=BB920_15 Depth=1
	v_and_b32_e32 v32, 0x7f, v30
	v_cmp_ne_u32_e32 vcc, s14, v32
	v_mov_b32_e32 v21, 0x7f80
	s_and_saveexec_b64 s[10:11], vcc
	s_cbranch_execz .LBB920_25
; %bb.24:                               ;   in Loop: Header=BB920_15 Depth=1
	v_and_b32_e32 v21, 7, v30
	v_ffbh_u32_e32 v34, v21
	v_min_u32_e32 v37, 32, v34
	v_subrev_u32_e32 v34, 28, v37
	v_lshlrev_b64 v[34:35], v34, v[30:31]
	v_lshrrev_b32_e32 v36, 3, v32
	v_sub_u32_e32 v30, 29, v37
	v_and_b32_e32 v34, 7, v34
	v_cmp_gt_u32_e32 vcc, 8, v32
	v_cndmask_b32_e32 v30, v36, v30, vcc
	v_cndmask_b32_e32 v21, v21, v34, vcc
	v_lshlrev_b32_e32 v32, 16, v20
	v_lshlrev_b32_e32 v21, 20, v21
	v_and_b32_e32 v32, 0x80000000, v32
	v_lshl_add_u32 v30, v30, 23, v33
	v_or3_b32 v21, v32, v30, v21
	v_lshrrev_b32_e32 v21, 16, v21
.LBB920_25:                             ;   in Loop: Header=BB920_15 Depth=1
	s_or_b64 exec, exec, s[10:11]
.LBB920_26:                             ;   in Loop: Header=BB920_15 Depth=1
	s_or_b64 exec, exec, s[6:7]
.LBB920_27:                             ;   in Loop: Header=BB920_15 Depth=1
	s_or_b64 exec, exec, s[4:5]
	v_lshrrev_b32_e32 v30, 16, v20
	v_cmp_ne_u16_sdwa s[6:7], v30, v31 src0_sel:BYTE_0 src1_sel:DWORD
	s_and_saveexec_b64 s[4:5], s[6:7]
	s_cbranch_execz .LBB920_33
; %bb.28:                               ;   in Loop: Header=BB920_15 Depth=1
	v_cmp_ne_u16_sdwa s[10:11], v30, s13 src0_sel:BYTE_0 src1_sel:DWORD
	v_mov_b32_e32 v23, 0xffff8000
	s_and_saveexec_b64 s[6:7], s[10:11]
	s_cbranch_execz .LBB920_32
; %bb.29:                               ;   in Loop: Header=BB920_15 Depth=1
	v_bfe_u32 v32, v20, 16, 7
	v_cmp_ne_u32_e32 vcc, s14, v32
	v_mov_b32_e32 v23, 0x7f80
	s_and_saveexec_b64 s[10:11], vcc
	s_cbranch_execz .LBB920_31
; %bb.30:                               ;   in Loop: Header=BB920_15 Depth=1
	v_and_b32_e32 v23, 7, v30
	v_ffbh_u32_e32 v34, v23
	v_min_u32_e32 v37, 32, v34
	v_subrev_u32_e32 v34, 28, v37
	v_lshlrev_b64 v[34:35], v34, v[30:31]
	v_lshrrev_b32_e32 v36, 3, v32
	v_sub_u32_e32 v35, 29, v37
	v_and_b32_e32 v34, 7, v34
	v_cmp_gt_u32_e32 vcc, 8, v32
	v_cndmask_b32_e32 v32, v36, v35, vcc
	v_cndmask_b32_e32 v23, v23, v34, vcc
	v_lshlrev_b32_e32 v30, 24, v30
	v_lshlrev_b32_e32 v23, 20, v23
	v_and_b32_e32 v30, 0x80000000, v30
	v_lshl_add_u32 v32, v32, 23, v33
	v_or3_b32 v23, v30, v32, v23
	v_lshrrev_b32_e32 v23, 16, v23
.LBB920_31:                             ;   in Loop: Header=BB920_15 Depth=1
	s_or_b64 exec, exec, s[10:11]
.LBB920_32:                             ;   in Loop: Header=BB920_15 Depth=1
	s_or_b64 exec, exec, s[6:7]
.LBB920_33:                             ;   in Loop: Header=BB920_15 Depth=1
	s_or_b64 exec, exec, s[4:5]
	v_cmp_lt_u32_e32 vcc, s15, v20
	v_mov_b32_e32 v34, 0
	v_mov_b32_e32 v35, 0
	s_and_saveexec_b64 s[4:5], vcc
	s_cbranch_execz .LBB920_39
; %bb.34:                               ;   in Loop: Header=BB920_15 Depth=1
	v_lshrrev_b32_e32 v30, 24, v20
	v_cmp_ne_u32_e32 vcc, s13, v30
	v_mov_b32_e32 v35, 0xffff8000
	s_and_saveexec_b64 s[6:7], vcc
	s_cbranch_execz .LBB920_38
; %bb.35:                               ;   in Loop: Header=BB920_15 Depth=1
	v_bfe_u32 v20, v20, 24, 7
	v_cmp_ne_u32_e32 vcc, s14, v20
	v_mov_b32_e32 v35, 0x7f80
	s_and_saveexec_b64 s[10:11], vcc
	s_cbranch_execz .LBB920_37
; %bb.36:                               ;   in Loop: Header=BB920_15 Depth=1
	v_and_b32_e32 v32, 7, v30
	v_ffbh_u32_e32 v36, v32
	v_min_u32_e32 v40, 32, v36
	v_subrev_u32_e32 v36, 28, v40
	v_lshlrev_b64 v[36:37], v36, v[30:31]
	v_lshrrev_b32_e32 v35, 3, v20
	v_sub_u32_e32 v37, 29, v40
	v_and_b32_e32 v36, 7, v36
	v_cmp_gt_u32_e32 vcc, 8, v20
	v_cndmask_b32_e32 v20, v35, v37, vcc
	v_cndmask_b32_e32 v32, v32, v36, vcc
	v_lshlrev_b32_e32 v30, 24, v30
	v_lshlrev_b32_e32 v32, 20, v32
	v_and_b32_e32 v30, 0x80000000, v30
	v_lshl_add_u32 v20, v20, 23, v33
	v_or3_b32 v20, v30, v20, v32
	v_lshrrev_b32_e32 v35, 16, v20
.LBB920_37:                             ;   in Loop: Header=BB920_15 Depth=1
	s_or_b64 exec, exec, s[10:11]
.LBB920_38:                             ;   in Loop: Header=BB920_15 Depth=1
	s_or_b64 exec, exec, s[6:7]
.LBB920_39:                             ;   in Loop: Header=BB920_15 Depth=1
	s_or_b64 exec, exec, s[4:5]
	s_waitcnt vmcnt(2)
	v_cmp_ne_u16_sdwa s[6:7], v18, v31 src0_sel:BYTE_0 src1_sel:DWORD
	s_and_saveexec_b64 s[4:5], s[6:7]
	s_cbranch_execz .LBB920_45
; %bb.40:                               ;   in Loop: Header=BB920_15 Depth=1
	v_cmp_ne_u16_sdwa s[10:11], v18, s13 src0_sel:BYTE_0 src1_sel:DWORD
	v_mov_b32_e32 v34, 0xffff8000
	s_and_saveexec_b64 s[6:7], s[10:11]
	s_cbranch_execz .LBB920_44
; %bb.41:                               ;   in Loop: Header=BB920_15 Depth=1
	v_and_b32_e32 v20, 0x7f, v18
	v_cmp_ne_u32_e32 vcc, s14, v20
	v_mov_b32_e32 v34, 0x7f80
	s_and_saveexec_b64 s[10:11], vcc
	s_cbranch_execz .LBB920_43
; %bb.42:                               ;   in Loop: Header=BB920_15 Depth=1
	v_and_b32_e32 v30, 7, v18
	v_ffbh_u32_e32 v34, v30
	v_min_u32_e32 v34, 32, v34
	v_subrev_u32_e32 v36, 28, v34
	v_lshlrev_b64 v[36:37], v36, v[18:19]
	v_lshrrev_b32_e32 v32, 3, v20
	v_sub_u32_e32 v34, 29, v34
	v_and_b32_e32 v36, 7, v36
	v_cmp_gt_u32_e32 vcc, 8, v20
	v_cndmask_b32_e32 v20, v32, v34, vcc
	v_cndmask_b32_e32 v30, v30, v36, vcc
	v_lshlrev_b32_e32 v32, 24, v18
	v_lshlrev_b32_e32 v30, 20, v30
	v_and_b32_e32 v32, 0x80000000, v32
	v_lshl_add_u32 v20, v20, 23, v33
	v_or3_b32 v20, v32, v20, v30
	v_lshrrev_b32_e32 v34, 16, v20
.LBB920_43:                             ;   in Loop: Header=BB920_15 Depth=1
	s_or_b64 exec, exec, s[10:11]
.LBB920_44:                             ;   in Loop: Header=BB920_15 Depth=1
	s_or_b64 exec, exec, s[6:7]
.LBB920_45:                             ;   in Loop: Header=BB920_15 Depth=1
	s_or_b64 exec, exec, s[4:5]
	v_lshrrev_b16_e32 v20, 8, v18
	v_cmp_ne_u16_e32 vcc, 0, v20
	v_mov_b32_e32 v36, 0
	v_mov_b32_e32 v30, 0
	s_and_saveexec_b64 s[4:5], vcc
	s_cbranch_execz .LBB920_51
; %bb.46:                               ;   in Loop: Header=BB920_15 Depth=1
	v_cmp_ne_u16_e32 vcc, s13, v20
	v_mov_b32_e32 v30, 0xffff8000
	s_and_saveexec_b64 s[6:7], vcc
	s_cbranch_execz .LBB920_50
; %bb.47:                               ;   in Loop: Header=BB920_15 Depth=1
	v_and_b32_e32 v32, 0x7f, v20
	v_cmp_ne_u32_e32 vcc, s14, v32
	v_mov_b32_e32 v30, 0x7f80
	s_and_saveexec_b64 s[10:11], vcc
	s_cbranch_execz .LBB920_49
; %bb.48:                               ;   in Loop: Header=BB920_15 Depth=1
	v_and_b32_e32 v30, 7, v20
	v_ffbh_u32_e32 v40, v30
	v_min_u32_e32 v40, 32, v40
	v_subrev_u32_e32 v42, 28, v40
	v_lshlrev_b64 v[42:43], v42, v[20:21]
	v_lshrrev_b32_e32 v37, 3, v32
	v_sub_u32_e32 v20, 29, v40
	v_and_b32_e32 v40, 7, v42
	v_cmp_gt_u32_e32 vcc, 8, v32
	v_cndmask_b32_e32 v20, v37, v20, vcc
	v_cndmask_b32_e32 v30, v30, v40, vcc
	v_lshlrev_b32_e32 v32, 16, v18
	v_lshlrev_b32_e32 v30, 20, v30
	v_and_b32_e32 v32, 0x80000000, v32
	v_lshl_add_u32 v20, v20, 23, v33
	v_or3_b32 v20, v32, v20, v30
	v_lshrrev_b32_e32 v30, 16, v20
.LBB920_49:                             ;   in Loop: Header=BB920_15 Depth=1
	s_or_b64 exec, exec, s[10:11]
.LBB920_50:                             ;   in Loop: Header=BB920_15 Depth=1
	s_or_b64 exec, exec, s[6:7]
.LBB920_51:                             ;   in Loop: Header=BB920_15 Depth=1
	s_or_b64 exec, exec, s[4:5]
	v_lshrrev_b32_e32 v20, 16, v18
	v_cmp_ne_u16_sdwa s[6:7], v20, v31 src0_sel:BYTE_0 src1_sel:DWORD
	s_and_saveexec_b64 s[4:5], s[6:7]
	s_cbranch_execz .LBB920_57
; %bb.52:                               ;   in Loop: Header=BB920_15 Depth=1
	v_cmp_ne_u16_sdwa s[10:11], v20, s13 src0_sel:BYTE_0 src1_sel:DWORD
	v_mov_b32_e32 v36, 0xffff8000
	s_and_saveexec_b64 s[6:7], s[10:11]
	s_cbranch_execz .LBB920_56
; %bb.53:                               ;   in Loop: Header=BB920_15 Depth=1
	v_bfe_u32 v32, v18, 16, 7
	v_cmp_ne_u32_e32 vcc, s14, v32
	v_mov_b32_e32 v36, 0x7f80
	s_and_saveexec_b64 s[10:11], vcc
	s_cbranch_execz .LBB920_55
; %bb.54:                               ;   in Loop: Header=BB920_15 Depth=1
	v_and_b32_e32 v40, 7, v20
	v_ffbh_u32_e32 v36, v40
	v_min_u32_e32 v43, 32, v36
	v_subrev_u32_e32 v36, 28, v43
	v_lshlrev_b64 v[36:37], v36, v[20:21]
	v_lshrrev_b32_e32 v42, 3, v32
	v_sub_u32_e32 v37, 29, v43
	v_and_b32_e32 v36, 7, v36
	v_cmp_gt_u32_e32 vcc, 8, v32
	v_cndmask_b32_e32 v32, v42, v37, vcc
	v_cndmask_b32_e32 v36, v40, v36, vcc
	v_lshlrev_b32_e32 v20, 24, v20
	v_lshlrev_b32_e32 v36, 20, v36
	v_and_b32_e32 v20, 0x80000000, v20
	v_lshl_add_u32 v32, v32, 23, v33
	v_or3_b32 v20, v20, v32, v36
	v_lshrrev_b32_e32 v36, 16, v20
.LBB920_55:                             ;   in Loop: Header=BB920_15 Depth=1
	s_or_b64 exec, exec, s[10:11]
.LBB920_56:                             ;   in Loop: Header=BB920_15 Depth=1
	s_or_b64 exec, exec, s[6:7]
.LBB920_57:                             ;   in Loop: Header=BB920_15 Depth=1
	s_or_b64 exec, exec, s[4:5]
	v_cmp_lt_u32_e32 vcc, s15, v18
	v_mov_b32_e32 v32, 0
	v_mov_b32_e32 v37, 0
	s_and_saveexec_b64 s[4:5], vcc
	s_cbranch_execz .LBB920_63
; %bb.58:                               ;   in Loop: Header=BB920_15 Depth=1
	v_lshrrev_b32_e32 v20, 24, v18
	v_cmp_ne_u32_e32 vcc, s13, v20
	v_mov_b32_e32 v37, 0xffff8000
	s_and_saveexec_b64 s[6:7], vcc
	s_cbranch_execz .LBB920_62
; %bb.59:                               ;   in Loop: Header=BB920_15 Depth=1
	v_bfe_u32 v18, v18, 24, 7
	v_cmp_ne_u32_e32 vcc, s14, v18
	v_mov_b32_e32 v37, 0x7f80
	s_and_saveexec_b64 s[10:11], vcc
	s_cbranch_execz .LBB920_61
; %bb.60:                               ;   in Loop: Header=BB920_15 Depth=1
	v_and_b32_e32 v37, 7, v20
	v_ffbh_u32_e32 v42, v37
	v_min_u32_e32 v44, 32, v42
	v_subrev_u32_e32 v42, 28, v44
	v_lshlrev_b64 v[42:43], v42, v[20:21]
	v_lshrrev_b32_e32 v40, 3, v18
	v_sub_u32_e32 v43, 29, v44
	v_and_b32_e32 v42, 7, v42
	v_cmp_gt_u32_e32 vcc, 8, v18
	v_cndmask_b32_e32 v18, v40, v43, vcc
	v_cndmask_b32_e32 v37, v37, v42, vcc
	v_lshlrev_b32_e32 v20, 24, v20
	v_lshlrev_b32_e32 v37, 20, v37
	v_and_b32_e32 v20, 0x80000000, v20
	v_lshl_add_u32 v18, v18, 23, v33
	v_or3_b32 v18, v20, v18, v37
	v_lshrrev_b32_e32 v37, 16, v18
.LBB920_61:                             ;   in Loop: Header=BB920_15 Depth=1
	s_or_b64 exec, exec, s[10:11]
.LBB920_62:                             ;   in Loop: Header=BB920_15 Depth=1
	s_or_b64 exec, exec, s[6:7]
.LBB920_63:                             ;   in Loop: Header=BB920_15 Depth=1
	s_or_b64 exec, exec, s[4:5]
	v_perm_b32 v43, v35, v23, s16
	v_perm_b32 v42, v21, v19, s16
	;; [unrolled: 1-line block ×4, first 2 shown]
	s_waitcnt vmcnt(1)
	v_cmp_ne_u16_sdwa s[6:7], v28, v31 src0_sel:BYTE_0 src1_sel:DWORD
	v_mfma_f32_16x16x16bf16_1k v[18:21], v[42:43], v[2:3], 0
	v_mfma_f32_16x16x16bf16_1k v[18:21], v[34:35], v[4:5], v[18:21]
	s_and_saveexec_b64 s[4:5], s[6:7]
	s_cbranch_execz .LBB920_69
; %bb.64:                               ;   in Loop: Header=BB920_15 Depth=1
	v_cmp_ne_u16_sdwa s[10:11], v28, s13 src0_sel:BYTE_0 src1_sel:DWORD
	v_mov_b32_e32 v32, 0xffff8000
	s_and_saveexec_b64 s[6:7], s[10:11]
	s_cbranch_execz .LBB920_68
; %bb.65:                               ;   in Loop: Header=BB920_15 Depth=1
	v_and_b32_e32 v23, 0x7f, v28
	v_cmp_ne_u32_e32 vcc, s14, v23
	v_mov_b32_e32 v32, 0x7f80
	s_and_saveexec_b64 s[10:11], vcc
	s_cbranch_execz .LBB920_67
; %bb.66:                               ;   in Loop: Header=BB920_15 Depth=1
	v_and_b32_e32 v30, 7, v28
	v_ffbh_u32_e32 v34, v30
	v_min_u32_e32 v36, 32, v34
	v_subrev_u32_e32 v34, 28, v36
	v_lshlrev_b64 v[34:35], v34, v[28:29]
	v_lshrrev_b32_e32 v32, 3, v23
	v_sub_u32_e32 v35, 29, v36
	v_and_b32_e32 v34, 7, v34
	v_cmp_gt_u32_e32 vcc, 8, v23
	v_cndmask_b32_e32 v23, v32, v35, vcc
	v_cndmask_b32_e32 v30, v30, v34, vcc
	v_lshlrev_b32_e32 v32, 24, v28
	v_lshlrev_b32_e32 v30, 20, v30
	v_and_b32_e32 v32, 0x80000000, v32
	v_lshl_add_u32 v23, v23, 23, v33
	v_or3_b32 v23, v32, v23, v30
	v_lshrrev_b32_e32 v32, 16, v23
.LBB920_67:                             ;   in Loop: Header=BB920_15 Depth=1
	s_or_b64 exec, exec, s[10:11]
.LBB920_68:                             ;   in Loop: Header=BB920_15 Depth=1
	s_or_b64 exec, exec, s[6:7]
.LBB920_69:                             ;   in Loop: Header=BB920_15 Depth=1
	s_or_b64 exec, exec, s[4:5]
	v_lshrrev_b16_e32 v30, 8, v28
	v_cmp_ne_u16_e32 vcc, 0, v30
	v_mov_b32_e32 v35, 0
	v_mov_b32_e32 v34, 0
	s_and_saveexec_b64 s[4:5], vcc
	s_cbranch_execz .LBB920_75
; %bb.70:                               ;   in Loop: Header=BB920_15 Depth=1
	v_cmp_ne_u16_e32 vcc, s13, v30
	v_mov_b32_e32 v34, 0xffff8000
	s_and_saveexec_b64 s[6:7], vcc
	s_cbranch_execz .LBB920_74
; %bb.71:                               ;   in Loop: Header=BB920_15 Depth=1
	v_and_b32_e32 v23, 0x7f, v30
	v_cmp_ne_u32_e32 vcc, s14, v23
	v_mov_b32_e32 v34, 0x7f80
	s_and_saveexec_b64 s[10:11], vcc
	s_cbranch_execz .LBB920_73
; %bb.72:                               ;   in Loop: Header=BB920_15 Depth=1
	v_and_b32_e32 v34, 7, v30
	v_ffbh_u32_e32 v36, v34
	v_min_u32_e32 v42, 32, v36
	v_subrev_u32_e32 v36, 28, v42
	v_lshlrev_b64 v[36:37], v36, v[30:31]
	v_lshrrev_b32_e32 v40, 3, v23
	v_sub_u32_e32 v30, 29, v42
	v_and_b32_e32 v36, 7, v36
	v_cmp_gt_u32_e32 vcc, 8, v23
	v_cndmask_b32_e32 v23, v40, v30, vcc
	v_cndmask_b32_e32 v30, v34, v36, vcc
	v_lshlrev_b32_e32 v34, 16, v28
	v_lshlrev_b32_e32 v30, 20, v30
	v_and_b32_e32 v34, 0x80000000, v34
	v_lshl_add_u32 v23, v23, 23, v33
	v_or3_b32 v23, v34, v23, v30
	v_lshrrev_b32_e32 v34, 16, v23
.LBB920_73:                             ;   in Loop: Header=BB920_15 Depth=1
	s_or_b64 exec, exec, s[10:11]
.LBB920_74:                             ;   in Loop: Header=BB920_15 Depth=1
	s_or_b64 exec, exec, s[6:7]
.LBB920_75:                             ;   in Loop: Header=BB920_15 Depth=1
	s_or_b64 exec, exec, s[4:5]
	v_lshrrev_b32_e32 v30, 16, v28
	v_cmp_ne_u16_sdwa s[6:7], v30, v31 src0_sel:BYTE_0 src1_sel:DWORD
	s_and_saveexec_b64 s[4:5], s[6:7]
	s_cbranch_execz .LBB920_81
; %bb.76:                               ;   in Loop: Header=BB920_15 Depth=1
	v_cmp_ne_u16_sdwa s[10:11], v30, s13 src0_sel:BYTE_0 src1_sel:DWORD
	v_mov_b32_e32 v35, 0xffff8000
	s_and_saveexec_b64 s[6:7], s[10:11]
	s_cbranch_execz .LBB920_80
; %bb.77:                               ;   in Loop: Header=BB920_15 Depth=1
	v_bfe_u32 v23, v28, 16, 7
	v_cmp_ne_u32_e32 vcc, s14, v23
	v_mov_b32_e32 v35, 0x7f80
	s_and_saveexec_b64 s[10:11], vcc
	s_cbranch_execz .LBB920_79
; %bb.78:                               ;   in Loop: Header=BB920_15 Depth=1
	v_and_b32_e32 v35, 7, v30
	v_ffbh_u32_e32 v36, v35
	v_min_u32_e32 v42, 32, v36
	v_subrev_u32_e32 v36, 28, v42
	v_lshlrev_b64 v[36:37], v36, v[30:31]
	v_lshrrev_b32_e32 v40, 3, v23
	v_sub_u32_e32 v37, 29, v42
	v_and_b32_e32 v36, 7, v36
	v_cmp_gt_u32_e32 vcc, 8, v23
	v_cndmask_b32_e32 v23, v40, v37, vcc
	v_cndmask_b32_e32 v35, v35, v36, vcc
	v_lshlrev_b32_e32 v30, 24, v30
	v_lshlrev_b32_e32 v35, 20, v35
	v_and_b32_e32 v30, 0x80000000, v30
	v_lshl_add_u32 v23, v23, 23, v33
	v_or3_b32 v23, v30, v23, v35
	v_lshrrev_b32_e32 v35, 16, v23
.LBB920_79:                             ;   in Loop: Header=BB920_15 Depth=1
	s_or_b64 exec, exec, s[10:11]
.LBB920_80:                             ;   in Loop: Header=BB920_15 Depth=1
	s_or_b64 exec, exec, s[6:7]
.LBB920_81:                             ;   in Loop: Header=BB920_15 Depth=1
	s_or_b64 exec, exec, s[4:5]
	v_cmp_lt_u32_e32 vcc, s15, v28
	v_mov_b32_e32 v36, 0
	v_mov_b32_e32 v37, 0
	s_and_saveexec_b64 s[4:5], vcc
	s_cbranch_execz .LBB920_87
; %bb.82:                               ;   in Loop: Header=BB920_15 Depth=1
	v_lshrrev_b32_e32 v30, 24, v28
	v_cmp_ne_u32_e32 vcc, s13, v30
	v_mov_b32_e32 v37, 0xffff8000
	s_and_saveexec_b64 s[6:7], vcc
	s_cbranch_execz .LBB920_86
; %bb.83:                               ;   in Loop: Header=BB920_15 Depth=1
	v_bfe_u32 v23, v28, 24, 7
	v_cmp_ne_u32_e32 vcc, s14, v23
	v_mov_b32_e32 v37, 0x7f80
	s_and_saveexec_b64 s[10:11], vcc
	s_cbranch_execz .LBB920_85
; %bb.84:                               ;   in Loop: Header=BB920_15 Depth=1
	v_and_b32_e32 v28, 7, v30
	v_ffbh_u32_e32 v40, v28
	v_min_u32_e32 v40, 32, v40
	v_subrev_u32_e32 v42, 28, v40
	v_lshlrev_b64 v[42:43], v42, v[30:31]
	v_lshrrev_b32_e32 v37, 3, v23
	v_sub_u32_e32 v40, 29, v40
	v_and_b32_e32 v42, 7, v42
	v_cmp_gt_u32_e32 vcc, 8, v23
	v_cndmask_b32_e32 v23, v37, v40, vcc
	v_cndmask_b32_e32 v28, v28, v42, vcc
	v_lshlrev_b32_e32 v30, 24, v30
	v_lshlrev_b32_e32 v28, 20, v28
	v_and_b32_e32 v30, 0x80000000, v30
	v_lshl_add_u32 v23, v23, 23, v33
	v_or3_b32 v23, v30, v23, v28
	v_lshrrev_b32_e32 v37, 16, v23
.LBB920_85:                             ;   in Loop: Header=BB920_15 Depth=1
	s_or_b64 exec, exec, s[10:11]
.LBB920_86:                             ;   in Loop: Header=BB920_15 Depth=1
	s_or_b64 exec, exec, s[6:7]
.LBB920_87:                             ;   in Loop: Header=BB920_15 Depth=1
	s_or_b64 exec, exec, s[4:5]
	s_waitcnt vmcnt(0)
	v_cmp_ne_u16_sdwa s[6:7], v26, v31 src0_sel:BYTE_0 src1_sel:DWORD
	s_and_saveexec_b64 s[4:5], s[6:7]
	s_cbranch_execz .LBB920_93
; %bb.88:                               ;   in Loop: Header=BB920_15 Depth=1
	v_cmp_ne_u16_sdwa s[10:11], v26, s13 src0_sel:BYTE_0 src1_sel:DWORD
	v_mov_b32_e32 v36, 0xffff8000
	s_and_saveexec_b64 s[6:7], s[10:11]
	s_cbranch_execz .LBB920_92
; %bb.89:                               ;   in Loop: Header=BB920_15 Depth=1
	v_and_b32_e32 v23, 0x7f, v26
	v_cmp_ne_u32_e32 vcc, s14, v23
	v_mov_b32_e32 v36, 0x7f80
	s_and_saveexec_b64 s[10:11], vcc
	s_cbranch_execz .LBB920_91
; %bb.90:                               ;   in Loop: Header=BB920_15 Depth=1
	v_and_b32_e32 v28, 7, v26
	v_ffbh_u32_e32 v36, v28
	v_min_u32_e32 v36, 32, v36
	v_subrev_u32_e32 v40, 28, v36
	v_lshlrev_b64 v[42:43], v40, v[26:27]
	v_lshrrev_b32_e32 v30, 3, v23
	v_sub_u32_e32 v36, 29, v36
	v_and_b32_e32 v40, 7, v42
	v_cmp_gt_u32_e32 vcc, 8, v23
	v_cndmask_b32_e32 v23, v30, v36, vcc
	v_cndmask_b32_e32 v28, v28, v40, vcc
	v_lshlrev_b32_e32 v30, 24, v26
	v_lshlrev_b32_e32 v28, 20, v28
	v_and_b32_e32 v30, 0x80000000, v30
	v_lshl_add_u32 v23, v23, 23, v33
	v_or3_b32 v23, v30, v23, v28
	v_lshrrev_b32_e32 v36, 16, v23
.LBB920_91:                             ;   in Loop: Header=BB920_15 Depth=1
	s_or_b64 exec, exec, s[10:11]
.LBB920_92:                             ;   in Loop: Header=BB920_15 Depth=1
	s_or_b64 exec, exec, s[6:7]
.LBB920_93:                             ;   in Loop: Header=BB920_15 Depth=1
	s_or_b64 exec, exec, s[4:5]
	v_lshrrev_b16_e32 v28, 8, v26
	v_cmp_ne_u16_e32 vcc, 0, v28
	v_mov_b32_e32 v42, 0
	v_mov_b32_e32 v40, 0
	s_and_saveexec_b64 s[4:5], vcc
	s_cbranch_execz .LBB920_99
; %bb.94:                               ;   in Loop: Header=BB920_15 Depth=1
	v_cmp_ne_u16_e32 vcc, s13, v28
	v_mov_b32_e32 v40, 0xffff8000
	s_and_saveexec_b64 s[6:7], vcc
	s_cbranch_execz .LBB920_98
; %bb.95:                               ;   in Loop: Header=BB920_15 Depth=1
	v_and_b32_e32 v23, 0x7f, v28
	v_cmp_ne_u32_e32 vcc, s14, v23
	v_mov_b32_e32 v40, 0x7f80
	s_and_saveexec_b64 s[10:11], vcc
	s_cbranch_execz .LBB920_97
; %bb.96:                               ;   in Loop: Header=BB920_15 Depth=1
	v_and_b32_e32 v30, 7, v28
	v_ffbh_u32_e32 v43, v30
	v_min_u32_e32 v43, 32, v43
	v_subrev_u32_e32 v44, 28, v43
	v_lshlrev_b64 v[44:45], v44, v[28:29]
	v_lshrrev_b32_e32 v40, 3, v23
	v_sub_u32_e32 v28, 29, v43
	v_and_b32_e32 v43, 7, v44
	v_cmp_gt_u32_e32 vcc, 8, v23
	v_cndmask_b32_e32 v23, v40, v28, vcc
	v_cndmask_b32_e32 v28, v30, v43, vcc
	v_lshlrev_b32_e32 v30, 16, v26
	v_lshlrev_b32_e32 v28, 20, v28
	v_and_b32_e32 v30, 0x80000000, v30
	v_lshl_add_u32 v23, v23, 23, v33
	v_or3_b32 v23, v30, v23, v28
	v_lshrrev_b32_e32 v40, 16, v23
.LBB920_97:                             ;   in Loop: Header=BB920_15 Depth=1
	s_or_b64 exec, exec, s[10:11]
.LBB920_98:                             ;   in Loop: Header=BB920_15 Depth=1
	s_or_b64 exec, exec, s[6:7]
.LBB920_99:                             ;   in Loop: Header=BB920_15 Depth=1
	s_or_b64 exec, exec, s[4:5]
	v_lshrrev_b32_e32 v28, 16, v26
	v_cmp_ne_u16_sdwa s[6:7], v28, v31 src0_sel:BYTE_0 src1_sel:DWORD
	s_and_saveexec_b64 s[4:5], s[6:7]
	s_cbranch_execz .LBB920_105
; %bb.100:                              ;   in Loop: Header=BB920_15 Depth=1
	v_cmp_ne_u16_sdwa s[10:11], v28, s13 src0_sel:BYTE_0 src1_sel:DWORD
	v_mov_b32_e32 v42, 0xffff8000
	s_and_saveexec_b64 s[6:7], s[10:11]
	s_cbranch_execz .LBB920_104
; %bb.101:                              ;   in Loop: Header=BB920_15 Depth=1
	v_bfe_u32 v23, v26, 16, 7
	v_cmp_ne_u32_e32 vcc, s14, v23
	v_mov_b32_e32 v42, 0x7f80
	s_and_saveexec_b64 s[10:11], vcc
	s_cbranch_execz .LBB920_103
; %bb.102:                              ;   in Loop: Header=BB920_15 Depth=1
	v_and_b32_e32 v30, 7, v28
	v_ffbh_u32_e32 v42, v30
	v_min_u32_e32 v45, 32, v42
	v_subrev_u32_e32 v42, 28, v45
	v_lshlrev_b64 v[42:43], v42, v[28:29]
	v_lshrrev_b32_e32 v44, 3, v23
	v_sub_u32_e32 v43, 29, v45
	v_and_b32_e32 v42, 7, v42
	v_cmp_gt_u32_e32 vcc, 8, v23
	v_cndmask_b32_e32 v23, v44, v43, vcc
	v_cndmask_b32_e32 v30, v30, v42, vcc
	v_lshlrev_b32_e32 v28, 24, v28
	v_lshlrev_b32_e32 v30, 20, v30
	v_and_b32_e32 v28, 0x80000000, v28
	v_lshl_add_u32 v23, v23, 23, v33
	v_or3_b32 v23, v28, v23, v30
	v_lshrrev_b32_e32 v42, 16, v23
.LBB920_103:                            ;   in Loop: Header=BB920_15 Depth=1
	s_or_b64 exec, exec, s[10:11]
.LBB920_104:                            ;   in Loop: Header=BB920_15 Depth=1
	s_or_b64 exec, exec, s[6:7]
.LBB920_105:                            ;   in Loop: Header=BB920_15 Depth=1
	s_or_b64 exec, exec, s[4:5]
	v_cmp_lt_u32_e32 vcc, s15, v26
	v_mov_b32_e32 v23, 0
	v_mov_b32_e32 v43, 0
	s_and_saveexec_b64 s[4:5], vcc
	s_cbranch_execz .LBB920_111
; %bb.106:                              ;   in Loop: Header=BB920_15 Depth=1
	v_lshrrev_b32_e32 v28, 24, v26
	v_cmp_ne_u32_e32 vcc, s13, v28
	v_mov_b32_e32 v43, 0xffff8000
	s_and_saveexec_b64 s[6:7], vcc
	s_cbranch_execz .LBB920_110
; %bb.107:                              ;   in Loop: Header=BB920_15 Depth=1
	v_bfe_u32 v26, v26, 24, 7
	v_cmp_ne_u32_e32 vcc, s14, v26
	v_mov_b32_e32 v43, 0x7f80
	s_and_saveexec_b64 s[10:11], vcc
	s_cbranch_execz .LBB920_109
; %bb.108:                              ;   in Loop: Header=BB920_15 Depth=1
	v_and_b32_e32 v30, 7, v28
	v_ffbh_u32_e32 v44, v30
	v_min_u32_e32 v46, 32, v44
	v_subrev_u32_e32 v44, 28, v46
	v_lshlrev_b64 v[44:45], v44, v[28:29]
	v_lshrrev_b32_e32 v43, 3, v26
	v_sub_u32_e32 v45, 29, v46
	v_and_b32_e32 v44, 7, v44
	v_cmp_gt_u32_e32 vcc, 8, v26
	v_cndmask_b32_e32 v26, v43, v45, vcc
	v_cndmask_b32_e32 v30, v30, v44, vcc
	v_lshlrev_b32_e32 v28, 24, v28
	v_lshlrev_b32_e32 v30, 20, v30
	v_and_b32_e32 v28, 0x80000000, v28
	v_lshl_add_u32 v26, v26, 23, v33
	v_or3_b32 v26, v28, v26, v30
	v_lshrrev_b32_e32 v43, 16, v26
.LBB920_109:                            ;   in Loop: Header=BB920_15 Depth=1
	s_or_b64 exec, exec, s[10:11]
.LBB920_110:                            ;   in Loop: Header=BB920_15 Depth=1
	s_or_b64 exec, exec, s[6:7]
.LBB920_111:                            ;   in Loop: Header=BB920_15 Depth=1
	s_or_b64 exec, exec, s[4:5]
	v_perm_b32 v34, v34, v32, s16
	buffer_load_dword v32, v27, s[0:3], 0 offen offset:16
	buffer_load_dword v30, v27, s[0:3], 0 offen offset:20
	;; [unrolled: 1-line block ×4, first 2 shown]
	v_perm_b32 v35, v37, v35, s16
	s_waitcnt vmcnt(3)
	v_cmp_ne_u16_sdwa s[6:7], v32, v31 src0_sel:BYTE_0 src1_sel:DWORD
	v_mfma_f32_16x16x16bf16_1k v[18:21], v[34:35], v[6:7], v[18:21]
	v_perm_b32 v35, v43, v42, s16
	v_perm_b32 v34, v40, v36, s16
	s_nop 1
	v_mfma_f32_16x16x16bf16_1k v[18:21], v[34:35], v[8:9], v[18:21]
	s_and_saveexec_b64 s[4:5], s[6:7]
	s_cbranch_execz .LBB920_117
; %bb.112:                              ;   in Loop: Header=BB920_15 Depth=1
	v_cmp_ne_u16_sdwa s[10:11], v32, s13 src0_sel:BYTE_0 src1_sel:DWORD
	v_mov_b32_e32 v23, 0xffff8000
	s_and_saveexec_b64 s[6:7], s[10:11]
	s_cbranch_execz .LBB920_116
; %bb.113:                              ;   in Loop: Header=BB920_15 Depth=1
	v_and_b32_e32 v34, 0x7f, v32
	v_cmp_ne_u32_e32 vcc, s14, v34
	v_mov_b32_e32 v23, 0x7f80
	s_and_saveexec_b64 s[10:11], vcc
	s_cbranch_execz .LBB920_115
; %bb.114:                              ;   in Loop: Header=BB920_15 Depth=1
	v_and_b32_e32 v23, 7, v32
	v_ffbh_u32_e32 v36, v23
	v_min_u32_e32 v40, 32, v36
	v_subrev_u32_e32 v36, 28, v40
	v_lshlrev_b64 v[36:37], v36, v[32:33]
	v_lshrrev_b32_e32 v35, 3, v34
	v_sub_u32_e32 v37, 29, v40
	v_and_b32_e32 v36, 7, v36
	v_cmp_gt_u32_e32 vcc, 8, v34
	v_cndmask_b32_e32 v34, v35, v37, vcc
	v_cndmask_b32_e32 v23, v23, v36, vcc
	v_lshlrev_b32_e32 v35, 24, v32
	v_lshlrev_b32_e32 v23, 20, v23
	v_and_b32_e32 v35, 0x80000000, v35
	v_lshl_add_u32 v34, v34, 23, v33
	v_or3_b32 v23, v35, v34, v23
	v_lshrrev_b32_e32 v23, 16, v23
.LBB920_115:                            ;   in Loop: Header=BB920_15 Depth=1
	s_or_b64 exec, exec, s[10:11]
.LBB920_116:                            ;   in Loop: Header=BB920_15 Depth=1
	s_or_b64 exec, exec, s[6:7]
.LBB920_117:                            ;   in Loop: Header=BB920_15 Depth=1
	s_or_b64 exec, exec, s[4:5]
	v_lshrrev_b16_e32 v34, 8, v32
	v_cmp_ne_u16_e32 vcc, 0, v34
	v_mov_b32_e32 v36, 0
	v_mov_b32_e32 v35, 0
	s_and_saveexec_b64 s[4:5], vcc
	s_cbranch_execz .LBB920_123
; %bb.118:                              ;   in Loop: Header=BB920_15 Depth=1
	v_cmp_ne_u16_e32 vcc, s13, v34
	v_mov_b32_e32 v35, 0xffff8000
	s_and_saveexec_b64 s[6:7], vcc
	s_cbranch_execz .LBB920_122
; %bb.119:                              ;   in Loop: Header=BB920_15 Depth=1
	v_and_b32_e32 v37, 0x7f, v34
	v_cmp_ne_u32_e32 vcc, s14, v37
	v_mov_b32_e32 v35, 0x7f80
	s_and_saveexec_b64 s[10:11], vcc
	s_cbranch_execz .LBB920_121
; %bb.120:                              ;   in Loop: Header=BB920_15 Depth=1
	v_and_b32_e32 v40, 7, v34
	v_ffbh_u32_e32 v35, v40
	v_min_u32_e32 v43, 32, v35
	v_subrev_u32_e32 v35, 28, v43
	v_lshlrev_b64 v[34:35], v35, v[34:35]
	v_lshrrev_b32_e32 v42, 3, v37
	v_sub_u32_e32 v35, 29, v43
	v_and_b32_e32 v34, 7, v34
	v_cmp_gt_u32_e32 vcc, 8, v37
	v_cndmask_b32_e32 v35, v42, v35, vcc
	v_cndmask_b32_e32 v34, v40, v34, vcc
	v_lshlrev_b32_e32 v37, 16, v32
	v_lshlrev_b32_e32 v34, 20, v34
	v_and_b32_e32 v37, 0x80000000, v37
	v_lshl_add_u32 v35, v35, 23, v33
	v_or3_b32 v34, v37, v35, v34
	v_lshrrev_b32_e32 v35, 16, v34
.LBB920_121:                            ;   in Loop: Header=BB920_15 Depth=1
	s_or_b64 exec, exec, s[10:11]
.LBB920_122:                            ;   in Loop: Header=BB920_15 Depth=1
	s_or_b64 exec, exec, s[6:7]
.LBB920_123:                            ;   in Loop: Header=BB920_15 Depth=1
	s_or_b64 exec, exec, s[4:5]
	v_lshrrev_b32_e32 v34, 16, v32
	v_cmp_ne_u16_sdwa s[6:7], v34, v31 src0_sel:BYTE_0 src1_sel:DWORD
	s_and_saveexec_b64 s[4:5], s[6:7]
	s_cbranch_execz .LBB920_129
; %bb.124:                              ;   in Loop: Header=BB920_15 Depth=1
	v_cmp_ne_u16_sdwa s[10:11], v34, s13 src0_sel:BYTE_0 src1_sel:DWORD
	v_mov_b32_e32 v36, 0xffff8000
	s_and_saveexec_b64 s[6:7], s[10:11]
	s_cbranch_execz .LBB920_128
; %bb.125:                              ;   in Loop: Header=BB920_15 Depth=1
	v_bfe_u32 v37, v32, 16, 7
	v_cmp_ne_u32_e32 vcc, s14, v37
	v_mov_b32_e32 v36, 0x7f80
	s_and_saveexec_b64 s[10:11], vcc
	s_cbranch_execz .LBB920_127
; %bb.126:                              ;   in Loop: Header=BB920_15 Depth=1
	v_and_b32_e32 v36, 7, v34
	v_ffbh_u32_e32 v42, v36
	v_min_u32_e32 v44, 32, v42
	v_subrev_u32_e32 v42, 28, v44
	v_lshlrev_b64 v[42:43], v42, v[34:35]
	v_lshrrev_b32_e32 v40, 3, v37
	v_sub_u32_e32 v43, 29, v44
	v_and_b32_e32 v42, 7, v42
	v_cmp_gt_u32_e32 vcc, 8, v37
	v_cndmask_b32_e32 v37, v40, v43, vcc
	v_cndmask_b32_e32 v36, v36, v42, vcc
	v_lshlrev_b32_e32 v34, 24, v34
	v_lshlrev_b32_e32 v36, 20, v36
	v_and_b32_e32 v34, 0x80000000, v34
	v_lshl_add_u32 v37, v37, 23, v33
	v_or3_b32 v34, v34, v37, v36
	v_lshrrev_b32_e32 v36, 16, v34
.LBB920_127:                            ;   in Loop: Header=BB920_15 Depth=1
	s_or_b64 exec, exec, s[10:11]
.LBB920_128:                            ;   in Loop: Header=BB920_15 Depth=1
	s_or_b64 exec, exec, s[6:7]
.LBB920_129:                            ;   in Loop: Header=BB920_15 Depth=1
	s_or_b64 exec, exec, s[4:5]
	v_cmp_lt_u32_e32 vcc, s15, v32
	v_mov_b32_e32 v37, 0
	v_mov_b32_e32 v40, 0
	s_and_saveexec_b64 s[4:5], vcc
	s_cbranch_execz .LBB920_135
; %bb.130:                              ;   in Loop: Header=BB920_15 Depth=1
	v_lshrrev_b32_e32 v34, 24, v32
	v_cmp_ne_u32_e32 vcc, s13, v34
	v_mov_b32_e32 v40, 0xffff8000
	s_and_saveexec_b64 s[6:7], vcc
	s_cbranch_execz .LBB920_134
; %bb.131:                              ;   in Loop: Header=BB920_15 Depth=1
	v_bfe_u32 v32, v32, 24, 7
	v_cmp_ne_u32_e32 vcc, s14, v32
	v_mov_b32_e32 v40, 0x7f80
	s_and_saveexec_b64 s[10:11], vcc
	s_cbranch_execz .LBB920_133
; %bb.132:                              ;   in Loop: Header=BB920_15 Depth=1
	v_and_b32_e32 v40, 7, v34
	v_ffbh_u32_e32 v42, v40
	v_min_u32_e32 v45, 32, v42
	v_subrev_u32_e32 v42, 28, v45
	v_lshlrev_b64 v[42:43], v42, v[34:35]
	v_lshrrev_b32_e32 v44, 3, v32
	v_sub_u32_e32 v43, 29, v45
	v_and_b32_e32 v42, 7, v42
	v_cmp_gt_u32_e32 vcc, 8, v32
	v_cndmask_b32_e32 v32, v44, v43, vcc
	v_cndmask_b32_e32 v40, v40, v42, vcc
	v_lshlrev_b32_e32 v34, 24, v34
	v_lshlrev_b32_e32 v40, 20, v40
	v_and_b32_e32 v34, 0x80000000, v34
	v_lshl_add_u32 v32, v32, 23, v33
	v_or3_b32 v32, v34, v32, v40
	v_lshrrev_b32_e32 v40, 16, v32
.LBB920_133:                            ;   in Loop: Header=BB920_15 Depth=1
	s_or_b64 exec, exec, s[10:11]
.LBB920_134:                            ;   in Loop: Header=BB920_15 Depth=1
	s_or_b64 exec, exec, s[6:7]
.LBB920_135:                            ;   in Loop: Header=BB920_15 Depth=1
	s_or_b64 exec, exec, s[4:5]
	s_waitcnt vmcnt(2)
	v_cmp_ne_u16_sdwa s[6:7], v30, v31 src0_sel:BYTE_0 src1_sel:DWORD
	s_and_saveexec_b64 s[4:5], s[6:7]
	s_cbranch_execz .LBB920_141
; %bb.136:                              ;   in Loop: Header=BB920_15 Depth=1
	v_cmp_ne_u16_sdwa s[10:11], v30, s13 src0_sel:BYTE_0 src1_sel:DWORD
	v_mov_b32_e32 v37, 0xffff8000
	s_and_saveexec_b64 s[6:7], s[10:11]
	s_cbranch_execz .LBB920_140
; %bb.137:                              ;   in Loop: Header=BB920_15 Depth=1
	v_and_b32_e32 v32, 0x7f, v30
	v_cmp_ne_u32_e32 vcc, s14, v32
	v_mov_b32_e32 v37, 0x7f80
	s_and_saveexec_b64 s[10:11], vcc
	s_cbranch_execz .LBB920_139
; %bb.138:                              ;   in Loop: Header=BB920_15 Depth=1
	v_and_b32_e32 v34, 7, v30
	v_ffbh_u32_e32 v42, v34
	v_min_u32_e32 v44, 32, v42
	v_subrev_u32_e32 v42, 28, v44
	v_lshlrev_b64 v[42:43], v42, v[30:31]
	v_lshrrev_b32_e32 v37, 3, v32
	v_sub_u32_e32 v43, 29, v44
	v_and_b32_e32 v42, 7, v42
	v_cmp_gt_u32_e32 vcc, 8, v32
	v_cndmask_b32_e32 v32, v37, v43, vcc
	v_cndmask_b32_e32 v34, v34, v42, vcc
	v_lshlrev_b32_e32 v37, 24, v30
	v_lshlrev_b32_e32 v34, 20, v34
	v_and_b32_e32 v37, 0x80000000, v37
	v_lshl_add_u32 v32, v32, 23, v33
	v_or3_b32 v32, v37, v32, v34
	v_lshrrev_b32_e32 v37, 16, v32
.LBB920_139:                            ;   in Loop: Header=BB920_15 Depth=1
	s_or_b64 exec, exec, s[10:11]
.LBB920_140:                            ;   in Loop: Header=BB920_15 Depth=1
	s_or_b64 exec, exec, s[6:7]
.LBB920_141:                            ;   in Loop: Header=BB920_15 Depth=1
	s_or_b64 exec, exec, s[4:5]
	v_lshrrev_b16_e32 v32, 8, v30
	v_cmp_ne_u16_e32 vcc, 0, v32
	v_mov_b32_e32 v43, 0
	v_mov_b32_e32 v42, 0
	s_and_saveexec_b64 s[4:5], vcc
	s_cbranch_execz .LBB920_147
; %bb.142:                              ;   in Loop: Header=BB920_15 Depth=1
	v_cmp_ne_u16_e32 vcc, s13, v32
	v_mov_b32_e32 v42, 0xffff8000
	s_and_saveexec_b64 s[6:7], vcc
	s_cbranch_execz .LBB920_146
; %bb.143:                              ;   in Loop: Header=BB920_15 Depth=1
	v_and_b32_e32 v34, 0x7f, v32
	v_cmp_ne_u32_e32 vcc, s14, v34
	v_mov_b32_e32 v42, 0x7f80
	s_and_saveexec_b64 s[10:11], vcc
	s_cbranch_execz .LBB920_145
; %bb.144:                              ;   in Loop: Header=BB920_15 Depth=1
	v_and_b32_e32 v42, 7, v32
	v_ffbh_u32_e32 v44, v42
	v_min_u32_e32 v47, 32, v44
	v_subrev_u32_e32 v44, 28, v47
	v_lshlrev_b64 v[44:45], v44, v[32:33]
	v_lshrrev_b32_e32 v46, 3, v34
	v_sub_u32_e32 v32, 29, v47
	v_and_b32_e32 v44, 7, v44
	v_cmp_gt_u32_e32 vcc, 8, v34
	v_cndmask_b32_e32 v32, v46, v32, vcc
	v_cndmask_b32_e32 v34, v42, v44, vcc
	v_lshlrev_b32_e32 v42, 16, v30
	v_lshlrev_b32_e32 v34, 20, v34
	v_and_b32_e32 v42, 0x80000000, v42
	v_lshl_add_u32 v32, v32, 23, v33
	v_or3_b32 v32, v42, v32, v34
	v_lshrrev_b32_e32 v42, 16, v32
.LBB920_145:                            ;   in Loop: Header=BB920_15 Depth=1
	s_or_b64 exec, exec, s[10:11]
.LBB920_146:                            ;   in Loop: Header=BB920_15 Depth=1
	s_or_b64 exec, exec, s[6:7]
.LBB920_147:                            ;   in Loop: Header=BB920_15 Depth=1
	s_or_b64 exec, exec, s[4:5]
	v_lshrrev_b32_e32 v32, 16, v30
	v_cmp_ne_u16_sdwa s[6:7], v32, v31 src0_sel:BYTE_0 src1_sel:DWORD
	s_and_saveexec_b64 s[4:5], s[6:7]
	s_cbranch_execz .LBB920_153
; %bb.148:                              ;   in Loop: Header=BB920_15 Depth=1
	v_cmp_ne_u16_sdwa s[10:11], v32, s13 src0_sel:BYTE_0 src1_sel:DWORD
	v_mov_b32_e32 v43, 0xffff8000
	s_and_saveexec_b64 s[6:7], s[10:11]
	s_cbranch_execz .LBB920_152
; %bb.149:                              ;   in Loop: Header=BB920_15 Depth=1
	v_bfe_u32 v34, v30, 16, 7
	v_cmp_ne_u32_e32 vcc, s14, v34
	v_mov_b32_e32 v43, 0x7f80
	s_and_saveexec_b64 s[10:11], vcc
	s_cbranch_execz .LBB920_151
; %bb.150:                              ;   in Loop: Header=BB920_15 Depth=1
	v_and_b32_e32 v43, 7, v32
	v_ffbh_u32_e32 v44, v43
	v_min_u32_e32 v47, 32, v44
	v_subrev_u32_e32 v44, 28, v47
	v_lshlrev_b64 v[44:45], v44, v[32:33]
	v_lshrrev_b32_e32 v46, 3, v34
	v_sub_u32_e32 v45, 29, v47
	v_and_b32_e32 v44, 7, v44
	v_cmp_gt_u32_e32 vcc, 8, v34
	v_cndmask_b32_e32 v34, v46, v45, vcc
	v_cndmask_b32_e32 v43, v43, v44, vcc
	v_lshlrev_b32_e32 v32, 24, v32
	v_lshlrev_b32_e32 v43, 20, v43
	v_and_b32_e32 v32, 0x80000000, v32
	v_lshl_add_u32 v34, v34, 23, v33
	v_or3_b32 v32, v32, v34, v43
	v_lshrrev_b32_e32 v43, 16, v32
.LBB920_151:                            ;   in Loop: Header=BB920_15 Depth=1
	s_or_b64 exec, exec, s[10:11]
.LBB920_152:                            ;   in Loop: Header=BB920_15 Depth=1
	s_or_b64 exec, exec, s[6:7]
.LBB920_153:                            ;   in Loop: Header=BB920_15 Depth=1
	s_or_b64 exec, exec, s[4:5]
	v_cmp_lt_u32_e32 vcc, s15, v30
	v_mov_b32_e32 v34, 0
	v_mov_b32_e32 v44, 0
	s_and_saveexec_b64 s[4:5], vcc
	s_cbranch_execz .LBB920_159
; %bb.154:                              ;   in Loop: Header=BB920_15 Depth=1
	v_lshrrev_b32_e32 v32, 24, v30
	v_cmp_ne_u32_e32 vcc, s13, v32
	v_mov_b32_e32 v44, 0xffff8000
	s_and_saveexec_b64 s[6:7], vcc
	s_cbranch_execz .LBB920_158
; %bb.155:                              ;   in Loop: Header=BB920_15 Depth=1
	v_bfe_u32 v30, v30, 24, 7
	v_cmp_ne_u32_e32 vcc, s14, v30
	v_mov_b32_e32 v44, 0x7f80
	s_and_saveexec_b64 s[10:11], vcc
	s_cbranch_execz .LBB920_157
; %bb.156:                              ;   in Loop: Header=BB920_15 Depth=1
	v_and_b32_e32 v46, 7, v32
	v_ffbh_u32_e32 v44, v46
	v_min_u32_e32 v48, 32, v44
	v_subrev_u32_e32 v44, 28, v48
	v_lshlrev_b64 v[44:45], v44, v[32:33]
	v_lshrrev_b32_e32 v47, 3, v30
	v_sub_u32_e32 v45, 29, v48
	v_and_b32_e32 v44, 7, v44
	v_cmp_gt_u32_e32 vcc, 8, v30
	v_cndmask_b32_e32 v30, v47, v45, vcc
	v_cndmask_b32_e32 v44, v46, v44, vcc
	v_lshlrev_b32_e32 v32, 24, v32
	v_lshlrev_b32_e32 v44, 20, v44
	v_and_b32_e32 v32, 0x80000000, v32
	v_lshl_add_u32 v30, v30, 23, v33
	v_or3_b32 v30, v32, v30, v44
	v_lshrrev_b32_e32 v44, 16, v30
.LBB920_157:                            ;   in Loop: Header=BB920_15 Depth=1
	s_or_b64 exec, exec, s[10:11]
.LBB920_158:                            ;   in Loop: Header=BB920_15 Depth=1
	s_or_b64 exec, exec, s[6:7]
.LBB920_159:                            ;   in Loop: Header=BB920_15 Depth=1
	s_or_b64 exec, exec, s[4:5]
	v_perm_b32 v47, v40, v36, s16
	v_perm_b32 v46, v35, v23, s16
	;; [unrolled: 1-line block ×4, first 2 shown]
	s_waitcnt vmcnt(1)
	v_cmp_ne_u16_sdwa s[6:7], v28, v31 src0_sel:BYTE_0 src1_sel:DWORD
	v_mfma_f32_16x16x16bf16_1k v[18:21], v[46:47], v[10:11], v[18:21]
	v_mfma_f32_16x16x16bf16_1k v[18:21], v[42:43], v[12:13], v[18:21]
	s_and_saveexec_b64 s[4:5], s[6:7]
	s_cbranch_execz .LBB920_165
; %bb.160:                              ;   in Loop: Header=BB920_15 Depth=1
	v_cmp_ne_u16_sdwa s[10:11], v28, s13 src0_sel:BYTE_0 src1_sel:DWORD
	v_mov_b32_e32 v34, 0xffff8000
	s_and_saveexec_b64 s[6:7], s[10:11]
	s_cbranch_execz .LBB920_164
; %bb.161:                              ;   in Loop: Header=BB920_15 Depth=1
	v_and_b32_e32 v23, 0x7f, v28
	v_cmp_ne_u32_e32 vcc, s14, v23
	v_mov_b32_e32 v34, 0x7f80
	s_and_saveexec_b64 s[10:11], vcc
	s_cbranch_execz .LBB920_163
; %bb.162:                              ;   in Loop: Header=BB920_15 Depth=1
	v_and_b32_e32 v30, 7, v28
	v_ffbh_u32_e32 v34, v30
	v_min_u32_e32 v36, 32, v34
	v_subrev_u32_e32 v34, 28, v36
	v_lshlrev_b64 v[34:35], v34, v[28:29]
	v_lshrrev_b32_e32 v32, 3, v23
	v_sub_u32_e32 v35, 29, v36
	v_and_b32_e32 v34, 7, v34
	v_cmp_gt_u32_e32 vcc, 8, v23
	v_cndmask_b32_e32 v23, v32, v35, vcc
	v_cndmask_b32_e32 v30, v30, v34, vcc
	v_lshlrev_b32_e32 v32, 24, v28
	v_lshlrev_b32_e32 v30, 20, v30
	v_and_b32_e32 v32, 0x80000000, v32
	v_lshl_add_u32 v23, v23, 23, v33
	v_or3_b32 v23, v32, v23, v30
	v_lshrrev_b32_e32 v34, 16, v23
.LBB920_163:                            ;   in Loop: Header=BB920_15 Depth=1
	s_or_b64 exec, exec, s[10:11]
.LBB920_164:                            ;   in Loop: Header=BB920_15 Depth=1
	s_or_b64 exec, exec, s[6:7]
.LBB920_165:                            ;   in Loop: Header=BB920_15 Depth=1
	s_or_b64 exec, exec, s[4:5]
	v_lshrrev_b16_e32 v30, 8, v28
	v_cmp_ne_u16_e32 vcc, 0, v30
	v_mov_b32_e32 v32, 0
	v_mov_b32_e32 v23, 0
	s_and_saveexec_b64 s[4:5], vcc
	s_cbranch_execz .LBB920_171
; %bb.166:                              ;   in Loop: Header=BB920_15 Depth=1
	v_cmp_ne_u16_e32 vcc, s13, v30
	v_mov_b32_e32 v23, 0xffff8000
	s_and_saveexec_b64 s[6:7], vcc
	s_cbranch_execz .LBB920_170
; %bb.167:                              ;   in Loop: Header=BB920_15 Depth=1
	v_and_b32_e32 v35, 0x7f, v30
	v_cmp_ne_u32_e32 vcc, s14, v35
	v_mov_b32_e32 v23, 0x7f80
	s_and_saveexec_b64 s[10:11], vcc
	s_cbranch_execz .LBB920_169
; %bb.168:                              ;   in Loop: Header=BB920_15 Depth=1
	v_and_b32_e32 v23, 7, v30
	v_ffbh_u32_e32 v36, v23
	v_min_u32_e32 v42, 32, v36
	v_subrev_u32_e32 v36, 28, v42
	v_lshlrev_b64 v[36:37], v36, v[30:31]
	v_lshrrev_b32_e32 v40, 3, v35
	v_sub_u32_e32 v30, 29, v42
	v_and_b32_e32 v36, 7, v36
	v_cmp_gt_u32_e32 vcc, 8, v35
	v_cndmask_b32_e32 v30, v40, v30, vcc
	v_cndmask_b32_e32 v23, v23, v36, vcc
	v_lshlrev_b32_e32 v35, 16, v28
	v_lshlrev_b32_e32 v23, 20, v23
	v_and_b32_e32 v35, 0x80000000, v35
	v_lshl_add_u32 v30, v30, 23, v33
	v_or3_b32 v23, v35, v30, v23
	v_lshrrev_b32_e32 v23, 16, v23
.LBB920_169:                            ;   in Loop: Header=BB920_15 Depth=1
	s_or_b64 exec, exec, s[10:11]
.LBB920_170:                            ;   in Loop: Header=BB920_15 Depth=1
	s_or_b64 exec, exec, s[6:7]
.LBB920_171:                            ;   in Loop: Header=BB920_15 Depth=1
	s_or_b64 exec, exec, s[4:5]
	v_lshrrev_b32_e32 v30, 16, v28
	v_cmp_ne_u16_sdwa s[6:7], v30, v31 src0_sel:BYTE_0 src1_sel:DWORD
	s_and_saveexec_b64 s[4:5], s[6:7]
	s_cbranch_execz .LBB920_177
; %bb.172:                              ;   in Loop: Header=BB920_15 Depth=1
	v_cmp_ne_u16_sdwa s[10:11], v30, s13 src0_sel:BYTE_0 src1_sel:DWORD
	v_mov_b32_e32 v32, 0xffff8000
	s_and_saveexec_b64 s[6:7], s[10:11]
	s_cbranch_execz .LBB920_176
; %bb.173:                              ;   in Loop: Header=BB920_15 Depth=1
	v_bfe_u32 v35, v28, 16, 7
	v_cmp_ne_u32_e32 vcc, s14, v35
	v_mov_b32_e32 v32, 0x7f80
	s_and_saveexec_b64 s[10:11], vcc
	s_cbranch_execz .LBB920_175
; %bb.174:                              ;   in Loop: Header=BB920_15 Depth=1
	v_and_b32_e32 v32, 7, v30
	v_ffbh_u32_e32 v36, v32
	v_min_u32_e32 v42, 32, v36
	v_subrev_u32_e32 v36, 28, v42
	v_lshlrev_b64 v[36:37], v36, v[30:31]
	v_lshrrev_b32_e32 v40, 3, v35
	v_sub_u32_e32 v37, 29, v42
	v_and_b32_e32 v36, 7, v36
	v_cmp_gt_u32_e32 vcc, 8, v35
	v_cndmask_b32_e32 v35, v40, v37, vcc
	v_cndmask_b32_e32 v32, v32, v36, vcc
	v_lshlrev_b32_e32 v30, 24, v30
	v_lshlrev_b32_e32 v32, 20, v32
	v_and_b32_e32 v30, 0x80000000, v30
	v_lshl_add_u32 v35, v35, 23, v33
	v_or3_b32 v30, v30, v35, v32
	v_lshrrev_b32_e32 v32, 16, v30
.LBB920_175:                            ;   in Loop: Header=BB920_15 Depth=1
	s_or_b64 exec, exec, s[10:11]
.LBB920_176:                            ;   in Loop: Header=BB920_15 Depth=1
	s_or_b64 exec, exec, s[6:7]
.LBB920_177:                            ;   in Loop: Header=BB920_15 Depth=1
	s_or_b64 exec, exec, s[4:5]
	v_cmp_lt_u32_e32 vcc, s15, v28
	v_mov_b32_e32 v35, 0
	v_mov_b32_e32 v36, 0
	s_and_saveexec_b64 s[4:5], vcc
	s_cbranch_execz .LBB920_183
; %bb.178:                              ;   in Loop: Header=BB920_15 Depth=1
	v_lshrrev_b32_e32 v30, 24, v28
	v_cmp_ne_u32_e32 vcc, s13, v30
	v_mov_b32_e32 v36, 0xffff8000
	s_and_saveexec_b64 s[6:7], vcc
	s_cbranch_execz .LBB920_182
; %bb.179:                              ;   in Loop: Header=BB920_15 Depth=1
	v_bfe_u32 v28, v28, 24, 7
	v_cmp_ne_u32_e32 vcc, s14, v28
	v_mov_b32_e32 v36, 0x7f80
	s_and_saveexec_b64 s[10:11], vcc
	s_cbranch_execz .LBB920_181
; %bb.180:                              ;   in Loop: Header=BB920_15 Depth=1
	v_and_b32_e32 v40, 7, v30
	v_ffbh_u32_e32 v36, v40
	v_min_u32_e32 v43, 32, v36
	v_subrev_u32_e32 v36, 28, v43
	v_lshlrev_b64 v[36:37], v36, v[30:31]
	v_lshrrev_b32_e32 v42, 3, v28
	v_sub_u32_e32 v37, 29, v43
	v_and_b32_e32 v36, 7, v36
	v_cmp_gt_u32_e32 vcc, 8, v28
	v_cndmask_b32_e32 v28, v42, v37, vcc
	v_cndmask_b32_e32 v36, v40, v36, vcc
	v_lshlrev_b32_e32 v30, 24, v30
	v_lshlrev_b32_e32 v36, 20, v36
	v_and_b32_e32 v30, 0x80000000, v30
	v_lshl_add_u32 v28, v28, 23, v33
	v_or3_b32 v28, v30, v28, v36
	v_lshrrev_b32_e32 v36, 16, v28
.LBB920_181:                            ;   in Loop: Header=BB920_15 Depth=1
	s_or_b64 exec, exec, s[10:11]
.LBB920_182:                            ;   in Loop: Header=BB920_15 Depth=1
	s_or_b64 exec, exec, s[6:7]
.LBB920_183:                            ;   in Loop: Header=BB920_15 Depth=1
	s_or_b64 exec, exec, s[4:5]
	s_waitcnt vmcnt(0)
	v_cmp_ne_u16_sdwa s[6:7], v26, v31 src0_sel:BYTE_0 src1_sel:DWORD
	s_and_saveexec_b64 s[4:5], s[6:7]
	s_cbranch_execz .LBB920_189
; %bb.184:                              ;   in Loop: Header=BB920_15 Depth=1
	v_cmp_ne_u16_sdwa s[10:11], v26, s13 src0_sel:BYTE_0 src1_sel:DWORD
	v_mov_b32_e32 v35, 0xffff8000
	s_and_saveexec_b64 s[6:7], s[10:11]
	s_cbranch_execz .LBB920_188
; %bb.185:                              ;   in Loop: Header=BB920_15 Depth=1
	v_and_b32_e32 v28, 0x7f, v26
	v_cmp_ne_u32_e32 vcc, s14, v28
	v_mov_b32_e32 v35, 0x7f80
	s_and_saveexec_b64 s[10:11], vcc
	s_cbranch_execz .LBB920_187
; %bb.186:                              ;   in Loop: Header=BB920_15 Depth=1
	v_and_b32_e32 v30, 7, v26
	v_ffbh_u32_e32 v37, v30
	v_min_u32_e32 v37, 32, v37
	v_subrev_u32_e32 v40, 28, v37
	v_lshlrev_b64 v[42:43], v40, v[26:27]
	v_lshrrev_b32_e32 v35, 3, v28
	v_sub_u32_e32 v37, 29, v37
	v_and_b32_e32 v40, 7, v42
	v_cmp_gt_u32_e32 vcc, 8, v28
	v_cndmask_b32_e32 v28, v35, v37, vcc
	v_cndmask_b32_e32 v30, v30, v40, vcc
	v_lshlrev_b32_e32 v35, 24, v26
	v_lshlrev_b32_e32 v30, 20, v30
	v_and_b32_e32 v35, 0x80000000, v35
	v_lshl_add_u32 v28, v28, 23, v33
	v_or3_b32 v28, v35, v28, v30
	v_lshrrev_b32_e32 v35, 16, v28
.LBB920_187:                            ;   in Loop: Header=BB920_15 Depth=1
	s_or_b64 exec, exec, s[10:11]
.LBB920_188:                            ;   in Loop: Header=BB920_15 Depth=1
	s_or_b64 exec, exec, s[6:7]
.LBB920_189:                            ;   in Loop: Header=BB920_15 Depth=1
	s_or_b64 exec, exec, s[4:5]
	v_lshrrev_b16_e32 v28, 8, v26
	v_cmp_ne_u16_e32 vcc, 0, v28
	v_mov_b32_e32 v37, 0
	v_mov_b32_e32 v30, 0
	s_and_saveexec_b64 s[4:5], vcc
	s_cbranch_execz .LBB920_195
; %bb.190:                              ;   in Loop: Header=BB920_15 Depth=1
	v_cmp_ne_u16_e32 vcc, s13, v28
	v_mov_b32_e32 v30, 0xffff8000
	s_and_saveexec_b64 s[6:7], vcc
	s_cbranch_execz .LBB920_194
; %bb.191:                              ;   in Loop: Header=BB920_15 Depth=1
	v_and_b32_e32 v40, 0x7f, v28
	v_cmp_ne_u32_e32 vcc, s14, v40
	v_mov_b32_e32 v30, 0x7f80
	s_and_saveexec_b64 s[10:11], vcc
	s_cbranch_execz .LBB920_193
; %bb.192:                              ;   in Loop: Header=BB920_15 Depth=1
	v_and_b32_e32 v30, 7, v28
	v_ffbh_u32_e32 v42, v30
	v_min_u32_e32 v45, 32, v42
	v_subrev_u32_e32 v42, 28, v45
	v_lshlrev_b64 v[42:43], v42, v[28:29]
	v_lshrrev_b32_e32 v44, 3, v40
	v_sub_u32_e32 v28, 29, v45
	v_and_b32_e32 v42, 7, v42
	v_cmp_gt_u32_e32 vcc, 8, v40
	v_cndmask_b32_e32 v28, v44, v28, vcc
	v_cndmask_b32_e32 v30, v30, v42, vcc
	v_lshlrev_b32_e32 v40, 16, v26
	v_lshlrev_b32_e32 v30, 20, v30
	v_and_b32_e32 v40, 0x80000000, v40
	v_lshl_add_u32 v28, v28, 23, v33
	v_or3_b32 v28, v40, v28, v30
	v_lshrrev_b32_e32 v30, 16, v28
.LBB920_193:                            ;   in Loop: Header=BB920_15 Depth=1
	s_or_b64 exec, exec, s[10:11]
.LBB920_194:                            ;   in Loop: Header=BB920_15 Depth=1
	s_or_b64 exec, exec, s[6:7]
.LBB920_195:                            ;   in Loop: Header=BB920_15 Depth=1
	s_or_b64 exec, exec, s[4:5]
	v_lshrrev_b32_e32 v28, 16, v26
	v_cmp_ne_u16_sdwa s[6:7], v28, v31 src0_sel:BYTE_0 src1_sel:DWORD
	s_and_saveexec_b64 s[4:5], s[6:7]
	s_cbranch_execz .LBB920_201
; %bb.196:                              ;   in Loop: Header=BB920_15 Depth=1
	v_cmp_ne_u16_sdwa s[10:11], v28, s13 src0_sel:BYTE_0 src1_sel:DWORD
	v_mov_b32_e32 v37, 0xffff8000
	s_and_saveexec_b64 s[6:7], s[10:11]
	s_cbranch_execz .LBB920_200
; %bb.197:                              ;   in Loop: Header=BB920_15 Depth=1
	v_bfe_u32 v40, v26, 16, 7
	v_cmp_ne_u32_e32 vcc, s14, v40
	v_mov_b32_e32 v37, 0x7f80
	s_and_saveexec_b64 s[10:11], vcc
	s_cbranch_execz .LBB920_199
; %bb.198:                              ;   in Loop: Header=BB920_15 Depth=1
	v_and_b32_e32 v37, 7, v28
	v_ffbh_u32_e32 v42, v37
	v_min_u32_e32 v45, 32, v42
	v_subrev_u32_e32 v42, 28, v45
	v_lshlrev_b64 v[42:43], v42, v[28:29]
	v_lshrrev_b32_e32 v44, 3, v40
	v_sub_u32_e32 v43, 29, v45
	v_and_b32_e32 v42, 7, v42
	v_cmp_gt_u32_e32 vcc, 8, v40
	v_cndmask_b32_e32 v40, v44, v43, vcc
	v_cndmask_b32_e32 v37, v37, v42, vcc
	v_lshlrev_b32_e32 v28, 24, v28
	v_lshlrev_b32_e32 v37, 20, v37
	v_and_b32_e32 v28, 0x80000000, v28
	v_lshl_add_u32 v40, v40, 23, v33
	v_or3_b32 v28, v28, v40, v37
	v_lshrrev_b32_e32 v37, 16, v28
.LBB920_199:                            ;   in Loop: Header=BB920_15 Depth=1
	s_or_b64 exec, exec, s[10:11]
.LBB920_200:                            ;   in Loop: Header=BB920_15 Depth=1
	s_or_b64 exec, exec, s[6:7]
.LBB920_201:                            ;   in Loop: Header=BB920_15 Depth=1
	s_or_b64 exec, exec, s[4:5]
	v_cmp_lt_u32_e32 vcc, s15, v26
	v_mov_b32_e32 v40, 0
	s_and_saveexec_b64 s[4:5], vcc
	s_cbranch_execz .LBB920_14
; %bb.202:                              ;   in Loop: Header=BB920_15 Depth=1
	v_lshrrev_b32_e32 v28, 24, v26
	v_cmp_ne_u32_e32 vcc, s13, v28
	v_mov_b32_e32 v40, 0xffff8000
	s_and_saveexec_b64 s[6:7], vcc
	s_cbranch_execz .LBB920_13
; %bb.203:                              ;   in Loop: Header=BB920_15 Depth=1
	v_bfe_u32 v26, v26, 24, 7
	v_cmp_ne_u32_e32 vcc, s14, v26
	v_mov_b32_e32 v40, 0x7f80
	s_and_saveexec_b64 s[10:11], vcc
	s_cbranch_execz .LBB920_12
; %bb.204:                              ;   in Loop: Header=BB920_15 Depth=1
	v_and_b32_e32 v40, 7, v28
	v_ffbh_u32_e32 v42, v40
	v_min_u32_e32 v45, 32, v42
	v_subrev_u32_e32 v42, 28, v45
	v_lshlrev_b64 v[42:43], v42, v[28:29]
	v_lshrrev_b32_e32 v44, 3, v26
	v_sub_u32_e32 v43, 29, v45
	v_and_b32_e32 v42, 7, v42
	v_cmp_gt_u32_e32 vcc, 8, v26
	v_cndmask_b32_e32 v26, v44, v43, vcc
	v_cndmask_b32_e32 v40, v40, v42, vcc
	v_lshlrev_b32_e32 v28, 24, v28
	v_lshlrev_b32_e32 v40, 20, v40
	v_and_b32_e32 v28, 0x80000000, v28
	v_lshl_add_u32 v26, v26, 23, v33
	v_or3_b32 v26, v28, v26, v40
	v_lshrrev_b32_e32 v40, 16, v26
	s_branch .LBB920_12
.LBB920_205:
	buffer_load_dword v13, off, s[0:3], 0 offset:256
	buffer_load_dword v14, off, s[0:3], 0 offset:260
	;; [unrolled: 1-line block ×16, first 2 shown]
	v_and_b32_e32 v12, 0xc0, v0
	v_add_u32_e32 v12, s20, v12
	v_lshl_or_b32 v12, v1, 2, v12
	v_or_b32_e32 v23, 1, v12
	v_mov_b32_e32 v19, 0xff7fffff
	v_or_b32_e32 v24, 2, v12
	v_or_b32_e32 v25, 3, v12
	v_cmp_gt_i32_e64 s[26:27], s33, v12
	v_cmp_gt_i32_e64 s[28:29], s33, v23
	s_mov_b32 s52, 0xff7fffff
	v_or_b32_e32 v26, 16, v12
	v_or_b32_e32 v27, 17, v12
	;; [unrolled: 1-line block ×12, first 2 shown]
	v_cmp_gt_i32_e64 s[30:31], s33, v24
	v_cmp_gt_i32_e64 s[34:35], s33, v25
	v_mbcnt_lo_u32_b32 v20, -1, 0
	v_cmp_gt_i32_e64 s[36:37], s33, v26
	v_cmp_gt_i32_e64 s[38:39], s33, v27
	v_mbcnt_hi_u32_b32 v20, -1, v20
	v_cmp_gt_i32_e64 s[20:21], s33, v28
	v_cmp_gt_i32_e64 s[22:23], s33, v29
	v_and_b32_e32 v21, 64, v20
	v_cmp_gt_i32_e64 s[16:17], s33, v30
	v_cmp_gt_i32_e64 s[18:19], s33, v31
	v_xor_b32_e32 v22, 32, v20
	v_add_u32_e32 v21, 64, v21
	v_cmp_gt_i32_e64 s[12:13], s33, v32
	v_cmp_gt_i32_e64 s[14:15], s33, v33
	v_cmp_lt_i32_e32 vcc, v22, v21
	v_cmp_gt_i32_e64 s[6:7], s33, v34
	v_cmp_gt_i32_e64 s[10:11], s33, v35
	v_cndmask_b32_e32 v22, v20, v22, vcc
	v_cmp_gt_i32_e32 vcc, s33, v36
	v_cmp_gt_i32_e64 s[4:5], s33, v37
	v_lshlrev_b32_e32 v22, 2, v22
	s_waitcnt vmcnt(15)
	v_cndmask_b32_e64 v12, v19, v13, s[26:27]
	s_waitcnt vmcnt(14)
	v_cndmask_b32_e64 v23, v19, v14, s[28:29]
	;; [unrolled: 2-line block ×4, first 2 shown]
	v_max3_f32 v12, v12, s52, v23
	s_waitcnt vmcnt(11)
	v_cndmask_b32_e64 v26, v19, v17, s[36:37]
	s_waitcnt vmcnt(10)
	v_cndmask_b32_e64 v27, v19, v18, s[38:39]
	v_max3_f32 v12, v12, v24, v25
	s_waitcnt vmcnt(9)
	v_cndmask_b32_e64 v28, v19, v11, s[20:21]
	s_waitcnt vmcnt(8)
	v_cndmask_b32_e64 v29, v19, v10, s[22:23]
	;; [unrolled: 5-line block ×5, first 2 shown]
	v_max3_f32 v12, v12, v32, v33
	s_waitcnt vmcnt(1)
	v_cndmask_b32_e32 v36, v19, v3, vcc
	s_waitcnt vmcnt(0)
	v_cndmask_b32_e64 v19, v19, v2, s[4:5]
	v_max3_f32 v12, v12, v34, v35
	v_max3_f32 v12, v12, v36, v19
	ds_bpermute_b32 v19, v22, v12
	v_xor_b32_e32 v23, 16, v20
	v_cmp_lt_i32_e64 s[40:41], v23, v21
	v_cndmask_b32_e64 v20, v20, v23, s[40:41]
	v_lshlrev_b32_e32 v20, 2, v20
	s_waitcnt lgkmcnt(0)
	v_max_f32_e32 v19, v19, v19
	v_max_f32_e32 v12, v12, v19
	ds_bpermute_b32 v19, v20, v12
	s_waitcnt lgkmcnt(0)
	v_max_f32_e32 v19, v19, v19
	v_max_f32_e32 v12, v12, v19
	v_sub_f32_e32 v13, v13, v12
	v_sub_f32_e32 v14, v14, v12
	;; [unrolled: 1-line block ×3, first 2 shown]
	v_mul_f32_e32 v13, 0x3fb8aa3b, v13
	v_mul_f32_e32 v14, 0x3fb8aa3b, v14
	;; [unrolled: 1-line block ×3, first 2 shown]
	v_exp_f32_e32 v13, v13
	v_exp_f32_e32 v14, v14
	;; [unrolled: 1-line block ×3, first 2 shown]
	v_sub_f32_e32 v16, v16, v12
	v_cndmask_b32_e64 v13, 0, v13, s[26:27]
	v_mul_f32_e32 v16, 0x3fb8aa3b, v16
	v_cndmask_b32_e64 v14, 0, v14, s[28:29]
	v_cndmask_b32_e64 v15, 0, v15, s[30:31]
	v_add_f32_e32 v19, 0, v13
	buffer_store_dword v13, off, s[0:3], 0 offset:256
	buffer_store_dword v14, off, s[0:3], 0 offset:260
	;; [unrolled: 1-line block ×3, first 2 shown]
	v_sub_f32_e32 v13, v17, v12
	v_exp_f32_e32 v16, v16
	v_add_f32_e32 v19, v19, v14
	v_mul_f32_e32 v13, 0x3fb8aa3b, v13
	v_sub_f32_e32 v14, v18, v12
	v_exp_f32_e32 v13, v13
	v_mul_f32_e32 v14, 0x3fb8aa3b, v14
	v_sub_f32_e32 v11, v11, v12
	v_exp_f32_e32 v14, v14
	v_mul_f32_e32 v11, 0x3fb8aa3b, v11
	v_sub_f32_e32 v10, v10, v12
	v_exp_f32_e32 v11, v11
	v_mul_f32_e32 v10, 0x3fb8aa3b, v10
	v_sub_f32_e32 v9, v9, v12
	v_cndmask_b32_e64 v16, 0, v16, s[34:35]
	v_add_f32_e32 v19, v19, v15
	v_exp_f32_e32 v10, v10
	v_mul_f32_e32 v9, 0x3fb8aa3b, v9
	v_sub_f32_e32 v8, v8, v12
	v_add_f32_e32 v19, v19, v16
	v_cndmask_b32_e64 v13, 0, v13, s[36:37]
	v_exp_f32_e32 v9, v9
	v_mul_f32_e32 v8, 0x3fb8aa3b, v8
	v_sub_f32_e32 v7, v7, v12
	v_add_f32_e32 v15, v19, v13
	v_cndmask_b32_e64 v14, 0, v14, s[38:39]
	;; [unrolled: 5-line block ×5, first 2 shown]
	v_exp_f32_e32 v5, v5
	v_mul_f32_e32 v4, 0x3fb8aa3b, v4
	v_sub_f32_e32 v3, v3, v12
	buffer_store_dword v16, off, s[0:3], 0 offset:268
	buffer_store_dword v13, off, s[0:3], 0 offset:272
	;; [unrolled: 1-line block ×5, first 2 shown]
	v_add_f32_e32 v10, v15, v9
	v_cndmask_b32_e64 v8, 0, v8, s[18:19]
	v_exp_f32_e32 v4, v4
	v_mul_f32_e32 v3, 0x3fb8aa3b, v3
	v_sub_f32_e32 v2, v2, v12
	v_add_f32_e32 v10, v10, v8
	v_cndmask_b32_e64 v7, 0, v7, s[12:13]
	v_exp_f32_e32 v3, v3
	v_mul_f32_e32 v2, 0x3fb8aa3b, v2
	v_add_f32_e32 v10, v10, v7
	v_cndmask_b32_e64 v6, 0, v6, s[14:15]
	v_exp_f32_e32 v2, v2
	v_add_f32_e32 v10, v10, v6
	v_cndmask_b32_e64 v5, 0, v5, s[6:7]
	buffer_store_dword v9, off, s[0:3], 0 offset:288
	buffer_store_dword v8, off, s[0:3], 0 offset:292
	;; [unrolled: 1-line block ×4, first 2 shown]
	v_add_f32_e32 v6, v10, v5
	v_cndmask_b32_e64 v4, 0, v4, s[10:11]
	v_add_f32_e32 v6, v6, v4
	v_cndmask_b32_e32 v3, 0, v3, vcc
	v_add_f32_e32 v6, v6, v3
	v_cndmask_b32_e64 v2, 0, v2, s[4:5]
	v_add_f32_e32 v6, v6, v2
	ds_bpermute_b32 v7, v22, v6
	buffer_store_dword v5, off, s[0:3], 0 offset:304
	buffer_store_dword v4, off, s[0:3], 0 offset:308
	;; [unrolled: 1-line block ×4, first 2 shown]
	v_cmp_gt_u32_e32 vcc, 16, v38
	s_waitcnt lgkmcnt(0)
	s_barrier
	v_add_f32_e32 v2, v6, v7
	ds_bpermute_b32 v3, v20, v2
	s_waitcnt lgkmcnt(0)
	s_and_saveexec_b64 s[4:5], vcc
	s_cbranch_execz .LBB920_207
; %bb.206:
	v_add_f32_e32 v2, v2, v3
	v_lshlrev_b32_e32 v3, 2, v63
	ds_write2st64_b32 v3, v12, v2 offset1:1
.LBB920_207:
	s_or_b64 exec, exec, s[4:5]
	v_lshlrev_b32_e32 v2, 2, v55
	s_waitcnt lgkmcnt(0)
	s_barrier
	ds_read2_b32 v[14:15], v2 offset1:16
	ds_read2_b32 v[16:17], v2 offset0:32 offset1:48
	ds_read2_b32 v[6:7], v2 offset0:64 offset1:80
	;; [unrolled: 1-line block ×3, first 2 shown]
	s_waitcnt lgkmcnt(0)
	s_barrier
	buffer_load_dword v22, off, s[0:3], 0 offset:264
	buffer_load_dword v23, off, s[0:3], 0 offset:268
	;; [unrolled: 1-line block ×16, first 2 shown]
	v_max3_f32 v20, v14, s52, v15
	v_max3_f32 v20, v20, v16, v17
	v_sub_f32_e32 v14, v14, v20
	v_sub_f32_e32 v15, v15, v20
	v_mul_f32_e32 v14, 0x3fb8aa3b, v14
	v_sub_f32_e32 v16, v16, v20
	v_mul_f32_e32 v15, 0x3fb8aa3b, v15
	v_exp_f32_e32 v14, v14
	v_sub_f32_e32 v17, v17, v20
	v_mul_f32_e32 v16, 0x3fb8aa3b, v16
	v_exp_f32_e32 v15, v15
	v_mul_f32_e32 v17, 0x3fb8aa3b, v17
	v_exp_f32_e32 v16, v16
	v_exp_f32_e32 v17, v17
	v_fma_f32 v6, v14, v6, 0
	v_fmac_f32_e32 v6, v15, v7
	v_fmac_f32_e32 v6, v16, v12
	;; [unrolled: 1-line block ×3, first 2 shown]
	v_cmp_eq_u32_e32 vcc, 1, v62
	v_add_f32_e32 v12, 0x358637bd, v6
	v_cndmask_b32_e32 v14, v14, v15, vcc
	v_cmp_eq_u32_e32 vcc, 2, v62
	v_div_scale_f32 v13, s[4:5], v12, v12, 1.0
	v_cndmask_b32_e32 v7, v14, v16, vcc
	v_rcp_f32_e32 v14, v13
	v_cmp_eq_u32_e32 vcc, 3, v62
	v_cndmask_b32_e32 v7, v7, v17, vcc
	v_div_scale_f32 v15, vcc, 1.0, v12, 1.0
	v_fma_f32 v16, -v13, v14, 1.0
	v_fmac_f32_e32 v14, v16, v14
	v_mul_f32_e32 v16, v15, v14
	v_fma_f32 v17, -v13, v16, v15
	v_fmac_f32_e32 v16, v17, v14
	v_fma_f32 v13, -v13, v16, v15
	v_div_fmas_f32 v13, v13, v14, v16
	v_div_fixup_f32 v12, v13, v12, 1.0
	v_mul_f32_e32 v12, v7, v12
	s_movk_i32 s19, 0x7fff
	s_mov_b32 s20, 0x7060302
	s_mul_i32 s18, s51, 11
	v_cmp_gt_u32_e32 vcc, 11, v0
	s_waitcnt vmcnt(14)
	v_pk_mul_f32 v[14:15], v[12:13], v[22:23] op_sel_hi:[0,1]
	v_bfe_u32 v21, v15, 16, 1
	s_waitcnt vmcnt(12)
	v_pk_mul_f32 v[16:17], v[12:13], v[24:25] op_sel_hi:[0,1]
	v_bfe_u32 v7, v17, 16, 1
	v_bfe_u32 v13, v16, 16, 1
	;; [unrolled: 1-line block ×3, first 2 shown]
	v_add3_u32 v13, v16, v13, s19
	v_add3_u32 v7, v17, v7, s19
	buffer_store_dword v16, off, s[0:3], 0 offset:256
	buffer_store_dword v17, off, s[0:3], 0 offset:260
	;; [unrolled: 1-line block ×4, first 2 shown]
	v_add3_u32 v16, v14, v22, s19
	v_add3_u32 v15, v15, v21, s19
	v_perm_b32 v14, v7, v13, s20
	v_lshlrev_b32_e32 v13, 3, v1
	v_perm_b32 v15, v15, v16, s20
	v_lshlrev_b32_e32 v7, 5, v55
	v_lshlrev_b32_e32 v16, 11, v62
	s_waitcnt vmcnt(12)
	v_pk_mul_f32 v[8:9], v[12:13], v[8:9] op_sel_hi:[0,1]
	v_or3_b32 v43, v16, v7, v13
	v_pk_mul_f32 v[10:11], v[12:13], v[10:11] op_sel_hi:[0,1]
	v_bfe_u32 v13, v9, 16, 1
	v_bfe_u32 v16, v8, 16, 1
	buffer_store_dword v8, off, s[0:3], 0 offset:272
	buffer_store_dword v9, off, s[0:3], 0 offset:276
	buffer_store_dword v10, off, s[0:3], 0 offset:280
	buffer_store_dword v11, off, s[0:3], 0 offset:284
	v_add3_u32 v8, v8, v16, s19
	v_add3_u32 v9, v9, v13, s19
	v_perm_b32 v8, v9, v8, s20
	v_bfe_u32 v9, v11, 16, 1
	v_bfe_u32 v13, v10, 16, 1
	v_add3_u32 v10, v10, v13, s19
	v_add3_u32 v9, v11, v9, s19
	v_perm_b32 v9, v9, v10, s20
	s_waitcnt vmcnt(14)
	v_pk_mul_f32 v[10:11], v[12:13], v[18:19] op_sel_hi:[0,1]
	ds_write2st64_b64 v43, v[14:15], v[8:9] offset1:1
	s_waitcnt vmcnt(12)
	v_pk_mul_f32 v[8:9], v[12:13], v[26:27] op_sel_hi:[0,1]
	v_bfe_u32 v13, v11, 16, 1
	v_bfe_u32 v14, v10, 16, 1
	buffer_store_dword v10, off, s[0:3], 0 offset:288
	buffer_store_dword v11, off, s[0:3], 0 offset:292
	;; [unrolled: 1-line block ×4, first 2 shown]
	v_add3_u32 v10, v10, v14, s19
	v_add3_u32 v11, v11, v13, s19
	v_perm_b32 v10, v11, v10, s20
	v_bfe_u32 v11, v9, 16, 1
	v_bfe_u32 v13, v8, 16, 1
	v_add3_u32 v8, v8, v13, s19
	v_add3_u32 v9, v9, v11, s19
	s_waitcnt vmcnt(14)
	v_pk_mul_f32 v[2:3], v[12:13], v[2:3] op_sel_hi:[0,1]
	v_perm_b32 v11, v9, v8, s20
	v_bfe_u32 v8, v3, 16, 1
	v_bfe_u32 v9, v2, 16, 1
	s_waitcnt vmcnt(12)
	v_pk_mul_f32 v[4:5], v[12:13], v[4:5] op_sel_hi:[0,1]
	buffer_store_dword v2, off, s[0:3], 0 offset:304
	buffer_store_dword v3, off, s[0:3], 0 offset:308
	;; [unrolled: 1-line block ×4, first 2 shown]
	v_add3_u32 v2, v2, v9, s19
	v_add3_u32 v3, v3, v8, s19
	v_perm_b32 v2, v3, v2, s20
	v_bfe_u32 v3, v5, 16, 1
	v_bfe_u32 v8, v4, 16, 1
	v_add3_u32 v4, v4, v8, s19
	v_add3_u32 v3, v5, v3, s19
	v_perm_b32 v3, v3, v4, s20
	ds_write2st64_b64 v43, v[10:11], v[2:3] offset0:2 offset1:3
	s_and_saveexec_b64 s[4:5], vcc
	s_cbranch_execz .LBB920_209
; %bb.208:
	v_add_co_u32_e32 v4, vcc, s25, v55
	v_addc_co_u32_e64 v5, s[6:7], 0, 0, vcc
	v_mov_b32_e32 v2, s18
	v_mad_u64_u32 v[4:5], s[6:7], s8, v2, v[4:5]
	v_mov_b32_e32 v3, 0
	s_mul_i32 s6, s9, s18
	v_mov_b32_e32 v2, s24
	v_add_u32_e32 v5, s6, v5
	v_mad_u64_u32 v[2:3], s[6:7], v4, s50, v[2:3]
	v_mov_b32_e32 v4, v3
	v_mad_u64_u32 v[4:5], s[6:7], v5, s50, v[4:5]
	v_mov_b32_e32 v3, v4
	v_lshlrev_b64 v[2:3], 2, v[2:3]
	v_mov_b32_e32 v5, s47
	v_add_co_u32_e32 v4, vcc, s46, v2
	v_addc_co_u32_e32 v5, vcc, v5, v3, vcc
	global_store_dword v[4:5], v20, off
	v_mov_b32_e32 v4, s45
	v_add_co_u32_e32 v2, vcc, s44, v2
	v_addc_co_u32_e32 v3, vcc, v4, v3, vcc
	global_store_dword v[2:3], v6, off
.LBB920_209:
	s_or_b64 exec, exec, s[4:5]
	v_lshl_or_b32 v30, v1, 9, v7
	s_waitcnt lgkmcnt(0)
	s_barrier
	s_load_dword s4, s[42:43], 0x0
	ds_read_b128 v[2:5], v30
	ds_read_b128 v[6:9], v30 offset:16
	ds_read_b128 v[10:13], v30 offset:2048
	;; [unrolled: 1-line block ×7, first 2 shown]
	v_mov_b32_e32 v35, 0x80
	v_mov_b32_e32 v45, 0x140
	s_mov_b64 s[10:11], -1
	s_waitcnt lgkmcnt(0)
	s_mov_b32 s5, s4
	s_mov_b32 s6, s4
	;; [unrolled: 1-line block ×3, first 2 shown]
	s_movk_i32 s9, 0x80
	s_movk_i32 s21, 0x7f
	s_mov_b32 s22, 0xffffff
	s_mov_b32 s23, 0x5040100
	v_mov_b32_e32 v47, 0
	v_bfrev_b32_e32 v48, 60
	s_branch .LBB920_213
.LBB920_210:                            ;   in Loop: Header=BB920_213 Depth=1
	s_or_b64 exec, exec, s[16:17]
.LBB920_211:                            ;   in Loop: Header=BB920_213 Depth=1
	s_or_b64 exec, exec, s[14:15]
.LBB920_212:                            ;   in Loop: Header=BB920_213 Depth=1
	s_or_b64 exec, exec, s[12:13]
	v_perm_b32 v61, v51, v49, s23
	v_perm_b32 v60, v44, v46, s23
	s_xor_b64 s[12:13], s[10:11], -1
	s_mov_b64 s[10:11], 0
	s_and_b64 vcc, exec, s[12:13]
	v_mfma_f32_16x16x16bf16_1k v[62:65], v[60:61], v[30:31], v[34:37]
	v_mov_b32_e32 v61, v41
	v_mov_b32_e32 v60, v57
	;; [unrolled: 1-line block ×3, first 2 shown]
	s_nop 3
	v_perm_b32 v37, v53, v52, s23
	v_perm_b32 v36, v42, v50, s23
	v_mov_b32_e32 v35, v39
	s_nop 0
	v_mfma_f32_16x16x16bf16_1k v[50:53], v[36:37], v[32:33], v[62:65]
	s_nop 7
	s_nop 2
	v_pk_mul_f32 v[50:51], v[50:51], s[4:5]
	v_pk_mul_f32 v[36:37], v[52:53], s[6:7]
	v_bfe_u32 v34, v51, 16, 1
	v_bfe_u32 v38, v50, 16, 1
	;; [unrolled: 1-line block ×4, first 2 shown]
	v_add3_u32 v38, v50, v38, s19
	v_add3_u32 v34, v51, v34, s19
	v_add3_u32 v36, v36, v42, s19
	v_add3_u32 v37, v37, v40, s19
	v_perm_b32 v34, v34, v38, s20
	v_perm_b32 v36, v37, v36, s20
	buffer_store_dword v34, v45, s[0:3], 0 offen
	buffer_store_dword v36, v45, s[0:3], 0 offen offset:4
	v_mov_b32_e32 v45, 0x148
	s_cbranch_vccnz .LBB920_595
.LBB920_213:                            ; =>This Inner Loop Header: Depth=1
	buffer_load_dword v36, v35, s[0:3], 0 offen
	buffer_load_dword v34, v35, s[0:3], 0 offen offset:4
	buffer_load_dword v40, v35, s[0:3], 0 offen offset:8
	;; [unrolled: 1-line block ×3, first 2 shown]
	v_mov_b32_e32 v35, 0
	s_waitcnt vmcnt(3)
	v_cmp_ne_u16_sdwa s[14:15], v36, v47 src0_sel:BYTE_0 src1_sel:DWORD
	s_and_saveexec_b64 s[12:13], s[14:15]
	s_cbranch_execz .LBB920_219
; %bb.214:                              ;   in Loop: Header=BB920_213 Depth=1
	v_cmp_ne_u16_sdwa s[16:17], v36, s9 src0_sel:BYTE_0 src1_sel:DWORD
	v_mov_b32_e32 v35, 0xffff8000
	s_and_saveexec_b64 s[14:15], s[16:17]
	s_cbranch_execz .LBB920_218
; %bb.215:                              ;   in Loop: Header=BB920_213 Depth=1
	v_and_b32_e32 v37, 0x7f, v36
	v_cmp_ne_u32_e32 vcc, s21, v37
	v_mov_b32_e32 v35, 0x7f80
	s_and_saveexec_b64 s[16:17], vcc
	s_cbranch_execz .LBB920_217
; %bb.216:                              ;   in Loop: Header=BB920_213 Depth=1
	v_and_b32_e32 v35, 7, v36
	v_ffbh_u32_e32 v44, v35
	v_min_u32_e32 v44, 32, v44
	v_subrev_u32_e32 v46, 28, v44
	v_lshlrev_b64 v[50:51], v46, v[36:37]
	v_lshrrev_b32_e32 v42, 3, v37
	v_sub_u32_e32 v44, 29, v44
	v_and_b32_e32 v46, 7, v50
	v_cmp_gt_u32_e32 vcc, 8, v37
	v_cndmask_b32_e32 v37, v42, v44, vcc
	v_cndmask_b32_e32 v35, v35, v46, vcc
	v_lshlrev_b32_e32 v42, 24, v36
	v_lshlrev_b32_e32 v35, 20, v35
	v_and_b32_e32 v42, 0x80000000, v42
	v_lshl_add_u32 v37, v37, 23, v48
	v_or3_b32 v35, v42, v37, v35
	v_lshrrev_b32_e32 v35, 16, v35
.LBB920_217:                            ;   in Loop: Header=BB920_213 Depth=1
	s_or_b64 exec, exec, s[16:17]
.LBB920_218:                            ;   in Loop: Header=BB920_213 Depth=1
	s_or_b64 exec, exec, s[14:15]
.LBB920_219:                            ;   in Loop: Header=BB920_213 Depth=1
	s_or_b64 exec, exec, s[12:13]
	v_lshrrev_b16_e32 v42, 8, v36
	v_cmp_ne_u16_e32 vcc, 0, v42
	v_mov_b32_e32 v46, 0
	v_mov_b32_e32 v37, 0
	s_and_saveexec_b64 s[12:13], vcc
	s_cbranch_execz .LBB920_225
; %bb.220:                              ;   in Loop: Header=BB920_213 Depth=1
	v_cmp_ne_u16_e32 vcc, s9, v42
	v_mov_b32_e32 v37, 0xffff8000
	s_and_saveexec_b64 s[14:15], vcc
	s_cbranch_execz .LBB920_224
; %bb.221:                              ;   in Loop: Header=BB920_213 Depth=1
	v_and_b32_e32 v44, 0x7f, v42
	v_cmp_ne_u32_e32 vcc, s21, v44
	v_mov_b32_e32 v37, 0x7f80
	s_and_saveexec_b64 s[16:17], vcc
	s_cbranch_execz .LBB920_223
; %bb.222:                              ;   in Loop: Header=BB920_213 Depth=1
	v_and_b32_e32 v37, 7, v42
	v_ffbh_u32_e32 v50, v37
	v_min_u32_e32 v52, 32, v50
	v_subrev_u32_e32 v50, 28, v52
	v_lshlrev_b64 v[50:51], v50, v[42:43]
	v_lshrrev_b32_e32 v49, 3, v44
	v_sub_u32_e32 v42, 29, v52
	v_and_b32_e32 v50, 7, v50
	v_cmp_gt_u32_e32 vcc, 8, v44
	v_cndmask_b32_e32 v42, v49, v42, vcc
	v_cndmask_b32_e32 v37, v37, v50, vcc
	v_lshlrev_b32_e32 v44, 16, v36
	v_lshlrev_b32_e32 v37, 20, v37
	v_and_b32_e32 v44, 0x80000000, v44
	v_lshl_add_u32 v42, v42, 23, v48
	v_or3_b32 v37, v44, v42, v37
	v_lshrrev_b32_e32 v37, 16, v37
.LBB920_223:                            ;   in Loop: Header=BB920_213 Depth=1
	s_or_b64 exec, exec, s[16:17]
.LBB920_224:                            ;   in Loop: Header=BB920_213 Depth=1
	s_or_b64 exec, exec, s[14:15]
.LBB920_225:                            ;   in Loop: Header=BB920_213 Depth=1
	s_or_b64 exec, exec, s[12:13]
	v_lshrrev_b32_e32 v42, 16, v36
	v_cmp_ne_u16_sdwa s[14:15], v42, v47 src0_sel:BYTE_0 src1_sel:DWORD
	s_and_saveexec_b64 s[12:13], s[14:15]
	s_cbranch_execz .LBB920_231
; %bb.226:                              ;   in Loop: Header=BB920_213 Depth=1
	v_cmp_ne_u16_sdwa s[16:17], v42, s9 src0_sel:BYTE_0 src1_sel:DWORD
	v_mov_b32_e32 v46, 0xffff8000
	s_and_saveexec_b64 s[14:15], s[16:17]
	s_cbranch_execz .LBB920_230
; %bb.227:                              ;   in Loop: Header=BB920_213 Depth=1
	v_bfe_u32 v44, v36, 16, 7
	v_cmp_ne_u32_e32 vcc, s21, v44
	v_mov_b32_e32 v46, 0x7f80
	s_and_saveexec_b64 s[16:17], vcc
	s_cbranch_execz .LBB920_229
; %bb.228:                              ;   in Loop: Header=BB920_213 Depth=1
	v_and_b32_e32 v46, 7, v42
	v_ffbh_u32_e32 v50, v46
	v_min_u32_e32 v52, 32, v50
	v_subrev_u32_e32 v50, 28, v52
	v_lshlrev_b64 v[50:51], v50, v[42:43]
	v_lshrrev_b32_e32 v49, 3, v44
	v_sub_u32_e32 v51, 29, v52
	v_and_b32_e32 v50, 7, v50
	v_cmp_gt_u32_e32 vcc, 8, v44
	v_cndmask_b32_e32 v44, v49, v51, vcc
	v_cndmask_b32_e32 v46, v46, v50, vcc
	v_lshlrev_b32_e32 v42, 24, v42
	v_lshlrev_b32_e32 v46, 20, v46
	v_and_b32_e32 v42, 0x80000000, v42
	v_lshl_add_u32 v44, v44, 23, v48
	v_or3_b32 v42, v42, v44, v46
	v_lshrrev_b32_e32 v46, 16, v42
.LBB920_229:                            ;   in Loop: Header=BB920_213 Depth=1
	s_or_b64 exec, exec, s[16:17]
.LBB920_230:                            ;   in Loop: Header=BB920_213 Depth=1
	s_or_b64 exec, exec, s[14:15]
.LBB920_231:                            ;   in Loop: Header=BB920_213 Depth=1
	s_or_b64 exec, exec, s[12:13]
	v_cmp_lt_u32_e32 vcc, s22, v36
	v_mov_b32_e32 v49, 0
	v_mov_b32_e32 v50, 0
	s_and_saveexec_b64 s[12:13], vcc
	s_cbranch_execz .LBB920_237
; %bb.232:                              ;   in Loop: Header=BB920_213 Depth=1
	v_lshrrev_b32_e32 v42, 24, v36
	v_cmp_ne_u32_e32 vcc, s9, v42
	v_mov_b32_e32 v50, 0xffff8000
	s_and_saveexec_b64 s[14:15], vcc
	s_cbranch_execz .LBB920_236
; %bb.233:                              ;   in Loop: Header=BB920_213 Depth=1
	v_bfe_u32 v36, v36, 24, 7
	v_cmp_ne_u32_e32 vcc, s21, v36
	v_mov_b32_e32 v50, 0x7f80
	s_and_saveexec_b64 s[16:17], vcc
	s_cbranch_execz .LBB920_235
; %bb.234:                              ;   in Loop: Header=BB920_213 Depth=1
	v_and_b32_e32 v44, 7, v42
	v_ffbh_u32_e32 v50, v44
	v_min_u32_e32 v53, 32, v50
	v_subrev_u32_e32 v50, 28, v53
	v_lshlrev_b64 v[50:51], v50, v[42:43]
	v_lshrrev_b32_e32 v52, 3, v36
	v_sub_u32_e32 v51, 29, v53
	v_and_b32_e32 v50, 7, v50
	v_cmp_gt_u32_e32 vcc, 8, v36
	v_cndmask_b32_e32 v36, v52, v51, vcc
	v_cndmask_b32_e32 v44, v44, v50, vcc
	v_lshlrev_b32_e32 v42, 24, v42
	v_lshlrev_b32_e32 v44, 20, v44
	v_and_b32_e32 v42, 0x80000000, v42
	v_lshl_add_u32 v36, v36, 23, v48
	v_or3_b32 v36, v42, v36, v44
	v_lshrrev_b32_e32 v50, 16, v36
.LBB920_235:                            ;   in Loop: Header=BB920_213 Depth=1
	s_or_b64 exec, exec, s[16:17]
.LBB920_236:                            ;   in Loop: Header=BB920_213 Depth=1
	s_or_b64 exec, exec, s[14:15]
.LBB920_237:                            ;   in Loop: Header=BB920_213 Depth=1
	s_or_b64 exec, exec, s[12:13]
	s_waitcnt vmcnt(2)
	v_cmp_ne_u16_sdwa s[14:15], v34, v47 src0_sel:BYTE_0 src1_sel:DWORD
	s_and_saveexec_b64 s[12:13], s[14:15]
	s_cbranch_execz .LBB920_243
; %bb.238:                              ;   in Loop: Header=BB920_213 Depth=1
	v_cmp_ne_u16_sdwa s[16:17], v34, s9 src0_sel:BYTE_0 src1_sel:DWORD
	v_mov_b32_e32 v49, 0xffff8000
	s_and_saveexec_b64 s[14:15], s[16:17]
	s_cbranch_execz .LBB920_242
; %bb.239:                              ;   in Loop: Header=BB920_213 Depth=1
	v_and_b32_e32 v36, 0x7f, v34
	v_cmp_ne_u32_e32 vcc, s21, v36
	v_mov_b32_e32 v49, 0x7f80
	s_and_saveexec_b64 s[16:17], vcc
	s_cbranch_execz .LBB920_241
; %bb.240:                              ;   in Loop: Header=BB920_213 Depth=1
	v_and_b32_e32 v42, 7, v34
	v_ffbh_u32_e32 v49, v42
	v_min_u32_e32 v49, 32, v49
	v_subrev_u32_e32 v51, 28, v49
	v_lshlrev_b64 v[52:53], v51, v[34:35]
	v_lshrrev_b32_e32 v44, 3, v36
	v_sub_u32_e32 v49, 29, v49
	v_and_b32_e32 v51, 7, v52
	v_cmp_gt_u32_e32 vcc, 8, v36
	v_cndmask_b32_e32 v36, v44, v49, vcc
	v_cndmask_b32_e32 v42, v42, v51, vcc
	v_lshlrev_b32_e32 v44, 24, v34
	v_lshlrev_b32_e32 v42, 20, v42
	v_and_b32_e32 v44, 0x80000000, v44
	v_lshl_add_u32 v36, v36, 23, v48
	v_or3_b32 v36, v44, v36, v42
	v_lshrrev_b32_e32 v49, 16, v36
.LBB920_241:                            ;   in Loop: Header=BB920_213 Depth=1
	s_or_b64 exec, exec, s[16:17]
.LBB920_242:                            ;   in Loop: Header=BB920_213 Depth=1
	s_or_b64 exec, exec, s[14:15]
.LBB920_243:                            ;   in Loop: Header=BB920_213 Depth=1
	s_or_b64 exec, exec, s[12:13]
	v_lshrrev_b16_e32 v36, 8, v34
	v_cmp_ne_u16_e32 vcc, 0, v36
	v_mov_b32_e32 v51, 0
	v_mov_b32_e32 v42, 0
	s_and_saveexec_b64 s[12:13], vcc
	s_cbranch_execz .LBB920_249
; %bb.244:                              ;   in Loop: Header=BB920_213 Depth=1
	v_cmp_ne_u16_e32 vcc, s9, v36
	v_mov_b32_e32 v42, 0xffff8000
	s_and_saveexec_b64 s[14:15], vcc
	s_cbranch_execz .LBB920_248
; %bb.245:                              ;   in Loop: Header=BB920_213 Depth=1
	v_and_b32_e32 v44, 0x7f, v36
	v_cmp_ne_u32_e32 vcc, s21, v44
	v_mov_b32_e32 v42, 0x7f80
	s_and_saveexec_b64 s[16:17], vcc
	s_cbranch_execz .LBB920_247
; %bb.246:                              ;   in Loop: Header=BB920_213 Depth=1
	v_and_b32_e32 v42, 7, v36
	v_ffbh_u32_e32 v52, v42
	v_min_u32_e32 v63, 32, v52
	v_subrev_u32_e32 v52, 28, v63
	v_lshlrev_b64 v[52:53], v52, v[36:37]
	v_lshrrev_b32_e32 v62, 3, v44
	v_sub_u32_e32 v36, 29, v63
	v_and_b32_e32 v52, 7, v52
	v_cmp_gt_u32_e32 vcc, 8, v44
	v_cndmask_b32_e32 v36, v62, v36, vcc
	v_cndmask_b32_e32 v42, v42, v52, vcc
	v_lshlrev_b32_e32 v44, 16, v34
	v_lshlrev_b32_e32 v42, 20, v42
	v_and_b32_e32 v44, 0x80000000, v44
	v_lshl_add_u32 v36, v36, 23, v48
	v_or3_b32 v36, v44, v36, v42
	v_lshrrev_b32_e32 v42, 16, v36
.LBB920_247:                            ;   in Loop: Header=BB920_213 Depth=1
	s_or_b64 exec, exec, s[16:17]
.LBB920_248:                            ;   in Loop: Header=BB920_213 Depth=1
	s_or_b64 exec, exec, s[14:15]
.LBB920_249:                            ;   in Loop: Header=BB920_213 Depth=1
	s_or_b64 exec, exec, s[12:13]
	v_lshrrev_b32_e32 v36, 16, v34
	v_cmp_ne_u16_sdwa s[14:15], v36, v47 src0_sel:BYTE_0 src1_sel:DWORD
	s_and_saveexec_b64 s[12:13], s[14:15]
	s_cbranch_execz .LBB920_255
; %bb.250:                              ;   in Loop: Header=BB920_213 Depth=1
	v_cmp_ne_u16_sdwa s[16:17], v36, s9 src0_sel:BYTE_0 src1_sel:DWORD
	v_mov_b32_e32 v51, 0xffff8000
	s_and_saveexec_b64 s[14:15], s[16:17]
	s_cbranch_execz .LBB920_254
; %bb.251:                              ;   in Loop: Header=BB920_213 Depth=1
	v_bfe_u32 v44, v34, 16, 7
	v_cmp_ne_u32_e32 vcc, s21, v44
	v_mov_b32_e32 v51, 0x7f80
	s_and_saveexec_b64 s[16:17], vcc
	s_cbranch_execz .LBB920_253
; %bb.252:                              ;   in Loop: Header=BB920_213 Depth=1
	v_and_b32_e32 v51, 7, v36
	v_ffbh_u32_e32 v52, v51
	v_min_u32_e32 v63, 32, v52
	v_subrev_u32_e32 v52, 28, v63
	v_lshlrev_b64 v[52:53], v52, v[36:37]
	v_lshrrev_b32_e32 v62, 3, v44
	v_sub_u32_e32 v53, 29, v63
	v_and_b32_e32 v52, 7, v52
	v_cmp_gt_u32_e32 vcc, 8, v44
	v_cndmask_b32_e32 v44, v62, v53, vcc
	v_cndmask_b32_e32 v51, v51, v52, vcc
	v_lshlrev_b32_e32 v36, 24, v36
	v_lshlrev_b32_e32 v51, 20, v51
	v_and_b32_e32 v36, 0x80000000, v36
	v_lshl_add_u32 v44, v44, 23, v48
	v_or3_b32 v36, v36, v44, v51
	v_lshrrev_b32_e32 v51, 16, v36
.LBB920_253:                            ;   in Loop: Header=BB920_213 Depth=1
	s_or_b64 exec, exec, s[16:17]
.LBB920_254:                            ;   in Loop: Header=BB920_213 Depth=1
	s_or_b64 exec, exec, s[14:15]
.LBB920_255:                            ;   in Loop: Header=BB920_213 Depth=1
	s_or_b64 exec, exec, s[12:13]
	v_cmp_lt_u32_e32 vcc, s22, v34
	v_mov_b32_e32 v44, 0
	v_mov_b32_e32 v52, 0
	s_and_saveexec_b64 s[12:13], vcc
	s_cbranch_execz .LBB920_261
; %bb.256:                              ;   in Loop: Header=BB920_213 Depth=1
	v_lshrrev_b32_e32 v36, 24, v34
	v_cmp_ne_u32_e32 vcc, s9, v36
	v_mov_b32_e32 v52, 0xffff8000
	s_and_saveexec_b64 s[14:15], vcc
	s_cbranch_execz .LBB920_260
; %bb.257:                              ;   in Loop: Header=BB920_213 Depth=1
	v_bfe_u32 v34, v34, 24, 7
	v_cmp_ne_u32_e32 vcc, s21, v34
	v_mov_b32_e32 v52, 0x7f80
	s_and_saveexec_b64 s[16:17], vcc
	s_cbranch_execz .LBB920_259
; %bb.258:                              ;   in Loop: Header=BB920_213 Depth=1
	v_and_b32_e32 v62, 7, v36
	v_ffbh_u32_e32 v52, v62
	v_min_u32_e32 v64, 32, v52
	v_subrev_u32_e32 v52, 28, v64
	v_lshlrev_b64 v[52:53], v52, v[36:37]
	v_lshrrev_b32_e32 v63, 3, v34
	v_sub_u32_e32 v53, 29, v64
	v_and_b32_e32 v52, 7, v52
	v_cmp_gt_u32_e32 vcc, 8, v34
	v_cndmask_b32_e32 v34, v63, v53, vcc
	v_cndmask_b32_e32 v52, v62, v52, vcc
	v_lshlrev_b32_e32 v36, 24, v36
	v_lshlrev_b32_e32 v52, 20, v52
	v_and_b32_e32 v36, 0x80000000, v36
	v_lshl_add_u32 v34, v34, 23, v48
	v_or3_b32 v34, v36, v34, v52
	v_lshrrev_b32_e32 v52, 16, v34
.LBB920_259:                            ;   in Loop: Header=BB920_213 Depth=1
	s_or_b64 exec, exec, s[16:17]
.LBB920_260:                            ;   in Loop: Header=BB920_213 Depth=1
	s_or_b64 exec, exec, s[14:15]
.LBB920_261:                            ;   in Loop: Header=BB920_213 Depth=1
	s_or_b64 exec, exec, s[12:13]
	v_perm_b32 v63, v50, v46, s23
	v_perm_b32 v62, v37, v35, s23
	;; [unrolled: 1-line block ×4, first 2 shown]
	s_waitcnt vmcnt(1)
	v_cmp_ne_u16_sdwa s[14:15], v40, v47 src0_sel:BYTE_0 src1_sel:DWORD
	v_mfma_f32_16x16x16bf16_1k v[34:37], v[62:63], v[2:3], 0
	v_mfma_f32_16x16x16bf16_1k v[34:37], v[50:51], v[4:5], v[34:37]
	s_and_saveexec_b64 s[12:13], s[14:15]
	s_cbranch_execz .LBB920_267
; %bb.262:                              ;   in Loop: Header=BB920_213 Depth=1
	v_cmp_ne_u16_sdwa s[16:17], v40, s9 src0_sel:BYTE_0 src1_sel:DWORD
	v_mov_b32_e32 v44, 0xffff8000
	s_and_saveexec_b64 s[14:15], s[16:17]
	s_cbranch_execz .LBB920_266
; %bb.263:                              ;   in Loop: Header=BB920_213 Depth=1
	v_and_b32_e32 v42, 0x7f, v40
	v_cmp_ne_u32_e32 vcc, s21, v42
	v_mov_b32_e32 v44, 0x7f80
	s_and_saveexec_b64 s[16:17], vcc
	s_cbranch_execz .LBB920_265
; %bb.264:                              ;   in Loop: Header=BB920_213 Depth=1
	v_and_b32_e32 v44, 7, v40
	v_ffbh_u32_e32 v49, v44
	v_min_u32_e32 v49, 32, v49
	v_subrev_u32_e32 v50, 28, v49
	v_lshlrev_b64 v[50:51], v50, v[40:41]
	v_lshrrev_b32_e32 v46, 3, v42
	v_sub_u32_e32 v49, 29, v49
	v_and_b32_e32 v50, 7, v50
	v_cmp_gt_u32_e32 vcc, 8, v42
	v_cndmask_b32_e32 v42, v46, v49, vcc
	v_cndmask_b32_e32 v44, v44, v50, vcc
	v_lshlrev_b32_e32 v46, 24, v40
	v_lshlrev_b32_e32 v44, 20, v44
	v_and_b32_e32 v46, 0x80000000, v46
	v_lshl_add_u32 v42, v42, 23, v48
	v_or3_b32 v42, v46, v42, v44
	v_lshrrev_b32_e32 v44, 16, v42
.LBB920_265:                            ;   in Loop: Header=BB920_213 Depth=1
	s_or_b64 exec, exec, s[16:17]
.LBB920_266:                            ;   in Loop: Header=BB920_213 Depth=1
	s_or_b64 exec, exec, s[14:15]
.LBB920_267:                            ;   in Loop: Header=BB920_213 Depth=1
	s_or_b64 exec, exec, s[12:13]
	v_lshrrev_b16_e32 v42, 8, v40
	v_cmp_ne_u16_e32 vcc, 0, v42
	v_mov_b32_e32 v50, 0
	v_mov_b32_e32 v46, 0
	s_and_saveexec_b64 s[12:13], vcc
	s_cbranch_execz .LBB920_273
; %bb.268:                              ;   in Loop: Header=BB920_213 Depth=1
	v_cmp_ne_u16_e32 vcc, s9, v42
	v_mov_b32_e32 v46, 0xffff8000
	s_and_saveexec_b64 s[14:15], vcc
	s_cbranch_execz .LBB920_272
; %bb.269:                              ;   in Loop: Header=BB920_213 Depth=1
	v_and_b32_e32 v49, 0x7f, v42
	v_cmp_ne_u32_e32 vcc, s21, v49
	v_mov_b32_e32 v46, 0x7f80
	s_and_saveexec_b64 s[16:17], vcc
	s_cbranch_execz .LBB920_271
; %bb.270:                              ;   in Loop: Header=BB920_213 Depth=1
	v_and_b32_e32 v46, 7, v42
	v_ffbh_u32_e32 v52, v46
	v_min_u32_e32 v62, 32, v52
	v_subrev_u32_e32 v52, 28, v62
	v_lshlrev_b64 v[52:53], v52, v[42:43]
	v_lshrrev_b32_e32 v51, 3, v49
	v_sub_u32_e32 v42, 29, v62
	v_and_b32_e32 v52, 7, v52
	v_cmp_gt_u32_e32 vcc, 8, v49
	v_cndmask_b32_e32 v42, v51, v42, vcc
	v_cndmask_b32_e32 v46, v46, v52, vcc
	v_lshlrev_b32_e32 v49, 16, v40
	v_lshlrev_b32_e32 v46, 20, v46
	v_and_b32_e32 v49, 0x80000000, v49
	v_lshl_add_u32 v42, v42, 23, v48
	v_or3_b32 v42, v49, v42, v46
	v_lshrrev_b32_e32 v46, 16, v42
.LBB920_271:                            ;   in Loop: Header=BB920_213 Depth=1
	s_or_b64 exec, exec, s[16:17]
.LBB920_272:                            ;   in Loop: Header=BB920_213 Depth=1
	s_or_b64 exec, exec, s[14:15]
.LBB920_273:                            ;   in Loop: Header=BB920_213 Depth=1
	s_or_b64 exec, exec, s[12:13]
	v_lshrrev_b32_e32 v42, 16, v40
	v_cmp_ne_u16_sdwa s[14:15], v42, v47 src0_sel:BYTE_0 src1_sel:DWORD
	s_and_saveexec_b64 s[12:13], s[14:15]
	s_cbranch_execz .LBB920_279
; %bb.274:                              ;   in Loop: Header=BB920_213 Depth=1
	v_cmp_ne_u16_sdwa s[16:17], v42, s9 src0_sel:BYTE_0 src1_sel:DWORD
	v_mov_b32_e32 v50, 0xffff8000
	s_and_saveexec_b64 s[14:15], s[16:17]
	s_cbranch_execz .LBB920_278
; %bb.275:                              ;   in Loop: Header=BB920_213 Depth=1
	v_bfe_u32 v49, v40, 16, 7
	v_cmp_ne_u32_e32 vcc, s21, v49
	v_mov_b32_e32 v50, 0x7f80
	s_and_saveexec_b64 s[16:17], vcc
	s_cbranch_execz .LBB920_277
; %bb.276:                              ;   in Loop: Header=BB920_213 Depth=1
	v_and_b32_e32 v52, 7, v42
	v_ffbh_u32_e32 v50, v52
	v_min_u32_e32 v62, 32, v50
	v_subrev_u32_e32 v50, 28, v62
	v_lshlrev_b64 v[50:51], v50, v[42:43]
	v_lshrrev_b32_e32 v53, 3, v49
	v_sub_u32_e32 v51, 29, v62
	v_and_b32_e32 v50, 7, v50
	v_cmp_gt_u32_e32 vcc, 8, v49
	v_cndmask_b32_e32 v49, v53, v51, vcc
	v_cndmask_b32_e32 v50, v52, v50, vcc
	v_lshlrev_b32_e32 v42, 24, v42
	v_lshlrev_b32_e32 v50, 20, v50
	v_and_b32_e32 v42, 0x80000000, v42
	v_lshl_add_u32 v49, v49, 23, v48
	v_or3_b32 v42, v42, v49, v50
	v_lshrrev_b32_e32 v50, 16, v42
.LBB920_277:                            ;   in Loop: Header=BB920_213 Depth=1
	s_or_b64 exec, exec, s[16:17]
.LBB920_278:                            ;   in Loop: Header=BB920_213 Depth=1
	s_or_b64 exec, exec, s[14:15]
.LBB920_279:                            ;   in Loop: Header=BB920_213 Depth=1
	s_or_b64 exec, exec, s[12:13]
	v_cmp_lt_u32_e32 vcc, s22, v40
	v_mov_b32_e32 v51, 0
	v_mov_b32_e32 v52, 0
	s_and_saveexec_b64 s[12:13], vcc
	s_cbranch_execz .LBB920_285
; %bb.280:                              ;   in Loop: Header=BB920_213 Depth=1
	v_lshrrev_b32_e32 v42, 24, v40
	v_cmp_ne_u32_e32 vcc, s9, v42
	v_mov_b32_e32 v52, 0xffff8000
	s_and_saveexec_b64 s[14:15], vcc
	s_cbranch_execz .LBB920_284
; %bb.281:                              ;   in Loop: Header=BB920_213 Depth=1
	v_bfe_u32 v40, v40, 24, 7
	v_cmp_ne_u32_e32 vcc, s21, v40
	v_mov_b32_e32 v52, 0x7f80
	s_and_saveexec_b64 s[16:17], vcc
	s_cbranch_execz .LBB920_283
; %bb.282:                              ;   in Loop: Header=BB920_213 Depth=1
	v_and_b32_e32 v49, 7, v42
	v_ffbh_u32_e32 v52, v49
	v_min_u32_e32 v63, 32, v52
	v_subrev_u32_e32 v52, 28, v63
	v_lshlrev_b64 v[52:53], v52, v[42:43]
	v_lshrrev_b32_e32 v62, 3, v40
	v_sub_u32_e32 v53, 29, v63
	v_and_b32_e32 v52, 7, v52
	v_cmp_gt_u32_e32 vcc, 8, v40
	v_cndmask_b32_e32 v40, v62, v53, vcc
	v_cndmask_b32_e32 v49, v49, v52, vcc
	v_lshlrev_b32_e32 v42, 24, v42
	v_lshlrev_b32_e32 v49, 20, v49
	v_and_b32_e32 v42, 0x80000000, v42
	v_lshl_add_u32 v40, v40, 23, v48
	v_or3_b32 v40, v42, v40, v49
	v_lshrrev_b32_e32 v52, 16, v40
.LBB920_283:                            ;   in Loop: Header=BB920_213 Depth=1
	s_or_b64 exec, exec, s[16:17]
.LBB920_284:                            ;   in Loop: Header=BB920_213 Depth=1
	s_or_b64 exec, exec, s[14:15]
.LBB920_285:                            ;   in Loop: Header=BB920_213 Depth=1
	s_or_b64 exec, exec, s[12:13]
	s_waitcnt vmcnt(0)
	v_cmp_ne_u16_sdwa s[14:15], v38, v47 src0_sel:BYTE_0 src1_sel:DWORD
	s_and_saveexec_b64 s[12:13], s[14:15]
	s_cbranch_execz .LBB920_291
; %bb.286:                              ;   in Loop: Header=BB920_213 Depth=1
	v_cmp_ne_u16_sdwa s[16:17], v38, s9 src0_sel:BYTE_0 src1_sel:DWORD
	v_mov_b32_e32 v51, 0xffff8000
	s_and_saveexec_b64 s[14:15], s[16:17]
	s_cbranch_execz .LBB920_290
; %bb.287:                              ;   in Loop: Header=BB920_213 Depth=1
	v_and_b32_e32 v40, 0x7f, v38
	v_cmp_ne_u32_e32 vcc, s21, v40
	v_mov_b32_e32 v51, 0x7f80
	s_and_saveexec_b64 s[16:17], vcc
	s_cbranch_execz .LBB920_289
; %bb.288:                              ;   in Loop: Header=BB920_213 Depth=1
	v_and_b32_e32 v42, 7, v38
	v_ffbh_u32_e32 v51, v42
	v_min_u32_e32 v51, 32, v51
	v_subrev_u32_e32 v53, 28, v51
	v_lshlrev_b64 v[62:63], v53, v[38:39]
	v_lshrrev_b32_e32 v49, 3, v40
	v_sub_u32_e32 v51, 29, v51
	v_and_b32_e32 v53, 7, v62
	v_cmp_gt_u32_e32 vcc, 8, v40
	v_cndmask_b32_e32 v40, v49, v51, vcc
	v_cndmask_b32_e32 v42, v42, v53, vcc
	v_lshlrev_b32_e32 v49, 24, v38
	v_lshlrev_b32_e32 v42, 20, v42
	v_and_b32_e32 v49, 0x80000000, v49
	v_lshl_add_u32 v40, v40, 23, v48
	v_or3_b32 v40, v49, v40, v42
	v_lshrrev_b32_e32 v51, 16, v40
.LBB920_289:                            ;   in Loop: Header=BB920_213 Depth=1
	s_or_b64 exec, exec, s[16:17]
.LBB920_290:                            ;   in Loop: Header=BB920_213 Depth=1
	s_or_b64 exec, exec, s[14:15]
.LBB920_291:                            ;   in Loop: Header=BB920_213 Depth=1
	s_or_b64 exec, exec, s[12:13]
	v_lshrrev_b16_e32 v40, 8, v38
	v_cmp_ne_u16_e32 vcc, 0, v40
	v_mov_b32_e32 v62, 0
	v_mov_b32_e32 v53, 0
	s_and_saveexec_b64 s[12:13], vcc
	s_cbranch_execz .LBB920_297
; %bb.292:                              ;   in Loop: Header=BB920_213 Depth=1
	v_cmp_ne_u16_e32 vcc, s9, v40
	v_mov_b32_e32 v53, 0xffff8000
	s_and_saveexec_b64 s[14:15], vcc
	s_cbranch_execz .LBB920_296
; %bb.293:                              ;   in Loop: Header=BB920_213 Depth=1
	v_and_b32_e32 v42, 0x7f, v40
	v_cmp_ne_u32_e32 vcc, s21, v42
	v_mov_b32_e32 v53, 0x7f80
	s_and_saveexec_b64 s[16:17], vcc
	s_cbranch_execz .LBB920_295
; %bb.294:                              ;   in Loop: Header=BB920_213 Depth=1
	v_and_b32_e32 v49, 7, v40
	v_ffbh_u32_e32 v63, v49
	v_min_u32_e32 v63, 32, v63
	v_subrev_u32_e32 v64, 28, v63
	v_lshlrev_b64 v[64:65], v64, v[40:41]
	v_lshrrev_b32_e32 v53, 3, v42
	v_sub_u32_e32 v40, 29, v63
	v_and_b32_e32 v63, 7, v64
	v_cmp_gt_u32_e32 vcc, 8, v42
	v_cndmask_b32_e32 v40, v53, v40, vcc
	v_cndmask_b32_e32 v42, v49, v63, vcc
	v_lshlrev_b32_e32 v49, 16, v38
	v_lshlrev_b32_e32 v42, 20, v42
	v_and_b32_e32 v49, 0x80000000, v49
	v_lshl_add_u32 v40, v40, 23, v48
	v_or3_b32 v40, v49, v40, v42
	v_lshrrev_b32_e32 v53, 16, v40
.LBB920_295:                            ;   in Loop: Header=BB920_213 Depth=1
	s_or_b64 exec, exec, s[16:17]
.LBB920_296:                            ;   in Loop: Header=BB920_213 Depth=1
	s_or_b64 exec, exec, s[14:15]
.LBB920_297:                            ;   in Loop: Header=BB920_213 Depth=1
	s_or_b64 exec, exec, s[12:13]
	v_lshrrev_b32_e32 v40, 16, v38
	v_cmp_ne_u16_sdwa s[14:15], v40, v47 src0_sel:BYTE_0 src1_sel:DWORD
	s_and_saveexec_b64 s[12:13], s[14:15]
	s_cbranch_execz .LBB920_303
; %bb.298:                              ;   in Loop: Header=BB920_213 Depth=1
	v_cmp_ne_u16_sdwa s[16:17], v40, s9 src0_sel:BYTE_0 src1_sel:DWORD
	v_mov_b32_e32 v62, 0xffff8000
	s_and_saveexec_b64 s[14:15], s[16:17]
	s_cbranch_execz .LBB920_302
; %bb.299:                              ;   in Loop: Header=BB920_213 Depth=1
	v_bfe_u32 v42, v38, 16, 7
	v_cmp_ne_u32_e32 vcc, s21, v42
	v_mov_b32_e32 v62, 0x7f80
	s_and_saveexec_b64 s[16:17], vcc
	s_cbranch_execz .LBB920_301
; %bb.300:                              ;   in Loop: Header=BB920_213 Depth=1
	v_and_b32_e32 v49, 7, v40
	v_ffbh_u32_e32 v62, v49
	v_min_u32_e32 v65, 32, v62
	v_subrev_u32_e32 v62, 28, v65
	v_lshlrev_b64 v[62:63], v62, v[40:41]
	v_lshrrev_b32_e32 v64, 3, v42
	v_sub_u32_e32 v63, 29, v65
	v_and_b32_e32 v62, 7, v62
	v_cmp_gt_u32_e32 vcc, 8, v42
	v_cndmask_b32_e32 v42, v64, v63, vcc
	v_cndmask_b32_e32 v49, v49, v62, vcc
	v_lshlrev_b32_e32 v40, 24, v40
	v_lshlrev_b32_e32 v49, 20, v49
	v_and_b32_e32 v40, 0x80000000, v40
	v_lshl_add_u32 v42, v42, 23, v48
	v_or3_b32 v40, v40, v42, v49
	v_lshrrev_b32_e32 v62, 16, v40
.LBB920_301:                            ;   in Loop: Header=BB920_213 Depth=1
	s_or_b64 exec, exec, s[16:17]
.LBB920_302:                            ;   in Loop: Header=BB920_213 Depth=1
	s_or_b64 exec, exec, s[14:15]
.LBB920_303:                            ;   in Loop: Header=BB920_213 Depth=1
	s_or_b64 exec, exec, s[12:13]
	v_cmp_lt_u32_e32 vcc, s22, v38
	v_mov_b32_e32 v49, 0
	v_mov_b32_e32 v63, 0
	s_and_saveexec_b64 s[12:13], vcc
	s_cbranch_execz .LBB920_309
; %bb.304:                              ;   in Loop: Header=BB920_213 Depth=1
	v_lshrrev_b32_e32 v40, 24, v38
	v_cmp_ne_u32_e32 vcc, s9, v40
	v_mov_b32_e32 v63, 0xffff8000
	s_and_saveexec_b64 s[14:15], vcc
	s_cbranch_execz .LBB920_308
; %bb.305:                              ;   in Loop: Header=BB920_213 Depth=1
	v_bfe_u32 v38, v38, 24, 7
	v_cmp_ne_u32_e32 vcc, s21, v38
	v_mov_b32_e32 v63, 0x7f80
	s_and_saveexec_b64 s[16:17], vcc
	s_cbranch_execz .LBB920_307
; %bb.306:                              ;   in Loop: Header=BB920_213 Depth=1
	v_and_b32_e32 v42, 7, v40
	v_ffbh_u32_e32 v64, v42
	v_min_u32_e32 v66, 32, v64
	v_subrev_u32_e32 v64, 28, v66
	v_lshlrev_b64 v[64:65], v64, v[40:41]
	v_lshrrev_b32_e32 v63, 3, v38
	v_sub_u32_e32 v65, 29, v66
	v_and_b32_e32 v64, 7, v64
	v_cmp_gt_u32_e32 vcc, 8, v38
	v_cndmask_b32_e32 v38, v63, v65, vcc
	v_cndmask_b32_e32 v42, v42, v64, vcc
	v_lshlrev_b32_e32 v40, 24, v40
	v_lshlrev_b32_e32 v42, 20, v42
	v_and_b32_e32 v40, 0x80000000, v40
	v_lshl_add_u32 v38, v38, 23, v48
	v_or3_b32 v38, v40, v38, v42
	v_lshrrev_b32_e32 v63, 16, v38
.LBB920_307:                            ;   in Loop: Header=BB920_213 Depth=1
	s_or_b64 exec, exec, s[16:17]
.LBB920_308:                            ;   in Loop: Header=BB920_213 Depth=1
	s_or_b64 exec, exec, s[14:15]
.LBB920_309:                            ;   in Loop: Header=BB920_213 Depth=1
	s_or_b64 exec, exec, s[12:13]
	v_perm_b32 v64, v46, v44, s23
	buffer_load_dword v44, v61, s[0:3], 0 offen
	buffer_load_dword v42, v61, s[0:3], 0 offen offset:4
	buffer_load_dword v40, v61, s[0:3], 0 offen offset:8
	;; [unrolled: 1-line block ×3, first 2 shown]
	v_perm_b32 v65, v52, v50, s23
	v_perm_b32 v63, v63, v62, s23
	;; [unrolled: 1-line block ×3, first 2 shown]
	v_mfma_f32_16x16x16bf16_1k v[34:37], v[64:65], v[6:7], v[34:37]
	s_waitcnt vmcnt(3)
	v_cmp_ne_u16_sdwa s[14:15], v44, v47 src0_sel:BYTE_0 src1_sel:DWORD
	v_mfma_f32_16x16x16bf16_1k v[34:37], v[62:63], v[8:9], v[34:37]
	s_and_saveexec_b64 s[12:13], s[14:15]
	s_cbranch_execz .LBB920_315
; %bb.310:                              ;   in Loop: Header=BB920_213 Depth=1
	v_cmp_ne_u16_sdwa s[16:17], v44, s9 src0_sel:BYTE_0 src1_sel:DWORD
	v_mov_b32_e32 v49, 0xffff8000
	s_and_saveexec_b64 s[14:15], s[16:17]
	s_cbranch_execz .LBB920_314
; %bb.311:                              ;   in Loop: Header=BB920_213 Depth=1
	v_and_b32_e32 v46, 0x7f, v44
	v_cmp_ne_u32_e32 vcc, s21, v46
	v_mov_b32_e32 v49, 0x7f80
	s_and_saveexec_b64 s[16:17], vcc
	s_cbranch_execz .LBB920_313
; %bb.312:                              ;   in Loop: Header=BB920_213 Depth=1
	v_and_b32_e32 v49, 7, v44
	v_ffbh_u32_e32 v50, v49
	v_min_u32_e32 v53, 32, v50
	v_subrev_u32_e32 v50, 28, v53
	v_lshlrev_b64 v[50:51], v50, v[44:45]
	v_lshrrev_b32_e32 v52, 3, v46
	v_sub_u32_e32 v51, 29, v53
	v_and_b32_e32 v50, 7, v50
	v_cmp_gt_u32_e32 vcc, 8, v46
	v_cndmask_b32_e32 v46, v52, v51, vcc
	v_cndmask_b32_e32 v49, v49, v50, vcc
	v_lshlrev_b32_e32 v50, 24, v44
	v_lshlrev_b32_e32 v49, 20, v49
	v_and_b32_e32 v50, 0x80000000, v50
	v_lshl_add_u32 v46, v46, 23, v48
	v_or3_b32 v46, v50, v46, v49
	v_lshrrev_b32_e32 v49, 16, v46
.LBB920_313:                            ;   in Loop: Header=BB920_213 Depth=1
	s_or_b64 exec, exec, s[16:17]
.LBB920_314:                            ;   in Loop: Header=BB920_213 Depth=1
	s_or_b64 exec, exec, s[14:15]
.LBB920_315:                            ;   in Loop: Header=BB920_213 Depth=1
	s_or_b64 exec, exec, s[12:13]
	v_lshrrev_b16_e32 v46, 8, v44
	v_cmp_ne_u16_e32 vcc, 0, v46
	v_mov_b32_e32 v51, 0
	v_mov_b32_e32 v50, 0
	s_and_saveexec_b64 s[12:13], vcc
	s_cbranch_execz .LBB920_321
; %bb.316:                              ;   in Loop: Header=BB920_213 Depth=1
	v_cmp_ne_u16_e32 vcc, s9, v46
	v_mov_b32_e32 v50, 0xffff8000
	s_and_saveexec_b64 s[14:15], vcc
	s_cbranch_execz .LBB920_320
; %bb.317:                              ;   in Loop: Header=BB920_213 Depth=1
	v_and_b32_e32 v52, 0x7f, v46
	v_cmp_ne_u32_e32 vcc, s21, v52
	v_mov_b32_e32 v50, 0x7f80
	s_and_saveexec_b64 s[16:17], vcc
	s_cbranch_execz .LBB920_319
; %bb.318:                              ;   in Loop: Header=BB920_213 Depth=1
	v_and_b32_e32 v50, 7, v46
	v_ffbh_u32_e32 v61, v50
	v_min_u32_e32 v61, 32, v61
	v_subrev_u32_e32 v62, 28, v61
	v_lshlrev_b64 v[62:63], v62, v[46:47]
	v_lshrrev_b32_e32 v53, 3, v52
	v_sub_u32_e32 v46, 29, v61
	v_and_b32_e32 v61, 7, v62
	v_cmp_gt_u32_e32 vcc, 8, v52
	v_cndmask_b32_e32 v46, v53, v46, vcc
	v_cndmask_b32_e32 v50, v50, v61, vcc
	v_lshlrev_b32_e32 v52, 16, v44
	v_lshlrev_b32_e32 v50, 20, v50
	v_and_b32_e32 v52, 0x80000000, v52
	v_lshl_add_u32 v46, v46, 23, v48
	v_or3_b32 v46, v52, v46, v50
	v_lshrrev_b32_e32 v50, 16, v46
.LBB920_319:                            ;   in Loop: Header=BB920_213 Depth=1
	s_or_b64 exec, exec, s[16:17]
.LBB920_320:                            ;   in Loop: Header=BB920_213 Depth=1
	s_or_b64 exec, exec, s[14:15]
.LBB920_321:                            ;   in Loop: Header=BB920_213 Depth=1
	s_or_b64 exec, exec, s[12:13]
	v_lshrrev_b32_e32 v46, 16, v44
	v_cmp_ne_u16_sdwa s[14:15], v46, v47 src0_sel:BYTE_0 src1_sel:DWORD
	s_and_saveexec_b64 s[12:13], s[14:15]
	s_cbranch_execz .LBB920_327
; %bb.322:                              ;   in Loop: Header=BB920_213 Depth=1
	v_cmp_ne_u16_sdwa s[16:17], v46, s9 src0_sel:BYTE_0 src1_sel:DWORD
	v_mov_b32_e32 v51, 0xffff8000
	s_and_saveexec_b64 s[14:15], s[16:17]
	s_cbranch_execz .LBB920_326
; %bb.323:                              ;   in Loop: Header=BB920_213 Depth=1
	v_bfe_u32 v52, v44, 16, 7
	v_cmp_ne_u32_e32 vcc, s21, v52
	v_mov_b32_e32 v51, 0x7f80
	s_and_saveexec_b64 s[16:17], vcc
	s_cbranch_execz .LBB920_325
; %bb.324:                              ;   in Loop: Header=BB920_213 Depth=1
	v_and_b32_e32 v51, 7, v46
	v_ffbh_u32_e32 v61, v51
	v_min_u32_e32 v61, 32, v61
	v_subrev_u32_e32 v62, 28, v61
	v_lshlrev_b64 v[62:63], v62, v[46:47]
	v_lshrrev_b32_e32 v53, 3, v52
	v_sub_u32_e32 v61, 29, v61
	v_and_b32_e32 v62, 7, v62
	v_cmp_gt_u32_e32 vcc, 8, v52
	v_cndmask_b32_e32 v52, v53, v61, vcc
	v_cndmask_b32_e32 v51, v51, v62, vcc
	v_lshlrev_b32_e32 v46, 24, v46
	v_lshlrev_b32_e32 v51, 20, v51
	v_and_b32_e32 v46, 0x80000000, v46
	v_lshl_add_u32 v52, v52, 23, v48
	v_or3_b32 v46, v46, v52, v51
	v_lshrrev_b32_e32 v51, 16, v46
.LBB920_325:                            ;   in Loop: Header=BB920_213 Depth=1
	s_or_b64 exec, exec, s[16:17]
.LBB920_326:                            ;   in Loop: Header=BB920_213 Depth=1
	s_or_b64 exec, exec, s[14:15]
.LBB920_327:                            ;   in Loop: Header=BB920_213 Depth=1
	s_or_b64 exec, exec, s[12:13]
	v_cmp_lt_u32_e32 vcc, s22, v44
	v_mov_b32_e32 v52, 0
	v_mov_b32_e32 v53, 0
	s_and_saveexec_b64 s[12:13], vcc
	s_cbranch_execz .LBB920_333
; %bb.328:                              ;   in Loop: Header=BB920_213 Depth=1
	v_lshrrev_b32_e32 v46, 24, v44
	v_cmp_ne_u32_e32 vcc, s9, v46
	v_mov_b32_e32 v53, 0xffff8000
	s_and_saveexec_b64 s[14:15], vcc
	s_cbranch_execz .LBB920_332
; %bb.329:                              ;   in Loop: Header=BB920_213 Depth=1
	v_bfe_u32 v44, v44, 24, 7
	v_cmp_ne_u32_e32 vcc, s21, v44
	v_mov_b32_e32 v53, 0x7f80
	s_and_saveexec_b64 s[16:17], vcc
	s_cbranch_execz .LBB920_331
; %bb.330:                              ;   in Loop: Header=BB920_213 Depth=1
	v_and_b32_e32 v53, 7, v46
	v_ffbh_u32_e32 v62, v53
	v_min_u32_e32 v64, 32, v62
	v_subrev_u32_e32 v62, 28, v64
	v_lshlrev_b64 v[62:63], v62, v[46:47]
	v_lshrrev_b32_e32 v61, 3, v44
	v_sub_u32_e32 v63, 29, v64
	v_and_b32_e32 v62, 7, v62
	v_cmp_gt_u32_e32 vcc, 8, v44
	v_cndmask_b32_e32 v44, v61, v63, vcc
	v_cndmask_b32_e32 v53, v53, v62, vcc
	v_lshlrev_b32_e32 v46, 24, v46
	v_lshlrev_b32_e32 v53, 20, v53
	v_and_b32_e32 v46, 0x80000000, v46
	v_lshl_add_u32 v44, v44, 23, v48
	v_or3_b32 v44, v46, v44, v53
	v_lshrrev_b32_e32 v53, 16, v44
.LBB920_331:                            ;   in Loop: Header=BB920_213 Depth=1
	s_or_b64 exec, exec, s[16:17]
.LBB920_332:                            ;   in Loop: Header=BB920_213 Depth=1
	s_or_b64 exec, exec, s[14:15]
.LBB920_333:                            ;   in Loop: Header=BB920_213 Depth=1
	s_or_b64 exec, exec, s[12:13]
	s_waitcnt vmcnt(2)
	v_cmp_ne_u16_sdwa s[14:15], v42, v47 src0_sel:BYTE_0 src1_sel:DWORD
	s_and_saveexec_b64 s[12:13], s[14:15]
	s_cbranch_execz .LBB920_339
; %bb.334:                              ;   in Loop: Header=BB920_213 Depth=1
	v_cmp_ne_u16_sdwa s[16:17], v42, s9 src0_sel:BYTE_0 src1_sel:DWORD
	v_mov_b32_e32 v52, 0xffff8000
	s_and_saveexec_b64 s[14:15], s[16:17]
	s_cbranch_execz .LBB920_338
; %bb.335:                              ;   in Loop: Header=BB920_213 Depth=1
	v_and_b32_e32 v44, 0x7f, v42
	v_cmp_ne_u32_e32 vcc, s21, v44
	v_mov_b32_e32 v52, 0x7f80
	s_and_saveexec_b64 s[16:17], vcc
	s_cbranch_execz .LBB920_337
; %bb.336:                              ;   in Loop: Header=BB920_213 Depth=1
	v_and_b32_e32 v46, 7, v42
	v_ffbh_u32_e32 v61, v46
	v_min_u32_e32 v61, 32, v61
	v_subrev_u32_e32 v62, 28, v61
	v_lshlrev_b64 v[62:63], v62, v[42:43]
	v_lshrrev_b32_e32 v52, 3, v44
	v_sub_u32_e32 v61, 29, v61
	v_and_b32_e32 v62, 7, v62
	v_cmp_gt_u32_e32 vcc, 8, v44
	v_cndmask_b32_e32 v44, v52, v61, vcc
	v_cndmask_b32_e32 v46, v46, v62, vcc
	v_lshlrev_b32_e32 v52, 24, v42
	v_lshlrev_b32_e32 v46, 20, v46
	v_and_b32_e32 v52, 0x80000000, v52
	v_lshl_add_u32 v44, v44, 23, v48
	v_or3_b32 v44, v52, v44, v46
	v_lshrrev_b32_e32 v52, 16, v44
.LBB920_337:                            ;   in Loop: Header=BB920_213 Depth=1
	s_or_b64 exec, exec, s[16:17]
.LBB920_338:                            ;   in Loop: Header=BB920_213 Depth=1
	s_or_b64 exec, exec, s[14:15]
.LBB920_339:                            ;   in Loop: Header=BB920_213 Depth=1
	s_or_b64 exec, exec, s[12:13]
	v_lshrrev_b16_e32 v44, 8, v42
	v_cmp_ne_u16_e32 vcc, 0, v44
	v_mov_b32_e32 v62, 0
	v_mov_b32_e32 v61, 0
	s_and_saveexec_b64 s[12:13], vcc
	s_cbranch_execz .LBB920_345
; %bb.340:                              ;   in Loop: Header=BB920_213 Depth=1
	v_cmp_ne_u16_e32 vcc, s9, v44
	v_mov_b32_e32 v61, 0xffff8000
	s_and_saveexec_b64 s[14:15], vcc
	s_cbranch_execz .LBB920_344
; %bb.341:                              ;   in Loop: Header=BB920_213 Depth=1
	v_and_b32_e32 v46, 0x7f, v44
	v_cmp_ne_u32_e32 vcc, s21, v46
	v_mov_b32_e32 v61, 0x7f80
	s_and_saveexec_b64 s[16:17], vcc
	s_cbranch_execz .LBB920_343
; %bb.342:                              ;   in Loop: Header=BB920_213 Depth=1
	v_and_b32_e32 v61, 7, v44
	v_ffbh_u32_e32 v64, v61
	v_min_u32_e32 v66, 32, v64
	v_subrev_u32_e32 v64, 28, v66
	v_lshlrev_b64 v[64:65], v64, v[44:45]
	v_lshrrev_b32_e32 v63, 3, v46
	v_sub_u32_e32 v44, 29, v66
	v_and_b32_e32 v64, 7, v64
	v_cmp_gt_u32_e32 vcc, 8, v46
	v_cndmask_b32_e32 v44, v63, v44, vcc
	v_cndmask_b32_e32 v46, v61, v64, vcc
	v_lshlrev_b32_e32 v61, 16, v42
	v_lshlrev_b32_e32 v46, 20, v46
	v_and_b32_e32 v61, 0x80000000, v61
	v_lshl_add_u32 v44, v44, 23, v48
	v_or3_b32 v44, v61, v44, v46
	v_lshrrev_b32_e32 v61, 16, v44
.LBB920_343:                            ;   in Loop: Header=BB920_213 Depth=1
	s_or_b64 exec, exec, s[16:17]
.LBB920_344:                            ;   in Loop: Header=BB920_213 Depth=1
	s_or_b64 exec, exec, s[14:15]
.LBB920_345:                            ;   in Loop: Header=BB920_213 Depth=1
	s_or_b64 exec, exec, s[12:13]
	v_lshrrev_b32_e32 v44, 16, v42
	v_cmp_ne_u16_sdwa s[14:15], v44, v47 src0_sel:BYTE_0 src1_sel:DWORD
	s_and_saveexec_b64 s[12:13], s[14:15]
	s_cbranch_execz .LBB920_351
; %bb.346:                              ;   in Loop: Header=BB920_213 Depth=1
	v_cmp_ne_u16_sdwa s[16:17], v44, s9 src0_sel:BYTE_0 src1_sel:DWORD
	v_mov_b32_e32 v62, 0xffff8000
	s_and_saveexec_b64 s[14:15], s[16:17]
	s_cbranch_execz .LBB920_350
; %bb.347:                              ;   in Loop: Header=BB920_213 Depth=1
	v_bfe_u32 v46, v42, 16, 7
	v_cmp_ne_u32_e32 vcc, s21, v46
	v_mov_b32_e32 v62, 0x7f80
	s_and_saveexec_b64 s[16:17], vcc
	s_cbranch_execz .LBB920_349
; %bb.348:                              ;   in Loop: Header=BB920_213 Depth=1
	v_and_b32_e32 v64, 7, v44
	v_ffbh_u32_e32 v62, v64
	v_min_u32_e32 v66, 32, v62
	v_subrev_u32_e32 v62, 28, v66
	v_lshlrev_b64 v[62:63], v62, v[44:45]
	v_lshrrev_b32_e32 v65, 3, v46
	v_sub_u32_e32 v63, 29, v66
	v_and_b32_e32 v62, 7, v62
	v_cmp_gt_u32_e32 vcc, 8, v46
	v_cndmask_b32_e32 v46, v65, v63, vcc
	v_cndmask_b32_e32 v62, v64, v62, vcc
	v_lshlrev_b32_e32 v44, 24, v44
	v_lshlrev_b32_e32 v62, 20, v62
	v_and_b32_e32 v44, 0x80000000, v44
	v_lshl_add_u32 v46, v46, 23, v48
	v_or3_b32 v44, v44, v46, v62
	v_lshrrev_b32_e32 v62, 16, v44
.LBB920_349:                            ;   in Loop: Header=BB920_213 Depth=1
	s_or_b64 exec, exec, s[16:17]
.LBB920_350:                            ;   in Loop: Header=BB920_213 Depth=1
	s_or_b64 exec, exec, s[14:15]
.LBB920_351:                            ;   in Loop: Header=BB920_213 Depth=1
	s_or_b64 exec, exec, s[12:13]
	v_cmp_lt_u32_e32 vcc, s22, v42
	v_mov_b32_e32 v46, 0
	v_mov_b32_e32 v63, 0
	s_and_saveexec_b64 s[12:13], vcc
	s_cbranch_execz .LBB920_357
; %bb.352:                              ;   in Loop: Header=BB920_213 Depth=1
	v_lshrrev_b32_e32 v44, 24, v42
	v_cmp_ne_u32_e32 vcc, s9, v44
	v_mov_b32_e32 v63, 0xffff8000
	s_and_saveexec_b64 s[14:15], vcc
	s_cbranch_execz .LBB920_356
; %bb.353:                              ;   in Loop: Header=BB920_213 Depth=1
	v_bfe_u32 v42, v42, 24, 7
	v_cmp_ne_u32_e32 vcc, s21, v42
	v_mov_b32_e32 v63, 0x7f80
	s_and_saveexec_b64 s[16:17], vcc
	s_cbranch_execz .LBB920_355
; %bb.354:                              ;   in Loop: Header=BB920_213 Depth=1
	v_and_b32_e32 v63, 7, v44
	v_ffbh_u32_e32 v64, v63
	v_min_u32_e32 v67, 32, v64
	v_subrev_u32_e32 v64, 28, v67
	v_lshlrev_b64 v[64:65], v64, v[44:45]
	v_lshrrev_b32_e32 v66, 3, v42
	v_sub_u32_e32 v65, 29, v67
	v_and_b32_e32 v64, 7, v64
	v_cmp_gt_u32_e32 vcc, 8, v42
	v_cndmask_b32_e32 v42, v66, v65, vcc
	v_cndmask_b32_e32 v63, v63, v64, vcc
	v_lshlrev_b32_e32 v44, 24, v44
	v_lshlrev_b32_e32 v63, 20, v63
	v_and_b32_e32 v44, 0x80000000, v44
	v_lshl_add_u32 v42, v42, 23, v48
	v_or3_b32 v42, v44, v42, v63
	v_lshrrev_b32_e32 v63, 16, v42
.LBB920_355:                            ;   in Loop: Header=BB920_213 Depth=1
	s_or_b64 exec, exec, s[16:17]
.LBB920_356:                            ;   in Loop: Header=BB920_213 Depth=1
	s_or_b64 exec, exec, s[14:15]
.LBB920_357:                            ;   in Loop: Header=BB920_213 Depth=1
	s_or_b64 exec, exec, s[12:13]
	v_perm_b32 v51, v53, v51, s23
	v_perm_b32 v50, v50, v49, s23
	s_waitcnt vmcnt(1)
	v_cmp_ne_u16_sdwa s[14:15], v40, v47 src0_sel:BYTE_0 src1_sel:DWORD
	v_mfma_f32_16x16x16bf16_1k v[34:37], v[50:51], v[10:11], v[34:37]
	v_perm_b32 v51, v63, v62, s23
	v_perm_b32 v50, v61, v52, s23
	s_nop 1
	v_mfma_f32_16x16x16bf16_1k v[34:37], v[50:51], v[12:13], v[34:37]
	s_and_saveexec_b64 s[12:13], s[14:15]
	s_cbranch_execz .LBB920_363
; %bb.358:                              ;   in Loop: Header=BB920_213 Depth=1
	v_cmp_ne_u16_sdwa s[16:17], v40, s9 src0_sel:BYTE_0 src1_sel:DWORD
	v_mov_b32_e32 v46, 0xffff8000
	s_and_saveexec_b64 s[14:15], s[16:17]
	s_cbranch_execz .LBB920_362
; %bb.359:                              ;   in Loop: Header=BB920_213 Depth=1
	v_and_b32_e32 v42, 0x7f, v40
	v_cmp_ne_u32_e32 vcc, s21, v42
	v_mov_b32_e32 v46, 0x7f80
	s_and_saveexec_b64 s[16:17], vcc
	s_cbranch_execz .LBB920_361
; %bb.360:                              ;   in Loop: Header=BB920_213 Depth=1
	v_and_b32_e32 v44, 7, v40
	v_ffbh_u32_e32 v49, v44
	v_min_u32_e32 v49, 32, v49
	v_subrev_u32_e32 v50, 28, v49
	v_lshlrev_b64 v[50:51], v50, v[40:41]
	v_lshrrev_b32_e32 v46, 3, v42
	v_sub_u32_e32 v49, 29, v49
	v_and_b32_e32 v50, 7, v50
	v_cmp_gt_u32_e32 vcc, 8, v42
	v_cndmask_b32_e32 v42, v46, v49, vcc
	v_cndmask_b32_e32 v44, v44, v50, vcc
	v_lshlrev_b32_e32 v46, 24, v40
	v_lshlrev_b32_e32 v44, 20, v44
	v_and_b32_e32 v46, 0x80000000, v46
	v_lshl_add_u32 v42, v42, 23, v48
	v_or3_b32 v42, v46, v42, v44
	v_lshrrev_b32_e32 v46, 16, v42
.LBB920_361:                            ;   in Loop: Header=BB920_213 Depth=1
	s_or_b64 exec, exec, s[16:17]
.LBB920_362:                            ;   in Loop: Header=BB920_213 Depth=1
	s_or_b64 exec, exec, s[14:15]
.LBB920_363:                            ;   in Loop: Header=BB920_213 Depth=1
	s_or_b64 exec, exec, s[12:13]
	v_lshrrev_b16_e32 v42, 8, v40
	v_cmp_ne_u16_e32 vcc, 0, v42
	v_mov_b32_e32 v50, 0
	v_mov_b32_e32 v44, 0
	s_and_saveexec_b64 s[12:13], vcc
	s_cbranch_execz .LBB920_369
; %bb.364:                              ;   in Loop: Header=BB920_213 Depth=1
	v_cmp_ne_u16_e32 vcc, s9, v42
	v_mov_b32_e32 v44, 0xffff8000
	s_and_saveexec_b64 s[14:15], vcc
	s_cbranch_execz .LBB920_368
; %bb.365:                              ;   in Loop: Header=BB920_213 Depth=1
	v_and_b32_e32 v49, 0x7f, v42
	v_cmp_ne_u32_e32 vcc, s21, v49
	v_mov_b32_e32 v44, 0x7f80
	s_and_saveexec_b64 s[16:17], vcc
	s_cbranch_execz .LBB920_367
; %bb.366:                              ;   in Loop: Header=BB920_213 Depth=1
	v_and_b32_e32 v44, 7, v42
	v_ffbh_u32_e32 v52, v44
	v_min_u32_e32 v61, 32, v52
	v_subrev_u32_e32 v52, 28, v61
	v_lshlrev_b64 v[52:53], v52, v[42:43]
	v_lshrrev_b32_e32 v51, 3, v49
	v_sub_u32_e32 v42, 29, v61
	v_and_b32_e32 v52, 7, v52
	v_cmp_gt_u32_e32 vcc, 8, v49
	v_cndmask_b32_e32 v42, v51, v42, vcc
	v_cndmask_b32_e32 v44, v44, v52, vcc
	v_lshlrev_b32_e32 v49, 16, v40
	v_lshlrev_b32_e32 v44, 20, v44
	v_and_b32_e32 v49, 0x80000000, v49
	v_lshl_add_u32 v42, v42, 23, v48
	v_or3_b32 v42, v49, v42, v44
	v_lshrrev_b32_e32 v44, 16, v42
.LBB920_367:                            ;   in Loop: Header=BB920_213 Depth=1
	s_or_b64 exec, exec, s[16:17]
.LBB920_368:                            ;   in Loop: Header=BB920_213 Depth=1
	s_or_b64 exec, exec, s[14:15]
.LBB920_369:                            ;   in Loop: Header=BB920_213 Depth=1
	s_or_b64 exec, exec, s[12:13]
	v_lshrrev_b32_e32 v42, 16, v40
	v_cmp_ne_u16_sdwa s[14:15], v42, v47 src0_sel:BYTE_0 src1_sel:DWORD
	s_and_saveexec_b64 s[12:13], s[14:15]
	s_cbranch_execz .LBB920_375
; %bb.370:                              ;   in Loop: Header=BB920_213 Depth=1
	v_cmp_ne_u16_sdwa s[16:17], v42, s9 src0_sel:BYTE_0 src1_sel:DWORD
	v_mov_b32_e32 v50, 0xffff8000
	s_and_saveexec_b64 s[14:15], s[16:17]
	s_cbranch_execz .LBB920_374
; %bb.371:                              ;   in Loop: Header=BB920_213 Depth=1
	v_bfe_u32 v49, v40, 16, 7
	v_cmp_ne_u32_e32 vcc, s21, v49
	v_mov_b32_e32 v50, 0x7f80
	s_and_saveexec_b64 s[16:17], vcc
	s_cbranch_execz .LBB920_373
; %bb.372:                              ;   in Loop: Header=BB920_213 Depth=1
	v_and_b32_e32 v52, 7, v42
	v_ffbh_u32_e32 v50, v52
	v_min_u32_e32 v61, 32, v50
	v_subrev_u32_e32 v50, 28, v61
	v_lshlrev_b64 v[50:51], v50, v[42:43]
	v_lshrrev_b32_e32 v53, 3, v49
	v_sub_u32_e32 v51, 29, v61
	v_and_b32_e32 v50, 7, v50
	v_cmp_gt_u32_e32 vcc, 8, v49
	v_cndmask_b32_e32 v49, v53, v51, vcc
	v_cndmask_b32_e32 v50, v52, v50, vcc
	v_lshlrev_b32_e32 v42, 24, v42
	v_lshlrev_b32_e32 v50, 20, v50
	v_and_b32_e32 v42, 0x80000000, v42
	v_lshl_add_u32 v49, v49, 23, v48
	v_or3_b32 v42, v42, v49, v50
	v_lshrrev_b32_e32 v50, 16, v42
.LBB920_373:                            ;   in Loop: Header=BB920_213 Depth=1
	s_or_b64 exec, exec, s[16:17]
.LBB920_374:                            ;   in Loop: Header=BB920_213 Depth=1
	s_or_b64 exec, exec, s[14:15]
.LBB920_375:                            ;   in Loop: Header=BB920_213 Depth=1
	s_or_b64 exec, exec, s[12:13]
	v_cmp_lt_u32_e32 vcc, s22, v40
	v_mov_b32_e32 v51, 0
	v_mov_b32_e32 v52, 0
	s_and_saveexec_b64 s[12:13], vcc
	s_cbranch_execz .LBB920_381
; %bb.376:                              ;   in Loop: Header=BB920_213 Depth=1
	v_lshrrev_b32_e32 v42, 24, v40
	v_cmp_ne_u32_e32 vcc, s9, v42
	v_mov_b32_e32 v52, 0xffff8000
	s_and_saveexec_b64 s[14:15], vcc
	s_cbranch_execz .LBB920_380
; %bb.377:                              ;   in Loop: Header=BB920_213 Depth=1
	v_bfe_u32 v40, v40, 24, 7
	v_cmp_ne_u32_e32 vcc, s21, v40
	v_mov_b32_e32 v52, 0x7f80
	s_and_saveexec_b64 s[16:17], vcc
	s_cbranch_execz .LBB920_379
; %bb.378:                              ;   in Loop: Header=BB920_213 Depth=1
	v_and_b32_e32 v49, 7, v42
	v_ffbh_u32_e32 v52, v49
	v_min_u32_e32 v62, 32, v52
	v_subrev_u32_e32 v52, 28, v62
	v_lshlrev_b64 v[52:53], v52, v[42:43]
	v_lshrrev_b32_e32 v61, 3, v40
	v_sub_u32_e32 v53, 29, v62
	v_and_b32_e32 v52, 7, v52
	v_cmp_gt_u32_e32 vcc, 8, v40
	v_cndmask_b32_e32 v40, v61, v53, vcc
	v_cndmask_b32_e32 v49, v49, v52, vcc
	v_lshlrev_b32_e32 v42, 24, v42
	v_lshlrev_b32_e32 v49, 20, v49
	v_and_b32_e32 v42, 0x80000000, v42
	v_lshl_add_u32 v40, v40, 23, v48
	v_or3_b32 v40, v42, v40, v49
	v_lshrrev_b32_e32 v52, 16, v40
.LBB920_379:                            ;   in Loop: Header=BB920_213 Depth=1
	s_or_b64 exec, exec, s[16:17]
.LBB920_380:                            ;   in Loop: Header=BB920_213 Depth=1
	s_or_b64 exec, exec, s[14:15]
.LBB920_381:                            ;   in Loop: Header=BB920_213 Depth=1
	s_or_b64 exec, exec, s[12:13]
	s_waitcnt vmcnt(0)
	v_cmp_ne_u16_sdwa s[14:15], v38, v47 src0_sel:BYTE_0 src1_sel:DWORD
	s_and_saveexec_b64 s[12:13], s[14:15]
	s_cbranch_execz .LBB920_387
; %bb.382:                              ;   in Loop: Header=BB920_213 Depth=1
	v_cmp_ne_u16_sdwa s[16:17], v38, s9 src0_sel:BYTE_0 src1_sel:DWORD
	v_mov_b32_e32 v51, 0xffff8000
	s_and_saveexec_b64 s[14:15], s[16:17]
	s_cbranch_execz .LBB920_386
; %bb.383:                              ;   in Loop: Header=BB920_213 Depth=1
	v_and_b32_e32 v40, 0x7f, v38
	v_cmp_ne_u32_e32 vcc, s21, v40
	v_mov_b32_e32 v51, 0x7f80
	s_and_saveexec_b64 s[16:17], vcc
	s_cbranch_execz .LBB920_385
; %bb.384:                              ;   in Loop: Header=BB920_213 Depth=1
	v_and_b32_e32 v42, 7, v38
	v_ffbh_u32_e32 v51, v42
	v_min_u32_e32 v51, 32, v51
	v_subrev_u32_e32 v53, 28, v51
	v_lshlrev_b64 v[62:63], v53, v[38:39]
	v_lshrrev_b32_e32 v49, 3, v40
	v_sub_u32_e32 v51, 29, v51
	v_and_b32_e32 v53, 7, v62
	v_cmp_gt_u32_e32 vcc, 8, v40
	v_cndmask_b32_e32 v40, v49, v51, vcc
	v_cndmask_b32_e32 v42, v42, v53, vcc
	v_lshlrev_b32_e32 v49, 24, v38
	v_lshlrev_b32_e32 v42, 20, v42
	v_and_b32_e32 v49, 0x80000000, v49
	v_lshl_add_u32 v40, v40, 23, v48
	v_or3_b32 v40, v49, v40, v42
	v_lshrrev_b32_e32 v51, 16, v40
.LBB920_385:                            ;   in Loop: Header=BB920_213 Depth=1
	s_or_b64 exec, exec, s[16:17]
.LBB920_386:                            ;   in Loop: Header=BB920_213 Depth=1
	s_or_b64 exec, exec, s[14:15]
.LBB920_387:                            ;   in Loop: Header=BB920_213 Depth=1
	s_or_b64 exec, exec, s[12:13]
	v_lshrrev_b16_e32 v40, 8, v38
	v_cmp_ne_u16_e32 vcc, 0, v40
	v_mov_b32_e32 v61, 0
	v_mov_b32_e32 v53, 0
	s_and_saveexec_b64 s[12:13], vcc
	s_cbranch_execz .LBB920_393
; %bb.388:                              ;   in Loop: Header=BB920_213 Depth=1
	v_cmp_ne_u16_e32 vcc, s9, v40
	v_mov_b32_e32 v53, 0xffff8000
	s_and_saveexec_b64 s[14:15], vcc
	s_cbranch_execz .LBB920_392
; %bb.389:                              ;   in Loop: Header=BB920_213 Depth=1
	v_and_b32_e32 v42, 0x7f, v40
	v_cmp_ne_u32_e32 vcc, s21, v42
	v_mov_b32_e32 v53, 0x7f80
	s_and_saveexec_b64 s[16:17], vcc
	s_cbranch_execz .LBB920_391
; %bb.390:                              ;   in Loop: Header=BB920_213 Depth=1
	v_and_b32_e32 v49, 7, v40
	v_ffbh_u32_e32 v62, v49
	v_min_u32_e32 v64, 32, v62
	v_subrev_u32_e32 v62, 28, v64
	v_lshlrev_b64 v[62:63], v62, v[40:41]
	v_lshrrev_b32_e32 v53, 3, v42
	v_sub_u32_e32 v40, 29, v64
	v_and_b32_e32 v62, 7, v62
	v_cmp_gt_u32_e32 vcc, 8, v42
	v_cndmask_b32_e32 v40, v53, v40, vcc
	v_cndmask_b32_e32 v42, v49, v62, vcc
	v_lshlrev_b32_e32 v49, 16, v38
	v_lshlrev_b32_e32 v42, 20, v42
	v_and_b32_e32 v49, 0x80000000, v49
	v_lshl_add_u32 v40, v40, 23, v48
	v_or3_b32 v40, v49, v40, v42
	v_lshrrev_b32_e32 v53, 16, v40
.LBB920_391:                            ;   in Loop: Header=BB920_213 Depth=1
	s_or_b64 exec, exec, s[16:17]
.LBB920_392:                            ;   in Loop: Header=BB920_213 Depth=1
	s_or_b64 exec, exec, s[14:15]
.LBB920_393:                            ;   in Loop: Header=BB920_213 Depth=1
	s_or_b64 exec, exec, s[12:13]
	v_lshrrev_b32_e32 v40, 16, v38
	v_cmp_ne_u16_sdwa s[14:15], v40, v47 src0_sel:BYTE_0 src1_sel:DWORD
	s_and_saveexec_b64 s[12:13], s[14:15]
	s_cbranch_execz .LBB920_399
; %bb.394:                              ;   in Loop: Header=BB920_213 Depth=1
	v_cmp_ne_u16_sdwa s[16:17], v40, s9 src0_sel:BYTE_0 src1_sel:DWORD
	v_mov_b32_e32 v61, 0xffff8000
	s_and_saveexec_b64 s[14:15], s[16:17]
	s_cbranch_execz .LBB920_398
; %bb.395:                              ;   in Loop: Header=BB920_213 Depth=1
	v_bfe_u32 v42, v38, 16, 7
	v_cmp_ne_u32_e32 vcc, s21, v42
	v_mov_b32_e32 v61, 0x7f80
	s_and_saveexec_b64 s[16:17], vcc
	s_cbranch_execz .LBB920_397
; %bb.396:                              ;   in Loop: Header=BB920_213 Depth=1
	v_and_b32_e32 v49, 7, v40
	v_ffbh_u32_e32 v62, v49
	v_min_u32_e32 v64, 32, v62
	v_subrev_u32_e32 v62, 28, v64
	v_lshlrev_b64 v[62:63], v62, v[40:41]
	v_lshrrev_b32_e32 v61, 3, v42
	v_sub_u32_e32 v63, 29, v64
	v_and_b32_e32 v62, 7, v62
	v_cmp_gt_u32_e32 vcc, 8, v42
	v_cndmask_b32_e32 v42, v61, v63, vcc
	v_cndmask_b32_e32 v49, v49, v62, vcc
	v_lshlrev_b32_e32 v40, 24, v40
	v_lshlrev_b32_e32 v49, 20, v49
	v_and_b32_e32 v40, 0x80000000, v40
	v_lshl_add_u32 v42, v42, 23, v48
	v_or3_b32 v40, v40, v42, v49
	v_lshrrev_b32_e32 v61, 16, v40
.LBB920_397:                            ;   in Loop: Header=BB920_213 Depth=1
	s_or_b64 exec, exec, s[16:17]
.LBB920_398:                            ;   in Loop: Header=BB920_213 Depth=1
	s_or_b64 exec, exec, s[14:15]
.LBB920_399:                            ;   in Loop: Header=BB920_213 Depth=1
	s_or_b64 exec, exec, s[12:13]
	v_cmp_lt_u32_e32 vcc, s22, v38
	v_mov_b32_e32 v49, 0
	v_mov_b32_e32 v62, 0
	s_and_saveexec_b64 s[12:13], vcc
	s_cbranch_execz .LBB920_405
; %bb.400:                              ;   in Loop: Header=BB920_213 Depth=1
	v_lshrrev_b32_e32 v40, 24, v38
	v_cmp_ne_u32_e32 vcc, s9, v40
	v_mov_b32_e32 v62, 0xffff8000
	s_and_saveexec_b64 s[14:15], vcc
	s_cbranch_execz .LBB920_404
; %bb.401:                              ;   in Loop: Header=BB920_213 Depth=1
	v_bfe_u32 v38, v38, 24, 7
	v_cmp_ne_u32_e32 vcc, s21, v38
	v_mov_b32_e32 v62, 0x7f80
	s_and_saveexec_b64 s[16:17], vcc
	s_cbranch_execz .LBB920_403
; %bb.402:                              ;   in Loop: Header=BB920_213 Depth=1
	v_and_b32_e32 v42, 7, v40
	v_ffbh_u32_e32 v62, v42
	v_min_u32_e32 v65, 32, v62
	v_subrev_u32_e32 v62, 28, v65
	v_lshlrev_b64 v[62:63], v62, v[40:41]
	v_lshrrev_b32_e32 v64, 3, v38
	v_sub_u32_e32 v63, 29, v65
	v_and_b32_e32 v62, 7, v62
	v_cmp_gt_u32_e32 vcc, 8, v38
	v_cndmask_b32_e32 v38, v64, v63, vcc
	v_cndmask_b32_e32 v42, v42, v62, vcc
	v_lshlrev_b32_e32 v40, 24, v40
	v_lshlrev_b32_e32 v42, 20, v42
	v_and_b32_e32 v40, 0x80000000, v40
	v_lshl_add_u32 v38, v38, 23, v48
	v_or3_b32 v38, v40, v38, v42
	v_lshrrev_b32_e32 v62, 16, v38
.LBB920_403:                            ;   in Loop: Header=BB920_213 Depth=1
	s_or_b64 exec, exec, s[16:17]
.LBB920_404:                            ;   in Loop: Header=BB920_213 Depth=1
	s_or_b64 exec, exec, s[14:15]
.LBB920_405:                            ;   in Loop: Header=BB920_213 Depth=1
	s_or_b64 exec, exec, s[12:13]
	v_perm_b32 v64, v44, v46, s23
	buffer_load_dword v44, v60, s[0:3], 0 offen
	buffer_load_dword v42, v60, s[0:3], 0 offen offset:4
	buffer_load_dword v40, v60, s[0:3], 0 offen offset:8
	;; [unrolled: 1-line block ×3, first 2 shown]
	v_perm_b32 v65, v52, v50, s23
	v_perm_b32 v61, v62, v61, s23
	;; [unrolled: 1-line block ×3, first 2 shown]
	v_mfma_f32_16x16x16bf16_1k v[34:37], v[64:65], v[14:15], v[34:37]
	s_waitcnt vmcnt(3)
	v_cmp_ne_u16_sdwa s[14:15], v44, v47 src0_sel:BYTE_0 src1_sel:DWORD
	v_mfma_f32_16x16x16bf16_1k v[34:37], v[60:61], v[16:17], v[34:37]
	s_and_saveexec_b64 s[12:13], s[14:15]
	s_cbranch_execz .LBB920_411
; %bb.406:                              ;   in Loop: Header=BB920_213 Depth=1
	v_cmp_ne_u16_sdwa s[16:17], v44, s9 src0_sel:BYTE_0 src1_sel:DWORD
	v_mov_b32_e32 v49, 0xffff8000
	s_and_saveexec_b64 s[14:15], s[16:17]
	s_cbranch_execz .LBB920_410
; %bb.407:                              ;   in Loop: Header=BB920_213 Depth=1
	v_and_b32_e32 v46, 0x7f, v44
	v_cmp_ne_u32_e32 vcc, s21, v46
	v_mov_b32_e32 v49, 0x7f80
	s_and_saveexec_b64 s[16:17], vcc
	s_cbranch_execz .LBB920_409
; %bb.408:                              ;   in Loop: Header=BB920_213 Depth=1
	v_and_b32_e32 v49, 7, v44
	v_ffbh_u32_e32 v50, v49
	v_min_u32_e32 v53, 32, v50
	v_subrev_u32_e32 v50, 28, v53
	v_lshlrev_b64 v[50:51], v50, v[44:45]
	v_lshrrev_b32_e32 v52, 3, v46
	v_sub_u32_e32 v51, 29, v53
	v_and_b32_e32 v50, 7, v50
	v_cmp_gt_u32_e32 vcc, 8, v46
	v_cndmask_b32_e32 v46, v52, v51, vcc
	v_cndmask_b32_e32 v49, v49, v50, vcc
	v_lshlrev_b32_e32 v50, 24, v44
	v_lshlrev_b32_e32 v49, 20, v49
	v_and_b32_e32 v50, 0x80000000, v50
	v_lshl_add_u32 v46, v46, 23, v48
	v_or3_b32 v46, v50, v46, v49
	v_lshrrev_b32_e32 v49, 16, v46
.LBB920_409:                            ;   in Loop: Header=BB920_213 Depth=1
	s_or_b64 exec, exec, s[16:17]
.LBB920_410:                            ;   in Loop: Header=BB920_213 Depth=1
	s_or_b64 exec, exec, s[14:15]
.LBB920_411:                            ;   in Loop: Header=BB920_213 Depth=1
	s_or_b64 exec, exec, s[12:13]
	v_lshrrev_b16_e32 v46, 8, v44
	v_cmp_ne_u16_e32 vcc, 0, v46
	v_mov_b32_e32 v51, 0
	v_mov_b32_e32 v50, 0
	s_and_saveexec_b64 s[12:13], vcc
	s_cbranch_execz .LBB920_417
; %bb.412:                              ;   in Loop: Header=BB920_213 Depth=1
	v_cmp_ne_u16_e32 vcc, s9, v46
	v_mov_b32_e32 v50, 0xffff8000
	s_and_saveexec_b64 s[14:15], vcc
	s_cbranch_execz .LBB920_416
; %bb.413:                              ;   in Loop: Header=BB920_213 Depth=1
	v_and_b32_e32 v52, 0x7f, v46
	v_cmp_ne_u32_e32 vcc, s21, v52
	v_mov_b32_e32 v50, 0x7f80
	s_and_saveexec_b64 s[16:17], vcc
	s_cbranch_execz .LBB920_415
; %bb.414:                              ;   in Loop: Header=BB920_213 Depth=1
	v_and_b32_e32 v50, 7, v46
	v_ffbh_u32_e32 v60, v50
	v_min_u32_e32 v62, 32, v60
	v_subrev_u32_e32 v60, 28, v62
	v_lshlrev_b64 v[60:61], v60, v[46:47]
	v_lshrrev_b32_e32 v53, 3, v52
	v_sub_u32_e32 v46, 29, v62
	v_and_b32_e32 v60, 7, v60
	v_cmp_gt_u32_e32 vcc, 8, v52
	v_cndmask_b32_e32 v46, v53, v46, vcc
	v_cndmask_b32_e32 v50, v50, v60, vcc
	v_lshlrev_b32_e32 v52, 16, v44
	v_lshlrev_b32_e32 v50, 20, v50
	v_and_b32_e32 v52, 0x80000000, v52
	v_lshl_add_u32 v46, v46, 23, v48
	v_or3_b32 v46, v52, v46, v50
	v_lshrrev_b32_e32 v50, 16, v46
.LBB920_415:                            ;   in Loop: Header=BB920_213 Depth=1
	s_or_b64 exec, exec, s[16:17]
.LBB920_416:                            ;   in Loop: Header=BB920_213 Depth=1
	s_or_b64 exec, exec, s[14:15]
.LBB920_417:                            ;   in Loop: Header=BB920_213 Depth=1
	s_or_b64 exec, exec, s[12:13]
	v_lshrrev_b32_e32 v46, 16, v44
	v_cmp_ne_u16_sdwa s[14:15], v46, v47 src0_sel:BYTE_0 src1_sel:DWORD
	s_and_saveexec_b64 s[12:13], s[14:15]
	s_cbranch_execz .LBB920_423
; %bb.418:                              ;   in Loop: Header=BB920_213 Depth=1
	v_cmp_ne_u16_sdwa s[16:17], v46, s9 src0_sel:BYTE_0 src1_sel:DWORD
	v_mov_b32_e32 v51, 0xffff8000
	s_and_saveexec_b64 s[14:15], s[16:17]
	s_cbranch_execz .LBB920_422
; %bb.419:                              ;   in Loop: Header=BB920_213 Depth=1
	v_bfe_u32 v52, v44, 16, 7
	v_cmp_ne_u32_e32 vcc, s21, v52
	v_mov_b32_e32 v51, 0x7f80
	s_and_saveexec_b64 s[16:17], vcc
	s_cbranch_execz .LBB920_421
; %bb.420:                              ;   in Loop: Header=BB920_213 Depth=1
	v_and_b32_e32 v51, 7, v46
	v_ffbh_u32_e32 v60, v51
	v_min_u32_e32 v62, 32, v60
	v_subrev_u32_e32 v60, 28, v62
	v_lshlrev_b64 v[60:61], v60, v[46:47]
	v_lshrrev_b32_e32 v53, 3, v52
	v_sub_u32_e32 v61, 29, v62
	v_and_b32_e32 v60, 7, v60
	v_cmp_gt_u32_e32 vcc, 8, v52
	v_cndmask_b32_e32 v52, v53, v61, vcc
	v_cndmask_b32_e32 v51, v51, v60, vcc
	v_lshlrev_b32_e32 v46, 24, v46
	v_lshlrev_b32_e32 v51, 20, v51
	v_and_b32_e32 v46, 0x80000000, v46
	v_lshl_add_u32 v52, v52, 23, v48
	v_or3_b32 v46, v46, v52, v51
	v_lshrrev_b32_e32 v51, 16, v46
.LBB920_421:                            ;   in Loop: Header=BB920_213 Depth=1
	s_or_b64 exec, exec, s[16:17]
.LBB920_422:                            ;   in Loop: Header=BB920_213 Depth=1
	s_or_b64 exec, exec, s[14:15]
.LBB920_423:                            ;   in Loop: Header=BB920_213 Depth=1
	s_or_b64 exec, exec, s[12:13]
	v_cmp_lt_u32_e32 vcc, s22, v44
	v_mov_b32_e32 v52, 0
	v_mov_b32_e32 v53, 0
	s_and_saveexec_b64 s[12:13], vcc
	s_cbranch_execz .LBB920_429
; %bb.424:                              ;   in Loop: Header=BB920_213 Depth=1
	v_lshrrev_b32_e32 v46, 24, v44
	v_cmp_ne_u32_e32 vcc, s9, v46
	v_mov_b32_e32 v53, 0xffff8000
	s_and_saveexec_b64 s[14:15], vcc
	s_cbranch_execz .LBB920_428
; %bb.425:                              ;   in Loop: Header=BB920_213 Depth=1
	v_bfe_u32 v44, v44, 24, 7
	v_cmp_ne_u32_e32 vcc, s21, v44
	v_mov_b32_e32 v53, 0x7f80
	s_and_saveexec_b64 s[16:17], vcc
	s_cbranch_execz .LBB920_427
; %bb.426:                              ;   in Loop: Header=BB920_213 Depth=1
	v_and_b32_e32 v53, 7, v46
	v_ffbh_u32_e32 v60, v53
	v_min_u32_e32 v63, 32, v60
	v_subrev_u32_e32 v60, 28, v63
	v_lshlrev_b64 v[60:61], v60, v[46:47]
	v_lshrrev_b32_e32 v62, 3, v44
	v_sub_u32_e32 v61, 29, v63
	v_and_b32_e32 v60, 7, v60
	v_cmp_gt_u32_e32 vcc, 8, v44
	v_cndmask_b32_e32 v44, v62, v61, vcc
	v_cndmask_b32_e32 v53, v53, v60, vcc
	v_lshlrev_b32_e32 v46, 24, v46
	v_lshlrev_b32_e32 v53, 20, v53
	v_and_b32_e32 v46, 0x80000000, v46
	v_lshl_add_u32 v44, v44, 23, v48
	v_or3_b32 v44, v46, v44, v53
	v_lshrrev_b32_e32 v53, 16, v44
.LBB920_427:                            ;   in Loop: Header=BB920_213 Depth=1
	s_or_b64 exec, exec, s[16:17]
.LBB920_428:                            ;   in Loop: Header=BB920_213 Depth=1
	s_or_b64 exec, exec, s[14:15]
.LBB920_429:                            ;   in Loop: Header=BB920_213 Depth=1
	s_or_b64 exec, exec, s[12:13]
	s_waitcnt vmcnt(2)
	v_cmp_ne_u16_sdwa s[14:15], v42, v47 src0_sel:BYTE_0 src1_sel:DWORD
	s_and_saveexec_b64 s[12:13], s[14:15]
	s_cbranch_execz .LBB920_435
; %bb.430:                              ;   in Loop: Header=BB920_213 Depth=1
	v_cmp_ne_u16_sdwa s[16:17], v42, s9 src0_sel:BYTE_0 src1_sel:DWORD
	v_mov_b32_e32 v52, 0xffff8000
	s_and_saveexec_b64 s[14:15], s[16:17]
	s_cbranch_execz .LBB920_434
; %bb.431:                              ;   in Loop: Header=BB920_213 Depth=1
	v_and_b32_e32 v44, 0x7f, v42
	v_cmp_ne_u32_e32 vcc, s21, v44
	v_mov_b32_e32 v52, 0x7f80
	s_and_saveexec_b64 s[16:17], vcc
	s_cbranch_execz .LBB920_433
; %bb.432:                              ;   in Loop: Header=BB920_213 Depth=1
	v_and_b32_e32 v46, 7, v42
	v_ffbh_u32_e32 v60, v46
	v_min_u32_e32 v62, 32, v60
	v_subrev_u32_e32 v60, 28, v62
	v_lshlrev_b64 v[60:61], v60, v[42:43]
	v_lshrrev_b32_e32 v52, 3, v44
	v_sub_u32_e32 v61, 29, v62
	v_and_b32_e32 v60, 7, v60
	v_cmp_gt_u32_e32 vcc, 8, v44
	v_cndmask_b32_e32 v44, v52, v61, vcc
	v_cndmask_b32_e32 v46, v46, v60, vcc
	v_lshlrev_b32_e32 v52, 24, v42
	v_lshlrev_b32_e32 v46, 20, v46
	v_and_b32_e32 v52, 0x80000000, v52
	v_lshl_add_u32 v44, v44, 23, v48
	v_or3_b32 v44, v52, v44, v46
	v_lshrrev_b32_e32 v52, 16, v44
.LBB920_433:                            ;   in Loop: Header=BB920_213 Depth=1
	s_or_b64 exec, exec, s[16:17]
.LBB920_434:                            ;   in Loop: Header=BB920_213 Depth=1
	s_or_b64 exec, exec, s[14:15]
.LBB920_435:                            ;   in Loop: Header=BB920_213 Depth=1
	s_or_b64 exec, exec, s[12:13]
	v_lshrrev_b16_e32 v44, 8, v42
	v_cmp_ne_u16_e32 vcc, 0, v44
	v_mov_b32_e32 v61, 0
	v_mov_b32_e32 v60, 0
	s_and_saveexec_b64 s[12:13], vcc
	s_cbranch_execz .LBB920_441
; %bb.436:                              ;   in Loop: Header=BB920_213 Depth=1
	v_cmp_ne_u16_e32 vcc, s9, v44
	v_mov_b32_e32 v60, 0xffff8000
	s_and_saveexec_b64 s[14:15], vcc
	s_cbranch_execz .LBB920_440
; %bb.437:                              ;   in Loop: Header=BB920_213 Depth=1
	v_and_b32_e32 v46, 0x7f, v44
	v_cmp_ne_u32_e32 vcc, s21, v46
	v_mov_b32_e32 v60, 0x7f80
	s_and_saveexec_b64 s[16:17], vcc
	s_cbranch_execz .LBB920_439
; %bb.438:                              ;   in Loop: Header=BB920_213 Depth=1
	v_and_b32_e32 v60, 7, v44
	v_ffbh_u32_e32 v62, v60
	v_min_u32_e32 v65, 32, v62
	v_subrev_u32_e32 v62, 28, v65
	v_lshlrev_b64 v[62:63], v62, v[44:45]
	v_lshrrev_b32_e32 v64, 3, v46
	v_sub_u32_e32 v44, 29, v65
	v_and_b32_e32 v62, 7, v62
	v_cmp_gt_u32_e32 vcc, 8, v46
	v_cndmask_b32_e32 v44, v64, v44, vcc
	v_cndmask_b32_e32 v46, v60, v62, vcc
	v_lshlrev_b32_e32 v60, 16, v42
	v_lshlrev_b32_e32 v46, 20, v46
	v_and_b32_e32 v60, 0x80000000, v60
	v_lshl_add_u32 v44, v44, 23, v48
	v_or3_b32 v44, v60, v44, v46
	v_lshrrev_b32_e32 v60, 16, v44
.LBB920_439:                            ;   in Loop: Header=BB920_213 Depth=1
	s_or_b64 exec, exec, s[16:17]
.LBB920_440:                            ;   in Loop: Header=BB920_213 Depth=1
	s_or_b64 exec, exec, s[14:15]
.LBB920_441:                            ;   in Loop: Header=BB920_213 Depth=1
	s_or_b64 exec, exec, s[12:13]
	v_lshrrev_b32_e32 v44, 16, v42
	v_cmp_ne_u16_sdwa s[14:15], v44, v47 src0_sel:BYTE_0 src1_sel:DWORD
	s_and_saveexec_b64 s[12:13], s[14:15]
	s_cbranch_execz .LBB920_447
; %bb.442:                              ;   in Loop: Header=BB920_213 Depth=1
	v_cmp_ne_u16_sdwa s[16:17], v44, s9 src0_sel:BYTE_0 src1_sel:DWORD
	v_mov_b32_e32 v61, 0xffff8000
	s_and_saveexec_b64 s[14:15], s[16:17]
	s_cbranch_execz .LBB920_446
; %bb.443:                              ;   in Loop: Header=BB920_213 Depth=1
	v_bfe_u32 v46, v42, 16, 7
	v_cmp_ne_u32_e32 vcc, s21, v46
	v_mov_b32_e32 v61, 0x7f80
	s_and_saveexec_b64 s[16:17], vcc
	s_cbranch_execz .LBB920_445
; %bb.444:                              ;   in Loop: Header=BB920_213 Depth=1
	v_and_b32_e32 v61, 7, v44
	v_ffbh_u32_e32 v62, v61
	v_min_u32_e32 v65, 32, v62
	v_subrev_u32_e32 v62, 28, v65
	v_lshlrev_b64 v[62:63], v62, v[44:45]
	v_lshrrev_b32_e32 v64, 3, v46
	v_sub_u32_e32 v63, 29, v65
	v_and_b32_e32 v62, 7, v62
	v_cmp_gt_u32_e32 vcc, 8, v46
	v_cndmask_b32_e32 v46, v64, v63, vcc
	v_cndmask_b32_e32 v61, v61, v62, vcc
	v_lshlrev_b32_e32 v44, 24, v44
	v_lshlrev_b32_e32 v61, 20, v61
	v_and_b32_e32 v44, 0x80000000, v44
	v_lshl_add_u32 v46, v46, 23, v48
	v_or3_b32 v44, v44, v46, v61
	v_lshrrev_b32_e32 v61, 16, v44
.LBB920_445:                            ;   in Loop: Header=BB920_213 Depth=1
	s_or_b64 exec, exec, s[16:17]
.LBB920_446:                            ;   in Loop: Header=BB920_213 Depth=1
	s_or_b64 exec, exec, s[14:15]
.LBB920_447:                            ;   in Loop: Header=BB920_213 Depth=1
	s_or_b64 exec, exec, s[12:13]
	v_cmp_lt_u32_e32 vcc, s22, v42
	v_mov_b32_e32 v46, 0
	v_mov_b32_e32 v62, 0
	s_and_saveexec_b64 s[12:13], vcc
	s_cbranch_execz .LBB920_453
; %bb.448:                              ;   in Loop: Header=BB920_213 Depth=1
	v_lshrrev_b32_e32 v44, 24, v42
	v_cmp_ne_u32_e32 vcc, s9, v44
	v_mov_b32_e32 v62, 0xffff8000
	s_and_saveexec_b64 s[14:15], vcc
	s_cbranch_execz .LBB920_452
; %bb.449:                              ;   in Loop: Header=BB920_213 Depth=1
	v_bfe_u32 v42, v42, 24, 7
	v_cmp_ne_u32_e32 vcc, s21, v42
	v_mov_b32_e32 v62, 0x7f80
	s_and_saveexec_b64 s[16:17], vcc
	s_cbranch_execz .LBB920_451
; %bb.450:                              ;   in Loop: Header=BB920_213 Depth=1
	v_and_b32_e32 v64, 7, v44
	v_ffbh_u32_e32 v62, v64
	v_min_u32_e32 v66, 32, v62
	v_subrev_u32_e32 v62, 28, v66
	v_lshlrev_b64 v[62:63], v62, v[44:45]
	v_lshrrev_b32_e32 v65, 3, v42
	v_sub_u32_e32 v63, 29, v66
	v_and_b32_e32 v62, 7, v62
	v_cmp_gt_u32_e32 vcc, 8, v42
	v_cndmask_b32_e32 v42, v65, v63, vcc
	v_cndmask_b32_e32 v62, v64, v62, vcc
	v_lshlrev_b32_e32 v44, 24, v44
	v_lshlrev_b32_e32 v62, 20, v62
	v_and_b32_e32 v44, 0x80000000, v44
	v_lshl_add_u32 v42, v42, 23, v48
	v_or3_b32 v42, v44, v42, v62
	v_lshrrev_b32_e32 v62, 16, v42
.LBB920_451:                            ;   in Loop: Header=BB920_213 Depth=1
	s_or_b64 exec, exec, s[16:17]
.LBB920_452:                            ;   in Loop: Header=BB920_213 Depth=1
	s_or_b64 exec, exec, s[14:15]
.LBB920_453:                            ;   in Loop: Header=BB920_213 Depth=1
	s_or_b64 exec, exec, s[12:13]
	v_perm_b32 v51, v53, v51, s23
	v_perm_b32 v50, v50, v49, s23
	s_waitcnt vmcnt(1)
	v_cmp_ne_u16_sdwa s[14:15], v40, v47 src0_sel:BYTE_0 src1_sel:DWORD
	v_mfma_f32_16x16x16bf16_1k v[34:37], v[50:51], v[18:19], v[34:37]
	v_perm_b32 v51, v62, v61, s23
	v_perm_b32 v50, v60, v52, s23
	s_nop 1
	v_mfma_f32_16x16x16bf16_1k v[34:37], v[50:51], v[20:21], v[34:37]
	s_and_saveexec_b64 s[12:13], s[14:15]
	s_cbranch_execz .LBB920_459
; %bb.454:                              ;   in Loop: Header=BB920_213 Depth=1
	v_cmp_ne_u16_sdwa s[16:17], v40, s9 src0_sel:BYTE_0 src1_sel:DWORD
	v_mov_b32_e32 v46, 0xffff8000
	s_and_saveexec_b64 s[14:15], s[16:17]
	s_cbranch_execz .LBB920_458
; %bb.455:                              ;   in Loop: Header=BB920_213 Depth=1
	v_and_b32_e32 v42, 0x7f, v40
	v_cmp_ne_u32_e32 vcc, s21, v42
	v_mov_b32_e32 v46, 0x7f80
	s_and_saveexec_b64 s[16:17], vcc
	s_cbranch_execz .LBB920_457
; %bb.456:                              ;   in Loop: Header=BB920_213 Depth=1
	v_and_b32_e32 v44, 7, v40
	v_ffbh_u32_e32 v49, v44
	v_min_u32_e32 v49, 32, v49
	v_subrev_u32_e32 v50, 28, v49
	v_lshlrev_b64 v[50:51], v50, v[40:41]
	v_lshrrev_b32_e32 v46, 3, v42
	v_sub_u32_e32 v49, 29, v49
	v_and_b32_e32 v50, 7, v50
	v_cmp_gt_u32_e32 vcc, 8, v42
	v_cndmask_b32_e32 v42, v46, v49, vcc
	v_cndmask_b32_e32 v44, v44, v50, vcc
	v_lshlrev_b32_e32 v46, 24, v40
	v_lshlrev_b32_e32 v44, 20, v44
	v_and_b32_e32 v46, 0x80000000, v46
	v_lshl_add_u32 v42, v42, 23, v48
	v_or3_b32 v42, v46, v42, v44
	v_lshrrev_b32_e32 v46, 16, v42
.LBB920_457:                            ;   in Loop: Header=BB920_213 Depth=1
	s_or_b64 exec, exec, s[16:17]
.LBB920_458:                            ;   in Loop: Header=BB920_213 Depth=1
	s_or_b64 exec, exec, s[14:15]
.LBB920_459:                            ;   in Loop: Header=BB920_213 Depth=1
	s_or_b64 exec, exec, s[12:13]
	v_lshrrev_b16_e32 v42, 8, v40
	v_cmp_ne_u16_e32 vcc, 0, v42
	v_mov_b32_e32 v50, 0
	v_mov_b32_e32 v44, 0
	s_and_saveexec_b64 s[12:13], vcc
	s_cbranch_execz .LBB920_465
; %bb.460:                              ;   in Loop: Header=BB920_213 Depth=1
	v_cmp_ne_u16_e32 vcc, s9, v42
	v_mov_b32_e32 v44, 0xffff8000
	s_and_saveexec_b64 s[14:15], vcc
	s_cbranch_execz .LBB920_464
; %bb.461:                              ;   in Loop: Header=BB920_213 Depth=1
	v_and_b32_e32 v49, 0x7f, v42
	v_cmp_ne_u32_e32 vcc, s21, v49
	v_mov_b32_e32 v44, 0x7f80
	s_and_saveexec_b64 s[16:17], vcc
	s_cbranch_execz .LBB920_463
; %bb.462:                              ;   in Loop: Header=BB920_213 Depth=1
	v_and_b32_e32 v44, 7, v42
	v_ffbh_u32_e32 v52, v44
	v_min_u32_e32 v60, 32, v52
	v_subrev_u32_e32 v52, 28, v60
	v_lshlrev_b64 v[52:53], v52, v[42:43]
	v_lshrrev_b32_e32 v51, 3, v49
	v_sub_u32_e32 v42, 29, v60
	v_and_b32_e32 v52, 7, v52
	v_cmp_gt_u32_e32 vcc, 8, v49
	v_cndmask_b32_e32 v42, v51, v42, vcc
	v_cndmask_b32_e32 v44, v44, v52, vcc
	v_lshlrev_b32_e32 v49, 16, v40
	v_lshlrev_b32_e32 v44, 20, v44
	v_and_b32_e32 v49, 0x80000000, v49
	v_lshl_add_u32 v42, v42, 23, v48
	v_or3_b32 v42, v49, v42, v44
	v_lshrrev_b32_e32 v44, 16, v42
.LBB920_463:                            ;   in Loop: Header=BB920_213 Depth=1
	s_or_b64 exec, exec, s[16:17]
.LBB920_464:                            ;   in Loop: Header=BB920_213 Depth=1
	s_or_b64 exec, exec, s[14:15]
.LBB920_465:                            ;   in Loop: Header=BB920_213 Depth=1
	s_or_b64 exec, exec, s[12:13]
	v_lshrrev_b32_e32 v42, 16, v40
	v_cmp_ne_u16_sdwa s[14:15], v42, v47 src0_sel:BYTE_0 src1_sel:DWORD
	s_and_saveexec_b64 s[12:13], s[14:15]
	s_cbranch_execz .LBB920_471
; %bb.466:                              ;   in Loop: Header=BB920_213 Depth=1
	v_cmp_ne_u16_sdwa s[16:17], v42, s9 src0_sel:BYTE_0 src1_sel:DWORD
	v_mov_b32_e32 v50, 0xffff8000
	s_and_saveexec_b64 s[14:15], s[16:17]
	s_cbranch_execz .LBB920_470
; %bb.467:                              ;   in Loop: Header=BB920_213 Depth=1
	v_bfe_u32 v49, v40, 16, 7
	v_cmp_ne_u32_e32 vcc, s21, v49
	v_mov_b32_e32 v50, 0x7f80
	s_and_saveexec_b64 s[16:17], vcc
	s_cbranch_execz .LBB920_469
; %bb.468:                              ;   in Loop: Header=BB920_213 Depth=1
	v_and_b32_e32 v52, 7, v42
	v_ffbh_u32_e32 v50, v52
	v_min_u32_e32 v60, 32, v50
	v_subrev_u32_e32 v50, 28, v60
	v_lshlrev_b64 v[50:51], v50, v[42:43]
	v_lshrrev_b32_e32 v53, 3, v49
	v_sub_u32_e32 v51, 29, v60
	v_and_b32_e32 v50, 7, v50
	v_cmp_gt_u32_e32 vcc, 8, v49
	v_cndmask_b32_e32 v49, v53, v51, vcc
	v_cndmask_b32_e32 v50, v52, v50, vcc
	v_lshlrev_b32_e32 v42, 24, v42
	v_lshlrev_b32_e32 v50, 20, v50
	v_and_b32_e32 v42, 0x80000000, v42
	v_lshl_add_u32 v49, v49, 23, v48
	v_or3_b32 v42, v42, v49, v50
	v_lshrrev_b32_e32 v50, 16, v42
.LBB920_469:                            ;   in Loop: Header=BB920_213 Depth=1
	s_or_b64 exec, exec, s[16:17]
.LBB920_470:                            ;   in Loop: Header=BB920_213 Depth=1
	s_or_b64 exec, exec, s[14:15]
.LBB920_471:                            ;   in Loop: Header=BB920_213 Depth=1
	s_or_b64 exec, exec, s[12:13]
	v_cmp_lt_u32_e32 vcc, s22, v40
	v_mov_b32_e32 v51, 0
	v_mov_b32_e32 v52, 0
	s_and_saveexec_b64 s[12:13], vcc
	s_cbranch_execz .LBB920_477
; %bb.472:                              ;   in Loop: Header=BB920_213 Depth=1
	v_lshrrev_b32_e32 v42, 24, v40
	v_cmp_ne_u32_e32 vcc, s9, v42
	v_mov_b32_e32 v52, 0xffff8000
	s_and_saveexec_b64 s[14:15], vcc
	s_cbranch_execz .LBB920_476
; %bb.473:                              ;   in Loop: Header=BB920_213 Depth=1
	v_bfe_u32 v40, v40, 24, 7
	v_cmp_ne_u32_e32 vcc, s21, v40
	v_mov_b32_e32 v52, 0x7f80
	s_and_saveexec_b64 s[16:17], vcc
	s_cbranch_execz .LBB920_475
; %bb.474:                              ;   in Loop: Header=BB920_213 Depth=1
	v_and_b32_e32 v49, 7, v42
	v_ffbh_u32_e32 v52, v49
	v_min_u32_e32 v61, 32, v52
	v_subrev_u32_e32 v52, 28, v61
	v_lshlrev_b64 v[52:53], v52, v[42:43]
	v_lshrrev_b32_e32 v60, 3, v40
	v_sub_u32_e32 v53, 29, v61
	v_and_b32_e32 v52, 7, v52
	v_cmp_gt_u32_e32 vcc, 8, v40
	v_cndmask_b32_e32 v40, v60, v53, vcc
	v_cndmask_b32_e32 v49, v49, v52, vcc
	v_lshlrev_b32_e32 v42, 24, v42
	v_lshlrev_b32_e32 v49, 20, v49
	v_and_b32_e32 v42, 0x80000000, v42
	v_lshl_add_u32 v40, v40, 23, v48
	v_or3_b32 v40, v42, v40, v49
	v_lshrrev_b32_e32 v52, 16, v40
.LBB920_475:                            ;   in Loop: Header=BB920_213 Depth=1
	s_or_b64 exec, exec, s[16:17]
.LBB920_476:                            ;   in Loop: Header=BB920_213 Depth=1
	s_or_b64 exec, exec, s[14:15]
.LBB920_477:                            ;   in Loop: Header=BB920_213 Depth=1
	s_or_b64 exec, exec, s[12:13]
	s_waitcnt vmcnt(0)
	v_cmp_ne_u16_sdwa s[14:15], v38, v47 src0_sel:BYTE_0 src1_sel:DWORD
	s_and_saveexec_b64 s[12:13], s[14:15]
	s_cbranch_execz .LBB920_483
; %bb.478:                              ;   in Loop: Header=BB920_213 Depth=1
	v_cmp_ne_u16_sdwa s[16:17], v38, s9 src0_sel:BYTE_0 src1_sel:DWORD
	v_mov_b32_e32 v51, 0xffff8000
	s_and_saveexec_b64 s[14:15], s[16:17]
	s_cbranch_execz .LBB920_482
; %bb.479:                              ;   in Loop: Header=BB920_213 Depth=1
	v_and_b32_e32 v40, 0x7f, v38
	v_cmp_ne_u32_e32 vcc, s21, v40
	v_mov_b32_e32 v51, 0x7f80
	s_and_saveexec_b64 s[16:17], vcc
	s_cbranch_execz .LBB920_481
; %bb.480:                              ;   in Loop: Header=BB920_213 Depth=1
	v_and_b32_e32 v42, 7, v38
	v_ffbh_u32_e32 v51, v42
	v_min_u32_e32 v51, 32, v51
	v_subrev_u32_e32 v53, 28, v51
	v_lshlrev_b64 v[60:61], v53, v[38:39]
	v_lshrrev_b32_e32 v49, 3, v40
	v_sub_u32_e32 v51, 29, v51
	v_and_b32_e32 v53, 7, v60
	v_cmp_gt_u32_e32 vcc, 8, v40
	v_cndmask_b32_e32 v40, v49, v51, vcc
	v_cndmask_b32_e32 v42, v42, v53, vcc
	v_lshlrev_b32_e32 v49, 24, v38
	v_lshlrev_b32_e32 v42, 20, v42
	v_and_b32_e32 v49, 0x80000000, v49
	v_lshl_add_u32 v40, v40, 23, v48
	v_or3_b32 v40, v49, v40, v42
	v_lshrrev_b32_e32 v51, 16, v40
.LBB920_481:                            ;   in Loop: Header=BB920_213 Depth=1
	s_or_b64 exec, exec, s[16:17]
.LBB920_482:                            ;   in Loop: Header=BB920_213 Depth=1
	s_or_b64 exec, exec, s[14:15]
.LBB920_483:                            ;   in Loop: Header=BB920_213 Depth=1
	s_or_b64 exec, exec, s[12:13]
	v_lshrrev_b16_e32 v40, 8, v38
	v_cmp_ne_u16_e32 vcc, 0, v40
	v_mov_b32_e32 v60, 0
	v_mov_b32_e32 v53, 0
	s_and_saveexec_b64 s[12:13], vcc
	s_cbranch_execz .LBB920_489
; %bb.484:                              ;   in Loop: Header=BB920_213 Depth=1
	v_cmp_ne_u16_e32 vcc, s9, v40
	v_mov_b32_e32 v53, 0xffff8000
	s_and_saveexec_b64 s[14:15], vcc
	s_cbranch_execz .LBB920_488
; %bb.485:                              ;   in Loop: Header=BB920_213 Depth=1
	v_and_b32_e32 v42, 0x7f, v40
	v_cmp_ne_u32_e32 vcc, s21, v42
	v_mov_b32_e32 v53, 0x7f80
	s_and_saveexec_b64 s[16:17], vcc
	s_cbranch_execz .LBB920_487
; %bb.486:                              ;   in Loop: Header=BB920_213 Depth=1
	v_and_b32_e32 v49, 7, v40
	v_ffbh_u32_e32 v61, v49
	v_min_u32_e32 v61, 32, v61
	v_subrev_u32_e32 v62, 28, v61
	v_lshlrev_b64 v[62:63], v62, v[40:41]
	v_lshrrev_b32_e32 v53, 3, v42
	v_sub_u32_e32 v40, 29, v61
	v_and_b32_e32 v61, 7, v62
	v_cmp_gt_u32_e32 vcc, 8, v42
	v_cndmask_b32_e32 v40, v53, v40, vcc
	v_cndmask_b32_e32 v42, v49, v61, vcc
	v_lshlrev_b32_e32 v49, 16, v38
	v_lshlrev_b32_e32 v42, 20, v42
	v_and_b32_e32 v49, 0x80000000, v49
	v_lshl_add_u32 v40, v40, 23, v48
	v_or3_b32 v40, v49, v40, v42
	v_lshrrev_b32_e32 v53, 16, v40
.LBB920_487:                            ;   in Loop: Header=BB920_213 Depth=1
	s_or_b64 exec, exec, s[16:17]
.LBB920_488:                            ;   in Loop: Header=BB920_213 Depth=1
	s_or_b64 exec, exec, s[14:15]
.LBB920_489:                            ;   in Loop: Header=BB920_213 Depth=1
	s_or_b64 exec, exec, s[12:13]
	v_lshrrev_b32_e32 v40, 16, v38
	v_cmp_ne_u16_sdwa s[14:15], v40, v47 src0_sel:BYTE_0 src1_sel:DWORD
	s_and_saveexec_b64 s[12:13], s[14:15]
	s_cbranch_execz .LBB920_495
; %bb.490:                              ;   in Loop: Header=BB920_213 Depth=1
	v_cmp_ne_u16_sdwa s[16:17], v40, s9 src0_sel:BYTE_0 src1_sel:DWORD
	v_mov_b32_e32 v60, 0xffff8000
	s_and_saveexec_b64 s[14:15], s[16:17]
	s_cbranch_execz .LBB920_494
; %bb.491:                              ;   in Loop: Header=BB920_213 Depth=1
	v_bfe_u32 v42, v38, 16, 7
	v_cmp_ne_u32_e32 vcc, s21, v42
	v_mov_b32_e32 v60, 0x7f80
	s_and_saveexec_b64 s[16:17], vcc
	s_cbranch_execz .LBB920_493
; %bb.492:                              ;   in Loop: Header=BB920_213 Depth=1
	v_and_b32_e32 v49, 7, v40
	v_ffbh_u32_e32 v60, v49
	v_min_u32_e32 v63, 32, v60
	v_subrev_u32_e32 v60, 28, v63
	v_lshlrev_b64 v[60:61], v60, v[40:41]
	v_lshrrev_b32_e32 v62, 3, v42
	v_sub_u32_e32 v61, 29, v63
	v_and_b32_e32 v60, 7, v60
	v_cmp_gt_u32_e32 vcc, 8, v42
	v_cndmask_b32_e32 v42, v62, v61, vcc
	v_cndmask_b32_e32 v49, v49, v60, vcc
	v_lshlrev_b32_e32 v40, 24, v40
	v_lshlrev_b32_e32 v49, 20, v49
	v_and_b32_e32 v40, 0x80000000, v40
	v_lshl_add_u32 v42, v42, 23, v48
	v_or3_b32 v40, v40, v42, v49
	v_lshrrev_b32_e32 v60, 16, v40
.LBB920_493:                            ;   in Loop: Header=BB920_213 Depth=1
	s_or_b64 exec, exec, s[16:17]
.LBB920_494:                            ;   in Loop: Header=BB920_213 Depth=1
	s_or_b64 exec, exec, s[14:15]
.LBB920_495:                            ;   in Loop: Header=BB920_213 Depth=1
	s_or_b64 exec, exec, s[12:13]
	v_cmp_lt_u32_e32 vcc, s22, v38
	v_mov_b32_e32 v49, 0
	v_mov_b32_e32 v61, 0
	s_and_saveexec_b64 s[12:13], vcc
	s_cbranch_execz .LBB920_501
; %bb.496:                              ;   in Loop: Header=BB920_213 Depth=1
	v_lshrrev_b32_e32 v40, 24, v38
	v_cmp_ne_u32_e32 vcc, s9, v40
	v_mov_b32_e32 v61, 0xffff8000
	s_and_saveexec_b64 s[14:15], vcc
	s_cbranch_execz .LBB920_500
; %bb.497:                              ;   in Loop: Header=BB920_213 Depth=1
	v_bfe_u32 v38, v38, 24, 7
	v_cmp_ne_u32_e32 vcc, s21, v38
	v_mov_b32_e32 v61, 0x7f80
	s_and_saveexec_b64 s[16:17], vcc
	s_cbranch_execz .LBB920_499
; %bb.498:                              ;   in Loop: Header=BB920_213 Depth=1
	v_and_b32_e32 v42, 7, v40
	v_ffbh_u32_e32 v62, v42
	v_min_u32_e32 v64, 32, v62
	v_subrev_u32_e32 v62, 28, v64
	v_lshlrev_b64 v[62:63], v62, v[40:41]
	v_lshrrev_b32_e32 v61, 3, v38
	v_sub_u32_e32 v63, 29, v64
	v_and_b32_e32 v62, 7, v62
	v_cmp_gt_u32_e32 vcc, 8, v38
	v_cndmask_b32_e32 v38, v61, v63, vcc
	v_cndmask_b32_e32 v42, v42, v62, vcc
	v_lshlrev_b32_e32 v40, 24, v40
	v_lshlrev_b32_e32 v42, 20, v42
	v_and_b32_e32 v40, 0x80000000, v40
	v_lshl_add_u32 v38, v38, 23, v48
	v_or3_b32 v38, v40, v38, v42
	v_lshrrev_b32_e32 v61, 16, v38
.LBB920_499:                            ;   in Loop: Header=BB920_213 Depth=1
	s_or_b64 exec, exec, s[16:17]
.LBB920_500:                            ;   in Loop: Header=BB920_213 Depth=1
	s_or_b64 exec, exec, s[14:15]
.LBB920_501:                            ;   in Loop: Header=BB920_213 Depth=1
	s_or_b64 exec, exec, s[12:13]
	v_perm_b32 v62, v44, v46, s23
	buffer_load_dword v44, v59, s[0:3], 0 offen
	buffer_load_dword v42, v59, s[0:3], 0 offen offset:4
	buffer_load_dword v40, v59, s[0:3], 0 offen offset:8
	;; [unrolled: 1-line block ×3, first 2 shown]
	v_perm_b32 v63, v52, v50, s23
	v_perm_b32 v61, v61, v60, s23
	;; [unrolled: 1-line block ×3, first 2 shown]
	v_mfma_f32_16x16x16bf16_1k v[34:37], v[62:63], v[22:23], v[34:37]
	s_waitcnt vmcnt(3)
	v_cmp_ne_u16_sdwa s[14:15], v44, v47 src0_sel:BYTE_0 src1_sel:DWORD
	v_mfma_f32_16x16x16bf16_1k v[34:37], v[60:61], v[24:25], v[34:37]
	s_and_saveexec_b64 s[12:13], s[14:15]
	s_cbranch_execz .LBB920_507
; %bb.502:                              ;   in Loop: Header=BB920_213 Depth=1
	v_cmp_ne_u16_sdwa s[16:17], v44, s9 src0_sel:BYTE_0 src1_sel:DWORD
	v_mov_b32_e32 v49, 0xffff8000
	s_and_saveexec_b64 s[14:15], s[16:17]
	s_cbranch_execz .LBB920_506
; %bb.503:                              ;   in Loop: Header=BB920_213 Depth=1
	v_and_b32_e32 v46, 0x7f, v44
	v_cmp_ne_u32_e32 vcc, s21, v46
	v_mov_b32_e32 v49, 0x7f80
	s_and_saveexec_b64 s[16:17], vcc
	s_cbranch_execz .LBB920_505
; %bb.504:                              ;   in Loop: Header=BB920_213 Depth=1
	v_and_b32_e32 v49, 7, v44
	v_ffbh_u32_e32 v50, v49
	v_min_u32_e32 v53, 32, v50
	v_subrev_u32_e32 v50, 28, v53
	v_lshlrev_b64 v[50:51], v50, v[44:45]
	v_lshrrev_b32_e32 v52, 3, v46
	v_sub_u32_e32 v51, 29, v53
	v_and_b32_e32 v50, 7, v50
	v_cmp_gt_u32_e32 vcc, 8, v46
	v_cndmask_b32_e32 v46, v52, v51, vcc
	v_cndmask_b32_e32 v49, v49, v50, vcc
	v_lshlrev_b32_e32 v50, 24, v44
	v_lshlrev_b32_e32 v49, 20, v49
	v_and_b32_e32 v50, 0x80000000, v50
	v_lshl_add_u32 v46, v46, 23, v48
	v_or3_b32 v46, v50, v46, v49
	v_lshrrev_b32_e32 v49, 16, v46
.LBB920_505:                            ;   in Loop: Header=BB920_213 Depth=1
	s_or_b64 exec, exec, s[16:17]
.LBB920_506:                            ;   in Loop: Header=BB920_213 Depth=1
	s_or_b64 exec, exec, s[14:15]
.LBB920_507:                            ;   in Loop: Header=BB920_213 Depth=1
	s_or_b64 exec, exec, s[12:13]
	v_lshrrev_b16_e32 v46, 8, v44
	v_cmp_ne_u16_e32 vcc, 0, v46
	v_mov_b32_e32 v51, 0
	v_mov_b32_e32 v50, 0
	s_and_saveexec_b64 s[12:13], vcc
	s_cbranch_execz .LBB920_513
; %bb.508:                              ;   in Loop: Header=BB920_213 Depth=1
	v_cmp_ne_u16_e32 vcc, s9, v46
	v_mov_b32_e32 v50, 0xffff8000
	s_and_saveexec_b64 s[14:15], vcc
	s_cbranch_execz .LBB920_512
; %bb.509:                              ;   in Loop: Header=BB920_213 Depth=1
	v_and_b32_e32 v52, 0x7f, v46
	v_cmp_ne_u32_e32 vcc, s21, v52
	v_mov_b32_e32 v50, 0x7f80
	s_and_saveexec_b64 s[16:17], vcc
	s_cbranch_execz .LBB920_511
; %bb.510:                              ;   in Loop: Header=BB920_213 Depth=1
	v_and_b32_e32 v50, 7, v46
	v_ffbh_u32_e32 v59, v50
	v_min_u32_e32 v59, 32, v59
	v_subrev_u32_e32 v60, 28, v59
	v_lshlrev_b64 v[60:61], v60, v[46:47]
	v_lshrrev_b32_e32 v53, 3, v52
	v_sub_u32_e32 v46, 29, v59
	v_and_b32_e32 v59, 7, v60
	v_cmp_gt_u32_e32 vcc, 8, v52
	v_cndmask_b32_e32 v46, v53, v46, vcc
	v_cndmask_b32_e32 v50, v50, v59, vcc
	v_lshlrev_b32_e32 v52, 16, v44
	v_lshlrev_b32_e32 v50, 20, v50
	v_and_b32_e32 v52, 0x80000000, v52
	v_lshl_add_u32 v46, v46, 23, v48
	v_or3_b32 v46, v52, v46, v50
	v_lshrrev_b32_e32 v50, 16, v46
.LBB920_511:                            ;   in Loop: Header=BB920_213 Depth=1
	s_or_b64 exec, exec, s[16:17]
.LBB920_512:                            ;   in Loop: Header=BB920_213 Depth=1
	s_or_b64 exec, exec, s[14:15]
.LBB920_513:                            ;   in Loop: Header=BB920_213 Depth=1
	s_or_b64 exec, exec, s[12:13]
	v_lshrrev_b32_e32 v46, 16, v44
	v_cmp_ne_u16_sdwa s[14:15], v46, v47 src0_sel:BYTE_0 src1_sel:DWORD
	s_and_saveexec_b64 s[12:13], s[14:15]
	s_cbranch_execz .LBB920_519
; %bb.514:                              ;   in Loop: Header=BB920_213 Depth=1
	v_cmp_ne_u16_sdwa s[16:17], v46, s9 src0_sel:BYTE_0 src1_sel:DWORD
	v_mov_b32_e32 v51, 0xffff8000
	s_and_saveexec_b64 s[14:15], s[16:17]
	s_cbranch_execz .LBB920_518
; %bb.515:                              ;   in Loop: Header=BB920_213 Depth=1
	v_bfe_u32 v52, v44, 16, 7
	v_cmp_ne_u32_e32 vcc, s21, v52
	v_mov_b32_e32 v51, 0x7f80
	s_and_saveexec_b64 s[16:17], vcc
	s_cbranch_execz .LBB920_517
; %bb.516:                              ;   in Loop: Header=BB920_213 Depth=1
	v_and_b32_e32 v51, 7, v46
	v_ffbh_u32_e32 v59, v51
	v_min_u32_e32 v59, 32, v59
	v_subrev_u32_e32 v60, 28, v59
	v_lshlrev_b64 v[60:61], v60, v[46:47]
	v_lshrrev_b32_e32 v53, 3, v52
	v_sub_u32_e32 v59, 29, v59
	v_and_b32_e32 v60, 7, v60
	v_cmp_gt_u32_e32 vcc, 8, v52
	v_cndmask_b32_e32 v52, v53, v59, vcc
	v_cndmask_b32_e32 v51, v51, v60, vcc
	v_lshlrev_b32_e32 v46, 24, v46
	v_lshlrev_b32_e32 v51, 20, v51
	v_and_b32_e32 v46, 0x80000000, v46
	v_lshl_add_u32 v52, v52, 23, v48
	v_or3_b32 v46, v46, v52, v51
	v_lshrrev_b32_e32 v51, 16, v46
.LBB920_517:                            ;   in Loop: Header=BB920_213 Depth=1
	s_or_b64 exec, exec, s[16:17]
.LBB920_518:                            ;   in Loop: Header=BB920_213 Depth=1
	s_or_b64 exec, exec, s[14:15]
.LBB920_519:                            ;   in Loop: Header=BB920_213 Depth=1
	s_or_b64 exec, exec, s[12:13]
	v_cmp_lt_u32_e32 vcc, s22, v44
	v_mov_b32_e32 v52, 0
	v_mov_b32_e32 v53, 0
	s_and_saveexec_b64 s[12:13], vcc
	s_cbranch_execz .LBB920_525
; %bb.520:                              ;   in Loop: Header=BB920_213 Depth=1
	v_lshrrev_b32_e32 v46, 24, v44
	v_cmp_ne_u32_e32 vcc, s9, v46
	v_mov_b32_e32 v53, 0xffff8000
	s_and_saveexec_b64 s[14:15], vcc
	s_cbranch_execz .LBB920_524
; %bb.521:                              ;   in Loop: Header=BB920_213 Depth=1
	v_bfe_u32 v44, v44, 24, 7
	v_cmp_ne_u32_e32 vcc, s21, v44
	v_mov_b32_e32 v53, 0x7f80
	s_and_saveexec_b64 s[16:17], vcc
	s_cbranch_execz .LBB920_523
; %bb.522:                              ;   in Loop: Header=BB920_213 Depth=1
	v_and_b32_e32 v53, 7, v46
	v_ffbh_u32_e32 v60, v53
	v_min_u32_e32 v62, 32, v60
	v_subrev_u32_e32 v60, 28, v62
	v_lshlrev_b64 v[60:61], v60, v[46:47]
	v_lshrrev_b32_e32 v59, 3, v44
	v_sub_u32_e32 v61, 29, v62
	v_and_b32_e32 v60, 7, v60
	v_cmp_gt_u32_e32 vcc, 8, v44
	v_cndmask_b32_e32 v44, v59, v61, vcc
	v_cndmask_b32_e32 v53, v53, v60, vcc
	v_lshlrev_b32_e32 v46, 24, v46
	v_lshlrev_b32_e32 v53, 20, v53
	v_and_b32_e32 v46, 0x80000000, v46
	v_lshl_add_u32 v44, v44, 23, v48
	v_or3_b32 v44, v46, v44, v53
	v_lshrrev_b32_e32 v53, 16, v44
.LBB920_523:                            ;   in Loop: Header=BB920_213 Depth=1
	s_or_b64 exec, exec, s[16:17]
.LBB920_524:                            ;   in Loop: Header=BB920_213 Depth=1
	s_or_b64 exec, exec, s[14:15]
.LBB920_525:                            ;   in Loop: Header=BB920_213 Depth=1
	s_or_b64 exec, exec, s[12:13]
	s_waitcnt vmcnt(2)
	v_cmp_ne_u16_sdwa s[14:15], v42, v47 src0_sel:BYTE_0 src1_sel:DWORD
	s_and_saveexec_b64 s[12:13], s[14:15]
	s_cbranch_execz .LBB920_531
; %bb.526:                              ;   in Loop: Header=BB920_213 Depth=1
	v_cmp_ne_u16_sdwa s[16:17], v42, s9 src0_sel:BYTE_0 src1_sel:DWORD
	v_mov_b32_e32 v52, 0xffff8000
	s_and_saveexec_b64 s[14:15], s[16:17]
	s_cbranch_execz .LBB920_530
; %bb.527:                              ;   in Loop: Header=BB920_213 Depth=1
	v_and_b32_e32 v44, 0x7f, v42
	v_cmp_ne_u32_e32 vcc, s21, v44
	v_mov_b32_e32 v52, 0x7f80
	s_and_saveexec_b64 s[16:17], vcc
	s_cbranch_execz .LBB920_529
; %bb.528:                              ;   in Loop: Header=BB920_213 Depth=1
	v_and_b32_e32 v46, 7, v42
	v_ffbh_u32_e32 v59, v46
	v_min_u32_e32 v59, 32, v59
	v_subrev_u32_e32 v60, 28, v59
	v_lshlrev_b64 v[60:61], v60, v[42:43]
	v_lshrrev_b32_e32 v52, 3, v44
	v_sub_u32_e32 v59, 29, v59
	v_and_b32_e32 v60, 7, v60
	v_cmp_gt_u32_e32 vcc, 8, v44
	v_cndmask_b32_e32 v44, v52, v59, vcc
	v_cndmask_b32_e32 v46, v46, v60, vcc
	v_lshlrev_b32_e32 v52, 24, v42
	v_lshlrev_b32_e32 v46, 20, v46
	v_and_b32_e32 v52, 0x80000000, v52
	v_lshl_add_u32 v44, v44, 23, v48
	v_or3_b32 v44, v52, v44, v46
	v_lshrrev_b32_e32 v52, 16, v44
.LBB920_529:                            ;   in Loop: Header=BB920_213 Depth=1
	s_or_b64 exec, exec, s[16:17]
.LBB920_530:                            ;   in Loop: Header=BB920_213 Depth=1
	s_or_b64 exec, exec, s[14:15]
.LBB920_531:                            ;   in Loop: Header=BB920_213 Depth=1
	s_or_b64 exec, exec, s[12:13]
	v_lshrrev_b16_e32 v44, 8, v42
	v_cmp_ne_u16_e32 vcc, 0, v44
	v_mov_b32_e32 v60, 0
	v_mov_b32_e32 v59, 0
	s_and_saveexec_b64 s[12:13], vcc
	s_cbranch_execz .LBB920_537
; %bb.532:                              ;   in Loop: Header=BB920_213 Depth=1
	v_cmp_ne_u16_e32 vcc, s9, v44
	v_mov_b32_e32 v59, 0xffff8000
	s_and_saveexec_b64 s[14:15], vcc
	s_cbranch_execz .LBB920_536
; %bb.533:                              ;   in Loop: Header=BB920_213 Depth=1
	v_and_b32_e32 v46, 0x7f, v44
	v_cmp_ne_u32_e32 vcc, s21, v46
	v_mov_b32_e32 v59, 0x7f80
	s_and_saveexec_b64 s[16:17], vcc
	s_cbranch_execz .LBB920_535
; %bb.534:                              ;   in Loop: Header=BB920_213 Depth=1
	v_and_b32_e32 v59, 7, v44
	v_ffbh_u32_e32 v62, v59
	v_min_u32_e32 v64, 32, v62
	v_subrev_u32_e32 v62, 28, v64
	v_lshlrev_b64 v[62:63], v62, v[44:45]
	v_lshrrev_b32_e32 v61, 3, v46
	v_sub_u32_e32 v44, 29, v64
	v_and_b32_e32 v62, 7, v62
	v_cmp_gt_u32_e32 vcc, 8, v46
	v_cndmask_b32_e32 v44, v61, v44, vcc
	v_cndmask_b32_e32 v46, v59, v62, vcc
	v_lshlrev_b32_e32 v59, 16, v42
	v_lshlrev_b32_e32 v46, 20, v46
	v_and_b32_e32 v59, 0x80000000, v59
	v_lshl_add_u32 v44, v44, 23, v48
	v_or3_b32 v44, v59, v44, v46
	v_lshrrev_b32_e32 v59, 16, v44
.LBB920_535:                            ;   in Loop: Header=BB920_213 Depth=1
	s_or_b64 exec, exec, s[16:17]
.LBB920_536:                            ;   in Loop: Header=BB920_213 Depth=1
	s_or_b64 exec, exec, s[14:15]
.LBB920_537:                            ;   in Loop: Header=BB920_213 Depth=1
	s_or_b64 exec, exec, s[12:13]
	v_lshrrev_b32_e32 v44, 16, v42
	v_cmp_ne_u16_sdwa s[14:15], v44, v47 src0_sel:BYTE_0 src1_sel:DWORD
	s_and_saveexec_b64 s[12:13], s[14:15]
	s_cbranch_execz .LBB920_543
; %bb.538:                              ;   in Loop: Header=BB920_213 Depth=1
	v_cmp_ne_u16_sdwa s[16:17], v44, s9 src0_sel:BYTE_0 src1_sel:DWORD
	v_mov_b32_e32 v60, 0xffff8000
	s_and_saveexec_b64 s[14:15], s[16:17]
	s_cbranch_execz .LBB920_542
; %bb.539:                              ;   in Loop: Header=BB920_213 Depth=1
	v_bfe_u32 v46, v42, 16, 7
	v_cmp_ne_u32_e32 vcc, s21, v46
	v_mov_b32_e32 v60, 0x7f80
	s_and_saveexec_b64 s[16:17], vcc
	s_cbranch_execz .LBB920_541
; %bb.540:                              ;   in Loop: Header=BB920_213 Depth=1
	v_and_b32_e32 v62, 7, v44
	v_ffbh_u32_e32 v60, v62
	v_min_u32_e32 v64, 32, v60
	v_subrev_u32_e32 v60, 28, v64
	v_lshlrev_b64 v[60:61], v60, v[44:45]
	v_lshrrev_b32_e32 v63, 3, v46
	v_sub_u32_e32 v61, 29, v64
	v_and_b32_e32 v60, 7, v60
	v_cmp_gt_u32_e32 vcc, 8, v46
	v_cndmask_b32_e32 v46, v63, v61, vcc
	v_cndmask_b32_e32 v60, v62, v60, vcc
	v_lshlrev_b32_e32 v44, 24, v44
	v_lshlrev_b32_e32 v60, 20, v60
	v_and_b32_e32 v44, 0x80000000, v44
	v_lshl_add_u32 v46, v46, 23, v48
	v_or3_b32 v44, v44, v46, v60
	v_lshrrev_b32_e32 v60, 16, v44
.LBB920_541:                            ;   in Loop: Header=BB920_213 Depth=1
	s_or_b64 exec, exec, s[16:17]
.LBB920_542:                            ;   in Loop: Header=BB920_213 Depth=1
	s_or_b64 exec, exec, s[14:15]
.LBB920_543:                            ;   in Loop: Header=BB920_213 Depth=1
	s_or_b64 exec, exec, s[12:13]
	v_cmp_lt_u32_e32 vcc, s22, v42
	v_mov_b32_e32 v46, 0
	v_mov_b32_e32 v61, 0
	s_and_saveexec_b64 s[12:13], vcc
	s_cbranch_execz .LBB920_549
; %bb.544:                              ;   in Loop: Header=BB920_213 Depth=1
	v_lshrrev_b32_e32 v44, 24, v42
	v_cmp_ne_u32_e32 vcc, s9, v44
	v_mov_b32_e32 v61, 0xffff8000
	s_and_saveexec_b64 s[14:15], vcc
	s_cbranch_execz .LBB920_548
; %bb.545:                              ;   in Loop: Header=BB920_213 Depth=1
	v_bfe_u32 v42, v42, 24, 7
	v_cmp_ne_u32_e32 vcc, s21, v42
	v_mov_b32_e32 v61, 0x7f80
	s_and_saveexec_b64 s[16:17], vcc
	s_cbranch_execz .LBB920_547
; %bb.546:                              ;   in Loop: Header=BB920_213 Depth=1
	v_and_b32_e32 v61, 7, v44
	v_ffbh_u32_e32 v62, v61
	v_min_u32_e32 v65, 32, v62
	v_subrev_u32_e32 v62, 28, v65
	v_lshlrev_b64 v[62:63], v62, v[44:45]
	v_lshrrev_b32_e32 v64, 3, v42
	v_sub_u32_e32 v63, 29, v65
	v_and_b32_e32 v62, 7, v62
	v_cmp_gt_u32_e32 vcc, 8, v42
	v_cndmask_b32_e32 v42, v64, v63, vcc
	v_cndmask_b32_e32 v61, v61, v62, vcc
	v_lshlrev_b32_e32 v44, 24, v44
	v_lshlrev_b32_e32 v61, 20, v61
	v_and_b32_e32 v44, 0x80000000, v44
	v_lshl_add_u32 v42, v42, 23, v48
	v_or3_b32 v42, v44, v42, v61
	v_lshrrev_b32_e32 v61, 16, v42
.LBB920_547:                            ;   in Loop: Header=BB920_213 Depth=1
	s_or_b64 exec, exec, s[16:17]
.LBB920_548:                            ;   in Loop: Header=BB920_213 Depth=1
	s_or_b64 exec, exec, s[14:15]
.LBB920_549:                            ;   in Loop: Header=BB920_213 Depth=1
	s_or_b64 exec, exec, s[12:13]
	v_perm_b32 v51, v53, v51, s23
	v_perm_b32 v50, v50, v49, s23
	s_waitcnt vmcnt(1)
	v_cmp_ne_u16_sdwa s[14:15], v40, v47 src0_sel:BYTE_0 src1_sel:DWORD
	v_mfma_f32_16x16x16bf16_1k v[34:37], v[50:51], v[26:27], v[34:37]
	v_perm_b32 v51, v61, v60, s23
	v_perm_b32 v50, v59, v52, s23
	s_nop 1
	v_mfma_f32_16x16x16bf16_1k v[34:37], v[50:51], v[28:29], v[34:37]
	s_and_saveexec_b64 s[12:13], s[14:15]
	s_cbranch_execz .LBB920_555
; %bb.550:                              ;   in Loop: Header=BB920_213 Depth=1
	v_cmp_ne_u16_sdwa s[16:17], v40, s9 src0_sel:BYTE_0 src1_sel:DWORD
	v_mov_b32_e32 v46, 0xffff8000
	s_and_saveexec_b64 s[14:15], s[16:17]
	s_cbranch_execz .LBB920_554
; %bb.551:                              ;   in Loop: Header=BB920_213 Depth=1
	v_and_b32_e32 v42, 0x7f, v40
	v_cmp_ne_u32_e32 vcc, s21, v42
	v_mov_b32_e32 v46, 0x7f80
	s_and_saveexec_b64 s[16:17], vcc
	s_cbranch_execz .LBB920_553
; %bb.552:                              ;   in Loop: Header=BB920_213 Depth=1
	v_and_b32_e32 v44, 7, v40
	v_ffbh_u32_e32 v49, v44
	v_min_u32_e32 v49, 32, v49
	v_subrev_u32_e32 v50, 28, v49
	v_lshlrev_b64 v[50:51], v50, v[40:41]
	v_lshrrev_b32_e32 v46, 3, v42
	v_sub_u32_e32 v49, 29, v49
	v_and_b32_e32 v50, 7, v50
	v_cmp_gt_u32_e32 vcc, 8, v42
	v_cndmask_b32_e32 v42, v46, v49, vcc
	v_cndmask_b32_e32 v44, v44, v50, vcc
	v_lshlrev_b32_e32 v46, 24, v40
	v_lshlrev_b32_e32 v44, 20, v44
	v_and_b32_e32 v46, 0x80000000, v46
	v_lshl_add_u32 v42, v42, 23, v48
	v_or3_b32 v42, v46, v42, v44
	v_lshrrev_b32_e32 v46, 16, v42
.LBB920_553:                            ;   in Loop: Header=BB920_213 Depth=1
	s_or_b64 exec, exec, s[16:17]
.LBB920_554:                            ;   in Loop: Header=BB920_213 Depth=1
	s_or_b64 exec, exec, s[14:15]
.LBB920_555:                            ;   in Loop: Header=BB920_213 Depth=1
	s_or_b64 exec, exec, s[12:13]
	v_lshrrev_b16_e32 v42, 8, v40
	v_cmp_ne_u16_e32 vcc, 0, v42
	v_mov_b32_e32 v49, 0
	v_mov_b32_e32 v44, 0
	s_and_saveexec_b64 s[12:13], vcc
	s_cbranch_execz .LBB920_561
; %bb.556:                              ;   in Loop: Header=BB920_213 Depth=1
	v_cmp_ne_u16_e32 vcc, s9, v42
	v_mov_b32_e32 v44, 0xffff8000
	s_and_saveexec_b64 s[14:15], vcc
	s_cbranch_execz .LBB920_560
; %bb.557:                              ;   in Loop: Header=BB920_213 Depth=1
	v_and_b32_e32 v50, 0x7f, v42
	v_cmp_ne_u32_e32 vcc, s21, v50
	v_mov_b32_e32 v44, 0x7f80
	s_and_saveexec_b64 s[16:17], vcc
	s_cbranch_execz .LBB920_559
; %bb.558:                              ;   in Loop: Header=BB920_213 Depth=1
	v_and_b32_e32 v44, 7, v42
	v_ffbh_u32_e32 v52, v44
	v_min_u32_e32 v59, 32, v52
	v_subrev_u32_e32 v52, 28, v59
	v_lshlrev_b64 v[52:53], v52, v[42:43]
	v_lshrrev_b32_e32 v51, 3, v50
	v_sub_u32_e32 v42, 29, v59
	v_and_b32_e32 v52, 7, v52
	v_cmp_gt_u32_e32 vcc, 8, v50
	v_cndmask_b32_e32 v42, v51, v42, vcc
	v_cndmask_b32_e32 v44, v44, v52, vcc
	v_lshlrev_b32_e32 v50, 16, v40
	v_lshlrev_b32_e32 v44, 20, v44
	v_and_b32_e32 v50, 0x80000000, v50
	v_lshl_add_u32 v42, v42, 23, v48
	v_or3_b32 v42, v50, v42, v44
	v_lshrrev_b32_e32 v44, 16, v42
.LBB920_559:                            ;   in Loop: Header=BB920_213 Depth=1
	s_or_b64 exec, exec, s[16:17]
.LBB920_560:                            ;   in Loop: Header=BB920_213 Depth=1
	s_or_b64 exec, exec, s[14:15]
.LBB920_561:                            ;   in Loop: Header=BB920_213 Depth=1
	s_or_b64 exec, exec, s[12:13]
	v_lshrrev_b32_e32 v42, 16, v40
	v_cmp_ne_u16_sdwa s[14:15], v42, v47 src0_sel:BYTE_0 src1_sel:DWORD
	s_and_saveexec_b64 s[12:13], s[14:15]
	s_cbranch_execz .LBB920_567
; %bb.562:                              ;   in Loop: Header=BB920_213 Depth=1
	v_cmp_ne_u16_sdwa s[16:17], v42, s9 src0_sel:BYTE_0 src1_sel:DWORD
	v_mov_b32_e32 v49, 0xffff8000
	s_and_saveexec_b64 s[14:15], s[16:17]
	s_cbranch_execz .LBB920_566
; %bb.563:                              ;   in Loop: Header=BB920_213 Depth=1
	v_bfe_u32 v50, v40, 16, 7
	v_cmp_ne_u32_e32 vcc, s21, v50
	v_mov_b32_e32 v49, 0x7f80
	s_and_saveexec_b64 s[16:17], vcc
	s_cbranch_execz .LBB920_565
; %bb.564:                              ;   in Loop: Header=BB920_213 Depth=1
	v_and_b32_e32 v49, 7, v42
	v_ffbh_u32_e32 v52, v49
	v_min_u32_e32 v59, 32, v52
	v_subrev_u32_e32 v52, 28, v59
	v_lshlrev_b64 v[52:53], v52, v[42:43]
	v_lshrrev_b32_e32 v51, 3, v50
	v_sub_u32_e32 v53, 29, v59
	v_and_b32_e32 v52, 7, v52
	v_cmp_gt_u32_e32 vcc, 8, v50
	v_cndmask_b32_e32 v50, v51, v53, vcc
	v_cndmask_b32_e32 v49, v49, v52, vcc
	v_lshlrev_b32_e32 v42, 24, v42
	v_lshlrev_b32_e32 v49, 20, v49
	v_and_b32_e32 v42, 0x80000000, v42
	v_lshl_add_u32 v50, v50, 23, v48
	v_or3_b32 v42, v42, v50, v49
	v_lshrrev_b32_e32 v49, 16, v42
.LBB920_565:                            ;   in Loop: Header=BB920_213 Depth=1
	s_or_b64 exec, exec, s[16:17]
.LBB920_566:                            ;   in Loop: Header=BB920_213 Depth=1
	s_or_b64 exec, exec, s[14:15]
.LBB920_567:                            ;   in Loop: Header=BB920_213 Depth=1
	s_or_b64 exec, exec, s[12:13]
	v_cmp_lt_u32_e32 vcc, s22, v40
	v_mov_b32_e32 v50, 0
	v_mov_b32_e32 v51, 0
	s_and_saveexec_b64 s[12:13], vcc
	s_cbranch_execz .LBB920_573
; %bb.568:                              ;   in Loop: Header=BB920_213 Depth=1
	v_lshrrev_b32_e32 v42, 24, v40
	v_cmp_ne_u32_e32 vcc, s9, v42
	v_mov_b32_e32 v51, 0xffff8000
	s_and_saveexec_b64 s[14:15], vcc
	s_cbranch_execz .LBB920_572
; %bb.569:                              ;   in Loop: Header=BB920_213 Depth=1
	v_bfe_u32 v40, v40, 24, 7
	v_cmp_ne_u32_e32 vcc, s21, v40
	v_mov_b32_e32 v51, 0x7f80
	s_and_saveexec_b64 s[16:17], vcc
	s_cbranch_execz .LBB920_571
; %bb.570:                              ;   in Loop: Header=BB920_213 Depth=1
	v_and_b32_e32 v51, 7, v42
	v_ffbh_u32_e32 v52, v51
	v_min_u32_e32 v60, 32, v52
	v_subrev_u32_e32 v52, 28, v60
	v_lshlrev_b64 v[52:53], v52, v[42:43]
	v_lshrrev_b32_e32 v59, 3, v40
	v_sub_u32_e32 v53, 29, v60
	v_and_b32_e32 v52, 7, v52
	v_cmp_gt_u32_e32 vcc, 8, v40
	v_cndmask_b32_e32 v40, v59, v53, vcc
	v_cndmask_b32_e32 v51, v51, v52, vcc
	v_lshlrev_b32_e32 v42, 24, v42
	v_lshlrev_b32_e32 v51, 20, v51
	v_and_b32_e32 v42, 0x80000000, v42
	v_lshl_add_u32 v40, v40, 23, v48
	v_or3_b32 v40, v42, v40, v51
	v_lshrrev_b32_e32 v51, 16, v40
.LBB920_571:                            ;   in Loop: Header=BB920_213 Depth=1
	s_or_b64 exec, exec, s[16:17]
.LBB920_572:                            ;   in Loop: Header=BB920_213 Depth=1
	s_or_b64 exec, exec, s[14:15]
.LBB920_573:                            ;   in Loop: Header=BB920_213 Depth=1
	s_or_b64 exec, exec, s[12:13]
	s_waitcnt vmcnt(0)
	v_cmp_ne_u16_sdwa s[14:15], v38, v47 src0_sel:BYTE_0 src1_sel:DWORD
	s_and_saveexec_b64 s[12:13], s[14:15]
	s_cbranch_execz .LBB920_579
; %bb.574:                              ;   in Loop: Header=BB920_213 Depth=1
	v_cmp_ne_u16_sdwa s[16:17], v38, s9 src0_sel:BYTE_0 src1_sel:DWORD
	v_mov_b32_e32 v50, 0xffff8000
	s_and_saveexec_b64 s[14:15], s[16:17]
	s_cbranch_execz .LBB920_578
; %bb.575:                              ;   in Loop: Header=BB920_213 Depth=1
	v_and_b32_e32 v40, 0x7f, v38
	v_cmp_ne_u32_e32 vcc, s21, v40
	v_mov_b32_e32 v50, 0x7f80
	s_and_saveexec_b64 s[16:17], vcc
	s_cbranch_execz .LBB920_577
; %bb.576:                              ;   in Loop: Header=BB920_213 Depth=1
	v_and_b32_e32 v42, 7, v38
	v_ffbh_u32_e32 v52, v42
	v_min_u32_e32 v59, 32, v52
	v_subrev_u32_e32 v52, 28, v59
	v_lshlrev_b64 v[52:53], v52, v[38:39]
	v_lshrrev_b32_e32 v50, 3, v40
	v_sub_u32_e32 v53, 29, v59
	v_and_b32_e32 v52, 7, v52
	v_cmp_gt_u32_e32 vcc, 8, v40
	v_cndmask_b32_e32 v40, v50, v53, vcc
	v_cndmask_b32_e32 v42, v42, v52, vcc
	v_lshlrev_b32_e32 v50, 24, v38
	v_lshlrev_b32_e32 v42, 20, v42
	v_and_b32_e32 v50, 0x80000000, v50
	v_lshl_add_u32 v40, v40, 23, v48
	v_or3_b32 v40, v50, v40, v42
	v_lshrrev_b32_e32 v50, 16, v40
.LBB920_577:                            ;   in Loop: Header=BB920_213 Depth=1
	s_or_b64 exec, exec, s[16:17]
.LBB920_578:                            ;   in Loop: Header=BB920_213 Depth=1
	s_or_b64 exec, exec, s[14:15]
.LBB920_579:                            ;   in Loop: Header=BB920_213 Depth=1
	s_or_b64 exec, exec, s[12:13]
	v_lshrrev_b16_e32 v40, 8, v38
	v_cmp_ne_u16_e32 vcc, 0, v40
	v_mov_b32_e32 v52, 0
	v_mov_b32_e32 v42, 0
	s_and_saveexec_b64 s[12:13], vcc
	s_cbranch_execz .LBB920_585
; %bb.580:                              ;   in Loop: Header=BB920_213 Depth=1
	v_cmp_ne_u16_e32 vcc, s9, v40
	v_mov_b32_e32 v42, 0xffff8000
	s_and_saveexec_b64 s[14:15], vcc
	s_cbranch_execz .LBB920_584
; %bb.581:                              ;   in Loop: Header=BB920_213 Depth=1
	v_and_b32_e32 v53, 0x7f, v40
	v_cmp_ne_u32_e32 vcc, s21, v53
	v_mov_b32_e32 v42, 0x7f80
	s_and_saveexec_b64 s[16:17], vcc
	s_cbranch_execz .LBB920_583
; %bb.582:                              ;   in Loop: Header=BB920_213 Depth=1
	v_and_b32_e32 v42, 7, v40
	v_ffbh_u32_e32 v60, v42
	v_min_u32_e32 v62, 32, v60
	v_subrev_u32_e32 v60, 28, v62
	v_lshlrev_b64 v[60:61], v60, v[40:41]
	v_lshrrev_b32_e32 v59, 3, v53
	v_sub_u32_e32 v40, 29, v62
	v_and_b32_e32 v60, 7, v60
	v_cmp_gt_u32_e32 vcc, 8, v53
	v_cndmask_b32_e32 v40, v59, v40, vcc
	v_cndmask_b32_e32 v42, v42, v60, vcc
	v_lshlrev_b32_e32 v53, 16, v38
	v_lshlrev_b32_e32 v42, 20, v42
	v_and_b32_e32 v53, 0x80000000, v53
	v_lshl_add_u32 v40, v40, 23, v48
	v_or3_b32 v40, v53, v40, v42
	v_lshrrev_b32_e32 v42, 16, v40
.LBB920_583:                            ;   in Loop: Header=BB920_213 Depth=1
	s_or_b64 exec, exec, s[16:17]
.LBB920_584:                            ;   in Loop: Header=BB920_213 Depth=1
	s_or_b64 exec, exec, s[14:15]
.LBB920_585:                            ;   in Loop: Header=BB920_213 Depth=1
	s_or_b64 exec, exec, s[12:13]
	v_lshrrev_b32_e32 v40, 16, v38
	v_cmp_ne_u16_sdwa s[14:15], v40, v47 src0_sel:BYTE_0 src1_sel:DWORD
	s_and_saveexec_b64 s[12:13], s[14:15]
	s_cbranch_execz .LBB920_591
; %bb.586:                              ;   in Loop: Header=BB920_213 Depth=1
	v_cmp_ne_u16_sdwa s[16:17], v40, s9 src0_sel:BYTE_0 src1_sel:DWORD
	v_mov_b32_e32 v52, 0xffff8000
	s_and_saveexec_b64 s[14:15], s[16:17]
	s_cbranch_execz .LBB920_590
; %bb.587:                              ;   in Loop: Header=BB920_213 Depth=1
	v_bfe_u32 v53, v38, 16, 7
	v_cmp_ne_u32_e32 vcc, s21, v53
	v_mov_b32_e32 v52, 0x7f80
	s_and_saveexec_b64 s[16:17], vcc
	s_cbranch_execz .LBB920_589
; %bb.588:                              ;   in Loop: Header=BB920_213 Depth=1
	v_and_b32_e32 v52, 7, v40
	v_ffbh_u32_e32 v60, v52
	v_min_u32_e32 v62, 32, v60
	v_subrev_u32_e32 v60, 28, v62
	v_lshlrev_b64 v[60:61], v60, v[40:41]
	v_lshrrev_b32_e32 v59, 3, v53
	v_sub_u32_e32 v61, 29, v62
	v_and_b32_e32 v60, 7, v60
	v_cmp_gt_u32_e32 vcc, 8, v53
	v_cndmask_b32_e32 v53, v59, v61, vcc
	v_cndmask_b32_e32 v52, v52, v60, vcc
	v_lshlrev_b32_e32 v40, 24, v40
	v_lshlrev_b32_e32 v52, 20, v52
	v_and_b32_e32 v40, 0x80000000, v40
	v_lshl_add_u32 v53, v53, 23, v48
	v_or3_b32 v40, v40, v53, v52
	v_lshrrev_b32_e32 v52, 16, v40
.LBB920_589:                            ;   in Loop: Header=BB920_213 Depth=1
	s_or_b64 exec, exec, s[16:17]
.LBB920_590:                            ;   in Loop: Header=BB920_213 Depth=1
	s_or_b64 exec, exec, s[14:15]
.LBB920_591:                            ;   in Loop: Header=BB920_213 Depth=1
	s_or_b64 exec, exec, s[12:13]
	v_cmp_lt_u32_e32 vcc, s22, v38
	v_mov_b32_e32 v53, 0
	s_and_saveexec_b64 s[12:13], vcc
	s_cbranch_execz .LBB920_212
; %bb.592:                              ;   in Loop: Header=BB920_213 Depth=1
	v_lshrrev_b32_e32 v40, 24, v38
	v_cmp_ne_u32_e32 vcc, s9, v40
	v_mov_b32_e32 v53, 0xffff8000
	s_and_saveexec_b64 s[14:15], vcc
	s_cbranch_execz .LBB920_211
; %bb.593:                              ;   in Loop: Header=BB920_213 Depth=1
	v_bfe_u32 v38, v38, 24, 7
	v_cmp_ne_u32_e32 vcc, s21, v38
	v_mov_b32_e32 v53, 0x7f80
	s_and_saveexec_b64 s[16:17], vcc
	s_cbranch_execz .LBB920_210
; %bb.594:                              ;   in Loop: Header=BB920_213 Depth=1
	v_and_b32_e32 v53, 7, v40
	v_ffbh_u32_e32 v60, v53
	v_min_u32_e32 v62, 32, v60
	v_subrev_u32_e32 v60, 28, v62
	v_lshlrev_b64 v[60:61], v60, v[40:41]
	v_lshrrev_b32_e32 v59, 3, v38
	v_sub_u32_e32 v61, 29, v62
	v_and_b32_e32 v60, 7, v60
	v_cmp_gt_u32_e32 vcc, 8, v38
	v_cndmask_b32_e32 v38, v59, v61, vcc
	v_cndmask_b32_e32 v53, v53, v60, vcc
	v_lshlrev_b32_e32 v40, 24, v40
	v_lshlrev_b32_e32 v53, 20, v53
	v_and_b32_e32 v40, 0x80000000, v40
	v_lshl_add_u32 v38, v38, 23, v48
	v_or3_b32 v38, v40, v38, v53
	v_lshrrev_b32_e32 v53, 16, v38
	s_branch .LBB920_210
.LBB920_595:
	s_barrier
	buffer_load_dword v2, off, s[0:3], 0 offset:320
	buffer_load_dword v5, off, s[0:3], 0 offset:332
	;; [unrolled: 1-line block ×4, first 2 shown]
	v_cmp_gt_u32_e32 vcc, 64, v0
	s_waitcnt vmcnt(0)
	ds_write2st64_b64 v43, v[2:3], v[4:5] offset1:1
	s_waitcnt lgkmcnt(0)
	s_barrier
	s_and_saveexec_b64 s[4:5], vcc
	s_cbranch_execz .LBB920_598
; %bb.596:
	s_lshl_b32 s4, s50, 7
	s_mul_i32 s5, s18, s8
	s_mul_hi_u32 s9, s5, s4
	s_mul_i32 s8, s5, s4
	s_lshl_b64 s[8:9], s[8:9], 1
	v_lshlrev_b32_e32 v4, 6, v55
	s_add_u32 s5, s48, s8
	v_lshl_or_b32 v0, v0, 10, v4
	s_mov_b32 s7, 0
	s_addc_u32 s8, s49, s9
	s_lshl_b32 s6, s24, 7
	v_lshlrev_b32_e32 v2, 5, v1
	v_and_b32_e32 v3, 16, v56
	v_and_b32_e32 v0, 0x1a00, v0
	s_lshl_b64 s[6:7], s[6:7], 1
	v_or3_b32 v0, v0, v2, v3
	s_add_u32 s5, s5, s6
	s_addc_u32 s6, s8, s7
	ds_read_b128 v[4:7], v0 offset:128
	ds_read_b128 v[8:11], v0
	v_add_u32_e32 v14, s25, v1
	v_mov_b32_e32 v3, s6
	v_add_co_u32_e32 v2, vcc, s5, v54
	v_mad_u64_u32 v[12:13], s[6:7], v14, s4, 0
	v_addc_co_u32_e32 v3, vcc, 0, v3, vcc
	v_lshlrev_b64 v[12:13], 1, v[12:13]
	v_add_co_u32_e32 v12, vcc, v2, v12
	v_addc_co_u32_e32 v13, vcc, v3, v13, vcc
	s_waitcnt lgkmcnt(0)
	global_store_dwordx4 v[12:13], v[8:11], off
	s_nop 0
	v_add_u32_e32 v8, 4, v14
	v_mad_u64_u32 v[8:9], s[6:7], v8, s4, 0
	v_lshlrev_b64 v[8:9], 1, v[8:9]
	v_add_co_u32_e32 v8, vcc, v2, v8
	v_addc_co_u32_e32 v9, vcc, v3, v9, vcc
	v_cmp_ne_u32_e32 vcc, 3, v1
	global_store_dwordx4 v[8:9], v[4:7], off
	s_and_b64 exec, exec, vcc
	s_cbranch_execz .LBB920_598
; %bb.597:
	ds_read_b128 v[4:7], v0 offset:256
	v_add3_u32 v0, s25, v1, 8
	v_mad_u64_u32 v[0:1], s[4:5], v0, s4, 0
	v_lshlrev_b64 v[0:1], 1, v[0:1]
	v_add_co_u32_e32 v0, vcc, v2, v0
	v_addc_co_u32_e32 v1, vcc, v3, v1, vcc
	s_waitcnt lgkmcnt(0)
	global_store_dwordx4 v[0:1], v[4:7], off
.LBB920_598:
	s_endpgm
	.section	.rodata,"a",@progbits
	.p2align	6, 0x0
	.amdhsa_kernel _Z39paged_attention_ll4mi_QKV_mfma16_kernelI14__hip_bfloat16hLN4vllm18Fp8KVCacheDataTypeE1ES0_Li16ELi128ELi256ELb0ELi11EL8MFMAType0EEvPKT_PKT0_S9_ifPKiSB_SB_iPKfiiiPfSE_PS4_PT2_iSD_SD_
		.amdhsa_group_segment_fixed_size 8192
		.amdhsa_private_segment_fixed_size 352
		.amdhsa_kernarg_size 400
		.amdhsa_user_sgpr_count 8
		.amdhsa_user_sgpr_private_segment_buffer 1
		.amdhsa_user_sgpr_dispatch_ptr 0
		.amdhsa_user_sgpr_queue_ptr 0
		.amdhsa_user_sgpr_kernarg_segment_ptr 1
		.amdhsa_user_sgpr_dispatch_id 0
		.amdhsa_user_sgpr_flat_scratch_init 1
		.amdhsa_user_sgpr_kernarg_preload_length 0
		.amdhsa_user_sgpr_kernarg_preload_offset 0
		.amdhsa_user_sgpr_private_segment_size 0
		.amdhsa_uses_dynamic_stack 0
		.amdhsa_system_sgpr_private_segment_wavefront_offset 1
		.amdhsa_system_sgpr_workgroup_id_x 1
		.amdhsa_system_sgpr_workgroup_id_y 1
		.amdhsa_system_sgpr_workgroup_id_z 1
		.amdhsa_system_sgpr_workgroup_info 0
		.amdhsa_system_vgpr_workitem_id 0
		.amdhsa_next_free_vgpr 76
		.amdhsa_next_free_sgpr 53
		.amdhsa_accum_offset 76
		.amdhsa_reserve_vcc 1
		.amdhsa_reserve_flat_scratch 0
		.amdhsa_float_round_mode_32 0
		.amdhsa_float_round_mode_16_64 0
		.amdhsa_float_denorm_mode_32 3
		.amdhsa_float_denorm_mode_16_64 3
		.amdhsa_dx10_clamp 1
		.amdhsa_ieee_mode 1
		.amdhsa_fp16_overflow 0
		.amdhsa_tg_split 0
		.amdhsa_exception_fp_ieee_invalid_op 0
		.amdhsa_exception_fp_denorm_src 0
		.amdhsa_exception_fp_ieee_div_zero 0
		.amdhsa_exception_fp_ieee_overflow 0
		.amdhsa_exception_fp_ieee_underflow 0
		.amdhsa_exception_fp_ieee_inexact 0
		.amdhsa_exception_int_div_zero 0
	.end_amdhsa_kernel
	.section	.text._Z39paged_attention_ll4mi_QKV_mfma16_kernelI14__hip_bfloat16hLN4vllm18Fp8KVCacheDataTypeE1ES0_Li16ELi128ELi256ELb0ELi11EL8MFMAType0EEvPKT_PKT0_S9_ifPKiSB_SB_iPKfiiiPfSE_PS4_PT2_iSD_SD_,"axG",@progbits,_Z39paged_attention_ll4mi_QKV_mfma16_kernelI14__hip_bfloat16hLN4vllm18Fp8KVCacheDataTypeE1ES0_Li16ELi128ELi256ELb0ELi11EL8MFMAType0EEvPKT_PKT0_S9_ifPKiSB_SB_iPKfiiiPfSE_PS4_PT2_iSD_SD_,comdat
.Lfunc_end920:
	.size	_Z39paged_attention_ll4mi_QKV_mfma16_kernelI14__hip_bfloat16hLN4vllm18Fp8KVCacheDataTypeE1ES0_Li16ELi128ELi256ELb0ELi11EL8MFMAType0EEvPKT_PKT0_S9_ifPKiSB_SB_iPKfiiiPfSE_PS4_PT2_iSD_SD_, .Lfunc_end920-_Z39paged_attention_ll4mi_QKV_mfma16_kernelI14__hip_bfloat16hLN4vllm18Fp8KVCacheDataTypeE1ES0_Li16ELi128ELi256ELb0ELi11EL8MFMAType0EEvPKT_PKT0_S9_ifPKiSB_SB_iPKfiiiPfSE_PS4_PT2_iSD_SD_
                                        ; -- End function
	.section	.AMDGPU.csdata,"",@progbits
; Kernel info:
; codeLenInByte = 22256
; NumSgprs: 57
; NumVgprs: 76
; NumAgprs: 0
; TotalNumVgprs: 76
; ScratchSize: 352
; MemoryBound: 0
; FloatMode: 240
; IeeeMode: 1
; LDSByteSize: 8192 bytes/workgroup (compile time only)
; SGPRBlocks: 7
; VGPRBlocks: 9
; NumSGPRsForWavesPerEU: 57
; NumVGPRsForWavesPerEU: 76
; AccumOffset: 76
; Occupancy: 6
; WaveLimiterHint : 1
; COMPUTE_PGM_RSRC2:SCRATCH_EN: 1
; COMPUTE_PGM_RSRC2:USER_SGPR: 8
; COMPUTE_PGM_RSRC2:TRAP_HANDLER: 0
; COMPUTE_PGM_RSRC2:TGID_X_EN: 1
; COMPUTE_PGM_RSRC2:TGID_Y_EN: 1
; COMPUTE_PGM_RSRC2:TGID_Z_EN: 1
; COMPUTE_PGM_RSRC2:TIDIG_COMP_CNT: 0
; COMPUTE_PGM_RSRC3_GFX90A:ACCUM_OFFSET: 18
; COMPUTE_PGM_RSRC3_GFX90A:TG_SPLIT: 0
	.section	.text._Z39paged_attention_ll4mi_QKV_mfma16_kernelI14__hip_bfloat16hLN4vllm18Fp8KVCacheDataTypeE1ES0_Li16ELi128ELi256ELb0ELi12EL8MFMAType0EEvPKT_PKT0_S9_ifPKiSB_SB_iPKfiiiPfSE_PS4_PT2_iSD_SD_,"axG",@progbits,_Z39paged_attention_ll4mi_QKV_mfma16_kernelI14__hip_bfloat16hLN4vllm18Fp8KVCacheDataTypeE1ES0_Li16ELi128ELi256ELb0ELi12EL8MFMAType0EEvPKT_PKT0_S9_ifPKiSB_SB_iPKfiiiPfSE_PS4_PT2_iSD_SD_,comdat
	.protected	_Z39paged_attention_ll4mi_QKV_mfma16_kernelI14__hip_bfloat16hLN4vllm18Fp8KVCacheDataTypeE1ES0_Li16ELi128ELi256ELb0ELi12EL8MFMAType0EEvPKT_PKT0_S9_ifPKiSB_SB_iPKfiiiPfSE_PS4_PT2_iSD_SD_ ; -- Begin function _Z39paged_attention_ll4mi_QKV_mfma16_kernelI14__hip_bfloat16hLN4vllm18Fp8KVCacheDataTypeE1ES0_Li16ELi128ELi256ELb0ELi12EL8MFMAType0EEvPKT_PKT0_S9_ifPKiSB_SB_iPKfiiiPfSE_PS4_PT2_iSD_SD_
	.globl	_Z39paged_attention_ll4mi_QKV_mfma16_kernelI14__hip_bfloat16hLN4vllm18Fp8KVCacheDataTypeE1ES0_Li16ELi128ELi256ELb0ELi12EL8MFMAType0EEvPKT_PKT0_S9_ifPKiSB_SB_iPKfiiiPfSE_PS4_PT2_iSD_SD_
	.p2align	8
	.type	_Z39paged_attention_ll4mi_QKV_mfma16_kernelI14__hip_bfloat16hLN4vllm18Fp8KVCacheDataTypeE1ES0_Li16ELi128ELi256ELb0ELi12EL8MFMAType0EEvPKT_PKT0_S9_ifPKiSB_SB_iPKfiiiPfSE_PS4_PT2_iSD_SD_,@function
_Z39paged_attention_ll4mi_QKV_mfma16_kernelI14__hip_bfloat16hLN4vllm18Fp8KVCacheDataTypeE1ES0_Li16ELi128ELi256ELb0ELi12EL8MFMAType0EEvPKT_PKT0_S9_ifPKiSB_SB_iPKfiiiPfSE_PS4_PT2_iSD_SD_: ; @_Z39paged_attention_ll4mi_QKV_mfma16_kernelI14__hip_bfloat16hLN4vllm18Fp8KVCacheDataTypeE1ES0_Li16ELi128ELi256ELb0ELi12EL8MFMAType0EEvPKT_PKT0_S9_ifPKiSB_SB_iPKfiiiPfSE_PS4_PT2_iSD_SD_
; %bb.0:
	s_load_dwordx2 s[6:7], s[4:5], 0x30
	s_add_u32 s0, s0, s11
	s_addc_u32 s1, s1, 0
	s_mov_b32 s24, s9
	s_mov_b64 s[12:13], 0
	s_waitcnt lgkmcnt(0)
	s_cmp_lg_u64 s[6:7], 0
	s_cselect_b64 s[16:17], -1, 0
	s_and_b64 vcc, exec, s[16:17]
	s_cbranch_vccz .LBB921_7
; %bb.1:
	s_add_i32 s14, s8, 1
	s_mov_b32 s15, 0
	s_lshl_b64 s[18:19], s[14:15], 2
	s_add_u32 s18, s6, s18
	s_mov_b32 s9, s15
	s_addc_u32 s19, s7, s19
	s_lshl_b64 s[14:15], s[8:9], 2
	s_add_u32 s14, s6, s14
	s_addc_u32 s15, s7, s15
	s_load_dword s11, s[18:19], 0x0
	s_load_dword s20, s[14:15], 0x0
	s_waitcnt lgkmcnt(0)
	s_sub_i32 s11, s11, s20
	s_cmp_eq_u32 s11, 1
	s_cselect_b64 s[14:15], -1, 0
	s_andn2_b64 vcc, exec, s[12:13]
	s_cbranch_vccnz .LBB921_3
.LBB921_2:
	s_mov_b32 s9, 0
	s_mov_b64 s[14:15], -1
.LBB921_3:
	s_andn2_b64 vcc, exec, s[14:15]
	s_cbranch_vccnz .LBB921_597
; %bb.4:
	s_load_dwordx2 s[12:13], s[4:5], 0x28
	s_lshl_b64 s[18:19], s[8:9], 2
	s_waitcnt lgkmcnt(0)
	s_add_u32 s12, s12, s18
	s_addc_u32 s13, s13, s19
	s_load_dword s33, s[12:13], 0x0
	s_lshl_b32 s20, s24, 8
	s_waitcnt lgkmcnt(0)
	s_cmp_ge_i32 s20, s33
	s_cbranch_scc1 .LBB921_597
; %bb.5:
	s_add_i32 s14, s33, 15
	s_load_dwordx2 s[12:13], s[4:5], 0x20
	s_load_dword s11, s[4:5], 0x38
	s_ashr_i32 s15, s14, 31
	v_and_b32_e32 v1, 0xcf, v0
	s_lshr_b32 s15, s15, 28
	v_add_u32_e32 v1, s20, v1
	s_add_i32 s14, s14, s15
	v_ashrrev_i32_e32 v2, 31, v1
	s_ashr_i32 s22, s14, 4
	v_lshrrev_b32_e32 v6, 28, v2
	s_add_i32 s22, s22, -1
	v_add_u32_e32 v2, v1, v6
	s_waitcnt lgkmcnt(0)
	s_mul_i32 s14, s8, s11
	s_mov_b32 s15, 0
	v_ashrrev_i32_e32 v2, 4, v2
	v_mov_b32_e32 v7, s22
	v_cmp_gt_i32_e32 vcc, s33, v1
	s_lshl_b64 s[14:15], s[14:15], 2
	v_cndmask_b32_e32 v2, v7, v2, vcc
	s_add_u32 s11, s12, s14
	v_ashrrev_i32_e32 v3, 31, v2
	s_addc_u32 s21, s13, s15
	v_lshlrev_b64 v[2:3], 2, v[2:3]
	v_mov_b32_e32 v5, s21
	v_add_co_u32_e32 v4, vcc, s11, v2
	v_or_b32_e32 v2, 16, v1
	v_addc_co_u32_e32 v5, vcc, v5, v3, vcc
	v_add_u32_e32 v3, v2, v6
	v_ashrrev_i32_e32 v3, 4, v3
	v_cmp_gt_i32_e32 vcc, s33, v2
	v_cndmask_b32_e32 v2, v7, v3, vcc
	v_ashrrev_i32_e32 v3, 31, v2
	v_lshlrev_b64 v[2:3], 2, v[2:3]
	v_mov_b32_e32 v9, s21
	v_add_co_u32_e32 v8, vcc, s11, v2
	v_or_b32_e32 v2, 32, v1
	v_addc_co_u32_e32 v9, vcc, v9, v3, vcc
	v_add_u32_e32 v3, v2, v6
	v_ashrrev_i32_e32 v3, 4, v3
	v_cmp_gt_i32_e32 vcc, s33, v2
	v_cndmask_b32_e32 v2, v7, v3, vcc
	v_ashrrev_i32_e32 v3, 31, v2
	;; [unrolled: 10-line block ×3, first 2 shown]
	v_lshlrev_b64 v[2:3], 2, v[2:3]
	v_mov_b32_e32 v1, s21
	v_add_co_u32_e32 v12, vcc, s11, v2
	v_addc_co_u32_e32 v13, vcc, v1, v3, vcc
	global_load_dword v3, v[4:5], off
	global_load_dword v2, v[8:9], off
	;; [unrolled: 1-line block ×4, first 2 shown]
	s_load_dwordx4 s[12:15], s[4:5], 0x8
	s_andn2_b64 vcc, exec, s[16:17]
	s_cbranch_vccnz .LBB921_8
; %bb.6:
	s_add_u32 s6, s6, s18
	s_addc_u32 s7, s7, s19
	s_load_dword s16, s[6:7], 0x0
	s_branch .LBB921_9
.LBB921_7:
	s_mov_b64 s[14:15], 0
	s_branch .LBB921_2
.LBB921_8:
	s_mov_b32 s16, s8
.LBB921_9:
	s_load_dwordx2 s[48:49], s[4:5], 0x68
	s_load_dwordx8 s[40:47], s[4:5], 0x48
	v_and_b32_e32 v55, 15, v0
	v_lshlrev_b32_e32 v4, 3, v55
	s_movk_i32 s6, 0xc0
	v_lshrrev_b32_e32 v62, 6, v0
	v_bfe_u32 v1, v0, 4, 2
	s_mul_i32 s25, s10, 12
	v_cmp_gt_u32_e32 vcc, s6, v0
	v_lshlrev_b32_e32 v54, 1, v4
	v_lshlrev_b32_e32 v56, 4, v0
	s_and_saveexec_b64 s[6:7], vcc
	s_cbranch_execz .LBB921_11
; %bb.10:
	s_load_dwordx2 s[18:19], s[4:5], 0x0
	s_waitcnt lgkmcnt(0)
	s_ashr_i32 s17, s40, 31
	s_mul_hi_u32 s23, s16, s40
	s_mul_i32 s17, s16, s17
	v_lshl_or_b32 v7, v62, 2, v1
	s_add_i32 s17, s23, s17
	s_mul_i32 s16, s16, s40
	s_lshl_b64 s[16:17], s[16:17], 1
	v_add_lshl_u32 v4, v7, s25, 7
	s_add_u32 s16, s18, s16
	v_ashrrev_i32_e32 v5, 31, v4
	s_addc_u32 s17, s19, s17
	v_lshlrev_b64 v[4:5], 1, v[4:5]
	v_mov_b32_e32 v8, s17
	v_add_co_u32_e32 v4, vcc, s16, v4
	v_addc_co_u32_e32 v5, vcc, v8, v5, vcc
	v_add_co_u32_e32 v4, vcc, v4, v54
	v_addc_co_u32_e32 v5, vcc, 0, v5, vcc
	global_load_dwordx4 v[8:11], v[4:5], off
	v_lshlrev_b32_e32 v5, 8, v0
	v_lshlrev_b32_e32 v4, 8, v55
	v_and_b32_e32 v5, 0x600, v5
	s_movk_i32 s16, 0x800
	v_and_or_b32 v4, v4, s16, v5
	v_lshlrev_b32_e32 v5, 5, v7
	v_and_b32_e32 v7, 16, v56
	v_or3_b32 v4, v4, v5, v7
	s_waitcnt vmcnt(0)
	ds_write_b128 v4, v[8:11]
.LBB921_11:
	s_or_b64 exec, exec, s[6:7]
	v_and_b32_e32 v7, 48, v0
	v_or_b32_e32 v14, s20, v7
	v_ashrrev_i32_e32 v4, 4, v14
	v_mov_b32_e32 v15, s22
	v_cmp_gt_i32_e32 vcc, s33, v14
	v_cndmask_b32_e32 v4, v15, v4, vcc
	v_ashrrev_i32_e32 v5, 31, v4
	v_lshlrev_b64 v[4:5], 2, v[4:5]
	v_mov_b32_e32 v8, s21
	v_add_co_u32_e32 v4, vcc, s11, v4
	v_addc_co_u32_e32 v5, vcc, v8, v5, vcc
	v_or_b32_e32 v8, 64, v14
	v_ashrrev_i32_e32 v9, 4, v8
	v_cmp_gt_i32_e32 vcc, s33, v8
	v_cndmask_b32_e32 v8, v15, v9, vcc
	v_ashrrev_i32_e32 v9, 31, v8
	v_lshlrev_b64 v[8:9], 2, v[8:9]
	v_mov_b32_e32 v10, s21
	v_add_co_u32_e32 v8, vcc, s11, v8
	v_addc_co_u32_e32 v9, vcc, v10, v9, vcc
	v_or_b32_e32 v10, 0x80, v14
	v_ashrrev_i32_e32 v11, 4, v10
	v_cmp_gt_i32_e32 vcc, s33, v10
	v_cndmask_b32_e32 v10, v15, v11, vcc
	v_ashrrev_i32_e32 v11, 31, v10
	v_lshlrev_b64 v[10:11], 2, v[10:11]
	v_mov_b32_e32 v16, s21
	v_add_co_u32_e32 v10, vcc, s11, v10
	s_load_dwordx2 s[50:51], s[4:5], 0x94
	s_waitcnt lgkmcnt(0)
	s_barrier
	v_addc_co_u32_e32 v11, vcc, v16, v11, vcc
	global_load_dword v50, v[4:5], off
	global_load_dword v57, v[8:9], off
	;; [unrolled: 1-line block ×3, first 2 shown]
	v_or_b32_e32 v4, 0xc0, v14
	v_ashrrev_i32_e32 v5, 4, v4
	v_cmp_gt_i32_e32 vcc, s33, v4
	v_cndmask_b32_e32 v4, v15, v5, vcc
	v_ashrrev_i32_e32 v5, 31, v4
	v_lshlrev_b64 v[4:5], 2, v[4:5]
	v_mov_b32_e32 v8, s21
	v_add_co_u32_e32 v4, vcc, s11, v4
	v_addc_co_u32_e32 v5, vcc, v8, v5, vcc
	s_mul_i32 s10, s10, s42
	global_load_dword v72, v[4:5], off
	s_add_u32 s6, s12, s10
	s_addc_u32 s7, s13, 0
	v_and_b32_e32 v12, 0xf0, v56
	v_mov_b32_e32 v13, s7
	v_add_co_u32_e32 v20, vcc, s6, v12
	v_addc_co_u32_e32 v21, vcc, 0, v13, vcc
	v_lshlrev_b32_e32 v28, 4, v7
	s_waitcnt vmcnt(7)
	v_mad_i64_i32 v[4:5], s[6:7], v3, s41, v[20:21]
	v_add_co_u32_e32 v4, vcc, v4, v28
	v_addc_co_u32_e32 v5, vcc, 0, v5, vcc
	global_load_dwordx4 v[38:41], v[4:5], off
	global_load_dwordx4 v[10:13], v[4:5], off offset:1024
	s_waitcnt vmcnt(8)
	v_mad_i64_i32 v[2:3], s[6:7], v2, s41, v[20:21]
	v_add_co_u32_e32 v8, vcc, v2, v28
	v_addc_co_u32_e32 v9, vcc, 0, v3, vcc
	s_waitcnt vmcnt(7)
	v_mad_i64_i32 v[6:7], s[6:7], v6, s41, v[20:21]
	v_add_co_u32_e32 v26, vcc, v6, v28
	v_addc_co_u32_e32 v27, vcc, 0, v7, vcc
	s_waitcnt vmcnt(6)
	v_mad_i64_i32 v[18:19], s[6:7], v18, s41, v[20:21]
	v_add_co_u32_e32 v30, vcc, v18, v28
	s_add_u32 s10, s14, s10
	v_lshl_or_b32 v63, v62, 4, v55
	global_load_dwordx4 v[14:17], v[8:9], off
	global_load_dwordx4 v[2:5], v[8:9], off offset:1024
	v_addc_co_u32_e32 v31, vcc, 0, v19, vcc
	s_addc_u32 s11, s15, 0
	v_lshlrev_b32_e32 v51, 4, v63
	global_load_dwordx4 v[6:9], v[26:27], off
	global_load_dwordx4 v[22:25], v[26:27], off offset:1024
	s_nop 0
	global_load_dwordx4 v[26:29], v[30:31], off
	global_load_dwordx4 v[18:21], v[30:31], off offset:1024
	v_mov_b32_e32 v30, s11
	v_add_co_u32_e32 v42, vcc, s10, v51
	v_addc_co_u32_e32 v43, vcc, 0, v30, vcc
	v_or_b32_e32 v51, 0x400, v51
	v_mov_b32_e32 v52, s11
	v_add_co_u32_e32 v58, vcc, s10, v51
	v_addc_co_u32_e32 v59, vcc, 0, v52, vcc
	v_cmp_gt_u32_e32 vcc, 12, v55
	s_mov_b32 s12, 0
	s_movk_i32 s13, 0x80
	s_movk_i32 s14, 0x7f
	s_mov_b32 s15, 0xffffff
	s_mov_b32 s16, 0x5040100
	s_waitcnt vmcnt(11)
	v_mad_i64_i32 v[30:31], s[6:7], v50, s41, v[42:43]
	s_waitcnt vmcnt(10)
	v_mad_i64_i32 v[32:33], s[6:7], v57, s41, v[42:43]
	;; [unrolled: 2-line block ×3, first 2 shown]
	global_load_dwordx4 v[34:37], v[30:31], off
	s_nop 0
	global_load_dwordx4 v[30:33], v[32:33], off
	v_mad_i64_i32 v[50:51], s[6:7], v50, s41, v[58:59]
	v_mad_i64_i32 v[60:61], s[6:7], v57, s41, v[58:59]
	s_waitcnt vmcnt(10)
	v_mad_i64_i32 v[42:43], s[6:7], v72, s41, v[42:43]
	global_load_dwordx4 v[46:49], v[44:45], off
	s_nop 0
	global_load_dwordx4 v[42:45], v[42:43], off
	s_nop 0
	;; [unrolled: 2-line block ×3, first 2 shown]
	global_load_dwordx4 v[64:67], v[60:61], off
	s_waitcnt vmcnt(13)
	buffer_store_dword v41, off, s[0:3], 0 offset:12
	buffer_store_dword v40, off, s[0:3], 0 offset:8
	v_mad_i64_i32 v[40:41], s[6:7], v68, s41, v[58:59]
	global_load_dwordx4 v[68:71], v[40:41], off
	v_mad_i64_i32 v[40:41], s[6:7], v72, s41, v[58:59]
	global_load_dwordx4 v[72:75], v[40:41], off
	s_nop 0
	buffer_store_dword v39, off, s[0:3], 0 offset:4
	buffer_store_dword v38, off, s[0:3], 0
	s_waitcnt vmcnt(18)
	buffer_store_dword v13, off, s[0:3], 0 offset:28
	buffer_store_dword v12, off, s[0:3], 0 offset:24
	buffer_store_dword v11, off, s[0:3], 0 offset:20
	buffer_store_dword v10, off, s[0:3], 0 offset:16
	s_waitcnt vmcnt(21)
	buffer_store_dword v17, off, s[0:3], 0 offset:44
	buffer_store_dword v16, off, s[0:3], 0 offset:40
	;; [unrolled: 1-line block ×4, first 2 shown]
	s_load_dword s6, s[4:5], 0x1c
	s_load_dwordx4 s[40:43], s[4:5], 0x80
	s_waitcnt vmcnt(24)
	buffer_store_dword v5, off, s[0:3], 0 offset:60
	buffer_store_dword v4, off, s[0:3], 0 offset:56
	;; [unrolled: 1-line block ×4, first 2 shown]
	v_add_u32_e32 v2, -12, v55
	v_cndmask_b32_e32 v2, v2, v55, vcc
	v_lshlrev_b32_e32 v2, 5, v2
	v_mov_b32_e32 v10, 0x80
	s_waitcnt vmcnt(27)
	buffer_store_dword v9, off, s[0:3], 0 offset:76
	buffer_store_dword v8, off, s[0:3], 0 offset:72
	;; [unrolled: 1-line block ×4, first 2 shown]
	v_lshl_add_u32 v14, v1, 9, v2
	v_add_u32_e32 v39, 16, v10
	v_add_u32_e32 v61, 32, v10
	;; [unrolled: 1-line block ×7, first 2 shown]
	ds_read_b128 v[2:5], v14
	ds_read_b128 v[6:9], v14 offset:16
	ds_read_b128 v[10:13], v14 offset:2048
	;; [unrolled: 1-line block ×3, first 2 shown]
	s_waitcnt vmcnt(30)
	buffer_store_dword v25, off, s[0:3], 0 offset:92
	buffer_store_dword v24, off, s[0:3], 0 offset:88
	buffer_store_dword v23, off, s[0:3], 0 offset:84
	buffer_store_dword v22, off, s[0:3], 0 offset:80
	s_waitcnt vmcnt(33)
	buffer_store_dword v29, off, s[0:3], 0 offset:108
	buffer_store_dword v28, off, s[0:3], 0 offset:104
	buffer_store_dword v27, off, s[0:3], 0 offset:100
	buffer_store_dword v26, off, s[0:3], 0 offset:96
	;; [unrolled: 5-line block ×3, first 2 shown]
	s_waitcnt lgkmcnt(0)
	v_mov_b32_e32 v18, s6
	v_and_b32_e32 v38, 63, v0
	v_mov_b32_e32 v27, 0
	s_waitcnt vmcnt(39)
	buffer_store_dword v37, off, s[0:3], 0 offset:140
	buffer_store_dword v36, off, s[0:3], 0 offset:136
	buffer_store_dword v35, off, s[0:3], 0 offset:132
	buffer_store_dword v34, off, s[0:3], 0 offset:128
	s_waitcnt vmcnt(42)
	buffer_store_dword v33, off, s[0:3], 0 offset:172
	buffer_store_dword v32, off, s[0:3], 0 offset:168
	buffer_store_dword v31, off, s[0:3], 0 offset:164
	buffer_store_dword v30, off, s[0:3], 0 offset:160
	s_waitcnt vmcnt(45)
	buffer_store_dword v49, off, s[0:3], 0 offset:204
	buffer_store_dword v48, off, s[0:3], 0 offset:200
	buffer_store_dword v47, off, s[0:3], 0 offset:196
	buffer_store_dword v46, off, s[0:3], 0 offset:192
	s_waitcnt vmcnt(48)
	buffer_store_dword v45, off, s[0:3], 0 offset:236
	buffer_store_dword v44, off, s[0:3], 0 offset:232
	buffer_store_dword v43, off, s[0:3], 0 offset:228
	buffer_store_dword v42, off, s[0:3], 0 offset:224
	s_waitcnt vmcnt(51)
	buffer_store_dword v53, off, s[0:3], 0 offset:156
	buffer_store_dword v52, off, s[0:3], 0 offset:152
	buffer_store_dword v51, off, s[0:3], 0 offset:148
	buffer_store_dword v50, off, s[0:3], 0 offset:144
	s_waitcnt vmcnt(54)
	buffer_store_dword v67, off, s[0:3], 0 offset:188
	buffer_store_dword v66, off, s[0:3], 0 offset:184
	buffer_store_dword v65, off, s[0:3], 0 offset:180
	buffer_store_dword v64, off, s[0:3], 0 offset:176
	s_waitcnt vmcnt(55)
	buffer_store_dword v71, off, s[0:3], 0 offset:220
	buffer_store_dword v70, off, s[0:3], 0 offset:216
	buffer_store_dword v69, off, s[0:3], 0 offset:212
	buffer_store_dword v68, off, s[0:3], 0 offset:208
	s_waitcnt vmcnt(58)
	buffer_store_dword v75, off, s[0:3], 0 offset:252
	s_load_dword s4, s[40:41], 0x0
	v_mov_b32_e32 v29, 0x100
	v_mov_b32_e32 v31, 0
	v_bfrev_b32_e32 v33, 60
	buffer_store_dword v74, off, s[0:3], 0 offset:248
	buffer_store_dword v73, off, s[0:3], 0 offset:244
	;; [unrolled: 1-line block ×3, first 2 shown]
	s_waitcnt lgkmcnt(0)
	v_mul_f32_e32 v22, s4, v18
	v_mov_b32_e32 v24, v22
	v_mov_b32_e32 v25, v22
	s_branch .LBB921_15
.LBB921_12:                             ;   in Loop: Header=BB921_15 Depth=1
	s_or_b64 exec, exec, s[10:11]
.LBB921_13:                             ;   in Loop: Header=BB921_15 Depth=1
	s_or_b64 exec, exec, s[6:7]
.LBB921_14:                             ;   in Loop: Header=BB921_15 Depth=1
	s_or_b64 exec, exec, s[4:5]
	v_perm_b32 v43, v36, v32, s16
	v_perm_b32 v42, v23, v34, s16
	;; [unrolled: 1-line block ×4, first 2 shown]
	v_add_u32_e32 v26, s12, v29
	v_mfma_f32_16x16x16bf16_1k v[18:21], v[42:43], v[14:15], v[18:21]
	s_add_i32 s12, s12, 16
	v_mov_b32_e32 v23, v22
	s_cmp_eq_u32 s12, 64
	v_add_u32_e32 v27, 32, v27
	v_mfma_f32_16x16x16bf16_1k v[18:21], v[36:37], v[16:17], v[18:21]
	s_nop 7
	s_nop 2
	v_pk_mul_f32 v[18:19], v[24:25], v[18:19]
	v_pk_mul_f32 v[20:21], v[22:23], v[20:21]
	buffer_store_dword v19, v26, s[0:3], 0 offen offset:4
	buffer_store_dword v18, v26, s[0:3], 0 offen
	buffer_store_dword v21, v26, s[0:3], 0 offen offset:12
	buffer_store_dword v20, v26, s[0:3], 0 offen offset:8
	s_cbranch_scc1 .LBB921_205
.LBB921_15:                             ; =>This Inner Loop Header: Depth=1
	buffer_load_dword v20, v27, s[0:3], 0 offen
	buffer_load_dword v18, v27, s[0:3], 0 offen offset:4
	buffer_load_dword v28, v27, s[0:3], 0 offen offset:8
	;; [unrolled: 1-line block ×3, first 2 shown]
	v_mov_b32_e32 v19, 0
	s_waitcnt vmcnt(3)
	v_cmp_ne_u16_sdwa s[6:7], v20, v31 src0_sel:BYTE_0 src1_sel:DWORD
	s_and_saveexec_b64 s[4:5], s[6:7]
	s_cbranch_execz .LBB921_21
; %bb.16:                               ;   in Loop: Header=BB921_15 Depth=1
	v_cmp_ne_u16_sdwa s[10:11], v20, s13 src0_sel:BYTE_0 src1_sel:DWORD
	v_mov_b32_e32 v19, 0xffff8000
	s_and_saveexec_b64 s[6:7], s[10:11]
	s_cbranch_execz .LBB921_20
; %bb.17:                               ;   in Loop: Header=BB921_15 Depth=1
	v_and_b32_e32 v21, 0x7f, v20
	v_cmp_ne_u32_e32 vcc, s14, v21
	v_mov_b32_e32 v19, 0x7f80
	s_and_saveexec_b64 s[10:11], vcc
	s_cbranch_execz .LBB921_19
; %bb.18:                               ;   in Loop: Header=BB921_15 Depth=1
	v_and_b32_e32 v19, 7, v20
	v_ffbh_u32_e32 v30, v19
	v_min_u32_e32 v30, 32, v30
	v_subrev_u32_e32 v32, 28, v30
	v_lshlrev_b64 v[34:35], v32, v[20:21]
	v_lshrrev_b32_e32 v23, 3, v21
	v_sub_u32_e32 v30, 29, v30
	v_and_b32_e32 v32, 7, v34
	v_cmp_gt_u32_e32 vcc, 8, v21
	v_cndmask_b32_e32 v21, v23, v30, vcc
	v_cndmask_b32_e32 v19, v19, v32, vcc
	v_lshlrev_b32_e32 v23, 24, v20
	v_lshlrev_b32_e32 v19, 20, v19
	v_and_b32_e32 v23, 0x80000000, v23
	v_lshl_add_u32 v21, v21, 23, v33
	v_or3_b32 v19, v23, v21, v19
	v_lshrrev_b32_e32 v19, 16, v19
.LBB921_19:                             ;   in Loop: Header=BB921_15 Depth=1
	s_or_b64 exec, exec, s[10:11]
.LBB921_20:                             ;   in Loop: Header=BB921_15 Depth=1
	s_or_b64 exec, exec, s[6:7]
.LBB921_21:                             ;   in Loop: Header=BB921_15 Depth=1
	s_or_b64 exec, exec, s[4:5]
	v_lshrrev_b16_e32 v30, 8, v20
	v_cmp_ne_u16_e32 vcc, 0, v30
	v_mov_b32_e32 v23, 0
	v_mov_b32_e32 v21, 0
	s_and_saveexec_b64 s[4:5], vcc
	s_cbranch_execz .LBB921_27
; %bb.22:                               ;   in Loop: Header=BB921_15 Depth=1
	v_cmp_ne_u16_e32 vcc, s13, v30
	v_mov_b32_e32 v21, 0xffff8000
	s_and_saveexec_b64 s[6:7], vcc
	s_cbranch_execz .LBB921_26
; %bb.23:                               ;   in Loop: Header=BB921_15 Depth=1
	v_and_b32_e32 v32, 0x7f, v30
	v_cmp_ne_u32_e32 vcc, s14, v32
	v_mov_b32_e32 v21, 0x7f80
	s_and_saveexec_b64 s[10:11], vcc
	s_cbranch_execz .LBB921_25
; %bb.24:                               ;   in Loop: Header=BB921_15 Depth=1
	v_and_b32_e32 v21, 7, v30
	v_ffbh_u32_e32 v34, v21
	v_min_u32_e32 v37, 32, v34
	v_subrev_u32_e32 v34, 28, v37
	v_lshlrev_b64 v[34:35], v34, v[30:31]
	v_lshrrev_b32_e32 v36, 3, v32
	v_sub_u32_e32 v30, 29, v37
	v_and_b32_e32 v34, 7, v34
	v_cmp_gt_u32_e32 vcc, 8, v32
	v_cndmask_b32_e32 v30, v36, v30, vcc
	v_cndmask_b32_e32 v21, v21, v34, vcc
	v_lshlrev_b32_e32 v32, 16, v20
	v_lshlrev_b32_e32 v21, 20, v21
	v_and_b32_e32 v32, 0x80000000, v32
	v_lshl_add_u32 v30, v30, 23, v33
	v_or3_b32 v21, v32, v30, v21
	v_lshrrev_b32_e32 v21, 16, v21
.LBB921_25:                             ;   in Loop: Header=BB921_15 Depth=1
	s_or_b64 exec, exec, s[10:11]
.LBB921_26:                             ;   in Loop: Header=BB921_15 Depth=1
	s_or_b64 exec, exec, s[6:7]
.LBB921_27:                             ;   in Loop: Header=BB921_15 Depth=1
	s_or_b64 exec, exec, s[4:5]
	v_lshrrev_b32_e32 v30, 16, v20
	v_cmp_ne_u16_sdwa s[6:7], v30, v31 src0_sel:BYTE_0 src1_sel:DWORD
	s_and_saveexec_b64 s[4:5], s[6:7]
	s_cbranch_execz .LBB921_33
; %bb.28:                               ;   in Loop: Header=BB921_15 Depth=1
	v_cmp_ne_u16_sdwa s[10:11], v30, s13 src0_sel:BYTE_0 src1_sel:DWORD
	v_mov_b32_e32 v23, 0xffff8000
	s_and_saveexec_b64 s[6:7], s[10:11]
	s_cbranch_execz .LBB921_32
; %bb.29:                               ;   in Loop: Header=BB921_15 Depth=1
	v_bfe_u32 v32, v20, 16, 7
	v_cmp_ne_u32_e32 vcc, s14, v32
	v_mov_b32_e32 v23, 0x7f80
	s_and_saveexec_b64 s[10:11], vcc
	s_cbranch_execz .LBB921_31
; %bb.30:                               ;   in Loop: Header=BB921_15 Depth=1
	v_and_b32_e32 v23, 7, v30
	v_ffbh_u32_e32 v34, v23
	v_min_u32_e32 v37, 32, v34
	v_subrev_u32_e32 v34, 28, v37
	v_lshlrev_b64 v[34:35], v34, v[30:31]
	v_lshrrev_b32_e32 v36, 3, v32
	v_sub_u32_e32 v35, 29, v37
	v_and_b32_e32 v34, 7, v34
	v_cmp_gt_u32_e32 vcc, 8, v32
	v_cndmask_b32_e32 v32, v36, v35, vcc
	v_cndmask_b32_e32 v23, v23, v34, vcc
	v_lshlrev_b32_e32 v30, 24, v30
	v_lshlrev_b32_e32 v23, 20, v23
	v_and_b32_e32 v30, 0x80000000, v30
	v_lshl_add_u32 v32, v32, 23, v33
	v_or3_b32 v23, v30, v32, v23
	v_lshrrev_b32_e32 v23, 16, v23
.LBB921_31:                             ;   in Loop: Header=BB921_15 Depth=1
	s_or_b64 exec, exec, s[10:11]
.LBB921_32:                             ;   in Loop: Header=BB921_15 Depth=1
	s_or_b64 exec, exec, s[6:7]
.LBB921_33:                             ;   in Loop: Header=BB921_15 Depth=1
	s_or_b64 exec, exec, s[4:5]
	v_cmp_lt_u32_e32 vcc, s15, v20
	v_mov_b32_e32 v34, 0
	v_mov_b32_e32 v35, 0
	s_and_saveexec_b64 s[4:5], vcc
	s_cbranch_execz .LBB921_39
; %bb.34:                               ;   in Loop: Header=BB921_15 Depth=1
	v_lshrrev_b32_e32 v30, 24, v20
	v_cmp_ne_u32_e32 vcc, s13, v30
	v_mov_b32_e32 v35, 0xffff8000
	s_and_saveexec_b64 s[6:7], vcc
	s_cbranch_execz .LBB921_38
; %bb.35:                               ;   in Loop: Header=BB921_15 Depth=1
	v_bfe_u32 v20, v20, 24, 7
	v_cmp_ne_u32_e32 vcc, s14, v20
	v_mov_b32_e32 v35, 0x7f80
	s_and_saveexec_b64 s[10:11], vcc
	s_cbranch_execz .LBB921_37
; %bb.36:                               ;   in Loop: Header=BB921_15 Depth=1
	v_and_b32_e32 v32, 7, v30
	v_ffbh_u32_e32 v36, v32
	v_min_u32_e32 v40, 32, v36
	v_subrev_u32_e32 v36, 28, v40
	v_lshlrev_b64 v[36:37], v36, v[30:31]
	v_lshrrev_b32_e32 v35, 3, v20
	v_sub_u32_e32 v37, 29, v40
	v_and_b32_e32 v36, 7, v36
	v_cmp_gt_u32_e32 vcc, 8, v20
	v_cndmask_b32_e32 v20, v35, v37, vcc
	v_cndmask_b32_e32 v32, v32, v36, vcc
	v_lshlrev_b32_e32 v30, 24, v30
	v_lshlrev_b32_e32 v32, 20, v32
	v_and_b32_e32 v30, 0x80000000, v30
	v_lshl_add_u32 v20, v20, 23, v33
	v_or3_b32 v20, v30, v20, v32
	v_lshrrev_b32_e32 v35, 16, v20
.LBB921_37:                             ;   in Loop: Header=BB921_15 Depth=1
	s_or_b64 exec, exec, s[10:11]
.LBB921_38:                             ;   in Loop: Header=BB921_15 Depth=1
	s_or_b64 exec, exec, s[6:7]
.LBB921_39:                             ;   in Loop: Header=BB921_15 Depth=1
	s_or_b64 exec, exec, s[4:5]
	s_waitcnt vmcnt(2)
	v_cmp_ne_u16_sdwa s[6:7], v18, v31 src0_sel:BYTE_0 src1_sel:DWORD
	s_and_saveexec_b64 s[4:5], s[6:7]
	s_cbranch_execz .LBB921_45
; %bb.40:                               ;   in Loop: Header=BB921_15 Depth=1
	v_cmp_ne_u16_sdwa s[10:11], v18, s13 src0_sel:BYTE_0 src1_sel:DWORD
	v_mov_b32_e32 v34, 0xffff8000
	s_and_saveexec_b64 s[6:7], s[10:11]
	s_cbranch_execz .LBB921_44
; %bb.41:                               ;   in Loop: Header=BB921_15 Depth=1
	v_and_b32_e32 v20, 0x7f, v18
	v_cmp_ne_u32_e32 vcc, s14, v20
	v_mov_b32_e32 v34, 0x7f80
	s_and_saveexec_b64 s[10:11], vcc
	s_cbranch_execz .LBB921_43
; %bb.42:                               ;   in Loop: Header=BB921_15 Depth=1
	v_and_b32_e32 v30, 7, v18
	v_ffbh_u32_e32 v34, v30
	v_min_u32_e32 v34, 32, v34
	v_subrev_u32_e32 v36, 28, v34
	v_lshlrev_b64 v[36:37], v36, v[18:19]
	v_lshrrev_b32_e32 v32, 3, v20
	v_sub_u32_e32 v34, 29, v34
	v_and_b32_e32 v36, 7, v36
	v_cmp_gt_u32_e32 vcc, 8, v20
	v_cndmask_b32_e32 v20, v32, v34, vcc
	v_cndmask_b32_e32 v30, v30, v36, vcc
	v_lshlrev_b32_e32 v32, 24, v18
	v_lshlrev_b32_e32 v30, 20, v30
	v_and_b32_e32 v32, 0x80000000, v32
	v_lshl_add_u32 v20, v20, 23, v33
	v_or3_b32 v20, v32, v20, v30
	v_lshrrev_b32_e32 v34, 16, v20
.LBB921_43:                             ;   in Loop: Header=BB921_15 Depth=1
	s_or_b64 exec, exec, s[10:11]
.LBB921_44:                             ;   in Loop: Header=BB921_15 Depth=1
	s_or_b64 exec, exec, s[6:7]
.LBB921_45:                             ;   in Loop: Header=BB921_15 Depth=1
	s_or_b64 exec, exec, s[4:5]
	v_lshrrev_b16_e32 v20, 8, v18
	v_cmp_ne_u16_e32 vcc, 0, v20
	v_mov_b32_e32 v36, 0
	v_mov_b32_e32 v30, 0
	s_and_saveexec_b64 s[4:5], vcc
	s_cbranch_execz .LBB921_51
; %bb.46:                               ;   in Loop: Header=BB921_15 Depth=1
	v_cmp_ne_u16_e32 vcc, s13, v20
	v_mov_b32_e32 v30, 0xffff8000
	s_and_saveexec_b64 s[6:7], vcc
	s_cbranch_execz .LBB921_50
; %bb.47:                               ;   in Loop: Header=BB921_15 Depth=1
	v_and_b32_e32 v32, 0x7f, v20
	v_cmp_ne_u32_e32 vcc, s14, v32
	v_mov_b32_e32 v30, 0x7f80
	s_and_saveexec_b64 s[10:11], vcc
	s_cbranch_execz .LBB921_49
; %bb.48:                               ;   in Loop: Header=BB921_15 Depth=1
	v_and_b32_e32 v30, 7, v20
	v_ffbh_u32_e32 v40, v30
	v_min_u32_e32 v40, 32, v40
	v_subrev_u32_e32 v42, 28, v40
	v_lshlrev_b64 v[42:43], v42, v[20:21]
	v_lshrrev_b32_e32 v37, 3, v32
	v_sub_u32_e32 v20, 29, v40
	v_and_b32_e32 v40, 7, v42
	v_cmp_gt_u32_e32 vcc, 8, v32
	v_cndmask_b32_e32 v20, v37, v20, vcc
	v_cndmask_b32_e32 v30, v30, v40, vcc
	v_lshlrev_b32_e32 v32, 16, v18
	v_lshlrev_b32_e32 v30, 20, v30
	v_and_b32_e32 v32, 0x80000000, v32
	v_lshl_add_u32 v20, v20, 23, v33
	v_or3_b32 v20, v32, v20, v30
	v_lshrrev_b32_e32 v30, 16, v20
.LBB921_49:                             ;   in Loop: Header=BB921_15 Depth=1
	s_or_b64 exec, exec, s[10:11]
.LBB921_50:                             ;   in Loop: Header=BB921_15 Depth=1
	s_or_b64 exec, exec, s[6:7]
.LBB921_51:                             ;   in Loop: Header=BB921_15 Depth=1
	s_or_b64 exec, exec, s[4:5]
	v_lshrrev_b32_e32 v20, 16, v18
	v_cmp_ne_u16_sdwa s[6:7], v20, v31 src0_sel:BYTE_0 src1_sel:DWORD
	s_and_saveexec_b64 s[4:5], s[6:7]
	s_cbranch_execz .LBB921_57
; %bb.52:                               ;   in Loop: Header=BB921_15 Depth=1
	v_cmp_ne_u16_sdwa s[10:11], v20, s13 src0_sel:BYTE_0 src1_sel:DWORD
	v_mov_b32_e32 v36, 0xffff8000
	s_and_saveexec_b64 s[6:7], s[10:11]
	s_cbranch_execz .LBB921_56
; %bb.53:                               ;   in Loop: Header=BB921_15 Depth=1
	v_bfe_u32 v32, v18, 16, 7
	v_cmp_ne_u32_e32 vcc, s14, v32
	v_mov_b32_e32 v36, 0x7f80
	s_and_saveexec_b64 s[10:11], vcc
	s_cbranch_execz .LBB921_55
; %bb.54:                               ;   in Loop: Header=BB921_15 Depth=1
	v_and_b32_e32 v40, 7, v20
	v_ffbh_u32_e32 v36, v40
	v_min_u32_e32 v43, 32, v36
	v_subrev_u32_e32 v36, 28, v43
	v_lshlrev_b64 v[36:37], v36, v[20:21]
	v_lshrrev_b32_e32 v42, 3, v32
	v_sub_u32_e32 v37, 29, v43
	v_and_b32_e32 v36, 7, v36
	v_cmp_gt_u32_e32 vcc, 8, v32
	v_cndmask_b32_e32 v32, v42, v37, vcc
	v_cndmask_b32_e32 v36, v40, v36, vcc
	v_lshlrev_b32_e32 v20, 24, v20
	v_lshlrev_b32_e32 v36, 20, v36
	v_and_b32_e32 v20, 0x80000000, v20
	v_lshl_add_u32 v32, v32, 23, v33
	v_or3_b32 v20, v20, v32, v36
	v_lshrrev_b32_e32 v36, 16, v20
.LBB921_55:                             ;   in Loop: Header=BB921_15 Depth=1
	s_or_b64 exec, exec, s[10:11]
.LBB921_56:                             ;   in Loop: Header=BB921_15 Depth=1
	s_or_b64 exec, exec, s[6:7]
.LBB921_57:                             ;   in Loop: Header=BB921_15 Depth=1
	s_or_b64 exec, exec, s[4:5]
	v_cmp_lt_u32_e32 vcc, s15, v18
	v_mov_b32_e32 v32, 0
	v_mov_b32_e32 v37, 0
	s_and_saveexec_b64 s[4:5], vcc
	s_cbranch_execz .LBB921_63
; %bb.58:                               ;   in Loop: Header=BB921_15 Depth=1
	v_lshrrev_b32_e32 v20, 24, v18
	v_cmp_ne_u32_e32 vcc, s13, v20
	v_mov_b32_e32 v37, 0xffff8000
	s_and_saveexec_b64 s[6:7], vcc
	s_cbranch_execz .LBB921_62
; %bb.59:                               ;   in Loop: Header=BB921_15 Depth=1
	v_bfe_u32 v18, v18, 24, 7
	v_cmp_ne_u32_e32 vcc, s14, v18
	v_mov_b32_e32 v37, 0x7f80
	s_and_saveexec_b64 s[10:11], vcc
	s_cbranch_execz .LBB921_61
; %bb.60:                               ;   in Loop: Header=BB921_15 Depth=1
	v_and_b32_e32 v37, 7, v20
	v_ffbh_u32_e32 v42, v37
	v_min_u32_e32 v44, 32, v42
	v_subrev_u32_e32 v42, 28, v44
	v_lshlrev_b64 v[42:43], v42, v[20:21]
	v_lshrrev_b32_e32 v40, 3, v18
	v_sub_u32_e32 v43, 29, v44
	v_and_b32_e32 v42, 7, v42
	v_cmp_gt_u32_e32 vcc, 8, v18
	v_cndmask_b32_e32 v18, v40, v43, vcc
	v_cndmask_b32_e32 v37, v37, v42, vcc
	v_lshlrev_b32_e32 v20, 24, v20
	v_lshlrev_b32_e32 v37, 20, v37
	v_and_b32_e32 v20, 0x80000000, v20
	v_lshl_add_u32 v18, v18, 23, v33
	v_or3_b32 v18, v20, v18, v37
	v_lshrrev_b32_e32 v37, 16, v18
.LBB921_61:                             ;   in Loop: Header=BB921_15 Depth=1
	s_or_b64 exec, exec, s[10:11]
.LBB921_62:                             ;   in Loop: Header=BB921_15 Depth=1
	s_or_b64 exec, exec, s[6:7]
.LBB921_63:                             ;   in Loop: Header=BB921_15 Depth=1
	s_or_b64 exec, exec, s[4:5]
	v_perm_b32 v43, v35, v23, s16
	v_perm_b32 v42, v21, v19, s16
	;; [unrolled: 1-line block ×4, first 2 shown]
	s_waitcnt vmcnt(1)
	v_cmp_ne_u16_sdwa s[6:7], v28, v31 src0_sel:BYTE_0 src1_sel:DWORD
	v_mfma_f32_16x16x16bf16_1k v[18:21], v[42:43], v[2:3], 0
	v_mfma_f32_16x16x16bf16_1k v[18:21], v[34:35], v[4:5], v[18:21]
	s_and_saveexec_b64 s[4:5], s[6:7]
	s_cbranch_execz .LBB921_69
; %bb.64:                               ;   in Loop: Header=BB921_15 Depth=1
	v_cmp_ne_u16_sdwa s[10:11], v28, s13 src0_sel:BYTE_0 src1_sel:DWORD
	v_mov_b32_e32 v32, 0xffff8000
	s_and_saveexec_b64 s[6:7], s[10:11]
	s_cbranch_execz .LBB921_68
; %bb.65:                               ;   in Loop: Header=BB921_15 Depth=1
	v_and_b32_e32 v23, 0x7f, v28
	v_cmp_ne_u32_e32 vcc, s14, v23
	v_mov_b32_e32 v32, 0x7f80
	s_and_saveexec_b64 s[10:11], vcc
	s_cbranch_execz .LBB921_67
; %bb.66:                               ;   in Loop: Header=BB921_15 Depth=1
	v_and_b32_e32 v30, 7, v28
	v_ffbh_u32_e32 v34, v30
	v_min_u32_e32 v36, 32, v34
	v_subrev_u32_e32 v34, 28, v36
	v_lshlrev_b64 v[34:35], v34, v[28:29]
	v_lshrrev_b32_e32 v32, 3, v23
	v_sub_u32_e32 v35, 29, v36
	v_and_b32_e32 v34, 7, v34
	v_cmp_gt_u32_e32 vcc, 8, v23
	v_cndmask_b32_e32 v23, v32, v35, vcc
	v_cndmask_b32_e32 v30, v30, v34, vcc
	v_lshlrev_b32_e32 v32, 24, v28
	v_lshlrev_b32_e32 v30, 20, v30
	v_and_b32_e32 v32, 0x80000000, v32
	v_lshl_add_u32 v23, v23, 23, v33
	v_or3_b32 v23, v32, v23, v30
	v_lshrrev_b32_e32 v32, 16, v23
.LBB921_67:                             ;   in Loop: Header=BB921_15 Depth=1
	s_or_b64 exec, exec, s[10:11]
.LBB921_68:                             ;   in Loop: Header=BB921_15 Depth=1
	s_or_b64 exec, exec, s[6:7]
.LBB921_69:                             ;   in Loop: Header=BB921_15 Depth=1
	s_or_b64 exec, exec, s[4:5]
	v_lshrrev_b16_e32 v30, 8, v28
	v_cmp_ne_u16_e32 vcc, 0, v30
	v_mov_b32_e32 v35, 0
	v_mov_b32_e32 v34, 0
	s_and_saveexec_b64 s[4:5], vcc
	s_cbranch_execz .LBB921_75
; %bb.70:                               ;   in Loop: Header=BB921_15 Depth=1
	v_cmp_ne_u16_e32 vcc, s13, v30
	v_mov_b32_e32 v34, 0xffff8000
	s_and_saveexec_b64 s[6:7], vcc
	s_cbranch_execz .LBB921_74
; %bb.71:                               ;   in Loop: Header=BB921_15 Depth=1
	v_and_b32_e32 v23, 0x7f, v30
	v_cmp_ne_u32_e32 vcc, s14, v23
	v_mov_b32_e32 v34, 0x7f80
	s_and_saveexec_b64 s[10:11], vcc
	s_cbranch_execz .LBB921_73
; %bb.72:                               ;   in Loop: Header=BB921_15 Depth=1
	v_and_b32_e32 v34, 7, v30
	v_ffbh_u32_e32 v36, v34
	v_min_u32_e32 v42, 32, v36
	v_subrev_u32_e32 v36, 28, v42
	v_lshlrev_b64 v[36:37], v36, v[30:31]
	v_lshrrev_b32_e32 v40, 3, v23
	v_sub_u32_e32 v30, 29, v42
	v_and_b32_e32 v36, 7, v36
	v_cmp_gt_u32_e32 vcc, 8, v23
	v_cndmask_b32_e32 v23, v40, v30, vcc
	v_cndmask_b32_e32 v30, v34, v36, vcc
	v_lshlrev_b32_e32 v34, 16, v28
	v_lshlrev_b32_e32 v30, 20, v30
	v_and_b32_e32 v34, 0x80000000, v34
	v_lshl_add_u32 v23, v23, 23, v33
	v_or3_b32 v23, v34, v23, v30
	v_lshrrev_b32_e32 v34, 16, v23
.LBB921_73:                             ;   in Loop: Header=BB921_15 Depth=1
	s_or_b64 exec, exec, s[10:11]
.LBB921_74:                             ;   in Loop: Header=BB921_15 Depth=1
	s_or_b64 exec, exec, s[6:7]
.LBB921_75:                             ;   in Loop: Header=BB921_15 Depth=1
	s_or_b64 exec, exec, s[4:5]
	v_lshrrev_b32_e32 v30, 16, v28
	v_cmp_ne_u16_sdwa s[6:7], v30, v31 src0_sel:BYTE_0 src1_sel:DWORD
	s_and_saveexec_b64 s[4:5], s[6:7]
	s_cbranch_execz .LBB921_81
; %bb.76:                               ;   in Loop: Header=BB921_15 Depth=1
	v_cmp_ne_u16_sdwa s[10:11], v30, s13 src0_sel:BYTE_0 src1_sel:DWORD
	v_mov_b32_e32 v35, 0xffff8000
	s_and_saveexec_b64 s[6:7], s[10:11]
	s_cbranch_execz .LBB921_80
; %bb.77:                               ;   in Loop: Header=BB921_15 Depth=1
	v_bfe_u32 v23, v28, 16, 7
	v_cmp_ne_u32_e32 vcc, s14, v23
	v_mov_b32_e32 v35, 0x7f80
	s_and_saveexec_b64 s[10:11], vcc
	s_cbranch_execz .LBB921_79
; %bb.78:                               ;   in Loop: Header=BB921_15 Depth=1
	v_and_b32_e32 v35, 7, v30
	v_ffbh_u32_e32 v36, v35
	v_min_u32_e32 v42, 32, v36
	v_subrev_u32_e32 v36, 28, v42
	v_lshlrev_b64 v[36:37], v36, v[30:31]
	v_lshrrev_b32_e32 v40, 3, v23
	v_sub_u32_e32 v37, 29, v42
	v_and_b32_e32 v36, 7, v36
	v_cmp_gt_u32_e32 vcc, 8, v23
	v_cndmask_b32_e32 v23, v40, v37, vcc
	v_cndmask_b32_e32 v35, v35, v36, vcc
	v_lshlrev_b32_e32 v30, 24, v30
	v_lshlrev_b32_e32 v35, 20, v35
	v_and_b32_e32 v30, 0x80000000, v30
	v_lshl_add_u32 v23, v23, 23, v33
	v_or3_b32 v23, v30, v23, v35
	v_lshrrev_b32_e32 v35, 16, v23
.LBB921_79:                             ;   in Loop: Header=BB921_15 Depth=1
	s_or_b64 exec, exec, s[10:11]
.LBB921_80:                             ;   in Loop: Header=BB921_15 Depth=1
	s_or_b64 exec, exec, s[6:7]
.LBB921_81:                             ;   in Loop: Header=BB921_15 Depth=1
	s_or_b64 exec, exec, s[4:5]
	v_cmp_lt_u32_e32 vcc, s15, v28
	v_mov_b32_e32 v36, 0
	v_mov_b32_e32 v37, 0
	s_and_saveexec_b64 s[4:5], vcc
	s_cbranch_execz .LBB921_87
; %bb.82:                               ;   in Loop: Header=BB921_15 Depth=1
	v_lshrrev_b32_e32 v30, 24, v28
	v_cmp_ne_u32_e32 vcc, s13, v30
	v_mov_b32_e32 v37, 0xffff8000
	s_and_saveexec_b64 s[6:7], vcc
	s_cbranch_execz .LBB921_86
; %bb.83:                               ;   in Loop: Header=BB921_15 Depth=1
	v_bfe_u32 v23, v28, 24, 7
	v_cmp_ne_u32_e32 vcc, s14, v23
	v_mov_b32_e32 v37, 0x7f80
	s_and_saveexec_b64 s[10:11], vcc
	s_cbranch_execz .LBB921_85
; %bb.84:                               ;   in Loop: Header=BB921_15 Depth=1
	v_and_b32_e32 v28, 7, v30
	v_ffbh_u32_e32 v40, v28
	v_min_u32_e32 v40, 32, v40
	v_subrev_u32_e32 v42, 28, v40
	v_lshlrev_b64 v[42:43], v42, v[30:31]
	v_lshrrev_b32_e32 v37, 3, v23
	v_sub_u32_e32 v40, 29, v40
	v_and_b32_e32 v42, 7, v42
	v_cmp_gt_u32_e32 vcc, 8, v23
	v_cndmask_b32_e32 v23, v37, v40, vcc
	v_cndmask_b32_e32 v28, v28, v42, vcc
	v_lshlrev_b32_e32 v30, 24, v30
	v_lshlrev_b32_e32 v28, 20, v28
	v_and_b32_e32 v30, 0x80000000, v30
	v_lshl_add_u32 v23, v23, 23, v33
	v_or3_b32 v23, v30, v23, v28
	v_lshrrev_b32_e32 v37, 16, v23
.LBB921_85:                             ;   in Loop: Header=BB921_15 Depth=1
	s_or_b64 exec, exec, s[10:11]
.LBB921_86:                             ;   in Loop: Header=BB921_15 Depth=1
	s_or_b64 exec, exec, s[6:7]
.LBB921_87:                             ;   in Loop: Header=BB921_15 Depth=1
	s_or_b64 exec, exec, s[4:5]
	s_waitcnt vmcnt(0)
	v_cmp_ne_u16_sdwa s[6:7], v26, v31 src0_sel:BYTE_0 src1_sel:DWORD
	s_and_saveexec_b64 s[4:5], s[6:7]
	s_cbranch_execz .LBB921_93
; %bb.88:                               ;   in Loop: Header=BB921_15 Depth=1
	v_cmp_ne_u16_sdwa s[10:11], v26, s13 src0_sel:BYTE_0 src1_sel:DWORD
	v_mov_b32_e32 v36, 0xffff8000
	s_and_saveexec_b64 s[6:7], s[10:11]
	s_cbranch_execz .LBB921_92
; %bb.89:                               ;   in Loop: Header=BB921_15 Depth=1
	v_and_b32_e32 v23, 0x7f, v26
	v_cmp_ne_u32_e32 vcc, s14, v23
	v_mov_b32_e32 v36, 0x7f80
	s_and_saveexec_b64 s[10:11], vcc
	s_cbranch_execz .LBB921_91
; %bb.90:                               ;   in Loop: Header=BB921_15 Depth=1
	v_and_b32_e32 v28, 7, v26
	v_ffbh_u32_e32 v36, v28
	v_min_u32_e32 v36, 32, v36
	v_subrev_u32_e32 v40, 28, v36
	v_lshlrev_b64 v[42:43], v40, v[26:27]
	v_lshrrev_b32_e32 v30, 3, v23
	v_sub_u32_e32 v36, 29, v36
	v_and_b32_e32 v40, 7, v42
	v_cmp_gt_u32_e32 vcc, 8, v23
	v_cndmask_b32_e32 v23, v30, v36, vcc
	v_cndmask_b32_e32 v28, v28, v40, vcc
	v_lshlrev_b32_e32 v30, 24, v26
	v_lshlrev_b32_e32 v28, 20, v28
	v_and_b32_e32 v30, 0x80000000, v30
	v_lshl_add_u32 v23, v23, 23, v33
	v_or3_b32 v23, v30, v23, v28
	v_lshrrev_b32_e32 v36, 16, v23
.LBB921_91:                             ;   in Loop: Header=BB921_15 Depth=1
	s_or_b64 exec, exec, s[10:11]
.LBB921_92:                             ;   in Loop: Header=BB921_15 Depth=1
	s_or_b64 exec, exec, s[6:7]
.LBB921_93:                             ;   in Loop: Header=BB921_15 Depth=1
	s_or_b64 exec, exec, s[4:5]
	v_lshrrev_b16_e32 v28, 8, v26
	v_cmp_ne_u16_e32 vcc, 0, v28
	v_mov_b32_e32 v42, 0
	v_mov_b32_e32 v40, 0
	s_and_saveexec_b64 s[4:5], vcc
	s_cbranch_execz .LBB921_99
; %bb.94:                               ;   in Loop: Header=BB921_15 Depth=1
	v_cmp_ne_u16_e32 vcc, s13, v28
	v_mov_b32_e32 v40, 0xffff8000
	s_and_saveexec_b64 s[6:7], vcc
	s_cbranch_execz .LBB921_98
; %bb.95:                               ;   in Loop: Header=BB921_15 Depth=1
	v_and_b32_e32 v23, 0x7f, v28
	v_cmp_ne_u32_e32 vcc, s14, v23
	v_mov_b32_e32 v40, 0x7f80
	s_and_saveexec_b64 s[10:11], vcc
	s_cbranch_execz .LBB921_97
; %bb.96:                               ;   in Loop: Header=BB921_15 Depth=1
	v_and_b32_e32 v30, 7, v28
	v_ffbh_u32_e32 v43, v30
	v_min_u32_e32 v43, 32, v43
	v_subrev_u32_e32 v44, 28, v43
	v_lshlrev_b64 v[44:45], v44, v[28:29]
	v_lshrrev_b32_e32 v40, 3, v23
	v_sub_u32_e32 v28, 29, v43
	v_and_b32_e32 v43, 7, v44
	v_cmp_gt_u32_e32 vcc, 8, v23
	v_cndmask_b32_e32 v23, v40, v28, vcc
	v_cndmask_b32_e32 v28, v30, v43, vcc
	v_lshlrev_b32_e32 v30, 16, v26
	v_lshlrev_b32_e32 v28, 20, v28
	v_and_b32_e32 v30, 0x80000000, v30
	v_lshl_add_u32 v23, v23, 23, v33
	v_or3_b32 v23, v30, v23, v28
	v_lshrrev_b32_e32 v40, 16, v23
.LBB921_97:                             ;   in Loop: Header=BB921_15 Depth=1
	s_or_b64 exec, exec, s[10:11]
.LBB921_98:                             ;   in Loop: Header=BB921_15 Depth=1
	s_or_b64 exec, exec, s[6:7]
.LBB921_99:                             ;   in Loop: Header=BB921_15 Depth=1
	s_or_b64 exec, exec, s[4:5]
	v_lshrrev_b32_e32 v28, 16, v26
	v_cmp_ne_u16_sdwa s[6:7], v28, v31 src0_sel:BYTE_0 src1_sel:DWORD
	s_and_saveexec_b64 s[4:5], s[6:7]
	s_cbranch_execz .LBB921_105
; %bb.100:                              ;   in Loop: Header=BB921_15 Depth=1
	v_cmp_ne_u16_sdwa s[10:11], v28, s13 src0_sel:BYTE_0 src1_sel:DWORD
	v_mov_b32_e32 v42, 0xffff8000
	s_and_saveexec_b64 s[6:7], s[10:11]
	s_cbranch_execz .LBB921_104
; %bb.101:                              ;   in Loop: Header=BB921_15 Depth=1
	v_bfe_u32 v23, v26, 16, 7
	v_cmp_ne_u32_e32 vcc, s14, v23
	v_mov_b32_e32 v42, 0x7f80
	s_and_saveexec_b64 s[10:11], vcc
	s_cbranch_execz .LBB921_103
; %bb.102:                              ;   in Loop: Header=BB921_15 Depth=1
	v_and_b32_e32 v30, 7, v28
	v_ffbh_u32_e32 v42, v30
	v_min_u32_e32 v45, 32, v42
	v_subrev_u32_e32 v42, 28, v45
	v_lshlrev_b64 v[42:43], v42, v[28:29]
	v_lshrrev_b32_e32 v44, 3, v23
	v_sub_u32_e32 v43, 29, v45
	v_and_b32_e32 v42, 7, v42
	v_cmp_gt_u32_e32 vcc, 8, v23
	v_cndmask_b32_e32 v23, v44, v43, vcc
	v_cndmask_b32_e32 v30, v30, v42, vcc
	v_lshlrev_b32_e32 v28, 24, v28
	v_lshlrev_b32_e32 v30, 20, v30
	v_and_b32_e32 v28, 0x80000000, v28
	v_lshl_add_u32 v23, v23, 23, v33
	v_or3_b32 v23, v28, v23, v30
	v_lshrrev_b32_e32 v42, 16, v23
.LBB921_103:                            ;   in Loop: Header=BB921_15 Depth=1
	s_or_b64 exec, exec, s[10:11]
.LBB921_104:                            ;   in Loop: Header=BB921_15 Depth=1
	s_or_b64 exec, exec, s[6:7]
.LBB921_105:                            ;   in Loop: Header=BB921_15 Depth=1
	s_or_b64 exec, exec, s[4:5]
	v_cmp_lt_u32_e32 vcc, s15, v26
	v_mov_b32_e32 v23, 0
	v_mov_b32_e32 v43, 0
	s_and_saveexec_b64 s[4:5], vcc
	s_cbranch_execz .LBB921_111
; %bb.106:                              ;   in Loop: Header=BB921_15 Depth=1
	v_lshrrev_b32_e32 v28, 24, v26
	v_cmp_ne_u32_e32 vcc, s13, v28
	v_mov_b32_e32 v43, 0xffff8000
	s_and_saveexec_b64 s[6:7], vcc
	s_cbranch_execz .LBB921_110
; %bb.107:                              ;   in Loop: Header=BB921_15 Depth=1
	v_bfe_u32 v26, v26, 24, 7
	v_cmp_ne_u32_e32 vcc, s14, v26
	v_mov_b32_e32 v43, 0x7f80
	s_and_saveexec_b64 s[10:11], vcc
	s_cbranch_execz .LBB921_109
; %bb.108:                              ;   in Loop: Header=BB921_15 Depth=1
	v_and_b32_e32 v30, 7, v28
	v_ffbh_u32_e32 v44, v30
	v_min_u32_e32 v46, 32, v44
	v_subrev_u32_e32 v44, 28, v46
	v_lshlrev_b64 v[44:45], v44, v[28:29]
	v_lshrrev_b32_e32 v43, 3, v26
	v_sub_u32_e32 v45, 29, v46
	v_and_b32_e32 v44, 7, v44
	v_cmp_gt_u32_e32 vcc, 8, v26
	v_cndmask_b32_e32 v26, v43, v45, vcc
	v_cndmask_b32_e32 v30, v30, v44, vcc
	v_lshlrev_b32_e32 v28, 24, v28
	v_lshlrev_b32_e32 v30, 20, v30
	v_and_b32_e32 v28, 0x80000000, v28
	v_lshl_add_u32 v26, v26, 23, v33
	v_or3_b32 v26, v28, v26, v30
	v_lshrrev_b32_e32 v43, 16, v26
.LBB921_109:                            ;   in Loop: Header=BB921_15 Depth=1
	s_or_b64 exec, exec, s[10:11]
.LBB921_110:                            ;   in Loop: Header=BB921_15 Depth=1
	s_or_b64 exec, exec, s[6:7]
.LBB921_111:                            ;   in Loop: Header=BB921_15 Depth=1
	s_or_b64 exec, exec, s[4:5]
	v_perm_b32 v34, v34, v32, s16
	buffer_load_dword v32, v27, s[0:3], 0 offen offset:16
	buffer_load_dword v30, v27, s[0:3], 0 offen offset:20
	buffer_load_dword v28, v27, s[0:3], 0 offen offset:24
	buffer_load_dword v26, v27, s[0:3], 0 offen offset:28
	v_perm_b32 v35, v37, v35, s16
	s_waitcnt vmcnt(3)
	v_cmp_ne_u16_sdwa s[6:7], v32, v31 src0_sel:BYTE_0 src1_sel:DWORD
	v_mfma_f32_16x16x16bf16_1k v[18:21], v[34:35], v[6:7], v[18:21]
	v_perm_b32 v35, v43, v42, s16
	v_perm_b32 v34, v40, v36, s16
	s_nop 1
	v_mfma_f32_16x16x16bf16_1k v[18:21], v[34:35], v[8:9], v[18:21]
	s_and_saveexec_b64 s[4:5], s[6:7]
	s_cbranch_execz .LBB921_117
; %bb.112:                              ;   in Loop: Header=BB921_15 Depth=1
	v_cmp_ne_u16_sdwa s[10:11], v32, s13 src0_sel:BYTE_0 src1_sel:DWORD
	v_mov_b32_e32 v23, 0xffff8000
	s_and_saveexec_b64 s[6:7], s[10:11]
	s_cbranch_execz .LBB921_116
; %bb.113:                              ;   in Loop: Header=BB921_15 Depth=1
	v_and_b32_e32 v34, 0x7f, v32
	v_cmp_ne_u32_e32 vcc, s14, v34
	v_mov_b32_e32 v23, 0x7f80
	s_and_saveexec_b64 s[10:11], vcc
	s_cbranch_execz .LBB921_115
; %bb.114:                              ;   in Loop: Header=BB921_15 Depth=1
	v_and_b32_e32 v23, 7, v32
	v_ffbh_u32_e32 v36, v23
	v_min_u32_e32 v40, 32, v36
	v_subrev_u32_e32 v36, 28, v40
	v_lshlrev_b64 v[36:37], v36, v[32:33]
	v_lshrrev_b32_e32 v35, 3, v34
	v_sub_u32_e32 v37, 29, v40
	v_and_b32_e32 v36, 7, v36
	v_cmp_gt_u32_e32 vcc, 8, v34
	v_cndmask_b32_e32 v34, v35, v37, vcc
	v_cndmask_b32_e32 v23, v23, v36, vcc
	v_lshlrev_b32_e32 v35, 24, v32
	v_lshlrev_b32_e32 v23, 20, v23
	v_and_b32_e32 v35, 0x80000000, v35
	v_lshl_add_u32 v34, v34, 23, v33
	v_or3_b32 v23, v35, v34, v23
	v_lshrrev_b32_e32 v23, 16, v23
.LBB921_115:                            ;   in Loop: Header=BB921_15 Depth=1
	s_or_b64 exec, exec, s[10:11]
.LBB921_116:                            ;   in Loop: Header=BB921_15 Depth=1
	s_or_b64 exec, exec, s[6:7]
.LBB921_117:                            ;   in Loop: Header=BB921_15 Depth=1
	s_or_b64 exec, exec, s[4:5]
	v_lshrrev_b16_e32 v34, 8, v32
	v_cmp_ne_u16_e32 vcc, 0, v34
	v_mov_b32_e32 v36, 0
	v_mov_b32_e32 v35, 0
	s_and_saveexec_b64 s[4:5], vcc
	s_cbranch_execz .LBB921_123
; %bb.118:                              ;   in Loop: Header=BB921_15 Depth=1
	v_cmp_ne_u16_e32 vcc, s13, v34
	v_mov_b32_e32 v35, 0xffff8000
	s_and_saveexec_b64 s[6:7], vcc
	s_cbranch_execz .LBB921_122
; %bb.119:                              ;   in Loop: Header=BB921_15 Depth=1
	v_and_b32_e32 v37, 0x7f, v34
	v_cmp_ne_u32_e32 vcc, s14, v37
	v_mov_b32_e32 v35, 0x7f80
	s_and_saveexec_b64 s[10:11], vcc
	s_cbranch_execz .LBB921_121
; %bb.120:                              ;   in Loop: Header=BB921_15 Depth=1
	v_and_b32_e32 v40, 7, v34
	v_ffbh_u32_e32 v35, v40
	v_min_u32_e32 v43, 32, v35
	v_subrev_u32_e32 v35, 28, v43
	v_lshlrev_b64 v[34:35], v35, v[34:35]
	v_lshrrev_b32_e32 v42, 3, v37
	v_sub_u32_e32 v35, 29, v43
	v_and_b32_e32 v34, 7, v34
	v_cmp_gt_u32_e32 vcc, 8, v37
	v_cndmask_b32_e32 v35, v42, v35, vcc
	v_cndmask_b32_e32 v34, v40, v34, vcc
	v_lshlrev_b32_e32 v37, 16, v32
	v_lshlrev_b32_e32 v34, 20, v34
	v_and_b32_e32 v37, 0x80000000, v37
	v_lshl_add_u32 v35, v35, 23, v33
	v_or3_b32 v34, v37, v35, v34
	v_lshrrev_b32_e32 v35, 16, v34
.LBB921_121:                            ;   in Loop: Header=BB921_15 Depth=1
	s_or_b64 exec, exec, s[10:11]
.LBB921_122:                            ;   in Loop: Header=BB921_15 Depth=1
	s_or_b64 exec, exec, s[6:7]
.LBB921_123:                            ;   in Loop: Header=BB921_15 Depth=1
	s_or_b64 exec, exec, s[4:5]
	v_lshrrev_b32_e32 v34, 16, v32
	v_cmp_ne_u16_sdwa s[6:7], v34, v31 src0_sel:BYTE_0 src1_sel:DWORD
	s_and_saveexec_b64 s[4:5], s[6:7]
	s_cbranch_execz .LBB921_129
; %bb.124:                              ;   in Loop: Header=BB921_15 Depth=1
	v_cmp_ne_u16_sdwa s[10:11], v34, s13 src0_sel:BYTE_0 src1_sel:DWORD
	v_mov_b32_e32 v36, 0xffff8000
	s_and_saveexec_b64 s[6:7], s[10:11]
	s_cbranch_execz .LBB921_128
; %bb.125:                              ;   in Loop: Header=BB921_15 Depth=1
	v_bfe_u32 v37, v32, 16, 7
	v_cmp_ne_u32_e32 vcc, s14, v37
	v_mov_b32_e32 v36, 0x7f80
	s_and_saveexec_b64 s[10:11], vcc
	s_cbranch_execz .LBB921_127
; %bb.126:                              ;   in Loop: Header=BB921_15 Depth=1
	v_and_b32_e32 v36, 7, v34
	v_ffbh_u32_e32 v42, v36
	v_min_u32_e32 v44, 32, v42
	v_subrev_u32_e32 v42, 28, v44
	v_lshlrev_b64 v[42:43], v42, v[34:35]
	v_lshrrev_b32_e32 v40, 3, v37
	v_sub_u32_e32 v43, 29, v44
	v_and_b32_e32 v42, 7, v42
	v_cmp_gt_u32_e32 vcc, 8, v37
	v_cndmask_b32_e32 v37, v40, v43, vcc
	v_cndmask_b32_e32 v36, v36, v42, vcc
	v_lshlrev_b32_e32 v34, 24, v34
	v_lshlrev_b32_e32 v36, 20, v36
	v_and_b32_e32 v34, 0x80000000, v34
	v_lshl_add_u32 v37, v37, 23, v33
	v_or3_b32 v34, v34, v37, v36
	v_lshrrev_b32_e32 v36, 16, v34
.LBB921_127:                            ;   in Loop: Header=BB921_15 Depth=1
	s_or_b64 exec, exec, s[10:11]
.LBB921_128:                            ;   in Loop: Header=BB921_15 Depth=1
	s_or_b64 exec, exec, s[6:7]
.LBB921_129:                            ;   in Loop: Header=BB921_15 Depth=1
	s_or_b64 exec, exec, s[4:5]
	v_cmp_lt_u32_e32 vcc, s15, v32
	v_mov_b32_e32 v37, 0
	v_mov_b32_e32 v40, 0
	s_and_saveexec_b64 s[4:5], vcc
	s_cbranch_execz .LBB921_135
; %bb.130:                              ;   in Loop: Header=BB921_15 Depth=1
	v_lshrrev_b32_e32 v34, 24, v32
	v_cmp_ne_u32_e32 vcc, s13, v34
	v_mov_b32_e32 v40, 0xffff8000
	s_and_saveexec_b64 s[6:7], vcc
	s_cbranch_execz .LBB921_134
; %bb.131:                              ;   in Loop: Header=BB921_15 Depth=1
	v_bfe_u32 v32, v32, 24, 7
	v_cmp_ne_u32_e32 vcc, s14, v32
	v_mov_b32_e32 v40, 0x7f80
	s_and_saveexec_b64 s[10:11], vcc
	s_cbranch_execz .LBB921_133
; %bb.132:                              ;   in Loop: Header=BB921_15 Depth=1
	v_and_b32_e32 v40, 7, v34
	v_ffbh_u32_e32 v42, v40
	v_min_u32_e32 v45, 32, v42
	v_subrev_u32_e32 v42, 28, v45
	v_lshlrev_b64 v[42:43], v42, v[34:35]
	v_lshrrev_b32_e32 v44, 3, v32
	v_sub_u32_e32 v43, 29, v45
	v_and_b32_e32 v42, 7, v42
	v_cmp_gt_u32_e32 vcc, 8, v32
	v_cndmask_b32_e32 v32, v44, v43, vcc
	v_cndmask_b32_e32 v40, v40, v42, vcc
	v_lshlrev_b32_e32 v34, 24, v34
	v_lshlrev_b32_e32 v40, 20, v40
	v_and_b32_e32 v34, 0x80000000, v34
	v_lshl_add_u32 v32, v32, 23, v33
	v_or3_b32 v32, v34, v32, v40
	v_lshrrev_b32_e32 v40, 16, v32
.LBB921_133:                            ;   in Loop: Header=BB921_15 Depth=1
	s_or_b64 exec, exec, s[10:11]
.LBB921_134:                            ;   in Loop: Header=BB921_15 Depth=1
	s_or_b64 exec, exec, s[6:7]
.LBB921_135:                            ;   in Loop: Header=BB921_15 Depth=1
	s_or_b64 exec, exec, s[4:5]
	s_waitcnt vmcnt(2)
	v_cmp_ne_u16_sdwa s[6:7], v30, v31 src0_sel:BYTE_0 src1_sel:DWORD
	s_and_saveexec_b64 s[4:5], s[6:7]
	s_cbranch_execz .LBB921_141
; %bb.136:                              ;   in Loop: Header=BB921_15 Depth=1
	v_cmp_ne_u16_sdwa s[10:11], v30, s13 src0_sel:BYTE_0 src1_sel:DWORD
	v_mov_b32_e32 v37, 0xffff8000
	s_and_saveexec_b64 s[6:7], s[10:11]
	s_cbranch_execz .LBB921_140
; %bb.137:                              ;   in Loop: Header=BB921_15 Depth=1
	v_and_b32_e32 v32, 0x7f, v30
	v_cmp_ne_u32_e32 vcc, s14, v32
	v_mov_b32_e32 v37, 0x7f80
	s_and_saveexec_b64 s[10:11], vcc
	s_cbranch_execz .LBB921_139
; %bb.138:                              ;   in Loop: Header=BB921_15 Depth=1
	v_and_b32_e32 v34, 7, v30
	v_ffbh_u32_e32 v42, v34
	v_min_u32_e32 v44, 32, v42
	v_subrev_u32_e32 v42, 28, v44
	v_lshlrev_b64 v[42:43], v42, v[30:31]
	v_lshrrev_b32_e32 v37, 3, v32
	v_sub_u32_e32 v43, 29, v44
	v_and_b32_e32 v42, 7, v42
	v_cmp_gt_u32_e32 vcc, 8, v32
	v_cndmask_b32_e32 v32, v37, v43, vcc
	v_cndmask_b32_e32 v34, v34, v42, vcc
	v_lshlrev_b32_e32 v37, 24, v30
	v_lshlrev_b32_e32 v34, 20, v34
	v_and_b32_e32 v37, 0x80000000, v37
	v_lshl_add_u32 v32, v32, 23, v33
	v_or3_b32 v32, v37, v32, v34
	v_lshrrev_b32_e32 v37, 16, v32
.LBB921_139:                            ;   in Loop: Header=BB921_15 Depth=1
	s_or_b64 exec, exec, s[10:11]
.LBB921_140:                            ;   in Loop: Header=BB921_15 Depth=1
	s_or_b64 exec, exec, s[6:7]
.LBB921_141:                            ;   in Loop: Header=BB921_15 Depth=1
	s_or_b64 exec, exec, s[4:5]
	v_lshrrev_b16_e32 v32, 8, v30
	v_cmp_ne_u16_e32 vcc, 0, v32
	v_mov_b32_e32 v43, 0
	v_mov_b32_e32 v42, 0
	s_and_saveexec_b64 s[4:5], vcc
	s_cbranch_execz .LBB921_147
; %bb.142:                              ;   in Loop: Header=BB921_15 Depth=1
	v_cmp_ne_u16_e32 vcc, s13, v32
	v_mov_b32_e32 v42, 0xffff8000
	s_and_saveexec_b64 s[6:7], vcc
	s_cbranch_execz .LBB921_146
; %bb.143:                              ;   in Loop: Header=BB921_15 Depth=1
	v_and_b32_e32 v34, 0x7f, v32
	v_cmp_ne_u32_e32 vcc, s14, v34
	v_mov_b32_e32 v42, 0x7f80
	s_and_saveexec_b64 s[10:11], vcc
	s_cbranch_execz .LBB921_145
; %bb.144:                              ;   in Loop: Header=BB921_15 Depth=1
	v_and_b32_e32 v42, 7, v32
	v_ffbh_u32_e32 v44, v42
	v_min_u32_e32 v47, 32, v44
	v_subrev_u32_e32 v44, 28, v47
	v_lshlrev_b64 v[44:45], v44, v[32:33]
	v_lshrrev_b32_e32 v46, 3, v34
	v_sub_u32_e32 v32, 29, v47
	v_and_b32_e32 v44, 7, v44
	v_cmp_gt_u32_e32 vcc, 8, v34
	v_cndmask_b32_e32 v32, v46, v32, vcc
	v_cndmask_b32_e32 v34, v42, v44, vcc
	v_lshlrev_b32_e32 v42, 16, v30
	v_lshlrev_b32_e32 v34, 20, v34
	v_and_b32_e32 v42, 0x80000000, v42
	v_lshl_add_u32 v32, v32, 23, v33
	v_or3_b32 v32, v42, v32, v34
	v_lshrrev_b32_e32 v42, 16, v32
.LBB921_145:                            ;   in Loop: Header=BB921_15 Depth=1
	s_or_b64 exec, exec, s[10:11]
.LBB921_146:                            ;   in Loop: Header=BB921_15 Depth=1
	s_or_b64 exec, exec, s[6:7]
.LBB921_147:                            ;   in Loop: Header=BB921_15 Depth=1
	s_or_b64 exec, exec, s[4:5]
	v_lshrrev_b32_e32 v32, 16, v30
	v_cmp_ne_u16_sdwa s[6:7], v32, v31 src0_sel:BYTE_0 src1_sel:DWORD
	s_and_saveexec_b64 s[4:5], s[6:7]
	s_cbranch_execz .LBB921_153
; %bb.148:                              ;   in Loop: Header=BB921_15 Depth=1
	v_cmp_ne_u16_sdwa s[10:11], v32, s13 src0_sel:BYTE_0 src1_sel:DWORD
	v_mov_b32_e32 v43, 0xffff8000
	s_and_saveexec_b64 s[6:7], s[10:11]
	s_cbranch_execz .LBB921_152
; %bb.149:                              ;   in Loop: Header=BB921_15 Depth=1
	v_bfe_u32 v34, v30, 16, 7
	v_cmp_ne_u32_e32 vcc, s14, v34
	v_mov_b32_e32 v43, 0x7f80
	s_and_saveexec_b64 s[10:11], vcc
	s_cbranch_execz .LBB921_151
; %bb.150:                              ;   in Loop: Header=BB921_15 Depth=1
	v_and_b32_e32 v43, 7, v32
	v_ffbh_u32_e32 v44, v43
	v_min_u32_e32 v47, 32, v44
	v_subrev_u32_e32 v44, 28, v47
	v_lshlrev_b64 v[44:45], v44, v[32:33]
	v_lshrrev_b32_e32 v46, 3, v34
	v_sub_u32_e32 v45, 29, v47
	v_and_b32_e32 v44, 7, v44
	v_cmp_gt_u32_e32 vcc, 8, v34
	v_cndmask_b32_e32 v34, v46, v45, vcc
	v_cndmask_b32_e32 v43, v43, v44, vcc
	v_lshlrev_b32_e32 v32, 24, v32
	v_lshlrev_b32_e32 v43, 20, v43
	v_and_b32_e32 v32, 0x80000000, v32
	v_lshl_add_u32 v34, v34, 23, v33
	v_or3_b32 v32, v32, v34, v43
	v_lshrrev_b32_e32 v43, 16, v32
.LBB921_151:                            ;   in Loop: Header=BB921_15 Depth=1
	s_or_b64 exec, exec, s[10:11]
.LBB921_152:                            ;   in Loop: Header=BB921_15 Depth=1
	s_or_b64 exec, exec, s[6:7]
.LBB921_153:                            ;   in Loop: Header=BB921_15 Depth=1
	s_or_b64 exec, exec, s[4:5]
	v_cmp_lt_u32_e32 vcc, s15, v30
	v_mov_b32_e32 v34, 0
	v_mov_b32_e32 v44, 0
	s_and_saveexec_b64 s[4:5], vcc
	s_cbranch_execz .LBB921_159
; %bb.154:                              ;   in Loop: Header=BB921_15 Depth=1
	v_lshrrev_b32_e32 v32, 24, v30
	v_cmp_ne_u32_e32 vcc, s13, v32
	v_mov_b32_e32 v44, 0xffff8000
	s_and_saveexec_b64 s[6:7], vcc
	s_cbranch_execz .LBB921_158
; %bb.155:                              ;   in Loop: Header=BB921_15 Depth=1
	v_bfe_u32 v30, v30, 24, 7
	v_cmp_ne_u32_e32 vcc, s14, v30
	v_mov_b32_e32 v44, 0x7f80
	s_and_saveexec_b64 s[10:11], vcc
	s_cbranch_execz .LBB921_157
; %bb.156:                              ;   in Loop: Header=BB921_15 Depth=1
	v_and_b32_e32 v46, 7, v32
	v_ffbh_u32_e32 v44, v46
	v_min_u32_e32 v48, 32, v44
	v_subrev_u32_e32 v44, 28, v48
	v_lshlrev_b64 v[44:45], v44, v[32:33]
	v_lshrrev_b32_e32 v47, 3, v30
	v_sub_u32_e32 v45, 29, v48
	v_and_b32_e32 v44, 7, v44
	v_cmp_gt_u32_e32 vcc, 8, v30
	v_cndmask_b32_e32 v30, v47, v45, vcc
	v_cndmask_b32_e32 v44, v46, v44, vcc
	v_lshlrev_b32_e32 v32, 24, v32
	v_lshlrev_b32_e32 v44, 20, v44
	v_and_b32_e32 v32, 0x80000000, v32
	v_lshl_add_u32 v30, v30, 23, v33
	v_or3_b32 v30, v32, v30, v44
	v_lshrrev_b32_e32 v44, 16, v30
.LBB921_157:                            ;   in Loop: Header=BB921_15 Depth=1
	s_or_b64 exec, exec, s[10:11]
.LBB921_158:                            ;   in Loop: Header=BB921_15 Depth=1
	s_or_b64 exec, exec, s[6:7]
.LBB921_159:                            ;   in Loop: Header=BB921_15 Depth=1
	s_or_b64 exec, exec, s[4:5]
	v_perm_b32 v47, v40, v36, s16
	v_perm_b32 v46, v35, v23, s16
	;; [unrolled: 1-line block ×4, first 2 shown]
	s_waitcnt vmcnt(1)
	v_cmp_ne_u16_sdwa s[6:7], v28, v31 src0_sel:BYTE_0 src1_sel:DWORD
	v_mfma_f32_16x16x16bf16_1k v[18:21], v[46:47], v[10:11], v[18:21]
	v_mfma_f32_16x16x16bf16_1k v[18:21], v[42:43], v[12:13], v[18:21]
	s_and_saveexec_b64 s[4:5], s[6:7]
	s_cbranch_execz .LBB921_165
; %bb.160:                              ;   in Loop: Header=BB921_15 Depth=1
	v_cmp_ne_u16_sdwa s[10:11], v28, s13 src0_sel:BYTE_0 src1_sel:DWORD
	v_mov_b32_e32 v34, 0xffff8000
	s_and_saveexec_b64 s[6:7], s[10:11]
	s_cbranch_execz .LBB921_164
; %bb.161:                              ;   in Loop: Header=BB921_15 Depth=1
	v_and_b32_e32 v23, 0x7f, v28
	v_cmp_ne_u32_e32 vcc, s14, v23
	v_mov_b32_e32 v34, 0x7f80
	s_and_saveexec_b64 s[10:11], vcc
	s_cbranch_execz .LBB921_163
; %bb.162:                              ;   in Loop: Header=BB921_15 Depth=1
	v_and_b32_e32 v30, 7, v28
	v_ffbh_u32_e32 v34, v30
	v_min_u32_e32 v36, 32, v34
	v_subrev_u32_e32 v34, 28, v36
	v_lshlrev_b64 v[34:35], v34, v[28:29]
	v_lshrrev_b32_e32 v32, 3, v23
	v_sub_u32_e32 v35, 29, v36
	v_and_b32_e32 v34, 7, v34
	v_cmp_gt_u32_e32 vcc, 8, v23
	v_cndmask_b32_e32 v23, v32, v35, vcc
	v_cndmask_b32_e32 v30, v30, v34, vcc
	v_lshlrev_b32_e32 v32, 24, v28
	v_lshlrev_b32_e32 v30, 20, v30
	v_and_b32_e32 v32, 0x80000000, v32
	v_lshl_add_u32 v23, v23, 23, v33
	v_or3_b32 v23, v32, v23, v30
	v_lshrrev_b32_e32 v34, 16, v23
.LBB921_163:                            ;   in Loop: Header=BB921_15 Depth=1
	s_or_b64 exec, exec, s[10:11]
.LBB921_164:                            ;   in Loop: Header=BB921_15 Depth=1
	s_or_b64 exec, exec, s[6:7]
.LBB921_165:                            ;   in Loop: Header=BB921_15 Depth=1
	s_or_b64 exec, exec, s[4:5]
	v_lshrrev_b16_e32 v30, 8, v28
	v_cmp_ne_u16_e32 vcc, 0, v30
	v_mov_b32_e32 v32, 0
	v_mov_b32_e32 v23, 0
	s_and_saveexec_b64 s[4:5], vcc
	s_cbranch_execz .LBB921_171
; %bb.166:                              ;   in Loop: Header=BB921_15 Depth=1
	v_cmp_ne_u16_e32 vcc, s13, v30
	v_mov_b32_e32 v23, 0xffff8000
	s_and_saveexec_b64 s[6:7], vcc
	s_cbranch_execz .LBB921_170
; %bb.167:                              ;   in Loop: Header=BB921_15 Depth=1
	v_and_b32_e32 v35, 0x7f, v30
	v_cmp_ne_u32_e32 vcc, s14, v35
	v_mov_b32_e32 v23, 0x7f80
	s_and_saveexec_b64 s[10:11], vcc
	s_cbranch_execz .LBB921_169
; %bb.168:                              ;   in Loop: Header=BB921_15 Depth=1
	v_and_b32_e32 v23, 7, v30
	v_ffbh_u32_e32 v36, v23
	v_min_u32_e32 v42, 32, v36
	v_subrev_u32_e32 v36, 28, v42
	v_lshlrev_b64 v[36:37], v36, v[30:31]
	v_lshrrev_b32_e32 v40, 3, v35
	v_sub_u32_e32 v30, 29, v42
	v_and_b32_e32 v36, 7, v36
	v_cmp_gt_u32_e32 vcc, 8, v35
	v_cndmask_b32_e32 v30, v40, v30, vcc
	v_cndmask_b32_e32 v23, v23, v36, vcc
	v_lshlrev_b32_e32 v35, 16, v28
	v_lshlrev_b32_e32 v23, 20, v23
	v_and_b32_e32 v35, 0x80000000, v35
	v_lshl_add_u32 v30, v30, 23, v33
	v_or3_b32 v23, v35, v30, v23
	v_lshrrev_b32_e32 v23, 16, v23
.LBB921_169:                            ;   in Loop: Header=BB921_15 Depth=1
	s_or_b64 exec, exec, s[10:11]
.LBB921_170:                            ;   in Loop: Header=BB921_15 Depth=1
	s_or_b64 exec, exec, s[6:7]
.LBB921_171:                            ;   in Loop: Header=BB921_15 Depth=1
	s_or_b64 exec, exec, s[4:5]
	v_lshrrev_b32_e32 v30, 16, v28
	v_cmp_ne_u16_sdwa s[6:7], v30, v31 src0_sel:BYTE_0 src1_sel:DWORD
	s_and_saveexec_b64 s[4:5], s[6:7]
	s_cbranch_execz .LBB921_177
; %bb.172:                              ;   in Loop: Header=BB921_15 Depth=1
	v_cmp_ne_u16_sdwa s[10:11], v30, s13 src0_sel:BYTE_0 src1_sel:DWORD
	v_mov_b32_e32 v32, 0xffff8000
	s_and_saveexec_b64 s[6:7], s[10:11]
	s_cbranch_execz .LBB921_176
; %bb.173:                              ;   in Loop: Header=BB921_15 Depth=1
	v_bfe_u32 v35, v28, 16, 7
	v_cmp_ne_u32_e32 vcc, s14, v35
	v_mov_b32_e32 v32, 0x7f80
	s_and_saveexec_b64 s[10:11], vcc
	s_cbranch_execz .LBB921_175
; %bb.174:                              ;   in Loop: Header=BB921_15 Depth=1
	v_and_b32_e32 v32, 7, v30
	v_ffbh_u32_e32 v36, v32
	v_min_u32_e32 v42, 32, v36
	v_subrev_u32_e32 v36, 28, v42
	v_lshlrev_b64 v[36:37], v36, v[30:31]
	v_lshrrev_b32_e32 v40, 3, v35
	v_sub_u32_e32 v37, 29, v42
	v_and_b32_e32 v36, 7, v36
	v_cmp_gt_u32_e32 vcc, 8, v35
	v_cndmask_b32_e32 v35, v40, v37, vcc
	v_cndmask_b32_e32 v32, v32, v36, vcc
	v_lshlrev_b32_e32 v30, 24, v30
	v_lshlrev_b32_e32 v32, 20, v32
	v_and_b32_e32 v30, 0x80000000, v30
	v_lshl_add_u32 v35, v35, 23, v33
	v_or3_b32 v30, v30, v35, v32
	v_lshrrev_b32_e32 v32, 16, v30
.LBB921_175:                            ;   in Loop: Header=BB921_15 Depth=1
	s_or_b64 exec, exec, s[10:11]
.LBB921_176:                            ;   in Loop: Header=BB921_15 Depth=1
	s_or_b64 exec, exec, s[6:7]
.LBB921_177:                            ;   in Loop: Header=BB921_15 Depth=1
	s_or_b64 exec, exec, s[4:5]
	v_cmp_lt_u32_e32 vcc, s15, v28
	v_mov_b32_e32 v35, 0
	v_mov_b32_e32 v36, 0
	s_and_saveexec_b64 s[4:5], vcc
	s_cbranch_execz .LBB921_183
; %bb.178:                              ;   in Loop: Header=BB921_15 Depth=1
	v_lshrrev_b32_e32 v30, 24, v28
	v_cmp_ne_u32_e32 vcc, s13, v30
	v_mov_b32_e32 v36, 0xffff8000
	s_and_saveexec_b64 s[6:7], vcc
	s_cbranch_execz .LBB921_182
; %bb.179:                              ;   in Loop: Header=BB921_15 Depth=1
	v_bfe_u32 v28, v28, 24, 7
	v_cmp_ne_u32_e32 vcc, s14, v28
	v_mov_b32_e32 v36, 0x7f80
	s_and_saveexec_b64 s[10:11], vcc
	s_cbranch_execz .LBB921_181
; %bb.180:                              ;   in Loop: Header=BB921_15 Depth=1
	v_and_b32_e32 v40, 7, v30
	v_ffbh_u32_e32 v36, v40
	v_min_u32_e32 v43, 32, v36
	v_subrev_u32_e32 v36, 28, v43
	v_lshlrev_b64 v[36:37], v36, v[30:31]
	v_lshrrev_b32_e32 v42, 3, v28
	v_sub_u32_e32 v37, 29, v43
	v_and_b32_e32 v36, 7, v36
	v_cmp_gt_u32_e32 vcc, 8, v28
	v_cndmask_b32_e32 v28, v42, v37, vcc
	v_cndmask_b32_e32 v36, v40, v36, vcc
	v_lshlrev_b32_e32 v30, 24, v30
	v_lshlrev_b32_e32 v36, 20, v36
	v_and_b32_e32 v30, 0x80000000, v30
	v_lshl_add_u32 v28, v28, 23, v33
	v_or3_b32 v28, v30, v28, v36
	v_lshrrev_b32_e32 v36, 16, v28
.LBB921_181:                            ;   in Loop: Header=BB921_15 Depth=1
	s_or_b64 exec, exec, s[10:11]
.LBB921_182:                            ;   in Loop: Header=BB921_15 Depth=1
	s_or_b64 exec, exec, s[6:7]
.LBB921_183:                            ;   in Loop: Header=BB921_15 Depth=1
	s_or_b64 exec, exec, s[4:5]
	s_waitcnt vmcnt(0)
	v_cmp_ne_u16_sdwa s[6:7], v26, v31 src0_sel:BYTE_0 src1_sel:DWORD
	s_and_saveexec_b64 s[4:5], s[6:7]
	s_cbranch_execz .LBB921_189
; %bb.184:                              ;   in Loop: Header=BB921_15 Depth=1
	v_cmp_ne_u16_sdwa s[10:11], v26, s13 src0_sel:BYTE_0 src1_sel:DWORD
	v_mov_b32_e32 v35, 0xffff8000
	s_and_saveexec_b64 s[6:7], s[10:11]
	s_cbranch_execz .LBB921_188
; %bb.185:                              ;   in Loop: Header=BB921_15 Depth=1
	v_and_b32_e32 v28, 0x7f, v26
	v_cmp_ne_u32_e32 vcc, s14, v28
	v_mov_b32_e32 v35, 0x7f80
	s_and_saveexec_b64 s[10:11], vcc
	s_cbranch_execz .LBB921_187
; %bb.186:                              ;   in Loop: Header=BB921_15 Depth=1
	v_and_b32_e32 v30, 7, v26
	v_ffbh_u32_e32 v37, v30
	v_min_u32_e32 v37, 32, v37
	v_subrev_u32_e32 v40, 28, v37
	v_lshlrev_b64 v[42:43], v40, v[26:27]
	v_lshrrev_b32_e32 v35, 3, v28
	v_sub_u32_e32 v37, 29, v37
	v_and_b32_e32 v40, 7, v42
	v_cmp_gt_u32_e32 vcc, 8, v28
	v_cndmask_b32_e32 v28, v35, v37, vcc
	v_cndmask_b32_e32 v30, v30, v40, vcc
	v_lshlrev_b32_e32 v35, 24, v26
	v_lshlrev_b32_e32 v30, 20, v30
	v_and_b32_e32 v35, 0x80000000, v35
	v_lshl_add_u32 v28, v28, 23, v33
	v_or3_b32 v28, v35, v28, v30
	v_lshrrev_b32_e32 v35, 16, v28
.LBB921_187:                            ;   in Loop: Header=BB921_15 Depth=1
	s_or_b64 exec, exec, s[10:11]
.LBB921_188:                            ;   in Loop: Header=BB921_15 Depth=1
	s_or_b64 exec, exec, s[6:7]
.LBB921_189:                            ;   in Loop: Header=BB921_15 Depth=1
	s_or_b64 exec, exec, s[4:5]
	v_lshrrev_b16_e32 v28, 8, v26
	v_cmp_ne_u16_e32 vcc, 0, v28
	v_mov_b32_e32 v37, 0
	v_mov_b32_e32 v30, 0
	s_and_saveexec_b64 s[4:5], vcc
	s_cbranch_execz .LBB921_195
; %bb.190:                              ;   in Loop: Header=BB921_15 Depth=1
	v_cmp_ne_u16_e32 vcc, s13, v28
	v_mov_b32_e32 v30, 0xffff8000
	s_and_saveexec_b64 s[6:7], vcc
	s_cbranch_execz .LBB921_194
; %bb.191:                              ;   in Loop: Header=BB921_15 Depth=1
	v_and_b32_e32 v40, 0x7f, v28
	v_cmp_ne_u32_e32 vcc, s14, v40
	v_mov_b32_e32 v30, 0x7f80
	s_and_saveexec_b64 s[10:11], vcc
	s_cbranch_execz .LBB921_193
; %bb.192:                              ;   in Loop: Header=BB921_15 Depth=1
	v_and_b32_e32 v30, 7, v28
	v_ffbh_u32_e32 v42, v30
	v_min_u32_e32 v45, 32, v42
	v_subrev_u32_e32 v42, 28, v45
	v_lshlrev_b64 v[42:43], v42, v[28:29]
	v_lshrrev_b32_e32 v44, 3, v40
	v_sub_u32_e32 v28, 29, v45
	v_and_b32_e32 v42, 7, v42
	v_cmp_gt_u32_e32 vcc, 8, v40
	v_cndmask_b32_e32 v28, v44, v28, vcc
	v_cndmask_b32_e32 v30, v30, v42, vcc
	v_lshlrev_b32_e32 v40, 16, v26
	v_lshlrev_b32_e32 v30, 20, v30
	v_and_b32_e32 v40, 0x80000000, v40
	v_lshl_add_u32 v28, v28, 23, v33
	v_or3_b32 v28, v40, v28, v30
	v_lshrrev_b32_e32 v30, 16, v28
.LBB921_193:                            ;   in Loop: Header=BB921_15 Depth=1
	s_or_b64 exec, exec, s[10:11]
.LBB921_194:                            ;   in Loop: Header=BB921_15 Depth=1
	s_or_b64 exec, exec, s[6:7]
.LBB921_195:                            ;   in Loop: Header=BB921_15 Depth=1
	s_or_b64 exec, exec, s[4:5]
	v_lshrrev_b32_e32 v28, 16, v26
	v_cmp_ne_u16_sdwa s[6:7], v28, v31 src0_sel:BYTE_0 src1_sel:DWORD
	s_and_saveexec_b64 s[4:5], s[6:7]
	s_cbranch_execz .LBB921_201
; %bb.196:                              ;   in Loop: Header=BB921_15 Depth=1
	v_cmp_ne_u16_sdwa s[10:11], v28, s13 src0_sel:BYTE_0 src1_sel:DWORD
	v_mov_b32_e32 v37, 0xffff8000
	s_and_saveexec_b64 s[6:7], s[10:11]
	s_cbranch_execz .LBB921_200
; %bb.197:                              ;   in Loop: Header=BB921_15 Depth=1
	v_bfe_u32 v40, v26, 16, 7
	v_cmp_ne_u32_e32 vcc, s14, v40
	v_mov_b32_e32 v37, 0x7f80
	s_and_saveexec_b64 s[10:11], vcc
	s_cbranch_execz .LBB921_199
; %bb.198:                              ;   in Loop: Header=BB921_15 Depth=1
	v_and_b32_e32 v37, 7, v28
	v_ffbh_u32_e32 v42, v37
	v_min_u32_e32 v45, 32, v42
	v_subrev_u32_e32 v42, 28, v45
	v_lshlrev_b64 v[42:43], v42, v[28:29]
	v_lshrrev_b32_e32 v44, 3, v40
	v_sub_u32_e32 v43, 29, v45
	v_and_b32_e32 v42, 7, v42
	v_cmp_gt_u32_e32 vcc, 8, v40
	v_cndmask_b32_e32 v40, v44, v43, vcc
	v_cndmask_b32_e32 v37, v37, v42, vcc
	v_lshlrev_b32_e32 v28, 24, v28
	v_lshlrev_b32_e32 v37, 20, v37
	v_and_b32_e32 v28, 0x80000000, v28
	v_lshl_add_u32 v40, v40, 23, v33
	v_or3_b32 v28, v28, v40, v37
	v_lshrrev_b32_e32 v37, 16, v28
.LBB921_199:                            ;   in Loop: Header=BB921_15 Depth=1
	s_or_b64 exec, exec, s[10:11]
.LBB921_200:                            ;   in Loop: Header=BB921_15 Depth=1
	s_or_b64 exec, exec, s[6:7]
.LBB921_201:                            ;   in Loop: Header=BB921_15 Depth=1
	s_or_b64 exec, exec, s[4:5]
	v_cmp_lt_u32_e32 vcc, s15, v26
	v_mov_b32_e32 v40, 0
	s_and_saveexec_b64 s[4:5], vcc
	s_cbranch_execz .LBB921_14
; %bb.202:                              ;   in Loop: Header=BB921_15 Depth=1
	v_lshrrev_b32_e32 v28, 24, v26
	v_cmp_ne_u32_e32 vcc, s13, v28
	v_mov_b32_e32 v40, 0xffff8000
	s_and_saveexec_b64 s[6:7], vcc
	s_cbranch_execz .LBB921_13
; %bb.203:                              ;   in Loop: Header=BB921_15 Depth=1
	v_bfe_u32 v26, v26, 24, 7
	v_cmp_ne_u32_e32 vcc, s14, v26
	v_mov_b32_e32 v40, 0x7f80
	s_and_saveexec_b64 s[10:11], vcc
	s_cbranch_execz .LBB921_12
; %bb.204:                              ;   in Loop: Header=BB921_15 Depth=1
	v_and_b32_e32 v40, 7, v28
	v_ffbh_u32_e32 v42, v40
	v_min_u32_e32 v45, 32, v42
	v_subrev_u32_e32 v42, 28, v45
	v_lshlrev_b64 v[42:43], v42, v[28:29]
	v_lshrrev_b32_e32 v44, 3, v26
	v_sub_u32_e32 v43, 29, v45
	v_and_b32_e32 v42, 7, v42
	v_cmp_gt_u32_e32 vcc, 8, v26
	v_cndmask_b32_e32 v26, v44, v43, vcc
	v_cndmask_b32_e32 v40, v40, v42, vcc
	v_lshlrev_b32_e32 v28, 24, v28
	v_lshlrev_b32_e32 v40, 20, v40
	v_and_b32_e32 v28, 0x80000000, v28
	v_lshl_add_u32 v26, v26, 23, v33
	v_or3_b32 v26, v28, v26, v40
	v_lshrrev_b32_e32 v40, 16, v26
	s_branch .LBB921_12
.LBB921_205:
	buffer_load_dword v13, off, s[0:3], 0 offset:256
	buffer_load_dword v14, off, s[0:3], 0 offset:260
	;; [unrolled: 1-line block ×16, first 2 shown]
	v_and_b32_e32 v12, 0xc0, v0
	v_add_u32_e32 v12, s20, v12
	v_lshl_or_b32 v12, v1, 2, v12
	v_or_b32_e32 v23, 1, v12
	v_mov_b32_e32 v19, 0xff7fffff
	v_or_b32_e32 v24, 2, v12
	v_or_b32_e32 v25, 3, v12
	v_cmp_gt_i32_e64 s[26:27], s33, v12
	v_cmp_gt_i32_e64 s[28:29], s33, v23
	s_mov_b32 s52, 0xff7fffff
	v_or_b32_e32 v26, 16, v12
	v_or_b32_e32 v27, 17, v12
	;; [unrolled: 1-line block ×12, first 2 shown]
	v_cmp_gt_i32_e64 s[30:31], s33, v24
	v_cmp_gt_i32_e64 s[34:35], s33, v25
	v_mbcnt_lo_u32_b32 v20, -1, 0
	v_cmp_gt_i32_e64 s[36:37], s33, v26
	v_cmp_gt_i32_e64 s[38:39], s33, v27
	v_mbcnt_hi_u32_b32 v20, -1, v20
	v_cmp_gt_i32_e64 s[20:21], s33, v28
	v_cmp_gt_i32_e64 s[22:23], s33, v29
	v_and_b32_e32 v21, 64, v20
	v_cmp_gt_i32_e64 s[16:17], s33, v30
	v_cmp_gt_i32_e64 s[18:19], s33, v31
	v_xor_b32_e32 v22, 32, v20
	v_add_u32_e32 v21, 64, v21
	v_cmp_gt_i32_e64 s[12:13], s33, v32
	v_cmp_gt_i32_e64 s[14:15], s33, v33
	v_cmp_lt_i32_e32 vcc, v22, v21
	v_cmp_gt_i32_e64 s[6:7], s33, v34
	v_cmp_gt_i32_e64 s[10:11], s33, v35
	v_cndmask_b32_e32 v22, v20, v22, vcc
	v_cmp_gt_i32_e32 vcc, s33, v36
	v_cmp_gt_i32_e64 s[4:5], s33, v37
	v_lshlrev_b32_e32 v22, 2, v22
	s_waitcnt vmcnt(15)
	v_cndmask_b32_e64 v12, v19, v13, s[26:27]
	s_waitcnt vmcnt(14)
	v_cndmask_b32_e64 v23, v19, v14, s[28:29]
	;; [unrolled: 2-line block ×4, first 2 shown]
	v_max3_f32 v12, v12, s52, v23
	s_waitcnt vmcnt(11)
	v_cndmask_b32_e64 v26, v19, v17, s[36:37]
	s_waitcnt vmcnt(10)
	v_cndmask_b32_e64 v27, v19, v18, s[38:39]
	v_max3_f32 v12, v12, v24, v25
	s_waitcnt vmcnt(9)
	v_cndmask_b32_e64 v28, v19, v11, s[20:21]
	s_waitcnt vmcnt(8)
	v_cndmask_b32_e64 v29, v19, v10, s[22:23]
	;; [unrolled: 5-line block ×5, first 2 shown]
	v_max3_f32 v12, v12, v32, v33
	s_waitcnt vmcnt(1)
	v_cndmask_b32_e32 v36, v19, v3, vcc
	s_waitcnt vmcnt(0)
	v_cndmask_b32_e64 v19, v19, v2, s[4:5]
	v_max3_f32 v12, v12, v34, v35
	v_max3_f32 v12, v12, v36, v19
	ds_bpermute_b32 v19, v22, v12
	v_xor_b32_e32 v23, 16, v20
	v_cmp_lt_i32_e64 s[40:41], v23, v21
	v_cndmask_b32_e64 v20, v20, v23, s[40:41]
	v_lshlrev_b32_e32 v20, 2, v20
	s_waitcnt lgkmcnt(0)
	v_max_f32_e32 v19, v19, v19
	v_max_f32_e32 v12, v12, v19
	ds_bpermute_b32 v19, v20, v12
	s_waitcnt lgkmcnt(0)
	v_max_f32_e32 v19, v19, v19
	v_max_f32_e32 v12, v12, v19
	v_sub_f32_e32 v13, v13, v12
	v_sub_f32_e32 v14, v14, v12
	;; [unrolled: 1-line block ×3, first 2 shown]
	v_mul_f32_e32 v13, 0x3fb8aa3b, v13
	v_mul_f32_e32 v14, 0x3fb8aa3b, v14
	;; [unrolled: 1-line block ×3, first 2 shown]
	v_exp_f32_e32 v13, v13
	v_exp_f32_e32 v14, v14
	;; [unrolled: 1-line block ×3, first 2 shown]
	v_sub_f32_e32 v16, v16, v12
	v_cndmask_b32_e64 v13, 0, v13, s[26:27]
	v_mul_f32_e32 v16, 0x3fb8aa3b, v16
	v_cndmask_b32_e64 v14, 0, v14, s[28:29]
	v_cndmask_b32_e64 v15, 0, v15, s[30:31]
	v_add_f32_e32 v19, 0, v13
	buffer_store_dword v13, off, s[0:3], 0 offset:256
	buffer_store_dword v14, off, s[0:3], 0 offset:260
	buffer_store_dword v15, off, s[0:3], 0 offset:264
	v_sub_f32_e32 v13, v17, v12
	v_exp_f32_e32 v16, v16
	v_add_f32_e32 v19, v19, v14
	v_mul_f32_e32 v13, 0x3fb8aa3b, v13
	v_sub_f32_e32 v14, v18, v12
	v_exp_f32_e32 v13, v13
	v_mul_f32_e32 v14, 0x3fb8aa3b, v14
	v_sub_f32_e32 v11, v11, v12
	v_exp_f32_e32 v14, v14
	;; [unrolled: 3-line block ×3, first 2 shown]
	v_mul_f32_e32 v10, 0x3fb8aa3b, v10
	v_sub_f32_e32 v9, v9, v12
	v_cndmask_b32_e64 v16, 0, v16, s[34:35]
	v_add_f32_e32 v19, v19, v15
	v_exp_f32_e32 v10, v10
	v_mul_f32_e32 v9, 0x3fb8aa3b, v9
	v_sub_f32_e32 v8, v8, v12
	v_add_f32_e32 v19, v19, v16
	v_cndmask_b32_e64 v13, 0, v13, s[36:37]
	v_exp_f32_e32 v9, v9
	v_mul_f32_e32 v8, 0x3fb8aa3b, v8
	v_sub_f32_e32 v7, v7, v12
	v_add_f32_e32 v15, v19, v13
	v_cndmask_b32_e64 v14, 0, v14, s[38:39]
	;; [unrolled: 5-line block ×5, first 2 shown]
	v_exp_f32_e32 v5, v5
	v_mul_f32_e32 v4, 0x3fb8aa3b, v4
	v_sub_f32_e32 v3, v3, v12
	buffer_store_dword v16, off, s[0:3], 0 offset:268
	buffer_store_dword v13, off, s[0:3], 0 offset:272
	;; [unrolled: 1-line block ×5, first 2 shown]
	v_add_f32_e32 v10, v15, v9
	v_cndmask_b32_e64 v8, 0, v8, s[18:19]
	v_exp_f32_e32 v4, v4
	v_mul_f32_e32 v3, 0x3fb8aa3b, v3
	v_sub_f32_e32 v2, v2, v12
	v_add_f32_e32 v10, v10, v8
	v_cndmask_b32_e64 v7, 0, v7, s[12:13]
	v_exp_f32_e32 v3, v3
	v_mul_f32_e32 v2, 0x3fb8aa3b, v2
	v_add_f32_e32 v10, v10, v7
	v_cndmask_b32_e64 v6, 0, v6, s[14:15]
	v_exp_f32_e32 v2, v2
	v_add_f32_e32 v10, v10, v6
	v_cndmask_b32_e64 v5, 0, v5, s[6:7]
	buffer_store_dword v9, off, s[0:3], 0 offset:288
	buffer_store_dword v8, off, s[0:3], 0 offset:292
	;; [unrolled: 1-line block ×4, first 2 shown]
	v_add_f32_e32 v6, v10, v5
	v_cndmask_b32_e64 v4, 0, v4, s[10:11]
	v_add_f32_e32 v6, v6, v4
	v_cndmask_b32_e32 v3, 0, v3, vcc
	v_add_f32_e32 v6, v6, v3
	v_cndmask_b32_e64 v2, 0, v2, s[4:5]
	v_add_f32_e32 v6, v6, v2
	ds_bpermute_b32 v7, v22, v6
	buffer_store_dword v5, off, s[0:3], 0 offset:304
	buffer_store_dword v4, off, s[0:3], 0 offset:308
	;; [unrolled: 1-line block ×4, first 2 shown]
	v_cmp_gt_u32_e32 vcc, 16, v38
	s_waitcnt lgkmcnt(0)
	s_barrier
	v_add_f32_e32 v2, v6, v7
	ds_bpermute_b32 v3, v20, v2
	s_waitcnt lgkmcnt(0)
	s_and_saveexec_b64 s[4:5], vcc
	s_cbranch_execz .LBB921_207
; %bb.206:
	v_add_f32_e32 v2, v2, v3
	v_lshlrev_b32_e32 v3, 2, v63
	ds_write2st64_b32 v3, v12, v2 offset1:1
.LBB921_207:
	s_or_b64 exec, exec, s[4:5]
	v_lshlrev_b32_e32 v2, 2, v55
	s_waitcnt lgkmcnt(0)
	s_barrier
	ds_read2_b32 v[14:15], v2 offset1:16
	ds_read2_b32 v[16:17], v2 offset0:32 offset1:48
	ds_read2_b32 v[6:7], v2 offset0:64 offset1:80
	;; [unrolled: 1-line block ×3, first 2 shown]
	s_waitcnt lgkmcnt(0)
	s_barrier
	buffer_load_dword v22, off, s[0:3], 0 offset:264
	buffer_load_dword v23, off, s[0:3], 0 offset:268
	;; [unrolled: 1-line block ×16, first 2 shown]
	v_max3_f32 v20, v14, s52, v15
	v_max3_f32 v20, v20, v16, v17
	v_sub_f32_e32 v14, v14, v20
	v_sub_f32_e32 v15, v15, v20
	v_mul_f32_e32 v14, 0x3fb8aa3b, v14
	v_sub_f32_e32 v16, v16, v20
	v_mul_f32_e32 v15, 0x3fb8aa3b, v15
	v_exp_f32_e32 v14, v14
	v_sub_f32_e32 v17, v17, v20
	v_mul_f32_e32 v16, 0x3fb8aa3b, v16
	v_exp_f32_e32 v15, v15
	v_mul_f32_e32 v17, 0x3fb8aa3b, v17
	v_exp_f32_e32 v16, v16
	v_exp_f32_e32 v17, v17
	v_fma_f32 v6, v14, v6, 0
	v_fmac_f32_e32 v6, v15, v7
	v_fmac_f32_e32 v6, v16, v12
	;; [unrolled: 1-line block ×3, first 2 shown]
	v_cmp_eq_u32_e32 vcc, 1, v62
	v_add_f32_e32 v12, 0x358637bd, v6
	v_cndmask_b32_e32 v14, v14, v15, vcc
	v_cmp_eq_u32_e32 vcc, 2, v62
	v_div_scale_f32 v13, s[4:5], v12, v12, 1.0
	v_cndmask_b32_e32 v7, v14, v16, vcc
	v_rcp_f32_e32 v14, v13
	v_cmp_eq_u32_e32 vcc, 3, v62
	v_cndmask_b32_e32 v7, v7, v17, vcc
	v_div_scale_f32 v15, vcc, 1.0, v12, 1.0
	v_fma_f32 v16, -v13, v14, 1.0
	v_fmac_f32_e32 v14, v16, v14
	v_mul_f32_e32 v16, v15, v14
	v_fma_f32 v17, -v13, v16, v15
	v_fmac_f32_e32 v16, v17, v14
	v_fma_f32 v13, -v13, v16, v15
	v_div_fmas_f32 v13, v13, v14, v16
	v_div_fixup_f32 v12, v13, v12, 1.0
	v_mul_f32_e32 v12, v7, v12
	s_movk_i32 s19, 0x7fff
	s_mov_b32 s20, 0x7060302
	s_mul_i32 s18, s51, 12
	v_cmp_gt_u32_e32 vcc, 12, v0
	s_waitcnt vmcnt(14)
	v_pk_mul_f32 v[14:15], v[12:13], v[22:23] op_sel_hi:[0,1]
	v_bfe_u32 v21, v15, 16, 1
	s_waitcnt vmcnt(12)
	v_pk_mul_f32 v[16:17], v[12:13], v[24:25] op_sel_hi:[0,1]
	v_bfe_u32 v7, v17, 16, 1
	v_bfe_u32 v13, v16, 16, 1
	;; [unrolled: 1-line block ×3, first 2 shown]
	v_add3_u32 v13, v16, v13, s19
	v_add3_u32 v7, v17, v7, s19
	buffer_store_dword v16, off, s[0:3], 0 offset:256
	buffer_store_dword v17, off, s[0:3], 0 offset:260
	;; [unrolled: 1-line block ×4, first 2 shown]
	v_add3_u32 v16, v14, v22, s19
	v_add3_u32 v15, v15, v21, s19
	v_perm_b32 v14, v7, v13, s20
	v_lshlrev_b32_e32 v13, 3, v1
	v_perm_b32 v15, v15, v16, s20
	v_lshlrev_b32_e32 v7, 5, v55
	v_lshlrev_b32_e32 v16, 11, v62
	s_waitcnt vmcnt(12)
	v_pk_mul_f32 v[8:9], v[12:13], v[8:9] op_sel_hi:[0,1]
	v_or3_b32 v43, v16, v7, v13
	v_pk_mul_f32 v[10:11], v[12:13], v[10:11] op_sel_hi:[0,1]
	v_bfe_u32 v13, v9, 16, 1
	v_bfe_u32 v16, v8, 16, 1
	buffer_store_dword v8, off, s[0:3], 0 offset:272
	buffer_store_dword v9, off, s[0:3], 0 offset:276
	;; [unrolled: 1-line block ×4, first 2 shown]
	v_add3_u32 v8, v8, v16, s19
	v_add3_u32 v9, v9, v13, s19
	v_perm_b32 v8, v9, v8, s20
	v_bfe_u32 v9, v11, 16, 1
	v_bfe_u32 v13, v10, 16, 1
	v_add3_u32 v10, v10, v13, s19
	v_add3_u32 v9, v11, v9, s19
	v_perm_b32 v9, v9, v10, s20
	s_waitcnt vmcnt(14)
	v_pk_mul_f32 v[10:11], v[12:13], v[18:19] op_sel_hi:[0,1]
	ds_write2st64_b64 v43, v[14:15], v[8:9] offset1:1
	s_waitcnt vmcnt(12)
	v_pk_mul_f32 v[8:9], v[12:13], v[26:27] op_sel_hi:[0,1]
	v_bfe_u32 v13, v11, 16, 1
	v_bfe_u32 v14, v10, 16, 1
	buffer_store_dword v10, off, s[0:3], 0 offset:288
	buffer_store_dword v11, off, s[0:3], 0 offset:292
	;; [unrolled: 1-line block ×4, first 2 shown]
	v_add3_u32 v10, v10, v14, s19
	v_add3_u32 v11, v11, v13, s19
	v_perm_b32 v10, v11, v10, s20
	v_bfe_u32 v11, v9, 16, 1
	v_bfe_u32 v13, v8, 16, 1
	v_add3_u32 v8, v8, v13, s19
	v_add3_u32 v9, v9, v11, s19
	s_waitcnt vmcnt(14)
	v_pk_mul_f32 v[2:3], v[12:13], v[2:3] op_sel_hi:[0,1]
	v_perm_b32 v11, v9, v8, s20
	v_bfe_u32 v8, v3, 16, 1
	v_bfe_u32 v9, v2, 16, 1
	s_waitcnt vmcnt(12)
	v_pk_mul_f32 v[4:5], v[12:13], v[4:5] op_sel_hi:[0,1]
	buffer_store_dword v2, off, s[0:3], 0 offset:304
	buffer_store_dword v3, off, s[0:3], 0 offset:308
	;; [unrolled: 1-line block ×4, first 2 shown]
	v_add3_u32 v2, v2, v9, s19
	v_add3_u32 v3, v3, v8, s19
	v_perm_b32 v2, v3, v2, s20
	v_bfe_u32 v3, v5, 16, 1
	v_bfe_u32 v8, v4, 16, 1
	v_add3_u32 v4, v4, v8, s19
	v_add3_u32 v3, v5, v3, s19
	v_perm_b32 v3, v3, v4, s20
	ds_write2st64_b64 v43, v[10:11], v[2:3] offset0:2 offset1:3
	s_and_saveexec_b64 s[4:5], vcc
	s_cbranch_execz .LBB921_209
; %bb.208:
	v_add_co_u32_e32 v4, vcc, s25, v55
	v_addc_co_u32_e64 v5, s[6:7], 0, 0, vcc
	v_mov_b32_e32 v2, s18
	v_mad_u64_u32 v[4:5], s[6:7], s8, v2, v[4:5]
	v_mov_b32_e32 v3, 0
	s_mul_i32 s6, s9, s18
	v_mov_b32_e32 v2, s24
	v_add_u32_e32 v5, s6, v5
	v_mad_u64_u32 v[2:3], s[6:7], v4, s50, v[2:3]
	v_mov_b32_e32 v4, v3
	v_mad_u64_u32 v[4:5], s[6:7], v5, s50, v[4:5]
	v_mov_b32_e32 v3, v4
	v_lshlrev_b64 v[2:3], 2, v[2:3]
	v_mov_b32_e32 v5, s47
	v_add_co_u32_e32 v4, vcc, s46, v2
	v_addc_co_u32_e32 v5, vcc, v5, v3, vcc
	global_store_dword v[4:5], v20, off
	v_mov_b32_e32 v4, s45
	v_add_co_u32_e32 v2, vcc, s44, v2
	v_addc_co_u32_e32 v3, vcc, v4, v3, vcc
	global_store_dword v[2:3], v6, off
.LBB921_209:
	s_or_b64 exec, exec, s[4:5]
	v_lshl_or_b32 v30, v1, 9, v7
	s_waitcnt lgkmcnt(0)
	s_barrier
	s_load_dword s4, s[42:43], 0x0
	ds_read_b128 v[2:5], v30
	ds_read_b128 v[6:9], v30 offset:16
	ds_read_b128 v[10:13], v30 offset:2048
	;; [unrolled: 1-line block ×7, first 2 shown]
	v_mov_b32_e32 v35, 0x80
	v_mov_b32_e32 v45, 0x140
	s_mov_b64 s[10:11], -1
	s_waitcnt lgkmcnt(0)
	s_mov_b32 s5, s4
	s_mov_b32 s6, s4
	;; [unrolled: 1-line block ×3, first 2 shown]
	s_movk_i32 s9, 0x80
	s_movk_i32 s21, 0x7f
	s_mov_b32 s22, 0xffffff
	s_mov_b32 s23, 0x5040100
	v_mov_b32_e32 v47, 0
	v_bfrev_b32_e32 v48, 60
	s_branch .LBB921_213
.LBB921_210:                            ;   in Loop: Header=BB921_213 Depth=1
	s_or_b64 exec, exec, s[16:17]
.LBB921_211:                            ;   in Loop: Header=BB921_213 Depth=1
	s_or_b64 exec, exec, s[14:15]
.LBB921_212:                            ;   in Loop: Header=BB921_213 Depth=1
	s_or_b64 exec, exec, s[12:13]
	v_perm_b32 v61, v51, v49, s23
	v_perm_b32 v60, v44, v46, s23
	s_xor_b64 s[12:13], s[10:11], -1
	s_mov_b64 s[10:11], 0
	s_and_b64 vcc, exec, s[12:13]
	v_mfma_f32_16x16x16bf16_1k v[62:65], v[60:61], v[30:31], v[34:37]
	v_mov_b32_e32 v61, v41
	v_mov_b32_e32 v60, v57
	;; [unrolled: 1-line block ×3, first 2 shown]
	s_nop 3
	v_perm_b32 v37, v53, v52, s23
	v_perm_b32 v36, v42, v50, s23
	v_mov_b32_e32 v35, v39
	s_nop 0
	v_mfma_f32_16x16x16bf16_1k v[50:53], v[36:37], v[32:33], v[62:65]
	s_nop 7
	s_nop 2
	v_pk_mul_f32 v[50:51], v[50:51], s[4:5]
	v_pk_mul_f32 v[36:37], v[52:53], s[6:7]
	v_bfe_u32 v34, v51, 16, 1
	v_bfe_u32 v38, v50, 16, 1
	;; [unrolled: 1-line block ×4, first 2 shown]
	v_add3_u32 v38, v50, v38, s19
	v_add3_u32 v34, v51, v34, s19
	;; [unrolled: 1-line block ×4, first 2 shown]
	v_perm_b32 v34, v34, v38, s20
	v_perm_b32 v36, v37, v36, s20
	buffer_store_dword v34, v45, s[0:3], 0 offen
	buffer_store_dword v36, v45, s[0:3], 0 offen offset:4
	v_mov_b32_e32 v45, 0x148
	s_cbranch_vccnz .LBB921_595
.LBB921_213:                            ; =>This Inner Loop Header: Depth=1
	buffer_load_dword v36, v35, s[0:3], 0 offen
	buffer_load_dword v34, v35, s[0:3], 0 offen offset:4
	buffer_load_dword v40, v35, s[0:3], 0 offen offset:8
	;; [unrolled: 1-line block ×3, first 2 shown]
	v_mov_b32_e32 v35, 0
	s_waitcnt vmcnt(3)
	v_cmp_ne_u16_sdwa s[14:15], v36, v47 src0_sel:BYTE_0 src1_sel:DWORD
	s_and_saveexec_b64 s[12:13], s[14:15]
	s_cbranch_execz .LBB921_219
; %bb.214:                              ;   in Loop: Header=BB921_213 Depth=1
	v_cmp_ne_u16_sdwa s[16:17], v36, s9 src0_sel:BYTE_0 src1_sel:DWORD
	v_mov_b32_e32 v35, 0xffff8000
	s_and_saveexec_b64 s[14:15], s[16:17]
	s_cbranch_execz .LBB921_218
; %bb.215:                              ;   in Loop: Header=BB921_213 Depth=1
	v_and_b32_e32 v37, 0x7f, v36
	v_cmp_ne_u32_e32 vcc, s21, v37
	v_mov_b32_e32 v35, 0x7f80
	s_and_saveexec_b64 s[16:17], vcc
	s_cbranch_execz .LBB921_217
; %bb.216:                              ;   in Loop: Header=BB921_213 Depth=1
	v_and_b32_e32 v35, 7, v36
	v_ffbh_u32_e32 v44, v35
	v_min_u32_e32 v44, 32, v44
	v_subrev_u32_e32 v46, 28, v44
	v_lshlrev_b64 v[50:51], v46, v[36:37]
	v_lshrrev_b32_e32 v42, 3, v37
	v_sub_u32_e32 v44, 29, v44
	v_and_b32_e32 v46, 7, v50
	v_cmp_gt_u32_e32 vcc, 8, v37
	v_cndmask_b32_e32 v37, v42, v44, vcc
	v_cndmask_b32_e32 v35, v35, v46, vcc
	v_lshlrev_b32_e32 v42, 24, v36
	v_lshlrev_b32_e32 v35, 20, v35
	v_and_b32_e32 v42, 0x80000000, v42
	v_lshl_add_u32 v37, v37, 23, v48
	v_or3_b32 v35, v42, v37, v35
	v_lshrrev_b32_e32 v35, 16, v35
.LBB921_217:                            ;   in Loop: Header=BB921_213 Depth=1
	s_or_b64 exec, exec, s[16:17]
.LBB921_218:                            ;   in Loop: Header=BB921_213 Depth=1
	s_or_b64 exec, exec, s[14:15]
.LBB921_219:                            ;   in Loop: Header=BB921_213 Depth=1
	s_or_b64 exec, exec, s[12:13]
	v_lshrrev_b16_e32 v42, 8, v36
	v_cmp_ne_u16_e32 vcc, 0, v42
	v_mov_b32_e32 v46, 0
	v_mov_b32_e32 v37, 0
	s_and_saveexec_b64 s[12:13], vcc
	s_cbranch_execz .LBB921_225
; %bb.220:                              ;   in Loop: Header=BB921_213 Depth=1
	v_cmp_ne_u16_e32 vcc, s9, v42
	v_mov_b32_e32 v37, 0xffff8000
	s_and_saveexec_b64 s[14:15], vcc
	s_cbranch_execz .LBB921_224
; %bb.221:                              ;   in Loop: Header=BB921_213 Depth=1
	v_and_b32_e32 v44, 0x7f, v42
	v_cmp_ne_u32_e32 vcc, s21, v44
	v_mov_b32_e32 v37, 0x7f80
	s_and_saveexec_b64 s[16:17], vcc
	s_cbranch_execz .LBB921_223
; %bb.222:                              ;   in Loop: Header=BB921_213 Depth=1
	v_and_b32_e32 v37, 7, v42
	v_ffbh_u32_e32 v50, v37
	v_min_u32_e32 v52, 32, v50
	v_subrev_u32_e32 v50, 28, v52
	v_lshlrev_b64 v[50:51], v50, v[42:43]
	v_lshrrev_b32_e32 v49, 3, v44
	v_sub_u32_e32 v42, 29, v52
	v_and_b32_e32 v50, 7, v50
	v_cmp_gt_u32_e32 vcc, 8, v44
	v_cndmask_b32_e32 v42, v49, v42, vcc
	v_cndmask_b32_e32 v37, v37, v50, vcc
	v_lshlrev_b32_e32 v44, 16, v36
	v_lshlrev_b32_e32 v37, 20, v37
	v_and_b32_e32 v44, 0x80000000, v44
	v_lshl_add_u32 v42, v42, 23, v48
	v_or3_b32 v37, v44, v42, v37
	v_lshrrev_b32_e32 v37, 16, v37
.LBB921_223:                            ;   in Loop: Header=BB921_213 Depth=1
	s_or_b64 exec, exec, s[16:17]
.LBB921_224:                            ;   in Loop: Header=BB921_213 Depth=1
	s_or_b64 exec, exec, s[14:15]
.LBB921_225:                            ;   in Loop: Header=BB921_213 Depth=1
	s_or_b64 exec, exec, s[12:13]
	v_lshrrev_b32_e32 v42, 16, v36
	v_cmp_ne_u16_sdwa s[14:15], v42, v47 src0_sel:BYTE_0 src1_sel:DWORD
	s_and_saveexec_b64 s[12:13], s[14:15]
	s_cbranch_execz .LBB921_231
; %bb.226:                              ;   in Loop: Header=BB921_213 Depth=1
	v_cmp_ne_u16_sdwa s[16:17], v42, s9 src0_sel:BYTE_0 src1_sel:DWORD
	v_mov_b32_e32 v46, 0xffff8000
	s_and_saveexec_b64 s[14:15], s[16:17]
	s_cbranch_execz .LBB921_230
; %bb.227:                              ;   in Loop: Header=BB921_213 Depth=1
	v_bfe_u32 v44, v36, 16, 7
	v_cmp_ne_u32_e32 vcc, s21, v44
	v_mov_b32_e32 v46, 0x7f80
	s_and_saveexec_b64 s[16:17], vcc
	s_cbranch_execz .LBB921_229
; %bb.228:                              ;   in Loop: Header=BB921_213 Depth=1
	v_and_b32_e32 v46, 7, v42
	v_ffbh_u32_e32 v50, v46
	v_min_u32_e32 v52, 32, v50
	v_subrev_u32_e32 v50, 28, v52
	v_lshlrev_b64 v[50:51], v50, v[42:43]
	v_lshrrev_b32_e32 v49, 3, v44
	v_sub_u32_e32 v51, 29, v52
	v_and_b32_e32 v50, 7, v50
	v_cmp_gt_u32_e32 vcc, 8, v44
	v_cndmask_b32_e32 v44, v49, v51, vcc
	v_cndmask_b32_e32 v46, v46, v50, vcc
	v_lshlrev_b32_e32 v42, 24, v42
	v_lshlrev_b32_e32 v46, 20, v46
	v_and_b32_e32 v42, 0x80000000, v42
	v_lshl_add_u32 v44, v44, 23, v48
	v_or3_b32 v42, v42, v44, v46
	v_lshrrev_b32_e32 v46, 16, v42
.LBB921_229:                            ;   in Loop: Header=BB921_213 Depth=1
	s_or_b64 exec, exec, s[16:17]
.LBB921_230:                            ;   in Loop: Header=BB921_213 Depth=1
	s_or_b64 exec, exec, s[14:15]
.LBB921_231:                            ;   in Loop: Header=BB921_213 Depth=1
	s_or_b64 exec, exec, s[12:13]
	v_cmp_lt_u32_e32 vcc, s22, v36
	v_mov_b32_e32 v49, 0
	v_mov_b32_e32 v50, 0
	s_and_saveexec_b64 s[12:13], vcc
	s_cbranch_execz .LBB921_237
; %bb.232:                              ;   in Loop: Header=BB921_213 Depth=1
	v_lshrrev_b32_e32 v42, 24, v36
	v_cmp_ne_u32_e32 vcc, s9, v42
	v_mov_b32_e32 v50, 0xffff8000
	s_and_saveexec_b64 s[14:15], vcc
	s_cbranch_execz .LBB921_236
; %bb.233:                              ;   in Loop: Header=BB921_213 Depth=1
	v_bfe_u32 v36, v36, 24, 7
	v_cmp_ne_u32_e32 vcc, s21, v36
	v_mov_b32_e32 v50, 0x7f80
	s_and_saveexec_b64 s[16:17], vcc
	s_cbranch_execz .LBB921_235
; %bb.234:                              ;   in Loop: Header=BB921_213 Depth=1
	v_and_b32_e32 v44, 7, v42
	v_ffbh_u32_e32 v50, v44
	v_min_u32_e32 v53, 32, v50
	v_subrev_u32_e32 v50, 28, v53
	v_lshlrev_b64 v[50:51], v50, v[42:43]
	v_lshrrev_b32_e32 v52, 3, v36
	v_sub_u32_e32 v51, 29, v53
	v_and_b32_e32 v50, 7, v50
	v_cmp_gt_u32_e32 vcc, 8, v36
	v_cndmask_b32_e32 v36, v52, v51, vcc
	v_cndmask_b32_e32 v44, v44, v50, vcc
	v_lshlrev_b32_e32 v42, 24, v42
	v_lshlrev_b32_e32 v44, 20, v44
	v_and_b32_e32 v42, 0x80000000, v42
	v_lshl_add_u32 v36, v36, 23, v48
	v_or3_b32 v36, v42, v36, v44
	v_lshrrev_b32_e32 v50, 16, v36
.LBB921_235:                            ;   in Loop: Header=BB921_213 Depth=1
	s_or_b64 exec, exec, s[16:17]
.LBB921_236:                            ;   in Loop: Header=BB921_213 Depth=1
	s_or_b64 exec, exec, s[14:15]
.LBB921_237:                            ;   in Loop: Header=BB921_213 Depth=1
	s_or_b64 exec, exec, s[12:13]
	s_waitcnt vmcnt(2)
	v_cmp_ne_u16_sdwa s[14:15], v34, v47 src0_sel:BYTE_0 src1_sel:DWORD
	s_and_saveexec_b64 s[12:13], s[14:15]
	s_cbranch_execz .LBB921_243
; %bb.238:                              ;   in Loop: Header=BB921_213 Depth=1
	v_cmp_ne_u16_sdwa s[16:17], v34, s9 src0_sel:BYTE_0 src1_sel:DWORD
	v_mov_b32_e32 v49, 0xffff8000
	s_and_saveexec_b64 s[14:15], s[16:17]
	s_cbranch_execz .LBB921_242
; %bb.239:                              ;   in Loop: Header=BB921_213 Depth=1
	v_and_b32_e32 v36, 0x7f, v34
	v_cmp_ne_u32_e32 vcc, s21, v36
	v_mov_b32_e32 v49, 0x7f80
	s_and_saveexec_b64 s[16:17], vcc
	s_cbranch_execz .LBB921_241
; %bb.240:                              ;   in Loop: Header=BB921_213 Depth=1
	v_and_b32_e32 v42, 7, v34
	v_ffbh_u32_e32 v49, v42
	v_min_u32_e32 v49, 32, v49
	v_subrev_u32_e32 v51, 28, v49
	v_lshlrev_b64 v[52:53], v51, v[34:35]
	v_lshrrev_b32_e32 v44, 3, v36
	v_sub_u32_e32 v49, 29, v49
	v_and_b32_e32 v51, 7, v52
	v_cmp_gt_u32_e32 vcc, 8, v36
	v_cndmask_b32_e32 v36, v44, v49, vcc
	v_cndmask_b32_e32 v42, v42, v51, vcc
	v_lshlrev_b32_e32 v44, 24, v34
	v_lshlrev_b32_e32 v42, 20, v42
	v_and_b32_e32 v44, 0x80000000, v44
	v_lshl_add_u32 v36, v36, 23, v48
	v_or3_b32 v36, v44, v36, v42
	v_lshrrev_b32_e32 v49, 16, v36
.LBB921_241:                            ;   in Loop: Header=BB921_213 Depth=1
	s_or_b64 exec, exec, s[16:17]
.LBB921_242:                            ;   in Loop: Header=BB921_213 Depth=1
	s_or_b64 exec, exec, s[14:15]
.LBB921_243:                            ;   in Loop: Header=BB921_213 Depth=1
	s_or_b64 exec, exec, s[12:13]
	v_lshrrev_b16_e32 v36, 8, v34
	v_cmp_ne_u16_e32 vcc, 0, v36
	v_mov_b32_e32 v51, 0
	v_mov_b32_e32 v42, 0
	s_and_saveexec_b64 s[12:13], vcc
	s_cbranch_execz .LBB921_249
; %bb.244:                              ;   in Loop: Header=BB921_213 Depth=1
	v_cmp_ne_u16_e32 vcc, s9, v36
	v_mov_b32_e32 v42, 0xffff8000
	s_and_saveexec_b64 s[14:15], vcc
	s_cbranch_execz .LBB921_248
; %bb.245:                              ;   in Loop: Header=BB921_213 Depth=1
	v_and_b32_e32 v44, 0x7f, v36
	v_cmp_ne_u32_e32 vcc, s21, v44
	v_mov_b32_e32 v42, 0x7f80
	s_and_saveexec_b64 s[16:17], vcc
	s_cbranch_execz .LBB921_247
; %bb.246:                              ;   in Loop: Header=BB921_213 Depth=1
	v_and_b32_e32 v42, 7, v36
	v_ffbh_u32_e32 v52, v42
	v_min_u32_e32 v63, 32, v52
	v_subrev_u32_e32 v52, 28, v63
	v_lshlrev_b64 v[52:53], v52, v[36:37]
	v_lshrrev_b32_e32 v62, 3, v44
	v_sub_u32_e32 v36, 29, v63
	v_and_b32_e32 v52, 7, v52
	v_cmp_gt_u32_e32 vcc, 8, v44
	v_cndmask_b32_e32 v36, v62, v36, vcc
	v_cndmask_b32_e32 v42, v42, v52, vcc
	v_lshlrev_b32_e32 v44, 16, v34
	v_lshlrev_b32_e32 v42, 20, v42
	v_and_b32_e32 v44, 0x80000000, v44
	v_lshl_add_u32 v36, v36, 23, v48
	v_or3_b32 v36, v44, v36, v42
	v_lshrrev_b32_e32 v42, 16, v36
.LBB921_247:                            ;   in Loop: Header=BB921_213 Depth=1
	s_or_b64 exec, exec, s[16:17]
.LBB921_248:                            ;   in Loop: Header=BB921_213 Depth=1
	s_or_b64 exec, exec, s[14:15]
.LBB921_249:                            ;   in Loop: Header=BB921_213 Depth=1
	s_or_b64 exec, exec, s[12:13]
	v_lshrrev_b32_e32 v36, 16, v34
	v_cmp_ne_u16_sdwa s[14:15], v36, v47 src0_sel:BYTE_0 src1_sel:DWORD
	s_and_saveexec_b64 s[12:13], s[14:15]
	s_cbranch_execz .LBB921_255
; %bb.250:                              ;   in Loop: Header=BB921_213 Depth=1
	v_cmp_ne_u16_sdwa s[16:17], v36, s9 src0_sel:BYTE_0 src1_sel:DWORD
	v_mov_b32_e32 v51, 0xffff8000
	s_and_saveexec_b64 s[14:15], s[16:17]
	s_cbranch_execz .LBB921_254
; %bb.251:                              ;   in Loop: Header=BB921_213 Depth=1
	v_bfe_u32 v44, v34, 16, 7
	v_cmp_ne_u32_e32 vcc, s21, v44
	v_mov_b32_e32 v51, 0x7f80
	s_and_saveexec_b64 s[16:17], vcc
	s_cbranch_execz .LBB921_253
; %bb.252:                              ;   in Loop: Header=BB921_213 Depth=1
	v_and_b32_e32 v51, 7, v36
	v_ffbh_u32_e32 v52, v51
	v_min_u32_e32 v63, 32, v52
	v_subrev_u32_e32 v52, 28, v63
	v_lshlrev_b64 v[52:53], v52, v[36:37]
	v_lshrrev_b32_e32 v62, 3, v44
	v_sub_u32_e32 v53, 29, v63
	v_and_b32_e32 v52, 7, v52
	v_cmp_gt_u32_e32 vcc, 8, v44
	v_cndmask_b32_e32 v44, v62, v53, vcc
	v_cndmask_b32_e32 v51, v51, v52, vcc
	v_lshlrev_b32_e32 v36, 24, v36
	v_lshlrev_b32_e32 v51, 20, v51
	v_and_b32_e32 v36, 0x80000000, v36
	v_lshl_add_u32 v44, v44, 23, v48
	v_or3_b32 v36, v36, v44, v51
	v_lshrrev_b32_e32 v51, 16, v36
.LBB921_253:                            ;   in Loop: Header=BB921_213 Depth=1
	s_or_b64 exec, exec, s[16:17]
.LBB921_254:                            ;   in Loop: Header=BB921_213 Depth=1
	s_or_b64 exec, exec, s[14:15]
.LBB921_255:                            ;   in Loop: Header=BB921_213 Depth=1
	s_or_b64 exec, exec, s[12:13]
	v_cmp_lt_u32_e32 vcc, s22, v34
	v_mov_b32_e32 v44, 0
	v_mov_b32_e32 v52, 0
	s_and_saveexec_b64 s[12:13], vcc
	s_cbranch_execz .LBB921_261
; %bb.256:                              ;   in Loop: Header=BB921_213 Depth=1
	v_lshrrev_b32_e32 v36, 24, v34
	v_cmp_ne_u32_e32 vcc, s9, v36
	v_mov_b32_e32 v52, 0xffff8000
	s_and_saveexec_b64 s[14:15], vcc
	s_cbranch_execz .LBB921_260
; %bb.257:                              ;   in Loop: Header=BB921_213 Depth=1
	v_bfe_u32 v34, v34, 24, 7
	v_cmp_ne_u32_e32 vcc, s21, v34
	v_mov_b32_e32 v52, 0x7f80
	s_and_saveexec_b64 s[16:17], vcc
	s_cbranch_execz .LBB921_259
; %bb.258:                              ;   in Loop: Header=BB921_213 Depth=1
	v_and_b32_e32 v62, 7, v36
	v_ffbh_u32_e32 v52, v62
	v_min_u32_e32 v64, 32, v52
	v_subrev_u32_e32 v52, 28, v64
	v_lshlrev_b64 v[52:53], v52, v[36:37]
	v_lshrrev_b32_e32 v63, 3, v34
	v_sub_u32_e32 v53, 29, v64
	v_and_b32_e32 v52, 7, v52
	v_cmp_gt_u32_e32 vcc, 8, v34
	v_cndmask_b32_e32 v34, v63, v53, vcc
	v_cndmask_b32_e32 v52, v62, v52, vcc
	v_lshlrev_b32_e32 v36, 24, v36
	v_lshlrev_b32_e32 v52, 20, v52
	v_and_b32_e32 v36, 0x80000000, v36
	v_lshl_add_u32 v34, v34, 23, v48
	v_or3_b32 v34, v36, v34, v52
	v_lshrrev_b32_e32 v52, 16, v34
.LBB921_259:                            ;   in Loop: Header=BB921_213 Depth=1
	s_or_b64 exec, exec, s[16:17]
.LBB921_260:                            ;   in Loop: Header=BB921_213 Depth=1
	s_or_b64 exec, exec, s[14:15]
.LBB921_261:                            ;   in Loop: Header=BB921_213 Depth=1
	s_or_b64 exec, exec, s[12:13]
	v_perm_b32 v63, v50, v46, s23
	v_perm_b32 v62, v37, v35, s23
	;; [unrolled: 1-line block ×4, first 2 shown]
	s_waitcnt vmcnt(1)
	v_cmp_ne_u16_sdwa s[14:15], v40, v47 src0_sel:BYTE_0 src1_sel:DWORD
	v_mfma_f32_16x16x16bf16_1k v[34:37], v[62:63], v[2:3], 0
	v_mfma_f32_16x16x16bf16_1k v[34:37], v[50:51], v[4:5], v[34:37]
	s_and_saveexec_b64 s[12:13], s[14:15]
	s_cbranch_execz .LBB921_267
; %bb.262:                              ;   in Loop: Header=BB921_213 Depth=1
	v_cmp_ne_u16_sdwa s[16:17], v40, s9 src0_sel:BYTE_0 src1_sel:DWORD
	v_mov_b32_e32 v44, 0xffff8000
	s_and_saveexec_b64 s[14:15], s[16:17]
	s_cbranch_execz .LBB921_266
; %bb.263:                              ;   in Loop: Header=BB921_213 Depth=1
	v_and_b32_e32 v42, 0x7f, v40
	v_cmp_ne_u32_e32 vcc, s21, v42
	v_mov_b32_e32 v44, 0x7f80
	s_and_saveexec_b64 s[16:17], vcc
	s_cbranch_execz .LBB921_265
; %bb.264:                              ;   in Loop: Header=BB921_213 Depth=1
	v_and_b32_e32 v44, 7, v40
	v_ffbh_u32_e32 v49, v44
	v_min_u32_e32 v49, 32, v49
	v_subrev_u32_e32 v50, 28, v49
	v_lshlrev_b64 v[50:51], v50, v[40:41]
	v_lshrrev_b32_e32 v46, 3, v42
	v_sub_u32_e32 v49, 29, v49
	v_and_b32_e32 v50, 7, v50
	v_cmp_gt_u32_e32 vcc, 8, v42
	v_cndmask_b32_e32 v42, v46, v49, vcc
	v_cndmask_b32_e32 v44, v44, v50, vcc
	v_lshlrev_b32_e32 v46, 24, v40
	v_lshlrev_b32_e32 v44, 20, v44
	v_and_b32_e32 v46, 0x80000000, v46
	v_lshl_add_u32 v42, v42, 23, v48
	v_or3_b32 v42, v46, v42, v44
	v_lshrrev_b32_e32 v44, 16, v42
.LBB921_265:                            ;   in Loop: Header=BB921_213 Depth=1
	s_or_b64 exec, exec, s[16:17]
.LBB921_266:                            ;   in Loop: Header=BB921_213 Depth=1
	s_or_b64 exec, exec, s[14:15]
.LBB921_267:                            ;   in Loop: Header=BB921_213 Depth=1
	s_or_b64 exec, exec, s[12:13]
	v_lshrrev_b16_e32 v42, 8, v40
	v_cmp_ne_u16_e32 vcc, 0, v42
	v_mov_b32_e32 v50, 0
	v_mov_b32_e32 v46, 0
	s_and_saveexec_b64 s[12:13], vcc
	s_cbranch_execz .LBB921_273
; %bb.268:                              ;   in Loop: Header=BB921_213 Depth=1
	v_cmp_ne_u16_e32 vcc, s9, v42
	v_mov_b32_e32 v46, 0xffff8000
	s_and_saveexec_b64 s[14:15], vcc
	s_cbranch_execz .LBB921_272
; %bb.269:                              ;   in Loop: Header=BB921_213 Depth=1
	v_and_b32_e32 v49, 0x7f, v42
	v_cmp_ne_u32_e32 vcc, s21, v49
	v_mov_b32_e32 v46, 0x7f80
	s_and_saveexec_b64 s[16:17], vcc
	s_cbranch_execz .LBB921_271
; %bb.270:                              ;   in Loop: Header=BB921_213 Depth=1
	v_and_b32_e32 v46, 7, v42
	v_ffbh_u32_e32 v52, v46
	v_min_u32_e32 v62, 32, v52
	v_subrev_u32_e32 v52, 28, v62
	v_lshlrev_b64 v[52:53], v52, v[42:43]
	v_lshrrev_b32_e32 v51, 3, v49
	v_sub_u32_e32 v42, 29, v62
	v_and_b32_e32 v52, 7, v52
	v_cmp_gt_u32_e32 vcc, 8, v49
	v_cndmask_b32_e32 v42, v51, v42, vcc
	v_cndmask_b32_e32 v46, v46, v52, vcc
	v_lshlrev_b32_e32 v49, 16, v40
	v_lshlrev_b32_e32 v46, 20, v46
	v_and_b32_e32 v49, 0x80000000, v49
	v_lshl_add_u32 v42, v42, 23, v48
	v_or3_b32 v42, v49, v42, v46
	v_lshrrev_b32_e32 v46, 16, v42
.LBB921_271:                            ;   in Loop: Header=BB921_213 Depth=1
	s_or_b64 exec, exec, s[16:17]
.LBB921_272:                            ;   in Loop: Header=BB921_213 Depth=1
	s_or_b64 exec, exec, s[14:15]
.LBB921_273:                            ;   in Loop: Header=BB921_213 Depth=1
	s_or_b64 exec, exec, s[12:13]
	v_lshrrev_b32_e32 v42, 16, v40
	v_cmp_ne_u16_sdwa s[14:15], v42, v47 src0_sel:BYTE_0 src1_sel:DWORD
	s_and_saveexec_b64 s[12:13], s[14:15]
	s_cbranch_execz .LBB921_279
; %bb.274:                              ;   in Loop: Header=BB921_213 Depth=1
	v_cmp_ne_u16_sdwa s[16:17], v42, s9 src0_sel:BYTE_0 src1_sel:DWORD
	v_mov_b32_e32 v50, 0xffff8000
	s_and_saveexec_b64 s[14:15], s[16:17]
	s_cbranch_execz .LBB921_278
; %bb.275:                              ;   in Loop: Header=BB921_213 Depth=1
	v_bfe_u32 v49, v40, 16, 7
	v_cmp_ne_u32_e32 vcc, s21, v49
	v_mov_b32_e32 v50, 0x7f80
	s_and_saveexec_b64 s[16:17], vcc
	s_cbranch_execz .LBB921_277
; %bb.276:                              ;   in Loop: Header=BB921_213 Depth=1
	v_and_b32_e32 v52, 7, v42
	v_ffbh_u32_e32 v50, v52
	v_min_u32_e32 v62, 32, v50
	v_subrev_u32_e32 v50, 28, v62
	v_lshlrev_b64 v[50:51], v50, v[42:43]
	v_lshrrev_b32_e32 v53, 3, v49
	v_sub_u32_e32 v51, 29, v62
	v_and_b32_e32 v50, 7, v50
	v_cmp_gt_u32_e32 vcc, 8, v49
	v_cndmask_b32_e32 v49, v53, v51, vcc
	v_cndmask_b32_e32 v50, v52, v50, vcc
	v_lshlrev_b32_e32 v42, 24, v42
	v_lshlrev_b32_e32 v50, 20, v50
	v_and_b32_e32 v42, 0x80000000, v42
	v_lshl_add_u32 v49, v49, 23, v48
	v_or3_b32 v42, v42, v49, v50
	v_lshrrev_b32_e32 v50, 16, v42
.LBB921_277:                            ;   in Loop: Header=BB921_213 Depth=1
	s_or_b64 exec, exec, s[16:17]
.LBB921_278:                            ;   in Loop: Header=BB921_213 Depth=1
	s_or_b64 exec, exec, s[14:15]
.LBB921_279:                            ;   in Loop: Header=BB921_213 Depth=1
	s_or_b64 exec, exec, s[12:13]
	v_cmp_lt_u32_e32 vcc, s22, v40
	v_mov_b32_e32 v51, 0
	v_mov_b32_e32 v52, 0
	s_and_saveexec_b64 s[12:13], vcc
	s_cbranch_execz .LBB921_285
; %bb.280:                              ;   in Loop: Header=BB921_213 Depth=1
	v_lshrrev_b32_e32 v42, 24, v40
	v_cmp_ne_u32_e32 vcc, s9, v42
	v_mov_b32_e32 v52, 0xffff8000
	s_and_saveexec_b64 s[14:15], vcc
	s_cbranch_execz .LBB921_284
; %bb.281:                              ;   in Loop: Header=BB921_213 Depth=1
	v_bfe_u32 v40, v40, 24, 7
	v_cmp_ne_u32_e32 vcc, s21, v40
	v_mov_b32_e32 v52, 0x7f80
	s_and_saveexec_b64 s[16:17], vcc
	s_cbranch_execz .LBB921_283
; %bb.282:                              ;   in Loop: Header=BB921_213 Depth=1
	v_and_b32_e32 v49, 7, v42
	v_ffbh_u32_e32 v52, v49
	v_min_u32_e32 v63, 32, v52
	v_subrev_u32_e32 v52, 28, v63
	v_lshlrev_b64 v[52:53], v52, v[42:43]
	v_lshrrev_b32_e32 v62, 3, v40
	v_sub_u32_e32 v53, 29, v63
	v_and_b32_e32 v52, 7, v52
	v_cmp_gt_u32_e32 vcc, 8, v40
	v_cndmask_b32_e32 v40, v62, v53, vcc
	v_cndmask_b32_e32 v49, v49, v52, vcc
	v_lshlrev_b32_e32 v42, 24, v42
	v_lshlrev_b32_e32 v49, 20, v49
	v_and_b32_e32 v42, 0x80000000, v42
	v_lshl_add_u32 v40, v40, 23, v48
	v_or3_b32 v40, v42, v40, v49
	v_lshrrev_b32_e32 v52, 16, v40
.LBB921_283:                            ;   in Loop: Header=BB921_213 Depth=1
	s_or_b64 exec, exec, s[16:17]
.LBB921_284:                            ;   in Loop: Header=BB921_213 Depth=1
	s_or_b64 exec, exec, s[14:15]
.LBB921_285:                            ;   in Loop: Header=BB921_213 Depth=1
	s_or_b64 exec, exec, s[12:13]
	s_waitcnt vmcnt(0)
	v_cmp_ne_u16_sdwa s[14:15], v38, v47 src0_sel:BYTE_0 src1_sel:DWORD
	s_and_saveexec_b64 s[12:13], s[14:15]
	s_cbranch_execz .LBB921_291
; %bb.286:                              ;   in Loop: Header=BB921_213 Depth=1
	v_cmp_ne_u16_sdwa s[16:17], v38, s9 src0_sel:BYTE_0 src1_sel:DWORD
	v_mov_b32_e32 v51, 0xffff8000
	s_and_saveexec_b64 s[14:15], s[16:17]
	s_cbranch_execz .LBB921_290
; %bb.287:                              ;   in Loop: Header=BB921_213 Depth=1
	v_and_b32_e32 v40, 0x7f, v38
	v_cmp_ne_u32_e32 vcc, s21, v40
	v_mov_b32_e32 v51, 0x7f80
	s_and_saveexec_b64 s[16:17], vcc
	s_cbranch_execz .LBB921_289
; %bb.288:                              ;   in Loop: Header=BB921_213 Depth=1
	v_and_b32_e32 v42, 7, v38
	v_ffbh_u32_e32 v51, v42
	v_min_u32_e32 v51, 32, v51
	v_subrev_u32_e32 v53, 28, v51
	v_lshlrev_b64 v[62:63], v53, v[38:39]
	v_lshrrev_b32_e32 v49, 3, v40
	v_sub_u32_e32 v51, 29, v51
	v_and_b32_e32 v53, 7, v62
	v_cmp_gt_u32_e32 vcc, 8, v40
	v_cndmask_b32_e32 v40, v49, v51, vcc
	v_cndmask_b32_e32 v42, v42, v53, vcc
	v_lshlrev_b32_e32 v49, 24, v38
	v_lshlrev_b32_e32 v42, 20, v42
	v_and_b32_e32 v49, 0x80000000, v49
	v_lshl_add_u32 v40, v40, 23, v48
	v_or3_b32 v40, v49, v40, v42
	v_lshrrev_b32_e32 v51, 16, v40
.LBB921_289:                            ;   in Loop: Header=BB921_213 Depth=1
	s_or_b64 exec, exec, s[16:17]
.LBB921_290:                            ;   in Loop: Header=BB921_213 Depth=1
	s_or_b64 exec, exec, s[14:15]
.LBB921_291:                            ;   in Loop: Header=BB921_213 Depth=1
	s_or_b64 exec, exec, s[12:13]
	v_lshrrev_b16_e32 v40, 8, v38
	v_cmp_ne_u16_e32 vcc, 0, v40
	v_mov_b32_e32 v62, 0
	v_mov_b32_e32 v53, 0
	s_and_saveexec_b64 s[12:13], vcc
	s_cbranch_execz .LBB921_297
; %bb.292:                              ;   in Loop: Header=BB921_213 Depth=1
	v_cmp_ne_u16_e32 vcc, s9, v40
	v_mov_b32_e32 v53, 0xffff8000
	s_and_saveexec_b64 s[14:15], vcc
	s_cbranch_execz .LBB921_296
; %bb.293:                              ;   in Loop: Header=BB921_213 Depth=1
	v_and_b32_e32 v42, 0x7f, v40
	v_cmp_ne_u32_e32 vcc, s21, v42
	v_mov_b32_e32 v53, 0x7f80
	s_and_saveexec_b64 s[16:17], vcc
	s_cbranch_execz .LBB921_295
; %bb.294:                              ;   in Loop: Header=BB921_213 Depth=1
	v_and_b32_e32 v49, 7, v40
	v_ffbh_u32_e32 v63, v49
	v_min_u32_e32 v63, 32, v63
	v_subrev_u32_e32 v64, 28, v63
	v_lshlrev_b64 v[64:65], v64, v[40:41]
	v_lshrrev_b32_e32 v53, 3, v42
	v_sub_u32_e32 v40, 29, v63
	v_and_b32_e32 v63, 7, v64
	v_cmp_gt_u32_e32 vcc, 8, v42
	v_cndmask_b32_e32 v40, v53, v40, vcc
	v_cndmask_b32_e32 v42, v49, v63, vcc
	v_lshlrev_b32_e32 v49, 16, v38
	v_lshlrev_b32_e32 v42, 20, v42
	v_and_b32_e32 v49, 0x80000000, v49
	v_lshl_add_u32 v40, v40, 23, v48
	v_or3_b32 v40, v49, v40, v42
	v_lshrrev_b32_e32 v53, 16, v40
.LBB921_295:                            ;   in Loop: Header=BB921_213 Depth=1
	s_or_b64 exec, exec, s[16:17]
.LBB921_296:                            ;   in Loop: Header=BB921_213 Depth=1
	s_or_b64 exec, exec, s[14:15]
.LBB921_297:                            ;   in Loop: Header=BB921_213 Depth=1
	s_or_b64 exec, exec, s[12:13]
	v_lshrrev_b32_e32 v40, 16, v38
	v_cmp_ne_u16_sdwa s[14:15], v40, v47 src0_sel:BYTE_0 src1_sel:DWORD
	s_and_saveexec_b64 s[12:13], s[14:15]
	s_cbranch_execz .LBB921_303
; %bb.298:                              ;   in Loop: Header=BB921_213 Depth=1
	v_cmp_ne_u16_sdwa s[16:17], v40, s9 src0_sel:BYTE_0 src1_sel:DWORD
	v_mov_b32_e32 v62, 0xffff8000
	s_and_saveexec_b64 s[14:15], s[16:17]
	s_cbranch_execz .LBB921_302
; %bb.299:                              ;   in Loop: Header=BB921_213 Depth=1
	v_bfe_u32 v42, v38, 16, 7
	v_cmp_ne_u32_e32 vcc, s21, v42
	v_mov_b32_e32 v62, 0x7f80
	s_and_saveexec_b64 s[16:17], vcc
	s_cbranch_execz .LBB921_301
; %bb.300:                              ;   in Loop: Header=BB921_213 Depth=1
	v_and_b32_e32 v49, 7, v40
	v_ffbh_u32_e32 v62, v49
	v_min_u32_e32 v65, 32, v62
	v_subrev_u32_e32 v62, 28, v65
	v_lshlrev_b64 v[62:63], v62, v[40:41]
	v_lshrrev_b32_e32 v64, 3, v42
	v_sub_u32_e32 v63, 29, v65
	v_and_b32_e32 v62, 7, v62
	v_cmp_gt_u32_e32 vcc, 8, v42
	v_cndmask_b32_e32 v42, v64, v63, vcc
	v_cndmask_b32_e32 v49, v49, v62, vcc
	v_lshlrev_b32_e32 v40, 24, v40
	v_lshlrev_b32_e32 v49, 20, v49
	v_and_b32_e32 v40, 0x80000000, v40
	v_lshl_add_u32 v42, v42, 23, v48
	v_or3_b32 v40, v40, v42, v49
	v_lshrrev_b32_e32 v62, 16, v40
.LBB921_301:                            ;   in Loop: Header=BB921_213 Depth=1
	s_or_b64 exec, exec, s[16:17]
.LBB921_302:                            ;   in Loop: Header=BB921_213 Depth=1
	s_or_b64 exec, exec, s[14:15]
.LBB921_303:                            ;   in Loop: Header=BB921_213 Depth=1
	s_or_b64 exec, exec, s[12:13]
	v_cmp_lt_u32_e32 vcc, s22, v38
	v_mov_b32_e32 v49, 0
	v_mov_b32_e32 v63, 0
	s_and_saveexec_b64 s[12:13], vcc
	s_cbranch_execz .LBB921_309
; %bb.304:                              ;   in Loop: Header=BB921_213 Depth=1
	v_lshrrev_b32_e32 v40, 24, v38
	v_cmp_ne_u32_e32 vcc, s9, v40
	v_mov_b32_e32 v63, 0xffff8000
	s_and_saveexec_b64 s[14:15], vcc
	s_cbranch_execz .LBB921_308
; %bb.305:                              ;   in Loop: Header=BB921_213 Depth=1
	v_bfe_u32 v38, v38, 24, 7
	v_cmp_ne_u32_e32 vcc, s21, v38
	v_mov_b32_e32 v63, 0x7f80
	s_and_saveexec_b64 s[16:17], vcc
	s_cbranch_execz .LBB921_307
; %bb.306:                              ;   in Loop: Header=BB921_213 Depth=1
	v_and_b32_e32 v42, 7, v40
	v_ffbh_u32_e32 v64, v42
	v_min_u32_e32 v66, 32, v64
	v_subrev_u32_e32 v64, 28, v66
	v_lshlrev_b64 v[64:65], v64, v[40:41]
	v_lshrrev_b32_e32 v63, 3, v38
	v_sub_u32_e32 v65, 29, v66
	v_and_b32_e32 v64, 7, v64
	v_cmp_gt_u32_e32 vcc, 8, v38
	v_cndmask_b32_e32 v38, v63, v65, vcc
	v_cndmask_b32_e32 v42, v42, v64, vcc
	v_lshlrev_b32_e32 v40, 24, v40
	v_lshlrev_b32_e32 v42, 20, v42
	v_and_b32_e32 v40, 0x80000000, v40
	v_lshl_add_u32 v38, v38, 23, v48
	v_or3_b32 v38, v40, v38, v42
	v_lshrrev_b32_e32 v63, 16, v38
.LBB921_307:                            ;   in Loop: Header=BB921_213 Depth=1
	s_or_b64 exec, exec, s[16:17]
.LBB921_308:                            ;   in Loop: Header=BB921_213 Depth=1
	s_or_b64 exec, exec, s[14:15]
.LBB921_309:                            ;   in Loop: Header=BB921_213 Depth=1
	s_or_b64 exec, exec, s[12:13]
	v_perm_b32 v64, v46, v44, s23
	buffer_load_dword v44, v61, s[0:3], 0 offen
	buffer_load_dword v42, v61, s[0:3], 0 offen offset:4
	buffer_load_dword v40, v61, s[0:3], 0 offen offset:8
	;; [unrolled: 1-line block ×3, first 2 shown]
	v_perm_b32 v65, v52, v50, s23
	v_perm_b32 v63, v63, v62, s23
	;; [unrolled: 1-line block ×3, first 2 shown]
	v_mfma_f32_16x16x16bf16_1k v[34:37], v[64:65], v[6:7], v[34:37]
	s_waitcnt vmcnt(3)
	v_cmp_ne_u16_sdwa s[14:15], v44, v47 src0_sel:BYTE_0 src1_sel:DWORD
	v_mfma_f32_16x16x16bf16_1k v[34:37], v[62:63], v[8:9], v[34:37]
	s_and_saveexec_b64 s[12:13], s[14:15]
	s_cbranch_execz .LBB921_315
; %bb.310:                              ;   in Loop: Header=BB921_213 Depth=1
	v_cmp_ne_u16_sdwa s[16:17], v44, s9 src0_sel:BYTE_0 src1_sel:DWORD
	v_mov_b32_e32 v49, 0xffff8000
	s_and_saveexec_b64 s[14:15], s[16:17]
	s_cbranch_execz .LBB921_314
; %bb.311:                              ;   in Loop: Header=BB921_213 Depth=1
	v_and_b32_e32 v46, 0x7f, v44
	v_cmp_ne_u32_e32 vcc, s21, v46
	v_mov_b32_e32 v49, 0x7f80
	s_and_saveexec_b64 s[16:17], vcc
	s_cbranch_execz .LBB921_313
; %bb.312:                              ;   in Loop: Header=BB921_213 Depth=1
	v_and_b32_e32 v49, 7, v44
	v_ffbh_u32_e32 v50, v49
	v_min_u32_e32 v53, 32, v50
	v_subrev_u32_e32 v50, 28, v53
	v_lshlrev_b64 v[50:51], v50, v[44:45]
	v_lshrrev_b32_e32 v52, 3, v46
	v_sub_u32_e32 v51, 29, v53
	v_and_b32_e32 v50, 7, v50
	v_cmp_gt_u32_e32 vcc, 8, v46
	v_cndmask_b32_e32 v46, v52, v51, vcc
	v_cndmask_b32_e32 v49, v49, v50, vcc
	v_lshlrev_b32_e32 v50, 24, v44
	v_lshlrev_b32_e32 v49, 20, v49
	v_and_b32_e32 v50, 0x80000000, v50
	v_lshl_add_u32 v46, v46, 23, v48
	v_or3_b32 v46, v50, v46, v49
	v_lshrrev_b32_e32 v49, 16, v46
.LBB921_313:                            ;   in Loop: Header=BB921_213 Depth=1
	s_or_b64 exec, exec, s[16:17]
.LBB921_314:                            ;   in Loop: Header=BB921_213 Depth=1
	s_or_b64 exec, exec, s[14:15]
.LBB921_315:                            ;   in Loop: Header=BB921_213 Depth=1
	s_or_b64 exec, exec, s[12:13]
	v_lshrrev_b16_e32 v46, 8, v44
	v_cmp_ne_u16_e32 vcc, 0, v46
	v_mov_b32_e32 v51, 0
	v_mov_b32_e32 v50, 0
	s_and_saveexec_b64 s[12:13], vcc
	s_cbranch_execz .LBB921_321
; %bb.316:                              ;   in Loop: Header=BB921_213 Depth=1
	v_cmp_ne_u16_e32 vcc, s9, v46
	v_mov_b32_e32 v50, 0xffff8000
	s_and_saveexec_b64 s[14:15], vcc
	s_cbranch_execz .LBB921_320
; %bb.317:                              ;   in Loop: Header=BB921_213 Depth=1
	v_and_b32_e32 v52, 0x7f, v46
	v_cmp_ne_u32_e32 vcc, s21, v52
	v_mov_b32_e32 v50, 0x7f80
	s_and_saveexec_b64 s[16:17], vcc
	s_cbranch_execz .LBB921_319
; %bb.318:                              ;   in Loop: Header=BB921_213 Depth=1
	v_and_b32_e32 v50, 7, v46
	v_ffbh_u32_e32 v61, v50
	v_min_u32_e32 v61, 32, v61
	v_subrev_u32_e32 v62, 28, v61
	v_lshlrev_b64 v[62:63], v62, v[46:47]
	v_lshrrev_b32_e32 v53, 3, v52
	v_sub_u32_e32 v46, 29, v61
	v_and_b32_e32 v61, 7, v62
	v_cmp_gt_u32_e32 vcc, 8, v52
	v_cndmask_b32_e32 v46, v53, v46, vcc
	v_cndmask_b32_e32 v50, v50, v61, vcc
	v_lshlrev_b32_e32 v52, 16, v44
	v_lshlrev_b32_e32 v50, 20, v50
	v_and_b32_e32 v52, 0x80000000, v52
	v_lshl_add_u32 v46, v46, 23, v48
	v_or3_b32 v46, v52, v46, v50
	v_lshrrev_b32_e32 v50, 16, v46
.LBB921_319:                            ;   in Loop: Header=BB921_213 Depth=1
	s_or_b64 exec, exec, s[16:17]
.LBB921_320:                            ;   in Loop: Header=BB921_213 Depth=1
	s_or_b64 exec, exec, s[14:15]
.LBB921_321:                            ;   in Loop: Header=BB921_213 Depth=1
	s_or_b64 exec, exec, s[12:13]
	v_lshrrev_b32_e32 v46, 16, v44
	v_cmp_ne_u16_sdwa s[14:15], v46, v47 src0_sel:BYTE_0 src1_sel:DWORD
	s_and_saveexec_b64 s[12:13], s[14:15]
	s_cbranch_execz .LBB921_327
; %bb.322:                              ;   in Loop: Header=BB921_213 Depth=1
	v_cmp_ne_u16_sdwa s[16:17], v46, s9 src0_sel:BYTE_0 src1_sel:DWORD
	v_mov_b32_e32 v51, 0xffff8000
	s_and_saveexec_b64 s[14:15], s[16:17]
	s_cbranch_execz .LBB921_326
; %bb.323:                              ;   in Loop: Header=BB921_213 Depth=1
	v_bfe_u32 v52, v44, 16, 7
	v_cmp_ne_u32_e32 vcc, s21, v52
	v_mov_b32_e32 v51, 0x7f80
	s_and_saveexec_b64 s[16:17], vcc
	s_cbranch_execz .LBB921_325
; %bb.324:                              ;   in Loop: Header=BB921_213 Depth=1
	v_and_b32_e32 v51, 7, v46
	v_ffbh_u32_e32 v61, v51
	v_min_u32_e32 v61, 32, v61
	v_subrev_u32_e32 v62, 28, v61
	v_lshlrev_b64 v[62:63], v62, v[46:47]
	v_lshrrev_b32_e32 v53, 3, v52
	v_sub_u32_e32 v61, 29, v61
	v_and_b32_e32 v62, 7, v62
	v_cmp_gt_u32_e32 vcc, 8, v52
	v_cndmask_b32_e32 v52, v53, v61, vcc
	v_cndmask_b32_e32 v51, v51, v62, vcc
	v_lshlrev_b32_e32 v46, 24, v46
	v_lshlrev_b32_e32 v51, 20, v51
	v_and_b32_e32 v46, 0x80000000, v46
	v_lshl_add_u32 v52, v52, 23, v48
	v_or3_b32 v46, v46, v52, v51
	v_lshrrev_b32_e32 v51, 16, v46
.LBB921_325:                            ;   in Loop: Header=BB921_213 Depth=1
	s_or_b64 exec, exec, s[16:17]
.LBB921_326:                            ;   in Loop: Header=BB921_213 Depth=1
	s_or_b64 exec, exec, s[14:15]
.LBB921_327:                            ;   in Loop: Header=BB921_213 Depth=1
	s_or_b64 exec, exec, s[12:13]
	v_cmp_lt_u32_e32 vcc, s22, v44
	v_mov_b32_e32 v52, 0
	v_mov_b32_e32 v53, 0
	s_and_saveexec_b64 s[12:13], vcc
	s_cbranch_execz .LBB921_333
; %bb.328:                              ;   in Loop: Header=BB921_213 Depth=1
	v_lshrrev_b32_e32 v46, 24, v44
	v_cmp_ne_u32_e32 vcc, s9, v46
	v_mov_b32_e32 v53, 0xffff8000
	s_and_saveexec_b64 s[14:15], vcc
	s_cbranch_execz .LBB921_332
; %bb.329:                              ;   in Loop: Header=BB921_213 Depth=1
	v_bfe_u32 v44, v44, 24, 7
	v_cmp_ne_u32_e32 vcc, s21, v44
	v_mov_b32_e32 v53, 0x7f80
	s_and_saveexec_b64 s[16:17], vcc
	s_cbranch_execz .LBB921_331
; %bb.330:                              ;   in Loop: Header=BB921_213 Depth=1
	v_and_b32_e32 v53, 7, v46
	v_ffbh_u32_e32 v62, v53
	v_min_u32_e32 v64, 32, v62
	v_subrev_u32_e32 v62, 28, v64
	v_lshlrev_b64 v[62:63], v62, v[46:47]
	v_lshrrev_b32_e32 v61, 3, v44
	v_sub_u32_e32 v63, 29, v64
	v_and_b32_e32 v62, 7, v62
	v_cmp_gt_u32_e32 vcc, 8, v44
	v_cndmask_b32_e32 v44, v61, v63, vcc
	v_cndmask_b32_e32 v53, v53, v62, vcc
	v_lshlrev_b32_e32 v46, 24, v46
	v_lshlrev_b32_e32 v53, 20, v53
	v_and_b32_e32 v46, 0x80000000, v46
	v_lshl_add_u32 v44, v44, 23, v48
	v_or3_b32 v44, v46, v44, v53
	v_lshrrev_b32_e32 v53, 16, v44
.LBB921_331:                            ;   in Loop: Header=BB921_213 Depth=1
	s_or_b64 exec, exec, s[16:17]
.LBB921_332:                            ;   in Loop: Header=BB921_213 Depth=1
	s_or_b64 exec, exec, s[14:15]
.LBB921_333:                            ;   in Loop: Header=BB921_213 Depth=1
	s_or_b64 exec, exec, s[12:13]
	s_waitcnt vmcnt(2)
	v_cmp_ne_u16_sdwa s[14:15], v42, v47 src0_sel:BYTE_0 src1_sel:DWORD
	s_and_saveexec_b64 s[12:13], s[14:15]
	s_cbranch_execz .LBB921_339
; %bb.334:                              ;   in Loop: Header=BB921_213 Depth=1
	v_cmp_ne_u16_sdwa s[16:17], v42, s9 src0_sel:BYTE_0 src1_sel:DWORD
	v_mov_b32_e32 v52, 0xffff8000
	s_and_saveexec_b64 s[14:15], s[16:17]
	s_cbranch_execz .LBB921_338
; %bb.335:                              ;   in Loop: Header=BB921_213 Depth=1
	v_and_b32_e32 v44, 0x7f, v42
	v_cmp_ne_u32_e32 vcc, s21, v44
	v_mov_b32_e32 v52, 0x7f80
	s_and_saveexec_b64 s[16:17], vcc
	s_cbranch_execz .LBB921_337
; %bb.336:                              ;   in Loop: Header=BB921_213 Depth=1
	v_and_b32_e32 v46, 7, v42
	v_ffbh_u32_e32 v61, v46
	v_min_u32_e32 v61, 32, v61
	v_subrev_u32_e32 v62, 28, v61
	v_lshlrev_b64 v[62:63], v62, v[42:43]
	v_lshrrev_b32_e32 v52, 3, v44
	v_sub_u32_e32 v61, 29, v61
	v_and_b32_e32 v62, 7, v62
	v_cmp_gt_u32_e32 vcc, 8, v44
	v_cndmask_b32_e32 v44, v52, v61, vcc
	v_cndmask_b32_e32 v46, v46, v62, vcc
	v_lshlrev_b32_e32 v52, 24, v42
	v_lshlrev_b32_e32 v46, 20, v46
	v_and_b32_e32 v52, 0x80000000, v52
	v_lshl_add_u32 v44, v44, 23, v48
	v_or3_b32 v44, v52, v44, v46
	v_lshrrev_b32_e32 v52, 16, v44
.LBB921_337:                            ;   in Loop: Header=BB921_213 Depth=1
	s_or_b64 exec, exec, s[16:17]
.LBB921_338:                            ;   in Loop: Header=BB921_213 Depth=1
	s_or_b64 exec, exec, s[14:15]
.LBB921_339:                            ;   in Loop: Header=BB921_213 Depth=1
	s_or_b64 exec, exec, s[12:13]
	v_lshrrev_b16_e32 v44, 8, v42
	v_cmp_ne_u16_e32 vcc, 0, v44
	v_mov_b32_e32 v62, 0
	v_mov_b32_e32 v61, 0
	s_and_saveexec_b64 s[12:13], vcc
	s_cbranch_execz .LBB921_345
; %bb.340:                              ;   in Loop: Header=BB921_213 Depth=1
	v_cmp_ne_u16_e32 vcc, s9, v44
	v_mov_b32_e32 v61, 0xffff8000
	s_and_saveexec_b64 s[14:15], vcc
	s_cbranch_execz .LBB921_344
; %bb.341:                              ;   in Loop: Header=BB921_213 Depth=1
	v_and_b32_e32 v46, 0x7f, v44
	v_cmp_ne_u32_e32 vcc, s21, v46
	v_mov_b32_e32 v61, 0x7f80
	s_and_saveexec_b64 s[16:17], vcc
	s_cbranch_execz .LBB921_343
; %bb.342:                              ;   in Loop: Header=BB921_213 Depth=1
	v_and_b32_e32 v61, 7, v44
	v_ffbh_u32_e32 v64, v61
	v_min_u32_e32 v66, 32, v64
	v_subrev_u32_e32 v64, 28, v66
	v_lshlrev_b64 v[64:65], v64, v[44:45]
	v_lshrrev_b32_e32 v63, 3, v46
	v_sub_u32_e32 v44, 29, v66
	v_and_b32_e32 v64, 7, v64
	v_cmp_gt_u32_e32 vcc, 8, v46
	v_cndmask_b32_e32 v44, v63, v44, vcc
	v_cndmask_b32_e32 v46, v61, v64, vcc
	v_lshlrev_b32_e32 v61, 16, v42
	v_lshlrev_b32_e32 v46, 20, v46
	v_and_b32_e32 v61, 0x80000000, v61
	v_lshl_add_u32 v44, v44, 23, v48
	v_or3_b32 v44, v61, v44, v46
	v_lshrrev_b32_e32 v61, 16, v44
.LBB921_343:                            ;   in Loop: Header=BB921_213 Depth=1
	s_or_b64 exec, exec, s[16:17]
.LBB921_344:                            ;   in Loop: Header=BB921_213 Depth=1
	s_or_b64 exec, exec, s[14:15]
.LBB921_345:                            ;   in Loop: Header=BB921_213 Depth=1
	s_or_b64 exec, exec, s[12:13]
	v_lshrrev_b32_e32 v44, 16, v42
	v_cmp_ne_u16_sdwa s[14:15], v44, v47 src0_sel:BYTE_0 src1_sel:DWORD
	s_and_saveexec_b64 s[12:13], s[14:15]
	s_cbranch_execz .LBB921_351
; %bb.346:                              ;   in Loop: Header=BB921_213 Depth=1
	v_cmp_ne_u16_sdwa s[16:17], v44, s9 src0_sel:BYTE_0 src1_sel:DWORD
	v_mov_b32_e32 v62, 0xffff8000
	s_and_saveexec_b64 s[14:15], s[16:17]
	s_cbranch_execz .LBB921_350
; %bb.347:                              ;   in Loop: Header=BB921_213 Depth=1
	v_bfe_u32 v46, v42, 16, 7
	v_cmp_ne_u32_e32 vcc, s21, v46
	v_mov_b32_e32 v62, 0x7f80
	s_and_saveexec_b64 s[16:17], vcc
	s_cbranch_execz .LBB921_349
; %bb.348:                              ;   in Loop: Header=BB921_213 Depth=1
	v_and_b32_e32 v64, 7, v44
	v_ffbh_u32_e32 v62, v64
	v_min_u32_e32 v66, 32, v62
	v_subrev_u32_e32 v62, 28, v66
	v_lshlrev_b64 v[62:63], v62, v[44:45]
	v_lshrrev_b32_e32 v65, 3, v46
	v_sub_u32_e32 v63, 29, v66
	v_and_b32_e32 v62, 7, v62
	v_cmp_gt_u32_e32 vcc, 8, v46
	v_cndmask_b32_e32 v46, v65, v63, vcc
	v_cndmask_b32_e32 v62, v64, v62, vcc
	v_lshlrev_b32_e32 v44, 24, v44
	v_lshlrev_b32_e32 v62, 20, v62
	v_and_b32_e32 v44, 0x80000000, v44
	v_lshl_add_u32 v46, v46, 23, v48
	v_or3_b32 v44, v44, v46, v62
	v_lshrrev_b32_e32 v62, 16, v44
.LBB921_349:                            ;   in Loop: Header=BB921_213 Depth=1
	s_or_b64 exec, exec, s[16:17]
.LBB921_350:                            ;   in Loop: Header=BB921_213 Depth=1
	s_or_b64 exec, exec, s[14:15]
.LBB921_351:                            ;   in Loop: Header=BB921_213 Depth=1
	s_or_b64 exec, exec, s[12:13]
	v_cmp_lt_u32_e32 vcc, s22, v42
	v_mov_b32_e32 v46, 0
	v_mov_b32_e32 v63, 0
	s_and_saveexec_b64 s[12:13], vcc
	s_cbranch_execz .LBB921_357
; %bb.352:                              ;   in Loop: Header=BB921_213 Depth=1
	v_lshrrev_b32_e32 v44, 24, v42
	v_cmp_ne_u32_e32 vcc, s9, v44
	v_mov_b32_e32 v63, 0xffff8000
	s_and_saveexec_b64 s[14:15], vcc
	s_cbranch_execz .LBB921_356
; %bb.353:                              ;   in Loop: Header=BB921_213 Depth=1
	v_bfe_u32 v42, v42, 24, 7
	v_cmp_ne_u32_e32 vcc, s21, v42
	v_mov_b32_e32 v63, 0x7f80
	s_and_saveexec_b64 s[16:17], vcc
	s_cbranch_execz .LBB921_355
; %bb.354:                              ;   in Loop: Header=BB921_213 Depth=1
	v_and_b32_e32 v63, 7, v44
	v_ffbh_u32_e32 v64, v63
	v_min_u32_e32 v67, 32, v64
	v_subrev_u32_e32 v64, 28, v67
	v_lshlrev_b64 v[64:65], v64, v[44:45]
	v_lshrrev_b32_e32 v66, 3, v42
	v_sub_u32_e32 v65, 29, v67
	v_and_b32_e32 v64, 7, v64
	v_cmp_gt_u32_e32 vcc, 8, v42
	v_cndmask_b32_e32 v42, v66, v65, vcc
	v_cndmask_b32_e32 v63, v63, v64, vcc
	v_lshlrev_b32_e32 v44, 24, v44
	v_lshlrev_b32_e32 v63, 20, v63
	v_and_b32_e32 v44, 0x80000000, v44
	v_lshl_add_u32 v42, v42, 23, v48
	v_or3_b32 v42, v44, v42, v63
	v_lshrrev_b32_e32 v63, 16, v42
.LBB921_355:                            ;   in Loop: Header=BB921_213 Depth=1
	s_or_b64 exec, exec, s[16:17]
.LBB921_356:                            ;   in Loop: Header=BB921_213 Depth=1
	s_or_b64 exec, exec, s[14:15]
.LBB921_357:                            ;   in Loop: Header=BB921_213 Depth=1
	s_or_b64 exec, exec, s[12:13]
	v_perm_b32 v51, v53, v51, s23
	v_perm_b32 v50, v50, v49, s23
	s_waitcnt vmcnt(1)
	v_cmp_ne_u16_sdwa s[14:15], v40, v47 src0_sel:BYTE_0 src1_sel:DWORD
	v_mfma_f32_16x16x16bf16_1k v[34:37], v[50:51], v[10:11], v[34:37]
	v_perm_b32 v51, v63, v62, s23
	v_perm_b32 v50, v61, v52, s23
	s_nop 1
	v_mfma_f32_16x16x16bf16_1k v[34:37], v[50:51], v[12:13], v[34:37]
	s_and_saveexec_b64 s[12:13], s[14:15]
	s_cbranch_execz .LBB921_363
; %bb.358:                              ;   in Loop: Header=BB921_213 Depth=1
	v_cmp_ne_u16_sdwa s[16:17], v40, s9 src0_sel:BYTE_0 src1_sel:DWORD
	v_mov_b32_e32 v46, 0xffff8000
	s_and_saveexec_b64 s[14:15], s[16:17]
	s_cbranch_execz .LBB921_362
; %bb.359:                              ;   in Loop: Header=BB921_213 Depth=1
	v_and_b32_e32 v42, 0x7f, v40
	v_cmp_ne_u32_e32 vcc, s21, v42
	v_mov_b32_e32 v46, 0x7f80
	s_and_saveexec_b64 s[16:17], vcc
	s_cbranch_execz .LBB921_361
; %bb.360:                              ;   in Loop: Header=BB921_213 Depth=1
	v_and_b32_e32 v44, 7, v40
	v_ffbh_u32_e32 v49, v44
	v_min_u32_e32 v49, 32, v49
	v_subrev_u32_e32 v50, 28, v49
	v_lshlrev_b64 v[50:51], v50, v[40:41]
	v_lshrrev_b32_e32 v46, 3, v42
	v_sub_u32_e32 v49, 29, v49
	v_and_b32_e32 v50, 7, v50
	v_cmp_gt_u32_e32 vcc, 8, v42
	v_cndmask_b32_e32 v42, v46, v49, vcc
	v_cndmask_b32_e32 v44, v44, v50, vcc
	v_lshlrev_b32_e32 v46, 24, v40
	v_lshlrev_b32_e32 v44, 20, v44
	v_and_b32_e32 v46, 0x80000000, v46
	v_lshl_add_u32 v42, v42, 23, v48
	v_or3_b32 v42, v46, v42, v44
	v_lshrrev_b32_e32 v46, 16, v42
.LBB921_361:                            ;   in Loop: Header=BB921_213 Depth=1
	s_or_b64 exec, exec, s[16:17]
.LBB921_362:                            ;   in Loop: Header=BB921_213 Depth=1
	s_or_b64 exec, exec, s[14:15]
.LBB921_363:                            ;   in Loop: Header=BB921_213 Depth=1
	s_or_b64 exec, exec, s[12:13]
	v_lshrrev_b16_e32 v42, 8, v40
	v_cmp_ne_u16_e32 vcc, 0, v42
	v_mov_b32_e32 v50, 0
	v_mov_b32_e32 v44, 0
	s_and_saveexec_b64 s[12:13], vcc
	s_cbranch_execz .LBB921_369
; %bb.364:                              ;   in Loop: Header=BB921_213 Depth=1
	v_cmp_ne_u16_e32 vcc, s9, v42
	v_mov_b32_e32 v44, 0xffff8000
	s_and_saveexec_b64 s[14:15], vcc
	s_cbranch_execz .LBB921_368
; %bb.365:                              ;   in Loop: Header=BB921_213 Depth=1
	v_and_b32_e32 v49, 0x7f, v42
	v_cmp_ne_u32_e32 vcc, s21, v49
	v_mov_b32_e32 v44, 0x7f80
	s_and_saveexec_b64 s[16:17], vcc
	s_cbranch_execz .LBB921_367
; %bb.366:                              ;   in Loop: Header=BB921_213 Depth=1
	v_and_b32_e32 v44, 7, v42
	v_ffbh_u32_e32 v52, v44
	v_min_u32_e32 v61, 32, v52
	v_subrev_u32_e32 v52, 28, v61
	v_lshlrev_b64 v[52:53], v52, v[42:43]
	v_lshrrev_b32_e32 v51, 3, v49
	v_sub_u32_e32 v42, 29, v61
	v_and_b32_e32 v52, 7, v52
	v_cmp_gt_u32_e32 vcc, 8, v49
	v_cndmask_b32_e32 v42, v51, v42, vcc
	v_cndmask_b32_e32 v44, v44, v52, vcc
	v_lshlrev_b32_e32 v49, 16, v40
	v_lshlrev_b32_e32 v44, 20, v44
	v_and_b32_e32 v49, 0x80000000, v49
	v_lshl_add_u32 v42, v42, 23, v48
	v_or3_b32 v42, v49, v42, v44
	v_lshrrev_b32_e32 v44, 16, v42
.LBB921_367:                            ;   in Loop: Header=BB921_213 Depth=1
	s_or_b64 exec, exec, s[16:17]
.LBB921_368:                            ;   in Loop: Header=BB921_213 Depth=1
	s_or_b64 exec, exec, s[14:15]
.LBB921_369:                            ;   in Loop: Header=BB921_213 Depth=1
	s_or_b64 exec, exec, s[12:13]
	v_lshrrev_b32_e32 v42, 16, v40
	v_cmp_ne_u16_sdwa s[14:15], v42, v47 src0_sel:BYTE_0 src1_sel:DWORD
	s_and_saveexec_b64 s[12:13], s[14:15]
	s_cbranch_execz .LBB921_375
; %bb.370:                              ;   in Loop: Header=BB921_213 Depth=1
	v_cmp_ne_u16_sdwa s[16:17], v42, s9 src0_sel:BYTE_0 src1_sel:DWORD
	v_mov_b32_e32 v50, 0xffff8000
	s_and_saveexec_b64 s[14:15], s[16:17]
	s_cbranch_execz .LBB921_374
; %bb.371:                              ;   in Loop: Header=BB921_213 Depth=1
	v_bfe_u32 v49, v40, 16, 7
	v_cmp_ne_u32_e32 vcc, s21, v49
	v_mov_b32_e32 v50, 0x7f80
	s_and_saveexec_b64 s[16:17], vcc
	s_cbranch_execz .LBB921_373
; %bb.372:                              ;   in Loop: Header=BB921_213 Depth=1
	v_and_b32_e32 v52, 7, v42
	v_ffbh_u32_e32 v50, v52
	v_min_u32_e32 v61, 32, v50
	v_subrev_u32_e32 v50, 28, v61
	v_lshlrev_b64 v[50:51], v50, v[42:43]
	v_lshrrev_b32_e32 v53, 3, v49
	v_sub_u32_e32 v51, 29, v61
	v_and_b32_e32 v50, 7, v50
	v_cmp_gt_u32_e32 vcc, 8, v49
	v_cndmask_b32_e32 v49, v53, v51, vcc
	v_cndmask_b32_e32 v50, v52, v50, vcc
	v_lshlrev_b32_e32 v42, 24, v42
	v_lshlrev_b32_e32 v50, 20, v50
	v_and_b32_e32 v42, 0x80000000, v42
	v_lshl_add_u32 v49, v49, 23, v48
	v_or3_b32 v42, v42, v49, v50
	v_lshrrev_b32_e32 v50, 16, v42
.LBB921_373:                            ;   in Loop: Header=BB921_213 Depth=1
	s_or_b64 exec, exec, s[16:17]
.LBB921_374:                            ;   in Loop: Header=BB921_213 Depth=1
	s_or_b64 exec, exec, s[14:15]
.LBB921_375:                            ;   in Loop: Header=BB921_213 Depth=1
	s_or_b64 exec, exec, s[12:13]
	v_cmp_lt_u32_e32 vcc, s22, v40
	v_mov_b32_e32 v51, 0
	v_mov_b32_e32 v52, 0
	s_and_saveexec_b64 s[12:13], vcc
	s_cbranch_execz .LBB921_381
; %bb.376:                              ;   in Loop: Header=BB921_213 Depth=1
	v_lshrrev_b32_e32 v42, 24, v40
	v_cmp_ne_u32_e32 vcc, s9, v42
	v_mov_b32_e32 v52, 0xffff8000
	s_and_saveexec_b64 s[14:15], vcc
	s_cbranch_execz .LBB921_380
; %bb.377:                              ;   in Loop: Header=BB921_213 Depth=1
	v_bfe_u32 v40, v40, 24, 7
	v_cmp_ne_u32_e32 vcc, s21, v40
	v_mov_b32_e32 v52, 0x7f80
	s_and_saveexec_b64 s[16:17], vcc
	s_cbranch_execz .LBB921_379
; %bb.378:                              ;   in Loop: Header=BB921_213 Depth=1
	v_and_b32_e32 v49, 7, v42
	v_ffbh_u32_e32 v52, v49
	v_min_u32_e32 v62, 32, v52
	v_subrev_u32_e32 v52, 28, v62
	v_lshlrev_b64 v[52:53], v52, v[42:43]
	v_lshrrev_b32_e32 v61, 3, v40
	v_sub_u32_e32 v53, 29, v62
	v_and_b32_e32 v52, 7, v52
	v_cmp_gt_u32_e32 vcc, 8, v40
	v_cndmask_b32_e32 v40, v61, v53, vcc
	v_cndmask_b32_e32 v49, v49, v52, vcc
	v_lshlrev_b32_e32 v42, 24, v42
	v_lshlrev_b32_e32 v49, 20, v49
	v_and_b32_e32 v42, 0x80000000, v42
	v_lshl_add_u32 v40, v40, 23, v48
	v_or3_b32 v40, v42, v40, v49
	v_lshrrev_b32_e32 v52, 16, v40
.LBB921_379:                            ;   in Loop: Header=BB921_213 Depth=1
	s_or_b64 exec, exec, s[16:17]
.LBB921_380:                            ;   in Loop: Header=BB921_213 Depth=1
	s_or_b64 exec, exec, s[14:15]
.LBB921_381:                            ;   in Loop: Header=BB921_213 Depth=1
	s_or_b64 exec, exec, s[12:13]
	s_waitcnt vmcnt(0)
	v_cmp_ne_u16_sdwa s[14:15], v38, v47 src0_sel:BYTE_0 src1_sel:DWORD
	s_and_saveexec_b64 s[12:13], s[14:15]
	s_cbranch_execz .LBB921_387
; %bb.382:                              ;   in Loop: Header=BB921_213 Depth=1
	v_cmp_ne_u16_sdwa s[16:17], v38, s9 src0_sel:BYTE_0 src1_sel:DWORD
	v_mov_b32_e32 v51, 0xffff8000
	s_and_saveexec_b64 s[14:15], s[16:17]
	s_cbranch_execz .LBB921_386
; %bb.383:                              ;   in Loop: Header=BB921_213 Depth=1
	v_and_b32_e32 v40, 0x7f, v38
	v_cmp_ne_u32_e32 vcc, s21, v40
	v_mov_b32_e32 v51, 0x7f80
	s_and_saveexec_b64 s[16:17], vcc
	s_cbranch_execz .LBB921_385
; %bb.384:                              ;   in Loop: Header=BB921_213 Depth=1
	v_and_b32_e32 v42, 7, v38
	v_ffbh_u32_e32 v51, v42
	v_min_u32_e32 v51, 32, v51
	v_subrev_u32_e32 v53, 28, v51
	v_lshlrev_b64 v[62:63], v53, v[38:39]
	v_lshrrev_b32_e32 v49, 3, v40
	v_sub_u32_e32 v51, 29, v51
	v_and_b32_e32 v53, 7, v62
	v_cmp_gt_u32_e32 vcc, 8, v40
	v_cndmask_b32_e32 v40, v49, v51, vcc
	v_cndmask_b32_e32 v42, v42, v53, vcc
	v_lshlrev_b32_e32 v49, 24, v38
	v_lshlrev_b32_e32 v42, 20, v42
	v_and_b32_e32 v49, 0x80000000, v49
	v_lshl_add_u32 v40, v40, 23, v48
	v_or3_b32 v40, v49, v40, v42
	v_lshrrev_b32_e32 v51, 16, v40
.LBB921_385:                            ;   in Loop: Header=BB921_213 Depth=1
	s_or_b64 exec, exec, s[16:17]
.LBB921_386:                            ;   in Loop: Header=BB921_213 Depth=1
	s_or_b64 exec, exec, s[14:15]
.LBB921_387:                            ;   in Loop: Header=BB921_213 Depth=1
	s_or_b64 exec, exec, s[12:13]
	v_lshrrev_b16_e32 v40, 8, v38
	v_cmp_ne_u16_e32 vcc, 0, v40
	v_mov_b32_e32 v61, 0
	v_mov_b32_e32 v53, 0
	s_and_saveexec_b64 s[12:13], vcc
	s_cbranch_execz .LBB921_393
; %bb.388:                              ;   in Loop: Header=BB921_213 Depth=1
	v_cmp_ne_u16_e32 vcc, s9, v40
	v_mov_b32_e32 v53, 0xffff8000
	s_and_saveexec_b64 s[14:15], vcc
	s_cbranch_execz .LBB921_392
; %bb.389:                              ;   in Loop: Header=BB921_213 Depth=1
	v_and_b32_e32 v42, 0x7f, v40
	v_cmp_ne_u32_e32 vcc, s21, v42
	v_mov_b32_e32 v53, 0x7f80
	s_and_saveexec_b64 s[16:17], vcc
	s_cbranch_execz .LBB921_391
; %bb.390:                              ;   in Loop: Header=BB921_213 Depth=1
	v_and_b32_e32 v49, 7, v40
	v_ffbh_u32_e32 v62, v49
	v_min_u32_e32 v64, 32, v62
	v_subrev_u32_e32 v62, 28, v64
	v_lshlrev_b64 v[62:63], v62, v[40:41]
	v_lshrrev_b32_e32 v53, 3, v42
	v_sub_u32_e32 v40, 29, v64
	v_and_b32_e32 v62, 7, v62
	v_cmp_gt_u32_e32 vcc, 8, v42
	v_cndmask_b32_e32 v40, v53, v40, vcc
	v_cndmask_b32_e32 v42, v49, v62, vcc
	v_lshlrev_b32_e32 v49, 16, v38
	v_lshlrev_b32_e32 v42, 20, v42
	v_and_b32_e32 v49, 0x80000000, v49
	v_lshl_add_u32 v40, v40, 23, v48
	v_or3_b32 v40, v49, v40, v42
	v_lshrrev_b32_e32 v53, 16, v40
.LBB921_391:                            ;   in Loop: Header=BB921_213 Depth=1
	s_or_b64 exec, exec, s[16:17]
.LBB921_392:                            ;   in Loop: Header=BB921_213 Depth=1
	s_or_b64 exec, exec, s[14:15]
.LBB921_393:                            ;   in Loop: Header=BB921_213 Depth=1
	s_or_b64 exec, exec, s[12:13]
	v_lshrrev_b32_e32 v40, 16, v38
	v_cmp_ne_u16_sdwa s[14:15], v40, v47 src0_sel:BYTE_0 src1_sel:DWORD
	s_and_saveexec_b64 s[12:13], s[14:15]
	s_cbranch_execz .LBB921_399
; %bb.394:                              ;   in Loop: Header=BB921_213 Depth=1
	v_cmp_ne_u16_sdwa s[16:17], v40, s9 src0_sel:BYTE_0 src1_sel:DWORD
	v_mov_b32_e32 v61, 0xffff8000
	s_and_saveexec_b64 s[14:15], s[16:17]
	s_cbranch_execz .LBB921_398
; %bb.395:                              ;   in Loop: Header=BB921_213 Depth=1
	v_bfe_u32 v42, v38, 16, 7
	v_cmp_ne_u32_e32 vcc, s21, v42
	v_mov_b32_e32 v61, 0x7f80
	s_and_saveexec_b64 s[16:17], vcc
	s_cbranch_execz .LBB921_397
; %bb.396:                              ;   in Loop: Header=BB921_213 Depth=1
	v_and_b32_e32 v49, 7, v40
	v_ffbh_u32_e32 v62, v49
	v_min_u32_e32 v64, 32, v62
	v_subrev_u32_e32 v62, 28, v64
	v_lshlrev_b64 v[62:63], v62, v[40:41]
	v_lshrrev_b32_e32 v61, 3, v42
	v_sub_u32_e32 v63, 29, v64
	v_and_b32_e32 v62, 7, v62
	v_cmp_gt_u32_e32 vcc, 8, v42
	v_cndmask_b32_e32 v42, v61, v63, vcc
	v_cndmask_b32_e32 v49, v49, v62, vcc
	v_lshlrev_b32_e32 v40, 24, v40
	v_lshlrev_b32_e32 v49, 20, v49
	v_and_b32_e32 v40, 0x80000000, v40
	v_lshl_add_u32 v42, v42, 23, v48
	v_or3_b32 v40, v40, v42, v49
	v_lshrrev_b32_e32 v61, 16, v40
.LBB921_397:                            ;   in Loop: Header=BB921_213 Depth=1
	s_or_b64 exec, exec, s[16:17]
.LBB921_398:                            ;   in Loop: Header=BB921_213 Depth=1
	s_or_b64 exec, exec, s[14:15]
.LBB921_399:                            ;   in Loop: Header=BB921_213 Depth=1
	s_or_b64 exec, exec, s[12:13]
	v_cmp_lt_u32_e32 vcc, s22, v38
	v_mov_b32_e32 v49, 0
	v_mov_b32_e32 v62, 0
	s_and_saveexec_b64 s[12:13], vcc
	s_cbranch_execz .LBB921_405
; %bb.400:                              ;   in Loop: Header=BB921_213 Depth=1
	v_lshrrev_b32_e32 v40, 24, v38
	v_cmp_ne_u32_e32 vcc, s9, v40
	v_mov_b32_e32 v62, 0xffff8000
	s_and_saveexec_b64 s[14:15], vcc
	s_cbranch_execz .LBB921_404
; %bb.401:                              ;   in Loop: Header=BB921_213 Depth=1
	v_bfe_u32 v38, v38, 24, 7
	v_cmp_ne_u32_e32 vcc, s21, v38
	v_mov_b32_e32 v62, 0x7f80
	s_and_saveexec_b64 s[16:17], vcc
	s_cbranch_execz .LBB921_403
; %bb.402:                              ;   in Loop: Header=BB921_213 Depth=1
	v_and_b32_e32 v42, 7, v40
	v_ffbh_u32_e32 v62, v42
	v_min_u32_e32 v65, 32, v62
	v_subrev_u32_e32 v62, 28, v65
	v_lshlrev_b64 v[62:63], v62, v[40:41]
	v_lshrrev_b32_e32 v64, 3, v38
	v_sub_u32_e32 v63, 29, v65
	v_and_b32_e32 v62, 7, v62
	v_cmp_gt_u32_e32 vcc, 8, v38
	v_cndmask_b32_e32 v38, v64, v63, vcc
	v_cndmask_b32_e32 v42, v42, v62, vcc
	v_lshlrev_b32_e32 v40, 24, v40
	v_lshlrev_b32_e32 v42, 20, v42
	v_and_b32_e32 v40, 0x80000000, v40
	v_lshl_add_u32 v38, v38, 23, v48
	v_or3_b32 v38, v40, v38, v42
	v_lshrrev_b32_e32 v62, 16, v38
.LBB921_403:                            ;   in Loop: Header=BB921_213 Depth=1
	s_or_b64 exec, exec, s[16:17]
.LBB921_404:                            ;   in Loop: Header=BB921_213 Depth=1
	s_or_b64 exec, exec, s[14:15]
.LBB921_405:                            ;   in Loop: Header=BB921_213 Depth=1
	s_or_b64 exec, exec, s[12:13]
	v_perm_b32 v64, v44, v46, s23
	buffer_load_dword v44, v60, s[0:3], 0 offen
	buffer_load_dword v42, v60, s[0:3], 0 offen offset:4
	buffer_load_dword v40, v60, s[0:3], 0 offen offset:8
	;; [unrolled: 1-line block ×3, first 2 shown]
	v_perm_b32 v65, v52, v50, s23
	v_perm_b32 v61, v62, v61, s23
	;; [unrolled: 1-line block ×3, first 2 shown]
	v_mfma_f32_16x16x16bf16_1k v[34:37], v[64:65], v[14:15], v[34:37]
	s_waitcnt vmcnt(3)
	v_cmp_ne_u16_sdwa s[14:15], v44, v47 src0_sel:BYTE_0 src1_sel:DWORD
	v_mfma_f32_16x16x16bf16_1k v[34:37], v[60:61], v[16:17], v[34:37]
	s_and_saveexec_b64 s[12:13], s[14:15]
	s_cbranch_execz .LBB921_411
; %bb.406:                              ;   in Loop: Header=BB921_213 Depth=1
	v_cmp_ne_u16_sdwa s[16:17], v44, s9 src0_sel:BYTE_0 src1_sel:DWORD
	v_mov_b32_e32 v49, 0xffff8000
	s_and_saveexec_b64 s[14:15], s[16:17]
	s_cbranch_execz .LBB921_410
; %bb.407:                              ;   in Loop: Header=BB921_213 Depth=1
	v_and_b32_e32 v46, 0x7f, v44
	v_cmp_ne_u32_e32 vcc, s21, v46
	v_mov_b32_e32 v49, 0x7f80
	s_and_saveexec_b64 s[16:17], vcc
	s_cbranch_execz .LBB921_409
; %bb.408:                              ;   in Loop: Header=BB921_213 Depth=1
	v_and_b32_e32 v49, 7, v44
	v_ffbh_u32_e32 v50, v49
	v_min_u32_e32 v53, 32, v50
	v_subrev_u32_e32 v50, 28, v53
	v_lshlrev_b64 v[50:51], v50, v[44:45]
	v_lshrrev_b32_e32 v52, 3, v46
	v_sub_u32_e32 v51, 29, v53
	v_and_b32_e32 v50, 7, v50
	v_cmp_gt_u32_e32 vcc, 8, v46
	v_cndmask_b32_e32 v46, v52, v51, vcc
	v_cndmask_b32_e32 v49, v49, v50, vcc
	v_lshlrev_b32_e32 v50, 24, v44
	v_lshlrev_b32_e32 v49, 20, v49
	v_and_b32_e32 v50, 0x80000000, v50
	v_lshl_add_u32 v46, v46, 23, v48
	v_or3_b32 v46, v50, v46, v49
	v_lshrrev_b32_e32 v49, 16, v46
.LBB921_409:                            ;   in Loop: Header=BB921_213 Depth=1
	s_or_b64 exec, exec, s[16:17]
.LBB921_410:                            ;   in Loop: Header=BB921_213 Depth=1
	s_or_b64 exec, exec, s[14:15]
.LBB921_411:                            ;   in Loop: Header=BB921_213 Depth=1
	s_or_b64 exec, exec, s[12:13]
	v_lshrrev_b16_e32 v46, 8, v44
	v_cmp_ne_u16_e32 vcc, 0, v46
	v_mov_b32_e32 v51, 0
	v_mov_b32_e32 v50, 0
	s_and_saveexec_b64 s[12:13], vcc
	s_cbranch_execz .LBB921_417
; %bb.412:                              ;   in Loop: Header=BB921_213 Depth=1
	v_cmp_ne_u16_e32 vcc, s9, v46
	v_mov_b32_e32 v50, 0xffff8000
	s_and_saveexec_b64 s[14:15], vcc
	s_cbranch_execz .LBB921_416
; %bb.413:                              ;   in Loop: Header=BB921_213 Depth=1
	v_and_b32_e32 v52, 0x7f, v46
	v_cmp_ne_u32_e32 vcc, s21, v52
	v_mov_b32_e32 v50, 0x7f80
	s_and_saveexec_b64 s[16:17], vcc
	s_cbranch_execz .LBB921_415
; %bb.414:                              ;   in Loop: Header=BB921_213 Depth=1
	v_and_b32_e32 v50, 7, v46
	v_ffbh_u32_e32 v60, v50
	v_min_u32_e32 v62, 32, v60
	v_subrev_u32_e32 v60, 28, v62
	v_lshlrev_b64 v[60:61], v60, v[46:47]
	v_lshrrev_b32_e32 v53, 3, v52
	v_sub_u32_e32 v46, 29, v62
	v_and_b32_e32 v60, 7, v60
	v_cmp_gt_u32_e32 vcc, 8, v52
	v_cndmask_b32_e32 v46, v53, v46, vcc
	v_cndmask_b32_e32 v50, v50, v60, vcc
	v_lshlrev_b32_e32 v52, 16, v44
	v_lshlrev_b32_e32 v50, 20, v50
	v_and_b32_e32 v52, 0x80000000, v52
	v_lshl_add_u32 v46, v46, 23, v48
	v_or3_b32 v46, v52, v46, v50
	v_lshrrev_b32_e32 v50, 16, v46
.LBB921_415:                            ;   in Loop: Header=BB921_213 Depth=1
	s_or_b64 exec, exec, s[16:17]
.LBB921_416:                            ;   in Loop: Header=BB921_213 Depth=1
	s_or_b64 exec, exec, s[14:15]
.LBB921_417:                            ;   in Loop: Header=BB921_213 Depth=1
	s_or_b64 exec, exec, s[12:13]
	v_lshrrev_b32_e32 v46, 16, v44
	v_cmp_ne_u16_sdwa s[14:15], v46, v47 src0_sel:BYTE_0 src1_sel:DWORD
	s_and_saveexec_b64 s[12:13], s[14:15]
	s_cbranch_execz .LBB921_423
; %bb.418:                              ;   in Loop: Header=BB921_213 Depth=1
	v_cmp_ne_u16_sdwa s[16:17], v46, s9 src0_sel:BYTE_0 src1_sel:DWORD
	v_mov_b32_e32 v51, 0xffff8000
	s_and_saveexec_b64 s[14:15], s[16:17]
	s_cbranch_execz .LBB921_422
; %bb.419:                              ;   in Loop: Header=BB921_213 Depth=1
	v_bfe_u32 v52, v44, 16, 7
	v_cmp_ne_u32_e32 vcc, s21, v52
	v_mov_b32_e32 v51, 0x7f80
	s_and_saveexec_b64 s[16:17], vcc
	s_cbranch_execz .LBB921_421
; %bb.420:                              ;   in Loop: Header=BB921_213 Depth=1
	v_and_b32_e32 v51, 7, v46
	v_ffbh_u32_e32 v60, v51
	v_min_u32_e32 v62, 32, v60
	v_subrev_u32_e32 v60, 28, v62
	v_lshlrev_b64 v[60:61], v60, v[46:47]
	v_lshrrev_b32_e32 v53, 3, v52
	v_sub_u32_e32 v61, 29, v62
	v_and_b32_e32 v60, 7, v60
	v_cmp_gt_u32_e32 vcc, 8, v52
	v_cndmask_b32_e32 v52, v53, v61, vcc
	v_cndmask_b32_e32 v51, v51, v60, vcc
	v_lshlrev_b32_e32 v46, 24, v46
	v_lshlrev_b32_e32 v51, 20, v51
	v_and_b32_e32 v46, 0x80000000, v46
	v_lshl_add_u32 v52, v52, 23, v48
	v_or3_b32 v46, v46, v52, v51
	v_lshrrev_b32_e32 v51, 16, v46
.LBB921_421:                            ;   in Loop: Header=BB921_213 Depth=1
	s_or_b64 exec, exec, s[16:17]
.LBB921_422:                            ;   in Loop: Header=BB921_213 Depth=1
	s_or_b64 exec, exec, s[14:15]
.LBB921_423:                            ;   in Loop: Header=BB921_213 Depth=1
	s_or_b64 exec, exec, s[12:13]
	v_cmp_lt_u32_e32 vcc, s22, v44
	v_mov_b32_e32 v52, 0
	v_mov_b32_e32 v53, 0
	s_and_saveexec_b64 s[12:13], vcc
	s_cbranch_execz .LBB921_429
; %bb.424:                              ;   in Loop: Header=BB921_213 Depth=1
	v_lshrrev_b32_e32 v46, 24, v44
	v_cmp_ne_u32_e32 vcc, s9, v46
	v_mov_b32_e32 v53, 0xffff8000
	s_and_saveexec_b64 s[14:15], vcc
	s_cbranch_execz .LBB921_428
; %bb.425:                              ;   in Loop: Header=BB921_213 Depth=1
	v_bfe_u32 v44, v44, 24, 7
	v_cmp_ne_u32_e32 vcc, s21, v44
	v_mov_b32_e32 v53, 0x7f80
	s_and_saveexec_b64 s[16:17], vcc
	s_cbranch_execz .LBB921_427
; %bb.426:                              ;   in Loop: Header=BB921_213 Depth=1
	v_and_b32_e32 v53, 7, v46
	v_ffbh_u32_e32 v60, v53
	v_min_u32_e32 v63, 32, v60
	v_subrev_u32_e32 v60, 28, v63
	v_lshlrev_b64 v[60:61], v60, v[46:47]
	v_lshrrev_b32_e32 v62, 3, v44
	v_sub_u32_e32 v61, 29, v63
	v_and_b32_e32 v60, 7, v60
	v_cmp_gt_u32_e32 vcc, 8, v44
	v_cndmask_b32_e32 v44, v62, v61, vcc
	v_cndmask_b32_e32 v53, v53, v60, vcc
	v_lshlrev_b32_e32 v46, 24, v46
	v_lshlrev_b32_e32 v53, 20, v53
	v_and_b32_e32 v46, 0x80000000, v46
	v_lshl_add_u32 v44, v44, 23, v48
	v_or3_b32 v44, v46, v44, v53
	v_lshrrev_b32_e32 v53, 16, v44
.LBB921_427:                            ;   in Loop: Header=BB921_213 Depth=1
	s_or_b64 exec, exec, s[16:17]
.LBB921_428:                            ;   in Loop: Header=BB921_213 Depth=1
	s_or_b64 exec, exec, s[14:15]
.LBB921_429:                            ;   in Loop: Header=BB921_213 Depth=1
	s_or_b64 exec, exec, s[12:13]
	s_waitcnt vmcnt(2)
	v_cmp_ne_u16_sdwa s[14:15], v42, v47 src0_sel:BYTE_0 src1_sel:DWORD
	s_and_saveexec_b64 s[12:13], s[14:15]
	s_cbranch_execz .LBB921_435
; %bb.430:                              ;   in Loop: Header=BB921_213 Depth=1
	v_cmp_ne_u16_sdwa s[16:17], v42, s9 src0_sel:BYTE_0 src1_sel:DWORD
	v_mov_b32_e32 v52, 0xffff8000
	s_and_saveexec_b64 s[14:15], s[16:17]
	s_cbranch_execz .LBB921_434
; %bb.431:                              ;   in Loop: Header=BB921_213 Depth=1
	v_and_b32_e32 v44, 0x7f, v42
	v_cmp_ne_u32_e32 vcc, s21, v44
	v_mov_b32_e32 v52, 0x7f80
	s_and_saveexec_b64 s[16:17], vcc
	s_cbranch_execz .LBB921_433
; %bb.432:                              ;   in Loop: Header=BB921_213 Depth=1
	v_and_b32_e32 v46, 7, v42
	v_ffbh_u32_e32 v60, v46
	v_min_u32_e32 v62, 32, v60
	v_subrev_u32_e32 v60, 28, v62
	v_lshlrev_b64 v[60:61], v60, v[42:43]
	v_lshrrev_b32_e32 v52, 3, v44
	v_sub_u32_e32 v61, 29, v62
	v_and_b32_e32 v60, 7, v60
	v_cmp_gt_u32_e32 vcc, 8, v44
	v_cndmask_b32_e32 v44, v52, v61, vcc
	v_cndmask_b32_e32 v46, v46, v60, vcc
	v_lshlrev_b32_e32 v52, 24, v42
	v_lshlrev_b32_e32 v46, 20, v46
	v_and_b32_e32 v52, 0x80000000, v52
	v_lshl_add_u32 v44, v44, 23, v48
	v_or3_b32 v44, v52, v44, v46
	v_lshrrev_b32_e32 v52, 16, v44
.LBB921_433:                            ;   in Loop: Header=BB921_213 Depth=1
	s_or_b64 exec, exec, s[16:17]
.LBB921_434:                            ;   in Loop: Header=BB921_213 Depth=1
	s_or_b64 exec, exec, s[14:15]
.LBB921_435:                            ;   in Loop: Header=BB921_213 Depth=1
	s_or_b64 exec, exec, s[12:13]
	v_lshrrev_b16_e32 v44, 8, v42
	v_cmp_ne_u16_e32 vcc, 0, v44
	v_mov_b32_e32 v61, 0
	v_mov_b32_e32 v60, 0
	s_and_saveexec_b64 s[12:13], vcc
	s_cbranch_execz .LBB921_441
; %bb.436:                              ;   in Loop: Header=BB921_213 Depth=1
	v_cmp_ne_u16_e32 vcc, s9, v44
	v_mov_b32_e32 v60, 0xffff8000
	s_and_saveexec_b64 s[14:15], vcc
	s_cbranch_execz .LBB921_440
; %bb.437:                              ;   in Loop: Header=BB921_213 Depth=1
	v_and_b32_e32 v46, 0x7f, v44
	v_cmp_ne_u32_e32 vcc, s21, v46
	v_mov_b32_e32 v60, 0x7f80
	s_and_saveexec_b64 s[16:17], vcc
	s_cbranch_execz .LBB921_439
; %bb.438:                              ;   in Loop: Header=BB921_213 Depth=1
	v_and_b32_e32 v60, 7, v44
	v_ffbh_u32_e32 v62, v60
	v_min_u32_e32 v65, 32, v62
	v_subrev_u32_e32 v62, 28, v65
	v_lshlrev_b64 v[62:63], v62, v[44:45]
	v_lshrrev_b32_e32 v64, 3, v46
	v_sub_u32_e32 v44, 29, v65
	v_and_b32_e32 v62, 7, v62
	v_cmp_gt_u32_e32 vcc, 8, v46
	v_cndmask_b32_e32 v44, v64, v44, vcc
	v_cndmask_b32_e32 v46, v60, v62, vcc
	v_lshlrev_b32_e32 v60, 16, v42
	v_lshlrev_b32_e32 v46, 20, v46
	v_and_b32_e32 v60, 0x80000000, v60
	v_lshl_add_u32 v44, v44, 23, v48
	v_or3_b32 v44, v60, v44, v46
	v_lshrrev_b32_e32 v60, 16, v44
.LBB921_439:                            ;   in Loop: Header=BB921_213 Depth=1
	s_or_b64 exec, exec, s[16:17]
.LBB921_440:                            ;   in Loop: Header=BB921_213 Depth=1
	s_or_b64 exec, exec, s[14:15]
.LBB921_441:                            ;   in Loop: Header=BB921_213 Depth=1
	s_or_b64 exec, exec, s[12:13]
	v_lshrrev_b32_e32 v44, 16, v42
	v_cmp_ne_u16_sdwa s[14:15], v44, v47 src0_sel:BYTE_0 src1_sel:DWORD
	s_and_saveexec_b64 s[12:13], s[14:15]
	s_cbranch_execz .LBB921_447
; %bb.442:                              ;   in Loop: Header=BB921_213 Depth=1
	v_cmp_ne_u16_sdwa s[16:17], v44, s9 src0_sel:BYTE_0 src1_sel:DWORD
	v_mov_b32_e32 v61, 0xffff8000
	s_and_saveexec_b64 s[14:15], s[16:17]
	s_cbranch_execz .LBB921_446
; %bb.443:                              ;   in Loop: Header=BB921_213 Depth=1
	v_bfe_u32 v46, v42, 16, 7
	v_cmp_ne_u32_e32 vcc, s21, v46
	v_mov_b32_e32 v61, 0x7f80
	s_and_saveexec_b64 s[16:17], vcc
	s_cbranch_execz .LBB921_445
; %bb.444:                              ;   in Loop: Header=BB921_213 Depth=1
	v_and_b32_e32 v61, 7, v44
	v_ffbh_u32_e32 v62, v61
	v_min_u32_e32 v65, 32, v62
	v_subrev_u32_e32 v62, 28, v65
	v_lshlrev_b64 v[62:63], v62, v[44:45]
	v_lshrrev_b32_e32 v64, 3, v46
	v_sub_u32_e32 v63, 29, v65
	v_and_b32_e32 v62, 7, v62
	v_cmp_gt_u32_e32 vcc, 8, v46
	v_cndmask_b32_e32 v46, v64, v63, vcc
	v_cndmask_b32_e32 v61, v61, v62, vcc
	v_lshlrev_b32_e32 v44, 24, v44
	v_lshlrev_b32_e32 v61, 20, v61
	v_and_b32_e32 v44, 0x80000000, v44
	v_lshl_add_u32 v46, v46, 23, v48
	v_or3_b32 v44, v44, v46, v61
	v_lshrrev_b32_e32 v61, 16, v44
.LBB921_445:                            ;   in Loop: Header=BB921_213 Depth=1
	s_or_b64 exec, exec, s[16:17]
.LBB921_446:                            ;   in Loop: Header=BB921_213 Depth=1
	s_or_b64 exec, exec, s[14:15]
.LBB921_447:                            ;   in Loop: Header=BB921_213 Depth=1
	s_or_b64 exec, exec, s[12:13]
	v_cmp_lt_u32_e32 vcc, s22, v42
	v_mov_b32_e32 v46, 0
	v_mov_b32_e32 v62, 0
	s_and_saveexec_b64 s[12:13], vcc
	s_cbranch_execz .LBB921_453
; %bb.448:                              ;   in Loop: Header=BB921_213 Depth=1
	v_lshrrev_b32_e32 v44, 24, v42
	v_cmp_ne_u32_e32 vcc, s9, v44
	v_mov_b32_e32 v62, 0xffff8000
	s_and_saveexec_b64 s[14:15], vcc
	s_cbranch_execz .LBB921_452
; %bb.449:                              ;   in Loop: Header=BB921_213 Depth=1
	v_bfe_u32 v42, v42, 24, 7
	v_cmp_ne_u32_e32 vcc, s21, v42
	v_mov_b32_e32 v62, 0x7f80
	s_and_saveexec_b64 s[16:17], vcc
	s_cbranch_execz .LBB921_451
; %bb.450:                              ;   in Loop: Header=BB921_213 Depth=1
	v_and_b32_e32 v64, 7, v44
	v_ffbh_u32_e32 v62, v64
	v_min_u32_e32 v66, 32, v62
	v_subrev_u32_e32 v62, 28, v66
	v_lshlrev_b64 v[62:63], v62, v[44:45]
	v_lshrrev_b32_e32 v65, 3, v42
	v_sub_u32_e32 v63, 29, v66
	v_and_b32_e32 v62, 7, v62
	v_cmp_gt_u32_e32 vcc, 8, v42
	v_cndmask_b32_e32 v42, v65, v63, vcc
	v_cndmask_b32_e32 v62, v64, v62, vcc
	v_lshlrev_b32_e32 v44, 24, v44
	v_lshlrev_b32_e32 v62, 20, v62
	v_and_b32_e32 v44, 0x80000000, v44
	v_lshl_add_u32 v42, v42, 23, v48
	v_or3_b32 v42, v44, v42, v62
	v_lshrrev_b32_e32 v62, 16, v42
.LBB921_451:                            ;   in Loop: Header=BB921_213 Depth=1
	s_or_b64 exec, exec, s[16:17]
.LBB921_452:                            ;   in Loop: Header=BB921_213 Depth=1
	s_or_b64 exec, exec, s[14:15]
.LBB921_453:                            ;   in Loop: Header=BB921_213 Depth=1
	s_or_b64 exec, exec, s[12:13]
	v_perm_b32 v51, v53, v51, s23
	v_perm_b32 v50, v50, v49, s23
	s_waitcnt vmcnt(1)
	v_cmp_ne_u16_sdwa s[14:15], v40, v47 src0_sel:BYTE_0 src1_sel:DWORD
	v_mfma_f32_16x16x16bf16_1k v[34:37], v[50:51], v[18:19], v[34:37]
	v_perm_b32 v51, v62, v61, s23
	v_perm_b32 v50, v60, v52, s23
	s_nop 1
	v_mfma_f32_16x16x16bf16_1k v[34:37], v[50:51], v[20:21], v[34:37]
	s_and_saveexec_b64 s[12:13], s[14:15]
	s_cbranch_execz .LBB921_459
; %bb.454:                              ;   in Loop: Header=BB921_213 Depth=1
	v_cmp_ne_u16_sdwa s[16:17], v40, s9 src0_sel:BYTE_0 src1_sel:DWORD
	v_mov_b32_e32 v46, 0xffff8000
	s_and_saveexec_b64 s[14:15], s[16:17]
	s_cbranch_execz .LBB921_458
; %bb.455:                              ;   in Loop: Header=BB921_213 Depth=1
	v_and_b32_e32 v42, 0x7f, v40
	v_cmp_ne_u32_e32 vcc, s21, v42
	v_mov_b32_e32 v46, 0x7f80
	s_and_saveexec_b64 s[16:17], vcc
	s_cbranch_execz .LBB921_457
; %bb.456:                              ;   in Loop: Header=BB921_213 Depth=1
	v_and_b32_e32 v44, 7, v40
	v_ffbh_u32_e32 v49, v44
	v_min_u32_e32 v49, 32, v49
	v_subrev_u32_e32 v50, 28, v49
	v_lshlrev_b64 v[50:51], v50, v[40:41]
	v_lshrrev_b32_e32 v46, 3, v42
	v_sub_u32_e32 v49, 29, v49
	v_and_b32_e32 v50, 7, v50
	v_cmp_gt_u32_e32 vcc, 8, v42
	v_cndmask_b32_e32 v42, v46, v49, vcc
	v_cndmask_b32_e32 v44, v44, v50, vcc
	v_lshlrev_b32_e32 v46, 24, v40
	v_lshlrev_b32_e32 v44, 20, v44
	v_and_b32_e32 v46, 0x80000000, v46
	v_lshl_add_u32 v42, v42, 23, v48
	v_or3_b32 v42, v46, v42, v44
	v_lshrrev_b32_e32 v46, 16, v42
.LBB921_457:                            ;   in Loop: Header=BB921_213 Depth=1
	s_or_b64 exec, exec, s[16:17]
.LBB921_458:                            ;   in Loop: Header=BB921_213 Depth=1
	s_or_b64 exec, exec, s[14:15]
.LBB921_459:                            ;   in Loop: Header=BB921_213 Depth=1
	s_or_b64 exec, exec, s[12:13]
	v_lshrrev_b16_e32 v42, 8, v40
	v_cmp_ne_u16_e32 vcc, 0, v42
	v_mov_b32_e32 v50, 0
	v_mov_b32_e32 v44, 0
	s_and_saveexec_b64 s[12:13], vcc
	s_cbranch_execz .LBB921_465
; %bb.460:                              ;   in Loop: Header=BB921_213 Depth=1
	v_cmp_ne_u16_e32 vcc, s9, v42
	v_mov_b32_e32 v44, 0xffff8000
	s_and_saveexec_b64 s[14:15], vcc
	s_cbranch_execz .LBB921_464
; %bb.461:                              ;   in Loop: Header=BB921_213 Depth=1
	v_and_b32_e32 v49, 0x7f, v42
	v_cmp_ne_u32_e32 vcc, s21, v49
	v_mov_b32_e32 v44, 0x7f80
	s_and_saveexec_b64 s[16:17], vcc
	s_cbranch_execz .LBB921_463
; %bb.462:                              ;   in Loop: Header=BB921_213 Depth=1
	v_and_b32_e32 v44, 7, v42
	v_ffbh_u32_e32 v52, v44
	v_min_u32_e32 v60, 32, v52
	v_subrev_u32_e32 v52, 28, v60
	v_lshlrev_b64 v[52:53], v52, v[42:43]
	v_lshrrev_b32_e32 v51, 3, v49
	v_sub_u32_e32 v42, 29, v60
	v_and_b32_e32 v52, 7, v52
	v_cmp_gt_u32_e32 vcc, 8, v49
	v_cndmask_b32_e32 v42, v51, v42, vcc
	v_cndmask_b32_e32 v44, v44, v52, vcc
	v_lshlrev_b32_e32 v49, 16, v40
	v_lshlrev_b32_e32 v44, 20, v44
	v_and_b32_e32 v49, 0x80000000, v49
	v_lshl_add_u32 v42, v42, 23, v48
	v_or3_b32 v42, v49, v42, v44
	v_lshrrev_b32_e32 v44, 16, v42
.LBB921_463:                            ;   in Loop: Header=BB921_213 Depth=1
	s_or_b64 exec, exec, s[16:17]
.LBB921_464:                            ;   in Loop: Header=BB921_213 Depth=1
	s_or_b64 exec, exec, s[14:15]
.LBB921_465:                            ;   in Loop: Header=BB921_213 Depth=1
	s_or_b64 exec, exec, s[12:13]
	v_lshrrev_b32_e32 v42, 16, v40
	v_cmp_ne_u16_sdwa s[14:15], v42, v47 src0_sel:BYTE_0 src1_sel:DWORD
	s_and_saveexec_b64 s[12:13], s[14:15]
	s_cbranch_execz .LBB921_471
; %bb.466:                              ;   in Loop: Header=BB921_213 Depth=1
	v_cmp_ne_u16_sdwa s[16:17], v42, s9 src0_sel:BYTE_0 src1_sel:DWORD
	v_mov_b32_e32 v50, 0xffff8000
	s_and_saveexec_b64 s[14:15], s[16:17]
	s_cbranch_execz .LBB921_470
; %bb.467:                              ;   in Loop: Header=BB921_213 Depth=1
	v_bfe_u32 v49, v40, 16, 7
	v_cmp_ne_u32_e32 vcc, s21, v49
	v_mov_b32_e32 v50, 0x7f80
	s_and_saveexec_b64 s[16:17], vcc
	s_cbranch_execz .LBB921_469
; %bb.468:                              ;   in Loop: Header=BB921_213 Depth=1
	v_and_b32_e32 v52, 7, v42
	v_ffbh_u32_e32 v50, v52
	v_min_u32_e32 v60, 32, v50
	v_subrev_u32_e32 v50, 28, v60
	v_lshlrev_b64 v[50:51], v50, v[42:43]
	v_lshrrev_b32_e32 v53, 3, v49
	v_sub_u32_e32 v51, 29, v60
	v_and_b32_e32 v50, 7, v50
	v_cmp_gt_u32_e32 vcc, 8, v49
	v_cndmask_b32_e32 v49, v53, v51, vcc
	v_cndmask_b32_e32 v50, v52, v50, vcc
	v_lshlrev_b32_e32 v42, 24, v42
	v_lshlrev_b32_e32 v50, 20, v50
	v_and_b32_e32 v42, 0x80000000, v42
	v_lshl_add_u32 v49, v49, 23, v48
	v_or3_b32 v42, v42, v49, v50
	v_lshrrev_b32_e32 v50, 16, v42
.LBB921_469:                            ;   in Loop: Header=BB921_213 Depth=1
	s_or_b64 exec, exec, s[16:17]
.LBB921_470:                            ;   in Loop: Header=BB921_213 Depth=1
	s_or_b64 exec, exec, s[14:15]
.LBB921_471:                            ;   in Loop: Header=BB921_213 Depth=1
	s_or_b64 exec, exec, s[12:13]
	v_cmp_lt_u32_e32 vcc, s22, v40
	v_mov_b32_e32 v51, 0
	v_mov_b32_e32 v52, 0
	s_and_saveexec_b64 s[12:13], vcc
	s_cbranch_execz .LBB921_477
; %bb.472:                              ;   in Loop: Header=BB921_213 Depth=1
	v_lshrrev_b32_e32 v42, 24, v40
	v_cmp_ne_u32_e32 vcc, s9, v42
	v_mov_b32_e32 v52, 0xffff8000
	s_and_saveexec_b64 s[14:15], vcc
	s_cbranch_execz .LBB921_476
; %bb.473:                              ;   in Loop: Header=BB921_213 Depth=1
	v_bfe_u32 v40, v40, 24, 7
	v_cmp_ne_u32_e32 vcc, s21, v40
	v_mov_b32_e32 v52, 0x7f80
	s_and_saveexec_b64 s[16:17], vcc
	s_cbranch_execz .LBB921_475
; %bb.474:                              ;   in Loop: Header=BB921_213 Depth=1
	v_and_b32_e32 v49, 7, v42
	v_ffbh_u32_e32 v52, v49
	v_min_u32_e32 v61, 32, v52
	v_subrev_u32_e32 v52, 28, v61
	v_lshlrev_b64 v[52:53], v52, v[42:43]
	v_lshrrev_b32_e32 v60, 3, v40
	v_sub_u32_e32 v53, 29, v61
	v_and_b32_e32 v52, 7, v52
	v_cmp_gt_u32_e32 vcc, 8, v40
	v_cndmask_b32_e32 v40, v60, v53, vcc
	v_cndmask_b32_e32 v49, v49, v52, vcc
	v_lshlrev_b32_e32 v42, 24, v42
	v_lshlrev_b32_e32 v49, 20, v49
	v_and_b32_e32 v42, 0x80000000, v42
	v_lshl_add_u32 v40, v40, 23, v48
	v_or3_b32 v40, v42, v40, v49
	v_lshrrev_b32_e32 v52, 16, v40
.LBB921_475:                            ;   in Loop: Header=BB921_213 Depth=1
	s_or_b64 exec, exec, s[16:17]
.LBB921_476:                            ;   in Loop: Header=BB921_213 Depth=1
	s_or_b64 exec, exec, s[14:15]
.LBB921_477:                            ;   in Loop: Header=BB921_213 Depth=1
	s_or_b64 exec, exec, s[12:13]
	s_waitcnt vmcnt(0)
	v_cmp_ne_u16_sdwa s[14:15], v38, v47 src0_sel:BYTE_0 src1_sel:DWORD
	s_and_saveexec_b64 s[12:13], s[14:15]
	s_cbranch_execz .LBB921_483
; %bb.478:                              ;   in Loop: Header=BB921_213 Depth=1
	v_cmp_ne_u16_sdwa s[16:17], v38, s9 src0_sel:BYTE_0 src1_sel:DWORD
	v_mov_b32_e32 v51, 0xffff8000
	s_and_saveexec_b64 s[14:15], s[16:17]
	s_cbranch_execz .LBB921_482
; %bb.479:                              ;   in Loop: Header=BB921_213 Depth=1
	v_and_b32_e32 v40, 0x7f, v38
	v_cmp_ne_u32_e32 vcc, s21, v40
	v_mov_b32_e32 v51, 0x7f80
	s_and_saveexec_b64 s[16:17], vcc
	s_cbranch_execz .LBB921_481
; %bb.480:                              ;   in Loop: Header=BB921_213 Depth=1
	v_and_b32_e32 v42, 7, v38
	v_ffbh_u32_e32 v51, v42
	v_min_u32_e32 v51, 32, v51
	v_subrev_u32_e32 v53, 28, v51
	v_lshlrev_b64 v[60:61], v53, v[38:39]
	v_lshrrev_b32_e32 v49, 3, v40
	v_sub_u32_e32 v51, 29, v51
	v_and_b32_e32 v53, 7, v60
	v_cmp_gt_u32_e32 vcc, 8, v40
	v_cndmask_b32_e32 v40, v49, v51, vcc
	v_cndmask_b32_e32 v42, v42, v53, vcc
	v_lshlrev_b32_e32 v49, 24, v38
	v_lshlrev_b32_e32 v42, 20, v42
	v_and_b32_e32 v49, 0x80000000, v49
	v_lshl_add_u32 v40, v40, 23, v48
	v_or3_b32 v40, v49, v40, v42
	v_lshrrev_b32_e32 v51, 16, v40
.LBB921_481:                            ;   in Loop: Header=BB921_213 Depth=1
	s_or_b64 exec, exec, s[16:17]
.LBB921_482:                            ;   in Loop: Header=BB921_213 Depth=1
	s_or_b64 exec, exec, s[14:15]
.LBB921_483:                            ;   in Loop: Header=BB921_213 Depth=1
	s_or_b64 exec, exec, s[12:13]
	v_lshrrev_b16_e32 v40, 8, v38
	v_cmp_ne_u16_e32 vcc, 0, v40
	v_mov_b32_e32 v60, 0
	v_mov_b32_e32 v53, 0
	s_and_saveexec_b64 s[12:13], vcc
	s_cbranch_execz .LBB921_489
; %bb.484:                              ;   in Loop: Header=BB921_213 Depth=1
	v_cmp_ne_u16_e32 vcc, s9, v40
	v_mov_b32_e32 v53, 0xffff8000
	s_and_saveexec_b64 s[14:15], vcc
	s_cbranch_execz .LBB921_488
; %bb.485:                              ;   in Loop: Header=BB921_213 Depth=1
	v_and_b32_e32 v42, 0x7f, v40
	v_cmp_ne_u32_e32 vcc, s21, v42
	v_mov_b32_e32 v53, 0x7f80
	s_and_saveexec_b64 s[16:17], vcc
	s_cbranch_execz .LBB921_487
; %bb.486:                              ;   in Loop: Header=BB921_213 Depth=1
	v_and_b32_e32 v49, 7, v40
	v_ffbh_u32_e32 v61, v49
	v_min_u32_e32 v61, 32, v61
	v_subrev_u32_e32 v62, 28, v61
	v_lshlrev_b64 v[62:63], v62, v[40:41]
	v_lshrrev_b32_e32 v53, 3, v42
	v_sub_u32_e32 v40, 29, v61
	v_and_b32_e32 v61, 7, v62
	v_cmp_gt_u32_e32 vcc, 8, v42
	v_cndmask_b32_e32 v40, v53, v40, vcc
	v_cndmask_b32_e32 v42, v49, v61, vcc
	v_lshlrev_b32_e32 v49, 16, v38
	v_lshlrev_b32_e32 v42, 20, v42
	v_and_b32_e32 v49, 0x80000000, v49
	v_lshl_add_u32 v40, v40, 23, v48
	v_or3_b32 v40, v49, v40, v42
	v_lshrrev_b32_e32 v53, 16, v40
.LBB921_487:                            ;   in Loop: Header=BB921_213 Depth=1
	s_or_b64 exec, exec, s[16:17]
.LBB921_488:                            ;   in Loop: Header=BB921_213 Depth=1
	s_or_b64 exec, exec, s[14:15]
.LBB921_489:                            ;   in Loop: Header=BB921_213 Depth=1
	s_or_b64 exec, exec, s[12:13]
	v_lshrrev_b32_e32 v40, 16, v38
	v_cmp_ne_u16_sdwa s[14:15], v40, v47 src0_sel:BYTE_0 src1_sel:DWORD
	s_and_saveexec_b64 s[12:13], s[14:15]
	s_cbranch_execz .LBB921_495
; %bb.490:                              ;   in Loop: Header=BB921_213 Depth=1
	v_cmp_ne_u16_sdwa s[16:17], v40, s9 src0_sel:BYTE_0 src1_sel:DWORD
	v_mov_b32_e32 v60, 0xffff8000
	s_and_saveexec_b64 s[14:15], s[16:17]
	s_cbranch_execz .LBB921_494
; %bb.491:                              ;   in Loop: Header=BB921_213 Depth=1
	v_bfe_u32 v42, v38, 16, 7
	v_cmp_ne_u32_e32 vcc, s21, v42
	v_mov_b32_e32 v60, 0x7f80
	s_and_saveexec_b64 s[16:17], vcc
	s_cbranch_execz .LBB921_493
; %bb.492:                              ;   in Loop: Header=BB921_213 Depth=1
	v_and_b32_e32 v49, 7, v40
	v_ffbh_u32_e32 v60, v49
	v_min_u32_e32 v63, 32, v60
	v_subrev_u32_e32 v60, 28, v63
	v_lshlrev_b64 v[60:61], v60, v[40:41]
	v_lshrrev_b32_e32 v62, 3, v42
	v_sub_u32_e32 v61, 29, v63
	v_and_b32_e32 v60, 7, v60
	v_cmp_gt_u32_e32 vcc, 8, v42
	v_cndmask_b32_e32 v42, v62, v61, vcc
	v_cndmask_b32_e32 v49, v49, v60, vcc
	v_lshlrev_b32_e32 v40, 24, v40
	v_lshlrev_b32_e32 v49, 20, v49
	v_and_b32_e32 v40, 0x80000000, v40
	v_lshl_add_u32 v42, v42, 23, v48
	v_or3_b32 v40, v40, v42, v49
	v_lshrrev_b32_e32 v60, 16, v40
.LBB921_493:                            ;   in Loop: Header=BB921_213 Depth=1
	s_or_b64 exec, exec, s[16:17]
.LBB921_494:                            ;   in Loop: Header=BB921_213 Depth=1
	s_or_b64 exec, exec, s[14:15]
.LBB921_495:                            ;   in Loop: Header=BB921_213 Depth=1
	s_or_b64 exec, exec, s[12:13]
	v_cmp_lt_u32_e32 vcc, s22, v38
	v_mov_b32_e32 v49, 0
	v_mov_b32_e32 v61, 0
	s_and_saveexec_b64 s[12:13], vcc
	s_cbranch_execz .LBB921_501
; %bb.496:                              ;   in Loop: Header=BB921_213 Depth=1
	v_lshrrev_b32_e32 v40, 24, v38
	v_cmp_ne_u32_e32 vcc, s9, v40
	v_mov_b32_e32 v61, 0xffff8000
	s_and_saveexec_b64 s[14:15], vcc
	s_cbranch_execz .LBB921_500
; %bb.497:                              ;   in Loop: Header=BB921_213 Depth=1
	v_bfe_u32 v38, v38, 24, 7
	v_cmp_ne_u32_e32 vcc, s21, v38
	v_mov_b32_e32 v61, 0x7f80
	s_and_saveexec_b64 s[16:17], vcc
	s_cbranch_execz .LBB921_499
; %bb.498:                              ;   in Loop: Header=BB921_213 Depth=1
	v_and_b32_e32 v42, 7, v40
	v_ffbh_u32_e32 v62, v42
	v_min_u32_e32 v64, 32, v62
	v_subrev_u32_e32 v62, 28, v64
	v_lshlrev_b64 v[62:63], v62, v[40:41]
	v_lshrrev_b32_e32 v61, 3, v38
	v_sub_u32_e32 v63, 29, v64
	v_and_b32_e32 v62, 7, v62
	v_cmp_gt_u32_e32 vcc, 8, v38
	v_cndmask_b32_e32 v38, v61, v63, vcc
	v_cndmask_b32_e32 v42, v42, v62, vcc
	v_lshlrev_b32_e32 v40, 24, v40
	v_lshlrev_b32_e32 v42, 20, v42
	v_and_b32_e32 v40, 0x80000000, v40
	v_lshl_add_u32 v38, v38, 23, v48
	v_or3_b32 v38, v40, v38, v42
	v_lshrrev_b32_e32 v61, 16, v38
.LBB921_499:                            ;   in Loop: Header=BB921_213 Depth=1
	s_or_b64 exec, exec, s[16:17]
.LBB921_500:                            ;   in Loop: Header=BB921_213 Depth=1
	s_or_b64 exec, exec, s[14:15]
.LBB921_501:                            ;   in Loop: Header=BB921_213 Depth=1
	s_or_b64 exec, exec, s[12:13]
	v_perm_b32 v62, v44, v46, s23
	buffer_load_dword v44, v59, s[0:3], 0 offen
	buffer_load_dword v42, v59, s[0:3], 0 offen offset:4
	buffer_load_dword v40, v59, s[0:3], 0 offen offset:8
	;; [unrolled: 1-line block ×3, first 2 shown]
	v_perm_b32 v63, v52, v50, s23
	v_perm_b32 v61, v61, v60, s23
	v_perm_b32 v60, v53, v51, s23
	v_mfma_f32_16x16x16bf16_1k v[34:37], v[62:63], v[22:23], v[34:37]
	s_waitcnt vmcnt(3)
	v_cmp_ne_u16_sdwa s[14:15], v44, v47 src0_sel:BYTE_0 src1_sel:DWORD
	v_mfma_f32_16x16x16bf16_1k v[34:37], v[60:61], v[24:25], v[34:37]
	s_and_saveexec_b64 s[12:13], s[14:15]
	s_cbranch_execz .LBB921_507
; %bb.502:                              ;   in Loop: Header=BB921_213 Depth=1
	v_cmp_ne_u16_sdwa s[16:17], v44, s9 src0_sel:BYTE_0 src1_sel:DWORD
	v_mov_b32_e32 v49, 0xffff8000
	s_and_saveexec_b64 s[14:15], s[16:17]
	s_cbranch_execz .LBB921_506
; %bb.503:                              ;   in Loop: Header=BB921_213 Depth=1
	v_and_b32_e32 v46, 0x7f, v44
	v_cmp_ne_u32_e32 vcc, s21, v46
	v_mov_b32_e32 v49, 0x7f80
	s_and_saveexec_b64 s[16:17], vcc
	s_cbranch_execz .LBB921_505
; %bb.504:                              ;   in Loop: Header=BB921_213 Depth=1
	v_and_b32_e32 v49, 7, v44
	v_ffbh_u32_e32 v50, v49
	v_min_u32_e32 v53, 32, v50
	v_subrev_u32_e32 v50, 28, v53
	v_lshlrev_b64 v[50:51], v50, v[44:45]
	v_lshrrev_b32_e32 v52, 3, v46
	v_sub_u32_e32 v51, 29, v53
	v_and_b32_e32 v50, 7, v50
	v_cmp_gt_u32_e32 vcc, 8, v46
	v_cndmask_b32_e32 v46, v52, v51, vcc
	v_cndmask_b32_e32 v49, v49, v50, vcc
	v_lshlrev_b32_e32 v50, 24, v44
	v_lshlrev_b32_e32 v49, 20, v49
	v_and_b32_e32 v50, 0x80000000, v50
	v_lshl_add_u32 v46, v46, 23, v48
	v_or3_b32 v46, v50, v46, v49
	v_lshrrev_b32_e32 v49, 16, v46
.LBB921_505:                            ;   in Loop: Header=BB921_213 Depth=1
	s_or_b64 exec, exec, s[16:17]
.LBB921_506:                            ;   in Loop: Header=BB921_213 Depth=1
	s_or_b64 exec, exec, s[14:15]
.LBB921_507:                            ;   in Loop: Header=BB921_213 Depth=1
	s_or_b64 exec, exec, s[12:13]
	v_lshrrev_b16_e32 v46, 8, v44
	v_cmp_ne_u16_e32 vcc, 0, v46
	v_mov_b32_e32 v51, 0
	v_mov_b32_e32 v50, 0
	s_and_saveexec_b64 s[12:13], vcc
	s_cbranch_execz .LBB921_513
; %bb.508:                              ;   in Loop: Header=BB921_213 Depth=1
	v_cmp_ne_u16_e32 vcc, s9, v46
	v_mov_b32_e32 v50, 0xffff8000
	s_and_saveexec_b64 s[14:15], vcc
	s_cbranch_execz .LBB921_512
; %bb.509:                              ;   in Loop: Header=BB921_213 Depth=1
	v_and_b32_e32 v52, 0x7f, v46
	v_cmp_ne_u32_e32 vcc, s21, v52
	v_mov_b32_e32 v50, 0x7f80
	s_and_saveexec_b64 s[16:17], vcc
	s_cbranch_execz .LBB921_511
; %bb.510:                              ;   in Loop: Header=BB921_213 Depth=1
	v_and_b32_e32 v50, 7, v46
	v_ffbh_u32_e32 v59, v50
	v_min_u32_e32 v59, 32, v59
	v_subrev_u32_e32 v60, 28, v59
	v_lshlrev_b64 v[60:61], v60, v[46:47]
	v_lshrrev_b32_e32 v53, 3, v52
	v_sub_u32_e32 v46, 29, v59
	v_and_b32_e32 v59, 7, v60
	v_cmp_gt_u32_e32 vcc, 8, v52
	v_cndmask_b32_e32 v46, v53, v46, vcc
	v_cndmask_b32_e32 v50, v50, v59, vcc
	v_lshlrev_b32_e32 v52, 16, v44
	v_lshlrev_b32_e32 v50, 20, v50
	v_and_b32_e32 v52, 0x80000000, v52
	v_lshl_add_u32 v46, v46, 23, v48
	v_or3_b32 v46, v52, v46, v50
	v_lshrrev_b32_e32 v50, 16, v46
.LBB921_511:                            ;   in Loop: Header=BB921_213 Depth=1
	s_or_b64 exec, exec, s[16:17]
.LBB921_512:                            ;   in Loop: Header=BB921_213 Depth=1
	s_or_b64 exec, exec, s[14:15]
.LBB921_513:                            ;   in Loop: Header=BB921_213 Depth=1
	s_or_b64 exec, exec, s[12:13]
	v_lshrrev_b32_e32 v46, 16, v44
	v_cmp_ne_u16_sdwa s[14:15], v46, v47 src0_sel:BYTE_0 src1_sel:DWORD
	s_and_saveexec_b64 s[12:13], s[14:15]
	s_cbranch_execz .LBB921_519
; %bb.514:                              ;   in Loop: Header=BB921_213 Depth=1
	v_cmp_ne_u16_sdwa s[16:17], v46, s9 src0_sel:BYTE_0 src1_sel:DWORD
	v_mov_b32_e32 v51, 0xffff8000
	s_and_saveexec_b64 s[14:15], s[16:17]
	s_cbranch_execz .LBB921_518
; %bb.515:                              ;   in Loop: Header=BB921_213 Depth=1
	v_bfe_u32 v52, v44, 16, 7
	v_cmp_ne_u32_e32 vcc, s21, v52
	v_mov_b32_e32 v51, 0x7f80
	s_and_saveexec_b64 s[16:17], vcc
	s_cbranch_execz .LBB921_517
; %bb.516:                              ;   in Loop: Header=BB921_213 Depth=1
	v_and_b32_e32 v51, 7, v46
	v_ffbh_u32_e32 v59, v51
	v_min_u32_e32 v59, 32, v59
	v_subrev_u32_e32 v60, 28, v59
	v_lshlrev_b64 v[60:61], v60, v[46:47]
	v_lshrrev_b32_e32 v53, 3, v52
	v_sub_u32_e32 v59, 29, v59
	v_and_b32_e32 v60, 7, v60
	v_cmp_gt_u32_e32 vcc, 8, v52
	v_cndmask_b32_e32 v52, v53, v59, vcc
	v_cndmask_b32_e32 v51, v51, v60, vcc
	v_lshlrev_b32_e32 v46, 24, v46
	v_lshlrev_b32_e32 v51, 20, v51
	v_and_b32_e32 v46, 0x80000000, v46
	v_lshl_add_u32 v52, v52, 23, v48
	v_or3_b32 v46, v46, v52, v51
	v_lshrrev_b32_e32 v51, 16, v46
.LBB921_517:                            ;   in Loop: Header=BB921_213 Depth=1
	s_or_b64 exec, exec, s[16:17]
.LBB921_518:                            ;   in Loop: Header=BB921_213 Depth=1
	s_or_b64 exec, exec, s[14:15]
.LBB921_519:                            ;   in Loop: Header=BB921_213 Depth=1
	s_or_b64 exec, exec, s[12:13]
	v_cmp_lt_u32_e32 vcc, s22, v44
	v_mov_b32_e32 v52, 0
	v_mov_b32_e32 v53, 0
	s_and_saveexec_b64 s[12:13], vcc
	s_cbranch_execz .LBB921_525
; %bb.520:                              ;   in Loop: Header=BB921_213 Depth=1
	v_lshrrev_b32_e32 v46, 24, v44
	v_cmp_ne_u32_e32 vcc, s9, v46
	v_mov_b32_e32 v53, 0xffff8000
	s_and_saveexec_b64 s[14:15], vcc
	s_cbranch_execz .LBB921_524
; %bb.521:                              ;   in Loop: Header=BB921_213 Depth=1
	v_bfe_u32 v44, v44, 24, 7
	v_cmp_ne_u32_e32 vcc, s21, v44
	v_mov_b32_e32 v53, 0x7f80
	s_and_saveexec_b64 s[16:17], vcc
	s_cbranch_execz .LBB921_523
; %bb.522:                              ;   in Loop: Header=BB921_213 Depth=1
	v_and_b32_e32 v53, 7, v46
	v_ffbh_u32_e32 v60, v53
	v_min_u32_e32 v62, 32, v60
	v_subrev_u32_e32 v60, 28, v62
	v_lshlrev_b64 v[60:61], v60, v[46:47]
	v_lshrrev_b32_e32 v59, 3, v44
	v_sub_u32_e32 v61, 29, v62
	v_and_b32_e32 v60, 7, v60
	v_cmp_gt_u32_e32 vcc, 8, v44
	v_cndmask_b32_e32 v44, v59, v61, vcc
	v_cndmask_b32_e32 v53, v53, v60, vcc
	v_lshlrev_b32_e32 v46, 24, v46
	v_lshlrev_b32_e32 v53, 20, v53
	v_and_b32_e32 v46, 0x80000000, v46
	v_lshl_add_u32 v44, v44, 23, v48
	v_or3_b32 v44, v46, v44, v53
	v_lshrrev_b32_e32 v53, 16, v44
.LBB921_523:                            ;   in Loop: Header=BB921_213 Depth=1
	s_or_b64 exec, exec, s[16:17]
.LBB921_524:                            ;   in Loop: Header=BB921_213 Depth=1
	s_or_b64 exec, exec, s[14:15]
.LBB921_525:                            ;   in Loop: Header=BB921_213 Depth=1
	s_or_b64 exec, exec, s[12:13]
	s_waitcnt vmcnt(2)
	v_cmp_ne_u16_sdwa s[14:15], v42, v47 src0_sel:BYTE_0 src1_sel:DWORD
	s_and_saveexec_b64 s[12:13], s[14:15]
	s_cbranch_execz .LBB921_531
; %bb.526:                              ;   in Loop: Header=BB921_213 Depth=1
	v_cmp_ne_u16_sdwa s[16:17], v42, s9 src0_sel:BYTE_0 src1_sel:DWORD
	v_mov_b32_e32 v52, 0xffff8000
	s_and_saveexec_b64 s[14:15], s[16:17]
	s_cbranch_execz .LBB921_530
; %bb.527:                              ;   in Loop: Header=BB921_213 Depth=1
	v_and_b32_e32 v44, 0x7f, v42
	v_cmp_ne_u32_e32 vcc, s21, v44
	v_mov_b32_e32 v52, 0x7f80
	s_and_saveexec_b64 s[16:17], vcc
	s_cbranch_execz .LBB921_529
; %bb.528:                              ;   in Loop: Header=BB921_213 Depth=1
	v_and_b32_e32 v46, 7, v42
	v_ffbh_u32_e32 v59, v46
	v_min_u32_e32 v59, 32, v59
	v_subrev_u32_e32 v60, 28, v59
	v_lshlrev_b64 v[60:61], v60, v[42:43]
	v_lshrrev_b32_e32 v52, 3, v44
	v_sub_u32_e32 v59, 29, v59
	v_and_b32_e32 v60, 7, v60
	v_cmp_gt_u32_e32 vcc, 8, v44
	v_cndmask_b32_e32 v44, v52, v59, vcc
	v_cndmask_b32_e32 v46, v46, v60, vcc
	v_lshlrev_b32_e32 v52, 24, v42
	v_lshlrev_b32_e32 v46, 20, v46
	v_and_b32_e32 v52, 0x80000000, v52
	v_lshl_add_u32 v44, v44, 23, v48
	v_or3_b32 v44, v52, v44, v46
	v_lshrrev_b32_e32 v52, 16, v44
.LBB921_529:                            ;   in Loop: Header=BB921_213 Depth=1
	s_or_b64 exec, exec, s[16:17]
.LBB921_530:                            ;   in Loop: Header=BB921_213 Depth=1
	s_or_b64 exec, exec, s[14:15]
.LBB921_531:                            ;   in Loop: Header=BB921_213 Depth=1
	s_or_b64 exec, exec, s[12:13]
	v_lshrrev_b16_e32 v44, 8, v42
	v_cmp_ne_u16_e32 vcc, 0, v44
	v_mov_b32_e32 v60, 0
	v_mov_b32_e32 v59, 0
	s_and_saveexec_b64 s[12:13], vcc
	s_cbranch_execz .LBB921_537
; %bb.532:                              ;   in Loop: Header=BB921_213 Depth=1
	v_cmp_ne_u16_e32 vcc, s9, v44
	v_mov_b32_e32 v59, 0xffff8000
	s_and_saveexec_b64 s[14:15], vcc
	s_cbranch_execz .LBB921_536
; %bb.533:                              ;   in Loop: Header=BB921_213 Depth=1
	v_and_b32_e32 v46, 0x7f, v44
	v_cmp_ne_u32_e32 vcc, s21, v46
	v_mov_b32_e32 v59, 0x7f80
	s_and_saveexec_b64 s[16:17], vcc
	s_cbranch_execz .LBB921_535
; %bb.534:                              ;   in Loop: Header=BB921_213 Depth=1
	v_and_b32_e32 v59, 7, v44
	v_ffbh_u32_e32 v62, v59
	v_min_u32_e32 v64, 32, v62
	v_subrev_u32_e32 v62, 28, v64
	v_lshlrev_b64 v[62:63], v62, v[44:45]
	v_lshrrev_b32_e32 v61, 3, v46
	v_sub_u32_e32 v44, 29, v64
	v_and_b32_e32 v62, 7, v62
	v_cmp_gt_u32_e32 vcc, 8, v46
	v_cndmask_b32_e32 v44, v61, v44, vcc
	v_cndmask_b32_e32 v46, v59, v62, vcc
	v_lshlrev_b32_e32 v59, 16, v42
	v_lshlrev_b32_e32 v46, 20, v46
	v_and_b32_e32 v59, 0x80000000, v59
	v_lshl_add_u32 v44, v44, 23, v48
	v_or3_b32 v44, v59, v44, v46
	v_lshrrev_b32_e32 v59, 16, v44
.LBB921_535:                            ;   in Loop: Header=BB921_213 Depth=1
	s_or_b64 exec, exec, s[16:17]
.LBB921_536:                            ;   in Loop: Header=BB921_213 Depth=1
	s_or_b64 exec, exec, s[14:15]
.LBB921_537:                            ;   in Loop: Header=BB921_213 Depth=1
	s_or_b64 exec, exec, s[12:13]
	v_lshrrev_b32_e32 v44, 16, v42
	v_cmp_ne_u16_sdwa s[14:15], v44, v47 src0_sel:BYTE_0 src1_sel:DWORD
	s_and_saveexec_b64 s[12:13], s[14:15]
	s_cbranch_execz .LBB921_543
; %bb.538:                              ;   in Loop: Header=BB921_213 Depth=1
	v_cmp_ne_u16_sdwa s[16:17], v44, s9 src0_sel:BYTE_0 src1_sel:DWORD
	v_mov_b32_e32 v60, 0xffff8000
	s_and_saveexec_b64 s[14:15], s[16:17]
	s_cbranch_execz .LBB921_542
; %bb.539:                              ;   in Loop: Header=BB921_213 Depth=1
	v_bfe_u32 v46, v42, 16, 7
	v_cmp_ne_u32_e32 vcc, s21, v46
	v_mov_b32_e32 v60, 0x7f80
	s_and_saveexec_b64 s[16:17], vcc
	s_cbranch_execz .LBB921_541
; %bb.540:                              ;   in Loop: Header=BB921_213 Depth=1
	v_and_b32_e32 v62, 7, v44
	v_ffbh_u32_e32 v60, v62
	v_min_u32_e32 v64, 32, v60
	v_subrev_u32_e32 v60, 28, v64
	v_lshlrev_b64 v[60:61], v60, v[44:45]
	v_lshrrev_b32_e32 v63, 3, v46
	v_sub_u32_e32 v61, 29, v64
	v_and_b32_e32 v60, 7, v60
	v_cmp_gt_u32_e32 vcc, 8, v46
	v_cndmask_b32_e32 v46, v63, v61, vcc
	v_cndmask_b32_e32 v60, v62, v60, vcc
	v_lshlrev_b32_e32 v44, 24, v44
	v_lshlrev_b32_e32 v60, 20, v60
	v_and_b32_e32 v44, 0x80000000, v44
	v_lshl_add_u32 v46, v46, 23, v48
	v_or3_b32 v44, v44, v46, v60
	v_lshrrev_b32_e32 v60, 16, v44
.LBB921_541:                            ;   in Loop: Header=BB921_213 Depth=1
	s_or_b64 exec, exec, s[16:17]
.LBB921_542:                            ;   in Loop: Header=BB921_213 Depth=1
	s_or_b64 exec, exec, s[14:15]
.LBB921_543:                            ;   in Loop: Header=BB921_213 Depth=1
	s_or_b64 exec, exec, s[12:13]
	v_cmp_lt_u32_e32 vcc, s22, v42
	v_mov_b32_e32 v46, 0
	v_mov_b32_e32 v61, 0
	s_and_saveexec_b64 s[12:13], vcc
	s_cbranch_execz .LBB921_549
; %bb.544:                              ;   in Loop: Header=BB921_213 Depth=1
	v_lshrrev_b32_e32 v44, 24, v42
	v_cmp_ne_u32_e32 vcc, s9, v44
	v_mov_b32_e32 v61, 0xffff8000
	s_and_saveexec_b64 s[14:15], vcc
	s_cbranch_execz .LBB921_548
; %bb.545:                              ;   in Loop: Header=BB921_213 Depth=1
	v_bfe_u32 v42, v42, 24, 7
	v_cmp_ne_u32_e32 vcc, s21, v42
	v_mov_b32_e32 v61, 0x7f80
	s_and_saveexec_b64 s[16:17], vcc
	s_cbranch_execz .LBB921_547
; %bb.546:                              ;   in Loop: Header=BB921_213 Depth=1
	v_and_b32_e32 v61, 7, v44
	v_ffbh_u32_e32 v62, v61
	v_min_u32_e32 v65, 32, v62
	v_subrev_u32_e32 v62, 28, v65
	v_lshlrev_b64 v[62:63], v62, v[44:45]
	v_lshrrev_b32_e32 v64, 3, v42
	v_sub_u32_e32 v63, 29, v65
	v_and_b32_e32 v62, 7, v62
	v_cmp_gt_u32_e32 vcc, 8, v42
	v_cndmask_b32_e32 v42, v64, v63, vcc
	v_cndmask_b32_e32 v61, v61, v62, vcc
	v_lshlrev_b32_e32 v44, 24, v44
	v_lshlrev_b32_e32 v61, 20, v61
	v_and_b32_e32 v44, 0x80000000, v44
	v_lshl_add_u32 v42, v42, 23, v48
	v_or3_b32 v42, v44, v42, v61
	v_lshrrev_b32_e32 v61, 16, v42
.LBB921_547:                            ;   in Loop: Header=BB921_213 Depth=1
	s_or_b64 exec, exec, s[16:17]
.LBB921_548:                            ;   in Loop: Header=BB921_213 Depth=1
	s_or_b64 exec, exec, s[14:15]
.LBB921_549:                            ;   in Loop: Header=BB921_213 Depth=1
	s_or_b64 exec, exec, s[12:13]
	v_perm_b32 v51, v53, v51, s23
	v_perm_b32 v50, v50, v49, s23
	s_waitcnt vmcnt(1)
	v_cmp_ne_u16_sdwa s[14:15], v40, v47 src0_sel:BYTE_0 src1_sel:DWORD
	v_mfma_f32_16x16x16bf16_1k v[34:37], v[50:51], v[26:27], v[34:37]
	v_perm_b32 v51, v61, v60, s23
	v_perm_b32 v50, v59, v52, s23
	s_nop 1
	v_mfma_f32_16x16x16bf16_1k v[34:37], v[50:51], v[28:29], v[34:37]
	s_and_saveexec_b64 s[12:13], s[14:15]
	s_cbranch_execz .LBB921_555
; %bb.550:                              ;   in Loop: Header=BB921_213 Depth=1
	v_cmp_ne_u16_sdwa s[16:17], v40, s9 src0_sel:BYTE_0 src1_sel:DWORD
	v_mov_b32_e32 v46, 0xffff8000
	s_and_saveexec_b64 s[14:15], s[16:17]
	s_cbranch_execz .LBB921_554
; %bb.551:                              ;   in Loop: Header=BB921_213 Depth=1
	v_and_b32_e32 v42, 0x7f, v40
	v_cmp_ne_u32_e32 vcc, s21, v42
	v_mov_b32_e32 v46, 0x7f80
	s_and_saveexec_b64 s[16:17], vcc
	s_cbranch_execz .LBB921_553
; %bb.552:                              ;   in Loop: Header=BB921_213 Depth=1
	v_and_b32_e32 v44, 7, v40
	v_ffbh_u32_e32 v49, v44
	v_min_u32_e32 v49, 32, v49
	v_subrev_u32_e32 v50, 28, v49
	v_lshlrev_b64 v[50:51], v50, v[40:41]
	v_lshrrev_b32_e32 v46, 3, v42
	v_sub_u32_e32 v49, 29, v49
	v_and_b32_e32 v50, 7, v50
	v_cmp_gt_u32_e32 vcc, 8, v42
	v_cndmask_b32_e32 v42, v46, v49, vcc
	v_cndmask_b32_e32 v44, v44, v50, vcc
	v_lshlrev_b32_e32 v46, 24, v40
	v_lshlrev_b32_e32 v44, 20, v44
	v_and_b32_e32 v46, 0x80000000, v46
	v_lshl_add_u32 v42, v42, 23, v48
	v_or3_b32 v42, v46, v42, v44
	v_lshrrev_b32_e32 v46, 16, v42
.LBB921_553:                            ;   in Loop: Header=BB921_213 Depth=1
	s_or_b64 exec, exec, s[16:17]
.LBB921_554:                            ;   in Loop: Header=BB921_213 Depth=1
	s_or_b64 exec, exec, s[14:15]
.LBB921_555:                            ;   in Loop: Header=BB921_213 Depth=1
	s_or_b64 exec, exec, s[12:13]
	v_lshrrev_b16_e32 v42, 8, v40
	v_cmp_ne_u16_e32 vcc, 0, v42
	v_mov_b32_e32 v49, 0
	v_mov_b32_e32 v44, 0
	s_and_saveexec_b64 s[12:13], vcc
	s_cbranch_execz .LBB921_561
; %bb.556:                              ;   in Loop: Header=BB921_213 Depth=1
	v_cmp_ne_u16_e32 vcc, s9, v42
	v_mov_b32_e32 v44, 0xffff8000
	s_and_saveexec_b64 s[14:15], vcc
	s_cbranch_execz .LBB921_560
; %bb.557:                              ;   in Loop: Header=BB921_213 Depth=1
	v_and_b32_e32 v50, 0x7f, v42
	v_cmp_ne_u32_e32 vcc, s21, v50
	v_mov_b32_e32 v44, 0x7f80
	s_and_saveexec_b64 s[16:17], vcc
	s_cbranch_execz .LBB921_559
; %bb.558:                              ;   in Loop: Header=BB921_213 Depth=1
	v_and_b32_e32 v44, 7, v42
	v_ffbh_u32_e32 v52, v44
	v_min_u32_e32 v59, 32, v52
	v_subrev_u32_e32 v52, 28, v59
	v_lshlrev_b64 v[52:53], v52, v[42:43]
	v_lshrrev_b32_e32 v51, 3, v50
	v_sub_u32_e32 v42, 29, v59
	v_and_b32_e32 v52, 7, v52
	v_cmp_gt_u32_e32 vcc, 8, v50
	v_cndmask_b32_e32 v42, v51, v42, vcc
	v_cndmask_b32_e32 v44, v44, v52, vcc
	v_lshlrev_b32_e32 v50, 16, v40
	v_lshlrev_b32_e32 v44, 20, v44
	v_and_b32_e32 v50, 0x80000000, v50
	v_lshl_add_u32 v42, v42, 23, v48
	v_or3_b32 v42, v50, v42, v44
	v_lshrrev_b32_e32 v44, 16, v42
.LBB921_559:                            ;   in Loop: Header=BB921_213 Depth=1
	s_or_b64 exec, exec, s[16:17]
.LBB921_560:                            ;   in Loop: Header=BB921_213 Depth=1
	s_or_b64 exec, exec, s[14:15]
.LBB921_561:                            ;   in Loop: Header=BB921_213 Depth=1
	s_or_b64 exec, exec, s[12:13]
	v_lshrrev_b32_e32 v42, 16, v40
	v_cmp_ne_u16_sdwa s[14:15], v42, v47 src0_sel:BYTE_0 src1_sel:DWORD
	s_and_saveexec_b64 s[12:13], s[14:15]
	s_cbranch_execz .LBB921_567
; %bb.562:                              ;   in Loop: Header=BB921_213 Depth=1
	v_cmp_ne_u16_sdwa s[16:17], v42, s9 src0_sel:BYTE_0 src1_sel:DWORD
	v_mov_b32_e32 v49, 0xffff8000
	s_and_saveexec_b64 s[14:15], s[16:17]
	s_cbranch_execz .LBB921_566
; %bb.563:                              ;   in Loop: Header=BB921_213 Depth=1
	v_bfe_u32 v50, v40, 16, 7
	v_cmp_ne_u32_e32 vcc, s21, v50
	v_mov_b32_e32 v49, 0x7f80
	s_and_saveexec_b64 s[16:17], vcc
	s_cbranch_execz .LBB921_565
; %bb.564:                              ;   in Loop: Header=BB921_213 Depth=1
	v_and_b32_e32 v49, 7, v42
	v_ffbh_u32_e32 v52, v49
	v_min_u32_e32 v59, 32, v52
	v_subrev_u32_e32 v52, 28, v59
	v_lshlrev_b64 v[52:53], v52, v[42:43]
	v_lshrrev_b32_e32 v51, 3, v50
	v_sub_u32_e32 v53, 29, v59
	v_and_b32_e32 v52, 7, v52
	v_cmp_gt_u32_e32 vcc, 8, v50
	v_cndmask_b32_e32 v50, v51, v53, vcc
	v_cndmask_b32_e32 v49, v49, v52, vcc
	v_lshlrev_b32_e32 v42, 24, v42
	v_lshlrev_b32_e32 v49, 20, v49
	v_and_b32_e32 v42, 0x80000000, v42
	v_lshl_add_u32 v50, v50, 23, v48
	v_or3_b32 v42, v42, v50, v49
	v_lshrrev_b32_e32 v49, 16, v42
.LBB921_565:                            ;   in Loop: Header=BB921_213 Depth=1
	s_or_b64 exec, exec, s[16:17]
.LBB921_566:                            ;   in Loop: Header=BB921_213 Depth=1
	s_or_b64 exec, exec, s[14:15]
.LBB921_567:                            ;   in Loop: Header=BB921_213 Depth=1
	s_or_b64 exec, exec, s[12:13]
	v_cmp_lt_u32_e32 vcc, s22, v40
	v_mov_b32_e32 v50, 0
	v_mov_b32_e32 v51, 0
	s_and_saveexec_b64 s[12:13], vcc
	s_cbranch_execz .LBB921_573
; %bb.568:                              ;   in Loop: Header=BB921_213 Depth=1
	v_lshrrev_b32_e32 v42, 24, v40
	v_cmp_ne_u32_e32 vcc, s9, v42
	v_mov_b32_e32 v51, 0xffff8000
	s_and_saveexec_b64 s[14:15], vcc
	s_cbranch_execz .LBB921_572
; %bb.569:                              ;   in Loop: Header=BB921_213 Depth=1
	v_bfe_u32 v40, v40, 24, 7
	v_cmp_ne_u32_e32 vcc, s21, v40
	v_mov_b32_e32 v51, 0x7f80
	s_and_saveexec_b64 s[16:17], vcc
	s_cbranch_execz .LBB921_571
; %bb.570:                              ;   in Loop: Header=BB921_213 Depth=1
	v_and_b32_e32 v51, 7, v42
	v_ffbh_u32_e32 v52, v51
	v_min_u32_e32 v60, 32, v52
	v_subrev_u32_e32 v52, 28, v60
	v_lshlrev_b64 v[52:53], v52, v[42:43]
	v_lshrrev_b32_e32 v59, 3, v40
	v_sub_u32_e32 v53, 29, v60
	v_and_b32_e32 v52, 7, v52
	v_cmp_gt_u32_e32 vcc, 8, v40
	v_cndmask_b32_e32 v40, v59, v53, vcc
	v_cndmask_b32_e32 v51, v51, v52, vcc
	v_lshlrev_b32_e32 v42, 24, v42
	v_lshlrev_b32_e32 v51, 20, v51
	v_and_b32_e32 v42, 0x80000000, v42
	v_lshl_add_u32 v40, v40, 23, v48
	v_or3_b32 v40, v42, v40, v51
	v_lshrrev_b32_e32 v51, 16, v40
.LBB921_571:                            ;   in Loop: Header=BB921_213 Depth=1
	s_or_b64 exec, exec, s[16:17]
.LBB921_572:                            ;   in Loop: Header=BB921_213 Depth=1
	s_or_b64 exec, exec, s[14:15]
.LBB921_573:                            ;   in Loop: Header=BB921_213 Depth=1
	s_or_b64 exec, exec, s[12:13]
	s_waitcnt vmcnt(0)
	v_cmp_ne_u16_sdwa s[14:15], v38, v47 src0_sel:BYTE_0 src1_sel:DWORD
	s_and_saveexec_b64 s[12:13], s[14:15]
	s_cbranch_execz .LBB921_579
; %bb.574:                              ;   in Loop: Header=BB921_213 Depth=1
	v_cmp_ne_u16_sdwa s[16:17], v38, s9 src0_sel:BYTE_0 src1_sel:DWORD
	v_mov_b32_e32 v50, 0xffff8000
	s_and_saveexec_b64 s[14:15], s[16:17]
	s_cbranch_execz .LBB921_578
; %bb.575:                              ;   in Loop: Header=BB921_213 Depth=1
	v_and_b32_e32 v40, 0x7f, v38
	v_cmp_ne_u32_e32 vcc, s21, v40
	v_mov_b32_e32 v50, 0x7f80
	s_and_saveexec_b64 s[16:17], vcc
	s_cbranch_execz .LBB921_577
; %bb.576:                              ;   in Loop: Header=BB921_213 Depth=1
	v_and_b32_e32 v42, 7, v38
	v_ffbh_u32_e32 v52, v42
	v_min_u32_e32 v59, 32, v52
	v_subrev_u32_e32 v52, 28, v59
	v_lshlrev_b64 v[52:53], v52, v[38:39]
	v_lshrrev_b32_e32 v50, 3, v40
	v_sub_u32_e32 v53, 29, v59
	v_and_b32_e32 v52, 7, v52
	v_cmp_gt_u32_e32 vcc, 8, v40
	v_cndmask_b32_e32 v40, v50, v53, vcc
	v_cndmask_b32_e32 v42, v42, v52, vcc
	v_lshlrev_b32_e32 v50, 24, v38
	v_lshlrev_b32_e32 v42, 20, v42
	v_and_b32_e32 v50, 0x80000000, v50
	v_lshl_add_u32 v40, v40, 23, v48
	v_or3_b32 v40, v50, v40, v42
	v_lshrrev_b32_e32 v50, 16, v40
.LBB921_577:                            ;   in Loop: Header=BB921_213 Depth=1
	s_or_b64 exec, exec, s[16:17]
.LBB921_578:                            ;   in Loop: Header=BB921_213 Depth=1
	s_or_b64 exec, exec, s[14:15]
.LBB921_579:                            ;   in Loop: Header=BB921_213 Depth=1
	s_or_b64 exec, exec, s[12:13]
	v_lshrrev_b16_e32 v40, 8, v38
	v_cmp_ne_u16_e32 vcc, 0, v40
	v_mov_b32_e32 v52, 0
	v_mov_b32_e32 v42, 0
	s_and_saveexec_b64 s[12:13], vcc
	s_cbranch_execz .LBB921_585
; %bb.580:                              ;   in Loop: Header=BB921_213 Depth=1
	v_cmp_ne_u16_e32 vcc, s9, v40
	v_mov_b32_e32 v42, 0xffff8000
	s_and_saveexec_b64 s[14:15], vcc
	s_cbranch_execz .LBB921_584
; %bb.581:                              ;   in Loop: Header=BB921_213 Depth=1
	v_and_b32_e32 v53, 0x7f, v40
	v_cmp_ne_u32_e32 vcc, s21, v53
	v_mov_b32_e32 v42, 0x7f80
	s_and_saveexec_b64 s[16:17], vcc
	s_cbranch_execz .LBB921_583
; %bb.582:                              ;   in Loop: Header=BB921_213 Depth=1
	v_and_b32_e32 v42, 7, v40
	v_ffbh_u32_e32 v60, v42
	v_min_u32_e32 v62, 32, v60
	v_subrev_u32_e32 v60, 28, v62
	v_lshlrev_b64 v[60:61], v60, v[40:41]
	v_lshrrev_b32_e32 v59, 3, v53
	v_sub_u32_e32 v40, 29, v62
	v_and_b32_e32 v60, 7, v60
	v_cmp_gt_u32_e32 vcc, 8, v53
	v_cndmask_b32_e32 v40, v59, v40, vcc
	v_cndmask_b32_e32 v42, v42, v60, vcc
	v_lshlrev_b32_e32 v53, 16, v38
	v_lshlrev_b32_e32 v42, 20, v42
	v_and_b32_e32 v53, 0x80000000, v53
	v_lshl_add_u32 v40, v40, 23, v48
	v_or3_b32 v40, v53, v40, v42
	v_lshrrev_b32_e32 v42, 16, v40
.LBB921_583:                            ;   in Loop: Header=BB921_213 Depth=1
	s_or_b64 exec, exec, s[16:17]
.LBB921_584:                            ;   in Loop: Header=BB921_213 Depth=1
	s_or_b64 exec, exec, s[14:15]
.LBB921_585:                            ;   in Loop: Header=BB921_213 Depth=1
	s_or_b64 exec, exec, s[12:13]
	v_lshrrev_b32_e32 v40, 16, v38
	v_cmp_ne_u16_sdwa s[14:15], v40, v47 src0_sel:BYTE_0 src1_sel:DWORD
	s_and_saveexec_b64 s[12:13], s[14:15]
	s_cbranch_execz .LBB921_591
; %bb.586:                              ;   in Loop: Header=BB921_213 Depth=1
	v_cmp_ne_u16_sdwa s[16:17], v40, s9 src0_sel:BYTE_0 src1_sel:DWORD
	v_mov_b32_e32 v52, 0xffff8000
	s_and_saveexec_b64 s[14:15], s[16:17]
	s_cbranch_execz .LBB921_590
; %bb.587:                              ;   in Loop: Header=BB921_213 Depth=1
	v_bfe_u32 v53, v38, 16, 7
	v_cmp_ne_u32_e32 vcc, s21, v53
	v_mov_b32_e32 v52, 0x7f80
	s_and_saveexec_b64 s[16:17], vcc
	s_cbranch_execz .LBB921_589
; %bb.588:                              ;   in Loop: Header=BB921_213 Depth=1
	v_and_b32_e32 v52, 7, v40
	v_ffbh_u32_e32 v60, v52
	v_min_u32_e32 v62, 32, v60
	v_subrev_u32_e32 v60, 28, v62
	v_lshlrev_b64 v[60:61], v60, v[40:41]
	v_lshrrev_b32_e32 v59, 3, v53
	v_sub_u32_e32 v61, 29, v62
	v_and_b32_e32 v60, 7, v60
	v_cmp_gt_u32_e32 vcc, 8, v53
	v_cndmask_b32_e32 v53, v59, v61, vcc
	v_cndmask_b32_e32 v52, v52, v60, vcc
	v_lshlrev_b32_e32 v40, 24, v40
	v_lshlrev_b32_e32 v52, 20, v52
	v_and_b32_e32 v40, 0x80000000, v40
	v_lshl_add_u32 v53, v53, 23, v48
	v_or3_b32 v40, v40, v53, v52
	v_lshrrev_b32_e32 v52, 16, v40
.LBB921_589:                            ;   in Loop: Header=BB921_213 Depth=1
	s_or_b64 exec, exec, s[16:17]
.LBB921_590:                            ;   in Loop: Header=BB921_213 Depth=1
	s_or_b64 exec, exec, s[14:15]
.LBB921_591:                            ;   in Loop: Header=BB921_213 Depth=1
	s_or_b64 exec, exec, s[12:13]
	v_cmp_lt_u32_e32 vcc, s22, v38
	v_mov_b32_e32 v53, 0
	s_and_saveexec_b64 s[12:13], vcc
	s_cbranch_execz .LBB921_212
; %bb.592:                              ;   in Loop: Header=BB921_213 Depth=1
	v_lshrrev_b32_e32 v40, 24, v38
	v_cmp_ne_u32_e32 vcc, s9, v40
	v_mov_b32_e32 v53, 0xffff8000
	s_and_saveexec_b64 s[14:15], vcc
	s_cbranch_execz .LBB921_211
; %bb.593:                              ;   in Loop: Header=BB921_213 Depth=1
	v_bfe_u32 v38, v38, 24, 7
	v_cmp_ne_u32_e32 vcc, s21, v38
	v_mov_b32_e32 v53, 0x7f80
	s_and_saveexec_b64 s[16:17], vcc
	s_cbranch_execz .LBB921_210
; %bb.594:                              ;   in Loop: Header=BB921_213 Depth=1
	v_and_b32_e32 v53, 7, v40
	v_ffbh_u32_e32 v60, v53
	v_min_u32_e32 v62, 32, v60
	v_subrev_u32_e32 v60, 28, v62
	v_lshlrev_b64 v[60:61], v60, v[40:41]
	v_lshrrev_b32_e32 v59, 3, v38
	v_sub_u32_e32 v61, 29, v62
	v_and_b32_e32 v60, 7, v60
	v_cmp_gt_u32_e32 vcc, 8, v38
	v_cndmask_b32_e32 v38, v59, v61, vcc
	v_cndmask_b32_e32 v53, v53, v60, vcc
	v_lshlrev_b32_e32 v40, 24, v40
	v_lshlrev_b32_e32 v53, 20, v53
	v_and_b32_e32 v40, 0x80000000, v40
	v_lshl_add_u32 v38, v38, 23, v48
	v_or3_b32 v38, v40, v38, v53
	v_lshrrev_b32_e32 v53, 16, v38
	s_branch .LBB921_210
.LBB921_595:
	s_barrier
	buffer_load_dword v2, off, s[0:3], 0 offset:320
	buffer_load_dword v5, off, s[0:3], 0 offset:332
	;; [unrolled: 1-line block ×4, first 2 shown]
	v_cmp_gt_u32_e32 vcc, 64, v0
	s_waitcnt vmcnt(0)
	ds_write2st64_b64 v43, v[2:3], v[4:5] offset1:1
	s_waitcnt lgkmcnt(0)
	s_barrier
	s_and_saveexec_b64 s[4:5], vcc
	s_cbranch_execz .LBB921_597
; %bb.596:
	s_lshl_b32 s6, s50, 7
	s_mul_i32 s4, s18, s8
	s_mul_hi_u32 s5, s4, s6
	s_mul_i32 s4, s4, s6
	s_lshl_b64 s[4:5], s[4:5], 1
	s_add_u32 s7, s48, s4
	v_lshlrev_b32_e32 v4, 6, v55
	s_addc_u32 s8, s49, s5
	s_lshl_b32 s4, s24, 7
	s_mov_b32 s5, 0
	v_lshl_or_b32 v0, v0, 10, v4
	s_lshl_b64 s[4:5], s[4:5], 1
	v_lshlrev_b32_e32 v2, 5, v1
	v_and_b32_e32 v3, 16, v56
	v_and_b32_e32 v0, 0x1a00, v0
	s_add_u32 s4, s7, s4
	v_or3_b32 v0, v0, v2, v3
	s_addc_u32 s5, s8, s5
	ds_read_b128 v[2:5], v0
	ds_read_b128 v[6:9], v0 offset:128
	ds_read_b128 v[10:13], v0 offset:256
	v_or_b32_e32 v14, s25, v1
	v_mov_b32_e32 v0, s5
	v_add_co_u32_e32 v15, vcc, s4, v54
	v_addc_co_u32_e32 v16, vcc, 0, v0, vcc
	v_mad_u64_u32 v[0:1], s[4:5], v14, s6, 0
	v_lshlrev_b64 v[0:1], 1, v[0:1]
	v_add_co_u32_e32 v0, vcc, v15, v0
	v_addc_co_u32_e32 v1, vcc, v16, v1, vcc
	s_waitcnt lgkmcnt(2)
	global_store_dwordx4 v[0:1], v[2:5], off
	v_add_u32_e32 v0, 4, v14
	v_mad_u64_u32 v[0:1], s[4:5], v0, s6, 0
	v_lshlrev_b64 v[0:1], 1, v[0:1]
	v_add_co_u32_e32 v0, vcc, v15, v0
	v_addc_co_u32_e32 v1, vcc, v16, v1, vcc
	s_waitcnt lgkmcnt(1)
	global_store_dwordx4 v[0:1], v[6:9], off
	v_add_u32_e32 v0, 8, v14
	v_mad_u64_u32 v[0:1], s[4:5], v0, s6, 0
	v_lshlrev_b64 v[0:1], 1, v[0:1]
	v_add_co_u32_e32 v0, vcc, v15, v0
	v_addc_co_u32_e32 v1, vcc, v16, v1, vcc
	s_waitcnt lgkmcnt(0)
	global_store_dwordx4 v[0:1], v[10:13], off
.LBB921_597:
	s_endpgm
	.section	.rodata,"a",@progbits
	.p2align	6, 0x0
	.amdhsa_kernel _Z39paged_attention_ll4mi_QKV_mfma16_kernelI14__hip_bfloat16hLN4vllm18Fp8KVCacheDataTypeE1ES0_Li16ELi128ELi256ELb0ELi12EL8MFMAType0EEvPKT_PKT0_S9_ifPKiSB_SB_iPKfiiiPfSE_PS4_PT2_iSD_SD_
		.amdhsa_group_segment_fixed_size 8192
		.amdhsa_private_segment_fixed_size 352
		.amdhsa_kernarg_size 400
		.amdhsa_user_sgpr_count 8
		.amdhsa_user_sgpr_private_segment_buffer 1
		.amdhsa_user_sgpr_dispatch_ptr 0
		.amdhsa_user_sgpr_queue_ptr 0
		.amdhsa_user_sgpr_kernarg_segment_ptr 1
		.amdhsa_user_sgpr_dispatch_id 0
		.amdhsa_user_sgpr_flat_scratch_init 1
		.amdhsa_user_sgpr_kernarg_preload_length 0
		.amdhsa_user_sgpr_kernarg_preload_offset 0
		.amdhsa_user_sgpr_private_segment_size 0
		.amdhsa_uses_dynamic_stack 0
		.amdhsa_system_sgpr_private_segment_wavefront_offset 1
		.amdhsa_system_sgpr_workgroup_id_x 1
		.amdhsa_system_sgpr_workgroup_id_y 1
		.amdhsa_system_sgpr_workgroup_id_z 1
		.amdhsa_system_sgpr_workgroup_info 0
		.amdhsa_system_vgpr_workitem_id 0
		.amdhsa_next_free_vgpr 76
		.amdhsa_next_free_sgpr 53
		.amdhsa_accum_offset 76
		.amdhsa_reserve_vcc 1
		.amdhsa_reserve_flat_scratch 0
		.amdhsa_float_round_mode_32 0
		.amdhsa_float_round_mode_16_64 0
		.amdhsa_float_denorm_mode_32 3
		.amdhsa_float_denorm_mode_16_64 3
		.amdhsa_dx10_clamp 1
		.amdhsa_ieee_mode 1
		.amdhsa_fp16_overflow 0
		.amdhsa_tg_split 0
		.amdhsa_exception_fp_ieee_invalid_op 0
		.amdhsa_exception_fp_denorm_src 0
		.amdhsa_exception_fp_ieee_div_zero 0
		.amdhsa_exception_fp_ieee_overflow 0
		.amdhsa_exception_fp_ieee_underflow 0
		.amdhsa_exception_fp_ieee_inexact 0
		.amdhsa_exception_int_div_zero 0
	.end_amdhsa_kernel
	.section	.text._Z39paged_attention_ll4mi_QKV_mfma16_kernelI14__hip_bfloat16hLN4vllm18Fp8KVCacheDataTypeE1ES0_Li16ELi128ELi256ELb0ELi12EL8MFMAType0EEvPKT_PKT0_S9_ifPKiSB_SB_iPKfiiiPfSE_PS4_PT2_iSD_SD_,"axG",@progbits,_Z39paged_attention_ll4mi_QKV_mfma16_kernelI14__hip_bfloat16hLN4vllm18Fp8KVCacheDataTypeE1ES0_Li16ELi128ELi256ELb0ELi12EL8MFMAType0EEvPKT_PKT0_S9_ifPKiSB_SB_iPKfiiiPfSE_PS4_PT2_iSD_SD_,comdat
.Lfunc_end921:
	.size	_Z39paged_attention_ll4mi_QKV_mfma16_kernelI14__hip_bfloat16hLN4vllm18Fp8KVCacheDataTypeE1ES0_Li16ELi128ELi256ELb0ELi12EL8MFMAType0EEvPKT_PKT0_S9_ifPKiSB_SB_iPKfiiiPfSE_PS4_PT2_iSD_SD_, .Lfunc_end921-_Z39paged_attention_ll4mi_QKV_mfma16_kernelI14__hip_bfloat16hLN4vllm18Fp8KVCacheDataTypeE1ES0_Li16ELi128ELi256ELb0ELi12EL8MFMAType0EEvPKT_PKT0_S9_ifPKiSB_SB_iPKfiiiPfSE_PS4_PT2_iSD_SD_
                                        ; -- End function
	.section	.AMDGPU.csdata,"",@progbits
; Kernel info:
; codeLenInByte = 22244
; NumSgprs: 57
; NumVgprs: 76
; NumAgprs: 0
; TotalNumVgprs: 76
; ScratchSize: 352
; MemoryBound: 0
; FloatMode: 240
; IeeeMode: 1
; LDSByteSize: 8192 bytes/workgroup (compile time only)
; SGPRBlocks: 7
; VGPRBlocks: 9
; NumSGPRsForWavesPerEU: 57
; NumVGPRsForWavesPerEU: 76
; AccumOffset: 76
; Occupancy: 6
; WaveLimiterHint : 1
; COMPUTE_PGM_RSRC2:SCRATCH_EN: 1
; COMPUTE_PGM_RSRC2:USER_SGPR: 8
; COMPUTE_PGM_RSRC2:TRAP_HANDLER: 0
; COMPUTE_PGM_RSRC2:TGID_X_EN: 1
; COMPUTE_PGM_RSRC2:TGID_Y_EN: 1
; COMPUTE_PGM_RSRC2:TGID_Z_EN: 1
; COMPUTE_PGM_RSRC2:TIDIG_COMP_CNT: 0
; COMPUTE_PGM_RSRC3_GFX90A:ACCUM_OFFSET: 18
; COMPUTE_PGM_RSRC3_GFX90A:TG_SPLIT: 0
	.section	.text._Z39paged_attention_ll4mi_QKV_mfma16_kernelI14__hip_bfloat16hLN4vllm18Fp8KVCacheDataTypeE1ES0_Li16ELi128ELi256ELb0ELi13EL8MFMAType0EEvPKT_PKT0_S9_ifPKiSB_SB_iPKfiiiPfSE_PS4_PT2_iSD_SD_,"axG",@progbits,_Z39paged_attention_ll4mi_QKV_mfma16_kernelI14__hip_bfloat16hLN4vllm18Fp8KVCacheDataTypeE1ES0_Li16ELi128ELi256ELb0ELi13EL8MFMAType0EEvPKT_PKT0_S9_ifPKiSB_SB_iPKfiiiPfSE_PS4_PT2_iSD_SD_,comdat
	.protected	_Z39paged_attention_ll4mi_QKV_mfma16_kernelI14__hip_bfloat16hLN4vllm18Fp8KVCacheDataTypeE1ES0_Li16ELi128ELi256ELb0ELi13EL8MFMAType0EEvPKT_PKT0_S9_ifPKiSB_SB_iPKfiiiPfSE_PS4_PT2_iSD_SD_ ; -- Begin function _Z39paged_attention_ll4mi_QKV_mfma16_kernelI14__hip_bfloat16hLN4vllm18Fp8KVCacheDataTypeE1ES0_Li16ELi128ELi256ELb0ELi13EL8MFMAType0EEvPKT_PKT0_S9_ifPKiSB_SB_iPKfiiiPfSE_PS4_PT2_iSD_SD_
	.globl	_Z39paged_attention_ll4mi_QKV_mfma16_kernelI14__hip_bfloat16hLN4vllm18Fp8KVCacheDataTypeE1ES0_Li16ELi128ELi256ELb0ELi13EL8MFMAType0EEvPKT_PKT0_S9_ifPKiSB_SB_iPKfiiiPfSE_PS4_PT2_iSD_SD_
	.p2align	8
	.type	_Z39paged_attention_ll4mi_QKV_mfma16_kernelI14__hip_bfloat16hLN4vllm18Fp8KVCacheDataTypeE1ES0_Li16ELi128ELi256ELb0ELi13EL8MFMAType0EEvPKT_PKT0_S9_ifPKiSB_SB_iPKfiiiPfSE_PS4_PT2_iSD_SD_,@function
_Z39paged_attention_ll4mi_QKV_mfma16_kernelI14__hip_bfloat16hLN4vllm18Fp8KVCacheDataTypeE1ES0_Li16ELi128ELi256ELb0ELi13EL8MFMAType0EEvPKT_PKT0_S9_ifPKiSB_SB_iPKfiiiPfSE_PS4_PT2_iSD_SD_: ; @_Z39paged_attention_ll4mi_QKV_mfma16_kernelI14__hip_bfloat16hLN4vllm18Fp8KVCacheDataTypeE1ES0_Li16ELi128ELi256ELb0ELi13EL8MFMAType0EEvPKT_PKT0_S9_ifPKiSB_SB_iPKfiiiPfSE_PS4_PT2_iSD_SD_
; %bb.0:
	s_load_dwordx2 s[6:7], s[4:5], 0x30
	s_add_u32 s0, s0, s11
	s_addc_u32 s1, s1, 0
	s_mov_b32 s24, s9
	s_mov_b64 s[12:13], 0
	s_waitcnt lgkmcnt(0)
	s_cmp_lg_u64 s[6:7], 0
	s_cselect_b64 s[16:17], -1, 0
	s_and_b64 vcc, exec, s[16:17]
	s_cbranch_vccz .LBB922_7
; %bb.1:
	s_add_i32 s14, s8, 1
	s_mov_b32 s15, 0
	s_lshl_b64 s[18:19], s[14:15], 2
	s_add_u32 s18, s6, s18
	s_mov_b32 s9, s15
	s_addc_u32 s19, s7, s19
	s_lshl_b64 s[14:15], s[8:9], 2
	s_add_u32 s14, s6, s14
	s_addc_u32 s15, s7, s15
	s_load_dword s11, s[18:19], 0x0
	s_load_dword s20, s[14:15], 0x0
	s_waitcnt lgkmcnt(0)
	s_sub_i32 s11, s11, s20
	s_cmp_eq_u32 s11, 1
	s_cselect_b64 s[14:15], -1, 0
	s_andn2_b64 vcc, exec, s[12:13]
	s_cbranch_vccnz .LBB922_3
.LBB922_2:
	s_mov_b32 s9, 0
	s_mov_b64 s[14:15], -1
.LBB922_3:
	s_andn2_b64 vcc, exec, s[14:15]
	s_cbranch_vccnz .LBB922_598
; %bb.4:
	s_load_dwordx2 s[12:13], s[4:5], 0x28
	s_lshl_b64 s[18:19], s[8:9], 2
	s_waitcnt lgkmcnt(0)
	s_add_u32 s12, s12, s18
	s_addc_u32 s13, s13, s19
	s_load_dword s33, s[12:13], 0x0
	s_lshl_b32 s20, s24, 8
	s_waitcnt lgkmcnt(0)
	s_cmp_ge_i32 s20, s33
	s_cbranch_scc1 .LBB922_598
; %bb.5:
	s_add_i32 s14, s33, 15
	s_load_dwordx2 s[12:13], s[4:5], 0x20
	s_load_dword s11, s[4:5], 0x38
	s_ashr_i32 s15, s14, 31
	v_and_b32_e32 v1, 0xcf, v0
	s_lshr_b32 s15, s15, 28
	v_add_u32_e32 v1, s20, v1
	s_add_i32 s14, s14, s15
	v_ashrrev_i32_e32 v2, 31, v1
	s_ashr_i32 s22, s14, 4
	v_lshrrev_b32_e32 v6, 28, v2
	s_add_i32 s22, s22, -1
	v_add_u32_e32 v2, v1, v6
	s_waitcnt lgkmcnt(0)
	s_mul_i32 s14, s8, s11
	s_mov_b32 s15, 0
	v_ashrrev_i32_e32 v2, 4, v2
	v_mov_b32_e32 v7, s22
	v_cmp_gt_i32_e32 vcc, s33, v1
	s_lshl_b64 s[14:15], s[14:15], 2
	v_cndmask_b32_e32 v2, v7, v2, vcc
	s_add_u32 s11, s12, s14
	v_ashrrev_i32_e32 v3, 31, v2
	s_addc_u32 s21, s13, s15
	v_lshlrev_b64 v[2:3], 2, v[2:3]
	v_mov_b32_e32 v5, s21
	v_add_co_u32_e32 v4, vcc, s11, v2
	v_or_b32_e32 v2, 16, v1
	v_addc_co_u32_e32 v5, vcc, v5, v3, vcc
	v_add_u32_e32 v3, v2, v6
	v_ashrrev_i32_e32 v3, 4, v3
	v_cmp_gt_i32_e32 vcc, s33, v2
	v_cndmask_b32_e32 v2, v7, v3, vcc
	v_ashrrev_i32_e32 v3, 31, v2
	v_lshlrev_b64 v[2:3], 2, v[2:3]
	v_mov_b32_e32 v9, s21
	v_add_co_u32_e32 v8, vcc, s11, v2
	v_or_b32_e32 v2, 32, v1
	v_addc_co_u32_e32 v9, vcc, v9, v3, vcc
	v_add_u32_e32 v3, v2, v6
	v_ashrrev_i32_e32 v3, 4, v3
	v_cmp_gt_i32_e32 vcc, s33, v2
	v_cndmask_b32_e32 v2, v7, v3, vcc
	v_ashrrev_i32_e32 v3, 31, v2
	;; [unrolled: 10-line block ×3, first 2 shown]
	v_lshlrev_b64 v[2:3], 2, v[2:3]
	v_mov_b32_e32 v1, s21
	v_add_co_u32_e32 v12, vcc, s11, v2
	v_addc_co_u32_e32 v13, vcc, v1, v3, vcc
	global_load_dword v3, v[4:5], off
	global_load_dword v2, v[8:9], off
	;; [unrolled: 1-line block ×4, first 2 shown]
	s_load_dwordx4 s[12:15], s[4:5], 0x8
	s_andn2_b64 vcc, exec, s[16:17]
	s_cbranch_vccnz .LBB922_8
; %bb.6:
	s_add_u32 s6, s6, s18
	s_addc_u32 s7, s7, s19
	s_load_dword s16, s[6:7], 0x0
	s_branch .LBB922_9
.LBB922_7:
	s_mov_b64 s[14:15], 0
	s_branch .LBB922_2
.LBB922_8:
	s_mov_b32 s16, s8
.LBB922_9:
	s_load_dwordx2 s[48:49], s[4:5], 0x68
	s_load_dwordx8 s[40:47], s[4:5], 0x48
	v_lshrrev_b32_e32 v62, 6, v0
	v_bfe_u32 v1, v0, 4, 2
	v_and_b32_e32 v55, 15, v0
	v_lshl_or_b32 v4, v62, 2, v1
	v_lshlrev_b32_e32 v5, 3, v55
	s_mul_i32 s25, s10, 13
	v_cmp_gt_u32_e32 vcc, 13, v4
	v_lshlrev_b32_e32 v54, 1, v5
	v_lshlrev_b32_e32 v56, 4, v0
	s_and_saveexec_b64 s[6:7], vcc
	s_cbranch_execz .LBB922_11
; %bb.10:
	s_load_dwordx2 s[18:19], s[4:5], 0x0
	s_waitcnt lgkmcnt(0)
	s_ashr_i32 s17, s40, 31
	s_mul_hi_u32 s23, s16, s40
	s_mul_i32 s17, s16, s17
	s_add_i32 s17, s23, s17
	s_mul_i32 s16, s16, s40
	s_lshl_b64 s[16:17], s[16:17], 1
	v_add_lshl_u32 v8, v4, s25, 7
	s_add_u32 s16, s18, s16
	v_ashrrev_i32_e32 v9, 31, v8
	s_addc_u32 s17, s19, s17
	v_lshlrev_b64 v[8:9], 1, v[8:9]
	v_mov_b32_e32 v5, s17
	v_add_co_u32_e32 v7, vcc, s16, v8
	v_addc_co_u32_e32 v5, vcc, v5, v9, vcc
	v_add_co_u32_e32 v8, vcc, v7, v54
	v_addc_co_u32_e32 v9, vcc, 0, v5, vcc
	global_load_dwordx4 v[8:11], v[8:9], off
	v_lshlrev_b32_e32 v7, 8, v0
	v_lshlrev_b32_e32 v5, 8, v55
	v_and_b32_e32 v7, 0x600, v7
	s_movk_i32 s16, 0x800
	v_and_or_b32 v5, v5, s16, v7
	v_lshlrev_b32_e32 v4, 5, v4
	v_and_b32_e32 v7, 16, v56
	v_or3_b32 v4, v5, v4, v7
	s_waitcnt vmcnt(0)
	ds_write_b128 v4, v[8:11]
.LBB922_11:
	s_or_b64 exec, exec, s[6:7]
	v_and_b32_e32 v7, 48, v0
	v_or_b32_e32 v14, s20, v7
	v_ashrrev_i32_e32 v4, 4, v14
	v_mov_b32_e32 v15, s22
	v_cmp_gt_i32_e32 vcc, s33, v14
	v_cndmask_b32_e32 v4, v15, v4, vcc
	v_ashrrev_i32_e32 v5, 31, v4
	v_lshlrev_b64 v[4:5], 2, v[4:5]
	v_mov_b32_e32 v8, s21
	v_add_co_u32_e32 v4, vcc, s11, v4
	v_addc_co_u32_e32 v5, vcc, v8, v5, vcc
	v_or_b32_e32 v8, 64, v14
	v_ashrrev_i32_e32 v9, 4, v8
	v_cmp_gt_i32_e32 vcc, s33, v8
	v_cndmask_b32_e32 v8, v15, v9, vcc
	v_ashrrev_i32_e32 v9, 31, v8
	v_lshlrev_b64 v[8:9], 2, v[8:9]
	v_mov_b32_e32 v10, s21
	v_add_co_u32_e32 v8, vcc, s11, v8
	v_addc_co_u32_e32 v9, vcc, v10, v9, vcc
	v_or_b32_e32 v10, 0x80, v14
	v_ashrrev_i32_e32 v11, 4, v10
	v_cmp_gt_i32_e32 vcc, s33, v10
	v_cndmask_b32_e32 v10, v15, v11, vcc
	v_ashrrev_i32_e32 v11, 31, v10
	v_lshlrev_b64 v[10:11], 2, v[10:11]
	v_mov_b32_e32 v16, s21
	v_add_co_u32_e32 v10, vcc, s11, v10
	s_load_dwordx2 s[50:51], s[4:5], 0x94
	s_waitcnt lgkmcnt(0)
	s_barrier
	v_addc_co_u32_e32 v11, vcc, v16, v11, vcc
	global_load_dword v50, v[4:5], off
	global_load_dword v57, v[8:9], off
	;; [unrolled: 1-line block ×3, first 2 shown]
	v_or_b32_e32 v4, 0xc0, v14
	v_ashrrev_i32_e32 v5, 4, v4
	v_cmp_gt_i32_e32 vcc, s33, v4
	v_cndmask_b32_e32 v4, v15, v5, vcc
	v_ashrrev_i32_e32 v5, 31, v4
	v_lshlrev_b64 v[4:5], 2, v[4:5]
	v_mov_b32_e32 v8, s21
	v_add_co_u32_e32 v4, vcc, s11, v4
	v_addc_co_u32_e32 v5, vcc, v8, v5, vcc
	s_mul_i32 s10, s10, s42
	global_load_dword v72, v[4:5], off
	s_add_u32 s6, s12, s10
	s_addc_u32 s7, s13, 0
	v_and_b32_e32 v12, 0xf0, v56
	v_mov_b32_e32 v13, s7
	v_add_co_u32_e32 v20, vcc, s6, v12
	v_addc_co_u32_e32 v21, vcc, 0, v13, vcc
	v_lshlrev_b32_e32 v28, 4, v7
	s_waitcnt vmcnt(7)
	v_mad_i64_i32 v[4:5], s[6:7], v3, s41, v[20:21]
	v_add_co_u32_e32 v4, vcc, v4, v28
	v_addc_co_u32_e32 v5, vcc, 0, v5, vcc
	global_load_dwordx4 v[38:41], v[4:5], off
	global_load_dwordx4 v[10:13], v[4:5], off offset:1024
	s_waitcnt vmcnt(8)
	v_mad_i64_i32 v[2:3], s[6:7], v2, s41, v[20:21]
	v_add_co_u32_e32 v8, vcc, v2, v28
	v_addc_co_u32_e32 v9, vcc, 0, v3, vcc
	s_waitcnt vmcnt(7)
	v_mad_i64_i32 v[6:7], s[6:7], v6, s41, v[20:21]
	v_add_co_u32_e32 v26, vcc, v6, v28
	v_addc_co_u32_e32 v27, vcc, 0, v7, vcc
	s_waitcnt vmcnt(6)
	v_mad_i64_i32 v[18:19], s[6:7], v18, s41, v[20:21]
	v_add_co_u32_e32 v30, vcc, v18, v28
	s_add_u32 s10, s14, s10
	v_lshl_or_b32 v63, v62, 4, v55
	global_load_dwordx4 v[14:17], v[8:9], off
	global_load_dwordx4 v[2:5], v[8:9], off offset:1024
	v_addc_co_u32_e32 v31, vcc, 0, v19, vcc
	s_addc_u32 s11, s15, 0
	v_lshlrev_b32_e32 v51, 4, v63
	global_load_dwordx4 v[6:9], v[26:27], off
	global_load_dwordx4 v[22:25], v[26:27], off offset:1024
	s_nop 0
	global_load_dwordx4 v[26:29], v[30:31], off
	global_load_dwordx4 v[18:21], v[30:31], off offset:1024
	v_mov_b32_e32 v30, s11
	v_add_co_u32_e32 v42, vcc, s10, v51
	v_addc_co_u32_e32 v43, vcc, 0, v30, vcc
	v_or_b32_e32 v51, 0x400, v51
	v_mov_b32_e32 v52, s11
	v_add_co_u32_e32 v58, vcc, s10, v51
	v_addc_co_u32_e32 v59, vcc, 0, v52, vcc
	v_cmp_gt_u32_e32 vcc, 13, v55
	s_mov_b32 s12, 0
	s_movk_i32 s13, 0x80
	s_movk_i32 s14, 0x7f
	s_mov_b32 s15, 0xffffff
	s_mov_b32 s16, 0x5040100
	s_waitcnt vmcnt(11)
	v_mad_i64_i32 v[30:31], s[6:7], v50, s41, v[42:43]
	s_waitcnt vmcnt(10)
	v_mad_i64_i32 v[32:33], s[6:7], v57, s41, v[42:43]
	;; [unrolled: 2-line block ×3, first 2 shown]
	global_load_dwordx4 v[34:37], v[30:31], off
	s_nop 0
	global_load_dwordx4 v[30:33], v[32:33], off
	v_mad_i64_i32 v[50:51], s[6:7], v50, s41, v[58:59]
	v_mad_i64_i32 v[60:61], s[6:7], v57, s41, v[58:59]
	s_waitcnt vmcnt(10)
	v_mad_i64_i32 v[42:43], s[6:7], v72, s41, v[42:43]
	global_load_dwordx4 v[46:49], v[44:45], off
	s_nop 0
	global_load_dwordx4 v[42:45], v[42:43], off
	s_nop 0
	;; [unrolled: 2-line block ×3, first 2 shown]
	global_load_dwordx4 v[64:67], v[60:61], off
	s_waitcnt vmcnt(13)
	buffer_store_dword v41, off, s[0:3], 0 offset:12
	buffer_store_dword v40, off, s[0:3], 0 offset:8
	v_mad_i64_i32 v[40:41], s[6:7], v68, s41, v[58:59]
	global_load_dwordx4 v[68:71], v[40:41], off
	v_mad_i64_i32 v[40:41], s[6:7], v72, s41, v[58:59]
	global_load_dwordx4 v[72:75], v[40:41], off
	s_nop 0
	buffer_store_dword v39, off, s[0:3], 0 offset:4
	buffer_store_dword v38, off, s[0:3], 0
	s_waitcnt vmcnt(18)
	buffer_store_dword v13, off, s[0:3], 0 offset:28
	buffer_store_dword v12, off, s[0:3], 0 offset:24
	;; [unrolled: 1-line block ×4, first 2 shown]
	s_waitcnt vmcnt(21)
	buffer_store_dword v17, off, s[0:3], 0 offset:44
	buffer_store_dword v16, off, s[0:3], 0 offset:40
	;; [unrolled: 1-line block ×4, first 2 shown]
	s_load_dword s6, s[4:5], 0x1c
	s_load_dwordx4 s[40:43], s[4:5], 0x80
	s_waitcnt vmcnt(24)
	buffer_store_dword v5, off, s[0:3], 0 offset:60
	buffer_store_dword v4, off, s[0:3], 0 offset:56
	;; [unrolled: 1-line block ×4, first 2 shown]
	v_add_u32_e32 v2, -13, v55
	v_cndmask_b32_e32 v2, v2, v55, vcc
	v_lshlrev_b32_e32 v2, 5, v2
	v_mov_b32_e32 v10, 0x80
	s_waitcnt vmcnt(27)
	buffer_store_dword v9, off, s[0:3], 0 offset:76
	buffer_store_dword v8, off, s[0:3], 0 offset:72
	;; [unrolled: 1-line block ×4, first 2 shown]
	v_lshl_add_u32 v14, v1, 9, v2
	v_add_u32_e32 v39, 16, v10
	v_add_u32_e32 v61, 32, v10
	;; [unrolled: 1-line block ×7, first 2 shown]
	ds_read_b128 v[2:5], v14
	ds_read_b128 v[6:9], v14 offset:16
	ds_read_b128 v[10:13], v14 offset:2048
	;; [unrolled: 1-line block ×3, first 2 shown]
	s_waitcnt vmcnt(30)
	buffer_store_dword v25, off, s[0:3], 0 offset:92
	buffer_store_dword v24, off, s[0:3], 0 offset:88
	buffer_store_dword v23, off, s[0:3], 0 offset:84
	buffer_store_dword v22, off, s[0:3], 0 offset:80
	s_waitcnt vmcnt(33)
	buffer_store_dword v29, off, s[0:3], 0 offset:108
	buffer_store_dword v28, off, s[0:3], 0 offset:104
	buffer_store_dword v27, off, s[0:3], 0 offset:100
	buffer_store_dword v26, off, s[0:3], 0 offset:96
	s_waitcnt vmcnt(36)
	buffer_store_dword v18, off, s[0:3], 0 offset:112
	buffer_store_dword v19, off, s[0:3], 0 offset:116
	buffer_store_dword v20, off, s[0:3], 0 offset:120
	buffer_store_dword v21, off, s[0:3], 0 offset:124
	s_waitcnt lgkmcnt(0)
	v_mov_b32_e32 v18, s6
	v_and_b32_e32 v38, 63, v0
	v_mov_b32_e32 v27, 0
	s_waitcnt vmcnt(39)
	buffer_store_dword v37, off, s[0:3], 0 offset:140
	buffer_store_dword v36, off, s[0:3], 0 offset:136
	buffer_store_dword v35, off, s[0:3], 0 offset:132
	buffer_store_dword v34, off, s[0:3], 0 offset:128
	s_waitcnt vmcnt(42)
	buffer_store_dword v33, off, s[0:3], 0 offset:172
	buffer_store_dword v32, off, s[0:3], 0 offset:168
	buffer_store_dword v31, off, s[0:3], 0 offset:164
	buffer_store_dword v30, off, s[0:3], 0 offset:160
	;; [unrolled: 5-line block ×7, first 2 shown]
	s_waitcnt vmcnt(58)
	buffer_store_dword v75, off, s[0:3], 0 offset:252
	s_load_dword s4, s[40:41], 0x0
	v_mov_b32_e32 v29, 0x100
	v_mov_b32_e32 v31, 0
	v_bfrev_b32_e32 v33, 60
	buffer_store_dword v74, off, s[0:3], 0 offset:248
	buffer_store_dword v73, off, s[0:3], 0 offset:244
	;; [unrolled: 1-line block ×3, first 2 shown]
	s_waitcnt lgkmcnt(0)
	v_mul_f32_e32 v22, s4, v18
	v_mov_b32_e32 v24, v22
	v_mov_b32_e32 v25, v22
	s_branch .LBB922_15
.LBB922_12:                             ;   in Loop: Header=BB922_15 Depth=1
	s_or_b64 exec, exec, s[10:11]
.LBB922_13:                             ;   in Loop: Header=BB922_15 Depth=1
	s_or_b64 exec, exec, s[6:7]
.LBB922_14:                             ;   in Loop: Header=BB922_15 Depth=1
	s_or_b64 exec, exec, s[4:5]
	v_perm_b32 v43, v36, v32, s16
	v_perm_b32 v42, v23, v34, s16
	;; [unrolled: 1-line block ×4, first 2 shown]
	v_add_u32_e32 v26, s12, v29
	v_mfma_f32_16x16x16bf16_1k v[18:21], v[42:43], v[14:15], v[18:21]
	s_add_i32 s12, s12, 16
	v_mov_b32_e32 v23, v22
	s_cmp_eq_u32 s12, 64
	v_add_u32_e32 v27, 32, v27
	v_mfma_f32_16x16x16bf16_1k v[18:21], v[36:37], v[16:17], v[18:21]
	s_nop 7
	s_nop 2
	v_pk_mul_f32 v[18:19], v[24:25], v[18:19]
	v_pk_mul_f32 v[20:21], v[22:23], v[20:21]
	buffer_store_dword v19, v26, s[0:3], 0 offen offset:4
	buffer_store_dword v18, v26, s[0:3], 0 offen
	buffer_store_dword v21, v26, s[0:3], 0 offen offset:12
	buffer_store_dword v20, v26, s[0:3], 0 offen offset:8
	s_cbranch_scc1 .LBB922_205
.LBB922_15:                             ; =>This Inner Loop Header: Depth=1
	buffer_load_dword v20, v27, s[0:3], 0 offen
	buffer_load_dword v18, v27, s[0:3], 0 offen offset:4
	buffer_load_dword v28, v27, s[0:3], 0 offen offset:8
	;; [unrolled: 1-line block ×3, first 2 shown]
	v_mov_b32_e32 v19, 0
	s_waitcnt vmcnt(3)
	v_cmp_ne_u16_sdwa s[6:7], v20, v31 src0_sel:BYTE_0 src1_sel:DWORD
	s_and_saveexec_b64 s[4:5], s[6:7]
	s_cbranch_execz .LBB922_21
; %bb.16:                               ;   in Loop: Header=BB922_15 Depth=1
	v_cmp_ne_u16_sdwa s[10:11], v20, s13 src0_sel:BYTE_0 src1_sel:DWORD
	v_mov_b32_e32 v19, 0xffff8000
	s_and_saveexec_b64 s[6:7], s[10:11]
	s_cbranch_execz .LBB922_20
; %bb.17:                               ;   in Loop: Header=BB922_15 Depth=1
	v_and_b32_e32 v21, 0x7f, v20
	v_cmp_ne_u32_e32 vcc, s14, v21
	v_mov_b32_e32 v19, 0x7f80
	s_and_saveexec_b64 s[10:11], vcc
	s_cbranch_execz .LBB922_19
; %bb.18:                               ;   in Loop: Header=BB922_15 Depth=1
	v_and_b32_e32 v19, 7, v20
	v_ffbh_u32_e32 v30, v19
	v_min_u32_e32 v30, 32, v30
	v_subrev_u32_e32 v32, 28, v30
	v_lshlrev_b64 v[34:35], v32, v[20:21]
	v_lshrrev_b32_e32 v23, 3, v21
	v_sub_u32_e32 v30, 29, v30
	v_and_b32_e32 v32, 7, v34
	v_cmp_gt_u32_e32 vcc, 8, v21
	v_cndmask_b32_e32 v21, v23, v30, vcc
	v_cndmask_b32_e32 v19, v19, v32, vcc
	v_lshlrev_b32_e32 v23, 24, v20
	v_lshlrev_b32_e32 v19, 20, v19
	v_and_b32_e32 v23, 0x80000000, v23
	v_lshl_add_u32 v21, v21, 23, v33
	v_or3_b32 v19, v23, v21, v19
	v_lshrrev_b32_e32 v19, 16, v19
.LBB922_19:                             ;   in Loop: Header=BB922_15 Depth=1
	s_or_b64 exec, exec, s[10:11]
.LBB922_20:                             ;   in Loop: Header=BB922_15 Depth=1
	s_or_b64 exec, exec, s[6:7]
.LBB922_21:                             ;   in Loop: Header=BB922_15 Depth=1
	s_or_b64 exec, exec, s[4:5]
	v_lshrrev_b16_e32 v30, 8, v20
	v_cmp_ne_u16_e32 vcc, 0, v30
	v_mov_b32_e32 v23, 0
	v_mov_b32_e32 v21, 0
	s_and_saveexec_b64 s[4:5], vcc
	s_cbranch_execz .LBB922_27
; %bb.22:                               ;   in Loop: Header=BB922_15 Depth=1
	v_cmp_ne_u16_e32 vcc, s13, v30
	v_mov_b32_e32 v21, 0xffff8000
	s_and_saveexec_b64 s[6:7], vcc
	s_cbranch_execz .LBB922_26
; %bb.23:                               ;   in Loop: Header=BB922_15 Depth=1
	v_and_b32_e32 v32, 0x7f, v30
	v_cmp_ne_u32_e32 vcc, s14, v32
	v_mov_b32_e32 v21, 0x7f80
	s_and_saveexec_b64 s[10:11], vcc
	s_cbranch_execz .LBB922_25
; %bb.24:                               ;   in Loop: Header=BB922_15 Depth=1
	v_and_b32_e32 v21, 7, v30
	v_ffbh_u32_e32 v34, v21
	v_min_u32_e32 v37, 32, v34
	v_subrev_u32_e32 v34, 28, v37
	v_lshlrev_b64 v[34:35], v34, v[30:31]
	v_lshrrev_b32_e32 v36, 3, v32
	v_sub_u32_e32 v30, 29, v37
	v_and_b32_e32 v34, 7, v34
	v_cmp_gt_u32_e32 vcc, 8, v32
	v_cndmask_b32_e32 v30, v36, v30, vcc
	v_cndmask_b32_e32 v21, v21, v34, vcc
	v_lshlrev_b32_e32 v32, 16, v20
	v_lshlrev_b32_e32 v21, 20, v21
	v_and_b32_e32 v32, 0x80000000, v32
	v_lshl_add_u32 v30, v30, 23, v33
	v_or3_b32 v21, v32, v30, v21
	v_lshrrev_b32_e32 v21, 16, v21
.LBB922_25:                             ;   in Loop: Header=BB922_15 Depth=1
	s_or_b64 exec, exec, s[10:11]
.LBB922_26:                             ;   in Loop: Header=BB922_15 Depth=1
	s_or_b64 exec, exec, s[6:7]
.LBB922_27:                             ;   in Loop: Header=BB922_15 Depth=1
	s_or_b64 exec, exec, s[4:5]
	v_lshrrev_b32_e32 v30, 16, v20
	v_cmp_ne_u16_sdwa s[6:7], v30, v31 src0_sel:BYTE_0 src1_sel:DWORD
	s_and_saveexec_b64 s[4:5], s[6:7]
	s_cbranch_execz .LBB922_33
; %bb.28:                               ;   in Loop: Header=BB922_15 Depth=1
	v_cmp_ne_u16_sdwa s[10:11], v30, s13 src0_sel:BYTE_0 src1_sel:DWORD
	v_mov_b32_e32 v23, 0xffff8000
	s_and_saveexec_b64 s[6:7], s[10:11]
	s_cbranch_execz .LBB922_32
; %bb.29:                               ;   in Loop: Header=BB922_15 Depth=1
	v_bfe_u32 v32, v20, 16, 7
	v_cmp_ne_u32_e32 vcc, s14, v32
	v_mov_b32_e32 v23, 0x7f80
	s_and_saveexec_b64 s[10:11], vcc
	s_cbranch_execz .LBB922_31
; %bb.30:                               ;   in Loop: Header=BB922_15 Depth=1
	v_and_b32_e32 v23, 7, v30
	v_ffbh_u32_e32 v34, v23
	v_min_u32_e32 v37, 32, v34
	v_subrev_u32_e32 v34, 28, v37
	v_lshlrev_b64 v[34:35], v34, v[30:31]
	v_lshrrev_b32_e32 v36, 3, v32
	v_sub_u32_e32 v35, 29, v37
	v_and_b32_e32 v34, 7, v34
	v_cmp_gt_u32_e32 vcc, 8, v32
	v_cndmask_b32_e32 v32, v36, v35, vcc
	v_cndmask_b32_e32 v23, v23, v34, vcc
	v_lshlrev_b32_e32 v30, 24, v30
	v_lshlrev_b32_e32 v23, 20, v23
	v_and_b32_e32 v30, 0x80000000, v30
	v_lshl_add_u32 v32, v32, 23, v33
	v_or3_b32 v23, v30, v32, v23
	v_lshrrev_b32_e32 v23, 16, v23
.LBB922_31:                             ;   in Loop: Header=BB922_15 Depth=1
	s_or_b64 exec, exec, s[10:11]
.LBB922_32:                             ;   in Loop: Header=BB922_15 Depth=1
	s_or_b64 exec, exec, s[6:7]
.LBB922_33:                             ;   in Loop: Header=BB922_15 Depth=1
	s_or_b64 exec, exec, s[4:5]
	v_cmp_lt_u32_e32 vcc, s15, v20
	v_mov_b32_e32 v34, 0
	v_mov_b32_e32 v35, 0
	s_and_saveexec_b64 s[4:5], vcc
	s_cbranch_execz .LBB922_39
; %bb.34:                               ;   in Loop: Header=BB922_15 Depth=1
	v_lshrrev_b32_e32 v30, 24, v20
	v_cmp_ne_u32_e32 vcc, s13, v30
	v_mov_b32_e32 v35, 0xffff8000
	s_and_saveexec_b64 s[6:7], vcc
	s_cbranch_execz .LBB922_38
; %bb.35:                               ;   in Loop: Header=BB922_15 Depth=1
	v_bfe_u32 v20, v20, 24, 7
	v_cmp_ne_u32_e32 vcc, s14, v20
	v_mov_b32_e32 v35, 0x7f80
	s_and_saveexec_b64 s[10:11], vcc
	s_cbranch_execz .LBB922_37
; %bb.36:                               ;   in Loop: Header=BB922_15 Depth=1
	v_and_b32_e32 v32, 7, v30
	v_ffbh_u32_e32 v36, v32
	v_min_u32_e32 v40, 32, v36
	v_subrev_u32_e32 v36, 28, v40
	v_lshlrev_b64 v[36:37], v36, v[30:31]
	v_lshrrev_b32_e32 v35, 3, v20
	v_sub_u32_e32 v37, 29, v40
	v_and_b32_e32 v36, 7, v36
	v_cmp_gt_u32_e32 vcc, 8, v20
	v_cndmask_b32_e32 v20, v35, v37, vcc
	v_cndmask_b32_e32 v32, v32, v36, vcc
	v_lshlrev_b32_e32 v30, 24, v30
	v_lshlrev_b32_e32 v32, 20, v32
	v_and_b32_e32 v30, 0x80000000, v30
	v_lshl_add_u32 v20, v20, 23, v33
	v_or3_b32 v20, v30, v20, v32
	v_lshrrev_b32_e32 v35, 16, v20
.LBB922_37:                             ;   in Loop: Header=BB922_15 Depth=1
	s_or_b64 exec, exec, s[10:11]
.LBB922_38:                             ;   in Loop: Header=BB922_15 Depth=1
	s_or_b64 exec, exec, s[6:7]
.LBB922_39:                             ;   in Loop: Header=BB922_15 Depth=1
	s_or_b64 exec, exec, s[4:5]
	s_waitcnt vmcnt(2)
	v_cmp_ne_u16_sdwa s[6:7], v18, v31 src0_sel:BYTE_0 src1_sel:DWORD
	s_and_saveexec_b64 s[4:5], s[6:7]
	s_cbranch_execz .LBB922_45
; %bb.40:                               ;   in Loop: Header=BB922_15 Depth=1
	v_cmp_ne_u16_sdwa s[10:11], v18, s13 src0_sel:BYTE_0 src1_sel:DWORD
	v_mov_b32_e32 v34, 0xffff8000
	s_and_saveexec_b64 s[6:7], s[10:11]
	s_cbranch_execz .LBB922_44
; %bb.41:                               ;   in Loop: Header=BB922_15 Depth=1
	v_and_b32_e32 v20, 0x7f, v18
	v_cmp_ne_u32_e32 vcc, s14, v20
	v_mov_b32_e32 v34, 0x7f80
	s_and_saveexec_b64 s[10:11], vcc
	s_cbranch_execz .LBB922_43
; %bb.42:                               ;   in Loop: Header=BB922_15 Depth=1
	v_and_b32_e32 v30, 7, v18
	v_ffbh_u32_e32 v34, v30
	v_min_u32_e32 v34, 32, v34
	v_subrev_u32_e32 v36, 28, v34
	v_lshlrev_b64 v[36:37], v36, v[18:19]
	v_lshrrev_b32_e32 v32, 3, v20
	v_sub_u32_e32 v34, 29, v34
	v_and_b32_e32 v36, 7, v36
	v_cmp_gt_u32_e32 vcc, 8, v20
	v_cndmask_b32_e32 v20, v32, v34, vcc
	v_cndmask_b32_e32 v30, v30, v36, vcc
	v_lshlrev_b32_e32 v32, 24, v18
	v_lshlrev_b32_e32 v30, 20, v30
	v_and_b32_e32 v32, 0x80000000, v32
	v_lshl_add_u32 v20, v20, 23, v33
	v_or3_b32 v20, v32, v20, v30
	v_lshrrev_b32_e32 v34, 16, v20
.LBB922_43:                             ;   in Loop: Header=BB922_15 Depth=1
	s_or_b64 exec, exec, s[10:11]
.LBB922_44:                             ;   in Loop: Header=BB922_15 Depth=1
	s_or_b64 exec, exec, s[6:7]
.LBB922_45:                             ;   in Loop: Header=BB922_15 Depth=1
	s_or_b64 exec, exec, s[4:5]
	v_lshrrev_b16_e32 v20, 8, v18
	v_cmp_ne_u16_e32 vcc, 0, v20
	v_mov_b32_e32 v36, 0
	v_mov_b32_e32 v30, 0
	s_and_saveexec_b64 s[4:5], vcc
	s_cbranch_execz .LBB922_51
; %bb.46:                               ;   in Loop: Header=BB922_15 Depth=1
	v_cmp_ne_u16_e32 vcc, s13, v20
	v_mov_b32_e32 v30, 0xffff8000
	s_and_saveexec_b64 s[6:7], vcc
	s_cbranch_execz .LBB922_50
; %bb.47:                               ;   in Loop: Header=BB922_15 Depth=1
	v_and_b32_e32 v32, 0x7f, v20
	v_cmp_ne_u32_e32 vcc, s14, v32
	v_mov_b32_e32 v30, 0x7f80
	s_and_saveexec_b64 s[10:11], vcc
	s_cbranch_execz .LBB922_49
; %bb.48:                               ;   in Loop: Header=BB922_15 Depth=1
	v_and_b32_e32 v30, 7, v20
	v_ffbh_u32_e32 v40, v30
	v_min_u32_e32 v40, 32, v40
	v_subrev_u32_e32 v42, 28, v40
	v_lshlrev_b64 v[42:43], v42, v[20:21]
	v_lshrrev_b32_e32 v37, 3, v32
	v_sub_u32_e32 v20, 29, v40
	v_and_b32_e32 v40, 7, v42
	v_cmp_gt_u32_e32 vcc, 8, v32
	v_cndmask_b32_e32 v20, v37, v20, vcc
	v_cndmask_b32_e32 v30, v30, v40, vcc
	v_lshlrev_b32_e32 v32, 16, v18
	v_lshlrev_b32_e32 v30, 20, v30
	v_and_b32_e32 v32, 0x80000000, v32
	v_lshl_add_u32 v20, v20, 23, v33
	v_or3_b32 v20, v32, v20, v30
	v_lshrrev_b32_e32 v30, 16, v20
.LBB922_49:                             ;   in Loop: Header=BB922_15 Depth=1
	s_or_b64 exec, exec, s[10:11]
.LBB922_50:                             ;   in Loop: Header=BB922_15 Depth=1
	s_or_b64 exec, exec, s[6:7]
.LBB922_51:                             ;   in Loop: Header=BB922_15 Depth=1
	s_or_b64 exec, exec, s[4:5]
	v_lshrrev_b32_e32 v20, 16, v18
	v_cmp_ne_u16_sdwa s[6:7], v20, v31 src0_sel:BYTE_0 src1_sel:DWORD
	s_and_saveexec_b64 s[4:5], s[6:7]
	s_cbranch_execz .LBB922_57
; %bb.52:                               ;   in Loop: Header=BB922_15 Depth=1
	v_cmp_ne_u16_sdwa s[10:11], v20, s13 src0_sel:BYTE_0 src1_sel:DWORD
	v_mov_b32_e32 v36, 0xffff8000
	s_and_saveexec_b64 s[6:7], s[10:11]
	s_cbranch_execz .LBB922_56
; %bb.53:                               ;   in Loop: Header=BB922_15 Depth=1
	v_bfe_u32 v32, v18, 16, 7
	v_cmp_ne_u32_e32 vcc, s14, v32
	v_mov_b32_e32 v36, 0x7f80
	s_and_saveexec_b64 s[10:11], vcc
	s_cbranch_execz .LBB922_55
; %bb.54:                               ;   in Loop: Header=BB922_15 Depth=1
	v_and_b32_e32 v40, 7, v20
	v_ffbh_u32_e32 v36, v40
	v_min_u32_e32 v43, 32, v36
	v_subrev_u32_e32 v36, 28, v43
	v_lshlrev_b64 v[36:37], v36, v[20:21]
	v_lshrrev_b32_e32 v42, 3, v32
	v_sub_u32_e32 v37, 29, v43
	v_and_b32_e32 v36, 7, v36
	v_cmp_gt_u32_e32 vcc, 8, v32
	v_cndmask_b32_e32 v32, v42, v37, vcc
	v_cndmask_b32_e32 v36, v40, v36, vcc
	v_lshlrev_b32_e32 v20, 24, v20
	v_lshlrev_b32_e32 v36, 20, v36
	v_and_b32_e32 v20, 0x80000000, v20
	v_lshl_add_u32 v32, v32, 23, v33
	v_or3_b32 v20, v20, v32, v36
	v_lshrrev_b32_e32 v36, 16, v20
.LBB922_55:                             ;   in Loop: Header=BB922_15 Depth=1
	s_or_b64 exec, exec, s[10:11]
.LBB922_56:                             ;   in Loop: Header=BB922_15 Depth=1
	s_or_b64 exec, exec, s[6:7]
.LBB922_57:                             ;   in Loop: Header=BB922_15 Depth=1
	s_or_b64 exec, exec, s[4:5]
	v_cmp_lt_u32_e32 vcc, s15, v18
	v_mov_b32_e32 v32, 0
	v_mov_b32_e32 v37, 0
	s_and_saveexec_b64 s[4:5], vcc
	s_cbranch_execz .LBB922_63
; %bb.58:                               ;   in Loop: Header=BB922_15 Depth=1
	v_lshrrev_b32_e32 v20, 24, v18
	v_cmp_ne_u32_e32 vcc, s13, v20
	v_mov_b32_e32 v37, 0xffff8000
	s_and_saveexec_b64 s[6:7], vcc
	s_cbranch_execz .LBB922_62
; %bb.59:                               ;   in Loop: Header=BB922_15 Depth=1
	v_bfe_u32 v18, v18, 24, 7
	v_cmp_ne_u32_e32 vcc, s14, v18
	v_mov_b32_e32 v37, 0x7f80
	s_and_saveexec_b64 s[10:11], vcc
	s_cbranch_execz .LBB922_61
; %bb.60:                               ;   in Loop: Header=BB922_15 Depth=1
	v_and_b32_e32 v37, 7, v20
	v_ffbh_u32_e32 v42, v37
	v_min_u32_e32 v44, 32, v42
	v_subrev_u32_e32 v42, 28, v44
	v_lshlrev_b64 v[42:43], v42, v[20:21]
	v_lshrrev_b32_e32 v40, 3, v18
	v_sub_u32_e32 v43, 29, v44
	v_and_b32_e32 v42, 7, v42
	v_cmp_gt_u32_e32 vcc, 8, v18
	v_cndmask_b32_e32 v18, v40, v43, vcc
	v_cndmask_b32_e32 v37, v37, v42, vcc
	v_lshlrev_b32_e32 v20, 24, v20
	v_lshlrev_b32_e32 v37, 20, v37
	v_and_b32_e32 v20, 0x80000000, v20
	v_lshl_add_u32 v18, v18, 23, v33
	v_or3_b32 v18, v20, v18, v37
	v_lshrrev_b32_e32 v37, 16, v18
.LBB922_61:                             ;   in Loop: Header=BB922_15 Depth=1
	s_or_b64 exec, exec, s[10:11]
.LBB922_62:                             ;   in Loop: Header=BB922_15 Depth=1
	s_or_b64 exec, exec, s[6:7]
.LBB922_63:                             ;   in Loop: Header=BB922_15 Depth=1
	s_or_b64 exec, exec, s[4:5]
	v_perm_b32 v43, v35, v23, s16
	v_perm_b32 v42, v21, v19, s16
	;; [unrolled: 1-line block ×4, first 2 shown]
	s_waitcnt vmcnt(1)
	v_cmp_ne_u16_sdwa s[6:7], v28, v31 src0_sel:BYTE_0 src1_sel:DWORD
	v_mfma_f32_16x16x16bf16_1k v[18:21], v[42:43], v[2:3], 0
	v_mfma_f32_16x16x16bf16_1k v[18:21], v[34:35], v[4:5], v[18:21]
	s_and_saveexec_b64 s[4:5], s[6:7]
	s_cbranch_execz .LBB922_69
; %bb.64:                               ;   in Loop: Header=BB922_15 Depth=1
	v_cmp_ne_u16_sdwa s[10:11], v28, s13 src0_sel:BYTE_0 src1_sel:DWORD
	v_mov_b32_e32 v32, 0xffff8000
	s_and_saveexec_b64 s[6:7], s[10:11]
	s_cbranch_execz .LBB922_68
; %bb.65:                               ;   in Loop: Header=BB922_15 Depth=1
	v_and_b32_e32 v23, 0x7f, v28
	v_cmp_ne_u32_e32 vcc, s14, v23
	v_mov_b32_e32 v32, 0x7f80
	s_and_saveexec_b64 s[10:11], vcc
	s_cbranch_execz .LBB922_67
; %bb.66:                               ;   in Loop: Header=BB922_15 Depth=1
	v_and_b32_e32 v30, 7, v28
	v_ffbh_u32_e32 v34, v30
	v_min_u32_e32 v36, 32, v34
	v_subrev_u32_e32 v34, 28, v36
	v_lshlrev_b64 v[34:35], v34, v[28:29]
	v_lshrrev_b32_e32 v32, 3, v23
	v_sub_u32_e32 v35, 29, v36
	v_and_b32_e32 v34, 7, v34
	v_cmp_gt_u32_e32 vcc, 8, v23
	v_cndmask_b32_e32 v23, v32, v35, vcc
	v_cndmask_b32_e32 v30, v30, v34, vcc
	v_lshlrev_b32_e32 v32, 24, v28
	v_lshlrev_b32_e32 v30, 20, v30
	v_and_b32_e32 v32, 0x80000000, v32
	v_lshl_add_u32 v23, v23, 23, v33
	v_or3_b32 v23, v32, v23, v30
	v_lshrrev_b32_e32 v32, 16, v23
.LBB922_67:                             ;   in Loop: Header=BB922_15 Depth=1
	s_or_b64 exec, exec, s[10:11]
.LBB922_68:                             ;   in Loop: Header=BB922_15 Depth=1
	s_or_b64 exec, exec, s[6:7]
.LBB922_69:                             ;   in Loop: Header=BB922_15 Depth=1
	s_or_b64 exec, exec, s[4:5]
	v_lshrrev_b16_e32 v30, 8, v28
	v_cmp_ne_u16_e32 vcc, 0, v30
	v_mov_b32_e32 v35, 0
	v_mov_b32_e32 v34, 0
	s_and_saveexec_b64 s[4:5], vcc
	s_cbranch_execz .LBB922_75
; %bb.70:                               ;   in Loop: Header=BB922_15 Depth=1
	v_cmp_ne_u16_e32 vcc, s13, v30
	v_mov_b32_e32 v34, 0xffff8000
	s_and_saveexec_b64 s[6:7], vcc
	s_cbranch_execz .LBB922_74
; %bb.71:                               ;   in Loop: Header=BB922_15 Depth=1
	v_and_b32_e32 v23, 0x7f, v30
	v_cmp_ne_u32_e32 vcc, s14, v23
	v_mov_b32_e32 v34, 0x7f80
	s_and_saveexec_b64 s[10:11], vcc
	s_cbranch_execz .LBB922_73
; %bb.72:                               ;   in Loop: Header=BB922_15 Depth=1
	v_and_b32_e32 v34, 7, v30
	v_ffbh_u32_e32 v36, v34
	v_min_u32_e32 v42, 32, v36
	v_subrev_u32_e32 v36, 28, v42
	v_lshlrev_b64 v[36:37], v36, v[30:31]
	v_lshrrev_b32_e32 v40, 3, v23
	v_sub_u32_e32 v30, 29, v42
	v_and_b32_e32 v36, 7, v36
	v_cmp_gt_u32_e32 vcc, 8, v23
	v_cndmask_b32_e32 v23, v40, v30, vcc
	v_cndmask_b32_e32 v30, v34, v36, vcc
	v_lshlrev_b32_e32 v34, 16, v28
	v_lshlrev_b32_e32 v30, 20, v30
	v_and_b32_e32 v34, 0x80000000, v34
	v_lshl_add_u32 v23, v23, 23, v33
	v_or3_b32 v23, v34, v23, v30
	v_lshrrev_b32_e32 v34, 16, v23
.LBB922_73:                             ;   in Loop: Header=BB922_15 Depth=1
	s_or_b64 exec, exec, s[10:11]
.LBB922_74:                             ;   in Loop: Header=BB922_15 Depth=1
	s_or_b64 exec, exec, s[6:7]
.LBB922_75:                             ;   in Loop: Header=BB922_15 Depth=1
	s_or_b64 exec, exec, s[4:5]
	v_lshrrev_b32_e32 v30, 16, v28
	v_cmp_ne_u16_sdwa s[6:7], v30, v31 src0_sel:BYTE_0 src1_sel:DWORD
	s_and_saveexec_b64 s[4:5], s[6:7]
	s_cbranch_execz .LBB922_81
; %bb.76:                               ;   in Loop: Header=BB922_15 Depth=1
	v_cmp_ne_u16_sdwa s[10:11], v30, s13 src0_sel:BYTE_0 src1_sel:DWORD
	v_mov_b32_e32 v35, 0xffff8000
	s_and_saveexec_b64 s[6:7], s[10:11]
	s_cbranch_execz .LBB922_80
; %bb.77:                               ;   in Loop: Header=BB922_15 Depth=1
	v_bfe_u32 v23, v28, 16, 7
	v_cmp_ne_u32_e32 vcc, s14, v23
	v_mov_b32_e32 v35, 0x7f80
	s_and_saveexec_b64 s[10:11], vcc
	s_cbranch_execz .LBB922_79
; %bb.78:                               ;   in Loop: Header=BB922_15 Depth=1
	v_and_b32_e32 v35, 7, v30
	v_ffbh_u32_e32 v36, v35
	v_min_u32_e32 v42, 32, v36
	v_subrev_u32_e32 v36, 28, v42
	v_lshlrev_b64 v[36:37], v36, v[30:31]
	v_lshrrev_b32_e32 v40, 3, v23
	v_sub_u32_e32 v37, 29, v42
	v_and_b32_e32 v36, 7, v36
	v_cmp_gt_u32_e32 vcc, 8, v23
	v_cndmask_b32_e32 v23, v40, v37, vcc
	v_cndmask_b32_e32 v35, v35, v36, vcc
	v_lshlrev_b32_e32 v30, 24, v30
	v_lshlrev_b32_e32 v35, 20, v35
	v_and_b32_e32 v30, 0x80000000, v30
	v_lshl_add_u32 v23, v23, 23, v33
	v_or3_b32 v23, v30, v23, v35
	v_lshrrev_b32_e32 v35, 16, v23
.LBB922_79:                             ;   in Loop: Header=BB922_15 Depth=1
	s_or_b64 exec, exec, s[10:11]
.LBB922_80:                             ;   in Loop: Header=BB922_15 Depth=1
	s_or_b64 exec, exec, s[6:7]
.LBB922_81:                             ;   in Loop: Header=BB922_15 Depth=1
	s_or_b64 exec, exec, s[4:5]
	v_cmp_lt_u32_e32 vcc, s15, v28
	v_mov_b32_e32 v36, 0
	v_mov_b32_e32 v37, 0
	s_and_saveexec_b64 s[4:5], vcc
	s_cbranch_execz .LBB922_87
; %bb.82:                               ;   in Loop: Header=BB922_15 Depth=1
	v_lshrrev_b32_e32 v30, 24, v28
	v_cmp_ne_u32_e32 vcc, s13, v30
	v_mov_b32_e32 v37, 0xffff8000
	s_and_saveexec_b64 s[6:7], vcc
	s_cbranch_execz .LBB922_86
; %bb.83:                               ;   in Loop: Header=BB922_15 Depth=1
	v_bfe_u32 v23, v28, 24, 7
	v_cmp_ne_u32_e32 vcc, s14, v23
	v_mov_b32_e32 v37, 0x7f80
	s_and_saveexec_b64 s[10:11], vcc
	s_cbranch_execz .LBB922_85
; %bb.84:                               ;   in Loop: Header=BB922_15 Depth=1
	v_and_b32_e32 v28, 7, v30
	v_ffbh_u32_e32 v40, v28
	v_min_u32_e32 v40, 32, v40
	v_subrev_u32_e32 v42, 28, v40
	v_lshlrev_b64 v[42:43], v42, v[30:31]
	v_lshrrev_b32_e32 v37, 3, v23
	v_sub_u32_e32 v40, 29, v40
	v_and_b32_e32 v42, 7, v42
	v_cmp_gt_u32_e32 vcc, 8, v23
	v_cndmask_b32_e32 v23, v37, v40, vcc
	v_cndmask_b32_e32 v28, v28, v42, vcc
	v_lshlrev_b32_e32 v30, 24, v30
	v_lshlrev_b32_e32 v28, 20, v28
	v_and_b32_e32 v30, 0x80000000, v30
	v_lshl_add_u32 v23, v23, 23, v33
	v_or3_b32 v23, v30, v23, v28
	v_lshrrev_b32_e32 v37, 16, v23
.LBB922_85:                             ;   in Loop: Header=BB922_15 Depth=1
	s_or_b64 exec, exec, s[10:11]
.LBB922_86:                             ;   in Loop: Header=BB922_15 Depth=1
	s_or_b64 exec, exec, s[6:7]
.LBB922_87:                             ;   in Loop: Header=BB922_15 Depth=1
	s_or_b64 exec, exec, s[4:5]
	s_waitcnt vmcnt(0)
	v_cmp_ne_u16_sdwa s[6:7], v26, v31 src0_sel:BYTE_0 src1_sel:DWORD
	s_and_saveexec_b64 s[4:5], s[6:7]
	s_cbranch_execz .LBB922_93
; %bb.88:                               ;   in Loop: Header=BB922_15 Depth=1
	v_cmp_ne_u16_sdwa s[10:11], v26, s13 src0_sel:BYTE_0 src1_sel:DWORD
	v_mov_b32_e32 v36, 0xffff8000
	s_and_saveexec_b64 s[6:7], s[10:11]
	s_cbranch_execz .LBB922_92
; %bb.89:                               ;   in Loop: Header=BB922_15 Depth=1
	v_and_b32_e32 v23, 0x7f, v26
	v_cmp_ne_u32_e32 vcc, s14, v23
	v_mov_b32_e32 v36, 0x7f80
	s_and_saveexec_b64 s[10:11], vcc
	s_cbranch_execz .LBB922_91
; %bb.90:                               ;   in Loop: Header=BB922_15 Depth=1
	v_and_b32_e32 v28, 7, v26
	v_ffbh_u32_e32 v36, v28
	v_min_u32_e32 v36, 32, v36
	v_subrev_u32_e32 v40, 28, v36
	v_lshlrev_b64 v[42:43], v40, v[26:27]
	v_lshrrev_b32_e32 v30, 3, v23
	v_sub_u32_e32 v36, 29, v36
	v_and_b32_e32 v40, 7, v42
	v_cmp_gt_u32_e32 vcc, 8, v23
	v_cndmask_b32_e32 v23, v30, v36, vcc
	v_cndmask_b32_e32 v28, v28, v40, vcc
	v_lshlrev_b32_e32 v30, 24, v26
	v_lshlrev_b32_e32 v28, 20, v28
	v_and_b32_e32 v30, 0x80000000, v30
	v_lshl_add_u32 v23, v23, 23, v33
	v_or3_b32 v23, v30, v23, v28
	v_lshrrev_b32_e32 v36, 16, v23
.LBB922_91:                             ;   in Loop: Header=BB922_15 Depth=1
	s_or_b64 exec, exec, s[10:11]
.LBB922_92:                             ;   in Loop: Header=BB922_15 Depth=1
	s_or_b64 exec, exec, s[6:7]
.LBB922_93:                             ;   in Loop: Header=BB922_15 Depth=1
	s_or_b64 exec, exec, s[4:5]
	v_lshrrev_b16_e32 v28, 8, v26
	v_cmp_ne_u16_e32 vcc, 0, v28
	v_mov_b32_e32 v42, 0
	v_mov_b32_e32 v40, 0
	s_and_saveexec_b64 s[4:5], vcc
	s_cbranch_execz .LBB922_99
; %bb.94:                               ;   in Loop: Header=BB922_15 Depth=1
	v_cmp_ne_u16_e32 vcc, s13, v28
	v_mov_b32_e32 v40, 0xffff8000
	s_and_saveexec_b64 s[6:7], vcc
	s_cbranch_execz .LBB922_98
; %bb.95:                               ;   in Loop: Header=BB922_15 Depth=1
	v_and_b32_e32 v23, 0x7f, v28
	v_cmp_ne_u32_e32 vcc, s14, v23
	v_mov_b32_e32 v40, 0x7f80
	s_and_saveexec_b64 s[10:11], vcc
	s_cbranch_execz .LBB922_97
; %bb.96:                               ;   in Loop: Header=BB922_15 Depth=1
	v_and_b32_e32 v30, 7, v28
	v_ffbh_u32_e32 v43, v30
	v_min_u32_e32 v43, 32, v43
	v_subrev_u32_e32 v44, 28, v43
	v_lshlrev_b64 v[44:45], v44, v[28:29]
	v_lshrrev_b32_e32 v40, 3, v23
	v_sub_u32_e32 v28, 29, v43
	v_and_b32_e32 v43, 7, v44
	v_cmp_gt_u32_e32 vcc, 8, v23
	v_cndmask_b32_e32 v23, v40, v28, vcc
	v_cndmask_b32_e32 v28, v30, v43, vcc
	v_lshlrev_b32_e32 v30, 16, v26
	v_lshlrev_b32_e32 v28, 20, v28
	v_and_b32_e32 v30, 0x80000000, v30
	v_lshl_add_u32 v23, v23, 23, v33
	v_or3_b32 v23, v30, v23, v28
	v_lshrrev_b32_e32 v40, 16, v23
.LBB922_97:                             ;   in Loop: Header=BB922_15 Depth=1
	s_or_b64 exec, exec, s[10:11]
.LBB922_98:                             ;   in Loop: Header=BB922_15 Depth=1
	s_or_b64 exec, exec, s[6:7]
.LBB922_99:                             ;   in Loop: Header=BB922_15 Depth=1
	s_or_b64 exec, exec, s[4:5]
	v_lshrrev_b32_e32 v28, 16, v26
	v_cmp_ne_u16_sdwa s[6:7], v28, v31 src0_sel:BYTE_0 src1_sel:DWORD
	s_and_saveexec_b64 s[4:5], s[6:7]
	s_cbranch_execz .LBB922_105
; %bb.100:                              ;   in Loop: Header=BB922_15 Depth=1
	v_cmp_ne_u16_sdwa s[10:11], v28, s13 src0_sel:BYTE_0 src1_sel:DWORD
	v_mov_b32_e32 v42, 0xffff8000
	s_and_saveexec_b64 s[6:7], s[10:11]
	s_cbranch_execz .LBB922_104
; %bb.101:                              ;   in Loop: Header=BB922_15 Depth=1
	v_bfe_u32 v23, v26, 16, 7
	v_cmp_ne_u32_e32 vcc, s14, v23
	v_mov_b32_e32 v42, 0x7f80
	s_and_saveexec_b64 s[10:11], vcc
	s_cbranch_execz .LBB922_103
; %bb.102:                              ;   in Loop: Header=BB922_15 Depth=1
	v_and_b32_e32 v30, 7, v28
	v_ffbh_u32_e32 v42, v30
	v_min_u32_e32 v45, 32, v42
	v_subrev_u32_e32 v42, 28, v45
	v_lshlrev_b64 v[42:43], v42, v[28:29]
	v_lshrrev_b32_e32 v44, 3, v23
	v_sub_u32_e32 v43, 29, v45
	v_and_b32_e32 v42, 7, v42
	v_cmp_gt_u32_e32 vcc, 8, v23
	v_cndmask_b32_e32 v23, v44, v43, vcc
	v_cndmask_b32_e32 v30, v30, v42, vcc
	v_lshlrev_b32_e32 v28, 24, v28
	v_lshlrev_b32_e32 v30, 20, v30
	v_and_b32_e32 v28, 0x80000000, v28
	v_lshl_add_u32 v23, v23, 23, v33
	v_or3_b32 v23, v28, v23, v30
	v_lshrrev_b32_e32 v42, 16, v23
.LBB922_103:                            ;   in Loop: Header=BB922_15 Depth=1
	s_or_b64 exec, exec, s[10:11]
.LBB922_104:                            ;   in Loop: Header=BB922_15 Depth=1
	s_or_b64 exec, exec, s[6:7]
.LBB922_105:                            ;   in Loop: Header=BB922_15 Depth=1
	s_or_b64 exec, exec, s[4:5]
	v_cmp_lt_u32_e32 vcc, s15, v26
	v_mov_b32_e32 v23, 0
	v_mov_b32_e32 v43, 0
	s_and_saveexec_b64 s[4:5], vcc
	s_cbranch_execz .LBB922_111
; %bb.106:                              ;   in Loop: Header=BB922_15 Depth=1
	v_lshrrev_b32_e32 v28, 24, v26
	v_cmp_ne_u32_e32 vcc, s13, v28
	v_mov_b32_e32 v43, 0xffff8000
	s_and_saveexec_b64 s[6:7], vcc
	s_cbranch_execz .LBB922_110
; %bb.107:                              ;   in Loop: Header=BB922_15 Depth=1
	v_bfe_u32 v26, v26, 24, 7
	v_cmp_ne_u32_e32 vcc, s14, v26
	v_mov_b32_e32 v43, 0x7f80
	s_and_saveexec_b64 s[10:11], vcc
	s_cbranch_execz .LBB922_109
; %bb.108:                              ;   in Loop: Header=BB922_15 Depth=1
	v_and_b32_e32 v30, 7, v28
	v_ffbh_u32_e32 v44, v30
	v_min_u32_e32 v46, 32, v44
	v_subrev_u32_e32 v44, 28, v46
	v_lshlrev_b64 v[44:45], v44, v[28:29]
	v_lshrrev_b32_e32 v43, 3, v26
	v_sub_u32_e32 v45, 29, v46
	v_and_b32_e32 v44, 7, v44
	v_cmp_gt_u32_e32 vcc, 8, v26
	v_cndmask_b32_e32 v26, v43, v45, vcc
	v_cndmask_b32_e32 v30, v30, v44, vcc
	v_lshlrev_b32_e32 v28, 24, v28
	v_lshlrev_b32_e32 v30, 20, v30
	v_and_b32_e32 v28, 0x80000000, v28
	v_lshl_add_u32 v26, v26, 23, v33
	v_or3_b32 v26, v28, v26, v30
	v_lshrrev_b32_e32 v43, 16, v26
.LBB922_109:                            ;   in Loop: Header=BB922_15 Depth=1
	s_or_b64 exec, exec, s[10:11]
.LBB922_110:                            ;   in Loop: Header=BB922_15 Depth=1
	s_or_b64 exec, exec, s[6:7]
.LBB922_111:                            ;   in Loop: Header=BB922_15 Depth=1
	s_or_b64 exec, exec, s[4:5]
	v_perm_b32 v34, v34, v32, s16
	buffer_load_dword v32, v27, s[0:3], 0 offen offset:16
	buffer_load_dword v30, v27, s[0:3], 0 offen offset:20
	;; [unrolled: 1-line block ×4, first 2 shown]
	v_perm_b32 v35, v37, v35, s16
	s_waitcnt vmcnt(3)
	v_cmp_ne_u16_sdwa s[6:7], v32, v31 src0_sel:BYTE_0 src1_sel:DWORD
	v_mfma_f32_16x16x16bf16_1k v[18:21], v[34:35], v[6:7], v[18:21]
	v_perm_b32 v35, v43, v42, s16
	v_perm_b32 v34, v40, v36, s16
	s_nop 1
	v_mfma_f32_16x16x16bf16_1k v[18:21], v[34:35], v[8:9], v[18:21]
	s_and_saveexec_b64 s[4:5], s[6:7]
	s_cbranch_execz .LBB922_117
; %bb.112:                              ;   in Loop: Header=BB922_15 Depth=1
	v_cmp_ne_u16_sdwa s[10:11], v32, s13 src0_sel:BYTE_0 src1_sel:DWORD
	v_mov_b32_e32 v23, 0xffff8000
	s_and_saveexec_b64 s[6:7], s[10:11]
	s_cbranch_execz .LBB922_116
; %bb.113:                              ;   in Loop: Header=BB922_15 Depth=1
	v_and_b32_e32 v34, 0x7f, v32
	v_cmp_ne_u32_e32 vcc, s14, v34
	v_mov_b32_e32 v23, 0x7f80
	s_and_saveexec_b64 s[10:11], vcc
	s_cbranch_execz .LBB922_115
; %bb.114:                              ;   in Loop: Header=BB922_15 Depth=1
	v_and_b32_e32 v23, 7, v32
	v_ffbh_u32_e32 v36, v23
	v_min_u32_e32 v40, 32, v36
	v_subrev_u32_e32 v36, 28, v40
	v_lshlrev_b64 v[36:37], v36, v[32:33]
	v_lshrrev_b32_e32 v35, 3, v34
	v_sub_u32_e32 v37, 29, v40
	v_and_b32_e32 v36, 7, v36
	v_cmp_gt_u32_e32 vcc, 8, v34
	v_cndmask_b32_e32 v34, v35, v37, vcc
	v_cndmask_b32_e32 v23, v23, v36, vcc
	v_lshlrev_b32_e32 v35, 24, v32
	v_lshlrev_b32_e32 v23, 20, v23
	v_and_b32_e32 v35, 0x80000000, v35
	v_lshl_add_u32 v34, v34, 23, v33
	v_or3_b32 v23, v35, v34, v23
	v_lshrrev_b32_e32 v23, 16, v23
.LBB922_115:                            ;   in Loop: Header=BB922_15 Depth=1
	s_or_b64 exec, exec, s[10:11]
.LBB922_116:                            ;   in Loop: Header=BB922_15 Depth=1
	s_or_b64 exec, exec, s[6:7]
.LBB922_117:                            ;   in Loop: Header=BB922_15 Depth=1
	s_or_b64 exec, exec, s[4:5]
	v_lshrrev_b16_e32 v34, 8, v32
	v_cmp_ne_u16_e32 vcc, 0, v34
	v_mov_b32_e32 v36, 0
	v_mov_b32_e32 v35, 0
	s_and_saveexec_b64 s[4:5], vcc
	s_cbranch_execz .LBB922_123
; %bb.118:                              ;   in Loop: Header=BB922_15 Depth=1
	v_cmp_ne_u16_e32 vcc, s13, v34
	v_mov_b32_e32 v35, 0xffff8000
	s_and_saveexec_b64 s[6:7], vcc
	s_cbranch_execz .LBB922_122
; %bb.119:                              ;   in Loop: Header=BB922_15 Depth=1
	v_and_b32_e32 v37, 0x7f, v34
	v_cmp_ne_u32_e32 vcc, s14, v37
	v_mov_b32_e32 v35, 0x7f80
	s_and_saveexec_b64 s[10:11], vcc
	s_cbranch_execz .LBB922_121
; %bb.120:                              ;   in Loop: Header=BB922_15 Depth=1
	v_and_b32_e32 v40, 7, v34
	v_ffbh_u32_e32 v35, v40
	v_min_u32_e32 v43, 32, v35
	v_subrev_u32_e32 v35, 28, v43
	v_lshlrev_b64 v[34:35], v35, v[34:35]
	v_lshrrev_b32_e32 v42, 3, v37
	v_sub_u32_e32 v35, 29, v43
	v_and_b32_e32 v34, 7, v34
	v_cmp_gt_u32_e32 vcc, 8, v37
	v_cndmask_b32_e32 v35, v42, v35, vcc
	v_cndmask_b32_e32 v34, v40, v34, vcc
	v_lshlrev_b32_e32 v37, 16, v32
	v_lshlrev_b32_e32 v34, 20, v34
	v_and_b32_e32 v37, 0x80000000, v37
	v_lshl_add_u32 v35, v35, 23, v33
	v_or3_b32 v34, v37, v35, v34
	v_lshrrev_b32_e32 v35, 16, v34
.LBB922_121:                            ;   in Loop: Header=BB922_15 Depth=1
	s_or_b64 exec, exec, s[10:11]
.LBB922_122:                            ;   in Loop: Header=BB922_15 Depth=1
	s_or_b64 exec, exec, s[6:7]
.LBB922_123:                            ;   in Loop: Header=BB922_15 Depth=1
	s_or_b64 exec, exec, s[4:5]
	v_lshrrev_b32_e32 v34, 16, v32
	v_cmp_ne_u16_sdwa s[6:7], v34, v31 src0_sel:BYTE_0 src1_sel:DWORD
	s_and_saveexec_b64 s[4:5], s[6:7]
	s_cbranch_execz .LBB922_129
; %bb.124:                              ;   in Loop: Header=BB922_15 Depth=1
	v_cmp_ne_u16_sdwa s[10:11], v34, s13 src0_sel:BYTE_0 src1_sel:DWORD
	v_mov_b32_e32 v36, 0xffff8000
	s_and_saveexec_b64 s[6:7], s[10:11]
	s_cbranch_execz .LBB922_128
; %bb.125:                              ;   in Loop: Header=BB922_15 Depth=1
	v_bfe_u32 v37, v32, 16, 7
	v_cmp_ne_u32_e32 vcc, s14, v37
	v_mov_b32_e32 v36, 0x7f80
	s_and_saveexec_b64 s[10:11], vcc
	s_cbranch_execz .LBB922_127
; %bb.126:                              ;   in Loop: Header=BB922_15 Depth=1
	v_and_b32_e32 v36, 7, v34
	v_ffbh_u32_e32 v42, v36
	v_min_u32_e32 v44, 32, v42
	v_subrev_u32_e32 v42, 28, v44
	v_lshlrev_b64 v[42:43], v42, v[34:35]
	v_lshrrev_b32_e32 v40, 3, v37
	v_sub_u32_e32 v43, 29, v44
	v_and_b32_e32 v42, 7, v42
	v_cmp_gt_u32_e32 vcc, 8, v37
	v_cndmask_b32_e32 v37, v40, v43, vcc
	v_cndmask_b32_e32 v36, v36, v42, vcc
	v_lshlrev_b32_e32 v34, 24, v34
	v_lshlrev_b32_e32 v36, 20, v36
	v_and_b32_e32 v34, 0x80000000, v34
	v_lshl_add_u32 v37, v37, 23, v33
	v_or3_b32 v34, v34, v37, v36
	v_lshrrev_b32_e32 v36, 16, v34
.LBB922_127:                            ;   in Loop: Header=BB922_15 Depth=1
	s_or_b64 exec, exec, s[10:11]
.LBB922_128:                            ;   in Loop: Header=BB922_15 Depth=1
	s_or_b64 exec, exec, s[6:7]
.LBB922_129:                            ;   in Loop: Header=BB922_15 Depth=1
	s_or_b64 exec, exec, s[4:5]
	v_cmp_lt_u32_e32 vcc, s15, v32
	v_mov_b32_e32 v37, 0
	v_mov_b32_e32 v40, 0
	s_and_saveexec_b64 s[4:5], vcc
	s_cbranch_execz .LBB922_135
; %bb.130:                              ;   in Loop: Header=BB922_15 Depth=1
	v_lshrrev_b32_e32 v34, 24, v32
	v_cmp_ne_u32_e32 vcc, s13, v34
	v_mov_b32_e32 v40, 0xffff8000
	s_and_saveexec_b64 s[6:7], vcc
	s_cbranch_execz .LBB922_134
; %bb.131:                              ;   in Loop: Header=BB922_15 Depth=1
	v_bfe_u32 v32, v32, 24, 7
	v_cmp_ne_u32_e32 vcc, s14, v32
	v_mov_b32_e32 v40, 0x7f80
	s_and_saveexec_b64 s[10:11], vcc
	s_cbranch_execz .LBB922_133
; %bb.132:                              ;   in Loop: Header=BB922_15 Depth=1
	v_and_b32_e32 v40, 7, v34
	v_ffbh_u32_e32 v42, v40
	v_min_u32_e32 v45, 32, v42
	v_subrev_u32_e32 v42, 28, v45
	v_lshlrev_b64 v[42:43], v42, v[34:35]
	v_lshrrev_b32_e32 v44, 3, v32
	v_sub_u32_e32 v43, 29, v45
	v_and_b32_e32 v42, 7, v42
	v_cmp_gt_u32_e32 vcc, 8, v32
	v_cndmask_b32_e32 v32, v44, v43, vcc
	v_cndmask_b32_e32 v40, v40, v42, vcc
	v_lshlrev_b32_e32 v34, 24, v34
	v_lshlrev_b32_e32 v40, 20, v40
	v_and_b32_e32 v34, 0x80000000, v34
	v_lshl_add_u32 v32, v32, 23, v33
	v_or3_b32 v32, v34, v32, v40
	v_lshrrev_b32_e32 v40, 16, v32
.LBB922_133:                            ;   in Loop: Header=BB922_15 Depth=1
	s_or_b64 exec, exec, s[10:11]
.LBB922_134:                            ;   in Loop: Header=BB922_15 Depth=1
	s_or_b64 exec, exec, s[6:7]
.LBB922_135:                            ;   in Loop: Header=BB922_15 Depth=1
	s_or_b64 exec, exec, s[4:5]
	s_waitcnt vmcnt(2)
	v_cmp_ne_u16_sdwa s[6:7], v30, v31 src0_sel:BYTE_0 src1_sel:DWORD
	s_and_saveexec_b64 s[4:5], s[6:7]
	s_cbranch_execz .LBB922_141
; %bb.136:                              ;   in Loop: Header=BB922_15 Depth=1
	v_cmp_ne_u16_sdwa s[10:11], v30, s13 src0_sel:BYTE_0 src1_sel:DWORD
	v_mov_b32_e32 v37, 0xffff8000
	s_and_saveexec_b64 s[6:7], s[10:11]
	s_cbranch_execz .LBB922_140
; %bb.137:                              ;   in Loop: Header=BB922_15 Depth=1
	v_and_b32_e32 v32, 0x7f, v30
	v_cmp_ne_u32_e32 vcc, s14, v32
	v_mov_b32_e32 v37, 0x7f80
	s_and_saveexec_b64 s[10:11], vcc
	s_cbranch_execz .LBB922_139
; %bb.138:                              ;   in Loop: Header=BB922_15 Depth=1
	v_and_b32_e32 v34, 7, v30
	v_ffbh_u32_e32 v42, v34
	v_min_u32_e32 v44, 32, v42
	v_subrev_u32_e32 v42, 28, v44
	v_lshlrev_b64 v[42:43], v42, v[30:31]
	v_lshrrev_b32_e32 v37, 3, v32
	v_sub_u32_e32 v43, 29, v44
	v_and_b32_e32 v42, 7, v42
	v_cmp_gt_u32_e32 vcc, 8, v32
	v_cndmask_b32_e32 v32, v37, v43, vcc
	v_cndmask_b32_e32 v34, v34, v42, vcc
	v_lshlrev_b32_e32 v37, 24, v30
	v_lshlrev_b32_e32 v34, 20, v34
	v_and_b32_e32 v37, 0x80000000, v37
	v_lshl_add_u32 v32, v32, 23, v33
	v_or3_b32 v32, v37, v32, v34
	v_lshrrev_b32_e32 v37, 16, v32
.LBB922_139:                            ;   in Loop: Header=BB922_15 Depth=1
	s_or_b64 exec, exec, s[10:11]
.LBB922_140:                            ;   in Loop: Header=BB922_15 Depth=1
	s_or_b64 exec, exec, s[6:7]
.LBB922_141:                            ;   in Loop: Header=BB922_15 Depth=1
	s_or_b64 exec, exec, s[4:5]
	v_lshrrev_b16_e32 v32, 8, v30
	v_cmp_ne_u16_e32 vcc, 0, v32
	v_mov_b32_e32 v43, 0
	v_mov_b32_e32 v42, 0
	s_and_saveexec_b64 s[4:5], vcc
	s_cbranch_execz .LBB922_147
; %bb.142:                              ;   in Loop: Header=BB922_15 Depth=1
	v_cmp_ne_u16_e32 vcc, s13, v32
	v_mov_b32_e32 v42, 0xffff8000
	s_and_saveexec_b64 s[6:7], vcc
	s_cbranch_execz .LBB922_146
; %bb.143:                              ;   in Loop: Header=BB922_15 Depth=1
	v_and_b32_e32 v34, 0x7f, v32
	v_cmp_ne_u32_e32 vcc, s14, v34
	v_mov_b32_e32 v42, 0x7f80
	s_and_saveexec_b64 s[10:11], vcc
	s_cbranch_execz .LBB922_145
; %bb.144:                              ;   in Loop: Header=BB922_15 Depth=1
	v_and_b32_e32 v42, 7, v32
	v_ffbh_u32_e32 v44, v42
	v_min_u32_e32 v47, 32, v44
	v_subrev_u32_e32 v44, 28, v47
	v_lshlrev_b64 v[44:45], v44, v[32:33]
	v_lshrrev_b32_e32 v46, 3, v34
	v_sub_u32_e32 v32, 29, v47
	v_and_b32_e32 v44, 7, v44
	v_cmp_gt_u32_e32 vcc, 8, v34
	v_cndmask_b32_e32 v32, v46, v32, vcc
	v_cndmask_b32_e32 v34, v42, v44, vcc
	v_lshlrev_b32_e32 v42, 16, v30
	v_lshlrev_b32_e32 v34, 20, v34
	v_and_b32_e32 v42, 0x80000000, v42
	v_lshl_add_u32 v32, v32, 23, v33
	v_or3_b32 v32, v42, v32, v34
	v_lshrrev_b32_e32 v42, 16, v32
.LBB922_145:                            ;   in Loop: Header=BB922_15 Depth=1
	s_or_b64 exec, exec, s[10:11]
.LBB922_146:                            ;   in Loop: Header=BB922_15 Depth=1
	s_or_b64 exec, exec, s[6:7]
.LBB922_147:                            ;   in Loop: Header=BB922_15 Depth=1
	s_or_b64 exec, exec, s[4:5]
	v_lshrrev_b32_e32 v32, 16, v30
	v_cmp_ne_u16_sdwa s[6:7], v32, v31 src0_sel:BYTE_0 src1_sel:DWORD
	s_and_saveexec_b64 s[4:5], s[6:7]
	s_cbranch_execz .LBB922_153
; %bb.148:                              ;   in Loop: Header=BB922_15 Depth=1
	v_cmp_ne_u16_sdwa s[10:11], v32, s13 src0_sel:BYTE_0 src1_sel:DWORD
	v_mov_b32_e32 v43, 0xffff8000
	s_and_saveexec_b64 s[6:7], s[10:11]
	s_cbranch_execz .LBB922_152
; %bb.149:                              ;   in Loop: Header=BB922_15 Depth=1
	v_bfe_u32 v34, v30, 16, 7
	v_cmp_ne_u32_e32 vcc, s14, v34
	v_mov_b32_e32 v43, 0x7f80
	s_and_saveexec_b64 s[10:11], vcc
	s_cbranch_execz .LBB922_151
; %bb.150:                              ;   in Loop: Header=BB922_15 Depth=1
	v_and_b32_e32 v43, 7, v32
	v_ffbh_u32_e32 v44, v43
	v_min_u32_e32 v47, 32, v44
	v_subrev_u32_e32 v44, 28, v47
	v_lshlrev_b64 v[44:45], v44, v[32:33]
	v_lshrrev_b32_e32 v46, 3, v34
	v_sub_u32_e32 v45, 29, v47
	v_and_b32_e32 v44, 7, v44
	v_cmp_gt_u32_e32 vcc, 8, v34
	v_cndmask_b32_e32 v34, v46, v45, vcc
	v_cndmask_b32_e32 v43, v43, v44, vcc
	v_lshlrev_b32_e32 v32, 24, v32
	v_lshlrev_b32_e32 v43, 20, v43
	v_and_b32_e32 v32, 0x80000000, v32
	v_lshl_add_u32 v34, v34, 23, v33
	v_or3_b32 v32, v32, v34, v43
	v_lshrrev_b32_e32 v43, 16, v32
.LBB922_151:                            ;   in Loop: Header=BB922_15 Depth=1
	s_or_b64 exec, exec, s[10:11]
.LBB922_152:                            ;   in Loop: Header=BB922_15 Depth=1
	s_or_b64 exec, exec, s[6:7]
.LBB922_153:                            ;   in Loop: Header=BB922_15 Depth=1
	s_or_b64 exec, exec, s[4:5]
	v_cmp_lt_u32_e32 vcc, s15, v30
	v_mov_b32_e32 v34, 0
	v_mov_b32_e32 v44, 0
	s_and_saveexec_b64 s[4:5], vcc
	s_cbranch_execz .LBB922_159
; %bb.154:                              ;   in Loop: Header=BB922_15 Depth=1
	v_lshrrev_b32_e32 v32, 24, v30
	v_cmp_ne_u32_e32 vcc, s13, v32
	v_mov_b32_e32 v44, 0xffff8000
	s_and_saveexec_b64 s[6:7], vcc
	s_cbranch_execz .LBB922_158
; %bb.155:                              ;   in Loop: Header=BB922_15 Depth=1
	v_bfe_u32 v30, v30, 24, 7
	v_cmp_ne_u32_e32 vcc, s14, v30
	v_mov_b32_e32 v44, 0x7f80
	s_and_saveexec_b64 s[10:11], vcc
	s_cbranch_execz .LBB922_157
; %bb.156:                              ;   in Loop: Header=BB922_15 Depth=1
	v_and_b32_e32 v46, 7, v32
	v_ffbh_u32_e32 v44, v46
	v_min_u32_e32 v48, 32, v44
	v_subrev_u32_e32 v44, 28, v48
	v_lshlrev_b64 v[44:45], v44, v[32:33]
	v_lshrrev_b32_e32 v47, 3, v30
	v_sub_u32_e32 v45, 29, v48
	v_and_b32_e32 v44, 7, v44
	v_cmp_gt_u32_e32 vcc, 8, v30
	v_cndmask_b32_e32 v30, v47, v45, vcc
	v_cndmask_b32_e32 v44, v46, v44, vcc
	v_lshlrev_b32_e32 v32, 24, v32
	v_lshlrev_b32_e32 v44, 20, v44
	v_and_b32_e32 v32, 0x80000000, v32
	v_lshl_add_u32 v30, v30, 23, v33
	v_or3_b32 v30, v32, v30, v44
	v_lshrrev_b32_e32 v44, 16, v30
.LBB922_157:                            ;   in Loop: Header=BB922_15 Depth=1
	s_or_b64 exec, exec, s[10:11]
.LBB922_158:                            ;   in Loop: Header=BB922_15 Depth=1
	s_or_b64 exec, exec, s[6:7]
.LBB922_159:                            ;   in Loop: Header=BB922_15 Depth=1
	s_or_b64 exec, exec, s[4:5]
	v_perm_b32 v47, v40, v36, s16
	v_perm_b32 v46, v35, v23, s16
	;; [unrolled: 1-line block ×4, first 2 shown]
	s_waitcnt vmcnt(1)
	v_cmp_ne_u16_sdwa s[6:7], v28, v31 src0_sel:BYTE_0 src1_sel:DWORD
	v_mfma_f32_16x16x16bf16_1k v[18:21], v[46:47], v[10:11], v[18:21]
	v_mfma_f32_16x16x16bf16_1k v[18:21], v[42:43], v[12:13], v[18:21]
	s_and_saveexec_b64 s[4:5], s[6:7]
	s_cbranch_execz .LBB922_165
; %bb.160:                              ;   in Loop: Header=BB922_15 Depth=1
	v_cmp_ne_u16_sdwa s[10:11], v28, s13 src0_sel:BYTE_0 src1_sel:DWORD
	v_mov_b32_e32 v34, 0xffff8000
	s_and_saveexec_b64 s[6:7], s[10:11]
	s_cbranch_execz .LBB922_164
; %bb.161:                              ;   in Loop: Header=BB922_15 Depth=1
	v_and_b32_e32 v23, 0x7f, v28
	v_cmp_ne_u32_e32 vcc, s14, v23
	v_mov_b32_e32 v34, 0x7f80
	s_and_saveexec_b64 s[10:11], vcc
	s_cbranch_execz .LBB922_163
; %bb.162:                              ;   in Loop: Header=BB922_15 Depth=1
	v_and_b32_e32 v30, 7, v28
	v_ffbh_u32_e32 v34, v30
	v_min_u32_e32 v36, 32, v34
	v_subrev_u32_e32 v34, 28, v36
	v_lshlrev_b64 v[34:35], v34, v[28:29]
	v_lshrrev_b32_e32 v32, 3, v23
	v_sub_u32_e32 v35, 29, v36
	v_and_b32_e32 v34, 7, v34
	v_cmp_gt_u32_e32 vcc, 8, v23
	v_cndmask_b32_e32 v23, v32, v35, vcc
	v_cndmask_b32_e32 v30, v30, v34, vcc
	v_lshlrev_b32_e32 v32, 24, v28
	v_lshlrev_b32_e32 v30, 20, v30
	v_and_b32_e32 v32, 0x80000000, v32
	v_lshl_add_u32 v23, v23, 23, v33
	v_or3_b32 v23, v32, v23, v30
	v_lshrrev_b32_e32 v34, 16, v23
.LBB922_163:                            ;   in Loop: Header=BB922_15 Depth=1
	s_or_b64 exec, exec, s[10:11]
.LBB922_164:                            ;   in Loop: Header=BB922_15 Depth=1
	s_or_b64 exec, exec, s[6:7]
.LBB922_165:                            ;   in Loop: Header=BB922_15 Depth=1
	s_or_b64 exec, exec, s[4:5]
	v_lshrrev_b16_e32 v30, 8, v28
	v_cmp_ne_u16_e32 vcc, 0, v30
	v_mov_b32_e32 v32, 0
	v_mov_b32_e32 v23, 0
	s_and_saveexec_b64 s[4:5], vcc
	s_cbranch_execz .LBB922_171
; %bb.166:                              ;   in Loop: Header=BB922_15 Depth=1
	v_cmp_ne_u16_e32 vcc, s13, v30
	v_mov_b32_e32 v23, 0xffff8000
	s_and_saveexec_b64 s[6:7], vcc
	s_cbranch_execz .LBB922_170
; %bb.167:                              ;   in Loop: Header=BB922_15 Depth=1
	v_and_b32_e32 v35, 0x7f, v30
	v_cmp_ne_u32_e32 vcc, s14, v35
	v_mov_b32_e32 v23, 0x7f80
	s_and_saveexec_b64 s[10:11], vcc
	s_cbranch_execz .LBB922_169
; %bb.168:                              ;   in Loop: Header=BB922_15 Depth=1
	v_and_b32_e32 v23, 7, v30
	v_ffbh_u32_e32 v36, v23
	v_min_u32_e32 v42, 32, v36
	v_subrev_u32_e32 v36, 28, v42
	v_lshlrev_b64 v[36:37], v36, v[30:31]
	v_lshrrev_b32_e32 v40, 3, v35
	v_sub_u32_e32 v30, 29, v42
	v_and_b32_e32 v36, 7, v36
	v_cmp_gt_u32_e32 vcc, 8, v35
	v_cndmask_b32_e32 v30, v40, v30, vcc
	v_cndmask_b32_e32 v23, v23, v36, vcc
	v_lshlrev_b32_e32 v35, 16, v28
	v_lshlrev_b32_e32 v23, 20, v23
	v_and_b32_e32 v35, 0x80000000, v35
	v_lshl_add_u32 v30, v30, 23, v33
	v_or3_b32 v23, v35, v30, v23
	v_lshrrev_b32_e32 v23, 16, v23
.LBB922_169:                            ;   in Loop: Header=BB922_15 Depth=1
	s_or_b64 exec, exec, s[10:11]
.LBB922_170:                            ;   in Loop: Header=BB922_15 Depth=1
	s_or_b64 exec, exec, s[6:7]
.LBB922_171:                            ;   in Loop: Header=BB922_15 Depth=1
	s_or_b64 exec, exec, s[4:5]
	v_lshrrev_b32_e32 v30, 16, v28
	v_cmp_ne_u16_sdwa s[6:7], v30, v31 src0_sel:BYTE_0 src1_sel:DWORD
	s_and_saveexec_b64 s[4:5], s[6:7]
	s_cbranch_execz .LBB922_177
; %bb.172:                              ;   in Loop: Header=BB922_15 Depth=1
	v_cmp_ne_u16_sdwa s[10:11], v30, s13 src0_sel:BYTE_0 src1_sel:DWORD
	v_mov_b32_e32 v32, 0xffff8000
	s_and_saveexec_b64 s[6:7], s[10:11]
	s_cbranch_execz .LBB922_176
; %bb.173:                              ;   in Loop: Header=BB922_15 Depth=1
	v_bfe_u32 v35, v28, 16, 7
	v_cmp_ne_u32_e32 vcc, s14, v35
	v_mov_b32_e32 v32, 0x7f80
	s_and_saveexec_b64 s[10:11], vcc
	s_cbranch_execz .LBB922_175
; %bb.174:                              ;   in Loop: Header=BB922_15 Depth=1
	v_and_b32_e32 v32, 7, v30
	v_ffbh_u32_e32 v36, v32
	v_min_u32_e32 v42, 32, v36
	v_subrev_u32_e32 v36, 28, v42
	v_lshlrev_b64 v[36:37], v36, v[30:31]
	v_lshrrev_b32_e32 v40, 3, v35
	v_sub_u32_e32 v37, 29, v42
	v_and_b32_e32 v36, 7, v36
	v_cmp_gt_u32_e32 vcc, 8, v35
	v_cndmask_b32_e32 v35, v40, v37, vcc
	v_cndmask_b32_e32 v32, v32, v36, vcc
	v_lshlrev_b32_e32 v30, 24, v30
	v_lshlrev_b32_e32 v32, 20, v32
	v_and_b32_e32 v30, 0x80000000, v30
	v_lshl_add_u32 v35, v35, 23, v33
	v_or3_b32 v30, v30, v35, v32
	v_lshrrev_b32_e32 v32, 16, v30
.LBB922_175:                            ;   in Loop: Header=BB922_15 Depth=1
	s_or_b64 exec, exec, s[10:11]
.LBB922_176:                            ;   in Loop: Header=BB922_15 Depth=1
	s_or_b64 exec, exec, s[6:7]
.LBB922_177:                            ;   in Loop: Header=BB922_15 Depth=1
	s_or_b64 exec, exec, s[4:5]
	v_cmp_lt_u32_e32 vcc, s15, v28
	v_mov_b32_e32 v35, 0
	v_mov_b32_e32 v36, 0
	s_and_saveexec_b64 s[4:5], vcc
	s_cbranch_execz .LBB922_183
; %bb.178:                              ;   in Loop: Header=BB922_15 Depth=1
	v_lshrrev_b32_e32 v30, 24, v28
	v_cmp_ne_u32_e32 vcc, s13, v30
	v_mov_b32_e32 v36, 0xffff8000
	s_and_saveexec_b64 s[6:7], vcc
	s_cbranch_execz .LBB922_182
; %bb.179:                              ;   in Loop: Header=BB922_15 Depth=1
	v_bfe_u32 v28, v28, 24, 7
	v_cmp_ne_u32_e32 vcc, s14, v28
	v_mov_b32_e32 v36, 0x7f80
	s_and_saveexec_b64 s[10:11], vcc
	s_cbranch_execz .LBB922_181
; %bb.180:                              ;   in Loop: Header=BB922_15 Depth=1
	v_and_b32_e32 v40, 7, v30
	v_ffbh_u32_e32 v36, v40
	v_min_u32_e32 v43, 32, v36
	v_subrev_u32_e32 v36, 28, v43
	v_lshlrev_b64 v[36:37], v36, v[30:31]
	v_lshrrev_b32_e32 v42, 3, v28
	v_sub_u32_e32 v37, 29, v43
	v_and_b32_e32 v36, 7, v36
	v_cmp_gt_u32_e32 vcc, 8, v28
	v_cndmask_b32_e32 v28, v42, v37, vcc
	v_cndmask_b32_e32 v36, v40, v36, vcc
	v_lshlrev_b32_e32 v30, 24, v30
	v_lshlrev_b32_e32 v36, 20, v36
	v_and_b32_e32 v30, 0x80000000, v30
	v_lshl_add_u32 v28, v28, 23, v33
	v_or3_b32 v28, v30, v28, v36
	v_lshrrev_b32_e32 v36, 16, v28
.LBB922_181:                            ;   in Loop: Header=BB922_15 Depth=1
	s_or_b64 exec, exec, s[10:11]
.LBB922_182:                            ;   in Loop: Header=BB922_15 Depth=1
	s_or_b64 exec, exec, s[6:7]
.LBB922_183:                            ;   in Loop: Header=BB922_15 Depth=1
	s_or_b64 exec, exec, s[4:5]
	s_waitcnt vmcnt(0)
	v_cmp_ne_u16_sdwa s[6:7], v26, v31 src0_sel:BYTE_0 src1_sel:DWORD
	s_and_saveexec_b64 s[4:5], s[6:7]
	s_cbranch_execz .LBB922_189
; %bb.184:                              ;   in Loop: Header=BB922_15 Depth=1
	v_cmp_ne_u16_sdwa s[10:11], v26, s13 src0_sel:BYTE_0 src1_sel:DWORD
	v_mov_b32_e32 v35, 0xffff8000
	s_and_saveexec_b64 s[6:7], s[10:11]
	s_cbranch_execz .LBB922_188
; %bb.185:                              ;   in Loop: Header=BB922_15 Depth=1
	v_and_b32_e32 v28, 0x7f, v26
	v_cmp_ne_u32_e32 vcc, s14, v28
	v_mov_b32_e32 v35, 0x7f80
	s_and_saveexec_b64 s[10:11], vcc
	s_cbranch_execz .LBB922_187
; %bb.186:                              ;   in Loop: Header=BB922_15 Depth=1
	v_and_b32_e32 v30, 7, v26
	v_ffbh_u32_e32 v37, v30
	v_min_u32_e32 v37, 32, v37
	v_subrev_u32_e32 v40, 28, v37
	v_lshlrev_b64 v[42:43], v40, v[26:27]
	v_lshrrev_b32_e32 v35, 3, v28
	v_sub_u32_e32 v37, 29, v37
	v_and_b32_e32 v40, 7, v42
	v_cmp_gt_u32_e32 vcc, 8, v28
	v_cndmask_b32_e32 v28, v35, v37, vcc
	v_cndmask_b32_e32 v30, v30, v40, vcc
	v_lshlrev_b32_e32 v35, 24, v26
	v_lshlrev_b32_e32 v30, 20, v30
	v_and_b32_e32 v35, 0x80000000, v35
	v_lshl_add_u32 v28, v28, 23, v33
	v_or3_b32 v28, v35, v28, v30
	v_lshrrev_b32_e32 v35, 16, v28
.LBB922_187:                            ;   in Loop: Header=BB922_15 Depth=1
	s_or_b64 exec, exec, s[10:11]
.LBB922_188:                            ;   in Loop: Header=BB922_15 Depth=1
	s_or_b64 exec, exec, s[6:7]
.LBB922_189:                            ;   in Loop: Header=BB922_15 Depth=1
	s_or_b64 exec, exec, s[4:5]
	v_lshrrev_b16_e32 v28, 8, v26
	v_cmp_ne_u16_e32 vcc, 0, v28
	v_mov_b32_e32 v37, 0
	v_mov_b32_e32 v30, 0
	s_and_saveexec_b64 s[4:5], vcc
	s_cbranch_execz .LBB922_195
; %bb.190:                              ;   in Loop: Header=BB922_15 Depth=1
	v_cmp_ne_u16_e32 vcc, s13, v28
	v_mov_b32_e32 v30, 0xffff8000
	s_and_saveexec_b64 s[6:7], vcc
	s_cbranch_execz .LBB922_194
; %bb.191:                              ;   in Loop: Header=BB922_15 Depth=1
	v_and_b32_e32 v40, 0x7f, v28
	v_cmp_ne_u32_e32 vcc, s14, v40
	v_mov_b32_e32 v30, 0x7f80
	s_and_saveexec_b64 s[10:11], vcc
	s_cbranch_execz .LBB922_193
; %bb.192:                              ;   in Loop: Header=BB922_15 Depth=1
	v_and_b32_e32 v30, 7, v28
	v_ffbh_u32_e32 v42, v30
	v_min_u32_e32 v45, 32, v42
	v_subrev_u32_e32 v42, 28, v45
	v_lshlrev_b64 v[42:43], v42, v[28:29]
	v_lshrrev_b32_e32 v44, 3, v40
	v_sub_u32_e32 v28, 29, v45
	v_and_b32_e32 v42, 7, v42
	v_cmp_gt_u32_e32 vcc, 8, v40
	v_cndmask_b32_e32 v28, v44, v28, vcc
	v_cndmask_b32_e32 v30, v30, v42, vcc
	v_lshlrev_b32_e32 v40, 16, v26
	v_lshlrev_b32_e32 v30, 20, v30
	v_and_b32_e32 v40, 0x80000000, v40
	v_lshl_add_u32 v28, v28, 23, v33
	v_or3_b32 v28, v40, v28, v30
	v_lshrrev_b32_e32 v30, 16, v28
.LBB922_193:                            ;   in Loop: Header=BB922_15 Depth=1
	s_or_b64 exec, exec, s[10:11]
.LBB922_194:                            ;   in Loop: Header=BB922_15 Depth=1
	s_or_b64 exec, exec, s[6:7]
.LBB922_195:                            ;   in Loop: Header=BB922_15 Depth=1
	s_or_b64 exec, exec, s[4:5]
	v_lshrrev_b32_e32 v28, 16, v26
	v_cmp_ne_u16_sdwa s[6:7], v28, v31 src0_sel:BYTE_0 src1_sel:DWORD
	s_and_saveexec_b64 s[4:5], s[6:7]
	s_cbranch_execz .LBB922_201
; %bb.196:                              ;   in Loop: Header=BB922_15 Depth=1
	v_cmp_ne_u16_sdwa s[10:11], v28, s13 src0_sel:BYTE_0 src1_sel:DWORD
	v_mov_b32_e32 v37, 0xffff8000
	s_and_saveexec_b64 s[6:7], s[10:11]
	s_cbranch_execz .LBB922_200
; %bb.197:                              ;   in Loop: Header=BB922_15 Depth=1
	v_bfe_u32 v40, v26, 16, 7
	v_cmp_ne_u32_e32 vcc, s14, v40
	v_mov_b32_e32 v37, 0x7f80
	s_and_saveexec_b64 s[10:11], vcc
	s_cbranch_execz .LBB922_199
; %bb.198:                              ;   in Loop: Header=BB922_15 Depth=1
	v_and_b32_e32 v37, 7, v28
	v_ffbh_u32_e32 v42, v37
	v_min_u32_e32 v45, 32, v42
	v_subrev_u32_e32 v42, 28, v45
	v_lshlrev_b64 v[42:43], v42, v[28:29]
	v_lshrrev_b32_e32 v44, 3, v40
	v_sub_u32_e32 v43, 29, v45
	v_and_b32_e32 v42, 7, v42
	v_cmp_gt_u32_e32 vcc, 8, v40
	v_cndmask_b32_e32 v40, v44, v43, vcc
	v_cndmask_b32_e32 v37, v37, v42, vcc
	v_lshlrev_b32_e32 v28, 24, v28
	v_lshlrev_b32_e32 v37, 20, v37
	v_and_b32_e32 v28, 0x80000000, v28
	v_lshl_add_u32 v40, v40, 23, v33
	v_or3_b32 v28, v28, v40, v37
	v_lshrrev_b32_e32 v37, 16, v28
.LBB922_199:                            ;   in Loop: Header=BB922_15 Depth=1
	s_or_b64 exec, exec, s[10:11]
.LBB922_200:                            ;   in Loop: Header=BB922_15 Depth=1
	s_or_b64 exec, exec, s[6:7]
.LBB922_201:                            ;   in Loop: Header=BB922_15 Depth=1
	s_or_b64 exec, exec, s[4:5]
	v_cmp_lt_u32_e32 vcc, s15, v26
	v_mov_b32_e32 v40, 0
	s_and_saveexec_b64 s[4:5], vcc
	s_cbranch_execz .LBB922_14
; %bb.202:                              ;   in Loop: Header=BB922_15 Depth=1
	v_lshrrev_b32_e32 v28, 24, v26
	v_cmp_ne_u32_e32 vcc, s13, v28
	v_mov_b32_e32 v40, 0xffff8000
	s_and_saveexec_b64 s[6:7], vcc
	s_cbranch_execz .LBB922_13
; %bb.203:                              ;   in Loop: Header=BB922_15 Depth=1
	v_bfe_u32 v26, v26, 24, 7
	v_cmp_ne_u32_e32 vcc, s14, v26
	v_mov_b32_e32 v40, 0x7f80
	s_and_saveexec_b64 s[10:11], vcc
	s_cbranch_execz .LBB922_12
; %bb.204:                              ;   in Loop: Header=BB922_15 Depth=1
	v_and_b32_e32 v40, 7, v28
	v_ffbh_u32_e32 v42, v40
	v_min_u32_e32 v45, 32, v42
	v_subrev_u32_e32 v42, 28, v45
	v_lshlrev_b64 v[42:43], v42, v[28:29]
	v_lshrrev_b32_e32 v44, 3, v26
	v_sub_u32_e32 v43, 29, v45
	v_and_b32_e32 v42, 7, v42
	v_cmp_gt_u32_e32 vcc, 8, v26
	v_cndmask_b32_e32 v26, v44, v43, vcc
	v_cndmask_b32_e32 v40, v40, v42, vcc
	v_lshlrev_b32_e32 v28, 24, v28
	v_lshlrev_b32_e32 v40, 20, v40
	v_and_b32_e32 v28, 0x80000000, v28
	v_lshl_add_u32 v26, v26, 23, v33
	v_or3_b32 v26, v28, v26, v40
	v_lshrrev_b32_e32 v40, 16, v26
	s_branch .LBB922_12
.LBB922_205:
	buffer_load_dword v13, off, s[0:3], 0 offset:256
	buffer_load_dword v14, off, s[0:3], 0 offset:260
	;; [unrolled: 1-line block ×16, first 2 shown]
	v_and_b32_e32 v12, 0xc0, v0
	v_add_u32_e32 v12, s20, v12
	v_lshl_or_b32 v12, v1, 2, v12
	v_or_b32_e32 v23, 1, v12
	v_mov_b32_e32 v19, 0xff7fffff
	v_or_b32_e32 v24, 2, v12
	v_or_b32_e32 v25, 3, v12
	v_cmp_gt_i32_e64 s[26:27], s33, v12
	v_cmp_gt_i32_e64 s[28:29], s33, v23
	s_mov_b32 s52, 0xff7fffff
	v_or_b32_e32 v26, 16, v12
	v_or_b32_e32 v27, 17, v12
	;; [unrolled: 1-line block ×12, first 2 shown]
	v_cmp_gt_i32_e64 s[30:31], s33, v24
	v_cmp_gt_i32_e64 s[34:35], s33, v25
	v_mbcnt_lo_u32_b32 v20, -1, 0
	v_cmp_gt_i32_e64 s[36:37], s33, v26
	v_cmp_gt_i32_e64 s[38:39], s33, v27
	v_mbcnt_hi_u32_b32 v20, -1, v20
	v_cmp_gt_i32_e64 s[20:21], s33, v28
	v_cmp_gt_i32_e64 s[22:23], s33, v29
	v_and_b32_e32 v21, 64, v20
	v_cmp_gt_i32_e64 s[16:17], s33, v30
	v_cmp_gt_i32_e64 s[18:19], s33, v31
	v_xor_b32_e32 v22, 32, v20
	v_add_u32_e32 v21, 64, v21
	v_cmp_gt_i32_e64 s[12:13], s33, v32
	v_cmp_gt_i32_e64 s[14:15], s33, v33
	v_cmp_lt_i32_e32 vcc, v22, v21
	v_cmp_gt_i32_e64 s[6:7], s33, v34
	v_cmp_gt_i32_e64 s[10:11], s33, v35
	v_cndmask_b32_e32 v22, v20, v22, vcc
	v_cmp_gt_i32_e32 vcc, s33, v36
	v_cmp_gt_i32_e64 s[4:5], s33, v37
	v_lshlrev_b32_e32 v22, 2, v22
	s_waitcnt vmcnt(15)
	v_cndmask_b32_e64 v12, v19, v13, s[26:27]
	s_waitcnt vmcnt(14)
	v_cndmask_b32_e64 v23, v19, v14, s[28:29]
	;; [unrolled: 2-line block ×4, first 2 shown]
	v_max3_f32 v12, v12, s52, v23
	s_waitcnt vmcnt(11)
	v_cndmask_b32_e64 v26, v19, v17, s[36:37]
	s_waitcnt vmcnt(10)
	v_cndmask_b32_e64 v27, v19, v18, s[38:39]
	v_max3_f32 v12, v12, v24, v25
	s_waitcnt vmcnt(9)
	v_cndmask_b32_e64 v28, v19, v11, s[20:21]
	s_waitcnt vmcnt(8)
	v_cndmask_b32_e64 v29, v19, v10, s[22:23]
	v_max3_f32 v12, v12, v26, v27
	s_waitcnt vmcnt(7)
	v_cndmask_b32_e64 v30, v19, v9, s[16:17]
	s_waitcnt vmcnt(6)
	v_cndmask_b32_e64 v31, v19, v8, s[18:19]
	v_max3_f32 v12, v12, v28, v29
	s_waitcnt vmcnt(5)
	v_cndmask_b32_e64 v32, v19, v7, s[12:13]
	s_waitcnt vmcnt(4)
	v_cndmask_b32_e64 v33, v19, v6, s[14:15]
	v_max3_f32 v12, v12, v30, v31
	s_waitcnt vmcnt(3)
	v_cndmask_b32_e64 v34, v19, v5, s[6:7]
	s_waitcnt vmcnt(2)
	v_cndmask_b32_e64 v35, v19, v4, s[10:11]
	v_max3_f32 v12, v12, v32, v33
	s_waitcnt vmcnt(1)
	v_cndmask_b32_e32 v36, v19, v3, vcc
	s_waitcnt vmcnt(0)
	v_cndmask_b32_e64 v19, v19, v2, s[4:5]
	v_max3_f32 v12, v12, v34, v35
	v_max3_f32 v12, v12, v36, v19
	ds_bpermute_b32 v19, v22, v12
	v_xor_b32_e32 v23, 16, v20
	v_cmp_lt_i32_e64 s[40:41], v23, v21
	v_cndmask_b32_e64 v20, v20, v23, s[40:41]
	v_lshlrev_b32_e32 v20, 2, v20
	s_waitcnt lgkmcnt(0)
	v_max_f32_e32 v19, v19, v19
	v_max_f32_e32 v12, v12, v19
	ds_bpermute_b32 v19, v20, v12
	s_waitcnt lgkmcnt(0)
	v_max_f32_e32 v19, v19, v19
	v_max_f32_e32 v12, v12, v19
	v_sub_f32_e32 v13, v13, v12
	v_sub_f32_e32 v14, v14, v12
	v_sub_f32_e32 v15, v15, v12
	v_mul_f32_e32 v13, 0x3fb8aa3b, v13
	v_mul_f32_e32 v14, 0x3fb8aa3b, v14
	;; [unrolled: 1-line block ×3, first 2 shown]
	v_exp_f32_e32 v13, v13
	v_exp_f32_e32 v14, v14
	;; [unrolled: 1-line block ×3, first 2 shown]
	v_sub_f32_e32 v16, v16, v12
	v_cndmask_b32_e64 v13, 0, v13, s[26:27]
	v_mul_f32_e32 v16, 0x3fb8aa3b, v16
	v_cndmask_b32_e64 v14, 0, v14, s[28:29]
	v_cndmask_b32_e64 v15, 0, v15, s[30:31]
	v_add_f32_e32 v19, 0, v13
	buffer_store_dword v13, off, s[0:3], 0 offset:256
	buffer_store_dword v14, off, s[0:3], 0 offset:260
	;; [unrolled: 1-line block ×3, first 2 shown]
	v_sub_f32_e32 v13, v17, v12
	v_exp_f32_e32 v16, v16
	v_add_f32_e32 v19, v19, v14
	v_mul_f32_e32 v13, 0x3fb8aa3b, v13
	v_sub_f32_e32 v14, v18, v12
	v_exp_f32_e32 v13, v13
	v_mul_f32_e32 v14, 0x3fb8aa3b, v14
	v_sub_f32_e32 v11, v11, v12
	v_exp_f32_e32 v14, v14
	;; [unrolled: 3-line block ×3, first 2 shown]
	v_mul_f32_e32 v10, 0x3fb8aa3b, v10
	v_sub_f32_e32 v9, v9, v12
	v_cndmask_b32_e64 v16, 0, v16, s[34:35]
	v_add_f32_e32 v19, v19, v15
	v_exp_f32_e32 v10, v10
	v_mul_f32_e32 v9, 0x3fb8aa3b, v9
	v_sub_f32_e32 v8, v8, v12
	v_add_f32_e32 v19, v19, v16
	v_cndmask_b32_e64 v13, 0, v13, s[36:37]
	v_exp_f32_e32 v9, v9
	v_mul_f32_e32 v8, 0x3fb8aa3b, v8
	v_sub_f32_e32 v7, v7, v12
	v_add_f32_e32 v15, v19, v13
	v_cndmask_b32_e64 v14, 0, v14, s[38:39]
	;; [unrolled: 5-line block ×5, first 2 shown]
	v_exp_f32_e32 v5, v5
	v_mul_f32_e32 v4, 0x3fb8aa3b, v4
	v_sub_f32_e32 v3, v3, v12
	buffer_store_dword v16, off, s[0:3], 0 offset:268
	buffer_store_dword v13, off, s[0:3], 0 offset:272
	;; [unrolled: 1-line block ×5, first 2 shown]
	v_add_f32_e32 v10, v15, v9
	v_cndmask_b32_e64 v8, 0, v8, s[18:19]
	v_exp_f32_e32 v4, v4
	v_mul_f32_e32 v3, 0x3fb8aa3b, v3
	v_sub_f32_e32 v2, v2, v12
	v_add_f32_e32 v10, v10, v8
	v_cndmask_b32_e64 v7, 0, v7, s[12:13]
	v_exp_f32_e32 v3, v3
	v_mul_f32_e32 v2, 0x3fb8aa3b, v2
	v_add_f32_e32 v10, v10, v7
	v_cndmask_b32_e64 v6, 0, v6, s[14:15]
	v_exp_f32_e32 v2, v2
	v_add_f32_e32 v10, v10, v6
	v_cndmask_b32_e64 v5, 0, v5, s[6:7]
	buffer_store_dword v9, off, s[0:3], 0 offset:288
	buffer_store_dword v8, off, s[0:3], 0 offset:292
	;; [unrolled: 1-line block ×4, first 2 shown]
	v_add_f32_e32 v6, v10, v5
	v_cndmask_b32_e64 v4, 0, v4, s[10:11]
	v_add_f32_e32 v6, v6, v4
	v_cndmask_b32_e32 v3, 0, v3, vcc
	v_add_f32_e32 v6, v6, v3
	v_cndmask_b32_e64 v2, 0, v2, s[4:5]
	v_add_f32_e32 v6, v6, v2
	ds_bpermute_b32 v7, v22, v6
	buffer_store_dword v5, off, s[0:3], 0 offset:304
	buffer_store_dword v4, off, s[0:3], 0 offset:308
	;; [unrolled: 1-line block ×4, first 2 shown]
	v_cmp_gt_u32_e64 s[4:5], 16, v38
	s_waitcnt lgkmcnt(0)
	s_barrier
	v_add_f32_e32 v2, v6, v7
	ds_bpermute_b32 v3, v20, v2
	s_waitcnt lgkmcnt(0)
	s_and_saveexec_b64 s[6:7], s[4:5]
	s_cbranch_execz .LBB922_207
; %bb.206:
	v_add_f32_e32 v2, v2, v3
	v_lshlrev_b32_e32 v3, 2, v63
	ds_write2st64_b32 v3, v12, v2 offset1:1
.LBB922_207:
	s_or_b64 exec, exec, s[6:7]
	v_lshlrev_b32_e32 v2, 2, v55
	s_waitcnt lgkmcnt(0)
	s_barrier
	ds_read2_b32 v[14:15], v2 offset1:16
	ds_read2_b32 v[16:17], v2 offset0:32 offset1:48
	ds_read2_b32 v[6:7], v2 offset0:64 offset1:80
	;; [unrolled: 1-line block ×3, first 2 shown]
	s_waitcnt lgkmcnt(0)
	s_barrier
	buffer_load_dword v22, off, s[0:3], 0 offset:264
	buffer_load_dword v23, off, s[0:3], 0 offset:268
	;; [unrolled: 1-line block ×16, first 2 shown]
	v_max3_f32 v20, v14, s52, v15
	v_max3_f32 v20, v20, v16, v17
	v_sub_f32_e32 v14, v14, v20
	v_sub_f32_e32 v15, v15, v20
	v_mul_f32_e32 v14, 0x3fb8aa3b, v14
	v_sub_f32_e32 v16, v16, v20
	v_mul_f32_e32 v15, 0x3fb8aa3b, v15
	v_exp_f32_e32 v14, v14
	v_sub_f32_e32 v17, v17, v20
	v_mul_f32_e32 v16, 0x3fb8aa3b, v16
	v_exp_f32_e32 v15, v15
	v_mul_f32_e32 v17, 0x3fb8aa3b, v17
	v_exp_f32_e32 v16, v16
	v_exp_f32_e32 v17, v17
	v_fma_f32 v6, v14, v6, 0
	v_fmac_f32_e32 v6, v15, v7
	v_fmac_f32_e32 v6, v16, v12
	;; [unrolled: 1-line block ×3, first 2 shown]
	v_cmp_eq_u32_e32 vcc, 1, v62
	v_add_f32_e32 v12, 0x358637bd, v6
	v_cndmask_b32_e32 v14, v14, v15, vcc
	v_cmp_eq_u32_e32 vcc, 2, v62
	v_div_scale_f32 v13, s[6:7], v12, v12, 1.0
	v_cndmask_b32_e32 v7, v14, v16, vcc
	v_rcp_f32_e32 v14, v13
	v_cmp_eq_u32_e32 vcc, 3, v62
	v_cndmask_b32_e32 v7, v7, v17, vcc
	v_div_scale_f32 v15, vcc, 1.0, v12, 1.0
	v_fma_f32 v16, -v13, v14, 1.0
	v_fmac_f32_e32 v14, v16, v14
	v_mul_f32_e32 v16, v15, v14
	v_fma_f32 v17, -v13, v16, v15
	v_fmac_f32_e32 v16, v17, v14
	v_fma_f32 v13, -v13, v16, v15
	v_div_fmas_f32 v13, v13, v14, v16
	v_div_fixup_f32 v12, v13, v12, 1.0
	v_mul_f32_e32 v12, v7, v12
	s_movk_i32 s21, 0x7fff
	s_mov_b32 s22, 0x7060302
	s_mul_i32 s20, s51, 13
	v_cmp_gt_u32_e32 vcc, 13, v0
	s_waitcnt vmcnt(14)
	v_pk_mul_f32 v[14:15], v[12:13], v[22:23] op_sel_hi:[0,1]
	v_bfe_u32 v21, v15, 16, 1
	s_waitcnt vmcnt(12)
	v_pk_mul_f32 v[16:17], v[12:13], v[24:25] op_sel_hi:[0,1]
	v_bfe_u32 v7, v17, 16, 1
	v_bfe_u32 v13, v16, 16, 1
	;; [unrolled: 1-line block ×3, first 2 shown]
	v_add3_u32 v13, v16, v13, s21
	v_add3_u32 v7, v17, v7, s21
	buffer_store_dword v16, off, s[0:3], 0 offset:256
	buffer_store_dword v17, off, s[0:3], 0 offset:260
	;; [unrolled: 1-line block ×4, first 2 shown]
	v_add3_u32 v16, v14, v22, s21
	v_add3_u32 v15, v15, v21, s21
	v_perm_b32 v14, v7, v13, s22
	v_lshlrev_b32_e32 v13, 3, v1
	v_perm_b32 v15, v15, v16, s22
	v_lshlrev_b32_e32 v7, 5, v55
	v_lshlrev_b32_e32 v16, 11, v62
	s_waitcnt vmcnt(12)
	v_pk_mul_f32 v[8:9], v[12:13], v[8:9] op_sel_hi:[0,1]
	v_or3_b32 v43, v16, v7, v13
	v_pk_mul_f32 v[10:11], v[12:13], v[10:11] op_sel_hi:[0,1]
	v_bfe_u32 v13, v9, 16, 1
	v_bfe_u32 v16, v8, 16, 1
	buffer_store_dword v8, off, s[0:3], 0 offset:272
	buffer_store_dword v9, off, s[0:3], 0 offset:276
	;; [unrolled: 1-line block ×4, first 2 shown]
	v_add3_u32 v8, v8, v16, s21
	v_add3_u32 v9, v9, v13, s21
	v_perm_b32 v8, v9, v8, s22
	v_bfe_u32 v9, v11, 16, 1
	v_bfe_u32 v13, v10, 16, 1
	v_add3_u32 v10, v10, v13, s21
	v_add3_u32 v9, v11, v9, s21
	v_perm_b32 v9, v9, v10, s22
	s_waitcnt vmcnt(14)
	v_pk_mul_f32 v[10:11], v[12:13], v[18:19] op_sel_hi:[0,1]
	ds_write2st64_b64 v43, v[14:15], v[8:9] offset1:1
	s_waitcnt vmcnt(12)
	v_pk_mul_f32 v[8:9], v[12:13], v[26:27] op_sel_hi:[0,1]
	v_bfe_u32 v13, v11, 16, 1
	v_bfe_u32 v14, v10, 16, 1
	buffer_store_dword v10, off, s[0:3], 0 offset:288
	buffer_store_dword v11, off, s[0:3], 0 offset:292
	;; [unrolled: 1-line block ×4, first 2 shown]
	v_add3_u32 v10, v10, v14, s21
	v_add3_u32 v11, v11, v13, s21
	v_perm_b32 v10, v11, v10, s22
	v_bfe_u32 v11, v9, 16, 1
	v_bfe_u32 v13, v8, 16, 1
	v_add3_u32 v8, v8, v13, s21
	v_add3_u32 v9, v9, v11, s21
	s_waitcnt vmcnt(14)
	v_pk_mul_f32 v[2:3], v[12:13], v[2:3] op_sel_hi:[0,1]
	v_perm_b32 v11, v9, v8, s22
	v_bfe_u32 v8, v3, 16, 1
	v_bfe_u32 v9, v2, 16, 1
	s_waitcnt vmcnt(12)
	v_pk_mul_f32 v[4:5], v[12:13], v[4:5] op_sel_hi:[0,1]
	buffer_store_dword v2, off, s[0:3], 0 offset:304
	buffer_store_dword v3, off, s[0:3], 0 offset:308
	;; [unrolled: 1-line block ×4, first 2 shown]
	v_add3_u32 v2, v2, v9, s21
	v_add3_u32 v3, v3, v8, s21
	v_perm_b32 v2, v3, v2, s22
	v_bfe_u32 v3, v5, 16, 1
	v_bfe_u32 v8, v4, 16, 1
	v_add3_u32 v4, v4, v8, s21
	v_add3_u32 v3, v5, v3, s21
	v_perm_b32 v3, v3, v4, s22
	ds_write2st64_b64 v43, v[10:11], v[2:3] offset0:2 offset1:3
	s_and_saveexec_b64 s[6:7], vcc
	s_cbranch_execz .LBB922_209
; %bb.208:
	v_add_co_u32_e32 v4, vcc, s25, v55
	v_addc_co_u32_e64 v5, s[10:11], 0, 0, vcc
	v_mov_b32_e32 v2, s20
	v_mov_b32_e32 v3, 0
	v_mad_u64_u32 v[4:5], s[10:11], s8, v2, v[4:5]
	v_mov_b32_e32 v2, s24
	s_mul_i32 s9, s9, s20
	v_mad_u64_u32 v[2:3], s[10:11], v4, s50, v[2:3]
	v_add_u32_e32 v5, s9, v5
	v_mov_b32_e32 v4, v3
	v_mad_u64_u32 v[4:5], s[10:11], v5, s50, v[4:5]
	v_mov_b32_e32 v3, v4
	v_lshlrev_b64 v[2:3], 2, v[2:3]
	v_mov_b32_e32 v5, s47
	v_add_co_u32_e32 v4, vcc, s46, v2
	v_addc_co_u32_e32 v5, vcc, v5, v3, vcc
	global_store_dword v[4:5], v20, off
	v_mov_b32_e32 v4, s45
	v_add_co_u32_e32 v2, vcc, s44, v2
	v_addc_co_u32_e32 v3, vcc, v4, v3, vcc
	global_store_dword v[2:3], v6, off
.LBB922_209:
	s_or_b64 exec, exec, s[6:7]
	v_lshl_or_b32 v30, v1, 9, v7
	s_waitcnt lgkmcnt(0)
	s_barrier
	s_load_dword s6, s[42:43], 0x0
	ds_read_b128 v[2:5], v30
	ds_read_b128 v[6:9], v30 offset:16
	ds_read_b128 v[10:13], v30 offset:2048
	ds_read_b128 v[14:17], v30 offset:2064
	ds_read_b128 v[18:21], v30 offset:4096
	ds_read_b128 v[22:25], v30 offset:4112
	ds_read_b128 v[26:29], v30 offset:6144
	ds_read_b128 v[30:33], v30 offset:6160
	v_mov_b32_e32 v35, 0x80
	v_mov_b32_e32 v45, 0x140
	s_mov_b64 s[12:13], -1
	s_waitcnt lgkmcnt(0)
	s_mov_b32 s7, s6
	s_mov_b32 s10, s6
	;; [unrolled: 1-line block ×3, first 2 shown]
	s_movk_i32 s9, 0x80
	s_movk_i32 s23, 0x7f
	s_mov_b32 s26, 0xffffff
	s_mov_b32 s27, 0x5040100
	v_mov_b32_e32 v47, 0
	v_bfrev_b32_e32 v48, 60
	s_branch .LBB922_213
.LBB922_210:                            ;   in Loop: Header=BB922_213 Depth=1
	s_or_b64 exec, exec, s[18:19]
.LBB922_211:                            ;   in Loop: Header=BB922_213 Depth=1
	s_or_b64 exec, exec, s[16:17]
.LBB922_212:                            ;   in Loop: Header=BB922_213 Depth=1
	s_or_b64 exec, exec, s[14:15]
	v_perm_b32 v61, v51, v49, s27
	v_perm_b32 v60, v44, v46, s27
	s_xor_b64 s[14:15], s[12:13], -1
	s_mov_b64 s[12:13], 0
	s_and_b64 vcc, exec, s[14:15]
	v_mfma_f32_16x16x16bf16_1k v[62:65], v[60:61], v[30:31], v[34:37]
	v_mov_b32_e32 v61, v41
	v_mov_b32_e32 v60, v57
	;; [unrolled: 1-line block ×3, first 2 shown]
	s_nop 3
	v_perm_b32 v37, v53, v52, s27
	v_perm_b32 v36, v42, v50, s27
	v_mov_b32_e32 v35, v39
	s_nop 0
	v_mfma_f32_16x16x16bf16_1k v[50:53], v[36:37], v[32:33], v[62:65]
	s_nop 7
	s_nop 2
	v_pk_mul_f32 v[50:51], v[50:51], s[6:7]
	v_pk_mul_f32 v[36:37], v[52:53], s[10:11]
	v_bfe_u32 v34, v51, 16, 1
	v_bfe_u32 v38, v50, 16, 1
	;; [unrolled: 1-line block ×4, first 2 shown]
	v_add3_u32 v38, v50, v38, s21
	v_add3_u32 v34, v51, v34, s21
	;; [unrolled: 1-line block ×4, first 2 shown]
	v_perm_b32 v34, v34, v38, s22
	v_perm_b32 v36, v37, v36, s22
	buffer_store_dword v34, v45, s[0:3], 0 offen
	buffer_store_dword v36, v45, s[0:3], 0 offen offset:4
	v_mov_b32_e32 v45, 0x148
	s_cbranch_vccnz .LBB922_595
.LBB922_213:                            ; =>This Inner Loop Header: Depth=1
	buffer_load_dword v36, v35, s[0:3], 0 offen
	buffer_load_dword v34, v35, s[0:3], 0 offen offset:4
	buffer_load_dword v40, v35, s[0:3], 0 offen offset:8
	;; [unrolled: 1-line block ×3, first 2 shown]
	v_mov_b32_e32 v35, 0
	s_waitcnt vmcnt(3)
	v_cmp_ne_u16_sdwa s[16:17], v36, v47 src0_sel:BYTE_0 src1_sel:DWORD
	s_and_saveexec_b64 s[14:15], s[16:17]
	s_cbranch_execz .LBB922_219
; %bb.214:                              ;   in Loop: Header=BB922_213 Depth=1
	v_cmp_ne_u16_sdwa s[18:19], v36, s9 src0_sel:BYTE_0 src1_sel:DWORD
	v_mov_b32_e32 v35, 0xffff8000
	s_and_saveexec_b64 s[16:17], s[18:19]
	s_cbranch_execz .LBB922_218
; %bb.215:                              ;   in Loop: Header=BB922_213 Depth=1
	v_and_b32_e32 v37, 0x7f, v36
	v_cmp_ne_u32_e32 vcc, s23, v37
	v_mov_b32_e32 v35, 0x7f80
	s_and_saveexec_b64 s[18:19], vcc
	s_cbranch_execz .LBB922_217
; %bb.216:                              ;   in Loop: Header=BB922_213 Depth=1
	v_and_b32_e32 v35, 7, v36
	v_ffbh_u32_e32 v44, v35
	v_min_u32_e32 v44, 32, v44
	v_subrev_u32_e32 v46, 28, v44
	v_lshlrev_b64 v[50:51], v46, v[36:37]
	v_lshrrev_b32_e32 v42, 3, v37
	v_sub_u32_e32 v44, 29, v44
	v_and_b32_e32 v46, 7, v50
	v_cmp_gt_u32_e32 vcc, 8, v37
	v_cndmask_b32_e32 v37, v42, v44, vcc
	v_cndmask_b32_e32 v35, v35, v46, vcc
	v_lshlrev_b32_e32 v42, 24, v36
	v_lshlrev_b32_e32 v35, 20, v35
	v_and_b32_e32 v42, 0x80000000, v42
	v_lshl_add_u32 v37, v37, 23, v48
	v_or3_b32 v35, v42, v37, v35
	v_lshrrev_b32_e32 v35, 16, v35
.LBB922_217:                            ;   in Loop: Header=BB922_213 Depth=1
	s_or_b64 exec, exec, s[18:19]
.LBB922_218:                            ;   in Loop: Header=BB922_213 Depth=1
	s_or_b64 exec, exec, s[16:17]
.LBB922_219:                            ;   in Loop: Header=BB922_213 Depth=1
	s_or_b64 exec, exec, s[14:15]
	v_lshrrev_b16_e32 v42, 8, v36
	v_cmp_ne_u16_e32 vcc, 0, v42
	v_mov_b32_e32 v46, 0
	v_mov_b32_e32 v37, 0
	s_and_saveexec_b64 s[14:15], vcc
	s_cbranch_execz .LBB922_225
; %bb.220:                              ;   in Loop: Header=BB922_213 Depth=1
	v_cmp_ne_u16_e32 vcc, s9, v42
	v_mov_b32_e32 v37, 0xffff8000
	s_and_saveexec_b64 s[16:17], vcc
	s_cbranch_execz .LBB922_224
; %bb.221:                              ;   in Loop: Header=BB922_213 Depth=1
	v_and_b32_e32 v44, 0x7f, v42
	v_cmp_ne_u32_e32 vcc, s23, v44
	v_mov_b32_e32 v37, 0x7f80
	s_and_saveexec_b64 s[18:19], vcc
	s_cbranch_execz .LBB922_223
; %bb.222:                              ;   in Loop: Header=BB922_213 Depth=1
	v_and_b32_e32 v37, 7, v42
	v_ffbh_u32_e32 v50, v37
	v_min_u32_e32 v52, 32, v50
	v_subrev_u32_e32 v50, 28, v52
	v_lshlrev_b64 v[50:51], v50, v[42:43]
	v_lshrrev_b32_e32 v49, 3, v44
	v_sub_u32_e32 v42, 29, v52
	v_and_b32_e32 v50, 7, v50
	v_cmp_gt_u32_e32 vcc, 8, v44
	v_cndmask_b32_e32 v42, v49, v42, vcc
	v_cndmask_b32_e32 v37, v37, v50, vcc
	v_lshlrev_b32_e32 v44, 16, v36
	v_lshlrev_b32_e32 v37, 20, v37
	v_and_b32_e32 v44, 0x80000000, v44
	v_lshl_add_u32 v42, v42, 23, v48
	v_or3_b32 v37, v44, v42, v37
	v_lshrrev_b32_e32 v37, 16, v37
.LBB922_223:                            ;   in Loop: Header=BB922_213 Depth=1
	s_or_b64 exec, exec, s[18:19]
.LBB922_224:                            ;   in Loop: Header=BB922_213 Depth=1
	s_or_b64 exec, exec, s[16:17]
.LBB922_225:                            ;   in Loop: Header=BB922_213 Depth=1
	s_or_b64 exec, exec, s[14:15]
	v_lshrrev_b32_e32 v42, 16, v36
	v_cmp_ne_u16_sdwa s[16:17], v42, v47 src0_sel:BYTE_0 src1_sel:DWORD
	s_and_saveexec_b64 s[14:15], s[16:17]
	s_cbranch_execz .LBB922_231
; %bb.226:                              ;   in Loop: Header=BB922_213 Depth=1
	v_cmp_ne_u16_sdwa s[18:19], v42, s9 src0_sel:BYTE_0 src1_sel:DWORD
	v_mov_b32_e32 v46, 0xffff8000
	s_and_saveexec_b64 s[16:17], s[18:19]
	s_cbranch_execz .LBB922_230
; %bb.227:                              ;   in Loop: Header=BB922_213 Depth=1
	v_bfe_u32 v44, v36, 16, 7
	v_cmp_ne_u32_e32 vcc, s23, v44
	v_mov_b32_e32 v46, 0x7f80
	s_and_saveexec_b64 s[18:19], vcc
	s_cbranch_execz .LBB922_229
; %bb.228:                              ;   in Loop: Header=BB922_213 Depth=1
	v_and_b32_e32 v46, 7, v42
	v_ffbh_u32_e32 v50, v46
	v_min_u32_e32 v52, 32, v50
	v_subrev_u32_e32 v50, 28, v52
	v_lshlrev_b64 v[50:51], v50, v[42:43]
	v_lshrrev_b32_e32 v49, 3, v44
	v_sub_u32_e32 v51, 29, v52
	v_and_b32_e32 v50, 7, v50
	v_cmp_gt_u32_e32 vcc, 8, v44
	v_cndmask_b32_e32 v44, v49, v51, vcc
	v_cndmask_b32_e32 v46, v46, v50, vcc
	v_lshlrev_b32_e32 v42, 24, v42
	v_lshlrev_b32_e32 v46, 20, v46
	v_and_b32_e32 v42, 0x80000000, v42
	v_lshl_add_u32 v44, v44, 23, v48
	v_or3_b32 v42, v42, v44, v46
	v_lshrrev_b32_e32 v46, 16, v42
.LBB922_229:                            ;   in Loop: Header=BB922_213 Depth=1
	s_or_b64 exec, exec, s[18:19]
.LBB922_230:                            ;   in Loop: Header=BB922_213 Depth=1
	s_or_b64 exec, exec, s[16:17]
.LBB922_231:                            ;   in Loop: Header=BB922_213 Depth=1
	s_or_b64 exec, exec, s[14:15]
	v_cmp_lt_u32_e32 vcc, s26, v36
	v_mov_b32_e32 v49, 0
	v_mov_b32_e32 v50, 0
	s_and_saveexec_b64 s[14:15], vcc
	s_cbranch_execz .LBB922_237
; %bb.232:                              ;   in Loop: Header=BB922_213 Depth=1
	v_lshrrev_b32_e32 v42, 24, v36
	v_cmp_ne_u32_e32 vcc, s9, v42
	v_mov_b32_e32 v50, 0xffff8000
	s_and_saveexec_b64 s[16:17], vcc
	s_cbranch_execz .LBB922_236
; %bb.233:                              ;   in Loop: Header=BB922_213 Depth=1
	v_bfe_u32 v36, v36, 24, 7
	v_cmp_ne_u32_e32 vcc, s23, v36
	v_mov_b32_e32 v50, 0x7f80
	s_and_saveexec_b64 s[18:19], vcc
	s_cbranch_execz .LBB922_235
; %bb.234:                              ;   in Loop: Header=BB922_213 Depth=1
	v_and_b32_e32 v44, 7, v42
	v_ffbh_u32_e32 v50, v44
	v_min_u32_e32 v53, 32, v50
	v_subrev_u32_e32 v50, 28, v53
	v_lshlrev_b64 v[50:51], v50, v[42:43]
	v_lshrrev_b32_e32 v52, 3, v36
	v_sub_u32_e32 v51, 29, v53
	v_and_b32_e32 v50, 7, v50
	v_cmp_gt_u32_e32 vcc, 8, v36
	v_cndmask_b32_e32 v36, v52, v51, vcc
	v_cndmask_b32_e32 v44, v44, v50, vcc
	v_lshlrev_b32_e32 v42, 24, v42
	v_lshlrev_b32_e32 v44, 20, v44
	v_and_b32_e32 v42, 0x80000000, v42
	v_lshl_add_u32 v36, v36, 23, v48
	v_or3_b32 v36, v42, v36, v44
	v_lshrrev_b32_e32 v50, 16, v36
.LBB922_235:                            ;   in Loop: Header=BB922_213 Depth=1
	s_or_b64 exec, exec, s[18:19]
.LBB922_236:                            ;   in Loop: Header=BB922_213 Depth=1
	s_or_b64 exec, exec, s[16:17]
.LBB922_237:                            ;   in Loop: Header=BB922_213 Depth=1
	s_or_b64 exec, exec, s[14:15]
	s_waitcnt vmcnt(2)
	v_cmp_ne_u16_sdwa s[16:17], v34, v47 src0_sel:BYTE_0 src1_sel:DWORD
	s_and_saveexec_b64 s[14:15], s[16:17]
	s_cbranch_execz .LBB922_243
; %bb.238:                              ;   in Loop: Header=BB922_213 Depth=1
	v_cmp_ne_u16_sdwa s[18:19], v34, s9 src0_sel:BYTE_0 src1_sel:DWORD
	v_mov_b32_e32 v49, 0xffff8000
	s_and_saveexec_b64 s[16:17], s[18:19]
	s_cbranch_execz .LBB922_242
; %bb.239:                              ;   in Loop: Header=BB922_213 Depth=1
	v_and_b32_e32 v36, 0x7f, v34
	v_cmp_ne_u32_e32 vcc, s23, v36
	v_mov_b32_e32 v49, 0x7f80
	s_and_saveexec_b64 s[18:19], vcc
	s_cbranch_execz .LBB922_241
; %bb.240:                              ;   in Loop: Header=BB922_213 Depth=1
	v_and_b32_e32 v42, 7, v34
	v_ffbh_u32_e32 v49, v42
	v_min_u32_e32 v49, 32, v49
	v_subrev_u32_e32 v51, 28, v49
	v_lshlrev_b64 v[52:53], v51, v[34:35]
	v_lshrrev_b32_e32 v44, 3, v36
	v_sub_u32_e32 v49, 29, v49
	v_and_b32_e32 v51, 7, v52
	v_cmp_gt_u32_e32 vcc, 8, v36
	v_cndmask_b32_e32 v36, v44, v49, vcc
	v_cndmask_b32_e32 v42, v42, v51, vcc
	v_lshlrev_b32_e32 v44, 24, v34
	v_lshlrev_b32_e32 v42, 20, v42
	v_and_b32_e32 v44, 0x80000000, v44
	v_lshl_add_u32 v36, v36, 23, v48
	v_or3_b32 v36, v44, v36, v42
	v_lshrrev_b32_e32 v49, 16, v36
.LBB922_241:                            ;   in Loop: Header=BB922_213 Depth=1
	s_or_b64 exec, exec, s[18:19]
.LBB922_242:                            ;   in Loop: Header=BB922_213 Depth=1
	s_or_b64 exec, exec, s[16:17]
.LBB922_243:                            ;   in Loop: Header=BB922_213 Depth=1
	s_or_b64 exec, exec, s[14:15]
	v_lshrrev_b16_e32 v36, 8, v34
	v_cmp_ne_u16_e32 vcc, 0, v36
	v_mov_b32_e32 v51, 0
	v_mov_b32_e32 v42, 0
	s_and_saveexec_b64 s[14:15], vcc
	s_cbranch_execz .LBB922_249
; %bb.244:                              ;   in Loop: Header=BB922_213 Depth=1
	v_cmp_ne_u16_e32 vcc, s9, v36
	v_mov_b32_e32 v42, 0xffff8000
	s_and_saveexec_b64 s[16:17], vcc
	s_cbranch_execz .LBB922_248
; %bb.245:                              ;   in Loop: Header=BB922_213 Depth=1
	v_and_b32_e32 v44, 0x7f, v36
	v_cmp_ne_u32_e32 vcc, s23, v44
	v_mov_b32_e32 v42, 0x7f80
	s_and_saveexec_b64 s[18:19], vcc
	s_cbranch_execz .LBB922_247
; %bb.246:                              ;   in Loop: Header=BB922_213 Depth=1
	v_and_b32_e32 v42, 7, v36
	v_ffbh_u32_e32 v52, v42
	v_min_u32_e32 v63, 32, v52
	v_subrev_u32_e32 v52, 28, v63
	v_lshlrev_b64 v[52:53], v52, v[36:37]
	v_lshrrev_b32_e32 v62, 3, v44
	v_sub_u32_e32 v36, 29, v63
	v_and_b32_e32 v52, 7, v52
	v_cmp_gt_u32_e32 vcc, 8, v44
	v_cndmask_b32_e32 v36, v62, v36, vcc
	v_cndmask_b32_e32 v42, v42, v52, vcc
	v_lshlrev_b32_e32 v44, 16, v34
	v_lshlrev_b32_e32 v42, 20, v42
	v_and_b32_e32 v44, 0x80000000, v44
	v_lshl_add_u32 v36, v36, 23, v48
	v_or3_b32 v36, v44, v36, v42
	v_lshrrev_b32_e32 v42, 16, v36
.LBB922_247:                            ;   in Loop: Header=BB922_213 Depth=1
	s_or_b64 exec, exec, s[18:19]
.LBB922_248:                            ;   in Loop: Header=BB922_213 Depth=1
	s_or_b64 exec, exec, s[16:17]
.LBB922_249:                            ;   in Loop: Header=BB922_213 Depth=1
	s_or_b64 exec, exec, s[14:15]
	v_lshrrev_b32_e32 v36, 16, v34
	v_cmp_ne_u16_sdwa s[16:17], v36, v47 src0_sel:BYTE_0 src1_sel:DWORD
	s_and_saveexec_b64 s[14:15], s[16:17]
	s_cbranch_execz .LBB922_255
; %bb.250:                              ;   in Loop: Header=BB922_213 Depth=1
	v_cmp_ne_u16_sdwa s[18:19], v36, s9 src0_sel:BYTE_0 src1_sel:DWORD
	v_mov_b32_e32 v51, 0xffff8000
	s_and_saveexec_b64 s[16:17], s[18:19]
	s_cbranch_execz .LBB922_254
; %bb.251:                              ;   in Loop: Header=BB922_213 Depth=1
	v_bfe_u32 v44, v34, 16, 7
	v_cmp_ne_u32_e32 vcc, s23, v44
	v_mov_b32_e32 v51, 0x7f80
	s_and_saveexec_b64 s[18:19], vcc
	s_cbranch_execz .LBB922_253
; %bb.252:                              ;   in Loop: Header=BB922_213 Depth=1
	v_and_b32_e32 v51, 7, v36
	v_ffbh_u32_e32 v52, v51
	v_min_u32_e32 v63, 32, v52
	v_subrev_u32_e32 v52, 28, v63
	v_lshlrev_b64 v[52:53], v52, v[36:37]
	v_lshrrev_b32_e32 v62, 3, v44
	v_sub_u32_e32 v53, 29, v63
	v_and_b32_e32 v52, 7, v52
	v_cmp_gt_u32_e32 vcc, 8, v44
	v_cndmask_b32_e32 v44, v62, v53, vcc
	v_cndmask_b32_e32 v51, v51, v52, vcc
	v_lshlrev_b32_e32 v36, 24, v36
	v_lshlrev_b32_e32 v51, 20, v51
	v_and_b32_e32 v36, 0x80000000, v36
	v_lshl_add_u32 v44, v44, 23, v48
	v_or3_b32 v36, v36, v44, v51
	v_lshrrev_b32_e32 v51, 16, v36
.LBB922_253:                            ;   in Loop: Header=BB922_213 Depth=1
	s_or_b64 exec, exec, s[18:19]
.LBB922_254:                            ;   in Loop: Header=BB922_213 Depth=1
	s_or_b64 exec, exec, s[16:17]
.LBB922_255:                            ;   in Loop: Header=BB922_213 Depth=1
	s_or_b64 exec, exec, s[14:15]
	v_cmp_lt_u32_e32 vcc, s26, v34
	v_mov_b32_e32 v44, 0
	v_mov_b32_e32 v52, 0
	s_and_saveexec_b64 s[14:15], vcc
	s_cbranch_execz .LBB922_261
; %bb.256:                              ;   in Loop: Header=BB922_213 Depth=1
	v_lshrrev_b32_e32 v36, 24, v34
	v_cmp_ne_u32_e32 vcc, s9, v36
	v_mov_b32_e32 v52, 0xffff8000
	s_and_saveexec_b64 s[16:17], vcc
	s_cbranch_execz .LBB922_260
; %bb.257:                              ;   in Loop: Header=BB922_213 Depth=1
	v_bfe_u32 v34, v34, 24, 7
	v_cmp_ne_u32_e32 vcc, s23, v34
	v_mov_b32_e32 v52, 0x7f80
	s_and_saveexec_b64 s[18:19], vcc
	s_cbranch_execz .LBB922_259
; %bb.258:                              ;   in Loop: Header=BB922_213 Depth=1
	v_and_b32_e32 v62, 7, v36
	v_ffbh_u32_e32 v52, v62
	v_min_u32_e32 v64, 32, v52
	v_subrev_u32_e32 v52, 28, v64
	v_lshlrev_b64 v[52:53], v52, v[36:37]
	v_lshrrev_b32_e32 v63, 3, v34
	v_sub_u32_e32 v53, 29, v64
	v_and_b32_e32 v52, 7, v52
	v_cmp_gt_u32_e32 vcc, 8, v34
	v_cndmask_b32_e32 v34, v63, v53, vcc
	v_cndmask_b32_e32 v52, v62, v52, vcc
	v_lshlrev_b32_e32 v36, 24, v36
	v_lshlrev_b32_e32 v52, 20, v52
	v_and_b32_e32 v36, 0x80000000, v36
	v_lshl_add_u32 v34, v34, 23, v48
	v_or3_b32 v34, v36, v34, v52
	v_lshrrev_b32_e32 v52, 16, v34
.LBB922_259:                            ;   in Loop: Header=BB922_213 Depth=1
	s_or_b64 exec, exec, s[18:19]
.LBB922_260:                            ;   in Loop: Header=BB922_213 Depth=1
	s_or_b64 exec, exec, s[16:17]
.LBB922_261:                            ;   in Loop: Header=BB922_213 Depth=1
	s_or_b64 exec, exec, s[14:15]
	v_perm_b32 v63, v50, v46, s27
	v_perm_b32 v62, v37, v35, s27
	;; [unrolled: 1-line block ×4, first 2 shown]
	s_waitcnt vmcnt(1)
	v_cmp_ne_u16_sdwa s[16:17], v40, v47 src0_sel:BYTE_0 src1_sel:DWORD
	v_mfma_f32_16x16x16bf16_1k v[34:37], v[62:63], v[2:3], 0
	v_mfma_f32_16x16x16bf16_1k v[34:37], v[50:51], v[4:5], v[34:37]
	s_and_saveexec_b64 s[14:15], s[16:17]
	s_cbranch_execz .LBB922_267
; %bb.262:                              ;   in Loop: Header=BB922_213 Depth=1
	v_cmp_ne_u16_sdwa s[18:19], v40, s9 src0_sel:BYTE_0 src1_sel:DWORD
	v_mov_b32_e32 v44, 0xffff8000
	s_and_saveexec_b64 s[16:17], s[18:19]
	s_cbranch_execz .LBB922_266
; %bb.263:                              ;   in Loop: Header=BB922_213 Depth=1
	v_and_b32_e32 v42, 0x7f, v40
	v_cmp_ne_u32_e32 vcc, s23, v42
	v_mov_b32_e32 v44, 0x7f80
	s_and_saveexec_b64 s[18:19], vcc
	s_cbranch_execz .LBB922_265
; %bb.264:                              ;   in Loop: Header=BB922_213 Depth=1
	v_and_b32_e32 v44, 7, v40
	v_ffbh_u32_e32 v49, v44
	v_min_u32_e32 v49, 32, v49
	v_subrev_u32_e32 v50, 28, v49
	v_lshlrev_b64 v[50:51], v50, v[40:41]
	v_lshrrev_b32_e32 v46, 3, v42
	v_sub_u32_e32 v49, 29, v49
	v_and_b32_e32 v50, 7, v50
	v_cmp_gt_u32_e32 vcc, 8, v42
	v_cndmask_b32_e32 v42, v46, v49, vcc
	v_cndmask_b32_e32 v44, v44, v50, vcc
	v_lshlrev_b32_e32 v46, 24, v40
	v_lshlrev_b32_e32 v44, 20, v44
	v_and_b32_e32 v46, 0x80000000, v46
	v_lshl_add_u32 v42, v42, 23, v48
	v_or3_b32 v42, v46, v42, v44
	v_lshrrev_b32_e32 v44, 16, v42
.LBB922_265:                            ;   in Loop: Header=BB922_213 Depth=1
	s_or_b64 exec, exec, s[18:19]
.LBB922_266:                            ;   in Loop: Header=BB922_213 Depth=1
	s_or_b64 exec, exec, s[16:17]
.LBB922_267:                            ;   in Loop: Header=BB922_213 Depth=1
	s_or_b64 exec, exec, s[14:15]
	v_lshrrev_b16_e32 v42, 8, v40
	v_cmp_ne_u16_e32 vcc, 0, v42
	v_mov_b32_e32 v50, 0
	v_mov_b32_e32 v46, 0
	s_and_saveexec_b64 s[14:15], vcc
	s_cbranch_execz .LBB922_273
; %bb.268:                              ;   in Loop: Header=BB922_213 Depth=1
	v_cmp_ne_u16_e32 vcc, s9, v42
	v_mov_b32_e32 v46, 0xffff8000
	s_and_saveexec_b64 s[16:17], vcc
	s_cbranch_execz .LBB922_272
; %bb.269:                              ;   in Loop: Header=BB922_213 Depth=1
	v_and_b32_e32 v49, 0x7f, v42
	v_cmp_ne_u32_e32 vcc, s23, v49
	v_mov_b32_e32 v46, 0x7f80
	s_and_saveexec_b64 s[18:19], vcc
	s_cbranch_execz .LBB922_271
; %bb.270:                              ;   in Loop: Header=BB922_213 Depth=1
	v_and_b32_e32 v46, 7, v42
	v_ffbh_u32_e32 v52, v46
	v_min_u32_e32 v62, 32, v52
	v_subrev_u32_e32 v52, 28, v62
	v_lshlrev_b64 v[52:53], v52, v[42:43]
	v_lshrrev_b32_e32 v51, 3, v49
	v_sub_u32_e32 v42, 29, v62
	v_and_b32_e32 v52, 7, v52
	v_cmp_gt_u32_e32 vcc, 8, v49
	v_cndmask_b32_e32 v42, v51, v42, vcc
	v_cndmask_b32_e32 v46, v46, v52, vcc
	v_lshlrev_b32_e32 v49, 16, v40
	v_lshlrev_b32_e32 v46, 20, v46
	v_and_b32_e32 v49, 0x80000000, v49
	v_lshl_add_u32 v42, v42, 23, v48
	v_or3_b32 v42, v49, v42, v46
	v_lshrrev_b32_e32 v46, 16, v42
.LBB922_271:                            ;   in Loop: Header=BB922_213 Depth=1
	s_or_b64 exec, exec, s[18:19]
.LBB922_272:                            ;   in Loop: Header=BB922_213 Depth=1
	s_or_b64 exec, exec, s[16:17]
.LBB922_273:                            ;   in Loop: Header=BB922_213 Depth=1
	s_or_b64 exec, exec, s[14:15]
	v_lshrrev_b32_e32 v42, 16, v40
	v_cmp_ne_u16_sdwa s[16:17], v42, v47 src0_sel:BYTE_0 src1_sel:DWORD
	s_and_saveexec_b64 s[14:15], s[16:17]
	s_cbranch_execz .LBB922_279
; %bb.274:                              ;   in Loop: Header=BB922_213 Depth=1
	v_cmp_ne_u16_sdwa s[18:19], v42, s9 src0_sel:BYTE_0 src1_sel:DWORD
	v_mov_b32_e32 v50, 0xffff8000
	s_and_saveexec_b64 s[16:17], s[18:19]
	s_cbranch_execz .LBB922_278
; %bb.275:                              ;   in Loop: Header=BB922_213 Depth=1
	v_bfe_u32 v49, v40, 16, 7
	v_cmp_ne_u32_e32 vcc, s23, v49
	v_mov_b32_e32 v50, 0x7f80
	s_and_saveexec_b64 s[18:19], vcc
	s_cbranch_execz .LBB922_277
; %bb.276:                              ;   in Loop: Header=BB922_213 Depth=1
	v_and_b32_e32 v52, 7, v42
	v_ffbh_u32_e32 v50, v52
	v_min_u32_e32 v62, 32, v50
	v_subrev_u32_e32 v50, 28, v62
	v_lshlrev_b64 v[50:51], v50, v[42:43]
	v_lshrrev_b32_e32 v53, 3, v49
	v_sub_u32_e32 v51, 29, v62
	v_and_b32_e32 v50, 7, v50
	v_cmp_gt_u32_e32 vcc, 8, v49
	v_cndmask_b32_e32 v49, v53, v51, vcc
	v_cndmask_b32_e32 v50, v52, v50, vcc
	v_lshlrev_b32_e32 v42, 24, v42
	v_lshlrev_b32_e32 v50, 20, v50
	v_and_b32_e32 v42, 0x80000000, v42
	v_lshl_add_u32 v49, v49, 23, v48
	v_or3_b32 v42, v42, v49, v50
	v_lshrrev_b32_e32 v50, 16, v42
.LBB922_277:                            ;   in Loop: Header=BB922_213 Depth=1
	s_or_b64 exec, exec, s[18:19]
.LBB922_278:                            ;   in Loop: Header=BB922_213 Depth=1
	s_or_b64 exec, exec, s[16:17]
.LBB922_279:                            ;   in Loop: Header=BB922_213 Depth=1
	s_or_b64 exec, exec, s[14:15]
	v_cmp_lt_u32_e32 vcc, s26, v40
	v_mov_b32_e32 v51, 0
	v_mov_b32_e32 v52, 0
	s_and_saveexec_b64 s[14:15], vcc
	s_cbranch_execz .LBB922_285
; %bb.280:                              ;   in Loop: Header=BB922_213 Depth=1
	v_lshrrev_b32_e32 v42, 24, v40
	v_cmp_ne_u32_e32 vcc, s9, v42
	v_mov_b32_e32 v52, 0xffff8000
	s_and_saveexec_b64 s[16:17], vcc
	s_cbranch_execz .LBB922_284
; %bb.281:                              ;   in Loop: Header=BB922_213 Depth=1
	v_bfe_u32 v40, v40, 24, 7
	v_cmp_ne_u32_e32 vcc, s23, v40
	v_mov_b32_e32 v52, 0x7f80
	s_and_saveexec_b64 s[18:19], vcc
	s_cbranch_execz .LBB922_283
; %bb.282:                              ;   in Loop: Header=BB922_213 Depth=1
	v_and_b32_e32 v49, 7, v42
	v_ffbh_u32_e32 v52, v49
	v_min_u32_e32 v63, 32, v52
	v_subrev_u32_e32 v52, 28, v63
	v_lshlrev_b64 v[52:53], v52, v[42:43]
	v_lshrrev_b32_e32 v62, 3, v40
	v_sub_u32_e32 v53, 29, v63
	v_and_b32_e32 v52, 7, v52
	v_cmp_gt_u32_e32 vcc, 8, v40
	v_cndmask_b32_e32 v40, v62, v53, vcc
	v_cndmask_b32_e32 v49, v49, v52, vcc
	v_lshlrev_b32_e32 v42, 24, v42
	v_lshlrev_b32_e32 v49, 20, v49
	v_and_b32_e32 v42, 0x80000000, v42
	v_lshl_add_u32 v40, v40, 23, v48
	v_or3_b32 v40, v42, v40, v49
	v_lshrrev_b32_e32 v52, 16, v40
.LBB922_283:                            ;   in Loop: Header=BB922_213 Depth=1
	s_or_b64 exec, exec, s[18:19]
.LBB922_284:                            ;   in Loop: Header=BB922_213 Depth=1
	s_or_b64 exec, exec, s[16:17]
.LBB922_285:                            ;   in Loop: Header=BB922_213 Depth=1
	s_or_b64 exec, exec, s[14:15]
	s_waitcnt vmcnt(0)
	v_cmp_ne_u16_sdwa s[16:17], v38, v47 src0_sel:BYTE_0 src1_sel:DWORD
	s_and_saveexec_b64 s[14:15], s[16:17]
	s_cbranch_execz .LBB922_291
; %bb.286:                              ;   in Loop: Header=BB922_213 Depth=1
	v_cmp_ne_u16_sdwa s[18:19], v38, s9 src0_sel:BYTE_0 src1_sel:DWORD
	v_mov_b32_e32 v51, 0xffff8000
	s_and_saveexec_b64 s[16:17], s[18:19]
	s_cbranch_execz .LBB922_290
; %bb.287:                              ;   in Loop: Header=BB922_213 Depth=1
	v_and_b32_e32 v40, 0x7f, v38
	v_cmp_ne_u32_e32 vcc, s23, v40
	v_mov_b32_e32 v51, 0x7f80
	s_and_saveexec_b64 s[18:19], vcc
	s_cbranch_execz .LBB922_289
; %bb.288:                              ;   in Loop: Header=BB922_213 Depth=1
	v_and_b32_e32 v42, 7, v38
	v_ffbh_u32_e32 v51, v42
	v_min_u32_e32 v51, 32, v51
	v_subrev_u32_e32 v53, 28, v51
	v_lshlrev_b64 v[62:63], v53, v[38:39]
	v_lshrrev_b32_e32 v49, 3, v40
	v_sub_u32_e32 v51, 29, v51
	v_and_b32_e32 v53, 7, v62
	v_cmp_gt_u32_e32 vcc, 8, v40
	v_cndmask_b32_e32 v40, v49, v51, vcc
	v_cndmask_b32_e32 v42, v42, v53, vcc
	v_lshlrev_b32_e32 v49, 24, v38
	v_lshlrev_b32_e32 v42, 20, v42
	v_and_b32_e32 v49, 0x80000000, v49
	v_lshl_add_u32 v40, v40, 23, v48
	v_or3_b32 v40, v49, v40, v42
	v_lshrrev_b32_e32 v51, 16, v40
.LBB922_289:                            ;   in Loop: Header=BB922_213 Depth=1
	s_or_b64 exec, exec, s[18:19]
.LBB922_290:                            ;   in Loop: Header=BB922_213 Depth=1
	s_or_b64 exec, exec, s[16:17]
.LBB922_291:                            ;   in Loop: Header=BB922_213 Depth=1
	s_or_b64 exec, exec, s[14:15]
	v_lshrrev_b16_e32 v40, 8, v38
	v_cmp_ne_u16_e32 vcc, 0, v40
	v_mov_b32_e32 v62, 0
	v_mov_b32_e32 v53, 0
	s_and_saveexec_b64 s[14:15], vcc
	s_cbranch_execz .LBB922_297
; %bb.292:                              ;   in Loop: Header=BB922_213 Depth=1
	v_cmp_ne_u16_e32 vcc, s9, v40
	v_mov_b32_e32 v53, 0xffff8000
	s_and_saveexec_b64 s[16:17], vcc
	s_cbranch_execz .LBB922_296
; %bb.293:                              ;   in Loop: Header=BB922_213 Depth=1
	v_and_b32_e32 v42, 0x7f, v40
	v_cmp_ne_u32_e32 vcc, s23, v42
	v_mov_b32_e32 v53, 0x7f80
	s_and_saveexec_b64 s[18:19], vcc
	s_cbranch_execz .LBB922_295
; %bb.294:                              ;   in Loop: Header=BB922_213 Depth=1
	v_and_b32_e32 v49, 7, v40
	v_ffbh_u32_e32 v63, v49
	v_min_u32_e32 v63, 32, v63
	v_subrev_u32_e32 v64, 28, v63
	v_lshlrev_b64 v[64:65], v64, v[40:41]
	v_lshrrev_b32_e32 v53, 3, v42
	v_sub_u32_e32 v40, 29, v63
	v_and_b32_e32 v63, 7, v64
	v_cmp_gt_u32_e32 vcc, 8, v42
	v_cndmask_b32_e32 v40, v53, v40, vcc
	v_cndmask_b32_e32 v42, v49, v63, vcc
	v_lshlrev_b32_e32 v49, 16, v38
	v_lshlrev_b32_e32 v42, 20, v42
	v_and_b32_e32 v49, 0x80000000, v49
	v_lshl_add_u32 v40, v40, 23, v48
	v_or3_b32 v40, v49, v40, v42
	v_lshrrev_b32_e32 v53, 16, v40
.LBB922_295:                            ;   in Loop: Header=BB922_213 Depth=1
	s_or_b64 exec, exec, s[18:19]
.LBB922_296:                            ;   in Loop: Header=BB922_213 Depth=1
	s_or_b64 exec, exec, s[16:17]
.LBB922_297:                            ;   in Loop: Header=BB922_213 Depth=1
	s_or_b64 exec, exec, s[14:15]
	v_lshrrev_b32_e32 v40, 16, v38
	v_cmp_ne_u16_sdwa s[16:17], v40, v47 src0_sel:BYTE_0 src1_sel:DWORD
	s_and_saveexec_b64 s[14:15], s[16:17]
	s_cbranch_execz .LBB922_303
; %bb.298:                              ;   in Loop: Header=BB922_213 Depth=1
	v_cmp_ne_u16_sdwa s[18:19], v40, s9 src0_sel:BYTE_0 src1_sel:DWORD
	v_mov_b32_e32 v62, 0xffff8000
	s_and_saveexec_b64 s[16:17], s[18:19]
	s_cbranch_execz .LBB922_302
; %bb.299:                              ;   in Loop: Header=BB922_213 Depth=1
	v_bfe_u32 v42, v38, 16, 7
	v_cmp_ne_u32_e32 vcc, s23, v42
	v_mov_b32_e32 v62, 0x7f80
	s_and_saveexec_b64 s[18:19], vcc
	s_cbranch_execz .LBB922_301
; %bb.300:                              ;   in Loop: Header=BB922_213 Depth=1
	v_and_b32_e32 v49, 7, v40
	v_ffbh_u32_e32 v62, v49
	v_min_u32_e32 v65, 32, v62
	v_subrev_u32_e32 v62, 28, v65
	v_lshlrev_b64 v[62:63], v62, v[40:41]
	v_lshrrev_b32_e32 v64, 3, v42
	v_sub_u32_e32 v63, 29, v65
	v_and_b32_e32 v62, 7, v62
	v_cmp_gt_u32_e32 vcc, 8, v42
	v_cndmask_b32_e32 v42, v64, v63, vcc
	v_cndmask_b32_e32 v49, v49, v62, vcc
	v_lshlrev_b32_e32 v40, 24, v40
	v_lshlrev_b32_e32 v49, 20, v49
	v_and_b32_e32 v40, 0x80000000, v40
	v_lshl_add_u32 v42, v42, 23, v48
	v_or3_b32 v40, v40, v42, v49
	v_lshrrev_b32_e32 v62, 16, v40
.LBB922_301:                            ;   in Loop: Header=BB922_213 Depth=1
	s_or_b64 exec, exec, s[18:19]
.LBB922_302:                            ;   in Loop: Header=BB922_213 Depth=1
	s_or_b64 exec, exec, s[16:17]
.LBB922_303:                            ;   in Loop: Header=BB922_213 Depth=1
	s_or_b64 exec, exec, s[14:15]
	v_cmp_lt_u32_e32 vcc, s26, v38
	v_mov_b32_e32 v49, 0
	v_mov_b32_e32 v63, 0
	s_and_saveexec_b64 s[14:15], vcc
	s_cbranch_execz .LBB922_309
; %bb.304:                              ;   in Loop: Header=BB922_213 Depth=1
	v_lshrrev_b32_e32 v40, 24, v38
	v_cmp_ne_u32_e32 vcc, s9, v40
	v_mov_b32_e32 v63, 0xffff8000
	s_and_saveexec_b64 s[16:17], vcc
	s_cbranch_execz .LBB922_308
; %bb.305:                              ;   in Loop: Header=BB922_213 Depth=1
	v_bfe_u32 v38, v38, 24, 7
	v_cmp_ne_u32_e32 vcc, s23, v38
	v_mov_b32_e32 v63, 0x7f80
	s_and_saveexec_b64 s[18:19], vcc
	s_cbranch_execz .LBB922_307
; %bb.306:                              ;   in Loop: Header=BB922_213 Depth=1
	v_and_b32_e32 v42, 7, v40
	v_ffbh_u32_e32 v64, v42
	v_min_u32_e32 v66, 32, v64
	v_subrev_u32_e32 v64, 28, v66
	v_lshlrev_b64 v[64:65], v64, v[40:41]
	v_lshrrev_b32_e32 v63, 3, v38
	v_sub_u32_e32 v65, 29, v66
	v_and_b32_e32 v64, 7, v64
	v_cmp_gt_u32_e32 vcc, 8, v38
	v_cndmask_b32_e32 v38, v63, v65, vcc
	v_cndmask_b32_e32 v42, v42, v64, vcc
	v_lshlrev_b32_e32 v40, 24, v40
	v_lshlrev_b32_e32 v42, 20, v42
	v_and_b32_e32 v40, 0x80000000, v40
	v_lshl_add_u32 v38, v38, 23, v48
	v_or3_b32 v38, v40, v38, v42
	v_lshrrev_b32_e32 v63, 16, v38
.LBB922_307:                            ;   in Loop: Header=BB922_213 Depth=1
	s_or_b64 exec, exec, s[18:19]
.LBB922_308:                            ;   in Loop: Header=BB922_213 Depth=1
	s_or_b64 exec, exec, s[16:17]
.LBB922_309:                            ;   in Loop: Header=BB922_213 Depth=1
	s_or_b64 exec, exec, s[14:15]
	v_perm_b32 v64, v46, v44, s27
	buffer_load_dword v44, v61, s[0:3], 0 offen
	buffer_load_dword v42, v61, s[0:3], 0 offen offset:4
	buffer_load_dword v40, v61, s[0:3], 0 offen offset:8
	;; [unrolled: 1-line block ×3, first 2 shown]
	v_perm_b32 v65, v52, v50, s27
	v_perm_b32 v63, v63, v62, s27
	v_perm_b32 v62, v53, v51, s27
	v_mfma_f32_16x16x16bf16_1k v[34:37], v[64:65], v[6:7], v[34:37]
	s_waitcnt vmcnt(3)
	v_cmp_ne_u16_sdwa s[16:17], v44, v47 src0_sel:BYTE_0 src1_sel:DWORD
	v_mfma_f32_16x16x16bf16_1k v[34:37], v[62:63], v[8:9], v[34:37]
	s_and_saveexec_b64 s[14:15], s[16:17]
	s_cbranch_execz .LBB922_315
; %bb.310:                              ;   in Loop: Header=BB922_213 Depth=1
	v_cmp_ne_u16_sdwa s[18:19], v44, s9 src0_sel:BYTE_0 src1_sel:DWORD
	v_mov_b32_e32 v49, 0xffff8000
	s_and_saveexec_b64 s[16:17], s[18:19]
	s_cbranch_execz .LBB922_314
; %bb.311:                              ;   in Loop: Header=BB922_213 Depth=1
	v_and_b32_e32 v46, 0x7f, v44
	v_cmp_ne_u32_e32 vcc, s23, v46
	v_mov_b32_e32 v49, 0x7f80
	s_and_saveexec_b64 s[18:19], vcc
	s_cbranch_execz .LBB922_313
; %bb.312:                              ;   in Loop: Header=BB922_213 Depth=1
	v_and_b32_e32 v49, 7, v44
	v_ffbh_u32_e32 v50, v49
	v_min_u32_e32 v53, 32, v50
	v_subrev_u32_e32 v50, 28, v53
	v_lshlrev_b64 v[50:51], v50, v[44:45]
	v_lshrrev_b32_e32 v52, 3, v46
	v_sub_u32_e32 v51, 29, v53
	v_and_b32_e32 v50, 7, v50
	v_cmp_gt_u32_e32 vcc, 8, v46
	v_cndmask_b32_e32 v46, v52, v51, vcc
	v_cndmask_b32_e32 v49, v49, v50, vcc
	v_lshlrev_b32_e32 v50, 24, v44
	v_lshlrev_b32_e32 v49, 20, v49
	v_and_b32_e32 v50, 0x80000000, v50
	v_lshl_add_u32 v46, v46, 23, v48
	v_or3_b32 v46, v50, v46, v49
	v_lshrrev_b32_e32 v49, 16, v46
.LBB922_313:                            ;   in Loop: Header=BB922_213 Depth=1
	s_or_b64 exec, exec, s[18:19]
.LBB922_314:                            ;   in Loop: Header=BB922_213 Depth=1
	s_or_b64 exec, exec, s[16:17]
.LBB922_315:                            ;   in Loop: Header=BB922_213 Depth=1
	s_or_b64 exec, exec, s[14:15]
	v_lshrrev_b16_e32 v46, 8, v44
	v_cmp_ne_u16_e32 vcc, 0, v46
	v_mov_b32_e32 v51, 0
	v_mov_b32_e32 v50, 0
	s_and_saveexec_b64 s[14:15], vcc
	s_cbranch_execz .LBB922_321
; %bb.316:                              ;   in Loop: Header=BB922_213 Depth=1
	v_cmp_ne_u16_e32 vcc, s9, v46
	v_mov_b32_e32 v50, 0xffff8000
	s_and_saveexec_b64 s[16:17], vcc
	s_cbranch_execz .LBB922_320
; %bb.317:                              ;   in Loop: Header=BB922_213 Depth=1
	v_and_b32_e32 v52, 0x7f, v46
	v_cmp_ne_u32_e32 vcc, s23, v52
	v_mov_b32_e32 v50, 0x7f80
	s_and_saveexec_b64 s[18:19], vcc
	s_cbranch_execz .LBB922_319
; %bb.318:                              ;   in Loop: Header=BB922_213 Depth=1
	v_and_b32_e32 v50, 7, v46
	v_ffbh_u32_e32 v61, v50
	v_min_u32_e32 v61, 32, v61
	v_subrev_u32_e32 v62, 28, v61
	v_lshlrev_b64 v[62:63], v62, v[46:47]
	v_lshrrev_b32_e32 v53, 3, v52
	v_sub_u32_e32 v46, 29, v61
	v_and_b32_e32 v61, 7, v62
	v_cmp_gt_u32_e32 vcc, 8, v52
	v_cndmask_b32_e32 v46, v53, v46, vcc
	v_cndmask_b32_e32 v50, v50, v61, vcc
	v_lshlrev_b32_e32 v52, 16, v44
	v_lshlrev_b32_e32 v50, 20, v50
	v_and_b32_e32 v52, 0x80000000, v52
	v_lshl_add_u32 v46, v46, 23, v48
	v_or3_b32 v46, v52, v46, v50
	v_lshrrev_b32_e32 v50, 16, v46
.LBB922_319:                            ;   in Loop: Header=BB922_213 Depth=1
	s_or_b64 exec, exec, s[18:19]
.LBB922_320:                            ;   in Loop: Header=BB922_213 Depth=1
	s_or_b64 exec, exec, s[16:17]
.LBB922_321:                            ;   in Loop: Header=BB922_213 Depth=1
	s_or_b64 exec, exec, s[14:15]
	v_lshrrev_b32_e32 v46, 16, v44
	v_cmp_ne_u16_sdwa s[16:17], v46, v47 src0_sel:BYTE_0 src1_sel:DWORD
	s_and_saveexec_b64 s[14:15], s[16:17]
	s_cbranch_execz .LBB922_327
; %bb.322:                              ;   in Loop: Header=BB922_213 Depth=1
	v_cmp_ne_u16_sdwa s[18:19], v46, s9 src0_sel:BYTE_0 src1_sel:DWORD
	v_mov_b32_e32 v51, 0xffff8000
	s_and_saveexec_b64 s[16:17], s[18:19]
	s_cbranch_execz .LBB922_326
; %bb.323:                              ;   in Loop: Header=BB922_213 Depth=1
	v_bfe_u32 v52, v44, 16, 7
	v_cmp_ne_u32_e32 vcc, s23, v52
	v_mov_b32_e32 v51, 0x7f80
	s_and_saveexec_b64 s[18:19], vcc
	s_cbranch_execz .LBB922_325
; %bb.324:                              ;   in Loop: Header=BB922_213 Depth=1
	v_and_b32_e32 v51, 7, v46
	v_ffbh_u32_e32 v61, v51
	v_min_u32_e32 v61, 32, v61
	v_subrev_u32_e32 v62, 28, v61
	v_lshlrev_b64 v[62:63], v62, v[46:47]
	v_lshrrev_b32_e32 v53, 3, v52
	v_sub_u32_e32 v61, 29, v61
	v_and_b32_e32 v62, 7, v62
	v_cmp_gt_u32_e32 vcc, 8, v52
	v_cndmask_b32_e32 v52, v53, v61, vcc
	v_cndmask_b32_e32 v51, v51, v62, vcc
	v_lshlrev_b32_e32 v46, 24, v46
	v_lshlrev_b32_e32 v51, 20, v51
	v_and_b32_e32 v46, 0x80000000, v46
	v_lshl_add_u32 v52, v52, 23, v48
	v_or3_b32 v46, v46, v52, v51
	v_lshrrev_b32_e32 v51, 16, v46
.LBB922_325:                            ;   in Loop: Header=BB922_213 Depth=1
	s_or_b64 exec, exec, s[18:19]
.LBB922_326:                            ;   in Loop: Header=BB922_213 Depth=1
	s_or_b64 exec, exec, s[16:17]
.LBB922_327:                            ;   in Loop: Header=BB922_213 Depth=1
	s_or_b64 exec, exec, s[14:15]
	v_cmp_lt_u32_e32 vcc, s26, v44
	v_mov_b32_e32 v52, 0
	v_mov_b32_e32 v53, 0
	s_and_saveexec_b64 s[14:15], vcc
	s_cbranch_execz .LBB922_333
; %bb.328:                              ;   in Loop: Header=BB922_213 Depth=1
	v_lshrrev_b32_e32 v46, 24, v44
	v_cmp_ne_u32_e32 vcc, s9, v46
	v_mov_b32_e32 v53, 0xffff8000
	s_and_saveexec_b64 s[16:17], vcc
	s_cbranch_execz .LBB922_332
; %bb.329:                              ;   in Loop: Header=BB922_213 Depth=1
	v_bfe_u32 v44, v44, 24, 7
	v_cmp_ne_u32_e32 vcc, s23, v44
	v_mov_b32_e32 v53, 0x7f80
	s_and_saveexec_b64 s[18:19], vcc
	s_cbranch_execz .LBB922_331
; %bb.330:                              ;   in Loop: Header=BB922_213 Depth=1
	v_and_b32_e32 v53, 7, v46
	v_ffbh_u32_e32 v62, v53
	v_min_u32_e32 v64, 32, v62
	v_subrev_u32_e32 v62, 28, v64
	v_lshlrev_b64 v[62:63], v62, v[46:47]
	v_lshrrev_b32_e32 v61, 3, v44
	v_sub_u32_e32 v63, 29, v64
	v_and_b32_e32 v62, 7, v62
	v_cmp_gt_u32_e32 vcc, 8, v44
	v_cndmask_b32_e32 v44, v61, v63, vcc
	v_cndmask_b32_e32 v53, v53, v62, vcc
	v_lshlrev_b32_e32 v46, 24, v46
	v_lshlrev_b32_e32 v53, 20, v53
	v_and_b32_e32 v46, 0x80000000, v46
	v_lshl_add_u32 v44, v44, 23, v48
	v_or3_b32 v44, v46, v44, v53
	v_lshrrev_b32_e32 v53, 16, v44
.LBB922_331:                            ;   in Loop: Header=BB922_213 Depth=1
	s_or_b64 exec, exec, s[18:19]
.LBB922_332:                            ;   in Loop: Header=BB922_213 Depth=1
	s_or_b64 exec, exec, s[16:17]
.LBB922_333:                            ;   in Loop: Header=BB922_213 Depth=1
	s_or_b64 exec, exec, s[14:15]
	s_waitcnt vmcnt(2)
	v_cmp_ne_u16_sdwa s[16:17], v42, v47 src0_sel:BYTE_0 src1_sel:DWORD
	s_and_saveexec_b64 s[14:15], s[16:17]
	s_cbranch_execz .LBB922_339
; %bb.334:                              ;   in Loop: Header=BB922_213 Depth=1
	v_cmp_ne_u16_sdwa s[18:19], v42, s9 src0_sel:BYTE_0 src1_sel:DWORD
	v_mov_b32_e32 v52, 0xffff8000
	s_and_saveexec_b64 s[16:17], s[18:19]
	s_cbranch_execz .LBB922_338
; %bb.335:                              ;   in Loop: Header=BB922_213 Depth=1
	v_and_b32_e32 v44, 0x7f, v42
	v_cmp_ne_u32_e32 vcc, s23, v44
	v_mov_b32_e32 v52, 0x7f80
	s_and_saveexec_b64 s[18:19], vcc
	s_cbranch_execz .LBB922_337
; %bb.336:                              ;   in Loop: Header=BB922_213 Depth=1
	v_and_b32_e32 v46, 7, v42
	v_ffbh_u32_e32 v61, v46
	v_min_u32_e32 v61, 32, v61
	v_subrev_u32_e32 v62, 28, v61
	v_lshlrev_b64 v[62:63], v62, v[42:43]
	v_lshrrev_b32_e32 v52, 3, v44
	v_sub_u32_e32 v61, 29, v61
	v_and_b32_e32 v62, 7, v62
	v_cmp_gt_u32_e32 vcc, 8, v44
	v_cndmask_b32_e32 v44, v52, v61, vcc
	v_cndmask_b32_e32 v46, v46, v62, vcc
	v_lshlrev_b32_e32 v52, 24, v42
	v_lshlrev_b32_e32 v46, 20, v46
	v_and_b32_e32 v52, 0x80000000, v52
	v_lshl_add_u32 v44, v44, 23, v48
	v_or3_b32 v44, v52, v44, v46
	v_lshrrev_b32_e32 v52, 16, v44
.LBB922_337:                            ;   in Loop: Header=BB922_213 Depth=1
	s_or_b64 exec, exec, s[18:19]
.LBB922_338:                            ;   in Loop: Header=BB922_213 Depth=1
	s_or_b64 exec, exec, s[16:17]
.LBB922_339:                            ;   in Loop: Header=BB922_213 Depth=1
	s_or_b64 exec, exec, s[14:15]
	v_lshrrev_b16_e32 v44, 8, v42
	v_cmp_ne_u16_e32 vcc, 0, v44
	v_mov_b32_e32 v62, 0
	v_mov_b32_e32 v61, 0
	s_and_saveexec_b64 s[14:15], vcc
	s_cbranch_execz .LBB922_345
; %bb.340:                              ;   in Loop: Header=BB922_213 Depth=1
	v_cmp_ne_u16_e32 vcc, s9, v44
	v_mov_b32_e32 v61, 0xffff8000
	s_and_saveexec_b64 s[16:17], vcc
	s_cbranch_execz .LBB922_344
; %bb.341:                              ;   in Loop: Header=BB922_213 Depth=1
	v_and_b32_e32 v46, 0x7f, v44
	v_cmp_ne_u32_e32 vcc, s23, v46
	v_mov_b32_e32 v61, 0x7f80
	s_and_saveexec_b64 s[18:19], vcc
	s_cbranch_execz .LBB922_343
; %bb.342:                              ;   in Loop: Header=BB922_213 Depth=1
	v_and_b32_e32 v61, 7, v44
	v_ffbh_u32_e32 v64, v61
	v_min_u32_e32 v66, 32, v64
	v_subrev_u32_e32 v64, 28, v66
	v_lshlrev_b64 v[64:65], v64, v[44:45]
	v_lshrrev_b32_e32 v63, 3, v46
	v_sub_u32_e32 v44, 29, v66
	v_and_b32_e32 v64, 7, v64
	v_cmp_gt_u32_e32 vcc, 8, v46
	v_cndmask_b32_e32 v44, v63, v44, vcc
	v_cndmask_b32_e32 v46, v61, v64, vcc
	v_lshlrev_b32_e32 v61, 16, v42
	v_lshlrev_b32_e32 v46, 20, v46
	v_and_b32_e32 v61, 0x80000000, v61
	v_lshl_add_u32 v44, v44, 23, v48
	v_or3_b32 v44, v61, v44, v46
	v_lshrrev_b32_e32 v61, 16, v44
.LBB922_343:                            ;   in Loop: Header=BB922_213 Depth=1
	s_or_b64 exec, exec, s[18:19]
.LBB922_344:                            ;   in Loop: Header=BB922_213 Depth=1
	s_or_b64 exec, exec, s[16:17]
.LBB922_345:                            ;   in Loop: Header=BB922_213 Depth=1
	s_or_b64 exec, exec, s[14:15]
	v_lshrrev_b32_e32 v44, 16, v42
	v_cmp_ne_u16_sdwa s[16:17], v44, v47 src0_sel:BYTE_0 src1_sel:DWORD
	s_and_saveexec_b64 s[14:15], s[16:17]
	s_cbranch_execz .LBB922_351
; %bb.346:                              ;   in Loop: Header=BB922_213 Depth=1
	v_cmp_ne_u16_sdwa s[18:19], v44, s9 src0_sel:BYTE_0 src1_sel:DWORD
	v_mov_b32_e32 v62, 0xffff8000
	s_and_saveexec_b64 s[16:17], s[18:19]
	s_cbranch_execz .LBB922_350
; %bb.347:                              ;   in Loop: Header=BB922_213 Depth=1
	v_bfe_u32 v46, v42, 16, 7
	v_cmp_ne_u32_e32 vcc, s23, v46
	v_mov_b32_e32 v62, 0x7f80
	s_and_saveexec_b64 s[18:19], vcc
	s_cbranch_execz .LBB922_349
; %bb.348:                              ;   in Loop: Header=BB922_213 Depth=1
	v_and_b32_e32 v64, 7, v44
	v_ffbh_u32_e32 v62, v64
	v_min_u32_e32 v66, 32, v62
	v_subrev_u32_e32 v62, 28, v66
	v_lshlrev_b64 v[62:63], v62, v[44:45]
	v_lshrrev_b32_e32 v65, 3, v46
	v_sub_u32_e32 v63, 29, v66
	v_and_b32_e32 v62, 7, v62
	v_cmp_gt_u32_e32 vcc, 8, v46
	v_cndmask_b32_e32 v46, v65, v63, vcc
	v_cndmask_b32_e32 v62, v64, v62, vcc
	v_lshlrev_b32_e32 v44, 24, v44
	v_lshlrev_b32_e32 v62, 20, v62
	v_and_b32_e32 v44, 0x80000000, v44
	v_lshl_add_u32 v46, v46, 23, v48
	v_or3_b32 v44, v44, v46, v62
	v_lshrrev_b32_e32 v62, 16, v44
.LBB922_349:                            ;   in Loop: Header=BB922_213 Depth=1
	s_or_b64 exec, exec, s[18:19]
.LBB922_350:                            ;   in Loop: Header=BB922_213 Depth=1
	s_or_b64 exec, exec, s[16:17]
.LBB922_351:                            ;   in Loop: Header=BB922_213 Depth=1
	s_or_b64 exec, exec, s[14:15]
	v_cmp_lt_u32_e32 vcc, s26, v42
	v_mov_b32_e32 v46, 0
	v_mov_b32_e32 v63, 0
	s_and_saveexec_b64 s[14:15], vcc
	s_cbranch_execz .LBB922_357
; %bb.352:                              ;   in Loop: Header=BB922_213 Depth=1
	v_lshrrev_b32_e32 v44, 24, v42
	v_cmp_ne_u32_e32 vcc, s9, v44
	v_mov_b32_e32 v63, 0xffff8000
	s_and_saveexec_b64 s[16:17], vcc
	s_cbranch_execz .LBB922_356
; %bb.353:                              ;   in Loop: Header=BB922_213 Depth=1
	v_bfe_u32 v42, v42, 24, 7
	v_cmp_ne_u32_e32 vcc, s23, v42
	v_mov_b32_e32 v63, 0x7f80
	s_and_saveexec_b64 s[18:19], vcc
	s_cbranch_execz .LBB922_355
; %bb.354:                              ;   in Loop: Header=BB922_213 Depth=1
	v_and_b32_e32 v63, 7, v44
	v_ffbh_u32_e32 v64, v63
	v_min_u32_e32 v67, 32, v64
	v_subrev_u32_e32 v64, 28, v67
	v_lshlrev_b64 v[64:65], v64, v[44:45]
	v_lshrrev_b32_e32 v66, 3, v42
	v_sub_u32_e32 v65, 29, v67
	v_and_b32_e32 v64, 7, v64
	v_cmp_gt_u32_e32 vcc, 8, v42
	v_cndmask_b32_e32 v42, v66, v65, vcc
	v_cndmask_b32_e32 v63, v63, v64, vcc
	v_lshlrev_b32_e32 v44, 24, v44
	v_lshlrev_b32_e32 v63, 20, v63
	v_and_b32_e32 v44, 0x80000000, v44
	v_lshl_add_u32 v42, v42, 23, v48
	v_or3_b32 v42, v44, v42, v63
	v_lshrrev_b32_e32 v63, 16, v42
.LBB922_355:                            ;   in Loop: Header=BB922_213 Depth=1
	s_or_b64 exec, exec, s[18:19]
.LBB922_356:                            ;   in Loop: Header=BB922_213 Depth=1
	s_or_b64 exec, exec, s[16:17]
.LBB922_357:                            ;   in Loop: Header=BB922_213 Depth=1
	s_or_b64 exec, exec, s[14:15]
	v_perm_b32 v51, v53, v51, s27
	v_perm_b32 v50, v50, v49, s27
	s_waitcnt vmcnt(1)
	v_cmp_ne_u16_sdwa s[16:17], v40, v47 src0_sel:BYTE_0 src1_sel:DWORD
	v_mfma_f32_16x16x16bf16_1k v[34:37], v[50:51], v[10:11], v[34:37]
	v_perm_b32 v51, v63, v62, s27
	v_perm_b32 v50, v61, v52, s27
	s_nop 1
	v_mfma_f32_16x16x16bf16_1k v[34:37], v[50:51], v[12:13], v[34:37]
	s_and_saveexec_b64 s[14:15], s[16:17]
	s_cbranch_execz .LBB922_363
; %bb.358:                              ;   in Loop: Header=BB922_213 Depth=1
	v_cmp_ne_u16_sdwa s[18:19], v40, s9 src0_sel:BYTE_0 src1_sel:DWORD
	v_mov_b32_e32 v46, 0xffff8000
	s_and_saveexec_b64 s[16:17], s[18:19]
	s_cbranch_execz .LBB922_362
; %bb.359:                              ;   in Loop: Header=BB922_213 Depth=1
	v_and_b32_e32 v42, 0x7f, v40
	v_cmp_ne_u32_e32 vcc, s23, v42
	v_mov_b32_e32 v46, 0x7f80
	s_and_saveexec_b64 s[18:19], vcc
	s_cbranch_execz .LBB922_361
; %bb.360:                              ;   in Loop: Header=BB922_213 Depth=1
	v_and_b32_e32 v44, 7, v40
	v_ffbh_u32_e32 v49, v44
	v_min_u32_e32 v49, 32, v49
	v_subrev_u32_e32 v50, 28, v49
	v_lshlrev_b64 v[50:51], v50, v[40:41]
	v_lshrrev_b32_e32 v46, 3, v42
	v_sub_u32_e32 v49, 29, v49
	v_and_b32_e32 v50, 7, v50
	v_cmp_gt_u32_e32 vcc, 8, v42
	v_cndmask_b32_e32 v42, v46, v49, vcc
	v_cndmask_b32_e32 v44, v44, v50, vcc
	v_lshlrev_b32_e32 v46, 24, v40
	v_lshlrev_b32_e32 v44, 20, v44
	v_and_b32_e32 v46, 0x80000000, v46
	v_lshl_add_u32 v42, v42, 23, v48
	v_or3_b32 v42, v46, v42, v44
	v_lshrrev_b32_e32 v46, 16, v42
.LBB922_361:                            ;   in Loop: Header=BB922_213 Depth=1
	s_or_b64 exec, exec, s[18:19]
.LBB922_362:                            ;   in Loop: Header=BB922_213 Depth=1
	s_or_b64 exec, exec, s[16:17]
.LBB922_363:                            ;   in Loop: Header=BB922_213 Depth=1
	s_or_b64 exec, exec, s[14:15]
	v_lshrrev_b16_e32 v42, 8, v40
	v_cmp_ne_u16_e32 vcc, 0, v42
	v_mov_b32_e32 v50, 0
	v_mov_b32_e32 v44, 0
	s_and_saveexec_b64 s[14:15], vcc
	s_cbranch_execz .LBB922_369
; %bb.364:                              ;   in Loop: Header=BB922_213 Depth=1
	v_cmp_ne_u16_e32 vcc, s9, v42
	v_mov_b32_e32 v44, 0xffff8000
	s_and_saveexec_b64 s[16:17], vcc
	s_cbranch_execz .LBB922_368
; %bb.365:                              ;   in Loop: Header=BB922_213 Depth=1
	v_and_b32_e32 v49, 0x7f, v42
	v_cmp_ne_u32_e32 vcc, s23, v49
	v_mov_b32_e32 v44, 0x7f80
	s_and_saveexec_b64 s[18:19], vcc
	s_cbranch_execz .LBB922_367
; %bb.366:                              ;   in Loop: Header=BB922_213 Depth=1
	v_and_b32_e32 v44, 7, v42
	v_ffbh_u32_e32 v52, v44
	v_min_u32_e32 v61, 32, v52
	v_subrev_u32_e32 v52, 28, v61
	v_lshlrev_b64 v[52:53], v52, v[42:43]
	v_lshrrev_b32_e32 v51, 3, v49
	v_sub_u32_e32 v42, 29, v61
	v_and_b32_e32 v52, 7, v52
	v_cmp_gt_u32_e32 vcc, 8, v49
	v_cndmask_b32_e32 v42, v51, v42, vcc
	v_cndmask_b32_e32 v44, v44, v52, vcc
	v_lshlrev_b32_e32 v49, 16, v40
	v_lshlrev_b32_e32 v44, 20, v44
	v_and_b32_e32 v49, 0x80000000, v49
	v_lshl_add_u32 v42, v42, 23, v48
	v_or3_b32 v42, v49, v42, v44
	v_lshrrev_b32_e32 v44, 16, v42
.LBB922_367:                            ;   in Loop: Header=BB922_213 Depth=1
	s_or_b64 exec, exec, s[18:19]
.LBB922_368:                            ;   in Loop: Header=BB922_213 Depth=1
	s_or_b64 exec, exec, s[16:17]
.LBB922_369:                            ;   in Loop: Header=BB922_213 Depth=1
	s_or_b64 exec, exec, s[14:15]
	v_lshrrev_b32_e32 v42, 16, v40
	v_cmp_ne_u16_sdwa s[16:17], v42, v47 src0_sel:BYTE_0 src1_sel:DWORD
	s_and_saveexec_b64 s[14:15], s[16:17]
	s_cbranch_execz .LBB922_375
; %bb.370:                              ;   in Loop: Header=BB922_213 Depth=1
	v_cmp_ne_u16_sdwa s[18:19], v42, s9 src0_sel:BYTE_0 src1_sel:DWORD
	v_mov_b32_e32 v50, 0xffff8000
	s_and_saveexec_b64 s[16:17], s[18:19]
	s_cbranch_execz .LBB922_374
; %bb.371:                              ;   in Loop: Header=BB922_213 Depth=1
	v_bfe_u32 v49, v40, 16, 7
	v_cmp_ne_u32_e32 vcc, s23, v49
	v_mov_b32_e32 v50, 0x7f80
	s_and_saveexec_b64 s[18:19], vcc
	s_cbranch_execz .LBB922_373
; %bb.372:                              ;   in Loop: Header=BB922_213 Depth=1
	v_and_b32_e32 v52, 7, v42
	v_ffbh_u32_e32 v50, v52
	v_min_u32_e32 v61, 32, v50
	v_subrev_u32_e32 v50, 28, v61
	v_lshlrev_b64 v[50:51], v50, v[42:43]
	v_lshrrev_b32_e32 v53, 3, v49
	v_sub_u32_e32 v51, 29, v61
	v_and_b32_e32 v50, 7, v50
	v_cmp_gt_u32_e32 vcc, 8, v49
	v_cndmask_b32_e32 v49, v53, v51, vcc
	v_cndmask_b32_e32 v50, v52, v50, vcc
	v_lshlrev_b32_e32 v42, 24, v42
	v_lshlrev_b32_e32 v50, 20, v50
	v_and_b32_e32 v42, 0x80000000, v42
	v_lshl_add_u32 v49, v49, 23, v48
	v_or3_b32 v42, v42, v49, v50
	v_lshrrev_b32_e32 v50, 16, v42
.LBB922_373:                            ;   in Loop: Header=BB922_213 Depth=1
	s_or_b64 exec, exec, s[18:19]
.LBB922_374:                            ;   in Loop: Header=BB922_213 Depth=1
	s_or_b64 exec, exec, s[16:17]
.LBB922_375:                            ;   in Loop: Header=BB922_213 Depth=1
	s_or_b64 exec, exec, s[14:15]
	v_cmp_lt_u32_e32 vcc, s26, v40
	v_mov_b32_e32 v51, 0
	v_mov_b32_e32 v52, 0
	s_and_saveexec_b64 s[14:15], vcc
	s_cbranch_execz .LBB922_381
; %bb.376:                              ;   in Loop: Header=BB922_213 Depth=1
	v_lshrrev_b32_e32 v42, 24, v40
	v_cmp_ne_u32_e32 vcc, s9, v42
	v_mov_b32_e32 v52, 0xffff8000
	s_and_saveexec_b64 s[16:17], vcc
	s_cbranch_execz .LBB922_380
; %bb.377:                              ;   in Loop: Header=BB922_213 Depth=1
	v_bfe_u32 v40, v40, 24, 7
	v_cmp_ne_u32_e32 vcc, s23, v40
	v_mov_b32_e32 v52, 0x7f80
	s_and_saveexec_b64 s[18:19], vcc
	s_cbranch_execz .LBB922_379
; %bb.378:                              ;   in Loop: Header=BB922_213 Depth=1
	v_and_b32_e32 v49, 7, v42
	v_ffbh_u32_e32 v52, v49
	v_min_u32_e32 v62, 32, v52
	v_subrev_u32_e32 v52, 28, v62
	v_lshlrev_b64 v[52:53], v52, v[42:43]
	v_lshrrev_b32_e32 v61, 3, v40
	v_sub_u32_e32 v53, 29, v62
	v_and_b32_e32 v52, 7, v52
	v_cmp_gt_u32_e32 vcc, 8, v40
	v_cndmask_b32_e32 v40, v61, v53, vcc
	v_cndmask_b32_e32 v49, v49, v52, vcc
	v_lshlrev_b32_e32 v42, 24, v42
	v_lshlrev_b32_e32 v49, 20, v49
	v_and_b32_e32 v42, 0x80000000, v42
	v_lshl_add_u32 v40, v40, 23, v48
	v_or3_b32 v40, v42, v40, v49
	v_lshrrev_b32_e32 v52, 16, v40
.LBB922_379:                            ;   in Loop: Header=BB922_213 Depth=1
	s_or_b64 exec, exec, s[18:19]
.LBB922_380:                            ;   in Loop: Header=BB922_213 Depth=1
	s_or_b64 exec, exec, s[16:17]
.LBB922_381:                            ;   in Loop: Header=BB922_213 Depth=1
	s_or_b64 exec, exec, s[14:15]
	s_waitcnt vmcnt(0)
	v_cmp_ne_u16_sdwa s[16:17], v38, v47 src0_sel:BYTE_0 src1_sel:DWORD
	s_and_saveexec_b64 s[14:15], s[16:17]
	s_cbranch_execz .LBB922_387
; %bb.382:                              ;   in Loop: Header=BB922_213 Depth=1
	v_cmp_ne_u16_sdwa s[18:19], v38, s9 src0_sel:BYTE_0 src1_sel:DWORD
	v_mov_b32_e32 v51, 0xffff8000
	s_and_saveexec_b64 s[16:17], s[18:19]
	s_cbranch_execz .LBB922_386
; %bb.383:                              ;   in Loop: Header=BB922_213 Depth=1
	v_and_b32_e32 v40, 0x7f, v38
	v_cmp_ne_u32_e32 vcc, s23, v40
	v_mov_b32_e32 v51, 0x7f80
	s_and_saveexec_b64 s[18:19], vcc
	s_cbranch_execz .LBB922_385
; %bb.384:                              ;   in Loop: Header=BB922_213 Depth=1
	v_and_b32_e32 v42, 7, v38
	v_ffbh_u32_e32 v51, v42
	v_min_u32_e32 v51, 32, v51
	v_subrev_u32_e32 v53, 28, v51
	v_lshlrev_b64 v[62:63], v53, v[38:39]
	v_lshrrev_b32_e32 v49, 3, v40
	v_sub_u32_e32 v51, 29, v51
	v_and_b32_e32 v53, 7, v62
	v_cmp_gt_u32_e32 vcc, 8, v40
	v_cndmask_b32_e32 v40, v49, v51, vcc
	v_cndmask_b32_e32 v42, v42, v53, vcc
	v_lshlrev_b32_e32 v49, 24, v38
	v_lshlrev_b32_e32 v42, 20, v42
	v_and_b32_e32 v49, 0x80000000, v49
	v_lshl_add_u32 v40, v40, 23, v48
	v_or3_b32 v40, v49, v40, v42
	v_lshrrev_b32_e32 v51, 16, v40
.LBB922_385:                            ;   in Loop: Header=BB922_213 Depth=1
	s_or_b64 exec, exec, s[18:19]
.LBB922_386:                            ;   in Loop: Header=BB922_213 Depth=1
	s_or_b64 exec, exec, s[16:17]
.LBB922_387:                            ;   in Loop: Header=BB922_213 Depth=1
	s_or_b64 exec, exec, s[14:15]
	v_lshrrev_b16_e32 v40, 8, v38
	v_cmp_ne_u16_e32 vcc, 0, v40
	v_mov_b32_e32 v61, 0
	v_mov_b32_e32 v53, 0
	s_and_saveexec_b64 s[14:15], vcc
	s_cbranch_execz .LBB922_393
; %bb.388:                              ;   in Loop: Header=BB922_213 Depth=1
	v_cmp_ne_u16_e32 vcc, s9, v40
	v_mov_b32_e32 v53, 0xffff8000
	s_and_saveexec_b64 s[16:17], vcc
	s_cbranch_execz .LBB922_392
; %bb.389:                              ;   in Loop: Header=BB922_213 Depth=1
	v_and_b32_e32 v42, 0x7f, v40
	v_cmp_ne_u32_e32 vcc, s23, v42
	v_mov_b32_e32 v53, 0x7f80
	s_and_saveexec_b64 s[18:19], vcc
	s_cbranch_execz .LBB922_391
; %bb.390:                              ;   in Loop: Header=BB922_213 Depth=1
	v_and_b32_e32 v49, 7, v40
	v_ffbh_u32_e32 v62, v49
	v_min_u32_e32 v64, 32, v62
	v_subrev_u32_e32 v62, 28, v64
	v_lshlrev_b64 v[62:63], v62, v[40:41]
	v_lshrrev_b32_e32 v53, 3, v42
	v_sub_u32_e32 v40, 29, v64
	v_and_b32_e32 v62, 7, v62
	v_cmp_gt_u32_e32 vcc, 8, v42
	v_cndmask_b32_e32 v40, v53, v40, vcc
	v_cndmask_b32_e32 v42, v49, v62, vcc
	v_lshlrev_b32_e32 v49, 16, v38
	v_lshlrev_b32_e32 v42, 20, v42
	v_and_b32_e32 v49, 0x80000000, v49
	v_lshl_add_u32 v40, v40, 23, v48
	v_or3_b32 v40, v49, v40, v42
	v_lshrrev_b32_e32 v53, 16, v40
.LBB922_391:                            ;   in Loop: Header=BB922_213 Depth=1
	s_or_b64 exec, exec, s[18:19]
.LBB922_392:                            ;   in Loop: Header=BB922_213 Depth=1
	s_or_b64 exec, exec, s[16:17]
.LBB922_393:                            ;   in Loop: Header=BB922_213 Depth=1
	s_or_b64 exec, exec, s[14:15]
	v_lshrrev_b32_e32 v40, 16, v38
	v_cmp_ne_u16_sdwa s[16:17], v40, v47 src0_sel:BYTE_0 src1_sel:DWORD
	s_and_saveexec_b64 s[14:15], s[16:17]
	s_cbranch_execz .LBB922_399
; %bb.394:                              ;   in Loop: Header=BB922_213 Depth=1
	v_cmp_ne_u16_sdwa s[18:19], v40, s9 src0_sel:BYTE_0 src1_sel:DWORD
	v_mov_b32_e32 v61, 0xffff8000
	s_and_saveexec_b64 s[16:17], s[18:19]
	s_cbranch_execz .LBB922_398
; %bb.395:                              ;   in Loop: Header=BB922_213 Depth=1
	v_bfe_u32 v42, v38, 16, 7
	v_cmp_ne_u32_e32 vcc, s23, v42
	v_mov_b32_e32 v61, 0x7f80
	s_and_saveexec_b64 s[18:19], vcc
	s_cbranch_execz .LBB922_397
; %bb.396:                              ;   in Loop: Header=BB922_213 Depth=1
	v_and_b32_e32 v49, 7, v40
	v_ffbh_u32_e32 v62, v49
	v_min_u32_e32 v64, 32, v62
	v_subrev_u32_e32 v62, 28, v64
	v_lshlrev_b64 v[62:63], v62, v[40:41]
	v_lshrrev_b32_e32 v61, 3, v42
	v_sub_u32_e32 v63, 29, v64
	v_and_b32_e32 v62, 7, v62
	v_cmp_gt_u32_e32 vcc, 8, v42
	v_cndmask_b32_e32 v42, v61, v63, vcc
	v_cndmask_b32_e32 v49, v49, v62, vcc
	v_lshlrev_b32_e32 v40, 24, v40
	v_lshlrev_b32_e32 v49, 20, v49
	v_and_b32_e32 v40, 0x80000000, v40
	v_lshl_add_u32 v42, v42, 23, v48
	v_or3_b32 v40, v40, v42, v49
	v_lshrrev_b32_e32 v61, 16, v40
.LBB922_397:                            ;   in Loop: Header=BB922_213 Depth=1
	s_or_b64 exec, exec, s[18:19]
.LBB922_398:                            ;   in Loop: Header=BB922_213 Depth=1
	s_or_b64 exec, exec, s[16:17]
.LBB922_399:                            ;   in Loop: Header=BB922_213 Depth=1
	s_or_b64 exec, exec, s[14:15]
	v_cmp_lt_u32_e32 vcc, s26, v38
	v_mov_b32_e32 v49, 0
	v_mov_b32_e32 v62, 0
	s_and_saveexec_b64 s[14:15], vcc
	s_cbranch_execz .LBB922_405
; %bb.400:                              ;   in Loop: Header=BB922_213 Depth=1
	v_lshrrev_b32_e32 v40, 24, v38
	v_cmp_ne_u32_e32 vcc, s9, v40
	v_mov_b32_e32 v62, 0xffff8000
	s_and_saveexec_b64 s[16:17], vcc
	s_cbranch_execz .LBB922_404
; %bb.401:                              ;   in Loop: Header=BB922_213 Depth=1
	v_bfe_u32 v38, v38, 24, 7
	v_cmp_ne_u32_e32 vcc, s23, v38
	v_mov_b32_e32 v62, 0x7f80
	s_and_saveexec_b64 s[18:19], vcc
	s_cbranch_execz .LBB922_403
; %bb.402:                              ;   in Loop: Header=BB922_213 Depth=1
	v_and_b32_e32 v42, 7, v40
	v_ffbh_u32_e32 v62, v42
	v_min_u32_e32 v65, 32, v62
	v_subrev_u32_e32 v62, 28, v65
	v_lshlrev_b64 v[62:63], v62, v[40:41]
	v_lshrrev_b32_e32 v64, 3, v38
	v_sub_u32_e32 v63, 29, v65
	v_and_b32_e32 v62, 7, v62
	v_cmp_gt_u32_e32 vcc, 8, v38
	v_cndmask_b32_e32 v38, v64, v63, vcc
	v_cndmask_b32_e32 v42, v42, v62, vcc
	v_lshlrev_b32_e32 v40, 24, v40
	v_lshlrev_b32_e32 v42, 20, v42
	v_and_b32_e32 v40, 0x80000000, v40
	v_lshl_add_u32 v38, v38, 23, v48
	v_or3_b32 v38, v40, v38, v42
	v_lshrrev_b32_e32 v62, 16, v38
.LBB922_403:                            ;   in Loop: Header=BB922_213 Depth=1
	s_or_b64 exec, exec, s[18:19]
.LBB922_404:                            ;   in Loop: Header=BB922_213 Depth=1
	s_or_b64 exec, exec, s[16:17]
.LBB922_405:                            ;   in Loop: Header=BB922_213 Depth=1
	s_or_b64 exec, exec, s[14:15]
	v_perm_b32 v64, v44, v46, s27
	buffer_load_dword v44, v60, s[0:3], 0 offen
	buffer_load_dword v42, v60, s[0:3], 0 offen offset:4
	buffer_load_dword v40, v60, s[0:3], 0 offen offset:8
	;; [unrolled: 1-line block ×3, first 2 shown]
	v_perm_b32 v65, v52, v50, s27
	v_perm_b32 v61, v62, v61, s27
	;; [unrolled: 1-line block ×3, first 2 shown]
	v_mfma_f32_16x16x16bf16_1k v[34:37], v[64:65], v[14:15], v[34:37]
	s_waitcnt vmcnt(3)
	v_cmp_ne_u16_sdwa s[16:17], v44, v47 src0_sel:BYTE_0 src1_sel:DWORD
	v_mfma_f32_16x16x16bf16_1k v[34:37], v[60:61], v[16:17], v[34:37]
	s_and_saveexec_b64 s[14:15], s[16:17]
	s_cbranch_execz .LBB922_411
; %bb.406:                              ;   in Loop: Header=BB922_213 Depth=1
	v_cmp_ne_u16_sdwa s[18:19], v44, s9 src0_sel:BYTE_0 src1_sel:DWORD
	v_mov_b32_e32 v49, 0xffff8000
	s_and_saveexec_b64 s[16:17], s[18:19]
	s_cbranch_execz .LBB922_410
; %bb.407:                              ;   in Loop: Header=BB922_213 Depth=1
	v_and_b32_e32 v46, 0x7f, v44
	v_cmp_ne_u32_e32 vcc, s23, v46
	v_mov_b32_e32 v49, 0x7f80
	s_and_saveexec_b64 s[18:19], vcc
	s_cbranch_execz .LBB922_409
; %bb.408:                              ;   in Loop: Header=BB922_213 Depth=1
	v_and_b32_e32 v49, 7, v44
	v_ffbh_u32_e32 v50, v49
	v_min_u32_e32 v53, 32, v50
	v_subrev_u32_e32 v50, 28, v53
	v_lshlrev_b64 v[50:51], v50, v[44:45]
	v_lshrrev_b32_e32 v52, 3, v46
	v_sub_u32_e32 v51, 29, v53
	v_and_b32_e32 v50, 7, v50
	v_cmp_gt_u32_e32 vcc, 8, v46
	v_cndmask_b32_e32 v46, v52, v51, vcc
	v_cndmask_b32_e32 v49, v49, v50, vcc
	v_lshlrev_b32_e32 v50, 24, v44
	v_lshlrev_b32_e32 v49, 20, v49
	v_and_b32_e32 v50, 0x80000000, v50
	v_lshl_add_u32 v46, v46, 23, v48
	v_or3_b32 v46, v50, v46, v49
	v_lshrrev_b32_e32 v49, 16, v46
.LBB922_409:                            ;   in Loop: Header=BB922_213 Depth=1
	s_or_b64 exec, exec, s[18:19]
.LBB922_410:                            ;   in Loop: Header=BB922_213 Depth=1
	s_or_b64 exec, exec, s[16:17]
.LBB922_411:                            ;   in Loop: Header=BB922_213 Depth=1
	s_or_b64 exec, exec, s[14:15]
	v_lshrrev_b16_e32 v46, 8, v44
	v_cmp_ne_u16_e32 vcc, 0, v46
	v_mov_b32_e32 v51, 0
	v_mov_b32_e32 v50, 0
	s_and_saveexec_b64 s[14:15], vcc
	s_cbranch_execz .LBB922_417
; %bb.412:                              ;   in Loop: Header=BB922_213 Depth=1
	v_cmp_ne_u16_e32 vcc, s9, v46
	v_mov_b32_e32 v50, 0xffff8000
	s_and_saveexec_b64 s[16:17], vcc
	s_cbranch_execz .LBB922_416
; %bb.413:                              ;   in Loop: Header=BB922_213 Depth=1
	v_and_b32_e32 v52, 0x7f, v46
	v_cmp_ne_u32_e32 vcc, s23, v52
	v_mov_b32_e32 v50, 0x7f80
	s_and_saveexec_b64 s[18:19], vcc
	s_cbranch_execz .LBB922_415
; %bb.414:                              ;   in Loop: Header=BB922_213 Depth=1
	v_and_b32_e32 v50, 7, v46
	v_ffbh_u32_e32 v60, v50
	v_min_u32_e32 v62, 32, v60
	v_subrev_u32_e32 v60, 28, v62
	v_lshlrev_b64 v[60:61], v60, v[46:47]
	v_lshrrev_b32_e32 v53, 3, v52
	v_sub_u32_e32 v46, 29, v62
	v_and_b32_e32 v60, 7, v60
	v_cmp_gt_u32_e32 vcc, 8, v52
	v_cndmask_b32_e32 v46, v53, v46, vcc
	v_cndmask_b32_e32 v50, v50, v60, vcc
	v_lshlrev_b32_e32 v52, 16, v44
	v_lshlrev_b32_e32 v50, 20, v50
	v_and_b32_e32 v52, 0x80000000, v52
	v_lshl_add_u32 v46, v46, 23, v48
	v_or3_b32 v46, v52, v46, v50
	v_lshrrev_b32_e32 v50, 16, v46
.LBB922_415:                            ;   in Loop: Header=BB922_213 Depth=1
	s_or_b64 exec, exec, s[18:19]
.LBB922_416:                            ;   in Loop: Header=BB922_213 Depth=1
	s_or_b64 exec, exec, s[16:17]
.LBB922_417:                            ;   in Loop: Header=BB922_213 Depth=1
	s_or_b64 exec, exec, s[14:15]
	v_lshrrev_b32_e32 v46, 16, v44
	v_cmp_ne_u16_sdwa s[16:17], v46, v47 src0_sel:BYTE_0 src1_sel:DWORD
	s_and_saveexec_b64 s[14:15], s[16:17]
	s_cbranch_execz .LBB922_423
; %bb.418:                              ;   in Loop: Header=BB922_213 Depth=1
	v_cmp_ne_u16_sdwa s[18:19], v46, s9 src0_sel:BYTE_0 src1_sel:DWORD
	v_mov_b32_e32 v51, 0xffff8000
	s_and_saveexec_b64 s[16:17], s[18:19]
	s_cbranch_execz .LBB922_422
; %bb.419:                              ;   in Loop: Header=BB922_213 Depth=1
	v_bfe_u32 v52, v44, 16, 7
	v_cmp_ne_u32_e32 vcc, s23, v52
	v_mov_b32_e32 v51, 0x7f80
	s_and_saveexec_b64 s[18:19], vcc
	s_cbranch_execz .LBB922_421
; %bb.420:                              ;   in Loop: Header=BB922_213 Depth=1
	v_and_b32_e32 v51, 7, v46
	v_ffbh_u32_e32 v60, v51
	v_min_u32_e32 v62, 32, v60
	v_subrev_u32_e32 v60, 28, v62
	v_lshlrev_b64 v[60:61], v60, v[46:47]
	v_lshrrev_b32_e32 v53, 3, v52
	v_sub_u32_e32 v61, 29, v62
	v_and_b32_e32 v60, 7, v60
	v_cmp_gt_u32_e32 vcc, 8, v52
	v_cndmask_b32_e32 v52, v53, v61, vcc
	v_cndmask_b32_e32 v51, v51, v60, vcc
	v_lshlrev_b32_e32 v46, 24, v46
	v_lshlrev_b32_e32 v51, 20, v51
	v_and_b32_e32 v46, 0x80000000, v46
	v_lshl_add_u32 v52, v52, 23, v48
	v_or3_b32 v46, v46, v52, v51
	v_lshrrev_b32_e32 v51, 16, v46
.LBB922_421:                            ;   in Loop: Header=BB922_213 Depth=1
	s_or_b64 exec, exec, s[18:19]
.LBB922_422:                            ;   in Loop: Header=BB922_213 Depth=1
	s_or_b64 exec, exec, s[16:17]
.LBB922_423:                            ;   in Loop: Header=BB922_213 Depth=1
	s_or_b64 exec, exec, s[14:15]
	v_cmp_lt_u32_e32 vcc, s26, v44
	v_mov_b32_e32 v52, 0
	v_mov_b32_e32 v53, 0
	s_and_saveexec_b64 s[14:15], vcc
	s_cbranch_execz .LBB922_429
; %bb.424:                              ;   in Loop: Header=BB922_213 Depth=1
	v_lshrrev_b32_e32 v46, 24, v44
	v_cmp_ne_u32_e32 vcc, s9, v46
	v_mov_b32_e32 v53, 0xffff8000
	s_and_saveexec_b64 s[16:17], vcc
	s_cbranch_execz .LBB922_428
; %bb.425:                              ;   in Loop: Header=BB922_213 Depth=1
	v_bfe_u32 v44, v44, 24, 7
	v_cmp_ne_u32_e32 vcc, s23, v44
	v_mov_b32_e32 v53, 0x7f80
	s_and_saveexec_b64 s[18:19], vcc
	s_cbranch_execz .LBB922_427
; %bb.426:                              ;   in Loop: Header=BB922_213 Depth=1
	v_and_b32_e32 v53, 7, v46
	v_ffbh_u32_e32 v60, v53
	v_min_u32_e32 v63, 32, v60
	v_subrev_u32_e32 v60, 28, v63
	v_lshlrev_b64 v[60:61], v60, v[46:47]
	v_lshrrev_b32_e32 v62, 3, v44
	v_sub_u32_e32 v61, 29, v63
	v_and_b32_e32 v60, 7, v60
	v_cmp_gt_u32_e32 vcc, 8, v44
	v_cndmask_b32_e32 v44, v62, v61, vcc
	v_cndmask_b32_e32 v53, v53, v60, vcc
	v_lshlrev_b32_e32 v46, 24, v46
	v_lshlrev_b32_e32 v53, 20, v53
	v_and_b32_e32 v46, 0x80000000, v46
	v_lshl_add_u32 v44, v44, 23, v48
	v_or3_b32 v44, v46, v44, v53
	v_lshrrev_b32_e32 v53, 16, v44
.LBB922_427:                            ;   in Loop: Header=BB922_213 Depth=1
	s_or_b64 exec, exec, s[18:19]
.LBB922_428:                            ;   in Loop: Header=BB922_213 Depth=1
	s_or_b64 exec, exec, s[16:17]
.LBB922_429:                            ;   in Loop: Header=BB922_213 Depth=1
	s_or_b64 exec, exec, s[14:15]
	s_waitcnt vmcnt(2)
	v_cmp_ne_u16_sdwa s[16:17], v42, v47 src0_sel:BYTE_0 src1_sel:DWORD
	s_and_saveexec_b64 s[14:15], s[16:17]
	s_cbranch_execz .LBB922_435
; %bb.430:                              ;   in Loop: Header=BB922_213 Depth=1
	v_cmp_ne_u16_sdwa s[18:19], v42, s9 src0_sel:BYTE_0 src1_sel:DWORD
	v_mov_b32_e32 v52, 0xffff8000
	s_and_saveexec_b64 s[16:17], s[18:19]
	s_cbranch_execz .LBB922_434
; %bb.431:                              ;   in Loop: Header=BB922_213 Depth=1
	v_and_b32_e32 v44, 0x7f, v42
	v_cmp_ne_u32_e32 vcc, s23, v44
	v_mov_b32_e32 v52, 0x7f80
	s_and_saveexec_b64 s[18:19], vcc
	s_cbranch_execz .LBB922_433
; %bb.432:                              ;   in Loop: Header=BB922_213 Depth=1
	v_and_b32_e32 v46, 7, v42
	v_ffbh_u32_e32 v60, v46
	v_min_u32_e32 v62, 32, v60
	v_subrev_u32_e32 v60, 28, v62
	v_lshlrev_b64 v[60:61], v60, v[42:43]
	v_lshrrev_b32_e32 v52, 3, v44
	v_sub_u32_e32 v61, 29, v62
	v_and_b32_e32 v60, 7, v60
	v_cmp_gt_u32_e32 vcc, 8, v44
	v_cndmask_b32_e32 v44, v52, v61, vcc
	v_cndmask_b32_e32 v46, v46, v60, vcc
	v_lshlrev_b32_e32 v52, 24, v42
	v_lshlrev_b32_e32 v46, 20, v46
	v_and_b32_e32 v52, 0x80000000, v52
	v_lshl_add_u32 v44, v44, 23, v48
	v_or3_b32 v44, v52, v44, v46
	v_lshrrev_b32_e32 v52, 16, v44
.LBB922_433:                            ;   in Loop: Header=BB922_213 Depth=1
	s_or_b64 exec, exec, s[18:19]
.LBB922_434:                            ;   in Loop: Header=BB922_213 Depth=1
	s_or_b64 exec, exec, s[16:17]
.LBB922_435:                            ;   in Loop: Header=BB922_213 Depth=1
	s_or_b64 exec, exec, s[14:15]
	v_lshrrev_b16_e32 v44, 8, v42
	v_cmp_ne_u16_e32 vcc, 0, v44
	v_mov_b32_e32 v61, 0
	v_mov_b32_e32 v60, 0
	s_and_saveexec_b64 s[14:15], vcc
	s_cbranch_execz .LBB922_441
; %bb.436:                              ;   in Loop: Header=BB922_213 Depth=1
	v_cmp_ne_u16_e32 vcc, s9, v44
	v_mov_b32_e32 v60, 0xffff8000
	s_and_saveexec_b64 s[16:17], vcc
	s_cbranch_execz .LBB922_440
; %bb.437:                              ;   in Loop: Header=BB922_213 Depth=1
	v_and_b32_e32 v46, 0x7f, v44
	v_cmp_ne_u32_e32 vcc, s23, v46
	v_mov_b32_e32 v60, 0x7f80
	s_and_saveexec_b64 s[18:19], vcc
	s_cbranch_execz .LBB922_439
; %bb.438:                              ;   in Loop: Header=BB922_213 Depth=1
	v_and_b32_e32 v60, 7, v44
	v_ffbh_u32_e32 v62, v60
	v_min_u32_e32 v65, 32, v62
	v_subrev_u32_e32 v62, 28, v65
	v_lshlrev_b64 v[62:63], v62, v[44:45]
	v_lshrrev_b32_e32 v64, 3, v46
	v_sub_u32_e32 v44, 29, v65
	v_and_b32_e32 v62, 7, v62
	v_cmp_gt_u32_e32 vcc, 8, v46
	v_cndmask_b32_e32 v44, v64, v44, vcc
	v_cndmask_b32_e32 v46, v60, v62, vcc
	v_lshlrev_b32_e32 v60, 16, v42
	v_lshlrev_b32_e32 v46, 20, v46
	v_and_b32_e32 v60, 0x80000000, v60
	v_lshl_add_u32 v44, v44, 23, v48
	v_or3_b32 v44, v60, v44, v46
	v_lshrrev_b32_e32 v60, 16, v44
.LBB922_439:                            ;   in Loop: Header=BB922_213 Depth=1
	s_or_b64 exec, exec, s[18:19]
.LBB922_440:                            ;   in Loop: Header=BB922_213 Depth=1
	s_or_b64 exec, exec, s[16:17]
.LBB922_441:                            ;   in Loop: Header=BB922_213 Depth=1
	s_or_b64 exec, exec, s[14:15]
	v_lshrrev_b32_e32 v44, 16, v42
	v_cmp_ne_u16_sdwa s[16:17], v44, v47 src0_sel:BYTE_0 src1_sel:DWORD
	s_and_saveexec_b64 s[14:15], s[16:17]
	s_cbranch_execz .LBB922_447
; %bb.442:                              ;   in Loop: Header=BB922_213 Depth=1
	v_cmp_ne_u16_sdwa s[18:19], v44, s9 src0_sel:BYTE_0 src1_sel:DWORD
	v_mov_b32_e32 v61, 0xffff8000
	s_and_saveexec_b64 s[16:17], s[18:19]
	s_cbranch_execz .LBB922_446
; %bb.443:                              ;   in Loop: Header=BB922_213 Depth=1
	v_bfe_u32 v46, v42, 16, 7
	v_cmp_ne_u32_e32 vcc, s23, v46
	v_mov_b32_e32 v61, 0x7f80
	s_and_saveexec_b64 s[18:19], vcc
	s_cbranch_execz .LBB922_445
; %bb.444:                              ;   in Loop: Header=BB922_213 Depth=1
	v_and_b32_e32 v61, 7, v44
	v_ffbh_u32_e32 v62, v61
	v_min_u32_e32 v65, 32, v62
	v_subrev_u32_e32 v62, 28, v65
	v_lshlrev_b64 v[62:63], v62, v[44:45]
	v_lshrrev_b32_e32 v64, 3, v46
	v_sub_u32_e32 v63, 29, v65
	v_and_b32_e32 v62, 7, v62
	v_cmp_gt_u32_e32 vcc, 8, v46
	v_cndmask_b32_e32 v46, v64, v63, vcc
	v_cndmask_b32_e32 v61, v61, v62, vcc
	v_lshlrev_b32_e32 v44, 24, v44
	v_lshlrev_b32_e32 v61, 20, v61
	v_and_b32_e32 v44, 0x80000000, v44
	v_lshl_add_u32 v46, v46, 23, v48
	v_or3_b32 v44, v44, v46, v61
	v_lshrrev_b32_e32 v61, 16, v44
.LBB922_445:                            ;   in Loop: Header=BB922_213 Depth=1
	s_or_b64 exec, exec, s[18:19]
.LBB922_446:                            ;   in Loop: Header=BB922_213 Depth=1
	s_or_b64 exec, exec, s[16:17]
.LBB922_447:                            ;   in Loop: Header=BB922_213 Depth=1
	s_or_b64 exec, exec, s[14:15]
	v_cmp_lt_u32_e32 vcc, s26, v42
	v_mov_b32_e32 v46, 0
	v_mov_b32_e32 v62, 0
	s_and_saveexec_b64 s[14:15], vcc
	s_cbranch_execz .LBB922_453
; %bb.448:                              ;   in Loop: Header=BB922_213 Depth=1
	v_lshrrev_b32_e32 v44, 24, v42
	v_cmp_ne_u32_e32 vcc, s9, v44
	v_mov_b32_e32 v62, 0xffff8000
	s_and_saveexec_b64 s[16:17], vcc
	s_cbranch_execz .LBB922_452
; %bb.449:                              ;   in Loop: Header=BB922_213 Depth=1
	v_bfe_u32 v42, v42, 24, 7
	v_cmp_ne_u32_e32 vcc, s23, v42
	v_mov_b32_e32 v62, 0x7f80
	s_and_saveexec_b64 s[18:19], vcc
	s_cbranch_execz .LBB922_451
; %bb.450:                              ;   in Loop: Header=BB922_213 Depth=1
	v_and_b32_e32 v64, 7, v44
	v_ffbh_u32_e32 v62, v64
	v_min_u32_e32 v66, 32, v62
	v_subrev_u32_e32 v62, 28, v66
	v_lshlrev_b64 v[62:63], v62, v[44:45]
	v_lshrrev_b32_e32 v65, 3, v42
	v_sub_u32_e32 v63, 29, v66
	v_and_b32_e32 v62, 7, v62
	v_cmp_gt_u32_e32 vcc, 8, v42
	v_cndmask_b32_e32 v42, v65, v63, vcc
	v_cndmask_b32_e32 v62, v64, v62, vcc
	v_lshlrev_b32_e32 v44, 24, v44
	v_lshlrev_b32_e32 v62, 20, v62
	v_and_b32_e32 v44, 0x80000000, v44
	v_lshl_add_u32 v42, v42, 23, v48
	v_or3_b32 v42, v44, v42, v62
	v_lshrrev_b32_e32 v62, 16, v42
.LBB922_451:                            ;   in Loop: Header=BB922_213 Depth=1
	s_or_b64 exec, exec, s[18:19]
.LBB922_452:                            ;   in Loop: Header=BB922_213 Depth=1
	s_or_b64 exec, exec, s[16:17]
.LBB922_453:                            ;   in Loop: Header=BB922_213 Depth=1
	s_or_b64 exec, exec, s[14:15]
	v_perm_b32 v51, v53, v51, s27
	v_perm_b32 v50, v50, v49, s27
	s_waitcnt vmcnt(1)
	v_cmp_ne_u16_sdwa s[16:17], v40, v47 src0_sel:BYTE_0 src1_sel:DWORD
	v_mfma_f32_16x16x16bf16_1k v[34:37], v[50:51], v[18:19], v[34:37]
	v_perm_b32 v51, v62, v61, s27
	v_perm_b32 v50, v60, v52, s27
	s_nop 1
	v_mfma_f32_16x16x16bf16_1k v[34:37], v[50:51], v[20:21], v[34:37]
	s_and_saveexec_b64 s[14:15], s[16:17]
	s_cbranch_execz .LBB922_459
; %bb.454:                              ;   in Loop: Header=BB922_213 Depth=1
	v_cmp_ne_u16_sdwa s[18:19], v40, s9 src0_sel:BYTE_0 src1_sel:DWORD
	v_mov_b32_e32 v46, 0xffff8000
	s_and_saveexec_b64 s[16:17], s[18:19]
	s_cbranch_execz .LBB922_458
; %bb.455:                              ;   in Loop: Header=BB922_213 Depth=1
	v_and_b32_e32 v42, 0x7f, v40
	v_cmp_ne_u32_e32 vcc, s23, v42
	v_mov_b32_e32 v46, 0x7f80
	s_and_saveexec_b64 s[18:19], vcc
	s_cbranch_execz .LBB922_457
; %bb.456:                              ;   in Loop: Header=BB922_213 Depth=1
	v_and_b32_e32 v44, 7, v40
	v_ffbh_u32_e32 v49, v44
	v_min_u32_e32 v49, 32, v49
	v_subrev_u32_e32 v50, 28, v49
	v_lshlrev_b64 v[50:51], v50, v[40:41]
	v_lshrrev_b32_e32 v46, 3, v42
	v_sub_u32_e32 v49, 29, v49
	v_and_b32_e32 v50, 7, v50
	v_cmp_gt_u32_e32 vcc, 8, v42
	v_cndmask_b32_e32 v42, v46, v49, vcc
	v_cndmask_b32_e32 v44, v44, v50, vcc
	v_lshlrev_b32_e32 v46, 24, v40
	v_lshlrev_b32_e32 v44, 20, v44
	v_and_b32_e32 v46, 0x80000000, v46
	v_lshl_add_u32 v42, v42, 23, v48
	v_or3_b32 v42, v46, v42, v44
	v_lshrrev_b32_e32 v46, 16, v42
.LBB922_457:                            ;   in Loop: Header=BB922_213 Depth=1
	s_or_b64 exec, exec, s[18:19]
.LBB922_458:                            ;   in Loop: Header=BB922_213 Depth=1
	s_or_b64 exec, exec, s[16:17]
.LBB922_459:                            ;   in Loop: Header=BB922_213 Depth=1
	s_or_b64 exec, exec, s[14:15]
	v_lshrrev_b16_e32 v42, 8, v40
	v_cmp_ne_u16_e32 vcc, 0, v42
	v_mov_b32_e32 v50, 0
	v_mov_b32_e32 v44, 0
	s_and_saveexec_b64 s[14:15], vcc
	s_cbranch_execz .LBB922_465
; %bb.460:                              ;   in Loop: Header=BB922_213 Depth=1
	v_cmp_ne_u16_e32 vcc, s9, v42
	v_mov_b32_e32 v44, 0xffff8000
	s_and_saveexec_b64 s[16:17], vcc
	s_cbranch_execz .LBB922_464
; %bb.461:                              ;   in Loop: Header=BB922_213 Depth=1
	v_and_b32_e32 v49, 0x7f, v42
	v_cmp_ne_u32_e32 vcc, s23, v49
	v_mov_b32_e32 v44, 0x7f80
	s_and_saveexec_b64 s[18:19], vcc
	s_cbranch_execz .LBB922_463
; %bb.462:                              ;   in Loop: Header=BB922_213 Depth=1
	v_and_b32_e32 v44, 7, v42
	v_ffbh_u32_e32 v52, v44
	v_min_u32_e32 v60, 32, v52
	v_subrev_u32_e32 v52, 28, v60
	v_lshlrev_b64 v[52:53], v52, v[42:43]
	v_lshrrev_b32_e32 v51, 3, v49
	v_sub_u32_e32 v42, 29, v60
	v_and_b32_e32 v52, 7, v52
	v_cmp_gt_u32_e32 vcc, 8, v49
	v_cndmask_b32_e32 v42, v51, v42, vcc
	v_cndmask_b32_e32 v44, v44, v52, vcc
	v_lshlrev_b32_e32 v49, 16, v40
	v_lshlrev_b32_e32 v44, 20, v44
	v_and_b32_e32 v49, 0x80000000, v49
	v_lshl_add_u32 v42, v42, 23, v48
	v_or3_b32 v42, v49, v42, v44
	v_lshrrev_b32_e32 v44, 16, v42
.LBB922_463:                            ;   in Loop: Header=BB922_213 Depth=1
	s_or_b64 exec, exec, s[18:19]
.LBB922_464:                            ;   in Loop: Header=BB922_213 Depth=1
	s_or_b64 exec, exec, s[16:17]
.LBB922_465:                            ;   in Loop: Header=BB922_213 Depth=1
	s_or_b64 exec, exec, s[14:15]
	v_lshrrev_b32_e32 v42, 16, v40
	v_cmp_ne_u16_sdwa s[16:17], v42, v47 src0_sel:BYTE_0 src1_sel:DWORD
	s_and_saveexec_b64 s[14:15], s[16:17]
	s_cbranch_execz .LBB922_471
; %bb.466:                              ;   in Loop: Header=BB922_213 Depth=1
	v_cmp_ne_u16_sdwa s[18:19], v42, s9 src0_sel:BYTE_0 src1_sel:DWORD
	v_mov_b32_e32 v50, 0xffff8000
	s_and_saveexec_b64 s[16:17], s[18:19]
	s_cbranch_execz .LBB922_470
; %bb.467:                              ;   in Loop: Header=BB922_213 Depth=1
	v_bfe_u32 v49, v40, 16, 7
	v_cmp_ne_u32_e32 vcc, s23, v49
	v_mov_b32_e32 v50, 0x7f80
	s_and_saveexec_b64 s[18:19], vcc
	s_cbranch_execz .LBB922_469
; %bb.468:                              ;   in Loop: Header=BB922_213 Depth=1
	v_and_b32_e32 v52, 7, v42
	v_ffbh_u32_e32 v50, v52
	v_min_u32_e32 v60, 32, v50
	v_subrev_u32_e32 v50, 28, v60
	v_lshlrev_b64 v[50:51], v50, v[42:43]
	v_lshrrev_b32_e32 v53, 3, v49
	v_sub_u32_e32 v51, 29, v60
	v_and_b32_e32 v50, 7, v50
	v_cmp_gt_u32_e32 vcc, 8, v49
	v_cndmask_b32_e32 v49, v53, v51, vcc
	v_cndmask_b32_e32 v50, v52, v50, vcc
	v_lshlrev_b32_e32 v42, 24, v42
	v_lshlrev_b32_e32 v50, 20, v50
	v_and_b32_e32 v42, 0x80000000, v42
	v_lshl_add_u32 v49, v49, 23, v48
	v_or3_b32 v42, v42, v49, v50
	v_lshrrev_b32_e32 v50, 16, v42
.LBB922_469:                            ;   in Loop: Header=BB922_213 Depth=1
	s_or_b64 exec, exec, s[18:19]
.LBB922_470:                            ;   in Loop: Header=BB922_213 Depth=1
	s_or_b64 exec, exec, s[16:17]
.LBB922_471:                            ;   in Loop: Header=BB922_213 Depth=1
	s_or_b64 exec, exec, s[14:15]
	v_cmp_lt_u32_e32 vcc, s26, v40
	v_mov_b32_e32 v51, 0
	v_mov_b32_e32 v52, 0
	s_and_saveexec_b64 s[14:15], vcc
	s_cbranch_execz .LBB922_477
; %bb.472:                              ;   in Loop: Header=BB922_213 Depth=1
	v_lshrrev_b32_e32 v42, 24, v40
	v_cmp_ne_u32_e32 vcc, s9, v42
	v_mov_b32_e32 v52, 0xffff8000
	s_and_saveexec_b64 s[16:17], vcc
	s_cbranch_execz .LBB922_476
; %bb.473:                              ;   in Loop: Header=BB922_213 Depth=1
	v_bfe_u32 v40, v40, 24, 7
	v_cmp_ne_u32_e32 vcc, s23, v40
	v_mov_b32_e32 v52, 0x7f80
	s_and_saveexec_b64 s[18:19], vcc
	s_cbranch_execz .LBB922_475
; %bb.474:                              ;   in Loop: Header=BB922_213 Depth=1
	v_and_b32_e32 v49, 7, v42
	v_ffbh_u32_e32 v52, v49
	v_min_u32_e32 v61, 32, v52
	v_subrev_u32_e32 v52, 28, v61
	v_lshlrev_b64 v[52:53], v52, v[42:43]
	v_lshrrev_b32_e32 v60, 3, v40
	v_sub_u32_e32 v53, 29, v61
	v_and_b32_e32 v52, 7, v52
	v_cmp_gt_u32_e32 vcc, 8, v40
	v_cndmask_b32_e32 v40, v60, v53, vcc
	v_cndmask_b32_e32 v49, v49, v52, vcc
	v_lshlrev_b32_e32 v42, 24, v42
	v_lshlrev_b32_e32 v49, 20, v49
	v_and_b32_e32 v42, 0x80000000, v42
	v_lshl_add_u32 v40, v40, 23, v48
	v_or3_b32 v40, v42, v40, v49
	v_lshrrev_b32_e32 v52, 16, v40
.LBB922_475:                            ;   in Loop: Header=BB922_213 Depth=1
	s_or_b64 exec, exec, s[18:19]
.LBB922_476:                            ;   in Loop: Header=BB922_213 Depth=1
	s_or_b64 exec, exec, s[16:17]
.LBB922_477:                            ;   in Loop: Header=BB922_213 Depth=1
	s_or_b64 exec, exec, s[14:15]
	s_waitcnt vmcnt(0)
	v_cmp_ne_u16_sdwa s[16:17], v38, v47 src0_sel:BYTE_0 src1_sel:DWORD
	s_and_saveexec_b64 s[14:15], s[16:17]
	s_cbranch_execz .LBB922_483
; %bb.478:                              ;   in Loop: Header=BB922_213 Depth=1
	v_cmp_ne_u16_sdwa s[18:19], v38, s9 src0_sel:BYTE_0 src1_sel:DWORD
	v_mov_b32_e32 v51, 0xffff8000
	s_and_saveexec_b64 s[16:17], s[18:19]
	s_cbranch_execz .LBB922_482
; %bb.479:                              ;   in Loop: Header=BB922_213 Depth=1
	v_and_b32_e32 v40, 0x7f, v38
	v_cmp_ne_u32_e32 vcc, s23, v40
	v_mov_b32_e32 v51, 0x7f80
	s_and_saveexec_b64 s[18:19], vcc
	s_cbranch_execz .LBB922_481
; %bb.480:                              ;   in Loop: Header=BB922_213 Depth=1
	v_and_b32_e32 v42, 7, v38
	v_ffbh_u32_e32 v51, v42
	v_min_u32_e32 v51, 32, v51
	v_subrev_u32_e32 v53, 28, v51
	v_lshlrev_b64 v[60:61], v53, v[38:39]
	v_lshrrev_b32_e32 v49, 3, v40
	v_sub_u32_e32 v51, 29, v51
	v_and_b32_e32 v53, 7, v60
	v_cmp_gt_u32_e32 vcc, 8, v40
	v_cndmask_b32_e32 v40, v49, v51, vcc
	v_cndmask_b32_e32 v42, v42, v53, vcc
	v_lshlrev_b32_e32 v49, 24, v38
	v_lshlrev_b32_e32 v42, 20, v42
	v_and_b32_e32 v49, 0x80000000, v49
	v_lshl_add_u32 v40, v40, 23, v48
	v_or3_b32 v40, v49, v40, v42
	v_lshrrev_b32_e32 v51, 16, v40
.LBB922_481:                            ;   in Loop: Header=BB922_213 Depth=1
	s_or_b64 exec, exec, s[18:19]
.LBB922_482:                            ;   in Loop: Header=BB922_213 Depth=1
	s_or_b64 exec, exec, s[16:17]
.LBB922_483:                            ;   in Loop: Header=BB922_213 Depth=1
	s_or_b64 exec, exec, s[14:15]
	v_lshrrev_b16_e32 v40, 8, v38
	v_cmp_ne_u16_e32 vcc, 0, v40
	v_mov_b32_e32 v60, 0
	v_mov_b32_e32 v53, 0
	s_and_saveexec_b64 s[14:15], vcc
	s_cbranch_execz .LBB922_489
; %bb.484:                              ;   in Loop: Header=BB922_213 Depth=1
	v_cmp_ne_u16_e32 vcc, s9, v40
	v_mov_b32_e32 v53, 0xffff8000
	s_and_saveexec_b64 s[16:17], vcc
	s_cbranch_execz .LBB922_488
; %bb.485:                              ;   in Loop: Header=BB922_213 Depth=1
	v_and_b32_e32 v42, 0x7f, v40
	v_cmp_ne_u32_e32 vcc, s23, v42
	v_mov_b32_e32 v53, 0x7f80
	s_and_saveexec_b64 s[18:19], vcc
	s_cbranch_execz .LBB922_487
; %bb.486:                              ;   in Loop: Header=BB922_213 Depth=1
	v_and_b32_e32 v49, 7, v40
	v_ffbh_u32_e32 v61, v49
	v_min_u32_e32 v61, 32, v61
	v_subrev_u32_e32 v62, 28, v61
	v_lshlrev_b64 v[62:63], v62, v[40:41]
	v_lshrrev_b32_e32 v53, 3, v42
	v_sub_u32_e32 v40, 29, v61
	v_and_b32_e32 v61, 7, v62
	v_cmp_gt_u32_e32 vcc, 8, v42
	v_cndmask_b32_e32 v40, v53, v40, vcc
	v_cndmask_b32_e32 v42, v49, v61, vcc
	v_lshlrev_b32_e32 v49, 16, v38
	v_lshlrev_b32_e32 v42, 20, v42
	v_and_b32_e32 v49, 0x80000000, v49
	v_lshl_add_u32 v40, v40, 23, v48
	v_or3_b32 v40, v49, v40, v42
	v_lshrrev_b32_e32 v53, 16, v40
.LBB922_487:                            ;   in Loop: Header=BB922_213 Depth=1
	s_or_b64 exec, exec, s[18:19]
.LBB922_488:                            ;   in Loop: Header=BB922_213 Depth=1
	s_or_b64 exec, exec, s[16:17]
.LBB922_489:                            ;   in Loop: Header=BB922_213 Depth=1
	s_or_b64 exec, exec, s[14:15]
	v_lshrrev_b32_e32 v40, 16, v38
	v_cmp_ne_u16_sdwa s[16:17], v40, v47 src0_sel:BYTE_0 src1_sel:DWORD
	s_and_saveexec_b64 s[14:15], s[16:17]
	s_cbranch_execz .LBB922_495
; %bb.490:                              ;   in Loop: Header=BB922_213 Depth=1
	v_cmp_ne_u16_sdwa s[18:19], v40, s9 src0_sel:BYTE_0 src1_sel:DWORD
	v_mov_b32_e32 v60, 0xffff8000
	s_and_saveexec_b64 s[16:17], s[18:19]
	s_cbranch_execz .LBB922_494
; %bb.491:                              ;   in Loop: Header=BB922_213 Depth=1
	v_bfe_u32 v42, v38, 16, 7
	v_cmp_ne_u32_e32 vcc, s23, v42
	v_mov_b32_e32 v60, 0x7f80
	s_and_saveexec_b64 s[18:19], vcc
	s_cbranch_execz .LBB922_493
; %bb.492:                              ;   in Loop: Header=BB922_213 Depth=1
	v_and_b32_e32 v49, 7, v40
	v_ffbh_u32_e32 v60, v49
	v_min_u32_e32 v63, 32, v60
	v_subrev_u32_e32 v60, 28, v63
	v_lshlrev_b64 v[60:61], v60, v[40:41]
	v_lshrrev_b32_e32 v62, 3, v42
	v_sub_u32_e32 v61, 29, v63
	v_and_b32_e32 v60, 7, v60
	v_cmp_gt_u32_e32 vcc, 8, v42
	v_cndmask_b32_e32 v42, v62, v61, vcc
	v_cndmask_b32_e32 v49, v49, v60, vcc
	v_lshlrev_b32_e32 v40, 24, v40
	v_lshlrev_b32_e32 v49, 20, v49
	v_and_b32_e32 v40, 0x80000000, v40
	v_lshl_add_u32 v42, v42, 23, v48
	v_or3_b32 v40, v40, v42, v49
	v_lshrrev_b32_e32 v60, 16, v40
.LBB922_493:                            ;   in Loop: Header=BB922_213 Depth=1
	s_or_b64 exec, exec, s[18:19]
.LBB922_494:                            ;   in Loop: Header=BB922_213 Depth=1
	s_or_b64 exec, exec, s[16:17]
.LBB922_495:                            ;   in Loop: Header=BB922_213 Depth=1
	s_or_b64 exec, exec, s[14:15]
	v_cmp_lt_u32_e32 vcc, s26, v38
	v_mov_b32_e32 v49, 0
	v_mov_b32_e32 v61, 0
	s_and_saveexec_b64 s[14:15], vcc
	s_cbranch_execz .LBB922_501
; %bb.496:                              ;   in Loop: Header=BB922_213 Depth=1
	v_lshrrev_b32_e32 v40, 24, v38
	v_cmp_ne_u32_e32 vcc, s9, v40
	v_mov_b32_e32 v61, 0xffff8000
	s_and_saveexec_b64 s[16:17], vcc
	s_cbranch_execz .LBB922_500
; %bb.497:                              ;   in Loop: Header=BB922_213 Depth=1
	v_bfe_u32 v38, v38, 24, 7
	v_cmp_ne_u32_e32 vcc, s23, v38
	v_mov_b32_e32 v61, 0x7f80
	s_and_saveexec_b64 s[18:19], vcc
	s_cbranch_execz .LBB922_499
; %bb.498:                              ;   in Loop: Header=BB922_213 Depth=1
	v_and_b32_e32 v42, 7, v40
	v_ffbh_u32_e32 v62, v42
	v_min_u32_e32 v64, 32, v62
	v_subrev_u32_e32 v62, 28, v64
	v_lshlrev_b64 v[62:63], v62, v[40:41]
	v_lshrrev_b32_e32 v61, 3, v38
	v_sub_u32_e32 v63, 29, v64
	v_and_b32_e32 v62, 7, v62
	v_cmp_gt_u32_e32 vcc, 8, v38
	v_cndmask_b32_e32 v38, v61, v63, vcc
	v_cndmask_b32_e32 v42, v42, v62, vcc
	v_lshlrev_b32_e32 v40, 24, v40
	v_lshlrev_b32_e32 v42, 20, v42
	v_and_b32_e32 v40, 0x80000000, v40
	v_lshl_add_u32 v38, v38, 23, v48
	v_or3_b32 v38, v40, v38, v42
	v_lshrrev_b32_e32 v61, 16, v38
.LBB922_499:                            ;   in Loop: Header=BB922_213 Depth=1
	s_or_b64 exec, exec, s[18:19]
.LBB922_500:                            ;   in Loop: Header=BB922_213 Depth=1
	s_or_b64 exec, exec, s[16:17]
.LBB922_501:                            ;   in Loop: Header=BB922_213 Depth=1
	s_or_b64 exec, exec, s[14:15]
	v_perm_b32 v62, v44, v46, s27
	buffer_load_dword v44, v59, s[0:3], 0 offen
	buffer_load_dword v42, v59, s[0:3], 0 offen offset:4
	buffer_load_dword v40, v59, s[0:3], 0 offen offset:8
	;; [unrolled: 1-line block ×3, first 2 shown]
	v_perm_b32 v63, v52, v50, s27
	v_perm_b32 v61, v61, v60, s27
	;; [unrolled: 1-line block ×3, first 2 shown]
	v_mfma_f32_16x16x16bf16_1k v[34:37], v[62:63], v[22:23], v[34:37]
	s_waitcnt vmcnt(3)
	v_cmp_ne_u16_sdwa s[16:17], v44, v47 src0_sel:BYTE_0 src1_sel:DWORD
	v_mfma_f32_16x16x16bf16_1k v[34:37], v[60:61], v[24:25], v[34:37]
	s_and_saveexec_b64 s[14:15], s[16:17]
	s_cbranch_execz .LBB922_507
; %bb.502:                              ;   in Loop: Header=BB922_213 Depth=1
	v_cmp_ne_u16_sdwa s[18:19], v44, s9 src0_sel:BYTE_0 src1_sel:DWORD
	v_mov_b32_e32 v49, 0xffff8000
	s_and_saveexec_b64 s[16:17], s[18:19]
	s_cbranch_execz .LBB922_506
; %bb.503:                              ;   in Loop: Header=BB922_213 Depth=1
	v_and_b32_e32 v46, 0x7f, v44
	v_cmp_ne_u32_e32 vcc, s23, v46
	v_mov_b32_e32 v49, 0x7f80
	s_and_saveexec_b64 s[18:19], vcc
	s_cbranch_execz .LBB922_505
; %bb.504:                              ;   in Loop: Header=BB922_213 Depth=1
	v_and_b32_e32 v49, 7, v44
	v_ffbh_u32_e32 v50, v49
	v_min_u32_e32 v53, 32, v50
	v_subrev_u32_e32 v50, 28, v53
	v_lshlrev_b64 v[50:51], v50, v[44:45]
	v_lshrrev_b32_e32 v52, 3, v46
	v_sub_u32_e32 v51, 29, v53
	v_and_b32_e32 v50, 7, v50
	v_cmp_gt_u32_e32 vcc, 8, v46
	v_cndmask_b32_e32 v46, v52, v51, vcc
	v_cndmask_b32_e32 v49, v49, v50, vcc
	v_lshlrev_b32_e32 v50, 24, v44
	v_lshlrev_b32_e32 v49, 20, v49
	v_and_b32_e32 v50, 0x80000000, v50
	v_lshl_add_u32 v46, v46, 23, v48
	v_or3_b32 v46, v50, v46, v49
	v_lshrrev_b32_e32 v49, 16, v46
.LBB922_505:                            ;   in Loop: Header=BB922_213 Depth=1
	s_or_b64 exec, exec, s[18:19]
.LBB922_506:                            ;   in Loop: Header=BB922_213 Depth=1
	s_or_b64 exec, exec, s[16:17]
.LBB922_507:                            ;   in Loop: Header=BB922_213 Depth=1
	s_or_b64 exec, exec, s[14:15]
	v_lshrrev_b16_e32 v46, 8, v44
	v_cmp_ne_u16_e32 vcc, 0, v46
	v_mov_b32_e32 v51, 0
	v_mov_b32_e32 v50, 0
	s_and_saveexec_b64 s[14:15], vcc
	s_cbranch_execz .LBB922_513
; %bb.508:                              ;   in Loop: Header=BB922_213 Depth=1
	v_cmp_ne_u16_e32 vcc, s9, v46
	v_mov_b32_e32 v50, 0xffff8000
	s_and_saveexec_b64 s[16:17], vcc
	s_cbranch_execz .LBB922_512
; %bb.509:                              ;   in Loop: Header=BB922_213 Depth=1
	v_and_b32_e32 v52, 0x7f, v46
	v_cmp_ne_u32_e32 vcc, s23, v52
	v_mov_b32_e32 v50, 0x7f80
	s_and_saveexec_b64 s[18:19], vcc
	s_cbranch_execz .LBB922_511
; %bb.510:                              ;   in Loop: Header=BB922_213 Depth=1
	v_and_b32_e32 v50, 7, v46
	v_ffbh_u32_e32 v59, v50
	v_min_u32_e32 v59, 32, v59
	v_subrev_u32_e32 v60, 28, v59
	v_lshlrev_b64 v[60:61], v60, v[46:47]
	v_lshrrev_b32_e32 v53, 3, v52
	v_sub_u32_e32 v46, 29, v59
	v_and_b32_e32 v59, 7, v60
	v_cmp_gt_u32_e32 vcc, 8, v52
	v_cndmask_b32_e32 v46, v53, v46, vcc
	v_cndmask_b32_e32 v50, v50, v59, vcc
	v_lshlrev_b32_e32 v52, 16, v44
	v_lshlrev_b32_e32 v50, 20, v50
	v_and_b32_e32 v52, 0x80000000, v52
	v_lshl_add_u32 v46, v46, 23, v48
	v_or3_b32 v46, v52, v46, v50
	v_lshrrev_b32_e32 v50, 16, v46
.LBB922_511:                            ;   in Loop: Header=BB922_213 Depth=1
	s_or_b64 exec, exec, s[18:19]
.LBB922_512:                            ;   in Loop: Header=BB922_213 Depth=1
	s_or_b64 exec, exec, s[16:17]
.LBB922_513:                            ;   in Loop: Header=BB922_213 Depth=1
	s_or_b64 exec, exec, s[14:15]
	v_lshrrev_b32_e32 v46, 16, v44
	v_cmp_ne_u16_sdwa s[16:17], v46, v47 src0_sel:BYTE_0 src1_sel:DWORD
	s_and_saveexec_b64 s[14:15], s[16:17]
	s_cbranch_execz .LBB922_519
; %bb.514:                              ;   in Loop: Header=BB922_213 Depth=1
	v_cmp_ne_u16_sdwa s[18:19], v46, s9 src0_sel:BYTE_0 src1_sel:DWORD
	v_mov_b32_e32 v51, 0xffff8000
	s_and_saveexec_b64 s[16:17], s[18:19]
	s_cbranch_execz .LBB922_518
; %bb.515:                              ;   in Loop: Header=BB922_213 Depth=1
	v_bfe_u32 v52, v44, 16, 7
	v_cmp_ne_u32_e32 vcc, s23, v52
	v_mov_b32_e32 v51, 0x7f80
	s_and_saveexec_b64 s[18:19], vcc
	s_cbranch_execz .LBB922_517
; %bb.516:                              ;   in Loop: Header=BB922_213 Depth=1
	v_and_b32_e32 v51, 7, v46
	v_ffbh_u32_e32 v59, v51
	v_min_u32_e32 v59, 32, v59
	v_subrev_u32_e32 v60, 28, v59
	v_lshlrev_b64 v[60:61], v60, v[46:47]
	v_lshrrev_b32_e32 v53, 3, v52
	v_sub_u32_e32 v59, 29, v59
	v_and_b32_e32 v60, 7, v60
	v_cmp_gt_u32_e32 vcc, 8, v52
	v_cndmask_b32_e32 v52, v53, v59, vcc
	v_cndmask_b32_e32 v51, v51, v60, vcc
	v_lshlrev_b32_e32 v46, 24, v46
	v_lshlrev_b32_e32 v51, 20, v51
	v_and_b32_e32 v46, 0x80000000, v46
	v_lshl_add_u32 v52, v52, 23, v48
	v_or3_b32 v46, v46, v52, v51
	v_lshrrev_b32_e32 v51, 16, v46
.LBB922_517:                            ;   in Loop: Header=BB922_213 Depth=1
	s_or_b64 exec, exec, s[18:19]
.LBB922_518:                            ;   in Loop: Header=BB922_213 Depth=1
	s_or_b64 exec, exec, s[16:17]
.LBB922_519:                            ;   in Loop: Header=BB922_213 Depth=1
	s_or_b64 exec, exec, s[14:15]
	v_cmp_lt_u32_e32 vcc, s26, v44
	v_mov_b32_e32 v52, 0
	v_mov_b32_e32 v53, 0
	s_and_saveexec_b64 s[14:15], vcc
	s_cbranch_execz .LBB922_525
; %bb.520:                              ;   in Loop: Header=BB922_213 Depth=1
	v_lshrrev_b32_e32 v46, 24, v44
	v_cmp_ne_u32_e32 vcc, s9, v46
	v_mov_b32_e32 v53, 0xffff8000
	s_and_saveexec_b64 s[16:17], vcc
	s_cbranch_execz .LBB922_524
; %bb.521:                              ;   in Loop: Header=BB922_213 Depth=1
	v_bfe_u32 v44, v44, 24, 7
	v_cmp_ne_u32_e32 vcc, s23, v44
	v_mov_b32_e32 v53, 0x7f80
	s_and_saveexec_b64 s[18:19], vcc
	s_cbranch_execz .LBB922_523
; %bb.522:                              ;   in Loop: Header=BB922_213 Depth=1
	v_and_b32_e32 v53, 7, v46
	v_ffbh_u32_e32 v60, v53
	v_min_u32_e32 v62, 32, v60
	v_subrev_u32_e32 v60, 28, v62
	v_lshlrev_b64 v[60:61], v60, v[46:47]
	v_lshrrev_b32_e32 v59, 3, v44
	v_sub_u32_e32 v61, 29, v62
	v_and_b32_e32 v60, 7, v60
	v_cmp_gt_u32_e32 vcc, 8, v44
	v_cndmask_b32_e32 v44, v59, v61, vcc
	v_cndmask_b32_e32 v53, v53, v60, vcc
	v_lshlrev_b32_e32 v46, 24, v46
	v_lshlrev_b32_e32 v53, 20, v53
	v_and_b32_e32 v46, 0x80000000, v46
	v_lshl_add_u32 v44, v44, 23, v48
	v_or3_b32 v44, v46, v44, v53
	v_lshrrev_b32_e32 v53, 16, v44
.LBB922_523:                            ;   in Loop: Header=BB922_213 Depth=1
	s_or_b64 exec, exec, s[18:19]
.LBB922_524:                            ;   in Loop: Header=BB922_213 Depth=1
	s_or_b64 exec, exec, s[16:17]
.LBB922_525:                            ;   in Loop: Header=BB922_213 Depth=1
	s_or_b64 exec, exec, s[14:15]
	s_waitcnt vmcnt(2)
	v_cmp_ne_u16_sdwa s[16:17], v42, v47 src0_sel:BYTE_0 src1_sel:DWORD
	s_and_saveexec_b64 s[14:15], s[16:17]
	s_cbranch_execz .LBB922_531
; %bb.526:                              ;   in Loop: Header=BB922_213 Depth=1
	v_cmp_ne_u16_sdwa s[18:19], v42, s9 src0_sel:BYTE_0 src1_sel:DWORD
	v_mov_b32_e32 v52, 0xffff8000
	s_and_saveexec_b64 s[16:17], s[18:19]
	s_cbranch_execz .LBB922_530
; %bb.527:                              ;   in Loop: Header=BB922_213 Depth=1
	v_and_b32_e32 v44, 0x7f, v42
	v_cmp_ne_u32_e32 vcc, s23, v44
	v_mov_b32_e32 v52, 0x7f80
	s_and_saveexec_b64 s[18:19], vcc
	s_cbranch_execz .LBB922_529
; %bb.528:                              ;   in Loop: Header=BB922_213 Depth=1
	v_and_b32_e32 v46, 7, v42
	v_ffbh_u32_e32 v59, v46
	v_min_u32_e32 v59, 32, v59
	v_subrev_u32_e32 v60, 28, v59
	v_lshlrev_b64 v[60:61], v60, v[42:43]
	v_lshrrev_b32_e32 v52, 3, v44
	v_sub_u32_e32 v59, 29, v59
	v_and_b32_e32 v60, 7, v60
	v_cmp_gt_u32_e32 vcc, 8, v44
	v_cndmask_b32_e32 v44, v52, v59, vcc
	v_cndmask_b32_e32 v46, v46, v60, vcc
	v_lshlrev_b32_e32 v52, 24, v42
	v_lshlrev_b32_e32 v46, 20, v46
	v_and_b32_e32 v52, 0x80000000, v52
	v_lshl_add_u32 v44, v44, 23, v48
	v_or3_b32 v44, v52, v44, v46
	v_lshrrev_b32_e32 v52, 16, v44
.LBB922_529:                            ;   in Loop: Header=BB922_213 Depth=1
	s_or_b64 exec, exec, s[18:19]
.LBB922_530:                            ;   in Loop: Header=BB922_213 Depth=1
	s_or_b64 exec, exec, s[16:17]
.LBB922_531:                            ;   in Loop: Header=BB922_213 Depth=1
	s_or_b64 exec, exec, s[14:15]
	v_lshrrev_b16_e32 v44, 8, v42
	v_cmp_ne_u16_e32 vcc, 0, v44
	v_mov_b32_e32 v60, 0
	v_mov_b32_e32 v59, 0
	s_and_saveexec_b64 s[14:15], vcc
	s_cbranch_execz .LBB922_537
; %bb.532:                              ;   in Loop: Header=BB922_213 Depth=1
	v_cmp_ne_u16_e32 vcc, s9, v44
	v_mov_b32_e32 v59, 0xffff8000
	s_and_saveexec_b64 s[16:17], vcc
	s_cbranch_execz .LBB922_536
; %bb.533:                              ;   in Loop: Header=BB922_213 Depth=1
	v_and_b32_e32 v46, 0x7f, v44
	v_cmp_ne_u32_e32 vcc, s23, v46
	v_mov_b32_e32 v59, 0x7f80
	s_and_saveexec_b64 s[18:19], vcc
	s_cbranch_execz .LBB922_535
; %bb.534:                              ;   in Loop: Header=BB922_213 Depth=1
	v_and_b32_e32 v59, 7, v44
	v_ffbh_u32_e32 v62, v59
	v_min_u32_e32 v64, 32, v62
	v_subrev_u32_e32 v62, 28, v64
	v_lshlrev_b64 v[62:63], v62, v[44:45]
	v_lshrrev_b32_e32 v61, 3, v46
	v_sub_u32_e32 v44, 29, v64
	v_and_b32_e32 v62, 7, v62
	v_cmp_gt_u32_e32 vcc, 8, v46
	v_cndmask_b32_e32 v44, v61, v44, vcc
	v_cndmask_b32_e32 v46, v59, v62, vcc
	v_lshlrev_b32_e32 v59, 16, v42
	v_lshlrev_b32_e32 v46, 20, v46
	v_and_b32_e32 v59, 0x80000000, v59
	v_lshl_add_u32 v44, v44, 23, v48
	v_or3_b32 v44, v59, v44, v46
	v_lshrrev_b32_e32 v59, 16, v44
.LBB922_535:                            ;   in Loop: Header=BB922_213 Depth=1
	s_or_b64 exec, exec, s[18:19]
.LBB922_536:                            ;   in Loop: Header=BB922_213 Depth=1
	s_or_b64 exec, exec, s[16:17]
.LBB922_537:                            ;   in Loop: Header=BB922_213 Depth=1
	s_or_b64 exec, exec, s[14:15]
	v_lshrrev_b32_e32 v44, 16, v42
	v_cmp_ne_u16_sdwa s[16:17], v44, v47 src0_sel:BYTE_0 src1_sel:DWORD
	s_and_saveexec_b64 s[14:15], s[16:17]
	s_cbranch_execz .LBB922_543
; %bb.538:                              ;   in Loop: Header=BB922_213 Depth=1
	v_cmp_ne_u16_sdwa s[18:19], v44, s9 src0_sel:BYTE_0 src1_sel:DWORD
	v_mov_b32_e32 v60, 0xffff8000
	s_and_saveexec_b64 s[16:17], s[18:19]
	s_cbranch_execz .LBB922_542
; %bb.539:                              ;   in Loop: Header=BB922_213 Depth=1
	v_bfe_u32 v46, v42, 16, 7
	v_cmp_ne_u32_e32 vcc, s23, v46
	v_mov_b32_e32 v60, 0x7f80
	s_and_saveexec_b64 s[18:19], vcc
	s_cbranch_execz .LBB922_541
; %bb.540:                              ;   in Loop: Header=BB922_213 Depth=1
	v_and_b32_e32 v62, 7, v44
	v_ffbh_u32_e32 v60, v62
	v_min_u32_e32 v64, 32, v60
	v_subrev_u32_e32 v60, 28, v64
	v_lshlrev_b64 v[60:61], v60, v[44:45]
	v_lshrrev_b32_e32 v63, 3, v46
	v_sub_u32_e32 v61, 29, v64
	v_and_b32_e32 v60, 7, v60
	v_cmp_gt_u32_e32 vcc, 8, v46
	v_cndmask_b32_e32 v46, v63, v61, vcc
	v_cndmask_b32_e32 v60, v62, v60, vcc
	v_lshlrev_b32_e32 v44, 24, v44
	v_lshlrev_b32_e32 v60, 20, v60
	v_and_b32_e32 v44, 0x80000000, v44
	v_lshl_add_u32 v46, v46, 23, v48
	v_or3_b32 v44, v44, v46, v60
	v_lshrrev_b32_e32 v60, 16, v44
.LBB922_541:                            ;   in Loop: Header=BB922_213 Depth=1
	s_or_b64 exec, exec, s[18:19]
.LBB922_542:                            ;   in Loop: Header=BB922_213 Depth=1
	s_or_b64 exec, exec, s[16:17]
.LBB922_543:                            ;   in Loop: Header=BB922_213 Depth=1
	s_or_b64 exec, exec, s[14:15]
	v_cmp_lt_u32_e32 vcc, s26, v42
	v_mov_b32_e32 v46, 0
	v_mov_b32_e32 v61, 0
	s_and_saveexec_b64 s[14:15], vcc
	s_cbranch_execz .LBB922_549
; %bb.544:                              ;   in Loop: Header=BB922_213 Depth=1
	v_lshrrev_b32_e32 v44, 24, v42
	v_cmp_ne_u32_e32 vcc, s9, v44
	v_mov_b32_e32 v61, 0xffff8000
	s_and_saveexec_b64 s[16:17], vcc
	s_cbranch_execz .LBB922_548
; %bb.545:                              ;   in Loop: Header=BB922_213 Depth=1
	v_bfe_u32 v42, v42, 24, 7
	v_cmp_ne_u32_e32 vcc, s23, v42
	v_mov_b32_e32 v61, 0x7f80
	s_and_saveexec_b64 s[18:19], vcc
	s_cbranch_execz .LBB922_547
; %bb.546:                              ;   in Loop: Header=BB922_213 Depth=1
	v_and_b32_e32 v61, 7, v44
	v_ffbh_u32_e32 v62, v61
	v_min_u32_e32 v65, 32, v62
	v_subrev_u32_e32 v62, 28, v65
	v_lshlrev_b64 v[62:63], v62, v[44:45]
	v_lshrrev_b32_e32 v64, 3, v42
	v_sub_u32_e32 v63, 29, v65
	v_and_b32_e32 v62, 7, v62
	v_cmp_gt_u32_e32 vcc, 8, v42
	v_cndmask_b32_e32 v42, v64, v63, vcc
	v_cndmask_b32_e32 v61, v61, v62, vcc
	v_lshlrev_b32_e32 v44, 24, v44
	v_lshlrev_b32_e32 v61, 20, v61
	v_and_b32_e32 v44, 0x80000000, v44
	v_lshl_add_u32 v42, v42, 23, v48
	v_or3_b32 v42, v44, v42, v61
	v_lshrrev_b32_e32 v61, 16, v42
.LBB922_547:                            ;   in Loop: Header=BB922_213 Depth=1
	s_or_b64 exec, exec, s[18:19]
.LBB922_548:                            ;   in Loop: Header=BB922_213 Depth=1
	s_or_b64 exec, exec, s[16:17]
.LBB922_549:                            ;   in Loop: Header=BB922_213 Depth=1
	s_or_b64 exec, exec, s[14:15]
	v_perm_b32 v51, v53, v51, s27
	v_perm_b32 v50, v50, v49, s27
	s_waitcnt vmcnt(1)
	v_cmp_ne_u16_sdwa s[16:17], v40, v47 src0_sel:BYTE_0 src1_sel:DWORD
	v_mfma_f32_16x16x16bf16_1k v[34:37], v[50:51], v[26:27], v[34:37]
	v_perm_b32 v51, v61, v60, s27
	v_perm_b32 v50, v59, v52, s27
	s_nop 1
	v_mfma_f32_16x16x16bf16_1k v[34:37], v[50:51], v[28:29], v[34:37]
	s_and_saveexec_b64 s[14:15], s[16:17]
	s_cbranch_execz .LBB922_555
; %bb.550:                              ;   in Loop: Header=BB922_213 Depth=1
	v_cmp_ne_u16_sdwa s[18:19], v40, s9 src0_sel:BYTE_0 src1_sel:DWORD
	v_mov_b32_e32 v46, 0xffff8000
	s_and_saveexec_b64 s[16:17], s[18:19]
	s_cbranch_execz .LBB922_554
; %bb.551:                              ;   in Loop: Header=BB922_213 Depth=1
	v_and_b32_e32 v42, 0x7f, v40
	v_cmp_ne_u32_e32 vcc, s23, v42
	v_mov_b32_e32 v46, 0x7f80
	s_and_saveexec_b64 s[18:19], vcc
	s_cbranch_execz .LBB922_553
; %bb.552:                              ;   in Loop: Header=BB922_213 Depth=1
	v_and_b32_e32 v44, 7, v40
	v_ffbh_u32_e32 v49, v44
	v_min_u32_e32 v49, 32, v49
	v_subrev_u32_e32 v50, 28, v49
	v_lshlrev_b64 v[50:51], v50, v[40:41]
	v_lshrrev_b32_e32 v46, 3, v42
	v_sub_u32_e32 v49, 29, v49
	v_and_b32_e32 v50, 7, v50
	v_cmp_gt_u32_e32 vcc, 8, v42
	v_cndmask_b32_e32 v42, v46, v49, vcc
	v_cndmask_b32_e32 v44, v44, v50, vcc
	v_lshlrev_b32_e32 v46, 24, v40
	v_lshlrev_b32_e32 v44, 20, v44
	v_and_b32_e32 v46, 0x80000000, v46
	v_lshl_add_u32 v42, v42, 23, v48
	v_or3_b32 v42, v46, v42, v44
	v_lshrrev_b32_e32 v46, 16, v42
.LBB922_553:                            ;   in Loop: Header=BB922_213 Depth=1
	s_or_b64 exec, exec, s[18:19]
.LBB922_554:                            ;   in Loop: Header=BB922_213 Depth=1
	s_or_b64 exec, exec, s[16:17]
.LBB922_555:                            ;   in Loop: Header=BB922_213 Depth=1
	s_or_b64 exec, exec, s[14:15]
	v_lshrrev_b16_e32 v42, 8, v40
	v_cmp_ne_u16_e32 vcc, 0, v42
	v_mov_b32_e32 v49, 0
	v_mov_b32_e32 v44, 0
	s_and_saveexec_b64 s[14:15], vcc
	s_cbranch_execz .LBB922_561
; %bb.556:                              ;   in Loop: Header=BB922_213 Depth=1
	v_cmp_ne_u16_e32 vcc, s9, v42
	v_mov_b32_e32 v44, 0xffff8000
	s_and_saveexec_b64 s[16:17], vcc
	s_cbranch_execz .LBB922_560
; %bb.557:                              ;   in Loop: Header=BB922_213 Depth=1
	v_and_b32_e32 v50, 0x7f, v42
	v_cmp_ne_u32_e32 vcc, s23, v50
	v_mov_b32_e32 v44, 0x7f80
	s_and_saveexec_b64 s[18:19], vcc
	s_cbranch_execz .LBB922_559
; %bb.558:                              ;   in Loop: Header=BB922_213 Depth=1
	v_and_b32_e32 v44, 7, v42
	v_ffbh_u32_e32 v52, v44
	v_min_u32_e32 v59, 32, v52
	v_subrev_u32_e32 v52, 28, v59
	v_lshlrev_b64 v[52:53], v52, v[42:43]
	v_lshrrev_b32_e32 v51, 3, v50
	v_sub_u32_e32 v42, 29, v59
	v_and_b32_e32 v52, 7, v52
	v_cmp_gt_u32_e32 vcc, 8, v50
	v_cndmask_b32_e32 v42, v51, v42, vcc
	v_cndmask_b32_e32 v44, v44, v52, vcc
	v_lshlrev_b32_e32 v50, 16, v40
	v_lshlrev_b32_e32 v44, 20, v44
	v_and_b32_e32 v50, 0x80000000, v50
	v_lshl_add_u32 v42, v42, 23, v48
	v_or3_b32 v42, v50, v42, v44
	v_lshrrev_b32_e32 v44, 16, v42
.LBB922_559:                            ;   in Loop: Header=BB922_213 Depth=1
	s_or_b64 exec, exec, s[18:19]
.LBB922_560:                            ;   in Loop: Header=BB922_213 Depth=1
	s_or_b64 exec, exec, s[16:17]
.LBB922_561:                            ;   in Loop: Header=BB922_213 Depth=1
	s_or_b64 exec, exec, s[14:15]
	v_lshrrev_b32_e32 v42, 16, v40
	v_cmp_ne_u16_sdwa s[16:17], v42, v47 src0_sel:BYTE_0 src1_sel:DWORD
	s_and_saveexec_b64 s[14:15], s[16:17]
	s_cbranch_execz .LBB922_567
; %bb.562:                              ;   in Loop: Header=BB922_213 Depth=1
	v_cmp_ne_u16_sdwa s[18:19], v42, s9 src0_sel:BYTE_0 src1_sel:DWORD
	v_mov_b32_e32 v49, 0xffff8000
	s_and_saveexec_b64 s[16:17], s[18:19]
	s_cbranch_execz .LBB922_566
; %bb.563:                              ;   in Loop: Header=BB922_213 Depth=1
	v_bfe_u32 v50, v40, 16, 7
	v_cmp_ne_u32_e32 vcc, s23, v50
	v_mov_b32_e32 v49, 0x7f80
	s_and_saveexec_b64 s[18:19], vcc
	s_cbranch_execz .LBB922_565
; %bb.564:                              ;   in Loop: Header=BB922_213 Depth=1
	v_and_b32_e32 v49, 7, v42
	v_ffbh_u32_e32 v52, v49
	v_min_u32_e32 v59, 32, v52
	v_subrev_u32_e32 v52, 28, v59
	v_lshlrev_b64 v[52:53], v52, v[42:43]
	v_lshrrev_b32_e32 v51, 3, v50
	v_sub_u32_e32 v53, 29, v59
	v_and_b32_e32 v52, 7, v52
	v_cmp_gt_u32_e32 vcc, 8, v50
	v_cndmask_b32_e32 v50, v51, v53, vcc
	v_cndmask_b32_e32 v49, v49, v52, vcc
	v_lshlrev_b32_e32 v42, 24, v42
	v_lshlrev_b32_e32 v49, 20, v49
	v_and_b32_e32 v42, 0x80000000, v42
	v_lshl_add_u32 v50, v50, 23, v48
	v_or3_b32 v42, v42, v50, v49
	v_lshrrev_b32_e32 v49, 16, v42
.LBB922_565:                            ;   in Loop: Header=BB922_213 Depth=1
	s_or_b64 exec, exec, s[18:19]
.LBB922_566:                            ;   in Loop: Header=BB922_213 Depth=1
	s_or_b64 exec, exec, s[16:17]
.LBB922_567:                            ;   in Loop: Header=BB922_213 Depth=1
	s_or_b64 exec, exec, s[14:15]
	v_cmp_lt_u32_e32 vcc, s26, v40
	v_mov_b32_e32 v50, 0
	v_mov_b32_e32 v51, 0
	s_and_saveexec_b64 s[14:15], vcc
	s_cbranch_execz .LBB922_573
; %bb.568:                              ;   in Loop: Header=BB922_213 Depth=1
	v_lshrrev_b32_e32 v42, 24, v40
	v_cmp_ne_u32_e32 vcc, s9, v42
	v_mov_b32_e32 v51, 0xffff8000
	s_and_saveexec_b64 s[16:17], vcc
	s_cbranch_execz .LBB922_572
; %bb.569:                              ;   in Loop: Header=BB922_213 Depth=1
	v_bfe_u32 v40, v40, 24, 7
	v_cmp_ne_u32_e32 vcc, s23, v40
	v_mov_b32_e32 v51, 0x7f80
	s_and_saveexec_b64 s[18:19], vcc
	s_cbranch_execz .LBB922_571
; %bb.570:                              ;   in Loop: Header=BB922_213 Depth=1
	v_and_b32_e32 v51, 7, v42
	v_ffbh_u32_e32 v52, v51
	v_min_u32_e32 v60, 32, v52
	v_subrev_u32_e32 v52, 28, v60
	v_lshlrev_b64 v[52:53], v52, v[42:43]
	v_lshrrev_b32_e32 v59, 3, v40
	v_sub_u32_e32 v53, 29, v60
	v_and_b32_e32 v52, 7, v52
	v_cmp_gt_u32_e32 vcc, 8, v40
	v_cndmask_b32_e32 v40, v59, v53, vcc
	v_cndmask_b32_e32 v51, v51, v52, vcc
	v_lshlrev_b32_e32 v42, 24, v42
	v_lshlrev_b32_e32 v51, 20, v51
	v_and_b32_e32 v42, 0x80000000, v42
	v_lshl_add_u32 v40, v40, 23, v48
	v_or3_b32 v40, v42, v40, v51
	v_lshrrev_b32_e32 v51, 16, v40
.LBB922_571:                            ;   in Loop: Header=BB922_213 Depth=1
	s_or_b64 exec, exec, s[18:19]
.LBB922_572:                            ;   in Loop: Header=BB922_213 Depth=1
	s_or_b64 exec, exec, s[16:17]
.LBB922_573:                            ;   in Loop: Header=BB922_213 Depth=1
	s_or_b64 exec, exec, s[14:15]
	s_waitcnt vmcnt(0)
	v_cmp_ne_u16_sdwa s[16:17], v38, v47 src0_sel:BYTE_0 src1_sel:DWORD
	s_and_saveexec_b64 s[14:15], s[16:17]
	s_cbranch_execz .LBB922_579
; %bb.574:                              ;   in Loop: Header=BB922_213 Depth=1
	v_cmp_ne_u16_sdwa s[18:19], v38, s9 src0_sel:BYTE_0 src1_sel:DWORD
	v_mov_b32_e32 v50, 0xffff8000
	s_and_saveexec_b64 s[16:17], s[18:19]
	s_cbranch_execz .LBB922_578
; %bb.575:                              ;   in Loop: Header=BB922_213 Depth=1
	v_and_b32_e32 v40, 0x7f, v38
	v_cmp_ne_u32_e32 vcc, s23, v40
	v_mov_b32_e32 v50, 0x7f80
	s_and_saveexec_b64 s[18:19], vcc
	s_cbranch_execz .LBB922_577
; %bb.576:                              ;   in Loop: Header=BB922_213 Depth=1
	v_and_b32_e32 v42, 7, v38
	v_ffbh_u32_e32 v52, v42
	v_min_u32_e32 v59, 32, v52
	v_subrev_u32_e32 v52, 28, v59
	v_lshlrev_b64 v[52:53], v52, v[38:39]
	v_lshrrev_b32_e32 v50, 3, v40
	v_sub_u32_e32 v53, 29, v59
	v_and_b32_e32 v52, 7, v52
	v_cmp_gt_u32_e32 vcc, 8, v40
	v_cndmask_b32_e32 v40, v50, v53, vcc
	v_cndmask_b32_e32 v42, v42, v52, vcc
	v_lshlrev_b32_e32 v50, 24, v38
	v_lshlrev_b32_e32 v42, 20, v42
	v_and_b32_e32 v50, 0x80000000, v50
	v_lshl_add_u32 v40, v40, 23, v48
	v_or3_b32 v40, v50, v40, v42
	v_lshrrev_b32_e32 v50, 16, v40
.LBB922_577:                            ;   in Loop: Header=BB922_213 Depth=1
	s_or_b64 exec, exec, s[18:19]
.LBB922_578:                            ;   in Loop: Header=BB922_213 Depth=1
	s_or_b64 exec, exec, s[16:17]
.LBB922_579:                            ;   in Loop: Header=BB922_213 Depth=1
	s_or_b64 exec, exec, s[14:15]
	v_lshrrev_b16_e32 v40, 8, v38
	v_cmp_ne_u16_e32 vcc, 0, v40
	v_mov_b32_e32 v52, 0
	v_mov_b32_e32 v42, 0
	s_and_saveexec_b64 s[14:15], vcc
	s_cbranch_execz .LBB922_585
; %bb.580:                              ;   in Loop: Header=BB922_213 Depth=1
	v_cmp_ne_u16_e32 vcc, s9, v40
	v_mov_b32_e32 v42, 0xffff8000
	s_and_saveexec_b64 s[16:17], vcc
	s_cbranch_execz .LBB922_584
; %bb.581:                              ;   in Loop: Header=BB922_213 Depth=1
	v_and_b32_e32 v53, 0x7f, v40
	v_cmp_ne_u32_e32 vcc, s23, v53
	v_mov_b32_e32 v42, 0x7f80
	s_and_saveexec_b64 s[18:19], vcc
	s_cbranch_execz .LBB922_583
; %bb.582:                              ;   in Loop: Header=BB922_213 Depth=1
	v_and_b32_e32 v42, 7, v40
	v_ffbh_u32_e32 v60, v42
	v_min_u32_e32 v62, 32, v60
	v_subrev_u32_e32 v60, 28, v62
	v_lshlrev_b64 v[60:61], v60, v[40:41]
	v_lshrrev_b32_e32 v59, 3, v53
	v_sub_u32_e32 v40, 29, v62
	v_and_b32_e32 v60, 7, v60
	v_cmp_gt_u32_e32 vcc, 8, v53
	v_cndmask_b32_e32 v40, v59, v40, vcc
	v_cndmask_b32_e32 v42, v42, v60, vcc
	v_lshlrev_b32_e32 v53, 16, v38
	v_lshlrev_b32_e32 v42, 20, v42
	v_and_b32_e32 v53, 0x80000000, v53
	v_lshl_add_u32 v40, v40, 23, v48
	v_or3_b32 v40, v53, v40, v42
	v_lshrrev_b32_e32 v42, 16, v40
.LBB922_583:                            ;   in Loop: Header=BB922_213 Depth=1
	s_or_b64 exec, exec, s[18:19]
.LBB922_584:                            ;   in Loop: Header=BB922_213 Depth=1
	s_or_b64 exec, exec, s[16:17]
.LBB922_585:                            ;   in Loop: Header=BB922_213 Depth=1
	s_or_b64 exec, exec, s[14:15]
	v_lshrrev_b32_e32 v40, 16, v38
	v_cmp_ne_u16_sdwa s[16:17], v40, v47 src0_sel:BYTE_0 src1_sel:DWORD
	s_and_saveexec_b64 s[14:15], s[16:17]
	s_cbranch_execz .LBB922_591
; %bb.586:                              ;   in Loop: Header=BB922_213 Depth=1
	v_cmp_ne_u16_sdwa s[18:19], v40, s9 src0_sel:BYTE_0 src1_sel:DWORD
	v_mov_b32_e32 v52, 0xffff8000
	s_and_saveexec_b64 s[16:17], s[18:19]
	s_cbranch_execz .LBB922_590
; %bb.587:                              ;   in Loop: Header=BB922_213 Depth=1
	v_bfe_u32 v53, v38, 16, 7
	v_cmp_ne_u32_e32 vcc, s23, v53
	v_mov_b32_e32 v52, 0x7f80
	s_and_saveexec_b64 s[18:19], vcc
	s_cbranch_execz .LBB922_589
; %bb.588:                              ;   in Loop: Header=BB922_213 Depth=1
	v_and_b32_e32 v52, 7, v40
	v_ffbh_u32_e32 v60, v52
	v_min_u32_e32 v62, 32, v60
	v_subrev_u32_e32 v60, 28, v62
	v_lshlrev_b64 v[60:61], v60, v[40:41]
	v_lshrrev_b32_e32 v59, 3, v53
	v_sub_u32_e32 v61, 29, v62
	v_and_b32_e32 v60, 7, v60
	v_cmp_gt_u32_e32 vcc, 8, v53
	v_cndmask_b32_e32 v53, v59, v61, vcc
	v_cndmask_b32_e32 v52, v52, v60, vcc
	v_lshlrev_b32_e32 v40, 24, v40
	v_lshlrev_b32_e32 v52, 20, v52
	v_and_b32_e32 v40, 0x80000000, v40
	v_lshl_add_u32 v53, v53, 23, v48
	v_or3_b32 v40, v40, v53, v52
	v_lshrrev_b32_e32 v52, 16, v40
.LBB922_589:                            ;   in Loop: Header=BB922_213 Depth=1
	s_or_b64 exec, exec, s[18:19]
.LBB922_590:                            ;   in Loop: Header=BB922_213 Depth=1
	s_or_b64 exec, exec, s[16:17]
.LBB922_591:                            ;   in Loop: Header=BB922_213 Depth=1
	s_or_b64 exec, exec, s[14:15]
	v_cmp_lt_u32_e32 vcc, s26, v38
	v_mov_b32_e32 v53, 0
	s_and_saveexec_b64 s[14:15], vcc
	s_cbranch_execz .LBB922_212
; %bb.592:                              ;   in Loop: Header=BB922_213 Depth=1
	v_lshrrev_b32_e32 v40, 24, v38
	v_cmp_ne_u32_e32 vcc, s9, v40
	v_mov_b32_e32 v53, 0xffff8000
	s_and_saveexec_b64 s[16:17], vcc
	s_cbranch_execz .LBB922_211
; %bb.593:                              ;   in Loop: Header=BB922_213 Depth=1
	v_bfe_u32 v38, v38, 24, 7
	v_cmp_ne_u32_e32 vcc, s23, v38
	v_mov_b32_e32 v53, 0x7f80
	s_and_saveexec_b64 s[18:19], vcc
	s_cbranch_execz .LBB922_210
; %bb.594:                              ;   in Loop: Header=BB922_213 Depth=1
	v_and_b32_e32 v53, 7, v40
	v_ffbh_u32_e32 v60, v53
	v_min_u32_e32 v62, 32, v60
	v_subrev_u32_e32 v60, 28, v62
	v_lshlrev_b64 v[60:61], v60, v[40:41]
	v_lshrrev_b32_e32 v59, 3, v38
	v_sub_u32_e32 v61, 29, v62
	v_and_b32_e32 v60, 7, v60
	v_cmp_gt_u32_e32 vcc, 8, v38
	v_cndmask_b32_e32 v38, v59, v61, vcc
	v_cndmask_b32_e32 v53, v53, v60, vcc
	v_lshlrev_b32_e32 v40, 24, v40
	v_lshlrev_b32_e32 v53, 20, v53
	v_and_b32_e32 v40, 0x80000000, v40
	v_lshl_add_u32 v38, v38, 23, v48
	v_or3_b32 v38, v40, v38, v53
	v_lshrrev_b32_e32 v53, 16, v38
	s_branch .LBB922_210
.LBB922_595:
	s_barrier
	buffer_load_dword v2, off, s[0:3], 0 offset:320
	buffer_load_dword v5, off, s[0:3], 0 offset:332
	;; [unrolled: 1-line block ×4, first 2 shown]
	v_cmp_gt_u32_e32 vcc, 64, v0
	s_waitcnt vmcnt(0)
	ds_write2st64_b64 v43, v[2:3], v[4:5] offset1:1
	s_waitcnt lgkmcnt(0)
	s_barrier
	s_and_saveexec_b64 s[6:7], vcc
	s_cbranch_execz .LBB922_598
; %bb.596:
	s_lshl_b32 s6, s50, 7
	s_mul_i32 s7, s20, s8
	s_mul_hi_u32 s11, s7, s6
	s_mul_i32 s10, s7, s6
	s_lshl_b64 s[10:11], s[10:11], 1
	v_lshlrev_b32_e32 v4, 6, v55
	s_add_u32 s7, s48, s10
	v_lshl_or_b32 v0, v0, 10, v4
	s_mov_b32 s9, 0
	s_addc_u32 s10, s49, s11
	s_lshl_b32 s8, s24, 7
	v_lshlrev_b32_e32 v2, 5, v1
	v_and_b32_e32 v3, 16, v56
	v_and_b32_e32 v0, 0x1a00, v0
	s_lshl_b64 s[8:9], s[8:9], 1
	v_or3_b32 v0, v0, v2, v3
	s_add_u32 s7, s7, s8
	ds_read_b128 v[4:7], v0 offset:256
	s_addc_u32 s8, s10, s9
	ds_read_b128 v[8:11], v0 offset:128
	ds_read_b128 v[12:15], v0
	v_add_u32_e32 v18, s25, v1
	v_mov_b32_e32 v3, s8
	v_add_co_u32_e32 v2, vcc, s7, v54
	v_mad_u64_u32 v[16:17], s[8:9], v18, s6, 0
	v_addc_co_u32_e32 v3, vcc, 0, v3, vcc
	v_lshlrev_b64 v[16:17], 1, v[16:17]
	v_add_co_u32_e32 v16, vcc, v2, v16
	v_addc_co_u32_e32 v17, vcc, v3, v17, vcc
	s_waitcnt lgkmcnt(0)
	global_store_dwordx4 v[16:17], v[12:15], off
	s_nop 0
	v_add_u32_e32 v12, 4, v18
	v_mad_u64_u32 v[12:13], s[8:9], v12, s6, 0
	v_lshlrev_b64 v[12:13], 1, v[12:13]
	v_add_co_u32_e32 v12, vcc, v2, v12
	v_addc_co_u32_e32 v13, vcc, v3, v13, vcc
	global_store_dwordx4 v[12:13], v[8:11], off
	s_nop 0
	v_add_u32_e32 v8, 8, v18
	v_mad_u64_u32 v[8:9], s[8:9], v8, s6, 0
	v_lshlrev_b64 v[8:9], 1, v[8:9]
	v_add_co_u32_e32 v8, vcc, v2, v8
	v_addc_co_u32_e32 v9, vcc, v3, v9, vcc
	global_store_dwordx4 v[8:9], v[4:7], off
	s_and_b64 exec, exec, s[4:5]
	s_cbranch_execz .LBB922_598
; %bb.597:
	ds_read_b128 v[4:7], v0 offset:384
	v_add3_u32 v0, s25, v1, 12
	v_mad_u64_u32 v[0:1], s[4:5], v0, s6, 0
	v_lshlrev_b64 v[0:1], 1, v[0:1]
	v_add_co_u32_e32 v0, vcc, v2, v0
	v_addc_co_u32_e32 v1, vcc, v3, v1, vcc
	s_waitcnt lgkmcnt(0)
	global_store_dwordx4 v[0:1], v[4:7], off
.LBB922_598:
	s_endpgm
	.section	.rodata,"a",@progbits
	.p2align	6, 0x0
	.amdhsa_kernel _Z39paged_attention_ll4mi_QKV_mfma16_kernelI14__hip_bfloat16hLN4vllm18Fp8KVCacheDataTypeE1ES0_Li16ELi128ELi256ELb0ELi13EL8MFMAType0EEvPKT_PKT0_S9_ifPKiSB_SB_iPKfiiiPfSE_PS4_PT2_iSD_SD_
		.amdhsa_group_segment_fixed_size 8192
		.amdhsa_private_segment_fixed_size 352
		.amdhsa_kernarg_size 400
		.amdhsa_user_sgpr_count 8
		.amdhsa_user_sgpr_private_segment_buffer 1
		.amdhsa_user_sgpr_dispatch_ptr 0
		.amdhsa_user_sgpr_queue_ptr 0
		.amdhsa_user_sgpr_kernarg_segment_ptr 1
		.amdhsa_user_sgpr_dispatch_id 0
		.amdhsa_user_sgpr_flat_scratch_init 1
		.amdhsa_user_sgpr_kernarg_preload_length 0
		.amdhsa_user_sgpr_kernarg_preload_offset 0
		.amdhsa_user_sgpr_private_segment_size 0
		.amdhsa_uses_dynamic_stack 0
		.amdhsa_system_sgpr_private_segment_wavefront_offset 1
		.amdhsa_system_sgpr_workgroup_id_x 1
		.amdhsa_system_sgpr_workgroup_id_y 1
		.amdhsa_system_sgpr_workgroup_id_z 1
		.amdhsa_system_sgpr_workgroup_info 0
		.amdhsa_system_vgpr_workitem_id 0
		.amdhsa_next_free_vgpr 76
		.amdhsa_next_free_sgpr 53
		.amdhsa_accum_offset 76
		.amdhsa_reserve_vcc 1
		.amdhsa_reserve_flat_scratch 0
		.amdhsa_float_round_mode_32 0
		.amdhsa_float_round_mode_16_64 0
		.amdhsa_float_denorm_mode_32 3
		.amdhsa_float_denorm_mode_16_64 3
		.amdhsa_dx10_clamp 1
		.amdhsa_ieee_mode 1
		.amdhsa_fp16_overflow 0
		.amdhsa_tg_split 0
		.amdhsa_exception_fp_ieee_invalid_op 0
		.amdhsa_exception_fp_denorm_src 0
		.amdhsa_exception_fp_ieee_div_zero 0
		.amdhsa_exception_fp_ieee_overflow 0
		.amdhsa_exception_fp_ieee_underflow 0
		.amdhsa_exception_fp_ieee_inexact 0
		.amdhsa_exception_int_div_zero 0
	.end_amdhsa_kernel
	.section	.text._Z39paged_attention_ll4mi_QKV_mfma16_kernelI14__hip_bfloat16hLN4vllm18Fp8KVCacheDataTypeE1ES0_Li16ELi128ELi256ELb0ELi13EL8MFMAType0EEvPKT_PKT0_S9_ifPKiSB_SB_iPKfiiiPfSE_PS4_PT2_iSD_SD_,"axG",@progbits,_Z39paged_attention_ll4mi_QKV_mfma16_kernelI14__hip_bfloat16hLN4vllm18Fp8KVCacheDataTypeE1ES0_Li16ELi128ELi256ELb0ELi13EL8MFMAType0EEvPKT_PKT0_S9_ifPKiSB_SB_iPKfiiiPfSE_PS4_PT2_iSD_SD_,comdat
.Lfunc_end922:
	.size	_Z39paged_attention_ll4mi_QKV_mfma16_kernelI14__hip_bfloat16hLN4vllm18Fp8KVCacheDataTypeE1ES0_Li16ELi128ELi256ELb0ELi13EL8MFMAType0EEvPKT_PKT0_S9_ifPKiSB_SB_iPKfiiiPfSE_PS4_PT2_iSD_SD_, .Lfunc_end922-_Z39paged_attention_ll4mi_QKV_mfma16_kernelI14__hip_bfloat16hLN4vllm18Fp8KVCacheDataTypeE1ES0_Li16ELi128ELi256ELb0ELi13EL8MFMAType0EEvPKT_PKT0_S9_ifPKiSB_SB_iPKfiiiPfSE_PS4_PT2_iSD_SD_
                                        ; -- End function
	.section	.AMDGPU.csdata,"",@progbits
; Kernel info:
; codeLenInByte = 22304
; NumSgprs: 57
; NumVgprs: 76
; NumAgprs: 0
; TotalNumVgprs: 76
; ScratchSize: 352
; MemoryBound: 0
; FloatMode: 240
; IeeeMode: 1
; LDSByteSize: 8192 bytes/workgroup (compile time only)
; SGPRBlocks: 7
; VGPRBlocks: 9
; NumSGPRsForWavesPerEU: 57
; NumVGPRsForWavesPerEU: 76
; AccumOffset: 76
; Occupancy: 6
; WaveLimiterHint : 1
; COMPUTE_PGM_RSRC2:SCRATCH_EN: 1
; COMPUTE_PGM_RSRC2:USER_SGPR: 8
; COMPUTE_PGM_RSRC2:TRAP_HANDLER: 0
; COMPUTE_PGM_RSRC2:TGID_X_EN: 1
; COMPUTE_PGM_RSRC2:TGID_Y_EN: 1
; COMPUTE_PGM_RSRC2:TGID_Z_EN: 1
; COMPUTE_PGM_RSRC2:TIDIG_COMP_CNT: 0
; COMPUTE_PGM_RSRC3_GFX90A:ACCUM_OFFSET: 18
; COMPUTE_PGM_RSRC3_GFX90A:TG_SPLIT: 0
	.section	.text._Z39paged_attention_ll4mi_QKV_mfma16_kernelI14__hip_bfloat16hLN4vllm18Fp8KVCacheDataTypeE1ES0_Li16ELi128ELi256ELb0ELi14EL8MFMAType0EEvPKT_PKT0_S9_ifPKiSB_SB_iPKfiiiPfSE_PS4_PT2_iSD_SD_,"axG",@progbits,_Z39paged_attention_ll4mi_QKV_mfma16_kernelI14__hip_bfloat16hLN4vllm18Fp8KVCacheDataTypeE1ES0_Li16ELi128ELi256ELb0ELi14EL8MFMAType0EEvPKT_PKT0_S9_ifPKiSB_SB_iPKfiiiPfSE_PS4_PT2_iSD_SD_,comdat
	.protected	_Z39paged_attention_ll4mi_QKV_mfma16_kernelI14__hip_bfloat16hLN4vllm18Fp8KVCacheDataTypeE1ES0_Li16ELi128ELi256ELb0ELi14EL8MFMAType0EEvPKT_PKT0_S9_ifPKiSB_SB_iPKfiiiPfSE_PS4_PT2_iSD_SD_ ; -- Begin function _Z39paged_attention_ll4mi_QKV_mfma16_kernelI14__hip_bfloat16hLN4vllm18Fp8KVCacheDataTypeE1ES0_Li16ELi128ELi256ELb0ELi14EL8MFMAType0EEvPKT_PKT0_S9_ifPKiSB_SB_iPKfiiiPfSE_PS4_PT2_iSD_SD_
	.globl	_Z39paged_attention_ll4mi_QKV_mfma16_kernelI14__hip_bfloat16hLN4vllm18Fp8KVCacheDataTypeE1ES0_Li16ELi128ELi256ELb0ELi14EL8MFMAType0EEvPKT_PKT0_S9_ifPKiSB_SB_iPKfiiiPfSE_PS4_PT2_iSD_SD_
	.p2align	8
	.type	_Z39paged_attention_ll4mi_QKV_mfma16_kernelI14__hip_bfloat16hLN4vllm18Fp8KVCacheDataTypeE1ES0_Li16ELi128ELi256ELb0ELi14EL8MFMAType0EEvPKT_PKT0_S9_ifPKiSB_SB_iPKfiiiPfSE_PS4_PT2_iSD_SD_,@function
_Z39paged_attention_ll4mi_QKV_mfma16_kernelI14__hip_bfloat16hLN4vllm18Fp8KVCacheDataTypeE1ES0_Li16ELi128ELi256ELb0ELi14EL8MFMAType0EEvPKT_PKT0_S9_ifPKiSB_SB_iPKfiiiPfSE_PS4_PT2_iSD_SD_: ; @_Z39paged_attention_ll4mi_QKV_mfma16_kernelI14__hip_bfloat16hLN4vllm18Fp8KVCacheDataTypeE1ES0_Li16ELi128ELi256ELb0ELi14EL8MFMAType0EEvPKT_PKT0_S9_ifPKiSB_SB_iPKfiiiPfSE_PS4_PT2_iSD_SD_
; %bb.0:
	s_load_dwordx2 s[6:7], s[4:5], 0x30
	s_add_u32 s0, s0, s11
	s_addc_u32 s1, s1, 0
	s_mov_b32 s24, s9
	s_mov_b64 s[12:13], 0
	s_waitcnt lgkmcnt(0)
	s_cmp_lg_u64 s[6:7], 0
	s_cselect_b64 s[16:17], -1, 0
	s_and_b64 vcc, exec, s[16:17]
	s_cbranch_vccz .LBB923_7
; %bb.1:
	s_add_i32 s14, s8, 1
	s_mov_b32 s15, 0
	s_lshl_b64 s[18:19], s[14:15], 2
	s_add_u32 s18, s6, s18
	s_mov_b32 s9, s15
	s_addc_u32 s19, s7, s19
	s_lshl_b64 s[14:15], s[8:9], 2
	s_add_u32 s14, s6, s14
	s_addc_u32 s15, s7, s15
	s_load_dword s11, s[18:19], 0x0
	s_load_dword s20, s[14:15], 0x0
	s_waitcnt lgkmcnt(0)
	s_sub_i32 s11, s11, s20
	s_cmp_eq_u32 s11, 1
	s_cselect_b64 s[14:15], -1, 0
	s_andn2_b64 vcc, exec, s[12:13]
	s_cbranch_vccnz .LBB923_3
.LBB923_2:
	s_mov_b32 s9, 0
	s_mov_b64 s[14:15], -1
.LBB923_3:
	s_andn2_b64 vcc, exec, s[14:15]
	s_cbranch_vccnz .LBB923_598
; %bb.4:
	s_load_dwordx2 s[12:13], s[4:5], 0x28
	s_lshl_b64 s[18:19], s[8:9], 2
	s_waitcnt lgkmcnt(0)
	s_add_u32 s12, s12, s18
	s_addc_u32 s13, s13, s19
	s_load_dword s33, s[12:13], 0x0
	s_lshl_b32 s20, s24, 8
	s_waitcnt lgkmcnt(0)
	s_cmp_ge_i32 s20, s33
	s_cbranch_scc1 .LBB923_598
; %bb.5:
	s_add_i32 s14, s33, 15
	s_load_dwordx2 s[12:13], s[4:5], 0x20
	s_load_dword s11, s[4:5], 0x38
	s_ashr_i32 s15, s14, 31
	v_and_b32_e32 v1, 0xcf, v0
	s_lshr_b32 s15, s15, 28
	v_add_u32_e32 v1, s20, v1
	s_add_i32 s14, s14, s15
	v_ashrrev_i32_e32 v2, 31, v1
	s_ashr_i32 s22, s14, 4
	v_lshrrev_b32_e32 v6, 28, v2
	s_add_i32 s22, s22, -1
	v_add_u32_e32 v2, v1, v6
	s_waitcnt lgkmcnt(0)
	s_mul_i32 s14, s8, s11
	s_mov_b32 s15, 0
	v_ashrrev_i32_e32 v2, 4, v2
	v_mov_b32_e32 v7, s22
	v_cmp_gt_i32_e32 vcc, s33, v1
	s_lshl_b64 s[14:15], s[14:15], 2
	v_cndmask_b32_e32 v2, v7, v2, vcc
	s_add_u32 s11, s12, s14
	v_ashrrev_i32_e32 v3, 31, v2
	s_addc_u32 s21, s13, s15
	v_lshlrev_b64 v[2:3], 2, v[2:3]
	v_mov_b32_e32 v5, s21
	v_add_co_u32_e32 v4, vcc, s11, v2
	v_or_b32_e32 v2, 16, v1
	v_addc_co_u32_e32 v5, vcc, v5, v3, vcc
	v_add_u32_e32 v3, v2, v6
	v_ashrrev_i32_e32 v3, 4, v3
	v_cmp_gt_i32_e32 vcc, s33, v2
	v_cndmask_b32_e32 v2, v7, v3, vcc
	v_ashrrev_i32_e32 v3, 31, v2
	v_lshlrev_b64 v[2:3], 2, v[2:3]
	v_mov_b32_e32 v9, s21
	v_add_co_u32_e32 v8, vcc, s11, v2
	v_or_b32_e32 v2, 32, v1
	v_addc_co_u32_e32 v9, vcc, v9, v3, vcc
	v_add_u32_e32 v3, v2, v6
	v_ashrrev_i32_e32 v3, 4, v3
	v_cmp_gt_i32_e32 vcc, s33, v2
	v_cndmask_b32_e32 v2, v7, v3, vcc
	v_ashrrev_i32_e32 v3, 31, v2
	;; [unrolled: 10-line block ×3, first 2 shown]
	v_lshlrev_b64 v[2:3], 2, v[2:3]
	v_mov_b32_e32 v1, s21
	v_add_co_u32_e32 v12, vcc, s11, v2
	v_addc_co_u32_e32 v13, vcc, v1, v3, vcc
	global_load_dword v3, v[4:5], off
	global_load_dword v2, v[8:9], off
	;; [unrolled: 1-line block ×4, first 2 shown]
	s_load_dwordx4 s[12:15], s[4:5], 0x8
	s_andn2_b64 vcc, exec, s[16:17]
	s_cbranch_vccnz .LBB923_8
; %bb.6:
	s_add_u32 s6, s6, s18
	s_addc_u32 s7, s7, s19
	s_load_dword s16, s[6:7], 0x0
	s_branch .LBB923_9
.LBB923_7:
	s_mov_b64 s[14:15], 0
	s_branch .LBB923_2
.LBB923_8:
	s_mov_b32 s16, s8
.LBB923_9:
	s_load_dwordx2 s[48:49], s[4:5], 0x68
	s_load_dwordx8 s[40:47], s[4:5], 0x48
	v_lshrrev_b32_e32 v62, 6, v0
	v_bfe_u32 v1, v0, 4, 2
	v_and_b32_e32 v55, 15, v0
	v_lshl_or_b32 v4, v62, 2, v1
	v_lshlrev_b32_e32 v5, 3, v55
	s_mul_i32 s25, s10, 14
	v_cmp_gt_u32_e32 vcc, 14, v4
	v_lshlrev_b32_e32 v54, 1, v5
	v_lshlrev_b32_e32 v56, 4, v0
	s_and_saveexec_b64 s[6:7], vcc
	s_cbranch_execz .LBB923_11
; %bb.10:
	s_load_dwordx2 s[18:19], s[4:5], 0x0
	s_waitcnt lgkmcnt(0)
	s_ashr_i32 s17, s40, 31
	s_mul_hi_u32 s23, s16, s40
	s_mul_i32 s17, s16, s17
	s_add_i32 s17, s23, s17
	s_mul_i32 s16, s16, s40
	s_lshl_b64 s[16:17], s[16:17], 1
	v_add_lshl_u32 v8, v4, s25, 7
	s_add_u32 s16, s18, s16
	v_ashrrev_i32_e32 v9, 31, v8
	s_addc_u32 s17, s19, s17
	v_lshlrev_b64 v[8:9], 1, v[8:9]
	v_mov_b32_e32 v5, s17
	v_add_co_u32_e32 v7, vcc, s16, v8
	v_addc_co_u32_e32 v5, vcc, v5, v9, vcc
	v_add_co_u32_e32 v8, vcc, v7, v54
	v_addc_co_u32_e32 v9, vcc, 0, v5, vcc
	global_load_dwordx4 v[8:11], v[8:9], off
	v_lshlrev_b32_e32 v7, 8, v0
	v_lshlrev_b32_e32 v5, 8, v55
	v_and_b32_e32 v7, 0x600, v7
	s_movk_i32 s16, 0x800
	v_and_or_b32 v5, v5, s16, v7
	v_lshlrev_b32_e32 v4, 5, v4
	v_and_b32_e32 v7, 16, v56
	v_or3_b32 v4, v5, v4, v7
	s_waitcnt vmcnt(0)
	ds_write_b128 v4, v[8:11]
.LBB923_11:
	s_or_b64 exec, exec, s[6:7]
	v_and_b32_e32 v7, 48, v0
	v_or_b32_e32 v14, s20, v7
	v_ashrrev_i32_e32 v4, 4, v14
	v_mov_b32_e32 v15, s22
	v_cmp_gt_i32_e32 vcc, s33, v14
	v_cndmask_b32_e32 v4, v15, v4, vcc
	v_ashrrev_i32_e32 v5, 31, v4
	v_lshlrev_b64 v[4:5], 2, v[4:5]
	v_mov_b32_e32 v8, s21
	v_add_co_u32_e32 v4, vcc, s11, v4
	v_addc_co_u32_e32 v5, vcc, v8, v5, vcc
	v_or_b32_e32 v8, 64, v14
	v_ashrrev_i32_e32 v9, 4, v8
	v_cmp_gt_i32_e32 vcc, s33, v8
	v_cndmask_b32_e32 v8, v15, v9, vcc
	v_ashrrev_i32_e32 v9, 31, v8
	v_lshlrev_b64 v[8:9], 2, v[8:9]
	v_mov_b32_e32 v10, s21
	v_add_co_u32_e32 v8, vcc, s11, v8
	v_addc_co_u32_e32 v9, vcc, v10, v9, vcc
	v_or_b32_e32 v10, 0x80, v14
	v_ashrrev_i32_e32 v11, 4, v10
	v_cmp_gt_i32_e32 vcc, s33, v10
	v_cndmask_b32_e32 v10, v15, v11, vcc
	v_ashrrev_i32_e32 v11, 31, v10
	v_lshlrev_b64 v[10:11], 2, v[10:11]
	v_mov_b32_e32 v16, s21
	v_add_co_u32_e32 v10, vcc, s11, v10
	s_load_dwordx2 s[50:51], s[4:5], 0x94
	s_waitcnt lgkmcnt(0)
	s_barrier
	v_addc_co_u32_e32 v11, vcc, v16, v11, vcc
	global_load_dword v50, v[4:5], off
	global_load_dword v57, v[8:9], off
	;; [unrolled: 1-line block ×3, first 2 shown]
	v_or_b32_e32 v4, 0xc0, v14
	v_ashrrev_i32_e32 v5, 4, v4
	v_cmp_gt_i32_e32 vcc, s33, v4
	v_cndmask_b32_e32 v4, v15, v5, vcc
	v_ashrrev_i32_e32 v5, 31, v4
	v_lshlrev_b64 v[4:5], 2, v[4:5]
	v_mov_b32_e32 v8, s21
	v_add_co_u32_e32 v4, vcc, s11, v4
	v_addc_co_u32_e32 v5, vcc, v8, v5, vcc
	s_mul_i32 s10, s10, s42
	global_load_dword v72, v[4:5], off
	s_add_u32 s6, s12, s10
	s_addc_u32 s7, s13, 0
	v_and_b32_e32 v12, 0xf0, v56
	v_mov_b32_e32 v13, s7
	v_add_co_u32_e32 v20, vcc, s6, v12
	v_addc_co_u32_e32 v21, vcc, 0, v13, vcc
	v_lshlrev_b32_e32 v28, 4, v7
	s_waitcnt vmcnt(7)
	v_mad_i64_i32 v[4:5], s[6:7], v3, s41, v[20:21]
	v_add_co_u32_e32 v4, vcc, v4, v28
	v_addc_co_u32_e32 v5, vcc, 0, v5, vcc
	global_load_dwordx4 v[38:41], v[4:5], off
	global_load_dwordx4 v[10:13], v[4:5], off offset:1024
	s_waitcnt vmcnt(8)
	v_mad_i64_i32 v[2:3], s[6:7], v2, s41, v[20:21]
	v_add_co_u32_e32 v8, vcc, v2, v28
	v_addc_co_u32_e32 v9, vcc, 0, v3, vcc
	s_waitcnt vmcnt(7)
	v_mad_i64_i32 v[6:7], s[6:7], v6, s41, v[20:21]
	v_add_co_u32_e32 v26, vcc, v6, v28
	v_addc_co_u32_e32 v27, vcc, 0, v7, vcc
	s_waitcnt vmcnt(6)
	v_mad_i64_i32 v[18:19], s[6:7], v18, s41, v[20:21]
	v_add_co_u32_e32 v30, vcc, v18, v28
	s_add_u32 s10, s14, s10
	v_lshl_or_b32 v63, v62, 4, v55
	global_load_dwordx4 v[14:17], v[8:9], off
	global_load_dwordx4 v[2:5], v[8:9], off offset:1024
	v_addc_co_u32_e32 v31, vcc, 0, v19, vcc
	s_addc_u32 s11, s15, 0
	v_lshlrev_b32_e32 v51, 4, v63
	global_load_dwordx4 v[6:9], v[26:27], off
	global_load_dwordx4 v[22:25], v[26:27], off offset:1024
	s_nop 0
	global_load_dwordx4 v[26:29], v[30:31], off
	global_load_dwordx4 v[18:21], v[30:31], off offset:1024
	v_mov_b32_e32 v30, s11
	v_add_co_u32_e32 v42, vcc, s10, v51
	v_addc_co_u32_e32 v43, vcc, 0, v30, vcc
	v_or_b32_e32 v51, 0x400, v51
	v_mov_b32_e32 v52, s11
	v_add_co_u32_e32 v58, vcc, s10, v51
	v_addc_co_u32_e32 v59, vcc, 0, v52, vcc
	v_cmp_gt_u32_e32 vcc, 14, v55
	s_mov_b32 s12, 0
	s_movk_i32 s13, 0x80
	s_movk_i32 s14, 0x7f
	s_mov_b32 s15, 0xffffff
	s_mov_b32 s16, 0x5040100
	s_waitcnt vmcnt(11)
	v_mad_i64_i32 v[30:31], s[6:7], v50, s41, v[42:43]
	s_waitcnt vmcnt(10)
	v_mad_i64_i32 v[32:33], s[6:7], v57, s41, v[42:43]
	;; [unrolled: 2-line block ×3, first 2 shown]
	global_load_dwordx4 v[34:37], v[30:31], off
	s_nop 0
	global_load_dwordx4 v[30:33], v[32:33], off
	v_mad_i64_i32 v[50:51], s[6:7], v50, s41, v[58:59]
	v_mad_i64_i32 v[60:61], s[6:7], v57, s41, v[58:59]
	s_waitcnt vmcnt(10)
	v_mad_i64_i32 v[42:43], s[6:7], v72, s41, v[42:43]
	global_load_dwordx4 v[46:49], v[44:45], off
	s_nop 0
	global_load_dwordx4 v[42:45], v[42:43], off
	s_nop 0
	;; [unrolled: 2-line block ×3, first 2 shown]
	global_load_dwordx4 v[64:67], v[60:61], off
	s_waitcnt vmcnt(13)
	buffer_store_dword v41, off, s[0:3], 0 offset:12
	buffer_store_dword v40, off, s[0:3], 0 offset:8
	v_mad_i64_i32 v[40:41], s[6:7], v68, s41, v[58:59]
	global_load_dwordx4 v[68:71], v[40:41], off
	v_mad_i64_i32 v[40:41], s[6:7], v72, s41, v[58:59]
	global_load_dwordx4 v[72:75], v[40:41], off
	s_nop 0
	buffer_store_dword v39, off, s[0:3], 0 offset:4
	buffer_store_dword v38, off, s[0:3], 0
	s_waitcnt vmcnt(18)
	buffer_store_dword v13, off, s[0:3], 0 offset:28
	buffer_store_dword v12, off, s[0:3], 0 offset:24
	;; [unrolled: 1-line block ×4, first 2 shown]
	s_waitcnt vmcnt(21)
	buffer_store_dword v17, off, s[0:3], 0 offset:44
	buffer_store_dword v16, off, s[0:3], 0 offset:40
	;; [unrolled: 1-line block ×4, first 2 shown]
	s_load_dword s6, s[4:5], 0x1c
	s_load_dwordx4 s[40:43], s[4:5], 0x80
	s_waitcnt vmcnt(24)
	buffer_store_dword v5, off, s[0:3], 0 offset:60
	buffer_store_dword v4, off, s[0:3], 0 offset:56
	;; [unrolled: 1-line block ×4, first 2 shown]
	v_add_u32_e32 v2, -14, v55
	v_cndmask_b32_e32 v2, v2, v55, vcc
	v_lshlrev_b32_e32 v2, 5, v2
	v_mov_b32_e32 v10, 0x80
	s_waitcnt vmcnt(27)
	buffer_store_dword v9, off, s[0:3], 0 offset:76
	buffer_store_dword v8, off, s[0:3], 0 offset:72
	;; [unrolled: 1-line block ×4, first 2 shown]
	v_lshl_add_u32 v14, v1, 9, v2
	v_add_u32_e32 v39, 16, v10
	v_add_u32_e32 v61, 32, v10
	;; [unrolled: 1-line block ×7, first 2 shown]
	ds_read_b128 v[2:5], v14
	ds_read_b128 v[6:9], v14 offset:16
	ds_read_b128 v[10:13], v14 offset:2048
	;; [unrolled: 1-line block ×3, first 2 shown]
	s_waitcnt vmcnt(30)
	buffer_store_dword v25, off, s[0:3], 0 offset:92
	buffer_store_dword v24, off, s[0:3], 0 offset:88
	buffer_store_dword v23, off, s[0:3], 0 offset:84
	buffer_store_dword v22, off, s[0:3], 0 offset:80
	s_waitcnt vmcnt(33)
	buffer_store_dword v29, off, s[0:3], 0 offset:108
	buffer_store_dword v28, off, s[0:3], 0 offset:104
	buffer_store_dword v27, off, s[0:3], 0 offset:100
	buffer_store_dword v26, off, s[0:3], 0 offset:96
	;; [unrolled: 5-line block ×3, first 2 shown]
	s_waitcnt lgkmcnt(0)
	v_mov_b32_e32 v18, s6
	v_and_b32_e32 v38, 63, v0
	v_mov_b32_e32 v27, 0
	s_waitcnt vmcnt(39)
	buffer_store_dword v37, off, s[0:3], 0 offset:140
	buffer_store_dword v36, off, s[0:3], 0 offset:136
	buffer_store_dword v35, off, s[0:3], 0 offset:132
	buffer_store_dword v34, off, s[0:3], 0 offset:128
	s_waitcnt vmcnt(42)
	buffer_store_dword v33, off, s[0:3], 0 offset:172
	buffer_store_dword v32, off, s[0:3], 0 offset:168
	buffer_store_dword v31, off, s[0:3], 0 offset:164
	buffer_store_dword v30, off, s[0:3], 0 offset:160
	;; [unrolled: 5-line block ×7, first 2 shown]
	s_waitcnt vmcnt(58)
	buffer_store_dword v75, off, s[0:3], 0 offset:252
	s_load_dword s4, s[40:41], 0x0
	v_mov_b32_e32 v29, 0x100
	v_mov_b32_e32 v31, 0
	v_bfrev_b32_e32 v33, 60
	buffer_store_dword v74, off, s[0:3], 0 offset:248
	buffer_store_dword v73, off, s[0:3], 0 offset:244
	;; [unrolled: 1-line block ×3, first 2 shown]
	s_waitcnt lgkmcnt(0)
	v_mul_f32_e32 v22, s4, v18
	v_mov_b32_e32 v24, v22
	v_mov_b32_e32 v25, v22
	s_branch .LBB923_15
.LBB923_12:                             ;   in Loop: Header=BB923_15 Depth=1
	s_or_b64 exec, exec, s[10:11]
.LBB923_13:                             ;   in Loop: Header=BB923_15 Depth=1
	s_or_b64 exec, exec, s[6:7]
.LBB923_14:                             ;   in Loop: Header=BB923_15 Depth=1
	s_or_b64 exec, exec, s[4:5]
	v_perm_b32 v43, v36, v32, s16
	v_perm_b32 v42, v23, v34, s16
	;; [unrolled: 1-line block ×4, first 2 shown]
	v_add_u32_e32 v26, s12, v29
	v_mfma_f32_16x16x16bf16_1k v[18:21], v[42:43], v[14:15], v[18:21]
	s_add_i32 s12, s12, 16
	v_mov_b32_e32 v23, v22
	s_cmp_eq_u32 s12, 64
	v_add_u32_e32 v27, 32, v27
	v_mfma_f32_16x16x16bf16_1k v[18:21], v[36:37], v[16:17], v[18:21]
	s_nop 7
	s_nop 2
	v_pk_mul_f32 v[18:19], v[24:25], v[18:19]
	v_pk_mul_f32 v[20:21], v[22:23], v[20:21]
	buffer_store_dword v19, v26, s[0:3], 0 offen offset:4
	buffer_store_dword v18, v26, s[0:3], 0 offen
	buffer_store_dword v21, v26, s[0:3], 0 offen offset:12
	buffer_store_dword v20, v26, s[0:3], 0 offen offset:8
	s_cbranch_scc1 .LBB923_205
.LBB923_15:                             ; =>This Inner Loop Header: Depth=1
	buffer_load_dword v20, v27, s[0:3], 0 offen
	buffer_load_dword v18, v27, s[0:3], 0 offen offset:4
	buffer_load_dword v28, v27, s[0:3], 0 offen offset:8
	;; [unrolled: 1-line block ×3, first 2 shown]
	v_mov_b32_e32 v19, 0
	s_waitcnt vmcnt(3)
	v_cmp_ne_u16_sdwa s[6:7], v20, v31 src0_sel:BYTE_0 src1_sel:DWORD
	s_and_saveexec_b64 s[4:5], s[6:7]
	s_cbranch_execz .LBB923_21
; %bb.16:                               ;   in Loop: Header=BB923_15 Depth=1
	v_cmp_ne_u16_sdwa s[10:11], v20, s13 src0_sel:BYTE_0 src1_sel:DWORD
	v_mov_b32_e32 v19, 0xffff8000
	s_and_saveexec_b64 s[6:7], s[10:11]
	s_cbranch_execz .LBB923_20
; %bb.17:                               ;   in Loop: Header=BB923_15 Depth=1
	v_and_b32_e32 v21, 0x7f, v20
	v_cmp_ne_u32_e32 vcc, s14, v21
	v_mov_b32_e32 v19, 0x7f80
	s_and_saveexec_b64 s[10:11], vcc
	s_cbranch_execz .LBB923_19
; %bb.18:                               ;   in Loop: Header=BB923_15 Depth=1
	v_and_b32_e32 v19, 7, v20
	v_ffbh_u32_e32 v30, v19
	v_min_u32_e32 v30, 32, v30
	v_subrev_u32_e32 v32, 28, v30
	v_lshlrev_b64 v[34:35], v32, v[20:21]
	v_lshrrev_b32_e32 v23, 3, v21
	v_sub_u32_e32 v30, 29, v30
	v_and_b32_e32 v32, 7, v34
	v_cmp_gt_u32_e32 vcc, 8, v21
	v_cndmask_b32_e32 v21, v23, v30, vcc
	v_cndmask_b32_e32 v19, v19, v32, vcc
	v_lshlrev_b32_e32 v23, 24, v20
	v_lshlrev_b32_e32 v19, 20, v19
	v_and_b32_e32 v23, 0x80000000, v23
	v_lshl_add_u32 v21, v21, 23, v33
	v_or3_b32 v19, v23, v21, v19
	v_lshrrev_b32_e32 v19, 16, v19
.LBB923_19:                             ;   in Loop: Header=BB923_15 Depth=1
	s_or_b64 exec, exec, s[10:11]
.LBB923_20:                             ;   in Loop: Header=BB923_15 Depth=1
	s_or_b64 exec, exec, s[6:7]
.LBB923_21:                             ;   in Loop: Header=BB923_15 Depth=1
	s_or_b64 exec, exec, s[4:5]
	v_lshrrev_b16_e32 v30, 8, v20
	v_cmp_ne_u16_e32 vcc, 0, v30
	v_mov_b32_e32 v23, 0
	v_mov_b32_e32 v21, 0
	s_and_saveexec_b64 s[4:5], vcc
	s_cbranch_execz .LBB923_27
; %bb.22:                               ;   in Loop: Header=BB923_15 Depth=1
	v_cmp_ne_u16_e32 vcc, s13, v30
	v_mov_b32_e32 v21, 0xffff8000
	s_and_saveexec_b64 s[6:7], vcc
	s_cbranch_execz .LBB923_26
; %bb.23:                               ;   in Loop: Header=BB923_15 Depth=1
	v_and_b32_e32 v32, 0x7f, v30
	v_cmp_ne_u32_e32 vcc, s14, v32
	v_mov_b32_e32 v21, 0x7f80
	s_and_saveexec_b64 s[10:11], vcc
	s_cbranch_execz .LBB923_25
; %bb.24:                               ;   in Loop: Header=BB923_15 Depth=1
	v_and_b32_e32 v21, 7, v30
	v_ffbh_u32_e32 v34, v21
	v_min_u32_e32 v37, 32, v34
	v_subrev_u32_e32 v34, 28, v37
	v_lshlrev_b64 v[34:35], v34, v[30:31]
	v_lshrrev_b32_e32 v36, 3, v32
	v_sub_u32_e32 v30, 29, v37
	v_and_b32_e32 v34, 7, v34
	v_cmp_gt_u32_e32 vcc, 8, v32
	v_cndmask_b32_e32 v30, v36, v30, vcc
	v_cndmask_b32_e32 v21, v21, v34, vcc
	v_lshlrev_b32_e32 v32, 16, v20
	v_lshlrev_b32_e32 v21, 20, v21
	v_and_b32_e32 v32, 0x80000000, v32
	v_lshl_add_u32 v30, v30, 23, v33
	v_or3_b32 v21, v32, v30, v21
	v_lshrrev_b32_e32 v21, 16, v21
.LBB923_25:                             ;   in Loop: Header=BB923_15 Depth=1
	s_or_b64 exec, exec, s[10:11]
.LBB923_26:                             ;   in Loop: Header=BB923_15 Depth=1
	s_or_b64 exec, exec, s[6:7]
.LBB923_27:                             ;   in Loop: Header=BB923_15 Depth=1
	s_or_b64 exec, exec, s[4:5]
	v_lshrrev_b32_e32 v30, 16, v20
	v_cmp_ne_u16_sdwa s[6:7], v30, v31 src0_sel:BYTE_0 src1_sel:DWORD
	s_and_saveexec_b64 s[4:5], s[6:7]
	s_cbranch_execz .LBB923_33
; %bb.28:                               ;   in Loop: Header=BB923_15 Depth=1
	v_cmp_ne_u16_sdwa s[10:11], v30, s13 src0_sel:BYTE_0 src1_sel:DWORD
	v_mov_b32_e32 v23, 0xffff8000
	s_and_saveexec_b64 s[6:7], s[10:11]
	s_cbranch_execz .LBB923_32
; %bb.29:                               ;   in Loop: Header=BB923_15 Depth=1
	v_bfe_u32 v32, v20, 16, 7
	v_cmp_ne_u32_e32 vcc, s14, v32
	v_mov_b32_e32 v23, 0x7f80
	s_and_saveexec_b64 s[10:11], vcc
	s_cbranch_execz .LBB923_31
; %bb.30:                               ;   in Loop: Header=BB923_15 Depth=1
	v_and_b32_e32 v23, 7, v30
	v_ffbh_u32_e32 v34, v23
	v_min_u32_e32 v37, 32, v34
	v_subrev_u32_e32 v34, 28, v37
	v_lshlrev_b64 v[34:35], v34, v[30:31]
	v_lshrrev_b32_e32 v36, 3, v32
	v_sub_u32_e32 v35, 29, v37
	v_and_b32_e32 v34, 7, v34
	v_cmp_gt_u32_e32 vcc, 8, v32
	v_cndmask_b32_e32 v32, v36, v35, vcc
	v_cndmask_b32_e32 v23, v23, v34, vcc
	v_lshlrev_b32_e32 v30, 24, v30
	v_lshlrev_b32_e32 v23, 20, v23
	v_and_b32_e32 v30, 0x80000000, v30
	v_lshl_add_u32 v32, v32, 23, v33
	v_or3_b32 v23, v30, v32, v23
	v_lshrrev_b32_e32 v23, 16, v23
.LBB923_31:                             ;   in Loop: Header=BB923_15 Depth=1
	s_or_b64 exec, exec, s[10:11]
.LBB923_32:                             ;   in Loop: Header=BB923_15 Depth=1
	s_or_b64 exec, exec, s[6:7]
.LBB923_33:                             ;   in Loop: Header=BB923_15 Depth=1
	s_or_b64 exec, exec, s[4:5]
	v_cmp_lt_u32_e32 vcc, s15, v20
	v_mov_b32_e32 v34, 0
	v_mov_b32_e32 v35, 0
	s_and_saveexec_b64 s[4:5], vcc
	s_cbranch_execz .LBB923_39
; %bb.34:                               ;   in Loop: Header=BB923_15 Depth=1
	v_lshrrev_b32_e32 v30, 24, v20
	v_cmp_ne_u32_e32 vcc, s13, v30
	v_mov_b32_e32 v35, 0xffff8000
	s_and_saveexec_b64 s[6:7], vcc
	s_cbranch_execz .LBB923_38
; %bb.35:                               ;   in Loop: Header=BB923_15 Depth=1
	v_bfe_u32 v20, v20, 24, 7
	v_cmp_ne_u32_e32 vcc, s14, v20
	v_mov_b32_e32 v35, 0x7f80
	s_and_saveexec_b64 s[10:11], vcc
	s_cbranch_execz .LBB923_37
; %bb.36:                               ;   in Loop: Header=BB923_15 Depth=1
	v_and_b32_e32 v32, 7, v30
	v_ffbh_u32_e32 v36, v32
	v_min_u32_e32 v40, 32, v36
	v_subrev_u32_e32 v36, 28, v40
	v_lshlrev_b64 v[36:37], v36, v[30:31]
	v_lshrrev_b32_e32 v35, 3, v20
	v_sub_u32_e32 v37, 29, v40
	v_and_b32_e32 v36, 7, v36
	v_cmp_gt_u32_e32 vcc, 8, v20
	v_cndmask_b32_e32 v20, v35, v37, vcc
	v_cndmask_b32_e32 v32, v32, v36, vcc
	v_lshlrev_b32_e32 v30, 24, v30
	v_lshlrev_b32_e32 v32, 20, v32
	v_and_b32_e32 v30, 0x80000000, v30
	v_lshl_add_u32 v20, v20, 23, v33
	v_or3_b32 v20, v30, v20, v32
	v_lshrrev_b32_e32 v35, 16, v20
.LBB923_37:                             ;   in Loop: Header=BB923_15 Depth=1
	s_or_b64 exec, exec, s[10:11]
.LBB923_38:                             ;   in Loop: Header=BB923_15 Depth=1
	s_or_b64 exec, exec, s[6:7]
.LBB923_39:                             ;   in Loop: Header=BB923_15 Depth=1
	s_or_b64 exec, exec, s[4:5]
	s_waitcnt vmcnt(2)
	v_cmp_ne_u16_sdwa s[6:7], v18, v31 src0_sel:BYTE_0 src1_sel:DWORD
	s_and_saveexec_b64 s[4:5], s[6:7]
	s_cbranch_execz .LBB923_45
; %bb.40:                               ;   in Loop: Header=BB923_15 Depth=1
	v_cmp_ne_u16_sdwa s[10:11], v18, s13 src0_sel:BYTE_0 src1_sel:DWORD
	v_mov_b32_e32 v34, 0xffff8000
	s_and_saveexec_b64 s[6:7], s[10:11]
	s_cbranch_execz .LBB923_44
; %bb.41:                               ;   in Loop: Header=BB923_15 Depth=1
	v_and_b32_e32 v20, 0x7f, v18
	v_cmp_ne_u32_e32 vcc, s14, v20
	v_mov_b32_e32 v34, 0x7f80
	s_and_saveexec_b64 s[10:11], vcc
	s_cbranch_execz .LBB923_43
; %bb.42:                               ;   in Loop: Header=BB923_15 Depth=1
	v_and_b32_e32 v30, 7, v18
	v_ffbh_u32_e32 v34, v30
	v_min_u32_e32 v34, 32, v34
	v_subrev_u32_e32 v36, 28, v34
	v_lshlrev_b64 v[36:37], v36, v[18:19]
	v_lshrrev_b32_e32 v32, 3, v20
	v_sub_u32_e32 v34, 29, v34
	v_and_b32_e32 v36, 7, v36
	v_cmp_gt_u32_e32 vcc, 8, v20
	v_cndmask_b32_e32 v20, v32, v34, vcc
	v_cndmask_b32_e32 v30, v30, v36, vcc
	v_lshlrev_b32_e32 v32, 24, v18
	v_lshlrev_b32_e32 v30, 20, v30
	v_and_b32_e32 v32, 0x80000000, v32
	v_lshl_add_u32 v20, v20, 23, v33
	v_or3_b32 v20, v32, v20, v30
	v_lshrrev_b32_e32 v34, 16, v20
.LBB923_43:                             ;   in Loop: Header=BB923_15 Depth=1
	s_or_b64 exec, exec, s[10:11]
.LBB923_44:                             ;   in Loop: Header=BB923_15 Depth=1
	s_or_b64 exec, exec, s[6:7]
.LBB923_45:                             ;   in Loop: Header=BB923_15 Depth=1
	s_or_b64 exec, exec, s[4:5]
	v_lshrrev_b16_e32 v20, 8, v18
	v_cmp_ne_u16_e32 vcc, 0, v20
	v_mov_b32_e32 v36, 0
	v_mov_b32_e32 v30, 0
	s_and_saveexec_b64 s[4:5], vcc
	s_cbranch_execz .LBB923_51
; %bb.46:                               ;   in Loop: Header=BB923_15 Depth=1
	v_cmp_ne_u16_e32 vcc, s13, v20
	v_mov_b32_e32 v30, 0xffff8000
	s_and_saveexec_b64 s[6:7], vcc
	s_cbranch_execz .LBB923_50
; %bb.47:                               ;   in Loop: Header=BB923_15 Depth=1
	v_and_b32_e32 v32, 0x7f, v20
	v_cmp_ne_u32_e32 vcc, s14, v32
	v_mov_b32_e32 v30, 0x7f80
	s_and_saveexec_b64 s[10:11], vcc
	s_cbranch_execz .LBB923_49
; %bb.48:                               ;   in Loop: Header=BB923_15 Depth=1
	v_and_b32_e32 v30, 7, v20
	v_ffbh_u32_e32 v40, v30
	v_min_u32_e32 v40, 32, v40
	v_subrev_u32_e32 v42, 28, v40
	v_lshlrev_b64 v[42:43], v42, v[20:21]
	v_lshrrev_b32_e32 v37, 3, v32
	v_sub_u32_e32 v20, 29, v40
	v_and_b32_e32 v40, 7, v42
	v_cmp_gt_u32_e32 vcc, 8, v32
	v_cndmask_b32_e32 v20, v37, v20, vcc
	v_cndmask_b32_e32 v30, v30, v40, vcc
	v_lshlrev_b32_e32 v32, 16, v18
	v_lshlrev_b32_e32 v30, 20, v30
	v_and_b32_e32 v32, 0x80000000, v32
	v_lshl_add_u32 v20, v20, 23, v33
	v_or3_b32 v20, v32, v20, v30
	v_lshrrev_b32_e32 v30, 16, v20
.LBB923_49:                             ;   in Loop: Header=BB923_15 Depth=1
	s_or_b64 exec, exec, s[10:11]
.LBB923_50:                             ;   in Loop: Header=BB923_15 Depth=1
	s_or_b64 exec, exec, s[6:7]
.LBB923_51:                             ;   in Loop: Header=BB923_15 Depth=1
	s_or_b64 exec, exec, s[4:5]
	v_lshrrev_b32_e32 v20, 16, v18
	v_cmp_ne_u16_sdwa s[6:7], v20, v31 src0_sel:BYTE_0 src1_sel:DWORD
	s_and_saveexec_b64 s[4:5], s[6:7]
	s_cbranch_execz .LBB923_57
; %bb.52:                               ;   in Loop: Header=BB923_15 Depth=1
	v_cmp_ne_u16_sdwa s[10:11], v20, s13 src0_sel:BYTE_0 src1_sel:DWORD
	v_mov_b32_e32 v36, 0xffff8000
	s_and_saveexec_b64 s[6:7], s[10:11]
	s_cbranch_execz .LBB923_56
; %bb.53:                               ;   in Loop: Header=BB923_15 Depth=1
	v_bfe_u32 v32, v18, 16, 7
	v_cmp_ne_u32_e32 vcc, s14, v32
	v_mov_b32_e32 v36, 0x7f80
	s_and_saveexec_b64 s[10:11], vcc
	s_cbranch_execz .LBB923_55
; %bb.54:                               ;   in Loop: Header=BB923_15 Depth=1
	v_and_b32_e32 v40, 7, v20
	v_ffbh_u32_e32 v36, v40
	v_min_u32_e32 v43, 32, v36
	v_subrev_u32_e32 v36, 28, v43
	v_lshlrev_b64 v[36:37], v36, v[20:21]
	v_lshrrev_b32_e32 v42, 3, v32
	v_sub_u32_e32 v37, 29, v43
	v_and_b32_e32 v36, 7, v36
	v_cmp_gt_u32_e32 vcc, 8, v32
	v_cndmask_b32_e32 v32, v42, v37, vcc
	v_cndmask_b32_e32 v36, v40, v36, vcc
	v_lshlrev_b32_e32 v20, 24, v20
	v_lshlrev_b32_e32 v36, 20, v36
	v_and_b32_e32 v20, 0x80000000, v20
	v_lshl_add_u32 v32, v32, 23, v33
	v_or3_b32 v20, v20, v32, v36
	v_lshrrev_b32_e32 v36, 16, v20
.LBB923_55:                             ;   in Loop: Header=BB923_15 Depth=1
	s_or_b64 exec, exec, s[10:11]
.LBB923_56:                             ;   in Loop: Header=BB923_15 Depth=1
	s_or_b64 exec, exec, s[6:7]
.LBB923_57:                             ;   in Loop: Header=BB923_15 Depth=1
	s_or_b64 exec, exec, s[4:5]
	v_cmp_lt_u32_e32 vcc, s15, v18
	v_mov_b32_e32 v32, 0
	v_mov_b32_e32 v37, 0
	s_and_saveexec_b64 s[4:5], vcc
	s_cbranch_execz .LBB923_63
; %bb.58:                               ;   in Loop: Header=BB923_15 Depth=1
	v_lshrrev_b32_e32 v20, 24, v18
	v_cmp_ne_u32_e32 vcc, s13, v20
	v_mov_b32_e32 v37, 0xffff8000
	s_and_saveexec_b64 s[6:7], vcc
	s_cbranch_execz .LBB923_62
; %bb.59:                               ;   in Loop: Header=BB923_15 Depth=1
	v_bfe_u32 v18, v18, 24, 7
	v_cmp_ne_u32_e32 vcc, s14, v18
	v_mov_b32_e32 v37, 0x7f80
	s_and_saveexec_b64 s[10:11], vcc
	s_cbranch_execz .LBB923_61
; %bb.60:                               ;   in Loop: Header=BB923_15 Depth=1
	v_and_b32_e32 v37, 7, v20
	v_ffbh_u32_e32 v42, v37
	v_min_u32_e32 v44, 32, v42
	v_subrev_u32_e32 v42, 28, v44
	v_lshlrev_b64 v[42:43], v42, v[20:21]
	v_lshrrev_b32_e32 v40, 3, v18
	v_sub_u32_e32 v43, 29, v44
	v_and_b32_e32 v42, 7, v42
	v_cmp_gt_u32_e32 vcc, 8, v18
	v_cndmask_b32_e32 v18, v40, v43, vcc
	v_cndmask_b32_e32 v37, v37, v42, vcc
	v_lshlrev_b32_e32 v20, 24, v20
	v_lshlrev_b32_e32 v37, 20, v37
	v_and_b32_e32 v20, 0x80000000, v20
	v_lshl_add_u32 v18, v18, 23, v33
	v_or3_b32 v18, v20, v18, v37
	v_lshrrev_b32_e32 v37, 16, v18
.LBB923_61:                             ;   in Loop: Header=BB923_15 Depth=1
	s_or_b64 exec, exec, s[10:11]
.LBB923_62:                             ;   in Loop: Header=BB923_15 Depth=1
	s_or_b64 exec, exec, s[6:7]
.LBB923_63:                             ;   in Loop: Header=BB923_15 Depth=1
	s_or_b64 exec, exec, s[4:5]
	v_perm_b32 v43, v35, v23, s16
	v_perm_b32 v42, v21, v19, s16
	;; [unrolled: 1-line block ×4, first 2 shown]
	s_waitcnt vmcnt(1)
	v_cmp_ne_u16_sdwa s[6:7], v28, v31 src0_sel:BYTE_0 src1_sel:DWORD
	v_mfma_f32_16x16x16bf16_1k v[18:21], v[42:43], v[2:3], 0
	v_mfma_f32_16x16x16bf16_1k v[18:21], v[34:35], v[4:5], v[18:21]
	s_and_saveexec_b64 s[4:5], s[6:7]
	s_cbranch_execz .LBB923_69
; %bb.64:                               ;   in Loop: Header=BB923_15 Depth=1
	v_cmp_ne_u16_sdwa s[10:11], v28, s13 src0_sel:BYTE_0 src1_sel:DWORD
	v_mov_b32_e32 v32, 0xffff8000
	s_and_saveexec_b64 s[6:7], s[10:11]
	s_cbranch_execz .LBB923_68
; %bb.65:                               ;   in Loop: Header=BB923_15 Depth=1
	v_and_b32_e32 v23, 0x7f, v28
	v_cmp_ne_u32_e32 vcc, s14, v23
	v_mov_b32_e32 v32, 0x7f80
	s_and_saveexec_b64 s[10:11], vcc
	s_cbranch_execz .LBB923_67
; %bb.66:                               ;   in Loop: Header=BB923_15 Depth=1
	v_and_b32_e32 v30, 7, v28
	v_ffbh_u32_e32 v34, v30
	v_min_u32_e32 v36, 32, v34
	v_subrev_u32_e32 v34, 28, v36
	v_lshlrev_b64 v[34:35], v34, v[28:29]
	v_lshrrev_b32_e32 v32, 3, v23
	v_sub_u32_e32 v35, 29, v36
	v_and_b32_e32 v34, 7, v34
	v_cmp_gt_u32_e32 vcc, 8, v23
	v_cndmask_b32_e32 v23, v32, v35, vcc
	v_cndmask_b32_e32 v30, v30, v34, vcc
	v_lshlrev_b32_e32 v32, 24, v28
	v_lshlrev_b32_e32 v30, 20, v30
	v_and_b32_e32 v32, 0x80000000, v32
	v_lshl_add_u32 v23, v23, 23, v33
	v_or3_b32 v23, v32, v23, v30
	v_lshrrev_b32_e32 v32, 16, v23
.LBB923_67:                             ;   in Loop: Header=BB923_15 Depth=1
	s_or_b64 exec, exec, s[10:11]
.LBB923_68:                             ;   in Loop: Header=BB923_15 Depth=1
	s_or_b64 exec, exec, s[6:7]
.LBB923_69:                             ;   in Loop: Header=BB923_15 Depth=1
	s_or_b64 exec, exec, s[4:5]
	v_lshrrev_b16_e32 v30, 8, v28
	v_cmp_ne_u16_e32 vcc, 0, v30
	v_mov_b32_e32 v35, 0
	v_mov_b32_e32 v34, 0
	s_and_saveexec_b64 s[4:5], vcc
	s_cbranch_execz .LBB923_75
; %bb.70:                               ;   in Loop: Header=BB923_15 Depth=1
	v_cmp_ne_u16_e32 vcc, s13, v30
	v_mov_b32_e32 v34, 0xffff8000
	s_and_saveexec_b64 s[6:7], vcc
	s_cbranch_execz .LBB923_74
; %bb.71:                               ;   in Loop: Header=BB923_15 Depth=1
	v_and_b32_e32 v23, 0x7f, v30
	v_cmp_ne_u32_e32 vcc, s14, v23
	v_mov_b32_e32 v34, 0x7f80
	s_and_saveexec_b64 s[10:11], vcc
	s_cbranch_execz .LBB923_73
; %bb.72:                               ;   in Loop: Header=BB923_15 Depth=1
	v_and_b32_e32 v34, 7, v30
	v_ffbh_u32_e32 v36, v34
	v_min_u32_e32 v42, 32, v36
	v_subrev_u32_e32 v36, 28, v42
	v_lshlrev_b64 v[36:37], v36, v[30:31]
	v_lshrrev_b32_e32 v40, 3, v23
	v_sub_u32_e32 v30, 29, v42
	v_and_b32_e32 v36, 7, v36
	v_cmp_gt_u32_e32 vcc, 8, v23
	v_cndmask_b32_e32 v23, v40, v30, vcc
	v_cndmask_b32_e32 v30, v34, v36, vcc
	v_lshlrev_b32_e32 v34, 16, v28
	v_lshlrev_b32_e32 v30, 20, v30
	v_and_b32_e32 v34, 0x80000000, v34
	v_lshl_add_u32 v23, v23, 23, v33
	v_or3_b32 v23, v34, v23, v30
	v_lshrrev_b32_e32 v34, 16, v23
.LBB923_73:                             ;   in Loop: Header=BB923_15 Depth=1
	s_or_b64 exec, exec, s[10:11]
.LBB923_74:                             ;   in Loop: Header=BB923_15 Depth=1
	s_or_b64 exec, exec, s[6:7]
.LBB923_75:                             ;   in Loop: Header=BB923_15 Depth=1
	s_or_b64 exec, exec, s[4:5]
	v_lshrrev_b32_e32 v30, 16, v28
	v_cmp_ne_u16_sdwa s[6:7], v30, v31 src0_sel:BYTE_0 src1_sel:DWORD
	s_and_saveexec_b64 s[4:5], s[6:7]
	s_cbranch_execz .LBB923_81
; %bb.76:                               ;   in Loop: Header=BB923_15 Depth=1
	v_cmp_ne_u16_sdwa s[10:11], v30, s13 src0_sel:BYTE_0 src1_sel:DWORD
	v_mov_b32_e32 v35, 0xffff8000
	s_and_saveexec_b64 s[6:7], s[10:11]
	s_cbranch_execz .LBB923_80
; %bb.77:                               ;   in Loop: Header=BB923_15 Depth=1
	v_bfe_u32 v23, v28, 16, 7
	v_cmp_ne_u32_e32 vcc, s14, v23
	v_mov_b32_e32 v35, 0x7f80
	s_and_saveexec_b64 s[10:11], vcc
	s_cbranch_execz .LBB923_79
; %bb.78:                               ;   in Loop: Header=BB923_15 Depth=1
	v_and_b32_e32 v35, 7, v30
	v_ffbh_u32_e32 v36, v35
	v_min_u32_e32 v42, 32, v36
	v_subrev_u32_e32 v36, 28, v42
	v_lshlrev_b64 v[36:37], v36, v[30:31]
	v_lshrrev_b32_e32 v40, 3, v23
	v_sub_u32_e32 v37, 29, v42
	v_and_b32_e32 v36, 7, v36
	v_cmp_gt_u32_e32 vcc, 8, v23
	v_cndmask_b32_e32 v23, v40, v37, vcc
	v_cndmask_b32_e32 v35, v35, v36, vcc
	v_lshlrev_b32_e32 v30, 24, v30
	v_lshlrev_b32_e32 v35, 20, v35
	v_and_b32_e32 v30, 0x80000000, v30
	v_lshl_add_u32 v23, v23, 23, v33
	v_or3_b32 v23, v30, v23, v35
	v_lshrrev_b32_e32 v35, 16, v23
.LBB923_79:                             ;   in Loop: Header=BB923_15 Depth=1
	s_or_b64 exec, exec, s[10:11]
.LBB923_80:                             ;   in Loop: Header=BB923_15 Depth=1
	s_or_b64 exec, exec, s[6:7]
.LBB923_81:                             ;   in Loop: Header=BB923_15 Depth=1
	s_or_b64 exec, exec, s[4:5]
	v_cmp_lt_u32_e32 vcc, s15, v28
	v_mov_b32_e32 v36, 0
	v_mov_b32_e32 v37, 0
	s_and_saveexec_b64 s[4:5], vcc
	s_cbranch_execz .LBB923_87
; %bb.82:                               ;   in Loop: Header=BB923_15 Depth=1
	v_lshrrev_b32_e32 v30, 24, v28
	v_cmp_ne_u32_e32 vcc, s13, v30
	v_mov_b32_e32 v37, 0xffff8000
	s_and_saveexec_b64 s[6:7], vcc
	s_cbranch_execz .LBB923_86
; %bb.83:                               ;   in Loop: Header=BB923_15 Depth=1
	v_bfe_u32 v23, v28, 24, 7
	v_cmp_ne_u32_e32 vcc, s14, v23
	v_mov_b32_e32 v37, 0x7f80
	s_and_saveexec_b64 s[10:11], vcc
	s_cbranch_execz .LBB923_85
; %bb.84:                               ;   in Loop: Header=BB923_15 Depth=1
	v_and_b32_e32 v28, 7, v30
	v_ffbh_u32_e32 v40, v28
	v_min_u32_e32 v40, 32, v40
	v_subrev_u32_e32 v42, 28, v40
	v_lshlrev_b64 v[42:43], v42, v[30:31]
	v_lshrrev_b32_e32 v37, 3, v23
	v_sub_u32_e32 v40, 29, v40
	v_and_b32_e32 v42, 7, v42
	v_cmp_gt_u32_e32 vcc, 8, v23
	v_cndmask_b32_e32 v23, v37, v40, vcc
	v_cndmask_b32_e32 v28, v28, v42, vcc
	v_lshlrev_b32_e32 v30, 24, v30
	v_lshlrev_b32_e32 v28, 20, v28
	v_and_b32_e32 v30, 0x80000000, v30
	v_lshl_add_u32 v23, v23, 23, v33
	v_or3_b32 v23, v30, v23, v28
	v_lshrrev_b32_e32 v37, 16, v23
.LBB923_85:                             ;   in Loop: Header=BB923_15 Depth=1
	s_or_b64 exec, exec, s[10:11]
.LBB923_86:                             ;   in Loop: Header=BB923_15 Depth=1
	s_or_b64 exec, exec, s[6:7]
.LBB923_87:                             ;   in Loop: Header=BB923_15 Depth=1
	s_or_b64 exec, exec, s[4:5]
	s_waitcnt vmcnt(0)
	v_cmp_ne_u16_sdwa s[6:7], v26, v31 src0_sel:BYTE_0 src1_sel:DWORD
	s_and_saveexec_b64 s[4:5], s[6:7]
	s_cbranch_execz .LBB923_93
; %bb.88:                               ;   in Loop: Header=BB923_15 Depth=1
	v_cmp_ne_u16_sdwa s[10:11], v26, s13 src0_sel:BYTE_0 src1_sel:DWORD
	v_mov_b32_e32 v36, 0xffff8000
	s_and_saveexec_b64 s[6:7], s[10:11]
	s_cbranch_execz .LBB923_92
; %bb.89:                               ;   in Loop: Header=BB923_15 Depth=1
	v_and_b32_e32 v23, 0x7f, v26
	v_cmp_ne_u32_e32 vcc, s14, v23
	v_mov_b32_e32 v36, 0x7f80
	s_and_saveexec_b64 s[10:11], vcc
	s_cbranch_execz .LBB923_91
; %bb.90:                               ;   in Loop: Header=BB923_15 Depth=1
	v_and_b32_e32 v28, 7, v26
	v_ffbh_u32_e32 v36, v28
	v_min_u32_e32 v36, 32, v36
	v_subrev_u32_e32 v40, 28, v36
	v_lshlrev_b64 v[42:43], v40, v[26:27]
	v_lshrrev_b32_e32 v30, 3, v23
	v_sub_u32_e32 v36, 29, v36
	v_and_b32_e32 v40, 7, v42
	v_cmp_gt_u32_e32 vcc, 8, v23
	v_cndmask_b32_e32 v23, v30, v36, vcc
	v_cndmask_b32_e32 v28, v28, v40, vcc
	v_lshlrev_b32_e32 v30, 24, v26
	v_lshlrev_b32_e32 v28, 20, v28
	v_and_b32_e32 v30, 0x80000000, v30
	v_lshl_add_u32 v23, v23, 23, v33
	v_or3_b32 v23, v30, v23, v28
	v_lshrrev_b32_e32 v36, 16, v23
.LBB923_91:                             ;   in Loop: Header=BB923_15 Depth=1
	s_or_b64 exec, exec, s[10:11]
.LBB923_92:                             ;   in Loop: Header=BB923_15 Depth=1
	s_or_b64 exec, exec, s[6:7]
.LBB923_93:                             ;   in Loop: Header=BB923_15 Depth=1
	s_or_b64 exec, exec, s[4:5]
	v_lshrrev_b16_e32 v28, 8, v26
	v_cmp_ne_u16_e32 vcc, 0, v28
	v_mov_b32_e32 v42, 0
	v_mov_b32_e32 v40, 0
	s_and_saveexec_b64 s[4:5], vcc
	s_cbranch_execz .LBB923_99
; %bb.94:                               ;   in Loop: Header=BB923_15 Depth=1
	v_cmp_ne_u16_e32 vcc, s13, v28
	v_mov_b32_e32 v40, 0xffff8000
	s_and_saveexec_b64 s[6:7], vcc
	s_cbranch_execz .LBB923_98
; %bb.95:                               ;   in Loop: Header=BB923_15 Depth=1
	v_and_b32_e32 v23, 0x7f, v28
	v_cmp_ne_u32_e32 vcc, s14, v23
	v_mov_b32_e32 v40, 0x7f80
	s_and_saveexec_b64 s[10:11], vcc
	s_cbranch_execz .LBB923_97
; %bb.96:                               ;   in Loop: Header=BB923_15 Depth=1
	v_and_b32_e32 v30, 7, v28
	v_ffbh_u32_e32 v43, v30
	v_min_u32_e32 v43, 32, v43
	v_subrev_u32_e32 v44, 28, v43
	v_lshlrev_b64 v[44:45], v44, v[28:29]
	v_lshrrev_b32_e32 v40, 3, v23
	v_sub_u32_e32 v28, 29, v43
	v_and_b32_e32 v43, 7, v44
	v_cmp_gt_u32_e32 vcc, 8, v23
	v_cndmask_b32_e32 v23, v40, v28, vcc
	v_cndmask_b32_e32 v28, v30, v43, vcc
	v_lshlrev_b32_e32 v30, 16, v26
	v_lshlrev_b32_e32 v28, 20, v28
	v_and_b32_e32 v30, 0x80000000, v30
	v_lshl_add_u32 v23, v23, 23, v33
	v_or3_b32 v23, v30, v23, v28
	v_lshrrev_b32_e32 v40, 16, v23
.LBB923_97:                             ;   in Loop: Header=BB923_15 Depth=1
	s_or_b64 exec, exec, s[10:11]
.LBB923_98:                             ;   in Loop: Header=BB923_15 Depth=1
	s_or_b64 exec, exec, s[6:7]
.LBB923_99:                             ;   in Loop: Header=BB923_15 Depth=1
	s_or_b64 exec, exec, s[4:5]
	v_lshrrev_b32_e32 v28, 16, v26
	v_cmp_ne_u16_sdwa s[6:7], v28, v31 src0_sel:BYTE_0 src1_sel:DWORD
	s_and_saveexec_b64 s[4:5], s[6:7]
	s_cbranch_execz .LBB923_105
; %bb.100:                              ;   in Loop: Header=BB923_15 Depth=1
	v_cmp_ne_u16_sdwa s[10:11], v28, s13 src0_sel:BYTE_0 src1_sel:DWORD
	v_mov_b32_e32 v42, 0xffff8000
	s_and_saveexec_b64 s[6:7], s[10:11]
	s_cbranch_execz .LBB923_104
; %bb.101:                              ;   in Loop: Header=BB923_15 Depth=1
	v_bfe_u32 v23, v26, 16, 7
	v_cmp_ne_u32_e32 vcc, s14, v23
	v_mov_b32_e32 v42, 0x7f80
	s_and_saveexec_b64 s[10:11], vcc
	s_cbranch_execz .LBB923_103
; %bb.102:                              ;   in Loop: Header=BB923_15 Depth=1
	v_and_b32_e32 v30, 7, v28
	v_ffbh_u32_e32 v42, v30
	v_min_u32_e32 v45, 32, v42
	v_subrev_u32_e32 v42, 28, v45
	v_lshlrev_b64 v[42:43], v42, v[28:29]
	v_lshrrev_b32_e32 v44, 3, v23
	v_sub_u32_e32 v43, 29, v45
	v_and_b32_e32 v42, 7, v42
	v_cmp_gt_u32_e32 vcc, 8, v23
	v_cndmask_b32_e32 v23, v44, v43, vcc
	v_cndmask_b32_e32 v30, v30, v42, vcc
	v_lshlrev_b32_e32 v28, 24, v28
	v_lshlrev_b32_e32 v30, 20, v30
	v_and_b32_e32 v28, 0x80000000, v28
	v_lshl_add_u32 v23, v23, 23, v33
	v_or3_b32 v23, v28, v23, v30
	v_lshrrev_b32_e32 v42, 16, v23
.LBB923_103:                            ;   in Loop: Header=BB923_15 Depth=1
	s_or_b64 exec, exec, s[10:11]
.LBB923_104:                            ;   in Loop: Header=BB923_15 Depth=1
	s_or_b64 exec, exec, s[6:7]
.LBB923_105:                            ;   in Loop: Header=BB923_15 Depth=1
	s_or_b64 exec, exec, s[4:5]
	v_cmp_lt_u32_e32 vcc, s15, v26
	v_mov_b32_e32 v23, 0
	v_mov_b32_e32 v43, 0
	s_and_saveexec_b64 s[4:5], vcc
	s_cbranch_execz .LBB923_111
; %bb.106:                              ;   in Loop: Header=BB923_15 Depth=1
	v_lshrrev_b32_e32 v28, 24, v26
	v_cmp_ne_u32_e32 vcc, s13, v28
	v_mov_b32_e32 v43, 0xffff8000
	s_and_saveexec_b64 s[6:7], vcc
	s_cbranch_execz .LBB923_110
; %bb.107:                              ;   in Loop: Header=BB923_15 Depth=1
	v_bfe_u32 v26, v26, 24, 7
	v_cmp_ne_u32_e32 vcc, s14, v26
	v_mov_b32_e32 v43, 0x7f80
	s_and_saveexec_b64 s[10:11], vcc
	s_cbranch_execz .LBB923_109
; %bb.108:                              ;   in Loop: Header=BB923_15 Depth=1
	v_and_b32_e32 v30, 7, v28
	v_ffbh_u32_e32 v44, v30
	v_min_u32_e32 v46, 32, v44
	v_subrev_u32_e32 v44, 28, v46
	v_lshlrev_b64 v[44:45], v44, v[28:29]
	v_lshrrev_b32_e32 v43, 3, v26
	v_sub_u32_e32 v45, 29, v46
	v_and_b32_e32 v44, 7, v44
	v_cmp_gt_u32_e32 vcc, 8, v26
	v_cndmask_b32_e32 v26, v43, v45, vcc
	v_cndmask_b32_e32 v30, v30, v44, vcc
	v_lshlrev_b32_e32 v28, 24, v28
	v_lshlrev_b32_e32 v30, 20, v30
	v_and_b32_e32 v28, 0x80000000, v28
	v_lshl_add_u32 v26, v26, 23, v33
	v_or3_b32 v26, v28, v26, v30
	v_lshrrev_b32_e32 v43, 16, v26
.LBB923_109:                            ;   in Loop: Header=BB923_15 Depth=1
	s_or_b64 exec, exec, s[10:11]
.LBB923_110:                            ;   in Loop: Header=BB923_15 Depth=1
	s_or_b64 exec, exec, s[6:7]
.LBB923_111:                            ;   in Loop: Header=BB923_15 Depth=1
	s_or_b64 exec, exec, s[4:5]
	v_perm_b32 v34, v34, v32, s16
	buffer_load_dword v32, v27, s[0:3], 0 offen offset:16
	buffer_load_dword v30, v27, s[0:3], 0 offen offset:20
	;; [unrolled: 1-line block ×4, first 2 shown]
	v_perm_b32 v35, v37, v35, s16
	s_waitcnt vmcnt(3)
	v_cmp_ne_u16_sdwa s[6:7], v32, v31 src0_sel:BYTE_0 src1_sel:DWORD
	v_mfma_f32_16x16x16bf16_1k v[18:21], v[34:35], v[6:7], v[18:21]
	v_perm_b32 v35, v43, v42, s16
	v_perm_b32 v34, v40, v36, s16
	s_nop 1
	v_mfma_f32_16x16x16bf16_1k v[18:21], v[34:35], v[8:9], v[18:21]
	s_and_saveexec_b64 s[4:5], s[6:7]
	s_cbranch_execz .LBB923_117
; %bb.112:                              ;   in Loop: Header=BB923_15 Depth=1
	v_cmp_ne_u16_sdwa s[10:11], v32, s13 src0_sel:BYTE_0 src1_sel:DWORD
	v_mov_b32_e32 v23, 0xffff8000
	s_and_saveexec_b64 s[6:7], s[10:11]
	s_cbranch_execz .LBB923_116
; %bb.113:                              ;   in Loop: Header=BB923_15 Depth=1
	v_and_b32_e32 v34, 0x7f, v32
	v_cmp_ne_u32_e32 vcc, s14, v34
	v_mov_b32_e32 v23, 0x7f80
	s_and_saveexec_b64 s[10:11], vcc
	s_cbranch_execz .LBB923_115
; %bb.114:                              ;   in Loop: Header=BB923_15 Depth=1
	v_and_b32_e32 v23, 7, v32
	v_ffbh_u32_e32 v36, v23
	v_min_u32_e32 v40, 32, v36
	v_subrev_u32_e32 v36, 28, v40
	v_lshlrev_b64 v[36:37], v36, v[32:33]
	v_lshrrev_b32_e32 v35, 3, v34
	v_sub_u32_e32 v37, 29, v40
	v_and_b32_e32 v36, 7, v36
	v_cmp_gt_u32_e32 vcc, 8, v34
	v_cndmask_b32_e32 v34, v35, v37, vcc
	v_cndmask_b32_e32 v23, v23, v36, vcc
	v_lshlrev_b32_e32 v35, 24, v32
	v_lshlrev_b32_e32 v23, 20, v23
	v_and_b32_e32 v35, 0x80000000, v35
	v_lshl_add_u32 v34, v34, 23, v33
	v_or3_b32 v23, v35, v34, v23
	v_lshrrev_b32_e32 v23, 16, v23
.LBB923_115:                            ;   in Loop: Header=BB923_15 Depth=1
	s_or_b64 exec, exec, s[10:11]
.LBB923_116:                            ;   in Loop: Header=BB923_15 Depth=1
	s_or_b64 exec, exec, s[6:7]
.LBB923_117:                            ;   in Loop: Header=BB923_15 Depth=1
	s_or_b64 exec, exec, s[4:5]
	v_lshrrev_b16_e32 v34, 8, v32
	v_cmp_ne_u16_e32 vcc, 0, v34
	v_mov_b32_e32 v36, 0
	v_mov_b32_e32 v35, 0
	s_and_saveexec_b64 s[4:5], vcc
	s_cbranch_execz .LBB923_123
; %bb.118:                              ;   in Loop: Header=BB923_15 Depth=1
	v_cmp_ne_u16_e32 vcc, s13, v34
	v_mov_b32_e32 v35, 0xffff8000
	s_and_saveexec_b64 s[6:7], vcc
	s_cbranch_execz .LBB923_122
; %bb.119:                              ;   in Loop: Header=BB923_15 Depth=1
	v_and_b32_e32 v37, 0x7f, v34
	v_cmp_ne_u32_e32 vcc, s14, v37
	v_mov_b32_e32 v35, 0x7f80
	s_and_saveexec_b64 s[10:11], vcc
	s_cbranch_execz .LBB923_121
; %bb.120:                              ;   in Loop: Header=BB923_15 Depth=1
	v_and_b32_e32 v40, 7, v34
	v_ffbh_u32_e32 v35, v40
	v_min_u32_e32 v43, 32, v35
	v_subrev_u32_e32 v35, 28, v43
	v_lshlrev_b64 v[34:35], v35, v[34:35]
	v_lshrrev_b32_e32 v42, 3, v37
	v_sub_u32_e32 v35, 29, v43
	v_and_b32_e32 v34, 7, v34
	v_cmp_gt_u32_e32 vcc, 8, v37
	v_cndmask_b32_e32 v35, v42, v35, vcc
	v_cndmask_b32_e32 v34, v40, v34, vcc
	v_lshlrev_b32_e32 v37, 16, v32
	v_lshlrev_b32_e32 v34, 20, v34
	v_and_b32_e32 v37, 0x80000000, v37
	v_lshl_add_u32 v35, v35, 23, v33
	v_or3_b32 v34, v37, v35, v34
	v_lshrrev_b32_e32 v35, 16, v34
.LBB923_121:                            ;   in Loop: Header=BB923_15 Depth=1
	s_or_b64 exec, exec, s[10:11]
.LBB923_122:                            ;   in Loop: Header=BB923_15 Depth=1
	s_or_b64 exec, exec, s[6:7]
.LBB923_123:                            ;   in Loop: Header=BB923_15 Depth=1
	s_or_b64 exec, exec, s[4:5]
	v_lshrrev_b32_e32 v34, 16, v32
	v_cmp_ne_u16_sdwa s[6:7], v34, v31 src0_sel:BYTE_0 src1_sel:DWORD
	s_and_saveexec_b64 s[4:5], s[6:7]
	s_cbranch_execz .LBB923_129
; %bb.124:                              ;   in Loop: Header=BB923_15 Depth=1
	v_cmp_ne_u16_sdwa s[10:11], v34, s13 src0_sel:BYTE_0 src1_sel:DWORD
	v_mov_b32_e32 v36, 0xffff8000
	s_and_saveexec_b64 s[6:7], s[10:11]
	s_cbranch_execz .LBB923_128
; %bb.125:                              ;   in Loop: Header=BB923_15 Depth=1
	v_bfe_u32 v37, v32, 16, 7
	v_cmp_ne_u32_e32 vcc, s14, v37
	v_mov_b32_e32 v36, 0x7f80
	s_and_saveexec_b64 s[10:11], vcc
	s_cbranch_execz .LBB923_127
; %bb.126:                              ;   in Loop: Header=BB923_15 Depth=1
	v_and_b32_e32 v36, 7, v34
	v_ffbh_u32_e32 v42, v36
	v_min_u32_e32 v44, 32, v42
	v_subrev_u32_e32 v42, 28, v44
	v_lshlrev_b64 v[42:43], v42, v[34:35]
	v_lshrrev_b32_e32 v40, 3, v37
	v_sub_u32_e32 v43, 29, v44
	v_and_b32_e32 v42, 7, v42
	v_cmp_gt_u32_e32 vcc, 8, v37
	v_cndmask_b32_e32 v37, v40, v43, vcc
	v_cndmask_b32_e32 v36, v36, v42, vcc
	v_lshlrev_b32_e32 v34, 24, v34
	v_lshlrev_b32_e32 v36, 20, v36
	v_and_b32_e32 v34, 0x80000000, v34
	v_lshl_add_u32 v37, v37, 23, v33
	v_or3_b32 v34, v34, v37, v36
	v_lshrrev_b32_e32 v36, 16, v34
.LBB923_127:                            ;   in Loop: Header=BB923_15 Depth=1
	s_or_b64 exec, exec, s[10:11]
.LBB923_128:                            ;   in Loop: Header=BB923_15 Depth=1
	s_or_b64 exec, exec, s[6:7]
.LBB923_129:                            ;   in Loop: Header=BB923_15 Depth=1
	s_or_b64 exec, exec, s[4:5]
	v_cmp_lt_u32_e32 vcc, s15, v32
	v_mov_b32_e32 v37, 0
	v_mov_b32_e32 v40, 0
	s_and_saveexec_b64 s[4:5], vcc
	s_cbranch_execz .LBB923_135
; %bb.130:                              ;   in Loop: Header=BB923_15 Depth=1
	v_lshrrev_b32_e32 v34, 24, v32
	v_cmp_ne_u32_e32 vcc, s13, v34
	v_mov_b32_e32 v40, 0xffff8000
	s_and_saveexec_b64 s[6:7], vcc
	s_cbranch_execz .LBB923_134
; %bb.131:                              ;   in Loop: Header=BB923_15 Depth=1
	v_bfe_u32 v32, v32, 24, 7
	v_cmp_ne_u32_e32 vcc, s14, v32
	v_mov_b32_e32 v40, 0x7f80
	s_and_saveexec_b64 s[10:11], vcc
	s_cbranch_execz .LBB923_133
; %bb.132:                              ;   in Loop: Header=BB923_15 Depth=1
	v_and_b32_e32 v40, 7, v34
	v_ffbh_u32_e32 v42, v40
	v_min_u32_e32 v45, 32, v42
	v_subrev_u32_e32 v42, 28, v45
	v_lshlrev_b64 v[42:43], v42, v[34:35]
	v_lshrrev_b32_e32 v44, 3, v32
	v_sub_u32_e32 v43, 29, v45
	v_and_b32_e32 v42, 7, v42
	v_cmp_gt_u32_e32 vcc, 8, v32
	v_cndmask_b32_e32 v32, v44, v43, vcc
	v_cndmask_b32_e32 v40, v40, v42, vcc
	v_lshlrev_b32_e32 v34, 24, v34
	v_lshlrev_b32_e32 v40, 20, v40
	v_and_b32_e32 v34, 0x80000000, v34
	v_lshl_add_u32 v32, v32, 23, v33
	v_or3_b32 v32, v34, v32, v40
	v_lshrrev_b32_e32 v40, 16, v32
.LBB923_133:                            ;   in Loop: Header=BB923_15 Depth=1
	s_or_b64 exec, exec, s[10:11]
.LBB923_134:                            ;   in Loop: Header=BB923_15 Depth=1
	s_or_b64 exec, exec, s[6:7]
.LBB923_135:                            ;   in Loop: Header=BB923_15 Depth=1
	s_or_b64 exec, exec, s[4:5]
	s_waitcnt vmcnt(2)
	v_cmp_ne_u16_sdwa s[6:7], v30, v31 src0_sel:BYTE_0 src1_sel:DWORD
	s_and_saveexec_b64 s[4:5], s[6:7]
	s_cbranch_execz .LBB923_141
; %bb.136:                              ;   in Loop: Header=BB923_15 Depth=1
	v_cmp_ne_u16_sdwa s[10:11], v30, s13 src0_sel:BYTE_0 src1_sel:DWORD
	v_mov_b32_e32 v37, 0xffff8000
	s_and_saveexec_b64 s[6:7], s[10:11]
	s_cbranch_execz .LBB923_140
; %bb.137:                              ;   in Loop: Header=BB923_15 Depth=1
	v_and_b32_e32 v32, 0x7f, v30
	v_cmp_ne_u32_e32 vcc, s14, v32
	v_mov_b32_e32 v37, 0x7f80
	s_and_saveexec_b64 s[10:11], vcc
	s_cbranch_execz .LBB923_139
; %bb.138:                              ;   in Loop: Header=BB923_15 Depth=1
	v_and_b32_e32 v34, 7, v30
	v_ffbh_u32_e32 v42, v34
	v_min_u32_e32 v44, 32, v42
	v_subrev_u32_e32 v42, 28, v44
	v_lshlrev_b64 v[42:43], v42, v[30:31]
	v_lshrrev_b32_e32 v37, 3, v32
	v_sub_u32_e32 v43, 29, v44
	v_and_b32_e32 v42, 7, v42
	v_cmp_gt_u32_e32 vcc, 8, v32
	v_cndmask_b32_e32 v32, v37, v43, vcc
	v_cndmask_b32_e32 v34, v34, v42, vcc
	v_lshlrev_b32_e32 v37, 24, v30
	v_lshlrev_b32_e32 v34, 20, v34
	v_and_b32_e32 v37, 0x80000000, v37
	v_lshl_add_u32 v32, v32, 23, v33
	v_or3_b32 v32, v37, v32, v34
	v_lshrrev_b32_e32 v37, 16, v32
.LBB923_139:                            ;   in Loop: Header=BB923_15 Depth=1
	s_or_b64 exec, exec, s[10:11]
.LBB923_140:                            ;   in Loop: Header=BB923_15 Depth=1
	s_or_b64 exec, exec, s[6:7]
.LBB923_141:                            ;   in Loop: Header=BB923_15 Depth=1
	s_or_b64 exec, exec, s[4:5]
	v_lshrrev_b16_e32 v32, 8, v30
	v_cmp_ne_u16_e32 vcc, 0, v32
	v_mov_b32_e32 v43, 0
	v_mov_b32_e32 v42, 0
	s_and_saveexec_b64 s[4:5], vcc
	s_cbranch_execz .LBB923_147
; %bb.142:                              ;   in Loop: Header=BB923_15 Depth=1
	v_cmp_ne_u16_e32 vcc, s13, v32
	v_mov_b32_e32 v42, 0xffff8000
	s_and_saveexec_b64 s[6:7], vcc
	s_cbranch_execz .LBB923_146
; %bb.143:                              ;   in Loop: Header=BB923_15 Depth=1
	v_and_b32_e32 v34, 0x7f, v32
	v_cmp_ne_u32_e32 vcc, s14, v34
	v_mov_b32_e32 v42, 0x7f80
	s_and_saveexec_b64 s[10:11], vcc
	s_cbranch_execz .LBB923_145
; %bb.144:                              ;   in Loop: Header=BB923_15 Depth=1
	v_and_b32_e32 v42, 7, v32
	v_ffbh_u32_e32 v44, v42
	v_min_u32_e32 v47, 32, v44
	v_subrev_u32_e32 v44, 28, v47
	v_lshlrev_b64 v[44:45], v44, v[32:33]
	v_lshrrev_b32_e32 v46, 3, v34
	v_sub_u32_e32 v32, 29, v47
	v_and_b32_e32 v44, 7, v44
	v_cmp_gt_u32_e32 vcc, 8, v34
	v_cndmask_b32_e32 v32, v46, v32, vcc
	v_cndmask_b32_e32 v34, v42, v44, vcc
	v_lshlrev_b32_e32 v42, 16, v30
	v_lshlrev_b32_e32 v34, 20, v34
	v_and_b32_e32 v42, 0x80000000, v42
	v_lshl_add_u32 v32, v32, 23, v33
	v_or3_b32 v32, v42, v32, v34
	v_lshrrev_b32_e32 v42, 16, v32
.LBB923_145:                            ;   in Loop: Header=BB923_15 Depth=1
	s_or_b64 exec, exec, s[10:11]
.LBB923_146:                            ;   in Loop: Header=BB923_15 Depth=1
	s_or_b64 exec, exec, s[6:7]
.LBB923_147:                            ;   in Loop: Header=BB923_15 Depth=1
	s_or_b64 exec, exec, s[4:5]
	v_lshrrev_b32_e32 v32, 16, v30
	v_cmp_ne_u16_sdwa s[6:7], v32, v31 src0_sel:BYTE_0 src1_sel:DWORD
	s_and_saveexec_b64 s[4:5], s[6:7]
	s_cbranch_execz .LBB923_153
; %bb.148:                              ;   in Loop: Header=BB923_15 Depth=1
	v_cmp_ne_u16_sdwa s[10:11], v32, s13 src0_sel:BYTE_0 src1_sel:DWORD
	v_mov_b32_e32 v43, 0xffff8000
	s_and_saveexec_b64 s[6:7], s[10:11]
	s_cbranch_execz .LBB923_152
; %bb.149:                              ;   in Loop: Header=BB923_15 Depth=1
	v_bfe_u32 v34, v30, 16, 7
	v_cmp_ne_u32_e32 vcc, s14, v34
	v_mov_b32_e32 v43, 0x7f80
	s_and_saveexec_b64 s[10:11], vcc
	s_cbranch_execz .LBB923_151
; %bb.150:                              ;   in Loop: Header=BB923_15 Depth=1
	v_and_b32_e32 v43, 7, v32
	v_ffbh_u32_e32 v44, v43
	v_min_u32_e32 v47, 32, v44
	v_subrev_u32_e32 v44, 28, v47
	v_lshlrev_b64 v[44:45], v44, v[32:33]
	v_lshrrev_b32_e32 v46, 3, v34
	v_sub_u32_e32 v45, 29, v47
	v_and_b32_e32 v44, 7, v44
	v_cmp_gt_u32_e32 vcc, 8, v34
	v_cndmask_b32_e32 v34, v46, v45, vcc
	v_cndmask_b32_e32 v43, v43, v44, vcc
	v_lshlrev_b32_e32 v32, 24, v32
	v_lshlrev_b32_e32 v43, 20, v43
	v_and_b32_e32 v32, 0x80000000, v32
	v_lshl_add_u32 v34, v34, 23, v33
	v_or3_b32 v32, v32, v34, v43
	v_lshrrev_b32_e32 v43, 16, v32
.LBB923_151:                            ;   in Loop: Header=BB923_15 Depth=1
	s_or_b64 exec, exec, s[10:11]
.LBB923_152:                            ;   in Loop: Header=BB923_15 Depth=1
	s_or_b64 exec, exec, s[6:7]
.LBB923_153:                            ;   in Loop: Header=BB923_15 Depth=1
	s_or_b64 exec, exec, s[4:5]
	v_cmp_lt_u32_e32 vcc, s15, v30
	v_mov_b32_e32 v34, 0
	v_mov_b32_e32 v44, 0
	s_and_saveexec_b64 s[4:5], vcc
	s_cbranch_execz .LBB923_159
; %bb.154:                              ;   in Loop: Header=BB923_15 Depth=1
	v_lshrrev_b32_e32 v32, 24, v30
	v_cmp_ne_u32_e32 vcc, s13, v32
	v_mov_b32_e32 v44, 0xffff8000
	s_and_saveexec_b64 s[6:7], vcc
	s_cbranch_execz .LBB923_158
; %bb.155:                              ;   in Loop: Header=BB923_15 Depth=1
	v_bfe_u32 v30, v30, 24, 7
	v_cmp_ne_u32_e32 vcc, s14, v30
	v_mov_b32_e32 v44, 0x7f80
	s_and_saveexec_b64 s[10:11], vcc
	s_cbranch_execz .LBB923_157
; %bb.156:                              ;   in Loop: Header=BB923_15 Depth=1
	v_and_b32_e32 v46, 7, v32
	v_ffbh_u32_e32 v44, v46
	v_min_u32_e32 v48, 32, v44
	v_subrev_u32_e32 v44, 28, v48
	v_lshlrev_b64 v[44:45], v44, v[32:33]
	v_lshrrev_b32_e32 v47, 3, v30
	v_sub_u32_e32 v45, 29, v48
	v_and_b32_e32 v44, 7, v44
	v_cmp_gt_u32_e32 vcc, 8, v30
	v_cndmask_b32_e32 v30, v47, v45, vcc
	v_cndmask_b32_e32 v44, v46, v44, vcc
	v_lshlrev_b32_e32 v32, 24, v32
	v_lshlrev_b32_e32 v44, 20, v44
	v_and_b32_e32 v32, 0x80000000, v32
	v_lshl_add_u32 v30, v30, 23, v33
	v_or3_b32 v30, v32, v30, v44
	v_lshrrev_b32_e32 v44, 16, v30
.LBB923_157:                            ;   in Loop: Header=BB923_15 Depth=1
	s_or_b64 exec, exec, s[10:11]
.LBB923_158:                            ;   in Loop: Header=BB923_15 Depth=1
	s_or_b64 exec, exec, s[6:7]
.LBB923_159:                            ;   in Loop: Header=BB923_15 Depth=1
	s_or_b64 exec, exec, s[4:5]
	v_perm_b32 v47, v40, v36, s16
	v_perm_b32 v46, v35, v23, s16
	;; [unrolled: 1-line block ×4, first 2 shown]
	s_waitcnt vmcnt(1)
	v_cmp_ne_u16_sdwa s[6:7], v28, v31 src0_sel:BYTE_0 src1_sel:DWORD
	v_mfma_f32_16x16x16bf16_1k v[18:21], v[46:47], v[10:11], v[18:21]
	v_mfma_f32_16x16x16bf16_1k v[18:21], v[42:43], v[12:13], v[18:21]
	s_and_saveexec_b64 s[4:5], s[6:7]
	s_cbranch_execz .LBB923_165
; %bb.160:                              ;   in Loop: Header=BB923_15 Depth=1
	v_cmp_ne_u16_sdwa s[10:11], v28, s13 src0_sel:BYTE_0 src1_sel:DWORD
	v_mov_b32_e32 v34, 0xffff8000
	s_and_saveexec_b64 s[6:7], s[10:11]
	s_cbranch_execz .LBB923_164
; %bb.161:                              ;   in Loop: Header=BB923_15 Depth=1
	v_and_b32_e32 v23, 0x7f, v28
	v_cmp_ne_u32_e32 vcc, s14, v23
	v_mov_b32_e32 v34, 0x7f80
	s_and_saveexec_b64 s[10:11], vcc
	s_cbranch_execz .LBB923_163
; %bb.162:                              ;   in Loop: Header=BB923_15 Depth=1
	v_and_b32_e32 v30, 7, v28
	v_ffbh_u32_e32 v34, v30
	v_min_u32_e32 v36, 32, v34
	v_subrev_u32_e32 v34, 28, v36
	v_lshlrev_b64 v[34:35], v34, v[28:29]
	v_lshrrev_b32_e32 v32, 3, v23
	v_sub_u32_e32 v35, 29, v36
	v_and_b32_e32 v34, 7, v34
	v_cmp_gt_u32_e32 vcc, 8, v23
	v_cndmask_b32_e32 v23, v32, v35, vcc
	v_cndmask_b32_e32 v30, v30, v34, vcc
	v_lshlrev_b32_e32 v32, 24, v28
	v_lshlrev_b32_e32 v30, 20, v30
	v_and_b32_e32 v32, 0x80000000, v32
	v_lshl_add_u32 v23, v23, 23, v33
	v_or3_b32 v23, v32, v23, v30
	v_lshrrev_b32_e32 v34, 16, v23
.LBB923_163:                            ;   in Loop: Header=BB923_15 Depth=1
	s_or_b64 exec, exec, s[10:11]
.LBB923_164:                            ;   in Loop: Header=BB923_15 Depth=1
	s_or_b64 exec, exec, s[6:7]
.LBB923_165:                            ;   in Loop: Header=BB923_15 Depth=1
	s_or_b64 exec, exec, s[4:5]
	v_lshrrev_b16_e32 v30, 8, v28
	v_cmp_ne_u16_e32 vcc, 0, v30
	v_mov_b32_e32 v32, 0
	v_mov_b32_e32 v23, 0
	s_and_saveexec_b64 s[4:5], vcc
	s_cbranch_execz .LBB923_171
; %bb.166:                              ;   in Loop: Header=BB923_15 Depth=1
	v_cmp_ne_u16_e32 vcc, s13, v30
	v_mov_b32_e32 v23, 0xffff8000
	s_and_saveexec_b64 s[6:7], vcc
	s_cbranch_execz .LBB923_170
; %bb.167:                              ;   in Loop: Header=BB923_15 Depth=1
	v_and_b32_e32 v35, 0x7f, v30
	v_cmp_ne_u32_e32 vcc, s14, v35
	v_mov_b32_e32 v23, 0x7f80
	s_and_saveexec_b64 s[10:11], vcc
	s_cbranch_execz .LBB923_169
; %bb.168:                              ;   in Loop: Header=BB923_15 Depth=1
	v_and_b32_e32 v23, 7, v30
	v_ffbh_u32_e32 v36, v23
	v_min_u32_e32 v42, 32, v36
	v_subrev_u32_e32 v36, 28, v42
	v_lshlrev_b64 v[36:37], v36, v[30:31]
	v_lshrrev_b32_e32 v40, 3, v35
	v_sub_u32_e32 v30, 29, v42
	v_and_b32_e32 v36, 7, v36
	v_cmp_gt_u32_e32 vcc, 8, v35
	v_cndmask_b32_e32 v30, v40, v30, vcc
	v_cndmask_b32_e32 v23, v23, v36, vcc
	v_lshlrev_b32_e32 v35, 16, v28
	v_lshlrev_b32_e32 v23, 20, v23
	v_and_b32_e32 v35, 0x80000000, v35
	v_lshl_add_u32 v30, v30, 23, v33
	v_or3_b32 v23, v35, v30, v23
	v_lshrrev_b32_e32 v23, 16, v23
.LBB923_169:                            ;   in Loop: Header=BB923_15 Depth=1
	s_or_b64 exec, exec, s[10:11]
.LBB923_170:                            ;   in Loop: Header=BB923_15 Depth=1
	s_or_b64 exec, exec, s[6:7]
.LBB923_171:                            ;   in Loop: Header=BB923_15 Depth=1
	s_or_b64 exec, exec, s[4:5]
	v_lshrrev_b32_e32 v30, 16, v28
	v_cmp_ne_u16_sdwa s[6:7], v30, v31 src0_sel:BYTE_0 src1_sel:DWORD
	s_and_saveexec_b64 s[4:5], s[6:7]
	s_cbranch_execz .LBB923_177
; %bb.172:                              ;   in Loop: Header=BB923_15 Depth=1
	v_cmp_ne_u16_sdwa s[10:11], v30, s13 src0_sel:BYTE_0 src1_sel:DWORD
	v_mov_b32_e32 v32, 0xffff8000
	s_and_saveexec_b64 s[6:7], s[10:11]
	s_cbranch_execz .LBB923_176
; %bb.173:                              ;   in Loop: Header=BB923_15 Depth=1
	v_bfe_u32 v35, v28, 16, 7
	v_cmp_ne_u32_e32 vcc, s14, v35
	v_mov_b32_e32 v32, 0x7f80
	s_and_saveexec_b64 s[10:11], vcc
	s_cbranch_execz .LBB923_175
; %bb.174:                              ;   in Loop: Header=BB923_15 Depth=1
	v_and_b32_e32 v32, 7, v30
	v_ffbh_u32_e32 v36, v32
	v_min_u32_e32 v42, 32, v36
	v_subrev_u32_e32 v36, 28, v42
	v_lshlrev_b64 v[36:37], v36, v[30:31]
	v_lshrrev_b32_e32 v40, 3, v35
	v_sub_u32_e32 v37, 29, v42
	v_and_b32_e32 v36, 7, v36
	v_cmp_gt_u32_e32 vcc, 8, v35
	v_cndmask_b32_e32 v35, v40, v37, vcc
	v_cndmask_b32_e32 v32, v32, v36, vcc
	v_lshlrev_b32_e32 v30, 24, v30
	v_lshlrev_b32_e32 v32, 20, v32
	v_and_b32_e32 v30, 0x80000000, v30
	v_lshl_add_u32 v35, v35, 23, v33
	v_or3_b32 v30, v30, v35, v32
	v_lshrrev_b32_e32 v32, 16, v30
.LBB923_175:                            ;   in Loop: Header=BB923_15 Depth=1
	s_or_b64 exec, exec, s[10:11]
.LBB923_176:                            ;   in Loop: Header=BB923_15 Depth=1
	s_or_b64 exec, exec, s[6:7]
.LBB923_177:                            ;   in Loop: Header=BB923_15 Depth=1
	s_or_b64 exec, exec, s[4:5]
	v_cmp_lt_u32_e32 vcc, s15, v28
	v_mov_b32_e32 v35, 0
	v_mov_b32_e32 v36, 0
	s_and_saveexec_b64 s[4:5], vcc
	s_cbranch_execz .LBB923_183
; %bb.178:                              ;   in Loop: Header=BB923_15 Depth=1
	v_lshrrev_b32_e32 v30, 24, v28
	v_cmp_ne_u32_e32 vcc, s13, v30
	v_mov_b32_e32 v36, 0xffff8000
	s_and_saveexec_b64 s[6:7], vcc
	s_cbranch_execz .LBB923_182
; %bb.179:                              ;   in Loop: Header=BB923_15 Depth=1
	v_bfe_u32 v28, v28, 24, 7
	v_cmp_ne_u32_e32 vcc, s14, v28
	v_mov_b32_e32 v36, 0x7f80
	s_and_saveexec_b64 s[10:11], vcc
	s_cbranch_execz .LBB923_181
; %bb.180:                              ;   in Loop: Header=BB923_15 Depth=1
	v_and_b32_e32 v40, 7, v30
	v_ffbh_u32_e32 v36, v40
	v_min_u32_e32 v43, 32, v36
	v_subrev_u32_e32 v36, 28, v43
	v_lshlrev_b64 v[36:37], v36, v[30:31]
	v_lshrrev_b32_e32 v42, 3, v28
	v_sub_u32_e32 v37, 29, v43
	v_and_b32_e32 v36, 7, v36
	v_cmp_gt_u32_e32 vcc, 8, v28
	v_cndmask_b32_e32 v28, v42, v37, vcc
	v_cndmask_b32_e32 v36, v40, v36, vcc
	v_lshlrev_b32_e32 v30, 24, v30
	v_lshlrev_b32_e32 v36, 20, v36
	v_and_b32_e32 v30, 0x80000000, v30
	v_lshl_add_u32 v28, v28, 23, v33
	v_or3_b32 v28, v30, v28, v36
	v_lshrrev_b32_e32 v36, 16, v28
.LBB923_181:                            ;   in Loop: Header=BB923_15 Depth=1
	s_or_b64 exec, exec, s[10:11]
.LBB923_182:                            ;   in Loop: Header=BB923_15 Depth=1
	s_or_b64 exec, exec, s[6:7]
.LBB923_183:                            ;   in Loop: Header=BB923_15 Depth=1
	s_or_b64 exec, exec, s[4:5]
	s_waitcnt vmcnt(0)
	v_cmp_ne_u16_sdwa s[6:7], v26, v31 src0_sel:BYTE_0 src1_sel:DWORD
	s_and_saveexec_b64 s[4:5], s[6:7]
	s_cbranch_execz .LBB923_189
; %bb.184:                              ;   in Loop: Header=BB923_15 Depth=1
	v_cmp_ne_u16_sdwa s[10:11], v26, s13 src0_sel:BYTE_0 src1_sel:DWORD
	v_mov_b32_e32 v35, 0xffff8000
	s_and_saveexec_b64 s[6:7], s[10:11]
	s_cbranch_execz .LBB923_188
; %bb.185:                              ;   in Loop: Header=BB923_15 Depth=1
	v_and_b32_e32 v28, 0x7f, v26
	v_cmp_ne_u32_e32 vcc, s14, v28
	v_mov_b32_e32 v35, 0x7f80
	s_and_saveexec_b64 s[10:11], vcc
	s_cbranch_execz .LBB923_187
; %bb.186:                              ;   in Loop: Header=BB923_15 Depth=1
	v_and_b32_e32 v30, 7, v26
	v_ffbh_u32_e32 v37, v30
	v_min_u32_e32 v37, 32, v37
	v_subrev_u32_e32 v40, 28, v37
	v_lshlrev_b64 v[42:43], v40, v[26:27]
	v_lshrrev_b32_e32 v35, 3, v28
	v_sub_u32_e32 v37, 29, v37
	v_and_b32_e32 v40, 7, v42
	v_cmp_gt_u32_e32 vcc, 8, v28
	v_cndmask_b32_e32 v28, v35, v37, vcc
	v_cndmask_b32_e32 v30, v30, v40, vcc
	v_lshlrev_b32_e32 v35, 24, v26
	v_lshlrev_b32_e32 v30, 20, v30
	v_and_b32_e32 v35, 0x80000000, v35
	v_lshl_add_u32 v28, v28, 23, v33
	v_or3_b32 v28, v35, v28, v30
	v_lshrrev_b32_e32 v35, 16, v28
.LBB923_187:                            ;   in Loop: Header=BB923_15 Depth=1
	s_or_b64 exec, exec, s[10:11]
.LBB923_188:                            ;   in Loop: Header=BB923_15 Depth=1
	s_or_b64 exec, exec, s[6:7]
.LBB923_189:                            ;   in Loop: Header=BB923_15 Depth=1
	s_or_b64 exec, exec, s[4:5]
	v_lshrrev_b16_e32 v28, 8, v26
	v_cmp_ne_u16_e32 vcc, 0, v28
	v_mov_b32_e32 v37, 0
	v_mov_b32_e32 v30, 0
	s_and_saveexec_b64 s[4:5], vcc
	s_cbranch_execz .LBB923_195
; %bb.190:                              ;   in Loop: Header=BB923_15 Depth=1
	v_cmp_ne_u16_e32 vcc, s13, v28
	v_mov_b32_e32 v30, 0xffff8000
	s_and_saveexec_b64 s[6:7], vcc
	s_cbranch_execz .LBB923_194
; %bb.191:                              ;   in Loop: Header=BB923_15 Depth=1
	v_and_b32_e32 v40, 0x7f, v28
	v_cmp_ne_u32_e32 vcc, s14, v40
	v_mov_b32_e32 v30, 0x7f80
	s_and_saveexec_b64 s[10:11], vcc
	s_cbranch_execz .LBB923_193
; %bb.192:                              ;   in Loop: Header=BB923_15 Depth=1
	v_and_b32_e32 v30, 7, v28
	v_ffbh_u32_e32 v42, v30
	v_min_u32_e32 v45, 32, v42
	v_subrev_u32_e32 v42, 28, v45
	v_lshlrev_b64 v[42:43], v42, v[28:29]
	v_lshrrev_b32_e32 v44, 3, v40
	v_sub_u32_e32 v28, 29, v45
	v_and_b32_e32 v42, 7, v42
	v_cmp_gt_u32_e32 vcc, 8, v40
	v_cndmask_b32_e32 v28, v44, v28, vcc
	v_cndmask_b32_e32 v30, v30, v42, vcc
	v_lshlrev_b32_e32 v40, 16, v26
	v_lshlrev_b32_e32 v30, 20, v30
	v_and_b32_e32 v40, 0x80000000, v40
	v_lshl_add_u32 v28, v28, 23, v33
	v_or3_b32 v28, v40, v28, v30
	v_lshrrev_b32_e32 v30, 16, v28
.LBB923_193:                            ;   in Loop: Header=BB923_15 Depth=1
	s_or_b64 exec, exec, s[10:11]
.LBB923_194:                            ;   in Loop: Header=BB923_15 Depth=1
	s_or_b64 exec, exec, s[6:7]
.LBB923_195:                            ;   in Loop: Header=BB923_15 Depth=1
	s_or_b64 exec, exec, s[4:5]
	v_lshrrev_b32_e32 v28, 16, v26
	v_cmp_ne_u16_sdwa s[6:7], v28, v31 src0_sel:BYTE_0 src1_sel:DWORD
	s_and_saveexec_b64 s[4:5], s[6:7]
	s_cbranch_execz .LBB923_201
; %bb.196:                              ;   in Loop: Header=BB923_15 Depth=1
	v_cmp_ne_u16_sdwa s[10:11], v28, s13 src0_sel:BYTE_0 src1_sel:DWORD
	v_mov_b32_e32 v37, 0xffff8000
	s_and_saveexec_b64 s[6:7], s[10:11]
	s_cbranch_execz .LBB923_200
; %bb.197:                              ;   in Loop: Header=BB923_15 Depth=1
	v_bfe_u32 v40, v26, 16, 7
	v_cmp_ne_u32_e32 vcc, s14, v40
	v_mov_b32_e32 v37, 0x7f80
	s_and_saveexec_b64 s[10:11], vcc
	s_cbranch_execz .LBB923_199
; %bb.198:                              ;   in Loop: Header=BB923_15 Depth=1
	v_and_b32_e32 v37, 7, v28
	v_ffbh_u32_e32 v42, v37
	v_min_u32_e32 v45, 32, v42
	v_subrev_u32_e32 v42, 28, v45
	v_lshlrev_b64 v[42:43], v42, v[28:29]
	v_lshrrev_b32_e32 v44, 3, v40
	v_sub_u32_e32 v43, 29, v45
	v_and_b32_e32 v42, 7, v42
	v_cmp_gt_u32_e32 vcc, 8, v40
	v_cndmask_b32_e32 v40, v44, v43, vcc
	v_cndmask_b32_e32 v37, v37, v42, vcc
	v_lshlrev_b32_e32 v28, 24, v28
	v_lshlrev_b32_e32 v37, 20, v37
	v_and_b32_e32 v28, 0x80000000, v28
	v_lshl_add_u32 v40, v40, 23, v33
	v_or3_b32 v28, v28, v40, v37
	v_lshrrev_b32_e32 v37, 16, v28
.LBB923_199:                            ;   in Loop: Header=BB923_15 Depth=1
	s_or_b64 exec, exec, s[10:11]
.LBB923_200:                            ;   in Loop: Header=BB923_15 Depth=1
	s_or_b64 exec, exec, s[6:7]
.LBB923_201:                            ;   in Loop: Header=BB923_15 Depth=1
	s_or_b64 exec, exec, s[4:5]
	v_cmp_lt_u32_e32 vcc, s15, v26
	v_mov_b32_e32 v40, 0
	s_and_saveexec_b64 s[4:5], vcc
	s_cbranch_execz .LBB923_14
; %bb.202:                              ;   in Loop: Header=BB923_15 Depth=1
	v_lshrrev_b32_e32 v28, 24, v26
	v_cmp_ne_u32_e32 vcc, s13, v28
	v_mov_b32_e32 v40, 0xffff8000
	s_and_saveexec_b64 s[6:7], vcc
	s_cbranch_execz .LBB923_13
; %bb.203:                              ;   in Loop: Header=BB923_15 Depth=1
	v_bfe_u32 v26, v26, 24, 7
	v_cmp_ne_u32_e32 vcc, s14, v26
	v_mov_b32_e32 v40, 0x7f80
	s_and_saveexec_b64 s[10:11], vcc
	s_cbranch_execz .LBB923_12
; %bb.204:                              ;   in Loop: Header=BB923_15 Depth=1
	v_and_b32_e32 v40, 7, v28
	v_ffbh_u32_e32 v42, v40
	v_min_u32_e32 v45, 32, v42
	v_subrev_u32_e32 v42, 28, v45
	v_lshlrev_b64 v[42:43], v42, v[28:29]
	v_lshrrev_b32_e32 v44, 3, v26
	v_sub_u32_e32 v43, 29, v45
	v_and_b32_e32 v42, 7, v42
	v_cmp_gt_u32_e32 vcc, 8, v26
	v_cndmask_b32_e32 v26, v44, v43, vcc
	v_cndmask_b32_e32 v40, v40, v42, vcc
	v_lshlrev_b32_e32 v28, 24, v28
	v_lshlrev_b32_e32 v40, 20, v40
	v_and_b32_e32 v28, 0x80000000, v28
	v_lshl_add_u32 v26, v26, 23, v33
	v_or3_b32 v26, v28, v26, v40
	v_lshrrev_b32_e32 v40, 16, v26
	s_branch .LBB923_12
.LBB923_205:
	buffer_load_dword v13, off, s[0:3], 0 offset:256
	buffer_load_dword v14, off, s[0:3], 0 offset:260
	;; [unrolled: 1-line block ×16, first 2 shown]
	v_and_b32_e32 v12, 0xc0, v0
	v_add_u32_e32 v12, s20, v12
	v_lshl_or_b32 v12, v1, 2, v12
	v_or_b32_e32 v23, 1, v12
	v_mov_b32_e32 v19, 0xff7fffff
	v_or_b32_e32 v24, 2, v12
	v_or_b32_e32 v25, 3, v12
	v_cmp_gt_i32_e64 s[26:27], s33, v12
	v_cmp_gt_i32_e64 s[28:29], s33, v23
	s_mov_b32 s52, 0xff7fffff
	v_or_b32_e32 v26, 16, v12
	v_or_b32_e32 v27, 17, v12
	;; [unrolled: 1-line block ×12, first 2 shown]
	v_cmp_gt_i32_e64 s[30:31], s33, v24
	v_cmp_gt_i32_e64 s[34:35], s33, v25
	v_mbcnt_lo_u32_b32 v20, -1, 0
	v_cmp_gt_i32_e64 s[36:37], s33, v26
	v_cmp_gt_i32_e64 s[38:39], s33, v27
	v_mbcnt_hi_u32_b32 v20, -1, v20
	v_cmp_gt_i32_e64 s[20:21], s33, v28
	v_cmp_gt_i32_e64 s[22:23], s33, v29
	v_and_b32_e32 v21, 64, v20
	v_cmp_gt_i32_e64 s[16:17], s33, v30
	v_cmp_gt_i32_e64 s[18:19], s33, v31
	v_xor_b32_e32 v22, 32, v20
	v_add_u32_e32 v21, 64, v21
	v_cmp_gt_i32_e64 s[12:13], s33, v32
	v_cmp_gt_i32_e64 s[14:15], s33, v33
	v_cmp_lt_i32_e32 vcc, v22, v21
	v_cmp_gt_i32_e64 s[6:7], s33, v34
	v_cmp_gt_i32_e64 s[10:11], s33, v35
	v_cndmask_b32_e32 v22, v20, v22, vcc
	v_cmp_gt_i32_e32 vcc, s33, v36
	v_cmp_gt_i32_e64 s[4:5], s33, v37
	v_lshlrev_b32_e32 v22, 2, v22
	s_waitcnt vmcnt(15)
	v_cndmask_b32_e64 v12, v19, v13, s[26:27]
	s_waitcnt vmcnt(14)
	v_cndmask_b32_e64 v23, v19, v14, s[28:29]
	;; [unrolled: 2-line block ×4, first 2 shown]
	v_max3_f32 v12, v12, s52, v23
	s_waitcnt vmcnt(11)
	v_cndmask_b32_e64 v26, v19, v17, s[36:37]
	s_waitcnt vmcnt(10)
	v_cndmask_b32_e64 v27, v19, v18, s[38:39]
	v_max3_f32 v12, v12, v24, v25
	s_waitcnt vmcnt(9)
	v_cndmask_b32_e64 v28, v19, v11, s[20:21]
	s_waitcnt vmcnt(8)
	v_cndmask_b32_e64 v29, v19, v10, s[22:23]
	;; [unrolled: 5-line block ×5, first 2 shown]
	v_max3_f32 v12, v12, v32, v33
	s_waitcnt vmcnt(1)
	v_cndmask_b32_e32 v36, v19, v3, vcc
	s_waitcnt vmcnt(0)
	v_cndmask_b32_e64 v19, v19, v2, s[4:5]
	v_max3_f32 v12, v12, v34, v35
	v_max3_f32 v12, v12, v36, v19
	ds_bpermute_b32 v19, v22, v12
	v_xor_b32_e32 v23, 16, v20
	v_cmp_lt_i32_e64 s[40:41], v23, v21
	v_cndmask_b32_e64 v20, v20, v23, s[40:41]
	v_lshlrev_b32_e32 v20, 2, v20
	s_waitcnt lgkmcnt(0)
	v_max_f32_e32 v19, v19, v19
	v_max_f32_e32 v12, v12, v19
	ds_bpermute_b32 v19, v20, v12
	s_waitcnt lgkmcnt(0)
	v_max_f32_e32 v19, v19, v19
	v_max_f32_e32 v12, v12, v19
	v_sub_f32_e32 v13, v13, v12
	v_sub_f32_e32 v14, v14, v12
	;; [unrolled: 1-line block ×3, first 2 shown]
	v_mul_f32_e32 v13, 0x3fb8aa3b, v13
	v_mul_f32_e32 v14, 0x3fb8aa3b, v14
	;; [unrolled: 1-line block ×3, first 2 shown]
	v_exp_f32_e32 v13, v13
	v_exp_f32_e32 v14, v14
	;; [unrolled: 1-line block ×3, first 2 shown]
	v_sub_f32_e32 v16, v16, v12
	v_cndmask_b32_e64 v13, 0, v13, s[26:27]
	v_mul_f32_e32 v16, 0x3fb8aa3b, v16
	v_cndmask_b32_e64 v14, 0, v14, s[28:29]
	v_cndmask_b32_e64 v15, 0, v15, s[30:31]
	v_add_f32_e32 v19, 0, v13
	buffer_store_dword v13, off, s[0:3], 0 offset:256
	buffer_store_dword v14, off, s[0:3], 0 offset:260
	;; [unrolled: 1-line block ×3, first 2 shown]
	v_sub_f32_e32 v13, v17, v12
	v_exp_f32_e32 v16, v16
	v_add_f32_e32 v19, v19, v14
	v_mul_f32_e32 v13, 0x3fb8aa3b, v13
	v_sub_f32_e32 v14, v18, v12
	v_exp_f32_e32 v13, v13
	v_mul_f32_e32 v14, 0x3fb8aa3b, v14
	v_sub_f32_e32 v11, v11, v12
	v_exp_f32_e32 v14, v14
	;; [unrolled: 3-line block ×3, first 2 shown]
	v_mul_f32_e32 v10, 0x3fb8aa3b, v10
	v_sub_f32_e32 v9, v9, v12
	v_cndmask_b32_e64 v16, 0, v16, s[34:35]
	v_add_f32_e32 v19, v19, v15
	v_exp_f32_e32 v10, v10
	v_mul_f32_e32 v9, 0x3fb8aa3b, v9
	v_sub_f32_e32 v8, v8, v12
	v_add_f32_e32 v19, v19, v16
	v_cndmask_b32_e64 v13, 0, v13, s[36:37]
	v_exp_f32_e32 v9, v9
	v_mul_f32_e32 v8, 0x3fb8aa3b, v8
	v_sub_f32_e32 v7, v7, v12
	v_add_f32_e32 v15, v19, v13
	v_cndmask_b32_e64 v14, 0, v14, s[38:39]
	;; [unrolled: 5-line block ×5, first 2 shown]
	v_exp_f32_e32 v5, v5
	v_mul_f32_e32 v4, 0x3fb8aa3b, v4
	v_sub_f32_e32 v3, v3, v12
	buffer_store_dword v16, off, s[0:3], 0 offset:268
	buffer_store_dword v13, off, s[0:3], 0 offset:272
	;; [unrolled: 1-line block ×5, first 2 shown]
	v_add_f32_e32 v10, v15, v9
	v_cndmask_b32_e64 v8, 0, v8, s[18:19]
	v_exp_f32_e32 v4, v4
	v_mul_f32_e32 v3, 0x3fb8aa3b, v3
	v_sub_f32_e32 v2, v2, v12
	v_add_f32_e32 v10, v10, v8
	v_cndmask_b32_e64 v7, 0, v7, s[12:13]
	v_exp_f32_e32 v3, v3
	v_mul_f32_e32 v2, 0x3fb8aa3b, v2
	v_add_f32_e32 v10, v10, v7
	v_cndmask_b32_e64 v6, 0, v6, s[14:15]
	v_exp_f32_e32 v2, v2
	v_add_f32_e32 v10, v10, v6
	v_cndmask_b32_e64 v5, 0, v5, s[6:7]
	buffer_store_dword v9, off, s[0:3], 0 offset:288
	buffer_store_dword v8, off, s[0:3], 0 offset:292
	;; [unrolled: 1-line block ×4, first 2 shown]
	v_add_f32_e32 v6, v10, v5
	v_cndmask_b32_e64 v4, 0, v4, s[10:11]
	v_add_f32_e32 v6, v6, v4
	v_cndmask_b32_e32 v3, 0, v3, vcc
	v_add_f32_e32 v6, v6, v3
	v_cndmask_b32_e64 v2, 0, v2, s[4:5]
	v_add_f32_e32 v6, v6, v2
	ds_bpermute_b32 v7, v22, v6
	buffer_store_dword v5, off, s[0:3], 0 offset:304
	buffer_store_dword v4, off, s[0:3], 0 offset:308
	;; [unrolled: 1-line block ×4, first 2 shown]
	v_cmp_gt_u32_e32 vcc, 16, v38
	s_waitcnt lgkmcnt(0)
	s_barrier
	v_add_f32_e32 v2, v6, v7
	ds_bpermute_b32 v3, v20, v2
	s_waitcnt lgkmcnt(0)
	s_and_saveexec_b64 s[4:5], vcc
	s_cbranch_execz .LBB923_207
; %bb.206:
	v_add_f32_e32 v2, v2, v3
	v_lshlrev_b32_e32 v3, 2, v63
	ds_write2st64_b32 v3, v12, v2 offset1:1
.LBB923_207:
	s_or_b64 exec, exec, s[4:5]
	v_lshlrev_b32_e32 v2, 2, v55
	s_waitcnt lgkmcnt(0)
	s_barrier
	ds_read2_b32 v[14:15], v2 offset1:16
	ds_read2_b32 v[16:17], v2 offset0:32 offset1:48
	ds_read2_b32 v[6:7], v2 offset0:64 offset1:80
	;; [unrolled: 1-line block ×3, first 2 shown]
	s_waitcnt lgkmcnt(0)
	s_barrier
	buffer_load_dword v22, off, s[0:3], 0 offset:264
	buffer_load_dword v23, off, s[0:3], 0 offset:268
	;; [unrolled: 1-line block ×16, first 2 shown]
	v_max3_f32 v20, v14, s52, v15
	v_max3_f32 v20, v20, v16, v17
	v_sub_f32_e32 v14, v14, v20
	v_sub_f32_e32 v15, v15, v20
	v_mul_f32_e32 v14, 0x3fb8aa3b, v14
	v_sub_f32_e32 v16, v16, v20
	v_mul_f32_e32 v15, 0x3fb8aa3b, v15
	v_exp_f32_e32 v14, v14
	v_sub_f32_e32 v17, v17, v20
	v_mul_f32_e32 v16, 0x3fb8aa3b, v16
	v_exp_f32_e32 v15, v15
	v_mul_f32_e32 v17, 0x3fb8aa3b, v17
	v_exp_f32_e32 v16, v16
	v_exp_f32_e32 v17, v17
	v_fma_f32 v6, v14, v6, 0
	v_fmac_f32_e32 v6, v15, v7
	v_fmac_f32_e32 v6, v16, v12
	;; [unrolled: 1-line block ×3, first 2 shown]
	v_cmp_eq_u32_e32 vcc, 1, v62
	v_add_f32_e32 v12, 0x358637bd, v6
	v_cndmask_b32_e32 v14, v14, v15, vcc
	v_cmp_eq_u32_e32 vcc, 2, v62
	v_div_scale_f32 v13, s[4:5], v12, v12, 1.0
	v_cndmask_b32_e32 v7, v14, v16, vcc
	v_rcp_f32_e32 v14, v13
	v_cmp_eq_u32_e32 vcc, 3, v62
	v_cndmask_b32_e32 v7, v7, v17, vcc
	v_div_scale_f32 v15, vcc, 1.0, v12, 1.0
	v_fma_f32 v16, -v13, v14, 1.0
	v_fmac_f32_e32 v14, v16, v14
	v_mul_f32_e32 v16, v15, v14
	v_fma_f32 v17, -v13, v16, v15
	v_fmac_f32_e32 v16, v17, v14
	v_fma_f32 v13, -v13, v16, v15
	v_div_fmas_f32 v13, v13, v14, v16
	v_div_fixup_f32 v12, v13, v12, 1.0
	v_mul_f32_e32 v12, v7, v12
	s_movk_i32 s19, 0x7fff
	s_mov_b32 s20, 0x7060302
	s_mul_i32 s18, s51, 14
	v_cmp_gt_u32_e32 vcc, 14, v0
	s_waitcnt vmcnt(14)
	v_pk_mul_f32 v[14:15], v[12:13], v[22:23] op_sel_hi:[0,1]
	v_bfe_u32 v21, v15, 16, 1
	s_waitcnt vmcnt(12)
	v_pk_mul_f32 v[16:17], v[12:13], v[24:25] op_sel_hi:[0,1]
	v_bfe_u32 v7, v17, 16, 1
	v_bfe_u32 v13, v16, 16, 1
	;; [unrolled: 1-line block ×3, first 2 shown]
	v_add3_u32 v13, v16, v13, s19
	v_add3_u32 v7, v17, v7, s19
	buffer_store_dword v16, off, s[0:3], 0 offset:256
	buffer_store_dword v17, off, s[0:3], 0 offset:260
	;; [unrolled: 1-line block ×4, first 2 shown]
	v_add3_u32 v16, v14, v22, s19
	v_add3_u32 v15, v15, v21, s19
	v_perm_b32 v14, v7, v13, s20
	v_lshlrev_b32_e32 v13, 3, v1
	v_perm_b32 v15, v15, v16, s20
	v_lshlrev_b32_e32 v7, 5, v55
	v_lshlrev_b32_e32 v16, 11, v62
	s_waitcnt vmcnt(12)
	v_pk_mul_f32 v[8:9], v[12:13], v[8:9] op_sel_hi:[0,1]
	v_or3_b32 v43, v16, v7, v13
	v_pk_mul_f32 v[10:11], v[12:13], v[10:11] op_sel_hi:[0,1]
	v_bfe_u32 v13, v9, 16, 1
	v_bfe_u32 v16, v8, 16, 1
	buffer_store_dword v8, off, s[0:3], 0 offset:272
	buffer_store_dword v9, off, s[0:3], 0 offset:276
	;; [unrolled: 1-line block ×4, first 2 shown]
	v_add3_u32 v8, v8, v16, s19
	v_add3_u32 v9, v9, v13, s19
	v_perm_b32 v8, v9, v8, s20
	v_bfe_u32 v9, v11, 16, 1
	v_bfe_u32 v13, v10, 16, 1
	v_add3_u32 v10, v10, v13, s19
	v_add3_u32 v9, v11, v9, s19
	v_perm_b32 v9, v9, v10, s20
	s_waitcnt vmcnt(14)
	v_pk_mul_f32 v[10:11], v[12:13], v[18:19] op_sel_hi:[0,1]
	ds_write2st64_b64 v43, v[14:15], v[8:9] offset1:1
	s_waitcnt vmcnt(12)
	v_pk_mul_f32 v[8:9], v[12:13], v[26:27] op_sel_hi:[0,1]
	v_bfe_u32 v13, v11, 16, 1
	v_bfe_u32 v14, v10, 16, 1
	buffer_store_dword v10, off, s[0:3], 0 offset:288
	buffer_store_dword v11, off, s[0:3], 0 offset:292
	;; [unrolled: 1-line block ×4, first 2 shown]
	v_add3_u32 v10, v10, v14, s19
	v_add3_u32 v11, v11, v13, s19
	v_perm_b32 v10, v11, v10, s20
	v_bfe_u32 v11, v9, 16, 1
	v_bfe_u32 v13, v8, 16, 1
	v_add3_u32 v8, v8, v13, s19
	v_add3_u32 v9, v9, v11, s19
	s_waitcnt vmcnt(14)
	v_pk_mul_f32 v[2:3], v[12:13], v[2:3] op_sel_hi:[0,1]
	v_perm_b32 v11, v9, v8, s20
	v_bfe_u32 v8, v3, 16, 1
	v_bfe_u32 v9, v2, 16, 1
	s_waitcnt vmcnt(12)
	v_pk_mul_f32 v[4:5], v[12:13], v[4:5] op_sel_hi:[0,1]
	buffer_store_dword v2, off, s[0:3], 0 offset:304
	buffer_store_dword v3, off, s[0:3], 0 offset:308
	;; [unrolled: 1-line block ×4, first 2 shown]
	v_add3_u32 v2, v2, v9, s19
	v_add3_u32 v3, v3, v8, s19
	v_perm_b32 v2, v3, v2, s20
	v_bfe_u32 v3, v5, 16, 1
	v_bfe_u32 v8, v4, 16, 1
	v_add3_u32 v4, v4, v8, s19
	v_add3_u32 v3, v5, v3, s19
	v_perm_b32 v3, v3, v4, s20
	ds_write2st64_b64 v43, v[10:11], v[2:3] offset0:2 offset1:3
	s_and_saveexec_b64 s[4:5], vcc
	s_cbranch_execz .LBB923_209
; %bb.208:
	v_add_co_u32_e32 v4, vcc, s25, v55
	v_addc_co_u32_e64 v5, s[6:7], 0, 0, vcc
	v_mov_b32_e32 v2, s18
	v_mad_u64_u32 v[4:5], s[6:7], s8, v2, v[4:5]
	v_mov_b32_e32 v3, 0
	s_mul_i32 s6, s9, s18
	v_mov_b32_e32 v2, s24
	v_add_u32_e32 v5, s6, v5
	v_mad_u64_u32 v[2:3], s[6:7], v4, s50, v[2:3]
	v_mov_b32_e32 v4, v3
	v_mad_u64_u32 v[4:5], s[6:7], v5, s50, v[4:5]
	v_mov_b32_e32 v3, v4
	v_lshlrev_b64 v[2:3], 2, v[2:3]
	v_mov_b32_e32 v5, s47
	v_add_co_u32_e32 v4, vcc, s46, v2
	v_addc_co_u32_e32 v5, vcc, v5, v3, vcc
	global_store_dword v[4:5], v20, off
	v_mov_b32_e32 v4, s45
	v_add_co_u32_e32 v2, vcc, s44, v2
	v_addc_co_u32_e32 v3, vcc, v4, v3, vcc
	global_store_dword v[2:3], v6, off
.LBB923_209:
	s_or_b64 exec, exec, s[4:5]
	v_lshl_or_b32 v30, v1, 9, v7
	s_waitcnt lgkmcnt(0)
	s_barrier
	s_load_dword s4, s[42:43], 0x0
	ds_read_b128 v[2:5], v30
	ds_read_b128 v[6:9], v30 offset:16
	ds_read_b128 v[10:13], v30 offset:2048
	ds_read_b128 v[14:17], v30 offset:2064
	ds_read_b128 v[18:21], v30 offset:4096
	ds_read_b128 v[22:25], v30 offset:4112
	ds_read_b128 v[26:29], v30 offset:6144
	ds_read_b128 v[30:33], v30 offset:6160
	v_mov_b32_e32 v35, 0x80
	v_mov_b32_e32 v45, 0x140
	s_mov_b64 s[10:11], -1
	s_waitcnt lgkmcnt(0)
	s_mov_b32 s5, s4
	s_mov_b32 s6, s4
	;; [unrolled: 1-line block ×3, first 2 shown]
	s_movk_i32 s9, 0x80
	s_movk_i32 s21, 0x7f
	s_mov_b32 s22, 0xffffff
	s_mov_b32 s23, 0x5040100
	v_mov_b32_e32 v47, 0
	v_bfrev_b32_e32 v48, 60
	s_branch .LBB923_213
.LBB923_210:                            ;   in Loop: Header=BB923_213 Depth=1
	s_or_b64 exec, exec, s[16:17]
.LBB923_211:                            ;   in Loop: Header=BB923_213 Depth=1
	s_or_b64 exec, exec, s[14:15]
.LBB923_212:                            ;   in Loop: Header=BB923_213 Depth=1
	s_or_b64 exec, exec, s[12:13]
	v_perm_b32 v61, v51, v49, s23
	v_perm_b32 v60, v44, v46, s23
	s_xor_b64 s[12:13], s[10:11], -1
	s_mov_b64 s[10:11], 0
	s_and_b64 vcc, exec, s[12:13]
	v_mfma_f32_16x16x16bf16_1k v[62:65], v[60:61], v[30:31], v[34:37]
	v_mov_b32_e32 v61, v41
	v_mov_b32_e32 v60, v57
	;; [unrolled: 1-line block ×3, first 2 shown]
	s_nop 3
	v_perm_b32 v37, v53, v52, s23
	v_perm_b32 v36, v42, v50, s23
	v_mov_b32_e32 v35, v39
	s_nop 0
	v_mfma_f32_16x16x16bf16_1k v[50:53], v[36:37], v[32:33], v[62:65]
	s_nop 7
	s_nop 2
	v_pk_mul_f32 v[50:51], v[50:51], s[4:5]
	v_pk_mul_f32 v[36:37], v[52:53], s[6:7]
	v_bfe_u32 v34, v51, 16, 1
	v_bfe_u32 v38, v50, 16, 1
	;; [unrolled: 1-line block ×4, first 2 shown]
	v_add3_u32 v38, v50, v38, s19
	v_add3_u32 v34, v51, v34, s19
	;; [unrolled: 1-line block ×4, first 2 shown]
	v_perm_b32 v34, v34, v38, s20
	v_perm_b32 v36, v37, v36, s20
	buffer_store_dword v34, v45, s[0:3], 0 offen
	buffer_store_dword v36, v45, s[0:3], 0 offen offset:4
	v_mov_b32_e32 v45, 0x148
	s_cbranch_vccnz .LBB923_595
.LBB923_213:                            ; =>This Inner Loop Header: Depth=1
	buffer_load_dword v36, v35, s[0:3], 0 offen
	buffer_load_dword v34, v35, s[0:3], 0 offen offset:4
	buffer_load_dword v40, v35, s[0:3], 0 offen offset:8
	;; [unrolled: 1-line block ×3, first 2 shown]
	v_mov_b32_e32 v35, 0
	s_waitcnt vmcnt(3)
	v_cmp_ne_u16_sdwa s[14:15], v36, v47 src0_sel:BYTE_0 src1_sel:DWORD
	s_and_saveexec_b64 s[12:13], s[14:15]
	s_cbranch_execz .LBB923_219
; %bb.214:                              ;   in Loop: Header=BB923_213 Depth=1
	v_cmp_ne_u16_sdwa s[16:17], v36, s9 src0_sel:BYTE_0 src1_sel:DWORD
	v_mov_b32_e32 v35, 0xffff8000
	s_and_saveexec_b64 s[14:15], s[16:17]
	s_cbranch_execz .LBB923_218
; %bb.215:                              ;   in Loop: Header=BB923_213 Depth=1
	v_and_b32_e32 v37, 0x7f, v36
	v_cmp_ne_u32_e32 vcc, s21, v37
	v_mov_b32_e32 v35, 0x7f80
	s_and_saveexec_b64 s[16:17], vcc
	s_cbranch_execz .LBB923_217
; %bb.216:                              ;   in Loop: Header=BB923_213 Depth=1
	v_and_b32_e32 v35, 7, v36
	v_ffbh_u32_e32 v44, v35
	v_min_u32_e32 v44, 32, v44
	v_subrev_u32_e32 v46, 28, v44
	v_lshlrev_b64 v[50:51], v46, v[36:37]
	v_lshrrev_b32_e32 v42, 3, v37
	v_sub_u32_e32 v44, 29, v44
	v_and_b32_e32 v46, 7, v50
	v_cmp_gt_u32_e32 vcc, 8, v37
	v_cndmask_b32_e32 v37, v42, v44, vcc
	v_cndmask_b32_e32 v35, v35, v46, vcc
	v_lshlrev_b32_e32 v42, 24, v36
	v_lshlrev_b32_e32 v35, 20, v35
	v_and_b32_e32 v42, 0x80000000, v42
	v_lshl_add_u32 v37, v37, 23, v48
	v_or3_b32 v35, v42, v37, v35
	v_lshrrev_b32_e32 v35, 16, v35
.LBB923_217:                            ;   in Loop: Header=BB923_213 Depth=1
	s_or_b64 exec, exec, s[16:17]
.LBB923_218:                            ;   in Loop: Header=BB923_213 Depth=1
	s_or_b64 exec, exec, s[14:15]
.LBB923_219:                            ;   in Loop: Header=BB923_213 Depth=1
	s_or_b64 exec, exec, s[12:13]
	v_lshrrev_b16_e32 v42, 8, v36
	v_cmp_ne_u16_e32 vcc, 0, v42
	v_mov_b32_e32 v46, 0
	v_mov_b32_e32 v37, 0
	s_and_saveexec_b64 s[12:13], vcc
	s_cbranch_execz .LBB923_225
; %bb.220:                              ;   in Loop: Header=BB923_213 Depth=1
	v_cmp_ne_u16_e32 vcc, s9, v42
	v_mov_b32_e32 v37, 0xffff8000
	s_and_saveexec_b64 s[14:15], vcc
	s_cbranch_execz .LBB923_224
; %bb.221:                              ;   in Loop: Header=BB923_213 Depth=1
	v_and_b32_e32 v44, 0x7f, v42
	v_cmp_ne_u32_e32 vcc, s21, v44
	v_mov_b32_e32 v37, 0x7f80
	s_and_saveexec_b64 s[16:17], vcc
	s_cbranch_execz .LBB923_223
; %bb.222:                              ;   in Loop: Header=BB923_213 Depth=1
	v_and_b32_e32 v37, 7, v42
	v_ffbh_u32_e32 v50, v37
	v_min_u32_e32 v52, 32, v50
	v_subrev_u32_e32 v50, 28, v52
	v_lshlrev_b64 v[50:51], v50, v[42:43]
	v_lshrrev_b32_e32 v49, 3, v44
	v_sub_u32_e32 v42, 29, v52
	v_and_b32_e32 v50, 7, v50
	v_cmp_gt_u32_e32 vcc, 8, v44
	v_cndmask_b32_e32 v42, v49, v42, vcc
	v_cndmask_b32_e32 v37, v37, v50, vcc
	v_lshlrev_b32_e32 v44, 16, v36
	v_lshlrev_b32_e32 v37, 20, v37
	v_and_b32_e32 v44, 0x80000000, v44
	v_lshl_add_u32 v42, v42, 23, v48
	v_or3_b32 v37, v44, v42, v37
	v_lshrrev_b32_e32 v37, 16, v37
.LBB923_223:                            ;   in Loop: Header=BB923_213 Depth=1
	s_or_b64 exec, exec, s[16:17]
.LBB923_224:                            ;   in Loop: Header=BB923_213 Depth=1
	s_or_b64 exec, exec, s[14:15]
.LBB923_225:                            ;   in Loop: Header=BB923_213 Depth=1
	s_or_b64 exec, exec, s[12:13]
	v_lshrrev_b32_e32 v42, 16, v36
	v_cmp_ne_u16_sdwa s[14:15], v42, v47 src0_sel:BYTE_0 src1_sel:DWORD
	s_and_saveexec_b64 s[12:13], s[14:15]
	s_cbranch_execz .LBB923_231
; %bb.226:                              ;   in Loop: Header=BB923_213 Depth=1
	v_cmp_ne_u16_sdwa s[16:17], v42, s9 src0_sel:BYTE_0 src1_sel:DWORD
	v_mov_b32_e32 v46, 0xffff8000
	s_and_saveexec_b64 s[14:15], s[16:17]
	s_cbranch_execz .LBB923_230
; %bb.227:                              ;   in Loop: Header=BB923_213 Depth=1
	v_bfe_u32 v44, v36, 16, 7
	v_cmp_ne_u32_e32 vcc, s21, v44
	v_mov_b32_e32 v46, 0x7f80
	s_and_saveexec_b64 s[16:17], vcc
	s_cbranch_execz .LBB923_229
; %bb.228:                              ;   in Loop: Header=BB923_213 Depth=1
	v_and_b32_e32 v46, 7, v42
	v_ffbh_u32_e32 v50, v46
	v_min_u32_e32 v52, 32, v50
	v_subrev_u32_e32 v50, 28, v52
	v_lshlrev_b64 v[50:51], v50, v[42:43]
	v_lshrrev_b32_e32 v49, 3, v44
	v_sub_u32_e32 v51, 29, v52
	v_and_b32_e32 v50, 7, v50
	v_cmp_gt_u32_e32 vcc, 8, v44
	v_cndmask_b32_e32 v44, v49, v51, vcc
	v_cndmask_b32_e32 v46, v46, v50, vcc
	v_lshlrev_b32_e32 v42, 24, v42
	v_lshlrev_b32_e32 v46, 20, v46
	v_and_b32_e32 v42, 0x80000000, v42
	v_lshl_add_u32 v44, v44, 23, v48
	v_or3_b32 v42, v42, v44, v46
	v_lshrrev_b32_e32 v46, 16, v42
.LBB923_229:                            ;   in Loop: Header=BB923_213 Depth=1
	s_or_b64 exec, exec, s[16:17]
.LBB923_230:                            ;   in Loop: Header=BB923_213 Depth=1
	s_or_b64 exec, exec, s[14:15]
.LBB923_231:                            ;   in Loop: Header=BB923_213 Depth=1
	s_or_b64 exec, exec, s[12:13]
	v_cmp_lt_u32_e32 vcc, s22, v36
	v_mov_b32_e32 v49, 0
	v_mov_b32_e32 v50, 0
	s_and_saveexec_b64 s[12:13], vcc
	s_cbranch_execz .LBB923_237
; %bb.232:                              ;   in Loop: Header=BB923_213 Depth=1
	v_lshrrev_b32_e32 v42, 24, v36
	v_cmp_ne_u32_e32 vcc, s9, v42
	v_mov_b32_e32 v50, 0xffff8000
	s_and_saveexec_b64 s[14:15], vcc
	s_cbranch_execz .LBB923_236
; %bb.233:                              ;   in Loop: Header=BB923_213 Depth=1
	v_bfe_u32 v36, v36, 24, 7
	v_cmp_ne_u32_e32 vcc, s21, v36
	v_mov_b32_e32 v50, 0x7f80
	s_and_saveexec_b64 s[16:17], vcc
	s_cbranch_execz .LBB923_235
; %bb.234:                              ;   in Loop: Header=BB923_213 Depth=1
	v_and_b32_e32 v44, 7, v42
	v_ffbh_u32_e32 v50, v44
	v_min_u32_e32 v53, 32, v50
	v_subrev_u32_e32 v50, 28, v53
	v_lshlrev_b64 v[50:51], v50, v[42:43]
	v_lshrrev_b32_e32 v52, 3, v36
	v_sub_u32_e32 v51, 29, v53
	v_and_b32_e32 v50, 7, v50
	v_cmp_gt_u32_e32 vcc, 8, v36
	v_cndmask_b32_e32 v36, v52, v51, vcc
	v_cndmask_b32_e32 v44, v44, v50, vcc
	v_lshlrev_b32_e32 v42, 24, v42
	v_lshlrev_b32_e32 v44, 20, v44
	v_and_b32_e32 v42, 0x80000000, v42
	v_lshl_add_u32 v36, v36, 23, v48
	v_or3_b32 v36, v42, v36, v44
	v_lshrrev_b32_e32 v50, 16, v36
.LBB923_235:                            ;   in Loop: Header=BB923_213 Depth=1
	s_or_b64 exec, exec, s[16:17]
.LBB923_236:                            ;   in Loop: Header=BB923_213 Depth=1
	s_or_b64 exec, exec, s[14:15]
.LBB923_237:                            ;   in Loop: Header=BB923_213 Depth=1
	s_or_b64 exec, exec, s[12:13]
	s_waitcnt vmcnt(2)
	v_cmp_ne_u16_sdwa s[14:15], v34, v47 src0_sel:BYTE_0 src1_sel:DWORD
	s_and_saveexec_b64 s[12:13], s[14:15]
	s_cbranch_execz .LBB923_243
; %bb.238:                              ;   in Loop: Header=BB923_213 Depth=1
	v_cmp_ne_u16_sdwa s[16:17], v34, s9 src0_sel:BYTE_0 src1_sel:DWORD
	v_mov_b32_e32 v49, 0xffff8000
	s_and_saveexec_b64 s[14:15], s[16:17]
	s_cbranch_execz .LBB923_242
; %bb.239:                              ;   in Loop: Header=BB923_213 Depth=1
	v_and_b32_e32 v36, 0x7f, v34
	v_cmp_ne_u32_e32 vcc, s21, v36
	v_mov_b32_e32 v49, 0x7f80
	s_and_saveexec_b64 s[16:17], vcc
	s_cbranch_execz .LBB923_241
; %bb.240:                              ;   in Loop: Header=BB923_213 Depth=1
	v_and_b32_e32 v42, 7, v34
	v_ffbh_u32_e32 v49, v42
	v_min_u32_e32 v49, 32, v49
	v_subrev_u32_e32 v51, 28, v49
	v_lshlrev_b64 v[52:53], v51, v[34:35]
	v_lshrrev_b32_e32 v44, 3, v36
	v_sub_u32_e32 v49, 29, v49
	v_and_b32_e32 v51, 7, v52
	v_cmp_gt_u32_e32 vcc, 8, v36
	v_cndmask_b32_e32 v36, v44, v49, vcc
	v_cndmask_b32_e32 v42, v42, v51, vcc
	v_lshlrev_b32_e32 v44, 24, v34
	v_lshlrev_b32_e32 v42, 20, v42
	v_and_b32_e32 v44, 0x80000000, v44
	v_lshl_add_u32 v36, v36, 23, v48
	v_or3_b32 v36, v44, v36, v42
	v_lshrrev_b32_e32 v49, 16, v36
.LBB923_241:                            ;   in Loop: Header=BB923_213 Depth=1
	s_or_b64 exec, exec, s[16:17]
.LBB923_242:                            ;   in Loop: Header=BB923_213 Depth=1
	s_or_b64 exec, exec, s[14:15]
.LBB923_243:                            ;   in Loop: Header=BB923_213 Depth=1
	s_or_b64 exec, exec, s[12:13]
	v_lshrrev_b16_e32 v36, 8, v34
	v_cmp_ne_u16_e32 vcc, 0, v36
	v_mov_b32_e32 v51, 0
	v_mov_b32_e32 v42, 0
	s_and_saveexec_b64 s[12:13], vcc
	s_cbranch_execz .LBB923_249
; %bb.244:                              ;   in Loop: Header=BB923_213 Depth=1
	v_cmp_ne_u16_e32 vcc, s9, v36
	v_mov_b32_e32 v42, 0xffff8000
	s_and_saveexec_b64 s[14:15], vcc
	s_cbranch_execz .LBB923_248
; %bb.245:                              ;   in Loop: Header=BB923_213 Depth=1
	v_and_b32_e32 v44, 0x7f, v36
	v_cmp_ne_u32_e32 vcc, s21, v44
	v_mov_b32_e32 v42, 0x7f80
	s_and_saveexec_b64 s[16:17], vcc
	s_cbranch_execz .LBB923_247
; %bb.246:                              ;   in Loop: Header=BB923_213 Depth=1
	v_and_b32_e32 v42, 7, v36
	v_ffbh_u32_e32 v52, v42
	v_min_u32_e32 v63, 32, v52
	v_subrev_u32_e32 v52, 28, v63
	v_lshlrev_b64 v[52:53], v52, v[36:37]
	v_lshrrev_b32_e32 v62, 3, v44
	v_sub_u32_e32 v36, 29, v63
	v_and_b32_e32 v52, 7, v52
	v_cmp_gt_u32_e32 vcc, 8, v44
	v_cndmask_b32_e32 v36, v62, v36, vcc
	v_cndmask_b32_e32 v42, v42, v52, vcc
	v_lshlrev_b32_e32 v44, 16, v34
	v_lshlrev_b32_e32 v42, 20, v42
	v_and_b32_e32 v44, 0x80000000, v44
	v_lshl_add_u32 v36, v36, 23, v48
	v_or3_b32 v36, v44, v36, v42
	v_lshrrev_b32_e32 v42, 16, v36
.LBB923_247:                            ;   in Loop: Header=BB923_213 Depth=1
	s_or_b64 exec, exec, s[16:17]
.LBB923_248:                            ;   in Loop: Header=BB923_213 Depth=1
	s_or_b64 exec, exec, s[14:15]
.LBB923_249:                            ;   in Loop: Header=BB923_213 Depth=1
	s_or_b64 exec, exec, s[12:13]
	v_lshrrev_b32_e32 v36, 16, v34
	v_cmp_ne_u16_sdwa s[14:15], v36, v47 src0_sel:BYTE_0 src1_sel:DWORD
	s_and_saveexec_b64 s[12:13], s[14:15]
	s_cbranch_execz .LBB923_255
; %bb.250:                              ;   in Loop: Header=BB923_213 Depth=1
	v_cmp_ne_u16_sdwa s[16:17], v36, s9 src0_sel:BYTE_0 src1_sel:DWORD
	v_mov_b32_e32 v51, 0xffff8000
	s_and_saveexec_b64 s[14:15], s[16:17]
	s_cbranch_execz .LBB923_254
; %bb.251:                              ;   in Loop: Header=BB923_213 Depth=1
	v_bfe_u32 v44, v34, 16, 7
	v_cmp_ne_u32_e32 vcc, s21, v44
	v_mov_b32_e32 v51, 0x7f80
	s_and_saveexec_b64 s[16:17], vcc
	s_cbranch_execz .LBB923_253
; %bb.252:                              ;   in Loop: Header=BB923_213 Depth=1
	v_and_b32_e32 v51, 7, v36
	v_ffbh_u32_e32 v52, v51
	v_min_u32_e32 v63, 32, v52
	v_subrev_u32_e32 v52, 28, v63
	v_lshlrev_b64 v[52:53], v52, v[36:37]
	v_lshrrev_b32_e32 v62, 3, v44
	v_sub_u32_e32 v53, 29, v63
	v_and_b32_e32 v52, 7, v52
	v_cmp_gt_u32_e32 vcc, 8, v44
	v_cndmask_b32_e32 v44, v62, v53, vcc
	v_cndmask_b32_e32 v51, v51, v52, vcc
	v_lshlrev_b32_e32 v36, 24, v36
	v_lshlrev_b32_e32 v51, 20, v51
	v_and_b32_e32 v36, 0x80000000, v36
	v_lshl_add_u32 v44, v44, 23, v48
	v_or3_b32 v36, v36, v44, v51
	v_lshrrev_b32_e32 v51, 16, v36
.LBB923_253:                            ;   in Loop: Header=BB923_213 Depth=1
	s_or_b64 exec, exec, s[16:17]
.LBB923_254:                            ;   in Loop: Header=BB923_213 Depth=1
	s_or_b64 exec, exec, s[14:15]
.LBB923_255:                            ;   in Loop: Header=BB923_213 Depth=1
	s_or_b64 exec, exec, s[12:13]
	v_cmp_lt_u32_e32 vcc, s22, v34
	v_mov_b32_e32 v44, 0
	v_mov_b32_e32 v52, 0
	s_and_saveexec_b64 s[12:13], vcc
	s_cbranch_execz .LBB923_261
; %bb.256:                              ;   in Loop: Header=BB923_213 Depth=1
	v_lshrrev_b32_e32 v36, 24, v34
	v_cmp_ne_u32_e32 vcc, s9, v36
	v_mov_b32_e32 v52, 0xffff8000
	s_and_saveexec_b64 s[14:15], vcc
	s_cbranch_execz .LBB923_260
; %bb.257:                              ;   in Loop: Header=BB923_213 Depth=1
	v_bfe_u32 v34, v34, 24, 7
	v_cmp_ne_u32_e32 vcc, s21, v34
	v_mov_b32_e32 v52, 0x7f80
	s_and_saveexec_b64 s[16:17], vcc
	s_cbranch_execz .LBB923_259
; %bb.258:                              ;   in Loop: Header=BB923_213 Depth=1
	v_and_b32_e32 v62, 7, v36
	v_ffbh_u32_e32 v52, v62
	v_min_u32_e32 v64, 32, v52
	v_subrev_u32_e32 v52, 28, v64
	v_lshlrev_b64 v[52:53], v52, v[36:37]
	v_lshrrev_b32_e32 v63, 3, v34
	v_sub_u32_e32 v53, 29, v64
	v_and_b32_e32 v52, 7, v52
	v_cmp_gt_u32_e32 vcc, 8, v34
	v_cndmask_b32_e32 v34, v63, v53, vcc
	v_cndmask_b32_e32 v52, v62, v52, vcc
	v_lshlrev_b32_e32 v36, 24, v36
	v_lshlrev_b32_e32 v52, 20, v52
	v_and_b32_e32 v36, 0x80000000, v36
	v_lshl_add_u32 v34, v34, 23, v48
	v_or3_b32 v34, v36, v34, v52
	v_lshrrev_b32_e32 v52, 16, v34
.LBB923_259:                            ;   in Loop: Header=BB923_213 Depth=1
	s_or_b64 exec, exec, s[16:17]
.LBB923_260:                            ;   in Loop: Header=BB923_213 Depth=1
	s_or_b64 exec, exec, s[14:15]
.LBB923_261:                            ;   in Loop: Header=BB923_213 Depth=1
	s_or_b64 exec, exec, s[12:13]
	v_perm_b32 v63, v50, v46, s23
	v_perm_b32 v62, v37, v35, s23
	;; [unrolled: 1-line block ×4, first 2 shown]
	s_waitcnt vmcnt(1)
	v_cmp_ne_u16_sdwa s[14:15], v40, v47 src0_sel:BYTE_0 src1_sel:DWORD
	v_mfma_f32_16x16x16bf16_1k v[34:37], v[62:63], v[2:3], 0
	v_mfma_f32_16x16x16bf16_1k v[34:37], v[50:51], v[4:5], v[34:37]
	s_and_saveexec_b64 s[12:13], s[14:15]
	s_cbranch_execz .LBB923_267
; %bb.262:                              ;   in Loop: Header=BB923_213 Depth=1
	v_cmp_ne_u16_sdwa s[16:17], v40, s9 src0_sel:BYTE_0 src1_sel:DWORD
	v_mov_b32_e32 v44, 0xffff8000
	s_and_saveexec_b64 s[14:15], s[16:17]
	s_cbranch_execz .LBB923_266
; %bb.263:                              ;   in Loop: Header=BB923_213 Depth=1
	v_and_b32_e32 v42, 0x7f, v40
	v_cmp_ne_u32_e32 vcc, s21, v42
	v_mov_b32_e32 v44, 0x7f80
	s_and_saveexec_b64 s[16:17], vcc
	s_cbranch_execz .LBB923_265
; %bb.264:                              ;   in Loop: Header=BB923_213 Depth=1
	v_and_b32_e32 v44, 7, v40
	v_ffbh_u32_e32 v49, v44
	v_min_u32_e32 v49, 32, v49
	v_subrev_u32_e32 v50, 28, v49
	v_lshlrev_b64 v[50:51], v50, v[40:41]
	v_lshrrev_b32_e32 v46, 3, v42
	v_sub_u32_e32 v49, 29, v49
	v_and_b32_e32 v50, 7, v50
	v_cmp_gt_u32_e32 vcc, 8, v42
	v_cndmask_b32_e32 v42, v46, v49, vcc
	v_cndmask_b32_e32 v44, v44, v50, vcc
	v_lshlrev_b32_e32 v46, 24, v40
	v_lshlrev_b32_e32 v44, 20, v44
	v_and_b32_e32 v46, 0x80000000, v46
	v_lshl_add_u32 v42, v42, 23, v48
	v_or3_b32 v42, v46, v42, v44
	v_lshrrev_b32_e32 v44, 16, v42
.LBB923_265:                            ;   in Loop: Header=BB923_213 Depth=1
	s_or_b64 exec, exec, s[16:17]
.LBB923_266:                            ;   in Loop: Header=BB923_213 Depth=1
	s_or_b64 exec, exec, s[14:15]
.LBB923_267:                            ;   in Loop: Header=BB923_213 Depth=1
	s_or_b64 exec, exec, s[12:13]
	v_lshrrev_b16_e32 v42, 8, v40
	v_cmp_ne_u16_e32 vcc, 0, v42
	v_mov_b32_e32 v50, 0
	v_mov_b32_e32 v46, 0
	s_and_saveexec_b64 s[12:13], vcc
	s_cbranch_execz .LBB923_273
; %bb.268:                              ;   in Loop: Header=BB923_213 Depth=1
	v_cmp_ne_u16_e32 vcc, s9, v42
	v_mov_b32_e32 v46, 0xffff8000
	s_and_saveexec_b64 s[14:15], vcc
	s_cbranch_execz .LBB923_272
; %bb.269:                              ;   in Loop: Header=BB923_213 Depth=1
	v_and_b32_e32 v49, 0x7f, v42
	v_cmp_ne_u32_e32 vcc, s21, v49
	v_mov_b32_e32 v46, 0x7f80
	s_and_saveexec_b64 s[16:17], vcc
	s_cbranch_execz .LBB923_271
; %bb.270:                              ;   in Loop: Header=BB923_213 Depth=1
	v_and_b32_e32 v46, 7, v42
	v_ffbh_u32_e32 v52, v46
	v_min_u32_e32 v62, 32, v52
	v_subrev_u32_e32 v52, 28, v62
	v_lshlrev_b64 v[52:53], v52, v[42:43]
	v_lshrrev_b32_e32 v51, 3, v49
	v_sub_u32_e32 v42, 29, v62
	v_and_b32_e32 v52, 7, v52
	v_cmp_gt_u32_e32 vcc, 8, v49
	v_cndmask_b32_e32 v42, v51, v42, vcc
	v_cndmask_b32_e32 v46, v46, v52, vcc
	v_lshlrev_b32_e32 v49, 16, v40
	v_lshlrev_b32_e32 v46, 20, v46
	v_and_b32_e32 v49, 0x80000000, v49
	v_lshl_add_u32 v42, v42, 23, v48
	v_or3_b32 v42, v49, v42, v46
	v_lshrrev_b32_e32 v46, 16, v42
.LBB923_271:                            ;   in Loop: Header=BB923_213 Depth=1
	s_or_b64 exec, exec, s[16:17]
.LBB923_272:                            ;   in Loop: Header=BB923_213 Depth=1
	s_or_b64 exec, exec, s[14:15]
.LBB923_273:                            ;   in Loop: Header=BB923_213 Depth=1
	s_or_b64 exec, exec, s[12:13]
	v_lshrrev_b32_e32 v42, 16, v40
	v_cmp_ne_u16_sdwa s[14:15], v42, v47 src0_sel:BYTE_0 src1_sel:DWORD
	s_and_saveexec_b64 s[12:13], s[14:15]
	s_cbranch_execz .LBB923_279
; %bb.274:                              ;   in Loop: Header=BB923_213 Depth=1
	v_cmp_ne_u16_sdwa s[16:17], v42, s9 src0_sel:BYTE_0 src1_sel:DWORD
	v_mov_b32_e32 v50, 0xffff8000
	s_and_saveexec_b64 s[14:15], s[16:17]
	s_cbranch_execz .LBB923_278
; %bb.275:                              ;   in Loop: Header=BB923_213 Depth=1
	v_bfe_u32 v49, v40, 16, 7
	v_cmp_ne_u32_e32 vcc, s21, v49
	v_mov_b32_e32 v50, 0x7f80
	s_and_saveexec_b64 s[16:17], vcc
	s_cbranch_execz .LBB923_277
; %bb.276:                              ;   in Loop: Header=BB923_213 Depth=1
	v_and_b32_e32 v52, 7, v42
	v_ffbh_u32_e32 v50, v52
	v_min_u32_e32 v62, 32, v50
	v_subrev_u32_e32 v50, 28, v62
	v_lshlrev_b64 v[50:51], v50, v[42:43]
	v_lshrrev_b32_e32 v53, 3, v49
	v_sub_u32_e32 v51, 29, v62
	v_and_b32_e32 v50, 7, v50
	v_cmp_gt_u32_e32 vcc, 8, v49
	v_cndmask_b32_e32 v49, v53, v51, vcc
	v_cndmask_b32_e32 v50, v52, v50, vcc
	v_lshlrev_b32_e32 v42, 24, v42
	v_lshlrev_b32_e32 v50, 20, v50
	v_and_b32_e32 v42, 0x80000000, v42
	v_lshl_add_u32 v49, v49, 23, v48
	v_or3_b32 v42, v42, v49, v50
	v_lshrrev_b32_e32 v50, 16, v42
.LBB923_277:                            ;   in Loop: Header=BB923_213 Depth=1
	s_or_b64 exec, exec, s[16:17]
.LBB923_278:                            ;   in Loop: Header=BB923_213 Depth=1
	s_or_b64 exec, exec, s[14:15]
.LBB923_279:                            ;   in Loop: Header=BB923_213 Depth=1
	s_or_b64 exec, exec, s[12:13]
	v_cmp_lt_u32_e32 vcc, s22, v40
	v_mov_b32_e32 v51, 0
	v_mov_b32_e32 v52, 0
	s_and_saveexec_b64 s[12:13], vcc
	s_cbranch_execz .LBB923_285
; %bb.280:                              ;   in Loop: Header=BB923_213 Depth=1
	v_lshrrev_b32_e32 v42, 24, v40
	v_cmp_ne_u32_e32 vcc, s9, v42
	v_mov_b32_e32 v52, 0xffff8000
	s_and_saveexec_b64 s[14:15], vcc
	s_cbranch_execz .LBB923_284
; %bb.281:                              ;   in Loop: Header=BB923_213 Depth=1
	v_bfe_u32 v40, v40, 24, 7
	v_cmp_ne_u32_e32 vcc, s21, v40
	v_mov_b32_e32 v52, 0x7f80
	s_and_saveexec_b64 s[16:17], vcc
	s_cbranch_execz .LBB923_283
; %bb.282:                              ;   in Loop: Header=BB923_213 Depth=1
	v_and_b32_e32 v49, 7, v42
	v_ffbh_u32_e32 v52, v49
	v_min_u32_e32 v63, 32, v52
	v_subrev_u32_e32 v52, 28, v63
	v_lshlrev_b64 v[52:53], v52, v[42:43]
	v_lshrrev_b32_e32 v62, 3, v40
	v_sub_u32_e32 v53, 29, v63
	v_and_b32_e32 v52, 7, v52
	v_cmp_gt_u32_e32 vcc, 8, v40
	v_cndmask_b32_e32 v40, v62, v53, vcc
	v_cndmask_b32_e32 v49, v49, v52, vcc
	v_lshlrev_b32_e32 v42, 24, v42
	v_lshlrev_b32_e32 v49, 20, v49
	v_and_b32_e32 v42, 0x80000000, v42
	v_lshl_add_u32 v40, v40, 23, v48
	v_or3_b32 v40, v42, v40, v49
	v_lshrrev_b32_e32 v52, 16, v40
.LBB923_283:                            ;   in Loop: Header=BB923_213 Depth=1
	s_or_b64 exec, exec, s[16:17]
.LBB923_284:                            ;   in Loop: Header=BB923_213 Depth=1
	s_or_b64 exec, exec, s[14:15]
.LBB923_285:                            ;   in Loop: Header=BB923_213 Depth=1
	s_or_b64 exec, exec, s[12:13]
	s_waitcnt vmcnt(0)
	v_cmp_ne_u16_sdwa s[14:15], v38, v47 src0_sel:BYTE_0 src1_sel:DWORD
	s_and_saveexec_b64 s[12:13], s[14:15]
	s_cbranch_execz .LBB923_291
; %bb.286:                              ;   in Loop: Header=BB923_213 Depth=1
	v_cmp_ne_u16_sdwa s[16:17], v38, s9 src0_sel:BYTE_0 src1_sel:DWORD
	v_mov_b32_e32 v51, 0xffff8000
	s_and_saveexec_b64 s[14:15], s[16:17]
	s_cbranch_execz .LBB923_290
; %bb.287:                              ;   in Loop: Header=BB923_213 Depth=1
	v_and_b32_e32 v40, 0x7f, v38
	v_cmp_ne_u32_e32 vcc, s21, v40
	v_mov_b32_e32 v51, 0x7f80
	s_and_saveexec_b64 s[16:17], vcc
	s_cbranch_execz .LBB923_289
; %bb.288:                              ;   in Loop: Header=BB923_213 Depth=1
	v_and_b32_e32 v42, 7, v38
	v_ffbh_u32_e32 v51, v42
	v_min_u32_e32 v51, 32, v51
	v_subrev_u32_e32 v53, 28, v51
	v_lshlrev_b64 v[62:63], v53, v[38:39]
	v_lshrrev_b32_e32 v49, 3, v40
	v_sub_u32_e32 v51, 29, v51
	v_and_b32_e32 v53, 7, v62
	v_cmp_gt_u32_e32 vcc, 8, v40
	v_cndmask_b32_e32 v40, v49, v51, vcc
	v_cndmask_b32_e32 v42, v42, v53, vcc
	v_lshlrev_b32_e32 v49, 24, v38
	v_lshlrev_b32_e32 v42, 20, v42
	v_and_b32_e32 v49, 0x80000000, v49
	v_lshl_add_u32 v40, v40, 23, v48
	v_or3_b32 v40, v49, v40, v42
	v_lshrrev_b32_e32 v51, 16, v40
.LBB923_289:                            ;   in Loop: Header=BB923_213 Depth=1
	s_or_b64 exec, exec, s[16:17]
.LBB923_290:                            ;   in Loop: Header=BB923_213 Depth=1
	s_or_b64 exec, exec, s[14:15]
.LBB923_291:                            ;   in Loop: Header=BB923_213 Depth=1
	s_or_b64 exec, exec, s[12:13]
	v_lshrrev_b16_e32 v40, 8, v38
	v_cmp_ne_u16_e32 vcc, 0, v40
	v_mov_b32_e32 v62, 0
	v_mov_b32_e32 v53, 0
	s_and_saveexec_b64 s[12:13], vcc
	s_cbranch_execz .LBB923_297
; %bb.292:                              ;   in Loop: Header=BB923_213 Depth=1
	v_cmp_ne_u16_e32 vcc, s9, v40
	v_mov_b32_e32 v53, 0xffff8000
	s_and_saveexec_b64 s[14:15], vcc
	s_cbranch_execz .LBB923_296
; %bb.293:                              ;   in Loop: Header=BB923_213 Depth=1
	v_and_b32_e32 v42, 0x7f, v40
	v_cmp_ne_u32_e32 vcc, s21, v42
	v_mov_b32_e32 v53, 0x7f80
	s_and_saveexec_b64 s[16:17], vcc
	s_cbranch_execz .LBB923_295
; %bb.294:                              ;   in Loop: Header=BB923_213 Depth=1
	v_and_b32_e32 v49, 7, v40
	v_ffbh_u32_e32 v63, v49
	v_min_u32_e32 v63, 32, v63
	v_subrev_u32_e32 v64, 28, v63
	v_lshlrev_b64 v[64:65], v64, v[40:41]
	v_lshrrev_b32_e32 v53, 3, v42
	v_sub_u32_e32 v40, 29, v63
	v_and_b32_e32 v63, 7, v64
	v_cmp_gt_u32_e32 vcc, 8, v42
	v_cndmask_b32_e32 v40, v53, v40, vcc
	v_cndmask_b32_e32 v42, v49, v63, vcc
	v_lshlrev_b32_e32 v49, 16, v38
	v_lshlrev_b32_e32 v42, 20, v42
	v_and_b32_e32 v49, 0x80000000, v49
	v_lshl_add_u32 v40, v40, 23, v48
	v_or3_b32 v40, v49, v40, v42
	v_lshrrev_b32_e32 v53, 16, v40
.LBB923_295:                            ;   in Loop: Header=BB923_213 Depth=1
	s_or_b64 exec, exec, s[16:17]
.LBB923_296:                            ;   in Loop: Header=BB923_213 Depth=1
	s_or_b64 exec, exec, s[14:15]
.LBB923_297:                            ;   in Loop: Header=BB923_213 Depth=1
	s_or_b64 exec, exec, s[12:13]
	v_lshrrev_b32_e32 v40, 16, v38
	v_cmp_ne_u16_sdwa s[14:15], v40, v47 src0_sel:BYTE_0 src1_sel:DWORD
	s_and_saveexec_b64 s[12:13], s[14:15]
	s_cbranch_execz .LBB923_303
; %bb.298:                              ;   in Loop: Header=BB923_213 Depth=1
	v_cmp_ne_u16_sdwa s[16:17], v40, s9 src0_sel:BYTE_0 src1_sel:DWORD
	v_mov_b32_e32 v62, 0xffff8000
	s_and_saveexec_b64 s[14:15], s[16:17]
	s_cbranch_execz .LBB923_302
; %bb.299:                              ;   in Loop: Header=BB923_213 Depth=1
	v_bfe_u32 v42, v38, 16, 7
	v_cmp_ne_u32_e32 vcc, s21, v42
	v_mov_b32_e32 v62, 0x7f80
	s_and_saveexec_b64 s[16:17], vcc
	s_cbranch_execz .LBB923_301
; %bb.300:                              ;   in Loop: Header=BB923_213 Depth=1
	v_and_b32_e32 v49, 7, v40
	v_ffbh_u32_e32 v62, v49
	v_min_u32_e32 v65, 32, v62
	v_subrev_u32_e32 v62, 28, v65
	v_lshlrev_b64 v[62:63], v62, v[40:41]
	v_lshrrev_b32_e32 v64, 3, v42
	v_sub_u32_e32 v63, 29, v65
	v_and_b32_e32 v62, 7, v62
	v_cmp_gt_u32_e32 vcc, 8, v42
	v_cndmask_b32_e32 v42, v64, v63, vcc
	v_cndmask_b32_e32 v49, v49, v62, vcc
	v_lshlrev_b32_e32 v40, 24, v40
	v_lshlrev_b32_e32 v49, 20, v49
	v_and_b32_e32 v40, 0x80000000, v40
	v_lshl_add_u32 v42, v42, 23, v48
	v_or3_b32 v40, v40, v42, v49
	v_lshrrev_b32_e32 v62, 16, v40
.LBB923_301:                            ;   in Loop: Header=BB923_213 Depth=1
	s_or_b64 exec, exec, s[16:17]
.LBB923_302:                            ;   in Loop: Header=BB923_213 Depth=1
	s_or_b64 exec, exec, s[14:15]
.LBB923_303:                            ;   in Loop: Header=BB923_213 Depth=1
	s_or_b64 exec, exec, s[12:13]
	v_cmp_lt_u32_e32 vcc, s22, v38
	v_mov_b32_e32 v49, 0
	v_mov_b32_e32 v63, 0
	s_and_saveexec_b64 s[12:13], vcc
	s_cbranch_execz .LBB923_309
; %bb.304:                              ;   in Loop: Header=BB923_213 Depth=1
	v_lshrrev_b32_e32 v40, 24, v38
	v_cmp_ne_u32_e32 vcc, s9, v40
	v_mov_b32_e32 v63, 0xffff8000
	s_and_saveexec_b64 s[14:15], vcc
	s_cbranch_execz .LBB923_308
; %bb.305:                              ;   in Loop: Header=BB923_213 Depth=1
	v_bfe_u32 v38, v38, 24, 7
	v_cmp_ne_u32_e32 vcc, s21, v38
	v_mov_b32_e32 v63, 0x7f80
	s_and_saveexec_b64 s[16:17], vcc
	s_cbranch_execz .LBB923_307
; %bb.306:                              ;   in Loop: Header=BB923_213 Depth=1
	v_and_b32_e32 v42, 7, v40
	v_ffbh_u32_e32 v64, v42
	v_min_u32_e32 v66, 32, v64
	v_subrev_u32_e32 v64, 28, v66
	v_lshlrev_b64 v[64:65], v64, v[40:41]
	v_lshrrev_b32_e32 v63, 3, v38
	v_sub_u32_e32 v65, 29, v66
	v_and_b32_e32 v64, 7, v64
	v_cmp_gt_u32_e32 vcc, 8, v38
	v_cndmask_b32_e32 v38, v63, v65, vcc
	v_cndmask_b32_e32 v42, v42, v64, vcc
	v_lshlrev_b32_e32 v40, 24, v40
	v_lshlrev_b32_e32 v42, 20, v42
	v_and_b32_e32 v40, 0x80000000, v40
	v_lshl_add_u32 v38, v38, 23, v48
	v_or3_b32 v38, v40, v38, v42
	v_lshrrev_b32_e32 v63, 16, v38
.LBB923_307:                            ;   in Loop: Header=BB923_213 Depth=1
	s_or_b64 exec, exec, s[16:17]
.LBB923_308:                            ;   in Loop: Header=BB923_213 Depth=1
	s_or_b64 exec, exec, s[14:15]
.LBB923_309:                            ;   in Loop: Header=BB923_213 Depth=1
	s_or_b64 exec, exec, s[12:13]
	v_perm_b32 v64, v46, v44, s23
	buffer_load_dword v44, v61, s[0:3], 0 offen
	buffer_load_dword v42, v61, s[0:3], 0 offen offset:4
	buffer_load_dword v40, v61, s[0:3], 0 offen offset:8
	;; [unrolled: 1-line block ×3, first 2 shown]
	v_perm_b32 v65, v52, v50, s23
	v_perm_b32 v63, v63, v62, s23
	;; [unrolled: 1-line block ×3, first 2 shown]
	v_mfma_f32_16x16x16bf16_1k v[34:37], v[64:65], v[6:7], v[34:37]
	s_waitcnt vmcnt(3)
	v_cmp_ne_u16_sdwa s[14:15], v44, v47 src0_sel:BYTE_0 src1_sel:DWORD
	v_mfma_f32_16x16x16bf16_1k v[34:37], v[62:63], v[8:9], v[34:37]
	s_and_saveexec_b64 s[12:13], s[14:15]
	s_cbranch_execz .LBB923_315
; %bb.310:                              ;   in Loop: Header=BB923_213 Depth=1
	v_cmp_ne_u16_sdwa s[16:17], v44, s9 src0_sel:BYTE_0 src1_sel:DWORD
	v_mov_b32_e32 v49, 0xffff8000
	s_and_saveexec_b64 s[14:15], s[16:17]
	s_cbranch_execz .LBB923_314
; %bb.311:                              ;   in Loop: Header=BB923_213 Depth=1
	v_and_b32_e32 v46, 0x7f, v44
	v_cmp_ne_u32_e32 vcc, s21, v46
	v_mov_b32_e32 v49, 0x7f80
	s_and_saveexec_b64 s[16:17], vcc
	s_cbranch_execz .LBB923_313
; %bb.312:                              ;   in Loop: Header=BB923_213 Depth=1
	v_and_b32_e32 v49, 7, v44
	v_ffbh_u32_e32 v50, v49
	v_min_u32_e32 v53, 32, v50
	v_subrev_u32_e32 v50, 28, v53
	v_lshlrev_b64 v[50:51], v50, v[44:45]
	v_lshrrev_b32_e32 v52, 3, v46
	v_sub_u32_e32 v51, 29, v53
	v_and_b32_e32 v50, 7, v50
	v_cmp_gt_u32_e32 vcc, 8, v46
	v_cndmask_b32_e32 v46, v52, v51, vcc
	v_cndmask_b32_e32 v49, v49, v50, vcc
	v_lshlrev_b32_e32 v50, 24, v44
	v_lshlrev_b32_e32 v49, 20, v49
	v_and_b32_e32 v50, 0x80000000, v50
	v_lshl_add_u32 v46, v46, 23, v48
	v_or3_b32 v46, v50, v46, v49
	v_lshrrev_b32_e32 v49, 16, v46
.LBB923_313:                            ;   in Loop: Header=BB923_213 Depth=1
	s_or_b64 exec, exec, s[16:17]
.LBB923_314:                            ;   in Loop: Header=BB923_213 Depth=1
	s_or_b64 exec, exec, s[14:15]
.LBB923_315:                            ;   in Loop: Header=BB923_213 Depth=1
	s_or_b64 exec, exec, s[12:13]
	v_lshrrev_b16_e32 v46, 8, v44
	v_cmp_ne_u16_e32 vcc, 0, v46
	v_mov_b32_e32 v51, 0
	v_mov_b32_e32 v50, 0
	s_and_saveexec_b64 s[12:13], vcc
	s_cbranch_execz .LBB923_321
; %bb.316:                              ;   in Loop: Header=BB923_213 Depth=1
	v_cmp_ne_u16_e32 vcc, s9, v46
	v_mov_b32_e32 v50, 0xffff8000
	s_and_saveexec_b64 s[14:15], vcc
	s_cbranch_execz .LBB923_320
; %bb.317:                              ;   in Loop: Header=BB923_213 Depth=1
	v_and_b32_e32 v52, 0x7f, v46
	v_cmp_ne_u32_e32 vcc, s21, v52
	v_mov_b32_e32 v50, 0x7f80
	s_and_saveexec_b64 s[16:17], vcc
	s_cbranch_execz .LBB923_319
; %bb.318:                              ;   in Loop: Header=BB923_213 Depth=1
	v_and_b32_e32 v50, 7, v46
	v_ffbh_u32_e32 v61, v50
	v_min_u32_e32 v61, 32, v61
	v_subrev_u32_e32 v62, 28, v61
	v_lshlrev_b64 v[62:63], v62, v[46:47]
	v_lshrrev_b32_e32 v53, 3, v52
	v_sub_u32_e32 v46, 29, v61
	v_and_b32_e32 v61, 7, v62
	v_cmp_gt_u32_e32 vcc, 8, v52
	v_cndmask_b32_e32 v46, v53, v46, vcc
	v_cndmask_b32_e32 v50, v50, v61, vcc
	v_lshlrev_b32_e32 v52, 16, v44
	v_lshlrev_b32_e32 v50, 20, v50
	v_and_b32_e32 v52, 0x80000000, v52
	v_lshl_add_u32 v46, v46, 23, v48
	v_or3_b32 v46, v52, v46, v50
	v_lshrrev_b32_e32 v50, 16, v46
.LBB923_319:                            ;   in Loop: Header=BB923_213 Depth=1
	s_or_b64 exec, exec, s[16:17]
.LBB923_320:                            ;   in Loop: Header=BB923_213 Depth=1
	s_or_b64 exec, exec, s[14:15]
.LBB923_321:                            ;   in Loop: Header=BB923_213 Depth=1
	s_or_b64 exec, exec, s[12:13]
	v_lshrrev_b32_e32 v46, 16, v44
	v_cmp_ne_u16_sdwa s[14:15], v46, v47 src0_sel:BYTE_0 src1_sel:DWORD
	s_and_saveexec_b64 s[12:13], s[14:15]
	s_cbranch_execz .LBB923_327
; %bb.322:                              ;   in Loop: Header=BB923_213 Depth=1
	v_cmp_ne_u16_sdwa s[16:17], v46, s9 src0_sel:BYTE_0 src1_sel:DWORD
	v_mov_b32_e32 v51, 0xffff8000
	s_and_saveexec_b64 s[14:15], s[16:17]
	s_cbranch_execz .LBB923_326
; %bb.323:                              ;   in Loop: Header=BB923_213 Depth=1
	v_bfe_u32 v52, v44, 16, 7
	v_cmp_ne_u32_e32 vcc, s21, v52
	v_mov_b32_e32 v51, 0x7f80
	s_and_saveexec_b64 s[16:17], vcc
	s_cbranch_execz .LBB923_325
; %bb.324:                              ;   in Loop: Header=BB923_213 Depth=1
	v_and_b32_e32 v51, 7, v46
	v_ffbh_u32_e32 v61, v51
	v_min_u32_e32 v61, 32, v61
	v_subrev_u32_e32 v62, 28, v61
	v_lshlrev_b64 v[62:63], v62, v[46:47]
	v_lshrrev_b32_e32 v53, 3, v52
	v_sub_u32_e32 v61, 29, v61
	v_and_b32_e32 v62, 7, v62
	v_cmp_gt_u32_e32 vcc, 8, v52
	v_cndmask_b32_e32 v52, v53, v61, vcc
	v_cndmask_b32_e32 v51, v51, v62, vcc
	v_lshlrev_b32_e32 v46, 24, v46
	v_lshlrev_b32_e32 v51, 20, v51
	v_and_b32_e32 v46, 0x80000000, v46
	v_lshl_add_u32 v52, v52, 23, v48
	v_or3_b32 v46, v46, v52, v51
	v_lshrrev_b32_e32 v51, 16, v46
.LBB923_325:                            ;   in Loop: Header=BB923_213 Depth=1
	s_or_b64 exec, exec, s[16:17]
.LBB923_326:                            ;   in Loop: Header=BB923_213 Depth=1
	s_or_b64 exec, exec, s[14:15]
.LBB923_327:                            ;   in Loop: Header=BB923_213 Depth=1
	s_or_b64 exec, exec, s[12:13]
	v_cmp_lt_u32_e32 vcc, s22, v44
	v_mov_b32_e32 v52, 0
	v_mov_b32_e32 v53, 0
	s_and_saveexec_b64 s[12:13], vcc
	s_cbranch_execz .LBB923_333
; %bb.328:                              ;   in Loop: Header=BB923_213 Depth=1
	v_lshrrev_b32_e32 v46, 24, v44
	v_cmp_ne_u32_e32 vcc, s9, v46
	v_mov_b32_e32 v53, 0xffff8000
	s_and_saveexec_b64 s[14:15], vcc
	s_cbranch_execz .LBB923_332
; %bb.329:                              ;   in Loop: Header=BB923_213 Depth=1
	v_bfe_u32 v44, v44, 24, 7
	v_cmp_ne_u32_e32 vcc, s21, v44
	v_mov_b32_e32 v53, 0x7f80
	s_and_saveexec_b64 s[16:17], vcc
	s_cbranch_execz .LBB923_331
; %bb.330:                              ;   in Loop: Header=BB923_213 Depth=1
	v_and_b32_e32 v53, 7, v46
	v_ffbh_u32_e32 v62, v53
	v_min_u32_e32 v64, 32, v62
	v_subrev_u32_e32 v62, 28, v64
	v_lshlrev_b64 v[62:63], v62, v[46:47]
	v_lshrrev_b32_e32 v61, 3, v44
	v_sub_u32_e32 v63, 29, v64
	v_and_b32_e32 v62, 7, v62
	v_cmp_gt_u32_e32 vcc, 8, v44
	v_cndmask_b32_e32 v44, v61, v63, vcc
	v_cndmask_b32_e32 v53, v53, v62, vcc
	v_lshlrev_b32_e32 v46, 24, v46
	v_lshlrev_b32_e32 v53, 20, v53
	v_and_b32_e32 v46, 0x80000000, v46
	v_lshl_add_u32 v44, v44, 23, v48
	v_or3_b32 v44, v46, v44, v53
	v_lshrrev_b32_e32 v53, 16, v44
.LBB923_331:                            ;   in Loop: Header=BB923_213 Depth=1
	s_or_b64 exec, exec, s[16:17]
.LBB923_332:                            ;   in Loop: Header=BB923_213 Depth=1
	s_or_b64 exec, exec, s[14:15]
.LBB923_333:                            ;   in Loop: Header=BB923_213 Depth=1
	s_or_b64 exec, exec, s[12:13]
	s_waitcnt vmcnt(2)
	v_cmp_ne_u16_sdwa s[14:15], v42, v47 src0_sel:BYTE_0 src1_sel:DWORD
	s_and_saveexec_b64 s[12:13], s[14:15]
	s_cbranch_execz .LBB923_339
; %bb.334:                              ;   in Loop: Header=BB923_213 Depth=1
	v_cmp_ne_u16_sdwa s[16:17], v42, s9 src0_sel:BYTE_0 src1_sel:DWORD
	v_mov_b32_e32 v52, 0xffff8000
	s_and_saveexec_b64 s[14:15], s[16:17]
	s_cbranch_execz .LBB923_338
; %bb.335:                              ;   in Loop: Header=BB923_213 Depth=1
	v_and_b32_e32 v44, 0x7f, v42
	v_cmp_ne_u32_e32 vcc, s21, v44
	v_mov_b32_e32 v52, 0x7f80
	s_and_saveexec_b64 s[16:17], vcc
	s_cbranch_execz .LBB923_337
; %bb.336:                              ;   in Loop: Header=BB923_213 Depth=1
	v_and_b32_e32 v46, 7, v42
	v_ffbh_u32_e32 v61, v46
	v_min_u32_e32 v61, 32, v61
	v_subrev_u32_e32 v62, 28, v61
	v_lshlrev_b64 v[62:63], v62, v[42:43]
	v_lshrrev_b32_e32 v52, 3, v44
	v_sub_u32_e32 v61, 29, v61
	v_and_b32_e32 v62, 7, v62
	v_cmp_gt_u32_e32 vcc, 8, v44
	v_cndmask_b32_e32 v44, v52, v61, vcc
	v_cndmask_b32_e32 v46, v46, v62, vcc
	v_lshlrev_b32_e32 v52, 24, v42
	v_lshlrev_b32_e32 v46, 20, v46
	v_and_b32_e32 v52, 0x80000000, v52
	v_lshl_add_u32 v44, v44, 23, v48
	v_or3_b32 v44, v52, v44, v46
	v_lshrrev_b32_e32 v52, 16, v44
.LBB923_337:                            ;   in Loop: Header=BB923_213 Depth=1
	s_or_b64 exec, exec, s[16:17]
.LBB923_338:                            ;   in Loop: Header=BB923_213 Depth=1
	s_or_b64 exec, exec, s[14:15]
.LBB923_339:                            ;   in Loop: Header=BB923_213 Depth=1
	s_or_b64 exec, exec, s[12:13]
	v_lshrrev_b16_e32 v44, 8, v42
	v_cmp_ne_u16_e32 vcc, 0, v44
	v_mov_b32_e32 v62, 0
	v_mov_b32_e32 v61, 0
	s_and_saveexec_b64 s[12:13], vcc
	s_cbranch_execz .LBB923_345
; %bb.340:                              ;   in Loop: Header=BB923_213 Depth=1
	v_cmp_ne_u16_e32 vcc, s9, v44
	v_mov_b32_e32 v61, 0xffff8000
	s_and_saveexec_b64 s[14:15], vcc
	s_cbranch_execz .LBB923_344
; %bb.341:                              ;   in Loop: Header=BB923_213 Depth=1
	v_and_b32_e32 v46, 0x7f, v44
	v_cmp_ne_u32_e32 vcc, s21, v46
	v_mov_b32_e32 v61, 0x7f80
	s_and_saveexec_b64 s[16:17], vcc
	s_cbranch_execz .LBB923_343
; %bb.342:                              ;   in Loop: Header=BB923_213 Depth=1
	v_and_b32_e32 v61, 7, v44
	v_ffbh_u32_e32 v64, v61
	v_min_u32_e32 v66, 32, v64
	v_subrev_u32_e32 v64, 28, v66
	v_lshlrev_b64 v[64:65], v64, v[44:45]
	v_lshrrev_b32_e32 v63, 3, v46
	v_sub_u32_e32 v44, 29, v66
	v_and_b32_e32 v64, 7, v64
	v_cmp_gt_u32_e32 vcc, 8, v46
	v_cndmask_b32_e32 v44, v63, v44, vcc
	v_cndmask_b32_e32 v46, v61, v64, vcc
	v_lshlrev_b32_e32 v61, 16, v42
	v_lshlrev_b32_e32 v46, 20, v46
	v_and_b32_e32 v61, 0x80000000, v61
	v_lshl_add_u32 v44, v44, 23, v48
	v_or3_b32 v44, v61, v44, v46
	v_lshrrev_b32_e32 v61, 16, v44
.LBB923_343:                            ;   in Loop: Header=BB923_213 Depth=1
	s_or_b64 exec, exec, s[16:17]
.LBB923_344:                            ;   in Loop: Header=BB923_213 Depth=1
	s_or_b64 exec, exec, s[14:15]
.LBB923_345:                            ;   in Loop: Header=BB923_213 Depth=1
	s_or_b64 exec, exec, s[12:13]
	v_lshrrev_b32_e32 v44, 16, v42
	v_cmp_ne_u16_sdwa s[14:15], v44, v47 src0_sel:BYTE_0 src1_sel:DWORD
	s_and_saveexec_b64 s[12:13], s[14:15]
	s_cbranch_execz .LBB923_351
; %bb.346:                              ;   in Loop: Header=BB923_213 Depth=1
	v_cmp_ne_u16_sdwa s[16:17], v44, s9 src0_sel:BYTE_0 src1_sel:DWORD
	v_mov_b32_e32 v62, 0xffff8000
	s_and_saveexec_b64 s[14:15], s[16:17]
	s_cbranch_execz .LBB923_350
; %bb.347:                              ;   in Loop: Header=BB923_213 Depth=1
	v_bfe_u32 v46, v42, 16, 7
	v_cmp_ne_u32_e32 vcc, s21, v46
	v_mov_b32_e32 v62, 0x7f80
	s_and_saveexec_b64 s[16:17], vcc
	s_cbranch_execz .LBB923_349
; %bb.348:                              ;   in Loop: Header=BB923_213 Depth=1
	v_and_b32_e32 v64, 7, v44
	v_ffbh_u32_e32 v62, v64
	v_min_u32_e32 v66, 32, v62
	v_subrev_u32_e32 v62, 28, v66
	v_lshlrev_b64 v[62:63], v62, v[44:45]
	v_lshrrev_b32_e32 v65, 3, v46
	v_sub_u32_e32 v63, 29, v66
	v_and_b32_e32 v62, 7, v62
	v_cmp_gt_u32_e32 vcc, 8, v46
	v_cndmask_b32_e32 v46, v65, v63, vcc
	v_cndmask_b32_e32 v62, v64, v62, vcc
	v_lshlrev_b32_e32 v44, 24, v44
	v_lshlrev_b32_e32 v62, 20, v62
	v_and_b32_e32 v44, 0x80000000, v44
	v_lshl_add_u32 v46, v46, 23, v48
	v_or3_b32 v44, v44, v46, v62
	v_lshrrev_b32_e32 v62, 16, v44
.LBB923_349:                            ;   in Loop: Header=BB923_213 Depth=1
	s_or_b64 exec, exec, s[16:17]
.LBB923_350:                            ;   in Loop: Header=BB923_213 Depth=1
	s_or_b64 exec, exec, s[14:15]
.LBB923_351:                            ;   in Loop: Header=BB923_213 Depth=1
	s_or_b64 exec, exec, s[12:13]
	v_cmp_lt_u32_e32 vcc, s22, v42
	v_mov_b32_e32 v46, 0
	v_mov_b32_e32 v63, 0
	s_and_saveexec_b64 s[12:13], vcc
	s_cbranch_execz .LBB923_357
; %bb.352:                              ;   in Loop: Header=BB923_213 Depth=1
	v_lshrrev_b32_e32 v44, 24, v42
	v_cmp_ne_u32_e32 vcc, s9, v44
	v_mov_b32_e32 v63, 0xffff8000
	s_and_saveexec_b64 s[14:15], vcc
	s_cbranch_execz .LBB923_356
; %bb.353:                              ;   in Loop: Header=BB923_213 Depth=1
	v_bfe_u32 v42, v42, 24, 7
	v_cmp_ne_u32_e32 vcc, s21, v42
	v_mov_b32_e32 v63, 0x7f80
	s_and_saveexec_b64 s[16:17], vcc
	s_cbranch_execz .LBB923_355
; %bb.354:                              ;   in Loop: Header=BB923_213 Depth=1
	v_and_b32_e32 v63, 7, v44
	v_ffbh_u32_e32 v64, v63
	v_min_u32_e32 v67, 32, v64
	v_subrev_u32_e32 v64, 28, v67
	v_lshlrev_b64 v[64:65], v64, v[44:45]
	v_lshrrev_b32_e32 v66, 3, v42
	v_sub_u32_e32 v65, 29, v67
	v_and_b32_e32 v64, 7, v64
	v_cmp_gt_u32_e32 vcc, 8, v42
	v_cndmask_b32_e32 v42, v66, v65, vcc
	v_cndmask_b32_e32 v63, v63, v64, vcc
	v_lshlrev_b32_e32 v44, 24, v44
	v_lshlrev_b32_e32 v63, 20, v63
	v_and_b32_e32 v44, 0x80000000, v44
	v_lshl_add_u32 v42, v42, 23, v48
	v_or3_b32 v42, v44, v42, v63
	v_lshrrev_b32_e32 v63, 16, v42
.LBB923_355:                            ;   in Loop: Header=BB923_213 Depth=1
	s_or_b64 exec, exec, s[16:17]
.LBB923_356:                            ;   in Loop: Header=BB923_213 Depth=1
	s_or_b64 exec, exec, s[14:15]
.LBB923_357:                            ;   in Loop: Header=BB923_213 Depth=1
	s_or_b64 exec, exec, s[12:13]
	v_perm_b32 v51, v53, v51, s23
	v_perm_b32 v50, v50, v49, s23
	s_waitcnt vmcnt(1)
	v_cmp_ne_u16_sdwa s[14:15], v40, v47 src0_sel:BYTE_0 src1_sel:DWORD
	v_mfma_f32_16x16x16bf16_1k v[34:37], v[50:51], v[10:11], v[34:37]
	v_perm_b32 v51, v63, v62, s23
	v_perm_b32 v50, v61, v52, s23
	s_nop 1
	v_mfma_f32_16x16x16bf16_1k v[34:37], v[50:51], v[12:13], v[34:37]
	s_and_saveexec_b64 s[12:13], s[14:15]
	s_cbranch_execz .LBB923_363
; %bb.358:                              ;   in Loop: Header=BB923_213 Depth=1
	v_cmp_ne_u16_sdwa s[16:17], v40, s9 src0_sel:BYTE_0 src1_sel:DWORD
	v_mov_b32_e32 v46, 0xffff8000
	s_and_saveexec_b64 s[14:15], s[16:17]
	s_cbranch_execz .LBB923_362
; %bb.359:                              ;   in Loop: Header=BB923_213 Depth=1
	v_and_b32_e32 v42, 0x7f, v40
	v_cmp_ne_u32_e32 vcc, s21, v42
	v_mov_b32_e32 v46, 0x7f80
	s_and_saveexec_b64 s[16:17], vcc
	s_cbranch_execz .LBB923_361
; %bb.360:                              ;   in Loop: Header=BB923_213 Depth=1
	v_and_b32_e32 v44, 7, v40
	v_ffbh_u32_e32 v49, v44
	v_min_u32_e32 v49, 32, v49
	v_subrev_u32_e32 v50, 28, v49
	v_lshlrev_b64 v[50:51], v50, v[40:41]
	v_lshrrev_b32_e32 v46, 3, v42
	v_sub_u32_e32 v49, 29, v49
	v_and_b32_e32 v50, 7, v50
	v_cmp_gt_u32_e32 vcc, 8, v42
	v_cndmask_b32_e32 v42, v46, v49, vcc
	v_cndmask_b32_e32 v44, v44, v50, vcc
	v_lshlrev_b32_e32 v46, 24, v40
	v_lshlrev_b32_e32 v44, 20, v44
	v_and_b32_e32 v46, 0x80000000, v46
	v_lshl_add_u32 v42, v42, 23, v48
	v_or3_b32 v42, v46, v42, v44
	v_lshrrev_b32_e32 v46, 16, v42
.LBB923_361:                            ;   in Loop: Header=BB923_213 Depth=1
	s_or_b64 exec, exec, s[16:17]
.LBB923_362:                            ;   in Loop: Header=BB923_213 Depth=1
	s_or_b64 exec, exec, s[14:15]
.LBB923_363:                            ;   in Loop: Header=BB923_213 Depth=1
	s_or_b64 exec, exec, s[12:13]
	v_lshrrev_b16_e32 v42, 8, v40
	v_cmp_ne_u16_e32 vcc, 0, v42
	v_mov_b32_e32 v50, 0
	v_mov_b32_e32 v44, 0
	s_and_saveexec_b64 s[12:13], vcc
	s_cbranch_execz .LBB923_369
; %bb.364:                              ;   in Loop: Header=BB923_213 Depth=1
	v_cmp_ne_u16_e32 vcc, s9, v42
	v_mov_b32_e32 v44, 0xffff8000
	s_and_saveexec_b64 s[14:15], vcc
	s_cbranch_execz .LBB923_368
; %bb.365:                              ;   in Loop: Header=BB923_213 Depth=1
	v_and_b32_e32 v49, 0x7f, v42
	v_cmp_ne_u32_e32 vcc, s21, v49
	v_mov_b32_e32 v44, 0x7f80
	s_and_saveexec_b64 s[16:17], vcc
	s_cbranch_execz .LBB923_367
; %bb.366:                              ;   in Loop: Header=BB923_213 Depth=1
	v_and_b32_e32 v44, 7, v42
	v_ffbh_u32_e32 v52, v44
	v_min_u32_e32 v61, 32, v52
	v_subrev_u32_e32 v52, 28, v61
	v_lshlrev_b64 v[52:53], v52, v[42:43]
	v_lshrrev_b32_e32 v51, 3, v49
	v_sub_u32_e32 v42, 29, v61
	v_and_b32_e32 v52, 7, v52
	v_cmp_gt_u32_e32 vcc, 8, v49
	v_cndmask_b32_e32 v42, v51, v42, vcc
	v_cndmask_b32_e32 v44, v44, v52, vcc
	v_lshlrev_b32_e32 v49, 16, v40
	v_lshlrev_b32_e32 v44, 20, v44
	v_and_b32_e32 v49, 0x80000000, v49
	v_lshl_add_u32 v42, v42, 23, v48
	v_or3_b32 v42, v49, v42, v44
	v_lshrrev_b32_e32 v44, 16, v42
.LBB923_367:                            ;   in Loop: Header=BB923_213 Depth=1
	s_or_b64 exec, exec, s[16:17]
.LBB923_368:                            ;   in Loop: Header=BB923_213 Depth=1
	s_or_b64 exec, exec, s[14:15]
.LBB923_369:                            ;   in Loop: Header=BB923_213 Depth=1
	s_or_b64 exec, exec, s[12:13]
	v_lshrrev_b32_e32 v42, 16, v40
	v_cmp_ne_u16_sdwa s[14:15], v42, v47 src0_sel:BYTE_0 src1_sel:DWORD
	s_and_saveexec_b64 s[12:13], s[14:15]
	s_cbranch_execz .LBB923_375
; %bb.370:                              ;   in Loop: Header=BB923_213 Depth=1
	v_cmp_ne_u16_sdwa s[16:17], v42, s9 src0_sel:BYTE_0 src1_sel:DWORD
	v_mov_b32_e32 v50, 0xffff8000
	s_and_saveexec_b64 s[14:15], s[16:17]
	s_cbranch_execz .LBB923_374
; %bb.371:                              ;   in Loop: Header=BB923_213 Depth=1
	v_bfe_u32 v49, v40, 16, 7
	v_cmp_ne_u32_e32 vcc, s21, v49
	v_mov_b32_e32 v50, 0x7f80
	s_and_saveexec_b64 s[16:17], vcc
	s_cbranch_execz .LBB923_373
; %bb.372:                              ;   in Loop: Header=BB923_213 Depth=1
	v_and_b32_e32 v52, 7, v42
	v_ffbh_u32_e32 v50, v52
	v_min_u32_e32 v61, 32, v50
	v_subrev_u32_e32 v50, 28, v61
	v_lshlrev_b64 v[50:51], v50, v[42:43]
	v_lshrrev_b32_e32 v53, 3, v49
	v_sub_u32_e32 v51, 29, v61
	v_and_b32_e32 v50, 7, v50
	v_cmp_gt_u32_e32 vcc, 8, v49
	v_cndmask_b32_e32 v49, v53, v51, vcc
	v_cndmask_b32_e32 v50, v52, v50, vcc
	v_lshlrev_b32_e32 v42, 24, v42
	v_lshlrev_b32_e32 v50, 20, v50
	v_and_b32_e32 v42, 0x80000000, v42
	v_lshl_add_u32 v49, v49, 23, v48
	v_or3_b32 v42, v42, v49, v50
	v_lshrrev_b32_e32 v50, 16, v42
.LBB923_373:                            ;   in Loop: Header=BB923_213 Depth=1
	s_or_b64 exec, exec, s[16:17]
.LBB923_374:                            ;   in Loop: Header=BB923_213 Depth=1
	s_or_b64 exec, exec, s[14:15]
.LBB923_375:                            ;   in Loop: Header=BB923_213 Depth=1
	s_or_b64 exec, exec, s[12:13]
	v_cmp_lt_u32_e32 vcc, s22, v40
	v_mov_b32_e32 v51, 0
	v_mov_b32_e32 v52, 0
	s_and_saveexec_b64 s[12:13], vcc
	s_cbranch_execz .LBB923_381
; %bb.376:                              ;   in Loop: Header=BB923_213 Depth=1
	v_lshrrev_b32_e32 v42, 24, v40
	v_cmp_ne_u32_e32 vcc, s9, v42
	v_mov_b32_e32 v52, 0xffff8000
	s_and_saveexec_b64 s[14:15], vcc
	s_cbranch_execz .LBB923_380
; %bb.377:                              ;   in Loop: Header=BB923_213 Depth=1
	v_bfe_u32 v40, v40, 24, 7
	v_cmp_ne_u32_e32 vcc, s21, v40
	v_mov_b32_e32 v52, 0x7f80
	s_and_saveexec_b64 s[16:17], vcc
	s_cbranch_execz .LBB923_379
; %bb.378:                              ;   in Loop: Header=BB923_213 Depth=1
	v_and_b32_e32 v49, 7, v42
	v_ffbh_u32_e32 v52, v49
	v_min_u32_e32 v62, 32, v52
	v_subrev_u32_e32 v52, 28, v62
	v_lshlrev_b64 v[52:53], v52, v[42:43]
	v_lshrrev_b32_e32 v61, 3, v40
	v_sub_u32_e32 v53, 29, v62
	v_and_b32_e32 v52, 7, v52
	v_cmp_gt_u32_e32 vcc, 8, v40
	v_cndmask_b32_e32 v40, v61, v53, vcc
	v_cndmask_b32_e32 v49, v49, v52, vcc
	v_lshlrev_b32_e32 v42, 24, v42
	v_lshlrev_b32_e32 v49, 20, v49
	v_and_b32_e32 v42, 0x80000000, v42
	v_lshl_add_u32 v40, v40, 23, v48
	v_or3_b32 v40, v42, v40, v49
	v_lshrrev_b32_e32 v52, 16, v40
.LBB923_379:                            ;   in Loop: Header=BB923_213 Depth=1
	s_or_b64 exec, exec, s[16:17]
.LBB923_380:                            ;   in Loop: Header=BB923_213 Depth=1
	s_or_b64 exec, exec, s[14:15]
.LBB923_381:                            ;   in Loop: Header=BB923_213 Depth=1
	s_or_b64 exec, exec, s[12:13]
	s_waitcnt vmcnt(0)
	v_cmp_ne_u16_sdwa s[14:15], v38, v47 src0_sel:BYTE_0 src1_sel:DWORD
	s_and_saveexec_b64 s[12:13], s[14:15]
	s_cbranch_execz .LBB923_387
; %bb.382:                              ;   in Loop: Header=BB923_213 Depth=1
	v_cmp_ne_u16_sdwa s[16:17], v38, s9 src0_sel:BYTE_0 src1_sel:DWORD
	v_mov_b32_e32 v51, 0xffff8000
	s_and_saveexec_b64 s[14:15], s[16:17]
	s_cbranch_execz .LBB923_386
; %bb.383:                              ;   in Loop: Header=BB923_213 Depth=1
	v_and_b32_e32 v40, 0x7f, v38
	v_cmp_ne_u32_e32 vcc, s21, v40
	v_mov_b32_e32 v51, 0x7f80
	s_and_saveexec_b64 s[16:17], vcc
	s_cbranch_execz .LBB923_385
; %bb.384:                              ;   in Loop: Header=BB923_213 Depth=1
	v_and_b32_e32 v42, 7, v38
	v_ffbh_u32_e32 v51, v42
	v_min_u32_e32 v51, 32, v51
	v_subrev_u32_e32 v53, 28, v51
	v_lshlrev_b64 v[62:63], v53, v[38:39]
	v_lshrrev_b32_e32 v49, 3, v40
	v_sub_u32_e32 v51, 29, v51
	v_and_b32_e32 v53, 7, v62
	v_cmp_gt_u32_e32 vcc, 8, v40
	v_cndmask_b32_e32 v40, v49, v51, vcc
	v_cndmask_b32_e32 v42, v42, v53, vcc
	v_lshlrev_b32_e32 v49, 24, v38
	v_lshlrev_b32_e32 v42, 20, v42
	v_and_b32_e32 v49, 0x80000000, v49
	v_lshl_add_u32 v40, v40, 23, v48
	v_or3_b32 v40, v49, v40, v42
	v_lshrrev_b32_e32 v51, 16, v40
.LBB923_385:                            ;   in Loop: Header=BB923_213 Depth=1
	s_or_b64 exec, exec, s[16:17]
.LBB923_386:                            ;   in Loop: Header=BB923_213 Depth=1
	s_or_b64 exec, exec, s[14:15]
.LBB923_387:                            ;   in Loop: Header=BB923_213 Depth=1
	s_or_b64 exec, exec, s[12:13]
	v_lshrrev_b16_e32 v40, 8, v38
	v_cmp_ne_u16_e32 vcc, 0, v40
	v_mov_b32_e32 v61, 0
	v_mov_b32_e32 v53, 0
	s_and_saveexec_b64 s[12:13], vcc
	s_cbranch_execz .LBB923_393
; %bb.388:                              ;   in Loop: Header=BB923_213 Depth=1
	v_cmp_ne_u16_e32 vcc, s9, v40
	v_mov_b32_e32 v53, 0xffff8000
	s_and_saveexec_b64 s[14:15], vcc
	s_cbranch_execz .LBB923_392
; %bb.389:                              ;   in Loop: Header=BB923_213 Depth=1
	v_and_b32_e32 v42, 0x7f, v40
	v_cmp_ne_u32_e32 vcc, s21, v42
	v_mov_b32_e32 v53, 0x7f80
	s_and_saveexec_b64 s[16:17], vcc
	s_cbranch_execz .LBB923_391
; %bb.390:                              ;   in Loop: Header=BB923_213 Depth=1
	v_and_b32_e32 v49, 7, v40
	v_ffbh_u32_e32 v62, v49
	v_min_u32_e32 v64, 32, v62
	v_subrev_u32_e32 v62, 28, v64
	v_lshlrev_b64 v[62:63], v62, v[40:41]
	v_lshrrev_b32_e32 v53, 3, v42
	v_sub_u32_e32 v40, 29, v64
	v_and_b32_e32 v62, 7, v62
	v_cmp_gt_u32_e32 vcc, 8, v42
	v_cndmask_b32_e32 v40, v53, v40, vcc
	v_cndmask_b32_e32 v42, v49, v62, vcc
	v_lshlrev_b32_e32 v49, 16, v38
	v_lshlrev_b32_e32 v42, 20, v42
	v_and_b32_e32 v49, 0x80000000, v49
	v_lshl_add_u32 v40, v40, 23, v48
	v_or3_b32 v40, v49, v40, v42
	v_lshrrev_b32_e32 v53, 16, v40
.LBB923_391:                            ;   in Loop: Header=BB923_213 Depth=1
	s_or_b64 exec, exec, s[16:17]
.LBB923_392:                            ;   in Loop: Header=BB923_213 Depth=1
	s_or_b64 exec, exec, s[14:15]
.LBB923_393:                            ;   in Loop: Header=BB923_213 Depth=1
	s_or_b64 exec, exec, s[12:13]
	v_lshrrev_b32_e32 v40, 16, v38
	v_cmp_ne_u16_sdwa s[14:15], v40, v47 src0_sel:BYTE_0 src1_sel:DWORD
	s_and_saveexec_b64 s[12:13], s[14:15]
	s_cbranch_execz .LBB923_399
; %bb.394:                              ;   in Loop: Header=BB923_213 Depth=1
	v_cmp_ne_u16_sdwa s[16:17], v40, s9 src0_sel:BYTE_0 src1_sel:DWORD
	v_mov_b32_e32 v61, 0xffff8000
	s_and_saveexec_b64 s[14:15], s[16:17]
	s_cbranch_execz .LBB923_398
; %bb.395:                              ;   in Loop: Header=BB923_213 Depth=1
	v_bfe_u32 v42, v38, 16, 7
	v_cmp_ne_u32_e32 vcc, s21, v42
	v_mov_b32_e32 v61, 0x7f80
	s_and_saveexec_b64 s[16:17], vcc
	s_cbranch_execz .LBB923_397
; %bb.396:                              ;   in Loop: Header=BB923_213 Depth=1
	v_and_b32_e32 v49, 7, v40
	v_ffbh_u32_e32 v62, v49
	v_min_u32_e32 v64, 32, v62
	v_subrev_u32_e32 v62, 28, v64
	v_lshlrev_b64 v[62:63], v62, v[40:41]
	v_lshrrev_b32_e32 v61, 3, v42
	v_sub_u32_e32 v63, 29, v64
	v_and_b32_e32 v62, 7, v62
	v_cmp_gt_u32_e32 vcc, 8, v42
	v_cndmask_b32_e32 v42, v61, v63, vcc
	v_cndmask_b32_e32 v49, v49, v62, vcc
	v_lshlrev_b32_e32 v40, 24, v40
	v_lshlrev_b32_e32 v49, 20, v49
	v_and_b32_e32 v40, 0x80000000, v40
	v_lshl_add_u32 v42, v42, 23, v48
	v_or3_b32 v40, v40, v42, v49
	v_lshrrev_b32_e32 v61, 16, v40
.LBB923_397:                            ;   in Loop: Header=BB923_213 Depth=1
	s_or_b64 exec, exec, s[16:17]
.LBB923_398:                            ;   in Loop: Header=BB923_213 Depth=1
	s_or_b64 exec, exec, s[14:15]
.LBB923_399:                            ;   in Loop: Header=BB923_213 Depth=1
	s_or_b64 exec, exec, s[12:13]
	v_cmp_lt_u32_e32 vcc, s22, v38
	v_mov_b32_e32 v49, 0
	v_mov_b32_e32 v62, 0
	s_and_saveexec_b64 s[12:13], vcc
	s_cbranch_execz .LBB923_405
; %bb.400:                              ;   in Loop: Header=BB923_213 Depth=1
	v_lshrrev_b32_e32 v40, 24, v38
	v_cmp_ne_u32_e32 vcc, s9, v40
	v_mov_b32_e32 v62, 0xffff8000
	s_and_saveexec_b64 s[14:15], vcc
	s_cbranch_execz .LBB923_404
; %bb.401:                              ;   in Loop: Header=BB923_213 Depth=1
	v_bfe_u32 v38, v38, 24, 7
	v_cmp_ne_u32_e32 vcc, s21, v38
	v_mov_b32_e32 v62, 0x7f80
	s_and_saveexec_b64 s[16:17], vcc
	s_cbranch_execz .LBB923_403
; %bb.402:                              ;   in Loop: Header=BB923_213 Depth=1
	v_and_b32_e32 v42, 7, v40
	v_ffbh_u32_e32 v62, v42
	v_min_u32_e32 v65, 32, v62
	v_subrev_u32_e32 v62, 28, v65
	v_lshlrev_b64 v[62:63], v62, v[40:41]
	v_lshrrev_b32_e32 v64, 3, v38
	v_sub_u32_e32 v63, 29, v65
	v_and_b32_e32 v62, 7, v62
	v_cmp_gt_u32_e32 vcc, 8, v38
	v_cndmask_b32_e32 v38, v64, v63, vcc
	v_cndmask_b32_e32 v42, v42, v62, vcc
	v_lshlrev_b32_e32 v40, 24, v40
	v_lshlrev_b32_e32 v42, 20, v42
	v_and_b32_e32 v40, 0x80000000, v40
	v_lshl_add_u32 v38, v38, 23, v48
	v_or3_b32 v38, v40, v38, v42
	v_lshrrev_b32_e32 v62, 16, v38
.LBB923_403:                            ;   in Loop: Header=BB923_213 Depth=1
	s_or_b64 exec, exec, s[16:17]
.LBB923_404:                            ;   in Loop: Header=BB923_213 Depth=1
	s_or_b64 exec, exec, s[14:15]
.LBB923_405:                            ;   in Loop: Header=BB923_213 Depth=1
	s_or_b64 exec, exec, s[12:13]
	v_perm_b32 v64, v44, v46, s23
	buffer_load_dword v44, v60, s[0:3], 0 offen
	buffer_load_dword v42, v60, s[0:3], 0 offen offset:4
	buffer_load_dword v40, v60, s[0:3], 0 offen offset:8
	;; [unrolled: 1-line block ×3, first 2 shown]
	v_perm_b32 v65, v52, v50, s23
	v_perm_b32 v61, v62, v61, s23
	;; [unrolled: 1-line block ×3, first 2 shown]
	v_mfma_f32_16x16x16bf16_1k v[34:37], v[64:65], v[14:15], v[34:37]
	s_waitcnt vmcnt(3)
	v_cmp_ne_u16_sdwa s[14:15], v44, v47 src0_sel:BYTE_0 src1_sel:DWORD
	v_mfma_f32_16x16x16bf16_1k v[34:37], v[60:61], v[16:17], v[34:37]
	s_and_saveexec_b64 s[12:13], s[14:15]
	s_cbranch_execz .LBB923_411
; %bb.406:                              ;   in Loop: Header=BB923_213 Depth=1
	v_cmp_ne_u16_sdwa s[16:17], v44, s9 src0_sel:BYTE_0 src1_sel:DWORD
	v_mov_b32_e32 v49, 0xffff8000
	s_and_saveexec_b64 s[14:15], s[16:17]
	s_cbranch_execz .LBB923_410
; %bb.407:                              ;   in Loop: Header=BB923_213 Depth=1
	v_and_b32_e32 v46, 0x7f, v44
	v_cmp_ne_u32_e32 vcc, s21, v46
	v_mov_b32_e32 v49, 0x7f80
	s_and_saveexec_b64 s[16:17], vcc
	s_cbranch_execz .LBB923_409
; %bb.408:                              ;   in Loop: Header=BB923_213 Depth=1
	v_and_b32_e32 v49, 7, v44
	v_ffbh_u32_e32 v50, v49
	v_min_u32_e32 v53, 32, v50
	v_subrev_u32_e32 v50, 28, v53
	v_lshlrev_b64 v[50:51], v50, v[44:45]
	v_lshrrev_b32_e32 v52, 3, v46
	v_sub_u32_e32 v51, 29, v53
	v_and_b32_e32 v50, 7, v50
	v_cmp_gt_u32_e32 vcc, 8, v46
	v_cndmask_b32_e32 v46, v52, v51, vcc
	v_cndmask_b32_e32 v49, v49, v50, vcc
	v_lshlrev_b32_e32 v50, 24, v44
	v_lshlrev_b32_e32 v49, 20, v49
	v_and_b32_e32 v50, 0x80000000, v50
	v_lshl_add_u32 v46, v46, 23, v48
	v_or3_b32 v46, v50, v46, v49
	v_lshrrev_b32_e32 v49, 16, v46
.LBB923_409:                            ;   in Loop: Header=BB923_213 Depth=1
	s_or_b64 exec, exec, s[16:17]
.LBB923_410:                            ;   in Loop: Header=BB923_213 Depth=1
	s_or_b64 exec, exec, s[14:15]
.LBB923_411:                            ;   in Loop: Header=BB923_213 Depth=1
	s_or_b64 exec, exec, s[12:13]
	v_lshrrev_b16_e32 v46, 8, v44
	v_cmp_ne_u16_e32 vcc, 0, v46
	v_mov_b32_e32 v51, 0
	v_mov_b32_e32 v50, 0
	s_and_saveexec_b64 s[12:13], vcc
	s_cbranch_execz .LBB923_417
; %bb.412:                              ;   in Loop: Header=BB923_213 Depth=1
	v_cmp_ne_u16_e32 vcc, s9, v46
	v_mov_b32_e32 v50, 0xffff8000
	s_and_saveexec_b64 s[14:15], vcc
	s_cbranch_execz .LBB923_416
; %bb.413:                              ;   in Loop: Header=BB923_213 Depth=1
	v_and_b32_e32 v52, 0x7f, v46
	v_cmp_ne_u32_e32 vcc, s21, v52
	v_mov_b32_e32 v50, 0x7f80
	s_and_saveexec_b64 s[16:17], vcc
	s_cbranch_execz .LBB923_415
; %bb.414:                              ;   in Loop: Header=BB923_213 Depth=1
	v_and_b32_e32 v50, 7, v46
	v_ffbh_u32_e32 v60, v50
	v_min_u32_e32 v62, 32, v60
	v_subrev_u32_e32 v60, 28, v62
	v_lshlrev_b64 v[60:61], v60, v[46:47]
	v_lshrrev_b32_e32 v53, 3, v52
	v_sub_u32_e32 v46, 29, v62
	v_and_b32_e32 v60, 7, v60
	v_cmp_gt_u32_e32 vcc, 8, v52
	v_cndmask_b32_e32 v46, v53, v46, vcc
	v_cndmask_b32_e32 v50, v50, v60, vcc
	v_lshlrev_b32_e32 v52, 16, v44
	v_lshlrev_b32_e32 v50, 20, v50
	v_and_b32_e32 v52, 0x80000000, v52
	v_lshl_add_u32 v46, v46, 23, v48
	v_or3_b32 v46, v52, v46, v50
	v_lshrrev_b32_e32 v50, 16, v46
.LBB923_415:                            ;   in Loop: Header=BB923_213 Depth=1
	s_or_b64 exec, exec, s[16:17]
.LBB923_416:                            ;   in Loop: Header=BB923_213 Depth=1
	s_or_b64 exec, exec, s[14:15]
.LBB923_417:                            ;   in Loop: Header=BB923_213 Depth=1
	s_or_b64 exec, exec, s[12:13]
	v_lshrrev_b32_e32 v46, 16, v44
	v_cmp_ne_u16_sdwa s[14:15], v46, v47 src0_sel:BYTE_0 src1_sel:DWORD
	s_and_saveexec_b64 s[12:13], s[14:15]
	s_cbranch_execz .LBB923_423
; %bb.418:                              ;   in Loop: Header=BB923_213 Depth=1
	v_cmp_ne_u16_sdwa s[16:17], v46, s9 src0_sel:BYTE_0 src1_sel:DWORD
	v_mov_b32_e32 v51, 0xffff8000
	s_and_saveexec_b64 s[14:15], s[16:17]
	s_cbranch_execz .LBB923_422
; %bb.419:                              ;   in Loop: Header=BB923_213 Depth=1
	v_bfe_u32 v52, v44, 16, 7
	v_cmp_ne_u32_e32 vcc, s21, v52
	v_mov_b32_e32 v51, 0x7f80
	s_and_saveexec_b64 s[16:17], vcc
	s_cbranch_execz .LBB923_421
; %bb.420:                              ;   in Loop: Header=BB923_213 Depth=1
	v_and_b32_e32 v51, 7, v46
	v_ffbh_u32_e32 v60, v51
	v_min_u32_e32 v62, 32, v60
	v_subrev_u32_e32 v60, 28, v62
	v_lshlrev_b64 v[60:61], v60, v[46:47]
	v_lshrrev_b32_e32 v53, 3, v52
	v_sub_u32_e32 v61, 29, v62
	v_and_b32_e32 v60, 7, v60
	v_cmp_gt_u32_e32 vcc, 8, v52
	v_cndmask_b32_e32 v52, v53, v61, vcc
	v_cndmask_b32_e32 v51, v51, v60, vcc
	v_lshlrev_b32_e32 v46, 24, v46
	v_lshlrev_b32_e32 v51, 20, v51
	v_and_b32_e32 v46, 0x80000000, v46
	v_lshl_add_u32 v52, v52, 23, v48
	v_or3_b32 v46, v46, v52, v51
	v_lshrrev_b32_e32 v51, 16, v46
.LBB923_421:                            ;   in Loop: Header=BB923_213 Depth=1
	s_or_b64 exec, exec, s[16:17]
.LBB923_422:                            ;   in Loop: Header=BB923_213 Depth=1
	s_or_b64 exec, exec, s[14:15]
.LBB923_423:                            ;   in Loop: Header=BB923_213 Depth=1
	s_or_b64 exec, exec, s[12:13]
	v_cmp_lt_u32_e32 vcc, s22, v44
	v_mov_b32_e32 v52, 0
	v_mov_b32_e32 v53, 0
	s_and_saveexec_b64 s[12:13], vcc
	s_cbranch_execz .LBB923_429
; %bb.424:                              ;   in Loop: Header=BB923_213 Depth=1
	v_lshrrev_b32_e32 v46, 24, v44
	v_cmp_ne_u32_e32 vcc, s9, v46
	v_mov_b32_e32 v53, 0xffff8000
	s_and_saveexec_b64 s[14:15], vcc
	s_cbranch_execz .LBB923_428
; %bb.425:                              ;   in Loop: Header=BB923_213 Depth=1
	v_bfe_u32 v44, v44, 24, 7
	v_cmp_ne_u32_e32 vcc, s21, v44
	v_mov_b32_e32 v53, 0x7f80
	s_and_saveexec_b64 s[16:17], vcc
	s_cbranch_execz .LBB923_427
; %bb.426:                              ;   in Loop: Header=BB923_213 Depth=1
	v_and_b32_e32 v53, 7, v46
	v_ffbh_u32_e32 v60, v53
	v_min_u32_e32 v63, 32, v60
	v_subrev_u32_e32 v60, 28, v63
	v_lshlrev_b64 v[60:61], v60, v[46:47]
	v_lshrrev_b32_e32 v62, 3, v44
	v_sub_u32_e32 v61, 29, v63
	v_and_b32_e32 v60, 7, v60
	v_cmp_gt_u32_e32 vcc, 8, v44
	v_cndmask_b32_e32 v44, v62, v61, vcc
	v_cndmask_b32_e32 v53, v53, v60, vcc
	v_lshlrev_b32_e32 v46, 24, v46
	v_lshlrev_b32_e32 v53, 20, v53
	v_and_b32_e32 v46, 0x80000000, v46
	v_lshl_add_u32 v44, v44, 23, v48
	v_or3_b32 v44, v46, v44, v53
	v_lshrrev_b32_e32 v53, 16, v44
.LBB923_427:                            ;   in Loop: Header=BB923_213 Depth=1
	s_or_b64 exec, exec, s[16:17]
.LBB923_428:                            ;   in Loop: Header=BB923_213 Depth=1
	s_or_b64 exec, exec, s[14:15]
.LBB923_429:                            ;   in Loop: Header=BB923_213 Depth=1
	s_or_b64 exec, exec, s[12:13]
	s_waitcnt vmcnt(2)
	v_cmp_ne_u16_sdwa s[14:15], v42, v47 src0_sel:BYTE_0 src1_sel:DWORD
	s_and_saveexec_b64 s[12:13], s[14:15]
	s_cbranch_execz .LBB923_435
; %bb.430:                              ;   in Loop: Header=BB923_213 Depth=1
	v_cmp_ne_u16_sdwa s[16:17], v42, s9 src0_sel:BYTE_0 src1_sel:DWORD
	v_mov_b32_e32 v52, 0xffff8000
	s_and_saveexec_b64 s[14:15], s[16:17]
	s_cbranch_execz .LBB923_434
; %bb.431:                              ;   in Loop: Header=BB923_213 Depth=1
	v_and_b32_e32 v44, 0x7f, v42
	v_cmp_ne_u32_e32 vcc, s21, v44
	v_mov_b32_e32 v52, 0x7f80
	s_and_saveexec_b64 s[16:17], vcc
	s_cbranch_execz .LBB923_433
; %bb.432:                              ;   in Loop: Header=BB923_213 Depth=1
	v_and_b32_e32 v46, 7, v42
	v_ffbh_u32_e32 v60, v46
	v_min_u32_e32 v62, 32, v60
	v_subrev_u32_e32 v60, 28, v62
	v_lshlrev_b64 v[60:61], v60, v[42:43]
	v_lshrrev_b32_e32 v52, 3, v44
	v_sub_u32_e32 v61, 29, v62
	v_and_b32_e32 v60, 7, v60
	v_cmp_gt_u32_e32 vcc, 8, v44
	v_cndmask_b32_e32 v44, v52, v61, vcc
	v_cndmask_b32_e32 v46, v46, v60, vcc
	v_lshlrev_b32_e32 v52, 24, v42
	v_lshlrev_b32_e32 v46, 20, v46
	v_and_b32_e32 v52, 0x80000000, v52
	v_lshl_add_u32 v44, v44, 23, v48
	v_or3_b32 v44, v52, v44, v46
	v_lshrrev_b32_e32 v52, 16, v44
.LBB923_433:                            ;   in Loop: Header=BB923_213 Depth=1
	s_or_b64 exec, exec, s[16:17]
.LBB923_434:                            ;   in Loop: Header=BB923_213 Depth=1
	s_or_b64 exec, exec, s[14:15]
.LBB923_435:                            ;   in Loop: Header=BB923_213 Depth=1
	s_or_b64 exec, exec, s[12:13]
	v_lshrrev_b16_e32 v44, 8, v42
	v_cmp_ne_u16_e32 vcc, 0, v44
	v_mov_b32_e32 v61, 0
	v_mov_b32_e32 v60, 0
	s_and_saveexec_b64 s[12:13], vcc
	s_cbranch_execz .LBB923_441
; %bb.436:                              ;   in Loop: Header=BB923_213 Depth=1
	v_cmp_ne_u16_e32 vcc, s9, v44
	v_mov_b32_e32 v60, 0xffff8000
	s_and_saveexec_b64 s[14:15], vcc
	s_cbranch_execz .LBB923_440
; %bb.437:                              ;   in Loop: Header=BB923_213 Depth=1
	v_and_b32_e32 v46, 0x7f, v44
	v_cmp_ne_u32_e32 vcc, s21, v46
	v_mov_b32_e32 v60, 0x7f80
	s_and_saveexec_b64 s[16:17], vcc
	s_cbranch_execz .LBB923_439
; %bb.438:                              ;   in Loop: Header=BB923_213 Depth=1
	v_and_b32_e32 v60, 7, v44
	v_ffbh_u32_e32 v62, v60
	v_min_u32_e32 v65, 32, v62
	v_subrev_u32_e32 v62, 28, v65
	v_lshlrev_b64 v[62:63], v62, v[44:45]
	v_lshrrev_b32_e32 v64, 3, v46
	v_sub_u32_e32 v44, 29, v65
	v_and_b32_e32 v62, 7, v62
	v_cmp_gt_u32_e32 vcc, 8, v46
	v_cndmask_b32_e32 v44, v64, v44, vcc
	v_cndmask_b32_e32 v46, v60, v62, vcc
	v_lshlrev_b32_e32 v60, 16, v42
	v_lshlrev_b32_e32 v46, 20, v46
	v_and_b32_e32 v60, 0x80000000, v60
	v_lshl_add_u32 v44, v44, 23, v48
	v_or3_b32 v44, v60, v44, v46
	v_lshrrev_b32_e32 v60, 16, v44
.LBB923_439:                            ;   in Loop: Header=BB923_213 Depth=1
	s_or_b64 exec, exec, s[16:17]
.LBB923_440:                            ;   in Loop: Header=BB923_213 Depth=1
	s_or_b64 exec, exec, s[14:15]
.LBB923_441:                            ;   in Loop: Header=BB923_213 Depth=1
	s_or_b64 exec, exec, s[12:13]
	v_lshrrev_b32_e32 v44, 16, v42
	v_cmp_ne_u16_sdwa s[14:15], v44, v47 src0_sel:BYTE_0 src1_sel:DWORD
	s_and_saveexec_b64 s[12:13], s[14:15]
	s_cbranch_execz .LBB923_447
; %bb.442:                              ;   in Loop: Header=BB923_213 Depth=1
	v_cmp_ne_u16_sdwa s[16:17], v44, s9 src0_sel:BYTE_0 src1_sel:DWORD
	v_mov_b32_e32 v61, 0xffff8000
	s_and_saveexec_b64 s[14:15], s[16:17]
	s_cbranch_execz .LBB923_446
; %bb.443:                              ;   in Loop: Header=BB923_213 Depth=1
	v_bfe_u32 v46, v42, 16, 7
	v_cmp_ne_u32_e32 vcc, s21, v46
	v_mov_b32_e32 v61, 0x7f80
	s_and_saveexec_b64 s[16:17], vcc
	s_cbranch_execz .LBB923_445
; %bb.444:                              ;   in Loop: Header=BB923_213 Depth=1
	v_and_b32_e32 v61, 7, v44
	v_ffbh_u32_e32 v62, v61
	v_min_u32_e32 v65, 32, v62
	v_subrev_u32_e32 v62, 28, v65
	v_lshlrev_b64 v[62:63], v62, v[44:45]
	v_lshrrev_b32_e32 v64, 3, v46
	v_sub_u32_e32 v63, 29, v65
	v_and_b32_e32 v62, 7, v62
	v_cmp_gt_u32_e32 vcc, 8, v46
	v_cndmask_b32_e32 v46, v64, v63, vcc
	v_cndmask_b32_e32 v61, v61, v62, vcc
	v_lshlrev_b32_e32 v44, 24, v44
	v_lshlrev_b32_e32 v61, 20, v61
	v_and_b32_e32 v44, 0x80000000, v44
	v_lshl_add_u32 v46, v46, 23, v48
	v_or3_b32 v44, v44, v46, v61
	v_lshrrev_b32_e32 v61, 16, v44
.LBB923_445:                            ;   in Loop: Header=BB923_213 Depth=1
	s_or_b64 exec, exec, s[16:17]
.LBB923_446:                            ;   in Loop: Header=BB923_213 Depth=1
	s_or_b64 exec, exec, s[14:15]
.LBB923_447:                            ;   in Loop: Header=BB923_213 Depth=1
	s_or_b64 exec, exec, s[12:13]
	v_cmp_lt_u32_e32 vcc, s22, v42
	v_mov_b32_e32 v46, 0
	v_mov_b32_e32 v62, 0
	s_and_saveexec_b64 s[12:13], vcc
	s_cbranch_execz .LBB923_453
; %bb.448:                              ;   in Loop: Header=BB923_213 Depth=1
	v_lshrrev_b32_e32 v44, 24, v42
	v_cmp_ne_u32_e32 vcc, s9, v44
	v_mov_b32_e32 v62, 0xffff8000
	s_and_saveexec_b64 s[14:15], vcc
	s_cbranch_execz .LBB923_452
; %bb.449:                              ;   in Loop: Header=BB923_213 Depth=1
	v_bfe_u32 v42, v42, 24, 7
	v_cmp_ne_u32_e32 vcc, s21, v42
	v_mov_b32_e32 v62, 0x7f80
	s_and_saveexec_b64 s[16:17], vcc
	s_cbranch_execz .LBB923_451
; %bb.450:                              ;   in Loop: Header=BB923_213 Depth=1
	v_and_b32_e32 v64, 7, v44
	v_ffbh_u32_e32 v62, v64
	v_min_u32_e32 v66, 32, v62
	v_subrev_u32_e32 v62, 28, v66
	v_lshlrev_b64 v[62:63], v62, v[44:45]
	v_lshrrev_b32_e32 v65, 3, v42
	v_sub_u32_e32 v63, 29, v66
	v_and_b32_e32 v62, 7, v62
	v_cmp_gt_u32_e32 vcc, 8, v42
	v_cndmask_b32_e32 v42, v65, v63, vcc
	v_cndmask_b32_e32 v62, v64, v62, vcc
	v_lshlrev_b32_e32 v44, 24, v44
	v_lshlrev_b32_e32 v62, 20, v62
	v_and_b32_e32 v44, 0x80000000, v44
	v_lshl_add_u32 v42, v42, 23, v48
	v_or3_b32 v42, v44, v42, v62
	v_lshrrev_b32_e32 v62, 16, v42
.LBB923_451:                            ;   in Loop: Header=BB923_213 Depth=1
	s_or_b64 exec, exec, s[16:17]
.LBB923_452:                            ;   in Loop: Header=BB923_213 Depth=1
	s_or_b64 exec, exec, s[14:15]
.LBB923_453:                            ;   in Loop: Header=BB923_213 Depth=1
	s_or_b64 exec, exec, s[12:13]
	v_perm_b32 v51, v53, v51, s23
	v_perm_b32 v50, v50, v49, s23
	s_waitcnt vmcnt(1)
	v_cmp_ne_u16_sdwa s[14:15], v40, v47 src0_sel:BYTE_0 src1_sel:DWORD
	v_mfma_f32_16x16x16bf16_1k v[34:37], v[50:51], v[18:19], v[34:37]
	v_perm_b32 v51, v62, v61, s23
	v_perm_b32 v50, v60, v52, s23
	s_nop 1
	v_mfma_f32_16x16x16bf16_1k v[34:37], v[50:51], v[20:21], v[34:37]
	s_and_saveexec_b64 s[12:13], s[14:15]
	s_cbranch_execz .LBB923_459
; %bb.454:                              ;   in Loop: Header=BB923_213 Depth=1
	v_cmp_ne_u16_sdwa s[16:17], v40, s9 src0_sel:BYTE_0 src1_sel:DWORD
	v_mov_b32_e32 v46, 0xffff8000
	s_and_saveexec_b64 s[14:15], s[16:17]
	s_cbranch_execz .LBB923_458
; %bb.455:                              ;   in Loop: Header=BB923_213 Depth=1
	v_and_b32_e32 v42, 0x7f, v40
	v_cmp_ne_u32_e32 vcc, s21, v42
	v_mov_b32_e32 v46, 0x7f80
	s_and_saveexec_b64 s[16:17], vcc
	s_cbranch_execz .LBB923_457
; %bb.456:                              ;   in Loop: Header=BB923_213 Depth=1
	v_and_b32_e32 v44, 7, v40
	v_ffbh_u32_e32 v49, v44
	v_min_u32_e32 v49, 32, v49
	v_subrev_u32_e32 v50, 28, v49
	v_lshlrev_b64 v[50:51], v50, v[40:41]
	v_lshrrev_b32_e32 v46, 3, v42
	v_sub_u32_e32 v49, 29, v49
	v_and_b32_e32 v50, 7, v50
	v_cmp_gt_u32_e32 vcc, 8, v42
	v_cndmask_b32_e32 v42, v46, v49, vcc
	v_cndmask_b32_e32 v44, v44, v50, vcc
	v_lshlrev_b32_e32 v46, 24, v40
	v_lshlrev_b32_e32 v44, 20, v44
	v_and_b32_e32 v46, 0x80000000, v46
	v_lshl_add_u32 v42, v42, 23, v48
	v_or3_b32 v42, v46, v42, v44
	v_lshrrev_b32_e32 v46, 16, v42
.LBB923_457:                            ;   in Loop: Header=BB923_213 Depth=1
	s_or_b64 exec, exec, s[16:17]
.LBB923_458:                            ;   in Loop: Header=BB923_213 Depth=1
	s_or_b64 exec, exec, s[14:15]
.LBB923_459:                            ;   in Loop: Header=BB923_213 Depth=1
	s_or_b64 exec, exec, s[12:13]
	v_lshrrev_b16_e32 v42, 8, v40
	v_cmp_ne_u16_e32 vcc, 0, v42
	v_mov_b32_e32 v50, 0
	v_mov_b32_e32 v44, 0
	s_and_saveexec_b64 s[12:13], vcc
	s_cbranch_execz .LBB923_465
; %bb.460:                              ;   in Loop: Header=BB923_213 Depth=1
	v_cmp_ne_u16_e32 vcc, s9, v42
	v_mov_b32_e32 v44, 0xffff8000
	s_and_saveexec_b64 s[14:15], vcc
	s_cbranch_execz .LBB923_464
; %bb.461:                              ;   in Loop: Header=BB923_213 Depth=1
	v_and_b32_e32 v49, 0x7f, v42
	v_cmp_ne_u32_e32 vcc, s21, v49
	v_mov_b32_e32 v44, 0x7f80
	s_and_saveexec_b64 s[16:17], vcc
	s_cbranch_execz .LBB923_463
; %bb.462:                              ;   in Loop: Header=BB923_213 Depth=1
	v_and_b32_e32 v44, 7, v42
	v_ffbh_u32_e32 v52, v44
	v_min_u32_e32 v60, 32, v52
	v_subrev_u32_e32 v52, 28, v60
	v_lshlrev_b64 v[52:53], v52, v[42:43]
	v_lshrrev_b32_e32 v51, 3, v49
	v_sub_u32_e32 v42, 29, v60
	v_and_b32_e32 v52, 7, v52
	v_cmp_gt_u32_e32 vcc, 8, v49
	v_cndmask_b32_e32 v42, v51, v42, vcc
	v_cndmask_b32_e32 v44, v44, v52, vcc
	v_lshlrev_b32_e32 v49, 16, v40
	v_lshlrev_b32_e32 v44, 20, v44
	v_and_b32_e32 v49, 0x80000000, v49
	v_lshl_add_u32 v42, v42, 23, v48
	v_or3_b32 v42, v49, v42, v44
	v_lshrrev_b32_e32 v44, 16, v42
.LBB923_463:                            ;   in Loop: Header=BB923_213 Depth=1
	s_or_b64 exec, exec, s[16:17]
.LBB923_464:                            ;   in Loop: Header=BB923_213 Depth=1
	s_or_b64 exec, exec, s[14:15]
.LBB923_465:                            ;   in Loop: Header=BB923_213 Depth=1
	s_or_b64 exec, exec, s[12:13]
	v_lshrrev_b32_e32 v42, 16, v40
	v_cmp_ne_u16_sdwa s[14:15], v42, v47 src0_sel:BYTE_0 src1_sel:DWORD
	s_and_saveexec_b64 s[12:13], s[14:15]
	s_cbranch_execz .LBB923_471
; %bb.466:                              ;   in Loop: Header=BB923_213 Depth=1
	v_cmp_ne_u16_sdwa s[16:17], v42, s9 src0_sel:BYTE_0 src1_sel:DWORD
	v_mov_b32_e32 v50, 0xffff8000
	s_and_saveexec_b64 s[14:15], s[16:17]
	s_cbranch_execz .LBB923_470
; %bb.467:                              ;   in Loop: Header=BB923_213 Depth=1
	v_bfe_u32 v49, v40, 16, 7
	v_cmp_ne_u32_e32 vcc, s21, v49
	v_mov_b32_e32 v50, 0x7f80
	s_and_saveexec_b64 s[16:17], vcc
	s_cbranch_execz .LBB923_469
; %bb.468:                              ;   in Loop: Header=BB923_213 Depth=1
	v_and_b32_e32 v52, 7, v42
	v_ffbh_u32_e32 v50, v52
	v_min_u32_e32 v60, 32, v50
	v_subrev_u32_e32 v50, 28, v60
	v_lshlrev_b64 v[50:51], v50, v[42:43]
	v_lshrrev_b32_e32 v53, 3, v49
	v_sub_u32_e32 v51, 29, v60
	v_and_b32_e32 v50, 7, v50
	v_cmp_gt_u32_e32 vcc, 8, v49
	v_cndmask_b32_e32 v49, v53, v51, vcc
	v_cndmask_b32_e32 v50, v52, v50, vcc
	v_lshlrev_b32_e32 v42, 24, v42
	v_lshlrev_b32_e32 v50, 20, v50
	v_and_b32_e32 v42, 0x80000000, v42
	v_lshl_add_u32 v49, v49, 23, v48
	v_or3_b32 v42, v42, v49, v50
	v_lshrrev_b32_e32 v50, 16, v42
.LBB923_469:                            ;   in Loop: Header=BB923_213 Depth=1
	s_or_b64 exec, exec, s[16:17]
.LBB923_470:                            ;   in Loop: Header=BB923_213 Depth=1
	s_or_b64 exec, exec, s[14:15]
.LBB923_471:                            ;   in Loop: Header=BB923_213 Depth=1
	s_or_b64 exec, exec, s[12:13]
	v_cmp_lt_u32_e32 vcc, s22, v40
	v_mov_b32_e32 v51, 0
	v_mov_b32_e32 v52, 0
	s_and_saveexec_b64 s[12:13], vcc
	s_cbranch_execz .LBB923_477
; %bb.472:                              ;   in Loop: Header=BB923_213 Depth=1
	v_lshrrev_b32_e32 v42, 24, v40
	v_cmp_ne_u32_e32 vcc, s9, v42
	v_mov_b32_e32 v52, 0xffff8000
	s_and_saveexec_b64 s[14:15], vcc
	s_cbranch_execz .LBB923_476
; %bb.473:                              ;   in Loop: Header=BB923_213 Depth=1
	v_bfe_u32 v40, v40, 24, 7
	v_cmp_ne_u32_e32 vcc, s21, v40
	v_mov_b32_e32 v52, 0x7f80
	s_and_saveexec_b64 s[16:17], vcc
	s_cbranch_execz .LBB923_475
; %bb.474:                              ;   in Loop: Header=BB923_213 Depth=1
	v_and_b32_e32 v49, 7, v42
	v_ffbh_u32_e32 v52, v49
	v_min_u32_e32 v61, 32, v52
	v_subrev_u32_e32 v52, 28, v61
	v_lshlrev_b64 v[52:53], v52, v[42:43]
	v_lshrrev_b32_e32 v60, 3, v40
	v_sub_u32_e32 v53, 29, v61
	v_and_b32_e32 v52, 7, v52
	v_cmp_gt_u32_e32 vcc, 8, v40
	v_cndmask_b32_e32 v40, v60, v53, vcc
	v_cndmask_b32_e32 v49, v49, v52, vcc
	v_lshlrev_b32_e32 v42, 24, v42
	v_lshlrev_b32_e32 v49, 20, v49
	v_and_b32_e32 v42, 0x80000000, v42
	v_lshl_add_u32 v40, v40, 23, v48
	v_or3_b32 v40, v42, v40, v49
	v_lshrrev_b32_e32 v52, 16, v40
.LBB923_475:                            ;   in Loop: Header=BB923_213 Depth=1
	s_or_b64 exec, exec, s[16:17]
.LBB923_476:                            ;   in Loop: Header=BB923_213 Depth=1
	s_or_b64 exec, exec, s[14:15]
.LBB923_477:                            ;   in Loop: Header=BB923_213 Depth=1
	s_or_b64 exec, exec, s[12:13]
	s_waitcnt vmcnt(0)
	v_cmp_ne_u16_sdwa s[14:15], v38, v47 src0_sel:BYTE_0 src1_sel:DWORD
	s_and_saveexec_b64 s[12:13], s[14:15]
	s_cbranch_execz .LBB923_483
; %bb.478:                              ;   in Loop: Header=BB923_213 Depth=1
	v_cmp_ne_u16_sdwa s[16:17], v38, s9 src0_sel:BYTE_0 src1_sel:DWORD
	v_mov_b32_e32 v51, 0xffff8000
	s_and_saveexec_b64 s[14:15], s[16:17]
	s_cbranch_execz .LBB923_482
; %bb.479:                              ;   in Loop: Header=BB923_213 Depth=1
	v_and_b32_e32 v40, 0x7f, v38
	v_cmp_ne_u32_e32 vcc, s21, v40
	v_mov_b32_e32 v51, 0x7f80
	s_and_saveexec_b64 s[16:17], vcc
	s_cbranch_execz .LBB923_481
; %bb.480:                              ;   in Loop: Header=BB923_213 Depth=1
	v_and_b32_e32 v42, 7, v38
	v_ffbh_u32_e32 v51, v42
	v_min_u32_e32 v51, 32, v51
	v_subrev_u32_e32 v53, 28, v51
	v_lshlrev_b64 v[60:61], v53, v[38:39]
	v_lshrrev_b32_e32 v49, 3, v40
	v_sub_u32_e32 v51, 29, v51
	v_and_b32_e32 v53, 7, v60
	v_cmp_gt_u32_e32 vcc, 8, v40
	v_cndmask_b32_e32 v40, v49, v51, vcc
	v_cndmask_b32_e32 v42, v42, v53, vcc
	v_lshlrev_b32_e32 v49, 24, v38
	v_lshlrev_b32_e32 v42, 20, v42
	v_and_b32_e32 v49, 0x80000000, v49
	v_lshl_add_u32 v40, v40, 23, v48
	v_or3_b32 v40, v49, v40, v42
	v_lshrrev_b32_e32 v51, 16, v40
.LBB923_481:                            ;   in Loop: Header=BB923_213 Depth=1
	s_or_b64 exec, exec, s[16:17]
.LBB923_482:                            ;   in Loop: Header=BB923_213 Depth=1
	s_or_b64 exec, exec, s[14:15]
.LBB923_483:                            ;   in Loop: Header=BB923_213 Depth=1
	s_or_b64 exec, exec, s[12:13]
	v_lshrrev_b16_e32 v40, 8, v38
	v_cmp_ne_u16_e32 vcc, 0, v40
	v_mov_b32_e32 v60, 0
	v_mov_b32_e32 v53, 0
	s_and_saveexec_b64 s[12:13], vcc
	s_cbranch_execz .LBB923_489
; %bb.484:                              ;   in Loop: Header=BB923_213 Depth=1
	v_cmp_ne_u16_e32 vcc, s9, v40
	v_mov_b32_e32 v53, 0xffff8000
	s_and_saveexec_b64 s[14:15], vcc
	s_cbranch_execz .LBB923_488
; %bb.485:                              ;   in Loop: Header=BB923_213 Depth=1
	v_and_b32_e32 v42, 0x7f, v40
	v_cmp_ne_u32_e32 vcc, s21, v42
	v_mov_b32_e32 v53, 0x7f80
	s_and_saveexec_b64 s[16:17], vcc
	s_cbranch_execz .LBB923_487
; %bb.486:                              ;   in Loop: Header=BB923_213 Depth=1
	v_and_b32_e32 v49, 7, v40
	v_ffbh_u32_e32 v61, v49
	v_min_u32_e32 v61, 32, v61
	v_subrev_u32_e32 v62, 28, v61
	v_lshlrev_b64 v[62:63], v62, v[40:41]
	v_lshrrev_b32_e32 v53, 3, v42
	v_sub_u32_e32 v40, 29, v61
	v_and_b32_e32 v61, 7, v62
	v_cmp_gt_u32_e32 vcc, 8, v42
	v_cndmask_b32_e32 v40, v53, v40, vcc
	v_cndmask_b32_e32 v42, v49, v61, vcc
	v_lshlrev_b32_e32 v49, 16, v38
	v_lshlrev_b32_e32 v42, 20, v42
	v_and_b32_e32 v49, 0x80000000, v49
	v_lshl_add_u32 v40, v40, 23, v48
	v_or3_b32 v40, v49, v40, v42
	v_lshrrev_b32_e32 v53, 16, v40
.LBB923_487:                            ;   in Loop: Header=BB923_213 Depth=1
	s_or_b64 exec, exec, s[16:17]
.LBB923_488:                            ;   in Loop: Header=BB923_213 Depth=1
	s_or_b64 exec, exec, s[14:15]
.LBB923_489:                            ;   in Loop: Header=BB923_213 Depth=1
	s_or_b64 exec, exec, s[12:13]
	v_lshrrev_b32_e32 v40, 16, v38
	v_cmp_ne_u16_sdwa s[14:15], v40, v47 src0_sel:BYTE_0 src1_sel:DWORD
	s_and_saveexec_b64 s[12:13], s[14:15]
	s_cbranch_execz .LBB923_495
; %bb.490:                              ;   in Loop: Header=BB923_213 Depth=1
	v_cmp_ne_u16_sdwa s[16:17], v40, s9 src0_sel:BYTE_0 src1_sel:DWORD
	v_mov_b32_e32 v60, 0xffff8000
	s_and_saveexec_b64 s[14:15], s[16:17]
	s_cbranch_execz .LBB923_494
; %bb.491:                              ;   in Loop: Header=BB923_213 Depth=1
	v_bfe_u32 v42, v38, 16, 7
	v_cmp_ne_u32_e32 vcc, s21, v42
	v_mov_b32_e32 v60, 0x7f80
	s_and_saveexec_b64 s[16:17], vcc
	s_cbranch_execz .LBB923_493
; %bb.492:                              ;   in Loop: Header=BB923_213 Depth=1
	v_and_b32_e32 v49, 7, v40
	v_ffbh_u32_e32 v60, v49
	v_min_u32_e32 v63, 32, v60
	v_subrev_u32_e32 v60, 28, v63
	v_lshlrev_b64 v[60:61], v60, v[40:41]
	v_lshrrev_b32_e32 v62, 3, v42
	v_sub_u32_e32 v61, 29, v63
	v_and_b32_e32 v60, 7, v60
	v_cmp_gt_u32_e32 vcc, 8, v42
	v_cndmask_b32_e32 v42, v62, v61, vcc
	v_cndmask_b32_e32 v49, v49, v60, vcc
	v_lshlrev_b32_e32 v40, 24, v40
	v_lshlrev_b32_e32 v49, 20, v49
	v_and_b32_e32 v40, 0x80000000, v40
	v_lshl_add_u32 v42, v42, 23, v48
	v_or3_b32 v40, v40, v42, v49
	v_lshrrev_b32_e32 v60, 16, v40
.LBB923_493:                            ;   in Loop: Header=BB923_213 Depth=1
	s_or_b64 exec, exec, s[16:17]
.LBB923_494:                            ;   in Loop: Header=BB923_213 Depth=1
	s_or_b64 exec, exec, s[14:15]
.LBB923_495:                            ;   in Loop: Header=BB923_213 Depth=1
	s_or_b64 exec, exec, s[12:13]
	v_cmp_lt_u32_e32 vcc, s22, v38
	v_mov_b32_e32 v49, 0
	v_mov_b32_e32 v61, 0
	s_and_saveexec_b64 s[12:13], vcc
	s_cbranch_execz .LBB923_501
; %bb.496:                              ;   in Loop: Header=BB923_213 Depth=1
	v_lshrrev_b32_e32 v40, 24, v38
	v_cmp_ne_u32_e32 vcc, s9, v40
	v_mov_b32_e32 v61, 0xffff8000
	s_and_saveexec_b64 s[14:15], vcc
	s_cbranch_execz .LBB923_500
; %bb.497:                              ;   in Loop: Header=BB923_213 Depth=1
	v_bfe_u32 v38, v38, 24, 7
	v_cmp_ne_u32_e32 vcc, s21, v38
	v_mov_b32_e32 v61, 0x7f80
	s_and_saveexec_b64 s[16:17], vcc
	s_cbranch_execz .LBB923_499
; %bb.498:                              ;   in Loop: Header=BB923_213 Depth=1
	v_and_b32_e32 v42, 7, v40
	v_ffbh_u32_e32 v62, v42
	v_min_u32_e32 v64, 32, v62
	v_subrev_u32_e32 v62, 28, v64
	v_lshlrev_b64 v[62:63], v62, v[40:41]
	v_lshrrev_b32_e32 v61, 3, v38
	v_sub_u32_e32 v63, 29, v64
	v_and_b32_e32 v62, 7, v62
	v_cmp_gt_u32_e32 vcc, 8, v38
	v_cndmask_b32_e32 v38, v61, v63, vcc
	v_cndmask_b32_e32 v42, v42, v62, vcc
	v_lshlrev_b32_e32 v40, 24, v40
	v_lshlrev_b32_e32 v42, 20, v42
	v_and_b32_e32 v40, 0x80000000, v40
	v_lshl_add_u32 v38, v38, 23, v48
	v_or3_b32 v38, v40, v38, v42
	v_lshrrev_b32_e32 v61, 16, v38
.LBB923_499:                            ;   in Loop: Header=BB923_213 Depth=1
	s_or_b64 exec, exec, s[16:17]
.LBB923_500:                            ;   in Loop: Header=BB923_213 Depth=1
	s_or_b64 exec, exec, s[14:15]
.LBB923_501:                            ;   in Loop: Header=BB923_213 Depth=1
	s_or_b64 exec, exec, s[12:13]
	v_perm_b32 v62, v44, v46, s23
	buffer_load_dword v44, v59, s[0:3], 0 offen
	buffer_load_dword v42, v59, s[0:3], 0 offen offset:4
	buffer_load_dword v40, v59, s[0:3], 0 offen offset:8
	;; [unrolled: 1-line block ×3, first 2 shown]
	v_perm_b32 v63, v52, v50, s23
	v_perm_b32 v61, v61, v60, s23
	;; [unrolled: 1-line block ×3, first 2 shown]
	v_mfma_f32_16x16x16bf16_1k v[34:37], v[62:63], v[22:23], v[34:37]
	s_waitcnt vmcnt(3)
	v_cmp_ne_u16_sdwa s[14:15], v44, v47 src0_sel:BYTE_0 src1_sel:DWORD
	v_mfma_f32_16x16x16bf16_1k v[34:37], v[60:61], v[24:25], v[34:37]
	s_and_saveexec_b64 s[12:13], s[14:15]
	s_cbranch_execz .LBB923_507
; %bb.502:                              ;   in Loop: Header=BB923_213 Depth=1
	v_cmp_ne_u16_sdwa s[16:17], v44, s9 src0_sel:BYTE_0 src1_sel:DWORD
	v_mov_b32_e32 v49, 0xffff8000
	s_and_saveexec_b64 s[14:15], s[16:17]
	s_cbranch_execz .LBB923_506
; %bb.503:                              ;   in Loop: Header=BB923_213 Depth=1
	v_and_b32_e32 v46, 0x7f, v44
	v_cmp_ne_u32_e32 vcc, s21, v46
	v_mov_b32_e32 v49, 0x7f80
	s_and_saveexec_b64 s[16:17], vcc
	s_cbranch_execz .LBB923_505
; %bb.504:                              ;   in Loop: Header=BB923_213 Depth=1
	v_and_b32_e32 v49, 7, v44
	v_ffbh_u32_e32 v50, v49
	v_min_u32_e32 v53, 32, v50
	v_subrev_u32_e32 v50, 28, v53
	v_lshlrev_b64 v[50:51], v50, v[44:45]
	v_lshrrev_b32_e32 v52, 3, v46
	v_sub_u32_e32 v51, 29, v53
	v_and_b32_e32 v50, 7, v50
	v_cmp_gt_u32_e32 vcc, 8, v46
	v_cndmask_b32_e32 v46, v52, v51, vcc
	v_cndmask_b32_e32 v49, v49, v50, vcc
	v_lshlrev_b32_e32 v50, 24, v44
	v_lshlrev_b32_e32 v49, 20, v49
	v_and_b32_e32 v50, 0x80000000, v50
	v_lshl_add_u32 v46, v46, 23, v48
	v_or3_b32 v46, v50, v46, v49
	v_lshrrev_b32_e32 v49, 16, v46
.LBB923_505:                            ;   in Loop: Header=BB923_213 Depth=1
	s_or_b64 exec, exec, s[16:17]
.LBB923_506:                            ;   in Loop: Header=BB923_213 Depth=1
	s_or_b64 exec, exec, s[14:15]
.LBB923_507:                            ;   in Loop: Header=BB923_213 Depth=1
	s_or_b64 exec, exec, s[12:13]
	v_lshrrev_b16_e32 v46, 8, v44
	v_cmp_ne_u16_e32 vcc, 0, v46
	v_mov_b32_e32 v51, 0
	v_mov_b32_e32 v50, 0
	s_and_saveexec_b64 s[12:13], vcc
	s_cbranch_execz .LBB923_513
; %bb.508:                              ;   in Loop: Header=BB923_213 Depth=1
	v_cmp_ne_u16_e32 vcc, s9, v46
	v_mov_b32_e32 v50, 0xffff8000
	s_and_saveexec_b64 s[14:15], vcc
	s_cbranch_execz .LBB923_512
; %bb.509:                              ;   in Loop: Header=BB923_213 Depth=1
	v_and_b32_e32 v52, 0x7f, v46
	v_cmp_ne_u32_e32 vcc, s21, v52
	v_mov_b32_e32 v50, 0x7f80
	s_and_saveexec_b64 s[16:17], vcc
	s_cbranch_execz .LBB923_511
; %bb.510:                              ;   in Loop: Header=BB923_213 Depth=1
	v_and_b32_e32 v50, 7, v46
	v_ffbh_u32_e32 v59, v50
	v_min_u32_e32 v59, 32, v59
	v_subrev_u32_e32 v60, 28, v59
	v_lshlrev_b64 v[60:61], v60, v[46:47]
	v_lshrrev_b32_e32 v53, 3, v52
	v_sub_u32_e32 v46, 29, v59
	v_and_b32_e32 v59, 7, v60
	v_cmp_gt_u32_e32 vcc, 8, v52
	v_cndmask_b32_e32 v46, v53, v46, vcc
	v_cndmask_b32_e32 v50, v50, v59, vcc
	v_lshlrev_b32_e32 v52, 16, v44
	v_lshlrev_b32_e32 v50, 20, v50
	v_and_b32_e32 v52, 0x80000000, v52
	v_lshl_add_u32 v46, v46, 23, v48
	v_or3_b32 v46, v52, v46, v50
	v_lshrrev_b32_e32 v50, 16, v46
.LBB923_511:                            ;   in Loop: Header=BB923_213 Depth=1
	s_or_b64 exec, exec, s[16:17]
.LBB923_512:                            ;   in Loop: Header=BB923_213 Depth=1
	s_or_b64 exec, exec, s[14:15]
.LBB923_513:                            ;   in Loop: Header=BB923_213 Depth=1
	s_or_b64 exec, exec, s[12:13]
	v_lshrrev_b32_e32 v46, 16, v44
	v_cmp_ne_u16_sdwa s[14:15], v46, v47 src0_sel:BYTE_0 src1_sel:DWORD
	s_and_saveexec_b64 s[12:13], s[14:15]
	s_cbranch_execz .LBB923_519
; %bb.514:                              ;   in Loop: Header=BB923_213 Depth=1
	v_cmp_ne_u16_sdwa s[16:17], v46, s9 src0_sel:BYTE_0 src1_sel:DWORD
	v_mov_b32_e32 v51, 0xffff8000
	s_and_saveexec_b64 s[14:15], s[16:17]
	s_cbranch_execz .LBB923_518
; %bb.515:                              ;   in Loop: Header=BB923_213 Depth=1
	v_bfe_u32 v52, v44, 16, 7
	v_cmp_ne_u32_e32 vcc, s21, v52
	v_mov_b32_e32 v51, 0x7f80
	s_and_saveexec_b64 s[16:17], vcc
	s_cbranch_execz .LBB923_517
; %bb.516:                              ;   in Loop: Header=BB923_213 Depth=1
	v_and_b32_e32 v51, 7, v46
	v_ffbh_u32_e32 v59, v51
	v_min_u32_e32 v59, 32, v59
	v_subrev_u32_e32 v60, 28, v59
	v_lshlrev_b64 v[60:61], v60, v[46:47]
	v_lshrrev_b32_e32 v53, 3, v52
	v_sub_u32_e32 v59, 29, v59
	v_and_b32_e32 v60, 7, v60
	v_cmp_gt_u32_e32 vcc, 8, v52
	v_cndmask_b32_e32 v52, v53, v59, vcc
	v_cndmask_b32_e32 v51, v51, v60, vcc
	v_lshlrev_b32_e32 v46, 24, v46
	v_lshlrev_b32_e32 v51, 20, v51
	v_and_b32_e32 v46, 0x80000000, v46
	v_lshl_add_u32 v52, v52, 23, v48
	v_or3_b32 v46, v46, v52, v51
	v_lshrrev_b32_e32 v51, 16, v46
.LBB923_517:                            ;   in Loop: Header=BB923_213 Depth=1
	s_or_b64 exec, exec, s[16:17]
.LBB923_518:                            ;   in Loop: Header=BB923_213 Depth=1
	s_or_b64 exec, exec, s[14:15]
.LBB923_519:                            ;   in Loop: Header=BB923_213 Depth=1
	s_or_b64 exec, exec, s[12:13]
	v_cmp_lt_u32_e32 vcc, s22, v44
	v_mov_b32_e32 v52, 0
	v_mov_b32_e32 v53, 0
	s_and_saveexec_b64 s[12:13], vcc
	s_cbranch_execz .LBB923_525
; %bb.520:                              ;   in Loop: Header=BB923_213 Depth=1
	v_lshrrev_b32_e32 v46, 24, v44
	v_cmp_ne_u32_e32 vcc, s9, v46
	v_mov_b32_e32 v53, 0xffff8000
	s_and_saveexec_b64 s[14:15], vcc
	s_cbranch_execz .LBB923_524
; %bb.521:                              ;   in Loop: Header=BB923_213 Depth=1
	v_bfe_u32 v44, v44, 24, 7
	v_cmp_ne_u32_e32 vcc, s21, v44
	v_mov_b32_e32 v53, 0x7f80
	s_and_saveexec_b64 s[16:17], vcc
	s_cbranch_execz .LBB923_523
; %bb.522:                              ;   in Loop: Header=BB923_213 Depth=1
	v_and_b32_e32 v53, 7, v46
	v_ffbh_u32_e32 v60, v53
	v_min_u32_e32 v62, 32, v60
	v_subrev_u32_e32 v60, 28, v62
	v_lshlrev_b64 v[60:61], v60, v[46:47]
	v_lshrrev_b32_e32 v59, 3, v44
	v_sub_u32_e32 v61, 29, v62
	v_and_b32_e32 v60, 7, v60
	v_cmp_gt_u32_e32 vcc, 8, v44
	v_cndmask_b32_e32 v44, v59, v61, vcc
	v_cndmask_b32_e32 v53, v53, v60, vcc
	v_lshlrev_b32_e32 v46, 24, v46
	v_lshlrev_b32_e32 v53, 20, v53
	v_and_b32_e32 v46, 0x80000000, v46
	v_lshl_add_u32 v44, v44, 23, v48
	v_or3_b32 v44, v46, v44, v53
	v_lshrrev_b32_e32 v53, 16, v44
.LBB923_523:                            ;   in Loop: Header=BB923_213 Depth=1
	s_or_b64 exec, exec, s[16:17]
.LBB923_524:                            ;   in Loop: Header=BB923_213 Depth=1
	s_or_b64 exec, exec, s[14:15]
.LBB923_525:                            ;   in Loop: Header=BB923_213 Depth=1
	s_or_b64 exec, exec, s[12:13]
	s_waitcnt vmcnt(2)
	v_cmp_ne_u16_sdwa s[14:15], v42, v47 src0_sel:BYTE_0 src1_sel:DWORD
	s_and_saveexec_b64 s[12:13], s[14:15]
	s_cbranch_execz .LBB923_531
; %bb.526:                              ;   in Loop: Header=BB923_213 Depth=1
	v_cmp_ne_u16_sdwa s[16:17], v42, s9 src0_sel:BYTE_0 src1_sel:DWORD
	v_mov_b32_e32 v52, 0xffff8000
	s_and_saveexec_b64 s[14:15], s[16:17]
	s_cbranch_execz .LBB923_530
; %bb.527:                              ;   in Loop: Header=BB923_213 Depth=1
	v_and_b32_e32 v44, 0x7f, v42
	v_cmp_ne_u32_e32 vcc, s21, v44
	v_mov_b32_e32 v52, 0x7f80
	s_and_saveexec_b64 s[16:17], vcc
	s_cbranch_execz .LBB923_529
; %bb.528:                              ;   in Loop: Header=BB923_213 Depth=1
	v_and_b32_e32 v46, 7, v42
	v_ffbh_u32_e32 v59, v46
	v_min_u32_e32 v59, 32, v59
	v_subrev_u32_e32 v60, 28, v59
	v_lshlrev_b64 v[60:61], v60, v[42:43]
	v_lshrrev_b32_e32 v52, 3, v44
	v_sub_u32_e32 v59, 29, v59
	v_and_b32_e32 v60, 7, v60
	v_cmp_gt_u32_e32 vcc, 8, v44
	v_cndmask_b32_e32 v44, v52, v59, vcc
	v_cndmask_b32_e32 v46, v46, v60, vcc
	v_lshlrev_b32_e32 v52, 24, v42
	v_lshlrev_b32_e32 v46, 20, v46
	v_and_b32_e32 v52, 0x80000000, v52
	v_lshl_add_u32 v44, v44, 23, v48
	v_or3_b32 v44, v52, v44, v46
	v_lshrrev_b32_e32 v52, 16, v44
.LBB923_529:                            ;   in Loop: Header=BB923_213 Depth=1
	s_or_b64 exec, exec, s[16:17]
.LBB923_530:                            ;   in Loop: Header=BB923_213 Depth=1
	s_or_b64 exec, exec, s[14:15]
.LBB923_531:                            ;   in Loop: Header=BB923_213 Depth=1
	s_or_b64 exec, exec, s[12:13]
	v_lshrrev_b16_e32 v44, 8, v42
	v_cmp_ne_u16_e32 vcc, 0, v44
	v_mov_b32_e32 v60, 0
	v_mov_b32_e32 v59, 0
	s_and_saveexec_b64 s[12:13], vcc
	s_cbranch_execz .LBB923_537
; %bb.532:                              ;   in Loop: Header=BB923_213 Depth=1
	v_cmp_ne_u16_e32 vcc, s9, v44
	v_mov_b32_e32 v59, 0xffff8000
	s_and_saveexec_b64 s[14:15], vcc
	s_cbranch_execz .LBB923_536
; %bb.533:                              ;   in Loop: Header=BB923_213 Depth=1
	v_and_b32_e32 v46, 0x7f, v44
	v_cmp_ne_u32_e32 vcc, s21, v46
	v_mov_b32_e32 v59, 0x7f80
	s_and_saveexec_b64 s[16:17], vcc
	s_cbranch_execz .LBB923_535
; %bb.534:                              ;   in Loop: Header=BB923_213 Depth=1
	v_and_b32_e32 v59, 7, v44
	v_ffbh_u32_e32 v62, v59
	v_min_u32_e32 v64, 32, v62
	v_subrev_u32_e32 v62, 28, v64
	v_lshlrev_b64 v[62:63], v62, v[44:45]
	v_lshrrev_b32_e32 v61, 3, v46
	v_sub_u32_e32 v44, 29, v64
	v_and_b32_e32 v62, 7, v62
	v_cmp_gt_u32_e32 vcc, 8, v46
	v_cndmask_b32_e32 v44, v61, v44, vcc
	v_cndmask_b32_e32 v46, v59, v62, vcc
	v_lshlrev_b32_e32 v59, 16, v42
	v_lshlrev_b32_e32 v46, 20, v46
	v_and_b32_e32 v59, 0x80000000, v59
	v_lshl_add_u32 v44, v44, 23, v48
	v_or3_b32 v44, v59, v44, v46
	v_lshrrev_b32_e32 v59, 16, v44
.LBB923_535:                            ;   in Loop: Header=BB923_213 Depth=1
	s_or_b64 exec, exec, s[16:17]
.LBB923_536:                            ;   in Loop: Header=BB923_213 Depth=1
	s_or_b64 exec, exec, s[14:15]
.LBB923_537:                            ;   in Loop: Header=BB923_213 Depth=1
	s_or_b64 exec, exec, s[12:13]
	v_lshrrev_b32_e32 v44, 16, v42
	v_cmp_ne_u16_sdwa s[14:15], v44, v47 src0_sel:BYTE_0 src1_sel:DWORD
	s_and_saveexec_b64 s[12:13], s[14:15]
	s_cbranch_execz .LBB923_543
; %bb.538:                              ;   in Loop: Header=BB923_213 Depth=1
	v_cmp_ne_u16_sdwa s[16:17], v44, s9 src0_sel:BYTE_0 src1_sel:DWORD
	v_mov_b32_e32 v60, 0xffff8000
	s_and_saveexec_b64 s[14:15], s[16:17]
	s_cbranch_execz .LBB923_542
; %bb.539:                              ;   in Loop: Header=BB923_213 Depth=1
	v_bfe_u32 v46, v42, 16, 7
	v_cmp_ne_u32_e32 vcc, s21, v46
	v_mov_b32_e32 v60, 0x7f80
	s_and_saveexec_b64 s[16:17], vcc
	s_cbranch_execz .LBB923_541
; %bb.540:                              ;   in Loop: Header=BB923_213 Depth=1
	v_and_b32_e32 v62, 7, v44
	v_ffbh_u32_e32 v60, v62
	v_min_u32_e32 v64, 32, v60
	v_subrev_u32_e32 v60, 28, v64
	v_lshlrev_b64 v[60:61], v60, v[44:45]
	v_lshrrev_b32_e32 v63, 3, v46
	v_sub_u32_e32 v61, 29, v64
	v_and_b32_e32 v60, 7, v60
	v_cmp_gt_u32_e32 vcc, 8, v46
	v_cndmask_b32_e32 v46, v63, v61, vcc
	v_cndmask_b32_e32 v60, v62, v60, vcc
	v_lshlrev_b32_e32 v44, 24, v44
	v_lshlrev_b32_e32 v60, 20, v60
	v_and_b32_e32 v44, 0x80000000, v44
	v_lshl_add_u32 v46, v46, 23, v48
	v_or3_b32 v44, v44, v46, v60
	v_lshrrev_b32_e32 v60, 16, v44
.LBB923_541:                            ;   in Loop: Header=BB923_213 Depth=1
	s_or_b64 exec, exec, s[16:17]
.LBB923_542:                            ;   in Loop: Header=BB923_213 Depth=1
	s_or_b64 exec, exec, s[14:15]
.LBB923_543:                            ;   in Loop: Header=BB923_213 Depth=1
	s_or_b64 exec, exec, s[12:13]
	v_cmp_lt_u32_e32 vcc, s22, v42
	v_mov_b32_e32 v46, 0
	v_mov_b32_e32 v61, 0
	s_and_saveexec_b64 s[12:13], vcc
	s_cbranch_execz .LBB923_549
; %bb.544:                              ;   in Loop: Header=BB923_213 Depth=1
	v_lshrrev_b32_e32 v44, 24, v42
	v_cmp_ne_u32_e32 vcc, s9, v44
	v_mov_b32_e32 v61, 0xffff8000
	s_and_saveexec_b64 s[14:15], vcc
	s_cbranch_execz .LBB923_548
; %bb.545:                              ;   in Loop: Header=BB923_213 Depth=1
	v_bfe_u32 v42, v42, 24, 7
	v_cmp_ne_u32_e32 vcc, s21, v42
	v_mov_b32_e32 v61, 0x7f80
	s_and_saveexec_b64 s[16:17], vcc
	s_cbranch_execz .LBB923_547
; %bb.546:                              ;   in Loop: Header=BB923_213 Depth=1
	v_and_b32_e32 v61, 7, v44
	v_ffbh_u32_e32 v62, v61
	v_min_u32_e32 v65, 32, v62
	v_subrev_u32_e32 v62, 28, v65
	v_lshlrev_b64 v[62:63], v62, v[44:45]
	v_lshrrev_b32_e32 v64, 3, v42
	v_sub_u32_e32 v63, 29, v65
	v_and_b32_e32 v62, 7, v62
	v_cmp_gt_u32_e32 vcc, 8, v42
	v_cndmask_b32_e32 v42, v64, v63, vcc
	v_cndmask_b32_e32 v61, v61, v62, vcc
	v_lshlrev_b32_e32 v44, 24, v44
	v_lshlrev_b32_e32 v61, 20, v61
	v_and_b32_e32 v44, 0x80000000, v44
	v_lshl_add_u32 v42, v42, 23, v48
	v_or3_b32 v42, v44, v42, v61
	v_lshrrev_b32_e32 v61, 16, v42
.LBB923_547:                            ;   in Loop: Header=BB923_213 Depth=1
	s_or_b64 exec, exec, s[16:17]
.LBB923_548:                            ;   in Loop: Header=BB923_213 Depth=1
	s_or_b64 exec, exec, s[14:15]
.LBB923_549:                            ;   in Loop: Header=BB923_213 Depth=1
	s_or_b64 exec, exec, s[12:13]
	v_perm_b32 v51, v53, v51, s23
	v_perm_b32 v50, v50, v49, s23
	s_waitcnt vmcnt(1)
	v_cmp_ne_u16_sdwa s[14:15], v40, v47 src0_sel:BYTE_0 src1_sel:DWORD
	v_mfma_f32_16x16x16bf16_1k v[34:37], v[50:51], v[26:27], v[34:37]
	v_perm_b32 v51, v61, v60, s23
	v_perm_b32 v50, v59, v52, s23
	s_nop 1
	v_mfma_f32_16x16x16bf16_1k v[34:37], v[50:51], v[28:29], v[34:37]
	s_and_saveexec_b64 s[12:13], s[14:15]
	s_cbranch_execz .LBB923_555
; %bb.550:                              ;   in Loop: Header=BB923_213 Depth=1
	v_cmp_ne_u16_sdwa s[16:17], v40, s9 src0_sel:BYTE_0 src1_sel:DWORD
	v_mov_b32_e32 v46, 0xffff8000
	s_and_saveexec_b64 s[14:15], s[16:17]
	s_cbranch_execz .LBB923_554
; %bb.551:                              ;   in Loop: Header=BB923_213 Depth=1
	v_and_b32_e32 v42, 0x7f, v40
	v_cmp_ne_u32_e32 vcc, s21, v42
	v_mov_b32_e32 v46, 0x7f80
	s_and_saveexec_b64 s[16:17], vcc
	s_cbranch_execz .LBB923_553
; %bb.552:                              ;   in Loop: Header=BB923_213 Depth=1
	v_and_b32_e32 v44, 7, v40
	v_ffbh_u32_e32 v49, v44
	v_min_u32_e32 v49, 32, v49
	v_subrev_u32_e32 v50, 28, v49
	v_lshlrev_b64 v[50:51], v50, v[40:41]
	v_lshrrev_b32_e32 v46, 3, v42
	v_sub_u32_e32 v49, 29, v49
	v_and_b32_e32 v50, 7, v50
	v_cmp_gt_u32_e32 vcc, 8, v42
	v_cndmask_b32_e32 v42, v46, v49, vcc
	v_cndmask_b32_e32 v44, v44, v50, vcc
	v_lshlrev_b32_e32 v46, 24, v40
	v_lshlrev_b32_e32 v44, 20, v44
	v_and_b32_e32 v46, 0x80000000, v46
	v_lshl_add_u32 v42, v42, 23, v48
	v_or3_b32 v42, v46, v42, v44
	v_lshrrev_b32_e32 v46, 16, v42
.LBB923_553:                            ;   in Loop: Header=BB923_213 Depth=1
	s_or_b64 exec, exec, s[16:17]
.LBB923_554:                            ;   in Loop: Header=BB923_213 Depth=1
	s_or_b64 exec, exec, s[14:15]
.LBB923_555:                            ;   in Loop: Header=BB923_213 Depth=1
	s_or_b64 exec, exec, s[12:13]
	v_lshrrev_b16_e32 v42, 8, v40
	v_cmp_ne_u16_e32 vcc, 0, v42
	v_mov_b32_e32 v49, 0
	v_mov_b32_e32 v44, 0
	s_and_saveexec_b64 s[12:13], vcc
	s_cbranch_execz .LBB923_561
; %bb.556:                              ;   in Loop: Header=BB923_213 Depth=1
	v_cmp_ne_u16_e32 vcc, s9, v42
	v_mov_b32_e32 v44, 0xffff8000
	s_and_saveexec_b64 s[14:15], vcc
	s_cbranch_execz .LBB923_560
; %bb.557:                              ;   in Loop: Header=BB923_213 Depth=1
	v_and_b32_e32 v50, 0x7f, v42
	v_cmp_ne_u32_e32 vcc, s21, v50
	v_mov_b32_e32 v44, 0x7f80
	s_and_saveexec_b64 s[16:17], vcc
	s_cbranch_execz .LBB923_559
; %bb.558:                              ;   in Loop: Header=BB923_213 Depth=1
	v_and_b32_e32 v44, 7, v42
	v_ffbh_u32_e32 v52, v44
	v_min_u32_e32 v59, 32, v52
	v_subrev_u32_e32 v52, 28, v59
	v_lshlrev_b64 v[52:53], v52, v[42:43]
	v_lshrrev_b32_e32 v51, 3, v50
	v_sub_u32_e32 v42, 29, v59
	v_and_b32_e32 v52, 7, v52
	v_cmp_gt_u32_e32 vcc, 8, v50
	v_cndmask_b32_e32 v42, v51, v42, vcc
	v_cndmask_b32_e32 v44, v44, v52, vcc
	v_lshlrev_b32_e32 v50, 16, v40
	v_lshlrev_b32_e32 v44, 20, v44
	v_and_b32_e32 v50, 0x80000000, v50
	v_lshl_add_u32 v42, v42, 23, v48
	v_or3_b32 v42, v50, v42, v44
	v_lshrrev_b32_e32 v44, 16, v42
.LBB923_559:                            ;   in Loop: Header=BB923_213 Depth=1
	s_or_b64 exec, exec, s[16:17]
.LBB923_560:                            ;   in Loop: Header=BB923_213 Depth=1
	s_or_b64 exec, exec, s[14:15]
.LBB923_561:                            ;   in Loop: Header=BB923_213 Depth=1
	s_or_b64 exec, exec, s[12:13]
	v_lshrrev_b32_e32 v42, 16, v40
	v_cmp_ne_u16_sdwa s[14:15], v42, v47 src0_sel:BYTE_0 src1_sel:DWORD
	s_and_saveexec_b64 s[12:13], s[14:15]
	s_cbranch_execz .LBB923_567
; %bb.562:                              ;   in Loop: Header=BB923_213 Depth=1
	v_cmp_ne_u16_sdwa s[16:17], v42, s9 src0_sel:BYTE_0 src1_sel:DWORD
	v_mov_b32_e32 v49, 0xffff8000
	s_and_saveexec_b64 s[14:15], s[16:17]
	s_cbranch_execz .LBB923_566
; %bb.563:                              ;   in Loop: Header=BB923_213 Depth=1
	v_bfe_u32 v50, v40, 16, 7
	v_cmp_ne_u32_e32 vcc, s21, v50
	v_mov_b32_e32 v49, 0x7f80
	s_and_saveexec_b64 s[16:17], vcc
	s_cbranch_execz .LBB923_565
; %bb.564:                              ;   in Loop: Header=BB923_213 Depth=1
	v_and_b32_e32 v49, 7, v42
	v_ffbh_u32_e32 v52, v49
	v_min_u32_e32 v59, 32, v52
	v_subrev_u32_e32 v52, 28, v59
	v_lshlrev_b64 v[52:53], v52, v[42:43]
	v_lshrrev_b32_e32 v51, 3, v50
	v_sub_u32_e32 v53, 29, v59
	v_and_b32_e32 v52, 7, v52
	v_cmp_gt_u32_e32 vcc, 8, v50
	v_cndmask_b32_e32 v50, v51, v53, vcc
	v_cndmask_b32_e32 v49, v49, v52, vcc
	v_lshlrev_b32_e32 v42, 24, v42
	v_lshlrev_b32_e32 v49, 20, v49
	v_and_b32_e32 v42, 0x80000000, v42
	v_lshl_add_u32 v50, v50, 23, v48
	v_or3_b32 v42, v42, v50, v49
	v_lshrrev_b32_e32 v49, 16, v42
.LBB923_565:                            ;   in Loop: Header=BB923_213 Depth=1
	s_or_b64 exec, exec, s[16:17]
.LBB923_566:                            ;   in Loop: Header=BB923_213 Depth=1
	s_or_b64 exec, exec, s[14:15]
.LBB923_567:                            ;   in Loop: Header=BB923_213 Depth=1
	s_or_b64 exec, exec, s[12:13]
	v_cmp_lt_u32_e32 vcc, s22, v40
	v_mov_b32_e32 v50, 0
	v_mov_b32_e32 v51, 0
	s_and_saveexec_b64 s[12:13], vcc
	s_cbranch_execz .LBB923_573
; %bb.568:                              ;   in Loop: Header=BB923_213 Depth=1
	v_lshrrev_b32_e32 v42, 24, v40
	v_cmp_ne_u32_e32 vcc, s9, v42
	v_mov_b32_e32 v51, 0xffff8000
	s_and_saveexec_b64 s[14:15], vcc
	s_cbranch_execz .LBB923_572
; %bb.569:                              ;   in Loop: Header=BB923_213 Depth=1
	v_bfe_u32 v40, v40, 24, 7
	v_cmp_ne_u32_e32 vcc, s21, v40
	v_mov_b32_e32 v51, 0x7f80
	s_and_saveexec_b64 s[16:17], vcc
	s_cbranch_execz .LBB923_571
; %bb.570:                              ;   in Loop: Header=BB923_213 Depth=1
	v_and_b32_e32 v51, 7, v42
	v_ffbh_u32_e32 v52, v51
	v_min_u32_e32 v60, 32, v52
	v_subrev_u32_e32 v52, 28, v60
	v_lshlrev_b64 v[52:53], v52, v[42:43]
	v_lshrrev_b32_e32 v59, 3, v40
	v_sub_u32_e32 v53, 29, v60
	v_and_b32_e32 v52, 7, v52
	v_cmp_gt_u32_e32 vcc, 8, v40
	v_cndmask_b32_e32 v40, v59, v53, vcc
	v_cndmask_b32_e32 v51, v51, v52, vcc
	v_lshlrev_b32_e32 v42, 24, v42
	v_lshlrev_b32_e32 v51, 20, v51
	v_and_b32_e32 v42, 0x80000000, v42
	v_lshl_add_u32 v40, v40, 23, v48
	v_or3_b32 v40, v42, v40, v51
	v_lshrrev_b32_e32 v51, 16, v40
.LBB923_571:                            ;   in Loop: Header=BB923_213 Depth=1
	s_or_b64 exec, exec, s[16:17]
.LBB923_572:                            ;   in Loop: Header=BB923_213 Depth=1
	s_or_b64 exec, exec, s[14:15]
.LBB923_573:                            ;   in Loop: Header=BB923_213 Depth=1
	s_or_b64 exec, exec, s[12:13]
	s_waitcnt vmcnt(0)
	v_cmp_ne_u16_sdwa s[14:15], v38, v47 src0_sel:BYTE_0 src1_sel:DWORD
	s_and_saveexec_b64 s[12:13], s[14:15]
	s_cbranch_execz .LBB923_579
; %bb.574:                              ;   in Loop: Header=BB923_213 Depth=1
	v_cmp_ne_u16_sdwa s[16:17], v38, s9 src0_sel:BYTE_0 src1_sel:DWORD
	v_mov_b32_e32 v50, 0xffff8000
	s_and_saveexec_b64 s[14:15], s[16:17]
	s_cbranch_execz .LBB923_578
; %bb.575:                              ;   in Loop: Header=BB923_213 Depth=1
	v_and_b32_e32 v40, 0x7f, v38
	v_cmp_ne_u32_e32 vcc, s21, v40
	v_mov_b32_e32 v50, 0x7f80
	s_and_saveexec_b64 s[16:17], vcc
	s_cbranch_execz .LBB923_577
; %bb.576:                              ;   in Loop: Header=BB923_213 Depth=1
	v_and_b32_e32 v42, 7, v38
	v_ffbh_u32_e32 v52, v42
	v_min_u32_e32 v59, 32, v52
	v_subrev_u32_e32 v52, 28, v59
	v_lshlrev_b64 v[52:53], v52, v[38:39]
	v_lshrrev_b32_e32 v50, 3, v40
	v_sub_u32_e32 v53, 29, v59
	v_and_b32_e32 v52, 7, v52
	v_cmp_gt_u32_e32 vcc, 8, v40
	v_cndmask_b32_e32 v40, v50, v53, vcc
	v_cndmask_b32_e32 v42, v42, v52, vcc
	v_lshlrev_b32_e32 v50, 24, v38
	v_lshlrev_b32_e32 v42, 20, v42
	v_and_b32_e32 v50, 0x80000000, v50
	v_lshl_add_u32 v40, v40, 23, v48
	v_or3_b32 v40, v50, v40, v42
	v_lshrrev_b32_e32 v50, 16, v40
.LBB923_577:                            ;   in Loop: Header=BB923_213 Depth=1
	s_or_b64 exec, exec, s[16:17]
.LBB923_578:                            ;   in Loop: Header=BB923_213 Depth=1
	s_or_b64 exec, exec, s[14:15]
.LBB923_579:                            ;   in Loop: Header=BB923_213 Depth=1
	s_or_b64 exec, exec, s[12:13]
	v_lshrrev_b16_e32 v40, 8, v38
	v_cmp_ne_u16_e32 vcc, 0, v40
	v_mov_b32_e32 v52, 0
	v_mov_b32_e32 v42, 0
	s_and_saveexec_b64 s[12:13], vcc
	s_cbranch_execz .LBB923_585
; %bb.580:                              ;   in Loop: Header=BB923_213 Depth=1
	v_cmp_ne_u16_e32 vcc, s9, v40
	v_mov_b32_e32 v42, 0xffff8000
	s_and_saveexec_b64 s[14:15], vcc
	s_cbranch_execz .LBB923_584
; %bb.581:                              ;   in Loop: Header=BB923_213 Depth=1
	v_and_b32_e32 v53, 0x7f, v40
	v_cmp_ne_u32_e32 vcc, s21, v53
	v_mov_b32_e32 v42, 0x7f80
	s_and_saveexec_b64 s[16:17], vcc
	s_cbranch_execz .LBB923_583
; %bb.582:                              ;   in Loop: Header=BB923_213 Depth=1
	v_and_b32_e32 v42, 7, v40
	v_ffbh_u32_e32 v60, v42
	v_min_u32_e32 v62, 32, v60
	v_subrev_u32_e32 v60, 28, v62
	v_lshlrev_b64 v[60:61], v60, v[40:41]
	v_lshrrev_b32_e32 v59, 3, v53
	v_sub_u32_e32 v40, 29, v62
	v_and_b32_e32 v60, 7, v60
	v_cmp_gt_u32_e32 vcc, 8, v53
	v_cndmask_b32_e32 v40, v59, v40, vcc
	v_cndmask_b32_e32 v42, v42, v60, vcc
	v_lshlrev_b32_e32 v53, 16, v38
	v_lshlrev_b32_e32 v42, 20, v42
	v_and_b32_e32 v53, 0x80000000, v53
	v_lshl_add_u32 v40, v40, 23, v48
	v_or3_b32 v40, v53, v40, v42
	v_lshrrev_b32_e32 v42, 16, v40
.LBB923_583:                            ;   in Loop: Header=BB923_213 Depth=1
	s_or_b64 exec, exec, s[16:17]
.LBB923_584:                            ;   in Loop: Header=BB923_213 Depth=1
	s_or_b64 exec, exec, s[14:15]
.LBB923_585:                            ;   in Loop: Header=BB923_213 Depth=1
	s_or_b64 exec, exec, s[12:13]
	v_lshrrev_b32_e32 v40, 16, v38
	v_cmp_ne_u16_sdwa s[14:15], v40, v47 src0_sel:BYTE_0 src1_sel:DWORD
	s_and_saveexec_b64 s[12:13], s[14:15]
	s_cbranch_execz .LBB923_591
; %bb.586:                              ;   in Loop: Header=BB923_213 Depth=1
	v_cmp_ne_u16_sdwa s[16:17], v40, s9 src0_sel:BYTE_0 src1_sel:DWORD
	v_mov_b32_e32 v52, 0xffff8000
	s_and_saveexec_b64 s[14:15], s[16:17]
	s_cbranch_execz .LBB923_590
; %bb.587:                              ;   in Loop: Header=BB923_213 Depth=1
	v_bfe_u32 v53, v38, 16, 7
	v_cmp_ne_u32_e32 vcc, s21, v53
	v_mov_b32_e32 v52, 0x7f80
	s_and_saveexec_b64 s[16:17], vcc
	s_cbranch_execz .LBB923_589
; %bb.588:                              ;   in Loop: Header=BB923_213 Depth=1
	v_and_b32_e32 v52, 7, v40
	v_ffbh_u32_e32 v60, v52
	v_min_u32_e32 v62, 32, v60
	v_subrev_u32_e32 v60, 28, v62
	v_lshlrev_b64 v[60:61], v60, v[40:41]
	v_lshrrev_b32_e32 v59, 3, v53
	v_sub_u32_e32 v61, 29, v62
	v_and_b32_e32 v60, 7, v60
	v_cmp_gt_u32_e32 vcc, 8, v53
	v_cndmask_b32_e32 v53, v59, v61, vcc
	v_cndmask_b32_e32 v52, v52, v60, vcc
	v_lshlrev_b32_e32 v40, 24, v40
	v_lshlrev_b32_e32 v52, 20, v52
	v_and_b32_e32 v40, 0x80000000, v40
	v_lshl_add_u32 v53, v53, 23, v48
	v_or3_b32 v40, v40, v53, v52
	v_lshrrev_b32_e32 v52, 16, v40
.LBB923_589:                            ;   in Loop: Header=BB923_213 Depth=1
	s_or_b64 exec, exec, s[16:17]
.LBB923_590:                            ;   in Loop: Header=BB923_213 Depth=1
	s_or_b64 exec, exec, s[14:15]
.LBB923_591:                            ;   in Loop: Header=BB923_213 Depth=1
	s_or_b64 exec, exec, s[12:13]
	v_cmp_lt_u32_e32 vcc, s22, v38
	v_mov_b32_e32 v53, 0
	s_and_saveexec_b64 s[12:13], vcc
	s_cbranch_execz .LBB923_212
; %bb.592:                              ;   in Loop: Header=BB923_213 Depth=1
	v_lshrrev_b32_e32 v40, 24, v38
	v_cmp_ne_u32_e32 vcc, s9, v40
	v_mov_b32_e32 v53, 0xffff8000
	s_and_saveexec_b64 s[14:15], vcc
	s_cbranch_execz .LBB923_211
; %bb.593:                              ;   in Loop: Header=BB923_213 Depth=1
	v_bfe_u32 v38, v38, 24, 7
	v_cmp_ne_u32_e32 vcc, s21, v38
	v_mov_b32_e32 v53, 0x7f80
	s_and_saveexec_b64 s[16:17], vcc
	s_cbranch_execz .LBB923_210
; %bb.594:                              ;   in Loop: Header=BB923_213 Depth=1
	v_and_b32_e32 v53, 7, v40
	v_ffbh_u32_e32 v60, v53
	v_min_u32_e32 v62, 32, v60
	v_subrev_u32_e32 v60, 28, v62
	v_lshlrev_b64 v[60:61], v60, v[40:41]
	v_lshrrev_b32_e32 v59, 3, v38
	v_sub_u32_e32 v61, 29, v62
	v_and_b32_e32 v60, 7, v60
	v_cmp_gt_u32_e32 vcc, 8, v38
	v_cndmask_b32_e32 v38, v59, v61, vcc
	v_cndmask_b32_e32 v53, v53, v60, vcc
	v_lshlrev_b32_e32 v40, 24, v40
	v_lshlrev_b32_e32 v53, 20, v53
	v_and_b32_e32 v40, 0x80000000, v40
	v_lshl_add_u32 v38, v38, 23, v48
	v_or3_b32 v38, v40, v38, v53
	v_lshrrev_b32_e32 v53, 16, v38
	s_branch .LBB923_210
.LBB923_595:
	s_barrier
	buffer_load_dword v2, off, s[0:3], 0 offset:320
	buffer_load_dword v5, off, s[0:3], 0 offset:332
	;; [unrolled: 1-line block ×4, first 2 shown]
	v_cmp_gt_u32_e32 vcc, 64, v0
	s_waitcnt vmcnt(0)
	ds_write2st64_b64 v43, v[2:3], v[4:5] offset1:1
	s_waitcnt lgkmcnt(0)
	s_barrier
	s_and_saveexec_b64 s[4:5], vcc
	s_cbranch_execz .LBB923_598
; %bb.596:
	s_lshl_b32 s4, s50, 7
	s_mul_i32 s5, s18, s8
	s_mul_hi_u32 s9, s5, s4
	s_mul_i32 s8, s5, s4
	s_lshl_b64 s[8:9], s[8:9], 1
	v_lshlrev_b32_e32 v4, 6, v55
	s_add_u32 s5, s48, s8
	v_lshl_or_b32 v0, v0, 10, v4
	s_mov_b32 s7, 0
	s_addc_u32 s8, s49, s9
	s_lshl_b32 s6, s24, 7
	v_lshlrev_b32_e32 v2, 5, v1
	v_and_b32_e32 v3, 16, v56
	v_and_b32_e32 v0, 0x1a00, v0
	s_lshl_b64 s[6:7], s[6:7], 1
	v_or3_b32 v0, v0, v2, v3
	s_add_u32 s5, s5, s6
	ds_read_b128 v[6:9], v0 offset:256
	v_or_b32_e32 v2, 12, v1
	s_addc_u32 s6, s8, s7
	ds_read_b128 v[10:13], v0 offset:128
	ds_read_b128 v[14:17], v0
	v_add_u32_e32 v1, s25, v1
	v_mov_b32_e32 v4, s6
	v_add_co_u32_e32 v3, vcc, s5, v54
	v_mad_u64_u32 v[18:19], s[6:7], v1, s4, 0
	v_addc_co_u32_e32 v4, vcc, 0, v4, vcc
	v_lshlrev_b64 v[18:19], 1, v[18:19]
	v_add_co_u32_e32 v18, vcc, v3, v18
	v_addc_co_u32_e32 v19, vcc, v4, v19, vcc
	v_add_u32_e32 v5, 4, v1
	s_waitcnt lgkmcnt(0)
	global_store_dwordx4 v[18:19], v[14:17], off
	v_add_u32_e32 v1, 8, v1
	v_mad_u64_u32 v[14:15], s[6:7], v5, s4, 0
	v_lshlrev_b64 v[14:15], 1, v[14:15]
	v_add_co_u32_e32 v14, vcc, v3, v14
	v_addc_co_u32_e32 v15, vcc, v4, v15, vcc
	global_store_dwordx4 v[14:15], v[10:13], off
	s_nop 0
	v_mad_u64_u32 v[10:11], s[6:7], v1, s4, 0
	v_lshlrev_b64 v[10:11], 1, v[10:11]
	v_add_co_u32_e32 v10, vcc, v3, v10
	v_addc_co_u32_e32 v11, vcc, v4, v11, vcc
	v_cmp_gt_u32_e32 vcc, 14, v2
	global_store_dwordx4 v[10:11], v[6:9], off
	s_and_b64 exec, exec, vcc
	s_cbranch_execz .LBB923_598
; %bb.597:
	ds_read_b128 v[6:9], v0 offset:384
	v_add_u32_e32 v0, s25, v2
	v_mad_u64_u32 v[0:1], s[4:5], v0, s4, 0
	v_lshlrev_b64 v[0:1], 1, v[0:1]
	v_add_co_u32_e32 v0, vcc, v3, v0
	v_addc_co_u32_e32 v1, vcc, v4, v1, vcc
	s_waitcnt lgkmcnt(0)
	global_store_dwordx4 v[0:1], v[6:9], off
.LBB923_598:
	s_endpgm
	.section	.rodata,"a",@progbits
	.p2align	6, 0x0
	.amdhsa_kernel _Z39paged_attention_ll4mi_QKV_mfma16_kernelI14__hip_bfloat16hLN4vllm18Fp8KVCacheDataTypeE1ES0_Li16ELi128ELi256ELb0ELi14EL8MFMAType0EEvPKT_PKT0_S9_ifPKiSB_SB_iPKfiiiPfSE_PS4_PT2_iSD_SD_
		.amdhsa_group_segment_fixed_size 8192
		.amdhsa_private_segment_fixed_size 352
		.amdhsa_kernarg_size 400
		.amdhsa_user_sgpr_count 8
		.amdhsa_user_sgpr_private_segment_buffer 1
		.amdhsa_user_sgpr_dispatch_ptr 0
		.amdhsa_user_sgpr_queue_ptr 0
		.amdhsa_user_sgpr_kernarg_segment_ptr 1
		.amdhsa_user_sgpr_dispatch_id 0
		.amdhsa_user_sgpr_flat_scratch_init 1
		.amdhsa_user_sgpr_kernarg_preload_length 0
		.amdhsa_user_sgpr_kernarg_preload_offset 0
		.amdhsa_user_sgpr_private_segment_size 0
		.amdhsa_uses_dynamic_stack 0
		.amdhsa_system_sgpr_private_segment_wavefront_offset 1
		.amdhsa_system_sgpr_workgroup_id_x 1
		.amdhsa_system_sgpr_workgroup_id_y 1
		.amdhsa_system_sgpr_workgroup_id_z 1
		.amdhsa_system_sgpr_workgroup_info 0
		.amdhsa_system_vgpr_workitem_id 0
		.amdhsa_next_free_vgpr 76
		.amdhsa_next_free_sgpr 53
		.amdhsa_accum_offset 76
		.amdhsa_reserve_vcc 1
		.amdhsa_reserve_flat_scratch 0
		.amdhsa_float_round_mode_32 0
		.amdhsa_float_round_mode_16_64 0
		.amdhsa_float_denorm_mode_32 3
		.amdhsa_float_denorm_mode_16_64 3
		.amdhsa_dx10_clamp 1
		.amdhsa_ieee_mode 1
		.amdhsa_fp16_overflow 0
		.amdhsa_tg_split 0
		.amdhsa_exception_fp_ieee_invalid_op 0
		.amdhsa_exception_fp_denorm_src 0
		.amdhsa_exception_fp_ieee_div_zero 0
		.amdhsa_exception_fp_ieee_overflow 0
		.amdhsa_exception_fp_ieee_underflow 0
		.amdhsa_exception_fp_ieee_inexact 0
		.amdhsa_exception_int_div_zero 0
	.end_amdhsa_kernel
	.section	.text._Z39paged_attention_ll4mi_QKV_mfma16_kernelI14__hip_bfloat16hLN4vllm18Fp8KVCacheDataTypeE1ES0_Li16ELi128ELi256ELb0ELi14EL8MFMAType0EEvPKT_PKT0_S9_ifPKiSB_SB_iPKfiiiPfSE_PS4_PT2_iSD_SD_,"axG",@progbits,_Z39paged_attention_ll4mi_QKV_mfma16_kernelI14__hip_bfloat16hLN4vllm18Fp8KVCacheDataTypeE1ES0_Li16ELi128ELi256ELb0ELi14EL8MFMAType0EEvPKT_PKT0_S9_ifPKiSB_SB_iPKfiiiPfSE_PS4_PT2_iSD_SD_,comdat
.Lfunc_end923:
	.size	_Z39paged_attention_ll4mi_QKV_mfma16_kernelI14__hip_bfloat16hLN4vllm18Fp8KVCacheDataTypeE1ES0_Li16ELi128ELi256ELb0ELi14EL8MFMAType0EEvPKT_PKT0_S9_ifPKiSB_SB_iPKfiiiPfSE_PS4_PT2_iSD_SD_, .Lfunc_end923-_Z39paged_attention_ll4mi_QKV_mfma16_kernelI14__hip_bfloat16hLN4vllm18Fp8KVCacheDataTypeE1ES0_Li16ELi128ELi256ELb0ELi14EL8MFMAType0EEvPKT_PKT0_S9_ifPKiSB_SB_iPKfiiiPfSE_PS4_PT2_iSD_SD_
                                        ; -- End function
	.section	.AMDGPU.csdata,"",@progbits
; Kernel info:
; codeLenInByte = 22300
; NumSgprs: 57
; NumVgprs: 76
; NumAgprs: 0
; TotalNumVgprs: 76
; ScratchSize: 352
; MemoryBound: 0
; FloatMode: 240
; IeeeMode: 1
; LDSByteSize: 8192 bytes/workgroup (compile time only)
; SGPRBlocks: 7
; VGPRBlocks: 9
; NumSGPRsForWavesPerEU: 57
; NumVGPRsForWavesPerEU: 76
; AccumOffset: 76
; Occupancy: 6
; WaveLimiterHint : 1
; COMPUTE_PGM_RSRC2:SCRATCH_EN: 1
; COMPUTE_PGM_RSRC2:USER_SGPR: 8
; COMPUTE_PGM_RSRC2:TRAP_HANDLER: 0
; COMPUTE_PGM_RSRC2:TGID_X_EN: 1
; COMPUTE_PGM_RSRC2:TGID_Y_EN: 1
; COMPUTE_PGM_RSRC2:TGID_Z_EN: 1
; COMPUTE_PGM_RSRC2:TIDIG_COMP_CNT: 0
; COMPUTE_PGM_RSRC3_GFX90A:ACCUM_OFFSET: 18
; COMPUTE_PGM_RSRC3_GFX90A:TG_SPLIT: 0
	.section	.text._Z39paged_attention_ll4mi_QKV_mfma16_kernelI14__hip_bfloat16hLN4vllm18Fp8KVCacheDataTypeE1ES0_Li16ELi128ELi256ELb0ELi15EL8MFMAType0EEvPKT_PKT0_S9_ifPKiSB_SB_iPKfiiiPfSE_PS4_PT2_iSD_SD_,"axG",@progbits,_Z39paged_attention_ll4mi_QKV_mfma16_kernelI14__hip_bfloat16hLN4vllm18Fp8KVCacheDataTypeE1ES0_Li16ELi128ELi256ELb0ELi15EL8MFMAType0EEvPKT_PKT0_S9_ifPKiSB_SB_iPKfiiiPfSE_PS4_PT2_iSD_SD_,comdat
	.protected	_Z39paged_attention_ll4mi_QKV_mfma16_kernelI14__hip_bfloat16hLN4vllm18Fp8KVCacheDataTypeE1ES0_Li16ELi128ELi256ELb0ELi15EL8MFMAType0EEvPKT_PKT0_S9_ifPKiSB_SB_iPKfiiiPfSE_PS4_PT2_iSD_SD_ ; -- Begin function _Z39paged_attention_ll4mi_QKV_mfma16_kernelI14__hip_bfloat16hLN4vllm18Fp8KVCacheDataTypeE1ES0_Li16ELi128ELi256ELb0ELi15EL8MFMAType0EEvPKT_PKT0_S9_ifPKiSB_SB_iPKfiiiPfSE_PS4_PT2_iSD_SD_
	.globl	_Z39paged_attention_ll4mi_QKV_mfma16_kernelI14__hip_bfloat16hLN4vllm18Fp8KVCacheDataTypeE1ES0_Li16ELi128ELi256ELb0ELi15EL8MFMAType0EEvPKT_PKT0_S9_ifPKiSB_SB_iPKfiiiPfSE_PS4_PT2_iSD_SD_
	.p2align	8
	.type	_Z39paged_attention_ll4mi_QKV_mfma16_kernelI14__hip_bfloat16hLN4vllm18Fp8KVCacheDataTypeE1ES0_Li16ELi128ELi256ELb0ELi15EL8MFMAType0EEvPKT_PKT0_S9_ifPKiSB_SB_iPKfiiiPfSE_PS4_PT2_iSD_SD_,@function
_Z39paged_attention_ll4mi_QKV_mfma16_kernelI14__hip_bfloat16hLN4vllm18Fp8KVCacheDataTypeE1ES0_Li16ELi128ELi256ELb0ELi15EL8MFMAType0EEvPKT_PKT0_S9_ifPKiSB_SB_iPKfiiiPfSE_PS4_PT2_iSD_SD_: ; @_Z39paged_attention_ll4mi_QKV_mfma16_kernelI14__hip_bfloat16hLN4vllm18Fp8KVCacheDataTypeE1ES0_Li16ELi128ELi256ELb0ELi15EL8MFMAType0EEvPKT_PKT0_S9_ifPKiSB_SB_iPKfiiiPfSE_PS4_PT2_iSD_SD_
; %bb.0:
	s_load_dwordx2 s[6:7], s[4:5], 0x30
	s_add_u32 s0, s0, s11
	s_addc_u32 s1, s1, 0
	s_mov_b32 s24, s9
	s_mov_b64 s[12:13], 0
	s_waitcnt lgkmcnt(0)
	s_cmp_lg_u64 s[6:7], 0
	s_cselect_b64 s[16:17], -1, 0
	s_and_b64 vcc, exec, s[16:17]
	s_cbranch_vccz .LBB924_7
; %bb.1:
	s_add_i32 s14, s8, 1
	s_mov_b32 s15, 0
	s_lshl_b64 s[18:19], s[14:15], 2
	s_add_u32 s18, s6, s18
	s_mov_b32 s9, s15
	s_addc_u32 s19, s7, s19
	s_lshl_b64 s[14:15], s[8:9], 2
	s_add_u32 s14, s6, s14
	s_addc_u32 s15, s7, s15
	s_load_dword s11, s[18:19], 0x0
	s_load_dword s20, s[14:15], 0x0
	s_waitcnt lgkmcnt(0)
	s_sub_i32 s11, s11, s20
	s_cmp_eq_u32 s11, 1
	s_cselect_b64 s[14:15], -1, 0
	s_andn2_b64 vcc, exec, s[12:13]
	s_cbranch_vccnz .LBB924_3
.LBB924_2:
	s_mov_b32 s9, 0
	s_mov_b64 s[14:15], -1
.LBB924_3:
	s_andn2_b64 vcc, exec, s[14:15]
	s_cbranch_vccnz .LBB924_598
; %bb.4:
	s_load_dwordx2 s[12:13], s[4:5], 0x28
	s_lshl_b64 s[18:19], s[8:9], 2
	s_waitcnt lgkmcnt(0)
	s_add_u32 s12, s12, s18
	s_addc_u32 s13, s13, s19
	s_load_dword s33, s[12:13], 0x0
	s_lshl_b32 s20, s24, 8
	s_waitcnt lgkmcnt(0)
	s_cmp_ge_i32 s20, s33
	s_cbranch_scc1 .LBB924_598
; %bb.5:
	s_add_i32 s14, s33, 15
	s_load_dwordx2 s[12:13], s[4:5], 0x20
	s_load_dword s11, s[4:5], 0x38
	s_ashr_i32 s15, s14, 31
	v_and_b32_e32 v1, 0xcf, v0
	s_lshr_b32 s15, s15, 28
	v_add_u32_e32 v1, s20, v1
	s_add_i32 s14, s14, s15
	v_ashrrev_i32_e32 v2, 31, v1
	s_ashr_i32 s22, s14, 4
	v_lshrrev_b32_e32 v6, 28, v2
	s_add_i32 s22, s22, -1
	v_add_u32_e32 v2, v1, v6
	s_waitcnt lgkmcnt(0)
	s_mul_i32 s14, s8, s11
	s_mov_b32 s15, 0
	v_ashrrev_i32_e32 v2, 4, v2
	v_mov_b32_e32 v7, s22
	v_cmp_gt_i32_e32 vcc, s33, v1
	s_lshl_b64 s[14:15], s[14:15], 2
	v_cndmask_b32_e32 v2, v7, v2, vcc
	s_add_u32 s11, s12, s14
	v_ashrrev_i32_e32 v3, 31, v2
	s_addc_u32 s21, s13, s15
	v_lshlrev_b64 v[2:3], 2, v[2:3]
	v_mov_b32_e32 v5, s21
	v_add_co_u32_e32 v4, vcc, s11, v2
	v_or_b32_e32 v2, 16, v1
	v_addc_co_u32_e32 v5, vcc, v5, v3, vcc
	v_add_u32_e32 v3, v2, v6
	v_ashrrev_i32_e32 v3, 4, v3
	v_cmp_gt_i32_e32 vcc, s33, v2
	v_cndmask_b32_e32 v2, v7, v3, vcc
	v_ashrrev_i32_e32 v3, 31, v2
	v_lshlrev_b64 v[2:3], 2, v[2:3]
	v_mov_b32_e32 v9, s21
	v_add_co_u32_e32 v8, vcc, s11, v2
	v_or_b32_e32 v2, 32, v1
	v_addc_co_u32_e32 v9, vcc, v9, v3, vcc
	v_add_u32_e32 v3, v2, v6
	v_ashrrev_i32_e32 v3, 4, v3
	v_cmp_gt_i32_e32 vcc, s33, v2
	v_cndmask_b32_e32 v2, v7, v3, vcc
	v_ashrrev_i32_e32 v3, 31, v2
	;; [unrolled: 10-line block ×3, first 2 shown]
	v_lshlrev_b64 v[2:3], 2, v[2:3]
	v_mov_b32_e32 v1, s21
	v_add_co_u32_e32 v12, vcc, s11, v2
	v_addc_co_u32_e32 v13, vcc, v1, v3, vcc
	global_load_dword v3, v[4:5], off
	global_load_dword v2, v[8:9], off
	;; [unrolled: 1-line block ×4, first 2 shown]
	s_load_dwordx4 s[12:15], s[4:5], 0x8
	s_andn2_b64 vcc, exec, s[16:17]
	s_cbranch_vccnz .LBB924_8
; %bb.6:
	s_add_u32 s6, s6, s18
	s_addc_u32 s7, s7, s19
	s_load_dword s16, s[6:7], 0x0
	s_branch .LBB924_9
.LBB924_7:
	s_mov_b64 s[14:15], 0
	s_branch .LBB924_2
.LBB924_8:
	s_mov_b32 s16, s8
.LBB924_9:
	s_load_dwordx2 s[48:49], s[4:5], 0x68
	s_load_dwordx8 s[40:47], s[4:5], 0x48
	v_lshrrev_b32_e32 v64, 6, v0
	v_bfe_u32 v1, v0, 4, 2
	v_and_b32_e32 v55, 15, v0
	v_lshl_or_b32 v4, v64, 2, v1
	v_lshlrev_b32_e32 v5, 3, v55
	s_mul_i32 s25, s10, 15
	v_cmp_gt_u32_e32 vcc, 15, v4
	v_lshlrev_b32_e32 v54, 1, v5
	v_lshlrev_b32_e32 v56, 4, v0
	s_and_saveexec_b64 s[6:7], vcc
	s_cbranch_execz .LBB924_11
; %bb.10:
	s_load_dwordx2 s[18:19], s[4:5], 0x0
	s_waitcnt lgkmcnt(0)
	s_ashr_i32 s17, s40, 31
	s_mul_hi_u32 s23, s16, s40
	s_mul_i32 s17, s16, s17
	s_add_i32 s17, s23, s17
	s_mul_i32 s16, s16, s40
	s_lshl_b64 s[16:17], s[16:17], 1
	v_add_lshl_u32 v8, v4, s25, 7
	s_add_u32 s16, s18, s16
	v_ashrrev_i32_e32 v9, 31, v8
	s_addc_u32 s17, s19, s17
	v_lshlrev_b64 v[8:9], 1, v[8:9]
	v_mov_b32_e32 v5, s17
	v_add_co_u32_e32 v7, vcc, s16, v8
	v_addc_co_u32_e32 v5, vcc, v5, v9, vcc
	v_add_co_u32_e32 v8, vcc, v7, v54
	v_addc_co_u32_e32 v9, vcc, 0, v5, vcc
	global_load_dwordx4 v[8:11], v[8:9], off
	v_lshlrev_b32_e32 v7, 8, v0
	v_lshlrev_b32_e32 v5, 8, v55
	v_and_b32_e32 v7, 0x600, v7
	s_movk_i32 s16, 0x800
	v_and_or_b32 v5, v5, s16, v7
	v_lshlrev_b32_e32 v4, 5, v4
	v_and_b32_e32 v7, 16, v56
	v_or3_b32 v4, v5, v4, v7
	s_waitcnt vmcnt(0)
	ds_write_b128 v4, v[8:11]
.LBB924_11:
	s_or_b64 exec, exec, s[6:7]
	v_and_b32_e32 v7, 48, v0
	v_or_b32_e32 v12, s20, v7
	v_ashrrev_i32_e32 v4, 4, v12
	v_mov_b32_e32 v13, s22
	v_cmp_gt_i32_e32 vcc, s33, v12
	v_cndmask_b32_e32 v4, v13, v4, vcc
	v_ashrrev_i32_e32 v5, 31, v4
	v_lshlrev_b64 v[4:5], 2, v[4:5]
	v_mov_b32_e32 v8, s21
	v_add_co_u32_e32 v4, vcc, s11, v4
	v_addc_co_u32_e32 v5, vcc, v8, v5, vcc
	v_or_b32_e32 v8, 64, v12
	v_ashrrev_i32_e32 v9, 4, v8
	v_cmp_gt_i32_e32 vcc, s33, v8
	v_cndmask_b32_e32 v8, v13, v9, vcc
	v_ashrrev_i32_e32 v9, 31, v8
	v_lshlrev_b64 v[8:9], 2, v[8:9]
	v_mov_b32_e32 v10, s21
	v_add_co_u32_e32 v8, vcc, s11, v8
	v_addc_co_u32_e32 v9, vcc, v10, v9, vcc
	v_or_b32_e32 v10, 0x80, v12
	v_ashrrev_i32_e32 v11, 4, v10
	v_cmp_gt_i32_e32 vcc, s33, v10
	v_cndmask_b32_e32 v10, v13, v11, vcc
	v_ashrrev_i32_e32 v11, 31, v10
	v_lshlrev_b64 v[10:11], 2, v[10:11]
	v_mov_b32_e32 v14, s21
	v_add_co_u32_e32 v10, vcc, s11, v10
	s_load_dwordx2 s[50:51], s[4:5], 0x94
	s_waitcnt lgkmcnt(0)
	s_barrier
	v_addc_co_u32_e32 v11, vcc, v14, v11, vcc
	global_load_dword v50, v[4:5], off
	global_load_dword v57, v[8:9], off
	;; [unrolled: 1-line block ×3, first 2 shown]
	v_or_b32_e32 v4, 0xc0, v12
	v_ashrrev_i32_e32 v5, 4, v4
	v_cmp_gt_i32_e32 vcc, s33, v4
	v_cndmask_b32_e32 v4, v13, v5, vcc
	v_ashrrev_i32_e32 v5, 31, v4
	v_lshlrev_b64 v[4:5], 2, v[4:5]
	v_mov_b32_e32 v8, s21
	v_add_co_u32_e32 v4, vcc, s11, v4
	v_addc_co_u32_e32 v5, vcc, v8, v5, vcc
	global_load_dword v63, v[4:5], off
	s_mul_i32 s10, s10, s42
	s_add_u32 s6, s12, s10
	s_addc_u32 s7, s13, 0
	v_and_b32_e32 v4, 0xf0, v56
	v_mov_b32_e32 v5, s7
	v_add_co_u32_e32 v20, vcc, s6, v4
	v_addc_co_u32_e32 v21, vcc, 0, v5, vcc
	v_lshlrev_b32_e32 v28, 4, v7
	s_waitcnt vmcnt(7)
	v_mad_i64_i32 v[4:5], s[6:7], v3, s41, v[20:21]
	v_add_co_u32_e32 v4, vcc, v4, v28
	v_addc_co_u32_e32 v5, vcc, 0, v5, vcc
	global_load_dwordx4 v[34:37], v[4:5], off
	global_load_dwordx4 v[10:13], v[4:5], off offset:1024
	s_waitcnt vmcnt(8)
	v_mad_i64_i32 v[2:3], s[6:7], v2, s41, v[20:21]
	v_add_co_u32_e32 v8, vcc, v2, v28
	v_addc_co_u32_e32 v9, vcc, 0, v3, vcc
	s_waitcnt vmcnt(7)
	v_mad_i64_i32 v[6:7], s[6:7], v6, s41, v[20:21]
	v_add_co_u32_e32 v26, vcc, v6, v28
	v_addc_co_u32_e32 v27, vcc, 0, v7, vcc
	s_waitcnt vmcnt(6)
	v_mad_i64_i32 v[18:19], s[6:7], v18, s41, v[20:21]
	v_add_co_u32_e32 v30, vcc, v18, v28
	s_add_u32 s10, s14, s10
	v_lshl_or_b32 v65, v64, 4, v55
	global_load_dwordx4 v[14:17], v[8:9], off
	global_load_dwordx4 v[2:5], v[8:9], off offset:1024
	v_addc_co_u32_e32 v31, vcc, 0, v19, vcc
	s_addc_u32 s11, s15, 0
	v_lshlrev_b32_e32 v51, 4, v65
	global_load_dwordx4 v[6:9], v[26:27], off
	global_load_dwordx4 v[22:25], v[26:27], off offset:1024
	s_nop 0
	global_load_dwordx4 v[26:29], v[30:31], off
	global_load_dwordx4 v[18:21], v[30:31], off offset:1024
	v_mov_b32_e32 v30, s11
	v_add_co_u32_e32 v42, vcc, s10, v51
	v_addc_co_u32_e32 v43, vcc, 0, v30, vcc
	v_or_b32_e32 v51, 0x400, v51
	v_mov_b32_e32 v52, s11
	v_add_co_u32_e32 v58, vcc, s10, v51
	v_addc_co_u32_e32 v59, vcc, 0, v52, vcc
	v_cmp_ne_u32_e32 vcc, 15, v55
	s_mov_b32 s12, 0
	s_movk_i32 s13, 0x80
	s_movk_i32 s14, 0x7f
	s_mov_b32 s15, 0xffffff
	s_mov_b32 s16, 0x5040100
	s_waitcnt vmcnt(11)
	v_mad_i64_i32 v[30:31], s[6:7], v50, s41, v[42:43]
	s_waitcnt vmcnt(10)
	v_mad_i64_i32 v[32:33], s[6:7], v57, s41, v[42:43]
	;; [unrolled: 2-line block ×3, first 2 shown]
	global_load_dwordx4 v[38:41], v[30:31], off
	s_nop 0
	global_load_dwordx4 v[30:33], v[32:33], off
	v_mad_i64_i32 v[50:51], s[6:7], v50, s41, v[58:59]
	v_mad_i64_i32 v[60:61], s[6:7], v57, s41, v[58:59]
	s_waitcnt vmcnt(10)
	v_mad_i64_i32 v[42:43], s[6:7], v63, s41, v[42:43]
	global_load_dwordx4 v[46:49], v[44:45], off
	s_nop 0
	global_load_dwordx4 v[42:45], v[42:43], off
	s_nop 0
	;; [unrolled: 2-line block ×3, first 2 shown]
	global_load_dwordx4 v[66:69], v[60:61], off
	v_mad_i64_i32 v[60:61], s[6:7], v62, s41, v[58:59]
	global_load_dwordx4 v[70:73], v[60:61], off
	s_waitcnt vmcnt(14)
	buffer_store_dword v37, off, s[0:3], 0 offset:12
	buffer_store_dword v36, off, s[0:3], 0 offset:8
	v_mad_i64_i32 v[36:37], s[6:7], v63, s41, v[58:59]
	global_load_dwordx4 v[74:77], v[36:37], off
	s_nop 0
	buffer_store_dword v35, off, s[0:3], 0 offset:4
	buffer_store_dword v34, off, s[0:3], 0
	s_waitcnt vmcnt(18)
	buffer_store_dword v13, off, s[0:3], 0 offset:28
	buffer_store_dword v12, off, s[0:3], 0 offset:24
	;; [unrolled: 1-line block ×4, first 2 shown]
	s_waitcnt vmcnt(21)
	buffer_store_dword v17, off, s[0:3], 0 offset:44
	buffer_store_dword v16, off, s[0:3], 0 offset:40
	;; [unrolled: 1-line block ×4, first 2 shown]
	s_load_dword s6, s[4:5], 0x1c
	s_load_dwordx4 s[40:43], s[4:5], 0x80
	s_waitcnt vmcnt(24)
	buffer_store_dword v5, off, s[0:3], 0 offset:60
	buffer_store_dword v4, off, s[0:3], 0 offset:56
	buffer_store_dword v3, off, s[0:3], 0 offset:52
	buffer_store_dword v2, off, s[0:3], 0 offset:48
	v_cndmask_b32_e32 v2, 0, v55, vcc
	v_lshlrev_b32_e32 v2, 5, v2
	v_mov_b32_e32 v10, 0x80
	s_waitcnt vmcnt(27)
	buffer_store_dword v9, off, s[0:3], 0 offset:76
	buffer_store_dword v8, off, s[0:3], 0 offset:72
	buffer_store_dword v7, off, s[0:3], 0 offset:68
	buffer_store_dword v6, off, s[0:3], 0 offset:64
	v_lshl_or_b32 v14, v1, 9, v2
	v_add_u32_e32 v57, 16, v10
	v_add_u32_e32 v63, 32, v10
	;; [unrolled: 1-line block ×7, first 2 shown]
	ds_read_b128 v[2:5], v14
	ds_read_b128 v[6:9], v14 offset:16
	ds_read_b128 v[10:13], v14 offset:2048
	;; [unrolled: 1-line block ×3, first 2 shown]
	s_waitcnt vmcnt(30)
	buffer_store_dword v25, off, s[0:3], 0 offset:92
	buffer_store_dword v24, off, s[0:3], 0 offset:88
	buffer_store_dword v23, off, s[0:3], 0 offset:84
	buffer_store_dword v22, off, s[0:3], 0 offset:80
	s_waitcnt vmcnt(33)
	buffer_store_dword v29, off, s[0:3], 0 offset:108
	buffer_store_dword v28, off, s[0:3], 0 offset:104
	buffer_store_dword v27, off, s[0:3], 0 offset:100
	buffer_store_dword v26, off, s[0:3], 0 offset:96
	;; [unrolled: 5-line block ×3, first 2 shown]
	s_waitcnt lgkmcnt(0)
	v_mov_b32_e32 v18, s6
	v_and_b32_e32 v35, 63, v0
	v_mov_b32_e32 v27, 0
	v_mov_b32_e32 v29, 0x100
	s_waitcnt vmcnt(39)
	buffer_store_dword v41, off, s[0:3], 0 offset:140
	buffer_store_dword v40, off, s[0:3], 0 offset:136
	buffer_store_dword v39, off, s[0:3], 0 offset:132
	buffer_store_dword v38, off, s[0:3], 0 offset:128
	s_waitcnt vmcnt(42)
	buffer_store_dword v33, off, s[0:3], 0 offset:172
	buffer_store_dword v32, off, s[0:3], 0 offset:168
	buffer_store_dword v31, off, s[0:3], 0 offset:164
	buffer_store_dword v30, off, s[0:3], 0 offset:160
	s_waitcnt vmcnt(45)
	buffer_store_dword v49, off, s[0:3], 0 offset:204
	buffer_store_dword v48, off, s[0:3], 0 offset:200
	buffer_store_dword v47, off, s[0:3], 0 offset:196
	buffer_store_dword v46, off, s[0:3], 0 offset:192
	s_waitcnt vmcnt(48)
	buffer_store_dword v45, off, s[0:3], 0 offset:236
	buffer_store_dword v44, off, s[0:3], 0 offset:232
	buffer_store_dword v43, off, s[0:3], 0 offset:228
	buffer_store_dword v42, off, s[0:3], 0 offset:224
	s_waitcnt vmcnt(51)
	buffer_store_dword v53, off, s[0:3], 0 offset:156
	buffer_store_dword v52, off, s[0:3], 0 offset:152
	buffer_store_dword v51, off, s[0:3], 0 offset:148
	buffer_store_dword v50, off, s[0:3], 0 offset:144
	s_waitcnt vmcnt(54)
	buffer_store_dword v69, off, s[0:3], 0 offset:188
	buffer_store_dword v68, off, s[0:3], 0 offset:184
	buffer_store_dword v67, off, s[0:3], 0 offset:180
	buffer_store_dword v66, off, s[0:3], 0 offset:176
	s_waitcnt vmcnt(57)
	buffer_store_dword v73, off, s[0:3], 0 offset:220
	buffer_store_dword v72, off, s[0:3], 0 offset:216
	buffer_store_dword v71, off, s[0:3], 0 offset:212
	buffer_store_dword v70, off, s[0:3], 0 offset:208
	s_waitcnt vmcnt(58)
	buffer_store_dword v77, off, s[0:3], 0 offset:252
	s_load_dword s4, s[40:41], 0x0
	v_mov_b32_e32 v31, 0
	v_bfrev_b32_e32 v33, 60
	buffer_store_dword v76, off, s[0:3], 0 offset:248
	buffer_store_dword v75, off, s[0:3], 0 offset:244
	;; [unrolled: 1-line block ×3, first 2 shown]
	s_waitcnt lgkmcnt(0)
	v_mul_f32_e32 v22, s4, v18
	v_mov_b32_e32 v24, v22
	v_mov_b32_e32 v25, v22
	s_branch .LBB924_15
.LBB924_12:                             ;   in Loop: Header=BB924_15 Depth=1
	s_or_b64 exec, exec, s[10:11]
.LBB924_13:                             ;   in Loop: Header=BB924_15 Depth=1
	s_or_b64 exec, exec, s[6:7]
.LBB924_14:                             ;   in Loop: Header=BB924_15 Depth=1
	s_or_b64 exec, exec, s[4:5]
	v_perm_b32 v41, v37, v32, s16
	v_perm_b32 v40, v23, v34, s16
	;; [unrolled: 1-line block ×4, first 2 shown]
	v_add_u32_e32 v26, s12, v29
	v_mfma_f32_16x16x16bf16_1k v[18:21], v[40:41], v[14:15], v[18:21]
	s_add_i32 s12, s12, 16
	v_mov_b32_e32 v23, v22
	s_cmp_eq_u32 s12, 64
	v_add_u32_e32 v27, 32, v27
	v_mfma_f32_16x16x16bf16_1k v[18:21], v[36:37], v[16:17], v[18:21]
	s_nop 7
	s_nop 2
	v_pk_mul_f32 v[18:19], v[24:25], v[18:19]
	v_pk_mul_f32 v[20:21], v[22:23], v[20:21]
	buffer_store_dword v19, v26, s[0:3], 0 offen offset:4
	buffer_store_dword v18, v26, s[0:3], 0 offen
	buffer_store_dword v21, v26, s[0:3], 0 offen offset:12
	buffer_store_dword v20, v26, s[0:3], 0 offen offset:8
	s_cbranch_scc1 .LBB924_205
.LBB924_15:                             ; =>This Inner Loop Header: Depth=1
	buffer_load_dword v20, v27, s[0:3], 0 offen
	buffer_load_dword v18, v27, s[0:3], 0 offen offset:4
	buffer_load_dword v28, v27, s[0:3], 0 offen offset:8
	;; [unrolled: 1-line block ×3, first 2 shown]
	v_mov_b32_e32 v19, 0
	s_waitcnt vmcnt(3)
	v_cmp_ne_u16_sdwa s[6:7], v20, v31 src0_sel:BYTE_0 src1_sel:DWORD
	s_and_saveexec_b64 s[4:5], s[6:7]
	s_cbranch_execz .LBB924_21
; %bb.16:                               ;   in Loop: Header=BB924_15 Depth=1
	v_cmp_ne_u16_sdwa s[10:11], v20, s13 src0_sel:BYTE_0 src1_sel:DWORD
	v_mov_b32_e32 v19, 0xffff8000
	s_and_saveexec_b64 s[6:7], s[10:11]
	s_cbranch_execz .LBB924_20
; %bb.17:                               ;   in Loop: Header=BB924_15 Depth=1
	v_and_b32_e32 v21, 0x7f, v20
	v_cmp_ne_u32_e32 vcc, s14, v21
	v_mov_b32_e32 v19, 0x7f80
	s_and_saveexec_b64 s[10:11], vcc
	s_cbranch_execz .LBB924_19
; %bb.18:                               ;   in Loop: Header=BB924_15 Depth=1
	v_and_b32_e32 v19, 7, v20
	v_ffbh_u32_e32 v30, v19
	v_min_u32_e32 v30, 32, v30
	v_subrev_u32_e32 v32, 28, v30
	v_lshlrev_b64 v[36:37], v32, v[20:21]
	v_lshrrev_b32_e32 v23, 3, v21
	v_sub_u32_e32 v30, 29, v30
	v_and_b32_e32 v32, 7, v36
	v_cmp_gt_u32_e32 vcc, 8, v21
	v_cndmask_b32_e32 v21, v23, v30, vcc
	v_cndmask_b32_e32 v19, v19, v32, vcc
	v_lshlrev_b32_e32 v23, 24, v20
	v_lshlrev_b32_e32 v19, 20, v19
	v_and_b32_e32 v23, 0x80000000, v23
	v_lshl_add_u32 v21, v21, 23, v33
	v_or3_b32 v19, v23, v21, v19
	v_lshrrev_b32_e32 v19, 16, v19
.LBB924_19:                             ;   in Loop: Header=BB924_15 Depth=1
	s_or_b64 exec, exec, s[10:11]
.LBB924_20:                             ;   in Loop: Header=BB924_15 Depth=1
	s_or_b64 exec, exec, s[6:7]
.LBB924_21:                             ;   in Loop: Header=BB924_15 Depth=1
	s_or_b64 exec, exec, s[4:5]
	v_lshrrev_b16_e32 v30, 8, v20
	v_cmp_ne_u16_e32 vcc, 0, v30
	v_mov_b32_e32 v23, 0
	v_mov_b32_e32 v21, 0
	s_and_saveexec_b64 s[4:5], vcc
	s_cbranch_execz .LBB924_27
; %bb.22:                               ;   in Loop: Header=BB924_15 Depth=1
	v_cmp_ne_u16_e32 vcc, s13, v30
	v_mov_b32_e32 v21, 0xffff8000
	s_and_saveexec_b64 s[6:7], vcc
	s_cbranch_execz .LBB924_26
; %bb.23:                               ;   in Loop: Header=BB924_15 Depth=1
	v_and_b32_e32 v32, 0x7f, v30
	v_cmp_ne_u32_e32 vcc, s14, v32
	v_mov_b32_e32 v21, 0x7f80
	s_and_saveexec_b64 s[10:11], vcc
	s_cbranch_execz .LBB924_25
; %bb.24:                               ;   in Loop: Header=BB924_15 Depth=1
	v_and_b32_e32 v21, 7, v30
	v_ffbh_u32_e32 v36, v21
	v_min_u32_e32 v38, 32, v36
	v_subrev_u32_e32 v36, 28, v38
	v_lshlrev_b64 v[36:37], v36, v[30:31]
	v_lshrrev_b32_e32 v34, 3, v32
	v_sub_u32_e32 v30, 29, v38
	v_and_b32_e32 v36, 7, v36
	v_cmp_gt_u32_e32 vcc, 8, v32
	v_cndmask_b32_e32 v30, v34, v30, vcc
	v_cndmask_b32_e32 v21, v21, v36, vcc
	v_lshlrev_b32_e32 v32, 16, v20
	v_lshlrev_b32_e32 v21, 20, v21
	v_and_b32_e32 v32, 0x80000000, v32
	v_lshl_add_u32 v30, v30, 23, v33
	v_or3_b32 v21, v32, v30, v21
	v_lshrrev_b32_e32 v21, 16, v21
.LBB924_25:                             ;   in Loop: Header=BB924_15 Depth=1
	s_or_b64 exec, exec, s[10:11]
.LBB924_26:                             ;   in Loop: Header=BB924_15 Depth=1
	s_or_b64 exec, exec, s[6:7]
.LBB924_27:                             ;   in Loop: Header=BB924_15 Depth=1
	s_or_b64 exec, exec, s[4:5]
	v_lshrrev_b32_e32 v30, 16, v20
	v_cmp_ne_u16_sdwa s[6:7], v30, v31 src0_sel:BYTE_0 src1_sel:DWORD
	s_and_saveexec_b64 s[4:5], s[6:7]
	s_cbranch_execz .LBB924_33
; %bb.28:                               ;   in Loop: Header=BB924_15 Depth=1
	v_cmp_ne_u16_sdwa s[10:11], v30, s13 src0_sel:BYTE_0 src1_sel:DWORD
	v_mov_b32_e32 v23, 0xffff8000
	s_and_saveexec_b64 s[6:7], s[10:11]
	s_cbranch_execz .LBB924_32
; %bb.29:                               ;   in Loop: Header=BB924_15 Depth=1
	v_bfe_u32 v32, v20, 16, 7
	v_cmp_ne_u32_e32 vcc, s14, v32
	v_mov_b32_e32 v23, 0x7f80
	s_and_saveexec_b64 s[10:11], vcc
	s_cbranch_execz .LBB924_31
; %bb.30:                               ;   in Loop: Header=BB924_15 Depth=1
	v_and_b32_e32 v23, 7, v30
	v_ffbh_u32_e32 v36, v23
	v_min_u32_e32 v38, 32, v36
	v_subrev_u32_e32 v36, 28, v38
	v_lshlrev_b64 v[36:37], v36, v[30:31]
	v_lshrrev_b32_e32 v34, 3, v32
	v_sub_u32_e32 v37, 29, v38
	v_and_b32_e32 v36, 7, v36
	v_cmp_gt_u32_e32 vcc, 8, v32
	v_cndmask_b32_e32 v32, v34, v37, vcc
	v_cndmask_b32_e32 v23, v23, v36, vcc
	v_lshlrev_b32_e32 v30, 24, v30
	v_lshlrev_b32_e32 v23, 20, v23
	v_and_b32_e32 v30, 0x80000000, v30
	v_lshl_add_u32 v32, v32, 23, v33
	v_or3_b32 v23, v30, v32, v23
	v_lshrrev_b32_e32 v23, 16, v23
.LBB924_31:                             ;   in Loop: Header=BB924_15 Depth=1
	s_or_b64 exec, exec, s[10:11]
.LBB924_32:                             ;   in Loop: Header=BB924_15 Depth=1
	s_or_b64 exec, exec, s[6:7]
.LBB924_33:                             ;   in Loop: Header=BB924_15 Depth=1
	s_or_b64 exec, exec, s[4:5]
	v_cmp_lt_u32_e32 vcc, s15, v20
	v_mov_b32_e32 v34, 0
	v_mov_b32_e32 v36, 0
	s_and_saveexec_b64 s[4:5], vcc
	s_cbranch_execz .LBB924_39
; %bb.34:                               ;   in Loop: Header=BB924_15 Depth=1
	v_lshrrev_b32_e32 v30, 24, v20
	v_cmp_ne_u32_e32 vcc, s13, v30
	v_mov_b32_e32 v36, 0xffff8000
	s_and_saveexec_b64 s[6:7], vcc
	s_cbranch_execz .LBB924_38
; %bb.35:                               ;   in Loop: Header=BB924_15 Depth=1
	v_bfe_u32 v20, v20, 24, 7
	v_cmp_ne_u32_e32 vcc, s14, v20
	v_mov_b32_e32 v36, 0x7f80
	s_and_saveexec_b64 s[10:11], vcc
	s_cbranch_execz .LBB924_37
; %bb.36:                               ;   in Loop: Header=BB924_15 Depth=1
	v_and_b32_e32 v32, 7, v30
	v_ffbh_u32_e32 v36, v32
	v_min_u32_e32 v39, 32, v36
	v_subrev_u32_e32 v36, 28, v39
	v_lshlrev_b64 v[36:37], v36, v[30:31]
	v_lshrrev_b32_e32 v38, 3, v20
	v_sub_u32_e32 v37, 29, v39
	v_and_b32_e32 v36, 7, v36
	v_cmp_gt_u32_e32 vcc, 8, v20
	v_cndmask_b32_e32 v20, v38, v37, vcc
	v_cndmask_b32_e32 v32, v32, v36, vcc
	v_lshlrev_b32_e32 v30, 24, v30
	v_lshlrev_b32_e32 v32, 20, v32
	v_and_b32_e32 v30, 0x80000000, v30
	v_lshl_add_u32 v20, v20, 23, v33
	v_or3_b32 v20, v30, v20, v32
	v_lshrrev_b32_e32 v36, 16, v20
.LBB924_37:                             ;   in Loop: Header=BB924_15 Depth=1
	s_or_b64 exec, exec, s[10:11]
.LBB924_38:                             ;   in Loop: Header=BB924_15 Depth=1
	s_or_b64 exec, exec, s[6:7]
.LBB924_39:                             ;   in Loop: Header=BB924_15 Depth=1
	s_or_b64 exec, exec, s[4:5]
	s_waitcnt vmcnt(2)
	v_cmp_ne_u16_sdwa s[6:7], v18, v31 src0_sel:BYTE_0 src1_sel:DWORD
	s_and_saveexec_b64 s[4:5], s[6:7]
	s_cbranch_execz .LBB924_45
; %bb.40:                               ;   in Loop: Header=BB924_15 Depth=1
	v_cmp_ne_u16_sdwa s[10:11], v18, s13 src0_sel:BYTE_0 src1_sel:DWORD
	v_mov_b32_e32 v34, 0xffff8000
	s_and_saveexec_b64 s[6:7], s[10:11]
	s_cbranch_execz .LBB924_44
; %bb.41:                               ;   in Loop: Header=BB924_15 Depth=1
	v_and_b32_e32 v20, 0x7f, v18
	v_cmp_ne_u32_e32 vcc, s14, v20
	v_mov_b32_e32 v34, 0x7f80
	s_and_saveexec_b64 s[10:11], vcc
	s_cbranch_execz .LBB924_43
; %bb.42:                               ;   in Loop: Header=BB924_15 Depth=1
	v_and_b32_e32 v30, 7, v18
	v_ffbh_u32_e32 v34, v30
	v_min_u32_e32 v34, 32, v34
	v_subrev_u32_e32 v37, 28, v34
	v_lshlrev_b64 v[38:39], v37, v[18:19]
	v_lshrrev_b32_e32 v32, 3, v20
	v_sub_u32_e32 v34, 29, v34
	v_and_b32_e32 v37, 7, v38
	v_cmp_gt_u32_e32 vcc, 8, v20
	v_cndmask_b32_e32 v20, v32, v34, vcc
	v_cndmask_b32_e32 v30, v30, v37, vcc
	v_lshlrev_b32_e32 v32, 24, v18
	v_lshlrev_b32_e32 v30, 20, v30
	v_and_b32_e32 v32, 0x80000000, v32
	v_lshl_add_u32 v20, v20, 23, v33
	v_or3_b32 v20, v32, v20, v30
	v_lshrrev_b32_e32 v34, 16, v20
.LBB924_43:                             ;   in Loop: Header=BB924_15 Depth=1
	s_or_b64 exec, exec, s[10:11]
.LBB924_44:                             ;   in Loop: Header=BB924_15 Depth=1
	s_or_b64 exec, exec, s[6:7]
.LBB924_45:                             ;   in Loop: Header=BB924_15 Depth=1
	s_or_b64 exec, exec, s[4:5]
	v_lshrrev_b16_e32 v20, 8, v18
	v_cmp_ne_u16_e32 vcc, 0, v20
	v_mov_b32_e32 v37, 0
	v_mov_b32_e32 v30, 0
	s_and_saveexec_b64 s[4:5], vcc
	s_cbranch_execz .LBB924_51
; %bb.46:                               ;   in Loop: Header=BB924_15 Depth=1
	v_cmp_ne_u16_e32 vcc, s13, v20
	v_mov_b32_e32 v30, 0xffff8000
	s_and_saveexec_b64 s[6:7], vcc
	s_cbranch_execz .LBB924_50
; %bb.47:                               ;   in Loop: Header=BB924_15 Depth=1
	v_and_b32_e32 v32, 0x7f, v20
	v_cmp_ne_u32_e32 vcc, s14, v32
	v_mov_b32_e32 v30, 0x7f80
	s_and_saveexec_b64 s[10:11], vcc
	s_cbranch_execz .LBB924_49
; %bb.48:                               ;   in Loop: Header=BB924_15 Depth=1
	v_and_b32_e32 v30, 7, v20
	v_ffbh_u32_e32 v38, v30
	v_min_u32_e32 v41, 32, v38
	v_subrev_u32_e32 v38, 28, v41
	v_lshlrev_b64 v[38:39], v38, v[20:21]
	v_lshrrev_b32_e32 v40, 3, v32
	v_sub_u32_e32 v20, 29, v41
	v_and_b32_e32 v38, 7, v38
	v_cmp_gt_u32_e32 vcc, 8, v32
	v_cndmask_b32_e32 v20, v40, v20, vcc
	v_cndmask_b32_e32 v30, v30, v38, vcc
	v_lshlrev_b32_e32 v32, 16, v18
	v_lshlrev_b32_e32 v30, 20, v30
	v_and_b32_e32 v32, 0x80000000, v32
	v_lshl_add_u32 v20, v20, 23, v33
	v_or3_b32 v20, v32, v20, v30
	v_lshrrev_b32_e32 v30, 16, v20
.LBB924_49:                             ;   in Loop: Header=BB924_15 Depth=1
	s_or_b64 exec, exec, s[10:11]
.LBB924_50:                             ;   in Loop: Header=BB924_15 Depth=1
	s_or_b64 exec, exec, s[6:7]
.LBB924_51:                             ;   in Loop: Header=BB924_15 Depth=1
	s_or_b64 exec, exec, s[4:5]
	v_lshrrev_b32_e32 v20, 16, v18
	v_cmp_ne_u16_sdwa s[6:7], v20, v31 src0_sel:BYTE_0 src1_sel:DWORD
	s_and_saveexec_b64 s[4:5], s[6:7]
	s_cbranch_execz .LBB924_57
; %bb.52:                               ;   in Loop: Header=BB924_15 Depth=1
	v_cmp_ne_u16_sdwa s[10:11], v20, s13 src0_sel:BYTE_0 src1_sel:DWORD
	v_mov_b32_e32 v37, 0xffff8000
	s_and_saveexec_b64 s[6:7], s[10:11]
	s_cbranch_execz .LBB924_56
; %bb.53:                               ;   in Loop: Header=BB924_15 Depth=1
	v_bfe_u32 v32, v18, 16, 7
	v_cmp_ne_u32_e32 vcc, s14, v32
	v_mov_b32_e32 v37, 0x7f80
	s_and_saveexec_b64 s[10:11], vcc
	s_cbranch_execz .LBB924_55
; %bb.54:                               ;   in Loop: Header=BB924_15 Depth=1
	v_and_b32_e32 v37, 7, v20
	v_ffbh_u32_e32 v38, v37
	v_min_u32_e32 v41, 32, v38
	v_subrev_u32_e32 v38, 28, v41
	v_lshlrev_b64 v[38:39], v38, v[20:21]
	v_lshrrev_b32_e32 v40, 3, v32
	v_sub_u32_e32 v39, 29, v41
	v_and_b32_e32 v38, 7, v38
	v_cmp_gt_u32_e32 vcc, 8, v32
	v_cndmask_b32_e32 v32, v40, v39, vcc
	v_cndmask_b32_e32 v37, v37, v38, vcc
	v_lshlrev_b32_e32 v20, 24, v20
	v_lshlrev_b32_e32 v37, 20, v37
	v_and_b32_e32 v20, 0x80000000, v20
	v_lshl_add_u32 v32, v32, 23, v33
	v_or3_b32 v20, v20, v32, v37
	v_lshrrev_b32_e32 v37, 16, v20
.LBB924_55:                             ;   in Loop: Header=BB924_15 Depth=1
	s_or_b64 exec, exec, s[10:11]
.LBB924_56:                             ;   in Loop: Header=BB924_15 Depth=1
	s_or_b64 exec, exec, s[6:7]
.LBB924_57:                             ;   in Loop: Header=BB924_15 Depth=1
	s_or_b64 exec, exec, s[4:5]
	v_cmp_lt_u32_e32 vcc, s15, v18
	v_mov_b32_e32 v32, 0
	v_mov_b32_e32 v38, 0
	s_and_saveexec_b64 s[4:5], vcc
	s_cbranch_execz .LBB924_63
; %bb.58:                               ;   in Loop: Header=BB924_15 Depth=1
	v_lshrrev_b32_e32 v20, 24, v18
	v_cmp_ne_u32_e32 vcc, s13, v20
	v_mov_b32_e32 v38, 0xffff8000
	s_and_saveexec_b64 s[6:7], vcc
	s_cbranch_execz .LBB924_62
; %bb.59:                               ;   in Loop: Header=BB924_15 Depth=1
	v_bfe_u32 v18, v18, 24, 7
	v_cmp_ne_u32_e32 vcc, s14, v18
	v_mov_b32_e32 v38, 0x7f80
	s_and_saveexec_b64 s[10:11], vcc
	s_cbranch_execz .LBB924_61
; %bb.60:                               ;   in Loop: Header=BB924_15 Depth=1
	v_and_b32_e32 v40, 7, v20
	v_ffbh_u32_e32 v38, v40
	v_min_u32_e32 v42, 32, v38
	v_subrev_u32_e32 v38, 28, v42
	v_lshlrev_b64 v[38:39], v38, v[20:21]
	v_lshrrev_b32_e32 v41, 3, v18
	v_sub_u32_e32 v39, 29, v42
	v_and_b32_e32 v38, 7, v38
	v_cmp_gt_u32_e32 vcc, 8, v18
	v_cndmask_b32_e32 v18, v41, v39, vcc
	v_cndmask_b32_e32 v38, v40, v38, vcc
	v_lshlrev_b32_e32 v20, 24, v20
	v_lshlrev_b32_e32 v38, 20, v38
	v_and_b32_e32 v20, 0x80000000, v20
	v_lshl_add_u32 v18, v18, 23, v33
	v_or3_b32 v18, v20, v18, v38
	v_lshrrev_b32_e32 v38, 16, v18
.LBB924_61:                             ;   in Loop: Header=BB924_15 Depth=1
	s_or_b64 exec, exec, s[10:11]
.LBB924_62:                             ;   in Loop: Header=BB924_15 Depth=1
	s_or_b64 exec, exec, s[6:7]
.LBB924_63:                             ;   in Loop: Header=BB924_15 Depth=1
	s_or_b64 exec, exec, s[4:5]
	v_perm_b32 v41, v36, v23, s16
	v_perm_b32 v40, v21, v19, s16
	v_perm_b32 v37, v38, v37, s16
	v_perm_b32 v36, v30, v34, s16
	s_waitcnt vmcnt(1)
	v_cmp_ne_u16_sdwa s[6:7], v28, v31 src0_sel:BYTE_0 src1_sel:DWORD
	v_mfma_f32_16x16x16bf16_1k v[18:21], v[40:41], v[2:3], 0
	v_mfma_f32_16x16x16bf16_1k v[18:21], v[36:37], v[4:5], v[18:21]
	s_and_saveexec_b64 s[4:5], s[6:7]
	s_cbranch_execz .LBB924_69
; %bb.64:                               ;   in Loop: Header=BB924_15 Depth=1
	v_cmp_ne_u16_sdwa s[10:11], v28, s13 src0_sel:BYTE_0 src1_sel:DWORD
	v_mov_b32_e32 v32, 0xffff8000
	s_and_saveexec_b64 s[6:7], s[10:11]
	s_cbranch_execz .LBB924_68
; %bb.65:                               ;   in Loop: Header=BB924_15 Depth=1
	v_and_b32_e32 v23, 0x7f, v28
	v_cmp_ne_u32_e32 vcc, s14, v23
	v_mov_b32_e32 v32, 0x7f80
	s_and_saveexec_b64 s[10:11], vcc
	s_cbranch_execz .LBB924_67
; %bb.66:                               ;   in Loop: Header=BB924_15 Depth=1
	v_and_b32_e32 v30, 7, v28
	v_ffbh_u32_e32 v34, v30
	v_min_u32_e32 v34, 32, v34
	v_subrev_u32_e32 v36, 28, v34
	v_lshlrev_b64 v[36:37], v36, v[28:29]
	v_lshrrev_b32_e32 v32, 3, v23
	v_sub_u32_e32 v34, 29, v34
	v_and_b32_e32 v36, 7, v36
	v_cmp_gt_u32_e32 vcc, 8, v23
	v_cndmask_b32_e32 v23, v32, v34, vcc
	v_cndmask_b32_e32 v30, v30, v36, vcc
	v_lshlrev_b32_e32 v32, 24, v28
	v_lshlrev_b32_e32 v30, 20, v30
	v_and_b32_e32 v32, 0x80000000, v32
	v_lshl_add_u32 v23, v23, 23, v33
	v_or3_b32 v23, v32, v23, v30
	v_lshrrev_b32_e32 v32, 16, v23
.LBB924_67:                             ;   in Loop: Header=BB924_15 Depth=1
	s_or_b64 exec, exec, s[10:11]
.LBB924_68:                             ;   in Loop: Header=BB924_15 Depth=1
	s_or_b64 exec, exec, s[6:7]
.LBB924_69:                             ;   in Loop: Header=BB924_15 Depth=1
	s_or_b64 exec, exec, s[4:5]
	v_lshrrev_b16_e32 v30, 8, v28
	v_cmp_ne_u16_e32 vcc, 0, v30
	v_mov_b32_e32 v36, 0
	v_mov_b32_e32 v34, 0
	s_and_saveexec_b64 s[4:5], vcc
	s_cbranch_execz .LBB924_75
; %bb.70:                               ;   in Loop: Header=BB924_15 Depth=1
	v_cmp_ne_u16_e32 vcc, s13, v30
	v_mov_b32_e32 v34, 0xffff8000
	s_and_saveexec_b64 s[6:7], vcc
	s_cbranch_execz .LBB924_74
; %bb.71:                               ;   in Loop: Header=BB924_15 Depth=1
	v_and_b32_e32 v23, 0x7f, v30
	v_cmp_ne_u32_e32 vcc, s14, v23
	v_mov_b32_e32 v34, 0x7f80
	s_and_saveexec_b64 s[10:11], vcc
	s_cbranch_execz .LBB924_73
; %bb.72:                               ;   in Loop: Header=BB924_15 Depth=1
	v_and_b32_e32 v34, 7, v30
	v_ffbh_u32_e32 v38, v34
	v_min_u32_e32 v40, 32, v38
	v_subrev_u32_e32 v38, 28, v40
	v_lshlrev_b64 v[38:39], v38, v[30:31]
	v_lshrrev_b32_e32 v37, 3, v23
	v_sub_u32_e32 v30, 29, v40
	v_and_b32_e32 v38, 7, v38
	v_cmp_gt_u32_e32 vcc, 8, v23
	v_cndmask_b32_e32 v23, v37, v30, vcc
	v_cndmask_b32_e32 v30, v34, v38, vcc
	v_lshlrev_b32_e32 v34, 16, v28
	v_lshlrev_b32_e32 v30, 20, v30
	v_and_b32_e32 v34, 0x80000000, v34
	v_lshl_add_u32 v23, v23, 23, v33
	v_or3_b32 v23, v34, v23, v30
	v_lshrrev_b32_e32 v34, 16, v23
.LBB924_73:                             ;   in Loop: Header=BB924_15 Depth=1
	s_or_b64 exec, exec, s[10:11]
.LBB924_74:                             ;   in Loop: Header=BB924_15 Depth=1
	s_or_b64 exec, exec, s[6:7]
.LBB924_75:                             ;   in Loop: Header=BB924_15 Depth=1
	s_or_b64 exec, exec, s[4:5]
	v_lshrrev_b32_e32 v30, 16, v28
	v_cmp_ne_u16_sdwa s[6:7], v30, v31 src0_sel:BYTE_0 src1_sel:DWORD
	s_and_saveexec_b64 s[4:5], s[6:7]
	s_cbranch_execz .LBB924_81
; %bb.76:                               ;   in Loop: Header=BB924_15 Depth=1
	v_cmp_ne_u16_sdwa s[10:11], v30, s13 src0_sel:BYTE_0 src1_sel:DWORD
	v_mov_b32_e32 v36, 0xffff8000
	s_and_saveexec_b64 s[6:7], s[10:11]
	s_cbranch_execz .LBB924_80
; %bb.77:                               ;   in Loop: Header=BB924_15 Depth=1
	v_bfe_u32 v23, v28, 16, 7
	v_cmp_ne_u32_e32 vcc, s14, v23
	v_mov_b32_e32 v36, 0x7f80
	s_and_saveexec_b64 s[10:11], vcc
	s_cbranch_execz .LBB924_79
; %bb.78:                               ;   in Loop: Header=BB924_15 Depth=1
	v_and_b32_e32 v38, 7, v30
	v_ffbh_u32_e32 v36, v38
	v_min_u32_e32 v40, 32, v36
	v_subrev_u32_e32 v36, 28, v40
	v_lshlrev_b64 v[36:37], v36, v[30:31]
	v_lshrrev_b32_e32 v39, 3, v23
	v_sub_u32_e32 v37, 29, v40
	v_and_b32_e32 v36, 7, v36
	v_cmp_gt_u32_e32 vcc, 8, v23
	v_cndmask_b32_e32 v23, v39, v37, vcc
	v_cndmask_b32_e32 v36, v38, v36, vcc
	v_lshlrev_b32_e32 v30, 24, v30
	v_lshlrev_b32_e32 v36, 20, v36
	v_and_b32_e32 v30, 0x80000000, v30
	v_lshl_add_u32 v23, v23, 23, v33
	v_or3_b32 v23, v30, v23, v36
	v_lshrrev_b32_e32 v36, 16, v23
.LBB924_79:                             ;   in Loop: Header=BB924_15 Depth=1
	s_or_b64 exec, exec, s[10:11]
.LBB924_80:                             ;   in Loop: Header=BB924_15 Depth=1
	s_or_b64 exec, exec, s[6:7]
.LBB924_81:                             ;   in Loop: Header=BB924_15 Depth=1
	s_or_b64 exec, exec, s[4:5]
	v_cmp_lt_u32_e32 vcc, s15, v28
	v_mov_b32_e32 v37, 0
	v_mov_b32_e32 v38, 0
	s_and_saveexec_b64 s[4:5], vcc
	s_cbranch_execz .LBB924_87
; %bb.82:                               ;   in Loop: Header=BB924_15 Depth=1
	v_lshrrev_b32_e32 v30, 24, v28
	v_cmp_ne_u32_e32 vcc, s13, v30
	v_mov_b32_e32 v38, 0xffff8000
	s_and_saveexec_b64 s[6:7], vcc
	s_cbranch_execz .LBB924_86
; %bb.83:                               ;   in Loop: Header=BB924_15 Depth=1
	v_bfe_u32 v23, v28, 24, 7
	v_cmp_ne_u32_e32 vcc, s14, v23
	v_mov_b32_e32 v38, 0x7f80
	s_and_saveexec_b64 s[10:11], vcc
	s_cbranch_execz .LBB924_85
; %bb.84:                               ;   in Loop: Header=BB924_15 Depth=1
	v_and_b32_e32 v28, 7, v30
	v_ffbh_u32_e32 v38, v28
	v_min_u32_e32 v41, 32, v38
	v_subrev_u32_e32 v38, 28, v41
	v_lshlrev_b64 v[38:39], v38, v[30:31]
	v_lshrrev_b32_e32 v40, 3, v23
	v_sub_u32_e32 v39, 29, v41
	v_and_b32_e32 v38, 7, v38
	v_cmp_gt_u32_e32 vcc, 8, v23
	v_cndmask_b32_e32 v23, v40, v39, vcc
	v_cndmask_b32_e32 v28, v28, v38, vcc
	v_lshlrev_b32_e32 v30, 24, v30
	v_lshlrev_b32_e32 v28, 20, v28
	v_and_b32_e32 v30, 0x80000000, v30
	v_lshl_add_u32 v23, v23, 23, v33
	v_or3_b32 v23, v30, v23, v28
	v_lshrrev_b32_e32 v38, 16, v23
.LBB924_85:                             ;   in Loop: Header=BB924_15 Depth=1
	s_or_b64 exec, exec, s[10:11]
.LBB924_86:                             ;   in Loop: Header=BB924_15 Depth=1
	s_or_b64 exec, exec, s[6:7]
.LBB924_87:                             ;   in Loop: Header=BB924_15 Depth=1
	s_or_b64 exec, exec, s[4:5]
	s_waitcnt vmcnt(0)
	v_cmp_ne_u16_sdwa s[6:7], v26, v31 src0_sel:BYTE_0 src1_sel:DWORD
	s_and_saveexec_b64 s[4:5], s[6:7]
	s_cbranch_execz .LBB924_93
; %bb.88:                               ;   in Loop: Header=BB924_15 Depth=1
	v_cmp_ne_u16_sdwa s[10:11], v26, s13 src0_sel:BYTE_0 src1_sel:DWORD
	v_mov_b32_e32 v37, 0xffff8000
	s_and_saveexec_b64 s[6:7], s[10:11]
	s_cbranch_execz .LBB924_92
; %bb.89:                               ;   in Loop: Header=BB924_15 Depth=1
	v_and_b32_e32 v23, 0x7f, v26
	v_cmp_ne_u32_e32 vcc, s14, v23
	v_mov_b32_e32 v37, 0x7f80
	s_and_saveexec_b64 s[10:11], vcc
	s_cbranch_execz .LBB924_91
; %bb.90:                               ;   in Loop: Header=BB924_15 Depth=1
	v_and_b32_e32 v28, 7, v26
	v_ffbh_u32_e32 v37, v28
	v_min_u32_e32 v37, 32, v37
	v_subrev_u32_e32 v39, 28, v37
	v_lshlrev_b64 v[40:41], v39, v[26:27]
	v_lshrrev_b32_e32 v30, 3, v23
	v_sub_u32_e32 v37, 29, v37
	v_and_b32_e32 v39, 7, v40
	v_cmp_gt_u32_e32 vcc, 8, v23
	v_cndmask_b32_e32 v23, v30, v37, vcc
	v_cndmask_b32_e32 v28, v28, v39, vcc
	v_lshlrev_b32_e32 v30, 24, v26
	v_lshlrev_b32_e32 v28, 20, v28
	v_and_b32_e32 v30, 0x80000000, v30
	v_lshl_add_u32 v23, v23, 23, v33
	v_or3_b32 v23, v30, v23, v28
	v_lshrrev_b32_e32 v37, 16, v23
.LBB924_91:                             ;   in Loop: Header=BB924_15 Depth=1
	s_or_b64 exec, exec, s[10:11]
.LBB924_92:                             ;   in Loop: Header=BB924_15 Depth=1
	s_or_b64 exec, exec, s[6:7]
.LBB924_93:                             ;   in Loop: Header=BB924_15 Depth=1
	s_or_b64 exec, exec, s[4:5]
	v_lshrrev_b16_e32 v28, 8, v26
	v_cmp_ne_u16_e32 vcc, 0, v28
	v_mov_b32_e32 v40, 0
	v_mov_b32_e32 v39, 0
	s_and_saveexec_b64 s[4:5], vcc
	s_cbranch_execz .LBB924_99
; %bb.94:                               ;   in Loop: Header=BB924_15 Depth=1
	v_cmp_ne_u16_e32 vcc, s13, v28
	v_mov_b32_e32 v39, 0xffff8000
	s_and_saveexec_b64 s[6:7], vcc
	s_cbranch_execz .LBB924_98
; %bb.95:                               ;   in Loop: Header=BB924_15 Depth=1
	v_and_b32_e32 v23, 0x7f, v28
	v_cmp_ne_u32_e32 vcc, s14, v23
	v_mov_b32_e32 v39, 0x7f80
	s_and_saveexec_b64 s[10:11], vcc
	s_cbranch_execz .LBB924_97
; %bb.96:                               ;   in Loop: Header=BB924_15 Depth=1
	v_and_b32_e32 v30, 7, v28
	v_ffbh_u32_e32 v41, v30
	v_min_u32_e32 v41, 32, v41
	v_subrev_u32_e32 v42, 28, v41
	v_lshlrev_b64 v[42:43], v42, v[28:29]
	v_lshrrev_b32_e32 v39, 3, v23
	v_sub_u32_e32 v28, 29, v41
	v_and_b32_e32 v41, 7, v42
	v_cmp_gt_u32_e32 vcc, 8, v23
	v_cndmask_b32_e32 v23, v39, v28, vcc
	v_cndmask_b32_e32 v28, v30, v41, vcc
	v_lshlrev_b32_e32 v30, 16, v26
	v_lshlrev_b32_e32 v28, 20, v28
	v_and_b32_e32 v30, 0x80000000, v30
	v_lshl_add_u32 v23, v23, 23, v33
	v_or3_b32 v23, v30, v23, v28
	v_lshrrev_b32_e32 v39, 16, v23
.LBB924_97:                             ;   in Loop: Header=BB924_15 Depth=1
	s_or_b64 exec, exec, s[10:11]
.LBB924_98:                             ;   in Loop: Header=BB924_15 Depth=1
	s_or_b64 exec, exec, s[6:7]
.LBB924_99:                             ;   in Loop: Header=BB924_15 Depth=1
	s_or_b64 exec, exec, s[4:5]
	v_lshrrev_b32_e32 v28, 16, v26
	v_cmp_ne_u16_sdwa s[6:7], v28, v31 src0_sel:BYTE_0 src1_sel:DWORD
	s_and_saveexec_b64 s[4:5], s[6:7]
	s_cbranch_execz .LBB924_105
; %bb.100:                              ;   in Loop: Header=BB924_15 Depth=1
	v_cmp_ne_u16_sdwa s[10:11], v28, s13 src0_sel:BYTE_0 src1_sel:DWORD
	v_mov_b32_e32 v40, 0xffff8000
	s_and_saveexec_b64 s[6:7], s[10:11]
	s_cbranch_execz .LBB924_104
; %bb.101:                              ;   in Loop: Header=BB924_15 Depth=1
	v_bfe_u32 v23, v26, 16, 7
	v_cmp_ne_u32_e32 vcc, s14, v23
	v_mov_b32_e32 v40, 0x7f80
	s_and_saveexec_b64 s[10:11], vcc
	s_cbranch_execz .LBB924_103
; %bb.102:                              ;   in Loop: Header=BB924_15 Depth=1
	v_and_b32_e32 v30, 7, v28
	v_ffbh_u32_e32 v40, v30
	v_min_u32_e32 v43, 32, v40
	v_subrev_u32_e32 v40, 28, v43
	v_lshlrev_b64 v[40:41], v40, v[28:29]
	v_lshrrev_b32_e32 v42, 3, v23
	v_sub_u32_e32 v41, 29, v43
	v_and_b32_e32 v40, 7, v40
	v_cmp_gt_u32_e32 vcc, 8, v23
	v_cndmask_b32_e32 v23, v42, v41, vcc
	v_cndmask_b32_e32 v30, v30, v40, vcc
	v_lshlrev_b32_e32 v28, 24, v28
	v_lshlrev_b32_e32 v30, 20, v30
	v_and_b32_e32 v28, 0x80000000, v28
	v_lshl_add_u32 v23, v23, 23, v33
	v_or3_b32 v23, v28, v23, v30
	v_lshrrev_b32_e32 v40, 16, v23
.LBB924_103:                            ;   in Loop: Header=BB924_15 Depth=1
	s_or_b64 exec, exec, s[10:11]
.LBB924_104:                            ;   in Loop: Header=BB924_15 Depth=1
	s_or_b64 exec, exec, s[6:7]
.LBB924_105:                            ;   in Loop: Header=BB924_15 Depth=1
	s_or_b64 exec, exec, s[4:5]
	v_cmp_lt_u32_e32 vcc, s15, v26
	v_mov_b32_e32 v23, 0
	v_mov_b32_e32 v41, 0
	s_and_saveexec_b64 s[4:5], vcc
	s_cbranch_execz .LBB924_111
; %bb.106:                              ;   in Loop: Header=BB924_15 Depth=1
	v_lshrrev_b32_e32 v28, 24, v26
	v_cmp_ne_u32_e32 vcc, s13, v28
	v_mov_b32_e32 v41, 0xffff8000
	s_and_saveexec_b64 s[6:7], vcc
	s_cbranch_execz .LBB924_110
; %bb.107:                              ;   in Loop: Header=BB924_15 Depth=1
	v_bfe_u32 v26, v26, 24, 7
	v_cmp_ne_u32_e32 vcc, s14, v26
	v_mov_b32_e32 v41, 0x7f80
	s_and_saveexec_b64 s[10:11], vcc
	s_cbranch_execz .LBB924_109
; %bb.108:                              ;   in Loop: Header=BB924_15 Depth=1
	v_and_b32_e32 v30, 7, v28
	v_ffbh_u32_e32 v42, v30
	v_min_u32_e32 v44, 32, v42
	v_subrev_u32_e32 v42, 28, v44
	v_lshlrev_b64 v[42:43], v42, v[28:29]
	v_lshrrev_b32_e32 v41, 3, v26
	v_sub_u32_e32 v43, 29, v44
	v_and_b32_e32 v42, 7, v42
	v_cmp_gt_u32_e32 vcc, 8, v26
	v_cndmask_b32_e32 v26, v41, v43, vcc
	v_cndmask_b32_e32 v30, v30, v42, vcc
	v_lshlrev_b32_e32 v28, 24, v28
	v_lshlrev_b32_e32 v30, 20, v30
	v_and_b32_e32 v28, 0x80000000, v28
	v_lshl_add_u32 v26, v26, 23, v33
	v_or3_b32 v26, v28, v26, v30
	v_lshrrev_b32_e32 v41, 16, v26
.LBB924_109:                            ;   in Loop: Header=BB924_15 Depth=1
	s_or_b64 exec, exec, s[10:11]
.LBB924_110:                            ;   in Loop: Header=BB924_15 Depth=1
	s_or_b64 exec, exec, s[6:7]
.LBB924_111:                            ;   in Loop: Header=BB924_15 Depth=1
	s_or_b64 exec, exec, s[4:5]
	v_perm_b32 v42, v34, v32, s16
	buffer_load_dword v32, v27, s[0:3], 0 offen offset:16
	buffer_load_dword v30, v27, s[0:3], 0 offen offset:20
	;; [unrolled: 1-line block ×4, first 2 shown]
	v_perm_b32 v43, v38, v36, s16
	v_perm_b32 v41, v41, v40, s16
	;; [unrolled: 1-line block ×3, first 2 shown]
	v_mfma_f32_16x16x16bf16_1k v[18:21], v[42:43], v[6:7], v[18:21]
	s_waitcnt vmcnt(3)
	v_cmp_ne_u16_sdwa s[6:7], v32, v31 src0_sel:BYTE_0 src1_sel:DWORD
	v_mfma_f32_16x16x16bf16_1k v[18:21], v[40:41], v[8:9], v[18:21]
	s_and_saveexec_b64 s[4:5], s[6:7]
	s_cbranch_execz .LBB924_117
; %bb.112:                              ;   in Loop: Header=BB924_15 Depth=1
	v_cmp_ne_u16_sdwa s[10:11], v32, s13 src0_sel:BYTE_0 src1_sel:DWORD
	v_mov_b32_e32 v23, 0xffff8000
	s_and_saveexec_b64 s[6:7], s[10:11]
	s_cbranch_execz .LBB924_116
; %bb.113:                              ;   in Loop: Header=BB924_15 Depth=1
	v_and_b32_e32 v34, 0x7f, v32
	v_cmp_ne_u32_e32 vcc, s14, v34
	v_mov_b32_e32 v23, 0x7f80
	s_and_saveexec_b64 s[10:11], vcc
	s_cbranch_execz .LBB924_115
; %bb.114:                              ;   in Loop: Header=BB924_15 Depth=1
	v_and_b32_e32 v23, 7, v32
	v_ffbh_u32_e32 v36, v23
	v_min_u32_e32 v39, 32, v36
	v_subrev_u32_e32 v36, 28, v39
	v_lshlrev_b64 v[36:37], v36, v[32:33]
	v_lshrrev_b32_e32 v38, 3, v34
	v_sub_u32_e32 v37, 29, v39
	v_and_b32_e32 v36, 7, v36
	v_cmp_gt_u32_e32 vcc, 8, v34
	v_cndmask_b32_e32 v34, v38, v37, vcc
	v_cndmask_b32_e32 v23, v23, v36, vcc
	v_lshlrev_b32_e32 v36, 24, v32
	v_lshlrev_b32_e32 v23, 20, v23
	v_and_b32_e32 v36, 0x80000000, v36
	v_lshl_add_u32 v34, v34, 23, v33
	v_or3_b32 v23, v36, v34, v23
	v_lshrrev_b32_e32 v23, 16, v23
.LBB924_115:                            ;   in Loop: Header=BB924_15 Depth=1
	s_or_b64 exec, exec, s[10:11]
.LBB924_116:                            ;   in Loop: Header=BB924_15 Depth=1
	s_or_b64 exec, exec, s[6:7]
.LBB924_117:                            ;   in Loop: Header=BB924_15 Depth=1
	s_or_b64 exec, exec, s[4:5]
	v_lshrrev_b16_e32 v34, 8, v32
	v_cmp_ne_u16_e32 vcc, 0, v34
	v_mov_b32_e32 v37, 0
	v_mov_b32_e32 v36, 0
	s_and_saveexec_b64 s[4:5], vcc
	s_cbranch_execz .LBB924_123
; %bb.118:                              ;   in Loop: Header=BB924_15 Depth=1
	v_cmp_ne_u16_e32 vcc, s13, v34
	v_mov_b32_e32 v36, 0xffff8000
	s_and_saveexec_b64 s[6:7], vcc
	s_cbranch_execz .LBB924_122
; %bb.119:                              ;   in Loop: Header=BB924_15 Depth=1
	v_and_b32_e32 v38, 0x7f, v34
	v_cmp_ne_u32_e32 vcc, s14, v38
	v_mov_b32_e32 v36, 0x7f80
	s_and_saveexec_b64 s[10:11], vcc
	s_cbranch_execz .LBB924_121
; %bb.120:                              ;   in Loop: Header=BB924_15 Depth=1
	v_and_b32_e32 v36, 7, v34
	v_ffbh_u32_e32 v40, v36
	v_min_u32_e32 v42, 32, v40
	v_subrev_u32_e32 v40, 28, v42
	v_lshlrev_b64 v[40:41], v40, v[34:35]
	v_lshrrev_b32_e32 v39, 3, v38
	v_sub_u32_e32 v34, 29, v42
	v_and_b32_e32 v40, 7, v40
	v_cmp_gt_u32_e32 vcc, 8, v38
	v_cndmask_b32_e32 v34, v39, v34, vcc
	v_cndmask_b32_e32 v36, v36, v40, vcc
	v_lshlrev_b32_e32 v38, 16, v32
	v_lshlrev_b32_e32 v36, 20, v36
	v_and_b32_e32 v38, 0x80000000, v38
	v_lshl_add_u32 v34, v34, 23, v33
	v_or3_b32 v34, v38, v34, v36
	v_lshrrev_b32_e32 v36, 16, v34
.LBB924_121:                            ;   in Loop: Header=BB924_15 Depth=1
	s_or_b64 exec, exec, s[10:11]
.LBB924_122:                            ;   in Loop: Header=BB924_15 Depth=1
	s_or_b64 exec, exec, s[6:7]
.LBB924_123:                            ;   in Loop: Header=BB924_15 Depth=1
	s_or_b64 exec, exec, s[4:5]
	v_lshrrev_b32_e32 v34, 16, v32
	v_cmp_ne_u16_sdwa s[6:7], v34, v31 src0_sel:BYTE_0 src1_sel:DWORD
	s_and_saveexec_b64 s[4:5], s[6:7]
	s_cbranch_execz .LBB924_129
; %bb.124:                              ;   in Loop: Header=BB924_15 Depth=1
	v_cmp_ne_u16_sdwa s[10:11], v34, s13 src0_sel:BYTE_0 src1_sel:DWORD
	v_mov_b32_e32 v37, 0xffff8000
	s_and_saveexec_b64 s[6:7], s[10:11]
	s_cbranch_execz .LBB924_128
; %bb.125:                              ;   in Loop: Header=BB924_15 Depth=1
	v_bfe_u32 v38, v32, 16, 7
	v_cmp_ne_u32_e32 vcc, s14, v38
	v_mov_b32_e32 v37, 0x7f80
	s_and_saveexec_b64 s[10:11], vcc
	s_cbranch_execz .LBB924_127
; %bb.126:                              ;   in Loop: Header=BB924_15 Depth=1
	v_and_b32_e32 v37, 7, v34
	v_ffbh_u32_e32 v40, v37
	v_min_u32_e32 v42, 32, v40
	v_subrev_u32_e32 v40, 28, v42
	v_lshlrev_b64 v[40:41], v40, v[34:35]
	v_lshrrev_b32_e32 v39, 3, v38
	v_sub_u32_e32 v41, 29, v42
	v_and_b32_e32 v40, 7, v40
	v_cmp_gt_u32_e32 vcc, 8, v38
	v_cndmask_b32_e32 v38, v39, v41, vcc
	v_cndmask_b32_e32 v37, v37, v40, vcc
	v_lshlrev_b32_e32 v34, 24, v34
	v_lshlrev_b32_e32 v37, 20, v37
	v_and_b32_e32 v34, 0x80000000, v34
	v_lshl_add_u32 v38, v38, 23, v33
	v_or3_b32 v34, v34, v38, v37
	v_lshrrev_b32_e32 v37, 16, v34
.LBB924_127:                            ;   in Loop: Header=BB924_15 Depth=1
	s_or_b64 exec, exec, s[10:11]
.LBB924_128:                            ;   in Loop: Header=BB924_15 Depth=1
	s_or_b64 exec, exec, s[6:7]
.LBB924_129:                            ;   in Loop: Header=BB924_15 Depth=1
	s_or_b64 exec, exec, s[4:5]
	v_cmp_lt_u32_e32 vcc, s15, v32
	v_mov_b32_e32 v38, 0
	v_mov_b32_e32 v39, 0
	s_and_saveexec_b64 s[4:5], vcc
	s_cbranch_execz .LBB924_135
; %bb.130:                              ;   in Loop: Header=BB924_15 Depth=1
	v_lshrrev_b32_e32 v34, 24, v32
	v_cmp_ne_u32_e32 vcc, s13, v34
	v_mov_b32_e32 v39, 0xffff8000
	s_and_saveexec_b64 s[6:7], vcc
	s_cbranch_execz .LBB924_134
; %bb.131:                              ;   in Loop: Header=BB924_15 Depth=1
	v_bfe_u32 v32, v32, 24, 7
	v_cmp_ne_u32_e32 vcc, s14, v32
	v_mov_b32_e32 v39, 0x7f80
	s_and_saveexec_b64 s[10:11], vcc
	s_cbranch_execz .LBB924_133
; %bb.132:                              ;   in Loop: Header=BB924_15 Depth=1
	v_and_b32_e32 v39, 7, v34
	v_ffbh_u32_e32 v40, v39
	v_min_u32_e32 v43, 32, v40
	v_subrev_u32_e32 v40, 28, v43
	v_lshlrev_b64 v[40:41], v40, v[34:35]
	v_lshrrev_b32_e32 v42, 3, v32
	v_sub_u32_e32 v41, 29, v43
	v_and_b32_e32 v40, 7, v40
	v_cmp_gt_u32_e32 vcc, 8, v32
	v_cndmask_b32_e32 v32, v42, v41, vcc
	v_cndmask_b32_e32 v39, v39, v40, vcc
	v_lshlrev_b32_e32 v34, 24, v34
	v_lshlrev_b32_e32 v39, 20, v39
	v_and_b32_e32 v34, 0x80000000, v34
	v_lshl_add_u32 v32, v32, 23, v33
	v_or3_b32 v32, v34, v32, v39
	v_lshrrev_b32_e32 v39, 16, v32
.LBB924_133:                            ;   in Loop: Header=BB924_15 Depth=1
	s_or_b64 exec, exec, s[10:11]
.LBB924_134:                            ;   in Loop: Header=BB924_15 Depth=1
	s_or_b64 exec, exec, s[6:7]
.LBB924_135:                            ;   in Loop: Header=BB924_15 Depth=1
	s_or_b64 exec, exec, s[4:5]
	s_waitcnt vmcnt(2)
	v_cmp_ne_u16_sdwa s[6:7], v30, v31 src0_sel:BYTE_0 src1_sel:DWORD
	s_and_saveexec_b64 s[4:5], s[6:7]
	s_cbranch_execz .LBB924_141
; %bb.136:                              ;   in Loop: Header=BB924_15 Depth=1
	v_cmp_ne_u16_sdwa s[10:11], v30, s13 src0_sel:BYTE_0 src1_sel:DWORD
	v_mov_b32_e32 v38, 0xffff8000
	s_and_saveexec_b64 s[6:7], s[10:11]
	s_cbranch_execz .LBB924_140
; %bb.137:                              ;   in Loop: Header=BB924_15 Depth=1
	v_and_b32_e32 v32, 0x7f, v30
	v_cmp_ne_u32_e32 vcc, s14, v32
	v_mov_b32_e32 v38, 0x7f80
	s_and_saveexec_b64 s[10:11], vcc
	s_cbranch_execz .LBB924_139
; %bb.138:                              ;   in Loop: Header=BB924_15 Depth=1
	v_and_b32_e32 v34, 7, v30
	v_ffbh_u32_e32 v40, v34
	v_min_u32_e32 v42, 32, v40
	v_subrev_u32_e32 v40, 28, v42
	v_lshlrev_b64 v[40:41], v40, v[30:31]
	v_lshrrev_b32_e32 v38, 3, v32
	v_sub_u32_e32 v41, 29, v42
	v_and_b32_e32 v40, 7, v40
	v_cmp_gt_u32_e32 vcc, 8, v32
	v_cndmask_b32_e32 v32, v38, v41, vcc
	v_cndmask_b32_e32 v34, v34, v40, vcc
	v_lshlrev_b32_e32 v38, 24, v30
	v_lshlrev_b32_e32 v34, 20, v34
	v_and_b32_e32 v38, 0x80000000, v38
	v_lshl_add_u32 v32, v32, 23, v33
	v_or3_b32 v32, v38, v32, v34
	v_lshrrev_b32_e32 v38, 16, v32
.LBB924_139:                            ;   in Loop: Header=BB924_15 Depth=1
	s_or_b64 exec, exec, s[10:11]
.LBB924_140:                            ;   in Loop: Header=BB924_15 Depth=1
	s_or_b64 exec, exec, s[6:7]
.LBB924_141:                            ;   in Loop: Header=BB924_15 Depth=1
	s_or_b64 exec, exec, s[4:5]
	v_lshrrev_b16_e32 v32, 8, v30
	v_cmp_ne_u16_e32 vcc, 0, v32
	v_mov_b32_e32 v41, 0
	v_mov_b32_e32 v40, 0
	s_and_saveexec_b64 s[4:5], vcc
	s_cbranch_execz .LBB924_147
; %bb.142:                              ;   in Loop: Header=BB924_15 Depth=1
	v_cmp_ne_u16_e32 vcc, s13, v32
	v_mov_b32_e32 v40, 0xffff8000
	s_and_saveexec_b64 s[6:7], vcc
	s_cbranch_execz .LBB924_146
; %bb.143:                              ;   in Loop: Header=BB924_15 Depth=1
	v_and_b32_e32 v34, 0x7f, v32
	v_cmp_ne_u32_e32 vcc, s14, v34
	v_mov_b32_e32 v40, 0x7f80
	s_and_saveexec_b64 s[10:11], vcc
	s_cbranch_execz .LBB924_145
; %bb.144:                              ;   in Loop: Header=BB924_15 Depth=1
	v_and_b32_e32 v40, 7, v32
	v_ffbh_u32_e32 v42, v40
	v_min_u32_e32 v45, 32, v42
	v_subrev_u32_e32 v42, 28, v45
	v_lshlrev_b64 v[42:43], v42, v[32:33]
	v_lshrrev_b32_e32 v44, 3, v34
	v_sub_u32_e32 v32, 29, v45
	v_and_b32_e32 v42, 7, v42
	v_cmp_gt_u32_e32 vcc, 8, v34
	v_cndmask_b32_e32 v32, v44, v32, vcc
	v_cndmask_b32_e32 v34, v40, v42, vcc
	v_lshlrev_b32_e32 v40, 16, v30
	v_lshlrev_b32_e32 v34, 20, v34
	v_and_b32_e32 v40, 0x80000000, v40
	v_lshl_add_u32 v32, v32, 23, v33
	v_or3_b32 v32, v40, v32, v34
	v_lshrrev_b32_e32 v40, 16, v32
.LBB924_145:                            ;   in Loop: Header=BB924_15 Depth=1
	s_or_b64 exec, exec, s[10:11]
.LBB924_146:                            ;   in Loop: Header=BB924_15 Depth=1
	s_or_b64 exec, exec, s[6:7]
.LBB924_147:                            ;   in Loop: Header=BB924_15 Depth=1
	s_or_b64 exec, exec, s[4:5]
	v_lshrrev_b32_e32 v32, 16, v30
	v_cmp_ne_u16_sdwa s[6:7], v32, v31 src0_sel:BYTE_0 src1_sel:DWORD
	s_and_saveexec_b64 s[4:5], s[6:7]
	s_cbranch_execz .LBB924_153
; %bb.148:                              ;   in Loop: Header=BB924_15 Depth=1
	v_cmp_ne_u16_sdwa s[10:11], v32, s13 src0_sel:BYTE_0 src1_sel:DWORD
	v_mov_b32_e32 v41, 0xffff8000
	s_and_saveexec_b64 s[6:7], s[10:11]
	s_cbranch_execz .LBB924_152
; %bb.149:                              ;   in Loop: Header=BB924_15 Depth=1
	v_bfe_u32 v34, v30, 16, 7
	v_cmp_ne_u32_e32 vcc, s14, v34
	v_mov_b32_e32 v41, 0x7f80
	s_and_saveexec_b64 s[10:11], vcc
	s_cbranch_execz .LBB924_151
; %bb.150:                              ;   in Loop: Header=BB924_15 Depth=1
	v_and_b32_e32 v41, 7, v32
	v_ffbh_u32_e32 v42, v41
	v_min_u32_e32 v45, 32, v42
	v_subrev_u32_e32 v42, 28, v45
	v_lshlrev_b64 v[42:43], v42, v[32:33]
	v_lshrrev_b32_e32 v44, 3, v34
	v_sub_u32_e32 v43, 29, v45
	v_and_b32_e32 v42, 7, v42
	v_cmp_gt_u32_e32 vcc, 8, v34
	v_cndmask_b32_e32 v34, v44, v43, vcc
	v_cndmask_b32_e32 v41, v41, v42, vcc
	v_lshlrev_b32_e32 v32, 24, v32
	v_lshlrev_b32_e32 v41, 20, v41
	v_and_b32_e32 v32, 0x80000000, v32
	v_lshl_add_u32 v34, v34, 23, v33
	v_or3_b32 v32, v32, v34, v41
	v_lshrrev_b32_e32 v41, 16, v32
.LBB924_151:                            ;   in Loop: Header=BB924_15 Depth=1
	s_or_b64 exec, exec, s[10:11]
.LBB924_152:                            ;   in Loop: Header=BB924_15 Depth=1
	s_or_b64 exec, exec, s[6:7]
.LBB924_153:                            ;   in Loop: Header=BB924_15 Depth=1
	s_or_b64 exec, exec, s[4:5]
	v_cmp_lt_u32_e32 vcc, s15, v30
	v_mov_b32_e32 v34, 0
	v_mov_b32_e32 v42, 0
	s_and_saveexec_b64 s[4:5], vcc
	s_cbranch_execz .LBB924_159
; %bb.154:                              ;   in Loop: Header=BB924_15 Depth=1
	v_lshrrev_b32_e32 v32, 24, v30
	v_cmp_ne_u32_e32 vcc, s13, v32
	v_mov_b32_e32 v42, 0xffff8000
	s_and_saveexec_b64 s[6:7], vcc
	s_cbranch_execz .LBB924_158
; %bb.155:                              ;   in Loop: Header=BB924_15 Depth=1
	v_bfe_u32 v30, v30, 24, 7
	v_cmp_ne_u32_e32 vcc, s14, v30
	v_mov_b32_e32 v42, 0x7f80
	s_and_saveexec_b64 s[10:11], vcc
	s_cbranch_execz .LBB924_157
; %bb.156:                              ;   in Loop: Header=BB924_15 Depth=1
	v_and_b32_e32 v44, 7, v32
	v_ffbh_u32_e32 v42, v44
	v_min_u32_e32 v46, 32, v42
	v_subrev_u32_e32 v42, 28, v46
	v_lshlrev_b64 v[42:43], v42, v[32:33]
	v_lshrrev_b32_e32 v45, 3, v30
	v_sub_u32_e32 v43, 29, v46
	v_and_b32_e32 v42, 7, v42
	v_cmp_gt_u32_e32 vcc, 8, v30
	v_cndmask_b32_e32 v30, v45, v43, vcc
	v_cndmask_b32_e32 v42, v44, v42, vcc
	v_lshlrev_b32_e32 v32, 24, v32
	v_lshlrev_b32_e32 v42, 20, v42
	v_and_b32_e32 v32, 0x80000000, v32
	v_lshl_add_u32 v30, v30, 23, v33
	v_or3_b32 v30, v32, v30, v42
	v_lshrrev_b32_e32 v42, 16, v30
.LBB924_157:                            ;   in Loop: Header=BB924_15 Depth=1
	s_or_b64 exec, exec, s[10:11]
.LBB924_158:                            ;   in Loop: Header=BB924_15 Depth=1
	s_or_b64 exec, exec, s[6:7]
.LBB924_159:                            ;   in Loop: Header=BB924_15 Depth=1
	s_or_b64 exec, exec, s[4:5]
	v_perm_b32 v37, v39, v37, s16
	v_perm_b32 v36, v36, v23, s16
	s_waitcnt vmcnt(1)
	v_cmp_ne_u16_sdwa s[6:7], v28, v31 src0_sel:BYTE_0 src1_sel:DWORD
	v_mfma_f32_16x16x16bf16_1k v[18:21], v[36:37], v[10:11], v[18:21]
	v_perm_b32 v37, v42, v41, s16
	v_perm_b32 v36, v40, v38, s16
	s_nop 1
	v_mfma_f32_16x16x16bf16_1k v[18:21], v[36:37], v[12:13], v[18:21]
	s_and_saveexec_b64 s[4:5], s[6:7]
	s_cbranch_execz .LBB924_165
; %bb.160:                              ;   in Loop: Header=BB924_15 Depth=1
	v_cmp_ne_u16_sdwa s[10:11], v28, s13 src0_sel:BYTE_0 src1_sel:DWORD
	v_mov_b32_e32 v34, 0xffff8000
	s_and_saveexec_b64 s[6:7], s[10:11]
	s_cbranch_execz .LBB924_164
; %bb.161:                              ;   in Loop: Header=BB924_15 Depth=1
	v_and_b32_e32 v23, 0x7f, v28
	v_cmp_ne_u32_e32 vcc, s14, v23
	v_mov_b32_e32 v34, 0x7f80
	s_and_saveexec_b64 s[10:11], vcc
	s_cbranch_execz .LBB924_163
; %bb.162:                              ;   in Loop: Header=BB924_15 Depth=1
	v_and_b32_e32 v30, 7, v28
	v_ffbh_u32_e32 v34, v30
	v_min_u32_e32 v34, 32, v34
	v_subrev_u32_e32 v36, 28, v34
	v_lshlrev_b64 v[36:37], v36, v[28:29]
	v_lshrrev_b32_e32 v32, 3, v23
	v_sub_u32_e32 v34, 29, v34
	v_and_b32_e32 v36, 7, v36
	v_cmp_gt_u32_e32 vcc, 8, v23
	v_cndmask_b32_e32 v23, v32, v34, vcc
	v_cndmask_b32_e32 v30, v30, v36, vcc
	v_lshlrev_b32_e32 v32, 24, v28
	v_lshlrev_b32_e32 v30, 20, v30
	v_and_b32_e32 v32, 0x80000000, v32
	v_lshl_add_u32 v23, v23, 23, v33
	v_or3_b32 v23, v32, v23, v30
	v_lshrrev_b32_e32 v34, 16, v23
.LBB924_163:                            ;   in Loop: Header=BB924_15 Depth=1
	s_or_b64 exec, exec, s[10:11]
.LBB924_164:                            ;   in Loop: Header=BB924_15 Depth=1
	s_or_b64 exec, exec, s[6:7]
.LBB924_165:                            ;   in Loop: Header=BB924_15 Depth=1
	s_or_b64 exec, exec, s[4:5]
	v_lshrrev_b16_e32 v30, 8, v28
	v_cmp_ne_u16_e32 vcc, 0, v30
	v_mov_b32_e32 v32, 0
	v_mov_b32_e32 v23, 0
	s_and_saveexec_b64 s[4:5], vcc
	s_cbranch_execz .LBB924_171
; %bb.166:                              ;   in Loop: Header=BB924_15 Depth=1
	v_cmp_ne_u16_e32 vcc, s13, v30
	v_mov_b32_e32 v23, 0xffff8000
	s_and_saveexec_b64 s[6:7], vcc
	s_cbranch_execz .LBB924_170
; %bb.167:                              ;   in Loop: Header=BB924_15 Depth=1
	v_and_b32_e32 v36, 0x7f, v30
	v_cmp_ne_u32_e32 vcc, s14, v36
	v_mov_b32_e32 v23, 0x7f80
	s_and_saveexec_b64 s[10:11], vcc
	s_cbranch_execz .LBB924_169
; %bb.168:                              ;   in Loop: Header=BB924_15 Depth=1
	v_and_b32_e32 v23, 7, v30
	v_ffbh_u32_e32 v38, v23
	v_min_u32_e32 v40, 32, v38
	v_subrev_u32_e32 v38, 28, v40
	v_lshlrev_b64 v[38:39], v38, v[30:31]
	v_lshrrev_b32_e32 v37, 3, v36
	v_sub_u32_e32 v30, 29, v40
	v_and_b32_e32 v38, 7, v38
	v_cmp_gt_u32_e32 vcc, 8, v36
	v_cndmask_b32_e32 v30, v37, v30, vcc
	v_cndmask_b32_e32 v23, v23, v38, vcc
	v_lshlrev_b32_e32 v36, 16, v28
	v_lshlrev_b32_e32 v23, 20, v23
	v_and_b32_e32 v36, 0x80000000, v36
	v_lshl_add_u32 v30, v30, 23, v33
	v_or3_b32 v23, v36, v30, v23
	v_lshrrev_b32_e32 v23, 16, v23
.LBB924_169:                            ;   in Loop: Header=BB924_15 Depth=1
	s_or_b64 exec, exec, s[10:11]
.LBB924_170:                            ;   in Loop: Header=BB924_15 Depth=1
	s_or_b64 exec, exec, s[6:7]
.LBB924_171:                            ;   in Loop: Header=BB924_15 Depth=1
	s_or_b64 exec, exec, s[4:5]
	v_lshrrev_b32_e32 v30, 16, v28
	v_cmp_ne_u16_sdwa s[6:7], v30, v31 src0_sel:BYTE_0 src1_sel:DWORD
	s_and_saveexec_b64 s[4:5], s[6:7]
	s_cbranch_execz .LBB924_177
; %bb.172:                              ;   in Loop: Header=BB924_15 Depth=1
	v_cmp_ne_u16_sdwa s[10:11], v30, s13 src0_sel:BYTE_0 src1_sel:DWORD
	v_mov_b32_e32 v32, 0xffff8000
	s_and_saveexec_b64 s[6:7], s[10:11]
	s_cbranch_execz .LBB924_176
; %bb.173:                              ;   in Loop: Header=BB924_15 Depth=1
	v_bfe_u32 v36, v28, 16, 7
	v_cmp_ne_u32_e32 vcc, s14, v36
	v_mov_b32_e32 v32, 0x7f80
	s_and_saveexec_b64 s[10:11], vcc
	s_cbranch_execz .LBB924_175
; %bb.174:                              ;   in Loop: Header=BB924_15 Depth=1
	v_and_b32_e32 v32, 7, v30
	v_ffbh_u32_e32 v38, v32
	v_min_u32_e32 v40, 32, v38
	v_subrev_u32_e32 v38, 28, v40
	v_lshlrev_b64 v[38:39], v38, v[30:31]
	v_lshrrev_b32_e32 v37, 3, v36
	v_sub_u32_e32 v39, 29, v40
	v_and_b32_e32 v38, 7, v38
	v_cmp_gt_u32_e32 vcc, 8, v36
	v_cndmask_b32_e32 v36, v37, v39, vcc
	v_cndmask_b32_e32 v32, v32, v38, vcc
	v_lshlrev_b32_e32 v30, 24, v30
	v_lshlrev_b32_e32 v32, 20, v32
	v_and_b32_e32 v30, 0x80000000, v30
	v_lshl_add_u32 v36, v36, 23, v33
	v_or3_b32 v30, v30, v36, v32
	v_lshrrev_b32_e32 v32, 16, v30
.LBB924_175:                            ;   in Loop: Header=BB924_15 Depth=1
	s_or_b64 exec, exec, s[10:11]
.LBB924_176:                            ;   in Loop: Header=BB924_15 Depth=1
	s_or_b64 exec, exec, s[6:7]
.LBB924_177:                            ;   in Loop: Header=BB924_15 Depth=1
	s_or_b64 exec, exec, s[4:5]
	v_cmp_lt_u32_e32 vcc, s15, v28
	v_mov_b32_e32 v36, 0
	v_mov_b32_e32 v37, 0
	s_and_saveexec_b64 s[4:5], vcc
	s_cbranch_execz .LBB924_183
; %bb.178:                              ;   in Loop: Header=BB924_15 Depth=1
	v_lshrrev_b32_e32 v30, 24, v28
	v_cmp_ne_u32_e32 vcc, s13, v30
	v_mov_b32_e32 v37, 0xffff8000
	s_and_saveexec_b64 s[6:7], vcc
	s_cbranch_execz .LBB924_182
; %bb.179:                              ;   in Loop: Header=BB924_15 Depth=1
	v_bfe_u32 v28, v28, 24, 7
	v_cmp_ne_u32_e32 vcc, s14, v28
	v_mov_b32_e32 v37, 0x7f80
	s_and_saveexec_b64 s[10:11], vcc
	s_cbranch_execz .LBB924_181
; %bb.180:                              ;   in Loop: Header=BB924_15 Depth=1
	v_and_b32_e32 v37, 7, v30
	v_ffbh_u32_e32 v38, v37
	v_min_u32_e32 v41, 32, v38
	v_subrev_u32_e32 v38, 28, v41
	v_lshlrev_b64 v[38:39], v38, v[30:31]
	v_lshrrev_b32_e32 v40, 3, v28
	v_sub_u32_e32 v39, 29, v41
	v_and_b32_e32 v38, 7, v38
	v_cmp_gt_u32_e32 vcc, 8, v28
	v_cndmask_b32_e32 v28, v40, v39, vcc
	v_cndmask_b32_e32 v37, v37, v38, vcc
	v_lshlrev_b32_e32 v30, 24, v30
	v_lshlrev_b32_e32 v37, 20, v37
	v_and_b32_e32 v30, 0x80000000, v30
	v_lshl_add_u32 v28, v28, 23, v33
	v_or3_b32 v28, v30, v28, v37
	v_lshrrev_b32_e32 v37, 16, v28
.LBB924_181:                            ;   in Loop: Header=BB924_15 Depth=1
	s_or_b64 exec, exec, s[10:11]
.LBB924_182:                            ;   in Loop: Header=BB924_15 Depth=1
	s_or_b64 exec, exec, s[6:7]
.LBB924_183:                            ;   in Loop: Header=BB924_15 Depth=1
	s_or_b64 exec, exec, s[4:5]
	s_waitcnt vmcnt(0)
	v_cmp_ne_u16_sdwa s[6:7], v26, v31 src0_sel:BYTE_0 src1_sel:DWORD
	s_and_saveexec_b64 s[4:5], s[6:7]
	s_cbranch_execz .LBB924_189
; %bb.184:                              ;   in Loop: Header=BB924_15 Depth=1
	v_cmp_ne_u16_sdwa s[10:11], v26, s13 src0_sel:BYTE_0 src1_sel:DWORD
	v_mov_b32_e32 v36, 0xffff8000
	s_and_saveexec_b64 s[6:7], s[10:11]
	s_cbranch_execz .LBB924_188
; %bb.185:                              ;   in Loop: Header=BB924_15 Depth=1
	v_and_b32_e32 v28, 0x7f, v26
	v_cmp_ne_u32_e32 vcc, s14, v28
	v_mov_b32_e32 v36, 0x7f80
	s_and_saveexec_b64 s[10:11], vcc
	s_cbranch_execz .LBB924_187
; %bb.186:                              ;   in Loop: Header=BB924_15 Depth=1
	v_and_b32_e32 v30, 7, v26
	v_ffbh_u32_e32 v38, v30
	v_min_u32_e32 v40, 32, v38
	v_subrev_u32_e32 v38, 28, v40
	v_lshlrev_b64 v[38:39], v38, v[26:27]
	v_lshrrev_b32_e32 v36, 3, v28
	v_sub_u32_e32 v39, 29, v40
	v_and_b32_e32 v38, 7, v38
	v_cmp_gt_u32_e32 vcc, 8, v28
	v_cndmask_b32_e32 v28, v36, v39, vcc
	v_cndmask_b32_e32 v30, v30, v38, vcc
	v_lshlrev_b32_e32 v36, 24, v26
	v_lshlrev_b32_e32 v30, 20, v30
	v_and_b32_e32 v36, 0x80000000, v36
	v_lshl_add_u32 v28, v28, 23, v33
	v_or3_b32 v28, v36, v28, v30
	v_lshrrev_b32_e32 v36, 16, v28
.LBB924_187:                            ;   in Loop: Header=BB924_15 Depth=1
	s_or_b64 exec, exec, s[10:11]
.LBB924_188:                            ;   in Loop: Header=BB924_15 Depth=1
	s_or_b64 exec, exec, s[6:7]
.LBB924_189:                            ;   in Loop: Header=BB924_15 Depth=1
	s_or_b64 exec, exec, s[4:5]
	v_lshrrev_b16_e32 v28, 8, v26
	v_cmp_ne_u16_e32 vcc, 0, v28
	v_mov_b32_e32 v38, 0
	v_mov_b32_e32 v30, 0
	s_and_saveexec_b64 s[4:5], vcc
	s_cbranch_execz .LBB924_195
; %bb.190:                              ;   in Loop: Header=BB924_15 Depth=1
	v_cmp_ne_u16_e32 vcc, s13, v28
	v_mov_b32_e32 v30, 0xffff8000
	s_and_saveexec_b64 s[6:7], vcc
	s_cbranch_execz .LBB924_194
; %bb.191:                              ;   in Loop: Header=BB924_15 Depth=1
	v_and_b32_e32 v39, 0x7f, v28
	v_cmp_ne_u32_e32 vcc, s14, v39
	v_mov_b32_e32 v30, 0x7f80
	s_and_saveexec_b64 s[10:11], vcc
	s_cbranch_execz .LBB924_193
; %bb.192:                              ;   in Loop: Header=BB924_15 Depth=1
	v_and_b32_e32 v30, 7, v28
	v_ffbh_u32_e32 v40, v30
	v_min_u32_e32 v43, 32, v40
	v_subrev_u32_e32 v40, 28, v43
	v_lshlrev_b64 v[40:41], v40, v[28:29]
	v_lshrrev_b32_e32 v42, 3, v39
	v_sub_u32_e32 v28, 29, v43
	v_and_b32_e32 v40, 7, v40
	v_cmp_gt_u32_e32 vcc, 8, v39
	v_cndmask_b32_e32 v28, v42, v28, vcc
	v_cndmask_b32_e32 v30, v30, v40, vcc
	v_lshlrev_b32_e32 v39, 16, v26
	v_lshlrev_b32_e32 v30, 20, v30
	v_and_b32_e32 v39, 0x80000000, v39
	v_lshl_add_u32 v28, v28, 23, v33
	v_or3_b32 v28, v39, v28, v30
	v_lshrrev_b32_e32 v30, 16, v28
.LBB924_193:                            ;   in Loop: Header=BB924_15 Depth=1
	s_or_b64 exec, exec, s[10:11]
.LBB924_194:                            ;   in Loop: Header=BB924_15 Depth=1
	s_or_b64 exec, exec, s[6:7]
.LBB924_195:                            ;   in Loop: Header=BB924_15 Depth=1
	s_or_b64 exec, exec, s[4:5]
	v_lshrrev_b32_e32 v28, 16, v26
	v_cmp_ne_u16_sdwa s[6:7], v28, v31 src0_sel:BYTE_0 src1_sel:DWORD
	s_and_saveexec_b64 s[4:5], s[6:7]
	s_cbranch_execz .LBB924_201
; %bb.196:                              ;   in Loop: Header=BB924_15 Depth=1
	v_cmp_ne_u16_sdwa s[10:11], v28, s13 src0_sel:BYTE_0 src1_sel:DWORD
	v_mov_b32_e32 v38, 0xffff8000
	s_and_saveexec_b64 s[6:7], s[10:11]
	s_cbranch_execz .LBB924_200
; %bb.197:                              ;   in Loop: Header=BB924_15 Depth=1
	v_bfe_u32 v39, v26, 16, 7
	v_cmp_ne_u32_e32 vcc, s14, v39
	v_mov_b32_e32 v38, 0x7f80
	s_and_saveexec_b64 s[10:11], vcc
	s_cbranch_execz .LBB924_199
; %bb.198:                              ;   in Loop: Header=BB924_15 Depth=1
	v_and_b32_e32 v38, 7, v28
	v_ffbh_u32_e32 v40, v38
	v_min_u32_e32 v43, 32, v40
	v_subrev_u32_e32 v40, 28, v43
	v_lshlrev_b64 v[40:41], v40, v[28:29]
	v_lshrrev_b32_e32 v42, 3, v39
	v_sub_u32_e32 v41, 29, v43
	v_and_b32_e32 v40, 7, v40
	v_cmp_gt_u32_e32 vcc, 8, v39
	v_cndmask_b32_e32 v39, v42, v41, vcc
	v_cndmask_b32_e32 v38, v38, v40, vcc
	v_lshlrev_b32_e32 v28, 24, v28
	v_lshlrev_b32_e32 v38, 20, v38
	v_and_b32_e32 v28, 0x80000000, v28
	v_lshl_add_u32 v39, v39, 23, v33
	v_or3_b32 v28, v28, v39, v38
	v_lshrrev_b32_e32 v38, 16, v28
.LBB924_199:                            ;   in Loop: Header=BB924_15 Depth=1
	s_or_b64 exec, exec, s[10:11]
.LBB924_200:                            ;   in Loop: Header=BB924_15 Depth=1
	s_or_b64 exec, exec, s[6:7]
.LBB924_201:                            ;   in Loop: Header=BB924_15 Depth=1
	s_or_b64 exec, exec, s[4:5]
	v_cmp_lt_u32_e32 vcc, s15, v26
	v_mov_b32_e32 v39, 0
	s_and_saveexec_b64 s[4:5], vcc
	s_cbranch_execz .LBB924_14
; %bb.202:                              ;   in Loop: Header=BB924_15 Depth=1
	v_lshrrev_b32_e32 v28, 24, v26
	v_cmp_ne_u32_e32 vcc, s13, v28
	v_mov_b32_e32 v39, 0xffff8000
	s_and_saveexec_b64 s[6:7], vcc
	s_cbranch_execz .LBB924_13
; %bb.203:                              ;   in Loop: Header=BB924_15 Depth=1
	v_bfe_u32 v26, v26, 24, 7
	v_cmp_ne_u32_e32 vcc, s14, v26
	v_mov_b32_e32 v39, 0x7f80
	s_and_saveexec_b64 s[10:11], vcc
	s_cbranch_execz .LBB924_12
; %bb.204:                              ;   in Loop: Header=BB924_15 Depth=1
	v_and_b32_e32 v39, 7, v28
	v_ffbh_u32_e32 v40, v39
	v_min_u32_e32 v43, 32, v40
	v_subrev_u32_e32 v40, 28, v43
	v_lshlrev_b64 v[40:41], v40, v[28:29]
	v_lshrrev_b32_e32 v42, 3, v26
	v_sub_u32_e32 v41, 29, v43
	v_and_b32_e32 v40, 7, v40
	v_cmp_gt_u32_e32 vcc, 8, v26
	v_cndmask_b32_e32 v26, v42, v41, vcc
	v_cndmask_b32_e32 v39, v39, v40, vcc
	v_lshlrev_b32_e32 v28, 24, v28
	v_lshlrev_b32_e32 v39, 20, v39
	v_and_b32_e32 v28, 0x80000000, v28
	v_lshl_add_u32 v26, v26, 23, v33
	v_or3_b32 v26, v28, v26, v39
	v_lshrrev_b32_e32 v39, 16, v26
	s_branch .LBB924_12
.LBB924_205:
	buffer_load_dword v13, off, s[0:3], 0 offset:256
	buffer_load_dword v14, off, s[0:3], 0 offset:260
	;; [unrolled: 1-line block ×16, first 2 shown]
	v_and_b32_e32 v12, 0xc0, v0
	v_add_u32_e32 v12, s20, v12
	v_lshl_or_b32 v12, v1, 2, v12
	v_or_b32_e32 v23, 1, v12
	v_mov_b32_e32 v19, 0xff7fffff
	v_or_b32_e32 v24, 2, v12
	v_or_b32_e32 v25, 3, v12
	v_cmp_gt_i32_e64 s[26:27], s33, v12
	v_cmp_gt_i32_e64 s[28:29], s33, v23
	s_mov_b32 s52, 0xff7fffff
	v_or_b32_e32 v26, 16, v12
	v_or_b32_e32 v27, 17, v12
	;; [unrolled: 1-line block ×12, first 2 shown]
	v_cmp_gt_i32_e64 s[30:31], s33, v24
	v_cmp_gt_i32_e64 s[34:35], s33, v25
	v_mbcnt_lo_u32_b32 v20, -1, 0
	v_cmp_gt_i32_e64 s[36:37], s33, v26
	v_cmp_gt_i32_e64 s[38:39], s33, v27
	v_mbcnt_hi_u32_b32 v20, -1, v20
	v_cmp_gt_i32_e64 s[20:21], s33, v28
	v_cmp_gt_i32_e64 s[22:23], s33, v29
	v_and_b32_e32 v21, 64, v20
	v_cmp_gt_i32_e64 s[16:17], s33, v30
	v_cmp_gt_i32_e64 s[18:19], s33, v31
	v_xor_b32_e32 v22, 32, v20
	v_add_u32_e32 v21, 64, v21
	v_cmp_gt_i32_e64 s[12:13], s33, v32
	v_cmp_gt_i32_e64 s[14:15], s33, v33
	v_cmp_lt_i32_e32 vcc, v22, v21
	v_cmp_gt_i32_e64 s[6:7], s33, v34
	v_cmp_gt_i32_e64 s[10:11], s33, v36
	v_cndmask_b32_e32 v22, v20, v22, vcc
	v_cmp_gt_i32_e32 vcc, s33, v37
	v_cmp_gt_i32_e64 s[4:5], s33, v38
	v_lshlrev_b32_e32 v22, 2, v22
	s_waitcnt vmcnt(15)
	v_cndmask_b32_e64 v12, v19, v13, s[26:27]
	s_waitcnt vmcnt(14)
	v_cndmask_b32_e64 v23, v19, v14, s[28:29]
	;; [unrolled: 2-line block ×4, first 2 shown]
	v_max3_f32 v12, v12, s52, v23
	s_waitcnt vmcnt(11)
	v_cndmask_b32_e64 v26, v19, v17, s[36:37]
	s_waitcnt vmcnt(10)
	v_cndmask_b32_e64 v27, v19, v18, s[38:39]
	v_max3_f32 v12, v12, v24, v25
	s_waitcnt vmcnt(9)
	v_cndmask_b32_e64 v28, v19, v11, s[20:21]
	s_waitcnt vmcnt(8)
	v_cndmask_b32_e64 v29, v19, v10, s[22:23]
	;; [unrolled: 5-line block ×5, first 2 shown]
	v_max3_f32 v12, v12, v32, v33
	s_waitcnt vmcnt(1)
	v_cndmask_b32_e32 v37, v19, v3, vcc
	s_waitcnt vmcnt(0)
	v_cndmask_b32_e64 v19, v19, v2, s[4:5]
	v_max3_f32 v12, v12, v34, v36
	v_max3_f32 v12, v12, v37, v19
	ds_bpermute_b32 v19, v22, v12
	v_xor_b32_e32 v23, 16, v20
	v_cmp_lt_i32_e64 s[40:41], v23, v21
	v_cndmask_b32_e64 v20, v20, v23, s[40:41]
	v_lshlrev_b32_e32 v20, 2, v20
	s_waitcnt lgkmcnt(0)
	v_max_f32_e32 v19, v19, v19
	v_max_f32_e32 v12, v12, v19
	ds_bpermute_b32 v19, v20, v12
	s_waitcnt lgkmcnt(0)
	v_max_f32_e32 v19, v19, v19
	v_max_f32_e32 v12, v12, v19
	v_sub_f32_e32 v13, v13, v12
	v_sub_f32_e32 v14, v14, v12
	;; [unrolled: 1-line block ×3, first 2 shown]
	v_mul_f32_e32 v13, 0x3fb8aa3b, v13
	v_mul_f32_e32 v14, 0x3fb8aa3b, v14
	;; [unrolled: 1-line block ×3, first 2 shown]
	v_exp_f32_e32 v13, v13
	v_exp_f32_e32 v14, v14
	;; [unrolled: 1-line block ×3, first 2 shown]
	v_sub_f32_e32 v16, v16, v12
	v_cndmask_b32_e64 v13, 0, v13, s[26:27]
	v_mul_f32_e32 v16, 0x3fb8aa3b, v16
	v_cndmask_b32_e64 v14, 0, v14, s[28:29]
	v_cndmask_b32_e64 v15, 0, v15, s[30:31]
	v_add_f32_e32 v19, 0, v13
	buffer_store_dword v13, off, s[0:3], 0 offset:256
	buffer_store_dword v14, off, s[0:3], 0 offset:260
	;; [unrolled: 1-line block ×3, first 2 shown]
	v_sub_f32_e32 v13, v17, v12
	v_exp_f32_e32 v16, v16
	v_add_f32_e32 v19, v19, v14
	v_mul_f32_e32 v13, 0x3fb8aa3b, v13
	v_sub_f32_e32 v14, v18, v12
	v_exp_f32_e32 v13, v13
	v_mul_f32_e32 v14, 0x3fb8aa3b, v14
	v_sub_f32_e32 v11, v11, v12
	v_exp_f32_e32 v14, v14
	;; [unrolled: 3-line block ×3, first 2 shown]
	v_mul_f32_e32 v10, 0x3fb8aa3b, v10
	v_sub_f32_e32 v9, v9, v12
	v_cndmask_b32_e64 v16, 0, v16, s[34:35]
	v_add_f32_e32 v19, v19, v15
	v_exp_f32_e32 v10, v10
	v_mul_f32_e32 v9, 0x3fb8aa3b, v9
	v_sub_f32_e32 v8, v8, v12
	v_add_f32_e32 v19, v19, v16
	v_cndmask_b32_e64 v13, 0, v13, s[36:37]
	v_exp_f32_e32 v9, v9
	v_mul_f32_e32 v8, 0x3fb8aa3b, v8
	v_sub_f32_e32 v7, v7, v12
	v_add_f32_e32 v15, v19, v13
	v_cndmask_b32_e64 v14, 0, v14, s[38:39]
	;; [unrolled: 5-line block ×5, first 2 shown]
	v_exp_f32_e32 v5, v5
	v_mul_f32_e32 v4, 0x3fb8aa3b, v4
	v_sub_f32_e32 v3, v3, v12
	buffer_store_dword v16, off, s[0:3], 0 offset:268
	buffer_store_dword v13, off, s[0:3], 0 offset:272
	;; [unrolled: 1-line block ×5, first 2 shown]
	v_add_f32_e32 v10, v15, v9
	v_cndmask_b32_e64 v8, 0, v8, s[18:19]
	v_exp_f32_e32 v4, v4
	v_mul_f32_e32 v3, 0x3fb8aa3b, v3
	v_sub_f32_e32 v2, v2, v12
	v_add_f32_e32 v10, v10, v8
	v_cndmask_b32_e64 v7, 0, v7, s[12:13]
	v_exp_f32_e32 v3, v3
	v_mul_f32_e32 v2, 0x3fb8aa3b, v2
	v_add_f32_e32 v10, v10, v7
	v_cndmask_b32_e64 v6, 0, v6, s[14:15]
	v_exp_f32_e32 v2, v2
	v_add_f32_e32 v10, v10, v6
	v_cndmask_b32_e64 v5, 0, v5, s[6:7]
	buffer_store_dword v9, off, s[0:3], 0 offset:288
	buffer_store_dword v8, off, s[0:3], 0 offset:292
	;; [unrolled: 1-line block ×4, first 2 shown]
	v_add_f32_e32 v6, v10, v5
	v_cndmask_b32_e64 v4, 0, v4, s[10:11]
	v_add_f32_e32 v6, v6, v4
	v_cndmask_b32_e32 v3, 0, v3, vcc
	v_add_f32_e32 v6, v6, v3
	v_cndmask_b32_e64 v2, 0, v2, s[4:5]
	v_add_f32_e32 v6, v6, v2
	ds_bpermute_b32 v7, v22, v6
	buffer_store_dword v5, off, s[0:3], 0 offset:304
	buffer_store_dword v4, off, s[0:3], 0 offset:308
	;; [unrolled: 1-line block ×4, first 2 shown]
	v_cmp_gt_u32_e32 vcc, 16, v35
	s_waitcnt lgkmcnt(0)
	s_barrier
	v_add_f32_e32 v2, v6, v7
	ds_bpermute_b32 v3, v20, v2
	s_waitcnt lgkmcnt(0)
	s_and_saveexec_b64 s[4:5], vcc
	s_cbranch_execz .LBB924_207
; %bb.206:
	v_add_f32_e32 v2, v2, v3
	v_lshlrev_b32_e32 v3, 2, v65
	ds_write2st64_b32 v3, v12, v2 offset1:1
.LBB924_207:
	s_or_b64 exec, exec, s[4:5]
	v_lshlrev_b32_e32 v2, 2, v55
	s_waitcnt lgkmcnt(0)
	s_barrier
	ds_read2_b32 v[14:15], v2 offset1:16
	ds_read2_b32 v[16:17], v2 offset0:32 offset1:48
	ds_read2_b32 v[6:7], v2 offset0:64 offset1:80
	;; [unrolled: 1-line block ×3, first 2 shown]
	s_waitcnt lgkmcnt(0)
	s_barrier
	buffer_load_dword v22, off, s[0:3], 0 offset:264
	buffer_load_dword v23, off, s[0:3], 0 offset:268
	;; [unrolled: 1-line block ×16, first 2 shown]
	v_max3_f32 v20, v14, s52, v15
	v_max3_f32 v20, v20, v16, v17
	v_sub_f32_e32 v14, v14, v20
	v_sub_f32_e32 v15, v15, v20
	v_mul_f32_e32 v14, 0x3fb8aa3b, v14
	v_sub_f32_e32 v16, v16, v20
	v_mul_f32_e32 v15, 0x3fb8aa3b, v15
	v_exp_f32_e32 v14, v14
	v_sub_f32_e32 v17, v17, v20
	v_mul_f32_e32 v16, 0x3fb8aa3b, v16
	v_exp_f32_e32 v15, v15
	v_mul_f32_e32 v17, 0x3fb8aa3b, v17
	v_exp_f32_e32 v16, v16
	v_exp_f32_e32 v17, v17
	v_fma_f32 v6, v14, v6, 0
	v_fmac_f32_e32 v6, v15, v7
	v_fmac_f32_e32 v6, v16, v12
	v_fmac_f32_e32 v6, v17, v13
	v_cmp_eq_u32_e32 vcc, 1, v64
	v_add_f32_e32 v12, 0x358637bd, v6
	v_cndmask_b32_e32 v14, v14, v15, vcc
	v_cmp_eq_u32_e32 vcc, 2, v64
	v_div_scale_f32 v13, s[4:5], v12, v12, 1.0
	v_cndmask_b32_e32 v7, v14, v16, vcc
	v_rcp_f32_e32 v14, v13
	v_cmp_eq_u32_e32 vcc, 3, v64
	v_cndmask_b32_e32 v7, v7, v17, vcc
	v_div_scale_f32 v15, vcc, 1.0, v12, 1.0
	v_fma_f32 v16, -v13, v14, 1.0
	v_fmac_f32_e32 v14, v16, v14
	v_mul_f32_e32 v16, v15, v14
	v_fma_f32 v17, -v13, v16, v15
	v_fmac_f32_e32 v16, v17, v14
	v_fma_f32 v13, -v13, v16, v15
	v_div_fmas_f32 v13, v13, v14, v16
	v_div_fixup_f32 v12, v13, v12, 1.0
	v_mul_f32_e32 v12, v7, v12
	s_movk_i32 s19, 0x7fff
	s_mov_b32 s20, 0x7060302
	s_mul_i32 s18, s51, 15
	v_cmp_gt_u32_e32 vcc, 15, v0
	s_waitcnt vmcnt(14)
	v_pk_mul_f32 v[14:15], v[12:13], v[22:23] op_sel_hi:[0,1]
	v_bfe_u32 v21, v15, 16, 1
	s_waitcnt vmcnt(12)
	v_pk_mul_f32 v[16:17], v[12:13], v[24:25] op_sel_hi:[0,1]
	v_bfe_u32 v7, v17, 16, 1
	v_bfe_u32 v13, v16, 16, 1
	;; [unrolled: 1-line block ×3, first 2 shown]
	v_add3_u32 v13, v16, v13, s19
	v_add3_u32 v7, v17, v7, s19
	buffer_store_dword v16, off, s[0:3], 0 offset:256
	buffer_store_dword v17, off, s[0:3], 0 offset:260
	;; [unrolled: 1-line block ×4, first 2 shown]
	v_add3_u32 v16, v14, v22, s19
	v_add3_u32 v15, v15, v21, s19
	v_perm_b32 v14, v7, v13, s20
	v_lshlrev_b32_e32 v13, 3, v1
	v_perm_b32 v15, v15, v16, s20
	v_lshlrev_b32_e32 v7, 5, v55
	v_lshlrev_b32_e32 v16, 11, v64
	s_waitcnt vmcnt(12)
	v_pk_mul_f32 v[8:9], v[12:13], v[8:9] op_sel_hi:[0,1]
	v_or3_b32 v39, v16, v7, v13
	v_pk_mul_f32 v[10:11], v[12:13], v[10:11] op_sel_hi:[0,1]
	v_bfe_u32 v13, v9, 16, 1
	v_bfe_u32 v16, v8, 16, 1
	buffer_store_dword v8, off, s[0:3], 0 offset:272
	buffer_store_dword v9, off, s[0:3], 0 offset:276
	;; [unrolled: 1-line block ×4, first 2 shown]
	v_add3_u32 v8, v8, v16, s19
	v_add3_u32 v9, v9, v13, s19
	v_perm_b32 v8, v9, v8, s20
	v_bfe_u32 v9, v11, 16, 1
	v_bfe_u32 v13, v10, 16, 1
	v_add3_u32 v10, v10, v13, s19
	v_add3_u32 v9, v11, v9, s19
	v_perm_b32 v9, v9, v10, s20
	s_waitcnt vmcnt(14)
	v_pk_mul_f32 v[10:11], v[12:13], v[18:19] op_sel_hi:[0,1]
	ds_write2st64_b64 v39, v[14:15], v[8:9] offset1:1
	s_waitcnt vmcnt(12)
	v_pk_mul_f32 v[8:9], v[12:13], v[26:27] op_sel_hi:[0,1]
	v_bfe_u32 v13, v11, 16, 1
	v_bfe_u32 v14, v10, 16, 1
	buffer_store_dword v10, off, s[0:3], 0 offset:288
	buffer_store_dword v11, off, s[0:3], 0 offset:292
	;; [unrolled: 1-line block ×4, first 2 shown]
	v_add3_u32 v10, v10, v14, s19
	v_add3_u32 v11, v11, v13, s19
	v_perm_b32 v10, v11, v10, s20
	v_bfe_u32 v11, v9, 16, 1
	v_bfe_u32 v13, v8, 16, 1
	v_add3_u32 v8, v8, v13, s19
	v_add3_u32 v9, v9, v11, s19
	s_waitcnt vmcnt(14)
	v_pk_mul_f32 v[2:3], v[12:13], v[2:3] op_sel_hi:[0,1]
	v_perm_b32 v11, v9, v8, s20
	v_bfe_u32 v8, v3, 16, 1
	v_bfe_u32 v9, v2, 16, 1
	s_waitcnt vmcnt(12)
	v_pk_mul_f32 v[4:5], v[12:13], v[4:5] op_sel_hi:[0,1]
	buffer_store_dword v2, off, s[0:3], 0 offset:304
	buffer_store_dword v3, off, s[0:3], 0 offset:308
	;; [unrolled: 1-line block ×4, first 2 shown]
	v_add3_u32 v2, v2, v9, s19
	v_add3_u32 v3, v3, v8, s19
	v_perm_b32 v2, v3, v2, s20
	v_bfe_u32 v3, v5, 16, 1
	v_bfe_u32 v8, v4, 16, 1
	v_add3_u32 v4, v4, v8, s19
	v_add3_u32 v3, v5, v3, s19
	v_perm_b32 v3, v3, v4, s20
	ds_write2st64_b64 v39, v[10:11], v[2:3] offset0:2 offset1:3
	s_and_saveexec_b64 s[4:5], vcc
	s_cbranch_execz .LBB924_209
; %bb.208:
	v_add_co_u32_e32 v4, vcc, s25, v55
	v_addc_co_u32_e64 v5, s[6:7], 0, 0, vcc
	v_mov_b32_e32 v2, s18
	v_mad_u64_u32 v[4:5], s[6:7], s8, v2, v[4:5]
	v_mov_b32_e32 v3, 0
	s_mul_i32 s6, s9, s18
	v_mov_b32_e32 v2, s24
	v_add_u32_e32 v5, s6, v5
	v_mad_u64_u32 v[2:3], s[6:7], v4, s50, v[2:3]
	v_mov_b32_e32 v4, v3
	v_mad_u64_u32 v[4:5], s[6:7], v5, s50, v[4:5]
	v_mov_b32_e32 v3, v4
	v_lshlrev_b64 v[2:3], 2, v[2:3]
	v_mov_b32_e32 v5, s47
	v_add_co_u32_e32 v4, vcc, s46, v2
	v_addc_co_u32_e32 v5, vcc, v5, v3, vcc
	global_store_dword v[4:5], v20, off
	v_mov_b32_e32 v4, s45
	v_add_co_u32_e32 v2, vcc, s44, v2
	v_addc_co_u32_e32 v3, vcc, v4, v3, vcc
	global_store_dword v[2:3], v6, off
.LBB924_209:
	s_or_b64 exec, exec, s[4:5]
	v_lshl_or_b32 v30, v1, 9, v7
	s_waitcnt lgkmcnt(0)
	s_barrier
	s_load_dword s4, s[42:43], 0x0
	ds_read_b128 v[2:5], v30
	ds_read_b128 v[6:9], v30 offset:16
	ds_read_b128 v[10:13], v30 offset:2048
	;; [unrolled: 1-line block ×7, first 2 shown]
	v_mov_b32_e32 v35, 0x80
	v_mov_b32_e32 v41, 0x140
	s_mov_b64 s[10:11], -1
	s_waitcnt lgkmcnt(0)
	s_mov_b32 s5, s4
	s_mov_b32 s6, s4
	;; [unrolled: 1-line block ×3, first 2 shown]
	s_movk_i32 s9, 0x80
	s_movk_i32 s21, 0x7f
	s_mov_b32 s22, 0xffffff
	s_mov_b32 s23, 0x5040100
	v_mov_b32_e32 v43, 0
	v_bfrev_b32_e32 v45, 60
	s_branch .LBB924_213
.LBB924_210:                            ;   in Loop: Header=BB924_213 Depth=1
	s_or_b64 exec, exec, s[16:17]
.LBB924_211:                            ;   in Loop: Header=BB924_213 Depth=1
	s_or_b64 exec, exec, s[14:15]
.LBB924_212:                            ;   in Loop: Header=BB924_213 Depth=1
	s_or_b64 exec, exec, s[12:13]
	v_perm_b32 v47, v49, v47, s23
	v_perm_b32 v46, v44, v46, s23
	s_xor_b64 s[12:13], s[10:11], -1
	s_mov_b64 s[10:11], 0
	v_mov_b32_e32 v63, v58
	v_mfma_f32_16x16x16bf16_1k v[64:67], v[46:47], v[30:31], v[34:37]
	s_and_b64 vcc, exec, s[12:13]
	v_mov_b32_e32 v62, v59
	v_mov_b32_e32 v61, v60
	s_nop 3
	v_perm_b32 v37, v51, v50, s23
	v_perm_b32 v36, v42, v48, s23
	v_mov_b32_e32 v35, v57
	s_nop 0
	v_mfma_f32_16x16x16bf16_1k v[46:49], v[36:37], v[32:33], v[64:67]
	s_nop 7
	s_nop 2
	v_pk_mul_f32 v[46:47], v[46:47], s[4:5]
	v_pk_mul_f32 v[36:37], v[48:49], s[6:7]
	v_bfe_u32 v34, v47, 16, 1
	v_bfe_u32 v38, v46, 16, 1
	;; [unrolled: 1-line block ×4, first 2 shown]
	v_add3_u32 v38, v46, v38, s19
	v_add3_u32 v34, v47, v34, s19
	;; [unrolled: 1-line block ×4, first 2 shown]
	v_perm_b32 v34, v34, v38, s20
	v_perm_b32 v36, v37, v36, s20
	buffer_store_dword v34, v41, s[0:3], 0 offen
	buffer_store_dword v36, v41, s[0:3], 0 offen offset:4
	v_mov_b32_e32 v41, 0x148
	s_cbranch_vccnz .LBB924_595
.LBB924_213:                            ; =>This Inner Loop Header: Depth=1
	buffer_load_dword v36, v35, s[0:3], 0 offen
	buffer_load_dword v34, v35, s[0:3], 0 offen offset:4
	buffer_load_dword v40, v35, s[0:3], 0 offen offset:8
	;; [unrolled: 1-line block ×3, first 2 shown]
	v_mov_b32_e32 v35, 0
	s_waitcnt vmcnt(3)
	v_cmp_ne_u16_sdwa s[14:15], v36, v43 src0_sel:BYTE_0 src1_sel:DWORD
	s_and_saveexec_b64 s[12:13], s[14:15]
	s_cbranch_execz .LBB924_219
; %bb.214:                              ;   in Loop: Header=BB924_213 Depth=1
	v_cmp_ne_u16_sdwa s[16:17], v36, s9 src0_sel:BYTE_0 src1_sel:DWORD
	v_mov_b32_e32 v35, 0xffff8000
	s_and_saveexec_b64 s[14:15], s[16:17]
	s_cbranch_execz .LBB924_218
; %bb.215:                              ;   in Loop: Header=BB924_213 Depth=1
	v_and_b32_e32 v37, 0x7f, v36
	v_cmp_ne_u32_e32 vcc, s21, v37
	v_mov_b32_e32 v35, 0x7f80
	s_and_saveexec_b64 s[16:17], vcc
	s_cbranch_execz .LBB924_217
; %bb.216:                              ;   in Loop: Header=BB924_213 Depth=1
	v_and_b32_e32 v35, 7, v36
	v_ffbh_u32_e32 v44, v35
	v_min_u32_e32 v44, 32, v44
	v_subrev_u32_e32 v46, 28, v44
	v_lshlrev_b64 v[46:47], v46, v[36:37]
	v_lshrrev_b32_e32 v42, 3, v37
	v_sub_u32_e32 v44, 29, v44
	v_and_b32_e32 v46, 7, v46
	v_cmp_gt_u32_e32 vcc, 8, v37
	v_cndmask_b32_e32 v37, v42, v44, vcc
	v_cndmask_b32_e32 v35, v35, v46, vcc
	v_lshlrev_b32_e32 v42, 24, v36
	v_lshlrev_b32_e32 v35, 20, v35
	v_and_b32_e32 v42, 0x80000000, v42
	v_lshl_add_u32 v37, v37, 23, v45
	v_or3_b32 v35, v42, v37, v35
	v_lshrrev_b32_e32 v35, 16, v35
.LBB924_217:                            ;   in Loop: Header=BB924_213 Depth=1
	s_or_b64 exec, exec, s[16:17]
.LBB924_218:                            ;   in Loop: Header=BB924_213 Depth=1
	s_or_b64 exec, exec, s[14:15]
.LBB924_219:                            ;   in Loop: Header=BB924_213 Depth=1
	s_or_b64 exec, exec, s[12:13]
	v_lshrrev_b16_e32 v42, 8, v36
	v_cmp_ne_u16_e32 vcc, 0, v42
	v_mov_b32_e32 v46, 0
	v_mov_b32_e32 v37, 0
	s_and_saveexec_b64 s[12:13], vcc
	s_cbranch_execz .LBB924_225
; %bb.220:                              ;   in Loop: Header=BB924_213 Depth=1
	v_cmp_ne_u16_e32 vcc, s9, v42
	v_mov_b32_e32 v37, 0xffff8000
	s_and_saveexec_b64 s[14:15], vcc
	s_cbranch_execz .LBB924_224
; %bb.221:                              ;   in Loop: Header=BB924_213 Depth=1
	v_and_b32_e32 v44, 0x7f, v42
	v_cmp_ne_u32_e32 vcc, s21, v44
	v_mov_b32_e32 v37, 0x7f80
	s_and_saveexec_b64 s[16:17], vcc
	s_cbranch_execz .LBB924_223
; %bb.222:                              ;   in Loop: Header=BB924_213 Depth=1
	v_and_b32_e32 v37, 7, v42
	v_ffbh_u32_e32 v48, v37
	v_min_u32_e32 v50, 32, v48
	v_subrev_u32_e32 v48, 28, v50
	v_lshlrev_b64 v[48:49], v48, v[42:43]
	v_lshrrev_b32_e32 v47, 3, v44
	v_sub_u32_e32 v42, 29, v50
	v_and_b32_e32 v48, 7, v48
	v_cmp_gt_u32_e32 vcc, 8, v44
	v_cndmask_b32_e32 v42, v47, v42, vcc
	v_cndmask_b32_e32 v37, v37, v48, vcc
	v_lshlrev_b32_e32 v44, 16, v36
	v_lshlrev_b32_e32 v37, 20, v37
	v_and_b32_e32 v44, 0x80000000, v44
	v_lshl_add_u32 v42, v42, 23, v45
	v_or3_b32 v37, v44, v42, v37
	v_lshrrev_b32_e32 v37, 16, v37
.LBB924_223:                            ;   in Loop: Header=BB924_213 Depth=1
	s_or_b64 exec, exec, s[16:17]
.LBB924_224:                            ;   in Loop: Header=BB924_213 Depth=1
	s_or_b64 exec, exec, s[14:15]
.LBB924_225:                            ;   in Loop: Header=BB924_213 Depth=1
	s_or_b64 exec, exec, s[12:13]
	v_lshrrev_b32_e32 v42, 16, v36
	v_cmp_ne_u16_sdwa s[14:15], v42, v43 src0_sel:BYTE_0 src1_sel:DWORD
	s_and_saveexec_b64 s[12:13], s[14:15]
	s_cbranch_execz .LBB924_231
; %bb.226:                              ;   in Loop: Header=BB924_213 Depth=1
	v_cmp_ne_u16_sdwa s[16:17], v42, s9 src0_sel:BYTE_0 src1_sel:DWORD
	v_mov_b32_e32 v46, 0xffff8000
	s_and_saveexec_b64 s[14:15], s[16:17]
	s_cbranch_execz .LBB924_230
; %bb.227:                              ;   in Loop: Header=BB924_213 Depth=1
	v_bfe_u32 v44, v36, 16, 7
	v_cmp_ne_u32_e32 vcc, s21, v44
	v_mov_b32_e32 v46, 0x7f80
	s_and_saveexec_b64 s[16:17], vcc
	s_cbranch_execz .LBB924_229
; %bb.228:                              ;   in Loop: Header=BB924_213 Depth=1
	v_and_b32_e32 v48, 7, v42
	v_ffbh_u32_e32 v46, v48
	v_min_u32_e32 v50, 32, v46
	v_subrev_u32_e32 v46, 28, v50
	v_lshlrev_b64 v[46:47], v46, v[42:43]
	v_lshrrev_b32_e32 v49, 3, v44
	v_sub_u32_e32 v47, 29, v50
	v_and_b32_e32 v46, 7, v46
	v_cmp_gt_u32_e32 vcc, 8, v44
	v_cndmask_b32_e32 v44, v49, v47, vcc
	v_cndmask_b32_e32 v46, v48, v46, vcc
	v_lshlrev_b32_e32 v42, 24, v42
	v_lshlrev_b32_e32 v46, 20, v46
	v_and_b32_e32 v42, 0x80000000, v42
	v_lshl_add_u32 v44, v44, 23, v45
	v_or3_b32 v42, v42, v44, v46
	v_lshrrev_b32_e32 v46, 16, v42
.LBB924_229:                            ;   in Loop: Header=BB924_213 Depth=1
	s_or_b64 exec, exec, s[16:17]
.LBB924_230:                            ;   in Loop: Header=BB924_213 Depth=1
	s_or_b64 exec, exec, s[14:15]
.LBB924_231:                            ;   in Loop: Header=BB924_213 Depth=1
	s_or_b64 exec, exec, s[12:13]
	v_cmp_lt_u32_e32 vcc, s22, v36
	v_mov_b32_e32 v47, 0
	v_mov_b32_e32 v48, 0
	s_and_saveexec_b64 s[12:13], vcc
	s_cbranch_execz .LBB924_237
; %bb.232:                              ;   in Loop: Header=BB924_213 Depth=1
	v_lshrrev_b32_e32 v42, 24, v36
	v_cmp_ne_u32_e32 vcc, s9, v42
	v_mov_b32_e32 v48, 0xffff8000
	s_and_saveexec_b64 s[14:15], vcc
	s_cbranch_execz .LBB924_236
; %bb.233:                              ;   in Loop: Header=BB924_213 Depth=1
	v_bfe_u32 v36, v36, 24, 7
	v_cmp_ne_u32_e32 vcc, s21, v36
	v_mov_b32_e32 v48, 0x7f80
	s_and_saveexec_b64 s[16:17], vcc
	s_cbranch_execz .LBB924_235
; %bb.234:                              ;   in Loop: Header=BB924_213 Depth=1
	v_and_b32_e32 v44, 7, v42
	v_ffbh_u32_e32 v48, v44
	v_min_u32_e32 v51, 32, v48
	v_subrev_u32_e32 v48, 28, v51
	v_lshlrev_b64 v[48:49], v48, v[42:43]
	v_lshrrev_b32_e32 v50, 3, v36
	v_sub_u32_e32 v49, 29, v51
	v_and_b32_e32 v48, 7, v48
	v_cmp_gt_u32_e32 vcc, 8, v36
	v_cndmask_b32_e32 v36, v50, v49, vcc
	v_cndmask_b32_e32 v44, v44, v48, vcc
	v_lshlrev_b32_e32 v42, 24, v42
	v_lshlrev_b32_e32 v44, 20, v44
	v_and_b32_e32 v42, 0x80000000, v42
	v_lshl_add_u32 v36, v36, 23, v45
	v_or3_b32 v36, v42, v36, v44
	v_lshrrev_b32_e32 v48, 16, v36
.LBB924_235:                            ;   in Loop: Header=BB924_213 Depth=1
	s_or_b64 exec, exec, s[16:17]
.LBB924_236:                            ;   in Loop: Header=BB924_213 Depth=1
	s_or_b64 exec, exec, s[14:15]
.LBB924_237:                            ;   in Loop: Header=BB924_213 Depth=1
	s_or_b64 exec, exec, s[12:13]
	s_waitcnt vmcnt(2)
	v_cmp_ne_u16_sdwa s[14:15], v34, v43 src0_sel:BYTE_0 src1_sel:DWORD
	s_and_saveexec_b64 s[12:13], s[14:15]
	s_cbranch_execz .LBB924_243
; %bb.238:                              ;   in Loop: Header=BB924_213 Depth=1
	v_cmp_ne_u16_sdwa s[16:17], v34, s9 src0_sel:BYTE_0 src1_sel:DWORD
	v_mov_b32_e32 v47, 0xffff8000
	s_and_saveexec_b64 s[14:15], s[16:17]
	s_cbranch_execz .LBB924_242
; %bb.239:                              ;   in Loop: Header=BB924_213 Depth=1
	v_and_b32_e32 v36, 0x7f, v34
	v_cmp_ne_u32_e32 vcc, s21, v36
	v_mov_b32_e32 v47, 0x7f80
	s_and_saveexec_b64 s[16:17], vcc
	s_cbranch_execz .LBB924_241
; %bb.240:                              ;   in Loop: Header=BB924_213 Depth=1
	v_and_b32_e32 v42, 7, v34
	v_ffbh_u32_e32 v47, v42
	v_min_u32_e32 v47, 32, v47
	v_subrev_u32_e32 v49, 28, v47
	v_lshlrev_b64 v[50:51], v49, v[34:35]
	v_lshrrev_b32_e32 v44, 3, v36
	v_sub_u32_e32 v47, 29, v47
	v_and_b32_e32 v49, 7, v50
	v_cmp_gt_u32_e32 vcc, 8, v36
	v_cndmask_b32_e32 v36, v44, v47, vcc
	v_cndmask_b32_e32 v42, v42, v49, vcc
	v_lshlrev_b32_e32 v44, 24, v34
	v_lshlrev_b32_e32 v42, 20, v42
	v_and_b32_e32 v44, 0x80000000, v44
	v_lshl_add_u32 v36, v36, 23, v45
	v_or3_b32 v36, v44, v36, v42
	v_lshrrev_b32_e32 v47, 16, v36
.LBB924_241:                            ;   in Loop: Header=BB924_213 Depth=1
	s_or_b64 exec, exec, s[16:17]
.LBB924_242:                            ;   in Loop: Header=BB924_213 Depth=1
	s_or_b64 exec, exec, s[14:15]
.LBB924_243:                            ;   in Loop: Header=BB924_213 Depth=1
	s_or_b64 exec, exec, s[12:13]
	v_lshrrev_b16_e32 v36, 8, v34
	v_cmp_ne_u16_e32 vcc, 0, v36
	v_mov_b32_e32 v49, 0
	v_mov_b32_e32 v42, 0
	s_and_saveexec_b64 s[12:13], vcc
	s_cbranch_execz .LBB924_249
; %bb.244:                              ;   in Loop: Header=BB924_213 Depth=1
	v_cmp_ne_u16_e32 vcc, s9, v36
	v_mov_b32_e32 v42, 0xffff8000
	s_and_saveexec_b64 s[14:15], vcc
	s_cbranch_execz .LBB924_248
; %bb.245:                              ;   in Loop: Header=BB924_213 Depth=1
	v_and_b32_e32 v44, 0x7f, v36
	v_cmp_ne_u32_e32 vcc, s21, v44
	v_mov_b32_e32 v42, 0x7f80
	s_and_saveexec_b64 s[16:17], vcc
	s_cbranch_execz .LBB924_247
; %bb.246:                              ;   in Loop: Header=BB924_213 Depth=1
	v_and_b32_e32 v42, 7, v36
	v_ffbh_u32_e32 v50, v42
	v_min_u32_e32 v53, 32, v50
	v_subrev_u32_e32 v50, 28, v53
	v_lshlrev_b64 v[50:51], v50, v[36:37]
	v_lshrrev_b32_e32 v52, 3, v44
	v_sub_u32_e32 v36, 29, v53
	v_and_b32_e32 v50, 7, v50
	v_cmp_gt_u32_e32 vcc, 8, v44
	v_cndmask_b32_e32 v36, v52, v36, vcc
	v_cndmask_b32_e32 v42, v42, v50, vcc
	v_lshlrev_b32_e32 v44, 16, v34
	v_lshlrev_b32_e32 v42, 20, v42
	v_and_b32_e32 v44, 0x80000000, v44
	v_lshl_add_u32 v36, v36, 23, v45
	v_or3_b32 v36, v44, v36, v42
	v_lshrrev_b32_e32 v42, 16, v36
.LBB924_247:                            ;   in Loop: Header=BB924_213 Depth=1
	s_or_b64 exec, exec, s[16:17]
.LBB924_248:                            ;   in Loop: Header=BB924_213 Depth=1
	s_or_b64 exec, exec, s[14:15]
.LBB924_249:                            ;   in Loop: Header=BB924_213 Depth=1
	s_or_b64 exec, exec, s[12:13]
	v_lshrrev_b32_e32 v36, 16, v34
	v_cmp_ne_u16_sdwa s[14:15], v36, v43 src0_sel:BYTE_0 src1_sel:DWORD
	s_and_saveexec_b64 s[12:13], s[14:15]
	s_cbranch_execz .LBB924_255
; %bb.250:                              ;   in Loop: Header=BB924_213 Depth=1
	v_cmp_ne_u16_sdwa s[16:17], v36, s9 src0_sel:BYTE_0 src1_sel:DWORD
	v_mov_b32_e32 v49, 0xffff8000
	s_and_saveexec_b64 s[14:15], s[16:17]
	s_cbranch_execz .LBB924_254
; %bb.251:                              ;   in Loop: Header=BB924_213 Depth=1
	v_bfe_u32 v44, v34, 16, 7
	v_cmp_ne_u32_e32 vcc, s21, v44
	v_mov_b32_e32 v49, 0x7f80
	s_and_saveexec_b64 s[16:17], vcc
	s_cbranch_execz .LBB924_253
; %bb.252:                              ;   in Loop: Header=BB924_213 Depth=1
	v_and_b32_e32 v49, 7, v36
	v_ffbh_u32_e32 v50, v49
	v_min_u32_e32 v53, 32, v50
	v_subrev_u32_e32 v50, 28, v53
	v_lshlrev_b64 v[50:51], v50, v[36:37]
	v_lshrrev_b32_e32 v52, 3, v44
	v_sub_u32_e32 v51, 29, v53
	v_and_b32_e32 v50, 7, v50
	v_cmp_gt_u32_e32 vcc, 8, v44
	v_cndmask_b32_e32 v44, v52, v51, vcc
	v_cndmask_b32_e32 v49, v49, v50, vcc
	v_lshlrev_b32_e32 v36, 24, v36
	v_lshlrev_b32_e32 v49, 20, v49
	v_and_b32_e32 v36, 0x80000000, v36
	v_lshl_add_u32 v44, v44, 23, v45
	v_or3_b32 v36, v36, v44, v49
	v_lshrrev_b32_e32 v49, 16, v36
.LBB924_253:                            ;   in Loop: Header=BB924_213 Depth=1
	s_or_b64 exec, exec, s[16:17]
.LBB924_254:                            ;   in Loop: Header=BB924_213 Depth=1
	s_or_b64 exec, exec, s[14:15]
.LBB924_255:                            ;   in Loop: Header=BB924_213 Depth=1
	s_or_b64 exec, exec, s[12:13]
	v_cmp_lt_u32_e32 vcc, s22, v34
	v_mov_b32_e32 v44, 0
	v_mov_b32_e32 v50, 0
	s_and_saveexec_b64 s[12:13], vcc
	s_cbranch_execz .LBB924_261
; %bb.256:                              ;   in Loop: Header=BB924_213 Depth=1
	v_lshrrev_b32_e32 v36, 24, v34
	v_cmp_ne_u32_e32 vcc, s9, v36
	v_mov_b32_e32 v50, 0xffff8000
	s_and_saveexec_b64 s[14:15], vcc
	s_cbranch_execz .LBB924_260
; %bb.257:                              ;   in Loop: Header=BB924_213 Depth=1
	v_bfe_u32 v34, v34, 24, 7
	v_cmp_ne_u32_e32 vcc, s21, v34
	v_mov_b32_e32 v50, 0x7f80
	s_and_saveexec_b64 s[16:17], vcc
	s_cbranch_execz .LBB924_259
; %bb.258:                              ;   in Loop: Header=BB924_213 Depth=1
	v_and_b32_e32 v52, 7, v36
	v_ffbh_u32_e32 v50, v52
	v_min_u32_e32 v64, 32, v50
	v_subrev_u32_e32 v50, 28, v64
	v_lshlrev_b64 v[50:51], v50, v[36:37]
	v_lshrrev_b32_e32 v53, 3, v34
	v_sub_u32_e32 v51, 29, v64
	v_and_b32_e32 v50, 7, v50
	v_cmp_gt_u32_e32 vcc, 8, v34
	v_cndmask_b32_e32 v34, v53, v51, vcc
	v_cndmask_b32_e32 v50, v52, v50, vcc
	v_lshlrev_b32_e32 v36, 24, v36
	v_lshlrev_b32_e32 v50, 20, v50
	v_and_b32_e32 v36, 0x80000000, v36
	v_lshl_add_u32 v34, v34, 23, v45
	v_or3_b32 v34, v36, v34, v50
	v_lshrrev_b32_e32 v50, 16, v34
.LBB924_259:                            ;   in Loop: Header=BB924_213 Depth=1
	s_or_b64 exec, exec, s[16:17]
.LBB924_260:                            ;   in Loop: Header=BB924_213 Depth=1
	s_or_b64 exec, exec, s[14:15]
.LBB924_261:                            ;   in Loop: Header=BB924_213 Depth=1
	s_or_b64 exec, exec, s[12:13]
	v_perm_b32 v53, v48, v46, s23
	v_perm_b32 v52, v37, v35, s23
	;; [unrolled: 1-line block ×4, first 2 shown]
	s_waitcnt vmcnt(1)
	v_cmp_ne_u16_sdwa s[14:15], v40, v43 src0_sel:BYTE_0 src1_sel:DWORD
	v_mfma_f32_16x16x16bf16_1k v[34:37], v[52:53], v[2:3], 0
	v_mfma_f32_16x16x16bf16_1k v[34:37], v[48:49], v[4:5], v[34:37]
	s_and_saveexec_b64 s[12:13], s[14:15]
	s_cbranch_execz .LBB924_267
; %bb.262:                              ;   in Loop: Header=BB924_213 Depth=1
	v_cmp_ne_u16_sdwa s[16:17], v40, s9 src0_sel:BYTE_0 src1_sel:DWORD
	v_mov_b32_e32 v44, 0xffff8000
	s_and_saveexec_b64 s[14:15], s[16:17]
	s_cbranch_execz .LBB924_266
; %bb.263:                              ;   in Loop: Header=BB924_213 Depth=1
	v_and_b32_e32 v42, 0x7f, v40
	v_cmp_ne_u32_e32 vcc, s21, v42
	v_mov_b32_e32 v44, 0x7f80
	s_and_saveexec_b64 s[16:17], vcc
	s_cbranch_execz .LBB924_265
; %bb.264:                              ;   in Loop: Header=BB924_213 Depth=1
	v_and_b32_e32 v44, 7, v40
	v_ffbh_u32_e32 v46, v44
	v_min_u32_e32 v49, 32, v46
	v_subrev_u32_e32 v46, 28, v49
	v_lshlrev_b64 v[46:47], v46, v[40:41]
	v_lshrrev_b32_e32 v48, 3, v42
	v_sub_u32_e32 v47, 29, v49
	v_and_b32_e32 v46, 7, v46
	v_cmp_gt_u32_e32 vcc, 8, v42
	v_cndmask_b32_e32 v42, v48, v47, vcc
	v_cndmask_b32_e32 v44, v44, v46, vcc
	v_lshlrev_b32_e32 v46, 24, v40
	v_lshlrev_b32_e32 v44, 20, v44
	v_and_b32_e32 v46, 0x80000000, v46
	v_lshl_add_u32 v42, v42, 23, v45
	v_or3_b32 v42, v46, v42, v44
	v_lshrrev_b32_e32 v44, 16, v42
.LBB924_265:                            ;   in Loop: Header=BB924_213 Depth=1
	s_or_b64 exec, exec, s[16:17]
.LBB924_266:                            ;   in Loop: Header=BB924_213 Depth=1
	s_or_b64 exec, exec, s[14:15]
.LBB924_267:                            ;   in Loop: Header=BB924_213 Depth=1
	s_or_b64 exec, exec, s[12:13]
	v_lshrrev_b16_e32 v42, 8, v40
	v_cmp_ne_u16_e32 vcc, 0, v42
	v_mov_b32_e32 v48, 0
	v_mov_b32_e32 v46, 0
	s_and_saveexec_b64 s[12:13], vcc
	s_cbranch_execz .LBB924_273
; %bb.268:                              ;   in Loop: Header=BB924_213 Depth=1
	v_cmp_ne_u16_e32 vcc, s9, v42
	v_mov_b32_e32 v46, 0xffff8000
	s_and_saveexec_b64 s[14:15], vcc
	s_cbranch_execz .LBB924_272
; %bb.269:                              ;   in Loop: Header=BB924_213 Depth=1
	v_and_b32_e32 v47, 0x7f, v42
	v_cmp_ne_u32_e32 vcc, s21, v47
	v_mov_b32_e32 v46, 0x7f80
	s_and_saveexec_b64 s[16:17], vcc
	s_cbranch_execz .LBB924_271
; %bb.270:                              ;   in Loop: Header=BB924_213 Depth=1
	v_and_b32_e32 v46, 7, v42
	v_ffbh_u32_e32 v50, v46
	v_min_u32_e32 v52, 32, v50
	v_subrev_u32_e32 v50, 28, v52
	v_lshlrev_b64 v[50:51], v50, v[42:43]
	v_lshrrev_b32_e32 v49, 3, v47
	v_sub_u32_e32 v42, 29, v52
	v_and_b32_e32 v50, 7, v50
	v_cmp_gt_u32_e32 vcc, 8, v47
	v_cndmask_b32_e32 v42, v49, v42, vcc
	v_cndmask_b32_e32 v46, v46, v50, vcc
	v_lshlrev_b32_e32 v47, 16, v40
	v_lshlrev_b32_e32 v46, 20, v46
	v_and_b32_e32 v47, 0x80000000, v47
	v_lshl_add_u32 v42, v42, 23, v45
	v_or3_b32 v42, v47, v42, v46
	v_lshrrev_b32_e32 v46, 16, v42
.LBB924_271:                            ;   in Loop: Header=BB924_213 Depth=1
	s_or_b64 exec, exec, s[16:17]
.LBB924_272:                            ;   in Loop: Header=BB924_213 Depth=1
	s_or_b64 exec, exec, s[14:15]
.LBB924_273:                            ;   in Loop: Header=BB924_213 Depth=1
	s_or_b64 exec, exec, s[12:13]
	v_lshrrev_b32_e32 v42, 16, v40
	v_cmp_ne_u16_sdwa s[14:15], v42, v43 src0_sel:BYTE_0 src1_sel:DWORD
	s_and_saveexec_b64 s[12:13], s[14:15]
	s_cbranch_execz .LBB924_279
; %bb.274:                              ;   in Loop: Header=BB924_213 Depth=1
	v_cmp_ne_u16_sdwa s[16:17], v42, s9 src0_sel:BYTE_0 src1_sel:DWORD
	v_mov_b32_e32 v48, 0xffff8000
	s_and_saveexec_b64 s[14:15], s[16:17]
	s_cbranch_execz .LBB924_278
; %bb.275:                              ;   in Loop: Header=BB924_213 Depth=1
	v_bfe_u32 v47, v40, 16, 7
	v_cmp_ne_u32_e32 vcc, s21, v47
	v_mov_b32_e32 v48, 0x7f80
	s_and_saveexec_b64 s[16:17], vcc
	s_cbranch_execz .LBB924_277
; %bb.276:                              ;   in Loop: Header=BB924_213 Depth=1
	v_and_b32_e32 v50, 7, v42
	v_ffbh_u32_e32 v48, v50
	v_min_u32_e32 v52, 32, v48
	v_subrev_u32_e32 v48, 28, v52
	v_lshlrev_b64 v[48:49], v48, v[42:43]
	v_lshrrev_b32_e32 v51, 3, v47
	v_sub_u32_e32 v49, 29, v52
	v_and_b32_e32 v48, 7, v48
	v_cmp_gt_u32_e32 vcc, 8, v47
	v_cndmask_b32_e32 v47, v51, v49, vcc
	v_cndmask_b32_e32 v48, v50, v48, vcc
	v_lshlrev_b32_e32 v42, 24, v42
	v_lshlrev_b32_e32 v48, 20, v48
	v_and_b32_e32 v42, 0x80000000, v42
	v_lshl_add_u32 v47, v47, 23, v45
	v_or3_b32 v42, v42, v47, v48
	v_lshrrev_b32_e32 v48, 16, v42
.LBB924_277:                            ;   in Loop: Header=BB924_213 Depth=1
	s_or_b64 exec, exec, s[16:17]
.LBB924_278:                            ;   in Loop: Header=BB924_213 Depth=1
	s_or_b64 exec, exec, s[14:15]
.LBB924_279:                            ;   in Loop: Header=BB924_213 Depth=1
	s_or_b64 exec, exec, s[12:13]
	v_cmp_lt_u32_e32 vcc, s22, v40
	v_mov_b32_e32 v49, 0
	v_mov_b32_e32 v50, 0
	s_and_saveexec_b64 s[12:13], vcc
	s_cbranch_execz .LBB924_285
; %bb.280:                              ;   in Loop: Header=BB924_213 Depth=1
	v_lshrrev_b32_e32 v42, 24, v40
	v_cmp_ne_u32_e32 vcc, s9, v42
	v_mov_b32_e32 v50, 0xffff8000
	s_and_saveexec_b64 s[14:15], vcc
	s_cbranch_execz .LBB924_284
; %bb.281:                              ;   in Loop: Header=BB924_213 Depth=1
	v_bfe_u32 v40, v40, 24, 7
	v_cmp_ne_u32_e32 vcc, s21, v40
	v_mov_b32_e32 v50, 0x7f80
	s_and_saveexec_b64 s[16:17], vcc
	s_cbranch_execz .LBB924_283
; %bb.282:                              ;   in Loop: Header=BB924_213 Depth=1
	v_and_b32_e32 v47, 7, v42
	v_ffbh_u32_e32 v50, v47
	v_min_u32_e32 v53, 32, v50
	v_subrev_u32_e32 v50, 28, v53
	v_lshlrev_b64 v[50:51], v50, v[42:43]
	v_lshrrev_b32_e32 v52, 3, v40
	v_sub_u32_e32 v51, 29, v53
	v_and_b32_e32 v50, 7, v50
	v_cmp_gt_u32_e32 vcc, 8, v40
	v_cndmask_b32_e32 v40, v52, v51, vcc
	v_cndmask_b32_e32 v47, v47, v50, vcc
	v_lshlrev_b32_e32 v42, 24, v42
	v_lshlrev_b32_e32 v47, 20, v47
	v_and_b32_e32 v42, 0x80000000, v42
	v_lshl_add_u32 v40, v40, 23, v45
	v_or3_b32 v40, v42, v40, v47
	v_lshrrev_b32_e32 v50, 16, v40
.LBB924_283:                            ;   in Loop: Header=BB924_213 Depth=1
	s_or_b64 exec, exec, s[16:17]
.LBB924_284:                            ;   in Loop: Header=BB924_213 Depth=1
	s_or_b64 exec, exec, s[14:15]
.LBB924_285:                            ;   in Loop: Header=BB924_213 Depth=1
	s_or_b64 exec, exec, s[12:13]
	s_waitcnt vmcnt(0)
	v_cmp_ne_u16_sdwa s[14:15], v38, v43 src0_sel:BYTE_0 src1_sel:DWORD
	s_and_saveexec_b64 s[12:13], s[14:15]
	s_cbranch_execz .LBB924_291
; %bb.286:                              ;   in Loop: Header=BB924_213 Depth=1
	v_cmp_ne_u16_sdwa s[16:17], v38, s9 src0_sel:BYTE_0 src1_sel:DWORD
	v_mov_b32_e32 v49, 0xffff8000
	s_and_saveexec_b64 s[14:15], s[16:17]
	s_cbranch_execz .LBB924_290
; %bb.287:                              ;   in Loop: Header=BB924_213 Depth=1
	v_and_b32_e32 v40, 0x7f, v38
	v_cmp_ne_u32_e32 vcc, s21, v40
	v_mov_b32_e32 v49, 0x7f80
	s_and_saveexec_b64 s[16:17], vcc
	s_cbranch_execz .LBB924_289
; %bb.288:                              ;   in Loop: Header=BB924_213 Depth=1
	v_and_b32_e32 v42, 7, v38
	v_ffbh_u32_e32 v49, v42
	v_min_u32_e32 v49, 32, v49
	v_subrev_u32_e32 v51, 28, v49
	v_lshlrev_b64 v[52:53], v51, v[38:39]
	v_lshrrev_b32_e32 v47, 3, v40
	v_sub_u32_e32 v49, 29, v49
	v_and_b32_e32 v51, 7, v52
	v_cmp_gt_u32_e32 vcc, 8, v40
	v_cndmask_b32_e32 v40, v47, v49, vcc
	v_cndmask_b32_e32 v42, v42, v51, vcc
	v_lshlrev_b32_e32 v47, 24, v38
	v_lshlrev_b32_e32 v42, 20, v42
	v_and_b32_e32 v47, 0x80000000, v47
	v_lshl_add_u32 v40, v40, 23, v45
	v_or3_b32 v40, v47, v40, v42
	v_lshrrev_b32_e32 v49, 16, v40
.LBB924_289:                            ;   in Loop: Header=BB924_213 Depth=1
	s_or_b64 exec, exec, s[16:17]
.LBB924_290:                            ;   in Loop: Header=BB924_213 Depth=1
	s_or_b64 exec, exec, s[14:15]
.LBB924_291:                            ;   in Loop: Header=BB924_213 Depth=1
	s_or_b64 exec, exec, s[12:13]
	v_lshrrev_b16_e32 v40, 8, v38
	v_cmp_ne_u16_e32 vcc, 0, v40
	v_mov_b32_e32 v52, 0
	v_mov_b32_e32 v51, 0
	s_and_saveexec_b64 s[12:13], vcc
	s_cbranch_execz .LBB924_297
; %bb.292:                              ;   in Loop: Header=BB924_213 Depth=1
	v_cmp_ne_u16_e32 vcc, s9, v40
	v_mov_b32_e32 v51, 0xffff8000
	s_and_saveexec_b64 s[14:15], vcc
	s_cbranch_execz .LBB924_296
; %bb.293:                              ;   in Loop: Header=BB924_213 Depth=1
	v_and_b32_e32 v42, 0x7f, v40
	v_cmp_ne_u32_e32 vcc, s21, v42
	v_mov_b32_e32 v51, 0x7f80
	s_and_saveexec_b64 s[16:17], vcc
	s_cbranch_execz .LBB924_295
; %bb.294:                              ;   in Loop: Header=BB924_213 Depth=1
	v_and_b32_e32 v47, 7, v40
	v_ffbh_u32_e32 v53, v47
	v_min_u32_e32 v53, 32, v53
	v_subrev_u32_e32 v64, 28, v53
	v_lshlrev_b64 v[64:65], v64, v[40:41]
	v_lshrrev_b32_e32 v51, 3, v42
	v_sub_u32_e32 v40, 29, v53
	v_and_b32_e32 v53, 7, v64
	v_cmp_gt_u32_e32 vcc, 8, v42
	v_cndmask_b32_e32 v40, v51, v40, vcc
	v_cndmask_b32_e32 v42, v47, v53, vcc
	v_lshlrev_b32_e32 v47, 16, v38
	v_lshlrev_b32_e32 v42, 20, v42
	v_and_b32_e32 v47, 0x80000000, v47
	v_lshl_add_u32 v40, v40, 23, v45
	v_or3_b32 v40, v47, v40, v42
	v_lshrrev_b32_e32 v51, 16, v40
.LBB924_295:                            ;   in Loop: Header=BB924_213 Depth=1
	s_or_b64 exec, exec, s[16:17]
.LBB924_296:                            ;   in Loop: Header=BB924_213 Depth=1
	s_or_b64 exec, exec, s[14:15]
.LBB924_297:                            ;   in Loop: Header=BB924_213 Depth=1
	s_or_b64 exec, exec, s[12:13]
	v_lshrrev_b32_e32 v40, 16, v38
	v_cmp_ne_u16_sdwa s[14:15], v40, v43 src0_sel:BYTE_0 src1_sel:DWORD
	s_and_saveexec_b64 s[12:13], s[14:15]
	s_cbranch_execz .LBB924_303
; %bb.298:                              ;   in Loop: Header=BB924_213 Depth=1
	v_cmp_ne_u16_sdwa s[16:17], v40, s9 src0_sel:BYTE_0 src1_sel:DWORD
	v_mov_b32_e32 v52, 0xffff8000
	s_and_saveexec_b64 s[14:15], s[16:17]
	s_cbranch_execz .LBB924_302
; %bb.299:                              ;   in Loop: Header=BB924_213 Depth=1
	v_bfe_u32 v42, v38, 16, 7
	v_cmp_ne_u32_e32 vcc, s21, v42
	v_mov_b32_e32 v52, 0x7f80
	s_and_saveexec_b64 s[16:17], vcc
	s_cbranch_execz .LBB924_301
; %bb.300:                              ;   in Loop: Header=BB924_213 Depth=1
	v_and_b32_e32 v47, 7, v40
	v_ffbh_u32_e32 v52, v47
	v_min_u32_e32 v65, 32, v52
	v_subrev_u32_e32 v52, 28, v65
	v_lshlrev_b64 v[52:53], v52, v[40:41]
	v_lshrrev_b32_e32 v64, 3, v42
	v_sub_u32_e32 v53, 29, v65
	v_and_b32_e32 v52, 7, v52
	v_cmp_gt_u32_e32 vcc, 8, v42
	v_cndmask_b32_e32 v42, v64, v53, vcc
	v_cndmask_b32_e32 v47, v47, v52, vcc
	v_lshlrev_b32_e32 v40, 24, v40
	v_lshlrev_b32_e32 v47, 20, v47
	v_and_b32_e32 v40, 0x80000000, v40
	v_lshl_add_u32 v42, v42, 23, v45
	v_or3_b32 v40, v40, v42, v47
	v_lshrrev_b32_e32 v52, 16, v40
.LBB924_301:                            ;   in Loop: Header=BB924_213 Depth=1
	s_or_b64 exec, exec, s[16:17]
.LBB924_302:                            ;   in Loop: Header=BB924_213 Depth=1
	s_or_b64 exec, exec, s[14:15]
.LBB924_303:                            ;   in Loop: Header=BB924_213 Depth=1
	s_or_b64 exec, exec, s[12:13]
	v_cmp_lt_u32_e32 vcc, s22, v38
	v_mov_b32_e32 v47, 0
	v_mov_b32_e32 v53, 0
	s_and_saveexec_b64 s[12:13], vcc
	s_cbranch_execz .LBB924_309
; %bb.304:                              ;   in Loop: Header=BB924_213 Depth=1
	v_lshrrev_b32_e32 v40, 24, v38
	v_cmp_ne_u32_e32 vcc, s9, v40
	v_mov_b32_e32 v53, 0xffff8000
	s_and_saveexec_b64 s[14:15], vcc
	s_cbranch_execz .LBB924_308
; %bb.305:                              ;   in Loop: Header=BB924_213 Depth=1
	v_bfe_u32 v38, v38, 24, 7
	v_cmp_ne_u32_e32 vcc, s21, v38
	v_mov_b32_e32 v53, 0x7f80
	s_and_saveexec_b64 s[16:17], vcc
	s_cbranch_execz .LBB924_307
; %bb.306:                              ;   in Loop: Header=BB924_213 Depth=1
	v_and_b32_e32 v42, 7, v40
	v_ffbh_u32_e32 v64, v42
	v_min_u32_e32 v66, 32, v64
	v_subrev_u32_e32 v64, 28, v66
	v_lshlrev_b64 v[64:65], v64, v[40:41]
	v_lshrrev_b32_e32 v53, 3, v38
	v_sub_u32_e32 v65, 29, v66
	v_and_b32_e32 v64, 7, v64
	v_cmp_gt_u32_e32 vcc, 8, v38
	v_cndmask_b32_e32 v38, v53, v65, vcc
	v_cndmask_b32_e32 v42, v42, v64, vcc
	v_lshlrev_b32_e32 v40, 24, v40
	v_lshlrev_b32_e32 v42, 20, v42
	v_and_b32_e32 v40, 0x80000000, v40
	v_lshl_add_u32 v38, v38, 23, v45
	v_or3_b32 v38, v40, v38, v42
	v_lshrrev_b32_e32 v53, 16, v38
.LBB924_307:                            ;   in Loop: Header=BB924_213 Depth=1
	s_or_b64 exec, exec, s[16:17]
.LBB924_308:                            ;   in Loop: Header=BB924_213 Depth=1
	s_or_b64 exec, exec, s[14:15]
.LBB924_309:                            ;   in Loop: Header=BB924_213 Depth=1
	s_or_b64 exec, exec, s[12:13]
	v_perm_b32 v64, v46, v44, s23
	buffer_load_dword v44, v63, s[0:3], 0 offen
	buffer_load_dword v42, v63, s[0:3], 0 offen offset:4
	buffer_load_dword v40, v63, s[0:3], 0 offen offset:8
	;; [unrolled: 1-line block ×3, first 2 shown]
	v_perm_b32 v65, v50, v48, s23
	v_perm_b32 v53, v53, v52, s23
	;; [unrolled: 1-line block ×3, first 2 shown]
	v_mfma_f32_16x16x16bf16_1k v[34:37], v[64:65], v[6:7], v[34:37]
	s_waitcnt vmcnt(3)
	v_cmp_ne_u16_sdwa s[14:15], v44, v43 src0_sel:BYTE_0 src1_sel:DWORD
	v_mfma_f32_16x16x16bf16_1k v[34:37], v[52:53], v[8:9], v[34:37]
	s_and_saveexec_b64 s[12:13], s[14:15]
	s_cbranch_execz .LBB924_315
; %bb.310:                              ;   in Loop: Header=BB924_213 Depth=1
	v_cmp_ne_u16_sdwa s[16:17], v44, s9 src0_sel:BYTE_0 src1_sel:DWORD
	v_mov_b32_e32 v47, 0xffff8000
	s_and_saveexec_b64 s[14:15], s[16:17]
	s_cbranch_execz .LBB924_314
; %bb.311:                              ;   in Loop: Header=BB924_213 Depth=1
	v_and_b32_e32 v46, 0x7f, v44
	v_cmp_ne_u32_e32 vcc, s21, v46
	v_mov_b32_e32 v47, 0x7f80
	s_and_saveexec_b64 s[16:17], vcc
	s_cbranch_execz .LBB924_313
; %bb.312:                              ;   in Loop: Header=BB924_213 Depth=1
	v_and_b32_e32 v47, 7, v44
	v_ffbh_u32_e32 v48, v47
	v_min_u32_e32 v51, 32, v48
	v_subrev_u32_e32 v48, 28, v51
	v_lshlrev_b64 v[48:49], v48, v[44:45]
	v_lshrrev_b32_e32 v50, 3, v46
	v_sub_u32_e32 v49, 29, v51
	v_and_b32_e32 v48, 7, v48
	v_cmp_gt_u32_e32 vcc, 8, v46
	v_cndmask_b32_e32 v46, v50, v49, vcc
	v_cndmask_b32_e32 v47, v47, v48, vcc
	v_lshlrev_b32_e32 v48, 24, v44
	v_lshlrev_b32_e32 v47, 20, v47
	v_and_b32_e32 v48, 0x80000000, v48
	v_lshl_add_u32 v46, v46, 23, v45
	v_or3_b32 v46, v48, v46, v47
	v_lshrrev_b32_e32 v47, 16, v46
.LBB924_313:                            ;   in Loop: Header=BB924_213 Depth=1
	s_or_b64 exec, exec, s[16:17]
.LBB924_314:                            ;   in Loop: Header=BB924_213 Depth=1
	s_or_b64 exec, exec, s[14:15]
.LBB924_315:                            ;   in Loop: Header=BB924_213 Depth=1
	s_or_b64 exec, exec, s[12:13]
	v_lshrrev_b16_e32 v46, 8, v44
	v_cmp_ne_u16_e32 vcc, 0, v46
	v_mov_b32_e32 v49, 0
	v_mov_b32_e32 v48, 0
	s_and_saveexec_b64 s[12:13], vcc
	s_cbranch_execz .LBB924_321
; %bb.316:                              ;   in Loop: Header=BB924_213 Depth=1
	v_cmp_ne_u16_e32 vcc, s9, v46
	v_mov_b32_e32 v48, 0xffff8000
	s_and_saveexec_b64 s[14:15], vcc
	s_cbranch_execz .LBB924_320
; %bb.317:                              ;   in Loop: Header=BB924_213 Depth=1
	v_and_b32_e32 v50, 0x7f, v46
	v_cmp_ne_u32_e32 vcc, s21, v50
	v_mov_b32_e32 v48, 0x7f80
	s_and_saveexec_b64 s[16:17], vcc
	s_cbranch_execz .LBB924_319
; %bb.318:                              ;   in Loop: Header=BB924_213 Depth=1
	v_and_b32_e32 v48, 7, v46
	v_ffbh_u32_e32 v52, v48
	v_min_u32_e32 v63, 32, v52
	v_subrev_u32_e32 v52, 28, v63
	v_lshlrev_b64 v[52:53], v52, v[46:47]
	v_lshrrev_b32_e32 v51, 3, v50
	v_sub_u32_e32 v46, 29, v63
	v_and_b32_e32 v52, 7, v52
	v_cmp_gt_u32_e32 vcc, 8, v50
	v_cndmask_b32_e32 v46, v51, v46, vcc
	v_cndmask_b32_e32 v48, v48, v52, vcc
	v_lshlrev_b32_e32 v50, 16, v44
	v_lshlrev_b32_e32 v48, 20, v48
	v_and_b32_e32 v50, 0x80000000, v50
	v_lshl_add_u32 v46, v46, 23, v45
	v_or3_b32 v46, v50, v46, v48
	v_lshrrev_b32_e32 v48, 16, v46
.LBB924_319:                            ;   in Loop: Header=BB924_213 Depth=1
	s_or_b64 exec, exec, s[16:17]
.LBB924_320:                            ;   in Loop: Header=BB924_213 Depth=1
	s_or_b64 exec, exec, s[14:15]
.LBB924_321:                            ;   in Loop: Header=BB924_213 Depth=1
	s_or_b64 exec, exec, s[12:13]
	v_lshrrev_b32_e32 v46, 16, v44
	v_cmp_ne_u16_sdwa s[14:15], v46, v43 src0_sel:BYTE_0 src1_sel:DWORD
	s_and_saveexec_b64 s[12:13], s[14:15]
	s_cbranch_execz .LBB924_327
; %bb.322:                              ;   in Loop: Header=BB924_213 Depth=1
	v_cmp_ne_u16_sdwa s[16:17], v46, s9 src0_sel:BYTE_0 src1_sel:DWORD
	v_mov_b32_e32 v49, 0xffff8000
	s_and_saveexec_b64 s[14:15], s[16:17]
	s_cbranch_execz .LBB924_326
; %bb.323:                              ;   in Loop: Header=BB924_213 Depth=1
	v_bfe_u32 v50, v44, 16, 7
	v_cmp_ne_u32_e32 vcc, s21, v50
	v_mov_b32_e32 v49, 0x7f80
	s_and_saveexec_b64 s[16:17], vcc
	s_cbranch_execz .LBB924_325
; %bb.324:                              ;   in Loop: Header=BB924_213 Depth=1
	v_and_b32_e32 v49, 7, v46
	v_ffbh_u32_e32 v52, v49
	v_min_u32_e32 v63, 32, v52
	v_subrev_u32_e32 v52, 28, v63
	v_lshlrev_b64 v[52:53], v52, v[46:47]
	v_lshrrev_b32_e32 v51, 3, v50
	v_sub_u32_e32 v53, 29, v63
	v_and_b32_e32 v52, 7, v52
	v_cmp_gt_u32_e32 vcc, 8, v50
	v_cndmask_b32_e32 v50, v51, v53, vcc
	v_cndmask_b32_e32 v49, v49, v52, vcc
	v_lshlrev_b32_e32 v46, 24, v46
	v_lshlrev_b32_e32 v49, 20, v49
	v_and_b32_e32 v46, 0x80000000, v46
	v_lshl_add_u32 v50, v50, 23, v45
	v_or3_b32 v46, v46, v50, v49
	v_lshrrev_b32_e32 v49, 16, v46
.LBB924_325:                            ;   in Loop: Header=BB924_213 Depth=1
	s_or_b64 exec, exec, s[16:17]
.LBB924_326:                            ;   in Loop: Header=BB924_213 Depth=1
	s_or_b64 exec, exec, s[14:15]
.LBB924_327:                            ;   in Loop: Header=BB924_213 Depth=1
	s_or_b64 exec, exec, s[12:13]
	v_cmp_lt_u32_e32 vcc, s22, v44
	v_mov_b32_e32 v50, 0
	v_mov_b32_e32 v51, 0
	s_and_saveexec_b64 s[12:13], vcc
	s_cbranch_execz .LBB924_333
; %bb.328:                              ;   in Loop: Header=BB924_213 Depth=1
	v_lshrrev_b32_e32 v46, 24, v44
	v_cmp_ne_u32_e32 vcc, s9, v46
	v_mov_b32_e32 v51, 0xffff8000
	s_and_saveexec_b64 s[14:15], vcc
	s_cbranch_execz .LBB924_332
; %bb.329:                              ;   in Loop: Header=BB924_213 Depth=1
	v_bfe_u32 v44, v44, 24, 7
	v_cmp_ne_u32_e32 vcc, s21, v44
	v_mov_b32_e32 v51, 0x7f80
	s_and_saveexec_b64 s[16:17], vcc
	s_cbranch_execz .LBB924_331
; %bb.330:                              ;   in Loop: Header=BB924_213 Depth=1
	v_and_b32_e32 v51, 7, v46
	v_ffbh_u32_e32 v52, v51
	v_min_u32_e32 v64, 32, v52
	v_subrev_u32_e32 v52, 28, v64
	v_lshlrev_b64 v[52:53], v52, v[46:47]
	v_lshrrev_b32_e32 v63, 3, v44
	v_sub_u32_e32 v53, 29, v64
	v_and_b32_e32 v52, 7, v52
	v_cmp_gt_u32_e32 vcc, 8, v44
	v_cndmask_b32_e32 v44, v63, v53, vcc
	v_cndmask_b32_e32 v51, v51, v52, vcc
	v_lshlrev_b32_e32 v46, 24, v46
	v_lshlrev_b32_e32 v51, 20, v51
	v_and_b32_e32 v46, 0x80000000, v46
	v_lshl_add_u32 v44, v44, 23, v45
	v_or3_b32 v44, v46, v44, v51
	v_lshrrev_b32_e32 v51, 16, v44
.LBB924_331:                            ;   in Loop: Header=BB924_213 Depth=1
	s_or_b64 exec, exec, s[16:17]
.LBB924_332:                            ;   in Loop: Header=BB924_213 Depth=1
	s_or_b64 exec, exec, s[14:15]
.LBB924_333:                            ;   in Loop: Header=BB924_213 Depth=1
	s_or_b64 exec, exec, s[12:13]
	s_waitcnt vmcnt(2)
	v_cmp_ne_u16_sdwa s[14:15], v42, v43 src0_sel:BYTE_0 src1_sel:DWORD
	s_and_saveexec_b64 s[12:13], s[14:15]
	s_cbranch_execz .LBB924_339
; %bb.334:                              ;   in Loop: Header=BB924_213 Depth=1
	v_cmp_ne_u16_sdwa s[16:17], v42, s9 src0_sel:BYTE_0 src1_sel:DWORD
	v_mov_b32_e32 v50, 0xffff8000
	s_and_saveexec_b64 s[14:15], s[16:17]
	s_cbranch_execz .LBB924_338
; %bb.335:                              ;   in Loop: Header=BB924_213 Depth=1
	v_and_b32_e32 v44, 0x7f, v42
	v_cmp_ne_u32_e32 vcc, s21, v44
	v_mov_b32_e32 v50, 0x7f80
	s_and_saveexec_b64 s[16:17], vcc
	s_cbranch_execz .LBB924_337
; %bb.336:                              ;   in Loop: Header=BB924_213 Depth=1
	v_and_b32_e32 v46, 7, v42
	v_ffbh_u32_e32 v52, v46
	v_min_u32_e32 v63, 32, v52
	v_subrev_u32_e32 v52, 28, v63
	v_lshlrev_b64 v[52:53], v52, v[42:43]
	v_lshrrev_b32_e32 v50, 3, v44
	v_sub_u32_e32 v53, 29, v63
	v_and_b32_e32 v52, 7, v52
	v_cmp_gt_u32_e32 vcc, 8, v44
	v_cndmask_b32_e32 v44, v50, v53, vcc
	v_cndmask_b32_e32 v46, v46, v52, vcc
	v_lshlrev_b32_e32 v50, 24, v42
	v_lshlrev_b32_e32 v46, 20, v46
	v_and_b32_e32 v50, 0x80000000, v50
	v_lshl_add_u32 v44, v44, 23, v45
	v_or3_b32 v44, v50, v44, v46
	v_lshrrev_b32_e32 v50, 16, v44
.LBB924_337:                            ;   in Loop: Header=BB924_213 Depth=1
	s_or_b64 exec, exec, s[16:17]
.LBB924_338:                            ;   in Loop: Header=BB924_213 Depth=1
	s_or_b64 exec, exec, s[14:15]
.LBB924_339:                            ;   in Loop: Header=BB924_213 Depth=1
	s_or_b64 exec, exec, s[12:13]
	v_lshrrev_b16_e32 v44, 8, v42
	v_cmp_ne_u16_e32 vcc, 0, v44
	v_mov_b32_e32 v53, 0
	v_mov_b32_e32 v52, 0
	s_and_saveexec_b64 s[12:13], vcc
	s_cbranch_execz .LBB924_345
; %bb.340:                              ;   in Loop: Header=BB924_213 Depth=1
	v_cmp_ne_u16_e32 vcc, s9, v44
	v_mov_b32_e32 v52, 0xffff8000
	s_and_saveexec_b64 s[14:15], vcc
	s_cbranch_execz .LBB924_344
; %bb.341:                              ;   in Loop: Header=BB924_213 Depth=1
	v_and_b32_e32 v46, 0x7f, v44
	v_cmp_ne_u32_e32 vcc, s21, v46
	v_mov_b32_e32 v52, 0x7f80
	s_and_saveexec_b64 s[16:17], vcc
	s_cbranch_execz .LBB924_343
; %bb.342:                              ;   in Loop: Header=BB924_213 Depth=1
	v_and_b32_e32 v52, 7, v44
	v_ffbh_u32_e32 v64, v52
	v_min_u32_e32 v66, 32, v64
	v_subrev_u32_e32 v64, 28, v66
	v_lshlrev_b64 v[64:65], v64, v[44:45]
	v_lshrrev_b32_e32 v63, 3, v46
	v_sub_u32_e32 v44, 29, v66
	v_and_b32_e32 v64, 7, v64
	v_cmp_gt_u32_e32 vcc, 8, v46
	v_cndmask_b32_e32 v44, v63, v44, vcc
	v_cndmask_b32_e32 v46, v52, v64, vcc
	v_lshlrev_b32_e32 v52, 16, v42
	v_lshlrev_b32_e32 v46, 20, v46
	v_and_b32_e32 v52, 0x80000000, v52
	v_lshl_add_u32 v44, v44, 23, v45
	v_or3_b32 v44, v52, v44, v46
	v_lshrrev_b32_e32 v52, 16, v44
.LBB924_343:                            ;   in Loop: Header=BB924_213 Depth=1
	s_or_b64 exec, exec, s[16:17]
.LBB924_344:                            ;   in Loop: Header=BB924_213 Depth=1
	s_or_b64 exec, exec, s[14:15]
.LBB924_345:                            ;   in Loop: Header=BB924_213 Depth=1
	s_or_b64 exec, exec, s[12:13]
	v_lshrrev_b32_e32 v44, 16, v42
	v_cmp_ne_u16_sdwa s[14:15], v44, v43 src0_sel:BYTE_0 src1_sel:DWORD
	s_and_saveexec_b64 s[12:13], s[14:15]
	s_cbranch_execz .LBB924_351
; %bb.346:                              ;   in Loop: Header=BB924_213 Depth=1
	v_cmp_ne_u16_sdwa s[16:17], v44, s9 src0_sel:BYTE_0 src1_sel:DWORD
	v_mov_b32_e32 v53, 0xffff8000
	s_and_saveexec_b64 s[14:15], s[16:17]
	s_cbranch_execz .LBB924_350
; %bb.347:                              ;   in Loop: Header=BB924_213 Depth=1
	v_bfe_u32 v46, v42, 16, 7
	v_cmp_ne_u32_e32 vcc, s21, v46
	v_mov_b32_e32 v53, 0x7f80
	s_and_saveexec_b64 s[16:17], vcc
	s_cbranch_execz .LBB924_349
; %bb.348:                              ;   in Loop: Header=BB924_213 Depth=1
	v_and_b32_e32 v53, 7, v44
	v_ffbh_u32_e32 v64, v53
	v_min_u32_e32 v66, 32, v64
	v_subrev_u32_e32 v64, 28, v66
	v_lshlrev_b64 v[64:65], v64, v[44:45]
	v_lshrrev_b32_e32 v63, 3, v46
	v_sub_u32_e32 v65, 29, v66
	v_and_b32_e32 v64, 7, v64
	v_cmp_gt_u32_e32 vcc, 8, v46
	v_cndmask_b32_e32 v46, v63, v65, vcc
	v_cndmask_b32_e32 v53, v53, v64, vcc
	v_lshlrev_b32_e32 v44, 24, v44
	v_lshlrev_b32_e32 v53, 20, v53
	v_and_b32_e32 v44, 0x80000000, v44
	v_lshl_add_u32 v46, v46, 23, v45
	v_or3_b32 v44, v44, v46, v53
	v_lshrrev_b32_e32 v53, 16, v44
.LBB924_349:                            ;   in Loop: Header=BB924_213 Depth=1
	s_or_b64 exec, exec, s[16:17]
.LBB924_350:                            ;   in Loop: Header=BB924_213 Depth=1
	s_or_b64 exec, exec, s[14:15]
.LBB924_351:                            ;   in Loop: Header=BB924_213 Depth=1
	s_or_b64 exec, exec, s[12:13]
	v_cmp_lt_u32_e32 vcc, s22, v42
	v_mov_b32_e32 v46, 0
	v_mov_b32_e32 v63, 0
	s_and_saveexec_b64 s[12:13], vcc
	s_cbranch_execz .LBB924_357
; %bb.352:                              ;   in Loop: Header=BB924_213 Depth=1
	v_lshrrev_b32_e32 v44, 24, v42
	v_cmp_ne_u32_e32 vcc, s9, v44
	v_mov_b32_e32 v63, 0xffff8000
	s_and_saveexec_b64 s[14:15], vcc
	s_cbranch_execz .LBB924_356
; %bb.353:                              ;   in Loop: Header=BB924_213 Depth=1
	v_bfe_u32 v42, v42, 24, 7
	v_cmp_ne_u32_e32 vcc, s21, v42
	v_mov_b32_e32 v63, 0x7f80
	s_and_saveexec_b64 s[16:17], vcc
	s_cbranch_execz .LBB924_355
; %bb.354:                              ;   in Loop: Header=BB924_213 Depth=1
	v_and_b32_e32 v63, 7, v44
	v_ffbh_u32_e32 v64, v63
	v_min_u32_e32 v67, 32, v64
	v_subrev_u32_e32 v64, 28, v67
	v_lshlrev_b64 v[64:65], v64, v[44:45]
	v_lshrrev_b32_e32 v66, 3, v42
	v_sub_u32_e32 v65, 29, v67
	v_and_b32_e32 v64, 7, v64
	v_cmp_gt_u32_e32 vcc, 8, v42
	v_cndmask_b32_e32 v42, v66, v65, vcc
	v_cndmask_b32_e32 v63, v63, v64, vcc
	v_lshlrev_b32_e32 v44, 24, v44
	v_lshlrev_b32_e32 v63, 20, v63
	v_and_b32_e32 v44, 0x80000000, v44
	v_lshl_add_u32 v42, v42, 23, v45
	v_or3_b32 v42, v44, v42, v63
	v_lshrrev_b32_e32 v63, 16, v42
.LBB924_355:                            ;   in Loop: Header=BB924_213 Depth=1
	s_or_b64 exec, exec, s[16:17]
.LBB924_356:                            ;   in Loop: Header=BB924_213 Depth=1
	s_or_b64 exec, exec, s[14:15]
.LBB924_357:                            ;   in Loop: Header=BB924_213 Depth=1
	s_or_b64 exec, exec, s[12:13]
	v_perm_b32 v49, v51, v49, s23
	v_perm_b32 v48, v48, v47, s23
	s_waitcnt vmcnt(1)
	v_cmp_ne_u16_sdwa s[14:15], v40, v43 src0_sel:BYTE_0 src1_sel:DWORD
	v_mfma_f32_16x16x16bf16_1k v[34:37], v[48:49], v[10:11], v[34:37]
	v_perm_b32 v49, v63, v53, s23
	v_perm_b32 v48, v52, v50, s23
	s_nop 1
	v_mfma_f32_16x16x16bf16_1k v[34:37], v[48:49], v[12:13], v[34:37]
	s_and_saveexec_b64 s[12:13], s[14:15]
	s_cbranch_execz .LBB924_363
; %bb.358:                              ;   in Loop: Header=BB924_213 Depth=1
	v_cmp_ne_u16_sdwa s[16:17], v40, s9 src0_sel:BYTE_0 src1_sel:DWORD
	v_mov_b32_e32 v46, 0xffff8000
	s_and_saveexec_b64 s[14:15], s[16:17]
	s_cbranch_execz .LBB924_362
; %bb.359:                              ;   in Loop: Header=BB924_213 Depth=1
	v_and_b32_e32 v42, 0x7f, v40
	v_cmp_ne_u32_e32 vcc, s21, v42
	v_mov_b32_e32 v46, 0x7f80
	s_and_saveexec_b64 s[16:17], vcc
	s_cbranch_execz .LBB924_361
; %bb.360:                              ;   in Loop: Header=BB924_213 Depth=1
	v_and_b32_e32 v44, 7, v40
	v_ffbh_u32_e32 v46, v44
	v_min_u32_e32 v49, 32, v46
	v_subrev_u32_e32 v46, 28, v49
	v_lshlrev_b64 v[46:47], v46, v[40:41]
	v_lshrrev_b32_e32 v48, 3, v42
	v_sub_u32_e32 v47, 29, v49
	v_and_b32_e32 v46, 7, v46
	v_cmp_gt_u32_e32 vcc, 8, v42
	v_cndmask_b32_e32 v42, v48, v47, vcc
	v_cndmask_b32_e32 v44, v44, v46, vcc
	v_lshlrev_b32_e32 v46, 24, v40
	v_lshlrev_b32_e32 v44, 20, v44
	v_and_b32_e32 v46, 0x80000000, v46
	v_lshl_add_u32 v42, v42, 23, v45
	v_or3_b32 v42, v46, v42, v44
	v_lshrrev_b32_e32 v46, 16, v42
.LBB924_361:                            ;   in Loop: Header=BB924_213 Depth=1
	s_or_b64 exec, exec, s[16:17]
.LBB924_362:                            ;   in Loop: Header=BB924_213 Depth=1
	s_or_b64 exec, exec, s[14:15]
.LBB924_363:                            ;   in Loop: Header=BB924_213 Depth=1
	s_or_b64 exec, exec, s[12:13]
	v_lshrrev_b16_e32 v42, 8, v40
	v_cmp_ne_u16_e32 vcc, 0, v42
	v_mov_b32_e32 v48, 0
	v_mov_b32_e32 v44, 0
	s_and_saveexec_b64 s[12:13], vcc
	s_cbranch_execz .LBB924_369
; %bb.364:                              ;   in Loop: Header=BB924_213 Depth=1
	v_cmp_ne_u16_e32 vcc, s9, v42
	v_mov_b32_e32 v44, 0xffff8000
	s_and_saveexec_b64 s[14:15], vcc
	s_cbranch_execz .LBB924_368
; %bb.365:                              ;   in Loop: Header=BB924_213 Depth=1
	v_and_b32_e32 v47, 0x7f, v42
	v_cmp_ne_u32_e32 vcc, s21, v47
	v_mov_b32_e32 v44, 0x7f80
	s_and_saveexec_b64 s[16:17], vcc
	s_cbranch_execz .LBB924_367
; %bb.366:                              ;   in Loop: Header=BB924_213 Depth=1
	v_and_b32_e32 v44, 7, v42
	v_ffbh_u32_e32 v50, v44
	v_min_u32_e32 v52, 32, v50
	v_subrev_u32_e32 v50, 28, v52
	v_lshlrev_b64 v[50:51], v50, v[42:43]
	v_lshrrev_b32_e32 v49, 3, v47
	v_sub_u32_e32 v42, 29, v52
	v_and_b32_e32 v50, 7, v50
	v_cmp_gt_u32_e32 vcc, 8, v47
	v_cndmask_b32_e32 v42, v49, v42, vcc
	v_cndmask_b32_e32 v44, v44, v50, vcc
	v_lshlrev_b32_e32 v47, 16, v40
	v_lshlrev_b32_e32 v44, 20, v44
	v_and_b32_e32 v47, 0x80000000, v47
	v_lshl_add_u32 v42, v42, 23, v45
	v_or3_b32 v42, v47, v42, v44
	v_lshrrev_b32_e32 v44, 16, v42
.LBB924_367:                            ;   in Loop: Header=BB924_213 Depth=1
	s_or_b64 exec, exec, s[16:17]
.LBB924_368:                            ;   in Loop: Header=BB924_213 Depth=1
	s_or_b64 exec, exec, s[14:15]
.LBB924_369:                            ;   in Loop: Header=BB924_213 Depth=1
	s_or_b64 exec, exec, s[12:13]
	v_lshrrev_b32_e32 v42, 16, v40
	v_cmp_ne_u16_sdwa s[14:15], v42, v43 src0_sel:BYTE_0 src1_sel:DWORD
	s_and_saveexec_b64 s[12:13], s[14:15]
	s_cbranch_execz .LBB924_375
; %bb.370:                              ;   in Loop: Header=BB924_213 Depth=1
	v_cmp_ne_u16_sdwa s[16:17], v42, s9 src0_sel:BYTE_0 src1_sel:DWORD
	v_mov_b32_e32 v48, 0xffff8000
	s_and_saveexec_b64 s[14:15], s[16:17]
	s_cbranch_execz .LBB924_374
; %bb.371:                              ;   in Loop: Header=BB924_213 Depth=1
	v_bfe_u32 v47, v40, 16, 7
	v_cmp_ne_u32_e32 vcc, s21, v47
	v_mov_b32_e32 v48, 0x7f80
	s_and_saveexec_b64 s[16:17], vcc
	s_cbranch_execz .LBB924_373
; %bb.372:                              ;   in Loop: Header=BB924_213 Depth=1
	v_and_b32_e32 v50, 7, v42
	v_ffbh_u32_e32 v48, v50
	v_min_u32_e32 v52, 32, v48
	v_subrev_u32_e32 v48, 28, v52
	v_lshlrev_b64 v[48:49], v48, v[42:43]
	v_lshrrev_b32_e32 v51, 3, v47
	v_sub_u32_e32 v49, 29, v52
	v_and_b32_e32 v48, 7, v48
	v_cmp_gt_u32_e32 vcc, 8, v47
	v_cndmask_b32_e32 v47, v51, v49, vcc
	v_cndmask_b32_e32 v48, v50, v48, vcc
	v_lshlrev_b32_e32 v42, 24, v42
	v_lshlrev_b32_e32 v48, 20, v48
	v_and_b32_e32 v42, 0x80000000, v42
	v_lshl_add_u32 v47, v47, 23, v45
	v_or3_b32 v42, v42, v47, v48
	v_lshrrev_b32_e32 v48, 16, v42
.LBB924_373:                            ;   in Loop: Header=BB924_213 Depth=1
	s_or_b64 exec, exec, s[16:17]
.LBB924_374:                            ;   in Loop: Header=BB924_213 Depth=1
	s_or_b64 exec, exec, s[14:15]
.LBB924_375:                            ;   in Loop: Header=BB924_213 Depth=1
	s_or_b64 exec, exec, s[12:13]
	v_cmp_lt_u32_e32 vcc, s22, v40
	v_mov_b32_e32 v49, 0
	v_mov_b32_e32 v50, 0
	s_and_saveexec_b64 s[12:13], vcc
	s_cbranch_execz .LBB924_381
; %bb.376:                              ;   in Loop: Header=BB924_213 Depth=1
	v_lshrrev_b32_e32 v42, 24, v40
	v_cmp_ne_u32_e32 vcc, s9, v42
	v_mov_b32_e32 v50, 0xffff8000
	s_and_saveexec_b64 s[14:15], vcc
	s_cbranch_execz .LBB924_380
; %bb.377:                              ;   in Loop: Header=BB924_213 Depth=1
	v_bfe_u32 v40, v40, 24, 7
	v_cmp_ne_u32_e32 vcc, s21, v40
	v_mov_b32_e32 v50, 0x7f80
	s_and_saveexec_b64 s[16:17], vcc
	s_cbranch_execz .LBB924_379
; %bb.378:                              ;   in Loop: Header=BB924_213 Depth=1
	v_and_b32_e32 v47, 7, v42
	v_ffbh_u32_e32 v50, v47
	v_min_u32_e32 v53, 32, v50
	v_subrev_u32_e32 v50, 28, v53
	v_lshlrev_b64 v[50:51], v50, v[42:43]
	v_lshrrev_b32_e32 v52, 3, v40
	v_sub_u32_e32 v51, 29, v53
	v_and_b32_e32 v50, 7, v50
	v_cmp_gt_u32_e32 vcc, 8, v40
	v_cndmask_b32_e32 v40, v52, v51, vcc
	v_cndmask_b32_e32 v47, v47, v50, vcc
	v_lshlrev_b32_e32 v42, 24, v42
	v_lshlrev_b32_e32 v47, 20, v47
	v_and_b32_e32 v42, 0x80000000, v42
	v_lshl_add_u32 v40, v40, 23, v45
	v_or3_b32 v40, v42, v40, v47
	v_lshrrev_b32_e32 v50, 16, v40
.LBB924_379:                            ;   in Loop: Header=BB924_213 Depth=1
	s_or_b64 exec, exec, s[16:17]
.LBB924_380:                            ;   in Loop: Header=BB924_213 Depth=1
	s_or_b64 exec, exec, s[14:15]
.LBB924_381:                            ;   in Loop: Header=BB924_213 Depth=1
	s_or_b64 exec, exec, s[12:13]
	s_waitcnt vmcnt(0)
	v_cmp_ne_u16_sdwa s[14:15], v38, v43 src0_sel:BYTE_0 src1_sel:DWORD
	s_and_saveexec_b64 s[12:13], s[14:15]
	s_cbranch_execz .LBB924_387
; %bb.382:                              ;   in Loop: Header=BB924_213 Depth=1
	v_cmp_ne_u16_sdwa s[16:17], v38, s9 src0_sel:BYTE_0 src1_sel:DWORD
	v_mov_b32_e32 v49, 0xffff8000
	s_and_saveexec_b64 s[14:15], s[16:17]
	s_cbranch_execz .LBB924_386
; %bb.383:                              ;   in Loop: Header=BB924_213 Depth=1
	v_and_b32_e32 v40, 0x7f, v38
	v_cmp_ne_u32_e32 vcc, s21, v40
	v_mov_b32_e32 v49, 0x7f80
	s_and_saveexec_b64 s[16:17], vcc
	s_cbranch_execz .LBB924_385
; %bb.384:                              ;   in Loop: Header=BB924_213 Depth=1
	v_and_b32_e32 v42, 7, v38
	v_ffbh_u32_e32 v49, v42
	v_min_u32_e32 v49, 32, v49
	v_subrev_u32_e32 v51, 28, v49
	v_lshlrev_b64 v[52:53], v51, v[38:39]
	v_lshrrev_b32_e32 v47, 3, v40
	v_sub_u32_e32 v49, 29, v49
	v_and_b32_e32 v51, 7, v52
	v_cmp_gt_u32_e32 vcc, 8, v40
	v_cndmask_b32_e32 v40, v47, v49, vcc
	v_cndmask_b32_e32 v42, v42, v51, vcc
	v_lshlrev_b32_e32 v47, 24, v38
	v_lshlrev_b32_e32 v42, 20, v42
	v_and_b32_e32 v47, 0x80000000, v47
	v_lshl_add_u32 v40, v40, 23, v45
	v_or3_b32 v40, v47, v40, v42
	v_lshrrev_b32_e32 v49, 16, v40
.LBB924_385:                            ;   in Loop: Header=BB924_213 Depth=1
	s_or_b64 exec, exec, s[16:17]
.LBB924_386:                            ;   in Loop: Header=BB924_213 Depth=1
	s_or_b64 exec, exec, s[14:15]
.LBB924_387:                            ;   in Loop: Header=BB924_213 Depth=1
	s_or_b64 exec, exec, s[12:13]
	v_lshrrev_b16_e32 v40, 8, v38
	v_cmp_ne_u16_e32 vcc, 0, v40
	v_mov_b32_e32 v52, 0
	v_mov_b32_e32 v51, 0
	s_and_saveexec_b64 s[12:13], vcc
	s_cbranch_execz .LBB924_393
; %bb.388:                              ;   in Loop: Header=BB924_213 Depth=1
	v_cmp_ne_u16_e32 vcc, s9, v40
	v_mov_b32_e32 v51, 0xffff8000
	s_and_saveexec_b64 s[14:15], vcc
	s_cbranch_execz .LBB924_392
; %bb.389:                              ;   in Loop: Header=BB924_213 Depth=1
	v_and_b32_e32 v42, 0x7f, v40
	v_cmp_ne_u32_e32 vcc, s21, v42
	v_mov_b32_e32 v51, 0x7f80
	s_and_saveexec_b64 s[16:17], vcc
	s_cbranch_execz .LBB924_391
; %bb.390:                              ;   in Loop: Header=BB924_213 Depth=1
	v_and_b32_e32 v47, 7, v40
	v_ffbh_u32_e32 v53, v47
	v_min_u32_e32 v53, 32, v53
	v_subrev_u32_e32 v63, 28, v53
	v_lshlrev_b64 v[64:65], v63, v[40:41]
	v_lshrrev_b32_e32 v51, 3, v42
	v_sub_u32_e32 v40, 29, v53
	v_and_b32_e32 v53, 7, v64
	v_cmp_gt_u32_e32 vcc, 8, v42
	v_cndmask_b32_e32 v40, v51, v40, vcc
	v_cndmask_b32_e32 v42, v47, v53, vcc
	v_lshlrev_b32_e32 v47, 16, v38
	v_lshlrev_b32_e32 v42, 20, v42
	v_and_b32_e32 v47, 0x80000000, v47
	v_lshl_add_u32 v40, v40, 23, v45
	v_or3_b32 v40, v47, v40, v42
	v_lshrrev_b32_e32 v51, 16, v40
.LBB924_391:                            ;   in Loop: Header=BB924_213 Depth=1
	s_or_b64 exec, exec, s[16:17]
.LBB924_392:                            ;   in Loop: Header=BB924_213 Depth=1
	s_or_b64 exec, exec, s[14:15]
.LBB924_393:                            ;   in Loop: Header=BB924_213 Depth=1
	s_or_b64 exec, exec, s[12:13]
	v_lshrrev_b32_e32 v40, 16, v38
	v_cmp_ne_u16_sdwa s[14:15], v40, v43 src0_sel:BYTE_0 src1_sel:DWORD
	s_and_saveexec_b64 s[12:13], s[14:15]
	s_cbranch_execz .LBB924_399
; %bb.394:                              ;   in Loop: Header=BB924_213 Depth=1
	v_cmp_ne_u16_sdwa s[16:17], v40, s9 src0_sel:BYTE_0 src1_sel:DWORD
	v_mov_b32_e32 v52, 0xffff8000
	s_and_saveexec_b64 s[14:15], s[16:17]
	s_cbranch_execz .LBB924_398
; %bb.395:                              ;   in Loop: Header=BB924_213 Depth=1
	v_bfe_u32 v42, v38, 16, 7
	v_cmp_ne_u32_e32 vcc, s21, v42
	v_mov_b32_e32 v52, 0x7f80
	s_and_saveexec_b64 s[16:17], vcc
	s_cbranch_execz .LBB924_397
; %bb.396:                              ;   in Loop: Header=BB924_213 Depth=1
	v_and_b32_e32 v47, 7, v40
	v_ffbh_u32_e32 v52, v47
	v_min_u32_e32 v64, 32, v52
	v_subrev_u32_e32 v52, 28, v64
	v_lshlrev_b64 v[52:53], v52, v[40:41]
	v_lshrrev_b32_e32 v63, 3, v42
	v_sub_u32_e32 v53, 29, v64
	v_and_b32_e32 v52, 7, v52
	v_cmp_gt_u32_e32 vcc, 8, v42
	v_cndmask_b32_e32 v42, v63, v53, vcc
	v_cndmask_b32_e32 v47, v47, v52, vcc
	v_lshlrev_b32_e32 v40, 24, v40
	v_lshlrev_b32_e32 v47, 20, v47
	v_and_b32_e32 v40, 0x80000000, v40
	v_lshl_add_u32 v42, v42, 23, v45
	v_or3_b32 v40, v40, v42, v47
	v_lshrrev_b32_e32 v52, 16, v40
.LBB924_397:                            ;   in Loop: Header=BB924_213 Depth=1
	s_or_b64 exec, exec, s[16:17]
.LBB924_398:                            ;   in Loop: Header=BB924_213 Depth=1
	s_or_b64 exec, exec, s[14:15]
.LBB924_399:                            ;   in Loop: Header=BB924_213 Depth=1
	s_or_b64 exec, exec, s[12:13]
	v_cmp_lt_u32_e32 vcc, s22, v38
	v_mov_b32_e32 v47, 0
	v_mov_b32_e32 v53, 0
	s_and_saveexec_b64 s[12:13], vcc
	s_cbranch_execz .LBB924_405
; %bb.400:                              ;   in Loop: Header=BB924_213 Depth=1
	v_lshrrev_b32_e32 v40, 24, v38
	v_cmp_ne_u32_e32 vcc, s9, v40
	v_mov_b32_e32 v53, 0xffff8000
	s_and_saveexec_b64 s[14:15], vcc
	s_cbranch_execz .LBB924_404
; %bb.401:                              ;   in Loop: Header=BB924_213 Depth=1
	v_bfe_u32 v38, v38, 24, 7
	v_cmp_ne_u32_e32 vcc, s21, v38
	v_mov_b32_e32 v53, 0x7f80
	s_and_saveexec_b64 s[16:17], vcc
	s_cbranch_execz .LBB924_403
; %bb.402:                              ;   in Loop: Header=BB924_213 Depth=1
	v_and_b32_e32 v42, 7, v40
	v_ffbh_u32_e32 v63, v42
	v_min_u32_e32 v63, 32, v63
	v_subrev_u32_e32 v64, 28, v63
	v_lshlrev_b64 v[64:65], v64, v[40:41]
	v_lshrrev_b32_e32 v53, 3, v38
	v_sub_u32_e32 v63, 29, v63
	v_and_b32_e32 v64, 7, v64
	v_cmp_gt_u32_e32 vcc, 8, v38
	v_cndmask_b32_e32 v38, v53, v63, vcc
	v_cndmask_b32_e32 v42, v42, v64, vcc
	v_lshlrev_b32_e32 v40, 24, v40
	v_lshlrev_b32_e32 v42, 20, v42
	v_and_b32_e32 v40, 0x80000000, v40
	v_lshl_add_u32 v38, v38, 23, v45
	v_or3_b32 v38, v40, v38, v42
	v_lshrrev_b32_e32 v53, 16, v38
.LBB924_403:                            ;   in Loop: Header=BB924_213 Depth=1
	s_or_b64 exec, exec, s[16:17]
.LBB924_404:                            ;   in Loop: Header=BB924_213 Depth=1
	s_or_b64 exec, exec, s[14:15]
.LBB924_405:                            ;   in Loop: Header=BB924_213 Depth=1
	s_or_b64 exec, exec, s[12:13]
	v_perm_b32 v64, v44, v46, s23
	buffer_load_dword v44, v62, s[0:3], 0 offen
	buffer_load_dword v42, v62, s[0:3], 0 offen offset:4
	buffer_load_dword v40, v62, s[0:3], 0 offen offset:8
	;; [unrolled: 1-line block ×3, first 2 shown]
	v_perm_b32 v65, v50, v48, s23
	v_perm_b32 v53, v53, v52, s23
	;; [unrolled: 1-line block ×3, first 2 shown]
	v_mfma_f32_16x16x16bf16_1k v[34:37], v[64:65], v[14:15], v[34:37]
	s_waitcnt vmcnt(3)
	v_cmp_ne_u16_sdwa s[14:15], v44, v43 src0_sel:BYTE_0 src1_sel:DWORD
	v_mfma_f32_16x16x16bf16_1k v[34:37], v[52:53], v[16:17], v[34:37]
	s_and_saveexec_b64 s[12:13], s[14:15]
	s_cbranch_execz .LBB924_411
; %bb.406:                              ;   in Loop: Header=BB924_213 Depth=1
	v_cmp_ne_u16_sdwa s[16:17], v44, s9 src0_sel:BYTE_0 src1_sel:DWORD
	v_mov_b32_e32 v47, 0xffff8000
	s_and_saveexec_b64 s[14:15], s[16:17]
	s_cbranch_execz .LBB924_410
; %bb.407:                              ;   in Loop: Header=BB924_213 Depth=1
	v_and_b32_e32 v46, 0x7f, v44
	v_cmp_ne_u32_e32 vcc, s21, v46
	v_mov_b32_e32 v47, 0x7f80
	s_and_saveexec_b64 s[16:17], vcc
	s_cbranch_execz .LBB924_409
; %bb.408:                              ;   in Loop: Header=BB924_213 Depth=1
	v_and_b32_e32 v47, 7, v44
	v_ffbh_u32_e32 v48, v47
	v_min_u32_e32 v51, 32, v48
	v_subrev_u32_e32 v48, 28, v51
	v_lshlrev_b64 v[48:49], v48, v[44:45]
	v_lshrrev_b32_e32 v50, 3, v46
	v_sub_u32_e32 v49, 29, v51
	v_and_b32_e32 v48, 7, v48
	v_cmp_gt_u32_e32 vcc, 8, v46
	v_cndmask_b32_e32 v46, v50, v49, vcc
	v_cndmask_b32_e32 v47, v47, v48, vcc
	v_lshlrev_b32_e32 v48, 24, v44
	v_lshlrev_b32_e32 v47, 20, v47
	v_and_b32_e32 v48, 0x80000000, v48
	v_lshl_add_u32 v46, v46, 23, v45
	v_or3_b32 v46, v48, v46, v47
	v_lshrrev_b32_e32 v47, 16, v46
.LBB924_409:                            ;   in Loop: Header=BB924_213 Depth=1
	s_or_b64 exec, exec, s[16:17]
.LBB924_410:                            ;   in Loop: Header=BB924_213 Depth=1
	s_or_b64 exec, exec, s[14:15]
.LBB924_411:                            ;   in Loop: Header=BB924_213 Depth=1
	s_or_b64 exec, exec, s[12:13]
	v_lshrrev_b16_e32 v46, 8, v44
	v_cmp_ne_u16_e32 vcc, 0, v46
	v_mov_b32_e32 v49, 0
	v_mov_b32_e32 v48, 0
	s_and_saveexec_b64 s[12:13], vcc
	s_cbranch_execz .LBB924_417
; %bb.412:                              ;   in Loop: Header=BB924_213 Depth=1
	v_cmp_ne_u16_e32 vcc, s9, v46
	v_mov_b32_e32 v48, 0xffff8000
	s_and_saveexec_b64 s[14:15], vcc
	s_cbranch_execz .LBB924_416
; %bb.413:                              ;   in Loop: Header=BB924_213 Depth=1
	v_and_b32_e32 v50, 0x7f, v46
	v_cmp_ne_u32_e32 vcc, s21, v50
	v_mov_b32_e32 v48, 0x7f80
	s_and_saveexec_b64 s[16:17], vcc
	s_cbranch_execz .LBB924_415
; %bb.414:                              ;   in Loop: Header=BB924_213 Depth=1
	v_and_b32_e32 v48, 7, v46
	v_ffbh_u32_e32 v52, v48
	v_min_u32_e32 v62, 32, v52
	v_subrev_u32_e32 v52, 28, v62
	v_lshlrev_b64 v[52:53], v52, v[46:47]
	v_lshrrev_b32_e32 v51, 3, v50
	v_sub_u32_e32 v46, 29, v62
	v_and_b32_e32 v52, 7, v52
	v_cmp_gt_u32_e32 vcc, 8, v50
	v_cndmask_b32_e32 v46, v51, v46, vcc
	v_cndmask_b32_e32 v48, v48, v52, vcc
	v_lshlrev_b32_e32 v50, 16, v44
	v_lshlrev_b32_e32 v48, 20, v48
	v_and_b32_e32 v50, 0x80000000, v50
	v_lshl_add_u32 v46, v46, 23, v45
	v_or3_b32 v46, v50, v46, v48
	v_lshrrev_b32_e32 v48, 16, v46
.LBB924_415:                            ;   in Loop: Header=BB924_213 Depth=1
	s_or_b64 exec, exec, s[16:17]
.LBB924_416:                            ;   in Loop: Header=BB924_213 Depth=1
	s_or_b64 exec, exec, s[14:15]
.LBB924_417:                            ;   in Loop: Header=BB924_213 Depth=1
	s_or_b64 exec, exec, s[12:13]
	v_lshrrev_b32_e32 v46, 16, v44
	v_cmp_ne_u16_sdwa s[14:15], v46, v43 src0_sel:BYTE_0 src1_sel:DWORD
	s_and_saveexec_b64 s[12:13], s[14:15]
	s_cbranch_execz .LBB924_423
; %bb.418:                              ;   in Loop: Header=BB924_213 Depth=1
	v_cmp_ne_u16_sdwa s[16:17], v46, s9 src0_sel:BYTE_0 src1_sel:DWORD
	v_mov_b32_e32 v49, 0xffff8000
	s_and_saveexec_b64 s[14:15], s[16:17]
	s_cbranch_execz .LBB924_422
; %bb.419:                              ;   in Loop: Header=BB924_213 Depth=1
	v_bfe_u32 v50, v44, 16, 7
	v_cmp_ne_u32_e32 vcc, s21, v50
	v_mov_b32_e32 v49, 0x7f80
	s_and_saveexec_b64 s[16:17], vcc
	s_cbranch_execz .LBB924_421
; %bb.420:                              ;   in Loop: Header=BB924_213 Depth=1
	v_and_b32_e32 v49, 7, v46
	v_ffbh_u32_e32 v52, v49
	v_min_u32_e32 v62, 32, v52
	v_subrev_u32_e32 v52, 28, v62
	v_lshlrev_b64 v[52:53], v52, v[46:47]
	v_lshrrev_b32_e32 v51, 3, v50
	v_sub_u32_e32 v53, 29, v62
	v_and_b32_e32 v52, 7, v52
	v_cmp_gt_u32_e32 vcc, 8, v50
	v_cndmask_b32_e32 v50, v51, v53, vcc
	v_cndmask_b32_e32 v49, v49, v52, vcc
	v_lshlrev_b32_e32 v46, 24, v46
	v_lshlrev_b32_e32 v49, 20, v49
	v_and_b32_e32 v46, 0x80000000, v46
	v_lshl_add_u32 v50, v50, 23, v45
	v_or3_b32 v46, v46, v50, v49
	v_lshrrev_b32_e32 v49, 16, v46
.LBB924_421:                            ;   in Loop: Header=BB924_213 Depth=1
	s_or_b64 exec, exec, s[16:17]
.LBB924_422:                            ;   in Loop: Header=BB924_213 Depth=1
	s_or_b64 exec, exec, s[14:15]
.LBB924_423:                            ;   in Loop: Header=BB924_213 Depth=1
	s_or_b64 exec, exec, s[12:13]
	v_cmp_lt_u32_e32 vcc, s22, v44
	v_mov_b32_e32 v50, 0
	v_mov_b32_e32 v51, 0
	s_and_saveexec_b64 s[12:13], vcc
	s_cbranch_execz .LBB924_429
; %bb.424:                              ;   in Loop: Header=BB924_213 Depth=1
	v_lshrrev_b32_e32 v46, 24, v44
	v_cmp_ne_u32_e32 vcc, s9, v46
	v_mov_b32_e32 v51, 0xffff8000
	s_and_saveexec_b64 s[14:15], vcc
	s_cbranch_execz .LBB924_428
; %bb.425:                              ;   in Loop: Header=BB924_213 Depth=1
	v_bfe_u32 v44, v44, 24, 7
	v_cmp_ne_u32_e32 vcc, s21, v44
	v_mov_b32_e32 v51, 0x7f80
	s_and_saveexec_b64 s[16:17], vcc
	s_cbranch_execz .LBB924_427
; %bb.426:                              ;   in Loop: Header=BB924_213 Depth=1
	v_and_b32_e32 v51, 7, v46
	v_ffbh_u32_e32 v52, v51
	v_min_u32_e32 v63, 32, v52
	v_subrev_u32_e32 v52, 28, v63
	v_lshlrev_b64 v[52:53], v52, v[46:47]
	v_lshrrev_b32_e32 v62, 3, v44
	v_sub_u32_e32 v53, 29, v63
	v_and_b32_e32 v52, 7, v52
	v_cmp_gt_u32_e32 vcc, 8, v44
	v_cndmask_b32_e32 v44, v62, v53, vcc
	v_cndmask_b32_e32 v51, v51, v52, vcc
	v_lshlrev_b32_e32 v46, 24, v46
	v_lshlrev_b32_e32 v51, 20, v51
	v_and_b32_e32 v46, 0x80000000, v46
	v_lshl_add_u32 v44, v44, 23, v45
	v_or3_b32 v44, v46, v44, v51
	v_lshrrev_b32_e32 v51, 16, v44
.LBB924_427:                            ;   in Loop: Header=BB924_213 Depth=1
	s_or_b64 exec, exec, s[16:17]
.LBB924_428:                            ;   in Loop: Header=BB924_213 Depth=1
	s_or_b64 exec, exec, s[14:15]
.LBB924_429:                            ;   in Loop: Header=BB924_213 Depth=1
	s_or_b64 exec, exec, s[12:13]
	s_waitcnt vmcnt(2)
	v_cmp_ne_u16_sdwa s[14:15], v42, v43 src0_sel:BYTE_0 src1_sel:DWORD
	s_and_saveexec_b64 s[12:13], s[14:15]
	s_cbranch_execz .LBB924_435
; %bb.430:                              ;   in Loop: Header=BB924_213 Depth=1
	v_cmp_ne_u16_sdwa s[16:17], v42, s9 src0_sel:BYTE_0 src1_sel:DWORD
	v_mov_b32_e32 v50, 0xffff8000
	s_and_saveexec_b64 s[14:15], s[16:17]
	s_cbranch_execz .LBB924_434
; %bb.431:                              ;   in Loop: Header=BB924_213 Depth=1
	v_and_b32_e32 v44, 0x7f, v42
	v_cmp_ne_u32_e32 vcc, s21, v44
	v_mov_b32_e32 v50, 0x7f80
	s_and_saveexec_b64 s[16:17], vcc
	s_cbranch_execz .LBB924_433
; %bb.432:                              ;   in Loop: Header=BB924_213 Depth=1
	v_and_b32_e32 v46, 7, v42
	v_ffbh_u32_e32 v52, v46
	v_min_u32_e32 v62, 32, v52
	v_subrev_u32_e32 v52, 28, v62
	v_lshlrev_b64 v[52:53], v52, v[42:43]
	v_lshrrev_b32_e32 v50, 3, v44
	v_sub_u32_e32 v53, 29, v62
	v_and_b32_e32 v52, 7, v52
	v_cmp_gt_u32_e32 vcc, 8, v44
	v_cndmask_b32_e32 v44, v50, v53, vcc
	v_cndmask_b32_e32 v46, v46, v52, vcc
	v_lshlrev_b32_e32 v50, 24, v42
	v_lshlrev_b32_e32 v46, 20, v46
	v_and_b32_e32 v50, 0x80000000, v50
	v_lshl_add_u32 v44, v44, 23, v45
	v_or3_b32 v44, v50, v44, v46
	v_lshrrev_b32_e32 v50, 16, v44
.LBB924_433:                            ;   in Loop: Header=BB924_213 Depth=1
	s_or_b64 exec, exec, s[16:17]
.LBB924_434:                            ;   in Loop: Header=BB924_213 Depth=1
	s_or_b64 exec, exec, s[14:15]
.LBB924_435:                            ;   in Loop: Header=BB924_213 Depth=1
	s_or_b64 exec, exec, s[12:13]
	v_lshrrev_b16_e32 v44, 8, v42
	v_cmp_ne_u16_e32 vcc, 0, v44
	v_mov_b32_e32 v53, 0
	v_mov_b32_e32 v52, 0
	s_and_saveexec_b64 s[12:13], vcc
	s_cbranch_execz .LBB924_441
; %bb.436:                              ;   in Loop: Header=BB924_213 Depth=1
	v_cmp_ne_u16_e32 vcc, s9, v44
	v_mov_b32_e32 v52, 0xffff8000
	s_and_saveexec_b64 s[14:15], vcc
	s_cbranch_execz .LBB924_440
; %bb.437:                              ;   in Loop: Header=BB924_213 Depth=1
	v_and_b32_e32 v46, 0x7f, v44
	v_cmp_ne_u32_e32 vcc, s21, v46
	v_mov_b32_e32 v52, 0x7f80
	s_and_saveexec_b64 s[16:17], vcc
	s_cbranch_execz .LBB924_439
; %bb.438:                              ;   in Loop: Header=BB924_213 Depth=1
	v_and_b32_e32 v52, 7, v44
	v_ffbh_u32_e32 v62, v52
	v_min_u32_e32 v65, 32, v62
	v_subrev_u32_e32 v62, 28, v65
	v_lshlrev_b64 v[62:63], v62, v[44:45]
	v_lshrrev_b32_e32 v64, 3, v46
	v_sub_u32_e32 v44, 29, v65
	v_and_b32_e32 v62, 7, v62
	v_cmp_gt_u32_e32 vcc, 8, v46
	v_cndmask_b32_e32 v44, v64, v44, vcc
	v_cndmask_b32_e32 v46, v52, v62, vcc
	v_lshlrev_b32_e32 v52, 16, v42
	v_lshlrev_b32_e32 v46, 20, v46
	v_and_b32_e32 v52, 0x80000000, v52
	v_lshl_add_u32 v44, v44, 23, v45
	v_or3_b32 v44, v52, v44, v46
	v_lshrrev_b32_e32 v52, 16, v44
.LBB924_439:                            ;   in Loop: Header=BB924_213 Depth=1
	s_or_b64 exec, exec, s[16:17]
.LBB924_440:                            ;   in Loop: Header=BB924_213 Depth=1
	s_or_b64 exec, exec, s[14:15]
.LBB924_441:                            ;   in Loop: Header=BB924_213 Depth=1
	s_or_b64 exec, exec, s[12:13]
	v_lshrrev_b32_e32 v44, 16, v42
	v_cmp_ne_u16_sdwa s[14:15], v44, v43 src0_sel:BYTE_0 src1_sel:DWORD
	s_and_saveexec_b64 s[12:13], s[14:15]
	s_cbranch_execz .LBB924_447
; %bb.442:                              ;   in Loop: Header=BB924_213 Depth=1
	v_cmp_ne_u16_sdwa s[16:17], v44, s9 src0_sel:BYTE_0 src1_sel:DWORD
	v_mov_b32_e32 v53, 0xffff8000
	s_and_saveexec_b64 s[14:15], s[16:17]
	s_cbranch_execz .LBB924_446
; %bb.443:                              ;   in Loop: Header=BB924_213 Depth=1
	v_bfe_u32 v46, v42, 16, 7
	v_cmp_ne_u32_e32 vcc, s21, v46
	v_mov_b32_e32 v53, 0x7f80
	s_and_saveexec_b64 s[16:17], vcc
	s_cbranch_execz .LBB924_445
; %bb.444:                              ;   in Loop: Header=BB924_213 Depth=1
	v_and_b32_e32 v53, 7, v44
	v_ffbh_u32_e32 v62, v53
	v_min_u32_e32 v65, 32, v62
	v_subrev_u32_e32 v62, 28, v65
	v_lshlrev_b64 v[62:63], v62, v[44:45]
	v_lshrrev_b32_e32 v64, 3, v46
	v_sub_u32_e32 v63, 29, v65
	v_and_b32_e32 v62, 7, v62
	v_cmp_gt_u32_e32 vcc, 8, v46
	v_cndmask_b32_e32 v46, v64, v63, vcc
	v_cndmask_b32_e32 v53, v53, v62, vcc
	v_lshlrev_b32_e32 v44, 24, v44
	v_lshlrev_b32_e32 v53, 20, v53
	v_and_b32_e32 v44, 0x80000000, v44
	v_lshl_add_u32 v46, v46, 23, v45
	v_or3_b32 v44, v44, v46, v53
	v_lshrrev_b32_e32 v53, 16, v44
.LBB924_445:                            ;   in Loop: Header=BB924_213 Depth=1
	s_or_b64 exec, exec, s[16:17]
.LBB924_446:                            ;   in Loop: Header=BB924_213 Depth=1
	s_or_b64 exec, exec, s[14:15]
.LBB924_447:                            ;   in Loop: Header=BB924_213 Depth=1
	s_or_b64 exec, exec, s[12:13]
	v_cmp_lt_u32_e32 vcc, s22, v42
	v_mov_b32_e32 v46, 0
	v_mov_b32_e32 v62, 0
	s_and_saveexec_b64 s[12:13], vcc
	s_cbranch_execz .LBB924_453
; %bb.448:                              ;   in Loop: Header=BB924_213 Depth=1
	v_lshrrev_b32_e32 v44, 24, v42
	v_cmp_ne_u32_e32 vcc, s9, v44
	v_mov_b32_e32 v62, 0xffff8000
	s_and_saveexec_b64 s[14:15], vcc
	s_cbranch_execz .LBB924_452
; %bb.449:                              ;   in Loop: Header=BB924_213 Depth=1
	v_bfe_u32 v42, v42, 24, 7
	v_cmp_ne_u32_e32 vcc, s21, v42
	v_mov_b32_e32 v62, 0x7f80
	s_and_saveexec_b64 s[16:17], vcc
	s_cbranch_execz .LBB924_451
; %bb.450:                              ;   in Loop: Header=BB924_213 Depth=1
	v_and_b32_e32 v64, 7, v44
	v_ffbh_u32_e32 v62, v64
	v_min_u32_e32 v66, 32, v62
	v_subrev_u32_e32 v62, 28, v66
	v_lshlrev_b64 v[62:63], v62, v[44:45]
	v_lshrrev_b32_e32 v65, 3, v42
	v_sub_u32_e32 v63, 29, v66
	v_and_b32_e32 v62, 7, v62
	v_cmp_gt_u32_e32 vcc, 8, v42
	v_cndmask_b32_e32 v42, v65, v63, vcc
	v_cndmask_b32_e32 v62, v64, v62, vcc
	v_lshlrev_b32_e32 v44, 24, v44
	v_lshlrev_b32_e32 v62, 20, v62
	v_and_b32_e32 v44, 0x80000000, v44
	v_lshl_add_u32 v42, v42, 23, v45
	v_or3_b32 v42, v44, v42, v62
	v_lshrrev_b32_e32 v62, 16, v42
.LBB924_451:                            ;   in Loop: Header=BB924_213 Depth=1
	s_or_b64 exec, exec, s[16:17]
.LBB924_452:                            ;   in Loop: Header=BB924_213 Depth=1
	s_or_b64 exec, exec, s[14:15]
.LBB924_453:                            ;   in Loop: Header=BB924_213 Depth=1
	s_or_b64 exec, exec, s[12:13]
	v_perm_b32 v49, v51, v49, s23
	v_perm_b32 v48, v48, v47, s23
	s_waitcnt vmcnt(1)
	v_cmp_ne_u16_sdwa s[14:15], v40, v43 src0_sel:BYTE_0 src1_sel:DWORD
	v_mfma_f32_16x16x16bf16_1k v[34:37], v[48:49], v[18:19], v[34:37]
	v_perm_b32 v49, v62, v53, s23
	v_perm_b32 v48, v52, v50, s23
	s_nop 1
	v_mfma_f32_16x16x16bf16_1k v[34:37], v[48:49], v[20:21], v[34:37]
	s_and_saveexec_b64 s[12:13], s[14:15]
	s_cbranch_execz .LBB924_459
; %bb.454:                              ;   in Loop: Header=BB924_213 Depth=1
	v_cmp_ne_u16_sdwa s[16:17], v40, s9 src0_sel:BYTE_0 src1_sel:DWORD
	v_mov_b32_e32 v46, 0xffff8000
	s_and_saveexec_b64 s[14:15], s[16:17]
	s_cbranch_execz .LBB924_458
; %bb.455:                              ;   in Loop: Header=BB924_213 Depth=1
	v_and_b32_e32 v42, 0x7f, v40
	v_cmp_ne_u32_e32 vcc, s21, v42
	v_mov_b32_e32 v46, 0x7f80
	s_and_saveexec_b64 s[16:17], vcc
	s_cbranch_execz .LBB924_457
; %bb.456:                              ;   in Loop: Header=BB924_213 Depth=1
	v_and_b32_e32 v44, 7, v40
	v_ffbh_u32_e32 v46, v44
	v_min_u32_e32 v49, 32, v46
	v_subrev_u32_e32 v46, 28, v49
	v_lshlrev_b64 v[46:47], v46, v[40:41]
	v_lshrrev_b32_e32 v48, 3, v42
	v_sub_u32_e32 v47, 29, v49
	v_and_b32_e32 v46, 7, v46
	v_cmp_gt_u32_e32 vcc, 8, v42
	v_cndmask_b32_e32 v42, v48, v47, vcc
	v_cndmask_b32_e32 v44, v44, v46, vcc
	v_lshlrev_b32_e32 v46, 24, v40
	v_lshlrev_b32_e32 v44, 20, v44
	v_and_b32_e32 v46, 0x80000000, v46
	v_lshl_add_u32 v42, v42, 23, v45
	v_or3_b32 v42, v46, v42, v44
	v_lshrrev_b32_e32 v46, 16, v42
.LBB924_457:                            ;   in Loop: Header=BB924_213 Depth=1
	s_or_b64 exec, exec, s[16:17]
.LBB924_458:                            ;   in Loop: Header=BB924_213 Depth=1
	s_or_b64 exec, exec, s[14:15]
.LBB924_459:                            ;   in Loop: Header=BB924_213 Depth=1
	s_or_b64 exec, exec, s[12:13]
	v_lshrrev_b16_e32 v42, 8, v40
	v_cmp_ne_u16_e32 vcc, 0, v42
	v_mov_b32_e32 v48, 0
	v_mov_b32_e32 v44, 0
	s_and_saveexec_b64 s[12:13], vcc
	s_cbranch_execz .LBB924_465
; %bb.460:                              ;   in Loop: Header=BB924_213 Depth=1
	v_cmp_ne_u16_e32 vcc, s9, v42
	v_mov_b32_e32 v44, 0xffff8000
	s_and_saveexec_b64 s[14:15], vcc
	s_cbranch_execz .LBB924_464
; %bb.461:                              ;   in Loop: Header=BB924_213 Depth=1
	v_and_b32_e32 v47, 0x7f, v42
	v_cmp_ne_u32_e32 vcc, s21, v47
	v_mov_b32_e32 v44, 0x7f80
	s_and_saveexec_b64 s[16:17], vcc
	s_cbranch_execz .LBB924_463
; %bb.462:                              ;   in Loop: Header=BB924_213 Depth=1
	v_and_b32_e32 v44, 7, v42
	v_ffbh_u32_e32 v50, v44
	v_min_u32_e32 v52, 32, v50
	v_subrev_u32_e32 v50, 28, v52
	v_lshlrev_b64 v[50:51], v50, v[42:43]
	v_lshrrev_b32_e32 v49, 3, v47
	v_sub_u32_e32 v42, 29, v52
	v_and_b32_e32 v50, 7, v50
	v_cmp_gt_u32_e32 vcc, 8, v47
	v_cndmask_b32_e32 v42, v49, v42, vcc
	v_cndmask_b32_e32 v44, v44, v50, vcc
	v_lshlrev_b32_e32 v47, 16, v40
	v_lshlrev_b32_e32 v44, 20, v44
	v_and_b32_e32 v47, 0x80000000, v47
	v_lshl_add_u32 v42, v42, 23, v45
	v_or3_b32 v42, v47, v42, v44
	v_lshrrev_b32_e32 v44, 16, v42
.LBB924_463:                            ;   in Loop: Header=BB924_213 Depth=1
	s_or_b64 exec, exec, s[16:17]
.LBB924_464:                            ;   in Loop: Header=BB924_213 Depth=1
	s_or_b64 exec, exec, s[14:15]
.LBB924_465:                            ;   in Loop: Header=BB924_213 Depth=1
	s_or_b64 exec, exec, s[12:13]
	v_lshrrev_b32_e32 v42, 16, v40
	v_cmp_ne_u16_sdwa s[14:15], v42, v43 src0_sel:BYTE_0 src1_sel:DWORD
	s_and_saveexec_b64 s[12:13], s[14:15]
	s_cbranch_execz .LBB924_471
; %bb.466:                              ;   in Loop: Header=BB924_213 Depth=1
	v_cmp_ne_u16_sdwa s[16:17], v42, s9 src0_sel:BYTE_0 src1_sel:DWORD
	v_mov_b32_e32 v48, 0xffff8000
	s_and_saveexec_b64 s[14:15], s[16:17]
	s_cbranch_execz .LBB924_470
; %bb.467:                              ;   in Loop: Header=BB924_213 Depth=1
	v_bfe_u32 v47, v40, 16, 7
	v_cmp_ne_u32_e32 vcc, s21, v47
	v_mov_b32_e32 v48, 0x7f80
	s_and_saveexec_b64 s[16:17], vcc
	s_cbranch_execz .LBB924_469
; %bb.468:                              ;   in Loop: Header=BB924_213 Depth=1
	v_and_b32_e32 v50, 7, v42
	v_ffbh_u32_e32 v48, v50
	v_min_u32_e32 v52, 32, v48
	v_subrev_u32_e32 v48, 28, v52
	v_lshlrev_b64 v[48:49], v48, v[42:43]
	v_lshrrev_b32_e32 v51, 3, v47
	v_sub_u32_e32 v49, 29, v52
	v_and_b32_e32 v48, 7, v48
	v_cmp_gt_u32_e32 vcc, 8, v47
	v_cndmask_b32_e32 v47, v51, v49, vcc
	v_cndmask_b32_e32 v48, v50, v48, vcc
	v_lshlrev_b32_e32 v42, 24, v42
	v_lshlrev_b32_e32 v48, 20, v48
	v_and_b32_e32 v42, 0x80000000, v42
	v_lshl_add_u32 v47, v47, 23, v45
	v_or3_b32 v42, v42, v47, v48
	v_lshrrev_b32_e32 v48, 16, v42
.LBB924_469:                            ;   in Loop: Header=BB924_213 Depth=1
	s_or_b64 exec, exec, s[16:17]
.LBB924_470:                            ;   in Loop: Header=BB924_213 Depth=1
	s_or_b64 exec, exec, s[14:15]
.LBB924_471:                            ;   in Loop: Header=BB924_213 Depth=1
	s_or_b64 exec, exec, s[12:13]
	v_cmp_lt_u32_e32 vcc, s22, v40
	v_mov_b32_e32 v49, 0
	v_mov_b32_e32 v50, 0
	s_and_saveexec_b64 s[12:13], vcc
	s_cbranch_execz .LBB924_477
; %bb.472:                              ;   in Loop: Header=BB924_213 Depth=1
	v_lshrrev_b32_e32 v42, 24, v40
	v_cmp_ne_u32_e32 vcc, s9, v42
	v_mov_b32_e32 v50, 0xffff8000
	s_and_saveexec_b64 s[14:15], vcc
	s_cbranch_execz .LBB924_476
; %bb.473:                              ;   in Loop: Header=BB924_213 Depth=1
	v_bfe_u32 v40, v40, 24, 7
	v_cmp_ne_u32_e32 vcc, s21, v40
	v_mov_b32_e32 v50, 0x7f80
	s_and_saveexec_b64 s[16:17], vcc
	s_cbranch_execz .LBB924_475
; %bb.474:                              ;   in Loop: Header=BB924_213 Depth=1
	v_and_b32_e32 v47, 7, v42
	v_ffbh_u32_e32 v50, v47
	v_min_u32_e32 v53, 32, v50
	v_subrev_u32_e32 v50, 28, v53
	v_lshlrev_b64 v[50:51], v50, v[42:43]
	v_lshrrev_b32_e32 v52, 3, v40
	v_sub_u32_e32 v51, 29, v53
	v_and_b32_e32 v50, 7, v50
	v_cmp_gt_u32_e32 vcc, 8, v40
	v_cndmask_b32_e32 v40, v52, v51, vcc
	v_cndmask_b32_e32 v47, v47, v50, vcc
	v_lshlrev_b32_e32 v42, 24, v42
	v_lshlrev_b32_e32 v47, 20, v47
	v_and_b32_e32 v42, 0x80000000, v42
	v_lshl_add_u32 v40, v40, 23, v45
	v_or3_b32 v40, v42, v40, v47
	v_lshrrev_b32_e32 v50, 16, v40
.LBB924_475:                            ;   in Loop: Header=BB924_213 Depth=1
	s_or_b64 exec, exec, s[16:17]
.LBB924_476:                            ;   in Loop: Header=BB924_213 Depth=1
	s_or_b64 exec, exec, s[14:15]
.LBB924_477:                            ;   in Loop: Header=BB924_213 Depth=1
	s_or_b64 exec, exec, s[12:13]
	s_waitcnt vmcnt(0)
	v_cmp_ne_u16_sdwa s[14:15], v38, v43 src0_sel:BYTE_0 src1_sel:DWORD
	s_and_saveexec_b64 s[12:13], s[14:15]
	s_cbranch_execz .LBB924_483
; %bb.478:                              ;   in Loop: Header=BB924_213 Depth=1
	v_cmp_ne_u16_sdwa s[16:17], v38, s9 src0_sel:BYTE_0 src1_sel:DWORD
	v_mov_b32_e32 v49, 0xffff8000
	s_and_saveexec_b64 s[14:15], s[16:17]
	s_cbranch_execz .LBB924_482
; %bb.479:                              ;   in Loop: Header=BB924_213 Depth=1
	v_and_b32_e32 v40, 0x7f, v38
	v_cmp_ne_u32_e32 vcc, s21, v40
	v_mov_b32_e32 v49, 0x7f80
	s_and_saveexec_b64 s[16:17], vcc
	s_cbranch_execz .LBB924_481
; %bb.480:                              ;   in Loop: Header=BB924_213 Depth=1
	v_and_b32_e32 v42, 7, v38
	v_ffbh_u32_e32 v49, v42
	v_min_u32_e32 v49, 32, v49
	v_subrev_u32_e32 v51, 28, v49
	v_lshlrev_b64 v[52:53], v51, v[38:39]
	v_lshrrev_b32_e32 v47, 3, v40
	v_sub_u32_e32 v49, 29, v49
	v_and_b32_e32 v51, 7, v52
	v_cmp_gt_u32_e32 vcc, 8, v40
	v_cndmask_b32_e32 v40, v47, v49, vcc
	v_cndmask_b32_e32 v42, v42, v51, vcc
	v_lshlrev_b32_e32 v47, 24, v38
	v_lshlrev_b32_e32 v42, 20, v42
	v_and_b32_e32 v47, 0x80000000, v47
	v_lshl_add_u32 v40, v40, 23, v45
	v_or3_b32 v40, v47, v40, v42
	v_lshrrev_b32_e32 v49, 16, v40
.LBB924_481:                            ;   in Loop: Header=BB924_213 Depth=1
	s_or_b64 exec, exec, s[16:17]
.LBB924_482:                            ;   in Loop: Header=BB924_213 Depth=1
	s_or_b64 exec, exec, s[14:15]
.LBB924_483:                            ;   in Loop: Header=BB924_213 Depth=1
	s_or_b64 exec, exec, s[12:13]
	v_lshrrev_b16_e32 v40, 8, v38
	v_cmp_ne_u16_e32 vcc, 0, v40
	v_mov_b32_e32 v52, 0
	v_mov_b32_e32 v51, 0
	s_and_saveexec_b64 s[12:13], vcc
	s_cbranch_execz .LBB924_489
; %bb.484:                              ;   in Loop: Header=BB924_213 Depth=1
	v_cmp_ne_u16_e32 vcc, s9, v40
	v_mov_b32_e32 v51, 0xffff8000
	s_and_saveexec_b64 s[14:15], vcc
	s_cbranch_execz .LBB924_488
; %bb.485:                              ;   in Loop: Header=BB924_213 Depth=1
	v_and_b32_e32 v42, 0x7f, v40
	v_cmp_ne_u32_e32 vcc, s21, v42
	v_mov_b32_e32 v51, 0x7f80
	s_and_saveexec_b64 s[16:17], vcc
	s_cbranch_execz .LBB924_487
; %bb.486:                              ;   in Loop: Header=BB924_213 Depth=1
	v_and_b32_e32 v47, 7, v40
	v_ffbh_u32_e32 v53, v47
	v_min_u32_e32 v53, 32, v53
	v_subrev_u32_e32 v62, 28, v53
	v_lshlrev_b64 v[62:63], v62, v[40:41]
	v_lshrrev_b32_e32 v51, 3, v42
	v_sub_u32_e32 v40, 29, v53
	v_and_b32_e32 v53, 7, v62
	v_cmp_gt_u32_e32 vcc, 8, v42
	v_cndmask_b32_e32 v40, v51, v40, vcc
	v_cndmask_b32_e32 v42, v47, v53, vcc
	v_lshlrev_b32_e32 v47, 16, v38
	v_lshlrev_b32_e32 v42, 20, v42
	v_and_b32_e32 v47, 0x80000000, v47
	v_lshl_add_u32 v40, v40, 23, v45
	v_or3_b32 v40, v47, v40, v42
	v_lshrrev_b32_e32 v51, 16, v40
.LBB924_487:                            ;   in Loop: Header=BB924_213 Depth=1
	s_or_b64 exec, exec, s[16:17]
.LBB924_488:                            ;   in Loop: Header=BB924_213 Depth=1
	s_or_b64 exec, exec, s[14:15]
.LBB924_489:                            ;   in Loop: Header=BB924_213 Depth=1
	s_or_b64 exec, exec, s[12:13]
	v_lshrrev_b32_e32 v40, 16, v38
	v_cmp_ne_u16_sdwa s[14:15], v40, v43 src0_sel:BYTE_0 src1_sel:DWORD
	s_and_saveexec_b64 s[12:13], s[14:15]
	s_cbranch_execz .LBB924_495
; %bb.490:                              ;   in Loop: Header=BB924_213 Depth=1
	v_cmp_ne_u16_sdwa s[16:17], v40, s9 src0_sel:BYTE_0 src1_sel:DWORD
	v_mov_b32_e32 v52, 0xffff8000
	s_and_saveexec_b64 s[14:15], s[16:17]
	s_cbranch_execz .LBB924_494
; %bb.491:                              ;   in Loop: Header=BB924_213 Depth=1
	v_bfe_u32 v42, v38, 16, 7
	v_cmp_ne_u32_e32 vcc, s21, v42
	v_mov_b32_e32 v52, 0x7f80
	s_and_saveexec_b64 s[16:17], vcc
	s_cbranch_execz .LBB924_493
; %bb.492:                              ;   in Loop: Header=BB924_213 Depth=1
	v_and_b32_e32 v47, 7, v40
	v_ffbh_u32_e32 v52, v47
	v_min_u32_e32 v63, 32, v52
	v_subrev_u32_e32 v52, 28, v63
	v_lshlrev_b64 v[52:53], v52, v[40:41]
	v_lshrrev_b32_e32 v62, 3, v42
	v_sub_u32_e32 v53, 29, v63
	v_and_b32_e32 v52, 7, v52
	v_cmp_gt_u32_e32 vcc, 8, v42
	v_cndmask_b32_e32 v42, v62, v53, vcc
	v_cndmask_b32_e32 v47, v47, v52, vcc
	v_lshlrev_b32_e32 v40, 24, v40
	v_lshlrev_b32_e32 v47, 20, v47
	v_and_b32_e32 v40, 0x80000000, v40
	v_lshl_add_u32 v42, v42, 23, v45
	v_or3_b32 v40, v40, v42, v47
	v_lshrrev_b32_e32 v52, 16, v40
.LBB924_493:                            ;   in Loop: Header=BB924_213 Depth=1
	s_or_b64 exec, exec, s[16:17]
.LBB924_494:                            ;   in Loop: Header=BB924_213 Depth=1
	s_or_b64 exec, exec, s[14:15]
.LBB924_495:                            ;   in Loop: Header=BB924_213 Depth=1
	s_or_b64 exec, exec, s[12:13]
	v_cmp_lt_u32_e32 vcc, s22, v38
	v_mov_b32_e32 v47, 0
	v_mov_b32_e32 v53, 0
	s_and_saveexec_b64 s[12:13], vcc
	s_cbranch_execz .LBB924_501
; %bb.496:                              ;   in Loop: Header=BB924_213 Depth=1
	v_lshrrev_b32_e32 v40, 24, v38
	v_cmp_ne_u32_e32 vcc, s9, v40
	v_mov_b32_e32 v53, 0xffff8000
	s_and_saveexec_b64 s[14:15], vcc
	s_cbranch_execz .LBB924_500
; %bb.497:                              ;   in Loop: Header=BB924_213 Depth=1
	v_bfe_u32 v38, v38, 24, 7
	v_cmp_ne_u32_e32 vcc, s21, v38
	v_mov_b32_e32 v53, 0x7f80
	s_and_saveexec_b64 s[16:17], vcc
	s_cbranch_execz .LBB924_499
; %bb.498:                              ;   in Loop: Header=BB924_213 Depth=1
	v_and_b32_e32 v42, 7, v40
	v_ffbh_u32_e32 v62, v42
	v_min_u32_e32 v64, 32, v62
	v_subrev_u32_e32 v62, 28, v64
	v_lshlrev_b64 v[62:63], v62, v[40:41]
	v_lshrrev_b32_e32 v53, 3, v38
	v_sub_u32_e32 v63, 29, v64
	v_and_b32_e32 v62, 7, v62
	v_cmp_gt_u32_e32 vcc, 8, v38
	v_cndmask_b32_e32 v38, v53, v63, vcc
	v_cndmask_b32_e32 v42, v42, v62, vcc
	v_lshlrev_b32_e32 v40, 24, v40
	v_lshlrev_b32_e32 v42, 20, v42
	v_and_b32_e32 v40, 0x80000000, v40
	v_lshl_add_u32 v38, v38, 23, v45
	v_or3_b32 v38, v40, v38, v42
	v_lshrrev_b32_e32 v53, 16, v38
.LBB924_499:                            ;   in Loop: Header=BB924_213 Depth=1
	s_or_b64 exec, exec, s[16:17]
.LBB924_500:                            ;   in Loop: Header=BB924_213 Depth=1
	s_or_b64 exec, exec, s[14:15]
.LBB924_501:                            ;   in Loop: Header=BB924_213 Depth=1
	s_or_b64 exec, exec, s[12:13]
	v_perm_b32 v62, v44, v46, s23
	buffer_load_dword v44, v61, s[0:3], 0 offen
	buffer_load_dword v42, v61, s[0:3], 0 offen offset:4
	buffer_load_dword v40, v61, s[0:3], 0 offen offset:8
	buffer_load_dword v38, v61, s[0:3], 0 offen offset:12
	v_perm_b32 v63, v50, v48, s23
	v_perm_b32 v53, v53, v52, s23
	;; [unrolled: 1-line block ×3, first 2 shown]
	v_mfma_f32_16x16x16bf16_1k v[34:37], v[62:63], v[22:23], v[34:37]
	s_waitcnt vmcnt(3)
	v_cmp_ne_u16_sdwa s[14:15], v44, v43 src0_sel:BYTE_0 src1_sel:DWORD
	v_mfma_f32_16x16x16bf16_1k v[34:37], v[52:53], v[24:25], v[34:37]
	s_and_saveexec_b64 s[12:13], s[14:15]
	s_cbranch_execz .LBB924_507
; %bb.502:                              ;   in Loop: Header=BB924_213 Depth=1
	v_cmp_ne_u16_sdwa s[16:17], v44, s9 src0_sel:BYTE_0 src1_sel:DWORD
	v_mov_b32_e32 v47, 0xffff8000
	s_and_saveexec_b64 s[14:15], s[16:17]
	s_cbranch_execz .LBB924_506
; %bb.503:                              ;   in Loop: Header=BB924_213 Depth=1
	v_and_b32_e32 v46, 0x7f, v44
	v_cmp_ne_u32_e32 vcc, s21, v46
	v_mov_b32_e32 v47, 0x7f80
	s_and_saveexec_b64 s[16:17], vcc
	s_cbranch_execz .LBB924_505
; %bb.504:                              ;   in Loop: Header=BB924_213 Depth=1
	v_and_b32_e32 v47, 7, v44
	v_ffbh_u32_e32 v48, v47
	v_min_u32_e32 v51, 32, v48
	v_subrev_u32_e32 v48, 28, v51
	v_lshlrev_b64 v[48:49], v48, v[44:45]
	v_lshrrev_b32_e32 v50, 3, v46
	v_sub_u32_e32 v49, 29, v51
	v_and_b32_e32 v48, 7, v48
	v_cmp_gt_u32_e32 vcc, 8, v46
	v_cndmask_b32_e32 v46, v50, v49, vcc
	v_cndmask_b32_e32 v47, v47, v48, vcc
	v_lshlrev_b32_e32 v48, 24, v44
	v_lshlrev_b32_e32 v47, 20, v47
	v_and_b32_e32 v48, 0x80000000, v48
	v_lshl_add_u32 v46, v46, 23, v45
	v_or3_b32 v46, v48, v46, v47
	v_lshrrev_b32_e32 v47, 16, v46
.LBB924_505:                            ;   in Loop: Header=BB924_213 Depth=1
	s_or_b64 exec, exec, s[16:17]
.LBB924_506:                            ;   in Loop: Header=BB924_213 Depth=1
	s_or_b64 exec, exec, s[14:15]
.LBB924_507:                            ;   in Loop: Header=BB924_213 Depth=1
	s_or_b64 exec, exec, s[12:13]
	v_lshrrev_b16_e32 v46, 8, v44
	v_cmp_ne_u16_e32 vcc, 0, v46
	v_mov_b32_e32 v49, 0
	v_mov_b32_e32 v48, 0
	s_and_saveexec_b64 s[12:13], vcc
	s_cbranch_execz .LBB924_513
; %bb.508:                              ;   in Loop: Header=BB924_213 Depth=1
	v_cmp_ne_u16_e32 vcc, s9, v46
	v_mov_b32_e32 v48, 0xffff8000
	s_and_saveexec_b64 s[14:15], vcc
	s_cbranch_execz .LBB924_512
; %bb.509:                              ;   in Loop: Header=BB924_213 Depth=1
	v_and_b32_e32 v50, 0x7f, v46
	v_cmp_ne_u32_e32 vcc, s21, v50
	v_mov_b32_e32 v48, 0x7f80
	s_and_saveexec_b64 s[16:17], vcc
	s_cbranch_execz .LBB924_511
; %bb.510:                              ;   in Loop: Header=BB924_213 Depth=1
	v_and_b32_e32 v48, 7, v46
	v_ffbh_u32_e32 v52, v48
	v_min_u32_e32 v61, 32, v52
	v_subrev_u32_e32 v52, 28, v61
	v_lshlrev_b64 v[52:53], v52, v[46:47]
	v_lshrrev_b32_e32 v51, 3, v50
	v_sub_u32_e32 v46, 29, v61
	v_and_b32_e32 v52, 7, v52
	v_cmp_gt_u32_e32 vcc, 8, v50
	v_cndmask_b32_e32 v46, v51, v46, vcc
	v_cndmask_b32_e32 v48, v48, v52, vcc
	v_lshlrev_b32_e32 v50, 16, v44
	v_lshlrev_b32_e32 v48, 20, v48
	v_and_b32_e32 v50, 0x80000000, v50
	v_lshl_add_u32 v46, v46, 23, v45
	v_or3_b32 v46, v50, v46, v48
	v_lshrrev_b32_e32 v48, 16, v46
.LBB924_511:                            ;   in Loop: Header=BB924_213 Depth=1
	s_or_b64 exec, exec, s[16:17]
.LBB924_512:                            ;   in Loop: Header=BB924_213 Depth=1
	s_or_b64 exec, exec, s[14:15]
.LBB924_513:                            ;   in Loop: Header=BB924_213 Depth=1
	s_or_b64 exec, exec, s[12:13]
	v_lshrrev_b32_e32 v46, 16, v44
	v_cmp_ne_u16_sdwa s[14:15], v46, v43 src0_sel:BYTE_0 src1_sel:DWORD
	s_and_saveexec_b64 s[12:13], s[14:15]
	s_cbranch_execz .LBB924_519
; %bb.514:                              ;   in Loop: Header=BB924_213 Depth=1
	v_cmp_ne_u16_sdwa s[16:17], v46, s9 src0_sel:BYTE_0 src1_sel:DWORD
	v_mov_b32_e32 v49, 0xffff8000
	s_and_saveexec_b64 s[14:15], s[16:17]
	s_cbranch_execz .LBB924_518
; %bb.515:                              ;   in Loop: Header=BB924_213 Depth=1
	v_bfe_u32 v50, v44, 16, 7
	v_cmp_ne_u32_e32 vcc, s21, v50
	v_mov_b32_e32 v49, 0x7f80
	s_and_saveexec_b64 s[16:17], vcc
	s_cbranch_execz .LBB924_517
; %bb.516:                              ;   in Loop: Header=BB924_213 Depth=1
	v_and_b32_e32 v49, 7, v46
	v_ffbh_u32_e32 v52, v49
	v_min_u32_e32 v61, 32, v52
	v_subrev_u32_e32 v52, 28, v61
	v_lshlrev_b64 v[52:53], v52, v[46:47]
	v_lshrrev_b32_e32 v51, 3, v50
	v_sub_u32_e32 v53, 29, v61
	v_and_b32_e32 v52, 7, v52
	v_cmp_gt_u32_e32 vcc, 8, v50
	v_cndmask_b32_e32 v50, v51, v53, vcc
	v_cndmask_b32_e32 v49, v49, v52, vcc
	v_lshlrev_b32_e32 v46, 24, v46
	v_lshlrev_b32_e32 v49, 20, v49
	v_and_b32_e32 v46, 0x80000000, v46
	v_lshl_add_u32 v50, v50, 23, v45
	v_or3_b32 v46, v46, v50, v49
	v_lshrrev_b32_e32 v49, 16, v46
.LBB924_517:                            ;   in Loop: Header=BB924_213 Depth=1
	s_or_b64 exec, exec, s[16:17]
.LBB924_518:                            ;   in Loop: Header=BB924_213 Depth=1
	s_or_b64 exec, exec, s[14:15]
.LBB924_519:                            ;   in Loop: Header=BB924_213 Depth=1
	s_or_b64 exec, exec, s[12:13]
	v_cmp_lt_u32_e32 vcc, s22, v44
	v_mov_b32_e32 v50, 0
	v_mov_b32_e32 v51, 0
	s_and_saveexec_b64 s[12:13], vcc
	s_cbranch_execz .LBB924_525
; %bb.520:                              ;   in Loop: Header=BB924_213 Depth=1
	v_lshrrev_b32_e32 v46, 24, v44
	v_cmp_ne_u32_e32 vcc, s9, v46
	v_mov_b32_e32 v51, 0xffff8000
	s_and_saveexec_b64 s[14:15], vcc
	s_cbranch_execz .LBB924_524
; %bb.521:                              ;   in Loop: Header=BB924_213 Depth=1
	v_bfe_u32 v44, v44, 24, 7
	v_cmp_ne_u32_e32 vcc, s21, v44
	v_mov_b32_e32 v51, 0x7f80
	s_and_saveexec_b64 s[16:17], vcc
	s_cbranch_execz .LBB924_523
; %bb.522:                              ;   in Loop: Header=BB924_213 Depth=1
	v_and_b32_e32 v51, 7, v46
	v_ffbh_u32_e32 v52, v51
	v_min_u32_e32 v62, 32, v52
	v_subrev_u32_e32 v52, 28, v62
	v_lshlrev_b64 v[52:53], v52, v[46:47]
	v_lshrrev_b32_e32 v61, 3, v44
	v_sub_u32_e32 v53, 29, v62
	v_and_b32_e32 v52, 7, v52
	v_cmp_gt_u32_e32 vcc, 8, v44
	v_cndmask_b32_e32 v44, v61, v53, vcc
	v_cndmask_b32_e32 v51, v51, v52, vcc
	v_lshlrev_b32_e32 v46, 24, v46
	v_lshlrev_b32_e32 v51, 20, v51
	v_and_b32_e32 v46, 0x80000000, v46
	v_lshl_add_u32 v44, v44, 23, v45
	v_or3_b32 v44, v46, v44, v51
	v_lshrrev_b32_e32 v51, 16, v44
.LBB924_523:                            ;   in Loop: Header=BB924_213 Depth=1
	s_or_b64 exec, exec, s[16:17]
.LBB924_524:                            ;   in Loop: Header=BB924_213 Depth=1
	s_or_b64 exec, exec, s[14:15]
.LBB924_525:                            ;   in Loop: Header=BB924_213 Depth=1
	s_or_b64 exec, exec, s[12:13]
	s_waitcnt vmcnt(2)
	v_cmp_ne_u16_sdwa s[14:15], v42, v43 src0_sel:BYTE_0 src1_sel:DWORD
	s_and_saveexec_b64 s[12:13], s[14:15]
	s_cbranch_execz .LBB924_531
; %bb.526:                              ;   in Loop: Header=BB924_213 Depth=1
	v_cmp_ne_u16_sdwa s[16:17], v42, s9 src0_sel:BYTE_0 src1_sel:DWORD
	v_mov_b32_e32 v50, 0xffff8000
	s_and_saveexec_b64 s[14:15], s[16:17]
	s_cbranch_execz .LBB924_530
; %bb.527:                              ;   in Loop: Header=BB924_213 Depth=1
	v_and_b32_e32 v44, 0x7f, v42
	v_cmp_ne_u32_e32 vcc, s21, v44
	v_mov_b32_e32 v50, 0x7f80
	s_and_saveexec_b64 s[16:17], vcc
	s_cbranch_execz .LBB924_529
; %bb.528:                              ;   in Loop: Header=BB924_213 Depth=1
	v_and_b32_e32 v46, 7, v42
	v_ffbh_u32_e32 v52, v46
	v_min_u32_e32 v61, 32, v52
	v_subrev_u32_e32 v52, 28, v61
	v_lshlrev_b64 v[52:53], v52, v[42:43]
	v_lshrrev_b32_e32 v50, 3, v44
	v_sub_u32_e32 v53, 29, v61
	v_and_b32_e32 v52, 7, v52
	v_cmp_gt_u32_e32 vcc, 8, v44
	v_cndmask_b32_e32 v44, v50, v53, vcc
	v_cndmask_b32_e32 v46, v46, v52, vcc
	v_lshlrev_b32_e32 v50, 24, v42
	v_lshlrev_b32_e32 v46, 20, v46
	v_and_b32_e32 v50, 0x80000000, v50
	v_lshl_add_u32 v44, v44, 23, v45
	v_or3_b32 v44, v50, v44, v46
	v_lshrrev_b32_e32 v50, 16, v44
.LBB924_529:                            ;   in Loop: Header=BB924_213 Depth=1
	s_or_b64 exec, exec, s[16:17]
.LBB924_530:                            ;   in Loop: Header=BB924_213 Depth=1
	s_or_b64 exec, exec, s[14:15]
.LBB924_531:                            ;   in Loop: Header=BB924_213 Depth=1
	s_or_b64 exec, exec, s[12:13]
	v_lshrrev_b16_e32 v44, 8, v42
	v_cmp_ne_u16_e32 vcc, 0, v44
	v_mov_b32_e32 v53, 0
	v_mov_b32_e32 v52, 0
	s_and_saveexec_b64 s[12:13], vcc
	s_cbranch_execz .LBB924_537
; %bb.532:                              ;   in Loop: Header=BB924_213 Depth=1
	v_cmp_ne_u16_e32 vcc, s9, v44
	v_mov_b32_e32 v52, 0xffff8000
	s_and_saveexec_b64 s[14:15], vcc
	s_cbranch_execz .LBB924_536
; %bb.533:                              ;   in Loop: Header=BB924_213 Depth=1
	v_and_b32_e32 v46, 0x7f, v44
	v_cmp_ne_u32_e32 vcc, s21, v46
	v_mov_b32_e32 v52, 0x7f80
	s_and_saveexec_b64 s[16:17], vcc
	s_cbranch_execz .LBB924_535
; %bb.534:                              ;   in Loop: Header=BB924_213 Depth=1
	v_and_b32_e32 v52, 7, v44
	v_ffbh_u32_e32 v62, v52
	v_min_u32_e32 v64, 32, v62
	v_subrev_u32_e32 v62, 28, v64
	v_lshlrev_b64 v[62:63], v62, v[44:45]
	v_lshrrev_b32_e32 v61, 3, v46
	v_sub_u32_e32 v44, 29, v64
	v_and_b32_e32 v62, 7, v62
	v_cmp_gt_u32_e32 vcc, 8, v46
	v_cndmask_b32_e32 v44, v61, v44, vcc
	v_cndmask_b32_e32 v46, v52, v62, vcc
	v_lshlrev_b32_e32 v52, 16, v42
	v_lshlrev_b32_e32 v46, 20, v46
	v_and_b32_e32 v52, 0x80000000, v52
	v_lshl_add_u32 v44, v44, 23, v45
	v_or3_b32 v44, v52, v44, v46
	v_lshrrev_b32_e32 v52, 16, v44
.LBB924_535:                            ;   in Loop: Header=BB924_213 Depth=1
	s_or_b64 exec, exec, s[16:17]
.LBB924_536:                            ;   in Loop: Header=BB924_213 Depth=1
	s_or_b64 exec, exec, s[14:15]
.LBB924_537:                            ;   in Loop: Header=BB924_213 Depth=1
	s_or_b64 exec, exec, s[12:13]
	v_lshrrev_b32_e32 v44, 16, v42
	v_cmp_ne_u16_sdwa s[14:15], v44, v43 src0_sel:BYTE_0 src1_sel:DWORD
	s_and_saveexec_b64 s[12:13], s[14:15]
	s_cbranch_execz .LBB924_543
; %bb.538:                              ;   in Loop: Header=BB924_213 Depth=1
	v_cmp_ne_u16_sdwa s[16:17], v44, s9 src0_sel:BYTE_0 src1_sel:DWORD
	v_mov_b32_e32 v53, 0xffff8000
	s_and_saveexec_b64 s[14:15], s[16:17]
	s_cbranch_execz .LBB924_542
; %bb.539:                              ;   in Loop: Header=BB924_213 Depth=1
	v_bfe_u32 v46, v42, 16, 7
	v_cmp_ne_u32_e32 vcc, s21, v46
	v_mov_b32_e32 v53, 0x7f80
	s_and_saveexec_b64 s[16:17], vcc
	s_cbranch_execz .LBB924_541
; %bb.540:                              ;   in Loop: Header=BB924_213 Depth=1
	v_and_b32_e32 v53, 7, v44
	v_ffbh_u32_e32 v62, v53
	v_min_u32_e32 v64, 32, v62
	v_subrev_u32_e32 v62, 28, v64
	v_lshlrev_b64 v[62:63], v62, v[44:45]
	v_lshrrev_b32_e32 v61, 3, v46
	v_sub_u32_e32 v63, 29, v64
	v_and_b32_e32 v62, 7, v62
	v_cmp_gt_u32_e32 vcc, 8, v46
	v_cndmask_b32_e32 v46, v61, v63, vcc
	v_cndmask_b32_e32 v53, v53, v62, vcc
	v_lshlrev_b32_e32 v44, 24, v44
	v_lshlrev_b32_e32 v53, 20, v53
	v_and_b32_e32 v44, 0x80000000, v44
	v_lshl_add_u32 v46, v46, 23, v45
	v_or3_b32 v44, v44, v46, v53
	v_lshrrev_b32_e32 v53, 16, v44
.LBB924_541:                            ;   in Loop: Header=BB924_213 Depth=1
	s_or_b64 exec, exec, s[16:17]
.LBB924_542:                            ;   in Loop: Header=BB924_213 Depth=1
	s_or_b64 exec, exec, s[14:15]
.LBB924_543:                            ;   in Loop: Header=BB924_213 Depth=1
	s_or_b64 exec, exec, s[12:13]
	v_cmp_lt_u32_e32 vcc, s22, v42
	v_mov_b32_e32 v46, 0
	v_mov_b32_e32 v61, 0
	s_and_saveexec_b64 s[12:13], vcc
	s_cbranch_execz .LBB924_549
; %bb.544:                              ;   in Loop: Header=BB924_213 Depth=1
	v_lshrrev_b32_e32 v44, 24, v42
	v_cmp_ne_u32_e32 vcc, s9, v44
	v_mov_b32_e32 v61, 0xffff8000
	s_and_saveexec_b64 s[14:15], vcc
	s_cbranch_execz .LBB924_548
; %bb.545:                              ;   in Loop: Header=BB924_213 Depth=1
	v_bfe_u32 v42, v42, 24, 7
	v_cmp_ne_u32_e32 vcc, s21, v42
	v_mov_b32_e32 v61, 0x7f80
	s_and_saveexec_b64 s[16:17], vcc
	s_cbranch_execz .LBB924_547
; %bb.546:                              ;   in Loop: Header=BB924_213 Depth=1
	v_and_b32_e32 v61, 7, v44
	v_ffbh_u32_e32 v62, v61
	v_min_u32_e32 v65, 32, v62
	v_subrev_u32_e32 v62, 28, v65
	v_lshlrev_b64 v[62:63], v62, v[44:45]
	v_lshrrev_b32_e32 v64, 3, v42
	v_sub_u32_e32 v63, 29, v65
	v_and_b32_e32 v62, 7, v62
	v_cmp_gt_u32_e32 vcc, 8, v42
	v_cndmask_b32_e32 v42, v64, v63, vcc
	v_cndmask_b32_e32 v61, v61, v62, vcc
	v_lshlrev_b32_e32 v44, 24, v44
	v_lshlrev_b32_e32 v61, 20, v61
	v_and_b32_e32 v44, 0x80000000, v44
	v_lshl_add_u32 v42, v42, 23, v45
	v_or3_b32 v42, v44, v42, v61
	v_lshrrev_b32_e32 v61, 16, v42
.LBB924_547:                            ;   in Loop: Header=BB924_213 Depth=1
	s_or_b64 exec, exec, s[16:17]
.LBB924_548:                            ;   in Loop: Header=BB924_213 Depth=1
	s_or_b64 exec, exec, s[14:15]
.LBB924_549:                            ;   in Loop: Header=BB924_213 Depth=1
	s_or_b64 exec, exec, s[12:13]
	v_perm_b32 v49, v51, v49, s23
	v_perm_b32 v48, v48, v47, s23
	s_waitcnt vmcnt(1)
	v_cmp_ne_u16_sdwa s[14:15], v40, v43 src0_sel:BYTE_0 src1_sel:DWORD
	v_mfma_f32_16x16x16bf16_1k v[34:37], v[48:49], v[26:27], v[34:37]
	v_perm_b32 v49, v61, v53, s23
	v_perm_b32 v48, v52, v50, s23
	s_nop 1
	v_mfma_f32_16x16x16bf16_1k v[34:37], v[48:49], v[28:29], v[34:37]
	s_and_saveexec_b64 s[12:13], s[14:15]
	s_cbranch_execz .LBB924_555
; %bb.550:                              ;   in Loop: Header=BB924_213 Depth=1
	v_cmp_ne_u16_sdwa s[16:17], v40, s9 src0_sel:BYTE_0 src1_sel:DWORD
	v_mov_b32_e32 v46, 0xffff8000
	s_and_saveexec_b64 s[14:15], s[16:17]
	s_cbranch_execz .LBB924_554
; %bb.551:                              ;   in Loop: Header=BB924_213 Depth=1
	v_and_b32_e32 v42, 0x7f, v40
	v_cmp_ne_u32_e32 vcc, s21, v42
	v_mov_b32_e32 v46, 0x7f80
	s_and_saveexec_b64 s[16:17], vcc
	s_cbranch_execz .LBB924_553
; %bb.552:                              ;   in Loop: Header=BB924_213 Depth=1
	v_and_b32_e32 v44, 7, v40
	v_ffbh_u32_e32 v46, v44
	v_min_u32_e32 v49, 32, v46
	v_subrev_u32_e32 v46, 28, v49
	v_lshlrev_b64 v[46:47], v46, v[40:41]
	v_lshrrev_b32_e32 v48, 3, v42
	v_sub_u32_e32 v47, 29, v49
	v_and_b32_e32 v46, 7, v46
	v_cmp_gt_u32_e32 vcc, 8, v42
	v_cndmask_b32_e32 v42, v48, v47, vcc
	v_cndmask_b32_e32 v44, v44, v46, vcc
	v_lshlrev_b32_e32 v46, 24, v40
	v_lshlrev_b32_e32 v44, 20, v44
	v_and_b32_e32 v46, 0x80000000, v46
	v_lshl_add_u32 v42, v42, 23, v45
	v_or3_b32 v42, v46, v42, v44
	v_lshrrev_b32_e32 v46, 16, v42
.LBB924_553:                            ;   in Loop: Header=BB924_213 Depth=1
	s_or_b64 exec, exec, s[16:17]
.LBB924_554:                            ;   in Loop: Header=BB924_213 Depth=1
	s_or_b64 exec, exec, s[14:15]
.LBB924_555:                            ;   in Loop: Header=BB924_213 Depth=1
	s_or_b64 exec, exec, s[12:13]
	v_lshrrev_b16_e32 v42, 8, v40
	v_cmp_ne_u16_e32 vcc, 0, v42
	v_mov_b32_e32 v47, 0
	v_mov_b32_e32 v44, 0
	s_and_saveexec_b64 s[12:13], vcc
	s_cbranch_execz .LBB924_561
; %bb.556:                              ;   in Loop: Header=BB924_213 Depth=1
	v_cmp_ne_u16_e32 vcc, s9, v42
	v_mov_b32_e32 v44, 0xffff8000
	s_and_saveexec_b64 s[14:15], vcc
	s_cbranch_execz .LBB924_560
; %bb.557:                              ;   in Loop: Header=BB924_213 Depth=1
	v_and_b32_e32 v48, 0x7f, v42
	v_cmp_ne_u32_e32 vcc, s21, v48
	v_mov_b32_e32 v44, 0x7f80
	s_and_saveexec_b64 s[16:17], vcc
	s_cbranch_execz .LBB924_559
; %bb.558:                              ;   in Loop: Header=BB924_213 Depth=1
	v_and_b32_e32 v44, 7, v42
	v_ffbh_u32_e32 v50, v44
	v_min_u32_e32 v52, 32, v50
	v_subrev_u32_e32 v50, 28, v52
	v_lshlrev_b64 v[50:51], v50, v[42:43]
	v_lshrrev_b32_e32 v49, 3, v48
	v_sub_u32_e32 v42, 29, v52
	v_and_b32_e32 v50, 7, v50
	v_cmp_gt_u32_e32 vcc, 8, v48
	v_cndmask_b32_e32 v42, v49, v42, vcc
	v_cndmask_b32_e32 v44, v44, v50, vcc
	v_lshlrev_b32_e32 v48, 16, v40
	v_lshlrev_b32_e32 v44, 20, v44
	v_and_b32_e32 v48, 0x80000000, v48
	v_lshl_add_u32 v42, v42, 23, v45
	v_or3_b32 v42, v48, v42, v44
	v_lshrrev_b32_e32 v44, 16, v42
.LBB924_559:                            ;   in Loop: Header=BB924_213 Depth=1
	s_or_b64 exec, exec, s[16:17]
.LBB924_560:                            ;   in Loop: Header=BB924_213 Depth=1
	s_or_b64 exec, exec, s[14:15]
.LBB924_561:                            ;   in Loop: Header=BB924_213 Depth=1
	s_or_b64 exec, exec, s[12:13]
	v_lshrrev_b32_e32 v42, 16, v40
	v_cmp_ne_u16_sdwa s[14:15], v42, v43 src0_sel:BYTE_0 src1_sel:DWORD
	s_and_saveexec_b64 s[12:13], s[14:15]
	s_cbranch_execz .LBB924_567
; %bb.562:                              ;   in Loop: Header=BB924_213 Depth=1
	v_cmp_ne_u16_sdwa s[16:17], v42, s9 src0_sel:BYTE_0 src1_sel:DWORD
	v_mov_b32_e32 v47, 0xffff8000
	s_and_saveexec_b64 s[14:15], s[16:17]
	s_cbranch_execz .LBB924_566
; %bb.563:                              ;   in Loop: Header=BB924_213 Depth=1
	v_bfe_u32 v48, v40, 16, 7
	v_cmp_ne_u32_e32 vcc, s21, v48
	v_mov_b32_e32 v47, 0x7f80
	s_and_saveexec_b64 s[16:17], vcc
	s_cbranch_execz .LBB924_565
; %bb.564:                              ;   in Loop: Header=BB924_213 Depth=1
	v_and_b32_e32 v47, 7, v42
	v_ffbh_u32_e32 v50, v47
	v_min_u32_e32 v52, 32, v50
	v_subrev_u32_e32 v50, 28, v52
	v_lshlrev_b64 v[50:51], v50, v[42:43]
	v_lshrrev_b32_e32 v49, 3, v48
	v_sub_u32_e32 v51, 29, v52
	v_and_b32_e32 v50, 7, v50
	v_cmp_gt_u32_e32 vcc, 8, v48
	v_cndmask_b32_e32 v48, v49, v51, vcc
	v_cndmask_b32_e32 v47, v47, v50, vcc
	v_lshlrev_b32_e32 v42, 24, v42
	v_lshlrev_b32_e32 v47, 20, v47
	v_and_b32_e32 v42, 0x80000000, v42
	v_lshl_add_u32 v48, v48, 23, v45
	v_or3_b32 v42, v42, v48, v47
	v_lshrrev_b32_e32 v47, 16, v42
.LBB924_565:                            ;   in Loop: Header=BB924_213 Depth=1
	s_or_b64 exec, exec, s[16:17]
.LBB924_566:                            ;   in Loop: Header=BB924_213 Depth=1
	s_or_b64 exec, exec, s[14:15]
.LBB924_567:                            ;   in Loop: Header=BB924_213 Depth=1
	s_or_b64 exec, exec, s[12:13]
	v_cmp_lt_u32_e32 vcc, s22, v40
	v_mov_b32_e32 v48, 0
	v_mov_b32_e32 v49, 0
	s_and_saveexec_b64 s[12:13], vcc
	s_cbranch_execz .LBB924_573
; %bb.568:                              ;   in Loop: Header=BB924_213 Depth=1
	v_lshrrev_b32_e32 v42, 24, v40
	v_cmp_ne_u32_e32 vcc, s9, v42
	v_mov_b32_e32 v49, 0xffff8000
	s_and_saveexec_b64 s[14:15], vcc
	s_cbranch_execz .LBB924_572
; %bb.569:                              ;   in Loop: Header=BB924_213 Depth=1
	v_bfe_u32 v40, v40, 24, 7
	v_cmp_ne_u32_e32 vcc, s21, v40
	v_mov_b32_e32 v49, 0x7f80
	s_and_saveexec_b64 s[16:17], vcc
	s_cbranch_execz .LBB924_571
; %bb.570:                              ;   in Loop: Header=BB924_213 Depth=1
	v_and_b32_e32 v49, 7, v42
	v_ffbh_u32_e32 v50, v49
	v_min_u32_e32 v53, 32, v50
	v_subrev_u32_e32 v50, 28, v53
	v_lshlrev_b64 v[50:51], v50, v[42:43]
	v_lshrrev_b32_e32 v52, 3, v40
	v_sub_u32_e32 v51, 29, v53
	v_and_b32_e32 v50, 7, v50
	v_cmp_gt_u32_e32 vcc, 8, v40
	v_cndmask_b32_e32 v40, v52, v51, vcc
	v_cndmask_b32_e32 v49, v49, v50, vcc
	v_lshlrev_b32_e32 v42, 24, v42
	v_lshlrev_b32_e32 v49, 20, v49
	v_and_b32_e32 v42, 0x80000000, v42
	v_lshl_add_u32 v40, v40, 23, v45
	v_or3_b32 v40, v42, v40, v49
	v_lshrrev_b32_e32 v49, 16, v40
.LBB924_571:                            ;   in Loop: Header=BB924_213 Depth=1
	s_or_b64 exec, exec, s[16:17]
.LBB924_572:                            ;   in Loop: Header=BB924_213 Depth=1
	s_or_b64 exec, exec, s[14:15]
.LBB924_573:                            ;   in Loop: Header=BB924_213 Depth=1
	s_or_b64 exec, exec, s[12:13]
	s_waitcnt vmcnt(0)
	v_cmp_ne_u16_sdwa s[14:15], v38, v43 src0_sel:BYTE_0 src1_sel:DWORD
	s_and_saveexec_b64 s[12:13], s[14:15]
	s_cbranch_execz .LBB924_579
; %bb.574:                              ;   in Loop: Header=BB924_213 Depth=1
	v_cmp_ne_u16_sdwa s[16:17], v38, s9 src0_sel:BYTE_0 src1_sel:DWORD
	v_mov_b32_e32 v48, 0xffff8000
	s_and_saveexec_b64 s[14:15], s[16:17]
	s_cbranch_execz .LBB924_578
; %bb.575:                              ;   in Loop: Header=BB924_213 Depth=1
	v_and_b32_e32 v40, 0x7f, v38
	v_cmp_ne_u32_e32 vcc, s21, v40
	v_mov_b32_e32 v48, 0x7f80
	s_and_saveexec_b64 s[16:17], vcc
	s_cbranch_execz .LBB924_577
; %bb.576:                              ;   in Loop: Header=BB924_213 Depth=1
	v_and_b32_e32 v42, 7, v38
	v_ffbh_u32_e32 v50, v42
	v_min_u32_e32 v52, 32, v50
	v_subrev_u32_e32 v50, 28, v52
	v_lshlrev_b64 v[50:51], v50, v[38:39]
	v_lshrrev_b32_e32 v48, 3, v40
	v_sub_u32_e32 v51, 29, v52
	v_and_b32_e32 v50, 7, v50
	v_cmp_gt_u32_e32 vcc, 8, v40
	v_cndmask_b32_e32 v40, v48, v51, vcc
	v_cndmask_b32_e32 v42, v42, v50, vcc
	v_lshlrev_b32_e32 v48, 24, v38
	v_lshlrev_b32_e32 v42, 20, v42
	v_and_b32_e32 v48, 0x80000000, v48
	v_lshl_add_u32 v40, v40, 23, v45
	v_or3_b32 v40, v48, v40, v42
	v_lshrrev_b32_e32 v48, 16, v40
.LBB924_577:                            ;   in Loop: Header=BB924_213 Depth=1
	s_or_b64 exec, exec, s[16:17]
.LBB924_578:                            ;   in Loop: Header=BB924_213 Depth=1
	s_or_b64 exec, exec, s[14:15]
.LBB924_579:                            ;   in Loop: Header=BB924_213 Depth=1
	s_or_b64 exec, exec, s[12:13]
	v_lshrrev_b16_e32 v40, 8, v38
	v_cmp_ne_u16_e32 vcc, 0, v40
	v_mov_b32_e32 v50, 0
	v_mov_b32_e32 v42, 0
	s_and_saveexec_b64 s[12:13], vcc
	s_cbranch_execz .LBB924_585
; %bb.580:                              ;   in Loop: Header=BB924_213 Depth=1
	v_cmp_ne_u16_e32 vcc, s9, v40
	v_mov_b32_e32 v42, 0xffff8000
	s_and_saveexec_b64 s[14:15], vcc
	s_cbranch_execz .LBB924_584
; %bb.581:                              ;   in Loop: Header=BB924_213 Depth=1
	v_and_b32_e32 v51, 0x7f, v40
	v_cmp_ne_u32_e32 vcc, s21, v51
	v_mov_b32_e32 v42, 0x7f80
	s_and_saveexec_b64 s[16:17], vcc
	s_cbranch_execz .LBB924_583
; %bb.582:                              ;   in Loop: Header=BB924_213 Depth=1
	v_and_b32_e32 v42, 7, v40
	v_ffbh_u32_e32 v52, v42
	v_min_u32_e32 v62, 32, v52
	v_subrev_u32_e32 v52, 28, v62
	v_lshlrev_b64 v[52:53], v52, v[40:41]
	v_lshrrev_b32_e32 v61, 3, v51
	v_sub_u32_e32 v40, 29, v62
	v_and_b32_e32 v52, 7, v52
	v_cmp_gt_u32_e32 vcc, 8, v51
	v_cndmask_b32_e32 v40, v61, v40, vcc
	v_cndmask_b32_e32 v42, v42, v52, vcc
	v_lshlrev_b32_e32 v51, 16, v38
	v_lshlrev_b32_e32 v42, 20, v42
	v_and_b32_e32 v51, 0x80000000, v51
	v_lshl_add_u32 v40, v40, 23, v45
	v_or3_b32 v40, v51, v40, v42
	v_lshrrev_b32_e32 v42, 16, v40
.LBB924_583:                            ;   in Loop: Header=BB924_213 Depth=1
	s_or_b64 exec, exec, s[16:17]
.LBB924_584:                            ;   in Loop: Header=BB924_213 Depth=1
	s_or_b64 exec, exec, s[14:15]
.LBB924_585:                            ;   in Loop: Header=BB924_213 Depth=1
	s_or_b64 exec, exec, s[12:13]
	v_lshrrev_b32_e32 v40, 16, v38
	v_cmp_ne_u16_sdwa s[14:15], v40, v43 src0_sel:BYTE_0 src1_sel:DWORD
	s_and_saveexec_b64 s[12:13], s[14:15]
	s_cbranch_execz .LBB924_591
; %bb.586:                              ;   in Loop: Header=BB924_213 Depth=1
	v_cmp_ne_u16_sdwa s[16:17], v40, s9 src0_sel:BYTE_0 src1_sel:DWORD
	v_mov_b32_e32 v50, 0xffff8000
	s_and_saveexec_b64 s[14:15], s[16:17]
	s_cbranch_execz .LBB924_590
; %bb.587:                              ;   in Loop: Header=BB924_213 Depth=1
	v_bfe_u32 v51, v38, 16, 7
	v_cmp_ne_u32_e32 vcc, s21, v51
	v_mov_b32_e32 v50, 0x7f80
	s_and_saveexec_b64 s[16:17], vcc
	s_cbranch_execz .LBB924_589
; %bb.588:                              ;   in Loop: Header=BB924_213 Depth=1
	v_and_b32_e32 v50, 7, v40
	v_ffbh_u32_e32 v52, v50
	v_min_u32_e32 v62, 32, v52
	v_subrev_u32_e32 v52, 28, v62
	v_lshlrev_b64 v[52:53], v52, v[40:41]
	v_lshrrev_b32_e32 v61, 3, v51
	v_sub_u32_e32 v53, 29, v62
	v_and_b32_e32 v52, 7, v52
	v_cmp_gt_u32_e32 vcc, 8, v51
	v_cndmask_b32_e32 v51, v61, v53, vcc
	v_cndmask_b32_e32 v50, v50, v52, vcc
	v_lshlrev_b32_e32 v40, 24, v40
	v_lshlrev_b32_e32 v50, 20, v50
	v_and_b32_e32 v40, 0x80000000, v40
	v_lshl_add_u32 v51, v51, 23, v45
	v_or3_b32 v40, v40, v51, v50
	v_lshrrev_b32_e32 v50, 16, v40
.LBB924_589:                            ;   in Loop: Header=BB924_213 Depth=1
	s_or_b64 exec, exec, s[16:17]
.LBB924_590:                            ;   in Loop: Header=BB924_213 Depth=1
	s_or_b64 exec, exec, s[14:15]
.LBB924_591:                            ;   in Loop: Header=BB924_213 Depth=1
	s_or_b64 exec, exec, s[12:13]
	v_cmp_lt_u32_e32 vcc, s22, v38
	v_mov_b32_e32 v51, 0
	s_and_saveexec_b64 s[12:13], vcc
	s_cbranch_execz .LBB924_212
; %bb.592:                              ;   in Loop: Header=BB924_213 Depth=1
	v_lshrrev_b32_e32 v40, 24, v38
	v_cmp_ne_u32_e32 vcc, s9, v40
	v_mov_b32_e32 v51, 0xffff8000
	s_and_saveexec_b64 s[14:15], vcc
	s_cbranch_execz .LBB924_211
; %bb.593:                              ;   in Loop: Header=BB924_213 Depth=1
	v_bfe_u32 v38, v38, 24, 7
	v_cmp_ne_u32_e32 vcc, s21, v38
	v_mov_b32_e32 v51, 0x7f80
	s_and_saveexec_b64 s[16:17], vcc
	s_cbranch_execz .LBB924_210
; %bb.594:                              ;   in Loop: Header=BB924_213 Depth=1
	v_and_b32_e32 v51, 7, v40
	v_ffbh_u32_e32 v52, v51
	v_min_u32_e32 v62, 32, v52
	v_subrev_u32_e32 v52, 28, v62
	v_lshlrev_b64 v[52:53], v52, v[40:41]
	v_lshrrev_b32_e32 v61, 3, v38
	v_sub_u32_e32 v53, 29, v62
	v_and_b32_e32 v52, 7, v52
	v_cmp_gt_u32_e32 vcc, 8, v38
	v_cndmask_b32_e32 v38, v61, v53, vcc
	v_cndmask_b32_e32 v51, v51, v52, vcc
	v_lshlrev_b32_e32 v40, 24, v40
	v_lshlrev_b32_e32 v51, 20, v51
	v_and_b32_e32 v40, 0x80000000, v40
	v_lshl_add_u32 v38, v38, 23, v45
	v_or3_b32 v38, v40, v38, v51
	v_lshrrev_b32_e32 v51, 16, v38
	s_branch .LBB924_210
.LBB924_595:
	s_barrier
	buffer_load_dword v2, off, s[0:3], 0 offset:320
	buffer_load_dword v5, off, s[0:3], 0 offset:332
	;; [unrolled: 1-line block ×4, first 2 shown]
	v_cmp_gt_u32_e32 vcc, 64, v0
	s_waitcnt vmcnt(0)
	ds_write2st64_b64 v39, v[2:3], v[4:5] offset1:1
	s_waitcnt lgkmcnt(0)
	s_barrier
	s_and_saveexec_b64 s[4:5], vcc
	s_cbranch_execz .LBB924_598
; %bb.596:
	s_lshl_b32 s4, s50, 7
	s_mul_i32 s5, s18, s8
	s_mul_hi_u32 s9, s5, s4
	s_mul_i32 s8, s5, s4
	s_lshl_b64 s[8:9], s[8:9], 1
	v_lshlrev_b32_e32 v4, 6, v55
	s_add_u32 s5, s48, s8
	v_lshl_or_b32 v0, v0, 10, v4
	s_mov_b32 s7, 0
	s_addc_u32 s8, s49, s9
	s_lshl_b32 s6, s24, 7
	v_lshlrev_b32_e32 v2, 5, v1
	v_and_b32_e32 v3, 16, v56
	v_and_b32_e32 v0, 0x1a00, v0
	s_lshl_b64 s[6:7], s[6:7], 1
	v_or3_b32 v0, v0, v2, v3
	s_add_u32 s5, s5, s6
	ds_read_b128 v[4:7], v0 offset:256
	s_addc_u32 s6, s8, s7
	ds_read_b128 v[8:11], v0 offset:128
	ds_read_b128 v[12:15], v0
	v_add_u32_e32 v18, s25, v1
	v_mov_b32_e32 v3, s6
	v_add_co_u32_e32 v2, vcc, s5, v54
	v_mad_u64_u32 v[16:17], s[6:7], v18, s4, 0
	v_addc_co_u32_e32 v3, vcc, 0, v3, vcc
	v_lshlrev_b64 v[16:17], 1, v[16:17]
	v_add_co_u32_e32 v16, vcc, v2, v16
	v_addc_co_u32_e32 v17, vcc, v3, v17, vcc
	s_waitcnt lgkmcnt(0)
	global_store_dwordx4 v[16:17], v[12:15], off
	s_nop 0
	v_add_u32_e32 v12, 4, v18
	v_mad_u64_u32 v[12:13], s[6:7], v12, s4, 0
	v_lshlrev_b64 v[12:13], 1, v[12:13]
	v_add_co_u32_e32 v12, vcc, v2, v12
	v_addc_co_u32_e32 v13, vcc, v3, v13, vcc
	global_store_dwordx4 v[12:13], v[8:11], off
	s_nop 0
	v_add_u32_e32 v8, 8, v18
	v_mad_u64_u32 v[8:9], s[6:7], v8, s4, 0
	v_lshlrev_b64 v[8:9], 1, v[8:9]
	v_add_co_u32_e32 v8, vcc, v2, v8
	v_addc_co_u32_e32 v9, vcc, v3, v9, vcc
	v_cmp_ne_u32_e32 vcc, 3, v1
	global_store_dwordx4 v[8:9], v[4:7], off
	s_and_b64 exec, exec, vcc
	s_cbranch_execz .LBB924_598
; %bb.597:
	ds_read_b128 v[4:7], v0 offset:384
	v_add3_u32 v0, s25, v1, 12
	v_mad_u64_u32 v[0:1], s[4:5], v0, s4, 0
	v_lshlrev_b64 v[0:1], 1, v[0:1]
	v_add_co_u32_e32 v0, vcc, v2, v0
	v_addc_co_u32_e32 v1, vcc, v3, v1, vcc
	s_waitcnt lgkmcnt(0)
	global_store_dwordx4 v[0:1], v[4:7], off
.LBB924_598:
	s_endpgm
	.section	.rodata,"a",@progbits
	.p2align	6, 0x0
	.amdhsa_kernel _Z39paged_attention_ll4mi_QKV_mfma16_kernelI14__hip_bfloat16hLN4vllm18Fp8KVCacheDataTypeE1ES0_Li16ELi128ELi256ELb0ELi15EL8MFMAType0EEvPKT_PKT0_S9_ifPKiSB_SB_iPKfiiiPfSE_PS4_PT2_iSD_SD_
		.amdhsa_group_segment_fixed_size 8192
		.amdhsa_private_segment_fixed_size 352
		.amdhsa_kernarg_size 400
		.amdhsa_user_sgpr_count 8
		.amdhsa_user_sgpr_private_segment_buffer 1
		.amdhsa_user_sgpr_dispatch_ptr 0
		.amdhsa_user_sgpr_queue_ptr 0
		.amdhsa_user_sgpr_kernarg_segment_ptr 1
		.amdhsa_user_sgpr_dispatch_id 0
		.amdhsa_user_sgpr_flat_scratch_init 1
		.amdhsa_user_sgpr_kernarg_preload_length 0
		.amdhsa_user_sgpr_kernarg_preload_offset 0
		.amdhsa_user_sgpr_private_segment_size 0
		.amdhsa_uses_dynamic_stack 0
		.amdhsa_system_sgpr_private_segment_wavefront_offset 1
		.amdhsa_system_sgpr_workgroup_id_x 1
		.amdhsa_system_sgpr_workgroup_id_y 1
		.amdhsa_system_sgpr_workgroup_id_z 1
		.amdhsa_system_sgpr_workgroup_info 0
		.amdhsa_system_vgpr_workitem_id 0
		.amdhsa_next_free_vgpr 78
		.amdhsa_next_free_sgpr 53
		.amdhsa_accum_offset 80
		.amdhsa_reserve_vcc 1
		.amdhsa_reserve_flat_scratch 0
		.amdhsa_float_round_mode_32 0
		.amdhsa_float_round_mode_16_64 0
		.amdhsa_float_denorm_mode_32 3
		.amdhsa_float_denorm_mode_16_64 3
		.amdhsa_dx10_clamp 1
		.amdhsa_ieee_mode 1
		.amdhsa_fp16_overflow 0
		.amdhsa_tg_split 0
		.amdhsa_exception_fp_ieee_invalid_op 0
		.amdhsa_exception_fp_denorm_src 0
		.amdhsa_exception_fp_ieee_div_zero 0
		.amdhsa_exception_fp_ieee_overflow 0
		.amdhsa_exception_fp_ieee_underflow 0
		.amdhsa_exception_fp_ieee_inexact 0
		.amdhsa_exception_int_div_zero 0
	.end_amdhsa_kernel
	.section	.text._Z39paged_attention_ll4mi_QKV_mfma16_kernelI14__hip_bfloat16hLN4vllm18Fp8KVCacheDataTypeE1ES0_Li16ELi128ELi256ELb0ELi15EL8MFMAType0EEvPKT_PKT0_S9_ifPKiSB_SB_iPKfiiiPfSE_PS4_PT2_iSD_SD_,"axG",@progbits,_Z39paged_attention_ll4mi_QKV_mfma16_kernelI14__hip_bfloat16hLN4vllm18Fp8KVCacheDataTypeE1ES0_Li16ELi128ELi256ELb0ELi15EL8MFMAType0EEvPKT_PKT0_S9_ifPKiSB_SB_iPKfiiiPfSE_PS4_PT2_iSD_SD_,comdat
.Lfunc_end924:
	.size	_Z39paged_attention_ll4mi_QKV_mfma16_kernelI14__hip_bfloat16hLN4vllm18Fp8KVCacheDataTypeE1ES0_Li16ELi128ELi256ELb0ELi15EL8MFMAType0EEvPKT_PKT0_S9_ifPKiSB_SB_iPKfiiiPfSE_PS4_PT2_iSD_SD_, .Lfunc_end924-_Z39paged_attention_ll4mi_QKV_mfma16_kernelI14__hip_bfloat16hLN4vllm18Fp8KVCacheDataTypeE1ES0_Li16ELi128ELi256ELb0ELi15EL8MFMAType0EEvPKT_PKT0_S9_ifPKiSB_SB_iPKfiiiPfSE_PS4_PT2_iSD_SD_
                                        ; -- End function
	.section	.AMDGPU.csdata,"",@progbits
; Kernel info:
; codeLenInByte = 22300
; NumSgprs: 57
; NumVgprs: 78
; NumAgprs: 0
; TotalNumVgprs: 78
; ScratchSize: 352
; MemoryBound: 0
; FloatMode: 240
; IeeeMode: 1
; LDSByteSize: 8192 bytes/workgroup (compile time only)
; SGPRBlocks: 7
; VGPRBlocks: 9
; NumSGPRsForWavesPerEU: 57
; NumVGPRsForWavesPerEU: 78
; AccumOffset: 80
; Occupancy: 6
; WaveLimiterHint : 1
; COMPUTE_PGM_RSRC2:SCRATCH_EN: 1
; COMPUTE_PGM_RSRC2:USER_SGPR: 8
; COMPUTE_PGM_RSRC2:TRAP_HANDLER: 0
; COMPUTE_PGM_RSRC2:TGID_X_EN: 1
; COMPUTE_PGM_RSRC2:TGID_Y_EN: 1
; COMPUTE_PGM_RSRC2:TGID_Z_EN: 1
; COMPUTE_PGM_RSRC2:TIDIG_COMP_CNT: 0
; COMPUTE_PGM_RSRC3_GFX90A:ACCUM_OFFSET: 19
; COMPUTE_PGM_RSRC3_GFX90A:TG_SPLIT: 0
	.section	.text._Z39paged_attention_ll4mi_QKV_mfma16_kernelI14__hip_bfloat16hLN4vllm18Fp8KVCacheDataTypeE1ES0_Li16ELi128ELi256ELb0ELi16EL8MFMAType0EEvPKT_PKT0_S9_ifPKiSB_SB_iPKfiiiPfSE_PS4_PT2_iSD_SD_,"axG",@progbits,_Z39paged_attention_ll4mi_QKV_mfma16_kernelI14__hip_bfloat16hLN4vllm18Fp8KVCacheDataTypeE1ES0_Li16ELi128ELi256ELb0ELi16EL8MFMAType0EEvPKT_PKT0_S9_ifPKiSB_SB_iPKfiiiPfSE_PS4_PT2_iSD_SD_,comdat
	.protected	_Z39paged_attention_ll4mi_QKV_mfma16_kernelI14__hip_bfloat16hLN4vllm18Fp8KVCacheDataTypeE1ES0_Li16ELi128ELi256ELb0ELi16EL8MFMAType0EEvPKT_PKT0_S9_ifPKiSB_SB_iPKfiiiPfSE_PS4_PT2_iSD_SD_ ; -- Begin function _Z39paged_attention_ll4mi_QKV_mfma16_kernelI14__hip_bfloat16hLN4vllm18Fp8KVCacheDataTypeE1ES0_Li16ELi128ELi256ELb0ELi16EL8MFMAType0EEvPKT_PKT0_S9_ifPKiSB_SB_iPKfiiiPfSE_PS4_PT2_iSD_SD_
	.globl	_Z39paged_attention_ll4mi_QKV_mfma16_kernelI14__hip_bfloat16hLN4vllm18Fp8KVCacheDataTypeE1ES0_Li16ELi128ELi256ELb0ELi16EL8MFMAType0EEvPKT_PKT0_S9_ifPKiSB_SB_iPKfiiiPfSE_PS4_PT2_iSD_SD_
	.p2align	8
	.type	_Z39paged_attention_ll4mi_QKV_mfma16_kernelI14__hip_bfloat16hLN4vllm18Fp8KVCacheDataTypeE1ES0_Li16ELi128ELi256ELb0ELi16EL8MFMAType0EEvPKT_PKT0_S9_ifPKiSB_SB_iPKfiiiPfSE_PS4_PT2_iSD_SD_,@function
_Z39paged_attention_ll4mi_QKV_mfma16_kernelI14__hip_bfloat16hLN4vllm18Fp8KVCacheDataTypeE1ES0_Li16ELi128ELi256ELb0ELi16EL8MFMAType0EEvPKT_PKT0_S9_ifPKiSB_SB_iPKfiiiPfSE_PS4_PT2_iSD_SD_: ; @_Z39paged_attention_ll4mi_QKV_mfma16_kernelI14__hip_bfloat16hLN4vllm18Fp8KVCacheDataTypeE1ES0_Li16ELi128ELi256ELb0ELi16EL8MFMAType0EEvPKT_PKT0_S9_ifPKiSB_SB_iPKfiiiPfSE_PS4_PT2_iSD_SD_
; %bb.0:
	s_load_dwordx2 s[6:7], s[4:5], 0x30
	s_add_u32 s0, s0, s11
	s_addc_u32 s1, s1, 0
	s_mov_b32 s24, s9
	s_mov_b64 s[12:13], 0
	s_waitcnt lgkmcnt(0)
	s_cmp_lg_u64 s[6:7], 0
	s_cselect_b64 s[16:17], -1, 0
	s_and_b64 vcc, exec, s[16:17]
	s_cbranch_vccz .LBB925_7
; %bb.1:
	s_add_i32 s14, s8, 1
	s_mov_b32 s15, 0
	s_lshl_b64 s[18:19], s[14:15], 2
	s_add_u32 s18, s6, s18
	s_mov_b32 s9, s15
	s_addc_u32 s19, s7, s19
	s_lshl_b64 s[14:15], s[8:9], 2
	s_add_u32 s14, s6, s14
	s_addc_u32 s15, s7, s15
	s_load_dword s11, s[18:19], 0x0
	s_load_dword s20, s[14:15], 0x0
	s_waitcnt lgkmcnt(0)
	s_sub_i32 s11, s11, s20
	s_cmp_eq_u32 s11, 1
	s_cselect_b64 s[14:15], -1, 0
	s_andn2_b64 vcc, exec, s[12:13]
	s_cbranch_vccnz .LBB925_3
.LBB925_2:
	s_mov_b32 s9, 0
	s_mov_b64 s[14:15], -1
.LBB925_3:
	s_andn2_b64 vcc, exec, s[14:15]
	s_cbranch_vccnz .LBB925_597
; %bb.4:
	s_load_dwordx2 s[12:13], s[4:5], 0x28
	s_lshl_b64 s[18:19], s[8:9], 2
	s_waitcnt lgkmcnt(0)
	s_add_u32 s12, s12, s18
	s_addc_u32 s13, s13, s19
	s_load_dword s33, s[12:13], 0x0
	s_lshl_b32 s20, s24, 8
	s_waitcnt lgkmcnt(0)
	s_cmp_ge_i32 s20, s33
	s_cbranch_scc1 .LBB925_597
; %bb.5:
	s_add_i32 s14, s33, 15
	s_load_dwordx2 s[12:13], s[4:5], 0x20
	s_load_dword s11, s[4:5], 0x38
	s_ashr_i32 s15, s14, 31
	v_and_b32_e32 v1, 0xcf, v0
	s_lshr_b32 s15, s15, 28
	v_add_u32_e32 v1, s20, v1
	s_add_i32 s14, s14, s15
	v_ashrrev_i32_e32 v2, 31, v1
	s_ashr_i32 s22, s14, 4
	v_lshrrev_b32_e32 v6, 28, v2
	s_add_i32 s22, s22, -1
	v_add_u32_e32 v2, v1, v6
	s_waitcnt lgkmcnt(0)
	s_mul_i32 s14, s8, s11
	s_mov_b32 s15, 0
	v_ashrrev_i32_e32 v2, 4, v2
	v_mov_b32_e32 v7, s22
	v_cmp_gt_i32_e32 vcc, s33, v1
	s_lshl_b64 s[14:15], s[14:15], 2
	v_cndmask_b32_e32 v2, v7, v2, vcc
	s_add_u32 s11, s12, s14
	v_ashrrev_i32_e32 v3, 31, v2
	s_addc_u32 s21, s13, s15
	v_lshlrev_b64 v[2:3], 2, v[2:3]
	v_mov_b32_e32 v5, s21
	v_add_co_u32_e32 v4, vcc, s11, v2
	v_or_b32_e32 v2, 16, v1
	v_addc_co_u32_e32 v5, vcc, v5, v3, vcc
	v_add_u32_e32 v3, v2, v6
	v_ashrrev_i32_e32 v3, 4, v3
	v_cmp_gt_i32_e32 vcc, s33, v2
	v_cndmask_b32_e32 v2, v7, v3, vcc
	v_ashrrev_i32_e32 v3, 31, v2
	v_lshlrev_b64 v[2:3], 2, v[2:3]
	v_mov_b32_e32 v9, s21
	v_add_co_u32_e32 v8, vcc, s11, v2
	v_or_b32_e32 v2, 32, v1
	v_addc_co_u32_e32 v9, vcc, v9, v3, vcc
	v_add_u32_e32 v3, v2, v6
	v_ashrrev_i32_e32 v3, 4, v3
	v_cmp_gt_i32_e32 vcc, s33, v2
	v_cndmask_b32_e32 v2, v7, v3, vcc
	v_ashrrev_i32_e32 v3, 31, v2
	;; [unrolled: 10-line block ×3, first 2 shown]
	v_lshlrev_b64 v[2:3], 2, v[2:3]
	v_mov_b32_e32 v1, s21
	v_add_co_u32_e32 v12, vcc, s11, v2
	v_addc_co_u32_e32 v13, vcc, v1, v3, vcc
	global_load_dword v2, v[4:5], off
	global_load_dword v6, v[8:9], off
	;; [unrolled: 1-line block ×4, first 2 shown]
	s_load_dwordx4 s[12:15], s[4:5], 0x8
	s_andn2_b64 vcc, exec, s[16:17]
	s_cbranch_vccnz .LBB925_8
; %bb.6:
	s_add_u32 s6, s6, s18
	s_addc_u32 s7, s7, s19
	s_load_dword s16, s[6:7], 0x0
	s_branch .LBB925_9
.LBB925_7:
	s_mov_b64 s[14:15], 0
	s_branch .LBB925_2
.LBB925_8:
	s_mov_b32 s16, s8
.LBB925_9:
	s_load_dwordx2 s[48:49], s[4:5], 0x68
	s_load_dwordx8 s[40:47], s[4:5], 0x48
	v_and_b32_e32 v51, 15, v0
	v_lshlrev_b32_e32 v3, 3, v51
	s_movk_i32 s6, 0x100
	v_lshrrev_b32_e32 v60, 6, v0
	v_bfe_u32 v1, v0, 4, 2
	s_lshl_b32 s25, s10, 4
	v_cmp_gt_u32_e32 vcc, s6, v0
	v_lshlrev_b32_e32 v50, 1, v3
	v_lshlrev_b32_e32 v52, 4, v0
	s_and_saveexec_b64 s[6:7], vcc
	s_cbranch_execz .LBB925_11
; %bb.10:
	s_load_dwordx2 s[18:19], s[4:5], 0x0
	s_waitcnt lgkmcnt(0)
	s_ashr_i32 s17, s40, 31
	s_mul_hi_u32 s23, s16, s40
	s_mul_i32 s17, s16, s17
	v_lshl_or_b32 v3, v60, 2, v1
	s_add_i32 s17, s23, s17
	s_mul_i32 s16, s16, s40
	s_lshl_b64 s[16:17], s[16:17], 1
	v_add_lshl_u32 v4, v3, s25, 7
	s_add_u32 s16, s18, s16
	v_ashrrev_i32_e32 v5, 31, v4
	s_addc_u32 s17, s19, s17
	v_lshlrev_b64 v[4:5], 1, v[4:5]
	v_mov_b32_e32 v7, s17
	v_add_co_u32_e32 v4, vcc, s16, v4
	v_addc_co_u32_e32 v5, vcc, v7, v5, vcc
	v_add_co_u32_e32 v4, vcc, v4, v50
	v_addc_co_u32_e32 v5, vcc, 0, v5, vcc
	global_load_dwordx4 v[8:11], v[4:5], off
	v_lshlrev_b32_e32 v5, 8, v0
	v_lshlrev_b32_e32 v4, 8, v51
	v_and_b32_e32 v5, 0x600, v5
	s_movk_i32 s16, 0x800
	v_and_or_b32 v4, v4, s16, v5
	v_lshlrev_b32_e32 v3, 5, v3
	v_and_b32_e32 v5, 16, v52
	v_or3_b32 v3, v4, v3, v5
	s_waitcnt vmcnt(0)
	ds_write_b128 v3, v[8:11]
.LBB925_11:
	s_or_b64 exec, exec, s[6:7]
	v_and_b32_e32 v3, 48, v0
	v_or_b32_e32 v7, s20, v3
	v_ashrrev_i32_e32 v4, 4, v7
	v_mov_b32_e32 v12, s22
	v_cmp_gt_i32_e32 vcc, s33, v7
	v_cndmask_b32_e32 v4, v12, v4, vcc
	v_ashrrev_i32_e32 v5, 31, v4
	v_lshlrev_b64 v[4:5], 2, v[4:5]
	v_mov_b32_e32 v8, s21
	v_add_co_u32_e32 v4, vcc, s11, v4
	v_addc_co_u32_e32 v5, vcc, v8, v5, vcc
	v_or_b32_e32 v8, 64, v7
	v_ashrrev_i32_e32 v9, 4, v8
	v_cmp_gt_i32_e32 vcc, s33, v8
	v_cndmask_b32_e32 v8, v12, v9, vcc
	v_ashrrev_i32_e32 v9, 31, v8
	v_lshlrev_b64 v[8:9], 2, v[8:9]
	v_mov_b32_e32 v10, s21
	v_add_co_u32_e32 v8, vcc, s11, v8
	v_addc_co_u32_e32 v9, vcc, v10, v9, vcc
	v_or_b32_e32 v10, 0x80, v7
	v_ashrrev_i32_e32 v11, 4, v10
	v_cmp_gt_i32_e32 vcc, s33, v10
	v_cndmask_b32_e32 v10, v12, v11, vcc
	v_ashrrev_i32_e32 v11, 31, v10
	v_lshlrev_b64 v[10:11], 2, v[10:11]
	v_mov_b32_e32 v13, s21
	v_add_co_u32_e32 v10, vcc, s11, v10
	s_load_dwordx2 s[50:51], s[4:5], 0x94
	s_waitcnt lgkmcnt(0)
	s_barrier
	v_addc_co_u32_e32 v11, vcc, v13, v11, vcc
	global_load_dword v53, v[4:5], off
	global_load_dword v58, v[8:9], off
	global_load_dword v59, v[10:11], off
	v_or_b32_e32 v4, 0xc0, v7
	v_ashrrev_i32_e32 v5, 4, v4
	v_cmp_gt_i32_e32 vcc, s33, v4
	v_cndmask_b32_e32 v4, v12, v5, vcc
	v_ashrrev_i32_e32 v5, 31, v4
	v_lshlrev_b64 v[4:5], 2, v[4:5]
	v_mov_b32_e32 v7, s21
	v_add_co_u32_e32 v4, vcc, s11, v4
	v_addc_co_u32_e32 v5, vcc, v7, v5, vcc
	global_load_dword v62, v[4:5], off
	s_mul_i32 s10, s10, s42
	s_add_u32 s6, s12, s10
	s_addc_u32 s7, s13, 0
	v_and_b32_e32 v4, 0xf0, v52
	v_mov_b32_e32 v5, s7
	v_add_co_u32_e32 v20, vcc, s6, v4
	v_addc_co_u32_e32 v21, vcc, 0, v5, vcc
	v_lshlrev_b32_e32 v28, 4, v3
	s_waitcnt vmcnt(7)
	v_mad_i64_i32 v[2:3], s[6:7], v2, s41, v[20:21]
	v_add_co_u32_e32 v8, vcc, v2, v28
	v_addc_co_u32_e32 v9, vcc, 0, v3, vcc
	s_waitcnt vmcnt(6)
	v_mad_i64_i32 v[6:7], s[6:7], v6, s41, v[20:21]
	v_add_co_u32_e32 v22, vcc, v6, v28
	v_addc_co_u32_e32 v23, vcc, 0, v7, vcc
	global_load_dwordx4 v[10:13], v[8:9], off
	global_load_dwordx4 v[2:5], v[8:9], off offset:1024
	s_nop 0
	global_load_dwordx4 v[6:9], v[22:23], off
	global_load_dwordx4 v[14:17], v[22:23], off offset:1024
	s_waitcnt vmcnt(9)
	v_mad_i64_i32 v[22:23], s[6:7], v19, s41, v[20:21]
	v_add_co_u32_e32 v26, vcc, v22, v28
	v_addc_co_u32_e32 v27, vcc, 0, v23, vcc
	s_waitcnt vmcnt(8)
	v_mad_i64_i32 v[18:19], s[6:7], v18, s41, v[20:21]
	v_add_co_u32_e32 v34, vcc, v18, v28
	s_add_u32 s10, s14, s10
	v_lshl_or_b32 v61, v60, 4, v51
	v_addc_co_u32_e32 v35, vcc, 0, v19, vcc
	s_addc_u32 s11, s15, 0
	v_lshlrev_b32_e32 v54, 4, v61
	global_load_dwordx4 v[30:33], v[26:27], off
	global_load_dwordx4 v[22:25], v[26:27], off offset:1024
	s_nop 0
	global_load_dwordx4 v[26:29], v[34:35], off
	global_load_dwordx4 v[18:21], v[34:35], off offset:1024
	v_mov_b32_e32 v34, s11
	v_add_co_u32_e32 v42, vcc, s10, v54
	v_addc_co_u32_e32 v43, vcc, 0, v34, vcc
	v_or_b32_e32 v54, 0x400, v54
	v_mov_b32_e32 v55, s11
	v_add_co_u32_e32 v54, vcc, s10, v54
	v_addc_co_u32_e32 v55, vcc, 0, v55, vcc
	s_mov_b32 s12, 0
	s_movk_i32 s13, 0x80
	s_movk_i32 s14, 0x7f
	s_mov_b32 s15, 0xffffff
	s_mov_b32 s16, 0x5040100
	s_waitcnt vmcnt(11)
	v_mad_i64_i32 v[34:35], s[6:7], v53, s41, v[42:43]
	s_waitcnt vmcnt(10)
	v_mad_i64_i32 v[36:37], s[6:7], v58, s41, v[42:43]
	;; [unrolled: 2-line block ×3, first 2 shown]
	global_load_dwordx4 v[38:41], v[34:35], off
	s_nop 0
	global_load_dwordx4 v[34:37], v[36:37], off
	v_mad_i64_i32 v[56:57], s[6:7], v53, s41, v[54:55]
	s_waitcnt vmcnt(10)
	v_mad_i64_i32 v[42:43], s[6:7], v62, s41, v[42:43]
	global_load_dwordx4 v[46:49], v[44:45], off
	s_nop 0
	global_load_dwordx4 v[42:45], v[42:43], off
	s_nop 0
	global_load_dwordx4 v[64:67], v[56:57], off
	v_mad_i64_i32 v[56:57], s[6:7], v58, s41, v[54:55]
	global_load_dwordx4 v[68:71], v[56:57], off
	v_mad_i64_i32 v[56:57], s[6:7], v59, s41, v[54:55]
	v_mad_i64_i32 v[54:55], s[6:7], v62, s41, v[54:55]
	global_load_dwordx4 v[72:75], v[56:57], off
	global_load_dwordx4 v[76:79], v[54:55], off
	s_waitcnt vmcnt(15)
	buffer_store_dword v13, off, s[0:3], 0 offset:12
	buffer_store_dword v12, off, s[0:3], 0 offset:8
	buffer_store_dword v11, off, s[0:3], 0 offset:4
	buffer_store_dword v10, off, s[0:3], 0
	s_waitcnt vmcnt(18)
	buffer_store_dword v5, off, s[0:3], 0 offset:28
	buffer_store_dword v4, off, s[0:3], 0 offset:24
	buffer_store_dword v3, off, s[0:3], 0 offset:20
	buffer_store_dword v2, off, s[0:3], 0 offset:16
	s_waitcnt vmcnt(21)
	buffer_store_dword v9, off, s[0:3], 0 offset:44
	buffer_store_dword v8, off, s[0:3], 0 offset:40
	;; [unrolled: 1-line block ×4, first 2 shown]
	s_load_dword s6, s[4:5], 0x1c
	s_load_dwordx4 s[40:43], s[4:5], 0x80
	s_waitcnt vmcnt(24)
	buffer_store_dword v17, off, s[0:3], 0 offset:60
	buffer_store_dword v16, off, s[0:3], 0 offset:56
	;; [unrolled: 1-line block ×4, first 2 shown]
	s_waitcnt vmcnt(27)
	buffer_store_dword v33, off, s[0:3], 0 offset:76
	buffer_store_dword v32, off, s[0:3], 0 offset:72
	;; [unrolled: 1-line block ×4, first 2 shown]
	v_lshlrev_b32_e32 v33, 5, v51
	v_mov_b32_e32 v2, 0x80
	v_lshl_or_b32 v31, v1, 9, v33
	v_add_u32_e32 v53, 16, v2
	v_add_u32_e32 v59, 32, v2
	;; [unrolled: 1-line block ×7, first 2 shown]
	ds_read_b128 v[2:5], v31
	ds_read_b128 v[6:9], v31 offset:16
	ds_read_b128 v[10:13], v31 offset:2048
	;; [unrolled: 1-line block ×3, first 2 shown]
	s_waitcnt vmcnt(30)
	buffer_store_dword v25, off, s[0:3], 0 offset:92
	buffer_store_dword v24, off, s[0:3], 0 offset:88
	buffer_store_dword v23, off, s[0:3], 0 offset:84
	buffer_store_dword v22, off, s[0:3], 0 offset:80
	s_waitcnt vmcnt(33)
	buffer_store_dword v29, off, s[0:3], 0 offset:108
	buffer_store_dword v28, off, s[0:3], 0 offset:104
	buffer_store_dword v27, off, s[0:3], 0 offset:100
	buffer_store_dword v26, off, s[0:3], 0 offset:96
	;; [unrolled: 5-line block ×3, first 2 shown]
	s_waitcnt lgkmcnt(0)
	v_mov_b32_e32 v18, s6
	v_and_b32_e32 v62, 63, v0
	v_mov_b32_e32 v27, 0
	s_waitcnt vmcnt(39)
	buffer_store_dword v41, off, s[0:3], 0 offset:140
	buffer_store_dword v40, off, s[0:3], 0 offset:136
	buffer_store_dword v39, off, s[0:3], 0 offset:132
	buffer_store_dword v38, off, s[0:3], 0 offset:128
	s_waitcnt vmcnt(42)
	buffer_store_dword v37, off, s[0:3], 0 offset:172
	buffer_store_dword v36, off, s[0:3], 0 offset:168
	buffer_store_dword v35, off, s[0:3], 0 offset:164
	buffer_store_dword v34, off, s[0:3], 0 offset:160
	;; [unrolled: 5-line block ×7, first 2 shown]
	s_waitcnt vmcnt(60)
	buffer_store_dword v79, off, s[0:3], 0 offset:252
	s_load_dword s4, s[40:41], 0x0
	v_mov_b32_e32 v29, 0x100
	v_mov_b32_e32 v35, 0
	v_bfrev_b32_e32 v36, 60
	buffer_store_dword v78, off, s[0:3], 0 offset:248
	buffer_store_dword v77, off, s[0:3], 0 offset:244
	;; [unrolled: 1-line block ×3, first 2 shown]
	s_waitcnt lgkmcnt(0)
	v_mul_f32_e32 v22, s4, v18
	v_mov_b32_e32 v24, v22
	v_mov_b32_e32 v25, v22
	s_branch .LBB925_15
.LBB925_12:                             ;   in Loop: Header=BB925_15 Depth=1
	s_or_b64 exec, exec, s[10:11]
.LBB925_13:                             ;   in Loop: Header=BB925_15 Depth=1
	s_or_b64 exec, exec, s[6:7]
.LBB925_14:                             ;   in Loop: Header=BB925_15 Depth=1
	s_or_b64 exec, exec, s[4:5]
	v_perm_b32 v43, v38, v32, s16
	v_perm_b32 v42, v23, v34, s16
	;; [unrolled: 1-line block ×4, first 2 shown]
	v_add_u32_e32 v26, s12, v29
	v_mfma_f32_16x16x16bf16_1k v[18:21], v[42:43], v[14:15], v[18:21]
	s_add_i32 s12, s12, 16
	v_mov_b32_e32 v23, v22
	s_cmp_eq_u32 s12, 64
	v_add_u32_e32 v27, 32, v27
	v_mfma_f32_16x16x16bf16_1k v[18:21], v[38:39], v[16:17], v[18:21]
	s_nop 7
	s_nop 2
	v_pk_mul_f32 v[18:19], v[24:25], v[18:19]
	v_pk_mul_f32 v[20:21], v[22:23], v[20:21]
	buffer_store_dword v19, v26, s[0:3], 0 offen offset:4
	buffer_store_dword v18, v26, s[0:3], 0 offen
	buffer_store_dword v21, v26, s[0:3], 0 offen offset:12
	buffer_store_dword v20, v26, s[0:3], 0 offen offset:8
	s_cbranch_scc1 .LBB925_205
.LBB925_15:                             ; =>This Inner Loop Header: Depth=1
	buffer_load_dword v20, v27, s[0:3], 0 offen
	buffer_load_dword v18, v27, s[0:3], 0 offen offset:4
	buffer_load_dword v28, v27, s[0:3], 0 offen offset:8
	;; [unrolled: 1-line block ×3, first 2 shown]
	v_mov_b32_e32 v19, 0
	s_waitcnt vmcnt(3)
	v_cmp_ne_u16_sdwa s[6:7], v20, v35 src0_sel:BYTE_0 src1_sel:DWORD
	s_and_saveexec_b64 s[4:5], s[6:7]
	s_cbranch_execz .LBB925_21
; %bb.16:                               ;   in Loop: Header=BB925_15 Depth=1
	v_cmp_ne_u16_sdwa s[10:11], v20, s13 src0_sel:BYTE_0 src1_sel:DWORD
	v_mov_b32_e32 v19, 0xffff8000
	s_and_saveexec_b64 s[6:7], s[10:11]
	s_cbranch_execz .LBB925_20
; %bb.17:                               ;   in Loop: Header=BB925_15 Depth=1
	v_and_b32_e32 v21, 0x7f, v20
	v_cmp_ne_u32_e32 vcc, s14, v21
	v_mov_b32_e32 v19, 0x7f80
	s_and_saveexec_b64 s[10:11], vcc
	s_cbranch_execz .LBB925_19
; %bb.18:                               ;   in Loop: Header=BB925_15 Depth=1
	v_and_b32_e32 v19, 7, v20
	v_ffbh_u32_e32 v30, v19
	v_min_u32_e32 v30, 32, v30
	v_subrev_u32_e32 v32, 28, v30
	v_lshlrev_b64 v[38:39], v32, v[20:21]
	v_lshrrev_b32_e32 v23, 3, v21
	v_sub_u32_e32 v30, 29, v30
	v_and_b32_e32 v32, 7, v38
	v_cmp_gt_u32_e32 vcc, 8, v21
	v_cndmask_b32_e32 v21, v23, v30, vcc
	v_cndmask_b32_e32 v19, v19, v32, vcc
	v_lshlrev_b32_e32 v23, 24, v20
	v_lshlrev_b32_e32 v19, 20, v19
	v_and_b32_e32 v23, 0x80000000, v23
	v_lshl_add_u32 v21, v21, 23, v36
	v_or3_b32 v19, v23, v21, v19
	v_lshrrev_b32_e32 v19, 16, v19
.LBB925_19:                             ;   in Loop: Header=BB925_15 Depth=1
	s_or_b64 exec, exec, s[10:11]
.LBB925_20:                             ;   in Loop: Header=BB925_15 Depth=1
	s_or_b64 exec, exec, s[6:7]
.LBB925_21:                             ;   in Loop: Header=BB925_15 Depth=1
	s_or_b64 exec, exec, s[4:5]
	v_lshrrev_b16_e32 v30, 8, v20
	v_cmp_ne_u16_e32 vcc, 0, v30
	v_mov_b32_e32 v23, 0
	v_mov_b32_e32 v21, 0
	s_and_saveexec_b64 s[4:5], vcc
	s_cbranch_execz .LBB925_27
; %bb.22:                               ;   in Loop: Header=BB925_15 Depth=1
	v_cmp_ne_u16_e32 vcc, s13, v30
	v_mov_b32_e32 v21, 0xffff8000
	s_and_saveexec_b64 s[6:7], vcc
	s_cbranch_execz .LBB925_26
; %bb.23:                               ;   in Loop: Header=BB925_15 Depth=1
	v_and_b32_e32 v32, 0x7f, v30
	v_cmp_ne_u32_e32 vcc, s14, v32
	v_mov_b32_e32 v21, 0x7f80
	s_and_saveexec_b64 s[10:11], vcc
	s_cbranch_execz .LBB925_25
; %bb.24:                               ;   in Loop: Header=BB925_15 Depth=1
	v_and_b32_e32 v21, 7, v30
	v_ffbh_u32_e32 v37, v21
	v_min_u32_e32 v37, 32, v37
	v_subrev_u32_e32 v38, 28, v37
	v_lshlrev_b64 v[38:39], v38, v[30:31]
	v_lshrrev_b32_e32 v34, 3, v32
	v_sub_u32_e32 v30, 29, v37
	v_and_b32_e32 v37, 7, v38
	v_cmp_gt_u32_e32 vcc, 8, v32
	v_cndmask_b32_e32 v30, v34, v30, vcc
	v_cndmask_b32_e32 v21, v21, v37, vcc
	v_lshlrev_b32_e32 v32, 16, v20
	v_lshlrev_b32_e32 v21, 20, v21
	v_and_b32_e32 v32, 0x80000000, v32
	v_lshl_add_u32 v30, v30, 23, v36
	v_or3_b32 v21, v32, v30, v21
	v_lshrrev_b32_e32 v21, 16, v21
.LBB925_25:                             ;   in Loop: Header=BB925_15 Depth=1
	s_or_b64 exec, exec, s[10:11]
.LBB925_26:                             ;   in Loop: Header=BB925_15 Depth=1
	s_or_b64 exec, exec, s[6:7]
.LBB925_27:                             ;   in Loop: Header=BB925_15 Depth=1
	s_or_b64 exec, exec, s[4:5]
	v_lshrrev_b32_e32 v30, 16, v20
	v_cmp_ne_u16_sdwa s[6:7], v30, v35 src0_sel:BYTE_0 src1_sel:DWORD
	s_and_saveexec_b64 s[4:5], s[6:7]
	s_cbranch_execz .LBB925_33
; %bb.28:                               ;   in Loop: Header=BB925_15 Depth=1
	v_cmp_ne_u16_sdwa s[10:11], v30, s13 src0_sel:BYTE_0 src1_sel:DWORD
	v_mov_b32_e32 v23, 0xffff8000
	s_and_saveexec_b64 s[6:7], s[10:11]
	s_cbranch_execz .LBB925_32
; %bb.29:                               ;   in Loop: Header=BB925_15 Depth=1
	v_bfe_u32 v32, v20, 16, 7
	v_cmp_ne_u32_e32 vcc, s14, v32
	v_mov_b32_e32 v23, 0x7f80
	s_and_saveexec_b64 s[10:11], vcc
	s_cbranch_execz .LBB925_31
; %bb.30:                               ;   in Loop: Header=BB925_15 Depth=1
	v_and_b32_e32 v23, 7, v30
	v_ffbh_u32_e32 v37, v23
	v_min_u32_e32 v37, 32, v37
	v_subrev_u32_e32 v38, 28, v37
	v_lshlrev_b64 v[38:39], v38, v[30:31]
	v_lshrrev_b32_e32 v34, 3, v32
	v_sub_u32_e32 v37, 29, v37
	v_and_b32_e32 v38, 7, v38
	v_cmp_gt_u32_e32 vcc, 8, v32
	v_cndmask_b32_e32 v32, v34, v37, vcc
	v_cndmask_b32_e32 v23, v23, v38, vcc
	v_lshlrev_b32_e32 v30, 24, v30
	v_lshlrev_b32_e32 v23, 20, v23
	v_and_b32_e32 v30, 0x80000000, v30
	v_lshl_add_u32 v32, v32, 23, v36
	v_or3_b32 v23, v30, v32, v23
	v_lshrrev_b32_e32 v23, 16, v23
.LBB925_31:                             ;   in Loop: Header=BB925_15 Depth=1
	s_or_b64 exec, exec, s[10:11]
.LBB925_32:                             ;   in Loop: Header=BB925_15 Depth=1
	s_or_b64 exec, exec, s[6:7]
.LBB925_33:                             ;   in Loop: Header=BB925_15 Depth=1
	s_or_b64 exec, exec, s[4:5]
	v_cmp_lt_u32_e32 vcc, s15, v20
	v_mov_b32_e32 v34, 0
	v_mov_b32_e32 v37, 0
	s_and_saveexec_b64 s[4:5], vcc
	s_cbranch_execz .LBB925_39
; %bb.34:                               ;   in Loop: Header=BB925_15 Depth=1
	v_lshrrev_b32_e32 v30, 24, v20
	v_cmp_ne_u32_e32 vcc, s13, v30
	v_mov_b32_e32 v37, 0xffff8000
	s_and_saveexec_b64 s[6:7], vcc
	s_cbranch_execz .LBB925_38
; %bb.35:                               ;   in Loop: Header=BB925_15 Depth=1
	v_bfe_u32 v20, v20, 24, 7
	v_cmp_ne_u32_e32 vcc, s14, v20
	v_mov_b32_e32 v37, 0x7f80
	s_and_saveexec_b64 s[10:11], vcc
	s_cbranch_execz .LBB925_37
; %bb.36:                               ;   in Loop: Header=BB925_15 Depth=1
	v_and_b32_e32 v32, 7, v30
	v_ffbh_u32_e32 v38, v32
	v_min_u32_e32 v40, 32, v38
	v_subrev_u32_e32 v38, 28, v40
	v_lshlrev_b64 v[38:39], v38, v[30:31]
	v_lshrrev_b32_e32 v37, 3, v20
	v_sub_u32_e32 v39, 29, v40
	v_and_b32_e32 v38, 7, v38
	v_cmp_gt_u32_e32 vcc, 8, v20
	v_cndmask_b32_e32 v20, v37, v39, vcc
	v_cndmask_b32_e32 v32, v32, v38, vcc
	v_lshlrev_b32_e32 v30, 24, v30
	v_lshlrev_b32_e32 v32, 20, v32
	v_and_b32_e32 v30, 0x80000000, v30
	v_lshl_add_u32 v20, v20, 23, v36
	v_or3_b32 v20, v30, v20, v32
	v_lshrrev_b32_e32 v37, 16, v20
.LBB925_37:                             ;   in Loop: Header=BB925_15 Depth=1
	s_or_b64 exec, exec, s[10:11]
.LBB925_38:                             ;   in Loop: Header=BB925_15 Depth=1
	s_or_b64 exec, exec, s[6:7]
.LBB925_39:                             ;   in Loop: Header=BB925_15 Depth=1
	s_or_b64 exec, exec, s[4:5]
	s_waitcnt vmcnt(2)
	v_cmp_ne_u16_sdwa s[6:7], v18, v35 src0_sel:BYTE_0 src1_sel:DWORD
	s_and_saveexec_b64 s[4:5], s[6:7]
	s_cbranch_execz .LBB925_45
; %bb.40:                               ;   in Loop: Header=BB925_15 Depth=1
	v_cmp_ne_u16_sdwa s[10:11], v18, s13 src0_sel:BYTE_0 src1_sel:DWORD
	v_mov_b32_e32 v34, 0xffff8000
	s_and_saveexec_b64 s[6:7], s[10:11]
	s_cbranch_execz .LBB925_44
; %bb.41:                               ;   in Loop: Header=BB925_15 Depth=1
	v_and_b32_e32 v20, 0x7f, v18
	v_cmp_ne_u32_e32 vcc, s14, v20
	v_mov_b32_e32 v34, 0x7f80
	s_and_saveexec_b64 s[10:11], vcc
	s_cbranch_execz .LBB925_43
; %bb.42:                               ;   in Loop: Header=BB925_15 Depth=1
	v_and_b32_e32 v30, 7, v18
	v_ffbh_u32_e32 v34, v30
	v_min_u32_e32 v34, 32, v34
	v_subrev_u32_e32 v38, 28, v34
	v_lshlrev_b64 v[38:39], v38, v[18:19]
	v_lshrrev_b32_e32 v32, 3, v20
	v_sub_u32_e32 v34, 29, v34
	v_and_b32_e32 v38, 7, v38
	v_cmp_gt_u32_e32 vcc, 8, v20
	v_cndmask_b32_e32 v20, v32, v34, vcc
	v_cndmask_b32_e32 v30, v30, v38, vcc
	v_lshlrev_b32_e32 v32, 24, v18
	v_lshlrev_b32_e32 v30, 20, v30
	v_and_b32_e32 v32, 0x80000000, v32
	v_lshl_add_u32 v20, v20, 23, v36
	v_or3_b32 v20, v32, v20, v30
	v_lshrrev_b32_e32 v34, 16, v20
.LBB925_43:                             ;   in Loop: Header=BB925_15 Depth=1
	s_or_b64 exec, exec, s[10:11]
.LBB925_44:                             ;   in Loop: Header=BB925_15 Depth=1
	s_or_b64 exec, exec, s[6:7]
.LBB925_45:                             ;   in Loop: Header=BB925_15 Depth=1
	s_or_b64 exec, exec, s[4:5]
	v_lshrrev_b16_e32 v20, 8, v18
	v_cmp_ne_u16_e32 vcc, 0, v20
	v_mov_b32_e32 v38, 0
	v_mov_b32_e32 v30, 0
	s_and_saveexec_b64 s[4:5], vcc
	s_cbranch_execz .LBB925_51
; %bb.46:                               ;   in Loop: Header=BB925_15 Depth=1
	v_cmp_ne_u16_e32 vcc, s13, v20
	v_mov_b32_e32 v30, 0xffff8000
	s_and_saveexec_b64 s[6:7], vcc
	s_cbranch_execz .LBB925_50
; %bb.47:                               ;   in Loop: Header=BB925_15 Depth=1
	v_and_b32_e32 v32, 0x7f, v20
	v_cmp_ne_u32_e32 vcc, s14, v32
	v_mov_b32_e32 v30, 0x7f80
	s_and_saveexec_b64 s[10:11], vcc
	s_cbranch_execz .LBB925_49
; %bb.48:                               ;   in Loop: Header=BB925_15 Depth=1
	v_and_b32_e32 v30, 7, v20
	v_ffbh_u32_e32 v40, v30
	v_min_u32_e32 v42, 32, v40
	v_subrev_u32_e32 v40, 28, v42
	v_lshlrev_b64 v[40:41], v40, v[20:21]
	v_lshrrev_b32_e32 v39, 3, v32
	v_sub_u32_e32 v20, 29, v42
	v_and_b32_e32 v40, 7, v40
	v_cmp_gt_u32_e32 vcc, 8, v32
	v_cndmask_b32_e32 v20, v39, v20, vcc
	v_cndmask_b32_e32 v30, v30, v40, vcc
	v_lshlrev_b32_e32 v32, 16, v18
	v_lshlrev_b32_e32 v30, 20, v30
	v_and_b32_e32 v32, 0x80000000, v32
	v_lshl_add_u32 v20, v20, 23, v36
	v_or3_b32 v20, v32, v20, v30
	v_lshrrev_b32_e32 v30, 16, v20
.LBB925_49:                             ;   in Loop: Header=BB925_15 Depth=1
	s_or_b64 exec, exec, s[10:11]
.LBB925_50:                             ;   in Loop: Header=BB925_15 Depth=1
	s_or_b64 exec, exec, s[6:7]
.LBB925_51:                             ;   in Loop: Header=BB925_15 Depth=1
	s_or_b64 exec, exec, s[4:5]
	v_lshrrev_b32_e32 v20, 16, v18
	v_cmp_ne_u16_sdwa s[6:7], v20, v35 src0_sel:BYTE_0 src1_sel:DWORD
	s_and_saveexec_b64 s[4:5], s[6:7]
	s_cbranch_execz .LBB925_57
; %bb.52:                               ;   in Loop: Header=BB925_15 Depth=1
	v_cmp_ne_u16_sdwa s[10:11], v20, s13 src0_sel:BYTE_0 src1_sel:DWORD
	v_mov_b32_e32 v38, 0xffff8000
	s_and_saveexec_b64 s[6:7], s[10:11]
	s_cbranch_execz .LBB925_56
; %bb.53:                               ;   in Loop: Header=BB925_15 Depth=1
	v_bfe_u32 v32, v18, 16, 7
	v_cmp_ne_u32_e32 vcc, s14, v32
	v_mov_b32_e32 v38, 0x7f80
	s_and_saveexec_b64 s[10:11], vcc
	s_cbranch_execz .LBB925_55
; %bb.54:                               ;   in Loop: Header=BB925_15 Depth=1
	v_and_b32_e32 v40, 7, v20
	v_ffbh_u32_e32 v38, v40
	v_min_u32_e32 v42, 32, v38
	v_subrev_u32_e32 v38, 28, v42
	v_lshlrev_b64 v[38:39], v38, v[20:21]
	v_lshrrev_b32_e32 v41, 3, v32
	v_sub_u32_e32 v39, 29, v42
	v_and_b32_e32 v38, 7, v38
	v_cmp_gt_u32_e32 vcc, 8, v32
	v_cndmask_b32_e32 v32, v41, v39, vcc
	v_cndmask_b32_e32 v38, v40, v38, vcc
	v_lshlrev_b32_e32 v20, 24, v20
	v_lshlrev_b32_e32 v38, 20, v38
	v_and_b32_e32 v20, 0x80000000, v20
	v_lshl_add_u32 v32, v32, 23, v36
	v_or3_b32 v20, v20, v32, v38
	v_lshrrev_b32_e32 v38, 16, v20
.LBB925_55:                             ;   in Loop: Header=BB925_15 Depth=1
	s_or_b64 exec, exec, s[10:11]
.LBB925_56:                             ;   in Loop: Header=BB925_15 Depth=1
	s_or_b64 exec, exec, s[6:7]
.LBB925_57:                             ;   in Loop: Header=BB925_15 Depth=1
	s_or_b64 exec, exec, s[4:5]
	v_cmp_lt_u32_e32 vcc, s15, v18
	v_mov_b32_e32 v32, 0
	v_mov_b32_e32 v39, 0
	s_and_saveexec_b64 s[4:5], vcc
	s_cbranch_execz .LBB925_63
; %bb.58:                               ;   in Loop: Header=BB925_15 Depth=1
	v_lshrrev_b32_e32 v20, 24, v18
	v_cmp_ne_u32_e32 vcc, s13, v20
	v_mov_b32_e32 v39, 0xffff8000
	s_and_saveexec_b64 s[6:7], vcc
	s_cbranch_execz .LBB925_62
; %bb.59:                               ;   in Loop: Header=BB925_15 Depth=1
	v_bfe_u32 v18, v18, 24, 7
	v_cmp_ne_u32_e32 vcc, s14, v18
	v_mov_b32_e32 v39, 0x7f80
	s_and_saveexec_b64 s[10:11], vcc
	s_cbranch_execz .LBB925_61
; %bb.60:                               ;   in Loop: Header=BB925_15 Depth=1
	v_and_b32_e32 v39, 7, v20
	v_ffbh_u32_e32 v40, v39
	v_min_u32_e32 v43, 32, v40
	v_subrev_u32_e32 v40, 28, v43
	v_lshlrev_b64 v[40:41], v40, v[20:21]
	v_lshrrev_b32_e32 v42, 3, v18
	v_sub_u32_e32 v41, 29, v43
	v_and_b32_e32 v40, 7, v40
	v_cmp_gt_u32_e32 vcc, 8, v18
	v_cndmask_b32_e32 v18, v42, v41, vcc
	v_cndmask_b32_e32 v39, v39, v40, vcc
	v_lshlrev_b32_e32 v20, 24, v20
	v_lshlrev_b32_e32 v39, 20, v39
	v_and_b32_e32 v20, 0x80000000, v20
	v_lshl_add_u32 v18, v18, 23, v36
	v_or3_b32 v18, v20, v18, v39
	v_lshrrev_b32_e32 v39, 16, v18
.LBB925_61:                             ;   in Loop: Header=BB925_15 Depth=1
	s_or_b64 exec, exec, s[10:11]
.LBB925_62:                             ;   in Loop: Header=BB925_15 Depth=1
	s_or_b64 exec, exec, s[6:7]
.LBB925_63:                             ;   in Loop: Header=BB925_15 Depth=1
	s_or_b64 exec, exec, s[4:5]
	v_perm_b32 v41, v37, v23, s16
	v_perm_b32 v40, v21, v19, s16
	;; [unrolled: 1-line block ×4, first 2 shown]
	s_waitcnt vmcnt(1)
	v_cmp_ne_u16_sdwa s[6:7], v28, v35 src0_sel:BYTE_0 src1_sel:DWORD
	v_mfma_f32_16x16x16bf16_1k v[18:21], v[40:41], v[2:3], 0
	v_mfma_f32_16x16x16bf16_1k v[18:21], v[38:39], v[4:5], v[18:21]
	s_and_saveexec_b64 s[4:5], s[6:7]
	s_cbranch_execz .LBB925_69
; %bb.64:                               ;   in Loop: Header=BB925_15 Depth=1
	v_cmp_ne_u16_sdwa s[10:11], v28, s13 src0_sel:BYTE_0 src1_sel:DWORD
	v_mov_b32_e32 v32, 0xffff8000
	s_and_saveexec_b64 s[6:7], s[10:11]
	s_cbranch_execz .LBB925_68
; %bb.65:                               ;   in Loop: Header=BB925_15 Depth=1
	v_and_b32_e32 v23, 0x7f, v28
	v_cmp_ne_u32_e32 vcc, s14, v23
	v_mov_b32_e32 v32, 0x7f80
	s_and_saveexec_b64 s[10:11], vcc
	s_cbranch_execz .LBB925_67
; %bb.66:                               ;   in Loop: Header=BB925_15 Depth=1
	v_and_b32_e32 v30, 7, v28
	v_ffbh_u32_e32 v34, v30
	v_min_u32_e32 v34, 32, v34
	v_subrev_u32_e32 v37, 28, v34
	v_lshlrev_b64 v[38:39], v37, v[28:29]
	v_lshrrev_b32_e32 v32, 3, v23
	v_sub_u32_e32 v34, 29, v34
	v_and_b32_e32 v37, 7, v38
	v_cmp_gt_u32_e32 vcc, 8, v23
	v_cndmask_b32_e32 v23, v32, v34, vcc
	v_cndmask_b32_e32 v30, v30, v37, vcc
	v_lshlrev_b32_e32 v32, 24, v28
	v_lshlrev_b32_e32 v30, 20, v30
	v_and_b32_e32 v32, 0x80000000, v32
	v_lshl_add_u32 v23, v23, 23, v36
	v_or3_b32 v23, v32, v23, v30
	v_lshrrev_b32_e32 v32, 16, v23
.LBB925_67:                             ;   in Loop: Header=BB925_15 Depth=1
	s_or_b64 exec, exec, s[10:11]
.LBB925_68:                             ;   in Loop: Header=BB925_15 Depth=1
	s_or_b64 exec, exec, s[6:7]
.LBB925_69:                             ;   in Loop: Header=BB925_15 Depth=1
	s_or_b64 exec, exec, s[4:5]
	v_lshrrev_b16_e32 v30, 8, v28
	v_cmp_ne_u16_e32 vcc, 0, v30
	v_mov_b32_e32 v37, 0
	v_mov_b32_e32 v34, 0
	s_and_saveexec_b64 s[4:5], vcc
	s_cbranch_execz .LBB925_75
; %bb.70:                               ;   in Loop: Header=BB925_15 Depth=1
	v_cmp_ne_u16_e32 vcc, s13, v30
	v_mov_b32_e32 v34, 0xffff8000
	s_and_saveexec_b64 s[6:7], vcc
	s_cbranch_execz .LBB925_74
; %bb.71:                               ;   in Loop: Header=BB925_15 Depth=1
	v_and_b32_e32 v23, 0x7f, v30
	v_cmp_ne_u32_e32 vcc, s14, v23
	v_mov_b32_e32 v34, 0x7f80
	s_and_saveexec_b64 s[10:11], vcc
	s_cbranch_execz .LBB925_73
; %bb.72:                               ;   in Loop: Header=BB925_15 Depth=1
	v_and_b32_e32 v34, 7, v30
	v_ffbh_u32_e32 v38, v34
	v_min_u32_e32 v41, 32, v38
	v_subrev_u32_e32 v38, 28, v41
	v_lshlrev_b64 v[38:39], v38, v[30:31]
	v_lshrrev_b32_e32 v40, 3, v23
	v_sub_u32_e32 v30, 29, v41
	v_and_b32_e32 v38, 7, v38
	v_cmp_gt_u32_e32 vcc, 8, v23
	v_cndmask_b32_e32 v23, v40, v30, vcc
	v_cndmask_b32_e32 v30, v34, v38, vcc
	v_lshlrev_b32_e32 v34, 16, v28
	v_lshlrev_b32_e32 v30, 20, v30
	v_and_b32_e32 v34, 0x80000000, v34
	v_lshl_add_u32 v23, v23, 23, v36
	v_or3_b32 v23, v34, v23, v30
	v_lshrrev_b32_e32 v34, 16, v23
.LBB925_73:                             ;   in Loop: Header=BB925_15 Depth=1
	s_or_b64 exec, exec, s[10:11]
.LBB925_74:                             ;   in Loop: Header=BB925_15 Depth=1
	s_or_b64 exec, exec, s[6:7]
.LBB925_75:                             ;   in Loop: Header=BB925_15 Depth=1
	s_or_b64 exec, exec, s[4:5]
	v_lshrrev_b32_e32 v30, 16, v28
	v_cmp_ne_u16_sdwa s[6:7], v30, v35 src0_sel:BYTE_0 src1_sel:DWORD
	s_and_saveexec_b64 s[4:5], s[6:7]
	s_cbranch_execz .LBB925_81
; %bb.76:                               ;   in Loop: Header=BB925_15 Depth=1
	v_cmp_ne_u16_sdwa s[10:11], v30, s13 src0_sel:BYTE_0 src1_sel:DWORD
	v_mov_b32_e32 v37, 0xffff8000
	s_and_saveexec_b64 s[6:7], s[10:11]
	s_cbranch_execz .LBB925_80
; %bb.77:                               ;   in Loop: Header=BB925_15 Depth=1
	v_bfe_u32 v23, v28, 16, 7
	v_cmp_ne_u32_e32 vcc, s14, v23
	v_mov_b32_e32 v37, 0x7f80
	s_and_saveexec_b64 s[10:11], vcc
	s_cbranch_execz .LBB925_79
; %bb.78:                               ;   in Loop: Header=BB925_15 Depth=1
	v_and_b32_e32 v37, 7, v30
	v_ffbh_u32_e32 v38, v37
	v_min_u32_e32 v41, 32, v38
	v_subrev_u32_e32 v38, 28, v41
	v_lshlrev_b64 v[38:39], v38, v[30:31]
	v_lshrrev_b32_e32 v40, 3, v23
	v_sub_u32_e32 v39, 29, v41
	v_and_b32_e32 v38, 7, v38
	v_cmp_gt_u32_e32 vcc, 8, v23
	v_cndmask_b32_e32 v23, v40, v39, vcc
	v_cndmask_b32_e32 v37, v37, v38, vcc
	v_lshlrev_b32_e32 v30, 24, v30
	v_lshlrev_b32_e32 v37, 20, v37
	v_and_b32_e32 v30, 0x80000000, v30
	v_lshl_add_u32 v23, v23, 23, v36
	v_or3_b32 v23, v30, v23, v37
	v_lshrrev_b32_e32 v37, 16, v23
.LBB925_79:                             ;   in Loop: Header=BB925_15 Depth=1
	s_or_b64 exec, exec, s[10:11]
.LBB925_80:                             ;   in Loop: Header=BB925_15 Depth=1
	s_or_b64 exec, exec, s[6:7]
.LBB925_81:                             ;   in Loop: Header=BB925_15 Depth=1
	s_or_b64 exec, exec, s[4:5]
	v_cmp_lt_u32_e32 vcc, s15, v28
	v_mov_b32_e32 v38, 0
	v_mov_b32_e32 v39, 0
	s_and_saveexec_b64 s[4:5], vcc
	s_cbranch_execz .LBB925_87
; %bb.82:                               ;   in Loop: Header=BB925_15 Depth=1
	v_lshrrev_b32_e32 v30, 24, v28
	v_cmp_ne_u32_e32 vcc, s13, v30
	v_mov_b32_e32 v39, 0xffff8000
	s_and_saveexec_b64 s[6:7], vcc
	s_cbranch_execz .LBB925_86
; %bb.83:                               ;   in Loop: Header=BB925_15 Depth=1
	v_bfe_u32 v23, v28, 24, 7
	v_cmp_ne_u32_e32 vcc, s14, v23
	v_mov_b32_e32 v39, 0x7f80
	s_and_saveexec_b64 s[10:11], vcc
	s_cbranch_execz .LBB925_85
; %bb.84:                               ;   in Loop: Header=BB925_15 Depth=1
	v_and_b32_e32 v28, 7, v30
	v_ffbh_u32_e32 v40, v28
	v_min_u32_e32 v42, 32, v40
	v_subrev_u32_e32 v40, 28, v42
	v_lshlrev_b64 v[40:41], v40, v[30:31]
	v_lshrrev_b32_e32 v39, 3, v23
	v_sub_u32_e32 v41, 29, v42
	v_and_b32_e32 v40, 7, v40
	v_cmp_gt_u32_e32 vcc, 8, v23
	v_cndmask_b32_e32 v23, v39, v41, vcc
	v_cndmask_b32_e32 v28, v28, v40, vcc
	v_lshlrev_b32_e32 v30, 24, v30
	v_lshlrev_b32_e32 v28, 20, v28
	v_and_b32_e32 v30, 0x80000000, v30
	v_lshl_add_u32 v23, v23, 23, v36
	v_or3_b32 v23, v30, v23, v28
	v_lshrrev_b32_e32 v39, 16, v23
.LBB925_85:                             ;   in Loop: Header=BB925_15 Depth=1
	s_or_b64 exec, exec, s[10:11]
.LBB925_86:                             ;   in Loop: Header=BB925_15 Depth=1
	s_or_b64 exec, exec, s[6:7]
.LBB925_87:                             ;   in Loop: Header=BB925_15 Depth=1
	s_or_b64 exec, exec, s[4:5]
	s_waitcnt vmcnt(0)
	v_cmp_ne_u16_sdwa s[6:7], v26, v35 src0_sel:BYTE_0 src1_sel:DWORD
	s_and_saveexec_b64 s[4:5], s[6:7]
	s_cbranch_execz .LBB925_93
; %bb.88:                               ;   in Loop: Header=BB925_15 Depth=1
	v_cmp_ne_u16_sdwa s[10:11], v26, s13 src0_sel:BYTE_0 src1_sel:DWORD
	v_mov_b32_e32 v38, 0xffff8000
	s_and_saveexec_b64 s[6:7], s[10:11]
	s_cbranch_execz .LBB925_92
; %bb.89:                               ;   in Loop: Header=BB925_15 Depth=1
	v_and_b32_e32 v23, 0x7f, v26
	v_cmp_ne_u32_e32 vcc, s14, v23
	v_mov_b32_e32 v38, 0x7f80
	s_and_saveexec_b64 s[10:11], vcc
	s_cbranch_execz .LBB925_91
; %bb.90:                               ;   in Loop: Header=BB925_15 Depth=1
	v_and_b32_e32 v28, 7, v26
	v_ffbh_u32_e32 v38, v28
	v_min_u32_e32 v38, 32, v38
	v_subrev_u32_e32 v40, 28, v38
	v_lshlrev_b64 v[40:41], v40, v[26:27]
	v_lshrrev_b32_e32 v30, 3, v23
	v_sub_u32_e32 v38, 29, v38
	v_and_b32_e32 v40, 7, v40
	v_cmp_gt_u32_e32 vcc, 8, v23
	v_cndmask_b32_e32 v23, v30, v38, vcc
	v_cndmask_b32_e32 v28, v28, v40, vcc
	v_lshlrev_b32_e32 v30, 24, v26
	v_lshlrev_b32_e32 v28, 20, v28
	v_and_b32_e32 v30, 0x80000000, v30
	v_lshl_add_u32 v23, v23, 23, v36
	v_or3_b32 v23, v30, v23, v28
	v_lshrrev_b32_e32 v38, 16, v23
.LBB925_91:                             ;   in Loop: Header=BB925_15 Depth=1
	s_or_b64 exec, exec, s[10:11]
.LBB925_92:                             ;   in Loop: Header=BB925_15 Depth=1
	s_or_b64 exec, exec, s[6:7]
.LBB925_93:                             ;   in Loop: Header=BB925_15 Depth=1
	s_or_b64 exec, exec, s[4:5]
	v_lshrrev_b16_e32 v28, 8, v26
	v_cmp_ne_u16_e32 vcc, 0, v28
	v_mov_b32_e32 v41, 0
	v_mov_b32_e32 v40, 0
	s_and_saveexec_b64 s[4:5], vcc
	s_cbranch_execz .LBB925_99
; %bb.94:                               ;   in Loop: Header=BB925_15 Depth=1
	v_cmp_ne_u16_e32 vcc, s13, v28
	v_mov_b32_e32 v40, 0xffff8000
	s_and_saveexec_b64 s[6:7], vcc
	s_cbranch_execz .LBB925_98
; %bb.95:                               ;   in Loop: Header=BB925_15 Depth=1
	v_and_b32_e32 v23, 0x7f, v28
	v_cmp_ne_u32_e32 vcc, s14, v23
	v_mov_b32_e32 v40, 0x7f80
	s_and_saveexec_b64 s[10:11], vcc
	s_cbranch_execz .LBB925_97
; %bb.96:                               ;   in Loop: Header=BB925_15 Depth=1
	v_and_b32_e32 v30, 7, v28
	v_ffbh_u32_e32 v42, v30
	v_min_u32_e32 v44, 32, v42
	v_subrev_u32_e32 v42, 28, v44
	v_lshlrev_b64 v[42:43], v42, v[28:29]
	v_lshrrev_b32_e32 v40, 3, v23
	v_sub_u32_e32 v28, 29, v44
	v_and_b32_e32 v42, 7, v42
	v_cmp_gt_u32_e32 vcc, 8, v23
	v_cndmask_b32_e32 v23, v40, v28, vcc
	v_cndmask_b32_e32 v28, v30, v42, vcc
	v_lshlrev_b32_e32 v30, 16, v26
	v_lshlrev_b32_e32 v28, 20, v28
	v_and_b32_e32 v30, 0x80000000, v30
	v_lshl_add_u32 v23, v23, 23, v36
	v_or3_b32 v23, v30, v23, v28
	v_lshrrev_b32_e32 v40, 16, v23
.LBB925_97:                             ;   in Loop: Header=BB925_15 Depth=1
	s_or_b64 exec, exec, s[10:11]
.LBB925_98:                             ;   in Loop: Header=BB925_15 Depth=1
	s_or_b64 exec, exec, s[6:7]
.LBB925_99:                             ;   in Loop: Header=BB925_15 Depth=1
	s_or_b64 exec, exec, s[4:5]
	v_lshrrev_b32_e32 v28, 16, v26
	v_cmp_ne_u16_sdwa s[6:7], v28, v35 src0_sel:BYTE_0 src1_sel:DWORD
	s_and_saveexec_b64 s[4:5], s[6:7]
	s_cbranch_execz .LBB925_105
; %bb.100:                              ;   in Loop: Header=BB925_15 Depth=1
	v_cmp_ne_u16_sdwa s[10:11], v28, s13 src0_sel:BYTE_0 src1_sel:DWORD
	v_mov_b32_e32 v41, 0xffff8000
	s_and_saveexec_b64 s[6:7], s[10:11]
	s_cbranch_execz .LBB925_104
; %bb.101:                              ;   in Loop: Header=BB925_15 Depth=1
	v_bfe_u32 v23, v26, 16, 7
	v_cmp_ne_u32_e32 vcc, s14, v23
	v_mov_b32_e32 v41, 0x7f80
	s_and_saveexec_b64 s[10:11], vcc
	s_cbranch_execz .LBB925_103
; %bb.102:                              ;   in Loop: Header=BB925_15 Depth=1
	v_and_b32_e32 v30, 7, v28
	v_ffbh_u32_e32 v42, v30
	v_min_u32_e32 v44, 32, v42
	v_subrev_u32_e32 v42, 28, v44
	v_lshlrev_b64 v[42:43], v42, v[28:29]
	v_lshrrev_b32_e32 v41, 3, v23
	v_sub_u32_e32 v43, 29, v44
	v_and_b32_e32 v42, 7, v42
	v_cmp_gt_u32_e32 vcc, 8, v23
	v_cndmask_b32_e32 v23, v41, v43, vcc
	v_cndmask_b32_e32 v30, v30, v42, vcc
	v_lshlrev_b32_e32 v28, 24, v28
	v_lshlrev_b32_e32 v30, 20, v30
	v_and_b32_e32 v28, 0x80000000, v28
	v_lshl_add_u32 v23, v23, 23, v36
	v_or3_b32 v23, v28, v23, v30
	v_lshrrev_b32_e32 v41, 16, v23
.LBB925_103:                            ;   in Loop: Header=BB925_15 Depth=1
	s_or_b64 exec, exec, s[10:11]
.LBB925_104:                            ;   in Loop: Header=BB925_15 Depth=1
	s_or_b64 exec, exec, s[6:7]
.LBB925_105:                            ;   in Loop: Header=BB925_15 Depth=1
	s_or_b64 exec, exec, s[4:5]
	v_cmp_lt_u32_e32 vcc, s15, v26
	v_mov_b32_e32 v23, 0
	v_mov_b32_e32 v42, 0
	s_and_saveexec_b64 s[4:5], vcc
	s_cbranch_execz .LBB925_111
; %bb.106:                              ;   in Loop: Header=BB925_15 Depth=1
	v_lshrrev_b32_e32 v28, 24, v26
	v_cmp_ne_u32_e32 vcc, s13, v28
	v_mov_b32_e32 v42, 0xffff8000
	s_and_saveexec_b64 s[6:7], vcc
	s_cbranch_execz .LBB925_110
; %bb.107:                              ;   in Loop: Header=BB925_15 Depth=1
	v_bfe_u32 v26, v26, 24, 7
	v_cmp_ne_u32_e32 vcc, s14, v26
	v_mov_b32_e32 v42, 0x7f80
	s_and_saveexec_b64 s[10:11], vcc
	s_cbranch_execz .LBB925_109
; %bb.108:                              ;   in Loop: Header=BB925_15 Depth=1
	v_and_b32_e32 v30, 7, v28
	v_ffbh_u32_e32 v42, v30
	v_min_u32_e32 v45, 32, v42
	v_subrev_u32_e32 v42, 28, v45
	v_lshlrev_b64 v[42:43], v42, v[28:29]
	v_lshrrev_b32_e32 v44, 3, v26
	v_sub_u32_e32 v43, 29, v45
	v_and_b32_e32 v42, 7, v42
	v_cmp_gt_u32_e32 vcc, 8, v26
	v_cndmask_b32_e32 v26, v44, v43, vcc
	v_cndmask_b32_e32 v30, v30, v42, vcc
	v_lshlrev_b32_e32 v28, 24, v28
	v_lshlrev_b32_e32 v30, 20, v30
	v_and_b32_e32 v28, 0x80000000, v28
	v_lshl_add_u32 v26, v26, 23, v36
	v_or3_b32 v26, v28, v26, v30
	v_lshrrev_b32_e32 v42, 16, v26
.LBB925_109:                            ;   in Loop: Header=BB925_15 Depth=1
	s_or_b64 exec, exec, s[10:11]
.LBB925_110:                            ;   in Loop: Header=BB925_15 Depth=1
	s_or_b64 exec, exec, s[6:7]
.LBB925_111:                            ;   in Loop: Header=BB925_15 Depth=1
	s_or_b64 exec, exec, s[4:5]
	v_perm_b32 v44, v34, v32, s16
	buffer_load_dword v32, v27, s[0:3], 0 offen offset:16
	buffer_load_dword v30, v27, s[0:3], 0 offen offset:20
	buffer_load_dword v28, v27, s[0:3], 0 offen offset:24
	buffer_load_dword v26, v27, s[0:3], 0 offen offset:28
	v_perm_b32 v45, v39, v37, s16
	v_perm_b32 v39, v42, v41, s16
	;; [unrolled: 1-line block ×3, first 2 shown]
	v_mfma_f32_16x16x16bf16_1k v[18:21], v[44:45], v[6:7], v[18:21]
	s_waitcnt vmcnt(3)
	v_cmp_ne_u16_sdwa s[6:7], v32, v35 src0_sel:BYTE_0 src1_sel:DWORD
	v_mfma_f32_16x16x16bf16_1k v[18:21], v[38:39], v[8:9], v[18:21]
	s_and_saveexec_b64 s[4:5], s[6:7]
	s_cbranch_execz .LBB925_117
; %bb.112:                              ;   in Loop: Header=BB925_15 Depth=1
	v_cmp_ne_u16_sdwa s[10:11], v32, s13 src0_sel:BYTE_0 src1_sel:DWORD
	v_mov_b32_e32 v23, 0xffff8000
	s_and_saveexec_b64 s[6:7], s[10:11]
	s_cbranch_execz .LBB925_116
; %bb.113:                              ;   in Loop: Header=BB925_15 Depth=1
	v_and_b32_e32 v34, 0x7f, v32
	v_cmp_ne_u32_e32 vcc, s14, v34
	v_mov_b32_e32 v23, 0x7f80
	s_and_saveexec_b64 s[10:11], vcc
	s_cbranch_execz .LBB925_115
; %bb.114:                              ;   in Loop: Header=BB925_15 Depth=1
	v_and_b32_e32 v23, 7, v32
	v_ffbh_u32_e32 v38, v23
	v_min_u32_e32 v40, 32, v38
	v_subrev_u32_e32 v38, 28, v40
	v_lshlrev_b64 v[38:39], v38, v[32:33]
	v_lshrrev_b32_e32 v37, 3, v34
	v_sub_u32_e32 v39, 29, v40
	v_and_b32_e32 v38, 7, v38
	v_cmp_gt_u32_e32 vcc, 8, v34
	v_cndmask_b32_e32 v34, v37, v39, vcc
	v_cndmask_b32_e32 v23, v23, v38, vcc
	v_lshlrev_b32_e32 v37, 24, v32
	v_lshlrev_b32_e32 v23, 20, v23
	v_and_b32_e32 v37, 0x80000000, v37
	v_lshl_add_u32 v34, v34, 23, v36
	v_or3_b32 v23, v37, v34, v23
	v_lshrrev_b32_e32 v23, 16, v23
.LBB925_115:                            ;   in Loop: Header=BB925_15 Depth=1
	s_or_b64 exec, exec, s[10:11]
.LBB925_116:                            ;   in Loop: Header=BB925_15 Depth=1
	s_or_b64 exec, exec, s[6:7]
.LBB925_117:                            ;   in Loop: Header=BB925_15 Depth=1
	s_or_b64 exec, exec, s[4:5]
	v_lshrrev_b16_e32 v34, 8, v32
	v_cmp_ne_u16_e32 vcc, 0, v34
	v_mov_b32_e32 v38, 0
	v_mov_b32_e32 v37, 0
	s_and_saveexec_b64 s[4:5], vcc
	s_cbranch_execz .LBB925_123
; %bb.118:                              ;   in Loop: Header=BB925_15 Depth=1
	v_cmp_ne_u16_e32 vcc, s13, v34
	v_mov_b32_e32 v37, 0xffff8000
	s_and_saveexec_b64 s[6:7], vcc
	s_cbranch_execz .LBB925_122
; %bb.119:                              ;   in Loop: Header=BB925_15 Depth=1
	v_and_b32_e32 v39, 0x7f, v34
	v_cmp_ne_u32_e32 vcc, s14, v39
	v_mov_b32_e32 v37, 0x7f80
	s_and_saveexec_b64 s[10:11], vcc
	s_cbranch_execz .LBB925_121
; %bb.120:                              ;   in Loop: Header=BB925_15 Depth=1
	v_and_b32_e32 v37, 7, v34
	v_ffbh_u32_e32 v40, v37
	v_min_u32_e32 v43, 32, v40
	v_subrev_u32_e32 v40, 28, v43
	v_lshlrev_b64 v[40:41], v40, v[34:35]
	v_lshrrev_b32_e32 v42, 3, v39
	v_sub_u32_e32 v34, 29, v43
	v_and_b32_e32 v40, 7, v40
	v_cmp_gt_u32_e32 vcc, 8, v39
	v_cndmask_b32_e32 v34, v42, v34, vcc
	v_cndmask_b32_e32 v37, v37, v40, vcc
	v_lshlrev_b32_e32 v39, 16, v32
	v_lshlrev_b32_e32 v37, 20, v37
	v_and_b32_e32 v39, 0x80000000, v39
	v_lshl_add_u32 v34, v34, 23, v36
	v_or3_b32 v34, v39, v34, v37
	v_lshrrev_b32_e32 v37, 16, v34
.LBB925_121:                            ;   in Loop: Header=BB925_15 Depth=1
	s_or_b64 exec, exec, s[10:11]
.LBB925_122:                            ;   in Loop: Header=BB925_15 Depth=1
	s_or_b64 exec, exec, s[6:7]
.LBB925_123:                            ;   in Loop: Header=BB925_15 Depth=1
	s_or_b64 exec, exec, s[4:5]
	v_lshrrev_b32_e32 v34, 16, v32
	v_cmp_ne_u16_sdwa s[6:7], v34, v35 src0_sel:BYTE_0 src1_sel:DWORD
	s_and_saveexec_b64 s[4:5], s[6:7]
	s_cbranch_execz .LBB925_129
; %bb.124:                              ;   in Loop: Header=BB925_15 Depth=1
	v_cmp_ne_u16_sdwa s[10:11], v34, s13 src0_sel:BYTE_0 src1_sel:DWORD
	v_mov_b32_e32 v38, 0xffff8000
	s_and_saveexec_b64 s[6:7], s[10:11]
	s_cbranch_execz .LBB925_128
; %bb.125:                              ;   in Loop: Header=BB925_15 Depth=1
	v_bfe_u32 v39, v32, 16, 7
	v_cmp_ne_u32_e32 vcc, s14, v39
	v_mov_b32_e32 v38, 0x7f80
	s_and_saveexec_b64 s[10:11], vcc
	s_cbranch_execz .LBB925_127
; %bb.126:                              ;   in Loop: Header=BB925_15 Depth=1
	v_and_b32_e32 v38, 7, v34
	v_ffbh_u32_e32 v40, v38
	v_min_u32_e32 v43, 32, v40
	v_subrev_u32_e32 v40, 28, v43
	v_lshlrev_b64 v[40:41], v40, v[34:35]
	v_lshrrev_b32_e32 v42, 3, v39
	v_sub_u32_e32 v41, 29, v43
	v_and_b32_e32 v40, 7, v40
	v_cmp_gt_u32_e32 vcc, 8, v39
	v_cndmask_b32_e32 v39, v42, v41, vcc
	v_cndmask_b32_e32 v38, v38, v40, vcc
	v_lshlrev_b32_e32 v34, 24, v34
	v_lshlrev_b32_e32 v38, 20, v38
	v_and_b32_e32 v34, 0x80000000, v34
	v_lshl_add_u32 v39, v39, 23, v36
	v_or3_b32 v34, v34, v39, v38
	v_lshrrev_b32_e32 v38, 16, v34
.LBB925_127:                            ;   in Loop: Header=BB925_15 Depth=1
	s_or_b64 exec, exec, s[10:11]
.LBB925_128:                            ;   in Loop: Header=BB925_15 Depth=1
	s_or_b64 exec, exec, s[6:7]
.LBB925_129:                            ;   in Loop: Header=BB925_15 Depth=1
	s_or_b64 exec, exec, s[4:5]
	v_cmp_lt_u32_e32 vcc, s15, v32
	v_mov_b32_e32 v39, 0
	v_mov_b32_e32 v40, 0
	s_and_saveexec_b64 s[4:5], vcc
	s_cbranch_execz .LBB925_135
; %bb.130:                              ;   in Loop: Header=BB925_15 Depth=1
	v_lshrrev_b32_e32 v34, 24, v32
	v_cmp_ne_u32_e32 vcc, s13, v34
	v_mov_b32_e32 v40, 0xffff8000
	s_and_saveexec_b64 s[6:7], vcc
	s_cbranch_execz .LBB925_134
; %bb.131:                              ;   in Loop: Header=BB925_15 Depth=1
	v_bfe_u32 v32, v32, 24, 7
	v_cmp_ne_u32_e32 vcc, s14, v32
	v_mov_b32_e32 v40, 0x7f80
	s_and_saveexec_b64 s[10:11], vcc
	s_cbranch_execz .LBB925_133
; %bb.132:                              ;   in Loop: Header=BB925_15 Depth=1
	v_and_b32_e32 v42, 7, v34
	v_ffbh_u32_e32 v40, v42
	v_min_u32_e32 v44, 32, v40
	v_subrev_u32_e32 v40, 28, v44
	v_lshlrev_b64 v[40:41], v40, v[34:35]
	v_lshrrev_b32_e32 v43, 3, v32
	v_sub_u32_e32 v41, 29, v44
	v_and_b32_e32 v40, 7, v40
	v_cmp_gt_u32_e32 vcc, 8, v32
	v_cndmask_b32_e32 v32, v43, v41, vcc
	v_cndmask_b32_e32 v40, v42, v40, vcc
	v_lshlrev_b32_e32 v34, 24, v34
	v_lshlrev_b32_e32 v40, 20, v40
	v_and_b32_e32 v34, 0x80000000, v34
	v_lshl_add_u32 v32, v32, 23, v36
	v_or3_b32 v32, v34, v32, v40
	v_lshrrev_b32_e32 v40, 16, v32
.LBB925_133:                            ;   in Loop: Header=BB925_15 Depth=1
	s_or_b64 exec, exec, s[10:11]
.LBB925_134:                            ;   in Loop: Header=BB925_15 Depth=1
	s_or_b64 exec, exec, s[6:7]
.LBB925_135:                            ;   in Loop: Header=BB925_15 Depth=1
	s_or_b64 exec, exec, s[4:5]
	s_waitcnt vmcnt(2)
	v_cmp_ne_u16_sdwa s[6:7], v30, v35 src0_sel:BYTE_0 src1_sel:DWORD
	s_and_saveexec_b64 s[4:5], s[6:7]
	s_cbranch_execz .LBB925_141
; %bb.136:                              ;   in Loop: Header=BB925_15 Depth=1
	v_cmp_ne_u16_sdwa s[10:11], v30, s13 src0_sel:BYTE_0 src1_sel:DWORD
	v_mov_b32_e32 v39, 0xffff8000
	s_and_saveexec_b64 s[6:7], s[10:11]
	s_cbranch_execz .LBB925_140
; %bb.137:                              ;   in Loop: Header=BB925_15 Depth=1
	v_and_b32_e32 v32, 0x7f, v30
	v_cmp_ne_u32_e32 vcc, s14, v32
	v_mov_b32_e32 v39, 0x7f80
	s_and_saveexec_b64 s[10:11], vcc
	s_cbranch_execz .LBB925_139
; %bb.138:                              ;   in Loop: Header=BB925_15 Depth=1
	v_and_b32_e32 v34, 7, v30
	v_ffbh_u32_e32 v41, v34
	v_min_u32_e32 v41, 32, v41
	v_subrev_u32_e32 v42, 28, v41
	v_lshlrev_b64 v[42:43], v42, v[30:31]
	v_lshrrev_b32_e32 v39, 3, v32
	v_sub_u32_e32 v41, 29, v41
	v_and_b32_e32 v42, 7, v42
	v_cmp_gt_u32_e32 vcc, 8, v32
	v_cndmask_b32_e32 v32, v39, v41, vcc
	v_cndmask_b32_e32 v34, v34, v42, vcc
	v_lshlrev_b32_e32 v39, 24, v30
	v_lshlrev_b32_e32 v34, 20, v34
	v_and_b32_e32 v39, 0x80000000, v39
	v_lshl_add_u32 v32, v32, 23, v36
	v_or3_b32 v32, v39, v32, v34
	v_lshrrev_b32_e32 v39, 16, v32
.LBB925_139:                            ;   in Loop: Header=BB925_15 Depth=1
	s_or_b64 exec, exec, s[10:11]
.LBB925_140:                            ;   in Loop: Header=BB925_15 Depth=1
	s_or_b64 exec, exec, s[6:7]
.LBB925_141:                            ;   in Loop: Header=BB925_15 Depth=1
	s_or_b64 exec, exec, s[4:5]
	v_lshrrev_b16_e32 v32, 8, v30
	v_cmp_ne_u16_e32 vcc, 0, v32
	v_mov_b32_e32 v42, 0
	v_mov_b32_e32 v41, 0
	s_and_saveexec_b64 s[4:5], vcc
	s_cbranch_execz .LBB925_147
; %bb.142:                              ;   in Loop: Header=BB925_15 Depth=1
	v_cmp_ne_u16_e32 vcc, s13, v32
	v_mov_b32_e32 v41, 0xffff8000
	s_and_saveexec_b64 s[6:7], vcc
	s_cbranch_execz .LBB925_146
; %bb.143:                              ;   in Loop: Header=BB925_15 Depth=1
	v_and_b32_e32 v34, 0x7f, v32
	v_cmp_ne_u32_e32 vcc, s14, v34
	v_mov_b32_e32 v41, 0x7f80
	s_and_saveexec_b64 s[10:11], vcc
	s_cbranch_execz .LBB925_145
; %bb.144:                              ;   in Loop: Header=BB925_15 Depth=1
	v_and_b32_e32 v41, 7, v32
	v_ffbh_u32_e32 v44, v41
	v_min_u32_e32 v46, 32, v44
	v_subrev_u32_e32 v44, 28, v46
	v_lshlrev_b64 v[44:45], v44, v[32:33]
	v_lshrrev_b32_e32 v43, 3, v34
	v_sub_u32_e32 v32, 29, v46
	v_and_b32_e32 v44, 7, v44
	v_cmp_gt_u32_e32 vcc, 8, v34
	v_cndmask_b32_e32 v32, v43, v32, vcc
	v_cndmask_b32_e32 v34, v41, v44, vcc
	v_lshlrev_b32_e32 v41, 16, v30
	v_lshlrev_b32_e32 v34, 20, v34
	v_and_b32_e32 v41, 0x80000000, v41
	v_lshl_add_u32 v32, v32, 23, v36
	v_or3_b32 v32, v41, v32, v34
	v_lshrrev_b32_e32 v41, 16, v32
.LBB925_145:                            ;   in Loop: Header=BB925_15 Depth=1
	s_or_b64 exec, exec, s[10:11]
.LBB925_146:                            ;   in Loop: Header=BB925_15 Depth=1
	s_or_b64 exec, exec, s[6:7]
.LBB925_147:                            ;   in Loop: Header=BB925_15 Depth=1
	s_or_b64 exec, exec, s[4:5]
	v_lshrrev_b32_e32 v32, 16, v30
	v_cmp_ne_u16_sdwa s[6:7], v32, v35 src0_sel:BYTE_0 src1_sel:DWORD
	s_and_saveexec_b64 s[4:5], s[6:7]
	s_cbranch_execz .LBB925_153
; %bb.148:                              ;   in Loop: Header=BB925_15 Depth=1
	v_cmp_ne_u16_sdwa s[10:11], v32, s13 src0_sel:BYTE_0 src1_sel:DWORD
	v_mov_b32_e32 v42, 0xffff8000
	s_and_saveexec_b64 s[6:7], s[10:11]
	s_cbranch_execz .LBB925_152
; %bb.149:                              ;   in Loop: Header=BB925_15 Depth=1
	v_bfe_u32 v34, v30, 16, 7
	v_cmp_ne_u32_e32 vcc, s14, v34
	v_mov_b32_e32 v42, 0x7f80
	s_and_saveexec_b64 s[10:11], vcc
	s_cbranch_execz .LBB925_151
; %bb.150:                              ;   in Loop: Header=BB925_15 Depth=1
	v_and_b32_e32 v44, 7, v32
	v_ffbh_u32_e32 v42, v44
	v_min_u32_e32 v46, 32, v42
	v_subrev_u32_e32 v42, 28, v46
	v_lshlrev_b64 v[42:43], v42, v[32:33]
	v_lshrrev_b32_e32 v45, 3, v34
	v_sub_u32_e32 v43, 29, v46
	v_and_b32_e32 v42, 7, v42
	v_cmp_gt_u32_e32 vcc, 8, v34
	v_cndmask_b32_e32 v34, v45, v43, vcc
	v_cndmask_b32_e32 v42, v44, v42, vcc
	v_lshlrev_b32_e32 v32, 24, v32
	v_lshlrev_b32_e32 v42, 20, v42
	v_and_b32_e32 v32, 0x80000000, v32
	v_lshl_add_u32 v34, v34, 23, v36
	v_or3_b32 v32, v32, v34, v42
	v_lshrrev_b32_e32 v42, 16, v32
.LBB925_151:                            ;   in Loop: Header=BB925_15 Depth=1
	s_or_b64 exec, exec, s[10:11]
.LBB925_152:                            ;   in Loop: Header=BB925_15 Depth=1
	s_or_b64 exec, exec, s[6:7]
.LBB925_153:                            ;   in Loop: Header=BB925_15 Depth=1
	s_or_b64 exec, exec, s[4:5]
	v_cmp_lt_u32_e32 vcc, s15, v30
	v_mov_b32_e32 v34, 0
	v_mov_b32_e32 v43, 0
	s_and_saveexec_b64 s[4:5], vcc
	s_cbranch_execz .LBB925_159
; %bb.154:                              ;   in Loop: Header=BB925_15 Depth=1
	v_lshrrev_b32_e32 v32, 24, v30
	v_cmp_ne_u32_e32 vcc, s13, v32
	v_mov_b32_e32 v43, 0xffff8000
	s_and_saveexec_b64 s[6:7], vcc
	s_cbranch_execz .LBB925_158
; %bb.155:                              ;   in Loop: Header=BB925_15 Depth=1
	v_bfe_u32 v30, v30, 24, 7
	v_cmp_ne_u32_e32 vcc, s14, v30
	v_mov_b32_e32 v43, 0x7f80
	s_and_saveexec_b64 s[10:11], vcc
	s_cbranch_execz .LBB925_157
; %bb.156:                              ;   in Loop: Header=BB925_15 Depth=1
	v_and_b32_e32 v43, 7, v32
	v_ffbh_u32_e32 v44, v43
	v_min_u32_e32 v47, 32, v44
	v_subrev_u32_e32 v44, 28, v47
	v_lshlrev_b64 v[44:45], v44, v[32:33]
	v_lshrrev_b32_e32 v46, 3, v30
	v_sub_u32_e32 v45, 29, v47
	v_and_b32_e32 v44, 7, v44
	v_cmp_gt_u32_e32 vcc, 8, v30
	v_cndmask_b32_e32 v30, v46, v45, vcc
	v_cndmask_b32_e32 v43, v43, v44, vcc
	v_lshlrev_b32_e32 v32, 24, v32
	v_lshlrev_b32_e32 v43, 20, v43
	v_and_b32_e32 v32, 0x80000000, v32
	v_lshl_add_u32 v30, v30, 23, v36
	v_or3_b32 v30, v32, v30, v43
	v_lshrrev_b32_e32 v43, 16, v30
.LBB925_157:                            ;   in Loop: Header=BB925_15 Depth=1
	s_or_b64 exec, exec, s[10:11]
.LBB925_158:                            ;   in Loop: Header=BB925_15 Depth=1
	s_or_b64 exec, exec, s[6:7]
.LBB925_159:                            ;   in Loop: Header=BB925_15 Depth=1
	s_or_b64 exec, exec, s[4:5]
	v_perm_b32 v45, v40, v38, s16
	v_perm_b32 v44, v37, v23, s16
	;; [unrolled: 1-line block ×4, first 2 shown]
	s_waitcnt vmcnt(1)
	v_cmp_ne_u16_sdwa s[6:7], v28, v35 src0_sel:BYTE_0 src1_sel:DWORD
	v_mfma_f32_16x16x16bf16_1k v[18:21], v[44:45], v[10:11], v[18:21]
	v_mfma_f32_16x16x16bf16_1k v[18:21], v[42:43], v[12:13], v[18:21]
	s_and_saveexec_b64 s[4:5], s[6:7]
	s_cbranch_execz .LBB925_165
; %bb.160:                              ;   in Loop: Header=BB925_15 Depth=1
	v_cmp_ne_u16_sdwa s[10:11], v28, s13 src0_sel:BYTE_0 src1_sel:DWORD
	v_mov_b32_e32 v34, 0xffff8000
	s_and_saveexec_b64 s[6:7], s[10:11]
	s_cbranch_execz .LBB925_164
; %bb.161:                              ;   in Loop: Header=BB925_15 Depth=1
	v_and_b32_e32 v23, 0x7f, v28
	v_cmp_ne_u32_e32 vcc, s14, v23
	v_mov_b32_e32 v34, 0x7f80
	s_and_saveexec_b64 s[10:11], vcc
	s_cbranch_execz .LBB925_163
; %bb.162:                              ;   in Loop: Header=BB925_15 Depth=1
	v_and_b32_e32 v30, 7, v28
	v_ffbh_u32_e32 v34, v30
	v_min_u32_e32 v34, 32, v34
	v_subrev_u32_e32 v37, 28, v34
	v_lshlrev_b64 v[38:39], v37, v[28:29]
	v_lshrrev_b32_e32 v32, 3, v23
	v_sub_u32_e32 v34, 29, v34
	v_and_b32_e32 v37, 7, v38
	v_cmp_gt_u32_e32 vcc, 8, v23
	v_cndmask_b32_e32 v23, v32, v34, vcc
	v_cndmask_b32_e32 v30, v30, v37, vcc
	v_lshlrev_b32_e32 v32, 24, v28
	v_lshlrev_b32_e32 v30, 20, v30
	v_and_b32_e32 v32, 0x80000000, v32
	v_lshl_add_u32 v23, v23, 23, v36
	v_or3_b32 v23, v32, v23, v30
	v_lshrrev_b32_e32 v34, 16, v23
.LBB925_163:                            ;   in Loop: Header=BB925_15 Depth=1
	s_or_b64 exec, exec, s[10:11]
.LBB925_164:                            ;   in Loop: Header=BB925_15 Depth=1
	s_or_b64 exec, exec, s[6:7]
.LBB925_165:                            ;   in Loop: Header=BB925_15 Depth=1
	s_or_b64 exec, exec, s[4:5]
	v_lshrrev_b16_e32 v30, 8, v28
	v_cmp_ne_u16_e32 vcc, 0, v30
	v_mov_b32_e32 v32, 0
	v_mov_b32_e32 v23, 0
	s_and_saveexec_b64 s[4:5], vcc
	s_cbranch_execz .LBB925_171
; %bb.166:                              ;   in Loop: Header=BB925_15 Depth=1
	v_cmp_ne_u16_e32 vcc, s13, v30
	v_mov_b32_e32 v23, 0xffff8000
	s_and_saveexec_b64 s[6:7], vcc
	s_cbranch_execz .LBB925_170
; %bb.167:                              ;   in Loop: Header=BB925_15 Depth=1
	v_and_b32_e32 v37, 0x7f, v30
	v_cmp_ne_u32_e32 vcc, s14, v37
	v_mov_b32_e32 v23, 0x7f80
	s_and_saveexec_b64 s[10:11], vcc
	s_cbranch_execz .LBB925_169
; %bb.168:                              ;   in Loop: Header=BB925_15 Depth=1
	v_and_b32_e32 v23, 7, v30
	v_ffbh_u32_e32 v38, v23
	v_min_u32_e32 v41, 32, v38
	v_subrev_u32_e32 v38, 28, v41
	v_lshlrev_b64 v[38:39], v38, v[30:31]
	v_lshrrev_b32_e32 v40, 3, v37
	v_sub_u32_e32 v30, 29, v41
	v_and_b32_e32 v38, 7, v38
	v_cmp_gt_u32_e32 vcc, 8, v37
	v_cndmask_b32_e32 v30, v40, v30, vcc
	v_cndmask_b32_e32 v23, v23, v38, vcc
	v_lshlrev_b32_e32 v37, 16, v28
	v_lshlrev_b32_e32 v23, 20, v23
	v_and_b32_e32 v37, 0x80000000, v37
	v_lshl_add_u32 v30, v30, 23, v36
	v_or3_b32 v23, v37, v30, v23
	v_lshrrev_b32_e32 v23, 16, v23
.LBB925_169:                            ;   in Loop: Header=BB925_15 Depth=1
	s_or_b64 exec, exec, s[10:11]
.LBB925_170:                            ;   in Loop: Header=BB925_15 Depth=1
	s_or_b64 exec, exec, s[6:7]
.LBB925_171:                            ;   in Loop: Header=BB925_15 Depth=1
	s_or_b64 exec, exec, s[4:5]
	v_lshrrev_b32_e32 v30, 16, v28
	v_cmp_ne_u16_sdwa s[6:7], v30, v35 src0_sel:BYTE_0 src1_sel:DWORD
	s_and_saveexec_b64 s[4:5], s[6:7]
	s_cbranch_execz .LBB925_177
; %bb.172:                              ;   in Loop: Header=BB925_15 Depth=1
	v_cmp_ne_u16_sdwa s[10:11], v30, s13 src0_sel:BYTE_0 src1_sel:DWORD
	v_mov_b32_e32 v32, 0xffff8000
	s_and_saveexec_b64 s[6:7], s[10:11]
	s_cbranch_execz .LBB925_176
; %bb.173:                              ;   in Loop: Header=BB925_15 Depth=1
	v_bfe_u32 v37, v28, 16, 7
	v_cmp_ne_u32_e32 vcc, s14, v37
	v_mov_b32_e32 v32, 0x7f80
	s_and_saveexec_b64 s[10:11], vcc
	s_cbranch_execz .LBB925_175
; %bb.174:                              ;   in Loop: Header=BB925_15 Depth=1
	v_and_b32_e32 v32, 7, v30
	v_ffbh_u32_e32 v38, v32
	v_min_u32_e32 v41, 32, v38
	v_subrev_u32_e32 v38, 28, v41
	v_lshlrev_b64 v[38:39], v38, v[30:31]
	v_lshrrev_b32_e32 v40, 3, v37
	v_sub_u32_e32 v39, 29, v41
	v_and_b32_e32 v38, 7, v38
	v_cmp_gt_u32_e32 vcc, 8, v37
	v_cndmask_b32_e32 v37, v40, v39, vcc
	v_cndmask_b32_e32 v32, v32, v38, vcc
	v_lshlrev_b32_e32 v30, 24, v30
	v_lshlrev_b32_e32 v32, 20, v32
	v_and_b32_e32 v30, 0x80000000, v30
	v_lshl_add_u32 v37, v37, 23, v36
	v_or3_b32 v30, v30, v37, v32
	v_lshrrev_b32_e32 v32, 16, v30
.LBB925_175:                            ;   in Loop: Header=BB925_15 Depth=1
	s_or_b64 exec, exec, s[10:11]
.LBB925_176:                            ;   in Loop: Header=BB925_15 Depth=1
	s_or_b64 exec, exec, s[6:7]
.LBB925_177:                            ;   in Loop: Header=BB925_15 Depth=1
	s_or_b64 exec, exec, s[4:5]
	v_cmp_lt_u32_e32 vcc, s15, v28
	v_mov_b32_e32 v37, 0
	v_mov_b32_e32 v38, 0
	s_and_saveexec_b64 s[4:5], vcc
	s_cbranch_execz .LBB925_183
; %bb.178:                              ;   in Loop: Header=BB925_15 Depth=1
	v_lshrrev_b32_e32 v30, 24, v28
	v_cmp_ne_u32_e32 vcc, s13, v30
	v_mov_b32_e32 v38, 0xffff8000
	s_and_saveexec_b64 s[6:7], vcc
	s_cbranch_execz .LBB925_182
; %bb.179:                              ;   in Loop: Header=BB925_15 Depth=1
	v_bfe_u32 v28, v28, 24, 7
	v_cmp_ne_u32_e32 vcc, s14, v28
	v_mov_b32_e32 v38, 0x7f80
	s_and_saveexec_b64 s[10:11], vcc
	s_cbranch_execz .LBB925_181
; %bb.180:                              ;   in Loop: Header=BB925_15 Depth=1
	v_and_b32_e32 v40, 7, v30
	v_ffbh_u32_e32 v38, v40
	v_min_u32_e32 v42, 32, v38
	v_subrev_u32_e32 v38, 28, v42
	v_lshlrev_b64 v[38:39], v38, v[30:31]
	v_lshrrev_b32_e32 v41, 3, v28
	v_sub_u32_e32 v39, 29, v42
	v_and_b32_e32 v38, 7, v38
	v_cmp_gt_u32_e32 vcc, 8, v28
	v_cndmask_b32_e32 v28, v41, v39, vcc
	v_cndmask_b32_e32 v38, v40, v38, vcc
	v_lshlrev_b32_e32 v30, 24, v30
	v_lshlrev_b32_e32 v38, 20, v38
	v_and_b32_e32 v30, 0x80000000, v30
	v_lshl_add_u32 v28, v28, 23, v36
	v_or3_b32 v28, v30, v28, v38
	v_lshrrev_b32_e32 v38, 16, v28
.LBB925_181:                            ;   in Loop: Header=BB925_15 Depth=1
	s_or_b64 exec, exec, s[10:11]
.LBB925_182:                            ;   in Loop: Header=BB925_15 Depth=1
	s_or_b64 exec, exec, s[6:7]
.LBB925_183:                            ;   in Loop: Header=BB925_15 Depth=1
	s_or_b64 exec, exec, s[4:5]
	s_waitcnt vmcnt(0)
	v_cmp_ne_u16_sdwa s[6:7], v26, v35 src0_sel:BYTE_0 src1_sel:DWORD
	s_and_saveexec_b64 s[4:5], s[6:7]
	s_cbranch_execz .LBB925_189
; %bb.184:                              ;   in Loop: Header=BB925_15 Depth=1
	v_cmp_ne_u16_sdwa s[10:11], v26, s13 src0_sel:BYTE_0 src1_sel:DWORD
	v_mov_b32_e32 v37, 0xffff8000
	s_and_saveexec_b64 s[6:7], s[10:11]
	s_cbranch_execz .LBB925_188
; %bb.185:                              ;   in Loop: Header=BB925_15 Depth=1
	v_and_b32_e32 v28, 0x7f, v26
	v_cmp_ne_u32_e32 vcc, s14, v28
	v_mov_b32_e32 v37, 0x7f80
	s_and_saveexec_b64 s[10:11], vcc
	s_cbranch_execz .LBB925_187
; %bb.186:                              ;   in Loop: Header=BB925_15 Depth=1
	v_and_b32_e32 v30, 7, v26
	v_ffbh_u32_e32 v39, v30
	v_min_u32_e32 v39, 32, v39
	v_subrev_u32_e32 v40, 28, v39
	v_lshlrev_b64 v[40:41], v40, v[26:27]
	v_lshrrev_b32_e32 v37, 3, v28
	v_sub_u32_e32 v39, 29, v39
	v_and_b32_e32 v40, 7, v40
	v_cmp_gt_u32_e32 vcc, 8, v28
	v_cndmask_b32_e32 v28, v37, v39, vcc
	v_cndmask_b32_e32 v30, v30, v40, vcc
	v_lshlrev_b32_e32 v37, 24, v26
	v_lshlrev_b32_e32 v30, 20, v30
	v_and_b32_e32 v37, 0x80000000, v37
	v_lshl_add_u32 v28, v28, 23, v36
	v_or3_b32 v28, v37, v28, v30
	v_lshrrev_b32_e32 v37, 16, v28
.LBB925_187:                            ;   in Loop: Header=BB925_15 Depth=1
	s_or_b64 exec, exec, s[10:11]
.LBB925_188:                            ;   in Loop: Header=BB925_15 Depth=1
	s_or_b64 exec, exec, s[6:7]
.LBB925_189:                            ;   in Loop: Header=BB925_15 Depth=1
	s_or_b64 exec, exec, s[4:5]
	v_lshrrev_b16_e32 v28, 8, v26
	v_cmp_ne_u16_e32 vcc, 0, v28
	v_mov_b32_e32 v39, 0
	v_mov_b32_e32 v30, 0
	s_and_saveexec_b64 s[4:5], vcc
	s_cbranch_execz .LBB925_195
; %bb.190:                              ;   in Loop: Header=BB925_15 Depth=1
	v_cmp_ne_u16_e32 vcc, s13, v28
	v_mov_b32_e32 v30, 0xffff8000
	s_and_saveexec_b64 s[6:7], vcc
	s_cbranch_execz .LBB925_194
; %bb.191:                              ;   in Loop: Header=BB925_15 Depth=1
	v_and_b32_e32 v40, 0x7f, v28
	v_cmp_ne_u32_e32 vcc, s14, v40
	v_mov_b32_e32 v30, 0x7f80
	s_and_saveexec_b64 s[10:11], vcc
	s_cbranch_execz .LBB925_193
; %bb.192:                              ;   in Loop: Header=BB925_15 Depth=1
	v_and_b32_e32 v30, 7, v28
	v_ffbh_u32_e32 v42, v30
	v_min_u32_e32 v44, 32, v42
	v_subrev_u32_e32 v42, 28, v44
	v_lshlrev_b64 v[42:43], v42, v[28:29]
	v_lshrrev_b32_e32 v41, 3, v40
	v_sub_u32_e32 v28, 29, v44
	v_and_b32_e32 v42, 7, v42
	v_cmp_gt_u32_e32 vcc, 8, v40
	v_cndmask_b32_e32 v28, v41, v28, vcc
	v_cndmask_b32_e32 v30, v30, v42, vcc
	v_lshlrev_b32_e32 v40, 16, v26
	v_lshlrev_b32_e32 v30, 20, v30
	v_and_b32_e32 v40, 0x80000000, v40
	v_lshl_add_u32 v28, v28, 23, v36
	v_or3_b32 v28, v40, v28, v30
	v_lshrrev_b32_e32 v30, 16, v28
.LBB925_193:                            ;   in Loop: Header=BB925_15 Depth=1
	s_or_b64 exec, exec, s[10:11]
.LBB925_194:                            ;   in Loop: Header=BB925_15 Depth=1
	s_or_b64 exec, exec, s[6:7]
.LBB925_195:                            ;   in Loop: Header=BB925_15 Depth=1
	s_or_b64 exec, exec, s[4:5]
	v_lshrrev_b32_e32 v28, 16, v26
	v_cmp_ne_u16_sdwa s[6:7], v28, v35 src0_sel:BYTE_0 src1_sel:DWORD
	s_and_saveexec_b64 s[4:5], s[6:7]
	s_cbranch_execz .LBB925_201
; %bb.196:                              ;   in Loop: Header=BB925_15 Depth=1
	v_cmp_ne_u16_sdwa s[10:11], v28, s13 src0_sel:BYTE_0 src1_sel:DWORD
	v_mov_b32_e32 v39, 0xffff8000
	s_and_saveexec_b64 s[6:7], s[10:11]
	s_cbranch_execz .LBB925_200
; %bb.197:                              ;   in Loop: Header=BB925_15 Depth=1
	v_bfe_u32 v40, v26, 16, 7
	v_cmp_ne_u32_e32 vcc, s14, v40
	v_mov_b32_e32 v39, 0x7f80
	s_and_saveexec_b64 s[10:11], vcc
	s_cbranch_execz .LBB925_199
; %bb.198:                              ;   in Loop: Header=BB925_15 Depth=1
	v_and_b32_e32 v39, 7, v28
	v_ffbh_u32_e32 v42, v39
	v_min_u32_e32 v44, 32, v42
	v_subrev_u32_e32 v42, 28, v44
	v_lshlrev_b64 v[42:43], v42, v[28:29]
	v_lshrrev_b32_e32 v41, 3, v40
	v_sub_u32_e32 v43, 29, v44
	v_and_b32_e32 v42, 7, v42
	v_cmp_gt_u32_e32 vcc, 8, v40
	v_cndmask_b32_e32 v40, v41, v43, vcc
	v_cndmask_b32_e32 v39, v39, v42, vcc
	v_lshlrev_b32_e32 v28, 24, v28
	v_lshlrev_b32_e32 v39, 20, v39
	v_and_b32_e32 v28, 0x80000000, v28
	v_lshl_add_u32 v40, v40, 23, v36
	v_or3_b32 v28, v28, v40, v39
	v_lshrrev_b32_e32 v39, 16, v28
.LBB925_199:                            ;   in Loop: Header=BB925_15 Depth=1
	s_or_b64 exec, exec, s[10:11]
.LBB925_200:                            ;   in Loop: Header=BB925_15 Depth=1
	s_or_b64 exec, exec, s[6:7]
.LBB925_201:                            ;   in Loop: Header=BB925_15 Depth=1
	s_or_b64 exec, exec, s[4:5]
	v_cmp_lt_u32_e32 vcc, s15, v26
	v_mov_b32_e32 v40, 0
	s_and_saveexec_b64 s[4:5], vcc
	s_cbranch_execz .LBB925_14
; %bb.202:                              ;   in Loop: Header=BB925_15 Depth=1
	v_lshrrev_b32_e32 v28, 24, v26
	v_cmp_ne_u32_e32 vcc, s13, v28
	v_mov_b32_e32 v40, 0xffff8000
	s_and_saveexec_b64 s[6:7], vcc
	s_cbranch_execz .LBB925_13
; %bb.203:                              ;   in Loop: Header=BB925_15 Depth=1
	v_bfe_u32 v26, v26, 24, 7
	v_cmp_ne_u32_e32 vcc, s14, v26
	v_mov_b32_e32 v40, 0x7f80
	s_and_saveexec_b64 s[10:11], vcc
	s_cbranch_execz .LBB925_12
; %bb.204:                              ;   in Loop: Header=BB925_15 Depth=1
	v_and_b32_e32 v42, 7, v28
	v_ffbh_u32_e32 v40, v42
	v_min_u32_e32 v44, 32, v40
	v_subrev_u32_e32 v40, 28, v44
	v_lshlrev_b64 v[40:41], v40, v[28:29]
	v_lshrrev_b32_e32 v43, 3, v26
	v_sub_u32_e32 v41, 29, v44
	v_and_b32_e32 v40, 7, v40
	v_cmp_gt_u32_e32 vcc, 8, v26
	v_cndmask_b32_e32 v26, v43, v41, vcc
	v_cndmask_b32_e32 v40, v42, v40, vcc
	v_lshlrev_b32_e32 v28, 24, v28
	v_lshlrev_b32_e32 v40, 20, v40
	v_and_b32_e32 v28, 0x80000000, v28
	v_lshl_add_u32 v26, v26, 23, v36
	v_or3_b32 v26, v28, v26, v40
	v_lshrrev_b32_e32 v40, 16, v26
	s_branch .LBB925_12
.LBB925_205:
	buffer_load_dword v13, off, s[0:3], 0 offset:256
	buffer_load_dword v14, off, s[0:3], 0 offset:260
	;; [unrolled: 1-line block ×16, first 2 shown]
	v_and_b32_e32 v12, 0xc0, v0
	v_add_u32_e32 v12, s20, v12
	v_lshl_or_b32 v12, v1, 2, v12
	v_or_b32_e32 v23, 1, v12
	v_mov_b32_e32 v19, 0xff7fffff
	v_or_b32_e32 v24, 2, v12
	v_or_b32_e32 v25, 3, v12
	v_cmp_gt_i32_e64 s[26:27], s33, v12
	v_cmp_gt_i32_e64 s[28:29], s33, v23
	s_mov_b32 s52, 0xff7fffff
	v_or_b32_e32 v26, 16, v12
	v_or_b32_e32 v27, 17, v12
	v_or_b32_e32 v28, 18, v12
	v_or_b32_e32 v29, 19, v12
	v_or_b32_e32 v30, 32, v12
	v_or_b32_e32 v32, 33, v12
	v_or_b32_e32 v34, 34, v12
	v_or_b32_e32 v35, 35, v12
	v_or_b32_e32 v36, 48, v12
	v_or_b32_e32 v37, 49, v12
	v_or_b32_e32 v38, 50, v12
	v_or_b32_e32 v39, 51, v12
	v_cmp_gt_i32_e64 s[30:31], s33, v24
	v_cmp_gt_i32_e64 s[34:35], s33, v25
	v_mbcnt_lo_u32_b32 v20, -1, 0
	v_cmp_gt_i32_e64 s[36:37], s33, v26
	v_cmp_gt_i32_e64 s[38:39], s33, v27
	v_mbcnt_hi_u32_b32 v20, -1, v20
	v_cmp_gt_i32_e64 s[20:21], s33, v28
	v_cmp_gt_i32_e64 s[22:23], s33, v29
	v_and_b32_e32 v21, 64, v20
	v_cmp_gt_i32_e64 s[16:17], s33, v30
	v_cmp_gt_i32_e64 s[18:19], s33, v32
	v_xor_b32_e32 v22, 32, v20
	v_add_u32_e32 v21, 64, v21
	v_cmp_gt_i32_e64 s[12:13], s33, v34
	v_cmp_gt_i32_e64 s[14:15], s33, v35
	v_cmp_lt_i32_e32 vcc, v22, v21
	v_cmp_gt_i32_e64 s[6:7], s33, v36
	v_cmp_gt_i32_e64 s[10:11], s33, v37
	v_cndmask_b32_e32 v22, v20, v22, vcc
	v_cmp_gt_i32_e32 vcc, s33, v38
	v_cmp_gt_i32_e64 s[4:5], s33, v39
	v_lshlrev_b32_e32 v22, 2, v22
	s_waitcnt vmcnt(15)
	v_cndmask_b32_e64 v12, v19, v13, s[26:27]
	s_waitcnt vmcnt(14)
	v_cndmask_b32_e64 v23, v19, v14, s[28:29]
	s_waitcnt vmcnt(13)
	v_cndmask_b32_e64 v24, v19, v15, s[30:31]
	s_waitcnt vmcnt(12)
	v_cndmask_b32_e64 v25, v19, v16, s[34:35]
	v_max3_f32 v12, v12, s52, v23
	s_waitcnt vmcnt(11)
	v_cndmask_b32_e64 v26, v19, v17, s[36:37]
	s_waitcnt vmcnt(10)
	v_cndmask_b32_e64 v27, v19, v18, s[38:39]
	v_max3_f32 v12, v12, v24, v25
	s_waitcnt vmcnt(9)
	v_cndmask_b32_e64 v28, v19, v11, s[20:21]
	s_waitcnt vmcnt(8)
	v_cndmask_b32_e64 v29, v19, v10, s[22:23]
	;; [unrolled: 5-line block ×5, first 2 shown]
	v_max3_f32 v12, v12, v34, v35
	s_waitcnt vmcnt(1)
	v_cndmask_b32_e32 v38, v19, v3, vcc
	s_waitcnt vmcnt(0)
	v_cndmask_b32_e64 v19, v19, v2, s[4:5]
	v_max3_f32 v12, v12, v36, v37
	v_max3_f32 v12, v12, v38, v19
	ds_bpermute_b32 v19, v22, v12
	v_xor_b32_e32 v23, 16, v20
	v_cmp_lt_i32_e64 s[40:41], v23, v21
	v_cndmask_b32_e64 v20, v20, v23, s[40:41]
	v_lshlrev_b32_e32 v20, 2, v20
	s_waitcnt lgkmcnt(0)
	v_max_f32_e32 v19, v19, v19
	v_max_f32_e32 v12, v12, v19
	ds_bpermute_b32 v19, v20, v12
	s_waitcnt lgkmcnt(0)
	v_max_f32_e32 v19, v19, v19
	v_max_f32_e32 v12, v12, v19
	v_sub_f32_e32 v13, v13, v12
	v_sub_f32_e32 v14, v14, v12
	;; [unrolled: 1-line block ×3, first 2 shown]
	v_mul_f32_e32 v13, 0x3fb8aa3b, v13
	v_mul_f32_e32 v14, 0x3fb8aa3b, v14
	v_mul_f32_e32 v15, 0x3fb8aa3b, v15
	v_exp_f32_e32 v13, v13
	v_exp_f32_e32 v14, v14
	;; [unrolled: 1-line block ×3, first 2 shown]
	v_sub_f32_e32 v16, v16, v12
	v_cndmask_b32_e64 v13, 0, v13, s[26:27]
	v_mul_f32_e32 v16, 0x3fb8aa3b, v16
	v_cndmask_b32_e64 v14, 0, v14, s[28:29]
	v_cndmask_b32_e64 v15, 0, v15, s[30:31]
	v_add_f32_e32 v19, 0, v13
	buffer_store_dword v13, off, s[0:3], 0 offset:256
	buffer_store_dword v14, off, s[0:3], 0 offset:260
	;; [unrolled: 1-line block ×3, first 2 shown]
	v_sub_f32_e32 v13, v17, v12
	v_exp_f32_e32 v16, v16
	v_add_f32_e32 v19, v19, v14
	v_mul_f32_e32 v13, 0x3fb8aa3b, v13
	v_sub_f32_e32 v14, v18, v12
	v_exp_f32_e32 v13, v13
	v_mul_f32_e32 v14, 0x3fb8aa3b, v14
	v_sub_f32_e32 v11, v11, v12
	v_exp_f32_e32 v14, v14
	;; [unrolled: 3-line block ×3, first 2 shown]
	v_mul_f32_e32 v10, 0x3fb8aa3b, v10
	v_sub_f32_e32 v9, v9, v12
	v_cndmask_b32_e64 v16, 0, v16, s[34:35]
	v_add_f32_e32 v19, v19, v15
	v_exp_f32_e32 v10, v10
	v_mul_f32_e32 v9, 0x3fb8aa3b, v9
	v_sub_f32_e32 v8, v8, v12
	v_add_f32_e32 v19, v19, v16
	v_cndmask_b32_e64 v13, 0, v13, s[36:37]
	v_exp_f32_e32 v9, v9
	v_mul_f32_e32 v8, 0x3fb8aa3b, v8
	v_sub_f32_e32 v7, v7, v12
	v_add_f32_e32 v15, v19, v13
	v_cndmask_b32_e64 v14, 0, v14, s[38:39]
	;; [unrolled: 5-line block ×5, first 2 shown]
	v_exp_f32_e32 v5, v5
	v_mul_f32_e32 v4, 0x3fb8aa3b, v4
	v_sub_f32_e32 v3, v3, v12
	buffer_store_dword v16, off, s[0:3], 0 offset:268
	buffer_store_dword v13, off, s[0:3], 0 offset:272
	;; [unrolled: 1-line block ×5, first 2 shown]
	v_add_f32_e32 v10, v15, v9
	v_cndmask_b32_e64 v8, 0, v8, s[18:19]
	v_exp_f32_e32 v4, v4
	v_mul_f32_e32 v3, 0x3fb8aa3b, v3
	v_sub_f32_e32 v2, v2, v12
	v_add_f32_e32 v10, v10, v8
	v_cndmask_b32_e64 v7, 0, v7, s[12:13]
	v_exp_f32_e32 v3, v3
	v_mul_f32_e32 v2, 0x3fb8aa3b, v2
	v_add_f32_e32 v10, v10, v7
	v_cndmask_b32_e64 v6, 0, v6, s[14:15]
	v_exp_f32_e32 v2, v2
	v_add_f32_e32 v10, v10, v6
	v_cndmask_b32_e64 v5, 0, v5, s[6:7]
	buffer_store_dword v9, off, s[0:3], 0 offset:288
	buffer_store_dword v8, off, s[0:3], 0 offset:292
	;; [unrolled: 1-line block ×4, first 2 shown]
	v_add_f32_e32 v6, v10, v5
	v_cndmask_b32_e64 v4, 0, v4, s[10:11]
	v_add_f32_e32 v6, v6, v4
	v_cndmask_b32_e32 v3, 0, v3, vcc
	v_add_f32_e32 v6, v6, v3
	v_cndmask_b32_e64 v2, 0, v2, s[4:5]
	v_add_f32_e32 v6, v6, v2
	ds_bpermute_b32 v7, v22, v6
	buffer_store_dword v5, off, s[0:3], 0 offset:304
	buffer_store_dword v4, off, s[0:3], 0 offset:308
	;; [unrolled: 1-line block ×4, first 2 shown]
	v_cmp_gt_u32_e32 vcc, 16, v62
	s_waitcnt lgkmcnt(0)
	s_barrier
	v_add_f32_e32 v2, v6, v7
	ds_bpermute_b32 v3, v20, v2
	s_waitcnt lgkmcnt(0)
	s_and_saveexec_b64 s[4:5], vcc
	s_cbranch_execz .LBB925_207
; %bb.206:
	v_add_f32_e32 v2, v2, v3
	v_lshlrev_b32_e32 v3, 2, v61
	ds_write2st64_b32 v3, v12, v2 offset1:1
.LBB925_207:
	s_or_b64 exec, exec, s[4:5]
	v_lshlrev_b32_e32 v2, 2, v51
	s_waitcnt lgkmcnt(0)
	s_barrier
	ds_read2_b32 v[14:15], v2 offset1:16
	ds_read2_b32 v[16:17], v2 offset0:32 offset1:48
	ds_read2_b32 v[6:7], v2 offset0:64 offset1:80
	;; [unrolled: 1-line block ×3, first 2 shown]
	s_waitcnt lgkmcnt(0)
	s_barrier
	buffer_load_dword v20, off, s[0:3], 0 offset:264
	buffer_load_dword v21, off, s[0:3], 0 offset:268
	;; [unrolled: 1-line block ×16, first 2 shown]
	v_max3_f32 v18, v14, s52, v15
	v_max3_f32 v18, v18, v16, v17
	v_sub_f32_e32 v14, v14, v18
	v_sub_f32_e32 v15, v15, v18
	v_mul_f32_e32 v14, 0x3fb8aa3b, v14
	v_sub_f32_e32 v16, v16, v18
	v_mul_f32_e32 v15, 0x3fb8aa3b, v15
	v_exp_f32_e32 v14, v14
	v_sub_f32_e32 v17, v17, v18
	v_mul_f32_e32 v16, 0x3fb8aa3b, v16
	v_exp_f32_e32 v15, v15
	v_mul_f32_e32 v17, 0x3fb8aa3b, v17
	v_exp_f32_e32 v16, v16
	v_exp_f32_e32 v17, v17
	v_fma_f32 v6, v14, v6, 0
	v_fmac_f32_e32 v6, v15, v7
	v_fmac_f32_e32 v6, v16, v10
	;; [unrolled: 1-line block ×3, first 2 shown]
	v_cmp_eq_u32_e32 vcc, 1, v60
	v_add_f32_e32 v10, 0x358637bd, v6
	v_cndmask_b32_e32 v14, v14, v15, vcc
	v_cmp_eq_u32_e32 vcc, 2, v60
	v_div_scale_f32 v11, s[4:5], v10, v10, 1.0
	v_cndmask_b32_e32 v7, v14, v16, vcc
	v_rcp_f32_e32 v14, v11
	v_cmp_eq_u32_e32 vcc, 3, v60
	v_cndmask_b32_e32 v7, v7, v17, vcc
	v_div_scale_f32 v15, vcc, 1.0, v10, 1.0
	v_fma_f32 v16, -v11, v14, 1.0
	v_fmac_f32_e32 v14, v16, v14
	v_mul_f32_e32 v16, v15, v14
	v_fma_f32 v17, -v11, v16, v15
	v_fmac_f32_e32 v16, v17, v14
	v_fma_f32 v11, -v11, v16, v15
	v_div_fmas_f32 v11, v11, v14, v16
	v_div_fixup_f32 v10, v11, v10, 1.0
	v_mul_f32_e32 v10, v7, v10
	s_movk_i32 s19, 0x7fff
	s_mov_b32 s20, 0x7060302
	s_lshl_b32 s18, s51, 4
	v_cmp_gt_u32_e32 vcc, 16, v0
	s_waitcnt vmcnt(14)
	v_pk_mul_f32 v[14:15], v[10:11], v[20:21] op_sel_hi:[0,1]
	v_bfe_u32 v20, v14, 16, 1
	s_waitcnt vmcnt(12)
	v_pk_mul_f32 v[16:17], v[10:11], v[22:23] op_sel_hi:[0,1]
	v_bfe_u32 v7, v17, 16, 1
	v_bfe_u32 v11, v16, 16, 1
	v_add3_u32 v11, v16, v11, s19
	v_add3_u32 v7, v17, v7, s19
	buffer_store_dword v16, off, s[0:3], 0 offset:256
	buffer_store_dword v17, off, s[0:3], 0 offset:260
	;; [unrolled: 1-line block ×4, first 2 shown]
	v_add3_u32 v16, v14, v20, s19
	v_perm_b32 v14, v7, v11, s20
	v_lshlrev_b32_e32 v11, 11, v60
	v_lshlrev_b32_e32 v7, 3, v1
	s_waitcnt vmcnt(12)
	v_pk_mul_f32 v[8:9], v[10:11], v[8:9] op_sel_hi:[0,1]
	v_or3_b32 v39, v11, v33, v7
	v_pk_mul_f32 v[12:13], v[10:11], v[12:13] op_sel_hi:[0,1]
	v_bfe_u32 v7, v9, 16, 1
	v_bfe_u32 v11, v8, 16, 1
	buffer_store_dword v8, off, s[0:3], 0 offset:272
	buffer_store_dword v9, off, s[0:3], 0 offset:276
	;; [unrolled: 1-line block ×4, first 2 shown]
	v_add3_u32 v8, v8, v11, s19
	v_add3_u32 v7, v9, v7, s19
	v_bfe_u32 v19, v15, 16, 1
	v_perm_b32 v8, v7, v8, s20
	v_bfe_u32 v7, v13, 16, 1
	v_bfe_u32 v9, v12, 16, 1
	v_add3_u32 v15, v15, v19, s19
	v_add3_u32 v9, v12, v9, s19
	;; [unrolled: 1-line block ×3, first 2 shown]
	v_perm_b32 v15, v15, v16, s20
	v_perm_b32 v9, v7, v9, s20
	s_waitcnt vmcnt(14)
	v_pk_mul_f32 v[12:13], v[10:11], v[24:25] op_sel_hi:[0,1]
	ds_write2st64_b64 v39, v[14:15], v[8:9] offset1:1
	s_waitcnt vmcnt(12)
	v_pk_mul_f32 v[8:9], v[10:11], v[26:27] op_sel_hi:[0,1]
	v_bfe_u32 v7, v13, 16, 1
	v_bfe_u32 v11, v12, 16, 1
	v_add3_u32 v11, v12, v11, s19
	v_add3_u32 v7, v13, v7, s19
	buffer_store_dword v12, off, s[0:3], 0 offset:288
	buffer_store_dword v13, off, s[0:3], 0 offset:292
	buffer_store_dword v8, off, s[0:3], 0 offset:296
	buffer_store_dword v9, off, s[0:3], 0 offset:300
	v_perm_b32 v12, v7, v11, s20
	v_bfe_u32 v7, v9, 16, 1
	v_bfe_u32 v11, v8, 16, 1
	v_add3_u32 v8, v8, v11, s19
	v_add3_u32 v7, v9, v7, s19
	s_waitcnt vmcnt(14)
	v_pk_mul_f32 v[2:3], v[10:11], v[2:3] op_sel_hi:[0,1]
	v_perm_b32 v13, v7, v8, s20
	v_bfe_u32 v7, v3, 16, 1
	v_bfe_u32 v8, v2, 16, 1
	s_waitcnt vmcnt(12)
	v_pk_mul_f32 v[4:5], v[10:11], v[4:5] op_sel_hi:[0,1]
	buffer_store_dword v2, off, s[0:3], 0 offset:304
	buffer_store_dword v3, off, s[0:3], 0 offset:308
	;; [unrolled: 1-line block ×4, first 2 shown]
	v_add3_u32 v2, v2, v8, s19
	v_add3_u32 v3, v3, v7, s19
	v_perm_b32 v2, v3, v2, s20
	v_bfe_u32 v3, v5, 16, 1
	v_bfe_u32 v7, v4, 16, 1
	v_add3_u32 v4, v4, v7, s19
	v_add3_u32 v3, v5, v3, s19
	v_perm_b32 v3, v3, v4, s20
	ds_write2st64_b64 v39, v[12:13], v[2:3] offset0:2 offset1:3
	s_and_saveexec_b64 s[4:5], vcc
	s_cbranch_execz .LBB925_209
; %bb.208:
	v_or_b32_e32 v2, s25, v0
	v_mov_b32_e32 v3, 0
	v_mov_b32_e32 v4, s18
	v_mad_u64_u32 v[4:5], s[6:7], s8, v4, v[2:3]
	v_mov_b32_e32 v2, s24
	s_mul_i32 s9, s9, s18
	v_mad_u64_u32 v[2:3], s[6:7], v4, s50, v[2:3]
	v_add_u32_e32 v5, s9, v5
	v_mov_b32_e32 v4, v3
	v_mad_u64_u32 v[4:5], s[6:7], v5, s50, v[4:5]
	v_mov_b32_e32 v3, v4
	v_lshlrev_b64 v[2:3], 2, v[2:3]
	v_mov_b32_e32 v5, s47
	v_add_co_u32_e32 v4, vcc, s46, v2
	v_addc_co_u32_e32 v5, vcc, v5, v3, vcc
	global_store_dword v[4:5], v18, off
	v_mov_b32_e32 v4, s45
	v_add_co_u32_e32 v2, vcc, s44, v2
	v_addc_co_u32_e32 v3, vcc, v4, v3, vcc
	global_store_dword v[2:3], v6, off
.LBB925_209:
	s_or_b64 exec, exec, s[4:5]
	s_waitcnt lgkmcnt(0)
	s_barrier
	s_load_dword s4, s[42:43], 0x0
	ds_read_b128 v[2:5], v31
	ds_read_b128 v[6:9], v31 offset:16
	ds_read_b128 v[10:13], v31 offset:2048
	;; [unrolled: 1-line block ×7, first 2 shown]
	v_mov_b32_e32 v35, 0x80
	v_mov_b32_e32 v41, 0x140
	s_mov_b64 s[10:11], -1
	s_waitcnt lgkmcnt(0)
	s_mov_b32 s5, s4
	s_mov_b32 s6, s4
	;; [unrolled: 1-line block ×3, first 2 shown]
	s_movk_i32 s9, 0x80
	s_movk_i32 s21, 0x7f
	s_mov_b32 s22, 0xffffff
	s_mov_b32 s23, 0x5040100
	v_mov_b32_e32 v43, 0
	v_bfrev_b32_e32 v45, 60
	s_branch .LBB925_213
.LBB925_210:                            ;   in Loop: Header=BB925_213 Depth=1
	s_or_b64 exec, exec, s[16:17]
.LBB925_211:                            ;   in Loop: Header=BB925_213 Depth=1
	s_or_b64 exec, exec, s[14:15]
.LBB925_212:                            ;   in Loop: Header=BB925_213 Depth=1
	s_or_b64 exec, exec, s[12:13]
	v_perm_b32 v47, v49, v47, s23
	v_perm_b32 v46, v44, v46, s23
	s_xor_b64 s[12:13], s[10:11], -1
	s_mov_b64 s[10:11], 0
	v_mov_b32_e32 v59, v54
	v_mfma_f32_16x16x16bf16_1k v[60:63], v[46:47], v[30:31], v[34:37]
	s_and_b64 vcc, exec, s[12:13]
	s_nop 5
	v_perm_b32 v37, v58, v57, s23
	v_perm_b32 v36, v42, v48, s23
	v_mov_b32_e32 v35, v53
	v_mov_b32_e32 v58, v55
	v_mfma_f32_16x16x16bf16_1k v[46:49], v[36:37], v[32:33], v[60:63]
	v_mov_b32_e32 v57, v56
	s_nop 7
	s_nop 1
	v_pk_mul_f32 v[46:47], v[46:47], s[4:5]
	v_pk_mul_f32 v[36:37], v[48:49], s[6:7]
	v_bfe_u32 v34, v47, 16, 1
	v_bfe_u32 v38, v46, 16, 1
	;; [unrolled: 1-line block ×4, first 2 shown]
	v_add3_u32 v38, v46, v38, s19
	v_add3_u32 v34, v47, v34, s19
	;; [unrolled: 1-line block ×4, first 2 shown]
	v_perm_b32 v34, v34, v38, s20
	v_perm_b32 v36, v37, v36, s20
	buffer_store_dword v34, v41, s[0:3], 0 offen
	buffer_store_dword v36, v41, s[0:3], 0 offen offset:4
	v_mov_b32_e32 v41, 0x148
	s_cbranch_vccnz .LBB925_595
.LBB925_213:                            ; =>This Inner Loop Header: Depth=1
	buffer_load_dword v36, v35, s[0:3], 0 offen
	buffer_load_dword v34, v35, s[0:3], 0 offen offset:4
	buffer_load_dword v40, v35, s[0:3], 0 offen offset:8
	;; [unrolled: 1-line block ×3, first 2 shown]
	v_mov_b32_e32 v35, 0
	s_waitcnt vmcnt(3)
	v_cmp_ne_u16_sdwa s[14:15], v36, v43 src0_sel:BYTE_0 src1_sel:DWORD
	s_and_saveexec_b64 s[12:13], s[14:15]
	s_cbranch_execz .LBB925_219
; %bb.214:                              ;   in Loop: Header=BB925_213 Depth=1
	v_cmp_ne_u16_sdwa s[16:17], v36, s9 src0_sel:BYTE_0 src1_sel:DWORD
	v_mov_b32_e32 v35, 0xffff8000
	s_and_saveexec_b64 s[14:15], s[16:17]
	s_cbranch_execz .LBB925_218
; %bb.215:                              ;   in Loop: Header=BB925_213 Depth=1
	v_and_b32_e32 v37, 0x7f, v36
	v_cmp_ne_u32_e32 vcc, s21, v37
	v_mov_b32_e32 v35, 0x7f80
	s_and_saveexec_b64 s[16:17], vcc
	s_cbranch_execz .LBB925_217
; %bb.216:                              ;   in Loop: Header=BB925_213 Depth=1
	v_and_b32_e32 v35, 7, v36
	v_ffbh_u32_e32 v44, v35
	v_min_u32_e32 v44, 32, v44
	v_subrev_u32_e32 v46, 28, v44
	v_lshlrev_b64 v[46:47], v46, v[36:37]
	v_lshrrev_b32_e32 v42, 3, v37
	v_sub_u32_e32 v44, 29, v44
	v_and_b32_e32 v46, 7, v46
	v_cmp_gt_u32_e32 vcc, 8, v37
	v_cndmask_b32_e32 v37, v42, v44, vcc
	v_cndmask_b32_e32 v35, v35, v46, vcc
	v_lshlrev_b32_e32 v42, 24, v36
	v_lshlrev_b32_e32 v35, 20, v35
	v_and_b32_e32 v42, 0x80000000, v42
	v_lshl_add_u32 v37, v37, 23, v45
	v_or3_b32 v35, v42, v37, v35
	v_lshrrev_b32_e32 v35, 16, v35
.LBB925_217:                            ;   in Loop: Header=BB925_213 Depth=1
	s_or_b64 exec, exec, s[16:17]
.LBB925_218:                            ;   in Loop: Header=BB925_213 Depth=1
	s_or_b64 exec, exec, s[14:15]
.LBB925_219:                            ;   in Loop: Header=BB925_213 Depth=1
	s_or_b64 exec, exec, s[12:13]
	v_lshrrev_b16_e32 v42, 8, v36
	v_cmp_ne_u16_e32 vcc, 0, v42
	v_mov_b32_e32 v46, 0
	v_mov_b32_e32 v37, 0
	s_and_saveexec_b64 s[12:13], vcc
	s_cbranch_execz .LBB925_225
; %bb.220:                              ;   in Loop: Header=BB925_213 Depth=1
	v_cmp_ne_u16_e32 vcc, s9, v42
	v_mov_b32_e32 v37, 0xffff8000
	s_and_saveexec_b64 s[14:15], vcc
	s_cbranch_execz .LBB925_224
; %bb.221:                              ;   in Loop: Header=BB925_213 Depth=1
	v_and_b32_e32 v44, 0x7f, v42
	v_cmp_ne_u32_e32 vcc, s21, v44
	v_mov_b32_e32 v37, 0x7f80
	s_and_saveexec_b64 s[16:17], vcc
	s_cbranch_execz .LBB925_223
; %bb.222:                              ;   in Loop: Header=BB925_213 Depth=1
	v_and_b32_e32 v37, 7, v42
	v_ffbh_u32_e32 v48, v37
	v_min_u32_e32 v60, 32, v48
	v_subrev_u32_e32 v48, 28, v60
	v_lshlrev_b64 v[48:49], v48, v[42:43]
	v_lshrrev_b32_e32 v47, 3, v44
	v_sub_u32_e32 v42, 29, v60
	v_and_b32_e32 v48, 7, v48
	v_cmp_gt_u32_e32 vcc, 8, v44
	v_cndmask_b32_e32 v42, v47, v42, vcc
	v_cndmask_b32_e32 v37, v37, v48, vcc
	v_lshlrev_b32_e32 v44, 16, v36
	v_lshlrev_b32_e32 v37, 20, v37
	v_and_b32_e32 v44, 0x80000000, v44
	v_lshl_add_u32 v42, v42, 23, v45
	v_or3_b32 v37, v44, v42, v37
	v_lshrrev_b32_e32 v37, 16, v37
.LBB925_223:                            ;   in Loop: Header=BB925_213 Depth=1
	s_or_b64 exec, exec, s[16:17]
.LBB925_224:                            ;   in Loop: Header=BB925_213 Depth=1
	s_or_b64 exec, exec, s[14:15]
.LBB925_225:                            ;   in Loop: Header=BB925_213 Depth=1
	s_or_b64 exec, exec, s[12:13]
	v_lshrrev_b32_e32 v42, 16, v36
	v_cmp_ne_u16_sdwa s[14:15], v42, v43 src0_sel:BYTE_0 src1_sel:DWORD
	s_and_saveexec_b64 s[12:13], s[14:15]
	s_cbranch_execz .LBB925_231
; %bb.226:                              ;   in Loop: Header=BB925_213 Depth=1
	v_cmp_ne_u16_sdwa s[16:17], v42, s9 src0_sel:BYTE_0 src1_sel:DWORD
	v_mov_b32_e32 v46, 0xffff8000
	s_and_saveexec_b64 s[14:15], s[16:17]
	s_cbranch_execz .LBB925_230
; %bb.227:                              ;   in Loop: Header=BB925_213 Depth=1
	v_bfe_u32 v44, v36, 16, 7
	v_cmp_ne_u32_e32 vcc, s21, v44
	v_mov_b32_e32 v46, 0x7f80
	s_and_saveexec_b64 s[16:17], vcc
	s_cbranch_execz .LBB925_229
; %bb.228:                              ;   in Loop: Header=BB925_213 Depth=1
	v_and_b32_e32 v48, 7, v42
	v_ffbh_u32_e32 v46, v48
	v_min_u32_e32 v60, 32, v46
	v_subrev_u32_e32 v46, 28, v60
	v_lshlrev_b64 v[46:47], v46, v[42:43]
	v_lshrrev_b32_e32 v49, 3, v44
	v_sub_u32_e32 v47, 29, v60
	v_and_b32_e32 v46, 7, v46
	v_cmp_gt_u32_e32 vcc, 8, v44
	v_cndmask_b32_e32 v44, v49, v47, vcc
	v_cndmask_b32_e32 v46, v48, v46, vcc
	v_lshlrev_b32_e32 v42, 24, v42
	v_lshlrev_b32_e32 v46, 20, v46
	v_and_b32_e32 v42, 0x80000000, v42
	v_lshl_add_u32 v44, v44, 23, v45
	v_or3_b32 v42, v42, v44, v46
	v_lshrrev_b32_e32 v46, 16, v42
.LBB925_229:                            ;   in Loop: Header=BB925_213 Depth=1
	s_or_b64 exec, exec, s[16:17]
.LBB925_230:                            ;   in Loop: Header=BB925_213 Depth=1
	s_or_b64 exec, exec, s[14:15]
.LBB925_231:                            ;   in Loop: Header=BB925_213 Depth=1
	s_or_b64 exec, exec, s[12:13]
	v_cmp_lt_u32_e32 vcc, s22, v36
	v_mov_b32_e32 v47, 0
	v_mov_b32_e32 v48, 0
	s_and_saveexec_b64 s[12:13], vcc
	s_cbranch_execz .LBB925_237
; %bb.232:                              ;   in Loop: Header=BB925_213 Depth=1
	v_lshrrev_b32_e32 v42, 24, v36
	v_cmp_ne_u32_e32 vcc, s9, v42
	v_mov_b32_e32 v48, 0xffff8000
	s_and_saveexec_b64 s[14:15], vcc
	s_cbranch_execz .LBB925_236
; %bb.233:                              ;   in Loop: Header=BB925_213 Depth=1
	v_bfe_u32 v36, v36, 24, 7
	v_cmp_ne_u32_e32 vcc, s21, v36
	v_mov_b32_e32 v48, 0x7f80
	s_and_saveexec_b64 s[16:17], vcc
	s_cbranch_execz .LBB925_235
; %bb.234:                              ;   in Loop: Header=BB925_213 Depth=1
	v_and_b32_e32 v44, 7, v42
	v_ffbh_u32_e32 v48, v44
	v_min_u32_e32 v61, 32, v48
	v_subrev_u32_e32 v48, 28, v61
	v_lshlrev_b64 v[48:49], v48, v[42:43]
	v_lshrrev_b32_e32 v60, 3, v36
	v_sub_u32_e32 v49, 29, v61
	v_and_b32_e32 v48, 7, v48
	v_cmp_gt_u32_e32 vcc, 8, v36
	v_cndmask_b32_e32 v36, v60, v49, vcc
	v_cndmask_b32_e32 v44, v44, v48, vcc
	v_lshlrev_b32_e32 v42, 24, v42
	v_lshlrev_b32_e32 v44, 20, v44
	v_and_b32_e32 v42, 0x80000000, v42
	v_lshl_add_u32 v36, v36, 23, v45
	v_or3_b32 v36, v42, v36, v44
	v_lshrrev_b32_e32 v48, 16, v36
.LBB925_235:                            ;   in Loop: Header=BB925_213 Depth=1
	s_or_b64 exec, exec, s[16:17]
.LBB925_236:                            ;   in Loop: Header=BB925_213 Depth=1
	s_or_b64 exec, exec, s[14:15]
.LBB925_237:                            ;   in Loop: Header=BB925_213 Depth=1
	s_or_b64 exec, exec, s[12:13]
	s_waitcnt vmcnt(2)
	v_cmp_ne_u16_sdwa s[14:15], v34, v43 src0_sel:BYTE_0 src1_sel:DWORD
	s_and_saveexec_b64 s[12:13], s[14:15]
	s_cbranch_execz .LBB925_243
; %bb.238:                              ;   in Loop: Header=BB925_213 Depth=1
	v_cmp_ne_u16_sdwa s[16:17], v34, s9 src0_sel:BYTE_0 src1_sel:DWORD
	v_mov_b32_e32 v47, 0xffff8000
	s_and_saveexec_b64 s[14:15], s[16:17]
	s_cbranch_execz .LBB925_242
; %bb.239:                              ;   in Loop: Header=BB925_213 Depth=1
	v_and_b32_e32 v36, 0x7f, v34
	v_cmp_ne_u32_e32 vcc, s21, v36
	v_mov_b32_e32 v47, 0x7f80
	s_and_saveexec_b64 s[16:17], vcc
	s_cbranch_execz .LBB925_241
; %bb.240:                              ;   in Loop: Header=BB925_213 Depth=1
	v_and_b32_e32 v42, 7, v34
	v_ffbh_u32_e32 v47, v42
	v_min_u32_e32 v47, 32, v47
	v_subrev_u32_e32 v49, 28, v47
	v_lshlrev_b64 v[60:61], v49, v[34:35]
	v_lshrrev_b32_e32 v44, 3, v36
	v_sub_u32_e32 v47, 29, v47
	v_and_b32_e32 v49, 7, v60
	v_cmp_gt_u32_e32 vcc, 8, v36
	v_cndmask_b32_e32 v36, v44, v47, vcc
	v_cndmask_b32_e32 v42, v42, v49, vcc
	v_lshlrev_b32_e32 v44, 24, v34
	v_lshlrev_b32_e32 v42, 20, v42
	v_and_b32_e32 v44, 0x80000000, v44
	v_lshl_add_u32 v36, v36, 23, v45
	v_or3_b32 v36, v44, v36, v42
	v_lshrrev_b32_e32 v47, 16, v36
.LBB925_241:                            ;   in Loop: Header=BB925_213 Depth=1
	s_or_b64 exec, exec, s[16:17]
.LBB925_242:                            ;   in Loop: Header=BB925_213 Depth=1
	s_or_b64 exec, exec, s[14:15]
.LBB925_243:                            ;   in Loop: Header=BB925_213 Depth=1
	s_or_b64 exec, exec, s[12:13]
	v_lshrrev_b16_e32 v36, 8, v34
	v_cmp_ne_u16_e32 vcc, 0, v36
	v_mov_b32_e32 v49, 0
	v_mov_b32_e32 v42, 0
	s_and_saveexec_b64 s[12:13], vcc
	s_cbranch_execz .LBB925_249
; %bb.244:                              ;   in Loop: Header=BB925_213 Depth=1
	v_cmp_ne_u16_e32 vcc, s9, v36
	v_mov_b32_e32 v42, 0xffff8000
	s_and_saveexec_b64 s[14:15], vcc
	s_cbranch_execz .LBB925_248
; %bb.245:                              ;   in Loop: Header=BB925_213 Depth=1
	v_and_b32_e32 v44, 0x7f, v36
	v_cmp_ne_u32_e32 vcc, s21, v44
	v_mov_b32_e32 v42, 0x7f80
	s_and_saveexec_b64 s[16:17], vcc
	s_cbranch_execz .LBB925_247
; %bb.246:                              ;   in Loop: Header=BB925_213 Depth=1
	v_and_b32_e32 v42, 7, v36
	v_ffbh_u32_e32 v60, v42
	v_min_u32_e32 v63, 32, v60
	v_subrev_u32_e32 v60, 28, v63
	v_lshlrev_b64 v[60:61], v60, v[36:37]
	v_lshrrev_b32_e32 v62, 3, v44
	v_sub_u32_e32 v36, 29, v63
	v_and_b32_e32 v60, 7, v60
	v_cmp_gt_u32_e32 vcc, 8, v44
	v_cndmask_b32_e32 v36, v62, v36, vcc
	v_cndmask_b32_e32 v42, v42, v60, vcc
	v_lshlrev_b32_e32 v44, 16, v34
	v_lshlrev_b32_e32 v42, 20, v42
	v_and_b32_e32 v44, 0x80000000, v44
	v_lshl_add_u32 v36, v36, 23, v45
	v_or3_b32 v36, v44, v36, v42
	v_lshrrev_b32_e32 v42, 16, v36
.LBB925_247:                            ;   in Loop: Header=BB925_213 Depth=1
	s_or_b64 exec, exec, s[16:17]
.LBB925_248:                            ;   in Loop: Header=BB925_213 Depth=1
	s_or_b64 exec, exec, s[14:15]
.LBB925_249:                            ;   in Loop: Header=BB925_213 Depth=1
	s_or_b64 exec, exec, s[12:13]
	v_lshrrev_b32_e32 v36, 16, v34
	v_cmp_ne_u16_sdwa s[14:15], v36, v43 src0_sel:BYTE_0 src1_sel:DWORD
	s_and_saveexec_b64 s[12:13], s[14:15]
	s_cbranch_execz .LBB925_255
; %bb.250:                              ;   in Loop: Header=BB925_213 Depth=1
	v_cmp_ne_u16_sdwa s[16:17], v36, s9 src0_sel:BYTE_0 src1_sel:DWORD
	v_mov_b32_e32 v49, 0xffff8000
	s_and_saveexec_b64 s[14:15], s[16:17]
	s_cbranch_execz .LBB925_254
; %bb.251:                              ;   in Loop: Header=BB925_213 Depth=1
	v_bfe_u32 v44, v34, 16, 7
	v_cmp_ne_u32_e32 vcc, s21, v44
	v_mov_b32_e32 v49, 0x7f80
	s_and_saveexec_b64 s[16:17], vcc
	s_cbranch_execz .LBB925_253
; %bb.252:                              ;   in Loop: Header=BB925_213 Depth=1
	v_and_b32_e32 v49, 7, v36
	v_ffbh_u32_e32 v60, v49
	v_min_u32_e32 v63, 32, v60
	v_subrev_u32_e32 v60, 28, v63
	v_lshlrev_b64 v[60:61], v60, v[36:37]
	v_lshrrev_b32_e32 v62, 3, v44
	v_sub_u32_e32 v61, 29, v63
	v_and_b32_e32 v60, 7, v60
	v_cmp_gt_u32_e32 vcc, 8, v44
	v_cndmask_b32_e32 v44, v62, v61, vcc
	v_cndmask_b32_e32 v49, v49, v60, vcc
	v_lshlrev_b32_e32 v36, 24, v36
	v_lshlrev_b32_e32 v49, 20, v49
	v_and_b32_e32 v36, 0x80000000, v36
	v_lshl_add_u32 v44, v44, 23, v45
	v_or3_b32 v36, v36, v44, v49
	v_lshrrev_b32_e32 v49, 16, v36
.LBB925_253:                            ;   in Loop: Header=BB925_213 Depth=1
	s_or_b64 exec, exec, s[16:17]
.LBB925_254:                            ;   in Loop: Header=BB925_213 Depth=1
	s_or_b64 exec, exec, s[14:15]
.LBB925_255:                            ;   in Loop: Header=BB925_213 Depth=1
	s_or_b64 exec, exec, s[12:13]
	v_cmp_lt_u32_e32 vcc, s22, v34
	v_mov_b32_e32 v44, 0
	v_mov_b32_e32 v60, 0
	s_and_saveexec_b64 s[12:13], vcc
	s_cbranch_execz .LBB925_261
; %bb.256:                              ;   in Loop: Header=BB925_213 Depth=1
	v_lshrrev_b32_e32 v36, 24, v34
	v_cmp_ne_u32_e32 vcc, s9, v36
	v_mov_b32_e32 v60, 0xffff8000
	s_and_saveexec_b64 s[14:15], vcc
	s_cbranch_execz .LBB925_260
; %bb.257:                              ;   in Loop: Header=BB925_213 Depth=1
	v_bfe_u32 v34, v34, 24, 7
	v_cmp_ne_u32_e32 vcc, s21, v34
	v_mov_b32_e32 v60, 0x7f80
	s_and_saveexec_b64 s[16:17], vcc
	s_cbranch_execz .LBB925_259
; %bb.258:                              ;   in Loop: Header=BB925_213 Depth=1
	v_and_b32_e32 v62, 7, v36
	v_ffbh_u32_e32 v60, v62
	v_min_u32_e32 v64, 32, v60
	v_subrev_u32_e32 v60, 28, v64
	v_lshlrev_b64 v[60:61], v60, v[36:37]
	v_lshrrev_b32_e32 v63, 3, v34
	v_sub_u32_e32 v61, 29, v64
	v_and_b32_e32 v60, 7, v60
	v_cmp_gt_u32_e32 vcc, 8, v34
	v_cndmask_b32_e32 v34, v63, v61, vcc
	v_cndmask_b32_e32 v60, v62, v60, vcc
	v_lshlrev_b32_e32 v36, 24, v36
	v_lshlrev_b32_e32 v60, 20, v60
	v_and_b32_e32 v36, 0x80000000, v36
	v_lshl_add_u32 v34, v34, 23, v45
	v_or3_b32 v34, v36, v34, v60
	v_lshrrev_b32_e32 v60, 16, v34
.LBB925_259:                            ;   in Loop: Header=BB925_213 Depth=1
	s_or_b64 exec, exec, s[16:17]
.LBB925_260:                            ;   in Loop: Header=BB925_213 Depth=1
	s_or_b64 exec, exec, s[14:15]
.LBB925_261:                            ;   in Loop: Header=BB925_213 Depth=1
	s_or_b64 exec, exec, s[12:13]
	v_perm_b32 v63, v48, v46, s23
	v_perm_b32 v62, v37, v35, s23
	;; [unrolled: 1-line block ×4, first 2 shown]
	s_waitcnt vmcnt(1)
	v_cmp_ne_u16_sdwa s[14:15], v40, v43 src0_sel:BYTE_0 src1_sel:DWORD
	v_mfma_f32_16x16x16bf16_1k v[34:37], v[62:63], v[2:3], 0
	v_mfma_f32_16x16x16bf16_1k v[34:37], v[48:49], v[4:5], v[34:37]
	s_and_saveexec_b64 s[12:13], s[14:15]
	s_cbranch_execz .LBB925_267
; %bb.262:                              ;   in Loop: Header=BB925_213 Depth=1
	v_cmp_ne_u16_sdwa s[16:17], v40, s9 src0_sel:BYTE_0 src1_sel:DWORD
	v_mov_b32_e32 v44, 0xffff8000
	s_and_saveexec_b64 s[14:15], s[16:17]
	s_cbranch_execz .LBB925_266
; %bb.263:                              ;   in Loop: Header=BB925_213 Depth=1
	v_and_b32_e32 v42, 0x7f, v40
	v_cmp_ne_u32_e32 vcc, s21, v42
	v_mov_b32_e32 v44, 0x7f80
	s_and_saveexec_b64 s[16:17], vcc
	s_cbranch_execz .LBB925_265
; %bb.264:                              ;   in Loop: Header=BB925_213 Depth=1
	v_and_b32_e32 v44, 7, v40
	v_ffbh_u32_e32 v46, v44
	v_min_u32_e32 v49, 32, v46
	v_subrev_u32_e32 v46, 28, v49
	v_lshlrev_b64 v[46:47], v46, v[40:41]
	v_lshrrev_b32_e32 v48, 3, v42
	v_sub_u32_e32 v47, 29, v49
	v_and_b32_e32 v46, 7, v46
	v_cmp_gt_u32_e32 vcc, 8, v42
	v_cndmask_b32_e32 v42, v48, v47, vcc
	v_cndmask_b32_e32 v44, v44, v46, vcc
	v_lshlrev_b32_e32 v46, 24, v40
	v_lshlrev_b32_e32 v44, 20, v44
	v_and_b32_e32 v46, 0x80000000, v46
	v_lshl_add_u32 v42, v42, 23, v45
	v_or3_b32 v42, v46, v42, v44
	v_lshrrev_b32_e32 v44, 16, v42
.LBB925_265:                            ;   in Loop: Header=BB925_213 Depth=1
	s_or_b64 exec, exec, s[16:17]
.LBB925_266:                            ;   in Loop: Header=BB925_213 Depth=1
	s_or_b64 exec, exec, s[14:15]
.LBB925_267:                            ;   in Loop: Header=BB925_213 Depth=1
	s_or_b64 exec, exec, s[12:13]
	v_lshrrev_b16_e32 v42, 8, v40
	v_cmp_ne_u16_e32 vcc, 0, v42
	v_mov_b32_e32 v48, 0
	v_mov_b32_e32 v46, 0
	s_and_saveexec_b64 s[12:13], vcc
	s_cbranch_execz .LBB925_273
; %bb.268:                              ;   in Loop: Header=BB925_213 Depth=1
	v_cmp_ne_u16_e32 vcc, s9, v42
	v_mov_b32_e32 v46, 0xffff8000
	s_and_saveexec_b64 s[14:15], vcc
	s_cbranch_execz .LBB925_272
; %bb.269:                              ;   in Loop: Header=BB925_213 Depth=1
	v_and_b32_e32 v47, 0x7f, v42
	v_cmp_ne_u32_e32 vcc, s21, v47
	v_mov_b32_e32 v46, 0x7f80
	s_and_saveexec_b64 s[16:17], vcc
	s_cbranch_execz .LBB925_271
; %bb.270:                              ;   in Loop: Header=BB925_213 Depth=1
	v_and_b32_e32 v46, 7, v42
	v_ffbh_u32_e32 v60, v46
	v_min_u32_e32 v62, 32, v60
	v_subrev_u32_e32 v60, 28, v62
	v_lshlrev_b64 v[60:61], v60, v[42:43]
	v_lshrrev_b32_e32 v49, 3, v47
	v_sub_u32_e32 v42, 29, v62
	v_and_b32_e32 v60, 7, v60
	v_cmp_gt_u32_e32 vcc, 8, v47
	v_cndmask_b32_e32 v42, v49, v42, vcc
	v_cndmask_b32_e32 v46, v46, v60, vcc
	v_lshlrev_b32_e32 v47, 16, v40
	v_lshlrev_b32_e32 v46, 20, v46
	v_and_b32_e32 v47, 0x80000000, v47
	v_lshl_add_u32 v42, v42, 23, v45
	v_or3_b32 v42, v47, v42, v46
	v_lshrrev_b32_e32 v46, 16, v42
.LBB925_271:                            ;   in Loop: Header=BB925_213 Depth=1
	s_or_b64 exec, exec, s[16:17]
.LBB925_272:                            ;   in Loop: Header=BB925_213 Depth=1
	s_or_b64 exec, exec, s[14:15]
.LBB925_273:                            ;   in Loop: Header=BB925_213 Depth=1
	s_or_b64 exec, exec, s[12:13]
	v_lshrrev_b32_e32 v42, 16, v40
	v_cmp_ne_u16_sdwa s[14:15], v42, v43 src0_sel:BYTE_0 src1_sel:DWORD
	s_and_saveexec_b64 s[12:13], s[14:15]
	s_cbranch_execz .LBB925_279
; %bb.274:                              ;   in Loop: Header=BB925_213 Depth=1
	v_cmp_ne_u16_sdwa s[16:17], v42, s9 src0_sel:BYTE_0 src1_sel:DWORD
	v_mov_b32_e32 v48, 0xffff8000
	s_and_saveexec_b64 s[14:15], s[16:17]
	s_cbranch_execz .LBB925_278
; %bb.275:                              ;   in Loop: Header=BB925_213 Depth=1
	v_bfe_u32 v47, v40, 16, 7
	v_cmp_ne_u32_e32 vcc, s21, v47
	v_mov_b32_e32 v48, 0x7f80
	s_and_saveexec_b64 s[16:17], vcc
	s_cbranch_execz .LBB925_277
; %bb.276:                              ;   in Loop: Header=BB925_213 Depth=1
	v_and_b32_e32 v60, 7, v42
	v_ffbh_u32_e32 v48, v60
	v_min_u32_e32 v62, 32, v48
	v_subrev_u32_e32 v48, 28, v62
	v_lshlrev_b64 v[48:49], v48, v[42:43]
	v_lshrrev_b32_e32 v61, 3, v47
	v_sub_u32_e32 v49, 29, v62
	v_and_b32_e32 v48, 7, v48
	v_cmp_gt_u32_e32 vcc, 8, v47
	v_cndmask_b32_e32 v47, v61, v49, vcc
	v_cndmask_b32_e32 v48, v60, v48, vcc
	v_lshlrev_b32_e32 v42, 24, v42
	v_lshlrev_b32_e32 v48, 20, v48
	v_and_b32_e32 v42, 0x80000000, v42
	v_lshl_add_u32 v47, v47, 23, v45
	v_or3_b32 v42, v42, v47, v48
	v_lshrrev_b32_e32 v48, 16, v42
.LBB925_277:                            ;   in Loop: Header=BB925_213 Depth=1
	s_or_b64 exec, exec, s[16:17]
.LBB925_278:                            ;   in Loop: Header=BB925_213 Depth=1
	s_or_b64 exec, exec, s[14:15]
.LBB925_279:                            ;   in Loop: Header=BB925_213 Depth=1
	s_or_b64 exec, exec, s[12:13]
	v_cmp_lt_u32_e32 vcc, s22, v40
	v_mov_b32_e32 v49, 0
	v_mov_b32_e32 v60, 0
	s_and_saveexec_b64 s[12:13], vcc
	s_cbranch_execz .LBB925_285
; %bb.280:                              ;   in Loop: Header=BB925_213 Depth=1
	v_lshrrev_b32_e32 v42, 24, v40
	v_cmp_ne_u32_e32 vcc, s9, v42
	v_mov_b32_e32 v60, 0xffff8000
	s_and_saveexec_b64 s[14:15], vcc
	s_cbranch_execz .LBB925_284
; %bb.281:                              ;   in Loop: Header=BB925_213 Depth=1
	v_bfe_u32 v40, v40, 24, 7
	v_cmp_ne_u32_e32 vcc, s21, v40
	v_mov_b32_e32 v60, 0x7f80
	s_and_saveexec_b64 s[16:17], vcc
	s_cbranch_execz .LBB925_283
; %bb.282:                              ;   in Loop: Header=BB925_213 Depth=1
	v_and_b32_e32 v47, 7, v42
	v_ffbh_u32_e32 v60, v47
	v_min_u32_e32 v63, 32, v60
	v_subrev_u32_e32 v60, 28, v63
	v_lshlrev_b64 v[60:61], v60, v[42:43]
	v_lshrrev_b32_e32 v62, 3, v40
	v_sub_u32_e32 v61, 29, v63
	v_and_b32_e32 v60, 7, v60
	v_cmp_gt_u32_e32 vcc, 8, v40
	v_cndmask_b32_e32 v40, v62, v61, vcc
	v_cndmask_b32_e32 v47, v47, v60, vcc
	v_lshlrev_b32_e32 v42, 24, v42
	v_lshlrev_b32_e32 v47, 20, v47
	v_and_b32_e32 v42, 0x80000000, v42
	v_lshl_add_u32 v40, v40, 23, v45
	v_or3_b32 v40, v42, v40, v47
	v_lshrrev_b32_e32 v60, 16, v40
.LBB925_283:                            ;   in Loop: Header=BB925_213 Depth=1
	s_or_b64 exec, exec, s[16:17]
.LBB925_284:                            ;   in Loop: Header=BB925_213 Depth=1
	s_or_b64 exec, exec, s[14:15]
.LBB925_285:                            ;   in Loop: Header=BB925_213 Depth=1
	s_or_b64 exec, exec, s[12:13]
	s_waitcnt vmcnt(0)
	v_cmp_ne_u16_sdwa s[14:15], v38, v43 src0_sel:BYTE_0 src1_sel:DWORD
	s_and_saveexec_b64 s[12:13], s[14:15]
	s_cbranch_execz .LBB925_291
; %bb.286:                              ;   in Loop: Header=BB925_213 Depth=1
	v_cmp_ne_u16_sdwa s[16:17], v38, s9 src0_sel:BYTE_0 src1_sel:DWORD
	v_mov_b32_e32 v49, 0xffff8000
	s_and_saveexec_b64 s[14:15], s[16:17]
	s_cbranch_execz .LBB925_290
; %bb.287:                              ;   in Loop: Header=BB925_213 Depth=1
	v_and_b32_e32 v40, 0x7f, v38
	v_cmp_ne_u32_e32 vcc, s21, v40
	v_mov_b32_e32 v49, 0x7f80
	s_and_saveexec_b64 s[16:17], vcc
	s_cbranch_execz .LBB925_289
; %bb.288:                              ;   in Loop: Header=BB925_213 Depth=1
	v_and_b32_e32 v42, 7, v38
	v_ffbh_u32_e32 v49, v42
	v_min_u32_e32 v49, 32, v49
	v_subrev_u32_e32 v61, 28, v49
	v_lshlrev_b64 v[62:63], v61, v[38:39]
	v_lshrrev_b32_e32 v47, 3, v40
	v_sub_u32_e32 v49, 29, v49
	v_and_b32_e32 v61, 7, v62
	v_cmp_gt_u32_e32 vcc, 8, v40
	v_cndmask_b32_e32 v40, v47, v49, vcc
	v_cndmask_b32_e32 v42, v42, v61, vcc
	v_lshlrev_b32_e32 v47, 24, v38
	v_lshlrev_b32_e32 v42, 20, v42
	v_and_b32_e32 v47, 0x80000000, v47
	v_lshl_add_u32 v40, v40, 23, v45
	v_or3_b32 v40, v47, v40, v42
	v_lshrrev_b32_e32 v49, 16, v40
.LBB925_289:                            ;   in Loop: Header=BB925_213 Depth=1
	s_or_b64 exec, exec, s[16:17]
.LBB925_290:                            ;   in Loop: Header=BB925_213 Depth=1
	s_or_b64 exec, exec, s[14:15]
.LBB925_291:                            ;   in Loop: Header=BB925_213 Depth=1
	s_or_b64 exec, exec, s[12:13]
	v_lshrrev_b16_e32 v40, 8, v38
	v_cmp_ne_u16_e32 vcc, 0, v40
	v_mov_b32_e32 v62, 0
	v_mov_b32_e32 v61, 0
	s_and_saveexec_b64 s[12:13], vcc
	s_cbranch_execz .LBB925_297
; %bb.292:                              ;   in Loop: Header=BB925_213 Depth=1
	v_cmp_ne_u16_e32 vcc, s9, v40
	v_mov_b32_e32 v61, 0xffff8000
	s_and_saveexec_b64 s[14:15], vcc
	s_cbranch_execz .LBB925_296
; %bb.293:                              ;   in Loop: Header=BB925_213 Depth=1
	v_and_b32_e32 v42, 0x7f, v40
	v_cmp_ne_u32_e32 vcc, s21, v42
	v_mov_b32_e32 v61, 0x7f80
	s_and_saveexec_b64 s[16:17], vcc
	s_cbranch_execz .LBB925_295
; %bb.294:                              ;   in Loop: Header=BB925_213 Depth=1
	v_and_b32_e32 v47, 7, v40
	v_ffbh_u32_e32 v63, v47
	v_min_u32_e32 v63, 32, v63
	v_subrev_u32_e32 v64, 28, v63
	v_lshlrev_b64 v[64:65], v64, v[40:41]
	v_lshrrev_b32_e32 v61, 3, v42
	v_sub_u32_e32 v40, 29, v63
	v_and_b32_e32 v63, 7, v64
	v_cmp_gt_u32_e32 vcc, 8, v42
	v_cndmask_b32_e32 v40, v61, v40, vcc
	v_cndmask_b32_e32 v42, v47, v63, vcc
	v_lshlrev_b32_e32 v47, 16, v38
	v_lshlrev_b32_e32 v42, 20, v42
	v_and_b32_e32 v47, 0x80000000, v47
	v_lshl_add_u32 v40, v40, 23, v45
	v_or3_b32 v40, v47, v40, v42
	v_lshrrev_b32_e32 v61, 16, v40
.LBB925_295:                            ;   in Loop: Header=BB925_213 Depth=1
	s_or_b64 exec, exec, s[16:17]
.LBB925_296:                            ;   in Loop: Header=BB925_213 Depth=1
	s_or_b64 exec, exec, s[14:15]
.LBB925_297:                            ;   in Loop: Header=BB925_213 Depth=1
	s_or_b64 exec, exec, s[12:13]
	v_lshrrev_b32_e32 v40, 16, v38
	v_cmp_ne_u16_sdwa s[14:15], v40, v43 src0_sel:BYTE_0 src1_sel:DWORD
	s_and_saveexec_b64 s[12:13], s[14:15]
	s_cbranch_execz .LBB925_303
; %bb.298:                              ;   in Loop: Header=BB925_213 Depth=1
	v_cmp_ne_u16_sdwa s[16:17], v40, s9 src0_sel:BYTE_0 src1_sel:DWORD
	v_mov_b32_e32 v62, 0xffff8000
	s_and_saveexec_b64 s[14:15], s[16:17]
	s_cbranch_execz .LBB925_302
; %bb.299:                              ;   in Loop: Header=BB925_213 Depth=1
	v_bfe_u32 v42, v38, 16, 7
	v_cmp_ne_u32_e32 vcc, s21, v42
	v_mov_b32_e32 v62, 0x7f80
	s_and_saveexec_b64 s[16:17], vcc
	s_cbranch_execz .LBB925_301
; %bb.300:                              ;   in Loop: Header=BB925_213 Depth=1
	v_and_b32_e32 v47, 7, v40
	v_ffbh_u32_e32 v62, v47
	v_min_u32_e32 v65, 32, v62
	v_subrev_u32_e32 v62, 28, v65
	v_lshlrev_b64 v[62:63], v62, v[40:41]
	v_lshrrev_b32_e32 v64, 3, v42
	v_sub_u32_e32 v63, 29, v65
	v_and_b32_e32 v62, 7, v62
	v_cmp_gt_u32_e32 vcc, 8, v42
	v_cndmask_b32_e32 v42, v64, v63, vcc
	v_cndmask_b32_e32 v47, v47, v62, vcc
	v_lshlrev_b32_e32 v40, 24, v40
	v_lshlrev_b32_e32 v47, 20, v47
	v_and_b32_e32 v40, 0x80000000, v40
	v_lshl_add_u32 v42, v42, 23, v45
	v_or3_b32 v40, v40, v42, v47
	v_lshrrev_b32_e32 v62, 16, v40
.LBB925_301:                            ;   in Loop: Header=BB925_213 Depth=1
	s_or_b64 exec, exec, s[16:17]
.LBB925_302:                            ;   in Loop: Header=BB925_213 Depth=1
	s_or_b64 exec, exec, s[14:15]
.LBB925_303:                            ;   in Loop: Header=BB925_213 Depth=1
	s_or_b64 exec, exec, s[12:13]
	v_cmp_lt_u32_e32 vcc, s22, v38
	v_mov_b32_e32 v47, 0
	v_mov_b32_e32 v63, 0
	s_and_saveexec_b64 s[12:13], vcc
	s_cbranch_execz .LBB925_309
; %bb.304:                              ;   in Loop: Header=BB925_213 Depth=1
	v_lshrrev_b32_e32 v40, 24, v38
	v_cmp_ne_u32_e32 vcc, s9, v40
	v_mov_b32_e32 v63, 0xffff8000
	s_and_saveexec_b64 s[14:15], vcc
	s_cbranch_execz .LBB925_308
; %bb.305:                              ;   in Loop: Header=BB925_213 Depth=1
	v_bfe_u32 v38, v38, 24, 7
	v_cmp_ne_u32_e32 vcc, s21, v38
	v_mov_b32_e32 v63, 0x7f80
	s_and_saveexec_b64 s[16:17], vcc
	s_cbranch_execz .LBB925_307
; %bb.306:                              ;   in Loop: Header=BB925_213 Depth=1
	v_and_b32_e32 v42, 7, v40
	v_ffbh_u32_e32 v64, v42
	v_min_u32_e32 v66, 32, v64
	v_subrev_u32_e32 v64, 28, v66
	v_lshlrev_b64 v[64:65], v64, v[40:41]
	v_lshrrev_b32_e32 v63, 3, v38
	v_sub_u32_e32 v65, 29, v66
	v_and_b32_e32 v64, 7, v64
	v_cmp_gt_u32_e32 vcc, 8, v38
	v_cndmask_b32_e32 v38, v63, v65, vcc
	v_cndmask_b32_e32 v42, v42, v64, vcc
	v_lshlrev_b32_e32 v40, 24, v40
	v_lshlrev_b32_e32 v42, 20, v42
	v_and_b32_e32 v40, 0x80000000, v40
	v_lshl_add_u32 v38, v38, 23, v45
	v_or3_b32 v38, v40, v38, v42
	v_lshrrev_b32_e32 v63, 16, v38
.LBB925_307:                            ;   in Loop: Header=BB925_213 Depth=1
	s_or_b64 exec, exec, s[16:17]
.LBB925_308:                            ;   in Loop: Header=BB925_213 Depth=1
	s_or_b64 exec, exec, s[14:15]
.LBB925_309:                            ;   in Loop: Header=BB925_213 Depth=1
	s_or_b64 exec, exec, s[12:13]
	v_perm_b32 v64, v46, v44, s23
	buffer_load_dword v44, v59, s[0:3], 0 offen
	buffer_load_dword v42, v59, s[0:3], 0 offen offset:4
	buffer_load_dword v40, v59, s[0:3], 0 offen offset:8
	;; [unrolled: 1-line block ×3, first 2 shown]
	v_perm_b32 v65, v60, v48, s23
	v_perm_b32 v63, v63, v62, s23
	;; [unrolled: 1-line block ×3, first 2 shown]
	v_mfma_f32_16x16x16bf16_1k v[34:37], v[64:65], v[6:7], v[34:37]
	s_waitcnt vmcnt(3)
	v_cmp_ne_u16_sdwa s[14:15], v44, v43 src0_sel:BYTE_0 src1_sel:DWORD
	v_mfma_f32_16x16x16bf16_1k v[34:37], v[62:63], v[8:9], v[34:37]
	s_and_saveexec_b64 s[12:13], s[14:15]
	s_cbranch_execz .LBB925_315
; %bb.310:                              ;   in Loop: Header=BB925_213 Depth=1
	v_cmp_ne_u16_sdwa s[16:17], v44, s9 src0_sel:BYTE_0 src1_sel:DWORD
	v_mov_b32_e32 v47, 0xffff8000
	s_and_saveexec_b64 s[14:15], s[16:17]
	s_cbranch_execz .LBB925_314
; %bb.311:                              ;   in Loop: Header=BB925_213 Depth=1
	v_and_b32_e32 v46, 0x7f, v44
	v_cmp_ne_u32_e32 vcc, s21, v46
	v_mov_b32_e32 v47, 0x7f80
	s_and_saveexec_b64 s[16:17], vcc
	s_cbranch_execz .LBB925_313
; %bb.312:                              ;   in Loop: Header=BB925_213 Depth=1
	v_and_b32_e32 v47, 7, v44
	v_ffbh_u32_e32 v48, v47
	v_min_u32_e32 v60, 32, v48
	v_subrev_u32_e32 v48, 28, v60
	v_lshlrev_b64 v[48:49], v48, v[44:45]
	v_lshrrev_b32_e32 v59, 3, v46
	v_sub_u32_e32 v49, 29, v60
	v_and_b32_e32 v48, 7, v48
	v_cmp_gt_u32_e32 vcc, 8, v46
	v_cndmask_b32_e32 v46, v59, v49, vcc
	v_cndmask_b32_e32 v47, v47, v48, vcc
	v_lshlrev_b32_e32 v48, 24, v44
	v_lshlrev_b32_e32 v47, 20, v47
	v_and_b32_e32 v48, 0x80000000, v48
	v_lshl_add_u32 v46, v46, 23, v45
	v_or3_b32 v46, v48, v46, v47
	v_lshrrev_b32_e32 v47, 16, v46
.LBB925_313:                            ;   in Loop: Header=BB925_213 Depth=1
	s_or_b64 exec, exec, s[16:17]
.LBB925_314:                            ;   in Loop: Header=BB925_213 Depth=1
	s_or_b64 exec, exec, s[14:15]
.LBB925_315:                            ;   in Loop: Header=BB925_213 Depth=1
	s_or_b64 exec, exec, s[12:13]
	v_lshrrev_b16_e32 v46, 8, v44
	v_cmp_ne_u16_e32 vcc, 0, v46
	v_mov_b32_e32 v49, 0
	v_mov_b32_e32 v48, 0
	s_and_saveexec_b64 s[12:13], vcc
	s_cbranch_execz .LBB925_321
; %bb.316:                              ;   in Loop: Header=BB925_213 Depth=1
	v_cmp_ne_u16_e32 vcc, s9, v46
	v_mov_b32_e32 v48, 0xffff8000
	s_and_saveexec_b64 s[14:15], vcc
	s_cbranch_execz .LBB925_320
; %bb.317:                              ;   in Loop: Header=BB925_213 Depth=1
	v_and_b32_e32 v59, 0x7f, v46
	v_cmp_ne_u32_e32 vcc, s21, v59
	v_mov_b32_e32 v48, 0x7f80
	s_and_saveexec_b64 s[16:17], vcc
	s_cbranch_execz .LBB925_319
; %bb.318:                              ;   in Loop: Header=BB925_213 Depth=1
	v_and_b32_e32 v48, 7, v46
	v_ffbh_u32_e32 v60, v48
	v_min_u32_e32 v63, 32, v60
	v_subrev_u32_e32 v60, 28, v63
	v_lshlrev_b64 v[60:61], v60, v[46:47]
	v_lshrrev_b32_e32 v62, 3, v59
	v_sub_u32_e32 v46, 29, v63
	v_and_b32_e32 v60, 7, v60
	v_cmp_gt_u32_e32 vcc, 8, v59
	v_cndmask_b32_e32 v46, v62, v46, vcc
	v_cndmask_b32_e32 v48, v48, v60, vcc
	v_lshlrev_b32_e32 v59, 16, v44
	v_lshlrev_b32_e32 v48, 20, v48
	v_and_b32_e32 v59, 0x80000000, v59
	v_lshl_add_u32 v46, v46, 23, v45
	v_or3_b32 v46, v59, v46, v48
	v_lshrrev_b32_e32 v48, 16, v46
.LBB925_319:                            ;   in Loop: Header=BB925_213 Depth=1
	s_or_b64 exec, exec, s[16:17]
.LBB925_320:                            ;   in Loop: Header=BB925_213 Depth=1
	s_or_b64 exec, exec, s[14:15]
.LBB925_321:                            ;   in Loop: Header=BB925_213 Depth=1
	s_or_b64 exec, exec, s[12:13]
	v_lshrrev_b32_e32 v46, 16, v44
	v_cmp_ne_u16_sdwa s[14:15], v46, v43 src0_sel:BYTE_0 src1_sel:DWORD
	s_and_saveexec_b64 s[12:13], s[14:15]
	s_cbranch_execz .LBB925_327
; %bb.322:                              ;   in Loop: Header=BB925_213 Depth=1
	v_cmp_ne_u16_sdwa s[16:17], v46, s9 src0_sel:BYTE_0 src1_sel:DWORD
	v_mov_b32_e32 v49, 0xffff8000
	s_and_saveexec_b64 s[14:15], s[16:17]
	s_cbranch_execz .LBB925_326
; %bb.323:                              ;   in Loop: Header=BB925_213 Depth=1
	v_bfe_u32 v59, v44, 16, 7
	v_cmp_ne_u32_e32 vcc, s21, v59
	v_mov_b32_e32 v49, 0x7f80
	s_and_saveexec_b64 s[16:17], vcc
	s_cbranch_execz .LBB925_325
; %bb.324:                              ;   in Loop: Header=BB925_213 Depth=1
	v_and_b32_e32 v49, 7, v46
	v_ffbh_u32_e32 v60, v49
	v_min_u32_e32 v63, 32, v60
	v_subrev_u32_e32 v60, 28, v63
	v_lshlrev_b64 v[60:61], v60, v[46:47]
	v_lshrrev_b32_e32 v62, 3, v59
	v_sub_u32_e32 v61, 29, v63
	v_and_b32_e32 v60, 7, v60
	v_cmp_gt_u32_e32 vcc, 8, v59
	v_cndmask_b32_e32 v59, v62, v61, vcc
	v_cndmask_b32_e32 v49, v49, v60, vcc
	v_lshlrev_b32_e32 v46, 24, v46
	v_lshlrev_b32_e32 v49, 20, v49
	v_and_b32_e32 v46, 0x80000000, v46
	v_lshl_add_u32 v59, v59, 23, v45
	v_or3_b32 v46, v46, v59, v49
	v_lshrrev_b32_e32 v49, 16, v46
.LBB925_325:                            ;   in Loop: Header=BB925_213 Depth=1
	s_or_b64 exec, exec, s[16:17]
.LBB925_326:                            ;   in Loop: Header=BB925_213 Depth=1
	s_or_b64 exec, exec, s[14:15]
.LBB925_327:                            ;   in Loop: Header=BB925_213 Depth=1
	s_or_b64 exec, exec, s[12:13]
	v_cmp_lt_u32_e32 vcc, s22, v44
	v_mov_b32_e32 v59, 0
	v_mov_b32_e32 v60, 0
	s_and_saveexec_b64 s[12:13], vcc
	s_cbranch_execz .LBB925_333
; %bb.328:                              ;   in Loop: Header=BB925_213 Depth=1
	v_lshrrev_b32_e32 v46, 24, v44
	v_cmp_ne_u32_e32 vcc, s9, v46
	v_mov_b32_e32 v60, 0xffff8000
	s_and_saveexec_b64 s[14:15], vcc
	s_cbranch_execz .LBB925_332
; %bb.329:                              ;   in Loop: Header=BB925_213 Depth=1
	v_bfe_u32 v44, v44, 24, 7
	v_cmp_ne_u32_e32 vcc, s21, v44
	v_mov_b32_e32 v60, 0x7f80
	s_and_saveexec_b64 s[16:17], vcc
	s_cbranch_execz .LBB925_331
; %bb.330:                              ;   in Loop: Header=BB925_213 Depth=1
	v_and_b32_e32 v62, 7, v46
	v_ffbh_u32_e32 v60, v62
	v_min_u32_e32 v64, 32, v60
	v_subrev_u32_e32 v60, 28, v64
	v_lshlrev_b64 v[60:61], v60, v[46:47]
	v_lshrrev_b32_e32 v63, 3, v44
	v_sub_u32_e32 v61, 29, v64
	v_and_b32_e32 v60, 7, v60
	v_cmp_gt_u32_e32 vcc, 8, v44
	v_cndmask_b32_e32 v44, v63, v61, vcc
	v_cndmask_b32_e32 v60, v62, v60, vcc
	v_lshlrev_b32_e32 v46, 24, v46
	v_lshlrev_b32_e32 v60, 20, v60
	v_and_b32_e32 v46, 0x80000000, v46
	v_lshl_add_u32 v44, v44, 23, v45
	v_or3_b32 v44, v46, v44, v60
	v_lshrrev_b32_e32 v60, 16, v44
.LBB925_331:                            ;   in Loop: Header=BB925_213 Depth=1
	s_or_b64 exec, exec, s[16:17]
.LBB925_332:                            ;   in Loop: Header=BB925_213 Depth=1
	s_or_b64 exec, exec, s[14:15]
.LBB925_333:                            ;   in Loop: Header=BB925_213 Depth=1
	s_or_b64 exec, exec, s[12:13]
	s_waitcnt vmcnt(2)
	v_cmp_ne_u16_sdwa s[14:15], v42, v43 src0_sel:BYTE_0 src1_sel:DWORD
	s_and_saveexec_b64 s[12:13], s[14:15]
	s_cbranch_execz .LBB925_339
; %bb.334:                              ;   in Loop: Header=BB925_213 Depth=1
	v_cmp_ne_u16_sdwa s[16:17], v42, s9 src0_sel:BYTE_0 src1_sel:DWORD
	v_mov_b32_e32 v59, 0xffff8000
	s_and_saveexec_b64 s[14:15], s[16:17]
	s_cbranch_execz .LBB925_338
; %bb.335:                              ;   in Loop: Header=BB925_213 Depth=1
	v_and_b32_e32 v44, 0x7f, v42
	v_cmp_ne_u32_e32 vcc, s21, v44
	v_mov_b32_e32 v59, 0x7f80
	s_and_saveexec_b64 s[16:17], vcc
	s_cbranch_execz .LBB925_337
; %bb.336:                              ;   in Loop: Header=BB925_213 Depth=1
	v_and_b32_e32 v46, 7, v42
	v_ffbh_u32_e32 v61, v46
	v_min_u32_e32 v61, 32, v61
	v_subrev_u32_e32 v62, 28, v61
	v_lshlrev_b64 v[62:63], v62, v[42:43]
	v_lshrrev_b32_e32 v59, 3, v44
	v_sub_u32_e32 v61, 29, v61
	v_and_b32_e32 v62, 7, v62
	v_cmp_gt_u32_e32 vcc, 8, v44
	v_cndmask_b32_e32 v44, v59, v61, vcc
	v_cndmask_b32_e32 v46, v46, v62, vcc
	v_lshlrev_b32_e32 v59, 24, v42
	v_lshlrev_b32_e32 v46, 20, v46
	v_and_b32_e32 v59, 0x80000000, v59
	v_lshl_add_u32 v44, v44, 23, v45
	v_or3_b32 v44, v59, v44, v46
	v_lshrrev_b32_e32 v59, 16, v44
.LBB925_337:                            ;   in Loop: Header=BB925_213 Depth=1
	s_or_b64 exec, exec, s[16:17]
.LBB925_338:                            ;   in Loop: Header=BB925_213 Depth=1
	s_or_b64 exec, exec, s[14:15]
.LBB925_339:                            ;   in Loop: Header=BB925_213 Depth=1
	s_or_b64 exec, exec, s[12:13]
	v_lshrrev_b16_e32 v44, 8, v42
	v_cmp_ne_u16_e32 vcc, 0, v44
	v_mov_b32_e32 v62, 0
	v_mov_b32_e32 v61, 0
	s_and_saveexec_b64 s[12:13], vcc
	s_cbranch_execz .LBB925_345
; %bb.340:                              ;   in Loop: Header=BB925_213 Depth=1
	v_cmp_ne_u16_e32 vcc, s9, v44
	v_mov_b32_e32 v61, 0xffff8000
	s_and_saveexec_b64 s[14:15], vcc
	s_cbranch_execz .LBB925_344
; %bb.341:                              ;   in Loop: Header=BB925_213 Depth=1
	v_and_b32_e32 v46, 0x7f, v44
	v_cmp_ne_u32_e32 vcc, s21, v46
	v_mov_b32_e32 v61, 0x7f80
	s_and_saveexec_b64 s[16:17], vcc
	s_cbranch_execz .LBB925_343
; %bb.342:                              ;   in Loop: Header=BB925_213 Depth=1
	v_and_b32_e32 v61, 7, v44
	v_ffbh_u32_e32 v64, v61
	v_min_u32_e32 v66, 32, v64
	v_subrev_u32_e32 v64, 28, v66
	v_lshlrev_b64 v[64:65], v64, v[44:45]
	v_lshrrev_b32_e32 v63, 3, v46
	v_sub_u32_e32 v44, 29, v66
	v_and_b32_e32 v64, 7, v64
	v_cmp_gt_u32_e32 vcc, 8, v46
	v_cndmask_b32_e32 v44, v63, v44, vcc
	v_cndmask_b32_e32 v46, v61, v64, vcc
	v_lshlrev_b32_e32 v61, 16, v42
	v_lshlrev_b32_e32 v46, 20, v46
	v_and_b32_e32 v61, 0x80000000, v61
	v_lshl_add_u32 v44, v44, 23, v45
	v_or3_b32 v44, v61, v44, v46
	v_lshrrev_b32_e32 v61, 16, v44
.LBB925_343:                            ;   in Loop: Header=BB925_213 Depth=1
	s_or_b64 exec, exec, s[16:17]
.LBB925_344:                            ;   in Loop: Header=BB925_213 Depth=1
	s_or_b64 exec, exec, s[14:15]
.LBB925_345:                            ;   in Loop: Header=BB925_213 Depth=1
	s_or_b64 exec, exec, s[12:13]
	v_lshrrev_b32_e32 v44, 16, v42
	v_cmp_ne_u16_sdwa s[14:15], v44, v43 src0_sel:BYTE_0 src1_sel:DWORD
	s_and_saveexec_b64 s[12:13], s[14:15]
	s_cbranch_execz .LBB925_351
; %bb.346:                              ;   in Loop: Header=BB925_213 Depth=1
	v_cmp_ne_u16_sdwa s[16:17], v44, s9 src0_sel:BYTE_0 src1_sel:DWORD
	v_mov_b32_e32 v62, 0xffff8000
	s_and_saveexec_b64 s[14:15], s[16:17]
	s_cbranch_execz .LBB925_350
; %bb.347:                              ;   in Loop: Header=BB925_213 Depth=1
	v_bfe_u32 v46, v42, 16, 7
	v_cmp_ne_u32_e32 vcc, s21, v46
	v_mov_b32_e32 v62, 0x7f80
	s_and_saveexec_b64 s[16:17], vcc
	s_cbranch_execz .LBB925_349
; %bb.348:                              ;   in Loop: Header=BB925_213 Depth=1
	v_and_b32_e32 v64, 7, v44
	v_ffbh_u32_e32 v62, v64
	v_min_u32_e32 v66, 32, v62
	v_subrev_u32_e32 v62, 28, v66
	v_lshlrev_b64 v[62:63], v62, v[44:45]
	v_lshrrev_b32_e32 v65, 3, v46
	v_sub_u32_e32 v63, 29, v66
	v_and_b32_e32 v62, 7, v62
	v_cmp_gt_u32_e32 vcc, 8, v46
	v_cndmask_b32_e32 v46, v65, v63, vcc
	v_cndmask_b32_e32 v62, v64, v62, vcc
	v_lshlrev_b32_e32 v44, 24, v44
	v_lshlrev_b32_e32 v62, 20, v62
	v_and_b32_e32 v44, 0x80000000, v44
	v_lshl_add_u32 v46, v46, 23, v45
	v_or3_b32 v44, v44, v46, v62
	v_lshrrev_b32_e32 v62, 16, v44
.LBB925_349:                            ;   in Loop: Header=BB925_213 Depth=1
	s_or_b64 exec, exec, s[16:17]
.LBB925_350:                            ;   in Loop: Header=BB925_213 Depth=1
	s_or_b64 exec, exec, s[14:15]
.LBB925_351:                            ;   in Loop: Header=BB925_213 Depth=1
	s_or_b64 exec, exec, s[12:13]
	v_cmp_lt_u32_e32 vcc, s22, v42
	v_mov_b32_e32 v46, 0
	v_mov_b32_e32 v63, 0
	s_and_saveexec_b64 s[12:13], vcc
	s_cbranch_execz .LBB925_357
; %bb.352:                              ;   in Loop: Header=BB925_213 Depth=1
	v_lshrrev_b32_e32 v44, 24, v42
	v_cmp_ne_u32_e32 vcc, s9, v44
	v_mov_b32_e32 v63, 0xffff8000
	s_and_saveexec_b64 s[14:15], vcc
	s_cbranch_execz .LBB925_356
; %bb.353:                              ;   in Loop: Header=BB925_213 Depth=1
	v_bfe_u32 v42, v42, 24, 7
	v_cmp_ne_u32_e32 vcc, s21, v42
	v_mov_b32_e32 v63, 0x7f80
	s_and_saveexec_b64 s[16:17], vcc
	s_cbranch_execz .LBB925_355
; %bb.354:                              ;   in Loop: Header=BB925_213 Depth=1
	v_and_b32_e32 v63, 7, v44
	v_ffbh_u32_e32 v64, v63
	v_min_u32_e32 v67, 32, v64
	v_subrev_u32_e32 v64, 28, v67
	v_lshlrev_b64 v[64:65], v64, v[44:45]
	v_lshrrev_b32_e32 v66, 3, v42
	v_sub_u32_e32 v65, 29, v67
	v_and_b32_e32 v64, 7, v64
	v_cmp_gt_u32_e32 vcc, 8, v42
	v_cndmask_b32_e32 v42, v66, v65, vcc
	v_cndmask_b32_e32 v63, v63, v64, vcc
	v_lshlrev_b32_e32 v44, 24, v44
	v_lshlrev_b32_e32 v63, 20, v63
	v_and_b32_e32 v44, 0x80000000, v44
	v_lshl_add_u32 v42, v42, 23, v45
	v_or3_b32 v42, v44, v42, v63
	v_lshrrev_b32_e32 v63, 16, v42
.LBB925_355:                            ;   in Loop: Header=BB925_213 Depth=1
	s_or_b64 exec, exec, s[16:17]
.LBB925_356:                            ;   in Loop: Header=BB925_213 Depth=1
	s_or_b64 exec, exec, s[14:15]
.LBB925_357:                            ;   in Loop: Header=BB925_213 Depth=1
	s_or_b64 exec, exec, s[12:13]
	v_perm_b32 v49, v60, v49, s23
	v_perm_b32 v48, v48, v47, s23
	s_waitcnt vmcnt(1)
	v_cmp_ne_u16_sdwa s[14:15], v40, v43 src0_sel:BYTE_0 src1_sel:DWORD
	v_mfma_f32_16x16x16bf16_1k v[34:37], v[48:49], v[10:11], v[34:37]
	v_perm_b32 v49, v63, v62, s23
	v_perm_b32 v48, v61, v59, s23
	s_nop 1
	v_mfma_f32_16x16x16bf16_1k v[34:37], v[48:49], v[12:13], v[34:37]
	s_and_saveexec_b64 s[12:13], s[14:15]
	s_cbranch_execz .LBB925_363
; %bb.358:                              ;   in Loop: Header=BB925_213 Depth=1
	v_cmp_ne_u16_sdwa s[16:17], v40, s9 src0_sel:BYTE_0 src1_sel:DWORD
	v_mov_b32_e32 v46, 0xffff8000
	s_and_saveexec_b64 s[14:15], s[16:17]
	s_cbranch_execz .LBB925_362
; %bb.359:                              ;   in Loop: Header=BB925_213 Depth=1
	v_and_b32_e32 v42, 0x7f, v40
	v_cmp_ne_u32_e32 vcc, s21, v42
	v_mov_b32_e32 v46, 0x7f80
	s_and_saveexec_b64 s[16:17], vcc
	s_cbranch_execz .LBB925_361
; %bb.360:                              ;   in Loop: Header=BB925_213 Depth=1
	v_and_b32_e32 v44, 7, v40
	v_ffbh_u32_e32 v46, v44
	v_min_u32_e32 v49, 32, v46
	v_subrev_u32_e32 v46, 28, v49
	v_lshlrev_b64 v[46:47], v46, v[40:41]
	v_lshrrev_b32_e32 v48, 3, v42
	v_sub_u32_e32 v47, 29, v49
	v_and_b32_e32 v46, 7, v46
	v_cmp_gt_u32_e32 vcc, 8, v42
	v_cndmask_b32_e32 v42, v48, v47, vcc
	v_cndmask_b32_e32 v44, v44, v46, vcc
	v_lshlrev_b32_e32 v46, 24, v40
	v_lshlrev_b32_e32 v44, 20, v44
	v_and_b32_e32 v46, 0x80000000, v46
	v_lshl_add_u32 v42, v42, 23, v45
	v_or3_b32 v42, v46, v42, v44
	v_lshrrev_b32_e32 v46, 16, v42
.LBB925_361:                            ;   in Loop: Header=BB925_213 Depth=1
	s_or_b64 exec, exec, s[16:17]
.LBB925_362:                            ;   in Loop: Header=BB925_213 Depth=1
	s_or_b64 exec, exec, s[14:15]
.LBB925_363:                            ;   in Loop: Header=BB925_213 Depth=1
	s_or_b64 exec, exec, s[12:13]
	v_lshrrev_b16_e32 v42, 8, v40
	v_cmp_ne_u16_e32 vcc, 0, v42
	v_mov_b32_e32 v48, 0
	v_mov_b32_e32 v44, 0
	s_and_saveexec_b64 s[12:13], vcc
	s_cbranch_execz .LBB925_369
; %bb.364:                              ;   in Loop: Header=BB925_213 Depth=1
	v_cmp_ne_u16_e32 vcc, s9, v42
	v_mov_b32_e32 v44, 0xffff8000
	s_and_saveexec_b64 s[14:15], vcc
	s_cbranch_execz .LBB925_368
; %bb.365:                              ;   in Loop: Header=BB925_213 Depth=1
	v_and_b32_e32 v47, 0x7f, v42
	v_cmp_ne_u32_e32 vcc, s21, v47
	v_mov_b32_e32 v44, 0x7f80
	s_and_saveexec_b64 s[16:17], vcc
	s_cbranch_execz .LBB925_367
; %bb.366:                              ;   in Loop: Header=BB925_213 Depth=1
	v_and_b32_e32 v44, 7, v42
	v_ffbh_u32_e32 v59, v44
	v_min_u32_e32 v59, 32, v59
	v_subrev_u32_e32 v60, 28, v59
	v_lshlrev_b64 v[60:61], v60, v[42:43]
	v_lshrrev_b32_e32 v49, 3, v47
	v_sub_u32_e32 v42, 29, v59
	v_and_b32_e32 v59, 7, v60
	v_cmp_gt_u32_e32 vcc, 8, v47
	v_cndmask_b32_e32 v42, v49, v42, vcc
	v_cndmask_b32_e32 v44, v44, v59, vcc
	v_lshlrev_b32_e32 v47, 16, v40
	v_lshlrev_b32_e32 v44, 20, v44
	v_and_b32_e32 v47, 0x80000000, v47
	v_lshl_add_u32 v42, v42, 23, v45
	v_or3_b32 v42, v47, v42, v44
	v_lshrrev_b32_e32 v44, 16, v42
.LBB925_367:                            ;   in Loop: Header=BB925_213 Depth=1
	s_or_b64 exec, exec, s[16:17]
.LBB925_368:                            ;   in Loop: Header=BB925_213 Depth=1
	s_or_b64 exec, exec, s[14:15]
.LBB925_369:                            ;   in Loop: Header=BB925_213 Depth=1
	s_or_b64 exec, exec, s[12:13]
	v_lshrrev_b32_e32 v42, 16, v40
	v_cmp_ne_u16_sdwa s[14:15], v42, v43 src0_sel:BYTE_0 src1_sel:DWORD
	s_and_saveexec_b64 s[12:13], s[14:15]
	s_cbranch_execz .LBB925_375
; %bb.370:                              ;   in Loop: Header=BB925_213 Depth=1
	v_cmp_ne_u16_sdwa s[16:17], v42, s9 src0_sel:BYTE_0 src1_sel:DWORD
	v_mov_b32_e32 v48, 0xffff8000
	s_and_saveexec_b64 s[14:15], s[16:17]
	s_cbranch_execz .LBB925_374
; %bb.371:                              ;   in Loop: Header=BB925_213 Depth=1
	v_bfe_u32 v47, v40, 16, 7
	v_cmp_ne_u32_e32 vcc, s21, v47
	v_mov_b32_e32 v48, 0x7f80
	s_and_saveexec_b64 s[16:17], vcc
	s_cbranch_execz .LBB925_373
; %bb.372:                              ;   in Loop: Header=BB925_213 Depth=1
	v_and_b32_e32 v59, 7, v42
	v_ffbh_u32_e32 v48, v59
	v_min_u32_e32 v61, 32, v48
	v_subrev_u32_e32 v48, 28, v61
	v_lshlrev_b64 v[48:49], v48, v[42:43]
	v_lshrrev_b32_e32 v60, 3, v47
	v_sub_u32_e32 v49, 29, v61
	v_and_b32_e32 v48, 7, v48
	v_cmp_gt_u32_e32 vcc, 8, v47
	v_cndmask_b32_e32 v47, v60, v49, vcc
	v_cndmask_b32_e32 v48, v59, v48, vcc
	v_lshlrev_b32_e32 v42, 24, v42
	v_lshlrev_b32_e32 v48, 20, v48
	v_and_b32_e32 v42, 0x80000000, v42
	v_lshl_add_u32 v47, v47, 23, v45
	v_or3_b32 v42, v42, v47, v48
	v_lshrrev_b32_e32 v48, 16, v42
.LBB925_373:                            ;   in Loop: Header=BB925_213 Depth=1
	s_or_b64 exec, exec, s[16:17]
.LBB925_374:                            ;   in Loop: Header=BB925_213 Depth=1
	s_or_b64 exec, exec, s[14:15]
.LBB925_375:                            ;   in Loop: Header=BB925_213 Depth=1
	s_or_b64 exec, exec, s[12:13]
	v_cmp_lt_u32_e32 vcc, s22, v40
	v_mov_b32_e32 v49, 0
	v_mov_b32_e32 v59, 0
	s_and_saveexec_b64 s[12:13], vcc
	s_cbranch_execz .LBB925_381
; %bb.376:                              ;   in Loop: Header=BB925_213 Depth=1
	v_lshrrev_b32_e32 v42, 24, v40
	v_cmp_ne_u32_e32 vcc, s9, v42
	v_mov_b32_e32 v59, 0xffff8000
	s_and_saveexec_b64 s[14:15], vcc
	s_cbranch_execz .LBB925_380
; %bb.377:                              ;   in Loop: Header=BB925_213 Depth=1
	v_bfe_u32 v40, v40, 24, 7
	v_cmp_ne_u32_e32 vcc, s21, v40
	v_mov_b32_e32 v59, 0x7f80
	s_and_saveexec_b64 s[16:17], vcc
	s_cbranch_execz .LBB925_379
; %bb.378:                              ;   in Loop: Header=BB925_213 Depth=1
	v_and_b32_e32 v47, 7, v42
	v_ffbh_u32_e32 v60, v47
	v_min_u32_e32 v62, 32, v60
	v_subrev_u32_e32 v60, 28, v62
	v_lshlrev_b64 v[60:61], v60, v[42:43]
	v_lshrrev_b32_e32 v59, 3, v40
	v_sub_u32_e32 v61, 29, v62
	v_and_b32_e32 v60, 7, v60
	v_cmp_gt_u32_e32 vcc, 8, v40
	v_cndmask_b32_e32 v40, v59, v61, vcc
	v_cndmask_b32_e32 v47, v47, v60, vcc
	v_lshlrev_b32_e32 v42, 24, v42
	v_lshlrev_b32_e32 v47, 20, v47
	v_and_b32_e32 v42, 0x80000000, v42
	v_lshl_add_u32 v40, v40, 23, v45
	v_or3_b32 v40, v42, v40, v47
	v_lshrrev_b32_e32 v59, 16, v40
.LBB925_379:                            ;   in Loop: Header=BB925_213 Depth=1
	s_or_b64 exec, exec, s[16:17]
.LBB925_380:                            ;   in Loop: Header=BB925_213 Depth=1
	s_or_b64 exec, exec, s[14:15]
.LBB925_381:                            ;   in Loop: Header=BB925_213 Depth=1
	s_or_b64 exec, exec, s[12:13]
	s_waitcnt vmcnt(0)
	v_cmp_ne_u16_sdwa s[14:15], v38, v43 src0_sel:BYTE_0 src1_sel:DWORD
	s_and_saveexec_b64 s[12:13], s[14:15]
	s_cbranch_execz .LBB925_387
; %bb.382:                              ;   in Loop: Header=BB925_213 Depth=1
	v_cmp_ne_u16_sdwa s[16:17], v38, s9 src0_sel:BYTE_0 src1_sel:DWORD
	v_mov_b32_e32 v49, 0xffff8000
	s_and_saveexec_b64 s[14:15], s[16:17]
	s_cbranch_execz .LBB925_386
; %bb.383:                              ;   in Loop: Header=BB925_213 Depth=1
	v_and_b32_e32 v40, 0x7f, v38
	v_cmp_ne_u32_e32 vcc, s21, v40
	v_mov_b32_e32 v49, 0x7f80
	s_and_saveexec_b64 s[16:17], vcc
	s_cbranch_execz .LBB925_385
; %bb.384:                              ;   in Loop: Header=BB925_213 Depth=1
	v_and_b32_e32 v42, 7, v38
	v_ffbh_u32_e32 v49, v42
	v_min_u32_e32 v49, 32, v49
	v_subrev_u32_e32 v60, 28, v49
	v_lshlrev_b64 v[60:61], v60, v[38:39]
	v_lshrrev_b32_e32 v47, 3, v40
	v_sub_u32_e32 v49, 29, v49
	v_and_b32_e32 v60, 7, v60
	v_cmp_gt_u32_e32 vcc, 8, v40
	v_cndmask_b32_e32 v40, v47, v49, vcc
	v_cndmask_b32_e32 v42, v42, v60, vcc
	v_lshlrev_b32_e32 v47, 24, v38
	v_lshlrev_b32_e32 v42, 20, v42
	v_and_b32_e32 v47, 0x80000000, v47
	v_lshl_add_u32 v40, v40, 23, v45
	v_or3_b32 v40, v47, v40, v42
	v_lshrrev_b32_e32 v49, 16, v40
.LBB925_385:                            ;   in Loop: Header=BB925_213 Depth=1
	s_or_b64 exec, exec, s[16:17]
.LBB925_386:                            ;   in Loop: Header=BB925_213 Depth=1
	s_or_b64 exec, exec, s[14:15]
.LBB925_387:                            ;   in Loop: Header=BB925_213 Depth=1
	s_or_b64 exec, exec, s[12:13]
	v_lshrrev_b16_e32 v40, 8, v38
	v_cmp_ne_u16_e32 vcc, 0, v40
	v_mov_b32_e32 v61, 0
	v_mov_b32_e32 v60, 0
	s_and_saveexec_b64 s[12:13], vcc
	s_cbranch_execz .LBB925_393
; %bb.388:                              ;   in Loop: Header=BB925_213 Depth=1
	v_cmp_ne_u16_e32 vcc, s9, v40
	v_mov_b32_e32 v60, 0xffff8000
	s_and_saveexec_b64 s[14:15], vcc
	s_cbranch_execz .LBB925_392
; %bb.389:                              ;   in Loop: Header=BB925_213 Depth=1
	v_and_b32_e32 v42, 0x7f, v40
	v_cmp_ne_u32_e32 vcc, s21, v42
	v_mov_b32_e32 v60, 0x7f80
	s_and_saveexec_b64 s[16:17], vcc
	s_cbranch_execz .LBB925_391
; %bb.390:                              ;   in Loop: Header=BB925_213 Depth=1
	v_and_b32_e32 v47, 7, v40
	v_ffbh_u32_e32 v62, v47
	v_min_u32_e32 v64, 32, v62
	v_subrev_u32_e32 v62, 28, v64
	v_lshlrev_b64 v[62:63], v62, v[40:41]
	v_lshrrev_b32_e32 v60, 3, v42
	v_sub_u32_e32 v40, 29, v64
	v_and_b32_e32 v62, 7, v62
	v_cmp_gt_u32_e32 vcc, 8, v42
	v_cndmask_b32_e32 v40, v60, v40, vcc
	v_cndmask_b32_e32 v42, v47, v62, vcc
	v_lshlrev_b32_e32 v47, 16, v38
	v_lshlrev_b32_e32 v42, 20, v42
	v_and_b32_e32 v47, 0x80000000, v47
	v_lshl_add_u32 v40, v40, 23, v45
	v_or3_b32 v40, v47, v40, v42
	v_lshrrev_b32_e32 v60, 16, v40
.LBB925_391:                            ;   in Loop: Header=BB925_213 Depth=1
	s_or_b64 exec, exec, s[16:17]
.LBB925_392:                            ;   in Loop: Header=BB925_213 Depth=1
	s_or_b64 exec, exec, s[14:15]
.LBB925_393:                            ;   in Loop: Header=BB925_213 Depth=1
	s_or_b64 exec, exec, s[12:13]
	v_lshrrev_b32_e32 v40, 16, v38
	v_cmp_ne_u16_sdwa s[14:15], v40, v43 src0_sel:BYTE_0 src1_sel:DWORD
	s_and_saveexec_b64 s[12:13], s[14:15]
	s_cbranch_execz .LBB925_399
; %bb.394:                              ;   in Loop: Header=BB925_213 Depth=1
	v_cmp_ne_u16_sdwa s[16:17], v40, s9 src0_sel:BYTE_0 src1_sel:DWORD
	v_mov_b32_e32 v61, 0xffff8000
	s_and_saveexec_b64 s[14:15], s[16:17]
	s_cbranch_execz .LBB925_398
; %bb.395:                              ;   in Loop: Header=BB925_213 Depth=1
	v_bfe_u32 v42, v38, 16, 7
	v_cmp_ne_u32_e32 vcc, s21, v42
	v_mov_b32_e32 v61, 0x7f80
	s_and_saveexec_b64 s[16:17], vcc
	s_cbranch_execz .LBB925_397
; %bb.396:                              ;   in Loop: Header=BB925_213 Depth=1
	v_and_b32_e32 v47, 7, v40
	v_ffbh_u32_e32 v62, v47
	v_min_u32_e32 v64, 32, v62
	v_subrev_u32_e32 v62, 28, v64
	v_lshlrev_b64 v[62:63], v62, v[40:41]
	v_lshrrev_b32_e32 v61, 3, v42
	v_sub_u32_e32 v63, 29, v64
	v_and_b32_e32 v62, 7, v62
	v_cmp_gt_u32_e32 vcc, 8, v42
	v_cndmask_b32_e32 v42, v61, v63, vcc
	v_cndmask_b32_e32 v47, v47, v62, vcc
	v_lshlrev_b32_e32 v40, 24, v40
	v_lshlrev_b32_e32 v47, 20, v47
	v_and_b32_e32 v40, 0x80000000, v40
	v_lshl_add_u32 v42, v42, 23, v45
	v_or3_b32 v40, v40, v42, v47
	v_lshrrev_b32_e32 v61, 16, v40
.LBB925_397:                            ;   in Loop: Header=BB925_213 Depth=1
	s_or_b64 exec, exec, s[16:17]
.LBB925_398:                            ;   in Loop: Header=BB925_213 Depth=1
	s_or_b64 exec, exec, s[14:15]
.LBB925_399:                            ;   in Loop: Header=BB925_213 Depth=1
	s_or_b64 exec, exec, s[12:13]
	v_cmp_lt_u32_e32 vcc, s22, v38
	v_mov_b32_e32 v47, 0
	v_mov_b32_e32 v62, 0
	s_and_saveexec_b64 s[12:13], vcc
	s_cbranch_execz .LBB925_405
; %bb.400:                              ;   in Loop: Header=BB925_213 Depth=1
	v_lshrrev_b32_e32 v40, 24, v38
	v_cmp_ne_u32_e32 vcc, s9, v40
	v_mov_b32_e32 v62, 0xffff8000
	s_and_saveexec_b64 s[14:15], vcc
	s_cbranch_execz .LBB925_404
; %bb.401:                              ;   in Loop: Header=BB925_213 Depth=1
	v_bfe_u32 v38, v38, 24, 7
	v_cmp_ne_u32_e32 vcc, s21, v38
	v_mov_b32_e32 v62, 0x7f80
	s_and_saveexec_b64 s[16:17], vcc
	s_cbranch_execz .LBB925_403
; %bb.402:                              ;   in Loop: Header=BB925_213 Depth=1
	v_and_b32_e32 v42, 7, v40
	v_ffbh_u32_e32 v62, v42
	v_min_u32_e32 v65, 32, v62
	v_subrev_u32_e32 v62, 28, v65
	v_lshlrev_b64 v[62:63], v62, v[40:41]
	v_lshrrev_b32_e32 v64, 3, v38
	v_sub_u32_e32 v63, 29, v65
	v_and_b32_e32 v62, 7, v62
	v_cmp_gt_u32_e32 vcc, 8, v38
	v_cndmask_b32_e32 v38, v64, v63, vcc
	v_cndmask_b32_e32 v42, v42, v62, vcc
	v_lshlrev_b32_e32 v40, 24, v40
	v_lshlrev_b32_e32 v42, 20, v42
	v_and_b32_e32 v40, 0x80000000, v40
	v_lshl_add_u32 v38, v38, 23, v45
	v_or3_b32 v38, v40, v38, v42
	v_lshrrev_b32_e32 v62, 16, v38
.LBB925_403:                            ;   in Loop: Header=BB925_213 Depth=1
	s_or_b64 exec, exec, s[16:17]
.LBB925_404:                            ;   in Loop: Header=BB925_213 Depth=1
	s_or_b64 exec, exec, s[14:15]
.LBB925_405:                            ;   in Loop: Header=BB925_213 Depth=1
	s_or_b64 exec, exec, s[12:13]
	v_perm_b32 v64, v44, v46, s23
	buffer_load_dword v44, v58, s[0:3], 0 offen
	buffer_load_dword v42, v58, s[0:3], 0 offen offset:4
	buffer_load_dword v40, v58, s[0:3], 0 offen offset:8
	;; [unrolled: 1-line block ×3, first 2 shown]
	v_perm_b32 v65, v59, v48, s23
	v_perm_b32 v59, v62, v61, s23
	;; [unrolled: 1-line block ×3, first 2 shown]
	v_mfma_f32_16x16x16bf16_1k v[34:37], v[64:65], v[14:15], v[34:37]
	s_waitcnt vmcnt(3)
	v_cmp_ne_u16_sdwa s[14:15], v44, v43 src0_sel:BYTE_0 src1_sel:DWORD
	v_mfma_f32_16x16x16bf16_1k v[34:37], v[58:59], v[16:17], v[34:37]
	s_and_saveexec_b64 s[12:13], s[14:15]
	s_cbranch_execz .LBB925_411
; %bb.406:                              ;   in Loop: Header=BB925_213 Depth=1
	v_cmp_ne_u16_sdwa s[16:17], v44, s9 src0_sel:BYTE_0 src1_sel:DWORD
	v_mov_b32_e32 v47, 0xffff8000
	s_and_saveexec_b64 s[14:15], s[16:17]
	s_cbranch_execz .LBB925_410
; %bb.407:                              ;   in Loop: Header=BB925_213 Depth=1
	v_and_b32_e32 v46, 0x7f, v44
	v_cmp_ne_u32_e32 vcc, s21, v46
	v_mov_b32_e32 v47, 0x7f80
	s_and_saveexec_b64 s[16:17], vcc
	s_cbranch_execz .LBB925_409
; %bb.408:                              ;   in Loop: Header=BB925_213 Depth=1
	v_and_b32_e32 v47, 7, v44
	v_ffbh_u32_e32 v48, v47
	v_min_u32_e32 v59, 32, v48
	v_subrev_u32_e32 v48, 28, v59
	v_lshlrev_b64 v[48:49], v48, v[44:45]
	v_lshrrev_b32_e32 v58, 3, v46
	v_sub_u32_e32 v49, 29, v59
	v_and_b32_e32 v48, 7, v48
	v_cmp_gt_u32_e32 vcc, 8, v46
	v_cndmask_b32_e32 v46, v58, v49, vcc
	v_cndmask_b32_e32 v47, v47, v48, vcc
	v_lshlrev_b32_e32 v48, 24, v44
	v_lshlrev_b32_e32 v47, 20, v47
	v_and_b32_e32 v48, 0x80000000, v48
	v_lshl_add_u32 v46, v46, 23, v45
	v_or3_b32 v46, v48, v46, v47
	v_lshrrev_b32_e32 v47, 16, v46
.LBB925_409:                            ;   in Loop: Header=BB925_213 Depth=1
	s_or_b64 exec, exec, s[16:17]
.LBB925_410:                            ;   in Loop: Header=BB925_213 Depth=1
	s_or_b64 exec, exec, s[14:15]
.LBB925_411:                            ;   in Loop: Header=BB925_213 Depth=1
	s_or_b64 exec, exec, s[12:13]
	v_lshrrev_b16_e32 v46, 8, v44
	v_cmp_ne_u16_e32 vcc, 0, v46
	v_mov_b32_e32 v49, 0
	v_mov_b32_e32 v48, 0
	s_and_saveexec_b64 s[12:13], vcc
	s_cbranch_execz .LBB925_417
; %bb.412:                              ;   in Loop: Header=BB925_213 Depth=1
	v_cmp_ne_u16_e32 vcc, s9, v46
	v_mov_b32_e32 v48, 0xffff8000
	s_and_saveexec_b64 s[14:15], vcc
	s_cbranch_execz .LBB925_416
; %bb.413:                              ;   in Loop: Header=BB925_213 Depth=1
	v_and_b32_e32 v58, 0x7f, v46
	v_cmp_ne_u32_e32 vcc, s21, v58
	v_mov_b32_e32 v48, 0x7f80
	s_and_saveexec_b64 s[16:17], vcc
	s_cbranch_execz .LBB925_415
; %bb.414:                              ;   in Loop: Header=BB925_213 Depth=1
	v_and_b32_e32 v48, 7, v46
	v_ffbh_u32_e32 v60, v48
	v_min_u32_e32 v62, 32, v60
	v_subrev_u32_e32 v60, 28, v62
	v_lshlrev_b64 v[60:61], v60, v[46:47]
	v_lshrrev_b32_e32 v59, 3, v58
	v_sub_u32_e32 v46, 29, v62
	v_and_b32_e32 v60, 7, v60
	v_cmp_gt_u32_e32 vcc, 8, v58
	v_cndmask_b32_e32 v46, v59, v46, vcc
	v_cndmask_b32_e32 v48, v48, v60, vcc
	v_lshlrev_b32_e32 v58, 16, v44
	v_lshlrev_b32_e32 v48, 20, v48
	v_and_b32_e32 v58, 0x80000000, v58
	v_lshl_add_u32 v46, v46, 23, v45
	v_or3_b32 v46, v58, v46, v48
	v_lshrrev_b32_e32 v48, 16, v46
.LBB925_415:                            ;   in Loop: Header=BB925_213 Depth=1
	s_or_b64 exec, exec, s[16:17]
.LBB925_416:                            ;   in Loop: Header=BB925_213 Depth=1
	s_or_b64 exec, exec, s[14:15]
.LBB925_417:                            ;   in Loop: Header=BB925_213 Depth=1
	s_or_b64 exec, exec, s[12:13]
	v_lshrrev_b32_e32 v46, 16, v44
	v_cmp_ne_u16_sdwa s[14:15], v46, v43 src0_sel:BYTE_0 src1_sel:DWORD
	s_and_saveexec_b64 s[12:13], s[14:15]
	s_cbranch_execz .LBB925_423
; %bb.418:                              ;   in Loop: Header=BB925_213 Depth=1
	v_cmp_ne_u16_sdwa s[16:17], v46, s9 src0_sel:BYTE_0 src1_sel:DWORD
	v_mov_b32_e32 v49, 0xffff8000
	s_and_saveexec_b64 s[14:15], s[16:17]
	s_cbranch_execz .LBB925_422
; %bb.419:                              ;   in Loop: Header=BB925_213 Depth=1
	v_bfe_u32 v58, v44, 16, 7
	v_cmp_ne_u32_e32 vcc, s21, v58
	v_mov_b32_e32 v49, 0x7f80
	s_and_saveexec_b64 s[16:17], vcc
	s_cbranch_execz .LBB925_421
; %bb.420:                              ;   in Loop: Header=BB925_213 Depth=1
	v_and_b32_e32 v49, 7, v46
	v_ffbh_u32_e32 v60, v49
	v_min_u32_e32 v62, 32, v60
	v_subrev_u32_e32 v60, 28, v62
	v_lshlrev_b64 v[60:61], v60, v[46:47]
	v_lshrrev_b32_e32 v59, 3, v58
	v_sub_u32_e32 v61, 29, v62
	v_and_b32_e32 v60, 7, v60
	v_cmp_gt_u32_e32 vcc, 8, v58
	v_cndmask_b32_e32 v58, v59, v61, vcc
	v_cndmask_b32_e32 v49, v49, v60, vcc
	v_lshlrev_b32_e32 v46, 24, v46
	v_lshlrev_b32_e32 v49, 20, v49
	v_and_b32_e32 v46, 0x80000000, v46
	v_lshl_add_u32 v58, v58, 23, v45
	v_or3_b32 v46, v46, v58, v49
	v_lshrrev_b32_e32 v49, 16, v46
.LBB925_421:                            ;   in Loop: Header=BB925_213 Depth=1
	s_or_b64 exec, exec, s[16:17]
.LBB925_422:                            ;   in Loop: Header=BB925_213 Depth=1
	s_or_b64 exec, exec, s[14:15]
.LBB925_423:                            ;   in Loop: Header=BB925_213 Depth=1
	s_or_b64 exec, exec, s[12:13]
	v_cmp_lt_u32_e32 vcc, s22, v44
	v_mov_b32_e32 v58, 0
	v_mov_b32_e32 v59, 0
	s_and_saveexec_b64 s[12:13], vcc
	s_cbranch_execz .LBB925_429
; %bb.424:                              ;   in Loop: Header=BB925_213 Depth=1
	v_lshrrev_b32_e32 v46, 24, v44
	v_cmp_ne_u32_e32 vcc, s9, v46
	v_mov_b32_e32 v59, 0xffff8000
	s_and_saveexec_b64 s[14:15], vcc
	s_cbranch_execz .LBB925_428
; %bb.425:                              ;   in Loop: Header=BB925_213 Depth=1
	v_bfe_u32 v44, v44, 24, 7
	v_cmp_ne_u32_e32 vcc, s21, v44
	v_mov_b32_e32 v59, 0x7f80
	s_and_saveexec_b64 s[16:17], vcc
	s_cbranch_execz .LBB925_427
; %bb.426:                              ;   in Loop: Header=BB925_213 Depth=1
	v_and_b32_e32 v59, 7, v46
	v_ffbh_u32_e32 v60, v59
	v_min_u32_e32 v63, 32, v60
	v_subrev_u32_e32 v60, 28, v63
	v_lshlrev_b64 v[60:61], v60, v[46:47]
	v_lshrrev_b32_e32 v62, 3, v44
	v_sub_u32_e32 v61, 29, v63
	v_and_b32_e32 v60, 7, v60
	v_cmp_gt_u32_e32 vcc, 8, v44
	v_cndmask_b32_e32 v44, v62, v61, vcc
	v_cndmask_b32_e32 v59, v59, v60, vcc
	v_lshlrev_b32_e32 v46, 24, v46
	v_lshlrev_b32_e32 v59, 20, v59
	v_and_b32_e32 v46, 0x80000000, v46
	v_lshl_add_u32 v44, v44, 23, v45
	v_or3_b32 v44, v46, v44, v59
	v_lshrrev_b32_e32 v59, 16, v44
.LBB925_427:                            ;   in Loop: Header=BB925_213 Depth=1
	s_or_b64 exec, exec, s[16:17]
.LBB925_428:                            ;   in Loop: Header=BB925_213 Depth=1
	s_or_b64 exec, exec, s[14:15]
.LBB925_429:                            ;   in Loop: Header=BB925_213 Depth=1
	s_or_b64 exec, exec, s[12:13]
	s_waitcnt vmcnt(2)
	v_cmp_ne_u16_sdwa s[14:15], v42, v43 src0_sel:BYTE_0 src1_sel:DWORD
	s_and_saveexec_b64 s[12:13], s[14:15]
	s_cbranch_execz .LBB925_435
; %bb.430:                              ;   in Loop: Header=BB925_213 Depth=1
	v_cmp_ne_u16_sdwa s[16:17], v42, s9 src0_sel:BYTE_0 src1_sel:DWORD
	v_mov_b32_e32 v58, 0xffff8000
	s_and_saveexec_b64 s[14:15], s[16:17]
	s_cbranch_execz .LBB925_434
; %bb.431:                              ;   in Loop: Header=BB925_213 Depth=1
	v_and_b32_e32 v44, 0x7f, v42
	v_cmp_ne_u32_e32 vcc, s21, v44
	v_mov_b32_e32 v58, 0x7f80
	s_and_saveexec_b64 s[16:17], vcc
	s_cbranch_execz .LBB925_433
; %bb.432:                              ;   in Loop: Header=BB925_213 Depth=1
	v_and_b32_e32 v46, 7, v42
	v_ffbh_u32_e32 v60, v46
	v_min_u32_e32 v62, 32, v60
	v_subrev_u32_e32 v60, 28, v62
	v_lshlrev_b64 v[60:61], v60, v[42:43]
	v_lshrrev_b32_e32 v58, 3, v44
	v_sub_u32_e32 v61, 29, v62
	v_and_b32_e32 v60, 7, v60
	v_cmp_gt_u32_e32 vcc, 8, v44
	v_cndmask_b32_e32 v44, v58, v61, vcc
	v_cndmask_b32_e32 v46, v46, v60, vcc
	v_lshlrev_b32_e32 v58, 24, v42
	v_lshlrev_b32_e32 v46, 20, v46
	v_and_b32_e32 v58, 0x80000000, v58
	v_lshl_add_u32 v44, v44, 23, v45
	v_or3_b32 v44, v58, v44, v46
	v_lshrrev_b32_e32 v58, 16, v44
.LBB925_433:                            ;   in Loop: Header=BB925_213 Depth=1
	s_or_b64 exec, exec, s[16:17]
.LBB925_434:                            ;   in Loop: Header=BB925_213 Depth=1
	s_or_b64 exec, exec, s[14:15]
.LBB925_435:                            ;   in Loop: Header=BB925_213 Depth=1
	s_or_b64 exec, exec, s[12:13]
	v_lshrrev_b16_e32 v44, 8, v42
	v_cmp_ne_u16_e32 vcc, 0, v44
	v_mov_b32_e32 v61, 0
	v_mov_b32_e32 v60, 0
	s_and_saveexec_b64 s[12:13], vcc
	s_cbranch_execz .LBB925_441
; %bb.436:                              ;   in Loop: Header=BB925_213 Depth=1
	v_cmp_ne_u16_e32 vcc, s9, v44
	v_mov_b32_e32 v60, 0xffff8000
	s_and_saveexec_b64 s[14:15], vcc
	s_cbranch_execz .LBB925_440
; %bb.437:                              ;   in Loop: Header=BB925_213 Depth=1
	v_and_b32_e32 v46, 0x7f, v44
	v_cmp_ne_u32_e32 vcc, s21, v46
	v_mov_b32_e32 v60, 0x7f80
	s_and_saveexec_b64 s[16:17], vcc
	s_cbranch_execz .LBB925_439
; %bb.438:                              ;   in Loop: Header=BB925_213 Depth=1
	v_and_b32_e32 v60, 7, v44
	v_ffbh_u32_e32 v62, v60
	v_min_u32_e32 v65, 32, v62
	v_subrev_u32_e32 v62, 28, v65
	v_lshlrev_b64 v[62:63], v62, v[44:45]
	v_lshrrev_b32_e32 v64, 3, v46
	v_sub_u32_e32 v44, 29, v65
	v_and_b32_e32 v62, 7, v62
	v_cmp_gt_u32_e32 vcc, 8, v46
	v_cndmask_b32_e32 v44, v64, v44, vcc
	v_cndmask_b32_e32 v46, v60, v62, vcc
	v_lshlrev_b32_e32 v60, 16, v42
	v_lshlrev_b32_e32 v46, 20, v46
	v_and_b32_e32 v60, 0x80000000, v60
	v_lshl_add_u32 v44, v44, 23, v45
	v_or3_b32 v44, v60, v44, v46
	v_lshrrev_b32_e32 v60, 16, v44
.LBB925_439:                            ;   in Loop: Header=BB925_213 Depth=1
	s_or_b64 exec, exec, s[16:17]
.LBB925_440:                            ;   in Loop: Header=BB925_213 Depth=1
	s_or_b64 exec, exec, s[14:15]
.LBB925_441:                            ;   in Loop: Header=BB925_213 Depth=1
	s_or_b64 exec, exec, s[12:13]
	v_lshrrev_b32_e32 v44, 16, v42
	v_cmp_ne_u16_sdwa s[14:15], v44, v43 src0_sel:BYTE_0 src1_sel:DWORD
	s_and_saveexec_b64 s[12:13], s[14:15]
	s_cbranch_execz .LBB925_447
; %bb.442:                              ;   in Loop: Header=BB925_213 Depth=1
	v_cmp_ne_u16_sdwa s[16:17], v44, s9 src0_sel:BYTE_0 src1_sel:DWORD
	v_mov_b32_e32 v61, 0xffff8000
	s_and_saveexec_b64 s[14:15], s[16:17]
	s_cbranch_execz .LBB925_446
; %bb.443:                              ;   in Loop: Header=BB925_213 Depth=1
	v_bfe_u32 v46, v42, 16, 7
	v_cmp_ne_u32_e32 vcc, s21, v46
	v_mov_b32_e32 v61, 0x7f80
	s_and_saveexec_b64 s[16:17], vcc
	s_cbranch_execz .LBB925_445
; %bb.444:                              ;   in Loop: Header=BB925_213 Depth=1
	v_and_b32_e32 v61, 7, v44
	v_ffbh_u32_e32 v62, v61
	v_min_u32_e32 v65, 32, v62
	v_subrev_u32_e32 v62, 28, v65
	v_lshlrev_b64 v[62:63], v62, v[44:45]
	v_lshrrev_b32_e32 v64, 3, v46
	v_sub_u32_e32 v63, 29, v65
	v_and_b32_e32 v62, 7, v62
	v_cmp_gt_u32_e32 vcc, 8, v46
	v_cndmask_b32_e32 v46, v64, v63, vcc
	v_cndmask_b32_e32 v61, v61, v62, vcc
	v_lshlrev_b32_e32 v44, 24, v44
	v_lshlrev_b32_e32 v61, 20, v61
	v_and_b32_e32 v44, 0x80000000, v44
	v_lshl_add_u32 v46, v46, 23, v45
	v_or3_b32 v44, v44, v46, v61
	v_lshrrev_b32_e32 v61, 16, v44
.LBB925_445:                            ;   in Loop: Header=BB925_213 Depth=1
	s_or_b64 exec, exec, s[16:17]
.LBB925_446:                            ;   in Loop: Header=BB925_213 Depth=1
	s_or_b64 exec, exec, s[14:15]
.LBB925_447:                            ;   in Loop: Header=BB925_213 Depth=1
	s_or_b64 exec, exec, s[12:13]
	v_cmp_lt_u32_e32 vcc, s22, v42
	v_mov_b32_e32 v46, 0
	v_mov_b32_e32 v62, 0
	s_and_saveexec_b64 s[12:13], vcc
	s_cbranch_execz .LBB925_453
; %bb.448:                              ;   in Loop: Header=BB925_213 Depth=1
	v_lshrrev_b32_e32 v44, 24, v42
	v_cmp_ne_u32_e32 vcc, s9, v44
	v_mov_b32_e32 v62, 0xffff8000
	s_and_saveexec_b64 s[14:15], vcc
	s_cbranch_execz .LBB925_452
; %bb.449:                              ;   in Loop: Header=BB925_213 Depth=1
	v_bfe_u32 v42, v42, 24, 7
	v_cmp_ne_u32_e32 vcc, s21, v42
	v_mov_b32_e32 v62, 0x7f80
	s_and_saveexec_b64 s[16:17], vcc
	s_cbranch_execz .LBB925_451
; %bb.450:                              ;   in Loop: Header=BB925_213 Depth=1
	v_and_b32_e32 v64, 7, v44
	v_ffbh_u32_e32 v62, v64
	v_min_u32_e32 v66, 32, v62
	v_subrev_u32_e32 v62, 28, v66
	v_lshlrev_b64 v[62:63], v62, v[44:45]
	v_lshrrev_b32_e32 v65, 3, v42
	v_sub_u32_e32 v63, 29, v66
	v_and_b32_e32 v62, 7, v62
	v_cmp_gt_u32_e32 vcc, 8, v42
	v_cndmask_b32_e32 v42, v65, v63, vcc
	v_cndmask_b32_e32 v62, v64, v62, vcc
	v_lshlrev_b32_e32 v44, 24, v44
	v_lshlrev_b32_e32 v62, 20, v62
	v_and_b32_e32 v44, 0x80000000, v44
	v_lshl_add_u32 v42, v42, 23, v45
	v_or3_b32 v42, v44, v42, v62
	v_lshrrev_b32_e32 v62, 16, v42
.LBB925_451:                            ;   in Loop: Header=BB925_213 Depth=1
	s_or_b64 exec, exec, s[16:17]
.LBB925_452:                            ;   in Loop: Header=BB925_213 Depth=1
	s_or_b64 exec, exec, s[14:15]
.LBB925_453:                            ;   in Loop: Header=BB925_213 Depth=1
	s_or_b64 exec, exec, s[12:13]
	v_perm_b32 v49, v59, v49, s23
	v_perm_b32 v48, v48, v47, s23
	s_waitcnt vmcnt(1)
	v_cmp_ne_u16_sdwa s[14:15], v40, v43 src0_sel:BYTE_0 src1_sel:DWORD
	v_mfma_f32_16x16x16bf16_1k v[34:37], v[48:49], v[18:19], v[34:37]
	v_perm_b32 v49, v62, v61, s23
	v_perm_b32 v48, v60, v58, s23
	s_nop 1
	v_mfma_f32_16x16x16bf16_1k v[34:37], v[48:49], v[20:21], v[34:37]
	s_and_saveexec_b64 s[12:13], s[14:15]
	s_cbranch_execz .LBB925_459
; %bb.454:                              ;   in Loop: Header=BB925_213 Depth=1
	v_cmp_ne_u16_sdwa s[16:17], v40, s9 src0_sel:BYTE_0 src1_sel:DWORD
	v_mov_b32_e32 v46, 0xffff8000
	s_and_saveexec_b64 s[14:15], s[16:17]
	s_cbranch_execz .LBB925_458
; %bb.455:                              ;   in Loop: Header=BB925_213 Depth=1
	v_and_b32_e32 v42, 0x7f, v40
	v_cmp_ne_u32_e32 vcc, s21, v42
	v_mov_b32_e32 v46, 0x7f80
	s_and_saveexec_b64 s[16:17], vcc
	s_cbranch_execz .LBB925_457
; %bb.456:                              ;   in Loop: Header=BB925_213 Depth=1
	v_and_b32_e32 v44, 7, v40
	v_ffbh_u32_e32 v46, v44
	v_min_u32_e32 v49, 32, v46
	v_subrev_u32_e32 v46, 28, v49
	v_lshlrev_b64 v[46:47], v46, v[40:41]
	v_lshrrev_b32_e32 v48, 3, v42
	v_sub_u32_e32 v47, 29, v49
	v_and_b32_e32 v46, 7, v46
	v_cmp_gt_u32_e32 vcc, 8, v42
	v_cndmask_b32_e32 v42, v48, v47, vcc
	v_cndmask_b32_e32 v44, v44, v46, vcc
	v_lshlrev_b32_e32 v46, 24, v40
	v_lshlrev_b32_e32 v44, 20, v44
	v_and_b32_e32 v46, 0x80000000, v46
	v_lshl_add_u32 v42, v42, 23, v45
	v_or3_b32 v42, v46, v42, v44
	v_lshrrev_b32_e32 v46, 16, v42
.LBB925_457:                            ;   in Loop: Header=BB925_213 Depth=1
	s_or_b64 exec, exec, s[16:17]
.LBB925_458:                            ;   in Loop: Header=BB925_213 Depth=1
	s_or_b64 exec, exec, s[14:15]
.LBB925_459:                            ;   in Loop: Header=BB925_213 Depth=1
	s_or_b64 exec, exec, s[12:13]
	v_lshrrev_b16_e32 v42, 8, v40
	v_cmp_ne_u16_e32 vcc, 0, v42
	v_mov_b32_e32 v48, 0
	v_mov_b32_e32 v44, 0
	s_and_saveexec_b64 s[12:13], vcc
	s_cbranch_execz .LBB925_465
; %bb.460:                              ;   in Loop: Header=BB925_213 Depth=1
	v_cmp_ne_u16_e32 vcc, s9, v42
	v_mov_b32_e32 v44, 0xffff8000
	s_and_saveexec_b64 s[14:15], vcc
	s_cbranch_execz .LBB925_464
; %bb.461:                              ;   in Loop: Header=BB925_213 Depth=1
	v_and_b32_e32 v47, 0x7f, v42
	v_cmp_ne_u32_e32 vcc, s21, v47
	v_mov_b32_e32 v44, 0x7f80
	s_and_saveexec_b64 s[16:17], vcc
	s_cbranch_execz .LBB925_463
; %bb.462:                              ;   in Loop: Header=BB925_213 Depth=1
	v_and_b32_e32 v44, 7, v42
	v_ffbh_u32_e32 v58, v44
	v_min_u32_e32 v60, 32, v58
	v_subrev_u32_e32 v58, 28, v60
	v_lshlrev_b64 v[58:59], v58, v[42:43]
	v_lshrrev_b32_e32 v49, 3, v47
	v_sub_u32_e32 v42, 29, v60
	v_and_b32_e32 v58, 7, v58
	v_cmp_gt_u32_e32 vcc, 8, v47
	v_cndmask_b32_e32 v42, v49, v42, vcc
	v_cndmask_b32_e32 v44, v44, v58, vcc
	v_lshlrev_b32_e32 v47, 16, v40
	v_lshlrev_b32_e32 v44, 20, v44
	v_and_b32_e32 v47, 0x80000000, v47
	v_lshl_add_u32 v42, v42, 23, v45
	v_or3_b32 v42, v47, v42, v44
	v_lshrrev_b32_e32 v44, 16, v42
.LBB925_463:                            ;   in Loop: Header=BB925_213 Depth=1
	s_or_b64 exec, exec, s[16:17]
.LBB925_464:                            ;   in Loop: Header=BB925_213 Depth=1
	s_or_b64 exec, exec, s[14:15]
.LBB925_465:                            ;   in Loop: Header=BB925_213 Depth=1
	s_or_b64 exec, exec, s[12:13]
	v_lshrrev_b32_e32 v42, 16, v40
	v_cmp_ne_u16_sdwa s[14:15], v42, v43 src0_sel:BYTE_0 src1_sel:DWORD
	s_and_saveexec_b64 s[12:13], s[14:15]
	s_cbranch_execz .LBB925_471
; %bb.466:                              ;   in Loop: Header=BB925_213 Depth=1
	v_cmp_ne_u16_sdwa s[16:17], v42, s9 src0_sel:BYTE_0 src1_sel:DWORD
	v_mov_b32_e32 v48, 0xffff8000
	s_and_saveexec_b64 s[14:15], s[16:17]
	s_cbranch_execz .LBB925_470
; %bb.467:                              ;   in Loop: Header=BB925_213 Depth=1
	v_bfe_u32 v47, v40, 16, 7
	v_cmp_ne_u32_e32 vcc, s21, v47
	v_mov_b32_e32 v48, 0x7f80
	s_and_saveexec_b64 s[16:17], vcc
	s_cbranch_execz .LBB925_469
; %bb.468:                              ;   in Loop: Header=BB925_213 Depth=1
	v_and_b32_e32 v58, 7, v42
	v_ffbh_u32_e32 v48, v58
	v_min_u32_e32 v60, 32, v48
	v_subrev_u32_e32 v48, 28, v60
	v_lshlrev_b64 v[48:49], v48, v[42:43]
	v_lshrrev_b32_e32 v59, 3, v47
	v_sub_u32_e32 v49, 29, v60
	v_and_b32_e32 v48, 7, v48
	v_cmp_gt_u32_e32 vcc, 8, v47
	v_cndmask_b32_e32 v47, v59, v49, vcc
	v_cndmask_b32_e32 v48, v58, v48, vcc
	v_lshlrev_b32_e32 v42, 24, v42
	v_lshlrev_b32_e32 v48, 20, v48
	v_and_b32_e32 v42, 0x80000000, v42
	v_lshl_add_u32 v47, v47, 23, v45
	v_or3_b32 v42, v42, v47, v48
	v_lshrrev_b32_e32 v48, 16, v42
.LBB925_469:                            ;   in Loop: Header=BB925_213 Depth=1
	s_or_b64 exec, exec, s[16:17]
.LBB925_470:                            ;   in Loop: Header=BB925_213 Depth=1
	s_or_b64 exec, exec, s[14:15]
.LBB925_471:                            ;   in Loop: Header=BB925_213 Depth=1
	s_or_b64 exec, exec, s[12:13]
	v_cmp_lt_u32_e32 vcc, s22, v40
	v_mov_b32_e32 v49, 0
	v_mov_b32_e32 v58, 0
	s_and_saveexec_b64 s[12:13], vcc
	s_cbranch_execz .LBB925_477
; %bb.472:                              ;   in Loop: Header=BB925_213 Depth=1
	v_lshrrev_b32_e32 v42, 24, v40
	v_cmp_ne_u32_e32 vcc, s9, v42
	v_mov_b32_e32 v58, 0xffff8000
	s_and_saveexec_b64 s[14:15], vcc
	s_cbranch_execz .LBB925_476
; %bb.473:                              ;   in Loop: Header=BB925_213 Depth=1
	v_bfe_u32 v40, v40, 24, 7
	v_cmp_ne_u32_e32 vcc, s21, v40
	v_mov_b32_e32 v58, 0x7f80
	s_and_saveexec_b64 s[16:17], vcc
	s_cbranch_execz .LBB925_475
; %bb.474:                              ;   in Loop: Header=BB925_213 Depth=1
	v_and_b32_e32 v47, 7, v42
	v_ffbh_u32_e32 v58, v47
	v_min_u32_e32 v61, 32, v58
	v_subrev_u32_e32 v58, 28, v61
	v_lshlrev_b64 v[58:59], v58, v[42:43]
	v_lshrrev_b32_e32 v60, 3, v40
	v_sub_u32_e32 v59, 29, v61
	v_and_b32_e32 v58, 7, v58
	v_cmp_gt_u32_e32 vcc, 8, v40
	v_cndmask_b32_e32 v40, v60, v59, vcc
	v_cndmask_b32_e32 v47, v47, v58, vcc
	v_lshlrev_b32_e32 v42, 24, v42
	v_lshlrev_b32_e32 v47, 20, v47
	v_and_b32_e32 v42, 0x80000000, v42
	v_lshl_add_u32 v40, v40, 23, v45
	v_or3_b32 v40, v42, v40, v47
	v_lshrrev_b32_e32 v58, 16, v40
.LBB925_475:                            ;   in Loop: Header=BB925_213 Depth=1
	s_or_b64 exec, exec, s[16:17]
.LBB925_476:                            ;   in Loop: Header=BB925_213 Depth=1
	s_or_b64 exec, exec, s[14:15]
.LBB925_477:                            ;   in Loop: Header=BB925_213 Depth=1
	s_or_b64 exec, exec, s[12:13]
	s_waitcnt vmcnt(0)
	v_cmp_ne_u16_sdwa s[14:15], v38, v43 src0_sel:BYTE_0 src1_sel:DWORD
	s_and_saveexec_b64 s[12:13], s[14:15]
	s_cbranch_execz .LBB925_483
; %bb.478:                              ;   in Loop: Header=BB925_213 Depth=1
	v_cmp_ne_u16_sdwa s[16:17], v38, s9 src0_sel:BYTE_0 src1_sel:DWORD
	v_mov_b32_e32 v49, 0xffff8000
	s_and_saveexec_b64 s[14:15], s[16:17]
	s_cbranch_execz .LBB925_482
; %bb.479:                              ;   in Loop: Header=BB925_213 Depth=1
	v_and_b32_e32 v40, 0x7f, v38
	v_cmp_ne_u32_e32 vcc, s21, v40
	v_mov_b32_e32 v49, 0x7f80
	s_and_saveexec_b64 s[16:17], vcc
	s_cbranch_execz .LBB925_481
; %bb.480:                              ;   in Loop: Header=BB925_213 Depth=1
	v_and_b32_e32 v42, 7, v38
	v_ffbh_u32_e32 v49, v42
	v_min_u32_e32 v49, 32, v49
	v_subrev_u32_e32 v59, 28, v49
	v_lshlrev_b64 v[60:61], v59, v[38:39]
	v_lshrrev_b32_e32 v47, 3, v40
	v_sub_u32_e32 v49, 29, v49
	v_and_b32_e32 v59, 7, v60
	v_cmp_gt_u32_e32 vcc, 8, v40
	v_cndmask_b32_e32 v40, v47, v49, vcc
	v_cndmask_b32_e32 v42, v42, v59, vcc
	v_lshlrev_b32_e32 v47, 24, v38
	v_lshlrev_b32_e32 v42, 20, v42
	v_and_b32_e32 v47, 0x80000000, v47
	v_lshl_add_u32 v40, v40, 23, v45
	v_or3_b32 v40, v47, v40, v42
	v_lshrrev_b32_e32 v49, 16, v40
.LBB925_481:                            ;   in Loop: Header=BB925_213 Depth=1
	s_or_b64 exec, exec, s[16:17]
.LBB925_482:                            ;   in Loop: Header=BB925_213 Depth=1
	s_or_b64 exec, exec, s[14:15]
.LBB925_483:                            ;   in Loop: Header=BB925_213 Depth=1
	s_or_b64 exec, exec, s[12:13]
	v_lshrrev_b16_e32 v40, 8, v38
	v_cmp_ne_u16_e32 vcc, 0, v40
	v_mov_b32_e32 v60, 0
	v_mov_b32_e32 v59, 0
	s_and_saveexec_b64 s[12:13], vcc
	s_cbranch_execz .LBB925_489
; %bb.484:                              ;   in Loop: Header=BB925_213 Depth=1
	v_cmp_ne_u16_e32 vcc, s9, v40
	v_mov_b32_e32 v59, 0xffff8000
	s_and_saveexec_b64 s[14:15], vcc
	s_cbranch_execz .LBB925_488
; %bb.485:                              ;   in Loop: Header=BB925_213 Depth=1
	v_and_b32_e32 v42, 0x7f, v40
	v_cmp_ne_u32_e32 vcc, s21, v42
	v_mov_b32_e32 v59, 0x7f80
	s_and_saveexec_b64 s[16:17], vcc
	s_cbranch_execz .LBB925_487
; %bb.486:                              ;   in Loop: Header=BB925_213 Depth=1
	v_and_b32_e32 v47, 7, v40
	v_ffbh_u32_e32 v61, v47
	v_min_u32_e32 v61, 32, v61
	v_subrev_u32_e32 v62, 28, v61
	v_lshlrev_b64 v[62:63], v62, v[40:41]
	v_lshrrev_b32_e32 v59, 3, v42
	v_sub_u32_e32 v40, 29, v61
	v_and_b32_e32 v61, 7, v62
	v_cmp_gt_u32_e32 vcc, 8, v42
	v_cndmask_b32_e32 v40, v59, v40, vcc
	v_cndmask_b32_e32 v42, v47, v61, vcc
	v_lshlrev_b32_e32 v47, 16, v38
	v_lshlrev_b32_e32 v42, 20, v42
	v_and_b32_e32 v47, 0x80000000, v47
	v_lshl_add_u32 v40, v40, 23, v45
	v_or3_b32 v40, v47, v40, v42
	v_lshrrev_b32_e32 v59, 16, v40
.LBB925_487:                            ;   in Loop: Header=BB925_213 Depth=1
	s_or_b64 exec, exec, s[16:17]
.LBB925_488:                            ;   in Loop: Header=BB925_213 Depth=1
	s_or_b64 exec, exec, s[14:15]
.LBB925_489:                            ;   in Loop: Header=BB925_213 Depth=1
	s_or_b64 exec, exec, s[12:13]
	v_lshrrev_b32_e32 v40, 16, v38
	v_cmp_ne_u16_sdwa s[14:15], v40, v43 src0_sel:BYTE_0 src1_sel:DWORD
	s_and_saveexec_b64 s[12:13], s[14:15]
	s_cbranch_execz .LBB925_495
; %bb.490:                              ;   in Loop: Header=BB925_213 Depth=1
	v_cmp_ne_u16_sdwa s[16:17], v40, s9 src0_sel:BYTE_0 src1_sel:DWORD
	v_mov_b32_e32 v60, 0xffff8000
	s_and_saveexec_b64 s[14:15], s[16:17]
	s_cbranch_execz .LBB925_494
; %bb.491:                              ;   in Loop: Header=BB925_213 Depth=1
	v_bfe_u32 v42, v38, 16, 7
	v_cmp_ne_u32_e32 vcc, s21, v42
	v_mov_b32_e32 v60, 0x7f80
	s_and_saveexec_b64 s[16:17], vcc
	s_cbranch_execz .LBB925_493
; %bb.492:                              ;   in Loop: Header=BB925_213 Depth=1
	v_and_b32_e32 v47, 7, v40
	v_ffbh_u32_e32 v60, v47
	v_min_u32_e32 v63, 32, v60
	v_subrev_u32_e32 v60, 28, v63
	v_lshlrev_b64 v[60:61], v60, v[40:41]
	v_lshrrev_b32_e32 v62, 3, v42
	v_sub_u32_e32 v61, 29, v63
	v_and_b32_e32 v60, 7, v60
	v_cmp_gt_u32_e32 vcc, 8, v42
	v_cndmask_b32_e32 v42, v62, v61, vcc
	v_cndmask_b32_e32 v47, v47, v60, vcc
	v_lshlrev_b32_e32 v40, 24, v40
	v_lshlrev_b32_e32 v47, 20, v47
	v_and_b32_e32 v40, 0x80000000, v40
	v_lshl_add_u32 v42, v42, 23, v45
	v_or3_b32 v40, v40, v42, v47
	v_lshrrev_b32_e32 v60, 16, v40
.LBB925_493:                            ;   in Loop: Header=BB925_213 Depth=1
	s_or_b64 exec, exec, s[16:17]
.LBB925_494:                            ;   in Loop: Header=BB925_213 Depth=1
	s_or_b64 exec, exec, s[14:15]
.LBB925_495:                            ;   in Loop: Header=BB925_213 Depth=1
	s_or_b64 exec, exec, s[12:13]
	v_cmp_lt_u32_e32 vcc, s22, v38
	v_mov_b32_e32 v47, 0
	v_mov_b32_e32 v61, 0
	s_and_saveexec_b64 s[12:13], vcc
	s_cbranch_execz .LBB925_501
; %bb.496:                              ;   in Loop: Header=BB925_213 Depth=1
	v_lshrrev_b32_e32 v40, 24, v38
	v_cmp_ne_u32_e32 vcc, s9, v40
	v_mov_b32_e32 v61, 0xffff8000
	s_and_saveexec_b64 s[14:15], vcc
	s_cbranch_execz .LBB925_500
; %bb.497:                              ;   in Loop: Header=BB925_213 Depth=1
	v_bfe_u32 v38, v38, 24, 7
	v_cmp_ne_u32_e32 vcc, s21, v38
	v_mov_b32_e32 v61, 0x7f80
	s_and_saveexec_b64 s[16:17], vcc
	s_cbranch_execz .LBB925_499
; %bb.498:                              ;   in Loop: Header=BB925_213 Depth=1
	v_and_b32_e32 v42, 7, v40
	v_ffbh_u32_e32 v62, v42
	v_min_u32_e32 v64, 32, v62
	v_subrev_u32_e32 v62, 28, v64
	v_lshlrev_b64 v[62:63], v62, v[40:41]
	v_lshrrev_b32_e32 v61, 3, v38
	v_sub_u32_e32 v63, 29, v64
	v_and_b32_e32 v62, 7, v62
	v_cmp_gt_u32_e32 vcc, 8, v38
	v_cndmask_b32_e32 v38, v61, v63, vcc
	v_cndmask_b32_e32 v42, v42, v62, vcc
	v_lshlrev_b32_e32 v40, 24, v40
	v_lshlrev_b32_e32 v42, 20, v42
	v_and_b32_e32 v40, 0x80000000, v40
	v_lshl_add_u32 v38, v38, 23, v45
	v_or3_b32 v38, v40, v38, v42
	v_lshrrev_b32_e32 v61, 16, v38
.LBB925_499:                            ;   in Loop: Header=BB925_213 Depth=1
	s_or_b64 exec, exec, s[16:17]
.LBB925_500:                            ;   in Loop: Header=BB925_213 Depth=1
	s_or_b64 exec, exec, s[14:15]
.LBB925_501:                            ;   in Loop: Header=BB925_213 Depth=1
	s_or_b64 exec, exec, s[12:13]
	v_perm_b32 v62, v44, v46, s23
	buffer_load_dword v44, v57, s[0:3], 0 offen
	buffer_load_dword v42, v57, s[0:3], 0 offen offset:4
	buffer_load_dword v40, v57, s[0:3], 0 offen offset:8
	;; [unrolled: 1-line block ×3, first 2 shown]
	v_perm_b32 v63, v58, v48, s23
	v_perm_b32 v61, v61, v60, s23
	;; [unrolled: 1-line block ×3, first 2 shown]
	v_mfma_f32_16x16x16bf16_1k v[34:37], v[62:63], v[22:23], v[34:37]
	s_waitcnt vmcnt(3)
	v_cmp_ne_u16_sdwa s[14:15], v44, v43 src0_sel:BYTE_0 src1_sel:DWORD
	v_mfma_f32_16x16x16bf16_1k v[34:37], v[60:61], v[24:25], v[34:37]
	s_and_saveexec_b64 s[12:13], s[14:15]
	s_cbranch_execz .LBB925_507
; %bb.502:                              ;   in Loop: Header=BB925_213 Depth=1
	v_cmp_ne_u16_sdwa s[16:17], v44, s9 src0_sel:BYTE_0 src1_sel:DWORD
	v_mov_b32_e32 v47, 0xffff8000
	s_and_saveexec_b64 s[14:15], s[16:17]
	s_cbranch_execz .LBB925_506
; %bb.503:                              ;   in Loop: Header=BB925_213 Depth=1
	v_and_b32_e32 v46, 0x7f, v44
	v_cmp_ne_u32_e32 vcc, s21, v46
	v_mov_b32_e32 v47, 0x7f80
	s_and_saveexec_b64 s[16:17], vcc
	s_cbranch_execz .LBB925_505
; %bb.504:                              ;   in Loop: Header=BB925_213 Depth=1
	v_and_b32_e32 v47, 7, v44
	v_ffbh_u32_e32 v48, v47
	v_min_u32_e32 v58, 32, v48
	v_subrev_u32_e32 v48, 28, v58
	v_lshlrev_b64 v[48:49], v48, v[44:45]
	v_lshrrev_b32_e32 v57, 3, v46
	v_sub_u32_e32 v49, 29, v58
	v_and_b32_e32 v48, 7, v48
	v_cmp_gt_u32_e32 vcc, 8, v46
	v_cndmask_b32_e32 v46, v57, v49, vcc
	v_cndmask_b32_e32 v47, v47, v48, vcc
	v_lshlrev_b32_e32 v48, 24, v44
	v_lshlrev_b32_e32 v47, 20, v47
	v_and_b32_e32 v48, 0x80000000, v48
	v_lshl_add_u32 v46, v46, 23, v45
	v_or3_b32 v46, v48, v46, v47
	v_lshrrev_b32_e32 v47, 16, v46
.LBB925_505:                            ;   in Loop: Header=BB925_213 Depth=1
	s_or_b64 exec, exec, s[16:17]
.LBB925_506:                            ;   in Loop: Header=BB925_213 Depth=1
	s_or_b64 exec, exec, s[14:15]
.LBB925_507:                            ;   in Loop: Header=BB925_213 Depth=1
	s_or_b64 exec, exec, s[12:13]
	v_lshrrev_b16_e32 v46, 8, v44
	v_cmp_ne_u16_e32 vcc, 0, v46
	v_mov_b32_e32 v49, 0
	v_mov_b32_e32 v48, 0
	s_and_saveexec_b64 s[12:13], vcc
	s_cbranch_execz .LBB925_513
; %bb.508:                              ;   in Loop: Header=BB925_213 Depth=1
	v_cmp_ne_u16_e32 vcc, s9, v46
	v_mov_b32_e32 v48, 0xffff8000
	s_and_saveexec_b64 s[14:15], vcc
	s_cbranch_execz .LBB925_512
; %bb.509:                              ;   in Loop: Header=BB925_213 Depth=1
	v_and_b32_e32 v57, 0x7f, v46
	v_cmp_ne_u32_e32 vcc, s21, v57
	v_mov_b32_e32 v48, 0x7f80
	s_and_saveexec_b64 s[16:17], vcc
	s_cbranch_execz .LBB925_511
; %bb.510:                              ;   in Loop: Header=BB925_213 Depth=1
	v_and_b32_e32 v48, 7, v46
	v_ffbh_u32_e32 v58, v48
	v_min_u32_e32 v61, 32, v58
	v_subrev_u32_e32 v58, 28, v61
	v_lshlrev_b64 v[58:59], v58, v[46:47]
	v_lshrrev_b32_e32 v60, 3, v57
	v_sub_u32_e32 v46, 29, v61
	v_and_b32_e32 v58, 7, v58
	v_cmp_gt_u32_e32 vcc, 8, v57
	v_cndmask_b32_e32 v46, v60, v46, vcc
	v_cndmask_b32_e32 v48, v48, v58, vcc
	v_lshlrev_b32_e32 v57, 16, v44
	v_lshlrev_b32_e32 v48, 20, v48
	v_and_b32_e32 v57, 0x80000000, v57
	v_lshl_add_u32 v46, v46, 23, v45
	v_or3_b32 v46, v57, v46, v48
	v_lshrrev_b32_e32 v48, 16, v46
.LBB925_511:                            ;   in Loop: Header=BB925_213 Depth=1
	s_or_b64 exec, exec, s[16:17]
.LBB925_512:                            ;   in Loop: Header=BB925_213 Depth=1
	s_or_b64 exec, exec, s[14:15]
.LBB925_513:                            ;   in Loop: Header=BB925_213 Depth=1
	s_or_b64 exec, exec, s[12:13]
	v_lshrrev_b32_e32 v46, 16, v44
	v_cmp_ne_u16_sdwa s[14:15], v46, v43 src0_sel:BYTE_0 src1_sel:DWORD
	s_and_saveexec_b64 s[12:13], s[14:15]
	s_cbranch_execz .LBB925_519
; %bb.514:                              ;   in Loop: Header=BB925_213 Depth=1
	v_cmp_ne_u16_sdwa s[16:17], v46, s9 src0_sel:BYTE_0 src1_sel:DWORD
	v_mov_b32_e32 v49, 0xffff8000
	s_and_saveexec_b64 s[14:15], s[16:17]
	s_cbranch_execz .LBB925_518
; %bb.515:                              ;   in Loop: Header=BB925_213 Depth=1
	v_bfe_u32 v57, v44, 16, 7
	v_cmp_ne_u32_e32 vcc, s21, v57
	v_mov_b32_e32 v49, 0x7f80
	s_and_saveexec_b64 s[16:17], vcc
	s_cbranch_execz .LBB925_517
; %bb.516:                              ;   in Loop: Header=BB925_213 Depth=1
	v_and_b32_e32 v49, 7, v46
	v_ffbh_u32_e32 v58, v49
	v_min_u32_e32 v61, 32, v58
	v_subrev_u32_e32 v58, 28, v61
	v_lshlrev_b64 v[58:59], v58, v[46:47]
	v_lshrrev_b32_e32 v60, 3, v57
	v_sub_u32_e32 v59, 29, v61
	v_and_b32_e32 v58, 7, v58
	v_cmp_gt_u32_e32 vcc, 8, v57
	v_cndmask_b32_e32 v57, v60, v59, vcc
	v_cndmask_b32_e32 v49, v49, v58, vcc
	v_lshlrev_b32_e32 v46, 24, v46
	v_lshlrev_b32_e32 v49, 20, v49
	v_and_b32_e32 v46, 0x80000000, v46
	v_lshl_add_u32 v57, v57, 23, v45
	v_or3_b32 v46, v46, v57, v49
	v_lshrrev_b32_e32 v49, 16, v46
.LBB925_517:                            ;   in Loop: Header=BB925_213 Depth=1
	s_or_b64 exec, exec, s[16:17]
.LBB925_518:                            ;   in Loop: Header=BB925_213 Depth=1
	s_or_b64 exec, exec, s[14:15]
.LBB925_519:                            ;   in Loop: Header=BB925_213 Depth=1
	s_or_b64 exec, exec, s[12:13]
	v_cmp_lt_u32_e32 vcc, s22, v44
	v_mov_b32_e32 v57, 0
	v_mov_b32_e32 v58, 0
	s_and_saveexec_b64 s[12:13], vcc
	s_cbranch_execz .LBB925_525
; %bb.520:                              ;   in Loop: Header=BB925_213 Depth=1
	v_lshrrev_b32_e32 v46, 24, v44
	v_cmp_ne_u32_e32 vcc, s9, v46
	v_mov_b32_e32 v58, 0xffff8000
	s_and_saveexec_b64 s[14:15], vcc
	s_cbranch_execz .LBB925_524
; %bb.521:                              ;   in Loop: Header=BB925_213 Depth=1
	v_bfe_u32 v44, v44, 24, 7
	v_cmp_ne_u32_e32 vcc, s21, v44
	v_mov_b32_e32 v58, 0x7f80
	s_and_saveexec_b64 s[16:17], vcc
	s_cbranch_execz .LBB925_523
; %bb.522:                              ;   in Loop: Header=BB925_213 Depth=1
	v_and_b32_e32 v60, 7, v46
	v_ffbh_u32_e32 v58, v60
	v_min_u32_e32 v62, 32, v58
	v_subrev_u32_e32 v58, 28, v62
	v_lshlrev_b64 v[58:59], v58, v[46:47]
	v_lshrrev_b32_e32 v61, 3, v44
	v_sub_u32_e32 v59, 29, v62
	v_and_b32_e32 v58, 7, v58
	v_cmp_gt_u32_e32 vcc, 8, v44
	v_cndmask_b32_e32 v44, v61, v59, vcc
	v_cndmask_b32_e32 v58, v60, v58, vcc
	v_lshlrev_b32_e32 v46, 24, v46
	v_lshlrev_b32_e32 v58, 20, v58
	v_and_b32_e32 v46, 0x80000000, v46
	v_lshl_add_u32 v44, v44, 23, v45
	v_or3_b32 v44, v46, v44, v58
	v_lshrrev_b32_e32 v58, 16, v44
.LBB925_523:                            ;   in Loop: Header=BB925_213 Depth=1
	s_or_b64 exec, exec, s[16:17]
.LBB925_524:                            ;   in Loop: Header=BB925_213 Depth=1
	s_or_b64 exec, exec, s[14:15]
.LBB925_525:                            ;   in Loop: Header=BB925_213 Depth=1
	s_or_b64 exec, exec, s[12:13]
	s_waitcnt vmcnt(2)
	v_cmp_ne_u16_sdwa s[14:15], v42, v43 src0_sel:BYTE_0 src1_sel:DWORD
	s_and_saveexec_b64 s[12:13], s[14:15]
	s_cbranch_execz .LBB925_531
; %bb.526:                              ;   in Loop: Header=BB925_213 Depth=1
	v_cmp_ne_u16_sdwa s[16:17], v42, s9 src0_sel:BYTE_0 src1_sel:DWORD
	v_mov_b32_e32 v57, 0xffff8000
	s_and_saveexec_b64 s[14:15], s[16:17]
	s_cbranch_execz .LBB925_530
; %bb.527:                              ;   in Loop: Header=BB925_213 Depth=1
	v_and_b32_e32 v44, 0x7f, v42
	v_cmp_ne_u32_e32 vcc, s21, v44
	v_mov_b32_e32 v57, 0x7f80
	s_and_saveexec_b64 s[16:17], vcc
	s_cbranch_execz .LBB925_529
; %bb.528:                              ;   in Loop: Header=BB925_213 Depth=1
	v_and_b32_e32 v46, 7, v42
	v_ffbh_u32_e32 v59, v46
	v_min_u32_e32 v59, 32, v59
	v_subrev_u32_e32 v60, 28, v59
	v_lshlrev_b64 v[60:61], v60, v[42:43]
	v_lshrrev_b32_e32 v57, 3, v44
	v_sub_u32_e32 v59, 29, v59
	v_and_b32_e32 v60, 7, v60
	v_cmp_gt_u32_e32 vcc, 8, v44
	v_cndmask_b32_e32 v44, v57, v59, vcc
	v_cndmask_b32_e32 v46, v46, v60, vcc
	v_lshlrev_b32_e32 v57, 24, v42
	v_lshlrev_b32_e32 v46, 20, v46
	v_and_b32_e32 v57, 0x80000000, v57
	v_lshl_add_u32 v44, v44, 23, v45
	v_or3_b32 v44, v57, v44, v46
	v_lshrrev_b32_e32 v57, 16, v44
.LBB925_529:                            ;   in Loop: Header=BB925_213 Depth=1
	s_or_b64 exec, exec, s[16:17]
.LBB925_530:                            ;   in Loop: Header=BB925_213 Depth=1
	s_or_b64 exec, exec, s[14:15]
.LBB925_531:                            ;   in Loop: Header=BB925_213 Depth=1
	s_or_b64 exec, exec, s[12:13]
	v_lshrrev_b16_e32 v44, 8, v42
	v_cmp_ne_u16_e32 vcc, 0, v44
	v_mov_b32_e32 v60, 0
	v_mov_b32_e32 v59, 0
	s_and_saveexec_b64 s[12:13], vcc
	s_cbranch_execz .LBB925_537
; %bb.532:                              ;   in Loop: Header=BB925_213 Depth=1
	v_cmp_ne_u16_e32 vcc, s9, v44
	v_mov_b32_e32 v59, 0xffff8000
	s_and_saveexec_b64 s[14:15], vcc
	s_cbranch_execz .LBB925_536
; %bb.533:                              ;   in Loop: Header=BB925_213 Depth=1
	v_and_b32_e32 v46, 0x7f, v44
	v_cmp_ne_u32_e32 vcc, s21, v46
	v_mov_b32_e32 v59, 0x7f80
	s_and_saveexec_b64 s[16:17], vcc
	s_cbranch_execz .LBB925_535
; %bb.534:                              ;   in Loop: Header=BB925_213 Depth=1
	v_and_b32_e32 v59, 7, v44
	v_ffbh_u32_e32 v62, v59
	v_min_u32_e32 v64, 32, v62
	v_subrev_u32_e32 v62, 28, v64
	v_lshlrev_b64 v[62:63], v62, v[44:45]
	v_lshrrev_b32_e32 v61, 3, v46
	v_sub_u32_e32 v44, 29, v64
	v_and_b32_e32 v62, 7, v62
	v_cmp_gt_u32_e32 vcc, 8, v46
	v_cndmask_b32_e32 v44, v61, v44, vcc
	v_cndmask_b32_e32 v46, v59, v62, vcc
	v_lshlrev_b32_e32 v59, 16, v42
	v_lshlrev_b32_e32 v46, 20, v46
	v_and_b32_e32 v59, 0x80000000, v59
	v_lshl_add_u32 v44, v44, 23, v45
	v_or3_b32 v44, v59, v44, v46
	v_lshrrev_b32_e32 v59, 16, v44
.LBB925_535:                            ;   in Loop: Header=BB925_213 Depth=1
	s_or_b64 exec, exec, s[16:17]
.LBB925_536:                            ;   in Loop: Header=BB925_213 Depth=1
	s_or_b64 exec, exec, s[14:15]
.LBB925_537:                            ;   in Loop: Header=BB925_213 Depth=1
	s_or_b64 exec, exec, s[12:13]
	v_lshrrev_b32_e32 v44, 16, v42
	v_cmp_ne_u16_sdwa s[14:15], v44, v43 src0_sel:BYTE_0 src1_sel:DWORD
	s_and_saveexec_b64 s[12:13], s[14:15]
	s_cbranch_execz .LBB925_543
; %bb.538:                              ;   in Loop: Header=BB925_213 Depth=1
	v_cmp_ne_u16_sdwa s[16:17], v44, s9 src0_sel:BYTE_0 src1_sel:DWORD
	v_mov_b32_e32 v60, 0xffff8000
	s_and_saveexec_b64 s[14:15], s[16:17]
	s_cbranch_execz .LBB925_542
; %bb.539:                              ;   in Loop: Header=BB925_213 Depth=1
	v_bfe_u32 v46, v42, 16, 7
	v_cmp_ne_u32_e32 vcc, s21, v46
	v_mov_b32_e32 v60, 0x7f80
	s_and_saveexec_b64 s[16:17], vcc
	s_cbranch_execz .LBB925_541
; %bb.540:                              ;   in Loop: Header=BB925_213 Depth=1
	v_and_b32_e32 v62, 7, v44
	v_ffbh_u32_e32 v60, v62
	v_min_u32_e32 v64, 32, v60
	v_subrev_u32_e32 v60, 28, v64
	v_lshlrev_b64 v[60:61], v60, v[44:45]
	v_lshrrev_b32_e32 v63, 3, v46
	v_sub_u32_e32 v61, 29, v64
	v_and_b32_e32 v60, 7, v60
	v_cmp_gt_u32_e32 vcc, 8, v46
	v_cndmask_b32_e32 v46, v63, v61, vcc
	v_cndmask_b32_e32 v60, v62, v60, vcc
	v_lshlrev_b32_e32 v44, 24, v44
	v_lshlrev_b32_e32 v60, 20, v60
	v_and_b32_e32 v44, 0x80000000, v44
	v_lshl_add_u32 v46, v46, 23, v45
	v_or3_b32 v44, v44, v46, v60
	v_lshrrev_b32_e32 v60, 16, v44
.LBB925_541:                            ;   in Loop: Header=BB925_213 Depth=1
	s_or_b64 exec, exec, s[16:17]
.LBB925_542:                            ;   in Loop: Header=BB925_213 Depth=1
	s_or_b64 exec, exec, s[14:15]
.LBB925_543:                            ;   in Loop: Header=BB925_213 Depth=1
	s_or_b64 exec, exec, s[12:13]
	v_cmp_lt_u32_e32 vcc, s22, v42
	v_mov_b32_e32 v46, 0
	v_mov_b32_e32 v61, 0
	s_and_saveexec_b64 s[12:13], vcc
	s_cbranch_execz .LBB925_549
; %bb.544:                              ;   in Loop: Header=BB925_213 Depth=1
	v_lshrrev_b32_e32 v44, 24, v42
	v_cmp_ne_u32_e32 vcc, s9, v44
	v_mov_b32_e32 v61, 0xffff8000
	s_and_saveexec_b64 s[14:15], vcc
	s_cbranch_execz .LBB925_548
; %bb.545:                              ;   in Loop: Header=BB925_213 Depth=1
	v_bfe_u32 v42, v42, 24, 7
	v_cmp_ne_u32_e32 vcc, s21, v42
	v_mov_b32_e32 v61, 0x7f80
	s_and_saveexec_b64 s[16:17], vcc
	s_cbranch_execz .LBB925_547
; %bb.546:                              ;   in Loop: Header=BB925_213 Depth=1
	v_and_b32_e32 v61, 7, v44
	v_ffbh_u32_e32 v62, v61
	v_min_u32_e32 v65, 32, v62
	v_subrev_u32_e32 v62, 28, v65
	v_lshlrev_b64 v[62:63], v62, v[44:45]
	v_lshrrev_b32_e32 v64, 3, v42
	v_sub_u32_e32 v63, 29, v65
	v_and_b32_e32 v62, 7, v62
	v_cmp_gt_u32_e32 vcc, 8, v42
	v_cndmask_b32_e32 v42, v64, v63, vcc
	v_cndmask_b32_e32 v61, v61, v62, vcc
	v_lshlrev_b32_e32 v44, 24, v44
	v_lshlrev_b32_e32 v61, 20, v61
	v_and_b32_e32 v44, 0x80000000, v44
	v_lshl_add_u32 v42, v42, 23, v45
	v_or3_b32 v42, v44, v42, v61
	v_lshrrev_b32_e32 v61, 16, v42
.LBB925_547:                            ;   in Loop: Header=BB925_213 Depth=1
	s_or_b64 exec, exec, s[16:17]
.LBB925_548:                            ;   in Loop: Header=BB925_213 Depth=1
	s_or_b64 exec, exec, s[14:15]
.LBB925_549:                            ;   in Loop: Header=BB925_213 Depth=1
	s_or_b64 exec, exec, s[12:13]
	v_perm_b32 v49, v58, v49, s23
	v_perm_b32 v48, v48, v47, s23
	s_waitcnt vmcnt(1)
	v_cmp_ne_u16_sdwa s[14:15], v40, v43 src0_sel:BYTE_0 src1_sel:DWORD
	v_mfma_f32_16x16x16bf16_1k v[34:37], v[48:49], v[26:27], v[34:37]
	v_perm_b32 v49, v61, v60, s23
	v_perm_b32 v48, v59, v57, s23
	s_nop 1
	v_mfma_f32_16x16x16bf16_1k v[34:37], v[48:49], v[28:29], v[34:37]
	s_and_saveexec_b64 s[12:13], s[14:15]
	s_cbranch_execz .LBB925_555
; %bb.550:                              ;   in Loop: Header=BB925_213 Depth=1
	v_cmp_ne_u16_sdwa s[16:17], v40, s9 src0_sel:BYTE_0 src1_sel:DWORD
	v_mov_b32_e32 v46, 0xffff8000
	s_and_saveexec_b64 s[14:15], s[16:17]
	s_cbranch_execz .LBB925_554
; %bb.551:                              ;   in Loop: Header=BB925_213 Depth=1
	v_and_b32_e32 v42, 0x7f, v40
	v_cmp_ne_u32_e32 vcc, s21, v42
	v_mov_b32_e32 v46, 0x7f80
	s_and_saveexec_b64 s[16:17], vcc
	s_cbranch_execz .LBB925_553
; %bb.552:                              ;   in Loop: Header=BB925_213 Depth=1
	v_and_b32_e32 v44, 7, v40
	v_ffbh_u32_e32 v46, v44
	v_min_u32_e32 v49, 32, v46
	v_subrev_u32_e32 v46, 28, v49
	v_lshlrev_b64 v[46:47], v46, v[40:41]
	v_lshrrev_b32_e32 v48, 3, v42
	v_sub_u32_e32 v47, 29, v49
	v_and_b32_e32 v46, 7, v46
	v_cmp_gt_u32_e32 vcc, 8, v42
	v_cndmask_b32_e32 v42, v48, v47, vcc
	v_cndmask_b32_e32 v44, v44, v46, vcc
	v_lshlrev_b32_e32 v46, 24, v40
	v_lshlrev_b32_e32 v44, 20, v44
	v_and_b32_e32 v46, 0x80000000, v46
	v_lshl_add_u32 v42, v42, 23, v45
	v_or3_b32 v42, v46, v42, v44
	v_lshrrev_b32_e32 v46, 16, v42
.LBB925_553:                            ;   in Loop: Header=BB925_213 Depth=1
	s_or_b64 exec, exec, s[16:17]
.LBB925_554:                            ;   in Loop: Header=BB925_213 Depth=1
	s_or_b64 exec, exec, s[14:15]
.LBB925_555:                            ;   in Loop: Header=BB925_213 Depth=1
	s_or_b64 exec, exec, s[12:13]
	v_lshrrev_b16_e32 v42, 8, v40
	v_cmp_ne_u16_e32 vcc, 0, v42
	v_mov_b32_e32 v47, 0
	v_mov_b32_e32 v44, 0
	s_and_saveexec_b64 s[12:13], vcc
	s_cbranch_execz .LBB925_561
; %bb.556:                              ;   in Loop: Header=BB925_213 Depth=1
	v_cmp_ne_u16_e32 vcc, s9, v42
	v_mov_b32_e32 v44, 0xffff8000
	s_and_saveexec_b64 s[14:15], vcc
	s_cbranch_execz .LBB925_560
; %bb.557:                              ;   in Loop: Header=BB925_213 Depth=1
	v_and_b32_e32 v48, 0x7f, v42
	v_cmp_ne_u32_e32 vcc, s21, v48
	v_mov_b32_e32 v44, 0x7f80
	s_and_saveexec_b64 s[16:17], vcc
	s_cbranch_execz .LBB925_559
; %bb.558:                              ;   in Loop: Header=BB925_213 Depth=1
	v_and_b32_e32 v44, 7, v42
	v_ffbh_u32_e32 v57, v44
	v_min_u32_e32 v57, 32, v57
	v_subrev_u32_e32 v58, 28, v57
	v_lshlrev_b64 v[58:59], v58, v[42:43]
	v_lshrrev_b32_e32 v49, 3, v48
	v_sub_u32_e32 v42, 29, v57
	v_and_b32_e32 v57, 7, v58
	v_cmp_gt_u32_e32 vcc, 8, v48
	v_cndmask_b32_e32 v42, v49, v42, vcc
	v_cndmask_b32_e32 v44, v44, v57, vcc
	v_lshlrev_b32_e32 v48, 16, v40
	v_lshlrev_b32_e32 v44, 20, v44
	v_and_b32_e32 v48, 0x80000000, v48
	v_lshl_add_u32 v42, v42, 23, v45
	v_or3_b32 v42, v48, v42, v44
	v_lshrrev_b32_e32 v44, 16, v42
.LBB925_559:                            ;   in Loop: Header=BB925_213 Depth=1
	s_or_b64 exec, exec, s[16:17]
.LBB925_560:                            ;   in Loop: Header=BB925_213 Depth=1
	s_or_b64 exec, exec, s[14:15]
.LBB925_561:                            ;   in Loop: Header=BB925_213 Depth=1
	s_or_b64 exec, exec, s[12:13]
	v_lshrrev_b32_e32 v42, 16, v40
	v_cmp_ne_u16_sdwa s[14:15], v42, v43 src0_sel:BYTE_0 src1_sel:DWORD
	s_and_saveexec_b64 s[12:13], s[14:15]
	s_cbranch_execz .LBB925_567
; %bb.562:                              ;   in Loop: Header=BB925_213 Depth=1
	v_cmp_ne_u16_sdwa s[16:17], v42, s9 src0_sel:BYTE_0 src1_sel:DWORD
	v_mov_b32_e32 v47, 0xffff8000
	s_and_saveexec_b64 s[14:15], s[16:17]
	s_cbranch_execz .LBB925_566
; %bb.563:                              ;   in Loop: Header=BB925_213 Depth=1
	v_bfe_u32 v48, v40, 16, 7
	v_cmp_ne_u32_e32 vcc, s21, v48
	v_mov_b32_e32 v47, 0x7f80
	s_and_saveexec_b64 s[16:17], vcc
	s_cbranch_execz .LBB925_565
; %bb.564:                              ;   in Loop: Header=BB925_213 Depth=1
	v_and_b32_e32 v47, 7, v42
	v_ffbh_u32_e32 v57, v47
	v_min_u32_e32 v57, 32, v57
	v_subrev_u32_e32 v58, 28, v57
	v_lshlrev_b64 v[58:59], v58, v[42:43]
	v_lshrrev_b32_e32 v49, 3, v48
	v_sub_u32_e32 v57, 29, v57
	v_and_b32_e32 v58, 7, v58
	v_cmp_gt_u32_e32 vcc, 8, v48
	v_cndmask_b32_e32 v48, v49, v57, vcc
	v_cndmask_b32_e32 v47, v47, v58, vcc
	v_lshlrev_b32_e32 v42, 24, v42
	v_lshlrev_b32_e32 v47, 20, v47
	v_and_b32_e32 v42, 0x80000000, v42
	v_lshl_add_u32 v48, v48, 23, v45
	v_or3_b32 v42, v42, v48, v47
	v_lshrrev_b32_e32 v47, 16, v42
.LBB925_565:                            ;   in Loop: Header=BB925_213 Depth=1
	s_or_b64 exec, exec, s[16:17]
.LBB925_566:                            ;   in Loop: Header=BB925_213 Depth=1
	s_or_b64 exec, exec, s[14:15]
.LBB925_567:                            ;   in Loop: Header=BB925_213 Depth=1
	s_or_b64 exec, exec, s[12:13]
	v_cmp_lt_u32_e32 vcc, s22, v40
	v_mov_b32_e32 v48, 0
	v_mov_b32_e32 v49, 0
	s_and_saveexec_b64 s[12:13], vcc
	s_cbranch_execz .LBB925_573
; %bb.568:                              ;   in Loop: Header=BB925_213 Depth=1
	v_lshrrev_b32_e32 v42, 24, v40
	v_cmp_ne_u32_e32 vcc, s9, v42
	v_mov_b32_e32 v49, 0xffff8000
	s_and_saveexec_b64 s[14:15], vcc
	s_cbranch_execz .LBB925_572
; %bb.569:                              ;   in Loop: Header=BB925_213 Depth=1
	v_bfe_u32 v40, v40, 24, 7
	v_cmp_ne_u32_e32 vcc, s21, v40
	v_mov_b32_e32 v49, 0x7f80
	s_and_saveexec_b64 s[16:17], vcc
	s_cbranch_execz .LBB925_571
; %bb.570:                              ;   in Loop: Header=BB925_213 Depth=1
	v_and_b32_e32 v49, 7, v42
	v_ffbh_u32_e32 v58, v49
	v_min_u32_e32 v60, 32, v58
	v_subrev_u32_e32 v58, 28, v60
	v_lshlrev_b64 v[58:59], v58, v[42:43]
	v_lshrrev_b32_e32 v57, 3, v40
	v_sub_u32_e32 v59, 29, v60
	v_and_b32_e32 v58, 7, v58
	v_cmp_gt_u32_e32 vcc, 8, v40
	v_cndmask_b32_e32 v40, v57, v59, vcc
	v_cndmask_b32_e32 v49, v49, v58, vcc
	v_lshlrev_b32_e32 v42, 24, v42
	v_lshlrev_b32_e32 v49, 20, v49
	v_and_b32_e32 v42, 0x80000000, v42
	v_lshl_add_u32 v40, v40, 23, v45
	v_or3_b32 v40, v42, v40, v49
	v_lshrrev_b32_e32 v49, 16, v40
.LBB925_571:                            ;   in Loop: Header=BB925_213 Depth=1
	s_or_b64 exec, exec, s[16:17]
.LBB925_572:                            ;   in Loop: Header=BB925_213 Depth=1
	s_or_b64 exec, exec, s[14:15]
.LBB925_573:                            ;   in Loop: Header=BB925_213 Depth=1
	s_or_b64 exec, exec, s[12:13]
	s_waitcnt vmcnt(0)
	v_cmp_ne_u16_sdwa s[14:15], v38, v43 src0_sel:BYTE_0 src1_sel:DWORD
	s_and_saveexec_b64 s[12:13], s[14:15]
	s_cbranch_execz .LBB925_579
; %bb.574:                              ;   in Loop: Header=BB925_213 Depth=1
	v_cmp_ne_u16_sdwa s[16:17], v38, s9 src0_sel:BYTE_0 src1_sel:DWORD
	v_mov_b32_e32 v48, 0xffff8000
	s_and_saveexec_b64 s[14:15], s[16:17]
	s_cbranch_execz .LBB925_578
; %bb.575:                              ;   in Loop: Header=BB925_213 Depth=1
	v_and_b32_e32 v40, 0x7f, v38
	v_cmp_ne_u32_e32 vcc, s21, v40
	v_mov_b32_e32 v48, 0x7f80
	s_and_saveexec_b64 s[16:17], vcc
	s_cbranch_execz .LBB925_577
; %bb.576:                              ;   in Loop: Header=BB925_213 Depth=1
	v_and_b32_e32 v42, 7, v38
	v_ffbh_u32_e32 v57, v42
	v_min_u32_e32 v57, 32, v57
	v_subrev_u32_e32 v58, 28, v57
	v_lshlrev_b64 v[58:59], v58, v[38:39]
	v_lshrrev_b32_e32 v48, 3, v40
	v_sub_u32_e32 v57, 29, v57
	v_and_b32_e32 v58, 7, v58
	v_cmp_gt_u32_e32 vcc, 8, v40
	v_cndmask_b32_e32 v40, v48, v57, vcc
	v_cndmask_b32_e32 v42, v42, v58, vcc
	v_lshlrev_b32_e32 v48, 24, v38
	v_lshlrev_b32_e32 v42, 20, v42
	v_and_b32_e32 v48, 0x80000000, v48
	v_lshl_add_u32 v40, v40, 23, v45
	v_or3_b32 v40, v48, v40, v42
	v_lshrrev_b32_e32 v48, 16, v40
.LBB925_577:                            ;   in Loop: Header=BB925_213 Depth=1
	s_or_b64 exec, exec, s[16:17]
.LBB925_578:                            ;   in Loop: Header=BB925_213 Depth=1
	s_or_b64 exec, exec, s[14:15]
.LBB925_579:                            ;   in Loop: Header=BB925_213 Depth=1
	s_or_b64 exec, exec, s[12:13]
	v_lshrrev_b16_e32 v40, 8, v38
	v_cmp_ne_u16_e32 vcc, 0, v40
	v_mov_b32_e32 v57, 0
	v_mov_b32_e32 v42, 0
	s_and_saveexec_b64 s[12:13], vcc
	s_cbranch_execz .LBB925_585
; %bb.580:                              ;   in Loop: Header=BB925_213 Depth=1
	v_cmp_ne_u16_e32 vcc, s9, v40
	v_mov_b32_e32 v42, 0xffff8000
	s_and_saveexec_b64 s[14:15], vcc
	s_cbranch_execz .LBB925_584
; %bb.581:                              ;   in Loop: Header=BB925_213 Depth=1
	v_and_b32_e32 v58, 0x7f, v40
	v_cmp_ne_u32_e32 vcc, s21, v58
	v_mov_b32_e32 v42, 0x7f80
	s_and_saveexec_b64 s[16:17], vcc
	s_cbranch_execz .LBB925_583
; %bb.582:                              ;   in Loop: Header=BB925_213 Depth=1
	v_and_b32_e32 v42, 7, v40
	v_ffbh_u32_e32 v60, v42
	v_min_u32_e32 v62, 32, v60
	v_subrev_u32_e32 v60, 28, v62
	v_lshlrev_b64 v[60:61], v60, v[40:41]
	v_lshrrev_b32_e32 v59, 3, v58
	v_sub_u32_e32 v40, 29, v62
	v_and_b32_e32 v60, 7, v60
	v_cmp_gt_u32_e32 vcc, 8, v58
	v_cndmask_b32_e32 v40, v59, v40, vcc
	v_cndmask_b32_e32 v42, v42, v60, vcc
	v_lshlrev_b32_e32 v58, 16, v38
	v_lshlrev_b32_e32 v42, 20, v42
	v_and_b32_e32 v58, 0x80000000, v58
	v_lshl_add_u32 v40, v40, 23, v45
	v_or3_b32 v40, v58, v40, v42
	v_lshrrev_b32_e32 v42, 16, v40
.LBB925_583:                            ;   in Loop: Header=BB925_213 Depth=1
	s_or_b64 exec, exec, s[16:17]
.LBB925_584:                            ;   in Loop: Header=BB925_213 Depth=1
	s_or_b64 exec, exec, s[14:15]
.LBB925_585:                            ;   in Loop: Header=BB925_213 Depth=1
	s_or_b64 exec, exec, s[12:13]
	v_lshrrev_b32_e32 v40, 16, v38
	v_cmp_ne_u16_sdwa s[14:15], v40, v43 src0_sel:BYTE_0 src1_sel:DWORD
	s_and_saveexec_b64 s[12:13], s[14:15]
	s_cbranch_execz .LBB925_591
; %bb.586:                              ;   in Loop: Header=BB925_213 Depth=1
	v_cmp_ne_u16_sdwa s[16:17], v40, s9 src0_sel:BYTE_0 src1_sel:DWORD
	v_mov_b32_e32 v57, 0xffff8000
	s_and_saveexec_b64 s[14:15], s[16:17]
	s_cbranch_execz .LBB925_590
; %bb.587:                              ;   in Loop: Header=BB925_213 Depth=1
	v_bfe_u32 v58, v38, 16, 7
	v_cmp_ne_u32_e32 vcc, s21, v58
	v_mov_b32_e32 v57, 0x7f80
	s_and_saveexec_b64 s[16:17], vcc
	s_cbranch_execz .LBB925_589
; %bb.588:                              ;   in Loop: Header=BB925_213 Depth=1
	v_and_b32_e32 v57, 7, v40
	v_ffbh_u32_e32 v60, v57
	v_min_u32_e32 v62, 32, v60
	v_subrev_u32_e32 v60, 28, v62
	v_lshlrev_b64 v[60:61], v60, v[40:41]
	v_lshrrev_b32_e32 v59, 3, v58
	v_sub_u32_e32 v61, 29, v62
	v_and_b32_e32 v60, 7, v60
	v_cmp_gt_u32_e32 vcc, 8, v58
	v_cndmask_b32_e32 v58, v59, v61, vcc
	v_cndmask_b32_e32 v57, v57, v60, vcc
	v_lshlrev_b32_e32 v40, 24, v40
	v_lshlrev_b32_e32 v57, 20, v57
	v_and_b32_e32 v40, 0x80000000, v40
	v_lshl_add_u32 v58, v58, 23, v45
	v_or3_b32 v40, v40, v58, v57
	v_lshrrev_b32_e32 v57, 16, v40
.LBB925_589:                            ;   in Loop: Header=BB925_213 Depth=1
	s_or_b64 exec, exec, s[16:17]
.LBB925_590:                            ;   in Loop: Header=BB925_213 Depth=1
	s_or_b64 exec, exec, s[14:15]
.LBB925_591:                            ;   in Loop: Header=BB925_213 Depth=1
	s_or_b64 exec, exec, s[12:13]
	v_cmp_lt_u32_e32 vcc, s22, v38
	v_mov_b32_e32 v58, 0
	s_and_saveexec_b64 s[12:13], vcc
	s_cbranch_execz .LBB925_212
; %bb.592:                              ;   in Loop: Header=BB925_213 Depth=1
	v_lshrrev_b32_e32 v40, 24, v38
	v_cmp_ne_u32_e32 vcc, s9, v40
	v_mov_b32_e32 v58, 0xffff8000
	s_and_saveexec_b64 s[14:15], vcc
	s_cbranch_execz .LBB925_211
; %bb.593:                              ;   in Loop: Header=BB925_213 Depth=1
	v_bfe_u32 v38, v38, 24, 7
	v_cmp_ne_u32_e32 vcc, s21, v38
	v_mov_b32_e32 v58, 0x7f80
	s_and_saveexec_b64 s[16:17], vcc
	s_cbranch_execz .LBB925_210
; %bb.594:                              ;   in Loop: Header=BB925_213 Depth=1
	v_and_b32_e32 v60, 7, v40
	v_ffbh_u32_e32 v58, v60
	v_min_u32_e32 v62, 32, v58
	v_subrev_u32_e32 v58, 28, v62
	v_lshlrev_b64 v[58:59], v58, v[40:41]
	v_lshrrev_b32_e32 v61, 3, v38
	v_sub_u32_e32 v59, 29, v62
	v_and_b32_e32 v58, 7, v58
	v_cmp_gt_u32_e32 vcc, 8, v38
	v_cndmask_b32_e32 v38, v61, v59, vcc
	v_cndmask_b32_e32 v58, v60, v58, vcc
	v_lshlrev_b32_e32 v40, 24, v40
	v_lshlrev_b32_e32 v58, 20, v58
	v_and_b32_e32 v40, 0x80000000, v40
	v_lshl_add_u32 v38, v38, 23, v45
	v_or3_b32 v38, v40, v38, v58
	v_lshrrev_b32_e32 v58, 16, v38
	s_branch .LBB925_210
.LBB925_595:
	s_barrier
	buffer_load_dword v2, off, s[0:3], 0 offset:320
	buffer_load_dword v5, off, s[0:3], 0 offset:332
	;; [unrolled: 1-line block ×4, first 2 shown]
	v_cmp_gt_u32_e32 vcc, 64, v0
	s_waitcnt vmcnt(0)
	ds_write2st64_b64 v39, v[2:3], v[4:5] offset1:1
	s_waitcnt lgkmcnt(0)
	s_barrier
	s_and_saveexec_b64 s[4:5], vcc
	s_cbranch_execz .LBB925_597
; %bb.596:
	s_lshl_b32 s6, s50, 7
	s_mul_i32 s4, s18, s8
	s_mul_hi_u32 s5, s4, s6
	s_mul_i32 s4, s4, s6
	s_lshl_b64 s[4:5], s[4:5], 1
	s_add_u32 s7, s48, s4
	v_lshlrev_b32_e32 v4, 6, v51
	s_addc_u32 s8, s49, s5
	s_lshl_b32 s4, s24, 7
	s_mov_b32 s5, 0
	v_lshl_or_b32 v0, v0, 10, v4
	s_lshl_b64 s[4:5], s[4:5], 1
	v_lshlrev_b32_e32 v2, 5, v1
	v_and_b32_e32 v3, 16, v52
	v_and_b32_e32 v0, 0x1a00, v0
	s_add_u32 s4, s7, s4
	v_or3_b32 v0, v0, v2, v3
	s_addc_u32 s5, s8, s5
	ds_read_b128 v[2:5], v0
	ds_read_b128 v[6:9], v0 offset:128
	ds_read_b128 v[10:13], v0 offset:256
	;; [unrolled: 1-line block ×3, first 2 shown]
	v_mov_b32_e32 v0, s5
	v_add_co_u32_e32 v18, vcc, s4, v50
	v_or_b32_e32 v20, s25, v1
	v_addc_co_u32_e32 v19, vcc, 0, v0, vcc
	v_mad_u64_u32 v[0:1], s[4:5], v20, s6, 0
	v_lshlrev_b64 v[0:1], 1, v[0:1]
	v_add_co_u32_e32 v0, vcc, v18, v0
	v_addc_co_u32_e32 v1, vcc, v19, v1, vcc
	s_waitcnt lgkmcnt(3)
	global_store_dwordx4 v[0:1], v[2:5], off
	v_or_b32_e32 v0, 4, v20
	v_mad_u64_u32 v[0:1], s[4:5], v0, s6, 0
	v_lshlrev_b64 v[0:1], 1, v[0:1]
	v_add_co_u32_e32 v0, vcc, v18, v0
	v_addc_co_u32_e32 v1, vcc, v19, v1, vcc
	s_waitcnt lgkmcnt(2)
	global_store_dwordx4 v[0:1], v[6:9], off
	v_or_b32_e32 v0, 8, v20
	;; [unrolled: 7-line block ×3, first 2 shown]
	v_mad_u64_u32 v[0:1], s[4:5], v0, s6, 0
	v_lshlrev_b64 v[0:1], 1, v[0:1]
	v_add_co_u32_e32 v0, vcc, v18, v0
	v_addc_co_u32_e32 v1, vcc, v19, v1, vcc
	s_waitcnt lgkmcnt(0)
	global_store_dwordx4 v[0:1], v[14:17], off
.LBB925_597:
	s_endpgm
	.section	.rodata,"a",@progbits
	.p2align	6, 0x0
	.amdhsa_kernel _Z39paged_attention_ll4mi_QKV_mfma16_kernelI14__hip_bfloat16hLN4vllm18Fp8KVCacheDataTypeE1ES0_Li16ELi128ELi256ELb0ELi16EL8MFMAType0EEvPKT_PKT0_S9_ifPKiSB_SB_iPKfiiiPfSE_PS4_PT2_iSD_SD_
		.amdhsa_group_segment_fixed_size 8192
		.amdhsa_private_segment_fixed_size 352
		.amdhsa_kernarg_size 400
		.amdhsa_user_sgpr_count 8
		.amdhsa_user_sgpr_private_segment_buffer 1
		.amdhsa_user_sgpr_dispatch_ptr 0
		.amdhsa_user_sgpr_queue_ptr 0
		.amdhsa_user_sgpr_kernarg_segment_ptr 1
		.amdhsa_user_sgpr_dispatch_id 0
		.amdhsa_user_sgpr_flat_scratch_init 1
		.amdhsa_user_sgpr_kernarg_preload_length 0
		.amdhsa_user_sgpr_kernarg_preload_offset 0
		.amdhsa_user_sgpr_private_segment_size 0
		.amdhsa_uses_dynamic_stack 0
		.amdhsa_system_sgpr_private_segment_wavefront_offset 1
		.amdhsa_system_sgpr_workgroup_id_x 1
		.amdhsa_system_sgpr_workgroup_id_y 1
		.amdhsa_system_sgpr_workgroup_id_z 1
		.amdhsa_system_sgpr_workgroup_info 0
		.amdhsa_system_vgpr_workitem_id 0
		.amdhsa_next_free_vgpr 80
		.amdhsa_next_free_sgpr 53
		.amdhsa_accum_offset 80
		.amdhsa_reserve_vcc 1
		.amdhsa_reserve_flat_scratch 0
		.amdhsa_float_round_mode_32 0
		.amdhsa_float_round_mode_16_64 0
		.amdhsa_float_denorm_mode_32 3
		.amdhsa_float_denorm_mode_16_64 3
		.amdhsa_dx10_clamp 1
		.amdhsa_ieee_mode 1
		.amdhsa_fp16_overflow 0
		.amdhsa_tg_split 0
		.amdhsa_exception_fp_ieee_invalid_op 0
		.amdhsa_exception_fp_denorm_src 0
		.amdhsa_exception_fp_ieee_div_zero 0
		.amdhsa_exception_fp_ieee_overflow 0
		.amdhsa_exception_fp_ieee_underflow 0
		.amdhsa_exception_fp_ieee_inexact 0
		.amdhsa_exception_int_div_zero 0
	.end_amdhsa_kernel
	.section	.text._Z39paged_attention_ll4mi_QKV_mfma16_kernelI14__hip_bfloat16hLN4vllm18Fp8KVCacheDataTypeE1ES0_Li16ELi128ELi256ELb0ELi16EL8MFMAType0EEvPKT_PKT0_S9_ifPKiSB_SB_iPKfiiiPfSE_PS4_PT2_iSD_SD_,"axG",@progbits,_Z39paged_attention_ll4mi_QKV_mfma16_kernelI14__hip_bfloat16hLN4vllm18Fp8KVCacheDataTypeE1ES0_Li16ELi128ELi256ELb0ELi16EL8MFMAType0EEvPKT_PKT0_S9_ifPKiSB_SB_iPKfiiiPfSE_PS4_PT2_iSD_SD_,comdat
.Lfunc_end925:
	.size	_Z39paged_attention_ll4mi_QKV_mfma16_kernelI14__hip_bfloat16hLN4vllm18Fp8KVCacheDataTypeE1ES0_Li16ELi128ELi256ELb0ELi16EL8MFMAType0EEvPKT_PKT0_S9_ifPKiSB_SB_iPKfiiiPfSE_PS4_PT2_iSD_SD_, .Lfunc_end925-_Z39paged_attention_ll4mi_QKV_mfma16_kernelI14__hip_bfloat16hLN4vllm18Fp8KVCacheDataTypeE1ES0_Li16ELi128ELi256ELb0ELi16EL8MFMAType0EEvPKT_PKT0_S9_ifPKiSB_SB_iPKfiiiPfSE_PS4_PT2_iSD_SD_
                                        ; -- End function
	.section	.AMDGPU.csdata,"",@progbits
; Kernel info:
; codeLenInByte = 22248
; NumSgprs: 57
; NumVgprs: 80
; NumAgprs: 0
; TotalNumVgprs: 80
; ScratchSize: 352
; MemoryBound: 0
; FloatMode: 240
; IeeeMode: 1
; LDSByteSize: 8192 bytes/workgroup (compile time only)
; SGPRBlocks: 7
; VGPRBlocks: 9
; NumSGPRsForWavesPerEU: 57
; NumVGPRsForWavesPerEU: 80
; AccumOffset: 80
; Occupancy: 6
; WaveLimiterHint : 1
; COMPUTE_PGM_RSRC2:SCRATCH_EN: 1
; COMPUTE_PGM_RSRC2:USER_SGPR: 8
; COMPUTE_PGM_RSRC2:TRAP_HANDLER: 0
; COMPUTE_PGM_RSRC2:TGID_X_EN: 1
; COMPUTE_PGM_RSRC2:TGID_Y_EN: 1
; COMPUTE_PGM_RSRC2:TGID_Z_EN: 1
; COMPUTE_PGM_RSRC2:TIDIG_COMP_CNT: 0
; COMPUTE_PGM_RSRC3_GFX90A:ACCUM_OFFSET: 19
; COMPUTE_PGM_RSRC3_GFX90A:TG_SPLIT: 0
	.section	.text._Z39paged_attention_ll4mi_QKV_mfma16_kernelI14__hip_bfloat16hLN4vllm18Fp8KVCacheDataTypeE1ES0_Li16ELi128ELi256ELb0ELi1EL8MFMAType0EEvPKT_PKT0_S9_ifPKiSB_SB_iPKfiiiPfSE_PS4_PT2_iSD_SD_,"axG",@progbits,_Z39paged_attention_ll4mi_QKV_mfma16_kernelI14__hip_bfloat16hLN4vllm18Fp8KVCacheDataTypeE1ES0_Li16ELi128ELi256ELb0ELi1EL8MFMAType0EEvPKT_PKT0_S9_ifPKiSB_SB_iPKfiiiPfSE_PS4_PT2_iSD_SD_,comdat
	.protected	_Z39paged_attention_ll4mi_QKV_mfma16_kernelI14__hip_bfloat16hLN4vllm18Fp8KVCacheDataTypeE1ES0_Li16ELi128ELi256ELb0ELi1EL8MFMAType0EEvPKT_PKT0_S9_ifPKiSB_SB_iPKfiiiPfSE_PS4_PT2_iSD_SD_ ; -- Begin function _Z39paged_attention_ll4mi_QKV_mfma16_kernelI14__hip_bfloat16hLN4vllm18Fp8KVCacheDataTypeE1ES0_Li16ELi128ELi256ELb0ELi1EL8MFMAType0EEvPKT_PKT0_S9_ifPKiSB_SB_iPKfiiiPfSE_PS4_PT2_iSD_SD_
	.globl	_Z39paged_attention_ll4mi_QKV_mfma16_kernelI14__hip_bfloat16hLN4vllm18Fp8KVCacheDataTypeE1ES0_Li16ELi128ELi256ELb0ELi1EL8MFMAType0EEvPKT_PKT0_S9_ifPKiSB_SB_iPKfiiiPfSE_PS4_PT2_iSD_SD_
	.p2align	8
	.type	_Z39paged_attention_ll4mi_QKV_mfma16_kernelI14__hip_bfloat16hLN4vllm18Fp8KVCacheDataTypeE1ES0_Li16ELi128ELi256ELb0ELi1EL8MFMAType0EEvPKT_PKT0_S9_ifPKiSB_SB_iPKfiiiPfSE_PS4_PT2_iSD_SD_,@function
_Z39paged_attention_ll4mi_QKV_mfma16_kernelI14__hip_bfloat16hLN4vllm18Fp8KVCacheDataTypeE1ES0_Li16ELi128ELi256ELb0ELi1EL8MFMAType0EEvPKT_PKT0_S9_ifPKiSB_SB_iPKfiiiPfSE_PS4_PT2_iSD_SD_: ; @_Z39paged_attention_ll4mi_QKV_mfma16_kernelI14__hip_bfloat16hLN4vllm18Fp8KVCacheDataTypeE1ES0_Li16ELi128ELi256ELb0ELi1EL8MFMAType0EEvPKT_PKT0_S9_ifPKiSB_SB_iPKfiiiPfSE_PS4_PT2_iSD_SD_
; %bb.0:
	s_load_dwordx2 s[6:7], s[4:5], 0x30
	s_add_u32 s0, s0, s11
	s_addc_u32 s1, s1, 0
	s_mov_b32 s11, s9
	s_mov_b64 s[12:13], 0
	s_waitcnt lgkmcnt(0)
	s_cmp_lg_u64 s[6:7], 0
	s_cselect_b64 s[16:17], -1, 0
	s_and_b64 vcc, exec, s[16:17]
	s_cbranch_vccz .LBB926_7
; %bb.1:
	s_add_i32 s14, s8, 1
	s_mov_b32 s15, 0
	s_lshl_b64 s[18:19], s[14:15], 2
	s_add_u32 s18, s6, s18
	s_mov_b32 s9, s15
	s_addc_u32 s19, s7, s19
	s_lshl_b64 s[14:15], s[8:9], 2
	s_add_u32 s14, s6, s14
	s_addc_u32 s15, s7, s15
	s_load_dword s20, s[18:19], 0x0
	s_load_dword s21, s[14:15], 0x0
	s_waitcnt lgkmcnt(0)
	s_sub_i32 s14, s20, s21
	s_cmp_eq_u32 s14, 1
	s_cselect_b64 s[14:15], -1, 0
	s_andn2_b64 vcc, exec, s[12:13]
	s_cbranch_vccnz .LBB926_3
.LBB926_2:
	s_mov_b32 s9, 0
	s_mov_b64 s[14:15], -1
.LBB926_3:
	s_andn2_b64 vcc, exec, s[14:15]
	s_cbranch_vccnz .LBB926_597
; %bb.4:
	s_load_dwordx2 s[12:13], s[4:5], 0x28
	s_lshl_b64 s[18:19], s[8:9], 2
	s_waitcnt lgkmcnt(0)
	s_add_u32 s12, s12, s18
	s_addc_u32 s13, s13, s19
	s_load_dword s33, s[12:13], 0x0
	s_lshl_b32 s20, s11, 8
	s_waitcnt lgkmcnt(0)
	s_cmp_ge_i32 s20, s33
	s_cbranch_scc1 .LBB926_597
; %bb.5:
	s_add_i32 s15, s33, 15
	s_load_dwordx2 s[12:13], s[4:5], 0x20
	s_load_dword s14, s[4:5], 0x38
	s_ashr_i32 s21, s15, 31
	v_and_b32_e32 v1, 0xcf, v0
	s_lshr_b32 s21, s21, 28
	v_add_u32_e32 v1, s20, v1
	s_add_i32 s15, s15, s21
	v_ashrrev_i32_e32 v2, 31, v1
	s_ashr_i32 s23, s15, 4
	v_lshrrev_b32_e32 v6, 28, v2
	s_add_i32 s23, s23, -1
	v_add_u32_e32 v2, v1, v6
	s_waitcnt lgkmcnt(0)
	s_mul_i32 s14, s8, s14
	s_mov_b32 s15, 0
	v_ashrrev_i32_e32 v2, 4, v2
	v_mov_b32_e32 v7, s23
	v_cmp_gt_i32_e32 vcc, s33, v1
	s_lshl_b64 s[14:15], s[14:15], 2
	v_cndmask_b32_e32 v2, v7, v2, vcc
	s_add_u32 s21, s12, s14
	v_ashrrev_i32_e32 v3, 31, v2
	s_addc_u32 s22, s13, s15
	v_lshlrev_b64 v[2:3], 2, v[2:3]
	v_mov_b32_e32 v5, s22
	v_add_co_u32_e32 v4, vcc, s21, v2
	v_or_b32_e32 v2, 16, v1
	v_addc_co_u32_e32 v5, vcc, v5, v3, vcc
	v_add_u32_e32 v3, v2, v6
	v_ashrrev_i32_e32 v3, 4, v3
	v_cmp_gt_i32_e32 vcc, s33, v2
	v_cndmask_b32_e32 v2, v7, v3, vcc
	v_ashrrev_i32_e32 v3, 31, v2
	v_lshlrev_b64 v[2:3], 2, v[2:3]
	v_mov_b32_e32 v9, s22
	v_add_co_u32_e32 v8, vcc, s21, v2
	v_or_b32_e32 v2, 32, v1
	v_addc_co_u32_e32 v9, vcc, v9, v3, vcc
	v_add_u32_e32 v3, v2, v6
	v_ashrrev_i32_e32 v3, 4, v3
	v_cmp_gt_i32_e32 vcc, s33, v2
	v_cndmask_b32_e32 v2, v7, v3, vcc
	v_ashrrev_i32_e32 v3, 31, v2
	;; [unrolled: 10-line block ×3, first 2 shown]
	v_lshlrev_b64 v[2:3], 2, v[2:3]
	v_mov_b32_e32 v1, s22
	v_add_co_u32_e32 v12, vcc, s21, v2
	v_addc_co_u32_e32 v13, vcc, v1, v3, vcc
	global_load_dword v2, v[4:5], off
	global_load_dword v6, v[8:9], off
	;; [unrolled: 1-line block ×4, first 2 shown]
	s_load_dwordx4 s[12:15], s[4:5], 0x8
	s_andn2_b64 vcc, exec, s[16:17]
	s_cbranch_vccnz .LBB926_8
; %bb.6:
	s_add_u32 s6, s6, s18
	s_addc_u32 s7, s7, s19
	s_load_dword s16, s[6:7], 0x0
	s_branch .LBB926_9
.LBB926_7:
	s_mov_b64 s[14:15], 0
	s_branch .LBB926_2
.LBB926_8:
	s_mov_b32 s16, s8
.LBB926_9:
	s_load_dwordx2 s[48:49], s[4:5], 0x68
	s_load_dwordx8 s[40:47], s[4:5], 0x48
	v_lshrrev_b32_e32 v60, 6, v0
	v_bfe_u32 v50, v0, 4, 2
	v_and_b32_e32 v51, 15, v0
	v_lshl_or_b32 v1, v60, 2, v50
	v_lshlrev_b32_e32 v3, 3, v51
	v_cmp_eq_u32_e32 vcc, 0, v1
	v_lshlrev_b32_e32 v1, 1, v3
	v_lshlrev_b32_e32 v52, 4, v0
	s_and_saveexec_b64 s[6:7], vcc
	s_cbranch_execz .LBB926_11
; %bb.10:
	s_load_dwordx2 s[18:19], s[4:5], 0x0
	s_waitcnt lgkmcnt(0)
	s_ashr_i32 s17, s40, 31
	s_mul_hi_u32 s24, s16, s40
	s_mul_i32 s17, s16, s17
	s_add_i32 s17, s24, s17
	s_mul_i32 s16, s16, s40
	s_lshl_b64 s[16:17], s[16:17], 1
	s_add_u32 s18, s18, s16
	s_addc_u32 s19, s19, s17
	s_lshl_b32 s16, s10, 7
	s_ashr_i32 s17, s16, 31
	s_lshl_b64 s[16:17], s[16:17], 1
	s_add_u32 s16, s18, s16
	s_addc_u32 s17, s19, s17
	global_load_dwordx4 v[8:11], v1, s[16:17]
	v_lshlrev_b32_e32 v3, 8, v0
	v_lshlrev_b32_e32 v4, 8, v51
	v_and_b32_e32 v3, 0x600, v3
	v_and_b32_e32 v4, 0x800, v4
	;; [unrolled: 1-line block ×3, first 2 shown]
	v_or3_b32 v3, v4, v3, v5
	s_waitcnt vmcnt(0)
	ds_write_b128 v3, v[8:11]
.LBB926_11:
	s_or_b64 exec, exec, s[6:7]
	v_and_b32_e32 v3, 48, v0
	v_or_b32_e32 v7, s20, v3
	v_ashrrev_i32_e32 v4, 4, v7
	v_mov_b32_e32 v12, s23
	v_cmp_gt_i32_e32 vcc, s33, v7
	v_cndmask_b32_e32 v4, v12, v4, vcc
	v_ashrrev_i32_e32 v5, 31, v4
	v_lshlrev_b64 v[4:5], 2, v[4:5]
	v_mov_b32_e32 v8, s22
	v_add_co_u32_e32 v4, vcc, s21, v4
	v_addc_co_u32_e32 v5, vcc, v8, v5, vcc
	v_or_b32_e32 v8, 64, v7
	v_ashrrev_i32_e32 v9, 4, v8
	v_cmp_gt_i32_e32 vcc, s33, v8
	v_cndmask_b32_e32 v8, v12, v9, vcc
	v_ashrrev_i32_e32 v9, 31, v8
	v_lshlrev_b64 v[8:9], 2, v[8:9]
	v_mov_b32_e32 v10, s22
	v_add_co_u32_e32 v8, vcc, s21, v8
	v_addc_co_u32_e32 v9, vcc, v10, v9, vcc
	v_or_b32_e32 v10, 0x80, v7
	v_ashrrev_i32_e32 v11, 4, v10
	v_cmp_gt_i32_e32 vcc, s33, v10
	v_cndmask_b32_e32 v10, v12, v11, vcc
	v_ashrrev_i32_e32 v11, 31, v10
	v_lshlrev_b64 v[10:11], 2, v[10:11]
	v_mov_b32_e32 v13, s22
	v_add_co_u32_e32 v10, vcc, s21, v10
	s_load_dwordx2 s[50:51], s[4:5], 0x94
	s_waitcnt lgkmcnt(0)
	s_barrier
	v_addc_co_u32_e32 v11, vcc, v13, v11, vcc
	global_load_dword v53, v[4:5], off
	global_load_dword v58, v[8:9], off
	;; [unrolled: 1-line block ×3, first 2 shown]
	v_or_b32_e32 v4, 0xc0, v7
	v_ashrrev_i32_e32 v5, 4, v4
	v_cmp_gt_i32_e32 vcc, s33, v4
	v_cndmask_b32_e32 v4, v12, v5, vcc
	v_ashrrev_i32_e32 v5, 31, v4
	v_lshlrev_b64 v[4:5], 2, v[4:5]
	v_mov_b32_e32 v7, s22
	v_add_co_u32_e32 v4, vcc, s21, v4
	v_addc_co_u32_e32 v5, vcc, v7, v5, vcc
	global_load_dword v62, v[4:5], off
	s_mul_i32 s16, s10, s42
	s_add_u32 s6, s12, s16
	s_addc_u32 s7, s13, 0
	v_and_b32_e32 v4, 0xf0, v52
	v_mov_b32_e32 v5, s7
	v_add_co_u32_e32 v20, vcc, s6, v4
	v_addc_co_u32_e32 v21, vcc, 0, v5, vcc
	v_lshlrev_b32_e32 v28, 4, v3
	s_waitcnt vmcnt(7)
	v_mad_i64_i32 v[2:3], s[6:7], v2, s41, v[20:21]
	v_add_co_u32_e32 v8, vcc, v2, v28
	v_addc_co_u32_e32 v9, vcc, 0, v3, vcc
	s_waitcnt vmcnt(6)
	v_mad_i64_i32 v[6:7], s[6:7], v6, s41, v[20:21]
	v_add_co_u32_e32 v22, vcc, v6, v28
	v_addc_co_u32_e32 v23, vcc, 0, v7, vcc
	global_load_dwordx4 v[10:13], v[8:9], off
	global_load_dwordx4 v[2:5], v[8:9], off offset:1024
	s_nop 0
	global_load_dwordx4 v[6:9], v[22:23], off
	global_load_dwordx4 v[14:17], v[22:23], off offset:1024
	s_waitcnt vmcnt(9)
	v_mad_i64_i32 v[22:23], s[6:7], v19, s41, v[20:21]
	v_add_co_u32_e32 v26, vcc, v22, v28
	v_addc_co_u32_e32 v27, vcc, 0, v23, vcc
	s_waitcnt vmcnt(8)
	v_mad_i64_i32 v[18:19], s[6:7], v18, s41, v[20:21]
	v_add_co_u32_e32 v34, vcc, v18, v28
	s_add_u32 s12, s14, s16
	v_lshl_or_b32 v61, v60, 4, v51
	v_addc_co_u32_e32 v35, vcc, 0, v19, vcc
	s_addc_u32 s13, s15, 0
	v_lshlrev_b32_e32 v54, 4, v61
	global_load_dwordx4 v[30:33], v[26:27], off
	global_load_dwordx4 v[22:25], v[26:27], off offset:1024
	s_nop 0
	global_load_dwordx4 v[26:29], v[34:35], off
	global_load_dwordx4 v[18:21], v[34:35], off offset:1024
	v_mov_b32_e32 v34, s13
	v_add_co_u32_e32 v42, vcc, s12, v54
	v_addc_co_u32_e32 v43, vcc, 0, v34, vcc
	v_or_b32_e32 v54, 0x400, v54
	v_mov_b32_e32 v55, s13
	v_add_co_u32_e32 v54, vcc, s12, v54
	v_addc_co_u32_e32 v55, vcc, 0, v55, vcc
	s_mov_b32 s14, 0
	s_movk_i32 s15, 0x80
	s_movk_i32 s16, 0x7f
	s_mov_b32 s17, 0xffffff
	s_mov_b32 s18, 0x5040100
	s_waitcnt vmcnt(11)
	v_mad_i64_i32 v[34:35], s[6:7], v53, s41, v[42:43]
	s_waitcnt vmcnt(10)
	v_mad_i64_i32 v[36:37], s[6:7], v58, s41, v[42:43]
	;; [unrolled: 2-line block ×3, first 2 shown]
	global_load_dwordx4 v[38:41], v[34:35], off
	s_nop 0
	global_load_dwordx4 v[34:37], v[36:37], off
	v_mad_i64_i32 v[56:57], s[6:7], v53, s41, v[54:55]
	s_waitcnt vmcnt(10)
	v_mad_i64_i32 v[42:43], s[6:7], v62, s41, v[42:43]
	global_load_dwordx4 v[46:49], v[44:45], off
	s_nop 0
	global_load_dwordx4 v[42:45], v[42:43], off
	s_nop 0
	global_load_dwordx4 v[64:67], v[56:57], off
	v_mad_i64_i32 v[56:57], s[6:7], v58, s41, v[54:55]
	global_load_dwordx4 v[68:71], v[56:57], off
	v_mad_i64_i32 v[56:57], s[6:7], v59, s41, v[54:55]
	v_mad_i64_i32 v[54:55], s[6:7], v62, s41, v[54:55]
	global_load_dwordx4 v[72:75], v[56:57], off
	global_load_dwordx4 v[76:79], v[54:55], off
	s_waitcnt vmcnt(15)
	buffer_store_dword v13, off, s[0:3], 0 offset:12
	buffer_store_dword v12, off, s[0:3], 0 offset:8
	;; [unrolled: 1-line block ×3, first 2 shown]
	buffer_store_dword v10, off, s[0:3], 0
	s_waitcnt vmcnt(18)
	buffer_store_dword v5, off, s[0:3], 0 offset:28
	buffer_store_dword v4, off, s[0:3], 0 offset:24
	;; [unrolled: 1-line block ×4, first 2 shown]
	s_waitcnt vmcnt(21)
	buffer_store_dword v9, off, s[0:3], 0 offset:44
	buffer_store_dword v8, off, s[0:3], 0 offset:40
	;; [unrolled: 1-line block ×4, first 2 shown]
	s_load_dword s6, s[4:5], 0x1c
	s_load_dwordx4 s[40:43], s[4:5], 0x80
	v_mov_b32_e32 v2, 0x80
	s_waitcnt vmcnt(24)
	buffer_store_dword v17, off, s[0:3], 0 offset:60
	buffer_store_dword v16, off, s[0:3], 0 offset:56
	;; [unrolled: 1-line block ×4, first 2 shown]
	s_waitcnt vmcnt(27)
	buffer_store_dword v33, off, s[0:3], 0 offset:76
	buffer_store_dword v32, off, s[0:3], 0 offset:72
	;; [unrolled: 1-line block ×4, first 2 shown]
	v_lshlrev_b32_e32 v14, 9, v50
	v_add_u32_e32 v53, 16, v2
	v_add_u32_e32 v59, 32, v2
	;; [unrolled: 1-line block ×7, first 2 shown]
	ds_read_b128 v[2:5], v14
	ds_read_b128 v[6:9], v14 offset:16
	ds_read_b128 v[10:13], v14 offset:2048
	;; [unrolled: 1-line block ×3, first 2 shown]
	s_waitcnt vmcnt(30)
	buffer_store_dword v25, off, s[0:3], 0 offset:92
	buffer_store_dword v24, off, s[0:3], 0 offset:88
	buffer_store_dword v23, off, s[0:3], 0 offset:84
	buffer_store_dword v22, off, s[0:3], 0 offset:80
	s_waitcnt vmcnt(33)
	buffer_store_dword v29, off, s[0:3], 0 offset:108
	buffer_store_dword v28, off, s[0:3], 0 offset:104
	buffer_store_dword v27, off, s[0:3], 0 offset:100
	buffer_store_dword v26, off, s[0:3], 0 offset:96
	;; [unrolled: 5-line block ×3, first 2 shown]
	s_waitcnt lgkmcnt(0)
	v_mov_b32_e32 v18, s6
	v_and_b32_e32 v62, 63, v0
	v_mov_b32_e32 v27, 0
	v_mov_b32_e32 v29, 0x100
	;; [unrolled: 1-line block ×3, first 2 shown]
	s_waitcnt vmcnt(39)
	buffer_store_dword v41, off, s[0:3], 0 offset:140
	buffer_store_dword v40, off, s[0:3], 0 offset:136
	buffer_store_dword v39, off, s[0:3], 0 offset:132
	buffer_store_dword v38, off, s[0:3], 0 offset:128
	s_waitcnt vmcnt(42)
	buffer_store_dword v37, off, s[0:3], 0 offset:172
	buffer_store_dword v36, off, s[0:3], 0 offset:168
	buffer_store_dword v35, off, s[0:3], 0 offset:164
	buffer_store_dword v34, off, s[0:3], 0 offset:160
	;; [unrolled: 5-line block ×7, first 2 shown]
	s_waitcnt vmcnt(60)
	buffer_store_dword v79, off, s[0:3], 0 offset:252
	s_load_dword s4, s[40:41], 0x0
	v_bfrev_b32_e32 v33, 60
	buffer_store_dword v78, off, s[0:3], 0 offset:248
	buffer_store_dword v77, off, s[0:3], 0 offset:244
	;; [unrolled: 1-line block ×3, first 2 shown]
	s_waitcnt lgkmcnt(0)
	v_mul_f32_e32 v22, s4, v18
	v_mov_b32_e32 v24, v22
	v_mov_b32_e32 v25, v22
	s_branch .LBB926_15
.LBB926_12:                             ;   in Loop: Header=BB926_15 Depth=1
	s_or_b64 exec, exec, s[12:13]
.LBB926_13:                             ;   in Loop: Header=BB926_15 Depth=1
	s_or_b64 exec, exec, s[6:7]
.LBB926_14:                             ;   in Loop: Header=BB926_15 Depth=1
	s_or_b64 exec, exec, s[4:5]
	v_perm_b32 v41, v36, v32, s18
	v_perm_b32 v40, v23, v34, s18
	;; [unrolled: 1-line block ×4, first 2 shown]
	v_add_u32_e32 v26, s14, v29
	v_mfma_f32_16x16x16bf16_1k v[18:21], v[40:41], v[14:15], v[18:21]
	s_add_i32 s14, s14, 16
	v_mov_b32_e32 v23, v22
	s_cmp_eq_u32 s14, 64
	v_add_u32_e32 v27, 32, v27
	v_mfma_f32_16x16x16bf16_1k v[18:21], v[36:37], v[16:17], v[18:21]
	s_nop 7
	s_nop 2
	v_pk_mul_f32 v[18:19], v[24:25], v[18:19]
	v_pk_mul_f32 v[20:21], v[22:23], v[20:21]
	buffer_store_dword v19, v26, s[0:3], 0 offen offset:4
	buffer_store_dword v18, v26, s[0:3], 0 offen
	buffer_store_dword v21, v26, s[0:3], 0 offen offset:12
	buffer_store_dword v20, v26, s[0:3], 0 offen offset:8
	s_cbranch_scc1 .LBB926_205
.LBB926_15:                             ; =>This Inner Loop Header: Depth=1
	buffer_load_dword v20, v27, s[0:3], 0 offen
	buffer_load_dword v18, v27, s[0:3], 0 offen offset:4
	buffer_load_dword v28, v27, s[0:3], 0 offen offset:8
	;; [unrolled: 1-line block ×3, first 2 shown]
	v_mov_b32_e32 v19, 0
	s_waitcnt vmcnt(3)
	v_cmp_ne_u16_sdwa s[6:7], v20, v31 src0_sel:BYTE_0 src1_sel:DWORD
	s_and_saveexec_b64 s[4:5], s[6:7]
	s_cbranch_execz .LBB926_21
; %bb.16:                               ;   in Loop: Header=BB926_15 Depth=1
	v_cmp_ne_u16_sdwa s[12:13], v20, s15 src0_sel:BYTE_0 src1_sel:DWORD
	v_mov_b32_e32 v19, 0xffff8000
	s_and_saveexec_b64 s[6:7], s[12:13]
	s_cbranch_execz .LBB926_20
; %bb.17:                               ;   in Loop: Header=BB926_15 Depth=1
	v_and_b32_e32 v21, 0x7f, v20
	v_cmp_ne_u32_e32 vcc, s16, v21
	v_mov_b32_e32 v19, 0x7f80
	s_and_saveexec_b64 s[12:13], vcc
	s_cbranch_execz .LBB926_19
; %bb.18:                               ;   in Loop: Header=BB926_15 Depth=1
	v_and_b32_e32 v19, 7, v20
	v_ffbh_u32_e32 v30, v19
	v_min_u32_e32 v30, 32, v30
	v_subrev_u32_e32 v32, 28, v30
	v_lshlrev_b64 v[34:35], v32, v[20:21]
	v_lshrrev_b32_e32 v23, 3, v21
	v_sub_u32_e32 v30, 29, v30
	v_and_b32_e32 v32, 7, v34
	v_cmp_gt_u32_e32 vcc, 8, v21
	v_cndmask_b32_e32 v21, v23, v30, vcc
	v_cndmask_b32_e32 v19, v19, v32, vcc
	v_lshlrev_b32_e32 v23, 24, v20
	v_lshlrev_b32_e32 v19, 20, v19
	v_and_b32_e32 v23, 0x80000000, v23
	v_lshl_add_u32 v21, v21, 23, v33
	v_or3_b32 v19, v23, v21, v19
	v_lshrrev_b32_e32 v19, 16, v19
.LBB926_19:                             ;   in Loop: Header=BB926_15 Depth=1
	s_or_b64 exec, exec, s[12:13]
.LBB926_20:                             ;   in Loop: Header=BB926_15 Depth=1
	s_or_b64 exec, exec, s[6:7]
.LBB926_21:                             ;   in Loop: Header=BB926_15 Depth=1
	s_or_b64 exec, exec, s[4:5]
	v_lshrrev_b16_e32 v30, 8, v20
	v_cmp_ne_u16_e32 vcc, 0, v30
	v_mov_b32_e32 v23, 0
	v_mov_b32_e32 v21, 0
	s_and_saveexec_b64 s[4:5], vcc
	s_cbranch_execz .LBB926_27
; %bb.22:                               ;   in Loop: Header=BB926_15 Depth=1
	v_cmp_ne_u16_e32 vcc, s15, v30
	v_mov_b32_e32 v21, 0xffff8000
	s_and_saveexec_b64 s[6:7], vcc
	s_cbranch_execz .LBB926_26
; %bb.23:                               ;   in Loop: Header=BB926_15 Depth=1
	v_and_b32_e32 v32, 0x7f, v30
	v_cmp_ne_u32_e32 vcc, s16, v32
	v_mov_b32_e32 v21, 0x7f80
	s_and_saveexec_b64 s[12:13], vcc
	s_cbranch_execz .LBB926_25
; %bb.24:                               ;   in Loop: Header=BB926_15 Depth=1
	v_and_b32_e32 v21, 7, v30
	v_ffbh_u32_e32 v34, v21
	v_min_u32_e32 v37, 32, v34
	v_subrev_u32_e32 v34, 28, v37
	v_lshlrev_b64 v[34:35], v34, v[30:31]
	v_lshrrev_b32_e32 v36, 3, v32
	v_sub_u32_e32 v30, 29, v37
	v_and_b32_e32 v34, 7, v34
	v_cmp_gt_u32_e32 vcc, 8, v32
	v_cndmask_b32_e32 v30, v36, v30, vcc
	v_cndmask_b32_e32 v21, v21, v34, vcc
	v_lshlrev_b32_e32 v32, 16, v20
	v_lshlrev_b32_e32 v21, 20, v21
	v_and_b32_e32 v32, 0x80000000, v32
	v_lshl_add_u32 v30, v30, 23, v33
	v_or3_b32 v21, v32, v30, v21
	v_lshrrev_b32_e32 v21, 16, v21
.LBB926_25:                             ;   in Loop: Header=BB926_15 Depth=1
	s_or_b64 exec, exec, s[12:13]
.LBB926_26:                             ;   in Loop: Header=BB926_15 Depth=1
	s_or_b64 exec, exec, s[6:7]
.LBB926_27:                             ;   in Loop: Header=BB926_15 Depth=1
	s_or_b64 exec, exec, s[4:5]
	v_lshrrev_b32_e32 v30, 16, v20
	v_cmp_ne_u16_sdwa s[6:7], v30, v31 src0_sel:BYTE_0 src1_sel:DWORD
	s_and_saveexec_b64 s[4:5], s[6:7]
	s_cbranch_execz .LBB926_33
; %bb.28:                               ;   in Loop: Header=BB926_15 Depth=1
	v_cmp_ne_u16_sdwa s[12:13], v30, s15 src0_sel:BYTE_0 src1_sel:DWORD
	v_mov_b32_e32 v23, 0xffff8000
	s_and_saveexec_b64 s[6:7], s[12:13]
	s_cbranch_execz .LBB926_32
; %bb.29:                               ;   in Loop: Header=BB926_15 Depth=1
	v_bfe_u32 v32, v20, 16, 7
	v_cmp_ne_u32_e32 vcc, s16, v32
	v_mov_b32_e32 v23, 0x7f80
	s_and_saveexec_b64 s[12:13], vcc
	s_cbranch_execz .LBB926_31
; %bb.30:                               ;   in Loop: Header=BB926_15 Depth=1
	v_and_b32_e32 v23, 7, v30
	v_ffbh_u32_e32 v34, v23
	v_min_u32_e32 v37, 32, v34
	v_subrev_u32_e32 v34, 28, v37
	v_lshlrev_b64 v[34:35], v34, v[30:31]
	v_lshrrev_b32_e32 v36, 3, v32
	v_sub_u32_e32 v35, 29, v37
	v_and_b32_e32 v34, 7, v34
	v_cmp_gt_u32_e32 vcc, 8, v32
	v_cndmask_b32_e32 v32, v36, v35, vcc
	v_cndmask_b32_e32 v23, v23, v34, vcc
	v_lshlrev_b32_e32 v30, 24, v30
	v_lshlrev_b32_e32 v23, 20, v23
	v_and_b32_e32 v30, 0x80000000, v30
	v_lshl_add_u32 v32, v32, 23, v33
	v_or3_b32 v23, v30, v32, v23
	v_lshrrev_b32_e32 v23, 16, v23
.LBB926_31:                             ;   in Loop: Header=BB926_15 Depth=1
	s_or_b64 exec, exec, s[12:13]
.LBB926_32:                             ;   in Loop: Header=BB926_15 Depth=1
	s_or_b64 exec, exec, s[6:7]
.LBB926_33:                             ;   in Loop: Header=BB926_15 Depth=1
	s_or_b64 exec, exec, s[4:5]
	v_cmp_lt_u32_e32 vcc, s17, v20
	v_mov_b32_e32 v34, 0
	v_mov_b32_e32 v35, 0
	s_and_saveexec_b64 s[4:5], vcc
	s_cbranch_execz .LBB926_39
; %bb.34:                               ;   in Loop: Header=BB926_15 Depth=1
	v_lshrrev_b32_e32 v30, 24, v20
	v_cmp_ne_u32_e32 vcc, s15, v30
	v_mov_b32_e32 v35, 0xffff8000
	s_and_saveexec_b64 s[6:7], vcc
	s_cbranch_execz .LBB926_38
; %bb.35:                               ;   in Loop: Header=BB926_15 Depth=1
	v_bfe_u32 v20, v20, 24, 7
	v_cmp_ne_u32_e32 vcc, s16, v20
	v_mov_b32_e32 v35, 0x7f80
	s_and_saveexec_b64 s[12:13], vcc
	s_cbranch_execz .LBB926_37
; %bb.36:                               ;   in Loop: Header=BB926_15 Depth=1
	v_and_b32_e32 v32, 7, v30
	v_ffbh_u32_e32 v36, v32
	v_min_u32_e32 v38, 32, v36
	v_subrev_u32_e32 v36, 28, v38
	v_lshlrev_b64 v[36:37], v36, v[30:31]
	v_lshrrev_b32_e32 v35, 3, v20
	v_sub_u32_e32 v37, 29, v38
	v_and_b32_e32 v36, 7, v36
	v_cmp_gt_u32_e32 vcc, 8, v20
	v_cndmask_b32_e32 v20, v35, v37, vcc
	v_cndmask_b32_e32 v32, v32, v36, vcc
	v_lshlrev_b32_e32 v30, 24, v30
	v_lshlrev_b32_e32 v32, 20, v32
	v_and_b32_e32 v30, 0x80000000, v30
	v_lshl_add_u32 v20, v20, 23, v33
	v_or3_b32 v20, v30, v20, v32
	v_lshrrev_b32_e32 v35, 16, v20
.LBB926_37:                             ;   in Loop: Header=BB926_15 Depth=1
	s_or_b64 exec, exec, s[12:13]
.LBB926_38:                             ;   in Loop: Header=BB926_15 Depth=1
	s_or_b64 exec, exec, s[6:7]
.LBB926_39:                             ;   in Loop: Header=BB926_15 Depth=1
	s_or_b64 exec, exec, s[4:5]
	s_waitcnt vmcnt(2)
	v_cmp_ne_u16_sdwa s[6:7], v18, v31 src0_sel:BYTE_0 src1_sel:DWORD
	s_and_saveexec_b64 s[4:5], s[6:7]
	s_cbranch_execz .LBB926_45
; %bb.40:                               ;   in Loop: Header=BB926_15 Depth=1
	v_cmp_ne_u16_sdwa s[12:13], v18, s15 src0_sel:BYTE_0 src1_sel:DWORD
	v_mov_b32_e32 v34, 0xffff8000
	s_and_saveexec_b64 s[6:7], s[12:13]
	s_cbranch_execz .LBB926_44
; %bb.41:                               ;   in Loop: Header=BB926_15 Depth=1
	v_and_b32_e32 v20, 0x7f, v18
	v_cmp_ne_u32_e32 vcc, s16, v20
	v_mov_b32_e32 v34, 0x7f80
	s_and_saveexec_b64 s[12:13], vcc
	s_cbranch_execz .LBB926_43
; %bb.42:                               ;   in Loop: Header=BB926_15 Depth=1
	v_and_b32_e32 v30, 7, v18
	v_ffbh_u32_e32 v34, v30
	v_min_u32_e32 v34, 32, v34
	v_subrev_u32_e32 v36, 28, v34
	v_lshlrev_b64 v[36:37], v36, v[18:19]
	v_lshrrev_b32_e32 v32, 3, v20
	v_sub_u32_e32 v34, 29, v34
	v_and_b32_e32 v36, 7, v36
	v_cmp_gt_u32_e32 vcc, 8, v20
	v_cndmask_b32_e32 v20, v32, v34, vcc
	v_cndmask_b32_e32 v30, v30, v36, vcc
	v_lshlrev_b32_e32 v32, 24, v18
	v_lshlrev_b32_e32 v30, 20, v30
	v_and_b32_e32 v32, 0x80000000, v32
	v_lshl_add_u32 v20, v20, 23, v33
	v_or3_b32 v20, v32, v20, v30
	v_lshrrev_b32_e32 v34, 16, v20
.LBB926_43:                             ;   in Loop: Header=BB926_15 Depth=1
	s_or_b64 exec, exec, s[12:13]
.LBB926_44:                             ;   in Loop: Header=BB926_15 Depth=1
	s_or_b64 exec, exec, s[6:7]
.LBB926_45:                             ;   in Loop: Header=BB926_15 Depth=1
	s_or_b64 exec, exec, s[4:5]
	v_lshrrev_b16_e32 v20, 8, v18
	v_cmp_ne_u16_e32 vcc, 0, v20
	v_mov_b32_e32 v36, 0
	v_mov_b32_e32 v30, 0
	s_and_saveexec_b64 s[4:5], vcc
	s_cbranch_execz .LBB926_51
; %bb.46:                               ;   in Loop: Header=BB926_15 Depth=1
	v_cmp_ne_u16_e32 vcc, s15, v20
	v_mov_b32_e32 v30, 0xffff8000
	s_and_saveexec_b64 s[6:7], vcc
	s_cbranch_execz .LBB926_50
; %bb.47:                               ;   in Loop: Header=BB926_15 Depth=1
	v_and_b32_e32 v32, 0x7f, v20
	v_cmp_ne_u32_e32 vcc, s16, v32
	v_mov_b32_e32 v30, 0x7f80
	s_and_saveexec_b64 s[12:13], vcc
	s_cbranch_execz .LBB926_49
; %bb.48:                               ;   in Loop: Header=BB926_15 Depth=1
	v_and_b32_e32 v30, 7, v20
	v_ffbh_u32_e32 v38, v30
	v_min_u32_e32 v40, 32, v38
	v_subrev_u32_e32 v38, 28, v40
	v_lshlrev_b64 v[38:39], v38, v[20:21]
	v_lshrrev_b32_e32 v37, 3, v32
	v_sub_u32_e32 v20, 29, v40
	v_and_b32_e32 v38, 7, v38
	v_cmp_gt_u32_e32 vcc, 8, v32
	v_cndmask_b32_e32 v20, v37, v20, vcc
	v_cndmask_b32_e32 v30, v30, v38, vcc
	v_lshlrev_b32_e32 v32, 16, v18
	v_lshlrev_b32_e32 v30, 20, v30
	v_and_b32_e32 v32, 0x80000000, v32
	v_lshl_add_u32 v20, v20, 23, v33
	v_or3_b32 v20, v32, v20, v30
	v_lshrrev_b32_e32 v30, 16, v20
.LBB926_49:                             ;   in Loop: Header=BB926_15 Depth=1
	s_or_b64 exec, exec, s[12:13]
.LBB926_50:                             ;   in Loop: Header=BB926_15 Depth=1
	s_or_b64 exec, exec, s[6:7]
.LBB926_51:                             ;   in Loop: Header=BB926_15 Depth=1
	s_or_b64 exec, exec, s[4:5]
	v_lshrrev_b32_e32 v20, 16, v18
	v_cmp_ne_u16_sdwa s[6:7], v20, v31 src0_sel:BYTE_0 src1_sel:DWORD
	s_and_saveexec_b64 s[4:5], s[6:7]
	s_cbranch_execz .LBB926_57
; %bb.52:                               ;   in Loop: Header=BB926_15 Depth=1
	v_cmp_ne_u16_sdwa s[12:13], v20, s15 src0_sel:BYTE_0 src1_sel:DWORD
	v_mov_b32_e32 v36, 0xffff8000
	s_and_saveexec_b64 s[6:7], s[12:13]
	s_cbranch_execz .LBB926_56
; %bb.53:                               ;   in Loop: Header=BB926_15 Depth=1
	v_bfe_u32 v32, v18, 16, 7
	v_cmp_ne_u32_e32 vcc, s16, v32
	v_mov_b32_e32 v36, 0x7f80
	s_and_saveexec_b64 s[12:13], vcc
	s_cbranch_execz .LBB926_55
; %bb.54:                               ;   in Loop: Header=BB926_15 Depth=1
	v_and_b32_e32 v38, 7, v20
	v_ffbh_u32_e32 v36, v38
	v_min_u32_e32 v40, 32, v36
	v_subrev_u32_e32 v36, 28, v40
	v_lshlrev_b64 v[36:37], v36, v[20:21]
	v_lshrrev_b32_e32 v39, 3, v32
	v_sub_u32_e32 v37, 29, v40
	v_and_b32_e32 v36, 7, v36
	v_cmp_gt_u32_e32 vcc, 8, v32
	v_cndmask_b32_e32 v32, v39, v37, vcc
	v_cndmask_b32_e32 v36, v38, v36, vcc
	v_lshlrev_b32_e32 v20, 24, v20
	v_lshlrev_b32_e32 v36, 20, v36
	v_and_b32_e32 v20, 0x80000000, v20
	v_lshl_add_u32 v32, v32, 23, v33
	v_or3_b32 v20, v20, v32, v36
	v_lshrrev_b32_e32 v36, 16, v20
.LBB926_55:                             ;   in Loop: Header=BB926_15 Depth=1
	s_or_b64 exec, exec, s[12:13]
.LBB926_56:                             ;   in Loop: Header=BB926_15 Depth=1
	s_or_b64 exec, exec, s[6:7]
.LBB926_57:                             ;   in Loop: Header=BB926_15 Depth=1
	s_or_b64 exec, exec, s[4:5]
	v_cmp_lt_u32_e32 vcc, s17, v18
	v_mov_b32_e32 v32, 0
	v_mov_b32_e32 v37, 0
	s_and_saveexec_b64 s[4:5], vcc
	s_cbranch_execz .LBB926_63
; %bb.58:                               ;   in Loop: Header=BB926_15 Depth=1
	v_lshrrev_b32_e32 v20, 24, v18
	v_cmp_ne_u32_e32 vcc, s15, v20
	v_mov_b32_e32 v37, 0xffff8000
	s_and_saveexec_b64 s[6:7], vcc
	s_cbranch_execz .LBB926_62
; %bb.59:                               ;   in Loop: Header=BB926_15 Depth=1
	v_bfe_u32 v18, v18, 24, 7
	v_cmp_ne_u32_e32 vcc, s16, v18
	v_mov_b32_e32 v37, 0x7f80
	s_and_saveexec_b64 s[12:13], vcc
	s_cbranch_execz .LBB926_61
; %bb.60:                               ;   in Loop: Header=BB926_15 Depth=1
	v_and_b32_e32 v37, 7, v20
	v_ffbh_u32_e32 v38, v37
	v_min_u32_e32 v41, 32, v38
	v_subrev_u32_e32 v38, 28, v41
	v_lshlrev_b64 v[38:39], v38, v[20:21]
	v_lshrrev_b32_e32 v40, 3, v18
	v_sub_u32_e32 v39, 29, v41
	v_and_b32_e32 v38, 7, v38
	v_cmp_gt_u32_e32 vcc, 8, v18
	v_cndmask_b32_e32 v18, v40, v39, vcc
	v_cndmask_b32_e32 v37, v37, v38, vcc
	v_lshlrev_b32_e32 v20, 24, v20
	v_lshlrev_b32_e32 v37, 20, v37
	v_and_b32_e32 v20, 0x80000000, v20
	v_lshl_add_u32 v18, v18, 23, v33
	v_or3_b32 v18, v20, v18, v37
	v_lshrrev_b32_e32 v37, 16, v18
.LBB926_61:                             ;   in Loop: Header=BB926_15 Depth=1
	s_or_b64 exec, exec, s[12:13]
.LBB926_62:                             ;   in Loop: Header=BB926_15 Depth=1
	s_or_b64 exec, exec, s[6:7]
.LBB926_63:                             ;   in Loop: Header=BB926_15 Depth=1
	s_or_b64 exec, exec, s[4:5]
	v_perm_b32 v39, v35, v23, s18
	v_perm_b32 v38, v21, v19, s18
	;; [unrolled: 1-line block ×4, first 2 shown]
	s_waitcnt vmcnt(1)
	v_cmp_ne_u16_sdwa s[6:7], v28, v31 src0_sel:BYTE_0 src1_sel:DWORD
	v_mfma_f32_16x16x16bf16_1k v[18:21], v[38:39], v[2:3], 0
	v_mfma_f32_16x16x16bf16_1k v[18:21], v[34:35], v[4:5], v[18:21]
	s_and_saveexec_b64 s[4:5], s[6:7]
	s_cbranch_execz .LBB926_69
; %bb.64:                               ;   in Loop: Header=BB926_15 Depth=1
	v_cmp_ne_u16_sdwa s[12:13], v28, s15 src0_sel:BYTE_0 src1_sel:DWORD
	v_mov_b32_e32 v32, 0xffff8000
	s_and_saveexec_b64 s[6:7], s[12:13]
	s_cbranch_execz .LBB926_68
; %bb.65:                               ;   in Loop: Header=BB926_15 Depth=1
	v_and_b32_e32 v23, 0x7f, v28
	v_cmp_ne_u32_e32 vcc, s16, v23
	v_mov_b32_e32 v32, 0x7f80
	s_and_saveexec_b64 s[12:13], vcc
	s_cbranch_execz .LBB926_67
; %bb.66:                               ;   in Loop: Header=BB926_15 Depth=1
	v_and_b32_e32 v30, 7, v28
	v_ffbh_u32_e32 v34, v30
	v_min_u32_e32 v36, 32, v34
	v_subrev_u32_e32 v34, 28, v36
	v_lshlrev_b64 v[34:35], v34, v[28:29]
	v_lshrrev_b32_e32 v32, 3, v23
	v_sub_u32_e32 v35, 29, v36
	v_and_b32_e32 v34, 7, v34
	v_cmp_gt_u32_e32 vcc, 8, v23
	v_cndmask_b32_e32 v23, v32, v35, vcc
	v_cndmask_b32_e32 v30, v30, v34, vcc
	v_lshlrev_b32_e32 v32, 24, v28
	v_lshlrev_b32_e32 v30, 20, v30
	v_and_b32_e32 v32, 0x80000000, v32
	v_lshl_add_u32 v23, v23, 23, v33
	v_or3_b32 v23, v32, v23, v30
	v_lshrrev_b32_e32 v32, 16, v23
.LBB926_67:                             ;   in Loop: Header=BB926_15 Depth=1
	s_or_b64 exec, exec, s[12:13]
.LBB926_68:                             ;   in Loop: Header=BB926_15 Depth=1
	s_or_b64 exec, exec, s[6:7]
.LBB926_69:                             ;   in Loop: Header=BB926_15 Depth=1
	s_or_b64 exec, exec, s[4:5]
	v_lshrrev_b16_e32 v30, 8, v28
	v_cmp_ne_u16_e32 vcc, 0, v30
	v_mov_b32_e32 v35, 0
	v_mov_b32_e32 v34, 0
	s_and_saveexec_b64 s[4:5], vcc
	s_cbranch_execz .LBB926_75
; %bb.70:                               ;   in Loop: Header=BB926_15 Depth=1
	v_cmp_ne_u16_e32 vcc, s15, v30
	v_mov_b32_e32 v34, 0xffff8000
	s_and_saveexec_b64 s[6:7], vcc
	s_cbranch_execz .LBB926_74
; %bb.71:                               ;   in Loop: Header=BB926_15 Depth=1
	v_and_b32_e32 v23, 0x7f, v30
	v_cmp_ne_u32_e32 vcc, s16, v23
	v_mov_b32_e32 v34, 0x7f80
	s_and_saveexec_b64 s[12:13], vcc
	s_cbranch_execz .LBB926_73
; %bb.72:                               ;   in Loop: Header=BB926_15 Depth=1
	v_and_b32_e32 v34, 7, v30
	v_ffbh_u32_e32 v36, v34
	v_min_u32_e32 v39, 32, v36
	v_subrev_u32_e32 v36, 28, v39
	v_lshlrev_b64 v[36:37], v36, v[30:31]
	v_lshrrev_b32_e32 v38, 3, v23
	v_sub_u32_e32 v30, 29, v39
	v_and_b32_e32 v36, 7, v36
	v_cmp_gt_u32_e32 vcc, 8, v23
	v_cndmask_b32_e32 v23, v38, v30, vcc
	v_cndmask_b32_e32 v30, v34, v36, vcc
	v_lshlrev_b32_e32 v34, 16, v28
	v_lshlrev_b32_e32 v30, 20, v30
	v_and_b32_e32 v34, 0x80000000, v34
	v_lshl_add_u32 v23, v23, 23, v33
	v_or3_b32 v23, v34, v23, v30
	v_lshrrev_b32_e32 v34, 16, v23
.LBB926_73:                             ;   in Loop: Header=BB926_15 Depth=1
	s_or_b64 exec, exec, s[12:13]
.LBB926_74:                             ;   in Loop: Header=BB926_15 Depth=1
	s_or_b64 exec, exec, s[6:7]
.LBB926_75:                             ;   in Loop: Header=BB926_15 Depth=1
	s_or_b64 exec, exec, s[4:5]
	v_lshrrev_b32_e32 v30, 16, v28
	v_cmp_ne_u16_sdwa s[6:7], v30, v31 src0_sel:BYTE_0 src1_sel:DWORD
	s_and_saveexec_b64 s[4:5], s[6:7]
	s_cbranch_execz .LBB926_81
; %bb.76:                               ;   in Loop: Header=BB926_15 Depth=1
	v_cmp_ne_u16_sdwa s[12:13], v30, s15 src0_sel:BYTE_0 src1_sel:DWORD
	v_mov_b32_e32 v35, 0xffff8000
	s_and_saveexec_b64 s[6:7], s[12:13]
	s_cbranch_execz .LBB926_80
; %bb.77:                               ;   in Loop: Header=BB926_15 Depth=1
	v_bfe_u32 v23, v28, 16, 7
	v_cmp_ne_u32_e32 vcc, s16, v23
	v_mov_b32_e32 v35, 0x7f80
	s_and_saveexec_b64 s[12:13], vcc
	s_cbranch_execz .LBB926_79
; %bb.78:                               ;   in Loop: Header=BB926_15 Depth=1
	v_and_b32_e32 v35, 7, v30
	v_ffbh_u32_e32 v36, v35
	v_min_u32_e32 v39, 32, v36
	v_subrev_u32_e32 v36, 28, v39
	v_lshlrev_b64 v[36:37], v36, v[30:31]
	v_lshrrev_b32_e32 v38, 3, v23
	v_sub_u32_e32 v37, 29, v39
	v_and_b32_e32 v36, 7, v36
	v_cmp_gt_u32_e32 vcc, 8, v23
	v_cndmask_b32_e32 v23, v38, v37, vcc
	v_cndmask_b32_e32 v35, v35, v36, vcc
	v_lshlrev_b32_e32 v30, 24, v30
	v_lshlrev_b32_e32 v35, 20, v35
	v_and_b32_e32 v30, 0x80000000, v30
	v_lshl_add_u32 v23, v23, 23, v33
	v_or3_b32 v23, v30, v23, v35
	v_lshrrev_b32_e32 v35, 16, v23
.LBB926_79:                             ;   in Loop: Header=BB926_15 Depth=1
	s_or_b64 exec, exec, s[12:13]
.LBB926_80:                             ;   in Loop: Header=BB926_15 Depth=1
	s_or_b64 exec, exec, s[6:7]
.LBB926_81:                             ;   in Loop: Header=BB926_15 Depth=1
	s_or_b64 exec, exec, s[4:5]
	v_cmp_lt_u32_e32 vcc, s17, v28
	v_mov_b32_e32 v36, 0
	v_mov_b32_e32 v37, 0
	s_and_saveexec_b64 s[4:5], vcc
	s_cbranch_execz .LBB926_87
; %bb.82:                               ;   in Loop: Header=BB926_15 Depth=1
	v_lshrrev_b32_e32 v30, 24, v28
	v_cmp_ne_u32_e32 vcc, s15, v30
	v_mov_b32_e32 v37, 0xffff8000
	s_and_saveexec_b64 s[6:7], vcc
	s_cbranch_execz .LBB926_86
; %bb.83:                               ;   in Loop: Header=BB926_15 Depth=1
	v_bfe_u32 v23, v28, 24, 7
	v_cmp_ne_u32_e32 vcc, s16, v23
	v_mov_b32_e32 v37, 0x7f80
	s_and_saveexec_b64 s[12:13], vcc
	s_cbranch_execz .LBB926_85
; %bb.84:                               ;   in Loop: Header=BB926_15 Depth=1
	v_and_b32_e32 v28, 7, v30
	v_ffbh_u32_e32 v38, v28
	v_min_u32_e32 v40, 32, v38
	v_subrev_u32_e32 v38, 28, v40
	v_lshlrev_b64 v[38:39], v38, v[30:31]
	v_lshrrev_b32_e32 v37, 3, v23
	v_sub_u32_e32 v39, 29, v40
	v_and_b32_e32 v38, 7, v38
	v_cmp_gt_u32_e32 vcc, 8, v23
	v_cndmask_b32_e32 v23, v37, v39, vcc
	v_cndmask_b32_e32 v28, v28, v38, vcc
	v_lshlrev_b32_e32 v30, 24, v30
	v_lshlrev_b32_e32 v28, 20, v28
	v_and_b32_e32 v30, 0x80000000, v30
	v_lshl_add_u32 v23, v23, 23, v33
	v_or3_b32 v23, v30, v23, v28
	v_lshrrev_b32_e32 v37, 16, v23
.LBB926_85:                             ;   in Loop: Header=BB926_15 Depth=1
	s_or_b64 exec, exec, s[12:13]
.LBB926_86:                             ;   in Loop: Header=BB926_15 Depth=1
	s_or_b64 exec, exec, s[6:7]
.LBB926_87:                             ;   in Loop: Header=BB926_15 Depth=1
	s_or_b64 exec, exec, s[4:5]
	s_waitcnt vmcnt(0)
	v_cmp_ne_u16_sdwa s[6:7], v26, v31 src0_sel:BYTE_0 src1_sel:DWORD
	s_and_saveexec_b64 s[4:5], s[6:7]
	s_cbranch_execz .LBB926_93
; %bb.88:                               ;   in Loop: Header=BB926_15 Depth=1
	v_cmp_ne_u16_sdwa s[12:13], v26, s15 src0_sel:BYTE_0 src1_sel:DWORD
	v_mov_b32_e32 v36, 0xffff8000
	s_and_saveexec_b64 s[6:7], s[12:13]
	s_cbranch_execz .LBB926_92
; %bb.89:                               ;   in Loop: Header=BB926_15 Depth=1
	v_and_b32_e32 v23, 0x7f, v26
	v_cmp_ne_u32_e32 vcc, s16, v23
	v_mov_b32_e32 v36, 0x7f80
	s_and_saveexec_b64 s[12:13], vcc
	s_cbranch_execz .LBB926_91
; %bb.90:                               ;   in Loop: Header=BB926_15 Depth=1
	v_and_b32_e32 v28, 7, v26
	v_ffbh_u32_e32 v36, v28
	v_min_u32_e32 v36, 32, v36
	v_subrev_u32_e32 v38, 28, v36
	v_lshlrev_b64 v[38:39], v38, v[26:27]
	v_lshrrev_b32_e32 v30, 3, v23
	v_sub_u32_e32 v36, 29, v36
	v_and_b32_e32 v38, 7, v38
	v_cmp_gt_u32_e32 vcc, 8, v23
	v_cndmask_b32_e32 v23, v30, v36, vcc
	v_cndmask_b32_e32 v28, v28, v38, vcc
	v_lshlrev_b32_e32 v30, 24, v26
	v_lshlrev_b32_e32 v28, 20, v28
	v_and_b32_e32 v30, 0x80000000, v30
	v_lshl_add_u32 v23, v23, 23, v33
	v_or3_b32 v23, v30, v23, v28
	v_lshrrev_b32_e32 v36, 16, v23
.LBB926_91:                             ;   in Loop: Header=BB926_15 Depth=1
	s_or_b64 exec, exec, s[12:13]
.LBB926_92:                             ;   in Loop: Header=BB926_15 Depth=1
	s_or_b64 exec, exec, s[6:7]
.LBB926_93:                             ;   in Loop: Header=BB926_15 Depth=1
	s_or_b64 exec, exec, s[4:5]
	v_lshrrev_b16_e32 v28, 8, v26
	v_cmp_ne_u16_e32 vcc, 0, v28
	v_mov_b32_e32 v39, 0
	v_mov_b32_e32 v38, 0
	s_and_saveexec_b64 s[4:5], vcc
	s_cbranch_execz .LBB926_99
; %bb.94:                               ;   in Loop: Header=BB926_15 Depth=1
	v_cmp_ne_u16_e32 vcc, s15, v28
	v_mov_b32_e32 v38, 0xffff8000
	s_and_saveexec_b64 s[6:7], vcc
	s_cbranch_execz .LBB926_98
; %bb.95:                               ;   in Loop: Header=BB926_15 Depth=1
	v_and_b32_e32 v23, 0x7f, v28
	v_cmp_ne_u32_e32 vcc, s16, v23
	v_mov_b32_e32 v38, 0x7f80
	s_and_saveexec_b64 s[12:13], vcc
	s_cbranch_execz .LBB926_97
; %bb.96:                               ;   in Loop: Header=BB926_15 Depth=1
	v_and_b32_e32 v30, 7, v28
	v_ffbh_u32_e32 v40, v30
	v_min_u32_e32 v42, 32, v40
	v_subrev_u32_e32 v40, 28, v42
	v_lshlrev_b64 v[40:41], v40, v[28:29]
	v_lshrrev_b32_e32 v38, 3, v23
	v_sub_u32_e32 v28, 29, v42
	v_and_b32_e32 v40, 7, v40
	v_cmp_gt_u32_e32 vcc, 8, v23
	v_cndmask_b32_e32 v23, v38, v28, vcc
	v_cndmask_b32_e32 v28, v30, v40, vcc
	v_lshlrev_b32_e32 v30, 16, v26
	v_lshlrev_b32_e32 v28, 20, v28
	v_and_b32_e32 v30, 0x80000000, v30
	v_lshl_add_u32 v23, v23, 23, v33
	v_or3_b32 v23, v30, v23, v28
	v_lshrrev_b32_e32 v38, 16, v23
.LBB926_97:                             ;   in Loop: Header=BB926_15 Depth=1
	s_or_b64 exec, exec, s[12:13]
.LBB926_98:                             ;   in Loop: Header=BB926_15 Depth=1
	s_or_b64 exec, exec, s[6:7]
.LBB926_99:                             ;   in Loop: Header=BB926_15 Depth=1
	s_or_b64 exec, exec, s[4:5]
	v_lshrrev_b32_e32 v28, 16, v26
	v_cmp_ne_u16_sdwa s[6:7], v28, v31 src0_sel:BYTE_0 src1_sel:DWORD
	s_and_saveexec_b64 s[4:5], s[6:7]
	s_cbranch_execz .LBB926_105
; %bb.100:                              ;   in Loop: Header=BB926_15 Depth=1
	v_cmp_ne_u16_sdwa s[12:13], v28, s15 src0_sel:BYTE_0 src1_sel:DWORD
	v_mov_b32_e32 v39, 0xffff8000
	s_and_saveexec_b64 s[6:7], s[12:13]
	s_cbranch_execz .LBB926_104
; %bb.101:                              ;   in Loop: Header=BB926_15 Depth=1
	v_bfe_u32 v23, v26, 16, 7
	v_cmp_ne_u32_e32 vcc, s16, v23
	v_mov_b32_e32 v39, 0x7f80
	s_and_saveexec_b64 s[12:13], vcc
	s_cbranch_execz .LBB926_103
; %bb.102:                              ;   in Loop: Header=BB926_15 Depth=1
	v_and_b32_e32 v30, 7, v28
	v_ffbh_u32_e32 v40, v30
	v_min_u32_e32 v42, 32, v40
	v_subrev_u32_e32 v40, 28, v42
	v_lshlrev_b64 v[40:41], v40, v[28:29]
	v_lshrrev_b32_e32 v39, 3, v23
	v_sub_u32_e32 v41, 29, v42
	v_and_b32_e32 v40, 7, v40
	v_cmp_gt_u32_e32 vcc, 8, v23
	v_cndmask_b32_e32 v23, v39, v41, vcc
	v_cndmask_b32_e32 v30, v30, v40, vcc
	v_lshlrev_b32_e32 v28, 24, v28
	v_lshlrev_b32_e32 v30, 20, v30
	v_and_b32_e32 v28, 0x80000000, v28
	v_lshl_add_u32 v23, v23, 23, v33
	v_or3_b32 v23, v28, v23, v30
	v_lshrrev_b32_e32 v39, 16, v23
.LBB926_103:                            ;   in Loop: Header=BB926_15 Depth=1
	s_or_b64 exec, exec, s[12:13]
.LBB926_104:                            ;   in Loop: Header=BB926_15 Depth=1
	s_or_b64 exec, exec, s[6:7]
.LBB926_105:                            ;   in Loop: Header=BB926_15 Depth=1
	s_or_b64 exec, exec, s[4:5]
	v_cmp_lt_u32_e32 vcc, s17, v26
	v_mov_b32_e32 v23, 0
	v_mov_b32_e32 v40, 0
	s_and_saveexec_b64 s[4:5], vcc
	s_cbranch_execz .LBB926_111
; %bb.106:                              ;   in Loop: Header=BB926_15 Depth=1
	v_lshrrev_b32_e32 v28, 24, v26
	v_cmp_ne_u32_e32 vcc, s15, v28
	v_mov_b32_e32 v40, 0xffff8000
	s_and_saveexec_b64 s[6:7], vcc
	s_cbranch_execz .LBB926_110
; %bb.107:                              ;   in Loop: Header=BB926_15 Depth=1
	v_bfe_u32 v26, v26, 24, 7
	v_cmp_ne_u32_e32 vcc, s16, v26
	v_mov_b32_e32 v40, 0x7f80
	s_and_saveexec_b64 s[12:13], vcc
	s_cbranch_execz .LBB926_109
; %bb.108:                              ;   in Loop: Header=BB926_15 Depth=1
	v_and_b32_e32 v30, 7, v28
	v_ffbh_u32_e32 v40, v30
	v_min_u32_e32 v43, 32, v40
	v_subrev_u32_e32 v40, 28, v43
	v_lshlrev_b64 v[40:41], v40, v[28:29]
	v_lshrrev_b32_e32 v42, 3, v26
	v_sub_u32_e32 v41, 29, v43
	v_and_b32_e32 v40, 7, v40
	v_cmp_gt_u32_e32 vcc, 8, v26
	v_cndmask_b32_e32 v26, v42, v41, vcc
	v_cndmask_b32_e32 v30, v30, v40, vcc
	v_lshlrev_b32_e32 v28, 24, v28
	v_lshlrev_b32_e32 v30, 20, v30
	v_and_b32_e32 v28, 0x80000000, v28
	v_lshl_add_u32 v26, v26, 23, v33
	v_or3_b32 v26, v28, v26, v30
	v_lshrrev_b32_e32 v40, 16, v26
.LBB926_109:                            ;   in Loop: Header=BB926_15 Depth=1
	s_or_b64 exec, exec, s[12:13]
.LBB926_110:                            ;   in Loop: Header=BB926_15 Depth=1
	s_or_b64 exec, exec, s[6:7]
.LBB926_111:                            ;   in Loop: Header=BB926_15 Depth=1
	s_or_b64 exec, exec, s[4:5]
	v_perm_b32 v34, v34, v32, s18
	buffer_load_dword v32, v27, s[0:3], 0 offen offset:16
	buffer_load_dword v30, v27, s[0:3], 0 offen offset:20
	;; [unrolled: 1-line block ×4, first 2 shown]
	v_perm_b32 v35, v37, v35, s18
	s_waitcnt vmcnt(3)
	v_cmp_ne_u16_sdwa s[6:7], v32, v31 src0_sel:BYTE_0 src1_sel:DWORD
	v_mfma_f32_16x16x16bf16_1k v[18:21], v[34:35], v[6:7], v[18:21]
	v_perm_b32 v35, v40, v39, s18
	v_perm_b32 v34, v38, v36, s18
	s_nop 1
	v_mfma_f32_16x16x16bf16_1k v[18:21], v[34:35], v[8:9], v[18:21]
	s_and_saveexec_b64 s[4:5], s[6:7]
	s_cbranch_execz .LBB926_117
; %bb.112:                              ;   in Loop: Header=BB926_15 Depth=1
	v_cmp_ne_u16_sdwa s[12:13], v32, s15 src0_sel:BYTE_0 src1_sel:DWORD
	v_mov_b32_e32 v23, 0xffff8000
	s_and_saveexec_b64 s[6:7], s[12:13]
	s_cbranch_execz .LBB926_116
; %bb.113:                              ;   in Loop: Header=BB926_15 Depth=1
	v_and_b32_e32 v34, 0x7f, v32
	v_cmp_ne_u32_e32 vcc, s16, v34
	v_mov_b32_e32 v23, 0x7f80
	s_and_saveexec_b64 s[12:13], vcc
	s_cbranch_execz .LBB926_115
; %bb.114:                              ;   in Loop: Header=BB926_15 Depth=1
	v_and_b32_e32 v23, 7, v32
	v_ffbh_u32_e32 v36, v23
	v_min_u32_e32 v38, 32, v36
	v_subrev_u32_e32 v36, 28, v38
	v_lshlrev_b64 v[36:37], v36, v[32:33]
	v_lshrrev_b32_e32 v35, 3, v34
	v_sub_u32_e32 v37, 29, v38
	v_and_b32_e32 v36, 7, v36
	v_cmp_gt_u32_e32 vcc, 8, v34
	v_cndmask_b32_e32 v34, v35, v37, vcc
	v_cndmask_b32_e32 v23, v23, v36, vcc
	v_lshlrev_b32_e32 v35, 24, v32
	v_lshlrev_b32_e32 v23, 20, v23
	v_and_b32_e32 v35, 0x80000000, v35
	v_lshl_add_u32 v34, v34, 23, v33
	v_or3_b32 v23, v35, v34, v23
	v_lshrrev_b32_e32 v23, 16, v23
.LBB926_115:                            ;   in Loop: Header=BB926_15 Depth=1
	s_or_b64 exec, exec, s[12:13]
.LBB926_116:                            ;   in Loop: Header=BB926_15 Depth=1
	s_or_b64 exec, exec, s[6:7]
.LBB926_117:                            ;   in Loop: Header=BB926_15 Depth=1
	s_or_b64 exec, exec, s[4:5]
	v_lshrrev_b16_e32 v34, 8, v32
	v_cmp_ne_u16_e32 vcc, 0, v34
	v_mov_b32_e32 v36, 0
	v_mov_b32_e32 v35, 0
	s_and_saveexec_b64 s[4:5], vcc
	s_cbranch_execz .LBB926_123
; %bb.118:                              ;   in Loop: Header=BB926_15 Depth=1
	v_cmp_ne_u16_e32 vcc, s15, v34
	v_mov_b32_e32 v35, 0xffff8000
	s_and_saveexec_b64 s[6:7], vcc
	s_cbranch_execz .LBB926_122
; %bb.119:                              ;   in Loop: Header=BB926_15 Depth=1
	v_and_b32_e32 v37, 0x7f, v34
	v_cmp_ne_u32_e32 vcc, s16, v37
	v_mov_b32_e32 v35, 0x7f80
	s_and_saveexec_b64 s[12:13], vcc
	s_cbranch_execz .LBB926_121
; %bb.120:                              ;   in Loop: Header=BB926_15 Depth=1
	v_and_b32_e32 v38, 7, v34
	v_ffbh_u32_e32 v35, v38
	v_min_u32_e32 v40, 32, v35
	v_subrev_u32_e32 v35, 28, v40
	v_lshlrev_b64 v[34:35], v35, v[34:35]
	v_lshrrev_b32_e32 v39, 3, v37
	v_sub_u32_e32 v35, 29, v40
	v_and_b32_e32 v34, 7, v34
	v_cmp_gt_u32_e32 vcc, 8, v37
	v_cndmask_b32_e32 v35, v39, v35, vcc
	v_cndmask_b32_e32 v34, v38, v34, vcc
	v_lshlrev_b32_e32 v37, 16, v32
	v_lshlrev_b32_e32 v34, 20, v34
	v_and_b32_e32 v37, 0x80000000, v37
	v_lshl_add_u32 v35, v35, 23, v33
	v_or3_b32 v34, v37, v35, v34
	v_lshrrev_b32_e32 v35, 16, v34
.LBB926_121:                            ;   in Loop: Header=BB926_15 Depth=1
	s_or_b64 exec, exec, s[12:13]
.LBB926_122:                            ;   in Loop: Header=BB926_15 Depth=1
	s_or_b64 exec, exec, s[6:7]
.LBB926_123:                            ;   in Loop: Header=BB926_15 Depth=1
	s_or_b64 exec, exec, s[4:5]
	v_lshrrev_b32_e32 v34, 16, v32
	v_cmp_ne_u16_sdwa s[6:7], v34, v31 src0_sel:BYTE_0 src1_sel:DWORD
	s_and_saveexec_b64 s[4:5], s[6:7]
	s_cbranch_execz .LBB926_129
; %bb.124:                              ;   in Loop: Header=BB926_15 Depth=1
	v_cmp_ne_u16_sdwa s[12:13], v34, s15 src0_sel:BYTE_0 src1_sel:DWORD
	v_mov_b32_e32 v36, 0xffff8000
	s_and_saveexec_b64 s[6:7], s[12:13]
	s_cbranch_execz .LBB926_128
; %bb.125:                              ;   in Loop: Header=BB926_15 Depth=1
	v_bfe_u32 v37, v32, 16, 7
	v_cmp_ne_u32_e32 vcc, s16, v37
	v_mov_b32_e32 v36, 0x7f80
	s_and_saveexec_b64 s[12:13], vcc
	s_cbranch_execz .LBB926_127
; %bb.126:                              ;   in Loop: Header=BB926_15 Depth=1
	v_and_b32_e32 v36, 7, v34
	v_ffbh_u32_e32 v38, v36
	v_min_u32_e32 v41, 32, v38
	v_subrev_u32_e32 v38, 28, v41
	v_lshlrev_b64 v[38:39], v38, v[34:35]
	v_lshrrev_b32_e32 v40, 3, v37
	v_sub_u32_e32 v39, 29, v41
	v_and_b32_e32 v38, 7, v38
	v_cmp_gt_u32_e32 vcc, 8, v37
	v_cndmask_b32_e32 v37, v40, v39, vcc
	v_cndmask_b32_e32 v36, v36, v38, vcc
	v_lshlrev_b32_e32 v34, 24, v34
	v_lshlrev_b32_e32 v36, 20, v36
	v_and_b32_e32 v34, 0x80000000, v34
	v_lshl_add_u32 v37, v37, 23, v33
	v_or3_b32 v34, v34, v37, v36
	v_lshrrev_b32_e32 v36, 16, v34
.LBB926_127:                            ;   in Loop: Header=BB926_15 Depth=1
	s_or_b64 exec, exec, s[12:13]
.LBB926_128:                            ;   in Loop: Header=BB926_15 Depth=1
	s_or_b64 exec, exec, s[6:7]
.LBB926_129:                            ;   in Loop: Header=BB926_15 Depth=1
	s_or_b64 exec, exec, s[4:5]
	v_cmp_lt_u32_e32 vcc, s17, v32
	v_mov_b32_e32 v37, 0
	v_mov_b32_e32 v38, 0
	s_and_saveexec_b64 s[4:5], vcc
	s_cbranch_execz .LBB926_135
; %bb.130:                              ;   in Loop: Header=BB926_15 Depth=1
	v_lshrrev_b32_e32 v34, 24, v32
	v_cmp_ne_u32_e32 vcc, s15, v34
	v_mov_b32_e32 v38, 0xffff8000
	s_and_saveexec_b64 s[6:7], vcc
	s_cbranch_execz .LBB926_134
; %bb.131:                              ;   in Loop: Header=BB926_15 Depth=1
	v_bfe_u32 v32, v32, 24, 7
	v_cmp_ne_u32_e32 vcc, s16, v32
	v_mov_b32_e32 v38, 0x7f80
	s_and_saveexec_b64 s[12:13], vcc
	s_cbranch_execz .LBB926_133
; %bb.132:                              ;   in Loop: Header=BB926_15 Depth=1
	v_and_b32_e32 v40, 7, v34
	v_ffbh_u32_e32 v38, v40
	v_min_u32_e32 v42, 32, v38
	v_subrev_u32_e32 v38, 28, v42
	v_lshlrev_b64 v[38:39], v38, v[34:35]
	v_lshrrev_b32_e32 v41, 3, v32
	v_sub_u32_e32 v39, 29, v42
	v_and_b32_e32 v38, 7, v38
	v_cmp_gt_u32_e32 vcc, 8, v32
	v_cndmask_b32_e32 v32, v41, v39, vcc
	v_cndmask_b32_e32 v38, v40, v38, vcc
	v_lshlrev_b32_e32 v34, 24, v34
	v_lshlrev_b32_e32 v38, 20, v38
	v_and_b32_e32 v34, 0x80000000, v34
	v_lshl_add_u32 v32, v32, 23, v33
	v_or3_b32 v32, v34, v32, v38
	v_lshrrev_b32_e32 v38, 16, v32
.LBB926_133:                            ;   in Loop: Header=BB926_15 Depth=1
	s_or_b64 exec, exec, s[12:13]
.LBB926_134:                            ;   in Loop: Header=BB926_15 Depth=1
	s_or_b64 exec, exec, s[6:7]
.LBB926_135:                            ;   in Loop: Header=BB926_15 Depth=1
	s_or_b64 exec, exec, s[4:5]
	s_waitcnt vmcnt(2)
	v_cmp_ne_u16_sdwa s[6:7], v30, v31 src0_sel:BYTE_0 src1_sel:DWORD
	s_and_saveexec_b64 s[4:5], s[6:7]
	s_cbranch_execz .LBB926_141
; %bb.136:                              ;   in Loop: Header=BB926_15 Depth=1
	v_cmp_ne_u16_sdwa s[12:13], v30, s15 src0_sel:BYTE_0 src1_sel:DWORD
	v_mov_b32_e32 v37, 0xffff8000
	s_and_saveexec_b64 s[6:7], s[12:13]
	s_cbranch_execz .LBB926_140
; %bb.137:                              ;   in Loop: Header=BB926_15 Depth=1
	v_and_b32_e32 v32, 0x7f, v30
	v_cmp_ne_u32_e32 vcc, s16, v32
	v_mov_b32_e32 v37, 0x7f80
	s_and_saveexec_b64 s[12:13], vcc
	s_cbranch_execz .LBB926_139
; %bb.138:                              ;   in Loop: Header=BB926_15 Depth=1
	v_and_b32_e32 v34, 7, v30
	v_ffbh_u32_e32 v39, v34
	v_min_u32_e32 v39, 32, v39
	v_subrev_u32_e32 v40, 28, v39
	v_lshlrev_b64 v[40:41], v40, v[30:31]
	v_lshrrev_b32_e32 v37, 3, v32
	v_sub_u32_e32 v39, 29, v39
	v_and_b32_e32 v40, 7, v40
	v_cmp_gt_u32_e32 vcc, 8, v32
	v_cndmask_b32_e32 v32, v37, v39, vcc
	v_cndmask_b32_e32 v34, v34, v40, vcc
	v_lshlrev_b32_e32 v37, 24, v30
	v_lshlrev_b32_e32 v34, 20, v34
	v_and_b32_e32 v37, 0x80000000, v37
	v_lshl_add_u32 v32, v32, 23, v33
	v_or3_b32 v32, v37, v32, v34
	v_lshrrev_b32_e32 v37, 16, v32
.LBB926_139:                            ;   in Loop: Header=BB926_15 Depth=1
	s_or_b64 exec, exec, s[12:13]
.LBB926_140:                            ;   in Loop: Header=BB926_15 Depth=1
	s_or_b64 exec, exec, s[6:7]
.LBB926_141:                            ;   in Loop: Header=BB926_15 Depth=1
	s_or_b64 exec, exec, s[4:5]
	v_lshrrev_b16_e32 v32, 8, v30
	v_cmp_ne_u16_e32 vcc, 0, v32
	v_mov_b32_e32 v40, 0
	v_mov_b32_e32 v39, 0
	s_and_saveexec_b64 s[4:5], vcc
	s_cbranch_execz .LBB926_147
; %bb.142:                              ;   in Loop: Header=BB926_15 Depth=1
	v_cmp_ne_u16_e32 vcc, s15, v32
	v_mov_b32_e32 v39, 0xffff8000
	s_and_saveexec_b64 s[6:7], vcc
	s_cbranch_execz .LBB926_146
; %bb.143:                              ;   in Loop: Header=BB926_15 Depth=1
	v_and_b32_e32 v34, 0x7f, v32
	v_cmp_ne_u32_e32 vcc, s16, v34
	v_mov_b32_e32 v39, 0x7f80
	s_and_saveexec_b64 s[12:13], vcc
	s_cbranch_execz .LBB926_145
; %bb.144:                              ;   in Loop: Header=BB926_15 Depth=1
	v_and_b32_e32 v39, 7, v32
	v_ffbh_u32_e32 v42, v39
	v_min_u32_e32 v44, 32, v42
	v_subrev_u32_e32 v42, 28, v44
	v_lshlrev_b64 v[42:43], v42, v[32:33]
	v_lshrrev_b32_e32 v41, 3, v34
	v_sub_u32_e32 v32, 29, v44
	v_and_b32_e32 v42, 7, v42
	v_cmp_gt_u32_e32 vcc, 8, v34
	v_cndmask_b32_e32 v32, v41, v32, vcc
	v_cndmask_b32_e32 v34, v39, v42, vcc
	v_lshlrev_b32_e32 v39, 16, v30
	v_lshlrev_b32_e32 v34, 20, v34
	v_and_b32_e32 v39, 0x80000000, v39
	v_lshl_add_u32 v32, v32, 23, v33
	v_or3_b32 v32, v39, v32, v34
	v_lshrrev_b32_e32 v39, 16, v32
.LBB926_145:                            ;   in Loop: Header=BB926_15 Depth=1
	s_or_b64 exec, exec, s[12:13]
.LBB926_146:                            ;   in Loop: Header=BB926_15 Depth=1
	s_or_b64 exec, exec, s[6:7]
.LBB926_147:                            ;   in Loop: Header=BB926_15 Depth=1
	s_or_b64 exec, exec, s[4:5]
	v_lshrrev_b32_e32 v32, 16, v30
	v_cmp_ne_u16_sdwa s[6:7], v32, v31 src0_sel:BYTE_0 src1_sel:DWORD
	s_and_saveexec_b64 s[4:5], s[6:7]
	s_cbranch_execz .LBB926_153
; %bb.148:                              ;   in Loop: Header=BB926_15 Depth=1
	v_cmp_ne_u16_sdwa s[12:13], v32, s15 src0_sel:BYTE_0 src1_sel:DWORD
	v_mov_b32_e32 v40, 0xffff8000
	s_and_saveexec_b64 s[6:7], s[12:13]
	s_cbranch_execz .LBB926_152
; %bb.149:                              ;   in Loop: Header=BB926_15 Depth=1
	v_bfe_u32 v34, v30, 16, 7
	v_cmp_ne_u32_e32 vcc, s16, v34
	v_mov_b32_e32 v40, 0x7f80
	s_and_saveexec_b64 s[12:13], vcc
	s_cbranch_execz .LBB926_151
; %bb.150:                              ;   in Loop: Header=BB926_15 Depth=1
	v_and_b32_e32 v42, 7, v32
	v_ffbh_u32_e32 v40, v42
	v_min_u32_e32 v44, 32, v40
	v_subrev_u32_e32 v40, 28, v44
	v_lshlrev_b64 v[40:41], v40, v[32:33]
	v_lshrrev_b32_e32 v43, 3, v34
	v_sub_u32_e32 v41, 29, v44
	v_and_b32_e32 v40, 7, v40
	v_cmp_gt_u32_e32 vcc, 8, v34
	v_cndmask_b32_e32 v34, v43, v41, vcc
	v_cndmask_b32_e32 v40, v42, v40, vcc
	v_lshlrev_b32_e32 v32, 24, v32
	v_lshlrev_b32_e32 v40, 20, v40
	v_and_b32_e32 v32, 0x80000000, v32
	v_lshl_add_u32 v34, v34, 23, v33
	v_or3_b32 v32, v32, v34, v40
	v_lshrrev_b32_e32 v40, 16, v32
.LBB926_151:                            ;   in Loop: Header=BB926_15 Depth=1
	s_or_b64 exec, exec, s[12:13]
.LBB926_152:                            ;   in Loop: Header=BB926_15 Depth=1
	s_or_b64 exec, exec, s[6:7]
.LBB926_153:                            ;   in Loop: Header=BB926_15 Depth=1
	s_or_b64 exec, exec, s[4:5]
	v_cmp_lt_u32_e32 vcc, s17, v30
	v_mov_b32_e32 v34, 0
	v_mov_b32_e32 v41, 0
	s_and_saveexec_b64 s[4:5], vcc
	s_cbranch_execz .LBB926_159
; %bb.154:                              ;   in Loop: Header=BB926_15 Depth=1
	v_lshrrev_b32_e32 v32, 24, v30
	v_cmp_ne_u32_e32 vcc, s15, v32
	v_mov_b32_e32 v41, 0xffff8000
	s_and_saveexec_b64 s[6:7], vcc
	s_cbranch_execz .LBB926_158
; %bb.155:                              ;   in Loop: Header=BB926_15 Depth=1
	v_bfe_u32 v30, v30, 24, 7
	v_cmp_ne_u32_e32 vcc, s16, v30
	v_mov_b32_e32 v41, 0x7f80
	s_and_saveexec_b64 s[12:13], vcc
	s_cbranch_execz .LBB926_157
; %bb.156:                              ;   in Loop: Header=BB926_15 Depth=1
	v_and_b32_e32 v41, 7, v32
	v_ffbh_u32_e32 v42, v41
	v_min_u32_e32 v45, 32, v42
	v_subrev_u32_e32 v42, 28, v45
	v_lshlrev_b64 v[42:43], v42, v[32:33]
	v_lshrrev_b32_e32 v44, 3, v30
	v_sub_u32_e32 v43, 29, v45
	v_and_b32_e32 v42, 7, v42
	v_cmp_gt_u32_e32 vcc, 8, v30
	v_cndmask_b32_e32 v30, v44, v43, vcc
	v_cndmask_b32_e32 v41, v41, v42, vcc
	v_lshlrev_b32_e32 v32, 24, v32
	v_lshlrev_b32_e32 v41, 20, v41
	v_and_b32_e32 v32, 0x80000000, v32
	v_lshl_add_u32 v30, v30, 23, v33
	v_or3_b32 v30, v32, v30, v41
	v_lshrrev_b32_e32 v41, 16, v30
.LBB926_157:                            ;   in Loop: Header=BB926_15 Depth=1
	s_or_b64 exec, exec, s[12:13]
.LBB926_158:                            ;   in Loop: Header=BB926_15 Depth=1
	s_or_b64 exec, exec, s[6:7]
.LBB926_159:                            ;   in Loop: Header=BB926_15 Depth=1
	s_or_b64 exec, exec, s[4:5]
	v_perm_b32 v43, v38, v36, s18
	v_perm_b32 v42, v35, v23, s18
	;; [unrolled: 1-line block ×4, first 2 shown]
	s_waitcnt vmcnt(1)
	v_cmp_ne_u16_sdwa s[6:7], v28, v31 src0_sel:BYTE_0 src1_sel:DWORD
	v_mfma_f32_16x16x16bf16_1k v[18:21], v[42:43], v[10:11], v[18:21]
	v_mfma_f32_16x16x16bf16_1k v[18:21], v[40:41], v[12:13], v[18:21]
	s_and_saveexec_b64 s[4:5], s[6:7]
	s_cbranch_execz .LBB926_165
; %bb.160:                              ;   in Loop: Header=BB926_15 Depth=1
	v_cmp_ne_u16_sdwa s[12:13], v28, s15 src0_sel:BYTE_0 src1_sel:DWORD
	v_mov_b32_e32 v34, 0xffff8000
	s_and_saveexec_b64 s[6:7], s[12:13]
	s_cbranch_execz .LBB926_164
; %bb.161:                              ;   in Loop: Header=BB926_15 Depth=1
	v_and_b32_e32 v23, 0x7f, v28
	v_cmp_ne_u32_e32 vcc, s16, v23
	v_mov_b32_e32 v34, 0x7f80
	s_and_saveexec_b64 s[12:13], vcc
	s_cbranch_execz .LBB926_163
; %bb.162:                              ;   in Loop: Header=BB926_15 Depth=1
	v_and_b32_e32 v30, 7, v28
	v_ffbh_u32_e32 v34, v30
	v_min_u32_e32 v36, 32, v34
	v_subrev_u32_e32 v34, 28, v36
	v_lshlrev_b64 v[34:35], v34, v[28:29]
	v_lshrrev_b32_e32 v32, 3, v23
	v_sub_u32_e32 v35, 29, v36
	v_and_b32_e32 v34, 7, v34
	v_cmp_gt_u32_e32 vcc, 8, v23
	v_cndmask_b32_e32 v23, v32, v35, vcc
	v_cndmask_b32_e32 v30, v30, v34, vcc
	v_lshlrev_b32_e32 v32, 24, v28
	v_lshlrev_b32_e32 v30, 20, v30
	v_and_b32_e32 v32, 0x80000000, v32
	v_lshl_add_u32 v23, v23, 23, v33
	v_or3_b32 v23, v32, v23, v30
	v_lshrrev_b32_e32 v34, 16, v23
.LBB926_163:                            ;   in Loop: Header=BB926_15 Depth=1
	s_or_b64 exec, exec, s[12:13]
.LBB926_164:                            ;   in Loop: Header=BB926_15 Depth=1
	s_or_b64 exec, exec, s[6:7]
.LBB926_165:                            ;   in Loop: Header=BB926_15 Depth=1
	s_or_b64 exec, exec, s[4:5]
	v_lshrrev_b16_e32 v30, 8, v28
	v_cmp_ne_u16_e32 vcc, 0, v30
	v_mov_b32_e32 v32, 0
	v_mov_b32_e32 v23, 0
	s_and_saveexec_b64 s[4:5], vcc
	s_cbranch_execz .LBB926_171
; %bb.166:                              ;   in Loop: Header=BB926_15 Depth=1
	v_cmp_ne_u16_e32 vcc, s15, v30
	v_mov_b32_e32 v23, 0xffff8000
	s_and_saveexec_b64 s[6:7], vcc
	s_cbranch_execz .LBB926_170
; %bb.167:                              ;   in Loop: Header=BB926_15 Depth=1
	v_and_b32_e32 v35, 0x7f, v30
	v_cmp_ne_u32_e32 vcc, s16, v35
	v_mov_b32_e32 v23, 0x7f80
	s_and_saveexec_b64 s[12:13], vcc
	s_cbranch_execz .LBB926_169
; %bb.168:                              ;   in Loop: Header=BB926_15 Depth=1
	v_and_b32_e32 v23, 7, v30
	v_ffbh_u32_e32 v36, v23
	v_min_u32_e32 v39, 32, v36
	v_subrev_u32_e32 v36, 28, v39
	v_lshlrev_b64 v[36:37], v36, v[30:31]
	v_lshrrev_b32_e32 v38, 3, v35
	v_sub_u32_e32 v30, 29, v39
	v_and_b32_e32 v36, 7, v36
	v_cmp_gt_u32_e32 vcc, 8, v35
	v_cndmask_b32_e32 v30, v38, v30, vcc
	v_cndmask_b32_e32 v23, v23, v36, vcc
	v_lshlrev_b32_e32 v35, 16, v28
	v_lshlrev_b32_e32 v23, 20, v23
	v_and_b32_e32 v35, 0x80000000, v35
	v_lshl_add_u32 v30, v30, 23, v33
	v_or3_b32 v23, v35, v30, v23
	v_lshrrev_b32_e32 v23, 16, v23
.LBB926_169:                            ;   in Loop: Header=BB926_15 Depth=1
	s_or_b64 exec, exec, s[12:13]
.LBB926_170:                            ;   in Loop: Header=BB926_15 Depth=1
	s_or_b64 exec, exec, s[6:7]
.LBB926_171:                            ;   in Loop: Header=BB926_15 Depth=1
	s_or_b64 exec, exec, s[4:5]
	v_lshrrev_b32_e32 v30, 16, v28
	v_cmp_ne_u16_sdwa s[6:7], v30, v31 src0_sel:BYTE_0 src1_sel:DWORD
	s_and_saveexec_b64 s[4:5], s[6:7]
	s_cbranch_execz .LBB926_177
; %bb.172:                              ;   in Loop: Header=BB926_15 Depth=1
	v_cmp_ne_u16_sdwa s[12:13], v30, s15 src0_sel:BYTE_0 src1_sel:DWORD
	v_mov_b32_e32 v32, 0xffff8000
	s_and_saveexec_b64 s[6:7], s[12:13]
	s_cbranch_execz .LBB926_176
; %bb.173:                              ;   in Loop: Header=BB926_15 Depth=1
	v_bfe_u32 v35, v28, 16, 7
	v_cmp_ne_u32_e32 vcc, s16, v35
	v_mov_b32_e32 v32, 0x7f80
	s_and_saveexec_b64 s[12:13], vcc
	s_cbranch_execz .LBB926_175
; %bb.174:                              ;   in Loop: Header=BB926_15 Depth=1
	v_and_b32_e32 v32, 7, v30
	v_ffbh_u32_e32 v36, v32
	v_min_u32_e32 v39, 32, v36
	v_subrev_u32_e32 v36, 28, v39
	v_lshlrev_b64 v[36:37], v36, v[30:31]
	v_lshrrev_b32_e32 v38, 3, v35
	v_sub_u32_e32 v37, 29, v39
	v_and_b32_e32 v36, 7, v36
	v_cmp_gt_u32_e32 vcc, 8, v35
	v_cndmask_b32_e32 v35, v38, v37, vcc
	v_cndmask_b32_e32 v32, v32, v36, vcc
	v_lshlrev_b32_e32 v30, 24, v30
	v_lshlrev_b32_e32 v32, 20, v32
	v_and_b32_e32 v30, 0x80000000, v30
	v_lshl_add_u32 v35, v35, 23, v33
	v_or3_b32 v30, v30, v35, v32
	v_lshrrev_b32_e32 v32, 16, v30
.LBB926_175:                            ;   in Loop: Header=BB926_15 Depth=1
	s_or_b64 exec, exec, s[12:13]
.LBB926_176:                            ;   in Loop: Header=BB926_15 Depth=1
	s_or_b64 exec, exec, s[6:7]
.LBB926_177:                            ;   in Loop: Header=BB926_15 Depth=1
	s_or_b64 exec, exec, s[4:5]
	v_cmp_lt_u32_e32 vcc, s17, v28
	v_mov_b32_e32 v35, 0
	v_mov_b32_e32 v36, 0
	s_and_saveexec_b64 s[4:5], vcc
	s_cbranch_execz .LBB926_183
; %bb.178:                              ;   in Loop: Header=BB926_15 Depth=1
	v_lshrrev_b32_e32 v30, 24, v28
	v_cmp_ne_u32_e32 vcc, s15, v30
	v_mov_b32_e32 v36, 0xffff8000
	s_and_saveexec_b64 s[6:7], vcc
	s_cbranch_execz .LBB926_182
; %bb.179:                              ;   in Loop: Header=BB926_15 Depth=1
	v_bfe_u32 v28, v28, 24, 7
	v_cmp_ne_u32_e32 vcc, s16, v28
	v_mov_b32_e32 v36, 0x7f80
	s_and_saveexec_b64 s[12:13], vcc
	s_cbranch_execz .LBB926_181
; %bb.180:                              ;   in Loop: Header=BB926_15 Depth=1
	v_and_b32_e32 v38, 7, v30
	v_ffbh_u32_e32 v36, v38
	v_min_u32_e32 v40, 32, v36
	v_subrev_u32_e32 v36, 28, v40
	v_lshlrev_b64 v[36:37], v36, v[30:31]
	v_lshrrev_b32_e32 v39, 3, v28
	v_sub_u32_e32 v37, 29, v40
	v_and_b32_e32 v36, 7, v36
	v_cmp_gt_u32_e32 vcc, 8, v28
	v_cndmask_b32_e32 v28, v39, v37, vcc
	v_cndmask_b32_e32 v36, v38, v36, vcc
	v_lshlrev_b32_e32 v30, 24, v30
	v_lshlrev_b32_e32 v36, 20, v36
	v_and_b32_e32 v30, 0x80000000, v30
	v_lshl_add_u32 v28, v28, 23, v33
	v_or3_b32 v28, v30, v28, v36
	v_lshrrev_b32_e32 v36, 16, v28
.LBB926_181:                            ;   in Loop: Header=BB926_15 Depth=1
	s_or_b64 exec, exec, s[12:13]
.LBB926_182:                            ;   in Loop: Header=BB926_15 Depth=1
	s_or_b64 exec, exec, s[6:7]
.LBB926_183:                            ;   in Loop: Header=BB926_15 Depth=1
	s_or_b64 exec, exec, s[4:5]
	s_waitcnt vmcnt(0)
	v_cmp_ne_u16_sdwa s[6:7], v26, v31 src0_sel:BYTE_0 src1_sel:DWORD
	s_and_saveexec_b64 s[4:5], s[6:7]
	s_cbranch_execz .LBB926_189
; %bb.184:                              ;   in Loop: Header=BB926_15 Depth=1
	v_cmp_ne_u16_sdwa s[12:13], v26, s15 src0_sel:BYTE_0 src1_sel:DWORD
	v_mov_b32_e32 v35, 0xffff8000
	s_and_saveexec_b64 s[6:7], s[12:13]
	s_cbranch_execz .LBB926_188
; %bb.185:                              ;   in Loop: Header=BB926_15 Depth=1
	v_and_b32_e32 v28, 0x7f, v26
	v_cmp_ne_u32_e32 vcc, s16, v28
	v_mov_b32_e32 v35, 0x7f80
	s_and_saveexec_b64 s[12:13], vcc
	s_cbranch_execz .LBB926_187
; %bb.186:                              ;   in Loop: Header=BB926_15 Depth=1
	v_and_b32_e32 v30, 7, v26
	v_ffbh_u32_e32 v37, v30
	v_min_u32_e32 v37, 32, v37
	v_subrev_u32_e32 v38, 28, v37
	v_lshlrev_b64 v[38:39], v38, v[26:27]
	v_lshrrev_b32_e32 v35, 3, v28
	v_sub_u32_e32 v37, 29, v37
	v_and_b32_e32 v38, 7, v38
	v_cmp_gt_u32_e32 vcc, 8, v28
	v_cndmask_b32_e32 v28, v35, v37, vcc
	v_cndmask_b32_e32 v30, v30, v38, vcc
	v_lshlrev_b32_e32 v35, 24, v26
	v_lshlrev_b32_e32 v30, 20, v30
	v_and_b32_e32 v35, 0x80000000, v35
	v_lshl_add_u32 v28, v28, 23, v33
	v_or3_b32 v28, v35, v28, v30
	v_lshrrev_b32_e32 v35, 16, v28
.LBB926_187:                            ;   in Loop: Header=BB926_15 Depth=1
	s_or_b64 exec, exec, s[12:13]
.LBB926_188:                            ;   in Loop: Header=BB926_15 Depth=1
	s_or_b64 exec, exec, s[6:7]
.LBB926_189:                            ;   in Loop: Header=BB926_15 Depth=1
	s_or_b64 exec, exec, s[4:5]
	v_lshrrev_b16_e32 v28, 8, v26
	v_cmp_ne_u16_e32 vcc, 0, v28
	v_mov_b32_e32 v37, 0
	v_mov_b32_e32 v30, 0
	s_and_saveexec_b64 s[4:5], vcc
	s_cbranch_execz .LBB926_195
; %bb.190:                              ;   in Loop: Header=BB926_15 Depth=1
	v_cmp_ne_u16_e32 vcc, s15, v28
	v_mov_b32_e32 v30, 0xffff8000
	s_and_saveexec_b64 s[6:7], vcc
	s_cbranch_execz .LBB926_194
; %bb.191:                              ;   in Loop: Header=BB926_15 Depth=1
	v_and_b32_e32 v38, 0x7f, v28
	v_cmp_ne_u32_e32 vcc, s16, v38
	v_mov_b32_e32 v30, 0x7f80
	s_and_saveexec_b64 s[12:13], vcc
	s_cbranch_execz .LBB926_193
; %bb.192:                              ;   in Loop: Header=BB926_15 Depth=1
	v_and_b32_e32 v30, 7, v28
	v_ffbh_u32_e32 v40, v30
	v_min_u32_e32 v42, 32, v40
	v_subrev_u32_e32 v40, 28, v42
	v_lshlrev_b64 v[40:41], v40, v[28:29]
	v_lshrrev_b32_e32 v39, 3, v38
	v_sub_u32_e32 v28, 29, v42
	v_and_b32_e32 v40, 7, v40
	v_cmp_gt_u32_e32 vcc, 8, v38
	v_cndmask_b32_e32 v28, v39, v28, vcc
	v_cndmask_b32_e32 v30, v30, v40, vcc
	v_lshlrev_b32_e32 v38, 16, v26
	v_lshlrev_b32_e32 v30, 20, v30
	v_and_b32_e32 v38, 0x80000000, v38
	v_lshl_add_u32 v28, v28, 23, v33
	v_or3_b32 v28, v38, v28, v30
	v_lshrrev_b32_e32 v30, 16, v28
.LBB926_193:                            ;   in Loop: Header=BB926_15 Depth=1
	s_or_b64 exec, exec, s[12:13]
.LBB926_194:                            ;   in Loop: Header=BB926_15 Depth=1
	s_or_b64 exec, exec, s[6:7]
.LBB926_195:                            ;   in Loop: Header=BB926_15 Depth=1
	s_or_b64 exec, exec, s[4:5]
	v_lshrrev_b32_e32 v28, 16, v26
	v_cmp_ne_u16_sdwa s[6:7], v28, v31 src0_sel:BYTE_0 src1_sel:DWORD
	s_and_saveexec_b64 s[4:5], s[6:7]
	s_cbranch_execz .LBB926_201
; %bb.196:                              ;   in Loop: Header=BB926_15 Depth=1
	v_cmp_ne_u16_sdwa s[12:13], v28, s15 src0_sel:BYTE_0 src1_sel:DWORD
	v_mov_b32_e32 v37, 0xffff8000
	s_and_saveexec_b64 s[6:7], s[12:13]
	s_cbranch_execz .LBB926_200
; %bb.197:                              ;   in Loop: Header=BB926_15 Depth=1
	v_bfe_u32 v38, v26, 16, 7
	v_cmp_ne_u32_e32 vcc, s16, v38
	v_mov_b32_e32 v37, 0x7f80
	s_and_saveexec_b64 s[12:13], vcc
	s_cbranch_execz .LBB926_199
; %bb.198:                              ;   in Loop: Header=BB926_15 Depth=1
	v_and_b32_e32 v37, 7, v28
	v_ffbh_u32_e32 v40, v37
	v_min_u32_e32 v42, 32, v40
	v_subrev_u32_e32 v40, 28, v42
	v_lshlrev_b64 v[40:41], v40, v[28:29]
	v_lshrrev_b32_e32 v39, 3, v38
	v_sub_u32_e32 v41, 29, v42
	v_and_b32_e32 v40, 7, v40
	v_cmp_gt_u32_e32 vcc, 8, v38
	v_cndmask_b32_e32 v38, v39, v41, vcc
	v_cndmask_b32_e32 v37, v37, v40, vcc
	v_lshlrev_b32_e32 v28, 24, v28
	v_lshlrev_b32_e32 v37, 20, v37
	v_and_b32_e32 v28, 0x80000000, v28
	v_lshl_add_u32 v38, v38, 23, v33
	v_or3_b32 v28, v28, v38, v37
	v_lshrrev_b32_e32 v37, 16, v28
.LBB926_199:                            ;   in Loop: Header=BB926_15 Depth=1
	s_or_b64 exec, exec, s[12:13]
.LBB926_200:                            ;   in Loop: Header=BB926_15 Depth=1
	s_or_b64 exec, exec, s[6:7]
.LBB926_201:                            ;   in Loop: Header=BB926_15 Depth=1
	s_or_b64 exec, exec, s[4:5]
	v_cmp_lt_u32_e32 vcc, s17, v26
	v_mov_b32_e32 v38, 0
	s_and_saveexec_b64 s[4:5], vcc
	s_cbranch_execz .LBB926_14
; %bb.202:                              ;   in Loop: Header=BB926_15 Depth=1
	v_lshrrev_b32_e32 v28, 24, v26
	v_cmp_ne_u32_e32 vcc, s15, v28
	v_mov_b32_e32 v38, 0xffff8000
	s_and_saveexec_b64 s[6:7], vcc
	s_cbranch_execz .LBB926_13
; %bb.203:                              ;   in Loop: Header=BB926_15 Depth=1
	v_bfe_u32 v26, v26, 24, 7
	v_cmp_ne_u32_e32 vcc, s16, v26
	v_mov_b32_e32 v38, 0x7f80
	s_and_saveexec_b64 s[12:13], vcc
	s_cbranch_execz .LBB926_12
; %bb.204:                              ;   in Loop: Header=BB926_15 Depth=1
	v_and_b32_e32 v40, 7, v28
	v_ffbh_u32_e32 v38, v40
	v_min_u32_e32 v42, 32, v38
	v_subrev_u32_e32 v38, 28, v42
	v_lshlrev_b64 v[38:39], v38, v[28:29]
	v_lshrrev_b32_e32 v41, 3, v26
	v_sub_u32_e32 v39, 29, v42
	v_and_b32_e32 v38, 7, v38
	v_cmp_gt_u32_e32 vcc, 8, v26
	v_cndmask_b32_e32 v26, v41, v39, vcc
	v_cndmask_b32_e32 v38, v40, v38, vcc
	v_lshlrev_b32_e32 v28, 24, v28
	v_lshlrev_b32_e32 v38, 20, v38
	v_and_b32_e32 v28, 0x80000000, v28
	v_lshl_add_u32 v26, v26, 23, v33
	v_or3_b32 v26, v28, v26, v38
	v_lshrrev_b32_e32 v38, 16, v26
	s_branch .LBB926_12
.LBB926_205:
	buffer_load_dword v13, off, s[0:3], 0 offset:256
	buffer_load_dword v14, off, s[0:3], 0 offset:260
	;; [unrolled: 1-line block ×16, first 2 shown]
	v_and_b32_e32 v12, 0xc0, v0
	v_add_u32_e32 v12, s20, v12
	v_lshl_or_b32 v12, v50, 2, v12
	v_or_b32_e32 v23, 1, v12
	v_mov_b32_e32 v19, 0xff7fffff
	v_or_b32_e32 v24, 2, v12
	v_or_b32_e32 v25, 3, v12
	v_cmp_gt_i32_e64 s[26:27], s33, v12
	v_cmp_gt_i32_e64 s[28:29], s33, v23
	s_mov_b32 s52, 0xff7fffff
	v_or_b32_e32 v26, 16, v12
	v_or_b32_e32 v27, 17, v12
	;; [unrolled: 1-line block ×12, first 2 shown]
	v_cmp_gt_i32_e64 s[30:31], s33, v24
	v_cmp_gt_i32_e64 s[34:35], s33, v25
	v_mbcnt_lo_u32_b32 v20, -1, 0
	v_cmp_gt_i32_e64 s[36:37], s33, v26
	v_cmp_gt_i32_e64 s[38:39], s33, v27
	v_mbcnt_hi_u32_b32 v20, -1, v20
	v_cmp_gt_i32_e64 s[20:21], s33, v28
	v_cmp_gt_i32_e64 s[22:23], s33, v29
	v_and_b32_e32 v21, 64, v20
	v_cmp_gt_i32_e64 s[16:17], s33, v30
	v_cmp_gt_i32_e64 s[18:19], s33, v31
	v_xor_b32_e32 v22, 32, v20
	v_add_u32_e32 v21, 64, v21
	v_cmp_gt_i32_e64 s[12:13], s33, v32
	v_cmp_gt_i32_e64 s[14:15], s33, v33
	v_cmp_lt_i32_e32 vcc, v22, v21
	v_cmp_gt_i32_e64 s[6:7], s33, v34
	v_cmp_gt_i32_e64 s[24:25], s33, v35
	v_cndmask_b32_e32 v22, v20, v22, vcc
	v_cmp_gt_i32_e32 vcc, s33, v36
	v_cmp_gt_i32_e64 s[4:5], s33, v37
	v_lshlrev_b32_e32 v22, 2, v22
	s_waitcnt vmcnt(15)
	v_cndmask_b32_e64 v12, v19, v13, s[26:27]
	s_waitcnt vmcnt(14)
	v_cndmask_b32_e64 v23, v19, v14, s[28:29]
	;; [unrolled: 2-line block ×4, first 2 shown]
	v_max3_f32 v12, v12, s52, v23
	s_waitcnt vmcnt(11)
	v_cndmask_b32_e64 v26, v19, v17, s[36:37]
	s_waitcnt vmcnt(10)
	v_cndmask_b32_e64 v27, v19, v18, s[38:39]
	v_max3_f32 v12, v12, v24, v25
	s_waitcnt vmcnt(9)
	v_cndmask_b32_e64 v28, v19, v11, s[20:21]
	s_waitcnt vmcnt(8)
	v_cndmask_b32_e64 v29, v19, v10, s[22:23]
	v_max3_f32 v12, v12, v26, v27
	s_waitcnt vmcnt(7)
	v_cndmask_b32_e64 v30, v19, v9, s[16:17]
	s_waitcnt vmcnt(6)
	v_cndmask_b32_e64 v31, v19, v8, s[18:19]
	v_max3_f32 v12, v12, v28, v29
	s_waitcnt vmcnt(5)
	v_cndmask_b32_e64 v32, v19, v7, s[12:13]
	s_waitcnt vmcnt(4)
	v_cndmask_b32_e64 v33, v19, v6, s[14:15]
	v_max3_f32 v12, v12, v30, v31
	s_waitcnt vmcnt(3)
	v_cndmask_b32_e64 v34, v19, v5, s[6:7]
	s_waitcnt vmcnt(2)
	v_cndmask_b32_e64 v35, v19, v4, s[24:25]
	v_max3_f32 v12, v12, v32, v33
	s_waitcnt vmcnt(1)
	v_cndmask_b32_e32 v36, v19, v3, vcc
	s_waitcnt vmcnt(0)
	v_cndmask_b32_e64 v19, v19, v2, s[4:5]
	v_max3_f32 v12, v12, v34, v35
	v_max3_f32 v12, v12, v36, v19
	ds_bpermute_b32 v19, v22, v12
	v_xor_b32_e32 v23, 16, v20
	v_cmp_lt_i32_e64 s[40:41], v23, v21
	v_cndmask_b32_e64 v20, v20, v23, s[40:41]
	v_lshlrev_b32_e32 v20, 2, v20
	s_waitcnt lgkmcnt(0)
	v_max_f32_e32 v19, v19, v19
	v_max_f32_e32 v12, v12, v19
	ds_bpermute_b32 v19, v20, v12
	s_waitcnt lgkmcnt(0)
	v_max_f32_e32 v19, v19, v19
	v_max_f32_e32 v12, v12, v19
	v_sub_f32_e32 v13, v13, v12
	v_sub_f32_e32 v14, v14, v12
	;; [unrolled: 1-line block ×3, first 2 shown]
	v_mul_f32_e32 v13, 0x3fb8aa3b, v13
	v_mul_f32_e32 v14, 0x3fb8aa3b, v14
	;; [unrolled: 1-line block ×3, first 2 shown]
	v_exp_f32_e32 v13, v13
	v_exp_f32_e32 v14, v14
	;; [unrolled: 1-line block ×3, first 2 shown]
	v_sub_f32_e32 v16, v16, v12
	v_cndmask_b32_e64 v13, 0, v13, s[26:27]
	v_mul_f32_e32 v16, 0x3fb8aa3b, v16
	v_cndmask_b32_e64 v14, 0, v14, s[28:29]
	v_cndmask_b32_e64 v15, 0, v15, s[30:31]
	v_add_f32_e32 v19, 0, v13
	buffer_store_dword v13, off, s[0:3], 0 offset:256
	buffer_store_dword v14, off, s[0:3], 0 offset:260
	;; [unrolled: 1-line block ×3, first 2 shown]
	v_sub_f32_e32 v13, v17, v12
	v_exp_f32_e32 v16, v16
	v_add_f32_e32 v19, v19, v14
	v_mul_f32_e32 v13, 0x3fb8aa3b, v13
	v_sub_f32_e32 v14, v18, v12
	v_exp_f32_e32 v13, v13
	v_mul_f32_e32 v14, 0x3fb8aa3b, v14
	v_sub_f32_e32 v11, v11, v12
	v_exp_f32_e32 v14, v14
	;; [unrolled: 3-line block ×3, first 2 shown]
	v_mul_f32_e32 v10, 0x3fb8aa3b, v10
	v_sub_f32_e32 v9, v9, v12
	v_cndmask_b32_e64 v16, 0, v16, s[34:35]
	v_add_f32_e32 v19, v19, v15
	v_exp_f32_e32 v10, v10
	v_mul_f32_e32 v9, 0x3fb8aa3b, v9
	v_sub_f32_e32 v8, v8, v12
	v_add_f32_e32 v19, v19, v16
	v_cndmask_b32_e64 v13, 0, v13, s[36:37]
	v_exp_f32_e32 v9, v9
	v_mul_f32_e32 v8, 0x3fb8aa3b, v8
	v_sub_f32_e32 v7, v7, v12
	v_add_f32_e32 v15, v19, v13
	v_cndmask_b32_e64 v14, 0, v14, s[38:39]
	;; [unrolled: 5-line block ×5, first 2 shown]
	v_exp_f32_e32 v5, v5
	v_mul_f32_e32 v4, 0x3fb8aa3b, v4
	v_sub_f32_e32 v3, v3, v12
	buffer_store_dword v16, off, s[0:3], 0 offset:268
	buffer_store_dword v13, off, s[0:3], 0 offset:272
	;; [unrolled: 1-line block ×5, first 2 shown]
	v_add_f32_e32 v10, v15, v9
	v_cndmask_b32_e64 v8, 0, v8, s[18:19]
	v_exp_f32_e32 v4, v4
	v_mul_f32_e32 v3, 0x3fb8aa3b, v3
	v_sub_f32_e32 v2, v2, v12
	v_add_f32_e32 v10, v10, v8
	v_cndmask_b32_e64 v7, 0, v7, s[12:13]
	v_exp_f32_e32 v3, v3
	v_mul_f32_e32 v2, 0x3fb8aa3b, v2
	v_add_f32_e32 v10, v10, v7
	v_cndmask_b32_e64 v6, 0, v6, s[14:15]
	v_exp_f32_e32 v2, v2
	v_add_f32_e32 v10, v10, v6
	v_cndmask_b32_e64 v5, 0, v5, s[6:7]
	buffer_store_dword v9, off, s[0:3], 0 offset:288
	buffer_store_dword v8, off, s[0:3], 0 offset:292
	;; [unrolled: 1-line block ×4, first 2 shown]
	v_add_f32_e32 v6, v10, v5
	v_cndmask_b32_e64 v4, 0, v4, s[24:25]
	v_add_f32_e32 v6, v6, v4
	v_cndmask_b32_e32 v3, 0, v3, vcc
	v_add_f32_e32 v6, v6, v3
	v_cndmask_b32_e64 v2, 0, v2, s[4:5]
	v_add_f32_e32 v6, v6, v2
	ds_bpermute_b32 v7, v22, v6
	buffer_store_dword v5, off, s[0:3], 0 offset:304
	buffer_store_dword v4, off, s[0:3], 0 offset:308
	;; [unrolled: 1-line block ×4, first 2 shown]
	v_cmp_lt_u32_e64 s[4:5], 15, v62
	v_cmp_gt_u32_e32 vcc, 16, v62
	s_waitcnt lgkmcnt(0)
	v_add_f32_e32 v2, v6, v7
	ds_bpermute_b32 v3, v20, v2
	s_barrier
	s_waitcnt lgkmcnt(0)
	s_and_saveexec_b64 s[6:7], vcc
	s_cbranch_execz .LBB926_207
; %bb.206:
	v_add_f32_e32 v2, v2, v3
	v_lshlrev_b32_e32 v3, 2, v61
	ds_write2st64_b32 v3, v12, v2 offset1:1
.LBB926_207:
	s_or_b64 exec, exec, s[6:7]
	v_lshlrev_b32_e32 v2, 2, v51
	s_waitcnt lgkmcnt(0)
	s_barrier
	ds_read2_b32 v[12:13], v2 offset1:16
	ds_read2_b32 v[14:15], v2 offset0:32 offset1:48
	ds_read2_b32 v[6:7], v2 offset0:64 offset1:80
	;; [unrolled: 1-line block ×3, first 2 shown]
	s_waitcnt lgkmcnt(0)
	s_barrier
	buffer_load_dword v22, off, s[0:3], 0 offset:264
	buffer_load_dword v23, off, s[0:3], 0 offset:268
	;; [unrolled: 1-line block ×16, first 2 shown]
	v_max3_f32 v20, v12, s52, v13
	v_max3_f32 v20, v20, v14, v15
	v_sub_f32_e32 v12, v12, v20
	v_sub_f32_e32 v13, v13, v20
	v_mul_f32_e32 v12, 0x3fb8aa3b, v12
	v_sub_f32_e32 v14, v14, v20
	v_mul_f32_e32 v13, 0x3fb8aa3b, v13
	v_exp_f32_e32 v12, v12
	v_sub_f32_e32 v15, v15, v20
	v_mul_f32_e32 v14, 0x3fb8aa3b, v14
	v_exp_f32_e32 v13, v13
	v_mul_f32_e32 v15, 0x3fb8aa3b, v15
	v_exp_f32_e32 v14, v14
	v_exp_f32_e32 v15, v15
	v_fma_f32 v6, v12, v6, 0
	v_fmac_f32_e32 v6, v13, v7
	v_cmp_eq_u32_e32 vcc, 1, v60
	v_fmac_f32_e32 v6, v14, v16
	v_cndmask_b32_e32 v12, v12, v13, vcc
	v_cmp_eq_u32_e32 vcc, 2, v60
	v_fmac_f32_e32 v6, v15, v17
	v_cndmask_b32_e32 v7, v12, v14, vcc
	v_add_f32_e32 v12, 0x358637bd, v6
	v_div_scale_f32 v13, s[6:7], v12, v12, 1.0
	v_rcp_f32_e32 v14, v13
	v_cmp_eq_u32_e32 vcc, 3, v60
	v_cndmask_b32_e32 v7, v7, v15, vcc
	v_div_scale_f32 v15, vcc, 1.0, v12, 1.0
	v_fma_f32 v16, -v13, v14, 1.0
	v_fmac_f32_e32 v14, v16, v14
	v_mul_f32_e32 v16, v15, v14
	v_fma_f32 v17, -v13, v16, v15
	v_fmac_f32_e32 v16, v17, v14
	v_fma_f32 v13, -v13, v16, v15
	v_div_fmas_f32 v13, v13, v14, v16
	v_div_fixup_f32 v12, v13, v12, 1.0
	v_mul_f32_e32 v12, v7, v12
	s_movk_i32 s22, 0x7fff
	s_mov_b32 s23, 0x7060302
	v_mov_b32_e32 v39, 0
	v_cmp_eq_u32_e32 vcc, 0, v0
	s_waitcnt vmcnt(14)
	v_pk_mul_f32 v[14:15], v[12:13], v[22:23] op_sel_hi:[0,1]
	v_bfe_u32 v21, v15, 16, 1
	s_waitcnt vmcnt(12)
	v_pk_mul_f32 v[16:17], v[12:13], v[24:25] op_sel_hi:[0,1]
	v_bfe_u32 v7, v17, 16, 1
	v_bfe_u32 v13, v16, 16, 1
	;; [unrolled: 1-line block ×3, first 2 shown]
	v_add3_u32 v13, v16, v13, s22
	v_add3_u32 v7, v17, v7, s22
	buffer_store_dword v16, off, s[0:3], 0 offset:256
	buffer_store_dword v17, off, s[0:3], 0 offset:260
	;; [unrolled: 1-line block ×4, first 2 shown]
	v_add3_u32 v16, v14, v22, s22
	v_add3_u32 v15, v15, v21, s22
	v_perm_b32 v14, v7, v13, s23
	v_lshlrev_b32_e32 v13, 3, v50
	v_perm_b32 v15, v15, v16, s23
	v_lshlrev_b32_e32 v7, 5, v51
	v_lshlrev_b32_e32 v16, 11, v60
	s_waitcnt vmcnt(12)
	v_pk_mul_f32 v[8:9], v[12:13], v[8:9] op_sel_hi:[0,1]
	v_or3_b32 v41, v16, v7, v13
	v_pk_mul_f32 v[10:11], v[12:13], v[10:11] op_sel_hi:[0,1]
	v_bfe_u32 v13, v9, 16, 1
	v_bfe_u32 v16, v8, 16, 1
	buffer_store_dword v8, off, s[0:3], 0 offset:272
	buffer_store_dword v9, off, s[0:3], 0 offset:276
	;; [unrolled: 1-line block ×4, first 2 shown]
	v_add3_u32 v8, v8, v16, s22
	v_add3_u32 v9, v9, v13, s22
	v_perm_b32 v8, v9, v8, s23
	v_bfe_u32 v9, v11, 16, 1
	v_bfe_u32 v13, v10, 16, 1
	v_add3_u32 v10, v10, v13, s22
	v_add3_u32 v9, v11, v9, s22
	v_perm_b32 v9, v9, v10, s23
	s_waitcnt vmcnt(14)
	v_pk_mul_f32 v[10:11], v[12:13], v[18:19] op_sel_hi:[0,1]
	ds_write2st64_b64 v41, v[14:15], v[8:9] offset1:1
	s_waitcnt vmcnt(12)
	v_pk_mul_f32 v[8:9], v[12:13], v[26:27] op_sel_hi:[0,1]
	v_bfe_u32 v13, v11, 16, 1
	v_bfe_u32 v14, v10, 16, 1
	buffer_store_dword v10, off, s[0:3], 0 offset:288
	buffer_store_dword v11, off, s[0:3], 0 offset:292
	;; [unrolled: 1-line block ×4, first 2 shown]
	v_add3_u32 v10, v10, v14, s22
	v_add3_u32 v11, v11, v13, s22
	v_perm_b32 v10, v11, v10, s23
	v_bfe_u32 v11, v9, 16, 1
	v_bfe_u32 v13, v8, 16, 1
	v_add3_u32 v8, v8, v13, s22
	v_add3_u32 v9, v9, v11, s22
	s_waitcnt vmcnt(14)
	v_pk_mul_f32 v[2:3], v[12:13], v[2:3] op_sel_hi:[0,1]
	v_perm_b32 v11, v9, v8, s23
	v_bfe_u32 v8, v3, 16, 1
	v_bfe_u32 v9, v2, 16, 1
	s_waitcnt vmcnt(12)
	v_pk_mul_f32 v[4:5], v[12:13], v[4:5] op_sel_hi:[0,1]
	buffer_store_dword v2, off, s[0:3], 0 offset:304
	buffer_store_dword v3, off, s[0:3], 0 offset:308
	;; [unrolled: 1-line block ×4, first 2 shown]
	v_add3_u32 v2, v2, v9, s22
	v_add3_u32 v3, v3, v8, s22
	v_perm_b32 v2, v3, v2, s23
	v_bfe_u32 v3, v5, 16, 1
	v_bfe_u32 v8, v4, 16, 1
	v_add3_u32 v4, v4, v8, s22
	v_add3_u32 v3, v5, v3, s22
	v_perm_b32 v3, v3, v4, s23
	ds_write2st64_b64 v41, v[10:11], v[2:3] offset0:2 offset1:3
	s_and_saveexec_b64 s[6:7], vcc
	s_cbranch_execz .LBB926_209
; %bb.208:
	s_mul_i32 s9, s9, s51
	s_mul_hi_u32 s12, s8, s51
	s_add_i32 s12, s12, s9
	s_mul_i32 s9, s8, s51
	s_add_u32 s9, s9, s10
	s_addc_u32 s12, s12, 0
	s_mul_i32 s12, s12, s50
	s_mul_hi_u32 s13, s9, s50
	s_add_i32 s13, s13, s12
	s_mul_i32 s9, s9, s50
	s_add_u32 s12, s9, s11
	s_addc_u32 s13, s13, 0
	s_lshl_b64 s[12:13], s[12:13], 2
	s_add_u32 s14, s46, s12
	s_addc_u32 s15, s47, s13
	s_add_u32 s12, s44, s12
	s_addc_u32 s13, s45, s13
	global_store_dword v39, v20, s[14:15]
	global_store_dword v39, v6, s[12:13]
.LBB926_209:
	s_or_b64 exec, exec, s[6:7]
	v_lshl_or_b32 v30, v50, 9, v7
	s_waitcnt lgkmcnt(0)
	s_barrier
	s_load_dword s6, s[42:43], 0x0
	ds_read_b128 v[2:5], v30
	ds_read_b128 v[6:9], v30 offset:16
	ds_read_b128 v[10:13], v30 offset:2048
	;; [unrolled: 1-line block ×7, first 2 shown]
	v_mov_b32_e32 v35, 0x80
	v_mov_b32_e32 v43, 0x140
	s_mov_b64 s[14:15], -1
	s_waitcnt lgkmcnt(0)
	s_mov_b32 s7, s6
	s_mov_b32 s12, s6
	;; [unrolled: 1-line block ×3, first 2 shown]
	s_movk_i32 s9, 0x80
	s_movk_i32 s24, 0x7f
	s_mov_b32 s25, 0xffffff
	s_mov_b32 s26, 0x5040100
	v_bfrev_b32_e32 v45, 60
	s_branch .LBB926_213
.LBB926_210:                            ;   in Loop: Header=BB926_213 Depth=1
	s_or_b64 exec, exec, s[20:21]
.LBB926_211:                            ;   in Loop: Header=BB926_213 Depth=1
	s_or_b64 exec, exec, s[18:19]
.LBB926_212:                            ;   in Loop: Header=BB926_213 Depth=1
	s_or_b64 exec, exec, s[16:17]
	v_perm_b32 v47, v48, v47, s26
	v_perm_b32 v46, v44, v46, s26
	s_xor_b64 s[16:17], s[14:15], -1
	s_mov_b64 s[14:15], 0
	v_mov_b32_e32 v59, v54
	v_mfma_f32_16x16x16bf16_1k v[60:63], v[46:47], v[30:31], v[34:37]
	s_and_b64 vcc, exec, s[16:17]
	s_nop 5
	v_perm_b32 v37, v58, v57, s26
	v_perm_b32 v36, v42, v49, s26
	v_mov_b32_e32 v35, v53
	v_mov_b32_e32 v58, v55
	v_mfma_f32_16x16x16bf16_1k v[46:49], v[36:37], v[32:33], v[60:63]
	v_mov_b32_e32 v57, v56
	s_nop 7
	s_nop 1
	v_pk_mul_f32 v[46:47], v[46:47], s[6:7]
	v_pk_mul_f32 v[36:37], v[48:49], s[12:13]
	v_bfe_u32 v34, v47, 16, 1
	v_bfe_u32 v38, v46, 16, 1
	;; [unrolled: 1-line block ×4, first 2 shown]
	v_add3_u32 v38, v46, v38, s22
	v_add3_u32 v34, v47, v34, s22
	;; [unrolled: 1-line block ×4, first 2 shown]
	v_perm_b32 v34, v34, v38, s23
	v_perm_b32 v36, v37, v36, s23
	buffer_store_dword v34, v43, s[0:3], 0 offen
	buffer_store_dword v36, v43, s[0:3], 0 offen offset:4
	v_mov_b32_e32 v43, 0x148
	s_cbranch_vccnz .LBB926_595
.LBB926_213:                            ; =>This Inner Loop Header: Depth=1
	buffer_load_dword v36, v35, s[0:3], 0 offen
	buffer_load_dword v34, v35, s[0:3], 0 offen offset:4
	buffer_load_dword v40, v35, s[0:3], 0 offen offset:8
	;; [unrolled: 1-line block ×3, first 2 shown]
	v_mov_b32_e32 v35, 0
	v_mov_b32_e32 v37, 0
	s_waitcnt vmcnt(3)
	v_cmp_ne_u16_sdwa s[18:19], v36, v39 src0_sel:BYTE_0 src1_sel:DWORD
	s_and_saveexec_b64 s[16:17], s[18:19]
	s_cbranch_execz .LBB926_219
; %bb.214:                              ;   in Loop: Header=BB926_213 Depth=1
	v_cmp_ne_u16_sdwa s[20:21], v36, s9 src0_sel:BYTE_0 src1_sel:DWORD
	v_mov_b32_e32 v37, 0xffff8000
	s_and_saveexec_b64 s[18:19], s[20:21]
	s_cbranch_execz .LBB926_218
; %bb.215:                              ;   in Loop: Header=BB926_213 Depth=1
	v_and_b32_e32 v42, 0x7f, v36
	v_cmp_ne_u32_e32 vcc, s24, v42
	v_mov_b32_e32 v37, 0x7f80
	s_and_saveexec_b64 s[20:21], vcc
	s_cbranch_execz .LBB926_217
; %bb.216:                              ;   in Loop: Header=BB926_213 Depth=1
	v_and_b32_e32 v37, 7, v36
	v_ffbh_u32_e32 v46, v37
	v_min_u32_e32 v48, 32, v46
	v_subrev_u32_e32 v46, 28, v48
	v_lshlrev_b64 v[46:47], v46, v[36:37]
	v_lshrrev_b32_e32 v44, 3, v42
	v_sub_u32_e32 v47, 29, v48
	v_and_b32_e32 v46, 7, v46
	v_cmp_gt_u32_e32 vcc, 8, v42
	v_cndmask_b32_e32 v42, v44, v47, vcc
	v_cndmask_b32_e32 v37, v37, v46, vcc
	v_lshlrev_b32_e32 v44, 24, v36
	v_lshlrev_b32_e32 v37, 20, v37
	v_and_b32_e32 v44, 0x80000000, v44
	v_lshl_add_u32 v42, v42, 23, v45
	v_or3_b32 v37, v44, v42, v37
	v_lshrrev_b32_e32 v37, 16, v37
.LBB926_217:                            ;   in Loop: Header=BB926_213 Depth=1
	s_or_b64 exec, exec, s[20:21]
.LBB926_218:                            ;   in Loop: Header=BB926_213 Depth=1
	s_or_b64 exec, exec, s[18:19]
.LBB926_219:                            ;   in Loop: Header=BB926_213 Depth=1
	s_or_b64 exec, exec, s[16:17]
	v_lshrrev_b16_e32 v42, 8, v36
	v_cmp_ne_u16_e32 vcc, 0, v42
	s_and_saveexec_b64 s[16:17], vcc
	s_cbranch_execz .LBB926_225
; %bb.220:                              ;   in Loop: Header=BB926_213 Depth=1
	v_cmp_ne_u16_e32 vcc, s9, v42
	v_mov_b32_e32 v35, 0xffff8000
	s_and_saveexec_b64 s[18:19], vcc
	s_cbranch_execz .LBB926_224
; %bb.221:                              ;   in Loop: Header=BB926_213 Depth=1
	v_and_b32_e32 v44, 0x7f, v42
	v_cmp_ne_u32_e32 vcc, s24, v44
	v_mov_b32_e32 v35, 0x7f80
	s_and_saveexec_b64 s[20:21], vcc
	s_cbranch_execz .LBB926_223
; %bb.222:                              ;   in Loop: Header=BB926_213 Depth=1
	v_and_b32_e32 v35, 7, v42
	v_ffbh_u32_e32 v46, v35
	v_min_u32_e32 v49, 32, v46
	v_subrev_u32_e32 v46, 28, v49
	v_lshlrev_b64 v[46:47], v46, v[42:43]
	v_lshrrev_b32_e32 v48, 3, v44
	v_sub_u32_e32 v42, 29, v49
	v_and_b32_e32 v46, 7, v46
	v_cmp_gt_u32_e32 vcc, 8, v44
	v_cndmask_b32_e32 v42, v48, v42, vcc
	v_cndmask_b32_e32 v35, v35, v46, vcc
	v_lshlrev_b32_e32 v44, 16, v36
	v_lshlrev_b32_e32 v35, 20, v35
	v_and_b32_e32 v44, 0x80000000, v44
	v_lshl_add_u32 v42, v42, 23, v45
	v_or3_b32 v35, v44, v42, v35
	v_lshrrev_b32_e32 v35, 16, v35
.LBB926_223:                            ;   in Loop: Header=BB926_213 Depth=1
	s_or_b64 exec, exec, s[20:21]
.LBB926_224:                            ;   in Loop: Header=BB926_213 Depth=1
	s_or_b64 exec, exec, s[18:19]
.LBB926_225:                            ;   in Loop: Header=BB926_213 Depth=1
	s_or_b64 exec, exec, s[16:17]
	v_lshrrev_b32_e32 v42, 16, v36
	v_cmp_ne_u16_sdwa s[18:19], v42, v39 src0_sel:BYTE_0 src1_sel:DWORD
	v_mov_b32_e32 v46, 0
	v_mov_b32_e32 v44, 0
	s_and_saveexec_b64 s[16:17], s[18:19]
	s_cbranch_execz .LBB926_231
; %bb.226:                              ;   in Loop: Header=BB926_213 Depth=1
	v_cmp_ne_u16_sdwa s[20:21], v42, s9 src0_sel:BYTE_0 src1_sel:DWORD
	v_mov_b32_e32 v44, 0xffff8000
	s_and_saveexec_b64 s[18:19], s[20:21]
	s_cbranch_execz .LBB926_230
; %bb.227:                              ;   in Loop: Header=BB926_213 Depth=1
	v_bfe_u32 v47, v36, 16, 7
	v_cmp_ne_u32_e32 vcc, s24, v47
	v_mov_b32_e32 v44, 0x7f80
	s_and_saveexec_b64 s[20:21], vcc
	s_cbranch_execz .LBB926_229
; %bb.228:                              ;   in Loop: Header=BB926_213 Depth=1
	v_and_b32_e32 v44, 7, v42
	v_ffbh_u32_e32 v48, v44
	v_min_u32_e32 v61, 32, v48
	v_subrev_u32_e32 v48, 28, v61
	v_lshlrev_b64 v[48:49], v48, v[42:43]
	v_lshrrev_b32_e32 v60, 3, v47
	v_sub_u32_e32 v49, 29, v61
	v_and_b32_e32 v48, 7, v48
	v_cmp_gt_u32_e32 vcc, 8, v47
	v_cndmask_b32_e32 v47, v60, v49, vcc
	v_cndmask_b32_e32 v44, v44, v48, vcc
	v_lshlrev_b32_e32 v42, 24, v42
	v_lshlrev_b32_e32 v44, 20, v44
	v_and_b32_e32 v42, 0x80000000, v42
	v_lshl_add_u32 v47, v47, 23, v45
	v_or3_b32 v42, v42, v47, v44
	v_lshrrev_b32_e32 v44, 16, v42
.LBB926_229:                            ;   in Loop: Header=BB926_213 Depth=1
	s_or_b64 exec, exec, s[20:21]
.LBB926_230:                            ;   in Loop: Header=BB926_213 Depth=1
	s_or_b64 exec, exec, s[18:19]
.LBB926_231:                            ;   in Loop: Header=BB926_213 Depth=1
	s_or_b64 exec, exec, s[16:17]
	v_cmp_lt_u32_e32 vcc, s25, v36
	s_and_saveexec_b64 s[16:17], vcc
	s_cbranch_execz .LBB926_237
; %bb.232:                              ;   in Loop: Header=BB926_213 Depth=1
	v_lshrrev_b32_e32 v42, 24, v36
	v_cmp_ne_u32_e32 vcc, s9, v42
	v_mov_b32_e32 v46, 0xffff8000
	s_and_saveexec_b64 s[18:19], vcc
	s_cbranch_execz .LBB926_236
; %bb.233:                              ;   in Loop: Header=BB926_213 Depth=1
	v_bfe_u32 v36, v36, 24, 7
	v_cmp_ne_u32_e32 vcc, s24, v36
	v_mov_b32_e32 v46, 0x7f80
	s_and_saveexec_b64 s[20:21], vcc
	s_cbranch_execz .LBB926_235
; %bb.234:                              ;   in Loop: Header=BB926_213 Depth=1
	v_and_b32_e32 v48, 7, v42
	v_ffbh_u32_e32 v46, v48
	v_min_u32_e32 v60, 32, v46
	v_subrev_u32_e32 v46, 28, v60
	v_lshlrev_b64 v[46:47], v46, v[42:43]
	v_lshrrev_b32_e32 v49, 3, v36
	v_sub_u32_e32 v47, 29, v60
	v_and_b32_e32 v46, 7, v46
	v_cmp_gt_u32_e32 vcc, 8, v36
	v_cndmask_b32_e32 v36, v49, v47, vcc
	v_cndmask_b32_e32 v46, v48, v46, vcc
	v_lshlrev_b32_e32 v42, 24, v42
	v_lshlrev_b32_e32 v46, 20, v46
	v_and_b32_e32 v42, 0x80000000, v42
	v_lshl_add_u32 v36, v36, 23, v45
	v_or3_b32 v36, v42, v36, v46
	v_lshrrev_b32_e32 v46, 16, v36
.LBB926_235:                            ;   in Loop: Header=BB926_213 Depth=1
	s_or_b64 exec, exec, s[20:21]
.LBB926_236:                            ;   in Loop: Header=BB926_213 Depth=1
	s_or_b64 exec, exec, s[18:19]
.LBB926_237:                            ;   in Loop: Header=BB926_213 Depth=1
	s_or_b64 exec, exec, s[16:17]
	s_waitcnt vmcnt(2)
	v_cmp_ne_u16_sdwa s[18:19], v34, v39 src0_sel:BYTE_0 src1_sel:DWORD
	v_mov_b32_e32 v42, 0
	v_mov_b32_e32 v47, 0
	s_and_saveexec_b64 s[16:17], s[18:19]
	s_cbranch_execz .LBB926_243
; %bb.238:                              ;   in Loop: Header=BB926_213 Depth=1
	v_cmp_ne_u16_sdwa s[20:21], v34, s9 src0_sel:BYTE_0 src1_sel:DWORD
	v_mov_b32_e32 v47, 0xffff8000
	s_and_saveexec_b64 s[18:19], s[20:21]
	s_cbranch_execz .LBB926_242
; %bb.239:                              ;   in Loop: Header=BB926_213 Depth=1
	v_and_b32_e32 v36, 0x7f, v34
	v_cmp_ne_u32_e32 vcc, s24, v36
	v_mov_b32_e32 v47, 0x7f80
	s_and_saveexec_b64 s[20:21], vcc
	s_cbranch_execz .LBB926_241
; %bb.240:                              ;   in Loop: Header=BB926_213 Depth=1
	v_and_b32_e32 v47, 7, v34
	v_ffbh_u32_e32 v48, v47
	v_min_u32_e32 v61, 32, v48
	v_subrev_u32_e32 v48, 28, v61
	v_lshlrev_b64 v[48:49], v48, v[34:35]
	v_lshrrev_b32_e32 v60, 3, v36
	v_sub_u32_e32 v49, 29, v61
	v_and_b32_e32 v48, 7, v48
	v_cmp_gt_u32_e32 vcc, 8, v36
	v_cndmask_b32_e32 v36, v60, v49, vcc
	v_cndmask_b32_e32 v47, v47, v48, vcc
	v_lshlrev_b32_e32 v48, 24, v34
	v_lshlrev_b32_e32 v47, 20, v47
	v_and_b32_e32 v48, 0x80000000, v48
	v_lshl_add_u32 v36, v36, 23, v45
	v_or3_b32 v36, v48, v36, v47
	v_lshrrev_b32_e32 v47, 16, v36
.LBB926_241:                            ;   in Loop: Header=BB926_213 Depth=1
	s_or_b64 exec, exec, s[20:21]
.LBB926_242:                            ;   in Loop: Header=BB926_213 Depth=1
	s_or_b64 exec, exec, s[18:19]
.LBB926_243:                            ;   in Loop: Header=BB926_213 Depth=1
	s_or_b64 exec, exec, s[16:17]
	v_lshrrev_b16_e32 v36, 8, v34
	v_cmp_ne_u16_e32 vcc, 0, v36
	s_and_saveexec_b64 s[16:17], vcc
	s_cbranch_execz .LBB926_249
; %bb.244:                              ;   in Loop: Header=BB926_213 Depth=1
	v_cmp_ne_u16_e32 vcc, s9, v36
	v_mov_b32_e32 v42, 0xffff8000
	s_and_saveexec_b64 s[18:19], vcc
	s_cbranch_execz .LBB926_248
; %bb.245:                              ;   in Loop: Header=BB926_213 Depth=1
	v_and_b32_e32 v48, 0x7f, v36
	v_cmp_ne_u32_e32 vcc, s24, v48
	v_mov_b32_e32 v42, 0x7f80
	s_and_saveexec_b64 s[20:21], vcc
	s_cbranch_execz .LBB926_247
; %bb.246:                              ;   in Loop: Header=BB926_213 Depth=1
	v_and_b32_e32 v42, 7, v36
	v_ffbh_u32_e32 v60, v42
	v_min_u32_e32 v62, 32, v60
	v_subrev_u32_e32 v60, 28, v62
	v_lshlrev_b64 v[60:61], v60, v[36:37]
	v_lshrrev_b32_e32 v49, 3, v48
	v_sub_u32_e32 v36, 29, v62
	v_and_b32_e32 v60, 7, v60
	v_cmp_gt_u32_e32 vcc, 8, v48
	v_cndmask_b32_e32 v36, v49, v36, vcc
	v_cndmask_b32_e32 v42, v42, v60, vcc
	v_lshlrev_b32_e32 v48, 16, v34
	v_lshlrev_b32_e32 v42, 20, v42
	v_and_b32_e32 v48, 0x80000000, v48
	v_lshl_add_u32 v36, v36, 23, v45
	v_or3_b32 v36, v48, v36, v42
	v_lshrrev_b32_e32 v42, 16, v36
.LBB926_247:                            ;   in Loop: Header=BB926_213 Depth=1
	s_or_b64 exec, exec, s[20:21]
.LBB926_248:                            ;   in Loop: Header=BB926_213 Depth=1
	s_or_b64 exec, exec, s[18:19]
.LBB926_249:                            ;   in Loop: Header=BB926_213 Depth=1
	s_or_b64 exec, exec, s[16:17]
	v_lshrrev_b32_e32 v36, 16, v34
	v_cmp_ne_u16_sdwa s[18:19], v36, v39 src0_sel:BYTE_0 src1_sel:DWORD
	v_mov_b32_e32 v49, 0
	v_mov_b32_e32 v48, 0
	s_and_saveexec_b64 s[16:17], s[18:19]
	s_cbranch_execz .LBB926_255
; %bb.250:                              ;   in Loop: Header=BB926_213 Depth=1
	v_cmp_ne_u16_sdwa s[20:21], v36, s9 src0_sel:BYTE_0 src1_sel:DWORD
	v_mov_b32_e32 v48, 0xffff8000
	s_and_saveexec_b64 s[18:19], s[20:21]
	s_cbranch_execz .LBB926_254
; %bb.251:                              ;   in Loop: Header=BB926_213 Depth=1
	v_bfe_u32 v60, v34, 16, 7
	v_cmp_ne_u32_e32 vcc, s24, v60
	v_mov_b32_e32 v48, 0x7f80
	s_and_saveexec_b64 s[20:21], vcc
	s_cbranch_execz .LBB926_253
; %bb.252:                              ;   in Loop: Header=BB926_213 Depth=1
	v_and_b32_e32 v48, 7, v36
	v_ffbh_u32_e32 v62, v48
	v_min_u32_e32 v64, 32, v62
	v_subrev_u32_e32 v62, 28, v64
	v_lshlrev_b64 v[62:63], v62, v[36:37]
	v_lshrrev_b32_e32 v61, 3, v60
	v_sub_u32_e32 v63, 29, v64
	v_and_b32_e32 v62, 7, v62
	v_cmp_gt_u32_e32 vcc, 8, v60
	v_cndmask_b32_e32 v60, v61, v63, vcc
	v_cndmask_b32_e32 v48, v48, v62, vcc
	v_lshlrev_b32_e32 v36, 24, v36
	v_lshlrev_b32_e32 v48, 20, v48
	v_and_b32_e32 v36, 0x80000000, v36
	v_lshl_add_u32 v60, v60, 23, v45
	v_or3_b32 v36, v36, v60, v48
	v_lshrrev_b32_e32 v48, 16, v36
.LBB926_253:                            ;   in Loop: Header=BB926_213 Depth=1
	s_or_b64 exec, exec, s[20:21]
.LBB926_254:                            ;   in Loop: Header=BB926_213 Depth=1
	s_or_b64 exec, exec, s[18:19]
.LBB926_255:                            ;   in Loop: Header=BB926_213 Depth=1
	s_or_b64 exec, exec, s[16:17]
	v_cmp_lt_u32_e32 vcc, s25, v34
	s_and_saveexec_b64 s[16:17], vcc
	s_cbranch_execz .LBB926_261
; %bb.256:                              ;   in Loop: Header=BB926_213 Depth=1
	v_lshrrev_b32_e32 v36, 24, v34
	v_cmp_ne_u32_e32 vcc, s9, v36
	v_mov_b32_e32 v49, 0xffff8000
	s_and_saveexec_b64 s[18:19], vcc
	s_cbranch_execz .LBB926_260
; %bb.257:                              ;   in Loop: Header=BB926_213 Depth=1
	v_bfe_u32 v34, v34, 24, 7
	v_cmp_ne_u32_e32 vcc, s24, v34
	v_mov_b32_e32 v49, 0x7f80
	s_and_saveexec_b64 s[20:21], vcc
	s_cbranch_execz .LBB926_259
; %bb.258:                              ;   in Loop: Header=BB926_213 Depth=1
	v_and_b32_e32 v49, 7, v36
	v_ffbh_u32_e32 v60, v49
	v_min_u32_e32 v63, 32, v60
	v_subrev_u32_e32 v60, 28, v63
	v_lshlrev_b64 v[60:61], v60, v[36:37]
	v_lshrrev_b32_e32 v62, 3, v34
	v_sub_u32_e32 v61, 29, v63
	v_and_b32_e32 v60, 7, v60
	v_cmp_gt_u32_e32 vcc, 8, v34
	v_cndmask_b32_e32 v34, v62, v61, vcc
	v_cndmask_b32_e32 v49, v49, v60, vcc
	v_lshlrev_b32_e32 v36, 24, v36
	v_lshlrev_b32_e32 v49, 20, v49
	v_and_b32_e32 v36, 0x80000000, v36
	v_lshl_add_u32 v34, v34, 23, v45
	v_or3_b32 v34, v36, v34, v49
	v_lshrrev_b32_e32 v49, 16, v34
.LBB926_259:                            ;   in Loop: Header=BB926_213 Depth=1
	s_or_b64 exec, exec, s[20:21]
.LBB926_260:                            ;   in Loop: Header=BB926_213 Depth=1
	s_or_b64 exec, exec, s[18:19]
.LBB926_261:                            ;   in Loop: Header=BB926_213 Depth=1
	s_or_b64 exec, exec, s[16:17]
	v_perm_b32 v61, v46, v44, s26
	v_perm_b32 v60, v35, v37, s26
	;; [unrolled: 1-line block ×4, first 2 shown]
	s_waitcnt vmcnt(1)
	v_cmp_ne_u16_sdwa s[18:19], v40, v39 src0_sel:BYTE_0 src1_sel:DWORD
	v_mfma_f32_16x16x16bf16_1k v[34:37], v[60:61], v[2:3], 0
	v_mov_b32_e32 v44, 0
	v_mov_b32_e32 v46, 0
	v_mfma_f32_16x16x16bf16_1k v[34:37], v[48:49], v[4:5], v[34:37]
	s_and_saveexec_b64 s[16:17], s[18:19]
	s_cbranch_execz .LBB926_267
; %bb.262:                              ;   in Loop: Header=BB926_213 Depth=1
	v_cmp_ne_u16_sdwa s[20:21], v40, s9 src0_sel:BYTE_0 src1_sel:DWORD
	v_mov_b32_e32 v46, 0xffff8000
	s_and_saveexec_b64 s[18:19], s[20:21]
	s_cbranch_execz .LBB926_266
; %bb.263:                              ;   in Loop: Header=BB926_213 Depth=1
	v_and_b32_e32 v42, 0x7f, v40
	v_cmp_ne_u32_e32 vcc, s24, v42
	v_mov_b32_e32 v46, 0x7f80
	s_and_saveexec_b64 s[20:21], vcc
	s_cbranch_execz .LBB926_265
; %bb.264:                              ;   in Loop: Header=BB926_213 Depth=1
	v_and_b32_e32 v48, 7, v40
	v_ffbh_u32_e32 v46, v48
	v_min_u32_e32 v60, 32, v46
	v_subrev_u32_e32 v46, 28, v60
	v_lshlrev_b64 v[46:47], v46, v[40:41]
	v_lshrrev_b32_e32 v49, 3, v42
	v_sub_u32_e32 v47, 29, v60
	v_and_b32_e32 v46, 7, v46
	v_cmp_gt_u32_e32 vcc, 8, v42
	v_cndmask_b32_e32 v42, v49, v47, vcc
	v_cndmask_b32_e32 v46, v48, v46, vcc
	v_lshlrev_b32_e32 v47, 24, v40
	v_lshlrev_b32_e32 v46, 20, v46
	v_and_b32_e32 v47, 0x80000000, v47
	v_lshl_add_u32 v42, v42, 23, v45
	v_or3_b32 v42, v47, v42, v46
	v_lshrrev_b32_e32 v46, 16, v42
.LBB926_265:                            ;   in Loop: Header=BB926_213 Depth=1
	s_or_b64 exec, exec, s[20:21]
.LBB926_266:                            ;   in Loop: Header=BB926_213 Depth=1
	s_or_b64 exec, exec, s[18:19]
.LBB926_267:                            ;   in Loop: Header=BB926_213 Depth=1
	s_or_b64 exec, exec, s[16:17]
	v_lshrrev_b16_e32 v42, 8, v40
	v_cmp_ne_u16_e32 vcc, 0, v42
	s_and_saveexec_b64 s[16:17], vcc
	s_cbranch_execz .LBB926_273
; %bb.268:                              ;   in Loop: Header=BB926_213 Depth=1
	v_cmp_ne_u16_e32 vcc, s9, v42
	v_mov_b32_e32 v44, 0xffff8000
	s_and_saveexec_b64 s[18:19], vcc
	s_cbranch_execz .LBB926_272
; %bb.269:                              ;   in Loop: Header=BB926_213 Depth=1
	v_and_b32_e32 v47, 0x7f, v42
	v_cmp_ne_u32_e32 vcc, s24, v47
	v_mov_b32_e32 v44, 0x7f80
	s_and_saveexec_b64 s[20:21], vcc
	s_cbranch_execz .LBB926_271
; %bb.270:                              ;   in Loop: Header=BB926_213 Depth=1
	v_and_b32_e32 v44, 7, v42
	v_ffbh_u32_e32 v48, v44
	v_min_u32_e32 v61, 32, v48
	v_subrev_u32_e32 v48, 28, v61
	v_lshlrev_b64 v[48:49], v48, v[42:43]
	v_lshrrev_b32_e32 v60, 3, v47
	v_sub_u32_e32 v42, 29, v61
	v_and_b32_e32 v48, 7, v48
	v_cmp_gt_u32_e32 vcc, 8, v47
	v_cndmask_b32_e32 v42, v60, v42, vcc
	v_cndmask_b32_e32 v44, v44, v48, vcc
	v_lshlrev_b32_e32 v47, 16, v40
	v_lshlrev_b32_e32 v44, 20, v44
	v_and_b32_e32 v47, 0x80000000, v47
	v_lshl_add_u32 v42, v42, 23, v45
	v_or3_b32 v42, v47, v42, v44
	v_lshrrev_b32_e32 v44, 16, v42
.LBB926_271:                            ;   in Loop: Header=BB926_213 Depth=1
	s_or_b64 exec, exec, s[20:21]
.LBB926_272:                            ;   in Loop: Header=BB926_213 Depth=1
	s_or_b64 exec, exec, s[18:19]
.LBB926_273:                            ;   in Loop: Header=BB926_213 Depth=1
	s_or_b64 exec, exec, s[16:17]
	v_lshrrev_b32_e32 v42, 16, v40
	v_cmp_ne_u16_sdwa s[18:19], v42, v39 src0_sel:BYTE_0 src1_sel:DWORD
	v_mov_b32_e32 v48, 0
	v_mov_b32_e32 v47, 0
	s_and_saveexec_b64 s[16:17], s[18:19]
	s_cbranch_execz .LBB926_279
; %bb.274:                              ;   in Loop: Header=BB926_213 Depth=1
	v_cmp_ne_u16_sdwa s[20:21], v42, s9 src0_sel:BYTE_0 src1_sel:DWORD
	v_mov_b32_e32 v47, 0xffff8000
	s_and_saveexec_b64 s[18:19], s[20:21]
	s_cbranch_execz .LBB926_278
; %bb.275:                              ;   in Loop: Header=BB926_213 Depth=1
	v_bfe_u32 v49, v40, 16, 7
	v_cmp_ne_u32_e32 vcc, s24, v49
	v_mov_b32_e32 v47, 0x7f80
	s_and_saveexec_b64 s[20:21], vcc
	s_cbranch_execz .LBB926_277
; %bb.276:                              ;   in Loop: Header=BB926_213 Depth=1
	v_and_b32_e32 v47, 7, v42
	v_ffbh_u32_e32 v60, v47
	v_min_u32_e32 v63, 32, v60
	v_subrev_u32_e32 v60, 28, v63
	v_lshlrev_b64 v[60:61], v60, v[42:43]
	v_lshrrev_b32_e32 v62, 3, v49
	v_sub_u32_e32 v61, 29, v63
	v_and_b32_e32 v60, 7, v60
	v_cmp_gt_u32_e32 vcc, 8, v49
	v_cndmask_b32_e32 v49, v62, v61, vcc
	v_cndmask_b32_e32 v47, v47, v60, vcc
	v_lshlrev_b32_e32 v42, 24, v42
	v_lshlrev_b32_e32 v47, 20, v47
	v_and_b32_e32 v42, 0x80000000, v42
	v_lshl_add_u32 v49, v49, 23, v45
	v_or3_b32 v42, v42, v49, v47
	v_lshrrev_b32_e32 v47, 16, v42
.LBB926_277:                            ;   in Loop: Header=BB926_213 Depth=1
	s_or_b64 exec, exec, s[20:21]
.LBB926_278:                            ;   in Loop: Header=BB926_213 Depth=1
	s_or_b64 exec, exec, s[18:19]
.LBB926_279:                            ;   in Loop: Header=BB926_213 Depth=1
	s_or_b64 exec, exec, s[16:17]
	v_cmp_lt_u32_e32 vcc, s25, v40
	s_and_saveexec_b64 s[16:17], vcc
	s_cbranch_execz .LBB926_285
; %bb.280:                              ;   in Loop: Header=BB926_213 Depth=1
	v_lshrrev_b32_e32 v42, 24, v40
	v_cmp_ne_u32_e32 vcc, s9, v42
	v_mov_b32_e32 v48, 0xffff8000
	s_and_saveexec_b64 s[18:19], vcc
	s_cbranch_execz .LBB926_284
; %bb.281:                              ;   in Loop: Header=BB926_213 Depth=1
	v_bfe_u32 v40, v40, 24, 7
	v_cmp_ne_u32_e32 vcc, s24, v40
	v_mov_b32_e32 v48, 0x7f80
	s_and_saveexec_b64 s[20:21], vcc
	s_cbranch_execz .LBB926_283
; %bb.282:                              ;   in Loop: Header=BB926_213 Depth=1
	v_and_b32_e32 v60, 7, v42
	v_ffbh_u32_e32 v48, v60
	v_min_u32_e32 v62, 32, v48
	v_subrev_u32_e32 v48, 28, v62
	v_lshlrev_b64 v[48:49], v48, v[42:43]
	v_lshrrev_b32_e32 v61, 3, v40
	v_sub_u32_e32 v49, 29, v62
	v_and_b32_e32 v48, 7, v48
	v_cmp_gt_u32_e32 vcc, 8, v40
	v_cndmask_b32_e32 v40, v61, v49, vcc
	v_cndmask_b32_e32 v48, v60, v48, vcc
	v_lshlrev_b32_e32 v42, 24, v42
	v_lshlrev_b32_e32 v48, 20, v48
	v_and_b32_e32 v42, 0x80000000, v42
	v_lshl_add_u32 v40, v40, 23, v45
	v_or3_b32 v40, v42, v40, v48
	v_lshrrev_b32_e32 v48, 16, v40
.LBB926_283:                            ;   in Loop: Header=BB926_213 Depth=1
	s_or_b64 exec, exec, s[20:21]
.LBB926_284:                            ;   in Loop: Header=BB926_213 Depth=1
	s_or_b64 exec, exec, s[18:19]
.LBB926_285:                            ;   in Loop: Header=BB926_213 Depth=1
	s_or_b64 exec, exec, s[16:17]
	s_waitcnt vmcnt(0)
	v_cmp_ne_u16_sdwa s[18:19], v38, v39 src0_sel:BYTE_0 src1_sel:DWORD
	v_mov_b32_e32 v49, 0
	v_mov_b32_e32 v60, 0
	s_and_saveexec_b64 s[16:17], s[18:19]
	s_cbranch_execz .LBB926_291
; %bb.286:                              ;   in Loop: Header=BB926_213 Depth=1
	v_cmp_ne_u16_sdwa s[20:21], v38, s9 src0_sel:BYTE_0 src1_sel:DWORD
	v_mov_b32_e32 v60, 0xffff8000
	s_and_saveexec_b64 s[18:19], s[20:21]
	s_cbranch_execz .LBB926_290
; %bb.287:                              ;   in Loop: Header=BB926_213 Depth=1
	v_and_b32_e32 v40, 0x7f, v38
	v_cmp_ne_u32_e32 vcc, s24, v40
	v_mov_b32_e32 v60, 0x7f80
	s_and_saveexec_b64 s[20:21], vcc
	s_cbranch_execz .LBB926_289
; %bb.288:                              ;   in Loop: Header=BB926_213 Depth=1
	v_and_b32_e32 v42, 7, v38
	v_ffbh_u32_e32 v60, v42
	v_min_u32_e32 v63, 32, v60
	v_subrev_u32_e32 v60, 28, v63
	v_lshlrev_b64 v[60:61], v60, v[38:39]
	v_lshrrev_b32_e32 v62, 3, v40
	v_sub_u32_e32 v61, 29, v63
	v_and_b32_e32 v60, 7, v60
	v_cmp_gt_u32_e32 vcc, 8, v40
	v_cndmask_b32_e32 v40, v62, v61, vcc
	v_cndmask_b32_e32 v42, v42, v60, vcc
	v_lshlrev_b32_e32 v60, 24, v38
	v_lshlrev_b32_e32 v42, 20, v42
	v_and_b32_e32 v60, 0x80000000, v60
	v_lshl_add_u32 v40, v40, 23, v45
	v_or3_b32 v40, v60, v40, v42
	v_lshrrev_b32_e32 v60, 16, v40
.LBB926_289:                            ;   in Loop: Header=BB926_213 Depth=1
	s_or_b64 exec, exec, s[20:21]
.LBB926_290:                            ;   in Loop: Header=BB926_213 Depth=1
	s_or_b64 exec, exec, s[18:19]
.LBB926_291:                            ;   in Loop: Header=BB926_213 Depth=1
	s_or_b64 exec, exec, s[16:17]
	v_lshrrev_b16_e32 v40, 8, v38
	v_cmp_ne_u16_e32 vcc, 0, v40
	s_and_saveexec_b64 s[16:17], vcc
	s_cbranch_execz .LBB926_297
; %bb.292:                              ;   in Loop: Header=BB926_213 Depth=1
	v_cmp_ne_u16_e32 vcc, s9, v40
	v_mov_b32_e32 v49, 0xffff8000
	s_and_saveexec_b64 s[18:19], vcc
	s_cbranch_execz .LBB926_296
; %bb.293:                              ;   in Loop: Header=BB926_213 Depth=1
	v_and_b32_e32 v42, 0x7f, v40
	v_cmp_ne_u32_e32 vcc, s24, v42
	v_mov_b32_e32 v49, 0x7f80
	s_and_saveexec_b64 s[20:21], vcc
	s_cbranch_execz .LBB926_295
; %bb.294:                              ;   in Loop: Header=BB926_213 Depth=1
	v_and_b32_e32 v49, 7, v40
	v_ffbh_u32_e32 v62, v49
	v_min_u32_e32 v64, 32, v62
	v_subrev_u32_e32 v62, 28, v64
	v_lshlrev_b64 v[62:63], v62, v[40:41]
	v_lshrrev_b32_e32 v61, 3, v42
	v_sub_u32_e32 v40, 29, v64
	v_and_b32_e32 v62, 7, v62
	v_cmp_gt_u32_e32 vcc, 8, v42
	v_cndmask_b32_e32 v40, v61, v40, vcc
	v_cndmask_b32_e32 v42, v49, v62, vcc
	v_lshlrev_b32_e32 v49, 16, v38
	v_lshlrev_b32_e32 v42, 20, v42
	v_and_b32_e32 v49, 0x80000000, v49
	v_lshl_add_u32 v40, v40, 23, v45
	v_or3_b32 v40, v49, v40, v42
	v_lshrrev_b32_e32 v49, 16, v40
.LBB926_295:                            ;   in Loop: Header=BB926_213 Depth=1
	s_or_b64 exec, exec, s[20:21]
.LBB926_296:                            ;   in Loop: Header=BB926_213 Depth=1
	s_or_b64 exec, exec, s[18:19]
.LBB926_297:                            ;   in Loop: Header=BB926_213 Depth=1
	s_or_b64 exec, exec, s[16:17]
	v_lshrrev_b32_e32 v40, 16, v38
	v_cmp_ne_u16_sdwa s[18:19], v40, v39 src0_sel:BYTE_0 src1_sel:DWORD
	v_mov_b32_e32 v62, 0
	v_mov_b32_e32 v61, 0
	s_and_saveexec_b64 s[16:17], s[18:19]
	s_cbranch_execz .LBB926_303
; %bb.298:                              ;   in Loop: Header=BB926_213 Depth=1
	v_cmp_ne_u16_sdwa s[20:21], v40, s9 src0_sel:BYTE_0 src1_sel:DWORD
	v_mov_b32_e32 v61, 0xffff8000
	s_and_saveexec_b64 s[18:19], s[20:21]
	s_cbranch_execz .LBB926_302
; %bb.299:                              ;   in Loop: Header=BB926_213 Depth=1
	v_bfe_u32 v42, v38, 16, 7
	v_cmp_ne_u32_e32 vcc, s24, v42
	v_mov_b32_e32 v61, 0x7f80
	s_and_saveexec_b64 s[20:21], vcc
	s_cbranch_execz .LBB926_301
; %bb.300:                              ;   in Loop: Header=BB926_213 Depth=1
	v_and_b32_e32 v61, 7, v40
	v_ffbh_u32_e32 v64, v61
	v_min_u32_e32 v66, 32, v64
	v_subrev_u32_e32 v64, 28, v66
	v_lshlrev_b64 v[64:65], v64, v[40:41]
	v_lshrrev_b32_e32 v63, 3, v42
	v_sub_u32_e32 v65, 29, v66
	v_and_b32_e32 v64, 7, v64
	v_cmp_gt_u32_e32 vcc, 8, v42
	v_cndmask_b32_e32 v42, v63, v65, vcc
	v_cndmask_b32_e32 v61, v61, v64, vcc
	v_lshlrev_b32_e32 v40, 24, v40
	v_lshlrev_b32_e32 v61, 20, v61
	v_and_b32_e32 v40, 0x80000000, v40
	v_lshl_add_u32 v42, v42, 23, v45
	v_or3_b32 v40, v40, v42, v61
	v_lshrrev_b32_e32 v61, 16, v40
.LBB926_301:                            ;   in Loop: Header=BB926_213 Depth=1
	s_or_b64 exec, exec, s[20:21]
.LBB926_302:                            ;   in Loop: Header=BB926_213 Depth=1
	s_or_b64 exec, exec, s[18:19]
.LBB926_303:                            ;   in Loop: Header=BB926_213 Depth=1
	s_or_b64 exec, exec, s[16:17]
	v_cmp_lt_u32_e32 vcc, s25, v38
	s_and_saveexec_b64 s[16:17], vcc
	s_cbranch_execz .LBB926_309
; %bb.304:                              ;   in Loop: Header=BB926_213 Depth=1
	v_lshrrev_b32_e32 v40, 24, v38
	v_cmp_ne_u32_e32 vcc, s9, v40
	v_mov_b32_e32 v62, 0xffff8000
	s_and_saveexec_b64 s[18:19], vcc
	s_cbranch_execz .LBB926_308
; %bb.305:                              ;   in Loop: Header=BB926_213 Depth=1
	v_bfe_u32 v38, v38, 24, 7
	v_cmp_ne_u32_e32 vcc, s24, v38
	v_mov_b32_e32 v62, 0x7f80
	s_and_saveexec_b64 s[20:21], vcc
	s_cbranch_execz .LBB926_307
; %bb.306:                              ;   in Loop: Header=BB926_213 Depth=1
	v_and_b32_e32 v42, 7, v40
	v_ffbh_u32_e32 v62, v42
	v_min_u32_e32 v65, 32, v62
	v_subrev_u32_e32 v62, 28, v65
	v_lshlrev_b64 v[62:63], v62, v[40:41]
	v_lshrrev_b32_e32 v64, 3, v38
	v_sub_u32_e32 v63, 29, v65
	v_and_b32_e32 v62, 7, v62
	v_cmp_gt_u32_e32 vcc, 8, v38
	v_cndmask_b32_e32 v38, v64, v63, vcc
	v_cndmask_b32_e32 v42, v42, v62, vcc
	v_lshlrev_b32_e32 v40, 24, v40
	v_lshlrev_b32_e32 v42, 20, v42
	v_and_b32_e32 v40, 0x80000000, v40
	v_lshl_add_u32 v38, v38, 23, v45
	v_or3_b32 v38, v40, v38, v42
	v_lshrrev_b32_e32 v62, 16, v38
.LBB926_307:                            ;   in Loop: Header=BB926_213 Depth=1
	s_or_b64 exec, exec, s[20:21]
.LBB926_308:                            ;   in Loop: Header=BB926_213 Depth=1
	s_or_b64 exec, exec, s[18:19]
.LBB926_309:                            ;   in Loop: Header=BB926_213 Depth=1
	s_or_b64 exec, exec, s[16:17]
	v_perm_b32 v46, v44, v46, s26
	buffer_load_dword v44, v59, s[0:3], 0 offen
	buffer_load_dword v42, v59, s[0:3], 0 offen offset:4
	buffer_load_dword v40, v59, s[0:3], 0 offen offset:8
	;; [unrolled: 1-line block ×3, first 2 shown]
	v_perm_b32 v47, v48, v47, s26
	v_mov_b32_e32 v48, 0
	s_waitcnt vmcnt(3)
	v_cmp_ne_u16_sdwa s[18:19], v44, v39 src0_sel:BYTE_0 src1_sel:DWORD
	v_mfma_f32_16x16x16bf16_1k v[34:37], v[46:47], v[6:7], v[34:37]
	v_perm_b32 v47, v62, v61, s26
	v_perm_b32 v46, v49, v60, s26
	s_nop 1
	v_mfma_f32_16x16x16bf16_1k v[34:37], v[46:47], v[8:9], v[34:37]
	v_mov_b32_e32 v47, 0
	s_and_saveexec_b64 s[16:17], s[18:19]
	s_cbranch_execz .LBB926_315
; %bb.310:                              ;   in Loop: Header=BB926_213 Depth=1
	v_cmp_ne_u16_sdwa s[20:21], v44, s9 src0_sel:BYTE_0 src1_sel:DWORD
	v_mov_b32_e32 v48, 0xffff8000
	s_and_saveexec_b64 s[18:19], s[20:21]
	s_cbranch_execz .LBB926_314
; %bb.311:                              ;   in Loop: Header=BB926_213 Depth=1
	v_and_b32_e32 v46, 0x7f, v44
	v_cmp_ne_u32_e32 vcc, s24, v46
	v_mov_b32_e32 v48, 0x7f80
	s_and_saveexec_b64 s[20:21], vcc
	s_cbranch_execz .LBB926_313
; %bb.312:                              ;   in Loop: Header=BB926_213 Depth=1
	v_and_b32_e32 v59, 7, v44
	v_ffbh_u32_e32 v48, v59
	v_min_u32_e32 v61, 32, v48
	v_subrev_u32_e32 v48, 28, v61
	v_lshlrev_b64 v[48:49], v48, v[44:45]
	v_lshrrev_b32_e32 v60, 3, v46
	v_sub_u32_e32 v49, 29, v61
	v_and_b32_e32 v48, 7, v48
	v_cmp_gt_u32_e32 vcc, 8, v46
	v_cndmask_b32_e32 v46, v60, v49, vcc
	v_cndmask_b32_e32 v48, v59, v48, vcc
	v_lshlrev_b32_e32 v49, 24, v44
	v_lshlrev_b32_e32 v48, 20, v48
	v_and_b32_e32 v49, 0x80000000, v49
	v_lshl_add_u32 v46, v46, 23, v45
	v_or3_b32 v46, v49, v46, v48
	v_lshrrev_b32_e32 v48, 16, v46
.LBB926_313:                            ;   in Loop: Header=BB926_213 Depth=1
	s_or_b64 exec, exec, s[20:21]
.LBB926_314:                            ;   in Loop: Header=BB926_213 Depth=1
	s_or_b64 exec, exec, s[18:19]
.LBB926_315:                            ;   in Loop: Header=BB926_213 Depth=1
	s_or_b64 exec, exec, s[16:17]
	v_lshrrev_b16_e32 v46, 8, v44
	v_cmp_ne_u16_e32 vcc, 0, v46
	s_and_saveexec_b64 s[16:17], vcc
	s_cbranch_execz .LBB926_321
; %bb.316:                              ;   in Loop: Header=BB926_213 Depth=1
	v_cmp_ne_u16_e32 vcc, s9, v46
	v_mov_b32_e32 v47, 0xffff8000
	s_and_saveexec_b64 s[18:19], vcc
	s_cbranch_execz .LBB926_320
; %bb.317:                              ;   in Loop: Header=BB926_213 Depth=1
	v_and_b32_e32 v49, 0x7f, v46
	v_cmp_ne_u32_e32 vcc, s24, v49
	v_mov_b32_e32 v47, 0x7f80
	s_and_saveexec_b64 s[20:21], vcc
	s_cbranch_execz .LBB926_319
; %bb.318:                              ;   in Loop: Header=BB926_213 Depth=1
	v_and_b32_e32 v59, 7, v46
	v_ffbh_u32_e32 v47, v59
	v_min_u32_e32 v61, 32, v47
	v_subrev_u32_e32 v47, 28, v61
	v_lshlrev_b64 v[46:47], v47, v[46:47]
	v_lshrrev_b32_e32 v60, 3, v49
	v_sub_u32_e32 v47, 29, v61
	v_and_b32_e32 v46, 7, v46
	v_cmp_gt_u32_e32 vcc, 8, v49
	v_cndmask_b32_e32 v47, v60, v47, vcc
	v_cndmask_b32_e32 v46, v59, v46, vcc
	v_lshlrev_b32_e32 v49, 16, v44
	v_lshlrev_b32_e32 v46, 20, v46
	v_and_b32_e32 v49, 0x80000000, v49
	v_lshl_add_u32 v47, v47, 23, v45
	v_or3_b32 v46, v49, v47, v46
	v_lshrrev_b32_e32 v47, 16, v46
.LBB926_319:                            ;   in Loop: Header=BB926_213 Depth=1
	s_or_b64 exec, exec, s[20:21]
.LBB926_320:                            ;   in Loop: Header=BB926_213 Depth=1
	s_or_b64 exec, exec, s[18:19]
.LBB926_321:                            ;   in Loop: Header=BB926_213 Depth=1
	s_or_b64 exec, exec, s[16:17]
	v_lshrrev_b32_e32 v46, 16, v44
	v_cmp_ne_u16_sdwa s[18:19], v46, v39 src0_sel:BYTE_0 src1_sel:DWORD
	v_mov_b32_e32 v59, 0
	v_mov_b32_e32 v49, 0
	s_and_saveexec_b64 s[16:17], s[18:19]
	s_cbranch_execz .LBB926_327
; %bb.322:                              ;   in Loop: Header=BB926_213 Depth=1
	v_cmp_ne_u16_sdwa s[20:21], v46, s9 src0_sel:BYTE_0 src1_sel:DWORD
	v_mov_b32_e32 v49, 0xffff8000
	s_and_saveexec_b64 s[18:19], s[20:21]
	s_cbranch_execz .LBB926_326
; %bb.323:                              ;   in Loop: Header=BB926_213 Depth=1
	v_bfe_u32 v60, v44, 16, 7
	v_cmp_ne_u32_e32 vcc, s24, v60
	v_mov_b32_e32 v49, 0x7f80
	s_and_saveexec_b64 s[20:21], vcc
	s_cbranch_execz .LBB926_325
; %bb.324:                              ;   in Loop: Header=BB926_213 Depth=1
	v_and_b32_e32 v49, 7, v46
	v_ffbh_u32_e32 v62, v49
	v_min_u32_e32 v64, 32, v62
	v_subrev_u32_e32 v62, 28, v64
	v_lshlrev_b64 v[62:63], v62, v[46:47]
	v_lshrrev_b32_e32 v61, 3, v60
	v_sub_u32_e32 v63, 29, v64
	v_and_b32_e32 v62, 7, v62
	v_cmp_gt_u32_e32 vcc, 8, v60
	v_cndmask_b32_e32 v60, v61, v63, vcc
	v_cndmask_b32_e32 v49, v49, v62, vcc
	v_lshlrev_b32_e32 v46, 24, v46
	v_lshlrev_b32_e32 v49, 20, v49
	v_and_b32_e32 v46, 0x80000000, v46
	v_lshl_add_u32 v60, v60, 23, v45
	v_or3_b32 v46, v46, v60, v49
	v_lshrrev_b32_e32 v49, 16, v46
.LBB926_325:                            ;   in Loop: Header=BB926_213 Depth=1
	s_or_b64 exec, exec, s[20:21]
.LBB926_326:                            ;   in Loop: Header=BB926_213 Depth=1
	s_or_b64 exec, exec, s[18:19]
.LBB926_327:                            ;   in Loop: Header=BB926_213 Depth=1
	s_or_b64 exec, exec, s[16:17]
	v_cmp_lt_u32_e32 vcc, s25, v44
	s_and_saveexec_b64 s[16:17], vcc
	s_cbranch_execz .LBB926_333
; %bb.328:                              ;   in Loop: Header=BB926_213 Depth=1
	v_lshrrev_b32_e32 v46, 24, v44
	v_cmp_ne_u32_e32 vcc, s9, v46
	v_mov_b32_e32 v59, 0xffff8000
	s_and_saveexec_b64 s[18:19], vcc
	s_cbranch_execz .LBB926_332
; %bb.329:                              ;   in Loop: Header=BB926_213 Depth=1
	v_bfe_u32 v44, v44, 24, 7
	v_cmp_ne_u32_e32 vcc, s24, v44
	v_mov_b32_e32 v59, 0x7f80
	s_and_saveexec_b64 s[20:21], vcc
	s_cbranch_execz .LBB926_331
; %bb.330:                              ;   in Loop: Header=BB926_213 Depth=1
	v_and_b32_e32 v59, 7, v46
	v_ffbh_u32_e32 v60, v59
	v_min_u32_e32 v63, 32, v60
	v_subrev_u32_e32 v60, 28, v63
	v_lshlrev_b64 v[60:61], v60, v[46:47]
	v_lshrrev_b32_e32 v62, 3, v44
	v_sub_u32_e32 v61, 29, v63
	v_and_b32_e32 v60, 7, v60
	v_cmp_gt_u32_e32 vcc, 8, v44
	v_cndmask_b32_e32 v44, v62, v61, vcc
	v_cndmask_b32_e32 v59, v59, v60, vcc
	v_lshlrev_b32_e32 v46, 24, v46
	v_lshlrev_b32_e32 v59, 20, v59
	v_and_b32_e32 v46, 0x80000000, v46
	v_lshl_add_u32 v44, v44, 23, v45
	v_or3_b32 v44, v46, v44, v59
	v_lshrrev_b32_e32 v59, 16, v44
.LBB926_331:                            ;   in Loop: Header=BB926_213 Depth=1
	s_or_b64 exec, exec, s[20:21]
.LBB926_332:                            ;   in Loop: Header=BB926_213 Depth=1
	s_or_b64 exec, exec, s[18:19]
.LBB926_333:                            ;   in Loop: Header=BB926_213 Depth=1
	s_or_b64 exec, exec, s[16:17]
	s_waitcnt vmcnt(2)
	v_cmp_ne_u16_sdwa s[18:19], v42, v39 src0_sel:BYTE_0 src1_sel:DWORD
	v_mov_b32_e32 v46, 0
	v_mov_b32_e32 v60, 0
	s_and_saveexec_b64 s[16:17], s[18:19]
	s_cbranch_execz .LBB926_339
; %bb.334:                              ;   in Loop: Header=BB926_213 Depth=1
	v_cmp_ne_u16_sdwa s[20:21], v42, s9 src0_sel:BYTE_0 src1_sel:DWORD
	v_mov_b32_e32 v60, 0xffff8000
	s_and_saveexec_b64 s[18:19], s[20:21]
	s_cbranch_execz .LBB926_338
; %bb.335:                              ;   in Loop: Header=BB926_213 Depth=1
	v_and_b32_e32 v44, 0x7f, v42
	v_cmp_ne_u32_e32 vcc, s24, v44
	v_mov_b32_e32 v60, 0x7f80
	s_and_saveexec_b64 s[20:21], vcc
	s_cbranch_execz .LBB926_337
; %bb.336:                              ;   in Loop: Header=BB926_213 Depth=1
	v_and_b32_e32 v62, 7, v42
	v_ffbh_u32_e32 v60, v62
	v_min_u32_e32 v64, 32, v60
	v_subrev_u32_e32 v60, 28, v64
	v_lshlrev_b64 v[60:61], v60, v[42:43]
	v_lshrrev_b32_e32 v63, 3, v44
	v_sub_u32_e32 v61, 29, v64
	v_and_b32_e32 v60, 7, v60
	v_cmp_gt_u32_e32 vcc, 8, v44
	v_cndmask_b32_e32 v44, v63, v61, vcc
	v_cndmask_b32_e32 v60, v62, v60, vcc
	v_lshlrev_b32_e32 v61, 24, v42
	v_lshlrev_b32_e32 v60, 20, v60
	v_and_b32_e32 v61, 0x80000000, v61
	v_lshl_add_u32 v44, v44, 23, v45
	v_or3_b32 v44, v61, v44, v60
	v_lshrrev_b32_e32 v60, 16, v44
.LBB926_337:                            ;   in Loop: Header=BB926_213 Depth=1
	s_or_b64 exec, exec, s[20:21]
.LBB926_338:                            ;   in Loop: Header=BB926_213 Depth=1
	s_or_b64 exec, exec, s[18:19]
.LBB926_339:                            ;   in Loop: Header=BB926_213 Depth=1
	s_or_b64 exec, exec, s[16:17]
	v_lshrrev_b16_e32 v44, 8, v42
	v_cmp_ne_u16_e32 vcc, 0, v44
	s_and_saveexec_b64 s[16:17], vcc
	s_cbranch_execz .LBB926_345
; %bb.340:                              ;   in Loop: Header=BB926_213 Depth=1
	v_cmp_ne_u16_e32 vcc, s9, v44
	v_mov_b32_e32 v46, 0xffff8000
	s_and_saveexec_b64 s[18:19], vcc
	s_cbranch_execz .LBB926_344
; %bb.341:                              ;   in Loop: Header=BB926_213 Depth=1
	v_and_b32_e32 v61, 0x7f, v44
	v_cmp_ne_u32_e32 vcc, s24, v61
	v_mov_b32_e32 v46, 0x7f80
	s_and_saveexec_b64 s[20:21], vcc
	s_cbranch_execz .LBB926_343
; %bb.342:                              ;   in Loop: Header=BB926_213 Depth=1
	v_and_b32_e32 v46, 7, v44
	v_ffbh_u32_e32 v62, v46
	v_min_u32_e32 v65, 32, v62
	v_subrev_u32_e32 v62, 28, v65
	v_lshlrev_b64 v[62:63], v62, v[44:45]
	v_lshrrev_b32_e32 v64, 3, v61
	v_sub_u32_e32 v44, 29, v65
	v_and_b32_e32 v62, 7, v62
	v_cmp_gt_u32_e32 vcc, 8, v61
	v_cndmask_b32_e32 v44, v64, v44, vcc
	v_cndmask_b32_e32 v46, v46, v62, vcc
	v_lshlrev_b32_e32 v61, 16, v42
	v_lshlrev_b32_e32 v46, 20, v46
	v_and_b32_e32 v61, 0x80000000, v61
	v_lshl_add_u32 v44, v44, 23, v45
	v_or3_b32 v44, v61, v44, v46
	v_lshrrev_b32_e32 v46, 16, v44
.LBB926_343:                            ;   in Loop: Header=BB926_213 Depth=1
	s_or_b64 exec, exec, s[20:21]
.LBB926_344:                            ;   in Loop: Header=BB926_213 Depth=1
	s_or_b64 exec, exec, s[18:19]
.LBB926_345:                            ;   in Loop: Header=BB926_213 Depth=1
	s_or_b64 exec, exec, s[16:17]
	v_lshrrev_b32_e32 v44, 16, v42
	v_cmp_ne_u16_sdwa s[18:19], v44, v39 src0_sel:BYTE_0 src1_sel:DWORD
	v_mov_b32_e32 v62, 0
	v_mov_b32_e32 v61, 0
	s_and_saveexec_b64 s[16:17], s[18:19]
	s_cbranch_execz .LBB926_351
; %bb.346:                              ;   in Loop: Header=BB926_213 Depth=1
	v_cmp_ne_u16_sdwa s[20:21], v44, s9 src0_sel:BYTE_0 src1_sel:DWORD
	v_mov_b32_e32 v61, 0xffff8000
	s_and_saveexec_b64 s[18:19], s[20:21]
	s_cbranch_execz .LBB926_350
; %bb.347:                              ;   in Loop: Header=BB926_213 Depth=1
	v_bfe_u32 v63, v42, 16, 7
	v_cmp_ne_u32_e32 vcc, s24, v63
	v_mov_b32_e32 v61, 0x7f80
	s_and_saveexec_b64 s[20:21], vcc
	s_cbranch_execz .LBB926_349
; %bb.348:                              ;   in Loop: Header=BB926_213 Depth=1
	v_and_b32_e32 v61, 7, v44
	v_ffbh_u32_e32 v64, v61
	v_min_u32_e32 v67, 32, v64
	v_subrev_u32_e32 v64, 28, v67
	v_lshlrev_b64 v[64:65], v64, v[44:45]
	v_lshrrev_b32_e32 v66, 3, v63
	v_sub_u32_e32 v65, 29, v67
	v_and_b32_e32 v64, 7, v64
	v_cmp_gt_u32_e32 vcc, 8, v63
	v_cndmask_b32_e32 v63, v66, v65, vcc
	v_cndmask_b32_e32 v61, v61, v64, vcc
	v_lshlrev_b32_e32 v44, 24, v44
	v_lshlrev_b32_e32 v61, 20, v61
	v_and_b32_e32 v44, 0x80000000, v44
	v_lshl_add_u32 v63, v63, 23, v45
	v_or3_b32 v44, v44, v63, v61
	v_lshrrev_b32_e32 v61, 16, v44
.LBB926_349:                            ;   in Loop: Header=BB926_213 Depth=1
	s_or_b64 exec, exec, s[20:21]
.LBB926_350:                            ;   in Loop: Header=BB926_213 Depth=1
	s_or_b64 exec, exec, s[18:19]
.LBB926_351:                            ;   in Loop: Header=BB926_213 Depth=1
	s_or_b64 exec, exec, s[16:17]
	v_cmp_lt_u32_e32 vcc, s25, v42
	s_and_saveexec_b64 s[16:17], vcc
	s_cbranch_execz .LBB926_357
; %bb.352:                              ;   in Loop: Header=BB926_213 Depth=1
	v_lshrrev_b32_e32 v44, 24, v42
	v_cmp_ne_u32_e32 vcc, s9, v44
	v_mov_b32_e32 v62, 0xffff8000
	s_and_saveexec_b64 s[18:19], vcc
	s_cbranch_execz .LBB926_356
; %bb.353:                              ;   in Loop: Header=BB926_213 Depth=1
	v_bfe_u32 v42, v42, 24, 7
	v_cmp_ne_u32_e32 vcc, s24, v42
	v_mov_b32_e32 v62, 0x7f80
	s_and_saveexec_b64 s[20:21], vcc
	s_cbranch_execz .LBB926_355
; %bb.354:                              ;   in Loop: Header=BB926_213 Depth=1
	v_and_b32_e32 v64, 7, v44
	v_ffbh_u32_e32 v62, v64
	v_min_u32_e32 v66, 32, v62
	v_subrev_u32_e32 v62, 28, v66
	v_lshlrev_b64 v[62:63], v62, v[44:45]
	v_lshrrev_b32_e32 v65, 3, v42
	v_sub_u32_e32 v63, 29, v66
	v_and_b32_e32 v62, 7, v62
	v_cmp_gt_u32_e32 vcc, 8, v42
	v_cndmask_b32_e32 v42, v65, v63, vcc
	v_cndmask_b32_e32 v62, v64, v62, vcc
	v_lshlrev_b32_e32 v44, 24, v44
	v_lshlrev_b32_e32 v62, 20, v62
	v_and_b32_e32 v44, 0x80000000, v44
	v_lshl_add_u32 v42, v42, 23, v45
	v_or3_b32 v42, v44, v42, v62
	v_lshrrev_b32_e32 v62, 16, v42
.LBB926_355:                            ;   in Loop: Header=BB926_213 Depth=1
	s_or_b64 exec, exec, s[20:21]
.LBB926_356:                            ;   in Loop: Header=BB926_213 Depth=1
	s_or_b64 exec, exec, s[18:19]
.LBB926_357:                            ;   in Loop: Header=BB926_213 Depth=1
	s_or_b64 exec, exec, s[16:17]
	v_perm_b32 v49, v59, v49, s26
	v_perm_b32 v48, v47, v48, s26
	s_waitcnt vmcnt(1)
	v_cmp_ne_u16_sdwa s[18:19], v40, v39 src0_sel:BYTE_0 src1_sel:DWORD
	v_mov_b32_e32 v44, 0
	v_mfma_f32_16x16x16bf16_1k v[34:37], v[48:49], v[10:11], v[34:37]
	v_perm_b32 v49, v62, v61, s26
	v_perm_b32 v48, v46, v60, s26
	v_mov_b32_e32 v46, 0
	s_nop 0
	v_mfma_f32_16x16x16bf16_1k v[34:37], v[48:49], v[12:13], v[34:37]
	s_and_saveexec_b64 s[16:17], s[18:19]
	s_cbranch_execz .LBB926_363
; %bb.358:                              ;   in Loop: Header=BB926_213 Depth=1
	v_cmp_ne_u16_sdwa s[20:21], v40, s9 src0_sel:BYTE_0 src1_sel:DWORD
	v_mov_b32_e32 v46, 0xffff8000
	s_and_saveexec_b64 s[18:19], s[20:21]
	s_cbranch_execz .LBB926_362
; %bb.359:                              ;   in Loop: Header=BB926_213 Depth=1
	v_and_b32_e32 v42, 0x7f, v40
	v_cmp_ne_u32_e32 vcc, s24, v42
	v_mov_b32_e32 v46, 0x7f80
	s_and_saveexec_b64 s[20:21], vcc
	s_cbranch_execz .LBB926_361
; %bb.360:                              ;   in Loop: Header=BB926_213 Depth=1
	v_and_b32_e32 v48, 7, v40
	v_ffbh_u32_e32 v46, v48
	v_min_u32_e32 v59, 32, v46
	v_subrev_u32_e32 v46, 28, v59
	v_lshlrev_b64 v[46:47], v46, v[40:41]
	v_lshrrev_b32_e32 v49, 3, v42
	v_sub_u32_e32 v47, 29, v59
	v_and_b32_e32 v46, 7, v46
	v_cmp_gt_u32_e32 vcc, 8, v42
	v_cndmask_b32_e32 v42, v49, v47, vcc
	v_cndmask_b32_e32 v46, v48, v46, vcc
	v_lshlrev_b32_e32 v47, 24, v40
	v_lshlrev_b32_e32 v46, 20, v46
	v_and_b32_e32 v47, 0x80000000, v47
	v_lshl_add_u32 v42, v42, 23, v45
	v_or3_b32 v42, v47, v42, v46
	v_lshrrev_b32_e32 v46, 16, v42
.LBB926_361:                            ;   in Loop: Header=BB926_213 Depth=1
	s_or_b64 exec, exec, s[20:21]
.LBB926_362:                            ;   in Loop: Header=BB926_213 Depth=1
	s_or_b64 exec, exec, s[18:19]
.LBB926_363:                            ;   in Loop: Header=BB926_213 Depth=1
	s_or_b64 exec, exec, s[16:17]
	v_lshrrev_b16_e32 v42, 8, v40
	v_cmp_ne_u16_e32 vcc, 0, v42
	s_and_saveexec_b64 s[16:17], vcc
	s_cbranch_execz .LBB926_369
; %bb.364:                              ;   in Loop: Header=BB926_213 Depth=1
	v_cmp_ne_u16_e32 vcc, s9, v42
	v_mov_b32_e32 v44, 0xffff8000
	s_and_saveexec_b64 s[18:19], vcc
	s_cbranch_execz .LBB926_368
; %bb.365:                              ;   in Loop: Header=BB926_213 Depth=1
	v_and_b32_e32 v47, 0x7f, v42
	v_cmp_ne_u32_e32 vcc, s24, v47
	v_mov_b32_e32 v44, 0x7f80
	s_and_saveexec_b64 s[20:21], vcc
	s_cbranch_execz .LBB926_367
; %bb.366:                              ;   in Loop: Header=BB926_213 Depth=1
	v_and_b32_e32 v44, 7, v42
	v_ffbh_u32_e32 v48, v44
	v_min_u32_e32 v60, 32, v48
	v_subrev_u32_e32 v48, 28, v60
	v_lshlrev_b64 v[48:49], v48, v[42:43]
	v_lshrrev_b32_e32 v59, 3, v47
	v_sub_u32_e32 v42, 29, v60
	v_and_b32_e32 v48, 7, v48
	v_cmp_gt_u32_e32 vcc, 8, v47
	v_cndmask_b32_e32 v42, v59, v42, vcc
	v_cndmask_b32_e32 v44, v44, v48, vcc
	v_lshlrev_b32_e32 v47, 16, v40
	v_lshlrev_b32_e32 v44, 20, v44
	v_and_b32_e32 v47, 0x80000000, v47
	v_lshl_add_u32 v42, v42, 23, v45
	v_or3_b32 v42, v47, v42, v44
	v_lshrrev_b32_e32 v44, 16, v42
.LBB926_367:                            ;   in Loop: Header=BB926_213 Depth=1
	s_or_b64 exec, exec, s[20:21]
.LBB926_368:                            ;   in Loop: Header=BB926_213 Depth=1
	s_or_b64 exec, exec, s[18:19]
.LBB926_369:                            ;   in Loop: Header=BB926_213 Depth=1
	s_or_b64 exec, exec, s[16:17]
	v_lshrrev_b32_e32 v42, 16, v40
	v_cmp_ne_u16_sdwa s[18:19], v42, v39 src0_sel:BYTE_0 src1_sel:DWORD
	v_mov_b32_e32 v48, 0
	v_mov_b32_e32 v47, 0
	s_and_saveexec_b64 s[16:17], s[18:19]
	s_cbranch_execz .LBB926_375
; %bb.370:                              ;   in Loop: Header=BB926_213 Depth=1
	v_cmp_ne_u16_sdwa s[20:21], v42, s9 src0_sel:BYTE_0 src1_sel:DWORD
	v_mov_b32_e32 v47, 0xffff8000
	s_and_saveexec_b64 s[18:19], s[20:21]
	s_cbranch_execz .LBB926_374
; %bb.371:                              ;   in Loop: Header=BB926_213 Depth=1
	v_bfe_u32 v49, v40, 16, 7
	v_cmp_ne_u32_e32 vcc, s24, v49
	v_mov_b32_e32 v47, 0x7f80
	s_and_saveexec_b64 s[20:21], vcc
	s_cbranch_execz .LBB926_373
; %bb.372:                              ;   in Loop: Header=BB926_213 Depth=1
	v_and_b32_e32 v47, 7, v42
	v_ffbh_u32_e32 v60, v47
	v_min_u32_e32 v62, 32, v60
	v_subrev_u32_e32 v60, 28, v62
	v_lshlrev_b64 v[60:61], v60, v[42:43]
	v_lshrrev_b32_e32 v59, 3, v49
	v_sub_u32_e32 v61, 29, v62
	v_and_b32_e32 v60, 7, v60
	v_cmp_gt_u32_e32 vcc, 8, v49
	v_cndmask_b32_e32 v49, v59, v61, vcc
	v_cndmask_b32_e32 v47, v47, v60, vcc
	v_lshlrev_b32_e32 v42, 24, v42
	v_lshlrev_b32_e32 v47, 20, v47
	v_and_b32_e32 v42, 0x80000000, v42
	v_lshl_add_u32 v49, v49, 23, v45
	v_or3_b32 v42, v42, v49, v47
	v_lshrrev_b32_e32 v47, 16, v42
.LBB926_373:                            ;   in Loop: Header=BB926_213 Depth=1
	s_or_b64 exec, exec, s[20:21]
.LBB926_374:                            ;   in Loop: Header=BB926_213 Depth=1
	s_or_b64 exec, exec, s[18:19]
.LBB926_375:                            ;   in Loop: Header=BB926_213 Depth=1
	s_or_b64 exec, exec, s[16:17]
	v_cmp_lt_u32_e32 vcc, s25, v40
	s_and_saveexec_b64 s[16:17], vcc
	s_cbranch_execz .LBB926_381
; %bb.376:                              ;   in Loop: Header=BB926_213 Depth=1
	v_lshrrev_b32_e32 v42, 24, v40
	v_cmp_ne_u32_e32 vcc, s9, v42
	v_mov_b32_e32 v48, 0xffff8000
	s_and_saveexec_b64 s[18:19], vcc
	s_cbranch_execz .LBB926_380
; %bb.377:                              ;   in Loop: Header=BB926_213 Depth=1
	v_bfe_u32 v40, v40, 24, 7
	v_cmp_ne_u32_e32 vcc, s24, v40
	v_mov_b32_e32 v48, 0x7f80
	s_and_saveexec_b64 s[20:21], vcc
	s_cbranch_execz .LBB926_379
; %bb.378:                              ;   in Loop: Header=BB926_213 Depth=1
	v_and_b32_e32 v59, 7, v42
	v_ffbh_u32_e32 v48, v59
	v_min_u32_e32 v61, 32, v48
	v_subrev_u32_e32 v48, 28, v61
	v_lshlrev_b64 v[48:49], v48, v[42:43]
	v_lshrrev_b32_e32 v60, 3, v40
	v_sub_u32_e32 v49, 29, v61
	v_and_b32_e32 v48, 7, v48
	v_cmp_gt_u32_e32 vcc, 8, v40
	v_cndmask_b32_e32 v40, v60, v49, vcc
	v_cndmask_b32_e32 v48, v59, v48, vcc
	v_lshlrev_b32_e32 v42, 24, v42
	v_lshlrev_b32_e32 v48, 20, v48
	v_and_b32_e32 v42, 0x80000000, v42
	v_lshl_add_u32 v40, v40, 23, v45
	v_or3_b32 v40, v42, v40, v48
	v_lshrrev_b32_e32 v48, 16, v40
.LBB926_379:                            ;   in Loop: Header=BB926_213 Depth=1
	s_or_b64 exec, exec, s[20:21]
.LBB926_380:                            ;   in Loop: Header=BB926_213 Depth=1
	s_or_b64 exec, exec, s[18:19]
.LBB926_381:                            ;   in Loop: Header=BB926_213 Depth=1
	s_or_b64 exec, exec, s[16:17]
	s_waitcnt vmcnt(0)
	v_cmp_ne_u16_sdwa s[18:19], v38, v39 src0_sel:BYTE_0 src1_sel:DWORD
	v_mov_b32_e32 v49, 0
	v_mov_b32_e32 v59, 0
	s_and_saveexec_b64 s[16:17], s[18:19]
	s_cbranch_execz .LBB926_387
; %bb.382:                              ;   in Loop: Header=BB926_213 Depth=1
	v_cmp_ne_u16_sdwa s[20:21], v38, s9 src0_sel:BYTE_0 src1_sel:DWORD
	v_mov_b32_e32 v59, 0xffff8000
	s_and_saveexec_b64 s[18:19], s[20:21]
	s_cbranch_execz .LBB926_386
; %bb.383:                              ;   in Loop: Header=BB926_213 Depth=1
	v_and_b32_e32 v40, 0x7f, v38
	v_cmp_ne_u32_e32 vcc, s24, v40
	v_mov_b32_e32 v59, 0x7f80
	s_and_saveexec_b64 s[20:21], vcc
	s_cbranch_execz .LBB926_385
; %bb.384:                              ;   in Loop: Header=BB926_213 Depth=1
	v_and_b32_e32 v42, 7, v38
	v_ffbh_u32_e32 v60, v42
	v_min_u32_e32 v62, 32, v60
	v_subrev_u32_e32 v60, 28, v62
	v_lshlrev_b64 v[60:61], v60, v[38:39]
	v_lshrrev_b32_e32 v59, 3, v40
	v_sub_u32_e32 v61, 29, v62
	v_and_b32_e32 v60, 7, v60
	v_cmp_gt_u32_e32 vcc, 8, v40
	v_cndmask_b32_e32 v40, v59, v61, vcc
	v_cndmask_b32_e32 v42, v42, v60, vcc
	v_lshlrev_b32_e32 v59, 24, v38
	v_lshlrev_b32_e32 v42, 20, v42
	v_and_b32_e32 v59, 0x80000000, v59
	v_lshl_add_u32 v40, v40, 23, v45
	v_or3_b32 v40, v59, v40, v42
	v_lshrrev_b32_e32 v59, 16, v40
.LBB926_385:                            ;   in Loop: Header=BB926_213 Depth=1
	s_or_b64 exec, exec, s[20:21]
.LBB926_386:                            ;   in Loop: Header=BB926_213 Depth=1
	s_or_b64 exec, exec, s[18:19]
.LBB926_387:                            ;   in Loop: Header=BB926_213 Depth=1
	s_or_b64 exec, exec, s[16:17]
	v_lshrrev_b16_e32 v40, 8, v38
	v_cmp_ne_u16_e32 vcc, 0, v40
	s_and_saveexec_b64 s[16:17], vcc
	s_cbranch_execz .LBB926_393
; %bb.388:                              ;   in Loop: Header=BB926_213 Depth=1
	v_cmp_ne_u16_e32 vcc, s9, v40
	v_mov_b32_e32 v49, 0xffff8000
	s_and_saveexec_b64 s[18:19], vcc
	s_cbranch_execz .LBB926_392
; %bb.389:                              ;   in Loop: Header=BB926_213 Depth=1
	v_and_b32_e32 v42, 0x7f, v40
	v_cmp_ne_u32_e32 vcc, s24, v42
	v_mov_b32_e32 v49, 0x7f80
	s_and_saveexec_b64 s[20:21], vcc
	s_cbranch_execz .LBB926_391
; %bb.390:                              ;   in Loop: Header=BB926_213 Depth=1
	v_and_b32_e32 v49, 7, v40
	v_ffbh_u32_e32 v60, v49
	v_min_u32_e32 v63, 32, v60
	v_subrev_u32_e32 v60, 28, v63
	v_lshlrev_b64 v[60:61], v60, v[40:41]
	v_lshrrev_b32_e32 v62, 3, v42
	v_sub_u32_e32 v40, 29, v63
	v_and_b32_e32 v60, 7, v60
	v_cmp_gt_u32_e32 vcc, 8, v42
	v_cndmask_b32_e32 v40, v62, v40, vcc
	v_cndmask_b32_e32 v42, v49, v60, vcc
	v_lshlrev_b32_e32 v49, 16, v38
	v_lshlrev_b32_e32 v42, 20, v42
	v_and_b32_e32 v49, 0x80000000, v49
	v_lshl_add_u32 v40, v40, 23, v45
	v_or3_b32 v40, v49, v40, v42
	v_lshrrev_b32_e32 v49, 16, v40
.LBB926_391:                            ;   in Loop: Header=BB926_213 Depth=1
	s_or_b64 exec, exec, s[20:21]
.LBB926_392:                            ;   in Loop: Header=BB926_213 Depth=1
	s_or_b64 exec, exec, s[18:19]
.LBB926_393:                            ;   in Loop: Header=BB926_213 Depth=1
	s_or_b64 exec, exec, s[16:17]
	v_lshrrev_b32_e32 v40, 16, v38
	v_cmp_ne_u16_sdwa s[18:19], v40, v39 src0_sel:BYTE_0 src1_sel:DWORD
	v_mov_b32_e32 v61, 0
	v_mov_b32_e32 v60, 0
	s_and_saveexec_b64 s[16:17], s[18:19]
	s_cbranch_execz .LBB926_399
; %bb.394:                              ;   in Loop: Header=BB926_213 Depth=1
	v_cmp_ne_u16_sdwa s[20:21], v40, s9 src0_sel:BYTE_0 src1_sel:DWORD
	v_mov_b32_e32 v60, 0xffff8000
	s_and_saveexec_b64 s[18:19], s[20:21]
	s_cbranch_execz .LBB926_398
; %bb.395:                              ;   in Loop: Header=BB926_213 Depth=1
	v_bfe_u32 v42, v38, 16, 7
	v_cmp_ne_u32_e32 vcc, s24, v42
	v_mov_b32_e32 v60, 0x7f80
	s_and_saveexec_b64 s[20:21], vcc
	s_cbranch_execz .LBB926_397
; %bb.396:                              ;   in Loop: Header=BB926_213 Depth=1
	v_and_b32_e32 v60, 7, v40
	v_ffbh_u32_e32 v62, v60
	v_min_u32_e32 v65, 32, v62
	v_subrev_u32_e32 v62, 28, v65
	v_lshlrev_b64 v[62:63], v62, v[40:41]
	v_lshrrev_b32_e32 v64, 3, v42
	v_sub_u32_e32 v63, 29, v65
	v_and_b32_e32 v62, 7, v62
	v_cmp_gt_u32_e32 vcc, 8, v42
	v_cndmask_b32_e32 v42, v64, v63, vcc
	v_cndmask_b32_e32 v60, v60, v62, vcc
	v_lshlrev_b32_e32 v40, 24, v40
	v_lshlrev_b32_e32 v60, 20, v60
	v_and_b32_e32 v40, 0x80000000, v40
	v_lshl_add_u32 v42, v42, 23, v45
	v_or3_b32 v40, v40, v42, v60
	v_lshrrev_b32_e32 v60, 16, v40
.LBB926_397:                            ;   in Loop: Header=BB926_213 Depth=1
	s_or_b64 exec, exec, s[20:21]
.LBB926_398:                            ;   in Loop: Header=BB926_213 Depth=1
	s_or_b64 exec, exec, s[18:19]
.LBB926_399:                            ;   in Loop: Header=BB926_213 Depth=1
	s_or_b64 exec, exec, s[16:17]
	v_cmp_lt_u32_e32 vcc, s25, v38
	s_and_saveexec_b64 s[16:17], vcc
	s_cbranch_execz .LBB926_405
; %bb.400:                              ;   in Loop: Header=BB926_213 Depth=1
	v_lshrrev_b32_e32 v40, 24, v38
	v_cmp_ne_u32_e32 vcc, s9, v40
	v_mov_b32_e32 v61, 0xffff8000
	s_and_saveexec_b64 s[18:19], vcc
	s_cbranch_execz .LBB926_404
; %bb.401:                              ;   in Loop: Header=BB926_213 Depth=1
	v_bfe_u32 v38, v38, 24, 7
	v_cmp_ne_u32_e32 vcc, s24, v38
	v_mov_b32_e32 v61, 0x7f80
	s_and_saveexec_b64 s[20:21], vcc
	s_cbranch_execz .LBB926_403
; %bb.402:                              ;   in Loop: Header=BB926_213 Depth=1
	v_and_b32_e32 v42, 7, v40
	v_ffbh_u32_e32 v62, v42
	v_min_u32_e32 v64, 32, v62
	v_subrev_u32_e32 v62, 28, v64
	v_lshlrev_b64 v[62:63], v62, v[40:41]
	v_lshrrev_b32_e32 v61, 3, v38
	v_sub_u32_e32 v63, 29, v64
	v_and_b32_e32 v62, 7, v62
	v_cmp_gt_u32_e32 vcc, 8, v38
	v_cndmask_b32_e32 v38, v61, v63, vcc
	v_cndmask_b32_e32 v42, v42, v62, vcc
	v_lshlrev_b32_e32 v40, 24, v40
	v_lshlrev_b32_e32 v42, 20, v42
	v_and_b32_e32 v40, 0x80000000, v40
	v_lshl_add_u32 v38, v38, 23, v45
	v_or3_b32 v38, v40, v38, v42
	v_lshrrev_b32_e32 v61, 16, v38
.LBB926_403:                            ;   in Loop: Header=BB926_213 Depth=1
	s_or_b64 exec, exec, s[20:21]
.LBB926_404:                            ;   in Loop: Header=BB926_213 Depth=1
	s_or_b64 exec, exec, s[18:19]
.LBB926_405:                            ;   in Loop: Header=BB926_213 Depth=1
	s_or_b64 exec, exec, s[16:17]
	v_perm_b32 v46, v44, v46, s26
	buffer_load_dword v44, v58, s[0:3], 0 offen
	buffer_load_dword v42, v58, s[0:3], 0 offen offset:4
	buffer_load_dword v40, v58, s[0:3], 0 offen offset:8
	;; [unrolled: 1-line block ×3, first 2 shown]
	v_perm_b32 v47, v48, v47, s26
	v_mov_b32_e32 v48, 0
	s_waitcnt vmcnt(3)
	v_cmp_ne_u16_sdwa s[18:19], v44, v39 src0_sel:BYTE_0 src1_sel:DWORD
	v_mfma_f32_16x16x16bf16_1k v[34:37], v[46:47], v[14:15], v[34:37]
	v_perm_b32 v47, v61, v60, s26
	v_perm_b32 v46, v49, v59, s26
	s_nop 1
	v_mfma_f32_16x16x16bf16_1k v[34:37], v[46:47], v[16:17], v[34:37]
	v_mov_b32_e32 v47, 0
	s_and_saveexec_b64 s[16:17], s[18:19]
	s_cbranch_execz .LBB926_411
; %bb.406:                              ;   in Loop: Header=BB926_213 Depth=1
	v_cmp_ne_u16_sdwa s[20:21], v44, s9 src0_sel:BYTE_0 src1_sel:DWORD
	v_mov_b32_e32 v48, 0xffff8000
	s_and_saveexec_b64 s[18:19], s[20:21]
	s_cbranch_execz .LBB926_410
; %bb.407:                              ;   in Loop: Header=BB926_213 Depth=1
	v_and_b32_e32 v46, 0x7f, v44
	v_cmp_ne_u32_e32 vcc, s24, v46
	v_mov_b32_e32 v48, 0x7f80
	s_and_saveexec_b64 s[20:21], vcc
	s_cbranch_execz .LBB926_409
; %bb.408:                              ;   in Loop: Header=BB926_213 Depth=1
	v_and_b32_e32 v58, 7, v44
	v_ffbh_u32_e32 v48, v58
	v_min_u32_e32 v60, 32, v48
	v_subrev_u32_e32 v48, 28, v60
	v_lshlrev_b64 v[48:49], v48, v[44:45]
	v_lshrrev_b32_e32 v59, 3, v46
	v_sub_u32_e32 v49, 29, v60
	v_and_b32_e32 v48, 7, v48
	v_cmp_gt_u32_e32 vcc, 8, v46
	v_cndmask_b32_e32 v46, v59, v49, vcc
	v_cndmask_b32_e32 v48, v58, v48, vcc
	v_lshlrev_b32_e32 v49, 24, v44
	v_lshlrev_b32_e32 v48, 20, v48
	v_and_b32_e32 v49, 0x80000000, v49
	v_lshl_add_u32 v46, v46, 23, v45
	v_or3_b32 v46, v49, v46, v48
	v_lshrrev_b32_e32 v48, 16, v46
.LBB926_409:                            ;   in Loop: Header=BB926_213 Depth=1
	s_or_b64 exec, exec, s[20:21]
.LBB926_410:                            ;   in Loop: Header=BB926_213 Depth=1
	s_or_b64 exec, exec, s[18:19]
.LBB926_411:                            ;   in Loop: Header=BB926_213 Depth=1
	s_or_b64 exec, exec, s[16:17]
	v_lshrrev_b16_e32 v46, 8, v44
	v_cmp_ne_u16_e32 vcc, 0, v46
	s_and_saveexec_b64 s[16:17], vcc
	s_cbranch_execz .LBB926_417
; %bb.412:                              ;   in Loop: Header=BB926_213 Depth=1
	v_cmp_ne_u16_e32 vcc, s9, v46
	v_mov_b32_e32 v47, 0xffff8000
	s_and_saveexec_b64 s[18:19], vcc
	s_cbranch_execz .LBB926_416
; %bb.413:                              ;   in Loop: Header=BB926_213 Depth=1
	v_and_b32_e32 v49, 0x7f, v46
	v_cmp_ne_u32_e32 vcc, s24, v49
	v_mov_b32_e32 v47, 0x7f80
	s_and_saveexec_b64 s[20:21], vcc
	s_cbranch_execz .LBB926_415
; %bb.414:                              ;   in Loop: Header=BB926_213 Depth=1
	v_and_b32_e32 v58, 7, v46
	v_ffbh_u32_e32 v47, v58
	v_min_u32_e32 v60, 32, v47
	v_subrev_u32_e32 v47, 28, v60
	v_lshlrev_b64 v[46:47], v47, v[46:47]
	v_lshrrev_b32_e32 v59, 3, v49
	v_sub_u32_e32 v47, 29, v60
	v_and_b32_e32 v46, 7, v46
	v_cmp_gt_u32_e32 vcc, 8, v49
	v_cndmask_b32_e32 v47, v59, v47, vcc
	v_cndmask_b32_e32 v46, v58, v46, vcc
	v_lshlrev_b32_e32 v49, 16, v44
	v_lshlrev_b32_e32 v46, 20, v46
	v_and_b32_e32 v49, 0x80000000, v49
	v_lshl_add_u32 v47, v47, 23, v45
	v_or3_b32 v46, v49, v47, v46
	v_lshrrev_b32_e32 v47, 16, v46
.LBB926_415:                            ;   in Loop: Header=BB926_213 Depth=1
	s_or_b64 exec, exec, s[20:21]
.LBB926_416:                            ;   in Loop: Header=BB926_213 Depth=1
	s_or_b64 exec, exec, s[18:19]
.LBB926_417:                            ;   in Loop: Header=BB926_213 Depth=1
	s_or_b64 exec, exec, s[16:17]
	v_lshrrev_b32_e32 v46, 16, v44
	v_cmp_ne_u16_sdwa s[18:19], v46, v39 src0_sel:BYTE_0 src1_sel:DWORD
	v_mov_b32_e32 v58, 0
	v_mov_b32_e32 v49, 0
	s_and_saveexec_b64 s[16:17], s[18:19]
	s_cbranch_execz .LBB926_423
; %bb.418:                              ;   in Loop: Header=BB926_213 Depth=1
	v_cmp_ne_u16_sdwa s[20:21], v46, s9 src0_sel:BYTE_0 src1_sel:DWORD
	v_mov_b32_e32 v49, 0xffff8000
	s_and_saveexec_b64 s[18:19], s[20:21]
	s_cbranch_execz .LBB926_422
; %bb.419:                              ;   in Loop: Header=BB926_213 Depth=1
	v_bfe_u32 v59, v44, 16, 7
	v_cmp_ne_u32_e32 vcc, s24, v59
	v_mov_b32_e32 v49, 0x7f80
	s_and_saveexec_b64 s[20:21], vcc
	s_cbranch_execz .LBB926_421
; %bb.420:                              ;   in Loop: Header=BB926_213 Depth=1
	v_and_b32_e32 v49, 7, v46
	v_ffbh_u32_e32 v60, v49
	v_min_u32_e32 v63, 32, v60
	v_subrev_u32_e32 v60, 28, v63
	v_lshlrev_b64 v[60:61], v60, v[46:47]
	v_lshrrev_b32_e32 v62, 3, v59
	v_sub_u32_e32 v61, 29, v63
	v_and_b32_e32 v60, 7, v60
	v_cmp_gt_u32_e32 vcc, 8, v59
	v_cndmask_b32_e32 v59, v62, v61, vcc
	v_cndmask_b32_e32 v49, v49, v60, vcc
	v_lshlrev_b32_e32 v46, 24, v46
	v_lshlrev_b32_e32 v49, 20, v49
	v_and_b32_e32 v46, 0x80000000, v46
	v_lshl_add_u32 v59, v59, 23, v45
	v_or3_b32 v46, v46, v59, v49
	v_lshrrev_b32_e32 v49, 16, v46
.LBB926_421:                            ;   in Loop: Header=BB926_213 Depth=1
	s_or_b64 exec, exec, s[20:21]
.LBB926_422:                            ;   in Loop: Header=BB926_213 Depth=1
	s_or_b64 exec, exec, s[18:19]
.LBB926_423:                            ;   in Loop: Header=BB926_213 Depth=1
	s_or_b64 exec, exec, s[16:17]
	v_cmp_lt_u32_e32 vcc, s25, v44
	s_and_saveexec_b64 s[16:17], vcc
	s_cbranch_execz .LBB926_429
; %bb.424:                              ;   in Loop: Header=BB926_213 Depth=1
	v_lshrrev_b32_e32 v46, 24, v44
	v_cmp_ne_u32_e32 vcc, s9, v46
	v_mov_b32_e32 v58, 0xffff8000
	s_and_saveexec_b64 s[18:19], vcc
	s_cbranch_execz .LBB926_428
; %bb.425:                              ;   in Loop: Header=BB926_213 Depth=1
	v_bfe_u32 v44, v44, 24, 7
	v_cmp_ne_u32_e32 vcc, s24, v44
	v_mov_b32_e32 v58, 0x7f80
	s_and_saveexec_b64 s[20:21], vcc
	s_cbranch_execz .LBB926_427
; %bb.426:                              ;   in Loop: Header=BB926_213 Depth=1
	v_and_b32_e32 v60, 7, v46
	v_ffbh_u32_e32 v58, v60
	v_min_u32_e32 v62, 32, v58
	v_subrev_u32_e32 v58, 28, v62
	v_lshlrev_b64 v[58:59], v58, v[46:47]
	v_lshrrev_b32_e32 v61, 3, v44
	v_sub_u32_e32 v59, 29, v62
	v_and_b32_e32 v58, 7, v58
	v_cmp_gt_u32_e32 vcc, 8, v44
	v_cndmask_b32_e32 v44, v61, v59, vcc
	v_cndmask_b32_e32 v58, v60, v58, vcc
	v_lshlrev_b32_e32 v46, 24, v46
	v_lshlrev_b32_e32 v58, 20, v58
	v_and_b32_e32 v46, 0x80000000, v46
	v_lshl_add_u32 v44, v44, 23, v45
	v_or3_b32 v44, v46, v44, v58
	v_lshrrev_b32_e32 v58, 16, v44
.LBB926_427:                            ;   in Loop: Header=BB926_213 Depth=1
	s_or_b64 exec, exec, s[20:21]
.LBB926_428:                            ;   in Loop: Header=BB926_213 Depth=1
	s_or_b64 exec, exec, s[18:19]
.LBB926_429:                            ;   in Loop: Header=BB926_213 Depth=1
	s_or_b64 exec, exec, s[16:17]
	s_waitcnt vmcnt(2)
	v_cmp_ne_u16_sdwa s[18:19], v42, v39 src0_sel:BYTE_0 src1_sel:DWORD
	v_mov_b32_e32 v46, 0
	v_mov_b32_e32 v59, 0
	s_and_saveexec_b64 s[16:17], s[18:19]
	s_cbranch_execz .LBB926_435
; %bb.430:                              ;   in Loop: Header=BB926_213 Depth=1
	v_cmp_ne_u16_sdwa s[20:21], v42, s9 src0_sel:BYTE_0 src1_sel:DWORD
	v_mov_b32_e32 v59, 0xffff8000
	s_and_saveexec_b64 s[18:19], s[20:21]
	s_cbranch_execz .LBB926_434
; %bb.431:                              ;   in Loop: Header=BB926_213 Depth=1
	v_and_b32_e32 v44, 0x7f, v42
	v_cmp_ne_u32_e32 vcc, s24, v44
	v_mov_b32_e32 v59, 0x7f80
	s_and_saveexec_b64 s[20:21], vcc
	s_cbranch_execz .LBB926_433
; %bb.432:                              ;   in Loop: Header=BB926_213 Depth=1
	v_and_b32_e32 v59, 7, v42
	v_ffbh_u32_e32 v60, v59
	v_min_u32_e32 v63, 32, v60
	v_subrev_u32_e32 v60, 28, v63
	v_lshlrev_b64 v[60:61], v60, v[42:43]
	v_lshrrev_b32_e32 v62, 3, v44
	v_sub_u32_e32 v61, 29, v63
	v_and_b32_e32 v60, 7, v60
	v_cmp_gt_u32_e32 vcc, 8, v44
	v_cndmask_b32_e32 v44, v62, v61, vcc
	v_cndmask_b32_e32 v59, v59, v60, vcc
	v_lshlrev_b32_e32 v60, 24, v42
	v_lshlrev_b32_e32 v59, 20, v59
	v_and_b32_e32 v60, 0x80000000, v60
	v_lshl_add_u32 v44, v44, 23, v45
	v_or3_b32 v44, v60, v44, v59
	v_lshrrev_b32_e32 v59, 16, v44
.LBB926_433:                            ;   in Loop: Header=BB926_213 Depth=1
	s_or_b64 exec, exec, s[20:21]
.LBB926_434:                            ;   in Loop: Header=BB926_213 Depth=1
	s_or_b64 exec, exec, s[18:19]
.LBB926_435:                            ;   in Loop: Header=BB926_213 Depth=1
	s_or_b64 exec, exec, s[16:17]
	v_lshrrev_b16_e32 v44, 8, v42
	v_cmp_ne_u16_e32 vcc, 0, v44
	s_and_saveexec_b64 s[16:17], vcc
	s_cbranch_execz .LBB926_441
; %bb.436:                              ;   in Loop: Header=BB926_213 Depth=1
	v_cmp_ne_u16_e32 vcc, s9, v44
	v_mov_b32_e32 v46, 0xffff8000
	s_and_saveexec_b64 s[18:19], vcc
	s_cbranch_execz .LBB926_440
; %bb.437:                              ;   in Loop: Header=BB926_213 Depth=1
	v_and_b32_e32 v60, 0x7f, v44
	v_cmp_ne_u32_e32 vcc, s24, v60
	v_mov_b32_e32 v46, 0x7f80
	s_and_saveexec_b64 s[20:21], vcc
	s_cbranch_execz .LBB926_439
; %bb.438:                              ;   in Loop: Header=BB926_213 Depth=1
	v_and_b32_e32 v46, 7, v44
	v_ffbh_u32_e32 v62, v46
	v_min_u32_e32 v64, 32, v62
	v_subrev_u32_e32 v62, 28, v64
	v_lshlrev_b64 v[62:63], v62, v[44:45]
	v_lshrrev_b32_e32 v61, 3, v60
	v_sub_u32_e32 v44, 29, v64
	v_and_b32_e32 v62, 7, v62
	v_cmp_gt_u32_e32 vcc, 8, v60
	v_cndmask_b32_e32 v44, v61, v44, vcc
	v_cndmask_b32_e32 v46, v46, v62, vcc
	v_lshlrev_b32_e32 v60, 16, v42
	v_lshlrev_b32_e32 v46, 20, v46
	v_and_b32_e32 v60, 0x80000000, v60
	v_lshl_add_u32 v44, v44, 23, v45
	v_or3_b32 v44, v60, v44, v46
	v_lshrrev_b32_e32 v46, 16, v44
.LBB926_439:                            ;   in Loop: Header=BB926_213 Depth=1
	s_or_b64 exec, exec, s[20:21]
.LBB926_440:                            ;   in Loop: Header=BB926_213 Depth=1
	s_or_b64 exec, exec, s[18:19]
.LBB926_441:                            ;   in Loop: Header=BB926_213 Depth=1
	s_or_b64 exec, exec, s[16:17]
	v_lshrrev_b32_e32 v44, 16, v42
	v_cmp_ne_u16_sdwa s[18:19], v44, v39 src0_sel:BYTE_0 src1_sel:DWORD
	v_mov_b32_e32 v61, 0
	v_mov_b32_e32 v60, 0
	s_and_saveexec_b64 s[16:17], s[18:19]
	s_cbranch_execz .LBB926_447
; %bb.442:                              ;   in Loop: Header=BB926_213 Depth=1
	v_cmp_ne_u16_sdwa s[20:21], v44, s9 src0_sel:BYTE_0 src1_sel:DWORD
	v_mov_b32_e32 v60, 0xffff8000
	s_and_saveexec_b64 s[18:19], s[20:21]
	s_cbranch_execz .LBB926_446
; %bb.443:                              ;   in Loop: Header=BB926_213 Depth=1
	v_bfe_u32 v62, v42, 16, 7
	v_cmp_ne_u32_e32 vcc, s24, v62
	v_mov_b32_e32 v60, 0x7f80
	s_and_saveexec_b64 s[20:21], vcc
	s_cbranch_execz .LBB926_445
; %bb.444:                              ;   in Loop: Header=BB926_213 Depth=1
	v_and_b32_e32 v60, 7, v44
	v_ffbh_u32_e32 v64, v60
	v_min_u32_e32 v66, 32, v64
	v_subrev_u32_e32 v64, 28, v66
	v_lshlrev_b64 v[64:65], v64, v[44:45]
	v_lshrrev_b32_e32 v63, 3, v62
	v_sub_u32_e32 v65, 29, v66
	v_and_b32_e32 v64, 7, v64
	v_cmp_gt_u32_e32 vcc, 8, v62
	v_cndmask_b32_e32 v62, v63, v65, vcc
	v_cndmask_b32_e32 v60, v60, v64, vcc
	v_lshlrev_b32_e32 v44, 24, v44
	v_lshlrev_b32_e32 v60, 20, v60
	v_and_b32_e32 v44, 0x80000000, v44
	v_lshl_add_u32 v62, v62, 23, v45
	v_or3_b32 v44, v44, v62, v60
	v_lshrrev_b32_e32 v60, 16, v44
.LBB926_445:                            ;   in Loop: Header=BB926_213 Depth=1
	s_or_b64 exec, exec, s[20:21]
.LBB926_446:                            ;   in Loop: Header=BB926_213 Depth=1
	s_or_b64 exec, exec, s[18:19]
.LBB926_447:                            ;   in Loop: Header=BB926_213 Depth=1
	s_or_b64 exec, exec, s[16:17]
	v_cmp_lt_u32_e32 vcc, s25, v42
	s_and_saveexec_b64 s[16:17], vcc
	s_cbranch_execz .LBB926_453
; %bb.448:                              ;   in Loop: Header=BB926_213 Depth=1
	v_lshrrev_b32_e32 v44, 24, v42
	v_cmp_ne_u32_e32 vcc, s9, v44
	v_mov_b32_e32 v61, 0xffff8000
	s_and_saveexec_b64 s[18:19], vcc
	s_cbranch_execz .LBB926_452
; %bb.449:                              ;   in Loop: Header=BB926_213 Depth=1
	v_bfe_u32 v42, v42, 24, 7
	v_cmp_ne_u32_e32 vcc, s24, v42
	v_mov_b32_e32 v61, 0x7f80
	s_and_saveexec_b64 s[20:21], vcc
	s_cbranch_execz .LBB926_451
; %bb.450:                              ;   in Loop: Header=BB926_213 Depth=1
	v_and_b32_e32 v61, 7, v44
	v_ffbh_u32_e32 v62, v61
	v_min_u32_e32 v65, 32, v62
	v_subrev_u32_e32 v62, 28, v65
	v_lshlrev_b64 v[62:63], v62, v[44:45]
	v_lshrrev_b32_e32 v64, 3, v42
	v_sub_u32_e32 v63, 29, v65
	v_and_b32_e32 v62, 7, v62
	v_cmp_gt_u32_e32 vcc, 8, v42
	v_cndmask_b32_e32 v42, v64, v63, vcc
	v_cndmask_b32_e32 v61, v61, v62, vcc
	v_lshlrev_b32_e32 v44, 24, v44
	v_lshlrev_b32_e32 v61, 20, v61
	v_and_b32_e32 v44, 0x80000000, v44
	v_lshl_add_u32 v42, v42, 23, v45
	v_or3_b32 v42, v44, v42, v61
	v_lshrrev_b32_e32 v61, 16, v42
.LBB926_451:                            ;   in Loop: Header=BB926_213 Depth=1
	s_or_b64 exec, exec, s[20:21]
.LBB926_452:                            ;   in Loop: Header=BB926_213 Depth=1
	s_or_b64 exec, exec, s[18:19]
.LBB926_453:                            ;   in Loop: Header=BB926_213 Depth=1
	s_or_b64 exec, exec, s[16:17]
	v_perm_b32 v49, v58, v49, s26
	v_perm_b32 v48, v47, v48, s26
	s_waitcnt vmcnt(1)
	v_cmp_ne_u16_sdwa s[18:19], v40, v39 src0_sel:BYTE_0 src1_sel:DWORD
	v_mov_b32_e32 v44, 0
	v_mfma_f32_16x16x16bf16_1k v[34:37], v[48:49], v[18:19], v[34:37]
	v_perm_b32 v49, v61, v60, s26
	v_perm_b32 v48, v46, v59, s26
	v_mov_b32_e32 v46, 0
	s_nop 0
	v_mfma_f32_16x16x16bf16_1k v[34:37], v[48:49], v[20:21], v[34:37]
	s_and_saveexec_b64 s[16:17], s[18:19]
	s_cbranch_execz .LBB926_459
; %bb.454:                              ;   in Loop: Header=BB926_213 Depth=1
	v_cmp_ne_u16_sdwa s[20:21], v40, s9 src0_sel:BYTE_0 src1_sel:DWORD
	v_mov_b32_e32 v46, 0xffff8000
	s_and_saveexec_b64 s[18:19], s[20:21]
	s_cbranch_execz .LBB926_458
; %bb.455:                              ;   in Loop: Header=BB926_213 Depth=1
	v_and_b32_e32 v42, 0x7f, v40
	v_cmp_ne_u32_e32 vcc, s24, v42
	v_mov_b32_e32 v46, 0x7f80
	s_and_saveexec_b64 s[20:21], vcc
	s_cbranch_execz .LBB926_457
; %bb.456:                              ;   in Loop: Header=BB926_213 Depth=1
	v_and_b32_e32 v48, 7, v40
	v_ffbh_u32_e32 v46, v48
	v_min_u32_e32 v58, 32, v46
	v_subrev_u32_e32 v46, 28, v58
	v_lshlrev_b64 v[46:47], v46, v[40:41]
	v_lshrrev_b32_e32 v49, 3, v42
	v_sub_u32_e32 v47, 29, v58
	v_and_b32_e32 v46, 7, v46
	v_cmp_gt_u32_e32 vcc, 8, v42
	v_cndmask_b32_e32 v42, v49, v47, vcc
	v_cndmask_b32_e32 v46, v48, v46, vcc
	v_lshlrev_b32_e32 v47, 24, v40
	v_lshlrev_b32_e32 v46, 20, v46
	v_and_b32_e32 v47, 0x80000000, v47
	v_lshl_add_u32 v42, v42, 23, v45
	v_or3_b32 v42, v47, v42, v46
	v_lshrrev_b32_e32 v46, 16, v42
.LBB926_457:                            ;   in Loop: Header=BB926_213 Depth=1
	s_or_b64 exec, exec, s[20:21]
.LBB926_458:                            ;   in Loop: Header=BB926_213 Depth=1
	s_or_b64 exec, exec, s[18:19]
.LBB926_459:                            ;   in Loop: Header=BB926_213 Depth=1
	s_or_b64 exec, exec, s[16:17]
	v_lshrrev_b16_e32 v42, 8, v40
	v_cmp_ne_u16_e32 vcc, 0, v42
	s_and_saveexec_b64 s[16:17], vcc
	s_cbranch_execz .LBB926_465
; %bb.460:                              ;   in Loop: Header=BB926_213 Depth=1
	v_cmp_ne_u16_e32 vcc, s9, v42
	v_mov_b32_e32 v44, 0xffff8000
	s_and_saveexec_b64 s[18:19], vcc
	s_cbranch_execz .LBB926_464
; %bb.461:                              ;   in Loop: Header=BB926_213 Depth=1
	v_and_b32_e32 v47, 0x7f, v42
	v_cmp_ne_u32_e32 vcc, s24, v47
	v_mov_b32_e32 v44, 0x7f80
	s_and_saveexec_b64 s[20:21], vcc
	s_cbranch_execz .LBB926_463
; %bb.462:                              ;   in Loop: Header=BB926_213 Depth=1
	v_and_b32_e32 v44, 7, v42
	v_ffbh_u32_e32 v48, v44
	v_min_u32_e32 v59, 32, v48
	v_subrev_u32_e32 v48, 28, v59
	v_lshlrev_b64 v[48:49], v48, v[42:43]
	v_lshrrev_b32_e32 v58, 3, v47
	v_sub_u32_e32 v42, 29, v59
	v_and_b32_e32 v48, 7, v48
	v_cmp_gt_u32_e32 vcc, 8, v47
	v_cndmask_b32_e32 v42, v58, v42, vcc
	v_cndmask_b32_e32 v44, v44, v48, vcc
	v_lshlrev_b32_e32 v47, 16, v40
	v_lshlrev_b32_e32 v44, 20, v44
	v_and_b32_e32 v47, 0x80000000, v47
	v_lshl_add_u32 v42, v42, 23, v45
	v_or3_b32 v42, v47, v42, v44
	v_lshrrev_b32_e32 v44, 16, v42
.LBB926_463:                            ;   in Loop: Header=BB926_213 Depth=1
	s_or_b64 exec, exec, s[20:21]
.LBB926_464:                            ;   in Loop: Header=BB926_213 Depth=1
	s_or_b64 exec, exec, s[18:19]
.LBB926_465:                            ;   in Loop: Header=BB926_213 Depth=1
	s_or_b64 exec, exec, s[16:17]
	v_lshrrev_b32_e32 v42, 16, v40
	v_cmp_ne_u16_sdwa s[18:19], v42, v39 src0_sel:BYTE_0 src1_sel:DWORD
	v_mov_b32_e32 v48, 0
	v_mov_b32_e32 v47, 0
	s_and_saveexec_b64 s[16:17], s[18:19]
	s_cbranch_execz .LBB926_471
; %bb.466:                              ;   in Loop: Header=BB926_213 Depth=1
	v_cmp_ne_u16_sdwa s[20:21], v42, s9 src0_sel:BYTE_0 src1_sel:DWORD
	v_mov_b32_e32 v47, 0xffff8000
	s_and_saveexec_b64 s[18:19], s[20:21]
	s_cbranch_execz .LBB926_470
; %bb.467:                              ;   in Loop: Header=BB926_213 Depth=1
	v_bfe_u32 v49, v40, 16, 7
	v_cmp_ne_u32_e32 vcc, s24, v49
	v_mov_b32_e32 v47, 0x7f80
	s_and_saveexec_b64 s[20:21], vcc
	s_cbranch_execz .LBB926_469
; %bb.468:                              ;   in Loop: Header=BB926_213 Depth=1
	v_and_b32_e32 v47, 7, v42
	v_ffbh_u32_e32 v58, v47
	v_min_u32_e32 v61, 32, v58
	v_subrev_u32_e32 v58, 28, v61
	v_lshlrev_b64 v[58:59], v58, v[42:43]
	v_lshrrev_b32_e32 v60, 3, v49
	v_sub_u32_e32 v59, 29, v61
	v_and_b32_e32 v58, 7, v58
	v_cmp_gt_u32_e32 vcc, 8, v49
	v_cndmask_b32_e32 v49, v60, v59, vcc
	v_cndmask_b32_e32 v47, v47, v58, vcc
	v_lshlrev_b32_e32 v42, 24, v42
	v_lshlrev_b32_e32 v47, 20, v47
	v_and_b32_e32 v42, 0x80000000, v42
	v_lshl_add_u32 v49, v49, 23, v45
	v_or3_b32 v42, v42, v49, v47
	v_lshrrev_b32_e32 v47, 16, v42
.LBB926_469:                            ;   in Loop: Header=BB926_213 Depth=1
	s_or_b64 exec, exec, s[20:21]
.LBB926_470:                            ;   in Loop: Header=BB926_213 Depth=1
	s_or_b64 exec, exec, s[18:19]
.LBB926_471:                            ;   in Loop: Header=BB926_213 Depth=1
	s_or_b64 exec, exec, s[16:17]
	v_cmp_lt_u32_e32 vcc, s25, v40
	s_and_saveexec_b64 s[16:17], vcc
	s_cbranch_execz .LBB926_477
; %bb.472:                              ;   in Loop: Header=BB926_213 Depth=1
	v_lshrrev_b32_e32 v42, 24, v40
	v_cmp_ne_u32_e32 vcc, s9, v42
	v_mov_b32_e32 v48, 0xffff8000
	s_and_saveexec_b64 s[18:19], vcc
	s_cbranch_execz .LBB926_476
; %bb.473:                              ;   in Loop: Header=BB926_213 Depth=1
	v_bfe_u32 v40, v40, 24, 7
	v_cmp_ne_u32_e32 vcc, s24, v40
	v_mov_b32_e32 v48, 0x7f80
	s_and_saveexec_b64 s[20:21], vcc
	s_cbranch_execz .LBB926_475
; %bb.474:                              ;   in Loop: Header=BB926_213 Depth=1
	v_and_b32_e32 v58, 7, v42
	v_ffbh_u32_e32 v48, v58
	v_min_u32_e32 v60, 32, v48
	v_subrev_u32_e32 v48, 28, v60
	v_lshlrev_b64 v[48:49], v48, v[42:43]
	v_lshrrev_b32_e32 v59, 3, v40
	v_sub_u32_e32 v49, 29, v60
	v_and_b32_e32 v48, 7, v48
	v_cmp_gt_u32_e32 vcc, 8, v40
	v_cndmask_b32_e32 v40, v59, v49, vcc
	v_cndmask_b32_e32 v48, v58, v48, vcc
	v_lshlrev_b32_e32 v42, 24, v42
	v_lshlrev_b32_e32 v48, 20, v48
	v_and_b32_e32 v42, 0x80000000, v42
	v_lshl_add_u32 v40, v40, 23, v45
	v_or3_b32 v40, v42, v40, v48
	v_lshrrev_b32_e32 v48, 16, v40
.LBB926_475:                            ;   in Loop: Header=BB926_213 Depth=1
	s_or_b64 exec, exec, s[20:21]
.LBB926_476:                            ;   in Loop: Header=BB926_213 Depth=1
	s_or_b64 exec, exec, s[18:19]
.LBB926_477:                            ;   in Loop: Header=BB926_213 Depth=1
	s_or_b64 exec, exec, s[16:17]
	s_waitcnt vmcnt(0)
	v_cmp_ne_u16_sdwa s[18:19], v38, v39 src0_sel:BYTE_0 src1_sel:DWORD
	v_mov_b32_e32 v49, 0
	v_mov_b32_e32 v58, 0
	s_and_saveexec_b64 s[16:17], s[18:19]
	s_cbranch_execz .LBB926_483
; %bb.478:                              ;   in Loop: Header=BB926_213 Depth=1
	v_cmp_ne_u16_sdwa s[20:21], v38, s9 src0_sel:BYTE_0 src1_sel:DWORD
	v_mov_b32_e32 v58, 0xffff8000
	s_and_saveexec_b64 s[18:19], s[20:21]
	s_cbranch_execz .LBB926_482
; %bb.479:                              ;   in Loop: Header=BB926_213 Depth=1
	v_and_b32_e32 v40, 0x7f, v38
	v_cmp_ne_u32_e32 vcc, s24, v40
	v_mov_b32_e32 v58, 0x7f80
	s_and_saveexec_b64 s[20:21], vcc
	s_cbranch_execz .LBB926_481
; %bb.480:                              ;   in Loop: Header=BB926_213 Depth=1
	v_and_b32_e32 v42, 7, v38
	v_ffbh_u32_e32 v58, v42
	v_min_u32_e32 v61, 32, v58
	v_subrev_u32_e32 v58, 28, v61
	v_lshlrev_b64 v[58:59], v58, v[38:39]
	v_lshrrev_b32_e32 v60, 3, v40
	v_sub_u32_e32 v59, 29, v61
	v_and_b32_e32 v58, 7, v58
	v_cmp_gt_u32_e32 vcc, 8, v40
	v_cndmask_b32_e32 v40, v60, v59, vcc
	v_cndmask_b32_e32 v42, v42, v58, vcc
	v_lshlrev_b32_e32 v58, 24, v38
	v_lshlrev_b32_e32 v42, 20, v42
	v_and_b32_e32 v58, 0x80000000, v58
	v_lshl_add_u32 v40, v40, 23, v45
	v_or3_b32 v40, v58, v40, v42
	v_lshrrev_b32_e32 v58, 16, v40
.LBB926_481:                            ;   in Loop: Header=BB926_213 Depth=1
	s_or_b64 exec, exec, s[20:21]
.LBB926_482:                            ;   in Loop: Header=BB926_213 Depth=1
	s_or_b64 exec, exec, s[18:19]
.LBB926_483:                            ;   in Loop: Header=BB926_213 Depth=1
	s_or_b64 exec, exec, s[16:17]
	v_lshrrev_b16_e32 v40, 8, v38
	v_cmp_ne_u16_e32 vcc, 0, v40
	s_and_saveexec_b64 s[16:17], vcc
	s_cbranch_execz .LBB926_489
; %bb.484:                              ;   in Loop: Header=BB926_213 Depth=1
	v_cmp_ne_u16_e32 vcc, s9, v40
	v_mov_b32_e32 v49, 0xffff8000
	s_and_saveexec_b64 s[18:19], vcc
	s_cbranch_execz .LBB926_488
; %bb.485:                              ;   in Loop: Header=BB926_213 Depth=1
	v_and_b32_e32 v42, 0x7f, v40
	v_cmp_ne_u32_e32 vcc, s24, v42
	v_mov_b32_e32 v49, 0x7f80
	s_and_saveexec_b64 s[20:21], vcc
	s_cbranch_execz .LBB926_487
; %bb.486:                              ;   in Loop: Header=BB926_213 Depth=1
	v_and_b32_e32 v49, 7, v40
	v_ffbh_u32_e32 v60, v49
	v_min_u32_e32 v62, 32, v60
	v_subrev_u32_e32 v60, 28, v62
	v_lshlrev_b64 v[60:61], v60, v[40:41]
	v_lshrrev_b32_e32 v59, 3, v42
	v_sub_u32_e32 v40, 29, v62
	v_and_b32_e32 v60, 7, v60
	v_cmp_gt_u32_e32 vcc, 8, v42
	v_cndmask_b32_e32 v40, v59, v40, vcc
	v_cndmask_b32_e32 v42, v49, v60, vcc
	v_lshlrev_b32_e32 v49, 16, v38
	v_lshlrev_b32_e32 v42, 20, v42
	v_and_b32_e32 v49, 0x80000000, v49
	v_lshl_add_u32 v40, v40, 23, v45
	v_or3_b32 v40, v49, v40, v42
	v_lshrrev_b32_e32 v49, 16, v40
.LBB926_487:                            ;   in Loop: Header=BB926_213 Depth=1
	s_or_b64 exec, exec, s[20:21]
.LBB926_488:                            ;   in Loop: Header=BB926_213 Depth=1
	s_or_b64 exec, exec, s[18:19]
.LBB926_489:                            ;   in Loop: Header=BB926_213 Depth=1
	s_or_b64 exec, exec, s[16:17]
	v_lshrrev_b32_e32 v40, 16, v38
	v_cmp_ne_u16_sdwa s[18:19], v40, v39 src0_sel:BYTE_0 src1_sel:DWORD
	v_mov_b32_e32 v60, 0
	v_mov_b32_e32 v59, 0
	s_and_saveexec_b64 s[16:17], s[18:19]
	s_cbranch_execz .LBB926_495
; %bb.490:                              ;   in Loop: Header=BB926_213 Depth=1
	v_cmp_ne_u16_sdwa s[20:21], v40, s9 src0_sel:BYTE_0 src1_sel:DWORD
	v_mov_b32_e32 v59, 0xffff8000
	s_and_saveexec_b64 s[18:19], s[20:21]
	s_cbranch_execz .LBB926_494
; %bb.491:                              ;   in Loop: Header=BB926_213 Depth=1
	v_bfe_u32 v42, v38, 16, 7
	v_cmp_ne_u32_e32 vcc, s24, v42
	v_mov_b32_e32 v59, 0x7f80
	s_and_saveexec_b64 s[20:21], vcc
	s_cbranch_execz .LBB926_493
; %bb.492:                              ;   in Loop: Header=BB926_213 Depth=1
	v_and_b32_e32 v59, 7, v40
	v_ffbh_u32_e32 v62, v59
	v_min_u32_e32 v64, 32, v62
	v_subrev_u32_e32 v62, 28, v64
	v_lshlrev_b64 v[62:63], v62, v[40:41]
	v_lshrrev_b32_e32 v61, 3, v42
	v_sub_u32_e32 v63, 29, v64
	v_and_b32_e32 v62, 7, v62
	v_cmp_gt_u32_e32 vcc, 8, v42
	v_cndmask_b32_e32 v42, v61, v63, vcc
	v_cndmask_b32_e32 v59, v59, v62, vcc
	v_lshlrev_b32_e32 v40, 24, v40
	v_lshlrev_b32_e32 v59, 20, v59
	v_and_b32_e32 v40, 0x80000000, v40
	v_lshl_add_u32 v42, v42, 23, v45
	v_or3_b32 v40, v40, v42, v59
	v_lshrrev_b32_e32 v59, 16, v40
.LBB926_493:                            ;   in Loop: Header=BB926_213 Depth=1
	s_or_b64 exec, exec, s[20:21]
.LBB926_494:                            ;   in Loop: Header=BB926_213 Depth=1
	s_or_b64 exec, exec, s[18:19]
.LBB926_495:                            ;   in Loop: Header=BB926_213 Depth=1
	s_or_b64 exec, exec, s[16:17]
	v_cmp_lt_u32_e32 vcc, s25, v38
	s_and_saveexec_b64 s[16:17], vcc
	s_cbranch_execz .LBB926_501
; %bb.496:                              ;   in Loop: Header=BB926_213 Depth=1
	v_lshrrev_b32_e32 v40, 24, v38
	v_cmp_ne_u32_e32 vcc, s9, v40
	v_mov_b32_e32 v60, 0xffff8000
	s_and_saveexec_b64 s[18:19], vcc
	s_cbranch_execz .LBB926_500
; %bb.497:                              ;   in Loop: Header=BB926_213 Depth=1
	v_bfe_u32 v38, v38, 24, 7
	v_cmp_ne_u32_e32 vcc, s24, v38
	v_mov_b32_e32 v60, 0x7f80
	s_and_saveexec_b64 s[20:21], vcc
	s_cbranch_execz .LBB926_499
; %bb.498:                              ;   in Loop: Header=BB926_213 Depth=1
	v_and_b32_e32 v42, 7, v40
	v_ffbh_u32_e32 v60, v42
	v_min_u32_e32 v63, 32, v60
	v_subrev_u32_e32 v60, 28, v63
	v_lshlrev_b64 v[60:61], v60, v[40:41]
	v_lshrrev_b32_e32 v62, 3, v38
	v_sub_u32_e32 v61, 29, v63
	v_and_b32_e32 v60, 7, v60
	v_cmp_gt_u32_e32 vcc, 8, v38
	v_cndmask_b32_e32 v38, v62, v61, vcc
	v_cndmask_b32_e32 v42, v42, v60, vcc
	v_lshlrev_b32_e32 v40, 24, v40
	v_lshlrev_b32_e32 v42, 20, v42
	v_and_b32_e32 v40, 0x80000000, v40
	v_lshl_add_u32 v38, v38, 23, v45
	v_or3_b32 v38, v40, v38, v42
	v_lshrrev_b32_e32 v60, 16, v38
.LBB926_499:                            ;   in Loop: Header=BB926_213 Depth=1
	s_or_b64 exec, exec, s[20:21]
.LBB926_500:                            ;   in Loop: Header=BB926_213 Depth=1
	s_or_b64 exec, exec, s[18:19]
.LBB926_501:                            ;   in Loop: Header=BB926_213 Depth=1
	s_or_b64 exec, exec, s[16:17]
	v_perm_b32 v46, v44, v46, s26
	buffer_load_dword v44, v57, s[0:3], 0 offen
	buffer_load_dword v42, v57, s[0:3], 0 offen offset:4
	buffer_load_dword v40, v57, s[0:3], 0 offen offset:8
	;; [unrolled: 1-line block ×3, first 2 shown]
	v_perm_b32 v47, v48, v47, s26
	v_mov_b32_e32 v48, 0
	s_waitcnt vmcnt(3)
	v_cmp_ne_u16_sdwa s[18:19], v44, v39 src0_sel:BYTE_0 src1_sel:DWORD
	v_mfma_f32_16x16x16bf16_1k v[34:37], v[46:47], v[22:23], v[34:37]
	v_perm_b32 v47, v60, v59, s26
	v_perm_b32 v46, v49, v58, s26
	s_nop 1
	v_mfma_f32_16x16x16bf16_1k v[34:37], v[46:47], v[24:25], v[34:37]
	v_mov_b32_e32 v47, 0
	s_and_saveexec_b64 s[16:17], s[18:19]
	s_cbranch_execz .LBB926_507
; %bb.502:                              ;   in Loop: Header=BB926_213 Depth=1
	v_cmp_ne_u16_sdwa s[20:21], v44, s9 src0_sel:BYTE_0 src1_sel:DWORD
	v_mov_b32_e32 v48, 0xffff8000
	s_and_saveexec_b64 s[18:19], s[20:21]
	s_cbranch_execz .LBB926_506
; %bb.503:                              ;   in Loop: Header=BB926_213 Depth=1
	v_and_b32_e32 v46, 0x7f, v44
	v_cmp_ne_u32_e32 vcc, s24, v46
	v_mov_b32_e32 v48, 0x7f80
	s_and_saveexec_b64 s[20:21], vcc
	s_cbranch_execz .LBB926_505
; %bb.504:                              ;   in Loop: Header=BB926_213 Depth=1
	v_and_b32_e32 v57, 7, v44
	v_ffbh_u32_e32 v48, v57
	v_min_u32_e32 v59, 32, v48
	v_subrev_u32_e32 v48, 28, v59
	v_lshlrev_b64 v[48:49], v48, v[44:45]
	v_lshrrev_b32_e32 v58, 3, v46
	v_sub_u32_e32 v49, 29, v59
	v_and_b32_e32 v48, 7, v48
	v_cmp_gt_u32_e32 vcc, 8, v46
	v_cndmask_b32_e32 v46, v58, v49, vcc
	v_cndmask_b32_e32 v48, v57, v48, vcc
	v_lshlrev_b32_e32 v49, 24, v44
	v_lshlrev_b32_e32 v48, 20, v48
	v_and_b32_e32 v49, 0x80000000, v49
	v_lshl_add_u32 v46, v46, 23, v45
	v_or3_b32 v46, v49, v46, v48
	v_lshrrev_b32_e32 v48, 16, v46
.LBB926_505:                            ;   in Loop: Header=BB926_213 Depth=1
	s_or_b64 exec, exec, s[20:21]
.LBB926_506:                            ;   in Loop: Header=BB926_213 Depth=1
	s_or_b64 exec, exec, s[18:19]
.LBB926_507:                            ;   in Loop: Header=BB926_213 Depth=1
	s_or_b64 exec, exec, s[16:17]
	v_lshrrev_b16_e32 v46, 8, v44
	v_cmp_ne_u16_e32 vcc, 0, v46
	s_and_saveexec_b64 s[16:17], vcc
	s_cbranch_execz .LBB926_513
; %bb.508:                              ;   in Loop: Header=BB926_213 Depth=1
	v_cmp_ne_u16_e32 vcc, s9, v46
	v_mov_b32_e32 v47, 0xffff8000
	s_and_saveexec_b64 s[18:19], vcc
	s_cbranch_execz .LBB926_512
; %bb.509:                              ;   in Loop: Header=BB926_213 Depth=1
	v_and_b32_e32 v49, 0x7f, v46
	v_cmp_ne_u32_e32 vcc, s24, v49
	v_mov_b32_e32 v47, 0x7f80
	s_and_saveexec_b64 s[20:21], vcc
	s_cbranch_execz .LBB926_511
; %bb.510:                              ;   in Loop: Header=BB926_213 Depth=1
	v_and_b32_e32 v57, 7, v46
	v_ffbh_u32_e32 v47, v57
	v_min_u32_e32 v59, 32, v47
	v_subrev_u32_e32 v47, 28, v59
	v_lshlrev_b64 v[46:47], v47, v[46:47]
	v_lshrrev_b32_e32 v58, 3, v49
	v_sub_u32_e32 v47, 29, v59
	v_and_b32_e32 v46, 7, v46
	v_cmp_gt_u32_e32 vcc, 8, v49
	v_cndmask_b32_e32 v47, v58, v47, vcc
	v_cndmask_b32_e32 v46, v57, v46, vcc
	v_lshlrev_b32_e32 v49, 16, v44
	v_lshlrev_b32_e32 v46, 20, v46
	v_and_b32_e32 v49, 0x80000000, v49
	v_lshl_add_u32 v47, v47, 23, v45
	v_or3_b32 v46, v49, v47, v46
	v_lshrrev_b32_e32 v47, 16, v46
.LBB926_511:                            ;   in Loop: Header=BB926_213 Depth=1
	s_or_b64 exec, exec, s[20:21]
.LBB926_512:                            ;   in Loop: Header=BB926_213 Depth=1
	s_or_b64 exec, exec, s[18:19]
.LBB926_513:                            ;   in Loop: Header=BB926_213 Depth=1
	s_or_b64 exec, exec, s[16:17]
	v_lshrrev_b32_e32 v46, 16, v44
	v_cmp_ne_u16_sdwa s[18:19], v46, v39 src0_sel:BYTE_0 src1_sel:DWORD
	v_mov_b32_e32 v57, 0
	v_mov_b32_e32 v49, 0
	s_and_saveexec_b64 s[16:17], s[18:19]
	s_cbranch_execz .LBB926_519
; %bb.514:                              ;   in Loop: Header=BB926_213 Depth=1
	v_cmp_ne_u16_sdwa s[20:21], v46, s9 src0_sel:BYTE_0 src1_sel:DWORD
	v_mov_b32_e32 v49, 0xffff8000
	s_and_saveexec_b64 s[18:19], s[20:21]
	s_cbranch_execz .LBB926_518
; %bb.515:                              ;   in Loop: Header=BB926_213 Depth=1
	v_bfe_u32 v58, v44, 16, 7
	v_cmp_ne_u32_e32 vcc, s24, v58
	v_mov_b32_e32 v49, 0x7f80
	s_and_saveexec_b64 s[20:21], vcc
	s_cbranch_execz .LBB926_517
; %bb.516:                              ;   in Loop: Header=BB926_213 Depth=1
	v_and_b32_e32 v49, 7, v46
	v_ffbh_u32_e32 v60, v49
	v_min_u32_e32 v62, 32, v60
	v_subrev_u32_e32 v60, 28, v62
	v_lshlrev_b64 v[60:61], v60, v[46:47]
	v_lshrrev_b32_e32 v59, 3, v58
	v_sub_u32_e32 v61, 29, v62
	v_and_b32_e32 v60, 7, v60
	v_cmp_gt_u32_e32 vcc, 8, v58
	v_cndmask_b32_e32 v58, v59, v61, vcc
	v_cndmask_b32_e32 v49, v49, v60, vcc
	v_lshlrev_b32_e32 v46, 24, v46
	v_lshlrev_b32_e32 v49, 20, v49
	v_and_b32_e32 v46, 0x80000000, v46
	v_lshl_add_u32 v58, v58, 23, v45
	v_or3_b32 v46, v46, v58, v49
	v_lshrrev_b32_e32 v49, 16, v46
.LBB926_517:                            ;   in Loop: Header=BB926_213 Depth=1
	s_or_b64 exec, exec, s[20:21]
.LBB926_518:                            ;   in Loop: Header=BB926_213 Depth=1
	s_or_b64 exec, exec, s[18:19]
.LBB926_519:                            ;   in Loop: Header=BB926_213 Depth=1
	s_or_b64 exec, exec, s[16:17]
	v_cmp_lt_u32_e32 vcc, s25, v44
	s_and_saveexec_b64 s[16:17], vcc
	s_cbranch_execz .LBB926_525
; %bb.520:                              ;   in Loop: Header=BB926_213 Depth=1
	v_lshrrev_b32_e32 v46, 24, v44
	v_cmp_ne_u32_e32 vcc, s9, v46
	v_mov_b32_e32 v57, 0xffff8000
	s_and_saveexec_b64 s[18:19], vcc
	s_cbranch_execz .LBB926_524
; %bb.521:                              ;   in Loop: Header=BB926_213 Depth=1
	v_bfe_u32 v44, v44, 24, 7
	v_cmp_ne_u32_e32 vcc, s24, v44
	v_mov_b32_e32 v57, 0x7f80
	s_and_saveexec_b64 s[20:21], vcc
	s_cbranch_execz .LBB926_523
; %bb.522:                              ;   in Loop: Header=BB926_213 Depth=1
	v_and_b32_e32 v57, 7, v46
	v_ffbh_u32_e32 v58, v57
	v_min_u32_e32 v61, 32, v58
	v_subrev_u32_e32 v58, 28, v61
	v_lshlrev_b64 v[58:59], v58, v[46:47]
	v_lshrrev_b32_e32 v60, 3, v44
	v_sub_u32_e32 v59, 29, v61
	v_and_b32_e32 v58, 7, v58
	v_cmp_gt_u32_e32 vcc, 8, v44
	v_cndmask_b32_e32 v44, v60, v59, vcc
	v_cndmask_b32_e32 v57, v57, v58, vcc
	v_lshlrev_b32_e32 v46, 24, v46
	v_lshlrev_b32_e32 v57, 20, v57
	v_and_b32_e32 v46, 0x80000000, v46
	v_lshl_add_u32 v44, v44, 23, v45
	v_or3_b32 v44, v46, v44, v57
	v_lshrrev_b32_e32 v57, 16, v44
.LBB926_523:                            ;   in Loop: Header=BB926_213 Depth=1
	s_or_b64 exec, exec, s[20:21]
.LBB926_524:                            ;   in Loop: Header=BB926_213 Depth=1
	s_or_b64 exec, exec, s[18:19]
.LBB926_525:                            ;   in Loop: Header=BB926_213 Depth=1
	s_or_b64 exec, exec, s[16:17]
	s_waitcnt vmcnt(2)
	v_cmp_ne_u16_sdwa s[18:19], v42, v39 src0_sel:BYTE_0 src1_sel:DWORD
	v_mov_b32_e32 v46, 0
	v_mov_b32_e32 v58, 0
	s_and_saveexec_b64 s[16:17], s[18:19]
	s_cbranch_execz .LBB926_531
; %bb.526:                              ;   in Loop: Header=BB926_213 Depth=1
	v_cmp_ne_u16_sdwa s[20:21], v42, s9 src0_sel:BYTE_0 src1_sel:DWORD
	v_mov_b32_e32 v58, 0xffff8000
	s_and_saveexec_b64 s[18:19], s[20:21]
	s_cbranch_execz .LBB926_530
; %bb.527:                              ;   in Loop: Header=BB926_213 Depth=1
	v_and_b32_e32 v44, 0x7f, v42
	v_cmp_ne_u32_e32 vcc, s24, v44
	v_mov_b32_e32 v58, 0x7f80
	s_and_saveexec_b64 s[20:21], vcc
	s_cbranch_execz .LBB926_529
; %bb.528:                              ;   in Loop: Header=BB926_213 Depth=1
	v_and_b32_e32 v60, 7, v42
	v_ffbh_u32_e32 v58, v60
	v_min_u32_e32 v62, 32, v58
	v_subrev_u32_e32 v58, 28, v62
	v_lshlrev_b64 v[58:59], v58, v[42:43]
	v_lshrrev_b32_e32 v61, 3, v44
	v_sub_u32_e32 v59, 29, v62
	v_and_b32_e32 v58, 7, v58
	v_cmp_gt_u32_e32 vcc, 8, v44
	v_cndmask_b32_e32 v44, v61, v59, vcc
	v_cndmask_b32_e32 v58, v60, v58, vcc
	v_lshlrev_b32_e32 v59, 24, v42
	v_lshlrev_b32_e32 v58, 20, v58
	v_and_b32_e32 v59, 0x80000000, v59
	v_lshl_add_u32 v44, v44, 23, v45
	v_or3_b32 v44, v59, v44, v58
	v_lshrrev_b32_e32 v58, 16, v44
.LBB926_529:                            ;   in Loop: Header=BB926_213 Depth=1
	s_or_b64 exec, exec, s[20:21]
.LBB926_530:                            ;   in Loop: Header=BB926_213 Depth=1
	s_or_b64 exec, exec, s[18:19]
.LBB926_531:                            ;   in Loop: Header=BB926_213 Depth=1
	s_or_b64 exec, exec, s[16:17]
	v_lshrrev_b16_e32 v44, 8, v42
	v_cmp_ne_u16_e32 vcc, 0, v44
	s_and_saveexec_b64 s[16:17], vcc
	s_cbranch_execz .LBB926_537
; %bb.532:                              ;   in Loop: Header=BB926_213 Depth=1
	v_cmp_ne_u16_e32 vcc, s9, v44
	v_mov_b32_e32 v46, 0xffff8000
	s_and_saveexec_b64 s[18:19], vcc
	s_cbranch_execz .LBB926_536
; %bb.533:                              ;   in Loop: Header=BB926_213 Depth=1
	v_and_b32_e32 v59, 0x7f, v44
	v_cmp_ne_u32_e32 vcc, s24, v59
	v_mov_b32_e32 v46, 0x7f80
	s_and_saveexec_b64 s[20:21], vcc
	s_cbranch_execz .LBB926_535
; %bb.534:                              ;   in Loop: Header=BB926_213 Depth=1
	v_and_b32_e32 v46, 7, v44
	v_ffbh_u32_e32 v60, v46
	v_min_u32_e32 v63, 32, v60
	v_subrev_u32_e32 v60, 28, v63
	v_lshlrev_b64 v[60:61], v60, v[44:45]
	v_lshrrev_b32_e32 v62, 3, v59
	v_sub_u32_e32 v44, 29, v63
	v_and_b32_e32 v60, 7, v60
	v_cmp_gt_u32_e32 vcc, 8, v59
	v_cndmask_b32_e32 v44, v62, v44, vcc
	v_cndmask_b32_e32 v46, v46, v60, vcc
	v_lshlrev_b32_e32 v59, 16, v42
	v_lshlrev_b32_e32 v46, 20, v46
	v_and_b32_e32 v59, 0x80000000, v59
	v_lshl_add_u32 v44, v44, 23, v45
	v_or3_b32 v44, v59, v44, v46
	v_lshrrev_b32_e32 v46, 16, v44
.LBB926_535:                            ;   in Loop: Header=BB926_213 Depth=1
	s_or_b64 exec, exec, s[20:21]
.LBB926_536:                            ;   in Loop: Header=BB926_213 Depth=1
	s_or_b64 exec, exec, s[18:19]
.LBB926_537:                            ;   in Loop: Header=BB926_213 Depth=1
	s_or_b64 exec, exec, s[16:17]
	v_lshrrev_b32_e32 v44, 16, v42
	v_cmp_ne_u16_sdwa s[18:19], v44, v39 src0_sel:BYTE_0 src1_sel:DWORD
	v_mov_b32_e32 v60, 0
	v_mov_b32_e32 v59, 0
	s_and_saveexec_b64 s[16:17], s[18:19]
	s_cbranch_execz .LBB926_543
; %bb.538:                              ;   in Loop: Header=BB926_213 Depth=1
	v_cmp_ne_u16_sdwa s[20:21], v44, s9 src0_sel:BYTE_0 src1_sel:DWORD
	v_mov_b32_e32 v59, 0xffff8000
	s_and_saveexec_b64 s[18:19], s[20:21]
	s_cbranch_execz .LBB926_542
; %bb.539:                              ;   in Loop: Header=BB926_213 Depth=1
	v_bfe_u32 v61, v42, 16, 7
	v_cmp_ne_u32_e32 vcc, s24, v61
	v_mov_b32_e32 v59, 0x7f80
	s_and_saveexec_b64 s[20:21], vcc
	s_cbranch_execz .LBB926_541
; %bb.540:                              ;   in Loop: Header=BB926_213 Depth=1
	v_and_b32_e32 v59, 7, v44
	v_ffbh_u32_e32 v62, v59
	v_min_u32_e32 v65, 32, v62
	v_subrev_u32_e32 v62, 28, v65
	v_lshlrev_b64 v[62:63], v62, v[44:45]
	v_lshrrev_b32_e32 v64, 3, v61
	v_sub_u32_e32 v63, 29, v65
	v_and_b32_e32 v62, 7, v62
	v_cmp_gt_u32_e32 vcc, 8, v61
	v_cndmask_b32_e32 v61, v64, v63, vcc
	v_cndmask_b32_e32 v59, v59, v62, vcc
	v_lshlrev_b32_e32 v44, 24, v44
	v_lshlrev_b32_e32 v59, 20, v59
	v_and_b32_e32 v44, 0x80000000, v44
	v_lshl_add_u32 v61, v61, 23, v45
	v_or3_b32 v44, v44, v61, v59
	v_lshrrev_b32_e32 v59, 16, v44
.LBB926_541:                            ;   in Loop: Header=BB926_213 Depth=1
	s_or_b64 exec, exec, s[20:21]
.LBB926_542:                            ;   in Loop: Header=BB926_213 Depth=1
	s_or_b64 exec, exec, s[18:19]
.LBB926_543:                            ;   in Loop: Header=BB926_213 Depth=1
	s_or_b64 exec, exec, s[16:17]
	v_cmp_lt_u32_e32 vcc, s25, v42
	s_and_saveexec_b64 s[16:17], vcc
	s_cbranch_execz .LBB926_549
; %bb.544:                              ;   in Loop: Header=BB926_213 Depth=1
	v_lshrrev_b32_e32 v44, 24, v42
	v_cmp_ne_u32_e32 vcc, s9, v44
	v_mov_b32_e32 v60, 0xffff8000
	s_and_saveexec_b64 s[18:19], vcc
	s_cbranch_execz .LBB926_548
; %bb.545:                              ;   in Loop: Header=BB926_213 Depth=1
	v_bfe_u32 v42, v42, 24, 7
	v_cmp_ne_u32_e32 vcc, s24, v42
	v_mov_b32_e32 v60, 0x7f80
	s_and_saveexec_b64 s[20:21], vcc
	s_cbranch_execz .LBB926_547
; %bb.546:                              ;   in Loop: Header=BB926_213 Depth=1
	v_and_b32_e32 v62, 7, v44
	v_ffbh_u32_e32 v60, v62
	v_min_u32_e32 v64, 32, v60
	v_subrev_u32_e32 v60, 28, v64
	v_lshlrev_b64 v[60:61], v60, v[44:45]
	v_lshrrev_b32_e32 v63, 3, v42
	v_sub_u32_e32 v61, 29, v64
	v_and_b32_e32 v60, 7, v60
	v_cmp_gt_u32_e32 vcc, 8, v42
	v_cndmask_b32_e32 v42, v63, v61, vcc
	v_cndmask_b32_e32 v60, v62, v60, vcc
	v_lshlrev_b32_e32 v44, 24, v44
	v_lshlrev_b32_e32 v60, 20, v60
	v_and_b32_e32 v44, 0x80000000, v44
	v_lshl_add_u32 v42, v42, 23, v45
	v_or3_b32 v42, v44, v42, v60
	v_lshrrev_b32_e32 v60, 16, v42
.LBB926_547:                            ;   in Loop: Header=BB926_213 Depth=1
	s_or_b64 exec, exec, s[20:21]
.LBB926_548:                            ;   in Loop: Header=BB926_213 Depth=1
	s_or_b64 exec, exec, s[18:19]
.LBB926_549:                            ;   in Loop: Header=BB926_213 Depth=1
	s_or_b64 exec, exec, s[16:17]
	v_perm_b32 v49, v57, v49, s26
	v_perm_b32 v48, v47, v48, s26
	s_waitcnt vmcnt(1)
	v_cmp_ne_u16_sdwa s[18:19], v40, v39 src0_sel:BYTE_0 src1_sel:DWORD
	v_mov_b32_e32 v44, 0
	v_mfma_f32_16x16x16bf16_1k v[34:37], v[48:49], v[26:27], v[34:37]
	v_perm_b32 v49, v60, v59, s26
	v_perm_b32 v48, v46, v58, s26
	v_mov_b32_e32 v46, 0
	s_nop 0
	v_mfma_f32_16x16x16bf16_1k v[34:37], v[48:49], v[28:29], v[34:37]
	s_and_saveexec_b64 s[16:17], s[18:19]
	s_cbranch_execz .LBB926_555
; %bb.550:                              ;   in Loop: Header=BB926_213 Depth=1
	v_cmp_ne_u16_sdwa s[20:21], v40, s9 src0_sel:BYTE_0 src1_sel:DWORD
	v_mov_b32_e32 v46, 0xffff8000
	s_and_saveexec_b64 s[18:19], s[20:21]
	s_cbranch_execz .LBB926_554
; %bb.551:                              ;   in Loop: Header=BB926_213 Depth=1
	v_and_b32_e32 v42, 0x7f, v40
	v_cmp_ne_u32_e32 vcc, s24, v42
	v_mov_b32_e32 v46, 0x7f80
	s_and_saveexec_b64 s[20:21], vcc
	s_cbranch_execz .LBB926_553
; %bb.552:                              ;   in Loop: Header=BB926_213 Depth=1
	v_and_b32_e32 v48, 7, v40
	v_ffbh_u32_e32 v46, v48
	v_min_u32_e32 v57, 32, v46
	v_subrev_u32_e32 v46, 28, v57
	v_lshlrev_b64 v[46:47], v46, v[40:41]
	v_lshrrev_b32_e32 v49, 3, v42
	v_sub_u32_e32 v47, 29, v57
	v_and_b32_e32 v46, 7, v46
	v_cmp_gt_u32_e32 vcc, 8, v42
	v_cndmask_b32_e32 v42, v49, v47, vcc
	v_cndmask_b32_e32 v46, v48, v46, vcc
	v_lshlrev_b32_e32 v47, 24, v40
	v_lshlrev_b32_e32 v46, 20, v46
	v_and_b32_e32 v47, 0x80000000, v47
	v_lshl_add_u32 v42, v42, 23, v45
	v_or3_b32 v42, v47, v42, v46
	v_lshrrev_b32_e32 v46, 16, v42
.LBB926_553:                            ;   in Loop: Header=BB926_213 Depth=1
	s_or_b64 exec, exec, s[20:21]
.LBB926_554:                            ;   in Loop: Header=BB926_213 Depth=1
	s_or_b64 exec, exec, s[18:19]
.LBB926_555:                            ;   in Loop: Header=BB926_213 Depth=1
	s_or_b64 exec, exec, s[16:17]
	v_lshrrev_b16_e32 v42, 8, v40
	v_cmp_ne_u16_e32 vcc, 0, v42
	s_and_saveexec_b64 s[16:17], vcc
	s_cbranch_execz .LBB926_561
; %bb.556:                              ;   in Loop: Header=BB926_213 Depth=1
	v_cmp_ne_u16_e32 vcc, s9, v42
	v_mov_b32_e32 v44, 0xffff8000
	s_and_saveexec_b64 s[18:19], vcc
	s_cbranch_execz .LBB926_560
; %bb.557:                              ;   in Loop: Header=BB926_213 Depth=1
	v_and_b32_e32 v47, 0x7f, v42
	v_cmp_ne_u32_e32 vcc, s24, v47
	v_mov_b32_e32 v44, 0x7f80
	s_and_saveexec_b64 s[20:21], vcc
	s_cbranch_execz .LBB926_559
; %bb.558:                              ;   in Loop: Header=BB926_213 Depth=1
	v_and_b32_e32 v44, 7, v42
	v_ffbh_u32_e32 v48, v44
	v_min_u32_e32 v58, 32, v48
	v_subrev_u32_e32 v48, 28, v58
	v_lshlrev_b64 v[48:49], v48, v[42:43]
	v_lshrrev_b32_e32 v57, 3, v47
	v_sub_u32_e32 v42, 29, v58
	v_and_b32_e32 v48, 7, v48
	v_cmp_gt_u32_e32 vcc, 8, v47
	v_cndmask_b32_e32 v42, v57, v42, vcc
	v_cndmask_b32_e32 v44, v44, v48, vcc
	v_lshlrev_b32_e32 v47, 16, v40
	v_lshlrev_b32_e32 v44, 20, v44
	v_and_b32_e32 v47, 0x80000000, v47
	v_lshl_add_u32 v42, v42, 23, v45
	v_or3_b32 v42, v47, v42, v44
	v_lshrrev_b32_e32 v44, 16, v42
.LBB926_559:                            ;   in Loop: Header=BB926_213 Depth=1
	s_or_b64 exec, exec, s[20:21]
.LBB926_560:                            ;   in Loop: Header=BB926_213 Depth=1
	s_or_b64 exec, exec, s[18:19]
.LBB926_561:                            ;   in Loop: Header=BB926_213 Depth=1
	s_or_b64 exec, exec, s[16:17]
	v_lshrrev_b32_e32 v42, 16, v40
	v_cmp_ne_u16_sdwa s[18:19], v42, v39 src0_sel:BYTE_0 src1_sel:DWORD
	v_mov_b32_e32 v48, 0
	v_mov_b32_e32 v47, 0
	s_and_saveexec_b64 s[16:17], s[18:19]
	s_cbranch_execz .LBB926_567
; %bb.562:                              ;   in Loop: Header=BB926_213 Depth=1
	v_cmp_ne_u16_sdwa s[20:21], v42, s9 src0_sel:BYTE_0 src1_sel:DWORD
	v_mov_b32_e32 v47, 0xffff8000
	s_and_saveexec_b64 s[18:19], s[20:21]
	s_cbranch_execz .LBB926_566
; %bb.563:                              ;   in Loop: Header=BB926_213 Depth=1
	v_bfe_u32 v49, v40, 16, 7
	v_cmp_ne_u32_e32 vcc, s24, v49
	v_mov_b32_e32 v47, 0x7f80
	s_and_saveexec_b64 s[20:21], vcc
	s_cbranch_execz .LBB926_565
; %bb.564:                              ;   in Loop: Header=BB926_213 Depth=1
	v_and_b32_e32 v47, 7, v42
	v_ffbh_u32_e32 v58, v47
	v_min_u32_e32 v60, 32, v58
	v_subrev_u32_e32 v58, 28, v60
	v_lshlrev_b64 v[58:59], v58, v[42:43]
	v_lshrrev_b32_e32 v57, 3, v49
	v_sub_u32_e32 v59, 29, v60
	v_and_b32_e32 v58, 7, v58
	v_cmp_gt_u32_e32 vcc, 8, v49
	v_cndmask_b32_e32 v49, v57, v59, vcc
	v_cndmask_b32_e32 v47, v47, v58, vcc
	v_lshlrev_b32_e32 v42, 24, v42
	v_lshlrev_b32_e32 v47, 20, v47
	v_and_b32_e32 v42, 0x80000000, v42
	v_lshl_add_u32 v49, v49, 23, v45
	v_or3_b32 v42, v42, v49, v47
	v_lshrrev_b32_e32 v47, 16, v42
.LBB926_565:                            ;   in Loop: Header=BB926_213 Depth=1
	s_or_b64 exec, exec, s[20:21]
.LBB926_566:                            ;   in Loop: Header=BB926_213 Depth=1
	s_or_b64 exec, exec, s[18:19]
.LBB926_567:                            ;   in Loop: Header=BB926_213 Depth=1
	s_or_b64 exec, exec, s[16:17]
	v_cmp_lt_u32_e32 vcc, s25, v40
	s_and_saveexec_b64 s[16:17], vcc
	s_cbranch_execz .LBB926_573
; %bb.568:                              ;   in Loop: Header=BB926_213 Depth=1
	v_lshrrev_b32_e32 v42, 24, v40
	v_cmp_ne_u32_e32 vcc, s9, v42
	v_mov_b32_e32 v48, 0xffff8000
	s_and_saveexec_b64 s[18:19], vcc
	s_cbranch_execz .LBB926_572
; %bb.569:                              ;   in Loop: Header=BB926_213 Depth=1
	v_bfe_u32 v40, v40, 24, 7
	v_cmp_ne_u32_e32 vcc, s24, v40
	v_mov_b32_e32 v48, 0x7f80
	s_and_saveexec_b64 s[20:21], vcc
	s_cbranch_execz .LBB926_571
; %bb.570:                              ;   in Loop: Header=BB926_213 Depth=1
	v_and_b32_e32 v57, 7, v42
	v_ffbh_u32_e32 v48, v57
	v_min_u32_e32 v59, 32, v48
	v_subrev_u32_e32 v48, 28, v59
	v_lshlrev_b64 v[48:49], v48, v[42:43]
	v_lshrrev_b32_e32 v58, 3, v40
	v_sub_u32_e32 v49, 29, v59
	v_and_b32_e32 v48, 7, v48
	v_cmp_gt_u32_e32 vcc, 8, v40
	v_cndmask_b32_e32 v40, v58, v49, vcc
	v_cndmask_b32_e32 v48, v57, v48, vcc
	v_lshlrev_b32_e32 v42, 24, v42
	v_lshlrev_b32_e32 v48, 20, v48
	v_and_b32_e32 v42, 0x80000000, v42
	v_lshl_add_u32 v40, v40, 23, v45
	v_or3_b32 v40, v42, v40, v48
	v_lshrrev_b32_e32 v48, 16, v40
.LBB926_571:                            ;   in Loop: Header=BB926_213 Depth=1
	s_or_b64 exec, exec, s[20:21]
.LBB926_572:                            ;   in Loop: Header=BB926_213 Depth=1
	s_or_b64 exec, exec, s[18:19]
.LBB926_573:                            ;   in Loop: Header=BB926_213 Depth=1
	s_or_b64 exec, exec, s[16:17]
	s_waitcnt vmcnt(0)
	v_cmp_ne_u16_sdwa s[18:19], v38, v39 src0_sel:BYTE_0 src1_sel:DWORD
	v_mov_b32_e32 v42, 0
	v_mov_b32_e32 v49, 0
	s_and_saveexec_b64 s[16:17], s[18:19]
	s_cbranch_execz .LBB926_579
; %bb.574:                              ;   in Loop: Header=BB926_213 Depth=1
	v_cmp_ne_u16_sdwa s[20:21], v38, s9 src0_sel:BYTE_0 src1_sel:DWORD
	v_mov_b32_e32 v49, 0xffff8000
	s_and_saveexec_b64 s[18:19], s[20:21]
	s_cbranch_execz .LBB926_578
; %bb.575:                              ;   in Loop: Header=BB926_213 Depth=1
	v_and_b32_e32 v40, 0x7f, v38
	v_cmp_ne_u32_e32 vcc, s24, v40
	v_mov_b32_e32 v49, 0x7f80
	s_and_saveexec_b64 s[20:21], vcc
	s_cbranch_execz .LBB926_577
; %bb.576:                              ;   in Loop: Header=BB926_213 Depth=1
	v_and_b32_e32 v49, 7, v38
	v_ffbh_u32_e32 v58, v49
	v_min_u32_e32 v60, 32, v58
	v_subrev_u32_e32 v58, 28, v60
	v_lshlrev_b64 v[58:59], v58, v[38:39]
	v_lshrrev_b32_e32 v57, 3, v40
	v_sub_u32_e32 v59, 29, v60
	v_and_b32_e32 v58, 7, v58
	v_cmp_gt_u32_e32 vcc, 8, v40
	v_cndmask_b32_e32 v40, v57, v59, vcc
	v_cndmask_b32_e32 v49, v49, v58, vcc
	v_lshlrev_b32_e32 v57, 24, v38
	v_lshlrev_b32_e32 v49, 20, v49
	v_and_b32_e32 v57, 0x80000000, v57
	v_lshl_add_u32 v40, v40, 23, v45
	v_or3_b32 v40, v57, v40, v49
	v_lshrrev_b32_e32 v49, 16, v40
.LBB926_577:                            ;   in Loop: Header=BB926_213 Depth=1
	s_or_b64 exec, exec, s[20:21]
.LBB926_578:                            ;   in Loop: Header=BB926_213 Depth=1
	s_or_b64 exec, exec, s[18:19]
.LBB926_579:                            ;   in Loop: Header=BB926_213 Depth=1
	s_or_b64 exec, exec, s[16:17]
	v_lshrrev_b16_e32 v40, 8, v38
	v_cmp_ne_u16_e32 vcc, 0, v40
	s_and_saveexec_b64 s[16:17], vcc
	s_cbranch_execz .LBB926_585
; %bb.580:                              ;   in Loop: Header=BB926_213 Depth=1
	v_cmp_ne_u16_e32 vcc, s9, v40
	v_mov_b32_e32 v42, 0xffff8000
	s_and_saveexec_b64 s[18:19], vcc
	s_cbranch_execz .LBB926_584
; %bb.581:                              ;   in Loop: Header=BB926_213 Depth=1
	v_and_b32_e32 v57, 0x7f, v40
	v_cmp_ne_u32_e32 vcc, s24, v57
	v_mov_b32_e32 v42, 0x7f80
	s_and_saveexec_b64 s[20:21], vcc
	s_cbranch_execz .LBB926_583
; %bb.582:                              ;   in Loop: Header=BB926_213 Depth=1
	v_and_b32_e32 v42, 7, v40
	v_ffbh_u32_e32 v58, v42
	v_min_u32_e32 v61, 32, v58
	v_subrev_u32_e32 v58, 28, v61
	v_lshlrev_b64 v[58:59], v58, v[40:41]
	v_lshrrev_b32_e32 v60, 3, v57
	v_sub_u32_e32 v40, 29, v61
	v_and_b32_e32 v58, 7, v58
	v_cmp_gt_u32_e32 vcc, 8, v57
	v_cndmask_b32_e32 v40, v60, v40, vcc
	v_cndmask_b32_e32 v42, v42, v58, vcc
	v_lshlrev_b32_e32 v57, 16, v38
	v_lshlrev_b32_e32 v42, 20, v42
	v_and_b32_e32 v57, 0x80000000, v57
	v_lshl_add_u32 v40, v40, 23, v45
	v_or3_b32 v40, v57, v40, v42
	v_lshrrev_b32_e32 v42, 16, v40
.LBB926_583:                            ;   in Loop: Header=BB926_213 Depth=1
	s_or_b64 exec, exec, s[20:21]
.LBB926_584:                            ;   in Loop: Header=BB926_213 Depth=1
	s_or_b64 exec, exec, s[18:19]
.LBB926_585:                            ;   in Loop: Header=BB926_213 Depth=1
	s_or_b64 exec, exec, s[16:17]
	v_lshrrev_b32_e32 v40, 16, v38
	v_cmp_ne_u16_sdwa s[18:19], v40, v39 src0_sel:BYTE_0 src1_sel:DWORD
	v_mov_b32_e32 v58, 0
	v_mov_b32_e32 v57, 0
	s_and_saveexec_b64 s[16:17], s[18:19]
	s_cbranch_execz .LBB926_591
; %bb.586:                              ;   in Loop: Header=BB926_213 Depth=1
	v_cmp_ne_u16_sdwa s[20:21], v40, s9 src0_sel:BYTE_0 src1_sel:DWORD
	v_mov_b32_e32 v57, 0xffff8000
	s_and_saveexec_b64 s[18:19], s[20:21]
	s_cbranch_execz .LBB926_590
; %bb.587:                              ;   in Loop: Header=BB926_213 Depth=1
	v_bfe_u32 v59, v38, 16, 7
	v_cmp_ne_u32_e32 vcc, s24, v59
	v_mov_b32_e32 v57, 0x7f80
	s_and_saveexec_b64 s[20:21], vcc
	s_cbranch_execz .LBB926_589
; %bb.588:                              ;   in Loop: Header=BB926_213 Depth=1
	v_and_b32_e32 v57, 7, v40
	v_ffbh_u32_e32 v60, v57
	v_min_u32_e32 v63, 32, v60
	v_subrev_u32_e32 v60, 28, v63
	v_lshlrev_b64 v[60:61], v60, v[40:41]
	v_lshrrev_b32_e32 v62, 3, v59
	v_sub_u32_e32 v61, 29, v63
	v_and_b32_e32 v60, 7, v60
	v_cmp_gt_u32_e32 vcc, 8, v59
	v_cndmask_b32_e32 v59, v62, v61, vcc
	v_cndmask_b32_e32 v57, v57, v60, vcc
	v_lshlrev_b32_e32 v40, 24, v40
	v_lshlrev_b32_e32 v57, 20, v57
	v_and_b32_e32 v40, 0x80000000, v40
	v_lshl_add_u32 v59, v59, 23, v45
	v_or3_b32 v40, v40, v59, v57
	v_lshrrev_b32_e32 v57, 16, v40
.LBB926_589:                            ;   in Loop: Header=BB926_213 Depth=1
	s_or_b64 exec, exec, s[20:21]
.LBB926_590:                            ;   in Loop: Header=BB926_213 Depth=1
	s_or_b64 exec, exec, s[18:19]
.LBB926_591:                            ;   in Loop: Header=BB926_213 Depth=1
	s_or_b64 exec, exec, s[16:17]
	v_cmp_lt_u32_e32 vcc, s25, v38
	s_and_saveexec_b64 s[16:17], vcc
	s_cbranch_execz .LBB926_212
; %bb.592:                              ;   in Loop: Header=BB926_213 Depth=1
	v_lshrrev_b32_e32 v40, 24, v38
	v_cmp_ne_u32_e32 vcc, s9, v40
	v_mov_b32_e32 v58, 0xffff8000
	s_and_saveexec_b64 s[18:19], vcc
	s_cbranch_execz .LBB926_211
; %bb.593:                              ;   in Loop: Header=BB926_213 Depth=1
	v_bfe_u32 v38, v38, 24, 7
	v_cmp_ne_u32_e32 vcc, s24, v38
	v_mov_b32_e32 v58, 0x7f80
	s_and_saveexec_b64 s[20:21], vcc
	s_cbranch_execz .LBB926_210
; %bb.594:                              ;   in Loop: Header=BB926_213 Depth=1
	v_and_b32_e32 v60, 7, v40
	v_ffbh_u32_e32 v58, v60
	v_min_u32_e32 v62, 32, v58
	v_subrev_u32_e32 v58, 28, v62
	v_lshlrev_b64 v[58:59], v58, v[40:41]
	v_lshrrev_b32_e32 v61, 3, v38
	v_sub_u32_e32 v59, 29, v62
	v_and_b32_e32 v58, 7, v58
	v_cmp_gt_u32_e32 vcc, 8, v38
	v_cndmask_b32_e32 v38, v61, v59, vcc
	v_cndmask_b32_e32 v58, v60, v58, vcc
	v_lshlrev_b32_e32 v40, 24, v40
	v_lshlrev_b32_e32 v58, 20, v58
	v_and_b32_e32 v40, 0x80000000, v40
	v_lshl_add_u32 v38, v38, 23, v45
	v_or3_b32 v38, v40, v38, v58
	v_lshrrev_b32_e32 v58, 16, v38
	s_branch .LBB926_210
.LBB926_595:
	s_barrier
	buffer_load_dword v2, off, s[0:3], 0 offset:320
	buffer_load_dword v5, off, s[0:3], 0 offset:332
	;; [unrolled: 1-line block ×4, first 2 shown]
	v_cmp_gt_u32_e32 vcc, 64, v0
	s_xor_b64 s[4:5], s[4:5], -1
	s_and_b64 s[4:5], vcc, s[4:5]
	s_waitcnt vmcnt(0)
	ds_write2st64_b64 v41, v[2:3], v[4:5] offset1:1
	s_waitcnt lgkmcnt(0)
	s_barrier
	s_and_saveexec_b64 s[6:7], s[4:5]
	s_cbranch_execz .LBB926_597
; %bb.596:
	s_mul_i32 s4, s51, s8
	s_lshl_b32 s6, s50, 7
	s_mul_hi_u32 s5, s4, s6
	s_mul_i32 s4, s4, s6
	v_lshlrev_b32_e32 v4, 6, v51
	s_lshl_b64 s[4:5], s[4:5], 1
	v_lshl_or_b32 v0, v0, 10, v4
	s_add_u32 s7, s48, s4
	v_lshlrev_b32_e32 v2, 5, v50
	v_and_b32_e32 v3, 16, v52
	v_and_b32_e32 v0, 0x1a00, v0
	s_addc_u32 s8, s49, s5
	s_lshl_b32 s4, s11, 7
	s_mov_b32 s5, 0
	v_or3_b32 v0, v0, v2, v3
	s_lshl_b64 s[4:5], s[4:5], 1
	ds_read_b128 v[2:5], v0
	s_add_u32 s7, s7, s4
	s_addc_u32 s8, s8, s5
	s_mul_hi_u32 s5, s6, s10
	s_mul_i32 s4, s6, s10
	s_lshl_b64 s[4:5], s[4:5], 1
	s_add_u32 s4, s7, s4
	s_addc_u32 s5, s8, s5
	s_waitcnt lgkmcnt(0)
	global_store_dwordx4 v1, v[2:5], s[4:5]
.LBB926_597:
	s_endpgm
	.section	.rodata,"a",@progbits
	.p2align	6, 0x0
	.amdhsa_kernel _Z39paged_attention_ll4mi_QKV_mfma16_kernelI14__hip_bfloat16hLN4vllm18Fp8KVCacheDataTypeE1ES0_Li16ELi128ELi256ELb0ELi1EL8MFMAType0EEvPKT_PKT0_S9_ifPKiSB_SB_iPKfiiiPfSE_PS4_PT2_iSD_SD_
		.amdhsa_group_segment_fixed_size 8192
		.amdhsa_private_segment_fixed_size 352
		.amdhsa_kernarg_size 400
		.amdhsa_user_sgpr_count 8
		.amdhsa_user_sgpr_private_segment_buffer 1
		.amdhsa_user_sgpr_dispatch_ptr 0
		.amdhsa_user_sgpr_queue_ptr 0
		.amdhsa_user_sgpr_kernarg_segment_ptr 1
		.amdhsa_user_sgpr_dispatch_id 0
		.amdhsa_user_sgpr_flat_scratch_init 1
		.amdhsa_user_sgpr_kernarg_preload_length 0
		.amdhsa_user_sgpr_kernarg_preload_offset 0
		.amdhsa_user_sgpr_private_segment_size 0
		.amdhsa_uses_dynamic_stack 0
		.amdhsa_system_sgpr_private_segment_wavefront_offset 1
		.amdhsa_system_sgpr_workgroup_id_x 1
		.amdhsa_system_sgpr_workgroup_id_y 1
		.amdhsa_system_sgpr_workgroup_id_z 1
		.amdhsa_system_sgpr_workgroup_info 0
		.amdhsa_system_vgpr_workitem_id 0
		.amdhsa_next_free_vgpr 80
		.amdhsa_next_free_sgpr 53
		.amdhsa_accum_offset 80
		.amdhsa_reserve_vcc 1
		.amdhsa_reserve_flat_scratch 0
		.amdhsa_float_round_mode_32 0
		.amdhsa_float_round_mode_16_64 0
		.amdhsa_float_denorm_mode_32 3
		.amdhsa_float_denorm_mode_16_64 3
		.amdhsa_dx10_clamp 1
		.amdhsa_ieee_mode 1
		.amdhsa_fp16_overflow 0
		.amdhsa_tg_split 0
		.amdhsa_exception_fp_ieee_invalid_op 0
		.amdhsa_exception_fp_denorm_src 0
		.amdhsa_exception_fp_ieee_div_zero 0
		.amdhsa_exception_fp_ieee_overflow 0
		.amdhsa_exception_fp_ieee_underflow 0
		.amdhsa_exception_fp_ieee_inexact 0
		.amdhsa_exception_int_div_zero 0
	.end_amdhsa_kernel
	.section	.text._Z39paged_attention_ll4mi_QKV_mfma16_kernelI14__hip_bfloat16hLN4vllm18Fp8KVCacheDataTypeE1ES0_Li16ELi128ELi256ELb0ELi1EL8MFMAType0EEvPKT_PKT0_S9_ifPKiSB_SB_iPKfiiiPfSE_PS4_PT2_iSD_SD_,"axG",@progbits,_Z39paged_attention_ll4mi_QKV_mfma16_kernelI14__hip_bfloat16hLN4vllm18Fp8KVCacheDataTypeE1ES0_Li16ELi128ELi256ELb0ELi1EL8MFMAType0EEvPKT_PKT0_S9_ifPKiSB_SB_iPKfiiiPfSE_PS4_PT2_iSD_SD_,comdat
.Lfunc_end926:
	.size	_Z39paged_attention_ll4mi_QKV_mfma16_kernelI14__hip_bfloat16hLN4vllm18Fp8KVCacheDataTypeE1ES0_Li16ELi128ELi256ELb0ELi1EL8MFMAType0EEvPKT_PKT0_S9_ifPKiSB_SB_iPKfiiiPfSE_PS4_PT2_iSD_SD_, .Lfunc_end926-_Z39paged_attention_ll4mi_QKV_mfma16_kernelI14__hip_bfloat16hLN4vllm18Fp8KVCacheDataTypeE1ES0_Li16ELi128ELi256ELb0ELi1EL8MFMAType0EEvPKT_PKT0_S9_ifPKiSB_SB_iPKfiiiPfSE_PS4_PT2_iSD_SD_
                                        ; -- End function
	.section	.AMDGPU.csdata,"",@progbits
; Kernel info:
; codeLenInByte = 22060
; NumSgprs: 57
; NumVgprs: 80
; NumAgprs: 0
; TotalNumVgprs: 80
; ScratchSize: 352
; MemoryBound: 0
; FloatMode: 240
; IeeeMode: 1
; LDSByteSize: 8192 bytes/workgroup (compile time only)
; SGPRBlocks: 7
; VGPRBlocks: 9
; NumSGPRsForWavesPerEU: 57
; NumVGPRsForWavesPerEU: 80
; AccumOffset: 80
; Occupancy: 6
; WaveLimiterHint : 1
; COMPUTE_PGM_RSRC2:SCRATCH_EN: 1
; COMPUTE_PGM_RSRC2:USER_SGPR: 8
; COMPUTE_PGM_RSRC2:TRAP_HANDLER: 0
; COMPUTE_PGM_RSRC2:TGID_X_EN: 1
; COMPUTE_PGM_RSRC2:TGID_Y_EN: 1
; COMPUTE_PGM_RSRC2:TGID_Z_EN: 1
; COMPUTE_PGM_RSRC2:TIDIG_COMP_CNT: 0
; COMPUTE_PGM_RSRC3_GFX90A:ACCUM_OFFSET: 19
; COMPUTE_PGM_RSRC3_GFX90A:TG_SPLIT: 0
	.section	.text._Z39paged_attention_ll4mi_QKV_mfma16_kernelI14__hip_bfloat16hLN4vllm18Fp8KVCacheDataTypeE1ES0_Li16ELi128ELi256ELb0ELi2EL8MFMAType0EEvPKT_PKT0_S9_ifPKiSB_SB_iPKfiiiPfSE_PS4_PT2_iSD_SD_,"axG",@progbits,_Z39paged_attention_ll4mi_QKV_mfma16_kernelI14__hip_bfloat16hLN4vllm18Fp8KVCacheDataTypeE1ES0_Li16ELi128ELi256ELb0ELi2EL8MFMAType0EEvPKT_PKT0_S9_ifPKiSB_SB_iPKfiiiPfSE_PS4_PT2_iSD_SD_,comdat
	.protected	_Z39paged_attention_ll4mi_QKV_mfma16_kernelI14__hip_bfloat16hLN4vllm18Fp8KVCacheDataTypeE1ES0_Li16ELi128ELi256ELb0ELi2EL8MFMAType0EEvPKT_PKT0_S9_ifPKiSB_SB_iPKfiiiPfSE_PS4_PT2_iSD_SD_ ; -- Begin function _Z39paged_attention_ll4mi_QKV_mfma16_kernelI14__hip_bfloat16hLN4vllm18Fp8KVCacheDataTypeE1ES0_Li16ELi128ELi256ELb0ELi2EL8MFMAType0EEvPKT_PKT0_S9_ifPKiSB_SB_iPKfiiiPfSE_PS4_PT2_iSD_SD_
	.globl	_Z39paged_attention_ll4mi_QKV_mfma16_kernelI14__hip_bfloat16hLN4vllm18Fp8KVCacheDataTypeE1ES0_Li16ELi128ELi256ELb0ELi2EL8MFMAType0EEvPKT_PKT0_S9_ifPKiSB_SB_iPKfiiiPfSE_PS4_PT2_iSD_SD_
	.p2align	8
	.type	_Z39paged_attention_ll4mi_QKV_mfma16_kernelI14__hip_bfloat16hLN4vllm18Fp8KVCacheDataTypeE1ES0_Li16ELi128ELi256ELb0ELi2EL8MFMAType0EEvPKT_PKT0_S9_ifPKiSB_SB_iPKfiiiPfSE_PS4_PT2_iSD_SD_,@function
_Z39paged_attention_ll4mi_QKV_mfma16_kernelI14__hip_bfloat16hLN4vllm18Fp8KVCacheDataTypeE1ES0_Li16ELi128ELi256ELb0ELi2EL8MFMAType0EEvPKT_PKT0_S9_ifPKiSB_SB_iPKfiiiPfSE_PS4_PT2_iSD_SD_: ; @_Z39paged_attention_ll4mi_QKV_mfma16_kernelI14__hip_bfloat16hLN4vllm18Fp8KVCacheDataTypeE1ES0_Li16ELi128ELi256ELb0ELi2EL8MFMAType0EEvPKT_PKT0_S9_ifPKiSB_SB_iPKfiiiPfSE_PS4_PT2_iSD_SD_
; %bb.0:
	s_load_dwordx2 s[6:7], s[4:5], 0x30
	s_add_u32 s0, s0, s11
	s_addc_u32 s1, s1, 0
	s_mov_b32 s24, s9
	s_mov_b64 s[12:13], 0
	s_waitcnt lgkmcnt(0)
	s_cmp_lg_u64 s[6:7], 0
	s_cselect_b64 s[16:17], -1, 0
	s_and_b64 vcc, exec, s[16:17]
	s_cbranch_vccz .LBB927_7
; %bb.1:
	s_add_i32 s14, s8, 1
	s_mov_b32 s15, 0
	s_lshl_b64 s[18:19], s[14:15], 2
	s_add_u32 s18, s6, s18
	s_mov_b32 s9, s15
	s_addc_u32 s19, s7, s19
	s_lshl_b64 s[14:15], s[8:9], 2
	s_add_u32 s14, s6, s14
	s_addc_u32 s15, s7, s15
	s_load_dword s11, s[18:19], 0x0
	s_load_dword s20, s[14:15], 0x0
	s_waitcnt lgkmcnt(0)
	s_sub_i32 s11, s11, s20
	s_cmp_eq_u32 s11, 1
	s_cselect_b64 s[14:15], -1, 0
	s_andn2_b64 vcc, exec, s[12:13]
	s_cbranch_vccnz .LBB927_3
.LBB927_2:
	s_mov_b32 s9, 0
	s_mov_b64 s[14:15], -1
.LBB927_3:
	s_andn2_b64 vcc, exec, s[14:15]
	s_cbranch_vccnz .LBB927_597
; %bb.4:
	s_load_dwordx2 s[12:13], s[4:5], 0x28
	s_lshl_b64 s[18:19], s[8:9], 2
	s_waitcnt lgkmcnt(0)
	s_add_u32 s12, s12, s18
	s_addc_u32 s13, s13, s19
	s_load_dword s33, s[12:13], 0x0
	s_lshl_b32 s20, s24, 8
	s_waitcnt lgkmcnt(0)
	s_cmp_ge_i32 s20, s33
	s_cbranch_scc1 .LBB927_597
; %bb.5:
	s_add_i32 s14, s33, 15
	s_load_dwordx2 s[12:13], s[4:5], 0x20
	s_load_dword s11, s[4:5], 0x38
	s_ashr_i32 s15, s14, 31
	v_and_b32_e32 v1, 0xcf, v0
	s_lshr_b32 s15, s15, 28
	v_add_u32_e32 v1, s20, v1
	s_add_i32 s14, s14, s15
	v_ashrrev_i32_e32 v2, 31, v1
	s_ashr_i32 s22, s14, 4
	v_lshrrev_b32_e32 v10, 28, v2
	s_add_i32 s22, s22, -1
	v_add_u32_e32 v2, v1, v10
	s_waitcnt lgkmcnt(0)
	s_mul_i32 s14, s8, s11
	s_mov_b32 s15, 0
	v_ashrrev_i32_e32 v2, 4, v2
	v_mov_b32_e32 v11, s22
	v_cmp_gt_i32_e32 vcc, s33, v1
	s_lshl_b64 s[14:15], s[14:15], 2
	v_cndmask_b32_e32 v2, v11, v2, vcc
	s_add_u32 s11, s12, s14
	v_ashrrev_i32_e32 v3, 31, v2
	s_addc_u32 s21, s13, s15
	v_lshlrev_b64 v[2:3], 2, v[2:3]
	v_mov_b32_e32 v5, s21
	v_add_co_u32_e32 v4, vcc, s11, v2
	v_or_b32_e32 v2, 16, v1
	v_addc_co_u32_e32 v5, vcc, v5, v3, vcc
	v_add_u32_e32 v3, v2, v10
	v_ashrrev_i32_e32 v3, 4, v3
	v_cmp_gt_i32_e32 vcc, s33, v2
	v_cndmask_b32_e32 v2, v11, v3, vcc
	v_ashrrev_i32_e32 v3, 31, v2
	v_lshlrev_b64 v[2:3], 2, v[2:3]
	v_mov_b32_e32 v7, s21
	v_add_co_u32_e32 v6, vcc, s11, v2
	v_or_b32_e32 v2, 32, v1
	v_addc_co_u32_e32 v7, vcc, v7, v3, vcc
	v_add_u32_e32 v3, v2, v10
	v_ashrrev_i32_e32 v3, 4, v3
	v_cmp_gt_i32_e32 vcc, s33, v2
	v_cndmask_b32_e32 v2, v11, v3, vcc
	v_ashrrev_i32_e32 v3, 31, v2
	;; [unrolled: 10-line block ×3, first 2 shown]
	v_lshlrev_b64 v[2:3], 2, v[2:3]
	v_mov_b32_e32 v1, s21
	v_add_co_u32_e32 v10, vcc, s11, v2
	v_addc_co_u32_e32 v11, vcc, v1, v3, vcc
	global_load_dword v3, v[4:5], off
	global_load_dword v2, v[6:7], off
	global_load_dword v14, v[8:9], off
	global_load_dword v18, v[10:11], off
	s_load_dwordx4 s[12:15], s[4:5], 0x8
	s_andn2_b64 vcc, exec, s[16:17]
	s_cbranch_vccnz .LBB927_8
; %bb.6:
	s_add_u32 s6, s6, s18
	s_addc_u32 s7, s7, s19
	s_load_dword s16, s[6:7], 0x0
	s_branch .LBB927_9
.LBB927_7:
	s_mov_b64 s[14:15], 0
	s_branch .LBB927_2
.LBB927_8:
	s_mov_b32 s16, s8
.LBB927_9:
	s_load_dwordx2 s[48:49], s[4:5], 0x68
	s_load_dwordx8 s[40:47], s[4:5], 0x48
	v_lshrrev_b32_e32 v65, 6, v0
	v_bfe_u32 v54, v0, 4, 2
	v_and_b32_e32 v55, 15, v0
	v_lshl_or_b32 v4, v65, 2, v54
	v_lshlrev_b32_e32 v1, 3, v55
	s_lshl_b32 s25, s10, 1
	v_cmp_gt_u32_e32 vcc, 2, v4
	v_lshlrev_b32_e32 v1, 1, v1
	v_lshlrev_b32_e32 v56, 4, v0
	s_and_saveexec_b64 s[6:7], vcc
	s_cbranch_execz .LBB927_11
; %bb.10:
	s_load_dwordx2 s[18:19], s[4:5], 0x0
	s_waitcnt lgkmcnt(0)
	s_ashr_i32 s17, s40, 31
	s_mul_hi_u32 s23, s16, s40
	s_mul_i32 s17, s16, s17
	s_add_i32 s17, s23, s17
	s_mul_i32 s16, s16, s40
	s_lshl_b64 s[16:17], s[16:17], 1
	v_add_lshl_u32 v6, v54, s25, 7
	s_add_u32 s16, s18, s16
	v_ashrrev_i32_e32 v7, 31, v6
	s_addc_u32 s17, s19, s17
	v_lshlrev_b64 v[6:7], 1, v[6:7]
	v_mov_b32_e32 v5, s17
	v_add_co_u32_e32 v6, vcc, s16, v6
	v_addc_co_u32_e32 v5, vcc, v5, v7, vcc
	v_add_co_u32_e32 v6, vcc, v6, v1
	v_addc_co_u32_e32 v7, vcc, 0, v5, vcc
	global_load_dwordx4 v[6:9], v[6:7], off
	v_lshlrev_b32_e32 v10, 8, v0
	v_lshlrev_b32_e32 v5, 8, v55
	v_and_b32_e32 v10, 0x600, v10
	s_movk_i32 s16, 0x800
	v_and_or_b32 v5, v5, s16, v10
	v_lshlrev_b32_e32 v4, 5, v4
	v_and_b32_e32 v10, 16, v56
	v_or3_b32 v4, v5, v4, v10
	s_waitcnt vmcnt(0)
	ds_write_b128 v4, v[6:9]
.LBB927_11:
	s_or_b64 exec, exec, s[6:7]
	v_and_b32_e32 v10, 48, v0
	v_or_b32_e32 v11, s20, v10
	v_ashrrev_i32_e32 v4, 4, v11
	v_mov_b32_e32 v12, s22
	v_cmp_gt_i32_e32 vcc, s33, v11
	v_cndmask_b32_e32 v4, v12, v4, vcc
	v_ashrrev_i32_e32 v5, 31, v4
	v_lshlrev_b64 v[4:5], 2, v[4:5]
	v_mov_b32_e32 v6, s21
	v_add_co_u32_e32 v4, vcc, s11, v4
	v_addc_co_u32_e32 v5, vcc, v6, v5, vcc
	v_or_b32_e32 v6, 64, v11
	v_ashrrev_i32_e32 v7, 4, v6
	v_cmp_gt_i32_e32 vcc, s33, v6
	v_cndmask_b32_e32 v6, v12, v7, vcc
	v_ashrrev_i32_e32 v7, 31, v6
	v_lshlrev_b64 v[6:7], 2, v[6:7]
	v_mov_b32_e32 v8, s21
	v_add_co_u32_e32 v6, vcc, s11, v6
	v_addc_co_u32_e32 v7, vcc, v8, v7, vcc
	v_or_b32_e32 v8, 0x80, v11
	v_ashrrev_i32_e32 v9, 4, v8
	v_cmp_gt_i32_e32 vcc, s33, v8
	v_cndmask_b32_e32 v8, v12, v9, vcc
	v_ashrrev_i32_e32 v9, 31, v8
	v_lshlrev_b64 v[8:9], 2, v[8:9]
	v_mov_b32_e32 v13, s21
	v_add_co_u32_e32 v8, vcc, s11, v8
	s_load_dwordx2 s[50:51], s[4:5], 0x94
	s_waitcnt lgkmcnt(0)
	s_barrier
	v_addc_co_u32_e32 v9, vcc, v13, v9, vcc
	global_load_dword v50, v[4:5], off
	global_load_dword v57, v[6:7], off
	;; [unrolled: 1-line block ×3, first 2 shown]
	v_or_b32_e32 v4, 0xc0, v11
	v_ashrrev_i32_e32 v5, 4, v4
	v_cmp_gt_i32_e32 vcc, s33, v4
	v_cndmask_b32_e32 v4, v12, v5, vcc
	v_ashrrev_i32_e32 v5, 31, v4
	v_lshlrev_b64 v[4:5], 2, v[4:5]
	v_mov_b32_e32 v6, s21
	v_add_co_u32_e32 v4, vcc, s11, v4
	v_addc_co_u32_e32 v5, vcc, v6, v5, vcc
	global_load_dword v63, v[4:5], off
	s_mul_i32 s10, s10, s42
	s_add_u32 s6, s12, s10
	s_addc_u32 s7, s13, 0
	v_and_b32_e32 v4, 0xf0, v56
	v_mov_b32_e32 v5, s7
	v_add_co_u32_e32 v20, vcc, s6, v4
	v_addc_co_u32_e32 v21, vcc, 0, v5, vcc
	v_lshlrev_b32_e32 v28, 4, v10
	s_waitcnt vmcnt(7)
	v_mad_i64_i32 v[4:5], s[6:7], v3, s41, v[20:21]
	v_add_co_u32_e32 v4, vcc, v4, v28
	v_addc_co_u32_e32 v5, vcc, 0, v5, vcc
	s_waitcnt vmcnt(6)
	v_mad_i64_i32 v[2:3], s[6:7], v2, s41, v[20:21]
	v_add_co_u32_e32 v16, vcc, v2, v28
	v_addc_co_u32_e32 v17, vcc, 0, v3, vcc
	;; [unrolled: 4-line block ×3, first 2 shown]
	s_waitcnt vmcnt(4)
	v_mad_i64_i32 v[18:19], s[6:7], v18, s41, v[20:21]
	global_load_dwordx4 v[34:37], v[4:5], off
	global_load_dwordx4 v[6:9], v[4:5], off offset:1024
	v_add_co_u32_e32 v30, vcc, v18, v28
	s_add_u32 s10, s14, s10
	v_lshl_or_b32 v66, v65, 4, v55
	global_load_dwordx4 v[10:13], v[16:17], off
	global_load_dwordx4 v[2:5], v[16:17], off offset:1024
	v_addc_co_u32_e32 v31, vcc, 0, v19, vcc
	s_addc_u32 s11, s15, 0
	v_lshlrev_b32_e32 v51, 4, v66
	global_load_dwordx4 v[14:17], v[26:27], off
	global_load_dwordx4 v[22:25], v[26:27], off offset:1024
	s_nop 0
	global_load_dwordx4 v[26:29], v[30:31], off
	global_load_dwordx4 v[18:21], v[30:31], off offset:1024
	v_mov_b32_e32 v30, s11
	v_add_co_u32_e32 v42, vcc, s10, v51
	v_addc_co_u32_e32 v43, vcc, 0, v30, vcc
	v_or_b32_e32 v51, 0x400, v51
	v_mov_b32_e32 v52, s11
	v_add_co_u32_e32 v58, vcc, s10, v51
	v_addc_co_u32_e32 v59, vcc, 0, v52, vcc
	s_mov_b32 s12, 0
	s_movk_i32 s13, 0x80
	s_movk_i32 s14, 0x7f
	s_mov_b32 s15, 0xffffff
	s_mov_b32 s16, 0x5040100
	s_waitcnt vmcnt(11)
	v_mad_i64_i32 v[30:31], s[6:7], v50, s41, v[42:43]
	s_waitcnt vmcnt(10)
	v_mad_i64_i32 v[32:33], s[6:7], v57, s41, v[42:43]
	;; [unrolled: 2-line block ×3, first 2 shown]
	global_load_dwordx4 v[38:41], v[30:31], off
	s_nop 0
	global_load_dwordx4 v[30:33], v[32:33], off
	v_mad_i64_i32 v[60:61], s[6:7], v57, s41, v[58:59]
	v_mad_i64_i32 v[50:51], s[6:7], v50, s41, v[58:59]
	v_and_b32_e32 v57, 63, v0
	s_waitcnt vmcnt(10)
	v_mad_i64_i32 v[42:43], s[6:7], v63, s41, v[42:43]
	global_load_dwordx4 v[46:49], v[44:45], off
	s_nop 0
	global_load_dwordx4 v[42:45], v[42:43], off
	s_nop 0
	global_load_dwordx4 v[68:71], v[60:61], off
	v_mad_i64_i32 v[60:61], s[6:7], v62, s41, v[58:59]
	v_mad_i64_i32 v[58:59], s[6:7], v63, s41, v[58:59]
	global_load_dwordx4 v[50:53], v[50:51], off
	s_nop 0
	global_load_dwordx4 v[76:79], v[58:59], off
	global_load_dwordx4 v[72:75], v[60:61], off
	s_waitcnt vmcnt(15)
	buffer_store_dword v37, off, s[0:3], 0 offset:12
	buffer_store_dword v36, off, s[0:3], 0 offset:8
	;; [unrolled: 1-line block ×3, first 2 shown]
	buffer_store_dword v34, off, s[0:3], 0
	s_waitcnt vmcnt(18)
	buffer_store_dword v9, off, s[0:3], 0 offset:28
	buffer_store_dword v8, off, s[0:3], 0 offset:24
	;; [unrolled: 1-line block ×4, first 2 shown]
	s_waitcnt vmcnt(21)
	buffer_store_dword v13, off, s[0:3], 0 offset:44
	buffer_store_dword v12, off, s[0:3], 0 offset:40
	;; [unrolled: 1-line block ×4, first 2 shown]
	s_load_dword s6, s[4:5], 0x1c
	s_load_dwordx4 s[40:43], s[4:5], 0x80
	s_waitcnt vmcnt(24)
	buffer_store_dword v5, off, s[0:3], 0 offset:60
	buffer_store_dword v4, off, s[0:3], 0 offset:56
	;; [unrolled: 1-line block ×4, first 2 shown]
	v_and_b32_e32 v2, 1, v0
	v_lshlrev_b32_e32 v2, 5, v2
	v_mov_b32_e32 v6, 0x80
	s_waitcnt vmcnt(27)
	buffer_store_dword v17, off, s[0:3], 0 offset:76
	buffer_store_dword v16, off, s[0:3], 0 offset:72
	;; [unrolled: 1-line block ×4, first 2 shown]
	v_lshl_or_b32 v14, v54, 9, v2
	v_add_u32_e32 v58, 16, v6
	v_add_u32_e32 v64, 32, v6
	v_add_u32_e32 v59, 48, v6
	v_add_u32_e32 v63, 64, v6
	v_add_u32_e32 v60, 0x50, v6
	v_add_u32_e32 v62, 0x60, v6
	v_add_u32_e32 v61, 0x70, v6
	ds_read_b128 v[2:5], v14
	ds_read_b128 v[6:9], v14 offset:16
	ds_read_b128 v[10:13], v14 offset:2048
	;; [unrolled: 1-line block ×3, first 2 shown]
	s_waitcnt vmcnt(30)
	buffer_store_dword v25, off, s[0:3], 0 offset:92
	buffer_store_dword v24, off, s[0:3], 0 offset:88
	buffer_store_dword v23, off, s[0:3], 0 offset:84
	buffer_store_dword v22, off, s[0:3], 0 offset:80
	s_waitcnt vmcnt(33)
	buffer_store_dword v29, off, s[0:3], 0 offset:108
	buffer_store_dword v28, off, s[0:3], 0 offset:104
	buffer_store_dword v27, off, s[0:3], 0 offset:100
	buffer_store_dword v26, off, s[0:3], 0 offset:96
	;; [unrolled: 5-line block ×3, first 2 shown]
	s_waitcnt lgkmcnt(0)
	v_mov_b32_e32 v18, s6
	v_mov_b32_e32 v27, 0
	;; [unrolled: 1-line block ×3, first 2 shown]
	s_waitcnt vmcnt(39)
	buffer_store_dword v41, off, s[0:3], 0 offset:140
	buffer_store_dword v40, off, s[0:3], 0 offset:136
	buffer_store_dword v39, off, s[0:3], 0 offset:132
	buffer_store_dword v38, off, s[0:3], 0 offset:128
	s_waitcnt vmcnt(42)
	buffer_store_dword v33, off, s[0:3], 0 offset:172
	buffer_store_dword v32, off, s[0:3], 0 offset:168
	buffer_store_dword v31, off, s[0:3], 0 offset:164
	buffer_store_dword v30, off, s[0:3], 0 offset:160
	;; [unrolled: 5-line block ×5, first 2 shown]
	buffer_store_dword v71, off, s[0:3], 0 offset:188
	buffer_store_dword v70, off, s[0:3], 0 offset:184
	;; [unrolled: 1-line block ×4, first 2 shown]
	s_waitcnt vmcnt(56)
	buffer_store_dword v75, off, s[0:3], 0 offset:220
	buffer_store_dword v74, off, s[0:3], 0 offset:216
	;; [unrolled: 1-line block ×5, first 2 shown]
	s_load_dword s4, s[40:41], 0x0
	v_mov_b32_e32 v31, 0
	v_bfrev_b32_e32 v33, 60
	buffer_store_dword v78, off, s[0:3], 0 offset:248
	buffer_store_dword v77, off, s[0:3], 0 offset:244
	;; [unrolled: 1-line block ×3, first 2 shown]
	s_waitcnt lgkmcnt(0)
	v_mul_f32_e32 v22, s4, v18
	v_mov_b32_e32 v24, v22
	v_mov_b32_e32 v25, v22
	s_branch .LBB927_15
.LBB927_12:                             ;   in Loop: Header=BB927_15 Depth=1
	s_or_b64 exec, exec, s[10:11]
.LBB927_13:                             ;   in Loop: Header=BB927_15 Depth=1
	s_or_b64 exec, exec, s[6:7]
.LBB927_14:                             ;   in Loop: Header=BB927_15 Depth=1
	s_or_b64 exec, exec, s[4:5]
	v_perm_b32 v41, v36, v32, s16
	v_perm_b32 v40, v23, v34, s16
	;; [unrolled: 1-line block ×4, first 2 shown]
	v_add_u32_e32 v26, s12, v29
	v_mfma_f32_16x16x16bf16_1k v[18:21], v[40:41], v[14:15], v[18:21]
	s_add_i32 s12, s12, 16
	v_mov_b32_e32 v23, v22
	s_cmp_eq_u32 s12, 64
	v_add_u32_e32 v27, 32, v27
	v_mfma_f32_16x16x16bf16_1k v[18:21], v[36:37], v[16:17], v[18:21]
	s_nop 7
	s_nop 2
	v_pk_mul_f32 v[18:19], v[24:25], v[18:19]
	v_pk_mul_f32 v[20:21], v[22:23], v[20:21]
	buffer_store_dword v19, v26, s[0:3], 0 offen offset:4
	buffer_store_dword v18, v26, s[0:3], 0 offen
	buffer_store_dword v21, v26, s[0:3], 0 offen offset:12
	buffer_store_dword v20, v26, s[0:3], 0 offen offset:8
	s_cbranch_scc1 .LBB927_205
.LBB927_15:                             ; =>This Inner Loop Header: Depth=1
	buffer_load_dword v20, v27, s[0:3], 0 offen
	buffer_load_dword v18, v27, s[0:3], 0 offen offset:4
	buffer_load_dword v28, v27, s[0:3], 0 offen offset:8
	;; [unrolled: 1-line block ×3, first 2 shown]
	v_mov_b32_e32 v19, 0
	s_waitcnt vmcnt(3)
	v_cmp_ne_u16_sdwa s[6:7], v20, v31 src0_sel:BYTE_0 src1_sel:DWORD
	s_and_saveexec_b64 s[4:5], s[6:7]
	s_cbranch_execz .LBB927_21
; %bb.16:                               ;   in Loop: Header=BB927_15 Depth=1
	v_cmp_ne_u16_sdwa s[10:11], v20, s13 src0_sel:BYTE_0 src1_sel:DWORD
	v_mov_b32_e32 v19, 0xffff8000
	s_and_saveexec_b64 s[6:7], s[10:11]
	s_cbranch_execz .LBB927_20
; %bb.17:                               ;   in Loop: Header=BB927_15 Depth=1
	v_and_b32_e32 v21, 0x7f, v20
	v_cmp_ne_u32_e32 vcc, s14, v21
	v_mov_b32_e32 v19, 0x7f80
	s_and_saveexec_b64 s[10:11], vcc
	s_cbranch_execz .LBB927_19
; %bb.18:                               ;   in Loop: Header=BB927_15 Depth=1
	v_and_b32_e32 v19, 7, v20
	v_ffbh_u32_e32 v30, v19
	v_min_u32_e32 v30, 32, v30
	v_subrev_u32_e32 v32, 28, v30
	v_lshlrev_b64 v[34:35], v32, v[20:21]
	v_lshrrev_b32_e32 v23, 3, v21
	v_sub_u32_e32 v30, 29, v30
	v_and_b32_e32 v32, 7, v34
	v_cmp_gt_u32_e32 vcc, 8, v21
	v_cndmask_b32_e32 v21, v23, v30, vcc
	v_cndmask_b32_e32 v19, v19, v32, vcc
	v_lshlrev_b32_e32 v23, 24, v20
	v_lshlrev_b32_e32 v19, 20, v19
	v_and_b32_e32 v23, 0x80000000, v23
	v_lshl_add_u32 v21, v21, 23, v33
	v_or3_b32 v19, v23, v21, v19
	v_lshrrev_b32_e32 v19, 16, v19
.LBB927_19:                             ;   in Loop: Header=BB927_15 Depth=1
	s_or_b64 exec, exec, s[10:11]
.LBB927_20:                             ;   in Loop: Header=BB927_15 Depth=1
	s_or_b64 exec, exec, s[6:7]
.LBB927_21:                             ;   in Loop: Header=BB927_15 Depth=1
	s_or_b64 exec, exec, s[4:5]
	v_lshrrev_b16_e32 v30, 8, v20
	v_cmp_ne_u16_e32 vcc, 0, v30
	v_mov_b32_e32 v23, 0
	v_mov_b32_e32 v21, 0
	s_and_saveexec_b64 s[4:5], vcc
	s_cbranch_execz .LBB927_27
; %bb.22:                               ;   in Loop: Header=BB927_15 Depth=1
	v_cmp_ne_u16_e32 vcc, s13, v30
	v_mov_b32_e32 v21, 0xffff8000
	s_and_saveexec_b64 s[6:7], vcc
	s_cbranch_execz .LBB927_26
; %bb.23:                               ;   in Loop: Header=BB927_15 Depth=1
	v_and_b32_e32 v32, 0x7f, v30
	v_cmp_ne_u32_e32 vcc, s14, v32
	v_mov_b32_e32 v21, 0x7f80
	s_and_saveexec_b64 s[10:11], vcc
	s_cbranch_execz .LBB927_25
; %bb.24:                               ;   in Loop: Header=BB927_15 Depth=1
	v_and_b32_e32 v21, 7, v30
	v_ffbh_u32_e32 v34, v21
	v_min_u32_e32 v37, 32, v34
	v_subrev_u32_e32 v34, 28, v37
	v_lshlrev_b64 v[34:35], v34, v[30:31]
	v_lshrrev_b32_e32 v36, 3, v32
	v_sub_u32_e32 v30, 29, v37
	v_and_b32_e32 v34, 7, v34
	v_cmp_gt_u32_e32 vcc, 8, v32
	v_cndmask_b32_e32 v30, v36, v30, vcc
	v_cndmask_b32_e32 v21, v21, v34, vcc
	v_lshlrev_b32_e32 v32, 16, v20
	v_lshlrev_b32_e32 v21, 20, v21
	v_and_b32_e32 v32, 0x80000000, v32
	v_lshl_add_u32 v30, v30, 23, v33
	v_or3_b32 v21, v32, v30, v21
	v_lshrrev_b32_e32 v21, 16, v21
.LBB927_25:                             ;   in Loop: Header=BB927_15 Depth=1
	s_or_b64 exec, exec, s[10:11]
.LBB927_26:                             ;   in Loop: Header=BB927_15 Depth=1
	s_or_b64 exec, exec, s[6:7]
.LBB927_27:                             ;   in Loop: Header=BB927_15 Depth=1
	s_or_b64 exec, exec, s[4:5]
	v_lshrrev_b32_e32 v30, 16, v20
	v_cmp_ne_u16_sdwa s[6:7], v30, v31 src0_sel:BYTE_0 src1_sel:DWORD
	s_and_saveexec_b64 s[4:5], s[6:7]
	s_cbranch_execz .LBB927_33
; %bb.28:                               ;   in Loop: Header=BB927_15 Depth=1
	v_cmp_ne_u16_sdwa s[10:11], v30, s13 src0_sel:BYTE_0 src1_sel:DWORD
	v_mov_b32_e32 v23, 0xffff8000
	s_and_saveexec_b64 s[6:7], s[10:11]
	s_cbranch_execz .LBB927_32
; %bb.29:                               ;   in Loop: Header=BB927_15 Depth=1
	v_bfe_u32 v32, v20, 16, 7
	v_cmp_ne_u32_e32 vcc, s14, v32
	v_mov_b32_e32 v23, 0x7f80
	s_and_saveexec_b64 s[10:11], vcc
	s_cbranch_execz .LBB927_31
; %bb.30:                               ;   in Loop: Header=BB927_15 Depth=1
	v_and_b32_e32 v23, 7, v30
	v_ffbh_u32_e32 v34, v23
	v_min_u32_e32 v37, 32, v34
	v_subrev_u32_e32 v34, 28, v37
	v_lshlrev_b64 v[34:35], v34, v[30:31]
	v_lshrrev_b32_e32 v36, 3, v32
	v_sub_u32_e32 v35, 29, v37
	v_and_b32_e32 v34, 7, v34
	v_cmp_gt_u32_e32 vcc, 8, v32
	v_cndmask_b32_e32 v32, v36, v35, vcc
	v_cndmask_b32_e32 v23, v23, v34, vcc
	v_lshlrev_b32_e32 v30, 24, v30
	v_lshlrev_b32_e32 v23, 20, v23
	v_and_b32_e32 v30, 0x80000000, v30
	v_lshl_add_u32 v32, v32, 23, v33
	v_or3_b32 v23, v30, v32, v23
	v_lshrrev_b32_e32 v23, 16, v23
.LBB927_31:                             ;   in Loop: Header=BB927_15 Depth=1
	s_or_b64 exec, exec, s[10:11]
.LBB927_32:                             ;   in Loop: Header=BB927_15 Depth=1
	s_or_b64 exec, exec, s[6:7]
.LBB927_33:                             ;   in Loop: Header=BB927_15 Depth=1
	s_or_b64 exec, exec, s[4:5]
	v_cmp_lt_u32_e32 vcc, s15, v20
	v_mov_b32_e32 v34, 0
	v_mov_b32_e32 v35, 0
	s_and_saveexec_b64 s[4:5], vcc
	s_cbranch_execz .LBB927_39
; %bb.34:                               ;   in Loop: Header=BB927_15 Depth=1
	v_lshrrev_b32_e32 v30, 24, v20
	v_cmp_ne_u32_e32 vcc, s13, v30
	v_mov_b32_e32 v35, 0xffff8000
	s_and_saveexec_b64 s[6:7], vcc
	s_cbranch_execz .LBB927_38
; %bb.35:                               ;   in Loop: Header=BB927_15 Depth=1
	v_bfe_u32 v20, v20, 24, 7
	v_cmp_ne_u32_e32 vcc, s14, v20
	v_mov_b32_e32 v35, 0x7f80
	s_and_saveexec_b64 s[10:11], vcc
	s_cbranch_execz .LBB927_37
; %bb.36:                               ;   in Loop: Header=BB927_15 Depth=1
	v_and_b32_e32 v32, 7, v30
	v_ffbh_u32_e32 v36, v32
	v_min_u32_e32 v38, 32, v36
	v_subrev_u32_e32 v36, 28, v38
	v_lshlrev_b64 v[36:37], v36, v[30:31]
	v_lshrrev_b32_e32 v35, 3, v20
	v_sub_u32_e32 v37, 29, v38
	v_and_b32_e32 v36, 7, v36
	v_cmp_gt_u32_e32 vcc, 8, v20
	v_cndmask_b32_e32 v20, v35, v37, vcc
	v_cndmask_b32_e32 v32, v32, v36, vcc
	v_lshlrev_b32_e32 v30, 24, v30
	v_lshlrev_b32_e32 v32, 20, v32
	v_and_b32_e32 v30, 0x80000000, v30
	v_lshl_add_u32 v20, v20, 23, v33
	v_or3_b32 v20, v30, v20, v32
	v_lshrrev_b32_e32 v35, 16, v20
.LBB927_37:                             ;   in Loop: Header=BB927_15 Depth=1
	s_or_b64 exec, exec, s[10:11]
.LBB927_38:                             ;   in Loop: Header=BB927_15 Depth=1
	s_or_b64 exec, exec, s[6:7]
.LBB927_39:                             ;   in Loop: Header=BB927_15 Depth=1
	s_or_b64 exec, exec, s[4:5]
	s_waitcnt vmcnt(2)
	v_cmp_ne_u16_sdwa s[6:7], v18, v31 src0_sel:BYTE_0 src1_sel:DWORD
	s_and_saveexec_b64 s[4:5], s[6:7]
	s_cbranch_execz .LBB927_45
; %bb.40:                               ;   in Loop: Header=BB927_15 Depth=1
	v_cmp_ne_u16_sdwa s[10:11], v18, s13 src0_sel:BYTE_0 src1_sel:DWORD
	v_mov_b32_e32 v34, 0xffff8000
	s_and_saveexec_b64 s[6:7], s[10:11]
	s_cbranch_execz .LBB927_44
; %bb.41:                               ;   in Loop: Header=BB927_15 Depth=1
	v_and_b32_e32 v20, 0x7f, v18
	v_cmp_ne_u32_e32 vcc, s14, v20
	v_mov_b32_e32 v34, 0x7f80
	s_and_saveexec_b64 s[10:11], vcc
	s_cbranch_execz .LBB927_43
; %bb.42:                               ;   in Loop: Header=BB927_15 Depth=1
	v_and_b32_e32 v30, 7, v18
	v_ffbh_u32_e32 v34, v30
	v_min_u32_e32 v34, 32, v34
	v_subrev_u32_e32 v36, 28, v34
	v_lshlrev_b64 v[36:37], v36, v[18:19]
	v_lshrrev_b32_e32 v32, 3, v20
	v_sub_u32_e32 v34, 29, v34
	v_and_b32_e32 v36, 7, v36
	v_cmp_gt_u32_e32 vcc, 8, v20
	v_cndmask_b32_e32 v20, v32, v34, vcc
	v_cndmask_b32_e32 v30, v30, v36, vcc
	v_lshlrev_b32_e32 v32, 24, v18
	v_lshlrev_b32_e32 v30, 20, v30
	v_and_b32_e32 v32, 0x80000000, v32
	v_lshl_add_u32 v20, v20, 23, v33
	v_or3_b32 v20, v32, v20, v30
	v_lshrrev_b32_e32 v34, 16, v20
.LBB927_43:                             ;   in Loop: Header=BB927_15 Depth=1
	s_or_b64 exec, exec, s[10:11]
.LBB927_44:                             ;   in Loop: Header=BB927_15 Depth=1
	s_or_b64 exec, exec, s[6:7]
.LBB927_45:                             ;   in Loop: Header=BB927_15 Depth=1
	s_or_b64 exec, exec, s[4:5]
	v_lshrrev_b16_e32 v20, 8, v18
	v_cmp_ne_u16_e32 vcc, 0, v20
	v_mov_b32_e32 v36, 0
	v_mov_b32_e32 v30, 0
	s_and_saveexec_b64 s[4:5], vcc
	s_cbranch_execz .LBB927_51
; %bb.46:                               ;   in Loop: Header=BB927_15 Depth=1
	v_cmp_ne_u16_e32 vcc, s13, v20
	v_mov_b32_e32 v30, 0xffff8000
	s_and_saveexec_b64 s[6:7], vcc
	s_cbranch_execz .LBB927_50
; %bb.47:                               ;   in Loop: Header=BB927_15 Depth=1
	v_and_b32_e32 v32, 0x7f, v20
	v_cmp_ne_u32_e32 vcc, s14, v32
	v_mov_b32_e32 v30, 0x7f80
	s_and_saveexec_b64 s[10:11], vcc
	s_cbranch_execz .LBB927_49
; %bb.48:                               ;   in Loop: Header=BB927_15 Depth=1
	v_and_b32_e32 v30, 7, v20
	v_ffbh_u32_e32 v38, v30
	v_min_u32_e32 v40, 32, v38
	v_subrev_u32_e32 v38, 28, v40
	v_lshlrev_b64 v[38:39], v38, v[20:21]
	v_lshrrev_b32_e32 v37, 3, v32
	v_sub_u32_e32 v20, 29, v40
	v_and_b32_e32 v38, 7, v38
	v_cmp_gt_u32_e32 vcc, 8, v32
	v_cndmask_b32_e32 v20, v37, v20, vcc
	v_cndmask_b32_e32 v30, v30, v38, vcc
	v_lshlrev_b32_e32 v32, 16, v18
	v_lshlrev_b32_e32 v30, 20, v30
	v_and_b32_e32 v32, 0x80000000, v32
	v_lshl_add_u32 v20, v20, 23, v33
	v_or3_b32 v20, v32, v20, v30
	v_lshrrev_b32_e32 v30, 16, v20
.LBB927_49:                             ;   in Loop: Header=BB927_15 Depth=1
	s_or_b64 exec, exec, s[10:11]
.LBB927_50:                             ;   in Loop: Header=BB927_15 Depth=1
	s_or_b64 exec, exec, s[6:7]
.LBB927_51:                             ;   in Loop: Header=BB927_15 Depth=1
	s_or_b64 exec, exec, s[4:5]
	v_lshrrev_b32_e32 v20, 16, v18
	v_cmp_ne_u16_sdwa s[6:7], v20, v31 src0_sel:BYTE_0 src1_sel:DWORD
	s_and_saveexec_b64 s[4:5], s[6:7]
	s_cbranch_execz .LBB927_57
; %bb.52:                               ;   in Loop: Header=BB927_15 Depth=1
	v_cmp_ne_u16_sdwa s[10:11], v20, s13 src0_sel:BYTE_0 src1_sel:DWORD
	v_mov_b32_e32 v36, 0xffff8000
	s_and_saveexec_b64 s[6:7], s[10:11]
	s_cbranch_execz .LBB927_56
; %bb.53:                               ;   in Loop: Header=BB927_15 Depth=1
	v_bfe_u32 v32, v18, 16, 7
	v_cmp_ne_u32_e32 vcc, s14, v32
	v_mov_b32_e32 v36, 0x7f80
	s_and_saveexec_b64 s[10:11], vcc
	s_cbranch_execz .LBB927_55
; %bb.54:                               ;   in Loop: Header=BB927_15 Depth=1
	v_and_b32_e32 v38, 7, v20
	v_ffbh_u32_e32 v36, v38
	v_min_u32_e32 v40, 32, v36
	v_subrev_u32_e32 v36, 28, v40
	v_lshlrev_b64 v[36:37], v36, v[20:21]
	v_lshrrev_b32_e32 v39, 3, v32
	v_sub_u32_e32 v37, 29, v40
	v_and_b32_e32 v36, 7, v36
	v_cmp_gt_u32_e32 vcc, 8, v32
	v_cndmask_b32_e32 v32, v39, v37, vcc
	v_cndmask_b32_e32 v36, v38, v36, vcc
	v_lshlrev_b32_e32 v20, 24, v20
	v_lshlrev_b32_e32 v36, 20, v36
	v_and_b32_e32 v20, 0x80000000, v20
	v_lshl_add_u32 v32, v32, 23, v33
	v_or3_b32 v20, v20, v32, v36
	v_lshrrev_b32_e32 v36, 16, v20
.LBB927_55:                             ;   in Loop: Header=BB927_15 Depth=1
	s_or_b64 exec, exec, s[10:11]
.LBB927_56:                             ;   in Loop: Header=BB927_15 Depth=1
	s_or_b64 exec, exec, s[6:7]
.LBB927_57:                             ;   in Loop: Header=BB927_15 Depth=1
	s_or_b64 exec, exec, s[4:5]
	v_cmp_lt_u32_e32 vcc, s15, v18
	v_mov_b32_e32 v32, 0
	v_mov_b32_e32 v37, 0
	s_and_saveexec_b64 s[4:5], vcc
	s_cbranch_execz .LBB927_63
; %bb.58:                               ;   in Loop: Header=BB927_15 Depth=1
	v_lshrrev_b32_e32 v20, 24, v18
	v_cmp_ne_u32_e32 vcc, s13, v20
	v_mov_b32_e32 v37, 0xffff8000
	s_and_saveexec_b64 s[6:7], vcc
	s_cbranch_execz .LBB927_62
; %bb.59:                               ;   in Loop: Header=BB927_15 Depth=1
	v_bfe_u32 v18, v18, 24, 7
	v_cmp_ne_u32_e32 vcc, s14, v18
	v_mov_b32_e32 v37, 0x7f80
	s_and_saveexec_b64 s[10:11], vcc
	s_cbranch_execz .LBB927_61
; %bb.60:                               ;   in Loop: Header=BB927_15 Depth=1
	v_and_b32_e32 v37, 7, v20
	v_ffbh_u32_e32 v38, v37
	v_min_u32_e32 v41, 32, v38
	v_subrev_u32_e32 v38, 28, v41
	v_lshlrev_b64 v[38:39], v38, v[20:21]
	v_lshrrev_b32_e32 v40, 3, v18
	v_sub_u32_e32 v39, 29, v41
	v_and_b32_e32 v38, 7, v38
	v_cmp_gt_u32_e32 vcc, 8, v18
	v_cndmask_b32_e32 v18, v40, v39, vcc
	v_cndmask_b32_e32 v37, v37, v38, vcc
	v_lshlrev_b32_e32 v20, 24, v20
	v_lshlrev_b32_e32 v37, 20, v37
	v_and_b32_e32 v20, 0x80000000, v20
	v_lshl_add_u32 v18, v18, 23, v33
	v_or3_b32 v18, v20, v18, v37
	v_lshrrev_b32_e32 v37, 16, v18
.LBB927_61:                             ;   in Loop: Header=BB927_15 Depth=1
	s_or_b64 exec, exec, s[10:11]
.LBB927_62:                             ;   in Loop: Header=BB927_15 Depth=1
	s_or_b64 exec, exec, s[6:7]
.LBB927_63:                             ;   in Loop: Header=BB927_15 Depth=1
	s_or_b64 exec, exec, s[4:5]
	v_perm_b32 v39, v35, v23, s16
	v_perm_b32 v38, v21, v19, s16
	;; [unrolled: 1-line block ×4, first 2 shown]
	s_waitcnt vmcnt(1)
	v_cmp_ne_u16_sdwa s[6:7], v28, v31 src0_sel:BYTE_0 src1_sel:DWORD
	v_mfma_f32_16x16x16bf16_1k v[18:21], v[38:39], v[2:3], 0
	v_mfma_f32_16x16x16bf16_1k v[18:21], v[34:35], v[4:5], v[18:21]
	s_and_saveexec_b64 s[4:5], s[6:7]
	s_cbranch_execz .LBB927_69
; %bb.64:                               ;   in Loop: Header=BB927_15 Depth=1
	v_cmp_ne_u16_sdwa s[10:11], v28, s13 src0_sel:BYTE_0 src1_sel:DWORD
	v_mov_b32_e32 v32, 0xffff8000
	s_and_saveexec_b64 s[6:7], s[10:11]
	s_cbranch_execz .LBB927_68
; %bb.65:                               ;   in Loop: Header=BB927_15 Depth=1
	v_and_b32_e32 v23, 0x7f, v28
	v_cmp_ne_u32_e32 vcc, s14, v23
	v_mov_b32_e32 v32, 0x7f80
	s_and_saveexec_b64 s[10:11], vcc
	s_cbranch_execz .LBB927_67
; %bb.66:                               ;   in Loop: Header=BB927_15 Depth=1
	v_and_b32_e32 v30, 7, v28
	v_ffbh_u32_e32 v34, v30
	v_min_u32_e32 v36, 32, v34
	v_subrev_u32_e32 v34, 28, v36
	v_lshlrev_b64 v[34:35], v34, v[28:29]
	v_lshrrev_b32_e32 v32, 3, v23
	v_sub_u32_e32 v35, 29, v36
	v_and_b32_e32 v34, 7, v34
	v_cmp_gt_u32_e32 vcc, 8, v23
	v_cndmask_b32_e32 v23, v32, v35, vcc
	v_cndmask_b32_e32 v30, v30, v34, vcc
	v_lshlrev_b32_e32 v32, 24, v28
	v_lshlrev_b32_e32 v30, 20, v30
	v_and_b32_e32 v32, 0x80000000, v32
	v_lshl_add_u32 v23, v23, 23, v33
	v_or3_b32 v23, v32, v23, v30
	v_lshrrev_b32_e32 v32, 16, v23
.LBB927_67:                             ;   in Loop: Header=BB927_15 Depth=1
	s_or_b64 exec, exec, s[10:11]
.LBB927_68:                             ;   in Loop: Header=BB927_15 Depth=1
	s_or_b64 exec, exec, s[6:7]
.LBB927_69:                             ;   in Loop: Header=BB927_15 Depth=1
	s_or_b64 exec, exec, s[4:5]
	v_lshrrev_b16_e32 v30, 8, v28
	v_cmp_ne_u16_e32 vcc, 0, v30
	v_mov_b32_e32 v35, 0
	v_mov_b32_e32 v34, 0
	s_and_saveexec_b64 s[4:5], vcc
	s_cbranch_execz .LBB927_75
; %bb.70:                               ;   in Loop: Header=BB927_15 Depth=1
	v_cmp_ne_u16_e32 vcc, s13, v30
	v_mov_b32_e32 v34, 0xffff8000
	s_and_saveexec_b64 s[6:7], vcc
	s_cbranch_execz .LBB927_74
; %bb.71:                               ;   in Loop: Header=BB927_15 Depth=1
	v_and_b32_e32 v23, 0x7f, v30
	v_cmp_ne_u32_e32 vcc, s14, v23
	v_mov_b32_e32 v34, 0x7f80
	s_and_saveexec_b64 s[10:11], vcc
	s_cbranch_execz .LBB927_73
; %bb.72:                               ;   in Loop: Header=BB927_15 Depth=1
	v_and_b32_e32 v34, 7, v30
	v_ffbh_u32_e32 v36, v34
	v_min_u32_e32 v39, 32, v36
	v_subrev_u32_e32 v36, 28, v39
	v_lshlrev_b64 v[36:37], v36, v[30:31]
	v_lshrrev_b32_e32 v38, 3, v23
	v_sub_u32_e32 v30, 29, v39
	v_and_b32_e32 v36, 7, v36
	v_cmp_gt_u32_e32 vcc, 8, v23
	v_cndmask_b32_e32 v23, v38, v30, vcc
	v_cndmask_b32_e32 v30, v34, v36, vcc
	v_lshlrev_b32_e32 v34, 16, v28
	v_lshlrev_b32_e32 v30, 20, v30
	v_and_b32_e32 v34, 0x80000000, v34
	v_lshl_add_u32 v23, v23, 23, v33
	v_or3_b32 v23, v34, v23, v30
	v_lshrrev_b32_e32 v34, 16, v23
.LBB927_73:                             ;   in Loop: Header=BB927_15 Depth=1
	s_or_b64 exec, exec, s[10:11]
.LBB927_74:                             ;   in Loop: Header=BB927_15 Depth=1
	s_or_b64 exec, exec, s[6:7]
.LBB927_75:                             ;   in Loop: Header=BB927_15 Depth=1
	s_or_b64 exec, exec, s[4:5]
	v_lshrrev_b32_e32 v30, 16, v28
	v_cmp_ne_u16_sdwa s[6:7], v30, v31 src0_sel:BYTE_0 src1_sel:DWORD
	s_and_saveexec_b64 s[4:5], s[6:7]
	s_cbranch_execz .LBB927_81
; %bb.76:                               ;   in Loop: Header=BB927_15 Depth=1
	v_cmp_ne_u16_sdwa s[10:11], v30, s13 src0_sel:BYTE_0 src1_sel:DWORD
	v_mov_b32_e32 v35, 0xffff8000
	s_and_saveexec_b64 s[6:7], s[10:11]
	s_cbranch_execz .LBB927_80
; %bb.77:                               ;   in Loop: Header=BB927_15 Depth=1
	v_bfe_u32 v23, v28, 16, 7
	v_cmp_ne_u32_e32 vcc, s14, v23
	v_mov_b32_e32 v35, 0x7f80
	s_and_saveexec_b64 s[10:11], vcc
	s_cbranch_execz .LBB927_79
; %bb.78:                               ;   in Loop: Header=BB927_15 Depth=1
	v_and_b32_e32 v35, 7, v30
	v_ffbh_u32_e32 v36, v35
	v_min_u32_e32 v39, 32, v36
	v_subrev_u32_e32 v36, 28, v39
	v_lshlrev_b64 v[36:37], v36, v[30:31]
	v_lshrrev_b32_e32 v38, 3, v23
	v_sub_u32_e32 v37, 29, v39
	v_and_b32_e32 v36, 7, v36
	v_cmp_gt_u32_e32 vcc, 8, v23
	v_cndmask_b32_e32 v23, v38, v37, vcc
	v_cndmask_b32_e32 v35, v35, v36, vcc
	v_lshlrev_b32_e32 v30, 24, v30
	v_lshlrev_b32_e32 v35, 20, v35
	v_and_b32_e32 v30, 0x80000000, v30
	v_lshl_add_u32 v23, v23, 23, v33
	v_or3_b32 v23, v30, v23, v35
	v_lshrrev_b32_e32 v35, 16, v23
.LBB927_79:                             ;   in Loop: Header=BB927_15 Depth=1
	s_or_b64 exec, exec, s[10:11]
.LBB927_80:                             ;   in Loop: Header=BB927_15 Depth=1
	s_or_b64 exec, exec, s[6:7]
.LBB927_81:                             ;   in Loop: Header=BB927_15 Depth=1
	s_or_b64 exec, exec, s[4:5]
	v_cmp_lt_u32_e32 vcc, s15, v28
	v_mov_b32_e32 v36, 0
	v_mov_b32_e32 v37, 0
	s_and_saveexec_b64 s[4:5], vcc
	s_cbranch_execz .LBB927_87
; %bb.82:                               ;   in Loop: Header=BB927_15 Depth=1
	v_lshrrev_b32_e32 v30, 24, v28
	v_cmp_ne_u32_e32 vcc, s13, v30
	v_mov_b32_e32 v37, 0xffff8000
	s_and_saveexec_b64 s[6:7], vcc
	s_cbranch_execz .LBB927_86
; %bb.83:                               ;   in Loop: Header=BB927_15 Depth=1
	v_bfe_u32 v23, v28, 24, 7
	v_cmp_ne_u32_e32 vcc, s14, v23
	v_mov_b32_e32 v37, 0x7f80
	s_and_saveexec_b64 s[10:11], vcc
	s_cbranch_execz .LBB927_85
; %bb.84:                               ;   in Loop: Header=BB927_15 Depth=1
	v_and_b32_e32 v28, 7, v30
	v_ffbh_u32_e32 v38, v28
	v_min_u32_e32 v40, 32, v38
	v_subrev_u32_e32 v38, 28, v40
	v_lshlrev_b64 v[38:39], v38, v[30:31]
	v_lshrrev_b32_e32 v37, 3, v23
	v_sub_u32_e32 v39, 29, v40
	v_and_b32_e32 v38, 7, v38
	v_cmp_gt_u32_e32 vcc, 8, v23
	v_cndmask_b32_e32 v23, v37, v39, vcc
	v_cndmask_b32_e32 v28, v28, v38, vcc
	v_lshlrev_b32_e32 v30, 24, v30
	v_lshlrev_b32_e32 v28, 20, v28
	v_and_b32_e32 v30, 0x80000000, v30
	v_lshl_add_u32 v23, v23, 23, v33
	v_or3_b32 v23, v30, v23, v28
	v_lshrrev_b32_e32 v37, 16, v23
.LBB927_85:                             ;   in Loop: Header=BB927_15 Depth=1
	s_or_b64 exec, exec, s[10:11]
.LBB927_86:                             ;   in Loop: Header=BB927_15 Depth=1
	s_or_b64 exec, exec, s[6:7]
.LBB927_87:                             ;   in Loop: Header=BB927_15 Depth=1
	s_or_b64 exec, exec, s[4:5]
	s_waitcnt vmcnt(0)
	v_cmp_ne_u16_sdwa s[6:7], v26, v31 src0_sel:BYTE_0 src1_sel:DWORD
	s_and_saveexec_b64 s[4:5], s[6:7]
	s_cbranch_execz .LBB927_93
; %bb.88:                               ;   in Loop: Header=BB927_15 Depth=1
	v_cmp_ne_u16_sdwa s[10:11], v26, s13 src0_sel:BYTE_0 src1_sel:DWORD
	v_mov_b32_e32 v36, 0xffff8000
	s_and_saveexec_b64 s[6:7], s[10:11]
	s_cbranch_execz .LBB927_92
; %bb.89:                               ;   in Loop: Header=BB927_15 Depth=1
	v_and_b32_e32 v23, 0x7f, v26
	v_cmp_ne_u32_e32 vcc, s14, v23
	v_mov_b32_e32 v36, 0x7f80
	s_and_saveexec_b64 s[10:11], vcc
	s_cbranch_execz .LBB927_91
; %bb.90:                               ;   in Loop: Header=BB927_15 Depth=1
	v_and_b32_e32 v28, 7, v26
	v_ffbh_u32_e32 v36, v28
	v_min_u32_e32 v36, 32, v36
	v_subrev_u32_e32 v38, 28, v36
	v_lshlrev_b64 v[38:39], v38, v[26:27]
	v_lshrrev_b32_e32 v30, 3, v23
	v_sub_u32_e32 v36, 29, v36
	v_and_b32_e32 v38, 7, v38
	v_cmp_gt_u32_e32 vcc, 8, v23
	v_cndmask_b32_e32 v23, v30, v36, vcc
	v_cndmask_b32_e32 v28, v28, v38, vcc
	v_lshlrev_b32_e32 v30, 24, v26
	v_lshlrev_b32_e32 v28, 20, v28
	v_and_b32_e32 v30, 0x80000000, v30
	v_lshl_add_u32 v23, v23, 23, v33
	v_or3_b32 v23, v30, v23, v28
	v_lshrrev_b32_e32 v36, 16, v23
.LBB927_91:                             ;   in Loop: Header=BB927_15 Depth=1
	s_or_b64 exec, exec, s[10:11]
.LBB927_92:                             ;   in Loop: Header=BB927_15 Depth=1
	s_or_b64 exec, exec, s[6:7]
.LBB927_93:                             ;   in Loop: Header=BB927_15 Depth=1
	s_or_b64 exec, exec, s[4:5]
	v_lshrrev_b16_e32 v28, 8, v26
	v_cmp_ne_u16_e32 vcc, 0, v28
	v_mov_b32_e32 v39, 0
	v_mov_b32_e32 v38, 0
	s_and_saveexec_b64 s[4:5], vcc
	s_cbranch_execz .LBB927_99
; %bb.94:                               ;   in Loop: Header=BB927_15 Depth=1
	v_cmp_ne_u16_e32 vcc, s13, v28
	v_mov_b32_e32 v38, 0xffff8000
	s_and_saveexec_b64 s[6:7], vcc
	s_cbranch_execz .LBB927_98
; %bb.95:                               ;   in Loop: Header=BB927_15 Depth=1
	v_and_b32_e32 v23, 0x7f, v28
	v_cmp_ne_u32_e32 vcc, s14, v23
	v_mov_b32_e32 v38, 0x7f80
	s_and_saveexec_b64 s[10:11], vcc
	s_cbranch_execz .LBB927_97
; %bb.96:                               ;   in Loop: Header=BB927_15 Depth=1
	v_and_b32_e32 v30, 7, v28
	v_ffbh_u32_e32 v40, v30
	v_min_u32_e32 v42, 32, v40
	v_subrev_u32_e32 v40, 28, v42
	v_lshlrev_b64 v[40:41], v40, v[28:29]
	v_lshrrev_b32_e32 v38, 3, v23
	v_sub_u32_e32 v28, 29, v42
	v_and_b32_e32 v40, 7, v40
	v_cmp_gt_u32_e32 vcc, 8, v23
	v_cndmask_b32_e32 v23, v38, v28, vcc
	v_cndmask_b32_e32 v28, v30, v40, vcc
	v_lshlrev_b32_e32 v30, 16, v26
	v_lshlrev_b32_e32 v28, 20, v28
	v_and_b32_e32 v30, 0x80000000, v30
	v_lshl_add_u32 v23, v23, 23, v33
	v_or3_b32 v23, v30, v23, v28
	v_lshrrev_b32_e32 v38, 16, v23
.LBB927_97:                             ;   in Loop: Header=BB927_15 Depth=1
	s_or_b64 exec, exec, s[10:11]
.LBB927_98:                             ;   in Loop: Header=BB927_15 Depth=1
	s_or_b64 exec, exec, s[6:7]
.LBB927_99:                             ;   in Loop: Header=BB927_15 Depth=1
	s_or_b64 exec, exec, s[4:5]
	v_lshrrev_b32_e32 v28, 16, v26
	v_cmp_ne_u16_sdwa s[6:7], v28, v31 src0_sel:BYTE_0 src1_sel:DWORD
	s_and_saveexec_b64 s[4:5], s[6:7]
	s_cbranch_execz .LBB927_105
; %bb.100:                              ;   in Loop: Header=BB927_15 Depth=1
	v_cmp_ne_u16_sdwa s[10:11], v28, s13 src0_sel:BYTE_0 src1_sel:DWORD
	v_mov_b32_e32 v39, 0xffff8000
	s_and_saveexec_b64 s[6:7], s[10:11]
	s_cbranch_execz .LBB927_104
; %bb.101:                              ;   in Loop: Header=BB927_15 Depth=1
	v_bfe_u32 v23, v26, 16, 7
	v_cmp_ne_u32_e32 vcc, s14, v23
	v_mov_b32_e32 v39, 0x7f80
	s_and_saveexec_b64 s[10:11], vcc
	s_cbranch_execz .LBB927_103
; %bb.102:                              ;   in Loop: Header=BB927_15 Depth=1
	v_and_b32_e32 v30, 7, v28
	v_ffbh_u32_e32 v40, v30
	v_min_u32_e32 v42, 32, v40
	v_subrev_u32_e32 v40, 28, v42
	v_lshlrev_b64 v[40:41], v40, v[28:29]
	v_lshrrev_b32_e32 v39, 3, v23
	v_sub_u32_e32 v41, 29, v42
	v_and_b32_e32 v40, 7, v40
	v_cmp_gt_u32_e32 vcc, 8, v23
	v_cndmask_b32_e32 v23, v39, v41, vcc
	v_cndmask_b32_e32 v30, v30, v40, vcc
	v_lshlrev_b32_e32 v28, 24, v28
	v_lshlrev_b32_e32 v30, 20, v30
	v_and_b32_e32 v28, 0x80000000, v28
	v_lshl_add_u32 v23, v23, 23, v33
	v_or3_b32 v23, v28, v23, v30
	v_lshrrev_b32_e32 v39, 16, v23
.LBB927_103:                            ;   in Loop: Header=BB927_15 Depth=1
	s_or_b64 exec, exec, s[10:11]
.LBB927_104:                            ;   in Loop: Header=BB927_15 Depth=1
	s_or_b64 exec, exec, s[6:7]
.LBB927_105:                            ;   in Loop: Header=BB927_15 Depth=1
	s_or_b64 exec, exec, s[4:5]
	v_cmp_lt_u32_e32 vcc, s15, v26
	v_mov_b32_e32 v23, 0
	v_mov_b32_e32 v40, 0
	s_and_saveexec_b64 s[4:5], vcc
	s_cbranch_execz .LBB927_111
; %bb.106:                              ;   in Loop: Header=BB927_15 Depth=1
	v_lshrrev_b32_e32 v28, 24, v26
	v_cmp_ne_u32_e32 vcc, s13, v28
	v_mov_b32_e32 v40, 0xffff8000
	s_and_saveexec_b64 s[6:7], vcc
	s_cbranch_execz .LBB927_110
; %bb.107:                              ;   in Loop: Header=BB927_15 Depth=1
	v_bfe_u32 v26, v26, 24, 7
	v_cmp_ne_u32_e32 vcc, s14, v26
	v_mov_b32_e32 v40, 0x7f80
	s_and_saveexec_b64 s[10:11], vcc
	s_cbranch_execz .LBB927_109
; %bb.108:                              ;   in Loop: Header=BB927_15 Depth=1
	v_and_b32_e32 v30, 7, v28
	v_ffbh_u32_e32 v40, v30
	v_min_u32_e32 v43, 32, v40
	v_subrev_u32_e32 v40, 28, v43
	v_lshlrev_b64 v[40:41], v40, v[28:29]
	v_lshrrev_b32_e32 v42, 3, v26
	v_sub_u32_e32 v41, 29, v43
	v_and_b32_e32 v40, 7, v40
	v_cmp_gt_u32_e32 vcc, 8, v26
	v_cndmask_b32_e32 v26, v42, v41, vcc
	v_cndmask_b32_e32 v30, v30, v40, vcc
	v_lshlrev_b32_e32 v28, 24, v28
	v_lshlrev_b32_e32 v30, 20, v30
	v_and_b32_e32 v28, 0x80000000, v28
	v_lshl_add_u32 v26, v26, 23, v33
	v_or3_b32 v26, v28, v26, v30
	v_lshrrev_b32_e32 v40, 16, v26
.LBB927_109:                            ;   in Loop: Header=BB927_15 Depth=1
	s_or_b64 exec, exec, s[10:11]
.LBB927_110:                            ;   in Loop: Header=BB927_15 Depth=1
	s_or_b64 exec, exec, s[6:7]
.LBB927_111:                            ;   in Loop: Header=BB927_15 Depth=1
	s_or_b64 exec, exec, s[4:5]
	v_perm_b32 v34, v34, v32, s16
	buffer_load_dword v32, v27, s[0:3], 0 offen offset:16
	buffer_load_dword v30, v27, s[0:3], 0 offen offset:20
	;; [unrolled: 1-line block ×4, first 2 shown]
	v_perm_b32 v35, v37, v35, s16
	s_waitcnt vmcnt(3)
	v_cmp_ne_u16_sdwa s[6:7], v32, v31 src0_sel:BYTE_0 src1_sel:DWORD
	v_mfma_f32_16x16x16bf16_1k v[18:21], v[34:35], v[6:7], v[18:21]
	v_perm_b32 v35, v40, v39, s16
	v_perm_b32 v34, v38, v36, s16
	s_nop 1
	v_mfma_f32_16x16x16bf16_1k v[18:21], v[34:35], v[8:9], v[18:21]
	s_and_saveexec_b64 s[4:5], s[6:7]
	s_cbranch_execz .LBB927_117
; %bb.112:                              ;   in Loop: Header=BB927_15 Depth=1
	v_cmp_ne_u16_sdwa s[10:11], v32, s13 src0_sel:BYTE_0 src1_sel:DWORD
	v_mov_b32_e32 v23, 0xffff8000
	s_and_saveexec_b64 s[6:7], s[10:11]
	s_cbranch_execz .LBB927_116
; %bb.113:                              ;   in Loop: Header=BB927_15 Depth=1
	v_and_b32_e32 v34, 0x7f, v32
	v_cmp_ne_u32_e32 vcc, s14, v34
	v_mov_b32_e32 v23, 0x7f80
	s_and_saveexec_b64 s[10:11], vcc
	s_cbranch_execz .LBB927_115
; %bb.114:                              ;   in Loop: Header=BB927_15 Depth=1
	v_and_b32_e32 v23, 7, v32
	v_ffbh_u32_e32 v36, v23
	v_min_u32_e32 v38, 32, v36
	v_subrev_u32_e32 v36, 28, v38
	v_lshlrev_b64 v[36:37], v36, v[32:33]
	v_lshrrev_b32_e32 v35, 3, v34
	v_sub_u32_e32 v37, 29, v38
	v_and_b32_e32 v36, 7, v36
	v_cmp_gt_u32_e32 vcc, 8, v34
	v_cndmask_b32_e32 v34, v35, v37, vcc
	v_cndmask_b32_e32 v23, v23, v36, vcc
	v_lshlrev_b32_e32 v35, 24, v32
	v_lshlrev_b32_e32 v23, 20, v23
	v_and_b32_e32 v35, 0x80000000, v35
	v_lshl_add_u32 v34, v34, 23, v33
	v_or3_b32 v23, v35, v34, v23
	v_lshrrev_b32_e32 v23, 16, v23
.LBB927_115:                            ;   in Loop: Header=BB927_15 Depth=1
	s_or_b64 exec, exec, s[10:11]
.LBB927_116:                            ;   in Loop: Header=BB927_15 Depth=1
	s_or_b64 exec, exec, s[6:7]
.LBB927_117:                            ;   in Loop: Header=BB927_15 Depth=1
	s_or_b64 exec, exec, s[4:5]
	v_lshrrev_b16_e32 v34, 8, v32
	v_cmp_ne_u16_e32 vcc, 0, v34
	v_mov_b32_e32 v36, 0
	v_mov_b32_e32 v35, 0
	s_and_saveexec_b64 s[4:5], vcc
	s_cbranch_execz .LBB927_123
; %bb.118:                              ;   in Loop: Header=BB927_15 Depth=1
	v_cmp_ne_u16_e32 vcc, s13, v34
	v_mov_b32_e32 v35, 0xffff8000
	s_and_saveexec_b64 s[6:7], vcc
	s_cbranch_execz .LBB927_122
; %bb.119:                              ;   in Loop: Header=BB927_15 Depth=1
	v_and_b32_e32 v37, 0x7f, v34
	v_cmp_ne_u32_e32 vcc, s14, v37
	v_mov_b32_e32 v35, 0x7f80
	s_and_saveexec_b64 s[10:11], vcc
	s_cbranch_execz .LBB927_121
; %bb.120:                              ;   in Loop: Header=BB927_15 Depth=1
	v_and_b32_e32 v38, 7, v34
	v_ffbh_u32_e32 v35, v38
	v_min_u32_e32 v40, 32, v35
	v_subrev_u32_e32 v35, 28, v40
	v_lshlrev_b64 v[34:35], v35, v[34:35]
	v_lshrrev_b32_e32 v39, 3, v37
	v_sub_u32_e32 v35, 29, v40
	v_and_b32_e32 v34, 7, v34
	v_cmp_gt_u32_e32 vcc, 8, v37
	v_cndmask_b32_e32 v35, v39, v35, vcc
	v_cndmask_b32_e32 v34, v38, v34, vcc
	v_lshlrev_b32_e32 v37, 16, v32
	v_lshlrev_b32_e32 v34, 20, v34
	v_and_b32_e32 v37, 0x80000000, v37
	v_lshl_add_u32 v35, v35, 23, v33
	v_or3_b32 v34, v37, v35, v34
	v_lshrrev_b32_e32 v35, 16, v34
.LBB927_121:                            ;   in Loop: Header=BB927_15 Depth=1
	s_or_b64 exec, exec, s[10:11]
.LBB927_122:                            ;   in Loop: Header=BB927_15 Depth=1
	s_or_b64 exec, exec, s[6:7]
.LBB927_123:                            ;   in Loop: Header=BB927_15 Depth=1
	s_or_b64 exec, exec, s[4:5]
	v_lshrrev_b32_e32 v34, 16, v32
	v_cmp_ne_u16_sdwa s[6:7], v34, v31 src0_sel:BYTE_0 src1_sel:DWORD
	s_and_saveexec_b64 s[4:5], s[6:7]
	s_cbranch_execz .LBB927_129
; %bb.124:                              ;   in Loop: Header=BB927_15 Depth=1
	v_cmp_ne_u16_sdwa s[10:11], v34, s13 src0_sel:BYTE_0 src1_sel:DWORD
	v_mov_b32_e32 v36, 0xffff8000
	s_and_saveexec_b64 s[6:7], s[10:11]
	s_cbranch_execz .LBB927_128
; %bb.125:                              ;   in Loop: Header=BB927_15 Depth=1
	v_bfe_u32 v37, v32, 16, 7
	v_cmp_ne_u32_e32 vcc, s14, v37
	v_mov_b32_e32 v36, 0x7f80
	s_and_saveexec_b64 s[10:11], vcc
	s_cbranch_execz .LBB927_127
; %bb.126:                              ;   in Loop: Header=BB927_15 Depth=1
	v_and_b32_e32 v36, 7, v34
	v_ffbh_u32_e32 v38, v36
	v_min_u32_e32 v41, 32, v38
	v_subrev_u32_e32 v38, 28, v41
	v_lshlrev_b64 v[38:39], v38, v[34:35]
	v_lshrrev_b32_e32 v40, 3, v37
	v_sub_u32_e32 v39, 29, v41
	v_and_b32_e32 v38, 7, v38
	v_cmp_gt_u32_e32 vcc, 8, v37
	v_cndmask_b32_e32 v37, v40, v39, vcc
	v_cndmask_b32_e32 v36, v36, v38, vcc
	v_lshlrev_b32_e32 v34, 24, v34
	v_lshlrev_b32_e32 v36, 20, v36
	v_and_b32_e32 v34, 0x80000000, v34
	v_lshl_add_u32 v37, v37, 23, v33
	v_or3_b32 v34, v34, v37, v36
	v_lshrrev_b32_e32 v36, 16, v34
.LBB927_127:                            ;   in Loop: Header=BB927_15 Depth=1
	s_or_b64 exec, exec, s[10:11]
.LBB927_128:                            ;   in Loop: Header=BB927_15 Depth=1
	s_or_b64 exec, exec, s[6:7]
.LBB927_129:                            ;   in Loop: Header=BB927_15 Depth=1
	s_or_b64 exec, exec, s[4:5]
	v_cmp_lt_u32_e32 vcc, s15, v32
	v_mov_b32_e32 v37, 0
	v_mov_b32_e32 v38, 0
	s_and_saveexec_b64 s[4:5], vcc
	s_cbranch_execz .LBB927_135
; %bb.130:                              ;   in Loop: Header=BB927_15 Depth=1
	v_lshrrev_b32_e32 v34, 24, v32
	v_cmp_ne_u32_e32 vcc, s13, v34
	v_mov_b32_e32 v38, 0xffff8000
	s_and_saveexec_b64 s[6:7], vcc
	s_cbranch_execz .LBB927_134
; %bb.131:                              ;   in Loop: Header=BB927_15 Depth=1
	v_bfe_u32 v32, v32, 24, 7
	v_cmp_ne_u32_e32 vcc, s14, v32
	v_mov_b32_e32 v38, 0x7f80
	s_and_saveexec_b64 s[10:11], vcc
	s_cbranch_execz .LBB927_133
; %bb.132:                              ;   in Loop: Header=BB927_15 Depth=1
	v_and_b32_e32 v40, 7, v34
	v_ffbh_u32_e32 v38, v40
	v_min_u32_e32 v42, 32, v38
	v_subrev_u32_e32 v38, 28, v42
	v_lshlrev_b64 v[38:39], v38, v[34:35]
	v_lshrrev_b32_e32 v41, 3, v32
	v_sub_u32_e32 v39, 29, v42
	v_and_b32_e32 v38, 7, v38
	v_cmp_gt_u32_e32 vcc, 8, v32
	v_cndmask_b32_e32 v32, v41, v39, vcc
	v_cndmask_b32_e32 v38, v40, v38, vcc
	v_lshlrev_b32_e32 v34, 24, v34
	v_lshlrev_b32_e32 v38, 20, v38
	v_and_b32_e32 v34, 0x80000000, v34
	v_lshl_add_u32 v32, v32, 23, v33
	v_or3_b32 v32, v34, v32, v38
	v_lshrrev_b32_e32 v38, 16, v32
.LBB927_133:                            ;   in Loop: Header=BB927_15 Depth=1
	s_or_b64 exec, exec, s[10:11]
.LBB927_134:                            ;   in Loop: Header=BB927_15 Depth=1
	s_or_b64 exec, exec, s[6:7]
.LBB927_135:                            ;   in Loop: Header=BB927_15 Depth=1
	s_or_b64 exec, exec, s[4:5]
	s_waitcnt vmcnt(2)
	v_cmp_ne_u16_sdwa s[6:7], v30, v31 src0_sel:BYTE_0 src1_sel:DWORD
	s_and_saveexec_b64 s[4:5], s[6:7]
	s_cbranch_execz .LBB927_141
; %bb.136:                              ;   in Loop: Header=BB927_15 Depth=1
	v_cmp_ne_u16_sdwa s[10:11], v30, s13 src0_sel:BYTE_0 src1_sel:DWORD
	v_mov_b32_e32 v37, 0xffff8000
	s_and_saveexec_b64 s[6:7], s[10:11]
	s_cbranch_execz .LBB927_140
; %bb.137:                              ;   in Loop: Header=BB927_15 Depth=1
	v_and_b32_e32 v32, 0x7f, v30
	v_cmp_ne_u32_e32 vcc, s14, v32
	v_mov_b32_e32 v37, 0x7f80
	s_and_saveexec_b64 s[10:11], vcc
	s_cbranch_execz .LBB927_139
; %bb.138:                              ;   in Loop: Header=BB927_15 Depth=1
	v_and_b32_e32 v34, 7, v30
	v_ffbh_u32_e32 v39, v34
	v_min_u32_e32 v39, 32, v39
	v_subrev_u32_e32 v40, 28, v39
	v_lshlrev_b64 v[40:41], v40, v[30:31]
	v_lshrrev_b32_e32 v37, 3, v32
	v_sub_u32_e32 v39, 29, v39
	v_and_b32_e32 v40, 7, v40
	v_cmp_gt_u32_e32 vcc, 8, v32
	v_cndmask_b32_e32 v32, v37, v39, vcc
	v_cndmask_b32_e32 v34, v34, v40, vcc
	v_lshlrev_b32_e32 v37, 24, v30
	v_lshlrev_b32_e32 v34, 20, v34
	v_and_b32_e32 v37, 0x80000000, v37
	v_lshl_add_u32 v32, v32, 23, v33
	v_or3_b32 v32, v37, v32, v34
	v_lshrrev_b32_e32 v37, 16, v32
.LBB927_139:                            ;   in Loop: Header=BB927_15 Depth=1
	s_or_b64 exec, exec, s[10:11]
.LBB927_140:                            ;   in Loop: Header=BB927_15 Depth=1
	s_or_b64 exec, exec, s[6:7]
.LBB927_141:                            ;   in Loop: Header=BB927_15 Depth=1
	s_or_b64 exec, exec, s[4:5]
	v_lshrrev_b16_e32 v32, 8, v30
	v_cmp_ne_u16_e32 vcc, 0, v32
	v_mov_b32_e32 v40, 0
	v_mov_b32_e32 v39, 0
	s_and_saveexec_b64 s[4:5], vcc
	s_cbranch_execz .LBB927_147
; %bb.142:                              ;   in Loop: Header=BB927_15 Depth=1
	v_cmp_ne_u16_e32 vcc, s13, v32
	v_mov_b32_e32 v39, 0xffff8000
	s_and_saveexec_b64 s[6:7], vcc
	s_cbranch_execz .LBB927_146
; %bb.143:                              ;   in Loop: Header=BB927_15 Depth=1
	v_and_b32_e32 v34, 0x7f, v32
	v_cmp_ne_u32_e32 vcc, s14, v34
	v_mov_b32_e32 v39, 0x7f80
	s_and_saveexec_b64 s[10:11], vcc
	s_cbranch_execz .LBB927_145
; %bb.144:                              ;   in Loop: Header=BB927_15 Depth=1
	v_and_b32_e32 v39, 7, v32
	v_ffbh_u32_e32 v42, v39
	v_min_u32_e32 v44, 32, v42
	v_subrev_u32_e32 v42, 28, v44
	v_lshlrev_b64 v[42:43], v42, v[32:33]
	v_lshrrev_b32_e32 v41, 3, v34
	v_sub_u32_e32 v32, 29, v44
	v_and_b32_e32 v42, 7, v42
	v_cmp_gt_u32_e32 vcc, 8, v34
	v_cndmask_b32_e32 v32, v41, v32, vcc
	v_cndmask_b32_e32 v34, v39, v42, vcc
	v_lshlrev_b32_e32 v39, 16, v30
	v_lshlrev_b32_e32 v34, 20, v34
	v_and_b32_e32 v39, 0x80000000, v39
	v_lshl_add_u32 v32, v32, 23, v33
	v_or3_b32 v32, v39, v32, v34
	v_lshrrev_b32_e32 v39, 16, v32
.LBB927_145:                            ;   in Loop: Header=BB927_15 Depth=1
	s_or_b64 exec, exec, s[10:11]
.LBB927_146:                            ;   in Loop: Header=BB927_15 Depth=1
	s_or_b64 exec, exec, s[6:7]
.LBB927_147:                            ;   in Loop: Header=BB927_15 Depth=1
	s_or_b64 exec, exec, s[4:5]
	v_lshrrev_b32_e32 v32, 16, v30
	v_cmp_ne_u16_sdwa s[6:7], v32, v31 src0_sel:BYTE_0 src1_sel:DWORD
	s_and_saveexec_b64 s[4:5], s[6:7]
	s_cbranch_execz .LBB927_153
; %bb.148:                              ;   in Loop: Header=BB927_15 Depth=1
	v_cmp_ne_u16_sdwa s[10:11], v32, s13 src0_sel:BYTE_0 src1_sel:DWORD
	v_mov_b32_e32 v40, 0xffff8000
	s_and_saveexec_b64 s[6:7], s[10:11]
	s_cbranch_execz .LBB927_152
; %bb.149:                              ;   in Loop: Header=BB927_15 Depth=1
	v_bfe_u32 v34, v30, 16, 7
	v_cmp_ne_u32_e32 vcc, s14, v34
	v_mov_b32_e32 v40, 0x7f80
	s_and_saveexec_b64 s[10:11], vcc
	s_cbranch_execz .LBB927_151
; %bb.150:                              ;   in Loop: Header=BB927_15 Depth=1
	v_and_b32_e32 v42, 7, v32
	v_ffbh_u32_e32 v40, v42
	v_min_u32_e32 v44, 32, v40
	v_subrev_u32_e32 v40, 28, v44
	v_lshlrev_b64 v[40:41], v40, v[32:33]
	v_lshrrev_b32_e32 v43, 3, v34
	v_sub_u32_e32 v41, 29, v44
	v_and_b32_e32 v40, 7, v40
	v_cmp_gt_u32_e32 vcc, 8, v34
	v_cndmask_b32_e32 v34, v43, v41, vcc
	v_cndmask_b32_e32 v40, v42, v40, vcc
	v_lshlrev_b32_e32 v32, 24, v32
	v_lshlrev_b32_e32 v40, 20, v40
	v_and_b32_e32 v32, 0x80000000, v32
	v_lshl_add_u32 v34, v34, 23, v33
	v_or3_b32 v32, v32, v34, v40
	v_lshrrev_b32_e32 v40, 16, v32
.LBB927_151:                            ;   in Loop: Header=BB927_15 Depth=1
	s_or_b64 exec, exec, s[10:11]
.LBB927_152:                            ;   in Loop: Header=BB927_15 Depth=1
	s_or_b64 exec, exec, s[6:7]
.LBB927_153:                            ;   in Loop: Header=BB927_15 Depth=1
	s_or_b64 exec, exec, s[4:5]
	v_cmp_lt_u32_e32 vcc, s15, v30
	v_mov_b32_e32 v34, 0
	v_mov_b32_e32 v41, 0
	s_and_saveexec_b64 s[4:5], vcc
	s_cbranch_execz .LBB927_159
; %bb.154:                              ;   in Loop: Header=BB927_15 Depth=1
	v_lshrrev_b32_e32 v32, 24, v30
	v_cmp_ne_u32_e32 vcc, s13, v32
	v_mov_b32_e32 v41, 0xffff8000
	s_and_saveexec_b64 s[6:7], vcc
	s_cbranch_execz .LBB927_158
; %bb.155:                              ;   in Loop: Header=BB927_15 Depth=1
	v_bfe_u32 v30, v30, 24, 7
	v_cmp_ne_u32_e32 vcc, s14, v30
	v_mov_b32_e32 v41, 0x7f80
	s_and_saveexec_b64 s[10:11], vcc
	s_cbranch_execz .LBB927_157
; %bb.156:                              ;   in Loop: Header=BB927_15 Depth=1
	v_and_b32_e32 v41, 7, v32
	v_ffbh_u32_e32 v42, v41
	v_min_u32_e32 v45, 32, v42
	v_subrev_u32_e32 v42, 28, v45
	v_lshlrev_b64 v[42:43], v42, v[32:33]
	v_lshrrev_b32_e32 v44, 3, v30
	v_sub_u32_e32 v43, 29, v45
	v_and_b32_e32 v42, 7, v42
	v_cmp_gt_u32_e32 vcc, 8, v30
	v_cndmask_b32_e32 v30, v44, v43, vcc
	v_cndmask_b32_e32 v41, v41, v42, vcc
	v_lshlrev_b32_e32 v32, 24, v32
	v_lshlrev_b32_e32 v41, 20, v41
	v_and_b32_e32 v32, 0x80000000, v32
	v_lshl_add_u32 v30, v30, 23, v33
	v_or3_b32 v30, v32, v30, v41
	v_lshrrev_b32_e32 v41, 16, v30
.LBB927_157:                            ;   in Loop: Header=BB927_15 Depth=1
	s_or_b64 exec, exec, s[10:11]
.LBB927_158:                            ;   in Loop: Header=BB927_15 Depth=1
	s_or_b64 exec, exec, s[6:7]
.LBB927_159:                            ;   in Loop: Header=BB927_15 Depth=1
	s_or_b64 exec, exec, s[4:5]
	v_perm_b32 v43, v38, v36, s16
	v_perm_b32 v42, v35, v23, s16
	;; [unrolled: 1-line block ×4, first 2 shown]
	s_waitcnt vmcnt(1)
	v_cmp_ne_u16_sdwa s[6:7], v28, v31 src0_sel:BYTE_0 src1_sel:DWORD
	v_mfma_f32_16x16x16bf16_1k v[18:21], v[42:43], v[10:11], v[18:21]
	v_mfma_f32_16x16x16bf16_1k v[18:21], v[40:41], v[12:13], v[18:21]
	s_and_saveexec_b64 s[4:5], s[6:7]
	s_cbranch_execz .LBB927_165
; %bb.160:                              ;   in Loop: Header=BB927_15 Depth=1
	v_cmp_ne_u16_sdwa s[10:11], v28, s13 src0_sel:BYTE_0 src1_sel:DWORD
	v_mov_b32_e32 v34, 0xffff8000
	s_and_saveexec_b64 s[6:7], s[10:11]
	s_cbranch_execz .LBB927_164
; %bb.161:                              ;   in Loop: Header=BB927_15 Depth=1
	v_and_b32_e32 v23, 0x7f, v28
	v_cmp_ne_u32_e32 vcc, s14, v23
	v_mov_b32_e32 v34, 0x7f80
	s_and_saveexec_b64 s[10:11], vcc
	s_cbranch_execz .LBB927_163
; %bb.162:                              ;   in Loop: Header=BB927_15 Depth=1
	v_and_b32_e32 v30, 7, v28
	v_ffbh_u32_e32 v34, v30
	v_min_u32_e32 v36, 32, v34
	v_subrev_u32_e32 v34, 28, v36
	v_lshlrev_b64 v[34:35], v34, v[28:29]
	v_lshrrev_b32_e32 v32, 3, v23
	v_sub_u32_e32 v35, 29, v36
	v_and_b32_e32 v34, 7, v34
	v_cmp_gt_u32_e32 vcc, 8, v23
	v_cndmask_b32_e32 v23, v32, v35, vcc
	v_cndmask_b32_e32 v30, v30, v34, vcc
	v_lshlrev_b32_e32 v32, 24, v28
	v_lshlrev_b32_e32 v30, 20, v30
	v_and_b32_e32 v32, 0x80000000, v32
	v_lshl_add_u32 v23, v23, 23, v33
	v_or3_b32 v23, v32, v23, v30
	v_lshrrev_b32_e32 v34, 16, v23
.LBB927_163:                            ;   in Loop: Header=BB927_15 Depth=1
	s_or_b64 exec, exec, s[10:11]
.LBB927_164:                            ;   in Loop: Header=BB927_15 Depth=1
	s_or_b64 exec, exec, s[6:7]
.LBB927_165:                            ;   in Loop: Header=BB927_15 Depth=1
	s_or_b64 exec, exec, s[4:5]
	v_lshrrev_b16_e32 v30, 8, v28
	v_cmp_ne_u16_e32 vcc, 0, v30
	v_mov_b32_e32 v32, 0
	v_mov_b32_e32 v23, 0
	s_and_saveexec_b64 s[4:5], vcc
	s_cbranch_execz .LBB927_171
; %bb.166:                              ;   in Loop: Header=BB927_15 Depth=1
	v_cmp_ne_u16_e32 vcc, s13, v30
	v_mov_b32_e32 v23, 0xffff8000
	s_and_saveexec_b64 s[6:7], vcc
	s_cbranch_execz .LBB927_170
; %bb.167:                              ;   in Loop: Header=BB927_15 Depth=1
	v_and_b32_e32 v35, 0x7f, v30
	v_cmp_ne_u32_e32 vcc, s14, v35
	v_mov_b32_e32 v23, 0x7f80
	s_and_saveexec_b64 s[10:11], vcc
	s_cbranch_execz .LBB927_169
; %bb.168:                              ;   in Loop: Header=BB927_15 Depth=1
	v_and_b32_e32 v23, 7, v30
	v_ffbh_u32_e32 v36, v23
	v_min_u32_e32 v39, 32, v36
	v_subrev_u32_e32 v36, 28, v39
	v_lshlrev_b64 v[36:37], v36, v[30:31]
	v_lshrrev_b32_e32 v38, 3, v35
	v_sub_u32_e32 v30, 29, v39
	v_and_b32_e32 v36, 7, v36
	v_cmp_gt_u32_e32 vcc, 8, v35
	v_cndmask_b32_e32 v30, v38, v30, vcc
	v_cndmask_b32_e32 v23, v23, v36, vcc
	v_lshlrev_b32_e32 v35, 16, v28
	v_lshlrev_b32_e32 v23, 20, v23
	v_and_b32_e32 v35, 0x80000000, v35
	v_lshl_add_u32 v30, v30, 23, v33
	v_or3_b32 v23, v35, v30, v23
	v_lshrrev_b32_e32 v23, 16, v23
.LBB927_169:                            ;   in Loop: Header=BB927_15 Depth=1
	s_or_b64 exec, exec, s[10:11]
.LBB927_170:                            ;   in Loop: Header=BB927_15 Depth=1
	s_or_b64 exec, exec, s[6:7]
.LBB927_171:                            ;   in Loop: Header=BB927_15 Depth=1
	s_or_b64 exec, exec, s[4:5]
	v_lshrrev_b32_e32 v30, 16, v28
	v_cmp_ne_u16_sdwa s[6:7], v30, v31 src0_sel:BYTE_0 src1_sel:DWORD
	s_and_saveexec_b64 s[4:5], s[6:7]
	s_cbranch_execz .LBB927_177
; %bb.172:                              ;   in Loop: Header=BB927_15 Depth=1
	v_cmp_ne_u16_sdwa s[10:11], v30, s13 src0_sel:BYTE_0 src1_sel:DWORD
	v_mov_b32_e32 v32, 0xffff8000
	s_and_saveexec_b64 s[6:7], s[10:11]
	s_cbranch_execz .LBB927_176
; %bb.173:                              ;   in Loop: Header=BB927_15 Depth=1
	v_bfe_u32 v35, v28, 16, 7
	v_cmp_ne_u32_e32 vcc, s14, v35
	v_mov_b32_e32 v32, 0x7f80
	s_and_saveexec_b64 s[10:11], vcc
	s_cbranch_execz .LBB927_175
; %bb.174:                              ;   in Loop: Header=BB927_15 Depth=1
	v_and_b32_e32 v32, 7, v30
	v_ffbh_u32_e32 v36, v32
	v_min_u32_e32 v39, 32, v36
	v_subrev_u32_e32 v36, 28, v39
	v_lshlrev_b64 v[36:37], v36, v[30:31]
	v_lshrrev_b32_e32 v38, 3, v35
	v_sub_u32_e32 v37, 29, v39
	v_and_b32_e32 v36, 7, v36
	v_cmp_gt_u32_e32 vcc, 8, v35
	v_cndmask_b32_e32 v35, v38, v37, vcc
	v_cndmask_b32_e32 v32, v32, v36, vcc
	v_lshlrev_b32_e32 v30, 24, v30
	v_lshlrev_b32_e32 v32, 20, v32
	v_and_b32_e32 v30, 0x80000000, v30
	v_lshl_add_u32 v35, v35, 23, v33
	v_or3_b32 v30, v30, v35, v32
	v_lshrrev_b32_e32 v32, 16, v30
.LBB927_175:                            ;   in Loop: Header=BB927_15 Depth=1
	s_or_b64 exec, exec, s[10:11]
.LBB927_176:                            ;   in Loop: Header=BB927_15 Depth=1
	s_or_b64 exec, exec, s[6:7]
.LBB927_177:                            ;   in Loop: Header=BB927_15 Depth=1
	s_or_b64 exec, exec, s[4:5]
	v_cmp_lt_u32_e32 vcc, s15, v28
	v_mov_b32_e32 v35, 0
	v_mov_b32_e32 v36, 0
	s_and_saveexec_b64 s[4:5], vcc
	s_cbranch_execz .LBB927_183
; %bb.178:                              ;   in Loop: Header=BB927_15 Depth=1
	v_lshrrev_b32_e32 v30, 24, v28
	v_cmp_ne_u32_e32 vcc, s13, v30
	v_mov_b32_e32 v36, 0xffff8000
	s_and_saveexec_b64 s[6:7], vcc
	s_cbranch_execz .LBB927_182
; %bb.179:                              ;   in Loop: Header=BB927_15 Depth=1
	v_bfe_u32 v28, v28, 24, 7
	v_cmp_ne_u32_e32 vcc, s14, v28
	v_mov_b32_e32 v36, 0x7f80
	s_and_saveexec_b64 s[10:11], vcc
	s_cbranch_execz .LBB927_181
; %bb.180:                              ;   in Loop: Header=BB927_15 Depth=1
	v_and_b32_e32 v38, 7, v30
	v_ffbh_u32_e32 v36, v38
	v_min_u32_e32 v40, 32, v36
	v_subrev_u32_e32 v36, 28, v40
	v_lshlrev_b64 v[36:37], v36, v[30:31]
	v_lshrrev_b32_e32 v39, 3, v28
	v_sub_u32_e32 v37, 29, v40
	v_and_b32_e32 v36, 7, v36
	v_cmp_gt_u32_e32 vcc, 8, v28
	v_cndmask_b32_e32 v28, v39, v37, vcc
	v_cndmask_b32_e32 v36, v38, v36, vcc
	v_lshlrev_b32_e32 v30, 24, v30
	v_lshlrev_b32_e32 v36, 20, v36
	v_and_b32_e32 v30, 0x80000000, v30
	v_lshl_add_u32 v28, v28, 23, v33
	v_or3_b32 v28, v30, v28, v36
	v_lshrrev_b32_e32 v36, 16, v28
.LBB927_181:                            ;   in Loop: Header=BB927_15 Depth=1
	s_or_b64 exec, exec, s[10:11]
.LBB927_182:                            ;   in Loop: Header=BB927_15 Depth=1
	s_or_b64 exec, exec, s[6:7]
.LBB927_183:                            ;   in Loop: Header=BB927_15 Depth=1
	s_or_b64 exec, exec, s[4:5]
	s_waitcnt vmcnt(0)
	v_cmp_ne_u16_sdwa s[6:7], v26, v31 src0_sel:BYTE_0 src1_sel:DWORD
	s_and_saveexec_b64 s[4:5], s[6:7]
	s_cbranch_execz .LBB927_189
; %bb.184:                              ;   in Loop: Header=BB927_15 Depth=1
	v_cmp_ne_u16_sdwa s[10:11], v26, s13 src0_sel:BYTE_0 src1_sel:DWORD
	v_mov_b32_e32 v35, 0xffff8000
	s_and_saveexec_b64 s[6:7], s[10:11]
	s_cbranch_execz .LBB927_188
; %bb.185:                              ;   in Loop: Header=BB927_15 Depth=1
	v_and_b32_e32 v28, 0x7f, v26
	v_cmp_ne_u32_e32 vcc, s14, v28
	v_mov_b32_e32 v35, 0x7f80
	s_and_saveexec_b64 s[10:11], vcc
	s_cbranch_execz .LBB927_187
; %bb.186:                              ;   in Loop: Header=BB927_15 Depth=1
	v_and_b32_e32 v30, 7, v26
	v_ffbh_u32_e32 v37, v30
	v_min_u32_e32 v37, 32, v37
	v_subrev_u32_e32 v38, 28, v37
	v_lshlrev_b64 v[38:39], v38, v[26:27]
	v_lshrrev_b32_e32 v35, 3, v28
	v_sub_u32_e32 v37, 29, v37
	v_and_b32_e32 v38, 7, v38
	v_cmp_gt_u32_e32 vcc, 8, v28
	v_cndmask_b32_e32 v28, v35, v37, vcc
	v_cndmask_b32_e32 v30, v30, v38, vcc
	v_lshlrev_b32_e32 v35, 24, v26
	v_lshlrev_b32_e32 v30, 20, v30
	v_and_b32_e32 v35, 0x80000000, v35
	v_lshl_add_u32 v28, v28, 23, v33
	v_or3_b32 v28, v35, v28, v30
	v_lshrrev_b32_e32 v35, 16, v28
.LBB927_187:                            ;   in Loop: Header=BB927_15 Depth=1
	s_or_b64 exec, exec, s[10:11]
.LBB927_188:                            ;   in Loop: Header=BB927_15 Depth=1
	s_or_b64 exec, exec, s[6:7]
.LBB927_189:                            ;   in Loop: Header=BB927_15 Depth=1
	s_or_b64 exec, exec, s[4:5]
	v_lshrrev_b16_e32 v28, 8, v26
	v_cmp_ne_u16_e32 vcc, 0, v28
	v_mov_b32_e32 v37, 0
	v_mov_b32_e32 v30, 0
	s_and_saveexec_b64 s[4:5], vcc
	s_cbranch_execz .LBB927_195
; %bb.190:                              ;   in Loop: Header=BB927_15 Depth=1
	v_cmp_ne_u16_e32 vcc, s13, v28
	v_mov_b32_e32 v30, 0xffff8000
	s_and_saveexec_b64 s[6:7], vcc
	s_cbranch_execz .LBB927_194
; %bb.191:                              ;   in Loop: Header=BB927_15 Depth=1
	v_and_b32_e32 v38, 0x7f, v28
	v_cmp_ne_u32_e32 vcc, s14, v38
	v_mov_b32_e32 v30, 0x7f80
	s_and_saveexec_b64 s[10:11], vcc
	s_cbranch_execz .LBB927_193
; %bb.192:                              ;   in Loop: Header=BB927_15 Depth=1
	v_and_b32_e32 v30, 7, v28
	v_ffbh_u32_e32 v40, v30
	v_min_u32_e32 v42, 32, v40
	v_subrev_u32_e32 v40, 28, v42
	v_lshlrev_b64 v[40:41], v40, v[28:29]
	v_lshrrev_b32_e32 v39, 3, v38
	v_sub_u32_e32 v28, 29, v42
	v_and_b32_e32 v40, 7, v40
	v_cmp_gt_u32_e32 vcc, 8, v38
	v_cndmask_b32_e32 v28, v39, v28, vcc
	v_cndmask_b32_e32 v30, v30, v40, vcc
	v_lshlrev_b32_e32 v38, 16, v26
	v_lshlrev_b32_e32 v30, 20, v30
	v_and_b32_e32 v38, 0x80000000, v38
	v_lshl_add_u32 v28, v28, 23, v33
	v_or3_b32 v28, v38, v28, v30
	v_lshrrev_b32_e32 v30, 16, v28
.LBB927_193:                            ;   in Loop: Header=BB927_15 Depth=1
	s_or_b64 exec, exec, s[10:11]
.LBB927_194:                            ;   in Loop: Header=BB927_15 Depth=1
	s_or_b64 exec, exec, s[6:7]
.LBB927_195:                            ;   in Loop: Header=BB927_15 Depth=1
	s_or_b64 exec, exec, s[4:5]
	v_lshrrev_b32_e32 v28, 16, v26
	v_cmp_ne_u16_sdwa s[6:7], v28, v31 src0_sel:BYTE_0 src1_sel:DWORD
	s_and_saveexec_b64 s[4:5], s[6:7]
	s_cbranch_execz .LBB927_201
; %bb.196:                              ;   in Loop: Header=BB927_15 Depth=1
	v_cmp_ne_u16_sdwa s[10:11], v28, s13 src0_sel:BYTE_0 src1_sel:DWORD
	v_mov_b32_e32 v37, 0xffff8000
	s_and_saveexec_b64 s[6:7], s[10:11]
	s_cbranch_execz .LBB927_200
; %bb.197:                              ;   in Loop: Header=BB927_15 Depth=1
	v_bfe_u32 v38, v26, 16, 7
	v_cmp_ne_u32_e32 vcc, s14, v38
	v_mov_b32_e32 v37, 0x7f80
	s_and_saveexec_b64 s[10:11], vcc
	s_cbranch_execz .LBB927_199
; %bb.198:                              ;   in Loop: Header=BB927_15 Depth=1
	v_and_b32_e32 v37, 7, v28
	v_ffbh_u32_e32 v40, v37
	v_min_u32_e32 v42, 32, v40
	v_subrev_u32_e32 v40, 28, v42
	v_lshlrev_b64 v[40:41], v40, v[28:29]
	v_lshrrev_b32_e32 v39, 3, v38
	v_sub_u32_e32 v41, 29, v42
	v_and_b32_e32 v40, 7, v40
	v_cmp_gt_u32_e32 vcc, 8, v38
	v_cndmask_b32_e32 v38, v39, v41, vcc
	v_cndmask_b32_e32 v37, v37, v40, vcc
	v_lshlrev_b32_e32 v28, 24, v28
	v_lshlrev_b32_e32 v37, 20, v37
	v_and_b32_e32 v28, 0x80000000, v28
	v_lshl_add_u32 v38, v38, 23, v33
	v_or3_b32 v28, v28, v38, v37
	v_lshrrev_b32_e32 v37, 16, v28
.LBB927_199:                            ;   in Loop: Header=BB927_15 Depth=1
	s_or_b64 exec, exec, s[10:11]
.LBB927_200:                            ;   in Loop: Header=BB927_15 Depth=1
	s_or_b64 exec, exec, s[6:7]
.LBB927_201:                            ;   in Loop: Header=BB927_15 Depth=1
	s_or_b64 exec, exec, s[4:5]
	v_cmp_lt_u32_e32 vcc, s15, v26
	v_mov_b32_e32 v38, 0
	s_and_saveexec_b64 s[4:5], vcc
	s_cbranch_execz .LBB927_14
; %bb.202:                              ;   in Loop: Header=BB927_15 Depth=1
	v_lshrrev_b32_e32 v28, 24, v26
	v_cmp_ne_u32_e32 vcc, s13, v28
	v_mov_b32_e32 v38, 0xffff8000
	s_and_saveexec_b64 s[6:7], vcc
	s_cbranch_execz .LBB927_13
; %bb.203:                              ;   in Loop: Header=BB927_15 Depth=1
	v_bfe_u32 v26, v26, 24, 7
	v_cmp_ne_u32_e32 vcc, s14, v26
	v_mov_b32_e32 v38, 0x7f80
	s_and_saveexec_b64 s[10:11], vcc
	s_cbranch_execz .LBB927_12
; %bb.204:                              ;   in Loop: Header=BB927_15 Depth=1
	v_and_b32_e32 v40, 7, v28
	v_ffbh_u32_e32 v38, v40
	v_min_u32_e32 v42, 32, v38
	v_subrev_u32_e32 v38, 28, v42
	v_lshlrev_b64 v[38:39], v38, v[28:29]
	v_lshrrev_b32_e32 v41, 3, v26
	v_sub_u32_e32 v39, 29, v42
	v_and_b32_e32 v38, 7, v38
	v_cmp_gt_u32_e32 vcc, 8, v26
	v_cndmask_b32_e32 v26, v41, v39, vcc
	v_cndmask_b32_e32 v38, v40, v38, vcc
	v_lshlrev_b32_e32 v28, 24, v28
	v_lshlrev_b32_e32 v38, 20, v38
	v_and_b32_e32 v28, 0x80000000, v28
	v_lshl_add_u32 v26, v26, 23, v33
	v_or3_b32 v26, v28, v26, v38
	v_lshrrev_b32_e32 v38, 16, v26
	s_branch .LBB927_12
.LBB927_205:
	buffer_load_dword v13, off, s[0:3], 0 offset:256
	buffer_load_dword v14, off, s[0:3], 0 offset:260
	buffer_load_dword v15, off, s[0:3], 0 offset:264
	buffer_load_dword v16, off, s[0:3], 0 offset:268
	buffer_load_dword v17, off, s[0:3], 0 offset:272
	buffer_load_dword v18, off, s[0:3], 0 offset:276
	buffer_load_dword v11, off, s[0:3], 0 offset:280
	buffer_load_dword v10, off, s[0:3], 0 offset:284
	buffer_load_dword v9, off, s[0:3], 0 offset:288
	buffer_load_dword v8, off, s[0:3], 0 offset:292
	buffer_load_dword v7, off, s[0:3], 0 offset:296
	buffer_load_dword v6, off, s[0:3], 0 offset:300
	buffer_load_dword v5, off, s[0:3], 0 offset:304
	buffer_load_dword v4, off, s[0:3], 0 offset:308
	buffer_load_dword v3, off, s[0:3], 0 offset:312
	buffer_load_dword v2, off, s[0:3], 0 offset:316
	v_and_b32_e32 v12, 0xc0, v0
	v_add_u32_e32 v12, s20, v12
	v_lshl_or_b32 v12, v54, 2, v12
	v_or_b32_e32 v23, 1, v12
	v_mov_b32_e32 v19, 0xff7fffff
	v_or_b32_e32 v24, 2, v12
	v_or_b32_e32 v25, 3, v12
	v_cmp_gt_i32_e64 s[26:27], s33, v12
	v_cmp_gt_i32_e64 s[28:29], s33, v23
	s_mov_b32 s52, 0xff7fffff
	v_or_b32_e32 v26, 16, v12
	v_or_b32_e32 v27, 17, v12
	;; [unrolled: 1-line block ×12, first 2 shown]
	v_cmp_gt_i32_e64 s[30:31], s33, v24
	v_cmp_gt_i32_e64 s[34:35], s33, v25
	v_mbcnt_lo_u32_b32 v20, -1, 0
	v_cmp_gt_i32_e64 s[36:37], s33, v26
	v_cmp_gt_i32_e64 s[38:39], s33, v27
	v_mbcnt_hi_u32_b32 v20, -1, v20
	v_cmp_gt_i32_e64 s[20:21], s33, v28
	v_cmp_gt_i32_e64 s[22:23], s33, v29
	v_and_b32_e32 v21, 64, v20
	v_cmp_gt_i32_e64 s[16:17], s33, v30
	v_cmp_gt_i32_e64 s[18:19], s33, v31
	v_xor_b32_e32 v22, 32, v20
	v_add_u32_e32 v21, 64, v21
	v_cmp_gt_i32_e64 s[12:13], s33, v32
	v_cmp_gt_i32_e64 s[14:15], s33, v33
	v_cmp_lt_i32_e32 vcc, v22, v21
	v_cmp_gt_i32_e64 s[6:7], s33, v34
	v_cmp_gt_i32_e64 s[10:11], s33, v35
	v_cndmask_b32_e32 v22, v20, v22, vcc
	v_cmp_gt_i32_e32 vcc, s33, v36
	v_cmp_gt_i32_e64 s[4:5], s33, v37
	v_lshlrev_b32_e32 v22, 2, v22
	s_waitcnt vmcnt(15)
	v_cndmask_b32_e64 v12, v19, v13, s[26:27]
	s_waitcnt vmcnt(14)
	v_cndmask_b32_e64 v23, v19, v14, s[28:29]
	;; [unrolled: 2-line block ×4, first 2 shown]
	v_max3_f32 v12, v12, s52, v23
	s_waitcnt vmcnt(11)
	v_cndmask_b32_e64 v26, v19, v17, s[36:37]
	s_waitcnt vmcnt(10)
	v_cndmask_b32_e64 v27, v19, v18, s[38:39]
	v_max3_f32 v12, v12, v24, v25
	s_waitcnt vmcnt(9)
	v_cndmask_b32_e64 v28, v19, v11, s[20:21]
	s_waitcnt vmcnt(8)
	v_cndmask_b32_e64 v29, v19, v10, s[22:23]
	;; [unrolled: 5-line block ×5, first 2 shown]
	v_max3_f32 v12, v12, v32, v33
	s_waitcnt vmcnt(1)
	v_cndmask_b32_e32 v36, v19, v3, vcc
	s_waitcnt vmcnt(0)
	v_cndmask_b32_e64 v19, v19, v2, s[4:5]
	v_max3_f32 v12, v12, v34, v35
	v_max3_f32 v12, v12, v36, v19
	ds_bpermute_b32 v19, v22, v12
	v_xor_b32_e32 v23, 16, v20
	v_cmp_lt_i32_e64 s[40:41], v23, v21
	v_cndmask_b32_e64 v20, v20, v23, s[40:41]
	v_lshlrev_b32_e32 v20, 2, v20
	s_waitcnt lgkmcnt(0)
	v_max_f32_e32 v19, v19, v19
	v_max_f32_e32 v12, v12, v19
	ds_bpermute_b32 v19, v20, v12
	s_waitcnt lgkmcnt(0)
	v_max_f32_e32 v19, v19, v19
	v_max_f32_e32 v12, v12, v19
	v_sub_f32_e32 v13, v13, v12
	v_sub_f32_e32 v14, v14, v12
	v_sub_f32_e32 v15, v15, v12
	v_mul_f32_e32 v13, 0x3fb8aa3b, v13
	v_mul_f32_e32 v14, 0x3fb8aa3b, v14
	;; [unrolled: 1-line block ×3, first 2 shown]
	v_exp_f32_e32 v13, v13
	v_exp_f32_e32 v14, v14
	v_exp_f32_e32 v15, v15
	v_sub_f32_e32 v16, v16, v12
	v_cndmask_b32_e64 v13, 0, v13, s[26:27]
	v_mul_f32_e32 v16, 0x3fb8aa3b, v16
	v_cndmask_b32_e64 v14, 0, v14, s[28:29]
	v_cndmask_b32_e64 v15, 0, v15, s[30:31]
	v_add_f32_e32 v19, 0, v13
	buffer_store_dword v13, off, s[0:3], 0 offset:256
	buffer_store_dword v14, off, s[0:3], 0 offset:260
	;; [unrolled: 1-line block ×3, first 2 shown]
	v_sub_f32_e32 v13, v17, v12
	v_exp_f32_e32 v16, v16
	v_add_f32_e32 v19, v19, v14
	v_mul_f32_e32 v13, 0x3fb8aa3b, v13
	v_sub_f32_e32 v14, v18, v12
	v_exp_f32_e32 v13, v13
	v_mul_f32_e32 v14, 0x3fb8aa3b, v14
	v_sub_f32_e32 v11, v11, v12
	v_exp_f32_e32 v14, v14
	;; [unrolled: 3-line block ×3, first 2 shown]
	v_mul_f32_e32 v10, 0x3fb8aa3b, v10
	v_sub_f32_e32 v9, v9, v12
	v_cndmask_b32_e64 v16, 0, v16, s[34:35]
	v_add_f32_e32 v19, v19, v15
	v_exp_f32_e32 v10, v10
	v_mul_f32_e32 v9, 0x3fb8aa3b, v9
	v_sub_f32_e32 v8, v8, v12
	v_add_f32_e32 v19, v19, v16
	v_cndmask_b32_e64 v13, 0, v13, s[36:37]
	v_exp_f32_e32 v9, v9
	v_mul_f32_e32 v8, 0x3fb8aa3b, v8
	v_sub_f32_e32 v7, v7, v12
	v_add_f32_e32 v15, v19, v13
	v_cndmask_b32_e64 v14, 0, v14, s[38:39]
	;; [unrolled: 5-line block ×5, first 2 shown]
	v_exp_f32_e32 v5, v5
	v_mul_f32_e32 v4, 0x3fb8aa3b, v4
	v_sub_f32_e32 v3, v3, v12
	buffer_store_dword v16, off, s[0:3], 0 offset:268
	buffer_store_dword v13, off, s[0:3], 0 offset:272
	;; [unrolled: 1-line block ×5, first 2 shown]
	v_add_f32_e32 v10, v15, v9
	v_cndmask_b32_e64 v8, 0, v8, s[18:19]
	v_exp_f32_e32 v4, v4
	v_mul_f32_e32 v3, 0x3fb8aa3b, v3
	v_sub_f32_e32 v2, v2, v12
	v_add_f32_e32 v10, v10, v8
	v_cndmask_b32_e64 v7, 0, v7, s[12:13]
	v_exp_f32_e32 v3, v3
	v_mul_f32_e32 v2, 0x3fb8aa3b, v2
	v_add_f32_e32 v10, v10, v7
	v_cndmask_b32_e64 v6, 0, v6, s[14:15]
	v_exp_f32_e32 v2, v2
	v_add_f32_e32 v10, v10, v6
	v_cndmask_b32_e64 v5, 0, v5, s[6:7]
	buffer_store_dword v9, off, s[0:3], 0 offset:288
	buffer_store_dword v8, off, s[0:3], 0 offset:292
	;; [unrolled: 1-line block ×4, first 2 shown]
	v_add_f32_e32 v6, v10, v5
	v_cndmask_b32_e64 v4, 0, v4, s[10:11]
	v_add_f32_e32 v6, v6, v4
	v_cndmask_b32_e32 v3, 0, v3, vcc
	v_add_f32_e32 v6, v6, v3
	v_cndmask_b32_e64 v2, 0, v2, s[4:5]
	v_add_f32_e32 v6, v6, v2
	ds_bpermute_b32 v7, v22, v6
	buffer_store_dword v5, off, s[0:3], 0 offset:304
	buffer_store_dword v4, off, s[0:3], 0 offset:308
	;; [unrolled: 1-line block ×4, first 2 shown]
	v_cmp_gt_u32_e32 vcc, 16, v57
	s_waitcnt lgkmcnt(0)
	s_barrier
	v_add_f32_e32 v2, v6, v7
	ds_bpermute_b32 v3, v20, v2
	s_waitcnt lgkmcnt(0)
	s_and_saveexec_b64 s[4:5], vcc
	s_cbranch_execz .LBB927_207
; %bb.206:
	v_add_f32_e32 v2, v2, v3
	v_lshlrev_b32_e32 v3, 2, v66
	ds_write2st64_b32 v3, v12, v2 offset1:1
.LBB927_207:
	s_or_b64 exec, exec, s[4:5]
	v_lshlrev_b32_e32 v2, 2, v55
	s_waitcnt lgkmcnt(0)
	s_barrier
	ds_read2_b32 v[14:15], v2 offset1:16
	ds_read2_b32 v[16:17], v2 offset0:32 offset1:48
	ds_read2_b32 v[6:7], v2 offset0:64 offset1:80
	;; [unrolled: 1-line block ×3, first 2 shown]
	s_waitcnt lgkmcnt(0)
	s_barrier
	buffer_load_dword v22, off, s[0:3], 0 offset:264
	buffer_load_dword v23, off, s[0:3], 0 offset:268
	;; [unrolled: 1-line block ×16, first 2 shown]
	v_max3_f32 v20, v14, s52, v15
	v_max3_f32 v20, v20, v16, v17
	v_sub_f32_e32 v14, v14, v20
	v_sub_f32_e32 v15, v15, v20
	v_mul_f32_e32 v14, 0x3fb8aa3b, v14
	v_sub_f32_e32 v16, v16, v20
	v_mul_f32_e32 v15, 0x3fb8aa3b, v15
	v_exp_f32_e32 v14, v14
	v_sub_f32_e32 v17, v17, v20
	v_mul_f32_e32 v16, 0x3fb8aa3b, v16
	v_exp_f32_e32 v15, v15
	v_mul_f32_e32 v17, 0x3fb8aa3b, v17
	v_exp_f32_e32 v16, v16
	v_exp_f32_e32 v17, v17
	v_fma_f32 v6, v14, v6, 0
	v_fmac_f32_e32 v6, v15, v7
	v_fmac_f32_e32 v6, v16, v12
	;; [unrolled: 1-line block ×3, first 2 shown]
	v_cmp_eq_u32_e32 vcc, 1, v65
	v_add_f32_e32 v12, 0x358637bd, v6
	v_cndmask_b32_e32 v14, v14, v15, vcc
	v_cmp_eq_u32_e32 vcc, 2, v65
	v_div_scale_f32 v13, s[4:5], v12, v12, 1.0
	v_cndmask_b32_e32 v7, v14, v16, vcc
	v_rcp_f32_e32 v14, v13
	v_cmp_eq_u32_e32 vcc, 3, v65
	v_cndmask_b32_e32 v7, v7, v17, vcc
	v_div_scale_f32 v15, vcc, 1.0, v12, 1.0
	v_fma_f32 v16, -v13, v14, 1.0
	v_fmac_f32_e32 v14, v16, v14
	v_mul_f32_e32 v16, v15, v14
	v_fma_f32 v17, -v13, v16, v15
	v_fmac_f32_e32 v16, v17, v14
	v_fma_f32 v13, -v13, v16, v15
	v_div_fmas_f32 v13, v13, v14, v16
	v_div_fixup_f32 v12, v13, v12, 1.0
	v_mul_f32_e32 v12, v7, v12
	s_movk_i32 s19, 0x7fff
	s_mov_b32 s20, 0x7060302
	s_lshl_b32 s18, s51, 1
	v_cmp_gt_u32_e32 vcc, 2, v0
	s_waitcnt vmcnt(14)
	v_pk_mul_f32 v[14:15], v[12:13], v[22:23] op_sel_hi:[0,1]
	v_bfe_u32 v21, v15, 16, 1
	s_waitcnt vmcnt(12)
	v_pk_mul_f32 v[16:17], v[12:13], v[24:25] op_sel_hi:[0,1]
	v_bfe_u32 v7, v17, 16, 1
	v_bfe_u32 v13, v16, 16, 1
	;; [unrolled: 1-line block ×3, first 2 shown]
	v_add3_u32 v13, v16, v13, s19
	v_add3_u32 v7, v17, v7, s19
	buffer_store_dword v16, off, s[0:3], 0 offset:256
	buffer_store_dword v17, off, s[0:3], 0 offset:260
	;; [unrolled: 1-line block ×4, first 2 shown]
	v_add3_u32 v16, v14, v22, s19
	v_add3_u32 v15, v15, v21, s19
	v_perm_b32 v14, v7, v13, s20
	v_lshlrev_b32_e32 v13, 3, v54
	v_perm_b32 v15, v15, v16, s20
	v_lshlrev_b32_e32 v7, 5, v55
	v_lshlrev_b32_e32 v16, 11, v65
	s_waitcnt vmcnt(12)
	v_pk_mul_f32 v[8:9], v[12:13], v[8:9] op_sel_hi:[0,1]
	v_or3_b32 v39, v16, v7, v13
	v_pk_mul_f32 v[10:11], v[12:13], v[10:11] op_sel_hi:[0,1]
	v_bfe_u32 v13, v9, 16, 1
	v_bfe_u32 v16, v8, 16, 1
	buffer_store_dword v8, off, s[0:3], 0 offset:272
	buffer_store_dword v9, off, s[0:3], 0 offset:276
	;; [unrolled: 1-line block ×4, first 2 shown]
	v_add3_u32 v8, v8, v16, s19
	v_add3_u32 v9, v9, v13, s19
	v_perm_b32 v8, v9, v8, s20
	v_bfe_u32 v9, v11, 16, 1
	v_bfe_u32 v13, v10, 16, 1
	v_add3_u32 v10, v10, v13, s19
	v_add3_u32 v9, v11, v9, s19
	v_perm_b32 v9, v9, v10, s20
	s_waitcnt vmcnt(14)
	v_pk_mul_f32 v[10:11], v[12:13], v[18:19] op_sel_hi:[0,1]
	ds_write2st64_b64 v39, v[14:15], v[8:9] offset1:1
	s_waitcnt vmcnt(12)
	v_pk_mul_f32 v[8:9], v[12:13], v[26:27] op_sel_hi:[0,1]
	v_bfe_u32 v13, v11, 16, 1
	v_bfe_u32 v14, v10, 16, 1
	buffer_store_dword v10, off, s[0:3], 0 offset:288
	buffer_store_dword v11, off, s[0:3], 0 offset:292
	;; [unrolled: 1-line block ×4, first 2 shown]
	v_add3_u32 v10, v10, v14, s19
	v_add3_u32 v11, v11, v13, s19
	v_perm_b32 v10, v11, v10, s20
	v_bfe_u32 v11, v9, 16, 1
	v_bfe_u32 v13, v8, 16, 1
	v_add3_u32 v8, v8, v13, s19
	v_add3_u32 v9, v9, v11, s19
	s_waitcnt vmcnt(14)
	v_pk_mul_f32 v[2:3], v[12:13], v[2:3] op_sel_hi:[0,1]
	v_perm_b32 v11, v9, v8, s20
	v_bfe_u32 v8, v3, 16, 1
	v_bfe_u32 v9, v2, 16, 1
	s_waitcnt vmcnt(12)
	v_pk_mul_f32 v[4:5], v[12:13], v[4:5] op_sel_hi:[0,1]
	buffer_store_dword v2, off, s[0:3], 0 offset:304
	buffer_store_dword v3, off, s[0:3], 0 offset:308
	;; [unrolled: 1-line block ×4, first 2 shown]
	v_add3_u32 v2, v2, v9, s19
	v_add3_u32 v3, v3, v8, s19
	v_perm_b32 v2, v3, v2, s20
	v_bfe_u32 v3, v5, 16, 1
	v_bfe_u32 v8, v4, 16, 1
	v_add3_u32 v4, v4, v8, s19
	v_add3_u32 v3, v5, v3, s19
	v_perm_b32 v3, v3, v4, s20
	ds_write2st64_b64 v39, v[10:11], v[2:3] offset0:2 offset1:3
	s_and_saveexec_b64 s[4:5], vcc
	s_cbranch_execz .LBB927_209
; %bb.208:
	v_or_b32_e32 v2, s25, v0
	v_mov_b32_e32 v3, 0
	v_mov_b32_e32 v4, s18
	v_mad_u64_u32 v[4:5], s[6:7], s8, v4, v[2:3]
	v_mov_b32_e32 v2, s24
	s_mul_i32 s9, s9, s18
	v_mad_u64_u32 v[2:3], s[6:7], v4, s50, v[2:3]
	v_add_u32_e32 v5, s9, v5
	v_mov_b32_e32 v4, v3
	v_mad_u64_u32 v[4:5], s[6:7], v5, s50, v[4:5]
	v_mov_b32_e32 v3, v4
	v_lshlrev_b64 v[2:3], 2, v[2:3]
	v_mov_b32_e32 v5, s47
	v_add_co_u32_e32 v4, vcc, s46, v2
	v_addc_co_u32_e32 v5, vcc, v5, v3, vcc
	global_store_dword v[4:5], v20, off
	v_mov_b32_e32 v4, s45
	v_add_co_u32_e32 v2, vcc, s44, v2
	v_addc_co_u32_e32 v3, vcc, v4, v3, vcc
	global_store_dword v[2:3], v6, off
.LBB927_209:
	s_or_b64 exec, exec, s[4:5]
	v_lshl_or_b32 v30, v54, 9, v7
	s_waitcnt lgkmcnt(0)
	s_barrier
	s_load_dword s4, s[42:43], 0x0
	ds_read_b128 v[2:5], v30
	ds_read_b128 v[6:9], v30 offset:16
	ds_read_b128 v[10:13], v30 offset:2048
	;; [unrolled: 1-line block ×7, first 2 shown]
	v_mov_b32_e32 v35, 0x80
	v_mov_b32_e32 v41, 0x140
	s_mov_b64 s[10:11], -1
	s_waitcnt lgkmcnt(0)
	s_mov_b32 s5, s4
	s_mov_b32 s6, s4
	s_mov_b32 s7, s4
	s_movk_i32 s9, 0x80
	s_movk_i32 s21, 0x7f
	s_mov_b32 s22, 0xffffff
	s_mov_b32 s23, 0x5040100
	v_mov_b32_e32 v43, 0
	v_bfrev_b32_e32 v45, 60
	s_branch .LBB927_213
.LBB927_210:                            ;   in Loop: Header=BB927_213 Depth=1
	s_or_b64 exec, exec, s[16:17]
.LBB927_211:                            ;   in Loop: Header=BB927_213 Depth=1
	s_or_b64 exec, exec, s[14:15]
.LBB927_212:                            ;   in Loop: Header=BB927_213 Depth=1
	s_or_b64 exec, exec, s[12:13]
	v_perm_b32 v47, v49, v47, s23
	v_perm_b32 v46, v44, v46, s23
	s_xor_b64 s[12:13], s[10:11], -1
	s_mov_b64 s[10:11], 0
	v_mov_b32_e32 v64, v59
	v_mfma_f32_16x16x16bf16_1k v[66:69], v[46:47], v[30:31], v[34:37]
	s_and_b64 vcc, exec, s[12:13]
	v_mov_b32_e32 v63, v60
	v_mov_b32_e32 v62, v61
	s_nop 3
	v_perm_b32 v37, v51, v50, s23
	v_perm_b32 v36, v42, v48, s23
	v_mov_b32_e32 v35, v58
	s_nop 0
	v_mfma_f32_16x16x16bf16_1k v[46:49], v[36:37], v[32:33], v[66:69]
	s_nop 7
	s_nop 2
	v_pk_mul_f32 v[46:47], v[46:47], s[4:5]
	v_pk_mul_f32 v[36:37], v[48:49], s[6:7]
	v_bfe_u32 v34, v47, 16, 1
	v_bfe_u32 v38, v46, 16, 1
	;; [unrolled: 1-line block ×4, first 2 shown]
	v_add3_u32 v38, v46, v38, s19
	v_add3_u32 v34, v47, v34, s19
	;; [unrolled: 1-line block ×4, first 2 shown]
	v_perm_b32 v34, v34, v38, s20
	v_perm_b32 v36, v37, v36, s20
	buffer_store_dword v34, v41, s[0:3], 0 offen
	buffer_store_dword v36, v41, s[0:3], 0 offen offset:4
	v_mov_b32_e32 v41, 0x148
	s_cbranch_vccnz .LBB927_595
.LBB927_213:                            ; =>This Inner Loop Header: Depth=1
	buffer_load_dword v36, v35, s[0:3], 0 offen
	buffer_load_dword v34, v35, s[0:3], 0 offen offset:4
	buffer_load_dword v40, v35, s[0:3], 0 offen offset:8
	;; [unrolled: 1-line block ×3, first 2 shown]
	v_mov_b32_e32 v35, 0
	s_waitcnt vmcnt(3)
	v_cmp_ne_u16_sdwa s[14:15], v36, v43 src0_sel:BYTE_0 src1_sel:DWORD
	s_and_saveexec_b64 s[12:13], s[14:15]
	s_cbranch_execz .LBB927_219
; %bb.214:                              ;   in Loop: Header=BB927_213 Depth=1
	v_cmp_ne_u16_sdwa s[16:17], v36, s9 src0_sel:BYTE_0 src1_sel:DWORD
	v_mov_b32_e32 v35, 0xffff8000
	s_and_saveexec_b64 s[14:15], s[16:17]
	s_cbranch_execz .LBB927_218
; %bb.215:                              ;   in Loop: Header=BB927_213 Depth=1
	v_and_b32_e32 v37, 0x7f, v36
	v_cmp_ne_u32_e32 vcc, s21, v37
	v_mov_b32_e32 v35, 0x7f80
	s_and_saveexec_b64 s[16:17], vcc
	s_cbranch_execz .LBB927_217
; %bb.216:                              ;   in Loop: Header=BB927_213 Depth=1
	v_and_b32_e32 v35, 7, v36
	v_ffbh_u32_e32 v44, v35
	v_min_u32_e32 v44, 32, v44
	v_subrev_u32_e32 v46, 28, v44
	v_lshlrev_b64 v[46:47], v46, v[36:37]
	v_lshrrev_b32_e32 v42, 3, v37
	v_sub_u32_e32 v44, 29, v44
	v_and_b32_e32 v46, 7, v46
	v_cmp_gt_u32_e32 vcc, 8, v37
	v_cndmask_b32_e32 v37, v42, v44, vcc
	v_cndmask_b32_e32 v35, v35, v46, vcc
	v_lshlrev_b32_e32 v42, 24, v36
	v_lshlrev_b32_e32 v35, 20, v35
	v_and_b32_e32 v42, 0x80000000, v42
	v_lshl_add_u32 v37, v37, 23, v45
	v_or3_b32 v35, v42, v37, v35
	v_lshrrev_b32_e32 v35, 16, v35
.LBB927_217:                            ;   in Loop: Header=BB927_213 Depth=1
	s_or_b64 exec, exec, s[16:17]
.LBB927_218:                            ;   in Loop: Header=BB927_213 Depth=1
	s_or_b64 exec, exec, s[14:15]
.LBB927_219:                            ;   in Loop: Header=BB927_213 Depth=1
	s_or_b64 exec, exec, s[12:13]
	v_lshrrev_b16_e32 v42, 8, v36
	v_cmp_ne_u16_e32 vcc, 0, v42
	v_mov_b32_e32 v46, 0
	v_mov_b32_e32 v37, 0
	s_and_saveexec_b64 s[12:13], vcc
	s_cbranch_execz .LBB927_225
; %bb.220:                              ;   in Loop: Header=BB927_213 Depth=1
	v_cmp_ne_u16_e32 vcc, s9, v42
	v_mov_b32_e32 v37, 0xffff8000
	s_and_saveexec_b64 s[14:15], vcc
	s_cbranch_execz .LBB927_224
; %bb.221:                              ;   in Loop: Header=BB927_213 Depth=1
	v_and_b32_e32 v44, 0x7f, v42
	v_cmp_ne_u32_e32 vcc, s21, v44
	v_mov_b32_e32 v37, 0x7f80
	s_and_saveexec_b64 s[16:17], vcc
	s_cbranch_execz .LBB927_223
; %bb.222:                              ;   in Loop: Header=BB927_213 Depth=1
	v_and_b32_e32 v37, 7, v42
	v_ffbh_u32_e32 v48, v37
	v_min_u32_e32 v50, 32, v48
	v_subrev_u32_e32 v48, 28, v50
	v_lshlrev_b64 v[48:49], v48, v[42:43]
	v_lshrrev_b32_e32 v47, 3, v44
	v_sub_u32_e32 v42, 29, v50
	v_and_b32_e32 v48, 7, v48
	v_cmp_gt_u32_e32 vcc, 8, v44
	v_cndmask_b32_e32 v42, v47, v42, vcc
	v_cndmask_b32_e32 v37, v37, v48, vcc
	v_lshlrev_b32_e32 v44, 16, v36
	v_lshlrev_b32_e32 v37, 20, v37
	v_and_b32_e32 v44, 0x80000000, v44
	v_lshl_add_u32 v42, v42, 23, v45
	v_or3_b32 v37, v44, v42, v37
	v_lshrrev_b32_e32 v37, 16, v37
.LBB927_223:                            ;   in Loop: Header=BB927_213 Depth=1
	s_or_b64 exec, exec, s[16:17]
.LBB927_224:                            ;   in Loop: Header=BB927_213 Depth=1
	s_or_b64 exec, exec, s[14:15]
.LBB927_225:                            ;   in Loop: Header=BB927_213 Depth=1
	s_or_b64 exec, exec, s[12:13]
	v_lshrrev_b32_e32 v42, 16, v36
	v_cmp_ne_u16_sdwa s[14:15], v42, v43 src0_sel:BYTE_0 src1_sel:DWORD
	s_and_saveexec_b64 s[12:13], s[14:15]
	s_cbranch_execz .LBB927_231
; %bb.226:                              ;   in Loop: Header=BB927_213 Depth=1
	v_cmp_ne_u16_sdwa s[16:17], v42, s9 src0_sel:BYTE_0 src1_sel:DWORD
	v_mov_b32_e32 v46, 0xffff8000
	s_and_saveexec_b64 s[14:15], s[16:17]
	s_cbranch_execz .LBB927_230
; %bb.227:                              ;   in Loop: Header=BB927_213 Depth=1
	v_bfe_u32 v44, v36, 16, 7
	v_cmp_ne_u32_e32 vcc, s21, v44
	v_mov_b32_e32 v46, 0x7f80
	s_and_saveexec_b64 s[16:17], vcc
	s_cbranch_execz .LBB927_229
; %bb.228:                              ;   in Loop: Header=BB927_213 Depth=1
	v_and_b32_e32 v48, 7, v42
	v_ffbh_u32_e32 v46, v48
	v_min_u32_e32 v50, 32, v46
	v_subrev_u32_e32 v46, 28, v50
	v_lshlrev_b64 v[46:47], v46, v[42:43]
	v_lshrrev_b32_e32 v49, 3, v44
	v_sub_u32_e32 v47, 29, v50
	v_and_b32_e32 v46, 7, v46
	v_cmp_gt_u32_e32 vcc, 8, v44
	v_cndmask_b32_e32 v44, v49, v47, vcc
	v_cndmask_b32_e32 v46, v48, v46, vcc
	v_lshlrev_b32_e32 v42, 24, v42
	v_lshlrev_b32_e32 v46, 20, v46
	v_and_b32_e32 v42, 0x80000000, v42
	v_lshl_add_u32 v44, v44, 23, v45
	v_or3_b32 v42, v42, v44, v46
	v_lshrrev_b32_e32 v46, 16, v42
.LBB927_229:                            ;   in Loop: Header=BB927_213 Depth=1
	s_or_b64 exec, exec, s[16:17]
.LBB927_230:                            ;   in Loop: Header=BB927_213 Depth=1
	s_or_b64 exec, exec, s[14:15]
.LBB927_231:                            ;   in Loop: Header=BB927_213 Depth=1
	s_or_b64 exec, exec, s[12:13]
	v_cmp_lt_u32_e32 vcc, s22, v36
	v_mov_b32_e32 v47, 0
	v_mov_b32_e32 v48, 0
	s_and_saveexec_b64 s[12:13], vcc
	s_cbranch_execz .LBB927_237
; %bb.232:                              ;   in Loop: Header=BB927_213 Depth=1
	v_lshrrev_b32_e32 v42, 24, v36
	v_cmp_ne_u32_e32 vcc, s9, v42
	v_mov_b32_e32 v48, 0xffff8000
	s_and_saveexec_b64 s[14:15], vcc
	s_cbranch_execz .LBB927_236
; %bb.233:                              ;   in Loop: Header=BB927_213 Depth=1
	v_bfe_u32 v36, v36, 24, 7
	v_cmp_ne_u32_e32 vcc, s21, v36
	v_mov_b32_e32 v48, 0x7f80
	s_and_saveexec_b64 s[16:17], vcc
	s_cbranch_execz .LBB927_235
; %bb.234:                              ;   in Loop: Header=BB927_213 Depth=1
	v_and_b32_e32 v44, 7, v42
	v_ffbh_u32_e32 v48, v44
	v_min_u32_e32 v51, 32, v48
	v_subrev_u32_e32 v48, 28, v51
	v_lshlrev_b64 v[48:49], v48, v[42:43]
	v_lshrrev_b32_e32 v50, 3, v36
	v_sub_u32_e32 v49, 29, v51
	v_and_b32_e32 v48, 7, v48
	v_cmp_gt_u32_e32 vcc, 8, v36
	v_cndmask_b32_e32 v36, v50, v49, vcc
	v_cndmask_b32_e32 v44, v44, v48, vcc
	v_lshlrev_b32_e32 v42, 24, v42
	v_lshlrev_b32_e32 v44, 20, v44
	v_and_b32_e32 v42, 0x80000000, v42
	v_lshl_add_u32 v36, v36, 23, v45
	v_or3_b32 v36, v42, v36, v44
	v_lshrrev_b32_e32 v48, 16, v36
.LBB927_235:                            ;   in Loop: Header=BB927_213 Depth=1
	s_or_b64 exec, exec, s[16:17]
.LBB927_236:                            ;   in Loop: Header=BB927_213 Depth=1
	s_or_b64 exec, exec, s[14:15]
.LBB927_237:                            ;   in Loop: Header=BB927_213 Depth=1
	s_or_b64 exec, exec, s[12:13]
	s_waitcnt vmcnt(2)
	v_cmp_ne_u16_sdwa s[14:15], v34, v43 src0_sel:BYTE_0 src1_sel:DWORD
	s_and_saveexec_b64 s[12:13], s[14:15]
	s_cbranch_execz .LBB927_243
; %bb.238:                              ;   in Loop: Header=BB927_213 Depth=1
	v_cmp_ne_u16_sdwa s[16:17], v34, s9 src0_sel:BYTE_0 src1_sel:DWORD
	v_mov_b32_e32 v47, 0xffff8000
	s_and_saveexec_b64 s[14:15], s[16:17]
	s_cbranch_execz .LBB927_242
; %bb.239:                              ;   in Loop: Header=BB927_213 Depth=1
	v_and_b32_e32 v36, 0x7f, v34
	v_cmp_ne_u32_e32 vcc, s21, v36
	v_mov_b32_e32 v47, 0x7f80
	s_and_saveexec_b64 s[16:17], vcc
	s_cbranch_execz .LBB927_241
; %bb.240:                              ;   in Loop: Header=BB927_213 Depth=1
	v_and_b32_e32 v42, 7, v34
	v_ffbh_u32_e32 v47, v42
	v_min_u32_e32 v47, 32, v47
	v_subrev_u32_e32 v49, 28, v47
	v_lshlrev_b64 v[50:51], v49, v[34:35]
	v_lshrrev_b32_e32 v44, 3, v36
	v_sub_u32_e32 v47, 29, v47
	v_and_b32_e32 v49, 7, v50
	v_cmp_gt_u32_e32 vcc, 8, v36
	v_cndmask_b32_e32 v36, v44, v47, vcc
	v_cndmask_b32_e32 v42, v42, v49, vcc
	v_lshlrev_b32_e32 v44, 24, v34
	v_lshlrev_b32_e32 v42, 20, v42
	v_and_b32_e32 v44, 0x80000000, v44
	v_lshl_add_u32 v36, v36, 23, v45
	v_or3_b32 v36, v44, v36, v42
	v_lshrrev_b32_e32 v47, 16, v36
.LBB927_241:                            ;   in Loop: Header=BB927_213 Depth=1
	s_or_b64 exec, exec, s[16:17]
.LBB927_242:                            ;   in Loop: Header=BB927_213 Depth=1
	s_or_b64 exec, exec, s[14:15]
.LBB927_243:                            ;   in Loop: Header=BB927_213 Depth=1
	s_or_b64 exec, exec, s[12:13]
	v_lshrrev_b16_e32 v36, 8, v34
	v_cmp_ne_u16_e32 vcc, 0, v36
	v_mov_b32_e32 v49, 0
	v_mov_b32_e32 v42, 0
	s_and_saveexec_b64 s[12:13], vcc
	s_cbranch_execz .LBB927_249
; %bb.244:                              ;   in Loop: Header=BB927_213 Depth=1
	v_cmp_ne_u16_e32 vcc, s9, v36
	v_mov_b32_e32 v42, 0xffff8000
	s_and_saveexec_b64 s[14:15], vcc
	s_cbranch_execz .LBB927_248
; %bb.245:                              ;   in Loop: Header=BB927_213 Depth=1
	v_and_b32_e32 v44, 0x7f, v36
	v_cmp_ne_u32_e32 vcc, s21, v44
	v_mov_b32_e32 v42, 0x7f80
	s_and_saveexec_b64 s[16:17], vcc
	s_cbranch_execz .LBB927_247
; %bb.246:                              ;   in Loop: Header=BB927_213 Depth=1
	v_and_b32_e32 v42, 7, v36
	v_ffbh_u32_e32 v50, v42
	v_min_u32_e32 v53, 32, v50
	v_subrev_u32_e32 v50, 28, v53
	v_lshlrev_b64 v[50:51], v50, v[36:37]
	v_lshrrev_b32_e32 v52, 3, v44
	v_sub_u32_e32 v36, 29, v53
	v_and_b32_e32 v50, 7, v50
	v_cmp_gt_u32_e32 vcc, 8, v44
	v_cndmask_b32_e32 v36, v52, v36, vcc
	v_cndmask_b32_e32 v42, v42, v50, vcc
	v_lshlrev_b32_e32 v44, 16, v34
	v_lshlrev_b32_e32 v42, 20, v42
	v_and_b32_e32 v44, 0x80000000, v44
	v_lshl_add_u32 v36, v36, 23, v45
	v_or3_b32 v36, v44, v36, v42
	v_lshrrev_b32_e32 v42, 16, v36
.LBB927_247:                            ;   in Loop: Header=BB927_213 Depth=1
	s_or_b64 exec, exec, s[16:17]
.LBB927_248:                            ;   in Loop: Header=BB927_213 Depth=1
	s_or_b64 exec, exec, s[14:15]
.LBB927_249:                            ;   in Loop: Header=BB927_213 Depth=1
	s_or_b64 exec, exec, s[12:13]
	v_lshrrev_b32_e32 v36, 16, v34
	v_cmp_ne_u16_sdwa s[14:15], v36, v43 src0_sel:BYTE_0 src1_sel:DWORD
	s_and_saveexec_b64 s[12:13], s[14:15]
	s_cbranch_execz .LBB927_255
; %bb.250:                              ;   in Loop: Header=BB927_213 Depth=1
	v_cmp_ne_u16_sdwa s[16:17], v36, s9 src0_sel:BYTE_0 src1_sel:DWORD
	v_mov_b32_e32 v49, 0xffff8000
	s_and_saveexec_b64 s[14:15], s[16:17]
	s_cbranch_execz .LBB927_254
; %bb.251:                              ;   in Loop: Header=BB927_213 Depth=1
	v_bfe_u32 v44, v34, 16, 7
	v_cmp_ne_u32_e32 vcc, s21, v44
	v_mov_b32_e32 v49, 0x7f80
	s_and_saveexec_b64 s[16:17], vcc
	s_cbranch_execz .LBB927_253
; %bb.252:                              ;   in Loop: Header=BB927_213 Depth=1
	v_and_b32_e32 v49, 7, v36
	v_ffbh_u32_e32 v50, v49
	v_min_u32_e32 v53, 32, v50
	v_subrev_u32_e32 v50, 28, v53
	v_lshlrev_b64 v[50:51], v50, v[36:37]
	v_lshrrev_b32_e32 v52, 3, v44
	v_sub_u32_e32 v51, 29, v53
	v_and_b32_e32 v50, 7, v50
	v_cmp_gt_u32_e32 vcc, 8, v44
	v_cndmask_b32_e32 v44, v52, v51, vcc
	v_cndmask_b32_e32 v49, v49, v50, vcc
	v_lshlrev_b32_e32 v36, 24, v36
	v_lshlrev_b32_e32 v49, 20, v49
	v_and_b32_e32 v36, 0x80000000, v36
	v_lshl_add_u32 v44, v44, 23, v45
	v_or3_b32 v36, v36, v44, v49
	v_lshrrev_b32_e32 v49, 16, v36
.LBB927_253:                            ;   in Loop: Header=BB927_213 Depth=1
	s_or_b64 exec, exec, s[16:17]
.LBB927_254:                            ;   in Loop: Header=BB927_213 Depth=1
	s_or_b64 exec, exec, s[14:15]
.LBB927_255:                            ;   in Loop: Header=BB927_213 Depth=1
	s_or_b64 exec, exec, s[12:13]
	v_cmp_lt_u32_e32 vcc, s22, v34
	v_mov_b32_e32 v44, 0
	v_mov_b32_e32 v50, 0
	s_and_saveexec_b64 s[12:13], vcc
	s_cbranch_execz .LBB927_261
; %bb.256:                              ;   in Loop: Header=BB927_213 Depth=1
	v_lshrrev_b32_e32 v36, 24, v34
	v_cmp_ne_u32_e32 vcc, s9, v36
	v_mov_b32_e32 v50, 0xffff8000
	s_and_saveexec_b64 s[14:15], vcc
	s_cbranch_execz .LBB927_260
; %bb.257:                              ;   in Loop: Header=BB927_213 Depth=1
	v_bfe_u32 v34, v34, 24, 7
	v_cmp_ne_u32_e32 vcc, s21, v34
	v_mov_b32_e32 v50, 0x7f80
	s_and_saveexec_b64 s[16:17], vcc
	s_cbranch_execz .LBB927_259
; %bb.258:                              ;   in Loop: Header=BB927_213 Depth=1
	v_and_b32_e32 v52, 7, v36
	v_ffbh_u32_e32 v50, v52
	v_min_u32_e32 v65, 32, v50
	v_subrev_u32_e32 v50, 28, v65
	v_lshlrev_b64 v[50:51], v50, v[36:37]
	v_lshrrev_b32_e32 v53, 3, v34
	v_sub_u32_e32 v51, 29, v65
	v_and_b32_e32 v50, 7, v50
	v_cmp_gt_u32_e32 vcc, 8, v34
	v_cndmask_b32_e32 v34, v53, v51, vcc
	v_cndmask_b32_e32 v50, v52, v50, vcc
	v_lshlrev_b32_e32 v36, 24, v36
	v_lshlrev_b32_e32 v50, 20, v50
	v_and_b32_e32 v36, 0x80000000, v36
	v_lshl_add_u32 v34, v34, 23, v45
	v_or3_b32 v34, v36, v34, v50
	v_lshrrev_b32_e32 v50, 16, v34
.LBB927_259:                            ;   in Loop: Header=BB927_213 Depth=1
	s_or_b64 exec, exec, s[16:17]
.LBB927_260:                            ;   in Loop: Header=BB927_213 Depth=1
	s_or_b64 exec, exec, s[14:15]
.LBB927_261:                            ;   in Loop: Header=BB927_213 Depth=1
	s_or_b64 exec, exec, s[12:13]
	v_perm_b32 v53, v48, v46, s23
	v_perm_b32 v52, v37, v35, s23
	;; [unrolled: 1-line block ×4, first 2 shown]
	s_waitcnt vmcnt(1)
	v_cmp_ne_u16_sdwa s[14:15], v40, v43 src0_sel:BYTE_0 src1_sel:DWORD
	v_mfma_f32_16x16x16bf16_1k v[34:37], v[52:53], v[2:3], 0
	v_mfma_f32_16x16x16bf16_1k v[34:37], v[48:49], v[4:5], v[34:37]
	s_and_saveexec_b64 s[12:13], s[14:15]
	s_cbranch_execz .LBB927_267
; %bb.262:                              ;   in Loop: Header=BB927_213 Depth=1
	v_cmp_ne_u16_sdwa s[16:17], v40, s9 src0_sel:BYTE_0 src1_sel:DWORD
	v_mov_b32_e32 v44, 0xffff8000
	s_and_saveexec_b64 s[14:15], s[16:17]
	s_cbranch_execz .LBB927_266
; %bb.263:                              ;   in Loop: Header=BB927_213 Depth=1
	v_and_b32_e32 v42, 0x7f, v40
	v_cmp_ne_u32_e32 vcc, s21, v42
	v_mov_b32_e32 v44, 0x7f80
	s_and_saveexec_b64 s[16:17], vcc
	s_cbranch_execz .LBB927_265
; %bb.264:                              ;   in Loop: Header=BB927_213 Depth=1
	v_and_b32_e32 v44, 7, v40
	v_ffbh_u32_e32 v46, v44
	v_min_u32_e32 v49, 32, v46
	v_subrev_u32_e32 v46, 28, v49
	v_lshlrev_b64 v[46:47], v46, v[40:41]
	v_lshrrev_b32_e32 v48, 3, v42
	v_sub_u32_e32 v47, 29, v49
	v_and_b32_e32 v46, 7, v46
	v_cmp_gt_u32_e32 vcc, 8, v42
	v_cndmask_b32_e32 v42, v48, v47, vcc
	v_cndmask_b32_e32 v44, v44, v46, vcc
	v_lshlrev_b32_e32 v46, 24, v40
	v_lshlrev_b32_e32 v44, 20, v44
	v_and_b32_e32 v46, 0x80000000, v46
	v_lshl_add_u32 v42, v42, 23, v45
	v_or3_b32 v42, v46, v42, v44
	v_lshrrev_b32_e32 v44, 16, v42
.LBB927_265:                            ;   in Loop: Header=BB927_213 Depth=1
	s_or_b64 exec, exec, s[16:17]
.LBB927_266:                            ;   in Loop: Header=BB927_213 Depth=1
	s_or_b64 exec, exec, s[14:15]
.LBB927_267:                            ;   in Loop: Header=BB927_213 Depth=1
	s_or_b64 exec, exec, s[12:13]
	v_lshrrev_b16_e32 v42, 8, v40
	v_cmp_ne_u16_e32 vcc, 0, v42
	v_mov_b32_e32 v48, 0
	v_mov_b32_e32 v46, 0
	s_and_saveexec_b64 s[12:13], vcc
	s_cbranch_execz .LBB927_273
; %bb.268:                              ;   in Loop: Header=BB927_213 Depth=1
	v_cmp_ne_u16_e32 vcc, s9, v42
	v_mov_b32_e32 v46, 0xffff8000
	s_and_saveexec_b64 s[14:15], vcc
	s_cbranch_execz .LBB927_272
; %bb.269:                              ;   in Loop: Header=BB927_213 Depth=1
	v_and_b32_e32 v47, 0x7f, v42
	v_cmp_ne_u32_e32 vcc, s21, v47
	v_mov_b32_e32 v46, 0x7f80
	s_and_saveexec_b64 s[16:17], vcc
	s_cbranch_execz .LBB927_271
; %bb.270:                              ;   in Loop: Header=BB927_213 Depth=1
	v_and_b32_e32 v46, 7, v42
	v_ffbh_u32_e32 v50, v46
	v_min_u32_e32 v52, 32, v50
	v_subrev_u32_e32 v50, 28, v52
	v_lshlrev_b64 v[50:51], v50, v[42:43]
	v_lshrrev_b32_e32 v49, 3, v47
	v_sub_u32_e32 v42, 29, v52
	v_and_b32_e32 v50, 7, v50
	v_cmp_gt_u32_e32 vcc, 8, v47
	v_cndmask_b32_e32 v42, v49, v42, vcc
	v_cndmask_b32_e32 v46, v46, v50, vcc
	v_lshlrev_b32_e32 v47, 16, v40
	v_lshlrev_b32_e32 v46, 20, v46
	v_and_b32_e32 v47, 0x80000000, v47
	v_lshl_add_u32 v42, v42, 23, v45
	v_or3_b32 v42, v47, v42, v46
	v_lshrrev_b32_e32 v46, 16, v42
.LBB927_271:                            ;   in Loop: Header=BB927_213 Depth=1
	s_or_b64 exec, exec, s[16:17]
.LBB927_272:                            ;   in Loop: Header=BB927_213 Depth=1
	s_or_b64 exec, exec, s[14:15]
.LBB927_273:                            ;   in Loop: Header=BB927_213 Depth=1
	s_or_b64 exec, exec, s[12:13]
	v_lshrrev_b32_e32 v42, 16, v40
	v_cmp_ne_u16_sdwa s[14:15], v42, v43 src0_sel:BYTE_0 src1_sel:DWORD
	s_and_saveexec_b64 s[12:13], s[14:15]
	s_cbranch_execz .LBB927_279
; %bb.274:                              ;   in Loop: Header=BB927_213 Depth=1
	v_cmp_ne_u16_sdwa s[16:17], v42, s9 src0_sel:BYTE_0 src1_sel:DWORD
	v_mov_b32_e32 v48, 0xffff8000
	s_and_saveexec_b64 s[14:15], s[16:17]
	s_cbranch_execz .LBB927_278
; %bb.275:                              ;   in Loop: Header=BB927_213 Depth=1
	v_bfe_u32 v47, v40, 16, 7
	v_cmp_ne_u32_e32 vcc, s21, v47
	v_mov_b32_e32 v48, 0x7f80
	s_and_saveexec_b64 s[16:17], vcc
	s_cbranch_execz .LBB927_277
; %bb.276:                              ;   in Loop: Header=BB927_213 Depth=1
	v_and_b32_e32 v50, 7, v42
	v_ffbh_u32_e32 v48, v50
	v_min_u32_e32 v52, 32, v48
	v_subrev_u32_e32 v48, 28, v52
	v_lshlrev_b64 v[48:49], v48, v[42:43]
	v_lshrrev_b32_e32 v51, 3, v47
	v_sub_u32_e32 v49, 29, v52
	v_and_b32_e32 v48, 7, v48
	v_cmp_gt_u32_e32 vcc, 8, v47
	v_cndmask_b32_e32 v47, v51, v49, vcc
	v_cndmask_b32_e32 v48, v50, v48, vcc
	v_lshlrev_b32_e32 v42, 24, v42
	v_lshlrev_b32_e32 v48, 20, v48
	v_and_b32_e32 v42, 0x80000000, v42
	v_lshl_add_u32 v47, v47, 23, v45
	v_or3_b32 v42, v42, v47, v48
	v_lshrrev_b32_e32 v48, 16, v42
.LBB927_277:                            ;   in Loop: Header=BB927_213 Depth=1
	s_or_b64 exec, exec, s[16:17]
.LBB927_278:                            ;   in Loop: Header=BB927_213 Depth=1
	s_or_b64 exec, exec, s[14:15]
.LBB927_279:                            ;   in Loop: Header=BB927_213 Depth=1
	s_or_b64 exec, exec, s[12:13]
	v_cmp_lt_u32_e32 vcc, s22, v40
	v_mov_b32_e32 v49, 0
	v_mov_b32_e32 v50, 0
	s_and_saveexec_b64 s[12:13], vcc
	s_cbranch_execz .LBB927_285
; %bb.280:                              ;   in Loop: Header=BB927_213 Depth=1
	v_lshrrev_b32_e32 v42, 24, v40
	v_cmp_ne_u32_e32 vcc, s9, v42
	v_mov_b32_e32 v50, 0xffff8000
	s_and_saveexec_b64 s[14:15], vcc
	s_cbranch_execz .LBB927_284
; %bb.281:                              ;   in Loop: Header=BB927_213 Depth=1
	v_bfe_u32 v40, v40, 24, 7
	v_cmp_ne_u32_e32 vcc, s21, v40
	v_mov_b32_e32 v50, 0x7f80
	s_and_saveexec_b64 s[16:17], vcc
	s_cbranch_execz .LBB927_283
; %bb.282:                              ;   in Loop: Header=BB927_213 Depth=1
	v_and_b32_e32 v47, 7, v42
	v_ffbh_u32_e32 v50, v47
	v_min_u32_e32 v53, 32, v50
	v_subrev_u32_e32 v50, 28, v53
	v_lshlrev_b64 v[50:51], v50, v[42:43]
	v_lshrrev_b32_e32 v52, 3, v40
	v_sub_u32_e32 v51, 29, v53
	v_and_b32_e32 v50, 7, v50
	v_cmp_gt_u32_e32 vcc, 8, v40
	v_cndmask_b32_e32 v40, v52, v51, vcc
	v_cndmask_b32_e32 v47, v47, v50, vcc
	v_lshlrev_b32_e32 v42, 24, v42
	v_lshlrev_b32_e32 v47, 20, v47
	v_and_b32_e32 v42, 0x80000000, v42
	v_lshl_add_u32 v40, v40, 23, v45
	v_or3_b32 v40, v42, v40, v47
	v_lshrrev_b32_e32 v50, 16, v40
.LBB927_283:                            ;   in Loop: Header=BB927_213 Depth=1
	s_or_b64 exec, exec, s[16:17]
.LBB927_284:                            ;   in Loop: Header=BB927_213 Depth=1
	s_or_b64 exec, exec, s[14:15]
.LBB927_285:                            ;   in Loop: Header=BB927_213 Depth=1
	s_or_b64 exec, exec, s[12:13]
	s_waitcnt vmcnt(0)
	v_cmp_ne_u16_sdwa s[14:15], v38, v43 src0_sel:BYTE_0 src1_sel:DWORD
	s_and_saveexec_b64 s[12:13], s[14:15]
	s_cbranch_execz .LBB927_291
; %bb.286:                              ;   in Loop: Header=BB927_213 Depth=1
	v_cmp_ne_u16_sdwa s[16:17], v38, s9 src0_sel:BYTE_0 src1_sel:DWORD
	v_mov_b32_e32 v49, 0xffff8000
	s_and_saveexec_b64 s[14:15], s[16:17]
	s_cbranch_execz .LBB927_290
; %bb.287:                              ;   in Loop: Header=BB927_213 Depth=1
	v_and_b32_e32 v40, 0x7f, v38
	v_cmp_ne_u32_e32 vcc, s21, v40
	v_mov_b32_e32 v49, 0x7f80
	s_and_saveexec_b64 s[16:17], vcc
	s_cbranch_execz .LBB927_289
; %bb.288:                              ;   in Loop: Header=BB927_213 Depth=1
	v_and_b32_e32 v42, 7, v38
	v_ffbh_u32_e32 v49, v42
	v_min_u32_e32 v49, 32, v49
	v_subrev_u32_e32 v51, 28, v49
	v_lshlrev_b64 v[52:53], v51, v[38:39]
	v_lshrrev_b32_e32 v47, 3, v40
	v_sub_u32_e32 v49, 29, v49
	v_and_b32_e32 v51, 7, v52
	v_cmp_gt_u32_e32 vcc, 8, v40
	v_cndmask_b32_e32 v40, v47, v49, vcc
	v_cndmask_b32_e32 v42, v42, v51, vcc
	v_lshlrev_b32_e32 v47, 24, v38
	v_lshlrev_b32_e32 v42, 20, v42
	v_and_b32_e32 v47, 0x80000000, v47
	v_lshl_add_u32 v40, v40, 23, v45
	v_or3_b32 v40, v47, v40, v42
	v_lshrrev_b32_e32 v49, 16, v40
.LBB927_289:                            ;   in Loop: Header=BB927_213 Depth=1
	s_or_b64 exec, exec, s[16:17]
.LBB927_290:                            ;   in Loop: Header=BB927_213 Depth=1
	s_or_b64 exec, exec, s[14:15]
.LBB927_291:                            ;   in Loop: Header=BB927_213 Depth=1
	s_or_b64 exec, exec, s[12:13]
	v_lshrrev_b16_e32 v40, 8, v38
	v_cmp_ne_u16_e32 vcc, 0, v40
	v_mov_b32_e32 v52, 0
	v_mov_b32_e32 v51, 0
	s_and_saveexec_b64 s[12:13], vcc
	s_cbranch_execz .LBB927_297
; %bb.292:                              ;   in Loop: Header=BB927_213 Depth=1
	v_cmp_ne_u16_e32 vcc, s9, v40
	v_mov_b32_e32 v51, 0xffff8000
	s_and_saveexec_b64 s[14:15], vcc
	s_cbranch_execz .LBB927_296
; %bb.293:                              ;   in Loop: Header=BB927_213 Depth=1
	v_and_b32_e32 v42, 0x7f, v40
	v_cmp_ne_u32_e32 vcc, s21, v42
	v_mov_b32_e32 v51, 0x7f80
	s_and_saveexec_b64 s[16:17], vcc
	s_cbranch_execz .LBB927_295
; %bb.294:                              ;   in Loop: Header=BB927_213 Depth=1
	v_and_b32_e32 v47, 7, v40
	v_ffbh_u32_e32 v53, v47
	v_min_u32_e32 v53, 32, v53
	v_subrev_u32_e32 v65, 28, v53
	v_lshlrev_b64 v[66:67], v65, v[40:41]
	v_lshrrev_b32_e32 v51, 3, v42
	v_sub_u32_e32 v40, 29, v53
	v_and_b32_e32 v53, 7, v66
	v_cmp_gt_u32_e32 vcc, 8, v42
	v_cndmask_b32_e32 v40, v51, v40, vcc
	v_cndmask_b32_e32 v42, v47, v53, vcc
	v_lshlrev_b32_e32 v47, 16, v38
	v_lshlrev_b32_e32 v42, 20, v42
	v_and_b32_e32 v47, 0x80000000, v47
	v_lshl_add_u32 v40, v40, 23, v45
	v_or3_b32 v40, v47, v40, v42
	v_lshrrev_b32_e32 v51, 16, v40
.LBB927_295:                            ;   in Loop: Header=BB927_213 Depth=1
	s_or_b64 exec, exec, s[16:17]
.LBB927_296:                            ;   in Loop: Header=BB927_213 Depth=1
	s_or_b64 exec, exec, s[14:15]
.LBB927_297:                            ;   in Loop: Header=BB927_213 Depth=1
	s_or_b64 exec, exec, s[12:13]
	v_lshrrev_b32_e32 v40, 16, v38
	v_cmp_ne_u16_sdwa s[14:15], v40, v43 src0_sel:BYTE_0 src1_sel:DWORD
	s_and_saveexec_b64 s[12:13], s[14:15]
	s_cbranch_execz .LBB927_303
; %bb.298:                              ;   in Loop: Header=BB927_213 Depth=1
	v_cmp_ne_u16_sdwa s[16:17], v40, s9 src0_sel:BYTE_0 src1_sel:DWORD
	v_mov_b32_e32 v52, 0xffff8000
	s_and_saveexec_b64 s[14:15], s[16:17]
	s_cbranch_execz .LBB927_302
; %bb.299:                              ;   in Loop: Header=BB927_213 Depth=1
	v_bfe_u32 v42, v38, 16, 7
	v_cmp_ne_u32_e32 vcc, s21, v42
	v_mov_b32_e32 v52, 0x7f80
	s_and_saveexec_b64 s[16:17], vcc
	s_cbranch_execz .LBB927_301
; %bb.300:                              ;   in Loop: Header=BB927_213 Depth=1
	v_and_b32_e32 v47, 7, v40
	v_ffbh_u32_e32 v52, v47
	v_min_u32_e32 v66, 32, v52
	v_subrev_u32_e32 v52, 28, v66
	v_lshlrev_b64 v[52:53], v52, v[40:41]
	v_lshrrev_b32_e32 v65, 3, v42
	v_sub_u32_e32 v53, 29, v66
	v_and_b32_e32 v52, 7, v52
	v_cmp_gt_u32_e32 vcc, 8, v42
	v_cndmask_b32_e32 v42, v65, v53, vcc
	v_cndmask_b32_e32 v47, v47, v52, vcc
	v_lshlrev_b32_e32 v40, 24, v40
	v_lshlrev_b32_e32 v47, 20, v47
	v_and_b32_e32 v40, 0x80000000, v40
	v_lshl_add_u32 v42, v42, 23, v45
	v_or3_b32 v40, v40, v42, v47
	v_lshrrev_b32_e32 v52, 16, v40
.LBB927_301:                            ;   in Loop: Header=BB927_213 Depth=1
	s_or_b64 exec, exec, s[16:17]
.LBB927_302:                            ;   in Loop: Header=BB927_213 Depth=1
	s_or_b64 exec, exec, s[14:15]
.LBB927_303:                            ;   in Loop: Header=BB927_213 Depth=1
	s_or_b64 exec, exec, s[12:13]
	v_cmp_lt_u32_e32 vcc, s22, v38
	v_mov_b32_e32 v47, 0
	v_mov_b32_e32 v53, 0
	s_and_saveexec_b64 s[12:13], vcc
	s_cbranch_execz .LBB927_309
; %bb.304:                              ;   in Loop: Header=BB927_213 Depth=1
	v_lshrrev_b32_e32 v40, 24, v38
	v_cmp_ne_u32_e32 vcc, s9, v40
	v_mov_b32_e32 v53, 0xffff8000
	s_and_saveexec_b64 s[14:15], vcc
	s_cbranch_execz .LBB927_308
; %bb.305:                              ;   in Loop: Header=BB927_213 Depth=1
	v_bfe_u32 v38, v38, 24, 7
	v_cmp_ne_u32_e32 vcc, s21, v38
	v_mov_b32_e32 v53, 0x7f80
	s_and_saveexec_b64 s[16:17], vcc
	s_cbranch_execz .LBB927_307
; %bb.306:                              ;   in Loop: Header=BB927_213 Depth=1
	v_and_b32_e32 v42, 7, v40
	v_ffbh_u32_e32 v65, v42
	v_min_u32_e32 v65, 32, v65
	v_subrev_u32_e32 v66, 28, v65
	v_lshlrev_b64 v[66:67], v66, v[40:41]
	v_lshrrev_b32_e32 v53, 3, v38
	v_sub_u32_e32 v65, 29, v65
	v_and_b32_e32 v66, 7, v66
	v_cmp_gt_u32_e32 vcc, 8, v38
	v_cndmask_b32_e32 v38, v53, v65, vcc
	v_cndmask_b32_e32 v42, v42, v66, vcc
	v_lshlrev_b32_e32 v40, 24, v40
	v_lshlrev_b32_e32 v42, 20, v42
	v_and_b32_e32 v40, 0x80000000, v40
	v_lshl_add_u32 v38, v38, 23, v45
	v_or3_b32 v38, v40, v38, v42
	v_lshrrev_b32_e32 v53, 16, v38
.LBB927_307:                            ;   in Loop: Header=BB927_213 Depth=1
	s_or_b64 exec, exec, s[16:17]
.LBB927_308:                            ;   in Loop: Header=BB927_213 Depth=1
	s_or_b64 exec, exec, s[14:15]
.LBB927_309:                            ;   in Loop: Header=BB927_213 Depth=1
	s_or_b64 exec, exec, s[12:13]
	v_perm_b32 v66, v46, v44, s23
	buffer_load_dword v44, v64, s[0:3], 0 offen
	buffer_load_dword v42, v64, s[0:3], 0 offen offset:4
	buffer_load_dword v40, v64, s[0:3], 0 offen offset:8
	;; [unrolled: 1-line block ×3, first 2 shown]
	v_perm_b32 v67, v50, v48, s23
	v_perm_b32 v53, v53, v52, s23
	v_perm_b32 v52, v51, v49, s23
	v_mfma_f32_16x16x16bf16_1k v[34:37], v[66:67], v[6:7], v[34:37]
	s_waitcnt vmcnt(3)
	v_cmp_ne_u16_sdwa s[14:15], v44, v43 src0_sel:BYTE_0 src1_sel:DWORD
	v_mfma_f32_16x16x16bf16_1k v[34:37], v[52:53], v[8:9], v[34:37]
	s_and_saveexec_b64 s[12:13], s[14:15]
	s_cbranch_execz .LBB927_315
; %bb.310:                              ;   in Loop: Header=BB927_213 Depth=1
	v_cmp_ne_u16_sdwa s[16:17], v44, s9 src0_sel:BYTE_0 src1_sel:DWORD
	v_mov_b32_e32 v47, 0xffff8000
	s_and_saveexec_b64 s[14:15], s[16:17]
	s_cbranch_execz .LBB927_314
; %bb.311:                              ;   in Loop: Header=BB927_213 Depth=1
	v_and_b32_e32 v46, 0x7f, v44
	v_cmp_ne_u32_e32 vcc, s21, v46
	v_mov_b32_e32 v47, 0x7f80
	s_and_saveexec_b64 s[16:17], vcc
	s_cbranch_execz .LBB927_313
; %bb.312:                              ;   in Loop: Header=BB927_213 Depth=1
	v_and_b32_e32 v47, 7, v44
	v_ffbh_u32_e32 v48, v47
	v_min_u32_e32 v51, 32, v48
	v_subrev_u32_e32 v48, 28, v51
	v_lshlrev_b64 v[48:49], v48, v[44:45]
	v_lshrrev_b32_e32 v50, 3, v46
	v_sub_u32_e32 v49, 29, v51
	v_and_b32_e32 v48, 7, v48
	v_cmp_gt_u32_e32 vcc, 8, v46
	v_cndmask_b32_e32 v46, v50, v49, vcc
	v_cndmask_b32_e32 v47, v47, v48, vcc
	v_lshlrev_b32_e32 v48, 24, v44
	v_lshlrev_b32_e32 v47, 20, v47
	v_and_b32_e32 v48, 0x80000000, v48
	v_lshl_add_u32 v46, v46, 23, v45
	v_or3_b32 v46, v48, v46, v47
	v_lshrrev_b32_e32 v47, 16, v46
.LBB927_313:                            ;   in Loop: Header=BB927_213 Depth=1
	s_or_b64 exec, exec, s[16:17]
.LBB927_314:                            ;   in Loop: Header=BB927_213 Depth=1
	s_or_b64 exec, exec, s[14:15]
.LBB927_315:                            ;   in Loop: Header=BB927_213 Depth=1
	s_or_b64 exec, exec, s[12:13]
	v_lshrrev_b16_e32 v46, 8, v44
	v_cmp_ne_u16_e32 vcc, 0, v46
	v_mov_b32_e32 v49, 0
	v_mov_b32_e32 v48, 0
	s_and_saveexec_b64 s[12:13], vcc
	s_cbranch_execz .LBB927_321
; %bb.316:                              ;   in Loop: Header=BB927_213 Depth=1
	v_cmp_ne_u16_e32 vcc, s9, v46
	v_mov_b32_e32 v48, 0xffff8000
	s_and_saveexec_b64 s[14:15], vcc
	s_cbranch_execz .LBB927_320
; %bb.317:                              ;   in Loop: Header=BB927_213 Depth=1
	v_and_b32_e32 v50, 0x7f, v46
	v_cmp_ne_u32_e32 vcc, s21, v50
	v_mov_b32_e32 v48, 0x7f80
	s_and_saveexec_b64 s[16:17], vcc
	s_cbranch_execz .LBB927_319
; %bb.318:                              ;   in Loop: Header=BB927_213 Depth=1
	v_and_b32_e32 v48, 7, v46
	v_ffbh_u32_e32 v52, v48
	v_min_u32_e32 v64, 32, v52
	v_subrev_u32_e32 v52, 28, v64
	v_lshlrev_b64 v[52:53], v52, v[46:47]
	v_lshrrev_b32_e32 v51, 3, v50
	v_sub_u32_e32 v46, 29, v64
	v_and_b32_e32 v52, 7, v52
	v_cmp_gt_u32_e32 vcc, 8, v50
	v_cndmask_b32_e32 v46, v51, v46, vcc
	v_cndmask_b32_e32 v48, v48, v52, vcc
	v_lshlrev_b32_e32 v50, 16, v44
	v_lshlrev_b32_e32 v48, 20, v48
	v_and_b32_e32 v50, 0x80000000, v50
	v_lshl_add_u32 v46, v46, 23, v45
	v_or3_b32 v46, v50, v46, v48
	v_lshrrev_b32_e32 v48, 16, v46
.LBB927_319:                            ;   in Loop: Header=BB927_213 Depth=1
	s_or_b64 exec, exec, s[16:17]
.LBB927_320:                            ;   in Loop: Header=BB927_213 Depth=1
	s_or_b64 exec, exec, s[14:15]
.LBB927_321:                            ;   in Loop: Header=BB927_213 Depth=1
	s_or_b64 exec, exec, s[12:13]
	v_lshrrev_b32_e32 v46, 16, v44
	v_cmp_ne_u16_sdwa s[14:15], v46, v43 src0_sel:BYTE_0 src1_sel:DWORD
	s_and_saveexec_b64 s[12:13], s[14:15]
	s_cbranch_execz .LBB927_327
; %bb.322:                              ;   in Loop: Header=BB927_213 Depth=1
	v_cmp_ne_u16_sdwa s[16:17], v46, s9 src0_sel:BYTE_0 src1_sel:DWORD
	v_mov_b32_e32 v49, 0xffff8000
	s_and_saveexec_b64 s[14:15], s[16:17]
	s_cbranch_execz .LBB927_326
; %bb.323:                              ;   in Loop: Header=BB927_213 Depth=1
	v_bfe_u32 v50, v44, 16, 7
	v_cmp_ne_u32_e32 vcc, s21, v50
	v_mov_b32_e32 v49, 0x7f80
	s_and_saveexec_b64 s[16:17], vcc
	s_cbranch_execz .LBB927_325
; %bb.324:                              ;   in Loop: Header=BB927_213 Depth=1
	v_and_b32_e32 v49, 7, v46
	v_ffbh_u32_e32 v52, v49
	v_min_u32_e32 v64, 32, v52
	v_subrev_u32_e32 v52, 28, v64
	v_lshlrev_b64 v[52:53], v52, v[46:47]
	v_lshrrev_b32_e32 v51, 3, v50
	v_sub_u32_e32 v53, 29, v64
	v_and_b32_e32 v52, 7, v52
	v_cmp_gt_u32_e32 vcc, 8, v50
	v_cndmask_b32_e32 v50, v51, v53, vcc
	v_cndmask_b32_e32 v49, v49, v52, vcc
	v_lshlrev_b32_e32 v46, 24, v46
	v_lshlrev_b32_e32 v49, 20, v49
	v_and_b32_e32 v46, 0x80000000, v46
	v_lshl_add_u32 v50, v50, 23, v45
	v_or3_b32 v46, v46, v50, v49
	v_lshrrev_b32_e32 v49, 16, v46
.LBB927_325:                            ;   in Loop: Header=BB927_213 Depth=1
	s_or_b64 exec, exec, s[16:17]
.LBB927_326:                            ;   in Loop: Header=BB927_213 Depth=1
	s_or_b64 exec, exec, s[14:15]
.LBB927_327:                            ;   in Loop: Header=BB927_213 Depth=1
	s_or_b64 exec, exec, s[12:13]
	v_cmp_lt_u32_e32 vcc, s22, v44
	v_mov_b32_e32 v50, 0
	v_mov_b32_e32 v51, 0
	s_and_saveexec_b64 s[12:13], vcc
	s_cbranch_execz .LBB927_333
; %bb.328:                              ;   in Loop: Header=BB927_213 Depth=1
	v_lshrrev_b32_e32 v46, 24, v44
	v_cmp_ne_u32_e32 vcc, s9, v46
	v_mov_b32_e32 v51, 0xffff8000
	s_and_saveexec_b64 s[14:15], vcc
	s_cbranch_execz .LBB927_332
; %bb.329:                              ;   in Loop: Header=BB927_213 Depth=1
	v_bfe_u32 v44, v44, 24, 7
	v_cmp_ne_u32_e32 vcc, s21, v44
	v_mov_b32_e32 v51, 0x7f80
	s_and_saveexec_b64 s[16:17], vcc
	s_cbranch_execz .LBB927_331
; %bb.330:                              ;   in Loop: Header=BB927_213 Depth=1
	v_and_b32_e32 v51, 7, v46
	v_ffbh_u32_e32 v52, v51
	v_min_u32_e32 v65, 32, v52
	v_subrev_u32_e32 v52, 28, v65
	v_lshlrev_b64 v[52:53], v52, v[46:47]
	v_lshrrev_b32_e32 v64, 3, v44
	v_sub_u32_e32 v53, 29, v65
	v_and_b32_e32 v52, 7, v52
	v_cmp_gt_u32_e32 vcc, 8, v44
	v_cndmask_b32_e32 v44, v64, v53, vcc
	v_cndmask_b32_e32 v51, v51, v52, vcc
	v_lshlrev_b32_e32 v46, 24, v46
	v_lshlrev_b32_e32 v51, 20, v51
	v_and_b32_e32 v46, 0x80000000, v46
	v_lshl_add_u32 v44, v44, 23, v45
	v_or3_b32 v44, v46, v44, v51
	v_lshrrev_b32_e32 v51, 16, v44
.LBB927_331:                            ;   in Loop: Header=BB927_213 Depth=1
	s_or_b64 exec, exec, s[16:17]
.LBB927_332:                            ;   in Loop: Header=BB927_213 Depth=1
	s_or_b64 exec, exec, s[14:15]
.LBB927_333:                            ;   in Loop: Header=BB927_213 Depth=1
	s_or_b64 exec, exec, s[12:13]
	s_waitcnt vmcnt(2)
	v_cmp_ne_u16_sdwa s[14:15], v42, v43 src0_sel:BYTE_0 src1_sel:DWORD
	s_and_saveexec_b64 s[12:13], s[14:15]
	s_cbranch_execz .LBB927_339
; %bb.334:                              ;   in Loop: Header=BB927_213 Depth=1
	v_cmp_ne_u16_sdwa s[16:17], v42, s9 src0_sel:BYTE_0 src1_sel:DWORD
	v_mov_b32_e32 v50, 0xffff8000
	s_and_saveexec_b64 s[14:15], s[16:17]
	s_cbranch_execz .LBB927_338
; %bb.335:                              ;   in Loop: Header=BB927_213 Depth=1
	v_and_b32_e32 v44, 0x7f, v42
	v_cmp_ne_u32_e32 vcc, s21, v44
	v_mov_b32_e32 v50, 0x7f80
	s_and_saveexec_b64 s[16:17], vcc
	s_cbranch_execz .LBB927_337
; %bb.336:                              ;   in Loop: Header=BB927_213 Depth=1
	v_and_b32_e32 v46, 7, v42
	v_ffbh_u32_e32 v52, v46
	v_min_u32_e32 v64, 32, v52
	v_subrev_u32_e32 v52, 28, v64
	v_lshlrev_b64 v[52:53], v52, v[42:43]
	v_lshrrev_b32_e32 v50, 3, v44
	v_sub_u32_e32 v53, 29, v64
	v_and_b32_e32 v52, 7, v52
	v_cmp_gt_u32_e32 vcc, 8, v44
	v_cndmask_b32_e32 v44, v50, v53, vcc
	v_cndmask_b32_e32 v46, v46, v52, vcc
	v_lshlrev_b32_e32 v50, 24, v42
	v_lshlrev_b32_e32 v46, 20, v46
	v_and_b32_e32 v50, 0x80000000, v50
	v_lshl_add_u32 v44, v44, 23, v45
	v_or3_b32 v44, v50, v44, v46
	v_lshrrev_b32_e32 v50, 16, v44
.LBB927_337:                            ;   in Loop: Header=BB927_213 Depth=1
	s_or_b64 exec, exec, s[16:17]
.LBB927_338:                            ;   in Loop: Header=BB927_213 Depth=1
	s_or_b64 exec, exec, s[14:15]
.LBB927_339:                            ;   in Loop: Header=BB927_213 Depth=1
	s_or_b64 exec, exec, s[12:13]
	v_lshrrev_b16_e32 v44, 8, v42
	v_cmp_ne_u16_e32 vcc, 0, v44
	v_mov_b32_e32 v53, 0
	v_mov_b32_e32 v52, 0
	s_and_saveexec_b64 s[12:13], vcc
	s_cbranch_execz .LBB927_345
; %bb.340:                              ;   in Loop: Header=BB927_213 Depth=1
	v_cmp_ne_u16_e32 vcc, s9, v44
	v_mov_b32_e32 v52, 0xffff8000
	s_and_saveexec_b64 s[14:15], vcc
	s_cbranch_execz .LBB927_344
; %bb.341:                              ;   in Loop: Header=BB927_213 Depth=1
	v_and_b32_e32 v46, 0x7f, v44
	v_cmp_ne_u32_e32 vcc, s21, v46
	v_mov_b32_e32 v52, 0x7f80
	s_and_saveexec_b64 s[16:17], vcc
	s_cbranch_execz .LBB927_343
; %bb.342:                              ;   in Loop: Header=BB927_213 Depth=1
	v_and_b32_e32 v52, 7, v44
	v_ffbh_u32_e32 v64, v52
	v_min_u32_e32 v67, 32, v64
	v_subrev_u32_e32 v64, 28, v67
	v_lshlrev_b64 v[64:65], v64, v[44:45]
	v_lshrrev_b32_e32 v66, 3, v46
	v_sub_u32_e32 v44, 29, v67
	v_and_b32_e32 v64, 7, v64
	v_cmp_gt_u32_e32 vcc, 8, v46
	v_cndmask_b32_e32 v44, v66, v44, vcc
	v_cndmask_b32_e32 v46, v52, v64, vcc
	v_lshlrev_b32_e32 v52, 16, v42
	v_lshlrev_b32_e32 v46, 20, v46
	v_and_b32_e32 v52, 0x80000000, v52
	v_lshl_add_u32 v44, v44, 23, v45
	v_or3_b32 v44, v52, v44, v46
	v_lshrrev_b32_e32 v52, 16, v44
.LBB927_343:                            ;   in Loop: Header=BB927_213 Depth=1
	s_or_b64 exec, exec, s[16:17]
.LBB927_344:                            ;   in Loop: Header=BB927_213 Depth=1
	s_or_b64 exec, exec, s[14:15]
.LBB927_345:                            ;   in Loop: Header=BB927_213 Depth=1
	s_or_b64 exec, exec, s[12:13]
	v_lshrrev_b32_e32 v44, 16, v42
	v_cmp_ne_u16_sdwa s[14:15], v44, v43 src0_sel:BYTE_0 src1_sel:DWORD
	s_and_saveexec_b64 s[12:13], s[14:15]
	s_cbranch_execz .LBB927_351
; %bb.346:                              ;   in Loop: Header=BB927_213 Depth=1
	v_cmp_ne_u16_sdwa s[16:17], v44, s9 src0_sel:BYTE_0 src1_sel:DWORD
	v_mov_b32_e32 v53, 0xffff8000
	s_and_saveexec_b64 s[14:15], s[16:17]
	s_cbranch_execz .LBB927_350
; %bb.347:                              ;   in Loop: Header=BB927_213 Depth=1
	v_bfe_u32 v46, v42, 16, 7
	v_cmp_ne_u32_e32 vcc, s21, v46
	v_mov_b32_e32 v53, 0x7f80
	s_and_saveexec_b64 s[16:17], vcc
	s_cbranch_execz .LBB927_349
; %bb.348:                              ;   in Loop: Header=BB927_213 Depth=1
	v_and_b32_e32 v53, 7, v44
	v_ffbh_u32_e32 v64, v53
	v_min_u32_e32 v67, 32, v64
	v_subrev_u32_e32 v64, 28, v67
	v_lshlrev_b64 v[64:65], v64, v[44:45]
	v_lshrrev_b32_e32 v66, 3, v46
	v_sub_u32_e32 v65, 29, v67
	v_and_b32_e32 v64, 7, v64
	v_cmp_gt_u32_e32 vcc, 8, v46
	v_cndmask_b32_e32 v46, v66, v65, vcc
	v_cndmask_b32_e32 v53, v53, v64, vcc
	v_lshlrev_b32_e32 v44, 24, v44
	v_lshlrev_b32_e32 v53, 20, v53
	v_and_b32_e32 v44, 0x80000000, v44
	v_lshl_add_u32 v46, v46, 23, v45
	v_or3_b32 v44, v44, v46, v53
	v_lshrrev_b32_e32 v53, 16, v44
.LBB927_349:                            ;   in Loop: Header=BB927_213 Depth=1
	s_or_b64 exec, exec, s[16:17]
.LBB927_350:                            ;   in Loop: Header=BB927_213 Depth=1
	s_or_b64 exec, exec, s[14:15]
.LBB927_351:                            ;   in Loop: Header=BB927_213 Depth=1
	s_or_b64 exec, exec, s[12:13]
	v_cmp_lt_u32_e32 vcc, s22, v42
	v_mov_b32_e32 v46, 0
	v_mov_b32_e32 v64, 0
	s_and_saveexec_b64 s[12:13], vcc
	s_cbranch_execz .LBB927_357
; %bb.352:                              ;   in Loop: Header=BB927_213 Depth=1
	v_lshrrev_b32_e32 v44, 24, v42
	v_cmp_ne_u32_e32 vcc, s9, v44
	v_mov_b32_e32 v64, 0xffff8000
	s_and_saveexec_b64 s[14:15], vcc
	s_cbranch_execz .LBB927_356
; %bb.353:                              ;   in Loop: Header=BB927_213 Depth=1
	v_bfe_u32 v42, v42, 24, 7
	v_cmp_ne_u32_e32 vcc, s21, v42
	v_mov_b32_e32 v64, 0x7f80
	s_and_saveexec_b64 s[16:17], vcc
	s_cbranch_execz .LBB927_355
; %bb.354:                              ;   in Loop: Header=BB927_213 Depth=1
	v_and_b32_e32 v66, 7, v44
	v_ffbh_u32_e32 v64, v66
	v_min_u32_e32 v68, 32, v64
	v_subrev_u32_e32 v64, 28, v68
	v_lshlrev_b64 v[64:65], v64, v[44:45]
	v_lshrrev_b32_e32 v67, 3, v42
	v_sub_u32_e32 v65, 29, v68
	v_and_b32_e32 v64, 7, v64
	v_cmp_gt_u32_e32 vcc, 8, v42
	v_cndmask_b32_e32 v42, v67, v65, vcc
	v_cndmask_b32_e32 v64, v66, v64, vcc
	v_lshlrev_b32_e32 v44, 24, v44
	v_lshlrev_b32_e32 v64, 20, v64
	v_and_b32_e32 v44, 0x80000000, v44
	v_lshl_add_u32 v42, v42, 23, v45
	v_or3_b32 v42, v44, v42, v64
	v_lshrrev_b32_e32 v64, 16, v42
.LBB927_355:                            ;   in Loop: Header=BB927_213 Depth=1
	s_or_b64 exec, exec, s[16:17]
.LBB927_356:                            ;   in Loop: Header=BB927_213 Depth=1
	s_or_b64 exec, exec, s[14:15]
.LBB927_357:                            ;   in Loop: Header=BB927_213 Depth=1
	s_or_b64 exec, exec, s[12:13]
	v_perm_b32 v49, v51, v49, s23
	v_perm_b32 v48, v48, v47, s23
	s_waitcnt vmcnt(1)
	v_cmp_ne_u16_sdwa s[14:15], v40, v43 src0_sel:BYTE_0 src1_sel:DWORD
	v_mfma_f32_16x16x16bf16_1k v[34:37], v[48:49], v[10:11], v[34:37]
	v_perm_b32 v49, v64, v53, s23
	v_perm_b32 v48, v52, v50, s23
	s_nop 1
	v_mfma_f32_16x16x16bf16_1k v[34:37], v[48:49], v[12:13], v[34:37]
	s_and_saveexec_b64 s[12:13], s[14:15]
	s_cbranch_execz .LBB927_363
; %bb.358:                              ;   in Loop: Header=BB927_213 Depth=1
	v_cmp_ne_u16_sdwa s[16:17], v40, s9 src0_sel:BYTE_0 src1_sel:DWORD
	v_mov_b32_e32 v46, 0xffff8000
	s_and_saveexec_b64 s[14:15], s[16:17]
	s_cbranch_execz .LBB927_362
; %bb.359:                              ;   in Loop: Header=BB927_213 Depth=1
	v_and_b32_e32 v42, 0x7f, v40
	v_cmp_ne_u32_e32 vcc, s21, v42
	v_mov_b32_e32 v46, 0x7f80
	s_and_saveexec_b64 s[16:17], vcc
	s_cbranch_execz .LBB927_361
; %bb.360:                              ;   in Loop: Header=BB927_213 Depth=1
	v_and_b32_e32 v44, 7, v40
	v_ffbh_u32_e32 v46, v44
	v_min_u32_e32 v49, 32, v46
	v_subrev_u32_e32 v46, 28, v49
	v_lshlrev_b64 v[46:47], v46, v[40:41]
	v_lshrrev_b32_e32 v48, 3, v42
	v_sub_u32_e32 v47, 29, v49
	v_and_b32_e32 v46, 7, v46
	v_cmp_gt_u32_e32 vcc, 8, v42
	v_cndmask_b32_e32 v42, v48, v47, vcc
	v_cndmask_b32_e32 v44, v44, v46, vcc
	v_lshlrev_b32_e32 v46, 24, v40
	v_lshlrev_b32_e32 v44, 20, v44
	v_and_b32_e32 v46, 0x80000000, v46
	v_lshl_add_u32 v42, v42, 23, v45
	v_or3_b32 v42, v46, v42, v44
	v_lshrrev_b32_e32 v46, 16, v42
.LBB927_361:                            ;   in Loop: Header=BB927_213 Depth=1
	s_or_b64 exec, exec, s[16:17]
.LBB927_362:                            ;   in Loop: Header=BB927_213 Depth=1
	s_or_b64 exec, exec, s[14:15]
.LBB927_363:                            ;   in Loop: Header=BB927_213 Depth=1
	s_or_b64 exec, exec, s[12:13]
	v_lshrrev_b16_e32 v42, 8, v40
	v_cmp_ne_u16_e32 vcc, 0, v42
	v_mov_b32_e32 v48, 0
	v_mov_b32_e32 v44, 0
	s_and_saveexec_b64 s[12:13], vcc
	s_cbranch_execz .LBB927_369
; %bb.364:                              ;   in Loop: Header=BB927_213 Depth=1
	v_cmp_ne_u16_e32 vcc, s9, v42
	v_mov_b32_e32 v44, 0xffff8000
	s_and_saveexec_b64 s[14:15], vcc
	s_cbranch_execz .LBB927_368
; %bb.365:                              ;   in Loop: Header=BB927_213 Depth=1
	v_and_b32_e32 v47, 0x7f, v42
	v_cmp_ne_u32_e32 vcc, s21, v47
	v_mov_b32_e32 v44, 0x7f80
	s_and_saveexec_b64 s[16:17], vcc
	s_cbranch_execz .LBB927_367
; %bb.366:                              ;   in Loop: Header=BB927_213 Depth=1
	v_and_b32_e32 v44, 7, v42
	v_ffbh_u32_e32 v50, v44
	v_min_u32_e32 v52, 32, v50
	v_subrev_u32_e32 v50, 28, v52
	v_lshlrev_b64 v[50:51], v50, v[42:43]
	v_lshrrev_b32_e32 v49, 3, v47
	v_sub_u32_e32 v42, 29, v52
	v_and_b32_e32 v50, 7, v50
	v_cmp_gt_u32_e32 vcc, 8, v47
	v_cndmask_b32_e32 v42, v49, v42, vcc
	v_cndmask_b32_e32 v44, v44, v50, vcc
	v_lshlrev_b32_e32 v47, 16, v40
	v_lshlrev_b32_e32 v44, 20, v44
	v_and_b32_e32 v47, 0x80000000, v47
	v_lshl_add_u32 v42, v42, 23, v45
	v_or3_b32 v42, v47, v42, v44
	v_lshrrev_b32_e32 v44, 16, v42
.LBB927_367:                            ;   in Loop: Header=BB927_213 Depth=1
	s_or_b64 exec, exec, s[16:17]
.LBB927_368:                            ;   in Loop: Header=BB927_213 Depth=1
	s_or_b64 exec, exec, s[14:15]
.LBB927_369:                            ;   in Loop: Header=BB927_213 Depth=1
	s_or_b64 exec, exec, s[12:13]
	v_lshrrev_b32_e32 v42, 16, v40
	v_cmp_ne_u16_sdwa s[14:15], v42, v43 src0_sel:BYTE_0 src1_sel:DWORD
	s_and_saveexec_b64 s[12:13], s[14:15]
	s_cbranch_execz .LBB927_375
; %bb.370:                              ;   in Loop: Header=BB927_213 Depth=1
	v_cmp_ne_u16_sdwa s[16:17], v42, s9 src0_sel:BYTE_0 src1_sel:DWORD
	v_mov_b32_e32 v48, 0xffff8000
	s_and_saveexec_b64 s[14:15], s[16:17]
	s_cbranch_execz .LBB927_374
; %bb.371:                              ;   in Loop: Header=BB927_213 Depth=1
	v_bfe_u32 v47, v40, 16, 7
	v_cmp_ne_u32_e32 vcc, s21, v47
	v_mov_b32_e32 v48, 0x7f80
	s_and_saveexec_b64 s[16:17], vcc
	s_cbranch_execz .LBB927_373
; %bb.372:                              ;   in Loop: Header=BB927_213 Depth=1
	v_and_b32_e32 v50, 7, v42
	v_ffbh_u32_e32 v48, v50
	v_min_u32_e32 v52, 32, v48
	v_subrev_u32_e32 v48, 28, v52
	v_lshlrev_b64 v[48:49], v48, v[42:43]
	v_lshrrev_b32_e32 v51, 3, v47
	v_sub_u32_e32 v49, 29, v52
	v_and_b32_e32 v48, 7, v48
	v_cmp_gt_u32_e32 vcc, 8, v47
	v_cndmask_b32_e32 v47, v51, v49, vcc
	v_cndmask_b32_e32 v48, v50, v48, vcc
	v_lshlrev_b32_e32 v42, 24, v42
	v_lshlrev_b32_e32 v48, 20, v48
	v_and_b32_e32 v42, 0x80000000, v42
	v_lshl_add_u32 v47, v47, 23, v45
	v_or3_b32 v42, v42, v47, v48
	v_lshrrev_b32_e32 v48, 16, v42
.LBB927_373:                            ;   in Loop: Header=BB927_213 Depth=1
	s_or_b64 exec, exec, s[16:17]
.LBB927_374:                            ;   in Loop: Header=BB927_213 Depth=1
	s_or_b64 exec, exec, s[14:15]
.LBB927_375:                            ;   in Loop: Header=BB927_213 Depth=1
	s_or_b64 exec, exec, s[12:13]
	v_cmp_lt_u32_e32 vcc, s22, v40
	v_mov_b32_e32 v49, 0
	v_mov_b32_e32 v50, 0
	s_and_saveexec_b64 s[12:13], vcc
	s_cbranch_execz .LBB927_381
; %bb.376:                              ;   in Loop: Header=BB927_213 Depth=1
	v_lshrrev_b32_e32 v42, 24, v40
	v_cmp_ne_u32_e32 vcc, s9, v42
	v_mov_b32_e32 v50, 0xffff8000
	s_and_saveexec_b64 s[14:15], vcc
	s_cbranch_execz .LBB927_380
; %bb.377:                              ;   in Loop: Header=BB927_213 Depth=1
	v_bfe_u32 v40, v40, 24, 7
	v_cmp_ne_u32_e32 vcc, s21, v40
	v_mov_b32_e32 v50, 0x7f80
	s_and_saveexec_b64 s[16:17], vcc
	s_cbranch_execz .LBB927_379
; %bb.378:                              ;   in Loop: Header=BB927_213 Depth=1
	v_and_b32_e32 v47, 7, v42
	v_ffbh_u32_e32 v50, v47
	v_min_u32_e32 v53, 32, v50
	v_subrev_u32_e32 v50, 28, v53
	v_lshlrev_b64 v[50:51], v50, v[42:43]
	v_lshrrev_b32_e32 v52, 3, v40
	v_sub_u32_e32 v51, 29, v53
	v_and_b32_e32 v50, 7, v50
	v_cmp_gt_u32_e32 vcc, 8, v40
	v_cndmask_b32_e32 v40, v52, v51, vcc
	v_cndmask_b32_e32 v47, v47, v50, vcc
	v_lshlrev_b32_e32 v42, 24, v42
	v_lshlrev_b32_e32 v47, 20, v47
	v_and_b32_e32 v42, 0x80000000, v42
	v_lshl_add_u32 v40, v40, 23, v45
	v_or3_b32 v40, v42, v40, v47
	v_lshrrev_b32_e32 v50, 16, v40
.LBB927_379:                            ;   in Loop: Header=BB927_213 Depth=1
	s_or_b64 exec, exec, s[16:17]
.LBB927_380:                            ;   in Loop: Header=BB927_213 Depth=1
	s_or_b64 exec, exec, s[14:15]
.LBB927_381:                            ;   in Loop: Header=BB927_213 Depth=1
	s_or_b64 exec, exec, s[12:13]
	s_waitcnt vmcnt(0)
	v_cmp_ne_u16_sdwa s[14:15], v38, v43 src0_sel:BYTE_0 src1_sel:DWORD
	s_and_saveexec_b64 s[12:13], s[14:15]
	s_cbranch_execz .LBB927_387
; %bb.382:                              ;   in Loop: Header=BB927_213 Depth=1
	v_cmp_ne_u16_sdwa s[16:17], v38, s9 src0_sel:BYTE_0 src1_sel:DWORD
	v_mov_b32_e32 v49, 0xffff8000
	s_and_saveexec_b64 s[14:15], s[16:17]
	s_cbranch_execz .LBB927_386
; %bb.383:                              ;   in Loop: Header=BB927_213 Depth=1
	v_and_b32_e32 v40, 0x7f, v38
	v_cmp_ne_u32_e32 vcc, s21, v40
	v_mov_b32_e32 v49, 0x7f80
	s_and_saveexec_b64 s[16:17], vcc
	s_cbranch_execz .LBB927_385
; %bb.384:                              ;   in Loop: Header=BB927_213 Depth=1
	v_and_b32_e32 v42, 7, v38
	v_ffbh_u32_e32 v49, v42
	v_min_u32_e32 v49, 32, v49
	v_subrev_u32_e32 v51, 28, v49
	v_lshlrev_b64 v[52:53], v51, v[38:39]
	v_lshrrev_b32_e32 v47, 3, v40
	v_sub_u32_e32 v49, 29, v49
	v_and_b32_e32 v51, 7, v52
	v_cmp_gt_u32_e32 vcc, 8, v40
	v_cndmask_b32_e32 v40, v47, v49, vcc
	v_cndmask_b32_e32 v42, v42, v51, vcc
	v_lshlrev_b32_e32 v47, 24, v38
	v_lshlrev_b32_e32 v42, 20, v42
	v_and_b32_e32 v47, 0x80000000, v47
	v_lshl_add_u32 v40, v40, 23, v45
	v_or3_b32 v40, v47, v40, v42
	v_lshrrev_b32_e32 v49, 16, v40
.LBB927_385:                            ;   in Loop: Header=BB927_213 Depth=1
	s_or_b64 exec, exec, s[16:17]
.LBB927_386:                            ;   in Loop: Header=BB927_213 Depth=1
	s_or_b64 exec, exec, s[14:15]
.LBB927_387:                            ;   in Loop: Header=BB927_213 Depth=1
	s_or_b64 exec, exec, s[12:13]
	v_lshrrev_b16_e32 v40, 8, v38
	v_cmp_ne_u16_e32 vcc, 0, v40
	v_mov_b32_e32 v52, 0
	v_mov_b32_e32 v51, 0
	s_and_saveexec_b64 s[12:13], vcc
	s_cbranch_execz .LBB927_393
; %bb.388:                              ;   in Loop: Header=BB927_213 Depth=1
	v_cmp_ne_u16_e32 vcc, s9, v40
	v_mov_b32_e32 v51, 0xffff8000
	s_and_saveexec_b64 s[14:15], vcc
	s_cbranch_execz .LBB927_392
; %bb.389:                              ;   in Loop: Header=BB927_213 Depth=1
	v_and_b32_e32 v42, 0x7f, v40
	v_cmp_ne_u32_e32 vcc, s21, v42
	v_mov_b32_e32 v51, 0x7f80
	s_and_saveexec_b64 s[16:17], vcc
	s_cbranch_execz .LBB927_391
; %bb.390:                              ;   in Loop: Header=BB927_213 Depth=1
	v_and_b32_e32 v47, 7, v40
	v_ffbh_u32_e32 v53, v47
	v_min_u32_e32 v53, 32, v53
	v_subrev_u32_e32 v64, 28, v53
	v_lshlrev_b64 v[64:65], v64, v[40:41]
	v_lshrrev_b32_e32 v51, 3, v42
	v_sub_u32_e32 v40, 29, v53
	v_and_b32_e32 v53, 7, v64
	v_cmp_gt_u32_e32 vcc, 8, v42
	v_cndmask_b32_e32 v40, v51, v40, vcc
	v_cndmask_b32_e32 v42, v47, v53, vcc
	v_lshlrev_b32_e32 v47, 16, v38
	v_lshlrev_b32_e32 v42, 20, v42
	v_and_b32_e32 v47, 0x80000000, v47
	v_lshl_add_u32 v40, v40, 23, v45
	v_or3_b32 v40, v47, v40, v42
	v_lshrrev_b32_e32 v51, 16, v40
.LBB927_391:                            ;   in Loop: Header=BB927_213 Depth=1
	s_or_b64 exec, exec, s[16:17]
.LBB927_392:                            ;   in Loop: Header=BB927_213 Depth=1
	s_or_b64 exec, exec, s[14:15]
.LBB927_393:                            ;   in Loop: Header=BB927_213 Depth=1
	s_or_b64 exec, exec, s[12:13]
	v_lshrrev_b32_e32 v40, 16, v38
	v_cmp_ne_u16_sdwa s[14:15], v40, v43 src0_sel:BYTE_0 src1_sel:DWORD
	s_and_saveexec_b64 s[12:13], s[14:15]
	s_cbranch_execz .LBB927_399
; %bb.394:                              ;   in Loop: Header=BB927_213 Depth=1
	v_cmp_ne_u16_sdwa s[16:17], v40, s9 src0_sel:BYTE_0 src1_sel:DWORD
	v_mov_b32_e32 v52, 0xffff8000
	s_and_saveexec_b64 s[14:15], s[16:17]
	s_cbranch_execz .LBB927_398
; %bb.395:                              ;   in Loop: Header=BB927_213 Depth=1
	v_bfe_u32 v42, v38, 16, 7
	v_cmp_ne_u32_e32 vcc, s21, v42
	v_mov_b32_e32 v52, 0x7f80
	s_and_saveexec_b64 s[16:17], vcc
	s_cbranch_execz .LBB927_397
; %bb.396:                              ;   in Loop: Header=BB927_213 Depth=1
	v_and_b32_e32 v47, 7, v40
	v_ffbh_u32_e32 v52, v47
	v_min_u32_e32 v65, 32, v52
	v_subrev_u32_e32 v52, 28, v65
	v_lshlrev_b64 v[52:53], v52, v[40:41]
	v_lshrrev_b32_e32 v64, 3, v42
	v_sub_u32_e32 v53, 29, v65
	v_and_b32_e32 v52, 7, v52
	v_cmp_gt_u32_e32 vcc, 8, v42
	v_cndmask_b32_e32 v42, v64, v53, vcc
	v_cndmask_b32_e32 v47, v47, v52, vcc
	v_lshlrev_b32_e32 v40, 24, v40
	v_lshlrev_b32_e32 v47, 20, v47
	v_and_b32_e32 v40, 0x80000000, v40
	v_lshl_add_u32 v42, v42, 23, v45
	v_or3_b32 v40, v40, v42, v47
	v_lshrrev_b32_e32 v52, 16, v40
.LBB927_397:                            ;   in Loop: Header=BB927_213 Depth=1
	s_or_b64 exec, exec, s[16:17]
.LBB927_398:                            ;   in Loop: Header=BB927_213 Depth=1
	s_or_b64 exec, exec, s[14:15]
.LBB927_399:                            ;   in Loop: Header=BB927_213 Depth=1
	s_or_b64 exec, exec, s[12:13]
	v_cmp_lt_u32_e32 vcc, s22, v38
	v_mov_b32_e32 v47, 0
	v_mov_b32_e32 v53, 0
	s_and_saveexec_b64 s[12:13], vcc
	s_cbranch_execz .LBB927_405
; %bb.400:                              ;   in Loop: Header=BB927_213 Depth=1
	v_lshrrev_b32_e32 v40, 24, v38
	v_cmp_ne_u32_e32 vcc, s9, v40
	v_mov_b32_e32 v53, 0xffff8000
	s_and_saveexec_b64 s[14:15], vcc
	s_cbranch_execz .LBB927_404
; %bb.401:                              ;   in Loop: Header=BB927_213 Depth=1
	v_bfe_u32 v38, v38, 24, 7
	v_cmp_ne_u32_e32 vcc, s21, v38
	v_mov_b32_e32 v53, 0x7f80
	s_and_saveexec_b64 s[16:17], vcc
	s_cbranch_execz .LBB927_403
; %bb.402:                              ;   in Loop: Header=BB927_213 Depth=1
	v_and_b32_e32 v42, 7, v40
	v_ffbh_u32_e32 v64, v42
	v_min_u32_e32 v66, 32, v64
	v_subrev_u32_e32 v64, 28, v66
	v_lshlrev_b64 v[64:65], v64, v[40:41]
	v_lshrrev_b32_e32 v53, 3, v38
	v_sub_u32_e32 v65, 29, v66
	v_and_b32_e32 v64, 7, v64
	v_cmp_gt_u32_e32 vcc, 8, v38
	v_cndmask_b32_e32 v38, v53, v65, vcc
	v_cndmask_b32_e32 v42, v42, v64, vcc
	v_lshlrev_b32_e32 v40, 24, v40
	v_lshlrev_b32_e32 v42, 20, v42
	v_and_b32_e32 v40, 0x80000000, v40
	v_lshl_add_u32 v38, v38, 23, v45
	v_or3_b32 v38, v40, v38, v42
	v_lshrrev_b32_e32 v53, 16, v38
.LBB927_403:                            ;   in Loop: Header=BB927_213 Depth=1
	s_or_b64 exec, exec, s[16:17]
.LBB927_404:                            ;   in Loop: Header=BB927_213 Depth=1
	s_or_b64 exec, exec, s[14:15]
.LBB927_405:                            ;   in Loop: Header=BB927_213 Depth=1
	s_or_b64 exec, exec, s[12:13]
	v_perm_b32 v64, v44, v46, s23
	buffer_load_dword v44, v63, s[0:3], 0 offen
	buffer_load_dword v42, v63, s[0:3], 0 offen offset:4
	buffer_load_dword v40, v63, s[0:3], 0 offen offset:8
	;; [unrolled: 1-line block ×3, first 2 shown]
	v_perm_b32 v65, v50, v48, s23
	v_perm_b32 v53, v53, v52, s23
	;; [unrolled: 1-line block ×3, first 2 shown]
	v_mfma_f32_16x16x16bf16_1k v[34:37], v[64:65], v[14:15], v[34:37]
	s_waitcnt vmcnt(3)
	v_cmp_ne_u16_sdwa s[14:15], v44, v43 src0_sel:BYTE_0 src1_sel:DWORD
	v_mfma_f32_16x16x16bf16_1k v[34:37], v[52:53], v[16:17], v[34:37]
	s_and_saveexec_b64 s[12:13], s[14:15]
	s_cbranch_execz .LBB927_411
; %bb.406:                              ;   in Loop: Header=BB927_213 Depth=1
	v_cmp_ne_u16_sdwa s[16:17], v44, s9 src0_sel:BYTE_0 src1_sel:DWORD
	v_mov_b32_e32 v47, 0xffff8000
	s_and_saveexec_b64 s[14:15], s[16:17]
	s_cbranch_execz .LBB927_410
; %bb.407:                              ;   in Loop: Header=BB927_213 Depth=1
	v_and_b32_e32 v46, 0x7f, v44
	v_cmp_ne_u32_e32 vcc, s21, v46
	v_mov_b32_e32 v47, 0x7f80
	s_and_saveexec_b64 s[16:17], vcc
	s_cbranch_execz .LBB927_409
; %bb.408:                              ;   in Loop: Header=BB927_213 Depth=1
	v_and_b32_e32 v47, 7, v44
	v_ffbh_u32_e32 v48, v47
	v_min_u32_e32 v51, 32, v48
	v_subrev_u32_e32 v48, 28, v51
	v_lshlrev_b64 v[48:49], v48, v[44:45]
	v_lshrrev_b32_e32 v50, 3, v46
	v_sub_u32_e32 v49, 29, v51
	v_and_b32_e32 v48, 7, v48
	v_cmp_gt_u32_e32 vcc, 8, v46
	v_cndmask_b32_e32 v46, v50, v49, vcc
	v_cndmask_b32_e32 v47, v47, v48, vcc
	v_lshlrev_b32_e32 v48, 24, v44
	v_lshlrev_b32_e32 v47, 20, v47
	v_and_b32_e32 v48, 0x80000000, v48
	v_lshl_add_u32 v46, v46, 23, v45
	v_or3_b32 v46, v48, v46, v47
	v_lshrrev_b32_e32 v47, 16, v46
.LBB927_409:                            ;   in Loop: Header=BB927_213 Depth=1
	s_or_b64 exec, exec, s[16:17]
.LBB927_410:                            ;   in Loop: Header=BB927_213 Depth=1
	s_or_b64 exec, exec, s[14:15]
.LBB927_411:                            ;   in Loop: Header=BB927_213 Depth=1
	s_or_b64 exec, exec, s[12:13]
	v_lshrrev_b16_e32 v46, 8, v44
	v_cmp_ne_u16_e32 vcc, 0, v46
	v_mov_b32_e32 v49, 0
	v_mov_b32_e32 v48, 0
	s_and_saveexec_b64 s[12:13], vcc
	s_cbranch_execz .LBB927_417
; %bb.412:                              ;   in Loop: Header=BB927_213 Depth=1
	v_cmp_ne_u16_e32 vcc, s9, v46
	v_mov_b32_e32 v48, 0xffff8000
	s_and_saveexec_b64 s[14:15], vcc
	s_cbranch_execz .LBB927_416
; %bb.413:                              ;   in Loop: Header=BB927_213 Depth=1
	v_and_b32_e32 v50, 0x7f, v46
	v_cmp_ne_u32_e32 vcc, s21, v50
	v_mov_b32_e32 v48, 0x7f80
	s_and_saveexec_b64 s[16:17], vcc
	s_cbranch_execz .LBB927_415
; %bb.414:                              ;   in Loop: Header=BB927_213 Depth=1
	v_and_b32_e32 v48, 7, v46
	v_ffbh_u32_e32 v52, v48
	v_min_u32_e32 v63, 32, v52
	v_subrev_u32_e32 v52, 28, v63
	v_lshlrev_b64 v[52:53], v52, v[46:47]
	v_lshrrev_b32_e32 v51, 3, v50
	v_sub_u32_e32 v46, 29, v63
	v_and_b32_e32 v52, 7, v52
	v_cmp_gt_u32_e32 vcc, 8, v50
	v_cndmask_b32_e32 v46, v51, v46, vcc
	v_cndmask_b32_e32 v48, v48, v52, vcc
	v_lshlrev_b32_e32 v50, 16, v44
	v_lshlrev_b32_e32 v48, 20, v48
	v_and_b32_e32 v50, 0x80000000, v50
	v_lshl_add_u32 v46, v46, 23, v45
	v_or3_b32 v46, v50, v46, v48
	v_lshrrev_b32_e32 v48, 16, v46
.LBB927_415:                            ;   in Loop: Header=BB927_213 Depth=1
	s_or_b64 exec, exec, s[16:17]
.LBB927_416:                            ;   in Loop: Header=BB927_213 Depth=1
	s_or_b64 exec, exec, s[14:15]
.LBB927_417:                            ;   in Loop: Header=BB927_213 Depth=1
	s_or_b64 exec, exec, s[12:13]
	v_lshrrev_b32_e32 v46, 16, v44
	v_cmp_ne_u16_sdwa s[14:15], v46, v43 src0_sel:BYTE_0 src1_sel:DWORD
	s_and_saveexec_b64 s[12:13], s[14:15]
	s_cbranch_execz .LBB927_423
; %bb.418:                              ;   in Loop: Header=BB927_213 Depth=1
	v_cmp_ne_u16_sdwa s[16:17], v46, s9 src0_sel:BYTE_0 src1_sel:DWORD
	v_mov_b32_e32 v49, 0xffff8000
	s_and_saveexec_b64 s[14:15], s[16:17]
	s_cbranch_execz .LBB927_422
; %bb.419:                              ;   in Loop: Header=BB927_213 Depth=1
	v_bfe_u32 v50, v44, 16, 7
	v_cmp_ne_u32_e32 vcc, s21, v50
	v_mov_b32_e32 v49, 0x7f80
	s_and_saveexec_b64 s[16:17], vcc
	s_cbranch_execz .LBB927_421
; %bb.420:                              ;   in Loop: Header=BB927_213 Depth=1
	v_and_b32_e32 v49, 7, v46
	v_ffbh_u32_e32 v52, v49
	v_min_u32_e32 v63, 32, v52
	v_subrev_u32_e32 v52, 28, v63
	v_lshlrev_b64 v[52:53], v52, v[46:47]
	v_lshrrev_b32_e32 v51, 3, v50
	v_sub_u32_e32 v53, 29, v63
	v_and_b32_e32 v52, 7, v52
	v_cmp_gt_u32_e32 vcc, 8, v50
	v_cndmask_b32_e32 v50, v51, v53, vcc
	v_cndmask_b32_e32 v49, v49, v52, vcc
	v_lshlrev_b32_e32 v46, 24, v46
	v_lshlrev_b32_e32 v49, 20, v49
	v_and_b32_e32 v46, 0x80000000, v46
	v_lshl_add_u32 v50, v50, 23, v45
	v_or3_b32 v46, v46, v50, v49
	v_lshrrev_b32_e32 v49, 16, v46
.LBB927_421:                            ;   in Loop: Header=BB927_213 Depth=1
	s_or_b64 exec, exec, s[16:17]
.LBB927_422:                            ;   in Loop: Header=BB927_213 Depth=1
	s_or_b64 exec, exec, s[14:15]
.LBB927_423:                            ;   in Loop: Header=BB927_213 Depth=1
	s_or_b64 exec, exec, s[12:13]
	v_cmp_lt_u32_e32 vcc, s22, v44
	v_mov_b32_e32 v50, 0
	v_mov_b32_e32 v51, 0
	s_and_saveexec_b64 s[12:13], vcc
	s_cbranch_execz .LBB927_429
; %bb.424:                              ;   in Loop: Header=BB927_213 Depth=1
	v_lshrrev_b32_e32 v46, 24, v44
	v_cmp_ne_u32_e32 vcc, s9, v46
	v_mov_b32_e32 v51, 0xffff8000
	s_and_saveexec_b64 s[14:15], vcc
	s_cbranch_execz .LBB927_428
; %bb.425:                              ;   in Loop: Header=BB927_213 Depth=1
	v_bfe_u32 v44, v44, 24, 7
	v_cmp_ne_u32_e32 vcc, s21, v44
	v_mov_b32_e32 v51, 0x7f80
	s_and_saveexec_b64 s[16:17], vcc
	s_cbranch_execz .LBB927_427
; %bb.426:                              ;   in Loop: Header=BB927_213 Depth=1
	v_and_b32_e32 v51, 7, v46
	v_ffbh_u32_e32 v52, v51
	v_min_u32_e32 v64, 32, v52
	v_subrev_u32_e32 v52, 28, v64
	v_lshlrev_b64 v[52:53], v52, v[46:47]
	v_lshrrev_b32_e32 v63, 3, v44
	v_sub_u32_e32 v53, 29, v64
	v_and_b32_e32 v52, 7, v52
	v_cmp_gt_u32_e32 vcc, 8, v44
	v_cndmask_b32_e32 v44, v63, v53, vcc
	v_cndmask_b32_e32 v51, v51, v52, vcc
	v_lshlrev_b32_e32 v46, 24, v46
	v_lshlrev_b32_e32 v51, 20, v51
	v_and_b32_e32 v46, 0x80000000, v46
	v_lshl_add_u32 v44, v44, 23, v45
	v_or3_b32 v44, v46, v44, v51
	v_lshrrev_b32_e32 v51, 16, v44
.LBB927_427:                            ;   in Loop: Header=BB927_213 Depth=1
	s_or_b64 exec, exec, s[16:17]
.LBB927_428:                            ;   in Loop: Header=BB927_213 Depth=1
	s_or_b64 exec, exec, s[14:15]
.LBB927_429:                            ;   in Loop: Header=BB927_213 Depth=1
	s_or_b64 exec, exec, s[12:13]
	s_waitcnt vmcnt(2)
	v_cmp_ne_u16_sdwa s[14:15], v42, v43 src0_sel:BYTE_0 src1_sel:DWORD
	s_and_saveexec_b64 s[12:13], s[14:15]
	s_cbranch_execz .LBB927_435
; %bb.430:                              ;   in Loop: Header=BB927_213 Depth=1
	v_cmp_ne_u16_sdwa s[16:17], v42, s9 src0_sel:BYTE_0 src1_sel:DWORD
	v_mov_b32_e32 v50, 0xffff8000
	s_and_saveexec_b64 s[14:15], s[16:17]
	s_cbranch_execz .LBB927_434
; %bb.431:                              ;   in Loop: Header=BB927_213 Depth=1
	v_and_b32_e32 v44, 0x7f, v42
	v_cmp_ne_u32_e32 vcc, s21, v44
	v_mov_b32_e32 v50, 0x7f80
	s_and_saveexec_b64 s[16:17], vcc
	s_cbranch_execz .LBB927_433
; %bb.432:                              ;   in Loop: Header=BB927_213 Depth=1
	v_and_b32_e32 v46, 7, v42
	v_ffbh_u32_e32 v52, v46
	v_min_u32_e32 v63, 32, v52
	v_subrev_u32_e32 v52, 28, v63
	v_lshlrev_b64 v[52:53], v52, v[42:43]
	v_lshrrev_b32_e32 v50, 3, v44
	v_sub_u32_e32 v53, 29, v63
	v_and_b32_e32 v52, 7, v52
	v_cmp_gt_u32_e32 vcc, 8, v44
	v_cndmask_b32_e32 v44, v50, v53, vcc
	v_cndmask_b32_e32 v46, v46, v52, vcc
	v_lshlrev_b32_e32 v50, 24, v42
	v_lshlrev_b32_e32 v46, 20, v46
	v_and_b32_e32 v50, 0x80000000, v50
	v_lshl_add_u32 v44, v44, 23, v45
	v_or3_b32 v44, v50, v44, v46
	v_lshrrev_b32_e32 v50, 16, v44
.LBB927_433:                            ;   in Loop: Header=BB927_213 Depth=1
	s_or_b64 exec, exec, s[16:17]
.LBB927_434:                            ;   in Loop: Header=BB927_213 Depth=1
	s_or_b64 exec, exec, s[14:15]
.LBB927_435:                            ;   in Loop: Header=BB927_213 Depth=1
	s_or_b64 exec, exec, s[12:13]
	v_lshrrev_b16_e32 v44, 8, v42
	v_cmp_ne_u16_e32 vcc, 0, v44
	v_mov_b32_e32 v53, 0
	v_mov_b32_e32 v52, 0
	s_and_saveexec_b64 s[12:13], vcc
	s_cbranch_execz .LBB927_441
; %bb.436:                              ;   in Loop: Header=BB927_213 Depth=1
	v_cmp_ne_u16_e32 vcc, s9, v44
	v_mov_b32_e32 v52, 0xffff8000
	s_and_saveexec_b64 s[14:15], vcc
	s_cbranch_execz .LBB927_440
; %bb.437:                              ;   in Loop: Header=BB927_213 Depth=1
	v_and_b32_e32 v46, 0x7f, v44
	v_cmp_ne_u32_e32 vcc, s21, v46
	v_mov_b32_e32 v52, 0x7f80
	s_and_saveexec_b64 s[16:17], vcc
	s_cbranch_execz .LBB927_439
; %bb.438:                              ;   in Loop: Header=BB927_213 Depth=1
	v_and_b32_e32 v52, 7, v44
	v_ffbh_u32_e32 v64, v52
	v_min_u32_e32 v66, 32, v64
	v_subrev_u32_e32 v64, 28, v66
	v_lshlrev_b64 v[64:65], v64, v[44:45]
	v_lshrrev_b32_e32 v63, 3, v46
	v_sub_u32_e32 v44, 29, v66
	v_and_b32_e32 v64, 7, v64
	v_cmp_gt_u32_e32 vcc, 8, v46
	v_cndmask_b32_e32 v44, v63, v44, vcc
	v_cndmask_b32_e32 v46, v52, v64, vcc
	v_lshlrev_b32_e32 v52, 16, v42
	v_lshlrev_b32_e32 v46, 20, v46
	v_and_b32_e32 v52, 0x80000000, v52
	v_lshl_add_u32 v44, v44, 23, v45
	v_or3_b32 v44, v52, v44, v46
	v_lshrrev_b32_e32 v52, 16, v44
.LBB927_439:                            ;   in Loop: Header=BB927_213 Depth=1
	s_or_b64 exec, exec, s[16:17]
.LBB927_440:                            ;   in Loop: Header=BB927_213 Depth=1
	s_or_b64 exec, exec, s[14:15]
.LBB927_441:                            ;   in Loop: Header=BB927_213 Depth=1
	s_or_b64 exec, exec, s[12:13]
	v_lshrrev_b32_e32 v44, 16, v42
	v_cmp_ne_u16_sdwa s[14:15], v44, v43 src0_sel:BYTE_0 src1_sel:DWORD
	s_and_saveexec_b64 s[12:13], s[14:15]
	s_cbranch_execz .LBB927_447
; %bb.442:                              ;   in Loop: Header=BB927_213 Depth=1
	v_cmp_ne_u16_sdwa s[16:17], v44, s9 src0_sel:BYTE_0 src1_sel:DWORD
	v_mov_b32_e32 v53, 0xffff8000
	s_and_saveexec_b64 s[14:15], s[16:17]
	s_cbranch_execz .LBB927_446
; %bb.443:                              ;   in Loop: Header=BB927_213 Depth=1
	v_bfe_u32 v46, v42, 16, 7
	v_cmp_ne_u32_e32 vcc, s21, v46
	v_mov_b32_e32 v53, 0x7f80
	s_and_saveexec_b64 s[16:17], vcc
	s_cbranch_execz .LBB927_445
; %bb.444:                              ;   in Loop: Header=BB927_213 Depth=1
	v_and_b32_e32 v53, 7, v44
	v_ffbh_u32_e32 v64, v53
	v_min_u32_e32 v66, 32, v64
	v_subrev_u32_e32 v64, 28, v66
	v_lshlrev_b64 v[64:65], v64, v[44:45]
	v_lshrrev_b32_e32 v63, 3, v46
	v_sub_u32_e32 v65, 29, v66
	v_and_b32_e32 v64, 7, v64
	v_cmp_gt_u32_e32 vcc, 8, v46
	v_cndmask_b32_e32 v46, v63, v65, vcc
	v_cndmask_b32_e32 v53, v53, v64, vcc
	v_lshlrev_b32_e32 v44, 24, v44
	v_lshlrev_b32_e32 v53, 20, v53
	v_and_b32_e32 v44, 0x80000000, v44
	v_lshl_add_u32 v46, v46, 23, v45
	v_or3_b32 v44, v44, v46, v53
	v_lshrrev_b32_e32 v53, 16, v44
.LBB927_445:                            ;   in Loop: Header=BB927_213 Depth=1
	s_or_b64 exec, exec, s[16:17]
.LBB927_446:                            ;   in Loop: Header=BB927_213 Depth=1
	s_or_b64 exec, exec, s[14:15]
.LBB927_447:                            ;   in Loop: Header=BB927_213 Depth=1
	s_or_b64 exec, exec, s[12:13]
	v_cmp_lt_u32_e32 vcc, s22, v42
	v_mov_b32_e32 v46, 0
	v_mov_b32_e32 v63, 0
	s_and_saveexec_b64 s[12:13], vcc
	s_cbranch_execz .LBB927_453
; %bb.448:                              ;   in Loop: Header=BB927_213 Depth=1
	v_lshrrev_b32_e32 v44, 24, v42
	v_cmp_ne_u32_e32 vcc, s9, v44
	v_mov_b32_e32 v63, 0xffff8000
	s_and_saveexec_b64 s[14:15], vcc
	s_cbranch_execz .LBB927_452
; %bb.449:                              ;   in Loop: Header=BB927_213 Depth=1
	v_bfe_u32 v42, v42, 24, 7
	v_cmp_ne_u32_e32 vcc, s21, v42
	v_mov_b32_e32 v63, 0x7f80
	s_and_saveexec_b64 s[16:17], vcc
	s_cbranch_execz .LBB927_451
; %bb.450:                              ;   in Loop: Header=BB927_213 Depth=1
	v_and_b32_e32 v63, 7, v44
	v_ffbh_u32_e32 v64, v63
	v_min_u32_e32 v67, 32, v64
	v_subrev_u32_e32 v64, 28, v67
	v_lshlrev_b64 v[64:65], v64, v[44:45]
	v_lshrrev_b32_e32 v66, 3, v42
	v_sub_u32_e32 v65, 29, v67
	v_and_b32_e32 v64, 7, v64
	v_cmp_gt_u32_e32 vcc, 8, v42
	v_cndmask_b32_e32 v42, v66, v65, vcc
	v_cndmask_b32_e32 v63, v63, v64, vcc
	v_lshlrev_b32_e32 v44, 24, v44
	v_lshlrev_b32_e32 v63, 20, v63
	v_and_b32_e32 v44, 0x80000000, v44
	v_lshl_add_u32 v42, v42, 23, v45
	v_or3_b32 v42, v44, v42, v63
	v_lshrrev_b32_e32 v63, 16, v42
.LBB927_451:                            ;   in Loop: Header=BB927_213 Depth=1
	s_or_b64 exec, exec, s[16:17]
.LBB927_452:                            ;   in Loop: Header=BB927_213 Depth=1
	s_or_b64 exec, exec, s[14:15]
.LBB927_453:                            ;   in Loop: Header=BB927_213 Depth=1
	s_or_b64 exec, exec, s[12:13]
	v_perm_b32 v49, v51, v49, s23
	v_perm_b32 v48, v48, v47, s23
	s_waitcnt vmcnt(1)
	v_cmp_ne_u16_sdwa s[14:15], v40, v43 src0_sel:BYTE_0 src1_sel:DWORD
	v_mfma_f32_16x16x16bf16_1k v[34:37], v[48:49], v[18:19], v[34:37]
	v_perm_b32 v49, v63, v53, s23
	v_perm_b32 v48, v52, v50, s23
	s_nop 1
	v_mfma_f32_16x16x16bf16_1k v[34:37], v[48:49], v[20:21], v[34:37]
	s_and_saveexec_b64 s[12:13], s[14:15]
	s_cbranch_execz .LBB927_459
; %bb.454:                              ;   in Loop: Header=BB927_213 Depth=1
	v_cmp_ne_u16_sdwa s[16:17], v40, s9 src0_sel:BYTE_0 src1_sel:DWORD
	v_mov_b32_e32 v46, 0xffff8000
	s_and_saveexec_b64 s[14:15], s[16:17]
	s_cbranch_execz .LBB927_458
; %bb.455:                              ;   in Loop: Header=BB927_213 Depth=1
	v_and_b32_e32 v42, 0x7f, v40
	v_cmp_ne_u32_e32 vcc, s21, v42
	v_mov_b32_e32 v46, 0x7f80
	s_and_saveexec_b64 s[16:17], vcc
	s_cbranch_execz .LBB927_457
; %bb.456:                              ;   in Loop: Header=BB927_213 Depth=1
	v_and_b32_e32 v44, 7, v40
	v_ffbh_u32_e32 v46, v44
	v_min_u32_e32 v49, 32, v46
	v_subrev_u32_e32 v46, 28, v49
	v_lshlrev_b64 v[46:47], v46, v[40:41]
	v_lshrrev_b32_e32 v48, 3, v42
	v_sub_u32_e32 v47, 29, v49
	v_and_b32_e32 v46, 7, v46
	v_cmp_gt_u32_e32 vcc, 8, v42
	v_cndmask_b32_e32 v42, v48, v47, vcc
	v_cndmask_b32_e32 v44, v44, v46, vcc
	v_lshlrev_b32_e32 v46, 24, v40
	v_lshlrev_b32_e32 v44, 20, v44
	v_and_b32_e32 v46, 0x80000000, v46
	v_lshl_add_u32 v42, v42, 23, v45
	v_or3_b32 v42, v46, v42, v44
	v_lshrrev_b32_e32 v46, 16, v42
.LBB927_457:                            ;   in Loop: Header=BB927_213 Depth=1
	s_or_b64 exec, exec, s[16:17]
.LBB927_458:                            ;   in Loop: Header=BB927_213 Depth=1
	s_or_b64 exec, exec, s[14:15]
.LBB927_459:                            ;   in Loop: Header=BB927_213 Depth=1
	s_or_b64 exec, exec, s[12:13]
	v_lshrrev_b16_e32 v42, 8, v40
	v_cmp_ne_u16_e32 vcc, 0, v42
	v_mov_b32_e32 v48, 0
	v_mov_b32_e32 v44, 0
	s_and_saveexec_b64 s[12:13], vcc
	s_cbranch_execz .LBB927_465
; %bb.460:                              ;   in Loop: Header=BB927_213 Depth=1
	v_cmp_ne_u16_e32 vcc, s9, v42
	v_mov_b32_e32 v44, 0xffff8000
	s_and_saveexec_b64 s[14:15], vcc
	s_cbranch_execz .LBB927_464
; %bb.461:                              ;   in Loop: Header=BB927_213 Depth=1
	v_and_b32_e32 v47, 0x7f, v42
	v_cmp_ne_u32_e32 vcc, s21, v47
	v_mov_b32_e32 v44, 0x7f80
	s_and_saveexec_b64 s[16:17], vcc
	s_cbranch_execz .LBB927_463
; %bb.462:                              ;   in Loop: Header=BB927_213 Depth=1
	v_and_b32_e32 v44, 7, v42
	v_ffbh_u32_e32 v50, v44
	v_min_u32_e32 v52, 32, v50
	v_subrev_u32_e32 v50, 28, v52
	v_lshlrev_b64 v[50:51], v50, v[42:43]
	v_lshrrev_b32_e32 v49, 3, v47
	v_sub_u32_e32 v42, 29, v52
	v_and_b32_e32 v50, 7, v50
	v_cmp_gt_u32_e32 vcc, 8, v47
	v_cndmask_b32_e32 v42, v49, v42, vcc
	v_cndmask_b32_e32 v44, v44, v50, vcc
	v_lshlrev_b32_e32 v47, 16, v40
	v_lshlrev_b32_e32 v44, 20, v44
	v_and_b32_e32 v47, 0x80000000, v47
	v_lshl_add_u32 v42, v42, 23, v45
	v_or3_b32 v42, v47, v42, v44
	v_lshrrev_b32_e32 v44, 16, v42
.LBB927_463:                            ;   in Loop: Header=BB927_213 Depth=1
	s_or_b64 exec, exec, s[16:17]
.LBB927_464:                            ;   in Loop: Header=BB927_213 Depth=1
	s_or_b64 exec, exec, s[14:15]
.LBB927_465:                            ;   in Loop: Header=BB927_213 Depth=1
	s_or_b64 exec, exec, s[12:13]
	v_lshrrev_b32_e32 v42, 16, v40
	v_cmp_ne_u16_sdwa s[14:15], v42, v43 src0_sel:BYTE_0 src1_sel:DWORD
	s_and_saveexec_b64 s[12:13], s[14:15]
	s_cbranch_execz .LBB927_471
; %bb.466:                              ;   in Loop: Header=BB927_213 Depth=1
	v_cmp_ne_u16_sdwa s[16:17], v42, s9 src0_sel:BYTE_0 src1_sel:DWORD
	v_mov_b32_e32 v48, 0xffff8000
	s_and_saveexec_b64 s[14:15], s[16:17]
	s_cbranch_execz .LBB927_470
; %bb.467:                              ;   in Loop: Header=BB927_213 Depth=1
	v_bfe_u32 v47, v40, 16, 7
	v_cmp_ne_u32_e32 vcc, s21, v47
	v_mov_b32_e32 v48, 0x7f80
	s_and_saveexec_b64 s[16:17], vcc
	s_cbranch_execz .LBB927_469
; %bb.468:                              ;   in Loop: Header=BB927_213 Depth=1
	v_and_b32_e32 v50, 7, v42
	v_ffbh_u32_e32 v48, v50
	v_min_u32_e32 v52, 32, v48
	v_subrev_u32_e32 v48, 28, v52
	v_lshlrev_b64 v[48:49], v48, v[42:43]
	v_lshrrev_b32_e32 v51, 3, v47
	v_sub_u32_e32 v49, 29, v52
	v_and_b32_e32 v48, 7, v48
	v_cmp_gt_u32_e32 vcc, 8, v47
	v_cndmask_b32_e32 v47, v51, v49, vcc
	v_cndmask_b32_e32 v48, v50, v48, vcc
	v_lshlrev_b32_e32 v42, 24, v42
	v_lshlrev_b32_e32 v48, 20, v48
	v_and_b32_e32 v42, 0x80000000, v42
	v_lshl_add_u32 v47, v47, 23, v45
	v_or3_b32 v42, v42, v47, v48
	v_lshrrev_b32_e32 v48, 16, v42
.LBB927_469:                            ;   in Loop: Header=BB927_213 Depth=1
	s_or_b64 exec, exec, s[16:17]
.LBB927_470:                            ;   in Loop: Header=BB927_213 Depth=1
	s_or_b64 exec, exec, s[14:15]
.LBB927_471:                            ;   in Loop: Header=BB927_213 Depth=1
	s_or_b64 exec, exec, s[12:13]
	v_cmp_lt_u32_e32 vcc, s22, v40
	v_mov_b32_e32 v49, 0
	v_mov_b32_e32 v50, 0
	s_and_saveexec_b64 s[12:13], vcc
	s_cbranch_execz .LBB927_477
; %bb.472:                              ;   in Loop: Header=BB927_213 Depth=1
	v_lshrrev_b32_e32 v42, 24, v40
	v_cmp_ne_u32_e32 vcc, s9, v42
	v_mov_b32_e32 v50, 0xffff8000
	s_and_saveexec_b64 s[14:15], vcc
	s_cbranch_execz .LBB927_476
; %bb.473:                              ;   in Loop: Header=BB927_213 Depth=1
	v_bfe_u32 v40, v40, 24, 7
	v_cmp_ne_u32_e32 vcc, s21, v40
	v_mov_b32_e32 v50, 0x7f80
	s_and_saveexec_b64 s[16:17], vcc
	s_cbranch_execz .LBB927_475
; %bb.474:                              ;   in Loop: Header=BB927_213 Depth=1
	v_and_b32_e32 v47, 7, v42
	v_ffbh_u32_e32 v50, v47
	v_min_u32_e32 v53, 32, v50
	v_subrev_u32_e32 v50, 28, v53
	v_lshlrev_b64 v[50:51], v50, v[42:43]
	v_lshrrev_b32_e32 v52, 3, v40
	v_sub_u32_e32 v51, 29, v53
	v_and_b32_e32 v50, 7, v50
	v_cmp_gt_u32_e32 vcc, 8, v40
	v_cndmask_b32_e32 v40, v52, v51, vcc
	v_cndmask_b32_e32 v47, v47, v50, vcc
	v_lshlrev_b32_e32 v42, 24, v42
	v_lshlrev_b32_e32 v47, 20, v47
	v_and_b32_e32 v42, 0x80000000, v42
	v_lshl_add_u32 v40, v40, 23, v45
	v_or3_b32 v40, v42, v40, v47
	v_lshrrev_b32_e32 v50, 16, v40
.LBB927_475:                            ;   in Loop: Header=BB927_213 Depth=1
	s_or_b64 exec, exec, s[16:17]
.LBB927_476:                            ;   in Loop: Header=BB927_213 Depth=1
	s_or_b64 exec, exec, s[14:15]
.LBB927_477:                            ;   in Loop: Header=BB927_213 Depth=1
	s_or_b64 exec, exec, s[12:13]
	s_waitcnt vmcnt(0)
	v_cmp_ne_u16_sdwa s[14:15], v38, v43 src0_sel:BYTE_0 src1_sel:DWORD
	s_and_saveexec_b64 s[12:13], s[14:15]
	s_cbranch_execz .LBB927_483
; %bb.478:                              ;   in Loop: Header=BB927_213 Depth=1
	v_cmp_ne_u16_sdwa s[16:17], v38, s9 src0_sel:BYTE_0 src1_sel:DWORD
	v_mov_b32_e32 v49, 0xffff8000
	s_and_saveexec_b64 s[14:15], s[16:17]
	s_cbranch_execz .LBB927_482
; %bb.479:                              ;   in Loop: Header=BB927_213 Depth=1
	v_and_b32_e32 v40, 0x7f, v38
	v_cmp_ne_u32_e32 vcc, s21, v40
	v_mov_b32_e32 v49, 0x7f80
	s_and_saveexec_b64 s[16:17], vcc
	s_cbranch_execz .LBB927_481
; %bb.480:                              ;   in Loop: Header=BB927_213 Depth=1
	v_and_b32_e32 v42, 7, v38
	v_ffbh_u32_e32 v49, v42
	v_min_u32_e32 v49, 32, v49
	v_subrev_u32_e32 v51, 28, v49
	v_lshlrev_b64 v[52:53], v51, v[38:39]
	v_lshrrev_b32_e32 v47, 3, v40
	v_sub_u32_e32 v49, 29, v49
	v_and_b32_e32 v51, 7, v52
	v_cmp_gt_u32_e32 vcc, 8, v40
	v_cndmask_b32_e32 v40, v47, v49, vcc
	v_cndmask_b32_e32 v42, v42, v51, vcc
	v_lshlrev_b32_e32 v47, 24, v38
	v_lshlrev_b32_e32 v42, 20, v42
	v_and_b32_e32 v47, 0x80000000, v47
	v_lshl_add_u32 v40, v40, 23, v45
	v_or3_b32 v40, v47, v40, v42
	v_lshrrev_b32_e32 v49, 16, v40
.LBB927_481:                            ;   in Loop: Header=BB927_213 Depth=1
	s_or_b64 exec, exec, s[16:17]
.LBB927_482:                            ;   in Loop: Header=BB927_213 Depth=1
	s_or_b64 exec, exec, s[14:15]
.LBB927_483:                            ;   in Loop: Header=BB927_213 Depth=1
	s_or_b64 exec, exec, s[12:13]
	v_lshrrev_b16_e32 v40, 8, v38
	v_cmp_ne_u16_e32 vcc, 0, v40
	v_mov_b32_e32 v52, 0
	v_mov_b32_e32 v51, 0
	s_and_saveexec_b64 s[12:13], vcc
	s_cbranch_execz .LBB927_489
; %bb.484:                              ;   in Loop: Header=BB927_213 Depth=1
	v_cmp_ne_u16_e32 vcc, s9, v40
	v_mov_b32_e32 v51, 0xffff8000
	s_and_saveexec_b64 s[14:15], vcc
	s_cbranch_execz .LBB927_488
; %bb.485:                              ;   in Loop: Header=BB927_213 Depth=1
	v_and_b32_e32 v42, 0x7f, v40
	v_cmp_ne_u32_e32 vcc, s21, v42
	v_mov_b32_e32 v51, 0x7f80
	s_and_saveexec_b64 s[16:17], vcc
	s_cbranch_execz .LBB927_487
; %bb.486:                              ;   in Loop: Header=BB927_213 Depth=1
	v_and_b32_e32 v47, 7, v40
	v_ffbh_u32_e32 v53, v47
	v_min_u32_e32 v53, 32, v53
	v_subrev_u32_e32 v63, 28, v53
	v_lshlrev_b64 v[64:65], v63, v[40:41]
	v_lshrrev_b32_e32 v51, 3, v42
	v_sub_u32_e32 v40, 29, v53
	v_and_b32_e32 v53, 7, v64
	v_cmp_gt_u32_e32 vcc, 8, v42
	v_cndmask_b32_e32 v40, v51, v40, vcc
	v_cndmask_b32_e32 v42, v47, v53, vcc
	v_lshlrev_b32_e32 v47, 16, v38
	v_lshlrev_b32_e32 v42, 20, v42
	v_and_b32_e32 v47, 0x80000000, v47
	v_lshl_add_u32 v40, v40, 23, v45
	v_or3_b32 v40, v47, v40, v42
	v_lshrrev_b32_e32 v51, 16, v40
.LBB927_487:                            ;   in Loop: Header=BB927_213 Depth=1
	s_or_b64 exec, exec, s[16:17]
.LBB927_488:                            ;   in Loop: Header=BB927_213 Depth=1
	s_or_b64 exec, exec, s[14:15]
.LBB927_489:                            ;   in Loop: Header=BB927_213 Depth=1
	s_or_b64 exec, exec, s[12:13]
	v_lshrrev_b32_e32 v40, 16, v38
	v_cmp_ne_u16_sdwa s[14:15], v40, v43 src0_sel:BYTE_0 src1_sel:DWORD
	s_and_saveexec_b64 s[12:13], s[14:15]
	s_cbranch_execz .LBB927_495
; %bb.490:                              ;   in Loop: Header=BB927_213 Depth=1
	v_cmp_ne_u16_sdwa s[16:17], v40, s9 src0_sel:BYTE_0 src1_sel:DWORD
	v_mov_b32_e32 v52, 0xffff8000
	s_and_saveexec_b64 s[14:15], s[16:17]
	s_cbranch_execz .LBB927_494
; %bb.491:                              ;   in Loop: Header=BB927_213 Depth=1
	v_bfe_u32 v42, v38, 16, 7
	v_cmp_ne_u32_e32 vcc, s21, v42
	v_mov_b32_e32 v52, 0x7f80
	s_and_saveexec_b64 s[16:17], vcc
	s_cbranch_execz .LBB927_493
; %bb.492:                              ;   in Loop: Header=BB927_213 Depth=1
	v_and_b32_e32 v47, 7, v40
	v_ffbh_u32_e32 v52, v47
	v_min_u32_e32 v64, 32, v52
	v_subrev_u32_e32 v52, 28, v64
	v_lshlrev_b64 v[52:53], v52, v[40:41]
	v_lshrrev_b32_e32 v63, 3, v42
	v_sub_u32_e32 v53, 29, v64
	v_and_b32_e32 v52, 7, v52
	v_cmp_gt_u32_e32 vcc, 8, v42
	v_cndmask_b32_e32 v42, v63, v53, vcc
	v_cndmask_b32_e32 v47, v47, v52, vcc
	v_lshlrev_b32_e32 v40, 24, v40
	v_lshlrev_b32_e32 v47, 20, v47
	v_and_b32_e32 v40, 0x80000000, v40
	v_lshl_add_u32 v42, v42, 23, v45
	v_or3_b32 v40, v40, v42, v47
	v_lshrrev_b32_e32 v52, 16, v40
.LBB927_493:                            ;   in Loop: Header=BB927_213 Depth=1
	s_or_b64 exec, exec, s[16:17]
.LBB927_494:                            ;   in Loop: Header=BB927_213 Depth=1
	s_or_b64 exec, exec, s[14:15]
.LBB927_495:                            ;   in Loop: Header=BB927_213 Depth=1
	s_or_b64 exec, exec, s[12:13]
	v_cmp_lt_u32_e32 vcc, s22, v38
	v_mov_b32_e32 v47, 0
	v_mov_b32_e32 v53, 0
	s_and_saveexec_b64 s[12:13], vcc
	s_cbranch_execz .LBB927_501
; %bb.496:                              ;   in Loop: Header=BB927_213 Depth=1
	v_lshrrev_b32_e32 v40, 24, v38
	v_cmp_ne_u32_e32 vcc, s9, v40
	v_mov_b32_e32 v53, 0xffff8000
	s_and_saveexec_b64 s[14:15], vcc
	s_cbranch_execz .LBB927_500
; %bb.497:                              ;   in Loop: Header=BB927_213 Depth=1
	v_bfe_u32 v38, v38, 24, 7
	v_cmp_ne_u32_e32 vcc, s21, v38
	v_mov_b32_e32 v53, 0x7f80
	s_and_saveexec_b64 s[16:17], vcc
	s_cbranch_execz .LBB927_499
; %bb.498:                              ;   in Loop: Header=BB927_213 Depth=1
	v_and_b32_e32 v42, 7, v40
	v_ffbh_u32_e32 v63, v42
	v_min_u32_e32 v63, 32, v63
	v_subrev_u32_e32 v64, 28, v63
	v_lshlrev_b64 v[64:65], v64, v[40:41]
	v_lshrrev_b32_e32 v53, 3, v38
	v_sub_u32_e32 v63, 29, v63
	v_and_b32_e32 v64, 7, v64
	v_cmp_gt_u32_e32 vcc, 8, v38
	v_cndmask_b32_e32 v38, v53, v63, vcc
	v_cndmask_b32_e32 v42, v42, v64, vcc
	v_lshlrev_b32_e32 v40, 24, v40
	v_lshlrev_b32_e32 v42, 20, v42
	v_and_b32_e32 v40, 0x80000000, v40
	v_lshl_add_u32 v38, v38, 23, v45
	v_or3_b32 v38, v40, v38, v42
	v_lshrrev_b32_e32 v53, 16, v38
.LBB927_499:                            ;   in Loop: Header=BB927_213 Depth=1
	s_or_b64 exec, exec, s[16:17]
.LBB927_500:                            ;   in Loop: Header=BB927_213 Depth=1
	s_or_b64 exec, exec, s[14:15]
.LBB927_501:                            ;   in Loop: Header=BB927_213 Depth=1
	s_or_b64 exec, exec, s[12:13]
	v_perm_b32 v64, v44, v46, s23
	buffer_load_dword v44, v62, s[0:3], 0 offen
	buffer_load_dword v42, v62, s[0:3], 0 offen offset:4
	buffer_load_dword v40, v62, s[0:3], 0 offen offset:8
	;; [unrolled: 1-line block ×3, first 2 shown]
	v_perm_b32 v65, v50, v48, s23
	v_perm_b32 v53, v53, v52, s23
	;; [unrolled: 1-line block ×3, first 2 shown]
	v_mfma_f32_16x16x16bf16_1k v[34:37], v[64:65], v[22:23], v[34:37]
	s_waitcnt vmcnt(3)
	v_cmp_ne_u16_sdwa s[14:15], v44, v43 src0_sel:BYTE_0 src1_sel:DWORD
	v_mfma_f32_16x16x16bf16_1k v[34:37], v[52:53], v[24:25], v[34:37]
	s_and_saveexec_b64 s[12:13], s[14:15]
	s_cbranch_execz .LBB927_507
; %bb.502:                              ;   in Loop: Header=BB927_213 Depth=1
	v_cmp_ne_u16_sdwa s[16:17], v44, s9 src0_sel:BYTE_0 src1_sel:DWORD
	v_mov_b32_e32 v47, 0xffff8000
	s_and_saveexec_b64 s[14:15], s[16:17]
	s_cbranch_execz .LBB927_506
; %bb.503:                              ;   in Loop: Header=BB927_213 Depth=1
	v_and_b32_e32 v46, 0x7f, v44
	v_cmp_ne_u32_e32 vcc, s21, v46
	v_mov_b32_e32 v47, 0x7f80
	s_and_saveexec_b64 s[16:17], vcc
	s_cbranch_execz .LBB927_505
; %bb.504:                              ;   in Loop: Header=BB927_213 Depth=1
	v_and_b32_e32 v47, 7, v44
	v_ffbh_u32_e32 v48, v47
	v_min_u32_e32 v51, 32, v48
	v_subrev_u32_e32 v48, 28, v51
	v_lshlrev_b64 v[48:49], v48, v[44:45]
	v_lshrrev_b32_e32 v50, 3, v46
	v_sub_u32_e32 v49, 29, v51
	v_and_b32_e32 v48, 7, v48
	v_cmp_gt_u32_e32 vcc, 8, v46
	v_cndmask_b32_e32 v46, v50, v49, vcc
	v_cndmask_b32_e32 v47, v47, v48, vcc
	v_lshlrev_b32_e32 v48, 24, v44
	v_lshlrev_b32_e32 v47, 20, v47
	v_and_b32_e32 v48, 0x80000000, v48
	v_lshl_add_u32 v46, v46, 23, v45
	v_or3_b32 v46, v48, v46, v47
	v_lshrrev_b32_e32 v47, 16, v46
.LBB927_505:                            ;   in Loop: Header=BB927_213 Depth=1
	s_or_b64 exec, exec, s[16:17]
.LBB927_506:                            ;   in Loop: Header=BB927_213 Depth=1
	s_or_b64 exec, exec, s[14:15]
.LBB927_507:                            ;   in Loop: Header=BB927_213 Depth=1
	s_or_b64 exec, exec, s[12:13]
	v_lshrrev_b16_e32 v46, 8, v44
	v_cmp_ne_u16_e32 vcc, 0, v46
	v_mov_b32_e32 v49, 0
	v_mov_b32_e32 v48, 0
	s_and_saveexec_b64 s[12:13], vcc
	s_cbranch_execz .LBB927_513
; %bb.508:                              ;   in Loop: Header=BB927_213 Depth=1
	v_cmp_ne_u16_e32 vcc, s9, v46
	v_mov_b32_e32 v48, 0xffff8000
	s_and_saveexec_b64 s[14:15], vcc
	s_cbranch_execz .LBB927_512
; %bb.509:                              ;   in Loop: Header=BB927_213 Depth=1
	v_and_b32_e32 v50, 0x7f, v46
	v_cmp_ne_u32_e32 vcc, s21, v50
	v_mov_b32_e32 v48, 0x7f80
	s_and_saveexec_b64 s[16:17], vcc
	s_cbranch_execz .LBB927_511
; %bb.510:                              ;   in Loop: Header=BB927_213 Depth=1
	v_and_b32_e32 v48, 7, v46
	v_ffbh_u32_e32 v52, v48
	v_min_u32_e32 v62, 32, v52
	v_subrev_u32_e32 v52, 28, v62
	v_lshlrev_b64 v[52:53], v52, v[46:47]
	v_lshrrev_b32_e32 v51, 3, v50
	v_sub_u32_e32 v46, 29, v62
	v_and_b32_e32 v52, 7, v52
	v_cmp_gt_u32_e32 vcc, 8, v50
	v_cndmask_b32_e32 v46, v51, v46, vcc
	v_cndmask_b32_e32 v48, v48, v52, vcc
	v_lshlrev_b32_e32 v50, 16, v44
	v_lshlrev_b32_e32 v48, 20, v48
	v_and_b32_e32 v50, 0x80000000, v50
	v_lshl_add_u32 v46, v46, 23, v45
	v_or3_b32 v46, v50, v46, v48
	v_lshrrev_b32_e32 v48, 16, v46
.LBB927_511:                            ;   in Loop: Header=BB927_213 Depth=1
	s_or_b64 exec, exec, s[16:17]
.LBB927_512:                            ;   in Loop: Header=BB927_213 Depth=1
	s_or_b64 exec, exec, s[14:15]
.LBB927_513:                            ;   in Loop: Header=BB927_213 Depth=1
	s_or_b64 exec, exec, s[12:13]
	v_lshrrev_b32_e32 v46, 16, v44
	v_cmp_ne_u16_sdwa s[14:15], v46, v43 src0_sel:BYTE_0 src1_sel:DWORD
	s_and_saveexec_b64 s[12:13], s[14:15]
	s_cbranch_execz .LBB927_519
; %bb.514:                              ;   in Loop: Header=BB927_213 Depth=1
	v_cmp_ne_u16_sdwa s[16:17], v46, s9 src0_sel:BYTE_0 src1_sel:DWORD
	v_mov_b32_e32 v49, 0xffff8000
	s_and_saveexec_b64 s[14:15], s[16:17]
	s_cbranch_execz .LBB927_518
; %bb.515:                              ;   in Loop: Header=BB927_213 Depth=1
	v_bfe_u32 v50, v44, 16, 7
	v_cmp_ne_u32_e32 vcc, s21, v50
	v_mov_b32_e32 v49, 0x7f80
	s_and_saveexec_b64 s[16:17], vcc
	s_cbranch_execz .LBB927_517
; %bb.516:                              ;   in Loop: Header=BB927_213 Depth=1
	v_and_b32_e32 v49, 7, v46
	v_ffbh_u32_e32 v52, v49
	v_min_u32_e32 v62, 32, v52
	v_subrev_u32_e32 v52, 28, v62
	v_lshlrev_b64 v[52:53], v52, v[46:47]
	v_lshrrev_b32_e32 v51, 3, v50
	v_sub_u32_e32 v53, 29, v62
	v_and_b32_e32 v52, 7, v52
	v_cmp_gt_u32_e32 vcc, 8, v50
	v_cndmask_b32_e32 v50, v51, v53, vcc
	v_cndmask_b32_e32 v49, v49, v52, vcc
	v_lshlrev_b32_e32 v46, 24, v46
	v_lshlrev_b32_e32 v49, 20, v49
	v_and_b32_e32 v46, 0x80000000, v46
	v_lshl_add_u32 v50, v50, 23, v45
	v_or3_b32 v46, v46, v50, v49
	v_lshrrev_b32_e32 v49, 16, v46
.LBB927_517:                            ;   in Loop: Header=BB927_213 Depth=1
	s_or_b64 exec, exec, s[16:17]
.LBB927_518:                            ;   in Loop: Header=BB927_213 Depth=1
	s_or_b64 exec, exec, s[14:15]
.LBB927_519:                            ;   in Loop: Header=BB927_213 Depth=1
	s_or_b64 exec, exec, s[12:13]
	v_cmp_lt_u32_e32 vcc, s22, v44
	v_mov_b32_e32 v50, 0
	v_mov_b32_e32 v51, 0
	s_and_saveexec_b64 s[12:13], vcc
	s_cbranch_execz .LBB927_525
; %bb.520:                              ;   in Loop: Header=BB927_213 Depth=1
	v_lshrrev_b32_e32 v46, 24, v44
	v_cmp_ne_u32_e32 vcc, s9, v46
	v_mov_b32_e32 v51, 0xffff8000
	s_and_saveexec_b64 s[14:15], vcc
	s_cbranch_execz .LBB927_524
; %bb.521:                              ;   in Loop: Header=BB927_213 Depth=1
	v_bfe_u32 v44, v44, 24, 7
	v_cmp_ne_u32_e32 vcc, s21, v44
	v_mov_b32_e32 v51, 0x7f80
	s_and_saveexec_b64 s[16:17], vcc
	s_cbranch_execz .LBB927_523
; %bb.522:                              ;   in Loop: Header=BB927_213 Depth=1
	v_and_b32_e32 v51, 7, v46
	v_ffbh_u32_e32 v52, v51
	v_min_u32_e32 v63, 32, v52
	v_subrev_u32_e32 v52, 28, v63
	v_lshlrev_b64 v[52:53], v52, v[46:47]
	v_lshrrev_b32_e32 v62, 3, v44
	v_sub_u32_e32 v53, 29, v63
	v_and_b32_e32 v52, 7, v52
	v_cmp_gt_u32_e32 vcc, 8, v44
	v_cndmask_b32_e32 v44, v62, v53, vcc
	v_cndmask_b32_e32 v51, v51, v52, vcc
	v_lshlrev_b32_e32 v46, 24, v46
	v_lshlrev_b32_e32 v51, 20, v51
	v_and_b32_e32 v46, 0x80000000, v46
	v_lshl_add_u32 v44, v44, 23, v45
	v_or3_b32 v44, v46, v44, v51
	v_lshrrev_b32_e32 v51, 16, v44
.LBB927_523:                            ;   in Loop: Header=BB927_213 Depth=1
	s_or_b64 exec, exec, s[16:17]
.LBB927_524:                            ;   in Loop: Header=BB927_213 Depth=1
	s_or_b64 exec, exec, s[14:15]
.LBB927_525:                            ;   in Loop: Header=BB927_213 Depth=1
	s_or_b64 exec, exec, s[12:13]
	s_waitcnt vmcnt(2)
	v_cmp_ne_u16_sdwa s[14:15], v42, v43 src0_sel:BYTE_0 src1_sel:DWORD
	s_and_saveexec_b64 s[12:13], s[14:15]
	s_cbranch_execz .LBB927_531
; %bb.526:                              ;   in Loop: Header=BB927_213 Depth=1
	v_cmp_ne_u16_sdwa s[16:17], v42, s9 src0_sel:BYTE_0 src1_sel:DWORD
	v_mov_b32_e32 v50, 0xffff8000
	s_and_saveexec_b64 s[14:15], s[16:17]
	s_cbranch_execz .LBB927_530
; %bb.527:                              ;   in Loop: Header=BB927_213 Depth=1
	v_and_b32_e32 v44, 0x7f, v42
	v_cmp_ne_u32_e32 vcc, s21, v44
	v_mov_b32_e32 v50, 0x7f80
	s_and_saveexec_b64 s[16:17], vcc
	s_cbranch_execz .LBB927_529
; %bb.528:                              ;   in Loop: Header=BB927_213 Depth=1
	v_and_b32_e32 v46, 7, v42
	v_ffbh_u32_e32 v52, v46
	v_min_u32_e32 v62, 32, v52
	v_subrev_u32_e32 v52, 28, v62
	v_lshlrev_b64 v[52:53], v52, v[42:43]
	v_lshrrev_b32_e32 v50, 3, v44
	v_sub_u32_e32 v53, 29, v62
	v_and_b32_e32 v52, 7, v52
	v_cmp_gt_u32_e32 vcc, 8, v44
	v_cndmask_b32_e32 v44, v50, v53, vcc
	v_cndmask_b32_e32 v46, v46, v52, vcc
	v_lshlrev_b32_e32 v50, 24, v42
	v_lshlrev_b32_e32 v46, 20, v46
	v_and_b32_e32 v50, 0x80000000, v50
	v_lshl_add_u32 v44, v44, 23, v45
	v_or3_b32 v44, v50, v44, v46
	v_lshrrev_b32_e32 v50, 16, v44
.LBB927_529:                            ;   in Loop: Header=BB927_213 Depth=1
	s_or_b64 exec, exec, s[16:17]
.LBB927_530:                            ;   in Loop: Header=BB927_213 Depth=1
	s_or_b64 exec, exec, s[14:15]
.LBB927_531:                            ;   in Loop: Header=BB927_213 Depth=1
	s_or_b64 exec, exec, s[12:13]
	v_lshrrev_b16_e32 v44, 8, v42
	v_cmp_ne_u16_e32 vcc, 0, v44
	v_mov_b32_e32 v53, 0
	v_mov_b32_e32 v52, 0
	s_and_saveexec_b64 s[12:13], vcc
	s_cbranch_execz .LBB927_537
; %bb.532:                              ;   in Loop: Header=BB927_213 Depth=1
	v_cmp_ne_u16_e32 vcc, s9, v44
	v_mov_b32_e32 v52, 0xffff8000
	s_and_saveexec_b64 s[14:15], vcc
	s_cbranch_execz .LBB927_536
; %bb.533:                              ;   in Loop: Header=BB927_213 Depth=1
	v_and_b32_e32 v46, 0x7f, v44
	v_cmp_ne_u32_e32 vcc, s21, v46
	v_mov_b32_e32 v52, 0x7f80
	s_and_saveexec_b64 s[16:17], vcc
	s_cbranch_execz .LBB927_535
; %bb.534:                              ;   in Loop: Header=BB927_213 Depth=1
	v_and_b32_e32 v52, 7, v44
	v_ffbh_u32_e32 v62, v52
	v_min_u32_e32 v65, 32, v62
	v_subrev_u32_e32 v62, 28, v65
	v_lshlrev_b64 v[62:63], v62, v[44:45]
	v_lshrrev_b32_e32 v64, 3, v46
	v_sub_u32_e32 v44, 29, v65
	v_and_b32_e32 v62, 7, v62
	v_cmp_gt_u32_e32 vcc, 8, v46
	v_cndmask_b32_e32 v44, v64, v44, vcc
	v_cndmask_b32_e32 v46, v52, v62, vcc
	v_lshlrev_b32_e32 v52, 16, v42
	v_lshlrev_b32_e32 v46, 20, v46
	v_and_b32_e32 v52, 0x80000000, v52
	v_lshl_add_u32 v44, v44, 23, v45
	v_or3_b32 v44, v52, v44, v46
	v_lshrrev_b32_e32 v52, 16, v44
.LBB927_535:                            ;   in Loop: Header=BB927_213 Depth=1
	s_or_b64 exec, exec, s[16:17]
.LBB927_536:                            ;   in Loop: Header=BB927_213 Depth=1
	s_or_b64 exec, exec, s[14:15]
.LBB927_537:                            ;   in Loop: Header=BB927_213 Depth=1
	s_or_b64 exec, exec, s[12:13]
	v_lshrrev_b32_e32 v44, 16, v42
	v_cmp_ne_u16_sdwa s[14:15], v44, v43 src0_sel:BYTE_0 src1_sel:DWORD
	s_and_saveexec_b64 s[12:13], s[14:15]
	s_cbranch_execz .LBB927_543
; %bb.538:                              ;   in Loop: Header=BB927_213 Depth=1
	v_cmp_ne_u16_sdwa s[16:17], v44, s9 src0_sel:BYTE_0 src1_sel:DWORD
	v_mov_b32_e32 v53, 0xffff8000
	s_and_saveexec_b64 s[14:15], s[16:17]
	s_cbranch_execz .LBB927_542
; %bb.539:                              ;   in Loop: Header=BB927_213 Depth=1
	v_bfe_u32 v46, v42, 16, 7
	v_cmp_ne_u32_e32 vcc, s21, v46
	v_mov_b32_e32 v53, 0x7f80
	s_and_saveexec_b64 s[16:17], vcc
	s_cbranch_execz .LBB927_541
; %bb.540:                              ;   in Loop: Header=BB927_213 Depth=1
	v_and_b32_e32 v53, 7, v44
	v_ffbh_u32_e32 v62, v53
	v_min_u32_e32 v65, 32, v62
	v_subrev_u32_e32 v62, 28, v65
	v_lshlrev_b64 v[62:63], v62, v[44:45]
	v_lshrrev_b32_e32 v64, 3, v46
	v_sub_u32_e32 v63, 29, v65
	v_and_b32_e32 v62, 7, v62
	v_cmp_gt_u32_e32 vcc, 8, v46
	v_cndmask_b32_e32 v46, v64, v63, vcc
	v_cndmask_b32_e32 v53, v53, v62, vcc
	v_lshlrev_b32_e32 v44, 24, v44
	v_lshlrev_b32_e32 v53, 20, v53
	v_and_b32_e32 v44, 0x80000000, v44
	v_lshl_add_u32 v46, v46, 23, v45
	v_or3_b32 v44, v44, v46, v53
	v_lshrrev_b32_e32 v53, 16, v44
.LBB927_541:                            ;   in Loop: Header=BB927_213 Depth=1
	s_or_b64 exec, exec, s[16:17]
.LBB927_542:                            ;   in Loop: Header=BB927_213 Depth=1
	s_or_b64 exec, exec, s[14:15]
.LBB927_543:                            ;   in Loop: Header=BB927_213 Depth=1
	s_or_b64 exec, exec, s[12:13]
	v_cmp_lt_u32_e32 vcc, s22, v42
	v_mov_b32_e32 v46, 0
	v_mov_b32_e32 v62, 0
	s_and_saveexec_b64 s[12:13], vcc
	s_cbranch_execz .LBB927_549
; %bb.544:                              ;   in Loop: Header=BB927_213 Depth=1
	v_lshrrev_b32_e32 v44, 24, v42
	v_cmp_ne_u32_e32 vcc, s9, v44
	v_mov_b32_e32 v62, 0xffff8000
	s_and_saveexec_b64 s[14:15], vcc
	s_cbranch_execz .LBB927_548
; %bb.545:                              ;   in Loop: Header=BB927_213 Depth=1
	v_bfe_u32 v42, v42, 24, 7
	v_cmp_ne_u32_e32 vcc, s21, v42
	v_mov_b32_e32 v62, 0x7f80
	s_and_saveexec_b64 s[16:17], vcc
	s_cbranch_execz .LBB927_547
; %bb.546:                              ;   in Loop: Header=BB927_213 Depth=1
	v_and_b32_e32 v64, 7, v44
	v_ffbh_u32_e32 v62, v64
	v_min_u32_e32 v66, 32, v62
	v_subrev_u32_e32 v62, 28, v66
	v_lshlrev_b64 v[62:63], v62, v[44:45]
	v_lshrrev_b32_e32 v65, 3, v42
	v_sub_u32_e32 v63, 29, v66
	v_and_b32_e32 v62, 7, v62
	v_cmp_gt_u32_e32 vcc, 8, v42
	v_cndmask_b32_e32 v42, v65, v63, vcc
	v_cndmask_b32_e32 v62, v64, v62, vcc
	v_lshlrev_b32_e32 v44, 24, v44
	v_lshlrev_b32_e32 v62, 20, v62
	v_and_b32_e32 v44, 0x80000000, v44
	v_lshl_add_u32 v42, v42, 23, v45
	v_or3_b32 v42, v44, v42, v62
	v_lshrrev_b32_e32 v62, 16, v42
.LBB927_547:                            ;   in Loop: Header=BB927_213 Depth=1
	s_or_b64 exec, exec, s[16:17]
.LBB927_548:                            ;   in Loop: Header=BB927_213 Depth=1
	s_or_b64 exec, exec, s[14:15]
.LBB927_549:                            ;   in Loop: Header=BB927_213 Depth=1
	s_or_b64 exec, exec, s[12:13]
	v_perm_b32 v49, v51, v49, s23
	v_perm_b32 v48, v48, v47, s23
	s_waitcnt vmcnt(1)
	v_cmp_ne_u16_sdwa s[14:15], v40, v43 src0_sel:BYTE_0 src1_sel:DWORD
	v_mfma_f32_16x16x16bf16_1k v[34:37], v[48:49], v[26:27], v[34:37]
	v_perm_b32 v49, v62, v53, s23
	v_perm_b32 v48, v52, v50, s23
	s_nop 1
	v_mfma_f32_16x16x16bf16_1k v[34:37], v[48:49], v[28:29], v[34:37]
	s_and_saveexec_b64 s[12:13], s[14:15]
	s_cbranch_execz .LBB927_555
; %bb.550:                              ;   in Loop: Header=BB927_213 Depth=1
	v_cmp_ne_u16_sdwa s[16:17], v40, s9 src0_sel:BYTE_0 src1_sel:DWORD
	v_mov_b32_e32 v46, 0xffff8000
	s_and_saveexec_b64 s[14:15], s[16:17]
	s_cbranch_execz .LBB927_554
; %bb.551:                              ;   in Loop: Header=BB927_213 Depth=1
	v_and_b32_e32 v42, 0x7f, v40
	v_cmp_ne_u32_e32 vcc, s21, v42
	v_mov_b32_e32 v46, 0x7f80
	s_and_saveexec_b64 s[16:17], vcc
	s_cbranch_execz .LBB927_553
; %bb.552:                              ;   in Loop: Header=BB927_213 Depth=1
	v_and_b32_e32 v44, 7, v40
	v_ffbh_u32_e32 v46, v44
	v_min_u32_e32 v49, 32, v46
	v_subrev_u32_e32 v46, 28, v49
	v_lshlrev_b64 v[46:47], v46, v[40:41]
	v_lshrrev_b32_e32 v48, 3, v42
	v_sub_u32_e32 v47, 29, v49
	v_and_b32_e32 v46, 7, v46
	v_cmp_gt_u32_e32 vcc, 8, v42
	v_cndmask_b32_e32 v42, v48, v47, vcc
	v_cndmask_b32_e32 v44, v44, v46, vcc
	v_lshlrev_b32_e32 v46, 24, v40
	v_lshlrev_b32_e32 v44, 20, v44
	v_and_b32_e32 v46, 0x80000000, v46
	v_lshl_add_u32 v42, v42, 23, v45
	v_or3_b32 v42, v46, v42, v44
	v_lshrrev_b32_e32 v46, 16, v42
.LBB927_553:                            ;   in Loop: Header=BB927_213 Depth=1
	s_or_b64 exec, exec, s[16:17]
.LBB927_554:                            ;   in Loop: Header=BB927_213 Depth=1
	s_or_b64 exec, exec, s[14:15]
.LBB927_555:                            ;   in Loop: Header=BB927_213 Depth=1
	s_or_b64 exec, exec, s[12:13]
	v_lshrrev_b16_e32 v42, 8, v40
	v_cmp_ne_u16_e32 vcc, 0, v42
	v_mov_b32_e32 v47, 0
	v_mov_b32_e32 v44, 0
	s_and_saveexec_b64 s[12:13], vcc
	s_cbranch_execz .LBB927_561
; %bb.556:                              ;   in Loop: Header=BB927_213 Depth=1
	v_cmp_ne_u16_e32 vcc, s9, v42
	v_mov_b32_e32 v44, 0xffff8000
	s_and_saveexec_b64 s[14:15], vcc
	s_cbranch_execz .LBB927_560
; %bb.557:                              ;   in Loop: Header=BB927_213 Depth=1
	v_and_b32_e32 v48, 0x7f, v42
	v_cmp_ne_u32_e32 vcc, s21, v48
	v_mov_b32_e32 v44, 0x7f80
	s_and_saveexec_b64 s[16:17], vcc
	s_cbranch_execz .LBB927_559
; %bb.558:                              ;   in Loop: Header=BB927_213 Depth=1
	v_and_b32_e32 v44, 7, v42
	v_ffbh_u32_e32 v50, v44
	v_min_u32_e32 v52, 32, v50
	v_subrev_u32_e32 v50, 28, v52
	v_lshlrev_b64 v[50:51], v50, v[42:43]
	v_lshrrev_b32_e32 v49, 3, v48
	v_sub_u32_e32 v42, 29, v52
	v_and_b32_e32 v50, 7, v50
	v_cmp_gt_u32_e32 vcc, 8, v48
	v_cndmask_b32_e32 v42, v49, v42, vcc
	v_cndmask_b32_e32 v44, v44, v50, vcc
	v_lshlrev_b32_e32 v48, 16, v40
	v_lshlrev_b32_e32 v44, 20, v44
	v_and_b32_e32 v48, 0x80000000, v48
	v_lshl_add_u32 v42, v42, 23, v45
	v_or3_b32 v42, v48, v42, v44
	v_lshrrev_b32_e32 v44, 16, v42
.LBB927_559:                            ;   in Loop: Header=BB927_213 Depth=1
	s_or_b64 exec, exec, s[16:17]
.LBB927_560:                            ;   in Loop: Header=BB927_213 Depth=1
	s_or_b64 exec, exec, s[14:15]
.LBB927_561:                            ;   in Loop: Header=BB927_213 Depth=1
	s_or_b64 exec, exec, s[12:13]
	v_lshrrev_b32_e32 v42, 16, v40
	v_cmp_ne_u16_sdwa s[14:15], v42, v43 src0_sel:BYTE_0 src1_sel:DWORD
	s_and_saveexec_b64 s[12:13], s[14:15]
	s_cbranch_execz .LBB927_567
; %bb.562:                              ;   in Loop: Header=BB927_213 Depth=1
	v_cmp_ne_u16_sdwa s[16:17], v42, s9 src0_sel:BYTE_0 src1_sel:DWORD
	v_mov_b32_e32 v47, 0xffff8000
	s_and_saveexec_b64 s[14:15], s[16:17]
	s_cbranch_execz .LBB927_566
; %bb.563:                              ;   in Loop: Header=BB927_213 Depth=1
	v_bfe_u32 v48, v40, 16, 7
	v_cmp_ne_u32_e32 vcc, s21, v48
	v_mov_b32_e32 v47, 0x7f80
	s_and_saveexec_b64 s[16:17], vcc
	s_cbranch_execz .LBB927_565
; %bb.564:                              ;   in Loop: Header=BB927_213 Depth=1
	v_and_b32_e32 v47, 7, v42
	v_ffbh_u32_e32 v50, v47
	v_min_u32_e32 v52, 32, v50
	v_subrev_u32_e32 v50, 28, v52
	v_lshlrev_b64 v[50:51], v50, v[42:43]
	v_lshrrev_b32_e32 v49, 3, v48
	v_sub_u32_e32 v51, 29, v52
	v_and_b32_e32 v50, 7, v50
	v_cmp_gt_u32_e32 vcc, 8, v48
	v_cndmask_b32_e32 v48, v49, v51, vcc
	v_cndmask_b32_e32 v47, v47, v50, vcc
	v_lshlrev_b32_e32 v42, 24, v42
	v_lshlrev_b32_e32 v47, 20, v47
	v_and_b32_e32 v42, 0x80000000, v42
	v_lshl_add_u32 v48, v48, 23, v45
	v_or3_b32 v42, v42, v48, v47
	v_lshrrev_b32_e32 v47, 16, v42
.LBB927_565:                            ;   in Loop: Header=BB927_213 Depth=1
	s_or_b64 exec, exec, s[16:17]
.LBB927_566:                            ;   in Loop: Header=BB927_213 Depth=1
	s_or_b64 exec, exec, s[14:15]
.LBB927_567:                            ;   in Loop: Header=BB927_213 Depth=1
	s_or_b64 exec, exec, s[12:13]
	v_cmp_lt_u32_e32 vcc, s22, v40
	v_mov_b32_e32 v48, 0
	v_mov_b32_e32 v49, 0
	s_and_saveexec_b64 s[12:13], vcc
	s_cbranch_execz .LBB927_573
; %bb.568:                              ;   in Loop: Header=BB927_213 Depth=1
	v_lshrrev_b32_e32 v42, 24, v40
	v_cmp_ne_u32_e32 vcc, s9, v42
	v_mov_b32_e32 v49, 0xffff8000
	s_and_saveexec_b64 s[14:15], vcc
	s_cbranch_execz .LBB927_572
; %bb.569:                              ;   in Loop: Header=BB927_213 Depth=1
	v_bfe_u32 v40, v40, 24, 7
	v_cmp_ne_u32_e32 vcc, s21, v40
	v_mov_b32_e32 v49, 0x7f80
	s_and_saveexec_b64 s[16:17], vcc
	s_cbranch_execz .LBB927_571
; %bb.570:                              ;   in Loop: Header=BB927_213 Depth=1
	v_and_b32_e32 v49, 7, v42
	v_ffbh_u32_e32 v50, v49
	v_min_u32_e32 v53, 32, v50
	v_subrev_u32_e32 v50, 28, v53
	v_lshlrev_b64 v[50:51], v50, v[42:43]
	v_lshrrev_b32_e32 v52, 3, v40
	v_sub_u32_e32 v51, 29, v53
	v_and_b32_e32 v50, 7, v50
	v_cmp_gt_u32_e32 vcc, 8, v40
	v_cndmask_b32_e32 v40, v52, v51, vcc
	v_cndmask_b32_e32 v49, v49, v50, vcc
	v_lshlrev_b32_e32 v42, 24, v42
	v_lshlrev_b32_e32 v49, 20, v49
	v_and_b32_e32 v42, 0x80000000, v42
	v_lshl_add_u32 v40, v40, 23, v45
	v_or3_b32 v40, v42, v40, v49
	v_lshrrev_b32_e32 v49, 16, v40
.LBB927_571:                            ;   in Loop: Header=BB927_213 Depth=1
	s_or_b64 exec, exec, s[16:17]
.LBB927_572:                            ;   in Loop: Header=BB927_213 Depth=1
	s_or_b64 exec, exec, s[14:15]
.LBB927_573:                            ;   in Loop: Header=BB927_213 Depth=1
	s_or_b64 exec, exec, s[12:13]
	s_waitcnt vmcnt(0)
	v_cmp_ne_u16_sdwa s[14:15], v38, v43 src0_sel:BYTE_0 src1_sel:DWORD
	s_and_saveexec_b64 s[12:13], s[14:15]
	s_cbranch_execz .LBB927_579
; %bb.574:                              ;   in Loop: Header=BB927_213 Depth=1
	v_cmp_ne_u16_sdwa s[16:17], v38, s9 src0_sel:BYTE_0 src1_sel:DWORD
	v_mov_b32_e32 v48, 0xffff8000
	s_and_saveexec_b64 s[14:15], s[16:17]
	s_cbranch_execz .LBB927_578
; %bb.575:                              ;   in Loop: Header=BB927_213 Depth=1
	v_and_b32_e32 v40, 0x7f, v38
	v_cmp_ne_u32_e32 vcc, s21, v40
	v_mov_b32_e32 v48, 0x7f80
	s_and_saveexec_b64 s[16:17], vcc
	s_cbranch_execz .LBB927_577
; %bb.576:                              ;   in Loop: Header=BB927_213 Depth=1
	v_and_b32_e32 v42, 7, v38
	v_ffbh_u32_e32 v50, v42
	v_min_u32_e32 v52, 32, v50
	v_subrev_u32_e32 v50, 28, v52
	v_lshlrev_b64 v[50:51], v50, v[38:39]
	v_lshrrev_b32_e32 v48, 3, v40
	v_sub_u32_e32 v51, 29, v52
	v_and_b32_e32 v50, 7, v50
	v_cmp_gt_u32_e32 vcc, 8, v40
	v_cndmask_b32_e32 v40, v48, v51, vcc
	v_cndmask_b32_e32 v42, v42, v50, vcc
	v_lshlrev_b32_e32 v48, 24, v38
	v_lshlrev_b32_e32 v42, 20, v42
	v_and_b32_e32 v48, 0x80000000, v48
	v_lshl_add_u32 v40, v40, 23, v45
	v_or3_b32 v40, v48, v40, v42
	v_lshrrev_b32_e32 v48, 16, v40
.LBB927_577:                            ;   in Loop: Header=BB927_213 Depth=1
	s_or_b64 exec, exec, s[16:17]
.LBB927_578:                            ;   in Loop: Header=BB927_213 Depth=1
	s_or_b64 exec, exec, s[14:15]
.LBB927_579:                            ;   in Loop: Header=BB927_213 Depth=1
	s_or_b64 exec, exec, s[12:13]
	v_lshrrev_b16_e32 v40, 8, v38
	v_cmp_ne_u16_e32 vcc, 0, v40
	v_mov_b32_e32 v50, 0
	v_mov_b32_e32 v42, 0
	s_and_saveexec_b64 s[12:13], vcc
	s_cbranch_execz .LBB927_585
; %bb.580:                              ;   in Loop: Header=BB927_213 Depth=1
	v_cmp_ne_u16_e32 vcc, s9, v40
	v_mov_b32_e32 v42, 0xffff8000
	s_and_saveexec_b64 s[14:15], vcc
	s_cbranch_execz .LBB927_584
; %bb.581:                              ;   in Loop: Header=BB927_213 Depth=1
	v_and_b32_e32 v51, 0x7f, v40
	v_cmp_ne_u32_e32 vcc, s21, v51
	v_mov_b32_e32 v42, 0x7f80
	s_and_saveexec_b64 s[16:17], vcc
	s_cbranch_execz .LBB927_583
; %bb.582:                              ;   in Loop: Header=BB927_213 Depth=1
	v_and_b32_e32 v42, 7, v40
	v_ffbh_u32_e32 v52, v42
	v_min_u32_e32 v63, 32, v52
	v_subrev_u32_e32 v52, 28, v63
	v_lshlrev_b64 v[52:53], v52, v[40:41]
	v_lshrrev_b32_e32 v62, 3, v51
	v_sub_u32_e32 v40, 29, v63
	v_and_b32_e32 v52, 7, v52
	v_cmp_gt_u32_e32 vcc, 8, v51
	v_cndmask_b32_e32 v40, v62, v40, vcc
	v_cndmask_b32_e32 v42, v42, v52, vcc
	v_lshlrev_b32_e32 v51, 16, v38
	v_lshlrev_b32_e32 v42, 20, v42
	v_and_b32_e32 v51, 0x80000000, v51
	v_lshl_add_u32 v40, v40, 23, v45
	v_or3_b32 v40, v51, v40, v42
	v_lshrrev_b32_e32 v42, 16, v40
.LBB927_583:                            ;   in Loop: Header=BB927_213 Depth=1
	s_or_b64 exec, exec, s[16:17]
.LBB927_584:                            ;   in Loop: Header=BB927_213 Depth=1
	s_or_b64 exec, exec, s[14:15]
.LBB927_585:                            ;   in Loop: Header=BB927_213 Depth=1
	s_or_b64 exec, exec, s[12:13]
	v_lshrrev_b32_e32 v40, 16, v38
	v_cmp_ne_u16_sdwa s[14:15], v40, v43 src0_sel:BYTE_0 src1_sel:DWORD
	s_and_saveexec_b64 s[12:13], s[14:15]
	s_cbranch_execz .LBB927_591
; %bb.586:                              ;   in Loop: Header=BB927_213 Depth=1
	v_cmp_ne_u16_sdwa s[16:17], v40, s9 src0_sel:BYTE_0 src1_sel:DWORD
	v_mov_b32_e32 v50, 0xffff8000
	s_and_saveexec_b64 s[14:15], s[16:17]
	s_cbranch_execz .LBB927_590
; %bb.587:                              ;   in Loop: Header=BB927_213 Depth=1
	v_bfe_u32 v51, v38, 16, 7
	v_cmp_ne_u32_e32 vcc, s21, v51
	v_mov_b32_e32 v50, 0x7f80
	s_and_saveexec_b64 s[16:17], vcc
	s_cbranch_execz .LBB927_589
; %bb.588:                              ;   in Loop: Header=BB927_213 Depth=1
	v_and_b32_e32 v50, 7, v40
	v_ffbh_u32_e32 v52, v50
	v_min_u32_e32 v63, 32, v52
	v_subrev_u32_e32 v52, 28, v63
	v_lshlrev_b64 v[52:53], v52, v[40:41]
	v_lshrrev_b32_e32 v62, 3, v51
	v_sub_u32_e32 v53, 29, v63
	v_and_b32_e32 v52, 7, v52
	v_cmp_gt_u32_e32 vcc, 8, v51
	v_cndmask_b32_e32 v51, v62, v53, vcc
	v_cndmask_b32_e32 v50, v50, v52, vcc
	v_lshlrev_b32_e32 v40, 24, v40
	v_lshlrev_b32_e32 v50, 20, v50
	v_and_b32_e32 v40, 0x80000000, v40
	v_lshl_add_u32 v51, v51, 23, v45
	v_or3_b32 v40, v40, v51, v50
	v_lshrrev_b32_e32 v50, 16, v40
.LBB927_589:                            ;   in Loop: Header=BB927_213 Depth=1
	s_or_b64 exec, exec, s[16:17]
.LBB927_590:                            ;   in Loop: Header=BB927_213 Depth=1
	s_or_b64 exec, exec, s[14:15]
.LBB927_591:                            ;   in Loop: Header=BB927_213 Depth=1
	s_or_b64 exec, exec, s[12:13]
	v_cmp_lt_u32_e32 vcc, s22, v38
	v_mov_b32_e32 v51, 0
	s_and_saveexec_b64 s[12:13], vcc
	s_cbranch_execz .LBB927_212
; %bb.592:                              ;   in Loop: Header=BB927_213 Depth=1
	v_lshrrev_b32_e32 v40, 24, v38
	v_cmp_ne_u32_e32 vcc, s9, v40
	v_mov_b32_e32 v51, 0xffff8000
	s_and_saveexec_b64 s[14:15], vcc
	s_cbranch_execz .LBB927_211
; %bb.593:                              ;   in Loop: Header=BB927_213 Depth=1
	v_bfe_u32 v38, v38, 24, 7
	v_cmp_ne_u32_e32 vcc, s21, v38
	v_mov_b32_e32 v51, 0x7f80
	s_and_saveexec_b64 s[16:17], vcc
	s_cbranch_execz .LBB927_210
; %bb.594:                              ;   in Loop: Header=BB927_213 Depth=1
	v_and_b32_e32 v51, 7, v40
	v_ffbh_u32_e32 v52, v51
	v_min_u32_e32 v63, 32, v52
	v_subrev_u32_e32 v52, 28, v63
	v_lshlrev_b64 v[52:53], v52, v[40:41]
	v_lshrrev_b32_e32 v62, 3, v38
	v_sub_u32_e32 v53, 29, v63
	v_and_b32_e32 v52, 7, v52
	v_cmp_gt_u32_e32 vcc, 8, v38
	v_cndmask_b32_e32 v38, v62, v53, vcc
	v_cndmask_b32_e32 v51, v51, v52, vcc
	v_lshlrev_b32_e32 v40, 24, v40
	v_lshlrev_b32_e32 v51, 20, v51
	v_and_b32_e32 v40, 0x80000000, v40
	v_lshl_add_u32 v38, v38, 23, v45
	v_or3_b32 v38, v40, v38, v51
	v_lshrrev_b32_e32 v51, 16, v38
	s_branch .LBB927_210
.LBB927_595:
	s_barrier
	buffer_load_dword v2, off, s[0:3], 0 offset:320
	buffer_load_dword v5, off, s[0:3], 0 offset:332
	;; [unrolled: 1-line block ×4, first 2 shown]
	v_cmp_gt_u32_e32 vcc, 64, v0
	v_cmp_gt_u32_e64 s[4:5], 32, v57
	s_and_b64 s[4:5], vcc, s[4:5]
	s_waitcnt vmcnt(0)
	ds_write2st64_b64 v39, v[2:3], v[4:5] offset1:1
	s_waitcnt lgkmcnt(0)
	s_barrier
	s_and_saveexec_b64 s[6:7], s[4:5]
	s_cbranch_execz .LBB927_597
; %bb.596:
	s_mul_i32 s4, s18, s8
	s_lshl_b32 s6, s50, 7
	s_mul_hi_u32 s5, s4, s6
	s_mul_i32 s4, s4, s6
	v_lshlrev_b32_e32 v4, 6, v55
	s_lshl_b64 s[4:5], s[4:5], 1
	v_lshl_or_b32 v0, v0, 10, v4
	s_add_u32 s7, s48, s4
	v_lshlrev_b32_e32 v2, 5, v54
	v_and_b32_e32 v3, 16, v56
	v_and_b32_e32 v0, 0x1a00, v0
	s_addc_u32 s8, s49, s5
	s_lshl_b32 s4, s24, 7
	s_mov_b32 s5, 0
	v_or3_b32 v0, v0, v2, v3
	s_lshl_b64 s[4:5], s[4:5], 1
	ds_read_b128 v[2:5], v0
	s_add_u32 s7, s7, s4
	v_or_b32_e32 v0, s25, v54
	s_addc_u32 s8, s8, s5
	v_mad_u64_u32 v[6:7], s[4:5], s6, v0, 0
	v_lshlrev_b64 v[6:7], 1, v[6:7]
	v_mov_b32_e32 v0, s8
	v_add_co_u32_e32 v6, vcc, s7, v6
	v_addc_co_u32_e32 v7, vcc, v0, v7, vcc
	v_add_co_u32_e32 v0, vcc, v6, v1
	v_addc_co_u32_e32 v1, vcc, 0, v7, vcc
	s_waitcnt lgkmcnt(0)
	global_store_dwordx4 v[0:1], v[2:5], off
.LBB927_597:
	s_endpgm
	.section	.rodata,"a",@progbits
	.p2align	6, 0x0
	.amdhsa_kernel _Z39paged_attention_ll4mi_QKV_mfma16_kernelI14__hip_bfloat16hLN4vllm18Fp8KVCacheDataTypeE1ES0_Li16ELi128ELi256ELb0ELi2EL8MFMAType0EEvPKT_PKT0_S9_ifPKiSB_SB_iPKfiiiPfSE_PS4_PT2_iSD_SD_
		.amdhsa_group_segment_fixed_size 8192
		.amdhsa_private_segment_fixed_size 352
		.amdhsa_kernarg_size 400
		.amdhsa_user_sgpr_count 8
		.amdhsa_user_sgpr_private_segment_buffer 1
		.amdhsa_user_sgpr_dispatch_ptr 0
		.amdhsa_user_sgpr_queue_ptr 0
		.amdhsa_user_sgpr_kernarg_segment_ptr 1
		.amdhsa_user_sgpr_dispatch_id 0
		.amdhsa_user_sgpr_flat_scratch_init 1
		.amdhsa_user_sgpr_kernarg_preload_length 0
		.amdhsa_user_sgpr_kernarg_preload_offset 0
		.amdhsa_user_sgpr_private_segment_size 0
		.amdhsa_uses_dynamic_stack 0
		.amdhsa_system_sgpr_private_segment_wavefront_offset 1
		.amdhsa_system_sgpr_workgroup_id_x 1
		.amdhsa_system_sgpr_workgroup_id_y 1
		.amdhsa_system_sgpr_workgroup_id_z 1
		.amdhsa_system_sgpr_workgroup_info 0
		.amdhsa_system_vgpr_workitem_id 0
		.amdhsa_next_free_vgpr 80
		.amdhsa_next_free_sgpr 53
		.amdhsa_accum_offset 80
		.amdhsa_reserve_vcc 1
		.amdhsa_reserve_flat_scratch 0
		.amdhsa_float_round_mode_32 0
		.amdhsa_float_round_mode_16_64 0
		.amdhsa_float_denorm_mode_32 3
		.amdhsa_float_denorm_mode_16_64 3
		.amdhsa_dx10_clamp 1
		.amdhsa_ieee_mode 1
		.amdhsa_fp16_overflow 0
		.amdhsa_tg_split 0
		.amdhsa_exception_fp_ieee_invalid_op 0
		.amdhsa_exception_fp_denorm_src 0
		.amdhsa_exception_fp_ieee_div_zero 0
		.amdhsa_exception_fp_ieee_overflow 0
		.amdhsa_exception_fp_ieee_underflow 0
		.amdhsa_exception_fp_ieee_inexact 0
		.amdhsa_exception_int_div_zero 0
	.end_amdhsa_kernel
	.section	.text._Z39paged_attention_ll4mi_QKV_mfma16_kernelI14__hip_bfloat16hLN4vllm18Fp8KVCacheDataTypeE1ES0_Li16ELi128ELi256ELb0ELi2EL8MFMAType0EEvPKT_PKT0_S9_ifPKiSB_SB_iPKfiiiPfSE_PS4_PT2_iSD_SD_,"axG",@progbits,_Z39paged_attention_ll4mi_QKV_mfma16_kernelI14__hip_bfloat16hLN4vllm18Fp8KVCacheDataTypeE1ES0_Li16ELi128ELi256ELb0ELi2EL8MFMAType0EEvPKT_PKT0_S9_ifPKiSB_SB_iPKfiiiPfSE_PS4_PT2_iSD_SD_,comdat
.Lfunc_end927:
	.size	_Z39paged_attention_ll4mi_QKV_mfma16_kernelI14__hip_bfloat16hLN4vllm18Fp8KVCacheDataTypeE1ES0_Li16ELi128ELi256ELb0ELi2EL8MFMAType0EEvPKT_PKT0_S9_ifPKiSB_SB_iPKfiiiPfSE_PS4_PT2_iSD_SD_, .Lfunc_end927-_Z39paged_attention_ll4mi_QKV_mfma16_kernelI14__hip_bfloat16hLN4vllm18Fp8KVCacheDataTypeE1ES0_Li16ELi128ELi256ELb0ELi2EL8MFMAType0EEvPKT_PKT0_S9_ifPKiSB_SB_iPKfiiiPfSE_PS4_PT2_iSD_SD_
                                        ; -- End function
	.section	.AMDGPU.csdata,"",@progbits
; Kernel info:
; codeLenInByte = 22128
; NumSgprs: 57
; NumVgprs: 80
; NumAgprs: 0
; TotalNumVgprs: 80
; ScratchSize: 352
; MemoryBound: 0
; FloatMode: 240
; IeeeMode: 1
; LDSByteSize: 8192 bytes/workgroup (compile time only)
; SGPRBlocks: 7
; VGPRBlocks: 9
; NumSGPRsForWavesPerEU: 57
; NumVGPRsForWavesPerEU: 80
; AccumOffset: 80
; Occupancy: 6
; WaveLimiterHint : 1
; COMPUTE_PGM_RSRC2:SCRATCH_EN: 1
; COMPUTE_PGM_RSRC2:USER_SGPR: 8
; COMPUTE_PGM_RSRC2:TRAP_HANDLER: 0
; COMPUTE_PGM_RSRC2:TGID_X_EN: 1
; COMPUTE_PGM_RSRC2:TGID_Y_EN: 1
; COMPUTE_PGM_RSRC2:TGID_Z_EN: 1
; COMPUTE_PGM_RSRC2:TIDIG_COMP_CNT: 0
; COMPUTE_PGM_RSRC3_GFX90A:ACCUM_OFFSET: 19
; COMPUTE_PGM_RSRC3_GFX90A:TG_SPLIT: 0
	.section	.text._Z39paged_attention_ll4mi_QKV_mfma16_kernelI14__hip_bfloat16hLN4vllm18Fp8KVCacheDataTypeE1ES0_Li16ELi128ELi256ELb0ELi3EL8MFMAType0EEvPKT_PKT0_S9_ifPKiSB_SB_iPKfiiiPfSE_PS4_PT2_iSD_SD_,"axG",@progbits,_Z39paged_attention_ll4mi_QKV_mfma16_kernelI14__hip_bfloat16hLN4vllm18Fp8KVCacheDataTypeE1ES0_Li16ELi128ELi256ELb0ELi3EL8MFMAType0EEvPKT_PKT0_S9_ifPKiSB_SB_iPKfiiiPfSE_PS4_PT2_iSD_SD_,comdat
	.protected	_Z39paged_attention_ll4mi_QKV_mfma16_kernelI14__hip_bfloat16hLN4vllm18Fp8KVCacheDataTypeE1ES0_Li16ELi128ELi256ELb0ELi3EL8MFMAType0EEvPKT_PKT0_S9_ifPKiSB_SB_iPKfiiiPfSE_PS4_PT2_iSD_SD_ ; -- Begin function _Z39paged_attention_ll4mi_QKV_mfma16_kernelI14__hip_bfloat16hLN4vllm18Fp8KVCacheDataTypeE1ES0_Li16ELi128ELi256ELb0ELi3EL8MFMAType0EEvPKT_PKT0_S9_ifPKiSB_SB_iPKfiiiPfSE_PS4_PT2_iSD_SD_
	.globl	_Z39paged_attention_ll4mi_QKV_mfma16_kernelI14__hip_bfloat16hLN4vllm18Fp8KVCacheDataTypeE1ES0_Li16ELi128ELi256ELb0ELi3EL8MFMAType0EEvPKT_PKT0_S9_ifPKiSB_SB_iPKfiiiPfSE_PS4_PT2_iSD_SD_
	.p2align	8
	.type	_Z39paged_attention_ll4mi_QKV_mfma16_kernelI14__hip_bfloat16hLN4vllm18Fp8KVCacheDataTypeE1ES0_Li16ELi128ELi256ELb0ELi3EL8MFMAType0EEvPKT_PKT0_S9_ifPKiSB_SB_iPKfiiiPfSE_PS4_PT2_iSD_SD_,@function
_Z39paged_attention_ll4mi_QKV_mfma16_kernelI14__hip_bfloat16hLN4vllm18Fp8KVCacheDataTypeE1ES0_Li16ELi128ELi256ELb0ELi3EL8MFMAType0EEvPKT_PKT0_S9_ifPKiSB_SB_iPKfiiiPfSE_PS4_PT2_iSD_SD_: ; @_Z39paged_attention_ll4mi_QKV_mfma16_kernelI14__hip_bfloat16hLN4vllm18Fp8KVCacheDataTypeE1ES0_Li16ELi128ELi256ELb0ELi3EL8MFMAType0EEvPKT_PKT0_S9_ifPKiSB_SB_iPKfiiiPfSE_PS4_PT2_iSD_SD_
; %bb.0:
	s_load_dwordx2 s[6:7], s[4:5], 0x30
	s_add_u32 s0, s0, s11
	s_addc_u32 s1, s1, 0
	s_mov_b32 s24, s9
	s_mov_b64 s[12:13], 0
	s_waitcnt lgkmcnt(0)
	s_cmp_lg_u64 s[6:7], 0
	s_cselect_b64 s[16:17], -1, 0
	s_and_b64 vcc, exec, s[16:17]
	s_cbranch_vccz .LBB928_7
; %bb.1:
	s_add_i32 s14, s8, 1
	s_mov_b32 s15, 0
	s_lshl_b64 s[18:19], s[14:15], 2
	s_add_u32 s18, s6, s18
	s_mov_b32 s9, s15
	s_addc_u32 s19, s7, s19
	s_lshl_b64 s[14:15], s[8:9], 2
	s_add_u32 s14, s6, s14
	s_addc_u32 s15, s7, s15
	s_load_dword s11, s[18:19], 0x0
	s_load_dword s20, s[14:15], 0x0
	s_waitcnt lgkmcnt(0)
	s_sub_i32 s11, s11, s20
	s_cmp_eq_u32 s11, 1
	s_cselect_b64 s[14:15], -1, 0
	s_andn2_b64 vcc, exec, s[12:13]
	s_cbranch_vccnz .LBB928_3
.LBB928_2:
	s_mov_b32 s9, 0
	s_mov_b64 s[14:15], -1
.LBB928_3:
	s_andn2_b64 vcc, exec, s[14:15]
	s_cbranch_vccnz .LBB928_597
; %bb.4:
	s_load_dwordx2 s[12:13], s[4:5], 0x28
	s_lshl_b64 s[18:19], s[8:9], 2
	s_waitcnt lgkmcnt(0)
	s_add_u32 s12, s12, s18
	s_addc_u32 s13, s13, s19
	s_load_dword s33, s[12:13], 0x0
	s_lshl_b32 s20, s24, 8
	s_waitcnt lgkmcnt(0)
	s_cmp_ge_i32 s20, s33
	s_cbranch_scc1 .LBB928_597
; %bb.5:
	s_add_i32 s14, s33, 15
	s_load_dwordx2 s[12:13], s[4:5], 0x20
	s_load_dword s11, s[4:5], 0x38
	s_ashr_i32 s15, s14, 31
	v_and_b32_e32 v1, 0xcf, v0
	s_lshr_b32 s15, s15, 28
	v_add_u32_e32 v1, s20, v1
	s_add_i32 s14, s14, s15
	v_ashrrev_i32_e32 v2, 31, v1
	s_ashr_i32 s22, s14, 4
	v_lshrrev_b32_e32 v8, 28, v2
	s_add_i32 s22, s22, -1
	v_add_u32_e32 v2, v1, v8
	s_waitcnt lgkmcnt(0)
	s_mul_i32 s14, s8, s11
	s_mov_b32 s15, 0
	v_ashrrev_i32_e32 v2, 4, v2
	v_mov_b32_e32 v9, s22
	v_cmp_gt_i32_e32 vcc, s33, v1
	s_lshl_b64 s[14:15], s[14:15], 2
	v_cndmask_b32_e32 v2, v9, v2, vcc
	s_add_u32 s11, s12, s14
	v_ashrrev_i32_e32 v3, 31, v2
	s_addc_u32 s21, s13, s15
	v_lshlrev_b64 v[2:3], 2, v[2:3]
	v_mov_b32_e32 v5, s21
	v_add_co_u32_e32 v4, vcc, s11, v2
	v_or_b32_e32 v2, 16, v1
	v_addc_co_u32_e32 v5, vcc, v5, v3, vcc
	v_add_u32_e32 v3, v2, v8
	v_ashrrev_i32_e32 v3, 4, v3
	v_cmp_gt_i32_e32 vcc, s33, v2
	v_cndmask_b32_e32 v2, v9, v3, vcc
	v_ashrrev_i32_e32 v3, 31, v2
	v_lshlrev_b64 v[2:3], 2, v[2:3]
	v_mov_b32_e32 v7, s21
	v_add_co_u32_e32 v6, vcc, s11, v2
	v_or_b32_e32 v2, 32, v1
	v_addc_co_u32_e32 v7, vcc, v7, v3, vcc
	v_add_u32_e32 v3, v2, v8
	v_ashrrev_i32_e32 v3, 4, v3
	v_cmp_gt_i32_e32 vcc, s33, v2
	v_cndmask_b32_e32 v2, v9, v3, vcc
	v_ashrrev_i32_e32 v3, 31, v2
	;; [unrolled: 10-line block ×3, first 2 shown]
	v_lshlrev_b64 v[2:3], 2, v[2:3]
	v_mov_b32_e32 v1, s21
	v_add_co_u32_e32 v12, vcc, s11, v2
	v_addc_co_u32_e32 v13, vcc, v1, v3, vcc
	global_load_dword v2, v[4:5], off
	global_load_dword v9, v[6:7], off
	;; [unrolled: 1-line block ×4, first 2 shown]
	s_load_dwordx4 s[12:15], s[4:5], 0x8
	s_andn2_b64 vcc, exec, s[16:17]
	s_cbranch_vccnz .LBB928_8
; %bb.6:
	s_add_u32 s6, s6, s18
	s_addc_u32 s7, s7, s19
	s_load_dword s16, s[6:7], 0x0
	s_branch .LBB928_9
.LBB928_7:
	s_mov_b64 s[14:15], 0
	s_branch .LBB928_2
.LBB928_8:
	s_mov_b32 s16, s8
.LBB928_9:
	s_load_dwordx2 s[48:49], s[4:5], 0x68
	s_load_dwordx8 s[40:47], s[4:5], 0x48
	v_lshrrev_b32_e32 v61, 6, v0
	v_bfe_u32 v55, v0, 4, 2
	v_and_b32_e32 v56, 15, v0
	s_mul_i32 s25, s10, 3
	v_lshl_or_b32 v3, v61, 2, v55
	v_lshlrev_b32_e32 v1, 3, v56
	v_add_u32_e32 v54, s25, v55
	v_cmp_gt_u32_e32 vcc, 3, v3
	v_lshlrev_b32_e32 v1, 1, v1
	v_lshlrev_b32_e32 v57, 4, v0
	s_and_saveexec_b64 s[6:7], vcc
	s_cbranch_execz .LBB928_11
; %bb.10:
	s_load_dwordx2 s[18:19], s[4:5], 0x0
	s_waitcnt lgkmcnt(0)
	s_ashr_i32 s17, s40, 31
	s_mul_hi_u32 s23, s16, s40
	s_mul_i32 s17, s16, s17
	s_add_i32 s17, s23, s17
	s_mul_i32 s16, s16, s40
	s_lshl_b64 s[16:17], s[16:17], 1
	v_lshlrev_b32_e32 v4, 7, v54
	s_add_u32 s16, s18, s16
	v_ashrrev_i32_e32 v5, 31, v4
	s_addc_u32 s17, s19, s17
	v_lshlrev_b64 v[4:5], 1, v[4:5]
	v_mov_b32_e32 v6, s17
	v_add_co_u32_e32 v4, vcc, s16, v4
	v_addc_co_u32_e32 v5, vcc, v6, v5, vcc
	v_add_co_u32_e32 v4, vcc, v4, v1
	v_addc_co_u32_e32 v5, vcc, 0, v5, vcc
	global_load_dwordx4 v[4:7], v[4:5], off
	v_lshlrev_b32_e32 v11, 8, v0
	v_lshlrev_b32_e32 v10, 8, v56
	v_and_b32_e32 v11, 0x600, v11
	s_movk_i32 s16, 0x800
	v_and_or_b32 v10, v10, s16, v11
	v_lshlrev_b32_e32 v3, 5, v3
	v_and_b32_e32 v11, 16, v57
	v_or3_b32 v3, v10, v3, v11
	s_waitcnt vmcnt(0)
	ds_write_b128 v3, v[4:7]
.LBB928_11:
	s_or_b64 exec, exec, s[6:7]
	s_waitcnt lgkmcnt(0)
	s_mul_i32 s10, s10, s42
	s_add_u32 s6, s12, s10
	s_addc_u32 s7, s13, 0
	v_and_b32_e32 v3, 0xf0, v57
	v_mov_b32_e32 v4, s7
	v_add_co_u32_e32 v18, vcc, s6, v3
	v_and_b32_e32 v10, 48, v0
	v_addc_co_u32_e32 v19, vcc, 0, v4, vcc
	v_lshlrev_b32_e32 v21, 4, v10
	s_waitcnt vmcnt(3)
	v_mad_i64_i32 v[2:3], s[6:7], v2, s41, v[18:19]
	v_add_co_u32_e32 v6, vcc, v2, v21
	v_addc_co_u32_e32 v7, vcc, 0, v3, vcc
	v_or_b32_e32 v16, s20, v10
	v_ashrrev_i32_e32 v10, 4, v16
	v_mov_b32_e32 v17, s22
	v_cmp_gt_i32_e32 vcc, s33, v16
	v_cndmask_b32_e32 v10, v17, v10, vcc
	v_ashrrev_i32_e32 v11, 31, v10
	v_lshlrev_b64 v[10:11], 2, v[10:11]
	v_mov_b32_e32 v12, s21
	v_add_co_u32_e32 v10, vcc, s11, v10
	v_addc_co_u32_e32 v11, vcc, v12, v11, vcc
	v_or_b32_e32 v12, 64, v16
	v_ashrrev_i32_e32 v13, 4, v12
	v_cmp_gt_i32_e32 vcc, s33, v12
	v_cndmask_b32_e32 v12, v17, v13, vcc
	v_ashrrev_i32_e32 v13, 31, v12
	v_lshlrev_b64 v[12:13], 2, v[12:13]
	v_mov_b32_e32 v14, s21
	v_add_co_u32_e32 v12, vcc, s11, v12
	v_addc_co_u32_e32 v13, vcc, v14, v13, vcc
	v_or_b32_e32 v14, 0x80, v16
	v_ashrrev_i32_e32 v15, 4, v14
	v_cmp_gt_i32_e32 vcc, s33, v14
	v_cndmask_b32_e32 v14, v17, v15, vcc
	v_ashrrev_i32_e32 v15, 31, v14
	v_lshlrev_b64 v[14:15], 2, v[14:15]
	v_mov_b32_e32 v22, s21
	v_add_co_u32_e32 v14, vcc, s11, v14
	s_load_dwordx2 s[50:51], s[4:5], 0x94
	s_waitcnt lgkmcnt(0)
	s_barrier
	global_load_dwordx4 v[2:5], v[6:7], off
	v_addc_co_u32_e32 v15, vcc, v22, v15, vcc
	global_load_dword v50, v[10:11], off
	global_load_dword v58, v[12:13], off
	;; [unrolled: 1-line block ×3, first 2 shown]
	v_or_b32_e32 v10, 0xc0, v16
	v_ashrrev_i32_e32 v11, 4, v10
	v_cmp_gt_i32_e32 vcc, s33, v10
	v_cndmask_b32_e32 v10, v17, v11, vcc
	v_ashrrev_i32_e32 v11, 31, v10
	v_lshlrev_b64 v[10:11], 2, v[10:11]
	v_mov_b32_e32 v12, s21
	v_add_co_u32_e32 v10, vcc, s11, v10
	v_addc_co_u32_e32 v11, vcc, v12, v11, vcc
	global_load_dword v63, v[10:11], off
	global_load_dwordx4 v[14:17], v[6:7], off offset:1024
	s_waitcnt vmcnt(8)
	v_mad_i64_i32 v[6:7], s[6:7], v9, s41, v[18:19]
	v_add_co_u32_e32 v6, vcc, v6, v21
	v_addc_co_u32_e32 v7, vcc, 0, v7, vcc
	global_load_dwordx4 v[46:49], v[6:7], off
	global_load_dwordx4 v[10:13], v[6:7], off offset:1024
	s_waitcnt vmcnt(9)
	v_mad_i64_i32 v[6:7], s[6:7], v8, s41, v[18:19]
	v_add_co_u32_e32 v22, vcc, v6, v21
	v_addc_co_u32_e32 v23, vcc, 0, v7, vcc
	global_load_dwordx4 v[6:9], v[22:23], off
	s_add_u32 s10, s14, s10
	v_lshl_or_b32 v62, v61, 4, v56
	s_addc_u32 s11, s15, 0
	v_lshlrev_b32_e32 v51, 4, v62
	s_mov_b32 s12, 0
	s_waitcnt vmcnt(8)
	buffer_store_dword v5, off, s[0:3], 0 offset:12
	buffer_store_dword v4, off, s[0:3], 0 offset:8
	v_mad_i64_i32 v[4:5], s[6:7], v20, s41, v[18:19]
	v_add_co_u32_e32 v4, vcc, v4, v21
	v_addc_co_u32_e32 v5, vcc, 0, v5, vcc
	global_load_dwordx4 v[22:25], v[22:23], off offset:1024
	s_nop 0
	global_load_dwordx4 v[26:29], v[4:5], off
	global_load_dwordx4 v[18:21], v[4:5], off offset:1024
	v_mov_b32_e32 v5, s11
	v_add_co_u32_e32 v4, vcc, s10, v51
	v_addc_co_u32_e32 v5, vcc, 0, v5, vcc
	s_waitcnt vmcnt(12)
	v_mad_i64_i32 v[30:31], s[6:7], v50, s41, v[4:5]
	s_waitcnt vmcnt(11)
	v_mad_i64_i32 v[32:33], s[6:7], v58, s41, v[4:5]
	;; [unrolled: 2-line block ×3, first 2 shown]
	global_load_dwordx4 v[34:37], v[30:31], off
	s_nop 0
	global_load_dwordx4 v[30:33], v[32:33], off
	s_waitcnt vmcnt(11)
	v_mad_i64_i32 v[4:5], s[6:7], v63, s41, v[4:5]
	global_load_dwordx4 v[42:45], v[38:39], off
	s_nop 0
	global_load_dwordx4 v[38:41], v[4:5], off
	v_or_b32_e32 v4, 0x400, v51
	v_mov_b32_e32 v5, s11
	v_add_co_u32_e32 v4, vcc, s10, v4
	v_addc_co_u32_e32 v5, vcc, 0, v5, vcc
	v_mad_i64_i32 v[50:51], s[6:7], v50, s41, v[4:5]
	buffer_store_dword v3, off, s[0:3], 0 offset:4
	buffer_store_dword v2, off, s[0:3], 0
	v_mad_i64_i32 v[2:3], s[6:7], v60, s41, v[4:5]
	global_load_dwordx4 v[50:53], v[50:51], off
	v_mad_i64_i32 v[58:59], s[6:7], v58, s41, v[4:5]
	global_load_dwordx4 v[68:71], v[2:3], off
	;; [unrolled: 2-line block ×3, first 2 shown]
	global_load_dwordx4 v[72:75], v[2:3], off
	v_mov_b32_e32 v2, 0x80
	s_waitcnt vmcnt(18)
	buffer_store_dword v17, off, s[0:3], 0 offset:28
	buffer_store_dword v16, off, s[0:3], 0 offset:24
	;; [unrolled: 1-line block ×4, first 2 shown]
	s_waitcnt vmcnt(21)
	buffer_store_dword v49, off, s[0:3], 0 offset:44
	buffer_store_dword v48, off, s[0:3], 0 offset:40
	;; [unrolled: 1-line block ×4, first 2 shown]
	v_add_u32_e32 v47, 16, v2
	v_add_u32_e32 v46, 32, v2
	;; [unrolled: 1-line block ×7, first 2 shown]
	v_mul_lo_u16_e32 v2, 0x56, v56
	v_mov_b32_e32 v3, 3
	s_load_dword s6, s[4:5], 0x1c
	s_load_dwordx4 s[40:43], s[4:5], 0x80
	v_mul_lo_u16_sdwa v2, v2, v3 dst_sel:DWORD dst_unused:UNUSED_PAD src0_sel:BYTE_1 src1_sel:DWORD
	v_sub_u16_e32 v2, v56, v2
	v_mov_b32_e32 v3, 5
	v_lshlrev_b32_sdwa v2, v3, v2 dst_sel:DWORD dst_unused:UNUSED_PAD src0_sel:DWORD src1_sel:BYTE_0
	s_waitcnt vmcnt(24)
	buffer_store_dword v13, off, s[0:3], 0 offset:60
	buffer_store_dword v12, off, s[0:3], 0 offset:56
	;; [unrolled: 1-line block ×4, first 2 shown]
	s_waitcnt vmcnt(27)
	buffer_store_dword v9, off, s[0:3], 0 offset:76
	buffer_store_dword v8, off, s[0:3], 0 offset:72
	;; [unrolled: 1-line block ×4, first 2 shown]
	v_lshl_add_u32 v14, v55, 9, v2
	ds_read_b128 v[2:5], v14
	ds_read_b128 v[6:9], v14 offset:16
	ds_read_b128 v[10:13], v14 offset:2048
	;; [unrolled: 1-line block ×3, first 2 shown]
	s_waitcnt vmcnt(28)
	buffer_store_dword v25, off, s[0:3], 0 offset:92
	buffer_store_dword v24, off, s[0:3], 0 offset:88
	buffer_store_dword v23, off, s[0:3], 0 offset:84
	buffer_store_dword v22, off, s[0:3], 0 offset:80
	s_waitcnt vmcnt(31)
	buffer_store_dword v29, off, s[0:3], 0 offset:108
	buffer_store_dword v28, off, s[0:3], 0 offset:104
	buffer_store_dword v27, off, s[0:3], 0 offset:100
	buffer_store_dword v26, off, s[0:3], 0 offset:96
	;; [unrolled: 5-line block ×9, first 2 shown]
	buffer_store_dword v71, off, s[0:3], 0 offset:220
	buffer_store_dword v70, off, s[0:3], 0 offset:216
	;; [unrolled: 1-line block ×4, first 2 shown]
	s_waitcnt vmcnt(56)
	buffer_store_dword v75, off, s[0:3], 0 offset:252
	s_waitcnt lgkmcnt(0)
	s_load_dword s4, s[40:41], 0x0
	v_mov_b32_e32 v18, s6
	v_and_b32_e32 v63, 63, v0
	s_movk_i32 s13, 0x80
	v_mov_b32_e32 v27, 0
	s_waitcnt lgkmcnt(0)
	v_mul_f32_e32 v22, s4, v18
	v_mov_b32_e32 v24, v22
	v_mov_b32_e32 v25, v22
	s_movk_i32 s14, 0x7f
	s_mov_b32 s15, 0xffffff
	s_mov_b32 s16, 0x5040100
	v_mov_b32_e32 v29, 0x100
	v_mov_b32_e32 v31, 0
	v_bfrev_b32_e32 v33, 60
	buffer_store_dword v74, off, s[0:3], 0 offset:248
	buffer_store_dword v73, off, s[0:3], 0 offset:244
	;; [unrolled: 1-line block ×3, first 2 shown]
	s_branch .LBB928_15
.LBB928_12:                             ;   in Loop: Header=BB928_15 Depth=1
	s_or_b64 exec, exec, s[10:11]
.LBB928_13:                             ;   in Loop: Header=BB928_15 Depth=1
	s_or_b64 exec, exec, s[6:7]
.LBB928_14:                             ;   in Loop: Header=BB928_15 Depth=1
	s_or_b64 exec, exec, s[4:5]
	v_perm_b32 v41, v36, v32, s16
	v_perm_b32 v40, v23, v34, s16
	;; [unrolled: 1-line block ×4, first 2 shown]
	v_add_u32_e32 v26, s12, v29
	v_mfma_f32_16x16x16bf16_1k v[18:21], v[40:41], v[14:15], v[18:21]
	s_add_i32 s12, s12, 16
	v_mov_b32_e32 v23, v22
	s_cmp_eq_u32 s12, 64
	v_add_u32_e32 v27, 32, v27
	v_mfma_f32_16x16x16bf16_1k v[18:21], v[36:37], v[16:17], v[18:21]
	s_nop 7
	s_nop 2
	v_pk_mul_f32 v[18:19], v[24:25], v[18:19]
	v_pk_mul_f32 v[20:21], v[22:23], v[20:21]
	buffer_store_dword v19, v26, s[0:3], 0 offen offset:4
	buffer_store_dword v18, v26, s[0:3], 0 offen
	buffer_store_dword v21, v26, s[0:3], 0 offen offset:12
	buffer_store_dword v20, v26, s[0:3], 0 offen offset:8
	s_cbranch_scc1 .LBB928_205
.LBB928_15:                             ; =>This Inner Loop Header: Depth=1
	buffer_load_dword v20, v27, s[0:3], 0 offen
	buffer_load_dword v18, v27, s[0:3], 0 offen offset:4
	buffer_load_dword v28, v27, s[0:3], 0 offen offset:8
	;; [unrolled: 1-line block ×3, first 2 shown]
	v_mov_b32_e32 v19, 0
	s_waitcnt vmcnt(3)
	v_cmp_ne_u16_sdwa s[6:7], v20, v31 src0_sel:BYTE_0 src1_sel:DWORD
	s_and_saveexec_b64 s[4:5], s[6:7]
	s_cbranch_execz .LBB928_21
; %bb.16:                               ;   in Loop: Header=BB928_15 Depth=1
	v_cmp_ne_u16_sdwa s[10:11], v20, s13 src0_sel:BYTE_0 src1_sel:DWORD
	v_mov_b32_e32 v19, 0xffff8000
	s_and_saveexec_b64 s[6:7], s[10:11]
	s_cbranch_execz .LBB928_20
; %bb.17:                               ;   in Loop: Header=BB928_15 Depth=1
	v_and_b32_e32 v21, 0x7f, v20
	v_cmp_ne_u32_e32 vcc, s14, v21
	v_mov_b32_e32 v19, 0x7f80
	s_and_saveexec_b64 s[10:11], vcc
	s_cbranch_execz .LBB928_19
; %bb.18:                               ;   in Loop: Header=BB928_15 Depth=1
	v_and_b32_e32 v19, 7, v20
	v_ffbh_u32_e32 v30, v19
	v_min_u32_e32 v30, 32, v30
	v_subrev_u32_e32 v32, 28, v30
	v_lshlrev_b64 v[34:35], v32, v[20:21]
	v_lshrrev_b32_e32 v23, 3, v21
	v_sub_u32_e32 v30, 29, v30
	v_and_b32_e32 v32, 7, v34
	v_cmp_gt_u32_e32 vcc, 8, v21
	v_cndmask_b32_e32 v21, v23, v30, vcc
	v_cndmask_b32_e32 v19, v19, v32, vcc
	v_lshlrev_b32_e32 v23, 24, v20
	v_lshlrev_b32_e32 v19, 20, v19
	v_and_b32_e32 v23, 0x80000000, v23
	v_lshl_add_u32 v21, v21, 23, v33
	v_or3_b32 v19, v23, v21, v19
	v_lshrrev_b32_e32 v19, 16, v19
.LBB928_19:                             ;   in Loop: Header=BB928_15 Depth=1
	s_or_b64 exec, exec, s[10:11]
.LBB928_20:                             ;   in Loop: Header=BB928_15 Depth=1
	s_or_b64 exec, exec, s[6:7]
.LBB928_21:                             ;   in Loop: Header=BB928_15 Depth=1
	s_or_b64 exec, exec, s[4:5]
	v_lshrrev_b16_e32 v30, 8, v20
	v_cmp_ne_u16_e32 vcc, 0, v30
	v_mov_b32_e32 v23, 0
	v_mov_b32_e32 v21, 0
	s_and_saveexec_b64 s[4:5], vcc
	s_cbranch_execz .LBB928_27
; %bb.22:                               ;   in Loop: Header=BB928_15 Depth=1
	v_cmp_ne_u16_e32 vcc, s13, v30
	v_mov_b32_e32 v21, 0xffff8000
	s_and_saveexec_b64 s[6:7], vcc
	s_cbranch_execz .LBB928_26
; %bb.23:                               ;   in Loop: Header=BB928_15 Depth=1
	v_and_b32_e32 v32, 0x7f, v30
	v_cmp_ne_u32_e32 vcc, s14, v32
	v_mov_b32_e32 v21, 0x7f80
	s_and_saveexec_b64 s[10:11], vcc
	s_cbranch_execz .LBB928_25
; %bb.24:                               ;   in Loop: Header=BB928_15 Depth=1
	v_and_b32_e32 v21, 7, v30
	v_ffbh_u32_e32 v34, v21
	v_min_u32_e32 v37, 32, v34
	v_subrev_u32_e32 v34, 28, v37
	v_lshlrev_b64 v[34:35], v34, v[30:31]
	v_lshrrev_b32_e32 v36, 3, v32
	v_sub_u32_e32 v30, 29, v37
	v_and_b32_e32 v34, 7, v34
	v_cmp_gt_u32_e32 vcc, 8, v32
	v_cndmask_b32_e32 v30, v36, v30, vcc
	v_cndmask_b32_e32 v21, v21, v34, vcc
	v_lshlrev_b32_e32 v32, 16, v20
	v_lshlrev_b32_e32 v21, 20, v21
	v_and_b32_e32 v32, 0x80000000, v32
	v_lshl_add_u32 v30, v30, 23, v33
	v_or3_b32 v21, v32, v30, v21
	v_lshrrev_b32_e32 v21, 16, v21
.LBB928_25:                             ;   in Loop: Header=BB928_15 Depth=1
	s_or_b64 exec, exec, s[10:11]
.LBB928_26:                             ;   in Loop: Header=BB928_15 Depth=1
	s_or_b64 exec, exec, s[6:7]
.LBB928_27:                             ;   in Loop: Header=BB928_15 Depth=1
	s_or_b64 exec, exec, s[4:5]
	v_lshrrev_b32_e32 v30, 16, v20
	v_cmp_ne_u16_sdwa s[6:7], v30, v31 src0_sel:BYTE_0 src1_sel:DWORD
	s_and_saveexec_b64 s[4:5], s[6:7]
	s_cbranch_execz .LBB928_33
; %bb.28:                               ;   in Loop: Header=BB928_15 Depth=1
	v_cmp_ne_u16_sdwa s[10:11], v30, s13 src0_sel:BYTE_0 src1_sel:DWORD
	v_mov_b32_e32 v23, 0xffff8000
	s_and_saveexec_b64 s[6:7], s[10:11]
	s_cbranch_execz .LBB928_32
; %bb.29:                               ;   in Loop: Header=BB928_15 Depth=1
	v_bfe_u32 v32, v20, 16, 7
	v_cmp_ne_u32_e32 vcc, s14, v32
	v_mov_b32_e32 v23, 0x7f80
	s_and_saveexec_b64 s[10:11], vcc
	s_cbranch_execz .LBB928_31
; %bb.30:                               ;   in Loop: Header=BB928_15 Depth=1
	v_and_b32_e32 v23, 7, v30
	v_ffbh_u32_e32 v34, v23
	v_min_u32_e32 v37, 32, v34
	v_subrev_u32_e32 v34, 28, v37
	v_lshlrev_b64 v[34:35], v34, v[30:31]
	v_lshrrev_b32_e32 v36, 3, v32
	v_sub_u32_e32 v35, 29, v37
	v_and_b32_e32 v34, 7, v34
	v_cmp_gt_u32_e32 vcc, 8, v32
	v_cndmask_b32_e32 v32, v36, v35, vcc
	v_cndmask_b32_e32 v23, v23, v34, vcc
	v_lshlrev_b32_e32 v30, 24, v30
	v_lshlrev_b32_e32 v23, 20, v23
	v_and_b32_e32 v30, 0x80000000, v30
	v_lshl_add_u32 v32, v32, 23, v33
	v_or3_b32 v23, v30, v32, v23
	v_lshrrev_b32_e32 v23, 16, v23
.LBB928_31:                             ;   in Loop: Header=BB928_15 Depth=1
	s_or_b64 exec, exec, s[10:11]
.LBB928_32:                             ;   in Loop: Header=BB928_15 Depth=1
	s_or_b64 exec, exec, s[6:7]
.LBB928_33:                             ;   in Loop: Header=BB928_15 Depth=1
	s_or_b64 exec, exec, s[4:5]
	v_cmp_lt_u32_e32 vcc, s15, v20
	v_mov_b32_e32 v34, 0
	v_mov_b32_e32 v35, 0
	s_and_saveexec_b64 s[4:5], vcc
	s_cbranch_execz .LBB928_39
; %bb.34:                               ;   in Loop: Header=BB928_15 Depth=1
	v_lshrrev_b32_e32 v30, 24, v20
	v_cmp_ne_u32_e32 vcc, s13, v30
	v_mov_b32_e32 v35, 0xffff8000
	s_and_saveexec_b64 s[6:7], vcc
	s_cbranch_execz .LBB928_38
; %bb.35:                               ;   in Loop: Header=BB928_15 Depth=1
	v_bfe_u32 v20, v20, 24, 7
	v_cmp_ne_u32_e32 vcc, s14, v20
	v_mov_b32_e32 v35, 0x7f80
	s_and_saveexec_b64 s[10:11], vcc
	s_cbranch_execz .LBB928_37
; %bb.36:                               ;   in Loop: Header=BB928_15 Depth=1
	v_and_b32_e32 v32, 7, v30
	v_ffbh_u32_e32 v36, v32
	v_min_u32_e32 v38, 32, v36
	v_subrev_u32_e32 v36, 28, v38
	v_lshlrev_b64 v[36:37], v36, v[30:31]
	v_lshrrev_b32_e32 v35, 3, v20
	v_sub_u32_e32 v37, 29, v38
	v_and_b32_e32 v36, 7, v36
	v_cmp_gt_u32_e32 vcc, 8, v20
	v_cndmask_b32_e32 v20, v35, v37, vcc
	v_cndmask_b32_e32 v32, v32, v36, vcc
	v_lshlrev_b32_e32 v30, 24, v30
	v_lshlrev_b32_e32 v32, 20, v32
	v_and_b32_e32 v30, 0x80000000, v30
	v_lshl_add_u32 v20, v20, 23, v33
	v_or3_b32 v20, v30, v20, v32
	v_lshrrev_b32_e32 v35, 16, v20
.LBB928_37:                             ;   in Loop: Header=BB928_15 Depth=1
	s_or_b64 exec, exec, s[10:11]
.LBB928_38:                             ;   in Loop: Header=BB928_15 Depth=1
	s_or_b64 exec, exec, s[6:7]
.LBB928_39:                             ;   in Loop: Header=BB928_15 Depth=1
	s_or_b64 exec, exec, s[4:5]
	s_waitcnt vmcnt(2)
	v_cmp_ne_u16_sdwa s[6:7], v18, v31 src0_sel:BYTE_0 src1_sel:DWORD
	s_and_saveexec_b64 s[4:5], s[6:7]
	s_cbranch_execz .LBB928_45
; %bb.40:                               ;   in Loop: Header=BB928_15 Depth=1
	v_cmp_ne_u16_sdwa s[10:11], v18, s13 src0_sel:BYTE_0 src1_sel:DWORD
	v_mov_b32_e32 v34, 0xffff8000
	s_and_saveexec_b64 s[6:7], s[10:11]
	s_cbranch_execz .LBB928_44
; %bb.41:                               ;   in Loop: Header=BB928_15 Depth=1
	v_and_b32_e32 v20, 0x7f, v18
	v_cmp_ne_u32_e32 vcc, s14, v20
	v_mov_b32_e32 v34, 0x7f80
	s_and_saveexec_b64 s[10:11], vcc
	s_cbranch_execz .LBB928_43
; %bb.42:                               ;   in Loop: Header=BB928_15 Depth=1
	v_and_b32_e32 v30, 7, v18
	v_ffbh_u32_e32 v34, v30
	v_min_u32_e32 v34, 32, v34
	v_subrev_u32_e32 v36, 28, v34
	v_lshlrev_b64 v[36:37], v36, v[18:19]
	v_lshrrev_b32_e32 v32, 3, v20
	v_sub_u32_e32 v34, 29, v34
	v_and_b32_e32 v36, 7, v36
	v_cmp_gt_u32_e32 vcc, 8, v20
	v_cndmask_b32_e32 v20, v32, v34, vcc
	v_cndmask_b32_e32 v30, v30, v36, vcc
	v_lshlrev_b32_e32 v32, 24, v18
	v_lshlrev_b32_e32 v30, 20, v30
	v_and_b32_e32 v32, 0x80000000, v32
	v_lshl_add_u32 v20, v20, 23, v33
	v_or3_b32 v20, v32, v20, v30
	v_lshrrev_b32_e32 v34, 16, v20
.LBB928_43:                             ;   in Loop: Header=BB928_15 Depth=1
	s_or_b64 exec, exec, s[10:11]
.LBB928_44:                             ;   in Loop: Header=BB928_15 Depth=1
	s_or_b64 exec, exec, s[6:7]
.LBB928_45:                             ;   in Loop: Header=BB928_15 Depth=1
	s_or_b64 exec, exec, s[4:5]
	v_lshrrev_b16_e32 v20, 8, v18
	v_cmp_ne_u16_e32 vcc, 0, v20
	v_mov_b32_e32 v36, 0
	v_mov_b32_e32 v30, 0
	s_and_saveexec_b64 s[4:5], vcc
	s_cbranch_execz .LBB928_51
; %bb.46:                               ;   in Loop: Header=BB928_15 Depth=1
	v_cmp_ne_u16_e32 vcc, s13, v20
	v_mov_b32_e32 v30, 0xffff8000
	s_and_saveexec_b64 s[6:7], vcc
	s_cbranch_execz .LBB928_50
; %bb.47:                               ;   in Loop: Header=BB928_15 Depth=1
	v_and_b32_e32 v32, 0x7f, v20
	v_cmp_ne_u32_e32 vcc, s14, v32
	v_mov_b32_e32 v30, 0x7f80
	s_and_saveexec_b64 s[10:11], vcc
	s_cbranch_execz .LBB928_49
; %bb.48:                               ;   in Loop: Header=BB928_15 Depth=1
	v_and_b32_e32 v30, 7, v20
	v_ffbh_u32_e32 v38, v30
	v_min_u32_e32 v40, 32, v38
	v_subrev_u32_e32 v38, 28, v40
	v_lshlrev_b64 v[38:39], v38, v[20:21]
	v_lshrrev_b32_e32 v37, 3, v32
	v_sub_u32_e32 v20, 29, v40
	v_and_b32_e32 v38, 7, v38
	v_cmp_gt_u32_e32 vcc, 8, v32
	v_cndmask_b32_e32 v20, v37, v20, vcc
	v_cndmask_b32_e32 v30, v30, v38, vcc
	v_lshlrev_b32_e32 v32, 16, v18
	v_lshlrev_b32_e32 v30, 20, v30
	v_and_b32_e32 v32, 0x80000000, v32
	v_lshl_add_u32 v20, v20, 23, v33
	v_or3_b32 v20, v32, v20, v30
	v_lshrrev_b32_e32 v30, 16, v20
.LBB928_49:                             ;   in Loop: Header=BB928_15 Depth=1
	s_or_b64 exec, exec, s[10:11]
.LBB928_50:                             ;   in Loop: Header=BB928_15 Depth=1
	s_or_b64 exec, exec, s[6:7]
.LBB928_51:                             ;   in Loop: Header=BB928_15 Depth=1
	s_or_b64 exec, exec, s[4:5]
	v_lshrrev_b32_e32 v20, 16, v18
	v_cmp_ne_u16_sdwa s[6:7], v20, v31 src0_sel:BYTE_0 src1_sel:DWORD
	s_and_saveexec_b64 s[4:5], s[6:7]
	s_cbranch_execz .LBB928_57
; %bb.52:                               ;   in Loop: Header=BB928_15 Depth=1
	v_cmp_ne_u16_sdwa s[10:11], v20, s13 src0_sel:BYTE_0 src1_sel:DWORD
	v_mov_b32_e32 v36, 0xffff8000
	s_and_saveexec_b64 s[6:7], s[10:11]
	s_cbranch_execz .LBB928_56
; %bb.53:                               ;   in Loop: Header=BB928_15 Depth=1
	v_bfe_u32 v32, v18, 16, 7
	v_cmp_ne_u32_e32 vcc, s14, v32
	v_mov_b32_e32 v36, 0x7f80
	s_and_saveexec_b64 s[10:11], vcc
	s_cbranch_execz .LBB928_55
; %bb.54:                               ;   in Loop: Header=BB928_15 Depth=1
	v_and_b32_e32 v38, 7, v20
	v_ffbh_u32_e32 v36, v38
	v_min_u32_e32 v40, 32, v36
	v_subrev_u32_e32 v36, 28, v40
	v_lshlrev_b64 v[36:37], v36, v[20:21]
	v_lshrrev_b32_e32 v39, 3, v32
	v_sub_u32_e32 v37, 29, v40
	v_and_b32_e32 v36, 7, v36
	v_cmp_gt_u32_e32 vcc, 8, v32
	v_cndmask_b32_e32 v32, v39, v37, vcc
	v_cndmask_b32_e32 v36, v38, v36, vcc
	v_lshlrev_b32_e32 v20, 24, v20
	v_lshlrev_b32_e32 v36, 20, v36
	v_and_b32_e32 v20, 0x80000000, v20
	v_lshl_add_u32 v32, v32, 23, v33
	v_or3_b32 v20, v20, v32, v36
	v_lshrrev_b32_e32 v36, 16, v20
.LBB928_55:                             ;   in Loop: Header=BB928_15 Depth=1
	s_or_b64 exec, exec, s[10:11]
.LBB928_56:                             ;   in Loop: Header=BB928_15 Depth=1
	s_or_b64 exec, exec, s[6:7]
.LBB928_57:                             ;   in Loop: Header=BB928_15 Depth=1
	s_or_b64 exec, exec, s[4:5]
	v_cmp_lt_u32_e32 vcc, s15, v18
	v_mov_b32_e32 v32, 0
	v_mov_b32_e32 v37, 0
	s_and_saveexec_b64 s[4:5], vcc
	s_cbranch_execz .LBB928_63
; %bb.58:                               ;   in Loop: Header=BB928_15 Depth=1
	v_lshrrev_b32_e32 v20, 24, v18
	v_cmp_ne_u32_e32 vcc, s13, v20
	v_mov_b32_e32 v37, 0xffff8000
	s_and_saveexec_b64 s[6:7], vcc
	s_cbranch_execz .LBB928_62
; %bb.59:                               ;   in Loop: Header=BB928_15 Depth=1
	v_bfe_u32 v18, v18, 24, 7
	v_cmp_ne_u32_e32 vcc, s14, v18
	v_mov_b32_e32 v37, 0x7f80
	s_and_saveexec_b64 s[10:11], vcc
	s_cbranch_execz .LBB928_61
; %bb.60:                               ;   in Loop: Header=BB928_15 Depth=1
	v_and_b32_e32 v37, 7, v20
	v_ffbh_u32_e32 v38, v37
	v_min_u32_e32 v41, 32, v38
	v_subrev_u32_e32 v38, 28, v41
	v_lshlrev_b64 v[38:39], v38, v[20:21]
	v_lshrrev_b32_e32 v40, 3, v18
	v_sub_u32_e32 v39, 29, v41
	v_and_b32_e32 v38, 7, v38
	v_cmp_gt_u32_e32 vcc, 8, v18
	v_cndmask_b32_e32 v18, v40, v39, vcc
	v_cndmask_b32_e32 v37, v37, v38, vcc
	v_lshlrev_b32_e32 v20, 24, v20
	v_lshlrev_b32_e32 v37, 20, v37
	v_and_b32_e32 v20, 0x80000000, v20
	v_lshl_add_u32 v18, v18, 23, v33
	v_or3_b32 v18, v20, v18, v37
	v_lshrrev_b32_e32 v37, 16, v18
.LBB928_61:                             ;   in Loop: Header=BB928_15 Depth=1
	s_or_b64 exec, exec, s[10:11]
.LBB928_62:                             ;   in Loop: Header=BB928_15 Depth=1
	s_or_b64 exec, exec, s[6:7]
.LBB928_63:                             ;   in Loop: Header=BB928_15 Depth=1
	s_or_b64 exec, exec, s[4:5]
	v_perm_b32 v39, v35, v23, s16
	v_perm_b32 v38, v21, v19, s16
	;; [unrolled: 1-line block ×4, first 2 shown]
	s_waitcnt vmcnt(1)
	v_cmp_ne_u16_sdwa s[6:7], v28, v31 src0_sel:BYTE_0 src1_sel:DWORD
	v_mfma_f32_16x16x16bf16_1k v[18:21], v[38:39], v[2:3], 0
	v_mfma_f32_16x16x16bf16_1k v[18:21], v[34:35], v[4:5], v[18:21]
	s_and_saveexec_b64 s[4:5], s[6:7]
	s_cbranch_execz .LBB928_69
; %bb.64:                               ;   in Loop: Header=BB928_15 Depth=1
	v_cmp_ne_u16_sdwa s[10:11], v28, s13 src0_sel:BYTE_0 src1_sel:DWORD
	v_mov_b32_e32 v32, 0xffff8000
	s_and_saveexec_b64 s[6:7], s[10:11]
	s_cbranch_execz .LBB928_68
; %bb.65:                               ;   in Loop: Header=BB928_15 Depth=1
	v_and_b32_e32 v23, 0x7f, v28
	v_cmp_ne_u32_e32 vcc, s14, v23
	v_mov_b32_e32 v32, 0x7f80
	s_and_saveexec_b64 s[10:11], vcc
	s_cbranch_execz .LBB928_67
; %bb.66:                               ;   in Loop: Header=BB928_15 Depth=1
	v_and_b32_e32 v30, 7, v28
	v_ffbh_u32_e32 v34, v30
	v_min_u32_e32 v36, 32, v34
	v_subrev_u32_e32 v34, 28, v36
	v_lshlrev_b64 v[34:35], v34, v[28:29]
	v_lshrrev_b32_e32 v32, 3, v23
	v_sub_u32_e32 v35, 29, v36
	v_and_b32_e32 v34, 7, v34
	v_cmp_gt_u32_e32 vcc, 8, v23
	v_cndmask_b32_e32 v23, v32, v35, vcc
	v_cndmask_b32_e32 v30, v30, v34, vcc
	v_lshlrev_b32_e32 v32, 24, v28
	v_lshlrev_b32_e32 v30, 20, v30
	v_and_b32_e32 v32, 0x80000000, v32
	v_lshl_add_u32 v23, v23, 23, v33
	v_or3_b32 v23, v32, v23, v30
	v_lshrrev_b32_e32 v32, 16, v23
.LBB928_67:                             ;   in Loop: Header=BB928_15 Depth=1
	s_or_b64 exec, exec, s[10:11]
.LBB928_68:                             ;   in Loop: Header=BB928_15 Depth=1
	s_or_b64 exec, exec, s[6:7]
.LBB928_69:                             ;   in Loop: Header=BB928_15 Depth=1
	s_or_b64 exec, exec, s[4:5]
	v_lshrrev_b16_e32 v30, 8, v28
	v_cmp_ne_u16_e32 vcc, 0, v30
	v_mov_b32_e32 v35, 0
	v_mov_b32_e32 v34, 0
	s_and_saveexec_b64 s[4:5], vcc
	s_cbranch_execz .LBB928_75
; %bb.70:                               ;   in Loop: Header=BB928_15 Depth=1
	v_cmp_ne_u16_e32 vcc, s13, v30
	v_mov_b32_e32 v34, 0xffff8000
	s_and_saveexec_b64 s[6:7], vcc
	s_cbranch_execz .LBB928_74
; %bb.71:                               ;   in Loop: Header=BB928_15 Depth=1
	v_and_b32_e32 v23, 0x7f, v30
	v_cmp_ne_u32_e32 vcc, s14, v23
	v_mov_b32_e32 v34, 0x7f80
	s_and_saveexec_b64 s[10:11], vcc
	s_cbranch_execz .LBB928_73
; %bb.72:                               ;   in Loop: Header=BB928_15 Depth=1
	v_and_b32_e32 v34, 7, v30
	v_ffbh_u32_e32 v36, v34
	v_min_u32_e32 v39, 32, v36
	v_subrev_u32_e32 v36, 28, v39
	v_lshlrev_b64 v[36:37], v36, v[30:31]
	v_lshrrev_b32_e32 v38, 3, v23
	v_sub_u32_e32 v30, 29, v39
	v_and_b32_e32 v36, 7, v36
	v_cmp_gt_u32_e32 vcc, 8, v23
	v_cndmask_b32_e32 v23, v38, v30, vcc
	v_cndmask_b32_e32 v30, v34, v36, vcc
	v_lshlrev_b32_e32 v34, 16, v28
	v_lshlrev_b32_e32 v30, 20, v30
	v_and_b32_e32 v34, 0x80000000, v34
	v_lshl_add_u32 v23, v23, 23, v33
	v_or3_b32 v23, v34, v23, v30
	v_lshrrev_b32_e32 v34, 16, v23
.LBB928_73:                             ;   in Loop: Header=BB928_15 Depth=1
	s_or_b64 exec, exec, s[10:11]
.LBB928_74:                             ;   in Loop: Header=BB928_15 Depth=1
	s_or_b64 exec, exec, s[6:7]
.LBB928_75:                             ;   in Loop: Header=BB928_15 Depth=1
	s_or_b64 exec, exec, s[4:5]
	v_lshrrev_b32_e32 v30, 16, v28
	v_cmp_ne_u16_sdwa s[6:7], v30, v31 src0_sel:BYTE_0 src1_sel:DWORD
	s_and_saveexec_b64 s[4:5], s[6:7]
	s_cbranch_execz .LBB928_81
; %bb.76:                               ;   in Loop: Header=BB928_15 Depth=1
	v_cmp_ne_u16_sdwa s[10:11], v30, s13 src0_sel:BYTE_0 src1_sel:DWORD
	v_mov_b32_e32 v35, 0xffff8000
	s_and_saveexec_b64 s[6:7], s[10:11]
	s_cbranch_execz .LBB928_80
; %bb.77:                               ;   in Loop: Header=BB928_15 Depth=1
	v_bfe_u32 v23, v28, 16, 7
	v_cmp_ne_u32_e32 vcc, s14, v23
	v_mov_b32_e32 v35, 0x7f80
	s_and_saveexec_b64 s[10:11], vcc
	s_cbranch_execz .LBB928_79
; %bb.78:                               ;   in Loop: Header=BB928_15 Depth=1
	v_and_b32_e32 v35, 7, v30
	v_ffbh_u32_e32 v36, v35
	v_min_u32_e32 v39, 32, v36
	v_subrev_u32_e32 v36, 28, v39
	v_lshlrev_b64 v[36:37], v36, v[30:31]
	v_lshrrev_b32_e32 v38, 3, v23
	v_sub_u32_e32 v37, 29, v39
	v_and_b32_e32 v36, 7, v36
	v_cmp_gt_u32_e32 vcc, 8, v23
	v_cndmask_b32_e32 v23, v38, v37, vcc
	v_cndmask_b32_e32 v35, v35, v36, vcc
	v_lshlrev_b32_e32 v30, 24, v30
	v_lshlrev_b32_e32 v35, 20, v35
	v_and_b32_e32 v30, 0x80000000, v30
	v_lshl_add_u32 v23, v23, 23, v33
	v_or3_b32 v23, v30, v23, v35
	v_lshrrev_b32_e32 v35, 16, v23
.LBB928_79:                             ;   in Loop: Header=BB928_15 Depth=1
	s_or_b64 exec, exec, s[10:11]
.LBB928_80:                             ;   in Loop: Header=BB928_15 Depth=1
	s_or_b64 exec, exec, s[6:7]
.LBB928_81:                             ;   in Loop: Header=BB928_15 Depth=1
	s_or_b64 exec, exec, s[4:5]
	v_cmp_lt_u32_e32 vcc, s15, v28
	v_mov_b32_e32 v36, 0
	v_mov_b32_e32 v37, 0
	s_and_saveexec_b64 s[4:5], vcc
	s_cbranch_execz .LBB928_87
; %bb.82:                               ;   in Loop: Header=BB928_15 Depth=1
	v_lshrrev_b32_e32 v30, 24, v28
	v_cmp_ne_u32_e32 vcc, s13, v30
	v_mov_b32_e32 v37, 0xffff8000
	s_and_saveexec_b64 s[6:7], vcc
	s_cbranch_execz .LBB928_86
; %bb.83:                               ;   in Loop: Header=BB928_15 Depth=1
	v_bfe_u32 v23, v28, 24, 7
	v_cmp_ne_u32_e32 vcc, s14, v23
	v_mov_b32_e32 v37, 0x7f80
	s_and_saveexec_b64 s[10:11], vcc
	s_cbranch_execz .LBB928_85
; %bb.84:                               ;   in Loop: Header=BB928_15 Depth=1
	v_and_b32_e32 v28, 7, v30
	v_ffbh_u32_e32 v38, v28
	v_min_u32_e32 v40, 32, v38
	v_subrev_u32_e32 v38, 28, v40
	v_lshlrev_b64 v[38:39], v38, v[30:31]
	v_lshrrev_b32_e32 v37, 3, v23
	v_sub_u32_e32 v39, 29, v40
	v_and_b32_e32 v38, 7, v38
	v_cmp_gt_u32_e32 vcc, 8, v23
	v_cndmask_b32_e32 v23, v37, v39, vcc
	v_cndmask_b32_e32 v28, v28, v38, vcc
	v_lshlrev_b32_e32 v30, 24, v30
	v_lshlrev_b32_e32 v28, 20, v28
	v_and_b32_e32 v30, 0x80000000, v30
	v_lshl_add_u32 v23, v23, 23, v33
	v_or3_b32 v23, v30, v23, v28
	v_lshrrev_b32_e32 v37, 16, v23
.LBB928_85:                             ;   in Loop: Header=BB928_15 Depth=1
	s_or_b64 exec, exec, s[10:11]
.LBB928_86:                             ;   in Loop: Header=BB928_15 Depth=1
	s_or_b64 exec, exec, s[6:7]
.LBB928_87:                             ;   in Loop: Header=BB928_15 Depth=1
	s_or_b64 exec, exec, s[4:5]
	s_waitcnt vmcnt(0)
	v_cmp_ne_u16_sdwa s[6:7], v26, v31 src0_sel:BYTE_0 src1_sel:DWORD
	s_and_saveexec_b64 s[4:5], s[6:7]
	s_cbranch_execz .LBB928_93
; %bb.88:                               ;   in Loop: Header=BB928_15 Depth=1
	v_cmp_ne_u16_sdwa s[10:11], v26, s13 src0_sel:BYTE_0 src1_sel:DWORD
	v_mov_b32_e32 v36, 0xffff8000
	s_and_saveexec_b64 s[6:7], s[10:11]
	s_cbranch_execz .LBB928_92
; %bb.89:                               ;   in Loop: Header=BB928_15 Depth=1
	v_and_b32_e32 v23, 0x7f, v26
	v_cmp_ne_u32_e32 vcc, s14, v23
	v_mov_b32_e32 v36, 0x7f80
	s_and_saveexec_b64 s[10:11], vcc
	s_cbranch_execz .LBB928_91
; %bb.90:                               ;   in Loop: Header=BB928_15 Depth=1
	v_and_b32_e32 v28, 7, v26
	v_ffbh_u32_e32 v36, v28
	v_min_u32_e32 v36, 32, v36
	v_subrev_u32_e32 v38, 28, v36
	v_lshlrev_b64 v[38:39], v38, v[26:27]
	v_lshrrev_b32_e32 v30, 3, v23
	v_sub_u32_e32 v36, 29, v36
	v_and_b32_e32 v38, 7, v38
	v_cmp_gt_u32_e32 vcc, 8, v23
	v_cndmask_b32_e32 v23, v30, v36, vcc
	v_cndmask_b32_e32 v28, v28, v38, vcc
	v_lshlrev_b32_e32 v30, 24, v26
	v_lshlrev_b32_e32 v28, 20, v28
	v_and_b32_e32 v30, 0x80000000, v30
	v_lshl_add_u32 v23, v23, 23, v33
	v_or3_b32 v23, v30, v23, v28
	v_lshrrev_b32_e32 v36, 16, v23
.LBB928_91:                             ;   in Loop: Header=BB928_15 Depth=1
	s_or_b64 exec, exec, s[10:11]
.LBB928_92:                             ;   in Loop: Header=BB928_15 Depth=1
	s_or_b64 exec, exec, s[6:7]
.LBB928_93:                             ;   in Loop: Header=BB928_15 Depth=1
	s_or_b64 exec, exec, s[4:5]
	v_lshrrev_b16_e32 v28, 8, v26
	v_cmp_ne_u16_e32 vcc, 0, v28
	v_mov_b32_e32 v39, 0
	v_mov_b32_e32 v38, 0
	s_and_saveexec_b64 s[4:5], vcc
	s_cbranch_execz .LBB928_99
; %bb.94:                               ;   in Loop: Header=BB928_15 Depth=1
	v_cmp_ne_u16_e32 vcc, s13, v28
	v_mov_b32_e32 v38, 0xffff8000
	s_and_saveexec_b64 s[6:7], vcc
	s_cbranch_execz .LBB928_98
; %bb.95:                               ;   in Loop: Header=BB928_15 Depth=1
	v_and_b32_e32 v23, 0x7f, v28
	v_cmp_ne_u32_e32 vcc, s14, v23
	v_mov_b32_e32 v38, 0x7f80
	s_and_saveexec_b64 s[10:11], vcc
	s_cbranch_execz .LBB928_97
; %bb.96:                               ;   in Loop: Header=BB928_15 Depth=1
	v_and_b32_e32 v30, 7, v28
	v_ffbh_u32_e32 v40, v30
	v_min_u32_e32 v42, 32, v40
	v_subrev_u32_e32 v40, 28, v42
	v_lshlrev_b64 v[40:41], v40, v[28:29]
	v_lshrrev_b32_e32 v38, 3, v23
	v_sub_u32_e32 v28, 29, v42
	v_and_b32_e32 v40, 7, v40
	v_cmp_gt_u32_e32 vcc, 8, v23
	v_cndmask_b32_e32 v23, v38, v28, vcc
	v_cndmask_b32_e32 v28, v30, v40, vcc
	v_lshlrev_b32_e32 v30, 16, v26
	v_lshlrev_b32_e32 v28, 20, v28
	v_and_b32_e32 v30, 0x80000000, v30
	v_lshl_add_u32 v23, v23, 23, v33
	v_or3_b32 v23, v30, v23, v28
	v_lshrrev_b32_e32 v38, 16, v23
.LBB928_97:                             ;   in Loop: Header=BB928_15 Depth=1
	s_or_b64 exec, exec, s[10:11]
.LBB928_98:                             ;   in Loop: Header=BB928_15 Depth=1
	s_or_b64 exec, exec, s[6:7]
.LBB928_99:                             ;   in Loop: Header=BB928_15 Depth=1
	s_or_b64 exec, exec, s[4:5]
	v_lshrrev_b32_e32 v28, 16, v26
	v_cmp_ne_u16_sdwa s[6:7], v28, v31 src0_sel:BYTE_0 src1_sel:DWORD
	s_and_saveexec_b64 s[4:5], s[6:7]
	s_cbranch_execz .LBB928_105
; %bb.100:                              ;   in Loop: Header=BB928_15 Depth=1
	v_cmp_ne_u16_sdwa s[10:11], v28, s13 src0_sel:BYTE_0 src1_sel:DWORD
	v_mov_b32_e32 v39, 0xffff8000
	s_and_saveexec_b64 s[6:7], s[10:11]
	s_cbranch_execz .LBB928_104
; %bb.101:                              ;   in Loop: Header=BB928_15 Depth=1
	v_bfe_u32 v23, v26, 16, 7
	v_cmp_ne_u32_e32 vcc, s14, v23
	v_mov_b32_e32 v39, 0x7f80
	s_and_saveexec_b64 s[10:11], vcc
	s_cbranch_execz .LBB928_103
; %bb.102:                              ;   in Loop: Header=BB928_15 Depth=1
	v_and_b32_e32 v30, 7, v28
	v_ffbh_u32_e32 v40, v30
	v_min_u32_e32 v42, 32, v40
	v_subrev_u32_e32 v40, 28, v42
	v_lshlrev_b64 v[40:41], v40, v[28:29]
	v_lshrrev_b32_e32 v39, 3, v23
	v_sub_u32_e32 v41, 29, v42
	v_and_b32_e32 v40, 7, v40
	v_cmp_gt_u32_e32 vcc, 8, v23
	v_cndmask_b32_e32 v23, v39, v41, vcc
	v_cndmask_b32_e32 v30, v30, v40, vcc
	v_lshlrev_b32_e32 v28, 24, v28
	v_lshlrev_b32_e32 v30, 20, v30
	v_and_b32_e32 v28, 0x80000000, v28
	v_lshl_add_u32 v23, v23, 23, v33
	v_or3_b32 v23, v28, v23, v30
	v_lshrrev_b32_e32 v39, 16, v23
.LBB928_103:                            ;   in Loop: Header=BB928_15 Depth=1
	s_or_b64 exec, exec, s[10:11]
.LBB928_104:                            ;   in Loop: Header=BB928_15 Depth=1
	s_or_b64 exec, exec, s[6:7]
.LBB928_105:                            ;   in Loop: Header=BB928_15 Depth=1
	s_or_b64 exec, exec, s[4:5]
	v_cmp_lt_u32_e32 vcc, s15, v26
	v_mov_b32_e32 v23, 0
	v_mov_b32_e32 v40, 0
	s_and_saveexec_b64 s[4:5], vcc
	s_cbranch_execz .LBB928_111
; %bb.106:                              ;   in Loop: Header=BB928_15 Depth=1
	v_lshrrev_b32_e32 v28, 24, v26
	v_cmp_ne_u32_e32 vcc, s13, v28
	v_mov_b32_e32 v40, 0xffff8000
	s_and_saveexec_b64 s[6:7], vcc
	s_cbranch_execz .LBB928_110
; %bb.107:                              ;   in Loop: Header=BB928_15 Depth=1
	v_bfe_u32 v26, v26, 24, 7
	v_cmp_ne_u32_e32 vcc, s14, v26
	v_mov_b32_e32 v40, 0x7f80
	s_and_saveexec_b64 s[10:11], vcc
	s_cbranch_execz .LBB928_109
; %bb.108:                              ;   in Loop: Header=BB928_15 Depth=1
	v_and_b32_e32 v30, 7, v28
	v_ffbh_u32_e32 v40, v30
	v_min_u32_e32 v43, 32, v40
	v_subrev_u32_e32 v40, 28, v43
	v_lshlrev_b64 v[40:41], v40, v[28:29]
	v_lshrrev_b32_e32 v42, 3, v26
	v_sub_u32_e32 v41, 29, v43
	v_and_b32_e32 v40, 7, v40
	v_cmp_gt_u32_e32 vcc, 8, v26
	v_cndmask_b32_e32 v26, v42, v41, vcc
	v_cndmask_b32_e32 v30, v30, v40, vcc
	v_lshlrev_b32_e32 v28, 24, v28
	v_lshlrev_b32_e32 v30, 20, v30
	v_and_b32_e32 v28, 0x80000000, v28
	v_lshl_add_u32 v26, v26, 23, v33
	v_or3_b32 v26, v28, v26, v30
	v_lshrrev_b32_e32 v40, 16, v26
.LBB928_109:                            ;   in Loop: Header=BB928_15 Depth=1
	s_or_b64 exec, exec, s[10:11]
.LBB928_110:                            ;   in Loop: Header=BB928_15 Depth=1
	s_or_b64 exec, exec, s[6:7]
.LBB928_111:                            ;   in Loop: Header=BB928_15 Depth=1
	s_or_b64 exec, exec, s[4:5]
	v_perm_b32 v34, v34, v32, s16
	buffer_load_dword v32, v27, s[0:3], 0 offen offset:16
	buffer_load_dword v30, v27, s[0:3], 0 offen offset:20
	;; [unrolled: 1-line block ×4, first 2 shown]
	v_perm_b32 v35, v37, v35, s16
	s_waitcnt vmcnt(3)
	v_cmp_ne_u16_sdwa s[6:7], v32, v31 src0_sel:BYTE_0 src1_sel:DWORD
	v_mfma_f32_16x16x16bf16_1k v[18:21], v[34:35], v[6:7], v[18:21]
	v_perm_b32 v35, v40, v39, s16
	v_perm_b32 v34, v38, v36, s16
	s_nop 1
	v_mfma_f32_16x16x16bf16_1k v[18:21], v[34:35], v[8:9], v[18:21]
	s_and_saveexec_b64 s[4:5], s[6:7]
	s_cbranch_execz .LBB928_117
; %bb.112:                              ;   in Loop: Header=BB928_15 Depth=1
	v_cmp_ne_u16_sdwa s[10:11], v32, s13 src0_sel:BYTE_0 src1_sel:DWORD
	v_mov_b32_e32 v23, 0xffff8000
	s_and_saveexec_b64 s[6:7], s[10:11]
	s_cbranch_execz .LBB928_116
; %bb.113:                              ;   in Loop: Header=BB928_15 Depth=1
	v_and_b32_e32 v34, 0x7f, v32
	v_cmp_ne_u32_e32 vcc, s14, v34
	v_mov_b32_e32 v23, 0x7f80
	s_and_saveexec_b64 s[10:11], vcc
	s_cbranch_execz .LBB928_115
; %bb.114:                              ;   in Loop: Header=BB928_15 Depth=1
	v_and_b32_e32 v23, 7, v32
	v_ffbh_u32_e32 v36, v23
	v_min_u32_e32 v38, 32, v36
	v_subrev_u32_e32 v36, 28, v38
	v_lshlrev_b64 v[36:37], v36, v[32:33]
	v_lshrrev_b32_e32 v35, 3, v34
	v_sub_u32_e32 v37, 29, v38
	v_and_b32_e32 v36, 7, v36
	v_cmp_gt_u32_e32 vcc, 8, v34
	v_cndmask_b32_e32 v34, v35, v37, vcc
	v_cndmask_b32_e32 v23, v23, v36, vcc
	v_lshlrev_b32_e32 v35, 24, v32
	v_lshlrev_b32_e32 v23, 20, v23
	v_and_b32_e32 v35, 0x80000000, v35
	v_lshl_add_u32 v34, v34, 23, v33
	v_or3_b32 v23, v35, v34, v23
	v_lshrrev_b32_e32 v23, 16, v23
.LBB928_115:                            ;   in Loop: Header=BB928_15 Depth=1
	s_or_b64 exec, exec, s[10:11]
.LBB928_116:                            ;   in Loop: Header=BB928_15 Depth=1
	s_or_b64 exec, exec, s[6:7]
.LBB928_117:                            ;   in Loop: Header=BB928_15 Depth=1
	s_or_b64 exec, exec, s[4:5]
	v_lshrrev_b16_e32 v34, 8, v32
	v_cmp_ne_u16_e32 vcc, 0, v34
	v_mov_b32_e32 v36, 0
	v_mov_b32_e32 v35, 0
	s_and_saveexec_b64 s[4:5], vcc
	s_cbranch_execz .LBB928_123
; %bb.118:                              ;   in Loop: Header=BB928_15 Depth=1
	v_cmp_ne_u16_e32 vcc, s13, v34
	v_mov_b32_e32 v35, 0xffff8000
	s_and_saveexec_b64 s[6:7], vcc
	s_cbranch_execz .LBB928_122
; %bb.119:                              ;   in Loop: Header=BB928_15 Depth=1
	v_and_b32_e32 v37, 0x7f, v34
	v_cmp_ne_u32_e32 vcc, s14, v37
	v_mov_b32_e32 v35, 0x7f80
	s_and_saveexec_b64 s[10:11], vcc
	s_cbranch_execz .LBB928_121
; %bb.120:                              ;   in Loop: Header=BB928_15 Depth=1
	v_and_b32_e32 v38, 7, v34
	v_ffbh_u32_e32 v35, v38
	v_min_u32_e32 v40, 32, v35
	v_subrev_u32_e32 v35, 28, v40
	v_lshlrev_b64 v[34:35], v35, v[34:35]
	v_lshrrev_b32_e32 v39, 3, v37
	v_sub_u32_e32 v35, 29, v40
	v_and_b32_e32 v34, 7, v34
	v_cmp_gt_u32_e32 vcc, 8, v37
	v_cndmask_b32_e32 v35, v39, v35, vcc
	v_cndmask_b32_e32 v34, v38, v34, vcc
	v_lshlrev_b32_e32 v37, 16, v32
	v_lshlrev_b32_e32 v34, 20, v34
	v_and_b32_e32 v37, 0x80000000, v37
	v_lshl_add_u32 v35, v35, 23, v33
	v_or3_b32 v34, v37, v35, v34
	v_lshrrev_b32_e32 v35, 16, v34
.LBB928_121:                            ;   in Loop: Header=BB928_15 Depth=1
	s_or_b64 exec, exec, s[10:11]
.LBB928_122:                            ;   in Loop: Header=BB928_15 Depth=1
	s_or_b64 exec, exec, s[6:7]
.LBB928_123:                            ;   in Loop: Header=BB928_15 Depth=1
	s_or_b64 exec, exec, s[4:5]
	v_lshrrev_b32_e32 v34, 16, v32
	v_cmp_ne_u16_sdwa s[6:7], v34, v31 src0_sel:BYTE_0 src1_sel:DWORD
	s_and_saveexec_b64 s[4:5], s[6:7]
	s_cbranch_execz .LBB928_129
; %bb.124:                              ;   in Loop: Header=BB928_15 Depth=1
	v_cmp_ne_u16_sdwa s[10:11], v34, s13 src0_sel:BYTE_0 src1_sel:DWORD
	v_mov_b32_e32 v36, 0xffff8000
	s_and_saveexec_b64 s[6:7], s[10:11]
	s_cbranch_execz .LBB928_128
; %bb.125:                              ;   in Loop: Header=BB928_15 Depth=1
	v_bfe_u32 v37, v32, 16, 7
	v_cmp_ne_u32_e32 vcc, s14, v37
	v_mov_b32_e32 v36, 0x7f80
	s_and_saveexec_b64 s[10:11], vcc
	s_cbranch_execz .LBB928_127
; %bb.126:                              ;   in Loop: Header=BB928_15 Depth=1
	v_and_b32_e32 v36, 7, v34
	v_ffbh_u32_e32 v38, v36
	v_min_u32_e32 v41, 32, v38
	v_subrev_u32_e32 v38, 28, v41
	v_lshlrev_b64 v[38:39], v38, v[34:35]
	v_lshrrev_b32_e32 v40, 3, v37
	v_sub_u32_e32 v39, 29, v41
	v_and_b32_e32 v38, 7, v38
	v_cmp_gt_u32_e32 vcc, 8, v37
	v_cndmask_b32_e32 v37, v40, v39, vcc
	v_cndmask_b32_e32 v36, v36, v38, vcc
	v_lshlrev_b32_e32 v34, 24, v34
	v_lshlrev_b32_e32 v36, 20, v36
	v_and_b32_e32 v34, 0x80000000, v34
	v_lshl_add_u32 v37, v37, 23, v33
	v_or3_b32 v34, v34, v37, v36
	v_lshrrev_b32_e32 v36, 16, v34
.LBB928_127:                            ;   in Loop: Header=BB928_15 Depth=1
	s_or_b64 exec, exec, s[10:11]
.LBB928_128:                            ;   in Loop: Header=BB928_15 Depth=1
	s_or_b64 exec, exec, s[6:7]
.LBB928_129:                            ;   in Loop: Header=BB928_15 Depth=1
	s_or_b64 exec, exec, s[4:5]
	v_cmp_lt_u32_e32 vcc, s15, v32
	v_mov_b32_e32 v37, 0
	v_mov_b32_e32 v38, 0
	s_and_saveexec_b64 s[4:5], vcc
	s_cbranch_execz .LBB928_135
; %bb.130:                              ;   in Loop: Header=BB928_15 Depth=1
	v_lshrrev_b32_e32 v34, 24, v32
	v_cmp_ne_u32_e32 vcc, s13, v34
	v_mov_b32_e32 v38, 0xffff8000
	s_and_saveexec_b64 s[6:7], vcc
	s_cbranch_execz .LBB928_134
; %bb.131:                              ;   in Loop: Header=BB928_15 Depth=1
	v_bfe_u32 v32, v32, 24, 7
	v_cmp_ne_u32_e32 vcc, s14, v32
	v_mov_b32_e32 v38, 0x7f80
	s_and_saveexec_b64 s[10:11], vcc
	s_cbranch_execz .LBB928_133
; %bb.132:                              ;   in Loop: Header=BB928_15 Depth=1
	v_and_b32_e32 v40, 7, v34
	v_ffbh_u32_e32 v38, v40
	v_min_u32_e32 v42, 32, v38
	v_subrev_u32_e32 v38, 28, v42
	v_lshlrev_b64 v[38:39], v38, v[34:35]
	v_lshrrev_b32_e32 v41, 3, v32
	v_sub_u32_e32 v39, 29, v42
	v_and_b32_e32 v38, 7, v38
	v_cmp_gt_u32_e32 vcc, 8, v32
	v_cndmask_b32_e32 v32, v41, v39, vcc
	v_cndmask_b32_e32 v38, v40, v38, vcc
	v_lshlrev_b32_e32 v34, 24, v34
	v_lshlrev_b32_e32 v38, 20, v38
	v_and_b32_e32 v34, 0x80000000, v34
	v_lshl_add_u32 v32, v32, 23, v33
	v_or3_b32 v32, v34, v32, v38
	v_lshrrev_b32_e32 v38, 16, v32
.LBB928_133:                            ;   in Loop: Header=BB928_15 Depth=1
	s_or_b64 exec, exec, s[10:11]
.LBB928_134:                            ;   in Loop: Header=BB928_15 Depth=1
	s_or_b64 exec, exec, s[6:7]
.LBB928_135:                            ;   in Loop: Header=BB928_15 Depth=1
	s_or_b64 exec, exec, s[4:5]
	s_waitcnt vmcnt(2)
	v_cmp_ne_u16_sdwa s[6:7], v30, v31 src0_sel:BYTE_0 src1_sel:DWORD
	s_and_saveexec_b64 s[4:5], s[6:7]
	s_cbranch_execz .LBB928_141
; %bb.136:                              ;   in Loop: Header=BB928_15 Depth=1
	v_cmp_ne_u16_sdwa s[10:11], v30, s13 src0_sel:BYTE_0 src1_sel:DWORD
	v_mov_b32_e32 v37, 0xffff8000
	s_and_saveexec_b64 s[6:7], s[10:11]
	s_cbranch_execz .LBB928_140
; %bb.137:                              ;   in Loop: Header=BB928_15 Depth=1
	v_and_b32_e32 v32, 0x7f, v30
	v_cmp_ne_u32_e32 vcc, s14, v32
	v_mov_b32_e32 v37, 0x7f80
	s_and_saveexec_b64 s[10:11], vcc
	s_cbranch_execz .LBB928_139
; %bb.138:                              ;   in Loop: Header=BB928_15 Depth=1
	v_and_b32_e32 v34, 7, v30
	v_ffbh_u32_e32 v39, v34
	v_min_u32_e32 v39, 32, v39
	v_subrev_u32_e32 v40, 28, v39
	v_lshlrev_b64 v[40:41], v40, v[30:31]
	v_lshrrev_b32_e32 v37, 3, v32
	v_sub_u32_e32 v39, 29, v39
	v_and_b32_e32 v40, 7, v40
	v_cmp_gt_u32_e32 vcc, 8, v32
	v_cndmask_b32_e32 v32, v37, v39, vcc
	v_cndmask_b32_e32 v34, v34, v40, vcc
	v_lshlrev_b32_e32 v37, 24, v30
	v_lshlrev_b32_e32 v34, 20, v34
	v_and_b32_e32 v37, 0x80000000, v37
	v_lshl_add_u32 v32, v32, 23, v33
	v_or3_b32 v32, v37, v32, v34
	v_lshrrev_b32_e32 v37, 16, v32
.LBB928_139:                            ;   in Loop: Header=BB928_15 Depth=1
	s_or_b64 exec, exec, s[10:11]
.LBB928_140:                            ;   in Loop: Header=BB928_15 Depth=1
	s_or_b64 exec, exec, s[6:7]
.LBB928_141:                            ;   in Loop: Header=BB928_15 Depth=1
	s_or_b64 exec, exec, s[4:5]
	v_lshrrev_b16_e32 v32, 8, v30
	v_cmp_ne_u16_e32 vcc, 0, v32
	v_mov_b32_e32 v40, 0
	v_mov_b32_e32 v39, 0
	s_and_saveexec_b64 s[4:5], vcc
	s_cbranch_execz .LBB928_147
; %bb.142:                              ;   in Loop: Header=BB928_15 Depth=1
	v_cmp_ne_u16_e32 vcc, s13, v32
	v_mov_b32_e32 v39, 0xffff8000
	s_and_saveexec_b64 s[6:7], vcc
	s_cbranch_execz .LBB928_146
; %bb.143:                              ;   in Loop: Header=BB928_15 Depth=1
	v_and_b32_e32 v34, 0x7f, v32
	v_cmp_ne_u32_e32 vcc, s14, v34
	v_mov_b32_e32 v39, 0x7f80
	s_and_saveexec_b64 s[10:11], vcc
	s_cbranch_execz .LBB928_145
; %bb.144:                              ;   in Loop: Header=BB928_15 Depth=1
	v_and_b32_e32 v39, 7, v32
	v_ffbh_u32_e32 v42, v39
	v_min_u32_e32 v44, 32, v42
	v_subrev_u32_e32 v42, 28, v44
	v_lshlrev_b64 v[42:43], v42, v[32:33]
	v_lshrrev_b32_e32 v41, 3, v34
	v_sub_u32_e32 v32, 29, v44
	v_and_b32_e32 v42, 7, v42
	v_cmp_gt_u32_e32 vcc, 8, v34
	v_cndmask_b32_e32 v32, v41, v32, vcc
	v_cndmask_b32_e32 v34, v39, v42, vcc
	v_lshlrev_b32_e32 v39, 16, v30
	v_lshlrev_b32_e32 v34, 20, v34
	v_and_b32_e32 v39, 0x80000000, v39
	v_lshl_add_u32 v32, v32, 23, v33
	v_or3_b32 v32, v39, v32, v34
	v_lshrrev_b32_e32 v39, 16, v32
.LBB928_145:                            ;   in Loop: Header=BB928_15 Depth=1
	s_or_b64 exec, exec, s[10:11]
.LBB928_146:                            ;   in Loop: Header=BB928_15 Depth=1
	s_or_b64 exec, exec, s[6:7]
.LBB928_147:                            ;   in Loop: Header=BB928_15 Depth=1
	s_or_b64 exec, exec, s[4:5]
	v_lshrrev_b32_e32 v32, 16, v30
	v_cmp_ne_u16_sdwa s[6:7], v32, v31 src0_sel:BYTE_0 src1_sel:DWORD
	s_and_saveexec_b64 s[4:5], s[6:7]
	s_cbranch_execz .LBB928_153
; %bb.148:                              ;   in Loop: Header=BB928_15 Depth=1
	v_cmp_ne_u16_sdwa s[10:11], v32, s13 src0_sel:BYTE_0 src1_sel:DWORD
	v_mov_b32_e32 v40, 0xffff8000
	s_and_saveexec_b64 s[6:7], s[10:11]
	s_cbranch_execz .LBB928_152
; %bb.149:                              ;   in Loop: Header=BB928_15 Depth=1
	v_bfe_u32 v34, v30, 16, 7
	v_cmp_ne_u32_e32 vcc, s14, v34
	v_mov_b32_e32 v40, 0x7f80
	s_and_saveexec_b64 s[10:11], vcc
	s_cbranch_execz .LBB928_151
; %bb.150:                              ;   in Loop: Header=BB928_15 Depth=1
	v_and_b32_e32 v42, 7, v32
	v_ffbh_u32_e32 v40, v42
	v_min_u32_e32 v44, 32, v40
	v_subrev_u32_e32 v40, 28, v44
	v_lshlrev_b64 v[40:41], v40, v[32:33]
	v_lshrrev_b32_e32 v43, 3, v34
	v_sub_u32_e32 v41, 29, v44
	v_and_b32_e32 v40, 7, v40
	v_cmp_gt_u32_e32 vcc, 8, v34
	v_cndmask_b32_e32 v34, v43, v41, vcc
	v_cndmask_b32_e32 v40, v42, v40, vcc
	v_lshlrev_b32_e32 v32, 24, v32
	v_lshlrev_b32_e32 v40, 20, v40
	v_and_b32_e32 v32, 0x80000000, v32
	v_lshl_add_u32 v34, v34, 23, v33
	v_or3_b32 v32, v32, v34, v40
	v_lshrrev_b32_e32 v40, 16, v32
.LBB928_151:                            ;   in Loop: Header=BB928_15 Depth=1
	s_or_b64 exec, exec, s[10:11]
.LBB928_152:                            ;   in Loop: Header=BB928_15 Depth=1
	s_or_b64 exec, exec, s[6:7]
.LBB928_153:                            ;   in Loop: Header=BB928_15 Depth=1
	s_or_b64 exec, exec, s[4:5]
	v_cmp_lt_u32_e32 vcc, s15, v30
	v_mov_b32_e32 v34, 0
	v_mov_b32_e32 v41, 0
	s_and_saveexec_b64 s[4:5], vcc
	s_cbranch_execz .LBB928_159
; %bb.154:                              ;   in Loop: Header=BB928_15 Depth=1
	v_lshrrev_b32_e32 v32, 24, v30
	v_cmp_ne_u32_e32 vcc, s13, v32
	v_mov_b32_e32 v41, 0xffff8000
	s_and_saveexec_b64 s[6:7], vcc
	s_cbranch_execz .LBB928_158
; %bb.155:                              ;   in Loop: Header=BB928_15 Depth=1
	v_bfe_u32 v30, v30, 24, 7
	v_cmp_ne_u32_e32 vcc, s14, v30
	v_mov_b32_e32 v41, 0x7f80
	s_and_saveexec_b64 s[10:11], vcc
	s_cbranch_execz .LBB928_157
; %bb.156:                              ;   in Loop: Header=BB928_15 Depth=1
	v_and_b32_e32 v41, 7, v32
	v_ffbh_u32_e32 v42, v41
	v_min_u32_e32 v45, 32, v42
	v_subrev_u32_e32 v42, 28, v45
	v_lshlrev_b64 v[42:43], v42, v[32:33]
	v_lshrrev_b32_e32 v44, 3, v30
	v_sub_u32_e32 v43, 29, v45
	v_and_b32_e32 v42, 7, v42
	v_cmp_gt_u32_e32 vcc, 8, v30
	v_cndmask_b32_e32 v30, v44, v43, vcc
	v_cndmask_b32_e32 v41, v41, v42, vcc
	v_lshlrev_b32_e32 v32, 24, v32
	v_lshlrev_b32_e32 v41, 20, v41
	v_and_b32_e32 v32, 0x80000000, v32
	v_lshl_add_u32 v30, v30, 23, v33
	v_or3_b32 v30, v32, v30, v41
	v_lshrrev_b32_e32 v41, 16, v30
.LBB928_157:                            ;   in Loop: Header=BB928_15 Depth=1
	s_or_b64 exec, exec, s[10:11]
.LBB928_158:                            ;   in Loop: Header=BB928_15 Depth=1
	s_or_b64 exec, exec, s[6:7]
.LBB928_159:                            ;   in Loop: Header=BB928_15 Depth=1
	s_or_b64 exec, exec, s[4:5]
	v_perm_b32 v43, v38, v36, s16
	v_perm_b32 v42, v35, v23, s16
	;; [unrolled: 1-line block ×4, first 2 shown]
	s_waitcnt vmcnt(1)
	v_cmp_ne_u16_sdwa s[6:7], v28, v31 src0_sel:BYTE_0 src1_sel:DWORD
	v_mfma_f32_16x16x16bf16_1k v[18:21], v[42:43], v[10:11], v[18:21]
	v_mfma_f32_16x16x16bf16_1k v[18:21], v[40:41], v[12:13], v[18:21]
	s_and_saveexec_b64 s[4:5], s[6:7]
	s_cbranch_execz .LBB928_165
; %bb.160:                              ;   in Loop: Header=BB928_15 Depth=1
	v_cmp_ne_u16_sdwa s[10:11], v28, s13 src0_sel:BYTE_0 src1_sel:DWORD
	v_mov_b32_e32 v34, 0xffff8000
	s_and_saveexec_b64 s[6:7], s[10:11]
	s_cbranch_execz .LBB928_164
; %bb.161:                              ;   in Loop: Header=BB928_15 Depth=1
	v_and_b32_e32 v23, 0x7f, v28
	v_cmp_ne_u32_e32 vcc, s14, v23
	v_mov_b32_e32 v34, 0x7f80
	s_and_saveexec_b64 s[10:11], vcc
	s_cbranch_execz .LBB928_163
; %bb.162:                              ;   in Loop: Header=BB928_15 Depth=1
	v_and_b32_e32 v30, 7, v28
	v_ffbh_u32_e32 v34, v30
	v_min_u32_e32 v36, 32, v34
	v_subrev_u32_e32 v34, 28, v36
	v_lshlrev_b64 v[34:35], v34, v[28:29]
	v_lshrrev_b32_e32 v32, 3, v23
	v_sub_u32_e32 v35, 29, v36
	v_and_b32_e32 v34, 7, v34
	v_cmp_gt_u32_e32 vcc, 8, v23
	v_cndmask_b32_e32 v23, v32, v35, vcc
	v_cndmask_b32_e32 v30, v30, v34, vcc
	v_lshlrev_b32_e32 v32, 24, v28
	v_lshlrev_b32_e32 v30, 20, v30
	v_and_b32_e32 v32, 0x80000000, v32
	v_lshl_add_u32 v23, v23, 23, v33
	v_or3_b32 v23, v32, v23, v30
	v_lshrrev_b32_e32 v34, 16, v23
.LBB928_163:                            ;   in Loop: Header=BB928_15 Depth=1
	s_or_b64 exec, exec, s[10:11]
.LBB928_164:                            ;   in Loop: Header=BB928_15 Depth=1
	s_or_b64 exec, exec, s[6:7]
.LBB928_165:                            ;   in Loop: Header=BB928_15 Depth=1
	s_or_b64 exec, exec, s[4:5]
	v_lshrrev_b16_e32 v30, 8, v28
	v_cmp_ne_u16_e32 vcc, 0, v30
	v_mov_b32_e32 v32, 0
	v_mov_b32_e32 v23, 0
	s_and_saveexec_b64 s[4:5], vcc
	s_cbranch_execz .LBB928_171
; %bb.166:                              ;   in Loop: Header=BB928_15 Depth=1
	v_cmp_ne_u16_e32 vcc, s13, v30
	v_mov_b32_e32 v23, 0xffff8000
	s_and_saveexec_b64 s[6:7], vcc
	s_cbranch_execz .LBB928_170
; %bb.167:                              ;   in Loop: Header=BB928_15 Depth=1
	v_and_b32_e32 v35, 0x7f, v30
	v_cmp_ne_u32_e32 vcc, s14, v35
	v_mov_b32_e32 v23, 0x7f80
	s_and_saveexec_b64 s[10:11], vcc
	s_cbranch_execz .LBB928_169
; %bb.168:                              ;   in Loop: Header=BB928_15 Depth=1
	v_and_b32_e32 v23, 7, v30
	v_ffbh_u32_e32 v36, v23
	v_min_u32_e32 v39, 32, v36
	v_subrev_u32_e32 v36, 28, v39
	v_lshlrev_b64 v[36:37], v36, v[30:31]
	v_lshrrev_b32_e32 v38, 3, v35
	v_sub_u32_e32 v30, 29, v39
	v_and_b32_e32 v36, 7, v36
	v_cmp_gt_u32_e32 vcc, 8, v35
	v_cndmask_b32_e32 v30, v38, v30, vcc
	v_cndmask_b32_e32 v23, v23, v36, vcc
	v_lshlrev_b32_e32 v35, 16, v28
	v_lshlrev_b32_e32 v23, 20, v23
	v_and_b32_e32 v35, 0x80000000, v35
	v_lshl_add_u32 v30, v30, 23, v33
	v_or3_b32 v23, v35, v30, v23
	v_lshrrev_b32_e32 v23, 16, v23
.LBB928_169:                            ;   in Loop: Header=BB928_15 Depth=1
	s_or_b64 exec, exec, s[10:11]
.LBB928_170:                            ;   in Loop: Header=BB928_15 Depth=1
	s_or_b64 exec, exec, s[6:7]
.LBB928_171:                            ;   in Loop: Header=BB928_15 Depth=1
	s_or_b64 exec, exec, s[4:5]
	v_lshrrev_b32_e32 v30, 16, v28
	v_cmp_ne_u16_sdwa s[6:7], v30, v31 src0_sel:BYTE_0 src1_sel:DWORD
	s_and_saveexec_b64 s[4:5], s[6:7]
	s_cbranch_execz .LBB928_177
; %bb.172:                              ;   in Loop: Header=BB928_15 Depth=1
	v_cmp_ne_u16_sdwa s[10:11], v30, s13 src0_sel:BYTE_0 src1_sel:DWORD
	v_mov_b32_e32 v32, 0xffff8000
	s_and_saveexec_b64 s[6:7], s[10:11]
	s_cbranch_execz .LBB928_176
; %bb.173:                              ;   in Loop: Header=BB928_15 Depth=1
	v_bfe_u32 v35, v28, 16, 7
	v_cmp_ne_u32_e32 vcc, s14, v35
	v_mov_b32_e32 v32, 0x7f80
	s_and_saveexec_b64 s[10:11], vcc
	s_cbranch_execz .LBB928_175
; %bb.174:                              ;   in Loop: Header=BB928_15 Depth=1
	v_and_b32_e32 v32, 7, v30
	v_ffbh_u32_e32 v36, v32
	v_min_u32_e32 v39, 32, v36
	v_subrev_u32_e32 v36, 28, v39
	v_lshlrev_b64 v[36:37], v36, v[30:31]
	v_lshrrev_b32_e32 v38, 3, v35
	v_sub_u32_e32 v37, 29, v39
	v_and_b32_e32 v36, 7, v36
	v_cmp_gt_u32_e32 vcc, 8, v35
	v_cndmask_b32_e32 v35, v38, v37, vcc
	v_cndmask_b32_e32 v32, v32, v36, vcc
	v_lshlrev_b32_e32 v30, 24, v30
	v_lshlrev_b32_e32 v32, 20, v32
	v_and_b32_e32 v30, 0x80000000, v30
	v_lshl_add_u32 v35, v35, 23, v33
	v_or3_b32 v30, v30, v35, v32
	v_lshrrev_b32_e32 v32, 16, v30
.LBB928_175:                            ;   in Loop: Header=BB928_15 Depth=1
	s_or_b64 exec, exec, s[10:11]
.LBB928_176:                            ;   in Loop: Header=BB928_15 Depth=1
	s_or_b64 exec, exec, s[6:7]
.LBB928_177:                            ;   in Loop: Header=BB928_15 Depth=1
	s_or_b64 exec, exec, s[4:5]
	v_cmp_lt_u32_e32 vcc, s15, v28
	v_mov_b32_e32 v35, 0
	v_mov_b32_e32 v36, 0
	s_and_saveexec_b64 s[4:5], vcc
	s_cbranch_execz .LBB928_183
; %bb.178:                              ;   in Loop: Header=BB928_15 Depth=1
	v_lshrrev_b32_e32 v30, 24, v28
	v_cmp_ne_u32_e32 vcc, s13, v30
	v_mov_b32_e32 v36, 0xffff8000
	s_and_saveexec_b64 s[6:7], vcc
	s_cbranch_execz .LBB928_182
; %bb.179:                              ;   in Loop: Header=BB928_15 Depth=1
	v_bfe_u32 v28, v28, 24, 7
	v_cmp_ne_u32_e32 vcc, s14, v28
	v_mov_b32_e32 v36, 0x7f80
	s_and_saveexec_b64 s[10:11], vcc
	s_cbranch_execz .LBB928_181
; %bb.180:                              ;   in Loop: Header=BB928_15 Depth=1
	v_and_b32_e32 v38, 7, v30
	v_ffbh_u32_e32 v36, v38
	v_min_u32_e32 v40, 32, v36
	v_subrev_u32_e32 v36, 28, v40
	v_lshlrev_b64 v[36:37], v36, v[30:31]
	v_lshrrev_b32_e32 v39, 3, v28
	v_sub_u32_e32 v37, 29, v40
	v_and_b32_e32 v36, 7, v36
	v_cmp_gt_u32_e32 vcc, 8, v28
	v_cndmask_b32_e32 v28, v39, v37, vcc
	v_cndmask_b32_e32 v36, v38, v36, vcc
	v_lshlrev_b32_e32 v30, 24, v30
	v_lshlrev_b32_e32 v36, 20, v36
	v_and_b32_e32 v30, 0x80000000, v30
	v_lshl_add_u32 v28, v28, 23, v33
	v_or3_b32 v28, v30, v28, v36
	v_lshrrev_b32_e32 v36, 16, v28
.LBB928_181:                            ;   in Loop: Header=BB928_15 Depth=1
	s_or_b64 exec, exec, s[10:11]
.LBB928_182:                            ;   in Loop: Header=BB928_15 Depth=1
	s_or_b64 exec, exec, s[6:7]
.LBB928_183:                            ;   in Loop: Header=BB928_15 Depth=1
	s_or_b64 exec, exec, s[4:5]
	s_waitcnt vmcnt(0)
	v_cmp_ne_u16_sdwa s[6:7], v26, v31 src0_sel:BYTE_0 src1_sel:DWORD
	s_and_saveexec_b64 s[4:5], s[6:7]
	s_cbranch_execz .LBB928_189
; %bb.184:                              ;   in Loop: Header=BB928_15 Depth=1
	v_cmp_ne_u16_sdwa s[10:11], v26, s13 src0_sel:BYTE_0 src1_sel:DWORD
	v_mov_b32_e32 v35, 0xffff8000
	s_and_saveexec_b64 s[6:7], s[10:11]
	s_cbranch_execz .LBB928_188
; %bb.185:                              ;   in Loop: Header=BB928_15 Depth=1
	v_and_b32_e32 v28, 0x7f, v26
	v_cmp_ne_u32_e32 vcc, s14, v28
	v_mov_b32_e32 v35, 0x7f80
	s_and_saveexec_b64 s[10:11], vcc
	s_cbranch_execz .LBB928_187
; %bb.186:                              ;   in Loop: Header=BB928_15 Depth=1
	v_and_b32_e32 v30, 7, v26
	v_ffbh_u32_e32 v37, v30
	v_min_u32_e32 v37, 32, v37
	v_subrev_u32_e32 v38, 28, v37
	v_lshlrev_b64 v[38:39], v38, v[26:27]
	v_lshrrev_b32_e32 v35, 3, v28
	v_sub_u32_e32 v37, 29, v37
	v_and_b32_e32 v38, 7, v38
	v_cmp_gt_u32_e32 vcc, 8, v28
	v_cndmask_b32_e32 v28, v35, v37, vcc
	v_cndmask_b32_e32 v30, v30, v38, vcc
	v_lshlrev_b32_e32 v35, 24, v26
	v_lshlrev_b32_e32 v30, 20, v30
	v_and_b32_e32 v35, 0x80000000, v35
	v_lshl_add_u32 v28, v28, 23, v33
	v_or3_b32 v28, v35, v28, v30
	v_lshrrev_b32_e32 v35, 16, v28
.LBB928_187:                            ;   in Loop: Header=BB928_15 Depth=1
	s_or_b64 exec, exec, s[10:11]
.LBB928_188:                            ;   in Loop: Header=BB928_15 Depth=1
	s_or_b64 exec, exec, s[6:7]
.LBB928_189:                            ;   in Loop: Header=BB928_15 Depth=1
	s_or_b64 exec, exec, s[4:5]
	v_lshrrev_b16_e32 v28, 8, v26
	v_cmp_ne_u16_e32 vcc, 0, v28
	v_mov_b32_e32 v37, 0
	v_mov_b32_e32 v30, 0
	s_and_saveexec_b64 s[4:5], vcc
	s_cbranch_execz .LBB928_195
; %bb.190:                              ;   in Loop: Header=BB928_15 Depth=1
	v_cmp_ne_u16_e32 vcc, s13, v28
	v_mov_b32_e32 v30, 0xffff8000
	s_and_saveexec_b64 s[6:7], vcc
	s_cbranch_execz .LBB928_194
; %bb.191:                              ;   in Loop: Header=BB928_15 Depth=1
	v_and_b32_e32 v38, 0x7f, v28
	v_cmp_ne_u32_e32 vcc, s14, v38
	v_mov_b32_e32 v30, 0x7f80
	s_and_saveexec_b64 s[10:11], vcc
	s_cbranch_execz .LBB928_193
; %bb.192:                              ;   in Loop: Header=BB928_15 Depth=1
	v_and_b32_e32 v30, 7, v28
	v_ffbh_u32_e32 v40, v30
	v_min_u32_e32 v42, 32, v40
	v_subrev_u32_e32 v40, 28, v42
	v_lshlrev_b64 v[40:41], v40, v[28:29]
	v_lshrrev_b32_e32 v39, 3, v38
	v_sub_u32_e32 v28, 29, v42
	v_and_b32_e32 v40, 7, v40
	v_cmp_gt_u32_e32 vcc, 8, v38
	v_cndmask_b32_e32 v28, v39, v28, vcc
	v_cndmask_b32_e32 v30, v30, v40, vcc
	v_lshlrev_b32_e32 v38, 16, v26
	v_lshlrev_b32_e32 v30, 20, v30
	v_and_b32_e32 v38, 0x80000000, v38
	v_lshl_add_u32 v28, v28, 23, v33
	v_or3_b32 v28, v38, v28, v30
	v_lshrrev_b32_e32 v30, 16, v28
.LBB928_193:                            ;   in Loop: Header=BB928_15 Depth=1
	s_or_b64 exec, exec, s[10:11]
.LBB928_194:                            ;   in Loop: Header=BB928_15 Depth=1
	s_or_b64 exec, exec, s[6:7]
.LBB928_195:                            ;   in Loop: Header=BB928_15 Depth=1
	s_or_b64 exec, exec, s[4:5]
	v_lshrrev_b32_e32 v28, 16, v26
	v_cmp_ne_u16_sdwa s[6:7], v28, v31 src0_sel:BYTE_0 src1_sel:DWORD
	s_and_saveexec_b64 s[4:5], s[6:7]
	s_cbranch_execz .LBB928_201
; %bb.196:                              ;   in Loop: Header=BB928_15 Depth=1
	v_cmp_ne_u16_sdwa s[10:11], v28, s13 src0_sel:BYTE_0 src1_sel:DWORD
	v_mov_b32_e32 v37, 0xffff8000
	s_and_saveexec_b64 s[6:7], s[10:11]
	s_cbranch_execz .LBB928_200
; %bb.197:                              ;   in Loop: Header=BB928_15 Depth=1
	v_bfe_u32 v38, v26, 16, 7
	v_cmp_ne_u32_e32 vcc, s14, v38
	v_mov_b32_e32 v37, 0x7f80
	s_and_saveexec_b64 s[10:11], vcc
	s_cbranch_execz .LBB928_199
; %bb.198:                              ;   in Loop: Header=BB928_15 Depth=1
	v_and_b32_e32 v37, 7, v28
	v_ffbh_u32_e32 v40, v37
	v_min_u32_e32 v42, 32, v40
	v_subrev_u32_e32 v40, 28, v42
	v_lshlrev_b64 v[40:41], v40, v[28:29]
	v_lshrrev_b32_e32 v39, 3, v38
	v_sub_u32_e32 v41, 29, v42
	v_and_b32_e32 v40, 7, v40
	v_cmp_gt_u32_e32 vcc, 8, v38
	v_cndmask_b32_e32 v38, v39, v41, vcc
	v_cndmask_b32_e32 v37, v37, v40, vcc
	v_lshlrev_b32_e32 v28, 24, v28
	v_lshlrev_b32_e32 v37, 20, v37
	v_and_b32_e32 v28, 0x80000000, v28
	v_lshl_add_u32 v38, v38, 23, v33
	v_or3_b32 v28, v28, v38, v37
	v_lshrrev_b32_e32 v37, 16, v28
.LBB928_199:                            ;   in Loop: Header=BB928_15 Depth=1
	s_or_b64 exec, exec, s[10:11]
.LBB928_200:                            ;   in Loop: Header=BB928_15 Depth=1
	s_or_b64 exec, exec, s[6:7]
.LBB928_201:                            ;   in Loop: Header=BB928_15 Depth=1
	s_or_b64 exec, exec, s[4:5]
	v_cmp_lt_u32_e32 vcc, s15, v26
	v_mov_b32_e32 v38, 0
	s_and_saveexec_b64 s[4:5], vcc
	s_cbranch_execz .LBB928_14
; %bb.202:                              ;   in Loop: Header=BB928_15 Depth=1
	v_lshrrev_b32_e32 v28, 24, v26
	v_cmp_ne_u32_e32 vcc, s13, v28
	v_mov_b32_e32 v38, 0xffff8000
	s_and_saveexec_b64 s[6:7], vcc
	s_cbranch_execz .LBB928_13
; %bb.203:                              ;   in Loop: Header=BB928_15 Depth=1
	v_bfe_u32 v26, v26, 24, 7
	v_cmp_ne_u32_e32 vcc, s14, v26
	v_mov_b32_e32 v38, 0x7f80
	s_and_saveexec_b64 s[10:11], vcc
	s_cbranch_execz .LBB928_12
; %bb.204:                              ;   in Loop: Header=BB928_15 Depth=1
	v_and_b32_e32 v40, 7, v28
	v_ffbh_u32_e32 v38, v40
	v_min_u32_e32 v42, 32, v38
	v_subrev_u32_e32 v38, 28, v42
	v_lshlrev_b64 v[38:39], v38, v[28:29]
	v_lshrrev_b32_e32 v41, 3, v26
	v_sub_u32_e32 v39, 29, v42
	v_and_b32_e32 v38, 7, v38
	v_cmp_gt_u32_e32 vcc, 8, v26
	v_cndmask_b32_e32 v26, v41, v39, vcc
	v_cndmask_b32_e32 v38, v40, v38, vcc
	v_lshlrev_b32_e32 v28, 24, v28
	v_lshlrev_b32_e32 v38, 20, v38
	v_and_b32_e32 v28, 0x80000000, v28
	v_lshl_add_u32 v26, v26, 23, v33
	v_or3_b32 v26, v28, v26, v38
	v_lshrrev_b32_e32 v38, 16, v26
	s_branch .LBB928_12
.LBB928_205:
	buffer_load_dword v13, off, s[0:3], 0 offset:256
	buffer_load_dword v14, off, s[0:3], 0 offset:260
	;; [unrolled: 1-line block ×16, first 2 shown]
	v_and_b32_e32 v12, 0xc0, v0
	v_add_u32_e32 v12, s20, v12
	v_lshl_or_b32 v12, v55, 2, v12
	v_or_b32_e32 v23, 1, v12
	v_mov_b32_e32 v19, 0xff7fffff
	v_or_b32_e32 v24, 2, v12
	v_or_b32_e32 v25, 3, v12
	v_cmp_gt_i32_e64 s[26:27], s33, v12
	v_cmp_gt_i32_e64 s[28:29], s33, v23
	s_mov_b32 s52, 0xff7fffff
	v_or_b32_e32 v26, 16, v12
	v_or_b32_e32 v27, 17, v12
	;; [unrolled: 1-line block ×12, first 2 shown]
	v_cmp_gt_i32_e64 s[30:31], s33, v24
	v_cmp_gt_i32_e64 s[34:35], s33, v25
	v_mbcnt_lo_u32_b32 v20, -1, 0
	v_cmp_gt_i32_e64 s[36:37], s33, v26
	v_cmp_gt_i32_e64 s[38:39], s33, v27
	v_mbcnt_hi_u32_b32 v20, -1, v20
	v_cmp_gt_i32_e64 s[20:21], s33, v28
	v_cmp_gt_i32_e64 s[22:23], s33, v29
	v_and_b32_e32 v21, 64, v20
	v_cmp_gt_i32_e64 s[16:17], s33, v30
	v_cmp_gt_i32_e64 s[18:19], s33, v31
	v_xor_b32_e32 v22, 32, v20
	v_add_u32_e32 v21, 64, v21
	v_cmp_gt_i32_e64 s[12:13], s33, v32
	v_cmp_gt_i32_e64 s[14:15], s33, v33
	v_cmp_lt_i32_e32 vcc, v22, v21
	v_cmp_gt_i32_e64 s[6:7], s33, v34
	v_cmp_gt_i32_e64 s[10:11], s33, v35
	v_cndmask_b32_e32 v22, v20, v22, vcc
	v_cmp_gt_i32_e32 vcc, s33, v36
	v_cmp_gt_i32_e64 s[4:5], s33, v37
	v_lshlrev_b32_e32 v22, 2, v22
	s_waitcnt vmcnt(15)
	v_cndmask_b32_e64 v12, v19, v13, s[26:27]
	s_waitcnt vmcnt(14)
	v_cndmask_b32_e64 v23, v19, v14, s[28:29]
	s_waitcnt vmcnt(13)
	v_cndmask_b32_e64 v24, v19, v15, s[30:31]
	s_waitcnt vmcnt(12)
	v_cndmask_b32_e64 v25, v19, v16, s[34:35]
	v_max3_f32 v12, v12, s52, v23
	s_waitcnt vmcnt(11)
	v_cndmask_b32_e64 v26, v19, v17, s[36:37]
	s_waitcnt vmcnt(10)
	v_cndmask_b32_e64 v27, v19, v18, s[38:39]
	v_max3_f32 v12, v12, v24, v25
	s_waitcnt vmcnt(9)
	v_cndmask_b32_e64 v28, v19, v11, s[20:21]
	s_waitcnt vmcnt(8)
	v_cndmask_b32_e64 v29, v19, v10, s[22:23]
	;; [unrolled: 5-line block ×5, first 2 shown]
	v_max3_f32 v12, v12, v32, v33
	s_waitcnt vmcnt(1)
	v_cndmask_b32_e32 v36, v19, v3, vcc
	s_waitcnt vmcnt(0)
	v_cndmask_b32_e64 v19, v19, v2, s[4:5]
	v_max3_f32 v12, v12, v34, v35
	v_max3_f32 v12, v12, v36, v19
	ds_bpermute_b32 v19, v22, v12
	v_xor_b32_e32 v23, 16, v20
	v_cmp_lt_i32_e64 s[40:41], v23, v21
	v_cndmask_b32_e64 v20, v20, v23, s[40:41]
	v_lshlrev_b32_e32 v20, 2, v20
	s_waitcnt lgkmcnt(0)
	v_max_f32_e32 v19, v19, v19
	v_max_f32_e32 v12, v12, v19
	ds_bpermute_b32 v19, v20, v12
	s_waitcnt lgkmcnt(0)
	v_max_f32_e32 v19, v19, v19
	v_max_f32_e32 v12, v12, v19
	v_sub_f32_e32 v13, v13, v12
	v_sub_f32_e32 v14, v14, v12
	;; [unrolled: 1-line block ×3, first 2 shown]
	v_mul_f32_e32 v13, 0x3fb8aa3b, v13
	v_mul_f32_e32 v14, 0x3fb8aa3b, v14
	;; [unrolled: 1-line block ×3, first 2 shown]
	v_exp_f32_e32 v13, v13
	v_exp_f32_e32 v14, v14
	;; [unrolled: 1-line block ×3, first 2 shown]
	v_sub_f32_e32 v16, v16, v12
	v_cndmask_b32_e64 v13, 0, v13, s[26:27]
	v_mul_f32_e32 v16, 0x3fb8aa3b, v16
	v_cndmask_b32_e64 v14, 0, v14, s[28:29]
	v_cndmask_b32_e64 v15, 0, v15, s[30:31]
	v_add_f32_e32 v19, 0, v13
	buffer_store_dword v13, off, s[0:3], 0 offset:256
	buffer_store_dword v14, off, s[0:3], 0 offset:260
	;; [unrolled: 1-line block ×3, first 2 shown]
	v_sub_f32_e32 v13, v17, v12
	v_exp_f32_e32 v16, v16
	v_add_f32_e32 v19, v19, v14
	v_mul_f32_e32 v13, 0x3fb8aa3b, v13
	v_sub_f32_e32 v14, v18, v12
	v_exp_f32_e32 v13, v13
	v_mul_f32_e32 v14, 0x3fb8aa3b, v14
	v_sub_f32_e32 v11, v11, v12
	v_exp_f32_e32 v14, v14
	;; [unrolled: 3-line block ×3, first 2 shown]
	v_mul_f32_e32 v10, 0x3fb8aa3b, v10
	v_sub_f32_e32 v9, v9, v12
	v_cndmask_b32_e64 v16, 0, v16, s[34:35]
	v_add_f32_e32 v19, v19, v15
	v_exp_f32_e32 v10, v10
	v_mul_f32_e32 v9, 0x3fb8aa3b, v9
	v_sub_f32_e32 v8, v8, v12
	v_add_f32_e32 v19, v19, v16
	v_cndmask_b32_e64 v13, 0, v13, s[36:37]
	v_exp_f32_e32 v9, v9
	v_mul_f32_e32 v8, 0x3fb8aa3b, v8
	v_sub_f32_e32 v7, v7, v12
	v_add_f32_e32 v15, v19, v13
	v_cndmask_b32_e64 v14, 0, v14, s[38:39]
	;; [unrolled: 5-line block ×5, first 2 shown]
	v_exp_f32_e32 v5, v5
	v_mul_f32_e32 v4, 0x3fb8aa3b, v4
	v_sub_f32_e32 v3, v3, v12
	buffer_store_dword v16, off, s[0:3], 0 offset:268
	buffer_store_dword v13, off, s[0:3], 0 offset:272
	;; [unrolled: 1-line block ×5, first 2 shown]
	v_add_f32_e32 v10, v15, v9
	v_cndmask_b32_e64 v8, 0, v8, s[18:19]
	v_exp_f32_e32 v4, v4
	v_mul_f32_e32 v3, 0x3fb8aa3b, v3
	v_sub_f32_e32 v2, v2, v12
	v_add_f32_e32 v10, v10, v8
	v_cndmask_b32_e64 v7, 0, v7, s[12:13]
	v_exp_f32_e32 v3, v3
	v_mul_f32_e32 v2, 0x3fb8aa3b, v2
	v_add_f32_e32 v10, v10, v7
	v_cndmask_b32_e64 v6, 0, v6, s[14:15]
	v_exp_f32_e32 v2, v2
	v_add_f32_e32 v10, v10, v6
	v_cndmask_b32_e64 v5, 0, v5, s[6:7]
	buffer_store_dword v9, off, s[0:3], 0 offset:288
	buffer_store_dword v8, off, s[0:3], 0 offset:292
	;; [unrolled: 1-line block ×4, first 2 shown]
	v_add_f32_e32 v6, v10, v5
	v_cndmask_b32_e64 v4, 0, v4, s[10:11]
	v_add_f32_e32 v6, v6, v4
	v_cndmask_b32_e32 v3, 0, v3, vcc
	v_add_f32_e32 v6, v6, v3
	v_cndmask_b32_e64 v2, 0, v2, s[4:5]
	v_add_f32_e32 v6, v6, v2
	ds_bpermute_b32 v7, v22, v6
	buffer_store_dword v5, off, s[0:3], 0 offset:304
	buffer_store_dword v4, off, s[0:3], 0 offset:308
	;; [unrolled: 1-line block ×4, first 2 shown]
	v_cmp_gt_u32_e32 vcc, 16, v63
	s_waitcnt lgkmcnt(0)
	s_barrier
	v_add_f32_e32 v2, v6, v7
	ds_bpermute_b32 v3, v20, v2
	s_waitcnt lgkmcnt(0)
	s_and_saveexec_b64 s[4:5], vcc
	s_cbranch_execz .LBB928_207
; %bb.206:
	v_add_f32_e32 v2, v2, v3
	v_lshlrev_b32_e32 v3, 2, v62
	ds_write2st64_b32 v3, v12, v2 offset1:1
.LBB928_207:
	s_or_b64 exec, exec, s[4:5]
	v_lshlrev_b32_e32 v2, 2, v56
	s_waitcnt lgkmcnt(0)
	s_barrier
	ds_read2_b32 v[14:15], v2 offset1:16
	ds_read2_b32 v[16:17], v2 offset0:32 offset1:48
	ds_read2_b32 v[6:7], v2 offset0:64 offset1:80
	;; [unrolled: 1-line block ×3, first 2 shown]
	s_waitcnt lgkmcnt(0)
	s_barrier
	buffer_load_dword v22, off, s[0:3], 0 offset:264
	buffer_load_dword v23, off, s[0:3], 0 offset:268
	;; [unrolled: 1-line block ×16, first 2 shown]
	v_max3_f32 v20, v14, s52, v15
	v_max3_f32 v20, v20, v16, v17
	v_sub_f32_e32 v14, v14, v20
	v_sub_f32_e32 v15, v15, v20
	v_mul_f32_e32 v14, 0x3fb8aa3b, v14
	v_sub_f32_e32 v16, v16, v20
	v_mul_f32_e32 v15, 0x3fb8aa3b, v15
	v_exp_f32_e32 v14, v14
	v_sub_f32_e32 v17, v17, v20
	v_mul_f32_e32 v16, 0x3fb8aa3b, v16
	v_exp_f32_e32 v15, v15
	v_mul_f32_e32 v17, 0x3fb8aa3b, v17
	v_exp_f32_e32 v16, v16
	v_exp_f32_e32 v17, v17
	v_fma_f32 v6, v14, v6, 0
	v_fmac_f32_e32 v6, v15, v7
	v_fmac_f32_e32 v6, v16, v12
	;; [unrolled: 1-line block ×3, first 2 shown]
	v_cmp_eq_u32_e32 vcc, 1, v61
	v_add_f32_e32 v12, 0x358637bd, v6
	v_cndmask_b32_e32 v14, v14, v15, vcc
	v_cmp_eq_u32_e32 vcc, 2, v61
	v_div_scale_f32 v13, s[4:5], v12, v12, 1.0
	v_cndmask_b32_e32 v7, v14, v16, vcc
	v_rcp_f32_e32 v14, v13
	v_cmp_eq_u32_e32 vcc, 3, v61
	v_cndmask_b32_e32 v7, v7, v17, vcc
	v_div_scale_f32 v15, vcc, 1.0, v12, 1.0
	v_fma_f32 v16, -v13, v14, 1.0
	v_fmac_f32_e32 v14, v16, v14
	v_mul_f32_e32 v16, v15, v14
	v_fma_f32 v17, -v13, v16, v15
	v_fmac_f32_e32 v16, v17, v14
	v_fma_f32 v13, -v13, v16, v15
	v_div_fmas_f32 v13, v13, v14, v16
	v_div_fixup_f32 v12, v13, v12, 1.0
	v_mul_f32_e32 v12, v7, v12
	s_movk_i32 s19, 0x7fff
	s_mov_b32 s20, 0x7060302
	s_mul_i32 s18, s51, 3
	v_cmp_gt_u32_e32 vcc, 3, v0
	s_waitcnt vmcnt(14)
	v_pk_mul_f32 v[14:15], v[12:13], v[22:23] op_sel_hi:[0,1]
	v_bfe_u32 v21, v15, 16, 1
	s_waitcnt vmcnt(12)
	v_pk_mul_f32 v[16:17], v[12:13], v[24:25] op_sel_hi:[0,1]
	v_bfe_u32 v7, v17, 16, 1
	v_bfe_u32 v13, v16, 16, 1
	;; [unrolled: 1-line block ×3, first 2 shown]
	v_add3_u32 v13, v16, v13, s19
	v_add3_u32 v7, v17, v7, s19
	buffer_store_dword v16, off, s[0:3], 0 offset:256
	buffer_store_dword v17, off, s[0:3], 0 offset:260
	;; [unrolled: 1-line block ×4, first 2 shown]
	v_add3_u32 v16, v14, v22, s19
	v_add3_u32 v15, v15, v21, s19
	v_perm_b32 v14, v7, v13, s20
	v_lshlrev_b32_e32 v13, 3, v55
	v_perm_b32 v15, v15, v16, s20
	v_lshlrev_b32_e32 v7, 5, v56
	v_lshlrev_b32_e32 v16, 11, v61
	s_waitcnt vmcnt(12)
	v_pk_mul_f32 v[8:9], v[12:13], v[8:9] op_sel_hi:[0,1]
	v_or3_b32 v39, v16, v7, v13
	v_pk_mul_f32 v[10:11], v[12:13], v[10:11] op_sel_hi:[0,1]
	v_bfe_u32 v13, v9, 16, 1
	v_bfe_u32 v16, v8, 16, 1
	buffer_store_dword v8, off, s[0:3], 0 offset:272
	buffer_store_dword v9, off, s[0:3], 0 offset:276
	;; [unrolled: 1-line block ×4, first 2 shown]
	v_add3_u32 v8, v8, v16, s19
	v_add3_u32 v9, v9, v13, s19
	v_perm_b32 v8, v9, v8, s20
	v_bfe_u32 v9, v11, 16, 1
	v_bfe_u32 v13, v10, 16, 1
	v_add3_u32 v10, v10, v13, s19
	v_add3_u32 v9, v11, v9, s19
	v_perm_b32 v9, v9, v10, s20
	s_waitcnt vmcnt(14)
	v_pk_mul_f32 v[10:11], v[12:13], v[18:19] op_sel_hi:[0,1]
	ds_write2st64_b64 v39, v[14:15], v[8:9] offset1:1
	s_waitcnt vmcnt(12)
	v_pk_mul_f32 v[8:9], v[12:13], v[26:27] op_sel_hi:[0,1]
	v_bfe_u32 v13, v11, 16, 1
	v_bfe_u32 v14, v10, 16, 1
	buffer_store_dword v10, off, s[0:3], 0 offset:288
	buffer_store_dword v11, off, s[0:3], 0 offset:292
	;; [unrolled: 1-line block ×4, first 2 shown]
	v_add3_u32 v10, v10, v14, s19
	v_add3_u32 v11, v11, v13, s19
	v_perm_b32 v10, v11, v10, s20
	v_bfe_u32 v11, v9, 16, 1
	v_bfe_u32 v13, v8, 16, 1
	v_add3_u32 v8, v8, v13, s19
	v_add3_u32 v9, v9, v11, s19
	s_waitcnt vmcnt(14)
	v_pk_mul_f32 v[2:3], v[12:13], v[2:3] op_sel_hi:[0,1]
	v_perm_b32 v11, v9, v8, s20
	v_bfe_u32 v8, v3, 16, 1
	v_bfe_u32 v9, v2, 16, 1
	s_waitcnt vmcnt(12)
	v_pk_mul_f32 v[4:5], v[12:13], v[4:5] op_sel_hi:[0,1]
	buffer_store_dword v2, off, s[0:3], 0 offset:304
	buffer_store_dword v3, off, s[0:3], 0 offset:308
	;; [unrolled: 1-line block ×4, first 2 shown]
	v_add3_u32 v2, v2, v9, s19
	v_add3_u32 v3, v3, v8, s19
	v_perm_b32 v2, v3, v2, s20
	v_bfe_u32 v3, v5, 16, 1
	v_bfe_u32 v8, v4, 16, 1
	v_add3_u32 v4, v4, v8, s19
	v_add3_u32 v3, v5, v3, s19
	v_perm_b32 v3, v3, v4, s20
	ds_write2st64_b64 v39, v[10:11], v[2:3] offset0:2 offset1:3
	s_and_saveexec_b64 s[4:5], vcc
	s_cbranch_execz .LBB928_209
; %bb.208:
	v_add_co_u32_e32 v4, vcc, s25, v56
	v_addc_co_u32_e64 v5, s[6:7], 0, 0, vcc
	v_mov_b32_e32 v2, s18
	v_mad_u64_u32 v[4:5], s[6:7], s8, v2, v[4:5]
	v_mov_b32_e32 v3, 0
	s_mul_i32 s6, s9, s18
	v_mov_b32_e32 v2, s24
	v_add_u32_e32 v5, s6, v5
	v_mad_u64_u32 v[2:3], s[6:7], v4, s50, v[2:3]
	v_mov_b32_e32 v4, v3
	v_mad_u64_u32 v[4:5], s[6:7], v5, s50, v[4:5]
	v_mov_b32_e32 v3, v4
	v_lshlrev_b64 v[2:3], 2, v[2:3]
	v_mov_b32_e32 v5, s47
	v_add_co_u32_e32 v4, vcc, s46, v2
	v_addc_co_u32_e32 v5, vcc, v5, v3, vcc
	global_store_dword v[4:5], v20, off
	v_mov_b32_e32 v4, s45
	v_add_co_u32_e32 v2, vcc, s44, v2
	v_addc_co_u32_e32 v3, vcc, v4, v3, vcc
	global_store_dword v[2:3], v6, off
.LBB928_209:
	s_or_b64 exec, exec, s[4:5]
	v_lshl_or_b32 v30, v55, 9, v7
	s_waitcnt lgkmcnt(0)
	s_barrier
	s_load_dword s4, s[42:43], 0x0
	ds_read_b128 v[2:5], v30
	ds_read_b128 v[6:9], v30 offset:16
	ds_read_b128 v[10:13], v30 offset:2048
	;; [unrolled: 1-line block ×7, first 2 shown]
	v_mov_b32_e32 v35, 0x80
	v_mov_b32_e32 v41, 0x140
	s_mov_b64 s[10:11], -1
	s_waitcnt lgkmcnt(0)
	s_mov_b32 s5, s4
	s_mov_b32 s6, s4
	;; [unrolled: 1-line block ×3, first 2 shown]
	s_movk_i32 s9, 0x80
	s_movk_i32 s21, 0x7f
	s_mov_b32 s22, 0xffffff
	s_mov_b32 s23, 0x5040100
	v_mov_b32_e32 v43, 0
	v_bfrev_b32_e32 v45, 60
	s_branch .LBB928_213
.LBB928_210:                            ;   in Loop: Header=BB928_213 Depth=1
	s_or_b64 exec, exec, s[16:17]
.LBB928_211:                            ;   in Loop: Header=BB928_213 Depth=1
	s_or_b64 exec, exec, s[14:15]
.LBB928_212:                            ;   in Loop: Header=BB928_213 Depth=1
	s_or_b64 exec, exec, s[12:13]
	v_perm_b32 v61, v52, v50, s23
	v_perm_b32 v60, v44, v46, s23
	s_xor_b64 s[12:13], s[10:11], -1
	s_mov_b64 s[10:11], 0
	v_mov_b32_e32 v46, v48
	v_mfma_f32_16x16x16bf16_1k v[60:63], v[60:61], v[30:31], v[34:37]
	s_and_b64 vcc, exec, s[12:13]
	s_nop 5
	v_perm_b32 v37, v59, v53, s23
	v_perm_b32 v36, v42, v51, s23
	v_mov_b32_e32 v35, v47
	v_mov_b32_e32 v59, v58
	v_mfma_f32_16x16x16bf16_1k v[50:53], v[36:37], v[32:33], v[60:63]
	s_nop 6
	v_mov_b32_e32 v60, v49
	s_nop 2
	v_pk_mul_f32 v[50:51], v[50:51], s[4:5]
	v_pk_mul_f32 v[36:37], v[52:53], s[6:7]
	v_bfe_u32 v34, v51, 16, 1
	v_bfe_u32 v38, v50, 16, 1
	;; [unrolled: 1-line block ×4, first 2 shown]
	v_add3_u32 v38, v50, v38, s19
	v_add3_u32 v34, v51, v34, s19
	;; [unrolled: 1-line block ×4, first 2 shown]
	v_perm_b32 v34, v34, v38, s20
	v_perm_b32 v36, v37, v36, s20
	buffer_store_dword v34, v41, s[0:3], 0 offen
	buffer_store_dword v36, v41, s[0:3], 0 offen offset:4
	v_mov_b32_e32 v41, 0x148
	s_cbranch_vccnz .LBB928_595
.LBB928_213:                            ; =>This Inner Loop Header: Depth=1
	buffer_load_dword v36, v35, s[0:3], 0 offen
	buffer_load_dword v34, v35, s[0:3], 0 offen offset:4
	buffer_load_dword v40, v35, s[0:3], 0 offen offset:8
	buffer_load_dword v38, v35, s[0:3], 0 offen offset:12
	v_mov_b32_e32 v35, 0
	s_waitcnt vmcnt(3)
	v_cmp_ne_u16_sdwa s[14:15], v36, v43 src0_sel:BYTE_0 src1_sel:DWORD
	s_and_saveexec_b64 s[12:13], s[14:15]
	s_cbranch_execz .LBB928_219
; %bb.214:                              ;   in Loop: Header=BB928_213 Depth=1
	v_cmp_ne_u16_sdwa s[16:17], v36, s9 src0_sel:BYTE_0 src1_sel:DWORD
	v_mov_b32_e32 v35, 0xffff8000
	s_and_saveexec_b64 s[14:15], s[16:17]
	s_cbranch_execz .LBB928_218
; %bb.215:                              ;   in Loop: Header=BB928_213 Depth=1
	v_and_b32_e32 v37, 0x7f, v36
	v_cmp_ne_u32_e32 vcc, s21, v37
	v_mov_b32_e32 v35, 0x7f80
	s_and_saveexec_b64 s[16:17], vcc
	s_cbranch_execz .LBB928_217
; %bb.216:                              ;   in Loop: Header=BB928_213 Depth=1
	v_and_b32_e32 v35, 7, v36
	v_ffbh_u32_e32 v44, v35
	v_min_u32_e32 v44, 32, v44
	v_subrev_u32_e32 v50, 28, v44
	v_lshlrev_b64 v[50:51], v50, v[36:37]
	v_lshrrev_b32_e32 v42, 3, v37
	v_sub_u32_e32 v44, 29, v44
	v_and_b32_e32 v50, 7, v50
	v_cmp_gt_u32_e32 vcc, 8, v37
	v_cndmask_b32_e32 v37, v42, v44, vcc
	v_cndmask_b32_e32 v35, v35, v50, vcc
	v_lshlrev_b32_e32 v42, 24, v36
	v_lshlrev_b32_e32 v35, 20, v35
	v_and_b32_e32 v42, 0x80000000, v42
	v_lshl_add_u32 v37, v37, 23, v45
	v_or3_b32 v35, v42, v37, v35
	v_lshrrev_b32_e32 v35, 16, v35
.LBB928_217:                            ;   in Loop: Header=BB928_213 Depth=1
	s_or_b64 exec, exec, s[16:17]
.LBB928_218:                            ;   in Loop: Header=BB928_213 Depth=1
	s_or_b64 exec, exec, s[14:15]
.LBB928_219:                            ;   in Loop: Header=BB928_213 Depth=1
	s_or_b64 exec, exec, s[12:13]
	v_lshrrev_b16_e32 v42, 8, v36
	v_cmp_ne_u16_e32 vcc, 0, v42
	v_mov_b32_e32 v50, 0
	v_mov_b32_e32 v37, 0
	s_and_saveexec_b64 s[12:13], vcc
	s_cbranch_execz .LBB928_225
; %bb.220:                              ;   in Loop: Header=BB928_213 Depth=1
	v_cmp_ne_u16_e32 vcc, s9, v42
	v_mov_b32_e32 v37, 0xffff8000
	s_and_saveexec_b64 s[14:15], vcc
	s_cbranch_execz .LBB928_224
; %bb.221:                              ;   in Loop: Header=BB928_213 Depth=1
	v_and_b32_e32 v44, 0x7f, v42
	v_cmp_ne_u32_e32 vcc, s21, v44
	v_mov_b32_e32 v37, 0x7f80
	s_and_saveexec_b64 s[16:17], vcc
	s_cbranch_execz .LBB928_223
; %bb.222:                              ;   in Loop: Header=BB928_213 Depth=1
	v_and_b32_e32 v37, 7, v42
	v_ffbh_u32_e32 v52, v37
	v_min_u32_e32 v61, 32, v52
	v_subrev_u32_e32 v52, 28, v61
	v_lshlrev_b64 v[52:53], v52, v[42:43]
	v_lshrrev_b32_e32 v51, 3, v44
	v_sub_u32_e32 v42, 29, v61
	v_and_b32_e32 v52, 7, v52
	v_cmp_gt_u32_e32 vcc, 8, v44
	v_cndmask_b32_e32 v42, v51, v42, vcc
	v_cndmask_b32_e32 v37, v37, v52, vcc
	v_lshlrev_b32_e32 v44, 16, v36
	v_lshlrev_b32_e32 v37, 20, v37
	v_and_b32_e32 v44, 0x80000000, v44
	v_lshl_add_u32 v42, v42, 23, v45
	v_or3_b32 v37, v44, v42, v37
	v_lshrrev_b32_e32 v37, 16, v37
.LBB928_223:                            ;   in Loop: Header=BB928_213 Depth=1
	s_or_b64 exec, exec, s[16:17]
.LBB928_224:                            ;   in Loop: Header=BB928_213 Depth=1
	s_or_b64 exec, exec, s[14:15]
.LBB928_225:                            ;   in Loop: Header=BB928_213 Depth=1
	s_or_b64 exec, exec, s[12:13]
	v_lshrrev_b32_e32 v42, 16, v36
	v_cmp_ne_u16_sdwa s[14:15], v42, v43 src0_sel:BYTE_0 src1_sel:DWORD
	s_and_saveexec_b64 s[12:13], s[14:15]
	s_cbranch_execz .LBB928_231
; %bb.226:                              ;   in Loop: Header=BB928_213 Depth=1
	v_cmp_ne_u16_sdwa s[16:17], v42, s9 src0_sel:BYTE_0 src1_sel:DWORD
	v_mov_b32_e32 v50, 0xffff8000
	s_and_saveexec_b64 s[14:15], s[16:17]
	s_cbranch_execz .LBB928_230
; %bb.227:                              ;   in Loop: Header=BB928_213 Depth=1
	v_bfe_u32 v44, v36, 16, 7
	v_cmp_ne_u32_e32 vcc, s21, v44
	v_mov_b32_e32 v50, 0x7f80
	s_and_saveexec_b64 s[16:17], vcc
	s_cbranch_execz .LBB928_229
; %bb.228:                              ;   in Loop: Header=BB928_213 Depth=1
	v_and_b32_e32 v52, 7, v42
	v_ffbh_u32_e32 v50, v52
	v_min_u32_e32 v61, 32, v50
	v_subrev_u32_e32 v50, 28, v61
	v_lshlrev_b64 v[50:51], v50, v[42:43]
	v_lshrrev_b32_e32 v53, 3, v44
	v_sub_u32_e32 v51, 29, v61
	v_and_b32_e32 v50, 7, v50
	v_cmp_gt_u32_e32 vcc, 8, v44
	v_cndmask_b32_e32 v44, v53, v51, vcc
	v_cndmask_b32_e32 v50, v52, v50, vcc
	v_lshlrev_b32_e32 v42, 24, v42
	v_lshlrev_b32_e32 v50, 20, v50
	v_and_b32_e32 v42, 0x80000000, v42
	v_lshl_add_u32 v44, v44, 23, v45
	v_or3_b32 v42, v42, v44, v50
	v_lshrrev_b32_e32 v50, 16, v42
.LBB928_229:                            ;   in Loop: Header=BB928_213 Depth=1
	s_or_b64 exec, exec, s[16:17]
.LBB928_230:                            ;   in Loop: Header=BB928_213 Depth=1
	s_or_b64 exec, exec, s[14:15]
.LBB928_231:                            ;   in Loop: Header=BB928_213 Depth=1
	s_or_b64 exec, exec, s[12:13]
	v_cmp_lt_u32_e32 vcc, s22, v36
	v_mov_b32_e32 v51, 0
	v_mov_b32_e32 v52, 0
	s_and_saveexec_b64 s[12:13], vcc
	s_cbranch_execz .LBB928_237
; %bb.232:                              ;   in Loop: Header=BB928_213 Depth=1
	v_lshrrev_b32_e32 v42, 24, v36
	v_cmp_ne_u32_e32 vcc, s9, v42
	v_mov_b32_e32 v52, 0xffff8000
	s_and_saveexec_b64 s[14:15], vcc
	s_cbranch_execz .LBB928_236
; %bb.233:                              ;   in Loop: Header=BB928_213 Depth=1
	v_bfe_u32 v36, v36, 24, 7
	v_cmp_ne_u32_e32 vcc, s21, v36
	v_mov_b32_e32 v52, 0x7f80
	s_and_saveexec_b64 s[16:17], vcc
	s_cbranch_execz .LBB928_235
; %bb.234:                              ;   in Loop: Header=BB928_213 Depth=1
	v_and_b32_e32 v44, 7, v42
	v_ffbh_u32_e32 v52, v44
	v_min_u32_e32 v62, 32, v52
	v_subrev_u32_e32 v52, 28, v62
	v_lshlrev_b64 v[52:53], v52, v[42:43]
	v_lshrrev_b32_e32 v61, 3, v36
	v_sub_u32_e32 v53, 29, v62
	v_and_b32_e32 v52, 7, v52
	v_cmp_gt_u32_e32 vcc, 8, v36
	v_cndmask_b32_e32 v36, v61, v53, vcc
	v_cndmask_b32_e32 v44, v44, v52, vcc
	v_lshlrev_b32_e32 v42, 24, v42
	v_lshlrev_b32_e32 v44, 20, v44
	v_and_b32_e32 v42, 0x80000000, v42
	v_lshl_add_u32 v36, v36, 23, v45
	v_or3_b32 v36, v42, v36, v44
	v_lshrrev_b32_e32 v52, 16, v36
.LBB928_235:                            ;   in Loop: Header=BB928_213 Depth=1
	s_or_b64 exec, exec, s[16:17]
.LBB928_236:                            ;   in Loop: Header=BB928_213 Depth=1
	s_or_b64 exec, exec, s[14:15]
.LBB928_237:                            ;   in Loop: Header=BB928_213 Depth=1
	s_or_b64 exec, exec, s[12:13]
	s_waitcnt vmcnt(2)
	v_cmp_ne_u16_sdwa s[14:15], v34, v43 src0_sel:BYTE_0 src1_sel:DWORD
	s_and_saveexec_b64 s[12:13], s[14:15]
	s_cbranch_execz .LBB928_243
; %bb.238:                              ;   in Loop: Header=BB928_213 Depth=1
	v_cmp_ne_u16_sdwa s[16:17], v34, s9 src0_sel:BYTE_0 src1_sel:DWORD
	v_mov_b32_e32 v51, 0xffff8000
	s_and_saveexec_b64 s[14:15], s[16:17]
	s_cbranch_execz .LBB928_242
; %bb.239:                              ;   in Loop: Header=BB928_213 Depth=1
	v_and_b32_e32 v36, 0x7f, v34
	v_cmp_ne_u32_e32 vcc, s21, v36
	v_mov_b32_e32 v51, 0x7f80
	s_and_saveexec_b64 s[16:17], vcc
	s_cbranch_execz .LBB928_241
; %bb.240:                              ;   in Loop: Header=BB928_213 Depth=1
	v_and_b32_e32 v42, 7, v34
	v_ffbh_u32_e32 v51, v42
	v_min_u32_e32 v51, 32, v51
	v_subrev_u32_e32 v53, 28, v51
	v_lshlrev_b64 v[62:63], v53, v[34:35]
	v_lshrrev_b32_e32 v44, 3, v36
	v_sub_u32_e32 v51, 29, v51
	v_and_b32_e32 v53, 7, v62
	v_cmp_gt_u32_e32 vcc, 8, v36
	v_cndmask_b32_e32 v36, v44, v51, vcc
	v_cndmask_b32_e32 v42, v42, v53, vcc
	v_lshlrev_b32_e32 v44, 24, v34
	v_lshlrev_b32_e32 v42, 20, v42
	v_and_b32_e32 v44, 0x80000000, v44
	v_lshl_add_u32 v36, v36, 23, v45
	v_or3_b32 v36, v44, v36, v42
	v_lshrrev_b32_e32 v51, 16, v36
.LBB928_241:                            ;   in Loop: Header=BB928_213 Depth=1
	s_or_b64 exec, exec, s[16:17]
.LBB928_242:                            ;   in Loop: Header=BB928_213 Depth=1
	s_or_b64 exec, exec, s[14:15]
.LBB928_243:                            ;   in Loop: Header=BB928_213 Depth=1
	s_or_b64 exec, exec, s[12:13]
	v_lshrrev_b16_e32 v36, 8, v34
	v_cmp_ne_u16_e32 vcc, 0, v36
	v_mov_b32_e32 v53, 0
	v_mov_b32_e32 v42, 0
	s_and_saveexec_b64 s[12:13], vcc
	s_cbranch_execz .LBB928_249
; %bb.244:                              ;   in Loop: Header=BB928_213 Depth=1
	v_cmp_ne_u16_e32 vcc, s9, v36
	v_mov_b32_e32 v42, 0xffff8000
	s_and_saveexec_b64 s[14:15], vcc
	s_cbranch_execz .LBB928_248
; %bb.245:                              ;   in Loop: Header=BB928_213 Depth=1
	v_and_b32_e32 v44, 0x7f, v36
	v_cmp_ne_u32_e32 vcc, s21, v44
	v_mov_b32_e32 v42, 0x7f80
	s_and_saveexec_b64 s[16:17], vcc
	s_cbranch_execz .LBB928_247
; %bb.246:                              ;   in Loop: Header=BB928_213 Depth=1
	v_and_b32_e32 v42, 7, v36
	v_ffbh_u32_e32 v62, v42
	v_min_u32_e32 v64, 32, v62
	v_subrev_u32_e32 v62, 28, v64
	v_lshlrev_b64 v[62:63], v62, v[36:37]
	v_lshrrev_b32_e32 v61, 3, v44
	v_sub_u32_e32 v36, 29, v64
	v_and_b32_e32 v62, 7, v62
	v_cmp_gt_u32_e32 vcc, 8, v44
	v_cndmask_b32_e32 v36, v61, v36, vcc
	v_cndmask_b32_e32 v42, v42, v62, vcc
	v_lshlrev_b32_e32 v44, 16, v34
	v_lshlrev_b32_e32 v42, 20, v42
	v_and_b32_e32 v44, 0x80000000, v44
	v_lshl_add_u32 v36, v36, 23, v45
	v_or3_b32 v36, v44, v36, v42
	v_lshrrev_b32_e32 v42, 16, v36
.LBB928_247:                            ;   in Loop: Header=BB928_213 Depth=1
	s_or_b64 exec, exec, s[16:17]
.LBB928_248:                            ;   in Loop: Header=BB928_213 Depth=1
	s_or_b64 exec, exec, s[14:15]
.LBB928_249:                            ;   in Loop: Header=BB928_213 Depth=1
	s_or_b64 exec, exec, s[12:13]
	v_lshrrev_b32_e32 v36, 16, v34
	v_cmp_ne_u16_sdwa s[14:15], v36, v43 src0_sel:BYTE_0 src1_sel:DWORD
	s_and_saveexec_b64 s[12:13], s[14:15]
	s_cbranch_execz .LBB928_255
; %bb.250:                              ;   in Loop: Header=BB928_213 Depth=1
	v_cmp_ne_u16_sdwa s[16:17], v36, s9 src0_sel:BYTE_0 src1_sel:DWORD
	v_mov_b32_e32 v53, 0xffff8000
	s_and_saveexec_b64 s[14:15], s[16:17]
	s_cbranch_execz .LBB928_254
; %bb.251:                              ;   in Loop: Header=BB928_213 Depth=1
	v_bfe_u32 v44, v34, 16, 7
	v_cmp_ne_u32_e32 vcc, s21, v44
	v_mov_b32_e32 v53, 0x7f80
	s_and_saveexec_b64 s[16:17], vcc
	s_cbranch_execz .LBB928_253
; %bb.252:                              ;   in Loop: Header=BB928_213 Depth=1
	v_and_b32_e32 v53, 7, v36
	v_ffbh_u32_e32 v62, v53
	v_min_u32_e32 v64, 32, v62
	v_subrev_u32_e32 v62, 28, v64
	v_lshlrev_b64 v[62:63], v62, v[36:37]
	v_lshrrev_b32_e32 v61, 3, v44
	v_sub_u32_e32 v63, 29, v64
	v_and_b32_e32 v62, 7, v62
	v_cmp_gt_u32_e32 vcc, 8, v44
	v_cndmask_b32_e32 v44, v61, v63, vcc
	v_cndmask_b32_e32 v53, v53, v62, vcc
	v_lshlrev_b32_e32 v36, 24, v36
	v_lshlrev_b32_e32 v53, 20, v53
	v_and_b32_e32 v36, 0x80000000, v36
	v_lshl_add_u32 v44, v44, 23, v45
	v_or3_b32 v36, v36, v44, v53
	v_lshrrev_b32_e32 v53, 16, v36
.LBB928_253:                            ;   in Loop: Header=BB928_213 Depth=1
	s_or_b64 exec, exec, s[16:17]
.LBB928_254:                            ;   in Loop: Header=BB928_213 Depth=1
	s_or_b64 exec, exec, s[14:15]
.LBB928_255:                            ;   in Loop: Header=BB928_213 Depth=1
	s_or_b64 exec, exec, s[12:13]
	v_cmp_lt_u32_e32 vcc, s22, v34
	v_mov_b32_e32 v44, 0
	v_mov_b32_e32 v61, 0
	s_and_saveexec_b64 s[12:13], vcc
	s_cbranch_execz .LBB928_261
; %bb.256:                              ;   in Loop: Header=BB928_213 Depth=1
	v_lshrrev_b32_e32 v36, 24, v34
	v_cmp_ne_u32_e32 vcc, s9, v36
	v_mov_b32_e32 v61, 0xffff8000
	s_and_saveexec_b64 s[14:15], vcc
	s_cbranch_execz .LBB928_260
; %bb.257:                              ;   in Loop: Header=BB928_213 Depth=1
	v_bfe_u32 v34, v34, 24, 7
	v_cmp_ne_u32_e32 vcc, s21, v34
	v_mov_b32_e32 v61, 0x7f80
	s_and_saveexec_b64 s[16:17], vcc
	s_cbranch_execz .LBB928_259
; %bb.258:                              ;   in Loop: Header=BB928_213 Depth=1
	v_and_b32_e32 v61, 7, v36
	v_ffbh_u32_e32 v62, v61
	v_min_u32_e32 v65, 32, v62
	v_subrev_u32_e32 v62, 28, v65
	v_lshlrev_b64 v[62:63], v62, v[36:37]
	v_lshrrev_b32_e32 v64, 3, v34
	v_sub_u32_e32 v63, 29, v65
	v_and_b32_e32 v62, 7, v62
	v_cmp_gt_u32_e32 vcc, 8, v34
	v_cndmask_b32_e32 v34, v64, v63, vcc
	v_cndmask_b32_e32 v61, v61, v62, vcc
	v_lshlrev_b32_e32 v36, 24, v36
	v_lshlrev_b32_e32 v61, 20, v61
	v_and_b32_e32 v36, 0x80000000, v36
	v_lshl_add_u32 v34, v34, 23, v45
	v_or3_b32 v34, v36, v34, v61
	v_lshrrev_b32_e32 v61, 16, v34
.LBB928_259:                            ;   in Loop: Header=BB928_213 Depth=1
	s_or_b64 exec, exec, s[16:17]
.LBB928_260:                            ;   in Loop: Header=BB928_213 Depth=1
	s_or_b64 exec, exec, s[14:15]
.LBB928_261:                            ;   in Loop: Header=BB928_213 Depth=1
	s_or_b64 exec, exec, s[12:13]
	v_perm_b32 v63, v52, v50, s23
	v_perm_b32 v62, v37, v35, s23
	;; [unrolled: 1-line block ×4, first 2 shown]
	s_waitcnt vmcnt(1)
	v_cmp_ne_u16_sdwa s[14:15], v40, v43 src0_sel:BYTE_0 src1_sel:DWORD
	v_mfma_f32_16x16x16bf16_1k v[34:37], v[62:63], v[2:3], 0
	v_mfma_f32_16x16x16bf16_1k v[34:37], v[52:53], v[4:5], v[34:37]
	s_and_saveexec_b64 s[12:13], s[14:15]
	s_cbranch_execz .LBB928_267
; %bb.262:                              ;   in Loop: Header=BB928_213 Depth=1
	v_cmp_ne_u16_sdwa s[16:17], v40, s9 src0_sel:BYTE_0 src1_sel:DWORD
	v_mov_b32_e32 v44, 0xffff8000
	s_and_saveexec_b64 s[14:15], s[16:17]
	s_cbranch_execz .LBB928_266
; %bb.263:                              ;   in Loop: Header=BB928_213 Depth=1
	v_and_b32_e32 v42, 0x7f, v40
	v_cmp_ne_u32_e32 vcc, s21, v42
	v_mov_b32_e32 v44, 0x7f80
	s_and_saveexec_b64 s[16:17], vcc
	s_cbranch_execz .LBB928_265
; %bb.264:                              ;   in Loop: Header=BB928_213 Depth=1
	v_and_b32_e32 v44, 7, v40
	v_ffbh_u32_e32 v50, v44
	v_min_u32_e32 v53, 32, v50
	v_subrev_u32_e32 v50, 28, v53
	v_lshlrev_b64 v[50:51], v50, v[40:41]
	v_lshrrev_b32_e32 v52, 3, v42
	v_sub_u32_e32 v51, 29, v53
	v_and_b32_e32 v50, 7, v50
	v_cmp_gt_u32_e32 vcc, 8, v42
	v_cndmask_b32_e32 v42, v52, v51, vcc
	v_cndmask_b32_e32 v44, v44, v50, vcc
	v_lshlrev_b32_e32 v50, 24, v40
	v_lshlrev_b32_e32 v44, 20, v44
	v_and_b32_e32 v50, 0x80000000, v50
	v_lshl_add_u32 v42, v42, 23, v45
	v_or3_b32 v42, v50, v42, v44
	v_lshrrev_b32_e32 v44, 16, v42
.LBB928_265:                            ;   in Loop: Header=BB928_213 Depth=1
	s_or_b64 exec, exec, s[16:17]
.LBB928_266:                            ;   in Loop: Header=BB928_213 Depth=1
	s_or_b64 exec, exec, s[14:15]
.LBB928_267:                            ;   in Loop: Header=BB928_213 Depth=1
	s_or_b64 exec, exec, s[12:13]
	v_lshrrev_b16_e32 v42, 8, v40
	v_cmp_ne_u16_e32 vcc, 0, v42
	v_mov_b32_e32 v52, 0
	v_mov_b32_e32 v51, 0
	s_and_saveexec_b64 s[12:13], vcc
	s_cbranch_execz .LBB928_273
; %bb.268:                              ;   in Loop: Header=BB928_213 Depth=1
	v_cmp_ne_u16_e32 vcc, s9, v42
	v_mov_b32_e32 v51, 0xffff8000
	s_and_saveexec_b64 s[14:15], vcc
	s_cbranch_execz .LBB928_272
; %bb.269:                              ;   in Loop: Header=BB928_213 Depth=1
	v_and_b32_e32 v50, 0x7f, v42
	v_cmp_ne_u32_e32 vcc, s21, v50
	v_mov_b32_e32 v51, 0x7f80
	s_and_saveexec_b64 s[16:17], vcc
	s_cbranch_execz .LBB928_271
; %bb.270:                              ;   in Loop: Header=BB928_213 Depth=1
	v_and_b32_e32 v51, 7, v42
	v_ffbh_u32_e32 v61, v51
	v_min_u32_e32 v61, 32, v61
	v_subrev_u32_e32 v62, 28, v61
	v_lshlrev_b64 v[62:63], v62, v[42:43]
	v_lshrrev_b32_e32 v53, 3, v50
	v_sub_u32_e32 v42, 29, v61
	v_and_b32_e32 v61, 7, v62
	v_cmp_gt_u32_e32 vcc, 8, v50
	v_cndmask_b32_e32 v42, v53, v42, vcc
	v_cndmask_b32_e32 v50, v51, v61, vcc
	v_lshlrev_b32_e32 v51, 16, v40
	v_lshlrev_b32_e32 v50, 20, v50
	v_and_b32_e32 v51, 0x80000000, v51
	v_lshl_add_u32 v42, v42, 23, v45
	v_or3_b32 v42, v51, v42, v50
	v_lshrrev_b32_e32 v51, 16, v42
.LBB928_271:                            ;   in Loop: Header=BB928_213 Depth=1
	s_or_b64 exec, exec, s[16:17]
.LBB928_272:                            ;   in Loop: Header=BB928_213 Depth=1
	s_or_b64 exec, exec, s[14:15]
.LBB928_273:                            ;   in Loop: Header=BB928_213 Depth=1
	s_or_b64 exec, exec, s[12:13]
	v_lshrrev_b32_e32 v42, 16, v40
	v_cmp_ne_u16_sdwa s[14:15], v42, v43 src0_sel:BYTE_0 src1_sel:DWORD
	s_and_saveexec_b64 s[12:13], s[14:15]
	s_cbranch_execz .LBB928_279
; %bb.274:                              ;   in Loop: Header=BB928_213 Depth=1
	v_cmp_ne_u16_sdwa s[16:17], v42, s9 src0_sel:BYTE_0 src1_sel:DWORD
	v_mov_b32_e32 v52, 0xffff8000
	s_and_saveexec_b64 s[14:15], s[16:17]
	s_cbranch_execz .LBB928_278
; %bb.275:                              ;   in Loop: Header=BB928_213 Depth=1
	v_bfe_u32 v50, v40, 16, 7
	v_cmp_ne_u32_e32 vcc, s21, v50
	v_mov_b32_e32 v52, 0x7f80
	s_and_saveexec_b64 s[16:17], vcc
	s_cbranch_execz .LBB928_277
; %bb.276:                              ;   in Loop: Header=BB928_213 Depth=1
	v_and_b32_e32 v61, 7, v42
	v_ffbh_u32_e32 v52, v61
	v_min_u32_e32 v63, 32, v52
	v_subrev_u32_e32 v52, 28, v63
	v_lshlrev_b64 v[52:53], v52, v[42:43]
	v_lshrrev_b32_e32 v62, 3, v50
	v_sub_u32_e32 v53, 29, v63
	v_and_b32_e32 v52, 7, v52
	v_cmp_gt_u32_e32 vcc, 8, v50
	v_cndmask_b32_e32 v50, v62, v53, vcc
	v_cndmask_b32_e32 v52, v61, v52, vcc
	v_lshlrev_b32_e32 v42, 24, v42
	v_lshlrev_b32_e32 v52, 20, v52
	v_and_b32_e32 v42, 0x80000000, v42
	v_lshl_add_u32 v50, v50, 23, v45
	v_or3_b32 v42, v42, v50, v52
	v_lshrrev_b32_e32 v52, 16, v42
.LBB928_277:                            ;   in Loop: Header=BB928_213 Depth=1
	s_or_b64 exec, exec, s[16:17]
.LBB928_278:                            ;   in Loop: Header=BB928_213 Depth=1
	s_or_b64 exec, exec, s[14:15]
.LBB928_279:                            ;   in Loop: Header=BB928_213 Depth=1
	s_or_b64 exec, exec, s[12:13]
	v_cmp_lt_u32_e32 vcc, s22, v40
	v_mov_b32_e32 v53, 0
	v_mov_b32_e32 v61, 0
	s_and_saveexec_b64 s[12:13], vcc
	s_cbranch_execz .LBB928_285
; %bb.280:                              ;   in Loop: Header=BB928_213 Depth=1
	v_lshrrev_b32_e32 v42, 24, v40
	v_cmp_ne_u32_e32 vcc, s9, v42
	v_mov_b32_e32 v61, 0xffff8000
	s_and_saveexec_b64 s[14:15], vcc
	s_cbranch_execz .LBB928_284
; %bb.281:                              ;   in Loop: Header=BB928_213 Depth=1
	v_bfe_u32 v40, v40, 24, 7
	v_cmp_ne_u32_e32 vcc, s21, v40
	v_mov_b32_e32 v61, 0x7f80
	s_and_saveexec_b64 s[16:17], vcc
	s_cbranch_execz .LBB928_283
; %bb.282:                              ;   in Loop: Header=BB928_213 Depth=1
	v_and_b32_e32 v50, 7, v42
	v_ffbh_u32_e32 v62, v50
	v_min_u32_e32 v64, 32, v62
	v_subrev_u32_e32 v62, 28, v64
	v_lshlrev_b64 v[62:63], v62, v[42:43]
	v_lshrrev_b32_e32 v61, 3, v40
	v_sub_u32_e32 v63, 29, v64
	v_and_b32_e32 v62, 7, v62
	v_cmp_gt_u32_e32 vcc, 8, v40
	v_cndmask_b32_e32 v40, v61, v63, vcc
	v_cndmask_b32_e32 v50, v50, v62, vcc
	v_lshlrev_b32_e32 v42, 24, v42
	v_lshlrev_b32_e32 v50, 20, v50
	v_and_b32_e32 v42, 0x80000000, v42
	v_lshl_add_u32 v40, v40, 23, v45
	v_or3_b32 v40, v42, v40, v50
	v_lshrrev_b32_e32 v61, 16, v40
.LBB928_283:                            ;   in Loop: Header=BB928_213 Depth=1
	s_or_b64 exec, exec, s[16:17]
.LBB928_284:                            ;   in Loop: Header=BB928_213 Depth=1
	s_or_b64 exec, exec, s[14:15]
.LBB928_285:                            ;   in Loop: Header=BB928_213 Depth=1
	s_or_b64 exec, exec, s[12:13]
	s_waitcnt vmcnt(0)
	v_cmp_ne_u16_sdwa s[14:15], v38, v43 src0_sel:BYTE_0 src1_sel:DWORD
	s_and_saveexec_b64 s[12:13], s[14:15]
	s_cbranch_execz .LBB928_291
; %bb.286:                              ;   in Loop: Header=BB928_213 Depth=1
	v_cmp_ne_u16_sdwa s[16:17], v38, s9 src0_sel:BYTE_0 src1_sel:DWORD
	v_mov_b32_e32 v53, 0xffff8000
	s_and_saveexec_b64 s[14:15], s[16:17]
	s_cbranch_execz .LBB928_290
; %bb.287:                              ;   in Loop: Header=BB928_213 Depth=1
	v_and_b32_e32 v40, 0x7f, v38
	v_cmp_ne_u32_e32 vcc, s21, v40
	v_mov_b32_e32 v53, 0x7f80
	s_and_saveexec_b64 s[16:17], vcc
	s_cbranch_execz .LBB928_289
; %bb.288:                              ;   in Loop: Header=BB928_213 Depth=1
	v_and_b32_e32 v42, 7, v38
	v_ffbh_u32_e32 v53, v42
	v_min_u32_e32 v53, 32, v53
	v_subrev_u32_e32 v62, 28, v53
	v_lshlrev_b64 v[62:63], v62, v[38:39]
	v_lshrrev_b32_e32 v50, 3, v40
	v_sub_u32_e32 v53, 29, v53
	v_and_b32_e32 v62, 7, v62
	v_cmp_gt_u32_e32 vcc, 8, v40
	v_cndmask_b32_e32 v40, v50, v53, vcc
	v_cndmask_b32_e32 v42, v42, v62, vcc
	v_lshlrev_b32_e32 v50, 24, v38
	v_lshlrev_b32_e32 v42, 20, v42
	v_and_b32_e32 v50, 0x80000000, v50
	v_lshl_add_u32 v40, v40, 23, v45
	v_or3_b32 v40, v50, v40, v42
	v_lshrrev_b32_e32 v53, 16, v40
.LBB928_289:                            ;   in Loop: Header=BB928_213 Depth=1
	s_or_b64 exec, exec, s[16:17]
.LBB928_290:                            ;   in Loop: Header=BB928_213 Depth=1
	s_or_b64 exec, exec, s[14:15]
.LBB928_291:                            ;   in Loop: Header=BB928_213 Depth=1
	s_or_b64 exec, exec, s[12:13]
	v_lshrrev_b16_e32 v40, 8, v38
	v_cmp_ne_u16_e32 vcc, 0, v40
	v_mov_b32_e32 v63, 0
	v_mov_b32_e32 v62, 0
	s_and_saveexec_b64 s[12:13], vcc
	s_cbranch_execz .LBB928_297
; %bb.292:                              ;   in Loop: Header=BB928_213 Depth=1
	v_cmp_ne_u16_e32 vcc, s9, v40
	v_mov_b32_e32 v62, 0xffff8000
	s_and_saveexec_b64 s[14:15], vcc
	s_cbranch_execz .LBB928_296
; %bb.293:                              ;   in Loop: Header=BB928_213 Depth=1
	v_and_b32_e32 v42, 0x7f, v40
	v_cmp_ne_u32_e32 vcc, s21, v42
	v_mov_b32_e32 v62, 0x7f80
	s_and_saveexec_b64 s[16:17], vcc
	s_cbranch_execz .LBB928_295
; %bb.294:                              ;   in Loop: Header=BB928_213 Depth=1
	v_and_b32_e32 v50, 7, v40
	v_ffbh_u32_e32 v64, v50
	v_min_u32_e32 v66, 32, v64
	v_subrev_u32_e32 v64, 28, v66
	v_lshlrev_b64 v[64:65], v64, v[40:41]
	v_lshrrev_b32_e32 v62, 3, v42
	v_sub_u32_e32 v40, 29, v66
	v_and_b32_e32 v64, 7, v64
	v_cmp_gt_u32_e32 vcc, 8, v42
	v_cndmask_b32_e32 v40, v62, v40, vcc
	v_cndmask_b32_e32 v42, v50, v64, vcc
	v_lshlrev_b32_e32 v50, 16, v38
	v_lshlrev_b32_e32 v42, 20, v42
	v_and_b32_e32 v50, 0x80000000, v50
	v_lshl_add_u32 v40, v40, 23, v45
	v_or3_b32 v40, v50, v40, v42
	v_lshrrev_b32_e32 v62, 16, v40
.LBB928_295:                            ;   in Loop: Header=BB928_213 Depth=1
	s_or_b64 exec, exec, s[16:17]
.LBB928_296:                            ;   in Loop: Header=BB928_213 Depth=1
	s_or_b64 exec, exec, s[14:15]
.LBB928_297:                            ;   in Loop: Header=BB928_213 Depth=1
	s_or_b64 exec, exec, s[12:13]
	v_lshrrev_b32_e32 v40, 16, v38
	v_cmp_ne_u16_sdwa s[14:15], v40, v43 src0_sel:BYTE_0 src1_sel:DWORD
	s_and_saveexec_b64 s[12:13], s[14:15]
	s_cbranch_execz .LBB928_303
; %bb.298:                              ;   in Loop: Header=BB928_213 Depth=1
	v_cmp_ne_u16_sdwa s[16:17], v40, s9 src0_sel:BYTE_0 src1_sel:DWORD
	v_mov_b32_e32 v63, 0xffff8000
	s_and_saveexec_b64 s[14:15], s[16:17]
	s_cbranch_execz .LBB928_302
; %bb.299:                              ;   in Loop: Header=BB928_213 Depth=1
	v_bfe_u32 v42, v38, 16, 7
	v_cmp_ne_u32_e32 vcc, s21, v42
	v_mov_b32_e32 v63, 0x7f80
	s_and_saveexec_b64 s[16:17], vcc
	s_cbranch_execz .LBB928_301
; %bb.300:                              ;   in Loop: Header=BB928_213 Depth=1
	v_and_b32_e32 v50, 7, v40
	v_ffbh_u32_e32 v64, v50
	v_min_u32_e32 v66, 32, v64
	v_subrev_u32_e32 v64, 28, v66
	v_lshlrev_b64 v[64:65], v64, v[40:41]
	v_lshrrev_b32_e32 v63, 3, v42
	v_sub_u32_e32 v65, 29, v66
	v_and_b32_e32 v64, 7, v64
	v_cmp_gt_u32_e32 vcc, 8, v42
	v_cndmask_b32_e32 v42, v63, v65, vcc
	v_cndmask_b32_e32 v50, v50, v64, vcc
	v_lshlrev_b32_e32 v40, 24, v40
	v_lshlrev_b32_e32 v50, 20, v50
	v_and_b32_e32 v40, 0x80000000, v40
	v_lshl_add_u32 v42, v42, 23, v45
	v_or3_b32 v40, v40, v42, v50
	v_lshrrev_b32_e32 v63, 16, v40
.LBB928_301:                            ;   in Loop: Header=BB928_213 Depth=1
	s_or_b64 exec, exec, s[16:17]
.LBB928_302:                            ;   in Loop: Header=BB928_213 Depth=1
	s_or_b64 exec, exec, s[14:15]
.LBB928_303:                            ;   in Loop: Header=BB928_213 Depth=1
	s_or_b64 exec, exec, s[12:13]
	v_cmp_lt_u32_e32 vcc, s22, v38
	v_mov_b32_e32 v50, 0
	v_mov_b32_e32 v64, 0
	s_and_saveexec_b64 s[12:13], vcc
	s_cbranch_execz .LBB928_309
; %bb.304:                              ;   in Loop: Header=BB928_213 Depth=1
	v_lshrrev_b32_e32 v40, 24, v38
	v_cmp_ne_u32_e32 vcc, s9, v40
	v_mov_b32_e32 v64, 0xffff8000
	s_and_saveexec_b64 s[14:15], vcc
	s_cbranch_execz .LBB928_308
; %bb.305:                              ;   in Loop: Header=BB928_213 Depth=1
	v_bfe_u32 v38, v38, 24, 7
	v_cmp_ne_u32_e32 vcc, s21, v38
	v_mov_b32_e32 v64, 0x7f80
	s_and_saveexec_b64 s[16:17], vcc
	s_cbranch_execz .LBB928_307
; %bb.306:                              ;   in Loop: Header=BB928_213 Depth=1
	v_and_b32_e32 v42, 7, v40
	v_ffbh_u32_e32 v64, v42
	v_min_u32_e32 v67, 32, v64
	v_subrev_u32_e32 v64, 28, v67
	v_lshlrev_b64 v[64:65], v64, v[40:41]
	v_lshrrev_b32_e32 v66, 3, v38
	v_sub_u32_e32 v65, 29, v67
	v_and_b32_e32 v64, 7, v64
	v_cmp_gt_u32_e32 vcc, 8, v38
	v_cndmask_b32_e32 v38, v66, v65, vcc
	v_cndmask_b32_e32 v42, v42, v64, vcc
	v_lshlrev_b32_e32 v40, 24, v40
	v_lshlrev_b32_e32 v42, 20, v42
	v_and_b32_e32 v40, 0x80000000, v40
	v_lshl_add_u32 v38, v38, 23, v45
	v_or3_b32 v38, v40, v38, v42
	v_lshrrev_b32_e32 v64, 16, v38
.LBB928_307:                            ;   in Loop: Header=BB928_213 Depth=1
	s_or_b64 exec, exec, s[16:17]
.LBB928_308:                            ;   in Loop: Header=BB928_213 Depth=1
	s_or_b64 exec, exec, s[14:15]
.LBB928_309:                            ;   in Loop: Header=BB928_213 Depth=1
	s_or_b64 exec, exec, s[12:13]
	v_perm_b32 v66, v51, v44, s23
	buffer_load_dword v44, v46, s[0:3], 0 offen
	buffer_load_dword v42, v46, s[0:3], 0 offen offset:4
	buffer_load_dword v40, v46, s[0:3], 0 offen offset:8
	;; [unrolled: 1-line block ×3, first 2 shown]
	v_perm_b32 v67, v61, v52, s23
	v_perm_b32 v63, v64, v63, s23
	;; [unrolled: 1-line block ×3, first 2 shown]
	v_mfma_f32_16x16x16bf16_1k v[34:37], v[66:67], v[6:7], v[34:37]
	s_waitcnt vmcnt(3)
	v_cmp_ne_u16_sdwa s[14:15], v44, v43 src0_sel:BYTE_0 src1_sel:DWORD
	v_mfma_f32_16x16x16bf16_1k v[34:37], v[62:63], v[8:9], v[34:37]
	s_and_saveexec_b64 s[12:13], s[14:15]
	s_cbranch_execz .LBB928_315
; %bb.310:                              ;   in Loop: Header=BB928_213 Depth=1
	v_cmp_ne_u16_sdwa s[16:17], v44, s9 src0_sel:BYTE_0 src1_sel:DWORD
	v_mov_b32_e32 v50, 0xffff8000
	s_and_saveexec_b64 s[14:15], s[16:17]
	s_cbranch_execz .LBB928_314
; %bb.311:                              ;   in Loop: Header=BB928_213 Depth=1
	v_and_b32_e32 v46, 0x7f, v44
	v_cmp_ne_u32_e32 vcc, s21, v46
	v_mov_b32_e32 v50, 0x7f80
	s_and_saveexec_b64 s[16:17], vcc
	s_cbranch_execz .LBB928_313
; %bb.312:                              ;   in Loop: Header=BB928_213 Depth=1
	v_and_b32_e32 v52, 7, v44
	v_ffbh_u32_e32 v50, v52
	v_min_u32_e32 v61, 32, v50
	v_subrev_u32_e32 v50, 28, v61
	v_lshlrev_b64 v[50:51], v50, v[44:45]
	v_lshrrev_b32_e32 v53, 3, v46
	v_sub_u32_e32 v51, 29, v61
	v_and_b32_e32 v50, 7, v50
	v_cmp_gt_u32_e32 vcc, 8, v46
	v_cndmask_b32_e32 v46, v53, v51, vcc
	v_cndmask_b32_e32 v50, v52, v50, vcc
	v_lshlrev_b32_e32 v51, 24, v44
	v_lshlrev_b32_e32 v50, 20, v50
	v_and_b32_e32 v51, 0x80000000, v51
	v_lshl_add_u32 v46, v46, 23, v45
	v_or3_b32 v46, v51, v46, v50
	v_lshrrev_b32_e32 v50, 16, v46
.LBB928_313:                            ;   in Loop: Header=BB928_213 Depth=1
	s_or_b64 exec, exec, s[16:17]
.LBB928_314:                            ;   in Loop: Header=BB928_213 Depth=1
	s_or_b64 exec, exec, s[14:15]
.LBB928_315:                            ;   in Loop: Header=BB928_213 Depth=1
	s_or_b64 exec, exec, s[12:13]
	v_lshrrev_b16_e32 v46, 8, v44
	v_cmp_ne_u16_e32 vcc, 0, v46
	v_mov_b32_e32 v52, 0
	v_mov_b32_e32 v51, 0
	s_and_saveexec_b64 s[12:13], vcc
	s_cbranch_execz .LBB928_321
; %bb.316:                              ;   in Loop: Header=BB928_213 Depth=1
	v_cmp_ne_u16_e32 vcc, s9, v46
	v_mov_b32_e32 v51, 0xffff8000
	s_and_saveexec_b64 s[14:15], vcc
	s_cbranch_execz .LBB928_320
; %bb.317:                              ;   in Loop: Header=BB928_213 Depth=1
	v_and_b32_e32 v53, 0x7f, v46
	v_cmp_ne_u32_e32 vcc, s21, v53
	v_mov_b32_e32 v51, 0x7f80
	s_and_saveexec_b64 s[16:17], vcc
	s_cbranch_execz .LBB928_319
; %bb.318:                              ;   in Loop: Header=BB928_213 Depth=1
	v_and_b32_e32 v51, 7, v46
	v_ffbh_u32_e32 v62, v51
	v_min_u32_e32 v64, 32, v62
	v_subrev_u32_e32 v62, 28, v64
	v_lshlrev_b64 v[62:63], v62, v[46:47]
	v_lshrrev_b32_e32 v61, 3, v53
	v_sub_u32_e32 v46, 29, v64
	v_and_b32_e32 v62, 7, v62
	v_cmp_gt_u32_e32 vcc, 8, v53
	v_cndmask_b32_e32 v46, v61, v46, vcc
	v_cndmask_b32_e32 v51, v51, v62, vcc
	v_lshlrev_b32_e32 v53, 16, v44
	v_lshlrev_b32_e32 v51, 20, v51
	v_and_b32_e32 v53, 0x80000000, v53
	v_lshl_add_u32 v46, v46, 23, v45
	v_or3_b32 v46, v53, v46, v51
	v_lshrrev_b32_e32 v51, 16, v46
.LBB928_319:                            ;   in Loop: Header=BB928_213 Depth=1
	s_or_b64 exec, exec, s[16:17]
.LBB928_320:                            ;   in Loop: Header=BB928_213 Depth=1
	s_or_b64 exec, exec, s[14:15]
.LBB928_321:                            ;   in Loop: Header=BB928_213 Depth=1
	s_or_b64 exec, exec, s[12:13]
	v_lshrrev_b32_e32 v46, 16, v44
	v_cmp_ne_u16_sdwa s[14:15], v46, v43 src0_sel:BYTE_0 src1_sel:DWORD
	s_and_saveexec_b64 s[12:13], s[14:15]
	s_cbranch_execz .LBB928_327
; %bb.322:                              ;   in Loop: Header=BB928_213 Depth=1
	v_cmp_ne_u16_sdwa s[16:17], v46, s9 src0_sel:BYTE_0 src1_sel:DWORD
	v_mov_b32_e32 v52, 0xffff8000
	s_and_saveexec_b64 s[14:15], s[16:17]
	s_cbranch_execz .LBB928_326
; %bb.323:                              ;   in Loop: Header=BB928_213 Depth=1
	v_bfe_u32 v53, v44, 16, 7
	v_cmp_ne_u32_e32 vcc, s21, v53
	v_mov_b32_e32 v52, 0x7f80
	s_and_saveexec_b64 s[16:17], vcc
	s_cbranch_execz .LBB928_325
; %bb.324:                              ;   in Loop: Header=BB928_213 Depth=1
	v_and_b32_e32 v52, 7, v46
	v_ffbh_u32_e32 v62, v52
	v_min_u32_e32 v64, 32, v62
	v_subrev_u32_e32 v62, 28, v64
	v_lshlrev_b64 v[62:63], v62, v[46:47]
	v_lshrrev_b32_e32 v61, 3, v53
	v_sub_u32_e32 v63, 29, v64
	v_and_b32_e32 v62, 7, v62
	v_cmp_gt_u32_e32 vcc, 8, v53
	v_cndmask_b32_e32 v53, v61, v63, vcc
	v_cndmask_b32_e32 v52, v52, v62, vcc
	v_lshlrev_b32_e32 v46, 24, v46
	v_lshlrev_b32_e32 v52, 20, v52
	v_and_b32_e32 v46, 0x80000000, v46
	v_lshl_add_u32 v53, v53, 23, v45
	v_or3_b32 v46, v46, v53, v52
	v_lshrrev_b32_e32 v52, 16, v46
.LBB928_325:                            ;   in Loop: Header=BB928_213 Depth=1
	s_or_b64 exec, exec, s[16:17]
.LBB928_326:                            ;   in Loop: Header=BB928_213 Depth=1
	s_or_b64 exec, exec, s[14:15]
.LBB928_327:                            ;   in Loop: Header=BB928_213 Depth=1
	s_or_b64 exec, exec, s[12:13]
	v_cmp_lt_u32_e32 vcc, s22, v44
	v_mov_b32_e32 v53, 0
	v_mov_b32_e32 v61, 0
	s_and_saveexec_b64 s[12:13], vcc
	s_cbranch_execz .LBB928_333
; %bb.328:                              ;   in Loop: Header=BB928_213 Depth=1
	v_lshrrev_b32_e32 v46, 24, v44
	v_cmp_ne_u32_e32 vcc, s9, v46
	v_mov_b32_e32 v61, 0xffff8000
	s_and_saveexec_b64 s[14:15], vcc
	s_cbranch_execz .LBB928_332
; %bb.329:                              ;   in Loop: Header=BB928_213 Depth=1
	v_bfe_u32 v44, v44, 24, 7
	v_cmp_ne_u32_e32 vcc, s21, v44
	v_mov_b32_e32 v61, 0x7f80
	s_and_saveexec_b64 s[16:17], vcc
	s_cbranch_execz .LBB928_331
; %bb.330:                              ;   in Loop: Header=BB928_213 Depth=1
	v_and_b32_e32 v61, 7, v46
	v_ffbh_u32_e32 v62, v61
	v_min_u32_e32 v65, 32, v62
	v_subrev_u32_e32 v62, 28, v65
	v_lshlrev_b64 v[62:63], v62, v[46:47]
	v_lshrrev_b32_e32 v64, 3, v44
	v_sub_u32_e32 v63, 29, v65
	v_and_b32_e32 v62, 7, v62
	v_cmp_gt_u32_e32 vcc, 8, v44
	v_cndmask_b32_e32 v44, v64, v63, vcc
	v_cndmask_b32_e32 v61, v61, v62, vcc
	v_lshlrev_b32_e32 v46, 24, v46
	v_lshlrev_b32_e32 v61, 20, v61
	v_and_b32_e32 v46, 0x80000000, v46
	v_lshl_add_u32 v44, v44, 23, v45
	v_or3_b32 v44, v46, v44, v61
	v_lshrrev_b32_e32 v61, 16, v44
.LBB928_331:                            ;   in Loop: Header=BB928_213 Depth=1
	s_or_b64 exec, exec, s[16:17]
.LBB928_332:                            ;   in Loop: Header=BB928_213 Depth=1
	s_or_b64 exec, exec, s[14:15]
.LBB928_333:                            ;   in Loop: Header=BB928_213 Depth=1
	s_or_b64 exec, exec, s[12:13]
	s_waitcnt vmcnt(2)
	v_cmp_ne_u16_sdwa s[14:15], v42, v43 src0_sel:BYTE_0 src1_sel:DWORD
	s_and_saveexec_b64 s[12:13], s[14:15]
	s_cbranch_execz .LBB928_339
; %bb.334:                              ;   in Loop: Header=BB928_213 Depth=1
	v_cmp_ne_u16_sdwa s[16:17], v42, s9 src0_sel:BYTE_0 src1_sel:DWORD
	v_mov_b32_e32 v53, 0xffff8000
	s_and_saveexec_b64 s[14:15], s[16:17]
	s_cbranch_execz .LBB928_338
; %bb.335:                              ;   in Loop: Header=BB928_213 Depth=1
	v_and_b32_e32 v44, 0x7f, v42
	v_cmp_ne_u32_e32 vcc, s21, v44
	v_mov_b32_e32 v53, 0x7f80
	s_and_saveexec_b64 s[16:17], vcc
	s_cbranch_execz .LBB928_337
; %bb.336:                              ;   in Loop: Header=BB928_213 Depth=1
	v_and_b32_e32 v46, 7, v42
	v_ffbh_u32_e32 v62, v46
	v_min_u32_e32 v64, 32, v62
	v_subrev_u32_e32 v62, 28, v64
	v_lshlrev_b64 v[62:63], v62, v[42:43]
	v_lshrrev_b32_e32 v53, 3, v44
	v_sub_u32_e32 v63, 29, v64
	v_and_b32_e32 v62, 7, v62
	v_cmp_gt_u32_e32 vcc, 8, v44
	v_cndmask_b32_e32 v44, v53, v63, vcc
	v_cndmask_b32_e32 v46, v46, v62, vcc
	v_lshlrev_b32_e32 v53, 24, v42
	v_lshlrev_b32_e32 v46, 20, v46
	v_and_b32_e32 v53, 0x80000000, v53
	v_lshl_add_u32 v44, v44, 23, v45
	v_or3_b32 v44, v53, v44, v46
	v_lshrrev_b32_e32 v53, 16, v44
.LBB928_337:                            ;   in Loop: Header=BB928_213 Depth=1
	s_or_b64 exec, exec, s[16:17]
.LBB928_338:                            ;   in Loop: Header=BB928_213 Depth=1
	s_or_b64 exec, exec, s[14:15]
.LBB928_339:                            ;   in Loop: Header=BB928_213 Depth=1
	s_or_b64 exec, exec, s[12:13]
	v_lshrrev_b16_e32 v44, 8, v42
	v_cmp_ne_u16_e32 vcc, 0, v44
	v_mov_b32_e32 v63, 0
	v_mov_b32_e32 v62, 0
	s_and_saveexec_b64 s[12:13], vcc
	s_cbranch_execz .LBB928_345
; %bb.340:                              ;   in Loop: Header=BB928_213 Depth=1
	v_cmp_ne_u16_e32 vcc, s9, v44
	v_mov_b32_e32 v62, 0xffff8000
	s_and_saveexec_b64 s[14:15], vcc
	s_cbranch_execz .LBB928_344
; %bb.341:                              ;   in Loop: Header=BB928_213 Depth=1
	v_and_b32_e32 v46, 0x7f, v44
	v_cmp_ne_u32_e32 vcc, s21, v46
	v_mov_b32_e32 v62, 0x7f80
	s_and_saveexec_b64 s[16:17], vcc
	s_cbranch_execz .LBB928_343
; %bb.342:                              ;   in Loop: Header=BB928_213 Depth=1
	v_and_b32_e32 v62, 7, v44
	v_ffbh_u32_e32 v64, v62
	v_min_u32_e32 v67, 32, v64
	v_subrev_u32_e32 v64, 28, v67
	v_lshlrev_b64 v[64:65], v64, v[44:45]
	v_lshrrev_b32_e32 v66, 3, v46
	v_sub_u32_e32 v44, 29, v67
	v_and_b32_e32 v64, 7, v64
	v_cmp_gt_u32_e32 vcc, 8, v46
	v_cndmask_b32_e32 v44, v66, v44, vcc
	v_cndmask_b32_e32 v46, v62, v64, vcc
	v_lshlrev_b32_e32 v62, 16, v42
	v_lshlrev_b32_e32 v46, 20, v46
	v_and_b32_e32 v62, 0x80000000, v62
	v_lshl_add_u32 v44, v44, 23, v45
	v_or3_b32 v44, v62, v44, v46
	v_lshrrev_b32_e32 v62, 16, v44
.LBB928_343:                            ;   in Loop: Header=BB928_213 Depth=1
	s_or_b64 exec, exec, s[16:17]
.LBB928_344:                            ;   in Loop: Header=BB928_213 Depth=1
	s_or_b64 exec, exec, s[14:15]
.LBB928_345:                            ;   in Loop: Header=BB928_213 Depth=1
	s_or_b64 exec, exec, s[12:13]
	v_lshrrev_b32_e32 v44, 16, v42
	v_cmp_ne_u16_sdwa s[14:15], v44, v43 src0_sel:BYTE_0 src1_sel:DWORD
	s_and_saveexec_b64 s[12:13], s[14:15]
	s_cbranch_execz .LBB928_351
; %bb.346:                              ;   in Loop: Header=BB928_213 Depth=1
	v_cmp_ne_u16_sdwa s[16:17], v44, s9 src0_sel:BYTE_0 src1_sel:DWORD
	v_mov_b32_e32 v63, 0xffff8000
	s_and_saveexec_b64 s[14:15], s[16:17]
	s_cbranch_execz .LBB928_350
; %bb.347:                              ;   in Loop: Header=BB928_213 Depth=1
	v_bfe_u32 v46, v42, 16, 7
	v_cmp_ne_u32_e32 vcc, s21, v46
	v_mov_b32_e32 v63, 0x7f80
	s_and_saveexec_b64 s[16:17], vcc
	s_cbranch_execz .LBB928_349
; %bb.348:                              ;   in Loop: Header=BB928_213 Depth=1
	v_and_b32_e32 v63, 7, v44
	v_ffbh_u32_e32 v64, v63
	v_min_u32_e32 v67, 32, v64
	v_subrev_u32_e32 v64, 28, v67
	v_lshlrev_b64 v[64:65], v64, v[44:45]
	v_lshrrev_b32_e32 v66, 3, v46
	v_sub_u32_e32 v65, 29, v67
	v_and_b32_e32 v64, 7, v64
	v_cmp_gt_u32_e32 vcc, 8, v46
	v_cndmask_b32_e32 v46, v66, v65, vcc
	v_cndmask_b32_e32 v63, v63, v64, vcc
	v_lshlrev_b32_e32 v44, 24, v44
	v_lshlrev_b32_e32 v63, 20, v63
	v_and_b32_e32 v44, 0x80000000, v44
	v_lshl_add_u32 v46, v46, 23, v45
	v_or3_b32 v44, v44, v46, v63
	v_lshrrev_b32_e32 v63, 16, v44
.LBB928_349:                            ;   in Loop: Header=BB928_213 Depth=1
	s_or_b64 exec, exec, s[16:17]
.LBB928_350:                            ;   in Loop: Header=BB928_213 Depth=1
	s_or_b64 exec, exec, s[14:15]
.LBB928_351:                            ;   in Loop: Header=BB928_213 Depth=1
	s_or_b64 exec, exec, s[12:13]
	v_cmp_lt_u32_e32 vcc, s22, v42
	v_mov_b32_e32 v46, 0
	v_mov_b32_e32 v64, 0
	s_and_saveexec_b64 s[12:13], vcc
	s_cbranch_execz .LBB928_357
; %bb.352:                              ;   in Loop: Header=BB928_213 Depth=1
	v_lshrrev_b32_e32 v44, 24, v42
	v_cmp_ne_u32_e32 vcc, s9, v44
	v_mov_b32_e32 v64, 0xffff8000
	s_and_saveexec_b64 s[14:15], vcc
	s_cbranch_execz .LBB928_356
; %bb.353:                              ;   in Loop: Header=BB928_213 Depth=1
	v_bfe_u32 v42, v42, 24, 7
	v_cmp_ne_u32_e32 vcc, s21, v42
	v_mov_b32_e32 v64, 0x7f80
	s_and_saveexec_b64 s[16:17], vcc
	s_cbranch_execz .LBB928_355
; %bb.354:                              ;   in Loop: Header=BB928_213 Depth=1
	v_and_b32_e32 v66, 7, v44
	v_ffbh_u32_e32 v64, v66
	v_min_u32_e32 v68, 32, v64
	v_subrev_u32_e32 v64, 28, v68
	v_lshlrev_b64 v[64:65], v64, v[44:45]
	v_lshrrev_b32_e32 v67, 3, v42
	v_sub_u32_e32 v65, 29, v68
	v_and_b32_e32 v64, 7, v64
	v_cmp_gt_u32_e32 vcc, 8, v42
	v_cndmask_b32_e32 v42, v67, v65, vcc
	v_cndmask_b32_e32 v64, v66, v64, vcc
	v_lshlrev_b32_e32 v44, 24, v44
	v_lshlrev_b32_e32 v64, 20, v64
	v_and_b32_e32 v44, 0x80000000, v44
	v_lshl_add_u32 v42, v42, 23, v45
	v_or3_b32 v42, v44, v42, v64
	v_lshrrev_b32_e32 v64, 16, v42
.LBB928_355:                            ;   in Loop: Header=BB928_213 Depth=1
	s_or_b64 exec, exec, s[16:17]
.LBB928_356:                            ;   in Loop: Header=BB928_213 Depth=1
	s_or_b64 exec, exec, s[14:15]
.LBB928_357:                            ;   in Loop: Header=BB928_213 Depth=1
	s_or_b64 exec, exec, s[12:13]
	v_perm_b32 v67, v61, v52, s23
	v_perm_b32 v66, v51, v50, s23
	;; [unrolled: 1-line block ×4, first 2 shown]
	s_waitcnt vmcnt(1)
	v_cmp_ne_u16_sdwa s[14:15], v40, v43 src0_sel:BYTE_0 src1_sel:DWORD
	v_mfma_f32_16x16x16bf16_1k v[34:37], v[66:67], v[10:11], v[34:37]
	v_mfma_f32_16x16x16bf16_1k v[34:37], v[50:51], v[12:13], v[34:37]
	s_and_saveexec_b64 s[12:13], s[14:15]
	s_cbranch_execz .LBB928_363
; %bb.358:                              ;   in Loop: Header=BB928_213 Depth=1
	v_cmp_ne_u16_sdwa s[16:17], v40, s9 src0_sel:BYTE_0 src1_sel:DWORD
	v_mov_b32_e32 v46, 0xffff8000
	s_and_saveexec_b64 s[14:15], s[16:17]
	s_cbranch_execz .LBB928_362
; %bb.359:                              ;   in Loop: Header=BB928_213 Depth=1
	v_and_b32_e32 v42, 0x7f, v40
	v_cmp_ne_u32_e32 vcc, s21, v42
	v_mov_b32_e32 v46, 0x7f80
	s_and_saveexec_b64 s[16:17], vcc
	s_cbranch_execz .LBB928_361
; %bb.360:                              ;   in Loop: Header=BB928_213 Depth=1
	v_and_b32_e32 v44, 7, v40
	v_ffbh_u32_e32 v50, v44
	v_min_u32_e32 v52, 32, v50
	v_subrev_u32_e32 v50, 28, v52
	v_lshlrev_b64 v[50:51], v50, v[40:41]
	v_lshrrev_b32_e32 v46, 3, v42
	v_sub_u32_e32 v51, 29, v52
	v_and_b32_e32 v50, 7, v50
	v_cmp_gt_u32_e32 vcc, 8, v42
	v_cndmask_b32_e32 v42, v46, v51, vcc
	v_cndmask_b32_e32 v44, v44, v50, vcc
	v_lshlrev_b32_e32 v46, 24, v40
	v_lshlrev_b32_e32 v44, 20, v44
	v_and_b32_e32 v46, 0x80000000, v46
	v_lshl_add_u32 v42, v42, 23, v45
	v_or3_b32 v42, v46, v42, v44
	v_lshrrev_b32_e32 v46, 16, v42
.LBB928_361:                            ;   in Loop: Header=BB928_213 Depth=1
	s_or_b64 exec, exec, s[16:17]
.LBB928_362:                            ;   in Loop: Header=BB928_213 Depth=1
	s_or_b64 exec, exec, s[14:15]
.LBB928_363:                            ;   in Loop: Header=BB928_213 Depth=1
	s_or_b64 exec, exec, s[12:13]
	v_lshrrev_b16_e32 v42, 8, v40
	v_cmp_ne_u16_e32 vcc, 0, v42
	v_mov_b32_e32 v51, 0
	v_mov_b32_e32 v44, 0
	s_and_saveexec_b64 s[12:13], vcc
	s_cbranch_execz .LBB928_369
; %bb.364:                              ;   in Loop: Header=BB928_213 Depth=1
	v_cmp_ne_u16_e32 vcc, s9, v42
	v_mov_b32_e32 v44, 0xffff8000
	s_and_saveexec_b64 s[14:15], vcc
	s_cbranch_execz .LBB928_368
; %bb.365:                              ;   in Loop: Header=BB928_213 Depth=1
	v_and_b32_e32 v50, 0x7f, v42
	v_cmp_ne_u32_e32 vcc, s21, v50
	v_mov_b32_e32 v44, 0x7f80
	s_and_saveexec_b64 s[16:17], vcc
	s_cbranch_execz .LBB928_367
; %bb.366:                              ;   in Loop: Header=BB928_213 Depth=1
	v_and_b32_e32 v44, 7, v42
	v_ffbh_u32_e32 v52, v44
	v_min_u32_e32 v62, 32, v52
	v_subrev_u32_e32 v52, 28, v62
	v_lshlrev_b64 v[52:53], v52, v[42:43]
	v_lshrrev_b32_e32 v61, 3, v50
	v_sub_u32_e32 v42, 29, v62
	v_and_b32_e32 v52, 7, v52
	v_cmp_gt_u32_e32 vcc, 8, v50
	v_cndmask_b32_e32 v42, v61, v42, vcc
	v_cndmask_b32_e32 v44, v44, v52, vcc
	v_lshlrev_b32_e32 v50, 16, v40
	v_lshlrev_b32_e32 v44, 20, v44
	v_and_b32_e32 v50, 0x80000000, v50
	v_lshl_add_u32 v42, v42, 23, v45
	v_or3_b32 v42, v50, v42, v44
	v_lshrrev_b32_e32 v44, 16, v42
.LBB928_367:                            ;   in Loop: Header=BB928_213 Depth=1
	s_or_b64 exec, exec, s[16:17]
.LBB928_368:                            ;   in Loop: Header=BB928_213 Depth=1
	s_or_b64 exec, exec, s[14:15]
.LBB928_369:                            ;   in Loop: Header=BB928_213 Depth=1
	s_or_b64 exec, exec, s[12:13]
	v_lshrrev_b32_e32 v42, 16, v40
	v_cmp_ne_u16_sdwa s[14:15], v42, v43 src0_sel:BYTE_0 src1_sel:DWORD
	s_and_saveexec_b64 s[12:13], s[14:15]
	s_cbranch_execz .LBB928_375
; %bb.370:                              ;   in Loop: Header=BB928_213 Depth=1
	v_cmp_ne_u16_sdwa s[16:17], v42, s9 src0_sel:BYTE_0 src1_sel:DWORD
	v_mov_b32_e32 v51, 0xffff8000
	s_and_saveexec_b64 s[14:15], s[16:17]
	s_cbranch_execz .LBB928_374
; %bb.371:                              ;   in Loop: Header=BB928_213 Depth=1
	v_bfe_u32 v50, v40, 16, 7
	v_cmp_ne_u32_e32 vcc, s21, v50
	v_mov_b32_e32 v51, 0x7f80
	s_and_saveexec_b64 s[16:17], vcc
	s_cbranch_execz .LBB928_373
; %bb.372:                              ;   in Loop: Header=BB928_213 Depth=1
	v_and_b32_e32 v51, 7, v42
	v_ffbh_u32_e32 v52, v51
	v_min_u32_e32 v62, 32, v52
	v_subrev_u32_e32 v52, 28, v62
	v_lshlrev_b64 v[52:53], v52, v[42:43]
	v_lshrrev_b32_e32 v61, 3, v50
	v_sub_u32_e32 v53, 29, v62
	v_and_b32_e32 v52, 7, v52
	v_cmp_gt_u32_e32 vcc, 8, v50
	v_cndmask_b32_e32 v50, v61, v53, vcc
	v_cndmask_b32_e32 v51, v51, v52, vcc
	v_lshlrev_b32_e32 v42, 24, v42
	v_lshlrev_b32_e32 v51, 20, v51
	v_and_b32_e32 v42, 0x80000000, v42
	v_lshl_add_u32 v50, v50, 23, v45
	v_or3_b32 v42, v42, v50, v51
	v_lshrrev_b32_e32 v51, 16, v42
.LBB928_373:                            ;   in Loop: Header=BB928_213 Depth=1
	s_or_b64 exec, exec, s[16:17]
.LBB928_374:                            ;   in Loop: Header=BB928_213 Depth=1
	s_or_b64 exec, exec, s[14:15]
.LBB928_375:                            ;   in Loop: Header=BB928_213 Depth=1
	s_or_b64 exec, exec, s[12:13]
	v_cmp_lt_u32_e32 vcc, s22, v40
	v_mov_b32_e32 v52, 0
	v_mov_b32_e32 v53, 0
	s_and_saveexec_b64 s[12:13], vcc
	s_cbranch_execz .LBB928_381
; %bb.376:                              ;   in Loop: Header=BB928_213 Depth=1
	v_lshrrev_b32_e32 v42, 24, v40
	v_cmp_ne_u32_e32 vcc, s9, v42
	v_mov_b32_e32 v53, 0xffff8000
	s_and_saveexec_b64 s[14:15], vcc
	s_cbranch_execz .LBB928_380
; %bb.377:                              ;   in Loop: Header=BB928_213 Depth=1
	v_bfe_u32 v40, v40, 24, 7
	v_cmp_ne_u32_e32 vcc, s21, v40
	v_mov_b32_e32 v53, 0x7f80
	s_and_saveexec_b64 s[16:17], vcc
	s_cbranch_execz .LBB928_379
; %bb.378:                              ;   in Loop: Header=BB928_213 Depth=1
	v_and_b32_e32 v50, 7, v42
	v_ffbh_u32_e32 v61, v50
	v_min_u32_e32 v61, 32, v61
	v_subrev_u32_e32 v62, 28, v61
	v_lshlrev_b64 v[62:63], v62, v[42:43]
	v_lshrrev_b32_e32 v53, 3, v40
	v_sub_u32_e32 v61, 29, v61
	v_and_b32_e32 v62, 7, v62
	v_cmp_gt_u32_e32 vcc, 8, v40
	v_cndmask_b32_e32 v40, v53, v61, vcc
	v_cndmask_b32_e32 v50, v50, v62, vcc
	v_lshlrev_b32_e32 v42, 24, v42
	v_lshlrev_b32_e32 v50, 20, v50
	v_and_b32_e32 v42, 0x80000000, v42
	v_lshl_add_u32 v40, v40, 23, v45
	v_or3_b32 v40, v42, v40, v50
	v_lshrrev_b32_e32 v53, 16, v40
.LBB928_379:                            ;   in Loop: Header=BB928_213 Depth=1
	s_or_b64 exec, exec, s[16:17]
.LBB928_380:                            ;   in Loop: Header=BB928_213 Depth=1
	s_or_b64 exec, exec, s[14:15]
.LBB928_381:                            ;   in Loop: Header=BB928_213 Depth=1
	s_or_b64 exec, exec, s[12:13]
	s_waitcnt vmcnt(0)
	v_cmp_ne_u16_sdwa s[14:15], v38, v43 src0_sel:BYTE_0 src1_sel:DWORD
	s_and_saveexec_b64 s[12:13], s[14:15]
	s_cbranch_execz .LBB928_387
; %bb.382:                              ;   in Loop: Header=BB928_213 Depth=1
	v_cmp_ne_u16_sdwa s[16:17], v38, s9 src0_sel:BYTE_0 src1_sel:DWORD
	v_mov_b32_e32 v52, 0xffff8000
	s_and_saveexec_b64 s[14:15], s[16:17]
	s_cbranch_execz .LBB928_386
; %bb.383:                              ;   in Loop: Header=BB928_213 Depth=1
	v_and_b32_e32 v40, 0x7f, v38
	v_cmp_ne_u32_e32 vcc, s21, v40
	v_mov_b32_e32 v52, 0x7f80
	s_and_saveexec_b64 s[16:17], vcc
	s_cbranch_execz .LBB928_385
; %bb.384:                              ;   in Loop: Header=BB928_213 Depth=1
	v_and_b32_e32 v42, 7, v38
	v_ffbh_u32_e32 v52, v42
	v_min_u32_e32 v52, 32, v52
	v_subrev_u32_e32 v61, 28, v52
	v_lshlrev_b64 v[62:63], v61, v[38:39]
	v_lshrrev_b32_e32 v50, 3, v40
	v_sub_u32_e32 v52, 29, v52
	v_and_b32_e32 v61, 7, v62
	v_cmp_gt_u32_e32 vcc, 8, v40
	v_cndmask_b32_e32 v40, v50, v52, vcc
	v_cndmask_b32_e32 v42, v42, v61, vcc
	v_lshlrev_b32_e32 v50, 24, v38
	v_lshlrev_b32_e32 v42, 20, v42
	v_and_b32_e32 v50, 0x80000000, v50
	v_lshl_add_u32 v40, v40, 23, v45
	v_or3_b32 v40, v50, v40, v42
	v_lshrrev_b32_e32 v52, 16, v40
.LBB928_385:                            ;   in Loop: Header=BB928_213 Depth=1
	s_or_b64 exec, exec, s[16:17]
.LBB928_386:                            ;   in Loop: Header=BB928_213 Depth=1
	s_or_b64 exec, exec, s[14:15]
.LBB928_387:                            ;   in Loop: Header=BB928_213 Depth=1
	s_or_b64 exec, exec, s[12:13]
	v_lshrrev_b16_e32 v40, 8, v38
	v_cmp_ne_u16_e32 vcc, 0, v40
	v_mov_b32_e32 v62, 0
	v_mov_b32_e32 v61, 0
	s_and_saveexec_b64 s[12:13], vcc
	s_cbranch_execz .LBB928_393
; %bb.388:                              ;   in Loop: Header=BB928_213 Depth=1
	v_cmp_ne_u16_e32 vcc, s9, v40
	v_mov_b32_e32 v61, 0xffff8000
	s_and_saveexec_b64 s[14:15], vcc
	s_cbranch_execz .LBB928_392
; %bb.389:                              ;   in Loop: Header=BB928_213 Depth=1
	v_and_b32_e32 v42, 0x7f, v40
	v_cmp_ne_u32_e32 vcc, s21, v42
	v_mov_b32_e32 v61, 0x7f80
	s_and_saveexec_b64 s[16:17], vcc
	s_cbranch_execz .LBB928_391
; %bb.390:                              ;   in Loop: Header=BB928_213 Depth=1
	v_and_b32_e32 v50, 7, v40
	v_ffbh_u32_e32 v63, v50
	v_min_u32_e32 v63, 32, v63
	v_subrev_u32_e32 v64, 28, v63
	v_lshlrev_b64 v[64:65], v64, v[40:41]
	v_lshrrev_b32_e32 v61, 3, v42
	v_sub_u32_e32 v40, 29, v63
	v_and_b32_e32 v63, 7, v64
	v_cmp_gt_u32_e32 vcc, 8, v42
	v_cndmask_b32_e32 v40, v61, v40, vcc
	v_cndmask_b32_e32 v42, v50, v63, vcc
	v_lshlrev_b32_e32 v50, 16, v38
	v_lshlrev_b32_e32 v42, 20, v42
	v_and_b32_e32 v50, 0x80000000, v50
	v_lshl_add_u32 v40, v40, 23, v45
	v_or3_b32 v40, v50, v40, v42
	v_lshrrev_b32_e32 v61, 16, v40
.LBB928_391:                            ;   in Loop: Header=BB928_213 Depth=1
	s_or_b64 exec, exec, s[16:17]
.LBB928_392:                            ;   in Loop: Header=BB928_213 Depth=1
	s_or_b64 exec, exec, s[14:15]
.LBB928_393:                            ;   in Loop: Header=BB928_213 Depth=1
	s_or_b64 exec, exec, s[12:13]
	v_lshrrev_b32_e32 v40, 16, v38
	v_cmp_ne_u16_sdwa s[14:15], v40, v43 src0_sel:BYTE_0 src1_sel:DWORD
	s_and_saveexec_b64 s[12:13], s[14:15]
	s_cbranch_execz .LBB928_399
; %bb.394:                              ;   in Loop: Header=BB928_213 Depth=1
	v_cmp_ne_u16_sdwa s[16:17], v40, s9 src0_sel:BYTE_0 src1_sel:DWORD
	v_mov_b32_e32 v62, 0xffff8000
	s_and_saveexec_b64 s[14:15], s[16:17]
	s_cbranch_execz .LBB928_398
; %bb.395:                              ;   in Loop: Header=BB928_213 Depth=1
	v_bfe_u32 v42, v38, 16, 7
	v_cmp_ne_u32_e32 vcc, s21, v42
	v_mov_b32_e32 v62, 0x7f80
	s_and_saveexec_b64 s[16:17], vcc
	s_cbranch_execz .LBB928_397
; %bb.396:                              ;   in Loop: Header=BB928_213 Depth=1
	v_and_b32_e32 v50, 7, v40
	v_ffbh_u32_e32 v62, v50
	v_min_u32_e32 v65, 32, v62
	v_subrev_u32_e32 v62, 28, v65
	v_lshlrev_b64 v[62:63], v62, v[40:41]
	v_lshrrev_b32_e32 v64, 3, v42
	v_sub_u32_e32 v63, 29, v65
	v_and_b32_e32 v62, 7, v62
	v_cmp_gt_u32_e32 vcc, 8, v42
	v_cndmask_b32_e32 v42, v64, v63, vcc
	v_cndmask_b32_e32 v50, v50, v62, vcc
	v_lshlrev_b32_e32 v40, 24, v40
	v_lshlrev_b32_e32 v50, 20, v50
	v_and_b32_e32 v40, 0x80000000, v40
	v_lshl_add_u32 v42, v42, 23, v45
	v_or3_b32 v40, v40, v42, v50
	v_lshrrev_b32_e32 v62, 16, v40
.LBB928_397:                            ;   in Loop: Header=BB928_213 Depth=1
	s_or_b64 exec, exec, s[16:17]
.LBB928_398:                            ;   in Loop: Header=BB928_213 Depth=1
	s_or_b64 exec, exec, s[14:15]
.LBB928_399:                            ;   in Loop: Header=BB928_213 Depth=1
	s_or_b64 exec, exec, s[12:13]
	v_cmp_lt_u32_e32 vcc, s22, v38
	v_mov_b32_e32 v50, 0
	v_mov_b32_e32 v63, 0
	s_and_saveexec_b64 s[12:13], vcc
	s_cbranch_execz .LBB928_405
; %bb.400:                              ;   in Loop: Header=BB928_213 Depth=1
	v_lshrrev_b32_e32 v40, 24, v38
	v_cmp_ne_u32_e32 vcc, s9, v40
	v_mov_b32_e32 v63, 0xffff8000
	s_and_saveexec_b64 s[14:15], vcc
	s_cbranch_execz .LBB928_404
; %bb.401:                              ;   in Loop: Header=BB928_213 Depth=1
	v_bfe_u32 v38, v38, 24, 7
	v_cmp_ne_u32_e32 vcc, s21, v38
	v_mov_b32_e32 v63, 0x7f80
	s_and_saveexec_b64 s[16:17], vcc
	s_cbranch_execz .LBB928_403
; %bb.402:                              ;   in Loop: Header=BB928_213 Depth=1
	v_and_b32_e32 v42, 7, v40
	v_ffbh_u32_e32 v64, v42
	v_min_u32_e32 v66, 32, v64
	v_subrev_u32_e32 v64, 28, v66
	v_lshlrev_b64 v[64:65], v64, v[40:41]
	v_lshrrev_b32_e32 v63, 3, v38
	v_sub_u32_e32 v65, 29, v66
	v_and_b32_e32 v64, 7, v64
	v_cmp_gt_u32_e32 vcc, 8, v38
	v_cndmask_b32_e32 v38, v63, v65, vcc
	v_cndmask_b32_e32 v42, v42, v64, vcc
	v_lshlrev_b32_e32 v40, 24, v40
	v_lshlrev_b32_e32 v42, 20, v42
	v_and_b32_e32 v40, 0x80000000, v40
	v_lshl_add_u32 v38, v38, 23, v45
	v_or3_b32 v38, v40, v38, v42
	v_lshrrev_b32_e32 v63, 16, v38
.LBB928_403:                            ;   in Loop: Header=BB928_213 Depth=1
	s_or_b64 exec, exec, s[16:17]
.LBB928_404:                            ;   in Loop: Header=BB928_213 Depth=1
	s_or_b64 exec, exec, s[14:15]
.LBB928_405:                            ;   in Loop: Header=BB928_213 Depth=1
	s_or_b64 exec, exec, s[12:13]
	v_perm_b32 v64, v44, v46, s23
	buffer_load_dword v44, v60, s[0:3], 0 offen
	buffer_load_dword v42, v60, s[0:3], 0 offen offset:4
	buffer_load_dword v40, v60, s[0:3], 0 offen offset:8
	;; [unrolled: 1-line block ×3, first 2 shown]
	v_perm_b32 v65, v53, v51, s23
	v_perm_b32 v53, v63, v62, s23
	;; [unrolled: 1-line block ×3, first 2 shown]
	v_mfma_f32_16x16x16bf16_1k v[34:37], v[64:65], v[14:15], v[34:37]
	s_waitcnt vmcnt(3)
	v_cmp_ne_u16_sdwa s[14:15], v44, v43 src0_sel:BYTE_0 src1_sel:DWORD
	v_mfma_f32_16x16x16bf16_1k v[34:37], v[52:53], v[16:17], v[34:37]
	s_and_saveexec_b64 s[12:13], s[14:15]
	s_cbranch_execz .LBB928_411
; %bb.406:                              ;   in Loop: Header=BB928_213 Depth=1
	v_cmp_ne_u16_sdwa s[16:17], v44, s9 src0_sel:BYTE_0 src1_sel:DWORD
	v_mov_b32_e32 v50, 0xffff8000
	s_and_saveexec_b64 s[14:15], s[16:17]
	s_cbranch_execz .LBB928_410
; %bb.407:                              ;   in Loop: Header=BB928_213 Depth=1
	v_and_b32_e32 v46, 0x7f, v44
	v_cmp_ne_u32_e32 vcc, s21, v46
	v_mov_b32_e32 v50, 0x7f80
	s_and_saveexec_b64 s[16:17], vcc
	s_cbranch_execz .LBB928_409
; %bb.408:                              ;   in Loop: Header=BB928_213 Depth=1
	v_and_b32_e32 v52, 7, v44
	v_ffbh_u32_e32 v50, v52
	v_min_u32_e32 v60, 32, v50
	v_subrev_u32_e32 v50, 28, v60
	v_lshlrev_b64 v[50:51], v50, v[44:45]
	v_lshrrev_b32_e32 v53, 3, v46
	v_sub_u32_e32 v51, 29, v60
	v_and_b32_e32 v50, 7, v50
	v_cmp_gt_u32_e32 vcc, 8, v46
	v_cndmask_b32_e32 v46, v53, v51, vcc
	v_cndmask_b32_e32 v50, v52, v50, vcc
	v_lshlrev_b32_e32 v51, 24, v44
	v_lshlrev_b32_e32 v50, 20, v50
	v_and_b32_e32 v51, 0x80000000, v51
	v_lshl_add_u32 v46, v46, 23, v45
	v_or3_b32 v46, v51, v46, v50
	v_lshrrev_b32_e32 v50, 16, v46
.LBB928_409:                            ;   in Loop: Header=BB928_213 Depth=1
	s_or_b64 exec, exec, s[16:17]
.LBB928_410:                            ;   in Loop: Header=BB928_213 Depth=1
	s_or_b64 exec, exec, s[14:15]
.LBB928_411:                            ;   in Loop: Header=BB928_213 Depth=1
	s_or_b64 exec, exec, s[12:13]
	v_lshrrev_b16_e32 v46, 8, v44
	v_cmp_ne_u16_e32 vcc, 0, v46
	v_mov_b32_e32 v52, 0
	v_mov_b32_e32 v51, 0
	s_and_saveexec_b64 s[12:13], vcc
	s_cbranch_execz .LBB928_417
; %bb.412:                              ;   in Loop: Header=BB928_213 Depth=1
	v_cmp_ne_u16_e32 vcc, s9, v46
	v_mov_b32_e32 v51, 0xffff8000
	s_and_saveexec_b64 s[14:15], vcc
	s_cbranch_execz .LBB928_416
; %bb.413:                              ;   in Loop: Header=BB928_213 Depth=1
	v_and_b32_e32 v53, 0x7f, v46
	v_cmp_ne_u32_e32 vcc, s21, v53
	v_mov_b32_e32 v51, 0x7f80
	s_and_saveexec_b64 s[16:17], vcc
	s_cbranch_execz .LBB928_415
; %bb.414:                              ;   in Loop: Header=BB928_213 Depth=1
	v_and_b32_e32 v51, 7, v46
	v_ffbh_u32_e32 v60, v51
	v_min_u32_e32 v63, 32, v60
	v_subrev_u32_e32 v60, 28, v63
	v_lshlrev_b64 v[60:61], v60, v[46:47]
	v_lshrrev_b32_e32 v62, 3, v53
	v_sub_u32_e32 v46, 29, v63
	v_and_b32_e32 v60, 7, v60
	v_cmp_gt_u32_e32 vcc, 8, v53
	v_cndmask_b32_e32 v46, v62, v46, vcc
	v_cndmask_b32_e32 v51, v51, v60, vcc
	v_lshlrev_b32_e32 v53, 16, v44
	v_lshlrev_b32_e32 v51, 20, v51
	v_and_b32_e32 v53, 0x80000000, v53
	v_lshl_add_u32 v46, v46, 23, v45
	v_or3_b32 v46, v53, v46, v51
	v_lshrrev_b32_e32 v51, 16, v46
.LBB928_415:                            ;   in Loop: Header=BB928_213 Depth=1
	s_or_b64 exec, exec, s[16:17]
.LBB928_416:                            ;   in Loop: Header=BB928_213 Depth=1
	s_or_b64 exec, exec, s[14:15]
.LBB928_417:                            ;   in Loop: Header=BB928_213 Depth=1
	s_or_b64 exec, exec, s[12:13]
	v_lshrrev_b32_e32 v46, 16, v44
	v_cmp_ne_u16_sdwa s[14:15], v46, v43 src0_sel:BYTE_0 src1_sel:DWORD
	s_and_saveexec_b64 s[12:13], s[14:15]
	s_cbranch_execz .LBB928_423
; %bb.418:                              ;   in Loop: Header=BB928_213 Depth=1
	v_cmp_ne_u16_sdwa s[16:17], v46, s9 src0_sel:BYTE_0 src1_sel:DWORD
	v_mov_b32_e32 v52, 0xffff8000
	s_and_saveexec_b64 s[14:15], s[16:17]
	s_cbranch_execz .LBB928_422
; %bb.419:                              ;   in Loop: Header=BB928_213 Depth=1
	v_bfe_u32 v53, v44, 16, 7
	v_cmp_ne_u32_e32 vcc, s21, v53
	v_mov_b32_e32 v52, 0x7f80
	s_and_saveexec_b64 s[16:17], vcc
	s_cbranch_execz .LBB928_421
; %bb.420:                              ;   in Loop: Header=BB928_213 Depth=1
	v_and_b32_e32 v52, 7, v46
	v_ffbh_u32_e32 v60, v52
	v_min_u32_e32 v63, 32, v60
	v_subrev_u32_e32 v60, 28, v63
	v_lshlrev_b64 v[60:61], v60, v[46:47]
	v_lshrrev_b32_e32 v62, 3, v53
	v_sub_u32_e32 v61, 29, v63
	v_and_b32_e32 v60, 7, v60
	v_cmp_gt_u32_e32 vcc, 8, v53
	v_cndmask_b32_e32 v53, v62, v61, vcc
	v_cndmask_b32_e32 v52, v52, v60, vcc
	v_lshlrev_b32_e32 v46, 24, v46
	v_lshlrev_b32_e32 v52, 20, v52
	v_and_b32_e32 v46, 0x80000000, v46
	v_lshl_add_u32 v53, v53, 23, v45
	v_or3_b32 v46, v46, v53, v52
	v_lshrrev_b32_e32 v52, 16, v46
.LBB928_421:                            ;   in Loop: Header=BB928_213 Depth=1
	s_or_b64 exec, exec, s[16:17]
.LBB928_422:                            ;   in Loop: Header=BB928_213 Depth=1
	s_or_b64 exec, exec, s[14:15]
.LBB928_423:                            ;   in Loop: Header=BB928_213 Depth=1
	s_or_b64 exec, exec, s[12:13]
	v_cmp_lt_u32_e32 vcc, s22, v44
	v_mov_b32_e32 v53, 0
	v_mov_b32_e32 v60, 0
	s_and_saveexec_b64 s[12:13], vcc
	s_cbranch_execz .LBB928_429
; %bb.424:                              ;   in Loop: Header=BB928_213 Depth=1
	v_lshrrev_b32_e32 v46, 24, v44
	v_cmp_ne_u32_e32 vcc, s9, v46
	v_mov_b32_e32 v60, 0xffff8000
	s_and_saveexec_b64 s[14:15], vcc
	s_cbranch_execz .LBB928_428
; %bb.425:                              ;   in Loop: Header=BB928_213 Depth=1
	v_bfe_u32 v44, v44, 24, 7
	v_cmp_ne_u32_e32 vcc, s21, v44
	v_mov_b32_e32 v60, 0x7f80
	s_and_saveexec_b64 s[16:17], vcc
	s_cbranch_execz .LBB928_427
; %bb.426:                              ;   in Loop: Header=BB928_213 Depth=1
	v_and_b32_e32 v62, 7, v46
	v_ffbh_u32_e32 v60, v62
	v_min_u32_e32 v64, 32, v60
	v_subrev_u32_e32 v60, 28, v64
	v_lshlrev_b64 v[60:61], v60, v[46:47]
	v_lshrrev_b32_e32 v63, 3, v44
	v_sub_u32_e32 v61, 29, v64
	v_and_b32_e32 v60, 7, v60
	v_cmp_gt_u32_e32 vcc, 8, v44
	v_cndmask_b32_e32 v44, v63, v61, vcc
	v_cndmask_b32_e32 v60, v62, v60, vcc
	v_lshlrev_b32_e32 v46, 24, v46
	v_lshlrev_b32_e32 v60, 20, v60
	v_and_b32_e32 v46, 0x80000000, v46
	v_lshl_add_u32 v44, v44, 23, v45
	v_or3_b32 v44, v46, v44, v60
	v_lshrrev_b32_e32 v60, 16, v44
.LBB928_427:                            ;   in Loop: Header=BB928_213 Depth=1
	s_or_b64 exec, exec, s[16:17]
.LBB928_428:                            ;   in Loop: Header=BB928_213 Depth=1
	s_or_b64 exec, exec, s[14:15]
.LBB928_429:                            ;   in Loop: Header=BB928_213 Depth=1
	s_or_b64 exec, exec, s[12:13]
	s_waitcnt vmcnt(2)
	v_cmp_ne_u16_sdwa s[14:15], v42, v43 src0_sel:BYTE_0 src1_sel:DWORD
	s_and_saveexec_b64 s[12:13], s[14:15]
	s_cbranch_execz .LBB928_435
; %bb.430:                              ;   in Loop: Header=BB928_213 Depth=1
	v_cmp_ne_u16_sdwa s[16:17], v42, s9 src0_sel:BYTE_0 src1_sel:DWORD
	v_mov_b32_e32 v53, 0xffff8000
	s_and_saveexec_b64 s[14:15], s[16:17]
	s_cbranch_execz .LBB928_434
; %bb.431:                              ;   in Loop: Header=BB928_213 Depth=1
	v_and_b32_e32 v44, 0x7f, v42
	v_cmp_ne_u32_e32 vcc, s21, v44
	v_mov_b32_e32 v53, 0x7f80
	s_and_saveexec_b64 s[16:17], vcc
	s_cbranch_execz .LBB928_433
; %bb.432:                              ;   in Loop: Header=BB928_213 Depth=1
	v_and_b32_e32 v46, 7, v42
	v_ffbh_u32_e32 v61, v46
	v_min_u32_e32 v61, 32, v61
	v_subrev_u32_e32 v62, 28, v61
	v_lshlrev_b64 v[62:63], v62, v[42:43]
	v_lshrrev_b32_e32 v53, 3, v44
	v_sub_u32_e32 v61, 29, v61
	v_and_b32_e32 v62, 7, v62
	v_cmp_gt_u32_e32 vcc, 8, v44
	v_cndmask_b32_e32 v44, v53, v61, vcc
	v_cndmask_b32_e32 v46, v46, v62, vcc
	v_lshlrev_b32_e32 v53, 24, v42
	v_lshlrev_b32_e32 v46, 20, v46
	v_and_b32_e32 v53, 0x80000000, v53
	v_lshl_add_u32 v44, v44, 23, v45
	v_or3_b32 v44, v53, v44, v46
	v_lshrrev_b32_e32 v53, 16, v44
.LBB928_433:                            ;   in Loop: Header=BB928_213 Depth=1
	s_or_b64 exec, exec, s[16:17]
.LBB928_434:                            ;   in Loop: Header=BB928_213 Depth=1
	s_or_b64 exec, exec, s[14:15]
.LBB928_435:                            ;   in Loop: Header=BB928_213 Depth=1
	s_or_b64 exec, exec, s[12:13]
	v_lshrrev_b16_e32 v44, 8, v42
	v_cmp_ne_u16_e32 vcc, 0, v44
	v_mov_b32_e32 v62, 0
	v_mov_b32_e32 v61, 0
	s_and_saveexec_b64 s[12:13], vcc
	s_cbranch_execz .LBB928_441
; %bb.436:                              ;   in Loop: Header=BB928_213 Depth=1
	v_cmp_ne_u16_e32 vcc, s9, v44
	v_mov_b32_e32 v61, 0xffff8000
	s_and_saveexec_b64 s[14:15], vcc
	s_cbranch_execz .LBB928_440
; %bb.437:                              ;   in Loop: Header=BB928_213 Depth=1
	v_and_b32_e32 v46, 0x7f, v44
	v_cmp_ne_u32_e32 vcc, s21, v46
	v_mov_b32_e32 v61, 0x7f80
	s_and_saveexec_b64 s[16:17], vcc
	s_cbranch_execz .LBB928_439
; %bb.438:                              ;   in Loop: Header=BB928_213 Depth=1
	v_and_b32_e32 v61, 7, v44
	v_ffbh_u32_e32 v64, v61
	v_min_u32_e32 v66, 32, v64
	v_subrev_u32_e32 v64, 28, v66
	v_lshlrev_b64 v[64:65], v64, v[44:45]
	v_lshrrev_b32_e32 v63, 3, v46
	v_sub_u32_e32 v44, 29, v66
	v_and_b32_e32 v64, 7, v64
	v_cmp_gt_u32_e32 vcc, 8, v46
	v_cndmask_b32_e32 v44, v63, v44, vcc
	v_cndmask_b32_e32 v46, v61, v64, vcc
	v_lshlrev_b32_e32 v61, 16, v42
	v_lshlrev_b32_e32 v46, 20, v46
	v_and_b32_e32 v61, 0x80000000, v61
	v_lshl_add_u32 v44, v44, 23, v45
	v_or3_b32 v44, v61, v44, v46
	v_lshrrev_b32_e32 v61, 16, v44
.LBB928_439:                            ;   in Loop: Header=BB928_213 Depth=1
	s_or_b64 exec, exec, s[16:17]
.LBB928_440:                            ;   in Loop: Header=BB928_213 Depth=1
	s_or_b64 exec, exec, s[14:15]
.LBB928_441:                            ;   in Loop: Header=BB928_213 Depth=1
	s_or_b64 exec, exec, s[12:13]
	v_lshrrev_b32_e32 v44, 16, v42
	v_cmp_ne_u16_sdwa s[14:15], v44, v43 src0_sel:BYTE_0 src1_sel:DWORD
	s_and_saveexec_b64 s[12:13], s[14:15]
	s_cbranch_execz .LBB928_447
; %bb.442:                              ;   in Loop: Header=BB928_213 Depth=1
	v_cmp_ne_u16_sdwa s[16:17], v44, s9 src0_sel:BYTE_0 src1_sel:DWORD
	v_mov_b32_e32 v62, 0xffff8000
	s_and_saveexec_b64 s[14:15], s[16:17]
	s_cbranch_execz .LBB928_446
; %bb.443:                              ;   in Loop: Header=BB928_213 Depth=1
	v_bfe_u32 v46, v42, 16, 7
	v_cmp_ne_u32_e32 vcc, s21, v46
	v_mov_b32_e32 v62, 0x7f80
	s_and_saveexec_b64 s[16:17], vcc
	s_cbranch_execz .LBB928_445
; %bb.444:                              ;   in Loop: Header=BB928_213 Depth=1
	v_and_b32_e32 v64, 7, v44
	v_ffbh_u32_e32 v62, v64
	v_min_u32_e32 v66, 32, v62
	v_subrev_u32_e32 v62, 28, v66
	v_lshlrev_b64 v[62:63], v62, v[44:45]
	v_lshrrev_b32_e32 v65, 3, v46
	v_sub_u32_e32 v63, 29, v66
	v_and_b32_e32 v62, 7, v62
	v_cmp_gt_u32_e32 vcc, 8, v46
	v_cndmask_b32_e32 v46, v65, v63, vcc
	v_cndmask_b32_e32 v62, v64, v62, vcc
	v_lshlrev_b32_e32 v44, 24, v44
	v_lshlrev_b32_e32 v62, 20, v62
	v_and_b32_e32 v44, 0x80000000, v44
	v_lshl_add_u32 v46, v46, 23, v45
	v_or3_b32 v44, v44, v46, v62
	v_lshrrev_b32_e32 v62, 16, v44
.LBB928_445:                            ;   in Loop: Header=BB928_213 Depth=1
	s_or_b64 exec, exec, s[16:17]
.LBB928_446:                            ;   in Loop: Header=BB928_213 Depth=1
	s_or_b64 exec, exec, s[14:15]
.LBB928_447:                            ;   in Loop: Header=BB928_213 Depth=1
	s_or_b64 exec, exec, s[12:13]
	v_cmp_lt_u32_e32 vcc, s22, v42
	v_mov_b32_e32 v46, 0
	v_mov_b32_e32 v63, 0
	s_and_saveexec_b64 s[12:13], vcc
	s_cbranch_execz .LBB928_453
; %bb.448:                              ;   in Loop: Header=BB928_213 Depth=1
	v_lshrrev_b32_e32 v44, 24, v42
	v_cmp_ne_u32_e32 vcc, s9, v44
	v_mov_b32_e32 v63, 0xffff8000
	s_and_saveexec_b64 s[14:15], vcc
	s_cbranch_execz .LBB928_452
; %bb.449:                              ;   in Loop: Header=BB928_213 Depth=1
	v_bfe_u32 v42, v42, 24, 7
	v_cmp_ne_u32_e32 vcc, s21, v42
	v_mov_b32_e32 v63, 0x7f80
	s_and_saveexec_b64 s[16:17], vcc
	s_cbranch_execz .LBB928_451
; %bb.450:                              ;   in Loop: Header=BB928_213 Depth=1
	v_and_b32_e32 v63, 7, v44
	v_ffbh_u32_e32 v64, v63
	v_min_u32_e32 v67, 32, v64
	v_subrev_u32_e32 v64, 28, v67
	v_lshlrev_b64 v[64:65], v64, v[44:45]
	v_lshrrev_b32_e32 v66, 3, v42
	v_sub_u32_e32 v65, 29, v67
	v_and_b32_e32 v64, 7, v64
	v_cmp_gt_u32_e32 vcc, 8, v42
	v_cndmask_b32_e32 v42, v66, v65, vcc
	v_cndmask_b32_e32 v63, v63, v64, vcc
	v_lshlrev_b32_e32 v44, 24, v44
	v_lshlrev_b32_e32 v63, 20, v63
	v_and_b32_e32 v44, 0x80000000, v44
	v_lshl_add_u32 v42, v42, 23, v45
	v_or3_b32 v42, v44, v42, v63
	v_lshrrev_b32_e32 v63, 16, v42
.LBB928_451:                            ;   in Loop: Header=BB928_213 Depth=1
	s_or_b64 exec, exec, s[16:17]
.LBB928_452:                            ;   in Loop: Header=BB928_213 Depth=1
	s_or_b64 exec, exec, s[14:15]
.LBB928_453:                            ;   in Loop: Header=BB928_213 Depth=1
	s_or_b64 exec, exec, s[12:13]
	v_perm_b32 v65, v60, v52, s23
	v_perm_b32 v64, v51, v50, s23
	;; [unrolled: 1-line block ×4, first 2 shown]
	s_waitcnt vmcnt(1)
	v_cmp_ne_u16_sdwa s[14:15], v40, v43 src0_sel:BYTE_0 src1_sel:DWORD
	v_mfma_f32_16x16x16bf16_1k v[34:37], v[64:65], v[18:19], v[34:37]
	v_mfma_f32_16x16x16bf16_1k v[34:37], v[50:51], v[20:21], v[34:37]
	s_and_saveexec_b64 s[12:13], s[14:15]
	s_cbranch_execz .LBB928_459
; %bb.454:                              ;   in Loop: Header=BB928_213 Depth=1
	v_cmp_ne_u16_sdwa s[16:17], v40, s9 src0_sel:BYTE_0 src1_sel:DWORD
	v_mov_b32_e32 v46, 0xffff8000
	s_and_saveexec_b64 s[14:15], s[16:17]
	s_cbranch_execz .LBB928_458
; %bb.455:                              ;   in Loop: Header=BB928_213 Depth=1
	v_and_b32_e32 v42, 0x7f, v40
	v_cmp_ne_u32_e32 vcc, s21, v42
	v_mov_b32_e32 v46, 0x7f80
	s_and_saveexec_b64 s[16:17], vcc
	s_cbranch_execz .LBB928_457
; %bb.456:                              ;   in Loop: Header=BB928_213 Depth=1
	v_and_b32_e32 v44, 7, v40
	v_ffbh_u32_e32 v50, v44
	v_min_u32_e32 v52, 32, v50
	v_subrev_u32_e32 v50, 28, v52
	v_lshlrev_b64 v[50:51], v50, v[40:41]
	v_lshrrev_b32_e32 v46, 3, v42
	v_sub_u32_e32 v51, 29, v52
	v_and_b32_e32 v50, 7, v50
	v_cmp_gt_u32_e32 vcc, 8, v42
	v_cndmask_b32_e32 v42, v46, v51, vcc
	v_cndmask_b32_e32 v44, v44, v50, vcc
	v_lshlrev_b32_e32 v46, 24, v40
	v_lshlrev_b32_e32 v44, 20, v44
	v_and_b32_e32 v46, 0x80000000, v46
	v_lshl_add_u32 v42, v42, 23, v45
	v_or3_b32 v42, v46, v42, v44
	v_lshrrev_b32_e32 v46, 16, v42
.LBB928_457:                            ;   in Loop: Header=BB928_213 Depth=1
	s_or_b64 exec, exec, s[16:17]
.LBB928_458:                            ;   in Loop: Header=BB928_213 Depth=1
	s_or_b64 exec, exec, s[14:15]
.LBB928_459:                            ;   in Loop: Header=BB928_213 Depth=1
	s_or_b64 exec, exec, s[12:13]
	v_lshrrev_b16_e32 v42, 8, v40
	v_cmp_ne_u16_e32 vcc, 0, v42
	v_mov_b32_e32 v51, 0
	v_mov_b32_e32 v44, 0
	s_and_saveexec_b64 s[12:13], vcc
	s_cbranch_execz .LBB928_465
; %bb.460:                              ;   in Loop: Header=BB928_213 Depth=1
	v_cmp_ne_u16_e32 vcc, s9, v42
	v_mov_b32_e32 v44, 0xffff8000
	s_and_saveexec_b64 s[14:15], vcc
	s_cbranch_execz .LBB928_464
; %bb.461:                              ;   in Loop: Header=BB928_213 Depth=1
	v_and_b32_e32 v50, 0x7f, v42
	v_cmp_ne_u32_e32 vcc, s21, v50
	v_mov_b32_e32 v44, 0x7f80
	s_and_saveexec_b64 s[16:17], vcc
	s_cbranch_execz .LBB928_463
; %bb.462:                              ;   in Loop: Header=BB928_213 Depth=1
	v_and_b32_e32 v44, 7, v42
	v_ffbh_u32_e32 v52, v44
	v_min_u32_e32 v61, 32, v52
	v_subrev_u32_e32 v52, 28, v61
	v_lshlrev_b64 v[52:53], v52, v[42:43]
	v_lshrrev_b32_e32 v60, 3, v50
	v_sub_u32_e32 v42, 29, v61
	v_and_b32_e32 v52, 7, v52
	v_cmp_gt_u32_e32 vcc, 8, v50
	v_cndmask_b32_e32 v42, v60, v42, vcc
	v_cndmask_b32_e32 v44, v44, v52, vcc
	v_lshlrev_b32_e32 v50, 16, v40
	v_lshlrev_b32_e32 v44, 20, v44
	v_and_b32_e32 v50, 0x80000000, v50
	v_lshl_add_u32 v42, v42, 23, v45
	v_or3_b32 v42, v50, v42, v44
	v_lshrrev_b32_e32 v44, 16, v42
.LBB928_463:                            ;   in Loop: Header=BB928_213 Depth=1
	s_or_b64 exec, exec, s[16:17]
.LBB928_464:                            ;   in Loop: Header=BB928_213 Depth=1
	s_or_b64 exec, exec, s[14:15]
.LBB928_465:                            ;   in Loop: Header=BB928_213 Depth=1
	s_or_b64 exec, exec, s[12:13]
	v_lshrrev_b32_e32 v42, 16, v40
	v_cmp_ne_u16_sdwa s[14:15], v42, v43 src0_sel:BYTE_0 src1_sel:DWORD
	s_and_saveexec_b64 s[12:13], s[14:15]
	s_cbranch_execz .LBB928_471
; %bb.466:                              ;   in Loop: Header=BB928_213 Depth=1
	v_cmp_ne_u16_sdwa s[16:17], v42, s9 src0_sel:BYTE_0 src1_sel:DWORD
	v_mov_b32_e32 v51, 0xffff8000
	s_and_saveexec_b64 s[14:15], s[16:17]
	s_cbranch_execz .LBB928_470
; %bb.467:                              ;   in Loop: Header=BB928_213 Depth=1
	v_bfe_u32 v50, v40, 16, 7
	v_cmp_ne_u32_e32 vcc, s21, v50
	v_mov_b32_e32 v51, 0x7f80
	s_and_saveexec_b64 s[16:17], vcc
	s_cbranch_execz .LBB928_469
; %bb.468:                              ;   in Loop: Header=BB928_213 Depth=1
	v_and_b32_e32 v51, 7, v42
	v_ffbh_u32_e32 v52, v51
	v_min_u32_e32 v61, 32, v52
	v_subrev_u32_e32 v52, 28, v61
	v_lshlrev_b64 v[52:53], v52, v[42:43]
	v_lshrrev_b32_e32 v60, 3, v50
	v_sub_u32_e32 v53, 29, v61
	v_and_b32_e32 v52, 7, v52
	v_cmp_gt_u32_e32 vcc, 8, v50
	v_cndmask_b32_e32 v50, v60, v53, vcc
	v_cndmask_b32_e32 v51, v51, v52, vcc
	v_lshlrev_b32_e32 v42, 24, v42
	v_lshlrev_b32_e32 v51, 20, v51
	v_and_b32_e32 v42, 0x80000000, v42
	v_lshl_add_u32 v50, v50, 23, v45
	v_or3_b32 v42, v42, v50, v51
	v_lshrrev_b32_e32 v51, 16, v42
.LBB928_469:                            ;   in Loop: Header=BB928_213 Depth=1
	s_or_b64 exec, exec, s[16:17]
.LBB928_470:                            ;   in Loop: Header=BB928_213 Depth=1
	s_or_b64 exec, exec, s[14:15]
.LBB928_471:                            ;   in Loop: Header=BB928_213 Depth=1
	s_or_b64 exec, exec, s[12:13]
	v_cmp_lt_u32_e32 vcc, s22, v40
	v_mov_b32_e32 v52, 0
	v_mov_b32_e32 v53, 0
	s_and_saveexec_b64 s[12:13], vcc
	s_cbranch_execz .LBB928_477
; %bb.472:                              ;   in Loop: Header=BB928_213 Depth=1
	v_lshrrev_b32_e32 v42, 24, v40
	v_cmp_ne_u32_e32 vcc, s9, v42
	v_mov_b32_e32 v53, 0xffff8000
	s_and_saveexec_b64 s[14:15], vcc
	s_cbranch_execz .LBB928_476
; %bb.473:                              ;   in Loop: Header=BB928_213 Depth=1
	v_bfe_u32 v40, v40, 24, 7
	v_cmp_ne_u32_e32 vcc, s21, v40
	v_mov_b32_e32 v53, 0x7f80
	s_and_saveexec_b64 s[16:17], vcc
	s_cbranch_execz .LBB928_475
; %bb.474:                              ;   in Loop: Header=BB928_213 Depth=1
	v_and_b32_e32 v50, 7, v42
	v_ffbh_u32_e32 v60, v50
	v_min_u32_e32 v62, 32, v60
	v_subrev_u32_e32 v60, 28, v62
	v_lshlrev_b64 v[60:61], v60, v[42:43]
	v_lshrrev_b32_e32 v53, 3, v40
	v_sub_u32_e32 v61, 29, v62
	v_and_b32_e32 v60, 7, v60
	v_cmp_gt_u32_e32 vcc, 8, v40
	v_cndmask_b32_e32 v40, v53, v61, vcc
	v_cndmask_b32_e32 v50, v50, v60, vcc
	v_lshlrev_b32_e32 v42, 24, v42
	v_lshlrev_b32_e32 v50, 20, v50
	v_and_b32_e32 v42, 0x80000000, v42
	v_lshl_add_u32 v40, v40, 23, v45
	v_or3_b32 v40, v42, v40, v50
	v_lshrrev_b32_e32 v53, 16, v40
.LBB928_475:                            ;   in Loop: Header=BB928_213 Depth=1
	s_or_b64 exec, exec, s[16:17]
.LBB928_476:                            ;   in Loop: Header=BB928_213 Depth=1
	s_or_b64 exec, exec, s[14:15]
.LBB928_477:                            ;   in Loop: Header=BB928_213 Depth=1
	s_or_b64 exec, exec, s[12:13]
	s_waitcnt vmcnt(0)
	v_cmp_ne_u16_sdwa s[14:15], v38, v43 src0_sel:BYTE_0 src1_sel:DWORD
	s_and_saveexec_b64 s[12:13], s[14:15]
	s_cbranch_execz .LBB928_483
; %bb.478:                              ;   in Loop: Header=BB928_213 Depth=1
	v_cmp_ne_u16_sdwa s[16:17], v38, s9 src0_sel:BYTE_0 src1_sel:DWORD
	v_mov_b32_e32 v52, 0xffff8000
	s_and_saveexec_b64 s[14:15], s[16:17]
	s_cbranch_execz .LBB928_482
; %bb.479:                              ;   in Loop: Header=BB928_213 Depth=1
	v_and_b32_e32 v40, 0x7f, v38
	v_cmp_ne_u32_e32 vcc, s21, v40
	v_mov_b32_e32 v52, 0x7f80
	s_and_saveexec_b64 s[16:17], vcc
	s_cbranch_execz .LBB928_481
; %bb.480:                              ;   in Loop: Header=BB928_213 Depth=1
	v_and_b32_e32 v42, 7, v38
	v_ffbh_u32_e32 v52, v42
	v_min_u32_e32 v52, 32, v52
	v_subrev_u32_e32 v60, 28, v52
	v_lshlrev_b64 v[60:61], v60, v[38:39]
	v_lshrrev_b32_e32 v50, 3, v40
	v_sub_u32_e32 v52, 29, v52
	v_and_b32_e32 v60, 7, v60
	v_cmp_gt_u32_e32 vcc, 8, v40
	v_cndmask_b32_e32 v40, v50, v52, vcc
	v_cndmask_b32_e32 v42, v42, v60, vcc
	v_lshlrev_b32_e32 v50, 24, v38
	v_lshlrev_b32_e32 v42, 20, v42
	v_and_b32_e32 v50, 0x80000000, v50
	v_lshl_add_u32 v40, v40, 23, v45
	v_or3_b32 v40, v50, v40, v42
	v_lshrrev_b32_e32 v52, 16, v40
.LBB928_481:                            ;   in Loop: Header=BB928_213 Depth=1
	s_or_b64 exec, exec, s[16:17]
.LBB928_482:                            ;   in Loop: Header=BB928_213 Depth=1
	s_or_b64 exec, exec, s[14:15]
.LBB928_483:                            ;   in Loop: Header=BB928_213 Depth=1
	s_or_b64 exec, exec, s[12:13]
	v_lshrrev_b16_e32 v40, 8, v38
	v_cmp_ne_u16_e32 vcc, 0, v40
	v_mov_b32_e32 v61, 0
	v_mov_b32_e32 v60, 0
	s_and_saveexec_b64 s[12:13], vcc
	s_cbranch_execz .LBB928_489
; %bb.484:                              ;   in Loop: Header=BB928_213 Depth=1
	v_cmp_ne_u16_e32 vcc, s9, v40
	v_mov_b32_e32 v60, 0xffff8000
	s_and_saveexec_b64 s[14:15], vcc
	s_cbranch_execz .LBB928_488
; %bb.485:                              ;   in Loop: Header=BB928_213 Depth=1
	v_and_b32_e32 v42, 0x7f, v40
	v_cmp_ne_u32_e32 vcc, s21, v42
	v_mov_b32_e32 v60, 0x7f80
	s_and_saveexec_b64 s[16:17], vcc
	s_cbranch_execz .LBB928_487
; %bb.486:                              ;   in Loop: Header=BB928_213 Depth=1
	v_and_b32_e32 v50, 7, v40
	v_ffbh_u32_e32 v62, v50
	v_min_u32_e32 v64, 32, v62
	v_subrev_u32_e32 v62, 28, v64
	v_lshlrev_b64 v[62:63], v62, v[40:41]
	v_lshrrev_b32_e32 v60, 3, v42
	v_sub_u32_e32 v40, 29, v64
	v_and_b32_e32 v62, 7, v62
	v_cmp_gt_u32_e32 vcc, 8, v42
	v_cndmask_b32_e32 v40, v60, v40, vcc
	v_cndmask_b32_e32 v42, v50, v62, vcc
	v_lshlrev_b32_e32 v50, 16, v38
	v_lshlrev_b32_e32 v42, 20, v42
	v_and_b32_e32 v50, 0x80000000, v50
	v_lshl_add_u32 v40, v40, 23, v45
	v_or3_b32 v40, v50, v40, v42
	v_lshrrev_b32_e32 v60, 16, v40
.LBB928_487:                            ;   in Loop: Header=BB928_213 Depth=1
	s_or_b64 exec, exec, s[16:17]
.LBB928_488:                            ;   in Loop: Header=BB928_213 Depth=1
	s_or_b64 exec, exec, s[14:15]
.LBB928_489:                            ;   in Loop: Header=BB928_213 Depth=1
	s_or_b64 exec, exec, s[12:13]
	v_lshrrev_b32_e32 v40, 16, v38
	v_cmp_ne_u16_sdwa s[14:15], v40, v43 src0_sel:BYTE_0 src1_sel:DWORD
	s_and_saveexec_b64 s[12:13], s[14:15]
	s_cbranch_execz .LBB928_495
; %bb.490:                              ;   in Loop: Header=BB928_213 Depth=1
	v_cmp_ne_u16_sdwa s[16:17], v40, s9 src0_sel:BYTE_0 src1_sel:DWORD
	v_mov_b32_e32 v61, 0xffff8000
	s_and_saveexec_b64 s[14:15], s[16:17]
	s_cbranch_execz .LBB928_494
; %bb.491:                              ;   in Loop: Header=BB928_213 Depth=1
	v_bfe_u32 v42, v38, 16, 7
	v_cmp_ne_u32_e32 vcc, s21, v42
	v_mov_b32_e32 v61, 0x7f80
	s_and_saveexec_b64 s[16:17], vcc
	s_cbranch_execz .LBB928_493
; %bb.492:                              ;   in Loop: Header=BB928_213 Depth=1
	v_and_b32_e32 v50, 7, v40
	v_ffbh_u32_e32 v62, v50
	v_min_u32_e32 v64, 32, v62
	v_subrev_u32_e32 v62, 28, v64
	v_lshlrev_b64 v[62:63], v62, v[40:41]
	v_lshrrev_b32_e32 v61, 3, v42
	v_sub_u32_e32 v63, 29, v64
	v_and_b32_e32 v62, 7, v62
	v_cmp_gt_u32_e32 vcc, 8, v42
	v_cndmask_b32_e32 v42, v61, v63, vcc
	v_cndmask_b32_e32 v50, v50, v62, vcc
	v_lshlrev_b32_e32 v40, 24, v40
	v_lshlrev_b32_e32 v50, 20, v50
	v_and_b32_e32 v40, 0x80000000, v40
	v_lshl_add_u32 v42, v42, 23, v45
	v_or3_b32 v40, v40, v42, v50
	v_lshrrev_b32_e32 v61, 16, v40
.LBB928_493:                            ;   in Loop: Header=BB928_213 Depth=1
	s_or_b64 exec, exec, s[16:17]
.LBB928_494:                            ;   in Loop: Header=BB928_213 Depth=1
	s_or_b64 exec, exec, s[14:15]
.LBB928_495:                            ;   in Loop: Header=BB928_213 Depth=1
	s_or_b64 exec, exec, s[12:13]
	v_cmp_lt_u32_e32 vcc, s22, v38
	v_mov_b32_e32 v50, 0
	v_mov_b32_e32 v62, 0
	s_and_saveexec_b64 s[12:13], vcc
	s_cbranch_execz .LBB928_501
; %bb.496:                              ;   in Loop: Header=BB928_213 Depth=1
	v_lshrrev_b32_e32 v40, 24, v38
	v_cmp_ne_u32_e32 vcc, s9, v40
	v_mov_b32_e32 v62, 0xffff8000
	s_and_saveexec_b64 s[14:15], vcc
	s_cbranch_execz .LBB928_500
; %bb.497:                              ;   in Loop: Header=BB928_213 Depth=1
	v_bfe_u32 v38, v38, 24, 7
	v_cmp_ne_u32_e32 vcc, s21, v38
	v_mov_b32_e32 v62, 0x7f80
	s_and_saveexec_b64 s[16:17], vcc
	s_cbranch_execz .LBB928_499
; %bb.498:                              ;   in Loop: Header=BB928_213 Depth=1
	v_and_b32_e32 v42, 7, v40
	v_ffbh_u32_e32 v62, v42
	v_min_u32_e32 v65, 32, v62
	v_subrev_u32_e32 v62, 28, v65
	v_lshlrev_b64 v[62:63], v62, v[40:41]
	v_lshrrev_b32_e32 v64, 3, v38
	v_sub_u32_e32 v63, 29, v65
	v_and_b32_e32 v62, 7, v62
	v_cmp_gt_u32_e32 vcc, 8, v38
	v_cndmask_b32_e32 v38, v64, v63, vcc
	v_cndmask_b32_e32 v42, v42, v62, vcc
	v_lshlrev_b32_e32 v40, 24, v40
	v_lshlrev_b32_e32 v42, 20, v42
	v_and_b32_e32 v40, 0x80000000, v40
	v_lshl_add_u32 v38, v38, 23, v45
	v_or3_b32 v38, v40, v38, v42
	v_lshrrev_b32_e32 v62, 16, v38
.LBB928_499:                            ;   in Loop: Header=BB928_213 Depth=1
	s_or_b64 exec, exec, s[16:17]
.LBB928_500:                            ;   in Loop: Header=BB928_213 Depth=1
	s_or_b64 exec, exec, s[14:15]
.LBB928_501:                            ;   in Loop: Header=BB928_213 Depth=1
	s_or_b64 exec, exec, s[12:13]
	v_perm_b32 v64, v44, v46, s23
	buffer_load_dword v44, v59, s[0:3], 0 offen
	buffer_load_dword v42, v59, s[0:3], 0 offen offset:4
	buffer_load_dword v40, v59, s[0:3], 0 offen offset:8
	;; [unrolled: 1-line block ×3, first 2 shown]
	v_perm_b32 v65, v53, v51, s23
	v_perm_b32 v53, v62, v61, s23
	;; [unrolled: 1-line block ×3, first 2 shown]
	v_mfma_f32_16x16x16bf16_1k v[34:37], v[64:65], v[22:23], v[34:37]
	s_waitcnt vmcnt(3)
	v_cmp_ne_u16_sdwa s[14:15], v44, v43 src0_sel:BYTE_0 src1_sel:DWORD
	v_mfma_f32_16x16x16bf16_1k v[34:37], v[52:53], v[24:25], v[34:37]
	s_and_saveexec_b64 s[12:13], s[14:15]
	s_cbranch_execz .LBB928_507
; %bb.502:                              ;   in Loop: Header=BB928_213 Depth=1
	v_cmp_ne_u16_sdwa s[16:17], v44, s9 src0_sel:BYTE_0 src1_sel:DWORD
	v_mov_b32_e32 v50, 0xffff8000
	s_and_saveexec_b64 s[14:15], s[16:17]
	s_cbranch_execz .LBB928_506
; %bb.503:                              ;   in Loop: Header=BB928_213 Depth=1
	v_and_b32_e32 v46, 0x7f, v44
	v_cmp_ne_u32_e32 vcc, s21, v46
	v_mov_b32_e32 v50, 0x7f80
	s_and_saveexec_b64 s[16:17], vcc
	s_cbranch_execz .LBB928_505
; %bb.504:                              ;   in Loop: Header=BB928_213 Depth=1
	v_and_b32_e32 v52, 7, v44
	v_ffbh_u32_e32 v50, v52
	v_min_u32_e32 v59, 32, v50
	v_subrev_u32_e32 v50, 28, v59
	v_lshlrev_b64 v[50:51], v50, v[44:45]
	v_lshrrev_b32_e32 v53, 3, v46
	v_sub_u32_e32 v51, 29, v59
	v_and_b32_e32 v50, 7, v50
	v_cmp_gt_u32_e32 vcc, 8, v46
	v_cndmask_b32_e32 v46, v53, v51, vcc
	v_cndmask_b32_e32 v50, v52, v50, vcc
	v_lshlrev_b32_e32 v51, 24, v44
	v_lshlrev_b32_e32 v50, 20, v50
	v_and_b32_e32 v51, 0x80000000, v51
	v_lshl_add_u32 v46, v46, 23, v45
	v_or3_b32 v46, v51, v46, v50
	v_lshrrev_b32_e32 v50, 16, v46
.LBB928_505:                            ;   in Loop: Header=BB928_213 Depth=1
	s_or_b64 exec, exec, s[16:17]
.LBB928_506:                            ;   in Loop: Header=BB928_213 Depth=1
	s_or_b64 exec, exec, s[14:15]
.LBB928_507:                            ;   in Loop: Header=BB928_213 Depth=1
	s_or_b64 exec, exec, s[12:13]
	v_lshrrev_b16_e32 v46, 8, v44
	v_cmp_ne_u16_e32 vcc, 0, v46
	v_mov_b32_e32 v52, 0
	v_mov_b32_e32 v51, 0
	s_and_saveexec_b64 s[12:13], vcc
	s_cbranch_execz .LBB928_513
; %bb.508:                              ;   in Loop: Header=BB928_213 Depth=1
	v_cmp_ne_u16_e32 vcc, s9, v46
	v_mov_b32_e32 v51, 0xffff8000
	s_and_saveexec_b64 s[14:15], vcc
	s_cbranch_execz .LBB928_512
; %bb.509:                              ;   in Loop: Header=BB928_213 Depth=1
	v_and_b32_e32 v53, 0x7f, v46
	v_cmp_ne_u32_e32 vcc, s21, v53
	v_mov_b32_e32 v51, 0x7f80
	s_and_saveexec_b64 s[16:17], vcc
	s_cbranch_execz .LBB928_511
; %bb.510:                              ;   in Loop: Header=BB928_213 Depth=1
	v_and_b32_e32 v51, 7, v46
	v_ffbh_u32_e32 v60, v51
	v_min_u32_e32 v62, 32, v60
	v_subrev_u32_e32 v60, 28, v62
	v_lshlrev_b64 v[60:61], v60, v[46:47]
	v_lshrrev_b32_e32 v59, 3, v53
	v_sub_u32_e32 v46, 29, v62
	v_and_b32_e32 v60, 7, v60
	v_cmp_gt_u32_e32 vcc, 8, v53
	v_cndmask_b32_e32 v46, v59, v46, vcc
	v_cndmask_b32_e32 v51, v51, v60, vcc
	v_lshlrev_b32_e32 v53, 16, v44
	v_lshlrev_b32_e32 v51, 20, v51
	v_and_b32_e32 v53, 0x80000000, v53
	v_lshl_add_u32 v46, v46, 23, v45
	v_or3_b32 v46, v53, v46, v51
	v_lshrrev_b32_e32 v51, 16, v46
.LBB928_511:                            ;   in Loop: Header=BB928_213 Depth=1
	s_or_b64 exec, exec, s[16:17]
.LBB928_512:                            ;   in Loop: Header=BB928_213 Depth=1
	s_or_b64 exec, exec, s[14:15]
.LBB928_513:                            ;   in Loop: Header=BB928_213 Depth=1
	s_or_b64 exec, exec, s[12:13]
	v_lshrrev_b32_e32 v46, 16, v44
	v_cmp_ne_u16_sdwa s[14:15], v46, v43 src0_sel:BYTE_0 src1_sel:DWORD
	s_and_saveexec_b64 s[12:13], s[14:15]
	s_cbranch_execz .LBB928_519
; %bb.514:                              ;   in Loop: Header=BB928_213 Depth=1
	v_cmp_ne_u16_sdwa s[16:17], v46, s9 src0_sel:BYTE_0 src1_sel:DWORD
	v_mov_b32_e32 v52, 0xffff8000
	s_and_saveexec_b64 s[14:15], s[16:17]
	s_cbranch_execz .LBB928_518
; %bb.515:                              ;   in Loop: Header=BB928_213 Depth=1
	v_bfe_u32 v53, v44, 16, 7
	v_cmp_ne_u32_e32 vcc, s21, v53
	v_mov_b32_e32 v52, 0x7f80
	s_and_saveexec_b64 s[16:17], vcc
	s_cbranch_execz .LBB928_517
; %bb.516:                              ;   in Loop: Header=BB928_213 Depth=1
	v_and_b32_e32 v52, 7, v46
	v_ffbh_u32_e32 v60, v52
	v_min_u32_e32 v62, 32, v60
	v_subrev_u32_e32 v60, 28, v62
	v_lshlrev_b64 v[60:61], v60, v[46:47]
	v_lshrrev_b32_e32 v59, 3, v53
	v_sub_u32_e32 v61, 29, v62
	v_and_b32_e32 v60, 7, v60
	v_cmp_gt_u32_e32 vcc, 8, v53
	v_cndmask_b32_e32 v53, v59, v61, vcc
	v_cndmask_b32_e32 v52, v52, v60, vcc
	v_lshlrev_b32_e32 v46, 24, v46
	v_lshlrev_b32_e32 v52, 20, v52
	v_and_b32_e32 v46, 0x80000000, v46
	v_lshl_add_u32 v53, v53, 23, v45
	v_or3_b32 v46, v46, v53, v52
	v_lshrrev_b32_e32 v52, 16, v46
.LBB928_517:                            ;   in Loop: Header=BB928_213 Depth=1
	s_or_b64 exec, exec, s[16:17]
.LBB928_518:                            ;   in Loop: Header=BB928_213 Depth=1
	s_or_b64 exec, exec, s[14:15]
.LBB928_519:                            ;   in Loop: Header=BB928_213 Depth=1
	s_or_b64 exec, exec, s[12:13]
	v_cmp_lt_u32_e32 vcc, s22, v44
	v_mov_b32_e32 v53, 0
	v_mov_b32_e32 v59, 0
	s_and_saveexec_b64 s[12:13], vcc
	s_cbranch_execz .LBB928_525
; %bb.520:                              ;   in Loop: Header=BB928_213 Depth=1
	v_lshrrev_b32_e32 v46, 24, v44
	v_cmp_ne_u32_e32 vcc, s9, v46
	v_mov_b32_e32 v59, 0xffff8000
	s_and_saveexec_b64 s[14:15], vcc
	s_cbranch_execz .LBB928_524
; %bb.521:                              ;   in Loop: Header=BB928_213 Depth=1
	v_bfe_u32 v44, v44, 24, 7
	v_cmp_ne_u32_e32 vcc, s21, v44
	v_mov_b32_e32 v59, 0x7f80
	s_and_saveexec_b64 s[16:17], vcc
	s_cbranch_execz .LBB928_523
; %bb.522:                              ;   in Loop: Header=BB928_213 Depth=1
	v_and_b32_e32 v59, 7, v46
	v_ffbh_u32_e32 v60, v59
	v_min_u32_e32 v63, 32, v60
	v_subrev_u32_e32 v60, 28, v63
	v_lshlrev_b64 v[60:61], v60, v[46:47]
	v_lshrrev_b32_e32 v62, 3, v44
	v_sub_u32_e32 v61, 29, v63
	v_and_b32_e32 v60, 7, v60
	v_cmp_gt_u32_e32 vcc, 8, v44
	v_cndmask_b32_e32 v44, v62, v61, vcc
	v_cndmask_b32_e32 v59, v59, v60, vcc
	v_lshlrev_b32_e32 v46, 24, v46
	v_lshlrev_b32_e32 v59, 20, v59
	v_and_b32_e32 v46, 0x80000000, v46
	v_lshl_add_u32 v44, v44, 23, v45
	v_or3_b32 v44, v46, v44, v59
	v_lshrrev_b32_e32 v59, 16, v44
.LBB928_523:                            ;   in Loop: Header=BB928_213 Depth=1
	s_or_b64 exec, exec, s[16:17]
.LBB928_524:                            ;   in Loop: Header=BB928_213 Depth=1
	s_or_b64 exec, exec, s[14:15]
.LBB928_525:                            ;   in Loop: Header=BB928_213 Depth=1
	s_or_b64 exec, exec, s[12:13]
	s_waitcnt vmcnt(2)
	v_cmp_ne_u16_sdwa s[14:15], v42, v43 src0_sel:BYTE_0 src1_sel:DWORD
	s_and_saveexec_b64 s[12:13], s[14:15]
	s_cbranch_execz .LBB928_531
; %bb.526:                              ;   in Loop: Header=BB928_213 Depth=1
	v_cmp_ne_u16_sdwa s[16:17], v42, s9 src0_sel:BYTE_0 src1_sel:DWORD
	v_mov_b32_e32 v53, 0xffff8000
	s_and_saveexec_b64 s[14:15], s[16:17]
	s_cbranch_execz .LBB928_530
; %bb.527:                              ;   in Loop: Header=BB928_213 Depth=1
	v_and_b32_e32 v44, 0x7f, v42
	v_cmp_ne_u32_e32 vcc, s21, v44
	v_mov_b32_e32 v53, 0x7f80
	s_and_saveexec_b64 s[16:17], vcc
	s_cbranch_execz .LBB928_529
; %bb.528:                              ;   in Loop: Header=BB928_213 Depth=1
	v_and_b32_e32 v46, 7, v42
	v_ffbh_u32_e32 v60, v46
	v_min_u32_e32 v62, 32, v60
	v_subrev_u32_e32 v60, 28, v62
	v_lshlrev_b64 v[60:61], v60, v[42:43]
	v_lshrrev_b32_e32 v53, 3, v44
	v_sub_u32_e32 v61, 29, v62
	v_and_b32_e32 v60, 7, v60
	v_cmp_gt_u32_e32 vcc, 8, v44
	v_cndmask_b32_e32 v44, v53, v61, vcc
	v_cndmask_b32_e32 v46, v46, v60, vcc
	v_lshlrev_b32_e32 v53, 24, v42
	v_lshlrev_b32_e32 v46, 20, v46
	v_and_b32_e32 v53, 0x80000000, v53
	v_lshl_add_u32 v44, v44, 23, v45
	v_or3_b32 v44, v53, v44, v46
	v_lshrrev_b32_e32 v53, 16, v44
.LBB928_529:                            ;   in Loop: Header=BB928_213 Depth=1
	s_or_b64 exec, exec, s[16:17]
.LBB928_530:                            ;   in Loop: Header=BB928_213 Depth=1
	s_or_b64 exec, exec, s[14:15]
.LBB928_531:                            ;   in Loop: Header=BB928_213 Depth=1
	s_or_b64 exec, exec, s[12:13]
	v_lshrrev_b16_e32 v44, 8, v42
	v_cmp_ne_u16_e32 vcc, 0, v44
	v_mov_b32_e32 v61, 0
	v_mov_b32_e32 v60, 0
	s_and_saveexec_b64 s[12:13], vcc
	s_cbranch_execz .LBB928_537
; %bb.532:                              ;   in Loop: Header=BB928_213 Depth=1
	v_cmp_ne_u16_e32 vcc, s9, v44
	v_mov_b32_e32 v60, 0xffff8000
	s_and_saveexec_b64 s[14:15], vcc
	s_cbranch_execz .LBB928_536
; %bb.533:                              ;   in Loop: Header=BB928_213 Depth=1
	v_and_b32_e32 v46, 0x7f, v44
	v_cmp_ne_u32_e32 vcc, s21, v46
	v_mov_b32_e32 v60, 0x7f80
	s_and_saveexec_b64 s[16:17], vcc
	s_cbranch_execz .LBB928_535
; %bb.534:                              ;   in Loop: Header=BB928_213 Depth=1
	v_and_b32_e32 v60, 7, v44
	v_ffbh_u32_e32 v62, v60
	v_min_u32_e32 v65, 32, v62
	v_subrev_u32_e32 v62, 28, v65
	v_lshlrev_b64 v[62:63], v62, v[44:45]
	v_lshrrev_b32_e32 v64, 3, v46
	v_sub_u32_e32 v44, 29, v65
	v_and_b32_e32 v62, 7, v62
	v_cmp_gt_u32_e32 vcc, 8, v46
	v_cndmask_b32_e32 v44, v64, v44, vcc
	v_cndmask_b32_e32 v46, v60, v62, vcc
	v_lshlrev_b32_e32 v60, 16, v42
	v_lshlrev_b32_e32 v46, 20, v46
	v_and_b32_e32 v60, 0x80000000, v60
	v_lshl_add_u32 v44, v44, 23, v45
	v_or3_b32 v44, v60, v44, v46
	v_lshrrev_b32_e32 v60, 16, v44
.LBB928_535:                            ;   in Loop: Header=BB928_213 Depth=1
	s_or_b64 exec, exec, s[16:17]
.LBB928_536:                            ;   in Loop: Header=BB928_213 Depth=1
	s_or_b64 exec, exec, s[14:15]
.LBB928_537:                            ;   in Loop: Header=BB928_213 Depth=1
	s_or_b64 exec, exec, s[12:13]
	v_lshrrev_b32_e32 v44, 16, v42
	v_cmp_ne_u16_sdwa s[14:15], v44, v43 src0_sel:BYTE_0 src1_sel:DWORD
	s_and_saveexec_b64 s[12:13], s[14:15]
	s_cbranch_execz .LBB928_543
; %bb.538:                              ;   in Loop: Header=BB928_213 Depth=1
	v_cmp_ne_u16_sdwa s[16:17], v44, s9 src0_sel:BYTE_0 src1_sel:DWORD
	v_mov_b32_e32 v61, 0xffff8000
	s_and_saveexec_b64 s[14:15], s[16:17]
	s_cbranch_execz .LBB928_542
; %bb.539:                              ;   in Loop: Header=BB928_213 Depth=1
	v_bfe_u32 v46, v42, 16, 7
	v_cmp_ne_u32_e32 vcc, s21, v46
	v_mov_b32_e32 v61, 0x7f80
	s_and_saveexec_b64 s[16:17], vcc
	s_cbranch_execz .LBB928_541
; %bb.540:                              ;   in Loop: Header=BB928_213 Depth=1
	v_and_b32_e32 v61, 7, v44
	v_ffbh_u32_e32 v62, v61
	v_min_u32_e32 v65, 32, v62
	v_subrev_u32_e32 v62, 28, v65
	v_lshlrev_b64 v[62:63], v62, v[44:45]
	v_lshrrev_b32_e32 v64, 3, v46
	v_sub_u32_e32 v63, 29, v65
	v_and_b32_e32 v62, 7, v62
	v_cmp_gt_u32_e32 vcc, 8, v46
	v_cndmask_b32_e32 v46, v64, v63, vcc
	v_cndmask_b32_e32 v61, v61, v62, vcc
	v_lshlrev_b32_e32 v44, 24, v44
	v_lshlrev_b32_e32 v61, 20, v61
	v_and_b32_e32 v44, 0x80000000, v44
	v_lshl_add_u32 v46, v46, 23, v45
	v_or3_b32 v44, v44, v46, v61
	v_lshrrev_b32_e32 v61, 16, v44
.LBB928_541:                            ;   in Loop: Header=BB928_213 Depth=1
	s_or_b64 exec, exec, s[16:17]
.LBB928_542:                            ;   in Loop: Header=BB928_213 Depth=1
	s_or_b64 exec, exec, s[14:15]
.LBB928_543:                            ;   in Loop: Header=BB928_213 Depth=1
	s_or_b64 exec, exec, s[12:13]
	v_cmp_lt_u32_e32 vcc, s22, v42
	v_mov_b32_e32 v46, 0
	v_mov_b32_e32 v62, 0
	s_and_saveexec_b64 s[12:13], vcc
	s_cbranch_execz .LBB928_549
; %bb.544:                              ;   in Loop: Header=BB928_213 Depth=1
	v_lshrrev_b32_e32 v44, 24, v42
	v_cmp_ne_u32_e32 vcc, s9, v44
	v_mov_b32_e32 v62, 0xffff8000
	s_and_saveexec_b64 s[14:15], vcc
	s_cbranch_execz .LBB928_548
; %bb.545:                              ;   in Loop: Header=BB928_213 Depth=1
	v_bfe_u32 v42, v42, 24, 7
	v_cmp_ne_u32_e32 vcc, s21, v42
	v_mov_b32_e32 v62, 0x7f80
	s_and_saveexec_b64 s[16:17], vcc
	s_cbranch_execz .LBB928_547
; %bb.546:                              ;   in Loop: Header=BB928_213 Depth=1
	v_and_b32_e32 v64, 7, v44
	v_ffbh_u32_e32 v62, v64
	v_min_u32_e32 v66, 32, v62
	v_subrev_u32_e32 v62, 28, v66
	v_lshlrev_b64 v[62:63], v62, v[44:45]
	v_lshrrev_b32_e32 v65, 3, v42
	v_sub_u32_e32 v63, 29, v66
	v_and_b32_e32 v62, 7, v62
	v_cmp_gt_u32_e32 vcc, 8, v42
	v_cndmask_b32_e32 v42, v65, v63, vcc
	v_cndmask_b32_e32 v62, v64, v62, vcc
	v_lshlrev_b32_e32 v44, 24, v44
	v_lshlrev_b32_e32 v62, 20, v62
	v_and_b32_e32 v44, 0x80000000, v44
	v_lshl_add_u32 v42, v42, 23, v45
	v_or3_b32 v42, v44, v42, v62
	v_lshrrev_b32_e32 v62, 16, v42
.LBB928_547:                            ;   in Loop: Header=BB928_213 Depth=1
	s_or_b64 exec, exec, s[16:17]
.LBB928_548:                            ;   in Loop: Header=BB928_213 Depth=1
	s_or_b64 exec, exec, s[14:15]
.LBB928_549:                            ;   in Loop: Header=BB928_213 Depth=1
	s_or_b64 exec, exec, s[12:13]
	v_perm_b32 v65, v59, v52, s23
	v_perm_b32 v64, v51, v50, s23
	;; [unrolled: 1-line block ×4, first 2 shown]
	s_waitcnt vmcnt(1)
	v_cmp_ne_u16_sdwa s[14:15], v40, v43 src0_sel:BYTE_0 src1_sel:DWORD
	v_mfma_f32_16x16x16bf16_1k v[34:37], v[64:65], v[26:27], v[34:37]
	v_mfma_f32_16x16x16bf16_1k v[34:37], v[50:51], v[28:29], v[34:37]
	s_and_saveexec_b64 s[12:13], s[14:15]
	s_cbranch_execz .LBB928_555
; %bb.550:                              ;   in Loop: Header=BB928_213 Depth=1
	v_cmp_ne_u16_sdwa s[16:17], v40, s9 src0_sel:BYTE_0 src1_sel:DWORD
	v_mov_b32_e32 v46, 0xffff8000
	s_and_saveexec_b64 s[14:15], s[16:17]
	s_cbranch_execz .LBB928_554
; %bb.551:                              ;   in Loop: Header=BB928_213 Depth=1
	v_and_b32_e32 v42, 0x7f, v40
	v_cmp_ne_u32_e32 vcc, s21, v42
	v_mov_b32_e32 v46, 0x7f80
	s_and_saveexec_b64 s[16:17], vcc
	s_cbranch_execz .LBB928_553
; %bb.552:                              ;   in Loop: Header=BB928_213 Depth=1
	v_and_b32_e32 v44, 7, v40
	v_ffbh_u32_e32 v50, v44
	v_min_u32_e32 v52, 32, v50
	v_subrev_u32_e32 v50, 28, v52
	v_lshlrev_b64 v[50:51], v50, v[40:41]
	v_lshrrev_b32_e32 v46, 3, v42
	v_sub_u32_e32 v51, 29, v52
	v_and_b32_e32 v50, 7, v50
	v_cmp_gt_u32_e32 vcc, 8, v42
	v_cndmask_b32_e32 v42, v46, v51, vcc
	v_cndmask_b32_e32 v44, v44, v50, vcc
	v_lshlrev_b32_e32 v46, 24, v40
	v_lshlrev_b32_e32 v44, 20, v44
	v_and_b32_e32 v46, 0x80000000, v46
	v_lshl_add_u32 v42, v42, 23, v45
	v_or3_b32 v42, v46, v42, v44
	v_lshrrev_b32_e32 v46, 16, v42
.LBB928_553:                            ;   in Loop: Header=BB928_213 Depth=1
	s_or_b64 exec, exec, s[16:17]
.LBB928_554:                            ;   in Loop: Header=BB928_213 Depth=1
	s_or_b64 exec, exec, s[14:15]
.LBB928_555:                            ;   in Loop: Header=BB928_213 Depth=1
	s_or_b64 exec, exec, s[12:13]
	v_lshrrev_b16_e32 v42, 8, v40
	v_cmp_ne_u16_e32 vcc, 0, v42
	v_mov_b32_e32 v50, 0
	v_mov_b32_e32 v44, 0
	s_and_saveexec_b64 s[12:13], vcc
	s_cbranch_execz .LBB928_561
; %bb.556:                              ;   in Loop: Header=BB928_213 Depth=1
	v_cmp_ne_u16_e32 vcc, s9, v42
	v_mov_b32_e32 v44, 0xffff8000
	s_and_saveexec_b64 s[14:15], vcc
	s_cbranch_execz .LBB928_560
; %bb.557:                              ;   in Loop: Header=BB928_213 Depth=1
	v_and_b32_e32 v51, 0x7f, v42
	v_cmp_ne_u32_e32 vcc, s21, v51
	v_mov_b32_e32 v44, 0x7f80
	s_and_saveexec_b64 s[16:17], vcc
	s_cbranch_execz .LBB928_559
; %bb.558:                              ;   in Loop: Header=BB928_213 Depth=1
	v_and_b32_e32 v44, 7, v42
	v_ffbh_u32_e32 v52, v44
	v_min_u32_e32 v60, 32, v52
	v_subrev_u32_e32 v52, 28, v60
	v_lshlrev_b64 v[52:53], v52, v[42:43]
	v_lshrrev_b32_e32 v59, 3, v51
	v_sub_u32_e32 v42, 29, v60
	v_and_b32_e32 v52, 7, v52
	v_cmp_gt_u32_e32 vcc, 8, v51
	v_cndmask_b32_e32 v42, v59, v42, vcc
	v_cndmask_b32_e32 v44, v44, v52, vcc
	v_lshlrev_b32_e32 v51, 16, v40
	v_lshlrev_b32_e32 v44, 20, v44
	v_and_b32_e32 v51, 0x80000000, v51
	v_lshl_add_u32 v42, v42, 23, v45
	v_or3_b32 v42, v51, v42, v44
	v_lshrrev_b32_e32 v44, 16, v42
.LBB928_559:                            ;   in Loop: Header=BB928_213 Depth=1
	s_or_b64 exec, exec, s[16:17]
.LBB928_560:                            ;   in Loop: Header=BB928_213 Depth=1
	s_or_b64 exec, exec, s[14:15]
.LBB928_561:                            ;   in Loop: Header=BB928_213 Depth=1
	s_or_b64 exec, exec, s[12:13]
	v_lshrrev_b32_e32 v42, 16, v40
	v_cmp_ne_u16_sdwa s[14:15], v42, v43 src0_sel:BYTE_0 src1_sel:DWORD
	s_and_saveexec_b64 s[12:13], s[14:15]
	s_cbranch_execz .LBB928_567
; %bb.562:                              ;   in Loop: Header=BB928_213 Depth=1
	v_cmp_ne_u16_sdwa s[16:17], v42, s9 src0_sel:BYTE_0 src1_sel:DWORD
	v_mov_b32_e32 v50, 0xffff8000
	s_and_saveexec_b64 s[14:15], s[16:17]
	s_cbranch_execz .LBB928_566
; %bb.563:                              ;   in Loop: Header=BB928_213 Depth=1
	v_bfe_u32 v51, v40, 16, 7
	v_cmp_ne_u32_e32 vcc, s21, v51
	v_mov_b32_e32 v50, 0x7f80
	s_and_saveexec_b64 s[16:17], vcc
	s_cbranch_execz .LBB928_565
; %bb.564:                              ;   in Loop: Header=BB928_213 Depth=1
	v_and_b32_e32 v50, 7, v42
	v_ffbh_u32_e32 v52, v50
	v_min_u32_e32 v60, 32, v52
	v_subrev_u32_e32 v52, 28, v60
	v_lshlrev_b64 v[52:53], v52, v[42:43]
	v_lshrrev_b32_e32 v59, 3, v51
	v_sub_u32_e32 v53, 29, v60
	v_and_b32_e32 v52, 7, v52
	v_cmp_gt_u32_e32 vcc, 8, v51
	v_cndmask_b32_e32 v51, v59, v53, vcc
	v_cndmask_b32_e32 v50, v50, v52, vcc
	v_lshlrev_b32_e32 v42, 24, v42
	v_lshlrev_b32_e32 v50, 20, v50
	v_and_b32_e32 v42, 0x80000000, v42
	v_lshl_add_u32 v51, v51, 23, v45
	v_or3_b32 v42, v42, v51, v50
	v_lshrrev_b32_e32 v50, 16, v42
.LBB928_565:                            ;   in Loop: Header=BB928_213 Depth=1
	s_or_b64 exec, exec, s[16:17]
.LBB928_566:                            ;   in Loop: Header=BB928_213 Depth=1
	s_or_b64 exec, exec, s[14:15]
.LBB928_567:                            ;   in Loop: Header=BB928_213 Depth=1
	s_or_b64 exec, exec, s[12:13]
	v_cmp_lt_u32_e32 vcc, s22, v40
	v_mov_b32_e32 v51, 0
	v_mov_b32_e32 v52, 0
	s_and_saveexec_b64 s[12:13], vcc
	s_cbranch_execz .LBB928_573
; %bb.568:                              ;   in Loop: Header=BB928_213 Depth=1
	v_lshrrev_b32_e32 v42, 24, v40
	v_cmp_ne_u32_e32 vcc, s9, v42
	v_mov_b32_e32 v52, 0xffff8000
	s_and_saveexec_b64 s[14:15], vcc
	s_cbranch_execz .LBB928_572
; %bb.569:                              ;   in Loop: Header=BB928_213 Depth=1
	v_bfe_u32 v40, v40, 24, 7
	v_cmp_ne_u32_e32 vcc, s21, v40
	v_mov_b32_e32 v52, 0x7f80
	s_and_saveexec_b64 s[16:17], vcc
	s_cbranch_execz .LBB928_571
; %bb.570:                              ;   in Loop: Header=BB928_213 Depth=1
	v_and_b32_e32 v59, 7, v42
	v_ffbh_u32_e32 v52, v59
	v_min_u32_e32 v61, 32, v52
	v_subrev_u32_e32 v52, 28, v61
	v_lshlrev_b64 v[52:53], v52, v[42:43]
	v_lshrrev_b32_e32 v60, 3, v40
	v_sub_u32_e32 v53, 29, v61
	v_and_b32_e32 v52, 7, v52
	v_cmp_gt_u32_e32 vcc, 8, v40
	v_cndmask_b32_e32 v40, v60, v53, vcc
	v_cndmask_b32_e32 v52, v59, v52, vcc
	v_lshlrev_b32_e32 v42, 24, v42
	v_lshlrev_b32_e32 v52, 20, v52
	v_and_b32_e32 v42, 0x80000000, v42
	v_lshl_add_u32 v40, v40, 23, v45
	v_or3_b32 v40, v42, v40, v52
	v_lshrrev_b32_e32 v52, 16, v40
.LBB928_571:                            ;   in Loop: Header=BB928_213 Depth=1
	s_or_b64 exec, exec, s[16:17]
.LBB928_572:                            ;   in Loop: Header=BB928_213 Depth=1
	s_or_b64 exec, exec, s[14:15]
.LBB928_573:                            ;   in Loop: Header=BB928_213 Depth=1
	s_or_b64 exec, exec, s[12:13]
	s_waitcnt vmcnt(0)
	v_cmp_ne_u16_sdwa s[14:15], v38, v43 src0_sel:BYTE_0 src1_sel:DWORD
	s_and_saveexec_b64 s[12:13], s[14:15]
	s_cbranch_execz .LBB928_579
; %bb.574:                              ;   in Loop: Header=BB928_213 Depth=1
	v_cmp_ne_u16_sdwa s[16:17], v38, s9 src0_sel:BYTE_0 src1_sel:DWORD
	v_mov_b32_e32 v51, 0xffff8000
	s_and_saveexec_b64 s[14:15], s[16:17]
	s_cbranch_execz .LBB928_578
; %bb.575:                              ;   in Loop: Header=BB928_213 Depth=1
	v_and_b32_e32 v40, 0x7f, v38
	v_cmp_ne_u32_e32 vcc, s21, v40
	v_mov_b32_e32 v51, 0x7f80
	s_and_saveexec_b64 s[16:17], vcc
	s_cbranch_execz .LBB928_577
; %bb.576:                              ;   in Loop: Header=BB928_213 Depth=1
	v_and_b32_e32 v42, 7, v38
	v_ffbh_u32_e32 v53, v42
	v_min_u32_e32 v53, 32, v53
	v_subrev_u32_e32 v59, 28, v53
	v_lshlrev_b64 v[60:61], v59, v[38:39]
	v_lshrrev_b32_e32 v51, 3, v40
	v_sub_u32_e32 v53, 29, v53
	v_and_b32_e32 v59, 7, v60
	v_cmp_gt_u32_e32 vcc, 8, v40
	v_cndmask_b32_e32 v40, v51, v53, vcc
	v_cndmask_b32_e32 v42, v42, v59, vcc
	v_lshlrev_b32_e32 v51, 24, v38
	v_lshlrev_b32_e32 v42, 20, v42
	v_and_b32_e32 v51, 0x80000000, v51
	v_lshl_add_u32 v40, v40, 23, v45
	v_or3_b32 v40, v51, v40, v42
	v_lshrrev_b32_e32 v51, 16, v40
.LBB928_577:                            ;   in Loop: Header=BB928_213 Depth=1
	s_or_b64 exec, exec, s[16:17]
.LBB928_578:                            ;   in Loop: Header=BB928_213 Depth=1
	s_or_b64 exec, exec, s[14:15]
.LBB928_579:                            ;   in Loop: Header=BB928_213 Depth=1
	s_or_b64 exec, exec, s[12:13]
	v_lshrrev_b16_e32 v40, 8, v38
	v_cmp_ne_u16_e32 vcc, 0, v40
	v_mov_b32_e32 v53, 0
	v_mov_b32_e32 v42, 0
	s_and_saveexec_b64 s[12:13], vcc
	s_cbranch_execz .LBB928_585
; %bb.580:                              ;   in Loop: Header=BB928_213 Depth=1
	v_cmp_ne_u16_e32 vcc, s9, v40
	v_mov_b32_e32 v42, 0xffff8000
	s_and_saveexec_b64 s[14:15], vcc
	s_cbranch_execz .LBB928_584
; %bb.581:                              ;   in Loop: Header=BB928_213 Depth=1
	v_and_b32_e32 v59, 0x7f, v40
	v_cmp_ne_u32_e32 vcc, s21, v59
	v_mov_b32_e32 v42, 0x7f80
	s_and_saveexec_b64 s[16:17], vcc
	s_cbranch_execz .LBB928_583
; %bb.582:                              ;   in Loop: Header=BB928_213 Depth=1
	v_and_b32_e32 v42, 7, v40
	v_ffbh_u32_e32 v60, v42
	v_min_u32_e32 v63, 32, v60
	v_subrev_u32_e32 v60, 28, v63
	v_lshlrev_b64 v[60:61], v60, v[40:41]
	v_lshrrev_b32_e32 v62, 3, v59
	v_sub_u32_e32 v40, 29, v63
	v_and_b32_e32 v60, 7, v60
	v_cmp_gt_u32_e32 vcc, 8, v59
	v_cndmask_b32_e32 v40, v62, v40, vcc
	v_cndmask_b32_e32 v42, v42, v60, vcc
	v_lshlrev_b32_e32 v59, 16, v38
	v_lshlrev_b32_e32 v42, 20, v42
	v_and_b32_e32 v59, 0x80000000, v59
	v_lshl_add_u32 v40, v40, 23, v45
	v_or3_b32 v40, v59, v40, v42
	v_lshrrev_b32_e32 v42, 16, v40
.LBB928_583:                            ;   in Loop: Header=BB928_213 Depth=1
	s_or_b64 exec, exec, s[16:17]
.LBB928_584:                            ;   in Loop: Header=BB928_213 Depth=1
	s_or_b64 exec, exec, s[14:15]
.LBB928_585:                            ;   in Loop: Header=BB928_213 Depth=1
	s_or_b64 exec, exec, s[12:13]
	v_lshrrev_b32_e32 v40, 16, v38
	v_cmp_ne_u16_sdwa s[14:15], v40, v43 src0_sel:BYTE_0 src1_sel:DWORD
	s_and_saveexec_b64 s[12:13], s[14:15]
	s_cbranch_execz .LBB928_591
; %bb.586:                              ;   in Loop: Header=BB928_213 Depth=1
	v_cmp_ne_u16_sdwa s[16:17], v40, s9 src0_sel:BYTE_0 src1_sel:DWORD
	v_mov_b32_e32 v53, 0xffff8000
	s_and_saveexec_b64 s[14:15], s[16:17]
	s_cbranch_execz .LBB928_590
; %bb.587:                              ;   in Loop: Header=BB928_213 Depth=1
	v_bfe_u32 v59, v38, 16, 7
	v_cmp_ne_u32_e32 vcc, s21, v59
	v_mov_b32_e32 v53, 0x7f80
	s_and_saveexec_b64 s[16:17], vcc
	s_cbranch_execz .LBB928_589
; %bb.588:                              ;   in Loop: Header=BB928_213 Depth=1
	v_and_b32_e32 v53, 7, v40
	v_ffbh_u32_e32 v60, v53
	v_min_u32_e32 v63, 32, v60
	v_subrev_u32_e32 v60, 28, v63
	v_lshlrev_b64 v[60:61], v60, v[40:41]
	v_lshrrev_b32_e32 v62, 3, v59
	v_sub_u32_e32 v61, 29, v63
	v_and_b32_e32 v60, 7, v60
	v_cmp_gt_u32_e32 vcc, 8, v59
	v_cndmask_b32_e32 v59, v62, v61, vcc
	v_cndmask_b32_e32 v53, v53, v60, vcc
	v_lshlrev_b32_e32 v40, 24, v40
	v_lshlrev_b32_e32 v53, 20, v53
	v_and_b32_e32 v40, 0x80000000, v40
	v_lshl_add_u32 v59, v59, 23, v45
	v_or3_b32 v40, v40, v59, v53
	v_lshrrev_b32_e32 v53, 16, v40
.LBB928_589:                            ;   in Loop: Header=BB928_213 Depth=1
	s_or_b64 exec, exec, s[16:17]
.LBB928_590:                            ;   in Loop: Header=BB928_213 Depth=1
	s_or_b64 exec, exec, s[14:15]
.LBB928_591:                            ;   in Loop: Header=BB928_213 Depth=1
	s_or_b64 exec, exec, s[12:13]
	v_cmp_lt_u32_e32 vcc, s22, v38
	v_mov_b32_e32 v59, 0
	s_and_saveexec_b64 s[12:13], vcc
	s_cbranch_execz .LBB928_212
; %bb.592:                              ;   in Loop: Header=BB928_213 Depth=1
	v_lshrrev_b32_e32 v40, 24, v38
	v_cmp_ne_u32_e32 vcc, s9, v40
	v_mov_b32_e32 v59, 0xffff8000
	s_and_saveexec_b64 s[14:15], vcc
	s_cbranch_execz .LBB928_211
; %bb.593:                              ;   in Loop: Header=BB928_213 Depth=1
	v_bfe_u32 v38, v38, 24, 7
	v_cmp_ne_u32_e32 vcc, s21, v38
	v_mov_b32_e32 v59, 0x7f80
	s_and_saveexec_b64 s[16:17], vcc
	s_cbranch_execz .LBB928_210
; %bb.594:                              ;   in Loop: Header=BB928_213 Depth=1
	v_and_b32_e32 v59, 7, v40
	v_ffbh_u32_e32 v60, v59
	v_min_u32_e32 v63, 32, v60
	v_subrev_u32_e32 v60, 28, v63
	v_lshlrev_b64 v[60:61], v60, v[40:41]
	v_lshrrev_b32_e32 v62, 3, v38
	v_sub_u32_e32 v61, 29, v63
	v_and_b32_e32 v60, 7, v60
	v_cmp_gt_u32_e32 vcc, 8, v38
	v_cndmask_b32_e32 v38, v62, v61, vcc
	v_cndmask_b32_e32 v59, v59, v60, vcc
	v_lshlrev_b32_e32 v40, 24, v40
	v_lshlrev_b32_e32 v59, 20, v59
	v_and_b32_e32 v40, 0x80000000, v40
	v_lshl_add_u32 v38, v38, 23, v45
	v_or3_b32 v38, v40, v38, v59
	v_lshrrev_b32_e32 v59, 16, v38
	s_branch .LBB928_210
.LBB928_595:
	s_barrier
	buffer_load_dword v2, off, s[0:3], 0 offset:320
	buffer_load_dword v5, off, s[0:3], 0 offset:332
	;; [unrolled: 1-line block ×4, first 2 shown]
	v_cmp_gt_u32_e32 vcc, 64, v0
	v_cmp_ne_u32_e64 s[4:5], 3, v55
	s_and_b64 s[4:5], vcc, s[4:5]
	s_waitcnt vmcnt(0)
	ds_write2st64_b64 v39, v[2:3], v[4:5] offset1:1
	s_waitcnt lgkmcnt(0)
	s_barrier
	s_and_saveexec_b64 s[6:7], s[4:5]
	s_cbranch_execz .LBB928_597
; %bb.596:
	s_mul_i32 s4, s18, s8
	s_lshl_b32 s6, s50, 7
	s_mul_hi_u32 s5, s4, s6
	s_mul_i32 s4, s4, s6
	s_lshl_b64 s[4:5], s[4:5], 1
	s_add_u32 s7, s48, s4
	v_lshlrev_b32_e32 v4, 6, v56
	s_addc_u32 s8, s49, s5
	s_lshl_b32 s4, s24, 7
	s_mov_b32 s5, 0
	v_lshl_or_b32 v0, v0, 10, v4
	s_lshl_b64 s[4:5], s[4:5], 1
	v_lshlrev_b32_e32 v2, 5, v55
	v_and_b32_e32 v3, 16, v57
	v_and_b32_e32 v0, 0x1a00, v0
	s_add_u32 s7, s7, s4
	v_or3_b32 v0, v0, v2, v3
	s_addc_u32 s8, s8, s5
	v_mad_u64_u32 v[6:7], s[4:5], s6, v54, 0
	ds_read_b128 v[2:5], v0
	v_lshlrev_b64 v[6:7], 1, v[6:7]
	v_mov_b32_e32 v0, s8
	v_add_co_u32_e32 v6, vcc, s7, v6
	v_addc_co_u32_e32 v7, vcc, v0, v7, vcc
	v_add_co_u32_e32 v0, vcc, v6, v1
	v_addc_co_u32_e32 v1, vcc, 0, v7, vcc
	s_waitcnt lgkmcnt(0)
	global_store_dwordx4 v[0:1], v[2:5], off
.LBB928_597:
	s_endpgm
	.section	.rodata,"a",@progbits
	.p2align	6, 0x0
	.amdhsa_kernel _Z39paged_attention_ll4mi_QKV_mfma16_kernelI14__hip_bfloat16hLN4vllm18Fp8KVCacheDataTypeE1ES0_Li16ELi128ELi256ELb0ELi3EL8MFMAType0EEvPKT_PKT0_S9_ifPKiSB_SB_iPKfiiiPfSE_PS4_PT2_iSD_SD_
		.amdhsa_group_segment_fixed_size 8192
		.amdhsa_private_segment_fixed_size 352
		.amdhsa_kernarg_size 400
		.amdhsa_user_sgpr_count 8
		.amdhsa_user_sgpr_private_segment_buffer 1
		.amdhsa_user_sgpr_dispatch_ptr 0
		.amdhsa_user_sgpr_queue_ptr 0
		.amdhsa_user_sgpr_kernarg_segment_ptr 1
		.amdhsa_user_sgpr_dispatch_id 0
		.amdhsa_user_sgpr_flat_scratch_init 1
		.amdhsa_user_sgpr_kernarg_preload_length 0
		.amdhsa_user_sgpr_kernarg_preload_offset 0
		.amdhsa_user_sgpr_private_segment_size 0
		.amdhsa_uses_dynamic_stack 0
		.amdhsa_system_sgpr_private_segment_wavefront_offset 1
		.amdhsa_system_sgpr_workgroup_id_x 1
		.amdhsa_system_sgpr_workgroup_id_y 1
		.amdhsa_system_sgpr_workgroup_id_z 1
		.amdhsa_system_sgpr_workgroup_info 0
		.amdhsa_system_vgpr_workitem_id 0
		.amdhsa_next_free_vgpr 76
		.amdhsa_next_free_sgpr 53
		.amdhsa_accum_offset 76
		.amdhsa_reserve_vcc 1
		.amdhsa_reserve_flat_scratch 0
		.amdhsa_float_round_mode_32 0
		.amdhsa_float_round_mode_16_64 0
		.amdhsa_float_denorm_mode_32 3
		.amdhsa_float_denorm_mode_16_64 3
		.amdhsa_dx10_clamp 1
		.amdhsa_ieee_mode 1
		.amdhsa_fp16_overflow 0
		.amdhsa_tg_split 0
		.amdhsa_exception_fp_ieee_invalid_op 0
		.amdhsa_exception_fp_denorm_src 0
		.amdhsa_exception_fp_ieee_div_zero 0
		.amdhsa_exception_fp_ieee_overflow 0
		.amdhsa_exception_fp_ieee_underflow 0
		.amdhsa_exception_fp_ieee_inexact 0
		.amdhsa_exception_int_div_zero 0
	.end_amdhsa_kernel
	.section	.text._Z39paged_attention_ll4mi_QKV_mfma16_kernelI14__hip_bfloat16hLN4vllm18Fp8KVCacheDataTypeE1ES0_Li16ELi128ELi256ELb0ELi3EL8MFMAType0EEvPKT_PKT0_S9_ifPKiSB_SB_iPKfiiiPfSE_PS4_PT2_iSD_SD_,"axG",@progbits,_Z39paged_attention_ll4mi_QKV_mfma16_kernelI14__hip_bfloat16hLN4vllm18Fp8KVCacheDataTypeE1ES0_Li16ELi128ELi256ELb0ELi3EL8MFMAType0EEvPKT_PKT0_S9_ifPKiSB_SB_iPKfiiiPfSE_PS4_PT2_iSD_SD_,comdat
.Lfunc_end928:
	.size	_Z39paged_attention_ll4mi_QKV_mfma16_kernelI14__hip_bfloat16hLN4vllm18Fp8KVCacheDataTypeE1ES0_Li16ELi128ELi256ELb0ELi3EL8MFMAType0EEvPKT_PKT0_S9_ifPKiSB_SB_iPKfiiiPfSE_PS4_PT2_iSD_SD_, .Lfunc_end928-_Z39paged_attention_ll4mi_QKV_mfma16_kernelI14__hip_bfloat16hLN4vllm18Fp8KVCacheDataTypeE1ES0_Li16ELi128ELi256ELb0ELi3EL8MFMAType0EEvPKT_PKT0_S9_ifPKiSB_SB_iPKfiiiPfSE_PS4_PT2_iSD_SD_
                                        ; -- End function
	.section	.AMDGPU.csdata,"",@progbits
; Kernel info:
; codeLenInByte = 22140
; NumSgprs: 57
; NumVgprs: 76
; NumAgprs: 0
; TotalNumVgprs: 76
; ScratchSize: 352
; MemoryBound: 0
; FloatMode: 240
; IeeeMode: 1
; LDSByteSize: 8192 bytes/workgroup (compile time only)
; SGPRBlocks: 7
; VGPRBlocks: 9
; NumSGPRsForWavesPerEU: 57
; NumVGPRsForWavesPerEU: 76
; AccumOffset: 76
; Occupancy: 6
; WaveLimiterHint : 1
; COMPUTE_PGM_RSRC2:SCRATCH_EN: 1
; COMPUTE_PGM_RSRC2:USER_SGPR: 8
; COMPUTE_PGM_RSRC2:TRAP_HANDLER: 0
; COMPUTE_PGM_RSRC2:TGID_X_EN: 1
; COMPUTE_PGM_RSRC2:TGID_Y_EN: 1
; COMPUTE_PGM_RSRC2:TGID_Z_EN: 1
; COMPUTE_PGM_RSRC2:TIDIG_COMP_CNT: 0
; COMPUTE_PGM_RSRC3_GFX90A:ACCUM_OFFSET: 18
; COMPUTE_PGM_RSRC3_GFX90A:TG_SPLIT: 0
	.section	.text._Z39paged_attention_ll4mi_QKV_mfma16_kernelI14__hip_bfloat16hLN4vllm18Fp8KVCacheDataTypeE1ES0_Li16ELi128ELi256ELb0ELi4EL8MFMAType0EEvPKT_PKT0_S9_ifPKiSB_SB_iPKfiiiPfSE_PS4_PT2_iSD_SD_,"axG",@progbits,_Z39paged_attention_ll4mi_QKV_mfma16_kernelI14__hip_bfloat16hLN4vllm18Fp8KVCacheDataTypeE1ES0_Li16ELi128ELi256ELb0ELi4EL8MFMAType0EEvPKT_PKT0_S9_ifPKiSB_SB_iPKfiiiPfSE_PS4_PT2_iSD_SD_,comdat
	.protected	_Z39paged_attention_ll4mi_QKV_mfma16_kernelI14__hip_bfloat16hLN4vllm18Fp8KVCacheDataTypeE1ES0_Li16ELi128ELi256ELb0ELi4EL8MFMAType0EEvPKT_PKT0_S9_ifPKiSB_SB_iPKfiiiPfSE_PS4_PT2_iSD_SD_ ; -- Begin function _Z39paged_attention_ll4mi_QKV_mfma16_kernelI14__hip_bfloat16hLN4vllm18Fp8KVCacheDataTypeE1ES0_Li16ELi128ELi256ELb0ELi4EL8MFMAType0EEvPKT_PKT0_S9_ifPKiSB_SB_iPKfiiiPfSE_PS4_PT2_iSD_SD_
	.globl	_Z39paged_attention_ll4mi_QKV_mfma16_kernelI14__hip_bfloat16hLN4vllm18Fp8KVCacheDataTypeE1ES0_Li16ELi128ELi256ELb0ELi4EL8MFMAType0EEvPKT_PKT0_S9_ifPKiSB_SB_iPKfiiiPfSE_PS4_PT2_iSD_SD_
	.p2align	8
	.type	_Z39paged_attention_ll4mi_QKV_mfma16_kernelI14__hip_bfloat16hLN4vllm18Fp8KVCacheDataTypeE1ES0_Li16ELi128ELi256ELb0ELi4EL8MFMAType0EEvPKT_PKT0_S9_ifPKiSB_SB_iPKfiiiPfSE_PS4_PT2_iSD_SD_,@function
_Z39paged_attention_ll4mi_QKV_mfma16_kernelI14__hip_bfloat16hLN4vllm18Fp8KVCacheDataTypeE1ES0_Li16ELi128ELi256ELb0ELi4EL8MFMAType0EEvPKT_PKT0_S9_ifPKiSB_SB_iPKfiiiPfSE_PS4_PT2_iSD_SD_: ; @_Z39paged_attention_ll4mi_QKV_mfma16_kernelI14__hip_bfloat16hLN4vllm18Fp8KVCacheDataTypeE1ES0_Li16ELi128ELi256ELb0ELi4EL8MFMAType0EEvPKT_PKT0_S9_ifPKiSB_SB_iPKfiiiPfSE_PS4_PT2_iSD_SD_
; %bb.0:
	s_load_dwordx2 s[6:7], s[4:5], 0x30
	s_add_u32 s0, s0, s11
	s_addc_u32 s1, s1, 0
	s_mov_b32 s26, s9
	s_mov_b64 s[12:13], 0
	s_waitcnt lgkmcnt(0)
	s_cmp_lg_u64 s[6:7], 0
	s_cselect_b64 s[16:17], -1, 0
	s_and_b64 vcc, exec, s[16:17]
	s_cbranch_vccz .LBB929_7
; %bb.1:
	s_add_i32 s14, s8, 1
	s_mov_b32 s15, 0
	s_lshl_b64 s[18:19], s[14:15], 2
	s_add_u32 s18, s6, s18
	s_mov_b32 s9, s15
	s_addc_u32 s19, s7, s19
	s_lshl_b64 s[14:15], s[8:9], 2
	s_add_u32 s14, s6, s14
	s_addc_u32 s15, s7, s15
	s_load_dword s11, s[18:19], 0x0
	s_load_dword s20, s[14:15], 0x0
	s_waitcnt lgkmcnt(0)
	s_sub_i32 s11, s11, s20
	s_cmp_eq_u32 s11, 1
	s_cselect_b64 s[14:15], -1, 0
	s_andn2_b64 vcc, exec, s[12:13]
	s_cbranch_vccnz .LBB929_3
.LBB929_2:
	s_mov_b32 s9, 0
	s_mov_b64 s[14:15], -1
.LBB929_3:
	s_andn2_b64 vcc, exec, s[14:15]
	s_cbranch_vccnz .LBB929_597
; %bb.4:
	s_load_dwordx2 s[12:13], s[4:5], 0x28
	s_lshl_b64 s[18:19], s[8:9], 2
	s_waitcnt lgkmcnt(0)
	s_add_u32 s12, s12, s18
	s_addc_u32 s13, s13, s19
	s_load_dword s33, s[12:13], 0x0
	s_lshl_b32 s20, s26, 8
	s_waitcnt lgkmcnt(0)
	s_cmp_ge_i32 s20, s33
	s_cbranch_scc1 .LBB929_597
; %bb.5:
	s_add_i32 s14, s33, 15
	s_load_dwordx2 s[12:13], s[4:5], 0x20
	s_load_dword s11, s[4:5], 0x38
	s_ashr_i32 s15, s14, 31
	v_and_b32_e32 v1, 0xcf, v0
	s_lshr_b32 s15, s15, 28
	v_add_u32_e32 v1, s20, v1
	s_add_i32 s14, s14, s15
	v_ashrrev_i32_e32 v2, 31, v1
	s_ashr_i32 s22, s14, 4
	v_lshrrev_b32_e32 v10, 28, v2
	s_add_i32 s22, s22, -1
	v_add_u32_e32 v2, v1, v10
	s_waitcnt lgkmcnt(0)
	s_mul_i32 s14, s8, s11
	s_mov_b32 s15, 0
	v_ashrrev_i32_e32 v2, 4, v2
	v_mov_b32_e32 v11, s22
	v_cmp_gt_i32_e32 vcc, s33, v1
	s_lshl_b64 s[14:15], s[14:15], 2
	v_cndmask_b32_e32 v2, v11, v2, vcc
	s_add_u32 s11, s12, s14
	v_ashrrev_i32_e32 v3, 31, v2
	s_addc_u32 s21, s13, s15
	v_lshlrev_b64 v[2:3], 2, v[2:3]
	v_mov_b32_e32 v5, s21
	v_add_co_u32_e32 v4, vcc, s11, v2
	v_or_b32_e32 v2, 16, v1
	v_addc_co_u32_e32 v5, vcc, v5, v3, vcc
	v_add_u32_e32 v3, v2, v10
	v_ashrrev_i32_e32 v3, 4, v3
	v_cmp_gt_i32_e32 vcc, s33, v2
	v_cndmask_b32_e32 v2, v11, v3, vcc
	v_ashrrev_i32_e32 v3, 31, v2
	v_lshlrev_b64 v[2:3], 2, v[2:3]
	v_mov_b32_e32 v7, s21
	v_add_co_u32_e32 v6, vcc, s11, v2
	v_or_b32_e32 v2, 32, v1
	v_addc_co_u32_e32 v7, vcc, v7, v3, vcc
	v_add_u32_e32 v3, v2, v10
	v_ashrrev_i32_e32 v3, 4, v3
	v_cmp_gt_i32_e32 vcc, s33, v2
	v_cndmask_b32_e32 v2, v11, v3, vcc
	v_ashrrev_i32_e32 v3, 31, v2
	;; [unrolled: 10-line block ×3, first 2 shown]
	v_lshlrev_b64 v[2:3], 2, v[2:3]
	v_mov_b32_e32 v1, s21
	v_add_co_u32_e32 v10, vcc, s11, v2
	v_addc_co_u32_e32 v11, vcc, v1, v3, vcc
	global_load_dword v3, v[4:5], off
	global_load_dword v2, v[6:7], off
	;; [unrolled: 1-line block ×4, first 2 shown]
	s_load_dwordx4 s[12:15], s[4:5], 0x8
	s_andn2_b64 vcc, exec, s[16:17]
	s_cbranch_vccnz .LBB929_8
; %bb.6:
	s_add_u32 s6, s6, s18
	s_addc_u32 s7, s7, s19
	s_load_dword s18, s[6:7], 0x0
	s_branch .LBB929_9
.LBB929_7:
	s_mov_b64 s[14:15], 0
	s_branch .LBB929_2
.LBB929_8:
	s_mov_b32 s18, s8
.LBB929_9:
	s_load_dwordx2 s[52:53], s[4:5], 0x68
	s_load_dwordx8 s[40:47], s[4:5], 0x48
	v_and_b32_e32 v55, 15, v0
	v_bfe_u32 v65, v0, 4, 2
	s_lshl_b32 s27, s10, 2
	v_lshlrev_b32_e32 v1, 3, v55
	v_lshrrev_b32_e32 v66, 6, v0
	v_or_b32_e32 v54, s27, v65
	v_cmp_gt_u32_e64 s[6:7], 64, v0
	v_lshlrev_b32_e32 v1, 1, v1
	v_lshlrev_b32_e32 v56, 5, v65
	;; [unrolled: 1-line block ×3, first 2 shown]
	s_and_saveexec_b64 s[16:17], s[6:7]
	s_cbranch_execz .LBB929_11
; %bb.10:
	s_load_dwordx2 s[24:25], s[4:5], 0x0
	s_waitcnt lgkmcnt(0)
	s_ashr_i32 s19, s40, 31
	s_mul_hi_u32 s23, s18, s40
	s_mul_i32 s19, s18, s19
	s_add_i32 s19, s23, s19
	s_mul_i32 s18, s18, s40
	s_lshl_b64 s[18:19], s[18:19], 1
	v_lshlrev_b32_e32 v4, 7, v54
	s_add_u32 s18, s24, s18
	v_ashrrev_i32_e32 v5, 31, v4
	s_addc_u32 s19, s25, s19
	v_lshlrev_b64 v[4:5], 1, v[4:5]
	v_mov_b32_e32 v6, s19
	v_add_co_u32_e32 v4, vcc, s18, v4
	v_addc_co_u32_e32 v5, vcc, v6, v5, vcc
	v_add_co_u32_e32 v4, vcc, v4, v1
	v_addc_co_u32_e32 v5, vcc, 0, v5, vcc
	global_load_dwordx4 v[4:7], v[4:5], off
	v_lshlrev_b32_e32 v9, 8, v0
	v_lshlrev_b32_e32 v8, 8, v55
	v_and_b32_e32 v9, 0x600, v9
	s_movk_i32 s18, 0x800
	v_and_or_b32 v8, v8, s18, v9
	v_lshl_or_b32 v9, v66, 7, v56
	v_and_b32_e32 v10, 16, v57
	v_or3_b32 v8, v8, v9, v10
	s_waitcnt vmcnt(0)
	ds_write_b128 v8, v[4:7]
.LBB929_11:
	s_or_b64 exec, exec, s[16:17]
	v_and_b32_e32 v10, 48, v0
	v_or_b32_e32 v11, s20, v10
	v_ashrrev_i32_e32 v4, 4, v11
	v_mov_b32_e32 v12, s22
	v_cmp_gt_i32_e32 vcc, s33, v11
	v_cndmask_b32_e32 v4, v12, v4, vcc
	v_ashrrev_i32_e32 v5, 31, v4
	v_lshlrev_b64 v[4:5], 2, v[4:5]
	v_mov_b32_e32 v6, s21
	v_add_co_u32_e32 v4, vcc, s11, v4
	v_addc_co_u32_e32 v5, vcc, v6, v5, vcc
	v_or_b32_e32 v6, 64, v11
	v_ashrrev_i32_e32 v7, 4, v6
	v_cmp_gt_i32_e32 vcc, s33, v6
	v_cndmask_b32_e32 v6, v12, v7, vcc
	v_ashrrev_i32_e32 v7, 31, v6
	v_lshlrev_b64 v[6:7], 2, v[6:7]
	v_mov_b32_e32 v8, s21
	v_add_co_u32_e32 v6, vcc, s11, v6
	v_addc_co_u32_e32 v7, vcc, v8, v7, vcc
	v_or_b32_e32 v8, 0x80, v11
	v_ashrrev_i32_e32 v9, 4, v8
	v_cmp_gt_i32_e32 vcc, s33, v8
	v_cndmask_b32_e32 v8, v12, v9, vcc
	v_ashrrev_i32_e32 v9, 31, v8
	v_lshlrev_b64 v[8:9], 2, v[8:9]
	v_mov_b32_e32 v13, s21
	v_add_co_u32_e32 v8, vcc, s11, v8
	s_load_dwordx2 s[54:55], s[4:5], 0x94
	s_waitcnt lgkmcnt(0)
	s_barrier
	v_addc_co_u32_e32 v9, vcc, v13, v9, vcc
	global_load_dword v50, v[4:5], off
	global_load_dword v60, v[6:7], off
	global_load_dword v62, v[8:9], off
	v_or_b32_e32 v4, 0xc0, v11
	v_ashrrev_i32_e32 v5, 4, v4
	v_cmp_gt_i32_e32 vcc, s33, v4
	v_cndmask_b32_e32 v4, v12, v5, vcc
	v_ashrrev_i32_e32 v5, 31, v4
	v_lshlrev_b64 v[4:5], 2, v[4:5]
	v_mov_b32_e32 v6, s21
	v_add_co_u32_e32 v4, vcc, s11, v4
	v_addc_co_u32_e32 v5, vcc, v6, v5, vcc
	global_load_dword v63, v[4:5], off
	s_mul_i32 s16, s10, s42
	s_add_u32 s10, s12, s16
	s_addc_u32 s11, s13, 0
	v_and_b32_e32 v4, 0xf0, v57
	v_mov_b32_e32 v5, s11
	v_add_co_u32_e32 v20, vcc, s10, v4
	v_addc_co_u32_e32 v21, vcc, 0, v5, vcc
	v_lshlrev_b32_e32 v28, 4, v10
	s_waitcnt vmcnt(7)
	v_mad_i64_i32 v[4:5], s[10:11], v3, s41, v[20:21]
	v_add_co_u32_e32 v4, vcc, v4, v28
	v_addc_co_u32_e32 v5, vcc, 0, v5, vcc
	s_waitcnt vmcnt(6)
	v_mad_i64_i32 v[2:3], s[10:11], v2, s41, v[20:21]
	v_add_co_u32_e32 v16, vcc, v2, v28
	v_addc_co_u32_e32 v17, vcc, 0, v3, vcc
	;; [unrolled: 4-line block ×3, first 2 shown]
	s_waitcnt vmcnt(4)
	v_mad_i64_i32 v[18:19], s[10:11], v18, s41, v[20:21]
	global_load_dwordx4 v[34:37], v[4:5], off
	global_load_dwordx4 v[6:9], v[4:5], off offset:1024
	v_add_co_u32_e32 v30, vcc, v18, v28
	s_add_u32 s12, s14, s16
	v_lshl_or_b32 v67, v66, 4, v55
	global_load_dwordx4 v[10:13], v[16:17], off
	global_load_dwordx4 v[2:5], v[16:17], off offset:1024
	v_addc_co_u32_e32 v31, vcc, 0, v19, vcc
	s_addc_u32 s13, s15, 0
	v_lshlrev_b32_e32 v51, 4, v67
	global_load_dwordx4 v[14:17], v[26:27], off
	global_load_dwordx4 v[22:25], v[26:27], off offset:1024
	s_nop 0
	global_load_dwordx4 v[26:29], v[30:31], off
	global_load_dwordx4 v[18:21], v[30:31], off offset:1024
	v_mov_b32_e32 v30, s13
	v_add_co_u32_e32 v42, vcc, s12, v51
	v_addc_co_u32_e32 v43, vcc, 0, v30, vcc
	v_or_b32_e32 v51, 0x400, v51
	v_mov_b32_e32 v52, s13
	v_add_co_u32_e32 v58, vcc, s12, v51
	v_addc_co_u32_e32 v59, vcc, 0, v52, vcc
	s_mov_b32 s14, 0
	s_movk_i32 s15, 0x80
	s_movk_i32 s16, 0x7f
	s_mov_b32 s17, 0xffffff
	s_mov_b32 s18, 0x5040100
	s_waitcnt vmcnt(11)
	v_mad_i64_i32 v[30:31], s[10:11], v50, s41, v[42:43]
	s_waitcnt vmcnt(10)
	v_mad_i64_i32 v[32:33], s[10:11], v60, s41, v[42:43]
	;; [unrolled: 2-line block ×3, first 2 shown]
	global_load_dwordx4 v[38:41], v[30:31], off
	s_nop 0
	global_load_dwordx4 v[30:33], v[32:33], off
	v_mad_i64_i32 v[60:61], s[10:11], v60, s41, v[58:59]
	v_mad_i64_i32 v[50:51], s[10:11], v50, s41, v[58:59]
	s_waitcnt vmcnt(10)
	v_mad_i64_i32 v[42:43], s[10:11], v63, s41, v[42:43]
	global_load_dwordx4 v[46:49], v[44:45], off
	s_nop 0
	global_load_dwordx4 v[42:45], v[42:43], off
	s_nop 0
	global_load_dwordx4 v[68:71], v[60:61], off
	v_mad_i64_i32 v[60:61], s[10:11], v62, s41, v[58:59]
	v_mad_i64_i32 v[58:59], s[10:11], v63, s41, v[58:59]
	global_load_dwordx4 v[50:53], v[50:51], off
	s_nop 0
	global_load_dwordx4 v[76:79], v[58:59], off
	global_load_dwordx4 v[72:75], v[60:61], off
	s_waitcnt vmcnt(15)
	buffer_store_dword v37, off, s[0:3], 0 offset:12
	buffer_store_dword v36, off, s[0:3], 0 offset:8
	;; [unrolled: 1-line block ×3, first 2 shown]
	buffer_store_dword v34, off, s[0:3], 0
	s_waitcnt vmcnt(18)
	buffer_store_dword v9, off, s[0:3], 0 offset:28
	buffer_store_dword v8, off, s[0:3], 0 offset:24
	;; [unrolled: 1-line block ×4, first 2 shown]
	s_waitcnt vmcnt(21)
	buffer_store_dword v13, off, s[0:3], 0 offset:44
	buffer_store_dword v12, off, s[0:3], 0 offset:40
	;; [unrolled: 1-line block ×4, first 2 shown]
	s_load_dword s10, s[4:5], 0x1c
	s_load_dwordx4 s[48:51], s[4:5], 0x80
	s_waitcnt vmcnt(24)
	buffer_store_dword v5, off, s[0:3], 0 offset:60
	buffer_store_dword v4, off, s[0:3], 0 offset:56
	;; [unrolled: 1-line block ×4, first 2 shown]
	v_and_b32_e32 v2, 3, v0
	v_lshlrev_b32_e32 v2, 5, v2
	v_mov_b32_e32 v6, 0x80
	s_waitcnt vmcnt(27)
	buffer_store_dword v17, off, s[0:3], 0 offset:76
	buffer_store_dword v16, off, s[0:3], 0 offset:72
	;; [unrolled: 1-line block ×4, first 2 shown]
	v_lshl_or_b32 v14, v65, 9, v2
	v_add_u32_e32 v58, 16, v6
	v_add_u32_e32 v64, 32, v6
	;; [unrolled: 1-line block ×7, first 2 shown]
	ds_read_b128 v[2:5], v14
	ds_read_b128 v[6:9], v14 offset:16
	ds_read_b128 v[10:13], v14 offset:2048
	;; [unrolled: 1-line block ×3, first 2 shown]
	s_waitcnt vmcnt(30)
	buffer_store_dword v25, off, s[0:3], 0 offset:92
	buffer_store_dword v24, off, s[0:3], 0 offset:88
	buffer_store_dword v23, off, s[0:3], 0 offset:84
	buffer_store_dword v22, off, s[0:3], 0 offset:80
	s_waitcnt vmcnt(33)
	buffer_store_dword v29, off, s[0:3], 0 offset:108
	buffer_store_dword v28, off, s[0:3], 0 offset:104
	buffer_store_dword v27, off, s[0:3], 0 offset:100
	buffer_store_dword v26, off, s[0:3], 0 offset:96
	;; [unrolled: 5-line block ×3, first 2 shown]
	s_waitcnt lgkmcnt(0)
	v_mov_b32_e32 v18, s10
	v_and_b32_e32 v35, 63, v0
	v_mov_b32_e32 v27, 0
	v_mov_b32_e32 v29, 0x100
	s_waitcnt vmcnt(39)
	buffer_store_dword v41, off, s[0:3], 0 offset:140
	buffer_store_dword v40, off, s[0:3], 0 offset:136
	buffer_store_dword v39, off, s[0:3], 0 offset:132
	buffer_store_dword v38, off, s[0:3], 0 offset:128
	s_waitcnt vmcnt(42)
	buffer_store_dword v33, off, s[0:3], 0 offset:172
	buffer_store_dword v32, off, s[0:3], 0 offset:168
	buffer_store_dword v31, off, s[0:3], 0 offset:164
	buffer_store_dword v30, off, s[0:3], 0 offset:160
	;; [unrolled: 5-line block ×5, first 2 shown]
	buffer_store_dword v71, off, s[0:3], 0 offset:188
	buffer_store_dword v70, off, s[0:3], 0 offset:184
	;; [unrolled: 1-line block ×4, first 2 shown]
	s_waitcnt vmcnt(56)
	buffer_store_dword v75, off, s[0:3], 0 offset:220
	buffer_store_dword v74, off, s[0:3], 0 offset:216
	;; [unrolled: 1-line block ×5, first 2 shown]
	s_load_dword s4, s[48:49], 0x0
	v_mov_b32_e32 v31, 0
	v_bfrev_b32_e32 v33, 60
	buffer_store_dword v78, off, s[0:3], 0 offset:248
	buffer_store_dword v77, off, s[0:3], 0 offset:244
	;; [unrolled: 1-line block ×3, first 2 shown]
	s_waitcnt lgkmcnt(0)
	v_mul_f32_e32 v22, s4, v18
	v_mov_b32_e32 v24, v22
	v_mov_b32_e32 v25, v22
	s_branch .LBB929_15
.LBB929_12:                             ;   in Loop: Header=BB929_15 Depth=1
	s_or_b64 exec, exec, s[12:13]
.LBB929_13:                             ;   in Loop: Header=BB929_15 Depth=1
	s_or_b64 exec, exec, s[10:11]
.LBB929_14:                             ;   in Loop: Header=BB929_15 Depth=1
	s_or_b64 exec, exec, s[4:5]
	v_perm_b32 v41, v37, v32, s18
	v_perm_b32 v40, v23, v34, s18
	;; [unrolled: 1-line block ×4, first 2 shown]
	v_add_u32_e32 v26, s14, v29
	v_mfma_f32_16x16x16bf16_1k v[18:21], v[40:41], v[14:15], v[18:21]
	s_add_i32 s14, s14, 16
	v_mov_b32_e32 v23, v22
	s_cmp_eq_u32 s14, 64
	v_add_u32_e32 v27, 32, v27
	v_mfma_f32_16x16x16bf16_1k v[18:21], v[36:37], v[16:17], v[18:21]
	s_nop 7
	s_nop 2
	v_pk_mul_f32 v[18:19], v[24:25], v[18:19]
	v_pk_mul_f32 v[20:21], v[22:23], v[20:21]
	buffer_store_dword v19, v26, s[0:3], 0 offen offset:4
	buffer_store_dword v18, v26, s[0:3], 0 offen
	buffer_store_dword v21, v26, s[0:3], 0 offen offset:12
	buffer_store_dword v20, v26, s[0:3], 0 offen offset:8
	s_cbranch_scc1 .LBB929_205
.LBB929_15:                             ; =>This Inner Loop Header: Depth=1
	buffer_load_dword v20, v27, s[0:3], 0 offen
	buffer_load_dword v18, v27, s[0:3], 0 offen offset:4
	buffer_load_dword v28, v27, s[0:3], 0 offen offset:8
	;; [unrolled: 1-line block ×3, first 2 shown]
	v_mov_b32_e32 v19, 0
	s_waitcnt vmcnt(3)
	v_cmp_ne_u16_sdwa s[10:11], v20, v31 src0_sel:BYTE_0 src1_sel:DWORD
	s_and_saveexec_b64 s[4:5], s[10:11]
	s_cbranch_execz .LBB929_21
; %bb.16:                               ;   in Loop: Header=BB929_15 Depth=1
	v_cmp_ne_u16_sdwa s[12:13], v20, s15 src0_sel:BYTE_0 src1_sel:DWORD
	v_mov_b32_e32 v19, 0xffff8000
	s_and_saveexec_b64 s[10:11], s[12:13]
	s_cbranch_execz .LBB929_20
; %bb.17:                               ;   in Loop: Header=BB929_15 Depth=1
	v_and_b32_e32 v21, 0x7f, v20
	v_cmp_ne_u32_e32 vcc, s16, v21
	v_mov_b32_e32 v19, 0x7f80
	s_and_saveexec_b64 s[12:13], vcc
	s_cbranch_execz .LBB929_19
; %bb.18:                               ;   in Loop: Header=BB929_15 Depth=1
	v_and_b32_e32 v19, 7, v20
	v_ffbh_u32_e32 v30, v19
	v_min_u32_e32 v30, 32, v30
	v_subrev_u32_e32 v32, 28, v30
	v_lshlrev_b64 v[36:37], v32, v[20:21]
	v_lshrrev_b32_e32 v23, 3, v21
	v_sub_u32_e32 v30, 29, v30
	v_and_b32_e32 v32, 7, v36
	v_cmp_gt_u32_e32 vcc, 8, v21
	v_cndmask_b32_e32 v21, v23, v30, vcc
	v_cndmask_b32_e32 v19, v19, v32, vcc
	v_lshlrev_b32_e32 v23, 24, v20
	v_lshlrev_b32_e32 v19, 20, v19
	v_and_b32_e32 v23, 0x80000000, v23
	v_lshl_add_u32 v21, v21, 23, v33
	v_or3_b32 v19, v23, v21, v19
	v_lshrrev_b32_e32 v19, 16, v19
.LBB929_19:                             ;   in Loop: Header=BB929_15 Depth=1
	s_or_b64 exec, exec, s[12:13]
.LBB929_20:                             ;   in Loop: Header=BB929_15 Depth=1
	s_or_b64 exec, exec, s[10:11]
.LBB929_21:                             ;   in Loop: Header=BB929_15 Depth=1
	s_or_b64 exec, exec, s[4:5]
	v_lshrrev_b16_e32 v30, 8, v20
	v_cmp_ne_u16_e32 vcc, 0, v30
	v_mov_b32_e32 v23, 0
	v_mov_b32_e32 v21, 0
	s_and_saveexec_b64 s[4:5], vcc
	s_cbranch_execz .LBB929_27
; %bb.22:                               ;   in Loop: Header=BB929_15 Depth=1
	v_cmp_ne_u16_e32 vcc, s15, v30
	v_mov_b32_e32 v21, 0xffff8000
	s_and_saveexec_b64 s[10:11], vcc
	s_cbranch_execz .LBB929_26
; %bb.23:                               ;   in Loop: Header=BB929_15 Depth=1
	v_and_b32_e32 v32, 0x7f, v30
	v_cmp_ne_u32_e32 vcc, s16, v32
	v_mov_b32_e32 v21, 0x7f80
	s_and_saveexec_b64 s[12:13], vcc
	s_cbranch_execz .LBB929_25
; %bb.24:                               ;   in Loop: Header=BB929_15 Depth=1
	v_and_b32_e32 v21, 7, v30
	v_ffbh_u32_e32 v36, v21
	v_min_u32_e32 v38, 32, v36
	v_subrev_u32_e32 v36, 28, v38
	v_lshlrev_b64 v[36:37], v36, v[30:31]
	v_lshrrev_b32_e32 v34, 3, v32
	v_sub_u32_e32 v30, 29, v38
	v_and_b32_e32 v36, 7, v36
	v_cmp_gt_u32_e32 vcc, 8, v32
	v_cndmask_b32_e32 v30, v34, v30, vcc
	v_cndmask_b32_e32 v21, v21, v36, vcc
	v_lshlrev_b32_e32 v32, 16, v20
	v_lshlrev_b32_e32 v21, 20, v21
	v_and_b32_e32 v32, 0x80000000, v32
	v_lshl_add_u32 v30, v30, 23, v33
	v_or3_b32 v21, v32, v30, v21
	v_lshrrev_b32_e32 v21, 16, v21
.LBB929_25:                             ;   in Loop: Header=BB929_15 Depth=1
	s_or_b64 exec, exec, s[12:13]
.LBB929_26:                             ;   in Loop: Header=BB929_15 Depth=1
	s_or_b64 exec, exec, s[10:11]
.LBB929_27:                             ;   in Loop: Header=BB929_15 Depth=1
	s_or_b64 exec, exec, s[4:5]
	v_lshrrev_b32_e32 v30, 16, v20
	v_cmp_ne_u16_sdwa s[10:11], v30, v31 src0_sel:BYTE_0 src1_sel:DWORD
	s_and_saveexec_b64 s[4:5], s[10:11]
	s_cbranch_execz .LBB929_33
; %bb.28:                               ;   in Loop: Header=BB929_15 Depth=1
	v_cmp_ne_u16_sdwa s[12:13], v30, s15 src0_sel:BYTE_0 src1_sel:DWORD
	v_mov_b32_e32 v23, 0xffff8000
	s_and_saveexec_b64 s[10:11], s[12:13]
	s_cbranch_execz .LBB929_32
; %bb.29:                               ;   in Loop: Header=BB929_15 Depth=1
	v_bfe_u32 v32, v20, 16, 7
	v_cmp_ne_u32_e32 vcc, s16, v32
	v_mov_b32_e32 v23, 0x7f80
	s_and_saveexec_b64 s[12:13], vcc
	s_cbranch_execz .LBB929_31
; %bb.30:                               ;   in Loop: Header=BB929_15 Depth=1
	v_and_b32_e32 v23, 7, v30
	v_ffbh_u32_e32 v36, v23
	v_min_u32_e32 v38, 32, v36
	v_subrev_u32_e32 v36, 28, v38
	v_lshlrev_b64 v[36:37], v36, v[30:31]
	v_lshrrev_b32_e32 v34, 3, v32
	v_sub_u32_e32 v37, 29, v38
	v_and_b32_e32 v36, 7, v36
	v_cmp_gt_u32_e32 vcc, 8, v32
	v_cndmask_b32_e32 v32, v34, v37, vcc
	v_cndmask_b32_e32 v23, v23, v36, vcc
	v_lshlrev_b32_e32 v30, 24, v30
	v_lshlrev_b32_e32 v23, 20, v23
	v_and_b32_e32 v30, 0x80000000, v30
	v_lshl_add_u32 v32, v32, 23, v33
	v_or3_b32 v23, v30, v32, v23
	v_lshrrev_b32_e32 v23, 16, v23
.LBB929_31:                             ;   in Loop: Header=BB929_15 Depth=1
	s_or_b64 exec, exec, s[12:13]
.LBB929_32:                             ;   in Loop: Header=BB929_15 Depth=1
	s_or_b64 exec, exec, s[10:11]
.LBB929_33:                             ;   in Loop: Header=BB929_15 Depth=1
	s_or_b64 exec, exec, s[4:5]
	v_cmp_lt_u32_e32 vcc, s17, v20
	v_mov_b32_e32 v34, 0
	v_mov_b32_e32 v36, 0
	s_and_saveexec_b64 s[4:5], vcc
	s_cbranch_execz .LBB929_39
; %bb.34:                               ;   in Loop: Header=BB929_15 Depth=1
	v_lshrrev_b32_e32 v30, 24, v20
	v_cmp_ne_u32_e32 vcc, s15, v30
	v_mov_b32_e32 v36, 0xffff8000
	s_and_saveexec_b64 s[10:11], vcc
	s_cbranch_execz .LBB929_38
; %bb.35:                               ;   in Loop: Header=BB929_15 Depth=1
	v_bfe_u32 v20, v20, 24, 7
	v_cmp_ne_u32_e32 vcc, s16, v20
	v_mov_b32_e32 v36, 0x7f80
	s_and_saveexec_b64 s[12:13], vcc
	s_cbranch_execz .LBB929_37
; %bb.36:                               ;   in Loop: Header=BB929_15 Depth=1
	v_and_b32_e32 v32, 7, v30
	v_ffbh_u32_e32 v36, v32
	v_min_u32_e32 v39, 32, v36
	v_subrev_u32_e32 v36, 28, v39
	v_lshlrev_b64 v[36:37], v36, v[30:31]
	v_lshrrev_b32_e32 v38, 3, v20
	v_sub_u32_e32 v37, 29, v39
	v_and_b32_e32 v36, 7, v36
	v_cmp_gt_u32_e32 vcc, 8, v20
	v_cndmask_b32_e32 v20, v38, v37, vcc
	v_cndmask_b32_e32 v32, v32, v36, vcc
	v_lshlrev_b32_e32 v30, 24, v30
	v_lshlrev_b32_e32 v32, 20, v32
	v_and_b32_e32 v30, 0x80000000, v30
	v_lshl_add_u32 v20, v20, 23, v33
	v_or3_b32 v20, v30, v20, v32
	v_lshrrev_b32_e32 v36, 16, v20
.LBB929_37:                             ;   in Loop: Header=BB929_15 Depth=1
	s_or_b64 exec, exec, s[12:13]
.LBB929_38:                             ;   in Loop: Header=BB929_15 Depth=1
	s_or_b64 exec, exec, s[10:11]
.LBB929_39:                             ;   in Loop: Header=BB929_15 Depth=1
	s_or_b64 exec, exec, s[4:5]
	s_waitcnt vmcnt(2)
	v_cmp_ne_u16_sdwa s[10:11], v18, v31 src0_sel:BYTE_0 src1_sel:DWORD
	s_and_saveexec_b64 s[4:5], s[10:11]
	s_cbranch_execz .LBB929_45
; %bb.40:                               ;   in Loop: Header=BB929_15 Depth=1
	v_cmp_ne_u16_sdwa s[12:13], v18, s15 src0_sel:BYTE_0 src1_sel:DWORD
	v_mov_b32_e32 v34, 0xffff8000
	s_and_saveexec_b64 s[10:11], s[12:13]
	s_cbranch_execz .LBB929_44
; %bb.41:                               ;   in Loop: Header=BB929_15 Depth=1
	v_and_b32_e32 v20, 0x7f, v18
	v_cmp_ne_u32_e32 vcc, s16, v20
	v_mov_b32_e32 v34, 0x7f80
	s_and_saveexec_b64 s[12:13], vcc
	s_cbranch_execz .LBB929_43
; %bb.42:                               ;   in Loop: Header=BB929_15 Depth=1
	v_and_b32_e32 v30, 7, v18
	v_ffbh_u32_e32 v34, v30
	v_min_u32_e32 v34, 32, v34
	v_subrev_u32_e32 v37, 28, v34
	v_lshlrev_b64 v[38:39], v37, v[18:19]
	v_lshrrev_b32_e32 v32, 3, v20
	v_sub_u32_e32 v34, 29, v34
	v_and_b32_e32 v37, 7, v38
	v_cmp_gt_u32_e32 vcc, 8, v20
	v_cndmask_b32_e32 v20, v32, v34, vcc
	v_cndmask_b32_e32 v30, v30, v37, vcc
	v_lshlrev_b32_e32 v32, 24, v18
	v_lshlrev_b32_e32 v30, 20, v30
	v_and_b32_e32 v32, 0x80000000, v32
	v_lshl_add_u32 v20, v20, 23, v33
	v_or3_b32 v20, v32, v20, v30
	v_lshrrev_b32_e32 v34, 16, v20
.LBB929_43:                             ;   in Loop: Header=BB929_15 Depth=1
	s_or_b64 exec, exec, s[12:13]
.LBB929_44:                             ;   in Loop: Header=BB929_15 Depth=1
	s_or_b64 exec, exec, s[10:11]
.LBB929_45:                             ;   in Loop: Header=BB929_15 Depth=1
	s_or_b64 exec, exec, s[4:5]
	v_lshrrev_b16_e32 v20, 8, v18
	v_cmp_ne_u16_e32 vcc, 0, v20
	v_mov_b32_e32 v37, 0
	v_mov_b32_e32 v30, 0
	s_and_saveexec_b64 s[4:5], vcc
	s_cbranch_execz .LBB929_51
; %bb.46:                               ;   in Loop: Header=BB929_15 Depth=1
	v_cmp_ne_u16_e32 vcc, s15, v20
	v_mov_b32_e32 v30, 0xffff8000
	s_and_saveexec_b64 s[10:11], vcc
	s_cbranch_execz .LBB929_50
; %bb.47:                               ;   in Loop: Header=BB929_15 Depth=1
	v_and_b32_e32 v32, 0x7f, v20
	v_cmp_ne_u32_e32 vcc, s16, v32
	v_mov_b32_e32 v30, 0x7f80
	s_and_saveexec_b64 s[12:13], vcc
	s_cbranch_execz .LBB929_49
; %bb.48:                               ;   in Loop: Header=BB929_15 Depth=1
	v_and_b32_e32 v30, 7, v20
	v_ffbh_u32_e32 v38, v30
	v_min_u32_e32 v41, 32, v38
	v_subrev_u32_e32 v38, 28, v41
	v_lshlrev_b64 v[38:39], v38, v[20:21]
	v_lshrrev_b32_e32 v40, 3, v32
	v_sub_u32_e32 v20, 29, v41
	v_and_b32_e32 v38, 7, v38
	v_cmp_gt_u32_e32 vcc, 8, v32
	v_cndmask_b32_e32 v20, v40, v20, vcc
	v_cndmask_b32_e32 v30, v30, v38, vcc
	v_lshlrev_b32_e32 v32, 16, v18
	v_lshlrev_b32_e32 v30, 20, v30
	v_and_b32_e32 v32, 0x80000000, v32
	v_lshl_add_u32 v20, v20, 23, v33
	v_or3_b32 v20, v32, v20, v30
	v_lshrrev_b32_e32 v30, 16, v20
.LBB929_49:                             ;   in Loop: Header=BB929_15 Depth=1
	s_or_b64 exec, exec, s[12:13]
.LBB929_50:                             ;   in Loop: Header=BB929_15 Depth=1
	s_or_b64 exec, exec, s[10:11]
.LBB929_51:                             ;   in Loop: Header=BB929_15 Depth=1
	s_or_b64 exec, exec, s[4:5]
	v_lshrrev_b32_e32 v20, 16, v18
	v_cmp_ne_u16_sdwa s[10:11], v20, v31 src0_sel:BYTE_0 src1_sel:DWORD
	s_and_saveexec_b64 s[4:5], s[10:11]
	s_cbranch_execz .LBB929_57
; %bb.52:                               ;   in Loop: Header=BB929_15 Depth=1
	v_cmp_ne_u16_sdwa s[12:13], v20, s15 src0_sel:BYTE_0 src1_sel:DWORD
	v_mov_b32_e32 v37, 0xffff8000
	s_and_saveexec_b64 s[10:11], s[12:13]
	s_cbranch_execz .LBB929_56
; %bb.53:                               ;   in Loop: Header=BB929_15 Depth=1
	v_bfe_u32 v32, v18, 16, 7
	v_cmp_ne_u32_e32 vcc, s16, v32
	v_mov_b32_e32 v37, 0x7f80
	s_and_saveexec_b64 s[12:13], vcc
	s_cbranch_execz .LBB929_55
; %bb.54:                               ;   in Loop: Header=BB929_15 Depth=1
	v_and_b32_e32 v37, 7, v20
	v_ffbh_u32_e32 v38, v37
	v_min_u32_e32 v41, 32, v38
	v_subrev_u32_e32 v38, 28, v41
	v_lshlrev_b64 v[38:39], v38, v[20:21]
	v_lshrrev_b32_e32 v40, 3, v32
	v_sub_u32_e32 v39, 29, v41
	v_and_b32_e32 v38, 7, v38
	v_cmp_gt_u32_e32 vcc, 8, v32
	v_cndmask_b32_e32 v32, v40, v39, vcc
	v_cndmask_b32_e32 v37, v37, v38, vcc
	v_lshlrev_b32_e32 v20, 24, v20
	v_lshlrev_b32_e32 v37, 20, v37
	v_and_b32_e32 v20, 0x80000000, v20
	v_lshl_add_u32 v32, v32, 23, v33
	v_or3_b32 v20, v20, v32, v37
	v_lshrrev_b32_e32 v37, 16, v20
.LBB929_55:                             ;   in Loop: Header=BB929_15 Depth=1
	s_or_b64 exec, exec, s[12:13]
.LBB929_56:                             ;   in Loop: Header=BB929_15 Depth=1
	s_or_b64 exec, exec, s[10:11]
.LBB929_57:                             ;   in Loop: Header=BB929_15 Depth=1
	s_or_b64 exec, exec, s[4:5]
	v_cmp_lt_u32_e32 vcc, s17, v18
	v_mov_b32_e32 v32, 0
	v_mov_b32_e32 v38, 0
	s_and_saveexec_b64 s[4:5], vcc
	s_cbranch_execz .LBB929_63
; %bb.58:                               ;   in Loop: Header=BB929_15 Depth=1
	v_lshrrev_b32_e32 v20, 24, v18
	v_cmp_ne_u32_e32 vcc, s15, v20
	v_mov_b32_e32 v38, 0xffff8000
	s_and_saveexec_b64 s[10:11], vcc
	s_cbranch_execz .LBB929_62
; %bb.59:                               ;   in Loop: Header=BB929_15 Depth=1
	v_bfe_u32 v18, v18, 24, 7
	v_cmp_ne_u32_e32 vcc, s16, v18
	v_mov_b32_e32 v38, 0x7f80
	s_and_saveexec_b64 s[12:13], vcc
	s_cbranch_execz .LBB929_61
; %bb.60:                               ;   in Loop: Header=BB929_15 Depth=1
	v_and_b32_e32 v40, 7, v20
	v_ffbh_u32_e32 v38, v40
	v_min_u32_e32 v42, 32, v38
	v_subrev_u32_e32 v38, 28, v42
	v_lshlrev_b64 v[38:39], v38, v[20:21]
	v_lshrrev_b32_e32 v41, 3, v18
	v_sub_u32_e32 v39, 29, v42
	v_and_b32_e32 v38, 7, v38
	v_cmp_gt_u32_e32 vcc, 8, v18
	v_cndmask_b32_e32 v18, v41, v39, vcc
	v_cndmask_b32_e32 v38, v40, v38, vcc
	v_lshlrev_b32_e32 v20, 24, v20
	v_lshlrev_b32_e32 v38, 20, v38
	v_and_b32_e32 v20, 0x80000000, v20
	v_lshl_add_u32 v18, v18, 23, v33
	v_or3_b32 v18, v20, v18, v38
	v_lshrrev_b32_e32 v38, 16, v18
.LBB929_61:                             ;   in Loop: Header=BB929_15 Depth=1
	s_or_b64 exec, exec, s[12:13]
.LBB929_62:                             ;   in Loop: Header=BB929_15 Depth=1
	s_or_b64 exec, exec, s[10:11]
.LBB929_63:                             ;   in Loop: Header=BB929_15 Depth=1
	s_or_b64 exec, exec, s[4:5]
	v_perm_b32 v41, v36, v23, s18
	v_perm_b32 v40, v21, v19, s18
	;; [unrolled: 1-line block ×4, first 2 shown]
	s_waitcnt vmcnt(1)
	v_cmp_ne_u16_sdwa s[10:11], v28, v31 src0_sel:BYTE_0 src1_sel:DWORD
	v_mfma_f32_16x16x16bf16_1k v[18:21], v[40:41], v[2:3], 0
	v_mfma_f32_16x16x16bf16_1k v[18:21], v[36:37], v[4:5], v[18:21]
	s_and_saveexec_b64 s[4:5], s[10:11]
	s_cbranch_execz .LBB929_69
; %bb.64:                               ;   in Loop: Header=BB929_15 Depth=1
	v_cmp_ne_u16_sdwa s[12:13], v28, s15 src0_sel:BYTE_0 src1_sel:DWORD
	v_mov_b32_e32 v32, 0xffff8000
	s_and_saveexec_b64 s[10:11], s[12:13]
	s_cbranch_execz .LBB929_68
; %bb.65:                               ;   in Loop: Header=BB929_15 Depth=1
	v_and_b32_e32 v23, 0x7f, v28
	v_cmp_ne_u32_e32 vcc, s16, v23
	v_mov_b32_e32 v32, 0x7f80
	s_and_saveexec_b64 s[12:13], vcc
	s_cbranch_execz .LBB929_67
; %bb.66:                               ;   in Loop: Header=BB929_15 Depth=1
	v_and_b32_e32 v30, 7, v28
	v_ffbh_u32_e32 v34, v30
	v_min_u32_e32 v34, 32, v34
	v_subrev_u32_e32 v36, 28, v34
	v_lshlrev_b64 v[36:37], v36, v[28:29]
	v_lshrrev_b32_e32 v32, 3, v23
	v_sub_u32_e32 v34, 29, v34
	v_and_b32_e32 v36, 7, v36
	v_cmp_gt_u32_e32 vcc, 8, v23
	v_cndmask_b32_e32 v23, v32, v34, vcc
	v_cndmask_b32_e32 v30, v30, v36, vcc
	v_lshlrev_b32_e32 v32, 24, v28
	v_lshlrev_b32_e32 v30, 20, v30
	v_and_b32_e32 v32, 0x80000000, v32
	v_lshl_add_u32 v23, v23, 23, v33
	v_or3_b32 v23, v32, v23, v30
	v_lshrrev_b32_e32 v32, 16, v23
.LBB929_67:                             ;   in Loop: Header=BB929_15 Depth=1
	s_or_b64 exec, exec, s[12:13]
.LBB929_68:                             ;   in Loop: Header=BB929_15 Depth=1
	s_or_b64 exec, exec, s[10:11]
.LBB929_69:                             ;   in Loop: Header=BB929_15 Depth=1
	s_or_b64 exec, exec, s[4:5]
	v_lshrrev_b16_e32 v30, 8, v28
	v_cmp_ne_u16_e32 vcc, 0, v30
	v_mov_b32_e32 v36, 0
	v_mov_b32_e32 v34, 0
	s_and_saveexec_b64 s[4:5], vcc
	s_cbranch_execz .LBB929_75
; %bb.70:                               ;   in Loop: Header=BB929_15 Depth=1
	v_cmp_ne_u16_e32 vcc, s15, v30
	v_mov_b32_e32 v34, 0xffff8000
	s_and_saveexec_b64 s[10:11], vcc
	s_cbranch_execz .LBB929_74
; %bb.71:                               ;   in Loop: Header=BB929_15 Depth=1
	v_and_b32_e32 v23, 0x7f, v30
	v_cmp_ne_u32_e32 vcc, s16, v23
	v_mov_b32_e32 v34, 0x7f80
	s_and_saveexec_b64 s[12:13], vcc
	s_cbranch_execz .LBB929_73
; %bb.72:                               ;   in Loop: Header=BB929_15 Depth=1
	v_and_b32_e32 v34, 7, v30
	v_ffbh_u32_e32 v38, v34
	v_min_u32_e32 v40, 32, v38
	v_subrev_u32_e32 v38, 28, v40
	v_lshlrev_b64 v[38:39], v38, v[30:31]
	v_lshrrev_b32_e32 v37, 3, v23
	v_sub_u32_e32 v30, 29, v40
	v_and_b32_e32 v38, 7, v38
	v_cmp_gt_u32_e32 vcc, 8, v23
	v_cndmask_b32_e32 v23, v37, v30, vcc
	v_cndmask_b32_e32 v30, v34, v38, vcc
	v_lshlrev_b32_e32 v34, 16, v28
	v_lshlrev_b32_e32 v30, 20, v30
	v_and_b32_e32 v34, 0x80000000, v34
	v_lshl_add_u32 v23, v23, 23, v33
	v_or3_b32 v23, v34, v23, v30
	v_lshrrev_b32_e32 v34, 16, v23
.LBB929_73:                             ;   in Loop: Header=BB929_15 Depth=1
	s_or_b64 exec, exec, s[12:13]
.LBB929_74:                             ;   in Loop: Header=BB929_15 Depth=1
	s_or_b64 exec, exec, s[10:11]
.LBB929_75:                             ;   in Loop: Header=BB929_15 Depth=1
	s_or_b64 exec, exec, s[4:5]
	v_lshrrev_b32_e32 v30, 16, v28
	v_cmp_ne_u16_sdwa s[10:11], v30, v31 src0_sel:BYTE_0 src1_sel:DWORD
	s_and_saveexec_b64 s[4:5], s[10:11]
	s_cbranch_execz .LBB929_81
; %bb.76:                               ;   in Loop: Header=BB929_15 Depth=1
	v_cmp_ne_u16_sdwa s[12:13], v30, s15 src0_sel:BYTE_0 src1_sel:DWORD
	v_mov_b32_e32 v36, 0xffff8000
	s_and_saveexec_b64 s[10:11], s[12:13]
	s_cbranch_execz .LBB929_80
; %bb.77:                               ;   in Loop: Header=BB929_15 Depth=1
	v_bfe_u32 v23, v28, 16, 7
	v_cmp_ne_u32_e32 vcc, s16, v23
	v_mov_b32_e32 v36, 0x7f80
	s_and_saveexec_b64 s[12:13], vcc
	s_cbranch_execz .LBB929_79
; %bb.78:                               ;   in Loop: Header=BB929_15 Depth=1
	v_and_b32_e32 v38, 7, v30
	v_ffbh_u32_e32 v36, v38
	v_min_u32_e32 v40, 32, v36
	v_subrev_u32_e32 v36, 28, v40
	v_lshlrev_b64 v[36:37], v36, v[30:31]
	v_lshrrev_b32_e32 v39, 3, v23
	v_sub_u32_e32 v37, 29, v40
	v_and_b32_e32 v36, 7, v36
	v_cmp_gt_u32_e32 vcc, 8, v23
	v_cndmask_b32_e32 v23, v39, v37, vcc
	v_cndmask_b32_e32 v36, v38, v36, vcc
	v_lshlrev_b32_e32 v30, 24, v30
	v_lshlrev_b32_e32 v36, 20, v36
	v_and_b32_e32 v30, 0x80000000, v30
	v_lshl_add_u32 v23, v23, 23, v33
	v_or3_b32 v23, v30, v23, v36
	v_lshrrev_b32_e32 v36, 16, v23
.LBB929_79:                             ;   in Loop: Header=BB929_15 Depth=1
	s_or_b64 exec, exec, s[12:13]
.LBB929_80:                             ;   in Loop: Header=BB929_15 Depth=1
	s_or_b64 exec, exec, s[10:11]
.LBB929_81:                             ;   in Loop: Header=BB929_15 Depth=1
	s_or_b64 exec, exec, s[4:5]
	v_cmp_lt_u32_e32 vcc, s17, v28
	v_mov_b32_e32 v37, 0
	v_mov_b32_e32 v38, 0
	s_and_saveexec_b64 s[4:5], vcc
	s_cbranch_execz .LBB929_87
; %bb.82:                               ;   in Loop: Header=BB929_15 Depth=1
	v_lshrrev_b32_e32 v30, 24, v28
	v_cmp_ne_u32_e32 vcc, s15, v30
	v_mov_b32_e32 v38, 0xffff8000
	s_and_saveexec_b64 s[10:11], vcc
	s_cbranch_execz .LBB929_86
; %bb.83:                               ;   in Loop: Header=BB929_15 Depth=1
	v_bfe_u32 v23, v28, 24, 7
	v_cmp_ne_u32_e32 vcc, s16, v23
	v_mov_b32_e32 v38, 0x7f80
	s_and_saveexec_b64 s[12:13], vcc
	s_cbranch_execz .LBB929_85
; %bb.84:                               ;   in Loop: Header=BB929_15 Depth=1
	v_and_b32_e32 v28, 7, v30
	v_ffbh_u32_e32 v38, v28
	v_min_u32_e32 v41, 32, v38
	v_subrev_u32_e32 v38, 28, v41
	v_lshlrev_b64 v[38:39], v38, v[30:31]
	v_lshrrev_b32_e32 v40, 3, v23
	v_sub_u32_e32 v39, 29, v41
	v_and_b32_e32 v38, 7, v38
	v_cmp_gt_u32_e32 vcc, 8, v23
	v_cndmask_b32_e32 v23, v40, v39, vcc
	v_cndmask_b32_e32 v28, v28, v38, vcc
	v_lshlrev_b32_e32 v30, 24, v30
	v_lshlrev_b32_e32 v28, 20, v28
	v_and_b32_e32 v30, 0x80000000, v30
	v_lshl_add_u32 v23, v23, 23, v33
	v_or3_b32 v23, v30, v23, v28
	v_lshrrev_b32_e32 v38, 16, v23
.LBB929_85:                             ;   in Loop: Header=BB929_15 Depth=1
	s_or_b64 exec, exec, s[12:13]
.LBB929_86:                             ;   in Loop: Header=BB929_15 Depth=1
	s_or_b64 exec, exec, s[10:11]
.LBB929_87:                             ;   in Loop: Header=BB929_15 Depth=1
	s_or_b64 exec, exec, s[4:5]
	s_waitcnt vmcnt(0)
	v_cmp_ne_u16_sdwa s[10:11], v26, v31 src0_sel:BYTE_0 src1_sel:DWORD
	s_and_saveexec_b64 s[4:5], s[10:11]
	s_cbranch_execz .LBB929_93
; %bb.88:                               ;   in Loop: Header=BB929_15 Depth=1
	v_cmp_ne_u16_sdwa s[12:13], v26, s15 src0_sel:BYTE_0 src1_sel:DWORD
	v_mov_b32_e32 v37, 0xffff8000
	s_and_saveexec_b64 s[10:11], s[12:13]
	s_cbranch_execz .LBB929_92
; %bb.89:                               ;   in Loop: Header=BB929_15 Depth=1
	v_and_b32_e32 v23, 0x7f, v26
	v_cmp_ne_u32_e32 vcc, s16, v23
	v_mov_b32_e32 v37, 0x7f80
	s_and_saveexec_b64 s[12:13], vcc
	s_cbranch_execz .LBB929_91
; %bb.90:                               ;   in Loop: Header=BB929_15 Depth=1
	v_and_b32_e32 v28, 7, v26
	v_ffbh_u32_e32 v37, v28
	v_min_u32_e32 v37, 32, v37
	v_subrev_u32_e32 v39, 28, v37
	v_lshlrev_b64 v[40:41], v39, v[26:27]
	v_lshrrev_b32_e32 v30, 3, v23
	v_sub_u32_e32 v37, 29, v37
	v_and_b32_e32 v39, 7, v40
	v_cmp_gt_u32_e32 vcc, 8, v23
	v_cndmask_b32_e32 v23, v30, v37, vcc
	v_cndmask_b32_e32 v28, v28, v39, vcc
	v_lshlrev_b32_e32 v30, 24, v26
	v_lshlrev_b32_e32 v28, 20, v28
	v_and_b32_e32 v30, 0x80000000, v30
	v_lshl_add_u32 v23, v23, 23, v33
	v_or3_b32 v23, v30, v23, v28
	v_lshrrev_b32_e32 v37, 16, v23
.LBB929_91:                             ;   in Loop: Header=BB929_15 Depth=1
	s_or_b64 exec, exec, s[12:13]
.LBB929_92:                             ;   in Loop: Header=BB929_15 Depth=1
	s_or_b64 exec, exec, s[10:11]
.LBB929_93:                             ;   in Loop: Header=BB929_15 Depth=1
	s_or_b64 exec, exec, s[4:5]
	v_lshrrev_b16_e32 v28, 8, v26
	v_cmp_ne_u16_e32 vcc, 0, v28
	v_mov_b32_e32 v40, 0
	v_mov_b32_e32 v39, 0
	s_and_saveexec_b64 s[4:5], vcc
	s_cbranch_execz .LBB929_99
; %bb.94:                               ;   in Loop: Header=BB929_15 Depth=1
	v_cmp_ne_u16_e32 vcc, s15, v28
	v_mov_b32_e32 v39, 0xffff8000
	s_and_saveexec_b64 s[10:11], vcc
	s_cbranch_execz .LBB929_98
; %bb.95:                               ;   in Loop: Header=BB929_15 Depth=1
	v_and_b32_e32 v23, 0x7f, v28
	v_cmp_ne_u32_e32 vcc, s16, v23
	v_mov_b32_e32 v39, 0x7f80
	s_and_saveexec_b64 s[12:13], vcc
	s_cbranch_execz .LBB929_97
; %bb.96:                               ;   in Loop: Header=BB929_15 Depth=1
	v_and_b32_e32 v30, 7, v28
	v_ffbh_u32_e32 v41, v30
	v_min_u32_e32 v41, 32, v41
	v_subrev_u32_e32 v42, 28, v41
	v_lshlrev_b64 v[42:43], v42, v[28:29]
	v_lshrrev_b32_e32 v39, 3, v23
	v_sub_u32_e32 v28, 29, v41
	v_and_b32_e32 v41, 7, v42
	v_cmp_gt_u32_e32 vcc, 8, v23
	v_cndmask_b32_e32 v23, v39, v28, vcc
	v_cndmask_b32_e32 v28, v30, v41, vcc
	v_lshlrev_b32_e32 v30, 16, v26
	v_lshlrev_b32_e32 v28, 20, v28
	v_and_b32_e32 v30, 0x80000000, v30
	v_lshl_add_u32 v23, v23, 23, v33
	v_or3_b32 v23, v30, v23, v28
	v_lshrrev_b32_e32 v39, 16, v23
.LBB929_97:                             ;   in Loop: Header=BB929_15 Depth=1
	s_or_b64 exec, exec, s[12:13]
.LBB929_98:                             ;   in Loop: Header=BB929_15 Depth=1
	s_or_b64 exec, exec, s[10:11]
.LBB929_99:                             ;   in Loop: Header=BB929_15 Depth=1
	s_or_b64 exec, exec, s[4:5]
	v_lshrrev_b32_e32 v28, 16, v26
	v_cmp_ne_u16_sdwa s[10:11], v28, v31 src0_sel:BYTE_0 src1_sel:DWORD
	s_and_saveexec_b64 s[4:5], s[10:11]
	s_cbranch_execz .LBB929_105
; %bb.100:                              ;   in Loop: Header=BB929_15 Depth=1
	v_cmp_ne_u16_sdwa s[12:13], v28, s15 src0_sel:BYTE_0 src1_sel:DWORD
	v_mov_b32_e32 v40, 0xffff8000
	s_and_saveexec_b64 s[10:11], s[12:13]
	s_cbranch_execz .LBB929_104
; %bb.101:                              ;   in Loop: Header=BB929_15 Depth=1
	v_bfe_u32 v23, v26, 16, 7
	v_cmp_ne_u32_e32 vcc, s16, v23
	v_mov_b32_e32 v40, 0x7f80
	s_and_saveexec_b64 s[12:13], vcc
	s_cbranch_execz .LBB929_103
; %bb.102:                              ;   in Loop: Header=BB929_15 Depth=1
	v_and_b32_e32 v30, 7, v28
	v_ffbh_u32_e32 v40, v30
	v_min_u32_e32 v43, 32, v40
	v_subrev_u32_e32 v40, 28, v43
	v_lshlrev_b64 v[40:41], v40, v[28:29]
	v_lshrrev_b32_e32 v42, 3, v23
	v_sub_u32_e32 v41, 29, v43
	v_and_b32_e32 v40, 7, v40
	v_cmp_gt_u32_e32 vcc, 8, v23
	v_cndmask_b32_e32 v23, v42, v41, vcc
	v_cndmask_b32_e32 v30, v30, v40, vcc
	v_lshlrev_b32_e32 v28, 24, v28
	v_lshlrev_b32_e32 v30, 20, v30
	v_and_b32_e32 v28, 0x80000000, v28
	v_lshl_add_u32 v23, v23, 23, v33
	v_or3_b32 v23, v28, v23, v30
	v_lshrrev_b32_e32 v40, 16, v23
.LBB929_103:                            ;   in Loop: Header=BB929_15 Depth=1
	s_or_b64 exec, exec, s[12:13]
.LBB929_104:                            ;   in Loop: Header=BB929_15 Depth=1
	s_or_b64 exec, exec, s[10:11]
.LBB929_105:                            ;   in Loop: Header=BB929_15 Depth=1
	s_or_b64 exec, exec, s[4:5]
	v_cmp_lt_u32_e32 vcc, s17, v26
	v_mov_b32_e32 v23, 0
	v_mov_b32_e32 v41, 0
	s_and_saveexec_b64 s[4:5], vcc
	s_cbranch_execz .LBB929_111
; %bb.106:                              ;   in Loop: Header=BB929_15 Depth=1
	v_lshrrev_b32_e32 v28, 24, v26
	v_cmp_ne_u32_e32 vcc, s15, v28
	v_mov_b32_e32 v41, 0xffff8000
	s_and_saveexec_b64 s[10:11], vcc
	s_cbranch_execz .LBB929_110
; %bb.107:                              ;   in Loop: Header=BB929_15 Depth=1
	v_bfe_u32 v26, v26, 24, 7
	v_cmp_ne_u32_e32 vcc, s16, v26
	v_mov_b32_e32 v41, 0x7f80
	s_and_saveexec_b64 s[12:13], vcc
	s_cbranch_execz .LBB929_109
; %bb.108:                              ;   in Loop: Header=BB929_15 Depth=1
	v_and_b32_e32 v30, 7, v28
	v_ffbh_u32_e32 v42, v30
	v_min_u32_e32 v44, 32, v42
	v_subrev_u32_e32 v42, 28, v44
	v_lshlrev_b64 v[42:43], v42, v[28:29]
	v_lshrrev_b32_e32 v41, 3, v26
	v_sub_u32_e32 v43, 29, v44
	v_and_b32_e32 v42, 7, v42
	v_cmp_gt_u32_e32 vcc, 8, v26
	v_cndmask_b32_e32 v26, v41, v43, vcc
	v_cndmask_b32_e32 v30, v30, v42, vcc
	v_lshlrev_b32_e32 v28, 24, v28
	v_lshlrev_b32_e32 v30, 20, v30
	v_and_b32_e32 v28, 0x80000000, v28
	v_lshl_add_u32 v26, v26, 23, v33
	v_or3_b32 v26, v28, v26, v30
	v_lshrrev_b32_e32 v41, 16, v26
.LBB929_109:                            ;   in Loop: Header=BB929_15 Depth=1
	s_or_b64 exec, exec, s[12:13]
.LBB929_110:                            ;   in Loop: Header=BB929_15 Depth=1
	s_or_b64 exec, exec, s[10:11]
.LBB929_111:                            ;   in Loop: Header=BB929_15 Depth=1
	s_or_b64 exec, exec, s[4:5]
	v_perm_b32 v42, v34, v32, s18
	buffer_load_dword v32, v27, s[0:3], 0 offen offset:16
	buffer_load_dword v30, v27, s[0:3], 0 offen offset:20
	;; [unrolled: 1-line block ×4, first 2 shown]
	v_perm_b32 v43, v38, v36, s18
	v_perm_b32 v41, v41, v40, s18
	;; [unrolled: 1-line block ×3, first 2 shown]
	v_mfma_f32_16x16x16bf16_1k v[18:21], v[42:43], v[6:7], v[18:21]
	s_waitcnt vmcnt(3)
	v_cmp_ne_u16_sdwa s[10:11], v32, v31 src0_sel:BYTE_0 src1_sel:DWORD
	v_mfma_f32_16x16x16bf16_1k v[18:21], v[40:41], v[8:9], v[18:21]
	s_and_saveexec_b64 s[4:5], s[10:11]
	s_cbranch_execz .LBB929_117
; %bb.112:                              ;   in Loop: Header=BB929_15 Depth=1
	v_cmp_ne_u16_sdwa s[12:13], v32, s15 src0_sel:BYTE_0 src1_sel:DWORD
	v_mov_b32_e32 v23, 0xffff8000
	s_and_saveexec_b64 s[10:11], s[12:13]
	s_cbranch_execz .LBB929_116
; %bb.113:                              ;   in Loop: Header=BB929_15 Depth=1
	v_and_b32_e32 v34, 0x7f, v32
	v_cmp_ne_u32_e32 vcc, s16, v34
	v_mov_b32_e32 v23, 0x7f80
	s_and_saveexec_b64 s[12:13], vcc
	s_cbranch_execz .LBB929_115
; %bb.114:                              ;   in Loop: Header=BB929_15 Depth=1
	v_and_b32_e32 v23, 7, v32
	v_ffbh_u32_e32 v36, v23
	v_min_u32_e32 v39, 32, v36
	v_subrev_u32_e32 v36, 28, v39
	v_lshlrev_b64 v[36:37], v36, v[32:33]
	v_lshrrev_b32_e32 v38, 3, v34
	v_sub_u32_e32 v37, 29, v39
	v_and_b32_e32 v36, 7, v36
	v_cmp_gt_u32_e32 vcc, 8, v34
	v_cndmask_b32_e32 v34, v38, v37, vcc
	v_cndmask_b32_e32 v23, v23, v36, vcc
	v_lshlrev_b32_e32 v36, 24, v32
	v_lshlrev_b32_e32 v23, 20, v23
	v_and_b32_e32 v36, 0x80000000, v36
	v_lshl_add_u32 v34, v34, 23, v33
	v_or3_b32 v23, v36, v34, v23
	v_lshrrev_b32_e32 v23, 16, v23
.LBB929_115:                            ;   in Loop: Header=BB929_15 Depth=1
	s_or_b64 exec, exec, s[12:13]
.LBB929_116:                            ;   in Loop: Header=BB929_15 Depth=1
	s_or_b64 exec, exec, s[10:11]
.LBB929_117:                            ;   in Loop: Header=BB929_15 Depth=1
	s_or_b64 exec, exec, s[4:5]
	v_lshrrev_b16_e32 v34, 8, v32
	v_cmp_ne_u16_e32 vcc, 0, v34
	v_mov_b32_e32 v37, 0
	v_mov_b32_e32 v36, 0
	s_and_saveexec_b64 s[4:5], vcc
	s_cbranch_execz .LBB929_123
; %bb.118:                              ;   in Loop: Header=BB929_15 Depth=1
	v_cmp_ne_u16_e32 vcc, s15, v34
	v_mov_b32_e32 v36, 0xffff8000
	s_and_saveexec_b64 s[10:11], vcc
	s_cbranch_execz .LBB929_122
; %bb.119:                              ;   in Loop: Header=BB929_15 Depth=1
	v_and_b32_e32 v38, 0x7f, v34
	v_cmp_ne_u32_e32 vcc, s16, v38
	v_mov_b32_e32 v36, 0x7f80
	s_and_saveexec_b64 s[12:13], vcc
	s_cbranch_execz .LBB929_121
; %bb.120:                              ;   in Loop: Header=BB929_15 Depth=1
	v_and_b32_e32 v36, 7, v34
	v_ffbh_u32_e32 v40, v36
	v_min_u32_e32 v42, 32, v40
	v_subrev_u32_e32 v40, 28, v42
	v_lshlrev_b64 v[40:41], v40, v[34:35]
	v_lshrrev_b32_e32 v39, 3, v38
	v_sub_u32_e32 v34, 29, v42
	v_and_b32_e32 v40, 7, v40
	v_cmp_gt_u32_e32 vcc, 8, v38
	v_cndmask_b32_e32 v34, v39, v34, vcc
	v_cndmask_b32_e32 v36, v36, v40, vcc
	v_lshlrev_b32_e32 v38, 16, v32
	v_lshlrev_b32_e32 v36, 20, v36
	v_and_b32_e32 v38, 0x80000000, v38
	v_lshl_add_u32 v34, v34, 23, v33
	v_or3_b32 v34, v38, v34, v36
	v_lshrrev_b32_e32 v36, 16, v34
.LBB929_121:                            ;   in Loop: Header=BB929_15 Depth=1
	s_or_b64 exec, exec, s[12:13]
.LBB929_122:                            ;   in Loop: Header=BB929_15 Depth=1
	s_or_b64 exec, exec, s[10:11]
.LBB929_123:                            ;   in Loop: Header=BB929_15 Depth=1
	s_or_b64 exec, exec, s[4:5]
	v_lshrrev_b32_e32 v34, 16, v32
	v_cmp_ne_u16_sdwa s[10:11], v34, v31 src0_sel:BYTE_0 src1_sel:DWORD
	s_and_saveexec_b64 s[4:5], s[10:11]
	s_cbranch_execz .LBB929_129
; %bb.124:                              ;   in Loop: Header=BB929_15 Depth=1
	v_cmp_ne_u16_sdwa s[12:13], v34, s15 src0_sel:BYTE_0 src1_sel:DWORD
	v_mov_b32_e32 v37, 0xffff8000
	s_and_saveexec_b64 s[10:11], s[12:13]
	s_cbranch_execz .LBB929_128
; %bb.125:                              ;   in Loop: Header=BB929_15 Depth=1
	v_bfe_u32 v38, v32, 16, 7
	v_cmp_ne_u32_e32 vcc, s16, v38
	v_mov_b32_e32 v37, 0x7f80
	s_and_saveexec_b64 s[12:13], vcc
	s_cbranch_execz .LBB929_127
; %bb.126:                              ;   in Loop: Header=BB929_15 Depth=1
	v_and_b32_e32 v37, 7, v34
	v_ffbh_u32_e32 v40, v37
	v_min_u32_e32 v42, 32, v40
	v_subrev_u32_e32 v40, 28, v42
	v_lshlrev_b64 v[40:41], v40, v[34:35]
	v_lshrrev_b32_e32 v39, 3, v38
	v_sub_u32_e32 v41, 29, v42
	v_and_b32_e32 v40, 7, v40
	v_cmp_gt_u32_e32 vcc, 8, v38
	v_cndmask_b32_e32 v38, v39, v41, vcc
	v_cndmask_b32_e32 v37, v37, v40, vcc
	v_lshlrev_b32_e32 v34, 24, v34
	v_lshlrev_b32_e32 v37, 20, v37
	v_and_b32_e32 v34, 0x80000000, v34
	v_lshl_add_u32 v38, v38, 23, v33
	v_or3_b32 v34, v34, v38, v37
	v_lshrrev_b32_e32 v37, 16, v34
.LBB929_127:                            ;   in Loop: Header=BB929_15 Depth=1
	s_or_b64 exec, exec, s[12:13]
.LBB929_128:                            ;   in Loop: Header=BB929_15 Depth=1
	s_or_b64 exec, exec, s[10:11]
.LBB929_129:                            ;   in Loop: Header=BB929_15 Depth=1
	s_or_b64 exec, exec, s[4:5]
	v_cmp_lt_u32_e32 vcc, s17, v32
	v_mov_b32_e32 v38, 0
	v_mov_b32_e32 v39, 0
	s_and_saveexec_b64 s[4:5], vcc
	s_cbranch_execz .LBB929_135
; %bb.130:                              ;   in Loop: Header=BB929_15 Depth=1
	v_lshrrev_b32_e32 v34, 24, v32
	v_cmp_ne_u32_e32 vcc, s15, v34
	v_mov_b32_e32 v39, 0xffff8000
	s_and_saveexec_b64 s[10:11], vcc
	s_cbranch_execz .LBB929_134
; %bb.131:                              ;   in Loop: Header=BB929_15 Depth=1
	v_bfe_u32 v32, v32, 24, 7
	v_cmp_ne_u32_e32 vcc, s16, v32
	v_mov_b32_e32 v39, 0x7f80
	s_and_saveexec_b64 s[12:13], vcc
	s_cbranch_execz .LBB929_133
; %bb.132:                              ;   in Loop: Header=BB929_15 Depth=1
	v_and_b32_e32 v39, 7, v34
	v_ffbh_u32_e32 v40, v39
	v_min_u32_e32 v43, 32, v40
	v_subrev_u32_e32 v40, 28, v43
	v_lshlrev_b64 v[40:41], v40, v[34:35]
	v_lshrrev_b32_e32 v42, 3, v32
	v_sub_u32_e32 v41, 29, v43
	v_and_b32_e32 v40, 7, v40
	v_cmp_gt_u32_e32 vcc, 8, v32
	v_cndmask_b32_e32 v32, v42, v41, vcc
	v_cndmask_b32_e32 v39, v39, v40, vcc
	v_lshlrev_b32_e32 v34, 24, v34
	v_lshlrev_b32_e32 v39, 20, v39
	v_and_b32_e32 v34, 0x80000000, v34
	v_lshl_add_u32 v32, v32, 23, v33
	v_or3_b32 v32, v34, v32, v39
	v_lshrrev_b32_e32 v39, 16, v32
.LBB929_133:                            ;   in Loop: Header=BB929_15 Depth=1
	s_or_b64 exec, exec, s[12:13]
.LBB929_134:                            ;   in Loop: Header=BB929_15 Depth=1
	s_or_b64 exec, exec, s[10:11]
.LBB929_135:                            ;   in Loop: Header=BB929_15 Depth=1
	s_or_b64 exec, exec, s[4:5]
	s_waitcnt vmcnt(2)
	v_cmp_ne_u16_sdwa s[10:11], v30, v31 src0_sel:BYTE_0 src1_sel:DWORD
	s_and_saveexec_b64 s[4:5], s[10:11]
	s_cbranch_execz .LBB929_141
; %bb.136:                              ;   in Loop: Header=BB929_15 Depth=1
	v_cmp_ne_u16_sdwa s[12:13], v30, s15 src0_sel:BYTE_0 src1_sel:DWORD
	v_mov_b32_e32 v38, 0xffff8000
	s_and_saveexec_b64 s[10:11], s[12:13]
	s_cbranch_execz .LBB929_140
; %bb.137:                              ;   in Loop: Header=BB929_15 Depth=1
	v_and_b32_e32 v32, 0x7f, v30
	v_cmp_ne_u32_e32 vcc, s16, v32
	v_mov_b32_e32 v38, 0x7f80
	s_and_saveexec_b64 s[12:13], vcc
	s_cbranch_execz .LBB929_139
; %bb.138:                              ;   in Loop: Header=BB929_15 Depth=1
	v_and_b32_e32 v34, 7, v30
	v_ffbh_u32_e32 v40, v34
	v_min_u32_e32 v42, 32, v40
	v_subrev_u32_e32 v40, 28, v42
	v_lshlrev_b64 v[40:41], v40, v[30:31]
	v_lshrrev_b32_e32 v38, 3, v32
	v_sub_u32_e32 v41, 29, v42
	v_and_b32_e32 v40, 7, v40
	v_cmp_gt_u32_e32 vcc, 8, v32
	v_cndmask_b32_e32 v32, v38, v41, vcc
	v_cndmask_b32_e32 v34, v34, v40, vcc
	v_lshlrev_b32_e32 v38, 24, v30
	v_lshlrev_b32_e32 v34, 20, v34
	v_and_b32_e32 v38, 0x80000000, v38
	v_lshl_add_u32 v32, v32, 23, v33
	v_or3_b32 v32, v38, v32, v34
	v_lshrrev_b32_e32 v38, 16, v32
.LBB929_139:                            ;   in Loop: Header=BB929_15 Depth=1
	s_or_b64 exec, exec, s[12:13]
.LBB929_140:                            ;   in Loop: Header=BB929_15 Depth=1
	s_or_b64 exec, exec, s[10:11]
.LBB929_141:                            ;   in Loop: Header=BB929_15 Depth=1
	s_or_b64 exec, exec, s[4:5]
	v_lshrrev_b16_e32 v32, 8, v30
	v_cmp_ne_u16_e32 vcc, 0, v32
	v_mov_b32_e32 v41, 0
	v_mov_b32_e32 v40, 0
	s_and_saveexec_b64 s[4:5], vcc
	s_cbranch_execz .LBB929_147
; %bb.142:                              ;   in Loop: Header=BB929_15 Depth=1
	v_cmp_ne_u16_e32 vcc, s15, v32
	v_mov_b32_e32 v40, 0xffff8000
	s_and_saveexec_b64 s[10:11], vcc
	s_cbranch_execz .LBB929_146
; %bb.143:                              ;   in Loop: Header=BB929_15 Depth=1
	v_and_b32_e32 v34, 0x7f, v32
	v_cmp_ne_u32_e32 vcc, s16, v34
	v_mov_b32_e32 v40, 0x7f80
	s_and_saveexec_b64 s[12:13], vcc
	s_cbranch_execz .LBB929_145
; %bb.144:                              ;   in Loop: Header=BB929_15 Depth=1
	v_and_b32_e32 v40, 7, v32
	v_ffbh_u32_e32 v42, v40
	v_min_u32_e32 v45, 32, v42
	v_subrev_u32_e32 v42, 28, v45
	v_lshlrev_b64 v[42:43], v42, v[32:33]
	v_lshrrev_b32_e32 v44, 3, v34
	v_sub_u32_e32 v32, 29, v45
	v_and_b32_e32 v42, 7, v42
	v_cmp_gt_u32_e32 vcc, 8, v34
	v_cndmask_b32_e32 v32, v44, v32, vcc
	v_cndmask_b32_e32 v34, v40, v42, vcc
	v_lshlrev_b32_e32 v40, 16, v30
	v_lshlrev_b32_e32 v34, 20, v34
	v_and_b32_e32 v40, 0x80000000, v40
	v_lshl_add_u32 v32, v32, 23, v33
	v_or3_b32 v32, v40, v32, v34
	v_lshrrev_b32_e32 v40, 16, v32
.LBB929_145:                            ;   in Loop: Header=BB929_15 Depth=1
	s_or_b64 exec, exec, s[12:13]
.LBB929_146:                            ;   in Loop: Header=BB929_15 Depth=1
	s_or_b64 exec, exec, s[10:11]
.LBB929_147:                            ;   in Loop: Header=BB929_15 Depth=1
	s_or_b64 exec, exec, s[4:5]
	v_lshrrev_b32_e32 v32, 16, v30
	v_cmp_ne_u16_sdwa s[10:11], v32, v31 src0_sel:BYTE_0 src1_sel:DWORD
	s_and_saveexec_b64 s[4:5], s[10:11]
	s_cbranch_execz .LBB929_153
; %bb.148:                              ;   in Loop: Header=BB929_15 Depth=1
	v_cmp_ne_u16_sdwa s[12:13], v32, s15 src0_sel:BYTE_0 src1_sel:DWORD
	v_mov_b32_e32 v41, 0xffff8000
	s_and_saveexec_b64 s[10:11], s[12:13]
	s_cbranch_execz .LBB929_152
; %bb.149:                              ;   in Loop: Header=BB929_15 Depth=1
	v_bfe_u32 v34, v30, 16, 7
	v_cmp_ne_u32_e32 vcc, s16, v34
	v_mov_b32_e32 v41, 0x7f80
	s_and_saveexec_b64 s[12:13], vcc
	s_cbranch_execz .LBB929_151
; %bb.150:                              ;   in Loop: Header=BB929_15 Depth=1
	v_and_b32_e32 v41, 7, v32
	v_ffbh_u32_e32 v42, v41
	v_min_u32_e32 v45, 32, v42
	v_subrev_u32_e32 v42, 28, v45
	v_lshlrev_b64 v[42:43], v42, v[32:33]
	v_lshrrev_b32_e32 v44, 3, v34
	v_sub_u32_e32 v43, 29, v45
	v_and_b32_e32 v42, 7, v42
	v_cmp_gt_u32_e32 vcc, 8, v34
	v_cndmask_b32_e32 v34, v44, v43, vcc
	v_cndmask_b32_e32 v41, v41, v42, vcc
	v_lshlrev_b32_e32 v32, 24, v32
	v_lshlrev_b32_e32 v41, 20, v41
	v_and_b32_e32 v32, 0x80000000, v32
	v_lshl_add_u32 v34, v34, 23, v33
	v_or3_b32 v32, v32, v34, v41
	v_lshrrev_b32_e32 v41, 16, v32
.LBB929_151:                            ;   in Loop: Header=BB929_15 Depth=1
	s_or_b64 exec, exec, s[12:13]
.LBB929_152:                            ;   in Loop: Header=BB929_15 Depth=1
	s_or_b64 exec, exec, s[10:11]
.LBB929_153:                            ;   in Loop: Header=BB929_15 Depth=1
	s_or_b64 exec, exec, s[4:5]
	v_cmp_lt_u32_e32 vcc, s17, v30
	v_mov_b32_e32 v34, 0
	v_mov_b32_e32 v42, 0
	s_and_saveexec_b64 s[4:5], vcc
	s_cbranch_execz .LBB929_159
; %bb.154:                              ;   in Loop: Header=BB929_15 Depth=1
	v_lshrrev_b32_e32 v32, 24, v30
	v_cmp_ne_u32_e32 vcc, s15, v32
	v_mov_b32_e32 v42, 0xffff8000
	s_and_saveexec_b64 s[10:11], vcc
	s_cbranch_execz .LBB929_158
; %bb.155:                              ;   in Loop: Header=BB929_15 Depth=1
	v_bfe_u32 v30, v30, 24, 7
	v_cmp_ne_u32_e32 vcc, s16, v30
	v_mov_b32_e32 v42, 0x7f80
	s_and_saveexec_b64 s[12:13], vcc
	s_cbranch_execz .LBB929_157
; %bb.156:                              ;   in Loop: Header=BB929_15 Depth=1
	v_and_b32_e32 v44, 7, v32
	v_ffbh_u32_e32 v42, v44
	v_min_u32_e32 v46, 32, v42
	v_subrev_u32_e32 v42, 28, v46
	v_lshlrev_b64 v[42:43], v42, v[32:33]
	v_lshrrev_b32_e32 v45, 3, v30
	v_sub_u32_e32 v43, 29, v46
	v_and_b32_e32 v42, 7, v42
	v_cmp_gt_u32_e32 vcc, 8, v30
	v_cndmask_b32_e32 v30, v45, v43, vcc
	v_cndmask_b32_e32 v42, v44, v42, vcc
	v_lshlrev_b32_e32 v32, 24, v32
	v_lshlrev_b32_e32 v42, 20, v42
	v_and_b32_e32 v32, 0x80000000, v32
	v_lshl_add_u32 v30, v30, 23, v33
	v_or3_b32 v30, v32, v30, v42
	v_lshrrev_b32_e32 v42, 16, v30
.LBB929_157:                            ;   in Loop: Header=BB929_15 Depth=1
	s_or_b64 exec, exec, s[12:13]
.LBB929_158:                            ;   in Loop: Header=BB929_15 Depth=1
	s_or_b64 exec, exec, s[10:11]
.LBB929_159:                            ;   in Loop: Header=BB929_15 Depth=1
	s_or_b64 exec, exec, s[4:5]
	v_perm_b32 v37, v39, v37, s18
	v_perm_b32 v36, v36, v23, s18
	s_waitcnt vmcnt(1)
	v_cmp_ne_u16_sdwa s[10:11], v28, v31 src0_sel:BYTE_0 src1_sel:DWORD
	v_mfma_f32_16x16x16bf16_1k v[18:21], v[36:37], v[10:11], v[18:21]
	v_perm_b32 v37, v42, v41, s18
	v_perm_b32 v36, v40, v38, s18
	s_nop 1
	v_mfma_f32_16x16x16bf16_1k v[18:21], v[36:37], v[12:13], v[18:21]
	s_and_saveexec_b64 s[4:5], s[10:11]
	s_cbranch_execz .LBB929_165
; %bb.160:                              ;   in Loop: Header=BB929_15 Depth=1
	v_cmp_ne_u16_sdwa s[12:13], v28, s15 src0_sel:BYTE_0 src1_sel:DWORD
	v_mov_b32_e32 v34, 0xffff8000
	s_and_saveexec_b64 s[10:11], s[12:13]
	s_cbranch_execz .LBB929_164
; %bb.161:                              ;   in Loop: Header=BB929_15 Depth=1
	v_and_b32_e32 v23, 0x7f, v28
	v_cmp_ne_u32_e32 vcc, s16, v23
	v_mov_b32_e32 v34, 0x7f80
	s_and_saveexec_b64 s[12:13], vcc
	s_cbranch_execz .LBB929_163
; %bb.162:                              ;   in Loop: Header=BB929_15 Depth=1
	v_and_b32_e32 v30, 7, v28
	v_ffbh_u32_e32 v34, v30
	v_min_u32_e32 v34, 32, v34
	v_subrev_u32_e32 v36, 28, v34
	v_lshlrev_b64 v[36:37], v36, v[28:29]
	v_lshrrev_b32_e32 v32, 3, v23
	v_sub_u32_e32 v34, 29, v34
	v_and_b32_e32 v36, 7, v36
	v_cmp_gt_u32_e32 vcc, 8, v23
	v_cndmask_b32_e32 v23, v32, v34, vcc
	v_cndmask_b32_e32 v30, v30, v36, vcc
	v_lshlrev_b32_e32 v32, 24, v28
	v_lshlrev_b32_e32 v30, 20, v30
	v_and_b32_e32 v32, 0x80000000, v32
	v_lshl_add_u32 v23, v23, 23, v33
	v_or3_b32 v23, v32, v23, v30
	v_lshrrev_b32_e32 v34, 16, v23
.LBB929_163:                            ;   in Loop: Header=BB929_15 Depth=1
	s_or_b64 exec, exec, s[12:13]
.LBB929_164:                            ;   in Loop: Header=BB929_15 Depth=1
	s_or_b64 exec, exec, s[10:11]
.LBB929_165:                            ;   in Loop: Header=BB929_15 Depth=1
	s_or_b64 exec, exec, s[4:5]
	v_lshrrev_b16_e32 v30, 8, v28
	v_cmp_ne_u16_e32 vcc, 0, v30
	v_mov_b32_e32 v32, 0
	v_mov_b32_e32 v23, 0
	s_and_saveexec_b64 s[4:5], vcc
	s_cbranch_execz .LBB929_171
; %bb.166:                              ;   in Loop: Header=BB929_15 Depth=1
	v_cmp_ne_u16_e32 vcc, s15, v30
	v_mov_b32_e32 v23, 0xffff8000
	s_and_saveexec_b64 s[10:11], vcc
	s_cbranch_execz .LBB929_170
; %bb.167:                              ;   in Loop: Header=BB929_15 Depth=1
	v_and_b32_e32 v36, 0x7f, v30
	v_cmp_ne_u32_e32 vcc, s16, v36
	v_mov_b32_e32 v23, 0x7f80
	s_and_saveexec_b64 s[12:13], vcc
	s_cbranch_execz .LBB929_169
; %bb.168:                              ;   in Loop: Header=BB929_15 Depth=1
	v_and_b32_e32 v23, 7, v30
	v_ffbh_u32_e32 v38, v23
	v_min_u32_e32 v40, 32, v38
	v_subrev_u32_e32 v38, 28, v40
	v_lshlrev_b64 v[38:39], v38, v[30:31]
	v_lshrrev_b32_e32 v37, 3, v36
	v_sub_u32_e32 v30, 29, v40
	v_and_b32_e32 v38, 7, v38
	v_cmp_gt_u32_e32 vcc, 8, v36
	v_cndmask_b32_e32 v30, v37, v30, vcc
	v_cndmask_b32_e32 v23, v23, v38, vcc
	v_lshlrev_b32_e32 v36, 16, v28
	v_lshlrev_b32_e32 v23, 20, v23
	v_and_b32_e32 v36, 0x80000000, v36
	v_lshl_add_u32 v30, v30, 23, v33
	v_or3_b32 v23, v36, v30, v23
	v_lshrrev_b32_e32 v23, 16, v23
.LBB929_169:                            ;   in Loop: Header=BB929_15 Depth=1
	s_or_b64 exec, exec, s[12:13]
.LBB929_170:                            ;   in Loop: Header=BB929_15 Depth=1
	s_or_b64 exec, exec, s[10:11]
.LBB929_171:                            ;   in Loop: Header=BB929_15 Depth=1
	s_or_b64 exec, exec, s[4:5]
	v_lshrrev_b32_e32 v30, 16, v28
	v_cmp_ne_u16_sdwa s[10:11], v30, v31 src0_sel:BYTE_0 src1_sel:DWORD
	s_and_saveexec_b64 s[4:5], s[10:11]
	s_cbranch_execz .LBB929_177
; %bb.172:                              ;   in Loop: Header=BB929_15 Depth=1
	v_cmp_ne_u16_sdwa s[12:13], v30, s15 src0_sel:BYTE_0 src1_sel:DWORD
	v_mov_b32_e32 v32, 0xffff8000
	s_and_saveexec_b64 s[10:11], s[12:13]
	s_cbranch_execz .LBB929_176
; %bb.173:                              ;   in Loop: Header=BB929_15 Depth=1
	v_bfe_u32 v36, v28, 16, 7
	v_cmp_ne_u32_e32 vcc, s16, v36
	v_mov_b32_e32 v32, 0x7f80
	s_and_saveexec_b64 s[12:13], vcc
	s_cbranch_execz .LBB929_175
; %bb.174:                              ;   in Loop: Header=BB929_15 Depth=1
	v_and_b32_e32 v32, 7, v30
	v_ffbh_u32_e32 v38, v32
	v_min_u32_e32 v40, 32, v38
	v_subrev_u32_e32 v38, 28, v40
	v_lshlrev_b64 v[38:39], v38, v[30:31]
	v_lshrrev_b32_e32 v37, 3, v36
	v_sub_u32_e32 v39, 29, v40
	v_and_b32_e32 v38, 7, v38
	v_cmp_gt_u32_e32 vcc, 8, v36
	v_cndmask_b32_e32 v36, v37, v39, vcc
	v_cndmask_b32_e32 v32, v32, v38, vcc
	v_lshlrev_b32_e32 v30, 24, v30
	v_lshlrev_b32_e32 v32, 20, v32
	v_and_b32_e32 v30, 0x80000000, v30
	v_lshl_add_u32 v36, v36, 23, v33
	v_or3_b32 v30, v30, v36, v32
	v_lshrrev_b32_e32 v32, 16, v30
.LBB929_175:                            ;   in Loop: Header=BB929_15 Depth=1
	s_or_b64 exec, exec, s[12:13]
.LBB929_176:                            ;   in Loop: Header=BB929_15 Depth=1
	s_or_b64 exec, exec, s[10:11]
.LBB929_177:                            ;   in Loop: Header=BB929_15 Depth=1
	s_or_b64 exec, exec, s[4:5]
	v_cmp_lt_u32_e32 vcc, s17, v28
	v_mov_b32_e32 v36, 0
	v_mov_b32_e32 v37, 0
	s_and_saveexec_b64 s[4:5], vcc
	s_cbranch_execz .LBB929_183
; %bb.178:                              ;   in Loop: Header=BB929_15 Depth=1
	v_lshrrev_b32_e32 v30, 24, v28
	v_cmp_ne_u32_e32 vcc, s15, v30
	v_mov_b32_e32 v37, 0xffff8000
	s_and_saveexec_b64 s[10:11], vcc
	s_cbranch_execz .LBB929_182
; %bb.179:                              ;   in Loop: Header=BB929_15 Depth=1
	v_bfe_u32 v28, v28, 24, 7
	v_cmp_ne_u32_e32 vcc, s16, v28
	v_mov_b32_e32 v37, 0x7f80
	s_and_saveexec_b64 s[12:13], vcc
	s_cbranch_execz .LBB929_181
; %bb.180:                              ;   in Loop: Header=BB929_15 Depth=1
	v_and_b32_e32 v37, 7, v30
	v_ffbh_u32_e32 v38, v37
	v_min_u32_e32 v41, 32, v38
	v_subrev_u32_e32 v38, 28, v41
	v_lshlrev_b64 v[38:39], v38, v[30:31]
	v_lshrrev_b32_e32 v40, 3, v28
	v_sub_u32_e32 v39, 29, v41
	v_and_b32_e32 v38, 7, v38
	v_cmp_gt_u32_e32 vcc, 8, v28
	v_cndmask_b32_e32 v28, v40, v39, vcc
	v_cndmask_b32_e32 v37, v37, v38, vcc
	v_lshlrev_b32_e32 v30, 24, v30
	v_lshlrev_b32_e32 v37, 20, v37
	v_and_b32_e32 v30, 0x80000000, v30
	v_lshl_add_u32 v28, v28, 23, v33
	v_or3_b32 v28, v30, v28, v37
	v_lshrrev_b32_e32 v37, 16, v28
.LBB929_181:                            ;   in Loop: Header=BB929_15 Depth=1
	s_or_b64 exec, exec, s[12:13]
.LBB929_182:                            ;   in Loop: Header=BB929_15 Depth=1
	s_or_b64 exec, exec, s[10:11]
.LBB929_183:                            ;   in Loop: Header=BB929_15 Depth=1
	s_or_b64 exec, exec, s[4:5]
	s_waitcnt vmcnt(0)
	v_cmp_ne_u16_sdwa s[10:11], v26, v31 src0_sel:BYTE_0 src1_sel:DWORD
	s_and_saveexec_b64 s[4:5], s[10:11]
	s_cbranch_execz .LBB929_189
; %bb.184:                              ;   in Loop: Header=BB929_15 Depth=1
	v_cmp_ne_u16_sdwa s[12:13], v26, s15 src0_sel:BYTE_0 src1_sel:DWORD
	v_mov_b32_e32 v36, 0xffff8000
	s_and_saveexec_b64 s[10:11], s[12:13]
	s_cbranch_execz .LBB929_188
; %bb.185:                              ;   in Loop: Header=BB929_15 Depth=1
	v_and_b32_e32 v28, 0x7f, v26
	v_cmp_ne_u32_e32 vcc, s16, v28
	v_mov_b32_e32 v36, 0x7f80
	s_and_saveexec_b64 s[12:13], vcc
	s_cbranch_execz .LBB929_187
; %bb.186:                              ;   in Loop: Header=BB929_15 Depth=1
	v_and_b32_e32 v30, 7, v26
	v_ffbh_u32_e32 v38, v30
	v_min_u32_e32 v40, 32, v38
	v_subrev_u32_e32 v38, 28, v40
	v_lshlrev_b64 v[38:39], v38, v[26:27]
	v_lshrrev_b32_e32 v36, 3, v28
	v_sub_u32_e32 v39, 29, v40
	v_and_b32_e32 v38, 7, v38
	v_cmp_gt_u32_e32 vcc, 8, v28
	v_cndmask_b32_e32 v28, v36, v39, vcc
	v_cndmask_b32_e32 v30, v30, v38, vcc
	v_lshlrev_b32_e32 v36, 24, v26
	v_lshlrev_b32_e32 v30, 20, v30
	v_and_b32_e32 v36, 0x80000000, v36
	v_lshl_add_u32 v28, v28, 23, v33
	v_or3_b32 v28, v36, v28, v30
	v_lshrrev_b32_e32 v36, 16, v28
.LBB929_187:                            ;   in Loop: Header=BB929_15 Depth=1
	s_or_b64 exec, exec, s[12:13]
.LBB929_188:                            ;   in Loop: Header=BB929_15 Depth=1
	s_or_b64 exec, exec, s[10:11]
.LBB929_189:                            ;   in Loop: Header=BB929_15 Depth=1
	s_or_b64 exec, exec, s[4:5]
	v_lshrrev_b16_e32 v28, 8, v26
	v_cmp_ne_u16_e32 vcc, 0, v28
	v_mov_b32_e32 v38, 0
	v_mov_b32_e32 v30, 0
	s_and_saveexec_b64 s[4:5], vcc
	s_cbranch_execz .LBB929_195
; %bb.190:                              ;   in Loop: Header=BB929_15 Depth=1
	v_cmp_ne_u16_e32 vcc, s15, v28
	v_mov_b32_e32 v30, 0xffff8000
	s_and_saveexec_b64 s[10:11], vcc
	s_cbranch_execz .LBB929_194
; %bb.191:                              ;   in Loop: Header=BB929_15 Depth=1
	v_and_b32_e32 v39, 0x7f, v28
	v_cmp_ne_u32_e32 vcc, s16, v39
	v_mov_b32_e32 v30, 0x7f80
	s_and_saveexec_b64 s[12:13], vcc
	s_cbranch_execz .LBB929_193
; %bb.192:                              ;   in Loop: Header=BB929_15 Depth=1
	v_and_b32_e32 v30, 7, v28
	v_ffbh_u32_e32 v40, v30
	v_min_u32_e32 v43, 32, v40
	v_subrev_u32_e32 v40, 28, v43
	v_lshlrev_b64 v[40:41], v40, v[28:29]
	v_lshrrev_b32_e32 v42, 3, v39
	v_sub_u32_e32 v28, 29, v43
	v_and_b32_e32 v40, 7, v40
	v_cmp_gt_u32_e32 vcc, 8, v39
	v_cndmask_b32_e32 v28, v42, v28, vcc
	v_cndmask_b32_e32 v30, v30, v40, vcc
	v_lshlrev_b32_e32 v39, 16, v26
	v_lshlrev_b32_e32 v30, 20, v30
	v_and_b32_e32 v39, 0x80000000, v39
	v_lshl_add_u32 v28, v28, 23, v33
	v_or3_b32 v28, v39, v28, v30
	v_lshrrev_b32_e32 v30, 16, v28
.LBB929_193:                            ;   in Loop: Header=BB929_15 Depth=1
	s_or_b64 exec, exec, s[12:13]
.LBB929_194:                            ;   in Loop: Header=BB929_15 Depth=1
	s_or_b64 exec, exec, s[10:11]
.LBB929_195:                            ;   in Loop: Header=BB929_15 Depth=1
	s_or_b64 exec, exec, s[4:5]
	v_lshrrev_b32_e32 v28, 16, v26
	v_cmp_ne_u16_sdwa s[10:11], v28, v31 src0_sel:BYTE_0 src1_sel:DWORD
	s_and_saveexec_b64 s[4:5], s[10:11]
	s_cbranch_execz .LBB929_201
; %bb.196:                              ;   in Loop: Header=BB929_15 Depth=1
	v_cmp_ne_u16_sdwa s[12:13], v28, s15 src0_sel:BYTE_0 src1_sel:DWORD
	v_mov_b32_e32 v38, 0xffff8000
	s_and_saveexec_b64 s[10:11], s[12:13]
	s_cbranch_execz .LBB929_200
; %bb.197:                              ;   in Loop: Header=BB929_15 Depth=1
	v_bfe_u32 v39, v26, 16, 7
	v_cmp_ne_u32_e32 vcc, s16, v39
	v_mov_b32_e32 v38, 0x7f80
	s_and_saveexec_b64 s[12:13], vcc
	s_cbranch_execz .LBB929_199
; %bb.198:                              ;   in Loop: Header=BB929_15 Depth=1
	v_and_b32_e32 v38, 7, v28
	v_ffbh_u32_e32 v40, v38
	v_min_u32_e32 v43, 32, v40
	v_subrev_u32_e32 v40, 28, v43
	v_lshlrev_b64 v[40:41], v40, v[28:29]
	v_lshrrev_b32_e32 v42, 3, v39
	v_sub_u32_e32 v41, 29, v43
	v_and_b32_e32 v40, 7, v40
	v_cmp_gt_u32_e32 vcc, 8, v39
	v_cndmask_b32_e32 v39, v42, v41, vcc
	v_cndmask_b32_e32 v38, v38, v40, vcc
	v_lshlrev_b32_e32 v28, 24, v28
	v_lshlrev_b32_e32 v38, 20, v38
	v_and_b32_e32 v28, 0x80000000, v28
	v_lshl_add_u32 v39, v39, 23, v33
	v_or3_b32 v28, v28, v39, v38
	v_lshrrev_b32_e32 v38, 16, v28
.LBB929_199:                            ;   in Loop: Header=BB929_15 Depth=1
	s_or_b64 exec, exec, s[12:13]
.LBB929_200:                            ;   in Loop: Header=BB929_15 Depth=1
	s_or_b64 exec, exec, s[10:11]
.LBB929_201:                            ;   in Loop: Header=BB929_15 Depth=1
	s_or_b64 exec, exec, s[4:5]
	v_cmp_lt_u32_e32 vcc, s17, v26
	v_mov_b32_e32 v39, 0
	s_and_saveexec_b64 s[4:5], vcc
	s_cbranch_execz .LBB929_14
; %bb.202:                              ;   in Loop: Header=BB929_15 Depth=1
	v_lshrrev_b32_e32 v28, 24, v26
	v_cmp_ne_u32_e32 vcc, s15, v28
	v_mov_b32_e32 v39, 0xffff8000
	s_and_saveexec_b64 s[10:11], vcc
	s_cbranch_execz .LBB929_13
; %bb.203:                              ;   in Loop: Header=BB929_15 Depth=1
	v_bfe_u32 v26, v26, 24, 7
	v_cmp_ne_u32_e32 vcc, s16, v26
	v_mov_b32_e32 v39, 0x7f80
	s_and_saveexec_b64 s[12:13], vcc
	s_cbranch_execz .LBB929_12
; %bb.204:                              ;   in Loop: Header=BB929_15 Depth=1
	v_and_b32_e32 v39, 7, v28
	v_ffbh_u32_e32 v40, v39
	v_min_u32_e32 v43, 32, v40
	v_subrev_u32_e32 v40, 28, v43
	v_lshlrev_b64 v[40:41], v40, v[28:29]
	v_lshrrev_b32_e32 v42, 3, v26
	v_sub_u32_e32 v41, 29, v43
	v_and_b32_e32 v40, 7, v40
	v_cmp_gt_u32_e32 vcc, 8, v26
	v_cndmask_b32_e32 v26, v42, v41, vcc
	v_cndmask_b32_e32 v39, v39, v40, vcc
	v_lshlrev_b32_e32 v28, 24, v28
	v_lshlrev_b32_e32 v39, 20, v39
	v_and_b32_e32 v28, 0x80000000, v28
	v_lshl_add_u32 v26, v26, 23, v33
	v_or3_b32 v26, v28, v26, v39
	v_lshrrev_b32_e32 v39, 16, v26
	s_branch .LBB929_12
.LBB929_205:
	buffer_load_dword v13, off, s[0:3], 0 offset:256
	buffer_load_dword v14, off, s[0:3], 0 offset:260
	;; [unrolled: 1-line block ×16, first 2 shown]
	v_and_b32_e32 v12, 0xc0, v0
	v_add_u32_e32 v12, s20, v12
	v_lshl_or_b32 v12, v65, 2, v12
	v_or_b32_e32 v23, 1, v12
	v_mov_b32_e32 v19, 0xff7fffff
	v_or_b32_e32 v24, 2, v12
	v_or_b32_e32 v25, 3, v12
	v_cmp_gt_i32_e64 s[28:29], s33, v12
	v_cmp_gt_i32_e64 s[30:31], s33, v23
	s_mov_b32 s48, 0xff7fffff
	v_or_b32_e32 v26, 16, v12
	v_or_b32_e32 v27, 17, v12
	;; [unrolled: 1-line block ×12, first 2 shown]
	v_cmp_gt_i32_e64 s[34:35], s33, v24
	v_cmp_gt_i32_e64 s[36:37], s33, v25
	v_mbcnt_lo_u32_b32 v20, -1, 0
	v_cmp_gt_i32_e64 s[38:39], s33, v26
	v_cmp_gt_i32_e64 s[40:41], s33, v27
	v_mbcnt_hi_u32_b32 v20, -1, v20
	v_cmp_gt_i32_e64 s[22:23], s33, v28
	v_cmp_gt_i32_e64 s[24:25], s33, v29
	v_and_b32_e32 v21, 64, v20
	v_cmp_gt_i32_e64 s[18:19], s33, v30
	v_cmp_gt_i32_e64 s[20:21], s33, v31
	v_xor_b32_e32 v22, 32, v20
	v_add_u32_e32 v21, 64, v21
	v_cmp_gt_i32_e64 s[14:15], s33, v32
	v_cmp_gt_i32_e64 s[16:17], s33, v33
	v_cmp_lt_i32_e32 vcc, v22, v21
	v_cmp_gt_i32_e64 s[10:11], s33, v34
	v_cmp_gt_i32_e64 s[12:13], s33, v36
	v_cndmask_b32_e32 v22, v20, v22, vcc
	v_cmp_gt_i32_e32 vcc, s33, v37
	v_cmp_gt_i32_e64 s[4:5], s33, v38
	v_lshlrev_b32_e32 v22, 2, v22
	s_waitcnt vmcnt(15)
	v_cndmask_b32_e64 v12, v19, v13, s[28:29]
	s_waitcnt vmcnt(14)
	v_cndmask_b32_e64 v23, v19, v14, s[30:31]
	;; [unrolled: 2-line block ×4, first 2 shown]
	v_max3_f32 v12, v12, s48, v23
	s_waitcnt vmcnt(11)
	v_cndmask_b32_e64 v26, v19, v17, s[38:39]
	s_waitcnt vmcnt(10)
	v_cndmask_b32_e64 v27, v19, v18, s[40:41]
	v_max3_f32 v12, v12, v24, v25
	s_waitcnt vmcnt(9)
	v_cndmask_b32_e64 v28, v19, v11, s[22:23]
	s_waitcnt vmcnt(8)
	v_cndmask_b32_e64 v29, v19, v10, s[24:25]
	;; [unrolled: 5-line block ×5, first 2 shown]
	v_max3_f32 v12, v12, v32, v33
	s_waitcnt vmcnt(1)
	v_cndmask_b32_e32 v37, v19, v3, vcc
	s_waitcnt vmcnt(0)
	v_cndmask_b32_e64 v19, v19, v2, s[4:5]
	v_max3_f32 v12, v12, v34, v36
	v_max3_f32 v12, v12, v37, v19
	ds_bpermute_b32 v19, v22, v12
	v_xor_b32_e32 v23, 16, v20
	v_cmp_lt_i32_e64 s[42:43], v23, v21
	v_cndmask_b32_e64 v20, v20, v23, s[42:43]
	v_lshlrev_b32_e32 v20, 2, v20
	s_waitcnt lgkmcnt(0)
	v_max_f32_e32 v19, v19, v19
	v_max_f32_e32 v12, v12, v19
	ds_bpermute_b32 v19, v20, v12
	s_waitcnt lgkmcnt(0)
	v_max_f32_e32 v19, v19, v19
	v_max_f32_e32 v12, v12, v19
	v_sub_f32_e32 v13, v13, v12
	v_sub_f32_e32 v14, v14, v12
	;; [unrolled: 1-line block ×3, first 2 shown]
	v_mul_f32_e32 v13, 0x3fb8aa3b, v13
	v_mul_f32_e32 v14, 0x3fb8aa3b, v14
	;; [unrolled: 1-line block ×3, first 2 shown]
	v_exp_f32_e32 v13, v13
	v_exp_f32_e32 v14, v14
	v_exp_f32_e32 v15, v15
	v_sub_f32_e32 v16, v16, v12
	v_cndmask_b32_e64 v13, 0, v13, s[28:29]
	v_mul_f32_e32 v16, 0x3fb8aa3b, v16
	v_cndmask_b32_e64 v14, 0, v14, s[30:31]
	v_cndmask_b32_e64 v15, 0, v15, s[34:35]
	v_add_f32_e32 v19, 0, v13
	buffer_store_dword v13, off, s[0:3], 0 offset:256
	buffer_store_dword v14, off, s[0:3], 0 offset:260
	;; [unrolled: 1-line block ×3, first 2 shown]
	v_sub_f32_e32 v13, v17, v12
	v_exp_f32_e32 v16, v16
	v_add_f32_e32 v19, v19, v14
	v_mul_f32_e32 v13, 0x3fb8aa3b, v13
	v_sub_f32_e32 v14, v18, v12
	v_exp_f32_e32 v13, v13
	v_mul_f32_e32 v14, 0x3fb8aa3b, v14
	v_sub_f32_e32 v11, v11, v12
	v_exp_f32_e32 v14, v14
	;; [unrolled: 3-line block ×3, first 2 shown]
	v_mul_f32_e32 v10, 0x3fb8aa3b, v10
	v_sub_f32_e32 v9, v9, v12
	v_cndmask_b32_e64 v16, 0, v16, s[36:37]
	v_add_f32_e32 v19, v19, v15
	v_exp_f32_e32 v10, v10
	v_mul_f32_e32 v9, 0x3fb8aa3b, v9
	v_sub_f32_e32 v8, v8, v12
	v_add_f32_e32 v19, v19, v16
	v_cndmask_b32_e64 v13, 0, v13, s[38:39]
	v_exp_f32_e32 v9, v9
	v_mul_f32_e32 v8, 0x3fb8aa3b, v8
	v_sub_f32_e32 v7, v7, v12
	v_add_f32_e32 v15, v19, v13
	v_cndmask_b32_e64 v14, 0, v14, s[40:41]
	;; [unrolled: 5-line block ×5, first 2 shown]
	v_exp_f32_e32 v5, v5
	v_mul_f32_e32 v4, 0x3fb8aa3b, v4
	v_sub_f32_e32 v3, v3, v12
	buffer_store_dword v16, off, s[0:3], 0 offset:268
	buffer_store_dword v13, off, s[0:3], 0 offset:272
	;; [unrolled: 1-line block ×5, first 2 shown]
	v_add_f32_e32 v10, v15, v9
	v_cndmask_b32_e64 v8, 0, v8, s[20:21]
	v_exp_f32_e32 v4, v4
	v_mul_f32_e32 v3, 0x3fb8aa3b, v3
	v_sub_f32_e32 v2, v2, v12
	v_add_f32_e32 v10, v10, v8
	v_cndmask_b32_e64 v7, 0, v7, s[14:15]
	v_exp_f32_e32 v3, v3
	v_mul_f32_e32 v2, 0x3fb8aa3b, v2
	v_add_f32_e32 v10, v10, v7
	v_cndmask_b32_e64 v6, 0, v6, s[16:17]
	v_exp_f32_e32 v2, v2
	v_add_f32_e32 v10, v10, v6
	v_cndmask_b32_e64 v5, 0, v5, s[10:11]
	buffer_store_dword v9, off, s[0:3], 0 offset:288
	buffer_store_dword v8, off, s[0:3], 0 offset:292
	;; [unrolled: 1-line block ×4, first 2 shown]
	v_add_f32_e32 v6, v10, v5
	v_cndmask_b32_e64 v4, 0, v4, s[12:13]
	v_add_f32_e32 v6, v6, v4
	v_cndmask_b32_e32 v3, 0, v3, vcc
	v_add_f32_e32 v6, v6, v3
	v_cndmask_b32_e64 v2, 0, v2, s[4:5]
	v_add_f32_e32 v6, v6, v2
	ds_bpermute_b32 v7, v22, v6
	buffer_store_dword v5, off, s[0:3], 0 offset:304
	buffer_store_dword v4, off, s[0:3], 0 offset:308
	;; [unrolled: 1-line block ×4, first 2 shown]
	v_cmp_gt_u32_e32 vcc, 16, v35
	s_waitcnt lgkmcnt(0)
	s_barrier
	v_add_f32_e32 v2, v6, v7
	ds_bpermute_b32 v3, v20, v2
	s_waitcnt lgkmcnt(0)
	s_and_saveexec_b64 s[4:5], vcc
	s_cbranch_execz .LBB929_207
; %bb.206:
	v_add_f32_e32 v2, v2, v3
	v_lshlrev_b32_e32 v3, 2, v67
	ds_write2st64_b32 v3, v12, v2 offset1:1
.LBB929_207:
	s_or_b64 exec, exec, s[4:5]
	v_lshlrev_b32_e32 v2, 2, v55
	s_waitcnt lgkmcnt(0)
	s_barrier
	ds_read2_b32 v[14:15], v2 offset1:16
	ds_read2_b32 v[16:17], v2 offset0:32 offset1:48
	ds_read2_b32 v[6:7], v2 offset0:64 offset1:80
	;; [unrolled: 1-line block ×3, first 2 shown]
	s_waitcnt lgkmcnt(0)
	s_barrier
	buffer_load_dword v22, off, s[0:3], 0 offset:264
	buffer_load_dword v23, off, s[0:3], 0 offset:268
	;; [unrolled: 1-line block ×16, first 2 shown]
	v_max3_f32 v20, v14, s48, v15
	v_max3_f32 v20, v20, v16, v17
	v_sub_f32_e32 v14, v14, v20
	v_sub_f32_e32 v15, v15, v20
	v_mul_f32_e32 v14, 0x3fb8aa3b, v14
	v_sub_f32_e32 v16, v16, v20
	v_mul_f32_e32 v15, 0x3fb8aa3b, v15
	v_exp_f32_e32 v14, v14
	v_sub_f32_e32 v17, v17, v20
	v_mul_f32_e32 v16, 0x3fb8aa3b, v16
	v_exp_f32_e32 v15, v15
	v_mul_f32_e32 v17, 0x3fb8aa3b, v17
	v_exp_f32_e32 v16, v16
	v_exp_f32_e32 v17, v17
	v_fma_f32 v6, v14, v6, 0
	v_fmac_f32_e32 v6, v15, v7
	v_fmac_f32_e32 v6, v16, v12
	;; [unrolled: 1-line block ×3, first 2 shown]
	v_cmp_eq_u32_e32 vcc, 1, v66
	v_add_f32_e32 v12, 0x358637bd, v6
	v_cndmask_b32_e32 v14, v14, v15, vcc
	v_cmp_eq_u32_e32 vcc, 2, v66
	v_div_scale_f32 v13, s[4:5], v12, v12, 1.0
	v_cndmask_b32_e32 v7, v14, v16, vcc
	v_rcp_f32_e32 v14, v13
	v_cmp_eq_u32_e32 vcc, 3, v66
	v_cndmask_b32_e32 v7, v7, v17, vcc
	v_div_scale_f32 v15, vcc, 1.0, v12, 1.0
	v_fma_f32 v16, -v13, v14, 1.0
	v_fmac_f32_e32 v14, v16, v14
	v_mul_f32_e32 v16, v15, v14
	v_fma_f32 v17, -v13, v16, v15
	v_fmac_f32_e32 v16, v17, v14
	v_fma_f32 v13, -v13, v16, v15
	v_div_fmas_f32 v13, v13, v14, v16
	v_div_fixup_f32 v12, v13, v12, 1.0
	v_mul_f32_e32 v12, v7, v12
	s_movk_i32 s21, 0x7fff
	s_mov_b32 s22, 0x7060302
	s_lshl_b32 s20, s55, 2
	v_cmp_gt_u32_e32 vcc, 4, v0
	s_waitcnt vmcnt(14)
	v_pk_mul_f32 v[14:15], v[12:13], v[22:23] op_sel_hi:[0,1]
	v_bfe_u32 v21, v15, 16, 1
	s_waitcnt vmcnt(12)
	v_pk_mul_f32 v[16:17], v[12:13], v[24:25] op_sel_hi:[0,1]
	v_bfe_u32 v7, v17, 16, 1
	v_bfe_u32 v13, v16, 16, 1
	;; [unrolled: 1-line block ×3, first 2 shown]
	v_add3_u32 v13, v16, v13, s21
	v_add3_u32 v7, v17, v7, s21
	buffer_store_dword v16, off, s[0:3], 0 offset:256
	buffer_store_dword v17, off, s[0:3], 0 offset:260
	;; [unrolled: 1-line block ×4, first 2 shown]
	v_add3_u32 v16, v14, v22, s21
	v_add3_u32 v15, v15, v21, s21
	v_perm_b32 v14, v7, v13, s22
	v_lshlrev_b32_e32 v13, 3, v65
	v_perm_b32 v15, v15, v16, s22
	v_lshlrev_b32_e32 v7, 5, v55
	v_lshlrev_b32_e32 v16, 11, v66
	s_waitcnt vmcnt(12)
	v_pk_mul_f32 v[8:9], v[12:13], v[8:9] op_sel_hi:[0,1]
	v_or3_b32 v39, v16, v7, v13
	v_pk_mul_f32 v[10:11], v[12:13], v[10:11] op_sel_hi:[0,1]
	v_bfe_u32 v13, v9, 16, 1
	v_bfe_u32 v16, v8, 16, 1
	buffer_store_dword v8, off, s[0:3], 0 offset:272
	buffer_store_dword v9, off, s[0:3], 0 offset:276
	;; [unrolled: 1-line block ×4, first 2 shown]
	v_add3_u32 v8, v8, v16, s21
	v_add3_u32 v9, v9, v13, s21
	v_perm_b32 v8, v9, v8, s22
	v_bfe_u32 v9, v11, 16, 1
	v_bfe_u32 v13, v10, 16, 1
	v_add3_u32 v10, v10, v13, s21
	v_add3_u32 v9, v11, v9, s21
	v_perm_b32 v9, v9, v10, s22
	s_waitcnt vmcnt(14)
	v_pk_mul_f32 v[10:11], v[12:13], v[18:19] op_sel_hi:[0,1]
	ds_write2st64_b64 v39, v[14:15], v[8:9] offset1:1
	s_waitcnt vmcnt(12)
	v_pk_mul_f32 v[8:9], v[12:13], v[26:27] op_sel_hi:[0,1]
	v_bfe_u32 v13, v11, 16, 1
	v_bfe_u32 v14, v10, 16, 1
	buffer_store_dword v10, off, s[0:3], 0 offset:288
	buffer_store_dword v11, off, s[0:3], 0 offset:292
	;; [unrolled: 1-line block ×4, first 2 shown]
	v_add3_u32 v10, v10, v14, s21
	v_add3_u32 v11, v11, v13, s21
	v_perm_b32 v10, v11, v10, s22
	v_bfe_u32 v11, v9, 16, 1
	v_bfe_u32 v13, v8, 16, 1
	v_add3_u32 v8, v8, v13, s21
	v_add3_u32 v9, v9, v11, s21
	s_waitcnt vmcnt(14)
	v_pk_mul_f32 v[2:3], v[12:13], v[2:3] op_sel_hi:[0,1]
	v_perm_b32 v11, v9, v8, s22
	v_bfe_u32 v8, v3, 16, 1
	v_bfe_u32 v9, v2, 16, 1
	s_waitcnt vmcnt(12)
	v_pk_mul_f32 v[4:5], v[12:13], v[4:5] op_sel_hi:[0,1]
	buffer_store_dword v2, off, s[0:3], 0 offset:304
	buffer_store_dword v3, off, s[0:3], 0 offset:308
	;; [unrolled: 1-line block ×4, first 2 shown]
	v_add3_u32 v2, v2, v9, s21
	v_add3_u32 v3, v3, v8, s21
	v_perm_b32 v2, v3, v2, s22
	v_bfe_u32 v3, v5, 16, 1
	v_bfe_u32 v8, v4, 16, 1
	v_add3_u32 v4, v4, v8, s21
	v_add3_u32 v3, v5, v3, s21
	v_perm_b32 v3, v3, v4, s22
	ds_write2st64_b64 v39, v[10:11], v[2:3] offset0:2 offset1:3
	s_and_saveexec_b64 s[4:5], vcc
	s_cbranch_execz .LBB929_209
; %bb.208:
	v_or_b32_e32 v2, s27, v0
	v_mov_b32_e32 v3, 0
	v_mov_b32_e32 v4, s20
	v_mad_u64_u32 v[4:5], s[10:11], s8, v4, v[2:3]
	v_mov_b32_e32 v2, s26
	s_mul_i32 s9, s9, s20
	v_mad_u64_u32 v[2:3], s[10:11], v4, s54, v[2:3]
	v_add_u32_e32 v5, s9, v5
	v_mov_b32_e32 v4, v3
	v_mad_u64_u32 v[4:5], s[10:11], v5, s54, v[4:5]
	v_mov_b32_e32 v3, v4
	v_lshlrev_b64 v[2:3], 2, v[2:3]
	v_mov_b32_e32 v5, s47
	v_add_co_u32_e32 v4, vcc, s46, v2
	v_addc_co_u32_e32 v5, vcc, v5, v3, vcc
	global_store_dword v[4:5], v20, off
	v_mov_b32_e32 v4, s45
	v_add_co_u32_e32 v2, vcc, s44, v2
	v_addc_co_u32_e32 v3, vcc, v4, v3, vcc
	global_store_dword v[2:3], v6, off
.LBB929_209:
	s_or_b64 exec, exec, s[4:5]
	v_lshl_or_b32 v30, v65, 9, v7
	s_waitcnt lgkmcnt(0)
	s_barrier
	s_load_dword s4, s[50:51], 0x0
	ds_read_b128 v[2:5], v30
	ds_read_b128 v[6:9], v30 offset:16
	ds_read_b128 v[10:13], v30 offset:2048
	;; [unrolled: 1-line block ×7, first 2 shown]
	v_mov_b32_e32 v35, 0x80
	v_mov_b32_e32 v41, 0x140
	s_mov_b64 s[12:13], -1
	s_waitcnt lgkmcnt(0)
	s_mov_b32 s5, s4
	s_mov_b32 s10, s4
	;; [unrolled: 1-line block ×3, first 2 shown]
	s_movk_i32 s9, 0x80
	s_movk_i32 s23, 0x7f
	s_mov_b32 s24, 0xffffff
	s_mov_b32 s25, 0x5040100
	v_mov_b32_e32 v43, 0
	v_bfrev_b32_e32 v45, 60
	s_branch .LBB929_213
.LBB929_210:                            ;   in Loop: Header=BB929_213 Depth=1
	s_or_b64 exec, exec, s[18:19]
.LBB929_211:                            ;   in Loop: Header=BB929_213 Depth=1
	s_or_b64 exec, exec, s[16:17]
.LBB929_212:                            ;   in Loop: Header=BB929_213 Depth=1
	s_or_b64 exec, exec, s[14:15]
	v_perm_b32 v47, v49, v47, s25
	v_perm_b32 v46, v44, v46, s25
	s_xor_b64 s[14:15], s[12:13], -1
	s_mov_b64 s[12:13], 0
	v_mov_b32_e32 v64, v59
	v_mfma_f32_16x16x16bf16_1k v[66:69], v[46:47], v[30:31], v[34:37]
	s_and_b64 vcc, exec, s[14:15]
	v_mov_b32_e32 v63, v60
	v_mov_b32_e32 v62, v61
	s_nop 3
	v_perm_b32 v37, v51, v50, s25
	v_perm_b32 v36, v42, v48, s25
	v_mov_b32_e32 v35, v58
	s_nop 0
	v_mfma_f32_16x16x16bf16_1k v[46:49], v[36:37], v[32:33], v[66:69]
	s_nop 7
	s_nop 2
	v_pk_mul_f32 v[46:47], v[46:47], s[4:5]
	v_pk_mul_f32 v[36:37], v[48:49], s[10:11]
	v_bfe_u32 v34, v47, 16, 1
	v_bfe_u32 v38, v46, 16, 1
	;; [unrolled: 1-line block ×4, first 2 shown]
	v_add3_u32 v38, v46, v38, s21
	v_add3_u32 v34, v47, v34, s21
	;; [unrolled: 1-line block ×4, first 2 shown]
	v_perm_b32 v34, v34, v38, s22
	v_perm_b32 v36, v37, v36, s22
	buffer_store_dword v34, v41, s[0:3], 0 offen
	buffer_store_dword v36, v41, s[0:3], 0 offen offset:4
	v_mov_b32_e32 v41, 0x148
	s_cbranch_vccnz .LBB929_595
.LBB929_213:                            ; =>This Inner Loop Header: Depth=1
	buffer_load_dword v36, v35, s[0:3], 0 offen
	buffer_load_dword v34, v35, s[0:3], 0 offen offset:4
	buffer_load_dword v40, v35, s[0:3], 0 offen offset:8
	buffer_load_dword v38, v35, s[0:3], 0 offen offset:12
	v_mov_b32_e32 v35, 0
	s_waitcnt vmcnt(3)
	v_cmp_ne_u16_sdwa s[16:17], v36, v43 src0_sel:BYTE_0 src1_sel:DWORD
	s_and_saveexec_b64 s[14:15], s[16:17]
	s_cbranch_execz .LBB929_219
; %bb.214:                              ;   in Loop: Header=BB929_213 Depth=1
	v_cmp_ne_u16_sdwa s[18:19], v36, s9 src0_sel:BYTE_0 src1_sel:DWORD
	v_mov_b32_e32 v35, 0xffff8000
	s_and_saveexec_b64 s[16:17], s[18:19]
	s_cbranch_execz .LBB929_218
; %bb.215:                              ;   in Loop: Header=BB929_213 Depth=1
	v_and_b32_e32 v37, 0x7f, v36
	v_cmp_ne_u32_e32 vcc, s23, v37
	v_mov_b32_e32 v35, 0x7f80
	s_and_saveexec_b64 s[18:19], vcc
	s_cbranch_execz .LBB929_217
; %bb.216:                              ;   in Loop: Header=BB929_213 Depth=1
	v_and_b32_e32 v35, 7, v36
	v_ffbh_u32_e32 v44, v35
	v_min_u32_e32 v44, 32, v44
	v_subrev_u32_e32 v46, 28, v44
	v_lshlrev_b64 v[46:47], v46, v[36:37]
	v_lshrrev_b32_e32 v42, 3, v37
	v_sub_u32_e32 v44, 29, v44
	v_and_b32_e32 v46, 7, v46
	v_cmp_gt_u32_e32 vcc, 8, v37
	v_cndmask_b32_e32 v37, v42, v44, vcc
	v_cndmask_b32_e32 v35, v35, v46, vcc
	v_lshlrev_b32_e32 v42, 24, v36
	v_lshlrev_b32_e32 v35, 20, v35
	v_and_b32_e32 v42, 0x80000000, v42
	v_lshl_add_u32 v37, v37, 23, v45
	v_or3_b32 v35, v42, v37, v35
	v_lshrrev_b32_e32 v35, 16, v35
.LBB929_217:                            ;   in Loop: Header=BB929_213 Depth=1
	s_or_b64 exec, exec, s[18:19]
.LBB929_218:                            ;   in Loop: Header=BB929_213 Depth=1
	s_or_b64 exec, exec, s[16:17]
.LBB929_219:                            ;   in Loop: Header=BB929_213 Depth=1
	s_or_b64 exec, exec, s[14:15]
	v_lshrrev_b16_e32 v42, 8, v36
	v_cmp_ne_u16_e32 vcc, 0, v42
	v_mov_b32_e32 v46, 0
	v_mov_b32_e32 v37, 0
	s_and_saveexec_b64 s[14:15], vcc
	s_cbranch_execz .LBB929_225
; %bb.220:                              ;   in Loop: Header=BB929_213 Depth=1
	v_cmp_ne_u16_e32 vcc, s9, v42
	v_mov_b32_e32 v37, 0xffff8000
	s_and_saveexec_b64 s[16:17], vcc
	s_cbranch_execz .LBB929_224
; %bb.221:                              ;   in Loop: Header=BB929_213 Depth=1
	v_and_b32_e32 v44, 0x7f, v42
	v_cmp_ne_u32_e32 vcc, s23, v44
	v_mov_b32_e32 v37, 0x7f80
	s_and_saveexec_b64 s[18:19], vcc
	s_cbranch_execz .LBB929_223
; %bb.222:                              ;   in Loop: Header=BB929_213 Depth=1
	v_and_b32_e32 v37, 7, v42
	v_ffbh_u32_e32 v48, v37
	v_min_u32_e32 v50, 32, v48
	v_subrev_u32_e32 v48, 28, v50
	v_lshlrev_b64 v[48:49], v48, v[42:43]
	v_lshrrev_b32_e32 v47, 3, v44
	v_sub_u32_e32 v42, 29, v50
	v_and_b32_e32 v48, 7, v48
	v_cmp_gt_u32_e32 vcc, 8, v44
	v_cndmask_b32_e32 v42, v47, v42, vcc
	v_cndmask_b32_e32 v37, v37, v48, vcc
	v_lshlrev_b32_e32 v44, 16, v36
	v_lshlrev_b32_e32 v37, 20, v37
	v_and_b32_e32 v44, 0x80000000, v44
	v_lshl_add_u32 v42, v42, 23, v45
	v_or3_b32 v37, v44, v42, v37
	v_lshrrev_b32_e32 v37, 16, v37
.LBB929_223:                            ;   in Loop: Header=BB929_213 Depth=1
	s_or_b64 exec, exec, s[18:19]
.LBB929_224:                            ;   in Loop: Header=BB929_213 Depth=1
	s_or_b64 exec, exec, s[16:17]
.LBB929_225:                            ;   in Loop: Header=BB929_213 Depth=1
	s_or_b64 exec, exec, s[14:15]
	v_lshrrev_b32_e32 v42, 16, v36
	v_cmp_ne_u16_sdwa s[16:17], v42, v43 src0_sel:BYTE_0 src1_sel:DWORD
	s_and_saveexec_b64 s[14:15], s[16:17]
	s_cbranch_execz .LBB929_231
; %bb.226:                              ;   in Loop: Header=BB929_213 Depth=1
	v_cmp_ne_u16_sdwa s[18:19], v42, s9 src0_sel:BYTE_0 src1_sel:DWORD
	v_mov_b32_e32 v46, 0xffff8000
	s_and_saveexec_b64 s[16:17], s[18:19]
	s_cbranch_execz .LBB929_230
; %bb.227:                              ;   in Loop: Header=BB929_213 Depth=1
	v_bfe_u32 v44, v36, 16, 7
	v_cmp_ne_u32_e32 vcc, s23, v44
	v_mov_b32_e32 v46, 0x7f80
	s_and_saveexec_b64 s[18:19], vcc
	s_cbranch_execz .LBB929_229
; %bb.228:                              ;   in Loop: Header=BB929_213 Depth=1
	v_and_b32_e32 v48, 7, v42
	v_ffbh_u32_e32 v46, v48
	v_min_u32_e32 v50, 32, v46
	v_subrev_u32_e32 v46, 28, v50
	v_lshlrev_b64 v[46:47], v46, v[42:43]
	v_lshrrev_b32_e32 v49, 3, v44
	v_sub_u32_e32 v47, 29, v50
	v_and_b32_e32 v46, 7, v46
	v_cmp_gt_u32_e32 vcc, 8, v44
	v_cndmask_b32_e32 v44, v49, v47, vcc
	v_cndmask_b32_e32 v46, v48, v46, vcc
	v_lshlrev_b32_e32 v42, 24, v42
	v_lshlrev_b32_e32 v46, 20, v46
	v_and_b32_e32 v42, 0x80000000, v42
	v_lshl_add_u32 v44, v44, 23, v45
	v_or3_b32 v42, v42, v44, v46
	v_lshrrev_b32_e32 v46, 16, v42
.LBB929_229:                            ;   in Loop: Header=BB929_213 Depth=1
	s_or_b64 exec, exec, s[18:19]
.LBB929_230:                            ;   in Loop: Header=BB929_213 Depth=1
	s_or_b64 exec, exec, s[16:17]
.LBB929_231:                            ;   in Loop: Header=BB929_213 Depth=1
	s_or_b64 exec, exec, s[14:15]
	v_cmp_lt_u32_e32 vcc, s24, v36
	v_mov_b32_e32 v47, 0
	v_mov_b32_e32 v48, 0
	s_and_saveexec_b64 s[14:15], vcc
	s_cbranch_execz .LBB929_237
; %bb.232:                              ;   in Loop: Header=BB929_213 Depth=1
	v_lshrrev_b32_e32 v42, 24, v36
	v_cmp_ne_u32_e32 vcc, s9, v42
	v_mov_b32_e32 v48, 0xffff8000
	s_and_saveexec_b64 s[16:17], vcc
	s_cbranch_execz .LBB929_236
; %bb.233:                              ;   in Loop: Header=BB929_213 Depth=1
	v_bfe_u32 v36, v36, 24, 7
	v_cmp_ne_u32_e32 vcc, s23, v36
	v_mov_b32_e32 v48, 0x7f80
	s_and_saveexec_b64 s[18:19], vcc
	s_cbranch_execz .LBB929_235
; %bb.234:                              ;   in Loop: Header=BB929_213 Depth=1
	v_and_b32_e32 v44, 7, v42
	v_ffbh_u32_e32 v48, v44
	v_min_u32_e32 v51, 32, v48
	v_subrev_u32_e32 v48, 28, v51
	v_lshlrev_b64 v[48:49], v48, v[42:43]
	v_lshrrev_b32_e32 v50, 3, v36
	v_sub_u32_e32 v49, 29, v51
	v_and_b32_e32 v48, 7, v48
	v_cmp_gt_u32_e32 vcc, 8, v36
	v_cndmask_b32_e32 v36, v50, v49, vcc
	v_cndmask_b32_e32 v44, v44, v48, vcc
	v_lshlrev_b32_e32 v42, 24, v42
	v_lshlrev_b32_e32 v44, 20, v44
	v_and_b32_e32 v42, 0x80000000, v42
	v_lshl_add_u32 v36, v36, 23, v45
	v_or3_b32 v36, v42, v36, v44
	v_lshrrev_b32_e32 v48, 16, v36
.LBB929_235:                            ;   in Loop: Header=BB929_213 Depth=1
	s_or_b64 exec, exec, s[18:19]
.LBB929_236:                            ;   in Loop: Header=BB929_213 Depth=1
	s_or_b64 exec, exec, s[16:17]
.LBB929_237:                            ;   in Loop: Header=BB929_213 Depth=1
	s_or_b64 exec, exec, s[14:15]
	s_waitcnt vmcnt(2)
	v_cmp_ne_u16_sdwa s[16:17], v34, v43 src0_sel:BYTE_0 src1_sel:DWORD
	s_and_saveexec_b64 s[14:15], s[16:17]
	s_cbranch_execz .LBB929_243
; %bb.238:                              ;   in Loop: Header=BB929_213 Depth=1
	v_cmp_ne_u16_sdwa s[18:19], v34, s9 src0_sel:BYTE_0 src1_sel:DWORD
	v_mov_b32_e32 v47, 0xffff8000
	s_and_saveexec_b64 s[16:17], s[18:19]
	s_cbranch_execz .LBB929_242
; %bb.239:                              ;   in Loop: Header=BB929_213 Depth=1
	v_and_b32_e32 v36, 0x7f, v34
	v_cmp_ne_u32_e32 vcc, s23, v36
	v_mov_b32_e32 v47, 0x7f80
	s_and_saveexec_b64 s[18:19], vcc
	s_cbranch_execz .LBB929_241
; %bb.240:                              ;   in Loop: Header=BB929_213 Depth=1
	v_and_b32_e32 v42, 7, v34
	v_ffbh_u32_e32 v47, v42
	v_min_u32_e32 v47, 32, v47
	v_subrev_u32_e32 v49, 28, v47
	v_lshlrev_b64 v[50:51], v49, v[34:35]
	v_lshrrev_b32_e32 v44, 3, v36
	v_sub_u32_e32 v47, 29, v47
	v_and_b32_e32 v49, 7, v50
	v_cmp_gt_u32_e32 vcc, 8, v36
	v_cndmask_b32_e32 v36, v44, v47, vcc
	v_cndmask_b32_e32 v42, v42, v49, vcc
	v_lshlrev_b32_e32 v44, 24, v34
	v_lshlrev_b32_e32 v42, 20, v42
	v_and_b32_e32 v44, 0x80000000, v44
	v_lshl_add_u32 v36, v36, 23, v45
	v_or3_b32 v36, v44, v36, v42
	v_lshrrev_b32_e32 v47, 16, v36
.LBB929_241:                            ;   in Loop: Header=BB929_213 Depth=1
	s_or_b64 exec, exec, s[18:19]
.LBB929_242:                            ;   in Loop: Header=BB929_213 Depth=1
	s_or_b64 exec, exec, s[16:17]
.LBB929_243:                            ;   in Loop: Header=BB929_213 Depth=1
	s_or_b64 exec, exec, s[14:15]
	v_lshrrev_b16_e32 v36, 8, v34
	v_cmp_ne_u16_e32 vcc, 0, v36
	v_mov_b32_e32 v49, 0
	v_mov_b32_e32 v42, 0
	s_and_saveexec_b64 s[14:15], vcc
	s_cbranch_execz .LBB929_249
; %bb.244:                              ;   in Loop: Header=BB929_213 Depth=1
	v_cmp_ne_u16_e32 vcc, s9, v36
	v_mov_b32_e32 v42, 0xffff8000
	s_and_saveexec_b64 s[16:17], vcc
	s_cbranch_execz .LBB929_248
; %bb.245:                              ;   in Loop: Header=BB929_213 Depth=1
	v_and_b32_e32 v44, 0x7f, v36
	v_cmp_ne_u32_e32 vcc, s23, v44
	v_mov_b32_e32 v42, 0x7f80
	s_and_saveexec_b64 s[18:19], vcc
	s_cbranch_execz .LBB929_247
; %bb.246:                              ;   in Loop: Header=BB929_213 Depth=1
	v_and_b32_e32 v42, 7, v36
	v_ffbh_u32_e32 v50, v42
	v_min_u32_e32 v53, 32, v50
	v_subrev_u32_e32 v50, 28, v53
	v_lshlrev_b64 v[50:51], v50, v[36:37]
	v_lshrrev_b32_e32 v52, 3, v44
	v_sub_u32_e32 v36, 29, v53
	v_and_b32_e32 v50, 7, v50
	v_cmp_gt_u32_e32 vcc, 8, v44
	v_cndmask_b32_e32 v36, v52, v36, vcc
	v_cndmask_b32_e32 v42, v42, v50, vcc
	v_lshlrev_b32_e32 v44, 16, v34
	v_lshlrev_b32_e32 v42, 20, v42
	v_and_b32_e32 v44, 0x80000000, v44
	v_lshl_add_u32 v36, v36, 23, v45
	v_or3_b32 v36, v44, v36, v42
	v_lshrrev_b32_e32 v42, 16, v36
.LBB929_247:                            ;   in Loop: Header=BB929_213 Depth=1
	s_or_b64 exec, exec, s[18:19]
.LBB929_248:                            ;   in Loop: Header=BB929_213 Depth=1
	s_or_b64 exec, exec, s[16:17]
.LBB929_249:                            ;   in Loop: Header=BB929_213 Depth=1
	s_or_b64 exec, exec, s[14:15]
	v_lshrrev_b32_e32 v36, 16, v34
	v_cmp_ne_u16_sdwa s[16:17], v36, v43 src0_sel:BYTE_0 src1_sel:DWORD
	s_and_saveexec_b64 s[14:15], s[16:17]
	s_cbranch_execz .LBB929_255
; %bb.250:                              ;   in Loop: Header=BB929_213 Depth=1
	v_cmp_ne_u16_sdwa s[18:19], v36, s9 src0_sel:BYTE_0 src1_sel:DWORD
	v_mov_b32_e32 v49, 0xffff8000
	s_and_saveexec_b64 s[16:17], s[18:19]
	s_cbranch_execz .LBB929_254
; %bb.251:                              ;   in Loop: Header=BB929_213 Depth=1
	v_bfe_u32 v44, v34, 16, 7
	v_cmp_ne_u32_e32 vcc, s23, v44
	v_mov_b32_e32 v49, 0x7f80
	s_and_saveexec_b64 s[18:19], vcc
	s_cbranch_execz .LBB929_253
; %bb.252:                              ;   in Loop: Header=BB929_213 Depth=1
	v_and_b32_e32 v49, 7, v36
	v_ffbh_u32_e32 v50, v49
	v_min_u32_e32 v53, 32, v50
	v_subrev_u32_e32 v50, 28, v53
	v_lshlrev_b64 v[50:51], v50, v[36:37]
	v_lshrrev_b32_e32 v52, 3, v44
	v_sub_u32_e32 v51, 29, v53
	v_and_b32_e32 v50, 7, v50
	v_cmp_gt_u32_e32 vcc, 8, v44
	v_cndmask_b32_e32 v44, v52, v51, vcc
	v_cndmask_b32_e32 v49, v49, v50, vcc
	v_lshlrev_b32_e32 v36, 24, v36
	v_lshlrev_b32_e32 v49, 20, v49
	v_and_b32_e32 v36, 0x80000000, v36
	v_lshl_add_u32 v44, v44, 23, v45
	v_or3_b32 v36, v36, v44, v49
	v_lshrrev_b32_e32 v49, 16, v36
.LBB929_253:                            ;   in Loop: Header=BB929_213 Depth=1
	s_or_b64 exec, exec, s[18:19]
.LBB929_254:                            ;   in Loop: Header=BB929_213 Depth=1
	s_or_b64 exec, exec, s[16:17]
.LBB929_255:                            ;   in Loop: Header=BB929_213 Depth=1
	s_or_b64 exec, exec, s[14:15]
	v_cmp_lt_u32_e32 vcc, s24, v34
	v_mov_b32_e32 v44, 0
	v_mov_b32_e32 v50, 0
	s_and_saveexec_b64 s[14:15], vcc
	s_cbranch_execz .LBB929_261
; %bb.256:                              ;   in Loop: Header=BB929_213 Depth=1
	v_lshrrev_b32_e32 v36, 24, v34
	v_cmp_ne_u32_e32 vcc, s9, v36
	v_mov_b32_e32 v50, 0xffff8000
	s_and_saveexec_b64 s[16:17], vcc
	s_cbranch_execz .LBB929_260
; %bb.257:                              ;   in Loop: Header=BB929_213 Depth=1
	v_bfe_u32 v34, v34, 24, 7
	v_cmp_ne_u32_e32 vcc, s23, v34
	v_mov_b32_e32 v50, 0x7f80
	s_and_saveexec_b64 s[18:19], vcc
	s_cbranch_execz .LBB929_259
; %bb.258:                              ;   in Loop: Header=BB929_213 Depth=1
	v_and_b32_e32 v52, 7, v36
	v_ffbh_u32_e32 v50, v52
	v_min_u32_e32 v65, 32, v50
	v_subrev_u32_e32 v50, 28, v65
	v_lshlrev_b64 v[50:51], v50, v[36:37]
	v_lshrrev_b32_e32 v53, 3, v34
	v_sub_u32_e32 v51, 29, v65
	v_and_b32_e32 v50, 7, v50
	v_cmp_gt_u32_e32 vcc, 8, v34
	v_cndmask_b32_e32 v34, v53, v51, vcc
	v_cndmask_b32_e32 v50, v52, v50, vcc
	v_lshlrev_b32_e32 v36, 24, v36
	v_lshlrev_b32_e32 v50, 20, v50
	v_and_b32_e32 v36, 0x80000000, v36
	v_lshl_add_u32 v34, v34, 23, v45
	v_or3_b32 v34, v36, v34, v50
	v_lshrrev_b32_e32 v50, 16, v34
.LBB929_259:                            ;   in Loop: Header=BB929_213 Depth=1
	s_or_b64 exec, exec, s[18:19]
.LBB929_260:                            ;   in Loop: Header=BB929_213 Depth=1
	s_or_b64 exec, exec, s[16:17]
.LBB929_261:                            ;   in Loop: Header=BB929_213 Depth=1
	s_or_b64 exec, exec, s[14:15]
	v_perm_b32 v53, v48, v46, s25
	v_perm_b32 v52, v37, v35, s25
	;; [unrolled: 1-line block ×4, first 2 shown]
	s_waitcnt vmcnt(1)
	v_cmp_ne_u16_sdwa s[16:17], v40, v43 src0_sel:BYTE_0 src1_sel:DWORD
	v_mfma_f32_16x16x16bf16_1k v[34:37], v[52:53], v[2:3], 0
	v_mfma_f32_16x16x16bf16_1k v[34:37], v[48:49], v[4:5], v[34:37]
	s_and_saveexec_b64 s[14:15], s[16:17]
	s_cbranch_execz .LBB929_267
; %bb.262:                              ;   in Loop: Header=BB929_213 Depth=1
	v_cmp_ne_u16_sdwa s[18:19], v40, s9 src0_sel:BYTE_0 src1_sel:DWORD
	v_mov_b32_e32 v44, 0xffff8000
	s_and_saveexec_b64 s[16:17], s[18:19]
	s_cbranch_execz .LBB929_266
; %bb.263:                              ;   in Loop: Header=BB929_213 Depth=1
	v_and_b32_e32 v42, 0x7f, v40
	v_cmp_ne_u32_e32 vcc, s23, v42
	v_mov_b32_e32 v44, 0x7f80
	s_and_saveexec_b64 s[18:19], vcc
	s_cbranch_execz .LBB929_265
; %bb.264:                              ;   in Loop: Header=BB929_213 Depth=1
	v_and_b32_e32 v44, 7, v40
	v_ffbh_u32_e32 v46, v44
	v_min_u32_e32 v49, 32, v46
	v_subrev_u32_e32 v46, 28, v49
	v_lshlrev_b64 v[46:47], v46, v[40:41]
	v_lshrrev_b32_e32 v48, 3, v42
	v_sub_u32_e32 v47, 29, v49
	v_and_b32_e32 v46, 7, v46
	v_cmp_gt_u32_e32 vcc, 8, v42
	v_cndmask_b32_e32 v42, v48, v47, vcc
	v_cndmask_b32_e32 v44, v44, v46, vcc
	v_lshlrev_b32_e32 v46, 24, v40
	v_lshlrev_b32_e32 v44, 20, v44
	v_and_b32_e32 v46, 0x80000000, v46
	v_lshl_add_u32 v42, v42, 23, v45
	v_or3_b32 v42, v46, v42, v44
	v_lshrrev_b32_e32 v44, 16, v42
.LBB929_265:                            ;   in Loop: Header=BB929_213 Depth=1
	s_or_b64 exec, exec, s[18:19]
.LBB929_266:                            ;   in Loop: Header=BB929_213 Depth=1
	s_or_b64 exec, exec, s[16:17]
.LBB929_267:                            ;   in Loop: Header=BB929_213 Depth=1
	s_or_b64 exec, exec, s[14:15]
	v_lshrrev_b16_e32 v42, 8, v40
	v_cmp_ne_u16_e32 vcc, 0, v42
	v_mov_b32_e32 v48, 0
	v_mov_b32_e32 v46, 0
	s_and_saveexec_b64 s[14:15], vcc
	s_cbranch_execz .LBB929_273
; %bb.268:                              ;   in Loop: Header=BB929_213 Depth=1
	v_cmp_ne_u16_e32 vcc, s9, v42
	v_mov_b32_e32 v46, 0xffff8000
	s_and_saveexec_b64 s[16:17], vcc
	s_cbranch_execz .LBB929_272
; %bb.269:                              ;   in Loop: Header=BB929_213 Depth=1
	v_and_b32_e32 v47, 0x7f, v42
	v_cmp_ne_u32_e32 vcc, s23, v47
	v_mov_b32_e32 v46, 0x7f80
	s_and_saveexec_b64 s[18:19], vcc
	s_cbranch_execz .LBB929_271
; %bb.270:                              ;   in Loop: Header=BB929_213 Depth=1
	v_and_b32_e32 v46, 7, v42
	v_ffbh_u32_e32 v50, v46
	v_min_u32_e32 v52, 32, v50
	v_subrev_u32_e32 v50, 28, v52
	v_lshlrev_b64 v[50:51], v50, v[42:43]
	v_lshrrev_b32_e32 v49, 3, v47
	v_sub_u32_e32 v42, 29, v52
	v_and_b32_e32 v50, 7, v50
	v_cmp_gt_u32_e32 vcc, 8, v47
	v_cndmask_b32_e32 v42, v49, v42, vcc
	v_cndmask_b32_e32 v46, v46, v50, vcc
	v_lshlrev_b32_e32 v47, 16, v40
	v_lshlrev_b32_e32 v46, 20, v46
	v_and_b32_e32 v47, 0x80000000, v47
	v_lshl_add_u32 v42, v42, 23, v45
	v_or3_b32 v42, v47, v42, v46
	v_lshrrev_b32_e32 v46, 16, v42
.LBB929_271:                            ;   in Loop: Header=BB929_213 Depth=1
	s_or_b64 exec, exec, s[18:19]
.LBB929_272:                            ;   in Loop: Header=BB929_213 Depth=1
	s_or_b64 exec, exec, s[16:17]
.LBB929_273:                            ;   in Loop: Header=BB929_213 Depth=1
	s_or_b64 exec, exec, s[14:15]
	v_lshrrev_b32_e32 v42, 16, v40
	v_cmp_ne_u16_sdwa s[16:17], v42, v43 src0_sel:BYTE_0 src1_sel:DWORD
	s_and_saveexec_b64 s[14:15], s[16:17]
	s_cbranch_execz .LBB929_279
; %bb.274:                              ;   in Loop: Header=BB929_213 Depth=1
	v_cmp_ne_u16_sdwa s[18:19], v42, s9 src0_sel:BYTE_0 src1_sel:DWORD
	v_mov_b32_e32 v48, 0xffff8000
	s_and_saveexec_b64 s[16:17], s[18:19]
	s_cbranch_execz .LBB929_278
; %bb.275:                              ;   in Loop: Header=BB929_213 Depth=1
	v_bfe_u32 v47, v40, 16, 7
	v_cmp_ne_u32_e32 vcc, s23, v47
	v_mov_b32_e32 v48, 0x7f80
	s_and_saveexec_b64 s[18:19], vcc
	s_cbranch_execz .LBB929_277
; %bb.276:                              ;   in Loop: Header=BB929_213 Depth=1
	v_and_b32_e32 v50, 7, v42
	v_ffbh_u32_e32 v48, v50
	v_min_u32_e32 v52, 32, v48
	v_subrev_u32_e32 v48, 28, v52
	v_lshlrev_b64 v[48:49], v48, v[42:43]
	v_lshrrev_b32_e32 v51, 3, v47
	v_sub_u32_e32 v49, 29, v52
	v_and_b32_e32 v48, 7, v48
	v_cmp_gt_u32_e32 vcc, 8, v47
	v_cndmask_b32_e32 v47, v51, v49, vcc
	v_cndmask_b32_e32 v48, v50, v48, vcc
	v_lshlrev_b32_e32 v42, 24, v42
	v_lshlrev_b32_e32 v48, 20, v48
	v_and_b32_e32 v42, 0x80000000, v42
	v_lshl_add_u32 v47, v47, 23, v45
	v_or3_b32 v42, v42, v47, v48
	v_lshrrev_b32_e32 v48, 16, v42
.LBB929_277:                            ;   in Loop: Header=BB929_213 Depth=1
	s_or_b64 exec, exec, s[18:19]
.LBB929_278:                            ;   in Loop: Header=BB929_213 Depth=1
	s_or_b64 exec, exec, s[16:17]
.LBB929_279:                            ;   in Loop: Header=BB929_213 Depth=1
	s_or_b64 exec, exec, s[14:15]
	v_cmp_lt_u32_e32 vcc, s24, v40
	v_mov_b32_e32 v49, 0
	v_mov_b32_e32 v50, 0
	s_and_saveexec_b64 s[14:15], vcc
	s_cbranch_execz .LBB929_285
; %bb.280:                              ;   in Loop: Header=BB929_213 Depth=1
	v_lshrrev_b32_e32 v42, 24, v40
	v_cmp_ne_u32_e32 vcc, s9, v42
	v_mov_b32_e32 v50, 0xffff8000
	s_and_saveexec_b64 s[16:17], vcc
	s_cbranch_execz .LBB929_284
; %bb.281:                              ;   in Loop: Header=BB929_213 Depth=1
	v_bfe_u32 v40, v40, 24, 7
	v_cmp_ne_u32_e32 vcc, s23, v40
	v_mov_b32_e32 v50, 0x7f80
	s_and_saveexec_b64 s[18:19], vcc
	s_cbranch_execz .LBB929_283
; %bb.282:                              ;   in Loop: Header=BB929_213 Depth=1
	v_and_b32_e32 v47, 7, v42
	v_ffbh_u32_e32 v50, v47
	v_min_u32_e32 v53, 32, v50
	v_subrev_u32_e32 v50, 28, v53
	v_lshlrev_b64 v[50:51], v50, v[42:43]
	v_lshrrev_b32_e32 v52, 3, v40
	v_sub_u32_e32 v51, 29, v53
	v_and_b32_e32 v50, 7, v50
	v_cmp_gt_u32_e32 vcc, 8, v40
	v_cndmask_b32_e32 v40, v52, v51, vcc
	v_cndmask_b32_e32 v47, v47, v50, vcc
	v_lshlrev_b32_e32 v42, 24, v42
	v_lshlrev_b32_e32 v47, 20, v47
	v_and_b32_e32 v42, 0x80000000, v42
	v_lshl_add_u32 v40, v40, 23, v45
	v_or3_b32 v40, v42, v40, v47
	v_lshrrev_b32_e32 v50, 16, v40
.LBB929_283:                            ;   in Loop: Header=BB929_213 Depth=1
	s_or_b64 exec, exec, s[18:19]
.LBB929_284:                            ;   in Loop: Header=BB929_213 Depth=1
	s_or_b64 exec, exec, s[16:17]
.LBB929_285:                            ;   in Loop: Header=BB929_213 Depth=1
	s_or_b64 exec, exec, s[14:15]
	s_waitcnt vmcnt(0)
	v_cmp_ne_u16_sdwa s[16:17], v38, v43 src0_sel:BYTE_0 src1_sel:DWORD
	s_and_saveexec_b64 s[14:15], s[16:17]
	s_cbranch_execz .LBB929_291
; %bb.286:                              ;   in Loop: Header=BB929_213 Depth=1
	v_cmp_ne_u16_sdwa s[18:19], v38, s9 src0_sel:BYTE_0 src1_sel:DWORD
	v_mov_b32_e32 v49, 0xffff8000
	s_and_saveexec_b64 s[16:17], s[18:19]
	s_cbranch_execz .LBB929_290
; %bb.287:                              ;   in Loop: Header=BB929_213 Depth=1
	v_and_b32_e32 v40, 0x7f, v38
	v_cmp_ne_u32_e32 vcc, s23, v40
	v_mov_b32_e32 v49, 0x7f80
	s_and_saveexec_b64 s[18:19], vcc
	s_cbranch_execz .LBB929_289
; %bb.288:                              ;   in Loop: Header=BB929_213 Depth=1
	v_and_b32_e32 v42, 7, v38
	v_ffbh_u32_e32 v49, v42
	v_min_u32_e32 v49, 32, v49
	v_subrev_u32_e32 v51, 28, v49
	v_lshlrev_b64 v[52:53], v51, v[38:39]
	v_lshrrev_b32_e32 v47, 3, v40
	v_sub_u32_e32 v49, 29, v49
	v_and_b32_e32 v51, 7, v52
	v_cmp_gt_u32_e32 vcc, 8, v40
	v_cndmask_b32_e32 v40, v47, v49, vcc
	v_cndmask_b32_e32 v42, v42, v51, vcc
	v_lshlrev_b32_e32 v47, 24, v38
	v_lshlrev_b32_e32 v42, 20, v42
	v_and_b32_e32 v47, 0x80000000, v47
	v_lshl_add_u32 v40, v40, 23, v45
	v_or3_b32 v40, v47, v40, v42
	v_lshrrev_b32_e32 v49, 16, v40
.LBB929_289:                            ;   in Loop: Header=BB929_213 Depth=1
	s_or_b64 exec, exec, s[18:19]
.LBB929_290:                            ;   in Loop: Header=BB929_213 Depth=1
	s_or_b64 exec, exec, s[16:17]
.LBB929_291:                            ;   in Loop: Header=BB929_213 Depth=1
	s_or_b64 exec, exec, s[14:15]
	v_lshrrev_b16_e32 v40, 8, v38
	v_cmp_ne_u16_e32 vcc, 0, v40
	v_mov_b32_e32 v52, 0
	v_mov_b32_e32 v51, 0
	s_and_saveexec_b64 s[14:15], vcc
	s_cbranch_execz .LBB929_297
; %bb.292:                              ;   in Loop: Header=BB929_213 Depth=1
	v_cmp_ne_u16_e32 vcc, s9, v40
	v_mov_b32_e32 v51, 0xffff8000
	s_and_saveexec_b64 s[16:17], vcc
	s_cbranch_execz .LBB929_296
; %bb.293:                              ;   in Loop: Header=BB929_213 Depth=1
	v_and_b32_e32 v42, 0x7f, v40
	v_cmp_ne_u32_e32 vcc, s23, v42
	v_mov_b32_e32 v51, 0x7f80
	s_and_saveexec_b64 s[18:19], vcc
	s_cbranch_execz .LBB929_295
; %bb.294:                              ;   in Loop: Header=BB929_213 Depth=1
	v_and_b32_e32 v47, 7, v40
	v_ffbh_u32_e32 v53, v47
	v_min_u32_e32 v53, 32, v53
	v_subrev_u32_e32 v65, 28, v53
	v_lshlrev_b64 v[66:67], v65, v[40:41]
	v_lshrrev_b32_e32 v51, 3, v42
	v_sub_u32_e32 v40, 29, v53
	v_and_b32_e32 v53, 7, v66
	v_cmp_gt_u32_e32 vcc, 8, v42
	v_cndmask_b32_e32 v40, v51, v40, vcc
	v_cndmask_b32_e32 v42, v47, v53, vcc
	v_lshlrev_b32_e32 v47, 16, v38
	v_lshlrev_b32_e32 v42, 20, v42
	v_and_b32_e32 v47, 0x80000000, v47
	v_lshl_add_u32 v40, v40, 23, v45
	v_or3_b32 v40, v47, v40, v42
	v_lshrrev_b32_e32 v51, 16, v40
.LBB929_295:                            ;   in Loop: Header=BB929_213 Depth=1
	s_or_b64 exec, exec, s[18:19]
.LBB929_296:                            ;   in Loop: Header=BB929_213 Depth=1
	s_or_b64 exec, exec, s[16:17]
.LBB929_297:                            ;   in Loop: Header=BB929_213 Depth=1
	s_or_b64 exec, exec, s[14:15]
	v_lshrrev_b32_e32 v40, 16, v38
	v_cmp_ne_u16_sdwa s[16:17], v40, v43 src0_sel:BYTE_0 src1_sel:DWORD
	s_and_saveexec_b64 s[14:15], s[16:17]
	s_cbranch_execz .LBB929_303
; %bb.298:                              ;   in Loop: Header=BB929_213 Depth=1
	v_cmp_ne_u16_sdwa s[18:19], v40, s9 src0_sel:BYTE_0 src1_sel:DWORD
	v_mov_b32_e32 v52, 0xffff8000
	s_and_saveexec_b64 s[16:17], s[18:19]
	s_cbranch_execz .LBB929_302
; %bb.299:                              ;   in Loop: Header=BB929_213 Depth=1
	v_bfe_u32 v42, v38, 16, 7
	v_cmp_ne_u32_e32 vcc, s23, v42
	v_mov_b32_e32 v52, 0x7f80
	s_and_saveexec_b64 s[18:19], vcc
	s_cbranch_execz .LBB929_301
; %bb.300:                              ;   in Loop: Header=BB929_213 Depth=1
	v_and_b32_e32 v47, 7, v40
	v_ffbh_u32_e32 v52, v47
	v_min_u32_e32 v66, 32, v52
	v_subrev_u32_e32 v52, 28, v66
	v_lshlrev_b64 v[52:53], v52, v[40:41]
	v_lshrrev_b32_e32 v65, 3, v42
	v_sub_u32_e32 v53, 29, v66
	v_and_b32_e32 v52, 7, v52
	v_cmp_gt_u32_e32 vcc, 8, v42
	v_cndmask_b32_e32 v42, v65, v53, vcc
	v_cndmask_b32_e32 v47, v47, v52, vcc
	v_lshlrev_b32_e32 v40, 24, v40
	v_lshlrev_b32_e32 v47, 20, v47
	v_and_b32_e32 v40, 0x80000000, v40
	v_lshl_add_u32 v42, v42, 23, v45
	v_or3_b32 v40, v40, v42, v47
	v_lshrrev_b32_e32 v52, 16, v40
.LBB929_301:                            ;   in Loop: Header=BB929_213 Depth=1
	s_or_b64 exec, exec, s[18:19]
.LBB929_302:                            ;   in Loop: Header=BB929_213 Depth=1
	s_or_b64 exec, exec, s[16:17]
.LBB929_303:                            ;   in Loop: Header=BB929_213 Depth=1
	s_or_b64 exec, exec, s[14:15]
	v_cmp_lt_u32_e32 vcc, s24, v38
	v_mov_b32_e32 v47, 0
	v_mov_b32_e32 v53, 0
	s_and_saveexec_b64 s[14:15], vcc
	s_cbranch_execz .LBB929_309
; %bb.304:                              ;   in Loop: Header=BB929_213 Depth=1
	v_lshrrev_b32_e32 v40, 24, v38
	v_cmp_ne_u32_e32 vcc, s9, v40
	v_mov_b32_e32 v53, 0xffff8000
	s_and_saveexec_b64 s[16:17], vcc
	s_cbranch_execz .LBB929_308
; %bb.305:                              ;   in Loop: Header=BB929_213 Depth=1
	v_bfe_u32 v38, v38, 24, 7
	v_cmp_ne_u32_e32 vcc, s23, v38
	v_mov_b32_e32 v53, 0x7f80
	s_and_saveexec_b64 s[18:19], vcc
	s_cbranch_execz .LBB929_307
; %bb.306:                              ;   in Loop: Header=BB929_213 Depth=1
	v_and_b32_e32 v42, 7, v40
	v_ffbh_u32_e32 v65, v42
	v_min_u32_e32 v65, 32, v65
	v_subrev_u32_e32 v66, 28, v65
	v_lshlrev_b64 v[66:67], v66, v[40:41]
	v_lshrrev_b32_e32 v53, 3, v38
	v_sub_u32_e32 v65, 29, v65
	v_and_b32_e32 v66, 7, v66
	v_cmp_gt_u32_e32 vcc, 8, v38
	v_cndmask_b32_e32 v38, v53, v65, vcc
	v_cndmask_b32_e32 v42, v42, v66, vcc
	v_lshlrev_b32_e32 v40, 24, v40
	v_lshlrev_b32_e32 v42, 20, v42
	v_and_b32_e32 v40, 0x80000000, v40
	v_lshl_add_u32 v38, v38, 23, v45
	v_or3_b32 v38, v40, v38, v42
	v_lshrrev_b32_e32 v53, 16, v38
.LBB929_307:                            ;   in Loop: Header=BB929_213 Depth=1
	s_or_b64 exec, exec, s[18:19]
.LBB929_308:                            ;   in Loop: Header=BB929_213 Depth=1
	s_or_b64 exec, exec, s[16:17]
.LBB929_309:                            ;   in Loop: Header=BB929_213 Depth=1
	s_or_b64 exec, exec, s[14:15]
	v_perm_b32 v66, v46, v44, s25
	buffer_load_dword v44, v64, s[0:3], 0 offen
	buffer_load_dword v42, v64, s[0:3], 0 offen offset:4
	buffer_load_dword v40, v64, s[0:3], 0 offen offset:8
	buffer_load_dword v38, v64, s[0:3], 0 offen offset:12
	v_perm_b32 v67, v50, v48, s25
	v_perm_b32 v53, v53, v52, s25
	;; [unrolled: 1-line block ×3, first 2 shown]
	v_mfma_f32_16x16x16bf16_1k v[34:37], v[66:67], v[6:7], v[34:37]
	s_waitcnt vmcnt(3)
	v_cmp_ne_u16_sdwa s[16:17], v44, v43 src0_sel:BYTE_0 src1_sel:DWORD
	v_mfma_f32_16x16x16bf16_1k v[34:37], v[52:53], v[8:9], v[34:37]
	s_and_saveexec_b64 s[14:15], s[16:17]
	s_cbranch_execz .LBB929_315
; %bb.310:                              ;   in Loop: Header=BB929_213 Depth=1
	v_cmp_ne_u16_sdwa s[18:19], v44, s9 src0_sel:BYTE_0 src1_sel:DWORD
	v_mov_b32_e32 v47, 0xffff8000
	s_and_saveexec_b64 s[16:17], s[18:19]
	s_cbranch_execz .LBB929_314
; %bb.311:                              ;   in Loop: Header=BB929_213 Depth=1
	v_and_b32_e32 v46, 0x7f, v44
	v_cmp_ne_u32_e32 vcc, s23, v46
	v_mov_b32_e32 v47, 0x7f80
	s_and_saveexec_b64 s[18:19], vcc
	s_cbranch_execz .LBB929_313
; %bb.312:                              ;   in Loop: Header=BB929_213 Depth=1
	v_and_b32_e32 v47, 7, v44
	v_ffbh_u32_e32 v48, v47
	v_min_u32_e32 v51, 32, v48
	v_subrev_u32_e32 v48, 28, v51
	v_lshlrev_b64 v[48:49], v48, v[44:45]
	v_lshrrev_b32_e32 v50, 3, v46
	v_sub_u32_e32 v49, 29, v51
	v_and_b32_e32 v48, 7, v48
	v_cmp_gt_u32_e32 vcc, 8, v46
	v_cndmask_b32_e32 v46, v50, v49, vcc
	v_cndmask_b32_e32 v47, v47, v48, vcc
	v_lshlrev_b32_e32 v48, 24, v44
	v_lshlrev_b32_e32 v47, 20, v47
	v_and_b32_e32 v48, 0x80000000, v48
	v_lshl_add_u32 v46, v46, 23, v45
	v_or3_b32 v46, v48, v46, v47
	v_lshrrev_b32_e32 v47, 16, v46
.LBB929_313:                            ;   in Loop: Header=BB929_213 Depth=1
	s_or_b64 exec, exec, s[18:19]
.LBB929_314:                            ;   in Loop: Header=BB929_213 Depth=1
	s_or_b64 exec, exec, s[16:17]
.LBB929_315:                            ;   in Loop: Header=BB929_213 Depth=1
	s_or_b64 exec, exec, s[14:15]
	v_lshrrev_b16_e32 v46, 8, v44
	v_cmp_ne_u16_e32 vcc, 0, v46
	v_mov_b32_e32 v49, 0
	v_mov_b32_e32 v48, 0
	s_and_saveexec_b64 s[14:15], vcc
	s_cbranch_execz .LBB929_321
; %bb.316:                              ;   in Loop: Header=BB929_213 Depth=1
	v_cmp_ne_u16_e32 vcc, s9, v46
	v_mov_b32_e32 v48, 0xffff8000
	s_and_saveexec_b64 s[16:17], vcc
	s_cbranch_execz .LBB929_320
; %bb.317:                              ;   in Loop: Header=BB929_213 Depth=1
	v_and_b32_e32 v50, 0x7f, v46
	v_cmp_ne_u32_e32 vcc, s23, v50
	v_mov_b32_e32 v48, 0x7f80
	s_and_saveexec_b64 s[18:19], vcc
	s_cbranch_execz .LBB929_319
; %bb.318:                              ;   in Loop: Header=BB929_213 Depth=1
	v_and_b32_e32 v48, 7, v46
	v_ffbh_u32_e32 v52, v48
	v_min_u32_e32 v64, 32, v52
	v_subrev_u32_e32 v52, 28, v64
	v_lshlrev_b64 v[52:53], v52, v[46:47]
	v_lshrrev_b32_e32 v51, 3, v50
	v_sub_u32_e32 v46, 29, v64
	v_and_b32_e32 v52, 7, v52
	v_cmp_gt_u32_e32 vcc, 8, v50
	v_cndmask_b32_e32 v46, v51, v46, vcc
	v_cndmask_b32_e32 v48, v48, v52, vcc
	v_lshlrev_b32_e32 v50, 16, v44
	v_lshlrev_b32_e32 v48, 20, v48
	v_and_b32_e32 v50, 0x80000000, v50
	v_lshl_add_u32 v46, v46, 23, v45
	v_or3_b32 v46, v50, v46, v48
	v_lshrrev_b32_e32 v48, 16, v46
.LBB929_319:                            ;   in Loop: Header=BB929_213 Depth=1
	s_or_b64 exec, exec, s[18:19]
.LBB929_320:                            ;   in Loop: Header=BB929_213 Depth=1
	s_or_b64 exec, exec, s[16:17]
.LBB929_321:                            ;   in Loop: Header=BB929_213 Depth=1
	s_or_b64 exec, exec, s[14:15]
	v_lshrrev_b32_e32 v46, 16, v44
	v_cmp_ne_u16_sdwa s[16:17], v46, v43 src0_sel:BYTE_0 src1_sel:DWORD
	s_and_saveexec_b64 s[14:15], s[16:17]
	s_cbranch_execz .LBB929_327
; %bb.322:                              ;   in Loop: Header=BB929_213 Depth=1
	v_cmp_ne_u16_sdwa s[18:19], v46, s9 src0_sel:BYTE_0 src1_sel:DWORD
	v_mov_b32_e32 v49, 0xffff8000
	s_and_saveexec_b64 s[16:17], s[18:19]
	s_cbranch_execz .LBB929_326
; %bb.323:                              ;   in Loop: Header=BB929_213 Depth=1
	v_bfe_u32 v50, v44, 16, 7
	v_cmp_ne_u32_e32 vcc, s23, v50
	v_mov_b32_e32 v49, 0x7f80
	s_and_saveexec_b64 s[18:19], vcc
	s_cbranch_execz .LBB929_325
; %bb.324:                              ;   in Loop: Header=BB929_213 Depth=1
	v_and_b32_e32 v49, 7, v46
	v_ffbh_u32_e32 v52, v49
	v_min_u32_e32 v64, 32, v52
	v_subrev_u32_e32 v52, 28, v64
	v_lshlrev_b64 v[52:53], v52, v[46:47]
	v_lshrrev_b32_e32 v51, 3, v50
	v_sub_u32_e32 v53, 29, v64
	v_and_b32_e32 v52, 7, v52
	v_cmp_gt_u32_e32 vcc, 8, v50
	v_cndmask_b32_e32 v50, v51, v53, vcc
	v_cndmask_b32_e32 v49, v49, v52, vcc
	v_lshlrev_b32_e32 v46, 24, v46
	v_lshlrev_b32_e32 v49, 20, v49
	v_and_b32_e32 v46, 0x80000000, v46
	v_lshl_add_u32 v50, v50, 23, v45
	v_or3_b32 v46, v46, v50, v49
	v_lshrrev_b32_e32 v49, 16, v46
.LBB929_325:                            ;   in Loop: Header=BB929_213 Depth=1
	s_or_b64 exec, exec, s[18:19]
.LBB929_326:                            ;   in Loop: Header=BB929_213 Depth=1
	s_or_b64 exec, exec, s[16:17]
.LBB929_327:                            ;   in Loop: Header=BB929_213 Depth=1
	s_or_b64 exec, exec, s[14:15]
	v_cmp_lt_u32_e32 vcc, s24, v44
	v_mov_b32_e32 v50, 0
	v_mov_b32_e32 v51, 0
	s_and_saveexec_b64 s[14:15], vcc
	s_cbranch_execz .LBB929_333
; %bb.328:                              ;   in Loop: Header=BB929_213 Depth=1
	v_lshrrev_b32_e32 v46, 24, v44
	v_cmp_ne_u32_e32 vcc, s9, v46
	v_mov_b32_e32 v51, 0xffff8000
	s_and_saveexec_b64 s[16:17], vcc
	s_cbranch_execz .LBB929_332
; %bb.329:                              ;   in Loop: Header=BB929_213 Depth=1
	v_bfe_u32 v44, v44, 24, 7
	v_cmp_ne_u32_e32 vcc, s23, v44
	v_mov_b32_e32 v51, 0x7f80
	s_and_saveexec_b64 s[18:19], vcc
	s_cbranch_execz .LBB929_331
; %bb.330:                              ;   in Loop: Header=BB929_213 Depth=1
	v_and_b32_e32 v51, 7, v46
	v_ffbh_u32_e32 v52, v51
	v_min_u32_e32 v65, 32, v52
	v_subrev_u32_e32 v52, 28, v65
	v_lshlrev_b64 v[52:53], v52, v[46:47]
	v_lshrrev_b32_e32 v64, 3, v44
	v_sub_u32_e32 v53, 29, v65
	v_and_b32_e32 v52, 7, v52
	v_cmp_gt_u32_e32 vcc, 8, v44
	v_cndmask_b32_e32 v44, v64, v53, vcc
	v_cndmask_b32_e32 v51, v51, v52, vcc
	v_lshlrev_b32_e32 v46, 24, v46
	v_lshlrev_b32_e32 v51, 20, v51
	v_and_b32_e32 v46, 0x80000000, v46
	v_lshl_add_u32 v44, v44, 23, v45
	v_or3_b32 v44, v46, v44, v51
	v_lshrrev_b32_e32 v51, 16, v44
.LBB929_331:                            ;   in Loop: Header=BB929_213 Depth=1
	s_or_b64 exec, exec, s[18:19]
.LBB929_332:                            ;   in Loop: Header=BB929_213 Depth=1
	s_or_b64 exec, exec, s[16:17]
.LBB929_333:                            ;   in Loop: Header=BB929_213 Depth=1
	s_or_b64 exec, exec, s[14:15]
	s_waitcnt vmcnt(2)
	v_cmp_ne_u16_sdwa s[16:17], v42, v43 src0_sel:BYTE_0 src1_sel:DWORD
	s_and_saveexec_b64 s[14:15], s[16:17]
	s_cbranch_execz .LBB929_339
; %bb.334:                              ;   in Loop: Header=BB929_213 Depth=1
	v_cmp_ne_u16_sdwa s[18:19], v42, s9 src0_sel:BYTE_0 src1_sel:DWORD
	v_mov_b32_e32 v50, 0xffff8000
	s_and_saveexec_b64 s[16:17], s[18:19]
	s_cbranch_execz .LBB929_338
; %bb.335:                              ;   in Loop: Header=BB929_213 Depth=1
	v_and_b32_e32 v44, 0x7f, v42
	v_cmp_ne_u32_e32 vcc, s23, v44
	v_mov_b32_e32 v50, 0x7f80
	s_and_saveexec_b64 s[18:19], vcc
	s_cbranch_execz .LBB929_337
; %bb.336:                              ;   in Loop: Header=BB929_213 Depth=1
	v_and_b32_e32 v46, 7, v42
	v_ffbh_u32_e32 v52, v46
	v_min_u32_e32 v64, 32, v52
	v_subrev_u32_e32 v52, 28, v64
	v_lshlrev_b64 v[52:53], v52, v[42:43]
	v_lshrrev_b32_e32 v50, 3, v44
	v_sub_u32_e32 v53, 29, v64
	v_and_b32_e32 v52, 7, v52
	v_cmp_gt_u32_e32 vcc, 8, v44
	v_cndmask_b32_e32 v44, v50, v53, vcc
	v_cndmask_b32_e32 v46, v46, v52, vcc
	v_lshlrev_b32_e32 v50, 24, v42
	v_lshlrev_b32_e32 v46, 20, v46
	v_and_b32_e32 v50, 0x80000000, v50
	v_lshl_add_u32 v44, v44, 23, v45
	v_or3_b32 v44, v50, v44, v46
	v_lshrrev_b32_e32 v50, 16, v44
.LBB929_337:                            ;   in Loop: Header=BB929_213 Depth=1
	s_or_b64 exec, exec, s[18:19]
.LBB929_338:                            ;   in Loop: Header=BB929_213 Depth=1
	s_or_b64 exec, exec, s[16:17]
.LBB929_339:                            ;   in Loop: Header=BB929_213 Depth=1
	s_or_b64 exec, exec, s[14:15]
	v_lshrrev_b16_e32 v44, 8, v42
	v_cmp_ne_u16_e32 vcc, 0, v44
	v_mov_b32_e32 v53, 0
	v_mov_b32_e32 v52, 0
	s_and_saveexec_b64 s[14:15], vcc
	s_cbranch_execz .LBB929_345
; %bb.340:                              ;   in Loop: Header=BB929_213 Depth=1
	v_cmp_ne_u16_e32 vcc, s9, v44
	v_mov_b32_e32 v52, 0xffff8000
	s_and_saveexec_b64 s[16:17], vcc
	s_cbranch_execz .LBB929_344
; %bb.341:                              ;   in Loop: Header=BB929_213 Depth=1
	v_and_b32_e32 v46, 0x7f, v44
	v_cmp_ne_u32_e32 vcc, s23, v46
	v_mov_b32_e32 v52, 0x7f80
	s_and_saveexec_b64 s[18:19], vcc
	s_cbranch_execz .LBB929_343
; %bb.342:                              ;   in Loop: Header=BB929_213 Depth=1
	v_and_b32_e32 v52, 7, v44
	v_ffbh_u32_e32 v64, v52
	v_min_u32_e32 v67, 32, v64
	v_subrev_u32_e32 v64, 28, v67
	v_lshlrev_b64 v[64:65], v64, v[44:45]
	v_lshrrev_b32_e32 v66, 3, v46
	v_sub_u32_e32 v44, 29, v67
	v_and_b32_e32 v64, 7, v64
	v_cmp_gt_u32_e32 vcc, 8, v46
	v_cndmask_b32_e32 v44, v66, v44, vcc
	v_cndmask_b32_e32 v46, v52, v64, vcc
	v_lshlrev_b32_e32 v52, 16, v42
	v_lshlrev_b32_e32 v46, 20, v46
	v_and_b32_e32 v52, 0x80000000, v52
	v_lshl_add_u32 v44, v44, 23, v45
	v_or3_b32 v44, v52, v44, v46
	v_lshrrev_b32_e32 v52, 16, v44
.LBB929_343:                            ;   in Loop: Header=BB929_213 Depth=1
	s_or_b64 exec, exec, s[18:19]
.LBB929_344:                            ;   in Loop: Header=BB929_213 Depth=1
	s_or_b64 exec, exec, s[16:17]
.LBB929_345:                            ;   in Loop: Header=BB929_213 Depth=1
	s_or_b64 exec, exec, s[14:15]
	v_lshrrev_b32_e32 v44, 16, v42
	v_cmp_ne_u16_sdwa s[16:17], v44, v43 src0_sel:BYTE_0 src1_sel:DWORD
	s_and_saveexec_b64 s[14:15], s[16:17]
	s_cbranch_execz .LBB929_351
; %bb.346:                              ;   in Loop: Header=BB929_213 Depth=1
	v_cmp_ne_u16_sdwa s[18:19], v44, s9 src0_sel:BYTE_0 src1_sel:DWORD
	v_mov_b32_e32 v53, 0xffff8000
	s_and_saveexec_b64 s[16:17], s[18:19]
	s_cbranch_execz .LBB929_350
; %bb.347:                              ;   in Loop: Header=BB929_213 Depth=1
	v_bfe_u32 v46, v42, 16, 7
	v_cmp_ne_u32_e32 vcc, s23, v46
	v_mov_b32_e32 v53, 0x7f80
	s_and_saveexec_b64 s[18:19], vcc
	s_cbranch_execz .LBB929_349
; %bb.348:                              ;   in Loop: Header=BB929_213 Depth=1
	v_and_b32_e32 v53, 7, v44
	v_ffbh_u32_e32 v64, v53
	v_min_u32_e32 v67, 32, v64
	v_subrev_u32_e32 v64, 28, v67
	v_lshlrev_b64 v[64:65], v64, v[44:45]
	v_lshrrev_b32_e32 v66, 3, v46
	v_sub_u32_e32 v65, 29, v67
	v_and_b32_e32 v64, 7, v64
	v_cmp_gt_u32_e32 vcc, 8, v46
	v_cndmask_b32_e32 v46, v66, v65, vcc
	v_cndmask_b32_e32 v53, v53, v64, vcc
	v_lshlrev_b32_e32 v44, 24, v44
	v_lshlrev_b32_e32 v53, 20, v53
	v_and_b32_e32 v44, 0x80000000, v44
	v_lshl_add_u32 v46, v46, 23, v45
	v_or3_b32 v44, v44, v46, v53
	v_lshrrev_b32_e32 v53, 16, v44
.LBB929_349:                            ;   in Loop: Header=BB929_213 Depth=1
	s_or_b64 exec, exec, s[18:19]
.LBB929_350:                            ;   in Loop: Header=BB929_213 Depth=1
	s_or_b64 exec, exec, s[16:17]
.LBB929_351:                            ;   in Loop: Header=BB929_213 Depth=1
	s_or_b64 exec, exec, s[14:15]
	v_cmp_lt_u32_e32 vcc, s24, v42
	v_mov_b32_e32 v46, 0
	v_mov_b32_e32 v64, 0
	s_and_saveexec_b64 s[14:15], vcc
	s_cbranch_execz .LBB929_357
; %bb.352:                              ;   in Loop: Header=BB929_213 Depth=1
	v_lshrrev_b32_e32 v44, 24, v42
	v_cmp_ne_u32_e32 vcc, s9, v44
	v_mov_b32_e32 v64, 0xffff8000
	s_and_saveexec_b64 s[16:17], vcc
	s_cbranch_execz .LBB929_356
; %bb.353:                              ;   in Loop: Header=BB929_213 Depth=1
	v_bfe_u32 v42, v42, 24, 7
	v_cmp_ne_u32_e32 vcc, s23, v42
	v_mov_b32_e32 v64, 0x7f80
	s_and_saveexec_b64 s[18:19], vcc
	s_cbranch_execz .LBB929_355
; %bb.354:                              ;   in Loop: Header=BB929_213 Depth=1
	v_and_b32_e32 v66, 7, v44
	v_ffbh_u32_e32 v64, v66
	v_min_u32_e32 v68, 32, v64
	v_subrev_u32_e32 v64, 28, v68
	v_lshlrev_b64 v[64:65], v64, v[44:45]
	v_lshrrev_b32_e32 v67, 3, v42
	v_sub_u32_e32 v65, 29, v68
	v_and_b32_e32 v64, 7, v64
	v_cmp_gt_u32_e32 vcc, 8, v42
	v_cndmask_b32_e32 v42, v67, v65, vcc
	v_cndmask_b32_e32 v64, v66, v64, vcc
	v_lshlrev_b32_e32 v44, 24, v44
	v_lshlrev_b32_e32 v64, 20, v64
	v_and_b32_e32 v44, 0x80000000, v44
	v_lshl_add_u32 v42, v42, 23, v45
	v_or3_b32 v42, v44, v42, v64
	v_lshrrev_b32_e32 v64, 16, v42
.LBB929_355:                            ;   in Loop: Header=BB929_213 Depth=1
	s_or_b64 exec, exec, s[18:19]
.LBB929_356:                            ;   in Loop: Header=BB929_213 Depth=1
	s_or_b64 exec, exec, s[16:17]
.LBB929_357:                            ;   in Loop: Header=BB929_213 Depth=1
	s_or_b64 exec, exec, s[14:15]
	v_perm_b32 v49, v51, v49, s25
	v_perm_b32 v48, v48, v47, s25
	s_waitcnt vmcnt(1)
	v_cmp_ne_u16_sdwa s[16:17], v40, v43 src0_sel:BYTE_0 src1_sel:DWORD
	v_mfma_f32_16x16x16bf16_1k v[34:37], v[48:49], v[10:11], v[34:37]
	v_perm_b32 v49, v64, v53, s25
	v_perm_b32 v48, v52, v50, s25
	s_nop 1
	v_mfma_f32_16x16x16bf16_1k v[34:37], v[48:49], v[12:13], v[34:37]
	s_and_saveexec_b64 s[14:15], s[16:17]
	s_cbranch_execz .LBB929_363
; %bb.358:                              ;   in Loop: Header=BB929_213 Depth=1
	v_cmp_ne_u16_sdwa s[18:19], v40, s9 src0_sel:BYTE_0 src1_sel:DWORD
	v_mov_b32_e32 v46, 0xffff8000
	s_and_saveexec_b64 s[16:17], s[18:19]
	s_cbranch_execz .LBB929_362
; %bb.359:                              ;   in Loop: Header=BB929_213 Depth=1
	v_and_b32_e32 v42, 0x7f, v40
	v_cmp_ne_u32_e32 vcc, s23, v42
	v_mov_b32_e32 v46, 0x7f80
	s_and_saveexec_b64 s[18:19], vcc
	s_cbranch_execz .LBB929_361
; %bb.360:                              ;   in Loop: Header=BB929_213 Depth=1
	v_and_b32_e32 v44, 7, v40
	v_ffbh_u32_e32 v46, v44
	v_min_u32_e32 v49, 32, v46
	v_subrev_u32_e32 v46, 28, v49
	v_lshlrev_b64 v[46:47], v46, v[40:41]
	v_lshrrev_b32_e32 v48, 3, v42
	v_sub_u32_e32 v47, 29, v49
	v_and_b32_e32 v46, 7, v46
	v_cmp_gt_u32_e32 vcc, 8, v42
	v_cndmask_b32_e32 v42, v48, v47, vcc
	v_cndmask_b32_e32 v44, v44, v46, vcc
	v_lshlrev_b32_e32 v46, 24, v40
	v_lshlrev_b32_e32 v44, 20, v44
	v_and_b32_e32 v46, 0x80000000, v46
	v_lshl_add_u32 v42, v42, 23, v45
	v_or3_b32 v42, v46, v42, v44
	v_lshrrev_b32_e32 v46, 16, v42
.LBB929_361:                            ;   in Loop: Header=BB929_213 Depth=1
	s_or_b64 exec, exec, s[18:19]
.LBB929_362:                            ;   in Loop: Header=BB929_213 Depth=1
	s_or_b64 exec, exec, s[16:17]
.LBB929_363:                            ;   in Loop: Header=BB929_213 Depth=1
	s_or_b64 exec, exec, s[14:15]
	v_lshrrev_b16_e32 v42, 8, v40
	v_cmp_ne_u16_e32 vcc, 0, v42
	v_mov_b32_e32 v48, 0
	v_mov_b32_e32 v44, 0
	s_and_saveexec_b64 s[14:15], vcc
	s_cbranch_execz .LBB929_369
; %bb.364:                              ;   in Loop: Header=BB929_213 Depth=1
	v_cmp_ne_u16_e32 vcc, s9, v42
	v_mov_b32_e32 v44, 0xffff8000
	s_and_saveexec_b64 s[16:17], vcc
	s_cbranch_execz .LBB929_368
; %bb.365:                              ;   in Loop: Header=BB929_213 Depth=1
	v_and_b32_e32 v47, 0x7f, v42
	v_cmp_ne_u32_e32 vcc, s23, v47
	v_mov_b32_e32 v44, 0x7f80
	s_and_saveexec_b64 s[18:19], vcc
	s_cbranch_execz .LBB929_367
; %bb.366:                              ;   in Loop: Header=BB929_213 Depth=1
	v_and_b32_e32 v44, 7, v42
	v_ffbh_u32_e32 v50, v44
	v_min_u32_e32 v52, 32, v50
	v_subrev_u32_e32 v50, 28, v52
	v_lshlrev_b64 v[50:51], v50, v[42:43]
	v_lshrrev_b32_e32 v49, 3, v47
	v_sub_u32_e32 v42, 29, v52
	v_and_b32_e32 v50, 7, v50
	v_cmp_gt_u32_e32 vcc, 8, v47
	v_cndmask_b32_e32 v42, v49, v42, vcc
	v_cndmask_b32_e32 v44, v44, v50, vcc
	v_lshlrev_b32_e32 v47, 16, v40
	v_lshlrev_b32_e32 v44, 20, v44
	v_and_b32_e32 v47, 0x80000000, v47
	v_lshl_add_u32 v42, v42, 23, v45
	v_or3_b32 v42, v47, v42, v44
	v_lshrrev_b32_e32 v44, 16, v42
.LBB929_367:                            ;   in Loop: Header=BB929_213 Depth=1
	s_or_b64 exec, exec, s[18:19]
.LBB929_368:                            ;   in Loop: Header=BB929_213 Depth=1
	s_or_b64 exec, exec, s[16:17]
.LBB929_369:                            ;   in Loop: Header=BB929_213 Depth=1
	s_or_b64 exec, exec, s[14:15]
	v_lshrrev_b32_e32 v42, 16, v40
	v_cmp_ne_u16_sdwa s[16:17], v42, v43 src0_sel:BYTE_0 src1_sel:DWORD
	s_and_saveexec_b64 s[14:15], s[16:17]
	s_cbranch_execz .LBB929_375
; %bb.370:                              ;   in Loop: Header=BB929_213 Depth=1
	v_cmp_ne_u16_sdwa s[18:19], v42, s9 src0_sel:BYTE_0 src1_sel:DWORD
	v_mov_b32_e32 v48, 0xffff8000
	s_and_saveexec_b64 s[16:17], s[18:19]
	s_cbranch_execz .LBB929_374
; %bb.371:                              ;   in Loop: Header=BB929_213 Depth=1
	v_bfe_u32 v47, v40, 16, 7
	v_cmp_ne_u32_e32 vcc, s23, v47
	v_mov_b32_e32 v48, 0x7f80
	s_and_saveexec_b64 s[18:19], vcc
	s_cbranch_execz .LBB929_373
; %bb.372:                              ;   in Loop: Header=BB929_213 Depth=1
	v_and_b32_e32 v50, 7, v42
	v_ffbh_u32_e32 v48, v50
	v_min_u32_e32 v52, 32, v48
	v_subrev_u32_e32 v48, 28, v52
	v_lshlrev_b64 v[48:49], v48, v[42:43]
	v_lshrrev_b32_e32 v51, 3, v47
	v_sub_u32_e32 v49, 29, v52
	v_and_b32_e32 v48, 7, v48
	v_cmp_gt_u32_e32 vcc, 8, v47
	v_cndmask_b32_e32 v47, v51, v49, vcc
	v_cndmask_b32_e32 v48, v50, v48, vcc
	v_lshlrev_b32_e32 v42, 24, v42
	v_lshlrev_b32_e32 v48, 20, v48
	v_and_b32_e32 v42, 0x80000000, v42
	v_lshl_add_u32 v47, v47, 23, v45
	v_or3_b32 v42, v42, v47, v48
	v_lshrrev_b32_e32 v48, 16, v42
.LBB929_373:                            ;   in Loop: Header=BB929_213 Depth=1
	s_or_b64 exec, exec, s[18:19]
.LBB929_374:                            ;   in Loop: Header=BB929_213 Depth=1
	s_or_b64 exec, exec, s[16:17]
.LBB929_375:                            ;   in Loop: Header=BB929_213 Depth=1
	s_or_b64 exec, exec, s[14:15]
	v_cmp_lt_u32_e32 vcc, s24, v40
	v_mov_b32_e32 v49, 0
	v_mov_b32_e32 v50, 0
	s_and_saveexec_b64 s[14:15], vcc
	s_cbranch_execz .LBB929_381
; %bb.376:                              ;   in Loop: Header=BB929_213 Depth=1
	v_lshrrev_b32_e32 v42, 24, v40
	v_cmp_ne_u32_e32 vcc, s9, v42
	v_mov_b32_e32 v50, 0xffff8000
	s_and_saveexec_b64 s[16:17], vcc
	s_cbranch_execz .LBB929_380
; %bb.377:                              ;   in Loop: Header=BB929_213 Depth=1
	v_bfe_u32 v40, v40, 24, 7
	v_cmp_ne_u32_e32 vcc, s23, v40
	v_mov_b32_e32 v50, 0x7f80
	s_and_saveexec_b64 s[18:19], vcc
	s_cbranch_execz .LBB929_379
; %bb.378:                              ;   in Loop: Header=BB929_213 Depth=1
	v_and_b32_e32 v47, 7, v42
	v_ffbh_u32_e32 v50, v47
	v_min_u32_e32 v53, 32, v50
	v_subrev_u32_e32 v50, 28, v53
	v_lshlrev_b64 v[50:51], v50, v[42:43]
	v_lshrrev_b32_e32 v52, 3, v40
	v_sub_u32_e32 v51, 29, v53
	v_and_b32_e32 v50, 7, v50
	v_cmp_gt_u32_e32 vcc, 8, v40
	v_cndmask_b32_e32 v40, v52, v51, vcc
	v_cndmask_b32_e32 v47, v47, v50, vcc
	v_lshlrev_b32_e32 v42, 24, v42
	v_lshlrev_b32_e32 v47, 20, v47
	v_and_b32_e32 v42, 0x80000000, v42
	v_lshl_add_u32 v40, v40, 23, v45
	v_or3_b32 v40, v42, v40, v47
	v_lshrrev_b32_e32 v50, 16, v40
.LBB929_379:                            ;   in Loop: Header=BB929_213 Depth=1
	s_or_b64 exec, exec, s[18:19]
.LBB929_380:                            ;   in Loop: Header=BB929_213 Depth=1
	s_or_b64 exec, exec, s[16:17]
.LBB929_381:                            ;   in Loop: Header=BB929_213 Depth=1
	s_or_b64 exec, exec, s[14:15]
	s_waitcnt vmcnt(0)
	v_cmp_ne_u16_sdwa s[16:17], v38, v43 src0_sel:BYTE_0 src1_sel:DWORD
	s_and_saveexec_b64 s[14:15], s[16:17]
	s_cbranch_execz .LBB929_387
; %bb.382:                              ;   in Loop: Header=BB929_213 Depth=1
	v_cmp_ne_u16_sdwa s[18:19], v38, s9 src0_sel:BYTE_0 src1_sel:DWORD
	v_mov_b32_e32 v49, 0xffff8000
	s_and_saveexec_b64 s[16:17], s[18:19]
	s_cbranch_execz .LBB929_386
; %bb.383:                              ;   in Loop: Header=BB929_213 Depth=1
	v_and_b32_e32 v40, 0x7f, v38
	v_cmp_ne_u32_e32 vcc, s23, v40
	v_mov_b32_e32 v49, 0x7f80
	s_and_saveexec_b64 s[18:19], vcc
	s_cbranch_execz .LBB929_385
; %bb.384:                              ;   in Loop: Header=BB929_213 Depth=1
	v_and_b32_e32 v42, 7, v38
	v_ffbh_u32_e32 v49, v42
	v_min_u32_e32 v49, 32, v49
	v_subrev_u32_e32 v51, 28, v49
	v_lshlrev_b64 v[52:53], v51, v[38:39]
	v_lshrrev_b32_e32 v47, 3, v40
	v_sub_u32_e32 v49, 29, v49
	v_and_b32_e32 v51, 7, v52
	v_cmp_gt_u32_e32 vcc, 8, v40
	v_cndmask_b32_e32 v40, v47, v49, vcc
	v_cndmask_b32_e32 v42, v42, v51, vcc
	v_lshlrev_b32_e32 v47, 24, v38
	v_lshlrev_b32_e32 v42, 20, v42
	v_and_b32_e32 v47, 0x80000000, v47
	v_lshl_add_u32 v40, v40, 23, v45
	v_or3_b32 v40, v47, v40, v42
	v_lshrrev_b32_e32 v49, 16, v40
.LBB929_385:                            ;   in Loop: Header=BB929_213 Depth=1
	s_or_b64 exec, exec, s[18:19]
.LBB929_386:                            ;   in Loop: Header=BB929_213 Depth=1
	s_or_b64 exec, exec, s[16:17]
.LBB929_387:                            ;   in Loop: Header=BB929_213 Depth=1
	s_or_b64 exec, exec, s[14:15]
	v_lshrrev_b16_e32 v40, 8, v38
	v_cmp_ne_u16_e32 vcc, 0, v40
	v_mov_b32_e32 v52, 0
	v_mov_b32_e32 v51, 0
	s_and_saveexec_b64 s[14:15], vcc
	s_cbranch_execz .LBB929_393
; %bb.388:                              ;   in Loop: Header=BB929_213 Depth=1
	v_cmp_ne_u16_e32 vcc, s9, v40
	v_mov_b32_e32 v51, 0xffff8000
	s_and_saveexec_b64 s[16:17], vcc
	s_cbranch_execz .LBB929_392
; %bb.389:                              ;   in Loop: Header=BB929_213 Depth=1
	v_and_b32_e32 v42, 0x7f, v40
	v_cmp_ne_u32_e32 vcc, s23, v42
	v_mov_b32_e32 v51, 0x7f80
	s_and_saveexec_b64 s[18:19], vcc
	s_cbranch_execz .LBB929_391
; %bb.390:                              ;   in Loop: Header=BB929_213 Depth=1
	v_and_b32_e32 v47, 7, v40
	v_ffbh_u32_e32 v53, v47
	v_min_u32_e32 v53, 32, v53
	v_subrev_u32_e32 v64, 28, v53
	v_lshlrev_b64 v[64:65], v64, v[40:41]
	v_lshrrev_b32_e32 v51, 3, v42
	v_sub_u32_e32 v40, 29, v53
	v_and_b32_e32 v53, 7, v64
	v_cmp_gt_u32_e32 vcc, 8, v42
	v_cndmask_b32_e32 v40, v51, v40, vcc
	v_cndmask_b32_e32 v42, v47, v53, vcc
	v_lshlrev_b32_e32 v47, 16, v38
	v_lshlrev_b32_e32 v42, 20, v42
	v_and_b32_e32 v47, 0x80000000, v47
	v_lshl_add_u32 v40, v40, 23, v45
	v_or3_b32 v40, v47, v40, v42
	v_lshrrev_b32_e32 v51, 16, v40
.LBB929_391:                            ;   in Loop: Header=BB929_213 Depth=1
	s_or_b64 exec, exec, s[18:19]
.LBB929_392:                            ;   in Loop: Header=BB929_213 Depth=1
	s_or_b64 exec, exec, s[16:17]
.LBB929_393:                            ;   in Loop: Header=BB929_213 Depth=1
	s_or_b64 exec, exec, s[14:15]
	v_lshrrev_b32_e32 v40, 16, v38
	v_cmp_ne_u16_sdwa s[16:17], v40, v43 src0_sel:BYTE_0 src1_sel:DWORD
	s_and_saveexec_b64 s[14:15], s[16:17]
	s_cbranch_execz .LBB929_399
; %bb.394:                              ;   in Loop: Header=BB929_213 Depth=1
	v_cmp_ne_u16_sdwa s[18:19], v40, s9 src0_sel:BYTE_0 src1_sel:DWORD
	v_mov_b32_e32 v52, 0xffff8000
	s_and_saveexec_b64 s[16:17], s[18:19]
	s_cbranch_execz .LBB929_398
; %bb.395:                              ;   in Loop: Header=BB929_213 Depth=1
	v_bfe_u32 v42, v38, 16, 7
	v_cmp_ne_u32_e32 vcc, s23, v42
	v_mov_b32_e32 v52, 0x7f80
	s_and_saveexec_b64 s[18:19], vcc
	s_cbranch_execz .LBB929_397
; %bb.396:                              ;   in Loop: Header=BB929_213 Depth=1
	v_and_b32_e32 v47, 7, v40
	v_ffbh_u32_e32 v52, v47
	v_min_u32_e32 v65, 32, v52
	v_subrev_u32_e32 v52, 28, v65
	v_lshlrev_b64 v[52:53], v52, v[40:41]
	v_lshrrev_b32_e32 v64, 3, v42
	v_sub_u32_e32 v53, 29, v65
	v_and_b32_e32 v52, 7, v52
	v_cmp_gt_u32_e32 vcc, 8, v42
	v_cndmask_b32_e32 v42, v64, v53, vcc
	v_cndmask_b32_e32 v47, v47, v52, vcc
	v_lshlrev_b32_e32 v40, 24, v40
	v_lshlrev_b32_e32 v47, 20, v47
	v_and_b32_e32 v40, 0x80000000, v40
	v_lshl_add_u32 v42, v42, 23, v45
	v_or3_b32 v40, v40, v42, v47
	v_lshrrev_b32_e32 v52, 16, v40
.LBB929_397:                            ;   in Loop: Header=BB929_213 Depth=1
	s_or_b64 exec, exec, s[18:19]
.LBB929_398:                            ;   in Loop: Header=BB929_213 Depth=1
	s_or_b64 exec, exec, s[16:17]
.LBB929_399:                            ;   in Loop: Header=BB929_213 Depth=1
	s_or_b64 exec, exec, s[14:15]
	v_cmp_lt_u32_e32 vcc, s24, v38
	v_mov_b32_e32 v47, 0
	v_mov_b32_e32 v53, 0
	s_and_saveexec_b64 s[14:15], vcc
	s_cbranch_execz .LBB929_405
; %bb.400:                              ;   in Loop: Header=BB929_213 Depth=1
	v_lshrrev_b32_e32 v40, 24, v38
	v_cmp_ne_u32_e32 vcc, s9, v40
	v_mov_b32_e32 v53, 0xffff8000
	s_and_saveexec_b64 s[16:17], vcc
	s_cbranch_execz .LBB929_404
; %bb.401:                              ;   in Loop: Header=BB929_213 Depth=1
	v_bfe_u32 v38, v38, 24, 7
	v_cmp_ne_u32_e32 vcc, s23, v38
	v_mov_b32_e32 v53, 0x7f80
	s_and_saveexec_b64 s[18:19], vcc
	s_cbranch_execz .LBB929_403
; %bb.402:                              ;   in Loop: Header=BB929_213 Depth=1
	v_and_b32_e32 v42, 7, v40
	v_ffbh_u32_e32 v64, v42
	v_min_u32_e32 v66, 32, v64
	v_subrev_u32_e32 v64, 28, v66
	v_lshlrev_b64 v[64:65], v64, v[40:41]
	v_lshrrev_b32_e32 v53, 3, v38
	v_sub_u32_e32 v65, 29, v66
	v_and_b32_e32 v64, 7, v64
	v_cmp_gt_u32_e32 vcc, 8, v38
	v_cndmask_b32_e32 v38, v53, v65, vcc
	v_cndmask_b32_e32 v42, v42, v64, vcc
	v_lshlrev_b32_e32 v40, 24, v40
	v_lshlrev_b32_e32 v42, 20, v42
	v_and_b32_e32 v40, 0x80000000, v40
	v_lshl_add_u32 v38, v38, 23, v45
	v_or3_b32 v38, v40, v38, v42
	v_lshrrev_b32_e32 v53, 16, v38
.LBB929_403:                            ;   in Loop: Header=BB929_213 Depth=1
	s_or_b64 exec, exec, s[18:19]
.LBB929_404:                            ;   in Loop: Header=BB929_213 Depth=1
	s_or_b64 exec, exec, s[16:17]
.LBB929_405:                            ;   in Loop: Header=BB929_213 Depth=1
	s_or_b64 exec, exec, s[14:15]
	v_perm_b32 v64, v44, v46, s25
	buffer_load_dword v44, v63, s[0:3], 0 offen
	buffer_load_dword v42, v63, s[0:3], 0 offen offset:4
	buffer_load_dword v40, v63, s[0:3], 0 offen offset:8
	;; [unrolled: 1-line block ×3, first 2 shown]
	v_perm_b32 v65, v50, v48, s25
	v_perm_b32 v53, v53, v52, s25
	;; [unrolled: 1-line block ×3, first 2 shown]
	v_mfma_f32_16x16x16bf16_1k v[34:37], v[64:65], v[14:15], v[34:37]
	s_waitcnt vmcnt(3)
	v_cmp_ne_u16_sdwa s[16:17], v44, v43 src0_sel:BYTE_0 src1_sel:DWORD
	v_mfma_f32_16x16x16bf16_1k v[34:37], v[52:53], v[16:17], v[34:37]
	s_and_saveexec_b64 s[14:15], s[16:17]
	s_cbranch_execz .LBB929_411
; %bb.406:                              ;   in Loop: Header=BB929_213 Depth=1
	v_cmp_ne_u16_sdwa s[18:19], v44, s9 src0_sel:BYTE_0 src1_sel:DWORD
	v_mov_b32_e32 v47, 0xffff8000
	s_and_saveexec_b64 s[16:17], s[18:19]
	s_cbranch_execz .LBB929_410
; %bb.407:                              ;   in Loop: Header=BB929_213 Depth=1
	v_and_b32_e32 v46, 0x7f, v44
	v_cmp_ne_u32_e32 vcc, s23, v46
	v_mov_b32_e32 v47, 0x7f80
	s_and_saveexec_b64 s[18:19], vcc
	s_cbranch_execz .LBB929_409
; %bb.408:                              ;   in Loop: Header=BB929_213 Depth=1
	v_and_b32_e32 v47, 7, v44
	v_ffbh_u32_e32 v48, v47
	v_min_u32_e32 v51, 32, v48
	v_subrev_u32_e32 v48, 28, v51
	v_lshlrev_b64 v[48:49], v48, v[44:45]
	v_lshrrev_b32_e32 v50, 3, v46
	v_sub_u32_e32 v49, 29, v51
	v_and_b32_e32 v48, 7, v48
	v_cmp_gt_u32_e32 vcc, 8, v46
	v_cndmask_b32_e32 v46, v50, v49, vcc
	v_cndmask_b32_e32 v47, v47, v48, vcc
	v_lshlrev_b32_e32 v48, 24, v44
	v_lshlrev_b32_e32 v47, 20, v47
	v_and_b32_e32 v48, 0x80000000, v48
	v_lshl_add_u32 v46, v46, 23, v45
	v_or3_b32 v46, v48, v46, v47
	v_lshrrev_b32_e32 v47, 16, v46
.LBB929_409:                            ;   in Loop: Header=BB929_213 Depth=1
	s_or_b64 exec, exec, s[18:19]
.LBB929_410:                            ;   in Loop: Header=BB929_213 Depth=1
	s_or_b64 exec, exec, s[16:17]
.LBB929_411:                            ;   in Loop: Header=BB929_213 Depth=1
	s_or_b64 exec, exec, s[14:15]
	v_lshrrev_b16_e32 v46, 8, v44
	v_cmp_ne_u16_e32 vcc, 0, v46
	v_mov_b32_e32 v49, 0
	v_mov_b32_e32 v48, 0
	s_and_saveexec_b64 s[14:15], vcc
	s_cbranch_execz .LBB929_417
; %bb.412:                              ;   in Loop: Header=BB929_213 Depth=1
	v_cmp_ne_u16_e32 vcc, s9, v46
	v_mov_b32_e32 v48, 0xffff8000
	s_and_saveexec_b64 s[16:17], vcc
	s_cbranch_execz .LBB929_416
; %bb.413:                              ;   in Loop: Header=BB929_213 Depth=1
	v_and_b32_e32 v50, 0x7f, v46
	v_cmp_ne_u32_e32 vcc, s23, v50
	v_mov_b32_e32 v48, 0x7f80
	s_and_saveexec_b64 s[18:19], vcc
	s_cbranch_execz .LBB929_415
; %bb.414:                              ;   in Loop: Header=BB929_213 Depth=1
	v_and_b32_e32 v48, 7, v46
	v_ffbh_u32_e32 v52, v48
	v_min_u32_e32 v63, 32, v52
	v_subrev_u32_e32 v52, 28, v63
	v_lshlrev_b64 v[52:53], v52, v[46:47]
	v_lshrrev_b32_e32 v51, 3, v50
	v_sub_u32_e32 v46, 29, v63
	v_and_b32_e32 v52, 7, v52
	v_cmp_gt_u32_e32 vcc, 8, v50
	v_cndmask_b32_e32 v46, v51, v46, vcc
	v_cndmask_b32_e32 v48, v48, v52, vcc
	v_lshlrev_b32_e32 v50, 16, v44
	v_lshlrev_b32_e32 v48, 20, v48
	v_and_b32_e32 v50, 0x80000000, v50
	v_lshl_add_u32 v46, v46, 23, v45
	v_or3_b32 v46, v50, v46, v48
	v_lshrrev_b32_e32 v48, 16, v46
.LBB929_415:                            ;   in Loop: Header=BB929_213 Depth=1
	s_or_b64 exec, exec, s[18:19]
.LBB929_416:                            ;   in Loop: Header=BB929_213 Depth=1
	s_or_b64 exec, exec, s[16:17]
.LBB929_417:                            ;   in Loop: Header=BB929_213 Depth=1
	s_or_b64 exec, exec, s[14:15]
	v_lshrrev_b32_e32 v46, 16, v44
	v_cmp_ne_u16_sdwa s[16:17], v46, v43 src0_sel:BYTE_0 src1_sel:DWORD
	s_and_saveexec_b64 s[14:15], s[16:17]
	s_cbranch_execz .LBB929_423
; %bb.418:                              ;   in Loop: Header=BB929_213 Depth=1
	v_cmp_ne_u16_sdwa s[18:19], v46, s9 src0_sel:BYTE_0 src1_sel:DWORD
	v_mov_b32_e32 v49, 0xffff8000
	s_and_saveexec_b64 s[16:17], s[18:19]
	s_cbranch_execz .LBB929_422
; %bb.419:                              ;   in Loop: Header=BB929_213 Depth=1
	v_bfe_u32 v50, v44, 16, 7
	v_cmp_ne_u32_e32 vcc, s23, v50
	v_mov_b32_e32 v49, 0x7f80
	s_and_saveexec_b64 s[18:19], vcc
	s_cbranch_execz .LBB929_421
; %bb.420:                              ;   in Loop: Header=BB929_213 Depth=1
	v_and_b32_e32 v49, 7, v46
	v_ffbh_u32_e32 v52, v49
	v_min_u32_e32 v63, 32, v52
	v_subrev_u32_e32 v52, 28, v63
	v_lshlrev_b64 v[52:53], v52, v[46:47]
	v_lshrrev_b32_e32 v51, 3, v50
	v_sub_u32_e32 v53, 29, v63
	v_and_b32_e32 v52, 7, v52
	v_cmp_gt_u32_e32 vcc, 8, v50
	v_cndmask_b32_e32 v50, v51, v53, vcc
	v_cndmask_b32_e32 v49, v49, v52, vcc
	v_lshlrev_b32_e32 v46, 24, v46
	v_lshlrev_b32_e32 v49, 20, v49
	v_and_b32_e32 v46, 0x80000000, v46
	v_lshl_add_u32 v50, v50, 23, v45
	v_or3_b32 v46, v46, v50, v49
	v_lshrrev_b32_e32 v49, 16, v46
.LBB929_421:                            ;   in Loop: Header=BB929_213 Depth=1
	s_or_b64 exec, exec, s[18:19]
.LBB929_422:                            ;   in Loop: Header=BB929_213 Depth=1
	s_or_b64 exec, exec, s[16:17]
.LBB929_423:                            ;   in Loop: Header=BB929_213 Depth=1
	s_or_b64 exec, exec, s[14:15]
	v_cmp_lt_u32_e32 vcc, s24, v44
	v_mov_b32_e32 v50, 0
	v_mov_b32_e32 v51, 0
	s_and_saveexec_b64 s[14:15], vcc
	s_cbranch_execz .LBB929_429
; %bb.424:                              ;   in Loop: Header=BB929_213 Depth=1
	v_lshrrev_b32_e32 v46, 24, v44
	v_cmp_ne_u32_e32 vcc, s9, v46
	v_mov_b32_e32 v51, 0xffff8000
	s_and_saveexec_b64 s[16:17], vcc
	s_cbranch_execz .LBB929_428
; %bb.425:                              ;   in Loop: Header=BB929_213 Depth=1
	v_bfe_u32 v44, v44, 24, 7
	v_cmp_ne_u32_e32 vcc, s23, v44
	v_mov_b32_e32 v51, 0x7f80
	s_and_saveexec_b64 s[18:19], vcc
	s_cbranch_execz .LBB929_427
; %bb.426:                              ;   in Loop: Header=BB929_213 Depth=1
	v_and_b32_e32 v51, 7, v46
	v_ffbh_u32_e32 v52, v51
	v_min_u32_e32 v64, 32, v52
	v_subrev_u32_e32 v52, 28, v64
	v_lshlrev_b64 v[52:53], v52, v[46:47]
	v_lshrrev_b32_e32 v63, 3, v44
	v_sub_u32_e32 v53, 29, v64
	v_and_b32_e32 v52, 7, v52
	v_cmp_gt_u32_e32 vcc, 8, v44
	v_cndmask_b32_e32 v44, v63, v53, vcc
	v_cndmask_b32_e32 v51, v51, v52, vcc
	v_lshlrev_b32_e32 v46, 24, v46
	v_lshlrev_b32_e32 v51, 20, v51
	v_and_b32_e32 v46, 0x80000000, v46
	v_lshl_add_u32 v44, v44, 23, v45
	v_or3_b32 v44, v46, v44, v51
	v_lshrrev_b32_e32 v51, 16, v44
.LBB929_427:                            ;   in Loop: Header=BB929_213 Depth=1
	s_or_b64 exec, exec, s[18:19]
.LBB929_428:                            ;   in Loop: Header=BB929_213 Depth=1
	s_or_b64 exec, exec, s[16:17]
.LBB929_429:                            ;   in Loop: Header=BB929_213 Depth=1
	s_or_b64 exec, exec, s[14:15]
	s_waitcnt vmcnt(2)
	v_cmp_ne_u16_sdwa s[16:17], v42, v43 src0_sel:BYTE_0 src1_sel:DWORD
	s_and_saveexec_b64 s[14:15], s[16:17]
	s_cbranch_execz .LBB929_435
; %bb.430:                              ;   in Loop: Header=BB929_213 Depth=1
	v_cmp_ne_u16_sdwa s[18:19], v42, s9 src0_sel:BYTE_0 src1_sel:DWORD
	v_mov_b32_e32 v50, 0xffff8000
	s_and_saveexec_b64 s[16:17], s[18:19]
	s_cbranch_execz .LBB929_434
; %bb.431:                              ;   in Loop: Header=BB929_213 Depth=1
	v_and_b32_e32 v44, 0x7f, v42
	v_cmp_ne_u32_e32 vcc, s23, v44
	v_mov_b32_e32 v50, 0x7f80
	s_and_saveexec_b64 s[18:19], vcc
	s_cbranch_execz .LBB929_433
; %bb.432:                              ;   in Loop: Header=BB929_213 Depth=1
	v_and_b32_e32 v46, 7, v42
	v_ffbh_u32_e32 v52, v46
	v_min_u32_e32 v63, 32, v52
	v_subrev_u32_e32 v52, 28, v63
	v_lshlrev_b64 v[52:53], v52, v[42:43]
	v_lshrrev_b32_e32 v50, 3, v44
	v_sub_u32_e32 v53, 29, v63
	v_and_b32_e32 v52, 7, v52
	v_cmp_gt_u32_e32 vcc, 8, v44
	v_cndmask_b32_e32 v44, v50, v53, vcc
	v_cndmask_b32_e32 v46, v46, v52, vcc
	v_lshlrev_b32_e32 v50, 24, v42
	v_lshlrev_b32_e32 v46, 20, v46
	v_and_b32_e32 v50, 0x80000000, v50
	v_lshl_add_u32 v44, v44, 23, v45
	v_or3_b32 v44, v50, v44, v46
	v_lshrrev_b32_e32 v50, 16, v44
.LBB929_433:                            ;   in Loop: Header=BB929_213 Depth=1
	s_or_b64 exec, exec, s[18:19]
.LBB929_434:                            ;   in Loop: Header=BB929_213 Depth=1
	s_or_b64 exec, exec, s[16:17]
.LBB929_435:                            ;   in Loop: Header=BB929_213 Depth=1
	s_or_b64 exec, exec, s[14:15]
	v_lshrrev_b16_e32 v44, 8, v42
	v_cmp_ne_u16_e32 vcc, 0, v44
	v_mov_b32_e32 v53, 0
	v_mov_b32_e32 v52, 0
	s_and_saveexec_b64 s[14:15], vcc
	s_cbranch_execz .LBB929_441
; %bb.436:                              ;   in Loop: Header=BB929_213 Depth=1
	v_cmp_ne_u16_e32 vcc, s9, v44
	v_mov_b32_e32 v52, 0xffff8000
	s_and_saveexec_b64 s[16:17], vcc
	s_cbranch_execz .LBB929_440
; %bb.437:                              ;   in Loop: Header=BB929_213 Depth=1
	v_and_b32_e32 v46, 0x7f, v44
	v_cmp_ne_u32_e32 vcc, s23, v46
	v_mov_b32_e32 v52, 0x7f80
	s_and_saveexec_b64 s[18:19], vcc
	s_cbranch_execz .LBB929_439
; %bb.438:                              ;   in Loop: Header=BB929_213 Depth=1
	v_and_b32_e32 v52, 7, v44
	v_ffbh_u32_e32 v64, v52
	v_min_u32_e32 v66, 32, v64
	v_subrev_u32_e32 v64, 28, v66
	v_lshlrev_b64 v[64:65], v64, v[44:45]
	v_lshrrev_b32_e32 v63, 3, v46
	v_sub_u32_e32 v44, 29, v66
	v_and_b32_e32 v64, 7, v64
	v_cmp_gt_u32_e32 vcc, 8, v46
	v_cndmask_b32_e32 v44, v63, v44, vcc
	v_cndmask_b32_e32 v46, v52, v64, vcc
	v_lshlrev_b32_e32 v52, 16, v42
	v_lshlrev_b32_e32 v46, 20, v46
	v_and_b32_e32 v52, 0x80000000, v52
	v_lshl_add_u32 v44, v44, 23, v45
	v_or3_b32 v44, v52, v44, v46
	v_lshrrev_b32_e32 v52, 16, v44
.LBB929_439:                            ;   in Loop: Header=BB929_213 Depth=1
	s_or_b64 exec, exec, s[18:19]
.LBB929_440:                            ;   in Loop: Header=BB929_213 Depth=1
	s_or_b64 exec, exec, s[16:17]
.LBB929_441:                            ;   in Loop: Header=BB929_213 Depth=1
	s_or_b64 exec, exec, s[14:15]
	v_lshrrev_b32_e32 v44, 16, v42
	v_cmp_ne_u16_sdwa s[16:17], v44, v43 src0_sel:BYTE_0 src1_sel:DWORD
	s_and_saveexec_b64 s[14:15], s[16:17]
	s_cbranch_execz .LBB929_447
; %bb.442:                              ;   in Loop: Header=BB929_213 Depth=1
	v_cmp_ne_u16_sdwa s[18:19], v44, s9 src0_sel:BYTE_0 src1_sel:DWORD
	v_mov_b32_e32 v53, 0xffff8000
	s_and_saveexec_b64 s[16:17], s[18:19]
	s_cbranch_execz .LBB929_446
; %bb.443:                              ;   in Loop: Header=BB929_213 Depth=1
	v_bfe_u32 v46, v42, 16, 7
	v_cmp_ne_u32_e32 vcc, s23, v46
	v_mov_b32_e32 v53, 0x7f80
	s_and_saveexec_b64 s[18:19], vcc
	s_cbranch_execz .LBB929_445
; %bb.444:                              ;   in Loop: Header=BB929_213 Depth=1
	v_and_b32_e32 v53, 7, v44
	v_ffbh_u32_e32 v64, v53
	v_min_u32_e32 v66, 32, v64
	v_subrev_u32_e32 v64, 28, v66
	v_lshlrev_b64 v[64:65], v64, v[44:45]
	v_lshrrev_b32_e32 v63, 3, v46
	v_sub_u32_e32 v65, 29, v66
	v_and_b32_e32 v64, 7, v64
	v_cmp_gt_u32_e32 vcc, 8, v46
	v_cndmask_b32_e32 v46, v63, v65, vcc
	v_cndmask_b32_e32 v53, v53, v64, vcc
	v_lshlrev_b32_e32 v44, 24, v44
	v_lshlrev_b32_e32 v53, 20, v53
	v_and_b32_e32 v44, 0x80000000, v44
	v_lshl_add_u32 v46, v46, 23, v45
	v_or3_b32 v44, v44, v46, v53
	v_lshrrev_b32_e32 v53, 16, v44
.LBB929_445:                            ;   in Loop: Header=BB929_213 Depth=1
	s_or_b64 exec, exec, s[18:19]
.LBB929_446:                            ;   in Loop: Header=BB929_213 Depth=1
	s_or_b64 exec, exec, s[16:17]
.LBB929_447:                            ;   in Loop: Header=BB929_213 Depth=1
	s_or_b64 exec, exec, s[14:15]
	v_cmp_lt_u32_e32 vcc, s24, v42
	v_mov_b32_e32 v46, 0
	v_mov_b32_e32 v63, 0
	s_and_saveexec_b64 s[14:15], vcc
	s_cbranch_execz .LBB929_453
; %bb.448:                              ;   in Loop: Header=BB929_213 Depth=1
	v_lshrrev_b32_e32 v44, 24, v42
	v_cmp_ne_u32_e32 vcc, s9, v44
	v_mov_b32_e32 v63, 0xffff8000
	s_and_saveexec_b64 s[16:17], vcc
	s_cbranch_execz .LBB929_452
; %bb.449:                              ;   in Loop: Header=BB929_213 Depth=1
	v_bfe_u32 v42, v42, 24, 7
	v_cmp_ne_u32_e32 vcc, s23, v42
	v_mov_b32_e32 v63, 0x7f80
	s_and_saveexec_b64 s[18:19], vcc
	s_cbranch_execz .LBB929_451
; %bb.450:                              ;   in Loop: Header=BB929_213 Depth=1
	v_and_b32_e32 v63, 7, v44
	v_ffbh_u32_e32 v64, v63
	v_min_u32_e32 v67, 32, v64
	v_subrev_u32_e32 v64, 28, v67
	v_lshlrev_b64 v[64:65], v64, v[44:45]
	v_lshrrev_b32_e32 v66, 3, v42
	v_sub_u32_e32 v65, 29, v67
	v_and_b32_e32 v64, 7, v64
	v_cmp_gt_u32_e32 vcc, 8, v42
	v_cndmask_b32_e32 v42, v66, v65, vcc
	v_cndmask_b32_e32 v63, v63, v64, vcc
	v_lshlrev_b32_e32 v44, 24, v44
	v_lshlrev_b32_e32 v63, 20, v63
	v_and_b32_e32 v44, 0x80000000, v44
	v_lshl_add_u32 v42, v42, 23, v45
	v_or3_b32 v42, v44, v42, v63
	v_lshrrev_b32_e32 v63, 16, v42
.LBB929_451:                            ;   in Loop: Header=BB929_213 Depth=1
	s_or_b64 exec, exec, s[18:19]
.LBB929_452:                            ;   in Loop: Header=BB929_213 Depth=1
	s_or_b64 exec, exec, s[16:17]
.LBB929_453:                            ;   in Loop: Header=BB929_213 Depth=1
	s_or_b64 exec, exec, s[14:15]
	v_perm_b32 v49, v51, v49, s25
	v_perm_b32 v48, v48, v47, s25
	s_waitcnt vmcnt(1)
	v_cmp_ne_u16_sdwa s[16:17], v40, v43 src0_sel:BYTE_0 src1_sel:DWORD
	v_mfma_f32_16x16x16bf16_1k v[34:37], v[48:49], v[18:19], v[34:37]
	v_perm_b32 v49, v63, v53, s25
	v_perm_b32 v48, v52, v50, s25
	s_nop 1
	v_mfma_f32_16x16x16bf16_1k v[34:37], v[48:49], v[20:21], v[34:37]
	s_and_saveexec_b64 s[14:15], s[16:17]
	s_cbranch_execz .LBB929_459
; %bb.454:                              ;   in Loop: Header=BB929_213 Depth=1
	v_cmp_ne_u16_sdwa s[18:19], v40, s9 src0_sel:BYTE_0 src1_sel:DWORD
	v_mov_b32_e32 v46, 0xffff8000
	s_and_saveexec_b64 s[16:17], s[18:19]
	s_cbranch_execz .LBB929_458
; %bb.455:                              ;   in Loop: Header=BB929_213 Depth=1
	v_and_b32_e32 v42, 0x7f, v40
	v_cmp_ne_u32_e32 vcc, s23, v42
	v_mov_b32_e32 v46, 0x7f80
	s_and_saveexec_b64 s[18:19], vcc
	s_cbranch_execz .LBB929_457
; %bb.456:                              ;   in Loop: Header=BB929_213 Depth=1
	v_and_b32_e32 v44, 7, v40
	v_ffbh_u32_e32 v46, v44
	v_min_u32_e32 v49, 32, v46
	v_subrev_u32_e32 v46, 28, v49
	v_lshlrev_b64 v[46:47], v46, v[40:41]
	v_lshrrev_b32_e32 v48, 3, v42
	v_sub_u32_e32 v47, 29, v49
	v_and_b32_e32 v46, 7, v46
	v_cmp_gt_u32_e32 vcc, 8, v42
	v_cndmask_b32_e32 v42, v48, v47, vcc
	v_cndmask_b32_e32 v44, v44, v46, vcc
	v_lshlrev_b32_e32 v46, 24, v40
	v_lshlrev_b32_e32 v44, 20, v44
	v_and_b32_e32 v46, 0x80000000, v46
	v_lshl_add_u32 v42, v42, 23, v45
	v_or3_b32 v42, v46, v42, v44
	v_lshrrev_b32_e32 v46, 16, v42
.LBB929_457:                            ;   in Loop: Header=BB929_213 Depth=1
	s_or_b64 exec, exec, s[18:19]
.LBB929_458:                            ;   in Loop: Header=BB929_213 Depth=1
	s_or_b64 exec, exec, s[16:17]
.LBB929_459:                            ;   in Loop: Header=BB929_213 Depth=1
	s_or_b64 exec, exec, s[14:15]
	v_lshrrev_b16_e32 v42, 8, v40
	v_cmp_ne_u16_e32 vcc, 0, v42
	v_mov_b32_e32 v48, 0
	v_mov_b32_e32 v44, 0
	s_and_saveexec_b64 s[14:15], vcc
	s_cbranch_execz .LBB929_465
; %bb.460:                              ;   in Loop: Header=BB929_213 Depth=1
	v_cmp_ne_u16_e32 vcc, s9, v42
	v_mov_b32_e32 v44, 0xffff8000
	s_and_saveexec_b64 s[16:17], vcc
	s_cbranch_execz .LBB929_464
; %bb.461:                              ;   in Loop: Header=BB929_213 Depth=1
	v_and_b32_e32 v47, 0x7f, v42
	v_cmp_ne_u32_e32 vcc, s23, v47
	v_mov_b32_e32 v44, 0x7f80
	s_and_saveexec_b64 s[18:19], vcc
	s_cbranch_execz .LBB929_463
; %bb.462:                              ;   in Loop: Header=BB929_213 Depth=1
	v_and_b32_e32 v44, 7, v42
	v_ffbh_u32_e32 v50, v44
	v_min_u32_e32 v52, 32, v50
	v_subrev_u32_e32 v50, 28, v52
	v_lshlrev_b64 v[50:51], v50, v[42:43]
	v_lshrrev_b32_e32 v49, 3, v47
	v_sub_u32_e32 v42, 29, v52
	v_and_b32_e32 v50, 7, v50
	v_cmp_gt_u32_e32 vcc, 8, v47
	v_cndmask_b32_e32 v42, v49, v42, vcc
	v_cndmask_b32_e32 v44, v44, v50, vcc
	v_lshlrev_b32_e32 v47, 16, v40
	v_lshlrev_b32_e32 v44, 20, v44
	v_and_b32_e32 v47, 0x80000000, v47
	v_lshl_add_u32 v42, v42, 23, v45
	v_or3_b32 v42, v47, v42, v44
	v_lshrrev_b32_e32 v44, 16, v42
.LBB929_463:                            ;   in Loop: Header=BB929_213 Depth=1
	s_or_b64 exec, exec, s[18:19]
.LBB929_464:                            ;   in Loop: Header=BB929_213 Depth=1
	s_or_b64 exec, exec, s[16:17]
.LBB929_465:                            ;   in Loop: Header=BB929_213 Depth=1
	s_or_b64 exec, exec, s[14:15]
	v_lshrrev_b32_e32 v42, 16, v40
	v_cmp_ne_u16_sdwa s[16:17], v42, v43 src0_sel:BYTE_0 src1_sel:DWORD
	s_and_saveexec_b64 s[14:15], s[16:17]
	s_cbranch_execz .LBB929_471
; %bb.466:                              ;   in Loop: Header=BB929_213 Depth=1
	v_cmp_ne_u16_sdwa s[18:19], v42, s9 src0_sel:BYTE_0 src1_sel:DWORD
	v_mov_b32_e32 v48, 0xffff8000
	s_and_saveexec_b64 s[16:17], s[18:19]
	s_cbranch_execz .LBB929_470
; %bb.467:                              ;   in Loop: Header=BB929_213 Depth=1
	v_bfe_u32 v47, v40, 16, 7
	v_cmp_ne_u32_e32 vcc, s23, v47
	v_mov_b32_e32 v48, 0x7f80
	s_and_saveexec_b64 s[18:19], vcc
	s_cbranch_execz .LBB929_469
; %bb.468:                              ;   in Loop: Header=BB929_213 Depth=1
	v_and_b32_e32 v50, 7, v42
	v_ffbh_u32_e32 v48, v50
	v_min_u32_e32 v52, 32, v48
	v_subrev_u32_e32 v48, 28, v52
	v_lshlrev_b64 v[48:49], v48, v[42:43]
	v_lshrrev_b32_e32 v51, 3, v47
	v_sub_u32_e32 v49, 29, v52
	v_and_b32_e32 v48, 7, v48
	v_cmp_gt_u32_e32 vcc, 8, v47
	v_cndmask_b32_e32 v47, v51, v49, vcc
	v_cndmask_b32_e32 v48, v50, v48, vcc
	v_lshlrev_b32_e32 v42, 24, v42
	v_lshlrev_b32_e32 v48, 20, v48
	v_and_b32_e32 v42, 0x80000000, v42
	v_lshl_add_u32 v47, v47, 23, v45
	v_or3_b32 v42, v42, v47, v48
	v_lshrrev_b32_e32 v48, 16, v42
.LBB929_469:                            ;   in Loop: Header=BB929_213 Depth=1
	s_or_b64 exec, exec, s[18:19]
.LBB929_470:                            ;   in Loop: Header=BB929_213 Depth=1
	s_or_b64 exec, exec, s[16:17]
.LBB929_471:                            ;   in Loop: Header=BB929_213 Depth=1
	s_or_b64 exec, exec, s[14:15]
	v_cmp_lt_u32_e32 vcc, s24, v40
	v_mov_b32_e32 v49, 0
	v_mov_b32_e32 v50, 0
	s_and_saveexec_b64 s[14:15], vcc
	s_cbranch_execz .LBB929_477
; %bb.472:                              ;   in Loop: Header=BB929_213 Depth=1
	v_lshrrev_b32_e32 v42, 24, v40
	v_cmp_ne_u32_e32 vcc, s9, v42
	v_mov_b32_e32 v50, 0xffff8000
	s_and_saveexec_b64 s[16:17], vcc
	s_cbranch_execz .LBB929_476
; %bb.473:                              ;   in Loop: Header=BB929_213 Depth=1
	v_bfe_u32 v40, v40, 24, 7
	v_cmp_ne_u32_e32 vcc, s23, v40
	v_mov_b32_e32 v50, 0x7f80
	s_and_saveexec_b64 s[18:19], vcc
	s_cbranch_execz .LBB929_475
; %bb.474:                              ;   in Loop: Header=BB929_213 Depth=1
	v_and_b32_e32 v47, 7, v42
	v_ffbh_u32_e32 v50, v47
	v_min_u32_e32 v53, 32, v50
	v_subrev_u32_e32 v50, 28, v53
	v_lshlrev_b64 v[50:51], v50, v[42:43]
	v_lshrrev_b32_e32 v52, 3, v40
	v_sub_u32_e32 v51, 29, v53
	v_and_b32_e32 v50, 7, v50
	v_cmp_gt_u32_e32 vcc, 8, v40
	v_cndmask_b32_e32 v40, v52, v51, vcc
	v_cndmask_b32_e32 v47, v47, v50, vcc
	v_lshlrev_b32_e32 v42, 24, v42
	v_lshlrev_b32_e32 v47, 20, v47
	v_and_b32_e32 v42, 0x80000000, v42
	v_lshl_add_u32 v40, v40, 23, v45
	v_or3_b32 v40, v42, v40, v47
	v_lshrrev_b32_e32 v50, 16, v40
.LBB929_475:                            ;   in Loop: Header=BB929_213 Depth=1
	s_or_b64 exec, exec, s[18:19]
.LBB929_476:                            ;   in Loop: Header=BB929_213 Depth=1
	s_or_b64 exec, exec, s[16:17]
.LBB929_477:                            ;   in Loop: Header=BB929_213 Depth=1
	s_or_b64 exec, exec, s[14:15]
	s_waitcnt vmcnt(0)
	v_cmp_ne_u16_sdwa s[16:17], v38, v43 src0_sel:BYTE_0 src1_sel:DWORD
	s_and_saveexec_b64 s[14:15], s[16:17]
	s_cbranch_execz .LBB929_483
; %bb.478:                              ;   in Loop: Header=BB929_213 Depth=1
	v_cmp_ne_u16_sdwa s[18:19], v38, s9 src0_sel:BYTE_0 src1_sel:DWORD
	v_mov_b32_e32 v49, 0xffff8000
	s_and_saveexec_b64 s[16:17], s[18:19]
	s_cbranch_execz .LBB929_482
; %bb.479:                              ;   in Loop: Header=BB929_213 Depth=1
	v_and_b32_e32 v40, 0x7f, v38
	v_cmp_ne_u32_e32 vcc, s23, v40
	v_mov_b32_e32 v49, 0x7f80
	s_and_saveexec_b64 s[18:19], vcc
	s_cbranch_execz .LBB929_481
; %bb.480:                              ;   in Loop: Header=BB929_213 Depth=1
	v_and_b32_e32 v42, 7, v38
	v_ffbh_u32_e32 v49, v42
	v_min_u32_e32 v49, 32, v49
	v_subrev_u32_e32 v51, 28, v49
	v_lshlrev_b64 v[52:53], v51, v[38:39]
	v_lshrrev_b32_e32 v47, 3, v40
	v_sub_u32_e32 v49, 29, v49
	v_and_b32_e32 v51, 7, v52
	v_cmp_gt_u32_e32 vcc, 8, v40
	v_cndmask_b32_e32 v40, v47, v49, vcc
	v_cndmask_b32_e32 v42, v42, v51, vcc
	v_lshlrev_b32_e32 v47, 24, v38
	v_lshlrev_b32_e32 v42, 20, v42
	v_and_b32_e32 v47, 0x80000000, v47
	v_lshl_add_u32 v40, v40, 23, v45
	v_or3_b32 v40, v47, v40, v42
	v_lshrrev_b32_e32 v49, 16, v40
.LBB929_481:                            ;   in Loop: Header=BB929_213 Depth=1
	s_or_b64 exec, exec, s[18:19]
.LBB929_482:                            ;   in Loop: Header=BB929_213 Depth=1
	s_or_b64 exec, exec, s[16:17]
.LBB929_483:                            ;   in Loop: Header=BB929_213 Depth=1
	s_or_b64 exec, exec, s[14:15]
	v_lshrrev_b16_e32 v40, 8, v38
	v_cmp_ne_u16_e32 vcc, 0, v40
	v_mov_b32_e32 v52, 0
	v_mov_b32_e32 v51, 0
	s_and_saveexec_b64 s[14:15], vcc
	s_cbranch_execz .LBB929_489
; %bb.484:                              ;   in Loop: Header=BB929_213 Depth=1
	v_cmp_ne_u16_e32 vcc, s9, v40
	v_mov_b32_e32 v51, 0xffff8000
	s_and_saveexec_b64 s[16:17], vcc
	s_cbranch_execz .LBB929_488
; %bb.485:                              ;   in Loop: Header=BB929_213 Depth=1
	v_and_b32_e32 v42, 0x7f, v40
	v_cmp_ne_u32_e32 vcc, s23, v42
	v_mov_b32_e32 v51, 0x7f80
	s_and_saveexec_b64 s[18:19], vcc
	s_cbranch_execz .LBB929_487
; %bb.486:                              ;   in Loop: Header=BB929_213 Depth=1
	v_and_b32_e32 v47, 7, v40
	v_ffbh_u32_e32 v53, v47
	v_min_u32_e32 v53, 32, v53
	v_subrev_u32_e32 v63, 28, v53
	v_lshlrev_b64 v[64:65], v63, v[40:41]
	v_lshrrev_b32_e32 v51, 3, v42
	v_sub_u32_e32 v40, 29, v53
	v_and_b32_e32 v53, 7, v64
	v_cmp_gt_u32_e32 vcc, 8, v42
	v_cndmask_b32_e32 v40, v51, v40, vcc
	v_cndmask_b32_e32 v42, v47, v53, vcc
	v_lshlrev_b32_e32 v47, 16, v38
	v_lshlrev_b32_e32 v42, 20, v42
	v_and_b32_e32 v47, 0x80000000, v47
	v_lshl_add_u32 v40, v40, 23, v45
	v_or3_b32 v40, v47, v40, v42
	v_lshrrev_b32_e32 v51, 16, v40
.LBB929_487:                            ;   in Loop: Header=BB929_213 Depth=1
	s_or_b64 exec, exec, s[18:19]
.LBB929_488:                            ;   in Loop: Header=BB929_213 Depth=1
	s_or_b64 exec, exec, s[16:17]
.LBB929_489:                            ;   in Loop: Header=BB929_213 Depth=1
	s_or_b64 exec, exec, s[14:15]
	v_lshrrev_b32_e32 v40, 16, v38
	v_cmp_ne_u16_sdwa s[16:17], v40, v43 src0_sel:BYTE_0 src1_sel:DWORD
	s_and_saveexec_b64 s[14:15], s[16:17]
	s_cbranch_execz .LBB929_495
; %bb.490:                              ;   in Loop: Header=BB929_213 Depth=1
	v_cmp_ne_u16_sdwa s[18:19], v40, s9 src0_sel:BYTE_0 src1_sel:DWORD
	v_mov_b32_e32 v52, 0xffff8000
	s_and_saveexec_b64 s[16:17], s[18:19]
	s_cbranch_execz .LBB929_494
; %bb.491:                              ;   in Loop: Header=BB929_213 Depth=1
	v_bfe_u32 v42, v38, 16, 7
	v_cmp_ne_u32_e32 vcc, s23, v42
	v_mov_b32_e32 v52, 0x7f80
	s_and_saveexec_b64 s[18:19], vcc
	s_cbranch_execz .LBB929_493
; %bb.492:                              ;   in Loop: Header=BB929_213 Depth=1
	v_and_b32_e32 v47, 7, v40
	v_ffbh_u32_e32 v52, v47
	v_min_u32_e32 v64, 32, v52
	v_subrev_u32_e32 v52, 28, v64
	v_lshlrev_b64 v[52:53], v52, v[40:41]
	v_lshrrev_b32_e32 v63, 3, v42
	v_sub_u32_e32 v53, 29, v64
	v_and_b32_e32 v52, 7, v52
	v_cmp_gt_u32_e32 vcc, 8, v42
	v_cndmask_b32_e32 v42, v63, v53, vcc
	v_cndmask_b32_e32 v47, v47, v52, vcc
	v_lshlrev_b32_e32 v40, 24, v40
	v_lshlrev_b32_e32 v47, 20, v47
	v_and_b32_e32 v40, 0x80000000, v40
	v_lshl_add_u32 v42, v42, 23, v45
	v_or3_b32 v40, v40, v42, v47
	v_lshrrev_b32_e32 v52, 16, v40
.LBB929_493:                            ;   in Loop: Header=BB929_213 Depth=1
	s_or_b64 exec, exec, s[18:19]
.LBB929_494:                            ;   in Loop: Header=BB929_213 Depth=1
	s_or_b64 exec, exec, s[16:17]
.LBB929_495:                            ;   in Loop: Header=BB929_213 Depth=1
	s_or_b64 exec, exec, s[14:15]
	v_cmp_lt_u32_e32 vcc, s24, v38
	v_mov_b32_e32 v47, 0
	v_mov_b32_e32 v53, 0
	s_and_saveexec_b64 s[14:15], vcc
	s_cbranch_execz .LBB929_501
; %bb.496:                              ;   in Loop: Header=BB929_213 Depth=1
	v_lshrrev_b32_e32 v40, 24, v38
	v_cmp_ne_u32_e32 vcc, s9, v40
	v_mov_b32_e32 v53, 0xffff8000
	s_and_saveexec_b64 s[16:17], vcc
	s_cbranch_execz .LBB929_500
; %bb.497:                              ;   in Loop: Header=BB929_213 Depth=1
	v_bfe_u32 v38, v38, 24, 7
	v_cmp_ne_u32_e32 vcc, s23, v38
	v_mov_b32_e32 v53, 0x7f80
	s_and_saveexec_b64 s[18:19], vcc
	s_cbranch_execz .LBB929_499
; %bb.498:                              ;   in Loop: Header=BB929_213 Depth=1
	v_and_b32_e32 v42, 7, v40
	v_ffbh_u32_e32 v63, v42
	v_min_u32_e32 v63, 32, v63
	v_subrev_u32_e32 v64, 28, v63
	v_lshlrev_b64 v[64:65], v64, v[40:41]
	v_lshrrev_b32_e32 v53, 3, v38
	v_sub_u32_e32 v63, 29, v63
	v_and_b32_e32 v64, 7, v64
	v_cmp_gt_u32_e32 vcc, 8, v38
	v_cndmask_b32_e32 v38, v53, v63, vcc
	v_cndmask_b32_e32 v42, v42, v64, vcc
	v_lshlrev_b32_e32 v40, 24, v40
	v_lshlrev_b32_e32 v42, 20, v42
	v_and_b32_e32 v40, 0x80000000, v40
	v_lshl_add_u32 v38, v38, 23, v45
	v_or3_b32 v38, v40, v38, v42
	v_lshrrev_b32_e32 v53, 16, v38
.LBB929_499:                            ;   in Loop: Header=BB929_213 Depth=1
	s_or_b64 exec, exec, s[18:19]
.LBB929_500:                            ;   in Loop: Header=BB929_213 Depth=1
	s_or_b64 exec, exec, s[16:17]
.LBB929_501:                            ;   in Loop: Header=BB929_213 Depth=1
	s_or_b64 exec, exec, s[14:15]
	v_perm_b32 v64, v44, v46, s25
	buffer_load_dword v44, v62, s[0:3], 0 offen
	buffer_load_dword v42, v62, s[0:3], 0 offen offset:4
	buffer_load_dword v40, v62, s[0:3], 0 offen offset:8
	;; [unrolled: 1-line block ×3, first 2 shown]
	v_perm_b32 v65, v50, v48, s25
	v_perm_b32 v53, v53, v52, s25
	v_perm_b32 v52, v51, v49, s25
	v_mfma_f32_16x16x16bf16_1k v[34:37], v[64:65], v[22:23], v[34:37]
	s_waitcnt vmcnt(3)
	v_cmp_ne_u16_sdwa s[16:17], v44, v43 src0_sel:BYTE_0 src1_sel:DWORD
	v_mfma_f32_16x16x16bf16_1k v[34:37], v[52:53], v[24:25], v[34:37]
	s_and_saveexec_b64 s[14:15], s[16:17]
	s_cbranch_execz .LBB929_507
; %bb.502:                              ;   in Loop: Header=BB929_213 Depth=1
	v_cmp_ne_u16_sdwa s[18:19], v44, s9 src0_sel:BYTE_0 src1_sel:DWORD
	v_mov_b32_e32 v47, 0xffff8000
	s_and_saveexec_b64 s[16:17], s[18:19]
	s_cbranch_execz .LBB929_506
; %bb.503:                              ;   in Loop: Header=BB929_213 Depth=1
	v_and_b32_e32 v46, 0x7f, v44
	v_cmp_ne_u32_e32 vcc, s23, v46
	v_mov_b32_e32 v47, 0x7f80
	s_and_saveexec_b64 s[18:19], vcc
	s_cbranch_execz .LBB929_505
; %bb.504:                              ;   in Loop: Header=BB929_213 Depth=1
	v_and_b32_e32 v47, 7, v44
	v_ffbh_u32_e32 v48, v47
	v_min_u32_e32 v51, 32, v48
	v_subrev_u32_e32 v48, 28, v51
	v_lshlrev_b64 v[48:49], v48, v[44:45]
	v_lshrrev_b32_e32 v50, 3, v46
	v_sub_u32_e32 v49, 29, v51
	v_and_b32_e32 v48, 7, v48
	v_cmp_gt_u32_e32 vcc, 8, v46
	v_cndmask_b32_e32 v46, v50, v49, vcc
	v_cndmask_b32_e32 v47, v47, v48, vcc
	v_lshlrev_b32_e32 v48, 24, v44
	v_lshlrev_b32_e32 v47, 20, v47
	v_and_b32_e32 v48, 0x80000000, v48
	v_lshl_add_u32 v46, v46, 23, v45
	v_or3_b32 v46, v48, v46, v47
	v_lshrrev_b32_e32 v47, 16, v46
.LBB929_505:                            ;   in Loop: Header=BB929_213 Depth=1
	s_or_b64 exec, exec, s[18:19]
.LBB929_506:                            ;   in Loop: Header=BB929_213 Depth=1
	s_or_b64 exec, exec, s[16:17]
.LBB929_507:                            ;   in Loop: Header=BB929_213 Depth=1
	s_or_b64 exec, exec, s[14:15]
	v_lshrrev_b16_e32 v46, 8, v44
	v_cmp_ne_u16_e32 vcc, 0, v46
	v_mov_b32_e32 v49, 0
	v_mov_b32_e32 v48, 0
	s_and_saveexec_b64 s[14:15], vcc
	s_cbranch_execz .LBB929_513
; %bb.508:                              ;   in Loop: Header=BB929_213 Depth=1
	v_cmp_ne_u16_e32 vcc, s9, v46
	v_mov_b32_e32 v48, 0xffff8000
	s_and_saveexec_b64 s[16:17], vcc
	s_cbranch_execz .LBB929_512
; %bb.509:                              ;   in Loop: Header=BB929_213 Depth=1
	v_and_b32_e32 v50, 0x7f, v46
	v_cmp_ne_u32_e32 vcc, s23, v50
	v_mov_b32_e32 v48, 0x7f80
	s_and_saveexec_b64 s[18:19], vcc
	s_cbranch_execz .LBB929_511
; %bb.510:                              ;   in Loop: Header=BB929_213 Depth=1
	v_and_b32_e32 v48, 7, v46
	v_ffbh_u32_e32 v52, v48
	v_min_u32_e32 v62, 32, v52
	v_subrev_u32_e32 v52, 28, v62
	v_lshlrev_b64 v[52:53], v52, v[46:47]
	v_lshrrev_b32_e32 v51, 3, v50
	v_sub_u32_e32 v46, 29, v62
	v_and_b32_e32 v52, 7, v52
	v_cmp_gt_u32_e32 vcc, 8, v50
	v_cndmask_b32_e32 v46, v51, v46, vcc
	v_cndmask_b32_e32 v48, v48, v52, vcc
	v_lshlrev_b32_e32 v50, 16, v44
	v_lshlrev_b32_e32 v48, 20, v48
	v_and_b32_e32 v50, 0x80000000, v50
	v_lshl_add_u32 v46, v46, 23, v45
	v_or3_b32 v46, v50, v46, v48
	v_lshrrev_b32_e32 v48, 16, v46
.LBB929_511:                            ;   in Loop: Header=BB929_213 Depth=1
	s_or_b64 exec, exec, s[18:19]
.LBB929_512:                            ;   in Loop: Header=BB929_213 Depth=1
	s_or_b64 exec, exec, s[16:17]
.LBB929_513:                            ;   in Loop: Header=BB929_213 Depth=1
	s_or_b64 exec, exec, s[14:15]
	v_lshrrev_b32_e32 v46, 16, v44
	v_cmp_ne_u16_sdwa s[16:17], v46, v43 src0_sel:BYTE_0 src1_sel:DWORD
	s_and_saveexec_b64 s[14:15], s[16:17]
	s_cbranch_execz .LBB929_519
; %bb.514:                              ;   in Loop: Header=BB929_213 Depth=1
	v_cmp_ne_u16_sdwa s[18:19], v46, s9 src0_sel:BYTE_0 src1_sel:DWORD
	v_mov_b32_e32 v49, 0xffff8000
	s_and_saveexec_b64 s[16:17], s[18:19]
	s_cbranch_execz .LBB929_518
; %bb.515:                              ;   in Loop: Header=BB929_213 Depth=1
	v_bfe_u32 v50, v44, 16, 7
	v_cmp_ne_u32_e32 vcc, s23, v50
	v_mov_b32_e32 v49, 0x7f80
	s_and_saveexec_b64 s[18:19], vcc
	s_cbranch_execz .LBB929_517
; %bb.516:                              ;   in Loop: Header=BB929_213 Depth=1
	v_and_b32_e32 v49, 7, v46
	v_ffbh_u32_e32 v52, v49
	v_min_u32_e32 v62, 32, v52
	v_subrev_u32_e32 v52, 28, v62
	v_lshlrev_b64 v[52:53], v52, v[46:47]
	v_lshrrev_b32_e32 v51, 3, v50
	v_sub_u32_e32 v53, 29, v62
	v_and_b32_e32 v52, 7, v52
	v_cmp_gt_u32_e32 vcc, 8, v50
	v_cndmask_b32_e32 v50, v51, v53, vcc
	v_cndmask_b32_e32 v49, v49, v52, vcc
	v_lshlrev_b32_e32 v46, 24, v46
	v_lshlrev_b32_e32 v49, 20, v49
	v_and_b32_e32 v46, 0x80000000, v46
	v_lshl_add_u32 v50, v50, 23, v45
	v_or3_b32 v46, v46, v50, v49
	v_lshrrev_b32_e32 v49, 16, v46
.LBB929_517:                            ;   in Loop: Header=BB929_213 Depth=1
	s_or_b64 exec, exec, s[18:19]
.LBB929_518:                            ;   in Loop: Header=BB929_213 Depth=1
	s_or_b64 exec, exec, s[16:17]
.LBB929_519:                            ;   in Loop: Header=BB929_213 Depth=1
	s_or_b64 exec, exec, s[14:15]
	v_cmp_lt_u32_e32 vcc, s24, v44
	v_mov_b32_e32 v50, 0
	v_mov_b32_e32 v51, 0
	s_and_saveexec_b64 s[14:15], vcc
	s_cbranch_execz .LBB929_525
; %bb.520:                              ;   in Loop: Header=BB929_213 Depth=1
	v_lshrrev_b32_e32 v46, 24, v44
	v_cmp_ne_u32_e32 vcc, s9, v46
	v_mov_b32_e32 v51, 0xffff8000
	s_and_saveexec_b64 s[16:17], vcc
	s_cbranch_execz .LBB929_524
; %bb.521:                              ;   in Loop: Header=BB929_213 Depth=1
	v_bfe_u32 v44, v44, 24, 7
	v_cmp_ne_u32_e32 vcc, s23, v44
	v_mov_b32_e32 v51, 0x7f80
	s_and_saveexec_b64 s[18:19], vcc
	s_cbranch_execz .LBB929_523
; %bb.522:                              ;   in Loop: Header=BB929_213 Depth=1
	v_and_b32_e32 v51, 7, v46
	v_ffbh_u32_e32 v52, v51
	v_min_u32_e32 v63, 32, v52
	v_subrev_u32_e32 v52, 28, v63
	v_lshlrev_b64 v[52:53], v52, v[46:47]
	v_lshrrev_b32_e32 v62, 3, v44
	v_sub_u32_e32 v53, 29, v63
	v_and_b32_e32 v52, 7, v52
	v_cmp_gt_u32_e32 vcc, 8, v44
	v_cndmask_b32_e32 v44, v62, v53, vcc
	v_cndmask_b32_e32 v51, v51, v52, vcc
	v_lshlrev_b32_e32 v46, 24, v46
	v_lshlrev_b32_e32 v51, 20, v51
	v_and_b32_e32 v46, 0x80000000, v46
	v_lshl_add_u32 v44, v44, 23, v45
	v_or3_b32 v44, v46, v44, v51
	v_lshrrev_b32_e32 v51, 16, v44
.LBB929_523:                            ;   in Loop: Header=BB929_213 Depth=1
	s_or_b64 exec, exec, s[18:19]
.LBB929_524:                            ;   in Loop: Header=BB929_213 Depth=1
	s_or_b64 exec, exec, s[16:17]
.LBB929_525:                            ;   in Loop: Header=BB929_213 Depth=1
	s_or_b64 exec, exec, s[14:15]
	s_waitcnt vmcnt(2)
	v_cmp_ne_u16_sdwa s[16:17], v42, v43 src0_sel:BYTE_0 src1_sel:DWORD
	s_and_saveexec_b64 s[14:15], s[16:17]
	s_cbranch_execz .LBB929_531
; %bb.526:                              ;   in Loop: Header=BB929_213 Depth=1
	v_cmp_ne_u16_sdwa s[18:19], v42, s9 src0_sel:BYTE_0 src1_sel:DWORD
	v_mov_b32_e32 v50, 0xffff8000
	s_and_saveexec_b64 s[16:17], s[18:19]
	s_cbranch_execz .LBB929_530
; %bb.527:                              ;   in Loop: Header=BB929_213 Depth=1
	v_and_b32_e32 v44, 0x7f, v42
	v_cmp_ne_u32_e32 vcc, s23, v44
	v_mov_b32_e32 v50, 0x7f80
	s_and_saveexec_b64 s[18:19], vcc
	s_cbranch_execz .LBB929_529
; %bb.528:                              ;   in Loop: Header=BB929_213 Depth=1
	v_and_b32_e32 v46, 7, v42
	v_ffbh_u32_e32 v52, v46
	v_min_u32_e32 v62, 32, v52
	v_subrev_u32_e32 v52, 28, v62
	v_lshlrev_b64 v[52:53], v52, v[42:43]
	v_lshrrev_b32_e32 v50, 3, v44
	v_sub_u32_e32 v53, 29, v62
	v_and_b32_e32 v52, 7, v52
	v_cmp_gt_u32_e32 vcc, 8, v44
	v_cndmask_b32_e32 v44, v50, v53, vcc
	v_cndmask_b32_e32 v46, v46, v52, vcc
	v_lshlrev_b32_e32 v50, 24, v42
	v_lshlrev_b32_e32 v46, 20, v46
	v_and_b32_e32 v50, 0x80000000, v50
	v_lshl_add_u32 v44, v44, 23, v45
	v_or3_b32 v44, v50, v44, v46
	v_lshrrev_b32_e32 v50, 16, v44
.LBB929_529:                            ;   in Loop: Header=BB929_213 Depth=1
	s_or_b64 exec, exec, s[18:19]
.LBB929_530:                            ;   in Loop: Header=BB929_213 Depth=1
	s_or_b64 exec, exec, s[16:17]
.LBB929_531:                            ;   in Loop: Header=BB929_213 Depth=1
	s_or_b64 exec, exec, s[14:15]
	v_lshrrev_b16_e32 v44, 8, v42
	v_cmp_ne_u16_e32 vcc, 0, v44
	v_mov_b32_e32 v53, 0
	v_mov_b32_e32 v52, 0
	s_and_saveexec_b64 s[14:15], vcc
	s_cbranch_execz .LBB929_537
; %bb.532:                              ;   in Loop: Header=BB929_213 Depth=1
	v_cmp_ne_u16_e32 vcc, s9, v44
	v_mov_b32_e32 v52, 0xffff8000
	s_and_saveexec_b64 s[16:17], vcc
	s_cbranch_execz .LBB929_536
; %bb.533:                              ;   in Loop: Header=BB929_213 Depth=1
	v_and_b32_e32 v46, 0x7f, v44
	v_cmp_ne_u32_e32 vcc, s23, v46
	v_mov_b32_e32 v52, 0x7f80
	s_and_saveexec_b64 s[18:19], vcc
	s_cbranch_execz .LBB929_535
; %bb.534:                              ;   in Loop: Header=BB929_213 Depth=1
	v_and_b32_e32 v52, 7, v44
	v_ffbh_u32_e32 v62, v52
	v_min_u32_e32 v65, 32, v62
	v_subrev_u32_e32 v62, 28, v65
	v_lshlrev_b64 v[62:63], v62, v[44:45]
	v_lshrrev_b32_e32 v64, 3, v46
	v_sub_u32_e32 v44, 29, v65
	v_and_b32_e32 v62, 7, v62
	v_cmp_gt_u32_e32 vcc, 8, v46
	v_cndmask_b32_e32 v44, v64, v44, vcc
	v_cndmask_b32_e32 v46, v52, v62, vcc
	v_lshlrev_b32_e32 v52, 16, v42
	v_lshlrev_b32_e32 v46, 20, v46
	v_and_b32_e32 v52, 0x80000000, v52
	v_lshl_add_u32 v44, v44, 23, v45
	v_or3_b32 v44, v52, v44, v46
	v_lshrrev_b32_e32 v52, 16, v44
.LBB929_535:                            ;   in Loop: Header=BB929_213 Depth=1
	s_or_b64 exec, exec, s[18:19]
.LBB929_536:                            ;   in Loop: Header=BB929_213 Depth=1
	s_or_b64 exec, exec, s[16:17]
.LBB929_537:                            ;   in Loop: Header=BB929_213 Depth=1
	s_or_b64 exec, exec, s[14:15]
	v_lshrrev_b32_e32 v44, 16, v42
	v_cmp_ne_u16_sdwa s[16:17], v44, v43 src0_sel:BYTE_0 src1_sel:DWORD
	s_and_saveexec_b64 s[14:15], s[16:17]
	s_cbranch_execz .LBB929_543
; %bb.538:                              ;   in Loop: Header=BB929_213 Depth=1
	v_cmp_ne_u16_sdwa s[18:19], v44, s9 src0_sel:BYTE_0 src1_sel:DWORD
	v_mov_b32_e32 v53, 0xffff8000
	s_and_saveexec_b64 s[16:17], s[18:19]
	s_cbranch_execz .LBB929_542
; %bb.539:                              ;   in Loop: Header=BB929_213 Depth=1
	v_bfe_u32 v46, v42, 16, 7
	v_cmp_ne_u32_e32 vcc, s23, v46
	v_mov_b32_e32 v53, 0x7f80
	s_and_saveexec_b64 s[18:19], vcc
	s_cbranch_execz .LBB929_541
; %bb.540:                              ;   in Loop: Header=BB929_213 Depth=1
	v_and_b32_e32 v53, 7, v44
	v_ffbh_u32_e32 v62, v53
	v_min_u32_e32 v65, 32, v62
	v_subrev_u32_e32 v62, 28, v65
	v_lshlrev_b64 v[62:63], v62, v[44:45]
	v_lshrrev_b32_e32 v64, 3, v46
	v_sub_u32_e32 v63, 29, v65
	v_and_b32_e32 v62, 7, v62
	v_cmp_gt_u32_e32 vcc, 8, v46
	v_cndmask_b32_e32 v46, v64, v63, vcc
	v_cndmask_b32_e32 v53, v53, v62, vcc
	v_lshlrev_b32_e32 v44, 24, v44
	v_lshlrev_b32_e32 v53, 20, v53
	v_and_b32_e32 v44, 0x80000000, v44
	v_lshl_add_u32 v46, v46, 23, v45
	v_or3_b32 v44, v44, v46, v53
	v_lshrrev_b32_e32 v53, 16, v44
.LBB929_541:                            ;   in Loop: Header=BB929_213 Depth=1
	s_or_b64 exec, exec, s[18:19]
.LBB929_542:                            ;   in Loop: Header=BB929_213 Depth=1
	s_or_b64 exec, exec, s[16:17]
.LBB929_543:                            ;   in Loop: Header=BB929_213 Depth=1
	s_or_b64 exec, exec, s[14:15]
	v_cmp_lt_u32_e32 vcc, s24, v42
	v_mov_b32_e32 v46, 0
	v_mov_b32_e32 v62, 0
	s_and_saveexec_b64 s[14:15], vcc
	s_cbranch_execz .LBB929_549
; %bb.544:                              ;   in Loop: Header=BB929_213 Depth=1
	v_lshrrev_b32_e32 v44, 24, v42
	v_cmp_ne_u32_e32 vcc, s9, v44
	v_mov_b32_e32 v62, 0xffff8000
	s_and_saveexec_b64 s[16:17], vcc
	s_cbranch_execz .LBB929_548
; %bb.545:                              ;   in Loop: Header=BB929_213 Depth=1
	v_bfe_u32 v42, v42, 24, 7
	v_cmp_ne_u32_e32 vcc, s23, v42
	v_mov_b32_e32 v62, 0x7f80
	s_and_saveexec_b64 s[18:19], vcc
	s_cbranch_execz .LBB929_547
; %bb.546:                              ;   in Loop: Header=BB929_213 Depth=1
	v_and_b32_e32 v64, 7, v44
	v_ffbh_u32_e32 v62, v64
	v_min_u32_e32 v66, 32, v62
	v_subrev_u32_e32 v62, 28, v66
	v_lshlrev_b64 v[62:63], v62, v[44:45]
	v_lshrrev_b32_e32 v65, 3, v42
	v_sub_u32_e32 v63, 29, v66
	v_and_b32_e32 v62, 7, v62
	v_cmp_gt_u32_e32 vcc, 8, v42
	v_cndmask_b32_e32 v42, v65, v63, vcc
	v_cndmask_b32_e32 v62, v64, v62, vcc
	v_lshlrev_b32_e32 v44, 24, v44
	v_lshlrev_b32_e32 v62, 20, v62
	v_and_b32_e32 v44, 0x80000000, v44
	v_lshl_add_u32 v42, v42, 23, v45
	v_or3_b32 v42, v44, v42, v62
	v_lshrrev_b32_e32 v62, 16, v42
.LBB929_547:                            ;   in Loop: Header=BB929_213 Depth=1
	s_or_b64 exec, exec, s[18:19]
.LBB929_548:                            ;   in Loop: Header=BB929_213 Depth=1
	s_or_b64 exec, exec, s[16:17]
.LBB929_549:                            ;   in Loop: Header=BB929_213 Depth=1
	s_or_b64 exec, exec, s[14:15]
	v_perm_b32 v49, v51, v49, s25
	v_perm_b32 v48, v48, v47, s25
	s_waitcnt vmcnt(1)
	v_cmp_ne_u16_sdwa s[16:17], v40, v43 src0_sel:BYTE_0 src1_sel:DWORD
	v_mfma_f32_16x16x16bf16_1k v[34:37], v[48:49], v[26:27], v[34:37]
	v_perm_b32 v49, v62, v53, s25
	v_perm_b32 v48, v52, v50, s25
	s_nop 1
	v_mfma_f32_16x16x16bf16_1k v[34:37], v[48:49], v[28:29], v[34:37]
	s_and_saveexec_b64 s[14:15], s[16:17]
	s_cbranch_execz .LBB929_555
; %bb.550:                              ;   in Loop: Header=BB929_213 Depth=1
	v_cmp_ne_u16_sdwa s[18:19], v40, s9 src0_sel:BYTE_0 src1_sel:DWORD
	v_mov_b32_e32 v46, 0xffff8000
	s_and_saveexec_b64 s[16:17], s[18:19]
	s_cbranch_execz .LBB929_554
; %bb.551:                              ;   in Loop: Header=BB929_213 Depth=1
	v_and_b32_e32 v42, 0x7f, v40
	v_cmp_ne_u32_e32 vcc, s23, v42
	v_mov_b32_e32 v46, 0x7f80
	s_and_saveexec_b64 s[18:19], vcc
	s_cbranch_execz .LBB929_553
; %bb.552:                              ;   in Loop: Header=BB929_213 Depth=1
	v_and_b32_e32 v44, 7, v40
	v_ffbh_u32_e32 v46, v44
	v_min_u32_e32 v49, 32, v46
	v_subrev_u32_e32 v46, 28, v49
	v_lshlrev_b64 v[46:47], v46, v[40:41]
	v_lshrrev_b32_e32 v48, 3, v42
	v_sub_u32_e32 v47, 29, v49
	v_and_b32_e32 v46, 7, v46
	v_cmp_gt_u32_e32 vcc, 8, v42
	v_cndmask_b32_e32 v42, v48, v47, vcc
	v_cndmask_b32_e32 v44, v44, v46, vcc
	v_lshlrev_b32_e32 v46, 24, v40
	v_lshlrev_b32_e32 v44, 20, v44
	v_and_b32_e32 v46, 0x80000000, v46
	v_lshl_add_u32 v42, v42, 23, v45
	v_or3_b32 v42, v46, v42, v44
	v_lshrrev_b32_e32 v46, 16, v42
.LBB929_553:                            ;   in Loop: Header=BB929_213 Depth=1
	s_or_b64 exec, exec, s[18:19]
.LBB929_554:                            ;   in Loop: Header=BB929_213 Depth=1
	s_or_b64 exec, exec, s[16:17]
.LBB929_555:                            ;   in Loop: Header=BB929_213 Depth=1
	s_or_b64 exec, exec, s[14:15]
	v_lshrrev_b16_e32 v42, 8, v40
	v_cmp_ne_u16_e32 vcc, 0, v42
	v_mov_b32_e32 v47, 0
	v_mov_b32_e32 v44, 0
	s_and_saveexec_b64 s[14:15], vcc
	s_cbranch_execz .LBB929_561
; %bb.556:                              ;   in Loop: Header=BB929_213 Depth=1
	v_cmp_ne_u16_e32 vcc, s9, v42
	v_mov_b32_e32 v44, 0xffff8000
	s_and_saveexec_b64 s[16:17], vcc
	s_cbranch_execz .LBB929_560
; %bb.557:                              ;   in Loop: Header=BB929_213 Depth=1
	v_and_b32_e32 v48, 0x7f, v42
	v_cmp_ne_u32_e32 vcc, s23, v48
	v_mov_b32_e32 v44, 0x7f80
	s_and_saveexec_b64 s[18:19], vcc
	s_cbranch_execz .LBB929_559
; %bb.558:                              ;   in Loop: Header=BB929_213 Depth=1
	v_and_b32_e32 v44, 7, v42
	v_ffbh_u32_e32 v50, v44
	v_min_u32_e32 v52, 32, v50
	v_subrev_u32_e32 v50, 28, v52
	v_lshlrev_b64 v[50:51], v50, v[42:43]
	v_lshrrev_b32_e32 v49, 3, v48
	v_sub_u32_e32 v42, 29, v52
	v_and_b32_e32 v50, 7, v50
	v_cmp_gt_u32_e32 vcc, 8, v48
	v_cndmask_b32_e32 v42, v49, v42, vcc
	v_cndmask_b32_e32 v44, v44, v50, vcc
	v_lshlrev_b32_e32 v48, 16, v40
	v_lshlrev_b32_e32 v44, 20, v44
	v_and_b32_e32 v48, 0x80000000, v48
	v_lshl_add_u32 v42, v42, 23, v45
	v_or3_b32 v42, v48, v42, v44
	v_lshrrev_b32_e32 v44, 16, v42
.LBB929_559:                            ;   in Loop: Header=BB929_213 Depth=1
	s_or_b64 exec, exec, s[18:19]
.LBB929_560:                            ;   in Loop: Header=BB929_213 Depth=1
	s_or_b64 exec, exec, s[16:17]
.LBB929_561:                            ;   in Loop: Header=BB929_213 Depth=1
	s_or_b64 exec, exec, s[14:15]
	v_lshrrev_b32_e32 v42, 16, v40
	v_cmp_ne_u16_sdwa s[16:17], v42, v43 src0_sel:BYTE_0 src1_sel:DWORD
	s_and_saveexec_b64 s[14:15], s[16:17]
	s_cbranch_execz .LBB929_567
; %bb.562:                              ;   in Loop: Header=BB929_213 Depth=1
	v_cmp_ne_u16_sdwa s[18:19], v42, s9 src0_sel:BYTE_0 src1_sel:DWORD
	v_mov_b32_e32 v47, 0xffff8000
	s_and_saveexec_b64 s[16:17], s[18:19]
	s_cbranch_execz .LBB929_566
; %bb.563:                              ;   in Loop: Header=BB929_213 Depth=1
	v_bfe_u32 v48, v40, 16, 7
	v_cmp_ne_u32_e32 vcc, s23, v48
	v_mov_b32_e32 v47, 0x7f80
	s_and_saveexec_b64 s[18:19], vcc
	s_cbranch_execz .LBB929_565
; %bb.564:                              ;   in Loop: Header=BB929_213 Depth=1
	v_and_b32_e32 v47, 7, v42
	v_ffbh_u32_e32 v50, v47
	v_min_u32_e32 v52, 32, v50
	v_subrev_u32_e32 v50, 28, v52
	v_lshlrev_b64 v[50:51], v50, v[42:43]
	v_lshrrev_b32_e32 v49, 3, v48
	v_sub_u32_e32 v51, 29, v52
	v_and_b32_e32 v50, 7, v50
	v_cmp_gt_u32_e32 vcc, 8, v48
	v_cndmask_b32_e32 v48, v49, v51, vcc
	v_cndmask_b32_e32 v47, v47, v50, vcc
	v_lshlrev_b32_e32 v42, 24, v42
	v_lshlrev_b32_e32 v47, 20, v47
	v_and_b32_e32 v42, 0x80000000, v42
	v_lshl_add_u32 v48, v48, 23, v45
	v_or3_b32 v42, v42, v48, v47
	v_lshrrev_b32_e32 v47, 16, v42
.LBB929_565:                            ;   in Loop: Header=BB929_213 Depth=1
	s_or_b64 exec, exec, s[18:19]
.LBB929_566:                            ;   in Loop: Header=BB929_213 Depth=1
	s_or_b64 exec, exec, s[16:17]
.LBB929_567:                            ;   in Loop: Header=BB929_213 Depth=1
	s_or_b64 exec, exec, s[14:15]
	v_cmp_lt_u32_e32 vcc, s24, v40
	v_mov_b32_e32 v48, 0
	v_mov_b32_e32 v49, 0
	s_and_saveexec_b64 s[14:15], vcc
	s_cbranch_execz .LBB929_573
; %bb.568:                              ;   in Loop: Header=BB929_213 Depth=1
	v_lshrrev_b32_e32 v42, 24, v40
	v_cmp_ne_u32_e32 vcc, s9, v42
	v_mov_b32_e32 v49, 0xffff8000
	s_and_saveexec_b64 s[16:17], vcc
	s_cbranch_execz .LBB929_572
; %bb.569:                              ;   in Loop: Header=BB929_213 Depth=1
	v_bfe_u32 v40, v40, 24, 7
	v_cmp_ne_u32_e32 vcc, s23, v40
	v_mov_b32_e32 v49, 0x7f80
	s_and_saveexec_b64 s[18:19], vcc
	s_cbranch_execz .LBB929_571
; %bb.570:                              ;   in Loop: Header=BB929_213 Depth=1
	v_and_b32_e32 v49, 7, v42
	v_ffbh_u32_e32 v50, v49
	v_min_u32_e32 v53, 32, v50
	v_subrev_u32_e32 v50, 28, v53
	v_lshlrev_b64 v[50:51], v50, v[42:43]
	v_lshrrev_b32_e32 v52, 3, v40
	v_sub_u32_e32 v51, 29, v53
	v_and_b32_e32 v50, 7, v50
	v_cmp_gt_u32_e32 vcc, 8, v40
	v_cndmask_b32_e32 v40, v52, v51, vcc
	v_cndmask_b32_e32 v49, v49, v50, vcc
	v_lshlrev_b32_e32 v42, 24, v42
	v_lshlrev_b32_e32 v49, 20, v49
	v_and_b32_e32 v42, 0x80000000, v42
	v_lshl_add_u32 v40, v40, 23, v45
	v_or3_b32 v40, v42, v40, v49
	v_lshrrev_b32_e32 v49, 16, v40
.LBB929_571:                            ;   in Loop: Header=BB929_213 Depth=1
	s_or_b64 exec, exec, s[18:19]
.LBB929_572:                            ;   in Loop: Header=BB929_213 Depth=1
	s_or_b64 exec, exec, s[16:17]
.LBB929_573:                            ;   in Loop: Header=BB929_213 Depth=1
	s_or_b64 exec, exec, s[14:15]
	s_waitcnt vmcnt(0)
	v_cmp_ne_u16_sdwa s[16:17], v38, v43 src0_sel:BYTE_0 src1_sel:DWORD
	s_and_saveexec_b64 s[14:15], s[16:17]
	s_cbranch_execz .LBB929_579
; %bb.574:                              ;   in Loop: Header=BB929_213 Depth=1
	v_cmp_ne_u16_sdwa s[18:19], v38, s9 src0_sel:BYTE_0 src1_sel:DWORD
	v_mov_b32_e32 v48, 0xffff8000
	s_and_saveexec_b64 s[16:17], s[18:19]
	s_cbranch_execz .LBB929_578
; %bb.575:                              ;   in Loop: Header=BB929_213 Depth=1
	v_and_b32_e32 v40, 0x7f, v38
	v_cmp_ne_u32_e32 vcc, s23, v40
	v_mov_b32_e32 v48, 0x7f80
	s_and_saveexec_b64 s[18:19], vcc
	s_cbranch_execz .LBB929_577
; %bb.576:                              ;   in Loop: Header=BB929_213 Depth=1
	v_and_b32_e32 v42, 7, v38
	v_ffbh_u32_e32 v50, v42
	v_min_u32_e32 v52, 32, v50
	v_subrev_u32_e32 v50, 28, v52
	v_lshlrev_b64 v[50:51], v50, v[38:39]
	v_lshrrev_b32_e32 v48, 3, v40
	v_sub_u32_e32 v51, 29, v52
	v_and_b32_e32 v50, 7, v50
	v_cmp_gt_u32_e32 vcc, 8, v40
	v_cndmask_b32_e32 v40, v48, v51, vcc
	v_cndmask_b32_e32 v42, v42, v50, vcc
	v_lshlrev_b32_e32 v48, 24, v38
	v_lshlrev_b32_e32 v42, 20, v42
	v_and_b32_e32 v48, 0x80000000, v48
	v_lshl_add_u32 v40, v40, 23, v45
	v_or3_b32 v40, v48, v40, v42
	v_lshrrev_b32_e32 v48, 16, v40
.LBB929_577:                            ;   in Loop: Header=BB929_213 Depth=1
	s_or_b64 exec, exec, s[18:19]
.LBB929_578:                            ;   in Loop: Header=BB929_213 Depth=1
	s_or_b64 exec, exec, s[16:17]
.LBB929_579:                            ;   in Loop: Header=BB929_213 Depth=1
	s_or_b64 exec, exec, s[14:15]
	v_lshrrev_b16_e32 v40, 8, v38
	v_cmp_ne_u16_e32 vcc, 0, v40
	v_mov_b32_e32 v50, 0
	v_mov_b32_e32 v42, 0
	s_and_saveexec_b64 s[14:15], vcc
	s_cbranch_execz .LBB929_585
; %bb.580:                              ;   in Loop: Header=BB929_213 Depth=1
	v_cmp_ne_u16_e32 vcc, s9, v40
	v_mov_b32_e32 v42, 0xffff8000
	s_and_saveexec_b64 s[16:17], vcc
	s_cbranch_execz .LBB929_584
; %bb.581:                              ;   in Loop: Header=BB929_213 Depth=1
	v_and_b32_e32 v51, 0x7f, v40
	v_cmp_ne_u32_e32 vcc, s23, v51
	v_mov_b32_e32 v42, 0x7f80
	s_and_saveexec_b64 s[18:19], vcc
	s_cbranch_execz .LBB929_583
; %bb.582:                              ;   in Loop: Header=BB929_213 Depth=1
	v_and_b32_e32 v42, 7, v40
	v_ffbh_u32_e32 v52, v42
	v_min_u32_e32 v63, 32, v52
	v_subrev_u32_e32 v52, 28, v63
	v_lshlrev_b64 v[52:53], v52, v[40:41]
	v_lshrrev_b32_e32 v62, 3, v51
	v_sub_u32_e32 v40, 29, v63
	v_and_b32_e32 v52, 7, v52
	v_cmp_gt_u32_e32 vcc, 8, v51
	v_cndmask_b32_e32 v40, v62, v40, vcc
	v_cndmask_b32_e32 v42, v42, v52, vcc
	v_lshlrev_b32_e32 v51, 16, v38
	v_lshlrev_b32_e32 v42, 20, v42
	v_and_b32_e32 v51, 0x80000000, v51
	v_lshl_add_u32 v40, v40, 23, v45
	v_or3_b32 v40, v51, v40, v42
	v_lshrrev_b32_e32 v42, 16, v40
.LBB929_583:                            ;   in Loop: Header=BB929_213 Depth=1
	s_or_b64 exec, exec, s[18:19]
.LBB929_584:                            ;   in Loop: Header=BB929_213 Depth=1
	s_or_b64 exec, exec, s[16:17]
.LBB929_585:                            ;   in Loop: Header=BB929_213 Depth=1
	s_or_b64 exec, exec, s[14:15]
	v_lshrrev_b32_e32 v40, 16, v38
	v_cmp_ne_u16_sdwa s[16:17], v40, v43 src0_sel:BYTE_0 src1_sel:DWORD
	s_and_saveexec_b64 s[14:15], s[16:17]
	s_cbranch_execz .LBB929_591
; %bb.586:                              ;   in Loop: Header=BB929_213 Depth=1
	v_cmp_ne_u16_sdwa s[18:19], v40, s9 src0_sel:BYTE_0 src1_sel:DWORD
	v_mov_b32_e32 v50, 0xffff8000
	s_and_saveexec_b64 s[16:17], s[18:19]
	s_cbranch_execz .LBB929_590
; %bb.587:                              ;   in Loop: Header=BB929_213 Depth=1
	v_bfe_u32 v51, v38, 16, 7
	v_cmp_ne_u32_e32 vcc, s23, v51
	v_mov_b32_e32 v50, 0x7f80
	s_and_saveexec_b64 s[18:19], vcc
	s_cbranch_execz .LBB929_589
; %bb.588:                              ;   in Loop: Header=BB929_213 Depth=1
	v_and_b32_e32 v50, 7, v40
	v_ffbh_u32_e32 v52, v50
	v_min_u32_e32 v63, 32, v52
	v_subrev_u32_e32 v52, 28, v63
	v_lshlrev_b64 v[52:53], v52, v[40:41]
	v_lshrrev_b32_e32 v62, 3, v51
	v_sub_u32_e32 v53, 29, v63
	v_and_b32_e32 v52, 7, v52
	v_cmp_gt_u32_e32 vcc, 8, v51
	v_cndmask_b32_e32 v51, v62, v53, vcc
	v_cndmask_b32_e32 v50, v50, v52, vcc
	v_lshlrev_b32_e32 v40, 24, v40
	v_lshlrev_b32_e32 v50, 20, v50
	v_and_b32_e32 v40, 0x80000000, v40
	v_lshl_add_u32 v51, v51, 23, v45
	v_or3_b32 v40, v40, v51, v50
	v_lshrrev_b32_e32 v50, 16, v40
.LBB929_589:                            ;   in Loop: Header=BB929_213 Depth=1
	s_or_b64 exec, exec, s[18:19]
.LBB929_590:                            ;   in Loop: Header=BB929_213 Depth=1
	s_or_b64 exec, exec, s[16:17]
.LBB929_591:                            ;   in Loop: Header=BB929_213 Depth=1
	s_or_b64 exec, exec, s[14:15]
	v_cmp_lt_u32_e32 vcc, s24, v38
	v_mov_b32_e32 v51, 0
	s_and_saveexec_b64 s[14:15], vcc
	s_cbranch_execz .LBB929_212
; %bb.592:                              ;   in Loop: Header=BB929_213 Depth=1
	v_lshrrev_b32_e32 v40, 24, v38
	v_cmp_ne_u32_e32 vcc, s9, v40
	v_mov_b32_e32 v51, 0xffff8000
	s_and_saveexec_b64 s[16:17], vcc
	s_cbranch_execz .LBB929_211
; %bb.593:                              ;   in Loop: Header=BB929_213 Depth=1
	v_bfe_u32 v38, v38, 24, 7
	v_cmp_ne_u32_e32 vcc, s23, v38
	v_mov_b32_e32 v51, 0x7f80
	s_and_saveexec_b64 s[18:19], vcc
	s_cbranch_execz .LBB929_210
; %bb.594:                              ;   in Loop: Header=BB929_213 Depth=1
	v_and_b32_e32 v51, 7, v40
	v_ffbh_u32_e32 v52, v51
	v_min_u32_e32 v63, 32, v52
	v_subrev_u32_e32 v52, 28, v63
	v_lshlrev_b64 v[52:53], v52, v[40:41]
	v_lshrrev_b32_e32 v62, 3, v38
	v_sub_u32_e32 v53, 29, v63
	v_and_b32_e32 v52, 7, v52
	v_cmp_gt_u32_e32 vcc, 8, v38
	v_cndmask_b32_e32 v38, v62, v53, vcc
	v_cndmask_b32_e32 v51, v51, v52, vcc
	v_lshlrev_b32_e32 v40, 24, v40
	v_lshlrev_b32_e32 v51, 20, v51
	v_and_b32_e32 v40, 0x80000000, v40
	v_lshl_add_u32 v38, v38, 23, v45
	v_or3_b32 v38, v40, v38, v51
	v_lshrrev_b32_e32 v51, 16, v38
	s_branch .LBB929_210
.LBB929_595:
	s_barrier
	buffer_load_dword v2, off, s[0:3], 0 offset:320
	buffer_load_dword v5, off, s[0:3], 0 offset:332
	;; [unrolled: 1-line block ×4, first 2 shown]
	s_waitcnt vmcnt(0)
	ds_write2st64_b64 v39, v[2:3], v[4:5] offset1:1
	s_waitcnt lgkmcnt(0)
	s_barrier
	s_and_saveexec_b64 s[4:5], s[6:7]
	s_cbranch_execz .LBB929_597
; %bb.596:
	s_lshl_b32 s6, s54, 7
	s_mul_i32 s4, s20, s8
	s_mul_hi_u32 s5, s4, s6
	s_mul_i32 s4, s4, s6
	s_lshl_b64 s[4:5], s[4:5], 1
	s_add_u32 s7, s52, s4
	v_lshlrev_b32_e32 v3, 6, v55
	s_addc_u32 s8, s53, s5
	s_lshl_b32 s4, s26, 7
	s_mov_b32 s5, 0
	v_lshl_or_b32 v0, v0, 10, v3
	s_lshl_b64 s[4:5], s[4:5], 1
	v_and_b32_e32 v2, 16, v57
	v_and_b32_e32 v0, 0x1a00, v0
	s_add_u32 s7, s7, s4
	v_or3_b32 v0, v0, v56, v2
	s_addc_u32 s8, s8, s5
	v_mad_u64_u32 v[6:7], s[4:5], s6, v54, 0
	ds_read_b128 v[2:5], v0
	v_lshlrev_b64 v[6:7], 1, v[6:7]
	v_mov_b32_e32 v0, s8
	v_add_co_u32_e32 v6, vcc, s7, v6
	v_addc_co_u32_e32 v7, vcc, v0, v7, vcc
	v_add_co_u32_e32 v0, vcc, v6, v1
	v_addc_co_u32_e32 v1, vcc, 0, v7, vcc
	s_waitcnt lgkmcnt(0)
	global_store_dwordx4 v[0:1], v[2:5], off
.LBB929_597:
	s_endpgm
	.section	.rodata,"a",@progbits
	.p2align	6, 0x0
	.amdhsa_kernel _Z39paged_attention_ll4mi_QKV_mfma16_kernelI14__hip_bfloat16hLN4vllm18Fp8KVCacheDataTypeE1ES0_Li16ELi128ELi256ELb0ELi4EL8MFMAType0EEvPKT_PKT0_S9_ifPKiSB_SB_iPKfiiiPfSE_PS4_PT2_iSD_SD_
		.amdhsa_group_segment_fixed_size 8192
		.amdhsa_private_segment_fixed_size 352
		.amdhsa_kernarg_size 400
		.amdhsa_user_sgpr_count 8
		.amdhsa_user_sgpr_private_segment_buffer 1
		.amdhsa_user_sgpr_dispatch_ptr 0
		.amdhsa_user_sgpr_queue_ptr 0
		.amdhsa_user_sgpr_kernarg_segment_ptr 1
		.amdhsa_user_sgpr_dispatch_id 0
		.amdhsa_user_sgpr_flat_scratch_init 1
		.amdhsa_user_sgpr_kernarg_preload_length 0
		.amdhsa_user_sgpr_kernarg_preload_offset 0
		.amdhsa_user_sgpr_private_segment_size 0
		.amdhsa_uses_dynamic_stack 0
		.amdhsa_system_sgpr_private_segment_wavefront_offset 1
		.amdhsa_system_sgpr_workgroup_id_x 1
		.amdhsa_system_sgpr_workgroup_id_y 1
		.amdhsa_system_sgpr_workgroup_id_z 1
		.amdhsa_system_sgpr_workgroup_info 0
		.amdhsa_system_vgpr_workitem_id 0
		.amdhsa_next_free_vgpr 80
		.amdhsa_next_free_sgpr 56
		.amdhsa_accum_offset 80
		.amdhsa_reserve_vcc 1
		.amdhsa_reserve_flat_scratch 0
		.amdhsa_float_round_mode_32 0
		.amdhsa_float_round_mode_16_64 0
		.amdhsa_float_denorm_mode_32 3
		.amdhsa_float_denorm_mode_16_64 3
		.amdhsa_dx10_clamp 1
		.amdhsa_ieee_mode 1
		.amdhsa_fp16_overflow 0
		.amdhsa_tg_split 0
		.amdhsa_exception_fp_ieee_invalid_op 0
		.amdhsa_exception_fp_denorm_src 0
		.amdhsa_exception_fp_ieee_div_zero 0
		.amdhsa_exception_fp_ieee_overflow 0
		.amdhsa_exception_fp_ieee_underflow 0
		.amdhsa_exception_fp_ieee_inexact 0
		.amdhsa_exception_int_div_zero 0
	.end_amdhsa_kernel
	.section	.text._Z39paged_attention_ll4mi_QKV_mfma16_kernelI14__hip_bfloat16hLN4vllm18Fp8KVCacheDataTypeE1ES0_Li16ELi128ELi256ELb0ELi4EL8MFMAType0EEvPKT_PKT0_S9_ifPKiSB_SB_iPKfiiiPfSE_PS4_PT2_iSD_SD_,"axG",@progbits,_Z39paged_attention_ll4mi_QKV_mfma16_kernelI14__hip_bfloat16hLN4vllm18Fp8KVCacheDataTypeE1ES0_Li16ELi128ELi256ELb0ELi4EL8MFMAType0EEvPKT_PKT0_S9_ifPKiSB_SB_iPKfiiiPfSE_PS4_PT2_iSD_SD_,comdat
.Lfunc_end929:
	.size	_Z39paged_attention_ll4mi_QKV_mfma16_kernelI14__hip_bfloat16hLN4vllm18Fp8KVCacheDataTypeE1ES0_Li16ELi128ELi256ELb0ELi4EL8MFMAType0EEvPKT_PKT0_S9_ifPKiSB_SB_iPKfiiiPfSE_PS4_PT2_iSD_SD_, .Lfunc_end929-_Z39paged_attention_ll4mi_QKV_mfma16_kernelI14__hip_bfloat16hLN4vllm18Fp8KVCacheDataTypeE1ES0_Li16ELi128ELi256ELb0ELi4EL8MFMAType0EEvPKT_PKT0_S9_ifPKiSB_SB_iPKfiiiPfSE_PS4_PT2_iSD_SD_
                                        ; -- End function
	.section	.AMDGPU.csdata,"",@progbits
; Kernel info:
; codeLenInByte = 22108
; NumSgprs: 60
; NumVgprs: 80
; NumAgprs: 0
; TotalNumVgprs: 80
; ScratchSize: 352
; MemoryBound: 0
; FloatMode: 240
; IeeeMode: 1
; LDSByteSize: 8192 bytes/workgroup (compile time only)
; SGPRBlocks: 7
; VGPRBlocks: 9
; NumSGPRsForWavesPerEU: 60
; NumVGPRsForWavesPerEU: 80
; AccumOffset: 80
; Occupancy: 6
; WaveLimiterHint : 1
; COMPUTE_PGM_RSRC2:SCRATCH_EN: 1
; COMPUTE_PGM_RSRC2:USER_SGPR: 8
; COMPUTE_PGM_RSRC2:TRAP_HANDLER: 0
; COMPUTE_PGM_RSRC2:TGID_X_EN: 1
; COMPUTE_PGM_RSRC2:TGID_Y_EN: 1
; COMPUTE_PGM_RSRC2:TGID_Z_EN: 1
; COMPUTE_PGM_RSRC2:TIDIG_COMP_CNT: 0
; COMPUTE_PGM_RSRC3_GFX90A:ACCUM_OFFSET: 19
; COMPUTE_PGM_RSRC3_GFX90A:TG_SPLIT: 0
	.section	.text._Z39paged_attention_ll4mi_QKV_mfma16_kernelI14__hip_bfloat16hLN4vllm18Fp8KVCacheDataTypeE1ES0_Li32ELi128ELi256ELb1ELi5EL8MFMAType0EEvPKT_PKT0_S9_ifPKiSB_SB_iPKfiiiPfSE_PS4_PT2_iSD_SD_,"axG",@progbits,_Z39paged_attention_ll4mi_QKV_mfma16_kernelI14__hip_bfloat16hLN4vllm18Fp8KVCacheDataTypeE1ES0_Li32ELi128ELi256ELb1ELi5EL8MFMAType0EEvPKT_PKT0_S9_ifPKiSB_SB_iPKfiiiPfSE_PS4_PT2_iSD_SD_,comdat
	.protected	_Z39paged_attention_ll4mi_QKV_mfma16_kernelI14__hip_bfloat16hLN4vllm18Fp8KVCacheDataTypeE1ES0_Li32ELi128ELi256ELb1ELi5EL8MFMAType0EEvPKT_PKT0_S9_ifPKiSB_SB_iPKfiiiPfSE_PS4_PT2_iSD_SD_ ; -- Begin function _Z39paged_attention_ll4mi_QKV_mfma16_kernelI14__hip_bfloat16hLN4vllm18Fp8KVCacheDataTypeE1ES0_Li32ELi128ELi256ELb1ELi5EL8MFMAType0EEvPKT_PKT0_S9_ifPKiSB_SB_iPKfiiiPfSE_PS4_PT2_iSD_SD_
	.globl	_Z39paged_attention_ll4mi_QKV_mfma16_kernelI14__hip_bfloat16hLN4vllm18Fp8KVCacheDataTypeE1ES0_Li32ELi128ELi256ELb1ELi5EL8MFMAType0EEvPKT_PKT0_S9_ifPKiSB_SB_iPKfiiiPfSE_PS4_PT2_iSD_SD_
	.p2align	8
	.type	_Z39paged_attention_ll4mi_QKV_mfma16_kernelI14__hip_bfloat16hLN4vllm18Fp8KVCacheDataTypeE1ES0_Li32ELi128ELi256ELb1ELi5EL8MFMAType0EEvPKT_PKT0_S9_ifPKiSB_SB_iPKfiiiPfSE_PS4_PT2_iSD_SD_,@function
_Z39paged_attention_ll4mi_QKV_mfma16_kernelI14__hip_bfloat16hLN4vllm18Fp8KVCacheDataTypeE1ES0_Li32ELi128ELi256ELb1ELi5EL8MFMAType0EEvPKT_PKT0_S9_ifPKiSB_SB_iPKfiiiPfSE_PS4_PT2_iSD_SD_: ; @_Z39paged_attention_ll4mi_QKV_mfma16_kernelI14__hip_bfloat16hLN4vllm18Fp8KVCacheDataTypeE1ES0_Li32ELi128ELi256ELb1ELi5EL8MFMAType0EEvPKT_PKT0_S9_ifPKiSB_SB_iPKfiiiPfSE_PS4_PT2_iSD_SD_
; %bb.0:
	s_load_dwordx2 s[6:7], s[4:5], 0x30
	s_add_u32 s0, s0, s11
	s_addc_u32 s1, s1, 0
	s_mov_b32 s26, s9
	s_mov_b64 s[14:15], 0
	s_waitcnt lgkmcnt(0)
	s_cmp_lg_u64 s[6:7], 0
	s_cselect_b64 s[12:13], -1, 0
	s_and_b64 vcc, exec, s[12:13]
	s_cbranch_vccz .LBB930_7
; %bb.1:
	s_add_i32 s16, s8, 1
	s_mov_b32 s17, 0
	s_lshl_b64 s[18:19], s[16:17], 2
	s_add_u32 s18, s6, s18
	s_mov_b32 s9, s17
	s_addc_u32 s19, s7, s19
	s_lshl_b64 s[16:17], s[8:9], 2
	s_add_u32 s16, s6, s16
	s_addc_u32 s17, s7, s17
	s_load_dword s11, s[18:19], 0x0
	s_load_dword s20, s[16:17], 0x0
	s_waitcnt lgkmcnt(0)
	s_sub_i32 s11, s11, s20
	s_cmp_eq_u32 s11, 1
	s_cselect_b64 s[16:17], -1, 0
	s_andn2_b64 vcc, exec, s[14:15]
	s_cbranch_vccnz .LBB930_3
.LBB930_2:
	s_mov_b32 s9, 0
	s_mov_b64 s[16:17], -1
.LBB930_3:
	s_andn2_b64 vcc, exec, s[16:17]
	s_cbranch_vccnz .LBB930_600
; %bb.4:
	s_load_dwordx2 s[16:17], s[4:5], 0x28
	s_lshl_b64 s[14:15], s[8:9], 2
	s_waitcnt lgkmcnt(0)
	s_add_u32 s16, s16, s14
	s_addc_u32 s17, s17, s15
	s_load_dword s33, s[16:17], 0x0
	s_lshl_b32 s20, s26, 8
	s_waitcnt lgkmcnt(0)
	s_cmp_ge_i32 s20, s33
	s_cbranch_scc1 .LBB930_600
; %bb.5:
	s_add_i32 s18, s33, 31
	s_load_dwordx2 s[16:17], s[4:5], 0x20
	s_load_dword s11, s[4:5], 0x38
	s_ashr_i32 s19, s18, 31
	v_and_b32_e32 v1, 0xcf, v0
	s_lshr_b32 s19, s19, 27
	v_add_u32_e32 v1, s20, v1
	s_add_i32 s18, s18, s19
	v_ashrrev_i32_e32 v2, 31, v1
	s_ashr_i32 s23, s18, 5
	v_lshrrev_b32_e32 v4, 27, v2
	s_add_i32 s23, s23, -1
	v_add_u32_e32 v2, v1, v4
	s_waitcnt lgkmcnt(0)
	s_mul_i32 s18, s8, s11
	s_mov_b32 s19, 0
	v_ashrrev_i32_e32 v2, 5, v2
	v_mov_b32_e32 v5, s23
	v_cmp_gt_i32_e32 vcc, s33, v1
	s_lshl_b64 s[18:19], s[18:19], 2
	v_cndmask_b32_e32 v2, v5, v2, vcc
	s_add_u32 s21, s16, s18
	v_ashrrev_i32_e32 v3, 31, v2
	s_addc_u32 s22, s17, s19
	v_lshlrev_b64 v[2:3], 2, v[2:3]
	v_mov_b32_e32 v7, s22
	v_add_co_u32_e32 v6, vcc, s21, v2
	v_or_b32_e32 v2, 16, v1
	v_addc_co_u32_e32 v7, vcc, v7, v3, vcc
	v_add_u32_e32 v3, v2, v4
	v_ashrrev_i32_e32 v3, 5, v3
	v_cmp_gt_i32_e32 vcc, s33, v2
	v_cndmask_b32_e32 v2, v5, v3, vcc
	v_ashrrev_i32_e32 v3, 31, v2
	v_lshlrev_b64 v[2:3], 2, v[2:3]
	v_mov_b32_e32 v9, s22
	v_add_co_u32_e32 v8, vcc, s21, v2
	v_or_b32_e32 v2, 32, v1
	v_addc_co_u32_e32 v9, vcc, v9, v3, vcc
	v_add_u32_e32 v3, v2, v4
	v_ashrrev_i32_e32 v3, 5, v3
	v_cmp_gt_i32_e32 vcc, s33, v2
	v_cndmask_b32_e32 v2, v5, v3, vcc
	v_ashrrev_i32_e32 v3, 31, v2
	;; [unrolled: 10-line block ×3, first 2 shown]
	v_lshlrev_b64 v[2:3], 2, v[2:3]
	v_mov_b32_e32 v1, s22
	v_add_co_u32_e32 v12, vcc, s21, v2
	v_addc_co_u32_e32 v13, vcc, v1, v3, vcc
	global_load_dword v5, v[6:7], off
	global_load_dword v4, v[8:9], off
	;; [unrolled: 1-line block ×4, first 2 shown]
	s_load_dwordx2 s[16:17], s[4:5], 0x8
	s_andn2_b64 vcc, exec, s[12:13]
	s_cbranch_vccnz .LBB930_8
; %bb.6:
	s_add_u32 s6, s6, s14
	s_addc_u32 s7, s7, s15
	s_load_dword s11, s[6:7], 0x0
	s_branch .LBB930_9
.LBB930_7:
	s_mov_b64 s[16:17], 0
	s_branch .LBB930_2
.LBB930_8:
	s_mov_b32 s11, s8
.LBB930_9:
	s_load_dwordx2 s[6:7], s[4:5], 0x10
	s_load_dwordx4 s[12:15], s[4:5], 0x48
	v_lshrrev_b32_e32 v27, 6, v0
	v_bfe_u32 v1, v0, 4, 2
	v_and_b32_e32 v41, 15, v0
	v_lshl_or_b32 v6, v27, 2, v1
	v_lshlrev_b32_e32 v7, 3, v41
	s_mul_i32 s27, s10, 5
	v_cmp_gt_u32_e32 vcc, 5, v6
	v_lshlrev_b32_e32 v39, 1, v7
	v_lshlrev_b32_e32 v43, 4, v0
	s_and_saveexec_b64 s[18:19], vcc
	s_cbranch_execz .LBB930_11
; %bb.10:
	s_load_dwordx2 s[24:25], s[4:5], 0x0
	s_waitcnt lgkmcnt(0)
	s_ashr_i32 s15, s12, 31
	s_mul_hi_u32 s28, s11, s12
	s_mul_i32 s15, s11, s15
	s_add_i32 s29, s28, s15
	s_mul_i32 s28, s11, s12
	s_lshl_b64 s[28:29], s[28:29], 1
	v_add_lshl_u32 v8, v6, s27, 7
	s_add_u32 s11, s24, s28
	v_ashrrev_i32_e32 v9, 31, v8
	s_addc_u32 s12, s25, s29
	v_lshlrev_b64 v[8:9], 1, v[8:9]
	v_mov_b32_e32 v7, s12
	v_add_co_u32_e32 v8, vcc, s11, v8
	v_addc_co_u32_e32 v7, vcc, v7, v9, vcc
	v_add_co_u32_e32 v8, vcc, v8, v39
	v_addc_co_u32_e32 v9, vcc, 0, v7, vcc
	global_load_dwordx4 v[8:11], v[8:9], off
	v_lshlrev_b32_e32 v12, 8, v0
	v_lshlrev_b32_e32 v7, 8, v41
	v_and_b32_e32 v12, 0x600, v12
	s_movk_i32 s11, 0x800
	v_and_or_b32 v7, v7, s11, v12
	v_lshlrev_b32_e32 v6, 5, v6
	v_and_b32_e32 v12, 16, v43
	v_or3_b32 v6, v7, v6, v12
	s_waitcnt vmcnt(0)
	ds_write_b128 v6, v[8:11]
.LBB930_11:
	s_or_b64 exec, exec, s[18:19]
	s_waitcnt lgkmcnt(0)
	s_mul_i32 s14, s10, s14
	s_add_u32 s10, s16, s14
	s_addc_u32 s11, s17, 0
	v_pk_mov_b32 v[6:7], s[10:11], s[10:11] op_sel:[0,1]
	s_waitcnt vmcnt(3)
	v_mad_i64_i32 v[8:9], s[10:11], v5, s13, v[6:7]
	v_lshlrev_b32_e32 v11, 4, v41
	v_and_b32_e32 v18, 48, v0
	v_add_co_u32_e32 v5, vcc, v8, v11
	v_lshlrev_b32_e32 v10, 5, v18
	v_addc_co_u32_e32 v9, vcc, 0, v9, vcc
	v_add_co_u32_e32 v8, vcc, v5, v10
	v_addc_co_u32_e32 v9, vcc, 0, v9, vcc
	s_load_dwordx2 s[48:49], s[4:5], 0x94
	s_waitcnt lgkmcnt(0)
	s_barrier
	global_load_dwordx4 v[20:23], v[8:9], off
	global_load_dwordx4 v[28:31], v[8:9], off offset:2048
	s_waitcnt vmcnt(4)
	v_mad_i64_i32 v[4:5], s[10:11], v4, s13, v[6:7]
	v_or_b32_e32 v8, 0x100, v11
	v_add_co_u32_e32 v4, vcc, v4, v8
	v_addc_co_u32_e32 v5, vcc, 0, v5, vcc
	v_add_co_u32_e32 v4, vcc, v4, v10
	v_addc_co_u32_e32 v5, vcc, 0, v5, vcc
	global_load_dwordx4 v[32:35], v[4:5], off
	global_load_dwordx4 v[44:47], v[4:5], off offset:2048
	s_waitcnt vmcnt(5)
	v_mad_i64_i32 v[4:5], s[10:11], v3, s13, v[6:7]
	v_add_co_u32_e32 v3, vcc, v4, v11
	v_addc_co_u32_e32 v5, vcc, 0, v5, vcc
	v_add_co_u32_e32 v4, vcc, v3, v10
	v_addc_co_u32_e32 v5, vcc, 0, v5, vcc
	s_waitcnt vmcnt(4)
	v_mad_i64_i32 v[2:3], s[10:11], v2, s13, v[6:7]
	v_add_co_u32_e32 v2, vcc, v2, v8
	v_addc_co_u32_e32 v3, vcc, 0, v3, vcc
	v_add_co_u32_e32 v2, vcc, v2, v10
	v_addc_co_u32_e32 v3, vcc, 0, v3, vcc
	global_load_dwordx4 v[48:51], v[4:5], off
	global_load_dwordx4 v[52:55], v[4:5], off offset:2048
	global_load_dwordx4 v[56:59], v[2:3], off
	global_load_dwordx4 v[60:63], v[2:3], off offset:2048
	v_mul_lo_u16_e32 v2, 52, v41
	v_mov_b32_e32 v3, 5
	v_mul_lo_u16_sdwa v2, v2, v3 dst_sel:DWORD dst_unused:UNUSED_PAD src0_sel:BYTE_1 src1_sel:DWORD
	v_sub_u16_e32 v2, v41, v2
	v_lshlrev_b32_sdwa v2, v3, v2 dst_sel:DWORD dst_unused:UNUSED_PAD src0_sel:DWORD src1_sel:BYTE_0
	v_lshl_add_u32 v14, v1, 9, v2
	s_load_dwordx2 s[50:51], s[4:5], 0x68
	s_load_dwordx4 s[44:47], s[4:5], 0x58
	ds_read_b128 v[2:5], v14
	ds_read_b128 v[6:9], v14 offset:16
	ds_read_b128 v[10:13], v14 offset:2048
	;; [unrolled: 1-line block ×3, first 2 shown]
	s_mov_b32 s12, 0
	v_cmp_gt_u32_e32 vcc, 5, v41
	s_waitcnt vmcnt(7)
	buffer_store_dword v23, off, s[0:3], 0 offset:12
	buffer_store_dword v22, off, s[0:3], 0 offset:8
	;; [unrolled: 1-line block ×3, first 2 shown]
	buffer_store_dword v20, off, s[0:3], 0
	s_waitcnt vmcnt(10)
	buffer_store_dword v31, off, s[0:3], 0 offset:28
	buffer_store_dword v30, off, s[0:3], 0 offset:24
	buffer_store_dword v29, off, s[0:3], 0 offset:20
	buffer_store_dword v28, off, s[0:3], 0 offset:16
	s_waitcnt vmcnt(13)
	buffer_store_dword v35, off, s[0:3], 0 offset:44
	buffer_store_dword v34, off, s[0:3], 0 offset:40
	buffer_store_dword v33, off, s[0:3], 0 offset:36
	buffer_store_dword v32, off, s[0:3], 0 offset:32
	s_waitcnt vmcnt(16)
	buffer_store_dword v47, off, s[0:3], 0 offset:60
	buffer_store_dword v46, off, s[0:3], 0 offset:56
	buffer_store_dword v45, off, s[0:3], 0 offset:52
	buffer_store_dword v44, off, s[0:3], 0 offset:48
	s_waitcnt vmcnt(19)
	buffer_store_dword v51, off, s[0:3], 0 offset:76
	buffer_store_dword v50, off, s[0:3], 0 offset:72
	buffer_store_dword v49, off, s[0:3], 0 offset:68
	buffer_store_dword v48, off, s[0:3], 0 offset:64
	s_waitcnt vmcnt(22)
	buffer_store_dword v55, off, s[0:3], 0 offset:92
	buffer_store_dword v54, off, s[0:3], 0 offset:88
	buffer_store_dword v53, off, s[0:3], 0 offset:84
	buffer_store_dword v52, off, s[0:3], 0 offset:80
	s_waitcnt vmcnt(25)
	buffer_store_dword v59, off, s[0:3], 0 offset:108
	buffer_store_dword v58, off, s[0:3], 0 offset:104
	buffer_store_dword v57, off, s[0:3], 0 offset:100
	buffer_store_dword v56, off, s[0:3], 0 offset:96
	s_waitcnt vmcnt(28)
	buffer_store_dword v63, off, s[0:3], 0 offset:124
	buffer_store_dword v62, off, s[0:3], 0 offset:120
	buffer_store_dword v61, off, s[0:3], 0 offset:116
	buffer_store_dword v60, off, s[0:3], 0 offset:112
	v_mov_b32_e32 v35, 0
	v_mov_b32_e32 v31, 0
	s_and_saveexec_b64 s[10:11], vcc
	s_cbranch_execz .LBB930_13
; %bb.12:
	s_load_dwordx2 s[16:17], s[4:5], 0x40
	v_add_u32_e32 v20, s27, v41
	v_ashrrev_i32_e32 v21, 31, v20
	v_lshlrev_b64 v[20:21], 2, v[20:21]
	s_waitcnt lgkmcnt(0)
	v_mov_b32_e32 v19, s17
	v_add_co_u32_e32 v20, vcc, s16, v20
	v_addc_co_u32_e32 v21, vcc, v19, v21, vcc
	global_load_dword v31, v[20:21], off
.LBB930_13:
	s_or_b64 exec, exec, s[10:11]
	s_ashr_i32 s10, s20, 31
	v_or_b32_e32 v24, s20, v18
	s_lshr_b32 s10, s10, 27
	v_add_u32_e32 v18, s10, v24
	v_ashrrev_i32_e32 v18, 5, v18
	v_mov_b32_e32 v25, s23
	v_cmp_gt_i32_e32 vcc, s33, v24
	v_cndmask_b32_e32 v18, v25, v18, vcc
	v_ashrrev_i32_e32 v19, 31, v18
	v_lshlrev_b64 v[18:19], 2, v[18:19]
	v_mov_b32_e32 v20, s22
	v_add_co_u32_e32 v18, vcc, s21, v18
	v_addc_co_u32_e32 v19, vcc, v20, v19, vcc
	v_or_b32_e32 v20, 64, v24
	v_add_u32_e32 v21, s10, v20
	v_ashrrev_i32_e32 v21, 5, v21
	v_cmp_gt_i32_e32 vcc, s33, v20
	v_cndmask_b32_e32 v20, v25, v21, vcc
	v_ashrrev_i32_e32 v21, 31, v20
	v_lshlrev_b64 v[20:21], 2, v[20:21]
	v_mov_b32_e32 v22, s22
	v_add_co_u32_e32 v20, vcc, s21, v20
	v_addc_co_u32_e32 v21, vcc, v22, v21, vcc
	v_or_b32_e32 v22, 0x80, v24
	v_add_u32_e32 v23, s10, v22
	v_ashrrev_i32_e32 v23, 5, v23
	v_cmp_gt_i32_e32 vcc, s33, v22
	v_cndmask_b32_e32 v22, v25, v23, vcc
	v_ashrrev_i32_e32 v23, 31, v22
	v_lshlrev_b64 v[22:23], 2, v[22:23]
	v_mov_b32_e32 v26, s22
	v_add_co_u32_e32 v22, vcc, s21, v22
	v_addc_co_u32_e32 v23, vcc, v26, v23, vcc
	global_load_dword v26, v[18:19], off
	global_load_dword v28, v[20:21], off
	;; [unrolled: 1-line block ×3, first 2 shown]
	v_or_b32_e32 v18, 0xc0, v24
	v_add_u32_e32 v19, s10, v18
	v_ashrrev_i32_e32 v19, 5, v19
	v_cmp_gt_i32_e32 vcc, s33, v18
	v_cndmask_b32_e32 v18, v25, v19, vcc
	v_ashrrev_i32_e32 v19, 31, v18
	v_lshlrev_b64 v[18:19], 2, v[18:19]
	v_mov_b32_e32 v20, s22
	v_add_co_u32_e32 v18, vcc, s21, v18
	v_addc_co_u32_e32 v19, vcc, v20, v19, vcc
	global_load_dword v32, v[18:19], off
	s_add_u32 s6, s6, s14
	v_and_b32_e32 v18, 16, v0
	s_addc_u32 s7, s7, 0
	v_lshl_or_b32 v29, v27, 4, v41
	v_mov_b32_e32 v20, s7
	v_add_co_u32_e32 v34, vcc, s6, v18
	v_lshlrev_b32_e32 v19, 5, v29
	v_addc_co_u32_e32 v36, vcc, 0, v20, vcc
	v_add_co_u32_e32 v22, vcc, v34, v19
	v_addc_co_u32_e32 v23, vcc, 0, v36, vcc
	v_or_b32_e32 v33, 0x800, v19
	s_movk_i32 s14, 0x7f
	s_mov_b32 s15, 0xffffff
	s_mov_b32 s16, 0x5040100
	v_mov_b32_e32 v37, 0x100
	v_bfrev_b32_e32 v38, 60
	s_waitcnt vmcnt(3)
	v_mad_i64_i32 v[18:19], s[6:7], v26, s13, v[22:23]
	s_waitcnt vmcnt(2)
	v_mad_i64_i32 v[24:25], s[6:7], v28, s13, v[22:23]
	global_load_dwordx4 v[18:21], v[18:19], off
	s_nop 0
	global_load_dwordx4 v[52:55], v[24:25], off
	s_waitcnt vmcnt(3)
	v_mad_i64_i32 v[24:25], s[6:7], v30, s13, v[22:23]
	s_waitcnt vmcnt(2)
	v_mad_i64_i32 v[22:23], s[6:7], v32, s13, v[22:23]
	global_load_dwordx4 v[56:59], v[24:25], off
	global_load_dwordx4 v[60:63], v[22:23], off
	v_add_co_u32_e32 v22, vcc, v34, v33
	v_addc_co_u32_e32 v23, vcc, 0, v36, vcc
	v_mad_i64_i32 v[24:25], s[6:7], v26, s13, v[22:23]
	global_load_dwordx4 v[64:67], v[24:25], off
	v_mad_i64_i32 v[24:25], s[6:7], v28, s13, v[22:23]
	global_load_dwordx4 v[68:71], v[24:25], off
	;; [unrolled: 2-line block ×4, first 2 shown]
	s_load_dword s6, s[4:5], 0x1c
	s_load_dwordx4 s[40:43], s[4:5], 0x80
	v_mov_b32_e32 v22, 0x80
	v_add_u32_e32 v45, 16, v22
	v_add_u32_e32 v46, 32, v22
	;; [unrolled: 1-line block ×3, first 2 shown]
	s_waitcnt lgkmcnt(0)
	s_load_dword s4, s[40:41], 0x0
	v_add_u32_e32 v51, 64, v22
	v_add_u32_e32 v48, 0x50, v22
	;; [unrolled: 1-line block ×4, first 2 shown]
	v_mov_b32_e32 v22, s6
	s_waitcnt lgkmcnt(0)
	v_mul_f32_e32 v22, s4, v22
	v_and_b32_e32 v33, 63, v0
	s_movk_i32 s13, 0x80
	v_mov_b32_e32 v36, 0
	v_mov_b32_e32 v24, v22
	;; [unrolled: 1-line block ×3, first 2 shown]
	s_waitcnt vmcnt(7)
	buffer_store_dword v21, off, s[0:3], 0 offset:140
	buffer_store_dword v20, off, s[0:3], 0 offset:136
	buffer_store_dword v19, off, s[0:3], 0 offset:132
	buffer_store_dword v18, off, s[0:3], 0 offset:128
	s_waitcnt vmcnt(10)
	buffer_store_dword v55, off, s[0:3], 0 offset:172
	buffer_store_dword v54, off, s[0:3], 0 offset:168
	buffer_store_dword v53, off, s[0:3], 0 offset:164
	buffer_store_dword v52, off, s[0:3], 0 offset:160
	;; [unrolled: 5-line block ×8, first 2 shown]
	s_branch .LBB930_17
.LBB930_14:                             ;   in Loop: Header=BB930_17 Depth=1
	s_or_b64 exec, exec, s[10:11]
.LBB930_15:                             ;   in Loop: Header=BB930_17 Depth=1
	s_or_b64 exec, exec, s[6:7]
.LBB930_16:                             ;   in Loop: Header=BB930_17 Depth=1
	s_or_b64 exec, exec, s[4:5]
	v_perm_b32 v55, v40, v34, s16
	v_perm_b32 v54, v23, v32, s16
	;; [unrolled: 1-line block ×4, first 2 shown]
	v_add_u32_e32 v26, s12, v37
	v_mfma_f32_16x16x16bf16_1k v[18:21], v[54:55], v[14:15], v[18:21]
	s_add_i32 s12, s12, 16
	v_mov_b32_e32 v23, v22
	s_cmp_eq_u32 s12, 64
	v_add_u32_e32 v36, 32, v36
	v_mfma_f32_16x16x16bf16_1k v[18:21], v[52:53], v[16:17], v[18:21]
	s_nop 7
	s_nop 2
	v_pk_mul_f32 v[18:19], v[24:25], v[18:19]
	v_pk_mul_f32 v[20:21], v[22:23], v[20:21]
	buffer_store_dword v19, v26, s[0:3], 0 offen offset:4
	buffer_store_dword v18, v26, s[0:3], 0 offen
	buffer_store_dword v21, v26, s[0:3], 0 offen offset:12
	buffer_store_dword v20, v26, s[0:3], 0 offen offset:8
	s_cbranch_scc1 .LBB930_207
.LBB930_17:                             ; =>This Inner Loop Header: Depth=1
	buffer_load_dword v20, v36, s[0:3], 0 offen
	buffer_load_dword v18, v36, s[0:3], 0 offen offset:4
	buffer_load_dword v28, v36, s[0:3], 0 offen offset:8
	;; [unrolled: 1-line block ×3, first 2 shown]
	v_mov_b32_e32 v19, 0
	v_mov_b32_e32 v21, 0
	s_waitcnt vmcnt(3)
	v_cmp_ne_u16_sdwa s[6:7], v20, v35 src0_sel:BYTE_0 src1_sel:DWORD
	s_and_saveexec_b64 s[4:5], s[6:7]
	s_cbranch_execz .LBB930_23
; %bb.18:                               ;   in Loop: Header=BB930_17 Depth=1
	v_cmp_ne_u16_sdwa s[10:11], v20, s13 src0_sel:BYTE_0 src1_sel:DWORD
	v_mov_b32_e32 v21, 0xffff8000
	s_and_saveexec_b64 s[6:7], s[10:11]
	s_cbranch_execz .LBB930_22
; %bb.19:                               ;   in Loop: Header=BB930_17 Depth=1
	v_and_b32_e32 v23, 0x7f, v20
	v_cmp_ne_u32_e32 vcc, s14, v23
	v_mov_b32_e32 v21, 0x7f80
	s_and_saveexec_b64 s[10:11], vcc
	s_cbranch_execz .LBB930_21
; %bb.20:                               ;   in Loop: Header=BB930_17 Depth=1
	v_and_b32_e32 v21, 7, v20
	v_ffbh_u32_e32 v32, v21
	v_min_u32_e32 v32, 32, v32
	v_subrev_u32_e32 v34, 28, v32
	v_lshlrev_b64 v[52:53], v34, v[20:21]
	v_lshrrev_b32_e32 v30, 3, v23
	v_sub_u32_e32 v32, 29, v32
	v_and_b32_e32 v34, 7, v52
	v_cmp_gt_u32_e32 vcc, 8, v23
	v_cndmask_b32_e32 v23, v30, v32, vcc
	v_cndmask_b32_e32 v21, v21, v34, vcc
	v_lshlrev_b32_e32 v30, 24, v20
	v_lshlrev_b32_e32 v21, 20, v21
	v_and_b32_e32 v30, 0x80000000, v30
	v_lshl_add_u32 v23, v23, 23, v38
	v_or3_b32 v21, v30, v23, v21
	v_lshrrev_b32_e32 v21, 16, v21
.LBB930_21:                             ;   in Loop: Header=BB930_17 Depth=1
	s_or_b64 exec, exec, s[10:11]
.LBB930_22:                             ;   in Loop: Header=BB930_17 Depth=1
	s_or_b64 exec, exec, s[6:7]
.LBB930_23:                             ;   in Loop: Header=BB930_17 Depth=1
	s_or_b64 exec, exec, s[4:5]
	v_lshrrev_b16_e32 v30, 8, v20
	v_cmp_ne_u16_e32 vcc, 0, v30
	s_and_saveexec_b64 s[4:5], vcc
	s_cbranch_execz .LBB930_29
; %bb.24:                               ;   in Loop: Header=BB930_17 Depth=1
	v_cmp_ne_u16_e32 vcc, s13, v30
	v_mov_b32_e32 v19, 0xffff8000
	s_and_saveexec_b64 s[6:7], vcc
	s_cbranch_execz .LBB930_28
; %bb.25:                               ;   in Loop: Header=BB930_17 Depth=1
	v_and_b32_e32 v23, 0x7f, v30
	v_cmp_ne_u32_e32 vcc, s14, v23
	v_mov_b32_e32 v19, 0x7f80
	s_and_saveexec_b64 s[10:11], vcc
	s_cbranch_execz .LBB930_27
; %bb.26:                               ;   in Loop: Header=BB930_17 Depth=1
	v_and_b32_e32 v19, 7, v30
	v_ffbh_u32_e32 v34, v19
	v_min_u32_e32 v34, 32, v34
	v_subrev_u32_e32 v40, 28, v34
	v_lshlrev_b64 v[52:53], v40, v[30:31]
	v_lshrrev_b32_e32 v32, 3, v23
	v_sub_u32_e32 v30, 29, v34
	v_and_b32_e32 v34, 7, v52
	v_cmp_gt_u32_e32 vcc, 8, v23
	v_cndmask_b32_e32 v23, v32, v30, vcc
	v_cndmask_b32_e32 v19, v19, v34, vcc
	v_lshlrev_b32_e32 v30, 16, v20
	v_lshlrev_b32_e32 v19, 20, v19
	v_and_b32_e32 v30, 0x80000000, v30
	v_lshl_add_u32 v23, v23, 23, v38
	v_or3_b32 v19, v30, v23, v19
	v_lshrrev_b32_e32 v19, 16, v19
.LBB930_27:                             ;   in Loop: Header=BB930_17 Depth=1
	s_or_b64 exec, exec, s[10:11]
.LBB930_28:                             ;   in Loop: Header=BB930_17 Depth=1
	s_or_b64 exec, exec, s[6:7]
.LBB930_29:                             ;   in Loop: Header=BB930_17 Depth=1
	s_or_b64 exec, exec, s[4:5]
	v_lshrrev_b32_e32 v30, 16, v20
	v_cmp_ne_u16_sdwa s[6:7], v30, v35 src0_sel:BYTE_0 src1_sel:DWORD
	v_mov_b32_e32 v32, 0
	v_mov_b32_e32 v23, 0
	s_and_saveexec_b64 s[4:5], s[6:7]
	s_cbranch_execz .LBB930_35
; %bb.30:                               ;   in Loop: Header=BB930_17 Depth=1
	v_cmp_ne_u16_sdwa s[10:11], v30, s13 src0_sel:BYTE_0 src1_sel:DWORD
	v_mov_b32_e32 v23, 0xffff8000
	s_and_saveexec_b64 s[6:7], s[10:11]
	s_cbranch_execz .LBB930_34
; %bb.31:                               ;   in Loop: Header=BB930_17 Depth=1
	v_bfe_u32 v34, v20, 16, 7
	v_cmp_ne_u32_e32 vcc, s14, v34
	v_mov_b32_e32 v23, 0x7f80
	s_and_saveexec_b64 s[10:11], vcc
	s_cbranch_execz .LBB930_33
; %bb.32:                               ;   in Loop: Header=BB930_17 Depth=1
	v_and_b32_e32 v23, 7, v30
	v_ffbh_u32_e32 v42, v23
	v_min_u32_e32 v42, 32, v42
	v_subrev_u32_e32 v44, 28, v42
	v_lshlrev_b64 v[52:53], v44, v[30:31]
	v_lshrrev_b32_e32 v40, 3, v34
	v_sub_u32_e32 v42, 29, v42
	v_and_b32_e32 v44, 7, v52
	v_cmp_gt_u32_e32 vcc, 8, v34
	v_cndmask_b32_e32 v34, v40, v42, vcc
	v_cndmask_b32_e32 v23, v23, v44, vcc
	v_lshlrev_b32_e32 v30, 24, v30
	v_lshlrev_b32_e32 v23, 20, v23
	v_and_b32_e32 v30, 0x80000000, v30
	v_lshl_add_u32 v34, v34, 23, v38
	v_or3_b32 v23, v30, v34, v23
	v_lshrrev_b32_e32 v23, 16, v23
.LBB930_33:                             ;   in Loop: Header=BB930_17 Depth=1
	s_or_b64 exec, exec, s[10:11]
.LBB930_34:                             ;   in Loop: Header=BB930_17 Depth=1
	s_or_b64 exec, exec, s[6:7]
.LBB930_35:                             ;   in Loop: Header=BB930_17 Depth=1
	s_or_b64 exec, exec, s[4:5]
	v_cmp_lt_u32_e32 vcc, s15, v20
	s_and_saveexec_b64 s[4:5], vcc
	s_cbranch_execz .LBB930_41
; %bb.36:                               ;   in Loop: Header=BB930_17 Depth=1
	v_lshrrev_b32_e32 v30, 24, v20
	v_cmp_ne_u32_e32 vcc, s13, v30
	v_mov_b32_e32 v32, 0xffff8000
	s_and_saveexec_b64 s[6:7], vcc
	s_cbranch_execz .LBB930_40
; %bb.37:                               ;   in Loop: Header=BB930_17 Depth=1
	v_bfe_u32 v20, v20, 24, 7
	v_cmp_ne_u32_e32 vcc, s14, v20
	v_mov_b32_e32 v32, 0x7f80
	s_and_saveexec_b64 s[10:11], vcc
	s_cbranch_execz .LBB930_39
; %bb.38:                               ;   in Loop: Header=BB930_17 Depth=1
	v_and_b32_e32 v32, 7, v30
	v_ffbh_u32_e32 v40, v32
	v_min_u32_e32 v40, 32, v40
	v_subrev_u32_e32 v42, 28, v40
	v_lshlrev_b64 v[52:53], v42, v[30:31]
	v_lshrrev_b32_e32 v34, 3, v20
	v_sub_u32_e32 v40, 29, v40
	v_and_b32_e32 v42, 7, v52
	v_cmp_gt_u32_e32 vcc, 8, v20
	v_cndmask_b32_e32 v20, v34, v40, vcc
	v_cndmask_b32_e32 v32, v32, v42, vcc
	v_lshlrev_b32_e32 v30, 24, v30
	v_lshlrev_b32_e32 v32, 20, v32
	v_and_b32_e32 v30, 0x80000000, v30
	v_lshl_add_u32 v20, v20, 23, v38
	v_or3_b32 v20, v30, v20, v32
	v_lshrrev_b32_e32 v32, 16, v20
.LBB930_39:                             ;   in Loop: Header=BB930_17 Depth=1
	s_or_b64 exec, exec, s[10:11]
.LBB930_40:                             ;   in Loop: Header=BB930_17 Depth=1
	s_or_b64 exec, exec, s[6:7]
.LBB930_41:                             ;   in Loop: Header=BB930_17 Depth=1
	s_or_b64 exec, exec, s[4:5]
	s_waitcnt vmcnt(2)
	v_cmp_ne_u16_sdwa s[6:7], v18, v35 src0_sel:BYTE_0 src1_sel:DWORD
	v_mov_b32_e32 v30, 0
	v_mov_b32_e32 v34, 0
	s_and_saveexec_b64 s[4:5], s[6:7]
	s_cbranch_execz .LBB930_47
; %bb.42:                               ;   in Loop: Header=BB930_17 Depth=1
	v_cmp_ne_u16_sdwa s[10:11], v18, s13 src0_sel:BYTE_0 src1_sel:DWORD
	v_mov_b32_e32 v34, 0xffff8000
	s_and_saveexec_b64 s[6:7], s[10:11]
	s_cbranch_execz .LBB930_46
; %bb.43:                               ;   in Loop: Header=BB930_17 Depth=1
	v_and_b32_e32 v20, 0x7f, v18
	v_cmp_ne_u32_e32 vcc, s14, v20
	v_mov_b32_e32 v34, 0x7f80
	s_and_saveexec_b64 s[10:11], vcc
	s_cbranch_execz .LBB930_45
; %bb.44:                               ;   in Loop: Header=BB930_17 Depth=1
	v_and_b32_e32 v34, 7, v18
	v_ffbh_u32_e32 v42, v34
	v_min_u32_e32 v42, 32, v42
	v_subrev_u32_e32 v44, 28, v42
	v_lshlrev_b64 v[52:53], v44, v[18:19]
	v_lshrrev_b32_e32 v40, 3, v20
	v_sub_u32_e32 v42, 29, v42
	v_and_b32_e32 v44, 7, v52
	v_cmp_gt_u32_e32 vcc, 8, v20
	v_cndmask_b32_e32 v20, v40, v42, vcc
	v_cndmask_b32_e32 v34, v34, v44, vcc
	v_lshlrev_b32_e32 v40, 24, v18
	v_lshlrev_b32_e32 v34, 20, v34
	v_and_b32_e32 v40, 0x80000000, v40
	v_lshl_add_u32 v20, v20, 23, v38
	v_or3_b32 v20, v40, v20, v34
	v_lshrrev_b32_e32 v34, 16, v20
.LBB930_45:                             ;   in Loop: Header=BB930_17 Depth=1
	s_or_b64 exec, exec, s[10:11]
.LBB930_46:                             ;   in Loop: Header=BB930_17 Depth=1
	s_or_b64 exec, exec, s[6:7]
.LBB930_47:                             ;   in Loop: Header=BB930_17 Depth=1
	s_or_b64 exec, exec, s[4:5]
	v_lshrrev_b16_e32 v20, 8, v18
	v_cmp_ne_u16_e32 vcc, 0, v20
	s_and_saveexec_b64 s[4:5], vcc
	s_cbranch_execz .LBB930_53
; %bb.48:                               ;   in Loop: Header=BB930_17 Depth=1
	v_cmp_ne_u16_e32 vcc, s13, v20
	v_mov_b32_e32 v30, 0xffff8000
	s_and_saveexec_b64 s[6:7], vcc
	s_cbranch_execz .LBB930_52
; %bb.49:                               ;   in Loop: Header=BB930_17 Depth=1
	v_and_b32_e32 v40, 0x7f, v20
	v_cmp_ne_u32_e32 vcc, s14, v40
	v_mov_b32_e32 v30, 0x7f80
	s_and_saveexec_b64 s[10:11], vcc
	s_cbranch_execz .LBB930_51
; %bb.50:                               ;   in Loop: Header=BB930_17 Depth=1
	v_and_b32_e32 v30, 7, v20
	v_ffbh_u32_e32 v44, v30
	v_min_u32_e32 v44, 32, v44
	v_subrev_u32_e32 v52, 28, v44
	v_lshlrev_b64 v[52:53], v52, v[20:21]
	v_lshrrev_b32_e32 v42, 3, v40
	v_sub_u32_e32 v20, 29, v44
	v_and_b32_e32 v44, 7, v52
	v_cmp_gt_u32_e32 vcc, 8, v40
	v_cndmask_b32_e32 v20, v42, v20, vcc
	v_cndmask_b32_e32 v30, v30, v44, vcc
	v_lshlrev_b32_e32 v40, 16, v18
	v_lshlrev_b32_e32 v30, 20, v30
	v_and_b32_e32 v40, 0x80000000, v40
	v_lshl_add_u32 v20, v20, 23, v38
	v_or3_b32 v20, v40, v20, v30
	v_lshrrev_b32_e32 v30, 16, v20
.LBB930_51:                             ;   in Loop: Header=BB930_17 Depth=1
	s_or_b64 exec, exec, s[10:11]
.LBB930_52:                             ;   in Loop: Header=BB930_17 Depth=1
	s_or_b64 exec, exec, s[6:7]
.LBB930_53:                             ;   in Loop: Header=BB930_17 Depth=1
	s_or_b64 exec, exec, s[4:5]
	v_lshrrev_b32_e32 v20, 16, v18
	v_cmp_ne_u16_sdwa s[6:7], v20, v35 src0_sel:BYTE_0 src1_sel:DWORD
	v_mov_b32_e32 v42, 0
	v_mov_b32_e32 v40, 0
	s_and_saveexec_b64 s[4:5], s[6:7]
	s_cbranch_execz .LBB930_59
; %bb.54:                               ;   in Loop: Header=BB930_17 Depth=1
	v_cmp_ne_u16_sdwa s[10:11], v20, s13 src0_sel:BYTE_0 src1_sel:DWORD
	v_mov_b32_e32 v40, 0xffff8000
	s_and_saveexec_b64 s[6:7], s[10:11]
	s_cbranch_execz .LBB930_58
; %bb.55:                               ;   in Loop: Header=BB930_17 Depth=1
	v_bfe_u32 v44, v18, 16, 7
	v_cmp_ne_u32_e32 vcc, s14, v44
	v_mov_b32_e32 v40, 0x7f80
	s_and_saveexec_b64 s[10:11], vcc
	s_cbranch_execz .LBB930_57
; %bb.56:                               ;   in Loop: Header=BB930_17 Depth=1
	v_and_b32_e32 v40, 7, v20
	v_ffbh_u32_e32 v52, v40
	v_min_u32_e32 v55, 32, v52
	v_subrev_u32_e32 v52, 28, v55
	v_lshlrev_b64 v[52:53], v52, v[20:21]
	v_lshrrev_b32_e32 v54, 3, v44
	v_sub_u32_e32 v53, 29, v55
	v_and_b32_e32 v52, 7, v52
	v_cmp_gt_u32_e32 vcc, 8, v44
	v_cndmask_b32_e32 v44, v54, v53, vcc
	v_cndmask_b32_e32 v40, v40, v52, vcc
	v_lshlrev_b32_e32 v20, 24, v20
	v_lshlrev_b32_e32 v40, 20, v40
	v_and_b32_e32 v20, 0x80000000, v20
	v_lshl_add_u32 v44, v44, 23, v38
	v_or3_b32 v20, v20, v44, v40
	v_lshrrev_b32_e32 v40, 16, v20
.LBB930_57:                             ;   in Loop: Header=BB930_17 Depth=1
	s_or_b64 exec, exec, s[10:11]
.LBB930_58:                             ;   in Loop: Header=BB930_17 Depth=1
	s_or_b64 exec, exec, s[6:7]
.LBB930_59:                             ;   in Loop: Header=BB930_17 Depth=1
	s_or_b64 exec, exec, s[4:5]
	v_cmp_lt_u32_e32 vcc, s15, v18
	s_and_saveexec_b64 s[4:5], vcc
	s_cbranch_execz .LBB930_65
; %bb.60:                               ;   in Loop: Header=BB930_17 Depth=1
	v_lshrrev_b32_e32 v20, 24, v18
	v_cmp_ne_u32_e32 vcc, s13, v20
	v_mov_b32_e32 v42, 0xffff8000
	s_and_saveexec_b64 s[6:7], vcc
	s_cbranch_execz .LBB930_64
; %bb.61:                               ;   in Loop: Header=BB930_17 Depth=1
	v_bfe_u32 v18, v18, 24, 7
	v_cmp_ne_u32_e32 vcc, s14, v18
	v_mov_b32_e32 v42, 0x7f80
	s_and_saveexec_b64 s[10:11], vcc
	s_cbranch_execz .LBB930_63
; %bb.62:                               ;   in Loop: Header=BB930_17 Depth=1
	v_and_b32_e32 v42, 7, v20
	v_ffbh_u32_e32 v52, v42
	v_min_u32_e32 v54, 32, v52
	v_subrev_u32_e32 v52, 28, v54
	v_lshlrev_b64 v[52:53], v52, v[20:21]
	v_lshrrev_b32_e32 v44, 3, v18
	v_sub_u32_e32 v53, 29, v54
	v_and_b32_e32 v52, 7, v52
	v_cmp_gt_u32_e32 vcc, 8, v18
	v_cndmask_b32_e32 v18, v44, v53, vcc
	v_cndmask_b32_e32 v42, v42, v52, vcc
	v_lshlrev_b32_e32 v20, 24, v20
	v_lshlrev_b32_e32 v42, 20, v42
	v_and_b32_e32 v20, 0x80000000, v20
	v_lshl_add_u32 v18, v18, 23, v38
	v_or3_b32 v18, v20, v18, v42
	v_lshrrev_b32_e32 v42, 16, v18
.LBB930_63:                             ;   in Loop: Header=BB930_17 Depth=1
	s_or_b64 exec, exec, s[10:11]
.LBB930_64:                             ;   in Loop: Header=BB930_17 Depth=1
	s_or_b64 exec, exec, s[6:7]
.LBB930_65:                             ;   in Loop: Header=BB930_17 Depth=1
	s_or_b64 exec, exec, s[4:5]
	v_perm_b32 v53, v32, v23, s16
	v_perm_b32 v52, v19, v21, s16
	s_waitcnt vmcnt(1)
	v_cmp_ne_u16_sdwa s[6:7], v28, v35 src0_sel:BYTE_0 src1_sel:DWORD
	v_mov_b32_e32 v23, 0
	v_mov_b32_e32 v32, 0
	v_mfma_f32_16x16x16bf16_1k v[18:21], v[52:53], v[2:3], 0
	v_perm_b32 v53, v42, v40, s16
	v_perm_b32 v52, v30, v34, s16
	s_nop 1
	v_mfma_f32_16x16x16bf16_1k v[18:21], v[52:53], v[4:5], v[18:21]
	s_and_saveexec_b64 s[4:5], s[6:7]
	s_cbranch_execz .LBB930_71
; %bb.66:                               ;   in Loop: Header=BB930_17 Depth=1
	v_cmp_ne_u16_sdwa s[10:11], v28, s13 src0_sel:BYTE_0 src1_sel:DWORD
	v_mov_b32_e32 v32, 0xffff8000
	s_and_saveexec_b64 s[6:7], s[10:11]
	s_cbranch_execz .LBB930_70
; %bb.67:                               ;   in Loop: Header=BB930_17 Depth=1
	v_and_b32_e32 v30, 0x7f, v28
	v_cmp_ne_u32_e32 vcc, s14, v30
	v_mov_b32_e32 v32, 0x7f80
	s_and_saveexec_b64 s[10:11], vcc
	s_cbranch_execz .LBB930_69
; %bb.68:                               ;   in Loop: Header=BB930_17 Depth=1
	v_and_b32_e32 v32, 7, v28
	v_ffbh_u32_e32 v40, v32
	v_min_u32_e32 v40, 32, v40
	v_subrev_u32_e32 v42, 28, v40
	v_lshlrev_b64 v[52:53], v42, v[28:29]
	v_lshrrev_b32_e32 v34, 3, v30
	v_sub_u32_e32 v40, 29, v40
	v_and_b32_e32 v42, 7, v52
	v_cmp_gt_u32_e32 vcc, 8, v30
	v_cndmask_b32_e32 v30, v34, v40, vcc
	v_cndmask_b32_e32 v32, v32, v42, vcc
	v_lshlrev_b32_e32 v34, 24, v28
	v_lshlrev_b32_e32 v32, 20, v32
	v_and_b32_e32 v34, 0x80000000, v34
	v_lshl_add_u32 v30, v30, 23, v38
	v_or3_b32 v30, v34, v30, v32
	v_lshrrev_b32_e32 v32, 16, v30
.LBB930_69:                             ;   in Loop: Header=BB930_17 Depth=1
	s_or_b64 exec, exec, s[10:11]
.LBB930_70:                             ;   in Loop: Header=BB930_17 Depth=1
	s_or_b64 exec, exec, s[6:7]
.LBB930_71:                             ;   in Loop: Header=BB930_17 Depth=1
	s_or_b64 exec, exec, s[4:5]
	v_lshrrev_b16_e32 v30, 8, v28
	v_cmp_ne_u16_e32 vcc, 0, v30
	s_and_saveexec_b64 s[4:5], vcc
	s_cbranch_execz .LBB930_77
; %bb.72:                               ;   in Loop: Header=BB930_17 Depth=1
	v_cmp_ne_u16_e32 vcc, s13, v30
	v_mov_b32_e32 v23, 0xffff8000
	s_and_saveexec_b64 s[6:7], vcc
	s_cbranch_execz .LBB930_76
; %bb.73:                               ;   in Loop: Header=BB930_17 Depth=1
	v_and_b32_e32 v34, 0x7f, v30
	v_cmp_ne_u32_e32 vcc, s14, v34
	v_mov_b32_e32 v23, 0x7f80
	s_and_saveexec_b64 s[10:11], vcc
	s_cbranch_execz .LBB930_75
; %bb.74:                               ;   in Loop: Header=BB930_17 Depth=1
	v_and_b32_e32 v23, 7, v30
	v_ffbh_u32_e32 v42, v23
	v_min_u32_e32 v42, 32, v42
	v_subrev_u32_e32 v44, 28, v42
	v_lshlrev_b64 v[52:53], v44, v[30:31]
	v_lshrrev_b32_e32 v40, 3, v34
	v_sub_u32_e32 v30, 29, v42
	v_and_b32_e32 v42, 7, v52
	v_cmp_gt_u32_e32 vcc, 8, v34
	v_cndmask_b32_e32 v30, v40, v30, vcc
	v_cndmask_b32_e32 v23, v23, v42, vcc
	v_lshlrev_b32_e32 v34, 16, v28
	v_lshlrev_b32_e32 v23, 20, v23
	v_and_b32_e32 v34, 0x80000000, v34
	v_lshl_add_u32 v30, v30, 23, v38
	v_or3_b32 v23, v34, v30, v23
	v_lshrrev_b32_e32 v23, 16, v23
.LBB930_75:                             ;   in Loop: Header=BB930_17 Depth=1
	s_or_b64 exec, exec, s[10:11]
.LBB930_76:                             ;   in Loop: Header=BB930_17 Depth=1
	s_or_b64 exec, exec, s[6:7]
.LBB930_77:                             ;   in Loop: Header=BB930_17 Depth=1
	s_or_b64 exec, exec, s[4:5]
	v_lshrrev_b32_e32 v30, 16, v28
	v_cmp_ne_u16_sdwa s[6:7], v30, v35 src0_sel:BYTE_0 src1_sel:DWORD
	v_mov_b32_e32 v40, 0
	v_mov_b32_e32 v34, 0
	s_and_saveexec_b64 s[4:5], s[6:7]
	s_cbranch_execz .LBB930_83
; %bb.78:                               ;   in Loop: Header=BB930_17 Depth=1
	v_cmp_ne_u16_sdwa s[10:11], v30, s13 src0_sel:BYTE_0 src1_sel:DWORD
	v_mov_b32_e32 v34, 0xffff8000
	s_and_saveexec_b64 s[6:7], s[10:11]
	s_cbranch_execz .LBB930_82
; %bb.79:                               ;   in Loop: Header=BB930_17 Depth=1
	v_bfe_u32 v42, v28, 16, 7
	v_cmp_ne_u32_e32 vcc, s14, v42
	v_mov_b32_e32 v34, 0x7f80
	s_and_saveexec_b64 s[10:11], vcc
	s_cbranch_execz .LBB930_81
; %bb.80:                               ;   in Loop: Header=BB930_17 Depth=1
	v_and_b32_e32 v34, 7, v30
	v_ffbh_u32_e32 v52, v34
	v_min_u32_e32 v54, 32, v52
	v_subrev_u32_e32 v52, 28, v54
	v_lshlrev_b64 v[52:53], v52, v[30:31]
	v_lshrrev_b32_e32 v44, 3, v42
	v_sub_u32_e32 v53, 29, v54
	v_and_b32_e32 v52, 7, v52
	v_cmp_gt_u32_e32 vcc, 8, v42
	v_cndmask_b32_e32 v42, v44, v53, vcc
	v_cndmask_b32_e32 v34, v34, v52, vcc
	v_lshlrev_b32_e32 v30, 24, v30
	v_lshlrev_b32_e32 v34, 20, v34
	v_and_b32_e32 v30, 0x80000000, v30
	v_lshl_add_u32 v42, v42, 23, v38
	v_or3_b32 v30, v30, v42, v34
	v_lshrrev_b32_e32 v34, 16, v30
.LBB930_81:                             ;   in Loop: Header=BB930_17 Depth=1
	s_or_b64 exec, exec, s[10:11]
.LBB930_82:                             ;   in Loop: Header=BB930_17 Depth=1
	s_or_b64 exec, exec, s[6:7]
.LBB930_83:                             ;   in Loop: Header=BB930_17 Depth=1
	s_or_b64 exec, exec, s[4:5]
	v_cmp_lt_u32_e32 vcc, s15, v28
	s_and_saveexec_b64 s[4:5], vcc
	s_cbranch_execz .LBB930_89
; %bb.84:                               ;   in Loop: Header=BB930_17 Depth=1
	v_lshrrev_b32_e32 v30, 24, v28
	v_cmp_ne_u32_e32 vcc, s13, v30
	v_mov_b32_e32 v40, 0xffff8000
	s_and_saveexec_b64 s[6:7], vcc
	s_cbranch_execz .LBB930_88
; %bb.85:                               ;   in Loop: Header=BB930_17 Depth=1
	v_bfe_u32 v28, v28, 24, 7
	v_cmp_ne_u32_e32 vcc, s14, v28
	v_mov_b32_e32 v40, 0x7f80
	s_and_saveexec_b64 s[10:11], vcc
	s_cbranch_execz .LBB930_87
; %bb.86:                               ;   in Loop: Header=BB930_17 Depth=1
	v_and_b32_e32 v40, 7, v30
	v_ffbh_u32_e32 v44, v40
	v_min_u32_e32 v44, 32, v44
	v_subrev_u32_e32 v52, 28, v44
	v_lshlrev_b64 v[52:53], v52, v[30:31]
	v_lshrrev_b32_e32 v42, 3, v28
	v_sub_u32_e32 v44, 29, v44
	v_and_b32_e32 v52, 7, v52
	v_cmp_gt_u32_e32 vcc, 8, v28
	v_cndmask_b32_e32 v28, v42, v44, vcc
	v_cndmask_b32_e32 v40, v40, v52, vcc
	v_lshlrev_b32_e32 v30, 24, v30
	v_lshlrev_b32_e32 v40, 20, v40
	v_and_b32_e32 v30, 0x80000000, v30
	v_lshl_add_u32 v28, v28, 23, v38
	v_or3_b32 v28, v30, v28, v40
	v_lshrrev_b32_e32 v40, 16, v28
.LBB930_87:                             ;   in Loop: Header=BB930_17 Depth=1
	s_or_b64 exec, exec, s[10:11]
.LBB930_88:                             ;   in Loop: Header=BB930_17 Depth=1
	s_or_b64 exec, exec, s[6:7]
.LBB930_89:                             ;   in Loop: Header=BB930_17 Depth=1
	s_or_b64 exec, exec, s[4:5]
	s_waitcnt vmcnt(0)
	v_cmp_ne_u16_sdwa s[6:7], v26, v35 src0_sel:BYTE_0 src1_sel:DWORD
	v_mov_b32_e32 v42, 0
	v_mov_b32_e32 v44, 0
	s_and_saveexec_b64 s[4:5], s[6:7]
	s_cbranch_execz .LBB930_95
; %bb.90:                               ;   in Loop: Header=BB930_17 Depth=1
	v_cmp_ne_u16_sdwa s[10:11], v26, s13 src0_sel:BYTE_0 src1_sel:DWORD
	v_mov_b32_e32 v44, 0xffff8000
	s_and_saveexec_b64 s[6:7], s[10:11]
	s_cbranch_execz .LBB930_94
; %bb.91:                               ;   in Loop: Header=BB930_17 Depth=1
	v_and_b32_e32 v28, 0x7f, v26
	v_cmp_ne_u32_e32 vcc, s14, v28
	v_mov_b32_e32 v44, 0x7f80
	s_and_saveexec_b64 s[10:11], vcc
	s_cbranch_execz .LBB930_93
; %bb.92:                               ;   in Loop: Header=BB930_17 Depth=1
	v_and_b32_e32 v30, 7, v26
	v_ffbh_u32_e32 v52, v30
	v_min_u32_e32 v54, 32, v52
	v_subrev_u32_e32 v52, 28, v54
	v_lshlrev_b64 v[52:53], v52, v[26:27]
	v_lshrrev_b32_e32 v44, 3, v28
	v_sub_u32_e32 v53, 29, v54
	v_and_b32_e32 v52, 7, v52
	v_cmp_gt_u32_e32 vcc, 8, v28
	v_cndmask_b32_e32 v28, v44, v53, vcc
	v_cndmask_b32_e32 v30, v30, v52, vcc
	v_lshlrev_b32_e32 v44, 24, v26
	v_lshlrev_b32_e32 v30, 20, v30
	v_and_b32_e32 v44, 0x80000000, v44
	v_lshl_add_u32 v28, v28, 23, v38
	v_or3_b32 v28, v44, v28, v30
	v_lshrrev_b32_e32 v44, 16, v28
.LBB930_93:                             ;   in Loop: Header=BB930_17 Depth=1
	s_or_b64 exec, exec, s[10:11]
.LBB930_94:                             ;   in Loop: Header=BB930_17 Depth=1
	s_or_b64 exec, exec, s[6:7]
.LBB930_95:                             ;   in Loop: Header=BB930_17 Depth=1
	s_or_b64 exec, exec, s[4:5]
	v_lshrrev_b16_e32 v28, 8, v26
	v_cmp_ne_u16_e32 vcc, 0, v28
	s_and_saveexec_b64 s[4:5], vcc
	s_cbranch_execz .LBB930_101
; %bb.96:                               ;   in Loop: Header=BB930_17 Depth=1
	v_cmp_ne_u16_e32 vcc, s13, v28
	v_mov_b32_e32 v42, 0xffff8000
	s_and_saveexec_b64 s[6:7], vcc
	s_cbranch_execz .LBB930_100
; %bb.97:                               ;   in Loop: Header=BB930_17 Depth=1
	v_and_b32_e32 v30, 0x7f, v28
	v_cmp_ne_u32_e32 vcc, s14, v30
	v_mov_b32_e32 v42, 0x7f80
	s_and_saveexec_b64 s[10:11], vcc
	s_cbranch_execz .LBB930_99
; %bb.98:                               ;   in Loop: Header=BB930_17 Depth=1
	v_and_b32_e32 v42, 7, v28
	v_ffbh_u32_e32 v52, v42
	v_min_u32_e32 v55, 32, v52
	v_subrev_u32_e32 v52, 28, v55
	v_lshlrev_b64 v[52:53], v52, v[28:29]
	v_lshrrev_b32_e32 v54, 3, v30
	v_sub_u32_e32 v28, 29, v55
	v_and_b32_e32 v52, 7, v52
	v_cmp_gt_u32_e32 vcc, 8, v30
	v_cndmask_b32_e32 v28, v54, v28, vcc
	v_cndmask_b32_e32 v30, v42, v52, vcc
	v_lshlrev_b32_e32 v42, 16, v26
	v_lshlrev_b32_e32 v30, 20, v30
	v_and_b32_e32 v42, 0x80000000, v42
	v_lshl_add_u32 v28, v28, 23, v38
	v_or3_b32 v28, v42, v28, v30
	v_lshrrev_b32_e32 v42, 16, v28
.LBB930_99:                             ;   in Loop: Header=BB930_17 Depth=1
	s_or_b64 exec, exec, s[10:11]
.LBB930_100:                            ;   in Loop: Header=BB930_17 Depth=1
	s_or_b64 exec, exec, s[6:7]
.LBB930_101:                            ;   in Loop: Header=BB930_17 Depth=1
	s_or_b64 exec, exec, s[4:5]
	v_lshrrev_b32_e32 v28, 16, v26
	v_cmp_ne_u16_sdwa s[6:7], v28, v35 src0_sel:BYTE_0 src1_sel:DWORD
	v_mov_b32_e32 v53, 0
	v_mov_b32_e32 v52, 0
	s_and_saveexec_b64 s[4:5], s[6:7]
	s_cbranch_execz .LBB930_107
; %bb.102:                              ;   in Loop: Header=BB930_17 Depth=1
	v_cmp_ne_u16_sdwa s[10:11], v28, s13 src0_sel:BYTE_0 src1_sel:DWORD
	v_mov_b32_e32 v52, 0xffff8000
	s_and_saveexec_b64 s[6:7], s[10:11]
	s_cbranch_execz .LBB930_106
; %bb.103:                              ;   in Loop: Header=BB930_17 Depth=1
	v_bfe_u32 v30, v26, 16, 7
	v_cmp_ne_u32_e32 vcc, s14, v30
	v_mov_b32_e32 v52, 0x7f80
	s_and_saveexec_b64 s[10:11], vcc
	s_cbranch_execz .LBB930_105
; %bb.104:                              ;   in Loop: Header=BB930_17 Depth=1
	v_and_b32_e32 v52, 7, v28
	v_ffbh_u32_e32 v54, v52
	v_min_u32_e32 v57, 32, v54
	v_subrev_u32_e32 v54, 28, v57
	v_lshlrev_b64 v[54:55], v54, v[28:29]
	v_lshrrev_b32_e32 v56, 3, v30
	v_sub_u32_e32 v55, 29, v57
	v_and_b32_e32 v54, 7, v54
	v_cmp_gt_u32_e32 vcc, 8, v30
	v_cndmask_b32_e32 v30, v56, v55, vcc
	v_cndmask_b32_e32 v52, v52, v54, vcc
	v_lshlrev_b32_e32 v28, 24, v28
	v_lshlrev_b32_e32 v52, 20, v52
	v_and_b32_e32 v28, 0x80000000, v28
	v_lshl_add_u32 v30, v30, 23, v38
	v_or3_b32 v28, v28, v30, v52
	v_lshrrev_b32_e32 v52, 16, v28
.LBB930_105:                            ;   in Loop: Header=BB930_17 Depth=1
	s_or_b64 exec, exec, s[10:11]
.LBB930_106:                            ;   in Loop: Header=BB930_17 Depth=1
	s_or_b64 exec, exec, s[6:7]
.LBB930_107:                            ;   in Loop: Header=BB930_17 Depth=1
	s_or_b64 exec, exec, s[4:5]
	v_cmp_lt_u32_e32 vcc, s15, v26
	s_and_saveexec_b64 s[4:5], vcc
	s_cbranch_execz .LBB930_113
; %bb.108:                              ;   in Loop: Header=BB930_17 Depth=1
	v_lshrrev_b32_e32 v28, 24, v26
	v_cmp_ne_u32_e32 vcc, s13, v28
	v_mov_b32_e32 v53, 0xffff8000
	s_and_saveexec_b64 s[6:7], vcc
	s_cbranch_execz .LBB930_112
; %bb.109:                              ;   in Loop: Header=BB930_17 Depth=1
	v_bfe_u32 v26, v26, 24, 7
	v_cmp_ne_u32_e32 vcc, s14, v26
	v_mov_b32_e32 v53, 0x7f80
	s_and_saveexec_b64 s[10:11], vcc
	s_cbranch_execz .LBB930_111
; %bb.110:                              ;   in Loop: Header=BB930_17 Depth=1
	v_and_b32_e32 v30, 7, v28
	v_ffbh_u32_e32 v54, v30
	v_min_u32_e32 v56, 32, v54
	v_subrev_u32_e32 v54, 28, v56
	v_lshlrev_b64 v[54:55], v54, v[28:29]
	v_lshrrev_b32_e32 v53, 3, v26
	v_sub_u32_e32 v55, 29, v56
	v_and_b32_e32 v54, 7, v54
	v_cmp_gt_u32_e32 vcc, 8, v26
	v_cndmask_b32_e32 v26, v53, v55, vcc
	v_cndmask_b32_e32 v30, v30, v54, vcc
	v_lshlrev_b32_e32 v28, 24, v28
	v_lshlrev_b32_e32 v30, 20, v30
	v_and_b32_e32 v28, 0x80000000, v28
	v_lshl_add_u32 v26, v26, 23, v38
	v_or3_b32 v26, v28, v26, v30
	v_lshrrev_b32_e32 v53, 16, v26
.LBB930_111:                            ;   in Loop: Header=BB930_17 Depth=1
	s_or_b64 exec, exec, s[10:11]
.LBB930_112:                            ;   in Loop: Header=BB930_17 Depth=1
	s_or_b64 exec, exec, s[6:7]
.LBB930_113:                            ;   in Loop: Header=BB930_17 Depth=1
	s_or_b64 exec, exec, s[4:5]
	v_perm_b32 v54, v23, v32, s16
	buffer_load_dword v32, v36, s[0:3], 0 offen offset:16
	buffer_load_dword v30, v36, s[0:3], 0 offen offset:20
	;; [unrolled: 1-line block ×4, first 2 shown]
	v_perm_b32 v55, v40, v34, s16
	v_perm_b32 v53, v53, v52, s16
	;; [unrolled: 1-line block ×3, first 2 shown]
	v_mfma_f32_16x16x16bf16_1k v[18:21], v[54:55], v[6:7], v[18:21]
	v_mov_b32_e32 v23, 0
	v_mov_b32_e32 v40, 0
	s_waitcnt vmcnt(3)
	v_cmp_ne_u16_sdwa s[6:7], v32, v35 src0_sel:BYTE_0 src1_sel:DWORD
	v_mfma_f32_16x16x16bf16_1k v[18:21], v[52:53], v[8:9], v[18:21]
	s_and_saveexec_b64 s[4:5], s[6:7]
	s_cbranch_execz .LBB930_119
; %bb.114:                              ;   in Loop: Header=BB930_17 Depth=1
	v_cmp_ne_u16_sdwa s[10:11], v32, s13 src0_sel:BYTE_0 src1_sel:DWORD
	v_mov_b32_e32 v40, 0xffff8000
	s_and_saveexec_b64 s[6:7], s[10:11]
	s_cbranch_execz .LBB930_118
; %bb.115:                              ;   in Loop: Header=BB930_17 Depth=1
	v_and_b32_e32 v34, 0x7f, v32
	v_cmp_ne_u32_e32 vcc, s14, v34
	v_mov_b32_e32 v40, 0x7f80
	s_and_saveexec_b64 s[10:11], vcc
	s_cbranch_execz .LBB930_117
; %bb.116:                              ;   in Loop: Header=BB930_17 Depth=1
	v_and_b32_e32 v40, 7, v32
	v_ffbh_u32_e32 v44, v40
	v_min_u32_e32 v44, 32, v44
	v_subrev_u32_e32 v52, 28, v44
	v_lshlrev_b64 v[52:53], v52, v[32:33]
	v_lshrrev_b32_e32 v42, 3, v34
	v_sub_u32_e32 v44, 29, v44
	v_and_b32_e32 v52, 7, v52
	v_cmp_gt_u32_e32 vcc, 8, v34
	v_cndmask_b32_e32 v34, v42, v44, vcc
	v_cndmask_b32_e32 v40, v40, v52, vcc
	v_lshlrev_b32_e32 v42, 24, v32
	v_lshlrev_b32_e32 v40, 20, v40
	v_and_b32_e32 v42, 0x80000000, v42
	v_lshl_add_u32 v34, v34, 23, v38
	v_or3_b32 v34, v42, v34, v40
	v_lshrrev_b32_e32 v40, 16, v34
.LBB930_117:                            ;   in Loop: Header=BB930_17 Depth=1
	s_or_b64 exec, exec, s[10:11]
.LBB930_118:                            ;   in Loop: Header=BB930_17 Depth=1
	s_or_b64 exec, exec, s[6:7]
.LBB930_119:                            ;   in Loop: Header=BB930_17 Depth=1
	s_or_b64 exec, exec, s[4:5]
	v_lshrrev_b16_e32 v34, 8, v32
	v_cmp_ne_u16_e32 vcc, 0, v34
	s_and_saveexec_b64 s[4:5], vcc
	s_cbranch_execz .LBB930_125
; %bb.120:                              ;   in Loop: Header=BB930_17 Depth=1
	v_cmp_ne_u16_e32 vcc, s13, v34
	v_mov_b32_e32 v23, 0xffff8000
	s_and_saveexec_b64 s[6:7], vcc
	s_cbranch_execz .LBB930_124
; %bb.121:                              ;   in Loop: Header=BB930_17 Depth=1
	v_and_b32_e32 v42, 0x7f, v34
	v_cmp_ne_u32_e32 vcc, s14, v42
	v_mov_b32_e32 v23, 0x7f80
	s_and_saveexec_b64 s[10:11], vcc
	s_cbranch_execz .LBB930_123
; %bb.122:                              ;   in Loop: Header=BB930_17 Depth=1
	v_and_b32_e32 v23, 7, v34
	v_ffbh_u32_e32 v52, v23
	v_min_u32_e32 v54, 32, v52
	v_subrev_u32_e32 v52, 28, v54
	v_lshlrev_b64 v[52:53], v52, v[34:35]
	v_lshrrev_b32_e32 v44, 3, v42
	v_sub_u32_e32 v34, 29, v54
	v_and_b32_e32 v52, 7, v52
	v_cmp_gt_u32_e32 vcc, 8, v42
	v_cndmask_b32_e32 v34, v44, v34, vcc
	v_cndmask_b32_e32 v23, v23, v52, vcc
	v_lshlrev_b32_e32 v42, 16, v32
	v_lshlrev_b32_e32 v23, 20, v23
	v_and_b32_e32 v42, 0x80000000, v42
	v_lshl_add_u32 v34, v34, 23, v38
	v_or3_b32 v23, v42, v34, v23
	v_lshrrev_b32_e32 v23, 16, v23
.LBB930_123:                            ;   in Loop: Header=BB930_17 Depth=1
	s_or_b64 exec, exec, s[10:11]
.LBB930_124:                            ;   in Loop: Header=BB930_17 Depth=1
	s_or_b64 exec, exec, s[6:7]
.LBB930_125:                            ;   in Loop: Header=BB930_17 Depth=1
	s_or_b64 exec, exec, s[4:5]
	v_lshrrev_b32_e32 v34, 16, v32
	v_cmp_ne_u16_sdwa s[6:7], v34, v35 src0_sel:BYTE_0 src1_sel:DWORD
	v_mov_b32_e32 v44, 0
	v_mov_b32_e32 v42, 0
	s_and_saveexec_b64 s[4:5], s[6:7]
	s_cbranch_execz .LBB930_131
; %bb.126:                              ;   in Loop: Header=BB930_17 Depth=1
	v_cmp_ne_u16_sdwa s[10:11], v34, s13 src0_sel:BYTE_0 src1_sel:DWORD
	v_mov_b32_e32 v42, 0xffff8000
	s_and_saveexec_b64 s[6:7], s[10:11]
	s_cbranch_execz .LBB930_130
; %bb.127:                              ;   in Loop: Header=BB930_17 Depth=1
	v_bfe_u32 v52, v32, 16, 7
	v_cmp_ne_u32_e32 vcc, s14, v52
	v_mov_b32_e32 v42, 0x7f80
	s_and_saveexec_b64 s[10:11], vcc
	s_cbranch_execz .LBB930_129
; %bb.128:                              ;   in Loop: Header=BB930_17 Depth=1
	v_and_b32_e32 v42, 7, v34
	v_ffbh_u32_e32 v54, v42
	v_min_u32_e32 v56, 32, v54
	v_subrev_u32_e32 v54, 28, v56
	v_lshlrev_b64 v[54:55], v54, v[34:35]
	v_lshrrev_b32_e32 v53, 3, v52
	v_sub_u32_e32 v55, 29, v56
	v_and_b32_e32 v54, 7, v54
	v_cmp_gt_u32_e32 vcc, 8, v52
	v_cndmask_b32_e32 v52, v53, v55, vcc
	v_cndmask_b32_e32 v42, v42, v54, vcc
	v_lshlrev_b32_e32 v34, 24, v34
	v_lshlrev_b32_e32 v42, 20, v42
	v_and_b32_e32 v34, 0x80000000, v34
	v_lshl_add_u32 v52, v52, 23, v38
	v_or3_b32 v34, v34, v52, v42
	v_lshrrev_b32_e32 v42, 16, v34
.LBB930_129:                            ;   in Loop: Header=BB930_17 Depth=1
	s_or_b64 exec, exec, s[10:11]
.LBB930_130:                            ;   in Loop: Header=BB930_17 Depth=1
	s_or_b64 exec, exec, s[6:7]
.LBB930_131:                            ;   in Loop: Header=BB930_17 Depth=1
	s_or_b64 exec, exec, s[4:5]
	v_cmp_lt_u32_e32 vcc, s15, v32
	s_and_saveexec_b64 s[4:5], vcc
	s_cbranch_execz .LBB930_137
; %bb.132:                              ;   in Loop: Header=BB930_17 Depth=1
	v_lshrrev_b32_e32 v34, 24, v32
	v_cmp_ne_u32_e32 vcc, s13, v34
	v_mov_b32_e32 v44, 0xffff8000
	s_and_saveexec_b64 s[6:7], vcc
	s_cbranch_execz .LBB930_136
; %bb.133:                              ;   in Loop: Header=BB930_17 Depth=1
	v_bfe_u32 v32, v32, 24, 7
	v_cmp_ne_u32_e32 vcc, s14, v32
	v_mov_b32_e32 v44, 0x7f80
	s_and_saveexec_b64 s[10:11], vcc
	s_cbranch_execz .LBB930_135
; %bb.134:                              ;   in Loop: Header=BB930_17 Depth=1
	v_and_b32_e32 v44, 7, v34
	v_ffbh_u32_e32 v52, v44
	v_min_u32_e32 v55, 32, v52
	v_subrev_u32_e32 v52, 28, v55
	v_lshlrev_b64 v[52:53], v52, v[34:35]
	v_lshrrev_b32_e32 v54, 3, v32
	v_sub_u32_e32 v53, 29, v55
	v_and_b32_e32 v52, 7, v52
	v_cmp_gt_u32_e32 vcc, 8, v32
	v_cndmask_b32_e32 v32, v54, v53, vcc
	v_cndmask_b32_e32 v44, v44, v52, vcc
	v_lshlrev_b32_e32 v34, 24, v34
	v_lshlrev_b32_e32 v44, 20, v44
	v_and_b32_e32 v34, 0x80000000, v34
	v_lshl_add_u32 v32, v32, 23, v38
	v_or3_b32 v32, v34, v32, v44
	v_lshrrev_b32_e32 v44, 16, v32
.LBB930_135:                            ;   in Loop: Header=BB930_17 Depth=1
	s_or_b64 exec, exec, s[10:11]
.LBB930_136:                            ;   in Loop: Header=BB930_17 Depth=1
	s_or_b64 exec, exec, s[6:7]
.LBB930_137:                            ;   in Loop: Header=BB930_17 Depth=1
	s_or_b64 exec, exec, s[4:5]
	s_waitcnt vmcnt(2)
	v_cmp_ne_u16_sdwa s[6:7], v30, v35 src0_sel:BYTE_0 src1_sel:DWORD
	v_mov_b32_e32 v34, 0
	v_mov_b32_e32 v52, 0
	s_and_saveexec_b64 s[4:5], s[6:7]
	s_cbranch_execz .LBB930_143
; %bb.138:                              ;   in Loop: Header=BB930_17 Depth=1
	v_cmp_ne_u16_sdwa s[10:11], v30, s13 src0_sel:BYTE_0 src1_sel:DWORD
	v_mov_b32_e32 v52, 0xffff8000
	s_and_saveexec_b64 s[6:7], s[10:11]
	s_cbranch_execz .LBB930_142
; %bb.139:                              ;   in Loop: Header=BB930_17 Depth=1
	v_and_b32_e32 v32, 0x7f, v30
	v_cmp_ne_u32_e32 vcc, s14, v32
	v_mov_b32_e32 v52, 0x7f80
	s_and_saveexec_b64 s[10:11], vcc
	s_cbranch_execz .LBB930_141
; %bb.140:                              ;   in Loop: Header=BB930_17 Depth=1
	v_and_b32_e32 v54, 7, v30
	v_ffbh_u32_e32 v52, v54
	v_min_u32_e32 v56, 32, v52
	v_subrev_u32_e32 v52, 28, v56
	v_lshlrev_b64 v[52:53], v52, v[30:31]
	v_lshrrev_b32_e32 v55, 3, v32
	v_sub_u32_e32 v53, 29, v56
	v_and_b32_e32 v52, 7, v52
	v_cmp_gt_u32_e32 vcc, 8, v32
	v_cndmask_b32_e32 v32, v55, v53, vcc
	v_cndmask_b32_e32 v52, v54, v52, vcc
	v_lshlrev_b32_e32 v53, 24, v30
	v_lshlrev_b32_e32 v52, 20, v52
	v_and_b32_e32 v53, 0x80000000, v53
	v_lshl_add_u32 v32, v32, 23, v38
	v_or3_b32 v32, v53, v32, v52
	v_lshrrev_b32_e32 v52, 16, v32
.LBB930_141:                            ;   in Loop: Header=BB930_17 Depth=1
	s_or_b64 exec, exec, s[10:11]
.LBB930_142:                            ;   in Loop: Header=BB930_17 Depth=1
	s_or_b64 exec, exec, s[6:7]
.LBB930_143:                            ;   in Loop: Header=BB930_17 Depth=1
	s_or_b64 exec, exec, s[4:5]
	v_lshrrev_b16_e32 v32, 8, v30
	v_cmp_ne_u16_e32 vcc, 0, v32
	s_and_saveexec_b64 s[4:5], vcc
	s_cbranch_execz .LBB930_149
; %bb.144:                              ;   in Loop: Header=BB930_17 Depth=1
	v_cmp_ne_u16_e32 vcc, s13, v32
	v_mov_b32_e32 v34, 0xffff8000
	s_and_saveexec_b64 s[6:7], vcc
	s_cbranch_execz .LBB930_148
; %bb.145:                              ;   in Loop: Header=BB930_17 Depth=1
	v_and_b32_e32 v53, 0x7f, v32
	v_cmp_ne_u32_e32 vcc, s14, v53
	v_mov_b32_e32 v34, 0x7f80
	s_and_saveexec_b64 s[10:11], vcc
	s_cbranch_execz .LBB930_147
; %bb.146:                              ;   in Loop: Header=BB930_17 Depth=1
	v_and_b32_e32 v34, 7, v32
	v_ffbh_u32_e32 v54, v34
	v_min_u32_e32 v57, 32, v54
	v_subrev_u32_e32 v54, 28, v57
	v_lshlrev_b64 v[54:55], v54, v[32:33]
	v_lshrrev_b32_e32 v56, 3, v53
	v_sub_u32_e32 v32, 29, v57
	v_and_b32_e32 v54, 7, v54
	v_cmp_gt_u32_e32 vcc, 8, v53
	v_cndmask_b32_e32 v32, v56, v32, vcc
	v_cndmask_b32_e32 v34, v34, v54, vcc
	v_lshlrev_b32_e32 v53, 16, v30
	v_lshlrev_b32_e32 v34, 20, v34
	v_and_b32_e32 v53, 0x80000000, v53
	v_lshl_add_u32 v32, v32, 23, v38
	v_or3_b32 v32, v53, v32, v34
	v_lshrrev_b32_e32 v34, 16, v32
.LBB930_147:                            ;   in Loop: Header=BB930_17 Depth=1
	s_or_b64 exec, exec, s[10:11]
.LBB930_148:                            ;   in Loop: Header=BB930_17 Depth=1
	s_or_b64 exec, exec, s[6:7]
.LBB930_149:                            ;   in Loop: Header=BB930_17 Depth=1
	s_or_b64 exec, exec, s[4:5]
	v_lshrrev_b32_e32 v32, 16, v30
	v_cmp_ne_u16_sdwa s[6:7], v32, v35 src0_sel:BYTE_0 src1_sel:DWORD
	v_mov_b32_e32 v54, 0
	v_mov_b32_e32 v53, 0
	s_and_saveexec_b64 s[4:5], s[6:7]
	s_cbranch_execz .LBB930_155
; %bb.150:                              ;   in Loop: Header=BB930_17 Depth=1
	v_cmp_ne_u16_sdwa s[10:11], v32, s13 src0_sel:BYTE_0 src1_sel:DWORD
	v_mov_b32_e32 v53, 0xffff8000
	s_and_saveexec_b64 s[6:7], s[10:11]
	s_cbranch_execz .LBB930_154
; %bb.151:                              ;   in Loop: Header=BB930_17 Depth=1
	v_bfe_u32 v55, v30, 16, 7
	v_cmp_ne_u32_e32 vcc, s14, v55
	v_mov_b32_e32 v53, 0x7f80
	s_and_saveexec_b64 s[10:11], vcc
	s_cbranch_execz .LBB930_153
; %bb.152:                              ;   in Loop: Header=BB930_17 Depth=1
	v_and_b32_e32 v53, 7, v32
	v_ffbh_u32_e32 v56, v53
	v_min_u32_e32 v59, 32, v56
	v_subrev_u32_e32 v56, 28, v59
	v_lshlrev_b64 v[56:57], v56, v[32:33]
	v_lshrrev_b32_e32 v58, 3, v55
	v_sub_u32_e32 v57, 29, v59
	v_and_b32_e32 v56, 7, v56
	v_cmp_gt_u32_e32 vcc, 8, v55
	v_cndmask_b32_e32 v55, v58, v57, vcc
	v_cndmask_b32_e32 v53, v53, v56, vcc
	v_lshlrev_b32_e32 v32, 24, v32
	v_lshlrev_b32_e32 v53, 20, v53
	v_and_b32_e32 v32, 0x80000000, v32
	v_lshl_add_u32 v55, v55, 23, v38
	v_or3_b32 v32, v32, v55, v53
	v_lshrrev_b32_e32 v53, 16, v32
.LBB930_153:                            ;   in Loop: Header=BB930_17 Depth=1
	s_or_b64 exec, exec, s[10:11]
.LBB930_154:                            ;   in Loop: Header=BB930_17 Depth=1
	s_or_b64 exec, exec, s[6:7]
.LBB930_155:                            ;   in Loop: Header=BB930_17 Depth=1
	s_or_b64 exec, exec, s[4:5]
	v_cmp_lt_u32_e32 vcc, s15, v30
	s_and_saveexec_b64 s[4:5], vcc
	s_cbranch_execz .LBB930_161
; %bb.156:                              ;   in Loop: Header=BB930_17 Depth=1
	v_lshrrev_b32_e32 v32, 24, v30
	v_cmp_ne_u32_e32 vcc, s13, v32
	v_mov_b32_e32 v54, 0xffff8000
	s_and_saveexec_b64 s[6:7], vcc
	s_cbranch_execz .LBB930_160
; %bb.157:                              ;   in Loop: Header=BB930_17 Depth=1
	v_bfe_u32 v30, v30, 24, 7
	v_cmp_ne_u32_e32 vcc, s14, v30
	v_mov_b32_e32 v54, 0x7f80
	s_and_saveexec_b64 s[10:11], vcc
	s_cbranch_execz .LBB930_159
; %bb.158:                              ;   in Loop: Header=BB930_17 Depth=1
	v_and_b32_e32 v56, 7, v32
	v_ffbh_u32_e32 v54, v56
	v_min_u32_e32 v58, 32, v54
	v_subrev_u32_e32 v54, 28, v58
	v_lshlrev_b64 v[54:55], v54, v[32:33]
	v_lshrrev_b32_e32 v57, 3, v30
	v_sub_u32_e32 v55, 29, v58
	v_and_b32_e32 v54, 7, v54
	v_cmp_gt_u32_e32 vcc, 8, v30
	v_cndmask_b32_e32 v30, v57, v55, vcc
	v_cndmask_b32_e32 v54, v56, v54, vcc
	v_lshlrev_b32_e32 v32, 24, v32
	v_lshlrev_b32_e32 v54, 20, v54
	v_and_b32_e32 v32, 0x80000000, v32
	v_lshl_add_u32 v30, v30, 23, v38
	v_or3_b32 v30, v32, v30, v54
	v_lshrrev_b32_e32 v54, 16, v30
.LBB930_159:                            ;   in Loop: Header=BB930_17 Depth=1
	s_or_b64 exec, exec, s[10:11]
.LBB930_160:                            ;   in Loop: Header=BB930_17 Depth=1
	s_or_b64 exec, exec, s[6:7]
.LBB930_161:                            ;   in Loop: Header=BB930_17 Depth=1
	s_or_b64 exec, exec, s[4:5]
	v_perm_b32 v57, v44, v42, s16
	v_perm_b32 v56, v23, v40, s16
	;; [unrolled: 1-line block ×4, first 2 shown]
	s_waitcnt vmcnt(1)
	v_cmp_ne_u16_sdwa s[6:7], v28, v35 src0_sel:BYTE_0 src1_sel:DWORD
	v_mfma_f32_16x16x16bf16_1k v[18:21], v[56:57], v[10:11], v[18:21]
	v_mov_b32_e32 v23, 0
	v_mov_b32_e32 v32, 0
	v_mfma_f32_16x16x16bf16_1k v[18:21], v[52:53], v[12:13], v[18:21]
	s_and_saveexec_b64 s[4:5], s[6:7]
	s_cbranch_execz .LBB930_167
; %bb.162:                              ;   in Loop: Header=BB930_17 Depth=1
	v_cmp_ne_u16_sdwa s[10:11], v28, s13 src0_sel:BYTE_0 src1_sel:DWORD
	v_mov_b32_e32 v32, 0xffff8000
	s_and_saveexec_b64 s[6:7], s[10:11]
	s_cbranch_execz .LBB930_166
; %bb.163:                              ;   in Loop: Header=BB930_17 Depth=1
	v_and_b32_e32 v30, 0x7f, v28
	v_cmp_ne_u32_e32 vcc, s14, v30
	v_mov_b32_e32 v32, 0x7f80
	s_and_saveexec_b64 s[10:11], vcc
	s_cbranch_execz .LBB930_165
; %bb.164:                              ;   in Loop: Header=BB930_17 Depth=1
	v_and_b32_e32 v32, 7, v28
	v_ffbh_u32_e32 v40, v32
	v_min_u32_e32 v40, 32, v40
	v_subrev_u32_e32 v42, 28, v40
	v_lshlrev_b64 v[52:53], v42, v[28:29]
	v_lshrrev_b32_e32 v34, 3, v30
	v_sub_u32_e32 v40, 29, v40
	v_and_b32_e32 v42, 7, v52
	v_cmp_gt_u32_e32 vcc, 8, v30
	v_cndmask_b32_e32 v30, v34, v40, vcc
	v_cndmask_b32_e32 v32, v32, v42, vcc
	v_lshlrev_b32_e32 v34, 24, v28
	v_lshlrev_b32_e32 v32, 20, v32
	v_and_b32_e32 v34, 0x80000000, v34
	v_lshl_add_u32 v30, v30, 23, v38
	v_or3_b32 v30, v34, v30, v32
	v_lshrrev_b32_e32 v32, 16, v30
.LBB930_165:                            ;   in Loop: Header=BB930_17 Depth=1
	s_or_b64 exec, exec, s[10:11]
.LBB930_166:                            ;   in Loop: Header=BB930_17 Depth=1
	s_or_b64 exec, exec, s[6:7]
.LBB930_167:                            ;   in Loop: Header=BB930_17 Depth=1
	s_or_b64 exec, exec, s[4:5]
	v_lshrrev_b16_e32 v30, 8, v28
	v_cmp_ne_u16_e32 vcc, 0, v30
	s_and_saveexec_b64 s[4:5], vcc
	s_cbranch_execz .LBB930_173
; %bb.168:                              ;   in Loop: Header=BB930_17 Depth=1
	v_cmp_ne_u16_e32 vcc, s13, v30
	v_mov_b32_e32 v23, 0xffff8000
	s_and_saveexec_b64 s[6:7], vcc
	s_cbranch_execz .LBB930_172
; %bb.169:                              ;   in Loop: Header=BB930_17 Depth=1
	v_and_b32_e32 v34, 0x7f, v30
	v_cmp_ne_u32_e32 vcc, s14, v34
	v_mov_b32_e32 v23, 0x7f80
	s_and_saveexec_b64 s[10:11], vcc
	s_cbranch_execz .LBB930_171
; %bb.170:                              ;   in Loop: Header=BB930_17 Depth=1
	v_and_b32_e32 v23, 7, v30
	v_ffbh_u32_e32 v42, v23
	v_min_u32_e32 v42, 32, v42
	v_subrev_u32_e32 v44, 28, v42
	v_lshlrev_b64 v[52:53], v44, v[30:31]
	v_lshrrev_b32_e32 v40, 3, v34
	v_sub_u32_e32 v30, 29, v42
	v_and_b32_e32 v42, 7, v52
	v_cmp_gt_u32_e32 vcc, 8, v34
	v_cndmask_b32_e32 v30, v40, v30, vcc
	v_cndmask_b32_e32 v23, v23, v42, vcc
	v_lshlrev_b32_e32 v34, 16, v28
	v_lshlrev_b32_e32 v23, 20, v23
	v_and_b32_e32 v34, 0x80000000, v34
	v_lshl_add_u32 v30, v30, 23, v38
	v_or3_b32 v23, v34, v30, v23
	v_lshrrev_b32_e32 v23, 16, v23
.LBB930_171:                            ;   in Loop: Header=BB930_17 Depth=1
	s_or_b64 exec, exec, s[10:11]
.LBB930_172:                            ;   in Loop: Header=BB930_17 Depth=1
	s_or_b64 exec, exec, s[6:7]
.LBB930_173:                            ;   in Loop: Header=BB930_17 Depth=1
	s_or_b64 exec, exec, s[4:5]
	v_lshrrev_b32_e32 v30, 16, v28
	v_cmp_ne_u16_sdwa s[6:7], v30, v35 src0_sel:BYTE_0 src1_sel:DWORD
	v_mov_b32_e32 v40, 0
	v_mov_b32_e32 v34, 0
	s_and_saveexec_b64 s[4:5], s[6:7]
	s_cbranch_execz .LBB930_179
; %bb.174:                              ;   in Loop: Header=BB930_17 Depth=1
	v_cmp_ne_u16_sdwa s[10:11], v30, s13 src0_sel:BYTE_0 src1_sel:DWORD
	v_mov_b32_e32 v34, 0xffff8000
	s_and_saveexec_b64 s[6:7], s[10:11]
	s_cbranch_execz .LBB930_178
; %bb.175:                              ;   in Loop: Header=BB930_17 Depth=1
	v_bfe_u32 v42, v28, 16, 7
	v_cmp_ne_u32_e32 vcc, s14, v42
	v_mov_b32_e32 v34, 0x7f80
	s_and_saveexec_b64 s[10:11], vcc
	s_cbranch_execz .LBB930_177
; %bb.176:                              ;   in Loop: Header=BB930_17 Depth=1
	v_and_b32_e32 v34, 7, v30
	v_ffbh_u32_e32 v52, v34
	v_min_u32_e32 v54, 32, v52
	v_subrev_u32_e32 v52, 28, v54
	v_lshlrev_b64 v[52:53], v52, v[30:31]
	v_lshrrev_b32_e32 v44, 3, v42
	v_sub_u32_e32 v53, 29, v54
	v_and_b32_e32 v52, 7, v52
	v_cmp_gt_u32_e32 vcc, 8, v42
	v_cndmask_b32_e32 v42, v44, v53, vcc
	v_cndmask_b32_e32 v34, v34, v52, vcc
	v_lshlrev_b32_e32 v30, 24, v30
	v_lshlrev_b32_e32 v34, 20, v34
	v_and_b32_e32 v30, 0x80000000, v30
	v_lshl_add_u32 v42, v42, 23, v38
	v_or3_b32 v30, v30, v42, v34
	v_lshrrev_b32_e32 v34, 16, v30
.LBB930_177:                            ;   in Loop: Header=BB930_17 Depth=1
	s_or_b64 exec, exec, s[10:11]
.LBB930_178:                            ;   in Loop: Header=BB930_17 Depth=1
	s_or_b64 exec, exec, s[6:7]
.LBB930_179:                            ;   in Loop: Header=BB930_17 Depth=1
	s_or_b64 exec, exec, s[4:5]
	v_cmp_lt_u32_e32 vcc, s15, v28
	s_and_saveexec_b64 s[4:5], vcc
	s_cbranch_execz .LBB930_185
; %bb.180:                              ;   in Loop: Header=BB930_17 Depth=1
	v_lshrrev_b32_e32 v30, 24, v28
	v_cmp_ne_u32_e32 vcc, s13, v30
	v_mov_b32_e32 v40, 0xffff8000
	s_and_saveexec_b64 s[6:7], vcc
	s_cbranch_execz .LBB930_184
; %bb.181:                              ;   in Loop: Header=BB930_17 Depth=1
	v_bfe_u32 v28, v28, 24, 7
	v_cmp_ne_u32_e32 vcc, s14, v28
	v_mov_b32_e32 v40, 0x7f80
	s_and_saveexec_b64 s[10:11], vcc
	s_cbranch_execz .LBB930_183
; %bb.182:                              ;   in Loop: Header=BB930_17 Depth=1
	v_and_b32_e32 v40, 7, v30
	v_ffbh_u32_e32 v44, v40
	v_min_u32_e32 v44, 32, v44
	v_subrev_u32_e32 v52, 28, v44
	v_lshlrev_b64 v[52:53], v52, v[30:31]
	v_lshrrev_b32_e32 v42, 3, v28
	v_sub_u32_e32 v44, 29, v44
	v_and_b32_e32 v52, 7, v52
	v_cmp_gt_u32_e32 vcc, 8, v28
	v_cndmask_b32_e32 v28, v42, v44, vcc
	v_cndmask_b32_e32 v40, v40, v52, vcc
	v_lshlrev_b32_e32 v30, 24, v30
	v_lshlrev_b32_e32 v40, 20, v40
	v_and_b32_e32 v30, 0x80000000, v30
	v_lshl_add_u32 v28, v28, 23, v38
	v_or3_b32 v28, v30, v28, v40
	v_lshrrev_b32_e32 v40, 16, v28
.LBB930_183:                            ;   in Loop: Header=BB930_17 Depth=1
	s_or_b64 exec, exec, s[10:11]
.LBB930_184:                            ;   in Loop: Header=BB930_17 Depth=1
	s_or_b64 exec, exec, s[6:7]
.LBB930_185:                            ;   in Loop: Header=BB930_17 Depth=1
	s_or_b64 exec, exec, s[4:5]
	s_waitcnt vmcnt(0)
	v_cmp_ne_u16_sdwa s[6:7], v26, v35 src0_sel:BYTE_0 src1_sel:DWORD
	v_mov_b32_e32 v30, 0
	v_mov_b32_e32 v42, 0
	s_and_saveexec_b64 s[4:5], s[6:7]
	s_cbranch_execz .LBB930_191
; %bb.186:                              ;   in Loop: Header=BB930_17 Depth=1
	v_cmp_ne_u16_sdwa s[10:11], v26, s13 src0_sel:BYTE_0 src1_sel:DWORD
	v_mov_b32_e32 v42, 0xffff8000
	s_and_saveexec_b64 s[6:7], s[10:11]
	s_cbranch_execz .LBB930_190
; %bb.187:                              ;   in Loop: Header=BB930_17 Depth=1
	v_and_b32_e32 v28, 0x7f, v26
	v_cmp_ne_u32_e32 vcc, s14, v28
	v_mov_b32_e32 v42, 0x7f80
	s_and_saveexec_b64 s[10:11], vcc
	s_cbranch_execz .LBB930_189
; %bb.188:                              ;   in Loop: Header=BB930_17 Depth=1
	v_and_b32_e32 v42, 7, v26
	v_ffbh_u32_e32 v52, v42
	v_min_u32_e32 v54, 32, v52
	v_subrev_u32_e32 v52, 28, v54
	v_lshlrev_b64 v[52:53], v52, v[26:27]
	v_lshrrev_b32_e32 v44, 3, v28
	v_sub_u32_e32 v53, 29, v54
	v_and_b32_e32 v52, 7, v52
	v_cmp_gt_u32_e32 vcc, 8, v28
	v_cndmask_b32_e32 v28, v44, v53, vcc
	v_cndmask_b32_e32 v42, v42, v52, vcc
	v_lshlrev_b32_e32 v44, 24, v26
	v_lshlrev_b32_e32 v42, 20, v42
	v_and_b32_e32 v44, 0x80000000, v44
	v_lshl_add_u32 v28, v28, 23, v38
	v_or3_b32 v28, v44, v28, v42
	v_lshrrev_b32_e32 v42, 16, v28
.LBB930_189:                            ;   in Loop: Header=BB930_17 Depth=1
	s_or_b64 exec, exec, s[10:11]
.LBB930_190:                            ;   in Loop: Header=BB930_17 Depth=1
	s_or_b64 exec, exec, s[6:7]
.LBB930_191:                            ;   in Loop: Header=BB930_17 Depth=1
	s_or_b64 exec, exec, s[4:5]
	v_lshrrev_b16_e32 v28, 8, v26
	v_cmp_ne_u16_e32 vcc, 0, v28
	s_and_saveexec_b64 s[4:5], vcc
	s_cbranch_execz .LBB930_197
; %bb.192:                              ;   in Loop: Header=BB930_17 Depth=1
	v_cmp_ne_u16_e32 vcc, s13, v28
	v_mov_b32_e32 v30, 0xffff8000
	s_and_saveexec_b64 s[6:7], vcc
	s_cbranch_execz .LBB930_196
; %bb.193:                              ;   in Loop: Header=BB930_17 Depth=1
	v_and_b32_e32 v44, 0x7f, v28
	v_cmp_ne_u32_e32 vcc, s14, v44
	v_mov_b32_e32 v30, 0x7f80
	s_and_saveexec_b64 s[10:11], vcc
	s_cbranch_execz .LBB930_195
; %bb.194:                              ;   in Loop: Header=BB930_17 Depth=1
	v_and_b32_e32 v30, 7, v28
	v_ffbh_u32_e32 v52, v30
	v_min_u32_e32 v55, 32, v52
	v_subrev_u32_e32 v52, 28, v55
	v_lshlrev_b64 v[52:53], v52, v[28:29]
	v_lshrrev_b32_e32 v54, 3, v44
	v_sub_u32_e32 v28, 29, v55
	v_and_b32_e32 v52, 7, v52
	v_cmp_gt_u32_e32 vcc, 8, v44
	v_cndmask_b32_e32 v28, v54, v28, vcc
	v_cndmask_b32_e32 v30, v30, v52, vcc
	v_lshlrev_b32_e32 v44, 16, v26
	v_lshlrev_b32_e32 v30, 20, v30
	v_and_b32_e32 v44, 0x80000000, v44
	v_lshl_add_u32 v28, v28, 23, v38
	v_or3_b32 v28, v44, v28, v30
	v_lshrrev_b32_e32 v30, 16, v28
.LBB930_195:                            ;   in Loop: Header=BB930_17 Depth=1
	s_or_b64 exec, exec, s[10:11]
.LBB930_196:                            ;   in Loop: Header=BB930_17 Depth=1
	s_or_b64 exec, exec, s[6:7]
.LBB930_197:                            ;   in Loop: Header=BB930_17 Depth=1
	s_or_b64 exec, exec, s[4:5]
	v_lshrrev_b32_e32 v28, 16, v26
	v_cmp_ne_u16_sdwa s[6:7], v28, v35 src0_sel:BYTE_0 src1_sel:DWORD
	v_mov_b32_e32 v52, 0
	v_mov_b32_e32 v44, 0
	s_and_saveexec_b64 s[4:5], s[6:7]
	s_cbranch_execz .LBB930_203
; %bb.198:                              ;   in Loop: Header=BB930_17 Depth=1
	v_cmp_ne_u16_sdwa s[10:11], v28, s13 src0_sel:BYTE_0 src1_sel:DWORD
	v_mov_b32_e32 v44, 0xffff8000
	s_and_saveexec_b64 s[6:7], s[10:11]
	s_cbranch_execz .LBB930_202
; %bb.199:                              ;   in Loop: Header=BB930_17 Depth=1
	v_bfe_u32 v53, v26, 16, 7
	v_cmp_ne_u32_e32 vcc, s14, v53
	v_mov_b32_e32 v44, 0x7f80
	s_and_saveexec_b64 s[10:11], vcc
	s_cbranch_execz .LBB930_201
; %bb.200:                              ;   in Loop: Header=BB930_17 Depth=1
	v_and_b32_e32 v44, 7, v28
	v_ffbh_u32_e32 v54, v44
	v_min_u32_e32 v57, 32, v54
	v_subrev_u32_e32 v54, 28, v57
	v_lshlrev_b64 v[54:55], v54, v[28:29]
	v_lshrrev_b32_e32 v56, 3, v53
	v_sub_u32_e32 v55, 29, v57
	v_and_b32_e32 v54, 7, v54
	v_cmp_gt_u32_e32 vcc, 8, v53
	v_cndmask_b32_e32 v53, v56, v55, vcc
	v_cndmask_b32_e32 v44, v44, v54, vcc
	v_lshlrev_b32_e32 v28, 24, v28
	v_lshlrev_b32_e32 v44, 20, v44
	v_and_b32_e32 v28, 0x80000000, v28
	v_lshl_add_u32 v53, v53, 23, v38
	v_or3_b32 v28, v28, v53, v44
	v_lshrrev_b32_e32 v44, 16, v28
.LBB930_201:                            ;   in Loop: Header=BB930_17 Depth=1
	s_or_b64 exec, exec, s[10:11]
.LBB930_202:                            ;   in Loop: Header=BB930_17 Depth=1
	s_or_b64 exec, exec, s[6:7]
.LBB930_203:                            ;   in Loop: Header=BB930_17 Depth=1
	s_or_b64 exec, exec, s[4:5]
	v_cmp_lt_u32_e32 vcc, s15, v26
	s_and_saveexec_b64 s[4:5], vcc
	s_cbranch_execz .LBB930_16
; %bb.204:                              ;   in Loop: Header=BB930_17 Depth=1
	v_lshrrev_b32_e32 v28, 24, v26
	v_cmp_ne_u32_e32 vcc, s13, v28
	v_mov_b32_e32 v52, 0xffff8000
	s_and_saveexec_b64 s[6:7], vcc
	s_cbranch_execz .LBB930_15
; %bb.205:                              ;   in Loop: Header=BB930_17 Depth=1
	v_bfe_u32 v26, v26, 24, 7
	v_cmp_ne_u32_e32 vcc, s14, v26
	v_mov_b32_e32 v52, 0x7f80
	s_and_saveexec_b64 s[10:11], vcc
	s_cbranch_execz .LBB930_14
; %bb.206:                              ;   in Loop: Header=BB930_17 Depth=1
	v_and_b32_e32 v54, 7, v28
	v_ffbh_u32_e32 v52, v54
	v_min_u32_e32 v56, 32, v52
	v_subrev_u32_e32 v52, 28, v56
	v_lshlrev_b64 v[52:53], v52, v[28:29]
	v_lshrrev_b32_e32 v55, 3, v26
	v_sub_u32_e32 v53, 29, v56
	v_and_b32_e32 v52, 7, v52
	v_cmp_gt_u32_e32 vcc, 8, v26
	v_cndmask_b32_e32 v26, v55, v53, vcc
	v_cndmask_b32_e32 v52, v54, v52, vcc
	v_lshlrev_b32_e32 v28, 24, v28
	v_lshlrev_b32_e32 v52, 20, v52
	v_and_b32_e32 v28, 0x80000000, v28
	v_lshl_add_u32 v26, v26, 23, v38
	v_or3_b32 v26, v28, v26, v52
	v_lshrrev_b32_e32 v52, 16, v26
	s_branch .LBB930_14
.LBB930_207:
	buffer_load_dword v17, off, s[0:3], 0 offset:256
	buffer_load_dword v16, off, s[0:3], 0 offset:260
	;; [unrolled: 1-line block ×16, first 2 shown]
	v_and_b32_e32 v18, 0xc0, v0
	v_add_u32_e32 v18, s20, v18
	v_lshl_or_b32 v18, v1, 2, v18
	v_or_b32_e32 v20, 1, v18
	v_subrev_u32_e32 v24, s33, v20
	v_add_u32_e32 v26, 1, v24
	v_cvt_f32_i32_e32 v25, v24
	v_add_u32_e32 v28, 2, v24
	v_add_u32_e32 v30, 3, v24
	;; [unrolled: 1-line block ×14, first 2 shown]
	v_cvt_f32_i32_e32 v26, v26
	v_cvt_f32_i32_e32 v28, v28
	;; [unrolled: 1-line block ×4, first 2 shown]
	v_mov_b32_e32 v19, 0xff7fffff
	v_or_b32_e32 v21, 2, v18
	v_or_b32_e32 v22, 3, v18
	v_cvt_f32_i32_e32 v32, v32
	v_cvt_f32_i32_e32 v34, v34
	v_cmp_gt_i32_e64 s[28:29], s33, v18
	v_cmp_gt_i32_e64 s[30:31], s33, v20
	s_mov_b32 s52, 0xff7fffff
	v_cmp_gt_i32_e64 s[34:35], s33, v21
	v_cmp_gt_i32_e64 s[36:37], s33, v22
	v_or_b32_e32 v23, 16, v18
	v_cvt_f32_i32_e32 v35, v35
	v_cvt_f32_i32_e32 v36, v36
	v_cmp_gt_i32_e64 s[24:25], s33, v23
	v_cvt_f32_i32_e32 v37, v37
	v_cvt_f32_i32_e32 v38, v38
	;; [unrolled: 1-line block ×7, first 2 shown]
	s_waitcnt vmcnt(15)
	v_fmac_f32_e32 v17, v31, v25
	s_waitcnt vmcnt(14)
	v_fmac_f32_e32 v16, v31, v26
	;; [unrolled: 2-line block ×4, first 2 shown]
	v_cndmask_b32_e64 v20, v19, v16, s[30:31]
	v_cndmask_b32_e64 v21, v19, v15, s[34:35]
	;; [unrolled: 1-line block ×3, first 2 shown]
	s_waitcnt vmcnt(11)
	v_fmac_f32_e32 v13, v31, v32
	s_waitcnt vmcnt(10)
	v_fmac_f32_e32 v12, v31, v34
	s_waitcnt vmcnt(9)
	v_fmac_f32_e32 v11, v31, v35
	s_waitcnt vmcnt(8)
	v_fmac_f32_e32 v10, v31, v36
	s_waitcnt vmcnt(7)
	v_fmac_f32_e32 v9, v31, v37
	s_waitcnt vmcnt(6)
	v_fmac_f32_e32 v8, v31, v38
	s_waitcnt vmcnt(5)
	v_fmac_f32_e32 v7, v31, v40
	s_waitcnt vmcnt(4)
	v_fmac_f32_e32 v6, v31, v42
	s_waitcnt vmcnt(0)
	v_fmac_f32_e32 v2, v31, v24
	v_cndmask_b32_e64 v24, v19, v17, s[28:29]
	v_max3_f32 v20, v24, s52, v20
	v_max3_f32 v20, v20, v21, v22
	v_or_b32_e32 v22, 17, v18
	v_cmp_gt_i32_e64 s[38:39], s33, v22
	v_cndmask_b32_e64 v21, v19, v13, s[24:25]
	v_cndmask_b32_e64 v22, v19, v12, s[38:39]
	v_max3_f32 v20, v20, v21, v22
	v_or_b32_e32 v21, 18, v18
	v_or_b32_e32 v22, 19, v18
	v_cmp_gt_i32_e64 s[20:21], s33, v21
	v_cmp_gt_i32_e64 s[22:23], s33, v22
	v_cndmask_b32_e64 v21, v19, v11, s[20:21]
	v_cndmask_b32_e64 v22, v19, v10, s[22:23]
	v_max3_f32 v20, v20, v21, v22
	v_or_b32_e32 v21, 32, v18
	v_or_b32_e32 v22, 33, v18
	v_cmp_gt_i32_e64 s[16:17], s33, v21
	;; [unrolled: 7-line block ×3, first 2 shown]
	v_cmp_gt_i32_e64 s[14:15], s33, v22
	v_cndmask_b32_e64 v21, v19, v7, s[12:13]
	v_cndmask_b32_e64 v22, v19, v6, s[14:15]
	v_max3_f32 v20, v20, v21, v22
	v_or_b32_e32 v21, 48, v18
	v_or_b32_e32 v22, 49, v18
	v_fmac_f32_e32 v5, v31, v44
	v_fmac_f32_e32 v4, v31, v52
	v_cmp_gt_i32_e64 s[6:7], s33, v21
	v_cmp_gt_i32_e64 s[10:11], s33, v22
	v_cndmask_b32_e64 v21, v19, v5, s[6:7]
	v_cndmask_b32_e64 v22, v19, v4, s[10:11]
	v_max3_f32 v20, v20, v21, v22
	v_or_b32_e32 v21, 50, v18
	v_or_b32_e32 v18, 51, v18
	v_fmac_f32_e32 v3, v31, v53
	v_cmp_gt_i32_e32 vcc, s33, v21
	v_cmp_gt_i32_e64 s[4:5], s33, v18
	v_cndmask_b32_e32 v21, v19, v3, vcc
	v_cndmask_b32_e64 v18, v19, v2, s[4:5]
	v_mbcnt_lo_u32_b32 v19, -1, 0
	v_mbcnt_hi_u32_b32 v19, -1, v19
	v_max3_f32 v18, v20, v21, v18
	v_and_b32_e32 v20, 64, v19
	v_add_u32_e32 v20, 64, v20
	v_xor_b32_e32 v21, 32, v19
	v_cmp_lt_i32_e64 s[40:41], v21, v20
	v_cndmask_b32_e64 v21, v19, v21, s[40:41]
	v_lshlrev_b32_e32 v21, 2, v21
	ds_bpermute_b32 v22, v21, v18
	s_waitcnt lgkmcnt(0)
	v_max_f32_e32 v22, v22, v22
	v_max_f32_e32 v18, v18, v22
	v_xor_b32_e32 v22, 16, v19
	v_cmp_lt_i32_e64 s[40:41], v22, v20
	v_cndmask_b32_e64 v19, v19, v22, s[40:41]
	v_lshlrev_b32_e32 v19, 2, v19
	ds_bpermute_b32 v20, v19, v18
	s_waitcnt lgkmcnt(0)
	v_max_f32_e32 v20, v20, v20
	v_max_f32_e32 v18, v18, v20
	v_sub_f32_e32 v17, v17, v18
	v_mul_f32_e32 v17, 0x3fb8aa3b, v17
	v_sub_f32_e32 v16, v16, v18
	v_exp_f32_e32 v17, v17
	v_mul_f32_e32 v16, 0x3fb8aa3b, v16
	v_sub_f32_e32 v15, v15, v18
	v_exp_f32_e32 v16, v16
	;; [unrolled: 3-line block ×4, first 2 shown]
	v_mul_f32_e32 v13, 0x3fb8aa3b, v13
	v_sub_f32_e32 v12, v12, v18
	v_cndmask_b32_e64 v17, 0, v17, s[28:29]
	v_exp_f32_e32 v13, v13
	v_mul_f32_e32 v12, 0x3fb8aa3b, v12
	v_sub_f32_e32 v11, v11, v18
	v_add_f32_e32 v20, 0, v17
	v_cndmask_b32_e64 v16, 0, v16, s[30:31]
	v_exp_f32_e32 v12, v12
	v_mul_f32_e32 v11, 0x3fb8aa3b, v11
	v_sub_f32_e32 v10, v10, v18
	v_add_f32_e32 v20, v20, v16
	;; [unrolled: 5-line block ×4, first 2 shown]
	v_cndmask_b32_e64 v13, 0, v13, s[24:25]
	v_exp_f32_e32 v9, v9
	v_mul_f32_e32 v8, 0x3fb8aa3b, v8
	v_sub_f32_e32 v7, v7, v18
	buffer_store_dword v17, off, s[0:3], 0 offset:256
	buffer_store_dword v16, off, s[0:3], 0 offset:260
	;; [unrolled: 1-line block ×4, first 2 shown]
	v_add_f32_e32 v14, v20, v13
	v_cndmask_b32_e64 v12, 0, v12, s[38:39]
	v_exp_f32_e32 v8, v8
	v_mul_f32_e32 v7, 0x3fb8aa3b, v7
	v_sub_f32_e32 v6, v6, v18
	v_add_f32_e32 v14, v14, v12
	v_cndmask_b32_e64 v11, 0, v11, s[20:21]
	v_exp_f32_e32 v7, v7
	v_mul_f32_e32 v6, 0x3fb8aa3b, v6
	v_sub_f32_e32 v5, v5, v18
	;; [unrolled: 5-line block ×4, first 2 shown]
	buffer_store_dword v13, off, s[0:3], 0 offset:272
	buffer_store_dword v12, off, s[0:3], 0 offset:276
	;; [unrolled: 1-line block ×4, first 2 shown]
	v_add_f32_e32 v10, v14, v9
	v_cndmask_b32_e64 v8, 0, v8, s[18:19]
	v_exp_f32_e32 v4, v4
	v_mul_f32_e32 v3, 0x3fb8aa3b, v3
	v_sub_f32_e32 v2, v2, v18
	v_add_f32_e32 v10, v10, v8
	v_cndmask_b32_e64 v7, 0, v7, s[12:13]
	v_exp_f32_e32 v3, v3
	v_mul_f32_e32 v2, 0x3fb8aa3b, v2
	v_add_f32_e32 v10, v10, v7
	v_cndmask_b32_e64 v6, 0, v6, s[14:15]
	v_exp_f32_e32 v2, v2
	v_add_f32_e32 v10, v10, v6
	v_cndmask_b32_e64 v5, 0, v5, s[6:7]
	buffer_store_dword v9, off, s[0:3], 0 offset:288
	buffer_store_dword v8, off, s[0:3], 0 offset:292
	;; [unrolled: 1-line block ×4, first 2 shown]
	v_add_f32_e32 v6, v10, v5
	v_cndmask_b32_e64 v4, 0, v4, s[10:11]
	v_add_f32_e32 v6, v6, v4
	v_cndmask_b32_e32 v3, 0, v3, vcc
	v_add_f32_e32 v6, v6, v3
	v_cndmask_b32_e64 v2, 0, v2, s[4:5]
	v_add_f32_e32 v6, v6, v2
	ds_bpermute_b32 v7, v21, v6
	buffer_store_dword v5, off, s[0:3], 0 offset:304
	buffer_store_dword v4, off, s[0:3], 0 offset:308
	;; [unrolled: 1-line block ×4, first 2 shown]
	v_cmp_gt_u32_e64 s[4:5], 16, v33
	s_waitcnt lgkmcnt(0)
	s_barrier
	v_add_f32_e32 v2, v6, v7
	ds_bpermute_b32 v3, v19, v2
	s_waitcnt lgkmcnt(0)
	s_and_saveexec_b64 s[6:7], s[4:5]
	s_cbranch_execz .LBB930_209
; %bb.208:
	v_add_f32_e32 v2, v2, v3
	v_lshlrev_b32_e32 v3, 2, v29
	ds_write2st64_b32 v3, v18, v2 offset1:1
.LBB930_209:
	s_or_b64 exec, exec, s[6:7]
	v_lshlrev_b32_e32 v2, 2, v41
	s_waitcnt lgkmcnt(0)
	s_barrier
	ds_read2_b32 v[14:15], v2 offset1:16
	ds_read2_b32 v[16:17], v2 offset0:32 offset1:48
	ds_read2_b32 v[6:7], v2 offset0:64 offset1:80
	ds_read2_b32 v[12:13], v2 offset0:96 offset1:112
	s_waitcnt lgkmcnt(0)
	s_barrier
	buffer_load_dword v22, off, s[0:3], 0 offset:264
	buffer_load_dword v23, off, s[0:3], 0 offset:268
	;; [unrolled: 1-line block ×16, first 2 shown]
	v_max3_f32 v20, v14, s52, v15
	v_max3_f32 v20, v20, v16, v17
	v_sub_f32_e32 v14, v14, v20
	v_sub_f32_e32 v15, v15, v20
	v_mul_f32_e32 v14, 0x3fb8aa3b, v14
	v_sub_f32_e32 v16, v16, v20
	v_mul_f32_e32 v15, 0x3fb8aa3b, v15
	v_exp_f32_e32 v14, v14
	v_sub_f32_e32 v17, v17, v20
	v_mul_f32_e32 v16, 0x3fb8aa3b, v16
	v_exp_f32_e32 v15, v15
	v_mul_f32_e32 v17, 0x3fb8aa3b, v17
	v_exp_f32_e32 v16, v16
	v_exp_f32_e32 v17, v17
	v_fma_f32 v6, v14, v6, 0
	v_fmac_f32_e32 v6, v15, v7
	v_fmac_f32_e32 v6, v16, v12
	;; [unrolled: 1-line block ×3, first 2 shown]
	v_cmp_eq_u32_e32 vcc, 1, v27
	v_add_f32_e32 v12, 0x358637bd, v6
	v_cndmask_b32_e32 v14, v14, v15, vcc
	v_cmp_eq_u32_e32 vcc, 2, v27
	v_div_scale_f32 v13, s[6:7], v12, v12, 1.0
	v_cndmask_b32_e32 v7, v14, v16, vcc
	v_rcp_f32_e32 v14, v13
	v_cmp_eq_u32_e32 vcc, 3, v27
	v_cndmask_b32_e32 v7, v7, v17, vcc
	v_div_scale_f32 v15, vcc, 1.0, v12, 1.0
	v_fma_f32 v16, -v13, v14, 1.0
	v_fmac_f32_e32 v14, v16, v14
	v_mul_f32_e32 v16, v15, v14
	v_fma_f32 v17, -v13, v16, v15
	v_fmac_f32_e32 v16, v17, v14
	v_fma_f32 v13, -v13, v16, v15
	v_div_fmas_f32 v13, v13, v14, v16
	v_div_fixup_f32 v12, v13, v12, 1.0
	v_mul_f32_e32 v12, v7, v12
	s_movk_i32 s21, 0x7fff
	s_mov_b32 s22, 0x7060302
	s_mul_i32 s20, s49, 5
	v_cmp_gt_u32_e32 vcc, 5, v0
	s_waitcnt vmcnt(14)
	v_pk_mul_f32 v[14:15], v[12:13], v[22:23] op_sel_hi:[0,1]
	v_bfe_u32 v21, v15, 16, 1
	s_waitcnt vmcnt(12)
	v_pk_mul_f32 v[16:17], v[12:13], v[24:25] op_sel_hi:[0,1]
	v_bfe_u32 v7, v17, 16, 1
	v_bfe_u32 v13, v16, 16, 1
	;; [unrolled: 1-line block ×3, first 2 shown]
	v_add3_u32 v13, v16, v13, s21
	v_add3_u32 v7, v17, v7, s21
	buffer_store_dword v16, off, s[0:3], 0 offset:256
	buffer_store_dword v17, off, s[0:3], 0 offset:260
	;; [unrolled: 1-line block ×4, first 2 shown]
	v_add3_u32 v16, v14, v22, s21
	v_add3_u32 v15, v15, v21, s21
	v_perm_b32 v14, v7, v13, s22
	v_lshlrev_b32_e32 v13, 3, v1
	v_perm_b32 v15, v15, v16, s22
	v_lshlrev_b32_e32 v7, 5, v41
	v_lshlrev_b32_e32 v16, 11, v27
	s_waitcnt vmcnt(12)
	v_pk_mul_f32 v[8:9], v[12:13], v[8:9] op_sel_hi:[0,1]
	v_or3_b32 v52, v16, v7, v13
	v_pk_mul_f32 v[10:11], v[12:13], v[10:11] op_sel_hi:[0,1]
	v_bfe_u32 v13, v9, 16, 1
	v_bfe_u32 v16, v8, 16, 1
	buffer_store_dword v8, off, s[0:3], 0 offset:272
	buffer_store_dword v9, off, s[0:3], 0 offset:276
	;; [unrolled: 1-line block ×4, first 2 shown]
	v_add3_u32 v8, v8, v16, s21
	v_add3_u32 v9, v9, v13, s21
	v_perm_b32 v8, v9, v8, s22
	v_bfe_u32 v9, v11, 16, 1
	v_bfe_u32 v13, v10, 16, 1
	v_add3_u32 v10, v10, v13, s21
	v_add3_u32 v9, v11, v9, s21
	v_perm_b32 v9, v9, v10, s22
	s_waitcnt vmcnt(14)
	v_pk_mul_f32 v[10:11], v[12:13], v[18:19] op_sel_hi:[0,1]
	ds_write2st64_b64 v52, v[14:15], v[8:9] offset1:1
	s_waitcnt vmcnt(12)
	v_pk_mul_f32 v[8:9], v[12:13], v[28:29] op_sel_hi:[0,1]
	v_bfe_u32 v13, v11, 16, 1
	v_bfe_u32 v14, v10, 16, 1
	buffer_store_dword v10, off, s[0:3], 0 offset:288
	buffer_store_dword v11, off, s[0:3], 0 offset:292
	;; [unrolled: 1-line block ×4, first 2 shown]
	v_add3_u32 v10, v10, v14, s21
	v_add3_u32 v11, v11, v13, s21
	v_perm_b32 v10, v11, v10, s22
	v_bfe_u32 v11, v9, 16, 1
	v_bfe_u32 v13, v8, 16, 1
	v_add3_u32 v8, v8, v13, s21
	v_add3_u32 v9, v9, v11, s21
	s_waitcnt vmcnt(14)
	v_pk_mul_f32 v[2:3], v[12:13], v[2:3] op_sel_hi:[0,1]
	v_perm_b32 v11, v9, v8, s22
	v_bfe_u32 v8, v3, 16, 1
	v_bfe_u32 v9, v2, 16, 1
	s_waitcnt vmcnt(12)
	v_pk_mul_f32 v[4:5], v[12:13], v[4:5] op_sel_hi:[0,1]
	buffer_store_dword v2, off, s[0:3], 0 offset:304
	buffer_store_dword v3, off, s[0:3], 0 offset:308
	;; [unrolled: 1-line block ×4, first 2 shown]
	v_add3_u32 v2, v2, v9, s21
	v_add3_u32 v3, v3, v8, s21
	v_perm_b32 v2, v3, v2, s22
	v_bfe_u32 v3, v5, 16, 1
	v_bfe_u32 v8, v4, 16, 1
	v_add3_u32 v4, v4, v8, s21
	v_add3_u32 v3, v5, v3, s21
	v_perm_b32 v3, v3, v4, s22
	ds_write2st64_b64 v52, v[10:11], v[2:3] offset0:2 offset1:3
	s_and_saveexec_b64 s[6:7], vcc
	s_cbranch_execz .LBB930_211
; %bb.210:
	v_add_co_u32_e32 v4, vcc, s27, v41
	v_addc_co_u32_e64 v5, s[10:11], 0, 0, vcc
	v_mov_b32_e32 v2, s20
	v_mov_b32_e32 v3, 0
	v_mad_u64_u32 v[4:5], s[10:11], s8, v2, v[4:5]
	v_mov_b32_e32 v2, s26
	s_mul_i32 s9, s9, s20
	v_mad_u64_u32 v[2:3], s[10:11], v4, s48, v[2:3]
	v_add_u32_e32 v5, s9, v5
	v_mov_b32_e32 v4, v3
	v_mad_u64_u32 v[4:5], s[10:11], v5, s48, v[4:5]
	v_mov_b32_e32 v3, v4
	v_lshlrev_b64 v[2:3], 2, v[2:3]
	v_mov_b32_e32 v5, s47
	v_add_co_u32_e32 v4, vcc, s46, v2
	v_addc_co_u32_e32 v5, vcc, v5, v3, vcc
	global_store_dword v[4:5], v20, off
	v_mov_b32_e32 v4, s45
	v_add_co_u32_e32 v2, vcc, s44, v2
	v_addc_co_u32_e32 v3, vcc, v4, v3, vcc
	global_store_dword v[2:3], v6, off
.LBB930_211:
	s_or_b64 exec, exec, s[6:7]
	v_lshl_or_b32 v30, v1, 9, v7
	s_waitcnt lgkmcnt(0)
	s_barrier
	s_load_dword s6, s[42:43], 0x0
	ds_read_b128 v[2:5], v30
	ds_read_b128 v[6:9], v30 offset:16
	ds_read_b128 v[10:13], v30 offset:2048
	;; [unrolled: 1-line block ×7, first 2 shown]
	v_mov_b32_e32 v35, 0x80
	v_mov_b32_e32 v53, 0x140
	s_mov_b64 s[12:13], -1
	s_waitcnt lgkmcnt(0)
	s_mov_b32 s7, s6
	s_mov_b32 s10, s6
	;; [unrolled: 1-line block ×3, first 2 shown]
	s_movk_i32 s9, 0x80
	s_movk_i32 s23, 0x7f
	s_mov_b32 s24, 0xffffff
	s_mov_b32 s25, 0x5040100
	v_mov_b32_e32 v54, 0
	v_bfrev_b32_e32 v55, 60
	s_branch .LBB930_215
.LBB930_212:                            ;   in Loop: Header=BB930_215 Depth=1
	s_or_b64 exec, exec, s[18:19]
.LBB930_213:                            ;   in Loop: Header=BB930_215 Depth=1
	s_or_b64 exec, exec, s[16:17]
.LBB930_214:                            ;   in Loop: Header=BB930_215 Depth=1
	s_or_b64 exec, exec, s[14:15]
	v_perm_b32 v61, v56, v50, s25
	v_perm_b32 v60, v44, v46, s25
	s_xor_b64 s[14:15], s[12:13], -1
	s_mov_b64 s[12:13], 0
	v_mov_b32_e32 v46, v47
	v_mfma_f32_16x16x16bf16_1k v[60:63], v[60:61], v[30:31], v[34:37]
	s_and_b64 vcc, exec, s[14:15]
	s_nop 5
	v_perm_b32 v37, v58, v57, s25
	v_perm_b32 v36, v42, v51, s25
	v_mov_b32_e32 v35, v45
	s_nop 0
	v_mfma_f32_16x16x16bf16_1k v[56:59], v[36:37], v[32:33], v[60:63]
	s_nop 7
	s_nop 2
	v_pk_mul_f32 v[50:51], v[56:57], s[6:7]
	v_pk_mul_f32 v[36:37], v[58:59], s[10:11]
	v_bfe_u32 v34, v51, 16, 1
	v_bfe_u32 v38, v50, 16, 1
	;; [unrolled: 1-line block ×4, first 2 shown]
	v_add3_u32 v38, v50, v38, s21
	v_add3_u32 v34, v51, v34, s21
	;; [unrolled: 1-line block ×4, first 2 shown]
	v_perm_b32 v34, v34, v38, s22
	v_perm_b32 v36, v37, v36, s22
	buffer_store_dword v34, v53, s[0:3], 0 offen
	buffer_store_dword v36, v53, s[0:3], 0 offen offset:4
	v_mov_b32_e32 v53, 0x148
	v_mov_b32_e32 v51, v48
	;; [unrolled: 1-line block ×3, first 2 shown]
	s_cbranch_vccnz .LBB930_597
.LBB930_215:                            ; =>This Inner Loop Header: Depth=1
	buffer_load_dword v36, v35, s[0:3], 0 offen
	buffer_load_dword v34, v35, s[0:3], 0 offen offset:4
	buffer_load_dword v40, v35, s[0:3], 0 offen offset:8
	;; [unrolled: 1-line block ×3, first 2 shown]
	v_mov_b32_e32 v35, 0
	s_waitcnt vmcnt(3)
	v_cmp_ne_u16_sdwa s[16:17], v36, v54 src0_sel:BYTE_0 src1_sel:DWORD
	s_and_saveexec_b64 s[14:15], s[16:17]
	s_cbranch_execz .LBB930_221
; %bb.216:                              ;   in Loop: Header=BB930_215 Depth=1
	v_cmp_ne_u16_sdwa s[18:19], v36, s9 src0_sel:BYTE_0 src1_sel:DWORD
	v_mov_b32_e32 v35, 0xffff8000
	s_and_saveexec_b64 s[16:17], s[18:19]
	s_cbranch_execz .LBB930_220
; %bb.217:                              ;   in Loop: Header=BB930_215 Depth=1
	v_and_b32_e32 v37, 0x7f, v36
	v_cmp_ne_u32_e32 vcc, s23, v37
	v_mov_b32_e32 v35, 0x7f80
	s_and_saveexec_b64 s[18:19], vcc
	s_cbranch_execz .LBB930_219
; %bb.218:                              ;   in Loop: Header=BB930_215 Depth=1
	v_and_b32_e32 v35, 7, v36
	v_ffbh_u32_e32 v44, v35
	v_min_u32_e32 v44, 32, v44
	v_subrev_u32_e32 v56, 28, v44
	v_lshlrev_b64 v[56:57], v56, v[36:37]
	v_lshrrev_b32_e32 v42, 3, v37
	v_sub_u32_e32 v44, 29, v44
	v_and_b32_e32 v56, 7, v56
	v_cmp_gt_u32_e32 vcc, 8, v37
	v_cndmask_b32_e32 v37, v42, v44, vcc
	v_cndmask_b32_e32 v35, v35, v56, vcc
	v_lshlrev_b32_e32 v42, 24, v36
	v_lshlrev_b32_e32 v35, 20, v35
	v_and_b32_e32 v42, 0x80000000, v42
	v_lshl_add_u32 v37, v37, 23, v55
	v_or3_b32 v35, v42, v37, v35
	v_lshrrev_b32_e32 v35, 16, v35
.LBB930_219:                            ;   in Loop: Header=BB930_215 Depth=1
	s_or_b64 exec, exec, s[18:19]
.LBB930_220:                            ;   in Loop: Header=BB930_215 Depth=1
	s_or_b64 exec, exec, s[16:17]
.LBB930_221:                            ;   in Loop: Header=BB930_215 Depth=1
	s_or_b64 exec, exec, s[14:15]
	v_lshrrev_b16_e32 v42, 8, v36
	v_cmp_ne_u16_e32 vcc, 0, v42
	v_mov_b32_e32 v56, 0
	v_mov_b32_e32 v37, 0
	s_and_saveexec_b64 s[14:15], vcc
	s_cbranch_execz .LBB930_227
; %bb.222:                              ;   in Loop: Header=BB930_215 Depth=1
	v_cmp_ne_u16_e32 vcc, s9, v42
	v_mov_b32_e32 v37, 0xffff8000
	s_and_saveexec_b64 s[16:17], vcc
	s_cbranch_execz .LBB930_226
; %bb.223:                              ;   in Loop: Header=BB930_215 Depth=1
	v_and_b32_e32 v44, 0x7f, v42
	v_cmp_ne_u32_e32 vcc, s23, v44
	v_mov_b32_e32 v37, 0x7f80
	s_and_saveexec_b64 s[18:19], vcc
	s_cbranch_execz .LBB930_225
; %bb.224:                              ;   in Loop: Header=BB930_215 Depth=1
	v_and_b32_e32 v37, 7, v42
	v_ffbh_u32_e32 v58, v37
	v_min_u32_e32 v60, 32, v58
	v_subrev_u32_e32 v58, 28, v60
	v_lshlrev_b64 v[58:59], v58, v[42:43]
	v_lshrrev_b32_e32 v57, 3, v44
	v_sub_u32_e32 v42, 29, v60
	v_and_b32_e32 v58, 7, v58
	v_cmp_gt_u32_e32 vcc, 8, v44
	v_cndmask_b32_e32 v42, v57, v42, vcc
	v_cndmask_b32_e32 v37, v37, v58, vcc
	v_lshlrev_b32_e32 v44, 16, v36
	v_lshlrev_b32_e32 v37, 20, v37
	v_and_b32_e32 v44, 0x80000000, v44
	v_lshl_add_u32 v42, v42, 23, v55
	v_or3_b32 v37, v44, v42, v37
	v_lshrrev_b32_e32 v37, 16, v37
.LBB930_225:                            ;   in Loop: Header=BB930_215 Depth=1
	s_or_b64 exec, exec, s[18:19]
.LBB930_226:                            ;   in Loop: Header=BB930_215 Depth=1
	s_or_b64 exec, exec, s[16:17]
.LBB930_227:                            ;   in Loop: Header=BB930_215 Depth=1
	s_or_b64 exec, exec, s[14:15]
	v_lshrrev_b32_e32 v42, 16, v36
	v_cmp_ne_u16_sdwa s[16:17], v42, v54 src0_sel:BYTE_0 src1_sel:DWORD
	s_and_saveexec_b64 s[14:15], s[16:17]
	s_cbranch_execz .LBB930_233
; %bb.228:                              ;   in Loop: Header=BB930_215 Depth=1
	v_cmp_ne_u16_sdwa s[18:19], v42, s9 src0_sel:BYTE_0 src1_sel:DWORD
	v_mov_b32_e32 v56, 0xffff8000
	s_and_saveexec_b64 s[16:17], s[18:19]
	s_cbranch_execz .LBB930_232
; %bb.229:                              ;   in Loop: Header=BB930_215 Depth=1
	v_bfe_u32 v44, v36, 16, 7
	v_cmp_ne_u32_e32 vcc, s23, v44
	v_mov_b32_e32 v56, 0x7f80
	s_and_saveexec_b64 s[18:19], vcc
	s_cbranch_execz .LBB930_231
; %bb.230:                              ;   in Loop: Header=BB930_215 Depth=1
	v_and_b32_e32 v58, 7, v42
	v_ffbh_u32_e32 v56, v58
	v_min_u32_e32 v60, 32, v56
	v_subrev_u32_e32 v56, 28, v60
	v_lshlrev_b64 v[56:57], v56, v[42:43]
	v_lshrrev_b32_e32 v59, 3, v44
	v_sub_u32_e32 v57, 29, v60
	v_and_b32_e32 v56, 7, v56
	v_cmp_gt_u32_e32 vcc, 8, v44
	v_cndmask_b32_e32 v44, v59, v57, vcc
	v_cndmask_b32_e32 v56, v58, v56, vcc
	v_lshlrev_b32_e32 v42, 24, v42
	v_lshlrev_b32_e32 v56, 20, v56
	v_and_b32_e32 v42, 0x80000000, v42
	v_lshl_add_u32 v44, v44, 23, v55
	v_or3_b32 v42, v42, v44, v56
	v_lshrrev_b32_e32 v56, 16, v42
.LBB930_231:                            ;   in Loop: Header=BB930_215 Depth=1
	s_or_b64 exec, exec, s[18:19]
.LBB930_232:                            ;   in Loop: Header=BB930_215 Depth=1
	s_or_b64 exec, exec, s[16:17]
.LBB930_233:                            ;   in Loop: Header=BB930_215 Depth=1
	s_or_b64 exec, exec, s[14:15]
	v_cmp_lt_u32_e32 vcc, s24, v36
	v_mov_b32_e32 v57, 0
	v_mov_b32_e32 v58, 0
	s_and_saveexec_b64 s[14:15], vcc
	s_cbranch_execz .LBB930_239
; %bb.234:                              ;   in Loop: Header=BB930_215 Depth=1
	v_lshrrev_b32_e32 v42, 24, v36
	v_cmp_ne_u32_e32 vcc, s9, v42
	v_mov_b32_e32 v58, 0xffff8000
	s_and_saveexec_b64 s[16:17], vcc
	s_cbranch_execz .LBB930_238
; %bb.235:                              ;   in Loop: Header=BB930_215 Depth=1
	v_bfe_u32 v36, v36, 24, 7
	v_cmp_ne_u32_e32 vcc, s23, v36
	v_mov_b32_e32 v58, 0x7f80
	s_and_saveexec_b64 s[18:19], vcc
	s_cbranch_execz .LBB930_237
; %bb.236:                              ;   in Loop: Header=BB930_215 Depth=1
	v_and_b32_e32 v44, 7, v42
	v_ffbh_u32_e32 v58, v44
	v_min_u32_e32 v61, 32, v58
	v_subrev_u32_e32 v58, 28, v61
	v_lshlrev_b64 v[58:59], v58, v[42:43]
	v_lshrrev_b32_e32 v60, 3, v36
	v_sub_u32_e32 v59, 29, v61
	v_and_b32_e32 v58, 7, v58
	v_cmp_gt_u32_e32 vcc, 8, v36
	v_cndmask_b32_e32 v36, v60, v59, vcc
	v_cndmask_b32_e32 v44, v44, v58, vcc
	v_lshlrev_b32_e32 v42, 24, v42
	v_lshlrev_b32_e32 v44, 20, v44
	v_and_b32_e32 v42, 0x80000000, v42
	v_lshl_add_u32 v36, v36, 23, v55
	v_or3_b32 v36, v42, v36, v44
	v_lshrrev_b32_e32 v58, 16, v36
.LBB930_237:                            ;   in Loop: Header=BB930_215 Depth=1
	s_or_b64 exec, exec, s[18:19]
.LBB930_238:                            ;   in Loop: Header=BB930_215 Depth=1
	s_or_b64 exec, exec, s[16:17]
.LBB930_239:                            ;   in Loop: Header=BB930_215 Depth=1
	s_or_b64 exec, exec, s[14:15]
	s_waitcnt vmcnt(2)
	v_cmp_ne_u16_sdwa s[16:17], v34, v54 src0_sel:BYTE_0 src1_sel:DWORD
	s_and_saveexec_b64 s[14:15], s[16:17]
	s_cbranch_execz .LBB930_245
; %bb.240:                              ;   in Loop: Header=BB930_215 Depth=1
	v_cmp_ne_u16_sdwa s[18:19], v34, s9 src0_sel:BYTE_0 src1_sel:DWORD
	v_mov_b32_e32 v57, 0xffff8000
	s_and_saveexec_b64 s[16:17], s[18:19]
	s_cbranch_execz .LBB930_244
; %bb.241:                              ;   in Loop: Header=BB930_215 Depth=1
	v_and_b32_e32 v36, 0x7f, v34
	v_cmp_ne_u32_e32 vcc, s23, v36
	v_mov_b32_e32 v57, 0x7f80
	s_and_saveexec_b64 s[18:19], vcc
	s_cbranch_execz .LBB930_243
; %bb.242:                              ;   in Loop: Header=BB930_215 Depth=1
	v_and_b32_e32 v42, 7, v34
	v_ffbh_u32_e32 v57, v42
	v_min_u32_e32 v57, 32, v57
	v_subrev_u32_e32 v59, 28, v57
	v_lshlrev_b64 v[60:61], v59, v[34:35]
	v_lshrrev_b32_e32 v44, 3, v36
	v_sub_u32_e32 v57, 29, v57
	v_and_b32_e32 v59, 7, v60
	v_cmp_gt_u32_e32 vcc, 8, v36
	v_cndmask_b32_e32 v36, v44, v57, vcc
	v_cndmask_b32_e32 v42, v42, v59, vcc
	v_lshlrev_b32_e32 v44, 24, v34
	v_lshlrev_b32_e32 v42, 20, v42
	v_and_b32_e32 v44, 0x80000000, v44
	v_lshl_add_u32 v36, v36, 23, v55
	v_or3_b32 v36, v44, v36, v42
	v_lshrrev_b32_e32 v57, 16, v36
.LBB930_243:                            ;   in Loop: Header=BB930_215 Depth=1
	s_or_b64 exec, exec, s[18:19]
.LBB930_244:                            ;   in Loop: Header=BB930_215 Depth=1
	s_or_b64 exec, exec, s[16:17]
.LBB930_245:                            ;   in Loop: Header=BB930_215 Depth=1
	s_or_b64 exec, exec, s[14:15]
	v_lshrrev_b16_e32 v36, 8, v34
	v_cmp_ne_u16_e32 vcc, 0, v36
	v_mov_b32_e32 v59, 0
	v_mov_b32_e32 v42, 0
	s_and_saveexec_b64 s[14:15], vcc
	s_cbranch_execz .LBB930_251
; %bb.246:                              ;   in Loop: Header=BB930_215 Depth=1
	v_cmp_ne_u16_e32 vcc, s9, v36
	v_mov_b32_e32 v42, 0xffff8000
	s_and_saveexec_b64 s[16:17], vcc
	s_cbranch_execz .LBB930_250
; %bb.247:                              ;   in Loop: Header=BB930_215 Depth=1
	v_and_b32_e32 v44, 0x7f, v36
	v_cmp_ne_u32_e32 vcc, s23, v44
	v_mov_b32_e32 v42, 0x7f80
	s_and_saveexec_b64 s[18:19], vcc
	s_cbranch_execz .LBB930_249
; %bb.248:                              ;   in Loop: Header=BB930_215 Depth=1
	v_and_b32_e32 v42, 7, v36
	v_ffbh_u32_e32 v60, v42
	v_min_u32_e32 v63, 32, v60
	v_subrev_u32_e32 v60, 28, v63
	v_lshlrev_b64 v[60:61], v60, v[36:37]
	v_lshrrev_b32_e32 v62, 3, v44
	v_sub_u32_e32 v36, 29, v63
	v_and_b32_e32 v60, 7, v60
	v_cmp_gt_u32_e32 vcc, 8, v44
	v_cndmask_b32_e32 v36, v62, v36, vcc
	v_cndmask_b32_e32 v42, v42, v60, vcc
	v_lshlrev_b32_e32 v44, 16, v34
	v_lshlrev_b32_e32 v42, 20, v42
	v_and_b32_e32 v44, 0x80000000, v44
	v_lshl_add_u32 v36, v36, 23, v55
	v_or3_b32 v36, v44, v36, v42
	v_lshrrev_b32_e32 v42, 16, v36
.LBB930_249:                            ;   in Loop: Header=BB930_215 Depth=1
	s_or_b64 exec, exec, s[18:19]
.LBB930_250:                            ;   in Loop: Header=BB930_215 Depth=1
	s_or_b64 exec, exec, s[16:17]
.LBB930_251:                            ;   in Loop: Header=BB930_215 Depth=1
	s_or_b64 exec, exec, s[14:15]
	v_lshrrev_b32_e32 v36, 16, v34
	v_cmp_ne_u16_sdwa s[16:17], v36, v54 src0_sel:BYTE_0 src1_sel:DWORD
	s_and_saveexec_b64 s[14:15], s[16:17]
	s_cbranch_execz .LBB930_257
; %bb.252:                              ;   in Loop: Header=BB930_215 Depth=1
	v_cmp_ne_u16_sdwa s[18:19], v36, s9 src0_sel:BYTE_0 src1_sel:DWORD
	v_mov_b32_e32 v59, 0xffff8000
	s_and_saveexec_b64 s[16:17], s[18:19]
	s_cbranch_execz .LBB930_256
; %bb.253:                              ;   in Loop: Header=BB930_215 Depth=1
	v_bfe_u32 v44, v34, 16, 7
	v_cmp_ne_u32_e32 vcc, s23, v44
	v_mov_b32_e32 v59, 0x7f80
	s_and_saveexec_b64 s[18:19], vcc
	s_cbranch_execz .LBB930_255
; %bb.254:                              ;   in Loop: Header=BB930_215 Depth=1
	v_and_b32_e32 v59, 7, v36
	v_ffbh_u32_e32 v60, v59
	v_min_u32_e32 v63, 32, v60
	v_subrev_u32_e32 v60, 28, v63
	v_lshlrev_b64 v[60:61], v60, v[36:37]
	v_lshrrev_b32_e32 v62, 3, v44
	v_sub_u32_e32 v61, 29, v63
	v_and_b32_e32 v60, 7, v60
	v_cmp_gt_u32_e32 vcc, 8, v44
	v_cndmask_b32_e32 v44, v62, v61, vcc
	v_cndmask_b32_e32 v59, v59, v60, vcc
	v_lshlrev_b32_e32 v36, 24, v36
	v_lshlrev_b32_e32 v59, 20, v59
	v_and_b32_e32 v36, 0x80000000, v36
	v_lshl_add_u32 v44, v44, 23, v55
	v_or3_b32 v36, v36, v44, v59
	v_lshrrev_b32_e32 v59, 16, v36
.LBB930_255:                            ;   in Loop: Header=BB930_215 Depth=1
	s_or_b64 exec, exec, s[18:19]
.LBB930_256:                            ;   in Loop: Header=BB930_215 Depth=1
	s_or_b64 exec, exec, s[16:17]
.LBB930_257:                            ;   in Loop: Header=BB930_215 Depth=1
	s_or_b64 exec, exec, s[14:15]
	v_cmp_lt_u32_e32 vcc, s24, v34
	v_mov_b32_e32 v44, 0
	v_mov_b32_e32 v60, 0
	s_and_saveexec_b64 s[14:15], vcc
	s_cbranch_execz .LBB930_263
; %bb.258:                              ;   in Loop: Header=BB930_215 Depth=1
	v_lshrrev_b32_e32 v36, 24, v34
	v_cmp_ne_u32_e32 vcc, s9, v36
	v_mov_b32_e32 v60, 0xffff8000
	s_and_saveexec_b64 s[16:17], vcc
	s_cbranch_execz .LBB930_262
; %bb.259:                              ;   in Loop: Header=BB930_215 Depth=1
	v_bfe_u32 v34, v34, 24, 7
	v_cmp_ne_u32_e32 vcc, s23, v34
	v_mov_b32_e32 v60, 0x7f80
	s_and_saveexec_b64 s[18:19], vcc
	s_cbranch_execz .LBB930_261
; %bb.260:                              ;   in Loop: Header=BB930_215 Depth=1
	v_and_b32_e32 v62, 7, v36
	v_ffbh_u32_e32 v60, v62
	v_min_u32_e32 v64, 32, v60
	v_subrev_u32_e32 v60, 28, v64
	v_lshlrev_b64 v[60:61], v60, v[36:37]
	v_lshrrev_b32_e32 v63, 3, v34
	v_sub_u32_e32 v61, 29, v64
	v_and_b32_e32 v60, 7, v60
	v_cmp_gt_u32_e32 vcc, 8, v34
	v_cndmask_b32_e32 v34, v63, v61, vcc
	v_cndmask_b32_e32 v60, v62, v60, vcc
	v_lshlrev_b32_e32 v36, 24, v36
	v_lshlrev_b32_e32 v60, 20, v60
	v_and_b32_e32 v36, 0x80000000, v36
	v_lshl_add_u32 v34, v34, 23, v55
	v_or3_b32 v34, v36, v34, v60
	v_lshrrev_b32_e32 v60, 16, v34
.LBB930_261:                            ;   in Loop: Header=BB930_215 Depth=1
	s_or_b64 exec, exec, s[18:19]
.LBB930_262:                            ;   in Loop: Header=BB930_215 Depth=1
	s_or_b64 exec, exec, s[16:17]
.LBB930_263:                            ;   in Loop: Header=BB930_215 Depth=1
	s_or_b64 exec, exec, s[14:15]
	v_perm_b32 v63, v58, v56, s25
	v_perm_b32 v62, v37, v35, s25
	;; [unrolled: 1-line block ×4, first 2 shown]
	s_waitcnt vmcnt(1)
	v_cmp_ne_u16_sdwa s[16:17], v40, v54 src0_sel:BYTE_0 src1_sel:DWORD
	v_mfma_f32_16x16x16bf16_1k v[34:37], v[62:63], v[2:3], 0
	v_mfma_f32_16x16x16bf16_1k v[34:37], v[58:59], v[4:5], v[34:37]
	s_and_saveexec_b64 s[14:15], s[16:17]
	s_cbranch_execz .LBB930_269
; %bb.264:                              ;   in Loop: Header=BB930_215 Depth=1
	v_cmp_ne_u16_sdwa s[18:19], v40, s9 src0_sel:BYTE_0 src1_sel:DWORD
	v_mov_b32_e32 v44, 0xffff8000
	s_and_saveexec_b64 s[16:17], s[18:19]
	s_cbranch_execz .LBB930_268
; %bb.265:                              ;   in Loop: Header=BB930_215 Depth=1
	v_and_b32_e32 v42, 0x7f, v40
	v_cmp_ne_u32_e32 vcc, s23, v42
	v_mov_b32_e32 v44, 0x7f80
	s_and_saveexec_b64 s[18:19], vcc
	s_cbranch_execz .LBB930_267
; %bb.266:                              ;   in Loop: Header=BB930_215 Depth=1
	v_and_b32_e32 v44, 7, v40
	v_ffbh_u32_e32 v56, v44
	v_min_u32_e32 v59, 32, v56
	v_subrev_u32_e32 v56, 28, v59
	v_lshlrev_b64 v[56:57], v56, v[40:41]
	v_lshrrev_b32_e32 v58, 3, v42
	v_sub_u32_e32 v57, 29, v59
	v_and_b32_e32 v56, 7, v56
	v_cmp_gt_u32_e32 vcc, 8, v42
	v_cndmask_b32_e32 v42, v58, v57, vcc
	v_cndmask_b32_e32 v44, v44, v56, vcc
	v_lshlrev_b32_e32 v56, 24, v40
	v_lshlrev_b32_e32 v44, 20, v44
	v_and_b32_e32 v56, 0x80000000, v56
	v_lshl_add_u32 v42, v42, 23, v55
	v_or3_b32 v42, v56, v42, v44
	v_lshrrev_b32_e32 v44, 16, v42
.LBB930_267:                            ;   in Loop: Header=BB930_215 Depth=1
	s_or_b64 exec, exec, s[18:19]
.LBB930_268:                            ;   in Loop: Header=BB930_215 Depth=1
	s_or_b64 exec, exec, s[16:17]
.LBB930_269:                            ;   in Loop: Header=BB930_215 Depth=1
	s_or_b64 exec, exec, s[14:15]
	v_lshrrev_b16_e32 v42, 8, v40
	v_cmp_ne_u16_e32 vcc, 0, v42
	v_mov_b32_e32 v58, 0
	v_mov_b32_e32 v57, 0
	s_and_saveexec_b64 s[14:15], vcc
	s_cbranch_execz .LBB930_275
; %bb.270:                              ;   in Loop: Header=BB930_215 Depth=1
	v_cmp_ne_u16_e32 vcc, s9, v42
	v_mov_b32_e32 v57, 0xffff8000
	s_and_saveexec_b64 s[16:17], vcc
	s_cbranch_execz .LBB930_274
; %bb.271:                              ;   in Loop: Header=BB930_215 Depth=1
	v_and_b32_e32 v56, 0x7f, v42
	v_cmp_ne_u32_e32 vcc, s23, v56
	v_mov_b32_e32 v57, 0x7f80
	s_and_saveexec_b64 s[18:19], vcc
	s_cbranch_execz .LBB930_273
; %bb.272:                              ;   in Loop: Header=BB930_215 Depth=1
	v_and_b32_e32 v57, 7, v42
	v_ffbh_u32_e32 v60, v57
	v_min_u32_e32 v62, 32, v60
	v_subrev_u32_e32 v60, 28, v62
	v_lshlrev_b64 v[60:61], v60, v[42:43]
	v_lshrrev_b32_e32 v59, 3, v56
	v_sub_u32_e32 v42, 29, v62
	v_and_b32_e32 v60, 7, v60
	v_cmp_gt_u32_e32 vcc, 8, v56
	v_cndmask_b32_e32 v42, v59, v42, vcc
	v_cndmask_b32_e32 v56, v57, v60, vcc
	v_lshlrev_b32_e32 v57, 16, v40
	v_lshlrev_b32_e32 v56, 20, v56
	v_and_b32_e32 v57, 0x80000000, v57
	v_lshl_add_u32 v42, v42, 23, v55
	v_or3_b32 v42, v57, v42, v56
	v_lshrrev_b32_e32 v57, 16, v42
.LBB930_273:                            ;   in Loop: Header=BB930_215 Depth=1
	s_or_b64 exec, exec, s[18:19]
.LBB930_274:                            ;   in Loop: Header=BB930_215 Depth=1
	s_or_b64 exec, exec, s[16:17]
.LBB930_275:                            ;   in Loop: Header=BB930_215 Depth=1
	s_or_b64 exec, exec, s[14:15]
	v_lshrrev_b32_e32 v42, 16, v40
	v_cmp_ne_u16_sdwa s[16:17], v42, v54 src0_sel:BYTE_0 src1_sel:DWORD
	s_and_saveexec_b64 s[14:15], s[16:17]
	s_cbranch_execz .LBB930_281
; %bb.276:                              ;   in Loop: Header=BB930_215 Depth=1
	v_cmp_ne_u16_sdwa s[18:19], v42, s9 src0_sel:BYTE_0 src1_sel:DWORD
	v_mov_b32_e32 v58, 0xffff8000
	s_and_saveexec_b64 s[16:17], s[18:19]
	s_cbranch_execz .LBB930_280
; %bb.277:                              ;   in Loop: Header=BB930_215 Depth=1
	v_bfe_u32 v56, v40, 16, 7
	v_cmp_ne_u32_e32 vcc, s23, v56
	v_mov_b32_e32 v58, 0x7f80
	s_and_saveexec_b64 s[18:19], vcc
	s_cbranch_execz .LBB930_279
; %bb.278:                              ;   in Loop: Header=BB930_215 Depth=1
	v_and_b32_e32 v60, 7, v42
	v_ffbh_u32_e32 v58, v60
	v_min_u32_e32 v62, 32, v58
	v_subrev_u32_e32 v58, 28, v62
	v_lshlrev_b64 v[58:59], v58, v[42:43]
	v_lshrrev_b32_e32 v61, 3, v56
	v_sub_u32_e32 v59, 29, v62
	v_and_b32_e32 v58, 7, v58
	v_cmp_gt_u32_e32 vcc, 8, v56
	v_cndmask_b32_e32 v56, v61, v59, vcc
	v_cndmask_b32_e32 v58, v60, v58, vcc
	v_lshlrev_b32_e32 v42, 24, v42
	v_lshlrev_b32_e32 v58, 20, v58
	v_and_b32_e32 v42, 0x80000000, v42
	v_lshl_add_u32 v56, v56, 23, v55
	v_or3_b32 v42, v42, v56, v58
	v_lshrrev_b32_e32 v58, 16, v42
.LBB930_279:                            ;   in Loop: Header=BB930_215 Depth=1
	s_or_b64 exec, exec, s[18:19]
.LBB930_280:                            ;   in Loop: Header=BB930_215 Depth=1
	s_or_b64 exec, exec, s[16:17]
.LBB930_281:                            ;   in Loop: Header=BB930_215 Depth=1
	s_or_b64 exec, exec, s[14:15]
	v_cmp_lt_u32_e32 vcc, s24, v40
	v_mov_b32_e32 v59, 0
	v_mov_b32_e32 v60, 0
	s_and_saveexec_b64 s[14:15], vcc
	s_cbranch_execz .LBB930_287
; %bb.282:                              ;   in Loop: Header=BB930_215 Depth=1
	v_lshrrev_b32_e32 v42, 24, v40
	v_cmp_ne_u32_e32 vcc, s9, v42
	v_mov_b32_e32 v60, 0xffff8000
	s_and_saveexec_b64 s[16:17], vcc
	s_cbranch_execz .LBB930_286
; %bb.283:                              ;   in Loop: Header=BB930_215 Depth=1
	v_bfe_u32 v40, v40, 24, 7
	v_cmp_ne_u32_e32 vcc, s23, v40
	v_mov_b32_e32 v60, 0x7f80
	s_and_saveexec_b64 s[18:19], vcc
	s_cbranch_execz .LBB930_285
; %bb.284:                              ;   in Loop: Header=BB930_215 Depth=1
	v_and_b32_e32 v56, 7, v42
	v_ffbh_u32_e32 v60, v56
	v_min_u32_e32 v63, 32, v60
	v_subrev_u32_e32 v60, 28, v63
	v_lshlrev_b64 v[60:61], v60, v[42:43]
	v_lshrrev_b32_e32 v62, 3, v40
	v_sub_u32_e32 v61, 29, v63
	v_and_b32_e32 v60, 7, v60
	v_cmp_gt_u32_e32 vcc, 8, v40
	v_cndmask_b32_e32 v40, v62, v61, vcc
	v_cndmask_b32_e32 v56, v56, v60, vcc
	v_lshlrev_b32_e32 v42, 24, v42
	v_lshlrev_b32_e32 v56, 20, v56
	v_and_b32_e32 v42, 0x80000000, v42
	v_lshl_add_u32 v40, v40, 23, v55
	v_or3_b32 v40, v42, v40, v56
	v_lshrrev_b32_e32 v60, 16, v40
.LBB930_285:                            ;   in Loop: Header=BB930_215 Depth=1
	s_or_b64 exec, exec, s[18:19]
.LBB930_286:                            ;   in Loop: Header=BB930_215 Depth=1
	s_or_b64 exec, exec, s[16:17]
.LBB930_287:                            ;   in Loop: Header=BB930_215 Depth=1
	s_or_b64 exec, exec, s[14:15]
	s_waitcnt vmcnt(0)
	v_cmp_ne_u16_sdwa s[16:17], v38, v54 src0_sel:BYTE_0 src1_sel:DWORD
	s_and_saveexec_b64 s[14:15], s[16:17]
	s_cbranch_execz .LBB930_293
; %bb.288:                              ;   in Loop: Header=BB930_215 Depth=1
	v_cmp_ne_u16_sdwa s[18:19], v38, s9 src0_sel:BYTE_0 src1_sel:DWORD
	v_mov_b32_e32 v59, 0xffff8000
	s_and_saveexec_b64 s[16:17], s[18:19]
	s_cbranch_execz .LBB930_292
; %bb.289:                              ;   in Loop: Header=BB930_215 Depth=1
	v_and_b32_e32 v40, 0x7f, v38
	v_cmp_ne_u32_e32 vcc, s23, v40
	v_mov_b32_e32 v59, 0x7f80
	s_and_saveexec_b64 s[18:19], vcc
	s_cbranch_execz .LBB930_291
; %bb.290:                              ;   in Loop: Header=BB930_215 Depth=1
	v_and_b32_e32 v42, 7, v38
	v_ffbh_u32_e32 v59, v42
	v_min_u32_e32 v59, 32, v59
	v_subrev_u32_e32 v61, 28, v59
	v_lshlrev_b64 v[62:63], v61, v[38:39]
	v_lshrrev_b32_e32 v56, 3, v40
	v_sub_u32_e32 v59, 29, v59
	v_and_b32_e32 v61, 7, v62
	v_cmp_gt_u32_e32 vcc, 8, v40
	v_cndmask_b32_e32 v40, v56, v59, vcc
	v_cndmask_b32_e32 v42, v42, v61, vcc
	v_lshlrev_b32_e32 v56, 24, v38
	v_lshlrev_b32_e32 v42, 20, v42
	v_and_b32_e32 v56, 0x80000000, v56
	v_lshl_add_u32 v40, v40, 23, v55
	v_or3_b32 v40, v56, v40, v42
	v_lshrrev_b32_e32 v59, 16, v40
.LBB930_291:                            ;   in Loop: Header=BB930_215 Depth=1
	s_or_b64 exec, exec, s[18:19]
.LBB930_292:                            ;   in Loop: Header=BB930_215 Depth=1
	s_or_b64 exec, exec, s[16:17]
.LBB930_293:                            ;   in Loop: Header=BB930_215 Depth=1
	s_or_b64 exec, exec, s[14:15]
	v_lshrrev_b16_e32 v40, 8, v38
	v_cmp_ne_u16_e32 vcc, 0, v40
	v_mov_b32_e32 v62, 0
	v_mov_b32_e32 v61, 0
	s_and_saveexec_b64 s[14:15], vcc
	s_cbranch_execz .LBB930_299
; %bb.294:                              ;   in Loop: Header=BB930_215 Depth=1
	v_cmp_ne_u16_e32 vcc, s9, v40
	v_mov_b32_e32 v61, 0xffff8000
	s_and_saveexec_b64 s[16:17], vcc
	s_cbranch_execz .LBB930_298
; %bb.295:                              ;   in Loop: Header=BB930_215 Depth=1
	v_and_b32_e32 v42, 0x7f, v40
	v_cmp_ne_u32_e32 vcc, s23, v42
	v_mov_b32_e32 v61, 0x7f80
	s_and_saveexec_b64 s[18:19], vcc
	s_cbranch_execz .LBB930_297
; %bb.296:                              ;   in Loop: Header=BB930_215 Depth=1
	v_and_b32_e32 v56, 7, v40
	v_ffbh_u32_e32 v63, v56
	v_min_u32_e32 v63, 32, v63
	v_subrev_u32_e32 v64, 28, v63
	v_lshlrev_b64 v[64:65], v64, v[40:41]
	v_lshrrev_b32_e32 v61, 3, v42
	v_sub_u32_e32 v40, 29, v63
	v_and_b32_e32 v63, 7, v64
	v_cmp_gt_u32_e32 vcc, 8, v42
	v_cndmask_b32_e32 v40, v61, v40, vcc
	v_cndmask_b32_e32 v42, v56, v63, vcc
	v_lshlrev_b32_e32 v56, 16, v38
	v_lshlrev_b32_e32 v42, 20, v42
	v_and_b32_e32 v56, 0x80000000, v56
	v_lshl_add_u32 v40, v40, 23, v55
	v_or3_b32 v40, v56, v40, v42
	v_lshrrev_b32_e32 v61, 16, v40
.LBB930_297:                            ;   in Loop: Header=BB930_215 Depth=1
	s_or_b64 exec, exec, s[18:19]
.LBB930_298:                            ;   in Loop: Header=BB930_215 Depth=1
	s_or_b64 exec, exec, s[16:17]
.LBB930_299:                            ;   in Loop: Header=BB930_215 Depth=1
	s_or_b64 exec, exec, s[14:15]
	v_lshrrev_b32_e32 v40, 16, v38
	v_cmp_ne_u16_sdwa s[16:17], v40, v54 src0_sel:BYTE_0 src1_sel:DWORD
	s_and_saveexec_b64 s[14:15], s[16:17]
	s_cbranch_execz .LBB930_305
; %bb.300:                              ;   in Loop: Header=BB930_215 Depth=1
	v_cmp_ne_u16_sdwa s[18:19], v40, s9 src0_sel:BYTE_0 src1_sel:DWORD
	v_mov_b32_e32 v62, 0xffff8000
	s_and_saveexec_b64 s[16:17], s[18:19]
	s_cbranch_execz .LBB930_304
; %bb.301:                              ;   in Loop: Header=BB930_215 Depth=1
	v_bfe_u32 v42, v38, 16, 7
	v_cmp_ne_u32_e32 vcc, s23, v42
	v_mov_b32_e32 v62, 0x7f80
	s_and_saveexec_b64 s[18:19], vcc
	s_cbranch_execz .LBB930_303
; %bb.302:                              ;   in Loop: Header=BB930_215 Depth=1
	v_and_b32_e32 v56, 7, v40
	v_ffbh_u32_e32 v62, v56
	v_min_u32_e32 v65, 32, v62
	v_subrev_u32_e32 v62, 28, v65
	v_lshlrev_b64 v[62:63], v62, v[40:41]
	v_lshrrev_b32_e32 v64, 3, v42
	v_sub_u32_e32 v63, 29, v65
	v_and_b32_e32 v62, 7, v62
	v_cmp_gt_u32_e32 vcc, 8, v42
	v_cndmask_b32_e32 v42, v64, v63, vcc
	v_cndmask_b32_e32 v56, v56, v62, vcc
	v_lshlrev_b32_e32 v40, 24, v40
	v_lshlrev_b32_e32 v56, 20, v56
	v_and_b32_e32 v40, 0x80000000, v40
	v_lshl_add_u32 v42, v42, 23, v55
	v_or3_b32 v40, v40, v42, v56
	v_lshrrev_b32_e32 v62, 16, v40
.LBB930_303:                            ;   in Loop: Header=BB930_215 Depth=1
	s_or_b64 exec, exec, s[18:19]
.LBB930_304:                            ;   in Loop: Header=BB930_215 Depth=1
	s_or_b64 exec, exec, s[16:17]
.LBB930_305:                            ;   in Loop: Header=BB930_215 Depth=1
	s_or_b64 exec, exec, s[14:15]
	v_cmp_lt_u32_e32 vcc, s24, v38
	v_mov_b32_e32 v56, 0
	v_mov_b32_e32 v63, 0
	s_and_saveexec_b64 s[14:15], vcc
	s_cbranch_execz .LBB930_311
; %bb.306:                              ;   in Loop: Header=BB930_215 Depth=1
	v_lshrrev_b32_e32 v40, 24, v38
	v_cmp_ne_u32_e32 vcc, s9, v40
	v_mov_b32_e32 v63, 0xffff8000
	s_and_saveexec_b64 s[16:17], vcc
	s_cbranch_execz .LBB930_310
; %bb.307:                              ;   in Loop: Header=BB930_215 Depth=1
	v_bfe_u32 v38, v38, 24, 7
	v_cmp_ne_u32_e32 vcc, s23, v38
	v_mov_b32_e32 v63, 0x7f80
	s_and_saveexec_b64 s[18:19], vcc
	s_cbranch_execz .LBB930_309
; %bb.308:                              ;   in Loop: Header=BB930_215 Depth=1
	v_and_b32_e32 v42, 7, v40
	v_ffbh_u32_e32 v64, v42
	v_min_u32_e32 v66, 32, v64
	v_subrev_u32_e32 v64, 28, v66
	v_lshlrev_b64 v[64:65], v64, v[40:41]
	v_lshrrev_b32_e32 v63, 3, v38
	v_sub_u32_e32 v65, 29, v66
	v_and_b32_e32 v64, 7, v64
	v_cmp_gt_u32_e32 vcc, 8, v38
	v_cndmask_b32_e32 v38, v63, v65, vcc
	v_cndmask_b32_e32 v42, v42, v64, vcc
	v_lshlrev_b32_e32 v40, 24, v40
	v_lshlrev_b32_e32 v42, 20, v42
	v_and_b32_e32 v40, 0x80000000, v40
	v_lshl_add_u32 v38, v38, 23, v55
	v_or3_b32 v38, v40, v38, v42
	v_lshrrev_b32_e32 v63, 16, v38
.LBB930_309:                            ;   in Loop: Header=BB930_215 Depth=1
	s_or_b64 exec, exec, s[18:19]
.LBB930_310:                            ;   in Loop: Header=BB930_215 Depth=1
	s_or_b64 exec, exec, s[16:17]
.LBB930_311:                            ;   in Loop: Header=BB930_215 Depth=1
	s_or_b64 exec, exec, s[14:15]
	v_perm_b32 v64, v57, v44, s25
	buffer_load_dword v44, v46, s[0:3], 0 offen
	buffer_load_dword v42, v46, s[0:3], 0 offen offset:4
	buffer_load_dword v40, v46, s[0:3], 0 offen offset:8
	;; [unrolled: 1-line block ×3, first 2 shown]
	v_perm_b32 v65, v60, v58, s25
	v_perm_b32 v63, v63, v62, s25
	;; [unrolled: 1-line block ×3, first 2 shown]
	v_mfma_f32_16x16x16bf16_1k v[34:37], v[64:65], v[6:7], v[34:37]
	s_waitcnt vmcnt(3)
	v_cmp_ne_u16_sdwa s[16:17], v44, v54 src0_sel:BYTE_0 src1_sel:DWORD
	v_mfma_f32_16x16x16bf16_1k v[34:37], v[62:63], v[8:9], v[34:37]
	s_and_saveexec_b64 s[14:15], s[16:17]
	s_cbranch_execz .LBB930_317
; %bb.312:                              ;   in Loop: Header=BB930_215 Depth=1
	v_cmp_ne_u16_sdwa s[18:19], v44, s9 src0_sel:BYTE_0 src1_sel:DWORD
	v_mov_b32_e32 v56, 0xffff8000
	s_and_saveexec_b64 s[16:17], s[18:19]
	s_cbranch_execz .LBB930_316
; %bb.313:                              ;   in Loop: Header=BB930_215 Depth=1
	v_and_b32_e32 v46, 0x7f, v44
	v_cmp_ne_u32_e32 vcc, s23, v46
	v_mov_b32_e32 v56, 0x7f80
	s_and_saveexec_b64 s[18:19], vcc
	s_cbranch_execz .LBB930_315
; %bb.314:                              ;   in Loop: Header=BB930_215 Depth=1
	v_and_b32_e32 v58, 7, v44
	v_ffbh_u32_e32 v56, v58
	v_min_u32_e32 v60, 32, v56
	v_subrev_u32_e32 v56, 28, v60
	v_lshlrev_b64 v[56:57], v56, v[44:45]
	v_lshrrev_b32_e32 v59, 3, v46
	v_sub_u32_e32 v57, 29, v60
	v_and_b32_e32 v56, 7, v56
	v_cmp_gt_u32_e32 vcc, 8, v46
	v_cndmask_b32_e32 v46, v59, v57, vcc
	v_cndmask_b32_e32 v56, v58, v56, vcc
	v_lshlrev_b32_e32 v57, 24, v44
	v_lshlrev_b32_e32 v56, 20, v56
	v_and_b32_e32 v57, 0x80000000, v57
	v_lshl_add_u32 v46, v46, 23, v55
	v_or3_b32 v46, v57, v46, v56
	v_lshrrev_b32_e32 v56, 16, v46
.LBB930_315:                            ;   in Loop: Header=BB930_215 Depth=1
	s_or_b64 exec, exec, s[18:19]
.LBB930_316:                            ;   in Loop: Header=BB930_215 Depth=1
	s_or_b64 exec, exec, s[16:17]
.LBB930_317:                            ;   in Loop: Header=BB930_215 Depth=1
	s_or_b64 exec, exec, s[14:15]
	v_lshrrev_b16_e32 v46, 8, v44
	v_cmp_ne_u16_e32 vcc, 0, v46
	v_mov_b32_e32 v58, 0
	v_mov_b32_e32 v57, 0
	s_and_saveexec_b64 s[14:15], vcc
	s_cbranch_execz .LBB930_323
; %bb.318:                              ;   in Loop: Header=BB930_215 Depth=1
	v_cmp_ne_u16_e32 vcc, s9, v46
	v_mov_b32_e32 v57, 0xffff8000
	s_and_saveexec_b64 s[16:17], vcc
	s_cbranch_execz .LBB930_322
; %bb.319:                              ;   in Loop: Header=BB930_215 Depth=1
	v_and_b32_e32 v59, 0x7f, v46
	v_cmp_ne_u32_e32 vcc, s23, v59
	v_mov_b32_e32 v57, 0x7f80
	s_and_saveexec_b64 s[18:19], vcc
	s_cbranch_execz .LBB930_321
; %bb.320:                              ;   in Loop: Header=BB930_215 Depth=1
	v_and_b32_e32 v57, 7, v46
	v_ffbh_u32_e32 v60, v57
	v_min_u32_e32 v63, 32, v60
	v_subrev_u32_e32 v60, 28, v63
	v_lshlrev_b64 v[60:61], v60, v[46:47]
	v_lshrrev_b32_e32 v62, 3, v59
	v_sub_u32_e32 v46, 29, v63
	v_and_b32_e32 v60, 7, v60
	v_cmp_gt_u32_e32 vcc, 8, v59
	v_cndmask_b32_e32 v46, v62, v46, vcc
	v_cndmask_b32_e32 v57, v57, v60, vcc
	v_lshlrev_b32_e32 v59, 16, v44
	v_lshlrev_b32_e32 v57, 20, v57
	v_and_b32_e32 v59, 0x80000000, v59
	v_lshl_add_u32 v46, v46, 23, v55
	v_or3_b32 v46, v59, v46, v57
	v_lshrrev_b32_e32 v57, 16, v46
.LBB930_321:                            ;   in Loop: Header=BB930_215 Depth=1
	s_or_b64 exec, exec, s[18:19]
.LBB930_322:                            ;   in Loop: Header=BB930_215 Depth=1
	s_or_b64 exec, exec, s[16:17]
.LBB930_323:                            ;   in Loop: Header=BB930_215 Depth=1
	s_or_b64 exec, exec, s[14:15]
	v_lshrrev_b32_e32 v46, 16, v44
	v_cmp_ne_u16_sdwa s[16:17], v46, v54 src0_sel:BYTE_0 src1_sel:DWORD
	s_and_saveexec_b64 s[14:15], s[16:17]
	s_cbranch_execz .LBB930_329
; %bb.324:                              ;   in Loop: Header=BB930_215 Depth=1
	v_cmp_ne_u16_sdwa s[18:19], v46, s9 src0_sel:BYTE_0 src1_sel:DWORD
	v_mov_b32_e32 v58, 0xffff8000
	s_and_saveexec_b64 s[16:17], s[18:19]
	s_cbranch_execz .LBB930_328
; %bb.325:                              ;   in Loop: Header=BB930_215 Depth=1
	v_bfe_u32 v59, v44, 16, 7
	v_cmp_ne_u32_e32 vcc, s23, v59
	v_mov_b32_e32 v58, 0x7f80
	s_and_saveexec_b64 s[18:19], vcc
	s_cbranch_execz .LBB930_327
; %bb.326:                              ;   in Loop: Header=BB930_215 Depth=1
	v_and_b32_e32 v58, 7, v46
	v_ffbh_u32_e32 v60, v58
	v_min_u32_e32 v63, 32, v60
	v_subrev_u32_e32 v60, 28, v63
	v_lshlrev_b64 v[60:61], v60, v[46:47]
	v_lshrrev_b32_e32 v62, 3, v59
	v_sub_u32_e32 v61, 29, v63
	v_and_b32_e32 v60, 7, v60
	v_cmp_gt_u32_e32 vcc, 8, v59
	v_cndmask_b32_e32 v59, v62, v61, vcc
	v_cndmask_b32_e32 v58, v58, v60, vcc
	v_lshlrev_b32_e32 v46, 24, v46
	v_lshlrev_b32_e32 v58, 20, v58
	v_and_b32_e32 v46, 0x80000000, v46
	v_lshl_add_u32 v59, v59, 23, v55
	v_or3_b32 v46, v46, v59, v58
	v_lshrrev_b32_e32 v58, 16, v46
.LBB930_327:                            ;   in Loop: Header=BB930_215 Depth=1
	s_or_b64 exec, exec, s[18:19]
.LBB930_328:                            ;   in Loop: Header=BB930_215 Depth=1
	s_or_b64 exec, exec, s[16:17]
.LBB930_329:                            ;   in Loop: Header=BB930_215 Depth=1
	s_or_b64 exec, exec, s[14:15]
	v_cmp_lt_u32_e32 vcc, s24, v44
	v_mov_b32_e32 v59, 0
	v_mov_b32_e32 v60, 0
	s_and_saveexec_b64 s[14:15], vcc
	s_cbranch_execz .LBB930_335
; %bb.330:                              ;   in Loop: Header=BB930_215 Depth=1
	v_lshrrev_b32_e32 v46, 24, v44
	v_cmp_ne_u32_e32 vcc, s9, v46
	v_mov_b32_e32 v60, 0xffff8000
	s_and_saveexec_b64 s[16:17], vcc
	s_cbranch_execz .LBB930_334
; %bb.331:                              ;   in Loop: Header=BB930_215 Depth=1
	v_bfe_u32 v44, v44, 24, 7
	v_cmp_ne_u32_e32 vcc, s23, v44
	v_mov_b32_e32 v60, 0x7f80
	s_and_saveexec_b64 s[18:19], vcc
	s_cbranch_execz .LBB930_333
; %bb.332:                              ;   in Loop: Header=BB930_215 Depth=1
	v_and_b32_e32 v62, 7, v46
	v_ffbh_u32_e32 v60, v62
	v_min_u32_e32 v64, 32, v60
	v_subrev_u32_e32 v60, 28, v64
	v_lshlrev_b64 v[60:61], v60, v[46:47]
	v_lshrrev_b32_e32 v63, 3, v44
	v_sub_u32_e32 v61, 29, v64
	v_and_b32_e32 v60, 7, v60
	v_cmp_gt_u32_e32 vcc, 8, v44
	v_cndmask_b32_e32 v44, v63, v61, vcc
	v_cndmask_b32_e32 v60, v62, v60, vcc
	v_lshlrev_b32_e32 v46, 24, v46
	v_lshlrev_b32_e32 v60, 20, v60
	v_and_b32_e32 v46, 0x80000000, v46
	v_lshl_add_u32 v44, v44, 23, v55
	v_or3_b32 v44, v46, v44, v60
	v_lshrrev_b32_e32 v60, 16, v44
.LBB930_333:                            ;   in Loop: Header=BB930_215 Depth=1
	s_or_b64 exec, exec, s[18:19]
.LBB930_334:                            ;   in Loop: Header=BB930_215 Depth=1
	s_or_b64 exec, exec, s[16:17]
.LBB930_335:                            ;   in Loop: Header=BB930_215 Depth=1
	s_or_b64 exec, exec, s[14:15]
	s_waitcnt vmcnt(2)
	v_cmp_ne_u16_sdwa s[16:17], v42, v54 src0_sel:BYTE_0 src1_sel:DWORD
	s_and_saveexec_b64 s[14:15], s[16:17]
	s_cbranch_execz .LBB930_341
; %bb.336:                              ;   in Loop: Header=BB930_215 Depth=1
	v_cmp_ne_u16_sdwa s[18:19], v42, s9 src0_sel:BYTE_0 src1_sel:DWORD
	v_mov_b32_e32 v59, 0xffff8000
	s_and_saveexec_b64 s[16:17], s[18:19]
	s_cbranch_execz .LBB930_340
; %bb.337:                              ;   in Loop: Header=BB930_215 Depth=1
	v_and_b32_e32 v44, 0x7f, v42
	v_cmp_ne_u32_e32 vcc, s23, v44
	v_mov_b32_e32 v59, 0x7f80
	s_and_saveexec_b64 s[18:19], vcc
	s_cbranch_execz .LBB930_339
; %bb.338:                              ;   in Loop: Header=BB930_215 Depth=1
	v_and_b32_e32 v46, 7, v42
	v_ffbh_u32_e32 v61, v46
	v_min_u32_e32 v61, 32, v61
	v_subrev_u32_e32 v62, 28, v61
	v_lshlrev_b64 v[62:63], v62, v[42:43]
	v_lshrrev_b32_e32 v59, 3, v44
	v_sub_u32_e32 v61, 29, v61
	v_and_b32_e32 v62, 7, v62
	v_cmp_gt_u32_e32 vcc, 8, v44
	v_cndmask_b32_e32 v44, v59, v61, vcc
	v_cndmask_b32_e32 v46, v46, v62, vcc
	v_lshlrev_b32_e32 v59, 24, v42
	v_lshlrev_b32_e32 v46, 20, v46
	v_and_b32_e32 v59, 0x80000000, v59
	v_lshl_add_u32 v44, v44, 23, v55
	v_or3_b32 v44, v59, v44, v46
	v_lshrrev_b32_e32 v59, 16, v44
.LBB930_339:                            ;   in Loop: Header=BB930_215 Depth=1
	s_or_b64 exec, exec, s[18:19]
.LBB930_340:                            ;   in Loop: Header=BB930_215 Depth=1
	s_or_b64 exec, exec, s[16:17]
.LBB930_341:                            ;   in Loop: Header=BB930_215 Depth=1
	s_or_b64 exec, exec, s[14:15]
	v_lshrrev_b16_e32 v44, 8, v42
	v_cmp_ne_u16_e32 vcc, 0, v44
	v_mov_b32_e32 v62, 0
	v_mov_b32_e32 v61, 0
	s_and_saveexec_b64 s[14:15], vcc
	s_cbranch_execz .LBB930_347
; %bb.342:                              ;   in Loop: Header=BB930_215 Depth=1
	v_cmp_ne_u16_e32 vcc, s9, v44
	v_mov_b32_e32 v61, 0xffff8000
	s_and_saveexec_b64 s[16:17], vcc
	s_cbranch_execz .LBB930_346
; %bb.343:                              ;   in Loop: Header=BB930_215 Depth=1
	v_and_b32_e32 v46, 0x7f, v44
	v_cmp_ne_u32_e32 vcc, s23, v46
	v_mov_b32_e32 v61, 0x7f80
	s_and_saveexec_b64 s[18:19], vcc
	s_cbranch_execz .LBB930_345
; %bb.344:                              ;   in Loop: Header=BB930_215 Depth=1
	v_and_b32_e32 v61, 7, v44
	v_ffbh_u32_e32 v64, v61
	v_min_u32_e32 v66, 32, v64
	v_subrev_u32_e32 v64, 28, v66
	v_lshlrev_b64 v[64:65], v64, v[44:45]
	v_lshrrev_b32_e32 v63, 3, v46
	v_sub_u32_e32 v44, 29, v66
	v_and_b32_e32 v64, 7, v64
	v_cmp_gt_u32_e32 vcc, 8, v46
	v_cndmask_b32_e32 v44, v63, v44, vcc
	v_cndmask_b32_e32 v46, v61, v64, vcc
	v_lshlrev_b32_e32 v61, 16, v42
	v_lshlrev_b32_e32 v46, 20, v46
	v_and_b32_e32 v61, 0x80000000, v61
	v_lshl_add_u32 v44, v44, 23, v55
	v_or3_b32 v44, v61, v44, v46
	v_lshrrev_b32_e32 v61, 16, v44
.LBB930_345:                            ;   in Loop: Header=BB930_215 Depth=1
	s_or_b64 exec, exec, s[18:19]
.LBB930_346:                            ;   in Loop: Header=BB930_215 Depth=1
	s_or_b64 exec, exec, s[16:17]
.LBB930_347:                            ;   in Loop: Header=BB930_215 Depth=1
	s_or_b64 exec, exec, s[14:15]
	v_lshrrev_b32_e32 v44, 16, v42
	v_cmp_ne_u16_sdwa s[16:17], v44, v54 src0_sel:BYTE_0 src1_sel:DWORD
	s_and_saveexec_b64 s[14:15], s[16:17]
	s_cbranch_execz .LBB930_353
; %bb.348:                              ;   in Loop: Header=BB930_215 Depth=1
	v_cmp_ne_u16_sdwa s[18:19], v44, s9 src0_sel:BYTE_0 src1_sel:DWORD
	v_mov_b32_e32 v62, 0xffff8000
	s_and_saveexec_b64 s[16:17], s[18:19]
	s_cbranch_execz .LBB930_352
; %bb.349:                              ;   in Loop: Header=BB930_215 Depth=1
	v_bfe_u32 v46, v42, 16, 7
	v_cmp_ne_u32_e32 vcc, s23, v46
	v_mov_b32_e32 v62, 0x7f80
	s_and_saveexec_b64 s[18:19], vcc
	s_cbranch_execz .LBB930_351
; %bb.350:                              ;   in Loop: Header=BB930_215 Depth=1
	v_and_b32_e32 v64, 7, v44
	v_ffbh_u32_e32 v62, v64
	v_min_u32_e32 v66, 32, v62
	v_subrev_u32_e32 v62, 28, v66
	v_lshlrev_b64 v[62:63], v62, v[44:45]
	v_lshrrev_b32_e32 v65, 3, v46
	v_sub_u32_e32 v63, 29, v66
	v_and_b32_e32 v62, 7, v62
	v_cmp_gt_u32_e32 vcc, 8, v46
	v_cndmask_b32_e32 v46, v65, v63, vcc
	v_cndmask_b32_e32 v62, v64, v62, vcc
	v_lshlrev_b32_e32 v44, 24, v44
	v_lshlrev_b32_e32 v62, 20, v62
	v_and_b32_e32 v44, 0x80000000, v44
	v_lshl_add_u32 v46, v46, 23, v55
	v_or3_b32 v44, v44, v46, v62
	v_lshrrev_b32_e32 v62, 16, v44
.LBB930_351:                            ;   in Loop: Header=BB930_215 Depth=1
	s_or_b64 exec, exec, s[18:19]
.LBB930_352:                            ;   in Loop: Header=BB930_215 Depth=1
	s_or_b64 exec, exec, s[16:17]
.LBB930_353:                            ;   in Loop: Header=BB930_215 Depth=1
	s_or_b64 exec, exec, s[14:15]
	v_cmp_lt_u32_e32 vcc, s24, v42
	v_mov_b32_e32 v46, 0
	v_mov_b32_e32 v63, 0
	s_and_saveexec_b64 s[14:15], vcc
	s_cbranch_execz .LBB930_359
; %bb.354:                              ;   in Loop: Header=BB930_215 Depth=1
	v_lshrrev_b32_e32 v44, 24, v42
	v_cmp_ne_u32_e32 vcc, s9, v44
	v_mov_b32_e32 v63, 0xffff8000
	s_and_saveexec_b64 s[16:17], vcc
	s_cbranch_execz .LBB930_358
; %bb.355:                              ;   in Loop: Header=BB930_215 Depth=1
	v_bfe_u32 v42, v42, 24, 7
	v_cmp_ne_u32_e32 vcc, s23, v42
	v_mov_b32_e32 v63, 0x7f80
	s_and_saveexec_b64 s[18:19], vcc
	s_cbranch_execz .LBB930_357
; %bb.356:                              ;   in Loop: Header=BB930_215 Depth=1
	v_and_b32_e32 v63, 7, v44
	v_ffbh_u32_e32 v64, v63
	v_min_u32_e32 v67, 32, v64
	v_subrev_u32_e32 v64, 28, v67
	v_lshlrev_b64 v[64:65], v64, v[44:45]
	v_lshrrev_b32_e32 v66, 3, v42
	v_sub_u32_e32 v65, 29, v67
	v_and_b32_e32 v64, 7, v64
	v_cmp_gt_u32_e32 vcc, 8, v42
	v_cndmask_b32_e32 v42, v66, v65, vcc
	v_cndmask_b32_e32 v63, v63, v64, vcc
	v_lshlrev_b32_e32 v44, 24, v44
	v_lshlrev_b32_e32 v63, 20, v63
	v_and_b32_e32 v44, 0x80000000, v44
	v_lshl_add_u32 v42, v42, 23, v55
	v_or3_b32 v42, v44, v42, v63
	v_lshrrev_b32_e32 v63, 16, v42
.LBB930_357:                            ;   in Loop: Header=BB930_215 Depth=1
	s_or_b64 exec, exec, s[18:19]
.LBB930_358:                            ;   in Loop: Header=BB930_215 Depth=1
	s_or_b64 exec, exec, s[16:17]
.LBB930_359:                            ;   in Loop: Header=BB930_215 Depth=1
	s_or_b64 exec, exec, s[14:15]
	v_perm_b32 v65, v60, v58, s25
	v_perm_b32 v64, v57, v56, s25
	;; [unrolled: 1-line block ×4, first 2 shown]
	s_waitcnt vmcnt(1)
	v_cmp_ne_u16_sdwa s[16:17], v40, v54 src0_sel:BYTE_0 src1_sel:DWORD
	v_mfma_f32_16x16x16bf16_1k v[34:37], v[64:65], v[10:11], v[34:37]
	v_mfma_f32_16x16x16bf16_1k v[34:37], v[56:57], v[12:13], v[34:37]
	s_and_saveexec_b64 s[14:15], s[16:17]
	s_cbranch_execz .LBB930_365
; %bb.360:                              ;   in Loop: Header=BB930_215 Depth=1
	v_cmp_ne_u16_sdwa s[18:19], v40, s9 src0_sel:BYTE_0 src1_sel:DWORD
	v_mov_b32_e32 v46, 0xffff8000
	s_and_saveexec_b64 s[16:17], s[18:19]
	s_cbranch_execz .LBB930_364
; %bb.361:                              ;   in Loop: Header=BB930_215 Depth=1
	v_and_b32_e32 v42, 0x7f, v40
	v_cmp_ne_u32_e32 vcc, s23, v42
	v_mov_b32_e32 v46, 0x7f80
	s_and_saveexec_b64 s[18:19], vcc
	s_cbranch_execz .LBB930_363
; %bb.362:                              ;   in Loop: Header=BB930_215 Depth=1
	v_and_b32_e32 v44, 7, v40
	v_ffbh_u32_e32 v56, v44
	v_min_u32_e32 v58, 32, v56
	v_subrev_u32_e32 v56, 28, v58
	v_lshlrev_b64 v[56:57], v56, v[40:41]
	v_lshrrev_b32_e32 v46, 3, v42
	v_sub_u32_e32 v57, 29, v58
	v_and_b32_e32 v56, 7, v56
	v_cmp_gt_u32_e32 vcc, 8, v42
	v_cndmask_b32_e32 v42, v46, v57, vcc
	v_cndmask_b32_e32 v44, v44, v56, vcc
	v_lshlrev_b32_e32 v46, 24, v40
	v_lshlrev_b32_e32 v44, 20, v44
	v_and_b32_e32 v46, 0x80000000, v46
	v_lshl_add_u32 v42, v42, 23, v55
	v_or3_b32 v42, v46, v42, v44
	v_lshrrev_b32_e32 v46, 16, v42
.LBB930_363:                            ;   in Loop: Header=BB930_215 Depth=1
	s_or_b64 exec, exec, s[18:19]
.LBB930_364:                            ;   in Loop: Header=BB930_215 Depth=1
	s_or_b64 exec, exec, s[16:17]
.LBB930_365:                            ;   in Loop: Header=BB930_215 Depth=1
	s_or_b64 exec, exec, s[14:15]
	v_lshrrev_b16_e32 v42, 8, v40
	v_cmp_ne_u16_e32 vcc, 0, v42
	v_mov_b32_e32 v57, 0
	v_mov_b32_e32 v44, 0
	s_and_saveexec_b64 s[14:15], vcc
	s_cbranch_execz .LBB930_371
; %bb.366:                              ;   in Loop: Header=BB930_215 Depth=1
	v_cmp_ne_u16_e32 vcc, s9, v42
	v_mov_b32_e32 v44, 0xffff8000
	s_and_saveexec_b64 s[16:17], vcc
	s_cbranch_execz .LBB930_370
; %bb.367:                              ;   in Loop: Header=BB930_215 Depth=1
	v_and_b32_e32 v56, 0x7f, v42
	v_cmp_ne_u32_e32 vcc, s23, v56
	v_mov_b32_e32 v44, 0x7f80
	s_and_saveexec_b64 s[18:19], vcc
	s_cbranch_execz .LBB930_369
; %bb.368:                              ;   in Loop: Header=BB930_215 Depth=1
	v_and_b32_e32 v44, 7, v42
	v_ffbh_u32_e32 v58, v44
	v_min_u32_e32 v61, 32, v58
	v_subrev_u32_e32 v58, 28, v61
	v_lshlrev_b64 v[58:59], v58, v[42:43]
	v_lshrrev_b32_e32 v60, 3, v56
	v_sub_u32_e32 v42, 29, v61
	v_and_b32_e32 v58, 7, v58
	v_cmp_gt_u32_e32 vcc, 8, v56
	v_cndmask_b32_e32 v42, v60, v42, vcc
	v_cndmask_b32_e32 v44, v44, v58, vcc
	v_lshlrev_b32_e32 v56, 16, v40
	v_lshlrev_b32_e32 v44, 20, v44
	v_and_b32_e32 v56, 0x80000000, v56
	v_lshl_add_u32 v42, v42, 23, v55
	v_or3_b32 v42, v56, v42, v44
	v_lshrrev_b32_e32 v44, 16, v42
.LBB930_369:                            ;   in Loop: Header=BB930_215 Depth=1
	s_or_b64 exec, exec, s[18:19]
.LBB930_370:                            ;   in Loop: Header=BB930_215 Depth=1
	s_or_b64 exec, exec, s[16:17]
.LBB930_371:                            ;   in Loop: Header=BB930_215 Depth=1
	s_or_b64 exec, exec, s[14:15]
	v_lshrrev_b32_e32 v42, 16, v40
	v_cmp_ne_u16_sdwa s[16:17], v42, v54 src0_sel:BYTE_0 src1_sel:DWORD
	s_and_saveexec_b64 s[14:15], s[16:17]
	s_cbranch_execz .LBB930_377
; %bb.372:                              ;   in Loop: Header=BB930_215 Depth=1
	v_cmp_ne_u16_sdwa s[18:19], v42, s9 src0_sel:BYTE_0 src1_sel:DWORD
	v_mov_b32_e32 v57, 0xffff8000
	s_and_saveexec_b64 s[16:17], s[18:19]
	s_cbranch_execz .LBB930_376
; %bb.373:                              ;   in Loop: Header=BB930_215 Depth=1
	v_bfe_u32 v56, v40, 16, 7
	v_cmp_ne_u32_e32 vcc, s23, v56
	v_mov_b32_e32 v57, 0x7f80
	s_and_saveexec_b64 s[18:19], vcc
	s_cbranch_execz .LBB930_375
; %bb.374:                              ;   in Loop: Header=BB930_215 Depth=1
	v_and_b32_e32 v57, 7, v42
	v_ffbh_u32_e32 v58, v57
	v_min_u32_e32 v61, 32, v58
	v_subrev_u32_e32 v58, 28, v61
	v_lshlrev_b64 v[58:59], v58, v[42:43]
	v_lshrrev_b32_e32 v60, 3, v56
	v_sub_u32_e32 v59, 29, v61
	v_and_b32_e32 v58, 7, v58
	v_cmp_gt_u32_e32 vcc, 8, v56
	v_cndmask_b32_e32 v56, v60, v59, vcc
	v_cndmask_b32_e32 v57, v57, v58, vcc
	v_lshlrev_b32_e32 v42, 24, v42
	v_lshlrev_b32_e32 v57, 20, v57
	v_and_b32_e32 v42, 0x80000000, v42
	v_lshl_add_u32 v56, v56, 23, v55
	v_or3_b32 v42, v42, v56, v57
	v_lshrrev_b32_e32 v57, 16, v42
.LBB930_375:                            ;   in Loop: Header=BB930_215 Depth=1
	s_or_b64 exec, exec, s[18:19]
.LBB930_376:                            ;   in Loop: Header=BB930_215 Depth=1
	s_or_b64 exec, exec, s[16:17]
.LBB930_377:                            ;   in Loop: Header=BB930_215 Depth=1
	s_or_b64 exec, exec, s[14:15]
	v_cmp_lt_u32_e32 vcc, s24, v40
	v_mov_b32_e32 v58, 0
	v_mov_b32_e32 v59, 0
	s_and_saveexec_b64 s[14:15], vcc
	s_cbranch_execz .LBB930_383
; %bb.378:                              ;   in Loop: Header=BB930_215 Depth=1
	v_lshrrev_b32_e32 v42, 24, v40
	v_cmp_ne_u32_e32 vcc, s9, v42
	v_mov_b32_e32 v59, 0xffff8000
	s_and_saveexec_b64 s[16:17], vcc
	s_cbranch_execz .LBB930_382
; %bb.379:                              ;   in Loop: Header=BB930_215 Depth=1
	v_bfe_u32 v40, v40, 24, 7
	v_cmp_ne_u32_e32 vcc, s23, v40
	v_mov_b32_e32 v59, 0x7f80
	s_and_saveexec_b64 s[18:19], vcc
	s_cbranch_execz .LBB930_381
; %bb.380:                              ;   in Loop: Header=BB930_215 Depth=1
	v_and_b32_e32 v56, 7, v42
	v_ffbh_u32_e32 v60, v56
	v_min_u32_e32 v62, 32, v60
	v_subrev_u32_e32 v60, 28, v62
	v_lshlrev_b64 v[60:61], v60, v[42:43]
	v_lshrrev_b32_e32 v59, 3, v40
	v_sub_u32_e32 v61, 29, v62
	v_and_b32_e32 v60, 7, v60
	v_cmp_gt_u32_e32 vcc, 8, v40
	v_cndmask_b32_e32 v40, v59, v61, vcc
	v_cndmask_b32_e32 v56, v56, v60, vcc
	v_lshlrev_b32_e32 v42, 24, v42
	v_lshlrev_b32_e32 v56, 20, v56
	v_and_b32_e32 v42, 0x80000000, v42
	v_lshl_add_u32 v40, v40, 23, v55
	v_or3_b32 v40, v42, v40, v56
	v_lshrrev_b32_e32 v59, 16, v40
.LBB930_381:                            ;   in Loop: Header=BB930_215 Depth=1
	s_or_b64 exec, exec, s[18:19]
.LBB930_382:                            ;   in Loop: Header=BB930_215 Depth=1
	s_or_b64 exec, exec, s[16:17]
.LBB930_383:                            ;   in Loop: Header=BB930_215 Depth=1
	s_or_b64 exec, exec, s[14:15]
	s_waitcnt vmcnt(0)
	v_cmp_ne_u16_sdwa s[16:17], v38, v54 src0_sel:BYTE_0 src1_sel:DWORD
	s_and_saveexec_b64 s[14:15], s[16:17]
	s_cbranch_execz .LBB930_389
; %bb.384:                              ;   in Loop: Header=BB930_215 Depth=1
	v_cmp_ne_u16_sdwa s[18:19], v38, s9 src0_sel:BYTE_0 src1_sel:DWORD
	v_mov_b32_e32 v58, 0xffff8000
	s_and_saveexec_b64 s[16:17], s[18:19]
	s_cbranch_execz .LBB930_388
; %bb.385:                              ;   in Loop: Header=BB930_215 Depth=1
	v_and_b32_e32 v40, 0x7f, v38
	v_cmp_ne_u32_e32 vcc, s23, v40
	v_mov_b32_e32 v58, 0x7f80
	s_and_saveexec_b64 s[18:19], vcc
	s_cbranch_execz .LBB930_387
; %bb.386:                              ;   in Loop: Header=BB930_215 Depth=1
	v_and_b32_e32 v42, 7, v38
	v_ffbh_u32_e32 v58, v42
	v_min_u32_e32 v58, 32, v58
	v_subrev_u32_e32 v60, 28, v58
	v_lshlrev_b64 v[60:61], v60, v[38:39]
	v_lshrrev_b32_e32 v56, 3, v40
	v_sub_u32_e32 v58, 29, v58
	v_and_b32_e32 v60, 7, v60
	v_cmp_gt_u32_e32 vcc, 8, v40
	v_cndmask_b32_e32 v40, v56, v58, vcc
	v_cndmask_b32_e32 v42, v42, v60, vcc
	v_lshlrev_b32_e32 v56, 24, v38
	v_lshlrev_b32_e32 v42, 20, v42
	v_and_b32_e32 v56, 0x80000000, v56
	v_lshl_add_u32 v40, v40, 23, v55
	v_or3_b32 v40, v56, v40, v42
	v_lshrrev_b32_e32 v58, 16, v40
.LBB930_387:                            ;   in Loop: Header=BB930_215 Depth=1
	s_or_b64 exec, exec, s[18:19]
.LBB930_388:                            ;   in Loop: Header=BB930_215 Depth=1
	s_or_b64 exec, exec, s[16:17]
.LBB930_389:                            ;   in Loop: Header=BB930_215 Depth=1
	s_or_b64 exec, exec, s[14:15]
	v_lshrrev_b16_e32 v40, 8, v38
	v_cmp_ne_u16_e32 vcc, 0, v40
	v_mov_b32_e32 v61, 0
	v_mov_b32_e32 v60, 0
	s_and_saveexec_b64 s[14:15], vcc
	s_cbranch_execz .LBB930_395
; %bb.390:                              ;   in Loop: Header=BB930_215 Depth=1
	v_cmp_ne_u16_e32 vcc, s9, v40
	v_mov_b32_e32 v60, 0xffff8000
	s_and_saveexec_b64 s[16:17], vcc
	s_cbranch_execz .LBB930_394
; %bb.391:                              ;   in Loop: Header=BB930_215 Depth=1
	v_and_b32_e32 v42, 0x7f, v40
	v_cmp_ne_u32_e32 vcc, s23, v42
	v_mov_b32_e32 v60, 0x7f80
	s_and_saveexec_b64 s[18:19], vcc
	s_cbranch_execz .LBB930_393
; %bb.392:                              ;   in Loop: Header=BB930_215 Depth=1
	v_and_b32_e32 v56, 7, v40
	v_ffbh_u32_e32 v62, v56
	v_min_u32_e32 v64, 32, v62
	v_subrev_u32_e32 v62, 28, v64
	v_lshlrev_b64 v[62:63], v62, v[40:41]
	v_lshrrev_b32_e32 v60, 3, v42
	v_sub_u32_e32 v40, 29, v64
	v_and_b32_e32 v62, 7, v62
	v_cmp_gt_u32_e32 vcc, 8, v42
	v_cndmask_b32_e32 v40, v60, v40, vcc
	v_cndmask_b32_e32 v42, v56, v62, vcc
	v_lshlrev_b32_e32 v56, 16, v38
	v_lshlrev_b32_e32 v42, 20, v42
	v_and_b32_e32 v56, 0x80000000, v56
	v_lshl_add_u32 v40, v40, 23, v55
	v_or3_b32 v40, v56, v40, v42
	v_lshrrev_b32_e32 v60, 16, v40
.LBB930_393:                            ;   in Loop: Header=BB930_215 Depth=1
	s_or_b64 exec, exec, s[18:19]
.LBB930_394:                            ;   in Loop: Header=BB930_215 Depth=1
	s_or_b64 exec, exec, s[16:17]
.LBB930_395:                            ;   in Loop: Header=BB930_215 Depth=1
	s_or_b64 exec, exec, s[14:15]
	v_lshrrev_b32_e32 v40, 16, v38
	v_cmp_ne_u16_sdwa s[16:17], v40, v54 src0_sel:BYTE_0 src1_sel:DWORD
	s_and_saveexec_b64 s[14:15], s[16:17]
	s_cbranch_execz .LBB930_401
; %bb.396:                              ;   in Loop: Header=BB930_215 Depth=1
	v_cmp_ne_u16_sdwa s[18:19], v40, s9 src0_sel:BYTE_0 src1_sel:DWORD
	v_mov_b32_e32 v61, 0xffff8000
	s_and_saveexec_b64 s[16:17], s[18:19]
	s_cbranch_execz .LBB930_400
; %bb.397:                              ;   in Loop: Header=BB930_215 Depth=1
	v_bfe_u32 v42, v38, 16, 7
	v_cmp_ne_u32_e32 vcc, s23, v42
	v_mov_b32_e32 v61, 0x7f80
	s_and_saveexec_b64 s[18:19], vcc
	s_cbranch_execz .LBB930_399
; %bb.398:                              ;   in Loop: Header=BB930_215 Depth=1
	v_and_b32_e32 v56, 7, v40
	v_ffbh_u32_e32 v62, v56
	v_min_u32_e32 v64, 32, v62
	v_subrev_u32_e32 v62, 28, v64
	v_lshlrev_b64 v[62:63], v62, v[40:41]
	v_lshrrev_b32_e32 v61, 3, v42
	v_sub_u32_e32 v63, 29, v64
	v_and_b32_e32 v62, 7, v62
	v_cmp_gt_u32_e32 vcc, 8, v42
	v_cndmask_b32_e32 v42, v61, v63, vcc
	v_cndmask_b32_e32 v56, v56, v62, vcc
	v_lshlrev_b32_e32 v40, 24, v40
	v_lshlrev_b32_e32 v56, 20, v56
	v_and_b32_e32 v40, 0x80000000, v40
	v_lshl_add_u32 v42, v42, 23, v55
	v_or3_b32 v40, v40, v42, v56
	v_lshrrev_b32_e32 v61, 16, v40
.LBB930_399:                            ;   in Loop: Header=BB930_215 Depth=1
	s_or_b64 exec, exec, s[18:19]
.LBB930_400:                            ;   in Loop: Header=BB930_215 Depth=1
	s_or_b64 exec, exec, s[16:17]
.LBB930_401:                            ;   in Loop: Header=BB930_215 Depth=1
	s_or_b64 exec, exec, s[14:15]
	v_cmp_lt_u32_e32 vcc, s24, v38
	v_mov_b32_e32 v56, 0
	v_mov_b32_e32 v62, 0
	s_and_saveexec_b64 s[14:15], vcc
	s_cbranch_execz .LBB930_407
; %bb.402:                              ;   in Loop: Header=BB930_215 Depth=1
	v_lshrrev_b32_e32 v40, 24, v38
	v_cmp_ne_u32_e32 vcc, s9, v40
	v_mov_b32_e32 v62, 0xffff8000
	s_and_saveexec_b64 s[16:17], vcc
	s_cbranch_execz .LBB930_406
; %bb.403:                              ;   in Loop: Header=BB930_215 Depth=1
	v_bfe_u32 v38, v38, 24, 7
	v_cmp_ne_u32_e32 vcc, s23, v38
	v_mov_b32_e32 v62, 0x7f80
	s_and_saveexec_b64 s[18:19], vcc
	s_cbranch_execz .LBB930_405
; %bb.404:                              ;   in Loop: Header=BB930_215 Depth=1
	v_and_b32_e32 v42, 7, v40
	v_ffbh_u32_e32 v62, v42
	v_min_u32_e32 v65, 32, v62
	v_subrev_u32_e32 v62, 28, v65
	v_lshlrev_b64 v[62:63], v62, v[40:41]
	v_lshrrev_b32_e32 v64, 3, v38
	v_sub_u32_e32 v63, 29, v65
	v_and_b32_e32 v62, 7, v62
	v_cmp_gt_u32_e32 vcc, 8, v38
	v_cndmask_b32_e32 v38, v64, v63, vcc
	v_cndmask_b32_e32 v42, v42, v62, vcc
	v_lshlrev_b32_e32 v40, 24, v40
	v_lshlrev_b32_e32 v42, 20, v42
	v_and_b32_e32 v40, 0x80000000, v40
	v_lshl_add_u32 v38, v38, 23, v55
	v_or3_b32 v38, v40, v38, v42
	v_lshrrev_b32_e32 v62, 16, v38
.LBB930_405:                            ;   in Loop: Header=BB930_215 Depth=1
	s_or_b64 exec, exec, s[18:19]
.LBB930_406:                            ;   in Loop: Header=BB930_215 Depth=1
	s_or_b64 exec, exec, s[16:17]
.LBB930_407:                            ;   in Loop: Header=BB930_215 Depth=1
	s_or_b64 exec, exec, s[14:15]
	v_perm_b32 v64, v44, v46, s25
	buffer_load_dword v44, v51, s[0:3], 0 offen
	buffer_load_dword v42, v51, s[0:3], 0 offen offset:4
	buffer_load_dword v40, v51, s[0:3], 0 offen offset:8
	;; [unrolled: 1-line block ×3, first 2 shown]
	v_perm_b32 v65, v59, v57, s25
	v_perm_b32 v59, v62, v61, s25
	;; [unrolled: 1-line block ×3, first 2 shown]
	v_mfma_f32_16x16x16bf16_1k v[34:37], v[64:65], v[14:15], v[34:37]
	s_waitcnt vmcnt(3)
	v_cmp_ne_u16_sdwa s[16:17], v44, v54 src0_sel:BYTE_0 src1_sel:DWORD
	v_mfma_f32_16x16x16bf16_1k v[34:37], v[58:59], v[16:17], v[34:37]
	s_and_saveexec_b64 s[14:15], s[16:17]
	s_cbranch_execz .LBB930_413
; %bb.408:                              ;   in Loop: Header=BB930_215 Depth=1
	v_cmp_ne_u16_sdwa s[18:19], v44, s9 src0_sel:BYTE_0 src1_sel:DWORD
	v_mov_b32_e32 v56, 0xffff8000
	s_and_saveexec_b64 s[16:17], s[18:19]
	s_cbranch_execz .LBB930_412
; %bb.409:                              ;   in Loop: Header=BB930_215 Depth=1
	v_and_b32_e32 v46, 0x7f, v44
	v_cmp_ne_u32_e32 vcc, s23, v46
	v_mov_b32_e32 v56, 0x7f80
	s_and_saveexec_b64 s[18:19], vcc
	s_cbranch_execz .LBB930_411
; %bb.410:                              ;   in Loop: Header=BB930_215 Depth=1
	v_and_b32_e32 v51, 7, v44
	v_ffbh_u32_e32 v56, v51
	v_min_u32_e32 v59, 32, v56
	v_subrev_u32_e32 v56, 28, v59
	v_lshlrev_b64 v[56:57], v56, v[44:45]
	v_lshrrev_b32_e32 v58, 3, v46
	v_sub_u32_e32 v57, 29, v59
	v_and_b32_e32 v56, 7, v56
	v_cmp_gt_u32_e32 vcc, 8, v46
	v_cndmask_b32_e32 v46, v58, v57, vcc
	v_cndmask_b32_e32 v51, v51, v56, vcc
	v_lshlrev_b32_e32 v56, 24, v44
	v_lshlrev_b32_e32 v51, 20, v51
	v_and_b32_e32 v56, 0x80000000, v56
	v_lshl_add_u32 v46, v46, 23, v55
	v_or3_b32 v46, v56, v46, v51
	v_lshrrev_b32_e32 v56, 16, v46
.LBB930_411:                            ;   in Loop: Header=BB930_215 Depth=1
	s_or_b64 exec, exec, s[18:19]
.LBB930_412:                            ;   in Loop: Header=BB930_215 Depth=1
	s_or_b64 exec, exec, s[16:17]
.LBB930_413:                            ;   in Loop: Header=BB930_215 Depth=1
	s_or_b64 exec, exec, s[14:15]
	v_lshrrev_b16_e32 v46, 8, v44
	v_cmp_ne_u16_e32 vcc, 0, v46
	v_mov_b32_e32 v57, 0
	v_mov_b32_e32 v51, 0
	s_and_saveexec_b64 s[14:15], vcc
	s_cbranch_execz .LBB930_419
; %bb.414:                              ;   in Loop: Header=BB930_215 Depth=1
	v_cmp_ne_u16_e32 vcc, s9, v46
	v_mov_b32_e32 v51, 0xffff8000
	s_and_saveexec_b64 s[16:17], vcc
	s_cbranch_execz .LBB930_418
; %bb.415:                              ;   in Loop: Header=BB930_215 Depth=1
	v_and_b32_e32 v58, 0x7f, v46
	v_cmp_ne_u32_e32 vcc, s23, v58
	v_mov_b32_e32 v51, 0x7f80
	s_and_saveexec_b64 s[18:19], vcc
	s_cbranch_execz .LBB930_417
; %bb.416:                              ;   in Loop: Header=BB930_215 Depth=1
	v_and_b32_e32 v51, 7, v46
	v_ffbh_u32_e32 v60, v51
	v_min_u32_e32 v62, 32, v60
	v_subrev_u32_e32 v60, 28, v62
	v_lshlrev_b64 v[60:61], v60, v[46:47]
	v_lshrrev_b32_e32 v59, 3, v58
	v_sub_u32_e32 v46, 29, v62
	v_and_b32_e32 v60, 7, v60
	v_cmp_gt_u32_e32 vcc, 8, v58
	v_cndmask_b32_e32 v46, v59, v46, vcc
	v_cndmask_b32_e32 v51, v51, v60, vcc
	v_lshlrev_b32_e32 v58, 16, v44
	v_lshlrev_b32_e32 v51, 20, v51
	v_and_b32_e32 v58, 0x80000000, v58
	v_lshl_add_u32 v46, v46, 23, v55
	v_or3_b32 v46, v58, v46, v51
	v_lshrrev_b32_e32 v51, 16, v46
.LBB930_417:                            ;   in Loop: Header=BB930_215 Depth=1
	s_or_b64 exec, exec, s[18:19]
.LBB930_418:                            ;   in Loop: Header=BB930_215 Depth=1
	s_or_b64 exec, exec, s[16:17]
.LBB930_419:                            ;   in Loop: Header=BB930_215 Depth=1
	s_or_b64 exec, exec, s[14:15]
	v_lshrrev_b32_e32 v46, 16, v44
	v_cmp_ne_u16_sdwa s[16:17], v46, v54 src0_sel:BYTE_0 src1_sel:DWORD
	s_and_saveexec_b64 s[14:15], s[16:17]
	s_cbranch_execz .LBB930_425
; %bb.420:                              ;   in Loop: Header=BB930_215 Depth=1
	v_cmp_ne_u16_sdwa s[18:19], v46, s9 src0_sel:BYTE_0 src1_sel:DWORD
	v_mov_b32_e32 v57, 0xffff8000
	s_and_saveexec_b64 s[16:17], s[18:19]
	s_cbranch_execz .LBB930_424
; %bb.421:                              ;   in Loop: Header=BB930_215 Depth=1
	v_bfe_u32 v58, v44, 16, 7
	v_cmp_ne_u32_e32 vcc, s23, v58
	v_mov_b32_e32 v57, 0x7f80
	s_and_saveexec_b64 s[18:19], vcc
	s_cbranch_execz .LBB930_423
; %bb.422:                              ;   in Loop: Header=BB930_215 Depth=1
	v_and_b32_e32 v57, 7, v46
	v_ffbh_u32_e32 v60, v57
	v_min_u32_e32 v62, 32, v60
	v_subrev_u32_e32 v60, 28, v62
	v_lshlrev_b64 v[60:61], v60, v[46:47]
	v_lshrrev_b32_e32 v59, 3, v58
	v_sub_u32_e32 v61, 29, v62
	v_and_b32_e32 v60, 7, v60
	v_cmp_gt_u32_e32 vcc, 8, v58
	v_cndmask_b32_e32 v58, v59, v61, vcc
	v_cndmask_b32_e32 v57, v57, v60, vcc
	v_lshlrev_b32_e32 v46, 24, v46
	v_lshlrev_b32_e32 v57, 20, v57
	v_and_b32_e32 v46, 0x80000000, v46
	v_lshl_add_u32 v58, v58, 23, v55
	v_or3_b32 v46, v46, v58, v57
	v_lshrrev_b32_e32 v57, 16, v46
.LBB930_423:                            ;   in Loop: Header=BB930_215 Depth=1
	s_or_b64 exec, exec, s[18:19]
.LBB930_424:                            ;   in Loop: Header=BB930_215 Depth=1
	s_or_b64 exec, exec, s[16:17]
.LBB930_425:                            ;   in Loop: Header=BB930_215 Depth=1
	s_or_b64 exec, exec, s[14:15]
	v_cmp_lt_u32_e32 vcc, s24, v44
	v_mov_b32_e32 v58, 0
	v_mov_b32_e32 v59, 0
	s_and_saveexec_b64 s[14:15], vcc
	s_cbranch_execz .LBB930_431
; %bb.426:                              ;   in Loop: Header=BB930_215 Depth=1
	v_lshrrev_b32_e32 v46, 24, v44
	v_cmp_ne_u32_e32 vcc, s9, v46
	v_mov_b32_e32 v59, 0xffff8000
	s_and_saveexec_b64 s[16:17], vcc
	s_cbranch_execz .LBB930_430
; %bb.427:                              ;   in Loop: Header=BB930_215 Depth=1
	v_bfe_u32 v44, v44, 24, 7
	v_cmp_ne_u32_e32 vcc, s23, v44
	v_mov_b32_e32 v59, 0x7f80
	s_and_saveexec_b64 s[18:19], vcc
	s_cbranch_execz .LBB930_429
; %bb.428:                              ;   in Loop: Header=BB930_215 Depth=1
	v_and_b32_e32 v59, 7, v46
	v_ffbh_u32_e32 v60, v59
	v_min_u32_e32 v63, 32, v60
	v_subrev_u32_e32 v60, 28, v63
	v_lshlrev_b64 v[60:61], v60, v[46:47]
	v_lshrrev_b32_e32 v62, 3, v44
	v_sub_u32_e32 v61, 29, v63
	v_and_b32_e32 v60, 7, v60
	v_cmp_gt_u32_e32 vcc, 8, v44
	v_cndmask_b32_e32 v44, v62, v61, vcc
	v_cndmask_b32_e32 v59, v59, v60, vcc
	v_lshlrev_b32_e32 v46, 24, v46
	v_lshlrev_b32_e32 v59, 20, v59
	v_and_b32_e32 v46, 0x80000000, v46
	v_lshl_add_u32 v44, v44, 23, v55
	v_or3_b32 v44, v46, v44, v59
	v_lshrrev_b32_e32 v59, 16, v44
.LBB930_429:                            ;   in Loop: Header=BB930_215 Depth=1
	s_or_b64 exec, exec, s[18:19]
.LBB930_430:                            ;   in Loop: Header=BB930_215 Depth=1
	s_or_b64 exec, exec, s[16:17]
.LBB930_431:                            ;   in Loop: Header=BB930_215 Depth=1
	s_or_b64 exec, exec, s[14:15]
	s_waitcnt vmcnt(2)
	v_cmp_ne_u16_sdwa s[16:17], v42, v54 src0_sel:BYTE_0 src1_sel:DWORD
	s_and_saveexec_b64 s[14:15], s[16:17]
	s_cbranch_execz .LBB930_437
; %bb.432:                              ;   in Loop: Header=BB930_215 Depth=1
	v_cmp_ne_u16_sdwa s[18:19], v42, s9 src0_sel:BYTE_0 src1_sel:DWORD
	v_mov_b32_e32 v58, 0xffff8000
	s_and_saveexec_b64 s[16:17], s[18:19]
	s_cbranch_execz .LBB930_436
; %bb.433:                              ;   in Loop: Header=BB930_215 Depth=1
	v_and_b32_e32 v44, 0x7f, v42
	v_cmp_ne_u32_e32 vcc, s23, v44
	v_mov_b32_e32 v58, 0x7f80
	s_and_saveexec_b64 s[18:19], vcc
	s_cbranch_execz .LBB930_435
; %bb.434:                              ;   in Loop: Header=BB930_215 Depth=1
	v_and_b32_e32 v46, 7, v42
	v_ffbh_u32_e32 v60, v46
	v_min_u32_e32 v62, 32, v60
	v_subrev_u32_e32 v60, 28, v62
	v_lshlrev_b64 v[60:61], v60, v[42:43]
	v_lshrrev_b32_e32 v58, 3, v44
	v_sub_u32_e32 v61, 29, v62
	v_and_b32_e32 v60, 7, v60
	v_cmp_gt_u32_e32 vcc, 8, v44
	v_cndmask_b32_e32 v44, v58, v61, vcc
	v_cndmask_b32_e32 v46, v46, v60, vcc
	v_lshlrev_b32_e32 v58, 24, v42
	v_lshlrev_b32_e32 v46, 20, v46
	v_and_b32_e32 v58, 0x80000000, v58
	v_lshl_add_u32 v44, v44, 23, v55
	v_or3_b32 v44, v58, v44, v46
	v_lshrrev_b32_e32 v58, 16, v44
.LBB930_435:                            ;   in Loop: Header=BB930_215 Depth=1
	s_or_b64 exec, exec, s[18:19]
.LBB930_436:                            ;   in Loop: Header=BB930_215 Depth=1
	s_or_b64 exec, exec, s[16:17]
.LBB930_437:                            ;   in Loop: Header=BB930_215 Depth=1
	s_or_b64 exec, exec, s[14:15]
	v_lshrrev_b16_e32 v44, 8, v42
	v_cmp_ne_u16_e32 vcc, 0, v44
	v_mov_b32_e32 v61, 0
	v_mov_b32_e32 v60, 0
	s_and_saveexec_b64 s[14:15], vcc
	s_cbranch_execz .LBB930_443
; %bb.438:                              ;   in Loop: Header=BB930_215 Depth=1
	v_cmp_ne_u16_e32 vcc, s9, v44
	v_mov_b32_e32 v60, 0xffff8000
	s_and_saveexec_b64 s[16:17], vcc
	s_cbranch_execz .LBB930_442
; %bb.439:                              ;   in Loop: Header=BB930_215 Depth=1
	v_and_b32_e32 v46, 0x7f, v44
	v_cmp_ne_u32_e32 vcc, s23, v46
	v_mov_b32_e32 v60, 0x7f80
	s_and_saveexec_b64 s[18:19], vcc
	s_cbranch_execz .LBB930_441
; %bb.440:                              ;   in Loop: Header=BB930_215 Depth=1
	v_and_b32_e32 v60, 7, v44
	v_ffbh_u32_e32 v62, v60
	v_min_u32_e32 v65, 32, v62
	v_subrev_u32_e32 v62, 28, v65
	v_lshlrev_b64 v[62:63], v62, v[44:45]
	v_lshrrev_b32_e32 v64, 3, v46
	v_sub_u32_e32 v44, 29, v65
	v_and_b32_e32 v62, 7, v62
	v_cmp_gt_u32_e32 vcc, 8, v46
	v_cndmask_b32_e32 v44, v64, v44, vcc
	v_cndmask_b32_e32 v46, v60, v62, vcc
	v_lshlrev_b32_e32 v60, 16, v42
	v_lshlrev_b32_e32 v46, 20, v46
	v_and_b32_e32 v60, 0x80000000, v60
	v_lshl_add_u32 v44, v44, 23, v55
	v_or3_b32 v44, v60, v44, v46
	v_lshrrev_b32_e32 v60, 16, v44
.LBB930_441:                            ;   in Loop: Header=BB930_215 Depth=1
	s_or_b64 exec, exec, s[18:19]
.LBB930_442:                            ;   in Loop: Header=BB930_215 Depth=1
	s_or_b64 exec, exec, s[16:17]
.LBB930_443:                            ;   in Loop: Header=BB930_215 Depth=1
	s_or_b64 exec, exec, s[14:15]
	v_lshrrev_b32_e32 v44, 16, v42
	v_cmp_ne_u16_sdwa s[16:17], v44, v54 src0_sel:BYTE_0 src1_sel:DWORD
	s_and_saveexec_b64 s[14:15], s[16:17]
	s_cbranch_execz .LBB930_449
; %bb.444:                              ;   in Loop: Header=BB930_215 Depth=1
	v_cmp_ne_u16_sdwa s[18:19], v44, s9 src0_sel:BYTE_0 src1_sel:DWORD
	v_mov_b32_e32 v61, 0xffff8000
	s_and_saveexec_b64 s[16:17], s[18:19]
	s_cbranch_execz .LBB930_448
; %bb.445:                              ;   in Loop: Header=BB930_215 Depth=1
	v_bfe_u32 v46, v42, 16, 7
	v_cmp_ne_u32_e32 vcc, s23, v46
	v_mov_b32_e32 v61, 0x7f80
	s_and_saveexec_b64 s[18:19], vcc
	s_cbranch_execz .LBB930_447
; %bb.446:                              ;   in Loop: Header=BB930_215 Depth=1
	v_and_b32_e32 v61, 7, v44
	v_ffbh_u32_e32 v62, v61
	v_min_u32_e32 v65, 32, v62
	v_subrev_u32_e32 v62, 28, v65
	v_lshlrev_b64 v[62:63], v62, v[44:45]
	v_lshrrev_b32_e32 v64, 3, v46
	v_sub_u32_e32 v63, 29, v65
	v_and_b32_e32 v62, 7, v62
	v_cmp_gt_u32_e32 vcc, 8, v46
	v_cndmask_b32_e32 v46, v64, v63, vcc
	v_cndmask_b32_e32 v61, v61, v62, vcc
	v_lshlrev_b32_e32 v44, 24, v44
	v_lshlrev_b32_e32 v61, 20, v61
	v_and_b32_e32 v44, 0x80000000, v44
	v_lshl_add_u32 v46, v46, 23, v55
	v_or3_b32 v44, v44, v46, v61
	v_lshrrev_b32_e32 v61, 16, v44
.LBB930_447:                            ;   in Loop: Header=BB930_215 Depth=1
	s_or_b64 exec, exec, s[18:19]
.LBB930_448:                            ;   in Loop: Header=BB930_215 Depth=1
	s_or_b64 exec, exec, s[16:17]
.LBB930_449:                            ;   in Loop: Header=BB930_215 Depth=1
	s_or_b64 exec, exec, s[14:15]
	v_cmp_lt_u32_e32 vcc, s24, v42
	v_mov_b32_e32 v46, 0
	v_mov_b32_e32 v62, 0
	s_and_saveexec_b64 s[14:15], vcc
	s_cbranch_execz .LBB930_455
; %bb.450:                              ;   in Loop: Header=BB930_215 Depth=1
	v_lshrrev_b32_e32 v44, 24, v42
	v_cmp_ne_u32_e32 vcc, s9, v44
	v_mov_b32_e32 v62, 0xffff8000
	s_and_saveexec_b64 s[16:17], vcc
	s_cbranch_execz .LBB930_454
; %bb.451:                              ;   in Loop: Header=BB930_215 Depth=1
	v_bfe_u32 v42, v42, 24, 7
	v_cmp_ne_u32_e32 vcc, s23, v42
	v_mov_b32_e32 v62, 0x7f80
	s_and_saveexec_b64 s[18:19], vcc
	s_cbranch_execz .LBB930_453
; %bb.452:                              ;   in Loop: Header=BB930_215 Depth=1
	v_and_b32_e32 v64, 7, v44
	v_ffbh_u32_e32 v62, v64
	v_min_u32_e32 v66, 32, v62
	v_subrev_u32_e32 v62, 28, v66
	v_lshlrev_b64 v[62:63], v62, v[44:45]
	v_lshrrev_b32_e32 v65, 3, v42
	v_sub_u32_e32 v63, 29, v66
	v_and_b32_e32 v62, 7, v62
	v_cmp_gt_u32_e32 vcc, 8, v42
	v_cndmask_b32_e32 v42, v65, v63, vcc
	v_cndmask_b32_e32 v62, v64, v62, vcc
	v_lshlrev_b32_e32 v44, 24, v44
	v_lshlrev_b32_e32 v62, 20, v62
	v_and_b32_e32 v44, 0x80000000, v44
	v_lshl_add_u32 v42, v42, 23, v55
	v_or3_b32 v42, v44, v42, v62
	v_lshrrev_b32_e32 v62, 16, v42
.LBB930_453:                            ;   in Loop: Header=BB930_215 Depth=1
	s_or_b64 exec, exec, s[18:19]
.LBB930_454:                            ;   in Loop: Header=BB930_215 Depth=1
	s_or_b64 exec, exec, s[16:17]
.LBB930_455:                            ;   in Loop: Header=BB930_215 Depth=1
	s_or_b64 exec, exec, s[14:15]
	v_perm_b32 v57, v59, v57, s25
	v_perm_b32 v56, v51, v56, s25
	s_waitcnt vmcnt(1)
	v_cmp_ne_u16_sdwa s[16:17], v40, v54 src0_sel:BYTE_0 src1_sel:DWORD
	v_mfma_f32_16x16x16bf16_1k v[34:37], v[56:57], v[18:19], v[34:37]
	v_perm_b32 v57, v62, v61, s25
	v_perm_b32 v56, v60, v58, s25
	s_nop 1
	v_mfma_f32_16x16x16bf16_1k v[34:37], v[56:57], v[20:21], v[34:37]
	s_and_saveexec_b64 s[14:15], s[16:17]
	s_cbranch_execz .LBB930_461
; %bb.456:                              ;   in Loop: Header=BB930_215 Depth=1
	v_cmp_ne_u16_sdwa s[18:19], v40, s9 src0_sel:BYTE_0 src1_sel:DWORD
	v_mov_b32_e32 v46, 0xffff8000
	s_and_saveexec_b64 s[16:17], s[18:19]
	s_cbranch_execz .LBB930_460
; %bb.457:                              ;   in Loop: Header=BB930_215 Depth=1
	v_and_b32_e32 v42, 0x7f, v40
	v_cmp_ne_u32_e32 vcc, s23, v42
	v_mov_b32_e32 v46, 0x7f80
	s_and_saveexec_b64 s[18:19], vcc
	s_cbranch_execz .LBB930_459
; %bb.458:                              ;   in Loop: Header=BB930_215 Depth=1
	v_and_b32_e32 v44, 7, v40
	v_ffbh_u32_e32 v51, v44
	v_min_u32_e32 v51, 32, v51
	v_subrev_u32_e32 v56, 28, v51
	v_lshlrev_b64 v[56:57], v56, v[40:41]
	v_lshrrev_b32_e32 v46, 3, v42
	v_sub_u32_e32 v51, 29, v51
	v_and_b32_e32 v56, 7, v56
	v_cmp_gt_u32_e32 vcc, 8, v42
	v_cndmask_b32_e32 v42, v46, v51, vcc
	v_cndmask_b32_e32 v44, v44, v56, vcc
	v_lshlrev_b32_e32 v46, 24, v40
	v_lshlrev_b32_e32 v44, 20, v44
	v_and_b32_e32 v46, 0x80000000, v46
	v_lshl_add_u32 v42, v42, 23, v55
	v_or3_b32 v42, v46, v42, v44
	v_lshrrev_b32_e32 v46, 16, v42
.LBB930_459:                            ;   in Loop: Header=BB930_215 Depth=1
	s_or_b64 exec, exec, s[18:19]
.LBB930_460:                            ;   in Loop: Header=BB930_215 Depth=1
	s_or_b64 exec, exec, s[16:17]
.LBB930_461:                            ;   in Loop: Header=BB930_215 Depth=1
	s_or_b64 exec, exec, s[14:15]
	v_lshrrev_b16_e32 v42, 8, v40
	v_cmp_ne_u16_e32 vcc, 0, v42
	v_mov_b32_e32 v56, 0
	v_mov_b32_e32 v44, 0
	s_and_saveexec_b64 s[14:15], vcc
	s_cbranch_execz .LBB930_467
; %bb.462:                              ;   in Loop: Header=BB930_215 Depth=1
	v_cmp_ne_u16_e32 vcc, s9, v42
	v_mov_b32_e32 v44, 0xffff8000
	s_and_saveexec_b64 s[16:17], vcc
	s_cbranch_execz .LBB930_466
; %bb.463:                              ;   in Loop: Header=BB930_215 Depth=1
	v_and_b32_e32 v51, 0x7f, v42
	v_cmp_ne_u32_e32 vcc, s23, v51
	v_mov_b32_e32 v44, 0x7f80
	s_and_saveexec_b64 s[18:19], vcc
	s_cbranch_execz .LBB930_465
; %bb.464:                              ;   in Loop: Header=BB930_215 Depth=1
	v_and_b32_e32 v44, 7, v42
	v_ffbh_u32_e32 v58, v44
	v_min_u32_e32 v60, 32, v58
	v_subrev_u32_e32 v58, 28, v60
	v_lshlrev_b64 v[58:59], v58, v[42:43]
	v_lshrrev_b32_e32 v57, 3, v51
	v_sub_u32_e32 v42, 29, v60
	v_and_b32_e32 v58, 7, v58
	v_cmp_gt_u32_e32 vcc, 8, v51
	v_cndmask_b32_e32 v42, v57, v42, vcc
	v_cndmask_b32_e32 v44, v44, v58, vcc
	v_lshlrev_b32_e32 v51, 16, v40
	v_lshlrev_b32_e32 v44, 20, v44
	v_and_b32_e32 v51, 0x80000000, v51
	v_lshl_add_u32 v42, v42, 23, v55
	v_or3_b32 v42, v51, v42, v44
	v_lshrrev_b32_e32 v44, 16, v42
.LBB930_465:                            ;   in Loop: Header=BB930_215 Depth=1
	s_or_b64 exec, exec, s[18:19]
.LBB930_466:                            ;   in Loop: Header=BB930_215 Depth=1
	s_or_b64 exec, exec, s[16:17]
.LBB930_467:                            ;   in Loop: Header=BB930_215 Depth=1
	s_or_b64 exec, exec, s[14:15]
	v_lshrrev_b32_e32 v42, 16, v40
	v_cmp_ne_u16_sdwa s[16:17], v42, v54 src0_sel:BYTE_0 src1_sel:DWORD
	s_and_saveexec_b64 s[14:15], s[16:17]
	s_cbranch_execz .LBB930_473
; %bb.468:                              ;   in Loop: Header=BB930_215 Depth=1
	v_cmp_ne_u16_sdwa s[18:19], v42, s9 src0_sel:BYTE_0 src1_sel:DWORD
	v_mov_b32_e32 v56, 0xffff8000
	s_and_saveexec_b64 s[16:17], s[18:19]
	s_cbranch_execz .LBB930_472
; %bb.469:                              ;   in Loop: Header=BB930_215 Depth=1
	v_bfe_u32 v51, v40, 16, 7
	v_cmp_ne_u32_e32 vcc, s23, v51
	v_mov_b32_e32 v56, 0x7f80
	s_and_saveexec_b64 s[18:19], vcc
	s_cbranch_execz .LBB930_471
; %bb.470:                              ;   in Loop: Header=BB930_215 Depth=1
	v_and_b32_e32 v58, 7, v42
	v_ffbh_u32_e32 v56, v58
	v_min_u32_e32 v60, 32, v56
	v_subrev_u32_e32 v56, 28, v60
	v_lshlrev_b64 v[56:57], v56, v[42:43]
	v_lshrrev_b32_e32 v59, 3, v51
	v_sub_u32_e32 v57, 29, v60
	v_and_b32_e32 v56, 7, v56
	v_cmp_gt_u32_e32 vcc, 8, v51
	v_cndmask_b32_e32 v51, v59, v57, vcc
	v_cndmask_b32_e32 v56, v58, v56, vcc
	v_lshlrev_b32_e32 v42, 24, v42
	v_lshlrev_b32_e32 v56, 20, v56
	v_and_b32_e32 v42, 0x80000000, v42
	v_lshl_add_u32 v51, v51, 23, v55
	v_or3_b32 v42, v42, v51, v56
	v_lshrrev_b32_e32 v56, 16, v42
.LBB930_471:                            ;   in Loop: Header=BB930_215 Depth=1
	s_or_b64 exec, exec, s[18:19]
.LBB930_472:                            ;   in Loop: Header=BB930_215 Depth=1
	s_or_b64 exec, exec, s[16:17]
.LBB930_473:                            ;   in Loop: Header=BB930_215 Depth=1
	s_or_b64 exec, exec, s[14:15]
	v_cmp_lt_u32_e32 vcc, s24, v40
	v_mov_b32_e32 v57, 0
	v_mov_b32_e32 v58, 0
	s_and_saveexec_b64 s[14:15], vcc
	s_cbranch_execz .LBB930_479
; %bb.474:                              ;   in Loop: Header=BB930_215 Depth=1
	v_lshrrev_b32_e32 v42, 24, v40
	v_cmp_ne_u32_e32 vcc, s9, v42
	v_mov_b32_e32 v58, 0xffff8000
	s_and_saveexec_b64 s[16:17], vcc
	s_cbranch_execz .LBB930_478
; %bb.475:                              ;   in Loop: Header=BB930_215 Depth=1
	v_bfe_u32 v40, v40, 24, 7
	v_cmp_ne_u32_e32 vcc, s23, v40
	v_mov_b32_e32 v58, 0x7f80
	s_and_saveexec_b64 s[18:19], vcc
	s_cbranch_execz .LBB930_477
; %bb.476:                              ;   in Loop: Header=BB930_215 Depth=1
	v_and_b32_e32 v51, 7, v42
	v_ffbh_u32_e32 v58, v51
	v_min_u32_e32 v61, 32, v58
	v_subrev_u32_e32 v58, 28, v61
	v_lshlrev_b64 v[58:59], v58, v[42:43]
	v_lshrrev_b32_e32 v60, 3, v40
	v_sub_u32_e32 v59, 29, v61
	v_and_b32_e32 v58, 7, v58
	v_cmp_gt_u32_e32 vcc, 8, v40
	v_cndmask_b32_e32 v40, v60, v59, vcc
	v_cndmask_b32_e32 v51, v51, v58, vcc
	v_lshlrev_b32_e32 v42, 24, v42
	v_lshlrev_b32_e32 v51, 20, v51
	v_and_b32_e32 v42, 0x80000000, v42
	v_lshl_add_u32 v40, v40, 23, v55
	v_or3_b32 v40, v42, v40, v51
	v_lshrrev_b32_e32 v58, 16, v40
.LBB930_477:                            ;   in Loop: Header=BB930_215 Depth=1
	s_or_b64 exec, exec, s[18:19]
.LBB930_478:                            ;   in Loop: Header=BB930_215 Depth=1
	s_or_b64 exec, exec, s[16:17]
.LBB930_479:                            ;   in Loop: Header=BB930_215 Depth=1
	s_or_b64 exec, exec, s[14:15]
	s_waitcnt vmcnt(0)
	v_cmp_ne_u16_sdwa s[16:17], v38, v54 src0_sel:BYTE_0 src1_sel:DWORD
	s_and_saveexec_b64 s[14:15], s[16:17]
	s_cbranch_execz .LBB930_485
; %bb.480:                              ;   in Loop: Header=BB930_215 Depth=1
	v_cmp_ne_u16_sdwa s[18:19], v38, s9 src0_sel:BYTE_0 src1_sel:DWORD
	v_mov_b32_e32 v57, 0xffff8000
	s_and_saveexec_b64 s[16:17], s[18:19]
	s_cbranch_execz .LBB930_484
; %bb.481:                              ;   in Loop: Header=BB930_215 Depth=1
	v_and_b32_e32 v40, 0x7f, v38
	v_cmp_ne_u32_e32 vcc, s23, v40
	v_mov_b32_e32 v57, 0x7f80
	s_and_saveexec_b64 s[18:19], vcc
	s_cbranch_execz .LBB930_483
; %bb.482:                              ;   in Loop: Header=BB930_215 Depth=1
	v_and_b32_e32 v42, 7, v38
	v_ffbh_u32_e32 v57, v42
	v_min_u32_e32 v57, 32, v57
	v_subrev_u32_e32 v59, 28, v57
	v_lshlrev_b64 v[60:61], v59, v[38:39]
	v_lshrrev_b32_e32 v51, 3, v40
	v_sub_u32_e32 v57, 29, v57
	v_and_b32_e32 v59, 7, v60
	v_cmp_gt_u32_e32 vcc, 8, v40
	v_cndmask_b32_e32 v40, v51, v57, vcc
	v_cndmask_b32_e32 v42, v42, v59, vcc
	v_lshlrev_b32_e32 v51, 24, v38
	v_lshlrev_b32_e32 v42, 20, v42
	v_and_b32_e32 v51, 0x80000000, v51
	v_lshl_add_u32 v40, v40, 23, v55
	v_or3_b32 v40, v51, v40, v42
	v_lshrrev_b32_e32 v57, 16, v40
.LBB930_483:                            ;   in Loop: Header=BB930_215 Depth=1
	s_or_b64 exec, exec, s[18:19]
.LBB930_484:                            ;   in Loop: Header=BB930_215 Depth=1
	s_or_b64 exec, exec, s[16:17]
.LBB930_485:                            ;   in Loop: Header=BB930_215 Depth=1
	s_or_b64 exec, exec, s[14:15]
	v_lshrrev_b16_e32 v40, 8, v38
	v_cmp_ne_u16_e32 vcc, 0, v40
	v_mov_b32_e32 v60, 0
	v_mov_b32_e32 v59, 0
	s_and_saveexec_b64 s[14:15], vcc
	s_cbranch_execz .LBB930_491
; %bb.486:                              ;   in Loop: Header=BB930_215 Depth=1
	v_cmp_ne_u16_e32 vcc, s9, v40
	v_mov_b32_e32 v59, 0xffff8000
	s_and_saveexec_b64 s[16:17], vcc
	s_cbranch_execz .LBB930_490
; %bb.487:                              ;   in Loop: Header=BB930_215 Depth=1
	v_and_b32_e32 v42, 0x7f, v40
	v_cmp_ne_u32_e32 vcc, s23, v42
	v_mov_b32_e32 v59, 0x7f80
	s_and_saveexec_b64 s[18:19], vcc
	s_cbranch_execz .LBB930_489
; %bb.488:                              ;   in Loop: Header=BB930_215 Depth=1
	v_and_b32_e32 v51, 7, v40
	v_ffbh_u32_e32 v61, v51
	v_min_u32_e32 v61, 32, v61
	v_subrev_u32_e32 v62, 28, v61
	v_lshlrev_b64 v[62:63], v62, v[40:41]
	v_lshrrev_b32_e32 v59, 3, v42
	v_sub_u32_e32 v40, 29, v61
	v_and_b32_e32 v61, 7, v62
	v_cmp_gt_u32_e32 vcc, 8, v42
	v_cndmask_b32_e32 v40, v59, v40, vcc
	v_cndmask_b32_e32 v42, v51, v61, vcc
	v_lshlrev_b32_e32 v51, 16, v38
	v_lshlrev_b32_e32 v42, 20, v42
	v_and_b32_e32 v51, 0x80000000, v51
	v_lshl_add_u32 v40, v40, 23, v55
	v_or3_b32 v40, v51, v40, v42
	v_lshrrev_b32_e32 v59, 16, v40
.LBB930_489:                            ;   in Loop: Header=BB930_215 Depth=1
	s_or_b64 exec, exec, s[18:19]
.LBB930_490:                            ;   in Loop: Header=BB930_215 Depth=1
	s_or_b64 exec, exec, s[16:17]
.LBB930_491:                            ;   in Loop: Header=BB930_215 Depth=1
	s_or_b64 exec, exec, s[14:15]
	v_lshrrev_b32_e32 v40, 16, v38
	v_cmp_ne_u16_sdwa s[16:17], v40, v54 src0_sel:BYTE_0 src1_sel:DWORD
	s_and_saveexec_b64 s[14:15], s[16:17]
	s_cbranch_execz .LBB930_497
; %bb.492:                              ;   in Loop: Header=BB930_215 Depth=1
	v_cmp_ne_u16_sdwa s[18:19], v40, s9 src0_sel:BYTE_0 src1_sel:DWORD
	v_mov_b32_e32 v60, 0xffff8000
	s_and_saveexec_b64 s[16:17], s[18:19]
	s_cbranch_execz .LBB930_496
; %bb.493:                              ;   in Loop: Header=BB930_215 Depth=1
	v_bfe_u32 v42, v38, 16, 7
	v_cmp_ne_u32_e32 vcc, s23, v42
	v_mov_b32_e32 v60, 0x7f80
	s_and_saveexec_b64 s[18:19], vcc
	s_cbranch_execz .LBB930_495
; %bb.494:                              ;   in Loop: Header=BB930_215 Depth=1
	v_and_b32_e32 v51, 7, v40
	v_ffbh_u32_e32 v60, v51
	v_min_u32_e32 v63, 32, v60
	v_subrev_u32_e32 v60, 28, v63
	v_lshlrev_b64 v[60:61], v60, v[40:41]
	v_lshrrev_b32_e32 v62, 3, v42
	v_sub_u32_e32 v61, 29, v63
	v_and_b32_e32 v60, 7, v60
	v_cmp_gt_u32_e32 vcc, 8, v42
	v_cndmask_b32_e32 v42, v62, v61, vcc
	v_cndmask_b32_e32 v51, v51, v60, vcc
	v_lshlrev_b32_e32 v40, 24, v40
	v_lshlrev_b32_e32 v51, 20, v51
	v_and_b32_e32 v40, 0x80000000, v40
	v_lshl_add_u32 v42, v42, 23, v55
	v_or3_b32 v40, v40, v42, v51
	v_lshrrev_b32_e32 v60, 16, v40
.LBB930_495:                            ;   in Loop: Header=BB930_215 Depth=1
	s_or_b64 exec, exec, s[18:19]
.LBB930_496:                            ;   in Loop: Header=BB930_215 Depth=1
	s_or_b64 exec, exec, s[16:17]
.LBB930_497:                            ;   in Loop: Header=BB930_215 Depth=1
	s_or_b64 exec, exec, s[14:15]
	v_cmp_lt_u32_e32 vcc, s24, v38
	v_mov_b32_e32 v51, 0
	v_mov_b32_e32 v61, 0
	s_and_saveexec_b64 s[14:15], vcc
	s_cbranch_execz .LBB930_503
; %bb.498:                              ;   in Loop: Header=BB930_215 Depth=1
	v_lshrrev_b32_e32 v40, 24, v38
	v_cmp_ne_u32_e32 vcc, s9, v40
	v_mov_b32_e32 v61, 0xffff8000
	s_and_saveexec_b64 s[16:17], vcc
	s_cbranch_execz .LBB930_502
; %bb.499:                              ;   in Loop: Header=BB930_215 Depth=1
	v_bfe_u32 v38, v38, 24, 7
	v_cmp_ne_u32_e32 vcc, s23, v38
	v_mov_b32_e32 v61, 0x7f80
	s_and_saveexec_b64 s[18:19], vcc
	s_cbranch_execz .LBB930_501
; %bb.500:                              ;   in Loop: Header=BB930_215 Depth=1
	v_and_b32_e32 v42, 7, v40
	v_ffbh_u32_e32 v62, v42
	v_min_u32_e32 v64, 32, v62
	v_subrev_u32_e32 v62, 28, v64
	v_lshlrev_b64 v[62:63], v62, v[40:41]
	v_lshrrev_b32_e32 v61, 3, v38
	v_sub_u32_e32 v63, 29, v64
	v_and_b32_e32 v62, 7, v62
	v_cmp_gt_u32_e32 vcc, 8, v38
	v_cndmask_b32_e32 v38, v61, v63, vcc
	v_cndmask_b32_e32 v42, v42, v62, vcc
	v_lshlrev_b32_e32 v40, 24, v40
	v_lshlrev_b32_e32 v42, 20, v42
	v_and_b32_e32 v40, 0x80000000, v40
	v_lshl_add_u32 v38, v38, 23, v55
	v_or3_b32 v38, v40, v38, v42
	v_lshrrev_b32_e32 v61, 16, v38
.LBB930_501:                            ;   in Loop: Header=BB930_215 Depth=1
	s_or_b64 exec, exec, s[18:19]
.LBB930_502:                            ;   in Loop: Header=BB930_215 Depth=1
	s_or_b64 exec, exec, s[16:17]
.LBB930_503:                            ;   in Loop: Header=BB930_215 Depth=1
	s_or_b64 exec, exec, s[14:15]
	v_perm_b32 v62, v44, v46, s25
	buffer_load_dword v44, v50, s[0:3], 0 offen
	buffer_load_dword v42, v50, s[0:3], 0 offen offset:4
	buffer_load_dword v40, v50, s[0:3], 0 offen offset:8
	;; [unrolled: 1-line block ×3, first 2 shown]
	v_perm_b32 v63, v58, v56, s25
	v_perm_b32 v61, v61, v60, s25
	;; [unrolled: 1-line block ×3, first 2 shown]
	v_mfma_f32_16x16x16bf16_1k v[34:37], v[62:63], v[22:23], v[34:37]
	s_waitcnt vmcnt(3)
	v_cmp_ne_u16_sdwa s[16:17], v44, v54 src0_sel:BYTE_0 src1_sel:DWORD
	v_mfma_f32_16x16x16bf16_1k v[34:37], v[60:61], v[24:25], v[34:37]
	s_and_saveexec_b64 s[14:15], s[16:17]
	s_cbranch_execz .LBB930_509
; %bb.504:                              ;   in Loop: Header=BB930_215 Depth=1
	v_cmp_ne_u16_sdwa s[18:19], v44, s9 src0_sel:BYTE_0 src1_sel:DWORD
	v_mov_b32_e32 v51, 0xffff8000
	s_and_saveexec_b64 s[16:17], s[18:19]
	s_cbranch_execz .LBB930_508
; %bb.505:                              ;   in Loop: Header=BB930_215 Depth=1
	v_and_b32_e32 v46, 0x7f, v44
	v_cmp_ne_u32_e32 vcc, s23, v46
	v_mov_b32_e32 v51, 0x7f80
	s_and_saveexec_b64 s[18:19], vcc
	s_cbranch_execz .LBB930_507
; %bb.506:                              ;   in Loop: Header=BB930_215 Depth=1
	v_and_b32_e32 v56, 7, v44
	v_ffbh_u32_e32 v50, v56
	v_min_u32_e32 v58, 32, v50
	v_subrev_u32_e32 v50, 28, v58
	v_lshlrev_b64 v[50:51], v50, v[44:45]
	v_lshrrev_b32_e32 v57, 3, v46
	v_sub_u32_e32 v51, 29, v58
	v_and_b32_e32 v50, 7, v50
	v_cmp_gt_u32_e32 vcc, 8, v46
	v_cndmask_b32_e32 v46, v57, v51, vcc
	v_cndmask_b32_e32 v50, v56, v50, vcc
	v_lshlrev_b32_e32 v51, 24, v44
	v_lshlrev_b32_e32 v50, 20, v50
	v_and_b32_e32 v51, 0x80000000, v51
	v_lshl_add_u32 v46, v46, 23, v55
	v_or3_b32 v46, v51, v46, v50
	v_lshrrev_b32_e32 v51, 16, v46
.LBB930_507:                            ;   in Loop: Header=BB930_215 Depth=1
	s_or_b64 exec, exec, s[18:19]
.LBB930_508:                            ;   in Loop: Header=BB930_215 Depth=1
	s_or_b64 exec, exec, s[16:17]
.LBB930_509:                            ;   in Loop: Header=BB930_215 Depth=1
	s_or_b64 exec, exec, s[14:15]
	v_lshrrev_b16_e32 v46, 8, v44
	v_cmp_ne_u16_e32 vcc, 0, v46
	v_mov_b32_e32 v56, 0
	v_mov_b32_e32 v50, 0
	s_and_saveexec_b64 s[14:15], vcc
	s_cbranch_execz .LBB930_515
; %bb.510:                              ;   in Loop: Header=BB930_215 Depth=1
	v_cmp_ne_u16_e32 vcc, s9, v46
	v_mov_b32_e32 v50, 0xffff8000
	s_and_saveexec_b64 s[16:17], vcc
	s_cbranch_execz .LBB930_514
; %bb.511:                              ;   in Loop: Header=BB930_215 Depth=1
	v_and_b32_e32 v57, 0x7f, v46
	v_cmp_ne_u32_e32 vcc, s23, v57
	v_mov_b32_e32 v50, 0x7f80
	s_and_saveexec_b64 s[18:19], vcc
	s_cbranch_execz .LBB930_513
; %bb.512:                              ;   in Loop: Header=BB930_215 Depth=1
	v_and_b32_e32 v50, 7, v46
	v_ffbh_u32_e32 v58, v50
	v_min_u32_e32 v61, 32, v58
	v_subrev_u32_e32 v58, 28, v61
	v_lshlrev_b64 v[58:59], v58, v[46:47]
	v_lshrrev_b32_e32 v60, 3, v57
	v_sub_u32_e32 v46, 29, v61
	v_and_b32_e32 v58, 7, v58
	v_cmp_gt_u32_e32 vcc, 8, v57
	v_cndmask_b32_e32 v46, v60, v46, vcc
	v_cndmask_b32_e32 v50, v50, v58, vcc
	v_lshlrev_b32_e32 v57, 16, v44
	v_lshlrev_b32_e32 v50, 20, v50
	v_and_b32_e32 v57, 0x80000000, v57
	v_lshl_add_u32 v46, v46, 23, v55
	v_or3_b32 v46, v57, v46, v50
	v_lshrrev_b32_e32 v50, 16, v46
.LBB930_513:                            ;   in Loop: Header=BB930_215 Depth=1
	s_or_b64 exec, exec, s[18:19]
.LBB930_514:                            ;   in Loop: Header=BB930_215 Depth=1
	s_or_b64 exec, exec, s[16:17]
.LBB930_515:                            ;   in Loop: Header=BB930_215 Depth=1
	s_or_b64 exec, exec, s[14:15]
	v_lshrrev_b32_e32 v46, 16, v44
	v_cmp_ne_u16_sdwa s[16:17], v46, v54 src0_sel:BYTE_0 src1_sel:DWORD
	s_and_saveexec_b64 s[14:15], s[16:17]
	s_cbranch_execz .LBB930_521
; %bb.516:                              ;   in Loop: Header=BB930_215 Depth=1
	v_cmp_ne_u16_sdwa s[18:19], v46, s9 src0_sel:BYTE_0 src1_sel:DWORD
	v_mov_b32_e32 v56, 0xffff8000
	s_and_saveexec_b64 s[16:17], s[18:19]
	s_cbranch_execz .LBB930_520
; %bb.517:                              ;   in Loop: Header=BB930_215 Depth=1
	v_bfe_u32 v57, v44, 16, 7
	v_cmp_ne_u32_e32 vcc, s23, v57
	v_mov_b32_e32 v56, 0x7f80
	s_and_saveexec_b64 s[18:19], vcc
	s_cbranch_execz .LBB930_519
; %bb.518:                              ;   in Loop: Header=BB930_215 Depth=1
	v_and_b32_e32 v56, 7, v46
	v_ffbh_u32_e32 v58, v56
	v_min_u32_e32 v61, 32, v58
	v_subrev_u32_e32 v58, 28, v61
	v_lshlrev_b64 v[58:59], v58, v[46:47]
	v_lshrrev_b32_e32 v60, 3, v57
	v_sub_u32_e32 v59, 29, v61
	v_and_b32_e32 v58, 7, v58
	v_cmp_gt_u32_e32 vcc, 8, v57
	v_cndmask_b32_e32 v57, v60, v59, vcc
	v_cndmask_b32_e32 v56, v56, v58, vcc
	v_lshlrev_b32_e32 v46, 24, v46
	v_lshlrev_b32_e32 v56, 20, v56
	v_and_b32_e32 v46, 0x80000000, v46
	v_lshl_add_u32 v57, v57, 23, v55
	v_or3_b32 v46, v46, v57, v56
	v_lshrrev_b32_e32 v56, 16, v46
.LBB930_519:                            ;   in Loop: Header=BB930_215 Depth=1
	s_or_b64 exec, exec, s[18:19]
.LBB930_520:                            ;   in Loop: Header=BB930_215 Depth=1
	s_or_b64 exec, exec, s[16:17]
.LBB930_521:                            ;   in Loop: Header=BB930_215 Depth=1
	s_or_b64 exec, exec, s[14:15]
	v_cmp_lt_u32_e32 vcc, s24, v44
	v_mov_b32_e32 v57, 0
	v_mov_b32_e32 v58, 0
	s_and_saveexec_b64 s[14:15], vcc
	s_cbranch_execz .LBB930_527
; %bb.522:                              ;   in Loop: Header=BB930_215 Depth=1
	v_lshrrev_b32_e32 v46, 24, v44
	v_cmp_ne_u32_e32 vcc, s9, v46
	v_mov_b32_e32 v58, 0xffff8000
	s_and_saveexec_b64 s[16:17], vcc
	s_cbranch_execz .LBB930_526
; %bb.523:                              ;   in Loop: Header=BB930_215 Depth=1
	v_bfe_u32 v44, v44, 24, 7
	v_cmp_ne_u32_e32 vcc, s23, v44
	v_mov_b32_e32 v58, 0x7f80
	s_and_saveexec_b64 s[18:19], vcc
	s_cbranch_execz .LBB930_525
; %bb.524:                              ;   in Loop: Header=BB930_215 Depth=1
	v_and_b32_e32 v60, 7, v46
	v_ffbh_u32_e32 v58, v60
	v_min_u32_e32 v62, 32, v58
	v_subrev_u32_e32 v58, 28, v62
	v_lshlrev_b64 v[58:59], v58, v[46:47]
	v_lshrrev_b32_e32 v61, 3, v44
	v_sub_u32_e32 v59, 29, v62
	v_and_b32_e32 v58, 7, v58
	v_cmp_gt_u32_e32 vcc, 8, v44
	v_cndmask_b32_e32 v44, v61, v59, vcc
	v_cndmask_b32_e32 v58, v60, v58, vcc
	v_lshlrev_b32_e32 v46, 24, v46
	v_lshlrev_b32_e32 v58, 20, v58
	v_and_b32_e32 v46, 0x80000000, v46
	v_lshl_add_u32 v44, v44, 23, v55
	v_or3_b32 v44, v46, v44, v58
	v_lshrrev_b32_e32 v58, 16, v44
.LBB930_525:                            ;   in Loop: Header=BB930_215 Depth=1
	s_or_b64 exec, exec, s[18:19]
.LBB930_526:                            ;   in Loop: Header=BB930_215 Depth=1
	s_or_b64 exec, exec, s[16:17]
.LBB930_527:                            ;   in Loop: Header=BB930_215 Depth=1
	s_or_b64 exec, exec, s[14:15]
	s_waitcnt vmcnt(2)
	v_cmp_ne_u16_sdwa s[16:17], v42, v54 src0_sel:BYTE_0 src1_sel:DWORD
	s_and_saveexec_b64 s[14:15], s[16:17]
	s_cbranch_execz .LBB930_533
; %bb.528:                              ;   in Loop: Header=BB930_215 Depth=1
	v_cmp_ne_u16_sdwa s[18:19], v42, s9 src0_sel:BYTE_0 src1_sel:DWORD
	v_mov_b32_e32 v57, 0xffff8000
	s_and_saveexec_b64 s[16:17], s[18:19]
	s_cbranch_execz .LBB930_532
; %bb.529:                              ;   in Loop: Header=BB930_215 Depth=1
	v_and_b32_e32 v44, 0x7f, v42
	v_cmp_ne_u32_e32 vcc, s23, v44
	v_mov_b32_e32 v57, 0x7f80
	s_and_saveexec_b64 s[18:19], vcc
	s_cbranch_execz .LBB930_531
; %bb.530:                              ;   in Loop: Header=BB930_215 Depth=1
	v_and_b32_e32 v46, 7, v42
	v_ffbh_u32_e32 v59, v46
	v_min_u32_e32 v59, 32, v59
	v_subrev_u32_e32 v60, 28, v59
	v_lshlrev_b64 v[60:61], v60, v[42:43]
	v_lshrrev_b32_e32 v57, 3, v44
	v_sub_u32_e32 v59, 29, v59
	v_and_b32_e32 v60, 7, v60
	v_cmp_gt_u32_e32 vcc, 8, v44
	v_cndmask_b32_e32 v44, v57, v59, vcc
	v_cndmask_b32_e32 v46, v46, v60, vcc
	v_lshlrev_b32_e32 v57, 24, v42
	v_lshlrev_b32_e32 v46, 20, v46
	v_and_b32_e32 v57, 0x80000000, v57
	v_lshl_add_u32 v44, v44, 23, v55
	v_or3_b32 v44, v57, v44, v46
	v_lshrrev_b32_e32 v57, 16, v44
.LBB930_531:                            ;   in Loop: Header=BB930_215 Depth=1
	s_or_b64 exec, exec, s[18:19]
.LBB930_532:                            ;   in Loop: Header=BB930_215 Depth=1
	s_or_b64 exec, exec, s[16:17]
.LBB930_533:                            ;   in Loop: Header=BB930_215 Depth=1
	s_or_b64 exec, exec, s[14:15]
	v_lshrrev_b16_e32 v44, 8, v42
	v_cmp_ne_u16_e32 vcc, 0, v44
	v_mov_b32_e32 v60, 0
	v_mov_b32_e32 v59, 0
	s_and_saveexec_b64 s[14:15], vcc
	s_cbranch_execz .LBB930_539
; %bb.534:                              ;   in Loop: Header=BB930_215 Depth=1
	v_cmp_ne_u16_e32 vcc, s9, v44
	v_mov_b32_e32 v59, 0xffff8000
	s_and_saveexec_b64 s[16:17], vcc
	s_cbranch_execz .LBB930_538
; %bb.535:                              ;   in Loop: Header=BB930_215 Depth=1
	v_and_b32_e32 v46, 0x7f, v44
	v_cmp_ne_u32_e32 vcc, s23, v46
	v_mov_b32_e32 v59, 0x7f80
	s_and_saveexec_b64 s[18:19], vcc
	s_cbranch_execz .LBB930_537
; %bb.536:                              ;   in Loop: Header=BB930_215 Depth=1
	v_and_b32_e32 v59, 7, v44
	v_ffbh_u32_e32 v62, v59
	v_min_u32_e32 v64, 32, v62
	v_subrev_u32_e32 v62, 28, v64
	v_lshlrev_b64 v[62:63], v62, v[44:45]
	v_lshrrev_b32_e32 v61, 3, v46
	v_sub_u32_e32 v44, 29, v64
	v_and_b32_e32 v62, 7, v62
	v_cmp_gt_u32_e32 vcc, 8, v46
	v_cndmask_b32_e32 v44, v61, v44, vcc
	v_cndmask_b32_e32 v46, v59, v62, vcc
	v_lshlrev_b32_e32 v59, 16, v42
	v_lshlrev_b32_e32 v46, 20, v46
	v_and_b32_e32 v59, 0x80000000, v59
	v_lshl_add_u32 v44, v44, 23, v55
	v_or3_b32 v44, v59, v44, v46
	v_lshrrev_b32_e32 v59, 16, v44
.LBB930_537:                            ;   in Loop: Header=BB930_215 Depth=1
	s_or_b64 exec, exec, s[18:19]
.LBB930_538:                            ;   in Loop: Header=BB930_215 Depth=1
	s_or_b64 exec, exec, s[16:17]
.LBB930_539:                            ;   in Loop: Header=BB930_215 Depth=1
	s_or_b64 exec, exec, s[14:15]
	v_lshrrev_b32_e32 v44, 16, v42
	v_cmp_ne_u16_sdwa s[16:17], v44, v54 src0_sel:BYTE_0 src1_sel:DWORD
	s_and_saveexec_b64 s[14:15], s[16:17]
	s_cbranch_execz .LBB930_545
; %bb.540:                              ;   in Loop: Header=BB930_215 Depth=1
	v_cmp_ne_u16_sdwa s[18:19], v44, s9 src0_sel:BYTE_0 src1_sel:DWORD
	v_mov_b32_e32 v60, 0xffff8000
	s_and_saveexec_b64 s[16:17], s[18:19]
	s_cbranch_execz .LBB930_544
; %bb.541:                              ;   in Loop: Header=BB930_215 Depth=1
	v_bfe_u32 v46, v42, 16, 7
	v_cmp_ne_u32_e32 vcc, s23, v46
	v_mov_b32_e32 v60, 0x7f80
	s_and_saveexec_b64 s[18:19], vcc
	s_cbranch_execz .LBB930_543
; %bb.542:                              ;   in Loop: Header=BB930_215 Depth=1
	v_and_b32_e32 v62, 7, v44
	v_ffbh_u32_e32 v60, v62
	v_min_u32_e32 v64, 32, v60
	v_subrev_u32_e32 v60, 28, v64
	v_lshlrev_b64 v[60:61], v60, v[44:45]
	v_lshrrev_b32_e32 v63, 3, v46
	v_sub_u32_e32 v61, 29, v64
	v_and_b32_e32 v60, 7, v60
	v_cmp_gt_u32_e32 vcc, 8, v46
	v_cndmask_b32_e32 v46, v63, v61, vcc
	v_cndmask_b32_e32 v60, v62, v60, vcc
	v_lshlrev_b32_e32 v44, 24, v44
	v_lshlrev_b32_e32 v60, 20, v60
	v_and_b32_e32 v44, 0x80000000, v44
	v_lshl_add_u32 v46, v46, 23, v55
	v_or3_b32 v44, v44, v46, v60
	v_lshrrev_b32_e32 v60, 16, v44
.LBB930_543:                            ;   in Loop: Header=BB930_215 Depth=1
	s_or_b64 exec, exec, s[18:19]
.LBB930_544:                            ;   in Loop: Header=BB930_215 Depth=1
	s_or_b64 exec, exec, s[16:17]
.LBB930_545:                            ;   in Loop: Header=BB930_215 Depth=1
	s_or_b64 exec, exec, s[14:15]
	v_cmp_lt_u32_e32 vcc, s24, v42
	v_mov_b32_e32 v46, 0
	v_mov_b32_e32 v61, 0
	s_and_saveexec_b64 s[14:15], vcc
	s_cbranch_execz .LBB930_551
; %bb.546:                              ;   in Loop: Header=BB930_215 Depth=1
	v_lshrrev_b32_e32 v44, 24, v42
	v_cmp_ne_u32_e32 vcc, s9, v44
	v_mov_b32_e32 v61, 0xffff8000
	s_and_saveexec_b64 s[16:17], vcc
	s_cbranch_execz .LBB930_550
; %bb.547:                              ;   in Loop: Header=BB930_215 Depth=1
	v_bfe_u32 v42, v42, 24, 7
	v_cmp_ne_u32_e32 vcc, s23, v42
	v_mov_b32_e32 v61, 0x7f80
	s_and_saveexec_b64 s[18:19], vcc
	s_cbranch_execz .LBB930_549
; %bb.548:                              ;   in Loop: Header=BB930_215 Depth=1
	v_and_b32_e32 v61, 7, v44
	v_ffbh_u32_e32 v62, v61
	v_min_u32_e32 v65, 32, v62
	v_subrev_u32_e32 v62, 28, v65
	v_lshlrev_b64 v[62:63], v62, v[44:45]
	v_lshrrev_b32_e32 v64, 3, v42
	v_sub_u32_e32 v63, 29, v65
	v_and_b32_e32 v62, 7, v62
	v_cmp_gt_u32_e32 vcc, 8, v42
	v_cndmask_b32_e32 v42, v64, v63, vcc
	v_cndmask_b32_e32 v61, v61, v62, vcc
	v_lshlrev_b32_e32 v44, 24, v44
	v_lshlrev_b32_e32 v61, 20, v61
	v_and_b32_e32 v44, 0x80000000, v44
	v_lshl_add_u32 v42, v42, 23, v55
	v_or3_b32 v42, v44, v42, v61
	v_lshrrev_b32_e32 v61, 16, v42
.LBB930_549:                            ;   in Loop: Header=BB930_215 Depth=1
	s_or_b64 exec, exec, s[18:19]
.LBB930_550:                            ;   in Loop: Header=BB930_215 Depth=1
	s_or_b64 exec, exec, s[16:17]
.LBB930_551:                            ;   in Loop: Header=BB930_215 Depth=1
	s_or_b64 exec, exec, s[14:15]
	v_perm_b32 v63, v58, v56, s25
	v_perm_b32 v62, v50, v51, s25
	v_perm_b32 v51, v61, v60, s25
	v_perm_b32 v50, v59, v57, s25
	s_waitcnt vmcnt(1)
	v_cmp_ne_u16_sdwa s[16:17], v40, v54 src0_sel:BYTE_0 src1_sel:DWORD
	v_mfma_f32_16x16x16bf16_1k v[34:37], v[62:63], v[26:27], v[34:37]
	v_mfma_f32_16x16x16bf16_1k v[34:37], v[50:51], v[28:29], v[34:37]
	s_and_saveexec_b64 s[14:15], s[16:17]
	s_cbranch_execz .LBB930_557
; %bb.552:                              ;   in Loop: Header=BB930_215 Depth=1
	v_cmp_ne_u16_sdwa s[18:19], v40, s9 src0_sel:BYTE_0 src1_sel:DWORD
	v_mov_b32_e32 v46, 0xffff8000
	s_and_saveexec_b64 s[16:17], s[18:19]
	s_cbranch_execz .LBB930_556
; %bb.553:                              ;   in Loop: Header=BB930_215 Depth=1
	v_and_b32_e32 v42, 0x7f, v40
	v_cmp_ne_u32_e32 vcc, s23, v42
	v_mov_b32_e32 v46, 0x7f80
	s_and_saveexec_b64 s[18:19], vcc
	s_cbranch_execz .LBB930_555
; %bb.554:                              ;   in Loop: Header=BB930_215 Depth=1
	v_and_b32_e32 v44, 7, v40
	v_ffbh_u32_e32 v50, v44
	v_min_u32_e32 v56, 32, v50
	v_subrev_u32_e32 v50, 28, v56
	v_lshlrev_b64 v[50:51], v50, v[40:41]
	v_lshrrev_b32_e32 v46, 3, v42
	v_sub_u32_e32 v51, 29, v56
	v_and_b32_e32 v50, 7, v50
	v_cmp_gt_u32_e32 vcc, 8, v42
	v_cndmask_b32_e32 v42, v46, v51, vcc
	v_cndmask_b32_e32 v44, v44, v50, vcc
	v_lshlrev_b32_e32 v46, 24, v40
	v_lshlrev_b32_e32 v44, 20, v44
	v_and_b32_e32 v46, 0x80000000, v46
	v_lshl_add_u32 v42, v42, 23, v55
	v_or3_b32 v42, v46, v42, v44
	v_lshrrev_b32_e32 v46, 16, v42
.LBB930_555:                            ;   in Loop: Header=BB930_215 Depth=1
	s_or_b64 exec, exec, s[18:19]
.LBB930_556:                            ;   in Loop: Header=BB930_215 Depth=1
	s_or_b64 exec, exec, s[16:17]
.LBB930_557:                            ;   in Loop: Header=BB930_215 Depth=1
	s_or_b64 exec, exec, s[14:15]
	v_lshrrev_b16_e32 v42, 8, v40
	v_cmp_ne_u16_e32 vcc, 0, v42
	v_mov_b32_e32 v50, 0
	v_mov_b32_e32 v44, 0
	s_and_saveexec_b64 s[14:15], vcc
	s_cbranch_execz .LBB930_563
; %bb.558:                              ;   in Loop: Header=BB930_215 Depth=1
	v_cmp_ne_u16_e32 vcc, s9, v42
	v_mov_b32_e32 v44, 0xffff8000
	s_and_saveexec_b64 s[16:17], vcc
	s_cbranch_execz .LBB930_562
; %bb.559:                              ;   in Loop: Header=BB930_215 Depth=1
	v_and_b32_e32 v51, 0x7f, v42
	v_cmp_ne_u32_e32 vcc, s23, v51
	v_mov_b32_e32 v44, 0x7f80
	s_and_saveexec_b64 s[18:19], vcc
	s_cbranch_execz .LBB930_561
; %bb.560:                              ;   in Loop: Header=BB930_215 Depth=1
	v_and_b32_e32 v44, 7, v42
	v_ffbh_u32_e32 v56, v44
	v_min_u32_e32 v59, 32, v56
	v_subrev_u32_e32 v56, 28, v59
	v_lshlrev_b64 v[56:57], v56, v[42:43]
	v_lshrrev_b32_e32 v58, 3, v51
	v_sub_u32_e32 v42, 29, v59
	v_and_b32_e32 v56, 7, v56
	v_cmp_gt_u32_e32 vcc, 8, v51
	v_cndmask_b32_e32 v42, v58, v42, vcc
	v_cndmask_b32_e32 v44, v44, v56, vcc
	v_lshlrev_b32_e32 v51, 16, v40
	v_lshlrev_b32_e32 v44, 20, v44
	v_and_b32_e32 v51, 0x80000000, v51
	v_lshl_add_u32 v42, v42, 23, v55
	v_or3_b32 v42, v51, v42, v44
	v_lshrrev_b32_e32 v44, 16, v42
.LBB930_561:                            ;   in Loop: Header=BB930_215 Depth=1
	s_or_b64 exec, exec, s[18:19]
.LBB930_562:                            ;   in Loop: Header=BB930_215 Depth=1
	s_or_b64 exec, exec, s[16:17]
.LBB930_563:                            ;   in Loop: Header=BB930_215 Depth=1
	s_or_b64 exec, exec, s[14:15]
	v_lshrrev_b32_e32 v42, 16, v40
	v_cmp_ne_u16_sdwa s[16:17], v42, v54 src0_sel:BYTE_0 src1_sel:DWORD
	s_and_saveexec_b64 s[14:15], s[16:17]
	s_cbranch_execz .LBB930_569
; %bb.564:                              ;   in Loop: Header=BB930_215 Depth=1
	v_cmp_ne_u16_sdwa s[18:19], v42, s9 src0_sel:BYTE_0 src1_sel:DWORD
	v_mov_b32_e32 v50, 0xffff8000
	s_and_saveexec_b64 s[16:17], s[18:19]
	s_cbranch_execz .LBB930_568
; %bb.565:                              ;   in Loop: Header=BB930_215 Depth=1
	v_bfe_u32 v51, v40, 16, 7
	v_cmp_ne_u32_e32 vcc, s23, v51
	v_mov_b32_e32 v50, 0x7f80
	s_and_saveexec_b64 s[18:19], vcc
	s_cbranch_execz .LBB930_567
; %bb.566:                              ;   in Loop: Header=BB930_215 Depth=1
	v_and_b32_e32 v50, 7, v42
	v_ffbh_u32_e32 v56, v50
	v_min_u32_e32 v59, 32, v56
	v_subrev_u32_e32 v56, 28, v59
	v_lshlrev_b64 v[56:57], v56, v[42:43]
	v_lshrrev_b32_e32 v58, 3, v51
	v_sub_u32_e32 v57, 29, v59
	v_and_b32_e32 v56, 7, v56
	v_cmp_gt_u32_e32 vcc, 8, v51
	v_cndmask_b32_e32 v51, v58, v57, vcc
	v_cndmask_b32_e32 v50, v50, v56, vcc
	v_lshlrev_b32_e32 v42, 24, v42
	v_lshlrev_b32_e32 v50, 20, v50
	v_and_b32_e32 v42, 0x80000000, v42
	v_lshl_add_u32 v51, v51, 23, v55
	v_or3_b32 v42, v42, v51, v50
	v_lshrrev_b32_e32 v50, 16, v42
.LBB930_567:                            ;   in Loop: Header=BB930_215 Depth=1
	s_or_b64 exec, exec, s[18:19]
.LBB930_568:                            ;   in Loop: Header=BB930_215 Depth=1
	s_or_b64 exec, exec, s[16:17]
.LBB930_569:                            ;   in Loop: Header=BB930_215 Depth=1
	s_or_b64 exec, exec, s[14:15]
	v_cmp_lt_u32_e32 vcc, s24, v40
	v_mov_b32_e32 v51, 0
	v_mov_b32_e32 v56, 0
	s_and_saveexec_b64 s[14:15], vcc
	s_cbranch_execz .LBB930_575
; %bb.570:                              ;   in Loop: Header=BB930_215 Depth=1
	v_lshrrev_b32_e32 v42, 24, v40
	v_cmp_ne_u32_e32 vcc, s9, v42
	v_mov_b32_e32 v56, 0xffff8000
	s_and_saveexec_b64 s[16:17], vcc
	s_cbranch_execz .LBB930_574
; %bb.571:                              ;   in Loop: Header=BB930_215 Depth=1
	v_bfe_u32 v40, v40, 24, 7
	v_cmp_ne_u32_e32 vcc, s23, v40
	v_mov_b32_e32 v56, 0x7f80
	s_and_saveexec_b64 s[18:19], vcc
	s_cbranch_execz .LBB930_573
; %bb.572:                              ;   in Loop: Header=BB930_215 Depth=1
	v_and_b32_e32 v58, 7, v42
	v_ffbh_u32_e32 v56, v58
	v_min_u32_e32 v60, 32, v56
	v_subrev_u32_e32 v56, 28, v60
	v_lshlrev_b64 v[56:57], v56, v[42:43]
	v_lshrrev_b32_e32 v59, 3, v40
	v_sub_u32_e32 v57, 29, v60
	v_and_b32_e32 v56, 7, v56
	v_cmp_gt_u32_e32 vcc, 8, v40
	v_cndmask_b32_e32 v40, v59, v57, vcc
	v_cndmask_b32_e32 v56, v58, v56, vcc
	v_lshlrev_b32_e32 v42, 24, v42
	v_lshlrev_b32_e32 v56, 20, v56
	v_and_b32_e32 v42, 0x80000000, v42
	v_lshl_add_u32 v40, v40, 23, v55
	v_or3_b32 v40, v42, v40, v56
	v_lshrrev_b32_e32 v56, 16, v40
.LBB930_573:                            ;   in Loop: Header=BB930_215 Depth=1
	s_or_b64 exec, exec, s[18:19]
.LBB930_574:                            ;   in Loop: Header=BB930_215 Depth=1
	s_or_b64 exec, exec, s[16:17]
.LBB930_575:                            ;   in Loop: Header=BB930_215 Depth=1
	s_or_b64 exec, exec, s[14:15]
	s_waitcnt vmcnt(0)
	v_cmp_ne_u16_sdwa s[16:17], v38, v54 src0_sel:BYTE_0 src1_sel:DWORD
	s_and_saveexec_b64 s[14:15], s[16:17]
	s_cbranch_execz .LBB930_581
; %bb.576:                              ;   in Loop: Header=BB930_215 Depth=1
	v_cmp_ne_u16_sdwa s[18:19], v38, s9 src0_sel:BYTE_0 src1_sel:DWORD
	v_mov_b32_e32 v51, 0xffff8000
	s_and_saveexec_b64 s[16:17], s[18:19]
	s_cbranch_execz .LBB930_580
; %bb.577:                              ;   in Loop: Header=BB930_215 Depth=1
	v_and_b32_e32 v40, 0x7f, v38
	v_cmp_ne_u32_e32 vcc, s23, v40
	v_mov_b32_e32 v51, 0x7f80
	s_and_saveexec_b64 s[18:19], vcc
	s_cbranch_execz .LBB930_579
; %bb.578:                              ;   in Loop: Header=BB930_215 Depth=1
	v_and_b32_e32 v42, 7, v38
	v_ffbh_u32_e32 v57, v42
	v_min_u32_e32 v57, 32, v57
	v_subrev_u32_e32 v58, 28, v57
	v_lshlrev_b64 v[58:59], v58, v[38:39]
	v_lshrrev_b32_e32 v51, 3, v40
	v_sub_u32_e32 v57, 29, v57
	v_and_b32_e32 v58, 7, v58
	v_cmp_gt_u32_e32 vcc, 8, v40
	v_cndmask_b32_e32 v40, v51, v57, vcc
	v_cndmask_b32_e32 v42, v42, v58, vcc
	v_lshlrev_b32_e32 v51, 24, v38
	v_lshlrev_b32_e32 v42, 20, v42
	v_and_b32_e32 v51, 0x80000000, v51
	v_lshl_add_u32 v40, v40, 23, v55
	v_or3_b32 v40, v51, v40, v42
	v_lshrrev_b32_e32 v51, 16, v40
.LBB930_579:                            ;   in Loop: Header=BB930_215 Depth=1
	s_or_b64 exec, exec, s[18:19]
.LBB930_580:                            ;   in Loop: Header=BB930_215 Depth=1
	s_or_b64 exec, exec, s[16:17]
.LBB930_581:                            ;   in Loop: Header=BB930_215 Depth=1
	s_or_b64 exec, exec, s[14:15]
	v_lshrrev_b16_e32 v40, 8, v38
	v_cmp_ne_u16_e32 vcc, 0, v40
	v_mov_b32_e32 v57, 0
	v_mov_b32_e32 v42, 0
	s_and_saveexec_b64 s[14:15], vcc
	s_cbranch_execz .LBB930_587
; %bb.582:                              ;   in Loop: Header=BB930_215 Depth=1
	v_cmp_ne_u16_e32 vcc, s9, v40
	v_mov_b32_e32 v42, 0xffff8000
	s_and_saveexec_b64 s[16:17], vcc
	s_cbranch_execz .LBB930_586
; %bb.583:                              ;   in Loop: Header=BB930_215 Depth=1
	v_and_b32_e32 v58, 0x7f, v40
	v_cmp_ne_u32_e32 vcc, s23, v58
	v_mov_b32_e32 v42, 0x7f80
	s_and_saveexec_b64 s[18:19], vcc
	s_cbranch_execz .LBB930_585
; %bb.584:                              ;   in Loop: Header=BB930_215 Depth=1
	v_and_b32_e32 v42, 7, v40
	v_ffbh_u32_e32 v60, v42
	v_min_u32_e32 v62, 32, v60
	v_subrev_u32_e32 v60, 28, v62
	v_lshlrev_b64 v[60:61], v60, v[40:41]
	v_lshrrev_b32_e32 v59, 3, v58
	v_sub_u32_e32 v40, 29, v62
	v_and_b32_e32 v60, 7, v60
	v_cmp_gt_u32_e32 vcc, 8, v58
	v_cndmask_b32_e32 v40, v59, v40, vcc
	v_cndmask_b32_e32 v42, v42, v60, vcc
	v_lshlrev_b32_e32 v58, 16, v38
	v_lshlrev_b32_e32 v42, 20, v42
	v_and_b32_e32 v58, 0x80000000, v58
	v_lshl_add_u32 v40, v40, 23, v55
	v_or3_b32 v40, v58, v40, v42
	v_lshrrev_b32_e32 v42, 16, v40
.LBB930_585:                            ;   in Loop: Header=BB930_215 Depth=1
	s_or_b64 exec, exec, s[18:19]
.LBB930_586:                            ;   in Loop: Header=BB930_215 Depth=1
	s_or_b64 exec, exec, s[16:17]
.LBB930_587:                            ;   in Loop: Header=BB930_215 Depth=1
	s_or_b64 exec, exec, s[14:15]
	v_lshrrev_b32_e32 v40, 16, v38
	v_cmp_ne_u16_sdwa s[16:17], v40, v54 src0_sel:BYTE_0 src1_sel:DWORD
	s_and_saveexec_b64 s[14:15], s[16:17]
	s_cbranch_execz .LBB930_593
; %bb.588:                              ;   in Loop: Header=BB930_215 Depth=1
	v_cmp_ne_u16_sdwa s[18:19], v40, s9 src0_sel:BYTE_0 src1_sel:DWORD
	v_mov_b32_e32 v57, 0xffff8000
	s_and_saveexec_b64 s[16:17], s[18:19]
	s_cbranch_execz .LBB930_592
; %bb.589:                              ;   in Loop: Header=BB930_215 Depth=1
	v_bfe_u32 v58, v38, 16, 7
	v_cmp_ne_u32_e32 vcc, s23, v58
	v_mov_b32_e32 v57, 0x7f80
	s_and_saveexec_b64 s[18:19], vcc
	s_cbranch_execz .LBB930_591
; %bb.590:                              ;   in Loop: Header=BB930_215 Depth=1
	v_and_b32_e32 v57, 7, v40
	v_ffbh_u32_e32 v60, v57
	v_min_u32_e32 v62, 32, v60
	v_subrev_u32_e32 v60, 28, v62
	v_lshlrev_b64 v[60:61], v60, v[40:41]
	v_lshrrev_b32_e32 v59, 3, v58
	v_sub_u32_e32 v61, 29, v62
	v_and_b32_e32 v60, 7, v60
	v_cmp_gt_u32_e32 vcc, 8, v58
	v_cndmask_b32_e32 v58, v59, v61, vcc
	v_cndmask_b32_e32 v57, v57, v60, vcc
	v_lshlrev_b32_e32 v40, 24, v40
	v_lshlrev_b32_e32 v57, 20, v57
	v_and_b32_e32 v40, 0x80000000, v40
	v_lshl_add_u32 v58, v58, 23, v55
	v_or3_b32 v40, v40, v58, v57
	v_lshrrev_b32_e32 v57, 16, v40
.LBB930_591:                            ;   in Loop: Header=BB930_215 Depth=1
	s_or_b64 exec, exec, s[18:19]
.LBB930_592:                            ;   in Loop: Header=BB930_215 Depth=1
	s_or_b64 exec, exec, s[16:17]
.LBB930_593:                            ;   in Loop: Header=BB930_215 Depth=1
	s_or_b64 exec, exec, s[14:15]
	v_cmp_lt_u32_e32 vcc, s24, v38
	v_mov_b32_e32 v58, 0
	s_and_saveexec_b64 s[14:15], vcc
	s_cbranch_execz .LBB930_214
; %bb.594:                              ;   in Loop: Header=BB930_215 Depth=1
	v_lshrrev_b32_e32 v40, 24, v38
	v_cmp_ne_u32_e32 vcc, s9, v40
	v_mov_b32_e32 v58, 0xffff8000
	s_and_saveexec_b64 s[16:17], vcc
	s_cbranch_execz .LBB930_213
; %bb.595:                              ;   in Loop: Header=BB930_215 Depth=1
	v_bfe_u32 v38, v38, 24, 7
	v_cmp_ne_u32_e32 vcc, s23, v38
	v_mov_b32_e32 v58, 0x7f80
	s_and_saveexec_b64 s[18:19], vcc
	s_cbranch_execz .LBB930_212
; %bb.596:                              ;   in Loop: Header=BB930_215 Depth=1
	v_and_b32_e32 v60, 7, v40
	v_ffbh_u32_e32 v58, v60
	v_min_u32_e32 v62, 32, v58
	v_subrev_u32_e32 v58, 28, v62
	v_lshlrev_b64 v[58:59], v58, v[40:41]
	v_lshrrev_b32_e32 v61, 3, v38
	v_sub_u32_e32 v59, 29, v62
	v_and_b32_e32 v58, 7, v58
	v_cmp_gt_u32_e32 vcc, 8, v38
	v_cndmask_b32_e32 v38, v61, v59, vcc
	v_cndmask_b32_e32 v58, v60, v58, vcc
	v_lshlrev_b32_e32 v40, 24, v40
	v_lshlrev_b32_e32 v58, 20, v58
	v_and_b32_e32 v40, 0x80000000, v40
	v_lshl_add_u32 v38, v38, 23, v55
	v_or3_b32 v38, v40, v38, v58
	v_lshrrev_b32_e32 v58, 16, v38
	s_branch .LBB930_212
.LBB930_597:
	s_barrier
	buffer_load_dword v2, off, s[0:3], 0 offset:320
	buffer_load_dword v5, off, s[0:3], 0 offset:332
	;; [unrolled: 1-line block ×4, first 2 shown]
	v_cmp_gt_u32_e32 vcc, 64, v0
	s_waitcnt vmcnt(0)
	ds_write2st64_b64 v52, v[2:3], v[4:5] offset1:1
	s_waitcnt lgkmcnt(0)
	s_barrier
	s_and_saveexec_b64 s[6:7], vcc
	s_cbranch_execz .LBB930_600
; %bb.598:
	s_lshl_b32 s6, s48, 7
	s_mul_i32 s7, s20, s8
	s_mul_hi_u32 s11, s7, s6
	s_mul_i32 s10, s7, s6
	s_lshl_b64 s[10:11], s[10:11], 1
	v_lshlrev_b32_e32 v4, 6, v41
	s_add_u32 s7, s50, s10
	v_lshl_or_b32 v0, v0, 10, v4
	s_mov_b32 s9, 0
	s_addc_u32 s10, s51, s11
	s_lshl_b32 s8, s26, 7
	v_lshlrev_b32_e32 v2, 5, v1
	v_and_b32_e32 v3, 16, v43
	v_and_b32_e32 v0, 0x1a00, v0
	s_lshl_b64 s[8:9], s[8:9], 1
	v_or3_b32 v0, v0, v2, v3
	s_add_u32 s7, s7, s8
	s_addc_u32 s8, s10, s9
	ds_read_b128 v[4:7], v0
	v_add_u32_e32 v8, s27, v1
	v_mov_b32_e32 v3, s8
	v_add_co_u32_e32 v2, vcc, s7, v39
	v_mad_u64_u32 v[8:9], s[8:9], v8, s6, 0
	v_addc_co_u32_e32 v3, vcc, 0, v3, vcc
	v_lshlrev_b64 v[8:9], 1, v[8:9]
	v_add_co_u32_e32 v8, vcc, v2, v8
	v_addc_co_u32_e32 v9, vcc, v3, v9, vcc
	s_waitcnt lgkmcnt(0)
	global_store_dwordx4 v[8:9], v[4:7], off
	s_and_b64 exec, exec, s[4:5]
	s_cbranch_execz .LBB930_600
; %bb.599:
	ds_read_b128 v[4:7], v0 offset:128
	v_add3_u32 v0, s27, v1, 4
	v_mad_u64_u32 v[0:1], s[4:5], v0, s6, 0
	v_lshlrev_b64 v[0:1], 1, v[0:1]
	v_add_co_u32_e32 v0, vcc, v2, v0
	v_addc_co_u32_e32 v1, vcc, v3, v1, vcc
	s_waitcnt lgkmcnt(0)
	global_store_dwordx4 v[0:1], v[4:7], off
.LBB930_600:
	s_endpgm
	.section	.rodata,"a",@progbits
	.p2align	6, 0x0
	.amdhsa_kernel _Z39paged_attention_ll4mi_QKV_mfma16_kernelI14__hip_bfloat16hLN4vllm18Fp8KVCacheDataTypeE1ES0_Li32ELi128ELi256ELb1ELi5EL8MFMAType0EEvPKT_PKT0_S9_ifPKiSB_SB_iPKfiiiPfSE_PS4_PT2_iSD_SD_
		.amdhsa_group_segment_fixed_size 8192
		.amdhsa_private_segment_fixed_size 352
		.amdhsa_kernarg_size 400
		.amdhsa_user_sgpr_count 8
		.amdhsa_user_sgpr_private_segment_buffer 1
		.amdhsa_user_sgpr_dispatch_ptr 0
		.amdhsa_user_sgpr_queue_ptr 0
		.amdhsa_user_sgpr_kernarg_segment_ptr 1
		.amdhsa_user_sgpr_dispatch_id 0
		.amdhsa_user_sgpr_flat_scratch_init 1
		.amdhsa_user_sgpr_kernarg_preload_length 0
		.amdhsa_user_sgpr_kernarg_preload_offset 0
		.amdhsa_user_sgpr_private_segment_size 0
		.amdhsa_uses_dynamic_stack 0
		.amdhsa_system_sgpr_private_segment_wavefront_offset 1
		.amdhsa_system_sgpr_workgroup_id_x 1
		.amdhsa_system_sgpr_workgroup_id_y 1
		.amdhsa_system_sgpr_workgroup_id_z 1
		.amdhsa_system_sgpr_workgroup_info 0
		.amdhsa_system_vgpr_workitem_id 0
		.amdhsa_next_free_vgpr 80
		.amdhsa_next_free_sgpr 53
		.amdhsa_accum_offset 80
		.amdhsa_reserve_vcc 1
		.amdhsa_reserve_flat_scratch 0
		.amdhsa_float_round_mode_32 0
		.amdhsa_float_round_mode_16_64 0
		.amdhsa_float_denorm_mode_32 3
		.amdhsa_float_denorm_mode_16_64 3
		.amdhsa_dx10_clamp 1
		.amdhsa_ieee_mode 1
		.amdhsa_fp16_overflow 0
		.amdhsa_tg_split 0
		.amdhsa_exception_fp_ieee_invalid_op 0
		.amdhsa_exception_fp_denorm_src 0
		.amdhsa_exception_fp_ieee_div_zero 0
		.amdhsa_exception_fp_ieee_overflow 0
		.amdhsa_exception_fp_ieee_underflow 0
		.amdhsa_exception_fp_ieee_inexact 0
		.amdhsa_exception_int_div_zero 0
	.end_amdhsa_kernel
	.section	.text._Z39paged_attention_ll4mi_QKV_mfma16_kernelI14__hip_bfloat16hLN4vllm18Fp8KVCacheDataTypeE1ES0_Li32ELi128ELi256ELb1ELi5EL8MFMAType0EEvPKT_PKT0_S9_ifPKiSB_SB_iPKfiiiPfSE_PS4_PT2_iSD_SD_,"axG",@progbits,_Z39paged_attention_ll4mi_QKV_mfma16_kernelI14__hip_bfloat16hLN4vllm18Fp8KVCacheDataTypeE1ES0_Li32ELi128ELi256ELb1ELi5EL8MFMAType0EEvPKT_PKT0_S9_ifPKiSB_SB_iPKfiiiPfSE_PS4_PT2_iSD_SD_,comdat
.Lfunc_end930:
	.size	_Z39paged_attention_ll4mi_QKV_mfma16_kernelI14__hip_bfloat16hLN4vllm18Fp8KVCacheDataTypeE1ES0_Li32ELi128ELi256ELb1ELi5EL8MFMAType0EEvPKT_PKT0_S9_ifPKiSB_SB_iPKfiiiPfSE_PS4_PT2_iSD_SD_, .Lfunc_end930-_Z39paged_attention_ll4mi_QKV_mfma16_kernelI14__hip_bfloat16hLN4vllm18Fp8KVCacheDataTypeE1ES0_Li32ELi128ELi256ELb1ELi5EL8MFMAType0EEvPKT_PKT0_S9_ifPKiSB_SB_iPKfiiiPfSE_PS4_PT2_iSD_SD_
                                        ; -- End function
	.section	.AMDGPU.csdata,"",@progbits
; Kernel info:
; codeLenInByte = 22532
; NumSgprs: 57
; NumVgprs: 80
; NumAgprs: 0
; TotalNumVgprs: 80
; ScratchSize: 352
; MemoryBound: 0
; FloatMode: 240
; IeeeMode: 1
; LDSByteSize: 8192 bytes/workgroup (compile time only)
; SGPRBlocks: 7
; VGPRBlocks: 9
; NumSGPRsForWavesPerEU: 57
; NumVGPRsForWavesPerEU: 80
; AccumOffset: 80
; Occupancy: 6
; WaveLimiterHint : 1
; COMPUTE_PGM_RSRC2:SCRATCH_EN: 1
; COMPUTE_PGM_RSRC2:USER_SGPR: 8
; COMPUTE_PGM_RSRC2:TRAP_HANDLER: 0
; COMPUTE_PGM_RSRC2:TGID_X_EN: 1
; COMPUTE_PGM_RSRC2:TGID_Y_EN: 1
; COMPUTE_PGM_RSRC2:TGID_Z_EN: 1
; COMPUTE_PGM_RSRC2:TIDIG_COMP_CNT: 0
; COMPUTE_PGM_RSRC3_GFX90A:ACCUM_OFFSET: 19
; COMPUTE_PGM_RSRC3_GFX90A:TG_SPLIT: 0
	.section	.text._Z39paged_attention_ll4mi_QKV_mfma16_kernelI14__hip_bfloat16hLN4vllm18Fp8KVCacheDataTypeE1ES0_Li32ELi128ELi256ELb1ELi6EL8MFMAType0EEvPKT_PKT0_S9_ifPKiSB_SB_iPKfiiiPfSE_PS4_PT2_iSD_SD_,"axG",@progbits,_Z39paged_attention_ll4mi_QKV_mfma16_kernelI14__hip_bfloat16hLN4vllm18Fp8KVCacheDataTypeE1ES0_Li32ELi128ELi256ELb1ELi6EL8MFMAType0EEvPKT_PKT0_S9_ifPKiSB_SB_iPKfiiiPfSE_PS4_PT2_iSD_SD_,comdat
	.protected	_Z39paged_attention_ll4mi_QKV_mfma16_kernelI14__hip_bfloat16hLN4vllm18Fp8KVCacheDataTypeE1ES0_Li32ELi128ELi256ELb1ELi6EL8MFMAType0EEvPKT_PKT0_S9_ifPKiSB_SB_iPKfiiiPfSE_PS4_PT2_iSD_SD_ ; -- Begin function _Z39paged_attention_ll4mi_QKV_mfma16_kernelI14__hip_bfloat16hLN4vllm18Fp8KVCacheDataTypeE1ES0_Li32ELi128ELi256ELb1ELi6EL8MFMAType0EEvPKT_PKT0_S9_ifPKiSB_SB_iPKfiiiPfSE_PS4_PT2_iSD_SD_
	.globl	_Z39paged_attention_ll4mi_QKV_mfma16_kernelI14__hip_bfloat16hLN4vllm18Fp8KVCacheDataTypeE1ES0_Li32ELi128ELi256ELb1ELi6EL8MFMAType0EEvPKT_PKT0_S9_ifPKiSB_SB_iPKfiiiPfSE_PS4_PT2_iSD_SD_
	.p2align	8
	.type	_Z39paged_attention_ll4mi_QKV_mfma16_kernelI14__hip_bfloat16hLN4vllm18Fp8KVCacheDataTypeE1ES0_Li32ELi128ELi256ELb1ELi6EL8MFMAType0EEvPKT_PKT0_S9_ifPKiSB_SB_iPKfiiiPfSE_PS4_PT2_iSD_SD_,@function
_Z39paged_attention_ll4mi_QKV_mfma16_kernelI14__hip_bfloat16hLN4vllm18Fp8KVCacheDataTypeE1ES0_Li32ELi128ELi256ELb1ELi6EL8MFMAType0EEvPKT_PKT0_S9_ifPKiSB_SB_iPKfiiiPfSE_PS4_PT2_iSD_SD_: ; @_Z39paged_attention_ll4mi_QKV_mfma16_kernelI14__hip_bfloat16hLN4vllm18Fp8KVCacheDataTypeE1ES0_Li32ELi128ELi256ELb1ELi6EL8MFMAType0EEvPKT_PKT0_S9_ifPKiSB_SB_iPKfiiiPfSE_PS4_PT2_iSD_SD_
; %bb.0:
	s_load_dwordx2 s[6:7], s[4:5], 0x30
	s_add_u32 s0, s0, s11
	s_addc_u32 s1, s1, 0
	s_mov_b32 s26, s9
	s_mov_b64 s[14:15], 0
	s_waitcnt lgkmcnt(0)
	s_cmp_lg_u64 s[6:7], 0
	s_cselect_b64 s[12:13], -1, 0
	s_and_b64 vcc, exec, s[12:13]
	s_cbranch_vccz .LBB931_7
; %bb.1:
	s_add_i32 s16, s8, 1
	s_mov_b32 s17, 0
	s_lshl_b64 s[18:19], s[16:17], 2
	s_add_u32 s18, s6, s18
	s_mov_b32 s9, s17
	s_addc_u32 s19, s7, s19
	s_lshl_b64 s[16:17], s[8:9], 2
	s_add_u32 s16, s6, s16
	s_addc_u32 s17, s7, s17
	s_load_dword s11, s[18:19], 0x0
	s_load_dword s20, s[16:17], 0x0
	s_waitcnt lgkmcnt(0)
	s_sub_i32 s11, s11, s20
	s_cmp_eq_u32 s11, 1
	s_cselect_b64 s[16:17], -1, 0
	s_andn2_b64 vcc, exec, s[14:15]
	s_cbranch_vccnz .LBB931_3
.LBB931_2:
	s_mov_b32 s9, 0
	s_mov_b64 s[16:17], -1
.LBB931_3:
	s_andn2_b64 vcc, exec, s[16:17]
	s_cbranch_vccnz .LBB931_600
; %bb.4:
	s_load_dwordx2 s[16:17], s[4:5], 0x28
	s_lshl_b64 s[14:15], s[8:9], 2
	s_waitcnt lgkmcnt(0)
	s_add_u32 s16, s16, s14
	s_addc_u32 s17, s17, s15
	s_load_dword s33, s[16:17], 0x0
	s_lshl_b32 s20, s26, 8
	s_waitcnt lgkmcnt(0)
	s_cmp_ge_i32 s20, s33
	s_cbranch_scc1 .LBB931_600
; %bb.5:
	s_add_i32 s18, s33, 31
	s_load_dwordx2 s[16:17], s[4:5], 0x20
	s_load_dword s11, s[4:5], 0x38
	s_ashr_i32 s19, s18, 31
	v_and_b32_e32 v1, 0xcf, v0
	s_lshr_b32 s19, s19, 27
	v_add_u32_e32 v1, s20, v1
	s_add_i32 s18, s18, s19
	v_ashrrev_i32_e32 v2, 31, v1
	s_ashr_i32 s23, s18, 5
	v_lshrrev_b32_e32 v4, 27, v2
	s_add_i32 s23, s23, -1
	v_add_u32_e32 v2, v1, v4
	s_waitcnt lgkmcnt(0)
	s_mul_i32 s18, s8, s11
	s_mov_b32 s19, 0
	v_ashrrev_i32_e32 v2, 5, v2
	v_mov_b32_e32 v5, s23
	v_cmp_gt_i32_e32 vcc, s33, v1
	s_lshl_b64 s[18:19], s[18:19], 2
	v_cndmask_b32_e32 v2, v5, v2, vcc
	s_add_u32 s21, s16, s18
	v_ashrrev_i32_e32 v3, 31, v2
	s_addc_u32 s22, s17, s19
	v_lshlrev_b64 v[2:3], 2, v[2:3]
	v_mov_b32_e32 v7, s22
	v_add_co_u32_e32 v6, vcc, s21, v2
	v_or_b32_e32 v2, 16, v1
	v_addc_co_u32_e32 v7, vcc, v7, v3, vcc
	v_add_u32_e32 v3, v2, v4
	v_ashrrev_i32_e32 v3, 5, v3
	v_cmp_gt_i32_e32 vcc, s33, v2
	v_cndmask_b32_e32 v2, v5, v3, vcc
	v_ashrrev_i32_e32 v3, 31, v2
	v_lshlrev_b64 v[2:3], 2, v[2:3]
	v_mov_b32_e32 v9, s22
	v_add_co_u32_e32 v8, vcc, s21, v2
	v_or_b32_e32 v2, 32, v1
	v_addc_co_u32_e32 v9, vcc, v9, v3, vcc
	v_add_u32_e32 v3, v2, v4
	v_ashrrev_i32_e32 v3, 5, v3
	v_cmp_gt_i32_e32 vcc, s33, v2
	v_cndmask_b32_e32 v2, v5, v3, vcc
	v_ashrrev_i32_e32 v3, 31, v2
	;; [unrolled: 10-line block ×3, first 2 shown]
	v_lshlrev_b64 v[2:3], 2, v[2:3]
	v_mov_b32_e32 v1, s22
	v_add_co_u32_e32 v12, vcc, s21, v2
	v_addc_co_u32_e32 v13, vcc, v1, v3, vcc
	global_load_dword v5, v[6:7], off
	global_load_dword v4, v[8:9], off
	;; [unrolled: 1-line block ×4, first 2 shown]
	s_load_dwordx2 s[16:17], s[4:5], 0x8
	s_andn2_b64 vcc, exec, s[12:13]
	s_cbranch_vccnz .LBB931_8
; %bb.6:
	s_add_u32 s6, s6, s14
	s_addc_u32 s7, s7, s15
	s_load_dword s11, s[6:7], 0x0
	s_branch .LBB931_9
.LBB931_7:
	s_mov_b64 s[16:17], 0
	s_branch .LBB931_2
.LBB931_8:
	s_mov_b32 s11, s8
.LBB931_9:
	s_load_dwordx2 s[6:7], s[4:5], 0x10
	s_load_dwordx4 s[12:15], s[4:5], 0x48
	v_lshrrev_b32_e32 v27, 6, v0
	v_bfe_u32 v1, v0, 4, 2
	v_and_b32_e32 v41, 15, v0
	v_lshl_or_b32 v6, v27, 2, v1
	v_lshlrev_b32_e32 v7, 3, v41
	s_mul_i32 s27, s10, 6
	v_cmp_gt_u32_e32 vcc, 6, v6
	v_lshlrev_b32_e32 v39, 1, v7
	v_lshlrev_b32_e32 v43, 4, v0
	s_and_saveexec_b64 s[18:19], vcc
	s_cbranch_execz .LBB931_11
; %bb.10:
	s_load_dwordx2 s[24:25], s[4:5], 0x0
	s_waitcnt lgkmcnt(0)
	s_ashr_i32 s15, s12, 31
	s_mul_hi_u32 s28, s11, s12
	s_mul_i32 s15, s11, s15
	s_add_i32 s29, s28, s15
	s_mul_i32 s28, s11, s12
	s_lshl_b64 s[28:29], s[28:29], 1
	v_add_lshl_u32 v8, v6, s27, 7
	s_add_u32 s11, s24, s28
	v_ashrrev_i32_e32 v9, 31, v8
	s_addc_u32 s12, s25, s29
	v_lshlrev_b64 v[8:9], 1, v[8:9]
	v_mov_b32_e32 v7, s12
	v_add_co_u32_e32 v8, vcc, s11, v8
	v_addc_co_u32_e32 v7, vcc, v7, v9, vcc
	v_add_co_u32_e32 v8, vcc, v8, v39
	v_addc_co_u32_e32 v9, vcc, 0, v7, vcc
	global_load_dwordx4 v[8:11], v[8:9], off
	v_lshlrev_b32_e32 v12, 8, v0
	v_lshlrev_b32_e32 v7, 8, v41
	v_and_b32_e32 v12, 0x600, v12
	s_movk_i32 s11, 0x800
	v_and_or_b32 v7, v7, s11, v12
	v_lshlrev_b32_e32 v6, 5, v6
	v_and_b32_e32 v12, 16, v43
	v_or3_b32 v6, v7, v6, v12
	s_waitcnt vmcnt(0)
	ds_write_b128 v6, v[8:11]
.LBB931_11:
	s_or_b64 exec, exec, s[18:19]
	s_waitcnt lgkmcnt(0)
	s_mul_i32 s14, s10, s14
	s_add_u32 s10, s16, s14
	s_addc_u32 s11, s17, 0
	v_pk_mov_b32 v[6:7], s[10:11], s[10:11] op_sel:[0,1]
	s_waitcnt vmcnt(3)
	v_mad_i64_i32 v[8:9], s[10:11], v5, s13, v[6:7]
	v_lshlrev_b32_e32 v11, 4, v41
	v_and_b32_e32 v18, 48, v0
	v_add_co_u32_e32 v5, vcc, v8, v11
	v_lshlrev_b32_e32 v10, 5, v18
	v_addc_co_u32_e32 v9, vcc, 0, v9, vcc
	v_add_co_u32_e32 v8, vcc, v5, v10
	v_addc_co_u32_e32 v9, vcc, 0, v9, vcc
	s_load_dwordx2 s[48:49], s[4:5], 0x94
	s_waitcnt lgkmcnt(0)
	s_barrier
	global_load_dwordx4 v[20:23], v[8:9], off
	global_load_dwordx4 v[28:31], v[8:9], off offset:2048
	s_waitcnt vmcnt(4)
	v_mad_i64_i32 v[4:5], s[10:11], v4, s13, v[6:7]
	v_or_b32_e32 v8, 0x100, v11
	v_add_co_u32_e32 v4, vcc, v4, v8
	v_addc_co_u32_e32 v5, vcc, 0, v5, vcc
	v_add_co_u32_e32 v4, vcc, v4, v10
	v_addc_co_u32_e32 v5, vcc, 0, v5, vcc
	global_load_dwordx4 v[32:35], v[4:5], off
	global_load_dwordx4 v[44:47], v[4:5], off offset:2048
	s_waitcnt vmcnt(5)
	v_mad_i64_i32 v[4:5], s[10:11], v3, s13, v[6:7]
	v_add_co_u32_e32 v3, vcc, v4, v11
	v_addc_co_u32_e32 v5, vcc, 0, v5, vcc
	v_add_co_u32_e32 v4, vcc, v3, v10
	v_addc_co_u32_e32 v5, vcc, 0, v5, vcc
	s_waitcnt vmcnt(4)
	v_mad_i64_i32 v[2:3], s[10:11], v2, s13, v[6:7]
	v_add_co_u32_e32 v2, vcc, v2, v8
	v_addc_co_u32_e32 v3, vcc, 0, v3, vcc
	v_add_co_u32_e32 v2, vcc, v2, v10
	v_addc_co_u32_e32 v3, vcc, 0, v3, vcc
	global_load_dwordx4 v[48:51], v[4:5], off
	global_load_dwordx4 v[52:55], v[4:5], off offset:2048
	global_load_dwordx4 v[56:59], v[2:3], off
	global_load_dwordx4 v[60:63], v[2:3], off offset:2048
	v_mul_lo_u16_e32 v2, 43, v41
	v_mov_b32_e32 v3, 6
	v_mul_lo_u16_sdwa v2, v2, v3 dst_sel:DWORD dst_unused:UNUSED_PAD src0_sel:BYTE_1 src1_sel:DWORD
	v_mov_b32_e32 v4, 5
	v_sub_u16_e32 v2, v41, v2
	v_lshlrev_b32_sdwa v2, v4, v2 dst_sel:DWORD dst_unused:UNUSED_PAD src0_sel:DWORD src1_sel:BYTE_0
	v_lshl_add_u32 v14, v1, 9, v2
	s_load_dwordx2 s[50:51], s[4:5], 0x68
	s_load_dwordx4 s[44:47], s[4:5], 0x58
	ds_read_b128 v[2:5], v14
	ds_read_b128 v[6:9], v14 offset:16
	ds_read_b128 v[10:13], v14 offset:2048
	;; [unrolled: 1-line block ×3, first 2 shown]
	s_mov_b32 s12, 0
	v_cmp_gt_u32_e32 vcc, 6, v41
	s_waitcnt vmcnt(7)
	buffer_store_dword v23, off, s[0:3], 0 offset:12
	buffer_store_dword v22, off, s[0:3], 0 offset:8
	;; [unrolled: 1-line block ×3, first 2 shown]
	buffer_store_dword v20, off, s[0:3], 0
	s_waitcnt vmcnt(10)
	buffer_store_dword v31, off, s[0:3], 0 offset:28
	buffer_store_dword v30, off, s[0:3], 0 offset:24
	buffer_store_dword v29, off, s[0:3], 0 offset:20
	buffer_store_dword v28, off, s[0:3], 0 offset:16
	s_waitcnt vmcnt(13)
	buffer_store_dword v35, off, s[0:3], 0 offset:44
	buffer_store_dword v34, off, s[0:3], 0 offset:40
	buffer_store_dword v33, off, s[0:3], 0 offset:36
	buffer_store_dword v32, off, s[0:3], 0 offset:32
	;; [unrolled: 5-line block ×7, first 2 shown]
	v_mov_b32_e32 v35, 0
	v_mov_b32_e32 v31, 0
	s_and_saveexec_b64 s[10:11], vcc
	s_cbranch_execz .LBB931_13
; %bb.12:
	s_load_dwordx2 s[16:17], s[4:5], 0x40
	v_add_u32_e32 v20, s27, v41
	v_ashrrev_i32_e32 v21, 31, v20
	v_lshlrev_b64 v[20:21], 2, v[20:21]
	s_waitcnt lgkmcnt(0)
	v_mov_b32_e32 v19, s17
	v_add_co_u32_e32 v20, vcc, s16, v20
	v_addc_co_u32_e32 v21, vcc, v19, v21, vcc
	global_load_dword v31, v[20:21], off
.LBB931_13:
	s_or_b64 exec, exec, s[10:11]
	s_ashr_i32 s10, s20, 31
	v_or_b32_e32 v24, s20, v18
	s_lshr_b32 s10, s10, 27
	v_add_u32_e32 v18, s10, v24
	v_ashrrev_i32_e32 v18, 5, v18
	v_mov_b32_e32 v25, s23
	v_cmp_gt_i32_e32 vcc, s33, v24
	v_cndmask_b32_e32 v18, v25, v18, vcc
	v_ashrrev_i32_e32 v19, 31, v18
	v_lshlrev_b64 v[18:19], 2, v[18:19]
	v_mov_b32_e32 v20, s22
	v_add_co_u32_e32 v18, vcc, s21, v18
	v_addc_co_u32_e32 v19, vcc, v20, v19, vcc
	v_or_b32_e32 v20, 64, v24
	v_add_u32_e32 v21, s10, v20
	v_ashrrev_i32_e32 v21, 5, v21
	v_cmp_gt_i32_e32 vcc, s33, v20
	v_cndmask_b32_e32 v20, v25, v21, vcc
	v_ashrrev_i32_e32 v21, 31, v20
	v_lshlrev_b64 v[20:21], 2, v[20:21]
	v_mov_b32_e32 v22, s22
	v_add_co_u32_e32 v20, vcc, s21, v20
	v_addc_co_u32_e32 v21, vcc, v22, v21, vcc
	v_or_b32_e32 v22, 0x80, v24
	v_add_u32_e32 v23, s10, v22
	v_ashrrev_i32_e32 v23, 5, v23
	v_cmp_gt_i32_e32 vcc, s33, v22
	v_cndmask_b32_e32 v22, v25, v23, vcc
	v_ashrrev_i32_e32 v23, 31, v22
	v_lshlrev_b64 v[22:23], 2, v[22:23]
	v_mov_b32_e32 v26, s22
	v_add_co_u32_e32 v22, vcc, s21, v22
	v_addc_co_u32_e32 v23, vcc, v26, v23, vcc
	global_load_dword v26, v[18:19], off
	global_load_dword v28, v[20:21], off
	;; [unrolled: 1-line block ×3, first 2 shown]
	v_or_b32_e32 v18, 0xc0, v24
	v_add_u32_e32 v19, s10, v18
	v_ashrrev_i32_e32 v19, 5, v19
	v_cmp_gt_i32_e32 vcc, s33, v18
	v_cndmask_b32_e32 v18, v25, v19, vcc
	v_ashrrev_i32_e32 v19, 31, v18
	v_lshlrev_b64 v[18:19], 2, v[18:19]
	v_mov_b32_e32 v20, s22
	v_add_co_u32_e32 v18, vcc, s21, v18
	v_addc_co_u32_e32 v19, vcc, v20, v19, vcc
	global_load_dword v32, v[18:19], off
	s_add_u32 s6, s6, s14
	v_and_b32_e32 v18, 16, v0
	s_addc_u32 s7, s7, 0
	v_lshl_or_b32 v29, v27, 4, v41
	v_mov_b32_e32 v20, s7
	v_add_co_u32_e32 v34, vcc, s6, v18
	v_lshlrev_b32_e32 v19, 5, v29
	v_addc_co_u32_e32 v36, vcc, 0, v20, vcc
	v_add_co_u32_e32 v22, vcc, v34, v19
	v_addc_co_u32_e32 v23, vcc, 0, v36, vcc
	v_or_b32_e32 v33, 0x800, v19
	s_movk_i32 s14, 0x7f
	s_mov_b32 s15, 0xffffff
	s_mov_b32 s16, 0x5040100
	v_mov_b32_e32 v37, 0x100
	v_bfrev_b32_e32 v38, 60
	s_waitcnt vmcnt(3)
	v_mad_i64_i32 v[18:19], s[6:7], v26, s13, v[22:23]
	s_waitcnt vmcnt(2)
	v_mad_i64_i32 v[24:25], s[6:7], v28, s13, v[22:23]
	global_load_dwordx4 v[18:21], v[18:19], off
	s_nop 0
	global_load_dwordx4 v[52:55], v[24:25], off
	s_waitcnt vmcnt(3)
	v_mad_i64_i32 v[24:25], s[6:7], v30, s13, v[22:23]
	s_waitcnt vmcnt(2)
	v_mad_i64_i32 v[22:23], s[6:7], v32, s13, v[22:23]
	global_load_dwordx4 v[56:59], v[24:25], off
	global_load_dwordx4 v[60:63], v[22:23], off
	v_add_co_u32_e32 v22, vcc, v34, v33
	v_addc_co_u32_e32 v23, vcc, 0, v36, vcc
	v_mad_i64_i32 v[24:25], s[6:7], v26, s13, v[22:23]
	global_load_dwordx4 v[64:67], v[24:25], off
	v_mad_i64_i32 v[24:25], s[6:7], v28, s13, v[22:23]
	global_load_dwordx4 v[68:71], v[24:25], off
	;; [unrolled: 2-line block ×4, first 2 shown]
	s_load_dword s6, s[4:5], 0x1c
	s_load_dwordx4 s[40:43], s[4:5], 0x80
	v_mov_b32_e32 v22, 0x80
	v_add_u32_e32 v45, 16, v22
	v_add_u32_e32 v46, 32, v22
	;; [unrolled: 1-line block ×3, first 2 shown]
	s_waitcnt lgkmcnt(0)
	s_load_dword s4, s[40:41], 0x0
	v_add_u32_e32 v51, 64, v22
	v_add_u32_e32 v48, 0x50, v22
	v_add_u32_e32 v50, 0x60, v22
	v_add_u32_e32 v49, 0x70, v22
	v_mov_b32_e32 v22, s6
	s_waitcnt lgkmcnt(0)
	v_mul_f32_e32 v22, s4, v22
	v_and_b32_e32 v33, 63, v0
	s_movk_i32 s13, 0x80
	v_mov_b32_e32 v36, 0
	v_mov_b32_e32 v24, v22
	;; [unrolled: 1-line block ×3, first 2 shown]
	s_waitcnt vmcnt(7)
	buffer_store_dword v21, off, s[0:3], 0 offset:140
	buffer_store_dword v20, off, s[0:3], 0 offset:136
	buffer_store_dword v19, off, s[0:3], 0 offset:132
	buffer_store_dword v18, off, s[0:3], 0 offset:128
	s_waitcnt vmcnt(10)
	buffer_store_dword v55, off, s[0:3], 0 offset:172
	buffer_store_dword v54, off, s[0:3], 0 offset:168
	buffer_store_dword v53, off, s[0:3], 0 offset:164
	buffer_store_dword v52, off, s[0:3], 0 offset:160
	s_waitcnt vmcnt(13)
	buffer_store_dword v59, off, s[0:3], 0 offset:204
	buffer_store_dword v58, off, s[0:3], 0 offset:200
	buffer_store_dword v57, off, s[0:3], 0 offset:196
	buffer_store_dword v56, off, s[0:3], 0 offset:192
	s_waitcnt vmcnt(16)
	buffer_store_dword v63, off, s[0:3], 0 offset:236
	buffer_store_dword v62, off, s[0:3], 0 offset:232
	buffer_store_dword v61, off, s[0:3], 0 offset:228
	buffer_store_dword v60, off, s[0:3], 0 offset:224
	s_waitcnt vmcnt(19)
	buffer_store_dword v67, off, s[0:3], 0 offset:156
	buffer_store_dword v66, off, s[0:3], 0 offset:152
	buffer_store_dword v65, off, s[0:3], 0 offset:148
	buffer_store_dword v64, off, s[0:3], 0 offset:144
	s_waitcnt vmcnt(22)
	buffer_store_dword v71, off, s[0:3], 0 offset:188
	buffer_store_dword v70, off, s[0:3], 0 offset:184
	buffer_store_dword v69, off, s[0:3], 0 offset:180
	buffer_store_dword v68, off, s[0:3], 0 offset:176
	s_waitcnt vmcnt(25)
	buffer_store_dword v75, off, s[0:3], 0 offset:220
	buffer_store_dword v74, off, s[0:3], 0 offset:216
	buffer_store_dword v73, off, s[0:3], 0 offset:212
	buffer_store_dword v72, off, s[0:3], 0 offset:208
	s_waitcnt vmcnt(28)
	buffer_store_dword v79, off, s[0:3], 0 offset:252
	buffer_store_dword v78, off, s[0:3], 0 offset:248
	buffer_store_dword v77, off, s[0:3], 0 offset:244
	buffer_store_dword v76, off, s[0:3], 0 offset:240
	s_branch .LBB931_17
.LBB931_14:                             ;   in Loop: Header=BB931_17 Depth=1
	s_or_b64 exec, exec, s[10:11]
.LBB931_15:                             ;   in Loop: Header=BB931_17 Depth=1
	s_or_b64 exec, exec, s[6:7]
.LBB931_16:                             ;   in Loop: Header=BB931_17 Depth=1
	s_or_b64 exec, exec, s[4:5]
	v_perm_b32 v55, v40, v34, s16
	v_perm_b32 v54, v23, v32, s16
	;; [unrolled: 1-line block ×4, first 2 shown]
	v_add_u32_e32 v26, s12, v37
	v_mfma_f32_16x16x16bf16_1k v[18:21], v[54:55], v[14:15], v[18:21]
	s_add_i32 s12, s12, 16
	v_mov_b32_e32 v23, v22
	s_cmp_eq_u32 s12, 64
	v_add_u32_e32 v36, 32, v36
	v_mfma_f32_16x16x16bf16_1k v[18:21], v[52:53], v[16:17], v[18:21]
	s_nop 7
	s_nop 2
	v_pk_mul_f32 v[18:19], v[24:25], v[18:19]
	v_pk_mul_f32 v[20:21], v[22:23], v[20:21]
	buffer_store_dword v19, v26, s[0:3], 0 offen offset:4
	buffer_store_dword v18, v26, s[0:3], 0 offen
	buffer_store_dword v21, v26, s[0:3], 0 offen offset:12
	buffer_store_dword v20, v26, s[0:3], 0 offen offset:8
	s_cbranch_scc1 .LBB931_207
.LBB931_17:                             ; =>This Inner Loop Header: Depth=1
	buffer_load_dword v20, v36, s[0:3], 0 offen
	buffer_load_dword v18, v36, s[0:3], 0 offen offset:4
	buffer_load_dword v28, v36, s[0:3], 0 offen offset:8
	;; [unrolled: 1-line block ×3, first 2 shown]
	v_mov_b32_e32 v19, 0
	v_mov_b32_e32 v21, 0
	s_waitcnt vmcnt(3)
	v_cmp_ne_u16_sdwa s[6:7], v20, v35 src0_sel:BYTE_0 src1_sel:DWORD
	s_and_saveexec_b64 s[4:5], s[6:7]
	s_cbranch_execz .LBB931_23
; %bb.18:                               ;   in Loop: Header=BB931_17 Depth=1
	v_cmp_ne_u16_sdwa s[10:11], v20, s13 src0_sel:BYTE_0 src1_sel:DWORD
	v_mov_b32_e32 v21, 0xffff8000
	s_and_saveexec_b64 s[6:7], s[10:11]
	s_cbranch_execz .LBB931_22
; %bb.19:                               ;   in Loop: Header=BB931_17 Depth=1
	v_and_b32_e32 v23, 0x7f, v20
	v_cmp_ne_u32_e32 vcc, s14, v23
	v_mov_b32_e32 v21, 0x7f80
	s_and_saveexec_b64 s[10:11], vcc
	s_cbranch_execz .LBB931_21
; %bb.20:                               ;   in Loop: Header=BB931_17 Depth=1
	v_and_b32_e32 v21, 7, v20
	v_ffbh_u32_e32 v32, v21
	v_min_u32_e32 v32, 32, v32
	v_subrev_u32_e32 v34, 28, v32
	v_lshlrev_b64 v[52:53], v34, v[20:21]
	v_lshrrev_b32_e32 v30, 3, v23
	v_sub_u32_e32 v32, 29, v32
	v_and_b32_e32 v34, 7, v52
	v_cmp_gt_u32_e32 vcc, 8, v23
	v_cndmask_b32_e32 v23, v30, v32, vcc
	v_cndmask_b32_e32 v21, v21, v34, vcc
	v_lshlrev_b32_e32 v30, 24, v20
	v_lshlrev_b32_e32 v21, 20, v21
	v_and_b32_e32 v30, 0x80000000, v30
	v_lshl_add_u32 v23, v23, 23, v38
	v_or3_b32 v21, v30, v23, v21
	v_lshrrev_b32_e32 v21, 16, v21
.LBB931_21:                             ;   in Loop: Header=BB931_17 Depth=1
	s_or_b64 exec, exec, s[10:11]
.LBB931_22:                             ;   in Loop: Header=BB931_17 Depth=1
	s_or_b64 exec, exec, s[6:7]
.LBB931_23:                             ;   in Loop: Header=BB931_17 Depth=1
	s_or_b64 exec, exec, s[4:5]
	v_lshrrev_b16_e32 v30, 8, v20
	v_cmp_ne_u16_e32 vcc, 0, v30
	s_and_saveexec_b64 s[4:5], vcc
	s_cbranch_execz .LBB931_29
; %bb.24:                               ;   in Loop: Header=BB931_17 Depth=1
	v_cmp_ne_u16_e32 vcc, s13, v30
	v_mov_b32_e32 v19, 0xffff8000
	s_and_saveexec_b64 s[6:7], vcc
	s_cbranch_execz .LBB931_28
; %bb.25:                               ;   in Loop: Header=BB931_17 Depth=1
	v_and_b32_e32 v23, 0x7f, v30
	v_cmp_ne_u32_e32 vcc, s14, v23
	v_mov_b32_e32 v19, 0x7f80
	s_and_saveexec_b64 s[10:11], vcc
	s_cbranch_execz .LBB931_27
; %bb.26:                               ;   in Loop: Header=BB931_17 Depth=1
	v_and_b32_e32 v19, 7, v30
	v_ffbh_u32_e32 v34, v19
	v_min_u32_e32 v34, 32, v34
	v_subrev_u32_e32 v40, 28, v34
	v_lshlrev_b64 v[52:53], v40, v[30:31]
	v_lshrrev_b32_e32 v32, 3, v23
	v_sub_u32_e32 v30, 29, v34
	v_and_b32_e32 v34, 7, v52
	v_cmp_gt_u32_e32 vcc, 8, v23
	v_cndmask_b32_e32 v23, v32, v30, vcc
	v_cndmask_b32_e32 v19, v19, v34, vcc
	v_lshlrev_b32_e32 v30, 16, v20
	v_lshlrev_b32_e32 v19, 20, v19
	v_and_b32_e32 v30, 0x80000000, v30
	v_lshl_add_u32 v23, v23, 23, v38
	v_or3_b32 v19, v30, v23, v19
	v_lshrrev_b32_e32 v19, 16, v19
.LBB931_27:                             ;   in Loop: Header=BB931_17 Depth=1
	s_or_b64 exec, exec, s[10:11]
.LBB931_28:                             ;   in Loop: Header=BB931_17 Depth=1
	s_or_b64 exec, exec, s[6:7]
.LBB931_29:                             ;   in Loop: Header=BB931_17 Depth=1
	s_or_b64 exec, exec, s[4:5]
	v_lshrrev_b32_e32 v30, 16, v20
	v_cmp_ne_u16_sdwa s[6:7], v30, v35 src0_sel:BYTE_0 src1_sel:DWORD
	v_mov_b32_e32 v32, 0
	v_mov_b32_e32 v23, 0
	s_and_saveexec_b64 s[4:5], s[6:7]
	s_cbranch_execz .LBB931_35
; %bb.30:                               ;   in Loop: Header=BB931_17 Depth=1
	v_cmp_ne_u16_sdwa s[10:11], v30, s13 src0_sel:BYTE_0 src1_sel:DWORD
	v_mov_b32_e32 v23, 0xffff8000
	s_and_saveexec_b64 s[6:7], s[10:11]
	s_cbranch_execz .LBB931_34
; %bb.31:                               ;   in Loop: Header=BB931_17 Depth=1
	v_bfe_u32 v34, v20, 16, 7
	v_cmp_ne_u32_e32 vcc, s14, v34
	v_mov_b32_e32 v23, 0x7f80
	s_and_saveexec_b64 s[10:11], vcc
	s_cbranch_execz .LBB931_33
; %bb.32:                               ;   in Loop: Header=BB931_17 Depth=1
	v_and_b32_e32 v23, 7, v30
	v_ffbh_u32_e32 v42, v23
	v_min_u32_e32 v42, 32, v42
	v_subrev_u32_e32 v44, 28, v42
	v_lshlrev_b64 v[52:53], v44, v[30:31]
	v_lshrrev_b32_e32 v40, 3, v34
	v_sub_u32_e32 v42, 29, v42
	v_and_b32_e32 v44, 7, v52
	v_cmp_gt_u32_e32 vcc, 8, v34
	v_cndmask_b32_e32 v34, v40, v42, vcc
	v_cndmask_b32_e32 v23, v23, v44, vcc
	v_lshlrev_b32_e32 v30, 24, v30
	v_lshlrev_b32_e32 v23, 20, v23
	v_and_b32_e32 v30, 0x80000000, v30
	v_lshl_add_u32 v34, v34, 23, v38
	v_or3_b32 v23, v30, v34, v23
	v_lshrrev_b32_e32 v23, 16, v23
.LBB931_33:                             ;   in Loop: Header=BB931_17 Depth=1
	s_or_b64 exec, exec, s[10:11]
.LBB931_34:                             ;   in Loop: Header=BB931_17 Depth=1
	s_or_b64 exec, exec, s[6:7]
.LBB931_35:                             ;   in Loop: Header=BB931_17 Depth=1
	s_or_b64 exec, exec, s[4:5]
	v_cmp_lt_u32_e32 vcc, s15, v20
	s_and_saveexec_b64 s[4:5], vcc
	s_cbranch_execz .LBB931_41
; %bb.36:                               ;   in Loop: Header=BB931_17 Depth=1
	v_lshrrev_b32_e32 v30, 24, v20
	v_cmp_ne_u32_e32 vcc, s13, v30
	v_mov_b32_e32 v32, 0xffff8000
	s_and_saveexec_b64 s[6:7], vcc
	s_cbranch_execz .LBB931_40
; %bb.37:                               ;   in Loop: Header=BB931_17 Depth=1
	v_bfe_u32 v20, v20, 24, 7
	v_cmp_ne_u32_e32 vcc, s14, v20
	v_mov_b32_e32 v32, 0x7f80
	s_and_saveexec_b64 s[10:11], vcc
	s_cbranch_execz .LBB931_39
; %bb.38:                               ;   in Loop: Header=BB931_17 Depth=1
	v_and_b32_e32 v32, 7, v30
	v_ffbh_u32_e32 v40, v32
	v_min_u32_e32 v40, 32, v40
	v_subrev_u32_e32 v42, 28, v40
	v_lshlrev_b64 v[52:53], v42, v[30:31]
	v_lshrrev_b32_e32 v34, 3, v20
	v_sub_u32_e32 v40, 29, v40
	v_and_b32_e32 v42, 7, v52
	v_cmp_gt_u32_e32 vcc, 8, v20
	v_cndmask_b32_e32 v20, v34, v40, vcc
	v_cndmask_b32_e32 v32, v32, v42, vcc
	v_lshlrev_b32_e32 v30, 24, v30
	v_lshlrev_b32_e32 v32, 20, v32
	v_and_b32_e32 v30, 0x80000000, v30
	v_lshl_add_u32 v20, v20, 23, v38
	v_or3_b32 v20, v30, v20, v32
	v_lshrrev_b32_e32 v32, 16, v20
.LBB931_39:                             ;   in Loop: Header=BB931_17 Depth=1
	s_or_b64 exec, exec, s[10:11]
.LBB931_40:                             ;   in Loop: Header=BB931_17 Depth=1
	s_or_b64 exec, exec, s[6:7]
.LBB931_41:                             ;   in Loop: Header=BB931_17 Depth=1
	s_or_b64 exec, exec, s[4:5]
	s_waitcnt vmcnt(2)
	v_cmp_ne_u16_sdwa s[6:7], v18, v35 src0_sel:BYTE_0 src1_sel:DWORD
	v_mov_b32_e32 v30, 0
	v_mov_b32_e32 v34, 0
	s_and_saveexec_b64 s[4:5], s[6:7]
	s_cbranch_execz .LBB931_47
; %bb.42:                               ;   in Loop: Header=BB931_17 Depth=1
	v_cmp_ne_u16_sdwa s[10:11], v18, s13 src0_sel:BYTE_0 src1_sel:DWORD
	v_mov_b32_e32 v34, 0xffff8000
	s_and_saveexec_b64 s[6:7], s[10:11]
	s_cbranch_execz .LBB931_46
; %bb.43:                               ;   in Loop: Header=BB931_17 Depth=1
	v_and_b32_e32 v20, 0x7f, v18
	v_cmp_ne_u32_e32 vcc, s14, v20
	v_mov_b32_e32 v34, 0x7f80
	s_and_saveexec_b64 s[10:11], vcc
	s_cbranch_execz .LBB931_45
; %bb.44:                               ;   in Loop: Header=BB931_17 Depth=1
	v_and_b32_e32 v34, 7, v18
	v_ffbh_u32_e32 v42, v34
	v_min_u32_e32 v42, 32, v42
	v_subrev_u32_e32 v44, 28, v42
	v_lshlrev_b64 v[52:53], v44, v[18:19]
	v_lshrrev_b32_e32 v40, 3, v20
	v_sub_u32_e32 v42, 29, v42
	v_and_b32_e32 v44, 7, v52
	v_cmp_gt_u32_e32 vcc, 8, v20
	v_cndmask_b32_e32 v20, v40, v42, vcc
	v_cndmask_b32_e32 v34, v34, v44, vcc
	v_lshlrev_b32_e32 v40, 24, v18
	v_lshlrev_b32_e32 v34, 20, v34
	v_and_b32_e32 v40, 0x80000000, v40
	v_lshl_add_u32 v20, v20, 23, v38
	v_or3_b32 v20, v40, v20, v34
	v_lshrrev_b32_e32 v34, 16, v20
.LBB931_45:                             ;   in Loop: Header=BB931_17 Depth=1
	s_or_b64 exec, exec, s[10:11]
.LBB931_46:                             ;   in Loop: Header=BB931_17 Depth=1
	s_or_b64 exec, exec, s[6:7]
.LBB931_47:                             ;   in Loop: Header=BB931_17 Depth=1
	s_or_b64 exec, exec, s[4:5]
	v_lshrrev_b16_e32 v20, 8, v18
	v_cmp_ne_u16_e32 vcc, 0, v20
	s_and_saveexec_b64 s[4:5], vcc
	s_cbranch_execz .LBB931_53
; %bb.48:                               ;   in Loop: Header=BB931_17 Depth=1
	v_cmp_ne_u16_e32 vcc, s13, v20
	v_mov_b32_e32 v30, 0xffff8000
	s_and_saveexec_b64 s[6:7], vcc
	s_cbranch_execz .LBB931_52
; %bb.49:                               ;   in Loop: Header=BB931_17 Depth=1
	v_and_b32_e32 v40, 0x7f, v20
	v_cmp_ne_u32_e32 vcc, s14, v40
	v_mov_b32_e32 v30, 0x7f80
	s_and_saveexec_b64 s[10:11], vcc
	s_cbranch_execz .LBB931_51
; %bb.50:                               ;   in Loop: Header=BB931_17 Depth=1
	v_and_b32_e32 v30, 7, v20
	v_ffbh_u32_e32 v44, v30
	v_min_u32_e32 v44, 32, v44
	v_subrev_u32_e32 v52, 28, v44
	v_lshlrev_b64 v[52:53], v52, v[20:21]
	v_lshrrev_b32_e32 v42, 3, v40
	v_sub_u32_e32 v20, 29, v44
	v_and_b32_e32 v44, 7, v52
	v_cmp_gt_u32_e32 vcc, 8, v40
	v_cndmask_b32_e32 v20, v42, v20, vcc
	v_cndmask_b32_e32 v30, v30, v44, vcc
	v_lshlrev_b32_e32 v40, 16, v18
	v_lshlrev_b32_e32 v30, 20, v30
	v_and_b32_e32 v40, 0x80000000, v40
	v_lshl_add_u32 v20, v20, 23, v38
	v_or3_b32 v20, v40, v20, v30
	v_lshrrev_b32_e32 v30, 16, v20
.LBB931_51:                             ;   in Loop: Header=BB931_17 Depth=1
	s_or_b64 exec, exec, s[10:11]
.LBB931_52:                             ;   in Loop: Header=BB931_17 Depth=1
	s_or_b64 exec, exec, s[6:7]
.LBB931_53:                             ;   in Loop: Header=BB931_17 Depth=1
	s_or_b64 exec, exec, s[4:5]
	v_lshrrev_b32_e32 v20, 16, v18
	v_cmp_ne_u16_sdwa s[6:7], v20, v35 src0_sel:BYTE_0 src1_sel:DWORD
	v_mov_b32_e32 v42, 0
	v_mov_b32_e32 v40, 0
	s_and_saveexec_b64 s[4:5], s[6:7]
	s_cbranch_execz .LBB931_59
; %bb.54:                               ;   in Loop: Header=BB931_17 Depth=1
	v_cmp_ne_u16_sdwa s[10:11], v20, s13 src0_sel:BYTE_0 src1_sel:DWORD
	v_mov_b32_e32 v40, 0xffff8000
	s_and_saveexec_b64 s[6:7], s[10:11]
	s_cbranch_execz .LBB931_58
; %bb.55:                               ;   in Loop: Header=BB931_17 Depth=1
	v_bfe_u32 v44, v18, 16, 7
	v_cmp_ne_u32_e32 vcc, s14, v44
	v_mov_b32_e32 v40, 0x7f80
	s_and_saveexec_b64 s[10:11], vcc
	s_cbranch_execz .LBB931_57
; %bb.56:                               ;   in Loop: Header=BB931_17 Depth=1
	v_and_b32_e32 v40, 7, v20
	v_ffbh_u32_e32 v52, v40
	v_min_u32_e32 v55, 32, v52
	v_subrev_u32_e32 v52, 28, v55
	v_lshlrev_b64 v[52:53], v52, v[20:21]
	v_lshrrev_b32_e32 v54, 3, v44
	v_sub_u32_e32 v53, 29, v55
	v_and_b32_e32 v52, 7, v52
	v_cmp_gt_u32_e32 vcc, 8, v44
	v_cndmask_b32_e32 v44, v54, v53, vcc
	v_cndmask_b32_e32 v40, v40, v52, vcc
	v_lshlrev_b32_e32 v20, 24, v20
	v_lshlrev_b32_e32 v40, 20, v40
	v_and_b32_e32 v20, 0x80000000, v20
	v_lshl_add_u32 v44, v44, 23, v38
	v_or3_b32 v20, v20, v44, v40
	v_lshrrev_b32_e32 v40, 16, v20
.LBB931_57:                             ;   in Loop: Header=BB931_17 Depth=1
	s_or_b64 exec, exec, s[10:11]
.LBB931_58:                             ;   in Loop: Header=BB931_17 Depth=1
	s_or_b64 exec, exec, s[6:7]
.LBB931_59:                             ;   in Loop: Header=BB931_17 Depth=1
	s_or_b64 exec, exec, s[4:5]
	v_cmp_lt_u32_e32 vcc, s15, v18
	s_and_saveexec_b64 s[4:5], vcc
	s_cbranch_execz .LBB931_65
; %bb.60:                               ;   in Loop: Header=BB931_17 Depth=1
	v_lshrrev_b32_e32 v20, 24, v18
	v_cmp_ne_u32_e32 vcc, s13, v20
	v_mov_b32_e32 v42, 0xffff8000
	s_and_saveexec_b64 s[6:7], vcc
	s_cbranch_execz .LBB931_64
; %bb.61:                               ;   in Loop: Header=BB931_17 Depth=1
	v_bfe_u32 v18, v18, 24, 7
	v_cmp_ne_u32_e32 vcc, s14, v18
	v_mov_b32_e32 v42, 0x7f80
	s_and_saveexec_b64 s[10:11], vcc
	s_cbranch_execz .LBB931_63
; %bb.62:                               ;   in Loop: Header=BB931_17 Depth=1
	v_and_b32_e32 v42, 7, v20
	v_ffbh_u32_e32 v52, v42
	v_min_u32_e32 v54, 32, v52
	v_subrev_u32_e32 v52, 28, v54
	v_lshlrev_b64 v[52:53], v52, v[20:21]
	v_lshrrev_b32_e32 v44, 3, v18
	v_sub_u32_e32 v53, 29, v54
	v_and_b32_e32 v52, 7, v52
	v_cmp_gt_u32_e32 vcc, 8, v18
	v_cndmask_b32_e32 v18, v44, v53, vcc
	v_cndmask_b32_e32 v42, v42, v52, vcc
	v_lshlrev_b32_e32 v20, 24, v20
	v_lshlrev_b32_e32 v42, 20, v42
	v_and_b32_e32 v20, 0x80000000, v20
	v_lshl_add_u32 v18, v18, 23, v38
	v_or3_b32 v18, v20, v18, v42
	v_lshrrev_b32_e32 v42, 16, v18
.LBB931_63:                             ;   in Loop: Header=BB931_17 Depth=1
	s_or_b64 exec, exec, s[10:11]
.LBB931_64:                             ;   in Loop: Header=BB931_17 Depth=1
	s_or_b64 exec, exec, s[6:7]
.LBB931_65:                             ;   in Loop: Header=BB931_17 Depth=1
	s_or_b64 exec, exec, s[4:5]
	v_perm_b32 v53, v32, v23, s16
	v_perm_b32 v52, v19, v21, s16
	s_waitcnt vmcnt(1)
	v_cmp_ne_u16_sdwa s[6:7], v28, v35 src0_sel:BYTE_0 src1_sel:DWORD
	v_mov_b32_e32 v23, 0
	v_mov_b32_e32 v32, 0
	v_mfma_f32_16x16x16bf16_1k v[18:21], v[52:53], v[2:3], 0
	v_perm_b32 v53, v42, v40, s16
	v_perm_b32 v52, v30, v34, s16
	s_nop 1
	v_mfma_f32_16x16x16bf16_1k v[18:21], v[52:53], v[4:5], v[18:21]
	s_and_saveexec_b64 s[4:5], s[6:7]
	s_cbranch_execz .LBB931_71
; %bb.66:                               ;   in Loop: Header=BB931_17 Depth=1
	v_cmp_ne_u16_sdwa s[10:11], v28, s13 src0_sel:BYTE_0 src1_sel:DWORD
	v_mov_b32_e32 v32, 0xffff8000
	s_and_saveexec_b64 s[6:7], s[10:11]
	s_cbranch_execz .LBB931_70
; %bb.67:                               ;   in Loop: Header=BB931_17 Depth=1
	v_and_b32_e32 v30, 0x7f, v28
	v_cmp_ne_u32_e32 vcc, s14, v30
	v_mov_b32_e32 v32, 0x7f80
	s_and_saveexec_b64 s[10:11], vcc
	s_cbranch_execz .LBB931_69
; %bb.68:                               ;   in Loop: Header=BB931_17 Depth=1
	v_and_b32_e32 v32, 7, v28
	v_ffbh_u32_e32 v40, v32
	v_min_u32_e32 v40, 32, v40
	v_subrev_u32_e32 v42, 28, v40
	v_lshlrev_b64 v[52:53], v42, v[28:29]
	v_lshrrev_b32_e32 v34, 3, v30
	v_sub_u32_e32 v40, 29, v40
	v_and_b32_e32 v42, 7, v52
	v_cmp_gt_u32_e32 vcc, 8, v30
	v_cndmask_b32_e32 v30, v34, v40, vcc
	v_cndmask_b32_e32 v32, v32, v42, vcc
	v_lshlrev_b32_e32 v34, 24, v28
	v_lshlrev_b32_e32 v32, 20, v32
	v_and_b32_e32 v34, 0x80000000, v34
	v_lshl_add_u32 v30, v30, 23, v38
	v_or3_b32 v30, v34, v30, v32
	v_lshrrev_b32_e32 v32, 16, v30
.LBB931_69:                             ;   in Loop: Header=BB931_17 Depth=1
	s_or_b64 exec, exec, s[10:11]
.LBB931_70:                             ;   in Loop: Header=BB931_17 Depth=1
	s_or_b64 exec, exec, s[6:7]
.LBB931_71:                             ;   in Loop: Header=BB931_17 Depth=1
	s_or_b64 exec, exec, s[4:5]
	v_lshrrev_b16_e32 v30, 8, v28
	v_cmp_ne_u16_e32 vcc, 0, v30
	s_and_saveexec_b64 s[4:5], vcc
	s_cbranch_execz .LBB931_77
; %bb.72:                               ;   in Loop: Header=BB931_17 Depth=1
	v_cmp_ne_u16_e32 vcc, s13, v30
	v_mov_b32_e32 v23, 0xffff8000
	s_and_saveexec_b64 s[6:7], vcc
	s_cbranch_execz .LBB931_76
; %bb.73:                               ;   in Loop: Header=BB931_17 Depth=1
	v_and_b32_e32 v34, 0x7f, v30
	v_cmp_ne_u32_e32 vcc, s14, v34
	v_mov_b32_e32 v23, 0x7f80
	s_and_saveexec_b64 s[10:11], vcc
	s_cbranch_execz .LBB931_75
; %bb.74:                               ;   in Loop: Header=BB931_17 Depth=1
	v_and_b32_e32 v23, 7, v30
	v_ffbh_u32_e32 v42, v23
	v_min_u32_e32 v42, 32, v42
	v_subrev_u32_e32 v44, 28, v42
	v_lshlrev_b64 v[52:53], v44, v[30:31]
	v_lshrrev_b32_e32 v40, 3, v34
	v_sub_u32_e32 v30, 29, v42
	v_and_b32_e32 v42, 7, v52
	v_cmp_gt_u32_e32 vcc, 8, v34
	v_cndmask_b32_e32 v30, v40, v30, vcc
	v_cndmask_b32_e32 v23, v23, v42, vcc
	v_lshlrev_b32_e32 v34, 16, v28
	v_lshlrev_b32_e32 v23, 20, v23
	v_and_b32_e32 v34, 0x80000000, v34
	v_lshl_add_u32 v30, v30, 23, v38
	v_or3_b32 v23, v34, v30, v23
	v_lshrrev_b32_e32 v23, 16, v23
.LBB931_75:                             ;   in Loop: Header=BB931_17 Depth=1
	s_or_b64 exec, exec, s[10:11]
.LBB931_76:                             ;   in Loop: Header=BB931_17 Depth=1
	s_or_b64 exec, exec, s[6:7]
.LBB931_77:                             ;   in Loop: Header=BB931_17 Depth=1
	s_or_b64 exec, exec, s[4:5]
	v_lshrrev_b32_e32 v30, 16, v28
	v_cmp_ne_u16_sdwa s[6:7], v30, v35 src0_sel:BYTE_0 src1_sel:DWORD
	v_mov_b32_e32 v40, 0
	v_mov_b32_e32 v34, 0
	s_and_saveexec_b64 s[4:5], s[6:7]
	s_cbranch_execz .LBB931_83
; %bb.78:                               ;   in Loop: Header=BB931_17 Depth=1
	v_cmp_ne_u16_sdwa s[10:11], v30, s13 src0_sel:BYTE_0 src1_sel:DWORD
	v_mov_b32_e32 v34, 0xffff8000
	s_and_saveexec_b64 s[6:7], s[10:11]
	s_cbranch_execz .LBB931_82
; %bb.79:                               ;   in Loop: Header=BB931_17 Depth=1
	v_bfe_u32 v42, v28, 16, 7
	v_cmp_ne_u32_e32 vcc, s14, v42
	v_mov_b32_e32 v34, 0x7f80
	s_and_saveexec_b64 s[10:11], vcc
	s_cbranch_execz .LBB931_81
; %bb.80:                               ;   in Loop: Header=BB931_17 Depth=1
	v_and_b32_e32 v34, 7, v30
	v_ffbh_u32_e32 v52, v34
	v_min_u32_e32 v54, 32, v52
	v_subrev_u32_e32 v52, 28, v54
	v_lshlrev_b64 v[52:53], v52, v[30:31]
	v_lshrrev_b32_e32 v44, 3, v42
	v_sub_u32_e32 v53, 29, v54
	v_and_b32_e32 v52, 7, v52
	v_cmp_gt_u32_e32 vcc, 8, v42
	v_cndmask_b32_e32 v42, v44, v53, vcc
	v_cndmask_b32_e32 v34, v34, v52, vcc
	v_lshlrev_b32_e32 v30, 24, v30
	v_lshlrev_b32_e32 v34, 20, v34
	v_and_b32_e32 v30, 0x80000000, v30
	v_lshl_add_u32 v42, v42, 23, v38
	v_or3_b32 v30, v30, v42, v34
	v_lshrrev_b32_e32 v34, 16, v30
.LBB931_81:                             ;   in Loop: Header=BB931_17 Depth=1
	s_or_b64 exec, exec, s[10:11]
.LBB931_82:                             ;   in Loop: Header=BB931_17 Depth=1
	s_or_b64 exec, exec, s[6:7]
.LBB931_83:                             ;   in Loop: Header=BB931_17 Depth=1
	s_or_b64 exec, exec, s[4:5]
	v_cmp_lt_u32_e32 vcc, s15, v28
	s_and_saveexec_b64 s[4:5], vcc
	s_cbranch_execz .LBB931_89
; %bb.84:                               ;   in Loop: Header=BB931_17 Depth=1
	v_lshrrev_b32_e32 v30, 24, v28
	v_cmp_ne_u32_e32 vcc, s13, v30
	v_mov_b32_e32 v40, 0xffff8000
	s_and_saveexec_b64 s[6:7], vcc
	s_cbranch_execz .LBB931_88
; %bb.85:                               ;   in Loop: Header=BB931_17 Depth=1
	v_bfe_u32 v28, v28, 24, 7
	v_cmp_ne_u32_e32 vcc, s14, v28
	v_mov_b32_e32 v40, 0x7f80
	s_and_saveexec_b64 s[10:11], vcc
	s_cbranch_execz .LBB931_87
; %bb.86:                               ;   in Loop: Header=BB931_17 Depth=1
	v_and_b32_e32 v40, 7, v30
	v_ffbh_u32_e32 v44, v40
	v_min_u32_e32 v44, 32, v44
	v_subrev_u32_e32 v52, 28, v44
	v_lshlrev_b64 v[52:53], v52, v[30:31]
	v_lshrrev_b32_e32 v42, 3, v28
	v_sub_u32_e32 v44, 29, v44
	v_and_b32_e32 v52, 7, v52
	v_cmp_gt_u32_e32 vcc, 8, v28
	v_cndmask_b32_e32 v28, v42, v44, vcc
	v_cndmask_b32_e32 v40, v40, v52, vcc
	v_lshlrev_b32_e32 v30, 24, v30
	v_lshlrev_b32_e32 v40, 20, v40
	v_and_b32_e32 v30, 0x80000000, v30
	v_lshl_add_u32 v28, v28, 23, v38
	v_or3_b32 v28, v30, v28, v40
	v_lshrrev_b32_e32 v40, 16, v28
.LBB931_87:                             ;   in Loop: Header=BB931_17 Depth=1
	s_or_b64 exec, exec, s[10:11]
.LBB931_88:                             ;   in Loop: Header=BB931_17 Depth=1
	s_or_b64 exec, exec, s[6:7]
.LBB931_89:                             ;   in Loop: Header=BB931_17 Depth=1
	s_or_b64 exec, exec, s[4:5]
	s_waitcnt vmcnt(0)
	v_cmp_ne_u16_sdwa s[6:7], v26, v35 src0_sel:BYTE_0 src1_sel:DWORD
	v_mov_b32_e32 v42, 0
	v_mov_b32_e32 v44, 0
	s_and_saveexec_b64 s[4:5], s[6:7]
	s_cbranch_execz .LBB931_95
; %bb.90:                               ;   in Loop: Header=BB931_17 Depth=1
	v_cmp_ne_u16_sdwa s[10:11], v26, s13 src0_sel:BYTE_0 src1_sel:DWORD
	v_mov_b32_e32 v44, 0xffff8000
	s_and_saveexec_b64 s[6:7], s[10:11]
	s_cbranch_execz .LBB931_94
; %bb.91:                               ;   in Loop: Header=BB931_17 Depth=1
	v_and_b32_e32 v28, 0x7f, v26
	v_cmp_ne_u32_e32 vcc, s14, v28
	v_mov_b32_e32 v44, 0x7f80
	s_and_saveexec_b64 s[10:11], vcc
	s_cbranch_execz .LBB931_93
; %bb.92:                               ;   in Loop: Header=BB931_17 Depth=1
	v_and_b32_e32 v30, 7, v26
	v_ffbh_u32_e32 v52, v30
	v_min_u32_e32 v54, 32, v52
	v_subrev_u32_e32 v52, 28, v54
	v_lshlrev_b64 v[52:53], v52, v[26:27]
	v_lshrrev_b32_e32 v44, 3, v28
	v_sub_u32_e32 v53, 29, v54
	v_and_b32_e32 v52, 7, v52
	v_cmp_gt_u32_e32 vcc, 8, v28
	v_cndmask_b32_e32 v28, v44, v53, vcc
	v_cndmask_b32_e32 v30, v30, v52, vcc
	v_lshlrev_b32_e32 v44, 24, v26
	v_lshlrev_b32_e32 v30, 20, v30
	v_and_b32_e32 v44, 0x80000000, v44
	v_lshl_add_u32 v28, v28, 23, v38
	v_or3_b32 v28, v44, v28, v30
	v_lshrrev_b32_e32 v44, 16, v28
.LBB931_93:                             ;   in Loop: Header=BB931_17 Depth=1
	s_or_b64 exec, exec, s[10:11]
.LBB931_94:                             ;   in Loop: Header=BB931_17 Depth=1
	s_or_b64 exec, exec, s[6:7]
.LBB931_95:                             ;   in Loop: Header=BB931_17 Depth=1
	s_or_b64 exec, exec, s[4:5]
	v_lshrrev_b16_e32 v28, 8, v26
	v_cmp_ne_u16_e32 vcc, 0, v28
	s_and_saveexec_b64 s[4:5], vcc
	s_cbranch_execz .LBB931_101
; %bb.96:                               ;   in Loop: Header=BB931_17 Depth=1
	v_cmp_ne_u16_e32 vcc, s13, v28
	v_mov_b32_e32 v42, 0xffff8000
	s_and_saveexec_b64 s[6:7], vcc
	s_cbranch_execz .LBB931_100
; %bb.97:                               ;   in Loop: Header=BB931_17 Depth=1
	v_and_b32_e32 v30, 0x7f, v28
	v_cmp_ne_u32_e32 vcc, s14, v30
	v_mov_b32_e32 v42, 0x7f80
	s_and_saveexec_b64 s[10:11], vcc
	s_cbranch_execz .LBB931_99
; %bb.98:                               ;   in Loop: Header=BB931_17 Depth=1
	v_and_b32_e32 v42, 7, v28
	v_ffbh_u32_e32 v52, v42
	v_min_u32_e32 v55, 32, v52
	v_subrev_u32_e32 v52, 28, v55
	v_lshlrev_b64 v[52:53], v52, v[28:29]
	v_lshrrev_b32_e32 v54, 3, v30
	v_sub_u32_e32 v28, 29, v55
	v_and_b32_e32 v52, 7, v52
	v_cmp_gt_u32_e32 vcc, 8, v30
	v_cndmask_b32_e32 v28, v54, v28, vcc
	v_cndmask_b32_e32 v30, v42, v52, vcc
	v_lshlrev_b32_e32 v42, 16, v26
	v_lshlrev_b32_e32 v30, 20, v30
	v_and_b32_e32 v42, 0x80000000, v42
	v_lshl_add_u32 v28, v28, 23, v38
	v_or3_b32 v28, v42, v28, v30
	v_lshrrev_b32_e32 v42, 16, v28
.LBB931_99:                             ;   in Loop: Header=BB931_17 Depth=1
	s_or_b64 exec, exec, s[10:11]
.LBB931_100:                            ;   in Loop: Header=BB931_17 Depth=1
	s_or_b64 exec, exec, s[6:7]
.LBB931_101:                            ;   in Loop: Header=BB931_17 Depth=1
	s_or_b64 exec, exec, s[4:5]
	v_lshrrev_b32_e32 v28, 16, v26
	v_cmp_ne_u16_sdwa s[6:7], v28, v35 src0_sel:BYTE_0 src1_sel:DWORD
	v_mov_b32_e32 v53, 0
	v_mov_b32_e32 v52, 0
	s_and_saveexec_b64 s[4:5], s[6:7]
	s_cbranch_execz .LBB931_107
; %bb.102:                              ;   in Loop: Header=BB931_17 Depth=1
	v_cmp_ne_u16_sdwa s[10:11], v28, s13 src0_sel:BYTE_0 src1_sel:DWORD
	v_mov_b32_e32 v52, 0xffff8000
	s_and_saveexec_b64 s[6:7], s[10:11]
	s_cbranch_execz .LBB931_106
; %bb.103:                              ;   in Loop: Header=BB931_17 Depth=1
	v_bfe_u32 v30, v26, 16, 7
	v_cmp_ne_u32_e32 vcc, s14, v30
	v_mov_b32_e32 v52, 0x7f80
	s_and_saveexec_b64 s[10:11], vcc
	s_cbranch_execz .LBB931_105
; %bb.104:                              ;   in Loop: Header=BB931_17 Depth=1
	v_and_b32_e32 v52, 7, v28
	v_ffbh_u32_e32 v54, v52
	v_min_u32_e32 v57, 32, v54
	v_subrev_u32_e32 v54, 28, v57
	v_lshlrev_b64 v[54:55], v54, v[28:29]
	v_lshrrev_b32_e32 v56, 3, v30
	v_sub_u32_e32 v55, 29, v57
	v_and_b32_e32 v54, 7, v54
	v_cmp_gt_u32_e32 vcc, 8, v30
	v_cndmask_b32_e32 v30, v56, v55, vcc
	v_cndmask_b32_e32 v52, v52, v54, vcc
	v_lshlrev_b32_e32 v28, 24, v28
	v_lshlrev_b32_e32 v52, 20, v52
	v_and_b32_e32 v28, 0x80000000, v28
	v_lshl_add_u32 v30, v30, 23, v38
	v_or3_b32 v28, v28, v30, v52
	v_lshrrev_b32_e32 v52, 16, v28
.LBB931_105:                            ;   in Loop: Header=BB931_17 Depth=1
	s_or_b64 exec, exec, s[10:11]
.LBB931_106:                            ;   in Loop: Header=BB931_17 Depth=1
	s_or_b64 exec, exec, s[6:7]
.LBB931_107:                            ;   in Loop: Header=BB931_17 Depth=1
	s_or_b64 exec, exec, s[4:5]
	v_cmp_lt_u32_e32 vcc, s15, v26
	s_and_saveexec_b64 s[4:5], vcc
	s_cbranch_execz .LBB931_113
; %bb.108:                              ;   in Loop: Header=BB931_17 Depth=1
	v_lshrrev_b32_e32 v28, 24, v26
	v_cmp_ne_u32_e32 vcc, s13, v28
	v_mov_b32_e32 v53, 0xffff8000
	s_and_saveexec_b64 s[6:7], vcc
	s_cbranch_execz .LBB931_112
; %bb.109:                              ;   in Loop: Header=BB931_17 Depth=1
	v_bfe_u32 v26, v26, 24, 7
	v_cmp_ne_u32_e32 vcc, s14, v26
	v_mov_b32_e32 v53, 0x7f80
	s_and_saveexec_b64 s[10:11], vcc
	s_cbranch_execz .LBB931_111
; %bb.110:                              ;   in Loop: Header=BB931_17 Depth=1
	v_and_b32_e32 v30, 7, v28
	v_ffbh_u32_e32 v54, v30
	v_min_u32_e32 v56, 32, v54
	v_subrev_u32_e32 v54, 28, v56
	v_lshlrev_b64 v[54:55], v54, v[28:29]
	v_lshrrev_b32_e32 v53, 3, v26
	v_sub_u32_e32 v55, 29, v56
	v_and_b32_e32 v54, 7, v54
	v_cmp_gt_u32_e32 vcc, 8, v26
	v_cndmask_b32_e32 v26, v53, v55, vcc
	v_cndmask_b32_e32 v30, v30, v54, vcc
	v_lshlrev_b32_e32 v28, 24, v28
	v_lshlrev_b32_e32 v30, 20, v30
	v_and_b32_e32 v28, 0x80000000, v28
	v_lshl_add_u32 v26, v26, 23, v38
	v_or3_b32 v26, v28, v26, v30
	v_lshrrev_b32_e32 v53, 16, v26
.LBB931_111:                            ;   in Loop: Header=BB931_17 Depth=1
	s_or_b64 exec, exec, s[10:11]
.LBB931_112:                            ;   in Loop: Header=BB931_17 Depth=1
	s_or_b64 exec, exec, s[6:7]
.LBB931_113:                            ;   in Loop: Header=BB931_17 Depth=1
	s_or_b64 exec, exec, s[4:5]
	v_perm_b32 v54, v23, v32, s16
	buffer_load_dword v32, v36, s[0:3], 0 offen offset:16
	buffer_load_dword v30, v36, s[0:3], 0 offen offset:20
	;; [unrolled: 1-line block ×4, first 2 shown]
	v_perm_b32 v55, v40, v34, s16
	v_perm_b32 v53, v53, v52, s16
	;; [unrolled: 1-line block ×3, first 2 shown]
	v_mfma_f32_16x16x16bf16_1k v[18:21], v[54:55], v[6:7], v[18:21]
	v_mov_b32_e32 v23, 0
	v_mov_b32_e32 v40, 0
	s_waitcnt vmcnt(3)
	v_cmp_ne_u16_sdwa s[6:7], v32, v35 src0_sel:BYTE_0 src1_sel:DWORD
	v_mfma_f32_16x16x16bf16_1k v[18:21], v[52:53], v[8:9], v[18:21]
	s_and_saveexec_b64 s[4:5], s[6:7]
	s_cbranch_execz .LBB931_119
; %bb.114:                              ;   in Loop: Header=BB931_17 Depth=1
	v_cmp_ne_u16_sdwa s[10:11], v32, s13 src0_sel:BYTE_0 src1_sel:DWORD
	v_mov_b32_e32 v40, 0xffff8000
	s_and_saveexec_b64 s[6:7], s[10:11]
	s_cbranch_execz .LBB931_118
; %bb.115:                              ;   in Loop: Header=BB931_17 Depth=1
	v_and_b32_e32 v34, 0x7f, v32
	v_cmp_ne_u32_e32 vcc, s14, v34
	v_mov_b32_e32 v40, 0x7f80
	s_and_saveexec_b64 s[10:11], vcc
	s_cbranch_execz .LBB931_117
; %bb.116:                              ;   in Loop: Header=BB931_17 Depth=1
	v_and_b32_e32 v40, 7, v32
	v_ffbh_u32_e32 v44, v40
	v_min_u32_e32 v44, 32, v44
	v_subrev_u32_e32 v52, 28, v44
	v_lshlrev_b64 v[52:53], v52, v[32:33]
	v_lshrrev_b32_e32 v42, 3, v34
	v_sub_u32_e32 v44, 29, v44
	v_and_b32_e32 v52, 7, v52
	v_cmp_gt_u32_e32 vcc, 8, v34
	v_cndmask_b32_e32 v34, v42, v44, vcc
	v_cndmask_b32_e32 v40, v40, v52, vcc
	v_lshlrev_b32_e32 v42, 24, v32
	v_lshlrev_b32_e32 v40, 20, v40
	v_and_b32_e32 v42, 0x80000000, v42
	v_lshl_add_u32 v34, v34, 23, v38
	v_or3_b32 v34, v42, v34, v40
	v_lshrrev_b32_e32 v40, 16, v34
.LBB931_117:                            ;   in Loop: Header=BB931_17 Depth=1
	s_or_b64 exec, exec, s[10:11]
.LBB931_118:                            ;   in Loop: Header=BB931_17 Depth=1
	s_or_b64 exec, exec, s[6:7]
.LBB931_119:                            ;   in Loop: Header=BB931_17 Depth=1
	s_or_b64 exec, exec, s[4:5]
	v_lshrrev_b16_e32 v34, 8, v32
	v_cmp_ne_u16_e32 vcc, 0, v34
	s_and_saveexec_b64 s[4:5], vcc
	s_cbranch_execz .LBB931_125
; %bb.120:                              ;   in Loop: Header=BB931_17 Depth=1
	v_cmp_ne_u16_e32 vcc, s13, v34
	v_mov_b32_e32 v23, 0xffff8000
	s_and_saveexec_b64 s[6:7], vcc
	s_cbranch_execz .LBB931_124
; %bb.121:                              ;   in Loop: Header=BB931_17 Depth=1
	v_and_b32_e32 v42, 0x7f, v34
	v_cmp_ne_u32_e32 vcc, s14, v42
	v_mov_b32_e32 v23, 0x7f80
	s_and_saveexec_b64 s[10:11], vcc
	s_cbranch_execz .LBB931_123
; %bb.122:                              ;   in Loop: Header=BB931_17 Depth=1
	v_and_b32_e32 v23, 7, v34
	v_ffbh_u32_e32 v52, v23
	v_min_u32_e32 v54, 32, v52
	v_subrev_u32_e32 v52, 28, v54
	v_lshlrev_b64 v[52:53], v52, v[34:35]
	v_lshrrev_b32_e32 v44, 3, v42
	v_sub_u32_e32 v34, 29, v54
	v_and_b32_e32 v52, 7, v52
	v_cmp_gt_u32_e32 vcc, 8, v42
	v_cndmask_b32_e32 v34, v44, v34, vcc
	v_cndmask_b32_e32 v23, v23, v52, vcc
	v_lshlrev_b32_e32 v42, 16, v32
	v_lshlrev_b32_e32 v23, 20, v23
	v_and_b32_e32 v42, 0x80000000, v42
	v_lshl_add_u32 v34, v34, 23, v38
	v_or3_b32 v23, v42, v34, v23
	v_lshrrev_b32_e32 v23, 16, v23
.LBB931_123:                            ;   in Loop: Header=BB931_17 Depth=1
	s_or_b64 exec, exec, s[10:11]
.LBB931_124:                            ;   in Loop: Header=BB931_17 Depth=1
	s_or_b64 exec, exec, s[6:7]
.LBB931_125:                            ;   in Loop: Header=BB931_17 Depth=1
	s_or_b64 exec, exec, s[4:5]
	v_lshrrev_b32_e32 v34, 16, v32
	v_cmp_ne_u16_sdwa s[6:7], v34, v35 src0_sel:BYTE_0 src1_sel:DWORD
	v_mov_b32_e32 v44, 0
	v_mov_b32_e32 v42, 0
	s_and_saveexec_b64 s[4:5], s[6:7]
	s_cbranch_execz .LBB931_131
; %bb.126:                              ;   in Loop: Header=BB931_17 Depth=1
	v_cmp_ne_u16_sdwa s[10:11], v34, s13 src0_sel:BYTE_0 src1_sel:DWORD
	v_mov_b32_e32 v42, 0xffff8000
	s_and_saveexec_b64 s[6:7], s[10:11]
	s_cbranch_execz .LBB931_130
; %bb.127:                              ;   in Loop: Header=BB931_17 Depth=1
	v_bfe_u32 v52, v32, 16, 7
	v_cmp_ne_u32_e32 vcc, s14, v52
	v_mov_b32_e32 v42, 0x7f80
	s_and_saveexec_b64 s[10:11], vcc
	s_cbranch_execz .LBB931_129
; %bb.128:                              ;   in Loop: Header=BB931_17 Depth=1
	v_and_b32_e32 v42, 7, v34
	v_ffbh_u32_e32 v54, v42
	v_min_u32_e32 v56, 32, v54
	v_subrev_u32_e32 v54, 28, v56
	v_lshlrev_b64 v[54:55], v54, v[34:35]
	v_lshrrev_b32_e32 v53, 3, v52
	v_sub_u32_e32 v55, 29, v56
	v_and_b32_e32 v54, 7, v54
	v_cmp_gt_u32_e32 vcc, 8, v52
	v_cndmask_b32_e32 v52, v53, v55, vcc
	v_cndmask_b32_e32 v42, v42, v54, vcc
	v_lshlrev_b32_e32 v34, 24, v34
	v_lshlrev_b32_e32 v42, 20, v42
	v_and_b32_e32 v34, 0x80000000, v34
	v_lshl_add_u32 v52, v52, 23, v38
	v_or3_b32 v34, v34, v52, v42
	v_lshrrev_b32_e32 v42, 16, v34
.LBB931_129:                            ;   in Loop: Header=BB931_17 Depth=1
	s_or_b64 exec, exec, s[10:11]
.LBB931_130:                            ;   in Loop: Header=BB931_17 Depth=1
	s_or_b64 exec, exec, s[6:7]
.LBB931_131:                            ;   in Loop: Header=BB931_17 Depth=1
	s_or_b64 exec, exec, s[4:5]
	v_cmp_lt_u32_e32 vcc, s15, v32
	s_and_saveexec_b64 s[4:5], vcc
	s_cbranch_execz .LBB931_137
; %bb.132:                              ;   in Loop: Header=BB931_17 Depth=1
	v_lshrrev_b32_e32 v34, 24, v32
	v_cmp_ne_u32_e32 vcc, s13, v34
	v_mov_b32_e32 v44, 0xffff8000
	s_and_saveexec_b64 s[6:7], vcc
	s_cbranch_execz .LBB931_136
; %bb.133:                              ;   in Loop: Header=BB931_17 Depth=1
	v_bfe_u32 v32, v32, 24, 7
	v_cmp_ne_u32_e32 vcc, s14, v32
	v_mov_b32_e32 v44, 0x7f80
	s_and_saveexec_b64 s[10:11], vcc
	s_cbranch_execz .LBB931_135
; %bb.134:                              ;   in Loop: Header=BB931_17 Depth=1
	v_and_b32_e32 v44, 7, v34
	v_ffbh_u32_e32 v52, v44
	v_min_u32_e32 v55, 32, v52
	v_subrev_u32_e32 v52, 28, v55
	v_lshlrev_b64 v[52:53], v52, v[34:35]
	v_lshrrev_b32_e32 v54, 3, v32
	v_sub_u32_e32 v53, 29, v55
	v_and_b32_e32 v52, 7, v52
	v_cmp_gt_u32_e32 vcc, 8, v32
	v_cndmask_b32_e32 v32, v54, v53, vcc
	v_cndmask_b32_e32 v44, v44, v52, vcc
	v_lshlrev_b32_e32 v34, 24, v34
	v_lshlrev_b32_e32 v44, 20, v44
	v_and_b32_e32 v34, 0x80000000, v34
	v_lshl_add_u32 v32, v32, 23, v38
	v_or3_b32 v32, v34, v32, v44
	v_lshrrev_b32_e32 v44, 16, v32
.LBB931_135:                            ;   in Loop: Header=BB931_17 Depth=1
	s_or_b64 exec, exec, s[10:11]
.LBB931_136:                            ;   in Loop: Header=BB931_17 Depth=1
	s_or_b64 exec, exec, s[6:7]
.LBB931_137:                            ;   in Loop: Header=BB931_17 Depth=1
	s_or_b64 exec, exec, s[4:5]
	s_waitcnt vmcnt(2)
	v_cmp_ne_u16_sdwa s[6:7], v30, v35 src0_sel:BYTE_0 src1_sel:DWORD
	v_mov_b32_e32 v34, 0
	v_mov_b32_e32 v52, 0
	s_and_saveexec_b64 s[4:5], s[6:7]
	s_cbranch_execz .LBB931_143
; %bb.138:                              ;   in Loop: Header=BB931_17 Depth=1
	v_cmp_ne_u16_sdwa s[10:11], v30, s13 src0_sel:BYTE_0 src1_sel:DWORD
	v_mov_b32_e32 v52, 0xffff8000
	s_and_saveexec_b64 s[6:7], s[10:11]
	s_cbranch_execz .LBB931_142
; %bb.139:                              ;   in Loop: Header=BB931_17 Depth=1
	v_and_b32_e32 v32, 0x7f, v30
	v_cmp_ne_u32_e32 vcc, s14, v32
	v_mov_b32_e32 v52, 0x7f80
	s_and_saveexec_b64 s[10:11], vcc
	s_cbranch_execz .LBB931_141
; %bb.140:                              ;   in Loop: Header=BB931_17 Depth=1
	v_and_b32_e32 v54, 7, v30
	v_ffbh_u32_e32 v52, v54
	v_min_u32_e32 v56, 32, v52
	v_subrev_u32_e32 v52, 28, v56
	v_lshlrev_b64 v[52:53], v52, v[30:31]
	v_lshrrev_b32_e32 v55, 3, v32
	v_sub_u32_e32 v53, 29, v56
	v_and_b32_e32 v52, 7, v52
	v_cmp_gt_u32_e32 vcc, 8, v32
	v_cndmask_b32_e32 v32, v55, v53, vcc
	v_cndmask_b32_e32 v52, v54, v52, vcc
	v_lshlrev_b32_e32 v53, 24, v30
	v_lshlrev_b32_e32 v52, 20, v52
	v_and_b32_e32 v53, 0x80000000, v53
	v_lshl_add_u32 v32, v32, 23, v38
	v_or3_b32 v32, v53, v32, v52
	v_lshrrev_b32_e32 v52, 16, v32
.LBB931_141:                            ;   in Loop: Header=BB931_17 Depth=1
	s_or_b64 exec, exec, s[10:11]
.LBB931_142:                            ;   in Loop: Header=BB931_17 Depth=1
	s_or_b64 exec, exec, s[6:7]
.LBB931_143:                            ;   in Loop: Header=BB931_17 Depth=1
	s_or_b64 exec, exec, s[4:5]
	v_lshrrev_b16_e32 v32, 8, v30
	v_cmp_ne_u16_e32 vcc, 0, v32
	s_and_saveexec_b64 s[4:5], vcc
	s_cbranch_execz .LBB931_149
; %bb.144:                              ;   in Loop: Header=BB931_17 Depth=1
	v_cmp_ne_u16_e32 vcc, s13, v32
	v_mov_b32_e32 v34, 0xffff8000
	s_and_saveexec_b64 s[6:7], vcc
	s_cbranch_execz .LBB931_148
; %bb.145:                              ;   in Loop: Header=BB931_17 Depth=1
	v_and_b32_e32 v53, 0x7f, v32
	v_cmp_ne_u32_e32 vcc, s14, v53
	v_mov_b32_e32 v34, 0x7f80
	s_and_saveexec_b64 s[10:11], vcc
	s_cbranch_execz .LBB931_147
; %bb.146:                              ;   in Loop: Header=BB931_17 Depth=1
	v_and_b32_e32 v34, 7, v32
	v_ffbh_u32_e32 v54, v34
	v_min_u32_e32 v57, 32, v54
	v_subrev_u32_e32 v54, 28, v57
	v_lshlrev_b64 v[54:55], v54, v[32:33]
	v_lshrrev_b32_e32 v56, 3, v53
	v_sub_u32_e32 v32, 29, v57
	v_and_b32_e32 v54, 7, v54
	v_cmp_gt_u32_e32 vcc, 8, v53
	v_cndmask_b32_e32 v32, v56, v32, vcc
	v_cndmask_b32_e32 v34, v34, v54, vcc
	v_lshlrev_b32_e32 v53, 16, v30
	v_lshlrev_b32_e32 v34, 20, v34
	v_and_b32_e32 v53, 0x80000000, v53
	v_lshl_add_u32 v32, v32, 23, v38
	v_or3_b32 v32, v53, v32, v34
	v_lshrrev_b32_e32 v34, 16, v32
.LBB931_147:                            ;   in Loop: Header=BB931_17 Depth=1
	s_or_b64 exec, exec, s[10:11]
.LBB931_148:                            ;   in Loop: Header=BB931_17 Depth=1
	s_or_b64 exec, exec, s[6:7]
.LBB931_149:                            ;   in Loop: Header=BB931_17 Depth=1
	s_or_b64 exec, exec, s[4:5]
	v_lshrrev_b32_e32 v32, 16, v30
	v_cmp_ne_u16_sdwa s[6:7], v32, v35 src0_sel:BYTE_0 src1_sel:DWORD
	v_mov_b32_e32 v54, 0
	v_mov_b32_e32 v53, 0
	s_and_saveexec_b64 s[4:5], s[6:7]
	s_cbranch_execz .LBB931_155
; %bb.150:                              ;   in Loop: Header=BB931_17 Depth=1
	v_cmp_ne_u16_sdwa s[10:11], v32, s13 src0_sel:BYTE_0 src1_sel:DWORD
	v_mov_b32_e32 v53, 0xffff8000
	s_and_saveexec_b64 s[6:7], s[10:11]
	s_cbranch_execz .LBB931_154
; %bb.151:                              ;   in Loop: Header=BB931_17 Depth=1
	v_bfe_u32 v55, v30, 16, 7
	v_cmp_ne_u32_e32 vcc, s14, v55
	v_mov_b32_e32 v53, 0x7f80
	s_and_saveexec_b64 s[10:11], vcc
	s_cbranch_execz .LBB931_153
; %bb.152:                              ;   in Loop: Header=BB931_17 Depth=1
	v_and_b32_e32 v53, 7, v32
	v_ffbh_u32_e32 v56, v53
	v_min_u32_e32 v59, 32, v56
	v_subrev_u32_e32 v56, 28, v59
	v_lshlrev_b64 v[56:57], v56, v[32:33]
	v_lshrrev_b32_e32 v58, 3, v55
	v_sub_u32_e32 v57, 29, v59
	v_and_b32_e32 v56, 7, v56
	v_cmp_gt_u32_e32 vcc, 8, v55
	v_cndmask_b32_e32 v55, v58, v57, vcc
	v_cndmask_b32_e32 v53, v53, v56, vcc
	v_lshlrev_b32_e32 v32, 24, v32
	v_lshlrev_b32_e32 v53, 20, v53
	v_and_b32_e32 v32, 0x80000000, v32
	v_lshl_add_u32 v55, v55, 23, v38
	v_or3_b32 v32, v32, v55, v53
	v_lshrrev_b32_e32 v53, 16, v32
.LBB931_153:                            ;   in Loop: Header=BB931_17 Depth=1
	s_or_b64 exec, exec, s[10:11]
.LBB931_154:                            ;   in Loop: Header=BB931_17 Depth=1
	s_or_b64 exec, exec, s[6:7]
.LBB931_155:                            ;   in Loop: Header=BB931_17 Depth=1
	s_or_b64 exec, exec, s[4:5]
	v_cmp_lt_u32_e32 vcc, s15, v30
	s_and_saveexec_b64 s[4:5], vcc
	s_cbranch_execz .LBB931_161
; %bb.156:                              ;   in Loop: Header=BB931_17 Depth=1
	v_lshrrev_b32_e32 v32, 24, v30
	v_cmp_ne_u32_e32 vcc, s13, v32
	v_mov_b32_e32 v54, 0xffff8000
	s_and_saveexec_b64 s[6:7], vcc
	s_cbranch_execz .LBB931_160
; %bb.157:                              ;   in Loop: Header=BB931_17 Depth=1
	v_bfe_u32 v30, v30, 24, 7
	v_cmp_ne_u32_e32 vcc, s14, v30
	v_mov_b32_e32 v54, 0x7f80
	s_and_saveexec_b64 s[10:11], vcc
	s_cbranch_execz .LBB931_159
; %bb.158:                              ;   in Loop: Header=BB931_17 Depth=1
	v_and_b32_e32 v56, 7, v32
	v_ffbh_u32_e32 v54, v56
	v_min_u32_e32 v58, 32, v54
	v_subrev_u32_e32 v54, 28, v58
	v_lshlrev_b64 v[54:55], v54, v[32:33]
	v_lshrrev_b32_e32 v57, 3, v30
	v_sub_u32_e32 v55, 29, v58
	v_and_b32_e32 v54, 7, v54
	v_cmp_gt_u32_e32 vcc, 8, v30
	v_cndmask_b32_e32 v30, v57, v55, vcc
	v_cndmask_b32_e32 v54, v56, v54, vcc
	v_lshlrev_b32_e32 v32, 24, v32
	v_lshlrev_b32_e32 v54, 20, v54
	v_and_b32_e32 v32, 0x80000000, v32
	v_lshl_add_u32 v30, v30, 23, v38
	v_or3_b32 v30, v32, v30, v54
	v_lshrrev_b32_e32 v54, 16, v30
.LBB931_159:                            ;   in Loop: Header=BB931_17 Depth=1
	s_or_b64 exec, exec, s[10:11]
.LBB931_160:                            ;   in Loop: Header=BB931_17 Depth=1
	s_or_b64 exec, exec, s[6:7]
.LBB931_161:                            ;   in Loop: Header=BB931_17 Depth=1
	s_or_b64 exec, exec, s[4:5]
	v_perm_b32 v57, v44, v42, s16
	v_perm_b32 v56, v23, v40, s16
	;; [unrolled: 1-line block ×4, first 2 shown]
	s_waitcnt vmcnt(1)
	v_cmp_ne_u16_sdwa s[6:7], v28, v35 src0_sel:BYTE_0 src1_sel:DWORD
	v_mfma_f32_16x16x16bf16_1k v[18:21], v[56:57], v[10:11], v[18:21]
	v_mov_b32_e32 v23, 0
	v_mov_b32_e32 v32, 0
	v_mfma_f32_16x16x16bf16_1k v[18:21], v[52:53], v[12:13], v[18:21]
	s_and_saveexec_b64 s[4:5], s[6:7]
	s_cbranch_execz .LBB931_167
; %bb.162:                              ;   in Loop: Header=BB931_17 Depth=1
	v_cmp_ne_u16_sdwa s[10:11], v28, s13 src0_sel:BYTE_0 src1_sel:DWORD
	v_mov_b32_e32 v32, 0xffff8000
	s_and_saveexec_b64 s[6:7], s[10:11]
	s_cbranch_execz .LBB931_166
; %bb.163:                              ;   in Loop: Header=BB931_17 Depth=1
	v_and_b32_e32 v30, 0x7f, v28
	v_cmp_ne_u32_e32 vcc, s14, v30
	v_mov_b32_e32 v32, 0x7f80
	s_and_saveexec_b64 s[10:11], vcc
	s_cbranch_execz .LBB931_165
; %bb.164:                              ;   in Loop: Header=BB931_17 Depth=1
	v_and_b32_e32 v32, 7, v28
	v_ffbh_u32_e32 v40, v32
	v_min_u32_e32 v40, 32, v40
	v_subrev_u32_e32 v42, 28, v40
	v_lshlrev_b64 v[52:53], v42, v[28:29]
	v_lshrrev_b32_e32 v34, 3, v30
	v_sub_u32_e32 v40, 29, v40
	v_and_b32_e32 v42, 7, v52
	v_cmp_gt_u32_e32 vcc, 8, v30
	v_cndmask_b32_e32 v30, v34, v40, vcc
	v_cndmask_b32_e32 v32, v32, v42, vcc
	v_lshlrev_b32_e32 v34, 24, v28
	v_lshlrev_b32_e32 v32, 20, v32
	v_and_b32_e32 v34, 0x80000000, v34
	v_lshl_add_u32 v30, v30, 23, v38
	v_or3_b32 v30, v34, v30, v32
	v_lshrrev_b32_e32 v32, 16, v30
.LBB931_165:                            ;   in Loop: Header=BB931_17 Depth=1
	s_or_b64 exec, exec, s[10:11]
.LBB931_166:                            ;   in Loop: Header=BB931_17 Depth=1
	s_or_b64 exec, exec, s[6:7]
.LBB931_167:                            ;   in Loop: Header=BB931_17 Depth=1
	s_or_b64 exec, exec, s[4:5]
	v_lshrrev_b16_e32 v30, 8, v28
	v_cmp_ne_u16_e32 vcc, 0, v30
	s_and_saveexec_b64 s[4:5], vcc
	s_cbranch_execz .LBB931_173
; %bb.168:                              ;   in Loop: Header=BB931_17 Depth=1
	v_cmp_ne_u16_e32 vcc, s13, v30
	v_mov_b32_e32 v23, 0xffff8000
	s_and_saveexec_b64 s[6:7], vcc
	s_cbranch_execz .LBB931_172
; %bb.169:                              ;   in Loop: Header=BB931_17 Depth=1
	v_and_b32_e32 v34, 0x7f, v30
	v_cmp_ne_u32_e32 vcc, s14, v34
	v_mov_b32_e32 v23, 0x7f80
	s_and_saveexec_b64 s[10:11], vcc
	s_cbranch_execz .LBB931_171
; %bb.170:                              ;   in Loop: Header=BB931_17 Depth=1
	v_and_b32_e32 v23, 7, v30
	v_ffbh_u32_e32 v42, v23
	v_min_u32_e32 v42, 32, v42
	v_subrev_u32_e32 v44, 28, v42
	v_lshlrev_b64 v[52:53], v44, v[30:31]
	v_lshrrev_b32_e32 v40, 3, v34
	v_sub_u32_e32 v30, 29, v42
	v_and_b32_e32 v42, 7, v52
	v_cmp_gt_u32_e32 vcc, 8, v34
	v_cndmask_b32_e32 v30, v40, v30, vcc
	v_cndmask_b32_e32 v23, v23, v42, vcc
	v_lshlrev_b32_e32 v34, 16, v28
	v_lshlrev_b32_e32 v23, 20, v23
	v_and_b32_e32 v34, 0x80000000, v34
	v_lshl_add_u32 v30, v30, 23, v38
	v_or3_b32 v23, v34, v30, v23
	v_lshrrev_b32_e32 v23, 16, v23
.LBB931_171:                            ;   in Loop: Header=BB931_17 Depth=1
	s_or_b64 exec, exec, s[10:11]
.LBB931_172:                            ;   in Loop: Header=BB931_17 Depth=1
	s_or_b64 exec, exec, s[6:7]
.LBB931_173:                            ;   in Loop: Header=BB931_17 Depth=1
	s_or_b64 exec, exec, s[4:5]
	v_lshrrev_b32_e32 v30, 16, v28
	v_cmp_ne_u16_sdwa s[6:7], v30, v35 src0_sel:BYTE_0 src1_sel:DWORD
	v_mov_b32_e32 v40, 0
	v_mov_b32_e32 v34, 0
	s_and_saveexec_b64 s[4:5], s[6:7]
	s_cbranch_execz .LBB931_179
; %bb.174:                              ;   in Loop: Header=BB931_17 Depth=1
	v_cmp_ne_u16_sdwa s[10:11], v30, s13 src0_sel:BYTE_0 src1_sel:DWORD
	v_mov_b32_e32 v34, 0xffff8000
	s_and_saveexec_b64 s[6:7], s[10:11]
	s_cbranch_execz .LBB931_178
; %bb.175:                              ;   in Loop: Header=BB931_17 Depth=1
	v_bfe_u32 v42, v28, 16, 7
	v_cmp_ne_u32_e32 vcc, s14, v42
	v_mov_b32_e32 v34, 0x7f80
	s_and_saveexec_b64 s[10:11], vcc
	s_cbranch_execz .LBB931_177
; %bb.176:                              ;   in Loop: Header=BB931_17 Depth=1
	v_and_b32_e32 v34, 7, v30
	v_ffbh_u32_e32 v52, v34
	v_min_u32_e32 v54, 32, v52
	v_subrev_u32_e32 v52, 28, v54
	v_lshlrev_b64 v[52:53], v52, v[30:31]
	v_lshrrev_b32_e32 v44, 3, v42
	v_sub_u32_e32 v53, 29, v54
	v_and_b32_e32 v52, 7, v52
	v_cmp_gt_u32_e32 vcc, 8, v42
	v_cndmask_b32_e32 v42, v44, v53, vcc
	v_cndmask_b32_e32 v34, v34, v52, vcc
	v_lshlrev_b32_e32 v30, 24, v30
	v_lshlrev_b32_e32 v34, 20, v34
	v_and_b32_e32 v30, 0x80000000, v30
	v_lshl_add_u32 v42, v42, 23, v38
	v_or3_b32 v30, v30, v42, v34
	v_lshrrev_b32_e32 v34, 16, v30
.LBB931_177:                            ;   in Loop: Header=BB931_17 Depth=1
	s_or_b64 exec, exec, s[10:11]
.LBB931_178:                            ;   in Loop: Header=BB931_17 Depth=1
	s_or_b64 exec, exec, s[6:7]
.LBB931_179:                            ;   in Loop: Header=BB931_17 Depth=1
	s_or_b64 exec, exec, s[4:5]
	v_cmp_lt_u32_e32 vcc, s15, v28
	s_and_saveexec_b64 s[4:5], vcc
	s_cbranch_execz .LBB931_185
; %bb.180:                              ;   in Loop: Header=BB931_17 Depth=1
	v_lshrrev_b32_e32 v30, 24, v28
	v_cmp_ne_u32_e32 vcc, s13, v30
	v_mov_b32_e32 v40, 0xffff8000
	s_and_saveexec_b64 s[6:7], vcc
	s_cbranch_execz .LBB931_184
; %bb.181:                              ;   in Loop: Header=BB931_17 Depth=1
	v_bfe_u32 v28, v28, 24, 7
	v_cmp_ne_u32_e32 vcc, s14, v28
	v_mov_b32_e32 v40, 0x7f80
	s_and_saveexec_b64 s[10:11], vcc
	s_cbranch_execz .LBB931_183
; %bb.182:                              ;   in Loop: Header=BB931_17 Depth=1
	v_and_b32_e32 v40, 7, v30
	v_ffbh_u32_e32 v44, v40
	v_min_u32_e32 v44, 32, v44
	v_subrev_u32_e32 v52, 28, v44
	v_lshlrev_b64 v[52:53], v52, v[30:31]
	v_lshrrev_b32_e32 v42, 3, v28
	v_sub_u32_e32 v44, 29, v44
	v_and_b32_e32 v52, 7, v52
	v_cmp_gt_u32_e32 vcc, 8, v28
	v_cndmask_b32_e32 v28, v42, v44, vcc
	v_cndmask_b32_e32 v40, v40, v52, vcc
	v_lshlrev_b32_e32 v30, 24, v30
	v_lshlrev_b32_e32 v40, 20, v40
	v_and_b32_e32 v30, 0x80000000, v30
	v_lshl_add_u32 v28, v28, 23, v38
	v_or3_b32 v28, v30, v28, v40
	v_lshrrev_b32_e32 v40, 16, v28
.LBB931_183:                            ;   in Loop: Header=BB931_17 Depth=1
	s_or_b64 exec, exec, s[10:11]
.LBB931_184:                            ;   in Loop: Header=BB931_17 Depth=1
	s_or_b64 exec, exec, s[6:7]
.LBB931_185:                            ;   in Loop: Header=BB931_17 Depth=1
	s_or_b64 exec, exec, s[4:5]
	s_waitcnt vmcnt(0)
	v_cmp_ne_u16_sdwa s[6:7], v26, v35 src0_sel:BYTE_0 src1_sel:DWORD
	v_mov_b32_e32 v30, 0
	v_mov_b32_e32 v42, 0
	s_and_saveexec_b64 s[4:5], s[6:7]
	s_cbranch_execz .LBB931_191
; %bb.186:                              ;   in Loop: Header=BB931_17 Depth=1
	v_cmp_ne_u16_sdwa s[10:11], v26, s13 src0_sel:BYTE_0 src1_sel:DWORD
	v_mov_b32_e32 v42, 0xffff8000
	s_and_saveexec_b64 s[6:7], s[10:11]
	s_cbranch_execz .LBB931_190
; %bb.187:                              ;   in Loop: Header=BB931_17 Depth=1
	v_and_b32_e32 v28, 0x7f, v26
	v_cmp_ne_u32_e32 vcc, s14, v28
	v_mov_b32_e32 v42, 0x7f80
	s_and_saveexec_b64 s[10:11], vcc
	s_cbranch_execz .LBB931_189
; %bb.188:                              ;   in Loop: Header=BB931_17 Depth=1
	v_and_b32_e32 v42, 7, v26
	v_ffbh_u32_e32 v52, v42
	v_min_u32_e32 v54, 32, v52
	v_subrev_u32_e32 v52, 28, v54
	v_lshlrev_b64 v[52:53], v52, v[26:27]
	v_lshrrev_b32_e32 v44, 3, v28
	v_sub_u32_e32 v53, 29, v54
	v_and_b32_e32 v52, 7, v52
	v_cmp_gt_u32_e32 vcc, 8, v28
	v_cndmask_b32_e32 v28, v44, v53, vcc
	v_cndmask_b32_e32 v42, v42, v52, vcc
	v_lshlrev_b32_e32 v44, 24, v26
	v_lshlrev_b32_e32 v42, 20, v42
	v_and_b32_e32 v44, 0x80000000, v44
	v_lshl_add_u32 v28, v28, 23, v38
	v_or3_b32 v28, v44, v28, v42
	v_lshrrev_b32_e32 v42, 16, v28
.LBB931_189:                            ;   in Loop: Header=BB931_17 Depth=1
	s_or_b64 exec, exec, s[10:11]
.LBB931_190:                            ;   in Loop: Header=BB931_17 Depth=1
	s_or_b64 exec, exec, s[6:7]
.LBB931_191:                            ;   in Loop: Header=BB931_17 Depth=1
	s_or_b64 exec, exec, s[4:5]
	v_lshrrev_b16_e32 v28, 8, v26
	v_cmp_ne_u16_e32 vcc, 0, v28
	s_and_saveexec_b64 s[4:5], vcc
	s_cbranch_execz .LBB931_197
; %bb.192:                              ;   in Loop: Header=BB931_17 Depth=1
	v_cmp_ne_u16_e32 vcc, s13, v28
	v_mov_b32_e32 v30, 0xffff8000
	s_and_saveexec_b64 s[6:7], vcc
	s_cbranch_execz .LBB931_196
; %bb.193:                              ;   in Loop: Header=BB931_17 Depth=1
	v_and_b32_e32 v44, 0x7f, v28
	v_cmp_ne_u32_e32 vcc, s14, v44
	v_mov_b32_e32 v30, 0x7f80
	s_and_saveexec_b64 s[10:11], vcc
	s_cbranch_execz .LBB931_195
; %bb.194:                              ;   in Loop: Header=BB931_17 Depth=1
	v_and_b32_e32 v30, 7, v28
	v_ffbh_u32_e32 v52, v30
	v_min_u32_e32 v55, 32, v52
	v_subrev_u32_e32 v52, 28, v55
	v_lshlrev_b64 v[52:53], v52, v[28:29]
	v_lshrrev_b32_e32 v54, 3, v44
	v_sub_u32_e32 v28, 29, v55
	v_and_b32_e32 v52, 7, v52
	v_cmp_gt_u32_e32 vcc, 8, v44
	v_cndmask_b32_e32 v28, v54, v28, vcc
	v_cndmask_b32_e32 v30, v30, v52, vcc
	v_lshlrev_b32_e32 v44, 16, v26
	v_lshlrev_b32_e32 v30, 20, v30
	v_and_b32_e32 v44, 0x80000000, v44
	v_lshl_add_u32 v28, v28, 23, v38
	v_or3_b32 v28, v44, v28, v30
	v_lshrrev_b32_e32 v30, 16, v28
.LBB931_195:                            ;   in Loop: Header=BB931_17 Depth=1
	s_or_b64 exec, exec, s[10:11]
.LBB931_196:                            ;   in Loop: Header=BB931_17 Depth=1
	s_or_b64 exec, exec, s[6:7]
.LBB931_197:                            ;   in Loop: Header=BB931_17 Depth=1
	s_or_b64 exec, exec, s[4:5]
	v_lshrrev_b32_e32 v28, 16, v26
	v_cmp_ne_u16_sdwa s[6:7], v28, v35 src0_sel:BYTE_0 src1_sel:DWORD
	v_mov_b32_e32 v52, 0
	v_mov_b32_e32 v44, 0
	s_and_saveexec_b64 s[4:5], s[6:7]
	s_cbranch_execz .LBB931_203
; %bb.198:                              ;   in Loop: Header=BB931_17 Depth=1
	v_cmp_ne_u16_sdwa s[10:11], v28, s13 src0_sel:BYTE_0 src1_sel:DWORD
	v_mov_b32_e32 v44, 0xffff8000
	s_and_saveexec_b64 s[6:7], s[10:11]
	s_cbranch_execz .LBB931_202
; %bb.199:                              ;   in Loop: Header=BB931_17 Depth=1
	v_bfe_u32 v53, v26, 16, 7
	v_cmp_ne_u32_e32 vcc, s14, v53
	v_mov_b32_e32 v44, 0x7f80
	s_and_saveexec_b64 s[10:11], vcc
	s_cbranch_execz .LBB931_201
; %bb.200:                              ;   in Loop: Header=BB931_17 Depth=1
	v_and_b32_e32 v44, 7, v28
	v_ffbh_u32_e32 v54, v44
	v_min_u32_e32 v57, 32, v54
	v_subrev_u32_e32 v54, 28, v57
	v_lshlrev_b64 v[54:55], v54, v[28:29]
	v_lshrrev_b32_e32 v56, 3, v53
	v_sub_u32_e32 v55, 29, v57
	v_and_b32_e32 v54, 7, v54
	v_cmp_gt_u32_e32 vcc, 8, v53
	v_cndmask_b32_e32 v53, v56, v55, vcc
	v_cndmask_b32_e32 v44, v44, v54, vcc
	v_lshlrev_b32_e32 v28, 24, v28
	v_lshlrev_b32_e32 v44, 20, v44
	v_and_b32_e32 v28, 0x80000000, v28
	v_lshl_add_u32 v53, v53, 23, v38
	v_or3_b32 v28, v28, v53, v44
	v_lshrrev_b32_e32 v44, 16, v28
.LBB931_201:                            ;   in Loop: Header=BB931_17 Depth=1
	s_or_b64 exec, exec, s[10:11]
.LBB931_202:                            ;   in Loop: Header=BB931_17 Depth=1
	s_or_b64 exec, exec, s[6:7]
.LBB931_203:                            ;   in Loop: Header=BB931_17 Depth=1
	s_or_b64 exec, exec, s[4:5]
	v_cmp_lt_u32_e32 vcc, s15, v26
	s_and_saveexec_b64 s[4:5], vcc
	s_cbranch_execz .LBB931_16
; %bb.204:                              ;   in Loop: Header=BB931_17 Depth=1
	v_lshrrev_b32_e32 v28, 24, v26
	v_cmp_ne_u32_e32 vcc, s13, v28
	v_mov_b32_e32 v52, 0xffff8000
	s_and_saveexec_b64 s[6:7], vcc
	s_cbranch_execz .LBB931_15
; %bb.205:                              ;   in Loop: Header=BB931_17 Depth=1
	v_bfe_u32 v26, v26, 24, 7
	v_cmp_ne_u32_e32 vcc, s14, v26
	v_mov_b32_e32 v52, 0x7f80
	s_and_saveexec_b64 s[10:11], vcc
	s_cbranch_execz .LBB931_14
; %bb.206:                              ;   in Loop: Header=BB931_17 Depth=1
	v_and_b32_e32 v54, 7, v28
	v_ffbh_u32_e32 v52, v54
	v_min_u32_e32 v56, 32, v52
	v_subrev_u32_e32 v52, 28, v56
	v_lshlrev_b64 v[52:53], v52, v[28:29]
	v_lshrrev_b32_e32 v55, 3, v26
	v_sub_u32_e32 v53, 29, v56
	v_and_b32_e32 v52, 7, v52
	v_cmp_gt_u32_e32 vcc, 8, v26
	v_cndmask_b32_e32 v26, v55, v53, vcc
	v_cndmask_b32_e32 v52, v54, v52, vcc
	v_lshlrev_b32_e32 v28, 24, v28
	v_lshlrev_b32_e32 v52, 20, v52
	v_and_b32_e32 v28, 0x80000000, v28
	v_lshl_add_u32 v26, v26, 23, v38
	v_or3_b32 v26, v28, v26, v52
	v_lshrrev_b32_e32 v52, 16, v26
	s_branch .LBB931_14
.LBB931_207:
	buffer_load_dword v17, off, s[0:3], 0 offset:256
	buffer_load_dword v16, off, s[0:3], 0 offset:260
	;; [unrolled: 1-line block ×16, first 2 shown]
	v_and_b32_e32 v18, 0xc0, v0
	v_add_u32_e32 v18, s20, v18
	v_lshl_or_b32 v18, v1, 2, v18
	v_or_b32_e32 v20, 1, v18
	v_subrev_u32_e32 v24, s33, v20
	v_add_u32_e32 v26, 1, v24
	v_cvt_f32_i32_e32 v25, v24
	v_add_u32_e32 v28, 2, v24
	v_add_u32_e32 v30, 3, v24
	;; [unrolled: 1-line block ×14, first 2 shown]
	v_cvt_f32_i32_e32 v26, v26
	v_cvt_f32_i32_e32 v28, v28
	;; [unrolled: 1-line block ×4, first 2 shown]
	v_mov_b32_e32 v19, 0xff7fffff
	v_or_b32_e32 v21, 2, v18
	v_or_b32_e32 v22, 3, v18
	v_cvt_f32_i32_e32 v32, v32
	v_cvt_f32_i32_e32 v34, v34
	v_cmp_gt_i32_e64 s[28:29], s33, v18
	v_cmp_gt_i32_e64 s[30:31], s33, v20
	s_mov_b32 s52, 0xff7fffff
	v_cmp_gt_i32_e64 s[34:35], s33, v21
	v_cmp_gt_i32_e64 s[36:37], s33, v22
	v_or_b32_e32 v23, 16, v18
	v_cvt_f32_i32_e32 v35, v35
	v_cvt_f32_i32_e32 v36, v36
	v_cmp_gt_i32_e64 s[24:25], s33, v23
	v_cvt_f32_i32_e32 v37, v37
	v_cvt_f32_i32_e32 v38, v38
	;; [unrolled: 1-line block ×7, first 2 shown]
	s_waitcnt vmcnt(15)
	v_fmac_f32_e32 v17, v31, v25
	s_waitcnt vmcnt(14)
	v_fmac_f32_e32 v16, v31, v26
	;; [unrolled: 2-line block ×4, first 2 shown]
	v_cndmask_b32_e64 v20, v19, v16, s[30:31]
	v_cndmask_b32_e64 v21, v19, v15, s[34:35]
	v_cndmask_b32_e64 v22, v19, v14, s[36:37]
	s_waitcnt vmcnt(11)
	v_fmac_f32_e32 v13, v31, v32
	s_waitcnt vmcnt(10)
	v_fmac_f32_e32 v12, v31, v34
	s_waitcnt vmcnt(9)
	v_fmac_f32_e32 v11, v31, v35
	s_waitcnt vmcnt(8)
	v_fmac_f32_e32 v10, v31, v36
	s_waitcnt vmcnt(7)
	v_fmac_f32_e32 v9, v31, v37
	s_waitcnt vmcnt(6)
	v_fmac_f32_e32 v8, v31, v38
	s_waitcnt vmcnt(5)
	v_fmac_f32_e32 v7, v31, v40
	s_waitcnt vmcnt(4)
	v_fmac_f32_e32 v6, v31, v42
	s_waitcnt vmcnt(0)
	v_fmac_f32_e32 v2, v31, v24
	v_cndmask_b32_e64 v24, v19, v17, s[28:29]
	v_max3_f32 v20, v24, s52, v20
	v_max3_f32 v20, v20, v21, v22
	v_or_b32_e32 v22, 17, v18
	v_cmp_gt_i32_e64 s[38:39], s33, v22
	v_cndmask_b32_e64 v21, v19, v13, s[24:25]
	v_cndmask_b32_e64 v22, v19, v12, s[38:39]
	v_max3_f32 v20, v20, v21, v22
	v_or_b32_e32 v21, 18, v18
	v_or_b32_e32 v22, 19, v18
	v_cmp_gt_i32_e64 s[20:21], s33, v21
	v_cmp_gt_i32_e64 s[22:23], s33, v22
	v_cndmask_b32_e64 v21, v19, v11, s[20:21]
	v_cndmask_b32_e64 v22, v19, v10, s[22:23]
	v_max3_f32 v20, v20, v21, v22
	v_or_b32_e32 v21, 32, v18
	v_or_b32_e32 v22, 33, v18
	v_cmp_gt_i32_e64 s[16:17], s33, v21
	;; [unrolled: 7-line block ×3, first 2 shown]
	v_cmp_gt_i32_e64 s[14:15], s33, v22
	v_cndmask_b32_e64 v21, v19, v7, s[12:13]
	v_cndmask_b32_e64 v22, v19, v6, s[14:15]
	v_max3_f32 v20, v20, v21, v22
	v_or_b32_e32 v21, 48, v18
	v_or_b32_e32 v22, 49, v18
	v_fmac_f32_e32 v5, v31, v44
	v_fmac_f32_e32 v4, v31, v52
	v_cmp_gt_i32_e64 s[6:7], s33, v21
	v_cmp_gt_i32_e64 s[10:11], s33, v22
	v_cndmask_b32_e64 v21, v19, v5, s[6:7]
	v_cndmask_b32_e64 v22, v19, v4, s[10:11]
	v_max3_f32 v20, v20, v21, v22
	v_or_b32_e32 v21, 50, v18
	v_or_b32_e32 v18, 51, v18
	v_fmac_f32_e32 v3, v31, v53
	v_cmp_gt_i32_e32 vcc, s33, v21
	v_cmp_gt_i32_e64 s[4:5], s33, v18
	v_cndmask_b32_e32 v21, v19, v3, vcc
	v_cndmask_b32_e64 v18, v19, v2, s[4:5]
	v_mbcnt_lo_u32_b32 v19, -1, 0
	v_mbcnt_hi_u32_b32 v19, -1, v19
	v_max3_f32 v18, v20, v21, v18
	v_and_b32_e32 v20, 64, v19
	v_add_u32_e32 v20, 64, v20
	v_xor_b32_e32 v21, 32, v19
	v_cmp_lt_i32_e64 s[40:41], v21, v20
	v_cndmask_b32_e64 v21, v19, v21, s[40:41]
	v_lshlrev_b32_e32 v21, 2, v21
	ds_bpermute_b32 v22, v21, v18
	s_waitcnt lgkmcnt(0)
	v_max_f32_e32 v22, v22, v22
	v_max_f32_e32 v18, v18, v22
	v_xor_b32_e32 v22, 16, v19
	v_cmp_lt_i32_e64 s[40:41], v22, v20
	v_cndmask_b32_e64 v19, v19, v22, s[40:41]
	v_lshlrev_b32_e32 v19, 2, v19
	ds_bpermute_b32 v20, v19, v18
	s_waitcnt lgkmcnt(0)
	v_max_f32_e32 v20, v20, v20
	v_max_f32_e32 v18, v18, v20
	v_sub_f32_e32 v17, v17, v18
	v_mul_f32_e32 v17, 0x3fb8aa3b, v17
	v_sub_f32_e32 v16, v16, v18
	v_exp_f32_e32 v17, v17
	v_mul_f32_e32 v16, 0x3fb8aa3b, v16
	v_sub_f32_e32 v15, v15, v18
	v_exp_f32_e32 v16, v16
	;; [unrolled: 3-line block ×4, first 2 shown]
	v_mul_f32_e32 v13, 0x3fb8aa3b, v13
	v_sub_f32_e32 v12, v12, v18
	v_cndmask_b32_e64 v17, 0, v17, s[28:29]
	v_exp_f32_e32 v13, v13
	v_mul_f32_e32 v12, 0x3fb8aa3b, v12
	v_sub_f32_e32 v11, v11, v18
	v_add_f32_e32 v20, 0, v17
	v_cndmask_b32_e64 v16, 0, v16, s[30:31]
	v_exp_f32_e32 v12, v12
	v_mul_f32_e32 v11, 0x3fb8aa3b, v11
	v_sub_f32_e32 v10, v10, v18
	v_add_f32_e32 v20, v20, v16
	;; [unrolled: 5-line block ×4, first 2 shown]
	v_cndmask_b32_e64 v13, 0, v13, s[24:25]
	v_exp_f32_e32 v9, v9
	v_mul_f32_e32 v8, 0x3fb8aa3b, v8
	v_sub_f32_e32 v7, v7, v18
	buffer_store_dword v17, off, s[0:3], 0 offset:256
	buffer_store_dword v16, off, s[0:3], 0 offset:260
	;; [unrolled: 1-line block ×4, first 2 shown]
	v_add_f32_e32 v14, v20, v13
	v_cndmask_b32_e64 v12, 0, v12, s[38:39]
	v_exp_f32_e32 v8, v8
	v_mul_f32_e32 v7, 0x3fb8aa3b, v7
	v_sub_f32_e32 v6, v6, v18
	v_add_f32_e32 v14, v14, v12
	v_cndmask_b32_e64 v11, 0, v11, s[20:21]
	v_exp_f32_e32 v7, v7
	v_mul_f32_e32 v6, 0x3fb8aa3b, v6
	v_sub_f32_e32 v5, v5, v18
	v_add_f32_e32 v14, v14, v11
	v_cndmask_b32_e64 v10, 0, v10, s[22:23]
	v_exp_f32_e32 v6, v6
	v_mul_f32_e32 v5, 0x3fb8aa3b, v5
	v_sub_f32_e32 v4, v4, v18
	v_add_f32_e32 v14, v14, v10
	v_cndmask_b32_e64 v9, 0, v9, s[16:17]
	v_exp_f32_e32 v5, v5
	v_mul_f32_e32 v4, 0x3fb8aa3b, v4
	v_sub_f32_e32 v3, v3, v18
	buffer_store_dword v13, off, s[0:3], 0 offset:272
	buffer_store_dword v12, off, s[0:3], 0 offset:276
	;; [unrolled: 1-line block ×4, first 2 shown]
	v_add_f32_e32 v10, v14, v9
	v_cndmask_b32_e64 v8, 0, v8, s[18:19]
	v_exp_f32_e32 v4, v4
	v_mul_f32_e32 v3, 0x3fb8aa3b, v3
	v_sub_f32_e32 v2, v2, v18
	v_add_f32_e32 v10, v10, v8
	v_cndmask_b32_e64 v7, 0, v7, s[12:13]
	v_exp_f32_e32 v3, v3
	v_mul_f32_e32 v2, 0x3fb8aa3b, v2
	v_add_f32_e32 v10, v10, v7
	v_cndmask_b32_e64 v6, 0, v6, s[14:15]
	v_exp_f32_e32 v2, v2
	v_add_f32_e32 v10, v10, v6
	v_cndmask_b32_e64 v5, 0, v5, s[6:7]
	buffer_store_dword v9, off, s[0:3], 0 offset:288
	buffer_store_dword v8, off, s[0:3], 0 offset:292
	;; [unrolled: 1-line block ×4, first 2 shown]
	v_add_f32_e32 v6, v10, v5
	v_cndmask_b32_e64 v4, 0, v4, s[10:11]
	v_add_f32_e32 v6, v6, v4
	v_cndmask_b32_e32 v3, 0, v3, vcc
	v_add_f32_e32 v6, v6, v3
	v_cndmask_b32_e64 v2, 0, v2, s[4:5]
	v_add_f32_e32 v6, v6, v2
	ds_bpermute_b32 v7, v21, v6
	buffer_store_dword v5, off, s[0:3], 0 offset:304
	buffer_store_dword v4, off, s[0:3], 0 offset:308
	;; [unrolled: 1-line block ×4, first 2 shown]
	v_cmp_gt_u32_e32 vcc, 16, v33
	s_waitcnt lgkmcnt(0)
	s_barrier
	v_add_f32_e32 v2, v6, v7
	ds_bpermute_b32 v3, v19, v2
	s_waitcnt lgkmcnt(0)
	s_and_saveexec_b64 s[4:5], vcc
	s_cbranch_execz .LBB931_209
; %bb.208:
	v_add_f32_e32 v2, v2, v3
	v_lshlrev_b32_e32 v3, 2, v29
	ds_write2st64_b32 v3, v18, v2 offset1:1
.LBB931_209:
	s_or_b64 exec, exec, s[4:5]
	v_lshlrev_b32_e32 v2, 2, v41
	s_waitcnt lgkmcnt(0)
	s_barrier
	ds_read2_b32 v[14:15], v2 offset1:16
	ds_read2_b32 v[16:17], v2 offset0:32 offset1:48
	ds_read2_b32 v[6:7], v2 offset0:64 offset1:80
	;; [unrolled: 1-line block ×3, first 2 shown]
	s_waitcnt lgkmcnt(0)
	s_barrier
	buffer_load_dword v22, off, s[0:3], 0 offset:264
	buffer_load_dword v23, off, s[0:3], 0 offset:268
	;; [unrolled: 1-line block ×16, first 2 shown]
	v_max3_f32 v20, v14, s52, v15
	v_max3_f32 v20, v20, v16, v17
	v_sub_f32_e32 v14, v14, v20
	v_sub_f32_e32 v15, v15, v20
	v_mul_f32_e32 v14, 0x3fb8aa3b, v14
	v_sub_f32_e32 v16, v16, v20
	v_mul_f32_e32 v15, 0x3fb8aa3b, v15
	v_exp_f32_e32 v14, v14
	v_sub_f32_e32 v17, v17, v20
	v_mul_f32_e32 v16, 0x3fb8aa3b, v16
	v_exp_f32_e32 v15, v15
	v_mul_f32_e32 v17, 0x3fb8aa3b, v17
	v_exp_f32_e32 v16, v16
	v_exp_f32_e32 v17, v17
	v_fma_f32 v6, v14, v6, 0
	v_fmac_f32_e32 v6, v15, v7
	v_fmac_f32_e32 v6, v16, v12
	;; [unrolled: 1-line block ×3, first 2 shown]
	v_cmp_eq_u32_e32 vcc, 1, v27
	v_add_f32_e32 v12, 0x358637bd, v6
	v_cndmask_b32_e32 v14, v14, v15, vcc
	v_cmp_eq_u32_e32 vcc, 2, v27
	v_div_scale_f32 v13, s[4:5], v12, v12, 1.0
	v_cndmask_b32_e32 v7, v14, v16, vcc
	v_rcp_f32_e32 v14, v13
	v_cmp_eq_u32_e32 vcc, 3, v27
	v_cndmask_b32_e32 v7, v7, v17, vcc
	v_div_scale_f32 v15, vcc, 1.0, v12, 1.0
	v_fma_f32 v16, -v13, v14, 1.0
	v_fmac_f32_e32 v14, v16, v14
	v_mul_f32_e32 v16, v15, v14
	v_fma_f32 v17, -v13, v16, v15
	v_fmac_f32_e32 v16, v17, v14
	v_fma_f32 v13, -v13, v16, v15
	v_div_fmas_f32 v13, v13, v14, v16
	v_div_fixup_f32 v12, v13, v12, 1.0
	v_mul_f32_e32 v12, v7, v12
	s_movk_i32 s19, 0x7fff
	s_mov_b32 s20, 0x7060302
	s_mul_i32 s18, s49, 6
	v_cmp_gt_u32_e32 vcc, 6, v0
	s_waitcnt vmcnt(14)
	v_pk_mul_f32 v[14:15], v[12:13], v[22:23] op_sel_hi:[0,1]
	v_bfe_u32 v21, v15, 16, 1
	s_waitcnt vmcnt(12)
	v_pk_mul_f32 v[16:17], v[12:13], v[24:25] op_sel_hi:[0,1]
	v_bfe_u32 v7, v17, 16, 1
	v_bfe_u32 v13, v16, 16, 1
	;; [unrolled: 1-line block ×3, first 2 shown]
	v_add3_u32 v13, v16, v13, s19
	v_add3_u32 v7, v17, v7, s19
	buffer_store_dword v16, off, s[0:3], 0 offset:256
	buffer_store_dword v17, off, s[0:3], 0 offset:260
	;; [unrolled: 1-line block ×4, first 2 shown]
	v_add3_u32 v16, v14, v22, s19
	v_add3_u32 v15, v15, v21, s19
	v_perm_b32 v14, v7, v13, s20
	v_lshlrev_b32_e32 v13, 3, v1
	v_perm_b32 v15, v15, v16, s20
	v_lshlrev_b32_e32 v7, 5, v41
	v_lshlrev_b32_e32 v16, 11, v27
	s_waitcnt vmcnt(12)
	v_pk_mul_f32 v[8:9], v[12:13], v[8:9] op_sel_hi:[0,1]
	v_or3_b32 v52, v16, v7, v13
	v_pk_mul_f32 v[10:11], v[12:13], v[10:11] op_sel_hi:[0,1]
	v_bfe_u32 v13, v9, 16, 1
	v_bfe_u32 v16, v8, 16, 1
	buffer_store_dword v8, off, s[0:3], 0 offset:272
	buffer_store_dword v9, off, s[0:3], 0 offset:276
	;; [unrolled: 1-line block ×4, first 2 shown]
	v_add3_u32 v8, v8, v16, s19
	v_add3_u32 v9, v9, v13, s19
	v_perm_b32 v8, v9, v8, s20
	v_bfe_u32 v9, v11, 16, 1
	v_bfe_u32 v13, v10, 16, 1
	v_add3_u32 v10, v10, v13, s19
	v_add3_u32 v9, v11, v9, s19
	v_perm_b32 v9, v9, v10, s20
	s_waitcnt vmcnt(14)
	v_pk_mul_f32 v[10:11], v[12:13], v[18:19] op_sel_hi:[0,1]
	ds_write2st64_b64 v52, v[14:15], v[8:9] offset1:1
	s_waitcnt vmcnt(12)
	v_pk_mul_f32 v[8:9], v[12:13], v[28:29] op_sel_hi:[0,1]
	v_bfe_u32 v13, v11, 16, 1
	v_bfe_u32 v14, v10, 16, 1
	buffer_store_dword v10, off, s[0:3], 0 offset:288
	buffer_store_dword v11, off, s[0:3], 0 offset:292
	;; [unrolled: 1-line block ×4, first 2 shown]
	v_add3_u32 v10, v10, v14, s19
	v_add3_u32 v11, v11, v13, s19
	v_perm_b32 v10, v11, v10, s20
	v_bfe_u32 v11, v9, 16, 1
	v_bfe_u32 v13, v8, 16, 1
	v_add3_u32 v8, v8, v13, s19
	v_add3_u32 v9, v9, v11, s19
	s_waitcnt vmcnt(14)
	v_pk_mul_f32 v[2:3], v[12:13], v[2:3] op_sel_hi:[0,1]
	v_perm_b32 v11, v9, v8, s20
	v_bfe_u32 v8, v3, 16, 1
	v_bfe_u32 v9, v2, 16, 1
	s_waitcnt vmcnt(12)
	v_pk_mul_f32 v[4:5], v[12:13], v[4:5] op_sel_hi:[0,1]
	buffer_store_dword v2, off, s[0:3], 0 offset:304
	buffer_store_dword v3, off, s[0:3], 0 offset:308
	;; [unrolled: 1-line block ×4, first 2 shown]
	v_add3_u32 v2, v2, v9, s19
	v_add3_u32 v3, v3, v8, s19
	v_perm_b32 v2, v3, v2, s20
	v_bfe_u32 v3, v5, 16, 1
	v_bfe_u32 v8, v4, 16, 1
	v_add3_u32 v4, v4, v8, s19
	v_add3_u32 v3, v5, v3, s19
	v_perm_b32 v3, v3, v4, s20
	ds_write2st64_b64 v52, v[10:11], v[2:3] offset0:2 offset1:3
	s_and_saveexec_b64 s[4:5], vcc
	s_cbranch_execz .LBB931_211
; %bb.210:
	v_add_co_u32_e32 v4, vcc, s27, v41
	v_addc_co_u32_e64 v5, s[6:7], 0, 0, vcc
	v_mov_b32_e32 v2, s18
	v_mad_u64_u32 v[4:5], s[6:7], s8, v2, v[4:5]
	v_mov_b32_e32 v3, 0
	s_mul_i32 s6, s9, s18
	v_mov_b32_e32 v2, s26
	v_add_u32_e32 v5, s6, v5
	v_mad_u64_u32 v[2:3], s[6:7], v4, s48, v[2:3]
	v_mov_b32_e32 v4, v3
	v_mad_u64_u32 v[4:5], s[6:7], v5, s48, v[4:5]
	v_mov_b32_e32 v3, v4
	v_lshlrev_b64 v[2:3], 2, v[2:3]
	v_mov_b32_e32 v5, s47
	v_add_co_u32_e32 v4, vcc, s46, v2
	v_addc_co_u32_e32 v5, vcc, v5, v3, vcc
	global_store_dword v[4:5], v20, off
	v_mov_b32_e32 v4, s45
	v_add_co_u32_e32 v2, vcc, s44, v2
	v_addc_co_u32_e32 v3, vcc, v4, v3, vcc
	global_store_dword v[2:3], v6, off
.LBB931_211:
	s_or_b64 exec, exec, s[4:5]
	v_lshl_or_b32 v30, v1, 9, v7
	s_waitcnt lgkmcnt(0)
	s_barrier
	s_load_dword s4, s[42:43], 0x0
	ds_read_b128 v[2:5], v30
	ds_read_b128 v[6:9], v30 offset:16
	ds_read_b128 v[10:13], v30 offset:2048
	;; [unrolled: 1-line block ×7, first 2 shown]
	v_mov_b32_e32 v35, 0x80
	v_mov_b32_e32 v53, 0x140
	s_mov_b64 s[10:11], -1
	s_waitcnt lgkmcnt(0)
	s_mov_b32 s5, s4
	s_mov_b32 s6, s4
	;; [unrolled: 1-line block ×3, first 2 shown]
	s_movk_i32 s9, 0x80
	s_movk_i32 s21, 0x7f
	s_mov_b32 s22, 0xffffff
	s_mov_b32 s23, 0x5040100
	v_mov_b32_e32 v54, 0
	v_bfrev_b32_e32 v55, 60
	s_branch .LBB931_215
.LBB931_212:                            ;   in Loop: Header=BB931_215 Depth=1
	s_or_b64 exec, exec, s[16:17]
.LBB931_213:                            ;   in Loop: Header=BB931_215 Depth=1
	s_or_b64 exec, exec, s[14:15]
.LBB931_214:                            ;   in Loop: Header=BB931_215 Depth=1
	s_or_b64 exec, exec, s[12:13]
	v_perm_b32 v61, v56, v50, s23
	v_perm_b32 v60, v44, v46, s23
	s_xor_b64 s[12:13], s[10:11], -1
	s_mov_b64 s[10:11], 0
	v_mov_b32_e32 v46, v47
	v_mfma_f32_16x16x16bf16_1k v[60:63], v[60:61], v[30:31], v[34:37]
	s_and_b64 vcc, exec, s[12:13]
	s_nop 5
	v_perm_b32 v37, v58, v57, s23
	v_perm_b32 v36, v42, v51, s23
	v_mov_b32_e32 v35, v45
	s_nop 0
	v_mfma_f32_16x16x16bf16_1k v[56:59], v[36:37], v[32:33], v[60:63]
	s_nop 7
	s_nop 2
	v_pk_mul_f32 v[50:51], v[56:57], s[4:5]
	v_pk_mul_f32 v[36:37], v[58:59], s[6:7]
	v_bfe_u32 v34, v51, 16, 1
	v_bfe_u32 v38, v50, 16, 1
	;; [unrolled: 1-line block ×4, first 2 shown]
	v_add3_u32 v38, v50, v38, s19
	v_add3_u32 v34, v51, v34, s19
	;; [unrolled: 1-line block ×4, first 2 shown]
	v_perm_b32 v34, v34, v38, s20
	v_perm_b32 v36, v37, v36, s20
	buffer_store_dword v34, v53, s[0:3], 0 offen
	buffer_store_dword v36, v53, s[0:3], 0 offen offset:4
	v_mov_b32_e32 v53, 0x148
	v_mov_b32_e32 v51, v48
	;; [unrolled: 1-line block ×3, first 2 shown]
	s_cbranch_vccnz .LBB931_597
.LBB931_215:                            ; =>This Inner Loop Header: Depth=1
	buffer_load_dword v36, v35, s[0:3], 0 offen
	buffer_load_dword v34, v35, s[0:3], 0 offen offset:4
	buffer_load_dword v40, v35, s[0:3], 0 offen offset:8
	;; [unrolled: 1-line block ×3, first 2 shown]
	v_mov_b32_e32 v35, 0
	s_waitcnt vmcnt(3)
	v_cmp_ne_u16_sdwa s[14:15], v36, v54 src0_sel:BYTE_0 src1_sel:DWORD
	s_and_saveexec_b64 s[12:13], s[14:15]
	s_cbranch_execz .LBB931_221
; %bb.216:                              ;   in Loop: Header=BB931_215 Depth=1
	v_cmp_ne_u16_sdwa s[16:17], v36, s9 src0_sel:BYTE_0 src1_sel:DWORD
	v_mov_b32_e32 v35, 0xffff8000
	s_and_saveexec_b64 s[14:15], s[16:17]
	s_cbranch_execz .LBB931_220
; %bb.217:                              ;   in Loop: Header=BB931_215 Depth=1
	v_and_b32_e32 v37, 0x7f, v36
	v_cmp_ne_u32_e32 vcc, s21, v37
	v_mov_b32_e32 v35, 0x7f80
	s_and_saveexec_b64 s[16:17], vcc
	s_cbranch_execz .LBB931_219
; %bb.218:                              ;   in Loop: Header=BB931_215 Depth=1
	v_and_b32_e32 v35, 7, v36
	v_ffbh_u32_e32 v44, v35
	v_min_u32_e32 v44, 32, v44
	v_subrev_u32_e32 v56, 28, v44
	v_lshlrev_b64 v[56:57], v56, v[36:37]
	v_lshrrev_b32_e32 v42, 3, v37
	v_sub_u32_e32 v44, 29, v44
	v_and_b32_e32 v56, 7, v56
	v_cmp_gt_u32_e32 vcc, 8, v37
	v_cndmask_b32_e32 v37, v42, v44, vcc
	v_cndmask_b32_e32 v35, v35, v56, vcc
	v_lshlrev_b32_e32 v42, 24, v36
	v_lshlrev_b32_e32 v35, 20, v35
	v_and_b32_e32 v42, 0x80000000, v42
	v_lshl_add_u32 v37, v37, 23, v55
	v_or3_b32 v35, v42, v37, v35
	v_lshrrev_b32_e32 v35, 16, v35
.LBB931_219:                            ;   in Loop: Header=BB931_215 Depth=1
	s_or_b64 exec, exec, s[16:17]
.LBB931_220:                            ;   in Loop: Header=BB931_215 Depth=1
	s_or_b64 exec, exec, s[14:15]
.LBB931_221:                            ;   in Loop: Header=BB931_215 Depth=1
	s_or_b64 exec, exec, s[12:13]
	v_lshrrev_b16_e32 v42, 8, v36
	v_cmp_ne_u16_e32 vcc, 0, v42
	v_mov_b32_e32 v56, 0
	v_mov_b32_e32 v37, 0
	s_and_saveexec_b64 s[12:13], vcc
	s_cbranch_execz .LBB931_227
; %bb.222:                              ;   in Loop: Header=BB931_215 Depth=1
	v_cmp_ne_u16_e32 vcc, s9, v42
	v_mov_b32_e32 v37, 0xffff8000
	s_and_saveexec_b64 s[14:15], vcc
	s_cbranch_execz .LBB931_226
; %bb.223:                              ;   in Loop: Header=BB931_215 Depth=1
	v_and_b32_e32 v44, 0x7f, v42
	v_cmp_ne_u32_e32 vcc, s21, v44
	v_mov_b32_e32 v37, 0x7f80
	s_and_saveexec_b64 s[16:17], vcc
	s_cbranch_execz .LBB931_225
; %bb.224:                              ;   in Loop: Header=BB931_215 Depth=1
	v_and_b32_e32 v37, 7, v42
	v_ffbh_u32_e32 v58, v37
	v_min_u32_e32 v60, 32, v58
	v_subrev_u32_e32 v58, 28, v60
	v_lshlrev_b64 v[58:59], v58, v[42:43]
	v_lshrrev_b32_e32 v57, 3, v44
	v_sub_u32_e32 v42, 29, v60
	v_and_b32_e32 v58, 7, v58
	v_cmp_gt_u32_e32 vcc, 8, v44
	v_cndmask_b32_e32 v42, v57, v42, vcc
	v_cndmask_b32_e32 v37, v37, v58, vcc
	v_lshlrev_b32_e32 v44, 16, v36
	v_lshlrev_b32_e32 v37, 20, v37
	v_and_b32_e32 v44, 0x80000000, v44
	v_lshl_add_u32 v42, v42, 23, v55
	v_or3_b32 v37, v44, v42, v37
	v_lshrrev_b32_e32 v37, 16, v37
.LBB931_225:                            ;   in Loop: Header=BB931_215 Depth=1
	s_or_b64 exec, exec, s[16:17]
.LBB931_226:                            ;   in Loop: Header=BB931_215 Depth=1
	s_or_b64 exec, exec, s[14:15]
.LBB931_227:                            ;   in Loop: Header=BB931_215 Depth=1
	s_or_b64 exec, exec, s[12:13]
	v_lshrrev_b32_e32 v42, 16, v36
	v_cmp_ne_u16_sdwa s[14:15], v42, v54 src0_sel:BYTE_0 src1_sel:DWORD
	s_and_saveexec_b64 s[12:13], s[14:15]
	s_cbranch_execz .LBB931_233
; %bb.228:                              ;   in Loop: Header=BB931_215 Depth=1
	v_cmp_ne_u16_sdwa s[16:17], v42, s9 src0_sel:BYTE_0 src1_sel:DWORD
	v_mov_b32_e32 v56, 0xffff8000
	s_and_saveexec_b64 s[14:15], s[16:17]
	s_cbranch_execz .LBB931_232
; %bb.229:                              ;   in Loop: Header=BB931_215 Depth=1
	v_bfe_u32 v44, v36, 16, 7
	v_cmp_ne_u32_e32 vcc, s21, v44
	v_mov_b32_e32 v56, 0x7f80
	s_and_saveexec_b64 s[16:17], vcc
	s_cbranch_execz .LBB931_231
; %bb.230:                              ;   in Loop: Header=BB931_215 Depth=1
	v_and_b32_e32 v58, 7, v42
	v_ffbh_u32_e32 v56, v58
	v_min_u32_e32 v60, 32, v56
	v_subrev_u32_e32 v56, 28, v60
	v_lshlrev_b64 v[56:57], v56, v[42:43]
	v_lshrrev_b32_e32 v59, 3, v44
	v_sub_u32_e32 v57, 29, v60
	v_and_b32_e32 v56, 7, v56
	v_cmp_gt_u32_e32 vcc, 8, v44
	v_cndmask_b32_e32 v44, v59, v57, vcc
	v_cndmask_b32_e32 v56, v58, v56, vcc
	v_lshlrev_b32_e32 v42, 24, v42
	v_lshlrev_b32_e32 v56, 20, v56
	v_and_b32_e32 v42, 0x80000000, v42
	v_lshl_add_u32 v44, v44, 23, v55
	v_or3_b32 v42, v42, v44, v56
	v_lshrrev_b32_e32 v56, 16, v42
.LBB931_231:                            ;   in Loop: Header=BB931_215 Depth=1
	s_or_b64 exec, exec, s[16:17]
.LBB931_232:                            ;   in Loop: Header=BB931_215 Depth=1
	s_or_b64 exec, exec, s[14:15]
.LBB931_233:                            ;   in Loop: Header=BB931_215 Depth=1
	s_or_b64 exec, exec, s[12:13]
	v_cmp_lt_u32_e32 vcc, s22, v36
	v_mov_b32_e32 v57, 0
	v_mov_b32_e32 v58, 0
	s_and_saveexec_b64 s[12:13], vcc
	s_cbranch_execz .LBB931_239
; %bb.234:                              ;   in Loop: Header=BB931_215 Depth=1
	v_lshrrev_b32_e32 v42, 24, v36
	v_cmp_ne_u32_e32 vcc, s9, v42
	v_mov_b32_e32 v58, 0xffff8000
	s_and_saveexec_b64 s[14:15], vcc
	s_cbranch_execz .LBB931_238
; %bb.235:                              ;   in Loop: Header=BB931_215 Depth=1
	v_bfe_u32 v36, v36, 24, 7
	v_cmp_ne_u32_e32 vcc, s21, v36
	v_mov_b32_e32 v58, 0x7f80
	s_and_saveexec_b64 s[16:17], vcc
	s_cbranch_execz .LBB931_237
; %bb.236:                              ;   in Loop: Header=BB931_215 Depth=1
	v_and_b32_e32 v44, 7, v42
	v_ffbh_u32_e32 v58, v44
	v_min_u32_e32 v61, 32, v58
	v_subrev_u32_e32 v58, 28, v61
	v_lshlrev_b64 v[58:59], v58, v[42:43]
	v_lshrrev_b32_e32 v60, 3, v36
	v_sub_u32_e32 v59, 29, v61
	v_and_b32_e32 v58, 7, v58
	v_cmp_gt_u32_e32 vcc, 8, v36
	v_cndmask_b32_e32 v36, v60, v59, vcc
	v_cndmask_b32_e32 v44, v44, v58, vcc
	v_lshlrev_b32_e32 v42, 24, v42
	v_lshlrev_b32_e32 v44, 20, v44
	v_and_b32_e32 v42, 0x80000000, v42
	v_lshl_add_u32 v36, v36, 23, v55
	v_or3_b32 v36, v42, v36, v44
	v_lshrrev_b32_e32 v58, 16, v36
.LBB931_237:                            ;   in Loop: Header=BB931_215 Depth=1
	s_or_b64 exec, exec, s[16:17]
.LBB931_238:                            ;   in Loop: Header=BB931_215 Depth=1
	s_or_b64 exec, exec, s[14:15]
.LBB931_239:                            ;   in Loop: Header=BB931_215 Depth=1
	s_or_b64 exec, exec, s[12:13]
	s_waitcnt vmcnt(2)
	v_cmp_ne_u16_sdwa s[14:15], v34, v54 src0_sel:BYTE_0 src1_sel:DWORD
	s_and_saveexec_b64 s[12:13], s[14:15]
	s_cbranch_execz .LBB931_245
; %bb.240:                              ;   in Loop: Header=BB931_215 Depth=1
	v_cmp_ne_u16_sdwa s[16:17], v34, s9 src0_sel:BYTE_0 src1_sel:DWORD
	v_mov_b32_e32 v57, 0xffff8000
	s_and_saveexec_b64 s[14:15], s[16:17]
	s_cbranch_execz .LBB931_244
; %bb.241:                              ;   in Loop: Header=BB931_215 Depth=1
	v_and_b32_e32 v36, 0x7f, v34
	v_cmp_ne_u32_e32 vcc, s21, v36
	v_mov_b32_e32 v57, 0x7f80
	s_and_saveexec_b64 s[16:17], vcc
	s_cbranch_execz .LBB931_243
; %bb.242:                              ;   in Loop: Header=BB931_215 Depth=1
	v_and_b32_e32 v42, 7, v34
	v_ffbh_u32_e32 v57, v42
	v_min_u32_e32 v57, 32, v57
	v_subrev_u32_e32 v59, 28, v57
	v_lshlrev_b64 v[60:61], v59, v[34:35]
	v_lshrrev_b32_e32 v44, 3, v36
	v_sub_u32_e32 v57, 29, v57
	v_and_b32_e32 v59, 7, v60
	v_cmp_gt_u32_e32 vcc, 8, v36
	v_cndmask_b32_e32 v36, v44, v57, vcc
	v_cndmask_b32_e32 v42, v42, v59, vcc
	v_lshlrev_b32_e32 v44, 24, v34
	v_lshlrev_b32_e32 v42, 20, v42
	v_and_b32_e32 v44, 0x80000000, v44
	v_lshl_add_u32 v36, v36, 23, v55
	v_or3_b32 v36, v44, v36, v42
	v_lshrrev_b32_e32 v57, 16, v36
.LBB931_243:                            ;   in Loop: Header=BB931_215 Depth=1
	s_or_b64 exec, exec, s[16:17]
.LBB931_244:                            ;   in Loop: Header=BB931_215 Depth=1
	s_or_b64 exec, exec, s[14:15]
.LBB931_245:                            ;   in Loop: Header=BB931_215 Depth=1
	s_or_b64 exec, exec, s[12:13]
	v_lshrrev_b16_e32 v36, 8, v34
	v_cmp_ne_u16_e32 vcc, 0, v36
	v_mov_b32_e32 v59, 0
	v_mov_b32_e32 v42, 0
	s_and_saveexec_b64 s[12:13], vcc
	s_cbranch_execz .LBB931_251
; %bb.246:                              ;   in Loop: Header=BB931_215 Depth=1
	v_cmp_ne_u16_e32 vcc, s9, v36
	v_mov_b32_e32 v42, 0xffff8000
	s_and_saveexec_b64 s[14:15], vcc
	s_cbranch_execz .LBB931_250
; %bb.247:                              ;   in Loop: Header=BB931_215 Depth=1
	v_and_b32_e32 v44, 0x7f, v36
	v_cmp_ne_u32_e32 vcc, s21, v44
	v_mov_b32_e32 v42, 0x7f80
	s_and_saveexec_b64 s[16:17], vcc
	s_cbranch_execz .LBB931_249
; %bb.248:                              ;   in Loop: Header=BB931_215 Depth=1
	v_and_b32_e32 v42, 7, v36
	v_ffbh_u32_e32 v60, v42
	v_min_u32_e32 v63, 32, v60
	v_subrev_u32_e32 v60, 28, v63
	v_lshlrev_b64 v[60:61], v60, v[36:37]
	v_lshrrev_b32_e32 v62, 3, v44
	v_sub_u32_e32 v36, 29, v63
	v_and_b32_e32 v60, 7, v60
	v_cmp_gt_u32_e32 vcc, 8, v44
	v_cndmask_b32_e32 v36, v62, v36, vcc
	v_cndmask_b32_e32 v42, v42, v60, vcc
	v_lshlrev_b32_e32 v44, 16, v34
	v_lshlrev_b32_e32 v42, 20, v42
	v_and_b32_e32 v44, 0x80000000, v44
	v_lshl_add_u32 v36, v36, 23, v55
	v_or3_b32 v36, v44, v36, v42
	v_lshrrev_b32_e32 v42, 16, v36
.LBB931_249:                            ;   in Loop: Header=BB931_215 Depth=1
	s_or_b64 exec, exec, s[16:17]
.LBB931_250:                            ;   in Loop: Header=BB931_215 Depth=1
	s_or_b64 exec, exec, s[14:15]
.LBB931_251:                            ;   in Loop: Header=BB931_215 Depth=1
	s_or_b64 exec, exec, s[12:13]
	v_lshrrev_b32_e32 v36, 16, v34
	v_cmp_ne_u16_sdwa s[14:15], v36, v54 src0_sel:BYTE_0 src1_sel:DWORD
	s_and_saveexec_b64 s[12:13], s[14:15]
	s_cbranch_execz .LBB931_257
; %bb.252:                              ;   in Loop: Header=BB931_215 Depth=1
	v_cmp_ne_u16_sdwa s[16:17], v36, s9 src0_sel:BYTE_0 src1_sel:DWORD
	v_mov_b32_e32 v59, 0xffff8000
	s_and_saveexec_b64 s[14:15], s[16:17]
	s_cbranch_execz .LBB931_256
; %bb.253:                              ;   in Loop: Header=BB931_215 Depth=1
	v_bfe_u32 v44, v34, 16, 7
	v_cmp_ne_u32_e32 vcc, s21, v44
	v_mov_b32_e32 v59, 0x7f80
	s_and_saveexec_b64 s[16:17], vcc
	s_cbranch_execz .LBB931_255
; %bb.254:                              ;   in Loop: Header=BB931_215 Depth=1
	v_and_b32_e32 v59, 7, v36
	v_ffbh_u32_e32 v60, v59
	v_min_u32_e32 v63, 32, v60
	v_subrev_u32_e32 v60, 28, v63
	v_lshlrev_b64 v[60:61], v60, v[36:37]
	v_lshrrev_b32_e32 v62, 3, v44
	v_sub_u32_e32 v61, 29, v63
	v_and_b32_e32 v60, 7, v60
	v_cmp_gt_u32_e32 vcc, 8, v44
	v_cndmask_b32_e32 v44, v62, v61, vcc
	v_cndmask_b32_e32 v59, v59, v60, vcc
	v_lshlrev_b32_e32 v36, 24, v36
	v_lshlrev_b32_e32 v59, 20, v59
	v_and_b32_e32 v36, 0x80000000, v36
	v_lshl_add_u32 v44, v44, 23, v55
	v_or3_b32 v36, v36, v44, v59
	v_lshrrev_b32_e32 v59, 16, v36
.LBB931_255:                            ;   in Loop: Header=BB931_215 Depth=1
	s_or_b64 exec, exec, s[16:17]
.LBB931_256:                            ;   in Loop: Header=BB931_215 Depth=1
	s_or_b64 exec, exec, s[14:15]
.LBB931_257:                            ;   in Loop: Header=BB931_215 Depth=1
	s_or_b64 exec, exec, s[12:13]
	v_cmp_lt_u32_e32 vcc, s22, v34
	v_mov_b32_e32 v44, 0
	v_mov_b32_e32 v60, 0
	s_and_saveexec_b64 s[12:13], vcc
	s_cbranch_execz .LBB931_263
; %bb.258:                              ;   in Loop: Header=BB931_215 Depth=1
	v_lshrrev_b32_e32 v36, 24, v34
	v_cmp_ne_u32_e32 vcc, s9, v36
	v_mov_b32_e32 v60, 0xffff8000
	s_and_saveexec_b64 s[14:15], vcc
	s_cbranch_execz .LBB931_262
; %bb.259:                              ;   in Loop: Header=BB931_215 Depth=1
	v_bfe_u32 v34, v34, 24, 7
	v_cmp_ne_u32_e32 vcc, s21, v34
	v_mov_b32_e32 v60, 0x7f80
	s_and_saveexec_b64 s[16:17], vcc
	s_cbranch_execz .LBB931_261
; %bb.260:                              ;   in Loop: Header=BB931_215 Depth=1
	v_and_b32_e32 v62, 7, v36
	v_ffbh_u32_e32 v60, v62
	v_min_u32_e32 v64, 32, v60
	v_subrev_u32_e32 v60, 28, v64
	v_lshlrev_b64 v[60:61], v60, v[36:37]
	v_lshrrev_b32_e32 v63, 3, v34
	v_sub_u32_e32 v61, 29, v64
	v_and_b32_e32 v60, 7, v60
	v_cmp_gt_u32_e32 vcc, 8, v34
	v_cndmask_b32_e32 v34, v63, v61, vcc
	v_cndmask_b32_e32 v60, v62, v60, vcc
	v_lshlrev_b32_e32 v36, 24, v36
	v_lshlrev_b32_e32 v60, 20, v60
	v_and_b32_e32 v36, 0x80000000, v36
	v_lshl_add_u32 v34, v34, 23, v55
	v_or3_b32 v34, v36, v34, v60
	v_lshrrev_b32_e32 v60, 16, v34
.LBB931_261:                            ;   in Loop: Header=BB931_215 Depth=1
	s_or_b64 exec, exec, s[16:17]
.LBB931_262:                            ;   in Loop: Header=BB931_215 Depth=1
	s_or_b64 exec, exec, s[14:15]
.LBB931_263:                            ;   in Loop: Header=BB931_215 Depth=1
	s_or_b64 exec, exec, s[12:13]
	v_perm_b32 v63, v58, v56, s23
	v_perm_b32 v62, v37, v35, s23
	;; [unrolled: 1-line block ×4, first 2 shown]
	s_waitcnt vmcnt(1)
	v_cmp_ne_u16_sdwa s[14:15], v40, v54 src0_sel:BYTE_0 src1_sel:DWORD
	v_mfma_f32_16x16x16bf16_1k v[34:37], v[62:63], v[2:3], 0
	v_mfma_f32_16x16x16bf16_1k v[34:37], v[58:59], v[4:5], v[34:37]
	s_and_saveexec_b64 s[12:13], s[14:15]
	s_cbranch_execz .LBB931_269
; %bb.264:                              ;   in Loop: Header=BB931_215 Depth=1
	v_cmp_ne_u16_sdwa s[16:17], v40, s9 src0_sel:BYTE_0 src1_sel:DWORD
	v_mov_b32_e32 v44, 0xffff8000
	s_and_saveexec_b64 s[14:15], s[16:17]
	s_cbranch_execz .LBB931_268
; %bb.265:                              ;   in Loop: Header=BB931_215 Depth=1
	v_and_b32_e32 v42, 0x7f, v40
	v_cmp_ne_u32_e32 vcc, s21, v42
	v_mov_b32_e32 v44, 0x7f80
	s_and_saveexec_b64 s[16:17], vcc
	s_cbranch_execz .LBB931_267
; %bb.266:                              ;   in Loop: Header=BB931_215 Depth=1
	v_and_b32_e32 v44, 7, v40
	v_ffbh_u32_e32 v56, v44
	v_min_u32_e32 v59, 32, v56
	v_subrev_u32_e32 v56, 28, v59
	v_lshlrev_b64 v[56:57], v56, v[40:41]
	v_lshrrev_b32_e32 v58, 3, v42
	v_sub_u32_e32 v57, 29, v59
	v_and_b32_e32 v56, 7, v56
	v_cmp_gt_u32_e32 vcc, 8, v42
	v_cndmask_b32_e32 v42, v58, v57, vcc
	v_cndmask_b32_e32 v44, v44, v56, vcc
	v_lshlrev_b32_e32 v56, 24, v40
	v_lshlrev_b32_e32 v44, 20, v44
	v_and_b32_e32 v56, 0x80000000, v56
	v_lshl_add_u32 v42, v42, 23, v55
	v_or3_b32 v42, v56, v42, v44
	v_lshrrev_b32_e32 v44, 16, v42
.LBB931_267:                            ;   in Loop: Header=BB931_215 Depth=1
	s_or_b64 exec, exec, s[16:17]
.LBB931_268:                            ;   in Loop: Header=BB931_215 Depth=1
	s_or_b64 exec, exec, s[14:15]
.LBB931_269:                            ;   in Loop: Header=BB931_215 Depth=1
	s_or_b64 exec, exec, s[12:13]
	v_lshrrev_b16_e32 v42, 8, v40
	v_cmp_ne_u16_e32 vcc, 0, v42
	v_mov_b32_e32 v58, 0
	v_mov_b32_e32 v57, 0
	s_and_saveexec_b64 s[12:13], vcc
	s_cbranch_execz .LBB931_275
; %bb.270:                              ;   in Loop: Header=BB931_215 Depth=1
	v_cmp_ne_u16_e32 vcc, s9, v42
	v_mov_b32_e32 v57, 0xffff8000
	s_and_saveexec_b64 s[14:15], vcc
	s_cbranch_execz .LBB931_274
; %bb.271:                              ;   in Loop: Header=BB931_215 Depth=1
	v_and_b32_e32 v56, 0x7f, v42
	v_cmp_ne_u32_e32 vcc, s21, v56
	v_mov_b32_e32 v57, 0x7f80
	s_and_saveexec_b64 s[16:17], vcc
	s_cbranch_execz .LBB931_273
; %bb.272:                              ;   in Loop: Header=BB931_215 Depth=1
	v_and_b32_e32 v57, 7, v42
	v_ffbh_u32_e32 v60, v57
	v_min_u32_e32 v62, 32, v60
	v_subrev_u32_e32 v60, 28, v62
	v_lshlrev_b64 v[60:61], v60, v[42:43]
	v_lshrrev_b32_e32 v59, 3, v56
	v_sub_u32_e32 v42, 29, v62
	v_and_b32_e32 v60, 7, v60
	v_cmp_gt_u32_e32 vcc, 8, v56
	v_cndmask_b32_e32 v42, v59, v42, vcc
	v_cndmask_b32_e32 v56, v57, v60, vcc
	v_lshlrev_b32_e32 v57, 16, v40
	v_lshlrev_b32_e32 v56, 20, v56
	v_and_b32_e32 v57, 0x80000000, v57
	v_lshl_add_u32 v42, v42, 23, v55
	v_or3_b32 v42, v57, v42, v56
	v_lshrrev_b32_e32 v57, 16, v42
.LBB931_273:                            ;   in Loop: Header=BB931_215 Depth=1
	s_or_b64 exec, exec, s[16:17]
.LBB931_274:                            ;   in Loop: Header=BB931_215 Depth=1
	s_or_b64 exec, exec, s[14:15]
.LBB931_275:                            ;   in Loop: Header=BB931_215 Depth=1
	s_or_b64 exec, exec, s[12:13]
	v_lshrrev_b32_e32 v42, 16, v40
	v_cmp_ne_u16_sdwa s[14:15], v42, v54 src0_sel:BYTE_0 src1_sel:DWORD
	s_and_saveexec_b64 s[12:13], s[14:15]
	s_cbranch_execz .LBB931_281
; %bb.276:                              ;   in Loop: Header=BB931_215 Depth=1
	v_cmp_ne_u16_sdwa s[16:17], v42, s9 src0_sel:BYTE_0 src1_sel:DWORD
	v_mov_b32_e32 v58, 0xffff8000
	s_and_saveexec_b64 s[14:15], s[16:17]
	s_cbranch_execz .LBB931_280
; %bb.277:                              ;   in Loop: Header=BB931_215 Depth=1
	v_bfe_u32 v56, v40, 16, 7
	v_cmp_ne_u32_e32 vcc, s21, v56
	v_mov_b32_e32 v58, 0x7f80
	s_and_saveexec_b64 s[16:17], vcc
	s_cbranch_execz .LBB931_279
; %bb.278:                              ;   in Loop: Header=BB931_215 Depth=1
	v_and_b32_e32 v60, 7, v42
	v_ffbh_u32_e32 v58, v60
	v_min_u32_e32 v62, 32, v58
	v_subrev_u32_e32 v58, 28, v62
	v_lshlrev_b64 v[58:59], v58, v[42:43]
	v_lshrrev_b32_e32 v61, 3, v56
	v_sub_u32_e32 v59, 29, v62
	v_and_b32_e32 v58, 7, v58
	v_cmp_gt_u32_e32 vcc, 8, v56
	v_cndmask_b32_e32 v56, v61, v59, vcc
	v_cndmask_b32_e32 v58, v60, v58, vcc
	v_lshlrev_b32_e32 v42, 24, v42
	v_lshlrev_b32_e32 v58, 20, v58
	v_and_b32_e32 v42, 0x80000000, v42
	v_lshl_add_u32 v56, v56, 23, v55
	v_or3_b32 v42, v42, v56, v58
	v_lshrrev_b32_e32 v58, 16, v42
.LBB931_279:                            ;   in Loop: Header=BB931_215 Depth=1
	s_or_b64 exec, exec, s[16:17]
.LBB931_280:                            ;   in Loop: Header=BB931_215 Depth=1
	s_or_b64 exec, exec, s[14:15]
.LBB931_281:                            ;   in Loop: Header=BB931_215 Depth=1
	s_or_b64 exec, exec, s[12:13]
	v_cmp_lt_u32_e32 vcc, s22, v40
	v_mov_b32_e32 v59, 0
	v_mov_b32_e32 v60, 0
	s_and_saveexec_b64 s[12:13], vcc
	s_cbranch_execz .LBB931_287
; %bb.282:                              ;   in Loop: Header=BB931_215 Depth=1
	v_lshrrev_b32_e32 v42, 24, v40
	v_cmp_ne_u32_e32 vcc, s9, v42
	v_mov_b32_e32 v60, 0xffff8000
	s_and_saveexec_b64 s[14:15], vcc
	s_cbranch_execz .LBB931_286
; %bb.283:                              ;   in Loop: Header=BB931_215 Depth=1
	v_bfe_u32 v40, v40, 24, 7
	v_cmp_ne_u32_e32 vcc, s21, v40
	v_mov_b32_e32 v60, 0x7f80
	s_and_saveexec_b64 s[16:17], vcc
	s_cbranch_execz .LBB931_285
; %bb.284:                              ;   in Loop: Header=BB931_215 Depth=1
	v_and_b32_e32 v56, 7, v42
	v_ffbh_u32_e32 v60, v56
	v_min_u32_e32 v63, 32, v60
	v_subrev_u32_e32 v60, 28, v63
	v_lshlrev_b64 v[60:61], v60, v[42:43]
	v_lshrrev_b32_e32 v62, 3, v40
	v_sub_u32_e32 v61, 29, v63
	v_and_b32_e32 v60, 7, v60
	v_cmp_gt_u32_e32 vcc, 8, v40
	v_cndmask_b32_e32 v40, v62, v61, vcc
	v_cndmask_b32_e32 v56, v56, v60, vcc
	v_lshlrev_b32_e32 v42, 24, v42
	v_lshlrev_b32_e32 v56, 20, v56
	v_and_b32_e32 v42, 0x80000000, v42
	v_lshl_add_u32 v40, v40, 23, v55
	v_or3_b32 v40, v42, v40, v56
	v_lshrrev_b32_e32 v60, 16, v40
.LBB931_285:                            ;   in Loop: Header=BB931_215 Depth=1
	s_or_b64 exec, exec, s[16:17]
.LBB931_286:                            ;   in Loop: Header=BB931_215 Depth=1
	s_or_b64 exec, exec, s[14:15]
.LBB931_287:                            ;   in Loop: Header=BB931_215 Depth=1
	s_or_b64 exec, exec, s[12:13]
	s_waitcnt vmcnt(0)
	v_cmp_ne_u16_sdwa s[14:15], v38, v54 src0_sel:BYTE_0 src1_sel:DWORD
	s_and_saveexec_b64 s[12:13], s[14:15]
	s_cbranch_execz .LBB931_293
; %bb.288:                              ;   in Loop: Header=BB931_215 Depth=1
	v_cmp_ne_u16_sdwa s[16:17], v38, s9 src0_sel:BYTE_0 src1_sel:DWORD
	v_mov_b32_e32 v59, 0xffff8000
	s_and_saveexec_b64 s[14:15], s[16:17]
	s_cbranch_execz .LBB931_292
; %bb.289:                              ;   in Loop: Header=BB931_215 Depth=1
	v_and_b32_e32 v40, 0x7f, v38
	v_cmp_ne_u32_e32 vcc, s21, v40
	v_mov_b32_e32 v59, 0x7f80
	s_and_saveexec_b64 s[16:17], vcc
	s_cbranch_execz .LBB931_291
; %bb.290:                              ;   in Loop: Header=BB931_215 Depth=1
	v_and_b32_e32 v42, 7, v38
	v_ffbh_u32_e32 v59, v42
	v_min_u32_e32 v59, 32, v59
	v_subrev_u32_e32 v61, 28, v59
	v_lshlrev_b64 v[62:63], v61, v[38:39]
	v_lshrrev_b32_e32 v56, 3, v40
	v_sub_u32_e32 v59, 29, v59
	v_and_b32_e32 v61, 7, v62
	v_cmp_gt_u32_e32 vcc, 8, v40
	v_cndmask_b32_e32 v40, v56, v59, vcc
	v_cndmask_b32_e32 v42, v42, v61, vcc
	v_lshlrev_b32_e32 v56, 24, v38
	v_lshlrev_b32_e32 v42, 20, v42
	v_and_b32_e32 v56, 0x80000000, v56
	v_lshl_add_u32 v40, v40, 23, v55
	v_or3_b32 v40, v56, v40, v42
	v_lshrrev_b32_e32 v59, 16, v40
.LBB931_291:                            ;   in Loop: Header=BB931_215 Depth=1
	s_or_b64 exec, exec, s[16:17]
.LBB931_292:                            ;   in Loop: Header=BB931_215 Depth=1
	s_or_b64 exec, exec, s[14:15]
.LBB931_293:                            ;   in Loop: Header=BB931_215 Depth=1
	s_or_b64 exec, exec, s[12:13]
	v_lshrrev_b16_e32 v40, 8, v38
	v_cmp_ne_u16_e32 vcc, 0, v40
	v_mov_b32_e32 v62, 0
	v_mov_b32_e32 v61, 0
	s_and_saveexec_b64 s[12:13], vcc
	s_cbranch_execz .LBB931_299
; %bb.294:                              ;   in Loop: Header=BB931_215 Depth=1
	v_cmp_ne_u16_e32 vcc, s9, v40
	v_mov_b32_e32 v61, 0xffff8000
	s_and_saveexec_b64 s[14:15], vcc
	s_cbranch_execz .LBB931_298
; %bb.295:                              ;   in Loop: Header=BB931_215 Depth=1
	v_and_b32_e32 v42, 0x7f, v40
	v_cmp_ne_u32_e32 vcc, s21, v42
	v_mov_b32_e32 v61, 0x7f80
	s_and_saveexec_b64 s[16:17], vcc
	s_cbranch_execz .LBB931_297
; %bb.296:                              ;   in Loop: Header=BB931_215 Depth=1
	v_and_b32_e32 v56, 7, v40
	v_ffbh_u32_e32 v63, v56
	v_min_u32_e32 v63, 32, v63
	v_subrev_u32_e32 v64, 28, v63
	v_lshlrev_b64 v[64:65], v64, v[40:41]
	v_lshrrev_b32_e32 v61, 3, v42
	v_sub_u32_e32 v40, 29, v63
	v_and_b32_e32 v63, 7, v64
	v_cmp_gt_u32_e32 vcc, 8, v42
	v_cndmask_b32_e32 v40, v61, v40, vcc
	v_cndmask_b32_e32 v42, v56, v63, vcc
	v_lshlrev_b32_e32 v56, 16, v38
	v_lshlrev_b32_e32 v42, 20, v42
	v_and_b32_e32 v56, 0x80000000, v56
	v_lshl_add_u32 v40, v40, 23, v55
	v_or3_b32 v40, v56, v40, v42
	v_lshrrev_b32_e32 v61, 16, v40
.LBB931_297:                            ;   in Loop: Header=BB931_215 Depth=1
	s_or_b64 exec, exec, s[16:17]
.LBB931_298:                            ;   in Loop: Header=BB931_215 Depth=1
	s_or_b64 exec, exec, s[14:15]
.LBB931_299:                            ;   in Loop: Header=BB931_215 Depth=1
	s_or_b64 exec, exec, s[12:13]
	v_lshrrev_b32_e32 v40, 16, v38
	v_cmp_ne_u16_sdwa s[14:15], v40, v54 src0_sel:BYTE_0 src1_sel:DWORD
	s_and_saveexec_b64 s[12:13], s[14:15]
	s_cbranch_execz .LBB931_305
; %bb.300:                              ;   in Loop: Header=BB931_215 Depth=1
	v_cmp_ne_u16_sdwa s[16:17], v40, s9 src0_sel:BYTE_0 src1_sel:DWORD
	v_mov_b32_e32 v62, 0xffff8000
	s_and_saveexec_b64 s[14:15], s[16:17]
	s_cbranch_execz .LBB931_304
; %bb.301:                              ;   in Loop: Header=BB931_215 Depth=1
	v_bfe_u32 v42, v38, 16, 7
	v_cmp_ne_u32_e32 vcc, s21, v42
	v_mov_b32_e32 v62, 0x7f80
	s_and_saveexec_b64 s[16:17], vcc
	s_cbranch_execz .LBB931_303
; %bb.302:                              ;   in Loop: Header=BB931_215 Depth=1
	v_and_b32_e32 v56, 7, v40
	v_ffbh_u32_e32 v62, v56
	v_min_u32_e32 v65, 32, v62
	v_subrev_u32_e32 v62, 28, v65
	v_lshlrev_b64 v[62:63], v62, v[40:41]
	v_lshrrev_b32_e32 v64, 3, v42
	v_sub_u32_e32 v63, 29, v65
	v_and_b32_e32 v62, 7, v62
	v_cmp_gt_u32_e32 vcc, 8, v42
	v_cndmask_b32_e32 v42, v64, v63, vcc
	v_cndmask_b32_e32 v56, v56, v62, vcc
	v_lshlrev_b32_e32 v40, 24, v40
	v_lshlrev_b32_e32 v56, 20, v56
	v_and_b32_e32 v40, 0x80000000, v40
	v_lshl_add_u32 v42, v42, 23, v55
	v_or3_b32 v40, v40, v42, v56
	v_lshrrev_b32_e32 v62, 16, v40
.LBB931_303:                            ;   in Loop: Header=BB931_215 Depth=1
	s_or_b64 exec, exec, s[16:17]
.LBB931_304:                            ;   in Loop: Header=BB931_215 Depth=1
	s_or_b64 exec, exec, s[14:15]
.LBB931_305:                            ;   in Loop: Header=BB931_215 Depth=1
	s_or_b64 exec, exec, s[12:13]
	v_cmp_lt_u32_e32 vcc, s22, v38
	v_mov_b32_e32 v56, 0
	v_mov_b32_e32 v63, 0
	s_and_saveexec_b64 s[12:13], vcc
	s_cbranch_execz .LBB931_311
; %bb.306:                              ;   in Loop: Header=BB931_215 Depth=1
	v_lshrrev_b32_e32 v40, 24, v38
	v_cmp_ne_u32_e32 vcc, s9, v40
	v_mov_b32_e32 v63, 0xffff8000
	s_and_saveexec_b64 s[14:15], vcc
	s_cbranch_execz .LBB931_310
; %bb.307:                              ;   in Loop: Header=BB931_215 Depth=1
	v_bfe_u32 v38, v38, 24, 7
	v_cmp_ne_u32_e32 vcc, s21, v38
	v_mov_b32_e32 v63, 0x7f80
	s_and_saveexec_b64 s[16:17], vcc
	s_cbranch_execz .LBB931_309
; %bb.308:                              ;   in Loop: Header=BB931_215 Depth=1
	v_and_b32_e32 v42, 7, v40
	v_ffbh_u32_e32 v64, v42
	v_min_u32_e32 v66, 32, v64
	v_subrev_u32_e32 v64, 28, v66
	v_lshlrev_b64 v[64:65], v64, v[40:41]
	v_lshrrev_b32_e32 v63, 3, v38
	v_sub_u32_e32 v65, 29, v66
	v_and_b32_e32 v64, 7, v64
	v_cmp_gt_u32_e32 vcc, 8, v38
	v_cndmask_b32_e32 v38, v63, v65, vcc
	v_cndmask_b32_e32 v42, v42, v64, vcc
	v_lshlrev_b32_e32 v40, 24, v40
	v_lshlrev_b32_e32 v42, 20, v42
	v_and_b32_e32 v40, 0x80000000, v40
	v_lshl_add_u32 v38, v38, 23, v55
	v_or3_b32 v38, v40, v38, v42
	v_lshrrev_b32_e32 v63, 16, v38
.LBB931_309:                            ;   in Loop: Header=BB931_215 Depth=1
	s_or_b64 exec, exec, s[16:17]
.LBB931_310:                            ;   in Loop: Header=BB931_215 Depth=1
	s_or_b64 exec, exec, s[14:15]
.LBB931_311:                            ;   in Loop: Header=BB931_215 Depth=1
	s_or_b64 exec, exec, s[12:13]
	v_perm_b32 v64, v57, v44, s23
	buffer_load_dword v44, v46, s[0:3], 0 offen
	buffer_load_dword v42, v46, s[0:3], 0 offen offset:4
	buffer_load_dword v40, v46, s[0:3], 0 offen offset:8
	;; [unrolled: 1-line block ×3, first 2 shown]
	v_perm_b32 v65, v60, v58, s23
	v_perm_b32 v63, v63, v62, s23
	;; [unrolled: 1-line block ×3, first 2 shown]
	v_mfma_f32_16x16x16bf16_1k v[34:37], v[64:65], v[6:7], v[34:37]
	s_waitcnt vmcnt(3)
	v_cmp_ne_u16_sdwa s[14:15], v44, v54 src0_sel:BYTE_0 src1_sel:DWORD
	v_mfma_f32_16x16x16bf16_1k v[34:37], v[62:63], v[8:9], v[34:37]
	s_and_saveexec_b64 s[12:13], s[14:15]
	s_cbranch_execz .LBB931_317
; %bb.312:                              ;   in Loop: Header=BB931_215 Depth=1
	v_cmp_ne_u16_sdwa s[16:17], v44, s9 src0_sel:BYTE_0 src1_sel:DWORD
	v_mov_b32_e32 v56, 0xffff8000
	s_and_saveexec_b64 s[14:15], s[16:17]
	s_cbranch_execz .LBB931_316
; %bb.313:                              ;   in Loop: Header=BB931_215 Depth=1
	v_and_b32_e32 v46, 0x7f, v44
	v_cmp_ne_u32_e32 vcc, s21, v46
	v_mov_b32_e32 v56, 0x7f80
	s_and_saveexec_b64 s[16:17], vcc
	s_cbranch_execz .LBB931_315
; %bb.314:                              ;   in Loop: Header=BB931_215 Depth=1
	v_and_b32_e32 v58, 7, v44
	v_ffbh_u32_e32 v56, v58
	v_min_u32_e32 v60, 32, v56
	v_subrev_u32_e32 v56, 28, v60
	v_lshlrev_b64 v[56:57], v56, v[44:45]
	v_lshrrev_b32_e32 v59, 3, v46
	v_sub_u32_e32 v57, 29, v60
	v_and_b32_e32 v56, 7, v56
	v_cmp_gt_u32_e32 vcc, 8, v46
	v_cndmask_b32_e32 v46, v59, v57, vcc
	v_cndmask_b32_e32 v56, v58, v56, vcc
	v_lshlrev_b32_e32 v57, 24, v44
	v_lshlrev_b32_e32 v56, 20, v56
	v_and_b32_e32 v57, 0x80000000, v57
	v_lshl_add_u32 v46, v46, 23, v55
	v_or3_b32 v46, v57, v46, v56
	v_lshrrev_b32_e32 v56, 16, v46
.LBB931_315:                            ;   in Loop: Header=BB931_215 Depth=1
	s_or_b64 exec, exec, s[16:17]
.LBB931_316:                            ;   in Loop: Header=BB931_215 Depth=1
	s_or_b64 exec, exec, s[14:15]
.LBB931_317:                            ;   in Loop: Header=BB931_215 Depth=1
	s_or_b64 exec, exec, s[12:13]
	v_lshrrev_b16_e32 v46, 8, v44
	v_cmp_ne_u16_e32 vcc, 0, v46
	v_mov_b32_e32 v58, 0
	v_mov_b32_e32 v57, 0
	s_and_saveexec_b64 s[12:13], vcc
	s_cbranch_execz .LBB931_323
; %bb.318:                              ;   in Loop: Header=BB931_215 Depth=1
	v_cmp_ne_u16_e32 vcc, s9, v46
	v_mov_b32_e32 v57, 0xffff8000
	s_and_saveexec_b64 s[14:15], vcc
	s_cbranch_execz .LBB931_322
; %bb.319:                              ;   in Loop: Header=BB931_215 Depth=1
	v_and_b32_e32 v59, 0x7f, v46
	v_cmp_ne_u32_e32 vcc, s21, v59
	v_mov_b32_e32 v57, 0x7f80
	s_and_saveexec_b64 s[16:17], vcc
	s_cbranch_execz .LBB931_321
; %bb.320:                              ;   in Loop: Header=BB931_215 Depth=1
	v_and_b32_e32 v57, 7, v46
	v_ffbh_u32_e32 v60, v57
	v_min_u32_e32 v63, 32, v60
	v_subrev_u32_e32 v60, 28, v63
	v_lshlrev_b64 v[60:61], v60, v[46:47]
	v_lshrrev_b32_e32 v62, 3, v59
	v_sub_u32_e32 v46, 29, v63
	v_and_b32_e32 v60, 7, v60
	v_cmp_gt_u32_e32 vcc, 8, v59
	v_cndmask_b32_e32 v46, v62, v46, vcc
	v_cndmask_b32_e32 v57, v57, v60, vcc
	v_lshlrev_b32_e32 v59, 16, v44
	v_lshlrev_b32_e32 v57, 20, v57
	v_and_b32_e32 v59, 0x80000000, v59
	v_lshl_add_u32 v46, v46, 23, v55
	v_or3_b32 v46, v59, v46, v57
	v_lshrrev_b32_e32 v57, 16, v46
.LBB931_321:                            ;   in Loop: Header=BB931_215 Depth=1
	s_or_b64 exec, exec, s[16:17]
.LBB931_322:                            ;   in Loop: Header=BB931_215 Depth=1
	s_or_b64 exec, exec, s[14:15]
.LBB931_323:                            ;   in Loop: Header=BB931_215 Depth=1
	s_or_b64 exec, exec, s[12:13]
	v_lshrrev_b32_e32 v46, 16, v44
	v_cmp_ne_u16_sdwa s[14:15], v46, v54 src0_sel:BYTE_0 src1_sel:DWORD
	s_and_saveexec_b64 s[12:13], s[14:15]
	s_cbranch_execz .LBB931_329
; %bb.324:                              ;   in Loop: Header=BB931_215 Depth=1
	v_cmp_ne_u16_sdwa s[16:17], v46, s9 src0_sel:BYTE_0 src1_sel:DWORD
	v_mov_b32_e32 v58, 0xffff8000
	s_and_saveexec_b64 s[14:15], s[16:17]
	s_cbranch_execz .LBB931_328
; %bb.325:                              ;   in Loop: Header=BB931_215 Depth=1
	v_bfe_u32 v59, v44, 16, 7
	v_cmp_ne_u32_e32 vcc, s21, v59
	v_mov_b32_e32 v58, 0x7f80
	s_and_saveexec_b64 s[16:17], vcc
	s_cbranch_execz .LBB931_327
; %bb.326:                              ;   in Loop: Header=BB931_215 Depth=1
	v_and_b32_e32 v58, 7, v46
	v_ffbh_u32_e32 v60, v58
	v_min_u32_e32 v63, 32, v60
	v_subrev_u32_e32 v60, 28, v63
	v_lshlrev_b64 v[60:61], v60, v[46:47]
	v_lshrrev_b32_e32 v62, 3, v59
	v_sub_u32_e32 v61, 29, v63
	v_and_b32_e32 v60, 7, v60
	v_cmp_gt_u32_e32 vcc, 8, v59
	v_cndmask_b32_e32 v59, v62, v61, vcc
	v_cndmask_b32_e32 v58, v58, v60, vcc
	v_lshlrev_b32_e32 v46, 24, v46
	v_lshlrev_b32_e32 v58, 20, v58
	v_and_b32_e32 v46, 0x80000000, v46
	v_lshl_add_u32 v59, v59, 23, v55
	v_or3_b32 v46, v46, v59, v58
	v_lshrrev_b32_e32 v58, 16, v46
.LBB931_327:                            ;   in Loop: Header=BB931_215 Depth=1
	s_or_b64 exec, exec, s[16:17]
.LBB931_328:                            ;   in Loop: Header=BB931_215 Depth=1
	s_or_b64 exec, exec, s[14:15]
.LBB931_329:                            ;   in Loop: Header=BB931_215 Depth=1
	s_or_b64 exec, exec, s[12:13]
	v_cmp_lt_u32_e32 vcc, s22, v44
	v_mov_b32_e32 v59, 0
	v_mov_b32_e32 v60, 0
	s_and_saveexec_b64 s[12:13], vcc
	s_cbranch_execz .LBB931_335
; %bb.330:                              ;   in Loop: Header=BB931_215 Depth=1
	v_lshrrev_b32_e32 v46, 24, v44
	v_cmp_ne_u32_e32 vcc, s9, v46
	v_mov_b32_e32 v60, 0xffff8000
	s_and_saveexec_b64 s[14:15], vcc
	s_cbranch_execz .LBB931_334
; %bb.331:                              ;   in Loop: Header=BB931_215 Depth=1
	v_bfe_u32 v44, v44, 24, 7
	v_cmp_ne_u32_e32 vcc, s21, v44
	v_mov_b32_e32 v60, 0x7f80
	s_and_saveexec_b64 s[16:17], vcc
	s_cbranch_execz .LBB931_333
; %bb.332:                              ;   in Loop: Header=BB931_215 Depth=1
	v_and_b32_e32 v62, 7, v46
	v_ffbh_u32_e32 v60, v62
	v_min_u32_e32 v64, 32, v60
	v_subrev_u32_e32 v60, 28, v64
	v_lshlrev_b64 v[60:61], v60, v[46:47]
	v_lshrrev_b32_e32 v63, 3, v44
	v_sub_u32_e32 v61, 29, v64
	v_and_b32_e32 v60, 7, v60
	v_cmp_gt_u32_e32 vcc, 8, v44
	v_cndmask_b32_e32 v44, v63, v61, vcc
	v_cndmask_b32_e32 v60, v62, v60, vcc
	v_lshlrev_b32_e32 v46, 24, v46
	v_lshlrev_b32_e32 v60, 20, v60
	v_and_b32_e32 v46, 0x80000000, v46
	v_lshl_add_u32 v44, v44, 23, v55
	v_or3_b32 v44, v46, v44, v60
	v_lshrrev_b32_e32 v60, 16, v44
.LBB931_333:                            ;   in Loop: Header=BB931_215 Depth=1
	s_or_b64 exec, exec, s[16:17]
.LBB931_334:                            ;   in Loop: Header=BB931_215 Depth=1
	s_or_b64 exec, exec, s[14:15]
.LBB931_335:                            ;   in Loop: Header=BB931_215 Depth=1
	s_or_b64 exec, exec, s[12:13]
	s_waitcnt vmcnt(2)
	v_cmp_ne_u16_sdwa s[14:15], v42, v54 src0_sel:BYTE_0 src1_sel:DWORD
	s_and_saveexec_b64 s[12:13], s[14:15]
	s_cbranch_execz .LBB931_341
; %bb.336:                              ;   in Loop: Header=BB931_215 Depth=1
	v_cmp_ne_u16_sdwa s[16:17], v42, s9 src0_sel:BYTE_0 src1_sel:DWORD
	v_mov_b32_e32 v59, 0xffff8000
	s_and_saveexec_b64 s[14:15], s[16:17]
	s_cbranch_execz .LBB931_340
; %bb.337:                              ;   in Loop: Header=BB931_215 Depth=1
	v_and_b32_e32 v44, 0x7f, v42
	v_cmp_ne_u32_e32 vcc, s21, v44
	v_mov_b32_e32 v59, 0x7f80
	s_and_saveexec_b64 s[16:17], vcc
	s_cbranch_execz .LBB931_339
; %bb.338:                              ;   in Loop: Header=BB931_215 Depth=1
	v_and_b32_e32 v46, 7, v42
	v_ffbh_u32_e32 v61, v46
	v_min_u32_e32 v61, 32, v61
	v_subrev_u32_e32 v62, 28, v61
	v_lshlrev_b64 v[62:63], v62, v[42:43]
	v_lshrrev_b32_e32 v59, 3, v44
	v_sub_u32_e32 v61, 29, v61
	v_and_b32_e32 v62, 7, v62
	v_cmp_gt_u32_e32 vcc, 8, v44
	v_cndmask_b32_e32 v44, v59, v61, vcc
	v_cndmask_b32_e32 v46, v46, v62, vcc
	v_lshlrev_b32_e32 v59, 24, v42
	v_lshlrev_b32_e32 v46, 20, v46
	v_and_b32_e32 v59, 0x80000000, v59
	v_lshl_add_u32 v44, v44, 23, v55
	v_or3_b32 v44, v59, v44, v46
	v_lshrrev_b32_e32 v59, 16, v44
.LBB931_339:                            ;   in Loop: Header=BB931_215 Depth=1
	s_or_b64 exec, exec, s[16:17]
.LBB931_340:                            ;   in Loop: Header=BB931_215 Depth=1
	s_or_b64 exec, exec, s[14:15]
.LBB931_341:                            ;   in Loop: Header=BB931_215 Depth=1
	s_or_b64 exec, exec, s[12:13]
	v_lshrrev_b16_e32 v44, 8, v42
	v_cmp_ne_u16_e32 vcc, 0, v44
	v_mov_b32_e32 v62, 0
	v_mov_b32_e32 v61, 0
	s_and_saveexec_b64 s[12:13], vcc
	s_cbranch_execz .LBB931_347
; %bb.342:                              ;   in Loop: Header=BB931_215 Depth=1
	v_cmp_ne_u16_e32 vcc, s9, v44
	v_mov_b32_e32 v61, 0xffff8000
	s_and_saveexec_b64 s[14:15], vcc
	s_cbranch_execz .LBB931_346
; %bb.343:                              ;   in Loop: Header=BB931_215 Depth=1
	v_and_b32_e32 v46, 0x7f, v44
	v_cmp_ne_u32_e32 vcc, s21, v46
	v_mov_b32_e32 v61, 0x7f80
	s_and_saveexec_b64 s[16:17], vcc
	s_cbranch_execz .LBB931_345
; %bb.344:                              ;   in Loop: Header=BB931_215 Depth=1
	v_and_b32_e32 v61, 7, v44
	v_ffbh_u32_e32 v64, v61
	v_min_u32_e32 v66, 32, v64
	v_subrev_u32_e32 v64, 28, v66
	v_lshlrev_b64 v[64:65], v64, v[44:45]
	v_lshrrev_b32_e32 v63, 3, v46
	v_sub_u32_e32 v44, 29, v66
	v_and_b32_e32 v64, 7, v64
	v_cmp_gt_u32_e32 vcc, 8, v46
	v_cndmask_b32_e32 v44, v63, v44, vcc
	v_cndmask_b32_e32 v46, v61, v64, vcc
	v_lshlrev_b32_e32 v61, 16, v42
	v_lshlrev_b32_e32 v46, 20, v46
	v_and_b32_e32 v61, 0x80000000, v61
	v_lshl_add_u32 v44, v44, 23, v55
	v_or3_b32 v44, v61, v44, v46
	v_lshrrev_b32_e32 v61, 16, v44
.LBB931_345:                            ;   in Loop: Header=BB931_215 Depth=1
	s_or_b64 exec, exec, s[16:17]
.LBB931_346:                            ;   in Loop: Header=BB931_215 Depth=1
	s_or_b64 exec, exec, s[14:15]
.LBB931_347:                            ;   in Loop: Header=BB931_215 Depth=1
	s_or_b64 exec, exec, s[12:13]
	v_lshrrev_b32_e32 v44, 16, v42
	v_cmp_ne_u16_sdwa s[14:15], v44, v54 src0_sel:BYTE_0 src1_sel:DWORD
	s_and_saveexec_b64 s[12:13], s[14:15]
	s_cbranch_execz .LBB931_353
; %bb.348:                              ;   in Loop: Header=BB931_215 Depth=1
	v_cmp_ne_u16_sdwa s[16:17], v44, s9 src0_sel:BYTE_0 src1_sel:DWORD
	v_mov_b32_e32 v62, 0xffff8000
	s_and_saveexec_b64 s[14:15], s[16:17]
	s_cbranch_execz .LBB931_352
; %bb.349:                              ;   in Loop: Header=BB931_215 Depth=1
	v_bfe_u32 v46, v42, 16, 7
	v_cmp_ne_u32_e32 vcc, s21, v46
	v_mov_b32_e32 v62, 0x7f80
	s_and_saveexec_b64 s[16:17], vcc
	s_cbranch_execz .LBB931_351
; %bb.350:                              ;   in Loop: Header=BB931_215 Depth=1
	v_and_b32_e32 v64, 7, v44
	v_ffbh_u32_e32 v62, v64
	v_min_u32_e32 v66, 32, v62
	v_subrev_u32_e32 v62, 28, v66
	v_lshlrev_b64 v[62:63], v62, v[44:45]
	v_lshrrev_b32_e32 v65, 3, v46
	v_sub_u32_e32 v63, 29, v66
	v_and_b32_e32 v62, 7, v62
	v_cmp_gt_u32_e32 vcc, 8, v46
	v_cndmask_b32_e32 v46, v65, v63, vcc
	v_cndmask_b32_e32 v62, v64, v62, vcc
	v_lshlrev_b32_e32 v44, 24, v44
	v_lshlrev_b32_e32 v62, 20, v62
	v_and_b32_e32 v44, 0x80000000, v44
	v_lshl_add_u32 v46, v46, 23, v55
	v_or3_b32 v44, v44, v46, v62
	v_lshrrev_b32_e32 v62, 16, v44
.LBB931_351:                            ;   in Loop: Header=BB931_215 Depth=1
	s_or_b64 exec, exec, s[16:17]
.LBB931_352:                            ;   in Loop: Header=BB931_215 Depth=1
	s_or_b64 exec, exec, s[14:15]
.LBB931_353:                            ;   in Loop: Header=BB931_215 Depth=1
	s_or_b64 exec, exec, s[12:13]
	v_cmp_lt_u32_e32 vcc, s22, v42
	v_mov_b32_e32 v46, 0
	v_mov_b32_e32 v63, 0
	s_and_saveexec_b64 s[12:13], vcc
	s_cbranch_execz .LBB931_359
; %bb.354:                              ;   in Loop: Header=BB931_215 Depth=1
	v_lshrrev_b32_e32 v44, 24, v42
	v_cmp_ne_u32_e32 vcc, s9, v44
	v_mov_b32_e32 v63, 0xffff8000
	s_and_saveexec_b64 s[14:15], vcc
	s_cbranch_execz .LBB931_358
; %bb.355:                              ;   in Loop: Header=BB931_215 Depth=1
	v_bfe_u32 v42, v42, 24, 7
	v_cmp_ne_u32_e32 vcc, s21, v42
	v_mov_b32_e32 v63, 0x7f80
	s_and_saveexec_b64 s[16:17], vcc
	s_cbranch_execz .LBB931_357
; %bb.356:                              ;   in Loop: Header=BB931_215 Depth=1
	v_and_b32_e32 v63, 7, v44
	v_ffbh_u32_e32 v64, v63
	v_min_u32_e32 v67, 32, v64
	v_subrev_u32_e32 v64, 28, v67
	v_lshlrev_b64 v[64:65], v64, v[44:45]
	v_lshrrev_b32_e32 v66, 3, v42
	v_sub_u32_e32 v65, 29, v67
	v_and_b32_e32 v64, 7, v64
	v_cmp_gt_u32_e32 vcc, 8, v42
	v_cndmask_b32_e32 v42, v66, v65, vcc
	v_cndmask_b32_e32 v63, v63, v64, vcc
	v_lshlrev_b32_e32 v44, 24, v44
	v_lshlrev_b32_e32 v63, 20, v63
	v_and_b32_e32 v44, 0x80000000, v44
	v_lshl_add_u32 v42, v42, 23, v55
	v_or3_b32 v42, v44, v42, v63
	v_lshrrev_b32_e32 v63, 16, v42
.LBB931_357:                            ;   in Loop: Header=BB931_215 Depth=1
	s_or_b64 exec, exec, s[16:17]
.LBB931_358:                            ;   in Loop: Header=BB931_215 Depth=1
	s_or_b64 exec, exec, s[14:15]
.LBB931_359:                            ;   in Loop: Header=BB931_215 Depth=1
	s_or_b64 exec, exec, s[12:13]
	v_perm_b32 v65, v60, v58, s23
	v_perm_b32 v64, v57, v56, s23
	;; [unrolled: 1-line block ×4, first 2 shown]
	s_waitcnt vmcnt(1)
	v_cmp_ne_u16_sdwa s[14:15], v40, v54 src0_sel:BYTE_0 src1_sel:DWORD
	v_mfma_f32_16x16x16bf16_1k v[34:37], v[64:65], v[10:11], v[34:37]
	v_mfma_f32_16x16x16bf16_1k v[34:37], v[56:57], v[12:13], v[34:37]
	s_and_saveexec_b64 s[12:13], s[14:15]
	s_cbranch_execz .LBB931_365
; %bb.360:                              ;   in Loop: Header=BB931_215 Depth=1
	v_cmp_ne_u16_sdwa s[16:17], v40, s9 src0_sel:BYTE_0 src1_sel:DWORD
	v_mov_b32_e32 v46, 0xffff8000
	s_and_saveexec_b64 s[14:15], s[16:17]
	s_cbranch_execz .LBB931_364
; %bb.361:                              ;   in Loop: Header=BB931_215 Depth=1
	v_and_b32_e32 v42, 0x7f, v40
	v_cmp_ne_u32_e32 vcc, s21, v42
	v_mov_b32_e32 v46, 0x7f80
	s_and_saveexec_b64 s[16:17], vcc
	s_cbranch_execz .LBB931_363
; %bb.362:                              ;   in Loop: Header=BB931_215 Depth=1
	v_and_b32_e32 v44, 7, v40
	v_ffbh_u32_e32 v56, v44
	v_min_u32_e32 v58, 32, v56
	v_subrev_u32_e32 v56, 28, v58
	v_lshlrev_b64 v[56:57], v56, v[40:41]
	v_lshrrev_b32_e32 v46, 3, v42
	v_sub_u32_e32 v57, 29, v58
	v_and_b32_e32 v56, 7, v56
	v_cmp_gt_u32_e32 vcc, 8, v42
	v_cndmask_b32_e32 v42, v46, v57, vcc
	v_cndmask_b32_e32 v44, v44, v56, vcc
	v_lshlrev_b32_e32 v46, 24, v40
	v_lshlrev_b32_e32 v44, 20, v44
	v_and_b32_e32 v46, 0x80000000, v46
	v_lshl_add_u32 v42, v42, 23, v55
	v_or3_b32 v42, v46, v42, v44
	v_lshrrev_b32_e32 v46, 16, v42
.LBB931_363:                            ;   in Loop: Header=BB931_215 Depth=1
	s_or_b64 exec, exec, s[16:17]
.LBB931_364:                            ;   in Loop: Header=BB931_215 Depth=1
	s_or_b64 exec, exec, s[14:15]
.LBB931_365:                            ;   in Loop: Header=BB931_215 Depth=1
	s_or_b64 exec, exec, s[12:13]
	v_lshrrev_b16_e32 v42, 8, v40
	v_cmp_ne_u16_e32 vcc, 0, v42
	v_mov_b32_e32 v57, 0
	v_mov_b32_e32 v44, 0
	s_and_saveexec_b64 s[12:13], vcc
	s_cbranch_execz .LBB931_371
; %bb.366:                              ;   in Loop: Header=BB931_215 Depth=1
	v_cmp_ne_u16_e32 vcc, s9, v42
	v_mov_b32_e32 v44, 0xffff8000
	s_and_saveexec_b64 s[14:15], vcc
	s_cbranch_execz .LBB931_370
; %bb.367:                              ;   in Loop: Header=BB931_215 Depth=1
	v_and_b32_e32 v56, 0x7f, v42
	v_cmp_ne_u32_e32 vcc, s21, v56
	v_mov_b32_e32 v44, 0x7f80
	s_and_saveexec_b64 s[16:17], vcc
	s_cbranch_execz .LBB931_369
; %bb.368:                              ;   in Loop: Header=BB931_215 Depth=1
	v_and_b32_e32 v44, 7, v42
	v_ffbh_u32_e32 v58, v44
	v_min_u32_e32 v61, 32, v58
	v_subrev_u32_e32 v58, 28, v61
	v_lshlrev_b64 v[58:59], v58, v[42:43]
	v_lshrrev_b32_e32 v60, 3, v56
	v_sub_u32_e32 v42, 29, v61
	v_and_b32_e32 v58, 7, v58
	v_cmp_gt_u32_e32 vcc, 8, v56
	v_cndmask_b32_e32 v42, v60, v42, vcc
	v_cndmask_b32_e32 v44, v44, v58, vcc
	v_lshlrev_b32_e32 v56, 16, v40
	v_lshlrev_b32_e32 v44, 20, v44
	v_and_b32_e32 v56, 0x80000000, v56
	v_lshl_add_u32 v42, v42, 23, v55
	v_or3_b32 v42, v56, v42, v44
	v_lshrrev_b32_e32 v44, 16, v42
.LBB931_369:                            ;   in Loop: Header=BB931_215 Depth=1
	s_or_b64 exec, exec, s[16:17]
.LBB931_370:                            ;   in Loop: Header=BB931_215 Depth=1
	s_or_b64 exec, exec, s[14:15]
.LBB931_371:                            ;   in Loop: Header=BB931_215 Depth=1
	s_or_b64 exec, exec, s[12:13]
	v_lshrrev_b32_e32 v42, 16, v40
	v_cmp_ne_u16_sdwa s[14:15], v42, v54 src0_sel:BYTE_0 src1_sel:DWORD
	s_and_saveexec_b64 s[12:13], s[14:15]
	s_cbranch_execz .LBB931_377
; %bb.372:                              ;   in Loop: Header=BB931_215 Depth=1
	v_cmp_ne_u16_sdwa s[16:17], v42, s9 src0_sel:BYTE_0 src1_sel:DWORD
	v_mov_b32_e32 v57, 0xffff8000
	s_and_saveexec_b64 s[14:15], s[16:17]
	s_cbranch_execz .LBB931_376
; %bb.373:                              ;   in Loop: Header=BB931_215 Depth=1
	v_bfe_u32 v56, v40, 16, 7
	v_cmp_ne_u32_e32 vcc, s21, v56
	v_mov_b32_e32 v57, 0x7f80
	s_and_saveexec_b64 s[16:17], vcc
	s_cbranch_execz .LBB931_375
; %bb.374:                              ;   in Loop: Header=BB931_215 Depth=1
	v_and_b32_e32 v57, 7, v42
	v_ffbh_u32_e32 v58, v57
	v_min_u32_e32 v61, 32, v58
	v_subrev_u32_e32 v58, 28, v61
	v_lshlrev_b64 v[58:59], v58, v[42:43]
	v_lshrrev_b32_e32 v60, 3, v56
	v_sub_u32_e32 v59, 29, v61
	v_and_b32_e32 v58, 7, v58
	v_cmp_gt_u32_e32 vcc, 8, v56
	v_cndmask_b32_e32 v56, v60, v59, vcc
	v_cndmask_b32_e32 v57, v57, v58, vcc
	v_lshlrev_b32_e32 v42, 24, v42
	v_lshlrev_b32_e32 v57, 20, v57
	v_and_b32_e32 v42, 0x80000000, v42
	v_lshl_add_u32 v56, v56, 23, v55
	v_or3_b32 v42, v42, v56, v57
	v_lshrrev_b32_e32 v57, 16, v42
.LBB931_375:                            ;   in Loop: Header=BB931_215 Depth=1
	s_or_b64 exec, exec, s[16:17]
.LBB931_376:                            ;   in Loop: Header=BB931_215 Depth=1
	s_or_b64 exec, exec, s[14:15]
.LBB931_377:                            ;   in Loop: Header=BB931_215 Depth=1
	s_or_b64 exec, exec, s[12:13]
	v_cmp_lt_u32_e32 vcc, s22, v40
	v_mov_b32_e32 v58, 0
	v_mov_b32_e32 v59, 0
	s_and_saveexec_b64 s[12:13], vcc
	s_cbranch_execz .LBB931_383
; %bb.378:                              ;   in Loop: Header=BB931_215 Depth=1
	v_lshrrev_b32_e32 v42, 24, v40
	v_cmp_ne_u32_e32 vcc, s9, v42
	v_mov_b32_e32 v59, 0xffff8000
	s_and_saveexec_b64 s[14:15], vcc
	s_cbranch_execz .LBB931_382
; %bb.379:                              ;   in Loop: Header=BB931_215 Depth=1
	v_bfe_u32 v40, v40, 24, 7
	v_cmp_ne_u32_e32 vcc, s21, v40
	v_mov_b32_e32 v59, 0x7f80
	s_and_saveexec_b64 s[16:17], vcc
	s_cbranch_execz .LBB931_381
; %bb.380:                              ;   in Loop: Header=BB931_215 Depth=1
	v_and_b32_e32 v56, 7, v42
	v_ffbh_u32_e32 v60, v56
	v_min_u32_e32 v62, 32, v60
	v_subrev_u32_e32 v60, 28, v62
	v_lshlrev_b64 v[60:61], v60, v[42:43]
	v_lshrrev_b32_e32 v59, 3, v40
	v_sub_u32_e32 v61, 29, v62
	v_and_b32_e32 v60, 7, v60
	v_cmp_gt_u32_e32 vcc, 8, v40
	v_cndmask_b32_e32 v40, v59, v61, vcc
	v_cndmask_b32_e32 v56, v56, v60, vcc
	v_lshlrev_b32_e32 v42, 24, v42
	v_lshlrev_b32_e32 v56, 20, v56
	v_and_b32_e32 v42, 0x80000000, v42
	v_lshl_add_u32 v40, v40, 23, v55
	v_or3_b32 v40, v42, v40, v56
	v_lshrrev_b32_e32 v59, 16, v40
.LBB931_381:                            ;   in Loop: Header=BB931_215 Depth=1
	s_or_b64 exec, exec, s[16:17]
.LBB931_382:                            ;   in Loop: Header=BB931_215 Depth=1
	s_or_b64 exec, exec, s[14:15]
.LBB931_383:                            ;   in Loop: Header=BB931_215 Depth=1
	s_or_b64 exec, exec, s[12:13]
	s_waitcnt vmcnt(0)
	v_cmp_ne_u16_sdwa s[14:15], v38, v54 src0_sel:BYTE_0 src1_sel:DWORD
	s_and_saveexec_b64 s[12:13], s[14:15]
	s_cbranch_execz .LBB931_389
; %bb.384:                              ;   in Loop: Header=BB931_215 Depth=1
	v_cmp_ne_u16_sdwa s[16:17], v38, s9 src0_sel:BYTE_0 src1_sel:DWORD
	v_mov_b32_e32 v58, 0xffff8000
	s_and_saveexec_b64 s[14:15], s[16:17]
	s_cbranch_execz .LBB931_388
; %bb.385:                              ;   in Loop: Header=BB931_215 Depth=1
	v_and_b32_e32 v40, 0x7f, v38
	v_cmp_ne_u32_e32 vcc, s21, v40
	v_mov_b32_e32 v58, 0x7f80
	s_and_saveexec_b64 s[16:17], vcc
	s_cbranch_execz .LBB931_387
; %bb.386:                              ;   in Loop: Header=BB931_215 Depth=1
	v_and_b32_e32 v42, 7, v38
	v_ffbh_u32_e32 v58, v42
	v_min_u32_e32 v58, 32, v58
	v_subrev_u32_e32 v60, 28, v58
	v_lshlrev_b64 v[60:61], v60, v[38:39]
	v_lshrrev_b32_e32 v56, 3, v40
	v_sub_u32_e32 v58, 29, v58
	v_and_b32_e32 v60, 7, v60
	v_cmp_gt_u32_e32 vcc, 8, v40
	v_cndmask_b32_e32 v40, v56, v58, vcc
	v_cndmask_b32_e32 v42, v42, v60, vcc
	v_lshlrev_b32_e32 v56, 24, v38
	v_lshlrev_b32_e32 v42, 20, v42
	v_and_b32_e32 v56, 0x80000000, v56
	v_lshl_add_u32 v40, v40, 23, v55
	v_or3_b32 v40, v56, v40, v42
	v_lshrrev_b32_e32 v58, 16, v40
.LBB931_387:                            ;   in Loop: Header=BB931_215 Depth=1
	s_or_b64 exec, exec, s[16:17]
.LBB931_388:                            ;   in Loop: Header=BB931_215 Depth=1
	s_or_b64 exec, exec, s[14:15]
.LBB931_389:                            ;   in Loop: Header=BB931_215 Depth=1
	s_or_b64 exec, exec, s[12:13]
	v_lshrrev_b16_e32 v40, 8, v38
	v_cmp_ne_u16_e32 vcc, 0, v40
	v_mov_b32_e32 v61, 0
	v_mov_b32_e32 v60, 0
	s_and_saveexec_b64 s[12:13], vcc
	s_cbranch_execz .LBB931_395
; %bb.390:                              ;   in Loop: Header=BB931_215 Depth=1
	v_cmp_ne_u16_e32 vcc, s9, v40
	v_mov_b32_e32 v60, 0xffff8000
	s_and_saveexec_b64 s[14:15], vcc
	s_cbranch_execz .LBB931_394
; %bb.391:                              ;   in Loop: Header=BB931_215 Depth=1
	v_and_b32_e32 v42, 0x7f, v40
	v_cmp_ne_u32_e32 vcc, s21, v42
	v_mov_b32_e32 v60, 0x7f80
	s_and_saveexec_b64 s[16:17], vcc
	s_cbranch_execz .LBB931_393
; %bb.392:                              ;   in Loop: Header=BB931_215 Depth=1
	v_and_b32_e32 v56, 7, v40
	v_ffbh_u32_e32 v62, v56
	v_min_u32_e32 v64, 32, v62
	v_subrev_u32_e32 v62, 28, v64
	v_lshlrev_b64 v[62:63], v62, v[40:41]
	v_lshrrev_b32_e32 v60, 3, v42
	v_sub_u32_e32 v40, 29, v64
	v_and_b32_e32 v62, 7, v62
	v_cmp_gt_u32_e32 vcc, 8, v42
	v_cndmask_b32_e32 v40, v60, v40, vcc
	v_cndmask_b32_e32 v42, v56, v62, vcc
	v_lshlrev_b32_e32 v56, 16, v38
	v_lshlrev_b32_e32 v42, 20, v42
	v_and_b32_e32 v56, 0x80000000, v56
	v_lshl_add_u32 v40, v40, 23, v55
	v_or3_b32 v40, v56, v40, v42
	v_lshrrev_b32_e32 v60, 16, v40
.LBB931_393:                            ;   in Loop: Header=BB931_215 Depth=1
	s_or_b64 exec, exec, s[16:17]
.LBB931_394:                            ;   in Loop: Header=BB931_215 Depth=1
	s_or_b64 exec, exec, s[14:15]
.LBB931_395:                            ;   in Loop: Header=BB931_215 Depth=1
	s_or_b64 exec, exec, s[12:13]
	v_lshrrev_b32_e32 v40, 16, v38
	v_cmp_ne_u16_sdwa s[14:15], v40, v54 src0_sel:BYTE_0 src1_sel:DWORD
	s_and_saveexec_b64 s[12:13], s[14:15]
	s_cbranch_execz .LBB931_401
; %bb.396:                              ;   in Loop: Header=BB931_215 Depth=1
	v_cmp_ne_u16_sdwa s[16:17], v40, s9 src0_sel:BYTE_0 src1_sel:DWORD
	v_mov_b32_e32 v61, 0xffff8000
	s_and_saveexec_b64 s[14:15], s[16:17]
	s_cbranch_execz .LBB931_400
; %bb.397:                              ;   in Loop: Header=BB931_215 Depth=1
	v_bfe_u32 v42, v38, 16, 7
	v_cmp_ne_u32_e32 vcc, s21, v42
	v_mov_b32_e32 v61, 0x7f80
	s_and_saveexec_b64 s[16:17], vcc
	s_cbranch_execz .LBB931_399
; %bb.398:                              ;   in Loop: Header=BB931_215 Depth=1
	v_and_b32_e32 v56, 7, v40
	v_ffbh_u32_e32 v62, v56
	v_min_u32_e32 v64, 32, v62
	v_subrev_u32_e32 v62, 28, v64
	v_lshlrev_b64 v[62:63], v62, v[40:41]
	v_lshrrev_b32_e32 v61, 3, v42
	v_sub_u32_e32 v63, 29, v64
	v_and_b32_e32 v62, 7, v62
	v_cmp_gt_u32_e32 vcc, 8, v42
	v_cndmask_b32_e32 v42, v61, v63, vcc
	v_cndmask_b32_e32 v56, v56, v62, vcc
	v_lshlrev_b32_e32 v40, 24, v40
	v_lshlrev_b32_e32 v56, 20, v56
	v_and_b32_e32 v40, 0x80000000, v40
	v_lshl_add_u32 v42, v42, 23, v55
	v_or3_b32 v40, v40, v42, v56
	v_lshrrev_b32_e32 v61, 16, v40
.LBB931_399:                            ;   in Loop: Header=BB931_215 Depth=1
	s_or_b64 exec, exec, s[16:17]
.LBB931_400:                            ;   in Loop: Header=BB931_215 Depth=1
	s_or_b64 exec, exec, s[14:15]
.LBB931_401:                            ;   in Loop: Header=BB931_215 Depth=1
	s_or_b64 exec, exec, s[12:13]
	v_cmp_lt_u32_e32 vcc, s22, v38
	v_mov_b32_e32 v56, 0
	v_mov_b32_e32 v62, 0
	s_and_saveexec_b64 s[12:13], vcc
	s_cbranch_execz .LBB931_407
; %bb.402:                              ;   in Loop: Header=BB931_215 Depth=1
	v_lshrrev_b32_e32 v40, 24, v38
	v_cmp_ne_u32_e32 vcc, s9, v40
	v_mov_b32_e32 v62, 0xffff8000
	s_and_saveexec_b64 s[14:15], vcc
	s_cbranch_execz .LBB931_406
; %bb.403:                              ;   in Loop: Header=BB931_215 Depth=1
	v_bfe_u32 v38, v38, 24, 7
	v_cmp_ne_u32_e32 vcc, s21, v38
	v_mov_b32_e32 v62, 0x7f80
	s_and_saveexec_b64 s[16:17], vcc
	s_cbranch_execz .LBB931_405
; %bb.404:                              ;   in Loop: Header=BB931_215 Depth=1
	v_and_b32_e32 v42, 7, v40
	v_ffbh_u32_e32 v62, v42
	v_min_u32_e32 v65, 32, v62
	v_subrev_u32_e32 v62, 28, v65
	v_lshlrev_b64 v[62:63], v62, v[40:41]
	v_lshrrev_b32_e32 v64, 3, v38
	v_sub_u32_e32 v63, 29, v65
	v_and_b32_e32 v62, 7, v62
	v_cmp_gt_u32_e32 vcc, 8, v38
	v_cndmask_b32_e32 v38, v64, v63, vcc
	v_cndmask_b32_e32 v42, v42, v62, vcc
	v_lshlrev_b32_e32 v40, 24, v40
	v_lshlrev_b32_e32 v42, 20, v42
	v_and_b32_e32 v40, 0x80000000, v40
	v_lshl_add_u32 v38, v38, 23, v55
	v_or3_b32 v38, v40, v38, v42
	v_lshrrev_b32_e32 v62, 16, v38
.LBB931_405:                            ;   in Loop: Header=BB931_215 Depth=1
	s_or_b64 exec, exec, s[16:17]
.LBB931_406:                            ;   in Loop: Header=BB931_215 Depth=1
	s_or_b64 exec, exec, s[14:15]
.LBB931_407:                            ;   in Loop: Header=BB931_215 Depth=1
	s_or_b64 exec, exec, s[12:13]
	v_perm_b32 v64, v44, v46, s23
	buffer_load_dword v44, v51, s[0:3], 0 offen
	buffer_load_dword v42, v51, s[0:3], 0 offen offset:4
	buffer_load_dword v40, v51, s[0:3], 0 offen offset:8
	;; [unrolled: 1-line block ×3, first 2 shown]
	v_perm_b32 v65, v59, v57, s23
	v_perm_b32 v59, v62, v61, s23
	;; [unrolled: 1-line block ×3, first 2 shown]
	v_mfma_f32_16x16x16bf16_1k v[34:37], v[64:65], v[14:15], v[34:37]
	s_waitcnt vmcnt(3)
	v_cmp_ne_u16_sdwa s[14:15], v44, v54 src0_sel:BYTE_0 src1_sel:DWORD
	v_mfma_f32_16x16x16bf16_1k v[34:37], v[58:59], v[16:17], v[34:37]
	s_and_saveexec_b64 s[12:13], s[14:15]
	s_cbranch_execz .LBB931_413
; %bb.408:                              ;   in Loop: Header=BB931_215 Depth=1
	v_cmp_ne_u16_sdwa s[16:17], v44, s9 src0_sel:BYTE_0 src1_sel:DWORD
	v_mov_b32_e32 v56, 0xffff8000
	s_and_saveexec_b64 s[14:15], s[16:17]
	s_cbranch_execz .LBB931_412
; %bb.409:                              ;   in Loop: Header=BB931_215 Depth=1
	v_and_b32_e32 v46, 0x7f, v44
	v_cmp_ne_u32_e32 vcc, s21, v46
	v_mov_b32_e32 v56, 0x7f80
	s_and_saveexec_b64 s[16:17], vcc
	s_cbranch_execz .LBB931_411
; %bb.410:                              ;   in Loop: Header=BB931_215 Depth=1
	v_and_b32_e32 v51, 7, v44
	v_ffbh_u32_e32 v56, v51
	v_min_u32_e32 v59, 32, v56
	v_subrev_u32_e32 v56, 28, v59
	v_lshlrev_b64 v[56:57], v56, v[44:45]
	v_lshrrev_b32_e32 v58, 3, v46
	v_sub_u32_e32 v57, 29, v59
	v_and_b32_e32 v56, 7, v56
	v_cmp_gt_u32_e32 vcc, 8, v46
	v_cndmask_b32_e32 v46, v58, v57, vcc
	v_cndmask_b32_e32 v51, v51, v56, vcc
	v_lshlrev_b32_e32 v56, 24, v44
	v_lshlrev_b32_e32 v51, 20, v51
	v_and_b32_e32 v56, 0x80000000, v56
	v_lshl_add_u32 v46, v46, 23, v55
	v_or3_b32 v46, v56, v46, v51
	v_lshrrev_b32_e32 v56, 16, v46
.LBB931_411:                            ;   in Loop: Header=BB931_215 Depth=1
	s_or_b64 exec, exec, s[16:17]
.LBB931_412:                            ;   in Loop: Header=BB931_215 Depth=1
	s_or_b64 exec, exec, s[14:15]
.LBB931_413:                            ;   in Loop: Header=BB931_215 Depth=1
	s_or_b64 exec, exec, s[12:13]
	v_lshrrev_b16_e32 v46, 8, v44
	v_cmp_ne_u16_e32 vcc, 0, v46
	v_mov_b32_e32 v57, 0
	v_mov_b32_e32 v51, 0
	s_and_saveexec_b64 s[12:13], vcc
	s_cbranch_execz .LBB931_419
; %bb.414:                              ;   in Loop: Header=BB931_215 Depth=1
	v_cmp_ne_u16_e32 vcc, s9, v46
	v_mov_b32_e32 v51, 0xffff8000
	s_and_saveexec_b64 s[14:15], vcc
	s_cbranch_execz .LBB931_418
; %bb.415:                              ;   in Loop: Header=BB931_215 Depth=1
	v_and_b32_e32 v58, 0x7f, v46
	v_cmp_ne_u32_e32 vcc, s21, v58
	v_mov_b32_e32 v51, 0x7f80
	s_and_saveexec_b64 s[16:17], vcc
	s_cbranch_execz .LBB931_417
; %bb.416:                              ;   in Loop: Header=BB931_215 Depth=1
	v_and_b32_e32 v51, 7, v46
	v_ffbh_u32_e32 v60, v51
	v_min_u32_e32 v62, 32, v60
	v_subrev_u32_e32 v60, 28, v62
	v_lshlrev_b64 v[60:61], v60, v[46:47]
	v_lshrrev_b32_e32 v59, 3, v58
	v_sub_u32_e32 v46, 29, v62
	v_and_b32_e32 v60, 7, v60
	v_cmp_gt_u32_e32 vcc, 8, v58
	v_cndmask_b32_e32 v46, v59, v46, vcc
	v_cndmask_b32_e32 v51, v51, v60, vcc
	v_lshlrev_b32_e32 v58, 16, v44
	v_lshlrev_b32_e32 v51, 20, v51
	v_and_b32_e32 v58, 0x80000000, v58
	v_lshl_add_u32 v46, v46, 23, v55
	v_or3_b32 v46, v58, v46, v51
	v_lshrrev_b32_e32 v51, 16, v46
.LBB931_417:                            ;   in Loop: Header=BB931_215 Depth=1
	s_or_b64 exec, exec, s[16:17]
.LBB931_418:                            ;   in Loop: Header=BB931_215 Depth=1
	s_or_b64 exec, exec, s[14:15]
.LBB931_419:                            ;   in Loop: Header=BB931_215 Depth=1
	s_or_b64 exec, exec, s[12:13]
	v_lshrrev_b32_e32 v46, 16, v44
	v_cmp_ne_u16_sdwa s[14:15], v46, v54 src0_sel:BYTE_0 src1_sel:DWORD
	s_and_saveexec_b64 s[12:13], s[14:15]
	s_cbranch_execz .LBB931_425
; %bb.420:                              ;   in Loop: Header=BB931_215 Depth=1
	v_cmp_ne_u16_sdwa s[16:17], v46, s9 src0_sel:BYTE_0 src1_sel:DWORD
	v_mov_b32_e32 v57, 0xffff8000
	s_and_saveexec_b64 s[14:15], s[16:17]
	s_cbranch_execz .LBB931_424
; %bb.421:                              ;   in Loop: Header=BB931_215 Depth=1
	v_bfe_u32 v58, v44, 16, 7
	v_cmp_ne_u32_e32 vcc, s21, v58
	v_mov_b32_e32 v57, 0x7f80
	s_and_saveexec_b64 s[16:17], vcc
	s_cbranch_execz .LBB931_423
; %bb.422:                              ;   in Loop: Header=BB931_215 Depth=1
	v_and_b32_e32 v57, 7, v46
	v_ffbh_u32_e32 v60, v57
	v_min_u32_e32 v62, 32, v60
	v_subrev_u32_e32 v60, 28, v62
	v_lshlrev_b64 v[60:61], v60, v[46:47]
	v_lshrrev_b32_e32 v59, 3, v58
	v_sub_u32_e32 v61, 29, v62
	v_and_b32_e32 v60, 7, v60
	v_cmp_gt_u32_e32 vcc, 8, v58
	v_cndmask_b32_e32 v58, v59, v61, vcc
	v_cndmask_b32_e32 v57, v57, v60, vcc
	v_lshlrev_b32_e32 v46, 24, v46
	v_lshlrev_b32_e32 v57, 20, v57
	v_and_b32_e32 v46, 0x80000000, v46
	v_lshl_add_u32 v58, v58, 23, v55
	v_or3_b32 v46, v46, v58, v57
	v_lshrrev_b32_e32 v57, 16, v46
.LBB931_423:                            ;   in Loop: Header=BB931_215 Depth=1
	s_or_b64 exec, exec, s[16:17]
.LBB931_424:                            ;   in Loop: Header=BB931_215 Depth=1
	s_or_b64 exec, exec, s[14:15]
.LBB931_425:                            ;   in Loop: Header=BB931_215 Depth=1
	s_or_b64 exec, exec, s[12:13]
	v_cmp_lt_u32_e32 vcc, s22, v44
	v_mov_b32_e32 v58, 0
	v_mov_b32_e32 v59, 0
	s_and_saveexec_b64 s[12:13], vcc
	s_cbranch_execz .LBB931_431
; %bb.426:                              ;   in Loop: Header=BB931_215 Depth=1
	v_lshrrev_b32_e32 v46, 24, v44
	v_cmp_ne_u32_e32 vcc, s9, v46
	v_mov_b32_e32 v59, 0xffff8000
	s_and_saveexec_b64 s[14:15], vcc
	s_cbranch_execz .LBB931_430
; %bb.427:                              ;   in Loop: Header=BB931_215 Depth=1
	v_bfe_u32 v44, v44, 24, 7
	v_cmp_ne_u32_e32 vcc, s21, v44
	v_mov_b32_e32 v59, 0x7f80
	s_and_saveexec_b64 s[16:17], vcc
	s_cbranch_execz .LBB931_429
; %bb.428:                              ;   in Loop: Header=BB931_215 Depth=1
	v_and_b32_e32 v59, 7, v46
	v_ffbh_u32_e32 v60, v59
	v_min_u32_e32 v63, 32, v60
	v_subrev_u32_e32 v60, 28, v63
	v_lshlrev_b64 v[60:61], v60, v[46:47]
	v_lshrrev_b32_e32 v62, 3, v44
	v_sub_u32_e32 v61, 29, v63
	v_and_b32_e32 v60, 7, v60
	v_cmp_gt_u32_e32 vcc, 8, v44
	v_cndmask_b32_e32 v44, v62, v61, vcc
	v_cndmask_b32_e32 v59, v59, v60, vcc
	v_lshlrev_b32_e32 v46, 24, v46
	v_lshlrev_b32_e32 v59, 20, v59
	v_and_b32_e32 v46, 0x80000000, v46
	v_lshl_add_u32 v44, v44, 23, v55
	v_or3_b32 v44, v46, v44, v59
	v_lshrrev_b32_e32 v59, 16, v44
.LBB931_429:                            ;   in Loop: Header=BB931_215 Depth=1
	s_or_b64 exec, exec, s[16:17]
.LBB931_430:                            ;   in Loop: Header=BB931_215 Depth=1
	s_or_b64 exec, exec, s[14:15]
.LBB931_431:                            ;   in Loop: Header=BB931_215 Depth=1
	s_or_b64 exec, exec, s[12:13]
	s_waitcnt vmcnt(2)
	v_cmp_ne_u16_sdwa s[14:15], v42, v54 src0_sel:BYTE_0 src1_sel:DWORD
	s_and_saveexec_b64 s[12:13], s[14:15]
	s_cbranch_execz .LBB931_437
; %bb.432:                              ;   in Loop: Header=BB931_215 Depth=1
	v_cmp_ne_u16_sdwa s[16:17], v42, s9 src0_sel:BYTE_0 src1_sel:DWORD
	v_mov_b32_e32 v58, 0xffff8000
	s_and_saveexec_b64 s[14:15], s[16:17]
	s_cbranch_execz .LBB931_436
; %bb.433:                              ;   in Loop: Header=BB931_215 Depth=1
	v_and_b32_e32 v44, 0x7f, v42
	v_cmp_ne_u32_e32 vcc, s21, v44
	v_mov_b32_e32 v58, 0x7f80
	s_and_saveexec_b64 s[16:17], vcc
	s_cbranch_execz .LBB931_435
; %bb.434:                              ;   in Loop: Header=BB931_215 Depth=1
	v_and_b32_e32 v46, 7, v42
	v_ffbh_u32_e32 v60, v46
	v_min_u32_e32 v62, 32, v60
	v_subrev_u32_e32 v60, 28, v62
	v_lshlrev_b64 v[60:61], v60, v[42:43]
	v_lshrrev_b32_e32 v58, 3, v44
	v_sub_u32_e32 v61, 29, v62
	v_and_b32_e32 v60, 7, v60
	v_cmp_gt_u32_e32 vcc, 8, v44
	v_cndmask_b32_e32 v44, v58, v61, vcc
	v_cndmask_b32_e32 v46, v46, v60, vcc
	v_lshlrev_b32_e32 v58, 24, v42
	v_lshlrev_b32_e32 v46, 20, v46
	v_and_b32_e32 v58, 0x80000000, v58
	v_lshl_add_u32 v44, v44, 23, v55
	v_or3_b32 v44, v58, v44, v46
	v_lshrrev_b32_e32 v58, 16, v44
.LBB931_435:                            ;   in Loop: Header=BB931_215 Depth=1
	s_or_b64 exec, exec, s[16:17]
.LBB931_436:                            ;   in Loop: Header=BB931_215 Depth=1
	s_or_b64 exec, exec, s[14:15]
.LBB931_437:                            ;   in Loop: Header=BB931_215 Depth=1
	s_or_b64 exec, exec, s[12:13]
	v_lshrrev_b16_e32 v44, 8, v42
	v_cmp_ne_u16_e32 vcc, 0, v44
	v_mov_b32_e32 v61, 0
	v_mov_b32_e32 v60, 0
	s_and_saveexec_b64 s[12:13], vcc
	s_cbranch_execz .LBB931_443
; %bb.438:                              ;   in Loop: Header=BB931_215 Depth=1
	v_cmp_ne_u16_e32 vcc, s9, v44
	v_mov_b32_e32 v60, 0xffff8000
	s_and_saveexec_b64 s[14:15], vcc
	s_cbranch_execz .LBB931_442
; %bb.439:                              ;   in Loop: Header=BB931_215 Depth=1
	v_and_b32_e32 v46, 0x7f, v44
	v_cmp_ne_u32_e32 vcc, s21, v46
	v_mov_b32_e32 v60, 0x7f80
	s_and_saveexec_b64 s[16:17], vcc
	s_cbranch_execz .LBB931_441
; %bb.440:                              ;   in Loop: Header=BB931_215 Depth=1
	v_and_b32_e32 v60, 7, v44
	v_ffbh_u32_e32 v62, v60
	v_min_u32_e32 v65, 32, v62
	v_subrev_u32_e32 v62, 28, v65
	v_lshlrev_b64 v[62:63], v62, v[44:45]
	v_lshrrev_b32_e32 v64, 3, v46
	v_sub_u32_e32 v44, 29, v65
	v_and_b32_e32 v62, 7, v62
	v_cmp_gt_u32_e32 vcc, 8, v46
	v_cndmask_b32_e32 v44, v64, v44, vcc
	v_cndmask_b32_e32 v46, v60, v62, vcc
	v_lshlrev_b32_e32 v60, 16, v42
	v_lshlrev_b32_e32 v46, 20, v46
	v_and_b32_e32 v60, 0x80000000, v60
	v_lshl_add_u32 v44, v44, 23, v55
	v_or3_b32 v44, v60, v44, v46
	v_lshrrev_b32_e32 v60, 16, v44
.LBB931_441:                            ;   in Loop: Header=BB931_215 Depth=1
	s_or_b64 exec, exec, s[16:17]
.LBB931_442:                            ;   in Loop: Header=BB931_215 Depth=1
	s_or_b64 exec, exec, s[14:15]
.LBB931_443:                            ;   in Loop: Header=BB931_215 Depth=1
	s_or_b64 exec, exec, s[12:13]
	v_lshrrev_b32_e32 v44, 16, v42
	v_cmp_ne_u16_sdwa s[14:15], v44, v54 src0_sel:BYTE_0 src1_sel:DWORD
	s_and_saveexec_b64 s[12:13], s[14:15]
	s_cbranch_execz .LBB931_449
; %bb.444:                              ;   in Loop: Header=BB931_215 Depth=1
	v_cmp_ne_u16_sdwa s[16:17], v44, s9 src0_sel:BYTE_0 src1_sel:DWORD
	v_mov_b32_e32 v61, 0xffff8000
	s_and_saveexec_b64 s[14:15], s[16:17]
	s_cbranch_execz .LBB931_448
; %bb.445:                              ;   in Loop: Header=BB931_215 Depth=1
	v_bfe_u32 v46, v42, 16, 7
	v_cmp_ne_u32_e32 vcc, s21, v46
	v_mov_b32_e32 v61, 0x7f80
	s_and_saveexec_b64 s[16:17], vcc
	s_cbranch_execz .LBB931_447
; %bb.446:                              ;   in Loop: Header=BB931_215 Depth=1
	v_and_b32_e32 v61, 7, v44
	v_ffbh_u32_e32 v62, v61
	v_min_u32_e32 v65, 32, v62
	v_subrev_u32_e32 v62, 28, v65
	v_lshlrev_b64 v[62:63], v62, v[44:45]
	v_lshrrev_b32_e32 v64, 3, v46
	v_sub_u32_e32 v63, 29, v65
	v_and_b32_e32 v62, 7, v62
	v_cmp_gt_u32_e32 vcc, 8, v46
	v_cndmask_b32_e32 v46, v64, v63, vcc
	v_cndmask_b32_e32 v61, v61, v62, vcc
	v_lshlrev_b32_e32 v44, 24, v44
	v_lshlrev_b32_e32 v61, 20, v61
	v_and_b32_e32 v44, 0x80000000, v44
	v_lshl_add_u32 v46, v46, 23, v55
	v_or3_b32 v44, v44, v46, v61
	v_lshrrev_b32_e32 v61, 16, v44
.LBB931_447:                            ;   in Loop: Header=BB931_215 Depth=1
	s_or_b64 exec, exec, s[16:17]
.LBB931_448:                            ;   in Loop: Header=BB931_215 Depth=1
	s_or_b64 exec, exec, s[14:15]
.LBB931_449:                            ;   in Loop: Header=BB931_215 Depth=1
	s_or_b64 exec, exec, s[12:13]
	v_cmp_lt_u32_e32 vcc, s22, v42
	v_mov_b32_e32 v46, 0
	v_mov_b32_e32 v62, 0
	s_and_saveexec_b64 s[12:13], vcc
	s_cbranch_execz .LBB931_455
; %bb.450:                              ;   in Loop: Header=BB931_215 Depth=1
	v_lshrrev_b32_e32 v44, 24, v42
	v_cmp_ne_u32_e32 vcc, s9, v44
	v_mov_b32_e32 v62, 0xffff8000
	s_and_saveexec_b64 s[14:15], vcc
	s_cbranch_execz .LBB931_454
; %bb.451:                              ;   in Loop: Header=BB931_215 Depth=1
	v_bfe_u32 v42, v42, 24, 7
	v_cmp_ne_u32_e32 vcc, s21, v42
	v_mov_b32_e32 v62, 0x7f80
	s_and_saveexec_b64 s[16:17], vcc
	s_cbranch_execz .LBB931_453
; %bb.452:                              ;   in Loop: Header=BB931_215 Depth=1
	v_and_b32_e32 v64, 7, v44
	v_ffbh_u32_e32 v62, v64
	v_min_u32_e32 v66, 32, v62
	v_subrev_u32_e32 v62, 28, v66
	v_lshlrev_b64 v[62:63], v62, v[44:45]
	v_lshrrev_b32_e32 v65, 3, v42
	v_sub_u32_e32 v63, 29, v66
	v_and_b32_e32 v62, 7, v62
	v_cmp_gt_u32_e32 vcc, 8, v42
	v_cndmask_b32_e32 v42, v65, v63, vcc
	v_cndmask_b32_e32 v62, v64, v62, vcc
	v_lshlrev_b32_e32 v44, 24, v44
	v_lshlrev_b32_e32 v62, 20, v62
	v_and_b32_e32 v44, 0x80000000, v44
	v_lshl_add_u32 v42, v42, 23, v55
	v_or3_b32 v42, v44, v42, v62
	v_lshrrev_b32_e32 v62, 16, v42
.LBB931_453:                            ;   in Loop: Header=BB931_215 Depth=1
	s_or_b64 exec, exec, s[16:17]
.LBB931_454:                            ;   in Loop: Header=BB931_215 Depth=1
	s_or_b64 exec, exec, s[14:15]
.LBB931_455:                            ;   in Loop: Header=BB931_215 Depth=1
	s_or_b64 exec, exec, s[12:13]
	v_perm_b32 v57, v59, v57, s23
	v_perm_b32 v56, v51, v56, s23
	s_waitcnt vmcnt(1)
	v_cmp_ne_u16_sdwa s[14:15], v40, v54 src0_sel:BYTE_0 src1_sel:DWORD
	v_mfma_f32_16x16x16bf16_1k v[34:37], v[56:57], v[18:19], v[34:37]
	v_perm_b32 v57, v62, v61, s23
	v_perm_b32 v56, v60, v58, s23
	s_nop 1
	v_mfma_f32_16x16x16bf16_1k v[34:37], v[56:57], v[20:21], v[34:37]
	s_and_saveexec_b64 s[12:13], s[14:15]
	s_cbranch_execz .LBB931_461
; %bb.456:                              ;   in Loop: Header=BB931_215 Depth=1
	v_cmp_ne_u16_sdwa s[16:17], v40, s9 src0_sel:BYTE_0 src1_sel:DWORD
	v_mov_b32_e32 v46, 0xffff8000
	s_and_saveexec_b64 s[14:15], s[16:17]
	s_cbranch_execz .LBB931_460
; %bb.457:                              ;   in Loop: Header=BB931_215 Depth=1
	v_and_b32_e32 v42, 0x7f, v40
	v_cmp_ne_u32_e32 vcc, s21, v42
	v_mov_b32_e32 v46, 0x7f80
	s_and_saveexec_b64 s[16:17], vcc
	s_cbranch_execz .LBB931_459
; %bb.458:                              ;   in Loop: Header=BB931_215 Depth=1
	v_and_b32_e32 v44, 7, v40
	v_ffbh_u32_e32 v51, v44
	v_min_u32_e32 v51, 32, v51
	v_subrev_u32_e32 v56, 28, v51
	v_lshlrev_b64 v[56:57], v56, v[40:41]
	v_lshrrev_b32_e32 v46, 3, v42
	v_sub_u32_e32 v51, 29, v51
	v_and_b32_e32 v56, 7, v56
	v_cmp_gt_u32_e32 vcc, 8, v42
	v_cndmask_b32_e32 v42, v46, v51, vcc
	v_cndmask_b32_e32 v44, v44, v56, vcc
	v_lshlrev_b32_e32 v46, 24, v40
	v_lshlrev_b32_e32 v44, 20, v44
	v_and_b32_e32 v46, 0x80000000, v46
	v_lshl_add_u32 v42, v42, 23, v55
	v_or3_b32 v42, v46, v42, v44
	v_lshrrev_b32_e32 v46, 16, v42
.LBB931_459:                            ;   in Loop: Header=BB931_215 Depth=1
	s_or_b64 exec, exec, s[16:17]
.LBB931_460:                            ;   in Loop: Header=BB931_215 Depth=1
	s_or_b64 exec, exec, s[14:15]
.LBB931_461:                            ;   in Loop: Header=BB931_215 Depth=1
	s_or_b64 exec, exec, s[12:13]
	v_lshrrev_b16_e32 v42, 8, v40
	v_cmp_ne_u16_e32 vcc, 0, v42
	v_mov_b32_e32 v56, 0
	v_mov_b32_e32 v44, 0
	s_and_saveexec_b64 s[12:13], vcc
	s_cbranch_execz .LBB931_467
; %bb.462:                              ;   in Loop: Header=BB931_215 Depth=1
	v_cmp_ne_u16_e32 vcc, s9, v42
	v_mov_b32_e32 v44, 0xffff8000
	s_and_saveexec_b64 s[14:15], vcc
	s_cbranch_execz .LBB931_466
; %bb.463:                              ;   in Loop: Header=BB931_215 Depth=1
	v_and_b32_e32 v51, 0x7f, v42
	v_cmp_ne_u32_e32 vcc, s21, v51
	v_mov_b32_e32 v44, 0x7f80
	s_and_saveexec_b64 s[16:17], vcc
	s_cbranch_execz .LBB931_465
; %bb.464:                              ;   in Loop: Header=BB931_215 Depth=1
	v_and_b32_e32 v44, 7, v42
	v_ffbh_u32_e32 v58, v44
	v_min_u32_e32 v60, 32, v58
	v_subrev_u32_e32 v58, 28, v60
	v_lshlrev_b64 v[58:59], v58, v[42:43]
	v_lshrrev_b32_e32 v57, 3, v51
	v_sub_u32_e32 v42, 29, v60
	v_and_b32_e32 v58, 7, v58
	v_cmp_gt_u32_e32 vcc, 8, v51
	v_cndmask_b32_e32 v42, v57, v42, vcc
	v_cndmask_b32_e32 v44, v44, v58, vcc
	v_lshlrev_b32_e32 v51, 16, v40
	v_lshlrev_b32_e32 v44, 20, v44
	v_and_b32_e32 v51, 0x80000000, v51
	v_lshl_add_u32 v42, v42, 23, v55
	v_or3_b32 v42, v51, v42, v44
	v_lshrrev_b32_e32 v44, 16, v42
.LBB931_465:                            ;   in Loop: Header=BB931_215 Depth=1
	s_or_b64 exec, exec, s[16:17]
.LBB931_466:                            ;   in Loop: Header=BB931_215 Depth=1
	s_or_b64 exec, exec, s[14:15]
.LBB931_467:                            ;   in Loop: Header=BB931_215 Depth=1
	s_or_b64 exec, exec, s[12:13]
	v_lshrrev_b32_e32 v42, 16, v40
	v_cmp_ne_u16_sdwa s[14:15], v42, v54 src0_sel:BYTE_0 src1_sel:DWORD
	s_and_saveexec_b64 s[12:13], s[14:15]
	s_cbranch_execz .LBB931_473
; %bb.468:                              ;   in Loop: Header=BB931_215 Depth=1
	v_cmp_ne_u16_sdwa s[16:17], v42, s9 src0_sel:BYTE_0 src1_sel:DWORD
	v_mov_b32_e32 v56, 0xffff8000
	s_and_saveexec_b64 s[14:15], s[16:17]
	s_cbranch_execz .LBB931_472
; %bb.469:                              ;   in Loop: Header=BB931_215 Depth=1
	v_bfe_u32 v51, v40, 16, 7
	v_cmp_ne_u32_e32 vcc, s21, v51
	v_mov_b32_e32 v56, 0x7f80
	s_and_saveexec_b64 s[16:17], vcc
	s_cbranch_execz .LBB931_471
; %bb.470:                              ;   in Loop: Header=BB931_215 Depth=1
	v_and_b32_e32 v58, 7, v42
	v_ffbh_u32_e32 v56, v58
	v_min_u32_e32 v60, 32, v56
	v_subrev_u32_e32 v56, 28, v60
	v_lshlrev_b64 v[56:57], v56, v[42:43]
	v_lshrrev_b32_e32 v59, 3, v51
	v_sub_u32_e32 v57, 29, v60
	v_and_b32_e32 v56, 7, v56
	v_cmp_gt_u32_e32 vcc, 8, v51
	v_cndmask_b32_e32 v51, v59, v57, vcc
	v_cndmask_b32_e32 v56, v58, v56, vcc
	v_lshlrev_b32_e32 v42, 24, v42
	v_lshlrev_b32_e32 v56, 20, v56
	v_and_b32_e32 v42, 0x80000000, v42
	v_lshl_add_u32 v51, v51, 23, v55
	v_or3_b32 v42, v42, v51, v56
	v_lshrrev_b32_e32 v56, 16, v42
.LBB931_471:                            ;   in Loop: Header=BB931_215 Depth=1
	s_or_b64 exec, exec, s[16:17]
.LBB931_472:                            ;   in Loop: Header=BB931_215 Depth=1
	s_or_b64 exec, exec, s[14:15]
.LBB931_473:                            ;   in Loop: Header=BB931_215 Depth=1
	s_or_b64 exec, exec, s[12:13]
	v_cmp_lt_u32_e32 vcc, s22, v40
	v_mov_b32_e32 v57, 0
	v_mov_b32_e32 v58, 0
	s_and_saveexec_b64 s[12:13], vcc
	s_cbranch_execz .LBB931_479
; %bb.474:                              ;   in Loop: Header=BB931_215 Depth=1
	v_lshrrev_b32_e32 v42, 24, v40
	v_cmp_ne_u32_e32 vcc, s9, v42
	v_mov_b32_e32 v58, 0xffff8000
	s_and_saveexec_b64 s[14:15], vcc
	s_cbranch_execz .LBB931_478
; %bb.475:                              ;   in Loop: Header=BB931_215 Depth=1
	v_bfe_u32 v40, v40, 24, 7
	v_cmp_ne_u32_e32 vcc, s21, v40
	v_mov_b32_e32 v58, 0x7f80
	s_and_saveexec_b64 s[16:17], vcc
	s_cbranch_execz .LBB931_477
; %bb.476:                              ;   in Loop: Header=BB931_215 Depth=1
	v_and_b32_e32 v51, 7, v42
	v_ffbh_u32_e32 v58, v51
	v_min_u32_e32 v61, 32, v58
	v_subrev_u32_e32 v58, 28, v61
	v_lshlrev_b64 v[58:59], v58, v[42:43]
	v_lshrrev_b32_e32 v60, 3, v40
	v_sub_u32_e32 v59, 29, v61
	v_and_b32_e32 v58, 7, v58
	v_cmp_gt_u32_e32 vcc, 8, v40
	v_cndmask_b32_e32 v40, v60, v59, vcc
	v_cndmask_b32_e32 v51, v51, v58, vcc
	v_lshlrev_b32_e32 v42, 24, v42
	v_lshlrev_b32_e32 v51, 20, v51
	v_and_b32_e32 v42, 0x80000000, v42
	v_lshl_add_u32 v40, v40, 23, v55
	v_or3_b32 v40, v42, v40, v51
	v_lshrrev_b32_e32 v58, 16, v40
.LBB931_477:                            ;   in Loop: Header=BB931_215 Depth=1
	s_or_b64 exec, exec, s[16:17]
.LBB931_478:                            ;   in Loop: Header=BB931_215 Depth=1
	s_or_b64 exec, exec, s[14:15]
.LBB931_479:                            ;   in Loop: Header=BB931_215 Depth=1
	s_or_b64 exec, exec, s[12:13]
	s_waitcnt vmcnt(0)
	v_cmp_ne_u16_sdwa s[14:15], v38, v54 src0_sel:BYTE_0 src1_sel:DWORD
	s_and_saveexec_b64 s[12:13], s[14:15]
	s_cbranch_execz .LBB931_485
; %bb.480:                              ;   in Loop: Header=BB931_215 Depth=1
	v_cmp_ne_u16_sdwa s[16:17], v38, s9 src0_sel:BYTE_0 src1_sel:DWORD
	v_mov_b32_e32 v57, 0xffff8000
	s_and_saveexec_b64 s[14:15], s[16:17]
	s_cbranch_execz .LBB931_484
; %bb.481:                              ;   in Loop: Header=BB931_215 Depth=1
	v_and_b32_e32 v40, 0x7f, v38
	v_cmp_ne_u32_e32 vcc, s21, v40
	v_mov_b32_e32 v57, 0x7f80
	s_and_saveexec_b64 s[16:17], vcc
	s_cbranch_execz .LBB931_483
; %bb.482:                              ;   in Loop: Header=BB931_215 Depth=1
	v_and_b32_e32 v42, 7, v38
	v_ffbh_u32_e32 v57, v42
	v_min_u32_e32 v57, 32, v57
	v_subrev_u32_e32 v59, 28, v57
	v_lshlrev_b64 v[60:61], v59, v[38:39]
	v_lshrrev_b32_e32 v51, 3, v40
	v_sub_u32_e32 v57, 29, v57
	v_and_b32_e32 v59, 7, v60
	v_cmp_gt_u32_e32 vcc, 8, v40
	v_cndmask_b32_e32 v40, v51, v57, vcc
	v_cndmask_b32_e32 v42, v42, v59, vcc
	v_lshlrev_b32_e32 v51, 24, v38
	v_lshlrev_b32_e32 v42, 20, v42
	v_and_b32_e32 v51, 0x80000000, v51
	v_lshl_add_u32 v40, v40, 23, v55
	v_or3_b32 v40, v51, v40, v42
	v_lshrrev_b32_e32 v57, 16, v40
.LBB931_483:                            ;   in Loop: Header=BB931_215 Depth=1
	s_or_b64 exec, exec, s[16:17]
.LBB931_484:                            ;   in Loop: Header=BB931_215 Depth=1
	s_or_b64 exec, exec, s[14:15]
.LBB931_485:                            ;   in Loop: Header=BB931_215 Depth=1
	s_or_b64 exec, exec, s[12:13]
	v_lshrrev_b16_e32 v40, 8, v38
	v_cmp_ne_u16_e32 vcc, 0, v40
	v_mov_b32_e32 v60, 0
	v_mov_b32_e32 v59, 0
	s_and_saveexec_b64 s[12:13], vcc
	s_cbranch_execz .LBB931_491
; %bb.486:                              ;   in Loop: Header=BB931_215 Depth=1
	v_cmp_ne_u16_e32 vcc, s9, v40
	v_mov_b32_e32 v59, 0xffff8000
	s_and_saveexec_b64 s[14:15], vcc
	s_cbranch_execz .LBB931_490
; %bb.487:                              ;   in Loop: Header=BB931_215 Depth=1
	v_and_b32_e32 v42, 0x7f, v40
	v_cmp_ne_u32_e32 vcc, s21, v42
	v_mov_b32_e32 v59, 0x7f80
	s_and_saveexec_b64 s[16:17], vcc
	s_cbranch_execz .LBB931_489
; %bb.488:                              ;   in Loop: Header=BB931_215 Depth=1
	v_and_b32_e32 v51, 7, v40
	v_ffbh_u32_e32 v61, v51
	v_min_u32_e32 v61, 32, v61
	v_subrev_u32_e32 v62, 28, v61
	v_lshlrev_b64 v[62:63], v62, v[40:41]
	v_lshrrev_b32_e32 v59, 3, v42
	v_sub_u32_e32 v40, 29, v61
	v_and_b32_e32 v61, 7, v62
	v_cmp_gt_u32_e32 vcc, 8, v42
	v_cndmask_b32_e32 v40, v59, v40, vcc
	v_cndmask_b32_e32 v42, v51, v61, vcc
	v_lshlrev_b32_e32 v51, 16, v38
	v_lshlrev_b32_e32 v42, 20, v42
	v_and_b32_e32 v51, 0x80000000, v51
	v_lshl_add_u32 v40, v40, 23, v55
	v_or3_b32 v40, v51, v40, v42
	v_lshrrev_b32_e32 v59, 16, v40
.LBB931_489:                            ;   in Loop: Header=BB931_215 Depth=1
	s_or_b64 exec, exec, s[16:17]
.LBB931_490:                            ;   in Loop: Header=BB931_215 Depth=1
	s_or_b64 exec, exec, s[14:15]
.LBB931_491:                            ;   in Loop: Header=BB931_215 Depth=1
	s_or_b64 exec, exec, s[12:13]
	v_lshrrev_b32_e32 v40, 16, v38
	v_cmp_ne_u16_sdwa s[14:15], v40, v54 src0_sel:BYTE_0 src1_sel:DWORD
	s_and_saveexec_b64 s[12:13], s[14:15]
	s_cbranch_execz .LBB931_497
; %bb.492:                              ;   in Loop: Header=BB931_215 Depth=1
	v_cmp_ne_u16_sdwa s[16:17], v40, s9 src0_sel:BYTE_0 src1_sel:DWORD
	v_mov_b32_e32 v60, 0xffff8000
	s_and_saveexec_b64 s[14:15], s[16:17]
	s_cbranch_execz .LBB931_496
; %bb.493:                              ;   in Loop: Header=BB931_215 Depth=1
	v_bfe_u32 v42, v38, 16, 7
	v_cmp_ne_u32_e32 vcc, s21, v42
	v_mov_b32_e32 v60, 0x7f80
	s_and_saveexec_b64 s[16:17], vcc
	s_cbranch_execz .LBB931_495
; %bb.494:                              ;   in Loop: Header=BB931_215 Depth=1
	v_and_b32_e32 v51, 7, v40
	v_ffbh_u32_e32 v60, v51
	v_min_u32_e32 v63, 32, v60
	v_subrev_u32_e32 v60, 28, v63
	v_lshlrev_b64 v[60:61], v60, v[40:41]
	v_lshrrev_b32_e32 v62, 3, v42
	v_sub_u32_e32 v61, 29, v63
	v_and_b32_e32 v60, 7, v60
	v_cmp_gt_u32_e32 vcc, 8, v42
	v_cndmask_b32_e32 v42, v62, v61, vcc
	v_cndmask_b32_e32 v51, v51, v60, vcc
	v_lshlrev_b32_e32 v40, 24, v40
	v_lshlrev_b32_e32 v51, 20, v51
	v_and_b32_e32 v40, 0x80000000, v40
	v_lshl_add_u32 v42, v42, 23, v55
	v_or3_b32 v40, v40, v42, v51
	v_lshrrev_b32_e32 v60, 16, v40
.LBB931_495:                            ;   in Loop: Header=BB931_215 Depth=1
	s_or_b64 exec, exec, s[16:17]
.LBB931_496:                            ;   in Loop: Header=BB931_215 Depth=1
	s_or_b64 exec, exec, s[14:15]
.LBB931_497:                            ;   in Loop: Header=BB931_215 Depth=1
	s_or_b64 exec, exec, s[12:13]
	v_cmp_lt_u32_e32 vcc, s22, v38
	v_mov_b32_e32 v51, 0
	v_mov_b32_e32 v61, 0
	s_and_saveexec_b64 s[12:13], vcc
	s_cbranch_execz .LBB931_503
; %bb.498:                              ;   in Loop: Header=BB931_215 Depth=1
	v_lshrrev_b32_e32 v40, 24, v38
	v_cmp_ne_u32_e32 vcc, s9, v40
	v_mov_b32_e32 v61, 0xffff8000
	s_and_saveexec_b64 s[14:15], vcc
	s_cbranch_execz .LBB931_502
; %bb.499:                              ;   in Loop: Header=BB931_215 Depth=1
	v_bfe_u32 v38, v38, 24, 7
	v_cmp_ne_u32_e32 vcc, s21, v38
	v_mov_b32_e32 v61, 0x7f80
	s_and_saveexec_b64 s[16:17], vcc
	s_cbranch_execz .LBB931_501
; %bb.500:                              ;   in Loop: Header=BB931_215 Depth=1
	v_and_b32_e32 v42, 7, v40
	v_ffbh_u32_e32 v62, v42
	v_min_u32_e32 v64, 32, v62
	v_subrev_u32_e32 v62, 28, v64
	v_lshlrev_b64 v[62:63], v62, v[40:41]
	v_lshrrev_b32_e32 v61, 3, v38
	v_sub_u32_e32 v63, 29, v64
	v_and_b32_e32 v62, 7, v62
	v_cmp_gt_u32_e32 vcc, 8, v38
	v_cndmask_b32_e32 v38, v61, v63, vcc
	v_cndmask_b32_e32 v42, v42, v62, vcc
	v_lshlrev_b32_e32 v40, 24, v40
	v_lshlrev_b32_e32 v42, 20, v42
	v_and_b32_e32 v40, 0x80000000, v40
	v_lshl_add_u32 v38, v38, 23, v55
	v_or3_b32 v38, v40, v38, v42
	v_lshrrev_b32_e32 v61, 16, v38
.LBB931_501:                            ;   in Loop: Header=BB931_215 Depth=1
	s_or_b64 exec, exec, s[16:17]
.LBB931_502:                            ;   in Loop: Header=BB931_215 Depth=1
	s_or_b64 exec, exec, s[14:15]
.LBB931_503:                            ;   in Loop: Header=BB931_215 Depth=1
	s_or_b64 exec, exec, s[12:13]
	v_perm_b32 v62, v44, v46, s23
	buffer_load_dword v44, v50, s[0:3], 0 offen
	buffer_load_dword v42, v50, s[0:3], 0 offen offset:4
	buffer_load_dword v40, v50, s[0:3], 0 offen offset:8
	;; [unrolled: 1-line block ×3, first 2 shown]
	v_perm_b32 v63, v58, v56, s23
	v_perm_b32 v61, v61, v60, s23
	;; [unrolled: 1-line block ×3, first 2 shown]
	v_mfma_f32_16x16x16bf16_1k v[34:37], v[62:63], v[22:23], v[34:37]
	s_waitcnt vmcnt(3)
	v_cmp_ne_u16_sdwa s[14:15], v44, v54 src0_sel:BYTE_0 src1_sel:DWORD
	v_mfma_f32_16x16x16bf16_1k v[34:37], v[60:61], v[24:25], v[34:37]
	s_and_saveexec_b64 s[12:13], s[14:15]
	s_cbranch_execz .LBB931_509
; %bb.504:                              ;   in Loop: Header=BB931_215 Depth=1
	v_cmp_ne_u16_sdwa s[16:17], v44, s9 src0_sel:BYTE_0 src1_sel:DWORD
	v_mov_b32_e32 v51, 0xffff8000
	s_and_saveexec_b64 s[14:15], s[16:17]
	s_cbranch_execz .LBB931_508
; %bb.505:                              ;   in Loop: Header=BB931_215 Depth=1
	v_and_b32_e32 v46, 0x7f, v44
	v_cmp_ne_u32_e32 vcc, s21, v46
	v_mov_b32_e32 v51, 0x7f80
	s_and_saveexec_b64 s[16:17], vcc
	s_cbranch_execz .LBB931_507
; %bb.506:                              ;   in Loop: Header=BB931_215 Depth=1
	v_and_b32_e32 v56, 7, v44
	v_ffbh_u32_e32 v50, v56
	v_min_u32_e32 v58, 32, v50
	v_subrev_u32_e32 v50, 28, v58
	v_lshlrev_b64 v[50:51], v50, v[44:45]
	v_lshrrev_b32_e32 v57, 3, v46
	v_sub_u32_e32 v51, 29, v58
	v_and_b32_e32 v50, 7, v50
	v_cmp_gt_u32_e32 vcc, 8, v46
	v_cndmask_b32_e32 v46, v57, v51, vcc
	v_cndmask_b32_e32 v50, v56, v50, vcc
	v_lshlrev_b32_e32 v51, 24, v44
	v_lshlrev_b32_e32 v50, 20, v50
	v_and_b32_e32 v51, 0x80000000, v51
	v_lshl_add_u32 v46, v46, 23, v55
	v_or3_b32 v46, v51, v46, v50
	v_lshrrev_b32_e32 v51, 16, v46
.LBB931_507:                            ;   in Loop: Header=BB931_215 Depth=1
	s_or_b64 exec, exec, s[16:17]
.LBB931_508:                            ;   in Loop: Header=BB931_215 Depth=1
	s_or_b64 exec, exec, s[14:15]
.LBB931_509:                            ;   in Loop: Header=BB931_215 Depth=1
	s_or_b64 exec, exec, s[12:13]
	v_lshrrev_b16_e32 v46, 8, v44
	v_cmp_ne_u16_e32 vcc, 0, v46
	v_mov_b32_e32 v56, 0
	v_mov_b32_e32 v50, 0
	s_and_saveexec_b64 s[12:13], vcc
	s_cbranch_execz .LBB931_515
; %bb.510:                              ;   in Loop: Header=BB931_215 Depth=1
	v_cmp_ne_u16_e32 vcc, s9, v46
	v_mov_b32_e32 v50, 0xffff8000
	s_and_saveexec_b64 s[14:15], vcc
	s_cbranch_execz .LBB931_514
; %bb.511:                              ;   in Loop: Header=BB931_215 Depth=1
	v_and_b32_e32 v57, 0x7f, v46
	v_cmp_ne_u32_e32 vcc, s21, v57
	v_mov_b32_e32 v50, 0x7f80
	s_and_saveexec_b64 s[16:17], vcc
	s_cbranch_execz .LBB931_513
; %bb.512:                              ;   in Loop: Header=BB931_215 Depth=1
	v_and_b32_e32 v50, 7, v46
	v_ffbh_u32_e32 v58, v50
	v_min_u32_e32 v61, 32, v58
	v_subrev_u32_e32 v58, 28, v61
	v_lshlrev_b64 v[58:59], v58, v[46:47]
	v_lshrrev_b32_e32 v60, 3, v57
	v_sub_u32_e32 v46, 29, v61
	v_and_b32_e32 v58, 7, v58
	v_cmp_gt_u32_e32 vcc, 8, v57
	v_cndmask_b32_e32 v46, v60, v46, vcc
	v_cndmask_b32_e32 v50, v50, v58, vcc
	v_lshlrev_b32_e32 v57, 16, v44
	v_lshlrev_b32_e32 v50, 20, v50
	v_and_b32_e32 v57, 0x80000000, v57
	v_lshl_add_u32 v46, v46, 23, v55
	v_or3_b32 v46, v57, v46, v50
	v_lshrrev_b32_e32 v50, 16, v46
.LBB931_513:                            ;   in Loop: Header=BB931_215 Depth=1
	s_or_b64 exec, exec, s[16:17]
.LBB931_514:                            ;   in Loop: Header=BB931_215 Depth=1
	s_or_b64 exec, exec, s[14:15]
.LBB931_515:                            ;   in Loop: Header=BB931_215 Depth=1
	s_or_b64 exec, exec, s[12:13]
	v_lshrrev_b32_e32 v46, 16, v44
	v_cmp_ne_u16_sdwa s[14:15], v46, v54 src0_sel:BYTE_0 src1_sel:DWORD
	s_and_saveexec_b64 s[12:13], s[14:15]
	s_cbranch_execz .LBB931_521
; %bb.516:                              ;   in Loop: Header=BB931_215 Depth=1
	v_cmp_ne_u16_sdwa s[16:17], v46, s9 src0_sel:BYTE_0 src1_sel:DWORD
	v_mov_b32_e32 v56, 0xffff8000
	s_and_saveexec_b64 s[14:15], s[16:17]
	s_cbranch_execz .LBB931_520
; %bb.517:                              ;   in Loop: Header=BB931_215 Depth=1
	v_bfe_u32 v57, v44, 16, 7
	v_cmp_ne_u32_e32 vcc, s21, v57
	v_mov_b32_e32 v56, 0x7f80
	s_and_saveexec_b64 s[16:17], vcc
	s_cbranch_execz .LBB931_519
; %bb.518:                              ;   in Loop: Header=BB931_215 Depth=1
	v_and_b32_e32 v56, 7, v46
	v_ffbh_u32_e32 v58, v56
	v_min_u32_e32 v61, 32, v58
	v_subrev_u32_e32 v58, 28, v61
	v_lshlrev_b64 v[58:59], v58, v[46:47]
	v_lshrrev_b32_e32 v60, 3, v57
	v_sub_u32_e32 v59, 29, v61
	v_and_b32_e32 v58, 7, v58
	v_cmp_gt_u32_e32 vcc, 8, v57
	v_cndmask_b32_e32 v57, v60, v59, vcc
	v_cndmask_b32_e32 v56, v56, v58, vcc
	v_lshlrev_b32_e32 v46, 24, v46
	v_lshlrev_b32_e32 v56, 20, v56
	v_and_b32_e32 v46, 0x80000000, v46
	v_lshl_add_u32 v57, v57, 23, v55
	v_or3_b32 v46, v46, v57, v56
	v_lshrrev_b32_e32 v56, 16, v46
.LBB931_519:                            ;   in Loop: Header=BB931_215 Depth=1
	s_or_b64 exec, exec, s[16:17]
.LBB931_520:                            ;   in Loop: Header=BB931_215 Depth=1
	s_or_b64 exec, exec, s[14:15]
.LBB931_521:                            ;   in Loop: Header=BB931_215 Depth=1
	s_or_b64 exec, exec, s[12:13]
	v_cmp_lt_u32_e32 vcc, s22, v44
	v_mov_b32_e32 v57, 0
	v_mov_b32_e32 v58, 0
	s_and_saveexec_b64 s[12:13], vcc
	s_cbranch_execz .LBB931_527
; %bb.522:                              ;   in Loop: Header=BB931_215 Depth=1
	v_lshrrev_b32_e32 v46, 24, v44
	v_cmp_ne_u32_e32 vcc, s9, v46
	v_mov_b32_e32 v58, 0xffff8000
	s_and_saveexec_b64 s[14:15], vcc
	s_cbranch_execz .LBB931_526
; %bb.523:                              ;   in Loop: Header=BB931_215 Depth=1
	v_bfe_u32 v44, v44, 24, 7
	v_cmp_ne_u32_e32 vcc, s21, v44
	v_mov_b32_e32 v58, 0x7f80
	s_and_saveexec_b64 s[16:17], vcc
	s_cbranch_execz .LBB931_525
; %bb.524:                              ;   in Loop: Header=BB931_215 Depth=1
	v_and_b32_e32 v60, 7, v46
	v_ffbh_u32_e32 v58, v60
	v_min_u32_e32 v62, 32, v58
	v_subrev_u32_e32 v58, 28, v62
	v_lshlrev_b64 v[58:59], v58, v[46:47]
	v_lshrrev_b32_e32 v61, 3, v44
	v_sub_u32_e32 v59, 29, v62
	v_and_b32_e32 v58, 7, v58
	v_cmp_gt_u32_e32 vcc, 8, v44
	v_cndmask_b32_e32 v44, v61, v59, vcc
	v_cndmask_b32_e32 v58, v60, v58, vcc
	v_lshlrev_b32_e32 v46, 24, v46
	v_lshlrev_b32_e32 v58, 20, v58
	v_and_b32_e32 v46, 0x80000000, v46
	v_lshl_add_u32 v44, v44, 23, v55
	v_or3_b32 v44, v46, v44, v58
	v_lshrrev_b32_e32 v58, 16, v44
.LBB931_525:                            ;   in Loop: Header=BB931_215 Depth=1
	s_or_b64 exec, exec, s[16:17]
.LBB931_526:                            ;   in Loop: Header=BB931_215 Depth=1
	s_or_b64 exec, exec, s[14:15]
.LBB931_527:                            ;   in Loop: Header=BB931_215 Depth=1
	s_or_b64 exec, exec, s[12:13]
	s_waitcnt vmcnt(2)
	v_cmp_ne_u16_sdwa s[14:15], v42, v54 src0_sel:BYTE_0 src1_sel:DWORD
	s_and_saveexec_b64 s[12:13], s[14:15]
	s_cbranch_execz .LBB931_533
; %bb.528:                              ;   in Loop: Header=BB931_215 Depth=1
	v_cmp_ne_u16_sdwa s[16:17], v42, s9 src0_sel:BYTE_0 src1_sel:DWORD
	v_mov_b32_e32 v57, 0xffff8000
	s_and_saveexec_b64 s[14:15], s[16:17]
	s_cbranch_execz .LBB931_532
; %bb.529:                              ;   in Loop: Header=BB931_215 Depth=1
	v_and_b32_e32 v44, 0x7f, v42
	v_cmp_ne_u32_e32 vcc, s21, v44
	v_mov_b32_e32 v57, 0x7f80
	s_and_saveexec_b64 s[16:17], vcc
	s_cbranch_execz .LBB931_531
; %bb.530:                              ;   in Loop: Header=BB931_215 Depth=1
	v_and_b32_e32 v46, 7, v42
	v_ffbh_u32_e32 v59, v46
	v_min_u32_e32 v59, 32, v59
	v_subrev_u32_e32 v60, 28, v59
	v_lshlrev_b64 v[60:61], v60, v[42:43]
	v_lshrrev_b32_e32 v57, 3, v44
	v_sub_u32_e32 v59, 29, v59
	v_and_b32_e32 v60, 7, v60
	v_cmp_gt_u32_e32 vcc, 8, v44
	v_cndmask_b32_e32 v44, v57, v59, vcc
	v_cndmask_b32_e32 v46, v46, v60, vcc
	v_lshlrev_b32_e32 v57, 24, v42
	v_lshlrev_b32_e32 v46, 20, v46
	v_and_b32_e32 v57, 0x80000000, v57
	v_lshl_add_u32 v44, v44, 23, v55
	v_or3_b32 v44, v57, v44, v46
	v_lshrrev_b32_e32 v57, 16, v44
.LBB931_531:                            ;   in Loop: Header=BB931_215 Depth=1
	s_or_b64 exec, exec, s[16:17]
.LBB931_532:                            ;   in Loop: Header=BB931_215 Depth=1
	s_or_b64 exec, exec, s[14:15]
.LBB931_533:                            ;   in Loop: Header=BB931_215 Depth=1
	s_or_b64 exec, exec, s[12:13]
	v_lshrrev_b16_e32 v44, 8, v42
	v_cmp_ne_u16_e32 vcc, 0, v44
	v_mov_b32_e32 v60, 0
	v_mov_b32_e32 v59, 0
	s_and_saveexec_b64 s[12:13], vcc
	s_cbranch_execz .LBB931_539
; %bb.534:                              ;   in Loop: Header=BB931_215 Depth=1
	v_cmp_ne_u16_e32 vcc, s9, v44
	v_mov_b32_e32 v59, 0xffff8000
	s_and_saveexec_b64 s[14:15], vcc
	s_cbranch_execz .LBB931_538
; %bb.535:                              ;   in Loop: Header=BB931_215 Depth=1
	v_and_b32_e32 v46, 0x7f, v44
	v_cmp_ne_u32_e32 vcc, s21, v46
	v_mov_b32_e32 v59, 0x7f80
	s_and_saveexec_b64 s[16:17], vcc
	s_cbranch_execz .LBB931_537
; %bb.536:                              ;   in Loop: Header=BB931_215 Depth=1
	v_and_b32_e32 v59, 7, v44
	v_ffbh_u32_e32 v62, v59
	v_min_u32_e32 v64, 32, v62
	v_subrev_u32_e32 v62, 28, v64
	v_lshlrev_b64 v[62:63], v62, v[44:45]
	v_lshrrev_b32_e32 v61, 3, v46
	v_sub_u32_e32 v44, 29, v64
	v_and_b32_e32 v62, 7, v62
	v_cmp_gt_u32_e32 vcc, 8, v46
	v_cndmask_b32_e32 v44, v61, v44, vcc
	v_cndmask_b32_e32 v46, v59, v62, vcc
	v_lshlrev_b32_e32 v59, 16, v42
	v_lshlrev_b32_e32 v46, 20, v46
	v_and_b32_e32 v59, 0x80000000, v59
	v_lshl_add_u32 v44, v44, 23, v55
	v_or3_b32 v44, v59, v44, v46
	v_lshrrev_b32_e32 v59, 16, v44
.LBB931_537:                            ;   in Loop: Header=BB931_215 Depth=1
	s_or_b64 exec, exec, s[16:17]
.LBB931_538:                            ;   in Loop: Header=BB931_215 Depth=1
	s_or_b64 exec, exec, s[14:15]
.LBB931_539:                            ;   in Loop: Header=BB931_215 Depth=1
	s_or_b64 exec, exec, s[12:13]
	v_lshrrev_b32_e32 v44, 16, v42
	v_cmp_ne_u16_sdwa s[14:15], v44, v54 src0_sel:BYTE_0 src1_sel:DWORD
	s_and_saveexec_b64 s[12:13], s[14:15]
	s_cbranch_execz .LBB931_545
; %bb.540:                              ;   in Loop: Header=BB931_215 Depth=1
	v_cmp_ne_u16_sdwa s[16:17], v44, s9 src0_sel:BYTE_0 src1_sel:DWORD
	v_mov_b32_e32 v60, 0xffff8000
	s_and_saveexec_b64 s[14:15], s[16:17]
	s_cbranch_execz .LBB931_544
; %bb.541:                              ;   in Loop: Header=BB931_215 Depth=1
	v_bfe_u32 v46, v42, 16, 7
	v_cmp_ne_u32_e32 vcc, s21, v46
	v_mov_b32_e32 v60, 0x7f80
	s_and_saveexec_b64 s[16:17], vcc
	s_cbranch_execz .LBB931_543
; %bb.542:                              ;   in Loop: Header=BB931_215 Depth=1
	v_and_b32_e32 v62, 7, v44
	v_ffbh_u32_e32 v60, v62
	v_min_u32_e32 v64, 32, v60
	v_subrev_u32_e32 v60, 28, v64
	v_lshlrev_b64 v[60:61], v60, v[44:45]
	v_lshrrev_b32_e32 v63, 3, v46
	v_sub_u32_e32 v61, 29, v64
	v_and_b32_e32 v60, 7, v60
	v_cmp_gt_u32_e32 vcc, 8, v46
	v_cndmask_b32_e32 v46, v63, v61, vcc
	v_cndmask_b32_e32 v60, v62, v60, vcc
	v_lshlrev_b32_e32 v44, 24, v44
	v_lshlrev_b32_e32 v60, 20, v60
	v_and_b32_e32 v44, 0x80000000, v44
	v_lshl_add_u32 v46, v46, 23, v55
	v_or3_b32 v44, v44, v46, v60
	v_lshrrev_b32_e32 v60, 16, v44
.LBB931_543:                            ;   in Loop: Header=BB931_215 Depth=1
	s_or_b64 exec, exec, s[16:17]
.LBB931_544:                            ;   in Loop: Header=BB931_215 Depth=1
	s_or_b64 exec, exec, s[14:15]
.LBB931_545:                            ;   in Loop: Header=BB931_215 Depth=1
	s_or_b64 exec, exec, s[12:13]
	v_cmp_lt_u32_e32 vcc, s22, v42
	v_mov_b32_e32 v46, 0
	v_mov_b32_e32 v61, 0
	s_and_saveexec_b64 s[12:13], vcc
	s_cbranch_execz .LBB931_551
; %bb.546:                              ;   in Loop: Header=BB931_215 Depth=1
	v_lshrrev_b32_e32 v44, 24, v42
	v_cmp_ne_u32_e32 vcc, s9, v44
	v_mov_b32_e32 v61, 0xffff8000
	s_and_saveexec_b64 s[14:15], vcc
	s_cbranch_execz .LBB931_550
; %bb.547:                              ;   in Loop: Header=BB931_215 Depth=1
	v_bfe_u32 v42, v42, 24, 7
	v_cmp_ne_u32_e32 vcc, s21, v42
	v_mov_b32_e32 v61, 0x7f80
	s_and_saveexec_b64 s[16:17], vcc
	s_cbranch_execz .LBB931_549
; %bb.548:                              ;   in Loop: Header=BB931_215 Depth=1
	v_and_b32_e32 v61, 7, v44
	v_ffbh_u32_e32 v62, v61
	v_min_u32_e32 v65, 32, v62
	v_subrev_u32_e32 v62, 28, v65
	v_lshlrev_b64 v[62:63], v62, v[44:45]
	v_lshrrev_b32_e32 v64, 3, v42
	v_sub_u32_e32 v63, 29, v65
	v_and_b32_e32 v62, 7, v62
	v_cmp_gt_u32_e32 vcc, 8, v42
	v_cndmask_b32_e32 v42, v64, v63, vcc
	v_cndmask_b32_e32 v61, v61, v62, vcc
	v_lshlrev_b32_e32 v44, 24, v44
	v_lshlrev_b32_e32 v61, 20, v61
	v_and_b32_e32 v44, 0x80000000, v44
	v_lshl_add_u32 v42, v42, 23, v55
	v_or3_b32 v42, v44, v42, v61
	v_lshrrev_b32_e32 v61, 16, v42
.LBB931_549:                            ;   in Loop: Header=BB931_215 Depth=1
	s_or_b64 exec, exec, s[16:17]
.LBB931_550:                            ;   in Loop: Header=BB931_215 Depth=1
	s_or_b64 exec, exec, s[14:15]
.LBB931_551:                            ;   in Loop: Header=BB931_215 Depth=1
	s_or_b64 exec, exec, s[12:13]
	v_perm_b32 v63, v58, v56, s23
	v_perm_b32 v62, v50, v51, s23
	;; [unrolled: 1-line block ×4, first 2 shown]
	s_waitcnt vmcnt(1)
	v_cmp_ne_u16_sdwa s[14:15], v40, v54 src0_sel:BYTE_0 src1_sel:DWORD
	v_mfma_f32_16x16x16bf16_1k v[34:37], v[62:63], v[26:27], v[34:37]
	v_mfma_f32_16x16x16bf16_1k v[34:37], v[50:51], v[28:29], v[34:37]
	s_and_saveexec_b64 s[12:13], s[14:15]
	s_cbranch_execz .LBB931_557
; %bb.552:                              ;   in Loop: Header=BB931_215 Depth=1
	v_cmp_ne_u16_sdwa s[16:17], v40, s9 src0_sel:BYTE_0 src1_sel:DWORD
	v_mov_b32_e32 v46, 0xffff8000
	s_and_saveexec_b64 s[14:15], s[16:17]
	s_cbranch_execz .LBB931_556
; %bb.553:                              ;   in Loop: Header=BB931_215 Depth=1
	v_and_b32_e32 v42, 0x7f, v40
	v_cmp_ne_u32_e32 vcc, s21, v42
	v_mov_b32_e32 v46, 0x7f80
	s_and_saveexec_b64 s[16:17], vcc
	s_cbranch_execz .LBB931_555
; %bb.554:                              ;   in Loop: Header=BB931_215 Depth=1
	v_and_b32_e32 v44, 7, v40
	v_ffbh_u32_e32 v50, v44
	v_min_u32_e32 v56, 32, v50
	v_subrev_u32_e32 v50, 28, v56
	v_lshlrev_b64 v[50:51], v50, v[40:41]
	v_lshrrev_b32_e32 v46, 3, v42
	v_sub_u32_e32 v51, 29, v56
	v_and_b32_e32 v50, 7, v50
	v_cmp_gt_u32_e32 vcc, 8, v42
	v_cndmask_b32_e32 v42, v46, v51, vcc
	v_cndmask_b32_e32 v44, v44, v50, vcc
	v_lshlrev_b32_e32 v46, 24, v40
	v_lshlrev_b32_e32 v44, 20, v44
	v_and_b32_e32 v46, 0x80000000, v46
	v_lshl_add_u32 v42, v42, 23, v55
	v_or3_b32 v42, v46, v42, v44
	v_lshrrev_b32_e32 v46, 16, v42
.LBB931_555:                            ;   in Loop: Header=BB931_215 Depth=1
	s_or_b64 exec, exec, s[16:17]
.LBB931_556:                            ;   in Loop: Header=BB931_215 Depth=1
	s_or_b64 exec, exec, s[14:15]
.LBB931_557:                            ;   in Loop: Header=BB931_215 Depth=1
	s_or_b64 exec, exec, s[12:13]
	v_lshrrev_b16_e32 v42, 8, v40
	v_cmp_ne_u16_e32 vcc, 0, v42
	v_mov_b32_e32 v50, 0
	v_mov_b32_e32 v44, 0
	s_and_saveexec_b64 s[12:13], vcc
	s_cbranch_execz .LBB931_563
; %bb.558:                              ;   in Loop: Header=BB931_215 Depth=1
	v_cmp_ne_u16_e32 vcc, s9, v42
	v_mov_b32_e32 v44, 0xffff8000
	s_and_saveexec_b64 s[14:15], vcc
	s_cbranch_execz .LBB931_562
; %bb.559:                              ;   in Loop: Header=BB931_215 Depth=1
	v_and_b32_e32 v51, 0x7f, v42
	v_cmp_ne_u32_e32 vcc, s21, v51
	v_mov_b32_e32 v44, 0x7f80
	s_and_saveexec_b64 s[16:17], vcc
	s_cbranch_execz .LBB931_561
; %bb.560:                              ;   in Loop: Header=BB931_215 Depth=1
	v_and_b32_e32 v44, 7, v42
	v_ffbh_u32_e32 v56, v44
	v_min_u32_e32 v59, 32, v56
	v_subrev_u32_e32 v56, 28, v59
	v_lshlrev_b64 v[56:57], v56, v[42:43]
	v_lshrrev_b32_e32 v58, 3, v51
	v_sub_u32_e32 v42, 29, v59
	v_and_b32_e32 v56, 7, v56
	v_cmp_gt_u32_e32 vcc, 8, v51
	v_cndmask_b32_e32 v42, v58, v42, vcc
	v_cndmask_b32_e32 v44, v44, v56, vcc
	v_lshlrev_b32_e32 v51, 16, v40
	v_lshlrev_b32_e32 v44, 20, v44
	v_and_b32_e32 v51, 0x80000000, v51
	v_lshl_add_u32 v42, v42, 23, v55
	v_or3_b32 v42, v51, v42, v44
	v_lshrrev_b32_e32 v44, 16, v42
.LBB931_561:                            ;   in Loop: Header=BB931_215 Depth=1
	s_or_b64 exec, exec, s[16:17]
.LBB931_562:                            ;   in Loop: Header=BB931_215 Depth=1
	s_or_b64 exec, exec, s[14:15]
.LBB931_563:                            ;   in Loop: Header=BB931_215 Depth=1
	s_or_b64 exec, exec, s[12:13]
	v_lshrrev_b32_e32 v42, 16, v40
	v_cmp_ne_u16_sdwa s[14:15], v42, v54 src0_sel:BYTE_0 src1_sel:DWORD
	s_and_saveexec_b64 s[12:13], s[14:15]
	s_cbranch_execz .LBB931_569
; %bb.564:                              ;   in Loop: Header=BB931_215 Depth=1
	v_cmp_ne_u16_sdwa s[16:17], v42, s9 src0_sel:BYTE_0 src1_sel:DWORD
	v_mov_b32_e32 v50, 0xffff8000
	s_and_saveexec_b64 s[14:15], s[16:17]
	s_cbranch_execz .LBB931_568
; %bb.565:                              ;   in Loop: Header=BB931_215 Depth=1
	v_bfe_u32 v51, v40, 16, 7
	v_cmp_ne_u32_e32 vcc, s21, v51
	v_mov_b32_e32 v50, 0x7f80
	s_and_saveexec_b64 s[16:17], vcc
	s_cbranch_execz .LBB931_567
; %bb.566:                              ;   in Loop: Header=BB931_215 Depth=1
	v_and_b32_e32 v50, 7, v42
	v_ffbh_u32_e32 v56, v50
	v_min_u32_e32 v59, 32, v56
	v_subrev_u32_e32 v56, 28, v59
	v_lshlrev_b64 v[56:57], v56, v[42:43]
	v_lshrrev_b32_e32 v58, 3, v51
	v_sub_u32_e32 v57, 29, v59
	v_and_b32_e32 v56, 7, v56
	v_cmp_gt_u32_e32 vcc, 8, v51
	v_cndmask_b32_e32 v51, v58, v57, vcc
	v_cndmask_b32_e32 v50, v50, v56, vcc
	v_lshlrev_b32_e32 v42, 24, v42
	v_lshlrev_b32_e32 v50, 20, v50
	v_and_b32_e32 v42, 0x80000000, v42
	v_lshl_add_u32 v51, v51, 23, v55
	v_or3_b32 v42, v42, v51, v50
	v_lshrrev_b32_e32 v50, 16, v42
.LBB931_567:                            ;   in Loop: Header=BB931_215 Depth=1
	s_or_b64 exec, exec, s[16:17]
.LBB931_568:                            ;   in Loop: Header=BB931_215 Depth=1
	s_or_b64 exec, exec, s[14:15]
.LBB931_569:                            ;   in Loop: Header=BB931_215 Depth=1
	s_or_b64 exec, exec, s[12:13]
	v_cmp_lt_u32_e32 vcc, s22, v40
	v_mov_b32_e32 v51, 0
	v_mov_b32_e32 v56, 0
	s_and_saveexec_b64 s[12:13], vcc
	s_cbranch_execz .LBB931_575
; %bb.570:                              ;   in Loop: Header=BB931_215 Depth=1
	v_lshrrev_b32_e32 v42, 24, v40
	v_cmp_ne_u32_e32 vcc, s9, v42
	v_mov_b32_e32 v56, 0xffff8000
	s_and_saveexec_b64 s[14:15], vcc
	s_cbranch_execz .LBB931_574
; %bb.571:                              ;   in Loop: Header=BB931_215 Depth=1
	v_bfe_u32 v40, v40, 24, 7
	v_cmp_ne_u32_e32 vcc, s21, v40
	v_mov_b32_e32 v56, 0x7f80
	s_and_saveexec_b64 s[16:17], vcc
	s_cbranch_execz .LBB931_573
; %bb.572:                              ;   in Loop: Header=BB931_215 Depth=1
	v_and_b32_e32 v58, 7, v42
	v_ffbh_u32_e32 v56, v58
	v_min_u32_e32 v60, 32, v56
	v_subrev_u32_e32 v56, 28, v60
	v_lshlrev_b64 v[56:57], v56, v[42:43]
	v_lshrrev_b32_e32 v59, 3, v40
	v_sub_u32_e32 v57, 29, v60
	v_and_b32_e32 v56, 7, v56
	v_cmp_gt_u32_e32 vcc, 8, v40
	v_cndmask_b32_e32 v40, v59, v57, vcc
	v_cndmask_b32_e32 v56, v58, v56, vcc
	v_lshlrev_b32_e32 v42, 24, v42
	v_lshlrev_b32_e32 v56, 20, v56
	v_and_b32_e32 v42, 0x80000000, v42
	v_lshl_add_u32 v40, v40, 23, v55
	v_or3_b32 v40, v42, v40, v56
	v_lshrrev_b32_e32 v56, 16, v40
.LBB931_573:                            ;   in Loop: Header=BB931_215 Depth=1
	s_or_b64 exec, exec, s[16:17]
.LBB931_574:                            ;   in Loop: Header=BB931_215 Depth=1
	s_or_b64 exec, exec, s[14:15]
.LBB931_575:                            ;   in Loop: Header=BB931_215 Depth=1
	s_or_b64 exec, exec, s[12:13]
	s_waitcnt vmcnt(0)
	v_cmp_ne_u16_sdwa s[14:15], v38, v54 src0_sel:BYTE_0 src1_sel:DWORD
	s_and_saveexec_b64 s[12:13], s[14:15]
	s_cbranch_execz .LBB931_581
; %bb.576:                              ;   in Loop: Header=BB931_215 Depth=1
	v_cmp_ne_u16_sdwa s[16:17], v38, s9 src0_sel:BYTE_0 src1_sel:DWORD
	v_mov_b32_e32 v51, 0xffff8000
	s_and_saveexec_b64 s[14:15], s[16:17]
	s_cbranch_execz .LBB931_580
; %bb.577:                              ;   in Loop: Header=BB931_215 Depth=1
	v_and_b32_e32 v40, 0x7f, v38
	v_cmp_ne_u32_e32 vcc, s21, v40
	v_mov_b32_e32 v51, 0x7f80
	s_and_saveexec_b64 s[16:17], vcc
	s_cbranch_execz .LBB931_579
; %bb.578:                              ;   in Loop: Header=BB931_215 Depth=1
	v_and_b32_e32 v42, 7, v38
	v_ffbh_u32_e32 v57, v42
	v_min_u32_e32 v57, 32, v57
	v_subrev_u32_e32 v58, 28, v57
	v_lshlrev_b64 v[58:59], v58, v[38:39]
	v_lshrrev_b32_e32 v51, 3, v40
	v_sub_u32_e32 v57, 29, v57
	v_and_b32_e32 v58, 7, v58
	v_cmp_gt_u32_e32 vcc, 8, v40
	v_cndmask_b32_e32 v40, v51, v57, vcc
	v_cndmask_b32_e32 v42, v42, v58, vcc
	v_lshlrev_b32_e32 v51, 24, v38
	v_lshlrev_b32_e32 v42, 20, v42
	v_and_b32_e32 v51, 0x80000000, v51
	v_lshl_add_u32 v40, v40, 23, v55
	v_or3_b32 v40, v51, v40, v42
	v_lshrrev_b32_e32 v51, 16, v40
.LBB931_579:                            ;   in Loop: Header=BB931_215 Depth=1
	s_or_b64 exec, exec, s[16:17]
.LBB931_580:                            ;   in Loop: Header=BB931_215 Depth=1
	s_or_b64 exec, exec, s[14:15]
.LBB931_581:                            ;   in Loop: Header=BB931_215 Depth=1
	s_or_b64 exec, exec, s[12:13]
	v_lshrrev_b16_e32 v40, 8, v38
	v_cmp_ne_u16_e32 vcc, 0, v40
	v_mov_b32_e32 v57, 0
	v_mov_b32_e32 v42, 0
	s_and_saveexec_b64 s[12:13], vcc
	s_cbranch_execz .LBB931_587
; %bb.582:                              ;   in Loop: Header=BB931_215 Depth=1
	v_cmp_ne_u16_e32 vcc, s9, v40
	v_mov_b32_e32 v42, 0xffff8000
	s_and_saveexec_b64 s[14:15], vcc
	s_cbranch_execz .LBB931_586
; %bb.583:                              ;   in Loop: Header=BB931_215 Depth=1
	v_and_b32_e32 v58, 0x7f, v40
	v_cmp_ne_u32_e32 vcc, s21, v58
	v_mov_b32_e32 v42, 0x7f80
	s_and_saveexec_b64 s[16:17], vcc
	s_cbranch_execz .LBB931_585
; %bb.584:                              ;   in Loop: Header=BB931_215 Depth=1
	v_and_b32_e32 v42, 7, v40
	v_ffbh_u32_e32 v60, v42
	v_min_u32_e32 v62, 32, v60
	v_subrev_u32_e32 v60, 28, v62
	v_lshlrev_b64 v[60:61], v60, v[40:41]
	v_lshrrev_b32_e32 v59, 3, v58
	v_sub_u32_e32 v40, 29, v62
	v_and_b32_e32 v60, 7, v60
	v_cmp_gt_u32_e32 vcc, 8, v58
	v_cndmask_b32_e32 v40, v59, v40, vcc
	v_cndmask_b32_e32 v42, v42, v60, vcc
	v_lshlrev_b32_e32 v58, 16, v38
	v_lshlrev_b32_e32 v42, 20, v42
	v_and_b32_e32 v58, 0x80000000, v58
	v_lshl_add_u32 v40, v40, 23, v55
	v_or3_b32 v40, v58, v40, v42
	v_lshrrev_b32_e32 v42, 16, v40
.LBB931_585:                            ;   in Loop: Header=BB931_215 Depth=1
	s_or_b64 exec, exec, s[16:17]
.LBB931_586:                            ;   in Loop: Header=BB931_215 Depth=1
	s_or_b64 exec, exec, s[14:15]
.LBB931_587:                            ;   in Loop: Header=BB931_215 Depth=1
	s_or_b64 exec, exec, s[12:13]
	v_lshrrev_b32_e32 v40, 16, v38
	v_cmp_ne_u16_sdwa s[14:15], v40, v54 src0_sel:BYTE_0 src1_sel:DWORD
	s_and_saveexec_b64 s[12:13], s[14:15]
	s_cbranch_execz .LBB931_593
; %bb.588:                              ;   in Loop: Header=BB931_215 Depth=1
	v_cmp_ne_u16_sdwa s[16:17], v40, s9 src0_sel:BYTE_0 src1_sel:DWORD
	v_mov_b32_e32 v57, 0xffff8000
	s_and_saveexec_b64 s[14:15], s[16:17]
	s_cbranch_execz .LBB931_592
; %bb.589:                              ;   in Loop: Header=BB931_215 Depth=1
	v_bfe_u32 v58, v38, 16, 7
	v_cmp_ne_u32_e32 vcc, s21, v58
	v_mov_b32_e32 v57, 0x7f80
	s_and_saveexec_b64 s[16:17], vcc
	s_cbranch_execz .LBB931_591
; %bb.590:                              ;   in Loop: Header=BB931_215 Depth=1
	v_and_b32_e32 v57, 7, v40
	v_ffbh_u32_e32 v60, v57
	v_min_u32_e32 v62, 32, v60
	v_subrev_u32_e32 v60, 28, v62
	v_lshlrev_b64 v[60:61], v60, v[40:41]
	v_lshrrev_b32_e32 v59, 3, v58
	v_sub_u32_e32 v61, 29, v62
	v_and_b32_e32 v60, 7, v60
	v_cmp_gt_u32_e32 vcc, 8, v58
	v_cndmask_b32_e32 v58, v59, v61, vcc
	v_cndmask_b32_e32 v57, v57, v60, vcc
	v_lshlrev_b32_e32 v40, 24, v40
	v_lshlrev_b32_e32 v57, 20, v57
	v_and_b32_e32 v40, 0x80000000, v40
	v_lshl_add_u32 v58, v58, 23, v55
	v_or3_b32 v40, v40, v58, v57
	v_lshrrev_b32_e32 v57, 16, v40
.LBB931_591:                            ;   in Loop: Header=BB931_215 Depth=1
	s_or_b64 exec, exec, s[16:17]
.LBB931_592:                            ;   in Loop: Header=BB931_215 Depth=1
	s_or_b64 exec, exec, s[14:15]
.LBB931_593:                            ;   in Loop: Header=BB931_215 Depth=1
	s_or_b64 exec, exec, s[12:13]
	v_cmp_lt_u32_e32 vcc, s22, v38
	v_mov_b32_e32 v58, 0
	s_and_saveexec_b64 s[12:13], vcc
	s_cbranch_execz .LBB931_214
; %bb.594:                              ;   in Loop: Header=BB931_215 Depth=1
	v_lshrrev_b32_e32 v40, 24, v38
	v_cmp_ne_u32_e32 vcc, s9, v40
	v_mov_b32_e32 v58, 0xffff8000
	s_and_saveexec_b64 s[14:15], vcc
	s_cbranch_execz .LBB931_213
; %bb.595:                              ;   in Loop: Header=BB931_215 Depth=1
	v_bfe_u32 v38, v38, 24, 7
	v_cmp_ne_u32_e32 vcc, s21, v38
	v_mov_b32_e32 v58, 0x7f80
	s_and_saveexec_b64 s[16:17], vcc
	s_cbranch_execz .LBB931_212
; %bb.596:                              ;   in Loop: Header=BB931_215 Depth=1
	v_and_b32_e32 v60, 7, v40
	v_ffbh_u32_e32 v58, v60
	v_min_u32_e32 v62, 32, v58
	v_subrev_u32_e32 v58, 28, v62
	v_lshlrev_b64 v[58:59], v58, v[40:41]
	v_lshrrev_b32_e32 v61, 3, v38
	v_sub_u32_e32 v59, 29, v62
	v_and_b32_e32 v58, 7, v58
	v_cmp_gt_u32_e32 vcc, 8, v38
	v_cndmask_b32_e32 v38, v61, v59, vcc
	v_cndmask_b32_e32 v58, v60, v58, vcc
	v_lshlrev_b32_e32 v40, 24, v40
	v_lshlrev_b32_e32 v58, 20, v58
	v_and_b32_e32 v40, 0x80000000, v40
	v_lshl_add_u32 v38, v38, 23, v55
	v_or3_b32 v38, v40, v38, v58
	v_lshrrev_b32_e32 v58, 16, v38
	s_branch .LBB931_212
.LBB931_597:
	s_barrier
	buffer_load_dword v2, off, s[0:3], 0 offset:320
	buffer_load_dword v5, off, s[0:3], 0 offset:332
	;; [unrolled: 1-line block ×4, first 2 shown]
	v_cmp_gt_u32_e32 vcc, 64, v0
	s_waitcnt vmcnt(0)
	ds_write2st64_b64 v52, v[2:3], v[4:5] offset1:1
	s_waitcnt lgkmcnt(0)
	s_barrier
	s_and_saveexec_b64 s[4:5], vcc
	s_cbranch_execz .LBB931_600
; %bb.598:
	s_lshl_b32 s4, s48, 7
	s_mul_i32 s5, s18, s8
	s_mul_hi_u32 s9, s5, s4
	s_mul_i32 s8, s5, s4
	s_lshl_b64 s[8:9], s[8:9], 1
	s_add_u32 s5, s50, s8
	v_lshlrev_b32_e32 v5, 6, v41
	s_mov_b32 s7, 0
	s_addc_u32 s8, s51, s9
	s_lshl_b32 s6, s26, 7
	v_lshl_or_b32 v0, v0, 10, v5
	s_lshl_b64 s[6:7], s[6:7], 1
	v_lshlrev_b32_e32 v3, 5, v1
	v_and_b32_e32 v4, 16, v43
	v_and_b32_e32 v0, 0x1a00, v0
	s_add_u32 s5, s5, s6
	v_or_b32_e32 v2, 4, v1
	v_or3_b32 v0, v0, v3, v4
	s_addc_u32 s6, s8, s7
	v_add_u32_e32 v1, s27, v1
	v_mov_b32_e32 v4, s6
	v_add_co_u32_e32 v3, vcc, s5, v39
	ds_read_b128 v[6:9], v0
	v_mad_u64_u32 v[10:11], s[6:7], v1, s4, 0
	v_addc_co_u32_e32 v4, vcc, 0, v4, vcc
	v_lshlrev_b64 v[10:11], 1, v[10:11]
	v_add_co_u32_e32 v10, vcc, v3, v10
	v_addc_co_u32_e32 v11, vcc, v4, v11, vcc
	v_cmp_gt_u32_e32 vcc, 6, v2
	s_waitcnt lgkmcnt(0)
	global_store_dwordx4 v[10:11], v[6:9], off
	s_and_b64 exec, exec, vcc
	s_cbranch_execz .LBB931_600
; %bb.599:
	ds_read_b128 v[6:9], v0 offset:128
	v_add_u32_e32 v0, s27, v2
	v_mad_u64_u32 v[0:1], s[4:5], v0, s4, 0
	v_lshlrev_b64 v[0:1], 1, v[0:1]
	v_add_co_u32_e32 v0, vcc, v3, v0
	v_addc_co_u32_e32 v1, vcc, v4, v1, vcc
	s_waitcnt lgkmcnt(0)
	global_store_dwordx4 v[0:1], v[6:9], off
.LBB931_600:
	s_endpgm
	.section	.rodata,"a",@progbits
	.p2align	6, 0x0
	.amdhsa_kernel _Z39paged_attention_ll4mi_QKV_mfma16_kernelI14__hip_bfloat16hLN4vllm18Fp8KVCacheDataTypeE1ES0_Li32ELi128ELi256ELb1ELi6EL8MFMAType0EEvPKT_PKT0_S9_ifPKiSB_SB_iPKfiiiPfSE_PS4_PT2_iSD_SD_
		.amdhsa_group_segment_fixed_size 8192
		.amdhsa_private_segment_fixed_size 352
		.amdhsa_kernarg_size 400
		.amdhsa_user_sgpr_count 8
		.amdhsa_user_sgpr_private_segment_buffer 1
		.amdhsa_user_sgpr_dispatch_ptr 0
		.amdhsa_user_sgpr_queue_ptr 0
		.amdhsa_user_sgpr_kernarg_segment_ptr 1
		.amdhsa_user_sgpr_dispatch_id 0
		.amdhsa_user_sgpr_flat_scratch_init 1
		.amdhsa_user_sgpr_kernarg_preload_length 0
		.amdhsa_user_sgpr_kernarg_preload_offset 0
		.amdhsa_user_sgpr_private_segment_size 0
		.amdhsa_uses_dynamic_stack 0
		.amdhsa_system_sgpr_private_segment_wavefront_offset 1
		.amdhsa_system_sgpr_workgroup_id_x 1
		.amdhsa_system_sgpr_workgroup_id_y 1
		.amdhsa_system_sgpr_workgroup_id_z 1
		.amdhsa_system_sgpr_workgroup_info 0
		.amdhsa_system_vgpr_workitem_id 0
		.amdhsa_next_free_vgpr 80
		.amdhsa_next_free_sgpr 53
		.amdhsa_accum_offset 80
		.amdhsa_reserve_vcc 1
		.amdhsa_reserve_flat_scratch 0
		.amdhsa_float_round_mode_32 0
		.amdhsa_float_round_mode_16_64 0
		.amdhsa_float_denorm_mode_32 3
		.amdhsa_float_denorm_mode_16_64 3
		.amdhsa_dx10_clamp 1
		.amdhsa_ieee_mode 1
		.amdhsa_fp16_overflow 0
		.amdhsa_tg_split 0
		.amdhsa_exception_fp_ieee_invalid_op 0
		.amdhsa_exception_fp_denorm_src 0
		.amdhsa_exception_fp_ieee_div_zero 0
		.amdhsa_exception_fp_ieee_overflow 0
		.amdhsa_exception_fp_ieee_underflow 0
		.amdhsa_exception_fp_ieee_inexact 0
		.amdhsa_exception_int_div_zero 0
	.end_amdhsa_kernel
	.section	.text._Z39paged_attention_ll4mi_QKV_mfma16_kernelI14__hip_bfloat16hLN4vllm18Fp8KVCacheDataTypeE1ES0_Li32ELi128ELi256ELb1ELi6EL8MFMAType0EEvPKT_PKT0_S9_ifPKiSB_SB_iPKfiiiPfSE_PS4_PT2_iSD_SD_,"axG",@progbits,_Z39paged_attention_ll4mi_QKV_mfma16_kernelI14__hip_bfloat16hLN4vllm18Fp8KVCacheDataTypeE1ES0_Li32ELi128ELi256ELb1ELi6EL8MFMAType0EEvPKT_PKT0_S9_ifPKiSB_SB_iPKfiiiPfSE_PS4_PT2_iSD_SD_,comdat
.Lfunc_end931:
	.size	_Z39paged_attention_ll4mi_QKV_mfma16_kernelI14__hip_bfloat16hLN4vllm18Fp8KVCacheDataTypeE1ES0_Li32ELi128ELi256ELb1ELi6EL8MFMAType0EEvPKT_PKT0_S9_ifPKiSB_SB_iPKfiiiPfSE_PS4_PT2_iSD_SD_, .Lfunc_end931-_Z39paged_attention_ll4mi_QKV_mfma16_kernelI14__hip_bfloat16hLN4vllm18Fp8KVCacheDataTypeE1ES0_Li32ELi128ELi256ELb1ELi6EL8MFMAType0EEvPKT_PKT0_S9_ifPKiSB_SB_iPKfiiiPfSE_PS4_PT2_iSD_SD_
                                        ; -- End function
	.section	.AMDGPU.csdata,"",@progbits
; Kernel info:
; codeLenInByte = 22536
; NumSgprs: 57
; NumVgprs: 80
; NumAgprs: 0
; TotalNumVgprs: 80
; ScratchSize: 352
; MemoryBound: 0
; FloatMode: 240
; IeeeMode: 1
; LDSByteSize: 8192 bytes/workgroup (compile time only)
; SGPRBlocks: 7
; VGPRBlocks: 9
; NumSGPRsForWavesPerEU: 57
; NumVGPRsForWavesPerEU: 80
; AccumOffset: 80
; Occupancy: 6
; WaveLimiterHint : 1
; COMPUTE_PGM_RSRC2:SCRATCH_EN: 1
; COMPUTE_PGM_RSRC2:USER_SGPR: 8
; COMPUTE_PGM_RSRC2:TRAP_HANDLER: 0
; COMPUTE_PGM_RSRC2:TGID_X_EN: 1
; COMPUTE_PGM_RSRC2:TGID_Y_EN: 1
; COMPUTE_PGM_RSRC2:TGID_Z_EN: 1
; COMPUTE_PGM_RSRC2:TIDIG_COMP_CNT: 0
; COMPUTE_PGM_RSRC3_GFX90A:ACCUM_OFFSET: 19
; COMPUTE_PGM_RSRC3_GFX90A:TG_SPLIT: 0
	.section	.text._Z39paged_attention_ll4mi_QKV_mfma16_kernelI14__hip_bfloat16hLN4vllm18Fp8KVCacheDataTypeE1ES0_Li32ELi128ELi256ELb1ELi7EL8MFMAType0EEvPKT_PKT0_S9_ifPKiSB_SB_iPKfiiiPfSE_PS4_PT2_iSD_SD_,"axG",@progbits,_Z39paged_attention_ll4mi_QKV_mfma16_kernelI14__hip_bfloat16hLN4vllm18Fp8KVCacheDataTypeE1ES0_Li32ELi128ELi256ELb1ELi7EL8MFMAType0EEvPKT_PKT0_S9_ifPKiSB_SB_iPKfiiiPfSE_PS4_PT2_iSD_SD_,comdat
	.protected	_Z39paged_attention_ll4mi_QKV_mfma16_kernelI14__hip_bfloat16hLN4vllm18Fp8KVCacheDataTypeE1ES0_Li32ELi128ELi256ELb1ELi7EL8MFMAType0EEvPKT_PKT0_S9_ifPKiSB_SB_iPKfiiiPfSE_PS4_PT2_iSD_SD_ ; -- Begin function _Z39paged_attention_ll4mi_QKV_mfma16_kernelI14__hip_bfloat16hLN4vllm18Fp8KVCacheDataTypeE1ES0_Li32ELi128ELi256ELb1ELi7EL8MFMAType0EEvPKT_PKT0_S9_ifPKiSB_SB_iPKfiiiPfSE_PS4_PT2_iSD_SD_
	.globl	_Z39paged_attention_ll4mi_QKV_mfma16_kernelI14__hip_bfloat16hLN4vllm18Fp8KVCacheDataTypeE1ES0_Li32ELi128ELi256ELb1ELi7EL8MFMAType0EEvPKT_PKT0_S9_ifPKiSB_SB_iPKfiiiPfSE_PS4_PT2_iSD_SD_
	.p2align	8
	.type	_Z39paged_attention_ll4mi_QKV_mfma16_kernelI14__hip_bfloat16hLN4vllm18Fp8KVCacheDataTypeE1ES0_Li32ELi128ELi256ELb1ELi7EL8MFMAType0EEvPKT_PKT0_S9_ifPKiSB_SB_iPKfiiiPfSE_PS4_PT2_iSD_SD_,@function
_Z39paged_attention_ll4mi_QKV_mfma16_kernelI14__hip_bfloat16hLN4vllm18Fp8KVCacheDataTypeE1ES0_Li32ELi128ELi256ELb1ELi7EL8MFMAType0EEvPKT_PKT0_S9_ifPKiSB_SB_iPKfiiiPfSE_PS4_PT2_iSD_SD_: ; @_Z39paged_attention_ll4mi_QKV_mfma16_kernelI14__hip_bfloat16hLN4vllm18Fp8KVCacheDataTypeE1ES0_Li32ELi128ELi256ELb1ELi7EL8MFMAType0EEvPKT_PKT0_S9_ifPKiSB_SB_iPKfiiiPfSE_PS4_PT2_iSD_SD_
; %bb.0:
	s_load_dwordx2 s[6:7], s[4:5], 0x30
	s_add_u32 s0, s0, s11
	s_addc_u32 s1, s1, 0
	s_mov_b32 s26, s9
	s_mov_b64 s[14:15], 0
	s_waitcnt lgkmcnt(0)
	s_cmp_lg_u64 s[6:7], 0
	s_cselect_b64 s[12:13], -1, 0
	s_and_b64 vcc, exec, s[12:13]
	s_cbranch_vccz .LBB932_7
; %bb.1:
	s_add_i32 s16, s8, 1
	s_mov_b32 s17, 0
	s_lshl_b64 s[18:19], s[16:17], 2
	s_add_u32 s18, s6, s18
	s_mov_b32 s9, s17
	s_addc_u32 s19, s7, s19
	s_lshl_b64 s[16:17], s[8:9], 2
	s_add_u32 s16, s6, s16
	s_addc_u32 s17, s7, s17
	s_load_dword s11, s[18:19], 0x0
	s_load_dword s20, s[16:17], 0x0
	s_waitcnt lgkmcnt(0)
	s_sub_i32 s11, s11, s20
	s_cmp_eq_u32 s11, 1
	s_cselect_b64 s[16:17], -1, 0
	s_andn2_b64 vcc, exec, s[14:15]
	s_cbranch_vccnz .LBB932_3
.LBB932_2:
	s_mov_b32 s9, 0
	s_mov_b64 s[16:17], -1
.LBB932_3:
	s_andn2_b64 vcc, exec, s[16:17]
	s_cbranch_vccnz .LBB932_600
; %bb.4:
	s_load_dwordx2 s[16:17], s[4:5], 0x28
	s_lshl_b64 s[14:15], s[8:9], 2
	s_waitcnt lgkmcnt(0)
	s_add_u32 s16, s16, s14
	s_addc_u32 s17, s17, s15
	s_load_dword s33, s[16:17], 0x0
	s_lshl_b32 s20, s26, 8
	s_waitcnt lgkmcnt(0)
	s_cmp_ge_i32 s20, s33
	s_cbranch_scc1 .LBB932_600
; %bb.5:
	s_add_i32 s18, s33, 31
	s_load_dwordx2 s[16:17], s[4:5], 0x20
	s_load_dword s11, s[4:5], 0x38
	s_ashr_i32 s19, s18, 31
	v_and_b32_e32 v1, 0xcf, v0
	s_lshr_b32 s19, s19, 27
	v_add_u32_e32 v1, s20, v1
	s_add_i32 s18, s18, s19
	v_ashrrev_i32_e32 v2, 31, v1
	s_ashr_i32 s23, s18, 5
	v_lshrrev_b32_e32 v4, 27, v2
	s_add_i32 s23, s23, -1
	v_add_u32_e32 v2, v1, v4
	s_waitcnt lgkmcnt(0)
	s_mul_i32 s18, s8, s11
	s_mov_b32 s19, 0
	v_ashrrev_i32_e32 v2, 5, v2
	v_mov_b32_e32 v5, s23
	v_cmp_gt_i32_e32 vcc, s33, v1
	s_lshl_b64 s[18:19], s[18:19], 2
	v_cndmask_b32_e32 v2, v5, v2, vcc
	s_add_u32 s21, s16, s18
	v_ashrrev_i32_e32 v3, 31, v2
	s_addc_u32 s22, s17, s19
	v_lshlrev_b64 v[2:3], 2, v[2:3]
	v_mov_b32_e32 v7, s22
	v_add_co_u32_e32 v6, vcc, s21, v2
	v_or_b32_e32 v2, 16, v1
	v_addc_co_u32_e32 v7, vcc, v7, v3, vcc
	v_add_u32_e32 v3, v2, v4
	v_ashrrev_i32_e32 v3, 5, v3
	v_cmp_gt_i32_e32 vcc, s33, v2
	v_cndmask_b32_e32 v2, v5, v3, vcc
	v_ashrrev_i32_e32 v3, 31, v2
	v_lshlrev_b64 v[2:3], 2, v[2:3]
	v_mov_b32_e32 v9, s22
	v_add_co_u32_e32 v8, vcc, s21, v2
	v_or_b32_e32 v2, 32, v1
	v_addc_co_u32_e32 v9, vcc, v9, v3, vcc
	v_add_u32_e32 v3, v2, v4
	v_ashrrev_i32_e32 v3, 5, v3
	v_cmp_gt_i32_e32 vcc, s33, v2
	v_cndmask_b32_e32 v2, v5, v3, vcc
	v_ashrrev_i32_e32 v3, 31, v2
	v_lshlrev_b64 v[2:3], 2, v[2:3]
	v_mov_b32_e32 v11, s22
	v_add_co_u32_e32 v10, vcc, s21, v2
	v_or_b32_e32 v1, 48, v1
	v_addc_co_u32_e32 v11, vcc, v11, v3, vcc
	v_add_u32_e32 v2, v1, v4
	v_ashrrev_i32_e32 v2, 5, v2
	v_cmp_gt_i32_e32 vcc, s33, v1
	v_cndmask_b32_e32 v2, v5, v2, vcc
	v_ashrrev_i32_e32 v3, 31, v2
	v_lshlrev_b64 v[2:3], 2, v[2:3]
	v_mov_b32_e32 v1, s22
	v_add_co_u32_e32 v12, vcc, s21, v2
	v_addc_co_u32_e32 v13, vcc, v1, v3, vcc
	global_load_dword v5, v[6:7], off
	global_load_dword v4, v[8:9], off
	global_load_dword v3, v[10:11], off
	global_load_dword v2, v[12:13], off
	s_load_dwordx2 s[16:17], s[4:5], 0x8
	s_andn2_b64 vcc, exec, s[12:13]
	s_cbranch_vccnz .LBB932_8
; %bb.6:
	s_add_u32 s6, s6, s14
	s_addc_u32 s7, s7, s15
	s_load_dword s11, s[6:7], 0x0
	s_branch .LBB932_9
.LBB932_7:
	s_mov_b64 s[16:17], 0
	s_branch .LBB932_2
.LBB932_8:
	s_mov_b32 s11, s8
.LBB932_9:
	s_load_dwordx2 s[6:7], s[4:5], 0x10
	s_load_dwordx4 s[12:15], s[4:5], 0x48
	v_lshrrev_b32_e32 v27, 6, v0
	v_bfe_u32 v1, v0, 4, 2
	v_and_b32_e32 v41, 15, v0
	v_lshl_or_b32 v6, v27, 2, v1
	v_lshlrev_b32_e32 v7, 3, v41
	s_mul_i32 s27, s10, 7
	v_cmp_gt_u32_e32 vcc, 7, v6
	v_lshlrev_b32_e32 v39, 1, v7
	v_lshlrev_b32_e32 v43, 4, v0
	s_and_saveexec_b64 s[18:19], vcc
	s_cbranch_execz .LBB932_11
; %bb.10:
	s_load_dwordx2 s[24:25], s[4:5], 0x0
	s_waitcnt lgkmcnt(0)
	s_ashr_i32 s15, s12, 31
	s_mul_hi_u32 s28, s11, s12
	s_mul_i32 s15, s11, s15
	s_add_i32 s29, s28, s15
	s_mul_i32 s28, s11, s12
	s_lshl_b64 s[28:29], s[28:29], 1
	v_add_lshl_u32 v8, v6, s27, 7
	s_add_u32 s11, s24, s28
	v_ashrrev_i32_e32 v9, 31, v8
	s_addc_u32 s12, s25, s29
	v_lshlrev_b64 v[8:9], 1, v[8:9]
	v_mov_b32_e32 v7, s12
	v_add_co_u32_e32 v8, vcc, s11, v8
	v_addc_co_u32_e32 v7, vcc, v7, v9, vcc
	v_add_co_u32_e32 v8, vcc, v8, v39
	v_addc_co_u32_e32 v9, vcc, 0, v7, vcc
	global_load_dwordx4 v[8:11], v[8:9], off
	v_lshlrev_b32_e32 v12, 8, v0
	v_lshlrev_b32_e32 v7, 8, v41
	v_and_b32_e32 v12, 0x600, v12
	s_movk_i32 s11, 0x800
	v_and_or_b32 v7, v7, s11, v12
	v_lshlrev_b32_e32 v6, 5, v6
	v_and_b32_e32 v12, 16, v43
	v_or3_b32 v6, v7, v6, v12
	s_waitcnt vmcnt(0)
	ds_write_b128 v6, v[8:11]
.LBB932_11:
	s_or_b64 exec, exec, s[18:19]
	s_waitcnt lgkmcnt(0)
	s_mul_i32 s14, s10, s14
	s_add_u32 s10, s16, s14
	s_addc_u32 s11, s17, 0
	v_pk_mov_b32 v[6:7], s[10:11], s[10:11] op_sel:[0,1]
	s_waitcnt vmcnt(3)
	v_mad_i64_i32 v[8:9], s[10:11], v5, s13, v[6:7]
	v_lshlrev_b32_e32 v11, 4, v41
	v_and_b32_e32 v18, 48, v0
	v_add_co_u32_e32 v5, vcc, v8, v11
	v_lshlrev_b32_e32 v10, 5, v18
	v_addc_co_u32_e32 v9, vcc, 0, v9, vcc
	v_add_co_u32_e32 v8, vcc, v5, v10
	v_addc_co_u32_e32 v9, vcc, 0, v9, vcc
	s_load_dwordx2 s[48:49], s[4:5], 0x94
	s_waitcnt lgkmcnt(0)
	s_barrier
	global_load_dwordx4 v[20:23], v[8:9], off
	global_load_dwordx4 v[28:31], v[8:9], off offset:2048
	s_waitcnt vmcnt(4)
	v_mad_i64_i32 v[4:5], s[10:11], v4, s13, v[6:7]
	v_or_b32_e32 v8, 0x100, v11
	v_add_co_u32_e32 v4, vcc, v4, v8
	v_addc_co_u32_e32 v5, vcc, 0, v5, vcc
	v_add_co_u32_e32 v4, vcc, v4, v10
	v_addc_co_u32_e32 v5, vcc, 0, v5, vcc
	global_load_dwordx4 v[32:35], v[4:5], off
	global_load_dwordx4 v[44:47], v[4:5], off offset:2048
	s_waitcnt vmcnt(5)
	v_mad_i64_i32 v[4:5], s[10:11], v3, s13, v[6:7]
	v_add_co_u32_e32 v3, vcc, v4, v11
	v_addc_co_u32_e32 v5, vcc, 0, v5, vcc
	v_add_co_u32_e32 v4, vcc, v3, v10
	v_addc_co_u32_e32 v5, vcc, 0, v5, vcc
	s_waitcnt vmcnt(4)
	v_mad_i64_i32 v[2:3], s[10:11], v2, s13, v[6:7]
	v_add_co_u32_e32 v2, vcc, v2, v8
	v_addc_co_u32_e32 v3, vcc, 0, v3, vcc
	v_add_co_u32_e32 v2, vcc, v2, v10
	v_addc_co_u32_e32 v3, vcc, 0, v3, vcc
	global_load_dwordx4 v[48:51], v[4:5], off
	global_load_dwordx4 v[52:55], v[4:5], off offset:2048
	global_load_dwordx4 v[56:59], v[2:3], off
	global_load_dwordx4 v[60:63], v[2:3], off offset:2048
	v_mul_lo_u16_e32 v2, 37, v41
	v_mov_b32_e32 v3, 7
	v_mul_lo_u16_sdwa v2, v2, v3 dst_sel:DWORD dst_unused:UNUSED_PAD src0_sel:BYTE_1 src1_sel:DWORD
	v_mov_b32_e32 v4, 5
	v_sub_u16_e32 v2, v41, v2
	v_lshlrev_b32_sdwa v2, v4, v2 dst_sel:DWORD dst_unused:UNUSED_PAD src0_sel:DWORD src1_sel:BYTE_0
	v_lshl_add_u32 v14, v1, 9, v2
	s_load_dwordx2 s[50:51], s[4:5], 0x68
	s_load_dwordx4 s[44:47], s[4:5], 0x58
	ds_read_b128 v[2:5], v14
	ds_read_b128 v[6:9], v14 offset:16
	ds_read_b128 v[10:13], v14 offset:2048
	;; [unrolled: 1-line block ×3, first 2 shown]
	s_mov_b32 s12, 0
	v_cmp_gt_u32_e32 vcc, 7, v41
	s_waitcnt vmcnt(7)
	buffer_store_dword v23, off, s[0:3], 0 offset:12
	buffer_store_dword v22, off, s[0:3], 0 offset:8
	buffer_store_dword v21, off, s[0:3], 0 offset:4
	buffer_store_dword v20, off, s[0:3], 0
	s_waitcnt vmcnt(10)
	buffer_store_dword v31, off, s[0:3], 0 offset:28
	buffer_store_dword v30, off, s[0:3], 0 offset:24
	buffer_store_dword v29, off, s[0:3], 0 offset:20
	buffer_store_dword v28, off, s[0:3], 0 offset:16
	s_waitcnt vmcnt(13)
	buffer_store_dword v35, off, s[0:3], 0 offset:44
	buffer_store_dword v34, off, s[0:3], 0 offset:40
	buffer_store_dword v33, off, s[0:3], 0 offset:36
	buffer_store_dword v32, off, s[0:3], 0 offset:32
	;; [unrolled: 5-line block ×7, first 2 shown]
	v_mov_b32_e32 v35, 0
	v_mov_b32_e32 v31, 0
	s_and_saveexec_b64 s[10:11], vcc
	s_cbranch_execz .LBB932_13
; %bb.12:
	s_load_dwordx2 s[16:17], s[4:5], 0x40
	v_add_u32_e32 v20, s27, v41
	v_ashrrev_i32_e32 v21, 31, v20
	v_lshlrev_b64 v[20:21], 2, v[20:21]
	s_waitcnt lgkmcnt(0)
	v_mov_b32_e32 v19, s17
	v_add_co_u32_e32 v20, vcc, s16, v20
	v_addc_co_u32_e32 v21, vcc, v19, v21, vcc
	global_load_dword v31, v[20:21], off
.LBB932_13:
	s_or_b64 exec, exec, s[10:11]
	s_ashr_i32 s10, s20, 31
	v_or_b32_e32 v24, s20, v18
	s_lshr_b32 s10, s10, 27
	v_add_u32_e32 v18, s10, v24
	v_ashrrev_i32_e32 v18, 5, v18
	v_mov_b32_e32 v25, s23
	v_cmp_gt_i32_e32 vcc, s33, v24
	v_cndmask_b32_e32 v18, v25, v18, vcc
	v_ashrrev_i32_e32 v19, 31, v18
	v_lshlrev_b64 v[18:19], 2, v[18:19]
	v_mov_b32_e32 v20, s22
	v_add_co_u32_e32 v18, vcc, s21, v18
	v_addc_co_u32_e32 v19, vcc, v20, v19, vcc
	v_or_b32_e32 v20, 64, v24
	v_add_u32_e32 v21, s10, v20
	v_ashrrev_i32_e32 v21, 5, v21
	v_cmp_gt_i32_e32 vcc, s33, v20
	v_cndmask_b32_e32 v20, v25, v21, vcc
	v_ashrrev_i32_e32 v21, 31, v20
	v_lshlrev_b64 v[20:21], 2, v[20:21]
	v_mov_b32_e32 v22, s22
	v_add_co_u32_e32 v20, vcc, s21, v20
	v_addc_co_u32_e32 v21, vcc, v22, v21, vcc
	v_or_b32_e32 v22, 0x80, v24
	v_add_u32_e32 v23, s10, v22
	v_ashrrev_i32_e32 v23, 5, v23
	v_cmp_gt_i32_e32 vcc, s33, v22
	v_cndmask_b32_e32 v22, v25, v23, vcc
	v_ashrrev_i32_e32 v23, 31, v22
	v_lshlrev_b64 v[22:23], 2, v[22:23]
	v_mov_b32_e32 v26, s22
	v_add_co_u32_e32 v22, vcc, s21, v22
	v_addc_co_u32_e32 v23, vcc, v26, v23, vcc
	global_load_dword v26, v[18:19], off
	global_load_dword v28, v[20:21], off
	;; [unrolled: 1-line block ×3, first 2 shown]
	v_or_b32_e32 v18, 0xc0, v24
	v_add_u32_e32 v19, s10, v18
	v_ashrrev_i32_e32 v19, 5, v19
	v_cmp_gt_i32_e32 vcc, s33, v18
	v_cndmask_b32_e32 v18, v25, v19, vcc
	v_ashrrev_i32_e32 v19, 31, v18
	v_lshlrev_b64 v[18:19], 2, v[18:19]
	v_mov_b32_e32 v20, s22
	v_add_co_u32_e32 v18, vcc, s21, v18
	v_addc_co_u32_e32 v19, vcc, v20, v19, vcc
	global_load_dword v32, v[18:19], off
	s_add_u32 s6, s6, s14
	v_and_b32_e32 v18, 16, v0
	s_addc_u32 s7, s7, 0
	v_lshl_or_b32 v29, v27, 4, v41
	v_mov_b32_e32 v20, s7
	v_add_co_u32_e32 v34, vcc, s6, v18
	v_lshlrev_b32_e32 v19, 5, v29
	v_addc_co_u32_e32 v36, vcc, 0, v20, vcc
	v_add_co_u32_e32 v22, vcc, v34, v19
	v_addc_co_u32_e32 v23, vcc, 0, v36, vcc
	v_or_b32_e32 v33, 0x800, v19
	s_movk_i32 s14, 0x7f
	s_mov_b32 s15, 0xffffff
	s_mov_b32 s16, 0x5040100
	v_mov_b32_e32 v37, 0x100
	v_bfrev_b32_e32 v38, 60
	s_waitcnt vmcnt(3)
	v_mad_i64_i32 v[18:19], s[6:7], v26, s13, v[22:23]
	s_waitcnt vmcnt(2)
	v_mad_i64_i32 v[24:25], s[6:7], v28, s13, v[22:23]
	global_load_dwordx4 v[18:21], v[18:19], off
	s_nop 0
	global_load_dwordx4 v[52:55], v[24:25], off
	s_waitcnt vmcnt(3)
	v_mad_i64_i32 v[24:25], s[6:7], v30, s13, v[22:23]
	s_waitcnt vmcnt(2)
	v_mad_i64_i32 v[22:23], s[6:7], v32, s13, v[22:23]
	global_load_dwordx4 v[56:59], v[24:25], off
	global_load_dwordx4 v[60:63], v[22:23], off
	v_add_co_u32_e32 v22, vcc, v34, v33
	v_addc_co_u32_e32 v23, vcc, 0, v36, vcc
	v_mad_i64_i32 v[24:25], s[6:7], v26, s13, v[22:23]
	global_load_dwordx4 v[64:67], v[24:25], off
	v_mad_i64_i32 v[24:25], s[6:7], v28, s13, v[22:23]
	global_load_dwordx4 v[68:71], v[24:25], off
	v_mad_i64_i32 v[24:25], s[6:7], v30, s13, v[22:23]
	global_load_dwordx4 v[72:75], v[24:25], off
	v_mad_i64_i32 v[22:23], s[6:7], v32, s13, v[22:23]
	global_load_dwordx4 v[76:79], v[22:23], off
	s_load_dword s6, s[4:5], 0x1c
	s_load_dwordx4 s[40:43], s[4:5], 0x80
	v_mov_b32_e32 v22, 0x80
	v_add_u32_e32 v45, 16, v22
	v_add_u32_e32 v46, 32, v22
	;; [unrolled: 1-line block ×3, first 2 shown]
	s_waitcnt lgkmcnt(0)
	s_load_dword s4, s[40:41], 0x0
	v_add_u32_e32 v51, 64, v22
	v_add_u32_e32 v48, 0x50, v22
	;; [unrolled: 1-line block ×4, first 2 shown]
	v_mov_b32_e32 v22, s6
	s_waitcnt lgkmcnt(0)
	v_mul_f32_e32 v22, s4, v22
	v_and_b32_e32 v33, 63, v0
	s_movk_i32 s13, 0x80
	v_mov_b32_e32 v36, 0
	v_mov_b32_e32 v24, v22
	v_mov_b32_e32 v25, v22
	s_waitcnt vmcnt(7)
	buffer_store_dword v21, off, s[0:3], 0 offset:140
	buffer_store_dword v20, off, s[0:3], 0 offset:136
	buffer_store_dword v19, off, s[0:3], 0 offset:132
	buffer_store_dword v18, off, s[0:3], 0 offset:128
	s_waitcnt vmcnt(10)
	buffer_store_dword v55, off, s[0:3], 0 offset:172
	buffer_store_dword v54, off, s[0:3], 0 offset:168
	buffer_store_dword v53, off, s[0:3], 0 offset:164
	buffer_store_dword v52, off, s[0:3], 0 offset:160
	;; [unrolled: 5-line block ×8, first 2 shown]
	s_branch .LBB932_17
.LBB932_14:                             ;   in Loop: Header=BB932_17 Depth=1
	s_or_b64 exec, exec, s[10:11]
.LBB932_15:                             ;   in Loop: Header=BB932_17 Depth=1
	s_or_b64 exec, exec, s[6:7]
.LBB932_16:                             ;   in Loop: Header=BB932_17 Depth=1
	s_or_b64 exec, exec, s[4:5]
	v_perm_b32 v55, v40, v34, s16
	v_perm_b32 v54, v23, v32, s16
	;; [unrolled: 1-line block ×4, first 2 shown]
	v_add_u32_e32 v26, s12, v37
	v_mfma_f32_16x16x16bf16_1k v[18:21], v[54:55], v[14:15], v[18:21]
	s_add_i32 s12, s12, 16
	v_mov_b32_e32 v23, v22
	s_cmp_eq_u32 s12, 64
	v_add_u32_e32 v36, 32, v36
	v_mfma_f32_16x16x16bf16_1k v[18:21], v[52:53], v[16:17], v[18:21]
	s_nop 7
	s_nop 2
	v_pk_mul_f32 v[18:19], v[24:25], v[18:19]
	v_pk_mul_f32 v[20:21], v[22:23], v[20:21]
	buffer_store_dword v19, v26, s[0:3], 0 offen offset:4
	buffer_store_dword v18, v26, s[0:3], 0 offen
	buffer_store_dword v21, v26, s[0:3], 0 offen offset:12
	buffer_store_dword v20, v26, s[0:3], 0 offen offset:8
	s_cbranch_scc1 .LBB932_207
.LBB932_17:                             ; =>This Inner Loop Header: Depth=1
	buffer_load_dword v20, v36, s[0:3], 0 offen
	buffer_load_dword v18, v36, s[0:3], 0 offen offset:4
	buffer_load_dword v28, v36, s[0:3], 0 offen offset:8
	;; [unrolled: 1-line block ×3, first 2 shown]
	v_mov_b32_e32 v19, 0
	v_mov_b32_e32 v21, 0
	s_waitcnt vmcnt(3)
	v_cmp_ne_u16_sdwa s[6:7], v20, v35 src0_sel:BYTE_0 src1_sel:DWORD
	s_and_saveexec_b64 s[4:5], s[6:7]
	s_cbranch_execz .LBB932_23
; %bb.18:                               ;   in Loop: Header=BB932_17 Depth=1
	v_cmp_ne_u16_sdwa s[10:11], v20, s13 src0_sel:BYTE_0 src1_sel:DWORD
	v_mov_b32_e32 v21, 0xffff8000
	s_and_saveexec_b64 s[6:7], s[10:11]
	s_cbranch_execz .LBB932_22
; %bb.19:                               ;   in Loop: Header=BB932_17 Depth=1
	v_and_b32_e32 v23, 0x7f, v20
	v_cmp_ne_u32_e32 vcc, s14, v23
	v_mov_b32_e32 v21, 0x7f80
	s_and_saveexec_b64 s[10:11], vcc
	s_cbranch_execz .LBB932_21
; %bb.20:                               ;   in Loop: Header=BB932_17 Depth=1
	v_and_b32_e32 v21, 7, v20
	v_ffbh_u32_e32 v32, v21
	v_min_u32_e32 v32, 32, v32
	v_subrev_u32_e32 v34, 28, v32
	v_lshlrev_b64 v[52:53], v34, v[20:21]
	v_lshrrev_b32_e32 v30, 3, v23
	v_sub_u32_e32 v32, 29, v32
	v_and_b32_e32 v34, 7, v52
	v_cmp_gt_u32_e32 vcc, 8, v23
	v_cndmask_b32_e32 v23, v30, v32, vcc
	v_cndmask_b32_e32 v21, v21, v34, vcc
	v_lshlrev_b32_e32 v30, 24, v20
	v_lshlrev_b32_e32 v21, 20, v21
	v_and_b32_e32 v30, 0x80000000, v30
	v_lshl_add_u32 v23, v23, 23, v38
	v_or3_b32 v21, v30, v23, v21
	v_lshrrev_b32_e32 v21, 16, v21
.LBB932_21:                             ;   in Loop: Header=BB932_17 Depth=1
	s_or_b64 exec, exec, s[10:11]
.LBB932_22:                             ;   in Loop: Header=BB932_17 Depth=1
	s_or_b64 exec, exec, s[6:7]
.LBB932_23:                             ;   in Loop: Header=BB932_17 Depth=1
	s_or_b64 exec, exec, s[4:5]
	v_lshrrev_b16_e32 v30, 8, v20
	v_cmp_ne_u16_e32 vcc, 0, v30
	s_and_saveexec_b64 s[4:5], vcc
	s_cbranch_execz .LBB932_29
; %bb.24:                               ;   in Loop: Header=BB932_17 Depth=1
	v_cmp_ne_u16_e32 vcc, s13, v30
	v_mov_b32_e32 v19, 0xffff8000
	s_and_saveexec_b64 s[6:7], vcc
	s_cbranch_execz .LBB932_28
; %bb.25:                               ;   in Loop: Header=BB932_17 Depth=1
	v_and_b32_e32 v23, 0x7f, v30
	v_cmp_ne_u32_e32 vcc, s14, v23
	v_mov_b32_e32 v19, 0x7f80
	s_and_saveexec_b64 s[10:11], vcc
	s_cbranch_execz .LBB932_27
; %bb.26:                               ;   in Loop: Header=BB932_17 Depth=1
	v_and_b32_e32 v19, 7, v30
	v_ffbh_u32_e32 v34, v19
	v_min_u32_e32 v34, 32, v34
	v_subrev_u32_e32 v40, 28, v34
	v_lshlrev_b64 v[52:53], v40, v[30:31]
	v_lshrrev_b32_e32 v32, 3, v23
	v_sub_u32_e32 v30, 29, v34
	v_and_b32_e32 v34, 7, v52
	v_cmp_gt_u32_e32 vcc, 8, v23
	v_cndmask_b32_e32 v23, v32, v30, vcc
	v_cndmask_b32_e32 v19, v19, v34, vcc
	v_lshlrev_b32_e32 v30, 16, v20
	v_lshlrev_b32_e32 v19, 20, v19
	v_and_b32_e32 v30, 0x80000000, v30
	v_lshl_add_u32 v23, v23, 23, v38
	v_or3_b32 v19, v30, v23, v19
	v_lshrrev_b32_e32 v19, 16, v19
.LBB932_27:                             ;   in Loop: Header=BB932_17 Depth=1
	s_or_b64 exec, exec, s[10:11]
.LBB932_28:                             ;   in Loop: Header=BB932_17 Depth=1
	s_or_b64 exec, exec, s[6:7]
.LBB932_29:                             ;   in Loop: Header=BB932_17 Depth=1
	s_or_b64 exec, exec, s[4:5]
	v_lshrrev_b32_e32 v30, 16, v20
	v_cmp_ne_u16_sdwa s[6:7], v30, v35 src0_sel:BYTE_0 src1_sel:DWORD
	v_mov_b32_e32 v32, 0
	v_mov_b32_e32 v23, 0
	s_and_saveexec_b64 s[4:5], s[6:7]
	s_cbranch_execz .LBB932_35
; %bb.30:                               ;   in Loop: Header=BB932_17 Depth=1
	v_cmp_ne_u16_sdwa s[10:11], v30, s13 src0_sel:BYTE_0 src1_sel:DWORD
	v_mov_b32_e32 v23, 0xffff8000
	s_and_saveexec_b64 s[6:7], s[10:11]
	s_cbranch_execz .LBB932_34
; %bb.31:                               ;   in Loop: Header=BB932_17 Depth=1
	v_bfe_u32 v34, v20, 16, 7
	v_cmp_ne_u32_e32 vcc, s14, v34
	v_mov_b32_e32 v23, 0x7f80
	s_and_saveexec_b64 s[10:11], vcc
	s_cbranch_execz .LBB932_33
; %bb.32:                               ;   in Loop: Header=BB932_17 Depth=1
	v_and_b32_e32 v23, 7, v30
	v_ffbh_u32_e32 v42, v23
	v_min_u32_e32 v42, 32, v42
	v_subrev_u32_e32 v44, 28, v42
	v_lshlrev_b64 v[52:53], v44, v[30:31]
	v_lshrrev_b32_e32 v40, 3, v34
	v_sub_u32_e32 v42, 29, v42
	v_and_b32_e32 v44, 7, v52
	v_cmp_gt_u32_e32 vcc, 8, v34
	v_cndmask_b32_e32 v34, v40, v42, vcc
	v_cndmask_b32_e32 v23, v23, v44, vcc
	v_lshlrev_b32_e32 v30, 24, v30
	v_lshlrev_b32_e32 v23, 20, v23
	v_and_b32_e32 v30, 0x80000000, v30
	v_lshl_add_u32 v34, v34, 23, v38
	v_or3_b32 v23, v30, v34, v23
	v_lshrrev_b32_e32 v23, 16, v23
.LBB932_33:                             ;   in Loop: Header=BB932_17 Depth=1
	s_or_b64 exec, exec, s[10:11]
.LBB932_34:                             ;   in Loop: Header=BB932_17 Depth=1
	s_or_b64 exec, exec, s[6:7]
.LBB932_35:                             ;   in Loop: Header=BB932_17 Depth=1
	s_or_b64 exec, exec, s[4:5]
	v_cmp_lt_u32_e32 vcc, s15, v20
	s_and_saveexec_b64 s[4:5], vcc
	s_cbranch_execz .LBB932_41
; %bb.36:                               ;   in Loop: Header=BB932_17 Depth=1
	v_lshrrev_b32_e32 v30, 24, v20
	v_cmp_ne_u32_e32 vcc, s13, v30
	v_mov_b32_e32 v32, 0xffff8000
	s_and_saveexec_b64 s[6:7], vcc
	s_cbranch_execz .LBB932_40
; %bb.37:                               ;   in Loop: Header=BB932_17 Depth=1
	v_bfe_u32 v20, v20, 24, 7
	v_cmp_ne_u32_e32 vcc, s14, v20
	v_mov_b32_e32 v32, 0x7f80
	s_and_saveexec_b64 s[10:11], vcc
	s_cbranch_execz .LBB932_39
; %bb.38:                               ;   in Loop: Header=BB932_17 Depth=1
	v_and_b32_e32 v32, 7, v30
	v_ffbh_u32_e32 v40, v32
	v_min_u32_e32 v40, 32, v40
	v_subrev_u32_e32 v42, 28, v40
	v_lshlrev_b64 v[52:53], v42, v[30:31]
	v_lshrrev_b32_e32 v34, 3, v20
	v_sub_u32_e32 v40, 29, v40
	v_and_b32_e32 v42, 7, v52
	v_cmp_gt_u32_e32 vcc, 8, v20
	v_cndmask_b32_e32 v20, v34, v40, vcc
	v_cndmask_b32_e32 v32, v32, v42, vcc
	v_lshlrev_b32_e32 v30, 24, v30
	v_lshlrev_b32_e32 v32, 20, v32
	v_and_b32_e32 v30, 0x80000000, v30
	v_lshl_add_u32 v20, v20, 23, v38
	v_or3_b32 v20, v30, v20, v32
	v_lshrrev_b32_e32 v32, 16, v20
.LBB932_39:                             ;   in Loop: Header=BB932_17 Depth=1
	s_or_b64 exec, exec, s[10:11]
.LBB932_40:                             ;   in Loop: Header=BB932_17 Depth=1
	s_or_b64 exec, exec, s[6:7]
.LBB932_41:                             ;   in Loop: Header=BB932_17 Depth=1
	s_or_b64 exec, exec, s[4:5]
	s_waitcnt vmcnt(2)
	v_cmp_ne_u16_sdwa s[6:7], v18, v35 src0_sel:BYTE_0 src1_sel:DWORD
	v_mov_b32_e32 v30, 0
	v_mov_b32_e32 v34, 0
	s_and_saveexec_b64 s[4:5], s[6:7]
	s_cbranch_execz .LBB932_47
; %bb.42:                               ;   in Loop: Header=BB932_17 Depth=1
	v_cmp_ne_u16_sdwa s[10:11], v18, s13 src0_sel:BYTE_0 src1_sel:DWORD
	v_mov_b32_e32 v34, 0xffff8000
	s_and_saveexec_b64 s[6:7], s[10:11]
	s_cbranch_execz .LBB932_46
; %bb.43:                               ;   in Loop: Header=BB932_17 Depth=1
	v_and_b32_e32 v20, 0x7f, v18
	v_cmp_ne_u32_e32 vcc, s14, v20
	v_mov_b32_e32 v34, 0x7f80
	s_and_saveexec_b64 s[10:11], vcc
	s_cbranch_execz .LBB932_45
; %bb.44:                               ;   in Loop: Header=BB932_17 Depth=1
	v_and_b32_e32 v34, 7, v18
	v_ffbh_u32_e32 v42, v34
	v_min_u32_e32 v42, 32, v42
	v_subrev_u32_e32 v44, 28, v42
	v_lshlrev_b64 v[52:53], v44, v[18:19]
	v_lshrrev_b32_e32 v40, 3, v20
	v_sub_u32_e32 v42, 29, v42
	v_and_b32_e32 v44, 7, v52
	v_cmp_gt_u32_e32 vcc, 8, v20
	v_cndmask_b32_e32 v20, v40, v42, vcc
	v_cndmask_b32_e32 v34, v34, v44, vcc
	v_lshlrev_b32_e32 v40, 24, v18
	v_lshlrev_b32_e32 v34, 20, v34
	v_and_b32_e32 v40, 0x80000000, v40
	v_lshl_add_u32 v20, v20, 23, v38
	v_or3_b32 v20, v40, v20, v34
	v_lshrrev_b32_e32 v34, 16, v20
.LBB932_45:                             ;   in Loop: Header=BB932_17 Depth=1
	s_or_b64 exec, exec, s[10:11]
.LBB932_46:                             ;   in Loop: Header=BB932_17 Depth=1
	s_or_b64 exec, exec, s[6:7]
.LBB932_47:                             ;   in Loop: Header=BB932_17 Depth=1
	s_or_b64 exec, exec, s[4:5]
	v_lshrrev_b16_e32 v20, 8, v18
	v_cmp_ne_u16_e32 vcc, 0, v20
	s_and_saveexec_b64 s[4:5], vcc
	s_cbranch_execz .LBB932_53
; %bb.48:                               ;   in Loop: Header=BB932_17 Depth=1
	v_cmp_ne_u16_e32 vcc, s13, v20
	v_mov_b32_e32 v30, 0xffff8000
	s_and_saveexec_b64 s[6:7], vcc
	s_cbranch_execz .LBB932_52
; %bb.49:                               ;   in Loop: Header=BB932_17 Depth=1
	v_and_b32_e32 v40, 0x7f, v20
	v_cmp_ne_u32_e32 vcc, s14, v40
	v_mov_b32_e32 v30, 0x7f80
	s_and_saveexec_b64 s[10:11], vcc
	s_cbranch_execz .LBB932_51
; %bb.50:                               ;   in Loop: Header=BB932_17 Depth=1
	v_and_b32_e32 v30, 7, v20
	v_ffbh_u32_e32 v44, v30
	v_min_u32_e32 v44, 32, v44
	v_subrev_u32_e32 v52, 28, v44
	v_lshlrev_b64 v[52:53], v52, v[20:21]
	v_lshrrev_b32_e32 v42, 3, v40
	v_sub_u32_e32 v20, 29, v44
	v_and_b32_e32 v44, 7, v52
	v_cmp_gt_u32_e32 vcc, 8, v40
	v_cndmask_b32_e32 v20, v42, v20, vcc
	v_cndmask_b32_e32 v30, v30, v44, vcc
	v_lshlrev_b32_e32 v40, 16, v18
	v_lshlrev_b32_e32 v30, 20, v30
	v_and_b32_e32 v40, 0x80000000, v40
	v_lshl_add_u32 v20, v20, 23, v38
	v_or3_b32 v20, v40, v20, v30
	v_lshrrev_b32_e32 v30, 16, v20
.LBB932_51:                             ;   in Loop: Header=BB932_17 Depth=1
	s_or_b64 exec, exec, s[10:11]
.LBB932_52:                             ;   in Loop: Header=BB932_17 Depth=1
	s_or_b64 exec, exec, s[6:7]
.LBB932_53:                             ;   in Loop: Header=BB932_17 Depth=1
	s_or_b64 exec, exec, s[4:5]
	v_lshrrev_b32_e32 v20, 16, v18
	v_cmp_ne_u16_sdwa s[6:7], v20, v35 src0_sel:BYTE_0 src1_sel:DWORD
	v_mov_b32_e32 v42, 0
	v_mov_b32_e32 v40, 0
	s_and_saveexec_b64 s[4:5], s[6:7]
	s_cbranch_execz .LBB932_59
; %bb.54:                               ;   in Loop: Header=BB932_17 Depth=1
	v_cmp_ne_u16_sdwa s[10:11], v20, s13 src0_sel:BYTE_0 src1_sel:DWORD
	v_mov_b32_e32 v40, 0xffff8000
	s_and_saveexec_b64 s[6:7], s[10:11]
	s_cbranch_execz .LBB932_58
; %bb.55:                               ;   in Loop: Header=BB932_17 Depth=1
	v_bfe_u32 v44, v18, 16, 7
	v_cmp_ne_u32_e32 vcc, s14, v44
	v_mov_b32_e32 v40, 0x7f80
	s_and_saveexec_b64 s[10:11], vcc
	s_cbranch_execz .LBB932_57
; %bb.56:                               ;   in Loop: Header=BB932_17 Depth=1
	v_and_b32_e32 v40, 7, v20
	v_ffbh_u32_e32 v52, v40
	v_min_u32_e32 v55, 32, v52
	v_subrev_u32_e32 v52, 28, v55
	v_lshlrev_b64 v[52:53], v52, v[20:21]
	v_lshrrev_b32_e32 v54, 3, v44
	v_sub_u32_e32 v53, 29, v55
	v_and_b32_e32 v52, 7, v52
	v_cmp_gt_u32_e32 vcc, 8, v44
	v_cndmask_b32_e32 v44, v54, v53, vcc
	v_cndmask_b32_e32 v40, v40, v52, vcc
	v_lshlrev_b32_e32 v20, 24, v20
	v_lshlrev_b32_e32 v40, 20, v40
	v_and_b32_e32 v20, 0x80000000, v20
	v_lshl_add_u32 v44, v44, 23, v38
	v_or3_b32 v20, v20, v44, v40
	v_lshrrev_b32_e32 v40, 16, v20
.LBB932_57:                             ;   in Loop: Header=BB932_17 Depth=1
	s_or_b64 exec, exec, s[10:11]
.LBB932_58:                             ;   in Loop: Header=BB932_17 Depth=1
	s_or_b64 exec, exec, s[6:7]
.LBB932_59:                             ;   in Loop: Header=BB932_17 Depth=1
	s_or_b64 exec, exec, s[4:5]
	v_cmp_lt_u32_e32 vcc, s15, v18
	s_and_saveexec_b64 s[4:5], vcc
	s_cbranch_execz .LBB932_65
; %bb.60:                               ;   in Loop: Header=BB932_17 Depth=1
	v_lshrrev_b32_e32 v20, 24, v18
	v_cmp_ne_u32_e32 vcc, s13, v20
	v_mov_b32_e32 v42, 0xffff8000
	s_and_saveexec_b64 s[6:7], vcc
	s_cbranch_execz .LBB932_64
; %bb.61:                               ;   in Loop: Header=BB932_17 Depth=1
	v_bfe_u32 v18, v18, 24, 7
	v_cmp_ne_u32_e32 vcc, s14, v18
	v_mov_b32_e32 v42, 0x7f80
	s_and_saveexec_b64 s[10:11], vcc
	s_cbranch_execz .LBB932_63
; %bb.62:                               ;   in Loop: Header=BB932_17 Depth=1
	v_and_b32_e32 v42, 7, v20
	v_ffbh_u32_e32 v52, v42
	v_min_u32_e32 v54, 32, v52
	v_subrev_u32_e32 v52, 28, v54
	v_lshlrev_b64 v[52:53], v52, v[20:21]
	v_lshrrev_b32_e32 v44, 3, v18
	v_sub_u32_e32 v53, 29, v54
	v_and_b32_e32 v52, 7, v52
	v_cmp_gt_u32_e32 vcc, 8, v18
	v_cndmask_b32_e32 v18, v44, v53, vcc
	v_cndmask_b32_e32 v42, v42, v52, vcc
	v_lshlrev_b32_e32 v20, 24, v20
	v_lshlrev_b32_e32 v42, 20, v42
	v_and_b32_e32 v20, 0x80000000, v20
	v_lshl_add_u32 v18, v18, 23, v38
	v_or3_b32 v18, v20, v18, v42
	v_lshrrev_b32_e32 v42, 16, v18
.LBB932_63:                             ;   in Loop: Header=BB932_17 Depth=1
	s_or_b64 exec, exec, s[10:11]
.LBB932_64:                             ;   in Loop: Header=BB932_17 Depth=1
	s_or_b64 exec, exec, s[6:7]
.LBB932_65:                             ;   in Loop: Header=BB932_17 Depth=1
	s_or_b64 exec, exec, s[4:5]
	v_perm_b32 v53, v32, v23, s16
	v_perm_b32 v52, v19, v21, s16
	s_waitcnt vmcnt(1)
	v_cmp_ne_u16_sdwa s[6:7], v28, v35 src0_sel:BYTE_0 src1_sel:DWORD
	v_mov_b32_e32 v23, 0
	v_mov_b32_e32 v32, 0
	v_mfma_f32_16x16x16bf16_1k v[18:21], v[52:53], v[2:3], 0
	v_perm_b32 v53, v42, v40, s16
	v_perm_b32 v52, v30, v34, s16
	s_nop 1
	v_mfma_f32_16x16x16bf16_1k v[18:21], v[52:53], v[4:5], v[18:21]
	s_and_saveexec_b64 s[4:5], s[6:7]
	s_cbranch_execz .LBB932_71
; %bb.66:                               ;   in Loop: Header=BB932_17 Depth=1
	v_cmp_ne_u16_sdwa s[10:11], v28, s13 src0_sel:BYTE_0 src1_sel:DWORD
	v_mov_b32_e32 v32, 0xffff8000
	s_and_saveexec_b64 s[6:7], s[10:11]
	s_cbranch_execz .LBB932_70
; %bb.67:                               ;   in Loop: Header=BB932_17 Depth=1
	v_and_b32_e32 v30, 0x7f, v28
	v_cmp_ne_u32_e32 vcc, s14, v30
	v_mov_b32_e32 v32, 0x7f80
	s_and_saveexec_b64 s[10:11], vcc
	s_cbranch_execz .LBB932_69
; %bb.68:                               ;   in Loop: Header=BB932_17 Depth=1
	v_and_b32_e32 v32, 7, v28
	v_ffbh_u32_e32 v40, v32
	v_min_u32_e32 v40, 32, v40
	v_subrev_u32_e32 v42, 28, v40
	v_lshlrev_b64 v[52:53], v42, v[28:29]
	v_lshrrev_b32_e32 v34, 3, v30
	v_sub_u32_e32 v40, 29, v40
	v_and_b32_e32 v42, 7, v52
	v_cmp_gt_u32_e32 vcc, 8, v30
	v_cndmask_b32_e32 v30, v34, v40, vcc
	v_cndmask_b32_e32 v32, v32, v42, vcc
	v_lshlrev_b32_e32 v34, 24, v28
	v_lshlrev_b32_e32 v32, 20, v32
	v_and_b32_e32 v34, 0x80000000, v34
	v_lshl_add_u32 v30, v30, 23, v38
	v_or3_b32 v30, v34, v30, v32
	v_lshrrev_b32_e32 v32, 16, v30
.LBB932_69:                             ;   in Loop: Header=BB932_17 Depth=1
	s_or_b64 exec, exec, s[10:11]
.LBB932_70:                             ;   in Loop: Header=BB932_17 Depth=1
	s_or_b64 exec, exec, s[6:7]
.LBB932_71:                             ;   in Loop: Header=BB932_17 Depth=1
	s_or_b64 exec, exec, s[4:5]
	v_lshrrev_b16_e32 v30, 8, v28
	v_cmp_ne_u16_e32 vcc, 0, v30
	s_and_saveexec_b64 s[4:5], vcc
	s_cbranch_execz .LBB932_77
; %bb.72:                               ;   in Loop: Header=BB932_17 Depth=1
	v_cmp_ne_u16_e32 vcc, s13, v30
	v_mov_b32_e32 v23, 0xffff8000
	s_and_saveexec_b64 s[6:7], vcc
	s_cbranch_execz .LBB932_76
; %bb.73:                               ;   in Loop: Header=BB932_17 Depth=1
	v_and_b32_e32 v34, 0x7f, v30
	v_cmp_ne_u32_e32 vcc, s14, v34
	v_mov_b32_e32 v23, 0x7f80
	s_and_saveexec_b64 s[10:11], vcc
	s_cbranch_execz .LBB932_75
; %bb.74:                               ;   in Loop: Header=BB932_17 Depth=1
	v_and_b32_e32 v23, 7, v30
	v_ffbh_u32_e32 v42, v23
	v_min_u32_e32 v42, 32, v42
	v_subrev_u32_e32 v44, 28, v42
	v_lshlrev_b64 v[52:53], v44, v[30:31]
	v_lshrrev_b32_e32 v40, 3, v34
	v_sub_u32_e32 v30, 29, v42
	v_and_b32_e32 v42, 7, v52
	v_cmp_gt_u32_e32 vcc, 8, v34
	v_cndmask_b32_e32 v30, v40, v30, vcc
	v_cndmask_b32_e32 v23, v23, v42, vcc
	v_lshlrev_b32_e32 v34, 16, v28
	v_lshlrev_b32_e32 v23, 20, v23
	v_and_b32_e32 v34, 0x80000000, v34
	v_lshl_add_u32 v30, v30, 23, v38
	v_or3_b32 v23, v34, v30, v23
	v_lshrrev_b32_e32 v23, 16, v23
.LBB932_75:                             ;   in Loop: Header=BB932_17 Depth=1
	s_or_b64 exec, exec, s[10:11]
.LBB932_76:                             ;   in Loop: Header=BB932_17 Depth=1
	s_or_b64 exec, exec, s[6:7]
.LBB932_77:                             ;   in Loop: Header=BB932_17 Depth=1
	s_or_b64 exec, exec, s[4:5]
	v_lshrrev_b32_e32 v30, 16, v28
	v_cmp_ne_u16_sdwa s[6:7], v30, v35 src0_sel:BYTE_0 src1_sel:DWORD
	v_mov_b32_e32 v40, 0
	v_mov_b32_e32 v34, 0
	s_and_saveexec_b64 s[4:5], s[6:7]
	s_cbranch_execz .LBB932_83
; %bb.78:                               ;   in Loop: Header=BB932_17 Depth=1
	v_cmp_ne_u16_sdwa s[10:11], v30, s13 src0_sel:BYTE_0 src1_sel:DWORD
	v_mov_b32_e32 v34, 0xffff8000
	s_and_saveexec_b64 s[6:7], s[10:11]
	s_cbranch_execz .LBB932_82
; %bb.79:                               ;   in Loop: Header=BB932_17 Depth=1
	v_bfe_u32 v42, v28, 16, 7
	v_cmp_ne_u32_e32 vcc, s14, v42
	v_mov_b32_e32 v34, 0x7f80
	s_and_saveexec_b64 s[10:11], vcc
	s_cbranch_execz .LBB932_81
; %bb.80:                               ;   in Loop: Header=BB932_17 Depth=1
	v_and_b32_e32 v34, 7, v30
	v_ffbh_u32_e32 v52, v34
	v_min_u32_e32 v54, 32, v52
	v_subrev_u32_e32 v52, 28, v54
	v_lshlrev_b64 v[52:53], v52, v[30:31]
	v_lshrrev_b32_e32 v44, 3, v42
	v_sub_u32_e32 v53, 29, v54
	v_and_b32_e32 v52, 7, v52
	v_cmp_gt_u32_e32 vcc, 8, v42
	v_cndmask_b32_e32 v42, v44, v53, vcc
	v_cndmask_b32_e32 v34, v34, v52, vcc
	v_lshlrev_b32_e32 v30, 24, v30
	v_lshlrev_b32_e32 v34, 20, v34
	v_and_b32_e32 v30, 0x80000000, v30
	v_lshl_add_u32 v42, v42, 23, v38
	v_or3_b32 v30, v30, v42, v34
	v_lshrrev_b32_e32 v34, 16, v30
.LBB932_81:                             ;   in Loop: Header=BB932_17 Depth=1
	s_or_b64 exec, exec, s[10:11]
.LBB932_82:                             ;   in Loop: Header=BB932_17 Depth=1
	s_or_b64 exec, exec, s[6:7]
.LBB932_83:                             ;   in Loop: Header=BB932_17 Depth=1
	s_or_b64 exec, exec, s[4:5]
	v_cmp_lt_u32_e32 vcc, s15, v28
	s_and_saveexec_b64 s[4:5], vcc
	s_cbranch_execz .LBB932_89
; %bb.84:                               ;   in Loop: Header=BB932_17 Depth=1
	v_lshrrev_b32_e32 v30, 24, v28
	v_cmp_ne_u32_e32 vcc, s13, v30
	v_mov_b32_e32 v40, 0xffff8000
	s_and_saveexec_b64 s[6:7], vcc
	s_cbranch_execz .LBB932_88
; %bb.85:                               ;   in Loop: Header=BB932_17 Depth=1
	v_bfe_u32 v28, v28, 24, 7
	v_cmp_ne_u32_e32 vcc, s14, v28
	v_mov_b32_e32 v40, 0x7f80
	s_and_saveexec_b64 s[10:11], vcc
	s_cbranch_execz .LBB932_87
; %bb.86:                               ;   in Loop: Header=BB932_17 Depth=1
	v_and_b32_e32 v40, 7, v30
	v_ffbh_u32_e32 v44, v40
	v_min_u32_e32 v44, 32, v44
	v_subrev_u32_e32 v52, 28, v44
	v_lshlrev_b64 v[52:53], v52, v[30:31]
	v_lshrrev_b32_e32 v42, 3, v28
	v_sub_u32_e32 v44, 29, v44
	v_and_b32_e32 v52, 7, v52
	v_cmp_gt_u32_e32 vcc, 8, v28
	v_cndmask_b32_e32 v28, v42, v44, vcc
	v_cndmask_b32_e32 v40, v40, v52, vcc
	v_lshlrev_b32_e32 v30, 24, v30
	v_lshlrev_b32_e32 v40, 20, v40
	v_and_b32_e32 v30, 0x80000000, v30
	v_lshl_add_u32 v28, v28, 23, v38
	v_or3_b32 v28, v30, v28, v40
	v_lshrrev_b32_e32 v40, 16, v28
.LBB932_87:                             ;   in Loop: Header=BB932_17 Depth=1
	s_or_b64 exec, exec, s[10:11]
.LBB932_88:                             ;   in Loop: Header=BB932_17 Depth=1
	s_or_b64 exec, exec, s[6:7]
.LBB932_89:                             ;   in Loop: Header=BB932_17 Depth=1
	s_or_b64 exec, exec, s[4:5]
	s_waitcnt vmcnt(0)
	v_cmp_ne_u16_sdwa s[6:7], v26, v35 src0_sel:BYTE_0 src1_sel:DWORD
	v_mov_b32_e32 v42, 0
	v_mov_b32_e32 v44, 0
	s_and_saveexec_b64 s[4:5], s[6:7]
	s_cbranch_execz .LBB932_95
; %bb.90:                               ;   in Loop: Header=BB932_17 Depth=1
	v_cmp_ne_u16_sdwa s[10:11], v26, s13 src0_sel:BYTE_0 src1_sel:DWORD
	v_mov_b32_e32 v44, 0xffff8000
	s_and_saveexec_b64 s[6:7], s[10:11]
	s_cbranch_execz .LBB932_94
; %bb.91:                               ;   in Loop: Header=BB932_17 Depth=1
	v_and_b32_e32 v28, 0x7f, v26
	v_cmp_ne_u32_e32 vcc, s14, v28
	v_mov_b32_e32 v44, 0x7f80
	s_and_saveexec_b64 s[10:11], vcc
	s_cbranch_execz .LBB932_93
; %bb.92:                               ;   in Loop: Header=BB932_17 Depth=1
	v_and_b32_e32 v30, 7, v26
	v_ffbh_u32_e32 v52, v30
	v_min_u32_e32 v54, 32, v52
	v_subrev_u32_e32 v52, 28, v54
	v_lshlrev_b64 v[52:53], v52, v[26:27]
	v_lshrrev_b32_e32 v44, 3, v28
	v_sub_u32_e32 v53, 29, v54
	v_and_b32_e32 v52, 7, v52
	v_cmp_gt_u32_e32 vcc, 8, v28
	v_cndmask_b32_e32 v28, v44, v53, vcc
	v_cndmask_b32_e32 v30, v30, v52, vcc
	v_lshlrev_b32_e32 v44, 24, v26
	v_lshlrev_b32_e32 v30, 20, v30
	v_and_b32_e32 v44, 0x80000000, v44
	v_lshl_add_u32 v28, v28, 23, v38
	v_or3_b32 v28, v44, v28, v30
	v_lshrrev_b32_e32 v44, 16, v28
.LBB932_93:                             ;   in Loop: Header=BB932_17 Depth=1
	s_or_b64 exec, exec, s[10:11]
.LBB932_94:                             ;   in Loop: Header=BB932_17 Depth=1
	s_or_b64 exec, exec, s[6:7]
.LBB932_95:                             ;   in Loop: Header=BB932_17 Depth=1
	s_or_b64 exec, exec, s[4:5]
	v_lshrrev_b16_e32 v28, 8, v26
	v_cmp_ne_u16_e32 vcc, 0, v28
	s_and_saveexec_b64 s[4:5], vcc
	s_cbranch_execz .LBB932_101
; %bb.96:                               ;   in Loop: Header=BB932_17 Depth=1
	v_cmp_ne_u16_e32 vcc, s13, v28
	v_mov_b32_e32 v42, 0xffff8000
	s_and_saveexec_b64 s[6:7], vcc
	s_cbranch_execz .LBB932_100
; %bb.97:                               ;   in Loop: Header=BB932_17 Depth=1
	v_and_b32_e32 v30, 0x7f, v28
	v_cmp_ne_u32_e32 vcc, s14, v30
	v_mov_b32_e32 v42, 0x7f80
	s_and_saveexec_b64 s[10:11], vcc
	s_cbranch_execz .LBB932_99
; %bb.98:                               ;   in Loop: Header=BB932_17 Depth=1
	v_and_b32_e32 v42, 7, v28
	v_ffbh_u32_e32 v52, v42
	v_min_u32_e32 v55, 32, v52
	v_subrev_u32_e32 v52, 28, v55
	v_lshlrev_b64 v[52:53], v52, v[28:29]
	v_lshrrev_b32_e32 v54, 3, v30
	v_sub_u32_e32 v28, 29, v55
	v_and_b32_e32 v52, 7, v52
	v_cmp_gt_u32_e32 vcc, 8, v30
	v_cndmask_b32_e32 v28, v54, v28, vcc
	v_cndmask_b32_e32 v30, v42, v52, vcc
	v_lshlrev_b32_e32 v42, 16, v26
	v_lshlrev_b32_e32 v30, 20, v30
	v_and_b32_e32 v42, 0x80000000, v42
	v_lshl_add_u32 v28, v28, 23, v38
	v_or3_b32 v28, v42, v28, v30
	v_lshrrev_b32_e32 v42, 16, v28
.LBB932_99:                             ;   in Loop: Header=BB932_17 Depth=1
	s_or_b64 exec, exec, s[10:11]
.LBB932_100:                            ;   in Loop: Header=BB932_17 Depth=1
	s_or_b64 exec, exec, s[6:7]
.LBB932_101:                            ;   in Loop: Header=BB932_17 Depth=1
	s_or_b64 exec, exec, s[4:5]
	v_lshrrev_b32_e32 v28, 16, v26
	v_cmp_ne_u16_sdwa s[6:7], v28, v35 src0_sel:BYTE_0 src1_sel:DWORD
	v_mov_b32_e32 v53, 0
	v_mov_b32_e32 v52, 0
	s_and_saveexec_b64 s[4:5], s[6:7]
	s_cbranch_execz .LBB932_107
; %bb.102:                              ;   in Loop: Header=BB932_17 Depth=1
	v_cmp_ne_u16_sdwa s[10:11], v28, s13 src0_sel:BYTE_0 src1_sel:DWORD
	v_mov_b32_e32 v52, 0xffff8000
	s_and_saveexec_b64 s[6:7], s[10:11]
	s_cbranch_execz .LBB932_106
; %bb.103:                              ;   in Loop: Header=BB932_17 Depth=1
	v_bfe_u32 v30, v26, 16, 7
	v_cmp_ne_u32_e32 vcc, s14, v30
	v_mov_b32_e32 v52, 0x7f80
	s_and_saveexec_b64 s[10:11], vcc
	s_cbranch_execz .LBB932_105
; %bb.104:                              ;   in Loop: Header=BB932_17 Depth=1
	v_and_b32_e32 v52, 7, v28
	v_ffbh_u32_e32 v54, v52
	v_min_u32_e32 v57, 32, v54
	v_subrev_u32_e32 v54, 28, v57
	v_lshlrev_b64 v[54:55], v54, v[28:29]
	v_lshrrev_b32_e32 v56, 3, v30
	v_sub_u32_e32 v55, 29, v57
	v_and_b32_e32 v54, 7, v54
	v_cmp_gt_u32_e32 vcc, 8, v30
	v_cndmask_b32_e32 v30, v56, v55, vcc
	v_cndmask_b32_e32 v52, v52, v54, vcc
	v_lshlrev_b32_e32 v28, 24, v28
	v_lshlrev_b32_e32 v52, 20, v52
	v_and_b32_e32 v28, 0x80000000, v28
	v_lshl_add_u32 v30, v30, 23, v38
	v_or3_b32 v28, v28, v30, v52
	v_lshrrev_b32_e32 v52, 16, v28
.LBB932_105:                            ;   in Loop: Header=BB932_17 Depth=1
	s_or_b64 exec, exec, s[10:11]
.LBB932_106:                            ;   in Loop: Header=BB932_17 Depth=1
	s_or_b64 exec, exec, s[6:7]
.LBB932_107:                            ;   in Loop: Header=BB932_17 Depth=1
	s_or_b64 exec, exec, s[4:5]
	v_cmp_lt_u32_e32 vcc, s15, v26
	s_and_saveexec_b64 s[4:5], vcc
	s_cbranch_execz .LBB932_113
; %bb.108:                              ;   in Loop: Header=BB932_17 Depth=1
	v_lshrrev_b32_e32 v28, 24, v26
	v_cmp_ne_u32_e32 vcc, s13, v28
	v_mov_b32_e32 v53, 0xffff8000
	s_and_saveexec_b64 s[6:7], vcc
	s_cbranch_execz .LBB932_112
; %bb.109:                              ;   in Loop: Header=BB932_17 Depth=1
	v_bfe_u32 v26, v26, 24, 7
	v_cmp_ne_u32_e32 vcc, s14, v26
	v_mov_b32_e32 v53, 0x7f80
	s_and_saveexec_b64 s[10:11], vcc
	s_cbranch_execz .LBB932_111
; %bb.110:                              ;   in Loop: Header=BB932_17 Depth=1
	v_and_b32_e32 v30, 7, v28
	v_ffbh_u32_e32 v54, v30
	v_min_u32_e32 v56, 32, v54
	v_subrev_u32_e32 v54, 28, v56
	v_lshlrev_b64 v[54:55], v54, v[28:29]
	v_lshrrev_b32_e32 v53, 3, v26
	v_sub_u32_e32 v55, 29, v56
	v_and_b32_e32 v54, 7, v54
	v_cmp_gt_u32_e32 vcc, 8, v26
	v_cndmask_b32_e32 v26, v53, v55, vcc
	v_cndmask_b32_e32 v30, v30, v54, vcc
	v_lshlrev_b32_e32 v28, 24, v28
	v_lshlrev_b32_e32 v30, 20, v30
	v_and_b32_e32 v28, 0x80000000, v28
	v_lshl_add_u32 v26, v26, 23, v38
	v_or3_b32 v26, v28, v26, v30
	v_lshrrev_b32_e32 v53, 16, v26
.LBB932_111:                            ;   in Loop: Header=BB932_17 Depth=1
	s_or_b64 exec, exec, s[10:11]
.LBB932_112:                            ;   in Loop: Header=BB932_17 Depth=1
	s_or_b64 exec, exec, s[6:7]
.LBB932_113:                            ;   in Loop: Header=BB932_17 Depth=1
	s_or_b64 exec, exec, s[4:5]
	v_perm_b32 v54, v23, v32, s16
	buffer_load_dword v32, v36, s[0:3], 0 offen offset:16
	buffer_load_dword v30, v36, s[0:3], 0 offen offset:20
	;; [unrolled: 1-line block ×4, first 2 shown]
	v_perm_b32 v55, v40, v34, s16
	v_perm_b32 v53, v53, v52, s16
	;; [unrolled: 1-line block ×3, first 2 shown]
	v_mfma_f32_16x16x16bf16_1k v[18:21], v[54:55], v[6:7], v[18:21]
	v_mov_b32_e32 v23, 0
	v_mov_b32_e32 v40, 0
	s_waitcnt vmcnt(3)
	v_cmp_ne_u16_sdwa s[6:7], v32, v35 src0_sel:BYTE_0 src1_sel:DWORD
	v_mfma_f32_16x16x16bf16_1k v[18:21], v[52:53], v[8:9], v[18:21]
	s_and_saveexec_b64 s[4:5], s[6:7]
	s_cbranch_execz .LBB932_119
; %bb.114:                              ;   in Loop: Header=BB932_17 Depth=1
	v_cmp_ne_u16_sdwa s[10:11], v32, s13 src0_sel:BYTE_0 src1_sel:DWORD
	v_mov_b32_e32 v40, 0xffff8000
	s_and_saveexec_b64 s[6:7], s[10:11]
	s_cbranch_execz .LBB932_118
; %bb.115:                              ;   in Loop: Header=BB932_17 Depth=1
	v_and_b32_e32 v34, 0x7f, v32
	v_cmp_ne_u32_e32 vcc, s14, v34
	v_mov_b32_e32 v40, 0x7f80
	s_and_saveexec_b64 s[10:11], vcc
	s_cbranch_execz .LBB932_117
; %bb.116:                              ;   in Loop: Header=BB932_17 Depth=1
	v_and_b32_e32 v40, 7, v32
	v_ffbh_u32_e32 v44, v40
	v_min_u32_e32 v44, 32, v44
	v_subrev_u32_e32 v52, 28, v44
	v_lshlrev_b64 v[52:53], v52, v[32:33]
	v_lshrrev_b32_e32 v42, 3, v34
	v_sub_u32_e32 v44, 29, v44
	v_and_b32_e32 v52, 7, v52
	v_cmp_gt_u32_e32 vcc, 8, v34
	v_cndmask_b32_e32 v34, v42, v44, vcc
	v_cndmask_b32_e32 v40, v40, v52, vcc
	v_lshlrev_b32_e32 v42, 24, v32
	v_lshlrev_b32_e32 v40, 20, v40
	v_and_b32_e32 v42, 0x80000000, v42
	v_lshl_add_u32 v34, v34, 23, v38
	v_or3_b32 v34, v42, v34, v40
	v_lshrrev_b32_e32 v40, 16, v34
.LBB932_117:                            ;   in Loop: Header=BB932_17 Depth=1
	s_or_b64 exec, exec, s[10:11]
.LBB932_118:                            ;   in Loop: Header=BB932_17 Depth=1
	s_or_b64 exec, exec, s[6:7]
.LBB932_119:                            ;   in Loop: Header=BB932_17 Depth=1
	s_or_b64 exec, exec, s[4:5]
	v_lshrrev_b16_e32 v34, 8, v32
	v_cmp_ne_u16_e32 vcc, 0, v34
	s_and_saveexec_b64 s[4:5], vcc
	s_cbranch_execz .LBB932_125
; %bb.120:                              ;   in Loop: Header=BB932_17 Depth=1
	v_cmp_ne_u16_e32 vcc, s13, v34
	v_mov_b32_e32 v23, 0xffff8000
	s_and_saveexec_b64 s[6:7], vcc
	s_cbranch_execz .LBB932_124
; %bb.121:                              ;   in Loop: Header=BB932_17 Depth=1
	v_and_b32_e32 v42, 0x7f, v34
	v_cmp_ne_u32_e32 vcc, s14, v42
	v_mov_b32_e32 v23, 0x7f80
	s_and_saveexec_b64 s[10:11], vcc
	s_cbranch_execz .LBB932_123
; %bb.122:                              ;   in Loop: Header=BB932_17 Depth=1
	v_and_b32_e32 v23, 7, v34
	v_ffbh_u32_e32 v52, v23
	v_min_u32_e32 v54, 32, v52
	v_subrev_u32_e32 v52, 28, v54
	v_lshlrev_b64 v[52:53], v52, v[34:35]
	v_lshrrev_b32_e32 v44, 3, v42
	v_sub_u32_e32 v34, 29, v54
	v_and_b32_e32 v52, 7, v52
	v_cmp_gt_u32_e32 vcc, 8, v42
	v_cndmask_b32_e32 v34, v44, v34, vcc
	v_cndmask_b32_e32 v23, v23, v52, vcc
	v_lshlrev_b32_e32 v42, 16, v32
	v_lshlrev_b32_e32 v23, 20, v23
	v_and_b32_e32 v42, 0x80000000, v42
	v_lshl_add_u32 v34, v34, 23, v38
	v_or3_b32 v23, v42, v34, v23
	v_lshrrev_b32_e32 v23, 16, v23
.LBB932_123:                            ;   in Loop: Header=BB932_17 Depth=1
	s_or_b64 exec, exec, s[10:11]
.LBB932_124:                            ;   in Loop: Header=BB932_17 Depth=1
	s_or_b64 exec, exec, s[6:7]
.LBB932_125:                            ;   in Loop: Header=BB932_17 Depth=1
	s_or_b64 exec, exec, s[4:5]
	v_lshrrev_b32_e32 v34, 16, v32
	v_cmp_ne_u16_sdwa s[6:7], v34, v35 src0_sel:BYTE_0 src1_sel:DWORD
	v_mov_b32_e32 v44, 0
	v_mov_b32_e32 v42, 0
	s_and_saveexec_b64 s[4:5], s[6:7]
	s_cbranch_execz .LBB932_131
; %bb.126:                              ;   in Loop: Header=BB932_17 Depth=1
	v_cmp_ne_u16_sdwa s[10:11], v34, s13 src0_sel:BYTE_0 src1_sel:DWORD
	v_mov_b32_e32 v42, 0xffff8000
	s_and_saveexec_b64 s[6:7], s[10:11]
	s_cbranch_execz .LBB932_130
; %bb.127:                              ;   in Loop: Header=BB932_17 Depth=1
	v_bfe_u32 v52, v32, 16, 7
	v_cmp_ne_u32_e32 vcc, s14, v52
	v_mov_b32_e32 v42, 0x7f80
	s_and_saveexec_b64 s[10:11], vcc
	s_cbranch_execz .LBB932_129
; %bb.128:                              ;   in Loop: Header=BB932_17 Depth=1
	v_and_b32_e32 v42, 7, v34
	v_ffbh_u32_e32 v54, v42
	v_min_u32_e32 v56, 32, v54
	v_subrev_u32_e32 v54, 28, v56
	v_lshlrev_b64 v[54:55], v54, v[34:35]
	v_lshrrev_b32_e32 v53, 3, v52
	v_sub_u32_e32 v55, 29, v56
	v_and_b32_e32 v54, 7, v54
	v_cmp_gt_u32_e32 vcc, 8, v52
	v_cndmask_b32_e32 v52, v53, v55, vcc
	v_cndmask_b32_e32 v42, v42, v54, vcc
	v_lshlrev_b32_e32 v34, 24, v34
	v_lshlrev_b32_e32 v42, 20, v42
	v_and_b32_e32 v34, 0x80000000, v34
	v_lshl_add_u32 v52, v52, 23, v38
	v_or3_b32 v34, v34, v52, v42
	v_lshrrev_b32_e32 v42, 16, v34
.LBB932_129:                            ;   in Loop: Header=BB932_17 Depth=1
	s_or_b64 exec, exec, s[10:11]
.LBB932_130:                            ;   in Loop: Header=BB932_17 Depth=1
	s_or_b64 exec, exec, s[6:7]
.LBB932_131:                            ;   in Loop: Header=BB932_17 Depth=1
	s_or_b64 exec, exec, s[4:5]
	v_cmp_lt_u32_e32 vcc, s15, v32
	s_and_saveexec_b64 s[4:5], vcc
	s_cbranch_execz .LBB932_137
; %bb.132:                              ;   in Loop: Header=BB932_17 Depth=1
	v_lshrrev_b32_e32 v34, 24, v32
	v_cmp_ne_u32_e32 vcc, s13, v34
	v_mov_b32_e32 v44, 0xffff8000
	s_and_saveexec_b64 s[6:7], vcc
	s_cbranch_execz .LBB932_136
; %bb.133:                              ;   in Loop: Header=BB932_17 Depth=1
	v_bfe_u32 v32, v32, 24, 7
	v_cmp_ne_u32_e32 vcc, s14, v32
	v_mov_b32_e32 v44, 0x7f80
	s_and_saveexec_b64 s[10:11], vcc
	s_cbranch_execz .LBB932_135
; %bb.134:                              ;   in Loop: Header=BB932_17 Depth=1
	v_and_b32_e32 v44, 7, v34
	v_ffbh_u32_e32 v52, v44
	v_min_u32_e32 v55, 32, v52
	v_subrev_u32_e32 v52, 28, v55
	v_lshlrev_b64 v[52:53], v52, v[34:35]
	v_lshrrev_b32_e32 v54, 3, v32
	v_sub_u32_e32 v53, 29, v55
	v_and_b32_e32 v52, 7, v52
	v_cmp_gt_u32_e32 vcc, 8, v32
	v_cndmask_b32_e32 v32, v54, v53, vcc
	v_cndmask_b32_e32 v44, v44, v52, vcc
	v_lshlrev_b32_e32 v34, 24, v34
	v_lshlrev_b32_e32 v44, 20, v44
	v_and_b32_e32 v34, 0x80000000, v34
	v_lshl_add_u32 v32, v32, 23, v38
	v_or3_b32 v32, v34, v32, v44
	v_lshrrev_b32_e32 v44, 16, v32
.LBB932_135:                            ;   in Loop: Header=BB932_17 Depth=1
	s_or_b64 exec, exec, s[10:11]
.LBB932_136:                            ;   in Loop: Header=BB932_17 Depth=1
	s_or_b64 exec, exec, s[6:7]
.LBB932_137:                            ;   in Loop: Header=BB932_17 Depth=1
	s_or_b64 exec, exec, s[4:5]
	s_waitcnt vmcnt(2)
	v_cmp_ne_u16_sdwa s[6:7], v30, v35 src0_sel:BYTE_0 src1_sel:DWORD
	v_mov_b32_e32 v34, 0
	v_mov_b32_e32 v52, 0
	s_and_saveexec_b64 s[4:5], s[6:7]
	s_cbranch_execz .LBB932_143
; %bb.138:                              ;   in Loop: Header=BB932_17 Depth=1
	v_cmp_ne_u16_sdwa s[10:11], v30, s13 src0_sel:BYTE_0 src1_sel:DWORD
	v_mov_b32_e32 v52, 0xffff8000
	s_and_saveexec_b64 s[6:7], s[10:11]
	s_cbranch_execz .LBB932_142
; %bb.139:                              ;   in Loop: Header=BB932_17 Depth=1
	v_and_b32_e32 v32, 0x7f, v30
	v_cmp_ne_u32_e32 vcc, s14, v32
	v_mov_b32_e32 v52, 0x7f80
	s_and_saveexec_b64 s[10:11], vcc
	s_cbranch_execz .LBB932_141
; %bb.140:                              ;   in Loop: Header=BB932_17 Depth=1
	v_and_b32_e32 v54, 7, v30
	v_ffbh_u32_e32 v52, v54
	v_min_u32_e32 v56, 32, v52
	v_subrev_u32_e32 v52, 28, v56
	v_lshlrev_b64 v[52:53], v52, v[30:31]
	v_lshrrev_b32_e32 v55, 3, v32
	v_sub_u32_e32 v53, 29, v56
	v_and_b32_e32 v52, 7, v52
	v_cmp_gt_u32_e32 vcc, 8, v32
	v_cndmask_b32_e32 v32, v55, v53, vcc
	v_cndmask_b32_e32 v52, v54, v52, vcc
	v_lshlrev_b32_e32 v53, 24, v30
	v_lshlrev_b32_e32 v52, 20, v52
	v_and_b32_e32 v53, 0x80000000, v53
	v_lshl_add_u32 v32, v32, 23, v38
	v_or3_b32 v32, v53, v32, v52
	v_lshrrev_b32_e32 v52, 16, v32
.LBB932_141:                            ;   in Loop: Header=BB932_17 Depth=1
	s_or_b64 exec, exec, s[10:11]
.LBB932_142:                            ;   in Loop: Header=BB932_17 Depth=1
	s_or_b64 exec, exec, s[6:7]
.LBB932_143:                            ;   in Loop: Header=BB932_17 Depth=1
	s_or_b64 exec, exec, s[4:5]
	v_lshrrev_b16_e32 v32, 8, v30
	v_cmp_ne_u16_e32 vcc, 0, v32
	s_and_saveexec_b64 s[4:5], vcc
	s_cbranch_execz .LBB932_149
; %bb.144:                              ;   in Loop: Header=BB932_17 Depth=1
	v_cmp_ne_u16_e32 vcc, s13, v32
	v_mov_b32_e32 v34, 0xffff8000
	s_and_saveexec_b64 s[6:7], vcc
	s_cbranch_execz .LBB932_148
; %bb.145:                              ;   in Loop: Header=BB932_17 Depth=1
	v_and_b32_e32 v53, 0x7f, v32
	v_cmp_ne_u32_e32 vcc, s14, v53
	v_mov_b32_e32 v34, 0x7f80
	s_and_saveexec_b64 s[10:11], vcc
	s_cbranch_execz .LBB932_147
; %bb.146:                              ;   in Loop: Header=BB932_17 Depth=1
	v_and_b32_e32 v34, 7, v32
	v_ffbh_u32_e32 v54, v34
	v_min_u32_e32 v57, 32, v54
	v_subrev_u32_e32 v54, 28, v57
	v_lshlrev_b64 v[54:55], v54, v[32:33]
	v_lshrrev_b32_e32 v56, 3, v53
	v_sub_u32_e32 v32, 29, v57
	v_and_b32_e32 v54, 7, v54
	v_cmp_gt_u32_e32 vcc, 8, v53
	v_cndmask_b32_e32 v32, v56, v32, vcc
	v_cndmask_b32_e32 v34, v34, v54, vcc
	v_lshlrev_b32_e32 v53, 16, v30
	v_lshlrev_b32_e32 v34, 20, v34
	v_and_b32_e32 v53, 0x80000000, v53
	v_lshl_add_u32 v32, v32, 23, v38
	v_or3_b32 v32, v53, v32, v34
	v_lshrrev_b32_e32 v34, 16, v32
.LBB932_147:                            ;   in Loop: Header=BB932_17 Depth=1
	s_or_b64 exec, exec, s[10:11]
.LBB932_148:                            ;   in Loop: Header=BB932_17 Depth=1
	s_or_b64 exec, exec, s[6:7]
.LBB932_149:                            ;   in Loop: Header=BB932_17 Depth=1
	s_or_b64 exec, exec, s[4:5]
	v_lshrrev_b32_e32 v32, 16, v30
	v_cmp_ne_u16_sdwa s[6:7], v32, v35 src0_sel:BYTE_0 src1_sel:DWORD
	v_mov_b32_e32 v54, 0
	v_mov_b32_e32 v53, 0
	s_and_saveexec_b64 s[4:5], s[6:7]
	s_cbranch_execz .LBB932_155
; %bb.150:                              ;   in Loop: Header=BB932_17 Depth=1
	v_cmp_ne_u16_sdwa s[10:11], v32, s13 src0_sel:BYTE_0 src1_sel:DWORD
	v_mov_b32_e32 v53, 0xffff8000
	s_and_saveexec_b64 s[6:7], s[10:11]
	s_cbranch_execz .LBB932_154
; %bb.151:                              ;   in Loop: Header=BB932_17 Depth=1
	v_bfe_u32 v55, v30, 16, 7
	v_cmp_ne_u32_e32 vcc, s14, v55
	v_mov_b32_e32 v53, 0x7f80
	s_and_saveexec_b64 s[10:11], vcc
	s_cbranch_execz .LBB932_153
; %bb.152:                              ;   in Loop: Header=BB932_17 Depth=1
	v_and_b32_e32 v53, 7, v32
	v_ffbh_u32_e32 v56, v53
	v_min_u32_e32 v59, 32, v56
	v_subrev_u32_e32 v56, 28, v59
	v_lshlrev_b64 v[56:57], v56, v[32:33]
	v_lshrrev_b32_e32 v58, 3, v55
	v_sub_u32_e32 v57, 29, v59
	v_and_b32_e32 v56, 7, v56
	v_cmp_gt_u32_e32 vcc, 8, v55
	v_cndmask_b32_e32 v55, v58, v57, vcc
	v_cndmask_b32_e32 v53, v53, v56, vcc
	v_lshlrev_b32_e32 v32, 24, v32
	v_lshlrev_b32_e32 v53, 20, v53
	v_and_b32_e32 v32, 0x80000000, v32
	v_lshl_add_u32 v55, v55, 23, v38
	v_or3_b32 v32, v32, v55, v53
	v_lshrrev_b32_e32 v53, 16, v32
.LBB932_153:                            ;   in Loop: Header=BB932_17 Depth=1
	s_or_b64 exec, exec, s[10:11]
.LBB932_154:                            ;   in Loop: Header=BB932_17 Depth=1
	s_or_b64 exec, exec, s[6:7]
.LBB932_155:                            ;   in Loop: Header=BB932_17 Depth=1
	s_or_b64 exec, exec, s[4:5]
	v_cmp_lt_u32_e32 vcc, s15, v30
	s_and_saveexec_b64 s[4:5], vcc
	s_cbranch_execz .LBB932_161
; %bb.156:                              ;   in Loop: Header=BB932_17 Depth=1
	v_lshrrev_b32_e32 v32, 24, v30
	v_cmp_ne_u32_e32 vcc, s13, v32
	v_mov_b32_e32 v54, 0xffff8000
	s_and_saveexec_b64 s[6:7], vcc
	s_cbranch_execz .LBB932_160
; %bb.157:                              ;   in Loop: Header=BB932_17 Depth=1
	v_bfe_u32 v30, v30, 24, 7
	v_cmp_ne_u32_e32 vcc, s14, v30
	v_mov_b32_e32 v54, 0x7f80
	s_and_saveexec_b64 s[10:11], vcc
	s_cbranch_execz .LBB932_159
; %bb.158:                              ;   in Loop: Header=BB932_17 Depth=1
	v_and_b32_e32 v56, 7, v32
	v_ffbh_u32_e32 v54, v56
	v_min_u32_e32 v58, 32, v54
	v_subrev_u32_e32 v54, 28, v58
	v_lshlrev_b64 v[54:55], v54, v[32:33]
	v_lshrrev_b32_e32 v57, 3, v30
	v_sub_u32_e32 v55, 29, v58
	v_and_b32_e32 v54, 7, v54
	v_cmp_gt_u32_e32 vcc, 8, v30
	v_cndmask_b32_e32 v30, v57, v55, vcc
	v_cndmask_b32_e32 v54, v56, v54, vcc
	v_lshlrev_b32_e32 v32, 24, v32
	v_lshlrev_b32_e32 v54, 20, v54
	v_and_b32_e32 v32, 0x80000000, v32
	v_lshl_add_u32 v30, v30, 23, v38
	v_or3_b32 v30, v32, v30, v54
	v_lshrrev_b32_e32 v54, 16, v30
.LBB932_159:                            ;   in Loop: Header=BB932_17 Depth=1
	s_or_b64 exec, exec, s[10:11]
.LBB932_160:                            ;   in Loop: Header=BB932_17 Depth=1
	s_or_b64 exec, exec, s[6:7]
.LBB932_161:                            ;   in Loop: Header=BB932_17 Depth=1
	s_or_b64 exec, exec, s[4:5]
	v_perm_b32 v57, v44, v42, s16
	v_perm_b32 v56, v23, v40, s16
	;; [unrolled: 1-line block ×4, first 2 shown]
	s_waitcnt vmcnt(1)
	v_cmp_ne_u16_sdwa s[6:7], v28, v35 src0_sel:BYTE_0 src1_sel:DWORD
	v_mfma_f32_16x16x16bf16_1k v[18:21], v[56:57], v[10:11], v[18:21]
	v_mov_b32_e32 v23, 0
	v_mov_b32_e32 v32, 0
	v_mfma_f32_16x16x16bf16_1k v[18:21], v[52:53], v[12:13], v[18:21]
	s_and_saveexec_b64 s[4:5], s[6:7]
	s_cbranch_execz .LBB932_167
; %bb.162:                              ;   in Loop: Header=BB932_17 Depth=1
	v_cmp_ne_u16_sdwa s[10:11], v28, s13 src0_sel:BYTE_0 src1_sel:DWORD
	v_mov_b32_e32 v32, 0xffff8000
	s_and_saveexec_b64 s[6:7], s[10:11]
	s_cbranch_execz .LBB932_166
; %bb.163:                              ;   in Loop: Header=BB932_17 Depth=1
	v_and_b32_e32 v30, 0x7f, v28
	v_cmp_ne_u32_e32 vcc, s14, v30
	v_mov_b32_e32 v32, 0x7f80
	s_and_saveexec_b64 s[10:11], vcc
	s_cbranch_execz .LBB932_165
; %bb.164:                              ;   in Loop: Header=BB932_17 Depth=1
	v_and_b32_e32 v32, 7, v28
	v_ffbh_u32_e32 v40, v32
	v_min_u32_e32 v40, 32, v40
	v_subrev_u32_e32 v42, 28, v40
	v_lshlrev_b64 v[52:53], v42, v[28:29]
	v_lshrrev_b32_e32 v34, 3, v30
	v_sub_u32_e32 v40, 29, v40
	v_and_b32_e32 v42, 7, v52
	v_cmp_gt_u32_e32 vcc, 8, v30
	v_cndmask_b32_e32 v30, v34, v40, vcc
	v_cndmask_b32_e32 v32, v32, v42, vcc
	v_lshlrev_b32_e32 v34, 24, v28
	v_lshlrev_b32_e32 v32, 20, v32
	v_and_b32_e32 v34, 0x80000000, v34
	v_lshl_add_u32 v30, v30, 23, v38
	v_or3_b32 v30, v34, v30, v32
	v_lshrrev_b32_e32 v32, 16, v30
.LBB932_165:                            ;   in Loop: Header=BB932_17 Depth=1
	s_or_b64 exec, exec, s[10:11]
.LBB932_166:                            ;   in Loop: Header=BB932_17 Depth=1
	s_or_b64 exec, exec, s[6:7]
.LBB932_167:                            ;   in Loop: Header=BB932_17 Depth=1
	s_or_b64 exec, exec, s[4:5]
	v_lshrrev_b16_e32 v30, 8, v28
	v_cmp_ne_u16_e32 vcc, 0, v30
	s_and_saveexec_b64 s[4:5], vcc
	s_cbranch_execz .LBB932_173
; %bb.168:                              ;   in Loop: Header=BB932_17 Depth=1
	v_cmp_ne_u16_e32 vcc, s13, v30
	v_mov_b32_e32 v23, 0xffff8000
	s_and_saveexec_b64 s[6:7], vcc
	s_cbranch_execz .LBB932_172
; %bb.169:                              ;   in Loop: Header=BB932_17 Depth=1
	v_and_b32_e32 v34, 0x7f, v30
	v_cmp_ne_u32_e32 vcc, s14, v34
	v_mov_b32_e32 v23, 0x7f80
	s_and_saveexec_b64 s[10:11], vcc
	s_cbranch_execz .LBB932_171
; %bb.170:                              ;   in Loop: Header=BB932_17 Depth=1
	v_and_b32_e32 v23, 7, v30
	v_ffbh_u32_e32 v42, v23
	v_min_u32_e32 v42, 32, v42
	v_subrev_u32_e32 v44, 28, v42
	v_lshlrev_b64 v[52:53], v44, v[30:31]
	v_lshrrev_b32_e32 v40, 3, v34
	v_sub_u32_e32 v30, 29, v42
	v_and_b32_e32 v42, 7, v52
	v_cmp_gt_u32_e32 vcc, 8, v34
	v_cndmask_b32_e32 v30, v40, v30, vcc
	v_cndmask_b32_e32 v23, v23, v42, vcc
	v_lshlrev_b32_e32 v34, 16, v28
	v_lshlrev_b32_e32 v23, 20, v23
	v_and_b32_e32 v34, 0x80000000, v34
	v_lshl_add_u32 v30, v30, 23, v38
	v_or3_b32 v23, v34, v30, v23
	v_lshrrev_b32_e32 v23, 16, v23
.LBB932_171:                            ;   in Loop: Header=BB932_17 Depth=1
	s_or_b64 exec, exec, s[10:11]
.LBB932_172:                            ;   in Loop: Header=BB932_17 Depth=1
	s_or_b64 exec, exec, s[6:7]
.LBB932_173:                            ;   in Loop: Header=BB932_17 Depth=1
	s_or_b64 exec, exec, s[4:5]
	v_lshrrev_b32_e32 v30, 16, v28
	v_cmp_ne_u16_sdwa s[6:7], v30, v35 src0_sel:BYTE_0 src1_sel:DWORD
	v_mov_b32_e32 v40, 0
	v_mov_b32_e32 v34, 0
	s_and_saveexec_b64 s[4:5], s[6:7]
	s_cbranch_execz .LBB932_179
; %bb.174:                              ;   in Loop: Header=BB932_17 Depth=1
	v_cmp_ne_u16_sdwa s[10:11], v30, s13 src0_sel:BYTE_0 src1_sel:DWORD
	v_mov_b32_e32 v34, 0xffff8000
	s_and_saveexec_b64 s[6:7], s[10:11]
	s_cbranch_execz .LBB932_178
; %bb.175:                              ;   in Loop: Header=BB932_17 Depth=1
	v_bfe_u32 v42, v28, 16, 7
	v_cmp_ne_u32_e32 vcc, s14, v42
	v_mov_b32_e32 v34, 0x7f80
	s_and_saveexec_b64 s[10:11], vcc
	s_cbranch_execz .LBB932_177
; %bb.176:                              ;   in Loop: Header=BB932_17 Depth=1
	v_and_b32_e32 v34, 7, v30
	v_ffbh_u32_e32 v52, v34
	v_min_u32_e32 v54, 32, v52
	v_subrev_u32_e32 v52, 28, v54
	v_lshlrev_b64 v[52:53], v52, v[30:31]
	v_lshrrev_b32_e32 v44, 3, v42
	v_sub_u32_e32 v53, 29, v54
	v_and_b32_e32 v52, 7, v52
	v_cmp_gt_u32_e32 vcc, 8, v42
	v_cndmask_b32_e32 v42, v44, v53, vcc
	v_cndmask_b32_e32 v34, v34, v52, vcc
	v_lshlrev_b32_e32 v30, 24, v30
	v_lshlrev_b32_e32 v34, 20, v34
	v_and_b32_e32 v30, 0x80000000, v30
	v_lshl_add_u32 v42, v42, 23, v38
	v_or3_b32 v30, v30, v42, v34
	v_lshrrev_b32_e32 v34, 16, v30
.LBB932_177:                            ;   in Loop: Header=BB932_17 Depth=1
	s_or_b64 exec, exec, s[10:11]
.LBB932_178:                            ;   in Loop: Header=BB932_17 Depth=1
	s_or_b64 exec, exec, s[6:7]
.LBB932_179:                            ;   in Loop: Header=BB932_17 Depth=1
	s_or_b64 exec, exec, s[4:5]
	v_cmp_lt_u32_e32 vcc, s15, v28
	s_and_saveexec_b64 s[4:5], vcc
	s_cbranch_execz .LBB932_185
; %bb.180:                              ;   in Loop: Header=BB932_17 Depth=1
	v_lshrrev_b32_e32 v30, 24, v28
	v_cmp_ne_u32_e32 vcc, s13, v30
	v_mov_b32_e32 v40, 0xffff8000
	s_and_saveexec_b64 s[6:7], vcc
	s_cbranch_execz .LBB932_184
; %bb.181:                              ;   in Loop: Header=BB932_17 Depth=1
	v_bfe_u32 v28, v28, 24, 7
	v_cmp_ne_u32_e32 vcc, s14, v28
	v_mov_b32_e32 v40, 0x7f80
	s_and_saveexec_b64 s[10:11], vcc
	s_cbranch_execz .LBB932_183
; %bb.182:                              ;   in Loop: Header=BB932_17 Depth=1
	v_and_b32_e32 v40, 7, v30
	v_ffbh_u32_e32 v44, v40
	v_min_u32_e32 v44, 32, v44
	v_subrev_u32_e32 v52, 28, v44
	v_lshlrev_b64 v[52:53], v52, v[30:31]
	v_lshrrev_b32_e32 v42, 3, v28
	v_sub_u32_e32 v44, 29, v44
	v_and_b32_e32 v52, 7, v52
	v_cmp_gt_u32_e32 vcc, 8, v28
	v_cndmask_b32_e32 v28, v42, v44, vcc
	v_cndmask_b32_e32 v40, v40, v52, vcc
	v_lshlrev_b32_e32 v30, 24, v30
	v_lshlrev_b32_e32 v40, 20, v40
	v_and_b32_e32 v30, 0x80000000, v30
	v_lshl_add_u32 v28, v28, 23, v38
	v_or3_b32 v28, v30, v28, v40
	v_lshrrev_b32_e32 v40, 16, v28
.LBB932_183:                            ;   in Loop: Header=BB932_17 Depth=1
	s_or_b64 exec, exec, s[10:11]
.LBB932_184:                            ;   in Loop: Header=BB932_17 Depth=1
	s_or_b64 exec, exec, s[6:7]
.LBB932_185:                            ;   in Loop: Header=BB932_17 Depth=1
	s_or_b64 exec, exec, s[4:5]
	s_waitcnt vmcnt(0)
	v_cmp_ne_u16_sdwa s[6:7], v26, v35 src0_sel:BYTE_0 src1_sel:DWORD
	v_mov_b32_e32 v30, 0
	v_mov_b32_e32 v42, 0
	s_and_saveexec_b64 s[4:5], s[6:7]
	s_cbranch_execz .LBB932_191
; %bb.186:                              ;   in Loop: Header=BB932_17 Depth=1
	v_cmp_ne_u16_sdwa s[10:11], v26, s13 src0_sel:BYTE_0 src1_sel:DWORD
	v_mov_b32_e32 v42, 0xffff8000
	s_and_saveexec_b64 s[6:7], s[10:11]
	s_cbranch_execz .LBB932_190
; %bb.187:                              ;   in Loop: Header=BB932_17 Depth=1
	v_and_b32_e32 v28, 0x7f, v26
	v_cmp_ne_u32_e32 vcc, s14, v28
	v_mov_b32_e32 v42, 0x7f80
	s_and_saveexec_b64 s[10:11], vcc
	s_cbranch_execz .LBB932_189
; %bb.188:                              ;   in Loop: Header=BB932_17 Depth=1
	v_and_b32_e32 v42, 7, v26
	v_ffbh_u32_e32 v52, v42
	v_min_u32_e32 v54, 32, v52
	v_subrev_u32_e32 v52, 28, v54
	v_lshlrev_b64 v[52:53], v52, v[26:27]
	v_lshrrev_b32_e32 v44, 3, v28
	v_sub_u32_e32 v53, 29, v54
	v_and_b32_e32 v52, 7, v52
	v_cmp_gt_u32_e32 vcc, 8, v28
	v_cndmask_b32_e32 v28, v44, v53, vcc
	v_cndmask_b32_e32 v42, v42, v52, vcc
	v_lshlrev_b32_e32 v44, 24, v26
	v_lshlrev_b32_e32 v42, 20, v42
	v_and_b32_e32 v44, 0x80000000, v44
	v_lshl_add_u32 v28, v28, 23, v38
	v_or3_b32 v28, v44, v28, v42
	v_lshrrev_b32_e32 v42, 16, v28
.LBB932_189:                            ;   in Loop: Header=BB932_17 Depth=1
	s_or_b64 exec, exec, s[10:11]
.LBB932_190:                            ;   in Loop: Header=BB932_17 Depth=1
	s_or_b64 exec, exec, s[6:7]
.LBB932_191:                            ;   in Loop: Header=BB932_17 Depth=1
	s_or_b64 exec, exec, s[4:5]
	v_lshrrev_b16_e32 v28, 8, v26
	v_cmp_ne_u16_e32 vcc, 0, v28
	s_and_saveexec_b64 s[4:5], vcc
	s_cbranch_execz .LBB932_197
; %bb.192:                              ;   in Loop: Header=BB932_17 Depth=1
	v_cmp_ne_u16_e32 vcc, s13, v28
	v_mov_b32_e32 v30, 0xffff8000
	s_and_saveexec_b64 s[6:7], vcc
	s_cbranch_execz .LBB932_196
; %bb.193:                              ;   in Loop: Header=BB932_17 Depth=1
	v_and_b32_e32 v44, 0x7f, v28
	v_cmp_ne_u32_e32 vcc, s14, v44
	v_mov_b32_e32 v30, 0x7f80
	s_and_saveexec_b64 s[10:11], vcc
	s_cbranch_execz .LBB932_195
; %bb.194:                              ;   in Loop: Header=BB932_17 Depth=1
	v_and_b32_e32 v30, 7, v28
	v_ffbh_u32_e32 v52, v30
	v_min_u32_e32 v55, 32, v52
	v_subrev_u32_e32 v52, 28, v55
	v_lshlrev_b64 v[52:53], v52, v[28:29]
	v_lshrrev_b32_e32 v54, 3, v44
	v_sub_u32_e32 v28, 29, v55
	v_and_b32_e32 v52, 7, v52
	v_cmp_gt_u32_e32 vcc, 8, v44
	v_cndmask_b32_e32 v28, v54, v28, vcc
	v_cndmask_b32_e32 v30, v30, v52, vcc
	v_lshlrev_b32_e32 v44, 16, v26
	v_lshlrev_b32_e32 v30, 20, v30
	v_and_b32_e32 v44, 0x80000000, v44
	v_lshl_add_u32 v28, v28, 23, v38
	v_or3_b32 v28, v44, v28, v30
	v_lshrrev_b32_e32 v30, 16, v28
.LBB932_195:                            ;   in Loop: Header=BB932_17 Depth=1
	s_or_b64 exec, exec, s[10:11]
.LBB932_196:                            ;   in Loop: Header=BB932_17 Depth=1
	s_or_b64 exec, exec, s[6:7]
.LBB932_197:                            ;   in Loop: Header=BB932_17 Depth=1
	s_or_b64 exec, exec, s[4:5]
	v_lshrrev_b32_e32 v28, 16, v26
	v_cmp_ne_u16_sdwa s[6:7], v28, v35 src0_sel:BYTE_0 src1_sel:DWORD
	v_mov_b32_e32 v52, 0
	v_mov_b32_e32 v44, 0
	s_and_saveexec_b64 s[4:5], s[6:7]
	s_cbranch_execz .LBB932_203
; %bb.198:                              ;   in Loop: Header=BB932_17 Depth=1
	v_cmp_ne_u16_sdwa s[10:11], v28, s13 src0_sel:BYTE_0 src1_sel:DWORD
	v_mov_b32_e32 v44, 0xffff8000
	s_and_saveexec_b64 s[6:7], s[10:11]
	s_cbranch_execz .LBB932_202
; %bb.199:                              ;   in Loop: Header=BB932_17 Depth=1
	v_bfe_u32 v53, v26, 16, 7
	v_cmp_ne_u32_e32 vcc, s14, v53
	v_mov_b32_e32 v44, 0x7f80
	s_and_saveexec_b64 s[10:11], vcc
	s_cbranch_execz .LBB932_201
; %bb.200:                              ;   in Loop: Header=BB932_17 Depth=1
	v_and_b32_e32 v44, 7, v28
	v_ffbh_u32_e32 v54, v44
	v_min_u32_e32 v57, 32, v54
	v_subrev_u32_e32 v54, 28, v57
	v_lshlrev_b64 v[54:55], v54, v[28:29]
	v_lshrrev_b32_e32 v56, 3, v53
	v_sub_u32_e32 v55, 29, v57
	v_and_b32_e32 v54, 7, v54
	v_cmp_gt_u32_e32 vcc, 8, v53
	v_cndmask_b32_e32 v53, v56, v55, vcc
	v_cndmask_b32_e32 v44, v44, v54, vcc
	v_lshlrev_b32_e32 v28, 24, v28
	v_lshlrev_b32_e32 v44, 20, v44
	v_and_b32_e32 v28, 0x80000000, v28
	v_lshl_add_u32 v53, v53, 23, v38
	v_or3_b32 v28, v28, v53, v44
	v_lshrrev_b32_e32 v44, 16, v28
.LBB932_201:                            ;   in Loop: Header=BB932_17 Depth=1
	s_or_b64 exec, exec, s[10:11]
.LBB932_202:                            ;   in Loop: Header=BB932_17 Depth=1
	s_or_b64 exec, exec, s[6:7]
.LBB932_203:                            ;   in Loop: Header=BB932_17 Depth=1
	s_or_b64 exec, exec, s[4:5]
	v_cmp_lt_u32_e32 vcc, s15, v26
	s_and_saveexec_b64 s[4:5], vcc
	s_cbranch_execz .LBB932_16
; %bb.204:                              ;   in Loop: Header=BB932_17 Depth=1
	v_lshrrev_b32_e32 v28, 24, v26
	v_cmp_ne_u32_e32 vcc, s13, v28
	v_mov_b32_e32 v52, 0xffff8000
	s_and_saveexec_b64 s[6:7], vcc
	s_cbranch_execz .LBB932_15
; %bb.205:                              ;   in Loop: Header=BB932_17 Depth=1
	v_bfe_u32 v26, v26, 24, 7
	v_cmp_ne_u32_e32 vcc, s14, v26
	v_mov_b32_e32 v52, 0x7f80
	s_and_saveexec_b64 s[10:11], vcc
	s_cbranch_execz .LBB932_14
; %bb.206:                              ;   in Loop: Header=BB932_17 Depth=1
	v_and_b32_e32 v54, 7, v28
	v_ffbh_u32_e32 v52, v54
	v_min_u32_e32 v56, 32, v52
	v_subrev_u32_e32 v52, 28, v56
	v_lshlrev_b64 v[52:53], v52, v[28:29]
	v_lshrrev_b32_e32 v55, 3, v26
	v_sub_u32_e32 v53, 29, v56
	v_and_b32_e32 v52, 7, v52
	v_cmp_gt_u32_e32 vcc, 8, v26
	v_cndmask_b32_e32 v26, v55, v53, vcc
	v_cndmask_b32_e32 v52, v54, v52, vcc
	v_lshlrev_b32_e32 v28, 24, v28
	v_lshlrev_b32_e32 v52, 20, v52
	v_and_b32_e32 v28, 0x80000000, v28
	v_lshl_add_u32 v26, v26, 23, v38
	v_or3_b32 v26, v28, v26, v52
	v_lshrrev_b32_e32 v52, 16, v26
	s_branch .LBB932_14
.LBB932_207:
	buffer_load_dword v17, off, s[0:3], 0 offset:256
	buffer_load_dword v16, off, s[0:3], 0 offset:260
	;; [unrolled: 1-line block ×16, first 2 shown]
	v_and_b32_e32 v18, 0xc0, v0
	v_add_u32_e32 v18, s20, v18
	v_lshl_or_b32 v18, v1, 2, v18
	v_or_b32_e32 v20, 1, v18
	v_subrev_u32_e32 v24, s33, v20
	v_add_u32_e32 v26, 1, v24
	v_cvt_f32_i32_e32 v25, v24
	v_add_u32_e32 v28, 2, v24
	v_add_u32_e32 v30, 3, v24
	v_add_u32_e32 v32, 16, v24
	v_add_u32_e32 v34, 17, v24
	v_add_u32_e32 v35, 18, v24
	v_add_u32_e32 v36, 19, v24
	v_add_u32_e32 v37, 32, v24
	v_add_u32_e32 v38, 33, v24
	v_add_u32_e32 v40, 34, v24
	v_add_u32_e32 v42, 35, v24
	v_add_u32_e32 v44, 48, v24
	v_add_u32_e32 v52, 49, v24
	v_add_u32_e32 v53, 50, v24
	v_add_u32_e32 v24, 51, v24
	v_cvt_f32_i32_e32 v26, v26
	v_cvt_f32_i32_e32 v28, v28
	v_cvt_f32_i32_e32 v30, v30
	v_cvt_f32_i32_e32 v24, v24
	v_mov_b32_e32 v19, 0xff7fffff
	v_or_b32_e32 v21, 2, v18
	v_or_b32_e32 v22, 3, v18
	v_cvt_f32_i32_e32 v32, v32
	v_cvt_f32_i32_e32 v34, v34
	v_cmp_gt_i32_e64 s[28:29], s33, v18
	v_cmp_gt_i32_e64 s[30:31], s33, v20
	s_mov_b32 s52, 0xff7fffff
	v_cmp_gt_i32_e64 s[34:35], s33, v21
	v_cmp_gt_i32_e64 s[36:37], s33, v22
	v_or_b32_e32 v23, 16, v18
	v_cvt_f32_i32_e32 v35, v35
	v_cvt_f32_i32_e32 v36, v36
	v_cmp_gt_i32_e64 s[24:25], s33, v23
	v_cvt_f32_i32_e32 v37, v37
	v_cvt_f32_i32_e32 v38, v38
	;; [unrolled: 1-line block ×7, first 2 shown]
	s_waitcnt vmcnt(15)
	v_fmac_f32_e32 v17, v31, v25
	s_waitcnt vmcnt(14)
	v_fmac_f32_e32 v16, v31, v26
	;; [unrolled: 2-line block ×4, first 2 shown]
	v_cndmask_b32_e64 v20, v19, v16, s[30:31]
	v_cndmask_b32_e64 v21, v19, v15, s[34:35]
	;; [unrolled: 1-line block ×3, first 2 shown]
	s_waitcnt vmcnt(11)
	v_fmac_f32_e32 v13, v31, v32
	s_waitcnt vmcnt(10)
	v_fmac_f32_e32 v12, v31, v34
	;; [unrolled: 2-line block ×9, first 2 shown]
	v_cndmask_b32_e64 v24, v19, v17, s[28:29]
	v_max3_f32 v20, v24, s52, v20
	v_max3_f32 v20, v20, v21, v22
	v_or_b32_e32 v22, 17, v18
	v_cmp_gt_i32_e64 s[38:39], s33, v22
	v_cndmask_b32_e64 v21, v19, v13, s[24:25]
	v_cndmask_b32_e64 v22, v19, v12, s[38:39]
	v_max3_f32 v20, v20, v21, v22
	v_or_b32_e32 v21, 18, v18
	v_or_b32_e32 v22, 19, v18
	v_cmp_gt_i32_e64 s[20:21], s33, v21
	v_cmp_gt_i32_e64 s[22:23], s33, v22
	v_cndmask_b32_e64 v21, v19, v11, s[20:21]
	v_cndmask_b32_e64 v22, v19, v10, s[22:23]
	v_max3_f32 v20, v20, v21, v22
	v_or_b32_e32 v21, 32, v18
	v_or_b32_e32 v22, 33, v18
	v_cmp_gt_i32_e64 s[16:17], s33, v21
	;; [unrolled: 7-line block ×3, first 2 shown]
	v_cmp_gt_i32_e64 s[14:15], s33, v22
	v_cndmask_b32_e64 v21, v19, v7, s[12:13]
	v_cndmask_b32_e64 v22, v19, v6, s[14:15]
	v_max3_f32 v20, v20, v21, v22
	v_or_b32_e32 v21, 48, v18
	v_or_b32_e32 v22, 49, v18
	v_fmac_f32_e32 v5, v31, v44
	v_fmac_f32_e32 v4, v31, v52
	v_cmp_gt_i32_e64 s[6:7], s33, v21
	v_cmp_gt_i32_e64 s[10:11], s33, v22
	v_cndmask_b32_e64 v21, v19, v5, s[6:7]
	v_cndmask_b32_e64 v22, v19, v4, s[10:11]
	v_max3_f32 v20, v20, v21, v22
	v_or_b32_e32 v21, 50, v18
	v_or_b32_e32 v18, 51, v18
	v_fmac_f32_e32 v3, v31, v53
	v_cmp_gt_i32_e32 vcc, s33, v21
	v_cmp_gt_i32_e64 s[4:5], s33, v18
	v_cndmask_b32_e32 v21, v19, v3, vcc
	v_cndmask_b32_e64 v18, v19, v2, s[4:5]
	v_mbcnt_lo_u32_b32 v19, -1, 0
	v_mbcnt_hi_u32_b32 v19, -1, v19
	v_max3_f32 v18, v20, v21, v18
	v_and_b32_e32 v20, 64, v19
	v_add_u32_e32 v20, 64, v20
	v_xor_b32_e32 v21, 32, v19
	v_cmp_lt_i32_e64 s[40:41], v21, v20
	v_cndmask_b32_e64 v21, v19, v21, s[40:41]
	v_lshlrev_b32_e32 v21, 2, v21
	ds_bpermute_b32 v22, v21, v18
	s_waitcnt lgkmcnt(0)
	v_max_f32_e32 v22, v22, v22
	v_max_f32_e32 v18, v18, v22
	v_xor_b32_e32 v22, 16, v19
	v_cmp_lt_i32_e64 s[40:41], v22, v20
	v_cndmask_b32_e64 v19, v19, v22, s[40:41]
	v_lshlrev_b32_e32 v19, 2, v19
	ds_bpermute_b32 v20, v19, v18
	s_waitcnt lgkmcnt(0)
	v_max_f32_e32 v20, v20, v20
	v_max_f32_e32 v18, v18, v20
	v_sub_f32_e32 v17, v17, v18
	v_mul_f32_e32 v17, 0x3fb8aa3b, v17
	v_sub_f32_e32 v16, v16, v18
	v_exp_f32_e32 v17, v17
	v_mul_f32_e32 v16, 0x3fb8aa3b, v16
	v_sub_f32_e32 v15, v15, v18
	v_exp_f32_e32 v16, v16
	;; [unrolled: 3-line block ×4, first 2 shown]
	v_mul_f32_e32 v13, 0x3fb8aa3b, v13
	v_sub_f32_e32 v12, v12, v18
	v_cndmask_b32_e64 v17, 0, v17, s[28:29]
	v_exp_f32_e32 v13, v13
	v_mul_f32_e32 v12, 0x3fb8aa3b, v12
	v_sub_f32_e32 v11, v11, v18
	v_add_f32_e32 v20, 0, v17
	v_cndmask_b32_e64 v16, 0, v16, s[30:31]
	v_exp_f32_e32 v12, v12
	v_mul_f32_e32 v11, 0x3fb8aa3b, v11
	v_sub_f32_e32 v10, v10, v18
	v_add_f32_e32 v20, v20, v16
	;; [unrolled: 5-line block ×4, first 2 shown]
	v_cndmask_b32_e64 v13, 0, v13, s[24:25]
	v_exp_f32_e32 v9, v9
	v_mul_f32_e32 v8, 0x3fb8aa3b, v8
	v_sub_f32_e32 v7, v7, v18
	buffer_store_dword v17, off, s[0:3], 0 offset:256
	buffer_store_dword v16, off, s[0:3], 0 offset:260
	;; [unrolled: 1-line block ×4, first 2 shown]
	v_add_f32_e32 v14, v20, v13
	v_cndmask_b32_e64 v12, 0, v12, s[38:39]
	v_exp_f32_e32 v8, v8
	v_mul_f32_e32 v7, 0x3fb8aa3b, v7
	v_sub_f32_e32 v6, v6, v18
	v_add_f32_e32 v14, v14, v12
	v_cndmask_b32_e64 v11, 0, v11, s[20:21]
	v_exp_f32_e32 v7, v7
	v_mul_f32_e32 v6, 0x3fb8aa3b, v6
	v_sub_f32_e32 v5, v5, v18
	;; [unrolled: 5-line block ×4, first 2 shown]
	buffer_store_dword v13, off, s[0:3], 0 offset:272
	buffer_store_dword v12, off, s[0:3], 0 offset:276
	;; [unrolled: 1-line block ×4, first 2 shown]
	v_add_f32_e32 v10, v14, v9
	v_cndmask_b32_e64 v8, 0, v8, s[18:19]
	v_exp_f32_e32 v4, v4
	v_mul_f32_e32 v3, 0x3fb8aa3b, v3
	v_sub_f32_e32 v2, v2, v18
	v_add_f32_e32 v10, v10, v8
	v_cndmask_b32_e64 v7, 0, v7, s[12:13]
	v_exp_f32_e32 v3, v3
	v_mul_f32_e32 v2, 0x3fb8aa3b, v2
	v_add_f32_e32 v10, v10, v7
	v_cndmask_b32_e64 v6, 0, v6, s[14:15]
	v_exp_f32_e32 v2, v2
	v_add_f32_e32 v10, v10, v6
	v_cndmask_b32_e64 v5, 0, v5, s[6:7]
	buffer_store_dword v9, off, s[0:3], 0 offset:288
	buffer_store_dword v8, off, s[0:3], 0 offset:292
	;; [unrolled: 1-line block ×4, first 2 shown]
	v_add_f32_e32 v6, v10, v5
	v_cndmask_b32_e64 v4, 0, v4, s[10:11]
	v_add_f32_e32 v6, v6, v4
	v_cndmask_b32_e32 v3, 0, v3, vcc
	v_add_f32_e32 v6, v6, v3
	v_cndmask_b32_e64 v2, 0, v2, s[4:5]
	v_add_f32_e32 v6, v6, v2
	ds_bpermute_b32 v7, v21, v6
	buffer_store_dword v5, off, s[0:3], 0 offset:304
	buffer_store_dword v4, off, s[0:3], 0 offset:308
	;; [unrolled: 1-line block ×4, first 2 shown]
	v_cmp_gt_u32_e32 vcc, 16, v33
	s_waitcnt lgkmcnt(0)
	s_barrier
	v_add_f32_e32 v2, v6, v7
	ds_bpermute_b32 v3, v19, v2
	s_waitcnt lgkmcnt(0)
	s_and_saveexec_b64 s[4:5], vcc
	s_cbranch_execz .LBB932_209
; %bb.208:
	v_add_f32_e32 v2, v2, v3
	v_lshlrev_b32_e32 v3, 2, v29
	ds_write2st64_b32 v3, v18, v2 offset1:1
.LBB932_209:
	s_or_b64 exec, exec, s[4:5]
	v_lshlrev_b32_e32 v2, 2, v41
	s_waitcnt lgkmcnt(0)
	s_barrier
	ds_read2_b32 v[14:15], v2 offset1:16
	ds_read2_b32 v[16:17], v2 offset0:32 offset1:48
	ds_read2_b32 v[6:7], v2 offset0:64 offset1:80
	;; [unrolled: 1-line block ×3, first 2 shown]
	s_waitcnt lgkmcnt(0)
	s_barrier
	buffer_load_dword v22, off, s[0:3], 0 offset:264
	buffer_load_dword v23, off, s[0:3], 0 offset:268
	;; [unrolled: 1-line block ×16, first 2 shown]
	v_max3_f32 v20, v14, s52, v15
	v_max3_f32 v20, v20, v16, v17
	v_sub_f32_e32 v14, v14, v20
	v_sub_f32_e32 v15, v15, v20
	v_mul_f32_e32 v14, 0x3fb8aa3b, v14
	v_sub_f32_e32 v16, v16, v20
	v_mul_f32_e32 v15, 0x3fb8aa3b, v15
	v_exp_f32_e32 v14, v14
	v_sub_f32_e32 v17, v17, v20
	v_mul_f32_e32 v16, 0x3fb8aa3b, v16
	v_exp_f32_e32 v15, v15
	v_mul_f32_e32 v17, 0x3fb8aa3b, v17
	v_exp_f32_e32 v16, v16
	v_exp_f32_e32 v17, v17
	v_fma_f32 v6, v14, v6, 0
	v_fmac_f32_e32 v6, v15, v7
	v_fmac_f32_e32 v6, v16, v12
	;; [unrolled: 1-line block ×3, first 2 shown]
	v_cmp_eq_u32_e32 vcc, 1, v27
	v_add_f32_e32 v12, 0x358637bd, v6
	v_cndmask_b32_e32 v14, v14, v15, vcc
	v_cmp_eq_u32_e32 vcc, 2, v27
	v_div_scale_f32 v13, s[4:5], v12, v12, 1.0
	v_cndmask_b32_e32 v7, v14, v16, vcc
	v_rcp_f32_e32 v14, v13
	v_cmp_eq_u32_e32 vcc, 3, v27
	v_cndmask_b32_e32 v7, v7, v17, vcc
	v_div_scale_f32 v15, vcc, 1.0, v12, 1.0
	v_fma_f32 v16, -v13, v14, 1.0
	v_fmac_f32_e32 v14, v16, v14
	v_mul_f32_e32 v16, v15, v14
	v_fma_f32 v17, -v13, v16, v15
	v_fmac_f32_e32 v16, v17, v14
	v_fma_f32 v13, -v13, v16, v15
	v_div_fmas_f32 v13, v13, v14, v16
	v_div_fixup_f32 v12, v13, v12, 1.0
	v_mul_f32_e32 v12, v7, v12
	s_movk_i32 s19, 0x7fff
	s_mov_b32 s20, 0x7060302
	s_mul_i32 s18, s49, 7
	v_cmp_gt_u32_e32 vcc, 7, v0
	s_waitcnt vmcnt(14)
	v_pk_mul_f32 v[14:15], v[12:13], v[22:23] op_sel_hi:[0,1]
	v_bfe_u32 v21, v15, 16, 1
	s_waitcnt vmcnt(12)
	v_pk_mul_f32 v[16:17], v[12:13], v[24:25] op_sel_hi:[0,1]
	v_bfe_u32 v7, v17, 16, 1
	v_bfe_u32 v13, v16, 16, 1
	;; [unrolled: 1-line block ×3, first 2 shown]
	v_add3_u32 v13, v16, v13, s19
	v_add3_u32 v7, v17, v7, s19
	buffer_store_dword v16, off, s[0:3], 0 offset:256
	buffer_store_dword v17, off, s[0:3], 0 offset:260
	;; [unrolled: 1-line block ×4, first 2 shown]
	v_add3_u32 v16, v14, v22, s19
	v_add3_u32 v15, v15, v21, s19
	v_perm_b32 v14, v7, v13, s20
	v_lshlrev_b32_e32 v13, 3, v1
	v_perm_b32 v15, v15, v16, s20
	v_lshlrev_b32_e32 v7, 5, v41
	v_lshlrev_b32_e32 v16, 11, v27
	s_waitcnt vmcnt(12)
	v_pk_mul_f32 v[8:9], v[12:13], v[8:9] op_sel_hi:[0,1]
	v_or3_b32 v52, v16, v7, v13
	v_pk_mul_f32 v[10:11], v[12:13], v[10:11] op_sel_hi:[0,1]
	v_bfe_u32 v13, v9, 16, 1
	v_bfe_u32 v16, v8, 16, 1
	buffer_store_dword v8, off, s[0:3], 0 offset:272
	buffer_store_dword v9, off, s[0:3], 0 offset:276
	;; [unrolled: 1-line block ×4, first 2 shown]
	v_add3_u32 v8, v8, v16, s19
	v_add3_u32 v9, v9, v13, s19
	v_perm_b32 v8, v9, v8, s20
	v_bfe_u32 v9, v11, 16, 1
	v_bfe_u32 v13, v10, 16, 1
	v_add3_u32 v10, v10, v13, s19
	v_add3_u32 v9, v11, v9, s19
	v_perm_b32 v9, v9, v10, s20
	s_waitcnt vmcnt(14)
	v_pk_mul_f32 v[10:11], v[12:13], v[18:19] op_sel_hi:[0,1]
	ds_write2st64_b64 v52, v[14:15], v[8:9] offset1:1
	s_waitcnt vmcnt(12)
	v_pk_mul_f32 v[8:9], v[12:13], v[28:29] op_sel_hi:[0,1]
	v_bfe_u32 v13, v11, 16, 1
	v_bfe_u32 v14, v10, 16, 1
	buffer_store_dword v10, off, s[0:3], 0 offset:288
	buffer_store_dword v11, off, s[0:3], 0 offset:292
	;; [unrolled: 1-line block ×4, first 2 shown]
	v_add3_u32 v10, v10, v14, s19
	v_add3_u32 v11, v11, v13, s19
	v_perm_b32 v10, v11, v10, s20
	v_bfe_u32 v11, v9, 16, 1
	v_bfe_u32 v13, v8, 16, 1
	v_add3_u32 v8, v8, v13, s19
	v_add3_u32 v9, v9, v11, s19
	s_waitcnt vmcnt(14)
	v_pk_mul_f32 v[2:3], v[12:13], v[2:3] op_sel_hi:[0,1]
	v_perm_b32 v11, v9, v8, s20
	v_bfe_u32 v8, v3, 16, 1
	v_bfe_u32 v9, v2, 16, 1
	s_waitcnt vmcnt(12)
	v_pk_mul_f32 v[4:5], v[12:13], v[4:5] op_sel_hi:[0,1]
	buffer_store_dword v2, off, s[0:3], 0 offset:304
	buffer_store_dword v3, off, s[0:3], 0 offset:308
	;; [unrolled: 1-line block ×4, first 2 shown]
	v_add3_u32 v2, v2, v9, s19
	v_add3_u32 v3, v3, v8, s19
	v_perm_b32 v2, v3, v2, s20
	v_bfe_u32 v3, v5, 16, 1
	v_bfe_u32 v8, v4, 16, 1
	v_add3_u32 v4, v4, v8, s19
	v_add3_u32 v3, v5, v3, s19
	v_perm_b32 v3, v3, v4, s20
	ds_write2st64_b64 v52, v[10:11], v[2:3] offset0:2 offset1:3
	s_and_saveexec_b64 s[4:5], vcc
	s_cbranch_execz .LBB932_211
; %bb.210:
	v_add_co_u32_e32 v4, vcc, s27, v41
	v_addc_co_u32_e64 v5, s[6:7], 0, 0, vcc
	v_mov_b32_e32 v2, s18
	v_mad_u64_u32 v[4:5], s[6:7], s8, v2, v[4:5]
	v_mov_b32_e32 v3, 0
	s_mul_i32 s6, s9, s18
	v_mov_b32_e32 v2, s26
	v_add_u32_e32 v5, s6, v5
	v_mad_u64_u32 v[2:3], s[6:7], v4, s48, v[2:3]
	v_mov_b32_e32 v4, v3
	v_mad_u64_u32 v[4:5], s[6:7], v5, s48, v[4:5]
	v_mov_b32_e32 v3, v4
	v_lshlrev_b64 v[2:3], 2, v[2:3]
	v_mov_b32_e32 v5, s47
	v_add_co_u32_e32 v4, vcc, s46, v2
	v_addc_co_u32_e32 v5, vcc, v5, v3, vcc
	global_store_dword v[4:5], v20, off
	v_mov_b32_e32 v4, s45
	v_add_co_u32_e32 v2, vcc, s44, v2
	v_addc_co_u32_e32 v3, vcc, v4, v3, vcc
	global_store_dword v[2:3], v6, off
.LBB932_211:
	s_or_b64 exec, exec, s[4:5]
	v_lshl_or_b32 v30, v1, 9, v7
	s_waitcnt lgkmcnt(0)
	s_barrier
	s_load_dword s4, s[42:43], 0x0
	ds_read_b128 v[2:5], v30
	ds_read_b128 v[6:9], v30 offset:16
	ds_read_b128 v[10:13], v30 offset:2048
	;; [unrolled: 1-line block ×7, first 2 shown]
	v_mov_b32_e32 v35, 0x80
	v_mov_b32_e32 v53, 0x140
	s_mov_b64 s[10:11], -1
	s_waitcnt lgkmcnt(0)
	s_mov_b32 s5, s4
	s_mov_b32 s6, s4
	;; [unrolled: 1-line block ×3, first 2 shown]
	s_movk_i32 s9, 0x80
	s_movk_i32 s21, 0x7f
	s_mov_b32 s22, 0xffffff
	s_mov_b32 s23, 0x5040100
	v_mov_b32_e32 v54, 0
	v_bfrev_b32_e32 v55, 60
	s_branch .LBB932_215
.LBB932_212:                            ;   in Loop: Header=BB932_215 Depth=1
	s_or_b64 exec, exec, s[16:17]
.LBB932_213:                            ;   in Loop: Header=BB932_215 Depth=1
	s_or_b64 exec, exec, s[14:15]
.LBB932_214:                            ;   in Loop: Header=BB932_215 Depth=1
	s_or_b64 exec, exec, s[12:13]
	v_perm_b32 v61, v56, v50, s23
	v_perm_b32 v60, v44, v46, s23
	s_xor_b64 s[12:13], s[10:11], -1
	s_mov_b64 s[10:11], 0
	v_mov_b32_e32 v46, v47
	v_mfma_f32_16x16x16bf16_1k v[60:63], v[60:61], v[30:31], v[34:37]
	s_and_b64 vcc, exec, s[12:13]
	s_nop 5
	v_perm_b32 v37, v58, v57, s23
	v_perm_b32 v36, v42, v51, s23
	v_mov_b32_e32 v35, v45
	s_nop 0
	v_mfma_f32_16x16x16bf16_1k v[56:59], v[36:37], v[32:33], v[60:63]
	s_nop 7
	s_nop 2
	v_pk_mul_f32 v[50:51], v[56:57], s[4:5]
	v_pk_mul_f32 v[36:37], v[58:59], s[6:7]
	v_bfe_u32 v34, v51, 16, 1
	v_bfe_u32 v38, v50, 16, 1
	;; [unrolled: 1-line block ×4, first 2 shown]
	v_add3_u32 v38, v50, v38, s19
	v_add3_u32 v34, v51, v34, s19
	;; [unrolled: 1-line block ×4, first 2 shown]
	v_perm_b32 v34, v34, v38, s20
	v_perm_b32 v36, v37, v36, s20
	buffer_store_dword v34, v53, s[0:3], 0 offen
	buffer_store_dword v36, v53, s[0:3], 0 offen offset:4
	v_mov_b32_e32 v53, 0x148
	v_mov_b32_e32 v51, v48
	;; [unrolled: 1-line block ×3, first 2 shown]
	s_cbranch_vccnz .LBB932_597
.LBB932_215:                            ; =>This Inner Loop Header: Depth=1
	buffer_load_dword v36, v35, s[0:3], 0 offen
	buffer_load_dword v34, v35, s[0:3], 0 offen offset:4
	buffer_load_dword v40, v35, s[0:3], 0 offen offset:8
	;; [unrolled: 1-line block ×3, first 2 shown]
	v_mov_b32_e32 v35, 0
	s_waitcnt vmcnt(3)
	v_cmp_ne_u16_sdwa s[14:15], v36, v54 src0_sel:BYTE_0 src1_sel:DWORD
	s_and_saveexec_b64 s[12:13], s[14:15]
	s_cbranch_execz .LBB932_221
; %bb.216:                              ;   in Loop: Header=BB932_215 Depth=1
	v_cmp_ne_u16_sdwa s[16:17], v36, s9 src0_sel:BYTE_0 src1_sel:DWORD
	v_mov_b32_e32 v35, 0xffff8000
	s_and_saveexec_b64 s[14:15], s[16:17]
	s_cbranch_execz .LBB932_220
; %bb.217:                              ;   in Loop: Header=BB932_215 Depth=1
	v_and_b32_e32 v37, 0x7f, v36
	v_cmp_ne_u32_e32 vcc, s21, v37
	v_mov_b32_e32 v35, 0x7f80
	s_and_saveexec_b64 s[16:17], vcc
	s_cbranch_execz .LBB932_219
; %bb.218:                              ;   in Loop: Header=BB932_215 Depth=1
	v_and_b32_e32 v35, 7, v36
	v_ffbh_u32_e32 v44, v35
	v_min_u32_e32 v44, 32, v44
	v_subrev_u32_e32 v56, 28, v44
	v_lshlrev_b64 v[56:57], v56, v[36:37]
	v_lshrrev_b32_e32 v42, 3, v37
	v_sub_u32_e32 v44, 29, v44
	v_and_b32_e32 v56, 7, v56
	v_cmp_gt_u32_e32 vcc, 8, v37
	v_cndmask_b32_e32 v37, v42, v44, vcc
	v_cndmask_b32_e32 v35, v35, v56, vcc
	v_lshlrev_b32_e32 v42, 24, v36
	v_lshlrev_b32_e32 v35, 20, v35
	v_and_b32_e32 v42, 0x80000000, v42
	v_lshl_add_u32 v37, v37, 23, v55
	v_or3_b32 v35, v42, v37, v35
	v_lshrrev_b32_e32 v35, 16, v35
.LBB932_219:                            ;   in Loop: Header=BB932_215 Depth=1
	s_or_b64 exec, exec, s[16:17]
.LBB932_220:                            ;   in Loop: Header=BB932_215 Depth=1
	s_or_b64 exec, exec, s[14:15]
.LBB932_221:                            ;   in Loop: Header=BB932_215 Depth=1
	s_or_b64 exec, exec, s[12:13]
	v_lshrrev_b16_e32 v42, 8, v36
	v_cmp_ne_u16_e32 vcc, 0, v42
	v_mov_b32_e32 v56, 0
	v_mov_b32_e32 v37, 0
	s_and_saveexec_b64 s[12:13], vcc
	s_cbranch_execz .LBB932_227
; %bb.222:                              ;   in Loop: Header=BB932_215 Depth=1
	v_cmp_ne_u16_e32 vcc, s9, v42
	v_mov_b32_e32 v37, 0xffff8000
	s_and_saveexec_b64 s[14:15], vcc
	s_cbranch_execz .LBB932_226
; %bb.223:                              ;   in Loop: Header=BB932_215 Depth=1
	v_and_b32_e32 v44, 0x7f, v42
	v_cmp_ne_u32_e32 vcc, s21, v44
	v_mov_b32_e32 v37, 0x7f80
	s_and_saveexec_b64 s[16:17], vcc
	s_cbranch_execz .LBB932_225
; %bb.224:                              ;   in Loop: Header=BB932_215 Depth=1
	v_and_b32_e32 v37, 7, v42
	v_ffbh_u32_e32 v58, v37
	v_min_u32_e32 v60, 32, v58
	v_subrev_u32_e32 v58, 28, v60
	v_lshlrev_b64 v[58:59], v58, v[42:43]
	v_lshrrev_b32_e32 v57, 3, v44
	v_sub_u32_e32 v42, 29, v60
	v_and_b32_e32 v58, 7, v58
	v_cmp_gt_u32_e32 vcc, 8, v44
	v_cndmask_b32_e32 v42, v57, v42, vcc
	v_cndmask_b32_e32 v37, v37, v58, vcc
	v_lshlrev_b32_e32 v44, 16, v36
	v_lshlrev_b32_e32 v37, 20, v37
	v_and_b32_e32 v44, 0x80000000, v44
	v_lshl_add_u32 v42, v42, 23, v55
	v_or3_b32 v37, v44, v42, v37
	v_lshrrev_b32_e32 v37, 16, v37
.LBB932_225:                            ;   in Loop: Header=BB932_215 Depth=1
	s_or_b64 exec, exec, s[16:17]
.LBB932_226:                            ;   in Loop: Header=BB932_215 Depth=1
	s_or_b64 exec, exec, s[14:15]
.LBB932_227:                            ;   in Loop: Header=BB932_215 Depth=1
	s_or_b64 exec, exec, s[12:13]
	v_lshrrev_b32_e32 v42, 16, v36
	v_cmp_ne_u16_sdwa s[14:15], v42, v54 src0_sel:BYTE_0 src1_sel:DWORD
	s_and_saveexec_b64 s[12:13], s[14:15]
	s_cbranch_execz .LBB932_233
; %bb.228:                              ;   in Loop: Header=BB932_215 Depth=1
	v_cmp_ne_u16_sdwa s[16:17], v42, s9 src0_sel:BYTE_0 src1_sel:DWORD
	v_mov_b32_e32 v56, 0xffff8000
	s_and_saveexec_b64 s[14:15], s[16:17]
	s_cbranch_execz .LBB932_232
; %bb.229:                              ;   in Loop: Header=BB932_215 Depth=1
	v_bfe_u32 v44, v36, 16, 7
	v_cmp_ne_u32_e32 vcc, s21, v44
	v_mov_b32_e32 v56, 0x7f80
	s_and_saveexec_b64 s[16:17], vcc
	s_cbranch_execz .LBB932_231
; %bb.230:                              ;   in Loop: Header=BB932_215 Depth=1
	v_and_b32_e32 v58, 7, v42
	v_ffbh_u32_e32 v56, v58
	v_min_u32_e32 v60, 32, v56
	v_subrev_u32_e32 v56, 28, v60
	v_lshlrev_b64 v[56:57], v56, v[42:43]
	v_lshrrev_b32_e32 v59, 3, v44
	v_sub_u32_e32 v57, 29, v60
	v_and_b32_e32 v56, 7, v56
	v_cmp_gt_u32_e32 vcc, 8, v44
	v_cndmask_b32_e32 v44, v59, v57, vcc
	v_cndmask_b32_e32 v56, v58, v56, vcc
	v_lshlrev_b32_e32 v42, 24, v42
	v_lshlrev_b32_e32 v56, 20, v56
	v_and_b32_e32 v42, 0x80000000, v42
	v_lshl_add_u32 v44, v44, 23, v55
	v_or3_b32 v42, v42, v44, v56
	v_lshrrev_b32_e32 v56, 16, v42
.LBB932_231:                            ;   in Loop: Header=BB932_215 Depth=1
	s_or_b64 exec, exec, s[16:17]
.LBB932_232:                            ;   in Loop: Header=BB932_215 Depth=1
	s_or_b64 exec, exec, s[14:15]
.LBB932_233:                            ;   in Loop: Header=BB932_215 Depth=1
	s_or_b64 exec, exec, s[12:13]
	v_cmp_lt_u32_e32 vcc, s22, v36
	v_mov_b32_e32 v57, 0
	v_mov_b32_e32 v58, 0
	s_and_saveexec_b64 s[12:13], vcc
	s_cbranch_execz .LBB932_239
; %bb.234:                              ;   in Loop: Header=BB932_215 Depth=1
	v_lshrrev_b32_e32 v42, 24, v36
	v_cmp_ne_u32_e32 vcc, s9, v42
	v_mov_b32_e32 v58, 0xffff8000
	s_and_saveexec_b64 s[14:15], vcc
	s_cbranch_execz .LBB932_238
; %bb.235:                              ;   in Loop: Header=BB932_215 Depth=1
	v_bfe_u32 v36, v36, 24, 7
	v_cmp_ne_u32_e32 vcc, s21, v36
	v_mov_b32_e32 v58, 0x7f80
	s_and_saveexec_b64 s[16:17], vcc
	s_cbranch_execz .LBB932_237
; %bb.236:                              ;   in Loop: Header=BB932_215 Depth=1
	v_and_b32_e32 v44, 7, v42
	v_ffbh_u32_e32 v58, v44
	v_min_u32_e32 v61, 32, v58
	v_subrev_u32_e32 v58, 28, v61
	v_lshlrev_b64 v[58:59], v58, v[42:43]
	v_lshrrev_b32_e32 v60, 3, v36
	v_sub_u32_e32 v59, 29, v61
	v_and_b32_e32 v58, 7, v58
	v_cmp_gt_u32_e32 vcc, 8, v36
	v_cndmask_b32_e32 v36, v60, v59, vcc
	v_cndmask_b32_e32 v44, v44, v58, vcc
	v_lshlrev_b32_e32 v42, 24, v42
	v_lshlrev_b32_e32 v44, 20, v44
	v_and_b32_e32 v42, 0x80000000, v42
	v_lshl_add_u32 v36, v36, 23, v55
	v_or3_b32 v36, v42, v36, v44
	v_lshrrev_b32_e32 v58, 16, v36
.LBB932_237:                            ;   in Loop: Header=BB932_215 Depth=1
	s_or_b64 exec, exec, s[16:17]
.LBB932_238:                            ;   in Loop: Header=BB932_215 Depth=1
	s_or_b64 exec, exec, s[14:15]
.LBB932_239:                            ;   in Loop: Header=BB932_215 Depth=1
	s_or_b64 exec, exec, s[12:13]
	s_waitcnt vmcnt(2)
	v_cmp_ne_u16_sdwa s[14:15], v34, v54 src0_sel:BYTE_0 src1_sel:DWORD
	s_and_saveexec_b64 s[12:13], s[14:15]
	s_cbranch_execz .LBB932_245
; %bb.240:                              ;   in Loop: Header=BB932_215 Depth=1
	v_cmp_ne_u16_sdwa s[16:17], v34, s9 src0_sel:BYTE_0 src1_sel:DWORD
	v_mov_b32_e32 v57, 0xffff8000
	s_and_saveexec_b64 s[14:15], s[16:17]
	s_cbranch_execz .LBB932_244
; %bb.241:                              ;   in Loop: Header=BB932_215 Depth=1
	v_and_b32_e32 v36, 0x7f, v34
	v_cmp_ne_u32_e32 vcc, s21, v36
	v_mov_b32_e32 v57, 0x7f80
	s_and_saveexec_b64 s[16:17], vcc
	s_cbranch_execz .LBB932_243
; %bb.242:                              ;   in Loop: Header=BB932_215 Depth=1
	v_and_b32_e32 v42, 7, v34
	v_ffbh_u32_e32 v57, v42
	v_min_u32_e32 v57, 32, v57
	v_subrev_u32_e32 v59, 28, v57
	v_lshlrev_b64 v[60:61], v59, v[34:35]
	v_lshrrev_b32_e32 v44, 3, v36
	v_sub_u32_e32 v57, 29, v57
	v_and_b32_e32 v59, 7, v60
	v_cmp_gt_u32_e32 vcc, 8, v36
	v_cndmask_b32_e32 v36, v44, v57, vcc
	v_cndmask_b32_e32 v42, v42, v59, vcc
	v_lshlrev_b32_e32 v44, 24, v34
	v_lshlrev_b32_e32 v42, 20, v42
	v_and_b32_e32 v44, 0x80000000, v44
	v_lshl_add_u32 v36, v36, 23, v55
	v_or3_b32 v36, v44, v36, v42
	v_lshrrev_b32_e32 v57, 16, v36
.LBB932_243:                            ;   in Loop: Header=BB932_215 Depth=1
	s_or_b64 exec, exec, s[16:17]
.LBB932_244:                            ;   in Loop: Header=BB932_215 Depth=1
	s_or_b64 exec, exec, s[14:15]
.LBB932_245:                            ;   in Loop: Header=BB932_215 Depth=1
	s_or_b64 exec, exec, s[12:13]
	v_lshrrev_b16_e32 v36, 8, v34
	v_cmp_ne_u16_e32 vcc, 0, v36
	v_mov_b32_e32 v59, 0
	v_mov_b32_e32 v42, 0
	s_and_saveexec_b64 s[12:13], vcc
	s_cbranch_execz .LBB932_251
; %bb.246:                              ;   in Loop: Header=BB932_215 Depth=1
	v_cmp_ne_u16_e32 vcc, s9, v36
	v_mov_b32_e32 v42, 0xffff8000
	s_and_saveexec_b64 s[14:15], vcc
	s_cbranch_execz .LBB932_250
; %bb.247:                              ;   in Loop: Header=BB932_215 Depth=1
	v_and_b32_e32 v44, 0x7f, v36
	v_cmp_ne_u32_e32 vcc, s21, v44
	v_mov_b32_e32 v42, 0x7f80
	s_and_saveexec_b64 s[16:17], vcc
	s_cbranch_execz .LBB932_249
; %bb.248:                              ;   in Loop: Header=BB932_215 Depth=1
	v_and_b32_e32 v42, 7, v36
	v_ffbh_u32_e32 v60, v42
	v_min_u32_e32 v63, 32, v60
	v_subrev_u32_e32 v60, 28, v63
	v_lshlrev_b64 v[60:61], v60, v[36:37]
	v_lshrrev_b32_e32 v62, 3, v44
	v_sub_u32_e32 v36, 29, v63
	v_and_b32_e32 v60, 7, v60
	v_cmp_gt_u32_e32 vcc, 8, v44
	v_cndmask_b32_e32 v36, v62, v36, vcc
	v_cndmask_b32_e32 v42, v42, v60, vcc
	v_lshlrev_b32_e32 v44, 16, v34
	v_lshlrev_b32_e32 v42, 20, v42
	v_and_b32_e32 v44, 0x80000000, v44
	v_lshl_add_u32 v36, v36, 23, v55
	v_or3_b32 v36, v44, v36, v42
	v_lshrrev_b32_e32 v42, 16, v36
.LBB932_249:                            ;   in Loop: Header=BB932_215 Depth=1
	s_or_b64 exec, exec, s[16:17]
.LBB932_250:                            ;   in Loop: Header=BB932_215 Depth=1
	s_or_b64 exec, exec, s[14:15]
.LBB932_251:                            ;   in Loop: Header=BB932_215 Depth=1
	s_or_b64 exec, exec, s[12:13]
	v_lshrrev_b32_e32 v36, 16, v34
	v_cmp_ne_u16_sdwa s[14:15], v36, v54 src0_sel:BYTE_0 src1_sel:DWORD
	s_and_saveexec_b64 s[12:13], s[14:15]
	s_cbranch_execz .LBB932_257
; %bb.252:                              ;   in Loop: Header=BB932_215 Depth=1
	v_cmp_ne_u16_sdwa s[16:17], v36, s9 src0_sel:BYTE_0 src1_sel:DWORD
	v_mov_b32_e32 v59, 0xffff8000
	s_and_saveexec_b64 s[14:15], s[16:17]
	s_cbranch_execz .LBB932_256
; %bb.253:                              ;   in Loop: Header=BB932_215 Depth=1
	v_bfe_u32 v44, v34, 16, 7
	v_cmp_ne_u32_e32 vcc, s21, v44
	v_mov_b32_e32 v59, 0x7f80
	s_and_saveexec_b64 s[16:17], vcc
	s_cbranch_execz .LBB932_255
; %bb.254:                              ;   in Loop: Header=BB932_215 Depth=1
	v_and_b32_e32 v59, 7, v36
	v_ffbh_u32_e32 v60, v59
	v_min_u32_e32 v63, 32, v60
	v_subrev_u32_e32 v60, 28, v63
	v_lshlrev_b64 v[60:61], v60, v[36:37]
	v_lshrrev_b32_e32 v62, 3, v44
	v_sub_u32_e32 v61, 29, v63
	v_and_b32_e32 v60, 7, v60
	v_cmp_gt_u32_e32 vcc, 8, v44
	v_cndmask_b32_e32 v44, v62, v61, vcc
	v_cndmask_b32_e32 v59, v59, v60, vcc
	v_lshlrev_b32_e32 v36, 24, v36
	v_lshlrev_b32_e32 v59, 20, v59
	v_and_b32_e32 v36, 0x80000000, v36
	v_lshl_add_u32 v44, v44, 23, v55
	v_or3_b32 v36, v36, v44, v59
	v_lshrrev_b32_e32 v59, 16, v36
.LBB932_255:                            ;   in Loop: Header=BB932_215 Depth=1
	s_or_b64 exec, exec, s[16:17]
.LBB932_256:                            ;   in Loop: Header=BB932_215 Depth=1
	s_or_b64 exec, exec, s[14:15]
.LBB932_257:                            ;   in Loop: Header=BB932_215 Depth=1
	s_or_b64 exec, exec, s[12:13]
	v_cmp_lt_u32_e32 vcc, s22, v34
	v_mov_b32_e32 v44, 0
	v_mov_b32_e32 v60, 0
	s_and_saveexec_b64 s[12:13], vcc
	s_cbranch_execz .LBB932_263
; %bb.258:                              ;   in Loop: Header=BB932_215 Depth=1
	v_lshrrev_b32_e32 v36, 24, v34
	v_cmp_ne_u32_e32 vcc, s9, v36
	v_mov_b32_e32 v60, 0xffff8000
	s_and_saveexec_b64 s[14:15], vcc
	s_cbranch_execz .LBB932_262
; %bb.259:                              ;   in Loop: Header=BB932_215 Depth=1
	v_bfe_u32 v34, v34, 24, 7
	v_cmp_ne_u32_e32 vcc, s21, v34
	v_mov_b32_e32 v60, 0x7f80
	s_and_saveexec_b64 s[16:17], vcc
	s_cbranch_execz .LBB932_261
; %bb.260:                              ;   in Loop: Header=BB932_215 Depth=1
	v_and_b32_e32 v62, 7, v36
	v_ffbh_u32_e32 v60, v62
	v_min_u32_e32 v64, 32, v60
	v_subrev_u32_e32 v60, 28, v64
	v_lshlrev_b64 v[60:61], v60, v[36:37]
	v_lshrrev_b32_e32 v63, 3, v34
	v_sub_u32_e32 v61, 29, v64
	v_and_b32_e32 v60, 7, v60
	v_cmp_gt_u32_e32 vcc, 8, v34
	v_cndmask_b32_e32 v34, v63, v61, vcc
	v_cndmask_b32_e32 v60, v62, v60, vcc
	v_lshlrev_b32_e32 v36, 24, v36
	v_lshlrev_b32_e32 v60, 20, v60
	v_and_b32_e32 v36, 0x80000000, v36
	v_lshl_add_u32 v34, v34, 23, v55
	v_or3_b32 v34, v36, v34, v60
	v_lshrrev_b32_e32 v60, 16, v34
.LBB932_261:                            ;   in Loop: Header=BB932_215 Depth=1
	s_or_b64 exec, exec, s[16:17]
.LBB932_262:                            ;   in Loop: Header=BB932_215 Depth=1
	s_or_b64 exec, exec, s[14:15]
.LBB932_263:                            ;   in Loop: Header=BB932_215 Depth=1
	s_or_b64 exec, exec, s[12:13]
	v_perm_b32 v63, v58, v56, s23
	v_perm_b32 v62, v37, v35, s23
	;; [unrolled: 1-line block ×4, first 2 shown]
	s_waitcnt vmcnt(1)
	v_cmp_ne_u16_sdwa s[14:15], v40, v54 src0_sel:BYTE_0 src1_sel:DWORD
	v_mfma_f32_16x16x16bf16_1k v[34:37], v[62:63], v[2:3], 0
	v_mfma_f32_16x16x16bf16_1k v[34:37], v[58:59], v[4:5], v[34:37]
	s_and_saveexec_b64 s[12:13], s[14:15]
	s_cbranch_execz .LBB932_269
; %bb.264:                              ;   in Loop: Header=BB932_215 Depth=1
	v_cmp_ne_u16_sdwa s[16:17], v40, s9 src0_sel:BYTE_0 src1_sel:DWORD
	v_mov_b32_e32 v44, 0xffff8000
	s_and_saveexec_b64 s[14:15], s[16:17]
	s_cbranch_execz .LBB932_268
; %bb.265:                              ;   in Loop: Header=BB932_215 Depth=1
	v_and_b32_e32 v42, 0x7f, v40
	v_cmp_ne_u32_e32 vcc, s21, v42
	v_mov_b32_e32 v44, 0x7f80
	s_and_saveexec_b64 s[16:17], vcc
	s_cbranch_execz .LBB932_267
; %bb.266:                              ;   in Loop: Header=BB932_215 Depth=1
	v_and_b32_e32 v44, 7, v40
	v_ffbh_u32_e32 v56, v44
	v_min_u32_e32 v59, 32, v56
	v_subrev_u32_e32 v56, 28, v59
	v_lshlrev_b64 v[56:57], v56, v[40:41]
	v_lshrrev_b32_e32 v58, 3, v42
	v_sub_u32_e32 v57, 29, v59
	v_and_b32_e32 v56, 7, v56
	v_cmp_gt_u32_e32 vcc, 8, v42
	v_cndmask_b32_e32 v42, v58, v57, vcc
	v_cndmask_b32_e32 v44, v44, v56, vcc
	v_lshlrev_b32_e32 v56, 24, v40
	v_lshlrev_b32_e32 v44, 20, v44
	v_and_b32_e32 v56, 0x80000000, v56
	v_lshl_add_u32 v42, v42, 23, v55
	v_or3_b32 v42, v56, v42, v44
	v_lshrrev_b32_e32 v44, 16, v42
.LBB932_267:                            ;   in Loop: Header=BB932_215 Depth=1
	s_or_b64 exec, exec, s[16:17]
.LBB932_268:                            ;   in Loop: Header=BB932_215 Depth=1
	s_or_b64 exec, exec, s[14:15]
.LBB932_269:                            ;   in Loop: Header=BB932_215 Depth=1
	s_or_b64 exec, exec, s[12:13]
	v_lshrrev_b16_e32 v42, 8, v40
	v_cmp_ne_u16_e32 vcc, 0, v42
	v_mov_b32_e32 v58, 0
	v_mov_b32_e32 v57, 0
	s_and_saveexec_b64 s[12:13], vcc
	s_cbranch_execz .LBB932_275
; %bb.270:                              ;   in Loop: Header=BB932_215 Depth=1
	v_cmp_ne_u16_e32 vcc, s9, v42
	v_mov_b32_e32 v57, 0xffff8000
	s_and_saveexec_b64 s[14:15], vcc
	s_cbranch_execz .LBB932_274
; %bb.271:                              ;   in Loop: Header=BB932_215 Depth=1
	v_and_b32_e32 v56, 0x7f, v42
	v_cmp_ne_u32_e32 vcc, s21, v56
	v_mov_b32_e32 v57, 0x7f80
	s_and_saveexec_b64 s[16:17], vcc
	s_cbranch_execz .LBB932_273
; %bb.272:                              ;   in Loop: Header=BB932_215 Depth=1
	v_and_b32_e32 v57, 7, v42
	v_ffbh_u32_e32 v60, v57
	v_min_u32_e32 v62, 32, v60
	v_subrev_u32_e32 v60, 28, v62
	v_lshlrev_b64 v[60:61], v60, v[42:43]
	v_lshrrev_b32_e32 v59, 3, v56
	v_sub_u32_e32 v42, 29, v62
	v_and_b32_e32 v60, 7, v60
	v_cmp_gt_u32_e32 vcc, 8, v56
	v_cndmask_b32_e32 v42, v59, v42, vcc
	v_cndmask_b32_e32 v56, v57, v60, vcc
	v_lshlrev_b32_e32 v57, 16, v40
	v_lshlrev_b32_e32 v56, 20, v56
	v_and_b32_e32 v57, 0x80000000, v57
	v_lshl_add_u32 v42, v42, 23, v55
	v_or3_b32 v42, v57, v42, v56
	v_lshrrev_b32_e32 v57, 16, v42
.LBB932_273:                            ;   in Loop: Header=BB932_215 Depth=1
	s_or_b64 exec, exec, s[16:17]
.LBB932_274:                            ;   in Loop: Header=BB932_215 Depth=1
	s_or_b64 exec, exec, s[14:15]
.LBB932_275:                            ;   in Loop: Header=BB932_215 Depth=1
	s_or_b64 exec, exec, s[12:13]
	v_lshrrev_b32_e32 v42, 16, v40
	v_cmp_ne_u16_sdwa s[14:15], v42, v54 src0_sel:BYTE_0 src1_sel:DWORD
	s_and_saveexec_b64 s[12:13], s[14:15]
	s_cbranch_execz .LBB932_281
; %bb.276:                              ;   in Loop: Header=BB932_215 Depth=1
	v_cmp_ne_u16_sdwa s[16:17], v42, s9 src0_sel:BYTE_0 src1_sel:DWORD
	v_mov_b32_e32 v58, 0xffff8000
	s_and_saveexec_b64 s[14:15], s[16:17]
	s_cbranch_execz .LBB932_280
; %bb.277:                              ;   in Loop: Header=BB932_215 Depth=1
	v_bfe_u32 v56, v40, 16, 7
	v_cmp_ne_u32_e32 vcc, s21, v56
	v_mov_b32_e32 v58, 0x7f80
	s_and_saveexec_b64 s[16:17], vcc
	s_cbranch_execz .LBB932_279
; %bb.278:                              ;   in Loop: Header=BB932_215 Depth=1
	v_and_b32_e32 v60, 7, v42
	v_ffbh_u32_e32 v58, v60
	v_min_u32_e32 v62, 32, v58
	v_subrev_u32_e32 v58, 28, v62
	v_lshlrev_b64 v[58:59], v58, v[42:43]
	v_lshrrev_b32_e32 v61, 3, v56
	v_sub_u32_e32 v59, 29, v62
	v_and_b32_e32 v58, 7, v58
	v_cmp_gt_u32_e32 vcc, 8, v56
	v_cndmask_b32_e32 v56, v61, v59, vcc
	v_cndmask_b32_e32 v58, v60, v58, vcc
	v_lshlrev_b32_e32 v42, 24, v42
	v_lshlrev_b32_e32 v58, 20, v58
	v_and_b32_e32 v42, 0x80000000, v42
	v_lshl_add_u32 v56, v56, 23, v55
	v_or3_b32 v42, v42, v56, v58
	v_lshrrev_b32_e32 v58, 16, v42
.LBB932_279:                            ;   in Loop: Header=BB932_215 Depth=1
	s_or_b64 exec, exec, s[16:17]
.LBB932_280:                            ;   in Loop: Header=BB932_215 Depth=1
	s_or_b64 exec, exec, s[14:15]
.LBB932_281:                            ;   in Loop: Header=BB932_215 Depth=1
	s_or_b64 exec, exec, s[12:13]
	v_cmp_lt_u32_e32 vcc, s22, v40
	v_mov_b32_e32 v59, 0
	v_mov_b32_e32 v60, 0
	s_and_saveexec_b64 s[12:13], vcc
	s_cbranch_execz .LBB932_287
; %bb.282:                              ;   in Loop: Header=BB932_215 Depth=1
	v_lshrrev_b32_e32 v42, 24, v40
	v_cmp_ne_u32_e32 vcc, s9, v42
	v_mov_b32_e32 v60, 0xffff8000
	s_and_saveexec_b64 s[14:15], vcc
	s_cbranch_execz .LBB932_286
; %bb.283:                              ;   in Loop: Header=BB932_215 Depth=1
	v_bfe_u32 v40, v40, 24, 7
	v_cmp_ne_u32_e32 vcc, s21, v40
	v_mov_b32_e32 v60, 0x7f80
	s_and_saveexec_b64 s[16:17], vcc
	s_cbranch_execz .LBB932_285
; %bb.284:                              ;   in Loop: Header=BB932_215 Depth=1
	v_and_b32_e32 v56, 7, v42
	v_ffbh_u32_e32 v60, v56
	v_min_u32_e32 v63, 32, v60
	v_subrev_u32_e32 v60, 28, v63
	v_lshlrev_b64 v[60:61], v60, v[42:43]
	v_lshrrev_b32_e32 v62, 3, v40
	v_sub_u32_e32 v61, 29, v63
	v_and_b32_e32 v60, 7, v60
	v_cmp_gt_u32_e32 vcc, 8, v40
	v_cndmask_b32_e32 v40, v62, v61, vcc
	v_cndmask_b32_e32 v56, v56, v60, vcc
	v_lshlrev_b32_e32 v42, 24, v42
	v_lshlrev_b32_e32 v56, 20, v56
	v_and_b32_e32 v42, 0x80000000, v42
	v_lshl_add_u32 v40, v40, 23, v55
	v_or3_b32 v40, v42, v40, v56
	v_lshrrev_b32_e32 v60, 16, v40
.LBB932_285:                            ;   in Loop: Header=BB932_215 Depth=1
	s_or_b64 exec, exec, s[16:17]
.LBB932_286:                            ;   in Loop: Header=BB932_215 Depth=1
	s_or_b64 exec, exec, s[14:15]
.LBB932_287:                            ;   in Loop: Header=BB932_215 Depth=1
	s_or_b64 exec, exec, s[12:13]
	s_waitcnt vmcnt(0)
	v_cmp_ne_u16_sdwa s[14:15], v38, v54 src0_sel:BYTE_0 src1_sel:DWORD
	s_and_saveexec_b64 s[12:13], s[14:15]
	s_cbranch_execz .LBB932_293
; %bb.288:                              ;   in Loop: Header=BB932_215 Depth=1
	v_cmp_ne_u16_sdwa s[16:17], v38, s9 src0_sel:BYTE_0 src1_sel:DWORD
	v_mov_b32_e32 v59, 0xffff8000
	s_and_saveexec_b64 s[14:15], s[16:17]
	s_cbranch_execz .LBB932_292
; %bb.289:                              ;   in Loop: Header=BB932_215 Depth=1
	v_and_b32_e32 v40, 0x7f, v38
	v_cmp_ne_u32_e32 vcc, s21, v40
	v_mov_b32_e32 v59, 0x7f80
	s_and_saveexec_b64 s[16:17], vcc
	s_cbranch_execz .LBB932_291
; %bb.290:                              ;   in Loop: Header=BB932_215 Depth=1
	v_and_b32_e32 v42, 7, v38
	v_ffbh_u32_e32 v59, v42
	v_min_u32_e32 v59, 32, v59
	v_subrev_u32_e32 v61, 28, v59
	v_lshlrev_b64 v[62:63], v61, v[38:39]
	v_lshrrev_b32_e32 v56, 3, v40
	v_sub_u32_e32 v59, 29, v59
	v_and_b32_e32 v61, 7, v62
	v_cmp_gt_u32_e32 vcc, 8, v40
	v_cndmask_b32_e32 v40, v56, v59, vcc
	v_cndmask_b32_e32 v42, v42, v61, vcc
	v_lshlrev_b32_e32 v56, 24, v38
	v_lshlrev_b32_e32 v42, 20, v42
	v_and_b32_e32 v56, 0x80000000, v56
	v_lshl_add_u32 v40, v40, 23, v55
	v_or3_b32 v40, v56, v40, v42
	v_lshrrev_b32_e32 v59, 16, v40
.LBB932_291:                            ;   in Loop: Header=BB932_215 Depth=1
	s_or_b64 exec, exec, s[16:17]
.LBB932_292:                            ;   in Loop: Header=BB932_215 Depth=1
	s_or_b64 exec, exec, s[14:15]
.LBB932_293:                            ;   in Loop: Header=BB932_215 Depth=1
	s_or_b64 exec, exec, s[12:13]
	v_lshrrev_b16_e32 v40, 8, v38
	v_cmp_ne_u16_e32 vcc, 0, v40
	v_mov_b32_e32 v62, 0
	v_mov_b32_e32 v61, 0
	s_and_saveexec_b64 s[12:13], vcc
	s_cbranch_execz .LBB932_299
; %bb.294:                              ;   in Loop: Header=BB932_215 Depth=1
	v_cmp_ne_u16_e32 vcc, s9, v40
	v_mov_b32_e32 v61, 0xffff8000
	s_and_saveexec_b64 s[14:15], vcc
	s_cbranch_execz .LBB932_298
; %bb.295:                              ;   in Loop: Header=BB932_215 Depth=1
	v_and_b32_e32 v42, 0x7f, v40
	v_cmp_ne_u32_e32 vcc, s21, v42
	v_mov_b32_e32 v61, 0x7f80
	s_and_saveexec_b64 s[16:17], vcc
	s_cbranch_execz .LBB932_297
; %bb.296:                              ;   in Loop: Header=BB932_215 Depth=1
	v_and_b32_e32 v56, 7, v40
	v_ffbh_u32_e32 v63, v56
	v_min_u32_e32 v63, 32, v63
	v_subrev_u32_e32 v64, 28, v63
	v_lshlrev_b64 v[64:65], v64, v[40:41]
	v_lshrrev_b32_e32 v61, 3, v42
	v_sub_u32_e32 v40, 29, v63
	v_and_b32_e32 v63, 7, v64
	v_cmp_gt_u32_e32 vcc, 8, v42
	v_cndmask_b32_e32 v40, v61, v40, vcc
	v_cndmask_b32_e32 v42, v56, v63, vcc
	v_lshlrev_b32_e32 v56, 16, v38
	v_lshlrev_b32_e32 v42, 20, v42
	v_and_b32_e32 v56, 0x80000000, v56
	v_lshl_add_u32 v40, v40, 23, v55
	v_or3_b32 v40, v56, v40, v42
	v_lshrrev_b32_e32 v61, 16, v40
.LBB932_297:                            ;   in Loop: Header=BB932_215 Depth=1
	s_or_b64 exec, exec, s[16:17]
.LBB932_298:                            ;   in Loop: Header=BB932_215 Depth=1
	s_or_b64 exec, exec, s[14:15]
.LBB932_299:                            ;   in Loop: Header=BB932_215 Depth=1
	s_or_b64 exec, exec, s[12:13]
	v_lshrrev_b32_e32 v40, 16, v38
	v_cmp_ne_u16_sdwa s[14:15], v40, v54 src0_sel:BYTE_0 src1_sel:DWORD
	s_and_saveexec_b64 s[12:13], s[14:15]
	s_cbranch_execz .LBB932_305
; %bb.300:                              ;   in Loop: Header=BB932_215 Depth=1
	v_cmp_ne_u16_sdwa s[16:17], v40, s9 src0_sel:BYTE_0 src1_sel:DWORD
	v_mov_b32_e32 v62, 0xffff8000
	s_and_saveexec_b64 s[14:15], s[16:17]
	s_cbranch_execz .LBB932_304
; %bb.301:                              ;   in Loop: Header=BB932_215 Depth=1
	v_bfe_u32 v42, v38, 16, 7
	v_cmp_ne_u32_e32 vcc, s21, v42
	v_mov_b32_e32 v62, 0x7f80
	s_and_saveexec_b64 s[16:17], vcc
	s_cbranch_execz .LBB932_303
; %bb.302:                              ;   in Loop: Header=BB932_215 Depth=1
	v_and_b32_e32 v56, 7, v40
	v_ffbh_u32_e32 v62, v56
	v_min_u32_e32 v65, 32, v62
	v_subrev_u32_e32 v62, 28, v65
	v_lshlrev_b64 v[62:63], v62, v[40:41]
	v_lshrrev_b32_e32 v64, 3, v42
	v_sub_u32_e32 v63, 29, v65
	v_and_b32_e32 v62, 7, v62
	v_cmp_gt_u32_e32 vcc, 8, v42
	v_cndmask_b32_e32 v42, v64, v63, vcc
	v_cndmask_b32_e32 v56, v56, v62, vcc
	v_lshlrev_b32_e32 v40, 24, v40
	v_lshlrev_b32_e32 v56, 20, v56
	v_and_b32_e32 v40, 0x80000000, v40
	v_lshl_add_u32 v42, v42, 23, v55
	v_or3_b32 v40, v40, v42, v56
	v_lshrrev_b32_e32 v62, 16, v40
.LBB932_303:                            ;   in Loop: Header=BB932_215 Depth=1
	s_or_b64 exec, exec, s[16:17]
.LBB932_304:                            ;   in Loop: Header=BB932_215 Depth=1
	s_or_b64 exec, exec, s[14:15]
.LBB932_305:                            ;   in Loop: Header=BB932_215 Depth=1
	s_or_b64 exec, exec, s[12:13]
	v_cmp_lt_u32_e32 vcc, s22, v38
	v_mov_b32_e32 v56, 0
	v_mov_b32_e32 v63, 0
	s_and_saveexec_b64 s[12:13], vcc
	s_cbranch_execz .LBB932_311
; %bb.306:                              ;   in Loop: Header=BB932_215 Depth=1
	v_lshrrev_b32_e32 v40, 24, v38
	v_cmp_ne_u32_e32 vcc, s9, v40
	v_mov_b32_e32 v63, 0xffff8000
	s_and_saveexec_b64 s[14:15], vcc
	s_cbranch_execz .LBB932_310
; %bb.307:                              ;   in Loop: Header=BB932_215 Depth=1
	v_bfe_u32 v38, v38, 24, 7
	v_cmp_ne_u32_e32 vcc, s21, v38
	v_mov_b32_e32 v63, 0x7f80
	s_and_saveexec_b64 s[16:17], vcc
	s_cbranch_execz .LBB932_309
; %bb.308:                              ;   in Loop: Header=BB932_215 Depth=1
	v_and_b32_e32 v42, 7, v40
	v_ffbh_u32_e32 v64, v42
	v_min_u32_e32 v66, 32, v64
	v_subrev_u32_e32 v64, 28, v66
	v_lshlrev_b64 v[64:65], v64, v[40:41]
	v_lshrrev_b32_e32 v63, 3, v38
	v_sub_u32_e32 v65, 29, v66
	v_and_b32_e32 v64, 7, v64
	v_cmp_gt_u32_e32 vcc, 8, v38
	v_cndmask_b32_e32 v38, v63, v65, vcc
	v_cndmask_b32_e32 v42, v42, v64, vcc
	v_lshlrev_b32_e32 v40, 24, v40
	v_lshlrev_b32_e32 v42, 20, v42
	v_and_b32_e32 v40, 0x80000000, v40
	v_lshl_add_u32 v38, v38, 23, v55
	v_or3_b32 v38, v40, v38, v42
	v_lshrrev_b32_e32 v63, 16, v38
.LBB932_309:                            ;   in Loop: Header=BB932_215 Depth=1
	s_or_b64 exec, exec, s[16:17]
.LBB932_310:                            ;   in Loop: Header=BB932_215 Depth=1
	s_or_b64 exec, exec, s[14:15]
.LBB932_311:                            ;   in Loop: Header=BB932_215 Depth=1
	s_or_b64 exec, exec, s[12:13]
	v_perm_b32 v64, v57, v44, s23
	buffer_load_dword v44, v46, s[0:3], 0 offen
	buffer_load_dword v42, v46, s[0:3], 0 offen offset:4
	buffer_load_dword v40, v46, s[0:3], 0 offen offset:8
	;; [unrolled: 1-line block ×3, first 2 shown]
	v_perm_b32 v65, v60, v58, s23
	v_perm_b32 v63, v63, v62, s23
	v_perm_b32 v62, v61, v59, s23
	v_mfma_f32_16x16x16bf16_1k v[34:37], v[64:65], v[6:7], v[34:37]
	s_waitcnt vmcnt(3)
	v_cmp_ne_u16_sdwa s[14:15], v44, v54 src0_sel:BYTE_0 src1_sel:DWORD
	v_mfma_f32_16x16x16bf16_1k v[34:37], v[62:63], v[8:9], v[34:37]
	s_and_saveexec_b64 s[12:13], s[14:15]
	s_cbranch_execz .LBB932_317
; %bb.312:                              ;   in Loop: Header=BB932_215 Depth=1
	v_cmp_ne_u16_sdwa s[16:17], v44, s9 src0_sel:BYTE_0 src1_sel:DWORD
	v_mov_b32_e32 v56, 0xffff8000
	s_and_saveexec_b64 s[14:15], s[16:17]
	s_cbranch_execz .LBB932_316
; %bb.313:                              ;   in Loop: Header=BB932_215 Depth=1
	v_and_b32_e32 v46, 0x7f, v44
	v_cmp_ne_u32_e32 vcc, s21, v46
	v_mov_b32_e32 v56, 0x7f80
	s_and_saveexec_b64 s[16:17], vcc
	s_cbranch_execz .LBB932_315
; %bb.314:                              ;   in Loop: Header=BB932_215 Depth=1
	v_and_b32_e32 v58, 7, v44
	v_ffbh_u32_e32 v56, v58
	v_min_u32_e32 v60, 32, v56
	v_subrev_u32_e32 v56, 28, v60
	v_lshlrev_b64 v[56:57], v56, v[44:45]
	v_lshrrev_b32_e32 v59, 3, v46
	v_sub_u32_e32 v57, 29, v60
	v_and_b32_e32 v56, 7, v56
	v_cmp_gt_u32_e32 vcc, 8, v46
	v_cndmask_b32_e32 v46, v59, v57, vcc
	v_cndmask_b32_e32 v56, v58, v56, vcc
	v_lshlrev_b32_e32 v57, 24, v44
	v_lshlrev_b32_e32 v56, 20, v56
	v_and_b32_e32 v57, 0x80000000, v57
	v_lshl_add_u32 v46, v46, 23, v55
	v_or3_b32 v46, v57, v46, v56
	v_lshrrev_b32_e32 v56, 16, v46
.LBB932_315:                            ;   in Loop: Header=BB932_215 Depth=1
	s_or_b64 exec, exec, s[16:17]
.LBB932_316:                            ;   in Loop: Header=BB932_215 Depth=1
	s_or_b64 exec, exec, s[14:15]
.LBB932_317:                            ;   in Loop: Header=BB932_215 Depth=1
	s_or_b64 exec, exec, s[12:13]
	v_lshrrev_b16_e32 v46, 8, v44
	v_cmp_ne_u16_e32 vcc, 0, v46
	v_mov_b32_e32 v58, 0
	v_mov_b32_e32 v57, 0
	s_and_saveexec_b64 s[12:13], vcc
	s_cbranch_execz .LBB932_323
; %bb.318:                              ;   in Loop: Header=BB932_215 Depth=1
	v_cmp_ne_u16_e32 vcc, s9, v46
	v_mov_b32_e32 v57, 0xffff8000
	s_and_saveexec_b64 s[14:15], vcc
	s_cbranch_execz .LBB932_322
; %bb.319:                              ;   in Loop: Header=BB932_215 Depth=1
	v_and_b32_e32 v59, 0x7f, v46
	v_cmp_ne_u32_e32 vcc, s21, v59
	v_mov_b32_e32 v57, 0x7f80
	s_and_saveexec_b64 s[16:17], vcc
	s_cbranch_execz .LBB932_321
; %bb.320:                              ;   in Loop: Header=BB932_215 Depth=1
	v_and_b32_e32 v57, 7, v46
	v_ffbh_u32_e32 v60, v57
	v_min_u32_e32 v63, 32, v60
	v_subrev_u32_e32 v60, 28, v63
	v_lshlrev_b64 v[60:61], v60, v[46:47]
	v_lshrrev_b32_e32 v62, 3, v59
	v_sub_u32_e32 v46, 29, v63
	v_and_b32_e32 v60, 7, v60
	v_cmp_gt_u32_e32 vcc, 8, v59
	v_cndmask_b32_e32 v46, v62, v46, vcc
	v_cndmask_b32_e32 v57, v57, v60, vcc
	v_lshlrev_b32_e32 v59, 16, v44
	v_lshlrev_b32_e32 v57, 20, v57
	v_and_b32_e32 v59, 0x80000000, v59
	v_lshl_add_u32 v46, v46, 23, v55
	v_or3_b32 v46, v59, v46, v57
	v_lshrrev_b32_e32 v57, 16, v46
.LBB932_321:                            ;   in Loop: Header=BB932_215 Depth=1
	s_or_b64 exec, exec, s[16:17]
.LBB932_322:                            ;   in Loop: Header=BB932_215 Depth=1
	s_or_b64 exec, exec, s[14:15]
.LBB932_323:                            ;   in Loop: Header=BB932_215 Depth=1
	s_or_b64 exec, exec, s[12:13]
	v_lshrrev_b32_e32 v46, 16, v44
	v_cmp_ne_u16_sdwa s[14:15], v46, v54 src0_sel:BYTE_0 src1_sel:DWORD
	s_and_saveexec_b64 s[12:13], s[14:15]
	s_cbranch_execz .LBB932_329
; %bb.324:                              ;   in Loop: Header=BB932_215 Depth=1
	v_cmp_ne_u16_sdwa s[16:17], v46, s9 src0_sel:BYTE_0 src1_sel:DWORD
	v_mov_b32_e32 v58, 0xffff8000
	s_and_saveexec_b64 s[14:15], s[16:17]
	s_cbranch_execz .LBB932_328
; %bb.325:                              ;   in Loop: Header=BB932_215 Depth=1
	v_bfe_u32 v59, v44, 16, 7
	v_cmp_ne_u32_e32 vcc, s21, v59
	v_mov_b32_e32 v58, 0x7f80
	s_and_saveexec_b64 s[16:17], vcc
	s_cbranch_execz .LBB932_327
; %bb.326:                              ;   in Loop: Header=BB932_215 Depth=1
	v_and_b32_e32 v58, 7, v46
	v_ffbh_u32_e32 v60, v58
	v_min_u32_e32 v63, 32, v60
	v_subrev_u32_e32 v60, 28, v63
	v_lshlrev_b64 v[60:61], v60, v[46:47]
	v_lshrrev_b32_e32 v62, 3, v59
	v_sub_u32_e32 v61, 29, v63
	v_and_b32_e32 v60, 7, v60
	v_cmp_gt_u32_e32 vcc, 8, v59
	v_cndmask_b32_e32 v59, v62, v61, vcc
	v_cndmask_b32_e32 v58, v58, v60, vcc
	v_lshlrev_b32_e32 v46, 24, v46
	v_lshlrev_b32_e32 v58, 20, v58
	v_and_b32_e32 v46, 0x80000000, v46
	v_lshl_add_u32 v59, v59, 23, v55
	v_or3_b32 v46, v46, v59, v58
	v_lshrrev_b32_e32 v58, 16, v46
.LBB932_327:                            ;   in Loop: Header=BB932_215 Depth=1
	s_or_b64 exec, exec, s[16:17]
.LBB932_328:                            ;   in Loop: Header=BB932_215 Depth=1
	s_or_b64 exec, exec, s[14:15]
.LBB932_329:                            ;   in Loop: Header=BB932_215 Depth=1
	s_or_b64 exec, exec, s[12:13]
	v_cmp_lt_u32_e32 vcc, s22, v44
	v_mov_b32_e32 v59, 0
	v_mov_b32_e32 v60, 0
	s_and_saveexec_b64 s[12:13], vcc
	s_cbranch_execz .LBB932_335
; %bb.330:                              ;   in Loop: Header=BB932_215 Depth=1
	v_lshrrev_b32_e32 v46, 24, v44
	v_cmp_ne_u32_e32 vcc, s9, v46
	v_mov_b32_e32 v60, 0xffff8000
	s_and_saveexec_b64 s[14:15], vcc
	s_cbranch_execz .LBB932_334
; %bb.331:                              ;   in Loop: Header=BB932_215 Depth=1
	v_bfe_u32 v44, v44, 24, 7
	v_cmp_ne_u32_e32 vcc, s21, v44
	v_mov_b32_e32 v60, 0x7f80
	s_and_saveexec_b64 s[16:17], vcc
	s_cbranch_execz .LBB932_333
; %bb.332:                              ;   in Loop: Header=BB932_215 Depth=1
	v_and_b32_e32 v62, 7, v46
	v_ffbh_u32_e32 v60, v62
	v_min_u32_e32 v64, 32, v60
	v_subrev_u32_e32 v60, 28, v64
	v_lshlrev_b64 v[60:61], v60, v[46:47]
	v_lshrrev_b32_e32 v63, 3, v44
	v_sub_u32_e32 v61, 29, v64
	v_and_b32_e32 v60, 7, v60
	v_cmp_gt_u32_e32 vcc, 8, v44
	v_cndmask_b32_e32 v44, v63, v61, vcc
	v_cndmask_b32_e32 v60, v62, v60, vcc
	v_lshlrev_b32_e32 v46, 24, v46
	v_lshlrev_b32_e32 v60, 20, v60
	v_and_b32_e32 v46, 0x80000000, v46
	v_lshl_add_u32 v44, v44, 23, v55
	v_or3_b32 v44, v46, v44, v60
	v_lshrrev_b32_e32 v60, 16, v44
.LBB932_333:                            ;   in Loop: Header=BB932_215 Depth=1
	s_or_b64 exec, exec, s[16:17]
.LBB932_334:                            ;   in Loop: Header=BB932_215 Depth=1
	s_or_b64 exec, exec, s[14:15]
.LBB932_335:                            ;   in Loop: Header=BB932_215 Depth=1
	s_or_b64 exec, exec, s[12:13]
	s_waitcnt vmcnt(2)
	v_cmp_ne_u16_sdwa s[14:15], v42, v54 src0_sel:BYTE_0 src1_sel:DWORD
	s_and_saveexec_b64 s[12:13], s[14:15]
	s_cbranch_execz .LBB932_341
; %bb.336:                              ;   in Loop: Header=BB932_215 Depth=1
	v_cmp_ne_u16_sdwa s[16:17], v42, s9 src0_sel:BYTE_0 src1_sel:DWORD
	v_mov_b32_e32 v59, 0xffff8000
	s_and_saveexec_b64 s[14:15], s[16:17]
	s_cbranch_execz .LBB932_340
; %bb.337:                              ;   in Loop: Header=BB932_215 Depth=1
	v_and_b32_e32 v44, 0x7f, v42
	v_cmp_ne_u32_e32 vcc, s21, v44
	v_mov_b32_e32 v59, 0x7f80
	s_and_saveexec_b64 s[16:17], vcc
	s_cbranch_execz .LBB932_339
; %bb.338:                              ;   in Loop: Header=BB932_215 Depth=1
	v_and_b32_e32 v46, 7, v42
	v_ffbh_u32_e32 v61, v46
	v_min_u32_e32 v61, 32, v61
	v_subrev_u32_e32 v62, 28, v61
	v_lshlrev_b64 v[62:63], v62, v[42:43]
	v_lshrrev_b32_e32 v59, 3, v44
	v_sub_u32_e32 v61, 29, v61
	v_and_b32_e32 v62, 7, v62
	v_cmp_gt_u32_e32 vcc, 8, v44
	v_cndmask_b32_e32 v44, v59, v61, vcc
	v_cndmask_b32_e32 v46, v46, v62, vcc
	v_lshlrev_b32_e32 v59, 24, v42
	v_lshlrev_b32_e32 v46, 20, v46
	v_and_b32_e32 v59, 0x80000000, v59
	v_lshl_add_u32 v44, v44, 23, v55
	v_or3_b32 v44, v59, v44, v46
	v_lshrrev_b32_e32 v59, 16, v44
.LBB932_339:                            ;   in Loop: Header=BB932_215 Depth=1
	s_or_b64 exec, exec, s[16:17]
.LBB932_340:                            ;   in Loop: Header=BB932_215 Depth=1
	s_or_b64 exec, exec, s[14:15]
.LBB932_341:                            ;   in Loop: Header=BB932_215 Depth=1
	s_or_b64 exec, exec, s[12:13]
	v_lshrrev_b16_e32 v44, 8, v42
	v_cmp_ne_u16_e32 vcc, 0, v44
	v_mov_b32_e32 v62, 0
	v_mov_b32_e32 v61, 0
	s_and_saveexec_b64 s[12:13], vcc
	s_cbranch_execz .LBB932_347
; %bb.342:                              ;   in Loop: Header=BB932_215 Depth=1
	v_cmp_ne_u16_e32 vcc, s9, v44
	v_mov_b32_e32 v61, 0xffff8000
	s_and_saveexec_b64 s[14:15], vcc
	s_cbranch_execz .LBB932_346
; %bb.343:                              ;   in Loop: Header=BB932_215 Depth=1
	v_and_b32_e32 v46, 0x7f, v44
	v_cmp_ne_u32_e32 vcc, s21, v46
	v_mov_b32_e32 v61, 0x7f80
	s_and_saveexec_b64 s[16:17], vcc
	s_cbranch_execz .LBB932_345
; %bb.344:                              ;   in Loop: Header=BB932_215 Depth=1
	v_and_b32_e32 v61, 7, v44
	v_ffbh_u32_e32 v64, v61
	v_min_u32_e32 v66, 32, v64
	v_subrev_u32_e32 v64, 28, v66
	v_lshlrev_b64 v[64:65], v64, v[44:45]
	v_lshrrev_b32_e32 v63, 3, v46
	v_sub_u32_e32 v44, 29, v66
	v_and_b32_e32 v64, 7, v64
	v_cmp_gt_u32_e32 vcc, 8, v46
	v_cndmask_b32_e32 v44, v63, v44, vcc
	v_cndmask_b32_e32 v46, v61, v64, vcc
	v_lshlrev_b32_e32 v61, 16, v42
	v_lshlrev_b32_e32 v46, 20, v46
	v_and_b32_e32 v61, 0x80000000, v61
	v_lshl_add_u32 v44, v44, 23, v55
	v_or3_b32 v44, v61, v44, v46
	v_lshrrev_b32_e32 v61, 16, v44
.LBB932_345:                            ;   in Loop: Header=BB932_215 Depth=1
	s_or_b64 exec, exec, s[16:17]
.LBB932_346:                            ;   in Loop: Header=BB932_215 Depth=1
	s_or_b64 exec, exec, s[14:15]
.LBB932_347:                            ;   in Loop: Header=BB932_215 Depth=1
	s_or_b64 exec, exec, s[12:13]
	v_lshrrev_b32_e32 v44, 16, v42
	v_cmp_ne_u16_sdwa s[14:15], v44, v54 src0_sel:BYTE_0 src1_sel:DWORD
	s_and_saveexec_b64 s[12:13], s[14:15]
	s_cbranch_execz .LBB932_353
; %bb.348:                              ;   in Loop: Header=BB932_215 Depth=1
	v_cmp_ne_u16_sdwa s[16:17], v44, s9 src0_sel:BYTE_0 src1_sel:DWORD
	v_mov_b32_e32 v62, 0xffff8000
	s_and_saveexec_b64 s[14:15], s[16:17]
	s_cbranch_execz .LBB932_352
; %bb.349:                              ;   in Loop: Header=BB932_215 Depth=1
	v_bfe_u32 v46, v42, 16, 7
	v_cmp_ne_u32_e32 vcc, s21, v46
	v_mov_b32_e32 v62, 0x7f80
	s_and_saveexec_b64 s[16:17], vcc
	s_cbranch_execz .LBB932_351
; %bb.350:                              ;   in Loop: Header=BB932_215 Depth=1
	v_and_b32_e32 v64, 7, v44
	v_ffbh_u32_e32 v62, v64
	v_min_u32_e32 v66, 32, v62
	v_subrev_u32_e32 v62, 28, v66
	v_lshlrev_b64 v[62:63], v62, v[44:45]
	v_lshrrev_b32_e32 v65, 3, v46
	v_sub_u32_e32 v63, 29, v66
	v_and_b32_e32 v62, 7, v62
	v_cmp_gt_u32_e32 vcc, 8, v46
	v_cndmask_b32_e32 v46, v65, v63, vcc
	v_cndmask_b32_e32 v62, v64, v62, vcc
	v_lshlrev_b32_e32 v44, 24, v44
	v_lshlrev_b32_e32 v62, 20, v62
	v_and_b32_e32 v44, 0x80000000, v44
	v_lshl_add_u32 v46, v46, 23, v55
	v_or3_b32 v44, v44, v46, v62
	v_lshrrev_b32_e32 v62, 16, v44
.LBB932_351:                            ;   in Loop: Header=BB932_215 Depth=1
	s_or_b64 exec, exec, s[16:17]
.LBB932_352:                            ;   in Loop: Header=BB932_215 Depth=1
	s_or_b64 exec, exec, s[14:15]
.LBB932_353:                            ;   in Loop: Header=BB932_215 Depth=1
	s_or_b64 exec, exec, s[12:13]
	v_cmp_lt_u32_e32 vcc, s22, v42
	v_mov_b32_e32 v46, 0
	v_mov_b32_e32 v63, 0
	s_and_saveexec_b64 s[12:13], vcc
	s_cbranch_execz .LBB932_359
; %bb.354:                              ;   in Loop: Header=BB932_215 Depth=1
	v_lshrrev_b32_e32 v44, 24, v42
	v_cmp_ne_u32_e32 vcc, s9, v44
	v_mov_b32_e32 v63, 0xffff8000
	s_and_saveexec_b64 s[14:15], vcc
	s_cbranch_execz .LBB932_358
; %bb.355:                              ;   in Loop: Header=BB932_215 Depth=1
	v_bfe_u32 v42, v42, 24, 7
	v_cmp_ne_u32_e32 vcc, s21, v42
	v_mov_b32_e32 v63, 0x7f80
	s_and_saveexec_b64 s[16:17], vcc
	s_cbranch_execz .LBB932_357
; %bb.356:                              ;   in Loop: Header=BB932_215 Depth=1
	v_and_b32_e32 v63, 7, v44
	v_ffbh_u32_e32 v64, v63
	v_min_u32_e32 v67, 32, v64
	v_subrev_u32_e32 v64, 28, v67
	v_lshlrev_b64 v[64:65], v64, v[44:45]
	v_lshrrev_b32_e32 v66, 3, v42
	v_sub_u32_e32 v65, 29, v67
	v_and_b32_e32 v64, 7, v64
	v_cmp_gt_u32_e32 vcc, 8, v42
	v_cndmask_b32_e32 v42, v66, v65, vcc
	v_cndmask_b32_e32 v63, v63, v64, vcc
	v_lshlrev_b32_e32 v44, 24, v44
	v_lshlrev_b32_e32 v63, 20, v63
	v_and_b32_e32 v44, 0x80000000, v44
	v_lshl_add_u32 v42, v42, 23, v55
	v_or3_b32 v42, v44, v42, v63
	v_lshrrev_b32_e32 v63, 16, v42
.LBB932_357:                            ;   in Loop: Header=BB932_215 Depth=1
	s_or_b64 exec, exec, s[16:17]
.LBB932_358:                            ;   in Loop: Header=BB932_215 Depth=1
	s_or_b64 exec, exec, s[14:15]
.LBB932_359:                            ;   in Loop: Header=BB932_215 Depth=1
	s_or_b64 exec, exec, s[12:13]
	v_perm_b32 v65, v60, v58, s23
	v_perm_b32 v64, v57, v56, s23
	v_perm_b32 v57, v63, v62, s23
	v_perm_b32 v56, v61, v59, s23
	s_waitcnt vmcnt(1)
	v_cmp_ne_u16_sdwa s[14:15], v40, v54 src0_sel:BYTE_0 src1_sel:DWORD
	v_mfma_f32_16x16x16bf16_1k v[34:37], v[64:65], v[10:11], v[34:37]
	v_mfma_f32_16x16x16bf16_1k v[34:37], v[56:57], v[12:13], v[34:37]
	s_and_saveexec_b64 s[12:13], s[14:15]
	s_cbranch_execz .LBB932_365
; %bb.360:                              ;   in Loop: Header=BB932_215 Depth=1
	v_cmp_ne_u16_sdwa s[16:17], v40, s9 src0_sel:BYTE_0 src1_sel:DWORD
	v_mov_b32_e32 v46, 0xffff8000
	s_and_saveexec_b64 s[14:15], s[16:17]
	s_cbranch_execz .LBB932_364
; %bb.361:                              ;   in Loop: Header=BB932_215 Depth=1
	v_and_b32_e32 v42, 0x7f, v40
	v_cmp_ne_u32_e32 vcc, s21, v42
	v_mov_b32_e32 v46, 0x7f80
	s_and_saveexec_b64 s[16:17], vcc
	s_cbranch_execz .LBB932_363
; %bb.362:                              ;   in Loop: Header=BB932_215 Depth=1
	v_and_b32_e32 v44, 7, v40
	v_ffbh_u32_e32 v56, v44
	v_min_u32_e32 v58, 32, v56
	v_subrev_u32_e32 v56, 28, v58
	v_lshlrev_b64 v[56:57], v56, v[40:41]
	v_lshrrev_b32_e32 v46, 3, v42
	v_sub_u32_e32 v57, 29, v58
	v_and_b32_e32 v56, 7, v56
	v_cmp_gt_u32_e32 vcc, 8, v42
	v_cndmask_b32_e32 v42, v46, v57, vcc
	v_cndmask_b32_e32 v44, v44, v56, vcc
	v_lshlrev_b32_e32 v46, 24, v40
	v_lshlrev_b32_e32 v44, 20, v44
	v_and_b32_e32 v46, 0x80000000, v46
	v_lshl_add_u32 v42, v42, 23, v55
	v_or3_b32 v42, v46, v42, v44
	v_lshrrev_b32_e32 v46, 16, v42
.LBB932_363:                            ;   in Loop: Header=BB932_215 Depth=1
	s_or_b64 exec, exec, s[16:17]
.LBB932_364:                            ;   in Loop: Header=BB932_215 Depth=1
	s_or_b64 exec, exec, s[14:15]
.LBB932_365:                            ;   in Loop: Header=BB932_215 Depth=1
	s_or_b64 exec, exec, s[12:13]
	v_lshrrev_b16_e32 v42, 8, v40
	v_cmp_ne_u16_e32 vcc, 0, v42
	v_mov_b32_e32 v57, 0
	v_mov_b32_e32 v44, 0
	s_and_saveexec_b64 s[12:13], vcc
	s_cbranch_execz .LBB932_371
; %bb.366:                              ;   in Loop: Header=BB932_215 Depth=1
	v_cmp_ne_u16_e32 vcc, s9, v42
	v_mov_b32_e32 v44, 0xffff8000
	s_and_saveexec_b64 s[14:15], vcc
	s_cbranch_execz .LBB932_370
; %bb.367:                              ;   in Loop: Header=BB932_215 Depth=1
	v_and_b32_e32 v56, 0x7f, v42
	v_cmp_ne_u32_e32 vcc, s21, v56
	v_mov_b32_e32 v44, 0x7f80
	s_and_saveexec_b64 s[16:17], vcc
	s_cbranch_execz .LBB932_369
; %bb.368:                              ;   in Loop: Header=BB932_215 Depth=1
	v_and_b32_e32 v44, 7, v42
	v_ffbh_u32_e32 v58, v44
	v_min_u32_e32 v61, 32, v58
	v_subrev_u32_e32 v58, 28, v61
	v_lshlrev_b64 v[58:59], v58, v[42:43]
	v_lshrrev_b32_e32 v60, 3, v56
	v_sub_u32_e32 v42, 29, v61
	v_and_b32_e32 v58, 7, v58
	v_cmp_gt_u32_e32 vcc, 8, v56
	v_cndmask_b32_e32 v42, v60, v42, vcc
	v_cndmask_b32_e32 v44, v44, v58, vcc
	v_lshlrev_b32_e32 v56, 16, v40
	v_lshlrev_b32_e32 v44, 20, v44
	v_and_b32_e32 v56, 0x80000000, v56
	v_lshl_add_u32 v42, v42, 23, v55
	v_or3_b32 v42, v56, v42, v44
	v_lshrrev_b32_e32 v44, 16, v42
.LBB932_369:                            ;   in Loop: Header=BB932_215 Depth=1
	s_or_b64 exec, exec, s[16:17]
.LBB932_370:                            ;   in Loop: Header=BB932_215 Depth=1
	s_or_b64 exec, exec, s[14:15]
.LBB932_371:                            ;   in Loop: Header=BB932_215 Depth=1
	s_or_b64 exec, exec, s[12:13]
	v_lshrrev_b32_e32 v42, 16, v40
	v_cmp_ne_u16_sdwa s[14:15], v42, v54 src0_sel:BYTE_0 src1_sel:DWORD
	s_and_saveexec_b64 s[12:13], s[14:15]
	s_cbranch_execz .LBB932_377
; %bb.372:                              ;   in Loop: Header=BB932_215 Depth=1
	v_cmp_ne_u16_sdwa s[16:17], v42, s9 src0_sel:BYTE_0 src1_sel:DWORD
	v_mov_b32_e32 v57, 0xffff8000
	s_and_saveexec_b64 s[14:15], s[16:17]
	s_cbranch_execz .LBB932_376
; %bb.373:                              ;   in Loop: Header=BB932_215 Depth=1
	v_bfe_u32 v56, v40, 16, 7
	v_cmp_ne_u32_e32 vcc, s21, v56
	v_mov_b32_e32 v57, 0x7f80
	s_and_saveexec_b64 s[16:17], vcc
	s_cbranch_execz .LBB932_375
; %bb.374:                              ;   in Loop: Header=BB932_215 Depth=1
	v_and_b32_e32 v57, 7, v42
	v_ffbh_u32_e32 v58, v57
	v_min_u32_e32 v61, 32, v58
	v_subrev_u32_e32 v58, 28, v61
	v_lshlrev_b64 v[58:59], v58, v[42:43]
	v_lshrrev_b32_e32 v60, 3, v56
	v_sub_u32_e32 v59, 29, v61
	v_and_b32_e32 v58, 7, v58
	v_cmp_gt_u32_e32 vcc, 8, v56
	v_cndmask_b32_e32 v56, v60, v59, vcc
	v_cndmask_b32_e32 v57, v57, v58, vcc
	v_lshlrev_b32_e32 v42, 24, v42
	v_lshlrev_b32_e32 v57, 20, v57
	v_and_b32_e32 v42, 0x80000000, v42
	v_lshl_add_u32 v56, v56, 23, v55
	v_or3_b32 v42, v42, v56, v57
	v_lshrrev_b32_e32 v57, 16, v42
.LBB932_375:                            ;   in Loop: Header=BB932_215 Depth=1
	s_or_b64 exec, exec, s[16:17]
.LBB932_376:                            ;   in Loop: Header=BB932_215 Depth=1
	s_or_b64 exec, exec, s[14:15]
.LBB932_377:                            ;   in Loop: Header=BB932_215 Depth=1
	s_or_b64 exec, exec, s[12:13]
	v_cmp_lt_u32_e32 vcc, s22, v40
	v_mov_b32_e32 v58, 0
	v_mov_b32_e32 v59, 0
	s_and_saveexec_b64 s[12:13], vcc
	s_cbranch_execz .LBB932_383
; %bb.378:                              ;   in Loop: Header=BB932_215 Depth=1
	v_lshrrev_b32_e32 v42, 24, v40
	v_cmp_ne_u32_e32 vcc, s9, v42
	v_mov_b32_e32 v59, 0xffff8000
	s_and_saveexec_b64 s[14:15], vcc
	s_cbranch_execz .LBB932_382
; %bb.379:                              ;   in Loop: Header=BB932_215 Depth=1
	v_bfe_u32 v40, v40, 24, 7
	v_cmp_ne_u32_e32 vcc, s21, v40
	v_mov_b32_e32 v59, 0x7f80
	s_and_saveexec_b64 s[16:17], vcc
	s_cbranch_execz .LBB932_381
; %bb.380:                              ;   in Loop: Header=BB932_215 Depth=1
	v_and_b32_e32 v56, 7, v42
	v_ffbh_u32_e32 v60, v56
	v_min_u32_e32 v62, 32, v60
	v_subrev_u32_e32 v60, 28, v62
	v_lshlrev_b64 v[60:61], v60, v[42:43]
	v_lshrrev_b32_e32 v59, 3, v40
	v_sub_u32_e32 v61, 29, v62
	v_and_b32_e32 v60, 7, v60
	v_cmp_gt_u32_e32 vcc, 8, v40
	v_cndmask_b32_e32 v40, v59, v61, vcc
	v_cndmask_b32_e32 v56, v56, v60, vcc
	v_lshlrev_b32_e32 v42, 24, v42
	v_lshlrev_b32_e32 v56, 20, v56
	v_and_b32_e32 v42, 0x80000000, v42
	v_lshl_add_u32 v40, v40, 23, v55
	v_or3_b32 v40, v42, v40, v56
	v_lshrrev_b32_e32 v59, 16, v40
.LBB932_381:                            ;   in Loop: Header=BB932_215 Depth=1
	s_or_b64 exec, exec, s[16:17]
.LBB932_382:                            ;   in Loop: Header=BB932_215 Depth=1
	s_or_b64 exec, exec, s[14:15]
.LBB932_383:                            ;   in Loop: Header=BB932_215 Depth=1
	s_or_b64 exec, exec, s[12:13]
	s_waitcnt vmcnt(0)
	v_cmp_ne_u16_sdwa s[14:15], v38, v54 src0_sel:BYTE_0 src1_sel:DWORD
	s_and_saveexec_b64 s[12:13], s[14:15]
	s_cbranch_execz .LBB932_389
; %bb.384:                              ;   in Loop: Header=BB932_215 Depth=1
	v_cmp_ne_u16_sdwa s[16:17], v38, s9 src0_sel:BYTE_0 src1_sel:DWORD
	v_mov_b32_e32 v58, 0xffff8000
	s_and_saveexec_b64 s[14:15], s[16:17]
	s_cbranch_execz .LBB932_388
; %bb.385:                              ;   in Loop: Header=BB932_215 Depth=1
	v_and_b32_e32 v40, 0x7f, v38
	v_cmp_ne_u32_e32 vcc, s21, v40
	v_mov_b32_e32 v58, 0x7f80
	s_and_saveexec_b64 s[16:17], vcc
	s_cbranch_execz .LBB932_387
; %bb.386:                              ;   in Loop: Header=BB932_215 Depth=1
	v_and_b32_e32 v42, 7, v38
	v_ffbh_u32_e32 v58, v42
	v_min_u32_e32 v58, 32, v58
	v_subrev_u32_e32 v60, 28, v58
	v_lshlrev_b64 v[60:61], v60, v[38:39]
	v_lshrrev_b32_e32 v56, 3, v40
	v_sub_u32_e32 v58, 29, v58
	v_and_b32_e32 v60, 7, v60
	v_cmp_gt_u32_e32 vcc, 8, v40
	v_cndmask_b32_e32 v40, v56, v58, vcc
	v_cndmask_b32_e32 v42, v42, v60, vcc
	v_lshlrev_b32_e32 v56, 24, v38
	v_lshlrev_b32_e32 v42, 20, v42
	v_and_b32_e32 v56, 0x80000000, v56
	v_lshl_add_u32 v40, v40, 23, v55
	v_or3_b32 v40, v56, v40, v42
	v_lshrrev_b32_e32 v58, 16, v40
.LBB932_387:                            ;   in Loop: Header=BB932_215 Depth=1
	s_or_b64 exec, exec, s[16:17]
.LBB932_388:                            ;   in Loop: Header=BB932_215 Depth=1
	s_or_b64 exec, exec, s[14:15]
.LBB932_389:                            ;   in Loop: Header=BB932_215 Depth=1
	s_or_b64 exec, exec, s[12:13]
	v_lshrrev_b16_e32 v40, 8, v38
	v_cmp_ne_u16_e32 vcc, 0, v40
	v_mov_b32_e32 v61, 0
	v_mov_b32_e32 v60, 0
	s_and_saveexec_b64 s[12:13], vcc
	s_cbranch_execz .LBB932_395
; %bb.390:                              ;   in Loop: Header=BB932_215 Depth=1
	v_cmp_ne_u16_e32 vcc, s9, v40
	v_mov_b32_e32 v60, 0xffff8000
	s_and_saveexec_b64 s[14:15], vcc
	s_cbranch_execz .LBB932_394
; %bb.391:                              ;   in Loop: Header=BB932_215 Depth=1
	v_and_b32_e32 v42, 0x7f, v40
	v_cmp_ne_u32_e32 vcc, s21, v42
	v_mov_b32_e32 v60, 0x7f80
	s_and_saveexec_b64 s[16:17], vcc
	s_cbranch_execz .LBB932_393
; %bb.392:                              ;   in Loop: Header=BB932_215 Depth=1
	v_and_b32_e32 v56, 7, v40
	v_ffbh_u32_e32 v62, v56
	v_min_u32_e32 v64, 32, v62
	v_subrev_u32_e32 v62, 28, v64
	v_lshlrev_b64 v[62:63], v62, v[40:41]
	v_lshrrev_b32_e32 v60, 3, v42
	v_sub_u32_e32 v40, 29, v64
	v_and_b32_e32 v62, 7, v62
	v_cmp_gt_u32_e32 vcc, 8, v42
	v_cndmask_b32_e32 v40, v60, v40, vcc
	v_cndmask_b32_e32 v42, v56, v62, vcc
	v_lshlrev_b32_e32 v56, 16, v38
	v_lshlrev_b32_e32 v42, 20, v42
	v_and_b32_e32 v56, 0x80000000, v56
	v_lshl_add_u32 v40, v40, 23, v55
	v_or3_b32 v40, v56, v40, v42
	v_lshrrev_b32_e32 v60, 16, v40
.LBB932_393:                            ;   in Loop: Header=BB932_215 Depth=1
	s_or_b64 exec, exec, s[16:17]
.LBB932_394:                            ;   in Loop: Header=BB932_215 Depth=1
	s_or_b64 exec, exec, s[14:15]
.LBB932_395:                            ;   in Loop: Header=BB932_215 Depth=1
	s_or_b64 exec, exec, s[12:13]
	v_lshrrev_b32_e32 v40, 16, v38
	v_cmp_ne_u16_sdwa s[14:15], v40, v54 src0_sel:BYTE_0 src1_sel:DWORD
	s_and_saveexec_b64 s[12:13], s[14:15]
	s_cbranch_execz .LBB932_401
; %bb.396:                              ;   in Loop: Header=BB932_215 Depth=1
	v_cmp_ne_u16_sdwa s[16:17], v40, s9 src0_sel:BYTE_0 src1_sel:DWORD
	v_mov_b32_e32 v61, 0xffff8000
	s_and_saveexec_b64 s[14:15], s[16:17]
	s_cbranch_execz .LBB932_400
; %bb.397:                              ;   in Loop: Header=BB932_215 Depth=1
	v_bfe_u32 v42, v38, 16, 7
	v_cmp_ne_u32_e32 vcc, s21, v42
	v_mov_b32_e32 v61, 0x7f80
	s_and_saveexec_b64 s[16:17], vcc
	s_cbranch_execz .LBB932_399
; %bb.398:                              ;   in Loop: Header=BB932_215 Depth=1
	v_and_b32_e32 v56, 7, v40
	v_ffbh_u32_e32 v62, v56
	v_min_u32_e32 v64, 32, v62
	v_subrev_u32_e32 v62, 28, v64
	v_lshlrev_b64 v[62:63], v62, v[40:41]
	v_lshrrev_b32_e32 v61, 3, v42
	v_sub_u32_e32 v63, 29, v64
	v_and_b32_e32 v62, 7, v62
	v_cmp_gt_u32_e32 vcc, 8, v42
	v_cndmask_b32_e32 v42, v61, v63, vcc
	v_cndmask_b32_e32 v56, v56, v62, vcc
	v_lshlrev_b32_e32 v40, 24, v40
	v_lshlrev_b32_e32 v56, 20, v56
	v_and_b32_e32 v40, 0x80000000, v40
	v_lshl_add_u32 v42, v42, 23, v55
	v_or3_b32 v40, v40, v42, v56
	v_lshrrev_b32_e32 v61, 16, v40
.LBB932_399:                            ;   in Loop: Header=BB932_215 Depth=1
	s_or_b64 exec, exec, s[16:17]
.LBB932_400:                            ;   in Loop: Header=BB932_215 Depth=1
	s_or_b64 exec, exec, s[14:15]
.LBB932_401:                            ;   in Loop: Header=BB932_215 Depth=1
	s_or_b64 exec, exec, s[12:13]
	v_cmp_lt_u32_e32 vcc, s22, v38
	v_mov_b32_e32 v56, 0
	v_mov_b32_e32 v62, 0
	s_and_saveexec_b64 s[12:13], vcc
	s_cbranch_execz .LBB932_407
; %bb.402:                              ;   in Loop: Header=BB932_215 Depth=1
	v_lshrrev_b32_e32 v40, 24, v38
	v_cmp_ne_u32_e32 vcc, s9, v40
	v_mov_b32_e32 v62, 0xffff8000
	s_and_saveexec_b64 s[14:15], vcc
	s_cbranch_execz .LBB932_406
; %bb.403:                              ;   in Loop: Header=BB932_215 Depth=1
	v_bfe_u32 v38, v38, 24, 7
	v_cmp_ne_u32_e32 vcc, s21, v38
	v_mov_b32_e32 v62, 0x7f80
	s_and_saveexec_b64 s[16:17], vcc
	s_cbranch_execz .LBB932_405
; %bb.404:                              ;   in Loop: Header=BB932_215 Depth=1
	v_and_b32_e32 v42, 7, v40
	v_ffbh_u32_e32 v62, v42
	v_min_u32_e32 v65, 32, v62
	v_subrev_u32_e32 v62, 28, v65
	v_lshlrev_b64 v[62:63], v62, v[40:41]
	v_lshrrev_b32_e32 v64, 3, v38
	v_sub_u32_e32 v63, 29, v65
	v_and_b32_e32 v62, 7, v62
	v_cmp_gt_u32_e32 vcc, 8, v38
	v_cndmask_b32_e32 v38, v64, v63, vcc
	v_cndmask_b32_e32 v42, v42, v62, vcc
	v_lshlrev_b32_e32 v40, 24, v40
	v_lshlrev_b32_e32 v42, 20, v42
	v_and_b32_e32 v40, 0x80000000, v40
	v_lshl_add_u32 v38, v38, 23, v55
	v_or3_b32 v38, v40, v38, v42
	v_lshrrev_b32_e32 v62, 16, v38
.LBB932_405:                            ;   in Loop: Header=BB932_215 Depth=1
	s_or_b64 exec, exec, s[16:17]
.LBB932_406:                            ;   in Loop: Header=BB932_215 Depth=1
	s_or_b64 exec, exec, s[14:15]
.LBB932_407:                            ;   in Loop: Header=BB932_215 Depth=1
	s_or_b64 exec, exec, s[12:13]
	v_perm_b32 v64, v44, v46, s23
	buffer_load_dword v44, v51, s[0:3], 0 offen
	buffer_load_dword v42, v51, s[0:3], 0 offen offset:4
	buffer_load_dword v40, v51, s[0:3], 0 offen offset:8
	buffer_load_dword v38, v51, s[0:3], 0 offen offset:12
	v_perm_b32 v65, v59, v57, s23
	v_perm_b32 v59, v62, v61, s23
	;; [unrolled: 1-line block ×3, first 2 shown]
	v_mfma_f32_16x16x16bf16_1k v[34:37], v[64:65], v[14:15], v[34:37]
	s_waitcnt vmcnt(3)
	v_cmp_ne_u16_sdwa s[14:15], v44, v54 src0_sel:BYTE_0 src1_sel:DWORD
	v_mfma_f32_16x16x16bf16_1k v[34:37], v[58:59], v[16:17], v[34:37]
	s_and_saveexec_b64 s[12:13], s[14:15]
	s_cbranch_execz .LBB932_413
; %bb.408:                              ;   in Loop: Header=BB932_215 Depth=1
	v_cmp_ne_u16_sdwa s[16:17], v44, s9 src0_sel:BYTE_0 src1_sel:DWORD
	v_mov_b32_e32 v56, 0xffff8000
	s_and_saveexec_b64 s[14:15], s[16:17]
	s_cbranch_execz .LBB932_412
; %bb.409:                              ;   in Loop: Header=BB932_215 Depth=1
	v_and_b32_e32 v46, 0x7f, v44
	v_cmp_ne_u32_e32 vcc, s21, v46
	v_mov_b32_e32 v56, 0x7f80
	s_and_saveexec_b64 s[16:17], vcc
	s_cbranch_execz .LBB932_411
; %bb.410:                              ;   in Loop: Header=BB932_215 Depth=1
	v_and_b32_e32 v51, 7, v44
	v_ffbh_u32_e32 v56, v51
	v_min_u32_e32 v59, 32, v56
	v_subrev_u32_e32 v56, 28, v59
	v_lshlrev_b64 v[56:57], v56, v[44:45]
	v_lshrrev_b32_e32 v58, 3, v46
	v_sub_u32_e32 v57, 29, v59
	v_and_b32_e32 v56, 7, v56
	v_cmp_gt_u32_e32 vcc, 8, v46
	v_cndmask_b32_e32 v46, v58, v57, vcc
	v_cndmask_b32_e32 v51, v51, v56, vcc
	v_lshlrev_b32_e32 v56, 24, v44
	v_lshlrev_b32_e32 v51, 20, v51
	v_and_b32_e32 v56, 0x80000000, v56
	v_lshl_add_u32 v46, v46, 23, v55
	v_or3_b32 v46, v56, v46, v51
	v_lshrrev_b32_e32 v56, 16, v46
.LBB932_411:                            ;   in Loop: Header=BB932_215 Depth=1
	s_or_b64 exec, exec, s[16:17]
.LBB932_412:                            ;   in Loop: Header=BB932_215 Depth=1
	s_or_b64 exec, exec, s[14:15]
.LBB932_413:                            ;   in Loop: Header=BB932_215 Depth=1
	s_or_b64 exec, exec, s[12:13]
	v_lshrrev_b16_e32 v46, 8, v44
	v_cmp_ne_u16_e32 vcc, 0, v46
	v_mov_b32_e32 v57, 0
	v_mov_b32_e32 v51, 0
	s_and_saveexec_b64 s[12:13], vcc
	s_cbranch_execz .LBB932_419
; %bb.414:                              ;   in Loop: Header=BB932_215 Depth=1
	v_cmp_ne_u16_e32 vcc, s9, v46
	v_mov_b32_e32 v51, 0xffff8000
	s_and_saveexec_b64 s[14:15], vcc
	s_cbranch_execz .LBB932_418
; %bb.415:                              ;   in Loop: Header=BB932_215 Depth=1
	v_and_b32_e32 v58, 0x7f, v46
	v_cmp_ne_u32_e32 vcc, s21, v58
	v_mov_b32_e32 v51, 0x7f80
	s_and_saveexec_b64 s[16:17], vcc
	s_cbranch_execz .LBB932_417
; %bb.416:                              ;   in Loop: Header=BB932_215 Depth=1
	v_and_b32_e32 v51, 7, v46
	v_ffbh_u32_e32 v60, v51
	v_min_u32_e32 v62, 32, v60
	v_subrev_u32_e32 v60, 28, v62
	v_lshlrev_b64 v[60:61], v60, v[46:47]
	v_lshrrev_b32_e32 v59, 3, v58
	v_sub_u32_e32 v46, 29, v62
	v_and_b32_e32 v60, 7, v60
	v_cmp_gt_u32_e32 vcc, 8, v58
	v_cndmask_b32_e32 v46, v59, v46, vcc
	v_cndmask_b32_e32 v51, v51, v60, vcc
	v_lshlrev_b32_e32 v58, 16, v44
	v_lshlrev_b32_e32 v51, 20, v51
	v_and_b32_e32 v58, 0x80000000, v58
	v_lshl_add_u32 v46, v46, 23, v55
	v_or3_b32 v46, v58, v46, v51
	v_lshrrev_b32_e32 v51, 16, v46
.LBB932_417:                            ;   in Loop: Header=BB932_215 Depth=1
	s_or_b64 exec, exec, s[16:17]
.LBB932_418:                            ;   in Loop: Header=BB932_215 Depth=1
	s_or_b64 exec, exec, s[14:15]
.LBB932_419:                            ;   in Loop: Header=BB932_215 Depth=1
	s_or_b64 exec, exec, s[12:13]
	v_lshrrev_b32_e32 v46, 16, v44
	v_cmp_ne_u16_sdwa s[14:15], v46, v54 src0_sel:BYTE_0 src1_sel:DWORD
	s_and_saveexec_b64 s[12:13], s[14:15]
	s_cbranch_execz .LBB932_425
; %bb.420:                              ;   in Loop: Header=BB932_215 Depth=1
	v_cmp_ne_u16_sdwa s[16:17], v46, s9 src0_sel:BYTE_0 src1_sel:DWORD
	v_mov_b32_e32 v57, 0xffff8000
	s_and_saveexec_b64 s[14:15], s[16:17]
	s_cbranch_execz .LBB932_424
; %bb.421:                              ;   in Loop: Header=BB932_215 Depth=1
	v_bfe_u32 v58, v44, 16, 7
	v_cmp_ne_u32_e32 vcc, s21, v58
	v_mov_b32_e32 v57, 0x7f80
	s_and_saveexec_b64 s[16:17], vcc
	s_cbranch_execz .LBB932_423
; %bb.422:                              ;   in Loop: Header=BB932_215 Depth=1
	v_and_b32_e32 v57, 7, v46
	v_ffbh_u32_e32 v60, v57
	v_min_u32_e32 v62, 32, v60
	v_subrev_u32_e32 v60, 28, v62
	v_lshlrev_b64 v[60:61], v60, v[46:47]
	v_lshrrev_b32_e32 v59, 3, v58
	v_sub_u32_e32 v61, 29, v62
	v_and_b32_e32 v60, 7, v60
	v_cmp_gt_u32_e32 vcc, 8, v58
	v_cndmask_b32_e32 v58, v59, v61, vcc
	v_cndmask_b32_e32 v57, v57, v60, vcc
	v_lshlrev_b32_e32 v46, 24, v46
	v_lshlrev_b32_e32 v57, 20, v57
	v_and_b32_e32 v46, 0x80000000, v46
	v_lshl_add_u32 v58, v58, 23, v55
	v_or3_b32 v46, v46, v58, v57
	v_lshrrev_b32_e32 v57, 16, v46
.LBB932_423:                            ;   in Loop: Header=BB932_215 Depth=1
	s_or_b64 exec, exec, s[16:17]
.LBB932_424:                            ;   in Loop: Header=BB932_215 Depth=1
	s_or_b64 exec, exec, s[14:15]
.LBB932_425:                            ;   in Loop: Header=BB932_215 Depth=1
	s_or_b64 exec, exec, s[12:13]
	v_cmp_lt_u32_e32 vcc, s22, v44
	v_mov_b32_e32 v58, 0
	v_mov_b32_e32 v59, 0
	s_and_saveexec_b64 s[12:13], vcc
	s_cbranch_execz .LBB932_431
; %bb.426:                              ;   in Loop: Header=BB932_215 Depth=1
	v_lshrrev_b32_e32 v46, 24, v44
	v_cmp_ne_u32_e32 vcc, s9, v46
	v_mov_b32_e32 v59, 0xffff8000
	s_and_saveexec_b64 s[14:15], vcc
	s_cbranch_execz .LBB932_430
; %bb.427:                              ;   in Loop: Header=BB932_215 Depth=1
	v_bfe_u32 v44, v44, 24, 7
	v_cmp_ne_u32_e32 vcc, s21, v44
	v_mov_b32_e32 v59, 0x7f80
	s_and_saveexec_b64 s[16:17], vcc
	s_cbranch_execz .LBB932_429
; %bb.428:                              ;   in Loop: Header=BB932_215 Depth=1
	v_and_b32_e32 v59, 7, v46
	v_ffbh_u32_e32 v60, v59
	v_min_u32_e32 v63, 32, v60
	v_subrev_u32_e32 v60, 28, v63
	v_lshlrev_b64 v[60:61], v60, v[46:47]
	v_lshrrev_b32_e32 v62, 3, v44
	v_sub_u32_e32 v61, 29, v63
	v_and_b32_e32 v60, 7, v60
	v_cmp_gt_u32_e32 vcc, 8, v44
	v_cndmask_b32_e32 v44, v62, v61, vcc
	v_cndmask_b32_e32 v59, v59, v60, vcc
	v_lshlrev_b32_e32 v46, 24, v46
	v_lshlrev_b32_e32 v59, 20, v59
	v_and_b32_e32 v46, 0x80000000, v46
	v_lshl_add_u32 v44, v44, 23, v55
	v_or3_b32 v44, v46, v44, v59
	v_lshrrev_b32_e32 v59, 16, v44
.LBB932_429:                            ;   in Loop: Header=BB932_215 Depth=1
	s_or_b64 exec, exec, s[16:17]
.LBB932_430:                            ;   in Loop: Header=BB932_215 Depth=1
	s_or_b64 exec, exec, s[14:15]
.LBB932_431:                            ;   in Loop: Header=BB932_215 Depth=1
	s_or_b64 exec, exec, s[12:13]
	s_waitcnt vmcnt(2)
	v_cmp_ne_u16_sdwa s[14:15], v42, v54 src0_sel:BYTE_0 src1_sel:DWORD
	s_and_saveexec_b64 s[12:13], s[14:15]
	s_cbranch_execz .LBB932_437
; %bb.432:                              ;   in Loop: Header=BB932_215 Depth=1
	v_cmp_ne_u16_sdwa s[16:17], v42, s9 src0_sel:BYTE_0 src1_sel:DWORD
	v_mov_b32_e32 v58, 0xffff8000
	s_and_saveexec_b64 s[14:15], s[16:17]
	s_cbranch_execz .LBB932_436
; %bb.433:                              ;   in Loop: Header=BB932_215 Depth=1
	v_and_b32_e32 v44, 0x7f, v42
	v_cmp_ne_u32_e32 vcc, s21, v44
	v_mov_b32_e32 v58, 0x7f80
	s_and_saveexec_b64 s[16:17], vcc
	s_cbranch_execz .LBB932_435
; %bb.434:                              ;   in Loop: Header=BB932_215 Depth=1
	v_and_b32_e32 v46, 7, v42
	v_ffbh_u32_e32 v60, v46
	v_min_u32_e32 v62, 32, v60
	v_subrev_u32_e32 v60, 28, v62
	v_lshlrev_b64 v[60:61], v60, v[42:43]
	v_lshrrev_b32_e32 v58, 3, v44
	v_sub_u32_e32 v61, 29, v62
	v_and_b32_e32 v60, 7, v60
	v_cmp_gt_u32_e32 vcc, 8, v44
	v_cndmask_b32_e32 v44, v58, v61, vcc
	v_cndmask_b32_e32 v46, v46, v60, vcc
	v_lshlrev_b32_e32 v58, 24, v42
	v_lshlrev_b32_e32 v46, 20, v46
	v_and_b32_e32 v58, 0x80000000, v58
	v_lshl_add_u32 v44, v44, 23, v55
	v_or3_b32 v44, v58, v44, v46
	v_lshrrev_b32_e32 v58, 16, v44
.LBB932_435:                            ;   in Loop: Header=BB932_215 Depth=1
	s_or_b64 exec, exec, s[16:17]
.LBB932_436:                            ;   in Loop: Header=BB932_215 Depth=1
	s_or_b64 exec, exec, s[14:15]
.LBB932_437:                            ;   in Loop: Header=BB932_215 Depth=1
	s_or_b64 exec, exec, s[12:13]
	v_lshrrev_b16_e32 v44, 8, v42
	v_cmp_ne_u16_e32 vcc, 0, v44
	v_mov_b32_e32 v61, 0
	v_mov_b32_e32 v60, 0
	s_and_saveexec_b64 s[12:13], vcc
	s_cbranch_execz .LBB932_443
; %bb.438:                              ;   in Loop: Header=BB932_215 Depth=1
	v_cmp_ne_u16_e32 vcc, s9, v44
	v_mov_b32_e32 v60, 0xffff8000
	s_and_saveexec_b64 s[14:15], vcc
	s_cbranch_execz .LBB932_442
; %bb.439:                              ;   in Loop: Header=BB932_215 Depth=1
	v_and_b32_e32 v46, 0x7f, v44
	v_cmp_ne_u32_e32 vcc, s21, v46
	v_mov_b32_e32 v60, 0x7f80
	s_and_saveexec_b64 s[16:17], vcc
	s_cbranch_execz .LBB932_441
; %bb.440:                              ;   in Loop: Header=BB932_215 Depth=1
	v_and_b32_e32 v60, 7, v44
	v_ffbh_u32_e32 v62, v60
	v_min_u32_e32 v65, 32, v62
	v_subrev_u32_e32 v62, 28, v65
	v_lshlrev_b64 v[62:63], v62, v[44:45]
	v_lshrrev_b32_e32 v64, 3, v46
	v_sub_u32_e32 v44, 29, v65
	v_and_b32_e32 v62, 7, v62
	v_cmp_gt_u32_e32 vcc, 8, v46
	v_cndmask_b32_e32 v44, v64, v44, vcc
	v_cndmask_b32_e32 v46, v60, v62, vcc
	v_lshlrev_b32_e32 v60, 16, v42
	v_lshlrev_b32_e32 v46, 20, v46
	v_and_b32_e32 v60, 0x80000000, v60
	v_lshl_add_u32 v44, v44, 23, v55
	v_or3_b32 v44, v60, v44, v46
	v_lshrrev_b32_e32 v60, 16, v44
.LBB932_441:                            ;   in Loop: Header=BB932_215 Depth=1
	s_or_b64 exec, exec, s[16:17]
.LBB932_442:                            ;   in Loop: Header=BB932_215 Depth=1
	s_or_b64 exec, exec, s[14:15]
.LBB932_443:                            ;   in Loop: Header=BB932_215 Depth=1
	s_or_b64 exec, exec, s[12:13]
	v_lshrrev_b32_e32 v44, 16, v42
	v_cmp_ne_u16_sdwa s[14:15], v44, v54 src0_sel:BYTE_0 src1_sel:DWORD
	s_and_saveexec_b64 s[12:13], s[14:15]
	s_cbranch_execz .LBB932_449
; %bb.444:                              ;   in Loop: Header=BB932_215 Depth=1
	v_cmp_ne_u16_sdwa s[16:17], v44, s9 src0_sel:BYTE_0 src1_sel:DWORD
	v_mov_b32_e32 v61, 0xffff8000
	s_and_saveexec_b64 s[14:15], s[16:17]
	s_cbranch_execz .LBB932_448
; %bb.445:                              ;   in Loop: Header=BB932_215 Depth=1
	v_bfe_u32 v46, v42, 16, 7
	v_cmp_ne_u32_e32 vcc, s21, v46
	v_mov_b32_e32 v61, 0x7f80
	s_and_saveexec_b64 s[16:17], vcc
	s_cbranch_execz .LBB932_447
; %bb.446:                              ;   in Loop: Header=BB932_215 Depth=1
	v_and_b32_e32 v61, 7, v44
	v_ffbh_u32_e32 v62, v61
	v_min_u32_e32 v65, 32, v62
	v_subrev_u32_e32 v62, 28, v65
	v_lshlrev_b64 v[62:63], v62, v[44:45]
	v_lshrrev_b32_e32 v64, 3, v46
	v_sub_u32_e32 v63, 29, v65
	v_and_b32_e32 v62, 7, v62
	v_cmp_gt_u32_e32 vcc, 8, v46
	v_cndmask_b32_e32 v46, v64, v63, vcc
	v_cndmask_b32_e32 v61, v61, v62, vcc
	v_lshlrev_b32_e32 v44, 24, v44
	v_lshlrev_b32_e32 v61, 20, v61
	v_and_b32_e32 v44, 0x80000000, v44
	v_lshl_add_u32 v46, v46, 23, v55
	v_or3_b32 v44, v44, v46, v61
	v_lshrrev_b32_e32 v61, 16, v44
.LBB932_447:                            ;   in Loop: Header=BB932_215 Depth=1
	s_or_b64 exec, exec, s[16:17]
.LBB932_448:                            ;   in Loop: Header=BB932_215 Depth=1
	s_or_b64 exec, exec, s[14:15]
.LBB932_449:                            ;   in Loop: Header=BB932_215 Depth=1
	s_or_b64 exec, exec, s[12:13]
	v_cmp_lt_u32_e32 vcc, s22, v42
	v_mov_b32_e32 v46, 0
	v_mov_b32_e32 v62, 0
	s_and_saveexec_b64 s[12:13], vcc
	s_cbranch_execz .LBB932_455
; %bb.450:                              ;   in Loop: Header=BB932_215 Depth=1
	v_lshrrev_b32_e32 v44, 24, v42
	v_cmp_ne_u32_e32 vcc, s9, v44
	v_mov_b32_e32 v62, 0xffff8000
	s_and_saveexec_b64 s[14:15], vcc
	s_cbranch_execz .LBB932_454
; %bb.451:                              ;   in Loop: Header=BB932_215 Depth=1
	v_bfe_u32 v42, v42, 24, 7
	v_cmp_ne_u32_e32 vcc, s21, v42
	v_mov_b32_e32 v62, 0x7f80
	s_and_saveexec_b64 s[16:17], vcc
	s_cbranch_execz .LBB932_453
; %bb.452:                              ;   in Loop: Header=BB932_215 Depth=1
	v_and_b32_e32 v64, 7, v44
	v_ffbh_u32_e32 v62, v64
	v_min_u32_e32 v66, 32, v62
	v_subrev_u32_e32 v62, 28, v66
	v_lshlrev_b64 v[62:63], v62, v[44:45]
	v_lshrrev_b32_e32 v65, 3, v42
	v_sub_u32_e32 v63, 29, v66
	v_and_b32_e32 v62, 7, v62
	v_cmp_gt_u32_e32 vcc, 8, v42
	v_cndmask_b32_e32 v42, v65, v63, vcc
	v_cndmask_b32_e32 v62, v64, v62, vcc
	v_lshlrev_b32_e32 v44, 24, v44
	v_lshlrev_b32_e32 v62, 20, v62
	v_and_b32_e32 v44, 0x80000000, v44
	v_lshl_add_u32 v42, v42, 23, v55
	v_or3_b32 v42, v44, v42, v62
	v_lshrrev_b32_e32 v62, 16, v42
.LBB932_453:                            ;   in Loop: Header=BB932_215 Depth=1
	s_or_b64 exec, exec, s[16:17]
.LBB932_454:                            ;   in Loop: Header=BB932_215 Depth=1
	s_or_b64 exec, exec, s[14:15]
.LBB932_455:                            ;   in Loop: Header=BB932_215 Depth=1
	s_or_b64 exec, exec, s[12:13]
	v_perm_b32 v57, v59, v57, s23
	v_perm_b32 v56, v51, v56, s23
	s_waitcnt vmcnt(1)
	v_cmp_ne_u16_sdwa s[14:15], v40, v54 src0_sel:BYTE_0 src1_sel:DWORD
	v_mfma_f32_16x16x16bf16_1k v[34:37], v[56:57], v[18:19], v[34:37]
	v_perm_b32 v57, v62, v61, s23
	v_perm_b32 v56, v60, v58, s23
	s_nop 1
	v_mfma_f32_16x16x16bf16_1k v[34:37], v[56:57], v[20:21], v[34:37]
	s_and_saveexec_b64 s[12:13], s[14:15]
	s_cbranch_execz .LBB932_461
; %bb.456:                              ;   in Loop: Header=BB932_215 Depth=1
	v_cmp_ne_u16_sdwa s[16:17], v40, s9 src0_sel:BYTE_0 src1_sel:DWORD
	v_mov_b32_e32 v46, 0xffff8000
	s_and_saveexec_b64 s[14:15], s[16:17]
	s_cbranch_execz .LBB932_460
; %bb.457:                              ;   in Loop: Header=BB932_215 Depth=1
	v_and_b32_e32 v42, 0x7f, v40
	v_cmp_ne_u32_e32 vcc, s21, v42
	v_mov_b32_e32 v46, 0x7f80
	s_and_saveexec_b64 s[16:17], vcc
	s_cbranch_execz .LBB932_459
; %bb.458:                              ;   in Loop: Header=BB932_215 Depth=1
	v_and_b32_e32 v44, 7, v40
	v_ffbh_u32_e32 v51, v44
	v_min_u32_e32 v51, 32, v51
	v_subrev_u32_e32 v56, 28, v51
	v_lshlrev_b64 v[56:57], v56, v[40:41]
	v_lshrrev_b32_e32 v46, 3, v42
	v_sub_u32_e32 v51, 29, v51
	v_and_b32_e32 v56, 7, v56
	v_cmp_gt_u32_e32 vcc, 8, v42
	v_cndmask_b32_e32 v42, v46, v51, vcc
	v_cndmask_b32_e32 v44, v44, v56, vcc
	v_lshlrev_b32_e32 v46, 24, v40
	v_lshlrev_b32_e32 v44, 20, v44
	v_and_b32_e32 v46, 0x80000000, v46
	v_lshl_add_u32 v42, v42, 23, v55
	v_or3_b32 v42, v46, v42, v44
	v_lshrrev_b32_e32 v46, 16, v42
.LBB932_459:                            ;   in Loop: Header=BB932_215 Depth=1
	s_or_b64 exec, exec, s[16:17]
.LBB932_460:                            ;   in Loop: Header=BB932_215 Depth=1
	s_or_b64 exec, exec, s[14:15]
.LBB932_461:                            ;   in Loop: Header=BB932_215 Depth=1
	s_or_b64 exec, exec, s[12:13]
	v_lshrrev_b16_e32 v42, 8, v40
	v_cmp_ne_u16_e32 vcc, 0, v42
	v_mov_b32_e32 v56, 0
	v_mov_b32_e32 v44, 0
	s_and_saveexec_b64 s[12:13], vcc
	s_cbranch_execz .LBB932_467
; %bb.462:                              ;   in Loop: Header=BB932_215 Depth=1
	v_cmp_ne_u16_e32 vcc, s9, v42
	v_mov_b32_e32 v44, 0xffff8000
	s_and_saveexec_b64 s[14:15], vcc
	s_cbranch_execz .LBB932_466
; %bb.463:                              ;   in Loop: Header=BB932_215 Depth=1
	v_and_b32_e32 v51, 0x7f, v42
	v_cmp_ne_u32_e32 vcc, s21, v51
	v_mov_b32_e32 v44, 0x7f80
	s_and_saveexec_b64 s[16:17], vcc
	s_cbranch_execz .LBB932_465
; %bb.464:                              ;   in Loop: Header=BB932_215 Depth=1
	v_and_b32_e32 v44, 7, v42
	v_ffbh_u32_e32 v58, v44
	v_min_u32_e32 v60, 32, v58
	v_subrev_u32_e32 v58, 28, v60
	v_lshlrev_b64 v[58:59], v58, v[42:43]
	v_lshrrev_b32_e32 v57, 3, v51
	v_sub_u32_e32 v42, 29, v60
	v_and_b32_e32 v58, 7, v58
	v_cmp_gt_u32_e32 vcc, 8, v51
	v_cndmask_b32_e32 v42, v57, v42, vcc
	v_cndmask_b32_e32 v44, v44, v58, vcc
	v_lshlrev_b32_e32 v51, 16, v40
	v_lshlrev_b32_e32 v44, 20, v44
	v_and_b32_e32 v51, 0x80000000, v51
	v_lshl_add_u32 v42, v42, 23, v55
	v_or3_b32 v42, v51, v42, v44
	v_lshrrev_b32_e32 v44, 16, v42
.LBB932_465:                            ;   in Loop: Header=BB932_215 Depth=1
	s_or_b64 exec, exec, s[16:17]
.LBB932_466:                            ;   in Loop: Header=BB932_215 Depth=1
	s_or_b64 exec, exec, s[14:15]
.LBB932_467:                            ;   in Loop: Header=BB932_215 Depth=1
	s_or_b64 exec, exec, s[12:13]
	v_lshrrev_b32_e32 v42, 16, v40
	v_cmp_ne_u16_sdwa s[14:15], v42, v54 src0_sel:BYTE_0 src1_sel:DWORD
	s_and_saveexec_b64 s[12:13], s[14:15]
	s_cbranch_execz .LBB932_473
; %bb.468:                              ;   in Loop: Header=BB932_215 Depth=1
	v_cmp_ne_u16_sdwa s[16:17], v42, s9 src0_sel:BYTE_0 src1_sel:DWORD
	v_mov_b32_e32 v56, 0xffff8000
	s_and_saveexec_b64 s[14:15], s[16:17]
	s_cbranch_execz .LBB932_472
; %bb.469:                              ;   in Loop: Header=BB932_215 Depth=1
	v_bfe_u32 v51, v40, 16, 7
	v_cmp_ne_u32_e32 vcc, s21, v51
	v_mov_b32_e32 v56, 0x7f80
	s_and_saveexec_b64 s[16:17], vcc
	s_cbranch_execz .LBB932_471
; %bb.470:                              ;   in Loop: Header=BB932_215 Depth=1
	v_and_b32_e32 v58, 7, v42
	v_ffbh_u32_e32 v56, v58
	v_min_u32_e32 v60, 32, v56
	v_subrev_u32_e32 v56, 28, v60
	v_lshlrev_b64 v[56:57], v56, v[42:43]
	v_lshrrev_b32_e32 v59, 3, v51
	v_sub_u32_e32 v57, 29, v60
	v_and_b32_e32 v56, 7, v56
	v_cmp_gt_u32_e32 vcc, 8, v51
	v_cndmask_b32_e32 v51, v59, v57, vcc
	v_cndmask_b32_e32 v56, v58, v56, vcc
	v_lshlrev_b32_e32 v42, 24, v42
	v_lshlrev_b32_e32 v56, 20, v56
	v_and_b32_e32 v42, 0x80000000, v42
	v_lshl_add_u32 v51, v51, 23, v55
	v_or3_b32 v42, v42, v51, v56
	v_lshrrev_b32_e32 v56, 16, v42
.LBB932_471:                            ;   in Loop: Header=BB932_215 Depth=1
	s_or_b64 exec, exec, s[16:17]
.LBB932_472:                            ;   in Loop: Header=BB932_215 Depth=1
	s_or_b64 exec, exec, s[14:15]
.LBB932_473:                            ;   in Loop: Header=BB932_215 Depth=1
	s_or_b64 exec, exec, s[12:13]
	v_cmp_lt_u32_e32 vcc, s22, v40
	v_mov_b32_e32 v57, 0
	v_mov_b32_e32 v58, 0
	s_and_saveexec_b64 s[12:13], vcc
	s_cbranch_execz .LBB932_479
; %bb.474:                              ;   in Loop: Header=BB932_215 Depth=1
	v_lshrrev_b32_e32 v42, 24, v40
	v_cmp_ne_u32_e32 vcc, s9, v42
	v_mov_b32_e32 v58, 0xffff8000
	s_and_saveexec_b64 s[14:15], vcc
	s_cbranch_execz .LBB932_478
; %bb.475:                              ;   in Loop: Header=BB932_215 Depth=1
	v_bfe_u32 v40, v40, 24, 7
	v_cmp_ne_u32_e32 vcc, s21, v40
	v_mov_b32_e32 v58, 0x7f80
	s_and_saveexec_b64 s[16:17], vcc
	s_cbranch_execz .LBB932_477
; %bb.476:                              ;   in Loop: Header=BB932_215 Depth=1
	v_and_b32_e32 v51, 7, v42
	v_ffbh_u32_e32 v58, v51
	v_min_u32_e32 v61, 32, v58
	v_subrev_u32_e32 v58, 28, v61
	v_lshlrev_b64 v[58:59], v58, v[42:43]
	v_lshrrev_b32_e32 v60, 3, v40
	v_sub_u32_e32 v59, 29, v61
	v_and_b32_e32 v58, 7, v58
	v_cmp_gt_u32_e32 vcc, 8, v40
	v_cndmask_b32_e32 v40, v60, v59, vcc
	v_cndmask_b32_e32 v51, v51, v58, vcc
	v_lshlrev_b32_e32 v42, 24, v42
	v_lshlrev_b32_e32 v51, 20, v51
	v_and_b32_e32 v42, 0x80000000, v42
	v_lshl_add_u32 v40, v40, 23, v55
	v_or3_b32 v40, v42, v40, v51
	v_lshrrev_b32_e32 v58, 16, v40
.LBB932_477:                            ;   in Loop: Header=BB932_215 Depth=1
	s_or_b64 exec, exec, s[16:17]
.LBB932_478:                            ;   in Loop: Header=BB932_215 Depth=1
	s_or_b64 exec, exec, s[14:15]
.LBB932_479:                            ;   in Loop: Header=BB932_215 Depth=1
	s_or_b64 exec, exec, s[12:13]
	s_waitcnt vmcnt(0)
	v_cmp_ne_u16_sdwa s[14:15], v38, v54 src0_sel:BYTE_0 src1_sel:DWORD
	s_and_saveexec_b64 s[12:13], s[14:15]
	s_cbranch_execz .LBB932_485
; %bb.480:                              ;   in Loop: Header=BB932_215 Depth=1
	v_cmp_ne_u16_sdwa s[16:17], v38, s9 src0_sel:BYTE_0 src1_sel:DWORD
	v_mov_b32_e32 v57, 0xffff8000
	s_and_saveexec_b64 s[14:15], s[16:17]
	s_cbranch_execz .LBB932_484
; %bb.481:                              ;   in Loop: Header=BB932_215 Depth=1
	v_and_b32_e32 v40, 0x7f, v38
	v_cmp_ne_u32_e32 vcc, s21, v40
	v_mov_b32_e32 v57, 0x7f80
	s_and_saveexec_b64 s[16:17], vcc
	s_cbranch_execz .LBB932_483
; %bb.482:                              ;   in Loop: Header=BB932_215 Depth=1
	v_and_b32_e32 v42, 7, v38
	v_ffbh_u32_e32 v57, v42
	v_min_u32_e32 v57, 32, v57
	v_subrev_u32_e32 v59, 28, v57
	v_lshlrev_b64 v[60:61], v59, v[38:39]
	v_lshrrev_b32_e32 v51, 3, v40
	v_sub_u32_e32 v57, 29, v57
	v_and_b32_e32 v59, 7, v60
	v_cmp_gt_u32_e32 vcc, 8, v40
	v_cndmask_b32_e32 v40, v51, v57, vcc
	v_cndmask_b32_e32 v42, v42, v59, vcc
	v_lshlrev_b32_e32 v51, 24, v38
	v_lshlrev_b32_e32 v42, 20, v42
	v_and_b32_e32 v51, 0x80000000, v51
	v_lshl_add_u32 v40, v40, 23, v55
	v_or3_b32 v40, v51, v40, v42
	v_lshrrev_b32_e32 v57, 16, v40
.LBB932_483:                            ;   in Loop: Header=BB932_215 Depth=1
	s_or_b64 exec, exec, s[16:17]
.LBB932_484:                            ;   in Loop: Header=BB932_215 Depth=1
	s_or_b64 exec, exec, s[14:15]
.LBB932_485:                            ;   in Loop: Header=BB932_215 Depth=1
	s_or_b64 exec, exec, s[12:13]
	v_lshrrev_b16_e32 v40, 8, v38
	v_cmp_ne_u16_e32 vcc, 0, v40
	v_mov_b32_e32 v60, 0
	v_mov_b32_e32 v59, 0
	s_and_saveexec_b64 s[12:13], vcc
	s_cbranch_execz .LBB932_491
; %bb.486:                              ;   in Loop: Header=BB932_215 Depth=1
	v_cmp_ne_u16_e32 vcc, s9, v40
	v_mov_b32_e32 v59, 0xffff8000
	s_and_saveexec_b64 s[14:15], vcc
	s_cbranch_execz .LBB932_490
; %bb.487:                              ;   in Loop: Header=BB932_215 Depth=1
	v_and_b32_e32 v42, 0x7f, v40
	v_cmp_ne_u32_e32 vcc, s21, v42
	v_mov_b32_e32 v59, 0x7f80
	s_and_saveexec_b64 s[16:17], vcc
	s_cbranch_execz .LBB932_489
; %bb.488:                              ;   in Loop: Header=BB932_215 Depth=1
	v_and_b32_e32 v51, 7, v40
	v_ffbh_u32_e32 v61, v51
	v_min_u32_e32 v61, 32, v61
	v_subrev_u32_e32 v62, 28, v61
	v_lshlrev_b64 v[62:63], v62, v[40:41]
	v_lshrrev_b32_e32 v59, 3, v42
	v_sub_u32_e32 v40, 29, v61
	v_and_b32_e32 v61, 7, v62
	v_cmp_gt_u32_e32 vcc, 8, v42
	v_cndmask_b32_e32 v40, v59, v40, vcc
	v_cndmask_b32_e32 v42, v51, v61, vcc
	v_lshlrev_b32_e32 v51, 16, v38
	v_lshlrev_b32_e32 v42, 20, v42
	v_and_b32_e32 v51, 0x80000000, v51
	v_lshl_add_u32 v40, v40, 23, v55
	v_or3_b32 v40, v51, v40, v42
	v_lshrrev_b32_e32 v59, 16, v40
.LBB932_489:                            ;   in Loop: Header=BB932_215 Depth=1
	s_or_b64 exec, exec, s[16:17]
.LBB932_490:                            ;   in Loop: Header=BB932_215 Depth=1
	s_or_b64 exec, exec, s[14:15]
.LBB932_491:                            ;   in Loop: Header=BB932_215 Depth=1
	s_or_b64 exec, exec, s[12:13]
	v_lshrrev_b32_e32 v40, 16, v38
	v_cmp_ne_u16_sdwa s[14:15], v40, v54 src0_sel:BYTE_0 src1_sel:DWORD
	s_and_saveexec_b64 s[12:13], s[14:15]
	s_cbranch_execz .LBB932_497
; %bb.492:                              ;   in Loop: Header=BB932_215 Depth=1
	v_cmp_ne_u16_sdwa s[16:17], v40, s9 src0_sel:BYTE_0 src1_sel:DWORD
	v_mov_b32_e32 v60, 0xffff8000
	s_and_saveexec_b64 s[14:15], s[16:17]
	s_cbranch_execz .LBB932_496
; %bb.493:                              ;   in Loop: Header=BB932_215 Depth=1
	v_bfe_u32 v42, v38, 16, 7
	v_cmp_ne_u32_e32 vcc, s21, v42
	v_mov_b32_e32 v60, 0x7f80
	s_and_saveexec_b64 s[16:17], vcc
	s_cbranch_execz .LBB932_495
; %bb.494:                              ;   in Loop: Header=BB932_215 Depth=1
	v_and_b32_e32 v51, 7, v40
	v_ffbh_u32_e32 v60, v51
	v_min_u32_e32 v63, 32, v60
	v_subrev_u32_e32 v60, 28, v63
	v_lshlrev_b64 v[60:61], v60, v[40:41]
	v_lshrrev_b32_e32 v62, 3, v42
	v_sub_u32_e32 v61, 29, v63
	v_and_b32_e32 v60, 7, v60
	v_cmp_gt_u32_e32 vcc, 8, v42
	v_cndmask_b32_e32 v42, v62, v61, vcc
	v_cndmask_b32_e32 v51, v51, v60, vcc
	v_lshlrev_b32_e32 v40, 24, v40
	v_lshlrev_b32_e32 v51, 20, v51
	v_and_b32_e32 v40, 0x80000000, v40
	v_lshl_add_u32 v42, v42, 23, v55
	v_or3_b32 v40, v40, v42, v51
	v_lshrrev_b32_e32 v60, 16, v40
.LBB932_495:                            ;   in Loop: Header=BB932_215 Depth=1
	s_or_b64 exec, exec, s[16:17]
.LBB932_496:                            ;   in Loop: Header=BB932_215 Depth=1
	s_or_b64 exec, exec, s[14:15]
.LBB932_497:                            ;   in Loop: Header=BB932_215 Depth=1
	s_or_b64 exec, exec, s[12:13]
	v_cmp_lt_u32_e32 vcc, s22, v38
	v_mov_b32_e32 v51, 0
	v_mov_b32_e32 v61, 0
	s_and_saveexec_b64 s[12:13], vcc
	s_cbranch_execz .LBB932_503
; %bb.498:                              ;   in Loop: Header=BB932_215 Depth=1
	v_lshrrev_b32_e32 v40, 24, v38
	v_cmp_ne_u32_e32 vcc, s9, v40
	v_mov_b32_e32 v61, 0xffff8000
	s_and_saveexec_b64 s[14:15], vcc
	s_cbranch_execz .LBB932_502
; %bb.499:                              ;   in Loop: Header=BB932_215 Depth=1
	v_bfe_u32 v38, v38, 24, 7
	v_cmp_ne_u32_e32 vcc, s21, v38
	v_mov_b32_e32 v61, 0x7f80
	s_and_saveexec_b64 s[16:17], vcc
	s_cbranch_execz .LBB932_501
; %bb.500:                              ;   in Loop: Header=BB932_215 Depth=1
	v_and_b32_e32 v42, 7, v40
	v_ffbh_u32_e32 v62, v42
	v_min_u32_e32 v64, 32, v62
	v_subrev_u32_e32 v62, 28, v64
	v_lshlrev_b64 v[62:63], v62, v[40:41]
	v_lshrrev_b32_e32 v61, 3, v38
	v_sub_u32_e32 v63, 29, v64
	v_and_b32_e32 v62, 7, v62
	v_cmp_gt_u32_e32 vcc, 8, v38
	v_cndmask_b32_e32 v38, v61, v63, vcc
	v_cndmask_b32_e32 v42, v42, v62, vcc
	v_lshlrev_b32_e32 v40, 24, v40
	v_lshlrev_b32_e32 v42, 20, v42
	v_and_b32_e32 v40, 0x80000000, v40
	v_lshl_add_u32 v38, v38, 23, v55
	v_or3_b32 v38, v40, v38, v42
	v_lshrrev_b32_e32 v61, 16, v38
.LBB932_501:                            ;   in Loop: Header=BB932_215 Depth=1
	s_or_b64 exec, exec, s[16:17]
.LBB932_502:                            ;   in Loop: Header=BB932_215 Depth=1
	s_or_b64 exec, exec, s[14:15]
.LBB932_503:                            ;   in Loop: Header=BB932_215 Depth=1
	s_or_b64 exec, exec, s[12:13]
	v_perm_b32 v62, v44, v46, s23
	buffer_load_dword v44, v50, s[0:3], 0 offen
	buffer_load_dword v42, v50, s[0:3], 0 offen offset:4
	buffer_load_dword v40, v50, s[0:3], 0 offen offset:8
	;; [unrolled: 1-line block ×3, first 2 shown]
	v_perm_b32 v63, v58, v56, s23
	v_perm_b32 v61, v61, v60, s23
	;; [unrolled: 1-line block ×3, first 2 shown]
	v_mfma_f32_16x16x16bf16_1k v[34:37], v[62:63], v[22:23], v[34:37]
	s_waitcnt vmcnt(3)
	v_cmp_ne_u16_sdwa s[14:15], v44, v54 src0_sel:BYTE_0 src1_sel:DWORD
	v_mfma_f32_16x16x16bf16_1k v[34:37], v[60:61], v[24:25], v[34:37]
	s_and_saveexec_b64 s[12:13], s[14:15]
	s_cbranch_execz .LBB932_509
; %bb.504:                              ;   in Loop: Header=BB932_215 Depth=1
	v_cmp_ne_u16_sdwa s[16:17], v44, s9 src0_sel:BYTE_0 src1_sel:DWORD
	v_mov_b32_e32 v51, 0xffff8000
	s_and_saveexec_b64 s[14:15], s[16:17]
	s_cbranch_execz .LBB932_508
; %bb.505:                              ;   in Loop: Header=BB932_215 Depth=1
	v_and_b32_e32 v46, 0x7f, v44
	v_cmp_ne_u32_e32 vcc, s21, v46
	v_mov_b32_e32 v51, 0x7f80
	s_and_saveexec_b64 s[16:17], vcc
	s_cbranch_execz .LBB932_507
; %bb.506:                              ;   in Loop: Header=BB932_215 Depth=1
	v_and_b32_e32 v56, 7, v44
	v_ffbh_u32_e32 v50, v56
	v_min_u32_e32 v58, 32, v50
	v_subrev_u32_e32 v50, 28, v58
	v_lshlrev_b64 v[50:51], v50, v[44:45]
	v_lshrrev_b32_e32 v57, 3, v46
	v_sub_u32_e32 v51, 29, v58
	v_and_b32_e32 v50, 7, v50
	v_cmp_gt_u32_e32 vcc, 8, v46
	v_cndmask_b32_e32 v46, v57, v51, vcc
	v_cndmask_b32_e32 v50, v56, v50, vcc
	v_lshlrev_b32_e32 v51, 24, v44
	v_lshlrev_b32_e32 v50, 20, v50
	v_and_b32_e32 v51, 0x80000000, v51
	v_lshl_add_u32 v46, v46, 23, v55
	v_or3_b32 v46, v51, v46, v50
	v_lshrrev_b32_e32 v51, 16, v46
.LBB932_507:                            ;   in Loop: Header=BB932_215 Depth=1
	s_or_b64 exec, exec, s[16:17]
.LBB932_508:                            ;   in Loop: Header=BB932_215 Depth=1
	s_or_b64 exec, exec, s[14:15]
.LBB932_509:                            ;   in Loop: Header=BB932_215 Depth=1
	s_or_b64 exec, exec, s[12:13]
	v_lshrrev_b16_e32 v46, 8, v44
	v_cmp_ne_u16_e32 vcc, 0, v46
	v_mov_b32_e32 v56, 0
	v_mov_b32_e32 v50, 0
	s_and_saveexec_b64 s[12:13], vcc
	s_cbranch_execz .LBB932_515
; %bb.510:                              ;   in Loop: Header=BB932_215 Depth=1
	v_cmp_ne_u16_e32 vcc, s9, v46
	v_mov_b32_e32 v50, 0xffff8000
	s_and_saveexec_b64 s[14:15], vcc
	s_cbranch_execz .LBB932_514
; %bb.511:                              ;   in Loop: Header=BB932_215 Depth=1
	v_and_b32_e32 v57, 0x7f, v46
	v_cmp_ne_u32_e32 vcc, s21, v57
	v_mov_b32_e32 v50, 0x7f80
	s_and_saveexec_b64 s[16:17], vcc
	s_cbranch_execz .LBB932_513
; %bb.512:                              ;   in Loop: Header=BB932_215 Depth=1
	v_and_b32_e32 v50, 7, v46
	v_ffbh_u32_e32 v58, v50
	v_min_u32_e32 v61, 32, v58
	v_subrev_u32_e32 v58, 28, v61
	v_lshlrev_b64 v[58:59], v58, v[46:47]
	v_lshrrev_b32_e32 v60, 3, v57
	v_sub_u32_e32 v46, 29, v61
	v_and_b32_e32 v58, 7, v58
	v_cmp_gt_u32_e32 vcc, 8, v57
	v_cndmask_b32_e32 v46, v60, v46, vcc
	v_cndmask_b32_e32 v50, v50, v58, vcc
	v_lshlrev_b32_e32 v57, 16, v44
	v_lshlrev_b32_e32 v50, 20, v50
	v_and_b32_e32 v57, 0x80000000, v57
	v_lshl_add_u32 v46, v46, 23, v55
	v_or3_b32 v46, v57, v46, v50
	v_lshrrev_b32_e32 v50, 16, v46
.LBB932_513:                            ;   in Loop: Header=BB932_215 Depth=1
	s_or_b64 exec, exec, s[16:17]
.LBB932_514:                            ;   in Loop: Header=BB932_215 Depth=1
	s_or_b64 exec, exec, s[14:15]
.LBB932_515:                            ;   in Loop: Header=BB932_215 Depth=1
	s_or_b64 exec, exec, s[12:13]
	v_lshrrev_b32_e32 v46, 16, v44
	v_cmp_ne_u16_sdwa s[14:15], v46, v54 src0_sel:BYTE_0 src1_sel:DWORD
	s_and_saveexec_b64 s[12:13], s[14:15]
	s_cbranch_execz .LBB932_521
; %bb.516:                              ;   in Loop: Header=BB932_215 Depth=1
	v_cmp_ne_u16_sdwa s[16:17], v46, s9 src0_sel:BYTE_0 src1_sel:DWORD
	v_mov_b32_e32 v56, 0xffff8000
	s_and_saveexec_b64 s[14:15], s[16:17]
	s_cbranch_execz .LBB932_520
; %bb.517:                              ;   in Loop: Header=BB932_215 Depth=1
	v_bfe_u32 v57, v44, 16, 7
	v_cmp_ne_u32_e32 vcc, s21, v57
	v_mov_b32_e32 v56, 0x7f80
	s_and_saveexec_b64 s[16:17], vcc
	s_cbranch_execz .LBB932_519
; %bb.518:                              ;   in Loop: Header=BB932_215 Depth=1
	v_and_b32_e32 v56, 7, v46
	v_ffbh_u32_e32 v58, v56
	v_min_u32_e32 v61, 32, v58
	v_subrev_u32_e32 v58, 28, v61
	v_lshlrev_b64 v[58:59], v58, v[46:47]
	v_lshrrev_b32_e32 v60, 3, v57
	v_sub_u32_e32 v59, 29, v61
	v_and_b32_e32 v58, 7, v58
	v_cmp_gt_u32_e32 vcc, 8, v57
	v_cndmask_b32_e32 v57, v60, v59, vcc
	v_cndmask_b32_e32 v56, v56, v58, vcc
	v_lshlrev_b32_e32 v46, 24, v46
	v_lshlrev_b32_e32 v56, 20, v56
	v_and_b32_e32 v46, 0x80000000, v46
	v_lshl_add_u32 v57, v57, 23, v55
	v_or3_b32 v46, v46, v57, v56
	v_lshrrev_b32_e32 v56, 16, v46
.LBB932_519:                            ;   in Loop: Header=BB932_215 Depth=1
	s_or_b64 exec, exec, s[16:17]
.LBB932_520:                            ;   in Loop: Header=BB932_215 Depth=1
	s_or_b64 exec, exec, s[14:15]
.LBB932_521:                            ;   in Loop: Header=BB932_215 Depth=1
	s_or_b64 exec, exec, s[12:13]
	v_cmp_lt_u32_e32 vcc, s22, v44
	v_mov_b32_e32 v57, 0
	v_mov_b32_e32 v58, 0
	s_and_saveexec_b64 s[12:13], vcc
	s_cbranch_execz .LBB932_527
; %bb.522:                              ;   in Loop: Header=BB932_215 Depth=1
	v_lshrrev_b32_e32 v46, 24, v44
	v_cmp_ne_u32_e32 vcc, s9, v46
	v_mov_b32_e32 v58, 0xffff8000
	s_and_saveexec_b64 s[14:15], vcc
	s_cbranch_execz .LBB932_526
; %bb.523:                              ;   in Loop: Header=BB932_215 Depth=1
	v_bfe_u32 v44, v44, 24, 7
	v_cmp_ne_u32_e32 vcc, s21, v44
	v_mov_b32_e32 v58, 0x7f80
	s_and_saveexec_b64 s[16:17], vcc
	s_cbranch_execz .LBB932_525
; %bb.524:                              ;   in Loop: Header=BB932_215 Depth=1
	v_and_b32_e32 v60, 7, v46
	v_ffbh_u32_e32 v58, v60
	v_min_u32_e32 v62, 32, v58
	v_subrev_u32_e32 v58, 28, v62
	v_lshlrev_b64 v[58:59], v58, v[46:47]
	v_lshrrev_b32_e32 v61, 3, v44
	v_sub_u32_e32 v59, 29, v62
	v_and_b32_e32 v58, 7, v58
	v_cmp_gt_u32_e32 vcc, 8, v44
	v_cndmask_b32_e32 v44, v61, v59, vcc
	v_cndmask_b32_e32 v58, v60, v58, vcc
	v_lshlrev_b32_e32 v46, 24, v46
	v_lshlrev_b32_e32 v58, 20, v58
	v_and_b32_e32 v46, 0x80000000, v46
	v_lshl_add_u32 v44, v44, 23, v55
	v_or3_b32 v44, v46, v44, v58
	v_lshrrev_b32_e32 v58, 16, v44
.LBB932_525:                            ;   in Loop: Header=BB932_215 Depth=1
	s_or_b64 exec, exec, s[16:17]
.LBB932_526:                            ;   in Loop: Header=BB932_215 Depth=1
	s_or_b64 exec, exec, s[14:15]
.LBB932_527:                            ;   in Loop: Header=BB932_215 Depth=1
	s_or_b64 exec, exec, s[12:13]
	s_waitcnt vmcnt(2)
	v_cmp_ne_u16_sdwa s[14:15], v42, v54 src0_sel:BYTE_0 src1_sel:DWORD
	s_and_saveexec_b64 s[12:13], s[14:15]
	s_cbranch_execz .LBB932_533
; %bb.528:                              ;   in Loop: Header=BB932_215 Depth=1
	v_cmp_ne_u16_sdwa s[16:17], v42, s9 src0_sel:BYTE_0 src1_sel:DWORD
	v_mov_b32_e32 v57, 0xffff8000
	s_and_saveexec_b64 s[14:15], s[16:17]
	s_cbranch_execz .LBB932_532
; %bb.529:                              ;   in Loop: Header=BB932_215 Depth=1
	v_and_b32_e32 v44, 0x7f, v42
	v_cmp_ne_u32_e32 vcc, s21, v44
	v_mov_b32_e32 v57, 0x7f80
	s_and_saveexec_b64 s[16:17], vcc
	s_cbranch_execz .LBB932_531
; %bb.530:                              ;   in Loop: Header=BB932_215 Depth=1
	v_and_b32_e32 v46, 7, v42
	v_ffbh_u32_e32 v59, v46
	v_min_u32_e32 v59, 32, v59
	v_subrev_u32_e32 v60, 28, v59
	v_lshlrev_b64 v[60:61], v60, v[42:43]
	v_lshrrev_b32_e32 v57, 3, v44
	v_sub_u32_e32 v59, 29, v59
	v_and_b32_e32 v60, 7, v60
	v_cmp_gt_u32_e32 vcc, 8, v44
	v_cndmask_b32_e32 v44, v57, v59, vcc
	v_cndmask_b32_e32 v46, v46, v60, vcc
	v_lshlrev_b32_e32 v57, 24, v42
	v_lshlrev_b32_e32 v46, 20, v46
	v_and_b32_e32 v57, 0x80000000, v57
	v_lshl_add_u32 v44, v44, 23, v55
	v_or3_b32 v44, v57, v44, v46
	v_lshrrev_b32_e32 v57, 16, v44
.LBB932_531:                            ;   in Loop: Header=BB932_215 Depth=1
	s_or_b64 exec, exec, s[16:17]
.LBB932_532:                            ;   in Loop: Header=BB932_215 Depth=1
	s_or_b64 exec, exec, s[14:15]
.LBB932_533:                            ;   in Loop: Header=BB932_215 Depth=1
	s_or_b64 exec, exec, s[12:13]
	v_lshrrev_b16_e32 v44, 8, v42
	v_cmp_ne_u16_e32 vcc, 0, v44
	v_mov_b32_e32 v60, 0
	v_mov_b32_e32 v59, 0
	s_and_saveexec_b64 s[12:13], vcc
	s_cbranch_execz .LBB932_539
; %bb.534:                              ;   in Loop: Header=BB932_215 Depth=1
	v_cmp_ne_u16_e32 vcc, s9, v44
	v_mov_b32_e32 v59, 0xffff8000
	s_and_saveexec_b64 s[14:15], vcc
	s_cbranch_execz .LBB932_538
; %bb.535:                              ;   in Loop: Header=BB932_215 Depth=1
	v_and_b32_e32 v46, 0x7f, v44
	v_cmp_ne_u32_e32 vcc, s21, v46
	v_mov_b32_e32 v59, 0x7f80
	s_and_saveexec_b64 s[16:17], vcc
	s_cbranch_execz .LBB932_537
; %bb.536:                              ;   in Loop: Header=BB932_215 Depth=1
	v_and_b32_e32 v59, 7, v44
	v_ffbh_u32_e32 v62, v59
	v_min_u32_e32 v64, 32, v62
	v_subrev_u32_e32 v62, 28, v64
	v_lshlrev_b64 v[62:63], v62, v[44:45]
	v_lshrrev_b32_e32 v61, 3, v46
	v_sub_u32_e32 v44, 29, v64
	v_and_b32_e32 v62, 7, v62
	v_cmp_gt_u32_e32 vcc, 8, v46
	v_cndmask_b32_e32 v44, v61, v44, vcc
	v_cndmask_b32_e32 v46, v59, v62, vcc
	v_lshlrev_b32_e32 v59, 16, v42
	v_lshlrev_b32_e32 v46, 20, v46
	v_and_b32_e32 v59, 0x80000000, v59
	v_lshl_add_u32 v44, v44, 23, v55
	v_or3_b32 v44, v59, v44, v46
	v_lshrrev_b32_e32 v59, 16, v44
.LBB932_537:                            ;   in Loop: Header=BB932_215 Depth=1
	s_or_b64 exec, exec, s[16:17]
.LBB932_538:                            ;   in Loop: Header=BB932_215 Depth=1
	s_or_b64 exec, exec, s[14:15]
.LBB932_539:                            ;   in Loop: Header=BB932_215 Depth=1
	s_or_b64 exec, exec, s[12:13]
	v_lshrrev_b32_e32 v44, 16, v42
	v_cmp_ne_u16_sdwa s[14:15], v44, v54 src0_sel:BYTE_0 src1_sel:DWORD
	s_and_saveexec_b64 s[12:13], s[14:15]
	s_cbranch_execz .LBB932_545
; %bb.540:                              ;   in Loop: Header=BB932_215 Depth=1
	v_cmp_ne_u16_sdwa s[16:17], v44, s9 src0_sel:BYTE_0 src1_sel:DWORD
	v_mov_b32_e32 v60, 0xffff8000
	s_and_saveexec_b64 s[14:15], s[16:17]
	s_cbranch_execz .LBB932_544
; %bb.541:                              ;   in Loop: Header=BB932_215 Depth=1
	v_bfe_u32 v46, v42, 16, 7
	v_cmp_ne_u32_e32 vcc, s21, v46
	v_mov_b32_e32 v60, 0x7f80
	s_and_saveexec_b64 s[16:17], vcc
	s_cbranch_execz .LBB932_543
; %bb.542:                              ;   in Loop: Header=BB932_215 Depth=1
	v_and_b32_e32 v62, 7, v44
	v_ffbh_u32_e32 v60, v62
	v_min_u32_e32 v64, 32, v60
	v_subrev_u32_e32 v60, 28, v64
	v_lshlrev_b64 v[60:61], v60, v[44:45]
	v_lshrrev_b32_e32 v63, 3, v46
	v_sub_u32_e32 v61, 29, v64
	v_and_b32_e32 v60, 7, v60
	v_cmp_gt_u32_e32 vcc, 8, v46
	v_cndmask_b32_e32 v46, v63, v61, vcc
	v_cndmask_b32_e32 v60, v62, v60, vcc
	v_lshlrev_b32_e32 v44, 24, v44
	v_lshlrev_b32_e32 v60, 20, v60
	v_and_b32_e32 v44, 0x80000000, v44
	v_lshl_add_u32 v46, v46, 23, v55
	v_or3_b32 v44, v44, v46, v60
	v_lshrrev_b32_e32 v60, 16, v44
.LBB932_543:                            ;   in Loop: Header=BB932_215 Depth=1
	s_or_b64 exec, exec, s[16:17]
.LBB932_544:                            ;   in Loop: Header=BB932_215 Depth=1
	s_or_b64 exec, exec, s[14:15]
.LBB932_545:                            ;   in Loop: Header=BB932_215 Depth=1
	s_or_b64 exec, exec, s[12:13]
	v_cmp_lt_u32_e32 vcc, s22, v42
	v_mov_b32_e32 v46, 0
	v_mov_b32_e32 v61, 0
	s_and_saveexec_b64 s[12:13], vcc
	s_cbranch_execz .LBB932_551
; %bb.546:                              ;   in Loop: Header=BB932_215 Depth=1
	v_lshrrev_b32_e32 v44, 24, v42
	v_cmp_ne_u32_e32 vcc, s9, v44
	v_mov_b32_e32 v61, 0xffff8000
	s_and_saveexec_b64 s[14:15], vcc
	s_cbranch_execz .LBB932_550
; %bb.547:                              ;   in Loop: Header=BB932_215 Depth=1
	v_bfe_u32 v42, v42, 24, 7
	v_cmp_ne_u32_e32 vcc, s21, v42
	v_mov_b32_e32 v61, 0x7f80
	s_and_saveexec_b64 s[16:17], vcc
	s_cbranch_execz .LBB932_549
; %bb.548:                              ;   in Loop: Header=BB932_215 Depth=1
	v_and_b32_e32 v61, 7, v44
	v_ffbh_u32_e32 v62, v61
	v_min_u32_e32 v65, 32, v62
	v_subrev_u32_e32 v62, 28, v65
	v_lshlrev_b64 v[62:63], v62, v[44:45]
	v_lshrrev_b32_e32 v64, 3, v42
	v_sub_u32_e32 v63, 29, v65
	v_and_b32_e32 v62, 7, v62
	v_cmp_gt_u32_e32 vcc, 8, v42
	v_cndmask_b32_e32 v42, v64, v63, vcc
	v_cndmask_b32_e32 v61, v61, v62, vcc
	v_lshlrev_b32_e32 v44, 24, v44
	v_lshlrev_b32_e32 v61, 20, v61
	v_and_b32_e32 v44, 0x80000000, v44
	v_lshl_add_u32 v42, v42, 23, v55
	v_or3_b32 v42, v44, v42, v61
	v_lshrrev_b32_e32 v61, 16, v42
.LBB932_549:                            ;   in Loop: Header=BB932_215 Depth=1
	s_or_b64 exec, exec, s[16:17]
.LBB932_550:                            ;   in Loop: Header=BB932_215 Depth=1
	s_or_b64 exec, exec, s[14:15]
.LBB932_551:                            ;   in Loop: Header=BB932_215 Depth=1
	s_or_b64 exec, exec, s[12:13]
	v_perm_b32 v63, v58, v56, s23
	v_perm_b32 v62, v50, v51, s23
	;; [unrolled: 1-line block ×4, first 2 shown]
	s_waitcnt vmcnt(1)
	v_cmp_ne_u16_sdwa s[14:15], v40, v54 src0_sel:BYTE_0 src1_sel:DWORD
	v_mfma_f32_16x16x16bf16_1k v[34:37], v[62:63], v[26:27], v[34:37]
	v_mfma_f32_16x16x16bf16_1k v[34:37], v[50:51], v[28:29], v[34:37]
	s_and_saveexec_b64 s[12:13], s[14:15]
	s_cbranch_execz .LBB932_557
; %bb.552:                              ;   in Loop: Header=BB932_215 Depth=1
	v_cmp_ne_u16_sdwa s[16:17], v40, s9 src0_sel:BYTE_0 src1_sel:DWORD
	v_mov_b32_e32 v46, 0xffff8000
	s_and_saveexec_b64 s[14:15], s[16:17]
	s_cbranch_execz .LBB932_556
; %bb.553:                              ;   in Loop: Header=BB932_215 Depth=1
	v_and_b32_e32 v42, 0x7f, v40
	v_cmp_ne_u32_e32 vcc, s21, v42
	v_mov_b32_e32 v46, 0x7f80
	s_and_saveexec_b64 s[16:17], vcc
	s_cbranch_execz .LBB932_555
; %bb.554:                              ;   in Loop: Header=BB932_215 Depth=1
	v_and_b32_e32 v44, 7, v40
	v_ffbh_u32_e32 v50, v44
	v_min_u32_e32 v56, 32, v50
	v_subrev_u32_e32 v50, 28, v56
	v_lshlrev_b64 v[50:51], v50, v[40:41]
	v_lshrrev_b32_e32 v46, 3, v42
	v_sub_u32_e32 v51, 29, v56
	v_and_b32_e32 v50, 7, v50
	v_cmp_gt_u32_e32 vcc, 8, v42
	v_cndmask_b32_e32 v42, v46, v51, vcc
	v_cndmask_b32_e32 v44, v44, v50, vcc
	v_lshlrev_b32_e32 v46, 24, v40
	v_lshlrev_b32_e32 v44, 20, v44
	v_and_b32_e32 v46, 0x80000000, v46
	v_lshl_add_u32 v42, v42, 23, v55
	v_or3_b32 v42, v46, v42, v44
	v_lshrrev_b32_e32 v46, 16, v42
.LBB932_555:                            ;   in Loop: Header=BB932_215 Depth=1
	s_or_b64 exec, exec, s[16:17]
.LBB932_556:                            ;   in Loop: Header=BB932_215 Depth=1
	s_or_b64 exec, exec, s[14:15]
.LBB932_557:                            ;   in Loop: Header=BB932_215 Depth=1
	s_or_b64 exec, exec, s[12:13]
	v_lshrrev_b16_e32 v42, 8, v40
	v_cmp_ne_u16_e32 vcc, 0, v42
	v_mov_b32_e32 v50, 0
	v_mov_b32_e32 v44, 0
	s_and_saveexec_b64 s[12:13], vcc
	s_cbranch_execz .LBB932_563
; %bb.558:                              ;   in Loop: Header=BB932_215 Depth=1
	v_cmp_ne_u16_e32 vcc, s9, v42
	v_mov_b32_e32 v44, 0xffff8000
	s_and_saveexec_b64 s[14:15], vcc
	s_cbranch_execz .LBB932_562
; %bb.559:                              ;   in Loop: Header=BB932_215 Depth=1
	v_and_b32_e32 v51, 0x7f, v42
	v_cmp_ne_u32_e32 vcc, s21, v51
	v_mov_b32_e32 v44, 0x7f80
	s_and_saveexec_b64 s[16:17], vcc
	s_cbranch_execz .LBB932_561
; %bb.560:                              ;   in Loop: Header=BB932_215 Depth=1
	v_and_b32_e32 v44, 7, v42
	v_ffbh_u32_e32 v56, v44
	v_min_u32_e32 v59, 32, v56
	v_subrev_u32_e32 v56, 28, v59
	v_lshlrev_b64 v[56:57], v56, v[42:43]
	v_lshrrev_b32_e32 v58, 3, v51
	v_sub_u32_e32 v42, 29, v59
	v_and_b32_e32 v56, 7, v56
	v_cmp_gt_u32_e32 vcc, 8, v51
	v_cndmask_b32_e32 v42, v58, v42, vcc
	v_cndmask_b32_e32 v44, v44, v56, vcc
	v_lshlrev_b32_e32 v51, 16, v40
	v_lshlrev_b32_e32 v44, 20, v44
	v_and_b32_e32 v51, 0x80000000, v51
	v_lshl_add_u32 v42, v42, 23, v55
	v_or3_b32 v42, v51, v42, v44
	v_lshrrev_b32_e32 v44, 16, v42
.LBB932_561:                            ;   in Loop: Header=BB932_215 Depth=1
	s_or_b64 exec, exec, s[16:17]
.LBB932_562:                            ;   in Loop: Header=BB932_215 Depth=1
	s_or_b64 exec, exec, s[14:15]
.LBB932_563:                            ;   in Loop: Header=BB932_215 Depth=1
	s_or_b64 exec, exec, s[12:13]
	v_lshrrev_b32_e32 v42, 16, v40
	v_cmp_ne_u16_sdwa s[14:15], v42, v54 src0_sel:BYTE_0 src1_sel:DWORD
	s_and_saveexec_b64 s[12:13], s[14:15]
	s_cbranch_execz .LBB932_569
; %bb.564:                              ;   in Loop: Header=BB932_215 Depth=1
	v_cmp_ne_u16_sdwa s[16:17], v42, s9 src0_sel:BYTE_0 src1_sel:DWORD
	v_mov_b32_e32 v50, 0xffff8000
	s_and_saveexec_b64 s[14:15], s[16:17]
	s_cbranch_execz .LBB932_568
; %bb.565:                              ;   in Loop: Header=BB932_215 Depth=1
	v_bfe_u32 v51, v40, 16, 7
	v_cmp_ne_u32_e32 vcc, s21, v51
	v_mov_b32_e32 v50, 0x7f80
	s_and_saveexec_b64 s[16:17], vcc
	s_cbranch_execz .LBB932_567
; %bb.566:                              ;   in Loop: Header=BB932_215 Depth=1
	v_and_b32_e32 v50, 7, v42
	v_ffbh_u32_e32 v56, v50
	v_min_u32_e32 v59, 32, v56
	v_subrev_u32_e32 v56, 28, v59
	v_lshlrev_b64 v[56:57], v56, v[42:43]
	v_lshrrev_b32_e32 v58, 3, v51
	v_sub_u32_e32 v57, 29, v59
	v_and_b32_e32 v56, 7, v56
	v_cmp_gt_u32_e32 vcc, 8, v51
	v_cndmask_b32_e32 v51, v58, v57, vcc
	v_cndmask_b32_e32 v50, v50, v56, vcc
	v_lshlrev_b32_e32 v42, 24, v42
	v_lshlrev_b32_e32 v50, 20, v50
	v_and_b32_e32 v42, 0x80000000, v42
	v_lshl_add_u32 v51, v51, 23, v55
	v_or3_b32 v42, v42, v51, v50
	v_lshrrev_b32_e32 v50, 16, v42
.LBB932_567:                            ;   in Loop: Header=BB932_215 Depth=1
	s_or_b64 exec, exec, s[16:17]
.LBB932_568:                            ;   in Loop: Header=BB932_215 Depth=1
	s_or_b64 exec, exec, s[14:15]
.LBB932_569:                            ;   in Loop: Header=BB932_215 Depth=1
	s_or_b64 exec, exec, s[12:13]
	v_cmp_lt_u32_e32 vcc, s22, v40
	v_mov_b32_e32 v51, 0
	v_mov_b32_e32 v56, 0
	s_and_saveexec_b64 s[12:13], vcc
	s_cbranch_execz .LBB932_575
; %bb.570:                              ;   in Loop: Header=BB932_215 Depth=1
	v_lshrrev_b32_e32 v42, 24, v40
	v_cmp_ne_u32_e32 vcc, s9, v42
	v_mov_b32_e32 v56, 0xffff8000
	s_and_saveexec_b64 s[14:15], vcc
	s_cbranch_execz .LBB932_574
; %bb.571:                              ;   in Loop: Header=BB932_215 Depth=1
	v_bfe_u32 v40, v40, 24, 7
	v_cmp_ne_u32_e32 vcc, s21, v40
	v_mov_b32_e32 v56, 0x7f80
	s_and_saveexec_b64 s[16:17], vcc
	s_cbranch_execz .LBB932_573
; %bb.572:                              ;   in Loop: Header=BB932_215 Depth=1
	v_and_b32_e32 v58, 7, v42
	v_ffbh_u32_e32 v56, v58
	v_min_u32_e32 v60, 32, v56
	v_subrev_u32_e32 v56, 28, v60
	v_lshlrev_b64 v[56:57], v56, v[42:43]
	v_lshrrev_b32_e32 v59, 3, v40
	v_sub_u32_e32 v57, 29, v60
	v_and_b32_e32 v56, 7, v56
	v_cmp_gt_u32_e32 vcc, 8, v40
	v_cndmask_b32_e32 v40, v59, v57, vcc
	v_cndmask_b32_e32 v56, v58, v56, vcc
	v_lshlrev_b32_e32 v42, 24, v42
	v_lshlrev_b32_e32 v56, 20, v56
	v_and_b32_e32 v42, 0x80000000, v42
	v_lshl_add_u32 v40, v40, 23, v55
	v_or3_b32 v40, v42, v40, v56
	v_lshrrev_b32_e32 v56, 16, v40
.LBB932_573:                            ;   in Loop: Header=BB932_215 Depth=1
	s_or_b64 exec, exec, s[16:17]
.LBB932_574:                            ;   in Loop: Header=BB932_215 Depth=1
	s_or_b64 exec, exec, s[14:15]
.LBB932_575:                            ;   in Loop: Header=BB932_215 Depth=1
	s_or_b64 exec, exec, s[12:13]
	s_waitcnt vmcnt(0)
	v_cmp_ne_u16_sdwa s[14:15], v38, v54 src0_sel:BYTE_0 src1_sel:DWORD
	s_and_saveexec_b64 s[12:13], s[14:15]
	s_cbranch_execz .LBB932_581
; %bb.576:                              ;   in Loop: Header=BB932_215 Depth=1
	v_cmp_ne_u16_sdwa s[16:17], v38, s9 src0_sel:BYTE_0 src1_sel:DWORD
	v_mov_b32_e32 v51, 0xffff8000
	s_and_saveexec_b64 s[14:15], s[16:17]
	s_cbranch_execz .LBB932_580
; %bb.577:                              ;   in Loop: Header=BB932_215 Depth=1
	v_and_b32_e32 v40, 0x7f, v38
	v_cmp_ne_u32_e32 vcc, s21, v40
	v_mov_b32_e32 v51, 0x7f80
	s_and_saveexec_b64 s[16:17], vcc
	s_cbranch_execz .LBB932_579
; %bb.578:                              ;   in Loop: Header=BB932_215 Depth=1
	v_and_b32_e32 v42, 7, v38
	v_ffbh_u32_e32 v57, v42
	v_min_u32_e32 v57, 32, v57
	v_subrev_u32_e32 v58, 28, v57
	v_lshlrev_b64 v[58:59], v58, v[38:39]
	v_lshrrev_b32_e32 v51, 3, v40
	v_sub_u32_e32 v57, 29, v57
	v_and_b32_e32 v58, 7, v58
	v_cmp_gt_u32_e32 vcc, 8, v40
	v_cndmask_b32_e32 v40, v51, v57, vcc
	v_cndmask_b32_e32 v42, v42, v58, vcc
	v_lshlrev_b32_e32 v51, 24, v38
	v_lshlrev_b32_e32 v42, 20, v42
	v_and_b32_e32 v51, 0x80000000, v51
	v_lshl_add_u32 v40, v40, 23, v55
	v_or3_b32 v40, v51, v40, v42
	v_lshrrev_b32_e32 v51, 16, v40
.LBB932_579:                            ;   in Loop: Header=BB932_215 Depth=1
	s_or_b64 exec, exec, s[16:17]
.LBB932_580:                            ;   in Loop: Header=BB932_215 Depth=1
	s_or_b64 exec, exec, s[14:15]
.LBB932_581:                            ;   in Loop: Header=BB932_215 Depth=1
	s_or_b64 exec, exec, s[12:13]
	v_lshrrev_b16_e32 v40, 8, v38
	v_cmp_ne_u16_e32 vcc, 0, v40
	v_mov_b32_e32 v57, 0
	v_mov_b32_e32 v42, 0
	s_and_saveexec_b64 s[12:13], vcc
	s_cbranch_execz .LBB932_587
; %bb.582:                              ;   in Loop: Header=BB932_215 Depth=1
	v_cmp_ne_u16_e32 vcc, s9, v40
	v_mov_b32_e32 v42, 0xffff8000
	s_and_saveexec_b64 s[14:15], vcc
	s_cbranch_execz .LBB932_586
; %bb.583:                              ;   in Loop: Header=BB932_215 Depth=1
	v_and_b32_e32 v58, 0x7f, v40
	v_cmp_ne_u32_e32 vcc, s21, v58
	v_mov_b32_e32 v42, 0x7f80
	s_and_saveexec_b64 s[16:17], vcc
	s_cbranch_execz .LBB932_585
; %bb.584:                              ;   in Loop: Header=BB932_215 Depth=1
	v_and_b32_e32 v42, 7, v40
	v_ffbh_u32_e32 v60, v42
	v_min_u32_e32 v62, 32, v60
	v_subrev_u32_e32 v60, 28, v62
	v_lshlrev_b64 v[60:61], v60, v[40:41]
	v_lshrrev_b32_e32 v59, 3, v58
	v_sub_u32_e32 v40, 29, v62
	v_and_b32_e32 v60, 7, v60
	v_cmp_gt_u32_e32 vcc, 8, v58
	v_cndmask_b32_e32 v40, v59, v40, vcc
	v_cndmask_b32_e32 v42, v42, v60, vcc
	v_lshlrev_b32_e32 v58, 16, v38
	v_lshlrev_b32_e32 v42, 20, v42
	v_and_b32_e32 v58, 0x80000000, v58
	v_lshl_add_u32 v40, v40, 23, v55
	v_or3_b32 v40, v58, v40, v42
	v_lshrrev_b32_e32 v42, 16, v40
.LBB932_585:                            ;   in Loop: Header=BB932_215 Depth=1
	s_or_b64 exec, exec, s[16:17]
.LBB932_586:                            ;   in Loop: Header=BB932_215 Depth=1
	s_or_b64 exec, exec, s[14:15]
.LBB932_587:                            ;   in Loop: Header=BB932_215 Depth=1
	s_or_b64 exec, exec, s[12:13]
	v_lshrrev_b32_e32 v40, 16, v38
	v_cmp_ne_u16_sdwa s[14:15], v40, v54 src0_sel:BYTE_0 src1_sel:DWORD
	s_and_saveexec_b64 s[12:13], s[14:15]
	s_cbranch_execz .LBB932_593
; %bb.588:                              ;   in Loop: Header=BB932_215 Depth=1
	v_cmp_ne_u16_sdwa s[16:17], v40, s9 src0_sel:BYTE_0 src1_sel:DWORD
	v_mov_b32_e32 v57, 0xffff8000
	s_and_saveexec_b64 s[14:15], s[16:17]
	s_cbranch_execz .LBB932_592
; %bb.589:                              ;   in Loop: Header=BB932_215 Depth=1
	v_bfe_u32 v58, v38, 16, 7
	v_cmp_ne_u32_e32 vcc, s21, v58
	v_mov_b32_e32 v57, 0x7f80
	s_and_saveexec_b64 s[16:17], vcc
	s_cbranch_execz .LBB932_591
; %bb.590:                              ;   in Loop: Header=BB932_215 Depth=1
	v_and_b32_e32 v57, 7, v40
	v_ffbh_u32_e32 v60, v57
	v_min_u32_e32 v62, 32, v60
	v_subrev_u32_e32 v60, 28, v62
	v_lshlrev_b64 v[60:61], v60, v[40:41]
	v_lshrrev_b32_e32 v59, 3, v58
	v_sub_u32_e32 v61, 29, v62
	v_and_b32_e32 v60, 7, v60
	v_cmp_gt_u32_e32 vcc, 8, v58
	v_cndmask_b32_e32 v58, v59, v61, vcc
	v_cndmask_b32_e32 v57, v57, v60, vcc
	v_lshlrev_b32_e32 v40, 24, v40
	v_lshlrev_b32_e32 v57, 20, v57
	v_and_b32_e32 v40, 0x80000000, v40
	v_lshl_add_u32 v58, v58, 23, v55
	v_or3_b32 v40, v40, v58, v57
	v_lshrrev_b32_e32 v57, 16, v40
.LBB932_591:                            ;   in Loop: Header=BB932_215 Depth=1
	s_or_b64 exec, exec, s[16:17]
.LBB932_592:                            ;   in Loop: Header=BB932_215 Depth=1
	s_or_b64 exec, exec, s[14:15]
.LBB932_593:                            ;   in Loop: Header=BB932_215 Depth=1
	s_or_b64 exec, exec, s[12:13]
	v_cmp_lt_u32_e32 vcc, s22, v38
	v_mov_b32_e32 v58, 0
	s_and_saveexec_b64 s[12:13], vcc
	s_cbranch_execz .LBB932_214
; %bb.594:                              ;   in Loop: Header=BB932_215 Depth=1
	v_lshrrev_b32_e32 v40, 24, v38
	v_cmp_ne_u32_e32 vcc, s9, v40
	v_mov_b32_e32 v58, 0xffff8000
	s_and_saveexec_b64 s[14:15], vcc
	s_cbranch_execz .LBB932_213
; %bb.595:                              ;   in Loop: Header=BB932_215 Depth=1
	v_bfe_u32 v38, v38, 24, 7
	v_cmp_ne_u32_e32 vcc, s21, v38
	v_mov_b32_e32 v58, 0x7f80
	s_and_saveexec_b64 s[16:17], vcc
	s_cbranch_execz .LBB932_212
; %bb.596:                              ;   in Loop: Header=BB932_215 Depth=1
	v_and_b32_e32 v60, 7, v40
	v_ffbh_u32_e32 v58, v60
	v_min_u32_e32 v62, 32, v58
	v_subrev_u32_e32 v58, 28, v62
	v_lshlrev_b64 v[58:59], v58, v[40:41]
	v_lshrrev_b32_e32 v61, 3, v38
	v_sub_u32_e32 v59, 29, v62
	v_and_b32_e32 v58, 7, v58
	v_cmp_gt_u32_e32 vcc, 8, v38
	v_cndmask_b32_e32 v38, v61, v59, vcc
	v_cndmask_b32_e32 v58, v60, v58, vcc
	v_lshlrev_b32_e32 v40, 24, v40
	v_lshlrev_b32_e32 v58, 20, v58
	v_and_b32_e32 v40, 0x80000000, v40
	v_lshl_add_u32 v38, v38, 23, v55
	v_or3_b32 v38, v40, v38, v58
	v_lshrrev_b32_e32 v58, 16, v38
	s_branch .LBB932_212
.LBB932_597:
	s_barrier
	buffer_load_dword v2, off, s[0:3], 0 offset:320
	buffer_load_dword v5, off, s[0:3], 0 offset:332
	;; [unrolled: 1-line block ×4, first 2 shown]
	v_cmp_gt_u32_e32 vcc, 64, v0
	s_waitcnt vmcnt(0)
	ds_write2st64_b64 v52, v[2:3], v[4:5] offset1:1
	s_waitcnt lgkmcnt(0)
	s_barrier
	s_and_saveexec_b64 s[4:5], vcc
	s_cbranch_execz .LBB932_600
; %bb.598:
	s_lshl_b32 s4, s48, 7
	s_mul_i32 s5, s18, s8
	s_mul_hi_u32 s9, s5, s4
	s_mul_i32 s8, s5, s4
	s_lshl_b64 s[8:9], s[8:9], 1
	s_add_u32 s5, s50, s8
	v_lshlrev_b32_e32 v4, 6, v41
	s_mov_b32 s7, 0
	s_addc_u32 s8, s51, s9
	s_lshl_b32 s6, s26, 7
	v_lshl_or_b32 v0, v0, 10, v4
	s_lshl_b64 s[6:7], s[6:7], 1
	v_lshlrev_b32_e32 v2, 5, v1
	v_and_b32_e32 v3, 16, v43
	v_and_b32_e32 v0, 0x1a00, v0
	s_add_u32 s5, s5, s6
	v_or3_b32 v0, v0, v2, v3
	s_addc_u32 s6, s8, s7
	v_add_u32_e32 v8, s27, v1
	v_mov_b32_e32 v3, s6
	v_add_co_u32_e32 v2, vcc, s5, v39
	ds_read_b128 v[4:7], v0
	v_mad_u64_u32 v[8:9], s[6:7], v8, s4, 0
	v_addc_co_u32_e32 v3, vcc, 0, v3, vcc
	v_lshlrev_b64 v[8:9], 1, v[8:9]
	v_add_co_u32_e32 v8, vcc, v2, v8
	v_addc_co_u32_e32 v9, vcc, v3, v9, vcc
	v_cmp_ne_u32_e32 vcc, 3, v1
	s_waitcnt lgkmcnt(0)
	global_store_dwordx4 v[8:9], v[4:7], off
	s_and_b64 exec, exec, vcc
	s_cbranch_execz .LBB932_600
; %bb.599:
	ds_read_b128 v[4:7], v0 offset:128
	v_add3_u32 v0, s27, v1, 4
	v_mad_u64_u32 v[0:1], s[4:5], v0, s4, 0
	v_lshlrev_b64 v[0:1], 1, v[0:1]
	v_add_co_u32_e32 v0, vcc, v2, v0
	v_addc_co_u32_e32 v1, vcc, v3, v1, vcc
	s_waitcnt lgkmcnt(0)
	global_store_dwordx4 v[0:1], v[4:7], off
.LBB932_600:
	s_endpgm
	.section	.rodata,"a",@progbits
	.p2align	6, 0x0
	.amdhsa_kernel _Z39paged_attention_ll4mi_QKV_mfma16_kernelI14__hip_bfloat16hLN4vllm18Fp8KVCacheDataTypeE1ES0_Li32ELi128ELi256ELb1ELi7EL8MFMAType0EEvPKT_PKT0_S9_ifPKiSB_SB_iPKfiiiPfSE_PS4_PT2_iSD_SD_
		.amdhsa_group_segment_fixed_size 8192
		.amdhsa_private_segment_fixed_size 352
		.amdhsa_kernarg_size 400
		.amdhsa_user_sgpr_count 8
		.amdhsa_user_sgpr_private_segment_buffer 1
		.amdhsa_user_sgpr_dispatch_ptr 0
		.amdhsa_user_sgpr_queue_ptr 0
		.amdhsa_user_sgpr_kernarg_segment_ptr 1
		.amdhsa_user_sgpr_dispatch_id 0
		.amdhsa_user_sgpr_flat_scratch_init 1
		.amdhsa_user_sgpr_kernarg_preload_length 0
		.amdhsa_user_sgpr_kernarg_preload_offset 0
		.amdhsa_user_sgpr_private_segment_size 0
		.amdhsa_uses_dynamic_stack 0
		.amdhsa_system_sgpr_private_segment_wavefront_offset 1
		.amdhsa_system_sgpr_workgroup_id_x 1
		.amdhsa_system_sgpr_workgroup_id_y 1
		.amdhsa_system_sgpr_workgroup_id_z 1
		.amdhsa_system_sgpr_workgroup_info 0
		.amdhsa_system_vgpr_workitem_id 0
		.amdhsa_next_free_vgpr 80
		.amdhsa_next_free_sgpr 53
		.amdhsa_accum_offset 80
		.amdhsa_reserve_vcc 1
		.amdhsa_reserve_flat_scratch 0
		.amdhsa_float_round_mode_32 0
		.amdhsa_float_round_mode_16_64 0
		.amdhsa_float_denorm_mode_32 3
		.amdhsa_float_denorm_mode_16_64 3
		.amdhsa_dx10_clamp 1
		.amdhsa_ieee_mode 1
		.amdhsa_fp16_overflow 0
		.amdhsa_tg_split 0
		.amdhsa_exception_fp_ieee_invalid_op 0
		.amdhsa_exception_fp_denorm_src 0
		.amdhsa_exception_fp_ieee_div_zero 0
		.amdhsa_exception_fp_ieee_overflow 0
		.amdhsa_exception_fp_ieee_underflow 0
		.amdhsa_exception_fp_ieee_inexact 0
		.amdhsa_exception_int_div_zero 0
	.end_amdhsa_kernel
	.section	.text._Z39paged_attention_ll4mi_QKV_mfma16_kernelI14__hip_bfloat16hLN4vllm18Fp8KVCacheDataTypeE1ES0_Li32ELi128ELi256ELb1ELi7EL8MFMAType0EEvPKT_PKT0_S9_ifPKiSB_SB_iPKfiiiPfSE_PS4_PT2_iSD_SD_,"axG",@progbits,_Z39paged_attention_ll4mi_QKV_mfma16_kernelI14__hip_bfloat16hLN4vllm18Fp8KVCacheDataTypeE1ES0_Li32ELi128ELi256ELb1ELi7EL8MFMAType0EEvPKT_PKT0_S9_ifPKiSB_SB_iPKfiiiPfSE_PS4_PT2_iSD_SD_,comdat
.Lfunc_end932:
	.size	_Z39paged_attention_ll4mi_QKV_mfma16_kernelI14__hip_bfloat16hLN4vllm18Fp8KVCacheDataTypeE1ES0_Li32ELi128ELi256ELb1ELi7EL8MFMAType0EEvPKT_PKT0_S9_ifPKiSB_SB_iPKfiiiPfSE_PS4_PT2_iSD_SD_, .Lfunc_end932-_Z39paged_attention_ll4mi_QKV_mfma16_kernelI14__hip_bfloat16hLN4vllm18Fp8KVCacheDataTypeE1ES0_Li32ELi128ELi256ELb1ELi7EL8MFMAType0EEvPKT_PKT0_S9_ifPKiSB_SB_iPKfiiiPfSE_PS4_PT2_iSD_SD_
                                        ; -- End function
	.section	.AMDGPU.csdata,"",@progbits
; Kernel info:
; codeLenInByte = 22536
; NumSgprs: 57
; NumVgprs: 80
; NumAgprs: 0
; TotalNumVgprs: 80
; ScratchSize: 352
; MemoryBound: 0
; FloatMode: 240
; IeeeMode: 1
; LDSByteSize: 8192 bytes/workgroup (compile time only)
; SGPRBlocks: 7
; VGPRBlocks: 9
; NumSGPRsForWavesPerEU: 57
; NumVGPRsForWavesPerEU: 80
; AccumOffset: 80
; Occupancy: 6
; WaveLimiterHint : 1
; COMPUTE_PGM_RSRC2:SCRATCH_EN: 1
; COMPUTE_PGM_RSRC2:USER_SGPR: 8
; COMPUTE_PGM_RSRC2:TRAP_HANDLER: 0
; COMPUTE_PGM_RSRC2:TGID_X_EN: 1
; COMPUTE_PGM_RSRC2:TGID_Y_EN: 1
; COMPUTE_PGM_RSRC2:TGID_Z_EN: 1
; COMPUTE_PGM_RSRC2:TIDIG_COMP_CNT: 0
; COMPUTE_PGM_RSRC3_GFX90A:ACCUM_OFFSET: 19
; COMPUTE_PGM_RSRC3_GFX90A:TG_SPLIT: 0
	.section	.text._Z39paged_attention_ll4mi_QKV_mfma16_kernelI14__hip_bfloat16hLN4vllm18Fp8KVCacheDataTypeE1ES0_Li32ELi128ELi256ELb1ELi8EL8MFMAType0EEvPKT_PKT0_S9_ifPKiSB_SB_iPKfiiiPfSE_PS4_PT2_iSD_SD_,"axG",@progbits,_Z39paged_attention_ll4mi_QKV_mfma16_kernelI14__hip_bfloat16hLN4vllm18Fp8KVCacheDataTypeE1ES0_Li32ELi128ELi256ELb1ELi8EL8MFMAType0EEvPKT_PKT0_S9_ifPKiSB_SB_iPKfiiiPfSE_PS4_PT2_iSD_SD_,comdat
	.protected	_Z39paged_attention_ll4mi_QKV_mfma16_kernelI14__hip_bfloat16hLN4vllm18Fp8KVCacheDataTypeE1ES0_Li32ELi128ELi256ELb1ELi8EL8MFMAType0EEvPKT_PKT0_S9_ifPKiSB_SB_iPKfiiiPfSE_PS4_PT2_iSD_SD_ ; -- Begin function _Z39paged_attention_ll4mi_QKV_mfma16_kernelI14__hip_bfloat16hLN4vllm18Fp8KVCacheDataTypeE1ES0_Li32ELi128ELi256ELb1ELi8EL8MFMAType0EEvPKT_PKT0_S9_ifPKiSB_SB_iPKfiiiPfSE_PS4_PT2_iSD_SD_
	.globl	_Z39paged_attention_ll4mi_QKV_mfma16_kernelI14__hip_bfloat16hLN4vllm18Fp8KVCacheDataTypeE1ES0_Li32ELi128ELi256ELb1ELi8EL8MFMAType0EEvPKT_PKT0_S9_ifPKiSB_SB_iPKfiiiPfSE_PS4_PT2_iSD_SD_
	.p2align	8
	.type	_Z39paged_attention_ll4mi_QKV_mfma16_kernelI14__hip_bfloat16hLN4vllm18Fp8KVCacheDataTypeE1ES0_Li32ELi128ELi256ELb1ELi8EL8MFMAType0EEvPKT_PKT0_S9_ifPKiSB_SB_iPKfiiiPfSE_PS4_PT2_iSD_SD_,@function
_Z39paged_attention_ll4mi_QKV_mfma16_kernelI14__hip_bfloat16hLN4vllm18Fp8KVCacheDataTypeE1ES0_Li32ELi128ELi256ELb1ELi8EL8MFMAType0EEvPKT_PKT0_S9_ifPKiSB_SB_iPKfiiiPfSE_PS4_PT2_iSD_SD_: ; @_Z39paged_attention_ll4mi_QKV_mfma16_kernelI14__hip_bfloat16hLN4vllm18Fp8KVCacheDataTypeE1ES0_Li32ELi128ELi256ELb1ELi8EL8MFMAType0EEvPKT_PKT0_S9_ifPKiSB_SB_iPKfiiiPfSE_PS4_PT2_iSD_SD_
; %bb.0:
	s_load_dwordx2 s[6:7], s[4:5], 0x30
	s_add_u32 s0, s0, s11
	s_addc_u32 s1, s1, 0
	s_mov_b32 s26, s9
	s_mov_b64 s[14:15], 0
	s_waitcnt lgkmcnt(0)
	s_cmp_lg_u64 s[6:7], 0
	s_cselect_b64 s[12:13], -1, 0
	s_and_b64 vcc, exec, s[12:13]
	s_cbranch_vccz .LBB933_7
; %bb.1:
	s_add_i32 s16, s8, 1
	s_mov_b32 s17, 0
	s_lshl_b64 s[18:19], s[16:17], 2
	s_add_u32 s18, s6, s18
	s_mov_b32 s9, s17
	s_addc_u32 s19, s7, s19
	s_lshl_b64 s[16:17], s[8:9], 2
	s_add_u32 s16, s6, s16
	s_addc_u32 s17, s7, s17
	s_load_dword s11, s[18:19], 0x0
	s_load_dword s20, s[16:17], 0x0
	s_waitcnt lgkmcnt(0)
	s_sub_i32 s11, s11, s20
	s_cmp_eq_u32 s11, 1
	s_cselect_b64 s[16:17], -1, 0
	s_andn2_b64 vcc, exec, s[14:15]
	s_cbranch_vccnz .LBB933_3
.LBB933_2:
	s_mov_b32 s9, 0
	s_mov_b64 s[16:17], -1
.LBB933_3:
	s_andn2_b64 vcc, exec, s[16:17]
	s_cbranch_vccnz .LBB933_599
; %bb.4:
	s_load_dwordx2 s[16:17], s[4:5], 0x28
	s_lshl_b64 s[14:15], s[8:9], 2
	s_waitcnt lgkmcnt(0)
	s_add_u32 s16, s16, s14
	s_addc_u32 s17, s17, s15
	s_load_dword s33, s[16:17], 0x0
	s_lshl_b32 s20, s26, 8
	s_waitcnt lgkmcnt(0)
	s_cmp_ge_i32 s20, s33
	s_cbranch_scc1 .LBB933_599
; %bb.5:
	s_add_i32 s18, s33, 31
	s_load_dwordx2 s[16:17], s[4:5], 0x20
	s_load_dword s11, s[4:5], 0x38
	s_ashr_i32 s19, s18, 31
	v_and_b32_e32 v1, 0xcf, v0
	s_lshr_b32 s19, s19, 27
	v_add_u32_e32 v1, s20, v1
	s_add_i32 s18, s18, s19
	v_ashrrev_i32_e32 v2, 31, v1
	s_ashr_i32 s23, s18, 5
	v_lshrrev_b32_e32 v4, 27, v2
	s_add_i32 s23, s23, -1
	v_add_u32_e32 v2, v1, v4
	s_waitcnt lgkmcnt(0)
	s_mul_i32 s18, s8, s11
	s_mov_b32 s19, 0
	v_ashrrev_i32_e32 v2, 5, v2
	v_mov_b32_e32 v5, s23
	v_cmp_gt_i32_e32 vcc, s33, v1
	s_lshl_b64 s[18:19], s[18:19], 2
	v_cndmask_b32_e32 v2, v5, v2, vcc
	s_add_u32 s21, s16, s18
	v_ashrrev_i32_e32 v3, 31, v2
	s_addc_u32 s22, s17, s19
	v_lshlrev_b64 v[2:3], 2, v[2:3]
	v_mov_b32_e32 v7, s22
	v_add_co_u32_e32 v6, vcc, s21, v2
	v_or_b32_e32 v2, 16, v1
	v_addc_co_u32_e32 v7, vcc, v7, v3, vcc
	v_add_u32_e32 v3, v2, v4
	v_ashrrev_i32_e32 v3, 5, v3
	v_cmp_gt_i32_e32 vcc, s33, v2
	v_cndmask_b32_e32 v2, v5, v3, vcc
	v_ashrrev_i32_e32 v3, 31, v2
	v_lshlrev_b64 v[2:3], 2, v[2:3]
	v_mov_b32_e32 v9, s22
	v_add_co_u32_e32 v8, vcc, s21, v2
	v_or_b32_e32 v2, 32, v1
	v_addc_co_u32_e32 v9, vcc, v9, v3, vcc
	v_add_u32_e32 v3, v2, v4
	v_ashrrev_i32_e32 v3, 5, v3
	v_cmp_gt_i32_e32 vcc, s33, v2
	v_cndmask_b32_e32 v2, v5, v3, vcc
	v_ashrrev_i32_e32 v3, 31, v2
	;; [unrolled: 10-line block ×3, first 2 shown]
	v_lshlrev_b64 v[2:3], 2, v[2:3]
	v_mov_b32_e32 v1, s22
	v_add_co_u32_e32 v12, vcc, s21, v2
	v_addc_co_u32_e32 v13, vcc, v1, v3, vcc
	global_load_dword v5, v[6:7], off
	global_load_dword v4, v[8:9], off
	;; [unrolled: 1-line block ×4, first 2 shown]
	s_load_dwordx2 s[16:17], s[4:5], 0x8
	s_andn2_b64 vcc, exec, s[12:13]
	s_cbranch_vccnz .LBB933_8
; %bb.6:
	s_add_u32 s6, s6, s14
	s_addc_u32 s7, s7, s15
	s_load_dword s11, s[6:7], 0x0
	s_branch .LBB933_9
.LBB933_7:
	s_mov_b64 s[16:17], 0
	s_branch .LBB933_2
.LBB933_8:
	s_mov_b32 s11, s8
.LBB933_9:
	s_load_dwordx2 s[6:7], s[4:5], 0x10
	s_load_dwordx4 s[12:15], s[4:5], 0x48
	v_and_b32_e32 v41, 15, v0
	v_lshlrev_b32_e32 v6, 3, v41
	s_waitcnt lgkmcnt(0)
	s_movk_i32 s15, 0x80
	v_lshrrev_b32_e32 v27, 6, v0
	v_bfe_u32 v1, v0, 4, 2
	s_lshl_b32 s27, s10, 3
	v_cmp_gt_u32_e32 vcc, s15, v0
	v_lshlrev_b32_e32 v39, 1, v6
	v_lshlrev_b32_e32 v43, 4, v0
	s_and_saveexec_b64 s[18:19], vcc
	s_cbranch_execz .LBB933_11
; %bb.10:
	s_load_dwordx2 s[24:25], s[4:5], 0x0
	s_ashr_i32 s15, s12, 31
	s_mul_hi_u32 s28, s11, s12
	s_mul_i32 s15, s11, s15
	v_lshl_or_b32 v10, v27, 2, v1
	s_add_i32 s29, s28, s15
	s_mul_i32 s28, s11, s12
	s_lshl_b64 s[28:29], s[28:29], 1
	v_add_lshl_u32 v6, v10, s27, 7
	s_waitcnt lgkmcnt(0)
	s_add_u32 s11, s24, s28
	v_ashrrev_i32_e32 v7, 31, v6
	s_addc_u32 s12, s25, s29
	v_lshlrev_b64 v[6:7], 1, v[6:7]
	v_mov_b32_e32 v8, s12
	v_add_co_u32_e32 v6, vcc, s11, v6
	v_addc_co_u32_e32 v7, vcc, v8, v7, vcc
	v_add_co_u32_e32 v6, vcc, v6, v39
	v_addc_co_u32_e32 v7, vcc, 0, v7, vcc
	global_load_dwordx4 v[6:9], v[6:7], off
	v_lshlrev_b32_e32 v12, 8, v0
	v_lshlrev_b32_e32 v11, 8, v41
	v_and_b32_e32 v12, 0x600, v12
	s_movk_i32 s11, 0x800
	v_and_or_b32 v11, v11, s11, v12
	v_lshlrev_b32_e32 v10, 5, v10
	v_and_b32_e32 v12, 16, v43
	v_or3_b32 v10, v11, v10, v12
	s_waitcnt vmcnt(0)
	ds_write_b128 v10, v[6:9]
.LBB933_11:
	s_or_b64 exec, exec, s[18:19]
	s_mul_i32 s14, s10, s14
	s_add_u32 s10, s16, s14
	s_addc_u32 s11, s17, 0
	v_pk_mov_b32 v[6:7], s[10:11], s[10:11] op_sel:[0,1]
	s_waitcnt vmcnt(3)
	v_mad_i64_i32 v[8:9], s[10:11], v5, s13, v[6:7]
	v_lshlrev_b32_e32 v11, 4, v41
	v_and_b32_e32 v18, 48, v0
	v_add_co_u32_e32 v5, vcc, v8, v11
	v_lshlrev_b32_e32 v10, 5, v18
	v_addc_co_u32_e32 v9, vcc, 0, v9, vcc
	v_add_co_u32_e32 v8, vcc, v5, v10
	v_addc_co_u32_e32 v9, vcc, 0, v9, vcc
	s_load_dwordx2 s[48:49], s[4:5], 0x94
	s_waitcnt lgkmcnt(0)
	s_barrier
	global_load_dwordx4 v[20:23], v[8:9], off
	global_load_dwordx4 v[28:31], v[8:9], off offset:2048
	s_waitcnt vmcnt(4)
	v_mad_i64_i32 v[4:5], s[10:11], v4, s13, v[6:7]
	v_or_b32_e32 v8, 0x100, v11
	v_add_co_u32_e32 v4, vcc, v4, v8
	v_addc_co_u32_e32 v5, vcc, 0, v5, vcc
	v_add_co_u32_e32 v4, vcc, v4, v10
	v_addc_co_u32_e32 v5, vcc, 0, v5, vcc
	global_load_dwordx4 v[32:35], v[4:5], off
	global_load_dwordx4 v[44:47], v[4:5], off offset:2048
	s_waitcnt vmcnt(5)
	v_mad_i64_i32 v[4:5], s[10:11], v3, s13, v[6:7]
	v_add_co_u32_e32 v3, vcc, v4, v11
	v_addc_co_u32_e32 v5, vcc, 0, v5, vcc
	v_add_co_u32_e32 v4, vcc, v3, v10
	v_addc_co_u32_e32 v5, vcc, 0, v5, vcc
	s_waitcnt vmcnt(4)
	v_mad_i64_i32 v[2:3], s[10:11], v2, s13, v[6:7]
	v_add_co_u32_e32 v2, vcc, v2, v8
	v_addc_co_u32_e32 v3, vcc, 0, v3, vcc
	v_add_co_u32_e32 v2, vcc, v2, v10
	v_addc_co_u32_e32 v3, vcc, 0, v3, vcc
	global_load_dwordx4 v[48:51], v[4:5], off
	global_load_dwordx4 v[52:55], v[4:5], off offset:2048
	global_load_dwordx4 v[56:59], v[2:3], off
	global_load_dwordx4 v[60:63], v[2:3], off offset:2048
	v_and_b32_e32 v2, 7, v0
	v_lshlrev_b32_e32 v2, 5, v2
	v_lshl_or_b32 v14, v1, 9, v2
	s_load_dwordx2 s[50:51], s[4:5], 0x68
	s_load_dwordx4 s[44:47], s[4:5], 0x58
	ds_read_b128 v[2:5], v14
	ds_read_b128 v[6:9], v14 offset:16
	ds_read_b128 v[10:13], v14 offset:2048
	;; [unrolled: 1-line block ×3, first 2 shown]
	s_mov_b32 s12, 0
	v_cmp_gt_u32_e32 vcc, 8, v41
	s_waitcnt vmcnt(7)
	buffer_store_dword v23, off, s[0:3], 0 offset:12
	buffer_store_dword v22, off, s[0:3], 0 offset:8
	;; [unrolled: 1-line block ×3, first 2 shown]
	buffer_store_dword v20, off, s[0:3], 0
	s_waitcnt vmcnt(10)
	buffer_store_dword v31, off, s[0:3], 0 offset:28
	buffer_store_dword v30, off, s[0:3], 0 offset:24
	buffer_store_dword v29, off, s[0:3], 0 offset:20
	buffer_store_dword v28, off, s[0:3], 0 offset:16
	s_waitcnt vmcnt(13)
	buffer_store_dword v35, off, s[0:3], 0 offset:44
	buffer_store_dword v34, off, s[0:3], 0 offset:40
	buffer_store_dword v33, off, s[0:3], 0 offset:36
	buffer_store_dword v32, off, s[0:3], 0 offset:32
	;; [unrolled: 5-line block ×7, first 2 shown]
	v_mov_b32_e32 v35, 0
	v_mov_b32_e32 v31, 0
	s_and_saveexec_b64 s[10:11], vcc
	s_cbranch_execz .LBB933_13
; %bb.12:
	s_load_dwordx2 s[16:17], s[4:5], 0x40
	v_or_b32_e32 v20, s27, v41
	v_ashrrev_i32_e32 v21, 31, v20
	v_lshlrev_b64 v[20:21], 2, v[20:21]
	s_waitcnt lgkmcnt(0)
	v_mov_b32_e32 v19, s17
	v_add_co_u32_e32 v20, vcc, s16, v20
	v_addc_co_u32_e32 v21, vcc, v19, v21, vcc
	global_load_dword v31, v[20:21], off
.LBB933_13:
	s_or_b64 exec, exec, s[10:11]
	s_ashr_i32 s10, s20, 31
	v_or_b32_e32 v24, s20, v18
	s_lshr_b32 s10, s10, 27
	v_add_u32_e32 v18, s10, v24
	v_ashrrev_i32_e32 v18, 5, v18
	v_mov_b32_e32 v25, s23
	v_cmp_gt_i32_e32 vcc, s33, v24
	v_cndmask_b32_e32 v18, v25, v18, vcc
	v_ashrrev_i32_e32 v19, 31, v18
	v_lshlrev_b64 v[18:19], 2, v[18:19]
	v_mov_b32_e32 v20, s22
	v_add_co_u32_e32 v18, vcc, s21, v18
	v_addc_co_u32_e32 v19, vcc, v20, v19, vcc
	v_or_b32_e32 v20, 64, v24
	v_add_u32_e32 v21, s10, v20
	v_ashrrev_i32_e32 v21, 5, v21
	v_cmp_gt_i32_e32 vcc, s33, v20
	v_cndmask_b32_e32 v20, v25, v21, vcc
	v_ashrrev_i32_e32 v21, 31, v20
	v_lshlrev_b64 v[20:21], 2, v[20:21]
	v_mov_b32_e32 v22, s22
	v_add_co_u32_e32 v20, vcc, s21, v20
	v_addc_co_u32_e32 v21, vcc, v22, v21, vcc
	v_or_b32_e32 v22, 0x80, v24
	v_add_u32_e32 v23, s10, v22
	v_ashrrev_i32_e32 v23, 5, v23
	v_cmp_gt_i32_e32 vcc, s33, v22
	v_cndmask_b32_e32 v22, v25, v23, vcc
	v_ashrrev_i32_e32 v23, 31, v22
	v_lshlrev_b64 v[22:23], 2, v[22:23]
	v_mov_b32_e32 v26, s22
	v_add_co_u32_e32 v22, vcc, s21, v22
	v_addc_co_u32_e32 v23, vcc, v26, v23, vcc
	global_load_dword v26, v[18:19], off
	global_load_dword v28, v[20:21], off
	;; [unrolled: 1-line block ×3, first 2 shown]
	v_or_b32_e32 v18, 0xc0, v24
	v_add_u32_e32 v19, s10, v18
	v_ashrrev_i32_e32 v19, 5, v19
	v_cmp_gt_i32_e32 vcc, s33, v18
	v_cndmask_b32_e32 v18, v25, v19, vcc
	v_ashrrev_i32_e32 v19, 31, v18
	v_lshlrev_b64 v[18:19], 2, v[18:19]
	v_mov_b32_e32 v20, s22
	v_add_co_u32_e32 v18, vcc, s21, v18
	v_addc_co_u32_e32 v19, vcc, v20, v19, vcc
	global_load_dword v32, v[18:19], off
	s_add_u32 s6, s6, s14
	v_and_b32_e32 v18, 16, v0
	s_addc_u32 s7, s7, 0
	v_lshl_or_b32 v29, v27, 4, v41
	v_mov_b32_e32 v20, s7
	v_add_co_u32_e32 v34, vcc, s6, v18
	v_lshlrev_b32_e32 v19, 5, v29
	v_addc_co_u32_e32 v36, vcc, 0, v20, vcc
	v_add_co_u32_e32 v22, vcc, v34, v19
	v_addc_co_u32_e32 v23, vcc, 0, v36, vcc
	v_or_b32_e32 v33, 0x800, v19
	s_movk_i32 s14, 0x7f
	s_mov_b32 s15, 0xffffff
	s_mov_b32 s16, 0x5040100
	v_mov_b32_e32 v37, 0x100
	v_bfrev_b32_e32 v38, 60
	s_waitcnt vmcnt(3)
	v_mad_i64_i32 v[18:19], s[6:7], v26, s13, v[22:23]
	s_waitcnt vmcnt(2)
	v_mad_i64_i32 v[24:25], s[6:7], v28, s13, v[22:23]
	global_load_dwordx4 v[18:21], v[18:19], off
	s_nop 0
	global_load_dwordx4 v[52:55], v[24:25], off
	s_waitcnt vmcnt(3)
	v_mad_i64_i32 v[24:25], s[6:7], v30, s13, v[22:23]
	s_waitcnt vmcnt(2)
	v_mad_i64_i32 v[22:23], s[6:7], v32, s13, v[22:23]
	global_load_dwordx4 v[56:59], v[24:25], off
	global_load_dwordx4 v[60:63], v[22:23], off
	v_add_co_u32_e32 v22, vcc, v34, v33
	v_addc_co_u32_e32 v23, vcc, 0, v36, vcc
	v_mad_i64_i32 v[24:25], s[6:7], v26, s13, v[22:23]
	global_load_dwordx4 v[64:67], v[24:25], off
	v_mad_i64_i32 v[24:25], s[6:7], v28, s13, v[22:23]
	global_load_dwordx4 v[68:71], v[24:25], off
	;; [unrolled: 2-line block ×4, first 2 shown]
	s_load_dword s6, s[4:5], 0x1c
	s_load_dwordx4 s[40:43], s[4:5], 0x80
	v_mov_b32_e32 v22, 0x80
	v_add_u32_e32 v45, 16, v22
	v_add_u32_e32 v46, 32, v22
	;; [unrolled: 1-line block ×3, first 2 shown]
	s_waitcnt lgkmcnt(0)
	s_load_dword s4, s[40:41], 0x0
	v_add_u32_e32 v51, 64, v22
	v_add_u32_e32 v48, 0x50, v22
	;; [unrolled: 1-line block ×4, first 2 shown]
	v_mov_b32_e32 v22, s6
	s_waitcnt lgkmcnt(0)
	v_mul_f32_e32 v22, s4, v22
	v_and_b32_e32 v33, 63, v0
	s_movk_i32 s13, 0x80
	v_mov_b32_e32 v36, 0
	v_mov_b32_e32 v24, v22
	;; [unrolled: 1-line block ×3, first 2 shown]
	s_waitcnt vmcnt(7)
	buffer_store_dword v21, off, s[0:3], 0 offset:140
	buffer_store_dword v20, off, s[0:3], 0 offset:136
	buffer_store_dword v19, off, s[0:3], 0 offset:132
	buffer_store_dword v18, off, s[0:3], 0 offset:128
	s_waitcnt vmcnt(10)
	buffer_store_dword v55, off, s[0:3], 0 offset:172
	buffer_store_dword v54, off, s[0:3], 0 offset:168
	buffer_store_dword v53, off, s[0:3], 0 offset:164
	buffer_store_dword v52, off, s[0:3], 0 offset:160
	;; [unrolled: 5-line block ×8, first 2 shown]
	s_branch .LBB933_17
.LBB933_14:                             ;   in Loop: Header=BB933_17 Depth=1
	s_or_b64 exec, exec, s[10:11]
.LBB933_15:                             ;   in Loop: Header=BB933_17 Depth=1
	s_or_b64 exec, exec, s[6:7]
.LBB933_16:                             ;   in Loop: Header=BB933_17 Depth=1
	s_or_b64 exec, exec, s[4:5]
	v_perm_b32 v55, v40, v34, s16
	v_perm_b32 v54, v23, v32, s16
	;; [unrolled: 1-line block ×4, first 2 shown]
	v_add_u32_e32 v26, s12, v37
	v_mfma_f32_16x16x16bf16_1k v[18:21], v[54:55], v[14:15], v[18:21]
	s_add_i32 s12, s12, 16
	v_mov_b32_e32 v23, v22
	s_cmp_eq_u32 s12, 64
	v_add_u32_e32 v36, 32, v36
	v_mfma_f32_16x16x16bf16_1k v[18:21], v[52:53], v[16:17], v[18:21]
	s_nop 7
	s_nop 2
	v_pk_mul_f32 v[18:19], v[24:25], v[18:19]
	v_pk_mul_f32 v[20:21], v[22:23], v[20:21]
	buffer_store_dword v19, v26, s[0:3], 0 offen offset:4
	buffer_store_dword v18, v26, s[0:3], 0 offen
	buffer_store_dword v21, v26, s[0:3], 0 offen offset:12
	buffer_store_dword v20, v26, s[0:3], 0 offen offset:8
	s_cbranch_scc1 .LBB933_207
.LBB933_17:                             ; =>This Inner Loop Header: Depth=1
	buffer_load_dword v20, v36, s[0:3], 0 offen
	buffer_load_dword v18, v36, s[0:3], 0 offen offset:4
	buffer_load_dword v28, v36, s[0:3], 0 offen offset:8
	;; [unrolled: 1-line block ×3, first 2 shown]
	v_mov_b32_e32 v19, 0
	v_mov_b32_e32 v21, 0
	s_waitcnt vmcnt(3)
	v_cmp_ne_u16_sdwa s[6:7], v20, v35 src0_sel:BYTE_0 src1_sel:DWORD
	s_and_saveexec_b64 s[4:5], s[6:7]
	s_cbranch_execz .LBB933_23
; %bb.18:                               ;   in Loop: Header=BB933_17 Depth=1
	v_cmp_ne_u16_sdwa s[10:11], v20, s13 src0_sel:BYTE_0 src1_sel:DWORD
	v_mov_b32_e32 v21, 0xffff8000
	s_and_saveexec_b64 s[6:7], s[10:11]
	s_cbranch_execz .LBB933_22
; %bb.19:                               ;   in Loop: Header=BB933_17 Depth=1
	v_and_b32_e32 v23, 0x7f, v20
	v_cmp_ne_u32_e32 vcc, s14, v23
	v_mov_b32_e32 v21, 0x7f80
	s_and_saveexec_b64 s[10:11], vcc
	s_cbranch_execz .LBB933_21
; %bb.20:                               ;   in Loop: Header=BB933_17 Depth=1
	v_and_b32_e32 v21, 7, v20
	v_ffbh_u32_e32 v32, v21
	v_min_u32_e32 v32, 32, v32
	v_subrev_u32_e32 v34, 28, v32
	v_lshlrev_b64 v[52:53], v34, v[20:21]
	v_lshrrev_b32_e32 v30, 3, v23
	v_sub_u32_e32 v32, 29, v32
	v_and_b32_e32 v34, 7, v52
	v_cmp_gt_u32_e32 vcc, 8, v23
	v_cndmask_b32_e32 v23, v30, v32, vcc
	v_cndmask_b32_e32 v21, v21, v34, vcc
	v_lshlrev_b32_e32 v30, 24, v20
	v_lshlrev_b32_e32 v21, 20, v21
	v_and_b32_e32 v30, 0x80000000, v30
	v_lshl_add_u32 v23, v23, 23, v38
	v_or3_b32 v21, v30, v23, v21
	v_lshrrev_b32_e32 v21, 16, v21
.LBB933_21:                             ;   in Loop: Header=BB933_17 Depth=1
	s_or_b64 exec, exec, s[10:11]
.LBB933_22:                             ;   in Loop: Header=BB933_17 Depth=1
	s_or_b64 exec, exec, s[6:7]
.LBB933_23:                             ;   in Loop: Header=BB933_17 Depth=1
	s_or_b64 exec, exec, s[4:5]
	v_lshrrev_b16_e32 v30, 8, v20
	v_cmp_ne_u16_e32 vcc, 0, v30
	s_and_saveexec_b64 s[4:5], vcc
	s_cbranch_execz .LBB933_29
; %bb.24:                               ;   in Loop: Header=BB933_17 Depth=1
	v_cmp_ne_u16_e32 vcc, s13, v30
	v_mov_b32_e32 v19, 0xffff8000
	s_and_saveexec_b64 s[6:7], vcc
	s_cbranch_execz .LBB933_28
; %bb.25:                               ;   in Loop: Header=BB933_17 Depth=1
	v_and_b32_e32 v23, 0x7f, v30
	v_cmp_ne_u32_e32 vcc, s14, v23
	v_mov_b32_e32 v19, 0x7f80
	s_and_saveexec_b64 s[10:11], vcc
	s_cbranch_execz .LBB933_27
; %bb.26:                               ;   in Loop: Header=BB933_17 Depth=1
	v_and_b32_e32 v19, 7, v30
	v_ffbh_u32_e32 v34, v19
	v_min_u32_e32 v34, 32, v34
	v_subrev_u32_e32 v40, 28, v34
	v_lshlrev_b64 v[52:53], v40, v[30:31]
	v_lshrrev_b32_e32 v32, 3, v23
	v_sub_u32_e32 v30, 29, v34
	v_and_b32_e32 v34, 7, v52
	v_cmp_gt_u32_e32 vcc, 8, v23
	v_cndmask_b32_e32 v23, v32, v30, vcc
	v_cndmask_b32_e32 v19, v19, v34, vcc
	v_lshlrev_b32_e32 v30, 16, v20
	v_lshlrev_b32_e32 v19, 20, v19
	v_and_b32_e32 v30, 0x80000000, v30
	v_lshl_add_u32 v23, v23, 23, v38
	v_or3_b32 v19, v30, v23, v19
	v_lshrrev_b32_e32 v19, 16, v19
.LBB933_27:                             ;   in Loop: Header=BB933_17 Depth=1
	s_or_b64 exec, exec, s[10:11]
.LBB933_28:                             ;   in Loop: Header=BB933_17 Depth=1
	s_or_b64 exec, exec, s[6:7]
.LBB933_29:                             ;   in Loop: Header=BB933_17 Depth=1
	s_or_b64 exec, exec, s[4:5]
	v_lshrrev_b32_e32 v30, 16, v20
	v_cmp_ne_u16_sdwa s[6:7], v30, v35 src0_sel:BYTE_0 src1_sel:DWORD
	v_mov_b32_e32 v32, 0
	v_mov_b32_e32 v23, 0
	s_and_saveexec_b64 s[4:5], s[6:7]
	s_cbranch_execz .LBB933_35
; %bb.30:                               ;   in Loop: Header=BB933_17 Depth=1
	v_cmp_ne_u16_sdwa s[10:11], v30, s13 src0_sel:BYTE_0 src1_sel:DWORD
	v_mov_b32_e32 v23, 0xffff8000
	s_and_saveexec_b64 s[6:7], s[10:11]
	s_cbranch_execz .LBB933_34
; %bb.31:                               ;   in Loop: Header=BB933_17 Depth=1
	v_bfe_u32 v34, v20, 16, 7
	v_cmp_ne_u32_e32 vcc, s14, v34
	v_mov_b32_e32 v23, 0x7f80
	s_and_saveexec_b64 s[10:11], vcc
	s_cbranch_execz .LBB933_33
; %bb.32:                               ;   in Loop: Header=BB933_17 Depth=1
	v_and_b32_e32 v23, 7, v30
	v_ffbh_u32_e32 v42, v23
	v_min_u32_e32 v42, 32, v42
	v_subrev_u32_e32 v44, 28, v42
	v_lshlrev_b64 v[52:53], v44, v[30:31]
	v_lshrrev_b32_e32 v40, 3, v34
	v_sub_u32_e32 v42, 29, v42
	v_and_b32_e32 v44, 7, v52
	v_cmp_gt_u32_e32 vcc, 8, v34
	v_cndmask_b32_e32 v34, v40, v42, vcc
	v_cndmask_b32_e32 v23, v23, v44, vcc
	v_lshlrev_b32_e32 v30, 24, v30
	v_lshlrev_b32_e32 v23, 20, v23
	v_and_b32_e32 v30, 0x80000000, v30
	v_lshl_add_u32 v34, v34, 23, v38
	v_or3_b32 v23, v30, v34, v23
	v_lshrrev_b32_e32 v23, 16, v23
.LBB933_33:                             ;   in Loop: Header=BB933_17 Depth=1
	s_or_b64 exec, exec, s[10:11]
.LBB933_34:                             ;   in Loop: Header=BB933_17 Depth=1
	s_or_b64 exec, exec, s[6:7]
.LBB933_35:                             ;   in Loop: Header=BB933_17 Depth=1
	s_or_b64 exec, exec, s[4:5]
	v_cmp_lt_u32_e32 vcc, s15, v20
	s_and_saveexec_b64 s[4:5], vcc
	s_cbranch_execz .LBB933_41
; %bb.36:                               ;   in Loop: Header=BB933_17 Depth=1
	v_lshrrev_b32_e32 v30, 24, v20
	v_cmp_ne_u32_e32 vcc, s13, v30
	v_mov_b32_e32 v32, 0xffff8000
	s_and_saveexec_b64 s[6:7], vcc
	s_cbranch_execz .LBB933_40
; %bb.37:                               ;   in Loop: Header=BB933_17 Depth=1
	v_bfe_u32 v20, v20, 24, 7
	v_cmp_ne_u32_e32 vcc, s14, v20
	v_mov_b32_e32 v32, 0x7f80
	s_and_saveexec_b64 s[10:11], vcc
	s_cbranch_execz .LBB933_39
; %bb.38:                               ;   in Loop: Header=BB933_17 Depth=1
	v_and_b32_e32 v32, 7, v30
	v_ffbh_u32_e32 v40, v32
	v_min_u32_e32 v40, 32, v40
	v_subrev_u32_e32 v42, 28, v40
	v_lshlrev_b64 v[52:53], v42, v[30:31]
	v_lshrrev_b32_e32 v34, 3, v20
	v_sub_u32_e32 v40, 29, v40
	v_and_b32_e32 v42, 7, v52
	v_cmp_gt_u32_e32 vcc, 8, v20
	v_cndmask_b32_e32 v20, v34, v40, vcc
	v_cndmask_b32_e32 v32, v32, v42, vcc
	v_lshlrev_b32_e32 v30, 24, v30
	v_lshlrev_b32_e32 v32, 20, v32
	v_and_b32_e32 v30, 0x80000000, v30
	v_lshl_add_u32 v20, v20, 23, v38
	v_or3_b32 v20, v30, v20, v32
	v_lshrrev_b32_e32 v32, 16, v20
.LBB933_39:                             ;   in Loop: Header=BB933_17 Depth=1
	s_or_b64 exec, exec, s[10:11]
.LBB933_40:                             ;   in Loop: Header=BB933_17 Depth=1
	s_or_b64 exec, exec, s[6:7]
.LBB933_41:                             ;   in Loop: Header=BB933_17 Depth=1
	s_or_b64 exec, exec, s[4:5]
	s_waitcnt vmcnt(2)
	v_cmp_ne_u16_sdwa s[6:7], v18, v35 src0_sel:BYTE_0 src1_sel:DWORD
	v_mov_b32_e32 v30, 0
	v_mov_b32_e32 v34, 0
	s_and_saveexec_b64 s[4:5], s[6:7]
	s_cbranch_execz .LBB933_47
; %bb.42:                               ;   in Loop: Header=BB933_17 Depth=1
	v_cmp_ne_u16_sdwa s[10:11], v18, s13 src0_sel:BYTE_0 src1_sel:DWORD
	v_mov_b32_e32 v34, 0xffff8000
	s_and_saveexec_b64 s[6:7], s[10:11]
	s_cbranch_execz .LBB933_46
; %bb.43:                               ;   in Loop: Header=BB933_17 Depth=1
	v_and_b32_e32 v20, 0x7f, v18
	v_cmp_ne_u32_e32 vcc, s14, v20
	v_mov_b32_e32 v34, 0x7f80
	s_and_saveexec_b64 s[10:11], vcc
	s_cbranch_execz .LBB933_45
; %bb.44:                               ;   in Loop: Header=BB933_17 Depth=1
	v_and_b32_e32 v34, 7, v18
	v_ffbh_u32_e32 v42, v34
	v_min_u32_e32 v42, 32, v42
	v_subrev_u32_e32 v44, 28, v42
	v_lshlrev_b64 v[52:53], v44, v[18:19]
	v_lshrrev_b32_e32 v40, 3, v20
	v_sub_u32_e32 v42, 29, v42
	v_and_b32_e32 v44, 7, v52
	v_cmp_gt_u32_e32 vcc, 8, v20
	v_cndmask_b32_e32 v20, v40, v42, vcc
	v_cndmask_b32_e32 v34, v34, v44, vcc
	v_lshlrev_b32_e32 v40, 24, v18
	v_lshlrev_b32_e32 v34, 20, v34
	v_and_b32_e32 v40, 0x80000000, v40
	v_lshl_add_u32 v20, v20, 23, v38
	v_or3_b32 v20, v40, v20, v34
	v_lshrrev_b32_e32 v34, 16, v20
.LBB933_45:                             ;   in Loop: Header=BB933_17 Depth=1
	s_or_b64 exec, exec, s[10:11]
.LBB933_46:                             ;   in Loop: Header=BB933_17 Depth=1
	s_or_b64 exec, exec, s[6:7]
.LBB933_47:                             ;   in Loop: Header=BB933_17 Depth=1
	s_or_b64 exec, exec, s[4:5]
	v_lshrrev_b16_e32 v20, 8, v18
	v_cmp_ne_u16_e32 vcc, 0, v20
	s_and_saveexec_b64 s[4:5], vcc
	s_cbranch_execz .LBB933_53
; %bb.48:                               ;   in Loop: Header=BB933_17 Depth=1
	v_cmp_ne_u16_e32 vcc, s13, v20
	v_mov_b32_e32 v30, 0xffff8000
	s_and_saveexec_b64 s[6:7], vcc
	s_cbranch_execz .LBB933_52
; %bb.49:                               ;   in Loop: Header=BB933_17 Depth=1
	v_and_b32_e32 v40, 0x7f, v20
	v_cmp_ne_u32_e32 vcc, s14, v40
	v_mov_b32_e32 v30, 0x7f80
	s_and_saveexec_b64 s[10:11], vcc
	s_cbranch_execz .LBB933_51
; %bb.50:                               ;   in Loop: Header=BB933_17 Depth=1
	v_and_b32_e32 v30, 7, v20
	v_ffbh_u32_e32 v44, v30
	v_min_u32_e32 v44, 32, v44
	v_subrev_u32_e32 v52, 28, v44
	v_lshlrev_b64 v[52:53], v52, v[20:21]
	v_lshrrev_b32_e32 v42, 3, v40
	v_sub_u32_e32 v20, 29, v44
	v_and_b32_e32 v44, 7, v52
	v_cmp_gt_u32_e32 vcc, 8, v40
	v_cndmask_b32_e32 v20, v42, v20, vcc
	v_cndmask_b32_e32 v30, v30, v44, vcc
	v_lshlrev_b32_e32 v40, 16, v18
	v_lshlrev_b32_e32 v30, 20, v30
	v_and_b32_e32 v40, 0x80000000, v40
	v_lshl_add_u32 v20, v20, 23, v38
	v_or3_b32 v20, v40, v20, v30
	v_lshrrev_b32_e32 v30, 16, v20
.LBB933_51:                             ;   in Loop: Header=BB933_17 Depth=1
	s_or_b64 exec, exec, s[10:11]
.LBB933_52:                             ;   in Loop: Header=BB933_17 Depth=1
	s_or_b64 exec, exec, s[6:7]
.LBB933_53:                             ;   in Loop: Header=BB933_17 Depth=1
	s_or_b64 exec, exec, s[4:5]
	v_lshrrev_b32_e32 v20, 16, v18
	v_cmp_ne_u16_sdwa s[6:7], v20, v35 src0_sel:BYTE_0 src1_sel:DWORD
	v_mov_b32_e32 v42, 0
	v_mov_b32_e32 v40, 0
	s_and_saveexec_b64 s[4:5], s[6:7]
	s_cbranch_execz .LBB933_59
; %bb.54:                               ;   in Loop: Header=BB933_17 Depth=1
	v_cmp_ne_u16_sdwa s[10:11], v20, s13 src0_sel:BYTE_0 src1_sel:DWORD
	v_mov_b32_e32 v40, 0xffff8000
	s_and_saveexec_b64 s[6:7], s[10:11]
	s_cbranch_execz .LBB933_58
; %bb.55:                               ;   in Loop: Header=BB933_17 Depth=1
	v_bfe_u32 v44, v18, 16, 7
	v_cmp_ne_u32_e32 vcc, s14, v44
	v_mov_b32_e32 v40, 0x7f80
	s_and_saveexec_b64 s[10:11], vcc
	s_cbranch_execz .LBB933_57
; %bb.56:                               ;   in Loop: Header=BB933_17 Depth=1
	v_and_b32_e32 v40, 7, v20
	v_ffbh_u32_e32 v52, v40
	v_min_u32_e32 v55, 32, v52
	v_subrev_u32_e32 v52, 28, v55
	v_lshlrev_b64 v[52:53], v52, v[20:21]
	v_lshrrev_b32_e32 v54, 3, v44
	v_sub_u32_e32 v53, 29, v55
	v_and_b32_e32 v52, 7, v52
	v_cmp_gt_u32_e32 vcc, 8, v44
	v_cndmask_b32_e32 v44, v54, v53, vcc
	v_cndmask_b32_e32 v40, v40, v52, vcc
	v_lshlrev_b32_e32 v20, 24, v20
	v_lshlrev_b32_e32 v40, 20, v40
	v_and_b32_e32 v20, 0x80000000, v20
	v_lshl_add_u32 v44, v44, 23, v38
	v_or3_b32 v20, v20, v44, v40
	v_lshrrev_b32_e32 v40, 16, v20
.LBB933_57:                             ;   in Loop: Header=BB933_17 Depth=1
	s_or_b64 exec, exec, s[10:11]
.LBB933_58:                             ;   in Loop: Header=BB933_17 Depth=1
	s_or_b64 exec, exec, s[6:7]
.LBB933_59:                             ;   in Loop: Header=BB933_17 Depth=1
	s_or_b64 exec, exec, s[4:5]
	v_cmp_lt_u32_e32 vcc, s15, v18
	s_and_saveexec_b64 s[4:5], vcc
	s_cbranch_execz .LBB933_65
; %bb.60:                               ;   in Loop: Header=BB933_17 Depth=1
	v_lshrrev_b32_e32 v20, 24, v18
	v_cmp_ne_u32_e32 vcc, s13, v20
	v_mov_b32_e32 v42, 0xffff8000
	s_and_saveexec_b64 s[6:7], vcc
	s_cbranch_execz .LBB933_64
; %bb.61:                               ;   in Loop: Header=BB933_17 Depth=1
	v_bfe_u32 v18, v18, 24, 7
	v_cmp_ne_u32_e32 vcc, s14, v18
	v_mov_b32_e32 v42, 0x7f80
	s_and_saveexec_b64 s[10:11], vcc
	s_cbranch_execz .LBB933_63
; %bb.62:                               ;   in Loop: Header=BB933_17 Depth=1
	v_and_b32_e32 v42, 7, v20
	v_ffbh_u32_e32 v52, v42
	v_min_u32_e32 v54, 32, v52
	v_subrev_u32_e32 v52, 28, v54
	v_lshlrev_b64 v[52:53], v52, v[20:21]
	v_lshrrev_b32_e32 v44, 3, v18
	v_sub_u32_e32 v53, 29, v54
	v_and_b32_e32 v52, 7, v52
	v_cmp_gt_u32_e32 vcc, 8, v18
	v_cndmask_b32_e32 v18, v44, v53, vcc
	v_cndmask_b32_e32 v42, v42, v52, vcc
	v_lshlrev_b32_e32 v20, 24, v20
	v_lshlrev_b32_e32 v42, 20, v42
	v_and_b32_e32 v20, 0x80000000, v20
	v_lshl_add_u32 v18, v18, 23, v38
	v_or3_b32 v18, v20, v18, v42
	v_lshrrev_b32_e32 v42, 16, v18
.LBB933_63:                             ;   in Loop: Header=BB933_17 Depth=1
	s_or_b64 exec, exec, s[10:11]
.LBB933_64:                             ;   in Loop: Header=BB933_17 Depth=1
	s_or_b64 exec, exec, s[6:7]
.LBB933_65:                             ;   in Loop: Header=BB933_17 Depth=1
	s_or_b64 exec, exec, s[4:5]
	v_perm_b32 v53, v32, v23, s16
	v_perm_b32 v52, v19, v21, s16
	s_waitcnt vmcnt(1)
	v_cmp_ne_u16_sdwa s[6:7], v28, v35 src0_sel:BYTE_0 src1_sel:DWORD
	v_mov_b32_e32 v23, 0
	v_mov_b32_e32 v32, 0
	v_mfma_f32_16x16x16bf16_1k v[18:21], v[52:53], v[2:3], 0
	v_perm_b32 v53, v42, v40, s16
	v_perm_b32 v52, v30, v34, s16
	s_nop 1
	v_mfma_f32_16x16x16bf16_1k v[18:21], v[52:53], v[4:5], v[18:21]
	s_and_saveexec_b64 s[4:5], s[6:7]
	s_cbranch_execz .LBB933_71
; %bb.66:                               ;   in Loop: Header=BB933_17 Depth=1
	v_cmp_ne_u16_sdwa s[10:11], v28, s13 src0_sel:BYTE_0 src1_sel:DWORD
	v_mov_b32_e32 v32, 0xffff8000
	s_and_saveexec_b64 s[6:7], s[10:11]
	s_cbranch_execz .LBB933_70
; %bb.67:                               ;   in Loop: Header=BB933_17 Depth=1
	v_and_b32_e32 v30, 0x7f, v28
	v_cmp_ne_u32_e32 vcc, s14, v30
	v_mov_b32_e32 v32, 0x7f80
	s_and_saveexec_b64 s[10:11], vcc
	s_cbranch_execz .LBB933_69
; %bb.68:                               ;   in Loop: Header=BB933_17 Depth=1
	v_and_b32_e32 v32, 7, v28
	v_ffbh_u32_e32 v40, v32
	v_min_u32_e32 v40, 32, v40
	v_subrev_u32_e32 v42, 28, v40
	v_lshlrev_b64 v[52:53], v42, v[28:29]
	v_lshrrev_b32_e32 v34, 3, v30
	v_sub_u32_e32 v40, 29, v40
	v_and_b32_e32 v42, 7, v52
	v_cmp_gt_u32_e32 vcc, 8, v30
	v_cndmask_b32_e32 v30, v34, v40, vcc
	v_cndmask_b32_e32 v32, v32, v42, vcc
	v_lshlrev_b32_e32 v34, 24, v28
	v_lshlrev_b32_e32 v32, 20, v32
	v_and_b32_e32 v34, 0x80000000, v34
	v_lshl_add_u32 v30, v30, 23, v38
	v_or3_b32 v30, v34, v30, v32
	v_lshrrev_b32_e32 v32, 16, v30
.LBB933_69:                             ;   in Loop: Header=BB933_17 Depth=1
	s_or_b64 exec, exec, s[10:11]
.LBB933_70:                             ;   in Loop: Header=BB933_17 Depth=1
	s_or_b64 exec, exec, s[6:7]
.LBB933_71:                             ;   in Loop: Header=BB933_17 Depth=1
	s_or_b64 exec, exec, s[4:5]
	v_lshrrev_b16_e32 v30, 8, v28
	v_cmp_ne_u16_e32 vcc, 0, v30
	s_and_saveexec_b64 s[4:5], vcc
	s_cbranch_execz .LBB933_77
; %bb.72:                               ;   in Loop: Header=BB933_17 Depth=1
	v_cmp_ne_u16_e32 vcc, s13, v30
	v_mov_b32_e32 v23, 0xffff8000
	s_and_saveexec_b64 s[6:7], vcc
	s_cbranch_execz .LBB933_76
; %bb.73:                               ;   in Loop: Header=BB933_17 Depth=1
	v_and_b32_e32 v34, 0x7f, v30
	v_cmp_ne_u32_e32 vcc, s14, v34
	v_mov_b32_e32 v23, 0x7f80
	s_and_saveexec_b64 s[10:11], vcc
	s_cbranch_execz .LBB933_75
; %bb.74:                               ;   in Loop: Header=BB933_17 Depth=1
	v_and_b32_e32 v23, 7, v30
	v_ffbh_u32_e32 v42, v23
	v_min_u32_e32 v42, 32, v42
	v_subrev_u32_e32 v44, 28, v42
	v_lshlrev_b64 v[52:53], v44, v[30:31]
	v_lshrrev_b32_e32 v40, 3, v34
	v_sub_u32_e32 v30, 29, v42
	v_and_b32_e32 v42, 7, v52
	v_cmp_gt_u32_e32 vcc, 8, v34
	v_cndmask_b32_e32 v30, v40, v30, vcc
	v_cndmask_b32_e32 v23, v23, v42, vcc
	v_lshlrev_b32_e32 v34, 16, v28
	v_lshlrev_b32_e32 v23, 20, v23
	v_and_b32_e32 v34, 0x80000000, v34
	v_lshl_add_u32 v30, v30, 23, v38
	v_or3_b32 v23, v34, v30, v23
	v_lshrrev_b32_e32 v23, 16, v23
.LBB933_75:                             ;   in Loop: Header=BB933_17 Depth=1
	s_or_b64 exec, exec, s[10:11]
.LBB933_76:                             ;   in Loop: Header=BB933_17 Depth=1
	s_or_b64 exec, exec, s[6:7]
.LBB933_77:                             ;   in Loop: Header=BB933_17 Depth=1
	s_or_b64 exec, exec, s[4:5]
	v_lshrrev_b32_e32 v30, 16, v28
	v_cmp_ne_u16_sdwa s[6:7], v30, v35 src0_sel:BYTE_0 src1_sel:DWORD
	v_mov_b32_e32 v40, 0
	v_mov_b32_e32 v34, 0
	s_and_saveexec_b64 s[4:5], s[6:7]
	s_cbranch_execz .LBB933_83
; %bb.78:                               ;   in Loop: Header=BB933_17 Depth=1
	v_cmp_ne_u16_sdwa s[10:11], v30, s13 src0_sel:BYTE_0 src1_sel:DWORD
	v_mov_b32_e32 v34, 0xffff8000
	s_and_saveexec_b64 s[6:7], s[10:11]
	s_cbranch_execz .LBB933_82
; %bb.79:                               ;   in Loop: Header=BB933_17 Depth=1
	v_bfe_u32 v42, v28, 16, 7
	v_cmp_ne_u32_e32 vcc, s14, v42
	v_mov_b32_e32 v34, 0x7f80
	s_and_saveexec_b64 s[10:11], vcc
	s_cbranch_execz .LBB933_81
; %bb.80:                               ;   in Loop: Header=BB933_17 Depth=1
	v_and_b32_e32 v34, 7, v30
	v_ffbh_u32_e32 v52, v34
	v_min_u32_e32 v54, 32, v52
	v_subrev_u32_e32 v52, 28, v54
	v_lshlrev_b64 v[52:53], v52, v[30:31]
	v_lshrrev_b32_e32 v44, 3, v42
	v_sub_u32_e32 v53, 29, v54
	v_and_b32_e32 v52, 7, v52
	v_cmp_gt_u32_e32 vcc, 8, v42
	v_cndmask_b32_e32 v42, v44, v53, vcc
	v_cndmask_b32_e32 v34, v34, v52, vcc
	v_lshlrev_b32_e32 v30, 24, v30
	v_lshlrev_b32_e32 v34, 20, v34
	v_and_b32_e32 v30, 0x80000000, v30
	v_lshl_add_u32 v42, v42, 23, v38
	v_or3_b32 v30, v30, v42, v34
	v_lshrrev_b32_e32 v34, 16, v30
.LBB933_81:                             ;   in Loop: Header=BB933_17 Depth=1
	s_or_b64 exec, exec, s[10:11]
.LBB933_82:                             ;   in Loop: Header=BB933_17 Depth=1
	s_or_b64 exec, exec, s[6:7]
.LBB933_83:                             ;   in Loop: Header=BB933_17 Depth=1
	s_or_b64 exec, exec, s[4:5]
	v_cmp_lt_u32_e32 vcc, s15, v28
	s_and_saveexec_b64 s[4:5], vcc
	s_cbranch_execz .LBB933_89
; %bb.84:                               ;   in Loop: Header=BB933_17 Depth=1
	v_lshrrev_b32_e32 v30, 24, v28
	v_cmp_ne_u32_e32 vcc, s13, v30
	v_mov_b32_e32 v40, 0xffff8000
	s_and_saveexec_b64 s[6:7], vcc
	s_cbranch_execz .LBB933_88
; %bb.85:                               ;   in Loop: Header=BB933_17 Depth=1
	v_bfe_u32 v28, v28, 24, 7
	v_cmp_ne_u32_e32 vcc, s14, v28
	v_mov_b32_e32 v40, 0x7f80
	s_and_saveexec_b64 s[10:11], vcc
	s_cbranch_execz .LBB933_87
; %bb.86:                               ;   in Loop: Header=BB933_17 Depth=1
	v_and_b32_e32 v40, 7, v30
	v_ffbh_u32_e32 v44, v40
	v_min_u32_e32 v44, 32, v44
	v_subrev_u32_e32 v52, 28, v44
	v_lshlrev_b64 v[52:53], v52, v[30:31]
	v_lshrrev_b32_e32 v42, 3, v28
	v_sub_u32_e32 v44, 29, v44
	v_and_b32_e32 v52, 7, v52
	v_cmp_gt_u32_e32 vcc, 8, v28
	v_cndmask_b32_e32 v28, v42, v44, vcc
	v_cndmask_b32_e32 v40, v40, v52, vcc
	v_lshlrev_b32_e32 v30, 24, v30
	v_lshlrev_b32_e32 v40, 20, v40
	v_and_b32_e32 v30, 0x80000000, v30
	v_lshl_add_u32 v28, v28, 23, v38
	v_or3_b32 v28, v30, v28, v40
	v_lshrrev_b32_e32 v40, 16, v28
.LBB933_87:                             ;   in Loop: Header=BB933_17 Depth=1
	s_or_b64 exec, exec, s[10:11]
.LBB933_88:                             ;   in Loop: Header=BB933_17 Depth=1
	s_or_b64 exec, exec, s[6:7]
.LBB933_89:                             ;   in Loop: Header=BB933_17 Depth=1
	s_or_b64 exec, exec, s[4:5]
	s_waitcnt vmcnt(0)
	v_cmp_ne_u16_sdwa s[6:7], v26, v35 src0_sel:BYTE_0 src1_sel:DWORD
	v_mov_b32_e32 v42, 0
	v_mov_b32_e32 v44, 0
	s_and_saveexec_b64 s[4:5], s[6:7]
	s_cbranch_execz .LBB933_95
; %bb.90:                               ;   in Loop: Header=BB933_17 Depth=1
	v_cmp_ne_u16_sdwa s[10:11], v26, s13 src0_sel:BYTE_0 src1_sel:DWORD
	v_mov_b32_e32 v44, 0xffff8000
	s_and_saveexec_b64 s[6:7], s[10:11]
	s_cbranch_execz .LBB933_94
; %bb.91:                               ;   in Loop: Header=BB933_17 Depth=1
	v_and_b32_e32 v28, 0x7f, v26
	v_cmp_ne_u32_e32 vcc, s14, v28
	v_mov_b32_e32 v44, 0x7f80
	s_and_saveexec_b64 s[10:11], vcc
	s_cbranch_execz .LBB933_93
; %bb.92:                               ;   in Loop: Header=BB933_17 Depth=1
	v_and_b32_e32 v30, 7, v26
	v_ffbh_u32_e32 v52, v30
	v_min_u32_e32 v54, 32, v52
	v_subrev_u32_e32 v52, 28, v54
	v_lshlrev_b64 v[52:53], v52, v[26:27]
	v_lshrrev_b32_e32 v44, 3, v28
	v_sub_u32_e32 v53, 29, v54
	v_and_b32_e32 v52, 7, v52
	v_cmp_gt_u32_e32 vcc, 8, v28
	v_cndmask_b32_e32 v28, v44, v53, vcc
	v_cndmask_b32_e32 v30, v30, v52, vcc
	v_lshlrev_b32_e32 v44, 24, v26
	v_lshlrev_b32_e32 v30, 20, v30
	v_and_b32_e32 v44, 0x80000000, v44
	v_lshl_add_u32 v28, v28, 23, v38
	v_or3_b32 v28, v44, v28, v30
	v_lshrrev_b32_e32 v44, 16, v28
.LBB933_93:                             ;   in Loop: Header=BB933_17 Depth=1
	s_or_b64 exec, exec, s[10:11]
.LBB933_94:                             ;   in Loop: Header=BB933_17 Depth=1
	s_or_b64 exec, exec, s[6:7]
.LBB933_95:                             ;   in Loop: Header=BB933_17 Depth=1
	s_or_b64 exec, exec, s[4:5]
	v_lshrrev_b16_e32 v28, 8, v26
	v_cmp_ne_u16_e32 vcc, 0, v28
	s_and_saveexec_b64 s[4:5], vcc
	s_cbranch_execz .LBB933_101
; %bb.96:                               ;   in Loop: Header=BB933_17 Depth=1
	v_cmp_ne_u16_e32 vcc, s13, v28
	v_mov_b32_e32 v42, 0xffff8000
	s_and_saveexec_b64 s[6:7], vcc
	s_cbranch_execz .LBB933_100
; %bb.97:                               ;   in Loop: Header=BB933_17 Depth=1
	v_and_b32_e32 v30, 0x7f, v28
	v_cmp_ne_u32_e32 vcc, s14, v30
	v_mov_b32_e32 v42, 0x7f80
	s_and_saveexec_b64 s[10:11], vcc
	s_cbranch_execz .LBB933_99
; %bb.98:                               ;   in Loop: Header=BB933_17 Depth=1
	v_and_b32_e32 v42, 7, v28
	v_ffbh_u32_e32 v52, v42
	v_min_u32_e32 v55, 32, v52
	v_subrev_u32_e32 v52, 28, v55
	v_lshlrev_b64 v[52:53], v52, v[28:29]
	v_lshrrev_b32_e32 v54, 3, v30
	v_sub_u32_e32 v28, 29, v55
	v_and_b32_e32 v52, 7, v52
	v_cmp_gt_u32_e32 vcc, 8, v30
	v_cndmask_b32_e32 v28, v54, v28, vcc
	v_cndmask_b32_e32 v30, v42, v52, vcc
	v_lshlrev_b32_e32 v42, 16, v26
	v_lshlrev_b32_e32 v30, 20, v30
	v_and_b32_e32 v42, 0x80000000, v42
	v_lshl_add_u32 v28, v28, 23, v38
	v_or3_b32 v28, v42, v28, v30
	v_lshrrev_b32_e32 v42, 16, v28
.LBB933_99:                             ;   in Loop: Header=BB933_17 Depth=1
	s_or_b64 exec, exec, s[10:11]
.LBB933_100:                            ;   in Loop: Header=BB933_17 Depth=1
	s_or_b64 exec, exec, s[6:7]
.LBB933_101:                            ;   in Loop: Header=BB933_17 Depth=1
	s_or_b64 exec, exec, s[4:5]
	v_lshrrev_b32_e32 v28, 16, v26
	v_cmp_ne_u16_sdwa s[6:7], v28, v35 src0_sel:BYTE_0 src1_sel:DWORD
	v_mov_b32_e32 v53, 0
	v_mov_b32_e32 v52, 0
	s_and_saveexec_b64 s[4:5], s[6:7]
	s_cbranch_execz .LBB933_107
; %bb.102:                              ;   in Loop: Header=BB933_17 Depth=1
	v_cmp_ne_u16_sdwa s[10:11], v28, s13 src0_sel:BYTE_0 src1_sel:DWORD
	v_mov_b32_e32 v52, 0xffff8000
	s_and_saveexec_b64 s[6:7], s[10:11]
	s_cbranch_execz .LBB933_106
; %bb.103:                              ;   in Loop: Header=BB933_17 Depth=1
	v_bfe_u32 v30, v26, 16, 7
	v_cmp_ne_u32_e32 vcc, s14, v30
	v_mov_b32_e32 v52, 0x7f80
	s_and_saveexec_b64 s[10:11], vcc
	s_cbranch_execz .LBB933_105
; %bb.104:                              ;   in Loop: Header=BB933_17 Depth=1
	v_and_b32_e32 v52, 7, v28
	v_ffbh_u32_e32 v54, v52
	v_min_u32_e32 v57, 32, v54
	v_subrev_u32_e32 v54, 28, v57
	v_lshlrev_b64 v[54:55], v54, v[28:29]
	v_lshrrev_b32_e32 v56, 3, v30
	v_sub_u32_e32 v55, 29, v57
	v_and_b32_e32 v54, 7, v54
	v_cmp_gt_u32_e32 vcc, 8, v30
	v_cndmask_b32_e32 v30, v56, v55, vcc
	v_cndmask_b32_e32 v52, v52, v54, vcc
	v_lshlrev_b32_e32 v28, 24, v28
	v_lshlrev_b32_e32 v52, 20, v52
	v_and_b32_e32 v28, 0x80000000, v28
	v_lshl_add_u32 v30, v30, 23, v38
	v_or3_b32 v28, v28, v30, v52
	v_lshrrev_b32_e32 v52, 16, v28
.LBB933_105:                            ;   in Loop: Header=BB933_17 Depth=1
	s_or_b64 exec, exec, s[10:11]
.LBB933_106:                            ;   in Loop: Header=BB933_17 Depth=1
	s_or_b64 exec, exec, s[6:7]
.LBB933_107:                            ;   in Loop: Header=BB933_17 Depth=1
	s_or_b64 exec, exec, s[4:5]
	v_cmp_lt_u32_e32 vcc, s15, v26
	s_and_saveexec_b64 s[4:5], vcc
	s_cbranch_execz .LBB933_113
; %bb.108:                              ;   in Loop: Header=BB933_17 Depth=1
	v_lshrrev_b32_e32 v28, 24, v26
	v_cmp_ne_u32_e32 vcc, s13, v28
	v_mov_b32_e32 v53, 0xffff8000
	s_and_saveexec_b64 s[6:7], vcc
	s_cbranch_execz .LBB933_112
; %bb.109:                              ;   in Loop: Header=BB933_17 Depth=1
	v_bfe_u32 v26, v26, 24, 7
	v_cmp_ne_u32_e32 vcc, s14, v26
	v_mov_b32_e32 v53, 0x7f80
	s_and_saveexec_b64 s[10:11], vcc
	s_cbranch_execz .LBB933_111
; %bb.110:                              ;   in Loop: Header=BB933_17 Depth=1
	v_and_b32_e32 v30, 7, v28
	v_ffbh_u32_e32 v54, v30
	v_min_u32_e32 v56, 32, v54
	v_subrev_u32_e32 v54, 28, v56
	v_lshlrev_b64 v[54:55], v54, v[28:29]
	v_lshrrev_b32_e32 v53, 3, v26
	v_sub_u32_e32 v55, 29, v56
	v_and_b32_e32 v54, 7, v54
	v_cmp_gt_u32_e32 vcc, 8, v26
	v_cndmask_b32_e32 v26, v53, v55, vcc
	v_cndmask_b32_e32 v30, v30, v54, vcc
	v_lshlrev_b32_e32 v28, 24, v28
	v_lshlrev_b32_e32 v30, 20, v30
	v_and_b32_e32 v28, 0x80000000, v28
	v_lshl_add_u32 v26, v26, 23, v38
	v_or3_b32 v26, v28, v26, v30
	v_lshrrev_b32_e32 v53, 16, v26
.LBB933_111:                            ;   in Loop: Header=BB933_17 Depth=1
	s_or_b64 exec, exec, s[10:11]
.LBB933_112:                            ;   in Loop: Header=BB933_17 Depth=1
	s_or_b64 exec, exec, s[6:7]
.LBB933_113:                            ;   in Loop: Header=BB933_17 Depth=1
	s_or_b64 exec, exec, s[4:5]
	v_perm_b32 v54, v23, v32, s16
	buffer_load_dword v32, v36, s[0:3], 0 offen offset:16
	buffer_load_dword v30, v36, s[0:3], 0 offen offset:20
	;; [unrolled: 1-line block ×4, first 2 shown]
	v_perm_b32 v55, v40, v34, s16
	v_perm_b32 v53, v53, v52, s16
	;; [unrolled: 1-line block ×3, first 2 shown]
	v_mfma_f32_16x16x16bf16_1k v[18:21], v[54:55], v[6:7], v[18:21]
	v_mov_b32_e32 v23, 0
	v_mov_b32_e32 v40, 0
	s_waitcnt vmcnt(3)
	v_cmp_ne_u16_sdwa s[6:7], v32, v35 src0_sel:BYTE_0 src1_sel:DWORD
	v_mfma_f32_16x16x16bf16_1k v[18:21], v[52:53], v[8:9], v[18:21]
	s_and_saveexec_b64 s[4:5], s[6:7]
	s_cbranch_execz .LBB933_119
; %bb.114:                              ;   in Loop: Header=BB933_17 Depth=1
	v_cmp_ne_u16_sdwa s[10:11], v32, s13 src0_sel:BYTE_0 src1_sel:DWORD
	v_mov_b32_e32 v40, 0xffff8000
	s_and_saveexec_b64 s[6:7], s[10:11]
	s_cbranch_execz .LBB933_118
; %bb.115:                              ;   in Loop: Header=BB933_17 Depth=1
	v_and_b32_e32 v34, 0x7f, v32
	v_cmp_ne_u32_e32 vcc, s14, v34
	v_mov_b32_e32 v40, 0x7f80
	s_and_saveexec_b64 s[10:11], vcc
	s_cbranch_execz .LBB933_117
; %bb.116:                              ;   in Loop: Header=BB933_17 Depth=1
	v_and_b32_e32 v40, 7, v32
	v_ffbh_u32_e32 v44, v40
	v_min_u32_e32 v44, 32, v44
	v_subrev_u32_e32 v52, 28, v44
	v_lshlrev_b64 v[52:53], v52, v[32:33]
	v_lshrrev_b32_e32 v42, 3, v34
	v_sub_u32_e32 v44, 29, v44
	v_and_b32_e32 v52, 7, v52
	v_cmp_gt_u32_e32 vcc, 8, v34
	v_cndmask_b32_e32 v34, v42, v44, vcc
	v_cndmask_b32_e32 v40, v40, v52, vcc
	v_lshlrev_b32_e32 v42, 24, v32
	v_lshlrev_b32_e32 v40, 20, v40
	v_and_b32_e32 v42, 0x80000000, v42
	v_lshl_add_u32 v34, v34, 23, v38
	v_or3_b32 v34, v42, v34, v40
	v_lshrrev_b32_e32 v40, 16, v34
.LBB933_117:                            ;   in Loop: Header=BB933_17 Depth=1
	s_or_b64 exec, exec, s[10:11]
.LBB933_118:                            ;   in Loop: Header=BB933_17 Depth=1
	s_or_b64 exec, exec, s[6:7]
.LBB933_119:                            ;   in Loop: Header=BB933_17 Depth=1
	s_or_b64 exec, exec, s[4:5]
	v_lshrrev_b16_e32 v34, 8, v32
	v_cmp_ne_u16_e32 vcc, 0, v34
	s_and_saveexec_b64 s[4:5], vcc
	s_cbranch_execz .LBB933_125
; %bb.120:                              ;   in Loop: Header=BB933_17 Depth=1
	v_cmp_ne_u16_e32 vcc, s13, v34
	v_mov_b32_e32 v23, 0xffff8000
	s_and_saveexec_b64 s[6:7], vcc
	s_cbranch_execz .LBB933_124
; %bb.121:                              ;   in Loop: Header=BB933_17 Depth=1
	v_and_b32_e32 v42, 0x7f, v34
	v_cmp_ne_u32_e32 vcc, s14, v42
	v_mov_b32_e32 v23, 0x7f80
	s_and_saveexec_b64 s[10:11], vcc
	s_cbranch_execz .LBB933_123
; %bb.122:                              ;   in Loop: Header=BB933_17 Depth=1
	v_and_b32_e32 v23, 7, v34
	v_ffbh_u32_e32 v52, v23
	v_min_u32_e32 v54, 32, v52
	v_subrev_u32_e32 v52, 28, v54
	v_lshlrev_b64 v[52:53], v52, v[34:35]
	v_lshrrev_b32_e32 v44, 3, v42
	v_sub_u32_e32 v34, 29, v54
	v_and_b32_e32 v52, 7, v52
	v_cmp_gt_u32_e32 vcc, 8, v42
	v_cndmask_b32_e32 v34, v44, v34, vcc
	v_cndmask_b32_e32 v23, v23, v52, vcc
	v_lshlrev_b32_e32 v42, 16, v32
	v_lshlrev_b32_e32 v23, 20, v23
	v_and_b32_e32 v42, 0x80000000, v42
	v_lshl_add_u32 v34, v34, 23, v38
	v_or3_b32 v23, v42, v34, v23
	v_lshrrev_b32_e32 v23, 16, v23
.LBB933_123:                            ;   in Loop: Header=BB933_17 Depth=1
	s_or_b64 exec, exec, s[10:11]
.LBB933_124:                            ;   in Loop: Header=BB933_17 Depth=1
	s_or_b64 exec, exec, s[6:7]
.LBB933_125:                            ;   in Loop: Header=BB933_17 Depth=1
	s_or_b64 exec, exec, s[4:5]
	v_lshrrev_b32_e32 v34, 16, v32
	v_cmp_ne_u16_sdwa s[6:7], v34, v35 src0_sel:BYTE_0 src1_sel:DWORD
	v_mov_b32_e32 v44, 0
	v_mov_b32_e32 v42, 0
	s_and_saveexec_b64 s[4:5], s[6:7]
	s_cbranch_execz .LBB933_131
; %bb.126:                              ;   in Loop: Header=BB933_17 Depth=1
	v_cmp_ne_u16_sdwa s[10:11], v34, s13 src0_sel:BYTE_0 src1_sel:DWORD
	v_mov_b32_e32 v42, 0xffff8000
	s_and_saveexec_b64 s[6:7], s[10:11]
	s_cbranch_execz .LBB933_130
; %bb.127:                              ;   in Loop: Header=BB933_17 Depth=1
	v_bfe_u32 v52, v32, 16, 7
	v_cmp_ne_u32_e32 vcc, s14, v52
	v_mov_b32_e32 v42, 0x7f80
	s_and_saveexec_b64 s[10:11], vcc
	s_cbranch_execz .LBB933_129
; %bb.128:                              ;   in Loop: Header=BB933_17 Depth=1
	v_and_b32_e32 v42, 7, v34
	v_ffbh_u32_e32 v54, v42
	v_min_u32_e32 v56, 32, v54
	v_subrev_u32_e32 v54, 28, v56
	v_lshlrev_b64 v[54:55], v54, v[34:35]
	v_lshrrev_b32_e32 v53, 3, v52
	v_sub_u32_e32 v55, 29, v56
	v_and_b32_e32 v54, 7, v54
	v_cmp_gt_u32_e32 vcc, 8, v52
	v_cndmask_b32_e32 v52, v53, v55, vcc
	v_cndmask_b32_e32 v42, v42, v54, vcc
	v_lshlrev_b32_e32 v34, 24, v34
	v_lshlrev_b32_e32 v42, 20, v42
	v_and_b32_e32 v34, 0x80000000, v34
	v_lshl_add_u32 v52, v52, 23, v38
	v_or3_b32 v34, v34, v52, v42
	v_lshrrev_b32_e32 v42, 16, v34
.LBB933_129:                            ;   in Loop: Header=BB933_17 Depth=1
	s_or_b64 exec, exec, s[10:11]
.LBB933_130:                            ;   in Loop: Header=BB933_17 Depth=1
	s_or_b64 exec, exec, s[6:7]
.LBB933_131:                            ;   in Loop: Header=BB933_17 Depth=1
	s_or_b64 exec, exec, s[4:5]
	v_cmp_lt_u32_e32 vcc, s15, v32
	s_and_saveexec_b64 s[4:5], vcc
	s_cbranch_execz .LBB933_137
; %bb.132:                              ;   in Loop: Header=BB933_17 Depth=1
	v_lshrrev_b32_e32 v34, 24, v32
	v_cmp_ne_u32_e32 vcc, s13, v34
	v_mov_b32_e32 v44, 0xffff8000
	s_and_saveexec_b64 s[6:7], vcc
	s_cbranch_execz .LBB933_136
; %bb.133:                              ;   in Loop: Header=BB933_17 Depth=1
	v_bfe_u32 v32, v32, 24, 7
	v_cmp_ne_u32_e32 vcc, s14, v32
	v_mov_b32_e32 v44, 0x7f80
	s_and_saveexec_b64 s[10:11], vcc
	s_cbranch_execz .LBB933_135
; %bb.134:                              ;   in Loop: Header=BB933_17 Depth=1
	v_and_b32_e32 v44, 7, v34
	v_ffbh_u32_e32 v52, v44
	v_min_u32_e32 v55, 32, v52
	v_subrev_u32_e32 v52, 28, v55
	v_lshlrev_b64 v[52:53], v52, v[34:35]
	v_lshrrev_b32_e32 v54, 3, v32
	v_sub_u32_e32 v53, 29, v55
	v_and_b32_e32 v52, 7, v52
	v_cmp_gt_u32_e32 vcc, 8, v32
	v_cndmask_b32_e32 v32, v54, v53, vcc
	v_cndmask_b32_e32 v44, v44, v52, vcc
	v_lshlrev_b32_e32 v34, 24, v34
	v_lshlrev_b32_e32 v44, 20, v44
	v_and_b32_e32 v34, 0x80000000, v34
	v_lshl_add_u32 v32, v32, 23, v38
	v_or3_b32 v32, v34, v32, v44
	v_lshrrev_b32_e32 v44, 16, v32
.LBB933_135:                            ;   in Loop: Header=BB933_17 Depth=1
	s_or_b64 exec, exec, s[10:11]
.LBB933_136:                            ;   in Loop: Header=BB933_17 Depth=1
	s_or_b64 exec, exec, s[6:7]
.LBB933_137:                            ;   in Loop: Header=BB933_17 Depth=1
	s_or_b64 exec, exec, s[4:5]
	s_waitcnt vmcnt(2)
	v_cmp_ne_u16_sdwa s[6:7], v30, v35 src0_sel:BYTE_0 src1_sel:DWORD
	v_mov_b32_e32 v34, 0
	v_mov_b32_e32 v52, 0
	s_and_saveexec_b64 s[4:5], s[6:7]
	s_cbranch_execz .LBB933_143
; %bb.138:                              ;   in Loop: Header=BB933_17 Depth=1
	v_cmp_ne_u16_sdwa s[10:11], v30, s13 src0_sel:BYTE_0 src1_sel:DWORD
	v_mov_b32_e32 v52, 0xffff8000
	s_and_saveexec_b64 s[6:7], s[10:11]
	s_cbranch_execz .LBB933_142
; %bb.139:                              ;   in Loop: Header=BB933_17 Depth=1
	v_and_b32_e32 v32, 0x7f, v30
	v_cmp_ne_u32_e32 vcc, s14, v32
	v_mov_b32_e32 v52, 0x7f80
	s_and_saveexec_b64 s[10:11], vcc
	s_cbranch_execz .LBB933_141
; %bb.140:                              ;   in Loop: Header=BB933_17 Depth=1
	v_and_b32_e32 v54, 7, v30
	v_ffbh_u32_e32 v52, v54
	v_min_u32_e32 v56, 32, v52
	v_subrev_u32_e32 v52, 28, v56
	v_lshlrev_b64 v[52:53], v52, v[30:31]
	v_lshrrev_b32_e32 v55, 3, v32
	v_sub_u32_e32 v53, 29, v56
	v_and_b32_e32 v52, 7, v52
	v_cmp_gt_u32_e32 vcc, 8, v32
	v_cndmask_b32_e32 v32, v55, v53, vcc
	v_cndmask_b32_e32 v52, v54, v52, vcc
	v_lshlrev_b32_e32 v53, 24, v30
	v_lshlrev_b32_e32 v52, 20, v52
	v_and_b32_e32 v53, 0x80000000, v53
	v_lshl_add_u32 v32, v32, 23, v38
	v_or3_b32 v32, v53, v32, v52
	v_lshrrev_b32_e32 v52, 16, v32
.LBB933_141:                            ;   in Loop: Header=BB933_17 Depth=1
	s_or_b64 exec, exec, s[10:11]
.LBB933_142:                            ;   in Loop: Header=BB933_17 Depth=1
	s_or_b64 exec, exec, s[6:7]
.LBB933_143:                            ;   in Loop: Header=BB933_17 Depth=1
	s_or_b64 exec, exec, s[4:5]
	v_lshrrev_b16_e32 v32, 8, v30
	v_cmp_ne_u16_e32 vcc, 0, v32
	s_and_saveexec_b64 s[4:5], vcc
	s_cbranch_execz .LBB933_149
; %bb.144:                              ;   in Loop: Header=BB933_17 Depth=1
	v_cmp_ne_u16_e32 vcc, s13, v32
	v_mov_b32_e32 v34, 0xffff8000
	s_and_saveexec_b64 s[6:7], vcc
	s_cbranch_execz .LBB933_148
; %bb.145:                              ;   in Loop: Header=BB933_17 Depth=1
	v_and_b32_e32 v53, 0x7f, v32
	v_cmp_ne_u32_e32 vcc, s14, v53
	v_mov_b32_e32 v34, 0x7f80
	s_and_saveexec_b64 s[10:11], vcc
	s_cbranch_execz .LBB933_147
; %bb.146:                              ;   in Loop: Header=BB933_17 Depth=1
	v_and_b32_e32 v34, 7, v32
	v_ffbh_u32_e32 v54, v34
	v_min_u32_e32 v57, 32, v54
	v_subrev_u32_e32 v54, 28, v57
	v_lshlrev_b64 v[54:55], v54, v[32:33]
	v_lshrrev_b32_e32 v56, 3, v53
	v_sub_u32_e32 v32, 29, v57
	v_and_b32_e32 v54, 7, v54
	v_cmp_gt_u32_e32 vcc, 8, v53
	v_cndmask_b32_e32 v32, v56, v32, vcc
	v_cndmask_b32_e32 v34, v34, v54, vcc
	v_lshlrev_b32_e32 v53, 16, v30
	v_lshlrev_b32_e32 v34, 20, v34
	v_and_b32_e32 v53, 0x80000000, v53
	v_lshl_add_u32 v32, v32, 23, v38
	v_or3_b32 v32, v53, v32, v34
	v_lshrrev_b32_e32 v34, 16, v32
.LBB933_147:                            ;   in Loop: Header=BB933_17 Depth=1
	s_or_b64 exec, exec, s[10:11]
.LBB933_148:                            ;   in Loop: Header=BB933_17 Depth=1
	s_or_b64 exec, exec, s[6:7]
.LBB933_149:                            ;   in Loop: Header=BB933_17 Depth=1
	s_or_b64 exec, exec, s[4:5]
	v_lshrrev_b32_e32 v32, 16, v30
	v_cmp_ne_u16_sdwa s[6:7], v32, v35 src0_sel:BYTE_0 src1_sel:DWORD
	v_mov_b32_e32 v54, 0
	v_mov_b32_e32 v53, 0
	s_and_saveexec_b64 s[4:5], s[6:7]
	s_cbranch_execz .LBB933_155
; %bb.150:                              ;   in Loop: Header=BB933_17 Depth=1
	v_cmp_ne_u16_sdwa s[10:11], v32, s13 src0_sel:BYTE_0 src1_sel:DWORD
	v_mov_b32_e32 v53, 0xffff8000
	s_and_saveexec_b64 s[6:7], s[10:11]
	s_cbranch_execz .LBB933_154
; %bb.151:                              ;   in Loop: Header=BB933_17 Depth=1
	v_bfe_u32 v55, v30, 16, 7
	v_cmp_ne_u32_e32 vcc, s14, v55
	v_mov_b32_e32 v53, 0x7f80
	s_and_saveexec_b64 s[10:11], vcc
	s_cbranch_execz .LBB933_153
; %bb.152:                              ;   in Loop: Header=BB933_17 Depth=1
	v_and_b32_e32 v53, 7, v32
	v_ffbh_u32_e32 v56, v53
	v_min_u32_e32 v59, 32, v56
	v_subrev_u32_e32 v56, 28, v59
	v_lshlrev_b64 v[56:57], v56, v[32:33]
	v_lshrrev_b32_e32 v58, 3, v55
	v_sub_u32_e32 v57, 29, v59
	v_and_b32_e32 v56, 7, v56
	v_cmp_gt_u32_e32 vcc, 8, v55
	v_cndmask_b32_e32 v55, v58, v57, vcc
	v_cndmask_b32_e32 v53, v53, v56, vcc
	v_lshlrev_b32_e32 v32, 24, v32
	v_lshlrev_b32_e32 v53, 20, v53
	v_and_b32_e32 v32, 0x80000000, v32
	v_lshl_add_u32 v55, v55, 23, v38
	v_or3_b32 v32, v32, v55, v53
	v_lshrrev_b32_e32 v53, 16, v32
.LBB933_153:                            ;   in Loop: Header=BB933_17 Depth=1
	s_or_b64 exec, exec, s[10:11]
.LBB933_154:                            ;   in Loop: Header=BB933_17 Depth=1
	s_or_b64 exec, exec, s[6:7]
.LBB933_155:                            ;   in Loop: Header=BB933_17 Depth=1
	s_or_b64 exec, exec, s[4:5]
	v_cmp_lt_u32_e32 vcc, s15, v30
	s_and_saveexec_b64 s[4:5], vcc
	s_cbranch_execz .LBB933_161
; %bb.156:                              ;   in Loop: Header=BB933_17 Depth=1
	v_lshrrev_b32_e32 v32, 24, v30
	v_cmp_ne_u32_e32 vcc, s13, v32
	v_mov_b32_e32 v54, 0xffff8000
	s_and_saveexec_b64 s[6:7], vcc
	s_cbranch_execz .LBB933_160
; %bb.157:                              ;   in Loop: Header=BB933_17 Depth=1
	v_bfe_u32 v30, v30, 24, 7
	v_cmp_ne_u32_e32 vcc, s14, v30
	v_mov_b32_e32 v54, 0x7f80
	s_and_saveexec_b64 s[10:11], vcc
	s_cbranch_execz .LBB933_159
; %bb.158:                              ;   in Loop: Header=BB933_17 Depth=1
	v_and_b32_e32 v56, 7, v32
	v_ffbh_u32_e32 v54, v56
	v_min_u32_e32 v58, 32, v54
	v_subrev_u32_e32 v54, 28, v58
	v_lshlrev_b64 v[54:55], v54, v[32:33]
	v_lshrrev_b32_e32 v57, 3, v30
	v_sub_u32_e32 v55, 29, v58
	v_and_b32_e32 v54, 7, v54
	v_cmp_gt_u32_e32 vcc, 8, v30
	v_cndmask_b32_e32 v30, v57, v55, vcc
	v_cndmask_b32_e32 v54, v56, v54, vcc
	v_lshlrev_b32_e32 v32, 24, v32
	v_lshlrev_b32_e32 v54, 20, v54
	v_and_b32_e32 v32, 0x80000000, v32
	v_lshl_add_u32 v30, v30, 23, v38
	v_or3_b32 v30, v32, v30, v54
	v_lshrrev_b32_e32 v54, 16, v30
.LBB933_159:                            ;   in Loop: Header=BB933_17 Depth=1
	s_or_b64 exec, exec, s[10:11]
.LBB933_160:                            ;   in Loop: Header=BB933_17 Depth=1
	s_or_b64 exec, exec, s[6:7]
.LBB933_161:                            ;   in Loop: Header=BB933_17 Depth=1
	s_or_b64 exec, exec, s[4:5]
	v_perm_b32 v57, v44, v42, s16
	v_perm_b32 v56, v23, v40, s16
	v_perm_b32 v53, v54, v53, s16
	v_perm_b32 v52, v34, v52, s16
	s_waitcnt vmcnt(1)
	v_cmp_ne_u16_sdwa s[6:7], v28, v35 src0_sel:BYTE_0 src1_sel:DWORD
	v_mfma_f32_16x16x16bf16_1k v[18:21], v[56:57], v[10:11], v[18:21]
	v_mov_b32_e32 v23, 0
	v_mov_b32_e32 v32, 0
	v_mfma_f32_16x16x16bf16_1k v[18:21], v[52:53], v[12:13], v[18:21]
	s_and_saveexec_b64 s[4:5], s[6:7]
	s_cbranch_execz .LBB933_167
; %bb.162:                              ;   in Loop: Header=BB933_17 Depth=1
	v_cmp_ne_u16_sdwa s[10:11], v28, s13 src0_sel:BYTE_0 src1_sel:DWORD
	v_mov_b32_e32 v32, 0xffff8000
	s_and_saveexec_b64 s[6:7], s[10:11]
	s_cbranch_execz .LBB933_166
; %bb.163:                              ;   in Loop: Header=BB933_17 Depth=1
	v_and_b32_e32 v30, 0x7f, v28
	v_cmp_ne_u32_e32 vcc, s14, v30
	v_mov_b32_e32 v32, 0x7f80
	s_and_saveexec_b64 s[10:11], vcc
	s_cbranch_execz .LBB933_165
; %bb.164:                              ;   in Loop: Header=BB933_17 Depth=1
	v_and_b32_e32 v32, 7, v28
	v_ffbh_u32_e32 v40, v32
	v_min_u32_e32 v40, 32, v40
	v_subrev_u32_e32 v42, 28, v40
	v_lshlrev_b64 v[52:53], v42, v[28:29]
	v_lshrrev_b32_e32 v34, 3, v30
	v_sub_u32_e32 v40, 29, v40
	v_and_b32_e32 v42, 7, v52
	v_cmp_gt_u32_e32 vcc, 8, v30
	v_cndmask_b32_e32 v30, v34, v40, vcc
	v_cndmask_b32_e32 v32, v32, v42, vcc
	v_lshlrev_b32_e32 v34, 24, v28
	v_lshlrev_b32_e32 v32, 20, v32
	v_and_b32_e32 v34, 0x80000000, v34
	v_lshl_add_u32 v30, v30, 23, v38
	v_or3_b32 v30, v34, v30, v32
	v_lshrrev_b32_e32 v32, 16, v30
.LBB933_165:                            ;   in Loop: Header=BB933_17 Depth=1
	s_or_b64 exec, exec, s[10:11]
.LBB933_166:                            ;   in Loop: Header=BB933_17 Depth=1
	s_or_b64 exec, exec, s[6:7]
.LBB933_167:                            ;   in Loop: Header=BB933_17 Depth=1
	s_or_b64 exec, exec, s[4:5]
	v_lshrrev_b16_e32 v30, 8, v28
	v_cmp_ne_u16_e32 vcc, 0, v30
	s_and_saveexec_b64 s[4:5], vcc
	s_cbranch_execz .LBB933_173
; %bb.168:                              ;   in Loop: Header=BB933_17 Depth=1
	v_cmp_ne_u16_e32 vcc, s13, v30
	v_mov_b32_e32 v23, 0xffff8000
	s_and_saveexec_b64 s[6:7], vcc
	s_cbranch_execz .LBB933_172
; %bb.169:                              ;   in Loop: Header=BB933_17 Depth=1
	v_and_b32_e32 v34, 0x7f, v30
	v_cmp_ne_u32_e32 vcc, s14, v34
	v_mov_b32_e32 v23, 0x7f80
	s_and_saveexec_b64 s[10:11], vcc
	s_cbranch_execz .LBB933_171
; %bb.170:                              ;   in Loop: Header=BB933_17 Depth=1
	v_and_b32_e32 v23, 7, v30
	v_ffbh_u32_e32 v42, v23
	v_min_u32_e32 v42, 32, v42
	v_subrev_u32_e32 v44, 28, v42
	v_lshlrev_b64 v[52:53], v44, v[30:31]
	v_lshrrev_b32_e32 v40, 3, v34
	v_sub_u32_e32 v30, 29, v42
	v_and_b32_e32 v42, 7, v52
	v_cmp_gt_u32_e32 vcc, 8, v34
	v_cndmask_b32_e32 v30, v40, v30, vcc
	v_cndmask_b32_e32 v23, v23, v42, vcc
	v_lshlrev_b32_e32 v34, 16, v28
	v_lshlrev_b32_e32 v23, 20, v23
	v_and_b32_e32 v34, 0x80000000, v34
	v_lshl_add_u32 v30, v30, 23, v38
	v_or3_b32 v23, v34, v30, v23
	v_lshrrev_b32_e32 v23, 16, v23
.LBB933_171:                            ;   in Loop: Header=BB933_17 Depth=1
	s_or_b64 exec, exec, s[10:11]
.LBB933_172:                            ;   in Loop: Header=BB933_17 Depth=1
	s_or_b64 exec, exec, s[6:7]
.LBB933_173:                            ;   in Loop: Header=BB933_17 Depth=1
	s_or_b64 exec, exec, s[4:5]
	v_lshrrev_b32_e32 v30, 16, v28
	v_cmp_ne_u16_sdwa s[6:7], v30, v35 src0_sel:BYTE_0 src1_sel:DWORD
	v_mov_b32_e32 v40, 0
	v_mov_b32_e32 v34, 0
	s_and_saveexec_b64 s[4:5], s[6:7]
	s_cbranch_execz .LBB933_179
; %bb.174:                              ;   in Loop: Header=BB933_17 Depth=1
	v_cmp_ne_u16_sdwa s[10:11], v30, s13 src0_sel:BYTE_0 src1_sel:DWORD
	v_mov_b32_e32 v34, 0xffff8000
	s_and_saveexec_b64 s[6:7], s[10:11]
	s_cbranch_execz .LBB933_178
; %bb.175:                              ;   in Loop: Header=BB933_17 Depth=1
	v_bfe_u32 v42, v28, 16, 7
	v_cmp_ne_u32_e32 vcc, s14, v42
	v_mov_b32_e32 v34, 0x7f80
	s_and_saveexec_b64 s[10:11], vcc
	s_cbranch_execz .LBB933_177
; %bb.176:                              ;   in Loop: Header=BB933_17 Depth=1
	v_and_b32_e32 v34, 7, v30
	v_ffbh_u32_e32 v52, v34
	v_min_u32_e32 v54, 32, v52
	v_subrev_u32_e32 v52, 28, v54
	v_lshlrev_b64 v[52:53], v52, v[30:31]
	v_lshrrev_b32_e32 v44, 3, v42
	v_sub_u32_e32 v53, 29, v54
	v_and_b32_e32 v52, 7, v52
	v_cmp_gt_u32_e32 vcc, 8, v42
	v_cndmask_b32_e32 v42, v44, v53, vcc
	v_cndmask_b32_e32 v34, v34, v52, vcc
	v_lshlrev_b32_e32 v30, 24, v30
	v_lshlrev_b32_e32 v34, 20, v34
	v_and_b32_e32 v30, 0x80000000, v30
	v_lshl_add_u32 v42, v42, 23, v38
	v_or3_b32 v30, v30, v42, v34
	v_lshrrev_b32_e32 v34, 16, v30
.LBB933_177:                            ;   in Loop: Header=BB933_17 Depth=1
	s_or_b64 exec, exec, s[10:11]
.LBB933_178:                            ;   in Loop: Header=BB933_17 Depth=1
	s_or_b64 exec, exec, s[6:7]
.LBB933_179:                            ;   in Loop: Header=BB933_17 Depth=1
	s_or_b64 exec, exec, s[4:5]
	v_cmp_lt_u32_e32 vcc, s15, v28
	s_and_saveexec_b64 s[4:5], vcc
	s_cbranch_execz .LBB933_185
; %bb.180:                              ;   in Loop: Header=BB933_17 Depth=1
	v_lshrrev_b32_e32 v30, 24, v28
	v_cmp_ne_u32_e32 vcc, s13, v30
	v_mov_b32_e32 v40, 0xffff8000
	s_and_saveexec_b64 s[6:7], vcc
	s_cbranch_execz .LBB933_184
; %bb.181:                              ;   in Loop: Header=BB933_17 Depth=1
	v_bfe_u32 v28, v28, 24, 7
	v_cmp_ne_u32_e32 vcc, s14, v28
	v_mov_b32_e32 v40, 0x7f80
	s_and_saveexec_b64 s[10:11], vcc
	s_cbranch_execz .LBB933_183
; %bb.182:                              ;   in Loop: Header=BB933_17 Depth=1
	v_and_b32_e32 v40, 7, v30
	v_ffbh_u32_e32 v44, v40
	v_min_u32_e32 v44, 32, v44
	v_subrev_u32_e32 v52, 28, v44
	v_lshlrev_b64 v[52:53], v52, v[30:31]
	v_lshrrev_b32_e32 v42, 3, v28
	v_sub_u32_e32 v44, 29, v44
	v_and_b32_e32 v52, 7, v52
	v_cmp_gt_u32_e32 vcc, 8, v28
	v_cndmask_b32_e32 v28, v42, v44, vcc
	v_cndmask_b32_e32 v40, v40, v52, vcc
	v_lshlrev_b32_e32 v30, 24, v30
	v_lshlrev_b32_e32 v40, 20, v40
	v_and_b32_e32 v30, 0x80000000, v30
	v_lshl_add_u32 v28, v28, 23, v38
	v_or3_b32 v28, v30, v28, v40
	v_lshrrev_b32_e32 v40, 16, v28
.LBB933_183:                            ;   in Loop: Header=BB933_17 Depth=1
	s_or_b64 exec, exec, s[10:11]
.LBB933_184:                            ;   in Loop: Header=BB933_17 Depth=1
	s_or_b64 exec, exec, s[6:7]
.LBB933_185:                            ;   in Loop: Header=BB933_17 Depth=1
	s_or_b64 exec, exec, s[4:5]
	s_waitcnt vmcnt(0)
	v_cmp_ne_u16_sdwa s[6:7], v26, v35 src0_sel:BYTE_0 src1_sel:DWORD
	v_mov_b32_e32 v30, 0
	v_mov_b32_e32 v42, 0
	s_and_saveexec_b64 s[4:5], s[6:7]
	s_cbranch_execz .LBB933_191
; %bb.186:                              ;   in Loop: Header=BB933_17 Depth=1
	v_cmp_ne_u16_sdwa s[10:11], v26, s13 src0_sel:BYTE_0 src1_sel:DWORD
	v_mov_b32_e32 v42, 0xffff8000
	s_and_saveexec_b64 s[6:7], s[10:11]
	s_cbranch_execz .LBB933_190
; %bb.187:                              ;   in Loop: Header=BB933_17 Depth=1
	v_and_b32_e32 v28, 0x7f, v26
	v_cmp_ne_u32_e32 vcc, s14, v28
	v_mov_b32_e32 v42, 0x7f80
	s_and_saveexec_b64 s[10:11], vcc
	s_cbranch_execz .LBB933_189
; %bb.188:                              ;   in Loop: Header=BB933_17 Depth=1
	v_and_b32_e32 v42, 7, v26
	v_ffbh_u32_e32 v52, v42
	v_min_u32_e32 v54, 32, v52
	v_subrev_u32_e32 v52, 28, v54
	v_lshlrev_b64 v[52:53], v52, v[26:27]
	v_lshrrev_b32_e32 v44, 3, v28
	v_sub_u32_e32 v53, 29, v54
	v_and_b32_e32 v52, 7, v52
	v_cmp_gt_u32_e32 vcc, 8, v28
	v_cndmask_b32_e32 v28, v44, v53, vcc
	v_cndmask_b32_e32 v42, v42, v52, vcc
	v_lshlrev_b32_e32 v44, 24, v26
	v_lshlrev_b32_e32 v42, 20, v42
	v_and_b32_e32 v44, 0x80000000, v44
	v_lshl_add_u32 v28, v28, 23, v38
	v_or3_b32 v28, v44, v28, v42
	v_lshrrev_b32_e32 v42, 16, v28
.LBB933_189:                            ;   in Loop: Header=BB933_17 Depth=1
	s_or_b64 exec, exec, s[10:11]
.LBB933_190:                            ;   in Loop: Header=BB933_17 Depth=1
	s_or_b64 exec, exec, s[6:7]
.LBB933_191:                            ;   in Loop: Header=BB933_17 Depth=1
	s_or_b64 exec, exec, s[4:5]
	v_lshrrev_b16_e32 v28, 8, v26
	v_cmp_ne_u16_e32 vcc, 0, v28
	s_and_saveexec_b64 s[4:5], vcc
	s_cbranch_execz .LBB933_197
; %bb.192:                              ;   in Loop: Header=BB933_17 Depth=1
	v_cmp_ne_u16_e32 vcc, s13, v28
	v_mov_b32_e32 v30, 0xffff8000
	s_and_saveexec_b64 s[6:7], vcc
	s_cbranch_execz .LBB933_196
; %bb.193:                              ;   in Loop: Header=BB933_17 Depth=1
	v_and_b32_e32 v44, 0x7f, v28
	v_cmp_ne_u32_e32 vcc, s14, v44
	v_mov_b32_e32 v30, 0x7f80
	s_and_saveexec_b64 s[10:11], vcc
	s_cbranch_execz .LBB933_195
; %bb.194:                              ;   in Loop: Header=BB933_17 Depth=1
	v_and_b32_e32 v30, 7, v28
	v_ffbh_u32_e32 v52, v30
	v_min_u32_e32 v55, 32, v52
	v_subrev_u32_e32 v52, 28, v55
	v_lshlrev_b64 v[52:53], v52, v[28:29]
	v_lshrrev_b32_e32 v54, 3, v44
	v_sub_u32_e32 v28, 29, v55
	v_and_b32_e32 v52, 7, v52
	v_cmp_gt_u32_e32 vcc, 8, v44
	v_cndmask_b32_e32 v28, v54, v28, vcc
	v_cndmask_b32_e32 v30, v30, v52, vcc
	v_lshlrev_b32_e32 v44, 16, v26
	v_lshlrev_b32_e32 v30, 20, v30
	v_and_b32_e32 v44, 0x80000000, v44
	v_lshl_add_u32 v28, v28, 23, v38
	v_or3_b32 v28, v44, v28, v30
	v_lshrrev_b32_e32 v30, 16, v28
.LBB933_195:                            ;   in Loop: Header=BB933_17 Depth=1
	s_or_b64 exec, exec, s[10:11]
.LBB933_196:                            ;   in Loop: Header=BB933_17 Depth=1
	s_or_b64 exec, exec, s[6:7]
.LBB933_197:                            ;   in Loop: Header=BB933_17 Depth=1
	s_or_b64 exec, exec, s[4:5]
	v_lshrrev_b32_e32 v28, 16, v26
	v_cmp_ne_u16_sdwa s[6:7], v28, v35 src0_sel:BYTE_0 src1_sel:DWORD
	v_mov_b32_e32 v52, 0
	v_mov_b32_e32 v44, 0
	s_and_saveexec_b64 s[4:5], s[6:7]
	s_cbranch_execz .LBB933_203
; %bb.198:                              ;   in Loop: Header=BB933_17 Depth=1
	v_cmp_ne_u16_sdwa s[10:11], v28, s13 src0_sel:BYTE_0 src1_sel:DWORD
	v_mov_b32_e32 v44, 0xffff8000
	s_and_saveexec_b64 s[6:7], s[10:11]
	s_cbranch_execz .LBB933_202
; %bb.199:                              ;   in Loop: Header=BB933_17 Depth=1
	v_bfe_u32 v53, v26, 16, 7
	v_cmp_ne_u32_e32 vcc, s14, v53
	v_mov_b32_e32 v44, 0x7f80
	s_and_saveexec_b64 s[10:11], vcc
	s_cbranch_execz .LBB933_201
; %bb.200:                              ;   in Loop: Header=BB933_17 Depth=1
	v_and_b32_e32 v44, 7, v28
	v_ffbh_u32_e32 v54, v44
	v_min_u32_e32 v57, 32, v54
	v_subrev_u32_e32 v54, 28, v57
	v_lshlrev_b64 v[54:55], v54, v[28:29]
	v_lshrrev_b32_e32 v56, 3, v53
	v_sub_u32_e32 v55, 29, v57
	v_and_b32_e32 v54, 7, v54
	v_cmp_gt_u32_e32 vcc, 8, v53
	v_cndmask_b32_e32 v53, v56, v55, vcc
	v_cndmask_b32_e32 v44, v44, v54, vcc
	v_lshlrev_b32_e32 v28, 24, v28
	v_lshlrev_b32_e32 v44, 20, v44
	v_and_b32_e32 v28, 0x80000000, v28
	v_lshl_add_u32 v53, v53, 23, v38
	v_or3_b32 v28, v28, v53, v44
	v_lshrrev_b32_e32 v44, 16, v28
.LBB933_201:                            ;   in Loop: Header=BB933_17 Depth=1
	s_or_b64 exec, exec, s[10:11]
.LBB933_202:                            ;   in Loop: Header=BB933_17 Depth=1
	s_or_b64 exec, exec, s[6:7]
.LBB933_203:                            ;   in Loop: Header=BB933_17 Depth=1
	s_or_b64 exec, exec, s[4:5]
	v_cmp_lt_u32_e32 vcc, s15, v26
	s_and_saveexec_b64 s[4:5], vcc
	s_cbranch_execz .LBB933_16
; %bb.204:                              ;   in Loop: Header=BB933_17 Depth=1
	v_lshrrev_b32_e32 v28, 24, v26
	v_cmp_ne_u32_e32 vcc, s13, v28
	v_mov_b32_e32 v52, 0xffff8000
	s_and_saveexec_b64 s[6:7], vcc
	s_cbranch_execz .LBB933_15
; %bb.205:                              ;   in Loop: Header=BB933_17 Depth=1
	v_bfe_u32 v26, v26, 24, 7
	v_cmp_ne_u32_e32 vcc, s14, v26
	v_mov_b32_e32 v52, 0x7f80
	s_and_saveexec_b64 s[10:11], vcc
	s_cbranch_execz .LBB933_14
; %bb.206:                              ;   in Loop: Header=BB933_17 Depth=1
	v_and_b32_e32 v54, 7, v28
	v_ffbh_u32_e32 v52, v54
	v_min_u32_e32 v56, 32, v52
	v_subrev_u32_e32 v52, 28, v56
	v_lshlrev_b64 v[52:53], v52, v[28:29]
	v_lshrrev_b32_e32 v55, 3, v26
	v_sub_u32_e32 v53, 29, v56
	v_and_b32_e32 v52, 7, v52
	v_cmp_gt_u32_e32 vcc, 8, v26
	v_cndmask_b32_e32 v26, v55, v53, vcc
	v_cndmask_b32_e32 v52, v54, v52, vcc
	v_lshlrev_b32_e32 v28, 24, v28
	v_lshlrev_b32_e32 v52, 20, v52
	v_and_b32_e32 v28, 0x80000000, v28
	v_lshl_add_u32 v26, v26, 23, v38
	v_or3_b32 v26, v28, v26, v52
	v_lshrrev_b32_e32 v52, 16, v26
	s_branch .LBB933_14
.LBB933_207:
	buffer_load_dword v17, off, s[0:3], 0 offset:256
	buffer_load_dword v16, off, s[0:3], 0 offset:260
	;; [unrolled: 1-line block ×16, first 2 shown]
	v_and_b32_e32 v18, 0xc0, v0
	v_add_u32_e32 v18, s20, v18
	v_lshl_or_b32 v18, v1, 2, v18
	v_or_b32_e32 v20, 1, v18
	v_subrev_u32_e32 v24, s33, v20
	v_add_u32_e32 v26, 1, v24
	v_cvt_f32_i32_e32 v25, v24
	v_add_u32_e32 v28, 2, v24
	v_add_u32_e32 v30, 3, v24
	;; [unrolled: 1-line block ×14, first 2 shown]
	v_cvt_f32_i32_e32 v26, v26
	v_cvt_f32_i32_e32 v28, v28
	v_cvt_f32_i32_e32 v30, v30
	v_cvt_f32_i32_e32 v24, v24
	v_mov_b32_e32 v19, 0xff7fffff
	v_or_b32_e32 v21, 2, v18
	v_or_b32_e32 v22, 3, v18
	v_cvt_f32_i32_e32 v32, v32
	v_cvt_f32_i32_e32 v34, v34
	v_cmp_gt_i32_e64 s[28:29], s33, v18
	v_cmp_gt_i32_e64 s[30:31], s33, v20
	s_mov_b32 s52, 0xff7fffff
	v_cmp_gt_i32_e64 s[34:35], s33, v21
	v_cmp_gt_i32_e64 s[36:37], s33, v22
	v_or_b32_e32 v23, 16, v18
	v_cvt_f32_i32_e32 v35, v35
	v_cvt_f32_i32_e32 v36, v36
	v_cmp_gt_i32_e64 s[24:25], s33, v23
	v_cvt_f32_i32_e32 v37, v37
	v_cvt_f32_i32_e32 v38, v38
	;; [unrolled: 1-line block ×7, first 2 shown]
	s_waitcnt vmcnt(15)
	v_fmac_f32_e32 v17, v31, v25
	s_waitcnt vmcnt(14)
	v_fmac_f32_e32 v16, v31, v26
	s_waitcnt vmcnt(13)
	v_fmac_f32_e32 v15, v31, v28
	s_waitcnt vmcnt(12)
	v_fmac_f32_e32 v14, v31, v30
	v_cndmask_b32_e64 v20, v19, v16, s[30:31]
	v_cndmask_b32_e64 v21, v19, v15, s[34:35]
	;; [unrolled: 1-line block ×3, first 2 shown]
	s_waitcnt vmcnt(11)
	v_fmac_f32_e32 v13, v31, v32
	s_waitcnt vmcnt(10)
	v_fmac_f32_e32 v12, v31, v34
	;; [unrolled: 2-line block ×9, first 2 shown]
	v_cndmask_b32_e64 v24, v19, v17, s[28:29]
	v_max3_f32 v20, v24, s52, v20
	v_max3_f32 v20, v20, v21, v22
	v_or_b32_e32 v22, 17, v18
	v_cmp_gt_i32_e64 s[38:39], s33, v22
	v_cndmask_b32_e64 v21, v19, v13, s[24:25]
	v_cndmask_b32_e64 v22, v19, v12, s[38:39]
	v_max3_f32 v20, v20, v21, v22
	v_or_b32_e32 v21, 18, v18
	v_or_b32_e32 v22, 19, v18
	v_cmp_gt_i32_e64 s[20:21], s33, v21
	v_cmp_gt_i32_e64 s[22:23], s33, v22
	v_cndmask_b32_e64 v21, v19, v11, s[20:21]
	v_cndmask_b32_e64 v22, v19, v10, s[22:23]
	v_max3_f32 v20, v20, v21, v22
	v_or_b32_e32 v21, 32, v18
	v_or_b32_e32 v22, 33, v18
	v_cmp_gt_i32_e64 s[16:17], s33, v21
	;; [unrolled: 7-line block ×3, first 2 shown]
	v_cmp_gt_i32_e64 s[14:15], s33, v22
	v_cndmask_b32_e64 v21, v19, v7, s[12:13]
	v_cndmask_b32_e64 v22, v19, v6, s[14:15]
	v_max3_f32 v20, v20, v21, v22
	v_or_b32_e32 v21, 48, v18
	v_or_b32_e32 v22, 49, v18
	v_fmac_f32_e32 v5, v31, v44
	v_fmac_f32_e32 v4, v31, v52
	v_cmp_gt_i32_e64 s[6:7], s33, v21
	v_cmp_gt_i32_e64 s[10:11], s33, v22
	v_cndmask_b32_e64 v21, v19, v5, s[6:7]
	v_cndmask_b32_e64 v22, v19, v4, s[10:11]
	v_max3_f32 v20, v20, v21, v22
	v_or_b32_e32 v21, 50, v18
	v_or_b32_e32 v18, 51, v18
	v_fmac_f32_e32 v3, v31, v53
	v_cmp_gt_i32_e32 vcc, s33, v21
	v_cmp_gt_i32_e64 s[4:5], s33, v18
	v_cndmask_b32_e32 v21, v19, v3, vcc
	v_cndmask_b32_e64 v18, v19, v2, s[4:5]
	v_mbcnt_lo_u32_b32 v19, -1, 0
	v_mbcnt_hi_u32_b32 v19, -1, v19
	v_max3_f32 v18, v20, v21, v18
	v_and_b32_e32 v20, 64, v19
	v_add_u32_e32 v20, 64, v20
	v_xor_b32_e32 v21, 32, v19
	v_cmp_lt_i32_e64 s[40:41], v21, v20
	v_cndmask_b32_e64 v21, v19, v21, s[40:41]
	v_lshlrev_b32_e32 v21, 2, v21
	ds_bpermute_b32 v22, v21, v18
	s_waitcnt lgkmcnt(0)
	v_max_f32_e32 v22, v22, v22
	v_max_f32_e32 v18, v18, v22
	v_xor_b32_e32 v22, 16, v19
	v_cmp_lt_i32_e64 s[40:41], v22, v20
	v_cndmask_b32_e64 v19, v19, v22, s[40:41]
	v_lshlrev_b32_e32 v19, 2, v19
	ds_bpermute_b32 v20, v19, v18
	s_waitcnt lgkmcnt(0)
	v_max_f32_e32 v20, v20, v20
	v_max_f32_e32 v18, v18, v20
	v_sub_f32_e32 v17, v17, v18
	v_mul_f32_e32 v17, 0x3fb8aa3b, v17
	v_sub_f32_e32 v16, v16, v18
	v_exp_f32_e32 v17, v17
	v_mul_f32_e32 v16, 0x3fb8aa3b, v16
	v_sub_f32_e32 v15, v15, v18
	v_exp_f32_e32 v16, v16
	;; [unrolled: 3-line block ×4, first 2 shown]
	v_mul_f32_e32 v13, 0x3fb8aa3b, v13
	v_sub_f32_e32 v12, v12, v18
	v_cndmask_b32_e64 v17, 0, v17, s[28:29]
	v_exp_f32_e32 v13, v13
	v_mul_f32_e32 v12, 0x3fb8aa3b, v12
	v_sub_f32_e32 v11, v11, v18
	v_add_f32_e32 v20, 0, v17
	v_cndmask_b32_e64 v16, 0, v16, s[30:31]
	v_exp_f32_e32 v12, v12
	v_mul_f32_e32 v11, 0x3fb8aa3b, v11
	v_sub_f32_e32 v10, v10, v18
	v_add_f32_e32 v20, v20, v16
	;; [unrolled: 5-line block ×4, first 2 shown]
	v_cndmask_b32_e64 v13, 0, v13, s[24:25]
	v_exp_f32_e32 v9, v9
	v_mul_f32_e32 v8, 0x3fb8aa3b, v8
	v_sub_f32_e32 v7, v7, v18
	buffer_store_dword v17, off, s[0:3], 0 offset:256
	buffer_store_dword v16, off, s[0:3], 0 offset:260
	;; [unrolled: 1-line block ×4, first 2 shown]
	v_add_f32_e32 v14, v20, v13
	v_cndmask_b32_e64 v12, 0, v12, s[38:39]
	v_exp_f32_e32 v8, v8
	v_mul_f32_e32 v7, 0x3fb8aa3b, v7
	v_sub_f32_e32 v6, v6, v18
	v_add_f32_e32 v14, v14, v12
	v_cndmask_b32_e64 v11, 0, v11, s[20:21]
	v_exp_f32_e32 v7, v7
	v_mul_f32_e32 v6, 0x3fb8aa3b, v6
	v_sub_f32_e32 v5, v5, v18
	;; [unrolled: 5-line block ×4, first 2 shown]
	buffer_store_dword v13, off, s[0:3], 0 offset:272
	buffer_store_dword v12, off, s[0:3], 0 offset:276
	;; [unrolled: 1-line block ×4, first 2 shown]
	v_add_f32_e32 v10, v14, v9
	v_cndmask_b32_e64 v8, 0, v8, s[18:19]
	v_exp_f32_e32 v4, v4
	v_mul_f32_e32 v3, 0x3fb8aa3b, v3
	v_sub_f32_e32 v2, v2, v18
	v_add_f32_e32 v10, v10, v8
	v_cndmask_b32_e64 v7, 0, v7, s[12:13]
	v_exp_f32_e32 v3, v3
	v_mul_f32_e32 v2, 0x3fb8aa3b, v2
	v_add_f32_e32 v10, v10, v7
	v_cndmask_b32_e64 v6, 0, v6, s[14:15]
	v_exp_f32_e32 v2, v2
	v_add_f32_e32 v10, v10, v6
	v_cndmask_b32_e64 v5, 0, v5, s[6:7]
	buffer_store_dword v9, off, s[0:3], 0 offset:288
	buffer_store_dword v8, off, s[0:3], 0 offset:292
	;; [unrolled: 1-line block ×4, first 2 shown]
	v_add_f32_e32 v6, v10, v5
	v_cndmask_b32_e64 v4, 0, v4, s[10:11]
	v_add_f32_e32 v6, v6, v4
	v_cndmask_b32_e32 v3, 0, v3, vcc
	v_add_f32_e32 v6, v6, v3
	v_cndmask_b32_e64 v2, 0, v2, s[4:5]
	v_add_f32_e32 v6, v6, v2
	ds_bpermute_b32 v7, v21, v6
	buffer_store_dword v5, off, s[0:3], 0 offset:304
	buffer_store_dword v4, off, s[0:3], 0 offset:308
	;; [unrolled: 1-line block ×4, first 2 shown]
	v_cmp_gt_u32_e32 vcc, 16, v33
	s_waitcnt lgkmcnt(0)
	s_barrier
	v_add_f32_e32 v2, v6, v7
	ds_bpermute_b32 v3, v19, v2
	s_waitcnt lgkmcnt(0)
	s_and_saveexec_b64 s[4:5], vcc
	s_cbranch_execz .LBB933_209
; %bb.208:
	v_add_f32_e32 v2, v2, v3
	v_lshlrev_b32_e32 v3, 2, v29
	ds_write2st64_b32 v3, v18, v2 offset1:1
.LBB933_209:
	s_or_b64 exec, exec, s[4:5]
	v_lshlrev_b32_e32 v2, 2, v41
	s_waitcnt lgkmcnt(0)
	s_barrier
	ds_read2_b32 v[14:15], v2 offset1:16
	ds_read2_b32 v[16:17], v2 offset0:32 offset1:48
	ds_read2_b32 v[6:7], v2 offset0:64 offset1:80
	;; [unrolled: 1-line block ×3, first 2 shown]
	s_waitcnt lgkmcnt(0)
	s_barrier
	buffer_load_dword v22, off, s[0:3], 0 offset:264
	buffer_load_dword v23, off, s[0:3], 0 offset:268
	;; [unrolled: 1-line block ×16, first 2 shown]
	v_max3_f32 v20, v14, s52, v15
	v_max3_f32 v20, v20, v16, v17
	v_sub_f32_e32 v14, v14, v20
	v_sub_f32_e32 v15, v15, v20
	v_mul_f32_e32 v14, 0x3fb8aa3b, v14
	v_sub_f32_e32 v16, v16, v20
	v_mul_f32_e32 v15, 0x3fb8aa3b, v15
	v_exp_f32_e32 v14, v14
	v_sub_f32_e32 v17, v17, v20
	v_mul_f32_e32 v16, 0x3fb8aa3b, v16
	v_exp_f32_e32 v15, v15
	v_mul_f32_e32 v17, 0x3fb8aa3b, v17
	v_exp_f32_e32 v16, v16
	v_exp_f32_e32 v17, v17
	v_fma_f32 v6, v14, v6, 0
	v_fmac_f32_e32 v6, v15, v7
	v_fmac_f32_e32 v6, v16, v12
	;; [unrolled: 1-line block ×3, first 2 shown]
	v_cmp_eq_u32_e32 vcc, 1, v27
	v_add_f32_e32 v12, 0x358637bd, v6
	v_cndmask_b32_e32 v14, v14, v15, vcc
	v_cmp_eq_u32_e32 vcc, 2, v27
	v_div_scale_f32 v13, s[4:5], v12, v12, 1.0
	v_cndmask_b32_e32 v7, v14, v16, vcc
	v_rcp_f32_e32 v14, v13
	v_cmp_eq_u32_e32 vcc, 3, v27
	v_cndmask_b32_e32 v7, v7, v17, vcc
	v_div_scale_f32 v15, vcc, 1.0, v12, 1.0
	v_fma_f32 v16, -v13, v14, 1.0
	v_fmac_f32_e32 v14, v16, v14
	v_mul_f32_e32 v16, v15, v14
	v_fma_f32 v17, -v13, v16, v15
	v_fmac_f32_e32 v16, v17, v14
	v_fma_f32 v13, -v13, v16, v15
	v_div_fmas_f32 v13, v13, v14, v16
	v_div_fixup_f32 v12, v13, v12, 1.0
	v_mul_f32_e32 v12, v7, v12
	s_movk_i32 s19, 0x7fff
	s_mov_b32 s20, 0x7060302
	s_lshl_b32 s18, s49, 3
	v_cmp_gt_u32_e32 vcc, 8, v0
	s_waitcnt vmcnt(14)
	v_pk_mul_f32 v[14:15], v[12:13], v[22:23] op_sel_hi:[0,1]
	v_bfe_u32 v21, v15, 16, 1
	s_waitcnt vmcnt(12)
	v_pk_mul_f32 v[16:17], v[12:13], v[24:25] op_sel_hi:[0,1]
	v_bfe_u32 v7, v17, 16, 1
	v_bfe_u32 v13, v16, 16, 1
	;; [unrolled: 1-line block ×3, first 2 shown]
	v_add3_u32 v13, v16, v13, s19
	v_add3_u32 v7, v17, v7, s19
	buffer_store_dword v16, off, s[0:3], 0 offset:256
	buffer_store_dword v17, off, s[0:3], 0 offset:260
	;; [unrolled: 1-line block ×4, first 2 shown]
	v_add3_u32 v16, v14, v22, s19
	v_add3_u32 v15, v15, v21, s19
	v_perm_b32 v14, v7, v13, s20
	v_lshlrev_b32_e32 v13, 3, v1
	v_perm_b32 v15, v15, v16, s20
	v_lshlrev_b32_e32 v7, 5, v41
	v_lshlrev_b32_e32 v16, 11, v27
	s_waitcnt vmcnt(12)
	v_pk_mul_f32 v[8:9], v[12:13], v[8:9] op_sel_hi:[0,1]
	v_or3_b32 v52, v16, v7, v13
	v_pk_mul_f32 v[10:11], v[12:13], v[10:11] op_sel_hi:[0,1]
	v_bfe_u32 v13, v9, 16, 1
	v_bfe_u32 v16, v8, 16, 1
	buffer_store_dword v8, off, s[0:3], 0 offset:272
	buffer_store_dword v9, off, s[0:3], 0 offset:276
	;; [unrolled: 1-line block ×4, first 2 shown]
	v_add3_u32 v8, v8, v16, s19
	v_add3_u32 v9, v9, v13, s19
	v_perm_b32 v8, v9, v8, s20
	v_bfe_u32 v9, v11, 16, 1
	v_bfe_u32 v13, v10, 16, 1
	v_add3_u32 v10, v10, v13, s19
	v_add3_u32 v9, v11, v9, s19
	v_perm_b32 v9, v9, v10, s20
	s_waitcnt vmcnt(14)
	v_pk_mul_f32 v[10:11], v[12:13], v[18:19] op_sel_hi:[0,1]
	ds_write2st64_b64 v52, v[14:15], v[8:9] offset1:1
	s_waitcnt vmcnt(12)
	v_pk_mul_f32 v[8:9], v[12:13], v[28:29] op_sel_hi:[0,1]
	v_bfe_u32 v13, v11, 16, 1
	v_bfe_u32 v14, v10, 16, 1
	buffer_store_dword v10, off, s[0:3], 0 offset:288
	buffer_store_dword v11, off, s[0:3], 0 offset:292
	;; [unrolled: 1-line block ×4, first 2 shown]
	v_add3_u32 v10, v10, v14, s19
	v_add3_u32 v11, v11, v13, s19
	v_perm_b32 v10, v11, v10, s20
	v_bfe_u32 v11, v9, 16, 1
	v_bfe_u32 v13, v8, 16, 1
	v_add3_u32 v8, v8, v13, s19
	v_add3_u32 v9, v9, v11, s19
	s_waitcnt vmcnt(14)
	v_pk_mul_f32 v[2:3], v[12:13], v[2:3] op_sel_hi:[0,1]
	v_perm_b32 v11, v9, v8, s20
	v_bfe_u32 v8, v3, 16, 1
	v_bfe_u32 v9, v2, 16, 1
	s_waitcnt vmcnt(12)
	v_pk_mul_f32 v[4:5], v[12:13], v[4:5] op_sel_hi:[0,1]
	buffer_store_dword v2, off, s[0:3], 0 offset:304
	buffer_store_dword v3, off, s[0:3], 0 offset:308
	;; [unrolled: 1-line block ×4, first 2 shown]
	v_add3_u32 v2, v2, v9, s19
	v_add3_u32 v3, v3, v8, s19
	v_perm_b32 v2, v3, v2, s20
	v_bfe_u32 v3, v5, 16, 1
	v_bfe_u32 v8, v4, 16, 1
	v_add3_u32 v4, v4, v8, s19
	v_add3_u32 v3, v5, v3, s19
	v_perm_b32 v3, v3, v4, s20
	ds_write2st64_b64 v52, v[10:11], v[2:3] offset0:2 offset1:3
	s_and_saveexec_b64 s[4:5], vcc
	s_cbranch_execz .LBB933_211
; %bb.210:
	v_or_b32_e32 v2, s27, v0
	v_mov_b32_e32 v3, 0
	v_mov_b32_e32 v4, s18
	v_mad_u64_u32 v[4:5], s[6:7], s8, v4, v[2:3]
	v_mov_b32_e32 v2, s26
	s_mul_i32 s9, s9, s18
	v_mad_u64_u32 v[2:3], s[6:7], v4, s48, v[2:3]
	v_add_u32_e32 v5, s9, v5
	v_mov_b32_e32 v4, v3
	v_mad_u64_u32 v[4:5], s[6:7], v5, s48, v[4:5]
	v_mov_b32_e32 v3, v4
	v_lshlrev_b64 v[2:3], 2, v[2:3]
	v_mov_b32_e32 v5, s47
	v_add_co_u32_e32 v4, vcc, s46, v2
	v_addc_co_u32_e32 v5, vcc, v5, v3, vcc
	global_store_dword v[4:5], v20, off
	v_mov_b32_e32 v4, s45
	v_add_co_u32_e32 v2, vcc, s44, v2
	v_addc_co_u32_e32 v3, vcc, v4, v3, vcc
	global_store_dword v[2:3], v6, off
.LBB933_211:
	s_or_b64 exec, exec, s[4:5]
	v_lshl_or_b32 v30, v1, 9, v7
	s_waitcnt lgkmcnt(0)
	s_barrier
	s_load_dword s4, s[42:43], 0x0
	ds_read_b128 v[2:5], v30
	ds_read_b128 v[6:9], v30 offset:16
	ds_read_b128 v[10:13], v30 offset:2048
	;; [unrolled: 1-line block ×7, first 2 shown]
	v_mov_b32_e32 v35, 0x80
	v_mov_b32_e32 v53, 0x140
	s_mov_b64 s[10:11], -1
	s_waitcnt lgkmcnt(0)
	s_mov_b32 s5, s4
	s_mov_b32 s6, s4
	s_mov_b32 s7, s4
	s_movk_i32 s9, 0x80
	s_movk_i32 s21, 0x7f
	s_mov_b32 s22, 0xffffff
	s_mov_b32 s23, 0x5040100
	v_mov_b32_e32 v54, 0
	v_bfrev_b32_e32 v55, 60
	s_branch .LBB933_215
.LBB933_212:                            ;   in Loop: Header=BB933_215 Depth=1
	s_or_b64 exec, exec, s[16:17]
.LBB933_213:                            ;   in Loop: Header=BB933_215 Depth=1
	s_or_b64 exec, exec, s[14:15]
.LBB933_214:                            ;   in Loop: Header=BB933_215 Depth=1
	s_or_b64 exec, exec, s[12:13]
	v_perm_b32 v61, v56, v50, s23
	v_perm_b32 v60, v44, v46, s23
	s_xor_b64 s[12:13], s[10:11], -1
	s_mov_b64 s[10:11], 0
	v_mov_b32_e32 v46, v47
	v_mfma_f32_16x16x16bf16_1k v[60:63], v[60:61], v[30:31], v[34:37]
	s_and_b64 vcc, exec, s[12:13]
	s_nop 5
	v_perm_b32 v37, v58, v57, s23
	v_perm_b32 v36, v42, v51, s23
	v_mov_b32_e32 v35, v45
	s_nop 0
	v_mfma_f32_16x16x16bf16_1k v[56:59], v[36:37], v[32:33], v[60:63]
	s_nop 7
	s_nop 2
	v_pk_mul_f32 v[50:51], v[56:57], s[4:5]
	v_pk_mul_f32 v[36:37], v[58:59], s[6:7]
	v_bfe_u32 v34, v51, 16, 1
	v_bfe_u32 v38, v50, 16, 1
	;; [unrolled: 1-line block ×4, first 2 shown]
	v_add3_u32 v38, v50, v38, s19
	v_add3_u32 v34, v51, v34, s19
	;; [unrolled: 1-line block ×4, first 2 shown]
	v_perm_b32 v34, v34, v38, s20
	v_perm_b32 v36, v37, v36, s20
	buffer_store_dword v34, v53, s[0:3], 0 offen
	buffer_store_dword v36, v53, s[0:3], 0 offen offset:4
	v_mov_b32_e32 v53, 0x148
	v_mov_b32_e32 v51, v48
	;; [unrolled: 1-line block ×3, first 2 shown]
	s_cbranch_vccnz .LBB933_597
.LBB933_215:                            ; =>This Inner Loop Header: Depth=1
	buffer_load_dword v36, v35, s[0:3], 0 offen
	buffer_load_dword v34, v35, s[0:3], 0 offen offset:4
	buffer_load_dword v40, v35, s[0:3], 0 offen offset:8
	buffer_load_dword v38, v35, s[0:3], 0 offen offset:12
	v_mov_b32_e32 v35, 0
	s_waitcnt vmcnt(3)
	v_cmp_ne_u16_sdwa s[14:15], v36, v54 src0_sel:BYTE_0 src1_sel:DWORD
	s_and_saveexec_b64 s[12:13], s[14:15]
	s_cbranch_execz .LBB933_221
; %bb.216:                              ;   in Loop: Header=BB933_215 Depth=1
	v_cmp_ne_u16_sdwa s[16:17], v36, s9 src0_sel:BYTE_0 src1_sel:DWORD
	v_mov_b32_e32 v35, 0xffff8000
	s_and_saveexec_b64 s[14:15], s[16:17]
	s_cbranch_execz .LBB933_220
; %bb.217:                              ;   in Loop: Header=BB933_215 Depth=1
	v_and_b32_e32 v37, 0x7f, v36
	v_cmp_ne_u32_e32 vcc, s21, v37
	v_mov_b32_e32 v35, 0x7f80
	s_and_saveexec_b64 s[16:17], vcc
	s_cbranch_execz .LBB933_219
; %bb.218:                              ;   in Loop: Header=BB933_215 Depth=1
	v_and_b32_e32 v35, 7, v36
	v_ffbh_u32_e32 v44, v35
	v_min_u32_e32 v44, 32, v44
	v_subrev_u32_e32 v56, 28, v44
	v_lshlrev_b64 v[56:57], v56, v[36:37]
	v_lshrrev_b32_e32 v42, 3, v37
	v_sub_u32_e32 v44, 29, v44
	v_and_b32_e32 v56, 7, v56
	v_cmp_gt_u32_e32 vcc, 8, v37
	v_cndmask_b32_e32 v37, v42, v44, vcc
	v_cndmask_b32_e32 v35, v35, v56, vcc
	v_lshlrev_b32_e32 v42, 24, v36
	v_lshlrev_b32_e32 v35, 20, v35
	v_and_b32_e32 v42, 0x80000000, v42
	v_lshl_add_u32 v37, v37, 23, v55
	v_or3_b32 v35, v42, v37, v35
	v_lshrrev_b32_e32 v35, 16, v35
.LBB933_219:                            ;   in Loop: Header=BB933_215 Depth=1
	s_or_b64 exec, exec, s[16:17]
.LBB933_220:                            ;   in Loop: Header=BB933_215 Depth=1
	s_or_b64 exec, exec, s[14:15]
.LBB933_221:                            ;   in Loop: Header=BB933_215 Depth=1
	s_or_b64 exec, exec, s[12:13]
	v_lshrrev_b16_e32 v42, 8, v36
	v_cmp_ne_u16_e32 vcc, 0, v42
	v_mov_b32_e32 v56, 0
	v_mov_b32_e32 v37, 0
	s_and_saveexec_b64 s[12:13], vcc
	s_cbranch_execz .LBB933_227
; %bb.222:                              ;   in Loop: Header=BB933_215 Depth=1
	v_cmp_ne_u16_e32 vcc, s9, v42
	v_mov_b32_e32 v37, 0xffff8000
	s_and_saveexec_b64 s[14:15], vcc
	s_cbranch_execz .LBB933_226
; %bb.223:                              ;   in Loop: Header=BB933_215 Depth=1
	v_and_b32_e32 v44, 0x7f, v42
	v_cmp_ne_u32_e32 vcc, s21, v44
	v_mov_b32_e32 v37, 0x7f80
	s_and_saveexec_b64 s[16:17], vcc
	s_cbranch_execz .LBB933_225
; %bb.224:                              ;   in Loop: Header=BB933_215 Depth=1
	v_and_b32_e32 v37, 7, v42
	v_ffbh_u32_e32 v58, v37
	v_min_u32_e32 v60, 32, v58
	v_subrev_u32_e32 v58, 28, v60
	v_lshlrev_b64 v[58:59], v58, v[42:43]
	v_lshrrev_b32_e32 v57, 3, v44
	v_sub_u32_e32 v42, 29, v60
	v_and_b32_e32 v58, 7, v58
	v_cmp_gt_u32_e32 vcc, 8, v44
	v_cndmask_b32_e32 v42, v57, v42, vcc
	v_cndmask_b32_e32 v37, v37, v58, vcc
	v_lshlrev_b32_e32 v44, 16, v36
	v_lshlrev_b32_e32 v37, 20, v37
	v_and_b32_e32 v44, 0x80000000, v44
	v_lshl_add_u32 v42, v42, 23, v55
	v_or3_b32 v37, v44, v42, v37
	v_lshrrev_b32_e32 v37, 16, v37
.LBB933_225:                            ;   in Loop: Header=BB933_215 Depth=1
	s_or_b64 exec, exec, s[16:17]
.LBB933_226:                            ;   in Loop: Header=BB933_215 Depth=1
	s_or_b64 exec, exec, s[14:15]
.LBB933_227:                            ;   in Loop: Header=BB933_215 Depth=1
	s_or_b64 exec, exec, s[12:13]
	v_lshrrev_b32_e32 v42, 16, v36
	v_cmp_ne_u16_sdwa s[14:15], v42, v54 src0_sel:BYTE_0 src1_sel:DWORD
	s_and_saveexec_b64 s[12:13], s[14:15]
	s_cbranch_execz .LBB933_233
; %bb.228:                              ;   in Loop: Header=BB933_215 Depth=1
	v_cmp_ne_u16_sdwa s[16:17], v42, s9 src0_sel:BYTE_0 src1_sel:DWORD
	v_mov_b32_e32 v56, 0xffff8000
	s_and_saveexec_b64 s[14:15], s[16:17]
	s_cbranch_execz .LBB933_232
; %bb.229:                              ;   in Loop: Header=BB933_215 Depth=1
	v_bfe_u32 v44, v36, 16, 7
	v_cmp_ne_u32_e32 vcc, s21, v44
	v_mov_b32_e32 v56, 0x7f80
	s_and_saveexec_b64 s[16:17], vcc
	s_cbranch_execz .LBB933_231
; %bb.230:                              ;   in Loop: Header=BB933_215 Depth=1
	v_and_b32_e32 v58, 7, v42
	v_ffbh_u32_e32 v56, v58
	v_min_u32_e32 v60, 32, v56
	v_subrev_u32_e32 v56, 28, v60
	v_lshlrev_b64 v[56:57], v56, v[42:43]
	v_lshrrev_b32_e32 v59, 3, v44
	v_sub_u32_e32 v57, 29, v60
	v_and_b32_e32 v56, 7, v56
	v_cmp_gt_u32_e32 vcc, 8, v44
	v_cndmask_b32_e32 v44, v59, v57, vcc
	v_cndmask_b32_e32 v56, v58, v56, vcc
	v_lshlrev_b32_e32 v42, 24, v42
	v_lshlrev_b32_e32 v56, 20, v56
	v_and_b32_e32 v42, 0x80000000, v42
	v_lshl_add_u32 v44, v44, 23, v55
	v_or3_b32 v42, v42, v44, v56
	v_lshrrev_b32_e32 v56, 16, v42
.LBB933_231:                            ;   in Loop: Header=BB933_215 Depth=1
	s_or_b64 exec, exec, s[16:17]
.LBB933_232:                            ;   in Loop: Header=BB933_215 Depth=1
	s_or_b64 exec, exec, s[14:15]
.LBB933_233:                            ;   in Loop: Header=BB933_215 Depth=1
	s_or_b64 exec, exec, s[12:13]
	v_cmp_lt_u32_e32 vcc, s22, v36
	v_mov_b32_e32 v57, 0
	v_mov_b32_e32 v58, 0
	s_and_saveexec_b64 s[12:13], vcc
	s_cbranch_execz .LBB933_239
; %bb.234:                              ;   in Loop: Header=BB933_215 Depth=1
	v_lshrrev_b32_e32 v42, 24, v36
	v_cmp_ne_u32_e32 vcc, s9, v42
	v_mov_b32_e32 v58, 0xffff8000
	s_and_saveexec_b64 s[14:15], vcc
	s_cbranch_execz .LBB933_238
; %bb.235:                              ;   in Loop: Header=BB933_215 Depth=1
	v_bfe_u32 v36, v36, 24, 7
	v_cmp_ne_u32_e32 vcc, s21, v36
	v_mov_b32_e32 v58, 0x7f80
	s_and_saveexec_b64 s[16:17], vcc
	s_cbranch_execz .LBB933_237
; %bb.236:                              ;   in Loop: Header=BB933_215 Depth=1
	v_and_b32_e32 v44, 7, v42
	v_ffbh_u32_e32 v58, v44
	v_min_u32_e32 v61, 32, v58
	v_subrev_u32_e32 v58, 28, v61
	v_lshlrev_b64 v[58:59], v58, v[42:43]
	v_lshrrev_b32_e32 v60, 3, v36
	v_sub_u32_e32 v59, 29, v61
	v_and_b32_e32 v58, 7, v58
	v_cmp_gt_u32_e32 vcc, 8, v36
	v_cndmask_b32_e32 v36, v60, v59, vcc
	v_cndmask_b32_e32 v44, v44, v58, vcc
	v_lshlrev_b32_e32 v42, 24, v42
	v_lshlrev_b32_e32 v44, 20, v44
	v_and_b32_e32 v42, 0x80000000, v42
	v_lshl_add_u32 v36, v36, 23, v55
	v_or3_b32 v36, v42, v36, v44
	v_lshrrev_b32_e32 v58, 16, v36
.LBB933_237:                            ;   in Loop: Header=BB933_215 Depth=1
	s_or_b64 exec, exec, s[16:17]
.LBB933_238:                            ;   in Loop: Header=BB933_215 Depth=1
	s_or_b64 exec, exec, s[14:15]
.LBB933_239:                            ;   in Loop: Header=BB933_215 Depth=1
	s_or_b64 exec, exec, s[12:13]
	s_waitcnt vmcnt(2)
	v_cmp_ne_u16_sdwa s[14:15], v34, v54 src0_sel:BYTE_0 src1_sel:DWORD
	s_and_saveexec_b64 s[12:13], s[14:15]
	s_cbranch_execz .LBB933_245
; %bb.240:                              ;   in Loop: Header=BB933_215 Depth=1
	v_cmp_ne_u16_sdwa s[16:17], v34, s9 src0_sel:BYTE_0 src1_sel:DWORD
	v_mov_b32_e32 v57, 0xffff8000
	s_and_saveexec_b64 s[14:15], s[16:17]
	s_cbranch_execz .LBB933_244
; %bb.241:                              ;   in Loop: Header=BB933_215 Depth=1
	v_and_b32_e32 v36, 0x7f, v34
	v_cmp_ne_u32_e32 vcc, s21, v36
	v_mov_b32_e32 v57, 0x7f80
	s_and_saveexec_b64 s[16:17], vcc
	s_cbranch_execz .LBB933_243
; %bb.242:                              ;   in Loop: Header=BB933_215 Depth=1
	v_and_b32_e32 v42, 7, v34
	v_ffbh_u32_e32 v57, v42
	v_min_u32_e32 v57, 32, v57
	v_subrev_u32_e32 v59, 28, v57
	v_lshlrev_b64 v[60:61], v59, v[34:35]
	v_lshrrev_b32_e32 v44, 3, v36
	v_sub_u32_e32 v57, 29, v57
	v_and_b32_e32 v59, 7, v60
	v_cmp_gt_u32_e32 vcc, 8, v36
	v_cndmask_b32_e32 v36, v44, v57, vcc
	v_cndmask_b32_e32 v42, v42, v59, vcc
	v_lshlrev_b32_e32 v44, 24, v34
	v_lshlrev_b32_e32 v42, 20, v42
	v_and_b32_e32 v44, 0x80000000, v44
	v_lshl_add_u32 v36, v36, 23, v55
	v_or3_b32 v36, v44, v36, v42
	v_lshrrev_b32_e32 v57, 16, v36
.LBB933_243:                            ;   in Loop: Header=BB933_215 Depth=1
	s_or_b64 exec, exec, s[16:17]
.LBB933_244:                            ;   in Loop: Header=BB933_215 Depth=1
	s_or_b64 exec, exec, s[14:15]
.LBB933_245:                            ;   in Loop: Header=BB933_215 Depth=1
	s_or_b64 exec, exec, s[12:13]
	v_lshrrev_b16_e32 v36, 8, v34
	v_cmp_ne_u16_e32 vcc, 0, v36
	v_mov_b32_e32 v59, 0
	v_mov_b32_e32 v42, 0
	s_and_saveexec_b64 s[12:13], vcc
	s_cbranch_execz .LBB933_251
; %bb.246:                              ;   in Loop: Header=BB933_215 Depth=1
	v_cmp_ne_u16_e32 vcc, s9, v36
	v_mov_b32_e32 v42, 0xffff8000
	s_and_saveexec_b64 s[14:15], vcc
	s_cbranch_execz .LBB933_250
; %bb.247:                              ;   in Loop: Header=BB933_215 Depth=1
	v_and_b32_e32 v44, 0x7f, v36
	v_cmp_ne_u32_e32 vcc, s21, v44
	v_mov_b32_e32 v42, 0x7f80
	s_and_saveexec_b64 s[16:17], vcc
	s_cbranch_execz .LBB933_249
; %bb.248:                              ;   in Loop: Header=BB933_215 Depth=1
	v_and_b32_e32 v42, 7, v36
	v_ffbh_u32_e32 v60, v42
	v_min_u32_e32 v63, 32, v60
	v_subrev_u32_e32 v60, 28, v63
	v_lshlrev_b64 v[60:61], v60, v[36:37]
	v_lshrrev_b32_e32 v62, 3, v44
	v_sub_u32_e32 v36, 29, v63
	v_and_b32_e32 v60, 7, v60
	v_cmp_gt_u32_e32 vcc, 8, v44
	v_cndmask_b32_e32 v36, v62, v36, vcc
	v_cndmask_b32_e32 v42, v42, v60, vcc
	v_lshlrev_b32_e32 v44, 16, v34
	v_lshlrev_b32_e32 v42, 20, v42
	v_and_b32_e32 v44, 0x80000000, v44
	v_lshl_add_u32 v36, v36, 23, v55
	v_or3_b32 v36, v44, v36, v42
	v_lshrrev_b32_e32 v42, 16, v36
.LBB933_249:                            ;   in Loop: Header=BB933_215 Depth=1
	s_or_b64 exec, exec, s[16:17]
.LBB933_250:                            ;   in Loop: Header=BB933_215 Depth=1
	s_or_b64 exec, exec, s[14:15]
.LBB933_251:                            ;   in Loop: Header=BB933_215 Depth=1
	s_or_b64 exec, exec, s[12:13]
	v_lshrrev_b32_e32 v36, 16, v34
	v_cmp_ne_u16_sdwa s[14:15], v36, v54 src0_sel:BYTE_0 src1_sel:DWORD
	s_and_saveexec_b64 s[12:13], s[14:15]
	s_cbranch_execz .LBB933_257
; %bb.252:                              ;   in Loop: Header=BB933_215 Depth=1
	v_cmp_ne_u16_sdwa s[16:17], v36, s9 src0_sel:BYTE_0 src1_sel:DWORD
	v_mov_b32_e32 v59, 0xffff8000
	s_and_saveexec_b64 s[14:15], s[16:17]
	s_cbranch_execz .LBB933_256
; %bb.253:                              ;   in Loop: Header=BB933_215 Depth=1
	v_bfe_u32 v44, v34, 16, 7
	v_cmp_ne_u32_e32 vcc, s21, v44
	v_mov_b32_e32 v59, 0x7f80
	s_and_saveexec_b64 s[16:17], vcc
	s_cbranch_execz .LBB933_255
; %bb.254:                              ;   in Loop: Header=BB933_215 Depth=1
	v_and_b32_e32 v59, 7, v36
	v_ffbh_u32_e32 v60, v59
	v_min_u32_e32 v63, 32, v60
	v_subrev_u32_e32 v60, 28, v63
	v_lshlrev_b64 v[60:61], v60, v[36:37]
	v_lshrrev_b32_e32 v62, 3, v44
	v_sub_u32_e32 v61, 29, v63
	v_and_b32_e32 v60, 7, v60
	v_cmp_gt_u32_e32 vcc, 8, v44
	v_cndmask_b32_e32 v44, v62, v61, vcc
	v_cndmask_b32_e32 v59, v59, v60, vcc
	v_lshlrev_b32_e32 v36, 24, v36
	v_lshlrev_b32_e32 v59, 20, v59
	v_and_b32_e32 v36, 0x80000000, v36
	v_lshl_add_u32 v44, v44, 23, v55
	v_or3_b32 v36, v36, v44, v59
	v_lshrrev_b32_e32 v59, 16, v36
.LBB933_255:                            ;   in Loop: Header=BB933_215 Depth=1
	s_or_b64 exec, exec, s[16:17]
.LBB933_256:                            ;   in Loop: Header=BB933_215 Depth=1
	s_or_b64 exec, exec, s[14:15]
.LBB933_257:                            ;   in Loop: Header=BB933_215 Depth=1
	s_or_b64 exec, exec, s[12:13]
	v_cmp_lt_u32_e32 vcc, s22, v34
	v_mov_b32_e32 v44, 0
	v_mov_b32_e32 v60, 0
	s_and_saveexec_b64 s[12:13], vcc
	s_cbranch_execz .LBB933_263
; %bb.258:                              ;   in Loop: Header=BB933_215 Depth=1
	v_lshrrev_b32_e32 v36, 24, v34
	v_cmp_ne_u32_e32 vcc, s9, v36
	v_mov_b32_e32 v60, 0xffff8000
	s_and_saveexec_b64 s[14:15], vcc
	s_cbranch_execz .LBB933_262
; %bb.259:                              ;   in Loop: Header=BB933_215 Depth=1
	v_bfe_u32 v34, v34, 24, 7
	v_cmp_ne_u32_e32 vcc, s21, v34
	v_mov_b32_e32 v60, 0x7f80
	s_and_saveexec_b64 s[16:17], vcc
	s_cbranch_execz .LBB933_261
; %bb.260:                              ;   in Loop: Header=BB933_215 Depth=1
	v_and_b32_e32 v62, 7, v36
	v_ffbh_u32_e32 v60, v62
	v_min_u32_e32 v64, 32, v60
	v_subrev_u32_e32 v60, 28, v64
	v_lshlrev_b64 v[60:61], v60, v[36:37]
	v_lshrrev_b32_e32 v63, 3, v34
	v_sub_u32_e32 v61, 29, v64
	v_and_b32_e32 v60, 7, v60
	v_cmp_gt_u32_e32 vcc, 8, v34
	v_cndmask_b32_e32 v34, v63, v61, vcc
	v_cndmask_b32_e32 v60, v62, v60, vcc
	v_lshlrev_b32_e32 v36, 24, v36
	v_lshlrev_b32_e32 v60, 20, v60
	v_and_b32_e32 v36, 0x80000000, v36
	v_lshl_add_u32 v34, v34, 23, v55
	v_or3_b32 v34, v36, v34, v60
	v_lshrrev_b32_e32 v60, 16, v34
.LBB933_261:                            ;   in Loop: Header=BB933_215 Depth=1
	s_or_b64 exec, exec, s[16:17]
.LBB933_262:                            ;   in Loop: Header=BB933_215 Depth=1
	s_or_b64 exec, exec, s[14:15]
.LBB933_263:                            ;   in Loop: Header=BB933_215 Depth=1
	s_or_b64 exec, exec, s[12:13]
	v_perm_b32 v63, v58, v56, s23
	v_perm_b32 v62, v37, v35, s23
	;; [unrolled: 1-line block ×4, first 2 shown]
	s_waitcnt vmcnt(1)
	v_cmp_ne_u16_sdwa s[14:15], v40, v54 src0_sel:BYTE_0 src1_sel:DWORD
	v_mfma_f32_16x16x16bf16_1k v[34:37], v[62:63], v[2:3], 0
	v_mfma_f32_16x16x16bf16_1k v[34:37], v[58:59], v[4:5], v[34:37]
	s_and_saveexec_b64 s[12:13], s[14:15]
	s_cbranch_execz .LBB933_269
; %bb.264:                              ;   in Loop: Header=BB933_215 Depth=1
	v_cmp_ne_u16_sdwa s[16:17], v40, s9 src0_sel:BYTE_0 src1_sel:DWORD
	v_mov_b32_e32 v44, 0xffff8000
	s_and_saveexec_b64 s[14:15], s[16:17]
	s_cbranch_execz .LBB933_268
; %bb.265:                              ;   in Loop: Header=BB933_215 Depth=1
	v_and_b32_e32 v42, 0x7f, v40
	v_cmp_ne_u32_e32 vcc, s21, v42
	v_mov_b32_e32 v44, 0x7f80
	s_and_saveexec_b64 s[16:17], vcc
	s_cbranch_execz .LBB933_267
; %bb.266:                              ;   in Loop: Header=BB933_215 Depth=1
	v_and_b32_e32 v44, 7, v40
	v_ffbh_u32_e32 v56, v44
	v_min_u32_e32 v59, 32, v56
	v_subrev_u32_e32 v56, 28, v59
	v_lshlrev_b64 v[56:57], v56, v[40:41]
	v_lshrrev_b32_e32 v58, 3, v42
	v_sub_u32_e32 v57, 29, v59
	v_and_b32_e32 v56, 7, v56
	v_cmp_gt_u32_e32 vcc, 8, v42
	v_cndmask_b32_e32 v42, v58, v57, vcc
	v_cndmask_b32_e32 v44, v44, v56, vcc
	v_lshlrev_b32_e32 v56, 24, v40
	v_lshlrev_b32_e32 v44, 20, v44
	v_and_b32_e32 v56, 0x80000000, v56
	v_lshl_add_u32 v42, v42, 23, v55
	v_or3_b32 v42, v56, v42, v44
	v_lshrrev_b32_e32 v44, 16, v42
.LBB933_267:                            ;   in Loop: Header=BB933_215 Depth=1
	s_or_b64 exec, exec, s[16:17]
.LBB933_268:                            ;   in Loop: Header=BB933_215 Depth=1
	s_or_b64 exec, exec, s[14:15]
.LBB933_269:                            ;   in Loop: Header=BB933_215 Depth=1
	s_or_b64 exec, exec, s[12:13]
	v_lshrrev_b16_e32 v42, 8, v40
	v_cmp_ne_u16_e32 vcc, 0, v42
	v_mov_b32_e32 v58, 0
	v_mov_b32_e32 v57, 0
	s_and_saveexec_b64 s[12:13], vcc
	s_cbranch_execz .LBB933_275
; %bb.270:                              ;   in Loop: Header=BB933_215 Depth=1
	v_cmp_ne_u16_e32 vcc, s9, v42
	v_mov_b32_e32 v57, 0xffff8000
	s_and_saveexec_b64 s[14:15], vcc
	s_cbranch_execz .LBB933_274
; %bb.271:                              ;   in Loop: Header=BB933_215 Depth=1
	v_and_b32_e32 v56, 0x7f, v42
	v_cmp_ne_u32_e32 vcc, s21, v56
	v_mov_b32_e32 v57, 0x7f80
	s_and_saveexec_b64 s[16:17], vcc
	s_cbranch_execz .LBB933_273
; %bb.272:                              ;   in Loop: Header=BB933_215 Depth=1
	v_and_b32_e32 v57, 7, v42
	v_ffbh_u32_e32 v60, v57
	v_min_u32_e32 v62, 32, v60
	v_subrev_u32_e32 v60, 28, v62
	v_lshlrev_b64 v[60:61], v60, v[42:43]
	v_lshrrev_b32_e32 v59, 3, v56
	v_sub_u32_e32 v42, 29, v62
	v_and_b32_e32 v60, 7, v60
	v_cmp_gt_u32_e32 vcc, 8, v56
	v_cndmask_b32_e32 v42, v59, v42, vcc
	v_cndmask_b32_e32 v56, v57, v60, vcc
	v_lshlrev_b32_e32 v57, 16, v40
	v_lshlrev_b32_e32 v56, 20, v56
	v_and_b32_e32 v57, 0x80000000, v57
	v_lshl_add_u32 v42, v42, 23, v55
	v_or3_b32 v42, v57, v42, v56
	v_lshrrev_b32_e32 v57, 16, v42
.LBB933_273:                            ;   in Loop: Header=BB933_215 Depth=1
	s_or_b64 exec, exec, s[16:17]
.LBB933_274:                            ;   in Loop: Header=BB933_215 Depth=1
	s_or_b64 exec, exec, s[14:15]
.LBB933_275:                            ;   in Loop: Header=BB933_215 Depth=1
	s_or_b64 exec, exec, s[12:13]
	v_lshrrev_b32_e32 v42, 16, v40
	v_cmp_ne_u16_sdwa s[14:15], v42, v54 src0_sel:BYTE_0 src1_sel:DWORD
	s_and_saveexec_b64 s[12:13], s[14:15]
	s_cbranch_execz .LBB933_281
; %bb.276:                              ;   in Loop: Header=BB933_215 Depth=1
	v_cmp_ne_u16_sdwa s[16:17], v42, s9 src0_sel:BYTE_0 src1_sel:DWORD
	v_mov_b32_e32 v58, 0xffff8000
	s_and_saveexec_b64 s[14:15], s[16:17]
	s_cbranch_execz .LBB933_280
; %bb.277:                              ;   in Loop: Header=BB933_215 Depth=1
	v_bfe_u32 v56, v40, 16, 7
	v_cmp_ne_u32_e32 vcc, s21, v56
	v_mov_b32_e32 v58, 0x7f80
	s_and_saveexec_b64 s[16:17], vcc
	s_cbranch_execz .LBB933_279
; %bb.278:                              ;   in Loop: Header=BB933_215 Depth=1
	v_and_b32_e32 v60, 7, v42
	v_ffbh_u32_e32 v58, v60
	v_min_u32_e32 v62, 32, v58
	v_subrev_u32_e32 v58, 28, v62
	v_lshlrev_b64 v[58:59], v58, v[42:43]
	v_lshrrev_b32_e32 v61, 3, v56
	v_sub_u32_e32 v59, 29, v62
	v_and_b32_e32 v58, 7, v58
	v_cmp_gt_u32_e32 vcc, 8, v56
	v_cndmask_b32_e32 v56, v61, v59, vcc
	v_cndmask_b32_e32 v58, v60, v58, vcc
	v_lshlrev_b32_e32 v42, 24, v42
	v_lshlrev_b32_e32 v58, 20, v58
	v_and_b32_e32 v42, 0x80000000, v42
	v_lshl_add_u32 v56, v56, 23, v55
	v_or3_b32 v42, v42, v56, v58
	v_lshrrev_b32_e32 v58, 16, v42
.LBB933_279:                            ;   in Loop: Header=BB933_215 Depth=1
	s_or_b64 exec, exec, s[16:17]
.LBB933_280:                            ;   in Loop: Header=BB933_215 Depth=1
	s_or_b64 exec, exec, s[14:15]
.LBB933_281:                            ;   in Loop: Header=BB933_215 Depth=1
	s_or_b64 exec, exec, s[12:13]
	v_cmp_lt_u32_e32 vcc, s22, v40
	v_mov_b32_e32 v59, 0
	v_mov_b32_e32 v60, 0
	s_and_saveexec_b64 s[12:13], vcc
	s_cbranch_execz .LBB933_287
; %bb.282:                              ;   in Loop: Header=BB933_215 Depth=1
	v_lshrrev_b32_e32 v42, 24, v40
	v_cmp_ne_u32_e32 vcc, s9, v42
	v_mov_b32_e32 v60, 0xffff8000
	s_and_saveexec_b64 s[14:15], vcc
	s_cbranch_execz .LBB933_286
; %bb.283:                              ;   in Loop: Header=BB933_215 Depth=1
	v_bfe_u32 v40, v40, 24, 7
	v_cmp_ne_u32_e32 vcc, s21, v40
	v_mov_b32_e32 v60, 0x7f80
	s_and_saveexec_b64 s[16:17], vcc
	s_cbranch_execz .LBB933_285
; %bb.284:                              ;   in Loop: Header=BB933_215 Depth=1
	v_and_b32_e32 v56, 7, v42
	v_ffbh_u32_e32 v60, v56
	v_min_u32_e32 v63, 32, v60
	v_subrev_u32_e32 v60, 28, v63
	v_lshlrev_b64 v[60:61], v60, v[42:43]
	v_lshrrev_b32_e32 v62, 3, v40
	v_sub_u32_e32 v61, 29, v63
	v_and_b32_e32 v60, 7, v60
	v_cmp_gt_u32_e32 vcc, 8, v40
	v_cndmask_b32_e32 v40, v62, v61, vcc
	v_cndmask_b32_e32 v56, v56, v60, vcc
	v_lshlrev_b32_e32 v42, 24, v42
	v_lshlrev_b32_e32 v56, 20, v56
	v_and_b32_e32 v42, 0x80000000, v42
	v_lshl_add_u32 v40, v40, 23, v55
	v_or3_b32 v40, v42, v40, v56
	v_lshrrev_b32_e32 v60, 16, v40
.LBB933_285:                            ;   in Loop: Header=BB933_215 Depth=1
	s_or_b64 exec, exec, s[16:17]
.LBB933_286:                            ;   in Loop: Header=BB933_215 Depth=1
	s_or_b64 exec, exec, s[14:15]
.LBB933_287:                            ;   in Loop: Header=BB933_215 Depth=1
	s_or_b64 exec, exec, s[12:13]
	s_waitcnt vmcnt(0)
	v_cmp_ne_u16_sdwa s[14:15], v38, v54 src0_sel:BYTE_0 src1_sel:DWORD
	s_and_saveexec_b64 s[12:13], s[14:15]
	s_cbranch_execz .LBB933_293
; %bb.288:                              ;   in Loop: Header=BB933_215 Depth=1
	v_cmp_ne_u16_sdwa s[16:17], v38, s9 src0_sel:BYTE_0 src1_sel:DWORD
	v_mov_b32_e32 v59, 0xffff8000
	s_and_saveexec_b64 s[14:15], s[16:17]
	s_cbranch_execz .LBB933_292
; %bb.289:                              ;   in Loop: Header=BB933_215 Depth=1
	v_and_b32_e32 v40, 0x7f, v38
	v_cmp_ne_u32_e32 vcc, s21, v40
	v_mov_b32_e32 v59, 0x7f80
	s_and_saveexec_b64 s[16:17], vcc
	s_cbranch_execz .LBB933_291
; %bb.290:                              ;   in Loop: Header=BB933_215 Depth=1
	v_and_b32_e32 v42, 7, v38
	v_ffbh_u32_e32 v59, v42
	v_min_u32_e32 v59, 32, v59
	v_subrev_u32_e32 v61, 28, v59
	v_lshlrev_b64 v[62:63], v61, v[38:39]
	v_lshrrev_b32_e32 v56, 3, v40
	v_sub_u32_e32 v59, 29, v59
	v_and_b32_e32 v61, 7, v62
	v_cmp_gt_u32_e32 vcc, 8, v40
	v_cndmask_b32_e32 v40, v56, v59, vcc
	v_cndmask_b32_e32 v42, v42, v61, vcc
	v_lshlrev_b32_e32 v56, 24, v38
	v_lshlrev_b32_e32 v42, 20, v42
	v_and_b32_e32 v56, 0x80000000, v56
	v_lshl_add_u32 v40, v40, 23, v55
	v_or3_b32 v40, v56, v40, v42
	v_lshrrev_b32_e32 v59, 16, v40
.LBB933_291:                            ;   in Loop: Header=BB933_215 Depth=1
	s_or_b64 exec, exec, s[16:17]
.LBB933_292:                            ;   in Loop: Header=BB933_215 Depth=1
	s_or_b64 exec, exec, s[14:15]
.LBB933_293:                            ;   in Loop: Header=BB933_215 Depth=1
	s_or_b64 exec, exec, s[12:13]
	v_lshrrev_b16_e32 v40, 8, v38
	v_cmp_ne_u16_e32 vcc, 0, v40
	v_mov_b32_e32 v62, 0
	v_mov_b32_e32 v61, 0
	s_and_saveexec_b64 s[12:13], vcc
	s_cbranch_execz .LBB933_299
; %bb.294:                              ;   in Loop: Header=BB933_215 Depth=1
	v_cmp_ne_u16_e32 vcc, s9, v40
	v_mov_b32_e32 v61, 0xffff8000
	s_and_saveexec_b64 s[14:15], vcc
	s_cbranch_execz .LBB933_298
; %bb.295:                              ;   in Loop: Header=BB933_215 Depth=1
	v_and_b32_e32 v42, 0x7f, v40
	v_cmp_ne_u32_e32 vcc, s21, v42
	v_mov_b32_e32 v61, 0x7f80
	s_and_saveexec_b64 s[16:17], vcc
	s_cbranch_execz .LBB933_297
; %bb.296:                              ;   in Loop: Header=BB933_215 Depth=1
	v_and_b32_e32 v56, 7, v40
	v_ffbh_u32_e32 v63, v56
	v_min_u32_e32 v63, 32, v63
	v_subrev_u32_e32 v64, 28, v63
	v_lshlrev_b64 v[64:65], v64, v[40:41]
	v_lshrrev_b32_e32 v61, 3, v42
	v_sub_u32_e32 v40, 29, v63
	v_and_b32_e32 v63, 7, v64
	v_cmp_gt_u32_e32 vcc, 8, v42
	v_cndmask_b32_e32 v40, v61, v40, vcc
	v_cndmask_b32_e32 v42, v56, v63, vcc
	v_lshlrev_b32_e32 v56, 16, v38
	v_lshlrev_b32_e32 v42, 20, v42
	v_and_b32_e32 v56, 0x80000000, v56
	v_lshl_add_u32 v40, v40, 23, v55
	v_or3_b32 v40, v56, v40, v42
	v_lshrrev_b32_e32 v61, 16, v40
.LBB933_297:                            ;   in Loop: Header=BB933_215 Depth=1
	s_or_b64 exec, exec, s[16:17]
.LBB933_298:                            ;   in Loop: Header=BB933_215 Depth=1
	s_or_b64 exec, exec, s[14:15]
.LBB933_299:                            ;   in Loop: Header=BB933_215 Depth=1
	s_or_b64 exec, exec, s[12:13]
	v_lshrrev_b32_e32 v40, 16, v38
	v_cmp_ne_u16_sdwa s[14:15], v40, v54 src0_sel:BYTE_0 src1_sel:DWORD
	s_and_saveexec_b64 s[12:13], s[14:15]
	s_cbranch_execz .LBB933_305
; %bb.300:                              ;   in Loop: Header=BB933_215 Depth=1
	v_cmp_ne_u16_sdwa s[16:17], v40, s9 src0_sel:BYTE_0 src1_sel:DWORD
	v_mov_b32_e32 v62, 0xffff8000
	s_and_saveexec_b64 s[14:15], s[16:17]
	s_cbranch_execz .LBB933_304
; %bb.301:                              ;   in Loop: Header=BB933_215 Depth=1
	v_bfe_u32 v42, v38, 16, 7
	v_cmp_ne_u32_e32 vcc, s21, v42
	v_mov_b32_e32 v62, 0x7f80
	s_and_saveexec_b64 s[16:17], vcc
	s_cbranch_execz .LBB933_303
; %bb.302:                              ;   in Loop: Header=BB933_215 Depth=1
	v_and_b32_e32 v56, 7, v40
	v_ffbh_u32_e32 v62, v56
	v_min_u32_e32 v65, 32, v62
	v_subrev_u32_e32 v62, 28, v65
	v_lshlrev_b64 v[62:63], v62, v[40:41]
	v_lshrrev_b32_e32 v64, 3, v42
	v_sub_u32_e32 v63, 29, v65
	v_and_b32_e32 v62, 7, v62
	v_cmp_gt_u32_e32 vcc, 8, v42
	v_cndmask_b32_e32 v42, v64, v63, vcc
	v_cndmask_b32_e32 v56, v56, v62, vcc
	v_lshlrev_b32_e32 v40, 24, v40
	v_lshlrev_b32_e32 v56, 20, v56
	v_and_b32_e32 v40, 0x80000000, v40
	v_lshl_add_u32 v42, v42, 23, v55
	v_or3_b32 v40, v40, v42, v56
	v_lshrrev_b32_e32 v62, 16, v40
.LBB933_303:                            ;   in Loop: Header=BB933_215 Depth=1
	s_or_b64 exec, exec, s[16:17]
.LBB933_304:                            ;   in Loop: Header=BB933_215 Depth=1
	s_or_b64 exec, exec, s[14:15]
.LBB933_305:                            ;   in Loop: Header=BB933_215 Depth=1
	s_or_b64 exec, exec, s[12:13]
	v_cmp_lt_u32_e32 vcc, s22, v38
	v_mov_b32_e32 v56, 0
	v_mov_b32_e32 v63, 0
	s_and_saveexec_b64 s[12:13], vcc
	s_cbranch_execz .LBB933_311
; %bb.306:                              ;   in Loop: Header=BB933_215 Depth=1
	v_lshrrev_b32_e32 v40, 24, v38
	v_cmp_ne_u32_e32 vcc, s9, v40
	v_mov_b32_e32 v63, 0xffff8000
	s_and_saveexec_b64 s[14:15], vcc
	s_cbranch_execz .LBB933_310
; %bb.307:                              ;   in Loop: Header=BB933_215 Depth=1
	v_bfe_u32 v38, v38, 24, 7
	v_cmp_ne_u32_e32 vcc, s21, v38
	v_mov_b32_e32 v63, 0x7f80
	s_and_saveexec_b64 s[16:17], vcc
	s_cbranch_execz .LBB933_309
; %bb.308:                              ;   in Loop: Header=BB933_215 Depth=1
	v_and_b32_e32 v42, 7, v40
	v_ffbh_u32_e32 v64, v42
	v_min_u32_e32 v66, 32, v64
	v_subrev_u32_e32 v64, 28, v66
	v_lshlrev_b64 v[64:65], v64, v[40:41]
	v_lshrrev_b32_e32 v63, 3, v38
	v_sub_u32_e32 v65, 29, v66
	v_and_b32_e32 v64, 7, v64
	v_cmp_gt_u32_e32 vcc, 8, v38
	v_cndmask_b32_e32 v38, v63, v65, vcc
	v_cndmask_b32_e32 v42, v42, v64, vcc
	v_lshlrev_b32_e32 v40, 24, v40
	v_lshlrev_b32_e32 v42, 20, v42
	v_and_b32_e32 v40, 0x80000000, v40
	v_lshl_add_u32 v38, v38, 23, v55
	v_or3_b32 v38, v40, v38, v42
	v_lshrrev_b32_e32 v63, 16, v38
.LBB933_309:                            ;   in Loop: Header=BB933_215 Depth=1
	s_or_b64 exec, exec, s[16:17]
.LBB933_310:                            ;   in Loop: Header=BB933_215 Depth=1
	s_or_b64 exec, exec, s[14:15]
.LBB933_311:                            ;   in Loop: Header=BB933_215 Depth=1
	s_or_b64 exec, exec, s[12:13]
	v_perm_b32 v64, v57, v44, s23
	buffer_load_dword v44, v46, s[0:3], 0 offen
	buffer_load_dword v42, v46, s[0:3], 0 offen offset:4
	buffer_load_dword v40, v46, s[0:3], 0 offen offset:8
	buffer_load_dword v38, v46, s[0:3], 0 offen offset:12
	v_perm_b32 v65, v60, v58, s23
	v_perm_b32 v63, v63, v62, s23
	;; [unrolled: 1-line block ×3, first 2 shown]
	v_mfma_f32_16x16x16bf16_1k v[34:37], v[64:65], v[6:7], v[34:37]
	s_waitcnt vmcnt(3)
	v_cmp_ne_u16_sdwa s[14:15], v44, v54 src0_sel:BYTE_0 src1_sel:DWORD
	v_mfma_f32_16x16x16bf16_1k v[34:37], v[62:63], v[8:9], v[34:37]
	s_and_saveexec_b64 s[12:13], s[14:15]
	s_cbranch_execz .LBB933_317
; %bb.312:                              ;   in Loop: Header=BB933_215 Depth=1
	v_cmp_ne_u16_sdwa s[16:17], v44, s9 src0_sel:BYTE_0 src1_sel:DWORD
	v_mov_b32_e32 v56, 0xffff8000
	s_and_saveexec_b64 s[14:15], s[16:17]
	s_cbranch_execz .LBB933_316
; %bb.313:                              ;   in Loop: Header=BB933_215 Depth=1
	v_and_b32_e32 v46, 0x7f, v44
	v_cmp_ne_u32_e32 vcc, s21, v46
	v_mov_b32_e32 v56, 0x7f80
	s_and_saveexec_b64 s[16:17], vcc
	s_cbranch_execz .LBB933_315
; %bb.314:                              ;   in Loop: Header=BB933_215 Depth=1
	v_and_b32_e32 v58, 7, v44
	v_ffbh_u32_e32 v56, v58
	v_min_u32_e32 v60, 32, v56
	v_subrev_u32_e32 v56, 28, v60
	v_lshlrev_b64 v[56:57], v56, v[44:45]
	v_lshrrev_b32_e32 v59, 3, v46
	v_sub_u32_e32 v57, 29, v60
	v_and_b32_e32 v56, 7, v56
	v_cmp_gt_u32_e32 vcc, 8, v46
	v_cndmask_b32_e32 v46, v59, v57, vcc
	v_cndmask_b32_e32 v56, v58, v56, vcc
	v_lshlrev_b32_e32 v57, 24, v44
	v_lshlrev_b32_e32 v56, 20, v56
	v_and_b32_e32 v57, 0x80000000, v57
	v_lshl_add_u32 v46, v46, 23, v55
	v_or3_b32 v46, v57, v46, v56
	v_lshrrev_b32_e32 v56, 16, v46
.LBB933_315:                            ;   in Loop: Header=BB933_215 Depth=1
	s_or_b64 exec, exec, s[16:17]
.LBB933_316:                            ;   in Loop: Header=BB933_215 Depth=1
	s_or_b64 exec, exec, s[14:15]
.LBB933_317:                            ;   in Loop: Header=BB933_215 Depth=1
	s_or_b64 exec, exec, s[12:13]
	v_lshrrev_b16_e32 v46, 8, v44
	v_cmp_ne_u16_e32 vcc, 0, v46
	v_mov_b32_e32 v58, 0
	v_mov_b32_e32 v57, 0
	s_and_saveexec_b64 s[12:13], vcc
	s_cbranch_execz .LBB933_323
; %bb.318:                              ;   in Loop: Header=BB933_215 Depth=1
	v_cmp_ne_u16_e32 vcc, s9, v46
	v_mov_b32_e32 v57, 0xffff8000
	s_and_saveexec_b64 s[14:15], vcc
	s_cbranch_execz .LBB933_322
; %bb.319:                              ;   in Loop: Header=BB933_215 Depth=1
	v_and_b32_e32 v59, 0x7f, v46
	v_cmp_ne_u32_e32 vcc, s21, v59
	v_mov_b32_e32 v57, 0x7f80
	s_and_saveexec_b64 s[16:17], vcc
	s_cbranch_execz .LBB933_321
; %bb.320:                              ;   in Loop: Header=BB933_215 Depth=1
	v_and_b32_e32 v57, 7, v46
	v_ffbh_u32_e32 v60, v57
	v_min_u32_e32 v63, 32, v60
	v_subrev_u32_e32 v60, 28, v63
	v_lshlrev_b64 v[60:61], v60, v[46:47]
	v_lshrrev_b32_e32 v62, 3, v59
	v_sub_u32_e32 v46, 29, v63
	v_and_b32_e32 v60, 7, v60
	v_cmp_gt_u32_e32 vcc, 8, v59
	v_cndmask_b32_e32 v46, v62, v46, vcc
	v_cndmask_b32_e32 v57, v57, v60, vcc
	v_lshlrev_b32_e32 v59, 16, v44
	v_lshlrev_b32_e32 v57, 20, v57
	v_and_b32_e32 v59, 0x80000000, v59
	v_lshl_add_u32 v46, v46, 23, v55
	v_or3_b32 v46, v59, v46, v57
	v_lshrrev_b32_e32 v57, 16, v46
.LBB933_321:                            ;   in Loop: Header=BB933_215 Depth=1
	s_or_b64 exec, exec, s[16:17]
.LBB933_322:                            ;   in Loop: Header=BB933_215 Depth=1
	s_or_b64 exec, exec, s[14:15]
.LBB933_323:                            ;   in Loop: Header=BB933_215 Depth=1
	s_or_b64 exec, exec, s[12:13]
	v_lshrrev_b32_e32 v46, 16, v44
	v_cmp_ne_u16_sdwa s[14:15], v46, v54 src0_sel:BYTE_0 src1_sel:DWORD
	s_and_saveexec_b64 s[12:13], s[14:15]
	s_cbranch_execz .LBB933_329
; %bb.324:                              ;   in Loop: Header=BB933_215 Depth=1
	v_cmp_ne_u16_sdwa s[16:17], v46, s9 src0_sel:BYTE_0 src1_sel:DWORD
	v_mov_b32_e32 v58, 0xffff8000
	s_and_saveexec_b64 s[14:15], s[16:17]
	s_cbranch_execz .LBB933_328
; %bb.325:                              ;   in Loop: Header=BB933_215 Depth=1
	v_bfe_u32 v59, v44, 16, 7
	v_cmp_ne_u32_e32 vcc, s21, v59
	v_mov_b32_e32 v58, 0x7f80
	s_and_saveexec_b64 s[16:17], vcc
	s_cbranch_execz .LBB933_327
; %bb.326:                              ;   in Loop: Header=BB933_215 Depth=1
	v_and_b32_e32 v58, 7, v46
	v_ffbh_u32_e32 v60, v58
	v_min_u32_e32 v63, 32, v60
	v_subrev_u32_e32 v60, 28, v63
	v_lshlrev_b64 v[60:61], v60, v[46:47]
	v_lshrrev_b32_e32 v62, 3, v59
	v_sub_u32_e32 v61, 29, v63
	v_and_b32_e32 v60, 7, v60
	v_cmp_gt_u32_e32 vcc, 8, v59
	v_cndmask_b32_e32 v59, v62, v61, vcc
	v_cndmask_b32_e32 v58, v58, v60, vcc
	v_lshlrev_b32_e32 v46, 24, v46
	v_lshlrev_b32_e32 v58, 20, v58
	v_and_b32_e32 v46, 0x80000000, v46
	v_lshl_add_u32 v59, v59, 23, v55
	v_or3_b32 v46, v46, v59, v58
	v_lshrrev_b32_e32 v58, 16, v46
.LBB933_327:                            ;   in Loop: Header=BB933_215 Depth=1
	s_or_b64 exec, exec, s[16:17]
.LBB933_328:                            ;   in Loop: Header=BB933_215 Depth=1
	s_or_b64 exec, exec, s[14:15]
.LBB933_329:                            ;   in Loop: Header=BB933_215 Depth=1
	s_or_b64 exec, exec, s[12:13]
	v_cmp_lt_u32_e32 vcc, s22, v44
	v_mov_b32_e32 v59, 0
	v_mov_b32_e32 v60, 0
	s_and_saveexec_b64 s[12:13], vcc
	s_cbranch_execz .LBB933_335
; %bb.330:                              ;   in Loop: Header=BB933_215 Depth=1
	v_lshrrev_b32_e32 v46, 24, v44
	v_cmp_ne_u32_e32 vcc, s9, v46
	v_mov_b32_e32 v60, 0xffff8000
	s_and_saveexec_b64 s[14:15], vcc
	s_cbranch_execz .LBB933_334
; %bb.331:                              ;   in Loop: Header=BB933_215 Depth=1
	v_bfe_u32 v44, v44, 24, 7
	v_cmp_ne_u32_e32 vcc, s21, v44
	v_mov_b32_e32 v60, 0x7f80
	s_and_saveexec_b64 s[16:17], vcc
	s_cbranch_execz .LBB933_333
; %bb.332:                              ;   in Loop: Header=BB933_215 Depth=1
	v_and_b32_e32 v62, 7, v46
	v_ffbh_u32_e32 v60, v62
	v_min_u32_e32 v64, 32, v60
	v_subrev_u32_e32 v60, 28, v64
	v_lshlrev_b64 v[60:61], v60, v[46:47]
	v_lshrrev_b32_e32 v63, 3, v44
	v_sub_u32_e32 v61, 29, v64
	v_and_b32_e32 v60, 7, v60
	v_cmp_gt_u32_e32 vcc, 8, v44
	v_cndmask_b32_e32 v44, v63, v61, vcc
	v_cndmask_b32_e32 v60, v62, v60, vcc
	v_lshlrev_b32_e32 v46, 24, v46
	v_lshlrev_b32_e32 v60, 20, v60
	v_and_b32_e32 v46, 0x80000000, v46
	v_lshl_add_u32 v44, v44, 23, v55
	v_or3_b32 v44, v46, v44, v60
	v_lshrrev_b32_e32 v60, 16, v44
.LBB933_333:                            ;   in Loop: Header=BB933_215 Depth=1
	s_or_b64 exec, exec, s[16:17]
.LBB933_334:                            ;   in Loop: Header=BB933_215 Depth=1
	s_or_b64 exec, exec, s[14:15]
.LBB933_335:                            ;   in Loop: Header=BB933_215 Depth=1
	s_or_b64 exec, exec, s[12:13]
	s_waitcnt vmcnt(2)
	v_cmp_ne_u16_sdwa s[14:15], v42, v54 src0_sel:BYTE_0 src1_sel:DWORD
	s_and_saveexec_b64 s[12:13], s[14:15]
	s_cbranch_execz .LBB933_341
; %bb.336:                              ;   in Loop: Header=BB933_215 Depth=1
	v_cmp_ne_u16_sdwa s[16:17], v42, s9 src0_sel:BYTE_0 src1_sel:DWORD
	v_mov_b32_e32 v59, 0xffff8000
	s_and_saveexec_b64 s[14:15], s[16:17]
	s_cbranch_execz .LBB933_340
; %bb.337:                              ;   in Loop: Header=BB933_215 Depth=1
	v_and_b32_e32 v44, 0x7f, v42
	v_cmp_ne_u32_e32 vcc, s21, v44
	v_mov_b32_e32 v59, 0x7f80
	s_and_saveexec_b64 s[16:17], vcc
	s_cbranch_execz .LBB933_339
; %bb.338:                              ;   in Loop: Header=BB933_215 Depth=1
	v_and_b32_e32 v46, 7, v42
	v_ffbh_u32_e32 v61, v46
	v_min_u32_e32 v61, 32, v61
	v_subrev_u32_e32 v62, 28, v61
	v_lshlrev_b64 v[62:63], v62, v[42:43]
	v_lshrrev_b32_e32 v59, 3, v44
	v_sub_u32_e32 v61, 29, v61
	v_and_b32_e32 v62, 7, v62
	v_cmp_gt_u32_e32 vcc, 8, v44
	v_cndmask_b32_e32 v44, v59, v61, vcc
	v_cndmask_b32_e32 v46, v46, v62, vcc
	v_lshlrev_b32_e32 v59, 24, v42
	v_lshlrev_b32_e32 v46, 20, v46
	v_and_b32_e32 v59, 0x80000000, v59
	v_lshl_add_u32 v44, v44, 23, v55
	v_or3_b32 v44, v59, v44, v46
	v_lshrrev_b32_e32 v59, 16, v44
.LBB933_339:                            ;   in Loop: Header=BB933_215 Depth=1
	s_or_b64 exec, exec, s[16:17]
.LBB933_340:                            ;   in Loop: Header=BB933_215 Depth=1
	s_or_b64 exec, exec, s[14:15]
.LBB933_341:                            ;   in Loop: Header=BB933_215 Depth=1
	s_or_b64 exec, exec, s[12:13]
	v_lshrrev_b16_e32 v44, 8, v42
	v_cmp_ne_u16_e32 vcc, 0, v44
	v_mov_b32_e32 v62, 0
	v_mov_b32_e32 v61, 0
	s_and_saveexec_b64 s[12:13], vcc
	s_cbranch_execz .LBB933_347
; %bb.342:                              ;   in Loop: Header=BB933_215 Depth=1
	v_cmp_ne_u16_e32 vcc, s9, v44
	v_mov_b32_e32 v61, 0xffff8000
	s_and_saveexec_b64 s[14:15], vcc
	s_cbranch_execz .LBB933_346
; %bb.343:                              ;   in Loop: Header=BB933_215 Depth=1
	v_and_b32_e32 v46, 0x7f, v44
	v_cmp_ne_u32_e32 vcc, s21, v46
	v_mov_b32_e32 v61, 0x7f80
	s_and_saveexec_b64 s[16:17], vcc
	s_cbranch_execz .LBB933_345
; %bb.344:                              ;   in Loop: Header=BB933_215 Depth=1
	v_and_b32_e32 v61, 7, v44
	v_ffbh_u32_e32 v64, v61
	v_min_u32_e32 v66, 32, v64
	v_subrev_u32_e32 v64, 28, v66
	v_lshlrev_b64 v[64:65], v64, v[44:45]
	v_lshrrev_b32_e32 v63, 3, v46
	v_sub_u32_e32 v44, 29, v66
	v_and_b32_e32 v64, 7, v64
	v_cmp_gt_u32_e32 vcc, 8, v46
	v_cndmask_b32_e32 v44, v63, v44, vcc
	v_cndmask_b32_e32 v46, v61, v64, vcc
	v_lshlrev_b32_e32 v61, 16, v42
	v_lshlrev_b32_e32 v46, 20, v46
	v_and_b32_e32 v61, 0x80000000, v61
	v_lshl_add_u32 v44, v44, 23, v55
	v_or3_b32 v44, v61, v44, v46
	v_lshrrev_b32_e32 v61, 16, v44
.LBB933_345:                            ;   in Loop: Header=BB933_215 Depth=1
	s_or_b64 exec, exec, s[16:17]
.LBB933_346:                            ;   in Loop: Header=BB933_215 Depth=1
	s_or_b64 exec, exec, s[14:15]
.LBB933_347:                            ;   in Loop: Header=BB933_215 Depth=1
	s_or_b64 exec, exec, s[12:13]
	v_lshrrev_b32_e32 v44, 16, v42
	v_cmp_ne_u16_sdwa s[14:15], v44, v54 src0_sel:BYTE_0 src1_sel:DWORD
	s_and_saveexec_b64 s[12:13], s[14:15]
	s_cbranch_execz .LBB933_353
; %bb.348:                              ;   in Loop: Header=BB933_215 Depth=1
	v_cmp_ne_u16_sdwa s[16:17], v44, s9 src0_sel:BYTE_0 src1_sel:DWORD
	v_mov_b32_e32 v62, 0xffff8000
	s_and_saveexec_b64 s[14:15], s[16:17]
	s_cbranch_execz .LBB933_352
; %bb.349:                              ;   in Loop: Header=BB933_215 Depth=1
	v_bfe_u32 v46, v42, 16, 7
	v_cmp_ne_u32_e32 vcc, s21, v46
	v_mov_b32_e32 v62, 0x7f80
	s_and_saveexec_b64 s[16:17], vcc
	s_cbranch_execz .LBB933_351
; %bb.350:                              ;   in Loop: Header=BB933_215 Depth=1
	v_and_b32_e32 v64, 7, v44
	v_ffbh_u32_e32 v62, v64
	v_min_u32_e32 v66, 32, v62
	v_subrev_u32_e32 v62, 28, v66
	v_lshlrev_b64 v[62:63], v62, v[44:45]
	v_lshrrev_b32_e32 v65, 3, v46
	v_sub_u32_e32 v63, 29, v66
	v_and_b32_e32 v62, 7, v62
	v_cmp_gt_u32_e32 vcc, 8, v46
	v_cndmask_b32_e32 v46, v65, v63, vcc
	v_cndmask_b32_e32 v62, v64, v62, vcc
	v_lshlrev_b32_e32 v44, 24, v44
	v_lshlrev_b32_e32 v62, 20, v62
	v_and_b32_e32 v44, 0x80000000, v44
	v_lshl_add_u32 v46, v46, 23, v55
	v_or3_b32 v44, v44, v46, v62
	v_lshrrev_b32_e32 v62, 16, v44
.LBB933_351:                            ;   in Loop: Header=BB933_215 Depth=1
	s_or_b64 exec, exec, s[16:17]
.LBB933_352:                            ;   in Loop: Header=BB933_215 Depth=1
	s_or_b64 exec, exec, s[14:15]
.LBB933_353:                            ;   in Loop: Header=BB933_215 Depth=1
	s_or_b64 exec, exec, s[12:13]
	v_cmp_lt_u32_e32 vcc, s22, v42
	v_mov_b32_e32 v46, 0
	v_mov_b32_e32 v63, 0
	s_and_saveexec_b64 s[12:13], vcc
	s_cbranch_execz .LBB933_359
; %bb.354:                              ;   in Loop: Header=BB933_215 Depth=1
	v_lshrrev_b32_e32 v44, 24, v42
	v_cmp_ne_u32_e32 vcc, s9, v44
	v_mov_b32_e32 v63, 0xffff8000
	s_and_saveexec_b64 s[14:15], vcc
	s_cbranch_execz .LBB933_358
; %bb.355:                              ;   in Loop: Header=BB933_215 Depth=1
	v_bfe_u32 v42, v42, 24, 7
	v_cmp_ne_u32_e32 vcc, s21, v42
	v_mov_b32_e32 v63, 0x7f80
	s_and_saveexec_b64 s[16:17], vcc
	s_cbranch_execz .LBB933_357
; %bb.356:                              ;   in Loop: Header=BB933_215 Depth=1
	v_and_b32_e32 v63, 7, v44
	v_ffbh_u32_e32 v64, v63
	v_min_u32_e32 v67, 32, v64
	v_subrev_u32_e32 v64, 28, v67
	v_lshlrev_b64 v[64:65], v64, v[44:45]
	v_lshrrev_b32_e32 v66, 3, v42
	v_sub_u32_e32 v65, 29, v67
	v_and_b32_e32 v64, 7, v64
	v_cmp_gt_u32_e32 vcc, 8, v42
	v_cndmask_b32_e32 v42, v66, v65, vcc
	v_cndmask_b32_e32 v63, v63, v64, vcc
	v_lshlrev_b32_e32 v44, 24, v44
	v_lshlrev_b32_e32 v63, 20, v63
	v_and_b32_e32 v44, 0x80000000, v44
	v_lshl_add_u32 v42, v42, 23, v55
	v_or3_b32 v42, v44, v42, v63
	v_lshrrev_b32_e32 v63, 16, v42
.LBB933_357:                            ;   in Loop: Header=BB933_215 Depth=1
	s_or_b64 exec, exec, s[16:17]
.LBB933_358:                            ;   in Loop: Header=BB933_215 Depth=1
	s_or_b64 exec, exec, s[14:15]
.LBB933_359:                            ;   in Loop: Header=BB933_215 Depth=1
	s_or_b64 exec, exec, s[12:13]
	v_perm_b32 v65, v60, v58, s23
	v_perm_b32 v64, v57, v56, s23
	;; [unrolled: 1-line block ×4, first 2 shown]
	s_waitcnt vmcnt(1)
	v_cmp_ne_u16_sdwa s[14:15], v40, v54 src0_sel:BYTE_0 src1_sel:DWORD
	v_mfma_f32_16x16x16bf16_1k v[34:37], v[64:65], v[10:11], v[34:37]
	v_mfma_f32_16x16x16bf16_1k v[34:37], v[56:57], v[12:13], v[34:37]
	s_and_saveexec_b64 s[12:13], s[14:15]
	s_cbranch_execz .LBB933_365
; %bb.360:                              ;   in Loop: Header=BB933_215 Depth=1
	v_cmp_ne_u16_sdwa s[16:17], v40, s9 src0_sel:BYTE_0 src1_sel:DWORD
	v_mov_b32_e32 v46, 0xffff8000
	s_and_saveexec_b64 s[14:15], s[16:17]
	s_cbranch_execz .LBB933_364
; %bb.361:                              ;   in Loop: Header=BB933_215 Depth=1
	v_and_b32_e32 v42, 0x7f, v40
	v_cmp_ne_u32_e32 vcc, s21, v42
	v_mov_b32_e32 v46, 0x7f80
	s_and_saveexec_b64 s[16:17], vcc
	s_cbranch_execz .LBB933_363
; %bb.362:                              ;   in Loop: Header=BB933_215 Depth=1
	v_and_b32_e32 v44, 7, v40
	v_ffbh_u32_e32 v56, v44
	v_min_u32_e32 v58, 32, v56
	v_subrev_u32_e32 v56, 28, v58
	v_lshlrev_b64 v[56:57], v56, v[40:41]
	v_lshrrev_b32_e32 v46, 3, v42
	v_sub_u32_e32 v57, 29, v58
	v_and_b32_e32 v56, 7, v56
	v_cmp_gt_u32_e32 vcc, 8, v42
	v_cndmask_b32_e32 v42, v46, v57, vcc
	v_cndmask_b32_e32 v44, v44, v56, vcc
	v_lshlrev_b32_e32 v46, 24, v40
	v_lshlrev_b32_e32 v44, 20, v44
	v_and_b32_e32 v46, 0x80000000, v46
	v_lshl_add_u32 v42, v42, 23, v55
	v_or3_b32 v42, v46, v42, v44
	v_lshrrev_b32_e32 v46, 16, v42
.LBB933_363:                            ;   in Loop: Header=BB933_215 Depth=1
	s_or_b64 exec, exec, s[16:17]
.LBB933_364:                            ;   in Loop: Header=BB933_215 Depth=1
	s_or_b64 exec, exec, s[14:15]
.LBB933_365:                            ;   in Loop: Header=BB933_215 Depth=1
	s_or_b64 exec, exec, s[12:13]
	v_lshrrev_b16_e32 v42, 8, v40
	v_cmp_ne_u16_e32 vcc, 0, v42
	v_mov_b32_e32 v57, 0
	v_mov_b32_e32 v44, 0
	s_and_saveexec_b64 s[12:13], vcc
	s_cbranch_execz .LBB933_371
; %bb.366:                              ;   in Loop: Header=BB933_215 Depth=1
	v_cmp_ne_u16_e32 vcc, s9, v42
	v_mov_b32_e32 v44, 0xffff8000
	s_and_saveexec_b64 s[14:15], vcc
	s_cbranch_execz .LBB933_370
; %bb.367:                              ;   in Loop: Header=BB933_215 Depth=1
	v_and_b32_e32 v56, 0x7f, v42
	v_cmp_ne_u32_e32 vcc, s21, v56
	v_mov_b32_e32 v44, 0x7f80
	s_and_saveexec_b64 s[16:17], vcc
	s_cbranch_execz .LBB933_369
; %bb.368:                              ;   in Loop: Header=BB933_215 Depth=1
	v_and_b32_e32 v44, 7, v42
	v_ffbh_u32_e32 v58, v44
	v_min_u32_e32 v61, 32, v58
	v_subrev_u32_e32 v58, 28, v61
	v_lshlrev_b64 v[58:59], v58, v[42:43]
	v_lshrrev_b32_e32 v60, 3, v56
	v_sub_u32_e32 v42, 29, v61
	v_and_b32_e32 v58, 7, v58
	v_cmp_gt_u32_e32 vcc, 8, v56
	v_cndmask_b32_e32 v42, v60, v42, vcc
	v_cndmask_b32_e32 v44, v44, v58, vcc
	v_lshlrev_b32_e32 v56, 16, v40
	v_lshlrev_b32_e32 v44, 20, v44
	v_and_b32_e32 v56, 0x80000000, v56
	v_lshl_add_u32 v42, v42, 23, v55
	v_or3_b32 v42, v56, v42, v44
	v_lshrrev_b32_e32 v44, 16, v42
.LBB933_369:                            ;   in Loop: Header=BB933_215 Depth=1
	s_or_b64 exec, exec, s[16:17]
.LBB933_370:                            ;   in Loop: Header=BB933_215 Depth=1
	s_or_b64 exec, exec, s[14:15]
.LBB933_371:                            ;   in Loop: Header=BB933_215 Depth=1
	s_or_b64 exec, exec, s[12:13]
	v_lshrrev_b32_e32 v42, 16, v40
	v_cmp_ne_u16_sdwa s[14:15], v42, v54 src0_sel:BYTE_0 src1_sel:DWORD
	s_and_saveexec_b64 s[12:13], s[14:15]
	s_cbranch_execz .LBB933_377
; %bb.372:                              ;   in Loop: Header=BB933_215 Depth=1
	v_cmp_ne_u16_sdwa s[16:17], v42, s9 src0_sel:BYTE_0 src1_sel:DWORD
	v_mov_b32_e32 v57, 0xffff8000
	s_and_saveexec_b64 s[14:15], s[16:17]
	s_cbranch_execz .LBB933_376
; %bb.373:                              ;   in Loop: Header=BB933_215 Depth=1
	v_bfe_u32 v56, v40, 16, 7
	v_cmp_ne_u32_e32 vcc, s21, v56
	v_mov_b32_e32 v57, 0x7f80
	s_and_saveexec_b64 s[16:17], vcc
	s_cbranch_execz .LBB933_375
; %bb.374:                              ;   in Loop: Header=BB933_215 Depth=1
	v_and_b32_e32 v57, 7, v42
	v_ffbh_u32_e32 v58, v57
	v_min_u32_e32 v61, 32, v58
	v_subrev_u32_e32 v58, 28, v61
	v_lshlrev_b64 v[58:59], v58, v[42:43]
	v_lshrrev_b32_e32 v60, 3, v56
	v_sub_u32_e32 v59, 29, v61
	v_and_b32_e32 v58, 7, v58
	v_cmp_gt_u32_e32 vcc, 8, v56
	v_cndmask_b32_e32 v56, v60, v59, vcc
	v_cndmask_b32_e32 v57, v57, v58, vcc
	v_lshlrev_b32_e32 v42, 24, v42
	v_lshlrev_b32_e32 v57, 20, v57
	v_and_b32_e32 v42, 0x80000000, v42
	v_lshl_add_u32 v56, v56, 23, v55
	v_or3_b32 v42, v42, v56, v57
	v_lshrrev_b32_e32 v57, 16, v42
.LBB933_375:                            ;   in Loop: Header=BB933_215 Depth=1
	s_or_b64 exec, exec, s[16:17]
.LBB933_376:                            ;   in Loop: Header=BB933_215 Depth=1
	s_or_b64 exec, exec, s[14:15]
.LBB933_377:                            ;   in Loop: Header=BB933_215 Depth=1
	s_or_b64 exec, exec, s[12:13]
	v_cmp_lt_u32_e32 vcc, s22, v40
	v_mov_b32_e32 v58, 0
	v_mov_b32_e32 v59, 0
	s_and_saveexec_b64 s[12:13], vcc
	s_cbranch_execz .LBB933_383
; %bb.378:                              ;   in Loop: Header=BB933_215 Depth=1
	v_lshrrev_b32_e32 v42, 24, v40
	v_cmp_ne_u32_e32 vcc, s9, v42
	v_mov_b32_e32 v59, 0xffff8000
	s_and_saveexec_b64 s[14:15], vcc
	s_cbranch_execz .LBB933_382
; %bb.379:                              ;   in Loop: Header=BB933_215 Depth=1
	v_bfe_u32 v40, v40, 24, 7
	v_cmp_ne_u32_e32 vcc, s21, v40
	v_mov_b32_e32 v59, 0x7f80
	s_and_saveexec_b64 s[16:17], vcc
	s_cbranch_execz .LBB933_381
; %bb.380:                              ;   in Loop: Header=BB933_215 Depth=1
	v_and_b32_e32 v56, 7, v42
	v_ffbh_u32_e32 v60, v56
	v_min_u32_e32 v62, 32, v60
	v_subrev_u32_e32 v60, 28, v62
	v_lshlrev_b64 v[60:61], v60, v[42:43]
	v_lshrrev_b32_e32 v59, 3, v40
	v_sub_u32_e32 v61, 29, v62
	v_and_b32_e32 v60, 7, v60
	v_cmp_gt_u32_e32 vcc, 8, v40
	v_cndmask_b32_e32 v40, v59, v61, vcc
	v_cndmask_b32_e32 v56, v56, v60, vcc
	v_lshlrev_b32_e32 v42, 24, v42
	v_lshlrev_b32_e32 v56, 20, v56
	v_and_b32_e32 v42, 0x80000000, v42
	v_lshl_add_u32 v40, v40, 23, v55
	v_or3_b32 v40, v42, v40, v56
	v_lshrrev_b32_e32 v59, 16, v40
.LBB933_381:                            ;   in Loop: Header=BB933_215 Depth=1
	s_or_b64 exec, exec, s[16:17]
.LBB933_382:                            ;   in Loop: Header=BB933_215 Depth=1
	s_or_b64 exec, exec, s[14:15]
.LBB933_383:                            ;   in Loop: Header=BB933_215 Depth=1
	s_or_b64 exec, exec, s[12:13]
	s_waitcnt vmcnt(0)
	v_cmp_ne_u16_sdwa s[14:15], v38, v54 src0_sel:BYTE_0 src1_sel:DWORD
	s_and_saveexec_b64 s[12:13], s[14:15]
	s_cbranch_execz .LBB933_389
; %bb.384:                              ;   in Loop: Header=BB933_215 Depth=1
	v_cmp_ne_u16_sdwa s[16:17], v38, s9 src0_sel:BYTE_0 src1_sel:DWORD
	v_mov_b32_e32 v58, 0xffff8000
	s_and_saveexec_b64 s[14:15], s[16:17]
	s_cbranch_execz .LBB933_388
; %bb.385:                              ;   in Loop: Header=BB933_215 Depth=1
	v_and_b32_e32 v40, 0x7f, v38
	v_cmp_ne_u32_e32 vcc, s21, v40
	v_mov_b32_e32 v58, 0x7f80
	s_and_saveexec_b64 s[16:17], vcc
	s_cbranch_execz .LBB933_387
; %bb.386:                              ;   in Loop: Header=BB933_215 Depth=1
	v_and_b32_e32 v42, 7, v38
	v_ffbh_u32_e32 v58, v42
	v_min_u32_e32 v58, 32, v58
	v_subrev_u32_e32 v60, 28, v58
	v_lshlrev_b64 v[60:61], v60, v[38:39]
	v_lshrrev_b32_e32 v56, 3, v40
	v_sub_u32_e32 v58, 29, v58
	v_and_b32_e32 v60, 7, v60
	v_cmp_gt_u32_e32 vcc, 8, v40
	v_cndmask_b32_e32 v40, v56, v58, vcc
	v_cndmask_b32_e32 v42, v42, v60, vcc
	v_lshlrev_b32_e32 v56, 24, v38
	v_lshlrev_b32_e32 v42, 20, v42
	v_and_b32_e32 v56, 0x80000000, v56
	v_lshl_add_u32 v40, v40, 23, v55
	v_or3_b32 v40, v56, v40, v42
	v_lshrrev_b32_e32 v58, 16, v40
.LBB933_387:                            ;   in Loop: Header=BB933_215 Depth=1
	s_or_b64 exec, exec, s[16:17]
.LBB933_388:                            ;   in Loop: Header=BB933_215 Depth=1
	s_or_b64 exec, exec, s[14:15]
.LBB933_389:                            ;   in Loop: Header=BB933_215 Depth=1
	s_or_b64 exec, exec, s[12:13]
	v_lshrrev_b16_e32 v40, 8, v38
	v_cmp_ne_u16_e32 vcc, 0, v40
	v_mov_b32_e32 v61, 0
	v_mov_b32_e32 v60, 0
	s_and_saveexec_b64 s[12:13], vcc
	s_cbranch_execz .LBB933_395
; %bb.390:                              ;   in Loop: Header=BB933_215 Depth=1
	v_cmp_ne_u16_e32 vcc, s9, v40
	v_mov_b32_e32 v60, 0xffff8000
	s_and_saveexec_b64 s[14:15], vcc
	s_cbranch_execz .LBB933_394
; %bb.391:                              ;   in Loop: Header=BB933_215 Depth=1
	v_and_b32_e32 v42, 0x7f, v40
	v_cmp_ne_u32_e32 vcc, s21, v42
	v_mov_b32_e32 v60, 0x7f80
	s_and_saveexec_b64 s[16:17], vcc
	s_cbranch_execz .LBB933_393
; %bb.392:                              ;   in Loop: Header=BB933_215 Depth=1
	v_and_b32_e32 v56, 7, v40
	v_ffbh_u32_e32 v62, v56
	v_min_u32_e32 v64, 32, v62
	v_subrev_u32_e32 v62, 28, v64
	v_lshlrev_b64 v[62:63], v62, v[40:41]
	v_lshrrev_b32_e32 v60, 3, v42
	v_sub_u32_e32 v40, 29, v64
	v_and_b32_e32 v62, 7, v62
	v_cmp_gt_u32_e32 vcc, 8, v42
	v_cndmask_b32_e32 v40, v60, v40, vcc
	v_cndmask_b32_e32 v42, v56, v62, vcc
	v_lshlrev_b32_e32 v56, 16, v38
	v_lshlrev_b32_e32 v42, 20, v42
	v_and_b32_e32 v56, 0x80000000, v56
	v_lshl_add_u32 v40, v40, 23, v55
	v_or3_b32 v40, v56, v40, v42
	v_lshrrev_b32_e32 v60, 16, v40
.LBB933_393:                            ;   in Loop: Header=BB933_215 Depth=1
	s_or_b64 exec, exec, s[16:17]
.LBB933_394:                            ;   in Loop: Header=BB933_215 Depth=1
	s_or_b64 exec, exec, s[14:15]
.LBB933_395:                            ;   in Loop: Header=BB933_215 Depth=1
	s_or_b64 exec, exec, s[12:13]
	v_lshrrev_b32_e32 v40, 16, v38
	v_cmp_ne_u16_sdwa s[14:15], v40, v54 src0_sel:BYTE_0 src1_sel:DWORD
	s_and_saveexec_b64 s[12:13], s[14:15]
	s_cbranch_execz .LBB933_401
; %bb.396:                              ;   in Loop: Header=BB933_215 Depth=1
	v_cmp_ne_u16_sdwa s[16:17], v40, s9 src0_sel:BYTE_0 src1_sel:DWORD
	v_mov_b32_e32 v61, 0xffff8000
	s_and_saveexec_b64 s[14:15], s[16:17]
	s_cbranch_execz .LBB933_400
; %bb.397:                              ;   in Loop: Header=BB933_215 Depth=1
	v_bfe_u32 v42, v38, 16, 7
	v_cmp_ne_u32_e32 vcc, s21, v42
	v_mov_b32_e32 v61, 0x7f80
	s_and_saveexec_b64 s[16:17], vcc
	s_cbranch_execz .LBB933_399
; %bb.398:                              ;   in Loop: Header=BB933_215 Depth=1
	v_and_b32_e32 v56, 7, v40
	v_ffbh_u32_e32 v62, v56
	v_min_u32_e32 v64, 32, v62
	v_subrev_u32_e32 v62, 28, v64
	v_lshlrev_b64 v[62:63], v62, v[40:41]
	v_lshrrev_b32_e32 v61, 3, v42
	v_sub_u32_e32 v63, 29, v64
	v_and_b32_e32 v62, 7, v62
	v_cmp_gt_u32_e32 vcc, 8, v42
	v_cndmask_b32_e32 v42, v61, v63, vcc
	v_cndmask_b32_e32 v56, v56, v62, vcc
	v_lshlrev_b32_e32 v40, 24, v40
	v_lshlrev_b32_e32 v56, 20, v56
	v_and_b32_e32 v40, 0x80000000, v40
	v_lshl_add_u32 v42, v42, 23, v55
	v_or3_b32 v40, v40, v42, v56
	v_lshrrev_b32_e32 v61, 16, v40
.LBB933_399:                            ;   in Loop: Header=BB933_215 Depth=1
	s_or_b64 exec, exec, s[16:17]
.LBB933_400:                            ;   in Loop: Header=BB933_215 Depth=1
	s_or_b64 exec, exec, s[14:15]
.LBB933_401:                            ;   in Loop: Header=BB933_215 Depth=1
	s_or_b64 exec, exec, s[12:13]
	v_cmp_lt_u32_e32 vcc, s22, v38
	v_mov_b32_e32 v56, 0
	v_mov_b32_e32 v62, 0
	s_and_saveexec_b64 s[12:13], vcc
	s_cbranch_execz .LBB933_407
; %bb.402:                              ;   in Loop: Header=BB933_215 Depth=1
	v_lshrrev_b32_e32 v40, 24, v38
	v_cmp_ne_u32_e32 vcc, s9, v40
	v_mov_b32_e32 v62, 0xffff8000
	s_and_saveexec_b64 s[14:15], vcc
	s_cbranch_execz .LBB933_406
; %bb.403:                              ;   in Loop: Header=BB933_215 Depth=1
	v_bfe_u32 v38, v38, 24, 7
	v_cmp_ne_u32_e32 vcc, s21, v38
	v_mov_b32_e32 v62, 0x7f80
	s_and_saveexec_b64 s[16:17], vcc
	s_cbranch_execz .LBB933_405
; %bb.404:                              ;   in Loop: Header=BB933_215 Depth=1
	v_and_b32_e32 v42, 7, v40
	v_ffbh_u32_e32 v62, v42
	v_min_u32_e32 v65, 32, v62
	v_subrev_u32_e32 v62, 28, v65
	v_lshlrev_b64 v[62:63], v62, v[40:41]
	v_lshrrev_b32_e32 v64, 3, v38
	v_sub_u32_e32 v63, 29, v65
	v_and_b32_e32 v62, 7, v62
	v_cmp_gt_u32_e32 vcc, 8, v38
	v_cndmask_b32_e32 v38, v64, v63, vcc
	v_cndmask_b32_e32 v42, v42, v62, vcc
	v_lshlrev_b32_e32 v40, 24, v40
	v_lshlrev_b32_e32 v42, 20, v42
	v_and_b32_e32 v40, 0x80000000, v40
	v_lshl_add_u32 v38, v38, 23, v55
	v_or3_b32 v38, v40, v38, v42
	v_lshrrev_b32_e32 v62, 16, v38
.LBB933_405:                            ;   in Loop: Header=BB933_215 Depth=1
	s_or_b64 exec, exec, s[16:17]
.LBB933_406:                            ;   in Loop: Header=BB933_215 Depth=1
	s_or_b64 exec, exec, s[14:15]
.LBB933_407:                            ;   in Loop: Header=BB933_215 Depth=1
	s_or_b64 exec, exec, s[12:13]
	v_perm_b32 v64, v44, v46, s23
	buffer_load_dword v44, v51, s[0:3], 0 offen
	buffer_load_dword v42, v51, s[0:3], 0 offen offset:4
	buffer_load_dword v40, v51, s[0:3], 0 offen offset:8
	;; [unrolled: 1-line block ×3, first 2 shown]
	v_perm_b32 v65, v59, v57, s23
	v_perm_b32 v59, v62, v61, s23
	;; [unrolled: 1-line block ×3, first 2 shown]
	v_mfma_f32_16x16x16bf16_1k v[34:37], v[64:65], v[14:15], v[34:37]
	s_waitcnt vmcnt(3)
	v_cmp_ne_u16_sdwa s[14:15], v44, v54 src0_sel:BYTE_0 src1_sel:DWORD
	v_mfma_f32_16x16x16bf16_1k v[34:37], v[58:59], v[16:17], v[34:37]
	s_and_saveexec_b64 s[12:13], s[14:15]
	s_cbranch_execz .LBB933_413
; %bb.408:                              ;   in Loop: Header=BB933_215 Depth=1
	v_cmp_ne_u16_sdwa s[16:17], v44, s9 src0_sel:BYTE_0 src1_sel:DWORD
	v_mov_b32_e32 v56, 0xffff8000
	s_and_saveexec_b64 s[14:15], s[16:17]
	s_cbranch_execz .LBB933_412
; %bb.409:                              ;   in Loop: Header=BB933_215 Depth=1
	v_and_b32_e32 v46, 0x7f, v44
	v_cmp_ne_u32_e32 vcc, s21, v46
	v_mov_b32_e32 v56, 0x7f80
	s_and_saveexec_b64 s[16:17], vcc
	s_cbranch_execz .LBB933_411
; %bb.410:                              ;   in Loop: Header=BB933_215 Depth=1
	v_and_b32_e32 v51, 7, v44
	v_ffbh_u32_e32 v56, v51
	v_min_u32_e32 v59, 32, v56
	v_subrev_u32_e32 v56, 28, v59
	v_lshlrev_b64 v[56:57], v56, v[44:45]
	v_lshrrev_b32_e32 v58, 3, v46
	v_sub_u32_e32 v57, 29, v59
	v_and_b32_e32 v56, 7, v56
	v_cmp_gt_u32_e32 vcc, 8, v46
	v_cndmask_b32_e32 v46, v58, v57, vcc
	v_cndmask_b32_e32 v51, v51, v56, vcc
	v_lshlrev_b32_e32 v56, 24, v44
	v_lshlrev_b32_e32 v51, 20, v51
	v_and_b32_e32 v56, 0x80000000, v56
	v_lshl_add_u32 v46, v46, 23, v55
	v_or3_b32 v46, v56, v46, v51
	v_lshrrev_b32_e32 v56, 16, v46
.LBB933_411:                            ;   in Loop: Header=BB933_215 Depth=1
	s_or_b64 exec, exec, s[16:17]
.LBB933_412:                            ;   in Loop: Header=BB933_215 Depth=1
	s_or_b64 exec, exec, s[14:15]
.LBB933_413:                            ;   in Loop: Header=BB933_215 Depth=1
	s_or_b64 exec, exec, s[12:13]
	v_lshrrev_b16_e32 v46, 8, v44
	v_cmp_ne_u16_e32 vcc, 0, v46
	v_mov_b32_e32 v57, 0
	v_mov_b32_e32 v51, 0
	s_and_saveexec_b64 s[12:13], vcc
	s_cbranch_execz .LBB933_419
; %bb.414:                              ;   in Loop: Header=BB933_215 Depth=1
	v_cmp_ne_u16_e32 vcc, s9, v46
	v_mov_b32_e32 v51, 0xffff8000
	s_and_saveexec_b64 s[14:15], vcc
	s_cbranch_execz .LBB933_418
; %bb.415:                              ;   in Loop: Header=BB933_215 Depth=1
	v_and_b32_e32 v58, 0x7f, v46
	v_cmp_ne_u32_e32 vcc, s21, v58
	v_mov_b32_e32 v51, 0x7f80
	s_and_saveexec_b64 s[16:17], vcc
	s_cbranch_execz .LBB933_417
; %bb.416:                              ;   in Loop: Header=BB933_215 Depth=1
	v_and_b32_e32 v51, 7, v46
	v_ffbh_u32_e32 v60, v51
	v_min_u32_e32 v62, 32, v60
	v_subrev_u32_e32 v60, 28, v62
	v_lshlrev_b64 v[60:61], v60, v[46:47]
	v_lshrrev_b32_e32 v59, 3, v58
	v_sub_u32_e32 v46, 29, v62
	v_and_b32_e32 v60, 7, v60
	v_cmp_gt_u32_e32 vcc, 8, v58
	v_cndmask_b32_e32 v46, v59, v46, vcc
	v_cndmask_b32_e32 v51, v51, v60, vcc
	v_lshlrev_b32_e32 v58, 16, v44
	v_lshlrev_b32_e32 v51, 20, v51
	v_and_b32_e32 v58, 0x80000000, v58
	v_lshl_add_u32 v46, v46, 23, v55
	v_or3_b32 v46, v58, v46, v51
	v_lshrrev_b32_e32 v51, 16, v46
.LBB933_417:                            ;   in Loop: Header=BB933_215 Depth=1
	s_or_b64 exec, exec, s[16:17]
.LBB933_418:                            ;   in Loop: Header=BB933_215 Depth=1
	s_or_b64 exec, exec, s[14:15]
.LBB933_419:                            ;   in Loop: Header=BB933_215 Depth=1
	s_or_b64 exec, exec, s[12:13]
	v_lshrrev_b32_e32 v46, 16, v44
	v_cmp_ne_u16_sdwa s[14:15], v46, v54 src0_sel:BYTE_0 src1_sel:DWORD
	s_and_saveexec_b64 s[12:13], s[14:15]
	s_cbranch_execz .LBB933_425
; %bb.420:                              ;   in Loop: Header=BB933_215 Depth=1
	v_cmp_ne_u16_sdwa s[16:17], v46, s9 src0_sel:BYTE_0 src1_sel:DWORD
	v_mov_b32_e32 v57, 0xffff8000
	s_and_saveexec_b64 s[14:15], s[16:17]
	s_cbranch_execz .LBB933_424
; %bb.421:                              ;   in Loop: Header=BB933_215 Depth=1
	v_bfe_u32 v58, v44, 16, 7
	v_cmp_ne_u32_e32 vcc, s21, v58
	v_mov_b32_e32 v57, 0x7f80
	s_and_saveexec_b64 s[16:17], vcc
	s_cbranch_execz .LBB933_423
; %bb.422:                              ;   in Loop: Header=BB933_215 Depth=1
	v_and_b32_e32 v57, 7, v46
	v_ffbh_u32_e32 v60, v57
	v_min_u32_e32 v62, 32, v60
	v_subrev_u32_e32 v60, 28, v62
	v_lshlrev_b64 v[60:61], v60, v[46:47]
	v_lshrrev_b32_e32 v59, 3, v58
	v_sub_u32_e32 v61, 29, v62
	v_and_b32_e32 v60, 7, v60
	v_cmp_gt_u32_e32 vcc, 8, v58
	v_cndmask_b32_e32 v58, v59, v61, vcc
	v_cndmask_b32_e32 v57, v57, v60, vcc
	v_lshlrev_b32_e32 v46, 24, v46
	v_lshlrev_b32_e32 v57, 20, v57
	v_and_b32_e32 v46, 0x80000000, v46
	v_lshl_add_u32 v58, v58, 23, v55
	v_or3_b32 v46, v46, v58, v57
	v_lshrrev_b32_e32 v57, 16, v46
.LBB933_423:                            ;   in Loop: Header=BB933_215 Depth=1
	s_or_b64 exec, exec, s[16:17]
.LBB933_424:                            ;   in Loop: Header=BB933_215 Depth=1
	s_or_b64 exec, exec, s[14:15]
.LBB933_425:                            ;   in Loop: Header=BB933_215 Depth=1
	s_or_b64 exec, exec, s[12:13]
	v_cmp_lt_u32_e32 vcc, s22, v44
	v_mov_b32_e32 v58, 0
	v_mov_b32_e32 v59, 0
	s_and_saveexec_b64 s[12:13], vcc
	s_cbranch_execz .LBB933_431
; %bb.426:                              ;   in Loop: Header=BB933_215 Depth=1
	v_lshrrev_b32_e32 v46, 24, v44
	v_cmp_ne_u32_e32 vcc, s9, v46
	v_mov_b32_e32 v59, 0xffff8000
	s_and_saveexec_b64 s[14:15], vcc
	s_cbranch_execz .LBB933_430
; %bb.427:                              ;   in Loop: Header=BB933_215 Depth=1
	v_bfe_u32 v44, v44, 24, 7
	v_cmp_ne_u32_e32 vcc, s21, v44
	v_mov_b32_e32 v59, 0x7f80
	s_and_saveexec_b64 s[16:17], vcc
	s_cbranch_execz .LBB933_429
; %bb.428:                              ;   in Loop: Header=BB933_215 Depth=1
	v_and_b32_e32 v59, 7, v46
	v_ffbh_u32_e32 v60, v59
	v_min_u32_e32 v63, 32, v60
	v_subrev_u32_e32 v60, 28, v63
	v_lshlrev_b64 v[60:61], v60, v[46:47]
	v_lshrrev_b32_e32 v62, 3, v44
	v_sub_u32_e32 v61, 29, v63
	v_and_b32_e32 v60, 7, v60
	v_cmp_gt_u32_e32 vcc, 8, v44
	v_cndmask_b32_e32 v44, v62, v61, vcc
	v_cndmask_b32_e32 v59, v59, v60, vcc
	v_lshlrev_b32_e32 v46, 24, v46
	v_lshlrev_b32_e32 v59, 20, v59
	v_and_b32_e32 v46, 0x80000000, v46
	v_lshl_add_u32 v44, v44, 23, v55
	v_or3_b32 v44, v46, v44, v59
	v_lshrrev_b32_e32 v59, 16, v44
.LBB933_429:                            ;   in Loop: Header=BB933_215 Depth=1
	s_or_b64 exec, exec, s[16:17]
.LBB933_430:                            ;   in Loop: Header=BB933_215 Depth=1
	s_or_b64 exec, exec, s[14:15]
.LBB933_431:                            ;   in Loop: Header=BB933_215 Depth=1
	s_or_b64 exec, exec, s[12:13]
	s_waitcnt vmcnt(2)
	v_cmp_ne_u16_sdwa s[14:15], v42, v54 src0_sel:BYTE_0 src1_sel:DWORD
	s_and_saveexec_b64 s[12:13], s[14:15]
	s_cbranch_execz .LBB933_437
; %bb.432:                              ;   in Loop: Header=BB933_215 Depth=1
	v_cmp_ne_u16_sdwa s[16:17], v42, s9 src0_sel:BYTE_0 src1_sel:DWORD
	v_mov_b32_e32 v58, 0xffff8000
	s_and_saveexec_b64 s[14:15], s[16:17]
	s_cbranch_execz .LBB933_436
; %bb.433:                              ;   in Loop: Header=BB933_215 Depth=1
	v_and_b32_e32 v44, 0x7f, v42
	v_cmp_ne_u32_e32 vcc, s21, v44
	v_mov_b32_e32 v58, 0x7f80
	s_and_saveexec_b64 s[16:17], vcc
	s_cbranch_execz .LBB933_435
; %bb.434:                              ;   in Loop: Header=BB933_215 Depth=1
	v_and_b32_e32 v46, 7, v42
	v_ffbh_u32_e32 v60, v46
	v_min_u32_e32 v62, 32, v60
	v_subrev_u32_e32 v60, 28, v62
	v_lshlrev_b64 v[60:61], v60, v[42:43]
	v_lshrrev_b32_e32 v58, 3, v44
	v_sub_u32_e32 v61, 29, v62
	v_and_b32_e32 v60, 7, v60
	v_cmp_gt_u32_e32 vcc, 8, v44
	v_cndmask_b32_e32 v44, v58, v61, vcc
	v_cndmask_b32_e32 v46, v46, v60, vcc
	v_lshlrev_b32_e32 v58, 24, v42
	v_lshlrev_b32_e32 v46, 20, v46
	v_and_b32_e32 v58, 0x80000000, v58
	v_lshl_add_u32 v44, v44, 23, v55
	v_or3_b32 v44, v58, v44, v46
	v_lshrrev_b32_e32 v58, 16, v44
.LBB933_435:                            ;   in Loop: Header=BB933_215 Depth=1
	s_or_b64 exec, exec, s[16:17]
.LBB933_436:                            ;   in Loop: Header=BB933_215 Depth=1
	s_or_b64 exec, exec, s[14:15]
.LBB933_437:                            ;   in Loop: Header=BB933_215 Depth=1
	s_or_b64 exec, exec, s[12:13]
	v_lshrrev_b16_e32 v44, 8, v42
	v_cmp_ne_u16_e32 vcc, 0, v44
	v_mov_b32_e32 v61, 0
	v_mov_b32_e32 v60, 0
	s_and_saveexec_b64 s[12:13], vcc
	s_cbranch_execz .LBB933_443
; %bb.438:                              ;   in Loop: Header=BB933_215 Depth=1
	v_cmp_ne_u16_e32 vcc, s9, v44
	v_mov_b32_e32 v60, 0xffff8000
	s_and_saveexec_b64 s[14:15], vcc
	s_cbranch_execz .LBB933_442
; %bb.439:                              ;   in Loop: Header=BB933_215 Depth=1
	v_and_b32_e32 v46, 0x7f, v44
	v_cmp_ne_u32_e32 vcc, s21, v46
	v_mov_b32_e32 v60, 0x7f80
	s_and_saveexec_b64 s[16:17], vcc
	s_cbranch_execz .LBB933_441
; %bb.440:                              ;   in Loop: Header=BB933_215 Depth=1
	v_and_b32_e32 v60, 7, v44
	v_ffbh_u32_e32 v62, v60
	v_min_u32_e32 v65, 32, v62
	v_subrev_u32_e32 v62, 28, v65
	v_lshlrev_b64 v[62:63], v62, v[44:45]
	v_lshrrev_b32_e32 v64, 3, v46
	v_sub_u32_e32 v44, 29, v65
	v_and_b32_e32 v62, 7, v62
	v_cmp_gt_u32_e32 vcc, 8, v46
	v_cndmask_b32_e32 v44, v64, v44, vcc
	v_cndmask_b32_e32 v46, v60, v62, vcc
	v_lshlrev_b32_e32 v60, 16, v42
	v_lshlrev_b32_e32 v46, 20, v46
	v_and_b32_e32 v60, 0x80000000, v60
	v_lshl_add_u32 v44, v44, 23, v55
	v_or3_b32 v44, v60, v44, v46
	v_lshrrev_b32_e32 v60, 16, v44
.LBB933_441:                            ;   in Loop: Header=BB933_215 Depth=1
	s_or_b64 exec, exec, s[16:17]
.LBB933_442:                            ;   in Loop: Header=BB933_215 Depth=1
	s_or_b64 exec, exec, s[14:15]
.LBB933_443:                            ;   in Loop: Header=BB933_215 Depth=1
	s_or_b64 exec, exec, s[12:13]
	v_lshrrev_b32_e32 v44, 16, v42
	v_cmp_ne_u16_sdwa s[14:15], v44, v54 src0_sel:BYTE_0 src1_sel:DWORD
	s_and_saveexec_b64 s[12:13], s[14:15]
	s_cbranch_execz .LBB933_449
; %bb.444:                              ;   in Loop: Header=BB933_215 Depth=1
	v_cmp_ne_u16_sdwa s[16:17], v44, s9 src0_sel:BYTE_0 src1_sel:DWORD
	v_mov_b32_e32 v61, 0xffff8000
	s_and_saveexec_b64 s[14:15], s[16:17]
	s_cbranch_execz .LBB933_448
; %bb.445:                              ;   in Loop: Header=BB933_215 Depth=1
	v_bfe_u32 v46, v42, 16, 7
	v_cmp_ne_u32_e32 vcc, s21, v46
	v_mov_b32_e32 v61, 0x7f80
	s_and_saveexec_b64 s[16:17], vcc
	s_cbranch_execz .LBB933_447
; %bb.446:                              ;   in Loop: Header=BB933_215 Depth=1
	v_and_b32_e32 v61, 7, v44
	v_ffbh_u32_e32 v62, v61
	v_min_u32_e32 v65, 32, v62
	v_subrev_u32_e32 v62, 28, v65
	v_lshlrev_b64 v[62:63], v62, v[44:45]
	v_lshrrev_b32_e32 v64, 3, v46
	v_sub_u32_e32 v63, 29, v65
	v_and_b32_e32 v62, 7, v62
	v_cmp_gt_u32_e32 vcc, 8, v46
	v_cndmask_b32_e32 v46, v64, v63, vcc
	v_cndmask_b32_e32 v61, v61, v62, vcc
	v_lshlrev_b32_e32 v44, 24, v44
	v_lshlrev_b32_e32 v61, 20, v61
	v_and_b32_e32 v44, 0x80000000, v44
	v_lshl_add_u32 v46, v46, 23, v55
	v_or3_b32 v44, v44, v46, v61
	v_lshrrev_b32_e32 v61, 16, v44
.LBB933_447:                            ;   in Loop: Header=BB933_215 Depth=1
	s_or_b64 exec, exec, s[16:17]
.LBB933_448:                            ;   in Loop: Header=BB933_215 Depth=1
	s_or_b64 exec, exec, s[14:15]
.LBB933_449:                            ;   in Loop: Header=BB933_215 Depth=1
	s_or_b64 exec, exec, s[12:13]
	v_cmp_lt_u32_e32 vcc, s22, v42
	v_mov_b32_e32 v46, 0
	v_mov_b32_e32 v62, 0
	s_and_saveexec_b64 s[12:13], vcc
	s_cbranch_execz .LBB933_455
; %bb.450:                              ;   in Loop: Header=BB933_215 Depth=1
	v_lshrrev_b32_e32 v44, 24, v42
	v_cmp_ne_u32_e32 vcc, s9, v44
	v_mov_b32_e32 v62, 0xffff8000
	s_and_saveexec_b64 s[14:15], vcc
	s_cbranch_execz .LBB933_454
; %bb.451:                              ;   in Loop: Header=BB933_215 Depth=1
	v_bfe_u32 v42, v42, 24, 7
	v_cmp_ne_u32_e32 vcc, s21, v42
	v_mov_b32_e32 v62, 0x7f80
	s_and_saveexec_b64 s[16:17], vcc
	s_cbranch_execz .LBB933_453
; %bb.452:                              ;   in Loop: Header=BB933_215 Depth=1
	v_and_b32_e32 v64, 7, v44
	v_ffbh_u32_e32 v62, v64
	v_min_u32_e32 v66, 32, v62
	v_subrev_u32_e32 v62, 28, v66
	v_lshlrev_b64 v[62:63], v62, v[44:45]
	v_lshrrev_b32_e32 v65, 3, v42
	v_sub_u32_e32 v63, 29, v66
	v_and_b32_e32 v62, 7, v62
	v_cmp_gt_u32_e32 vcc, 8, v42
	v_cndmask_b32_e32 v42, v65, v63, vcc
	v_cndmask_b32_e32 v62, v64, v62, vcc
	v_lshlrev_b32_e32 v44, 24, v44
	v_lshlrev_b32_e32 v62, 20, v62
	v_and_b32_e32 v44, 0x80000000, v44
	v_lshl_add_u32 v42, v42, 23, v55
	v_or3_b32 v42, v44, v42, v62
	v_lshrrev_b32_e32 v62, 16, v42
.LBB933_453:                            ;   in Loop: Header=BB933_215 Depth=1
	s_or_b64 exec, exec, s[16:17]
.LBB933_454:                            ;   in Loop: Header=BB933_215 Depth=1
	s_or_b64 exec, exec, s[14:15]
.LBB933_455:                            ;   in Loop: Header=BB933_215 Depth=1
	s_or_b64 exec, exec, s[12:13]
	v_perm_b32 v57, v59, v57, s23
	v_perm_b32 v56, v51, v56, s23
	s_waitcnt vmcnt(1)
	v_cmp_ne_u16_sdwa s[14:15], v40, v54 src0_sel:BYTE_0 src1_sel:DWORD
	v_mfma_f32_16x16x16bf16_1k v[34:37], v[56:57], v[18:19], v[34:37]
	v_perm_b32 v57, v62, v61, s23
	v_perm_b32 v56, v60, v58, s23
	s_nop 1
	v_mfma_f32_16x16x16bf16_1k v[34:37], v[56:57], v[20:21], v[34:37]
	s_and_saveexec_b64 s[12:13], s[14:15]
	s_cbranch_execz .LBB933_461
; %bb.456:                              ;   in Loop: Header=BB933_215 Depth=1
	v_cmp_ne_u16_sdwa s[16:17], v40, s9 src0_sel:BYTE_0 src1_sel:DWORD
	v_mov_b32_e32 v46, 0xffff8000
	s_and_saveexec_b64 s[14:15], s[16:17]
	s_cbranch_execz .LBB933_460
; %bb.457:                              ;   in Loop: Header=BB933_215 Depth=1
	v_and_b32_e32 v42, 0x7f, v40
	v_cmp_ne_u32_e32 vcc, s21, v42
	v_mov_b32_e32 v46, 0x7f80
	s_and_saveexec_b64 s[16:17], vcc
	s_cbranch_execz .LBB933_459
; %bb.458:                              ;   in Loop: Header=BB933_215 Depth=1
	v_and_b32_e32 v44, 7, v40
	v_ffbh_u32_e32 v51, v44
	v_min_u32_e32 v51, 32, v51
	v_subrev_u32_e32 v56, 28, v51
	v_lshlrev_b64 v[56:57], v56, v[40:41]
	v_lshrrev_b32_e32 v46, 3, v42
	v_sub_u32_e32 v51, 29, v51
	v_and_b32_e32 v56, 7, v56
	v_cmp_gt_u32_e32 vcc, 8, v42
	v_cndmask_b32_e32 v42, v46, v51, vcc
	v_cndmask_b32_e32 v44, v44, v56, vcc
	v_lshlrev_b32_e32 v46, 24, v40
	v_lshlrev_b32_e32 v44, 20, v44
	v_and_b32_e32 v46, 0x80000000, v46
	v_lshl_add_u32 v42, v42, 23, v55
	v_or3_b32 v42, v46, v42, v44
	v_lshrrev_b32_e32 v46, 16, v42
.LBB933_459:                            ;   in Loop: Header=BB933_215 Depth=1
	s_or_b64 exec, exec, s[16:17]
.LBB933_460:                            ;   in Loop: Header=BB933_215 Depth=1
	s_or_b64 exec, exec, s[14:15]
.LBB933_461:                            ;   in Loop: Header=BB933_215 Depth=1
	s_or_b64 exec, exec, s[12:13]
	v_lshrrev_b16_e32 v42, 8, v40
	v_cmp_ne_u16_e32 vcc, 0, v42
	v_mov_b32_e32 v56, 0
	v_mov_b32_e32 v44, 0
	s_and_saveexec_b64 s[12:13], vcc
	s_cbranch_execz .LBB933_467
; %bb.462:                              ;   in Loop: Header=BB933_215 Depth=1
	v_cmp_ne_u16_e32 vcc, s9, v42
	v_mov_b32_e32 v44, 0xffff8000
	s_and_saveexec_b64 s[14:15], vcc
	s_cbranch_execz .LBB933_466
; %bb.463:                              ;   in Loop: Header=BB933_215 Depth=1
	v_and_b32_e32 v51, 0x7f, v42
	v_cmp_ne_u32_e32 vcc, s21, v51
	v_mov_b32_e32 v44, 0x7f80
	s_and_saveexec_b64 s[16:17], vcc
	s_cbranch_execz .LBB933_465
; %bb.464:                              ;   in Loop: Header=BB933_215 Depth=1
	v_and_b32_e32 v44, 7, v42
	v_ffbh_u32_e32 v58, v44
	v_min_u32_e32 v60, 32, v58
	v_subrev_u32_e32 v58, 28, v60
	v_lshlrev_b64 v[58:59], v58, v[42:43]
	v_lshrrev_b32_e32 v57, 3, v51
	v_sub_u32_e32 v42, 29, v60
	v_and_b32_e32 v58, 7, v58
	v_cmp_gt_u32_e32 vcc, 8, v51
	v_cndmask_b32_e32 v42, v57, v42, vcc
	v_cndmask_b32_e32 v44, v44, v58, vcc
	v_lshlrev_b32_e32 v51, 16, v40
	v_lshlrev_b32_e32 v44, 20, v44
	v_and_b32_e32 v51, 0x80000000, v51
	v_lshl_add_u32 v42, v42, 23, v55
	v_or3_b32 v42, v51, v42, v44
	v_lshrrev_b32_e32 v44, 16, v42
.LBB933_465:                            ;   in Loop: Header=BB933_215 Depth=1
	s_or_b64 exec, exec, s[16:17]
.LBB933_466:                            ;   in Loop: Header=BB933_215 Depth=1
	s_or_b64 exec, exec, s[14:15]
.LBB933_467:                            ;   in Loop: Header=BB933_215 Depth=1
	s_or_b64 exec, exec, s[12:13]
	v_lshrrev_b32_e32 v42, 16, v40
	v_cmp_ne_u16_sdwa s[14:15], v42, v54 src0_sel:BYTE_0 src1_sel:DWORD
	s_and_saveexec_b64 s[12:13], s[14:15]
	s_cbranch_execz .LBB933_473
; %bb.468:                              ;   in Loop: Header=BB933_215 Depth=1
	v_cmp_ne_u16_sdwa s[16:17], v42, s9 src0_sel:BYTE_0 src1_sel:DWORD
	v_mov_b32_e32 v56, 0xffff8000
	s_and_saveexec_b64 s[14:15], s[16:17]
	s_cbranch_execz .LBB933_472
; %bb.469:                              ;   in Loop: Header=BB933_215 Depth=1
	v_bfe_u32 v51, v40, 16, 7
	v_cmp_ne_u32_e32 vcc, s21, v51
	v_mov_b32_e32 v56, 0x7f80
	s_and_saveexec_b64 s[16:17], vcc
	s_cbranch_execz .LBB933_471
; %bb.470:                              ;   in Loop: Header=BB933_215 Depth=1
	v_and_b32_e32 v58, 7, v42
	v_ffbh_u32_e32 v56, v58
	v_min_u32_e32 v60, 32, v56
	v_subrev_u32_e32 v56, 28, v60
	v_lshlrev_b64 v[56:57], v56, v[42:43]
	v_lshrrev_b32_e32 v59, 3, v51
	v_sub_u32_e32 v57, 29, v60
	v_and_b32_e32 v56, 7, v56
	v_cmp_gt_u32_e32 vcc, 8, v51
	v_cndmask_b32_e32 v51, v59, v57, vcc
	v_cndmask_b32_e32 v56, v58, v56, vcc
	v_lshlrev_b32_e32 v42, 24, v42
	v_lshlrev_b32_e32 v56, 20, v56
	v_and_b32_e32 v42, 0x80000000, v42
	v_lshl_add_u32 v51, v51, 23, v55
	v_or3_b32 v42, v42, v51, v56
	v_lshrrev_b32_e32 v56, 16, v42
.LBB933_471:                            ;   in Loop: Header=BB933_215 Depth=1
	s_or_b64 exec, exec, s[16:17]
.LBB933_472:                            ;   in Loop: Header=BB933_215 Depth=1
	s_or_b64 exec, exec, s[14:15]
.LBB933_473:                            ;   in Loop: Header=BB933_215 Depth=1
	s_or_b64 exec, exec, s[12:13]
	v_cmp_lt_u32_e32 vcc, s22, v40
	v_mov_b32_e32 v57, 0
	v_mov_b32_e32 v58, 0
	s_and_saveexec_b64 s[12:13], vcc
	s_cbranch_execz .LBB933_479
; %bb.474:                              ;   in Loop: Header=BB933_215 Depth=1
	v_lshrrev_b32_e32 v42, 24, v40
	v_cmp_ne_u32_e32 vcc, s9, v42
	v_mov_b32_e32 v58, 0xffff8000
	s_and_saveexec_b64 s[14:15], vcc
	s_cbranch_execz .LBB933_478
; %bb.475:                              ;   in Loop: Header=BB933_215 Depth=1
	v_bfe_u32 v40, v40, 24, 7
	v_cmp_ne_u32_e32 vcc, s21, v40
	v_mov_b32_e32 v58, 0x7f80
	s_and_saveexec_b64 s[16:17], vcc
	s_cbranch_execz .LBB933_477
; %bb.476:                              ;   in Loop: Header=BB933_215 Depth=1
	v_and_b32_e32 v51, 7, v42
	v_ffbh_u32_e32 v58, v51
	v_min_u32_e32 v61, 32, v58
	v_subrev_u32_e32 v58, 28, v61
	v_lshlrev_b64 v[58:59], v58, v[42:43]
	v_lshrrev_b32_e32 v60, 3, v40
	v_sub_u32_e32 v59, 29, v61
	v_and_b32_e32 v58, 7, v58
	v_cmp_gt_u32_e32 vcc, 8, v40
	v_cndmask_b32_e32 v40, v60, v59, vcc
	v_cndmask_b32_e32 v51, v51, v58, vcc
	v_lshlrev_b32_e32 v42, 24, v42
	v_lshlrev_b32_e32 v51, 20, v51
	v_and_b32_e32 v42, 0x80000000, v42
	v_lshl_add_u32 v40, v40, 23, v55
	v_or3_b32 v40, v42, v40, v51
	v_lshrrev_b32_e32 v58, 16, v40
.LBB933_477:                            ;   in Loop: Header=BB933_215 Depth=1
	s_or_b64 exec, exec, s[16:17]
.LBB933_478:                            ;   in Loop: Header=BB933_215 Depth=1
	s_or_b64 exec, exec, s[14:15]
.LBB933_479:                            ;   in Loop: Header=BB933_215 Depth=1
	s_or_b64 exec, exec, s[12:13]
	s_waitcnt vmcnt(0)
	v_cmp_ne_u16_sdwa s[14:15], v38, v54 src0_sel:BYTE_0 src1_sel:DWORD
	s_and_saveexec_b64 s[12:13], s[14:15]
	s_cbranch_execz .LBB933_485
; %bb.480:                              ;   in Loop: Header=BB933_215 Depth=1
	v_cmp_ne_u16_sdwa s[16:17], v38, s9 src0_sel:BYTE_0 src1_sel:DWORD
	v_mov_b32_e32 v57, 0xffff8000
	s_and_saveexec_b64 s[14:15], s[16:17]
	s_cbranch_execz .LBB933_484
; %bb.481:                              ;   in Loop: Header=BB933_215 Depth=1
	v_and_b32_e32 v40, 0x7f, v38
	v_cmp_ne_u32_e32 vcc, s21, v40
	v_mov_b32_e32 v57, 0x7f80
	s_and_saveexec_b64 s[16:17], vcc
	s_cbranch_execz .LBB933_483
; %bb.482:                              ;   in Loop: Header=BB933_215 Depth=1
	v_and_b32_e32 v42, 7, v38
	v_ffbh_u32_e32 v57, v42
	v_min_u32_e32 v57, 32, v57
	v_subrev_u32_e32 v59, 28, v57
	v_lshlrev_b64 v[60:61], v59, v[38:39]
	v_lshrrev_b32_e32 v51, 3, v40
	v_sub_u32_e32 v57, 29, v57
	v_and_b32_e32 v59, 7, v60
	v_cmp_gt_u32_e32 vcc, 8, v40
	v_cndmask_b32_e32 v40, v51, v57, vcc
	v_cndmask_b32_e32 v42, v42, v59, vcc
	v_lshlrev_b32_e32 v51, 24, v38
	v_lshlrev_b32_e32 v42, 20, v42
	v_and_b32_e32 v51, 0x80000000, v51
	v_lshl_add_u32 v40, v40, 23, v55
	v_or3_b32 v40, v51, v40, v42
	v_lshrrev_b32_e32 v57, 16, v40
.LBB933_483:                            ;   in Loop: Header=BB933_215 Depth=1
	s_or_b64 exec, exec, s[16:17]
.LBB933_484:                            ;   in Loop: Header=BB933_215 Depth=1
	s_or_b64 exec, exec, s[14:15]
.LBB933_485:                            ;   in Loop: Header=BB933_215 Depth=1
	s_or_b64 exec, exec, s[12:13]
	v_lshrrev_b16_e32 v40, 8, v38
	v_cmp_ne_u16_e32 vcc, 0, v40
	v_mov_b32_e32 v60, 0
	v_mov_b32_e32 v59, 0
	s_and_saveexec_b64 s[12:13], vcc
	s_cbranch_execz .LBB933_491
; %bb.486:                              ;   in Loop: Header=BB933_215 Depth=1
	v_cmp_ne_u16_e32 vcc, s9, v40
	v_mov_b32_e32 v59, 0xffff8000
	s_and_saveexec_b64 s[14:15], vcc
	s_cbranch_execz .LBB933_490
; %bb.487:                              ;   in Loop: Header=BB933_215 Depth=1
	v_and_b32_e32 v42, 0x7f, v40
	v_cmp_ne_u32_e32 vcc, s21, v42
	v_mov_b32_e32 v59, 0x7f80
	s_and_saveexec_b64 s[16:17], vcc
	s_cbranch_execz .LBB933_489
; %bb.488:                              ;   in Loop: Header=BB933_215 Depth=1
	v_and_b32_e32 v51, 7, v40
	v_ffbh_u32_e32 v61, v51
	v_min_u32_e32 v61, 32, v61
	v_subrev_u32_e32 v62, 28, v61
	v_lshlrev_b64 v[62:63], v62, v[40:41]
	v_lshrrev_b32_e32 v59, 3, v42
	v_sub_u32_e32 v40, 29, v61
	v_and_b32_e32 v61, 7, v62
	v_cmp_gt_u32_e32 vcc, 8, v42
	v_cndmask_b32_e32 v40, v59, v40, vcc
	v_cndmask_b32_e32 v42, v51, v61, vcc
	v_lshlrev_b32_e32 v51, 16, v38
	v_lshlrev_b32_e32 v42, 20, v42
	v_and_b32_e32 v51, 0x80000000, v51
	v_lshl_add_u32 v40, v40, 23, v55
	v_or3_b32 v40, v51, v40, v42
	v_lshrrev_b32_e32 v59, 16, v40
.LBB933_489:                            ;   in Loop: Header=BB933_215 Depth=1
	s_or_b64 exec, exec, s[16:17]
.LBB933_490:                            ;   in Loop: Header=BB933_215 Depth=1
	s_or_b64 exec, exec, s[14:15]
.LBB933_491:                            ;   in Loop: Header=BB933_215 Depth=1
	s_or_b64 exec, exec, s[12:13]
	v_lshrrev_b32_e32 v40, 16, v38
	v_cmp_ne_u16_sdwa s[14:15], v40, v54 src0_sel:BYTE_0 src1_sel:DWORD
	s_and_saveexec_b64 s[12:13], s[14:15]
	s_cbranch_execz .LBB933_497
; %bb.492:                              ;   in Loop: Header=BB933_215 Depth=1
	v_cmp_ne_u16_sdwa s[16:17], v40, s9 src0_sel:BYTE_0 src1_sel:DWORD
	v_mov_b32_e32 v60, 0xffff8000
	s_and_saveexec_b64 s[14:15], s[16:17]
	s_cbranch_execz .LBB933_496
; %bb.493:                              ;   in Loop: Header=BB933_215 Depth=1
	v_bfe_u32 v42, v38, 16, 7
	v_cmp_ne_u32_e32 vcc, s21, v42
	v_mov_b32_e32 v60, 0x7f80
	s_and_saveexec_b64 s[16:17], vcc
	s_cbranch_execz .LBB933_495
; %bb.494:                              ;   in Loop: Header=BB933_215 Depth=1
	v_and_b32_e32 v51, 7, v40
	v_ffbh_u32_e32 v60, v51
	v_min_u32_e32 v63, 32, v60
	v_subrev_u32_e32 v60, 28, v63
	v_lshlrev_b64 v[60:61], v60, v[40:41]
	v_lshrrev_b32_e32 v62, 3, v42
	v_sub_u32_e32 v61, 29, v63
	v_and_b32_e32 v60, 7, v60
	v_cmp_gt_u32_e32 vcc, 8, v42
	v_cndmask_b32_e32 v42, v62, v61, vcc
	v_cndmask_b32_e32 v51, v51, v60, vcc
	v_lshlrev_b32_e32 v40, 24, v40
	v_lshlrev_b32_e32 v51, 20, v51
	v_and_b32_e32 v40, 0x80000000, v40
	v_lshl_add_u32 v42, v42, 23, v55
	v_or3_b32 v40, v40, v42, v51
	v_lshrrev_b32_e32 v60, 16, v40
.LBB933_495:                            ;   in Loop: Header=BB933_215 Depth=1
	s_or_b64 exec, exec, s[16:17]
.LBB933_496:                            ;   in Loop: Header=BB933_215 Depth=1
	s_or_b64 exec, exec, s[14:15]
.LBB933_497:                            ;   in Loop: Header=BB933_215 Depth=1
	s_or_b64 exec, exec, s[12:13]
	v_cmp_lt_u32_e32 vcc, s22, v38
	v_mov_b32_e32 v51, 0
	v_mov_b32_e32 v61, 0
	s_and_saveexec_b64 s[12:13], vcc
	s_cbranch_execz .LBB933_503
; %bb.498:                              ;   in Loop: Header=BB933_215 Depth=1
	v_lshrrev_b32_e32 v40, 24, v38
	v_cmp_ne_u32_e32 vcc, s9, v40
	v_mov_b32_e32 v61, 0xffff8000
	s_and_saveexec_b64 s[14:15], vcc
	s_cbranch_execz .LBB933_502
; %bb.499:                              ;   in Loop: Header=BB933_215 Depth=1
	v_bfe_u32 v38, v38, 24, 7
	v_cmp_ne_u32_e32 vcc, s21, v38
	v_mov_b32_e32 v61, 0x7f80
	s_and_saveexec_b64 s[16:17], vcc
	s_cbranch_execz .LBB933_501
; %bb.500:                              ;   in Loop: Header=BB933_215 Depth=1
	v_and_b32_e32 v42, 7, v40
	v_ffbh_u32_e32 v62, v42
	v_min_u32_e32 v64, 32, v62
	v_subrev_u32_e32 v62, 28, v64
	v_lshlrev_b64 v[62:63], v62, v[40:41]
	v_lshrrev_b32_e32 v61, 3, v38
	v_sub_u32_e32 v63, 29, v64
	v_and_b32_e32 v62, 7, v62
	v_cmp_gt_u32_e32 vcc, 8, v38
	v_cndmask_b32_e32 v38, v61, v63, vcc
	v_cndmask_b32_e32 v42, v42, v62, vcc
	v_lshlrev_b32_e32 v40, 24, v40
	v_lshlrev_b32_e32 v42, 20, v42
	v_and_b32_e32 v40, 0x80000000, v40
	v_lshl_add_u32 v38, v38, 23, v55
	v_or3_b32 v38, v40, v38, v42
	v_lshrrev_b32_e32 v61, 16, v38
.LBB933_501:                            ;   in Loop: Header=BB933_215 Depth=1
	s_or_b64 exec, exec, s[16:17]
.LBB933_502:                            ;   in Loop: Header=BB933_215 Depth=1
	s_or_b64 exec, exec, s[14:15]
.LBB933_503:                            ;   in Loop: Header=BB933_215 Depth=1
	s_or_b64 exec, exec, s[12:13]
	v_perm_b32 v62, v44, v46, s23
	buffer_load_dword v44, v50, s[0:3], 0 offen
	buffer_load_dword v42, v50, s[0:3], 0 offen offset:4
	buffer_load_dword v40, v50, s[0:3], 0 offen offset:8
	;; [unrolled: 1-line block ×3, first 2 shown]
	v_perm_b32 v63, v58, v56, s23
	v_perm_b32 v61, v61, v60, s23
	;; [unrolled: 1-line block ×3, first 2 shown]
	v_mfma_f32_16x16x16bf16_1k v[34:37], v[62:63], v[22:23], v[34:37]
	s_waitcnt vmcnt(3)
	v_cmp_ne_u16_sdwa s[14:15], v44, v54 src0_sel:BYTE_0 src1_sel:DWORD
	v_mfma_f32_16x16x16bf16_1k v[34:37], v[60:61], v[24:25], v[34:37]
	s_and_saveexec_b64 s[12:13], s[14:15]
	s_cbranch_execz .LBB933_509
; %bb.504:                              ;   in Loop: Header=BB933_215 Depth=1
	v_cmp_ne_u16_sdwa s[16:17], v44, s9 src0_sel:BYTE_0 src1_sel:DWORD
	v_mov_b32_e32 v51, 0xffff8000
	s_and_saveexec_b64 s[14:15], s[16:17]
	s_cbranch_execz .LBB933_508
; %bb.505:                              ;   in Loop: Header=BB933_215 Depth=1
	v_and_b32_e32 v46, 0x7f, v44
	v_cmp_ne_u32_e32 vcc, s21, v46
	v_mov_b32_e32 v51, 0x7f80
	s_and_saveexec_b64 s[16:17], vcc
	s_cbranch_execz .LBB933_507
; %bb.506:                              ;   in Loop: Header=BB933_215 Depth=1
	v_and_b32_e32 v56, 7, v44
	v_ffbh_u32_e32 v50, v56
	v_min_u32_e32 v58, 32, v50
	v_subrev_u32_e32 v50, 28, v58
	v_lshlrev_b64 v[50:51], v50, v[44:45]
	v_lshrrev_b32_e32 v57, 3, v46
	v_sub_u32_e32 v51, 29, v58
	v_and_b32_e32 v50, 7, v50
	v_cmp_gt_u32_e32 vcc, 8, v46
	v_cndmask_b32_e32 v46, v57, v51, vcc
	v_cndmask_b32_e32 v50, v56, v50, vcc
	v_lshlrev_b32_e32 v51, 24, v44
	v_lshlrev_b32_e32 v50, 20, v50
	v_and_b32_e32 v51, 0x80000000, v51
	v_lshl_add_u32 v46, v46, 23, v55
	v_or3_b32 v46, v51, v46, v50
	v_lshrrev_b32_e32 v51, 16, v46
.LBB933_507:                            ;   in Loop: Header=BB933_215 Depth=1
	s_or_b64 exec, exec, s[16:17]
.LBB933_508:                            ;   in Loop: Header=BB933_215 Depth=1
	s_or_b64 exec, exec, s[14:15]
.LBB933_509:                            ;   in Loop: Header=BB933_215 Depth=1
	s_or_b64 exec, exec, s[12:13]
	v_lshrrev_b16_e32 v46, 8, v44
	v_cmp_ne_u16_e32 vcc, 0, v46
	v_mov_b32_e32 v56, 0
	v_mov_b32_e32 v50, 0
	s_and_saveexec_b64 s[12:13], vcc
	s_cbranch_execz .LBB933_515
; %bb.510:                              ;   in Loop: Header=BB933_215 Depth=1
	v_cmp_ne_u16_e32 vcc, s9, v46
	v_mov_b32_e32 v50, 0xffff8000
	s_and_saveexec_b64 s[14:15], vcc
	s_cbranch_execz .LBB933_514
; %bb.511:                              ;   in Loop: Header=BB933_215 Depth=1
	v_and_b32_e32 v57, 0x7f, v46
	v_cmp_ne_u32_e32 vcc, s21, v57
	v_mov_b32_e32 v50, 0x7f80
	s_and_saveexec_b64 s[16:17], vcc
	s_cbranch_execz .LBB933_513
; %bb.512:                              ;   in Loop: Header=BB933_215 Depth=1
	v_and_b32_e32 v50, 7, v46
	v_ffbh_u32_e32 v58, v50
	v_min_u32_e32 v61, 32, v58
	v_subrev_u32_e32 v58, 28, v61
	v_lshlrev_b64 v[58:59], v58, v[46:47]
	v_lshrrev_b32_e32 v60, 3, v57
	v_sub_u32_e32 v46, 29, v61
	v_and_b32_e32 v58, 7, v58
	v_cmp_gt_u32_e32 vcc, 8, v57
	v_cndmask_b32_e32 v46, v60, v46, vcc
	v_cndmask_b32_e32 v50, v50, v58, vcc
	v_lshlrev_b32_e32 v57, 16, v44
	v_lshlrev_b32_e32 v50, 20, v50
	v_and_b32_e32 v57, 0x80000000, v57
	v_lshl_add_u32 v46, v46, 23, v55
	v_or3_b32 v46, v57, v46, v50
	v_lshrrev_b32_e32 v50, 16, v46
.LBB933_513:                            ;   in Loop: Header=BB933_215 Depth=1
	s_or_b64 exec, exec, s[16:17]
.LBB933_514:                            ;   in Loop: Header=BB933_215 Depth=1
	s_or_b64 exec, exec, s[14:15]
.LBB933_515:                            ;   in Loop: Header=BB933_215 Depth=1
	s_or_b64 exec, exec, s[12:13]
	v_lshrrev_b32_e32 v46, 16, v44
	v_cmp_ne_u16_sdwa s[14:15], v46, v54 src0_sel:BYTE_0 src1_sel:DWORD
	s_and_saveexec_b64 s[12:13], s[14:15]
	s_cbranch_execz .LBB933_521
; %bb.516:                              ;   in Loop: Header=BB933_215 Depth=1
	v_cmp_ne_u16_sdwa s[16:17], v46, s9 src0_sel:BYTE_0 src1_sel:DWORD
	v_mov_b32_e32 v56, 0xffff8000
	s_and_saveexec_b64 s[14:15], s[16:17]
	s_cbranch_execz .LBB933_520
; %bb.517:                              ;   in Loop: Header=BB933_215 Depth=1
	v_bfe_u32 v57, v44, 16, 7
	v_cmp_ne_u32_e32 vcc, s21, v57
	v_mov_b32_e32 v56, 0x7f80
	s_and_saveexec_b64 s[16:17], vcc
	s_cbranch_execz .LBB933_519
; %bb.518:                              ;   in Loop: Header=BB933_215 Depth=1
	v_and_b32_e32 v56, 7, v46
	v_ffbh_u32_e32 v58, v56
	v_min_u32_e32 v61, 32, v58
	v_subrev_u32_e32 v58, 28, v61
	v_lshlrev_b64 v[58:59], v58, v[46:47]
	v_lshrrev_b32_e32 v60, 3, v57
	v_sub_u32_e32 v59, 29, v61
	v_and_b32_e32 v58, 7, v58
	v_cmp_gt_u32_e32 vcc, 8, v57
	v_cndmask_b32_e32 v57, v60, v59, vcc
	v_cndmask_b32_e32 v56, v56, v58, vcc
	v_lshlrev_b32_e32 v46, 24, v46
	v_lshlrev_b32_e32 v56, 20, v56
	v_and_b32_e32 v46, 0x80000000, v46
	v_lshl_add_u32 v57, v57, 23, v55
	v_or3_b32 v46, v46, v57, v56
	v_lshrrev_b32_e32 v56, 16, v46
.LBB933_519:                            ;   in Loop: Header=BB933_215 Depth=1
	s_or_b64 exec, exec, s[16:17]
.LBB933_520:                            ;   in Loop: Header=BB933_215 Depth=1
	s_or_b64 exec, exec, s[14:15]
.LBB933_521:                            ;   in Loop: Header=BB933_215 Depth=1
	s_or_b64 exec, exec, s[12:13]
	v_cmp_lt_u32_e32 vcc, s22, v44
	v_mov_b32_e32 v57, 0
	v_mov_b32_e32 v58, 0
	s_and_saveexec_b64 s[12:13], vcc
	s_cbranch_execz .LBB933_527
; %bb.522:                              ;   in Loop: Header=BB933_215 Depth=1
	v_lshrrev_b32_e32 v46, 24, v44
	v_cmp_ne_u32_e32 vcc, s9, v46
	v_mov_b32_e32 v58, 0xffff8000
	s_and_saveexec_b64 s[14:15], vcc
	s_cbranch_execz .LBB933_526
; %bb.523:                              ;   in Loop: Header=BB933_215 Depth=1
	v_bfe_u32 v44, v44, 24, 7
	v_cmp_ne_u32_e32 vcc, s21, v44
	v_mov_b32_e32 v58, 0x7f80
	s_and_saveexec_b64 s[16:17], vcc
	s_cbranch_execz .LBB933_525
; %bb.524:                              ;   in Loop: Header=BB933_215 Depth=1
	v_and_b32_e32 v60, 7, v46
	v_ffbh_u32_e32 v58, v60
	v_min_u32_e32 v62, 32, v58
	v_subrev_u32_e32 v58, 28, v62
	v_lshlrev_b64 v[58:59], v58, v[46:47]
	v_lshrrev_b32_e32 v61, 3, v44
	v_sub_u32_e32 v59, 29, v62
	v_and_b32_e32 v58, 7, v58
	v_cmp_gt_u32_e32 vcc, 8, v44
	v_cndmask_b32_e32 v44, v61, v59, vcc
	v_cndmask_b32_e32 v58, v60, v58, vcc
	v_lshlrev_b32_e32 v46, 24, v46
	v_lshlrev_b32_e32 v58, 20, v58
	v_and_b32_e32 v46, 0x80000000, v46
	v_lshl_add_u32 v44, v44, 23, v55
	v_or3_b32 v44, v46, v44, v58
	v_lshrrev_b32_e32 v58, 16, v44
.LBB933_525:                            ;   in Loop: Header=BB933_215 Depth=1
	s_or_b64 exec, exec, s[16:17]
.LBB933_526:                            ;   in Loop: Header=BB933_215 Depth=1
	s_or_b64 exec, exec, s[14:15]
.LBB933_527:                            ;   in Loop: Header=BB933_215 Depth=1
	s_or_b64 exec, exec, s[12:13]
	s_waitcnt vmcnt(2)
	v_cmp_ne_u16_sdwa s[14:15], v42, v54 src0_sel:BYTE_0 src1_sel:DWORD
	s_and_saveexec_b64 s[12:13], s[14:15]
	s_cbranch_execz .LBB933_533
; %bb.528:                              ;   in Loop: Header=BB933_215 Depth=1
	v_cmp_ne_u16_sdwa s[16:17], v42, s9 src0_sel:BYTE_0 src1_sel:DWORD
	v_mov_b32_e32 v57, 0xffff8000
	s_and_saveexec_b64 s[14:15], s[16:17]
	s_cbranch_execz .LBB933_532
; %bb.529:                              ;   in Loop: Header=BB933_215 Depth=1
	v_and_b32_e32 v44, 0x7f, v42
	v_cmp_ne_u32_e32 vcc, s21, v44
	v_mov_b32_e32 v57, 0x7f80
	s_and_saveexec_b64 s[16:17], vcc
	s_cbranch_execz .LBB933_531
; %bb.530:                              ;   in Loop: Header=BB933_215 Depth=1
	v_and_b32_e32 v46, 7, v42
	v_ffbh_u32_e32 v59, v46
	v_min_u32_e32 v59, 32, v59
	v_subrev_u32_e32 v60, 28, v59
	v_lshlrev_b64 v[60:61], v60, v[42:43]
	v_lshrrev_b32_e32 v57, 3, v44
	v_sub_u32_e32 v59, 29, v59
	v_and_b32_e32 v60, 7, v60
	v_cmp_gt_u32_e32 vcc, 8, v44
	v_cndmask_b32_e32 v44, v57, v59, vcc
	v_cndmask_b32_e32 v46, v46, v60, vcc
	v_lshlrev_b32_e32 v57, 24, v42
	v_lshlrev_b32_e32 v46, 20, v46
	v_and_b32_e32 v57, 0x80000000, v57
	v_lshl_add_u32 v44, v44, 23, v55
	v_or3_b32 v44, v57, v44, v46
	v_lshrrev_b32_e32 v57, 16, v44
.LBB933_531:                            ;   in Loop: Header=BB933_215 Depth=1
	s_or_b64 exec, exec, s[16:17]
.LBB933_532:                            ;   in Loop: Header=BB933_215 Depth=1
	s_or_b64 exec, exec, s[14:15]
.LBB933_533:                            ;   in Loop: Header=BB933_215 Depth=1
	s_or_b64 exec, exec, s[12:13]
	v_lshrrev_b16_e32 v44, 8, v42
	v_cmp_ne_u16_e32 vcc, 0, v44
	v_mov_b32_e32 v60, 0
	v_mov_b32_e32 v59, 0
	s_and_saveexec_b64 s[12:13], vcc
	s_cbranch_execz .LBB933_539
; %bb.534:                              ;   in Loop: Header=BB933_215 Depth=1
	v_cmp_ne_u16_e32 vcc, s9, v44
	v_mov_b32_e32 v59, 0xffff8000
	s_and_saveexec_b64 s[14:15], vcc
	s_cbranch_execz .LBB933_538
; %bb.535:                              ;   in Loop: Header=BB933_215 Depth=1
	v_and_b32_e32 v46, 0x7f, v44
	v_cmp_ne_u32_e32 vcc, s21, v46
	v_mov_b32_e32 v59, 0x7f80
	s_and_saveexec_b64 s[16:17], vcc
	s_cbranch_execz .LBB933_537
; %bb.536:                              ;   in Loop: Header=BB933_215 Depth=1
	v_and_b32_e32 v59, 7, v44
	v_ffbh_u32_e32 v62, v59
	v_min_u32_e32 v64, 32, v62
	v_subrev_u32_e32 v62, 28, v64
	v_lshlrev_b64 v[62:63], v62, v[44:45]
	v_lshrrev_b32_e32 v61, 3, v46
	v_sub_u32_e32 v44, 29, v64
	v_and_b32_e32 v62, 7, v62
	v_cmp_gt_u32_e32 vcc, 8, v46
	v_cndmask_b32_e32 v44, v61, v44, vcc
	v_cndmask_b32_e32 v46, v59, v62, vcc
	v_lshlrev_b32_e32 v59, 16, v42
	v_lshlrev_b32_e32 v46, 20, v46
	v_and_b32_e32 v59, 0x80000000, v59
	v_lshl_add_u32 v44, v44, 23, v55
	v_or3_b32 v44, v59, v44, v46
	v_lshrrev_b32_e32 v59, 16, v44
.LBB933_537:                            ;   in Loop: Header=BB933_215 Depth=1
	s_or_b64 exec, exec, s[16:17]
.LBB933_538:                            ;   in Loop: Header=BB933_215 Depth=1
	s_or_b64 exec, exec, s[14:15]
.LBB933_539:                            ;   in Loop: Header=BB933_215 Depth=1
	s_or_b64 exec, exec, s[12:13]
	v_lshrrev_b32_e32 v44, 16, v42
	v_cmp_ne_u16_sdwa s[14:15], v44, v54 src0_sel:BYTE_0 src1_sel:DWORD
	s_and_saveexec_b64 s[12:13], s[14:15]
	s_cbranch_execz .LBB933_545
; %bb.540:                              ;   in Loop: Header=BB933_215 Depth=1
	v_cmp_ne_u16_sdwa s[16:17], v44, s9 src0_sel:BYTE_0 src1_sel:DWORD
	v_mov_b32_e32 v60, 0xffff8000
	s_and_saveexec_b64 s[14:15], s[16:17]
	s_cbranch_execz .LBB933_544
; %bb.541:                              ;   in Loop: Header=BB933_215 Depth=1
	v_bfe_u32 v46, v42, 16, 7
	v_cmp_ne_u32_e32 vcc, s21, v46
	v_mov_b32_e32 v60, 0x7f80
	s_and_saveexec_b64 s[16:17], vcc
	s_cbranch_execz .LBB933_543
; %bb.542:                              ;   in Loop: Header=BB933_215 Depth=1
	v_and_b32_e32 v62, 7, v44
	v_ffbh_u32_e32 v60, v62
	v_min_u32_e32 v64, 32, v60
	v_subrev_u32_e32 v60, 28, v64
	v_lshlrev_b64 v[60:61], v60, v[44:45]
	v_lshrrev_b32_e32 v63, 3, v46
	v_sub_u32_e32 v61, 29, v64
	v_and_b32_e32 v60, 7, v60
	v_cmp_gt_u32_e32 vcc, 8, v46
	v_cndmask_b32_e32 v46, v63, v61, vcc
	v_cndmask_b32_e32 v60, v62, v60, vcc
	v_lshlrev_b32_e32 v44, 24, v44
	v_lshlrev_b32_e32 v60, 20, v60
	v_and_b32_e32 v44, 0x80000000, v44
	v_lshl_add_u32 v46, v46, 23, v55
	v_or3_b32 v44, v44, v46, v60
	v_lshrrev_b32_e32 v60, 16, v44
.LBB933_543:                            ;   in Loop: Header=BB933_215 Depth=1
	s_or_b64 exec, exec, s[16:17]
.LBB933_544:                            ;   in Loop: Header=BB933_215 Depth=1
	s_or_b64 exec, exec, s[14:15]
.LBB933_545:                            ;   in Loop: Header=BB933_215 Depth=1
	s_or_b64 exec, exec, s[12:13]
	v_cmp_lt_u32_e32 vcc, s22, v42
	v_mov_b32_e32 v46, 0
	v_mov_b32_e32 v61, 0
	s_and_saveexec_b64 s[12:13], vcc
	s_cbranch_execz .LBB933_551
; %bb.546:                              ;   in Loop: Header=BB933_215 Depth=1
	v_lshrrev_b32_e32 v44, 24, v42
	v_cmp_ne_u32_e32 vcc, s9, v44
	v_mov_b32_e32 v61, 0xffff8000
	s_and_saveexec_b64 s[14:15], vcc
	s_cbranch_execz .LBB933_550
; %bb.547:                              ;   in Loop: Header=BB933_215 Depth=1
	v_bfe_u32 v42, v42, 24, 7
	v_cmp_ne_u32_e32 vcc, s21, v42
	v_mov_b32_e32 v61, 0x7f80
	s_and_saveexec_b64 s[16:17], vcc
	s_cbranch_execz .LBB933_549
; %bb.548:                              ;   in Loop: Header=BB933_215 Depth=1
	v_and_b32_e32 v61, 7, v44
	v_ffbh_u32_e32 v62, v61
	v_min_u32_e32 v65, 32, v62
	v_subrev_u32_e32 v62, 28, v65
	v_lshlrev_b64 v[62:63], v62, v[44:45]
	v_lshrrev_b32_e32 v64, 3, v42
	v_sub_u32_e32 v63, 29, v65
	v_and_b32_e32 v62, 7, v62
	v_cmp_gt_u32_e32 vcc, 8, v42
	v_cndmask_b32_e32 v42, v64, v63, vcc
	v_cndmask_b32_e32 v61, v61, v62, vcc
	v_lshlrev_b32_e32 v44, 24, v44
	v_lshlrev_b32_e32 v61, 20, v61
	v_and_b32_e32 v44, 0x80000000, v44
	v_lshl_add_u32 v42, v42, 23, v55
	v_or3_b32 v42, v44, v42, v61
	v_lshrrev_b32_e32 v61, 16, v42
.LBB933_549:                            ;   in Loop: Header=BB933_215 Depth=1
	s_or_b64 exec, exec, s[16:17]
.LBB933_550:                            ;   in Loop: Header=BB933_215 Depth=1
	s_or_b64 exec, exec, s[14:15]
.LBB933_551:                            ;   in Loop: Header=BB933_215 Depth=1
	s_or_b64 exec, exec, s[12:13]
	v_perm_b32 v63, v58, v56, s23
	v_perm_b32 v62, v50, v51, s23
	;; [unrolled: 1-line block ×4, first 2 shown]
	s_waitcnt vmcnt(1)
	v_cmp_ne_u16_sdwa s[14:15], v40, v54 src0_sel:BYTE_0 src1_sel:DWORD
	v_mfma_f32_16x16x16bf16_1k v[34:37], v[62:63], v[26:27], v[34:37]
	v_mfma_f32_16x16x16bf16_1k v[34:37], v[50:51], v[28:29], v[34:37]
	s_and_saveexec_b64 s[12:13], s[14:15]
	s_cbranch_execz .LBB933_557
; %bb.552:                              ;   in Loop: Header=BB933_215 Depth=1
	v_cmp_ne_u16_sdwa s[16:17], v40, s9 src0_sel:BYTE_0 src1_sel:DWORD
	v_mov_b32_e32 v46, 0xffff8000
	s_and_saveexec_b64 s[14:15], s[16:17]
	s_cbranch_execz .LBB933_556
; %bb.553:                              ;   in Loop: Header=BB933_215 Depth=1
	v_and_b32_e32 v42, 0x7f, v40
	v_cmp_ne_u32_e32 vcc, s21, v42
	v_mov_b32_e32 v46, 0x7f80
	s_and_saveexec_b64 s[16:17], vcc
	s_cbranch_execz .LBB933_555
; %bb.554:                              ;   in Loop: Header=BB933_215 Depth=1
	v_and_b32_e32 v44, 7, v40
	v_ffbh_u32_e32 v50, v44
	v_min_u32_e32 v56, 32, v50
	v_subrev_u32_e32 v50, 28, v56
	v_lshlrev_b64 v[50:51], v50, v[40:41]
	v_lshrrev_b32_e32 v46, 3, v42
	v_sub_u32_e32 v51, 29, v56
	v_and_b32_e32 v50, 7, v50
	v_cmp_gt_u32_e32 vcc, 8, v42
	v_cndmask_b32_e32 v42, v46, v51, vcc
	v_cndmask_b32_e32 v44, v44, v50, vcc
	v_lshlrev_b32_e32 v46, 24, v40
	v_lshlrev_b32_e32 v44, 20, v44
	v_and_b32_e32 v46, 0x80000000, v46
	v_lshl_add_u32 v42, v42, 23, v55
	v_or3_b32 v42, v46, v42, v44
	v_lshrrev_b32_e32 v46, 16, v42
.LBB933_555:                            ;   in Loop: Header=BB933_215 Depth=1
	s_or_b64 exec, exec, s[16:17]
.LBB933_556:                            ;   in Loop: Header=BB933_215 Depth=1
	s_or_b64 exec, exec, s[14:15]
.LBB933_557:                            ;   in Loop: Header=BB933_215 Depth=1
	s_or_b64 exec, exec, s[12:13]
	v_lshrrev_b16_e32 v42, 8, v40
	v_cmp_ne_u16_e32 vcc, 0, v42
	v_mov_b32_e32 v50, 0
	v_mov_b32_e32 v44, 0
	s_and_saveexec_b64 s[12:13], vcc
	s_cbranch_execz .LBB933_563
; %bb.558:                              ;   in Loop: Header=BB933_215 Depth=1
	v_cmp_ne_u16_e32 vcc, s9, v42
	v_mov_b32_e32 v44, 0xffff8000
	s_and_saveexec_b64 s[14:15], vcc
	s_cbranch_execz .LBB933_562
; %bb.559:                              ;   in Loop: Header=BB933_215 Depth=1
	v_and_b32_e32 v51, 0x7f, v42
	v_cmp_ne_u32_e32 vcc, s21, v51
	v_mov_b32_e32 v44, 0x7f80
	s_and_saveexec_b64 s[16:17], vcc
	s_cbranch_execz .LBB933_561
; %bb.560:                              ;   in Loop: Header=BB933_215 Depth=1
	v_and_b32_e32 v44, 7, v42
	v_ffbh_u32_e32 v56, v44
	v_min_u32_e32 v59, 32, v56
	v_subrev_u32_e32 v56, 28, v59
	v_lshlrev_b64 v[56:57], v56, v[42:43]
	v_lshrrev_b32_e32 v58, 3, v51
	v_sub_u32_e32 v42, 29, v59
	v_and_b32_e32 v56, 7, v56
	v_cmp_gt_u32_e32 vcc, 8, v51
	v_cndmask_b32_e32 v42, v58, v42, vcc
	v_cndmask_b32_e32 v44, v44, v56, vcc
	v_lshlrev_b32_e32 v51, 16, v40
	v_lshlrev_b32_e32 v44, 20, v44
	v_and_b32_e32 v51, 0x80000000, v51
	v_lshl_add_u32 v42, v42, 23, v55
	v_or3_b32 v42, v51, v42, v44
	v_lshrrev_b32_e32 v44, 16, v42
.LBB933_561:                            ;   in Loop: Header=BB933_215 Depth=1
	s_or_b64 exec, exec, s[16:17]
.LBB933_562:                            ;   in Loop: Header=BB933_215 Depth=1
	s_or_b64 exec, exec, s[14:15]
.LBB933_563:                            ;   in Loop: Header=BB933_215 Depth=1
	s_or_b64 exec, exec, s[12:13]
	v_lshrrev_b32_e32 v42, 16, v40
	v_cmp_ne_u16_sdwa s[14:15], v42, v54 src0_sel:BYTE_0 src1_sel:DWORD
	s_and_saveexec_b64 s[12:13], s[14:15]
	s_cbranch_execz .LBB933_569
; %bb.564:                              ;   in Loop: Header=BB933_215 Depth=1
	v_cmp_ne_u16_sdwa s[16:17], v42, s9 src0_sel:BYTE_0 src1_sel:DWORD
	v_mov_b32_e32 v50, 0xffff8000
	s_and_saveexec_b64 s[14:15], s[16:17]
	s_cbranch_execz .LBB933_568
; %bb.565:                              ;   in Loop: Header=BB933_215 Depth=1
	v_bfe_u32 v51, v40, 16, 7
	v_cmp_ne_u32_e32 vcc, s21, v51
	v_mov_b32_e32 v50, 0x7f80
	s_and_saveexec_b64 s[16:17], vcc
	s_cbranch_execz .LBB933_567
; %bb.566:                              ;   in Loop: Header=BB933_215 Depth=1
	v_and_b32_e32 v50, 7, v42
	v_ffbh_u32_e32 v56, v50
	v_min_u32_e32 v59, 32, v56
	v_subrev_u32_e32 v56, 28, v59
	v_lshlrev_b64 v[56:57], v56, v[42:43]
	v_lshrrev_b32_e32 v58, 3, v51
	v_sub_u32_e32 v57, 29, v59
	v_and_b32_e32 v56, 7, v56
	v_cmp_gt_u32_e32 vcc, 8, v51
	v_cndmask_b32_e32 v51, v58, v57, vcc
	v_cndmask_b32_e32 v50, v50, v56, vcc
	v_lshlrev_b32_e32 v42, 24, v42
	v_lshlrev_b32_e32 v50, 20, v50
	v_and_b32_e32 v42, 0x80000000, v42
	v_lshl_add_u32 v51, v51, 23, v55
	v_or3_b32 v42, v42, v51, v50
	v_lshrrev_b32_e32 v50, 16, v42
.LBB933_567:                            ;   in Loop: Header=BB933_215 Depth=1
	s_or_b64 exec, exec, s[16:17]
.LBB933_568:                            ;   in Loop: Header=BB933_215 Depth=1
	s_or_b64 exec, exec, s[14:15]
.LBB933_569:                            ;   in Loop: Header=BB933_215 Depth=1
	s_or_b64 exec, exec, s[12:13]
	v_cmp_lt_u32_e32 vcc, s22, v40
	v_mov_b32_e32 v51, 0
	v_mov_b32_e32 v56, 0
	s_and_saveexec_b64 s[12:13], vcc
	s_cbranch_execz .LBB933_575
; %bb.570:                              ;   in Loop: Header=BB933_215 Depth=1
	v_lshrrev_b32_e32 v42, 24, v40
	v_cmp_ne_u32_e32 vcc, s9, v42
	v_mov_b32_e32 v56, 0xffff8000
	s_and_saveexec_b64 s[14:15], vcc
	s_cbranch_execz .LBB933_574
; %bb.571:                              ;   in Loop: Header=BB933_215 Depth=1
	v_bfe_u32 v40, v40, 24, 7
	v_cmp_ne_u32_e32 vcc, s21, v40
	v_mov_b32_e32 v56, 0x7f80
	s_and_saveexec_b64 s[16:17], vcc
	s_cbranch_execz .LBB933_573
; %bb.572:                              ;   in Loop: Header=BB933_215 Depth=1
	v_and_b32_e32 v58, 7, v42
	v_ffbh_u32_e32 v56, v58
	v_min_u32_e32 v60, 32, v56
	v_subrev_u32_e32 v56, 28, v60
	v_lshlrev_b64 v[56:57], v56, v[42:43]
	v_lshrrev_b32_e32 v59, 3, v40
	v_sub_u32_e32 v57, 29, v60
	v_and_b32_e32 v56, 7, v56
	v_cmp_gt_u32_e32 vcc, 8, v40
	v_cndmask_b32_e32 v40, v59, v57, vcc
	v_cndmask_b32_e32 v56, v58, v56, vcc
	v_lshlrev_b32_e32 v42, 24, v42
	v_lshlrev_b32_e32 v56, 20, v56
	v_and_b32_e32 v42, 0x80000000, v42
	v_lshl_add_u32 v40, v40, 23, v55
	v_or3_b32 v40, v42, v40, v56
	v_lshrrev_b32_e32 v56, 16, v40
.LBB933_573:                            ;   in Loop: Header=BB933_215 Depth=1
	s_or_b64 exec, exec, s[16:17]
.LBB933_574:                            ;   in Loop: Header=BB933_215 Depth=1
	s_or_b64 exec, exec, s[14:15]
.LBB933_575:                            ;   in Loop: Header=BB933_215 Depth=1
	s_or_b64 exec, exec, s[12:13]
	s_waitcnt vmcnt(0)
	v_cmp_ne_u16_sdwa s[14:15], v38, v54 src0_sel:BYTE_0 src1_sel:DWORD
	s_and_saveexec_b64 s[12:13], s[14:15]
	s_cbranch_execz .LBB933_581
; %bb.576:                              ;   in Loop: Header=BB933_215 Depth=1
	v_cmp_ne_u16_sdwa s[16:17], v38, s9 src0_sel:BYTE_0 src1_sel:DWORD
	v_mov_b32_e32 v51, 0xffff8000
	s_and_saveexec_b64 s[14:15], s[16:17]
	s_cbranch_execz .LBB933_580
; %bb.577:                              ;   in Loop: Header=BB933_215 Depth=1
	v_and_b32_e32 v40, 0x7f, v38
	v_cmp_ne_u32_e32 vcc, s21, v40
	v_mov_b32_e32 v51, 0x7f80
	s_and_saveexec_b64 s[16:17], vcc
	s_cbranch_execz .LBB933_579
; %bb.578:                              ;   in Loop: Header=BB933_215 Depth=1
	v_and_b32_e32 v42, 7, v38
	v_ffbh_u32_e32 v57, v42
	v_min_u32_e32 v57, 32, v57
	v_subrev_u32_e32 v58, 28, v57
	v_lshlrev_b64 v[58:59], v58, v[38:39]
	v_lshrrev_b32_e32 v51, 3, v40
	v_sub_u32_e32 v57, 29, v57
	v_and_b32_e32 v58, 7, v58
	v_cmp_gt_u32_e32 vcc, 8, v40
	v_cndmask_b32_e32 v40, v51, v57, vcc
	v_cndmask_b32_e32 v42, v42, v58, vcc
	v_lshlrev_b32_e32 v51, 24, v38
	v_lshlrev_b32_e32 v42, 20, v42
	v_and_b32_e32 v51, 0x80000000, v51
	v_lshl_add_u32 v40, v40, 23, v55
	v_or3_b32 v40, v51, v40, v42
	v_lshrrev_b32_e32 v51, 16, v40
.LBB933_579:                            ;   in Loop: Header=BB933_215 Depth=1
	s_or_b64 exec, exec, s[16:17]
.LBB933_580:                            ;   in Loop: Header=BB933_215 Depth=1
	s_or_b64 exec, exec, s[14:15]
.LBB933_581:                            ;   in Loop: Header=BB933_215 Depth=1
	s_or_b64 exec, exec, s[12:13]
	v_lshrrev_b16_e32 v40, 8, v38
	v_cmp_ne_u16_e32 vcc, 0, v40
	v_mov_b32_e32 v57, 0
	v_mov_b32_e32 v42, 0
	s_and_saveexec_b64 s[12:13], vcc
	s_cbranch_execz .LBB933_587
; %bb.582:                              ;   in Loop: Header=BB933_215 Depth=1
	v_cmp_ne_u16_e32 vcc, s9, v40
	v_mov_b32_e32 v42, 0xffff8000
	s_and_saveexec_b64 s[14:15], vcc
	s_cbranch_execz .LBB933_586
; %bb.583:                              ;   in Loop: Header=BB933_215 Depth=1
	v_and_b32_e32 v58, 0x7f, v40
	v_cmp_ne_u32_e32 vcc, s21, v58
	v_mov_b32_e32 v42, 0x7f80
	s_and_saveexec_b64 s[16:17], vcc
	s_cbranch_execz .LBB933_585
; %bb.584:                              ;   in Loop: Header=BB933_215 Depth=1
	v_and_b32_e32 v42, 7, v40
	v_ffbh_u32_e32 v60, v42
	v_min_u32_e32 v62, 32, v60
	v_subrev_u32_e32 v60, 28, v62
	v_lshlrev_b64 v[60:61], v60, v[40:41]
	v_lshrrev_b32_e32 v59, 3, v58
	v_sub_u32_e32 v40, 29, v62
	v_and_b32_e32 v60, 7, v60
	v_cmp_gt_u32_e32 vcc, 8, v58
	v_cndmask_b32_e32 v40, v59, v40, vcc
	v_cndmask_b32_e32 v42, v42, v60, vcc
	v_lshlrev_b32_e32 v58, 16, v38
	v_lshlrev_b32_e32 v42, 20, v42
	v_and_b32_e32 v58, 0x80000000, v58
	v_lshl_add_u32 v40, v40, 23, v55
	v_or3_b32 v40, v58, v40, v42
	v_lshrrev_b32_e32 v42, 16, v40
.LBB933_585:                            ;   in Loop: Header=BB933_215 Depth=1
	s_or_b64 exec, exec, s[16:17]
.LBB933_586:                            ;   in Loop: Header=BB933_215 Depth=1
	s_or_b64 exec, exec, s[14:15]
.LBB933_587:                            ;   in Loop: Header=BB933_215 Depth=1
	s_or_b64 exec, exec, s[12:13]
	v_lshrrev_b32_e32 v40, 16, v38
	v_cmp_ne_u16_sdwa s[14:15], v40, v54 src0_sel:BYTE_0 src1_sel:DWORD
	s_and_saveexec_b64 s[12:13], s[14:15]
	s_cbranch_execz .LBB933_593
; %bb.588:                              ;   in Loop: Header=BB933_215 Depth=1
	v_cmp_ne_u16_sdwa s[16:17], v40, s9 src0_sel:BYTE_0 src1_sel:DWORD
	v_mov_b32_e32 v57, 0xffff8000
	s_and_saveexec_b64 s[14:15], s[16:17]
	s_cbranch_execz .LBB933_592
; %bb.589:                              ;   in Loop: Header=BB933_215 Depth=1
	v_bfe_u32 v58, v38, 16, 7
	v_cmp_ne_u32_e32 vcc, s21, v58
	v_mov_b32_e32 v57, 0x7f80
	s_and_saveexec_b64 s[16:17], vcc
	s_cbranch_execz .LBB933_591
; %bb.590:                              ;   in Loop: Header=BB933_215 Depth=1
	v_and_b32_e32 v57, 7, v40
	v_ffbh_u32_e32 v60, v57
	v_min_u32_e32 v62, 32, v60
	v_subrev_u32_e32 v60, 28, v62
	v_lshlrev_b64 v[60:61], v60, v[40:41]
	v_lshrrev_b32_e32 v59, 3, v58
	v_sub_u32_e32 v61, 29, v62
	v_and_b32_e32 v60, 7, v60
	v_cmp_gt_u32_e32 vcc, 8, v58
	v_cndmask_b32_e32 v58, v59, v61, vcc
	v_cndmask_b32_e32 v57, v57, v60, vcc
	v_lshlrev_b32_e32 v40, 24, v40
	v_lshlrev_b32_e32 v57, 20, v57
	v_and_b32_e32 v40, 0x80000000, v40
	v_lshl_add_u32 v58, v58, 23, v55
	v_or3_b32 v40, v40, v58, v57
	v_lshrrev_b32_e32 v57, 16, v40
.LBB933_591:                            ;   in Loop: Header=BB933_215 Depth=1
	s_or_b64 exec, exec, s[16:17]
.LBB933_592:                            ;   in Loop: Header=BB933_215 Depth=1
	s_or_b64 exec, exec, s[14:15]
.LBB933_593:                            ;   in Loop: Header=BB933_215 Depth=1
	s_or_b64 exec, exec, s[12:13]
	v_cmp_lt_u32_e32 vcc, s22, v38
	v_mov_b32_e32 v58, 0
	s_and_saveexec_b64 s[12:13], vcc
	s_cbranch_execz .LBB933_214
; %bb.594:                              ;   in Loop: Header=BB933_215 Depth=1
	v_lshrrev_b32_e32 v40, 24, v38
	v_cmp_ne_u32_e32 vcc, s9, v40
	v_mov_b32_e32 v58, 0xffff8000
	s_and_saveexec_b64 s[14:15], vcc
	s_cbranch_execz .LBB933_213
; %bb.595:                              ;   in Loop: Header=BB933_215 Depth=1
	v_bfe_u32 v38, v38, 24, 7
	v_cmp_ne_u32_e32 vcc, s21, v38
	v_mov_b32_e32 v58, 0x7f80
	s_and_saveexec_b64 s[16:17], vcc
	s_cbranch_execz .LBB933_212
; %bb.596:                              ;   in Loop: Header=BB933_215 Depth=1
	v_and_b32_e32 v60, 7, v40
	v_ffbh_u32_e32 v58, v60
	v_min_u32_e32 v62, 32, v58
	v_subrev_u32_e32 v58, 28, v62
	v_lshlrev_b64 v[58:59], v58, v[40:41]
	v_lshrrev_b32_e32 v61, 3, v38
	v_sub_u32_e32 v59, 29, v62
	v_and_b32_e32 v58, 7, v58
	v_cmp_gt_u32_e32 vcc, 8, v38
	v_cndmask_b32_e32 v38, v61, v59, vcc
	v_cndmask_b32_e32 v58, v60, v58, vcc
	v_lshlrev_b32_e32 v40, 24, v40
	v_lshlrev_b32_e32 v58, 20, v58
	v_and_b32_e32 v40, 0x80000000, v40
	v_lshl_add_u32 v38, v38, 23, v55
	v_or3_b32 v38, v40, v38, v58
	v_lshrrev_b32_e32 v58, 16, v38
	s_branch .LBB933_212
.LBB933_597:
	s_barrier
	buffer_load_dword v2, off, s[0:3], 0 offset:320
	buffer_load_dword v5, off, s[0:3], 0 offset:332
	;; [unrolled: 1-line block ×4, first 2 shown]
	v_cmp_gt_u32_e32 vcc, 64, v0
	s_waitcnt vmcnt(0)
	ds_write2st64_b64 v52, v[2:3], v[4:5] offset1:1
	s_waitcnt lgkmcnt(0)
	s_barrier
	s_and_saveexec_b64 s[4:5], vcc
	s_cbranch_execz .LBB933_599
; %bb.598:
	s_lshl_b32 s6, s48, 7
	s_mul_i32 s4, s18, s8
	s_mul_hi_u32 s5, s4, s6
	s_mul_i32 s4, s4, s6
	s_lshl_b64 s[4:5], s[4:5], 1
	s_add_u32 s7, s50, s4
	v_lshlrev_b32_e32 v4, 6, v41
	s_addc_u32 s8, s51, s5
	s_lshl_b32 s4, s26, 7
	s_mov_b32 s5, 0
	v_lshl_or_b32 v0, v0, 10, v4
	s_lshl_b64 s[4:5], s[4:5], 1
	v_lshlrev_b32_e32 v2, 5, v1
	v_and_b32_e32 v3, 16, v43
	v_and_b32_e32 v0, 0x1a00, v0
	s_add_u32 s4, s7, s4
	v_or3_b32 v0, v0, v2, v3
	s_addc_u32 s5, s8, s5
	ds_read_b128 v[2:5], v0
	ds_read_b128 v[6:9], v0 offset:128
	v_mov_b32_e32 v0, s5
	v_add_co_u32_e32 v10, vcc, s4, v39
	v_or_b32_e32 v12, s27, v1
	v_addc_co_u32_e32 v11, vcc, 0, v0, vcc
	v_mad_u64_u32 v[0:1], s[4:5], v12, s6, 0
	v_lshlrev_b64 v[0:1], 1, v[0:1]
	v_add_co_u32_e32 v0, vcc, v10, v0
	v_addc_co_u32_e32 v1, vcc, v11, v1, vcc
	s_waitcnt lgkmcnt(1)
	global_store_dwordx4 v[0:1], v[2:5], off
	v_or_b32_e32 v0, 4, v12
	v_mad_u64_u32 v[0:1], s[4:5], v0, s6, 0
	v_lshlrev_b64 v[0:1], 1, v[0:1]
	v_add_co_u32_e32 v0, vcc, v10, v0
	v_addc_co_u32_e32 v1, vcc, v11, v1, vcc
	s_waitcnt lgkmcnt(0)
	global_store_dwordx4 v[0:1], v[6:9], off
.LBB933_599:
	s_endpgm
	.section	.rodata,"a",@progbits
	.p2align	6, 0x0
	.amdhsa_kernel _Z39paged_attention_ll4mi_QKV_mfma16_kernelI14__hip_bfloat16hLN4vllm18Fp8KVCacheDataTypeE1ES0_Li32ELi128ELi256ELb1ELi8EL8MFMAType0EEvPKT_PKT0_S9_ifPKiSB_SB_iPKfiiiPfSE_PS4_PT2_iSD_SD_
		.amdhsa_group_segment_fixed_size 8192
		.amdhsa_private_segment_fixed_size 352
		.amdhsa_kernarg_size 400
		.amdhsa_user_sgpr_count 8
		.amdhsa_user_sgpr_private_segment_buffer 1
		.amdhsa_user_sgpr_dispatch_ptr 0
		.amdhsa_user_sgpr_queue_ptr 0
		.amdhsa_user_sgpr_kernarg_segment_ptr 1
		.amdhsa_user_sgpr_dispatch_id 0
		.amdhsa_user_sgpr_flat_scratch_init 1
		.amdhsa_user_sgpr_kernarg_preload_length 0
		.amdhsa_user_sgpr_kernarg_preload_offset 0
		.amdhsa_user_sgpr_private_segment_size 0
		.amdhsa_uses_dynamic_stack 0
		.amdhsa_system_sgpr_private_segment_wavefront_offset 1
		.amdhsa_system_sgpr_workgroup_id_x 1
		.amdhsa_system_sgpr_workgroup_id_y 1
		.amdhsa_system_sgpr_workgroup_id_z 1
		.amdhsa_system_sgpr_workgroup_info 0
		.amdhsa_system_vgpr_workitem_id 0
		.amdhsa_next_free_vgpr 80
		.amdhsa_next_free_sgpr 53
		.amdhsa_accum_offset 80
		.amdhsa_reserve_vcc 1
		.amdhsa_reserve_flat_scratch 0
		.amdhsa_float_round_mode_32 0
		.amdhsa_float_round_mode_16_64 0
		.amdhsa_float_denorm_mode_32 3
		.amdhsa_float_denorm_mode_16_64 3
		.amdhsa_dx10_clamp 1
		.amdhsa_ieee_mode 1
		.amdhsa_fp16_overflow 0
		.amdhsa_tg_split 0
		.amdhsa_exception_fp_ieee_invalid_op 0
		.amdhsa_exception_fp_denorm_src 0
		.amdhsa_exception_fp_ieee_div_zero 0
		.amdhsa_exception_fp_ieee_overflow 0
		.amdhsa_exception_fp_ieee_underflow 0
		.amdhsa_exception_fp_ieee_inexact 0
		.amdhsa_exception_int_div_zero 0
	.end_amdhsa_kernel
	.section	.text._Z39paged_attention_ll4mi_QKV_mfma16_kernelI14__hip_bfloat16hLN4vllm18Fp8KVCacheDataTypeE1ES0_Li32ELi128ELi256ELb1ELi8EL8MFMAType0EEvPKT_PKT0_S9_ifPKiSB_SB_iPKfiiiPfSE_PS4_PT2_iSD_SD_,"axG",@progbits,_Z39paged_attention_ll4mi_QKV_mfma16_kernelI14__hip_bfloat16hLN4vllm18Fp8KVCacheDataTypeE1ES0_Li32ELi128ELi256ELb1ELi8EL8MFMAType0EEvPKT_PKT0_S9_ifPKiSB_SB_iPKfiiiPfSE_PS4_PT2_iSD_SD_,comdat
.Lfunc_end933:
	.size	_Z39paged_attention_ll4mi_QKV_mfma16_kernelI14__hip_bfloat16hLN4vllm18Fp8KVCacheDataTypeE1ES0_Li32ELi128ELi256ELb1ELi8EL8MFMAType0EEvPKT_PKT0_S9_ifPKiSB_SB_iPKfiiiPfSE_PS4_PT2_iSD_SD_, .Lfunc_end933-_Z39paged_attention_ll4mi_QKV_mfma16_kernelI14__hip_bfloat16hLN4vllm18Fp8KVCacheDataTypeE1ES0_Li32ELi128ELi256ELb1ELi8EL8MFMAType0EEvPKT_PKT0_S9_ifPKiSB_SB_iPKfiiiPfSE_PS4_PT2_iSD_SD_
                                        ; -- End function
	.section	.AMDGPU.csdata,"",@progbits
; Kernel info:
; codeLenInByte = 22492
; NumSgprs: 57
; NumVgprs: 80
; NumAgprs: 0
; TotalNumVgprs: 80
; ScratchSize: 352
; MemoryBound: 0
; FloatMode: 240
; IeeeMode: 1
; LDSByteSize: 8192 bytes/workgroup (compile time only)
; SGPRBlocks: 7
; VGPRBlocks: 9
; NumSGPRsForWavesPerEU: 57
; NumVGPRsForWavesPerEU: 80
; AccumOffset: 80
; Occupancy: 6
; WaveLimiterHint : 1
; COMPUTE_PGM_RSRC2:SCRATCH_EN: 1
; COMPUTE_PGM_RSRC2:USER_SGPR: 8
; COMPUTE_PGM_RSRC2:TRAP_HANDLER: 0
; COMPUTE_PGM_RSRC2:TGID_X_EN: 1
; COMPUTE_PGM_RSRC2:TGID_Y_EN: 1
; COMPUTE_PGM_RSRC2:TGID_Z_EN: 1
; COMPUTE_PGM_RSRC2:TIDIG_COMP_CNT: 0
; COMPUTE_PGM_RSRC3_GFX90A:ACCUM_OFFSET: 19
; COMPUTE_PGM_RSRC3_GFX90A:TG_SPLIT: 0
	.section	.text._Z39paged_attention_ll4mi_QKV_mfma16_kernelI14__hip_bfloat16hLN4vllm18Fp8KVCacheDataTypeE1ES0_Li32ELi128ELi256ELb1ELi9EL8MFMAType0EEvPKT_PKT0_S9_ifPKiSB_SB_iPKfiiiPfSE_PS4_PT2_iSD_SD_,"axG",@progbits,_Z39paged_attention_ll4mi_QKV_mfma16_kernelI14__hip_bfloat16hLN4vllm18Fp8KVCacheDataTypeE1ES0_Li32ELi128ELi256ELb1ELi9EL8MFMAType0EEvPKT_PKT0_S9_ifPKiSB_SB_iPKfiiiPfSE_PS4_PT2_iSD_SD_,comdat
	.protected	_Z39paged_attention_ll4mi_QKV_mfma16_kernelI14__hip_bfloat16hLN4vllm18Fp8KVCacheDataTypeE1ES0_Li32ELi128ELi256ELb1ELi9EL8MFMAType0EEvPKT_PKT0_S9_ifPKiSB_SB_iPKfiiiPfSE_PS4_PT2_iSD_SD_ ; -- Begin function _Z39paged_attention_ll4mi_QKV_mfma16_kernelI14__hip_bfloat16hLN4vllm18Fp8KVCacheDataTypeE1ES0_Li32ELi128ELi256ELb1ELi9EL8MFMAType0EEvPKT_PKT0_S9_ifPKiSB_SB_iPKfiiiPfSE_PS4_PT2_iSD_SD_
	.globl	_Z39paged_attention_ll4mi_QKV_mfma16_kernelI14__hip_bfloat16hLN4vllm18Fp8KVCacheDataTypeE1ES0_Li32ELi128ELi256ELb1ELi9EL8MFMAType0EEvPKT_PKT0_S9_ifPKiSB_SB_iPKfiiiPfSE_PS4_PT2_iSD_SD_
	.p2align	8
	.type	_Z39paged_attention_ll4mi_QKV_mfma16_kernelI14__hip_bfloat16hLN4vllm18Fp8KVCacheDataTypeE1ES0_Li32ELi128ELi256ELb1ELi9EL8MFMAType0EEvPKT_PKT0_S9_ifPKiSB_SB_iPKfiiiPfSE_PS4_PT2_iSD_SD_,@function
_Z39paged_attention_ll4mi_QKV_mfma16_kernelI14__hip_bfloat16hLN4vllm18Fp8KVCacheDataTypeE1ES0_Li32ELi128ELi256ELb1ELi9EL8MFMAType0EEvPKT_PKT0_S9_ifPKiSB_SB_iPKfiiiPfSE_PS4_PT2_iSD_SD_: ; @_Z39paged_attention_ll4mi_QKV_mfma16_kernelI14__hip_bfloat16hLN4vllm18Fp8KVCacheDataTypeE1ES0_Li32ELi128ELi256ELb1ELi9EL8MFMAType0EEvPKT_PKT0_S9_ifPKiSB_SB_iPKfiiiPfSE_PS4_PT2_iSD_SD_
; %bb.0:
	s_load_dwordx2 s[6:7], s[4:5], 0x30
	s_add_u32 s0, s0, s11
	s_addc_u32 s1, s1, 0
	s_mov_b32 s26, s9
	s_mov_b64 s[14:15], 0
	s_waitcnt lgkmcnt(0)
	s_cmp_lg_u64 s[6:7], 0
	s_cselect_b64 s[12:13], -1, 0
	s_and_b64 vcc, exec, s[12:13]
	s_cbranch_vccz .LBB934_7
; %bb.1:
	s_add_i32 s16, s8, 1
	s_mov_b32 s17, 0
	s_lshl_b64 s[18:19], s[16:17], 2
	s_add_u32 s18, s6, s18
	s_mov_b32 s9, s17
	s_addc_u32 s19, s7, s19
	s_lshl_b64 s[16:17], s[8:9], 2
	s_add_u32 s16, s6, s16
	s_addc_u32 s17, s7, s17
	s_load_dword s11, s[18:19], 0x0
	s_load_dword s20, s[16:17], 0x0
	s_waitcnt lgkmcnt(0)
	s_sub_i32 s11, s11, s20
	s_cmp_eq_u32 s11, 1
	s_cselect_b64 s[16:17], -1, 0
	s_andn2_b64 vcc, exec, s[14:15]
	s_cbranch_vccnz .LBB934_3
.LBB934_2:
	s_mov_b32 s9, 0
	s_mov_b64 s[16:17], -1
.LBB934_3:
	s_andn2_b64 vcc, exec, s[16:17]
	s_cbranch_vccnz .LBB934_600
; %bb.4:
	s_load_dwordx2 s[16:17], s[4:5], 0x28
	s_lshl_b64 s[14:15], s[8:9], 2
	s_waitcnt lgkmcnt(0)
	s_add_u32 s16, s16, s14
	s_addc_u32 s17, s17, s15
	s_load_dword s33, s[16:17], 0x0
	s_lshl_b32 s20, s26, 8
	s_waitcnt lgkmcnt(0)
	s_cmp_ge_i32 s20, s33
	s_cbranch_scc1 .LBB934_600
; %bb.5:
	s_add_i32 s18, s33, 31
	s_load_dwordx2 s[16:17], s[4:5], 0x20
	s_load_dword s11, s[4:5], 0x38
	s_ashr_i32 s19, s18, 31
	v_and_b32_e32 v1, 0xcf, v0
	s_lshr_b32 s19, s19, 27
	v_add_u32_e32 v1, s20, v1
	s_add_i32 s18, s18, s19
	v_ashrrev_i32_e32 v2, 31, v1
	s_ashr_i32 s23, s18, 5
	v_lshrrev_b32_e32 v4, 27, v2
	s_add_i32 s23, s23, -1
	v_add_u32_e32 v2, v1, v4
	s_waitcnt lgkmcnt(0)
	s_mul_i32 s18, s8, s11
	s_mov_b32 s19, 0
	v_ashrrev_i32_e32 v2, 5, v2
	v_mov_b32_e32 v5, s23
	v_cmp_gt_i32_e32 vcc, s33, v1
	s_lshl_b64 s[18:19], s[18:19], 2
	v_cndmask_b32_e32 v2, v5, v2, vcc
	s_add_u32 s21, s16, s18
	v_ashrrev_i32_e32 v3, 31, v2
	s_addc_u32 s22, s17, s19
	v_lshlrev_b64 v[2:3], 2, v[2:3]
	v_mov_b32_e32 v7, s22
	v_add_co_u32_e32 v6, vcc, s21, v2
	v_or_b32_e32 v2, 16, v1
	v_addc_co_u32_e32 v7, vcc, v7, v3, vcc
	v_add_u32_e32 v3, v2, v4
	v_ashrrev_i32_e32 v3, 5, v3
	v_cmp_gt_i32_e32 vcc, s33, v2
	v_cndmask_b32_e32 v2, v5, v3, vcc
	v_ashrrev_i32_e32 v3, 31, v2
	v_lshlrev_b64 v[2:3], 2, v[2:3]
	v_mov_b32_e32 v9, s22
	v_add_co_u32_e32 v8, vcc, s21, v2
	v_or_b32_e32 v2, 32, v1
	v_addc_co_u32_e32 v9, vcc, v9, v3, vcc
	v_add_u32_e32 v3, v2, v4
	v_ashrrev_i32_e32 v3, 5, v3
	v_cmp_gt_i32_e32 vcc, s33, v2
	v_cndmask_b32_e32 v2, v5, v3, vcc
	v_ashrrev_i32_e32 v3, 31, v2
	;; [unrolled: 10-line block ×3, first 2 shown]
	v_lshlrev_b64 v[2:3], 2, v[2:3]
	v_mov_b32_e32 v1, s22
	v_add_co_u32_e32 v12, vcc, s21, v2
	v_addc_co_u32_e32 v13, vcc, v1, v3, vcc
	global_load_dword v5, v[6:7], off
	global_load_dword v4, v[8:9], off
	;; [unrolled: 1-line block ×4, first 2 shown]
	s_load_dwordx2 s[16:17], s[4:5], 0x8
	s_andn2_b64 vcc, exec, s[12:13]
	s_cbranch_vccnz .LBB934_8
; %bb.6:
	s_add_u32 s6, s6, s14
	s_addc_u32 s7, s7, s15
	s_load_dword s11, s[6:7], 0x0
	s_branch .LBB934_9
.LBB934_7:
	s_mov_b64 s[16:17], 0
	s_branch .LBB934_2
.LBB934_8:
	s_mov_b32 s11, s8
.LBB934_9:
	s_load_dwordx2 s[6:7], s[4:5], 0x10
	s_load_dwordx4 s[12:15], s[4:5], 0x48
	v_lshrrev_b32_e32 v27, 6, v0
	v_bfe_u32 v1, v0, 4, 2
	v_and_b32_e32 v41, 15, v0
	v_lshl_or_b32 v6, v27, 2, v1
	v_lshlrev_b32_e32 v7, 3, v41
	s_mul_i32 s27, s10, 9
	v_cmp_gt_u32_e32 vcc, 9, v6
	v_lshlrev_b32_e32 v39, 1, v7
	v_lshlrev_b32_e32 v43, 4, v0
	s_and_saveexec_b64 s[18:19], vcc
	s_cbranch_execz .LBB934_11
; %bb.10:
	s_load_dwordx2 s[24:25], s[4:5], 0x0
	s_waitcnt lgkmcnt(0)
	s_ashr_i32 s15, s12, 31
	s_mul_hi_u32 s28, s11, s12
	s_mul_i32 s15, s11, s15
	s_add_i32 s29, s28, s15
	s_mul_i32 s28, s11, s12
	s_lshl_b64 s[28:29], s[28:29], 1
	v_add_lshl_u32 v8, v6, s27, 7
	s_add_u32 s11, s24, s28
	v_ashrrev_i32_e32 v9, 31, v8
	s_addc_u32 s12, s25, s29
	v_lshlrev_b64 v[8:9], 1, v[8:9]
	v_mov_b32_e32 v7, s12
	v_add_co_u32_e32 v8, vcc, s11, v8
	v_addc_co_u32_e32 v7, vcc, v7, v9, vcc
	v_add_co_u32_e32 v8, vcc, v8, v39
	v_addc_co_u32_e32 v9, vcc, 0, v7, vcc
	global_load_dwordx4 v[8:11], v[8:9], off
	v_lshlrev_b32_e32 v12, 8, v0
	v_lshlrev_b32_e32 v7, 8, v41
	v_and_b32_e32 v12, 0x600, v12
	s_movk_i32 s11, 0x800
	v_and_or_b32 v7, v7, s11, v12
	v_lshlrev_b32_e32 v6, 5, v6
	v_and_b32_e32 v12, 16, v43
	v_or3_b32 v6, v7, v6, v12
	s_waitcnt vmcnt(0)
	ds_write_b128 v6, v[8:11]
.LBB934_11:
	s_or_b64 exec, exec, s[18:19]
	s_waitcnt lgkmcnt(0)
	s_mul_i32 s14, s10, s14
	s_add_u32 s10, s16, s14
	s_addc_u32 s11, s17, 0
	v_pk_mov_b32 v[6:7], s[10:11], s[10:11] op_sel:[0,1]
	s_waitcnt vmcnt(3)
	v_mad_i64_i32 v[8:9], s[10:11], v5, s13, v[6:7]
	v_lshlrev_b32_e32 v11, 4, v41
	v_and_b32_e32 v18, 48, v0
	v_add_co_u32_e32 v5, vcc, v8, v11
	v_lshlrev_b32_e32 v10, 5, v18
	v_addc_co_u32_e32 v9, vcc, 0, v9, vcc
	v_add_co_u32_e32 v8, vcc, v5, v10
	v_addc_co_u32_e32 v9, vcc, 0, v9, vcc
	s_load_dwordx2 s[48:49], s[4:5], 0x94
	s_waitcnt lgkmcnt(0)
	s_barrier
	global_load_dwordx4 v[20:23], v[8:9], off
	global_load_dwordx4 v[28:31], v[8:9], off offset:2048
	s_waitcnt vmcnt(4)
	v_mad_i64_i32 v[4:5], s[10:11], v4, s13, v[6:7]
	v_or_b32_e32 v8, 0x100, v11
	v_add_co_u32_e32 v4, vcc, v4, v8
	v_addc_co_u32_e32 v5, vcc, 0, v5, vcc
	v_add_co_u32_e32 v4, vcc, v4, v10
	v_addc_co_u32_e32 v5, vcc, 0, v5, vcc
	global_load_dwordx4 v[32:35], v[4:5], off
	global_load_dwordx4 v[44:47], v[4:5], off offset:2048
	s_waitcnt vmcnt(5)
	v_mad_i64_i32 v[4:5], s[10:11], v3, s13, v[6:7]
	v_add_co_u32_e32 v3, vcc, v4, v11
	v_addc_co_u32_e32 v5, vcc, 0, v5, vcc
	v_add_co_u32_e32 v4, vcc, v3, v10
	v_addc_co_u32_e32 v5, vcc, 0, v5, vcc
	s_waitcnt vmcnt(4)
	v_mad_i64_i32 v[2:3], s[10:11], v2, s13, v[6:7]
	v_add_co_u32_e32 v2, vcc, v2, v8
	v_addc_co_u32_e32 v3, vcc, 0, v3, vcc
	v_add_co_u32_e32 v2, vcc, v2, v10
	v_addc_co_u32_e32 v3, vcc, 0, v3, vcc
	global_load_dwordx4 v[48:51], v[4:5], off
	global_load_dwordx4 v[52:55], v[4:5], off offset:2048
	global_load_dwordx4 v[56:59], v[2:3], off
	global_load_dwordx4 v[60:63], v[2:3], off offset:2048
	v_add_u32_e32 v2, -9, v41
	v_cmp_gt_u32_e32 vcc, 9, v41
	v_cndmask_b32_e32 v2, v2, v41, vcc
	v_lshlrev_b32_e32 v2, 5, v2
	v_lshl_add_u32 v14, v1, 9, v2
	s_load_dwordx2 s[50:51], s[4:5], 0x68
	s_load_dwordx4 s[44:47], s[4:5], 0x58
	ds_read_b128 v[2:5], v14
	ds_read_b128 v[6:9], v14 offset:16
	ds_read_b128 v[10:13], v14 offset:2048
	;; [unrolled: 1-line block ×3, first 2 shown]
	s_mov_b32 s12, 0
	s_waitcnt vmcnt(7)
	buffer_store_dword v23, off, s[0:3], 0 offset:12
	buffer_store_dword v22, off, s[0:3], 0 offset:8
	;; [unrolled: 1-line block ×3, first 2 shown]
	buffer_store_dword v20, off, s[0:3], 0
	s_waitcnt vmcnt(10)
	buffer_store_dword v31, off, s[0:3], 0 offset:28
	buffer_store_dword v30, off, s[0:3], 0 offset:24
	buffer_store_dword v29, off, s[0:3], 0 offset:20
	buffer_store_dword v28, off, s[0:3], 0 offset:16
	s_waitcnt vmcnt(13)
	buffer_store_dword v35, off, s[0:3], 0 offset:44
	buffer_store_dword v34, off, s[0:3], 0 offset:40
	buffer_store_dword v33, off, s[0:3], 0 offset:36
	buffer_store_dword v32, off, s[0:3], 0 offset:32
	;; [unrolled: 5-line block ×7, first 2 shown]
	v_mov_b32_e32 v35, 0
	v_mov_b32_e32 v31, 0
	s_and_saveexec_b64 s[10:11], vcc
	s_cbranch_execz .LBB934_13
; %bb.12:
	s_load_dwordx2 s[16:17], s[4:5], 0x40
	v_add_u32_e32 v20, s27, v41
	v_ashrrev_i32_e32 v21, 31, v20
	v_lshlrev_b64 v[20:21], 2, v[20:21]
	s_waitcnt lgkmcnt(0)
	v_mov_b32_e32 v19, s17
	v_add_co_u32_e32 v20, vcc, s16, v20
	v_addc_co_u32_e32 v21, vcc, v19, v21, vcc
	global_load_dword v31, v[20:21], off
.LBB934_13:
	s_or_b64 exec, exec, s[10:11]
	s_ashr_i32 s10, s20, 31
	v_or_b32_e32 v24, s20, v18
	s_lshr_b32 s10, s10, 27
	v_add_u32_e32 v18, s10, v24
	v_ashrrev_i32_e32 v18, 5, v18
	v_mov_b32_e32 v25, s23
	v_cmp_gt_i32_e32 vcc, s33, v24
	v_cndmask_b32_e32 v18, v25, v18, vcc
	v_ashrrev_i32_e32 v19, 31, v18
	v_lshlrev_b64 v[18:19], 2, v[18:19]
	v_mov_b32_e32 v20, s22
	v_add_co_u32_e32 v18, vcc, s21, v18
	v_addc_co_u32_e32 v19, vcc, v20, v19, vcc
	v_or_b32_e32 v20, 64, v24
	v_add_u32_e32 v21, s10, v20
	v_ashrrev_i32_e32 v21, 5, v21
	v_cmp_gt_i32_e32 vcc, s33, v20
	v_cndmask_b32_e32 v20, v25, v21, vcc
	v_ashrrev_i32_e32 v21, 31, v20
	v_lshlrev_b64 v[20:21], 2, v[20:21]
	v_mov_b32_e32 v22, s22
	v_add_co_u32_e32 v20, vcc, s21, v20
	v_addc_co_u32_e32 v21, vcc, v22, v21, vcc
	v_or_b32_e32 v22, 0x80, v24
	v_add_u32_e32 v23, s10, v22
	v_ashrrev_i32_e32 v23, 5, v23
	v_cmp_gt_i32_e32 vcc, s33, v22
	v_cndmask_b32_e32 v22, v25, v23, vcc
	v_ashrrev_i32_e32 v23, 31, v22
	v_lshlrev_b64 v[22:23], 2, v[22:23]
	v_mov_b32_e32 v26, s22
	v_add_co_u32_e32 v22, vcc, s21, v22
	v_addc_co_u32_e32 v23, vcc, v26, v23, vcc
	global_load_dword v26, v[18:19], off
	global_load_dword v28, v[20:21], off
	global_load_dword v30, v[22:23], off
	v_or_b32_e32 v18, 0xc0, v24
	v_add_u32_e32 v19, s10, v18
	v_ashrrev_i32_e32 v19, 5, v19
	v_cmp_gt_i32_e32 vcc, s33, v18
	v_cndmask_b32_e32 v18, v25, v19, vcc
	v_ashrrev_i32_e32 v19, 31, v18
	v_lshlrev_b64 v[18:19], 2, v[18:19]
	v_mov_b32_e32 v20, s22
	v_add_co_u32_e32 v18, vcc, s21, v18
	v_addc_co_u32_e32 v19, vcc, v20, v19, vcc
	global_load_dword v32, v[18:19], off
	s_add_u32 s6, s6, s14
	v_and_b32_e32 v18, 16, v0
	s_addc_u32 s7, s7, 0
	v_lshl_or_b32 v29, v27, 4, v41
	v_mov_b32_e32 v20, s7
	v_add_co_u32_e32 v34, vcc, s6, v18
	v_lshlrev_b32_e32 v19, 5, v29
	v_addc_co_u32_e32 v36, vcc, 0, v20, vcc
	v_add_co_u32_e32 v22, vcc, v34, v19
	v_addc_co_u32_e32 v23, vcc, 0, v36, vcc
	v_or_b32_e32 v33, 0x800, v19
	s_movk_i32 s14, 0x7f
	s_mov_b32 s15, 0xffffff
	s_mov_b32 s16, 0x5040100
	v_mov_b32_e32 v37, 0x100
	v_bfrev_b32_e32 v38, 60
	s_waitcnt vmcnt(3)
	v_mad_i64_i32 v[18:19], s[6:7], v26, s13, v[22:23]
	s_waitcnt vmcnt(2)
	v_mad_i64_i32 v[24:25], s[6:7], v28, s13, v[22:23]
	global_load_dwordx4 v[18:21], v[18:19], off
	s_nop 0
	global_load_dwordx4 v[52:55], v[24:25], off
	s_waitcnt vmcnt(3)
	v_mad_i64_i32 v[24:25], s[6:7], v30, s13, v[22:23]
	s_waitcnt vmcnt(2)
	v_mad_i64_i32 v[22:23], s[6:7], v32, s13, v[22:23]
	global_load_dwordx4 v[56:59], v[24:25], off
	global_load_dwordx4 v[60:63], v[22:23], off
	v_add_co_u32_e32 v22, vcc, v34, v33
	v_addc_co_u32_e32 v23, vcc, 0, v36, vcc
	v_mad_i64_i32 v[24:25], s[6:7], v26, s13, v[22:23]
	global_load_dwordx4 v[64:67], v[24:25], off
	v_mad_i64_i32 v[24:25], s[6:7], v28, s13, v[22:23]
	global_load_dwordx4 v[68:71], v[24:25], off
	;; [unrolled: 2-line block ×4, first 2 shown]
	s_load_dword s6, s[4:5], 0x1c
	s_load_dwordx4 s[40:43], s[4:5], 0x80
	v_mov_b32_e32 v22, 0x80
	v_add_u32_e32 v45, 16, v22
	v_add_u32_e32 v46, 32, v22
	;; [unrolled: 1-line block ×3, first 2 shown]
	s_waitcnt lgkmcnt(0)
	s_load_dword s4, s[40:41], 0x0
	v_add_u32_e32 v51, 64, v22
	v_add_u32_e32 v48, 0x50, v22
	;; [unrolled: 1-line block ×4, first 2 shown]
	v_mov_b32_e32 v22, s6
	s_waitcnt lgkmcnt(0)
	v_mul_f32_e32 v22, s4, v22
	v_and_b32_e32 v33, 63, v0
	s_movk_i32 s13, 0x80
	v_mov_b32_e32 v36, 0
	v_mov_b32_e32 v24, v22
	;; [unrolled: 1-line block ×3, first 2 shown]
	s_waitcnt vmcnt(7)
	buffer_store_dword v21, off, s[0:3], 0 offset:140
	buffer_store_dword v20, off, s[0:3], 0 offset:136
	buffer_store_dword v19, off, s[0:3], 0 offset:132
	buffer_store_dword v18, off, s[0:3], 0 offset:128
	s_waitcnt vmcnt(10)
	buffer_store_dword v55, off, s[0:3], 0 offset:172
	buffer_store_dword v54, off, s[0:3], 0 offset:168
	buffer_store_dword v53, off, s[0:3], 0 offset:164
	buffer_store_dword v52, off, s[0:3], 0 offset:160
	;; [unrolled: 5-line block ×8, first 2 shown]
	s_branch .LBB934_17
.LBB934_14:                             ;   in Loop: Header=BB934_17 Depth=1
	s_or_b64 exec, exec, s[10:11]
.LBB934_15:                             ;   in Loop: Header=BB934_17 Depth=1
	s_or_b64 exec, exec, s[6:7]
.LBB934_16:                             ;   in Loop: Header=BB934_17 Depth=1
	s_or_b64 exec, exec, s[4:5]
	v_perm_b32 v55, v40, v34, s16
	v_perm_b32 v54, v23, v32, s16
	;; [unrolled: 1-line block ×4, first 2 shown]
	v_add_u32_e32 v26, s12, v37
	v_mfma_f32_16x16x16bf16_1k v[18:21], v[54:55], v[14:15], v[18:21]
	s_add_i32 s12, s12, 16
	v_mov_b32_e32 v23, v22
	s_cmp_eq_u32 s12, 64
	v_add_u32_e32 v36, 32, v36
	v_mfma_f32_16x16x16bf16_1k v[18:21], v[52:53], v[16:17], v[18:21]
	s_nop 7
	s_nop 2
	v_pk_mul_f32 v[18:19], v[24:25], v[18:19]
	v_pk_mul_f32 v[20:21], v[22:23], v[20:21]
	buffer_store_dword v19, v26, s[0:3], 0 offen offset:4
	buffer_store_dword v18, v26, s[0:3], 0 offen
	buffer_store_dword v21, v26, s[0:3], 0 offen offset:12
	buffer_store_dword v20, v26, s[0:3], 0 offen offset:8
	s_cbranch_scc1 .LBB934_207
.LBB934_17:                             ; =>This Inner Loop Header: Depth=1
	buffer_load_dword v20, v36, s[0:3], 0 offen
	buffer_load_dword v18, v36, s[0:3], 0 offen offset:4
	buffer_load_dword v28, v36, s[0:3], 0 offen offset:8
	;; [unrolled: 1-line block ×3, first 2 shown]
	v_mov_b32_e32 v19, 0
	v_mov_b32_e32 v21, 0
	s_waitcnt vmcnt(3)
	v_cmp_ne_u16_sdwa s[6:7], v20, v35 src0_sel:BYTE_0 src1_sel:DWORD
	s_and_saveexec_b64 s[4:5], s[6:7]
	s_cbranch_execz .LBB934_23
; %bb.18:                               ;   in Loop: Header=BB934_17 Depth=1
	v_cmp_ne_u16_sdwa s[10:11], v20, s13 src0_sel:BYTE_0 src1_sel:DWORD
	v_mov_b32_e32 v21, 0xffff8000
	s_and_saveexec_b64 s[6:7], s[10:11]
	s_cbranch_execz .LBB934_22
; %bb.19:                               ;   in Loop: Header=BB934_17 Depth=1
	v_and_b32_e32 v23, 0x7f, v20
	v_cmp_ne_u32_e32 vcc, s14, v23
	v_mov_b32_e32 v21, 0x7f80
	s_and_saveexec_b64 s[10:11], vcc
	s_cbranch_execz .LBB934_21
; %bb.20:                               ;   in Loop: Header=BB934_17 Depth=1
	v_and_b32_e32 v21, 7, v20
	v_ffbh_u32_e32 v32, v21
	v_min_u32_e32 v32, 32, v32
	v_subrev_u32_e32 v34, 28, v32
	v_lshlrev_b64 v[52:53], v34, v[20:21]
	v_lshrrev_b32_e32 v30, 3, v23
	v_sub_u32_e32 v32, 29, v32
	v_and_b32_e32 v34, 7, v52
	v_cmp_gt_u32_e32 vcc, 8, v23
	v_cndmask_b32_e32 v23, v30, v32, vcc
	v_cndmask_b32_e32 v21, v21, v34, vcc
	v_lshlrev_b32_e32 v30, 24, v20
	v_lshlrev_b32_e32 v21, 20, v21
	v_and_b32_e32 v30, 0x80000000, v30
	v_lshl_add_u32 v23, v23, 23, v38
	v_or3_b32 v21, v30, v23, v21
	v_lshrrev_b32_e32 v21, 16, v21
.LBB934_21:                             ;   in Loop: Header=BB934_17 Depth=1
	s_or_b64 exec, exec, s[10:11]
.LBB934_22:                             ;   in Loop: Header=BB934_17 Depth=1
	s_or_b64 exec, exec, s[6:7]
.LBB934_23:                             ;   in Loop: Header=BB934_17 Depth=1
	s_or_b64 exec, exec, s[4:5]
	v_lshrrev_b16_e32 v30, 8, v20
	v_cmp_ne_u16_e32 vcc, 0, v30
	s_and_saveexec_b64 s[4:5], vcc
	s_cbranch_execz .LBB934_29
; %bb.24:                               ;   in Loop: Header=BB934_17 Depth=1
	v_cmp_ne_u16_e32 vcc, s13, v30
	v_mov_b32_e32 v19, 0xffff8000
	s_and_saveexec_b64 s[6:7], vcc
	s_cbranch_execz .LBB934_28
; %bb.25:                               ;   in Loop: Header=BB934_17 Depth=1
	v_and_b32_e32 v23, 0x7f, v30
	v_cmp_ne_u32_e32 vcc, s14, v23
	v_mov_b32_e32 v19, 0x7f80
	s_and_saveexec_b64 s[10:11], vcc
	s_cbranch_execz .LBB934_27
; %bb.26:                               ;   in Loop: Header=BB934_17 Depth=1
	v_and_b32_e32 v19, 7, v30
	v_ffbh_u32_e32 v34, v19
	v_min_u32_e32 v34, 32, v34
	v_subrev_u32_e32 v40, 28, v34
	v_lshlrev_b64 v[52:53], v40, v[30:31]
	v_lshrrev_b32_e32 v32, 3, v23
	v_sub_u32_e32 v30, 29, v34
	v_and_b32_e32 v34, 7, v52
	v_cmp_gt_u32_e32 vcc, 8, v23
	v_cndmask_b32_e32 v23, v32, v30, vcc
	v_cndmask_b32_e32 v19, v19, v34, vcc
	v_lshlrev_b32_e32 v30, 16, v20
	v_lshlrev_b32_e32 v19, 20, v19
	v_and_b32_e32 v30, 0x80000000, v30
	v_lshl_add_u32 v23, v23, 23, v38
	v_or3_b32 v19, v30, v23, v19
	v_lshrrev_b32_e32 v19, 16, v19
.LBB934_27:                             ;   in Loop: Header=BB934_17 Depth=1
	s_or_b64 exec, exec, s[10:11]
.LBB934_28:                             ;   in Loop: Header=BB934_17 Depth=1
	s_or_b64 exec, exec, s[6:7]
.LBB934_29:                             ;   in Loop: Header=BB934_17 Depth=1
	s_or_b64 exec, exec, s[4:5]
	v_lshrrev_b32_e32 v30, 16, v20
	v_cmp_ne_u16_sdwa s[6:7], v30, v35 src0_sel:BYTE_0 src1_sel:DWORD
	v_mov_b32_e32 v32, 0
	v_mov_b32_e32 v23, 0
	s_and_saveexec_b64 s[4:5], s[6:7]
	s_cbranch_execz .LBB934_35
; %bb.30:                               ;   in Loop: Header=BB934_17 Depth=1
	v_cmp_ne_u16_sdwa s[10:11], v30, s13 src0_sel:BYTE_0 src1_sel:DWORD
	v_mov_b32_e32 v23, 0xffff8000
	s_and_saveexec_b64 s[6:7], s[10:11]
	s_cbranch_execz .LBB934_34
; %bb.31:                               ;   in Loop: Header=BB934_17 Depth=1
	v_bfe_u32 v34, v20, 16, 7
	v_cmp_ne_u32_e32 vcc, s14, v34
	v_mov_b32_e32 v23, 0x7f80
	s_and_saveexec_b64 s[10:11], vcc
	s_cbranch_execz .LBB934_33
; %bb.32:                               ;   in Loop: Header=BB934_17 Depth=1
	v_and_b32_e32 v23, 7, v30
	v_ffbh_u32_e32 v42, v23
	v_min_u32_e32 v42, 32, v42
	v_subrev_u32_e32 v44, 28, v42
	v_lshlrev_b64 v[52:53], v44, v[30:31]
	v_lshrrev_b32_e32 v40, 3, v34
	v_sub_u32_e32 v42, 29, v42
	v_and_b32_e32 v44, 7, v52
	v_cmp_gt_u32_e32 vcc, 8, v34
	v_cndmask_b32_e32 v34, v40, v42, vcc
	v_cndmask_b32_e32 v23, v23, v44, vcc
	v_lshlrev_b32_e32 v30, 24, v30
	v_lshlrev_b32_e32 v23, 20, v23
	v_and_b32_e32 v30, 0x80000000, v30
	v_lshl_add_u32 v34, v34, 23, v38
	v_or3_b32 v23, v30, v34, v23
	v_lshrrev_b32_e32 v23, 16, v23
.LBB934_33:                             ;   in Loop: Header=BB934_17 Depth=1
	s_or_b64 exec, exec, s[10:11]
.LBB934_34:                             ;   in Loop: Header=BB934_17 Depth=1
	s_or_b64 exec, exec, s[6:7]
.LBB934_35:                             ;   in Loop: Header=BB934_17 Depth=1
	s_or_b64 exec, exec, s[4:5]
	v_cmp_lt_u32_e32 vcc, s15, v20
	s_and_saveexec_b64 s[4:5], vcc
	s_cbranch_execz .LBB934_41
; %bb.36:                               ;   in Loop: Header=BB934_17 Depth=1
	v_lshrrev_b32_e32 v30, 24, v20
	v_cmp_ne_u32_e32 vcc, s13, v30
	v_mov_b32_e32 v32, 0xffff8000
	s_and_saveexec_b64 s[6:7], vcc
	s_cbranch_execz .LBB934_40
; %bb.37:                               ;   in Loop: Header=BB934_17 Depth=1
	v_bfe_u32 v20, v20, 24, 7
	v_cmp_ne_u32_e32 vcc, s14, v20
	v_mov_b32_e32 v32, 0x7f80
	s_and_saveexec_b64 s[10:11], vcc
	s_cbranch_execz .LBB934_39
; %bb.38:                               ;   in Loop: Header=BB934_17 Depth=1
	v_and_b32_e32 v32, 7, v30
	v_ffbh_u32_e32 v40, v32
	v_min_u32_e32 v40, 32, v40
	v_subrev_u32_e32 v42, 28, v40
	v_lshlrev_b64 v[52:53], v42, v[30:31]
	v_lshrrev_b32_e32 v34, 3, v20
	v_sub_u32_e32 v40, 29, v40
	v_and_b32_e32 v42, 7, v52
	v_cmp_gt_u32_e32 vcc, 8, v20
	v_cndmask_b32_e32 v20, v34, v40, vcc
	v_cndmask_b32_e32 v32, v32, v42, vcc
	v_lshlrev_b32_e32 v30, 24, v30
	v_lshlrev_b32_e32 v32, 20, v32
	v_and_b32_e32 v30, 0x80000000, v30
	v_lshl_add_u32 v20, v20, 23, v38
	v_or3_b32 v20, v30, v20, v32
	v_lshrrev_b32_e32 v32, 16, v20
.LBB934_39:                             ;   in Loop: Header=BB934_17 Depth=1
	s_or_b64 exec, exec, s[10:11]
.LBB934_40:                             ;   in Loop: Header=BB934_17 Depth=1
	s_or_b64 exec, exec, s[6:7]
.LBB934_41:                             ;   in Loop: Header=BB934_17 Depth=1
	s_or_b64 exec, exec, s[4:5]
	s_waitcnt vmcnt(2)
	v_cmp_ne_u16_sdwa s[6:7], v18, v35 src0_sel:BYTE_0 src1_sel:DWORD
	v_mov_b32_e32 v30, 0
	v_mov_b32_e32 v34, 0
	s_and_saveexec_b64 s[4:5], s[6:7]
	s_cbranch_execz .LBB934_47
; %bb.42:                               ;   in Loop: Header=BB934_17 Depth=1
	v_cmp_ne_u16_sdwa s[10:11], v18, s13 src0_sel:BYTE_0 src1_sel:DWORD
	v_mov_b32_e32 v34, 0xffff8000
	s_and_saveexec_b64 s[6:7], s[10:11]
	s_cbranch_execz .LBB934_46
; %bb.43:                               ;   in Loop: Header=BB934_17 Depth=1
	v_and_b32_e32 v20, 0x7f, v18
	v_cmp_ne_u32_e32 vcc, s14, v20
	v_mov_b32_e32 v34, 0x7f80
	s_and_saveexec_b64 s[10:11], vcc
	s_cbranch_execz .LBB934_45
; %bb.44:                               ;   in Loop: Header=BB934_17 Depth=1
	v_and_b32_e32 v34, 7, v18
	v_ffbh_u32_e32 v42, v34
	v_min_u32_e32 v42, 32, v42
	v_subrev_u32_e32 v44, 28, v42
	v_lshlrev_b64 v[52:53], v44, v[18:19]
	v_lshrrev_b32_e32 v40, 3, v20
	v_sub_u32_e32 v42, 29, v42
	v_and_b32_e32 v44, 7, v52
	v_cmp_gt_u32_e32 vcc, 8, v20
	v_cndmask_b32_e32 v20, v40, v42, vcc
	v_cndmask_b32_e32 v34, v34, v44, vcc
	v_lshlrev_b32_e32 v40, 24, v18
	v_lshlrev_b32_e32 v34, 20, v34
	v_and_b32_e32 v40, 0x80000000, v40
	v_lshl_add_u32 v20, v20, 23, v38
	v_or3_b32 v20, v40, v20, v34
	v_lshrrev_b32_e32 v34, 16, v20
.LBB934_45:                             ;   in Loop: Header=BB934_17 Depth=1
	s_or_b64 exec, exec, s[10:11]
.LBB934_46:                             ;   in Loop: Header=BB934_17 Depth=1
	s_or_b64 exec, exec, s[6:7]
.LBB934_47:                             ;   in Loop: Header=BB934_17 Depth=1
	s_or_b64 exec, exec, s[4:5]
	v_lshrrev_b16_e32 v20, 8, v18
	v_cmp_ne_u16_e32 vcc, 0, v20
	s_and_saveexec_b64 s[4:5], vcc
	s_cbranch_execz .LBB934_53
; %bb.48:                               ;   in Loop: Header=BB934_17 Depth=1
	v_cmp_ne_u16_e32 vcc, s13, v20
	v_mov_b32_e32 v30, 0xffff8000
	s_and_saveexec_b64 s[6:7], vcc
	s_cbranch_execz .LBB934_52
; %bb.49:                               ;   in Loop: Header=BB934_17 Depth=1
	v_and_b32_e32 v40, 0x7f, v20
	v_cmp_ne_u32_e32 vcc, s14, v40
	v_mov_b32_e32 v30, 0x7f80
	s_and_saveexec_b64 s[10:11], vcc
	s_cbranch_execz .LBB934_51
; %bb.50:                               ;   in Loop: Header=BB934_17 Depth=1
	v_and_b32_e32 v30, 7, v20
	v_ffbh_u32_e32 v44, v30
	v_min_u32_e32 v44, 32, v44
	v_subrev_u32_e32 v52, 28, v44
	v_lshlrev_b64 v[52:53], v52, v[20:21]
	v_lshrrev_b32_e32 v42, 3, v40
	v_sub_u32_e32 v20, 29, v44
	v_and_b32_e32 v44, 7, v52
	v_cmp_gt_u32_e32 vcc, 8, v40
	v_cndmask_b32_e32 v20, v42, v20, vcc
	v_cndmask_b32_e32 v30, v30, v44, vcc
	v_lshlrev_b32_e32 v40, 16, v18
	v_lshlrev_b32_e32 v30, 20, v30
	v_and_b32_e32 v40, 0x80000000, v40
	v_lshl_add_u32 v20, v20, 23, v38
	v_or3_b32 v20, v40, v20, v30
	v_lshrrev_b32_e32 v30, 16, v20
.LBB934_51:                             ;   in Loop: Header=BB934_17 Depth=1
	s_or_b64 exec, exec, s[10:11]
.LBB934_52:                             ;   in Loop: Header=BB934_17 Depth=1
	s_or_b64 exec, exec, s[6:7]
.LBB934_53:                             ;   in Loop: Header=BB934_17 Depth=1
	s_or_b64 exec, exec, s[4:5]
	v_lshrrev_b32_e32 v20, 16, v18
	v_cmp_ne_u16_sdwa s[6:7], v20, v35 src0_sel:BYTE_0 src1_sel:DWORD
	v_mov_b32_e32 v42, 0
	v_mov_b32_e32 v40, 0
	s_and_saveexec_b64 s[4:5], s[6:7]
	s_cbranch_execz .LBB934_59
; %bb.54:                               ;   in Loop: Header=BB934_17 Depth=1
	v_cmp_ne_u16_sdwa s[10:11], v20, s13 src0_sel:BYTE_0 src1_sel:DWORD
	v_mov_b32_e32 v40, 0xffff8000
	s_and_saveexec_b64 s[6:7], s[10:11]
	s_cbranch_execz .LBB934_58
; %bb.55:                               ;   in Loop: Header=BB934_17 Depth=1
	v_bfe_u32 v44, v18, 16, 7
	v_cmp_ne_u32_e32 vcc, s14, v44
	v_mov_b32_e32 v40, 0x7f80
	s_and_saveexec_b64 s[10:11], vcc
	s_cbranch_execz .LBB934_57
; %bb.56:                               ;   in Loop: Header=BB934_17 Depth=1
	v_and_b32_e32 v40, 7, v20
	v_ffbh_u32_e32 v52, v40
	v_min_u32_e32 v55, 32, v52
	v_subrev_u32_e32 v52, 28, v55
	v_lshlrev_b64 v[52:53], v52, v[20:21]
	v_lshrrev_b32_e32 v54, 3, v44
	v_sub_u32_e32 v53, 29, v55
	v_and_b32_e32 v52, 7, v52
	v_cmp_gt_u32_e32 vcc, 8, v44
	v_cndmask_b32_e32 v44, v54, v53, vcc
	v_cndmask_b32_e32 v40, v40, v52, vcc
	v_lshlrev_b32_e32 v20, 24, v20
	v_lshlrev_b32_e32 v40, 20, v40
	v_and_b32_e32 v20, 0x80000000, v20
	v_lshl_add_u32 v44, v44, 23, v38
	v_or3_b32 v20, v20, v44, v40
	v_lshrrev_b32_e32 v40, 16, v20
.LBB934_57:                             ;   in Loop: Header=BB934_17 Depth=1
	s_or_b64 exec, exec, s[10:11]
.LBB934_58:                             ;   in Loop: Header=BB934_17 Depth=1
	s_or_b64 exec, exec, s[6:7]
.LBB934_59:                             ;   in Loop: Header=BB934_17 Depth=1
	s_or_b64 exec, exec, s[4:5]
	v_cmp_lt_u32_e32 vcc, s15, v18
	s_and_saveexec_b64 s[4:5], vcc
	s_cbranch_execz .LBB934_65
; %bb.60:                               ;   in Loop: Header=BB934_17 Depth=1
	v_lshrrev_b32_e32 v20, 24, v18
	v_cmp_ne_u32_e32 vcc, s13, v20
	v_mov_b32_e32 v42, 0xffff8000
	s_and_saveexec_b64 s[6:7], vcc
	s_cbranch_execz .LBB934_64
; %bb.61:                               ;   in Loop: Header=BB934_17 Depth=1
	v_bfe_u32 v18, v18, 24, 7
	v_cmp_ne_u32_e32 vcc, s14, v18
	v_mov_b32_e32 v42, 0x7f80
	s_and_saveexec_b64 s[10:11], vcc
	s_cbranch_execz .LBB934_63
; %bb.62:                               ;   in Loop: Header=BB934_17 Depth=1
	v_and_b32_e32 v42, 7, v20
	v_ffbh_u32_e32 v52, v42
	v_min_u32_e32 v54, 32, v52
	v_subrev_u32_e32 v52, 28, v54
	v_lshlrev_b64 v[52:53], v52, v[20:21]
	v_lshrrev_b32_e32 v44, 3, v18
	v_sub_u32_e32 v53, 29, v54
	v_and_b32_e32 v52, 7, v52
	v_cmp_gt_u32_e32 vcc, 8, v18
	v_cndmask_b32_e32 v18, v44, v53, vcc
	v_cndmask_b32_e32 v42, v42, v52, vcc
	v_lshlrev_b32_e32 v20, 24, v20
	v_lshlrev_b32_e32 v42, 20, v42
	v_and_b32_e32 v20, 0x80000000, v20
	v_lshl_add_u32 v18, v18, 23, v38
	v_or3_b32 v18, v20, v18, v42
	v_lshrrev_b32_e32 v42, 16, v18
.LBB934_63:                             ;   in Loop: Header=BB934_17 Depth=1
	s_or_b64 exec, exec, s[10:11]
.LBB934_64:                             ;   in Loop: Header=BB934_17 Depth=1
	s_or_b64 exec, exec, s[6:7]
.LBB934_65:                             ;   in Loop: Header=BB934_17 Depth=1
	s_or_b64 exec, exec, s[4:5]
	v_perm_b32 v53, v32, v23, s16
	v_perm_b32 v52, v19, v21, s16
	s_waitcnt vmcnt(1)
	v_cmp_ne_u16_sdwa s[6:7], v28, v35 src0_sel:BYTE_0 src1_sel:DWORD
	v_mov_b32_e32 v23, 0
	v_mov_b32_e32 v32, 0
	v_mfma_f32_16x16x16bf16_1k v[18:21], v[52:53], v[2:3], 0
	v_perm_b32 v53, v42, v40, s16
	v_perm_b32 v52, v30, v34, s16
	s_nop 1
	v_mfma_f32_16x16x16bf16_1k v[18:21], v[52:53], v[4:5], v[18:21]
	s_and_saveexec_b64 s[4:5], s[6:7]
	s_cbranch_execz .LBB934_71
; %bb.66:                               ;   in Loop: Header=BB934_17 Depth=1
	v_cmp_ne_u16_sdwa s[10:11], v28, s13 src0_sel:BYTE_0 src1_sel:DWORD
	v_mov_b32_e32 v32, 0xffff8000
	s_and_saveexec_b64 s[6:7], s[10:11]
	s_cbranch_execz .LBB934_70
; %bb.67:                               ;   in Loop: Header=BB934_17 Depth=1
	v_and_b32_e32 v30, 0x7f, v28
	v_cmp_ne_u32_e32 vcc, s14, v30
	v_mov_b32_e32 v32, 0x7f80
	s_and_saveexec_b64 s[10:11], vcc
	s_cbranch_execz .LBB934_69
; %bb.68:                               ;   in Loop: Header=BB934_17 Depth=1
	v_and_b32_e32 v32, 7, v28
	v_ffbh_u32_e32 v40, v32
	v_min_u32_e32 v40, 32, v40
	v_subrev_u32_e32 v42, 28, v40
	v_lshlrev_b64 v[52:53], v42, v[28:29]
	v_lshrrev_b32_e32 v34, 3, v30
	v_sub_u32_e32 v40, 29, v40
	v_and_b32_e32 v42, 7, v52
	v_cmp_gt_u32_e32 vcc, 8, v30
	v_cndmask_b32_e32 v30, v34, v40, vcc
	v_cndmask_b32_e32 v32, v32, v42, vcc
	v_lshlrev_b32_e32 v34, 24, v28
	v_lshlrev_b32_e32 v32, 20, v32
	v_and_b32_e32 v34, 0x80000000, v34
	v_lshl_add_u32 v30, v30, 23, v38
	v_or3_b32 v30, v34, v30, v32
	v_lshrrev_b32_e32 v32, 16, v30
.LBB934_69:                             ;   in Loop: Header=BB934_17 Depth=1
	s_or_b64 exec, exec, s[10:11]
.LBB934_70:                             ;   in Loop: Header=BB934_17 Depth=1
	s_or_b64 exec, exec, s[6:7]
.LBB934_71:                             ;   in Loop: Header=BB934_17 Depth=1
	s_or_b64 exec, exec, s[4:5]
	v_lshrrev_b16_e32 v30, 8, v28
	v_cmp_ne_u16_e32 vcc, 0, v30
	s_and_saveexec_b64 s[4:5], vcc
	s_cbranch_execz .LBB934_77
; %bb.72:                               ;   in Loop: Header=BB934_17 Depth=1
	v_cmp_ne_u16_e32 vcc, s13, v30
	v_mov_b32_e32 v23, 0xffff8000
	s_and_saveexec_b64 s[6:7], vcc
	s_cbranch_execz .LBB934_76
; %bb.73:                               ;   in Loop: Header=BB934_17 Depth=1
	v_and_b32_e32 v34, 0x7f, v30
	v_cmp_ne_u32_e32 vcc, s14, v34
	v_mov_b32_e32 v23, 0x7f80
	s_and_saveexec_b64 s[10:11], vcc
	s_cbranch_execz .LBB934_75
; %bb.74:                               ;   in Loop: Header=BB934_17 Depth=1
	v_and_b32_e32 v23, 7, v30
	v_ffbh_u32_e32 v42, v23
	v_min_u32_e32 v42, 32, v42
	v_subrev_u32_e32 v44, 28, v42
	v_lshlrev_b64 v[52:53], v44, v[30:31]
	v_lshrrev_b32_e32 v40, 3, v34
	v_sub_u32_e32 v30, 29, v42
	v_and_b32_e32 v42, 7, v52
	v_cmp_gt_u32_e32 vcc, 8, v34
	v_cndmask_b32_e32 v30, v40, v30, vcc
	v_cndmask_b32_e32 v23, v23, v42, vcc
	v_lshlrev_b32_e32 v34, 16, v28
	v_lshlrev_b32_e32 v23, 20, v23
	v_and_b32_e32 v34, 0x80000000, v34
	v_lshl_add_u32 v30, v30, 23, v38
	v_or3_b32 v23, v34, v30, v23
	v_lshrrev_b32_e32 v23, 16, v23
.LBB934_75:                             ;   in Loop: Header=BB934_17 Depth=1
	s_or_b64 exec, exec, s[10:11]
.LBB934_76:                             ;   in Loop: Header=BB934_17 Depth=1
	s_or_b64 exec, exec, s[6:7]
.LBB934_77:                             ;   in Loop: Header=BB934_17 Depth=1
	s_or_b64 exec, exec, s[4:5]
	v_lshrrev_b32_e32 v30, 16, v28
	v_cmp_ne_u16_sdwa s[6:7], v30, v35 src0_sel:BYTE_0 src1_sel:DWORD
	v_mov_b32_e32 v40, 0
	v_mov_b32_e32 v34, 0
	s_and_saveexec_b64 s[4:5], s[6:7]
	s_cbranch_execz .LBB934_83
; %bb.78:                               ;   in Loop: Header=BB934_17 Depth=1
	v_cmp_ne_u16_sdwa s[10:11], v30, s13 src0_sel:BYTE_0 src1_sel:DWORD
	v_mov_b32_e32 v34, 0xffff8000
	s_and_saveexec_b64 s[6:7], s[10:11]
	s_cbranch_execz .LBB934_82
; %bb.79:                               ;   in Loop: Header=BB934_17 Depth=1
	v_bfe_u32 v42, v28, 16, 7
	v_cmp_ne_u32_e32 vcc, s14, v42
	v_mov_b32_e32 v34, 0x7f80
	s_and_saveexec_b64 s[10:11], vcc
	s_cbranch_execz .LBB934_81
; %bb.80:                               ;   in Loop: Header=BB934_17 Depth=1
	v_and_b32_e32 v34, 7, v30
	v_ffbh_u32_e32 v52, v34
	v_min_u32_e32 v54, 32, v52
	v_subrev_u32_e32 v52, 28, v54
	v_lshlrev_b64 v[52:53], v52, v[30:31]
	v_lshrrev_b32_e32 v44, 3, v42
	v_sub_u32_e32 v53, 29, v54
	v_and_b32_e32 v52, 7, v52
	v_cmp_gt_u32_e32 vcc, 8, v42
	v_cndmask_b32_e32 v42, v44, v53, vcc
	v_cndmask_b32_e32 v34, v34, v52, vcc
	v_lshlrev_b32_e32 v30, 24, v30
	v_lshlrev_b32_e32 v34, 20, v34
	v_and_b32_e32 v30, 0x80000000, v30
	v_lshl_add_u32 v42, v42, 23, v38
	v_or3_b32 v30, v30, v42, v34
	v_lshrrev_b32_e32 v34, 16, v30
.LBB934_81:                             ;   in Loop: Header=BB934_17 Depth=1
	s_or_b64 exec, exec, s[10:11]
.LBB934_82:                             ;   in Loop: Header=BB934_17 Depth=1
	s_or_b64 exec, exec, s[6:7]
.LBB934_83:                             ;   in Loop: Header=BB934_17 Depth=1
	s_or_b64 exec, exec, s[4:5]
	v_cmp_lt_u32_e32 vcc, s15, v28
	s_and_saveexec_b64 s[4:5], vcc
	s_cbranch_execz .LBB934_89
; %bb.84:                               ;   in Loop: Header=BB934_17 Depth=1
	v_lshrrev_b32_e32 v30, 24, v28
	v_cmp_ne_u32_e32 vcc, s13, v30
	v_mov_b32_e32 v40, 0xffff8000
	s_and_saveexec_b64 s[6:7], vcc
	s_cbranch_execz .LBB934_88
; %bb.85:                               ;   in Loop: Header=BB934_17 Depth=1
	v_bfe_u32 v28, v28, 24, 7
	v_cmp_ne_u32_e32 vcc, s14, v28
	v_mov_b32_e32 v40, 0x7f80
	s_and_saveexec_b64 s[10:11], vcc
	s_cbranch_execz .LBB934_87
; %bb.86:                               ;   in Loop: Header=BB934_17 Depth=1
	v_and_b32_e32 v40, 7, v30
	v_ffbh_u32_e32 v44, v40
	v_min_u32_e32 v44, 32, v44
	v_subrev_u32_e32 v52, 28, v44
	v_lshlrev_b64 v[52:53], v52, v[30:31]
	v_lshrrev_b32_e32 v42, 3, v28
	v_sub_u32_e32 v44, 29, v44
	v_and_b32_e32 v52, 7, v52
	v_cmp_gt_u32_e32 vcc, 8, v28
	v_cndmask_b32_e32 v28, v42, v44, vcc
	v_cndmask_b32_e32 v40, v40, v52, vcc
	v_lshlrev_b32_e32 v30, 24, v30
	v_lshlrev_b32_e32 v40, 20, v40
	v_and_b32_e32 v30, 0x80000000, v30
	v_lshl_add_u32 v28, v28, 23, v38
	v_or3_b32 v28, v30, v28, v40
	v_lshrrev_b32_e32 v40, 16, v28
.LBB934_87:                             ;   in Loop: Header=BB934_17 Depth=1
	s_or_b64 exec, exec, s[10:11]
.LBB934_88:                             ;   in Loop: Header=BB934_17 Depth=1
	s_or_b64 exec, exec, s[6:7]
.LBB934_89:                             ;   in Loop: Header=BB934_17 Depth=1
	s_or_b64 exec, exec, s[4:5]
	s_waitcnt vmcnt(0)
	v_cmp_ne_u16_sdwa s[6:7], v26, v35 src0_sel:BYTE_0 src1_sel:DWORD
	v_mov_b32_e32 v42, 0
	v_mov_b32_e32 v44, 0
	s_and_saveexec_b64 s[4:5], s[6:7]
	s_cbranch_execz .LBB934_95
; %bb.90:                               ;   in Loop: Header=BB934_17 Depth=1
	v_cmp_ne_u16_sdwa s[10:11], v26, s13 src0_sel:BYTE_0 src1_sel:DWORD
	v_mov_b32_e32 v44, 0xffff8000
	s_and_saveexec_b64 s[6:7], s[10:11]
	s_cbranch_execz .LBB934_94
; %bb.91:                               ;   in Loop: Header=BB934_17 Depth=1
	v_and_b32_e32 v28, 0x7f, v26
	v_cmp_ne_u32_e32 vcc, s14, v28
	v_mov_b32_e32 v44, 0x7f80
	s_and_saveexec_b64 s[10:11], vcc
	s_cbranch_execz .LBB934_93
; %bb.92:                               ;   in Loop: Header=BB934_17 Depth=1
	v_and_b32_e32 v30, 7, v26
	v_ffbh_u32_e32 v52, v30
	v_min_u32_e32 v54, 32, v52
	v_subrev_u32_e32 v52, 28, v54
	v_lshlrev_b64 v[52:53], v52, v[26:27]
	v_lshrrev_b32_e32 v44, 3, v28
	v_sub_u32_e32 v53, 29, v54
	v_and_b32_e32 v52, 7, v52
	v_cmp_gt_u32_e32 vcc, 8, v28
	v_cndmask_b32_e32 v28, v44, v53, vcc
	v_cndmask_b32_e32 v30, v30, v52, vcc
	v_lshlrev_b32_e32 v44, 24, v26
	v_lshlrev_b32_e32 v30, 20, v30
	v_and_b32_e32 v44, 0x80000000, v44
	v_lshl_add_u32 v28, v28, 23, v38
	v_or3_b32 v28, v44, v28, v30
	v_lshrrev_b32_e32 v44, 16, v28
.LBB934_93:                             ;   in Loop: Header=BB934_17 Depth=1
	s_or_b64 exec, exec, s[10:11]
.LBB934_94:                             ;   in Loop: Header=BB934_17 Depth=1
	s_or_b64 exec, exec, s[6:7]
.LBB934_95:                             ;   in Loop: Header=BB934_17 Depth=1
	s_or_b64 exec, exec, s[4:5]
	v_lshrrev_b16_e32 v28, 8, v26
	v_cmp_ne_u16_e32 vcc, 0, v28
	s_and_saveexec_b64 s[4:5], vcc
	s_cbranch_execz .LBB934_101
; %bb.96:                               ;   in Loop: Header=BB934_17 Depth=1
	v_cmp_ne_u16_e32 vcc, s13, v28
	v_mov_b32_e32 v42, 0xffff8000
	s_and_saveexec_b64 s[6:7], vcc
	s_cbranch_execz .LBB934_100
; %bb.97:                               ;   in Loop: Header=BB934_17 Depth=1
	v_and_b32_e32 v30, 0x7f, v28
	v_cmp_ne_u32_e32 vcc, s14, v30
	v_mov_b32_e32 v42, 0x7f80
	s_and_saveexec_b64 s[10:11], vcc
	s_cbranch_execz .LBB934_99
; %bb.98:                               ;   in Loop: Header=BB934_17 Depth=1
	v_and_b32_e32 v42, 7, v28
	v_ffbh_u32_e32 v52, v42
	v_min_u32_e32 v55, 32, v52
	v_subrev_u32_e32 v52, 28, v55
	v_lshlrev_b64 v[52:53], v52, v[28:29]
	v_lshrrev_b32_e32 v54, 3, v30
	v_sub_u32_e32 v28, 29, v55
	v_and_b32_e32 v52, 7, v52
	v_cmp_gt_u32_e32 vcc, 8, v30
	v_cndmask_b32_e32 v28, v54, v28, vcc
	v_cndmask_b32_e32 v30, v42, v52, vcc
	v_lshlrev_b32_e32 v42, 16, v26
	v_lshlrev_b32_e32 v30, 20, v30
	v_and_b32_e32 v42, 0x80000000, v42
	v_lshl_add_u32 v28, v28, 23, v38
	v_or3_b32 v28, v42, v28, v30
	v_lshrrev_b32_e32 v42, 16, v28
.LBB934_99:                             ;   in Loop: Header=BB934_17 Depth=1
	s_or_b64 exec, exec, s[10:11]
.LBB934_100:                            ;   in Loop: Header=BB934_17 Depth=1
	s_or_b64 exec, exec, s[6:7]
.LBB934_101:                            ;   in Loop: Header=BB934_17 Depth=1
	s_or_b64 exec, exec, s[4:5]
	v_lshrrev_b32_e32 v28, 16, v26
	v_cmp_ne_u16_sdwa s[6:7], v28, v35 src0_sel:BYTE_0 src1_sel:DWORD
	v_mov_b32_e32 v53, 0
	v_mov_b32_e32 v52, 0
	s_and_saveexec_b64 s[4:5], s[6:7]
	s_cbranch_execz .LBB934_107
; %bb.102:                              ;   in Loop: Header=BB934_17 Depth=1
	v_cmp_ne_u16_sdwa s[10:11], v28, s13 src0_sel:BYTE_0 src1_sel:DWORD
	v_mov_b32_e32 v52, 0xffff8000
	s_and_saveexec_b64 s[6:7], s[10:11]
	s_cbranch_execz .LBB934_106
; %bb.103:                              ;   in Loop: Header=BB934_17 Depth=1
	v_bfe_u32 v30, v26, 16, 7
	v_cmp_ne_u32_e32 vcc, s14, v30
	v_mov_b32_e32 v52, 0x7f80
	s_and_saveexec_b64 s[10:11], vcc
	s_cbranch_execz .LBB934_105
; %bb.104:                              ;   in Loop: Header=BB934_17 Depth=1
	v_and_b32_e32 v52, 7, v28
	v_ffbh_u32_e32 v54, v52
	v_min_u32_e32 v57, 32, v54
	v_subrev_u32_e32 v54, 28, v57
	v_lshlrev_b64 v[54:55], v54, v[28:29]
	v_lshrrev_b32_e32 v56, 3, v30
	v_sub_u32_e32 v55, 29, v57
	v_and_b32_e32 v54, 7, v54
	v_cmp_gt_u32_e32 vcc, 8, v30
	v_cndmask_b32_e32 v30, v56, v55, vcc
	v_cndmask_b32_e32 v52, v52, v54, vcc
	v_lshlrev_b32_e32 v28, 24, v28
	v_lshlrev_b32_e32 v52, 20, v52
	v_and_b32_e32 v28, 0x80000000, v28
	v_lshl_add_u32 v30, v30, 23, v38
	v_or3_b32 v28, v28, v30, v52
	v_lshrrev_b32_e32 v52, 16, v28
.LBB934_105:                            ;   in Loop: Header=BB934_17 Depth=1
	s_or_b64 exec, exec, s[10:11]
.LBB934_106:                            ;   in Loop: Header=BB934_17 Depth=1
	s_or_b64 exec, exec, s[6:7]
.LBB934_107:                            ;   in Loop: Header=BB934_17 Depth=1
	s_or_b64 exec, exec, s[4:5]
	v_cmp_lt_u32_e32 vcc, s15, v26
	s_and_saveexec_b64 s[4:5], vcc
	s_cbranch_execz .LBB934_113
; %bb.108:                              ;   in Loop: Header=BB934_17 Depth=1
	v_lshrrev_b32_e32 v28, 24, v26
	v_cmp_ne_u32_e32 vcc, s13, v28
	v_mov_b32_e32 v53, 0xffff8000
	s_and_saveexec_b64 s[6:7], vcc
	s_cbranch_execz .LBB934_112
; %bb.109:                              ;   in Loop: Header=BB934_17 Depth=1
	v_bfe_u32 v26, v26, 24, 7
	v_cmp_ne_u32_e32 vcc, s14, v26
	v_mov_b32_e32 v53, 0x7f80
	s_and_saveexec_b64 s[10:11], vcc
	s_cbranch_execz .LBB934_111
; %bb.110:                              ;   in Loop: Header=BB934_17 Depth=1
	v_and_b32_e32 v30, 7, v28
	v_ffbh_u32_e32 v54, v30
	v_min_u32_e32 v56, 32, v54
	v_subrev_u32_e32 v54, 28, v56
	v_lshlrev_b64 v[54:55], v54, v[28:29]
	v_lshrrev_b32_e32 v53, 3, v26
	v_sub_u32_e32 v55, 29, v56
	v_and_b32_e32 v54, 7, v54
	v_cmp_gt_u32_e32 vcc, 8, v26
	v_cndmask_b32_e32 v26, v53, v55, vcc
	v_cndmask_b32_e32 v30, v30, v54, vcc
	v_lshlrev_b32_e32 v28, 24, v28
	v_lshlrev_b32_e32 v30, 20, v30
	v_and_b32_e32 v28, 0x80000000, v28
	v_lshl_add_u32 v26, v26, 23, v38
	v_or3_b32 v26, v28, v26, v30
	v_lshrrev_b32_e32 v53, 16, v26
.LBB934_111:                            ;   in Loop: Header=BB934_17 Depth=1
	s_or_b64 exec, exec, s[10:11]
.LBB934_112:                            ;   in Loop: Header=BB934_17 Depth=1
	s_or_b64 exec, exec, s[6:7]
.LBB934_113:                            ;   in Loop: Header=BB934_17 Depth=1
	s_or_b64 exec, exec, s[4:5]
	v_perm_b32 v54, v23, v32, s16
	buffer_load_dword v32, v36, s[0:3], 0 offen offset:16
	buffer_load_dword v30, v36, s[0:3], 0 offen offset:20
	;; [unrolled: 1-line block ×4, first 2 shown]
	v_perm_b32 v55, v40, v34, s16
	v_perm_b32 v53, v53, v52, s16
	;; [unrolled: 1-line block ×3, first 2 shown]
	v_mfma_f32_16x16x16bf16_1k v[18:21], v[54:55], v[6:7], v[18:21]
	v_mov_b32_e32 v23, 0
	v_mov_b32_e32 v40, 0
	s_waitcnt vmcnt(3)
	v_cmp_ne_u16_sdwa s[6:7], v32, v35 src0_sel:BYTE_0 src1_sel:DWORD
	v_mfma_f32_16x16x16bf16_1k v[18:21], v[52:53], v[8:9], v[18:21]
	s_and_saveexec_b64 s[4:5], s[6:7]
	s_cbranch_execz .LBB934_119
; %bb.114:                              ;   in Loop: Header=BB934_17 Depth=1
	v_cmp_ne_u16_sdwa s[10:11], v32, s13 src0_sel:BYTE_0 src1_sel:DWORD
	v_mov_b32_e32 v40, 0xffff8000
	s_and_saveexec_b64 s[6:7], s[10:11]
	s_cbranch_execz .LBB934_118
; %bb.115:                              ;   in Loop: Header=BB934_17 Depth=1
	v_and_b32_e32 v34, 0x7f, v32
	v_cmp_ne_u32_e32 vcc, s14, v34
	v_mov_b32_e32 v40, 0x7f80
	s_and_saveexec_b64 s[10:11], vcc
	s_cbranch_execz .LBB934_117
; %bb.116:                              ;   in Loop: Header=BB934_17 Depth=1
	v_and_b32_e32 v40, 7, v32
	v_ffbh_u32_e32 v44, v40
	v_min_u32_e32 v44, 32, v44
	v_subrev_u32_e32 v52, 28, v44
	v_lshlrev_b64 v[52:53], v52, v[32:33]
	v_lshrrev_b32_e32 v42, 3, v34
	v_sub_u32_e32 v44, 29, v44
	v_and_b32_e32 v52, 7, v52
	v_cmp_gt_u32_e32 vcc, 8, v34
	v_cndmask_b32_e32 v34, v42, v44, vcc
	v_cndmask_b32_e32 v40, v40, v52, vcc
	v_lshlrev_b32_e32 v42, 24, v32
	v_lshlrev_b32_e32 v40, 20, v40
	v_and_b32_e32 v42, 0x80000000, v42
	v_lshl_add_u32 v34, v34, 23, v38
	v_or3_b32 v34, v42, v34, v40
	v_lshrrev_b32_e32 v40, 16, v34
.LBB934_117:                            ;   in Loop: Header=BB934_17 Depth=1
	s_or_b64 exec, exec, s[10:11]
.LBB934_118:                            ;   in Loop: Header=BB934_17 Depth=1
	s_or_b64 exec, exec, s[6:7]
.LBB934_119:                            ;   in Loop: Header=BB934_17 Depth=1
	s_or_b64 exec, exec, s[4:5]
	v_lshrrev_b16_e32 v34, 8, v32
	v_cmp_ne_u16_e32 vcc, 0, v34
	s_and_saveexec_b64 s[4:5], vcc
	s_cbranch_execz .LBB934_125
; %bb.120:                              ;   in Loop: Header=BB934_17 Depth=1
	v_cmp_ne_u16_e32 vcc, s13, v34
	v_mov_b32_e32 v23, 0xffff8000
	s_and_saveexec_b64 s[6:7], vcc
	s_cbranch_execz .LBB934_124
; %bb.121:                              ;   in Loop: Header=BB934_17 Depth=1
	v_and_b32_e32 v42, 0x7f, v34
	v_cmp_ne_u32_e32 vcc, s14, v42
	v_mov_b32_e32 v23, 0x7f80
	s_and_saveexec_b64 s[10:11], vcc
	s_cbranch_execz .LBB934_123
; %bb.122:                              ;   in Loop: Header=BB934_17 Depth=1
	v_and_b32_e32 v23, 7, v34
	v_ffbh_u32_e32 v52, v23
	v_min_u32_e32 v54, 32, v52
	v_subrev_u32_e32 v52, 28, v54
	v_lshlrev_b64 v[52:53], v52, v[34:35]
	v_lshrrev_b32_e32 v44, 3, v42
	v_sub_u32_e32 v34, 29, v54
	v_and_b32_e32 v52, 7, v52
	v_cmp_gt_u32_e32 vcc, 8, v42
	v_cndmask_b32_e32 v34, v44, v34, vcc
	v_cndmask_b32_e32 v23, v23, v52, vcc
	v_lshlrev_b32_e32 v42, 16, v32
	v_lshlrev_b32_e32 v23, 20, v23
	v_and_b32_e32 v42, 0x80000000, v42
	v_lshl_add_u32 v34, v34, 23, v38
	v_or3_b32 v23, v42, v34, v23
	v_lshrrev_b32_e32 v23, 16, v23
.LBB934_123:                            ;   in Loop: Header=BB934_17 Depth=1
	s_or_b64 exec, exec, s[10:11]
.LBB934_124:                            ;   in Loop: Header=BB934_17 Depth=1
	s_or_b64 exec, exec, s[6:7]
.LBB934_125:                            ;   in Loop: Header=BB934_17 Depth=1
	s_or_b64 exec, exec, s[4:5]
	v_lshrrev_b32_e32 v34, 16, v32
	v_cmp_ne_u16_sdwa s[6:7], v34, v35 src0_sel:BYTE_0 src1_sel:DWORD
	v_mov_b32_e32 v44, 0
	v_mov_b32_e32 v42, 0
	s_and_saveexec_b64 s[4:5], s[6:7]
	s_cbranch_execz .LBB934_131
; %bb.126:                              ;   in Loop: Header=BB934_17 Depth=1
	v_cmp_ne_u16_sdwa s[10:11], v34, s13 src0_sel:BYTE_0 src1_sel:DWORD
	v_mov_b32_e32 v42, 0xffff8000
	s_and_saveexec_b64 s[6:7], s[10:11]
	s_cbranch_execz .LBB934_130
; %bb.127:                              ;   in Loop: Header=BB934_17 Depth=1
	v_bfe_u32 v52, v32, 16, 7
	v_cmp_ne_u32_e32 vcc, s14, v52
	v_mov_b32_e32 v42, 0x7f80
	s_and_saveexec_b64 s[10:11], vcc
	s_cbranch_execz .LBB934_129
; %bb.128:                              ;   in Loop: Header=BB934_17 Depth=1
	v_and_b32_e32 v42, 7, v34
	v_ffbh_u32_e32 v54, v42
	v_min_u32_e32 v56, 32, v54
	v_subrev_u32_e32 v54, 28, v56
	v_lshlrev_b64 v[54:55], v54, v[34:35]
	v_lshrrev_b32_e32 v53, 3, v52
	v_sub_u32_e32 v55, 29, v56
	v_and_b32_e32 v54, 7, v54
	v_cmp_gt_u32_e32 vcc, 8, v52
	v_cndmask_b32_e32 v52, v53, v55, vcc
	v_cndmask_b32_e32 v42, v42, v54, vcc
	v_lshlrev_b32_e32 v34, 24, v34
	v_lshlrev_b32_e32 v42, 20, v42
	v_and_b32_e32 v34, 0x80000000, v34
	v_lshl_add_u32 v52, v52, 23, v38
	v_or3_b32 v34, v34, v52, v42
	v_lshrrev_b32_e32 v42, 16, v34
.LBB934_129:                            ;   in Loop: Header=BB934_17 Depth=1
	s_or_b64 exec, exec, s[10:11]
.LBB934_130:                            ;   in Loop: Header=BB934_17 Depth=1
	s_or_b64 exec, exec, s[6:7]
.LBB934_131:                            ;   in Loop: Header=BB934_17 Depth=1
	s_or_b64 exec, exec, s[4:5]
	v_cmp_lt_u32_e32 vcc, s15, v32
	s_and_saveexec_b64 s[4:5], vcc
	s_cbranch_execz .LBB934_137
; %bb.132:                              ;   in Loop: Header=BB934_17 Depth=1
	v_lshrrev_b32_e32 v34, 24, v32
	v_cmp_ne_u32_e32 vcc, s13, v34
	v_mov_b32_e32 v44, 0xffff8000
	s_and_saveexec_b64 s[6:7], vcc
	s_cbranch_execz .LBB934_136
; %bb.133:                              ;   in Loop: Header=BB934_17 Depth=1
	v_bfe_u32 v32, v32, 24, 7
	v_cmp_ne_u32_e32 vcc, s14, v32
	v_mov_b32_e32 v44, 0x7f80
	s_and_saveexec_b64 s[10:11], vcc
	s_cbranch_execz .LBB934_135
; %bb.134:                              ;   in Loop: Header=BB934_17 Depth=1
	v_and_b32_e32 v44, 7, v34
	v_ffbh_u32_e32 v52, v44
	v_min_u32_e32 v55, 32, v52
	v_subrev_u32_e32 v52, 28, v55
	v_lshlrev_b64 v[52:53], v52, v[34:35]
	v_lshrrev_b32_e32 v54, 3, v32
	v_sub_u32_e32 v53, 29, v55
	v_and_b32_e32 v52, 7, v52
	v_cmp_gt_u32_e32 vcc, 8, v32
	v_cndmask_b32_e32 v32, v54, v53, vcc
	v_cndmask_b32_e32 v44, v44, v52, vcc
	v_lshlrev_b32_e32 v34, 24, v34
	v_lshlrev_b32_e32 v44, 20, v44
	v_and_b32_e32 v34, 0x80000000, v34
	v_lshl_add_u32 v32, v32, 23, v38
	v_or3_b32 v32, v34, v32, v44
	v_lshrrev_b32_e32 v44, 16, v32
.LBB934_135:                            ;   in Loop: Header=BB934_17 Depth=1
	s_or_b64 exec, exec, s[10:11]
.LBB934_136:                            ;   in Loop: Header=BB934_17 Depth=1
	s_or_b64 exec, exec, s[6:7]
.LBB934_137:                            ;   in Loop: Header=BB934_17 Depth=1
	s_or_b64 exec, exec, s[4:5]
	s_waitcnt vmcnt(2)
	v_cmp_ne_u16_sdwa s[6:7], v30, v35 src0_sel:BYTE_0 src1_sel:DWORD
	v_mov_b32_e32 v34, 0
	v_mov_b32_e32 v52, 0
	s_and_saveexec_b64 s[4:5], s[6:7]
	s_cbranch_execz .LBB934_143
; %bb.138:                              ;   in Loop: Header=BB934_17 Depth=1
	v_cmp_ne_u16_sdwa s[10:11], v30, s13 src0_sel:BYTE_0 src1_sel:DWORD
	v_mov_b32_e32 v52, 0xffff8000
	s_and_saveexec_b64 s[6:7], s[10:11]
	s_cbranch_execz .LBB934_142
; %bb.139:                              ;   in Loop: Header=BB934_17 Depth=1
	v_and_b32_e32 v32, 0x7f, v30
	v_cmp_ne_u32_e32 vcc, s14, v32
	v_mov_b32_e32 v52, 0x7f80
	s_and_saveexec_b64 s[10:11], vcc
	s_cbranch_execz .LBB934_141
; %bb.140:                              ;   in Loop: Header=BB934_17 Depth=1
	v_and_b32_e32 v54, 7, v30
	v_ffbh_u32_e32 v52, v54
	v_min_u32_e32 v56, 32, v52
	v_subrev_u32_e32 v52, 28, v56
	v_lshlrev_b64 v[52:53], v52, v[30:31]
	v_lshrrev_b32_e32 v55, 3, v32
	v_sub_u32_e32 v53, 29, v56
	v_and_b32_e32 v52, 7, v52
	v_cmp_gt_u32_e32 vcc, 8, v32
	v_cndmask_b32_e32 v32, v55, v53, vcc
	v_cndmask_b32_e32 v52, v54, v52, vcc
	v_lshlrev_b32_e32 v53, 24, v30
	v_lshlrev_b32_e32 v52, 20, v52
	v_and_b32_e32 v53, 0x80000000, v53
	v_lshl_add_u32 v32, v32, 23, v38
	v_or3_b32 v32, v53, v32, v52
	v_lshrrev_b32_e32 v52, 16, v32
.LBB934_141:                            ;   in Loop: Header=BB934_17 Depth=1
	s_or_b64 exec, exec, s[10:11]
.LBB934_142:                            ;   in Loop: Header=BB934_17 Depth=1
	s_or_b64 exec, exec, s[6:7]
.LBB934_143:                            ;   in Loop: Header=BB934_17 Depth=1
	s_or_b64 exec, exec, s[4:5]
	v_lshrrev_b16_e32 v32, 8, v30
	v_cmp_ne_u16_e32 vcc, 0, v32
	s_and_saveexec_b64 s[4:5], vcc
	s_cbranch_execz .LBB934_149
; %bb.144:                              ;   in Loop: Header=BB934_17 Depth=1
	v_cmp_ne_u16_e32 vcc, s13, v32
	v_mov_b32_e32 v34, 0xffff8000
	s_and_saveexec_b64 s[6:7], vcc
	s_cbranch_execz .LBB934_148
; %bb.145:                              ;   in Loop: Header=BB934_17 Depth=1
	v_and_b32_e32 v53, 0x7f, v32
	v_cmp_ne_u32_e32 vcc, s14, v53
	v_mov_b32_e32 v34, 0x7f80
	s_and_saveexec_b64 s[10:11], vcc
	s_cbranch_execz .LBB934_147
; %bb.146:                              ;   in Loop: Header=BB934_17 Depth=1
	v_and_b32_e32 v34, 7, v32
	v_ffbh_u32_e32 v54, v34
	v_min_u32_e32 v57, 32, v54
	v_subrev_u32_e32 v54, 28, v57
	v_lshlrev_b64 v[54:55], v54, v[32:33]
	v_lshrrev_b32_e32 v56, 3, v53
	v_sub_u32_e32 v32, 29, v57
	v_and_b32_e32 v54, 7, v54
	v_cmp_gt_u32_e32 vcc, 8, v53
	v_cndmask_b32_e32 v32, v56, v32, vcc
	v_cndmask_b32_e32 v34, v34, v54, vcc
	v_lshlrev_b32_e32 v53, 16, v30
	v_lshlrev_b32_e32 v34, 20, v34
	v_and_b32_e32 v53, 0x80000000, v53
	v_lshl_add_u32 v32, v32, 23, v38
	v_or3_b32 v32, v53, v32, v34
	v_lshrrev_b32_e32 v34, 16, v32
.LBB934_147:                            ;   in Loop: Header=BB934_17 Depth=1
	s_or_b64 exec, exec, s[10:11]
.LBB934_148:                            ;   in Loop: Header=BB934_17 Depth=1
	s_or_b64 exec, exec, s[6:7]
.LBB934_149:                            ;   in Loop: Header=BB934_17 Depth=1
	s_or_b64 exec, exec, s[4:5]
	v_lshrrev_b32_e32 v32, 16, v30
	v_cmp_ne_u16_sdwa s[6:7], v32, v35 src0_sel:BYTE_0 src1_sel:DWORD
	v_mov_b32_e32 v54, 0
	v_mov_b32_e32 v53, 0
	s_and_saveexec_b64 s[4:5], s[6:7]
	s_cbranch_execz .LBB934_155
; %bb.150:                              ;   in Loop: Header=BB934_17 Depth=1
	v_cmp_ne_u16_sdwa s[10:11], v32, s13 src0_sel:BYTE_0 src1_sel:DWORD
	v_mov_b32_e32 v53, 0xffff8000
	s_and_saveexec_b64 s[6:7], s[10:11]
	s_cbranch_execz .LBB934_154
; %bb.151:                              ;   in Loop: Header=BB934_17 Depth=1
	v_bfe_u32 v55, v30, 16, 7
	v_cmp_ne_u32_e32 vcc, s14, v55
	v_mov_b32_e32 v53, 0x7f80
	s_and_saveexec_b64 s[10:11], vcc
	s_cbranch_execz .LBB934_153
; %bb.152:                              ;   in Loop: Header=BB934_17 Depth=1
	v_and_b32_e32 v53, 7, v32
	v_ffbh_u32_e32 v56, v53
	v_min_u32_e32 v59, 32, v56
	v_subrev_u32_e32 v56, 28, v59
	v_lshlrev_b64 v[56:57], v56, v[32:33]
	v_lshrrev_b32_e32 v58, 3, v55
	v_sub_u32_e32 v57, 29, v59
	v_and_b32_e32 v56, 7, v56
	v_cmp_gt_u32_e32 vcc, 8, v55
	v_cndmask_b32_e32 v55, v58, v57, vcc
	v_cndmask_b32_e32 v53, v53, v56, vcc
	v_lshlrev_b32_e32 v32, 24, v32
	v_lshlrev_b32_e32 v53, 20, v53
	v_and_b32_e32 v32, 0x80000000, v32
	v_lshl_add_u32 v55, v55, 23, v38
	v_or3_b32 v32, v32, v55, v53
	v_lshrrev_b32_e32 v53, 16, v32
.LBB934_153:                            ;   in Loop: Header=BB934_17 Depth=1
	s_or_b64 exec, exec, s[10:11]
.LBB934_154:                            ;   in Loop: Header=BB934_17 Depth=1
	s_or_b64 exec, exec, s[6:7]
.LBB934_155:                            ;   in Loop: Header=BB934_17 Depth=1
	s_or_b64 exec, exec, s[4:5]
	v_cmp_lt_u32_e32 vcc, s15, v30
	s_and_saveexec_b64 s[4:5], vcc
	s_cbranch_execz .LBB934_161
; %bb.156:                              ;   in Loop: Header=BB934_17 Depth=1
	v_lshrrev_b32_e32 v32, 24, v30
	v_cmp_ne_u32_e32 vcc, s13, v32
	v_mov_b32_e32 v54, 0xffff8000
	s_and_saveexec_b64 s[6:7], vcc
	s_cbranch_execz .LBB934_160
; %bb.157:                              ;   in Loop: Header=BB934_17 Depth=1
	v_bfe_u32 v30, v30, 24, 7
	v_cmp_ne_u32_e32 vcc, s14, v30
	v_mov_b32_e32 v54, 0x7f80
	s_and_saveexec_b64 s[10:11], vcc
	s_cbranch_execz .LBB934_159
; %bb.158:                              ;   in Loop: Header=BB934_17 Depth=1
	v_and_b32_e32 v56, 7, v32
	v_ffbh_u32_e32 v54, v56
	v_min_u32_e32 v58, 32, v54
	v_subrev_u32_e32 v54, 28, v58
	v_lshlrev_b64 v[54:55], v54, v[32:33]
	v_lshrrev_b32_e32 v57, 3, v30
	v_sub_u32_e32 v55, 29, v58
	v_and_b32_e32 v54, 7, v54
	v_cmp_gt_u32_e32 vcc, 8, v30
	v_cndmask_b32_e32 v30, v57, v55, vcc
	v_cndmask_b32_e32 v54, v56, v54, vcc
	v_lshlrev_b32_e32 v32, 24, v32
	v_lshlrev_b32_e32 v54, 20, v54
	v_and_b32_e32 v32, 0x80000000, v32
	v_lshl_add_u32 v30, v30, 23, v38
	v_or3_b32 v30, v32, v30, v54
	v_lshrrev_b32_e32 v54, 16, v30
.LBB934_159:                            ;   in Loop: Header=BB934_17 Depth=1
	s_or_b64 exec, exec, s[10:11]
.LBB934_160:                            ;   in Loop: Header=BB934_17 Depth=1
	s_or_b64 exec, exec, s[6:7]
.LBB934_161:                            ;   in Loop: Header=BB934_17 Depth=1
	s_or_b64 exec, exec, s[4:5]
	v_perm_b32 v57, v44, v42, s16
	v_perm_b32 v56, v23, v40, s16
	;; [unrolled: 1-line block ×4, first 2 shown]
	s_waitcnt vmcnt(1)
	v_cmp_ne_u16_sdwa s[6:7], v28, v35 src0_sel:BYTE_0 src1_sel:DWORD
	v_mfma_f32_16x16x16bf16_1k v[18:21], v[56:57], v[10:11], v[18:21]
	v_mov_b32_e32 v23, 0
	v_mov_b32_e32 v32, 0
	v_mfma_f32_16x16x16bf16_1k v[18:21], v[52:53], v[12:13], v[18:21]
	s_and_saveexec_b64 s[4:5], s[6:7]
	s_cbranch_execz .LBB934_167
; %bb.162:                              ;   in Loop: Header=BB934_17 Depth=1
	v_cmp_ne_u16_sdwa s[10:11], v28, s13 src0_sel:BYTE_0 src1_sel:DWORD
	v_mov_b32_e32 v32, 0xffff8000
	s_and_saveexec_b64 s[6:7], s[10:11]
	s_cbranch_execz .LBB934_166
; %bb.163:                              ;   in Loop: Header=BB934_17 Depth=1
	v_and_b32_e32 v30, 0x7f, v28
	v_cmp_ne_u32_e32 vcc, s14, v30
	v_mov_b32_e32 v32, 0x7f80
	s_and_saveexec_b64 s[10:11], vcc
	s_cbranch_execz .LBB934_165
; %bb.164:                              ;   in Loop: Header=BB934_17 Depth=1
	v_and_b32_e32 v32, 7, v28
	v_ffbh_u32_e32 v40, v32
	v_min_u32_e32 v40, 32, v40
	v_subrev_u32_e32 v42, 28, v40
	v_lshlrev_b64 v[52:53], v42, v[28:29]
	v_lshrrev_b32_e32 v34, 3, v30
	v_sub_u32_e32 v40, 29, v40
	v_and_b32_e32 v42, 7, v52
	v_cmp_gt_u32_e32 vcc, 8, v30
	v_cndmask_b32_e32 v30, v34, v40, vcc
	v_cndmask_b32_e32 v32, v32, v42, vcc
	v_lshlrev_b32_e32 v34, 24, v28
	v_lshlrev_b32_e32 v32, 20, v32
	v_and_b32_e32 v34, 0x80000000, v34
	v_lshl_add_u32 v30, v30, 23, v38
	v_or3_b32 v30, v34, v30, v32
	v_lshrrev_b32_e32 v32, 16, v30
.LBB934_165:                            ;   in Loop: Header=BB934_17 Depth=1
	s_or_b64 exec, exec, s[10:11]
.LBB934_166:                            ;   in Loop: Header=BB934_17 Depth=1
	s_or_b64 exec, exec, s[6:7]
.LBB934_167:                            ;   in Loop: Header=BB934_17 Depth=1
	s_or_b64 exec, exec, s[4:5]
	v_lshrrev_b16_e32 v30, 8, v28
	v_cmp_ne_u16_e32 vcc, 0, v30
	s_and_saveexec_b64 s[4:5], vcc
	s_cbranch_execz .LBB934_173
; %bb.168:                              ;   in Loop: Header=BB934_17 Depth=1
	v_cmp_ne_u16_e32 vcc, s13, v30
	v_mov_b32_e32 v23, 0xffff8000
	s_and_saveexec_b64 s[6:7], vcc
	s_cbranch_execz .LBB934_172
; %bb.169:                              ;   in Loop: Header=BB934_17 Depth=1
	v_and_b32_e32 v34, 0x7f, v30
	v_cmp_ne_u32_e32 vcc, s14, v34
	v_mov_b32_e32 v23, 0x7f80
	s_and_saveexec_b64 s[10:11], vcc
	s_cbranch_execz .LBB934_171
; %bb.170:                              ;   in Loop: Header=BB934_17 Depth=1
	v_and_b32_e32 v23, 7, v30
	v_ffbh_u32_e32 v42, v23
	v_min_u32_e32 v42, 32, v42
	v_subrev_u32_e32 v44, 28, v42
	v_lshlrev_b64 v[52:53], v44, v[30:31]
	v_lshrrev_b32_e32 v40, 3, v34
	v_sub_u32_e32 v30, 29, v42
	v_and_b32_e32 v42, 7, v52
	v_cmp_gt_u32_e32 vcc, 8, v34
	v_cndmask_b32_e32 v30, v40, v30, vcc
	v_cndmask_b32_e32 v23, v23, v42, vcc
	v_lshlrev_b32_e32 v34, 16, v28
	v_lshlrev_b32_e32 v23, 20, v23
	v_and_b32_e32 v34, 0x80000000, v34
	v_lshl_add_u32 v30, v30, 23, v38
	v_or3_b32 v23, v34, v30, v23
	v_lshrrev_b32_e32 v23, 16, v23
.LBB934_171:                            ;   in Loop: Header=BB934_17 Depth=1
	s_or_b64 exec, exec, s[10:11]
.LBB934_172:                            ;   in Loop: Header=BB934_17 Depth=1
	s_or_b64 exec, exec, s[6:7]
.LBB934_173:                            ;   in Loop: Header=BB934_17 Depth=1
	s_or_b64 exec, exec, s[4:5]
	v_lshrrev_b32_e32 v30, 16, v28
	v_cmp_ne_u16_sdwa s[6:7], v30, v35 src0_sel:BYTE_0 src1_sel:DWORD
	v_mov_b32_e32 v40, 0
	v_mov_b32_e32 v34, 0
	s_and_saveexec_b64 s[4:5], s[6:7]
	s_cbranch_execz .LBB934_179
; %bb.174:                              ;   in Loop: Header=BB934_17 Depth=1
	v_cmp_ne_u16_sdwa s[10:11], v30, s13 src0_sel:BYTE_0 src1_sel:DWORD
	v_mov_b32_e32 v34, 0xffff8000
	s_and_saveexec_b64 s[6:7], s[10:11]
	s_cbranch_execz .LBB934_178
; %bb.175:                              ;   in Loop: Header=BB934_17 Depth=1
	v_bfe_u32 v42, v28, 16, 7
	v_cmp_ne_u32_e32 vcc, s14, v42
	v_mov_b32_e32 v34, 0x7f80
	s_and_saveexec_b64 s[10:11], vcc
	s_cbranch_execz .LBB934_177
; %bb.176:                              ;   in Loop: Header=BB934_17 Depth=1
	v_and_b32_e32 v34, 7, v30
	v_ffbh_u32_e32 v52, v34
	v_min_u32_e32 v54, 32, v52
	v_subrev_u32_e32 v52, 28, v54
	v_lshlrev_b64 v[52:53], v52, v[30:31]
	v_lshrrev_b32_e32 v44, 3, v42
	v_sub_u32_e32 v53, 29, v54
	v_and_b32_e32 v52, 7, v52
	v_cmp_gt_u32_e32 vcc, 8, v42
	v_cndmask_b32_e32 v42, v44, v53, vcc
	v_cndmask_b32_e32 v34, v34, v52, vcc
	v_lshlrev_b32_e32 v30, 24, v30
	v_lshlrev_b32_e32 v34, 20, v34
	v_and_b32_e32 v30, 0x80000000, v30
	v_lshl_add_u32 v42, v42, 23, v38
	v_or3_b32 v30, v30, v42, v34
	v_lshrrev_b32_e32 v34, 16, v30
.LBB934_177:                            ;   in Loop: Header=BB934_17 Depth=1
	s_or_b64 exec, exec, s[10:11]
.LBB934_178:                            ;   in Loop: Header=BB934_17 Depth=1
	s_or_b64 exec, exec, s[6:7]
.LBB934_179:                            ;   in Loop: Header=BB934_17 Depth=1
	s_or_b64 exec, exec, s[4:5]
	v_cmp_lt_u32_e32 vcc, s15, v28
	s_and_saveexec_b64 s[4:5], vcc
	s_cbranch_execz .LBB934_185
; %bb.180:                              ;   in Loop: Header=BB934_17 Depth=1
	v_lshrrev_b32_e32 v30, 24, v28
	v_cmp_ne_u32_e32 vcc, s13, v30
	v_mov_b32_e32 v40, 0xffff8000
	s_and_saveexec_b64 s[6:7], vcc
	s_cbranch_execz .LBB934_184
; %bb.181:                              ;   in Loop: Header=BB934_17 Depth=1
	v_bfe_u32 v28, v28, 24, 7
	v_cmp_ne_u32_e32 vcc, s14, v28
	v_mov_b32_e32 v40, 0x7f80
	s_and_saveexec_b64 s[10:11], vcc
	s_cbranch_execz .LBB934_183
; %bb.182:                              ;   in Loop: Header=BB934_17 Depth=1
	v_and_b32_e32 v40, 7, v30
	v_ffbh_u32_e32 v44, v40
	v_min_u32_e32 v44, 32, v44
	v_subrev_u32_e32 v52, 28, v44
	v_lshlrev_b64 v[52:53], v52, v[30:31]
	v_lshrrev_b32_e32 v42, 3, v28
	v_sub_u32_e32 v44, 29, v44
	v_and_b32_e32 v52, 7, v52
	v_cmp_gt_u32_e32 vcc, 8, v28
	v_cndmask_b32_e32 v28, v42, v44, vcc
	v_cndmask_b32_e32 v40, v40, v52, vcc
	v_lshlrev_b32_e32 v30, 24, v30
	v_lshlrev_b32_e32 v40, 20, v40
	v_and_b32_e32 v30, 0x80000000, v30
	v_lshl_add_u32 v28, v28, 23, v38
	v_or3_b32 v28, v30, v28, v40
	v_lshrrev_b32_e32 v40, 16, v28
.LBB934_183:                            ;   in Loop: Header=BB934_17 Depth=1
	s_or_b64 exec, exec, s[10:11]
.LBB934_184:                            ;   in Loop: Header=BB934_17 Depth=1
	s_or_b64 exec, exec, s[6:7]
.LBB934_185:                            ;   in Loop: Header=BB934_17 Depth=1
	s_or_b64 exec, exec, s[4:5]
	s_waitcnt vmcnt(0)
	v_cmp_ne_u16_sdwa s[6:7], v26, v35 src0_sel:BYTE_0 src1_sel:DWORD
	v_mov_b32_e32 v30, 0
	v_mov_b32_e32 v42, 0
	s_and_saveexec_b64 s[4:5], s[6:7]
	s_cbranch_execz .LBB934_191
; %bb.186:                              ;   in Loop: Header=BB934_17 Depth=1
	v_cmp_ne_u16_sdwa s[10:11], v26, s13 src0_sel:BYTE_0 src1_sel:DWORD
	v_mov_b32_e32 v42, 0xffff8000
	s_and_saveexec_b64 s[6:7], s[10:11]
	s_cbranch_execz .LBB934_190
; %bb.187:                              ;   in Loop: Header=BB934_17 Depth=1
	v_and_b32_e32 v28, 0x7f, v26
	v_cmp_ne_u32_e32 vcc, s14, v28
	v_mov_b32_e32 v42, 0x7f80
	s_and_saveexec_b64 s[10:11], vcc
	s_cbranch_execz .LBB934_189
; %bb.188:                              ;   in Loop: Header=BB934_17 Depth=1
	v_and_b32_e32 v42, 7, v26
	v_ffbh_u32_e32 v52, v42
	v_min_u32_e32 v54, 32, v52
	v_subrev_u32_e32 v52, 28, v54
	v_lshlrev_b64 v[52:53], v52, v[26:27]
	v_lshrrev_b32_e32 v44, 3, v28
	v_sub_u32_e32 v53, 29, v54
	v_and_b32_e32 v52, 7, v52
	v_cmp_gt_u32_e32 vcc, 8, v28
	v_cndmask_b32_e32 v28, v44, v53, vcc
	v_cndmask_b32_e32 v42, v42, v52, vcc
	v_lshlrev_b32_e32 v44, 24, v26
	v_lshlrev_b32_e32 v42, 20, v42
	v_and_b32_e32 v44, 0x80000000, v44
	v_lshl_add_u32 v28, v28, 23, v38
	v_or3_b32 v28, v44, v28, v42
	v_lshrrev_b32_e32 v42, 16, v28
.LBB934_189:                            ;   in Loop: Header=BB934_17 Depth=1
	s_or_b64 exec, exec, s[10:11]
.LBB934_190:                            ;   in Loop: Header=BB934_17 Depth=1
	s_or_b64 exec, exec, s[6:7]
.LBB934_191:                            ;   in Loop: Header=BB934_17 Depth=1
	s_or_b64 exec, exec, s[4:5]
	v_lshrrev_b16_e32 v28, 8, v26
	v_cmp_ne_u16_e32 vcc, 0, v28
	s_and_saveexec_b64 s[4:5], vcc
	s_cbranch_execz .LBB934_197
; %bb.192:                              ;   in Loop: Header=BB934_17 Depth=1
	v_cmp_ne_u16_e32 vcc, s13, v28
	v_mov_b32_e32 v30, 0xffff8000
	s_and_saveexec_b64 s[6:7], vcc
	s_cbranch_execz .LBB934_196
; %bb.193:                              ;   in Loop: Header=BB934_17 Depth=1
	v_and_b32_e32 v44, 0x7f, v28
	v_cmp_ne_u32_e32 vcc, s14, v44
	v_mov_b32_e32 v30, 0x7f80
	s_and_saveexec_b64 s[10:11], vcc
	s_cbranch_execz .LBB934_195
; %bb.194:                              ;   in Loop: Header=BB934_17 Depth=1
	v_and_b32_e32 v30, 7, v28
	v_ffbh_u32_e32 v52, v30
	v_min_u32_e32 v55, 32, v52
	v_subrev_u32_e32 v52, 28, v55
	v_lshlrev_b64 v[52:53], v52, v[28:29]
	v_lshrrev_b32_e32 v54, 3, v44
	v_sub_u32_e32 v28, 29, v55
	v_and_b32_e32 v52, 7, v52
	v_cmp_gt_u32_e32 vcc, 8, v44
	v_cndmask_b32_e32 v28, v54, v28, vcc
	v_cndmask_b32_e32 v30, v30, v52, vcc
	v_lshlrev_b32_e32 v44, 16, v26
	v_lshlrev_b32_e32 v30, 20, v30
	v_and_b32_e32 v44, 0x80000000, v44
	v_lshl_add_u32 v28, v28, 23, v38
	v_or3_b32 v28, v44, v28, v30
	v_lshrrev_b32_e32 v30, 16, v28
.LBB934_195:                            ;   in Loop: Header=BB934_17 Depth=1
	s_or_b64 exec, exec, s[10:11]
.LBB934_196:                            ;   in Loop: Header=BB934_17 Depth=1
	s_or_b64 exec, exec, s[6:7]
.LBB934_197:                            ;   in Loop: Header=BB934_17 Depth=1
	s_or_b64 exec, exec, s[4:5]
	v_lshrrev_b32_e32 v28, 16, v26
	v_cmp_ne_u16_sdwa s[6:7], v28, v35 src0_sel:BYTE_0 src1_sel:DWORD
	v_mov_b32_e32 v52, 0
	v_mov_b32_e32 v44, 0
	s_and_saveexec_b64 s[4:5], s[6:7]
	s_cbranch_execz .LBB934_203
; %bb.198:                              ;   in Loop: Header=BB934_17 Depth=1
	v_cmp_ne_u16_sdwa s[10:11], v28, s13 src0_sel:BYTE_0 src1_sel:DWORD
	v_mov_b32_e32 v44, 0xffff8000
	s_and_saveexec_b64 s[6:7], s[10:11]
	s_cbranch_execz .LBB934_202
; %bb.199:                              ;   in Loop: Header=BB934_17 Depth=1
	v_bfe_u32 v53, v26, 16, 7
	v_cmp_ne_u32_e32 vcc, s14, v53
	v_mov_b32_e32 v44, 0x7f80
	s_and_saveexec_b64 s[10:11], vcc
	s_cbranch_execz .LBB934_201
; %bb.200:                              ;   in Loop: Header=BB934_17 Depth=1
	v_and_b32_e32 v44, 7, v28
	v_ffbh_u32_e32 v54, v44
	v_min_u32_e32 v57, 32, v54
	v_subrev_u32_e32 v54, 28, v57
	v_lshlrev_b64 v[54:55], v54, v[28:29]
	v_lshrrev_b32_e32 v56, 3, v53
	v_sub_u32_e32 v55, 29, v57
	v_and_b32_e32 v54, 7, v54
	v_cmp_gt_u32_e32 vcc, 8, v53
	v_cndmask_b32_e32 v53, v56, v55, vcc
	v_cndmask_b32_e32 v44, v44, v54, vcc
	v_lshlrev_b32_e32 v28, 24, v28
	v_lshlrev_b32_e32 v44, 20, v44
	v_and_b32_e32 v28, 0x80000000, v28
	v_lshl_add_u32 v53, v53, 23, v38
	v_or3_b32 v28, v28, v53, v44
	v_lshrrev_b32_e32 v44, 16, v28
.LBB934_201:                            ;   in Loop: Header=BB934_17 Depth=1
	s_or_b64 exec, exec, s[10:11]
.LBB934_202:                            ;   in Loop: Header=BB934_17 Depth=1
	s_or_b64 exec, exec, s[6:7]
.LBB934_203:                            ;   in Loop: Header=BB934_17 Depth=1
	s_or_b64 exec, exec, s[4:5]
	v_cmp_lt_u32_e32 vcc, s15, v26
	s_and_saveexec_b64 s[4:5], vcc
	s_cbranch_execz .LBB934_16
; %bb.204:                              ;   in Loop: Header=BB934_17 Depth=1
	v_lshrrev_b32_e32 v28, 24, v26
	v_cmp_ne_u32_e32 vcc, s13, v28
	v_mov_b32_e32 v52, 0xffff8000
	s_and_saveexec_b64 s[6:7], vcc
	s_cbranch_execz .LBB934_15
; %bb.205:                              ;   in Loop: Header=BB934_17 Depth=1
	v_bfe_u32 v26, v26, 24, 7
	v_cmp_ne_u32_e32 vcc, s14, v26
	v_mov_b32_e32 v52, 0x7f80
	s_and_saveexec_b64 s[10:11], vcc
	s_cbranch_execz .LBB934_14
; %bb.206:                              ;   in Loop: Header=BB934_17 Depth=1
	v_and_b32_e32 v54, 7, v28
	v_ffbh_u32_e32 v52, v54
	v_min_u32_e32 v56, 32, v52
	v_subrev_u32_e32 v52, 28, v56
	v_lshlrev_b64 v[52:53], v52, v[28:29]
	v_lshrrev_b32_e32 v55, 3, v26
	v_sub_u32_e32 v53, 29, v56
	v_and_b32_e32 v52, 7, v52
	v_cmp_gt_u32_e32 vcc, 8, v26
	v_cndmask_b32_e32 v26, v55, v53, vcc
	v_cndmask_b32_e32 v52, v54, v52, vcc
	v_lshlrev_b32_e32 v28, 24, v28
	v_lshlrev_b32_e32 v52, 20, v52
	v_and_b32_e32 v28, 0x80000000, v28
	v_lshl_add_u32 v26, v26, 23, v38
	v_or3_b32 v26, v28, v26, v52
	v_lshrrev_b32_e32 v52, 16, v26
	s_branch .LBB934_14
.LBB934_207:
	buffer_load_dword v17, off, s[0:3], 0 offset:256
	buffer_load_dword v16, off, s[0:3], 0 offset:260
	;; [unrolled: 1-line block ×16, first 2 shown]
	v_and_b32_e32 v18, 0xc0, v0
	v_add_u32_e32 v18, s20, v18
	v_lshl_or_b32 v18, v1, 2, v18
	v_or_b32_e32 v20, 1, v18
	v_subrev_u32_e32 v24, s33, v20
	v_add_u32_e32 v26, 1, v24
	v_cvt_f32_i32_e32 v25, v24
	v_add_u32_e32 v28, 2, v24
	v_add_u32_e32 v30, 3, v24
	;; [unrolled: 1-line block ×14, first 2 shown]
	v_cvt_f32_i32_e32 v26, v26
	v_cvt_f32_i32_e32 v28, v28
	;; [unrolled: 1-line block ×4, first 2 shown]
	v_mov_b32_e32 v19, 0xff7fffff
	v_or_b32_e32 v21, 2, v18
	v_or_b32_e32 v22, 3, v18
	v_cvt_f32_i32_e32 v32, v32
	v_cvt_f32_i32_e32 v34, v34
	v_cmp_gt_i32_e64 s[28:29], s33, v18
	v_cmp_gt_i32_e64 s[30:31], s33, v20
	s_mov_b32 s52, 0xff7fffff
	v_cmp_gt_i32_e64 s[34:35], s33, v21
	v_cmp_gt_i32_e64 s[36:37], s33, v22
	v_or_b32_e32 v23, 16, v18
	v_cvt_f32_i32_e32 v35, v35
	v_cvt_f32_i32_e32 v36, v36
	v_cmp_gt_i32_e64 s[24:25], s33, v23
	v_cvt_f32_i32_e32 v37, v37
	v_cvt_f32_i32_e32 v38, v38
	;; [unrolled: 1-line block ×7, first 2 shown]
	s_waitcnt vmcnt(15)
	v_fmac_f32_e32 v17, v31, v25
	s_waitcnt vmcnt(14)
	v_fmac_f32_e32 v16, v31, v26
	;; [unrolled: 2-line block ×4, first 2 shown]
	v_cndmask_b32_e64 v20, v19, v16, s[30:31]
	v_cndmask_b32_e64 v21, v19, v15, s[34:35]
	;; [unrolled: 1-line block ×3, first 2 shown]
	s_waitcnt vmcnt(11)
	v_fmac_f32_e32 v13, v31, v32
	s_waitcnt vmcnt(10)
	v_fmac_f32_e32 v12, v31, v34
	;; [unrolled: 2-line block ×9, first 2 shown]
	v_cndmask_b32_e64 v24, v19, v17, s[28:29]
	v_max3_f32 v20, v24, s52, v20
	v_max3_f32 v20, v20, v21, v22
	v_or_b32_e32 v22, 17, v18
	v_cmp_gt_i32_e64 s[38:39], s33, v22
	v_cndmask_b32_e64 v21, v19, v13, s[24:25]
	v_cndmask_b32_e64 v22, v19, v12, s[38:39]
	v_max3_f32 v20, v20, v21, v22
	v_or_b32_e32 v21, 18, v18
	v_or_b32_e32 v22, 19, v18
	v_cmp_gt_i32_e64 s[20:21], s33, v21
	v_cmp_gt_i32_e64 s[22:23], s33, v22
	v_cndmask_b32_e64 v21, v19, v11, s[20:21]
	v_cndmask_b32_e64 v22, v19, v10, s[22:23]
	v_max3_f32 v20, v20, v21, v22
	v_or_b32_e32 v21, 32, v18
	v_or_b32_e32 v22, 33, v18
	v_cmp_gt_i32_e64 s[16:17], s33, v21
	;; [unrolled: 7-line block ×3, first 2 shown]
	v_cmp_gt_i32_e64 s[14:15], s33, v22
	v_cndmask_b32_e64 v21, v19, v7, s[12:13]
	v_cndmask_b32_e64 v22, v19, v6, s[14:15]
	v_max3_f32 v20, v20, v21, v22
	v_or_b32_e32 v21, 48, v18
	v_or_b32_e32 v22, 49, v18
	v_fmac_f32_e32 v5, v31, v44
	v_fmac_f32_e32 v4, v31, v52
	v_cmp_gt_i32_e64 s[6:7], s33, v21
	v_cmp_gt_i32_e64 s[10:11], s33, v22
	v_cndmask_b32_e64 v21, v19, v5, s[6:7]
	v_cndmask_b32_e64 v22, v19, v4, s[10:11]
	v_max3_f32 v20, v20, v21, v22
	v_or_b32_e32 v21, 50, v18
	v_or_b32_e32 v18, 51, v18
	v_fmac_f32_e32 v3, v31, v53
	v_cmp_gt_i32_e32 vcc, s33, v21
	v_cmp_gt_i32_e64 s[4:5], s33, v18
	v_cndmask_b32_e32 v21, v19, v3, vcc
	v_cndmask_b32_e64 v18, v19, v2, s[4:5]
	v_mbcnt_lo_u32_b32 v19, -1, 0
	v_mbcnt_hi_u32_b32 v19, -1, v19
	v_max3_f32 v18, v20, v21, v18
	v_and_b32_e32 v20, 64, v19
	v_add_u32_e32 v20, 64, v20
	v_xor_b32_e32 v21, 32, v19
	v_cmp_lt_i32_e64 s[40:41], v21, v20
	v_cndmask_b32_e64 v21, v19, v21, s[40:41]
	v_lshlrev_b32_e32 v21, 2, v21
	ds_bpermute_b32 v22, v21, v18
	s_waitcnt lgkmcnt(0)
	v_max_f32_e32 v22, v22, v22
	v_max_f32_e32 v18, v18, v22
	v_xor_b32_e32 v22, 16, v19
	v_cmp_lt_i32_e64 s[40:41], v22, v20
	v_cndmask_b32_e64 v19, v19, v22, s[40:41]
	v_lshlrev_b32_e32 v19, 2, v19
	ds_bpermute_b32 v20, v19, v18
	s_waitcnt lgkmcnt(0)
	v_max_f32_e32 v20, v20, v20
	v_max_f32_e32 v18, v18, v20
	v_sub_f32_e32 v17, v17, v18
	v_mul_f32_e32 v17, 0x3fb8aa3b, v17
	v_sub_f32_e32 v16, v16, v18
	v_exp_f32_e32 v17, v17
	v_mul_f32_e32 v16, 0x3fb8aa3b, v16
	v_sub_f32_e32 v15, v15, v18
	v_exp_f32_e32 v16, v16
	;; [unrolled: 3-line block ×4, first 2 shown]
	v_mul_f32_e32 v13, 0x3fb8aa3b, v13
	v_sub_f32_e32 v12, v12, v18
	v_cndmask_b32_e64 v17, 0, v17, s[28:29]
	v_exp_f32_e32 v13, v13
	v_mul_f32_e32 v12, 0x3fb8aa3b, v12
	v_sub_f32_e32 v11, v11, v18
	v_add_f32_e32 v20, 0, v17
	v_cndmask_b32_e64 v16, 0, v16, s[30:31]
	v_exp_f32_e32 v12, v12
	v_mul_f32_e32 v11, 0x3fb8aa3b, v11
	v_sub_f32_e32 v10, v10, v18
	v_add_f32_e32 v20, v20, v16
	;; [unrolled: 5-line block ×4, first 2 shown]
	v_cndmask_b32_e64 v13, 0, v13, s[24:25]
	v_exp_f32_e32 v9, v9
	v_mul_f32_e32 v8, 0x3fb8aa3b, v8
	v_sub_f32_e32 v7, v7, v18
	buffer_store_dword v17, off, s[0:3], 0 offset:256
	buffer_store_dword v16, off, s[0:3], 0 offset:260
	;; [unrolled: 1-line block ×4, first 2 shown]
	v_add_f32_e32 v14, v20, v13
	v_cndmask_b32_e64 v12, 0, v12, s[38:39]
	v_exp_f32_e32 v8, v8
	v_mul_f32_e32 v7, 0x3fb8aa3b, v7
	v_sub_f32_e32 v6, v6, v18
	v_add_f32_e32 v14, v14, v12
	v_cndmask_b32_e64 v11, 0, v11, s[20:21]
	v_exp_f32_e32 v7, v7
	v_mul_f32_e32 v6, 0x3fb8aa3b, v6
	v_sub_f32_e32 v5, v5, v18
	;; [unrolled: 5-line block ×4, first 2 shown]
	buffer_store_dword v13, off, s[0:3], 0 offset:272
	buffer_store_dword v12, off, s[0:3], 0 offset:276
	;; [unrolled: 1-line block ×4, first 2 shown]
	v_add_f32_e32 v10, v14, v9
	v_cndmask_b32_e64 v8, 0, v8, s[18:19]
	v_exp_f32_e32 v4, v4
	v_mul_f32_e32 v3, 0x3fb8aa3b, v3
	v_sub_f32_e32 v2, v2, v18
	v_add_f32_e32 v10, v10, v8
	v_cndmask_b32_e64 v7, 0, v7, s[12:13]
	v_exp_f32_e32 v3, v3
	v_mul_f32_e32 v2, 0x3fb8aa3b, v2
	v_add_f32_e32 v10, v10, v7
	v_cndmask_b32_e64 v6, 0, v6, s[14:15]
	v_exp_f32_e32 v2, v2
	v_add_f32_e32 v10, v10, v6
	v_cndmask_b32_e64 v5, 0, v5, s[6:7]
	buffer_store_dword v9, off, s[0:3], 0 offset:288
	buffer_store_dword v8, off, s[0:3], 0 offset:292
	;; [unrolled: 1-line block ×4, first 2 shown]
	v_add_f32_e32 v6, v10, v5
	v_cndmask_b32_e64 v4, 0, v4, s[10:11]
	v_add_f32_e32 v6, v6, v4
	v_cndmask_b32_e32 v3, 0, v3, vcc
	v_add_f32_e32 v6, v6, v3
	v_cndmask_b32_e64 v2, 0, v2, s[4:5]
	v_add_f32_e32 v6, v6, v2
	ds_bpermute_b32 v7, v21, v6
	buffer_store_dword v5, off, s[0:3], 0 offset:304
	buffer_store_dword v4, off, s[0:3], 0 offset:308
	;; [unrolled: 1-line block ×4, first 2 shown]
	v_cmp_gt_u32_e64 s[4:5], 16, v33
	s_waitcnt lgkmcnt(0)
	s_barrier
	v_add_f32_e32 v2, v6, v7
	ds_bpermute_b32 v3, v19, v2
	s_waitcnt lgkmcnt(0)
	s_and_saveexec_b64 s[6:7], s[4:5]
	s_cbranch_execz .LBB934_209
; %bb.208:
	v_add_f32_e32 v2, v2, v3
	v_lshlrev_b32_e32 v3, 2, v29
	ds_write2st64_b32 v3, v18, v2 offset1:1
.LBB934_209:
	s_or_b64 exec, exec, s[6:7]
	v_lshlrev_b32_e32 v2, 2, v41
	s_waitcnt lgkmcnt(0)
	s_barrier
	ds_read2_b32 v[14:15], v2 offset1:16
	ds_read2_b32 v[16:17], v2 offset0:32 offset1:48
	ds_read2_b32 v[6:7], v2 offset0:64 offset1:80
	;; [unrolled: 1-line block ×3, first 2 shown]
	s_waitcnt lgkmcnt(0)
	s_barrier
	buffer_load_dword v22, off, s[0:3], 0 offset:264
	buffer_load_dword v23, off, s[0:3], 0 offset:268
	;; [unrolled: 1-line block ×16, first 2 shown]
	v_max3_f32 v20, v14, s52, v15
	v_max3_f32 v20, v20, v16, v17
	v_sub_f32_e32 v14, v14, v20
	v_sub_f32_e32 v15, v15, v20
	v_mul_f32_e32 v14, 0x3fb8aa3b, v14
	v_sub_f32_e32 v16, v16, v20
	v_mul_f32_e32 v15, 0x3fb8aa3b, v15
	v_exp_f32_e32 v14, v14
	v_sub_f32_e32 v17, v17, v20
	v_mul_f32_e32 v16, 0x3fb8aa3b, v16
	v_exp_f32_e32 v15, v15
	v_mul_f32_e32 v17, 0x3fb8aa3b, v17
	v_exp_f32_e32 v16, v16
	v_exp_f32_e32 v17, v17
	v_fma_f32 v6, v14, v6, 0
	v_fmac_f32_e32 v6, v15, v7
	v_fmac_f32_e32 v6, v16, v12
	;; [unrolled: 1-line block ×3, first 2 shown]
	v_cmp_eq_u32_e32 vcc, 1, v27
	v_add_f32_e32 v12, 0x358637bd, v6
	v_cndmask_b32_e32 v14, v14, v15, vcc
	v_cmp_eq_u32_e32 vcc, 2, v27
	v_div_scale_f32 v13, s[6:7], v12, v12, 1.0
	v_cndmask_b32_e32 v7, v14, v16, vcc
	v_rcp_f32_e32 v14, v13
	v_cmp_eq_u32_e32 vcc, 3, v27
	v_cndmask_b32_e32 v7, v7, v17, vcc
	v_div_scale_f32 v15, vcc, 1.0, v12, 1.0
	v_fma_f32 v16, -v13, v14, 1.0
	v_fmac_f32_e32 v14, v16, v14
	v_mul_f32_e32 v16, v15, v14
	v_fma_f32 v17, -v13, v16, v15
	v_fmac_f32_e32 v16, v17, v14
	v_fma_f32 v13, -v13, v16, v15
	v_div_fmas_f32 v13, v13, v14, v16
	v_div_fixup_f32 v12, v13, v12, 1.0
	v_mul_f32_e32 v12, v7, v12
	s_movk_i32 s21, 0x7fff
	s_mov_b32 s22, 0x7060302
	s_mul_i32 s20, s49, 9
	v_cmp_gt_u32_e32 vcc, 9, v0
	s_waitcnt vmcnt(14)
	v_pk_mul_f32 v[14:15], v[12:13], v[22:23] op_sel_hi:[0,1]
	v_bfe_u32 v21, v15, 16, 1
	s_waitcnt vmcnt(12)
	v_pk_mul_f32 v[16:17], v[12:13], v[24:25] op_sel_hi:[0,1]
	v_bfe_u32 v7, v17, 16, 1
	v_bfe_u32 v13, v16, 16, 1
	;; [unrolled: 1-line block ×3, first 2 shown]
	v_add3_u32 v13, v16, v13, s21
	v_add3_u32 v7, v17, v7, s21
	buffer_store_dword v16, off, s[0:3], 0 offset:256
	buffer_store_dword v17, off, s[0:3], 0 offset:260
	;; [unrolled: 1-line block ×4, first 2 shown]
	v_add3_u32 v16, v14, v22, s21
	v_add3_u32 v15, v15, v21, s21
	v_perm_b32 v14, v7, v13, s22
	v_lshlrev_b32_e32 v13, 3, v1
	v_perm_b32 v15, v15, v16, s22
	v_lshlrev_b32_e32 v7, 5, v41
	v_lshlrev_b32_e32 v16, 11, v27
	s_waitcnt vmcnt(12)
	v_pk_mul_f32 v[8:9], v[12:13], v[8:9] op_sel_hi:[0,1]
	v_or3_b32 v52, v16, v7, v13
	v_pk_mul_f32 v[10:11], v[12:13], v[10:11] op_sel_hi:[0,1]
	v_bfe_u32 v13, v9, 16, 1
	v_bfe_u32 v16, v8, 16, 1
	buffer_store_dword v8, off, s[0:3], 0 offset:272
	buffer_store_dword v9, off, s[0:3], 0 offset:276
	;; [unrolled: 1-line block ×4, first 2 shown]
	v_add3_u32 v8, v8, v16, s21
	v_add3_u32 v9, v9, v13, s21
	v_perm_b32 v8, v9, v8, s22
	v_bfe_u32 v9, v11, 16, 1
	v_bfe_u32 v13, v10, 16, 1
	v_add3_u32 v10, v10, v13, s21
	v_add3_u32 v9, v11, v9, s21
	v_perm_b32 v9, v9, v10, s22
	s_waitcnt vmcnt(14)
	v_pk_mul_f32 v[10:11], v[12:13], v[18:19] op_sel_hi:[0,1]
	ds_write2st64_b64 v52, v[14:15], v[8:9] offset1:1
	s_waitcnt vmcnt(12)
	v_pk_mul_f32 v[8:9], v[12:13], v[28:29] op_sel_hi:[0,1]
	v_bfe_u32 v13, v11, 16, 1
	v_bfe_u32 v14, v10, 16, 1
	buffer_store_dword v10, off, s[0:3], 0 offset:288
	buffer_store_dword v11, off, s[0:3], 0 offset:292
	;; [unrolled: 1-line block ×4, first 2 shown]
	v_add3_u32 v10, v10, v14, s21
	v_add3_u32 v11, v11, v13, s21
	v_perm_b32 v10, v11, v10, s22
	v_bfe_u32 v11, v9, 16, 1
	v_bfe_u32 v13, v8, 16, 1
	v_add3_u32 v8, v8, v13, s21
	v_add3_u32 v9, v9, v11, s21
	s_waitcnt vmcnt(14)
	v_pk_mul_f32 v[2:3], v[12:13], v[2:3] op_sel_hi:[0,1]
	v_perm_b32 v11, v9, v8, s22
	v_bfe_u32 v8, v3, 16, 1
	v_bfe_u32 v9, v2, 16, 1
	s_waitcnt vmcnt(12)
	v_pk_mul_f32 v[4:5], v[12:13], v[4:5] op_sel_hi:[0,1]
	buffer_store_dword v2, off, s[0:3], 0 offset:304
	buffer_store_dword v3, off, s[0:3], 0 offset:308
	buffer_store_dword v4, off, s[0:3], 0 offset:312
	buffer_store_dword v5, off, s[0:3], 0 offset:316
	v_add3_u32 v2, v2, v9, s21
	v_add3_u32 v3, v3, v8, s21
	v_perm_b32 v2, v3, v2, s22
	v_bfe_u32 v3, v5, 16, 1
	v_bfe_u32 v8, v4, 16, 1
	v_add3_u32 v4, v4, v8, s21
	v_add3_u32 v3, v5, v3, s21
	v_perm_b32 v3, v3, v4, s22
	ds_write2st64_b64 v52, v[10:11], v[2:3] offset0:2 offset1:3
	s_and_saveexec_b64 s[6:7], vcc
	s_cbranch_execz .LBB934_211
; %bb.210:
	v_add_co_u32_e32 v4, vcc, s27, v41
	v_addc_co_u32_e64 v5, s[10:11], 0, 0, vcc
	v_mov_b32_e32 v2, s20
	v_mov_b32_e32 v3, 0
	v_mad_u64_u32 v[4:5], s[10:11], s8, v2, v[4:5]
	v_mov_b32_e32 v2, s26
	s_mul_i32 s9, s9, s20
	v_mad_u64_u32 v[2:3], s[10:11], v4, s48, v[2:3]
	v_add_u32_e32 v5, s9, v5
	v_mov_b32_e32 v4, v3
	v_mad_u64_u32 v[4:5], s[10:11], v5, s48, v[4:5]
	v_mov_b32_e32 v3, v4
	v_lshlrev_b64 v[2:3], 2, v[2:3]
	v_mov_b32_e32 v5, s47
	v_add_co_u32_e32 v4, vcc, s46, v2
	v_addc_co_u32_e32 v5, vcc, v5, v3, vcc
	global_store_dword v[4:5], v20, off
	v_mov_b32_e32 v4, s45
	v_add_co_u32_e32 v2, vcc, s44, v2
	v_addc_co_u32_e32 v3, vcc, v4, v3, vcc
	global_store_dword v[2:3], v6, off
.LBB934_211:
	s_or_b64 exec, exec, s[6:7]
	v_lshl_or_b32 v30, v1, 9, v7
	s_waitcnt lgkmcnt(0)
	s_barrier
	s_load_dword s6, s[42:43], 0x0
	ds_read_b128 v[2:5], v30
	ds_read_b128 v[6:9], v30 offset:16
	ds_read_b128 v[10:13], v30 offset:2048
	;; [unrolled: 1-line block ×7, first 2 shown]
	v_mov_b32_e32 v35, 0x80
	v_mov_b32_e32 v53, 0x140
	s_mov_b64 s[12:13], -1
	s_waitcnt lgkmcnt(0)
	s_mov_b32 s7, s6
	s_mov_b32 s10, s6
	;; [unrolled: 1-line block ×3, first 2 shown]
	s_movk_i32 s9, 0x80
	s_movk_i32 s23, 0x7f
	s_mov_b32 s24, 0xffffff
	s_mov_b32 s25, 0x5040100
	v_mov_b32_e32 v54, 0
	v_bfrev_b32_e32 v55, 60
	s_branch .LBB934_215
.LBB934_212:                            ;   in Loop: Header=BB934_215 Depth=1
	s_or_b64 exec, exec, s[18:19]
.LBB934_213:                            ;   in Loop: Header=BB934_215 Depth=1
	s_or_b64 exec, exec, s[16:17]
.LBB934_214:                            ;   in Loop: Header=BB934_215 Depth=1
	s_or_b64 exec, exec, s[14:15]
	v_perm_b32 v61, v56, v50, s25
	v_perm_b32 v60, v44, v46, s25
	s_xor_b64 s[14:15], s[12:13], -1
	s_mov_b64 s[12:13], 0
	v_mov_b32_e32 v46, v47
	v_mfma_f32_16x16x16bf16_1k v[60:63], v[60:61], v[30:31], v[34:37]
	s_and_b64 vcc, exec, s[14:15]
	s_nop 5
	v_perm_b32 v37, v58, v57, s25
	v_perm_b32 v36, v42, v51, s25
	v_mov_b32_e32 v35, v45
	s_nop 0
	v_mfma_f32_16x16x16bf16_1k v[56:59], v[36:37], v[32:33], v[60:63]
	s_nop 7
	s_nop 2
	v_pk_mul_f32 v[50:51], v[56:57], s[6:7]
	v_pk_mul_f32 v[36:37], v[58:59], s[10:11]
	v_bfe_u32 v34, v51, 16, 1
	v_bfe_u32 v38, v50, 16, 1
	;; [unrolled: 1-line block ×4, first 2 shown]
	v_add3_u32 v38, v50, v38, s21
	v_add3_u32 v34, v51, v34, s21
	;; [unrolled: 1-line block ×4, first 2 shown]
	v_perm_b32 v34, v34, v38, s22
	v_perm_b32 v36, v37, v36, s22
	buffer_store_dword v34, v53, s[0:3], 0 offen
	buffer_store_dword v36, v53, s[0:3], 0 offen offset:4
	v_mov_b32_e32 v53, 0x148
	v_mov_b32_e32 v51, v48
	;; [unrolled: 1-line block ×3, first 2 shown]
	s_cbranch_vccnz .LBB934_597
.LBB934_215:                            ; =>This Inner Loop Header: Depth=1
	buffer_load_dword v36, v35, s[0:3], 0 offen
	buffer_load_dword v34, v35, s[0:3], 0 offen offset:4
	buffer_load_dword v40, v35, s[0:3], 0 offen offset:8
	;; [unrolled: 1-line block ×3, first 2 shown]
	v_mov_b32_e32 v35, 0
	s_waitcnt vmcnt(3)
	v_cmp_ne_u16_sdwa s[16:17], v36, v54 src0_sel:BYTE_0 src1_sel:DWORD
	s_and_saveexec_b64 s[14:15], s[16:17]
	s_cbranch_execz .LBB934_221
; %bb.216:                              ;   in Loop: Header=BB934_215 Depth=1
	v_cmp_ne_u16_sdwa s[18:19], v36, s9 src0_sel:BYTE_0 src1_sel:DWORD
	v_mov_b32_e32 v35, 0xffff8000
	s_and_saveexec_b64 s[16:17], s[18:19]
	s_cbranch_execz .LBB934_220
; %bb.217:                              ;   in Loop: Header=BB934_215 Depth=1
	v_and_b32_e32 v37, 0x7f, v36
	v_cmp_ne_u32_e32 vcc, s23, v37
	v_mov_b32_e32 v35, 0x7f80
	s_and_saveexec_b64 s[18:19], vcc
	s_cbranch_execz .LBB934_219
; %bb.218:                              ;   in Loop: Header=BB934_215 Depth=1
	v_and_b32_e32 v35, 7, v36
	v_ffbh_u32_e32 v44, v35
	v_min_u32_e32 v44, 32, v44
	v_subrev_u32_e32 v56, 28, v44
	v_lshlrev_b64 v[56:57], v56, v[36:37]
	v_lshrrev_b32_e32 v42, 3, v37
	v_sub_u32_e32 v44, 29, v44
	v_and_b32_e32 v56, 7, v56
	v_cmp_gt_u32_e32 vcc, 8, v37
	v_cndmask_b32_e32 v37, v42, v44, vcc
	v_cndmask_b32_e32 v35, v35, v56, vcc
	v_lshlrev_b32_e32 v42, 24, v36
	v_lshlrev_b32_e32 v35, 20, v35
	v_and_b32_e32 v42, 0x80000000, v42
	v_lshl_add_u32 v37, v37, 23, v55
	v_or3_b32 v35, v42, v37, v35
	v_lshrrev_b32_e32 v35, 16, v35
.LBB934_219:                            ;   in Loop: Header=BB934_215 Depth=1
	s_or_b64 exec, exec, s[18:19]
.LBB934_220:                            ;   in Loop: Header=BB934_215 Depth=1
	s_or_b64 exec, exec, s[16:17]
.LBB934_221:                            ;   in Loop: Header=BB934_215 Depth=1
	s_or_b64 exec, exec, s[14:15]
	v_lshrrev_b16_e32 v42, 8, v36
	v_cmp_ne_u16_e32 vcc, 0, v42
	v_mov_b32_e32 v56, 0
	v_mov_b32_e32 v37, 0
	s_and_saveexec_b64 s[14:15], vcc
	s_cbranch_execz .LBB934_227
; %bb.222:                              ;   in Loop: Header=BB934_215 Depth=1
	v_cmp_ne_u16_e32 vcc, s9, v42
	v_mov_b32_e32 v37, 0xffff8000
	s_and_saveexec_b64 s[16:17], vcc
	s_cbranch_execz .LBB934_226
; %bb.223:                              ;   in Loop: Header=BB934_215 Depth=1
	v_and_b32_e32 v44, 0x7f, v42
	v_cmp_ne_u32_e32 vcc, s23, v44
	v_mov_b32_e32 v37, 0x7f80
	s_and_saveexec_b64 s[18:19], vcc
	s_cbranch_execz .LBB934_225
; %bb.224:                              ;   in Loop: Header=BB934_215 Depth=1
	v_and_b32_e32 v37, 7, v42
	v_ffbh_u32_e32 v58, v37
	v_min_u32_e32 v60, 32, v58
	v_subrev_u32_e32 v58, 28, v60
	v_lshlrev_b64 v[58:59], v58, v[42:43]
	v_lshrrev_b32_e32 v57, 3, v44
	v_sub_u32_e32 v42, 29, v60
	v_and_b32_e32 v58, 7, v58
	v_cmp_gt_u32_e32 vcc, 8, v44
	v_cndmask_b32_e32 v42, v57, v42, vcc
	v_cndmask_b32_e32 v37, v37, v58, vcc
	v_lshlrev_b32_e32 v44, 16, v36
	v_lshlrev_b32_e32 v37, 20, v37
	v_and_b32_e32 v44, 0x80000000, v44
	v_lshl_add_u32 v42, v42, 23, v55
	v_or3_b32 v37, v44, v42, v37
	v_lshrrev_b32_e32 v37, 16, v37
.LBB934_225:                            ;   in Loop: Header=BB934_215 Depth=1
	s_or_b64 exec, exec, s[18:19]
.LBB934_226:                            ;   in Loop: Header=BB934_215 Depth=1
	s_or_b64 exec, exec, s[16:17]
.LBB934_227:                            ;   in Loop: Header=BB934_215 Depth=1
	s_or_b64 exec, exec, s[14:15]
	v_lshrrev_b32_e32 v42, 16, v36
	v_cmp_ne_u16_sdwa s[16:17], v42, v54 src0_sel:BYTE_0 src1_sel:DWORD
	s_and_saveexec_b64 s[14:15], s[16:17]
	s_cbranch_execz .LBB934_233
; %bb.228:                              ;   in Loop: Header=BB934_215 Depth=1
	v_cmp_ne_u16_sdwa s[18:19], v42, s9 src0_sel:BYTE_0 src1_sel:DWORD
	v_mov_b32_e32 v56, 0xffff8000
	s_and_saveexec_b64 s[16:17], s[18:19]
	s_cbranch_execz .LBB934_232
; %bb.229:                              ;   in Loop: Header=BB934_215 Depth=1
	v_bfe_u32 v44, v36, 16, 7
	v_cmp_ne_u32_e32 vcc, s23, v44
	v_mov_b32_e32 v56, 0x7f80
	s_and_saveexec_b64 s[18:19], vcc
	s_cbranch_execz .LBB934_231
; %bb.230:                              ;   in Loop: Header=BB934_215 Depth=1
	v_and_b32_e32 v58, 7, v42
	v_ffbh_u32_e32 v56, v58
	v_min_u32_e32 v60, 32, v56
	v_subrev_u32_e32 v56, 28, v60
	v_lshlrev_b64 v[56:57], v56, v[42:43]
	v_lshrrev_b32_e32 v59, 3, v44
	v_sub_u32_e32 v57, 29, v60
	v_and_b32_e32 v56, 7, v56
	v_cmp_gt_u32_e32 vcc, 8, v44
	v_cndmask_b32_e32 v44, v59, v57, vcc
	v_cndmask_b32_e32 v56, v58, v56, vcc
	v_lshlrev_b32_e32 v42, 24, v42
	v_lshlrev_b32_e32 v56, 20, v56
	v_and_b32_e32 v42, 0x80000000, v42
	v_lshl_add_u32 v44, v44, 23, v55
	v_or3_b32 v42, v42, v44, v56
	v_lshrrev_b32_e32 v56, 16, v42
.LBB934_231:                            ;   in Loop: Header=BB934_215 Depth=1
	s_or_b64 exec, exec, s[18:19]
.LBB934_232:                            ;   in Loop: Header=BB934_215 Depth=1
	s_or_b64 exec, exec, s[16:17]
.LBB934_233:                            ;   in Loop: Header=BB934_215 Depth=1
	s_or_b64 exec, exec, s[14:15]
	v_cmp_lt_u32_e32 vcc, s24, v36
	v_mov_b32_e32 v57, 0
	v_mov_b32_e32 v58, 0
	s_and_saveexec_b64 s[14:15], vcc
	s_cbranch_execz .LBB934_239
; %bb.234:                              ;   in Loop: Header=BB934_215 Depth=1
	v_lshrrev_b32_e32 v42, 24, v36
	v_cmp_ne_u32_e32 vcc, s9, v42
	v_mov_b32_e32 v58, 0xffff8000
	s_and_saveexec_b64 s[16:17], vcc
	s_cbranch_execz .LBB934_238
; %bb.235:                              ;   in Loop: Header=BB934_215 Depth=1
	v_bfe_u32 v36, v36, 24, 7
	v_cmp_ne_u32_e32 vcc, s23, v36
	v_mov_b32_e32 v58, 0x7f80
	s_and_saveexec_b64 s[18:19], vcc
	s_cbranch_execz .LBB934_237
; %bb.236:                              ;   in Loop: Header=BB934_215 Depth=1
	v_and_b32_e32 v44, 7, v42
	v_ffbh_u32_e32 v58, v44
	v_min_u32_e32 v61, 32, v58
	v_subrev_u32_e32 v58, 28, v61
	v_lshlrev_b64 v[58:59], v58, v[42:43]
	v_lshrrev_b32_e32 v60, 3, v36
	v_sub_u32_e32 v59, 29, v61
	v_and_b32_e32 v58, 7, v58
	v_cmp_gt_u32_e32 vcc, 8, v36
	v_cndmask_b32_e32 v36, v60, v59, vcc
	v_cndmask_b32_e32 v44, v44, v58, vcc
	v_lshlrev_b32_e32 v42, 24, v42
	v_lshlrev_b32_e32 v44, 20, v44
	v_and_b32_e32 v42, 0x80000000, v42
	v_lshl_add_u32 v36, v36, 23, v55
	v_or3_b32 v36, v42, v36, v44
	v_lshrrev_b32_e32 v58, 16, v36
.LBB934_237:                            ;   in Loop: Header=BB934_215 Depth=1
	s_or_b64 exec, exec, s[18:19]
.LBB934_238:                            ;   in Loop: Header=BB934_215 Depth=1
	s_or_b64 exec, exec, s[16:17]
.LBB934_239:                            ;   in Loop: Header=BB934_215 Depth=1
	s_or_b64 exec, exec, s[14:15]
	s_waitcnt vmcnt(2)
	v_cmp_ne_u16_sdwa s[16:17], v34, v54 src0_sel:BYTE_0 src1_sel:DWORD
	s_and_saveexec_b64 s[14:15], s[16:17]
	s_cbranch_execz .LBB934_245
; %bb.240:                              ;   in Loop: Header=BB934_215 Depth=1
	v_cmp_ne_u16_sdwa s[18:19], v34, s9 src0_sel:BYTE_0 src1_sel:DWORD
	v_mov_b32_e32 v57, 0xffff8000
	s_and_saveexec_b64 s[16:17], s[18:19]
	s_cbranch_execz .LBB934_244
; %bb.241:                              ;   in Loop: Header=BB934_215 Depth=1
	v_and_b32_e32 v36, 0x7f, v34
	v_cmp_ne_u32_e32 vcc, s23, v36
	v_mov_b32_e32 v57, 0x7f80
	s_and_saveexec_b64 s[18:19], vcc
	s_cbranch_execz .LBB934_243
; %bb.242:                              ;   in Loop: Header=BB934_215 Depth=1
	v_and_b32_e32 v42, 7, v34
	v_ffbh_u32_e32 v57, v42
	v_min_u32_e32 v57, 32, v57
	v_subrev_u32_e32 v59, 28, v57
	v_lshlrev_b64 v[60:61], v59, v[34:35]
	v_lshrrev_b32_e32 v44, 3, v36
	v_sub_u32_e32 v57, 29, v57
	v_and_b32_e32 v59, 7, v60
	v_cmp_gt_u32_e32 vcc, 8, v36
	v_cndmask_b32_e32 v36, v44, v57, vcc
	v_cndmask_b32_e32 v42, v42, v59, vcc
	v_lshlrev_b32_e32 v44, 24, v34
	v_lshlrev_b32_e32 v42, 20, v42
	v_and_b32_e32 v44, 0x80000000, v44
	v_lshl_add_u32 v36, v36, 23, v55
	v_or3_b32 v36, v44, v36, v42
	v_lshrrev_b32_e32 v57, 16, v36
.LBB934_243:                            ;   in Loop: Header=BB934_215 Depth=1
	s_or_b64 exec, exec, s[18:19]
.LBB934_244:                            ;   in Loop: Header=BB934_215 Depth=1
	s_or_b64 exec, exec, s[16:17]
.LBB934_245:                            ;   in Loop: Header=BB934_215 Depth=1
	s_or_b64 exec, exec, s[14:15]
	v_lshrrev_b16_e32 v36, 8, v34
	v_cmp_ne_u16_e32 vcc, 0, v36
	v_mov_b32_e32 v59, 0
	v_mov_b32_e32 v42, 0
	s_and_saveexec_b64 s[14:15], vcc
	s_cbranch_execz .LBB934_251
; %bb.246:                              ;   in Loop: Header=BB934_215 Depth=1
	v_cmp_ne_u16_e32 vcc, s9, v36
	v_mov_b32_e32 v42, 0xffff8000
	s_and_saveexec_b64 s[16:17], vcc
	s_cbranch_execz .LBB934_250
; %bb.247:                              ;   in Loop: Header=BB934_215 Depth=1
	v_and_b32_e32 v44, 0x7f, v36
	v_cmp_ne_u32_e32 vcc, s23, v44
	v_mov_b32_e32 v42, 0x7f80
	s_and_saveexec_b64 s[18:19], vcc
	s_cbranch_execz .LBB934_249
; %bb.248:                              ;   in Loop: Header=BB934_215 Depth=1
	v_and_b32_e32 v42, 7, v36
	v_ffbh_u32_e32 v60, v42
	v_min_u32_e32 v63, 32, v60
	v_subrev_u32_e32 v60, 28, v63
	v_lshlrev_b64 v[60:61], v60, v[36:37]
	v_lshrrev_b32_e32 v62, 3, v44
	v_sub_u32_e32 v36, 29, v63
	v_and_b32_e32 v60, 7, v60
	v_cmp_gt_u32_e32 vcc, 8, v44
	v_cndmask_b32_e32 v36, v62, v36, vcc
	v_cndmask_b32_e32 v42, v42, v60, vcc
	v_lshlrev_b32_e32 v44, 16, v34
	v_lshlrev_b32_e32 v42, 20, v42
	v_and_b32_e32 v44, 0x80000000, v44
	v_lshl_add_u32 v36, v36, 23, v55
	v_or3_b32 v36, v44, v36, v42
	v_lshrrev_b32_e32 v42, 16, v36
.LBB934_249:                            ;   in Loop: Header=BB934_215 Depth=1
	s_or_b64 exec, exec, s[18:19]
.LBB934_250:                            ;   in Loop: Header=BB934_215 Depth=1
	s_or_b64 exec, exec, s[16:17]
.LBB934_251:                            ;   in Loop: Header=BB934_215 Depth=1
	s_or_b64 exec, exec, s[14:15]
	v_lshrrev_b32_e32 v36, 16, v34
	v_cmp_ne_u16_sdwa s[16:17], v36, v54 src0_sel:BYTE_0 src1_sel:DWORD
	s_and_saveexec_b64 s[14:15], s[16:17]
	s_cbranch_execz .LBB934_257
; %bb.252:                              ;   in Loop: Header=BB934_215 Depth=1
	v_cmp_ne_u16_sdwa s[18:19], v36, s9 src0_sel:BYTE_0 src1_sel:DWORD
	v_mov_b32_e32 v59, 0xffff8000
	s_and_saveexec_b64 s[16:17], s[18:19]
	s_cbranch_execz .LBB934_256
; %bb.253:                              ;   in Loop: Header=BB934_215 Depth=1
	v_bfe_u32 v44, v34, 16, 7
	v_cmp_ne_u32_e32 vcc, s23, v44
	v_mov_b32_e32 v59, 0x7f80
	s_and_saveexec_b64 s[18:19], vcc
	s_cbranch_execz .LBB934_255
; %bb.254:                              ;   in Loop: Header=BB934_215 Depth=1
	v_and_b32_e32 v59, 7, v36
	v_ffbh_u32_e32 v60, v59
	v_min_u32_e32 v63, 32, v60
	v_subrev_u32_e32 v60, 28, v63
	v_lshlrev_b64 v[60:61], v60, v[36:37]
	v_lshrrev_b32_e32 v62, 3, v44
	v_sub_u32_e32 v61, 29, v63
	v_and_b32_e32 v60, 7, v60
	v_cmp_gt_u32_e32 vcc, 8, v44
	v_cndmask_b32_e32 v44, v62, v61, vcc
	v_cndmask_b32_e32 v59, v59, v60, vcc
	v_lshlrev_b32_e32 v36, 24, v36
	v_lshlrev_b32_e32 v59, 20, v59
	v_and_b32_e32 v36, 0x80000000, v36
	v_lshl_add_u32 v44, v44, 23, v55
	v_or3_b32 v36, v36, v44, v59
	v_lshrrev_b32_e32 v59, 16, v36
.LBB934_255:                            ;   in Loop: Header=BB934_215 Depth=1
	s_or_b64 exec, exec, s[18:19]
.LBB934_256:                            ;   in Loop: Header=BB934_215 Depth=1
	s_or_b64 exec, exec, s[16:17]
.LBB934_257:                            ;   in Loop: Header=BB934_215 Depth=1
	s_or_b64 exec, exec, s[14:15]
	v_cmp_lt_u32_e32 vcc, s24, v34
	v_mov_b32_e32 v44, 0
	v_mov_b32_e32 v60, 0
	s_and_saveexec_b64 s[14:15], vcc
	s_cbranch_execz .LBB934_263
; %bb.258:                              ;   in Loop: Header=BB934_215 Depth=1
	v_lshrrev_b32_e32 v36, 24, v34
	v_cmp_ne_u32_e32 vcc, s9, v36
	v_mov_b32_e32 v60, 0xffff8000
	s_and_saveexec_b64 s[16:17], vcc
	s_cbranch_execz .LBB934_262
; %bb.259:                              ;   in Loop: Header=BB934_215 Depth=1
	v_bfe_u32 v34, v34, 24, 7
	v_cmp_ne_u32_e32 vcc, s23, v34
	v_mov_b32_e32 v60, 0x7f80
	s_and_saveexec_b64 s[18:19], vcc
	s_cbranch_execz .LBB934_261
; %bb.260:                              ;   in Loop: Header=BB934_215 Depth=1
	v_and_b32_e32 v62, 7, v36
	v_ffbh_u32_e32 v60, v62
	v_min_u32_e32 v64, 32, v60
	v_subrev_u32_e32 v60, 28, v64
	v_lshlrev_b64 v[60:61], v60, v[36:37]
	v_lshrrev_b32_e32 v63, 3, v34
	v_sub_u32_e32 v61, 29, v64
	v_and_b32_e32 v60, 7, v60
	v_cmp_gt_u32_e32 vcc, 8, v34
	v_cndmask_b32_e32 v34, v63, v61, vcc
	v_cndmask_b32_e32 v60, v62, v60, vcc
	v_lshlrev_b32_e32 v36, 24, v36
	v_lshlrev_b32_e32 v60, 20, v60
	v_and_b32_e32 v36, 0x80000000, v36
	v_lshl_add_u32 v34, v34, 23, v55
	v_or3_b32 v34, v36, v34, v60
	v_lshrrev_b32_e32 v60, 16, v34
.LBB934_261:                            ;   in Loop: Header=BB934_215 Depth=1
	s_or_b64 exec, exec, s[18:19]
.LBB934_262:                            ;   in Loop: Header=BB934_215 Depth=1
	s_or_b64 exec, exec, s[16:17]
.LBB934_263:                            ;   in Loop: Header=BB934_215 Depth=1
	s_or_b64 exec, exec, s[14:15]
	v_perm_b32 v63, v58, v56, s25
	v_perm_b32 v62, v37, v35, s25
	;; [unrolled: 1-line block ×4, first 2 shown]
	s_waitcnt vmcnt(1)
	v_cmp_ne_u16_sdwa s[16:17], v40, v54 src0_sel:BYTE_0 src1_sel:DWORD
	v_mfma_f32_16x16x16bf16_1k v[34:37], v[62:63], v[2:3], 0
	v_mfma_f32_16x16x16bf16_1k v[34:37], v[58:59], v[4:5], v[34:37]
	s_and_saveexec_b64 s[14:15], s[16:17]
	s_cbranch_execz .LBB934_269
; %bb.264:                              ;   in Loop: Header=BB934_215 Depth=1
	v_cmp_ne_u16_sdwa s[18:19], v40, s9 src0_sel:BYTE_0 src1_sel:DWORD
	v_mov_b32_e32 v44, 0xffff8000
	s_and_saveexec_b64 s[16:17], s[18:19]
	s_cbranch_execz .LBB934_268
; %bb.265:                              ;   in Loop: Header=BB934_215 Depth=1
	v_and_b32_e32 v42, 0x7f, v40
	v_cmp_ne_u32_e32 vcc, s23, v42
	v_mov_b32_e32 v44, 0x7f80
	s_and_saveexec_b64 s[18:19], vcc
	s_cbranch_execz .LBB934_267
; %bb.266:                              ;   in Loop: Header=BB934_215 Depth=1
	v_and_b32_e32 v44, 7, v40
	v_ffbh_u32_e32 v56, v44
	v_min_u32_e32 v59, 32, v56
	v_subrev_u32_e32 v56, 28, v59
	v_lshlrev_b64 v[56:57], v56, v[40:41]
	v_lshrrev_b32_e32 v58, 3, v42
	v_sub_u32_e32 v57, 29, v59
	v_and_b32_e32 v56, 7, v56
	v_cmp_gt_u32_e32 vcc, 8, v42
	v_cndmask_b32_e32 v42, v58, v57, vcc
	v_cndmask_b32_e32 v44, v44, v56, vcc
	v_lshlrev_b32_e32 v56, 24, v40
	v_lshlrev_b32_e32 v44, 20, v44
	v_and_b32_e32 v56, 0x80000000, v56
	v_lshl_add_u32 v42, v42, 23, v55
	v_or3_b32 v42, v56, v42, v44
	v_lshrrev_b32_e32 v44, 16, v42
.LBB934_267:                            ;   in Loop: Header=BB934_215 Depth=1
	s_or_b64 exec, exec, s[18:19]
.LBB934_268:                            ;   in Loop: Header=BB934_215 Depth=1
	s_or_b64 exec, exec, s[16:17]
.LBB934_269:                            ;   in Loop: Header=BB934_215 Depth=1
	s_or_b64 exec, exec, s[14:15]
	v_lshrrev_b16_e32 v42, 8, v40
	v_cmp_ne_u16_e32 vcc, 0, v42
	v_mov_b32_e32 v58, 0
	v_mov_b32_e32 v57, 0
	s_and_saveexec_b64 s[14:15], vcc
	s_cbranch_execz .LBB934_275
; %bb.270:                              ;   in Loop: Header=BB934_215 Depth=1
	v_cmp_ne_u16_e32 vcc, s9, v42
	v_mov_b32_e32 v57, 0xffff8000
	s_and_saveexec_b64 s[16:17], vcc
	s_cbranch_execz .LBB934_274
; %bb.271:                              ;   in Loop: Header=BB934_215 Depth=1
	v_and_b32_e32 v56, 0x7f, v42
	v_cmp_ne_u32_e32 vcc, s23, v56
	v_mov_b32_e32 v57, 0x7f80
	s_and_saveexec_b64 s[18:19], vcc
	s_cbranch_execz .LBB934_273
; %bb.272:                              ;   in Loop: Header=BB934_215 Depth=1
	v_and_b32_e32 v57, 7, v42
	v_ffbh_u32_e32 v60, v57
	v_min_u32_e32 v62, 32, v60
	v_subrev_u32_e32 v60, 28, v62
	v_lshlrev_b64 v[60:61], v60, v[42:43]
	v_lshrrev_b32_e32 v59, 3, v56
	v_sub_u32_e32 v42, 29, v62
	v_and_b32_e32 v60, 7, v60
	v_cmp_gt_u32_e32 vcc, 8, v56
	v_cndmask_b32_e32 v42, v59, v42, vcc
	v_cndmask_b32_e32 v56, v57, v60, vcc
	v_lshlrev_b32_e32 v57, 16, v40
	v_lshlrev_b32_e32 v56, 20, v56
	v_and_b32_e32 v57, 0x80000000, v57
	v_lshl_add_u32 v42, v42, 23, v55
	v_or3_b32 v42, v57, v42, v56
	v_lshrrev_b32_e32 v57, 16, v42
.LBB934_273:                            ;   in Loop: Header=BB934_215 Depth=1
	s_or_b64 exec, exec, s[18:19]
.LBB934_274:                            ;   in Loop: Header=BB934_215 Depth=1
	s_or_b64 exec, exec, s[16:17]
.LBB934_275:                            ;   in Loop: Header=BB934_215 Depth=1
	s_or_b64 exec, exec, s[14:15]
	v_lshrrev_b32_e32 v42, 16, v40
	v_cmp_ne_u16_sdwa s[16:17], v42, v54 src0_sel:BYTE_0 src1_sel:DWORD
	s_and_saveexec_b64 s[14:15], s[16:17]
	s_cbranch_execz .LBB934_281
; %bb.276:                              ;   in Loop: Header=BB934_215 Depth=1
	v_cmp_ne_u16_sdwa s[18:19], v42, s9 src0_sel:BYTE_0 src1_sel:DWORD
	v_mov_b32_e32 v58, 0xffff8000
	s_and_saveexec_b64 s[16:17], s[18:19]
	s_cbranch_execz .LBB934_280
; %bb.277:                              ;   in Loop: Header=BB934_215 Depth=1
	v_bfe_u32 v56, v40, 16, 7
	v_cmp_ne_u32_e32 vcc, s23, v56
	v_mov_b32_e32 v58, 0x7f80
	s_and_saveexec_b64 s[18:19], vcc
	s_cbranch_execz .LBB934_279
; %bb.278:                              ;   in Loop: Header=BB934_215 Depth=1
	v_and_b32_e32 v60, 7, v42
	v_ffbh_u32_e32 v58, v60
	v_min_u32_e32 v62, 32, v58
	v_subrev_u32_e32 v58, 28, v62
	v_lshlrev_b64 v[58:59], v58, v[42:43]
	v_lshrrev_b32_e32 v61, 3, v56
	v_sub_u32_e32 v59, 29, v62
	v_and_b32_e32 v58, 7, v58
	v_cmp_gt_u32_e32 vcc, 8, v56
	v_cndmask_b32_e32 v56, v61, v59, vcc
	v_cndmask_b32_e32 v58, v60, v58, vcc
	v_lshlrev_b32_e32 v42, 24, v42
	v_lshlrev_b32_e32 v58, 20, v58
	v_and_b32_e32 v42, 0x80000000, v42
	v_lshl_add_u32 v56, v56, 23, v55
	v_or3_b32 v42, v42, v56, v58
	v_lshrrev_b32_e32 v58, 16, v42
.LBB934_279:                            ;   in Loop: Header=BB934_215 Depth=1
	s_or_b64 exec, exec, s[18:19]
.LBB934_280:                            ;   in Loop: Header=BB934_215 Depth=1
	s_or_b64 exec, exec, s[16:17]
.LBB934_281:                            ;   in Loop: Header=BB934_215 Depth=1
	s_or_b64 exec, exec, s[14:15]
	v_cmp_lt_u32_e32 vcc, s24, v40
	v_mov_b32_e32 v59, 0
	v_mov_b32_e32 v60, 0
	s_and_saveexec_b64 s[14:15], vcc
	s_cbranch_execz .LBB934_287
; %bb.282:                              ;   in Loop: Header=BB934_215 Depth=1
	v_lshrrev_b32_e32 v42, 24, v40
	v_cmp_ne_u32_e32 vcc, s9, v42
	v_mov_b32_e32 v60, 0xffff8000
	s_and_saveexec_b64 s[16:17], vcc
	s_cbranch_execz .LBB934_286
; %bb.283:                              ;   in Loop: Header=BB934_215 Depth=1
	v_bfe_u32 v40, v40, 24, 7
	v_cmp_ne_u32_e32 vcc, s23, v40
	v_mov_b32_e32 v60, 0x7f80
	s_and_saveexec_b64 s[18:19], vcc
	s_cbranch_execz .LBB934_285
; %bb.284:                              ;   in Loop: Header=BB934_215 Depth=1
	v_and_b32_e32 v56, 7, v42
	v_ffbh_u32_e32 v60, v56
	v_min_u32_e32 v63, 32, v60
	v_subrev_u32_e32 v60, 28, v63
	v_lshlrev_b64 v[60:61], v60, v[42:43]
	v_lshrrev_b32_e32 v62, 3, v40
	v_sub_u32_e32 v61, 29, v63
	v_and_b32_e32 v60, 7, v60
	v_cmp_gt_u32_e32 vcc, 8, v40
	v_cndmask_b32_e32 v40, v62, v61, vcc
	v_cndmask_b32_e32 v56, v56, v60, vcc
	v_lshlrev_b32_e32 v42, 24, v42
	v_lshlrev_b32_e32 v56, 20, v56
	v_and_b32_e32 v42, 0x80000000, v42
	v_lshl_add_u32 v40, v40, 23, v55
	v_or3_b32 v40, v42, v40, v56
	v_lshrrev_b32_e32 v60, 16, v40
.LBB934_285:                            ;   in Loop: Header=BB934_215 Depth=1
	s_or_b64 exec, exec, s[18:19]
.LBB934_286:                            ;   in Loop: Header=BB934_215 Depth=1
	s_or_b64 exec, exec, s[16:17]
.LBB934_287:                            ;   in Loop: Header=BB934_215 Depth=1
	s_or_b64 exec, exec, s[14:15]
	s_waitcnt vmcnt(0)
	v_cmp_ne_u16_sdwa s[16:17], v38, v54 src0_sel:BYTE_0 src1_sel:DWORD
	s_and_saveexec_b64 s[14:15], s[16:17]
	s_cbranch_execz .LBB934_293
; %bb.288:                              ;   in Loop: Header=BB934_215 Depth=1
	v_cmp_ne_u16_sdwa s[18:19], v38, s9 src0_sel:BYTE_0 src1_sel:DWORD
	v_mov_b32_e32 v59, 0xffff8000
	s_and_saveexec_b64 s[16:17], s[18:19]
	s_cbranch_execz .LBB934_292
; %bb.289:                              ;   in Loop: Header=BB934_215 Depth=1
	v_and_b32_e32 v40, 0x7f, v38
	v_cmp_ne_u32_e32 vcc, s23, v40
	v_mov_b32_e32 v59, 0x7f80
	s_and_saveexec_b64 s[18:19], vcc
	s_cbranch_execz .LBB934_291
; %bb.290:                              ;   in Loop: Header=BB934_215 Depth=1
	v_and_b32_e32 v42, 7, v38
	v_ffbh_u32_e32 v59, v42
	v_min_u32_e32 v59, 32, v59
	v_subrev_u32_e32 v61, 28, v59
	v_lshlrev_b64 v[62:63], v61, v[38:39]
	v_lshrrev_b32_e32 v56, 3, v40
	v_sub_u32_e32 v59, 29, v59
	v_and_b32_e32 v61, 7, v62
	v_cmp_gt_u32_e32 vcc, 8, v40
	v_cndmask_b32_e32 v40, v56, v59, vcc
	v_cndmask_b32_e32 v42, v42, v61, vcc
	v_lshlrev_b32_e32 v56, 24, v38
	v_lshlrev_b32_e32 v42, 20, v42
	v_and_b32_e32 v56, 0x80000000, v56
	v_lshl_add_u32 v40, v40, 23, v55
	v_or3_b32 v40, v56, v40, v42
	v_lshrrev_b32_e32 v59, 16, v40
.LBB934_291:                            ;   in Loop: Header=BB934_215 Depth=1
	s_or_b64 exec, exec, s[18:19]
.LBB934_292:                            ;   in Loop: Header=BB934_215 Depth=1
	s_or_b64 exec, exec, s[16:17]
.LBB934_293:                            ;   in Loop: Header=BB934_215 Depth=1
	s_or_b64 exec, exec, s[14:15]
	v_lshrrev_b16_e32 v40, 8, v38
	v_cmp_ne_u16_e32 vcc, 0, v40
	v_mov_b32_e32 v62, 0
	v_mov_b32_e32 v61, 0
	s_and_saveexec_b64 s[14:15], vcc
	s_cbranch_execz .LBB934_299
; %bb.294:                              ;   in Loop: Header=BB934_215 Depth=1
	v_cmp_ne_u16_e32 vcc, s9, v40
	v_mov_b32_e32 v61, 0xffff8000
	s_and_saveexec_b64 s[16:17], vcc
	s_cbranch_execz .LBB934_298
; %bb.295:                              ;   in Loop: Header=BB934_215 Depth=1
	v_and_b32_e32 v42, 0x7f, v40
	v_cmp_ne_u32_e32 vcc, s23, v42
	v_mov_b32_e32 v61, 0x7f80
	s_and_saveexec_b64 s[18:19], vcc
	s_cbranch_execz .LBB934_297
; %bb.296:                              ;   in Loop: Header=BB934_215 Depth=1
	v_and_b32_e32 v56, 7, v40
	v_ffbh_u32_e32 v63, v56
	v_min_u32_e32 v63, 32, v63
	v_subrev_u32_e32 v64, 28, v63
	v_lshlrev_b64 v[64:65], v64, v[40:41]
	v_lshrrev_b32_e32 v61, 3, v42
	v_sub_u32_e32 v40, 29, v63
	v_and_b32_e32 v63, 7, v64
	v_cmp_gt_u32_e32 vcc, 8, v42
	v_cndmask_b32_e32 v40, v61, v40, vcc
	v_cndmask_b32_e32 v42, v56, v63, vcc
	v_lshlrev_b32_e32 v56, 16, v38
	v_lshlrev_b32_e32 v42, 20, v42
	v_and_b32_e32 v56, 0x80000000, v56
	v_lshl_add_u32 v40, v40, 23, v55
	v_or3_b32 v40, v56, v40, v42
	v_lshrrev_b32_e32 v61, 16, v40
.LBB934_297:                            ;   in Loop: Header=BB934_215 Depth=1
	s_or_b64 exec, exec, s[18:19]
.LBB934_298:                            ;   in Loop: Header=BB934_215 Depth=1
	s_or_b64 exec, exec, s[16:17]
.LBB934_299:                            ;   in Loop: Header=BB934_215 Depth=1
	s_or_b64 exec, exec, s[14:15]
	v_lshrrev_b32_e32 v40, 16, v38
	v_cmp_ne_u16_sdwa s[16:17], v40, v54 src0_sel:BYTE_0 src1_sel:DWORD
	s_and_saveexec_b64 s[14:15], s[16:17]
	s_cbranch_execz .LBB934_305
; %bb.300:                              ;   in Loop: Header=BB934_215 Depth=1
	v_cmp_ne_u16_sdwa s[18:19], v40, s9 src0_sel:BYTE_0 src1_sel:DWORD
	v_mov_b32_e32 v62, 0xffff8000
	s_and_saveexec_b64 s[16:17], s[18:19]
	s_cbranch_execz .LBB934_304
; %bb.301:                              ;   in Loop: Header=BB934_215 Depth=1
	v_bfe_u32 v42, v38, 16, 7
	v_cmp_ne_u32_e32 vcc, s23, v42
	v_mov_b32_e32 v62, 0x7f80
	s_and_saveexec_b64 s[18:19], vcc
	s_cbranch_execz .LBB934_303
; %bb.302:                              ;   in Loop: Header=BB934_215 Depth=1
	v_and_b32_e32 v56, 7, v40
	v_ffbh_u32_e32 v62, v56
	v_min_u32_e32 v65, 32, v62
	v_subrev_u32_e32 v62, 28, v65
	v_lshlrev_b64 v[62:63], v62, v[40:41]
	v_lshrrev_b32_e32 v64, 3, v42
	v_sub_u32_e32 v63, 29, v65
	v_and_b32_e32 v62, 7, v62
	v_cmp_gt_u32_e32 vcc, 8, v42
	v_cndmask_b32_e32 v42, v64, v63, vcc
	v_cndmask_b32_e32 v56, v56, v62, vcc
	v_lshlrev_b32_e32 v40, 24, v40
	v_lshlrev_b32_e32 v56, 20, v56
	v_and_b32_e32 v40, 0x80000000, v40
	v_lshl_add_u32 v42, v42, 23, v55
	v_or3_b32 v40, v40, v42, v56
	v_lshrrev_b32_e32 v62, 16, v40
.LBB934_303:                            ;   in Loop: Header=BB934_215 Depth=1
	s_or_b64 exec, exec, s[18:19]
.LBB934_304:                            ;   in Loop: Header=BB934_215 Depth=1
	s_or_b64 exec, exec, s[16:17]
.LBB934_305:                            ;   in Loop: Header=BB934_215 Depth=1
	s_or_b64 exec, exec, s[14:15]
	v_cmp_lt_u32_e32 vcc, s24, v38
	v_mov_b32_e32 v56, 0
	v_mov_b32_e32 v63, 0
	s_and_saveexec_b64 s[14:15], vcc
	s_cbranch_execz .LBB934_311
; %bb.306:                              ;   in Loop: Header=BB934_215 Depth=1
	v_lshrrev_b32_e32 v40, 24, v38
	v_cmp_ne_u32_e32 vcc, s9, v40
	v_mov_b32_e32 v63, 0xffff8000
	s_and_saveexec_b64 s[16:17], vcc
	s_cbranch_execz .LBB934_310
; %bb.307:                              ;   in Loop: Header=BB934_215 Depth=1
	v_bfe_u32 v38, v38, 24, 7
	v_cmp_ne_u32_e32 vcc, s23, v38
	v_mov_b32_e32 v63, 0x7f80
	s_and_saveexec_b64 s[18:19], vcc
	s_cbranch_execz .LBB934_309
; %bb.308:                              ;   in Loop: Header=BB934_215 Depth=1
	v_and_b32_e32 v42, 7, v40
	v_ffbh_u32_e32 v64, v42
	v_min_u32_e32 v66, 32, v64
	v_subrev_u32_e32 v64, 28, v66
	v_lshlrev_b64 v[64:65], v64, v[40:41]
	v_lshrrev_b32_e32 v63, 3, v38
	v_sub_u32_e32 v65, 29, v66
	v_and_b32_e32 v64, 7, v64
	v_cmp_gt_u32_e32 vcc, 8, v38
	v_cndmask_b32_e32 v38, v63, v65, vcc
	v_cndmask_b32_e32 v42, v42, v64, vcc
	v_lshlrev_b32_e32 v40, 24, v40
	v_lshlrev_b32_e32 v42, 20, v42
	v_and_b32_e32 v40, 0x80000000, v40
	v_lshl_add_u32 v38, v38, 23, v55
	v_or3_b32 v38, v40, v38, v42
	v_lshrrev_b32_e32 v63, 16, v38
.LBB934_309:                            ;   in Loop: Header=BB934_215 Depth=1
	s_or_b64 exec, exec, s[18:19]
.LBB934_310:                            ;   in Loop: Header=BB934_215 Depth=1
	s_or_b64 exec, exec, s[16:17]
.LBB934_311:                            ;   in Loop: Header=BB934_215 Depth=1
	s_or_b64 exec, exec, s[14:15]
	v_perm_b32 v64, v57, v44, s25
	buffer_load_dword v44, v46, s[0:3], 0 offen
	buffer_load_dword v42, v46, s[0:3], 0 offen offset:4
	buffer_load_dword v40, v46, s[0:3], 0 offen offset:8
	;; [unrolled: 1-line block ×3, first 2 shown]
	v_perm_b32 v65, v60, v58, s25
	v_perm_b32 v63, v63, v62, s25
	;; [unrolled: 1-line block ×3, first 2 shown]
	v_mfma_f32_16x16x16bf16_1k v[34:37], v[64:65], v[6:7], v[34:37]
	s_waitcnt vmcnt(3)
	v_cmp_ne_u16_sdwa s[16:17], v44, v54 src0_sel:BYTE_0 src1_sel:DWORD
	v_mfma_f32_16x16x16bf16_1k v[34:37], v[62:63], v[8:9], v[34:37]
	s_and_saveexec_b64 s[14:15], s[16:17]
	s_cbranch_execz .LBB934_317
; %bb.312:                              ;   in Loop: Header=BB934_215 Depth=1
	v_cmp_ne_u16_sdwa s[18:19], v44, s9 src0_sel:BYTE_0 src1_sel:DWORD
	v_mov_b32_e32 v56, 0xffff8000
	s_and_saveexec_b64 s[16:17], s[18:19]
	s_cbranch_execz .LBB934_316
; %bb.313:                              ;   in Loop: Header=BB934_215 Depth=1
	v_and_b32_e32 v46, 0x7f, v44
	v_cmp_ne_u32_e32 vcc, s23, v46
	v_mov_b32_e32 v56, 0x7f80
	s_and_saveexec_b64 s[18:19], vcc
	s_cbranch_execz .LBB934_315
; %bb.314:                              ;   in Loop: Header=BB934_215 Depth=1
	v_and_b32_e32 v58, 7, v44
	v_ffbh_u32_e32 v56, v58
	v_min_u32_e32 v60, 32, v56
	v_subrev_u32_e32 v56, 28, v60
	v_lshlrev_b64 v[56:57], v56, v[44:45]
	v_lshrrev_b32_e32 v59, 3, v46
	v_sub_u32_e32 v57, 29, v60
	v_and_b32_e32 v56, 7, v56
	v_cmp_gt_u32_e32 vcc, 8, v46
	v_cndmask_b32_e32 v46, v59, v57, vcc
	v_cndmask_b32_e32 v56, v58, v56, vcc
	v_lshlrev_b32_e32 v57, 24, v44
	v_lshlrev_b32_e32 v56, 20, v56
	v_and_b32_e32 v57, 0x80000000, v57
	v_lshl_add_u32 v46, v46, 23, v55
	v_or3_b32 v46, v57, v46, v56
	v_lshrrev_b32_e32 v56, 16, v46
.LBB934_315:                            ;   in Loop: Header=BB934_215 Depth=1
	s_or_b64 exec, exec, s[18:19]
.LBB934_316:                            ;   in Loop: Header=BB934_215 Depth=1
	s_or_b64 exec, exec, s[16:17]
.LBB934_317:                            ;   in Loop: Header=BB934_215 Depth=1
	s_or_b64 exec, exec, s[14:15]
	v_lshrrev_b16_e32 v46, 8, v44
	v_cmp_ne_u16_e32 vcc, 0, v46
	v_mov_b32_e32 v58, 0
	v_mov_b32_e32 v57, 0
	s_and_saveexec_b64 s[14:15], vcc
	s_cbranch_execz .LBB934_323
; %bb.318:                              ;   in Loop: Header=BB934_215 Depth=1
	v_cmp_ne_u16_e32 vcc, s9, v46
	v_mov_b32_e32 v57, 0xffff8000
	s_and_saveexec_b64 s[16:17], vcc
	s_cbranch_execz .LBB934_322
; %bb.319:                              ;   in Loop: Header=BB934_215 Depth=1
	v_and_b32_e32 v59, 0x7f, v46
	v_cmp_ne_u32_e32 vcc, s23, v59
	v_mov_b32_e32 v57, 0x7f80
	s_and_saveexec_b64 s[18:19], vcc
	s_cbranch_execz .LBB934_321
; %bb.320:                              ;   in Loop: Header=BB934_215 Depth=1
	v_and_b32_e32 v57, 7, v46
	v_ffbh_u32_e32 v60, v57
	v_min_u32_e32 v63, 32, v60
	v_subrev_u32_e32 v60, 28, v63
	v_lshlrev_b64 v[60:61], v60, v[46:47]
	v_lshrrev_b32_e32 v62, 3, v59
	v_sub_u32_e32 v46, 29, v63
	v_and_b32_e32 v60, 7, v60
	v_cmp_gt_u32_e32 vcc, 8, v59
	v_cndmask_b32_e32 v46, v62, v46, vcc
	v_cndmask_b32_e32 v57, v57, v60, vcc
	v_lshlrev_b32_e32 v59, 16, v44
	v_lshlrev_b32_e32 v57, 20, v57
	v_and_b32_e32 v59, 0x80000000, v59
	v_lshl_add_u32 v46, v46, 23, v55
	v_or3_b32 v46, v59, v46, v57
	v_lshrrev_b32_e32 v57, 16, v46
.LBB934_321:                            ;   in Loop: Header=BB934_215 Depth=1
	s_or_b64 exec, exec, s[18:19]
.LBB934_322:                            ;   in Loop: Header=BB934_215 Depth=1
	s_or_b64 exec, exec, s[16:17]
.LBB934_323:                            ;   in Loop: Header=BB934_215 Depth=1
	s_or_b64 exec, exec, s[14:15]
	v_lshrrev_b32_e32 v46, 16, v44
	v_cmp_ne_u16_sdwa s[16:17], v46, v54 src0_sel:BYTE_0 src1_sel:DWORD
	s_and_saveexec_b64 s[14:15], s[16:17]
	s_cbranch_execz .LBB934_329
; %bb.324:                              ;   in Loop: Header=BB934_215 Depth=1
	v_cmp_ne_u16_sdwa s[18:19], v46, s9 src0_sel:BYTE_0 src1_sel:DWORD
	v_mov_b32_e32 v58, 0xffff8000
	s_and_saveexec_b64 s[16:17], s[18:19]
	s_cbranch_execz .LBB934_328
; %bb.325:                              ;   in Loop: Header=BB934_215 Depth=1
	v_bfe_u32 v59, v44, 16, 7
	v_cmp_ne_u32_e32 vcc, s23, v59
	v_mov_b32_e32 v58, 0x7f80
	s_and_saveexec_b64 s[18:19], vcc
	s_cbranch_execz .LBB934_327
; %bb.326:                              ;   in Loop: Header=BB934_215 Depth=1
	v_and_b32_e32 v58, 7, v46
	v_ffbh_u32_e32 v60, v58
	v_min_u32_e32 v63, 32, v60
	v_subrev_u32_e32 v60, 28, v63
	v_lshlrev_b64 v[60:61], v60, v[46:47]
	v_lshrrev_b32_e32 v62, 3, v59
	v_sub_u32_e32 v61, 29, v63
	v_and_b32_e32 v60, 7, v60
	v_cmp_gt_u32_e32 vcc, 8, v59
	v_cndmask_b32_e32 v59, v62, v61, vcc
	v_cndmask_b32_e32 v58, v58, v60, vcc
	v_lshlrev_b32_e32 v46, 24, v46
	v_lshlrev_b32_e32 v58, 20, v58
	v_and_b32_e32 v46, 0x80000000, v46
	v_lshl_add_u32 v59, v59, 23, v55
	v_or3_b32 v46, v46, v59, v58
	v_lshrrev_b32_e32 v58, 16, v46
.LBB934_327:                            ;   in Loop: Header=BB934_215 Depth=1
	s_or_b64 exec, exec, s[18:19]
.LBB934_328:                            ;   in Loop: Header=BB934_215 Depth=1
	s_or_b64 exec, exec, s[16:17]
.LBB934_329:                            ;   in Loop: Header=BB934_215 Depth=1
	s_or_b64 exec, exec, s[14:15]
	v_cmp_lt_u32_e32 vcc, s24, v44
	v_mov_b32_e32 v59, 0
	v_mov_b32_e32 v60, 0
	s_and_saveexec_b64 s[14:15], vcc
	s_cbranch_execz .LBB934_335
; %bb.330:                              ;   in Loop: Header=BB934_215 Depth=1
	v_lshrrev_b32_e32 v46, 24, v44
	v_cmp_ne_u32_e32 vcc, s9, v46
	v_mov_b32_e32 v60, 0xffff8000
	s_and_saveexec_b64 s[16:17], vcc
	s_cbranch_execz .LBB934_334
; %bb.331:                              ;   in Loop: Header=BB934_215 Depth=1
	v_bfe_u32 v44, v44, 24, 7
	v_cmp_ne_u32_e32 vcc, s23, v44
	v_mov_b32_e32 v60, 0x7f80
	s_and_saveexec_b64 s[18:19], vcc
	s_cbranch_execz .LBB934_333
; %bb.332:                              ;   in Loop: Header=BB934_215 Depth=1
	v_and_b32_e32 v62, 7, v46
	v_ffbh_u32_e32 v60, v62
	v_min_u32_e32 v64, 32, v60
	v_subrev_u32_e32 v60, 28, v64
	v_lshlrev_b64 v[60:61], v60, v[46:47]
	v_lshrrev_b32_e32 v63, 3, v44
	v_sub_u32_e32 v61, 29, v64
	v_and_b32_e32 v60, 7, v60
	v_cmp_gt_u32_e32 vcc, 8, v44
	v_cndmask_b32_e32 v44, v63, v61, vcc
	v_cndmask_b32_e32 v60, v62, v60, vcc
	v_lshlrev_b32_e32 v46, 24, v46
	v_lshlrev_b32_e32 v60, 20, v60
	v_and_b32_e32 v46, 0x80000000, v46
	v_lshl_add_u32 v44, v44, 23, v55
	v_or3_b32 v44, v46, v44, v60
	v_lshrrev_b32_e32 v60, 16, v44
.LBB934_333:                            ;   in Loop: Header=BB934_215 Depth=1
	s_or_b64 exec, exec, s[18:19]
.LBB934_334:                            ;   in Loop: Header=BB934_215 Depth=1
	s_or_b64 exec, exec, s[16:17]
.LBB934_335:                            ;   in Loop: Header=BB934_215 Depth=1
	s_or_b64 exec, exec, s[14:15]
	s_waitcnt vmcnt(2)
	v_cmp_ne_u16_sdwa s[16:17], v42, v54 src0_sel:BYTE_0 src1_sel:DWORD
	s_and_saveexec_b64 s[14:15], s[16:17]
	s_cbranch_execz .LBB934_341
; %bb.336:                              ;   in Loop: Header=BB934_215 Depth=1
	v_cmp_ne_u16_sdwa s[18:19], v42, s9 src0_sel:BYTE_0 src1_sel:DWORD
	v_mov_b32_e32 v59, 0xffff8000
	s_and_saveexec_b64 s[16:17], s[18:19]
	s_cbranch_execz .LBB934_340
; %bb.337:                              ;   in Loop: Header=BB934_215 Depth=1
	v_and_b32_e32 v44, 0x7f, v42
	v_cmp_ne_u32_e32 vcc, s23, v44
	v_mov_b32_e32 v59, 0x7f80
	s_and_saveexec_b64 s[18:19], vcc
	s_cbranch_execz .LBB934_339
; %bb.338:                              ;   in Loop: Header=BB934_215 Depth=1
	v_and_b32_e32 v46, 7, v42
	v_ffbh_u32_e32 v61, v46
	v_min_u32_e32 v61, 32, v61
	v_subrev_u32_e32 v62, 28, v61
	v_lshlrev_b64 v[62:63], v62, v[42:43]
	v_lshrrev_b32_e32 v59, 3, v44
	v_sub_u32_e32 v61, 29, v61
	v_and_b32_e32 v62, 7, v62
	v_cmp_gt_u32_e32 vcc, 8, v44
	v_cndmask_b32_e32 v44, v59, v61, vcc
	v_cndmask_b32_e32 v46, v46, v62, vcc
	v_lshlrev_b32_e32 v59, 24, v42
	v_lshlrev_b32_e32 v46, 20, v46
	v_and_b32_e32 v59, 0x80000000, v59
	v_lshl_add_u32 v44, v44, 23, v55
	v_or3_b32 v44, v59, v44, v46
	v_lshrrev_b32_e32 v59, 16, v44
.LBB934_339:                            ;   in Loop: Header=BB934_215 Depth=1
	s_or_b64 exec, exec, s[18:19]
.LBB934_340:                            ;   in Loop: Header=BB934_215 Depth=1
	s_or_b64 exec, exec, s[16:17]
.LBB934_341:                            ;   in Loop: Header=BB934_215 Depth=1
	s_or_b64 exec, exec, s[14:15]
	v_lshrrev_b16_e32 v44, 8, v42
	v_cmp_ne_u16_e32 vcc, 0, v44
	v_mov_b32_e32 v62, 0
	v_mov_b32_e32 v61, 0
	s_and_saveexec_b64 s[14:15], vcc
	s_cbranch_execz .LBB934_347
; %bb.342:                              ;   in Loop: Header=BB934_215 Depth=1
	v_cmp_ne_u16_e32 vcc, s9, v44
	v_mov_b32_e32 v61, 0xffff8000
	s_and_saveexec_b64 s[16:17], vcc
	s_cbranch_execz .LBB934_346
; %bb.343:                              ;   in Loop: Header=BB934_215 Depth=1
	v_and_b32_e32 v46, 0x7f, v44
	v_cmp_ne_u32_e32 vcc, s23, v46
	v_mov_b32_e32 v61, 0x7f80
	s_and_saveexec_b64 s[18:19], vcc
	s_cbranch_execz .LBB934_345
; %bb.344:                              ;   in Loop: Header=BB934_215 Depth=1
	v_and_b32_e32 v61, 7, v44
	v_ffbh_u32_e32 v64, v61
	v_min_u32_e32 v66, 32, v64
	v_subrev_u32_e32 v64, 28, v66
	v_lshlrev_b64 v[64:65], v64, v[44:45]
	v_lshrrev_b32_e32 v63, 3, v46
	v_sub_u32_e32 v44, 29, v66
	v_and_b32_e32 v64, 7, v64
	v_cmp_gt_u32_e32 vcc, 8, v46
	v_cndmask_b32_e32 v44, v63, v44, vcc
	v_cndmask_b32_e32 v46, v61, v64, vcc
	v_lshlrev_b32_e32 v61, 16, v42
	v_lshlrev_b32_e32 v46, 20, v46
	v_and_b32_e32 v61, 0x80000000, v61
	v_lshl_add_u32 v44, v44, 23, v55
	v_or3_b32 v44, v61, v44, v46
	v_lshrrev_b32_e32 v61, 16, v44
.LBB934_345:                            ;   in Loop: Header=BB934_215 Depth=1
	s_or_b64 exec, exec, s[18:19]
.LBB934_346:                            ;   in Loop: Header=BB934_215 Depth=1
	s_or_b64 exec, exec, s[16:17]
.LBB934_347:                            ;   in Loop: Header=BB934_215 Depth=1
	s_or_b64 exec, exec, s[14:15]
	v_lshrrev_b32_e32 v44, 16, v42
	v_cmp_ne_u16_sdwa s[16:17], v44, v54 src0_sel:BYTE_0 src1_sel:DWORD
	s_and_saveexec_b64 s[14:15], s[16:17]
	s_cbranch_execz .LBB934_353
; %bb.348:                              ;   in Loop: Header=BB934_215 Depth=1
	v_cmp_ne_u16_sdwa s[18:19], v44, s9 src0_sel:BYTE_0 src1_sel:DWORD
	v_mov_b32_e32 v62, 0xffff8000
	s_and_saveexec_b64 s[16:17], s[18:19]
	s_cbranch_execz .LBB934_352
; %bb.349:                              ;   in Loop: Header=BB934_215 Depth=1
	v_bfe_u32 v46, v42, 16, 7
	v_cmp_ne_u32_e32 vcc, s23, v46
	v_mov_b32_e32 v62, 0x7f80
	s_and_saveexec_b64 s[18:19], vcc
	s_cbranch_execz .LBB934_351
; %bb.350:                              ;   in Loop: Header=BB934_215 Depth=1
	v_and_b32_e32 v64, 7, v44
	v_ffbh_u32_e32 v62, v64
	v_min_u32_e32 v66, 32, v62
	v_subrev_u32_e32 v62, 28, v66
	v_lshlrev_b64 v[62:63], v62, v[44:45]
	v_lshrrev_b32_e32 v65, 3, v46
	v_sub_u32_e32 v63, 29, v66
	v_and_b32_e32 v62, 7, v62
	v_cmp_gt_u32_e32 vcc, 8, v46
	v_cndmask_b32_e32 v46, v65, v63, vcc
	v_cndmask_b32_e32 v62, v64, v62, vcc
	v_lshlrev_b32_e32 v44, 24, v44
	v_lshlrev_b32_e32 v62, 20, v62
	v_and_b32_e32 v44, 0x80000000, v44
	v_lshl_add_u32 v46, v46, 23, v55
	v_or3_b32 v44, v44, v46, v62
	v_lshrrev_b32_e32 v62, 16, v44
.LBB934_351:                            ;   in Loop: Header=BB934_215 Depth=1
	s_or_b64 exec, exec, s[18:19]
.LBB934_352:                            ;   in Loop: Header=BB934_215 Depth=1
	s_or_b64 exec, exec, s[16:17]
.LBB934_353:                            ;   in Loop: Header=BB934_215 Depth=1
	s_or_b64 exec, exec, s[14:15]
	v_cmp_lt_u32_e32 vcc, s24, v42
	v_mov_b32_e32 v46, 0
	v_mov_b32_e32 v63, 0
	s_and_saveexec_b64 s[14:15], vcc
	s_cbranch_execz .LBB934_359
; %bb.354:                              ;   in Loop: Header=BB934_215 Depth=1
	v_lshrrev_b32_e32 v44, 24, v42
	v_cmp_ne_u32_e32 vcc, s9, v44
	v_mov_b32_e32 v63, 0xffff8000
	s_and_saveexec_b64 s[16:17], vcc
	s_cbranch_execz .LBB934_358
; %bb.355:                              ;   in Loop: Header=BB934_215 Depth=1
	v_bfe_u32 v42, v42, 24, 7
	v_cmp_ne_u32_e32 vcc, s23, v42
	v_mov_b32_e32 v63, 0x7f80
	s_and_saveexec_b64 s[18:19], vcc
	s_cbranch_execz .LBB934_357
; %bb.356:                              ;   in Loop: Header=BB934_215 Depth=1
	v_and_b32_e32 v63, 7, v44
	v_ffbh_u32_e32 v64, v63
	v_min_u32_e32 v67, 32, v64
	v_subrev_u32_e32 v64, 28, v67
	v_lshlrev_b64 v[64:65], v64, v[44:45]
	v_lshrrev_b32_e32 v66, 3, v42
	v_sub_u32_e32 v65, 29, v67
	v_and_b32_e32 v64, 7, v64
	v_cmp_gt_u32_e32 vcc, 8, v42
	v_cndmask_b32_e32 v42, v66, v65, vcc
	v_cndmask_b32_e32 v63, v63, v64, vcc
	v_lshlrev_b32_e32 v44, 24, v44
	v_lshlrev_b32_e32 v63, 20, v63
	v_and_b32_e32 v44, 0x80000000, v44
	v_lshl_add_u32 v42, v42, 23, v55
	v_or3_b32 v42, v44, v42, v63
	v_lshrrev_b32_e32 v63, 16, v42
.LBB934_357:                            ;   in Loop: Header=BB934_215 Depth=1
	s_or_b64 exec, exec, s[18:19]
.LBB934_358:                            ;   in Loop: Header=BB934_215 Depth=1
	s_or_b64 exec, exec, s[16:17]
.LBB934_359:                            ;   in Loop: Header=BB934_215 Depth=1
	s_or_b64 exec, exec, s[14:15]
	v_perm_b32 v65, v60, v58, s25
	v_perm_b32 v64, v57, v56, s25
	;; [unrolled: 1-line block ×4, first 2 shown]
	s_waitcnt vmcnt(1)
	v_cmp_ne_u16_sdwa s[16:17], v40, v54 src0_sel:BYTE_0 src1_sel:DWORD
	v_mfma_f32_16x16x16bf16_1k v[34:37], v[64:65], v[10:11], v[34:37]
	v_mfma_f32_16x16x16bf16_1k v[34:37], v[56:57], v[12:13], v[34:37]
	s_and_saveexec_b64 s[14:15], s[16:17]
	s_cbranch_execz .LBB934_365
; %bb.360:                              ;   in Loop: Header=BB934_215 Depth=1
	v_cmp_ne_u16_sdwa s[18:19], v40, s9 src0_sel:BYTE_0 src1_sel:DWORD
	v_mov_b32_e32 v46, 0xffff8000
	s_and_saveexec_b64 s[16:17], s[18:19]
	s_cbranch_execz .LBB934_364
; %bb.361:                              ;   in Loop: Header=BB934_215 Depth=1
	v_and_b32_e32 v42, 0x7f, v40
	v_cmp_ne_u32_e32 vcc, s23, v42
	v_mov_b32_e32 v46, 0x7f80
	s_and_saveexec_b64 s[18:19], vcc
	s_cbranch_execz .LBB934_363
; %bb.362:                              ;   in Loop: Header=BB934_215 Depth=1
	v_and_b32_e32 v44, 7, v40
	v_ffbh_u32_e32 v56, v44
	v_min_u32_e32 v58, 32, v56
	v_subrev_u32_e32 v56, 28, v58
	v_lshlrev_b64 v[56:57], v56, v[40:41]
	v_lshrrev_b32_e32 v46, 3, v42
	v_sub_u32_e32 v57, 29, v58
	v_and_b32_e32 v56, 7, v56
	v_cmp_gt_u32_e32 vcc, 8, v42
	v_cndmask_b32_e32 v42, v46, v57, vcc
	v_cndmask_b32_e32 v44, v44, v56, vcc
	v_lshlrev_b32_e32 v46, 24, v40
	v_lshlrev_b32_e32 v44, 20, v44
	v_and_b32_e32 v46, 0x80000000, v46
	v_lshl_add_u32 v42, v42, 23, v55
	v_or3_b32 v42, v46, v42, v44
	v_lshrrev_b32_e32 v46, 16, v42
.LBB934_363:                            ;   in Loop: Header=BB934_215 Depth=1
	s_or_b64 exec, exec, s[18:19]
.LBB934_364:                            ;   in Loop: Header=BB934_215 Depth=1
	s_or_b64 exec, exec, s[16:17]
.LBB934_365:                            ;   in Loop: Header=BB934_215 Depth=1
	s_or_b64 exec, exec, s[14:15]
	v_lshrrev_b16_e32 v42, 8, v40
	v_cmp_ne_u16_e32 vcc, 0, v42
	v_mov_b32_e32 v57, 0
	v_mov_b32_e32 v44, 0
	s_and_saveexec_b64 s[14:15], vcc
	s_cbranch_execz .LBB934_371
; %bb.366:                              ;   in Loop: Header=BB934_215 Depth=1
	v_cmp_ne_u16_e32 vcc, s9, v42
	v_mov_b32_e32 v44, 0xffff8000
	s_and_saveexec_b64 s[16:17], vcc
	s_cbranch_execz .LBB934_370
; %bb.367:                              ;   in Loop: Header=BB934_215 Depth=1
	v_and_b32_e32 v56, 0x7f, v42
	v_cmp_ne_u32_e32 vcc, s23, v56
	v_mov_b32_e32 v44, 0x7f80
	s_and_saveexec_b64 s[18:19], vcc
	s_cbranch_execz .LBB934_369
; %bb.368:                              ;   in Loop: Header=BB934_215 Depth=1
	v_and_b32_e32 v44, 7, v42
	v_ffbh_u32_e32 v58, v44
	v_min_u32_e32 v61, 32, v58
	v_subrev_u32_e32 v58, 28, v61
	v_lshlrev_b64 v[58:59], v58, v[42:43]
	v_lshrrev_b32_e32 v60, 3, v56
	v_sub_u32_e32 v42, 29, v61
	v_and_b32_e32 v58, 7, v58
	v_cmp_gt_u32_e32 vcc, 8, v56
	v_cndmask_b32_e32 v42, v60, v42, vcc
	v_cndmask_b32_e32 v44, v44, v58, vcc
	v_lshlrev_b32_e32 v56, 16, v40
	v_lshlrev_b32_e32 v44, 20, v44
	v_and_b32_e32 v56, 0x80000000, v56
	v_lshl_add_u32 v42, v42, 23, v55
	v_or3_b32 v42, v56, v42, v44
	v_lshrrev_b32_e32 v44, 16, v42
.LBB934_369:                            ;   in Loop: Header=BB934_215 Depth=1
	s_or_b64 exec, exec, s[18:19]
.LBB934_370:                            ;   in Loop: Header=BB934_215 Depth=1
	s_or_b64 exec, exec, s[16:17]
.LBB934_371:                            ;   in Loop: Header=BB934_215 Depth=1
	s_or_b64 exec, exec, s[14:15]
	v_lshrrev_b32_e32 v42, 16, v40
	v_cmp_ne_u16_sdwa s[16:17], v42, v54 src0_sel:BYTE_0 src1_sel:DWORD
	s_and_saveexec_b64 s[14:15], s[16:17]
	s_cbranch_execz .LBB934_377
; %bb.372:                              ;   in Loop: Header=BB934_215 Depth=1
	v_cmp_ne_u16_sdwa s[18:19], v42, s9 src0_sel:BYTE_0 src1_sel:DWORD
	v_mov_b32_e32 v57, 0xffff8000
	s_and_saveexec_b64 s[16:17], s[18:19]
	s_cbranch_execz .LBB934_376
; %bb.373:                              ;   in Loop: Header=BB934_215 Depth=1
	v_bfe_u32 v56, v40, 16, 7
	v_cmp_ne_u32_e32 vcc, s23, v56
	v_mov_b32_e32 v57, 0x7f80
	s_and_saveexec_b64 s[18:19], vcc
	s_cbranch_execz .LBB934_375
; %bb.374:                              ;   in Loop: Header=BB934_215 Depth=1
	v_and_b32_e32 v57, 7, v42
	v_ffbh_u32_e32 v58, v57
	v_min_u32_e32 v61, 32, v58
	v_subrev_u32_e32 v58, 28, v61
	v_lshlrev_b64 v[58:59], v58, v[42:43]
	v_lshrrev_b32_e32 v60, 3, v56
	v_sub_u32_e32 v59, 29, v61
	v_and_b32_e32 v58, 7, v58
	v_cmp_gt_u32_e32 vcc, 8, v56
	v_cndmask_b32_e32 v56, v60, v59, vcc
	v_cndmask_b32_e32 v57, v57, v58, vcc
	v_lshlrev_b32_e32 v42, 24, v42
	v_lshlrev_b32_e32 v57, 20, v57
	v_and_b32_e32 v42, 0x80000000, v42
	v_lshl_add_u32 v56, v56, 23, v55
	v_or3_b32 v42, v42, v56, v57
	v_lshrrev_b32_e32 v57, 16, v42
.LBB934_375:                            ;   in Loop: Header=BB934_215 Depth=1
	s_or_b64 exec, exec, s[18:19]
.LBB934_376:                            ;   in Loop: Header=BB934_215 Depth=1
	s_or_b64 exec, exec, s[16:17]
.LBB934_377:                            ;   in Loop: Header=BB934_215 Depth=1
	s_or_b64 exec, exec, s[14:15]
	v_cmp_lt_u32_e32 vcc, s24, v40
	v_mov_b32_e32 v58, 0
	v_mov_b32_e32 v59, 0
	s_and_saveexec_b64 s[14:15], vcc
	s_cbranch_execz .LBB934_383
; %bb.378:                              ;   in Loop: Header=BB934_215 Depth=1
	v_lshrrev_b32_e32 v42, 24, v40
	v_cmp_ne_u32_e32 vcc, s9, v42
	v_mov_b32_e32 v59, 0xffff8000
	s_and_saveexec_b64 s[16:17], vcc
	s_cbranch_execz .LBB934_382
; %bb.379:                              ;   in Loop: Header=BB934_215 Depth=1
	v_bfe_u32 v40, v40, 24, 7
	v_cmp_ne_u32_e32 vcc, s23, v40
	v_mov_b32_e32 v59, 0x7f80
	s_and_saveexec_b64 s[18:19], vcc
	s_cbranch_execz .LBB934_381
; %bb.380:                              ;   in Loop: Header=BB934_215 Depth=1
	v_and_b32_e32 v56, 7, v42
	v_ffbh_u32_e32 v60, v56
	v_min_u32_e32 v62, 32, v60
	v_subrev_u32_e32 v60, 28, v62
	v_lshlrev_b64 v[60:61], v60, v[42:43]
	v_lshrrev_b32_e32 v59, 3, v40
	v_sub_u32_e32 v61, 29, v62
	v_and_b32_e32 v60, 7, v60
	v_cmp_gt_u32_e32 vcc, 8, v40
	v_cndmask_b32_e32 v40, v59, v61, vcc
	v_cndmask_b32_e32 v56, v56, v60, vcc
	v_lshlrev_b32_e32 v42, 24, v42
	v_lshlrev_b32_e32 v56, 20, v56
	v_and_b32_e32 v42, 0x80000000, v42
	v_lshl_add_u32 v40, v40, 23, v55
	v_or3_b32 v40, v42, v40, v56
	v_lshrrev_b32_e32 v59, 16, v40
.LBB934_381:                            ;   in Loop: Header=BB934_215 Depth=1
	s_or_b64 exec, exec, s[18:19]
.LBB934_382:                            ;   in Loop: Header=BB934_215 Depth=1
	s_or_b64 exec, exec, s[16:17]
.LBB934_383:                            ;   in Loop: Header=BB934_215 Depth=1
	s_or_b64 exec, exec, s[14:15]
	s_waitcnt vmcnt(0)
	v_cmp_ne_u16_sdwa s[16:17], v38, v54 src0_sel:BYTE_0 src1_sel:DWORD
	s_and_saveexec_b64 s[14:15], s[16:17]
	s_cbranch_execz .LBB934_389
; %bb.384:                              ;   in Loop: Header=BB934_215 Depth=1
	v_cmp_ne_u16_sdwa s[18:19], v38, s9 src0_sel:BYTE_0 src1_sel:DWORD
	v_mov_b32_e32 v58, 0xffff8000
	s_and_saveexec_b64 s[16:17], s[18:19]
	s_cbranch_execz .LBB934_388
; %bb.385:                              ;   in Loop: Header=BB934_215 Depth=1
	v_and_b32_e32 v40, 0x7f, v38
	v_cmp_ne_u32_e32 vcc, s23, v40
	v_mov_b32_e32 v58, 0x7f80
	s_and_saveexec_b64 s[18:19], vcc
	s_cbranch_execz .LBB934_387
; %bb.386:                              ;   in Loop: Header=BB934_215 Depth=1
	v_and_b32_e32 v42, 7, v38
	v_ffbh_u32_e32 v58, v42
	v_min_u32_e32 v58, 32, v58
	v_subrev_u32_e32 v60, 28, v58
	v_lshlrev_b64 v[60:61], v60, v[38:39]
	v_lshrrev_b32_e32 v56, 3, v40
	v_sub_u32_e32 v58, 29, v58
	v_and_b32_e32 v60, 7, v60
	v_cmp_gt_u32_e32 vcc, 8, v40
	v_cndmask_b32_e32 v40, v56, v58, vcc
	v_cndmask_b32_e32 v42, v42, v60, vcc
	v_lshlrev_b32_e32 v56, 24, v38
	v_lshlrev_b32_e32 v42, 20, v42
	v_and_b32_e32 v56, 0x80000000, v56
	v_lshl_add_u32 v40, v40, 23, v55
	v_or3_b32 v40, v56, v40, v42
	v_lshrrev_b32_e32 v58, 16, v40
.LBB934_387:                            ;   in Loop: Header=BB934_215 Depth=1
	s_or_b64 exec, exec, s[18:19]
.LBB934_388:                            ;   in Loop: Header=BB934_215 Depth=1
	s_or_b64 exec, exec, s[16:17]
.LBB934_389:                            ;   in Loop: Header=BB934_215 Depth=1
	s_or_b64 exec, exec, s[14:15]
	v_lshrrev_b16_e32 v40, 8, v38
	v_cmp_ne_u16_e32 vcc, 0, v40
	v_mov_b32_e32 v61, 0
	v_mov_b32_e32 v60, 0
	s_and_saveexec_b64 s[14:15], vcc
	s_cbranch_execz .LBB934_395
; %bb.390:                              ;   in Loop: Header=BB934_215 Depth=1
	v_cmp_ne_u16_e32 vcc, s9, v40
	v_mov_b32_e32 v60, 0xffff8000
	s_and_saveexec_b64 s[16:17], vcc
	s_cbranch_execz .LBB934_394
; %bb.391:                              ;   in Loop: Header=BB934_215 Depth=1
	v_and_b32_e32 v42, 0x7f, v40
	v_cmp_ne_u32_e32 vcc, s23, v42
	v_mov_b32_e32 v60, 0x7f80
	s_and_saveexec_b64 s[18:19], vcc
	s_cbranch_execz .LBB934_393
; %bb.392:                              ;   in Loop: Header=BB934_215 Depth=1
	v_and_b32_e32 v56, 7, v40
	v_ffbh_u32_e32 v62, v56
	v_min_u32_e32 v64, 32, v62
	v_subrev_u32_e32 v62, 28, v64
	v_lshlrev_b64 v[62:63], v62, v[40:41]
	v_lshrrev_b32_e32 v60, 3, v42
	v_sub_u32_e32 v40, 29, v64
	v_and_b32_e32 v62, 7, v62
	v_cmp_gt_u32_e32 vcc, 8, v42
	v_cndmask_b32_e32 v40, v60, v40, vcc
	v_cndmask_b32_e32 v42, v56, v62, vcc
	v_lshlrev_b32_e32 v56, 16, v38
	v_lshlrev_b32_e32 v42, 20, v42
	v_and_b32_e32 v56, 0x80000000, v56
	v_lshl_add_u32 v40, v40, 23, v55
	v_or3_b32 v40, v56, v40, v42
	v_lshrrev_b32_e32 v60, 16, v40
.LBB934_393:                            ;   in Loop: Header=BB934_215 Depth=1
	s_or_b64 exec, exec, s[18:19]
.LBB934_394:                            ;   in Loop: Header=BB934_215 Depth=1
	s_or_b64 exec, exec, s[16:17]
.LBB934_395:                            ;   in Loop: Header=BB934_215 Depth=1
	s_or_b64 exec, exec, s[14:15]
	v_lshrrev_b32_e32 v40, 16, v38
	v_cmp_ne_u16_sdwa s[16:17], v40, v54 src0_sel:BYTE_0 src1_sel:DWORD
	s_and_saveexec_b64 s[14:15], s[16:17]
	s_cbranch_execz .LBB934_401
; %bb.396:                              ;   in Loop: Header=BB934_215 Depth=1
	v_cmp_ne_u16_sdwa s[18:19], v40, s9 src0_sel:BYTE_0 src1_sel:DWORD
	v_mov_b32_e32 v61, 0xffff8000
	s_and_saveexec_b64 s[16:17], s[18:19]
	s_cbranch_execz .LBB934_400
; %bb.397:                              ;   in Loop: Header=BB934_215 Depth=1
	v_bfe_u32 v42, v38, 16, 7
	v_cmp_ne_u32_e32 vcc, s23, v42
	v_mov_b32_e32 v61, 0x7f80
	s_and_saveexec_b64 s[18:19], vcc
	s_cbranch_execz .LBB934_399
; %bb.398:                              ;   in Loop: Header=BB934_215 Depth=1
	v_and_b32_e32 v56, 7, v40
	v_ffbh_u32_e32 v62, v56
	v_min_u32_e32 v64, 32, v62
	v_subrev_u32_e32 v62, 28, v64
	v_lshlrev_b64 v[62:63], v62, v[40:41]
	v_lshrrev_b32_e32 v61, 3, v42
	v_sub_u32_e32 v63, 29, v64
	v_and_b32_e32 v62, 7, v62
	v_cmp_gt_u32_e32 vcc, 8, v42
	v_cndmask_b32_e32 v42, v61, v63, vcc
	v_cndmask_b32_e32 v56, v56, v62, vcc
	v_lshlrev_b32_e32 v40, 24, v40
	v_lshlrev_b32_e32 v56, 20, v56
	v_and_b32_e32 v40, 0x80000000, v40
	v_lshl_add_u32 v42, v42, 23, v55
	v_or3_b32 v40, v40, v42, v56
	v_lshrrev_b32_e32 v61, 16, v40
.LBB934_399:                            ;   in Loop: Header=BB934_215 Depth=1
	s_or_b64 exec, exec, s[18:19]
.LBB934_400:                            ;   in Loop: Header=BB934_215 Depth=1
	s_or_b64 exec, exec, s[16:17]
.LBB934_401:                            ;   in Loop: Header=BB934_215 Depth=1
	s_or_b64 exec, exec, s[14:15]
	v_cmp_lt_u32_e32 vcc, s24, v38
	v_mov_b32_e32 v56, 0
	v_mov_b32_e32 v62, 0
	s_and_saveexec_b64 s[14:15], vcc
	s_cbranch_execz .LBB934_407
; %bb.402:                              ;   in Loop: Header=BB934_215 Depth=1
	v_lshrrev_b32_e32 v40, 24, v38
	v_cmp_ne_u32_e32 vcc, s9, v40
	v_mov_b32_e32 v62, 0xffff8000
	s_and_saveexec_b64 s[16:17], vcc
	s_cbranch_execz .LBB934_406
; %bb.403:                              ;   in Loop: Header=BB934_215 Depth=1
	v_bfe_u32 v38, v38, 24, 7
	v_cmp_ne_u32_e32 vcc, s23, v38
	v_mov_b32_e32 v62, 0x7f80
	s_and_saveexec_b64 s[18:19], vcc
	s_cbranch_execz .LBB934_405
; %bb.404:                              ;   in Loop: Header=BB934_215 Depth=1
	v_and_b32_e32 v42, 7, v40
	v_ffbh_u32_e32 v62, v42
	v_min_u32_e32 v65, 32, v62
	v_subrev_u32_e32 v62, 28, v65
	v_lshlrev_b64 v[62:63], v62, v[40:41]
	v_lshrrev_b32_e32 v64, 3, v38
	v_sub_u32_e32 v63, 29, v65
	v_and_b32_e32 v62, 7, v62
	v_cmp_gt_u32_e32 vcc, 8, v38
	v_cndmask_b32_e32 v38, v64, v63, vcc
	v_cndmask_b32_e32 v42, v42, v62, vcc
	v_lshlrev_b32_e32 v40, 24, v40
	v_lshlrev_b32_e32 v42, 20, v42
	v_and_b32_e32 v40, 0x80000000, v40
	v_lshl_add_u32 v38, v38, 23, v55
	v_or3_b32 v38, v40, v38, v42
	v_lshrrev_b32_e32 v62, 16, v38
.LBB934_405:                            ;   in Loop: Header=BB934_215 Depth=1
	s_or_b64 exec, exec, s[18:19]
.LBB934_406:                            ;   in Loop: Header=BB934_215 Depth=1
	s_or_b64 exec, exec, s[16:17]
.LBB934_407:                            ;   in Loop: Header=BB934_215 Depth=1
	s_or_b64 exec, exec, s[14:15]
	v_perm_b32 v64, v44, v46, s25
	buffer_load_dword v44, v51, s[0:3], 0 offen
	buffer_load_dword v42, v51, s[0:3], 0 offen offset:4
	buffer_load_dword v40, v51, s[0:3], 0 offen offset:8
	;; [unrolled: 1-line block ×3, first 2 shown]
	v_perm_b32 v65, v59, v57, s25
	v_perm_b32 v59, v62, v61, s25
	v_perm_b32 v58, v60, v58, s25
	v_mfma_f32_16x16x16bf16_1k v[34:37], v[64:65], v[14:15], v[34:37]
	s_waitcnt vmcnt(3)
	v_cmp_ne_u16_sdwa s[16:17], v44, v54 src0_sel:BYTE_0 src1_sel:DWORD
	v_mfma_f32_16x16x16bf16_1k v[34:37], v[58:59], v[16:17], v[34:37]
	s_and_saveexec_b64 s[14:15], s[16:17]
	s_cbranch_execz .LBB934_413
; %bb.408:                              ;   in Loop: Header=BB934_215 Depth=1
	v_cmp_ne_u16_sdwa s[18:19], v44, s9 src0_sel:BYTE_0 src1_sel:DWORD
	v_mov_b32_e32 v56, 0xffff8000
	s_and_saveexec_b64 s[16:17], s[18:19]
	s_cbranch_execz .LBB934_412
; %bb.409:                              ;   in Loop: Header=BB934_215 Depth=1
	v_and_b32_e32 v46, 0x7f, v44
	v_cmp_ne_u32_e32 vcc, s23, v46
	v_mov_b32_e32 v56, 0x7f80
	s_and_saveexec_b64 s[18:19], vcc
	s_cbranch_execz .LBB934_411
; %bb.410:                              ;   in Loop: Header=BB934_215 Depth=1
	v_and_b32_e32 v51, 7, v44
	v_ffbh_u32_e32 v56, v51
	v_min_u32_e32 v59, 32, v56
	v_subrev_u32_e32 v56, 28, v59
	v_lshlrev_b64 v[56:57], v56, v[44:45]
	v_lshrrev_b32_e32 v58, 3, v46
	v_sub_u32_e32 v57, 29, v59
	v_and_b32_e32 v56, 7, v56
	v_cmp_gt_u32_e32 vcc, 8, v46
	v_cndmask_b32_e32 v46, v58, v57, vcc
	v_cndmask_b32_e32 v51, v51, v56, vcc
	v_lshlrev_b32_e32 v56, 24, v44
	v_lshlrev_b32_e32 v51, 20, v51
	v_and_b32_e32 v56, 0x80000000, v56
	v_lshl_add_u32 v46, v46, 23, v55
	v_or3_b32 v46, v56, v46, v51
	v_lshrrev_b32_e32 v56, 16, v46
.LBB934_411:                            ;   in Loop: Header=BB934_215 Depth=1
	s_or_b64 exec, exec, s[18:19]
.LBB934_412:                            ;   in Loop: Header=BB934_215 Depth=1
	s_or_b64 exec, exec, s[16:17]
.LBB934_413:                            ;   in Loop: Header=BB934_215 Depth=1
	s_or_b64 exec, exec, s[14:15]
	v_lshrrev_b16_e32 v46, 8, v44
	v_cmp_ne_u16_e32 vcc, 0, v46
	v_mov_b32_e32 v57, 0
	v_mov_b32_e32 v51, 0
	s_and_saveexec_b64 s[14:15], vcc
	s_cbranch_execz .LBB934_419
; %bb.414:                              ;   in Loop: Header=BB934_215 Depth=1
	v_cmp_ne_u16_e32 vcc, s9, v46
	v_mov_b32_e32 v51, 0xffff8000
	s_and_saveexec_b64 s[16:17], vcc
	s_cbranch_execz .LBB934_418
; %bb.415:                              ;   in Loop: Header=BB934_215 Depth=1
	v_and_b32_e32 v58, 0x7f, v46
	v_cmp_ne_u32_e32 vcc, s23, v58
	v_mov_b32_e32 v51, 0x7f80
	s_and_saveexec_b64 s[18:19], vcc
	s_cbranch_execz .LBB934_417
; %bb.416:                              ;   in Loop: Header=BB934_215 Depth=1
	v_and_b32_e32 v51, 7, v46
	v_ffbh_u32_e32 v60, v51
	v_min_u32_e32 v62, 32, v60
	v_subrev_u32_e32 v60, 28, v62
	v_lshlrev_b64 v[60:61], v60, v[46:47]
	v_lshrrev_b32_e32 v59, 3, v58
	v_sub_u32_e32 v46, 29, v62
	v_and_b32_e32 v60, 7, v60
	v_cmp_gt_u32_e32 vcc, 8, v58
	v_cndmask_b32_e32 v46, v59, v46, vcc
	v_cndmask_b32_e32 v51, v51, v60, vcc
	v_lshlrev_b32_e32 v58, 16, v44
	v_lshlrev_b32_e32 v51, 20, v51
	v_and_b32_e32 v58, 0x80000000, v58
	v_lshl_add_u32 v46, v46, 23, v55
	v_or3_b32 v46, v58, v46, v51
	v_lshrrev_b32_e32 v51, 16, v46
.LBB934_417:                            ;   in Loop: Header=BB934_215 Depth=1
	s_or_b64 exec, exec, s[18:19]
.LBB934_418:                            ;   in Loop: Header=BB934_215 Depth=1
	s_or_b64 exec, exec, s[16:17]
.LBB934_419:                            ;   in Loop: Header=BB934_215 Depth=1
	s_or_b64 exec, exec, s[14:15]
	v_lshrrev_b32_e32 v46, 16, v44
	v_cmp_ne_u16_sdwa s[16:17], v46, v54 src0_sel:BYTE_0 src1_sel:DWORD
	s_and_saveexec_b64 s[14:15], s[16:17]
	s_cbranch_execz .LBB934_425
; %bb.420:                              ;   in Loop: Header=BB934_215 Depth=1
	v_cmp_ne_u16_sdwa s[18:19], v46, s9 src0_sel:BYTE_0 src1_sel:DWORD
	v_mov_b32_e32 v57, 0xffff8000
	s_and_saveexec_b64 s[16:17], s[18:19]
	s_cbranch_execz .LBB934_424
; %bb.421:                              ;   in Loop: Header=BB934_215 Depth=1
	v_bfe_u32 v58, v44, 16, 7
	v_cmp_ne_u32_e32 vcc, s23, v58
	v_mov_b32_e32 v57, 0x7f80
	s_and_saveexec_b64 s[18:19], vcc
	s_cbranch_execz .LBB934_423
; %bb.422:                              ;   in Loop: Header=BB934_215 Depth=1
	v_and_b32_e32 v57, 7, v46
	v_ffbh_u32_e32 v60, v57
	v_min_u32_e32 v62, 32, v60
	v_subrev_u32_e32 v60, 28, v62
	v_lshlrev_b64 v[60:61], v60, v[46:47]
	v_lshrrev_b32_e32 v59, 3, v58
	v_sub_u32_e32 v61, 29, v62
	v_and_b32_e32 v60, 7, v60
	v_cmp_gt_u32_e32 vcc, 8, v58
	v_cndmask_b32_e32 v58, v59, v61, vcc
	v_cndmask_b32_e32 v57, v57, v60, vcc
	v_lshlrev_b32_e32 v46, 24, v46
	v_lshlrev_b32_e32 v57, 20, v57
	v_and_b32_e32 v46, 0x80000000, v46
	v_lshl_add_u32 v58, v58, 23, v55
	v_or3_b32 v46, v46, v58, v57
	v_lshrrev_b32_e32 v57, 16, v46
.LBB934_423:                            ;   in Loop: Header=BB934_215 Depth=1
	s_or_b64 exec, exec, s[18:19]
.LBB934_424:                            ;   in Loop: Header=BB934_215 Depth=1
	s_or_b64 exec, exec, s[16:17]
.LBB934_425:                            ;   in Loop: Header=BB934_215 Depth=1
	s_or_b64 exec, exec, s[14:15]
	v_cmp_lt_u32_e32 vcc, s24, v44
	v_mov_b32_e32 v58, 0
	v_mov_b32_e32 v59, 0
	s_and_saveexec_b64 s[14:15], vcc
	s_cbranch_execz .LBB934_431
; %bb.426:                              ;   in Loop: Header=BB934_215 Depth=1
	v_lshrrev_b32_e32 v46, 24, v44
	v_cmp_ne_u32_e32 vcc, s9, v46
	v_mov_b32_e32 v59, 0xffff8000
	s_and_saveexec_b64 s[16:17], vcc
	s_cbranch_execz .LBB934_430
; %bb.427:                              ;   in Loop: Header=BB934_215 Depth=1
	v_bfe_u32 v44, v44, 24, 7
	v_cmp_ne_u32_e32 vcc, s23, v44
	v_mov_b32_e32 v59, 0x7f80
	s_and_saveexec_b64 s[18:19], vcc
	s_cbranch_execz .LBB934_429
; %bb.428:                              ;   in Loop: Header=BB934_215 Depth=1
	v_and_b32_e32 v59, 7, v46
	v_ffbh_u32_e32 v60, v59
	v_min_u32_e32 v63, 32, v60
	v_subrev_u32_e32 v60, 28, v63
	v_lshlrev_b64 v[60:61], v60, v[46:47]
	v_lshrrev_b32_e32 v62, 3, v44
	v_sub_u32_e32 v61, 29, v63
	v_and_b32_e32 v60, 7, v60
	v_cmp_gt_u32_e32 vcc, 8, v44
	v_cndmask_b32_e32 v44, v62, v61, vcc
	v_cndmask_b32_e32 v59, v59, v60, vcc
	v_lshlrev_b32_e32 v46, 24, v46
	v_lshlrev_b32_e32 v59, 20, v59
	v_and_b32_e32 v46, 0x80000000, v46
	v_lshl_add_u32 v44, v44, 23, v55
	v_or3_b32 v44, v46, v44, v59
	v_lshrrev_b32_e32 v59, 16, v44
.LBB934_429:                            ;   in Loop: Header=BB934_215 Depth=1
	s_or_b64 exec, exec, s[18:19]
.LBB934_430:                            ;   in Loop: Header=BB934_215 Depth=1
	s_or_b64 exec, exec, s[16:17]
.LBB934_431:                            ;   in Loop: Header=BB934_215 Depth=1
	s_or_b64 exec, exec, s[14:15]
	s_waitcnt vmcnt(2)
	v_cmp_ne_u16_sdwa s[16:17], v42, v54 src0_sel:BYTE_0 src1_sel:DWORD
	s_and_saveexec_b64 s[14:15], s[16:17]
	s_cbranch_execz .LBB934_437
; %bb.432:                              ;   in Loop: Header=BB934_215 Depth=1
	v_cmp_ne_u16_sdwa s[18:19], v42, s9 src0_sel:BYTE_0 src1_sel:DWORD
	v_mov_b32_e32 v58, 0xffff8000
	s_and_saveexec_b64 s[16:17], s[18:19]
	s_cbranch_execz .LBB934_436
; %bb.433:                              ;   in Loop: Header=BB934_215 Depth=1
	v_and_b32_e32 v44, 0x7f, v42
	v_cmp_ne_u32_e32 vcc, s23, v44
	v_mov_b32_e32 v58, 0x7f80
	s_and_saveexec_b64 s[18:19], vcc
	s_cbranch_execz .LBB934_435
; %bb.434:                              ;   in Loop: Header=BB934_215 Depth=1
	v_and_b32_e32 v46, 7, v42
	v_ffbh_u32_e32 v60, v46
	v_min_u32_e32 v62, 32, v60
	v_subrev_u32_e32 v60, 28, v62
	v_lshlrev_b64 v[60:61], v60, v[42:43]
	v_lshrrev_b32_e32 v58, 3, v44
	v_sub_u32_e32 v61, 29, v62
	v_and_b32_e32 v60, 7, v60
	v_cmp_gt_u32_e32 vcc, 8, v44
	v_cndmask_b32_e32 v44, v58, v61, vcc
	v_cndmask_b32_e32 v46, v46, v60, vcc
	v_lshlrev_b32_e32 v58, 24, v42
	v_lshlrev_b32_e32 v46, 20, v46
	v_and_b32_e32 v58, 0x80000000, v58
	v_lshl_add_u32 v44, v44, 23, v55
	v_or3_b32 v44, v58, v44, v46
	v_lshrrev_b32_e32 v58, 16, v44
.LBB934_435:                            ;   in Loop: Header=BB934_215 Depth=1
	s_or_b64 exec, exec, s[18:19]
.LBB934_436:                            ;   in Loop: Header=BB934_215 Depth=1
	s_or_b64 exec, exec, s[16:17]
.LBB934_437:                            ;   in Loop: Header=BB934_215 Depth=1
	s_or_b64 exec, exec, s[14:15]
	v_lshrrev_b16_e32 v44, 8, v42
	v_cmp_ne_u16_e32 vcc, 0, v44
	v_mov_b32_e32 v61, 0
	v_mov_b32_e32 v60, 0
	s_and_saveexec_b64 s[14:15], vcc
	s_cbranch_execz .LBB934_443
; %bb.438:                              ;   in Loop: Header=BB934_215 Depth=1
	v_cmp_ne_u16_e32 vcc, s9, v44
	v_mov_b32_e32 v60, 0xffff8000
	s_and_saveexec_b64 s[16:17], vcc
	s_cbranch_execz .LBB934_442
; %bb.439:                              ;   in Loop: Header=BB934_215 Depth=1
	v_and_b32_e32 v46, 0x7f, v44
	v_cmp_ne_u32_e32 vcc, s23, v46
	v_mov_b32_e32 v60, 0x7f80
	s_and_saveexec_b64 s[18:19], vcc
	s_cbranch_execz .LBB934_441
; %bb.440:                              ;   in Loop: Header=BB934_215 Depth=1
	v_and_b32_e32 v60, 7, v44
	v_ffbh_u32_e32 v62, v60
	v_min_u32_e32 v65, 32, v62
	v_subrev_u32_e32 v62, 28, v65
	v_lshlrev_b64 v[62:63], v62, v[44:45]
	v_lshrrev_b32_e32 v64, 3, v46
	v_sub_u32_e32 v44, 29, v65
	v_and_b32_e32 v62, 7, v62
	v_cmp_gt_u32_e32 vcc, 8, v46
	v_cndmask_b32_e32 v44, v64, v44, vcc
	v_cndmask_b32_e32 v46, v60, v62, vcc
	v_lshlrev_b32_e32 v60, 16, v42
	v_lshlrev_b32_e32 v46, 20, v46
	v_and_b32_e32 v60, 0x80000000, v60
	v_lshl_add_u32 v44, v44, 23, v55
	v_or3_b32 v44, v60, v44, v46
	v_lshrrev_b32_e32 v60, 16, v44
.LBB934_441:                            ;   in Loop: Header=BB934_215 Depth=1
	s_or_b64 exec, exec, s[18:19]
.LBB934_442:                            ;   in Loop: Header=BB934_215 Depth=1
	s_or_b64 exec, exec, s[16:17]
.LBB934_443:                            ;   in Loop: Header=BB934_215 Depth=1
	s_or_b64 exec, exec, s[14:15]
	v_lshrrev_b32_e32 v44, 16, v42
	v_cmp_ne_u16_sdwa s[16:17], v44, v54 src0_sel:BYTE_0 src1_sel:DWORD
	s_and_saveexec_b64 s[14:15], s[16:17]
	s_cbranch_execz .LBB934_449
; %bb.444:                              ;   in Loop: Header=BB934_215 Depth=1
	v_cmp_ne_u16_sdwa s[18:19], v44, s9 src0_sel:BYTE_0 src1_sel:DWORD
	v_mov_b32_e32 v61, 0xffff8000
	s_and_saveexec_b64 s[16:17], s[18:19]
	s_cbranch_execz .LBB934_448
; %bb.445:                              ;   in Loop: Header=BB934_215 Depth=1
	v_bfe_u32 v46, v42, 16, 7
	v_cmp_ne_u32_e32 vcc, s23, v46
	v_mov_b32_e32 v61, 0x7f80
	s_and_saveexec_b64 s[18:19], vcc
	s_cbranch_execz .LBB934_447
; %bb.446:                              ;   in Loop: Header=BB934_215 Depth=1
	v_and_b32_e32 v61, 7, v44
	v_ffbh_u32_e32 v62, v61
	v_min_u32_e32 v65, 32, v62
	v_subrev_u32_e32 v62, 28, v65
	v_lshlrev_b64 v[62:63], v62, v[44:45]
	v_lshrrev_b32_e32 v64, 3, v46
	v_sub_u32_e32 v63, 29, v65
	v_and_b32_e32 v62, 7, v62
	v_cmp_gt_u32_e32 vcc, 8, v46
	v_cndmask_b32_e32 v46, v64, v63, vcc
	v_cndmask_b32_e32 v61, v61, v62, vcc
	v_lshlrev_b32_e32 v44, 24, v44
	v_lshlrev_b32_e32 v61, 20, v61
	v_and_b32_e32 v44, 0x80000000, v44
	v_lshl_add_u32 v46, v46, 23, v55
	v_or3_b32 v44, v44, v46, v61
	v_lshrrev_b32_e32 v61, 16, v44
.LBB934_447:                            ;   in Loop: Header=BB934_215 Depth=1
	s_or_b64 exec, exec, s[18:19]
.LBB934_448:                            ;   in Loop: Header=BB934_215 Depth=1
	s_or_b64 exec, exec, s[16:17]
.LBB934_449:                            ;   in Loop: Header=BB934_215 Depth=1
	s_or_b64 exec, exec, s[14:15]
	v_cmp_lt_u32_e32 vcc, s24, v42
	v_mov_b32_e32 v46, 0
	v_mov_b32_e32 v62, 0
	s_and_saveexec_b64 s[14:15], vcc
	s_cbranch_execz .LBB934_455
; %bb.450:                              ;   in Loop: Header=BB934_215 Depth=1
	v_lshrrev_b32_e32 v44, 24, v42
	v_cmp_ne_u32_e32 vcc, s9, v44
	v_mov_b32_e32 v62, 0xffff8000
	s_and_saveexec_b64 s[16:17], vcc
	s_cbranch_execz .LBB934_454
; %bb.451:                              ;   in Loop: Header=BB934_215 Depth=1
	v_bfe_u32 v42, v42, 24, 7
	v_cmp_ne_u32_e32 vcc, s23, v42
	v_mov_b32_e32 v62, 0x7f80
	s_and_saveexec_b64 s[18:19], vcc
	s_cbranch_execz .LBB934_453
; %bb.452:                              ;   in Loop: Header=BB934_215 Depth=1
	v_and_b32_e32 v64, 7, v44
	v_ffbh_u32_e32 v62, v64
	v_min_u32_e32 v66, 32, v62
	v_subrev_u32_e32 v62, 28, v66
	v_lshlrev_b64 v[62:63], v62, v[44:45]
	v_lshrrev_b32_e32 v65, 3, v42
	v_sub_u32_e32 v63, 29, v66
	v_and_b32_e32 v62, 7, v62
	v_cmp_gt_u32_e32 vcc, 8, v42
	v_cndmask_b32_e32 v42, v65, v63, vcc
	v_cndmask_b32_e32 v62, v64, v62, vcc
	v_lshlrev_b32_e32 v44, 24, v44
	v_lshlrev_b32_e32 v62, 20, v62
	v_and_b32_e32 v44, 0x80000000, v44
	v_lshl_add_u32 v42, v42, 23, v55
	v_or3_b32 v42, v44, v42, v62
	v_lshrrev_b32_e32 v62, 16, v42
.LBB934_453:                            ;   in Loop: Header=BB934_215 Depth=1
	s_or_b64 exec, exec, s[18:19]
.LBB934_454:                            ;   in Loop: Header=BB934_215 Depth=1
	s_or_b64 exec, exec, s[16:17]
.LBB934_455:                            ;   in Loop: Header=BB934_215 Depth=1
	s_or_b64 exec, exec, s[14:15]
	v_perm_b32 v57, v59, v57, s25
	v_perm_b32 v56, v51, v56, s25
	s_waitcnt vmcnt(1)
	v_cmp_ne_u16_sdwa s[16:17], v40, v54 src0_sel:BYTE_0 src1_sel:DWORD
	v_mfma_f32_16x16x16bf16_1k v[34:37], v[56:57], v[18:19], v[34:37]
	v_perm_b32 v57, v62, v61, s25
	v_perm_b32 v56, v60, v58, s25
	s_nop 1
	v_mfma_f32_16x16x16bf16_1k v[34:37], v[56:57], v[20:21], v[34:37]
	s_and_saveexec_b64 s[14:15], s[16:17]
	s_cbranch_execz .LBB934_461
; %bb.456:                              ;   in Loop: Header=BB934_215 Depth=1
	v_cmp_ne_u16_sdwa s[18:19], v40, s9 src0_sel:BYTE_0 src1_sel:DWORD
	v_mov_b32_e32 v46, 0xffff8000
	s_and_saveexec_b64 s[16:17], s[18:19]
	s_cbranch_execz .LBB934_460
; %bb.457:                              ;   in Loop: Header=BB934_215 Depth=1
	v_and_b32_e32 v42, 0x7f, v40
	v_cmp_ne_u32_e32 vcc, s23, v42
	v_mov_b32_e32 v46, 0x7f80
	s_and_saveexec_b64 s[18:19], vcc
	s_cbranch_execz .LBB934_459
; %bb.458:                              ;   in Loop: Header=BB934_215 Depth=1
	v_and_b32_e32 v44, 7, v40
	v_ffbh_u32_e32 v51, v44
	v_min_u32_e32 v51, 32, v51
	v_subrev_u32_e32 v56, 28, v51
	v_lshlrev_b64 v[56:57], v56, v[40:41]
	v_lshrrev_b32_e32 v46, 3, v42
	v_sub_u32_e32 v51, 29, v51
	v_and_b32_e32 v56, 7, v56
	v_cmp_gt_u32_e32 vcc, 8, v42
	v_cndmask_b32_e32 v42, v46, v51, vcc
	v_cndmask_b32_e32 v44, v44, v56, vcc
	v_lshlrev_b32_e32 v46, 24, v40
	v_lshlrev_b32_e32 v44, 20, v44
	v_and_b32_e32 v46, 0x80000000, v46
	v_lshl_add_u32 v42, v42, 23, v55
	v_or3_b32 v42, v46, v42, v44
	v_lshrrev_b32_e32 v46, 16, v42
.LBB934_459:                            ;   in Loop: Header=BB934_215 Depth=1
	s_or_b64 exec, exec, s[18:19]
.LBB934_460:                            ;   in Loop: Header=BB934_215 Depth=1
	s_or_b64 exec, exec, s[16:17]
.LBB934_461:                            ;   in Loop: Header=BB934_215 Depth=1
	s_or_b64 exec, exec, s[14:15]
	v_lshrrev_b16_e32 v42, 8, v40
	v_cmp_ne_u16_e32 vcc, 0, v42
	v_mov_b32_e32 v56, 0
	v_mov_b32_e32 v44, 0
	s_and_saveexec_b64 s[14:15], vcc
	s_cbranch_execz .LBB934_467
; %bb.462:                              ;   in Loop: Header=BB934_215 Depth=1
	v_cmp_ne_u16_e32 vcc, s9, v42
	v_mov_b32_e32 v44, 0xffff8000
	s_and_saveexec_b64 s[16:17], vcc
	s_cbranch_execz .LBB934_466
; %bb.463:                              ;   in Loop: Header=BB934_215 Depth=1
	v_and_b32_e32 v51, 0x7f, v42
	v_cmp_ne_u32_e32 vcc, s23, v51
	v_mov_b32_e32 v44, 0x7f80
	s_and_saveexec_b64 s[18:19], vcc
	s_cbranch_execz .LBB934_465
; %bb.464:                              ;   in Loop: Header=BB934_215 Depth=1
	v_and_b32_e32 v44, 7, v42
	v_ffbh_u32_e32 v58, v44
	v_min_u32_e32 v60, 32, v58
	v_subrev_u32_e32 v58, 28, v60
	v_lshlrev_b64 v[58:59], v58, v[42:43]
	v_lshrrev_b32_e32 v57, 3, v51
	v_sub_u32_e32 v42, 29, v60
	v_and_b32_e32 v58, 7, v58
	v_cmp_gt_u32_e32 vcc, 8, v51
	v_cndmask_b32_e32 v42, v57, v42, vcc
	v_cndmask_b32_e32 v44, v44, v58, vcc
	v_lshlrev_b32_e32 v51, 16, v40
	v_lshlrev_b32_e32 v44, 20, v44
	v_and_b32_e32 v51, 0x80000000, v51
	v_lshl_add_u32 v42, v42, 23, v55
	v_or3_b32 v42, v51, v42, v44
	v_lshrrev_b32_e32 v44, 16, v42
.LBB934_465:                            ;   in Loop: Header=BB934_215 Depth=1
	s_or_b64 exec, exec, s[18:19]
.LBB934_466:                            ;   in Loop: Header=BB934_215 Depth=1
	s_or_b64 exec, exec, s[16:17]
.LBB934_467:                            ;   in Loop: Header=BB934_215 Depth=1
	s_or_b64 exec, exec, s[14:15]
	v_lshrrev_b32_e32 v42, 16, v40
	v_cmp_ne_u16_sdwa s[16:17], v42, v54 src0_sel:BYTE_0 src1_sel:DWORD
	s_and_saveexec_b64 s[14:15], s[16:17]
	s_cbranch_execz .LBB934_473
; %bb.468:                              ;   in Loop: Header=BB934_215 Depth=1
	v_cmp_ne_u16_sdwa s[18:19], v42, s9 src0_sel:BYTE_0 src1_sel:DWORD
	v_mov_b32_e32 v56, 0xffff8000
	s_and_saveexec_b64 s[16:17], s[18:19]
	s_cbranch_execz .LBB934_472
; %bb.469:                              ;   in Loop: Header=BB934_215 Depth=1
	v_bfe_u32 v51, v40, 16, 7
	v_cmp_ne_u32_e32 vcc, s23, v51
	v_mov_b32_e32 v56, 0x7f80
	s_and_saveexec_b64 s[18:19], vcc
	s_cbranch_execz .LBB934_471
; %bb.470:                              ;   in Loop: Header=BB934_215 Depth=1
	v_and_b32_e32 v58, 7, v42
	v_ffbh_u32_e32 v56, v58
	v_min_u32_e32 v60, 32, v56
	v_subrev_u32_e32 v56, 28, v60
	v_lshlrev_b64 v[56:57], v56, v[42:43]
	v_lshrrev_b32_e32 v59, 3, v51
	v_sub_u32_e32 v57, 29, v60
	v_and_b32_e32 v56, 7, v56
	v_cmp_gt_u32_e32 vcc, 8, v51
	v_cndmask_b32_e32 v51, v59, v57, vcc
	v_cndmask_b32_e32 v56, v58, v56, vcc
	v_lshlrev_b32_e32 v42, 24, v42
	v_lshlrev_b32_e32 v56, 20, v56
	v_and_b32_e32 v42, 0x80000000, v42
	v_lshl_add_u32 v51, v51, 23, v55
	v_or3_b32 v42, v42, v51, v56
	v_lshrrev_b32_e32 v56, 16, v42
.LBB934_471:                            ;   in Loop: Header=BB934_215 Depth=1
	s_or_b64 exec, exec, s[18:19]
.LBB934_472:                            ;   in Loop: Header=BB934_215 Depth=1
	s_or_b64 exec, exec, s[16:17]
.LBB934_473:                            ;   in Loop: Header=BB934_215 Depth=1
	s_or_b64 exec, exec, s[14:15]
	v_cmp_lt_u32_e32 vcc, s24, v40
	v_mov_b32_e32 v57, 0
	v_mov_b32_e32 v58, 0
	s_and_saveexec_b64 s[14:15], vcc
	s_cbranch_execz .LBB934_479
; %bb.474:                              ;   in Loop: Header=BB934_215 Depth=1
	v_lshrrev_b32_e32 v42, 24, v40
	v_cmp_ne_u32_e32 vcc, s9, v42
	v_mov_b32_e32 v58, 0xffff8000
	s_and_saveexec_b64 s[16:17], vcc
	s_cbranch_execz .LBB934_478
; %bb.475:                              ;   in Loop: Header=BB934_215 Depth=1
	v_bfe_u32 v40, v40, 24, 7
	v_cmp_ne_u32_e32 vcc, s23, v40
	v_mov_b32_e32 v58, 0x7f80
	s_and_saveexec_b64 s[18:19], vcc
	s_cbranch_execz .LBB934_477
; %bb.476:                              ;   in Loop: Header=BB934_215 Depth=1
	v_and_b32_e32 v51, 7, v42
	v_ffbh_u32_e32 v58, v51
	v_min_u32_e32 v61, 32, v58
	v_subrev_u32_e32 v58, 28, v61
	v_lshlrev_b64 v[58:59], v58, v[42:43]
	v_lshrrev_b32_e32 v60, 3, v40
	v_sub_u32_e32 v59, 29, v61
	v_and_b32_e32 v58, 7, v58
	v_cmp_gt_u32_e32 vcc, 8, v40
	v_cndmask_b32_e32 v40, v60, v59, vcc
	v_cndmask_b32_e32 v51, v51, v58, vcc
	v_lshlrev_b32_e32 v42, 24, v42
	v_lshlrev_b32_e32 v51, 20, v51
	v_and_b32_e32 v42, 0x80000000, v42
	v_lshl_add_u32 v40, v40, 23, v55
	v_or3_b32 v40, v42, v40, v51
	v_lshrrev_b32_e32 v58, 16, v40
.LBB934_477:                            ;   in Loop: Header=BB934_215 Depth=1
	s_or_b64 exec, exec, s[18:19]
.LBB934_478:                            ;   in Loop: Header=BB934_215 Depth=1
	s_or_b64 exec, exec, s[16:17]
.LBB934_479:                            ;   in Loop: Header=BB934_215 Depth=1
	s_or_b64 exec, exec, s[14:15]
	s_waitcnt vmcnt(0)
	v_cmp_ne_u16_sdwa s[16:17], v38, v54 src0_sel:BYTE_0 src1_sel:DWORD
	s_and_saveexec_b64 s[14:15], s[16:17]
	s_cbranch_execz .LBB934_485
; %bb.480:                              ;   in Loop: Header=BB934_215 Depth=1
	v_cmp_ne_u16_sdwa s[18:19], v38, s9 src0_sel:BYTE_0 src1_sel:DWORD
	v_mov_b32_e32 v57, 0xffff8000
	s_and_saveexec_b64 s[16:17], s[18:19]
	s_cbranch_execz .LBB934_484
; %bb.481:                              ;   in Loop: Header=BB934_215 Depth=1
	v_and_b32_e32 v40, 0x7f, v38
	v_cmp_ne_u32_e32 vcc, s23, v40
	v_mov_b32_e32 v57, 0x7f80
	s_and_saveexec_b64 s[18:19], vcc
	s_cbranch_execz .LBB934_483
; %bb.482:                              ;   in Loop: Header=BB934_215 Depth=1
	v_and_b32_e32 v42, 7, v38
	v_ffbh_u32_e32 v57, v42
	v_min_u32_e32 v57, 32, v57
	v_subrev_u32_e32 v59, 28, v57
	v_lshlrev_b64 v[60:61], v59, v[38:39]
	v_lshrrev_b32_e32 v51, 3, v40
	v_sub_u32_e32 v57, 29, v57
	v_and_b32_e32 v59, 7, v60
	v_cmp_gt_u32_e32 vcc, 8, v40
	v_cndmask_b32_e32 v40, v51, v57, vcc
	v_cndmask_b32_e32 v42, v42, v59, vcc
	v_lshlrev_b32_e32 v51, 24, v38
	v_lshlrev_b32_e32 v42, 20, v42
	v_and_b32_e32 v51, 0x80000000, v51
	v_lshl_add_u32 v40, v40, 23, v55
	v_or3_b32 v40, v51, v40, v42
	v_lshrrev_b32_e32 v57, 16, v40
.LBB934_483:                            ;   in Loop: Header=BB934_215 Depth=1
	s_or_b64 exec, exec, s[18:19]
.LBB934_484:                            ;   in Loop: Header=BB934_215 Depth=1
	s_or_b64 exec, exec, s[16:17]
.LBB934_485:                            ;   in Loop: Header=BB934_215 Depth=1
	s_or_b64 exec, exec, s[14:15]
	v_lshrrev_b16_e32 v40, 8, v38
	v_cmp_ne_u16_e32 vcc, 0, v40
	v_mov_b32_e32 v60, 0
	v_mov_b32_e32 v59, 0
	s_and_saveexec_b64 s[14:15], vcc
	s_cbranch_execz .LBB934_491
; %bb.486:                              ;   in Loop: Header=BB934_215 Depth=1
	v_cmp_ne_u16_e32 vcc, s9, v40
	v_mov_b32_e32 v59, 0xffff8000
	s_and_saveexec_b64 s[16:17], vcc
	s_cbranch_execz .LBB934_490
; %bb.487:                              ;   in Loop: Header=BB934_215 Depth=1
	v_and_b32_e32 v42, 0x7f, v40
	v_cmp_ne_u32_e32 vcc, s23, v42
	v_mov_b32_e32 v59, 0x7f80
	s_and_saveexec_b64 s[18:19], vcc
	s_cbranch_execz .LBB934_489
; %bb.488:                              ;   in Loop: Header=BB934_215 Depth=1
	v_and_b32_e32 v51, 7, v40
	v_ffbh_u32_e32 v61, v51
	v_min_u32_e32 v61, 32, v61
	v_subrev_u32_e32 v62, 28, v61
	v_lshlrev_b64 v[62:63], v62, v[40:41]
	v_lshrrev_b32_e32 v59, 3, v42
	v_sub_u32_e32 v40, 29, v61
	v_and_b32_e32 v61, 7, v62
	v_cmp_gt_u32_e32 vcc, 8, v42
	v_cndmask_b32_e32 v40, v59, v40, vcc
	v_cndmask_b32_e32 v42, v51, v61, vcc
	v_lshlrev_b32_e32 v51, 16, v38
	v_lshlrev_b32_e32 v42, 20, v42
	v_and_b32_e32 v51, 0x80000000, v51
	v_lshl_add_u32 v40, v40, 23, v55
	v_or3_b32 v40, v51, v40, v42
	v_lshrrev_b32_e32 v59, 16, v40
.LBB934_489:                            ;   in Loop: Header=BB934_215 Depth=1
	s_or_b64 exec, exec, s[18:19]
.LBB934_490:                            ;   in Loop: Header=BB934_215 Depth=1
	s_or_b64 exec, exec, s[16:17]
.LBB934_491:                            ;   in Loop: Header=BB934_215 Depth=1
	s_or_b64 exec, exec, s[14:15]
	v_lshrrev_b32_e32 v40, 16, v38
	v_cmp_ne_u16_sdwa s[16:17], v40, v54 src0_sel:BYTE_0 src1_sel:DWORD
	s_and_saveexec_b64 s[14:15], s[16:17]
	s_cbranch_execz .LBB934_497
; %bb.492:                              ;   in Loop: Header=BB934_215 Depth=1
	v_cmp_ne_u16_sdwa s[18:19], v40, s9 src0_sel:BYTE_0 src1_sel:DWORD
	v_mov_b32_e32 v60, 0xffff8000
	s_and_saveexec_b64 s[16:17], s[18:19]
	s_cbranch_execz .LBB934_496
; %bb.493:                              ;   in Loop: Header=BB934_215 Depth=1
	v_bfe_u32 v42, v38, 16, 7
	v_cmp_ne_u32_e32 vcc, s23, v42
	v_mov_b32_e32 v60, 0x7f80
	s_and_saveexec_b64 s[18:19], vcc
	s_cbranch_execz .LBB934_495
; %bb.494:                              ;   in Loop: Header=BB934_215 Depth=1
	v_and_b32_e32 v51, 7, v40
	v_ffbh_u32_e32 v60, v51
	v_min_u32_e32 v63, 32, v60
	v_subrev_u32_e32 v60, 28, v63
	v_lshlrev_b64 v[60:61], v60, v[40:41]
	v_lshrrev_b32_e32 v62, 3, v42
	v_sub_u32_e32 v61, 29, v63
	v_and_b32_e32 v60, 7, v60
	v_cmp_gt_u32_e32 vcc, 8, v42
	v_cndmask_b32_e32 v42, v62, v61, vcc
	v_cndmask_b32_e32 v51, v51, v60, vcc
	v_lshlrev_b32_e32 v40, 24, v40
	v_lshlrev_b32_e32 v51, 20, v51
	v_and_b32_e32 v40, 0x80000000, v40
	v_lshl_add_u32 v42, v42, 23, v55
	v_or3_b32 v40, v40, v42, v51
	v_lshrrev_b32_e32 v60, 16, v40
.LBB934_495:                            ;   in Loop: Header=BB934_215 Depth=1
	s_or_b64 exec, exec, s[18:19]
.LBB934_496:                            ;   in Loop: Header=BB934_215 Depth=1
	s_or_b64 exec, exec, s[16:17]
.LBB934_497:                            ;   in Loop: Header=BB934_215 Depth=1
	s_or_b64 exec, exec, s[14:15]
	v_cmp_lt_u32_e32 vcc, s24, v38
	v_mov_b32_e32 v51, 0
	v_mov_b32_e32 v61, 0
	s_and_saveexec_b64 s[14:15], vcc
	s_cbranch_execz .LBB934_503
; %bb.498:                              ;   in Loop: Header=BB934_215 Depth=1
	v_lshrrev_b32_e32 v40, 24, v38
	v_cmp_ne_u32_e32 vcc, s9, v40
	v_mov_b32_e32 v61, 0xffff8000
	s_and_saveexec_b64 s[16:17], vcc
	s_cbranch_execz .LBB934_502
; %bb.499:                              ;   in Loop: Header=BB934_215 Depth=1
	v_bfe_u32 v38, v38, 24, 7
	v_cmp_ne_u32_e32 vcc, s23, v38
	v_mov_b32_e32 v61, 0x7f80
	s_and_saveexec_b64 s[18:19], vcc
	s_cbranch_execz .LBB934_501
; %bb.500:                              ;   in Loop: Header=BB934_215 Depth=1
	v_and_b32_e32 v42, 7, v40
	v_ffbh_u32_e32 v62, v42
	v_min_u32_e32 v64, 32, v62
	v_subrev_u32_e32 v62, 28, v64
	v_lshlrev_b64 v[62:63], v62, v[40:41]
	v_lshrrev_b32_e32 v61, 3, v38
	v_sub_u32_e32 v63, 29, v64
	v_and_b32_e32 v62, 7, v62
	v_cmp_gt_u32_e32 vcc, 8, v38
	v_cndmask_b32_e32 v38, v61, v63, vcc
	v_cndmask_b32_e32 v42, v42, v62, vcc
	v_lshlrev_b32_e32 v40, 24, v40
	v_lshlrev_b32_e32 v42, 20, v42
	v_and_b32_e32 v40, 0x80000000, v40
	v_lshl_add_u32 v38, v38, 23, v55
	v_or3_b32 v38, v40, v38, v42
	v_lshrrev_b32_e32 v61, 16, v38
.LBB934_501:                            ;   in Loop: Header=BB934_215 Depth=1
	s_or_b64 exec, exec, s[18:19]
.LBB934_502:                            ;   in Loop: Header=BB934_215 Depth=1
	s_or_b64 exec, exec, s[16:17]
.LBB934_503:                            ;   in Loop: Header=BB934_215 Depth=1
	s_or_b64 exec, exec, s[14:15]
	v_perm_b32 v62, v44, v46, s25
	buffer_load_dword v44, v50, s[0:3], 0 offen
	buffer_load_dword v42, v50, s[0:3], 0 offen offset:4
	buffer_load_dword v40, v50, s[0:3], 0 offen offset:8
	;; [unrolled: 1-line block ×3, first 2 shown]
	v_perm_b32 v63, v58, v56, s25
	v_perm_b32 v61, v61, v60, s25
	;; [unrolled: 1-line block ×3, first 2 shown]
	v_mfma_f32_16x16x16bf16_1k v[34:37], v[62:63], v[22:23], v[34:37]
	s_waitcnt vmcnt(3)
	v_cmp_ne_u16_sdwa s[16:17], v44, v54 src0_sel:BYTE_0 src1_sel:DWORD
	v_mfma_f32_16x16x16bf16_1k v[34:37], v[60:61], v[24:25], v[34:37]
	s_and_saveexec_b64 s[14:15], s[16:17]
	s_cbranch_execz .LBB934_509
; %bb.504:                              ;   in Loop: Header=BB934_215 Depth=1
	v_cmp_ne_u16_sdwa s[18:19], v44, s9 src0_sel:BYTE_0 src1_sel:DWORD
	v_mov_b32_e32 v51, 0xffff8000
	s_and_saveexec_b64 s[16:17], s[18:19]
	s_cbranch_execz .LBB934_508
; %bb.505:                              ;   in Loop: Header=BB934_215 Depth=1
	v_and_b32_e32 v46, 0x7f, v44
	v_cmp_ne_u32_e32 vcc, s23, v46
	v_mov_b32_e32 v51, 0x7f80
	s_and_saveexec_b64 s[18:19], vcc
	s_cbranch_execz .LBB934_507
; %bb.506:                              ;   in Loop: Header=BB934_215 Depth=1
	v_and_b32_e32 v56, 7, v44
	v_ffbh_u32_e32 v50, v56
	v_min_u32_e32 v58, 32, v50
	v_subrev_u32_e32 v50, 28, v58
	v_lshlrev_b64 v[50:51], v50, v[44:45]
	v_lshrrev_b32_e32 v57, 3, v46
	v_sub_u32_e32 v51, 29, v58
	v_and_b32_e32 v50, 7, v50
	v_cmp_gt_u32_e32 vcc, 8, v46
	v_cndmask_b32_e32 v46, v57, v51, vcc
	v_cndmask_b32_e32 v50, v56, v50, vcc
	v_lshlrev_b32_e32 v51, 24, v44
	v_lshlrev_b32_e32 v50, 20, v50
	v_and_b32_e32 v51, 0x80000000, v51
	v_lshl_add_u32 v46, v46, 23, v55
	v_or3_b32 v46, v51, v46, v50
	v_lshrrev_b32_e32 v51, 16, v46
.LBB934_507:                            ;   in Loop: Header=BB934_215 Depth=1
	s_or_b64 exec, exec, s[18:19]
.LBB934_508:                            ;   in Loop: Header=BB934_215 Depth=1
	s_or_b64 exec, exec, s[16:17]
.LBB934_509:                            ;   in Loop: Header=BB934_215 Depth=1
	s_or_b64 exec, exec, s[14:15]
	v_lshrrev_b16_e32 v46, 8, v44
	v_cmp_ne_u16_e32 vcc, 0, v46
	v_mov_b32_e32 v56, 0
	v_mov_b32_e32 v50, 0
	s_and_saveexec_b64 s[14:15], vcc
	s_cbranch_execz .LBB934_515
; %bb.510:                              ;   in Loop: Header=BB934_215 Depth=1
	v_cmp_ne_u16_e32 vcc, s9, v46
	v_mov_b32_e32 v50, 0xffff8000
	s_and_saveexec_b64 s[16:17], vcc
	s_cbranch_execz .LBB934_514
; %bb.511:                              ;   in Loop: Header=BB934_215 Depth=1
	v_and_b32_e32 v57, 0x7f, v46
	v_cmp_ne_u32_e32 vcc, s23, v57
	v_mov_b32_e32 v50, 0x7f80
	s_and_saveexec_b64 s[18:19], vcc
	s_cbranch_execz .LBB934_513
; %bb.512:                              ;   in Loop: Header=BB934_215 Depth=1
	v_and_b32_e32 v50, 7, v46
	v_ffbh_u32_e32 v58, v50
	v_min_u32_e32 v61, 32, v58
	v_subrev_u32_e32 v58, 28, v61
	v_lshlrev_b64 v[58:59], v58, v[46:47]
	v_lshrrev_b32_e32 v60, 3, v57
	v_sub_u32_e32 v46, 29, v61
	v_and_b32_e32 v58, 7, v58
	v_cmp_gt_u32_e32 vcc, 8, v57
	v_cndmask_b32_e32 v46, v60, v46, vcc
	v_cndmask_b32_e32 v50, v50, v58, vcc
	v_lshlrev_b32_e32 v57, 16, v44
	v_lshlrev_b32_e32 v50, 20, v50
	v_and_b32_e32 v57, 0x80000000, v57
	v_lshl_add_u32 v46, v46, 23, v55
	v_or3_b32 v46, v57, v46, v50
	v_lshrrev_b32_e32 v50, 16, v46
.LBB934_513:                            ;   in Loop: Header=BB934_215 Depth=1
	s_or_b64 exec, exec, s[18:19]
.LBB934_514:                            ;   in Loop: Header=BB934_215 Depth=1
	s_or_b64 exec, exec, s[16:17]
.LBB934_515:                            ;   in Loop: Header=BB934_215 Depth=1
	s_or_b64 exec, exec, s[14:15]
	v_lshrrev_b32_e32 v46, 16, v44
	v_cmp_ne_u16_sdwa s[16:17], v46, v54 src0_sel:BYTE_0 src1_sel:DWORD
	s_and_saveexec_b64 s[14:15], s[16:17]
	s_cbranch_execz .LBB934_521
; %bb.516:                              ;   in Loop: Header=BB934_215 Depth=1
	v_cmp_ne_u16_sdwa s[18:19], v46, s9 src0_sel:BYTE_0 src1_sel:DWORD
	v_mov_b32_e32 v56, 0xffff8000
	s_and_saveexec_b64 s[16:17], s[18:19]
	s_cbranch_execz .LBB934_520
; %bb.517:                              ;   in Loop: Header=BB934_215 Depth=1
	v_bfe_u32 v57, v44, 16, 7
	v_cmp_ne_u32_e32 vcc, s23, v57
	v_mov_b32_e32 v56, 0x7f80
	s_and_saveexec_b64 s[18:19], vcc
	s_cbranch_execz .LBB934_519
; %bb.518:                              ;   in Loop: Header=BB934_215 Depth=1
	v_and_b32_e32 v56, 7, v46
	v_ffbh_u32_e32 v58, v56
	v_min_u32_e32 v61, 32, v58
	v_subrev_u32_e32 v58, 28, v61
	v_lshlrev_b64 v[58:59], v58, v[46:47]
	v_lshrrev_b32_e32 v60, 3, v57
	v_sub_u32_e32 v59, 29, v61
	v_and_b32_e32 v58, 7, v58
	v_cmp_gt_u32_e32 vcc, 8, v57
	v_cndmask_b32_e32 v57, v60, v59, vcc
	v_cndmask_b32_e32 v56, v56, v58, vcc
	v_lshlrev_b32_e32 v46, 24, v46
	v_lshlrev_b32_e32 v56, 20, v56
	v_and_b32_e32 v46, 0x80000000, v46
	v_lshl_add_u32 v57, v57, 23, v55
	v_or3_b32 v46, v46, v57, v56
	v_lshrrev_b32_e32 v56, 16, v46
.LBB934_519:                            ;   in Loop: Header=BB934_215 Depth=1
	s_or_b64 exec, exec, s[18:19]
.LBB934_520:                            ;   in Loop: Header=BB934_215 Depth=1
	s_or_b64 exec, exec, s[16:17]
.LBB934_521:                            ;   in Loop: Header=BB934_215 Depth=1
	s_or_b64 exec, exec, s[14:15]
	v_cmp_lt_u32_e32 vcc, s24, v44
	v_mov_b32_e32 v57, 0
	v_mov_b32_e32 v58, 0
	s_and_saveexec_b64 s[14:15], vcc
	s_cbranch_execz .LBB934_527
; %bb.522:                              ;   in Loop: Header=BB934_215 Depth=1
	v_lshrrev_b32_e32 v46, 24, v44
	v_cmp_ne_u32_e32 vcc, s9, v46
	v_mov_b32_e32 v58, 0xffff8000
	s_and_saveexec_b64 s[16:17], vcc
	s_cbranch_execz .LBB934_526
; %bb.523:                              ;   in Loop: Header=BB934_215 Depth=1
	v_bfe_u32 v44, v44, 24, 7
	v_cmp_ne_u32_e32 vcc, s23, v44
	v_mov_b32_e32 v58, 0x7f80
	s_and_saveexec_b64 s[18:19], vcc
	s_cbranch_execz .LBB934_525
; %bb.524:                              ;   in Loop: Header=BB934_215 Depth=1
	v_and_b32_e32 v60, 7, v46
	v_ffbh_u32_e32 v58, v60
	v_min_u32_e32 v62, 32, v58
	v_subrev_u32_e32 v58, 28, v62
	v_lshlrev_b64 v[58:59], v58, v[46:47]
	v_lshrrev_b32_e32 v61, 3, v44
	v_sub_u32_e32 v59, 29, v62
	v_and_b32_e32 v58, 7, v58
	v_cmp_gt_u32_e32 vcc, 8, v44
	v_cndmask_b32_e32 v44, v61, v59, vcc
	v_cndmask_b32_e32 v58, v60, v58, vcc
	v_lshlrev_b32_e32 v46, 24, v46
	v_lshlrev_b32_e32 v58, 20, v58
	v_and_b32_e32 v46, 0x80000000, v46
	v_lshl_add_u32 v44, v44, 23, v55
	v_or3_b32 v44, v46, v44, v58
	v_lshrrev_b32_e32 v58, 16, v44
.LBB934_525:                            ;   in Loop: Header=BB934_215 Depth=1
	s_or_b64 exec, exec, s[18:19]
.LBB934_526:                            ;   in Loop: Header=BB934_215 Depth=1
	s_or_b64 exec, exec, s[16:17]
.LBB934_527:                            ;   in Loop: Header=BB934_215 Depth=1
	s_or_b64 exec, exec, s[14:15]
	s_waitcnt vmcnt(2)
	v_cmp_ne_u16_sdwa s[16:17], v42, v54 src0_sel:BYTE_0 src1_sel:DWORD
	s_and_saveexec_b64 s[14:15], s[16:17]
	s_cbranch_execz .LBB934_533
; %bb.528:                              ;   in Loop: Header=BB934_215 Depth=1
	v_cmp_ne_u16_sdwa s[18:19], v42, s9 src0_sel:BYTE_0 src1_sel:DWORD
	v_mov_b32_e32 v57, 0xffff8000
	s_and_saveexec_b64 s[16:17], s[18:19]
	s_cbranch_execz .LBB934_532
; %bb.529:                              ;   in Loop: Header=BB934_215 Depth=1
	v_and_b32_e32 v44, 0x7f, v42
	v_cmp_ne_u32_e32 vcc, s23, v44
	v_mov_b32_e32 v57, 0x7f80
	s_and_saveexec_b64 s[18:19], vcc
	s_cbranch_execz .LBB934_531
; %bb.530:                              ;   in Loop: Header=BB934_215 Depth=1
	v_and_b32_e32 v46, 7, v42
	v_ffbh_u32_e32 v59, v46
	v_min_u32_e32 v59, 32, v59
	v_subrev_u32_e32 v60, 28, v59
	v_lshlrev_b64 v[60:61], v60, v[42:43]
	v_lshrrev_b32_e32 v57, 3, v44
	v_sub_u32_e32 v59, 29, v59
	v_and_b32_e32 v60, 7, v60
	v_cmp_gt_u32_e32 vcc, 8, v44
	v_cndmask_b32_e32 v44, v57, v59, vcc
	v_cndmask_b32_e32 v46, v46, v60, vcc
	v_lshlrev_b32_e32 v57, 24, v42
	v_lshlrev_b32_e32 v46, 20, v46
	v_and_b32_e32 v57, 0x80000000, v57
	v_lshl_add_u32 v44, v44, 23, v55
	v_or3_b32 v44, v57, v44, v46
	v_lshrrev_b32_e32 v57, 16, v44
.LBB934_531:                            ;   in Loop: Header=BB934_215 Depth=1
	s_or_b64 exec, exec, s[18:19]
.LBB934_532:                            ;   in Loop: Header=BB934_215 Depth=1
	s_or_b64 exec, exec, s[16:17]
.LBB934_533:                            ;   in Loop: Header=BB934_215 Depth=1
	s_or_b64 exec, exec, s[14:15]
	v_lshrrev_b16_e32 v44, 8, v42
	v_cmp_ne_u16_e32 vcc, 0, v44
	v_mov_b32_e32 v60, 0
	v_mov_b32_e32 v59, 0
	s_and_saveexec_b64 s[14:15], vcc
	s_cbranch_execz .LBB934_539
; %bb.534:                              ;   in Loop: Header=BB934_215 Depth=1
	v_cmp_ne_u16_e32 vcc, s9, v44
	v_mov_b32_e32 v59, 0xffff8000
	s_and_saveexec_b64 s[16:17], vcc
	s_cbranch_execz .LBB934_538
; %bb.535:                              ;   in Loop: Header=BB934_215 Depth=1
	v_and_b32_e32 v46, 0x7f, v44
	v_cmp_ne_u32_e32 vcc, s23, v46
	v_mov_b32_e32 v59, 0x7f80
	s_and_saveexec_b64 s[18:19], vcc
	s_cbranch_execz .LBB934_537
; %bb.536:                              ;   in Loop: Header=BB934_215 Depth=1
	v_and_b32_e32 v59, 7, v44
	v_ffbh_u32_e32 v62, v59
	v_min_u32_e32 v64, 32, v62
	v_subrev_u32_e32 v62, 28, v64
	v_lshlrev_b64 v[62:63], v62, v[44:45]
	v_lshrrev_b32_e32 v61, 3, v46
	v_sub_u32_e32 v44, 29, v64
	v_and_b32_e32 v62, 7, v62
	v_cmp_gt_u32_e32 vcc, 8, v46
	v_cndmask_b32_e32 v44, v61, v44, vcc
	v_cndmask_b32_e32 v46, v59, v62, vcc
	v_lshlrev_b32_e32 v59, 16, v42
	v_lshlrev_b32_e32 v46, 20, v46
	v_and_b32_e32 v59, 0x80000000, v59
	v_lshl_add_u32 v44, v44, 23, v55
	v_or3_b32 v44, v59, v44, v46
	v_lshrrev_b32_e32 v59, 16, v44
.LBB934_537:                            ;   in Loop: Header=BB934_215 Depth=1
	s_or_b64 exec, exec, s[18:19]
.LBB934_538:                            ;   in Loop: Header=BB934_215 Depth=1
	s_or_b64 exec, exec, s[16:17]
.LBB934_539:                            ;   in Loop: Header=BB934_215 Depth=1
	s_or_b64 exec, exec, s[14:15]
	v_lshrrev_b32_e32 v44, 16, v42
	v_cmp_ne_u16_sdwa s[16:17], v44, v54 src0_sel:BYTE_0 src1_sel:DWORD
	s_and_saveexec_b64 s[14:15], s[16:17]
	s_cbranch_execz .LBB934_545
; %bb.540:                              ;   in Loop: Header=BB934_215 Depth=1
	v_cmp_ne_u16_sdwa s[18:19], v44, s9 src0_sel:BYTE_0 src1_sel:DWORD
	v_mov_b32_e32 v60, 0xffff8000
	s_and_saveexec_b64 s[16:17], s[18:19]
	s_cbranch_execz .LBB934_544
; %bb.541:                              ;   in Loop: Header=BB934_215 Depth=1
	v_bfe_u32 v46, v42, 16, 7
	v_cmp_ne_u32_e32 vcc, s23, v46
	v_mov_b32_e32 v60, 0x7f80
	s_and_saveexec_b64 s[18:19], vcc
	s_cbranch_execz .LBB934_543
; %bb.542:                              ;   in Loop: Header=BB934_215 Depth=1
	v_and_b32_e32 v62, 7, v44
	v_ffbh_u32_e32 v60, v62
	v_min_u32_e32 v64, 32, v60
	v_subrev_u32_e32 v60, 28, v64
	v_lshlrev_b64 v[60:61], v60, v[44:45]
	v_lshrrev_b32_e32 v63, 3, v46
	v_sub_u32_e32 v61, 29, v64
	v_and_b32_e32 v60, 7, v60
	v_cmp_gt_u32_e32 vcc, 8, v46
	v_cndmask_b32_e32 v46, v63, v61, vcc
	v_cndmask_b32_e32 v60, v62, v60, vcc
	v_lshlrev_b32_e32 v44, 24, v44
	v_lshlrev_b32_e32 v60, 20, v60
	v_and_b32_e32 v44, 0x80000000, v44
	v_lshl_add_u32 v46, v46, 23, v55
	v_or3_b32 v44, v44, v46, v60
	v_lshrrev_b32_e32 v60, 16, v44
.LBB934_543:                            ;   in Loop: Header=BB934_215 Depth=1
	s_or_b64 exec, exec, s[18:19]
.LBB934_544:                            ;   in Loop: Header=BB934_215 Depth=1
	s_or_b64 exec, exec, s[16:17]
.LBB934_545:                            ;   in Loop: Header=BB934_215 Depth=1
	s_or_b64 exec, exec, s[14:15]
	v_cmp_lt_u32_e32 vcc, s24, v42
	v_mov_b32_e32 v46, 0
	v_mov_b32_e32 v61, 0
	s_and_saveexec_b64 s[14:15], vcc
	s_cbranch_execz .LBB934_551
; %bb.546:                              ;   in Loop: Header=BB934_215 Depth=1
	v_lshrrev_b32_e32 v44, 24, v42
	v_cmp_ne_u32_e32 vcc, s9, v44
	v_mov_b32_e32 v61, 0xffff8000
	s_and_saveexec_b64 s[16:17], vcc
	s_cbranch_execz .LBB934_550
; %bb.547:                              ;   in Loop: Header=BB934_215 Depth=1
	v_bfe_u32 v42, v42, 24, 7
	v_cmp_ne_u32_e32 vcc, s23, v42
	v_mov_b32_e32 v61, 0x7f80
	s_and_saveexec_b64 s[18:19], vcc
	s_cbranch_execz .LBB934_549
; %bb.548:                              ;   in Loop: Header=BB934_215 Depth=1
	v_and_b32_e32 v61, 7, v44
	v_ffbh_u32_e32 v62, v61
	v_min_u32_e32 v65, 32, v62
	v_subrev_u32_e32 v62, 28, v65
	v_lshlrev_b64 v[62:63], v62, v[44:45]
	v_lshrrev_b32_e32 v64, 3, v42
	v_sub_u32_e32 v63, 29, v65
	v_and_b32_e32 v62, 7, v62
	v_cmp_gt_u32_e32 vcc, 8, v42
	v_cndmask_b32_e32 v42, v64, v63, vcc
	v_cndmask_b32_e32 v61, v61, v62, vcc
	v_lshlrev_b32_e32 v44, 24, v44
	v_lshlrev_b32_e32 v61, 20, v61
	v_and_b32_e32 v44, 0x80000000, v44
	v_lshl_add_u32 v42, v42, 23, v55
	v_or3_b32 v42, v44, v42, v61
	v_lshrrev_b32_e32 v61, 16, v42
.LBB934_549:                            ;   in Loop: Header=BB934_215 Depth=1
	s_or_b64 exec, exec, s[18:19]
.LBB934_550:                            ;   in Loop: Header=BB934_215 Depth=1
	s_or_b64 exec, exec, s[16:17]
.LBB934_551:                            ;   in Loop: Header=BB934_215 Depth=1
	s_or_b64 exec, exec, s[14:15]
	v_perm_b32 v63, v58, v56, s25
	v_perm_b32 v62, v50, v51, s25
	;; [unrolled: 1-line block ×4, first 2 shown]
	s_waitcnt vmcnt(1)
	v_cmp_ne_u16_sdwa s[16:17], v40, v54 src0_sel:BYTE_0 src1_sel:DWORD
	v_mfma_f32_16x16x16bf16_1k v[34:37], v[62:63], v[26:27], v[34:37]
	v_mfma_f32_16x16x16bf16_1k v[34:37], v[50:51], v[28:29], v[34:37]
	s_and_saveexec_b64 s[14:15], s[16:17]
	s_cbranch_execz .LBB934_557
; %bb.552:                              ;   in Loop: Header=BB934_215 Depth=1
	v_cmp_ne_u16_sdwa s[18:19], v40, s9 src0_sel:BYTE_0 src1_sel:DWORD
	v_mov_b32_e32 v46, 0xffff8000
	s_and_saveexec_b64 s[16:17], s[18:19]
	s_cbranch_execz .LBB934_556
; %bb.553:                              ;   in Loop: Header=BB934_215 Depth=1
	v_and_b32_e32 v42, 0x7f, v40
	v_cmp_ne_u32_e32 vcc, s23, v42
	v_mov_b32_e32 v46, 0x7f80
	s_and_saveexec_b64 s[18:19], vcc
	s_cbranch_execz .LBB934_555
; %bb.554:                              ;   in Loop: Header=BB934_215 Depth=1
	v_and_b32_e32 v44, 7, v40
	v_ffbh_u32_e32 v50, v44
	v_min_u32_e32 v56, 32, v50
	v_subrev_u32_e32 v50, 28, v56
	v_lshlrev_b64 v[50:51], v50, v[40:41]
	v_lshrrev_b32_e32 v46, 3, v42
	v_sub_u32_e32 v51, 29, v56
	v_and_b32_e32 v50, 7, v50
	v_cmp_gt_u32_e32 vcc, 8, v42
	v_cndmask_b32_e32 v42, v46, v51, vcc
	v_cndmask_b32_e32 v44, v44, v50, vcc
	v_lshlrev_b32_e32 v46, 24, v40
	v_lshlrev_b32_e32 v44, 20, v44
	v_and_b32_e32 v46, 0x80000000, v46
	v_lshl_add_u32 v42, v42, 23, v55
	v_or3_b32 v42, v46, v42, v44
	v_lshrrev_b32_e32 v46, 16, v42
.LBB934_555:                            ;   in Loop: Header=BB934_215 Depth=1
	s_or_b64 exec, exec, s[18:19]
.LBB934_556:                            ;   in Loop: Header=BB934_215 Depth=1
	s_or_b64 exec, exec, s[16:17]
.LBB934_557:                            ;   in Loop: Header=BB934_215 Depth=1
	s_or_b64 exec, exec, s[14:15]
	v_lshrrev_b16_e32 v42, 8, v40
	v_cmp_ne_u16_e32 vcc, 0, v42
	v_mov_b32_e32 v50, 0
	v_mov_b32_e32 v44, 0
	s_and_saveexec_b64 s[14:15], vcc
	s_cbranch_execz .LBB934_563
; %bb.558:                              ;   in Loop: Header=BB934_215 Depth=1
	v_cmp_ne_u16_e32 vcc, s9, v42
	v_mov_b32_e32 v44, 0xffff8000
	s_and_saveexec_b64 s[16:17], vcc
	s_cbranch_execz .LBB934_562
; %bb.559:                              ;   in Loop: Header=BB934_215 Depth=1
	v_and_b32_e32 v51, 0x7f, v42
	v_cmp_ne_u32_e32 vcc, s23, v51
	v_mov_b32_e32 v44, 0x7f80
	s_and_saveexec_b64 s[18:19], vcc
	s_cbranch_execz .LBB934_561
; %bb.560:                              ;   in Loop: Header=BB934_215 Depth=1
	v_and_b32_e32 v44, 7, v42
	v_ffbh_u32_e32 v56, v44
	v_min_u32_e32 v59, 32, v56
	v_subrev_u32_e32 v56, 28, v59
	v_lshlrev_b64 v[56:57], v56, v[42:43]
	v_lshrrev_b32_e32 v58, 3, v51
	v_sub_u32_e32 v42, 29, v59
	v_and_b32_e32 v56, 7, v56
	v_cmp_gt_u32_e32 vcc, 8, v51
	v_cndmask_b32_e32 v42, v58, v42, vcc
	v_cndmask_b32_e32 v44, v44, v56, vcc
	v_lshlrev_b32_e32 v51, 16, v40
	v_lshlrev_b32_e32 v44, 20, v44
	v_and_b32_e32 v51, 0x80000000, v51
	v_lshl_add_u32 v42, v42, 23, v55
	v_or3_b32 v42, v51, v42, v44
	v_lshrrev_b32_e32 v44, 16, v42
.LBB934_561:                            ;   in Loop: Header=BB934_215 Depth=1
	s_or_b64 exec, exec, s[18:19]
.LBB934_562:                            ;   in Loop: Header=BB934_215 Depth=1
	s_or_b64 exec, exec, s[16:17]
.LBB934_563:                            ;   in Loop: Header=BB934_215 Depth=1
	s_or_b64 exec, exec, s[14:15]
	v_lshrrev_b32_e32 v42, 16, v40
	v_cmp_ne_u16_sdwa s[16:17], v42, v54 src0_sel:BYTE_0 src1_sel:DWORD
	s_and_saveexec_b64 s[14:15], s[16:17]
	s_cbranch_execz .LBB934_569
; %bb.564:                              ;   in Loop: Header=BB934_215 Depth=1
	v_cmp_ne_u16_sdwa s[18:19], v42, s9 src0_sel:BYTE_0 src1_sel:DWORD
	v_mov_b32_e32 v50, 0xffff8000
	s_and_saveexec_b64 s[16:17], s[18:19]
	s_cbranch_execz .LBB934_568
; %bb.565:                              ;   in Loop: Header=BB934_215 Depth=1
	v_bfe_u32 v51, v40, 16, 7
	v_cmp_ne_u32_e32 vcc, s23, v51
	v_mov_b32_e32 v50, 0x7f80
	s_and_saveexec_b64 s[18:19], vcc
	s_cbranch_execz .LBB934_567
; %bb.566:                              ;   in Loop: Header=BB934_215 Depth=1
	v_and_b32_e32 v50, 7, v42
	v_ffbh_u32_e32 v56, v50
	v_min_u32_e32 v59, 32, v56
	v_subrev_u32_e32 v56, 28, v59
	v_lshlrev_b64 v[56:57], v56, v[42:43]
	v_lshrrev_b32_e32 v58, 3, v51
	v_sub_u32_e32 v57, 29, v59
	v_and_b32_e32 v56, 7, v56
	v_cmp_gt_u32_e32 vcc, 8, v51
	v_cndmask_b32_e32 v51, v58, v57, vcc
	v_cndmask_b32_e32 v50, v50, v56, vcc
	v_lshlrev_b32_e32 v42, 24, v42
	v_lshlrev_b32_e32 v50, 20, v50
	v_and_b32_e32 v42, 0x80000000, v42
	v_lshl_add_u32 v51, v51, 23, v55
	v_or3_b32 v42, v42, v51, v50
	v_lshrrev_b32_e32 v50, 16, v42
.LBB934_567:                            ;   in Loop: Header=BB934_215 Depth=1
	s_or_b64 exec, exec, s[18:19]
.LBB934_568:                            ;   in Loop: Header=BB934_215 Depth=1
	s_or_b64 exec, exec, s[16:17]
.LBB934_569:                            ;   in Loop: Header=BB934_215 Depth=1
	s_or_b64 exec, exec, s[14:15]
	v_cmp_lt_u32_e32 vcc, s24, v40
	v_mov_b32_e32 v51, 0
	v_mov_b32_e32 v56, 0
	s_and_saveexec_b64 s[14:15], vcc
	s_cbranch_execz .LBB934_575
; %bb.570:                              ;   in Loop: Header=BB934_215 Depth=1
	v_lshrrev_b32_e32 v42, 24, v40
	v_cmp_ne_u32_e32 vcc, s9, v42
	v_mov_b32_e32 v56, 0xffff8000
	s_and_saveexec_b64 s[16:17], vcc
	s_cbranch_execz .LBB934_574
; %bb.571:                              ;   in Loop: Header=BB934_215 Depth=1
	v_bfe_u32 v40, v40, 24, 7
	v_cmp_ne_u32_e32 vcc, s23, v40
	v_mov_b32_e32 v56, 0x7f80
	s_and_saveexec_b64 s[18:19], vcc
	s_cbranch_execz .LBB934_573
; %bb.572:                              ;   in Loop: Header=BB934_215 Depth=1
	v_and_b32_e32 v58, 7, v42
	v_ffbh_u32_e32 v56, v58
	v_min_u32_e32 v60, 32, v56
	v_subrev_u32_e32 v56, 28, v60
	v_lshlrev_b64 v[56:57], v56, v[42:43]
	v_lshrrev_b32_e32 v59, 3, v40
	v_sub_u32_e32 v57, 29, v60
	v_and_b32_e32 v56, 7, v56
	v_cmp_gt_u32_e32 vcc, 8, v40
	v_cndmask_b32_e32 v40, v59, v57, vcc
	v_cndmask_b32_e32 v56, v58, v56, vcc
	v_lshlrev_b32_e32 v42, 24, v42
	v_lshlrev_b32_e32 v56, 20, v56
	v_and_b32_e32 v42, 0x80000000, v42
	v_lshl_add_u32 v40, v40, 23, v55
	v_or3_b32 v40, v42, v40, v56
	v_lshrrev_b32_e32 v56, 16, v40
.LBB934_573:                            ;   in Loop: Header=BB934_215 Depth=1
	s_or_b64 exec, exec, s[18:19]
.LBB934_574:                            ;   in Loop: Header=BB934_215 Depth=1
	s_or_b64 exec, exec, s[16:17]
.LBB934_575:                            ;   in Loop: Header=BB934_215 Depth=1
	s_or_b64 exec, exec, s[14:15]
	s_waitcnt vmcnt(0)
	v_cmp_ne_u16_sdwa s[16:17], v38, v54 src0_sel:BYTE_0 src1_sel:DWORD
	s_and_saveexec_b64 s[14:15], s[16:17]
	s_cbranch_execz .LBB934_581
; %bb.576:                              ;   in Loop: Header=BB934_215 Depth=1
	v_cmp_ne_u16_sdwa s[18:19], v38, s9 src0_sel:BYTE_0 src1_sel:DWORD
	v_mov_b32_e32 v51, 0xffff8000
	s_and_saveexec_b64 s[16:17], s[18:19]
	s_cbranch_execz .LBB934_580
; %bb.577:                              ;   in Loop: Header=BB934_215 Depth=1
	v_and_b32_e32 v40, 0x7f, v38
	v_cmp_ne_u32_e32 vcc, s23, v40
	v_mov_b32_e32 v51, 0x7f80
	s_and_saveexec_b64 s[18:19], vcc
	s_cbranch_execz .LBB934_579
; %bb.578:                              ;   in Loop: Header=BB934_215 Depth=1
	v_and_b32_e32 v42, 7, v38
	v_ffbh_u32_e32 v57, v42
	v_min_u32_e32 v57, 32, v57
	v_subrev_u32_e32 v58, 28, v57
	v_lshlrev_b64 v[58:59], v58, v[38:39]
	v_lshrrev_b32_e32 v51, 3, v40
	v_sub_u32_e32 v57, 29, v57
	v_and_b32_e32 v58, 7, v58
	v_cmp_gt_u32_e32 vcc, 8, v40
	v_cndmask_b32_e32 v40, v51, v57, vcc
	v_cndmask_b32_e32 v42, v42, v58, vcc
	v_lshlrev_b32_e32 v51, 24, v38
	v_lshlrev_b32_e32 v42, 20, v42
	v_and_b32_e32 v51, 0x80000000, v51
	v_lshl_add_u32 v40, v40, 23, v55
	v_or3_b32 v40, v51, v40, v42
	v_lshrrev_b32_e32 v51, 16, v40
.LBB934_579:                            ;   in Loop: Header=BB934_215 Depth=1
	s_or_b64 exec, exec, s[18:19]
.LBB934_580:                            ;   in Loop: Header=BB934_215 Depth=1
	s_or_b64 exec, exec, s[16:17]
.LBB934_581:                            ;   in Loop: Header=BB934_215 Depth=1
	s_or_b64 exec, exec, s[14:15]
	v_lshrrev_b16_e32 v40, 8, v38
	v_cmp_ne_u16_e32 vcc, 0, v40
	v_mov_b32_e32 v57, 0
	v_mov_b32_e32 v42, 0
	s_and_saveexec_b64 s[14:15], vcc
	s_cbranch_execz .LBB934_587
; %bb.582:                              ;   in Loop: Header=BB934_215 Depth=1
	v_cmp_ne_u16_e32 vcc, s9, v40
	v_mov_b32_e32 v42, 0xffff8000
	s_and_saveexec_b64 s[16:17], vcc
	s_cbranch_execz .LBB934_586
; %bb.583:                              ;   in Loop: Header=BB934_215 Depth=1
	v_and_b32_e32 v58, 0x7f, v40
	v_cmp_ne_u32_e32 vcc, s23, v58
	v_mov_b32_e32 v42, 0x7f80
	s_and_saveexec_b64 s[18:19], vcc
	s_cbranch_execz .LBB934_585
; %bb.584:                              ;   in Loop: Header=BB934_215 Depth=1
	v_and_b32_e32 v42, 7, v40
	v_ffbh_u32_e32 v60, v42
	v_min_u32_e32 v62, 32, v60
	v_subrev_u32_e32 v60, 28, v62
	v_lshlrev_b64 v[60:61], v60, v[40:41]
	v_lshrrev_b32_e32 v59, 3, v58
	v_sub_u32_e32 v40, 29, v62
	v_and_b32_e32 v60, 7, v60
	v_cmp_gt_u32_e32 vcc, 8, v58
	v_cndmask_b32_e32 v40, v59, v40, vcc
	v_cndmask_b32_e32 v42, v42, v60, vcc
	v_lshlrev_b32_e32 v58, 16, v38
	v_lshlrev_b32_e32 v42, 20, v42
	v_and_b32_e32 v58, 0x80000000, v58
	v_lshl_add_u32 v40, v40, 23, v55
	v_or3_b32 v40, v58, v40, v42
	v_lshrrev_b32_e32 v42, 16, v40
.LBB934_585:                            ;   in Loop: Header=BB934_215 Depth=1
	s_or_b64 exec, exec, s[18:19]
.LBB934_586:                            ;   in Loop: Header=BB934_215 Depth=1
	s_or_b64 exec, exec, s[16:17]
.LBB934_587:                            ;   in Loop: Header=BB934_215 Depth=1
	s_or_b64 exec, exec, s[14:15]
	v_lshrrev_b32_e32 v40, 16, v38
	v_cmp_ne_u16_sdwa s[16:17], v40, v54 src0_sel:BYTE_0 src1_sel:DWORD
	s_and_saveexec_b64 s[14:15], s[16:17]
	s_cbranch_execz .LBB934_593
; %bb.588:                              ;   in Loop: Header=BB934_215 Depth=1
	v_cmp_ne_u16_sdwa s[18:19], v40, s9 src0_sel:BYTE_0 src1_sel:DWORD
	v_mov_b32_e32 v57, 0xffff8000
	s_and_saveexec_b64 s[16:17], s[18:19]
	s_cbranch_execz .LBB934_592
; %bb.589:                              ;   in Loop: Header=BB934_215 Depth=1
	v_bfe_u32 v58, v38, 16, 7
	v_cmp_ne_u32_e32 vcc, s23, v58
	v_mov_b32_e32 v57, 0x7f80
	s_and_saveexec_b64 s[18:19], vcc
	s_cbranch_execz .LBB934_591
; %bb.590:                              ;   in Loop: Header=BB934_215 Depth=1
	v_and_b32_e32 v57, 7, v40
	v_ffbh_u32_e32 v60, v57
	v_min_u32_e32 v62, 32, v60
	v_subrev_u32_e32 v60, 28, v62
	v_lshlrev_b64 v[60:61], v60, v[40:41]
	v_lshrrev_b32_e32 v59, 3, v58
	v_sub_u32_e32 v61, 29, v62
	v_and_b32_e32 v60, 7, v60
	v_cmp_gt_u32_e32 vcc, 8, v58
	v_cndmask_b32_e32 v58, v59, v61, vcc
	v_cndmask_b32_e32 v57, v57, v60, vcc
	v_lshlrev_b32_e32 v40, 24, v40
	v_lshlrev_b32_e32 v57, 20, v57
	v_and_b32_e32 v40, 0x80000000, v40
	v_lshl_add_u32 v58, v58, 23, v55
	v_or3_b32 v40, v40, v58, v57
	v_lshrrev_b32_e32 v57, 16, v40
.LBB934_591:                            ;   in Loop: Header=BB934_215 Depth=1
	s_or_b64 exec, exec, s[18:19]
.LBB934_592:                            ;   in Loop: Header=BB934_215 Depth=1
	s_or_b64 exec, exec, s[16:17]
.LBB934_593:                            ;   in Loop: Header=BB934_215 Depth=1
	s_or_b64 exec, exec, s[14:15]
	v_cmp_lt_u32_e32 vcc, s24, v38
	v_mov_b32_e32 v58, 0
	s_and_saveexec_b64 s[14:15], vcc
	s_cbranch_execz .LBB934_214
; %bb.594:                              ;   in Loop: Header=BB934_215 Depth=1
	v_lshrrev_b32_e32 v40, 24, v38
	v_cmp_ne_u32_e32 vcc, s9, v40
	v_mov_b32_e32 v58, 0xffff8000
	s_and_saveexec_b64 s[16:17], vcc
	s_cbranch_execz .LBB934_213
; %bb.595:                              ;   in Loop: Header=BB934_215 Depth=1
	v_bfe_u32 v38, v38, 24, 7
	v_cmp_ne_u32_e32 vcc, s23, v38
	v_mov_b32_e32 v58, 0x7f80
	s_and_saveexec_b64 s[18:19], vcc
	s_cbranch_execz .LBB934_212
; %bb.596:                              ;   in Loop: Header=BB934_215 Depth=1
	v_and_b32_e32 v60, 7, v40
	v_ffbh_u32_e32 v58, v60
	v_min_u32_e32 v62, 32, v58
	v_subrev_u32_e32 v58, 28, v62
	v_lshlrev_b64 v[58:59], v58, v[40:41]
	v_lshrrev_b32_e32 v61, 3, v38
	v_sub_u32_e32 v59, 29, v62
	v_and_b32_e32 v58, 7, v58
	v_cmp_gt_u32_e32 vcc, 8, v38
	v_cndmask_b32_e32 v38, v61, v59, vcc
	v_cndmask_b32_e32 v58, v60, v58, vcc
	v_lshlrev_b32_e32 v40, 24, v40
	v_lshlrev_b32_e32 v58, 20, v58
	v_and_b32_e32 v40, 0x80000000, v40
	v_lshl_add_u32 v38, v38, 23, v55
	v_or3_b32 v38, v40, v38, v58
	v_lshrrev_b32_e32 v58, 16, v38
	s_branch .LBB934_212
.LBB934_597:
	s_barrier
	buffer_load_dword v2, off, s[0:3], 0 offset:320
	buffer_load_dword v5, off, s[0:3], 0 offset:332
	;; [unrolled: 1-line block ×4, first 2 shown]
	v_cmp_gt_u32_e32 vcc, 64, v0
	s_waitcnt vmcnt(0)
	ds_write2st64_b64 v52, v[2:3], v[4:5] offset1:1
	s_waitcnt lgkmcnt(0)
	s_barrier
	s_and_saveexec_b64 s[6:7], vcc
	s_cbranch_execz .LBB934_600
; %bb.598:
	s_lshl_b32 s6, s48, 7
	s_mul_i32 s7, s20, s8
	s_mul_hi_u32 s11, s7, s6
	s_mul_i32 s10, s7, s6
	s_lshl_b64 s[10:11], s[10:11], 1
	v_lshlrev_b32_e32 v4, 6, v41
	s_add_u32 s7, s50, s10
	v_lshl_or_b32 v0, v0, 10, v4
	s_mov_b32 s9, 0
	s_addc_u32 s10, s51, s11
	s_lshl_b32 s8, s26, 7
	v_lshlrev_b32_e32 v2, 5, v1
	v_and_b32_e32 v3, 16, v43
	v_and_b32_e32 v0, 0x1a00, v0
	s_lshl_b64 s[8:9], s[8:9], 1
	v_or3_b32 v0, v0, v2, v3
	s_add_u32 s7, s7, s8
	s_addc_u32 s8, s10, s9
	ds_read_b128 v[4:7], v0 offset:128
	ds_read_b128 v[8:11], v0
	v_add_u32_e32 v14, s27, v1
	v_mov_b32_e32 v3, s8
	v_add_co_u32_e32 v2, vcc, s7, v39
	v_mad_u64_u32 v[12:13], s[8:9], v14, s6, 0
	v_addc_co_u32_e32 v3, vcc, 0, v3, vcc
	v_lshlrev_b64 v[12:13], 1, v[12:13]
	v_add_co_u32_e32 v12, vcc, v2, v12
	v_addc_co_u32_e32 v13, vcc, v3, v13, vcc
	s_waitcnt lgkmcnt(0)
	global_store_dwordx4 v[12:13], v[8:11], off
	s_nop 0
	v_add_u32_e32 v8, 4, v14
	v_mad_u64_u32 v[8:9], s[8:9], v8, s6, 0
	v_lshlrev_b64 v[8:9], 1, v[8:9]
	v_add_co_u32_e32 v8, vcc, v2, v8
	v_addc_co_u32_e32 v9, vcc, v3, v9, vcc
	global_store_dwordx4 v[8:9], v[4:7], off
	s_and_b64 exec, exec, s[4:5]
	s_cbranch_execz .LBB934_600
; %bb.599:
	ds_read_b128 v[4:7], v0 offset:256
	v_add3_u32 v0, s27, v1, 8
	v_mad_u64_u32 v[0:1], s[4:5], v0, s6, 0
	v_lshlrev_b64 v[0:1], 1, v[0:1]
	v_add_co_u32_e32 v0, vcc, v2, v0
	v_addc_co_u32_e32 v1, vcc, v3, v1, vcc
	s_waitcnt lgkmcnt(0)
	global_store_dwordx4 v[0:1], v[4:7], off
.LBB934_600:
	s_endpgm
	.section	.rodata,"a",@progbits
	.p2align	6, 0x0
	.amdhsa_kernel _Z39paged_attention_ll4mi_QKV_mfma16_kernelI14__hip_bfloat16hLN4vllm18Fp8KVCacheDataTypeE1ES0_Li32ELi128ELi256ELb1ELi9EL8MFMAType0EEvPKT_PKT0_S9_ifPKiSB_SB_iPKfiiiPfSE_PS4_PT2_iSD_SD_
		.amdhsa_group_segment_fixed_size 8192
		.amdhsa_private_segment_fixed_size 352
		.amdhsa_kernarg_size 400
		.amdhsa_user_sgpr_count 8
		.amdhsa_user_sgpr_private_segment_buffer 1
		.amdhsa_user_sgpr_dispatch_ptr 0
		.amdhsa_user_sgpr_queue_ptr 0
		.amdhsa_user_sgpr_kernarg_segment_ptr 1
		.amdhsa_user_sgpr_dispatch_id 0
		.amdhsa_user_sgpr_flat_scratch_init 1
		.amdhsa_user_sgpr_kernarg_preload_length 0
		.amdhsa_user_sgpr_kernarg_preload_offset 0
		.amdhsa_user_sgpr_private_segment_size 0
		.amdhsa_uses_dynamic_stack 0
		.amdhsa_system_sgpr_private_segment_wavefront_offset 1
		.amdhsa_system_sgpr_workgroup_id_x 1
		.amdhsa_system_sgpr_workgroup_id_y 1
		.amdhsa_system_sgpr_workgroup_id_z 1
		.amdhsa_system_sgpr_workgroup_info 0
		.amdhsa_system_vgpr_workitem_id 0
		.amdhsa_next_free_vgpr 80
		.amdhsa_next_free_sgpr 53
		.amdhsa_accum_offset 80
		.amdhsa_reserve_vcc 1
		.amdhsa_reserve_flat_scratch 0
		.amdhsa_float_round_mode_32 0
		.amdhsa_float_round_mode_16_64 0
		.amdhsa_float_denorm_mode_32 3
		.amdhsa_float_denorm_mode_16_64 3
		.amdhsa_dx10_clamp 1
		.amdhsa_ieee_mode 1
		.amdhsa_fp16_overflow 0
		.amdhsa_tg_split 0
		.amdhsa_exception_fp_ieee_invalid_op 0
		.amdhsa_exception_fp_denorm_src 0
		.amdhsa_exception_fp_ieee_div_zero 0
		.amdhsa_exception_fp_ieee_overflow 0
		.amdhsa_exception_fp_ieee_underflow 0
		.amdhsa_exception_fp_ieee_inexact 0
		.amdhsa_exception_int_div_zero 0
	.end_amdhsa_kernel
	.section	.text._Z39paged_attention_ll4mi_QKV_mfma16_kernelI14__hip_bfloat16hLN4vllm18Fp8KVCacheDataTypeE1ES0_Li32ELi128ELi256ELb1ELi9EL8MFMAType0EEvPKT_PKT0_S9_ifPKiSB_SB_iPKfiiiPfSE_PS4_PT2_iSD_SD_,"axG",@progbits,_Z39paged_attention_ll4mi_QKV_mfma16_kernelI14__hip_bfloat16hLN4vllm18Fp8KVCacheDataTypeE1ES0_Li32ELi128ELi256ELb1ELi9EL8MFMAType0EEvPKT_PKT0_S9_ifPKiSB_SB_iPKfiiiPfSE_PS4_PT2_iSD_SD_,comdat
.Lfunc_end934:
	.size	_Z39paged_attention_ll4mi_QKV_mfma16_kernelI14__hip_bfloat16hLN4vllm18Fp8KVCacheDataTypeE1ES0_Li32ELi128ELi256ELb1ELi9EL8MFMAType0EEvPKT_PKT0_S9_ifPKiSB_SB_iPKfiiiPfSE_PS4_PT2_iSD_SD_, .Lfunc_end934-_Z39paged_attention_ll4mi_QKV_mfma16_kernelI14__hip_bfloat16hLN4vllm18Fp8KVCacheDataTypeE1ES0_Li32ELi128ELi256ELb1ELi9EL8MFMAType0EEvPKT_PKT0_S9_ifPKiSB_SB_iPKfiiiPfSE_PS4_PT2_iSD_SD_
                                        ; -- End function
	.section	.AMDGPU.csdata,"",@progbits
; Kernel info:
; codeLenInByte = 22564
; NumSgprs: 57
; NumVgprs: 80
; NumAgprs: 0
; TotalNumVgprs: 80
; ScratchSize: 352
; MemoryBound: 0
; FloatMode: 240
; IeeeMode: 1
; LDSByteSize: 8192 bytes/workgroup (compile time only)
; SGPRBlocks: 7
; VGPRBlocks: 9
; NumSGPRsForWavesPerEU: 57
; NumVGPRsForWavesPerEU: 80
; AccumOffset: 80
; Occupancy: 6
; WaveLimiterHint : 1
; COMPUTE_PGM_RSRC2:SCRATCH_EN: 1
; COMPUTE_PGM_RSRC2:USER_SGPR: 8
; COMPUTE_PGM_RSRC2:TRAP_HANDLER: 0
; COMPUTE_PGM_RSRC2:TGID_X_EN: 1
; COMPUTE_PGM_RSRC2:TGID_Y_EN: 1
; COMPUTE_PGM_RSRC2:TGID_Z_EN: 1
; COMPUTE_PGM_RSRC2:TIDIG_COMP_CNT: 0
; COMPUTE_PGM_RSRC3_GFX90A:ACCUM_OFFSET: 19
; COMPUTE_PGM_RSRC3_GFX90A:TG_SPLIT: 0
	.section	.text._Z39paged_attention_ll4mi_QKV_mfma16_kernelI14__hip_bfloat16hLN4vllm18Fp8KVCacheDataTypeE1ES0_Li32ELi128ELi256ELb1ELi10EL8MFMAType0EEvPKT_PKT0_S9_ifPKiSB_SB_iPKfiiiPfSE_PS4_PT2_iSD_SD_,"axG",@progbits,_Z39paged_attention_ll4mi_QKV_mfma16_kernelI14__hip_bfloat16hLN4vllm18Fp8KVCacheDataTypeE1ES0_Li32ELi128ELi256ELb1ELi10EL8MFMAType0EEvPKT_PKT0_S9_ifPKiSB_SB_iPKfiiiPfSE_PS4_PT2_iSD_SD_,comdat
	.protected	_Z39paged_attention_ll4mi_QKV_mfma16_kernelI14__hip_bfloat16hLN4vllm18Fp8KVCacheDataTypeE1ES0_Li32ELi128ELi256ELb1ELi10EL8MFMAType0EEvPKT_PKT0_S9_ifPKiSB_SB_iPKfiiiPfSE_PS4_PT2_iSD_SD_ ; -- Begin function _Z39paged_attention_ll4mi_QKV_mfma16_kernelI14__hip_bfloat16hLN4vllm18Fp8KVCacheDataTypeE1ES0_Li32ELi128ELi256ELb1ELi10EL8MFMAType0EEvPKT_PKT0_S9_ifPKiSB_SB_iPKfiiiPfSE_PS4_PT2_iSD_SD_
	.globl	_Z39paged_attention_ll4mi_QKV_mfma16_kernelI14__hip_bfloat16hLN4vllm18Fp8KVCacheDataTypeE1ES0_Li32ELi128ELi256ELb1ELi10EL8MFMAType0EEvPKT_PKT0_S9_ifPKiSB_SB_iPKfiiiPfSE_PS4_PT2_iSD_SD_
	.p2align	8
	.type	_Z39paged_attention_ll4mi_QKV_mfma16_kernelI14__hip_bfloat16hLN4vllm18Fp8KVCacheDataTypeE1ES0_Li32ELi128ELi256ELb1ELi10EL8MFMAType0EEvPKT_PKT0_S9_ifPKiSB_SB_iPKfiiiPfSE_PS4_PT2_iSD_SD_,@function
_Z39paged_attention_ll4mi_QKV_mfma16_kernelI14__hip_bfloat16hLN4vllm18Fp8KVCacheDataTypeE1ES0_Li32ELi128ELi256ELb1ELi10EL8MFMAType0EEvPKT_PKT0_S9_ifPKiSB_SB_iPKfiiiPfSE_PS4_PT2_iSD_SD_: ; @_Z39paged_attention_ll4mi_QKV_mfma16_kernelI14__hip_bfloat16hLN4vllm18Fp8KVCacheDataTypeE1ES0_Li32ELi128ELi256ELb1ELi10EL8MFMAType0EEvPKT_PKT0_S9_ifPKiSB_SB_iPKfiiiPfSE_PS4_PT2_iSD_SD_
; %bb.0:
	s_load_dwordx2 s[6:7], s[4:5], 0x30
	s_add_u32 s0, s0, s11
	s_addc_u32 s1, s1, 0
	s_mov_b32 s26, s9
	s_mov_b64 s[14:15], 0
	s_waitcnt lgkmcnt(0)
	s_cmp_lg_u64 s[6:7], 0
	s_cselect_b64 s[12:13], -1, 0
	s_and_b64 vcc, exec, s[12:13]
	s_cbranch_vccz .LBB935_7
; %bb.1:
	s_add_i32 s16, s8, 1
	s_mov_b32 s17, 0
	s_lshl_b64 s[18:19], s[16:17], 2
	s_add_u32 s18, s6, s18
	s_mov_b32 s9, s17
	s_addc_u32 s19, s7, s19
	s_lshl_b64 s[16:17], s[8:9], 2
	s_add_u32 s16, s6, s16
	s_addc_u32 s17, s7, s17
	s_load_dword s11, s[18:19], 0x0
	s_load_dword s20, s[16:17], 0x0
	s_waitcnt lgkmcnt(0)
	s_sub_i32 s11, s11, s20
	s_cmp_eq_u32 s11, 1
	s_cselect_b64 s[16:17], -1, 0
	s_andn2_b64 vcc, exec, s[14:15]
	s_cbranch_vccnz .LBB935_3
.LBB935_2:
	s_mov_b32 s9, 0
	s_mov_b64 s[16:17], -1
.LBB935_3:
	s_andn2_b64 vcc, exec, s[16:17]
	s_cbranch_vccnz .LBB935_600
; %bb.4:
	s_load_dwordx2 s[16:17], s[4:5], 0x28
	s_lshl_b64 s[14:15], s[8:9], 2
	s_waitcnt lgkmcnt(0)
	s_add_u32 s16, s16, s14
	s_addc_u32 s17, s17, s15
	s_load_dword s33, s[16:17], 0x0
	s_lshl_b32 s20, s26, 8
	s_waitcnt lgkmcnt(0)
	s_cmp_ge_i32 s20, s33
	s_cbranch_scc1 .LBB935_600
; %bb.5:
	s_add_i32 s18, s33, 31
	s_load_dwordx2 s[16:17], s[4:5], 0x20
	s_load_dword s11, s[4:5], 0x38
	s_ashr_i32 s19, s18, 31
	v_and_b32_e32 v1, 0xcf, v0
	s_lshr_b32 s19, s19, 27
	v_add_u32_e32 v1, s20, v1
	s_add_i32 s18, s18, s19
	v_ashrrev_i32_e32 v2, 31, v1
	s_ashr_i32 s23, s18, 5
	v_lshrrev_b32_e32 v4, 27, v2
	s_add_i32 s23, s23, -1
	v_add_u32_e32 v2, v1, v4
	s_waitcnt lgkmcnt(0)
	s_mul_i32 s18, s8, s11
	s_mov_b32 s19, 0
	v_ashrrev_i32_e32 v2, 5, v2
	v_mov_b32_e32 v5, s23
	v_cmp_gt_i32_e32 vcc, s33, v1
	s_lshl_b64 s[18:19], s[18:19], 2
	v_cndmask_b32_e32 v2, v5, v2, vcc
	s_add_u32 s21, s16, s18
	v_ashrrev_i32_e32 v3, 31, v2
	s_addc_u32 s22, s17, s19
	v_lshlrev_b64 v[2:3], 2, v[2:3]
	v_mov_b32_e32 v7, s22
	v_add_co_u32_e32 v6, vcc, s21, v2
	v_or_b32_e32 v2, 16, v1
	v_addc_co_u32_e32 v7, vcc, v7, v3, vcc
	v_add_u32_e32 v3, v2, v4
	v_ashrrev_i32_e32 v3, 5, v3
	v_cmp_gt_i32_e32 vcc, s33, v2
	v_cndmask_b32_e32 v2, v5, v3, vcc
	v_ashrrev_i32_e32 v3, 31, v2
	v_lshlrev_b64 v[2:3], 2, v[2:3]
	v_mov_b32_e32 v9, s22
	v_add_co_u32_e32 v8, vcc, s21, v2
	v_or_b32_e32 v2, 32, v1
	v_addc_co_u32_e32 v9, vcc, v9, v3, vcc
	v_add_u32_e32 v3, v2, v4
	v_ashrrev_i32_e32 v3, 5, v3
	v_cmp_gt_i32_e32 vcc, s33, v2
	v_cndmask_b32_e32 v2, v5, v3, vcc
	v_ashrrev_i32_e32 v3, 31, v2
	;; [unrolled: 10-line block ×3, first 2 shown]
	v_lshlrev_b64 v[2:3], 2, v[2:3]
	v_mov_b32_e32 v1, s22
	v_add_co_u32_e32 v12, vcc, s21, v2
	v_addc_co_u32_e32 v13, vcc, v1, v3, vcc
	global_load_dword v5, v[6:7], off
	global_load_dword v4, v[8:9], off
	;; [unrolled: 1-line block ×4, first 2 shown]
	s_load_dwordx2 s[16:17], s[4:5], 0x8
	s_andn2_b64 vcc, exec, s[12:13]
	s_cbranch_vccnz .LBB935_8
; %bb.6:
	s_add_u32 s6, s6, s14
	s_addc_u32 s7, s7, s15
	s_load_dword s11, s[6:7], 0x0
	s_branch .LBB935_9
.LBB935_7:
	s_mov_b64 s[16:17], 0
	s_branch .LBB935_2
.LBB935_8:
	s_mov_b32 s11, s8
.LBB935_9:
	s_load_dwordx2 s[6:7], s[4:5], 0x10
	s_load_dwordx4 s[12:15], s[4:5], 0x48
	v_lshrrev_b32_e32 v27, 6, v0
	v_bfe_u32 v1, v0, 4, 2
	v_and_b32_e32 v41, 15, v0
	v_lshl_or_b32 v6, v27, 2, v1
	v_lshlrev_b32_e32 v7, 3, v41
	s_mul_i32 s27, s10, 10
	v_cmp_gt_u32_e32 vcc, 10, v6
	v_lshlrev_b32_e32 v39, 1, v7
	v_lshlrev_b32_e32 v43, 4, v0
	s_and_saveexec_b64 s[18:19], vcc
	s_cbranch_execz .LBB935_11
; %bb.10:
	s_load_dwordx2 s[24:25], s[4:5], 0x0
	s_waitcnt lgkmcnt(0)
	s_ashr_i32 s15, s12, 31
	s_mul_hi_u32 s28, s11, s12
	s_mul_i32 s15, s11, s15
	s_add_i32 s29, s28, s15
	s_mul_i32 s28, s11, s12
	s_lshl_b64 s[28:29], s[28:29], 1
	v_add_lshl_u32 v8, v6, s27, 7
	s_add_u32 s11, s24, s28
	v_ashrrev_i32_e32 v9, 31, v8
	s_addc_u32 s12, s25, s29
	v_lshlrev_b64 v[8:9], 1, v[8:9]
	v_mov_b32_e32 v7, s12
	v_add_co_u32_e32 v8, vcc, s11, v8
	v_addc_co_u32_e32 v7, vcc, v7, v9, vcc
	v_add_co_u32_e32 v8, vcc, v8, v39
	v_addc_co_u32_e32 v9, vcc, 0, v7, vcc
	global_load_dwordx4 v[8:11], v[8:9], off
	v_lshlrev_b32_e32 v12, 8, v0
	v_lshlrev_b32_e32 v7, 8, v41
	v_and_b32_e32 v12, 0x600, v12
	s_movk_i32 s11, 0x800
	v_and_or_b32 v7, v7, s11, v12
	v_lshlrev_b32_e32 v6, 5, v6
	v_and_b32_e32 v12, 16, v43
	v_or3_b32 v6, v7, v6, v12
	s_waitcnt vmcnt(0)
	ds_write_b128 v6, v[8:11]
.LBB935_11:
	s_or_b64 exec, exec, s[18:19]
	s_waitcnt lgkmcnt(0)
	s_mul_i32 s14, s10, s14
	s_add_u32 s10, s16, s14
	s_addc_u32 s11, s17, 0
	v_pk_mov_b32 v[6:7], s[10:11], s[10:11] op_sel:[0,1]
	s_waitcnt vmcnt(3)
	v_mad_i64_i32 v[8:9], s[10:11], v5, s13, v[6:7]
	v_lshlrev_b32_e32 v11, 4, v41
	v_and_b32_e32 v18, 48, v0
	v_add_co_u32_e32 v5, vcc, v8, v11
	v_lshlrev_b32_e32 v10, 5, v18
	v_addc_co_u32_e32 v9, vcc, 0, v9, vcc
	v_add_co_u32_e32 v8, vcc, v5, v10
	v_addc_co_u32_e32 v9, vcc, 0, v9, vcc
	s_load_dwordx2 s[48:49], s[4:5], 0x94
	s_waitcnt lgkmcnt(0)
	s_barrier
	global_load_dwordx4 v[20:23], v[8:9], off
	global_load_dwordx4 v[28:31], v[8:9], off offset:2048
	s_waitcnt vmcnt(4)
	v_mad_i64_i32 v[4:5], s[10:11], v4, s13, v[6:7]
	v_or_b32_e32 v8, 0x100, v11
	v_add_co_u32_e32 v4, vcc, v4, v8
	v_addc_co_u32_e32 v5, vcc, 0, v5, vcc
	v_add_co_u32_e32 v4, vcc, v4, v10
	v_addc_co_u32_e32 v5, vcc, 0, v5, vcc
	global_load_dwordx4 v[32:35], v[4:5], off
	global_load_dwordx4 v[44:47], v[4:5], off offset:2048
	s_waitcnt vmcnt(5)
	v_mad_i64_i32 v[4:5], s[10:11], v3, s13, v[6:7]
	v_add_co_u32_e32 v3, vcc, v4, v11
	v_addc_co_u32_e32 v5, vcc, 0, v5, vcc
	v_add_co_u32_e32 v4, vcc, v3, v10
	v_addc_co_u32_e32 v5, vcc, 0, v5, vcc
	s_waitcnt vmcnt(4)
	v_mad_i64_i32 v[2:3], s[10:11], v2, s13, v[6:7]
	v_add_co_u32_e32 v2, vcc, v2, v8
	v_addc_co_u32_e32 v3, vcc, 0, v3, vcc
	v_add_co_u32_e32 v2, vcc, v2, v10
	v_addc_co_u32_e32 v3, vcc, 0, v3, vcc
	global_load_dwordx4 v[48:51], v[4:5], off
	global_load_dwordx4 v[52:55], v[4:5], off offset:2048
	global_load_dwordx4 v[56:59], v[2:3], off
	global_load_dwordx4 v[60:63], v[2:3], off offset:2048
	v_add_u32_e32 v2, -10, v41
	v_cmp_gt_u32_e32 vcc, 10, v41
	v_cndmask_b32_e32 v2, v2, v41, vcc
	v_lshlrev_b32_e32 v2, 5, v2
	v_lshl_add_u32 v14, v1, 9, v2
	s_load_dwordx2 s[50:51], s[4:5], 0x68
	s_load_dwordx4 s[44:47], s[4:5], 0x58
	ds_read_b128 v[2:5], v14
	ds_read_b128 v[6:9], v14 offset:16
	ds_read_b128 v[10:13], v14 offset:2048
	;; [unrolled: 1-line block ×3, first 2 shown]
	s_mov_b32 s12, 0
	s_waitcnt vmcnt(7)
	buffer_store_dword v23, off, s[0:3], 0 offset:12
	buffer_store_dword v22, off, s[0:3], 0 offset:8
	;; [unrolled: 1-line block ×3, first 2 shown]
	buffer_store_dword v20, off, s[0:3], 0
	s_waitcnt vmcnt(10)
	buffer_store_dword v31, off, s[0:3], 0 offset:28
	buffer_store_dword v30, off, s[0:3], 0 offset:24
	buffer_store_dword v29, off, s[0:3], 0 offset:20
	buffer_store_dword v28, off, s[0:3], 0 offset:16
	s_waitcnt vmcnt(13)
	buffer_store_dword v35, off, s[0:3], 0 offset:44
	buffer_store_dword v34, off, s[0:3], 0 offset:40
	buffer_store_dword v33, off, s[0:3], 0 offset:36
	buffer_store_dword v32, off, s[0:3], 0 offset:32
	;; [unrolled: 5-line block ×7, first 2 shown]
	v_mov_b32_e32 v35, 0
	v_mov_b32_e32 v31, 0
	s_and_saveexec_b64 s[10:11], vcc
	s_cbranch_execz .LBB935_13
; %bb.12:
	s_load_dwordx2 s[16:17], s[4:5], 0x40
	v_add_u32_e32 v20, s27, v41
	v_ashrrev_i32_e32 v21, 31, v20
	v_lshlrev_b64 v[20:21], 2, v[20:21]
	s_waitcnt lgkmcnt(0)
	v_mov_b32_e32 v19, s17
	v_add_co_u32_e32 v20, vcc, s16, v20
	v_addc_co_u32_e32 v21, vcc, v19, v21, vcc
	global_load_dword v31, v[20:21], off
.LBB935_13:
	s_or_b64 exec, exec, s[10:11]
	s_ashr_i32 s10, s20, 31
	v_or_b32_e32 v24, s20, v18
	s_lshr_b32 s10, s10, 27
	v_add_u32_e32 v18, s10, v24
	v_ashrrev_i32_e32 v18, 5, v18
	v_mov_b32_e32 v25, s23
	v_cmp_gt_i32_e32 vcc, s33, v24
	v_cndmask_b32_e32 v18, v25, v18, vcc
	v_ashrrev_i32_e32 v19, 31, v18
	v_lshlrev_b64 v[18:19], 2, v[18:19]
	v_mov_b32_e32 v20, s22
	v_add_co_u32_e32 v18, vcc, s21, v18
	v_addc_co_u32_e32 v19, vcc, v20, v19, vcc
	v_or_b32_e32 v20, 64, v24
	v_add_u32_e32 v21, s10, v20
	v_ashrrev_i32_e32 v21, 5, v21
	v_cmp_gt_i32_e32 vcc, s33, v20
	v_cndmask_b32_e32 v20, v25, v21, vcc
	v_ashrrev_i32_e32 v21, 31, v20
	v_lshlrev_b64 v[20:21], 2, v[20:21]
	v_mov_b32_e32 v22, s22
	v_add_co_u32_e32 v20, vcc, s21, v20
	v_addc_co_u32_e32 v21, vcc, v22, v21, vcc
	v_or_b32_e32 v22, 0x80, v24
	v_add_u32_e32 v23, s10, v22
	v_ashrrev_i32_e32 v23, 5, v23
	v_cmp_gt_i32_e32 vcc, s33, v22
	v_cndmask_b32_e32 v22, v25, v23, vcc
	v_ashrrev_i32_e32 v23, 31, v22
	v_lshlrev_b64 v[22:23], 2, v[22:23]
	v_mov_b32_e32 v26, s22
	v_add_co_u32_e32 v22, vcc, s21, v22
	v_addc_co_u32_e32 v23, vcc, v26, v23, vcc
	global_load_dword v26, v[18:19], off
	global_load_dword v28, v[20:21], off
	;; [unrolled: 1-line block ×3, first 2 shown]
	v_or_b32_e32 v18, 0xc0, v24
	v_add_u32_e32 v19, s10, v18
	v_ashrrev_i32_e32 v19, 5, v19
	v_cmp_gt_i32_e32 vcc, s33, v18
	v_cndmask_b32_e32 v18, v25, v19, vcc
	v_ashrrev_i32_e32 v19, 31, v18
	v_lshlrev_b64 v[18:19], 2, v[18:19]
	v_mov_b32_e32 v20, s22
	v_add_co_u32_e32 v18, vcc, s21, v18
	v_addc_co_u32_e32 v19, vcc, v20, v19, vcc
	global_load_dword v32, v[18:19], off
	s_add_u32 s6, s6, s14
	v_and_b32_e32 v18, 16, v0
	s_addc_u32 s7, s7, 0
	v_lshl_or_b32 v29, v27, 4, v41
	v_mov_b32_e32 v20, s7
	v_add_co_u32_e32 v34, vcc, s6, v18
	v_lshlrev_b32_e32 v19, 5, v29
	v_addc_co_u32_e32 v36, vcc, 0, v20, vcc
	v_add_co_u32_e32 v22, vcc, v34, v19
	v_addc_co_u32_e32 v23, vcc, 0, v36, vcc
	v_or_b32_e32 v33, 0x800, v19
	s_movk_i32 s14, 0x7f
	s_mov_b32 s15, 0xffffff
	s_mov_b32 s16, 0x5040100
	v_mov_b32_e32 v37, 0x100
	v_bfrev_b32_e32 v38, 60
	s_waitcnt vmcnt(3)
	v_mad_i64_i32 v[18:19], s[6:7], v26, s13, v[22:23]
	s_waitcnt vmcnt(2)
	v_mad_i64_i32 v[24:25], s[6:7], v28, s13, v[22:23]
	global_load_dwordx4 v[18:21], v[18:19], off
	s_nop 0
	global_load_dwordx4 v[52:55], v[24:25], off
	s_waitcnt vmcnt(3)
	v_mad_i64_i32 v[24:25], s[6:7], v30, s13, v[22:23]
	s_waitcnt vmcnt(2)
	v_mad_i64_i32 v[22:23], s[6:7], v32, s13, v[22:23]
	global_load_dwordx4 v[56:59], v[24:25], off
	global_load_dwordx4 v[60:63], v[22:23], off
	v_add_co_u32_e32 v22, vcc, v34, v33
	v_addc_co_u32_e32 v23, vcc, 0, v36, vcc
	v_mad_i64_i32 v[24:25], s[6:7], v26, s13, v[22:23]
	global_load_dwordx4 v[64:67], v[24:25], off
	v_mad_i64_i32 v[24:25], s[6:7], v28, s13, v[22:23]
	global_load_dwordx4 v[68:71], v[24:25], off
	;; [unrolled: 2-line block ×4, first 2 shown]
	s_load_dword s6, s[4:5], 0x1c
	s_load_dwordx4 s[40:43], s[4:5], 0x80
	v_mov_b32_e32 v22, 0x80
	v_add_u32_e32 v45, 16, v22
	v_add_u32_e32 v46, 32, v22
	;; [unrolled: 1-line block ×3, first 2 shown]
	s_waitcnt lgkmcnt(0)
	s_load_dword s4, s[40:41], 0x0
	v_add_u32_e32 v51, 64, v22
	v_add_u32_e32 v48, 0x50, v22
	v_add_u32_e32 v50, 0x60, v22
	v_add_u32_e32 v49, 0x70, v22
	v_mov_b32_e32 v22, s6
	s_waitcnt lgkmcnt(0)
	v_mul_f32_e32 v22, s4, v22
	v_and_b32_e32 v33, 63, v0
	s_movk_i32 s13, 0x80
	v_mov_b32_e32 v36, 0
	v_mov_b32_e32 v24, v22
	;; [unrolled: 1-line block ×3, first 2 shown]
	s_waitcnt vmcnt(7)
	buffer_store_dword v21, off, s[0:3], 0 offset:140
	buffer_store_dword v20, off, s[0:3], 0 offset:136
	buffer_store_dword v19, off, s[0:3], 0 offset:132
	buffer_store_dword v18, off, s[0:3], 0 offset:128
	s_waitcnt vmcnt(10)
	buffer_store_dword v55, off, s[0:3], 0 offset:172
	buffer_store_dword v54, off, s[0:3], 0 offset:168
	buffer_store_dword v53, off, s[0:3], 0 offset:164
	buffer_store_dword v52, off, s[0:3], 0 offset:160
	;; [unrolled: 5-line block ×8, first 2 shown]
	s_branch .LBB935_17
.LBB935_14:                             ;   in Loop: Header=BB935_17 Depth=1
	s_or_b64 exec, exec, s[10:11]
.LBB935_15:                             ;   in Loop: Header=BB935_17 Depth=1
	s_or_b64 exec, exec, s[6:7]
.LBB935_16:                             ;   in Loop: Header=BB935_17 Depth=1
	s_or_b64 exec, exec, s[4:5]
	v_perm_b32 v55, v40, v34, s16
	v_perm_b32 v54, v23, v32, s16
	;; [unrolled: 1-line block ×4, first 2 shown]
	v_add_u32_e32 v26, s12, v37
	v_mfma_f32_16x16x16bf16_1k v[18:21], v[54:55], v[14:15], v[18:21]
	s_add_i32 s12, s12, 16
	v_mov_b32_e32 v23, v22
	s_cmp_eq_u32 s12, 64
	v_add_u32_e32 v36, 32, v36
	v_mfma_f32_16x16x16bf16_1k v[18:21], v[52:53], v[16:17], v[18:21]
	s_nop 7
	s_nop 2
	v_pk_mul_f32 v[18:19], v[24:25], v[18:19]
	v_pk_mul_f32 v[20:21], v[22:23], v[20:21]
	buffer_store_dword v19, v26, s[0:3], 0 offen offset:4
	buffer_store_dword v18, v26, s[0:3], 0 offen
	buffer_store_dword v21, v26, s[0:3], 0 offen offset:12
	buffer_store_dword v20, v26, s[0:3], 0 offen offset:8
	s_cbranch_scc1 .LBB935_207
.LBB935_17:                             ; =>This Inner Loop Header: Depth=1
	buffer_load_dword v20, v36, s[0:3], 0 offen
	buffer_load_dword v18, v36, s[0:3], 0 offen offset:4
	buffer_load_dword v28, v36, s[0:3], 0 offen offset:8
	;; [unrolled: 1-line block ×3, first 2 shown]
	v_mov_b32_e32 v19, 0
	v_mov_b32_e32 v21, 0
	s_waitcnt vmcnt(3)
	v_cmp_ne_u16_sdwa s[6:7], v20, v35 src0_sel:BYTE_0 src1_sel:DWORD
	s_and_saveexec_b64 s[4:5], s[6:7]
	s_cbranch_execz .LBB935_23
; %bb.18:                               ;   in Loop: Header=BB935_17 Depth=1
	v_cmp_ne_u16_sdwa s[10:11], v20, s13 src0_sel:BYTE_0 src1_sel:DWORD
	v_mov_b32_e32 v21, 0xffff8000
	s_and_saveexec_b64 s[6:7], s[10:11]
	s_cbranch_execz .LBB935_22
; %bb.19:                               ;   in Loop: Header=BB935_17 Depth=1
	v_and_b32_e32 v23, 0x7f, v20
	v_cmp_ne_u32_e32 vcc, s14, v23
	v_mov_b32_e32 v21, 0x7f80
	s_and_saveexec_b64 s[10:11], vcc
	s_cbranch_execz .LBB935_21
; %bb.20:                               ;   in Loop: Header=BB935_17 Depth=1
	v_and_b32_e32 v21, 7, v20
	v_ffbh_u32_e32 v32, v21
	v_min_u32_e32 v32, 32, v32
	v_subrev_u32_e32 v34, 28, v32
	v_lshlrev_b64 v[52:53], v34, v[20:21]
	v_lshrrev_b32_e32 v30, 3, v23
	v_sub_u32_e32 v32, 29, v32
	v_and_b32_e32 v34, 7, v52
	v_cmp_gt_u32_e32 vcc, 8, v23
	v_cndmask_b32_e32 v23, v30, v32, vcc
	v_cndmask_b32_e32 v21, v21, v34, vcc
	v_lshlrev_b32_e32 v30, 24, v20
	v_lshlrev_b32_e32 v21, 20, v21
	v_and_b32_e32 v30, 0x80000000, v30
	v_lshl_add_u32 v23, v23, 23, v38
	v_or3_b32 v21, v30, v23, v21
	v_lshrrev_b32_e32 v21, 16, v21
.LBB935_21:                             ;   in Loop: Header=BB935_17 Depth=1
	s_or_b64 exec, exec, s[10:11]
.LBB935_22:                             ;   in Loop: Header=BB935_17 Depth=1
	s_or_b64 exec, exec, s[6:7]
.LBB935_23:                             ;   in Loop: Header=BB935_17 Depth=1
	s_or_b64 exec, exec, s[4:5]
	v_lshrrev_b16_e32 v30, 8, v20
	v_cmp_ne_u16_e32 vcc, 0, v30
	s_and_saveexec_b64 s[4:5], vcc
	s_cbranch_execz .LBB935_29
; %bb.24:                               ;   in Loop: Header=BB935_17 Depth=1
	v_cmp_ne_u16_e32 vcc, s13, v30
	v_mov_b32_e32 v19, 0xffff8000
	s_and_saveexec_b64 s[6:7], vcc
	s_cbranch_execz .LBB935_28
; %bb.25:                               ;   in Loop: Header=BB935_17 Depth=1
	v_and_b32_e32 v23, 0x7f, v30
	v_cmp_ne_u32_e32 vcc, s14, v23
	v_mov_b32_e32 v19, 0x7f80
	s_and_saveexec_b64 s[10:11], vcc
	s_cbranch_execz .LBB935_27
; %bb.26:                               ;   in Loop: Header=BB935_17 Depth=1
	v_and_b32_e32 v19, 7, v30
	v_ffbh_u32_e32 v34, v19
	v_min_u32_e32 v34, 32, v34
	v_subrev_u32_e32 v40, 28, v34
	v_lshlrev_b64 v[52:53], v40, v[30:31]
	v_lshrrev_b32_e32 v32, 3, v23
	v_sub_u32_e32 v30, 29, v34
	v_and_b32_e32 v34, 7, v52
	v_cmp_gt_u32_e32 vcc, 8, v23
	v_cndmask_b32_e32 v23, v32, v30, vcc
	v_cndmask_b32_e32 v19, v19, v34, vcc
	v_lshlrev_b32_e32 v30, 16, v20
	v_lshlrev_b32_e32 v19, 20, v19
	v_and_b32_e32 v30, 0x80000000, v30
	v_lshl_add_u32 v23, v23, 23, v38
	v_or3_b32 v19, v30, v23, v19
	v_lshrrev_b32_e32 v19, 16, v19
.LBB935_27:                             ;   in Loop: Header=BB935_17 Depth=1
	s_or_b64 exec, exec, s[10:11]
.LBB935_28:                             ;   in Loop: Header=BB935_17 Depth=1
	s_or_b64 exec, exec, s[6:7]
.LBB935_29:                             ;   in Loop: Header=BB935_17 Depth=1
	s_or_b64 exec, exec, s[4:5]
	v_lshrrev_b32_e32 v30, 16, v20
	v_cmp_ne_u16_sdwa s[6:7], v30, v35 src0_sel:BYTE_0 src1_sel:DWORD
	v_mov_b32_e32 v32, 0
	v_mov_b32_e32 v23, 0
	s_and_saveexec_b64 s[4:5], s[6:7]
	s_cbranch_execz .LBB935_35
; %bb.30:                               ;   in Loop: Header=BB935_17 Depth=1
	v_cmp_ne_u16_sdwa s[10:11], v30, s13 src0_sel:BYTE_0 src1_sel:DWORD
	v_mov_b32_e32 v23, 0xffff8000
	s_and_saveexec_b64 s[6:7], s[10:11]
	s_cbranch_execz .LBB935_34
; %bb.31:                               ;   in Loop: Header=BB935_17 Depth=1
	v_bfe_u32 v34, v20, 16, 7
	v_cmp_ne_u32_e32 vcc, s14, v34
	v_mov_b32_e32 v23, 0x7f80
	s_and_saveexec_b64 s[10:11], vcc
	s_cbranch_execz .LBB935_33
; %bb.32:                               ;   in Loop: Header=BB935_17 Depth=1
	v_and_b32_e32 v23, 7, v30
	v_ffbh_u32_e32 v42, v23
	v_min_u32_e32 v42, 32, v42
	v_subrev_u32_e32 v44, 28, v42
	v_lshlrev_b64 v[52:53], v44, v[30:31]
	v_lshrrev_b32_e32 v40, 3, v34
	v_sub_u32_e32 v42, 29, v42
	v_and_b32_e32 v44, 7, v52
	v_cmp_gt_u32_e32 vcc, 8, v34
	v_cndmask_b32_e32 v34, v40, v42, vcc
	v_cndmask_b32_e32 v23, v23, v44, vcc
	v_lshlrev_b32_e32 v30, 24, v30
	v_lshlrev_b32_e32 v23, 20, v23
	v_and_b32_e32 v30, 0x80000000, v30
	v_lshl_add_u32 v34, v34, 23, v38
	v_or3_b32 v23, v30, v34, v23
	v_lshrrev_b32_e32 v23, 16, v23
.LBB935_33:                             ;   in Loop: Header=BB935_17 Depth=1
	s_or_b64 exec, exec, s[10:11]
.LBB935_34:                             ;   in Loop: Header=BB935_17 Depth=1
	s_or_b64 exec, exec, s[6:7]
.LBB935_35:                             ;   in Loop: Header=BB935_17 Depth=1
	s_or_b64 exec, exec, s[4:5]
	v_cmp_lt_u32_e32 vcc, s15, v20
	s_and_saveexec_b64 s[4:5], vcc
	s_cbranch_execz .LBB935_41
; %bb.36:                               ;   in Loop: Header=BB935_17 Depth=1
	v_lshrrev_b32_e32 v30, 24, v20
	v_cmp_ne_u32_e32 vcc, s13, v30
	v_mov_b32_e32 v32, 0xffff8000
	s_and_saveexec_b64 s[6:7], vcc
	s_cbranch_execz .LBB935_40
; %bb.37:                               ;   in Loop: Header=BB935_17 Depth=1
	v_bfe_u32 v20, v20, 24, 7
	v_cmp_ne_u32_e32 vcc, s14, v20
	v_mov_b32_e32 v32, 0x7f80
	s_and_saveexec_b64 s[10:11], vcc
	s_cbranch_execz .LBB935_39
; %bb.38:                               ;   in Loop: Header=BB935_17 Depth=1
	v_and_b32_e32 v32, 7, v30
	v_ffbh_u32_e32 v40, v32
	v_min_u32_e32 v40, 32, v40
	v_subrev_u32_e32 v42, 28, v40
	v_lshlrev_b64 v[52:53], v42, v[30:31]
	v_lshrrev_b32_e32 v34, 3, v20
	v_sub_u32_e32 v40, 29, v40
	v_and_b32_e32 v42, 7, v52
	v_cmp_gt_u32_e32 vcc, 8, v20
	v_cndmask_b32_e32 v20, v34, v40, vcc
	v_cndmask_b32_e32 v32, v32, v42, vcc
	v_lshlrev_b32_e32 v30, 24, v30
	v_lshlrev_b32_e32 v32, 20, v32
	v_and_b32_e32 v30, 0x80000000, v30
	v_lshl_add_u32 v20, v20, 23, v38
	v_or3_b32 v20, v30, v20, v32
	v_lshrrev_b32_e32 v32, 16, v20
.LBB935_39:                             ;   in Loop: Header=BB935_17 Depth=1
	s_or_b64 exec, exec, s[10:11]
.LBB935_40:                             ;   in Loop: Header=BB935_17 Depth=1
	s_or_b64 exec, exec, s[6:7]
.LBB935_41:                             ;   in Loop: Header=BB935_17 Depth=1
	s_or_b64 exec, exec, s[4:5]
	s_waitcnt vmcnt(2)
	v_cmp_ne_u16_sdwa s[6:7], v18, v35 src0_sel:BYTE_0 src1_sel:DWORD
	v_mov_b32_e32 v30, 0
	v_mov_b32_e32 v34, 0
	s_and_saveexec_b64 s[4:5], s[6:7]
	s_cbranch_execz .LBB935_47
; %bb.42:                               ;   in Loop: Header=BB935_17 Depth=1
	v_cmp_ne_u16_sdwa s[10:11], v18, s13 src0_sel:BYTE_0 src1_sel:DWORD
	v_mov_b32_e32 v34, 0xffff8000
	s_and_saveexec_b64 s[6:7], s[10:11]
	s_cbranch_execz .LBB935_46
; %bb.43:                               ;   in Loop: Header=BB935_17 Depth=1
	v_and_b32_e32 v20, 0x7f, v18
	v_cmp_ne_u32_e32 vcc, s14, v20
	v_mov_b32_e32 v34, 0x7f80
	s_and_saveexec_b64 s[10:11], vcc
	s_cbranch_execz .LBB935_45
; %bb.44:                               ;   in Loop: Header=BB935_17 Depth=1
	v_and_b32_e32 v34, 7, v18
	v_ffbh_u32_e32 v42, v34
	v_min_u32_e32 v42, 32, v42
	v_subrev_u32_e32 v44, 28, v42
	v_lshlrev_b64 v[52:53], v44, v[18:19]
	v_lshrrev_b32_e32 v40, 3, v20
	v_sub_u32_e32 v42, 29, v42
	v_and_b32_e32 v44, 7, v52
	v_cmp_gt_u32_e32 vcc, 8, v20
	v_cndmask_b32_e32 v20, v40, v42, vcc
	v_cndmask_b32_e32 v34, v34, v44, vcc
	v_lshlrev_b32_e32 v40, 24, v18
	v_lshlrev_b32_e32 v34, 20, v34
	v_and_b32_e32 v40, 0x80000000, v40
	v_lshl_add_u32 v20, v20, 23, v38
	v_or3_b32 v20, v40, v20, v34
	v_lshrrev_b32_e32 v34, 16, v20
.LBB935_45:                             ;   in Loop: Header=BB935_17 Depth=1
	s_or_b64 exec, exec, s[10:11]
.LBB935_46:                             ;   in Loop: Header=BB935_17 Depth=1
	s_or_b64 exec, exec, s[6:7]
.LBB935_47:                             ;   in Loop: Header=BB935_17 Depth=1
	s_or_b64 exec, exec, s[4:5]
	v_lshrrev_b16_e32 v20, 8, v18
	v_cmp_ne_u16_e32 vcc, 0, v20
	s_and_saveexec_b64 s[4:5], vcc
	s_cbranch_execz .LBB935_53
; %bb.48:                               ;   in Loop: Header=BB935_17 Depth=1
	v_cmp_ne_u16_e32 vcc, s13, v20
	v_mov_b32_e32 v30, 0xffff8000
	s_and_saveexec_b64 s[6:7], vcc
	s_cbranch_execz .LBB935_52
; %bb.49:                               ;   in Loop: Header=BB935_17 Depth=1
	v_and_b32_e32 v40, 0x7f, v20
	v_cmp_ne_u32_e32 vcc, s14, v40
	v_mov_b32_e32 v30, 0x7f80
	s_and_saveexec_b64 s[10:11], vcc
	s_cbranch_execz .LBB935_51
; %bb.50:                               ;   in Loop: Header=BB935_17 Depth=1
	v_and_b32_e32 v30, 7, v20
	v_ffbh_u32_e32 v44, v30
	v_min_u32_e32 v44, 32, v44
	v_subrev_u32_e32 v52, 28, v44
	v_lshlrev_b64 v[52:53], v52, v[20:21]
	v_lshrrev_b32_e32 v42, 3, v40
	v_sub_u32_e32 v20, 29, v44
	v_and_b32_e32 v44, 7, v52
	v_cmp_gt_u32_e32 vcc, 8, v40
	v_cndmask_b32_e32 v20, v42, v20, vcc
	v_cndmask_b32_e32 v30, v30, v44, vcc
	v_lshlrev_b32_e32 v40, 16, v18
	v_lshlrev_b32_e32 v30, 20, v30
	v_and_b32_e32 v40, 0x80000000, v40
	v_lshl_add_u32 v20, v20, 23, v38
	v_or3_b32 v20, v40, v20, v30
	v_lshrrev_b32_e32 v30, 16, v20
.LBB935_51:                             ;   in Loop: Header=BB935_17 Depth=1
	s_or_b64 exec, exec, s[10:11]
.LBB935_52:                             ;   in Loop: Header=BB935_17 Depth=1
	s_or_b64 exec, exec, s[6:7]
.LBB935_53:                             ;   in Loop: Header=BB935_17 Depth=1
	s_or_b64 exec, exec, s[4:5]
	v_lshrrev_b32_e32 v20, 16, v18
	v_cmp_ne_u16_sdwa s[6:7], v20, v35 src0_sel:BYTE_0 src1_sel:DWORD
	v_mov_b32_e32 v42, 0
	v_mov_b32_e32 v40, 0
	s_and_saveexec_b64 s[4:5], s[6:7]
	s_cbranch_execz .LBB935_59
; %bb.54:                               ;   in Loop: Header=BB935_17 Depth=1
	v_cmp_ne_u16_sdwa s[10:11], v20, s13 src0_sel:BYTE_0 src1_sel:DWORD
	v_mov_b32_e32 v40, 0xffff8000
	s_and_saveexec_b64 s[6:7], s[10:11]
	s_cbranch_execz .LBB935_58
; %bb.55:                               ;   in Loop: Header=BB935_17 Depth=1
	v_bfe_u32 v44, v18, 16, 7
	v_cmp_ne_u32_e32 vcc, s14, v44
	v_mov_b32_e32 v40, 0x7f80
	s_and_saveexec_b64 s[10:11], vcc
	s_cbranch_execz .LBB935_57
; %bb.56:                               ;   in Loop: Header=BB935_17 Depth=1
	v_and_b32_e32 v40, 7, v20
	v_ffbh_u32_e32 v52, v40
	v_min_u32_e32 v55, 32, v52
	v_subrev_u32_e32 v52, 28, v55
	v_lshlrev_b64 v[52:53], v52, v[20:21]
	v_lshrrev_b32_e32 v54, 3, v44
	v_sub_u32_e32 v53, 29, v55
	v_and_b32_e32 v52, 7, v52
	v_cmp_gt_u32_e32 vcc, 8, v44
	v_cndmask_b32_e32 v44, v54, v53, vcc
	v_cndmask_b32_e32 v40, v40, v52, vcc
	v_lshlrev_b32_e32 v20, 24, v20
	v_lshlrev_b32_e32 v40, 20, v40
	v_and_b32_e32 v20, 0x80000000, v20
	v_lshl_add_u32 v44, v44, 23, v38
	v_or3_b32 v20, v20, v44, v40
	v_lshrrev_b32_e32 v40, 16, v20
.LBB935_57:                             ;   in Loop: Header=BB935_17 Depth=1
	s_or_b64 exec, exec, s[10:11]
.LBB935_58:                             ;   in Loop: Header=BB935_17 Depth=1
	s_or_b64 exec, exec, s[6:7]
.LBB935_59:                             ;   in Loop: Header=BB935_17 Depth=1
	s_or_b64 exec, exec, s[4:5]
	v_cmp_lt_u32_e32 vcc, s15, v18
	s_and_saveexec_b64 s[4:5], vcc
	s_cbranch_execz .LBB935_65
; %bb.60:                               ;   in Loop: Header=BB935_17 Depth=1
	v_lshrrev_b32_e32 v20, 24, v18
	v_cmp_ne_u32_e32 vcc, s13, v20
	v_mov_b32_e32 v42, 0xffff8000
	s_and_saveexec_b64 s[6:7], vcc
	s_cbranch_execz .LBB935_64
; %bb.61:                               ;   in Loop: Header=BB935_17 Depth=1
	v_bfe_u32 v18, v18, 24, 7
	v_cmp_ne_u32_e32 vcc, s14, v18
	v_mov_b32_e32 v42, 0x7f80
	s_and_saveexec_b64 s[10:11], vcc
	s_cbranch_execz .LBB935_63
; %bb.62:                               ;   in Loop: Header=BB935_17 Depth=1
	v_and_b32_e32 v42, 7, v20
	v_ffbh_u32_e32 v52, v42
	v_min_u32_e32 v54, 32, v52
	v_subrev_u32_e32 v52, 28, v54
	v_lshlrev_b64 v[52:53], v52, v[20:21]
	v_lshrrev_b32_e32 v44, 3, v18
	v_sub_u32_e32 v53, 29, v54
	v_and_b32_e32 v52, 7, v52
	v_cmp_gt_u32_e32 vcc, 8, v18
	v_cndmask_b32_e32 v18, v44, v53, vcc
	v_cndmask_b32_e32 v42, v42, v52, vcc
	v_lshlrev_b32_e32 v20, 24, v20
	v_lshlrev_b32_e32 v42, 20, v42
	v_and_b32_e32 v20, 0x80000000, v20
	v_lshl_add_u32 v18, v18, 23, v38
	v_or3_b32 v18, v20, v18, v42
	v_lshrrev_b32_e32 v42, 16, v18
.LBB935_63:                             ;   in Loop: Header=BB935_17 Depth=1
	s_or_b64 exec, exec, s[10:11]
.LBB935_64:                             ;   in Loop: Header=BB935_17 Depth=1
	s_or_b64 exec, exec, s[6:7]
.LBB935_65:                             ;   in Loop: Header=BB935_17 Depth=1
	s_or_b64 exec, exec, s[4:5]
	v_perm_b32 v53, v32, v23, s16
	v_perm_b32 v52, v19, v21, s16
	s_waitcnt vmcnt(1)
	v_cmp_ne_u16_sdwa s[6:7], v28, v35 src0_sel:BYTE_0 src1_sel:DWORD
	v_mov_b32_e32 v23, 0
	v_mov_b32_e32 v32, 0
	v_mfma_f32_16x16x16bf16_1k v[18:21], v[52:53], v[2:3], 0
	v_perm_b32 v53, v42, v40, s16
	v_perm_b32 v52, v30, v34, s16
	s_nop 1
	v_mfma_f32_16x16x16bf16_1k v[18:21], v[52:53], v[4:5], v[18:21]
	s_and_saveexec_b64 s[4:5], s[6:7]
	s_cbranch_execz .LBB935_71
; %bb.66:                               ;   in Loop: Header=BB935_17 Depth=1
	v_cmp_ne_u16_sdwa s[10:11], v28, s13 src0_sel:BYTE_0 src1_sel:DWORD
	v_mov_b32_e32 v32, 0xffff8000
	s_and_saveexec_b64 s[6:7], s[10:11]
	s_cbranch_execz .LBB935_70
; %bb.67:                               ;   in Loop: Header=BB935_17 Depth=1
	v_and_b32_e32 v30, 0x7f, v28
	v_cmp_ne_u32_e32 vcc, s14, v30
	v_mov_b32_e32 v32, 0x7f80
	s_and_saveexec_b64 s[10:11], vcc
	s_cbranch_execz .LBB935_69
; %bb.68:                               ;   in Loop: Header=BB935_17 Depth=1
	v_and_b32_e32 v32, 7, v28
	v_ffbh_u32_e32 v40, v32
	v_min_u32_e32 v40, 32, v40
	v_subrev_u32_e32 v42, 28, v40
	v_lshlrev_b64 v[52:53], v42, v[28:29]
	v_lshrrev_b32_e32 v34, 3, v30
	v_sub_u32_e32 v40, 29, v40
	v_and_b32_e32 v42, 7, v52
	v_cmp_gt_u32_e32 vcc, 8, v30
	v_cndmask_b32_e32 v30, v34, v40, vcc
	v_cndmask_b32_e32 v32, v32, v42, vcc
	v_lshlrev_b32_e32 v34, 24, v28
	v_lshlrev_b32_e32 v32, 20, v32
	v_and_b32_e32 v34, 0x80000000, v34
	v_lshl_add_u32 v30, v30, 23, v38
	v_or3_b32 v30, v34, v30, v32
	v_lshrrev_b32_e32 v32, 16, v30
.LBB935_69:                             ;   in Loop: Header=BB935_17 Depth=1
	s_or_b64 exec, exec, s[10:11]
.LBB935_70:                             ;   in Loop: Header=BB935_17 Depth=1
	s_or_b64 exec, exec, s[6:7]
.LBB935_71:                             ;   in Loop: Header=BB935_17 Depth=1
	s_or_b64 exec, exec, s[4:5]
	v_lshrrev_b16_e32 v30, 8, v28
	v_cmp_ne_u16_e32 vcc, 0, v30
	s_and_saveexec_b64 s[4:5], vcc
	s_cbranch_execz .LBB935_77
; %bb.72:                               ;   in Loop: Header=BB935_17 Depth=1
	v_cmp_ne_u16_e32 vcc, s13, v30
	v_mov_b32_e32 v23, 0xffff8000
	s_and_saveexec_b64 s[6:7], vcc
	s_cbranch_execz .LBB935_76
; %bb.73:                               ;   in Loop: Header=BB935_17 Depth=1
	v_and_b32_e32 v34, 0x7f, v30
	v_cmp_ne_u32_e32 vcc, s14, v34
	v_mov_b32_e32 v23, 0x7f80
	s_and_saveexec_b64 s[10:11], vcc
	s_cbranch_execz .LBB935_75
; %bb.74:                               ;   in Loop: Header=BB935_17 Depth=1
	v_and_b32_e32 v23, 7, v30
	v_ffbh_u32_e32 v42, v23
	v_min_u32_e32 v42, 32, v42
	v_subrev_u32_e32 v44, 28, v42
	v_lshlrev_b64 v[52:53], v44, v[30:31]
	v_lshrrev_b32_e32 v40, 3, v34
	v_sub_u32_e32 v30, 29, v42
	v_and_b32_e32 v42, 7, v52
	v_cmp_gt_u32_e32 vcc, 8, v34
	v_cndmask_b32_e32 v30, v40, v30, vcc
	v_cndmask_b32_e32 v23, v23, v42, vcc
	v_lshlrev_b32_e32 v34, 16, v28
	v_lshlrev_b32_e32 v23, 20, v23
	v_and_b32_e32 v34, 0x80000000, v34
	v_lshl_add_u32 v30, v30, 23, v38
	v_or3_b32 v23, v34, v30, v23
	v_lshrrev_b32_e32 v23, 16, v23
.LBB935_75:                             ;   in Loop: Header=BB935_17 Depth=1
	s_or_b64 exec, exec, s[10:11]
.LBB935_76:                             ;   in Loop: Header=BB935_17 Depth=1
	s_or_b64 exec, exec, s[6:7]
.LBB935_77:                             ;   in Loop: Header=BB935_17 Depth=1
	s_or_b64 exec, exec, s[4:5]
	v_lshrrev_b32_e32 v30, 16, v28
	v_cmp_ne_u16_sdwa s[6:7], v30, v35 src0_sel:BYTE_0 src1_sel:DWORD
	v_mov_b32_e32 v40, 0
	v_mov_b32_e32 v34, 0
	s_and_saveexec_b64 s[4:5], s[6:7]
	s_cbranch_execz .LBB935_83
; %bb.78:                               ;   in Loop: Header=BB935_17 Depth=1
	v_cmp_ne_u16_sdwa s[10:11], v30, s13 src0_sel:BYTE_0 src1_sel:DWORD
	v_mov_b32_e32 v34, 0xffff8000
	s_and_saveexec_b64 s[6:7], s[10:11]
	s_cbranch_execz .LBB935_82
; %bb.79:                               ;   in Loop: Header=BB935_17 Depth=1
	v_bfe_u32 v42, v28, 16, 7
	v_cmp_ne_u32_e32 vcc, s14, v42
	v_mov_b32_e32 v34, 0x7f80
	s_and_saveexec_b64 s[10:11], vcc
	s_cbranch_execz .LBB935_81
; %bb.80:                               ;   in Loop: Header=BB935_17 Depth=1
	v_and_b32_e32 v34, 7, v30
	v_ffbh_u32_e32 v52, v34
	v_min_u32_e32 v54, 32, v52
	v_subrev_u32_e32 v52, 28, v54
	v_lshlrev_b64 v[52:53], v52, v[30:31]
	v_lshrrev_b32_e32 v44, 3, v42
	v_sub_u32_e32 v53, 29, v54
	v_and_b32_e32 v52, 7, v52
	v_cmp_gt_u32_e32 vcc, 8, v42
	v_cndmask_b32_e32 v42, v44, v53, vcc
	v_cndmask_b32_e32 v34, v34, v52, vcc
	v_lshlrev_b32_e32 v30, 24, v30
	v_lshlrev_b32_e32 v34, 20, v34
	v_and_b32_e32 v30, 0x80000000, v30
	v_lshl_add_u32 v42, v42, 23, v38
	v_or3_b32 v30, v30, v42, v34
	v_lshrrev_b32_e32 v34, 16, v30
.LBB935_81:                             ;   in Loop: Header=BB935_17 Depth=1
	s_or_b64 exec, exec, s[10:11]
.LBB935_82:                             ;   in Loop: Header=BB935_17 Depth=1
	s_or_b64 exec, exec, s[6:7]
.LBB935_83:                             ;   in Loop: Header=BB935_17 Depth=1
	s_or_b64 exec, exec, s[4:5]
	v_cmp_lt_u32_e32 vcc, s15, v28
	s_and_saveexec_b64 s[4:5], vcc
	s_cbranch_execz .LBB935_89
; %bb.84:                               ;   in Loop: Header=BB935_17 Depth=1
	v_lshrrev_b32_e32 v30, 24, v28
	v_cmp_ne_u32_e32 vcc, s13, v30
	v_mov_b32_e32 v40, 0xffff8000
	s_and_saveexec_b64 s[6:7], vcc
	s_cbranch_execz .LBB935_88
; %bb.85:                               ;   in Loop: Header=BB935_17 Depth=1
	v_bfe_u32 v28, v28, 24, 7
	v_cmp_ne_u32_e32 vcc, s14, v28
	v_mov_b32_e32 v40, 0x7f80
	s_and_saveexec_b64 s[10:11], vcc
	s_cbranch_execz .LBB935_87
; %bb.86:                               ;   in Loop: Header=BB935_17 Depth=1
	v_and_b32_e32 v40, 7, v30
	v_ffbh_u32_e32 v44, v40
	v_min_u32_e32 v44, 32, v44
	v_subrev_u32_e32 v52, 28, v44
	v_lshlrev_b64 v[52:53], v52, v[30:31]
	v_lshrrev_b32_e32 v42, 3, v28
	v_sub_u32_e32 v44, 29, v44
	v_and_b32_e32 v52, 7, v52
	v_cmp_gt_u32_e32 vcc, 8, v28
	v_cndmask_b32_e32 v28, v42, v44, vcc
	v_cndmask_b32_e32 v40, v40, v52, vcc
	v_lshlrev_b32_e32 v30, 24, v30
	v_lshlrev_b32_e32 v40, 20, v40
	v_and_b32_e32 v30, 0x80000000, v30
	v_lshl_add_u32 v28, v28, 23, v38
	v_or3_b32 v28, v30, v28, v40
	v_lshrrev_b32_e32 v40, 16, v28
.LBB935_87:                             ;   in Loop: Header=BB935_17 Depth=1
	s_or_b64 exec, exec, s[10:11]
.LBB935_88:                             ;   in Loop: Header=BB935_17 Depth=1
	s_or_b64 exec, exec, s[6:7]
.LBB935_89:                             ;   in Loop: Header=BB935_17 Depth=1
	s_or_b64 exec, exec, s[4:5]
	s_waitcnt vmcnt(0)
	v_cmp_ne_u16_sdwa s[6:7], v26, v35 src0_sel:BYTE_0 src1_sel:DWORD
	v_mov_b32_e32 v42, 0
	v_mov_b32_e32 v44, 0
	s_and_saveexec_b64 s[4:5], s[6:7]
	s_cbranch_execz .LBB935_95
; %bb.90:                               ;   in Loop: Header=BB935_17 Depth=1
	v_cmp_ne_u16_sdwa s[10:11], v26, s13 src0_sel:BYTE_0 src1_sel:DWORD
	v_mov_b32_e32 v44, 0xffff8000
	s_and_saveexec_b64 s[6:7], s[10:11]
	s_cbranch_execz .LBB935_94
; %bb.91:                               ;   in Loop: Header=BB935_17 Depth=1
	v_and_b32_e32 v28, 0x7f, v26
	v_cmp_ne_u32_e32 vcc, s14, v28
	v_mov_b32_e32 v44, 0x7f80
	s_and_saveexec_b64 s[10:11], vcc
	s_cbranch_execz .LBB935_93
; %bb.92:                               ;   in Loop: Header=BB935_17 Depth=1
	v_and_b32_e32 v30, 7, v26
	v_ffbh_u32_e32 v52, v30
	v_min_u32_e32 v54, 32, v52
	v_subrev_u32_e32 v52, 28, v54
	v_lshlrev_b64 v[52:53], v52, v[26:27]
	v_lshrrev_b32_e32 v44, 3, v28
	v_sub_u32_e32 v53, 29, v54
	v_and_b32_e32 v52, 7, v52
	v_cmp_gt_u32_e32 vcc, 8, v28
	v_cndmask_b32_e32 v28, v44, v53, vcc
	v_cndmask_b32_e32 v30, v30, v52, vcc
	v_lshlrev_b32_e32 v44, 24, v26
	v_lshlrev_b32_e32 v30, 20, v30
	v_and_b32_e32 v44, 0x80000000, v44
	v_lshl_add_u32 v28, v28, 23, v38
	v_or3_b32 v28, v44, v28, v30
	v_lshrrev_b32_e32 v44, 16, v28
.LBB935_93:                             ;   in Loop: Header=BB935_17 Depth=1
	s_or_b64 exec, exec, s[10:11]
.LBB935_94:                             ;   in Loop: Header=BB935_17 Depth=1
	s_or_b64 exec, exec, s[6:7]
.LBB935_95:                             ;   in Loop: Header=BB935_17 Depth=1
	s_or_b64 exec, exec, s[4:5]
	v_lshrrev_b16_e32 v28, 8, v26
	v_cmp_ne_u16_e32 vcc, 0, v28
	s_and_saveexec_b64 s[4:5], vcc
	s_cbranch_execz .LBB935_101
; %bb.96:                               ;   in Loop: Header=BB935_17 Depth=1
	v_cmp_ne_u16_e32 vcc, s13, v28
	v_mov_b32_e32 v42, 0xffff8000
	s_and_saveexec_b64 s[6:7], vcc
	s_cbranch_execz .LBB935_100
; %bb.97:                               ;   in Loop: Header=BB935_17 Depth=1
	v_and_b32_e32 v30, 0x7f, v28
	v_cmp_ne_u32_e32 vcc, s14, v30
	v_mov_b32_e32 v42, 0x7f80
	s_and_saveexec_b64 s[10:11], vcc
	s_cbranch_execz .LBB935_99
; %bb.98:                               ;   in Loop: Header=BB935_17 Depth=1
	v_and_b32_e32 v42, 7, v28
	v_ffbh_u32_e32 v52, v42
	v_min_u32_e32 v55, 32, v52
	v_subrev_u32_e32 v52, 28, v55
	v_lshlrev_b64 v[52:53], v52, v[28:29]
	v_lshrrev_b32_e32 v54, 3, v30
	v_sub_u32_e32 v28, 29, v55
	v_and_b32_e32 v52, 7, v52
	v_cmp_gt_u32_e32 vcc, 8, v30
	v_cndmask_b32_e32 v28, v54, v28, vcc
	v_cndmask_b32_e32 v30, v42, v52, vcc
	v_lshlrev_b32_e32 v42, 16, v26
	v_lshlrev_b32_e32 v30, 20, v30
	v_and_b32_e32 v42, 0x80000000, v42
	v_lshl_add_u32 v28, v28, 23, v38
	v_or3_b32 v28, v42, v28, v30
	v_lshrrev_b32_e32 v42, 16, v28
.LBB935_99:                             ;   in Loop: Header=BB935_17 Depth=1
	s_or_b64 exec, exec, s[10:11]
.LBB935_100:                            ;   in Loop: Header=BB935_17 Depth=1
	s_or_b64 exec, exec, s[6:7]
.LBB935_101:                            ;   in Loop: Header=BB935_17 Depth=1
	s_or_b64 exec, exec, s[4:5]
	v_lshrrev_b32_e32 v28, 16, v26
	v_cmp_ne_u16_sdwa s[6:7], v28, v35 src0_sel:BYTE_0 src1_sel:DWORD
	v_mov_b32_e32 v53, 0
	v_mov_b32_e32 v52, 0
	s_and_saveexec_b64 s[4:5], s[6:7]
	s_cbranch_execz .LBB935_107
; %bb.102:                              ;   in Loop: Header=BB935_17 Depth=1
	v_cmp_ne_u16_sdwa s[10:11], v28, s13 src0_sel:BYTE_0 src1_sel:DWORD
	v_mov_b32_e32 v52, 0xffff8000
	s_and_saveexec_b64 s[6:7], s[10:11]
	s_cbranch_execz .LBB935_106
; %bb.103:                              ;   in Loop: Header=BB935_17 Depth=1
	v_bfe_u32 v30, v26, 16, 7
	v_cmp_ne_u32_e32 vcc, s14, v30
	v_mov_b32_e32 v52, 0x7f80
	s_and_saveexec_b64 s[10:11], vcc
	s_cbranch_execz .LBB935_105
; %bb.104:                              ;   in Loop: Header=BB935_17 Depth=1
	v_and_b32_e32 v52, 7, v28
	v_ffbh_u32_e32 v54, v52
	v_min_u32_e32 v57, 32, v54
	v_subrev_u32_e32 v54, 28, v57
	v_lshlrev_b64 v[54:55], v54, v[28:29]
	v_lshrrev_b32_e32 v56, 3, v30
	v_sub_u32_e32 v55, 29, v57
	v_and_b32_e32 v54, 7, v54
	v_cmp_gt_u32_e32 vcc, 8, v30
	v_cndmask_b32_e32 v30, v56, v55, vcc
	v_cndmask_b32_e32 v52, v52, v54, vcc
	v_lshlrev_b32_e32 v28, 24, v28
	v_lshlrev_b32_e32 v52, 20, v52
	v_and_b32_e32 v28, 0x80000000, v28
	v_lshl_add_u32 v30, v30, 23, v38
	v_or3_b32 v28, v28, v30, v52
	v_lshrrev_b32_e32 v52, 16, v28
.LBB935_105:                            ;   in Loop: Header=BB935_17 Depth=1
	s_or_b64 exec, exec, s[10:11]
.LBB935_106:                            ;   in Loop: Header=BB935_17 Depth=1
	s_or_b64 exec, exec, s[6:7]
.LBB935_107:                            ;   in Loop: Header=BB935_17 Depth=1
	s_or_b64 exec, exec, s[4:5]
	v_cmp_lt_u32_e32 vcc, s15, v26
	s_and_saveexec_b64 s[4:5], vcc
	s_cbranch_execz .LBB935_113
; %bb.108:                              ;   in Loop: Header=BB935_17 Depth=1
	v_lshrrev_b32_e32 v28, 24, v26
	v_cmp_ne_u32_e32 vcc, s13, v28
	v_mov_b32_e32 v53, 0xffff8000
	s_and_saveexec_b64 s[6:7], vcc
	s_cbranch_execz .LBB935_112
; %bb.109:                              ;   in Loop: Header=BB935_17 Depth=1
	v_bfe_u32 v26, v26, 24, 7
	v_cmp_ne_u32_e32 vcc, s14, v26
	v_mov_b32_e32 v53, 0x7f80
	s_and_saveexec_b64 s[10:11], vcc
	s_cbranch_execz .LBB935_111
; %bb.110:                              ;   in Loop: Header=BB935_17 Depth=1
	v_and_b32_e32 v30, 7, v28
	v_ffbh_u32_e32 v54, v30
	v_min_u32_e32 v56, 32, v54
	v_subrev_u32_e32 v54, 28, v56
	v_lshlrev_b64 v[54:55], v54, v[28:29]
	v_lshrrev_b32_e32 v53, 3, v26
	v_sub_u32_e32 v55, 29, v56
	v_and_b32_e32 v54, 7, v54
	v_cmp_gt_u32_e32 vcc, 8, v26
	v_cndmask_b32_e32 v26, v53, v55, vcc
	v_cndmask_b32_e32 v30, v30, v54, vcc
	v_lshlrev_b32_e32 v28, 24, v28
	v_lshlrev_b32_e32 v30, 20, v30
	v_and_b32_e32 v28, 0x80000000, v28
	v_lshl_add_u32 v26, v26, 23, v38
	v_or3_b32 v26, v28, v26, v30
	v_lshrrev_b32_e32 v53, 16, v26
.LBB935_111:                            ;   in Loop: Header=BB935_17 Depth=1
	s_or_b64 exec, exec, s[10:11]
.LBB935_112:                            ;   in Loop: Header=BB935_17 Depth=1
	s_or_b64 exec, exec, s[6:7]
.LBB935_113:                            ;   in Loop: Header=BB935_17 Depth=1
	s_or_b64 exec, exec, s[4:5]
	v_perm_b32 v54, v23, v32, s16
	buffer_load_dword v32, v36, s[0:3], 0 offen offset:16
	buffer_load_dword v30, v36, s[0:3], 0 offen offset:20
	;; [unrolled: 1-line block ×4, first 2 shown]
	v_perm_b32 v55, v40, v34, s16
	v_perm_b32 v53, v53, v52, s16
	;; [unrolled: 1-line block ×3, first 2 shown]
	v_mfma_f32_16x16x16bf16_1k v[18:21], v[54:55], v[6:7], v[18:21]
	v_mov_b32_e32 v23, 0
	v_mov_b32_e32 v40, 0
	s_waitcnt vmcnt(3)
	v_cmp_ne_u16_sdwa s[6:7], v32, v35 src0_sel:BYTE_0 src1_sel:DWORD
	v_mfma_f32_16x16x16bf16_1k v[18:21], v[52:53], v[8:9], v[18:21]
	s_and_saveexec_b64 s[4:5], s[6:7]
	s_cbranch_execz .LBB935_119
; %bb.114:                              ;   in Loop: Header=BB935_17 Depth=1
	v_cmp_ne_u16_sdwa s[10:11], v32, s13 src0_sel:BYTE_0 src1_sel:DWORD
	v_mov_b32_e32 v40, 0xffff8000
	s_and_saveexec_b64 s[6:7], s[10:11]
	s_cbranch_execz .LBB935_118
; %bb.115:                              ;   in Loop: Header=BB935_17 Depth=1
	v_and_b32_e32 v34, 0x7f, v32
	v_cmp_ne_u32_e32 vcc, s14, v34
	v_mov_b32_e32 v40, 0x7f80
	s_and_saveexec_b64 s[10:11], vcc
	s_cbranch_execz .LBB935_117
; %bb.116:                              ;   in Loop: Header=BB935_17 Depth=1
	v_and_b32_e32 v40, 7, v32
	v_ffbh_u32_e32 v44, v40
	v_min_u32_e32 v44, 32, v44
	v_subrev_u32_e32 v52, 28, v44
	v_lshlrev_b64 v[52:53], v52, v[32:33]
	v_lshrrev_b32_e32 v42, 3, v34
	v_sub_u32_e32 v44, 29, v44
	v_and_b32_e32 v52, 7, v52
	v_cmp_gt_u32_e32 vcc, 8, v34
	v_cndmask_b32_e32 v34, v42, v44, vcc
	v_cndmask_b32_e32 v40, v40, v52, vcc
	v_lshlrev_b32_e32 v42, 24, v32
	v_lshlrev_b32_e32 v40, 20, v40
	v_and_b32_e32 v42, 0x80000000, v42
	v_lshl_add_u32 v34, v34, 23, v38
	v_or3_b32 v34, v42, v34, v40
	v_lshrrev_b32_e32 v40, 16, v34
.LBB935_117:                            ;   in Loop: Header=BB935_17 Depth=1
	s_or_b64 exec, exec, s[10:11]
.LBB935_118:                            ;   in Loop: Header=BB935_17 Depth=1
	s_or_b64 exec, exec, s[6:7]
.LBB935_119:                            ;   in Loop: Header=BB935_17 Depth=1
	s_or_b64 exec, exec, s[4:5]
	v_lshrrev_b16_e32 v34, 8, v32
	v_cmp_ne_u16_e32 vcc, 0, v34
	s_and_saveexec_b64 s[4:5], vcc
	s_cbranch_execz .LBB935_125
; %bb.120:                              ;   in Loop: Header=BB935_17 Depth=1
	v_cmp_ne_u16_e32 vcc, s13, v34
	v_mov_b32_e32 v23, 0xffff8000
	s_and_saveexec_b64 s[6:7], vcc
	s_cbranch_execz .LBB935_124
; %bb.121:                              ;   in Loop: Header=BB935_17 Depth=1
	v_and_b32_e32 v42, 0x7f, v34
	v_cmp_ne_u32_e32 vcc, s14, v42
	v_mov_b32_e32 v23, 0x7f80
	s_and_saveexec_b64 s[10:11], vcc
	s_cbranch_execz .LBB935_123
; %bb.122:                              ;   in Loop: Header=BB935_17 Depth=1
	v_and_b32_e32 v23, 7, v34
	v_ffbh_u32_e32 v52, v23
	v_min_u32_e32 v54, 32, v52
	v_subrev_u32_e32 v52, 28, v54
	v_lshlrev_b64 v[52:53], v52, v[34:35]
	v_lshrrev_b32_e32 v44, 3, v42
	v_sub_u32_e32 v34, 29, v54
	v_and_b32_e32 v52, 7, v52
	v_cmp_gt_u32_e32 vcc, 8, v42
	v_cndmask_b32_e32 v34, v44, v34, vcc
	v_cndmask_b32_e32 v23, v23, v52, vcc
	v_lshlrev_b32_e32 v42, 16, v32
	v_lshlrev_b32_e32 v23, 20, v23
	v_and_b32_e32 v42, 0x80000000, v42
	v_lshl_add_u32 v34, v34, 23, v38
	v_or3_b32 v23, v42, v34, v23
	v_lshrrev_b32_e32 v23, 16, v23
.LBB935_123:                            ;   in Loop: Header=BB935_17 Depth=1
	s_or_b64 exec, exec, s[10:11]
.LBB935_124:                            ;   in Loop: Header=BB935_17 Depth=1
	s_or_b64 exec, exec, s[6:7]
.LBB935_125:                            ;   in Loop: Header=BB935_17 Depth=1
	s_or_b64 exec, exec, s[4:5]
	v_lshrrev_b32_e32 v34, 16, v32
	v_cmp_ne_u16_sdwa s[6:7], v34, v35 src0_sel:BYTE_0 src1_sel:DWORD
	v_mov_b32_e32 v44, 0
	v_mov_b32_e32 v42, 0
	s_and_saveexec_b64 s[4:5], s[6:7]
	s_cbranch_execz .LBB935_131
; %bb.126:                              ;   in Loop: Header=BB935_17 Depth=1
	v_cmp_ne_u16_sdwa s[10:11], v34, s13 src0_sel:BYTE_0 src1_sel:DWORD
	v_mov_b32_e32 v42, 0xffff8000
	s_and_saveexec_b64 s[6:7], s[10:11]
	s_cbranch_execz .LBB935_130
; %bb.127:                              ;   in Loop: Header=BB935_17 Depth=1
	v_bfe_u32 v52, v32, 16, 7
	v_cmp_ne_u32_e32 vcc, s14, v52
	v_mov_b32_e32 v42, 0x7f80
	s_and_saveexec_b64 s[10:11], vcc
	s_cbranch_execz .LBB935_129
; %bb.128:                              ;   in Loop: Header=BB935_17 Depth=1
	v_and_b32_e32 v42, 7, v34
	v_ffbh_u32_e32 v54, v42
	v_min_u32_e32 v56, 32, v54
	v_subrev_u32_e32 v54, 28, v56
	v_lshlrev_b64 v[54:55], v54, v[34:35]
	v_lshrrev_b32_e32 v53, 3, v52
	v_sub_u32_e32 v55, 29, v56
	v_and_b32_e32 v54, 7, v54
	v_cmp_gt_u32_e32 vcc, 8, v52
	v_cndmask_b32_e32 v52, v53, v55, vcc
	v_cndmask_b32_e32 v42, v42, v54, vcc
	v_lshlrev_b32_e32 v34, 24, v34
	v_lshlrev_b32_e32 v42, 20, v42
	v_and_b32_e32 v34, 0x80000000, v34
	v_lshl_add_u32 v52, v52, 23, v38
	v_or3_b32 v34, v34, v52, v42
	v_lshrrev_b32_e32 v42, 16, v34
.LBB935_129:                            ;   in Loop: Header=BB935_17 Depth=1
	s_or_b64 exec, exec, s[10:11]
.LBB935_130:                            ;   in Loop: Header=BB935_17 Depth=1
	s_or_b64 exec, exec, s[6:7]
.LBB935_131:                            ;   in Loop: Header=BB935_17 Depth=1
	s_or_b64 exec, exec, s[4:5]
	v_cmp_lt_u32_e32 vcc, s15, v32
	s_and_saveexec_b64 s[4:5], vcc
	s_cbranch_execz .LBB935_137
; %bb.132:                              ;   in Loop: Header=BB935_17 Depth=1
	v_lshrrev_b32_e32 v34, 24, v32
	v_cmp_ne_u32_e32 vcc, s13, v34
	v_mov_b32_e32 v44, 0xffff8000
	s_and_saveexec_b64 s[6:7], vcc
	s_cbranch_execz .LBB935_136
; %bb.133:                              ;   in Loop: Header=BB935_17 Depth=1
	v_bfe_u32 v32, v32, 24, 7
	v_cmp_ne_u32_e32 vcc, s14, v32
	v_mov_b32_e32 v44, 0x7f80
	s_and_saveexec_b64 s[10:11], vcc
	s_cbranch_execz .LBB935_135
; %bb.134:                              ;   in Loop: Header=BB935_17 Depth=1
	v_and_b32_e32 v44, 7, v34
	v_ffbh_u32_e32 v52, v44
	v_min_u32_e32 v55, 32, v52
	v_subrev_u32_e32 v52, 28, v55
	v_lshlrev_b64 v[52:53], v52, v[34:35]
	v_lshrrev_b32_e32 v54, 3, v32
	v_sub_u32_e32 v53, 29, v55
	v_and_b32_e32 v52, 7, v52
	v_cmp_gt_u32_e32 vcc, 8, v32
	v_cndmask_b32_e32 v32, v54, v53, vcc
	v_cndmask_b32_e32 v44, v44, v52, vcc
	v_lshlrev_b32_e32 v34, 24, v34
	v_lshlrev_b32_e32 v44, 20, v44
	v_and_b32_e32 v34, 0x80000000, v34
	v_lshl_add_u32 v32, v32, 23, v38
	v_or3_b32 v32, v34, v32, v44
	v_lshrrev_b32_e32 v44, 16, v32
.LBB935_135:                            ;   in Loop: Header=BB935_17 Depth=1
	s_or_b64 exec, exec, s[10:11]
.LBB935_136:                            ;   in Loop: Header=BB935_17 Depth=1
	s_or_b64 exec, exec, s[6:7]
.LBB935_137:                            ;   in Loop: Header=BB935_17 Depth=1
	s_or_b64 exec, exec, s[4:5]
	s_waitcnt vmcnt(2)
	v_cmp_ne_u16_sdwa s[6:7], v30, v35 src0_sel:BYTE_0 src1_sel:DWORD
	v_mov_b32_e32 v34, 0
	v_mov_b32_e32 v52, 0
	s_and_saveexec_b64 s[4:5], s[6:7]
	s_cbranch_execz .LBB935_143
; %bb.138:                              ;   in Loop: Header=BB935_17 Depth=1
	v_cmp_ne_u16_sdwa s[10:11], v30, s13 src0_sel:BYTE_0 src1_sel:DWORD
	v_mov_b32_e32 v52, 0xffff8000
	s_and_saveexec_b64 s[6:7], s[10:11]
	s_cbranch_execz .LBB935_142
; %bb.139:                              ;   in Loop: Header=BB935_17 Depth=1
	v_and_b32_e32 v32, 0x7f, v30
	v_cmp_ne_u32_e32 vcc, s14, v32
	v_mov_b32_e32 v52, 0x7f80
	s_and_saveexec_b64 s[10:11], vcc
	s_cbranch_execz .LBB935_141
; %bb.140:                              ;   in Loop: Header=BB935_17 Depth=1
	v_and_b32_e32 v54, 7, v30
	v_ffbh_u32_e32 v52, v54
	v_min_u32_e32 v56, 32, v52
	v_subrev_u32_e32 v52, 28, v56
	v_lshlrev_b64 v[52:53], v52, v[30:31]
	v_lshrrev_b32_e32 v55, 3, v32
	v_sub_u32_e32 v53, 29, v56
	v_and_b32_e32 v52, 7, v52
	v_cmp_gt_u32_e32 vcc, 8, v32
	v_cndmask_b32_e32 v32, v55, v53, vcc
	v_cndmask_b32_e32 v52, v54, v52, vcc
	v_lshlrev_b32_e32 v53, 24, v30
	v_lshlrev_b32_e32 v52, 20, v52
	v_and_b32_e32 v53, 0x80000000, v53
	v_lshl_add_u32 v32, v32, 23, v38
	v_or3_b32 v32, v53, v32, v52
	v_lshrrev_b32_e32 v52, 16, v32
.LBB935_141:                            ;   in Loop: Header=BB935_17 Depth=1
	s_or_b64 exec, exec, s[10:11]
.LBB935_142:                            ;   in Loop: Header=BB935_17 Depth=1
	s_or_b64 exec, exec, s[6:7]
.LBB935_143:                            ;   in Loop: Header=BB935_17 Depth=1
	s_or_b64 exec, exec, s[4:5]
	v_lshrrev_b16_e32 v32, 8, v30
	v_cmp_ne_u16_e32 vcc, 0, v32
	s_and_saveexec_b64 s[4:5], vcc
	s_cbranch_execz .LBB935_149
; %bb.144:                              ;   in Loop: Header=BB935_17 Depth=1
	v_cmp_ne_u16_e32 vcc, s13, v32
	v_mov_b32_e32 v34, 0xffff8000
	s_and_saveexec_b64 s[6:7], vcc
	s_cbranch_execz .LBB935_148
; %bb.145:                              ;   in Loop: Header=BB935_17 Depth=1
	v_and_b32_e32 v53, 0x7f, v32
	v_cmp_ne_u32_e32 vcc, s14, v53
	v_mov_b32_e32 v34, 0x7f80
	s_and_saveexec_b64 s[10:11], vcc
	s_cbranch_execz .LBB935_147
; %bb.146:                              ;   in Loop: Header=BB935_17 Depth=1
	v_and_b32_e32 v34, 7, v32
	v_ffbh_u32_e32 v54, v34
	v_min_u32_e32 v57, 32, v54
	v_subrev_u32_e32 v54, 28, v57
	v_lshlrev_b64 v[54:55], v54, v[32:33]
	v_lshrrev_b32_e32 v56, 3, v53
	v_sub_u32_e32 v32, 29, v57
	v_and_b32_e32 v54, 7, v54
	v_cmp_gt_u32_e32 vcc, 8, v53
	v_cndmask_b32_e32 v32, v56, v32, vcc
	v_cndmask_b32_e32 v34, v34, v54, vcc
	v_lshlrev_b32_e32 v53, 16, v30
	v_lshlrev_b32_e32 v34, 20, v34
	v_and_b32_e32 v53, 0x80000000, v53
	v_lshl_add_u32 v32, v32, 23, v38
	v_or3_b32 v32, v53, v32, v34
	v_lshrrev_b32_e32 v34, 16, v32
.LBB935_147:                            ;   in Loop: Header=BB935_17 Depth=1
	s_or_b64 exec, exec, s[10:11]
.LBB935_148:                            ;   in Loop: Header=BB935_17 Depth=1
	s_or_b64 exec, exec, s[6:7]
.LBB935_149:                            ;   in Loop: Header=BB935_17 Depth=1
	s_or_b64 exec, exec, s[4:5]
	v_lshrrev_b32_e32 v32, 16, v30
	v_cmp_ne_u16_sdwa s[6:7], v32, v35 src0_sel:BYTE_0 src1_sel:DWORD
	v_mov_b32_e32 v54, 0
	v_mov_b32_e32 v53, 0
	s_and_saveexec_b64 s[4:5], s[6:7]
	s_cbranch_execz .LBB935_155
; %bb.150:                              ;   in Loop: Header=BB935_17 Depth=1
	v_cmp_ne_u16_sdwa s[10:11], v32, s13 src0_sel:BYTE_0 src1_sel:DWORD
	v_mov_b32_e32 v53, 0xffff8000
	s_and_saveexec_b64 s[6:7], s[10:11]
	s_cbranch_execz .LBB935_154
; %bb.151:                              ;   in Loop: Header=BB935_17 Depth=1
	v_bfe_u32 v55, v30, 16, 7
	v_cmp_ne_u32_e32 vcc, s14, v55
	v_mov_b32_e32 v53, 0x7f80
	s_and_saveexec_b64 s[10:11], vcc
	s_cbranch_execz .LBB935_153
; %bb.152:                              ;   in Loop: Header=BB935_17 Depth=1
	v_and_b32_e32 v53, 7, v32
	v_ffbh_u32_e32 v56, v53
	v_min_u32_e32 v59, 32, v56
	v_subrev_u32_e32 v56, 28, v59
	v_lshlrev_b64 v[56:57], v56, v[32:33]
	v_lshrrev_b32_e32 v58, 3, v55
	v_sub_u32_e32 v57, 29, v59
	v_and_b32_e32 v56, 7, v56
	v_cmp_gt_u32_e32 vcc, 8, v55
	v_cndmask_b32_e32 v55, v58, v57, vcc
	v_cndmask_b32_e32 v53, v53, v56, vcc
	v_lshlrev_b32_e32 v32, 24, v32
	v_lshlrev_b32_e32 v53, 20, v53
	v_and_b32_e32 v32, 0x80000000, v32
	v_lshl_add_u32 v55, v55, 23, v38
	v_or3_b32 v32, v32, v55, v53
	v_lshrrev_b32_e32 v53, 16, v32
.LBB935_153:                            ;   in Loop: Header=BB935_17 Depth=1
	s_or_b64 exec, exec, s[10:11]
.LBB935_154:                            ;   in Loop: Header=BB935_17 Depth=1
	s_or_b64 exec, exec, s[6:7]
.LBB935_155:                            ;   in Loop: Header=BB935_17 Depth=1
	s_or_b64 exec, exec, s[4:5]
	v_cmp_lt_u32_e32 vcc, s15, v30
	s_and_saveexec_b64 s[4:5], vcc
	s_cbranch_execz .LBB935_161
; %bb.156:                              ;   in Loop: Header=BB935_17 Depth=1
	v_lshrrev_b32_e32 v32, 24, v30
	v_cmp_ne_u32_e32 vcc, s13, v32
	v_mov_b32_e32 v54, 0xffff8000
	s_and_saveexec_b64 s[6:7], vcc
	s_cbranch_execz .LBB935_160
; %bb.157:                              ;   in Loop: Header=BB935_17 Depth=1
	v_bfe_u32 v30, v30, 24, 7
	v_cmp_ne_u32_e32 vcc, s14, v30
	v_mov_b32_e32 v54, 0x7f80
	s_and_saveexec_b64 s[10:11], vcc
	s_cbranch_execz .LBB935_159
; %bb.158:                              ;   in Loop: Header=BB935_17 Depth=1
	v_and_b32_e32 v56, 7, v32
	v_ffbh_u32_e32 v54, v56
	v_min_u32_e32 v58, 32, v54
	v_subrev_u32_e32 v54, 28, v58
	v_lshlrev_b64 v[54:55], v54, v[32:33]
	v_lshrrev_b32_e32 v57, 3, v30
	v_sub_u32_e32 v55, 29, v58
	v_and_b32_e32 v54, 7, v54
	v_cmp_gt_u32_e32 vcc, 8, v30
	v_cndmask_b32_e32 v30, v57, v55, vcc
	v_cndmask_b32_e32 v54, v56, v54, vcc
	v_lshlrev_b32_e32 v32, 24, v32
	v_lshlrev_b32_e32 v54, 20, v54
	v_and_b32_e32 v32, 0x80000000, v32
	v_lshl_add_u32 v30, v30, 23, v38
	v_or3_b32 v30, v32, v30, v54
	v_lshrrev_b32_e32 v54, 16, v30
.LBB935_159:                            ;   in Loop: Header=BB935_17 Depth=1
	s_or_b64 exec, exec, s[10:11]
.LBB935_160:                            ;   in Loop: Header=BB935_17 Depth=1
	s_or_b64 exec, exec, s[6:7]
.LBB935_161:                            ;   in Loop: Header=BB935_17 Depth=1
	s_or_b64 exec, exec, s[4:5]
	v_perm_b32 v57, v44, v42, s16
	v_perm_b32 v56, v23, v40, s16
	;; [unrolled: 1-line block ×4, first 2 shown]
	s_waitcnt vmcnt(1)
	v_cmp_ne_u16_sdwa s[6:7], v28, v35 src0_sel:BYTE_0 src1_sel:DWORD
	v_mfma_f32_16x16x16bf16_1k v[18:21], v[56:57], v[10:11], v[18:21]
	v_mov_b32_e32 v23, 0
	v_mov_b32_e32 v32, 0
	v_mfma_f32_16x16x16bf16_1k v[18:21], v[52:53], v[12:13], v[18:21]
	s_and_saveexec_b64 s[4:5], s[6:7]
	s_cbranch_execz .LBB935_167
; %bb.162:                              ;   in Loop: Header=BB935_17 Depth=1
	v_cmp_ne_u16_sdwa s[10:11], v28, s13 src0_sel:BYTE_0 src1_sel:DWORD
	v_mov_b32_e32 v32, 0xffff8000
	s_and_saveexec_b64 s[6:7], s[10:11]
	s_cbranch_execz .LBB935_166
; %bb.163:                              ;   in Loop: Header=BB935_17 Depth=1
	v_and_b32_e32 v30, 0x7f, v28
	v_cmp_ne_u32_e32 vcc, s14, v30
	v_mov_b32_e32 v32, 0x7f80
	s_and_saveexec_b64 s[10:11], vcc
	s_cbranch_execz .LBB935_165
; %bb.164:                              ;   in Loop: Header=BB935_17 Depth=1
	v_and_b32_e32 v32, 7, v28
	v_ffbh_u32_e32 v40, v32
	v_min_u32_e32 v40, 32, v40
	v_subrev_u32_e32 v42, 28, v40
	v_lshlrev_b64 v[52:53], v42, v[28:29]
	v_lshrrev_b32_e32 v34, 3, v30
	v_sub_u32_e32 v40, 29, v40
	v_and_b32_e32 v42, 7, v52
	v_cmp_gt_u32_e32 vcc, 8, v30
	v_cndmask_b32_e32 v30, v34, v40, vcc
	v_cndmask_b32_e32 v32, v32, v42, vcc
	v_lshlrev_b32_e32 v34, 24, v28
	v_lshlrev_b32_e32 v32, 20, v32
	v_and_b32_e32 v34, 0x80000000, v34
	v_lshl_add_u32 v30, v30, 23, v38
	v_or3_b32 v30, v34, v30, v32
	v_lshrrev_b32_e32 v32, 16, v30
.LBB935_165:                            ;   in Loop: Header=BB935_17 Depth=1
	s_or_b64 exec, exec, s[10:11]
.LBB935_166:                            ;   in Loop: Header=BB935_17 Depth=1
	s_or_b64 exec, exec, s[6:7]
.LBB935_167:                            ;   in Loop: Header=BB935_17 Depth=1
	s_or_b64 exec, exec, s[4:5]
	v_lshrrev_b16_e32 v30, 8, v28
	v_cmp_ne_u16_e32 vcc, 0, v30
	s_and_saveexec_b64 s[4:5], vcc
	s_cbranch_execz .LBB935_173
; %bb.168:                              ;   in Loop: Header=BB935_17 Depth=1
	v_cmp_ne_u16_e32 vcc, s13, v30
	v_mov_b32_e32 v23, 0xffff8000
	s_and_saveexec_b64 s[6:7], vcc
	s_cbranch_execz .LBB935_172
; %bb.169:                              ;   in Loop: Header=BB935_17 Depth=1
	v_and_b32_e32 v34, 0x7f, v30
	v_cmp_ne_u32_e32 vcc, s14, v34
	v_mov_b32_e32 v23, 0x7f80
	s_and_saveexec_b64 s[10:11], vcc
	s_cbranch_execz .LBB935_171
; %bb.170:                              ;   in Loop: Header=BB935_17 Depth=1
	v_and_b32_e32 v23, 7, v30
	v_ffbh_u32_e32 v42, v23
	v_min_u32_e32 v42, 32, v42
	v_subrev_u32_e32 v44, 28, v42
	v_lshlrev_b64 v[52:53], v44, v[30:31]
	v_lshrrev_b32_e32 v40, 3, v34
	v_sub_u32_e32 v30, 29, v42
	v_and_b32_e32 v42, 7, v52
	v_cmp_gt_u32_e32 vcc, 8, v34
	v_cndmask_b32_e32 v30, v40, v30, vcc
	v_cndmask_b32_e32 v23, v23, v42, vcc
	v_lshlrev_b32_e32 v34, 16, v28
	v_lshlrev_b32_e32 v23, 20, v23
	v_and_b32_e32 v34, 0x80000000, v34
	v_lshl_add_u32 v30, v30, 23, v38
	v_or3_b32 v23, v34, v30, v23
	v_lshrrev_b32_e32 v23, 16, v23
.LBB935_171:                            ;   in Loop: Header=BB935_17 Depth=1
	s_or_b64 exec, exec, s[10:11]
.LBB935_172:                            ;   in Loop: Header=BB935_17 Depth=1
	s_or_b64 exec, exec, s[6:7]
.LBB935_173:                            ;   in Loop: Header=BB935_17 Depth=1
	s_or_b64 exec, exec, s[4:5]
	v_lshrrev_b32_e32 v30, 16, v28
	v_cmp_ne_u16_sdwa s[6:7], v30, v35 src0_sel:BYTE_0 src1_sel:DWORD
	v_mov_b32_e32 v40, 0
	v_mov_b32_e32 v34, 0
	s_and_saveexec_b64 s[4:5], s[6:7]
	s_cbranch_execz .LBB935_179
; %bb.174:                              ;   in Loop: Header=BB935_17 Depth=1
	v_cmp_ne_u16_sdwa s[10:11], v30, s13 src0_sel:BYTE_0 src1_sel:DWORD
	v_mov_b32_e32 v34, 0xffff8000
	s_and_saveexec_b64 s[6:7], s[10:11]
	s_cbranch_execz .LBB935_178
; %bb.175:                              ;   in Loop: Header=BB935_17 Depth=1
	v_bfe_u32 v42, v28, 16, 7
	v_cmp_ne_u32_e32 vcc, s14, v42
	v_mov_b32_e32 v34, 0x7f80
	s_and_saveexec_b64 s[10:11], vcc
	s_cbranch_execz .LBB935_177
; %bb.176:                              ;   in Loop: Header=BB935_17 Depth=1
	v_and_b32_e32 v34, 7, v30
	v_ffbh_u32_e32 v52, v34
	v_min_u32_e32 v54, 32, v52
	v_subrev_u32_e32 v52, 28, v54
	v_lshlrev_b64 v[52:53], v52, v[30:31]
	v_lshrrev_b32_e32 v44, 3, v42
	v_sub_u32_e32 v53, 29, v54
	v_and_b32_e32 v52, 7, v52
	v_cmp_gt_u32_e32 vcc, 8, v42
	v_cndmask_b32_e32 v42, v44, v53, vcc
	v_cndmask_b32_e32 v34, v34, v52, vcc
	v_lshlrev_b32_e32 v30, 24, v30
	v_lshlrev_b32_e32 v34, 20, v34
	v_and_b32_e32 v30, 0x80000000, v30
	v_lshl_add_u32 v42, v42, 23, v38
	v_or3_b32 v30, v30, v42, v34
	v_lshrrev_b32_e32 v34, 16, v30
.LBB935_177:                            ;   in Loop: Header=BB935_17 Depth=1
	s_or_b64 exec, exec, s[10:11]
.LBB935_178:                            ;   in Loop: Header=BB935_17 Depth=1
	s_or_b64 exec, exec, s[6:7]
.LBB935_179:                            ;   in Loop: Header=BB935_17 Depth=1
	s_or_b64 exec, exec, s[4:5]
	v_cmp_lt_u32_e32 vcc, s15, v28
	s_and_saveexec_b64 s[4:5], vcc
	s_cbranch_execz .LBB935_185
; %bb.180:                              ;   in Loop: Header=BB935_17 Depth=1
	v_lshrrev_b32_e32 v30, 24, v28
	v_cmp_ne_u32_e32 vcc, s13, v30
	v_mov_b32_e32 v40, 0xffff8000
	s_and_saveexec_b64 s[6:7], vcc
	s_cbranch_execz .LBB935_184
; %bb.181:                              ;   in Loop: Header=BB935_17 Depth=1
	v_bfe_u32 v28, v28, 24, 7
	v_cmp_ne_u32_e32 vcc, s14, v28
	v_mov_b32_e32 v40, 0x7f80
	s_and_saveexec_b64 s[10:11], vcc
	s_cbranch_execz .LBB935_183
; %bb.182:                              ;   in Loop: Header=BB935_17 Depth=1
	v_and_b32_e32 v40, 7, v30
	v_ffbh_u32_e32 v44, v40
	v_min_u32_e32 v44, 32, v44
	v_subrev_u32_e32 v52, 28, v44
	v_lshlrev_b64 v[52:53], v52, v[30:31]
	v_lshrrev_b32_e32 v42, 3, v28
	v_sub_u32_e32 v44, 29, v44
	v_and_b32_e32 v52, 7, v52
	v_cmp_gt_u32_e32 vcc, 8, v28
	v_cndmask_b32_e32 v28, v42, v44, vcc
	v_cndmask_b32_e32 v40, v40, v52, vcc
	v_lshlrev_b32_e32 v30, 24, v30
	v_lshlrev_b32_e32 v40, 20, v40
	v_and_b32_e32 v30, 0x80000000, v30
	v_lshl_add_u32 v28, v28, 23, v38
	v_or3_b32 v28, v30, v28, v40
	v_lshrrev_b32_e32 v40, 16, v28
.LBB935_183:                            ;   in Loop: Header=BB935_17 Depth=1
	s_or_b64 exec, exec, s[10:11]
.LBB935_184:                            ;   in Loop: Header=BB935_17 Depth=1
	s_or_b64 exec, exec, s[6:7]
.LBB935_185:                            ;   in Loop: Header=BB935_17 Depth=1
	s_or_b64 exec, exec, s[4:5]
	s_waitcnt vmcnt(0)
	v_cmp_ne_u16_sdwa s[6:7], v26, v35 src0_sel:BYTE_0 src1_sel:DWORD
	v_mov_b32_e32 v30, 0
	v_mov_b32_e32 v42, 0
	s_and_saveexec_b64 s[4:5], s[6:7]
	s_cbranch_execz .LBB935_191
; %bb.186:                              ;   in Loop: Header=BB935_17 Depth=1
	v_cmp_ne_u16_sdwa s[10:11], v26, s13 src0_sel:BYTE_0 src1_sel:DWORD
	v_mov_b32_e32 v42, 0xffff8000
	s_and_saveexec_b64 s[6:7], s[10:11]
	s_cbranch_execz .LBB935_190
; %bb.187:                              ;   in Loop: Header=BB935_17 Depth=1
	v_and_b32_e32 v28, 0x7f, v26
	v_cmp_ne_u32_e32 vcc, s14, v28
	v_mov_b32_e32 v42, 0x7f80
	s_and_saveexec_b64 s[10:11], vcc
	s_cbranch_execz .LBB935_189
; %bb.188:                              ;   in Loop: Header=BB935_17 Depth=1
	v_and_b32_e32 v42, 7, v26
	v_ffbh_u32_e32 v52, v42
	v_min_u32_e32 v54, 32, v52
	v_subrev_u32_e32 v52, 28, v54
	v_lshlrev_b64 v[52:53], v52, v[26:27]
	v_lshrrev_b32_e32 v44, 3, v28
	v_sub_u32_e32 v53, 29, v54
	v_and_b32_e32 v52, 7, v52
	v_cmp_gt_u32_e32 vcc, 8, v28
	v_cndmask_b32_e32 v28, v44, v53, vcc
	v_cndmask_b32_e32 v42, v42, v52, vcc
	v_lshlrev_b32_e32 v44, 24, v26
	v_lshlrev_b32_e32 v42, 20, v42
	v_and_b32_e32 v44, 0x80000000, v44
	v_lshl_add_u32 v28, v28, 23, v38
	v_or3_b32 v28, v44, v28, v42
	v_lshrrev_b32_e32 v42, 16, v28
.LBB935_189:                            ;   in Loop: Header=BB935_17 Depth=1
	s_or_b64 exec, exec, s[10:11]
.LBB935_190:                            ;   in Loop: Header=BB935_17 Depth=1
	s_or_b64 exec, exec, s[6:7]
.LBB935_191:                            ;   in Loop: Header=BB935_17 Depth=1
	s_or_b64 exec, exec, s[4:5]
	v_lshrrev_b16_e32 v28, 8, v26
	v_cmp_ne_u16_e32 vcc, 0, v28
	s_and_saveexec_b64 s[4:5], vcc
	s_cbranch_execz .LBB935_197
; %bb.192:                              ;   in Loop: Header=BB935_17 Depth=1
	v_cmp_ne_u16_e32 vcc, s13, v28
	v_mov_b32_e32 v30, 0xffff8000
	s_and_saveexec_b64 s[6:7], vcc
	s_cbranch_execz .LBB935_196
; %bb.193:                              ;   in Loop: Header=BB935_17 Depth=1
	v_and_b32_e32 v44, 0x7f, v28
	v_cmp_ne_u32_e32 vcc, s14, v44
	v_mov_b32_e32 v30, 0x7f80
	s_and_saveexec_b64 s[10:11], vcc
	s_cbranch_execz .LBB935_195
; %bb.194:                              ;   in Loop: Header=BB935_17 Depth=1
	v_and_b32_e32 v30, 7, v28
	v_ffbh_u32_e32 v52, v30
	v_min_u32_e32 v55, 32, v52
	v_subrev_u32_e32 v52, 28, v55
	v_lshlrev_b64 v[52:53], v52, v[28:29]
	v_lshrrev_b32_e32 v54, 3, v44
	v_sub_u32_e32 v28, 29, v55
	v_and_b32_e32 v52, 7, v52
	v_cmp_gt_u32_e32 vcc, 8, v44
	v_cndmask_b32_e32 v28, v54, v28, vcc
	v_cndmask_b32_e32 v30, v30, v52, vcc
	v_lshlrev_b32_e32 v44, 16, v26
	v_lshlrev_b32_e32 v30, 20, v30
	v_and_b32_e32 v44, 0x80000000, v44
	v_lshl_add_u32 v28, v28, 23, v38
	v_or3_b32 v28, v44, v28, v30
	v_lshrrev_b32_e32 v30, 16, v28
.LBB935_195:                            ;   in Loop: Header=BB935_17 Depth=1
	s_or_b64 exec, exec, s[10:11]
.LBB935_196:                            ;   in Loop: Header=BB935_17 Depth=1
	s_or_b64 exec, exec, s[6:7]
.LBB935_197:                            ;   in Loop: Header=BB935_17 Depth=1
	s_or_b64 exec, exec, s[4:5]
	v_lshrrev_b32_e32 v28, 16, v26
	v_cmp_ne_u16_sdwa s[6:7], v28, v35 src0_sel:BYTE_0 src1_sel:DWORD
	v_mov_b32_e32 v52, 0
	v_mov_b32_e32 v44, 0
	s_and_saveexec_b64 s[4:5], s[6:7]
	s_cbranch_execz .LBB935_203
; %bb.198:                              ;   in Loop: Header=BB935_17 Depth=1
	v_cmp_ne_u16_sdwa s[10:11], v28, s13 src0_sel:BYTE_0 src1_sel:DWORD
	v_mov_b32_e32 v44, 0xffff8000
	s_and_saveexec_b64 s[6:7], s[10:11]
	s_cbranch_execz .LBB935_202
; %bb.199:                              ;   in Loop: Header=BB935_17 Depth=1
	v_bfe_u32 v53, v26, 16, 7
	v_cmp_ne_u32_e32 vcc, s14, v53
	v_mov_b32_e32 v44, 0x7f80
	s_and_saveexec_b64 s[10:11], vcc
	s_cbranch_execz .LBB935_201
; %bb.200:                              ;   in Loop: Header=BB935_17 Depth=1
	v_and_b32_e32 v44, 7, v28
	v_ffbh_u32_e32 v54, v44
	v_min_u32_e32 v57, 32, v54
	v_subrev_u32_e32 v54, 28, v57
	v_lshlrev_b64 v[54:55], v54, v[28:29]
	v_lshrrev_b32_e32 v56, 3, v53
	v_sub_u32_e32 v55, 29, v57
	v_and_b32_e32 v54, 7, v54
	v_cmp_gt_u32_e32 vcc, 8, v53
	v_cndmask_b32_e32 v53, v56, v55, vcc
	v_cndmask_b32_e32 v44, v44, v54, vcc
	v_lshlrev_b32_e32 v28, 24, v28
	v_lshlrev_b32_e32 v44, 20, v44
	v_and_b32_e32 v28, 0x80000000, v28
	v_lshl_add_u32 v53, v53, 23, v38
	v_or3_b32 v28, v28, v53, v44
	v_lshrrev_b32_e32 v44, 16, v28
.LBB935_201:                            ;   in Loop: Header=BB935_17 Depth=1
	s_or_b64 exec, exec, s[10:11]
.LBB935_202:                            ;   in Loop: Header=BB935_17 Depth=1
	s_or_b64 exec, exec, s[6:7]
.LBB935_203:                            ;   in Loop: Header=BB935_17 Depth=1
	s_or_b64 exec, exec, s[4:5]
	v_cmp_lt_u32_e32 vcc, s15, v26
	s_and_saveexec_b64 s[4:5], vcc
	s_cbranch_execz .LBB935_16
; %bb.204:                              ;   in Loop: Header=BB935_17 Depth=1
	v_lshrrev_b32_e32 v28, 24, v26
	v_cmp_ne_u32_e32 vcc, s13, v28
	v_mov_b32_e32 v52, 0xffff8000
	s_and_saveexec_b64 s[6:7], vcc
	s_cbranch_execz .LBB935_15
; %bb.205:                              ;   in Loop: Header=BB935_17 Depth=1
	v_bfe_u32 v26, v26, 24, 7
	v_cmp_ne_u32_e32 vcc, s14, v26
	v_mov_b32_e32 v52, 0x7f80
	s_and_saveexec_b64 s[10:11], vcc
	s_cbranch_execz .LBB935_14
; %bb.206:                              ;   in Loop: Header=BB935_17 Depth=1
	v_and_b32_e32 v54, 7, v28
	v_ffbh_u32_e32 v52, v54
	v_min_u32_e32 v56, 32, v52
	v_subrev_u32_e32 v52, 28, v56
	v_lshlrev_b64 v[52:53], v52, v[28:29]
	v_lshrrev_b32_e32 v55, 3, v26
	v_sub_u32_e32 v53, 29, v56
	v_and_b32_e32 v52, 7, v52
	v_cmp_gt_u32_e32 vcc, 8, v26
	v_cndmask_b32_e32 v26, v55, v53, vcc
	v_cndmask_b32_e32 v52, v54, v52, vcc
	v_lshlrev_b32_e32 v28, 24, v28
	v_lshlrev_b32_e32 v52, 20, v52
	v_and_b32_e32 v28, 0x80000000, v28
	v_lshl_add_u32 v26, v26, 23, v38
	v_or3_b32 v26, v28, v26, v52
	v_lshrrev_b32_e32 v52, 16, v26
	s_branch .LBB935_14
.LBB935_207:
	buffer_load_dword v17, off, s[0:3], 0 offset:256
	buffer_load_dword v16, off, s[0:3], 0 offset:260
	;; [unrolled: 1-line block ×16, first 2 shown]
	v_and_b32_e32 v18, 0xc0, v0
	v_add_u32_e32 v18, s20, v18
	v_lshl_or_b32 v18, v1, 2, v18
	v_or_b32_e32 v20, 1, v18
	v_subrev_u32_e32 v24, s33, v20
	v_add_u32_e32 v26, 1, v24
	v_cvt_f32_i32_e32 v25, v24
	v_add_u32_e32 v28, 2, v24
	v_add_u32_e32 v30, 3, v24
	;; [unrolled: 1-line block ×14, first 2 shown]
	v_cvt_f32_i32_e32 v26, v26
	v_cvt_f32_i32_e32 v28, v28
	;; [unrolled: 1-line block ×4, first 2 shown]
	v_mov_b32_e32 v19, 0xff7fffff
	v_or_b32_e32 v21, 2, v18
	v_or_b32_e32 v22, 3, v18
	v_cvt_f32_i32_e32 v32, v32
	v_cvt_f32_i32_e32 v34, v34
	v_cmp_gt_i32_e64 s[28:29], s33, v18
	v_cmp_gt_i32_e64 s[30:31], s33, v20
	s_mov_b32 s52, 0xff7fffff
	v_cmp_gt_i32_e64 s[34:35], s33, v21
	v_cmp_gt_i32_e64 s[36:37], s33, v22
	v_or_b32_e32 v23, 16, v18
	v_cvt_f32_i32_e32 v35, v35
	v_cvt_f32_i32_e32 v36, v36
	v_cmp_gt_i32_e64 s[24:25], s33, v23
	v_cvt_f32_i32_e32 v37, v37
	v_cvt_f32_i32_e32 v38, v38
	;; [unrolled: 1-line block ×7, first 2 shown]
	s_waitcnt vmcnt(15)
	v_fmac_f32_e32 v17, v31, v25
	s_waitcnt vmcnt(14)
	v_fmac_f32_e32 v16, v31, v26
	;; [unrolled: 2-line block ×4, first 2 shown]
	v_cndmask_b32_e64 v20, v19, v16, s[30:31]
	v_cndmask_b32_e64 v21, v19, v15, s[34:35]
	;; [unrolled: 1-line block ×3, first 2 shown]
	s_waitcnt vmcnt(11)
	v_fmac_f32_e32 v13, v31, v32
	s_waitcnt vmcnt(10)
	v_fmac_f32_e32 v12, v31, v34
	;; [unrolled: 2-line block ×9, first 2 shown]
	v_cndmask_b32_e64 v24, v19, v17, s[28:29]
	v_max3_f32 v20, v24, s52, v20
	v_max3_f32 v20, v20, v21, v22
	v_or_b32_e32 v22, 17, v18
	v_cmp_gt_i32_e64 s[38:39], s33, v22
	v_cndmask_b32_e64 v21, v19, v13, s[24:25]
	v_cndmask_b32_e64 v22, v19, v12, s[38:39]
	v_max3_f32 v20, v20, v21, v22
	v_or_b32_e32 v21, 18, v18
	v_or_b32_e32 v22, 19, v18
	v_cmp_gt_i32_e64 s[20:21], s33, v21
	v_cmp_gt_i32_e64 s[22:23], s33, v22
	v_cndmask_b32_e64 v21, v19, v11, s[20:21]
	v_cndmask_b32_e64 v22, v19, v10, s[22:23]
	v_max3_f32 v20, v20, v21, v22
	v_or_b32_e32 v21, 32, v18
	v_or_b32_e32 v22, 33, v18
	v_cmp_gt_i32_e64 s[16:17], s33, v21
	;; [unrolled: 7-line block ×3, first 2 shown]
	v_cmp_gt_i32_e64 s[14:15], s33, v22
	v_cndmask_b32_e64 v21, v19, v7, s[12:13]
	v_cndmask_b32_e64 v22, v19, v6, s[14:15]
	v_max3_f32 v20, v20, v21, v22
	v_or_b32_e32 v21, 48, v18
	v_or_b32_e32 v22, 49, v18
	v_fmac_f32_e32 v5, v31, v44
	v_fmac_f32_e32 v4, v31, v52
	v_cmp_gt_i32_e64 s[6:7], s33, v21
	v_cmp_gt_i32_e64 s[10:11], s33, v22
	v_cndmask_b32_e64 v21, v19, v5, s[6:7]
	v_cndmask_b32_e64 v22, v19, v4, s[10:11]
	v_max3_f32 v20, v20, v21, v22
	v_or_b32_e32 v21, 50, v18
	v_or_b32_e32 v18, 51, v18
	v_fmac_f32_e32 v3, v31, v53
	v_cmp_gt_i32_e32 vcc, s33, v21
	v_cmp_gt_i32_e64 s[4:5], s33, v18
	v_cndmask_b32_e32 v21, v19, v3, vcc
	v_cndmask_b32_e64 v18, v19, v2, s[4:5]
	v_mbcnt_lo_u32_b32 v19, -1, 0
	v_mbcnt_hi_u32_b32 v19, -1, v19
	v_max3_f32 v18, v20, v21, v18
	v_and_b32_e32 v20, 64, v19
	v_add_u32_e32 v20, 64, v20
	v_xor_b32_e32 v21, 32, v19
	v_cmp_lt_i32_e64 s[40:41], v21, v20
	v_cndmask_b32_e64 v21, v19, v21, s[40:41]
	v_lshlrev_b32_e32 v21, 2, v21
	ds_bpermute_b32 v22, v21, v18
	s_waitcnt lgkmcnt(0)
	v_max_f32_e32 v22, v22, v22
	v_max_f32_e32 v18, v18, v22
	v_xor_b32_e32 v22, 16, v19
	v_cmp_lt_i32_e64 s[40:41], v22, v20
	v_cndmask_b32_e64 v19, v19, v22, s[40:41]
	v_lshlrev_b32_e32 v19, 2, v19
	ds_bpermute_b32 v20, v19, v18
	s_waitcnt lgkmcnt(0)
	v_max_f32_e32 v20, v20, v20
	v_max_f32_e32 v18, v18, v20
	v_sub_f32_e32 v17, v17, v18
	v_mul_f32_e32 v17, 0x3fb8aa3b, v17
	v_sub_f32_e32 v16, v16, v18
	v_exp_f32_e32 v17, v17
	v_mul_f32_e32 v16, 0x3fb8aa3b, v16
	v_sub_f32_e32 v15, v15, v18
	v_exp_f32_e32 v16, v16
	;; [unrolled: 3-line block ×4, first 2 shown]
	v_mul_f32_e32 v13, 0x3fb8aa3b, v13
	v_sub_f32_e32 v12, v12, v18
	v_cndmask_b32_e64 v17, 0, v17, s[28:29]
	v_exp_f32_e32 v13, v13
	v_mul_f32_e32 v12, 0x3fb8aa3b, v12
	v_sub_f32_e32 v11, v11, v18
	v_add_f32_e32 v20, 0, v17
	v_cndmask_b32_e64 v16, 0, v16, s[30:31]
	v_exp_f32_e32 v12, v12
	v_mul_f32_e32 v11, 0x3fb8aa3b, v11
	v_sub_f32_e32 v10, v10, v18
	v_add_f32_e32 v20, v20, v16
	;; [unrolled: 5-line block ×4, first 2 shown]
	v_cndmask_b32_e64 v13, 0, v13, s[24:25]
	v_exp_f32_e32 v9, v9
	v_mul_f32_e32 v8, 0x3fb8aa3b, v8
	v_sub_f32_e32 v7, v7, v18
	buffer_store_dword v17, off, s[0:3], 0 offset:256
	buffer_store_dword v16, off, s[0:3], 0 offset:260
	;; [unrolled: 1-line block ×4, first 2 shown]
	v_add_f32_e32 v14, v20, v13
	v_cndmask_b32_e64 v12, 0, v12, s[38:39]
	v_exp_f32_e32 v8, v8
	v_mul_f32_e32 v7, 0x3fb8aa3b, v7
	v_sub_f32_e32 v6, v6, v18
	v_add_f32_e32 v14, v14, v12
	v_cndmask_b32_e64 v11, 0, v11, s[20:21]
	v_exp_f32_e32 v7, v7
	v_mul_f32_e32 v6, 0x3fb8aa3b, v6
	v_sub_f32_e32 v5, v5, v18
	;; [unrolled: 5-line block ×4, first 2 shown]
	buffer_store_dword v13, off, s[0:3], 0 offset:272
	buffer_store_dword v12, off, s[0:3], 0 offset:276
	;; [unrolled: 1-line block ×4, first 2 shown]
	v_add_f32_e32 v10, v14, v9
	v_cndmask_b32_e64 v8, 0, v8, s[18:19]
	v_exp_f32_e32 v4, v4
	v_mul_f32_e32 v3, 0x3fb8aa3b, v3
	v_sub_f32_e32 v2, v2, v18
	v_add_f32_e32 v10, v10, v8
	v_cndmask_b32_e64 v7, 0, v7, s[12:13]
	v_exp_f32_e32 v3, v3
	v_mul_f32_e32 v2, 0x3fb8aa3b, v2
	v_add_f32_e32 v10, v10, v7
	v_cndmask_b32_e64 v6, 0, v6, s[14:15]
	v_exp_f32_e32 v2, v2
	v_add_f32_e32 v10, v10, v6
	v_cndmask_b32_e64 v5, 0, v5, s[6:7]
	buffer_store_dword v9, off, s[0:3], 0 offset:288
	buffer_store_dword v8, off, s[0:3], 0 offset:292
	;; [unrolled: 1-line block ×4, first 2 shown]
	v_add_f32_e32 v6, v10, v5
	v_cndmask_b32_e64 v4, 0, v4, s[10:11]
	v_add_f32_e32 v6, v6, v4
	v_cndmask_b32_e32 v3, 0, v3, vcc
	v_add_f32_e32 v6, v6, v3
	v_cndmask_b32_e64 v2, 0, v2, s[4:5]
	v_add_f32_e32 v6, v6, v2
	ds_bpermute_b32 v7, v21, v6
	buffer_store_dword v5, off, s[0:3], 0 offset:304
	buffer_store_dword v4, off, s[0:3], 0 offset:308
	;; [unrolled: 1-line block ×4, first 2 shown]
	v_cmp_gt_u32_e32 vcc, 16, v33
	s_waitcnt lgkmcnt(0)
	s_barrier
	v_add_f32_e32 v2, v6, v7
	ds_bpermute_b32 v3, v19, v2
	s_waitcnt lgkmcnt(0)
	s_and_saveexec_b64 s[4:5], vcc
	s_cbranch_execz .LBB935_209
; %bb.208:
	v_add_f32_e32 v2, v2, v3
	v_lshlrev_b32_e32 v3, 2, v29
	ds_write2st64_b32 v3, v18, v2 offset1:1
.LBB935_209:
	s_or_b64 exec, exec, s[4:5]
	v_lshlrev_b32_e32 v2, 2, v41
	s_waitcnt lgkmcnt(0)
	s_barrier
	ds_read2_b32 v[14:15], v2 offset1:16
	ds_read2_b32 v[16:17], v2 offset0:32 offset1:48
	ds_read2_b32 v[6:7], v2 offset0:64 offset1:80
	;; [unrolled: 1-line block ×3, first 2 shown]
	s_waitcnt lgkmcnt(0)
	s_barrier
	buffer_load_dword v22, off, s[0:3], 0 offset:264
	buffer_load_dword v23, off, s[0:3], 0 offset:268
	;; [unrolled: 1-line block ×16, first 2 shown]
	v_max3_f32 v20, v14, s52, v15
	v_max3_f32 v20, v20, v16, v17
	v_sub_f32_e32 v14, v14, v20
	v_sub_f32_e32 v15, v15, v20
	v_mul_f32_e32 v14, 0x3fb8aa3b, v14
	v_sub_f32_e32 v16, v16, v20
	v_mul_f32_e32 v15, 0x3fb8aa3b, v15
	v_exp_f32_e32 v14, v14
	v_sub_f32_e32 v17, v17, v20
	v_mul_f32_e32 v16, 0x3fb8aa3b, v16
	v_exp_f32_e32 v15, v15
	v_mul_f32_e32 v17, 0x3fb8aa3b, v17
	v_exp_f32_e32 v16, v16
	v_exp_f32_e32 v17, v17
	v_fma_f32 v6, v14, v6, 0
	v_fmac_f32_e32 v6, v15, v7
	v_fmac_f32_e32 v6, v16, v12
	;; [unrolled: 1-line block ×3, first 2 shown]
	v_cmp_eq_u32_e32 vcc, 1, v27
	v_add_f32_e32 v12, 0x358637bd, v6
	v_cndmask_b32_e32 v14, v14, v15, vcc
	v_cmp_eq_u32_e32 vcc, 2, v27
	v_div_scale_f32 v13, s[4:5], v12, v12, 1.0
	v_cndmask_b32_e32 v7, v14, v16, vcc
	v_rcp_f32_e32 v14, v13
	v_cmp_eq_u32_e32 vcc, 3, v27
	v_cndmask_b32_e32 v7, v7, v17, vcc
	v_div_scale_f32 v15, vcc, 1.0, v12, 1.0
	v_fma_f32 v16, -v13, v14, 1.0
	v_fmac_f32_e32 v14, v16, v14
	v_mul_f32_e32 v16, v15, v14
	v_fma_f32 v17, -v13, v16, v15
	v_fmac_f32_e32 v16, v17, v14
	v_fma_f32 v13, -v13, v16, v15
	v_div_fmas_f32 v13, v13, v14, v16
	v_div_fixup_f32 v12, v13, v12, 1.0
	v_mul_f32_e32 v12, v7, v12
	s_movk_i32 s19, 0x7fff
	s_mov_b32 s20, 0x7060302
	s_mul_i32 s18, s49, 10
	v_cmp_gt_u32_e32 vcc, 10, v0
	s_waitcnt vmcnt(14)
	v_pk_mul_f32 v[14:15], v[12:13], v[22:23] op_sel_hi:[0,1]
	v_bfe_u32 v21, v15, 16, 1
	s_waitcnt vmcnt(12)
	v_pk_mul_f32 v[16:17], v[12:13], v[24:25] op_sel_hi:[0,1]
	v_bfe_u32 v7, v17, 16, 1
	v_bfe_u32 v13, v16, 16, 1
	;; [unrolled: 1-line block ×3, first 2 shown]
	v_add3_u32 v13, v16, v13, s19
	v_add3_u32 v7, v17, v7, s19
	buffer_store_dword v16, off, s[0:3], 0 offset:256
	buffer_store_dword v17, off, s[0:3], 0 offset:260
	;; [unrolled: 1-line block ×4, first 2 shown]
	v_add3_u32 v16, v14, v22, s19
	v_add3_u32 v15, v15, v21, s19
	v_perm_b32 v14, v7, v13, s20
	v_lshlrev_b32_e32 v13, 3, v1
	v_perm_b32 v15, v15, v16, s20
	v_lshlrev_b32_e32 v7, 5, v41
	v_lshlrev_b32_e32 v16, 11, v27
	s_waitcnt vmcnt(12)
	v_pk_mul_f32 v[8:9], v[12:13], v[8:9] op_sel_hi:[0,1]
	v_or3_b32 v52, v16, v7, v13
	v_pk_mul_f32 v[10:11], v[12:13], v[10:11] op_sel_hi:[0,1]
	v_bfe_u32 v13, v9, 16, 1
	v_bfe_u32 v16, v8, 16, 1
	buffer_store_dword v8, off, s[0:3], 0 offset:272
	buffer_store_dword v9, off, s[0:3], 0 offset:276
	buffer_store_dword v10, off, s[0:3], 0 offset:280
	buffer_store_dword v11, off, s[0:3], 0 offset:284
	v_add3_u32 v8, v8, v16, s19
	v_add3_u32 v9, v9, v13, s19
	v_perm_b32 v8, v9, v8, s20
	v_bfe_u32 v9, v11, 16, 1
	v_bfe_u32 v13, v10, 16, 1
	v_add3_u32 v10, v10, v13, s19
	v_add3_u32 v9, v11, v9, s19
	v_perm_b32 v9, v9, v10, s20
	s_waitcnt vmcnt(14)
	v_pk_mul_f32 v[10:11], v[12:13], v[18:19] op_sel_hi:[0,1]
	ds_write2st64_b64 v52, v[14:15], v[8:9] offset1:1
	s_waitcnt vmcnt(12)
	v_pk_mul_f32 v[8:9], v[12:13], v[28:29] op_sel_hi:[0,1]
	v_bfe_u32 v13, v11, 16, 1
	v_bfe_u32 v14, v10, 16, 1
	buffer_store_dword v10, off, s[0:3], 0 offset:288
	buffer_store_dword v11, off, s[0:3], 0 offset:292
	;; [unrolled: 1-line block ×4, first 2 shown]
	v_add3_u32 v10, v10, v14, s19
	v_add3_u32 v11, v11, v13, s19
	v_perm_b32 v10, v11, v10, s20
	v_bfe_u32 v11, v9, 16, 1
	v_bfe_u32 v13, v8, 16, 1
	v_add3_u32 v8, v8, v13, s19
	v_add3_u32 v9, v9, v11, s19
	s_waitcnt vmcnt(14)
	v_pk_mul_f32 v[2:3], v[12:13], v[2:3] op_sel_hi:[0,1]
	v_perm_b32 v11, v9, v8, s20
	v_bfe_u32 v8, v3, 16, 1
	v_bfe_u32 v9, v2, 16, 1
	s_waitcnt vmcnt(12)
	v_pk_mul_f32 v[4:5], v[12:13], v[4:5] op_sel_hi:[0,1]
	buffer_store_dword v2, off, s[0:3], 0 offset:304
	buffer_store_dword v3, off, s[0:3], 0 offset:308
	buffer_store_dword v4, off, s[0:3], 0 offset:312
	buffer_store_dword v5, off, s[0:3], 0 offset:316
	v_add3_u32 v2, v2, v9, s19
	v_add3_u32 v3, v3, v8, s19
	v_perm_b32 v2, v3, v2, s20
	v_bfe_u32 v3, v5, 16, 1
	v_bfe_u32 v8, v4, 16, 1
	v_add3_u32 v4, v4, v8, s19
	v_add3_u32 v3, v5, v3, s19
	v_perm_b32 v3, v3, v4, s20
	ds_write2st64_b64 v52, v[10:11], v[2:3] offset0:2 offset1:3
	s_and_saveexec_b64 s[4:5], vcc
	s_cbranch_execz .LBB935_211
; %bb.210:
	v_add_co_u32_e32 v4, vcc, s27, v41
	v_addc_co_u32_e64 v5, s[6:7], 0, 0, vcc
	v_mov_b32_e32 v2, s18
	v_mad_u64_u32 v[4:5], s[6:7], s8, v2, v[4:5]
	v_mov_b32_e32 v3, 0
	s_mul_i32 s6, s9, s18
	v_mov_b32_e32 v2, s26
	v_add_u32_e32 v5, s6, v5
	v_mad_u64_u32 v[2:3], s[6:7], v4, s48, v[2:3]
	v_mov_b32_e32 v4, v3
	v_mad_u64_u32 v[4:5], s[6:7], v5, s48, v[4:5]
	v_mov_b32_e32 v3, v4
	v_lshlrev_b64 v[2:3], 2, v[2:3]
	v_mov_b32_e32 v5, s47
	v_add_co_u32_e32 v4, vcc, s46, v2
	v_addc_co_u32_e32 v5, vcc, v5, v3, vcc
	global_store_dword v[4:5], v20, off
	v_mov_b32_e32 v4, s45
	v_add_co_u32_e32 v2, vcc, s44, v2
	v_addc_co_u32_e32 v3, vcc, v4, v3, vcc
	global_store_dword v[2:3], v6, off
.LBB935_211:
	s_or_b64 exec, exec, s[4:5]
	v_lshl_or_b32 v30, v1, 9, v7
	s_waitcnt lgkmcnt(0)
	s_barrier
	s_load_dword s4, s[42:43], 0x0
	ds_read_b128 v[2:5], v30
	ds_read_b128 v[6:9], v30 offset:16
	ds_read_b128 v[10:13], v30 offset:2048
	;; [unrolled: 1-line block ×7, first 2 shown]
	v_mov_b32_e32 v35, 0x80
	v_mov_b32_e32 v53, 0x140
	s_mov_b64 s[10:11], -1
	s_waitcnt lgkmcnt(0)
	s_mov_b32 s5, s4
	s_mov_b32 s6, s4
	;; [unrolled: 1-line block ×3, first 2 shown]
	s_movk_i32 s9, 0x80
	s_movk_i32 s21, 0x7f
	s_mov_b32 s22, 0xffffff
	s_mov_b32 s23, 0x5040100
	v_mov_b32_e32 v54, 0
	v_bfrev_b32_e32 v55, 60
	s_branch .LBB935_215
.LBB935_212:                            ;   in Loop: Header=BB935_215 Depth=1
	s_or_b64 exec, exec, s[16:17]
.LBB935_213:                            ;   in Loop: Header=BB935_215 Depth=1
	s_or_b64 exec, exec, s[14:15]
.LBB935_214:                            ;   in Loop: Header=BB935_215 Depth=1
	s_or_b64 exec, exec, s[12:13]
	v_perm_b32 v61, v56, v50, s23
	v_perm_b32 v60, v44, v46, s23
	s_xor_b64 s[12:13], s[10:11], -1
	s_mov_b64 s[10:11], 0
	v_mov_b32_e32 v46, v47
	v_mfma_f32_16x16x16bf16_1k v[60:63], v[60:61], v[30:31], v[34:37]
	s_and_b64 vcc, exec, s[12:13]
	s_nop 5
	v_perm_b32 v37, v58, v57, s23
	v_perm_b32 v36, v42, v51, s23
	v_mov_b32_e32 v35, v45
	s_nop 0
	v_mfma_f32_16x16x16bf16_1k v[56:59], v[36:37], v[32:33], v[60:63]
	s_nop 7
	s_nop 2
	v_pk_mul_f32 v[50:51], v[56:57], s[4:5]
	v_pk_mul_f32 v[36:37], v[58:59], s[6:7]
	v_bfe_u32 v34, v51, 16, 1
	v_bfe_u32 v38, v50, 16, 1
	;; [unrolled: 1-line block ×4, first 2 shown]
	v_add3_u32 v38, v50, v38, s19
	v_add3_u32 v34, v51, v34, s19
	;; [unrolled: 1-line block ×4, first 2 shown]
	v_perm_b32 v34, v34, v38, s20
	v_perm_b32 v36, v37, v36, s20
	buffer_store_dword v34, v53, s[0:3], 0 offen
	buffer_store_dword v36, v53, s[0:3], 0 offen offset:4
	v_mov_b32_e32 v53, 0x148
	v_mov_b32_e32 v51, v48
	;; [unrolled: 1-line block ×3, first 2 shown]
	s_cbranch_vccnz .LBB935_597
.LBB935_215:                            ; =>This Inner Loop Header: Depth=1
	buffer_load_dword v36, v35, s[0:3], 0 offen
	buffer_load_dword v34, v35, s[0:3], 0 offen offset:4
	buffer_load_dword v40, v35, s[0:3], 0 offen offset:8
	;; [unrolled: 1-line block ×3, first 2 shown]
	v_mov_b32_e32 v35, 0
	s_waitcnt vmcnt(3)
	v_cmp_ne_u16_sdwa s[14:15], v36, v54 src0_sel:BYTE_0 src1_sel:DWORD
	s_and_saveexec_b64 s[12:13], s[14:15]
	s_cbranch_execz .LBB935_221
; %bb.216:                              ;   in Loop: Header=BB935_215 Depth=1
	v_cmp_ne_u16_sdwa s[16:17], v36, s9 src0_sel:BYTE_0 src1_sel:DWORD
	v_mov_b32_e32 v35, 0xffff8000
	s_and_saveexec_b64 s[14:15], s[16:17]
	s_cbranch_execz .LBB935_220
; %bb.217:                              ;   in Loop: Header=BB935_215 Depth=1
	v_and_b32_e32 v37, 0x7f, v36
	v_cmp_ne_u32_e32 vcc, s21, v37
	v_mov_b32_e32 v35, 0x7f80
	s_and_saveexec_b64 s[16:17], vcc
	s_cbranch_execz .LBB935_219
; %bb.218:                              ;   in Loop: Header=BB935_215 Depth=1
	v_and_b32_e32 v35, 7, v36
	v_ffbh_u32_e32 v44, v35
	v_min_u32_e32 v44, 32, v44
	v_subrev_u32_e32 v56, 28, v44
	v_lshlrev_b64 v[56:57], v56, v[36:37]
	v_lshrrev_b32_e32 v42, 3, v37
	v_sub_u32_e32 v44, 29, v44
	v_and_b32_e32 v56, 7, v56
	v_cmp_gt_u32_e32 vcc, 8, v37
	v_cndmask_b32_e32 v37, v42, v44, vcc
	v_cndmask_b32_e32 v35, v35, v56, vcc
	v_lshlrev_b32_e32 v42, 24, v36
	v_lshlrev_b32_e32 v35, 20, v35
	v_and_b32_e32 v42, 0x80000000, v42
	v_lshl_add_u32 v37, v37, 23, v55
	v_or3_b32 v35, v42, v37, v35
	v_lshrrev_b32_e32 v35, 16, v35
.LBB935_219:                            ;   in Loop: Header=BB935_215 Depth=1
	s_or_b64 exec, exec, s[16:17]
.LBB935_220:                            ;   in Loop: Header=BB935_215 Depth=1
	s_or_b64 exec, exec, s[14:15]
.LBB935_221:                            ;   in Loop: Header=BB935_215 Depth=1
	s_or_b64 exec, exec, s[12:13]
	v_lshrrev_b16_e32 v42, 8, v36
	v_cmp_ne_u16_e32 vcc, 0, v42
	v_mov_b32_e32 v56, 0
	v_mov_b32_e32 v37, 0
	s_and_saveexec_b64 s[12:13], vcc
	s_cbranch_execz .LBB935_227
; %bb.222:                              ;   in Loop: Header=BB935_215 Depth=1
	v_cmp_ne_u16_e32 vcc, s9, v42
	v_mov_b32_e32 v37, 0xffff8000
	s_and_saveexec_b64 s[14:15], vcc
	s_cbranch_execz .LBB935_226
; %bb.223:                              ;   in Loop: Header=BB935_215 Depth=1
	v_and_b32_e32 v44, 0x7f, v42
	v_cmp_ne_u32_e32 vcc, s21, v44
	v_mov_b32_e32 v37, 0x7f80
	s_and_saveexec_b64 s[16:17], vcc
	s_cbranch_execz .LBB935_225
; %bb.224:                              ;   in Loop: Header=BB935_215 Depth=1
	v_and_b32_e32 v37, 7, v42
	v_ffbh_u32_e32 v58, v37
	v_min_u32_e32 v60, 32, v58
	v_subrev_u32_e32 v58, 28, v60
	v_lshlrev_b64 v[58:59], v58, v[42:43]
	v_lshrrev_b32_e32 v57, 3, v44
	v_sub_u32_e32 v42, 29, v60
	v_and_b32_e32 v58, 7, v58
	v_cmp_gt_u32_e32 vcc, 8, v44
	v_cndmask_b32_e32 v42, v57, v42, vcc
	v_cndmask_b32_e32 v37, v37, v58, vcc
	v_lshlrev_b32_e32 v44, 16, v36
	v_lshlrev_b32_e32 v37, 20, v37
	v_and_b32_e32 v44, 0x80000000, v44
	v_lshl_add_u32 v42, v42, 23, v55
	v_or3_b32 v37, v44, v42, v37
	v_lshrrev_b32_e32 v37, 16, v37
.LBB935_225:                            ;   in Loop: Header=BB935_215 Depth=1
	s_or_b64 exec, exec, s[16:17]
.LBB935_226:                            ;   in Loop: Header=BB935_215 Depth=1
	s_or_b64 exec, exec, s[14:15]
.LBB935_227:                            ;   in Loop: Header=BB935_215 Depth=1
	s_or_b64 exec, exec, s[12:13]
	v_lshrrev_b32_e32 v42, 16, v36
	v_cmp_ne_u16_sdwa s[14:15], v42, v54 src0_sel:BYTE_0 src1_sel:DWORD
	s_and_saveexec_b64 s[12:13], s[14:15]
	s_cbranch_execz .LBB935_233
; %bb.228:                              ;   in Loop: Header=BB935_215 Depth=1
	v_cmp_ne_u16_sdwa s[16:17], v42, s9 src0_sel:BYTE_0 src1_sel:DWORD
	v_mov_b32_e32 v56, 0xffff8000
	s_and_saveexec_b64 s[14:15], s[16:17]
	s_cbranch_execz .LBB935_232
; %bb.229:                              ;   in Loop: Header=BB935_215 Depth=1
	v_bfe_u32 v44, v36, 16, 7
	v_cmp_ne_u32_e32 vcc, s21, v44
	v_mov_b32_e32 v56, 0x7f80
	s_and_saveexec_b64 s[16:17], vcc
	s_cbranch_execz .LBB935_231
; %bb.230:                              ;   in Loop: Header=BB935_215 Depth=1
	v_and_b32_e32 v58, 7, v42
	v_ffbh_u32_e32 v56, v58
	v_min_u32_e32 v60, 32, v56
	v_subrev_u32_e32 v56, 28, v60
	v_lshlrev_b64 v[56:57], v56, v[42:43]
	v_lshrrev_b32_e32 v59, 3, v44
	v_sub_u32_e32 v57, 29, v60
	v_and_b32_e32 v56, 7, v56
	v_cmp_gt_u32_e32 vcc, 8, v44
	v_cndmask_b32_e32 v44, v59, v57, vcc
	v_cndmask_b32_e32 v56, v58, v56, vcc
	v_lshlrev_b32_e32 v42, 24, v42
	v_lshlrev_b32_e32 v56, 20, v56
	v_and_b32_e32 v42, 0x80000000, v42
	v_lshl_add_u32 v44, v44, 23, v55
	v_or3_b32 v42, v42, v44, v56
	v_lshrrev_b32_e32 v56, 16, v42
.LBB935_231:                            ;   in Loop: Header=BB935_215 Depth=1
	s_or_b64 exec, exec, s[16:17]
.LBB935_232:                            ;   in Loop: Header=BB935_215 Depth=1
	s_or_b64 exec, exec, s[14:15]
.LBB935_233:                            ;   in Loop: Header=BB935_215 Depth=1
	s_or_b64 exec, exec, s[12:13]
	v_cmp_lt_u32_e32 vcc, s22, v36
	v_mov_b32_e32 v57, 0
	v_mov_b32_e32 v58, 0
	s_and_saveexec_b64 s[12:13], vcc
	s_cbranch_execz .LBB935_239
; %bb.234:                              ;   in Loop: Header=BB935_215 Depth=1
	v_lshrrev_b32_e32 v42, 24, v36
	v_cmp_ne_u32_e32 vcc, s9, v42
	v_mov_b32_e32 v58, 0xffff8000
	s_and_saveexec_b64 s[14:15], vcc
	s_cbranch_execz .LBB935_238
; %bb.235:                              ;   in Loop: Header=BB935_215 Depth=1
	v_bfe_u32 v36, v36, 24, 7
	v_cmp_ne_u32_e32 vcc, s21, v36
	v_mov_b32_e32 v58, 0x7f80
	s_and_saveexec_b64 s[16:17], vcc
	s_cbranch_execz .LBB935_237
; %bb.236:                              ;   in Loop: Header=BB935_215 Depth=1
	v_and_b32_e32 v44, 7, v42
	v_ffbh_u32_e32 v58, v44
	v_min_u32_e32 v61, 32, v58
	v_subrev_u32_e32 v58, 28, v61
	v_lshlrev_b64 v[58:59], v58, v[42:43]
	v_lshrrev_b32_e32 v60, 3, v36
	v_sub_u32_e32 v59, 29, v61
	v_and_b32_e32 v58, 7, v58
	v_cmp_gt_u32_e32 vcc, 8, v36
	v_cndmask_b32_e32 v36, v60, v59, vcc
	v_cndmask_b32_e32 v44, v44, v58, vcc
	v_lshlrev_b32_e32 v42, 24, v42
	v_lshlrev_b32_e32 v44, 20, v44
	v_and_b32_e32 v42, 0x80000000, v42
	v_lshl_add_u32 v36, v36, 23, v55
	v_or3_b32 v36, v42, v36, v44
	v_lshrrev_b32_e32 v58, 16, v36
.LBB935_237:                            ;   in Loop: Header=BB935_215 Depth=1
	s_or_b64 exec, exec, s[16:17]
.LBB935_238:                            ;   in Loop: Header=BB935_215 Depth=1
	s_or_b64 exec, exec, s[14:15]
.LBB935_239:                            ;   in Loop: Header=BB935_215 Depth=1
	s_or_b64 exec, exec, s[12:13]
	s_waitcnt vmcnt(2)
	v_cmp_ne_u16_sdwa s[14:15], v34, v54 src0_sel:BYTE_0 src1_sel:DWORD
	s_and_saveexec_b64 s[12:13], s[14:15]
	s_cbranch_execz .LBB935_245
; %bb.240:                              ;   in Loop: Header=BB935_215 Depth=1
	v_cmp_ne_u16_sdwa s[16:17], v34, s9 src0_sel:BYTE_0 src1_sel:DWORD
	v_mov_b32_e32 v57, 0xffff8000
	s_and_saveexec_b64 s[14:15], s[16:17]
	s_cbranch_execz .LBB935_244
; %bb.241:                              ;   in Loop: Header=BB935_215 Depth=1
	v_and_b32_e32 v36, 0x7f, v34
	v_cmp_ne_u32_e32 vcc, s21, v36
	v_mov_b32_e32 v57, 0x7f80
	s_and_saveexec_b64 s[16:17], vcc
	s_cbranch_execz .LBB935_243
; %bb.242:                              ;   in Loop: Header=BB935_215 Depth=1
	v_and_b32_e32 v42, 7, v34
	v_ffbh_u32_e32 v57, v42
	v_min_u32_e32 v57, 32, v57
	v_subrev_u32_e32 v59, 28, v57
	v_lshlrev_b64 v[60:61], v59, v[34:35]
	v_lshrrev_b32_e32 v44, 3, v36
	v_sub_u32_e32 v57, 29, v57
	v_and_b32_e32 v59, 7, v60
	v_cmp_gt_u32_e32 vcc, 8, v36
	v_cndmask_b32_e32 v36, v44, v57, vcc
	v_cndmask_b32_e32 v42, v42, v59, vcc
	v_lshlrev_b32_e32 v44, 24, v34
	v_lshlrev_b32_e32 v42, 20, v42
	v_and_b32_e32 v44, 0x80000000, v44
	v_lshl_add_u32 v36, v36, 23, v55
	v_or3_b32 v36, v44, v36, v42
	v_lshrrev_b32_e32 v57, 16, v36
.LBB935_243:                            ;   in Loop: Header=BB935_215 Depth=1
	s_or_b64 exec, exec, s[16:17]
.LBB935_244:                            ;   in Loop: Header=BB935_215 Depth=1
	s_or_b64 exec, exec, s[14:15]
.LBB935_245:                            ;   in Loop: Header=BB935_215 Depth=1
	s_or_b64 exec, exec, s[12:13]
	v_lshrrev_b16_e32 v36, 8, v34
	v_cmp_ne_u16_e32 vcc, 0, v36
	v_mov_b32_e32 v59, 0
	v_mov_b32_e32 v42, 0
	s_and_saveexec_b64 s[12:13], vcc
	s_cbranch_execz .LBB935_251
; %bb.246:                              ;   in Loop: Header=BB935_215 Depth=1
	v_cmp_ne_u16_e32 vcc, s9, v36
	v_mov_b32_e32 v42, 0xffff8000
	s_and_saveexec_b64 s[14:15], vcc
	s_cbranch_execz .LBB935_250
; %bb.247:                              ;   in Loop: Header=BB935_215 Depth=1
	v_and_b32_e32 v44, 0x7f, v36
	v_cmp_ne_u32_e32 vcc, s21, v44
	v_mov_b32_e32 v42, 0x7f80
	s_and_saveexec_b64 s[16:17], vcc
	s_cbranch_execz .LBB935_249
; %bb.248:                              ;   in Loop: Header=BB935_215 Depth=1
	v_and_b32_e32 v42, 7, v36
	v_ffbh_u32_e32 v60, v42
	v_min_u32_e32 v63, 32, v60
	v_subrev_u32_e32 v60, 28, v63
	v_lshlrev_b64 v[60:61], v60, v[36:37]
	v_lshrrev_b32_e32 v62, 3, v44
	v_sub_u32_e32 v36, 29, v63
	v_and_b32_e32 v60, 7, v60
	v_cmp_gt_u32_e32 vcc, 8, v44
	v_cndmask_b32_e32 v36, v62, v36, vcc
	v_cndmask_b32_e32 v42, v42, v60, vcc
	v_lshlrev_b32_e32 v44, 16, v34
	v_lshlrev_b32_e32 v42, 20, v42
	v_and_b32_e32 v44, 0x80000000, v44
	v_lshl_add_u32 v36, v36, 23, v55
	v_or3_b32 v36, v44, v36, v42
	v_lshrrev_b32_e32 v42, 16, v36
.LBB935_249:                            ;   in Loop: Header=BB935_215 Depth=1
	s_or_b64 exec, exec, s[16:17]
.LBB935_250:                            ;   in Loop: Header=BB935_215 Depth=1
	s_or_b64 exec, exec, s[14:15]
.LBB935_251:                            ;   in Loop: Header=BB935_215 Depth=1
	s_or_b64 exec, exec, s[12:13]
	v_lshrrev_b32_e32 v36, 16, v34
	v_cmp_ne_u16_sdwa s[14:15], v36, v54 src0_sel:BYTE_0 src1_sel:DWORD
	s_and_saveexec_b64 s[12:13], s[14:15]
	s_cbranch_execz .LBB935_257
; %bb.252:                              ;   in Loop: Header=BB935_215 Depth=1
	v_cmp_ne_u16_sdwa s[16:17], v36, s9 src0_sel:BYTE_0 src1_sel:DWORD
	v_mov_b32_e32 v59, 0xffff8000
	s_and_saveexec_b64 s[14:15], s[16:17]
	s_cbranch_execz .LBB935_256
; %bb.253:                              ;   in Loop: Header=BB935_215 Depth=1
	v_bfe_u32 v44, v34, 16, 7
	v_cmp_ne_u32_e32 vcc, s21, v44
	v_mov_b32_e32 v59, 0x7f80
	s_and_saveexec_b64 s[16:17], vcc
	s_cbranch_execz .LBB935_255
; %bb.254:                              ;   in Loop: Header=BB935_215 Depth=1
	v_and_b32_e32 v59, 7, v36
	v_ffbh_u32_e32 v60, v59
	v_min_u32_e32 v63, 32, v60
	v_subrev_u32_e32 v60, 28, v63
	v_lshlrev_b64 v[60:61], v60, v[36:37]
	v_lshrrev_b32_e32 v62, 3, v44
	v_sub_u32_e32 v61, 29, v63
	v_and_b32_e32 v60, 7, v60
	v_cmp_gt_u32_e32 vcc, 8, v44
	v_cndmask_b32_e32 v44, v62, v61, vcc
	v_cndmask_b32_e32 v59, v59, v60, vcc
	v_lshlrev_b32_e32 v36, 24, v36
	v_lshlrev_b32_e32 v59, 20, v59
	v_and_b32_e32 v36, 0x80000000, v36
	v_lshl_add_u32 v44, v44, 23, v55
	v_or3_b32 v36, v36, v44, v59
	v_lshrrev_b32_e32 v59, 16, v36
.LBB935_255:                            ;   in Loop: Header=BB935_215 Depth=1
	s_or_b64 exec, exec, s[16:17]
.LBB935_256:                            ;   in Loop: Header=BB935_215 Depth=1
	s_or_b64 exec, exec, s[14:15]
.LBB935_257:                            ;   in Loop: Header=BB935_215 Depth=1
	s_or_b64 exec, exec, s[12:13]
	v_cmp_lt_u32_e32 vcc, s22, v34
	v_mov_b32_e32 v44, 0
	v_mov_b32_e32 v60, 0
	s_and_saveexec_b64 s[12:13], vcc
	s_cbranch_execz .LBB935_263
; %bb.258:                              ;   in Loop: Header=BB935_215 Depth=1
	v_lshrrev_b32_e32 v36, 24, v34
	v_cmp_ne_u32_e32 vcc, s9, v36
	v_mov_b32_e32 v60, 0xffff8000
	s_and_saveexec_b64 s[14:15], vcc
	s_cbranch_execz .LBB935_262
; %bb.259:                              ;   in Loop: Header=BB935_215 Depth=1
	v_bfe_u32 v34, v34, 24, 7
	v_cmp_ne_u32_e32 vcc, s21, v34
	v_mov_b32_e32 v60, 0x7f80
	s_and_saveexec_b64 s[16:17], vcc
	s_cbranch_execz .LBB935_261
; %bb.260:                              ;   in Loop: Header=BB935_215 Depth=1
	v_and_b32_e32 v62, 7, v36
	v_ffbh_u32_e32 v60, v62
	v_min_u32_e32 v64, 32, v60
	v_subrev_u32_e32 v60, 28, v64
	v_lshlrev_b64 v[60:61], v60, v[36:37]
	v_lshrrev_b32_e32 v63, 3, v34
	v_sub_u32_e32 v61, 29, v64
	v_and_b32_e32 v60, 7, v60
	v_cmp_gt_u32_e32 vcc, 8, v34
	v_cndmask_b32_e32 v34, v63, v61, vcc
	v_cndmask_b32_e32 v60, v62, v60, vcc
	v_lshlrev_b32_e32 v36, 24, v36
	v_lshlrev_b32_e32 v60, 20, v60
	v_and_b32_e32 v36, 0x80000000, v36
	v_lshl_add_u32 v34, v34, 23, v55
	v_or3_b32 v34, v36, v34, v60
	v_lshrrev_b32_e32 v60, 16, v34
.LBB935_261:                            ;   in Loop: Header=BB935_215 Depth=1
	s_or_b64 exec, exec, s[16:17]
.LBB935_262:                            ;   in Loop: Header=BB935_215 Depth=1
	s_or_b64 exec, exec, s[14:15]
.LBB935_263:                            ;   in Loop: Header=BB935_215 Depth=1
	s_or_b64 exec, exec, s[12:13]
	v_perm_b32 v63, v58, v56, s23
	v_perm_b32 v62, v37, v35, s23
	v_perm_b32 v59, v60, v59, s23
	v_perm_b32 v58, v42, v57, s23
	s_waitcnt vmcnt(1)
	v_cmp_ne_u16_sdwa s[14:15], v40, v54 src0_sel:BYTE_0 src1_sel:DWORD
	v_mfma_f32_16x16x16bf16_1k v[34:37], v[62:63], v[2:3], 0
	v_mfma_f32_16x16x16bf16_1k v[34:37], v[58:59], v[4:5], v[34:37]
	s_and_saveexec_b64 s[12:13], s[14:15]
	s_cbranch_execz .LBB935_269
; %bb.264:                              ;   in Loop: Header=BB935_215 Depth=1
	v_cmp_ne_u16_sdwa s[16:17], v40, s9 src0_sel:BYTE_0 src1_sel:DWORD
	v_mov_b32_e32 v44, 0xffff8000
	s_and_saveexec_b64 s[14:15], s[16:17]
	s_cbranch_execz .LBB935_268
; %bb.265:                              ;   in Loop: Header=BB935_215 Depth=1
	v_and_b32_e32 v42, 0x7f, v40
	v_cmp_ne_u32_e32 vcc, s21, v42
	v_mov_b32_e32 v44, 0x7f80
	s_and_saveexec_b64 s[16:17], vcc
	s_cbranch_execz .LBB935_267
; %bb.266:                              ;   in Loop: Header=BB935_215 Depth=1
	v_and_b32_e32 v44, 7, v40
	v_ffbh_u32_e32 v56, v44
	v_min_u32_e32 v59, 32, v56
	v_subrev_u32_e32 v56, 28, v59
	v_lshlrev_b64 v[56:57], v56, v[40:41]
	v_lshrrev_b32_e32 v58, 3, v42
	v_sub_u32_e32 v57, 29, v59
	v_and_b32_e32 v56, 7, v56
	v_cmp_gt_u32_e32 vcc, 8, v42
	v_cndmask_b32_e32 v42, v58, v57, vcc
	v_cndmask_b32_e32 v44, v44, v56, vcc
	v_lshlrev_b32_e32 v56, 24, v40
	v_lshlrev_b32_e32 v44, 20, v44
	v_and_b32_e32 v56, 0x80000000, v56
	v_lshl_add_u32 v42, v42, 23, v55
	v_or3_b32 v42, v56, v42, v44
	v_lshrrev_b32_e32 v44, 16, v42
.LBB935_267:                            ;   in Loop: Header=BB935_215 Depth=1
	s_or_b64 exec, exec, s[16:17]
.LBB935_268:                            ;   in Loop: Header=BB935_215 Depth=1
	s_or_b64 exec, exec, s[14:15]
.LBB935_269:                            ;   in Loop: Header=BB935_215 Depth=1
	s_or_b64 exec, exec, s[12:13]
	v_lshrrev_b16_e32 v42, 8, v40
	v_cmp_ne_u16_e32 vcc, 0, v42
	v_mov_b32_e32 v58, 0
	v_mov_b32_e32 v57, 0
	s_and_saveexec_b64 s[12:13], vcc
	s_cbranch_execz .LBB935_275
; %bb.270:                              ;   in Loop: Header=BB935_215 Depth=1
	v_cmp_ne_u16_e32 vcc, s9, v42
	v_mov_b32_e32 v57, 0xffff8000
	s_and_saveexec_b64 s[14:15], vcc
	s_cbranch_execz .LBB935_274
; %bb.271:                              ;   in Loop: Header=BB935_215 Depth=1
	v_and_b32_e32 v56, 0x7f, v42
	v_cmp_ne_u32_e32 vcc, s21, v56
	v_mov_b32_e32 v57, 0x7f80
	s_and_saveexec_b64 s[16:17], vcc
	s_cbranch_execz .LBB935_273
; %bb.272:                              ;   in Loop: Header=BB935_215 Depth=1
	v_and_b32_e32 v57, 7, v42
	v_ffbh_u32_e32 v60, v57
	v_min_u32_e32 v62, 32, v60
	v_subrev_u32_e32 v60, 28, v62
	v_lshlrev_b64 v[60:61], v60, v[42:43]
	v_lshrrev_b32_e32 v59, 3, v56
	v_sub_u32_e32 v42, 29, v62
	v_and_b32_e32 v60, 7, v60
	v_cmp_gt_u32_e32 vcc, 8, v56
	v_cndmask_b32_e32 v42, v59, v42, vcc
	v_cndmask_b32_e32 v56, v57, v60, vcc
	v_lshlrev_b32_e32 v57, 16, v40
	v_lshlrev_b32_e32 v56, 20, v56
	v_and_b32_e32 v57, 0x80000000, v57
	v_lshl_add_u32 v42, v42, 23, v55
	v_or3_b32 v42, v57, v42, v56
	v_lshrrev_b32_e32 v57, 16, v42
.LBB935_273:                            ;   in Loop: Header=BB935_215 Depth=1
	s_or_b64 exec, exec, s[16:17]
.LBB935_274:                            ;   in Loop: Header=BB935_215 Depth=1
	s_or_b64 exec, exec, s[14:15]
.LBB935_275:                            ;   in Loop: Header=BB935_215 Depth=1
	s_or_b64 exec, exec, s[12:13]
	v_lshrrev_b32_e32 v42, 16, v40
	v_cmp_ne_u16_sdwa s[14:15], v42, v54 src0_sel:BYTE_0 src1_sel:DWORD
	s_and_saveexec_b64 s[12:13], s[14:15]
	s_cbranch_execz .LBB935_281
; %bb.276:                              ;   in Loop: Header=BB935_215 Depth=1
	v_cmp_ne_u16_sdwa s[16:17], v42, s9 src0_sel:BYTE_0 src1_sel:DWORD
	v_mov_b32_e32 v58, 0xffff8000
	s_and_saveexec_b64 s[14:15], s[16:17]
	s_cbranch_execz .LBB935_280
; %bb.277:                              ;   in Loop: Header=BB935_215 Depth=1
	v_bfe_u32 v56, v40, 16, 7
	v_cmp_ne_u32_e32 vcc, s21, v56
	v_mov_b32_e32 v58, 0x7f80
	s_and_saveexec_b64 s[16:17], vcc
	s_cbranch_execz .LBB935_279
; %bb.278:                              ;   in Loop: Header=BB935_215 Depth=1
	v_and_b32_e32 v60, 7, v42
	v_ffbh_u32_e32 v58, v60
	v_min_u32_e32 v62, 32, v58
	v_subrev_u32_e32 v58, 28, v62
	v_lshlrev_b64 v[58:59], v58, v[42:43]
	v_lshrrev_b32_e32 v61, 3, v56
	v_sub_u32_e32 v59, 29, v62
	v_and_b32_e32 v58, 7, v58
	v_cmp_gt_u32_e32 vcc, 8, v56
	v_cndmask_b32_e32 v56, v61, v59, vcc
	v_cndmask_b32_e32 v58, v60, v58, vcc
	v_lshlrev_b32_e32 v42, 24, v42
	v_lshlrev_b32_e32 v58, 20, v58
	v_and_b32_e32 v42, 0x80000000, v42
	v_lshl_add_u32 v56, v56, 23, v55
	v_or3_b32 v42, v42, v56, v58
	v_lshrrev_b32_e32 v58, 16, v42
.LBB935_279:                            ;   in Loop: Header=BB935_215 Depth=1
	s_or_b64 exec, exec, s[16:17]
.LBB935_280:                            ;   in Loop: Header=BB935_215 Depth=1
	s_or_b64 exec, exec, s[14:15]
.LBB935_281:                            ;   in Loop: Header=BB935_215 Depth=1
	s_or_b64 exec, exec, s[12:13]
	v_cmp_lt_u32_e32 vcc, s22, v40
	v_mov_b32_e32 v59, 0
	v_mov_b32_e32 v60, 0
	s_and_saveexec_b64 s[12:13], vcc
	s_cbranch_execz .LBB935_287
; %bb.282:                              ;   in Loop: Header=BB935_215 Depth=1
	v_lshrrev_b32_e32 v42, 24, v40
	v_cmp_ne_u32_e32 vcc, s9, v42
	v_mov_b32_e32 v60, 0xffff8000
	s_and_saveexec_b64 s[14:15], vcc
	s_cbranch_execz .LBB935_286
; %bb.283:                              ;   in Loop: Header=BB935_215 Depth=1
	v_bfe_u32 v40, v40, 24, 7
	v_cmp_ne_u32_e32 vcc, s21, v40
	v_mov_b32_e32 v60, 0x7f80
	s_and_saveexec_b64 s[16:17], vcc
	s_cbranch_execz .LBB935_285
; %bb.284:                              ;   in Loop: Header=BB935_215 Depth=1
	v_and_b32_e32 v56, 7, v42
	v_ffbh_u32_e32 v60, v56
	v_min_u32_e32 v63, 32, v60
	v_subrev_u32_e32 v60, 28, v63
	v_lshlrev_b64 v[60:61], v60, v[42:43]
	v_lshrrev_b32_e32 v62, 3, v40
	v_sub_u32_e32 v61, 29, v63
	v_and_b32_e32 v60, 7, v60
	v_cmp_gt_u32_e32 vcc, 8, v40
	v_cndmask_b32_e32 v40, v62, v61, vcc
	v_cndmask_b32_e32 v56, v56, v60, vcc
	v_lshlrev_b32_e32 v42, 24, v42
	v_lshlrev_b32_e32 v56, 20, v56
	v_and_b32_e32 v42, 0x80000000, v42
	v_lshl_add_u32 v40, v40, 23, v55
	v_or3_b32 v40, v42, v40, v56
	v_lshrrev_b32_e32 v60, 16, v40
.LBB935_285:                            ;   in Loop: Header=BB935_215 Depth=1
	s_or_b64 exec, exec, s[16:17]
.LBB935_286:                            ;   in Loop: Header=BB935_215 Depth=1
	s_or_b64 exec, exec, s[14:15]
.LBB935_287:                            ;   in Loop: Header=BB935_215 Depth=1
	s_or_b64 exec, exec, s[12:13]
	s_waitcnt vmcnt(0)
	v_cmp_ne_u16_sdwa s[14:15], v38, v54 src0_sel:BYTE_0 src1_sel:DWORD
	s_and_saveexec_b64 s[12:13], s[14:15]
	s_cbranch_execz .LBB935_293
; %bb.288:                              ;   in Loop: Header=BB935_215 Depth=1
	v_cmp_ne_u16_sdwa s[16:17], v38, s9 src0_sel:BYTE_0 src1_sel:DWORD
	v_mov_b32_e32 v59, 0xffff8000
	s_and_saveexec_b64 s[14:15], s[16:17]
	s_cbranch_execz .LBB935_292
; %bb.289:                              ;   in Loop: Header=BB935_215 Depth=1
	v_and_b32_e32 v40, 0x7f, v38
	v_cmp_ne_u32_e32 vcc, s21, v40
	v_mov_b32_e32 v59, 0x7f80
	s_and_saveexec_b64 s[16:17], vcc
	s_cbranch_execz .LBB935_291
; %bb.290:                              ;   in Loop: Header=BB935_215 Depth=1
	v_and_b32_e32 v42, 7, v38
	v_ffbh_u32_e32 v59, v42
	v_min_u32_e32 v59, 32, v59
	v_subrev_u32_e32 v61, 28, v59
	v_lshlrev_b64 v[62:63], v61, v[38:39]
	v_lshrrev_b32_e32 v56, 3, v40
	v_sub_u32_e32 v59, 29, v59
	v_and_b32_e32 v61, 7, v62
	v_cmp_gt_u32_e32 vcc, 8, v40
	v_cndmask_b32_e32 v40, v56, v59, vcc
	v_cndmask_b32_e32 v42, v42, v61, vcc
	v_lshlrev_b32_e32 v56, 24, v38
	v_lshlrev_b32_e32 v42, 20, v42
	v_and_b32_e32 v56, 0x80000000, v56
	v_lshl_add_u32 v40, v40, 23, v55
	v_or3_b32 v40, v56, v40, v42
	v_lshrrev_b32_e32 v59, 16, v40
.LBB935_291:                            ;   in Loop: Header=BB935_215 Depth=1
	s_or_b64 exec, exec, s[16:17]
.LBB935_292:                            ;   in Loop: Header=BB935_215 Depth=1
	s_or_b64 exec, exec, s[14:15]
.LBB935_293:                            ;   in Loop: Header=BB935_215 Depth=1
	s_or_b64 exec, exec, s[12:13]
	v_lshrrev_b16_e32 v40, 8, v38
	v_cmp_ne_u16_e32 vcc, 0, v40
	v_mov_b32_e32 v62, 0
	v_mov_b32_e32 v61, 0
	s_and_saveexec_b64 s[12:13], vcc
	s_cbranch_execz .LBB935_299
; %bb.294:                              ;   in Loop: Header=BB935_215 Depth=1
	v_cmp_ne_u16_e32 vcc, s9, v40
	v_mov_b32_e32 v61, 0xffff8000
	s_and_saveexec_b64 s[14:15], vcc
	s_cbranch_execz .LBB935_298
; %bb.295:                              ;   in Loop: Header=BB935_215 Depth=1
	v_and_b32_e32 v42, 0x7f, v40
	v_cmp_ne_u32_e32 vcc, s21, v42
	v_mov_b32_e32 v61, 0x7f80
	s_and_saveexec_b64 s[16:17], vcc
	s_cbranch_execz .LBB935_297
; %bb.296:                              ;   in Loop: Header=BB935_215 Depth=1
	v_and_b32_e32 v56, 7, v40
	v_ffbh_u32_e32 v63, v56
	v_min_u32_e32 v63, 32, v63
	v_subrev_u32_e32 v64, 28, v63
	v_lshlrev_b64 v[64:65], v64, v[40:41]
	v_lshrrev_b32_e32 v61, 3, v42
	v_sub_u32_e32 v40, 29, v63
	v_and_b32_e32 v63, 7, v64
	v_cmp_gt_u32_e32 vcc, 8, v42
	v_cndmask_b32_e32 v40, v61, v40, vcc
	v_cndmask_b32_e32 v42, v56, v63, vcc
	v_lshlrev_b32_e32 v56, 16, v38
	v_lshlrev_b32_e32 v42, 20, v42
	v_and_b32_e32 v56, 0x80000000, v56
	v_lshl_add_u32 v40, v40, 23, v55
	v_or3_b32 v40, v56, v40, v42
	v_lshrrev_b32_e32 v61, 16, v40
.LBB935_297:                            ;   in Loop: Header=BB935_215 Depth=1
	s_or_b64 exec, exec, s[16:17]
.LBB935_298:                            ;   in Loop: Header=BB935_215 Depth=1
	s_or_b64 exec, exec, s[14:15]
.LBB935_299:                            ;   in Loop: Header=BB935_215 Depth=1
	s_or_b64 exec, exec, s[12:13]
	v_lshrrev_b32_e32 v40, 16, v38
	v_cmp_ne_u16_sdwa s[14:15], v40, v54 src0_sel:BYTE_0 src1_sel:DWORD
	s_and_saveexec_b64 s[12:13], s[14:15]
	s_cbranch_execz .LBB935_305
; %bb.300:                              ;   in Loop: Header=BB935_215 Depth=1
	v_cmp_ne_u16_sdwa s[16:17], v40, s9 src0_sel:BYTE_0 src1_sel:DWORD
	v_mov_b32_e32 v62, 0xffff8000
	s_and_saveexec_b64 s[14:15], s[16:17]
	s_cbranch_execz .LBB935_304
; %bb.301:                              ;   in Loop: Header=BB935_215 Depth=1
	v_bfe_u32 v42, v38, 16, 7
	v_cmp_ne_u32_e32 vcc, s21, v42
	v_mov_b32_e32 v62, 0x7f80
	s_and_saveexec_b64 s[16:17], vcc
	s_cbranch_execz .LBB935_303
; %bb.302:                              ;   in Loop: Header=BB935_215 Depth=1
	v_and_b32_e32 v56, 7, v40
	v_ffbh_u32_e32 v62, v56
	v_min_u32_e32 v65, 32, v62
	v_subrev_u32_e32 v62, 28, v65
	v_lshlrev_b64 v[62:63], v62, v[40:41]
	v_lshrrev_b32_e32 v64, 3, v42
	v_sub_u32_e32 v63, 29, v65
	v_and_b32_e32 v62, 7, v62
	v_cmp_gt_u32_e32 vcc, 8, v42
	v_cndmask_b32_e32 v42, v64, v63, vcc
	v_cndmask_b32_e32 v56, v56, v62, vcc
	v_lshlrev_b32_e32 v40, 24, v40
	v_lshlrev_b32_e32 v56, 20, v56
	v_and_b32_e32 v40, 0x80000000, v40
	v_lshl_add_u32 v42, v42, 23, v55
	v_or3_b32 v40, v40, v42, v56
	v_lshrrev_b32_e32 v62, 16, v40
.LBB935_303:                            ;   in Loop: Header=BB935_215 Depth=1
	s_or_b64 exec, exec, s[16:17]
.LBB935_304:                            ;   in Loop: Header=BB935_215 Depth=1
	s_or_b64 exec, exec, s[14:15]
.LBB935_305:                            ;   in Loop: Header=BB935_215 Depth=1
	s_or_b64 exec, exec, s[12:13]
	v_cmp_lt_u32_e32 vcc, s22, v38
	v_mov_b32_e32 v56, 0
	v_mov_b32_e32 v63, 0
	s_and_saveexec_b64 s[12:13], vcc
	s_cbranch_execz .LBB935_311
; %bb.306:                              ;   in Loop: Header=BB935_215 Depth=1
	v_lshrrev_b32_e32 v40, 24, v38
	v_cmp_ne_u32_e32 vcc, s9, v40
	v_mov_b32_e32 v63, 0xffff8000
	s_and_saveexec_b64 s[14:15], vcc
	s_cbranch_execz .LBB935_310
; %bb.307:                              ;   in Loop: Header=BB935_215 Depth=1
	v_bfe_u32 v38, v38, 24, 7
	v_cmp_ne_u32_e32 vcc, s21, v38
	v_mov_b32_e32 v63, 0x7f80
	s_and_saveexec_b64 s[16:17], vcc
	s_cbranch_execz .LBB935_309
; %bb.308:                              ;   in Loop: Header=BB935_215 Depth=1
	v_and_b32_e32 v42, 7, v40
	v_ffbh_u32_e32 v64, v42
	v_min_u32_e32 v66, 32, v64
	v_subrev_u32_e32 v64, 28, v66
	v_lshlrev_b64 v[64:65], v64, v[40:41]
	v_lshrrev_b32_e32 v63, 3, v38
	v_sub_u32_e32 v65, 29, v66
	v_and_b32_e32 v64, 7, v64
	v_cmp_gt_u32_e32 vcc, 8, v38
	v_cndmask_b32_e32 v38, v63, v65, vcc
	v_cndmask_b32_e32 v42, v42, v64, vcc
	v_lshlrev_b32_e32 v40, 24, v40
	v_lshlrev_b32_e32 v42, 20, v42
	v_and_b32_e32 v40, 0x80000000, v40
	v_lshl_add_u32 v38, v38, 23, v55
	v_or3_b32 v38, v40, v38, v42
	v_lshrrev_b32_e32 v63, 16, v38
.LBB935_309:                            ;   in Loop: Header=BB935_215 Depth=1
	s_or_b64 exec, exec, s[16:17]
.LBB935_310:                            ;   in Loop: Header=BB935_215 Depth=1
	s_or_b64 exec, exec, s[14:15]
.LBB935_311:                            ;   in Loop: Header=BB935_215 Depth=1
	s_or_b64 exec, exec, s[12:13]
	v_perm_b32 v64, v57, v44, s23
	buffer_load_dword v44, v46, s[0:3], 0 offen
	buffer_load_dword v42, v46, s[0:3], 0 offen offset:4
	buffer_load_dword v40, v46, s[0:3], 0 offen offset:8
	;; [unrolled: 1-line block ×3, first 2 shown]
	v_perm_b32 v65, v60, v58, s23
	v_perm_b32 v63, v63, v62, s23
	;; [unrolled: 1-line block ×3, first 2 shown]
	v_mfma_f32_16x16x16bf16_1k v[34:37], v[64:65], v[6:7], v[34:37]
	s_waitcnt vmcnt(3)
	v_cmp_ne_u16_sdwa s[14:15], v44, v54 src0_sel:BYTE_0 src1_sel:DWORD
	v_mfma_f32_16x16x16bf16_1k v[34:37], v[62:63], v[8:9], v[34:37]
	s_and_saveexec_b64 s[12:13], s[14:15]
	s_cbranch_execz .LBB935_317
; %bb.312:                              ;   in Loop: Header=BB935_215 Depth=1
	v_cmp_ne_u16_sdwa s[16:17], v44, s9 src0_sel:BYTE_0 src1_sel:DWORD
	v_mov_b32_e32 v56, 0xffff8000
	s_and_saveexec_b64 s[14:15], s[16:17]
	s_cbranch_execz .LBB935_316
; %bb.313:                              ;   in Loop: Header=BB935_215 Depth=1
	v_and_b32_e32 v46, 0x7f, v44
	v_cmp_ne_u32_e32 vcc, s21, v46
	v_mov_b32_e32 v56, 0x7f80
	s_and_saveexec_b64 s[16:17], vcc
	s_cbranch_execz .LBB935_315
; %bb.314:                              ;   in Loop: Header=BB935_215 Depth=1
	v_and_b32_e32 v58, 7, v44
	v_ffbh_u32_e32 v56, v58
	v_min_u32_e32 v60, 32, v56
	v_subrev_u32_e32 v56, 28, v60
	v_lshlrev_b64 v[56:57], v56, v[44:45]
	v_lshrrev_b32_e32 v59, 3, v46
	v_sub_u32_e32 v57, 29, v60
	v_and_b32_e32 v56, 7, v56
	v_cmp_gt_u32_e32 vcc, 8, v46
	v_cndmask_b32_e32 v46, v59, v57, vcc
	v_cndmask_b32_e32 v56, v58, v56, vcc
	v_lshlrev_b32_e32 v57, 24, v44
	v_lshlrev_b32_e32 v56, 20, v56
	v_and_b32_e32 v57, 0x80000000, v57
	v_lshl_add_u32 v46, v46, 23, v55
	v_or3_b32 v46, v57, v46, v56
	v_lshrrev_b32_e32 v56, 16, v46
.LBB935_315:                            ;   in Loop: Header=BB935_215 Depth=1
	s_or_b64 exec, exec, s[16:17]
.LBB935_316:                            ;   in Loop: Header=BB935_215 Depth=1
	s_or_b64 exec, exec, s[14:15]
.LBB935_317:                            ;   in Loop: Header=BB935_215 Depth=1
	s_or_b64 exec, exec, s[12:13]
	v_lshrrev_b16_e32 v46, 8, v44
	v_cmp_ne_u16_e32 vcc, 0, v46
	v_mov_b32_e32 v58, 0
	v_mov_b32_e32 v57, 0
	s_and_saveexec_b64 s[12:13], vcc
	s_cbranch_execz .LBB935_323
; %bb.318:                              ;   in Loop: Header=BB935_215 Depth=1
	v_cmp_ne_u16_e32 vcc, s9, v46
	v_mov_b32_e32 v57, 0xffff8000
	s_and_saveexec_b64 s[14:15], vcc
	s_cbranch_execz .LBB935_322
; %bb.319:                              ;   in Loop: Header=BB935_215 Depth=1
	v_and_b32_e32 v59, 0x7f, v46
	v_cmp_ne_u32_e32 vcc, s21, v59
	v_mov_b32_e32 v57, 0x7f80
	s_and_saveexec_b64 s[16:17], vcc
	s_cbranch_execz .LBB935_321
; %bb.320:                              ;   in Loop: Header=BB935_215 Depth=1
	v_and_b32_e32 v57, 7, v46
	v_ffbh_u32_e32 v60, v57
	v_min_u32_e32 v63, 32, v60
	v_subrev_u32_e32 v60, 28, v63
	v_lshlrev_b64 v[60:61], v60, v[46:47]
	v_lshrrev_b32_e32 v62, 3, v59
	v_sub_u32_e32 v46, 29, v63
	v_and_b32_e32 v60, 7, v60
	v_cmp_gt_u32_e32 vcc, 8, v59
	v_cndmask_b32_e32 v46, v62, v46, vcc
	v_cndmask_b32_e32 v57, v57, v60, vcc
	v_lshlrev_b32_e32 v59, 16, v44
	v_lshlrev_b32_e32 v57, 20, v57
	v_and_b32_e32 v59, 0x80000000, v59
	v_lshl_add_u32 v46, v46, 23, v55
	v_or3_b32 v46, v59, v46, v57
	v_lshrrev_b32_e32 v57, 16, v46
.LBB935_321:                            ;   in Loop: Header=BB935_215 Depth=1
	s_or_b64 exec, exec, s[16:17]
.LBB935_322:                            ;   in Loop: Header=BB935_215 Depth=1
	s_or_b64 exec, exec, s[14:15]
.LBB935_323:                            ;   in Loop: Header=BB935_215 Depth=1
	s_or_b64 exec, exec, s[12:13]
	v_lshrrev_b32_e32 v46, 16, v44
	v_cmp_ne_u16_sdwa s[14:15], v46, v54 src0_sel:BYTE_0 src1_sel:DWORD
	s_and_saveexec_b64 s[12:13], s[14:15]
	s_cbranch_execz .LBB935_329
; %bb.324:                              ;   in Loop: Header=BB935_215 Depth=1
	v_cmp_ne_u16_sdwa s[16:17], v46, s9 src0_sel:BYTE_0 src1_sel:DWORD
	v_mov_b32_e32 v58, 0xffff8000
	s_and_saveexec_b64 s[14:15], s[16:17]
	s_cbranch_execz .LBB935_328
; %bb.325:                              ;   in Loop: Header=BB935_215 Depth=1
	v_bfe_u32 v59, v44, 16, 7
	v_cmp_ne_u32_e32 vcc, s21, v59
	v_mov_b32_e32 v58, 0x7f80
	s_and_saveexec_b64 s[16:17], vcc
	s_cbranch_execz .LBB935_327
; %bb.326:                              ;   in Loop: Header=BB935_215 Depth=1
	v_and_b32_e32 v58, 7, v46
	v_ffbh_u32_e32 v60, v58
	v_min_u32_e32 v63, 32, v60
	v_subrev_u32_e32 v60, 28, v63
	v_lshlrev_b64 v[60:61], v60, v[46:47]
	v_lshrrev_b32_e32 v62, 3, v59
	v_sub_u32_e32 v61, 29, v63
	v_and_b32_e32 v60, 7, v60
	v_cmp_gt_u32_e32 vcc, 8, v59
	v_cndmask_b32_e32 v59, v62, v61, vcc
	v_cndmask_b32_e32 v58, v58, v60, vcc
	v_lshlrev_b32_e32 v46, 24, v46
	v_lshlrev_b32_e32 v58, 20, v58
	v_and_b32_e32 v46, 0x80000000, v46
	v_lshl_add_u32 v59, v59, 23, v55
	v_or3_b32 v46, v46, v59, v58
	v_lshrrev_b32_e32 v58, 16, v46
.LBB935_327:                            ;   in Loop: Header=BB935_215 Depth=1
	s_or_b64 exec, exec, s[16:17]
.LBB935_328:                            ;   in Loop: Header=BB935_215 Depth=1
	s_or_b64 exec, exec, s[14:15]
.LBB935_329:                            ;   in Loop: Header=BB935_215 Depth=1
	s_or_b64 exec, exec, s[12:13]
	v_cmp_lt_u32_e32 vcc, s22, v44
	v_mov_b32_e32 v59, 0
	v_mov_b32_e32 v60, 0
	s_and_saveexec_b64 s[12:13], vcc
	s_cbranch_execz .LBB935_335
; %bb.330:                              ;   in Loop: Header=BB935_215 Depth=1
	v_lshrrev_b32_e32 v46, 24, v44
	v_cmp_ne_u32_e32 vcc, s9, v46
	v_mov_b32_e32 v60, 0xffff8000
	s_and_saveexec_b64 s[14:15], vcc
	s_cbranch_execz .LBB935_334
; %bb.331:                              ;   in Loop: Header=BB935_215 Depth=1
	v_bfe_u32 v44, v44, 24, 7
	v_cmp_ne_u32_e32 vcc, s21, v44
	v_mov_b32_e32 v60, 0x7f80
	s_and_saveexec_b64 s[16:17], vcc
	s_cbranch_execz .LBB935_333
; %bb.332:                              ;   in Loop: Header=BB935_215 Depth=1
	v_and_b32_e32 v62, 7, v46
	v_ffbh_u32_e32 v60, v62
	v_min_u32_e32 v64, 32, v60
	v_subrev_u32_e32 v60, 28, v64
	v_lshlrev_b64 v[60:61], v60, v[46:47]
	v_lshrrev_b32_e32 v63, 3, v44
	v_sub_u32_e32 v61, 29, v64
	v_and_b32_e32 v60, 7, v60
	v_cmp_gt_u32_e32 vcc, 8, v44
	v_cndmask_b32_e32 v44, v63, v61, vcc
	v_cndmask_b32_e32 v60, v62, v60, vcc
	v_lshlrev_b32_e32 v46, 24, v46
	v_lshlrev_b32_e32 v60, 20, v60
	v_and_b32_e32 v46, 0x80000000, v46
	v_lshl_add_u32 v44, v44, 23, v55
	v_or3_b32 v44, v46, v44, v60
	v_lshrrev_b32_e32 v60, 16, v44
.LBB935_333:                            ;   in Loop: Header=BB935_215 Depth=1
	s_or_b64 exec, exec, s[16:17]
.LBB935_334:                            ;   in Loop: Header=BB935_215 Depth=1
	s_or_b64 exec, exec, s[14:15]
.LBB935_335:                            ;   in Loop: Header=BB935_215 Depth=1
	s_or_b64 exec, exec, s[12:13]
	s_waitcnt vmcnt(2)
	v_cmp_ne_u16_sdwa s[14:15], v42, v54 src0_sel:BYTE_0 src1_sel:DWORD
	s_and_saveexec_b64 s[12:13], s[14:15]
	s_cbranch_execz .LBB935_341
; %bb.336:                              ;   in Loop: Header=BB935_215 Depth=1
	v_cmp_ne_u16_sdwa s[16:17], v42, s9 src0_sel:BYTE_0 src1_sel:DWORD
	v_mov_b32_e32 v59, 0xffff8000
	s_and_saveexec_b64 s[14:15], s[16:17]
	s_cbranch_execz .LBB935_340
; %bb.337:                              ;   in Loop: Header=BB935_215 Depth=1
	v_and_b32_e32 v44, 0x7f, v42
	v_cmp_ne_u32_e32 vcc, s21, v44
	v_mov_b32_e32 v59, 0x7f80
	s_and_saveexec_b64 s[16:17], vcc
	s_cbranch_execz .LBB935_339
; %bb.338:                              ;   in Loop: Header=BB935_215 Depth=1
	v_and_b32_e32 v46, 7, v42
	v_ffbh_u32_e32 v61, v46
	v_min_u32_e32 v61, 32, v61
	v_subrev_u32_e32 v62, 28, v61
	v_lshlrev_b64 v[62:63], v62, v[42:43]
	v_lshrrev_b32_e32 v59, 3, v44
	v_sub_u32_e32 v61, 29, v61
	v_and_b32_e32 v62, 7, v62
	v_cmp_gt_u32_e32 vcc, 8, v44
	v_cndmask_b32_e32 v44, v59, v61, vcc
	v_cndmask_b32_e32 v46, v46, v62, vcc
	v_lshlrev_b32_e32 v59, 24, v42
	v_lshlrev_b32_e32 v46, 20, v46
	v_and_b32_e32 v59, 0x80000000, v59
	v_lshl_add_u32 v44, v44, 23, v55
	v_or3_b32 v44, v59, v44, v46
	v_lshrrev_b32_e32 v59, 16, v44
.LBB935_339:                            ;   in Loop: Header=BB935_215 Depth=1
	s_or_b64 exec, exec, s[16:17]
.LBB935_340:                            ;   in Loop: Header=BB935_215 Depth=1
	s_or_b64 exec, exec, s[14:15]
.LBB935_341:                            ;   in Loop: Header=BB935_215 Depth=1
	s_or_b64 exec, exec, s[12:13]
	v_lshrrev_b16_e32 v44, 8, v42
	v_cmp_ne_u16_e32 vcc, 0, v44
	v_mov_b32_e32 v62, 0
	v_mov_b32_e32 v61, 0
	s_and_saveexec_b64 s[12:13], vcc
	s_cbranch_execz .LBB935_347
; %bb.342:                              ;   in Loop: Header=BB935_215 Depth=1
	v_cmp_ne_u16_e32 vcc, s9, v44
	v_mov_b32_e32 v61, 0xffff8000
	s_and_saveexec_b64 s[14:15], vcc
	s_cbranch_execz .LBB935_346
; %bb.343:                              ;   in Loop: Header=BB935_215 Depth=1
	v_and_b32_e32 v46, 0x7f, v44
	v_cmp_ne_u32_e32 vcc, s21, v46
	v_mov_b32_e32 v61, 0x7f80
	s_and_saveexec_b64 s[16:17], vcc
	s_cbranch_execz .LBB935_345
; %bb.344:                              ;   in Loop: Header=BB935_215 Depth=1
	v_and_b32_e32 v61, 7, v44
	v_ffbh_u32_e32 v64, v61
	v_min_u32_e32 v66, 32, v64
	v_subrev_u32_e32 v64, 28, v66
	v_lshlrev_b64 v[64:65], v64, v[44:45]
	v_lshrrev_b32_e32 v63, 3, v46
	v_sub_u32_e32 v44, 29, v66
	v_and_b32_e32 v64, 7, v64
	v_cmp_gt_u32_e32 vcc, 8, v46
	v_cndmask_b32_e32 v44, v63, v44, vcc
	v_cndmask_b32_e32 v46, v61, v64, vcc
	v_lshlrev_b32_e32 v61, 16, v42
	v_lshlrev_b32_e32 v46, 20, v46
	v_and_b32_e32 v61, 0x80000000, v61
	v_lshl_add_u32 v44, v44, 23, v55
	v_or3_b32 v44, v61, v44, v46
	v_lshrrev_b32_e32 v61, 16, v44
.LBB935_345:                            ;   in Loop: Header=BB935_215 Depth=1
	s_or_b64 exec, exec, s[16:17]
.LBB935_346:                            ;   in Loop: Header=BB935_215 Depth=1
	s_or_b64 exec, exec, s[14:15]
.LBB935_347:                            ;   in Loop: Header=BB935_215 Depth=1
	s_or_b64 exec, exec, s[12:13]
	v_lshrrev_b32_e32 v44, 16, v42
	v_cmp_ne_u16_sdwa s[14:15], v44, v54 src0_sel:BYTE_0 src1_sel:DWORD
	s_and_saveexec_b64 s[12:13], s[14:15]
	s_cbranch_execz .LBB935_353
; %bb.348:                              ;   in Loop: Header=BB935_215 Depth=1
	v_cmp_ne_u16_sdwa s[16:17], v44, s9 src0_sel:BYTE_0 src1_sel:DWORD
	v_mov_b32_e32 v62, 0xffff8000
	s_and_saveexec_b64 s[14:15], s[16:17]
	s_cbranch_execz .LBB935_352
; %bb.349:                              ;   in Loop: Header=BB935_215 Depth=1
	v_bfe_u32 v46, v42, 16, 7
	v_cmp_ne_u32_e32 vcc, s21, v46
	v_mov_b32_e32 v62, 0x7f80
	s_and_saveexec_b64 s[16:17], vcc
	s_cbranch_execz .LBB935_351
; %bb.350:                              ;   in Loop: Header=BB935_215 Depth=1
	v_and_b32_e32 v64, 7, v44
	v_ffbh_u32_e32 v62, v64
	v_min_u32_e32 v66, 32, v62
	v_subrev_u32_e32 v62, 28, v66
	v_lshlrev_b64 v[62:63], v62, v[44:45]
	v_lshrrev_b32_e32 v65, 3, v46
	v_sub_u32_e32 v63, 29, v66
	v_and_b32_e32 v62, 7, v62
	v_cmp_gt_u32_e32 vcc, 8, v46
	v_cndmask_b32_e32 v46, v65, v63, vcc
	v_cndmask_b32_e32 v62, v64, v62, vcc
	v_lshlrev_b32_e32 v44, 24, v44
	v_lshlrev_b32_e32 v62, 20, v62
	v_and_b32_e32 v44, 0x80000000, v44
	v_lshl_add_u32 v46, v46, 23, v55
	v_or3_b32 v44, v44, v46, v62
	v_lshrrev_b32_e32 v62, 16, v44
.LBB935_351:                            ;   in Loop: Header=BB935_215 Depth=1
	s_or_b64 exec, exec, s[16:17]
.LBB935_352:                            ;   in Loop: Header=BB935_215 Depth=1
	s_or_b64 exec, exec, s[14:15]
.LBB935_353:                            ;   in Loop: Header=BB935_215 Depth=1
	s_or_b64 exec, exec, s[12:13]
	v_cmp_lt_u32_e32 vcc, s22, v42
	v_mov_b32_e32 v46, 0
	v_mov_b32_e32 v63, 0
	s_and_saveexec_b64 s[12:13], vcc
	s_cbranch_execz .LBB935_359
; %bb.354:                              ;   in Loop: Header=BB935_215 Depth=1
	v_lshrrev_b32_e32 v44, 24, v42
	v_cmp_ne_u32_e32 vcc, s9, v44
	v_mov_b32_e32 v63, 0xffff8000
	s_and_saveexec_b64 s[14:15], vcc
	s_cbranch_execz .LBB935_358
; %bb.355:                              ;   in Loop: Header=BB935_215 Depth=1
	v_bfe_u32 v42, v42, 24, 7
	v_cmp_ne_u32_e32 vcc, s21, v42
	v_mov_b32_e32 v63, 0x7f80
	s_and_saveexec_b64 s[16:17], vcc
	s_cbranch_execz .LBB935_357
; %bb.356:                              ;   in Loop: Header=BB935_215 Depth=1
	v_and_b32_e32 v63, 7, v44
	v_ffbh_u32_e32 v64, v63
	v_min_u32_e32 v67, 32, v64
	v_subrev_u32_e32 v64, 28, v67
	v_lshlrev_b64 v[64:65], v64, v[44:45]
	v_lshrrev_b32_e32 v66, 3, v42
	v_sub_u32_e32 v65, 29, v67
	v_and_b32_e32 v64, 7, v64
	v_cmp_gt_u32_e32 vcc, 8, v42
	v_cndmask_b32_e32 v42, v66, v65, vcc
	v_cndmask_b32_e32 v63, v63, v64, vcc
	v_lshlrev_b32_e32 v44, 24, v44
	v_lshlrev_b32_e32 v63, 20, v63
	v_and_b32_e32 v44, 0x80000000, v44
	v_lshl_add_u32 v42, v42, 23, v55
	v_or3_b32 v42, v44, v42, v63
	v_lshrrev_b32_e32 v63, 16, v42
.LBB935_357:                            ;   in Loop: Header=BB935_215 Depth=1
	s_or_b64 exec, exec, s[16:17]
.LBB935_358:                            ;   in Loop: Header=BB935_215 Depth=1
	s_or_b64 exec, exec, s[14:15]
.LBB935_359:                            ;   in Loop: Header=BB935_215 Depth=1
	s_or_b64 exec, exec, s[12:13]
	v_perm_b32 v65, v60, v58, s23
	v_perm_b32 v64, v57, v56, s23
	;; [unrolled: 1-line block ×4, first 2 shown]
	s_waitcnt vmcnt(1)
	v_cmp_ne_u16_sdwa s[14:15], v40, v54 src0_sel:BYTE_0 src1_sel:DWORD
	v_mfma_f32_16x16x16bf16_1k v[34:37], v[64:65], v[10:11], v[34:37]
	v_mfma_f32_16x16x16bf16_1k v[34:37], v[56:57], v[12:13], v[34:37]
	s_and_saveexec_b64 s[12:13], s[14:15]
	s_cbranch_execz .LBB935_365
; %bb.360:                              ;   in Loop: Header=BB935_215 Depth=1
	v_cmp_ne_u16_sdwa s[16:17], v40, s9 src0_sel:BYTE_0 src1_sel:DWORD
	v_mov_b32_e32 v46, 0xffff8000
	s_and_saveexec_b64 s[14:15], s[16:17]
	s_cbranch_execz .LBB935_364
; %bb.361:                              ;   in Loop: Header=BB935_215 Depth=1
	v_and_b32_e32 v42, 0x7f, v40
	v_cmp_ne_u32_e32 vcc, s21, v42
	v_mov_b32_e32 v46, 0x7f80
	s_and_saveexec_b64 s[16:17], vcc
	s_cbranch_execz .LBB935_363
; %bb.362:                              ;   in Loop: Header=BB935_215 Depth=1
	v_and_b32_e32 v44, 7, v40
	v_ffbh_u32_e32 v56, v44
	v_min_u32_e32 v58, 32, v56
	v_subrev_u32_e32 v56, 28, v58
	v_lshlrev_b64 v[56:57], v56, v[40:41]
	v_lshrrev_b32_e32 v46, 3, v42
	v_sub_u32_e32 v57, 29, v58
	v_and_b32_e32 v56, 7, v56
	v_cmp_gt_u32_e32 vcc, 8, v42
	v_cndmask_b32_e32 v42, v46, v57, vcc
	v_cndmask_b32_e32 v44, v44, v56, vcc
	v_lshlrev_b32_e32 v46, 24, v40
	v_lshlrev_b32_e32 v44, 20, v44
	v_and_b32_e32 v46, 0x80000000, v46
	v_lshl_add_u32 v42, v42, 23, v55
	v_or3_b32 v42, v46, v42, v44
	v_lshrrev_b32_e32 v46, 16, v42
.LBB935_363:                            ;   in Loop: Header=BB935_215 Depth=1
	s_or_b64 exec, exec, s[16:17]
.LBB935_364:                            ;   in Loop: Header=BB935_215 Depth=1
	s_or_b64 exec, exec, s[14:15]
.LBB935_365:                            ;   in Loop: Header=BB935_215 Depth=1
	s_or_b64 exec, exec, s[12:13]
	v_lshrrev_b16_e32 v42, 8, v40
	v_cmp_ne_u16_e32 vcc, 0, v42
	v_mov_b32_e32 v57, 0
	v_mov_b32_e32 v44, 0
	s_and_saveexec_b64 s[12:13], vcc
	s_cbranch_execz .LBB935_371
; %bb.366:                              ;   in Loop: Header=BB935_215 Depth=1
	v_cmp_ne_u16_e32 vcc, s9, v42
	v_mov_b32_e32 v44, 0xffff8000
	s_and_saveexec_b64 s[14:15], vcc
	s_cbranch_execz .LBB935_370
; %bb.367:                              ;   in Loop: Header=BB935_215 Depth=1
	v_and_b32_e32 v56, 0x7f, v42
	v_cmp_ne_u32_e32 vcc, s21, v56
	v_mov_b32_e32 v44, 0x7f80
	s_and_saveexec_b64 s[16:17], vcc
	s_cbranch_execz .LBB935_369
; %bb.368:                              ;   in Loop: Header=BB935_215 Depth=1
	v_and_b32_e32 v44, 7, v42
	v_ffbh_u32_e32 v58, v44
	v_min_u32_e32 v61, 32, v58
	v_subrev_u32_e32 v58, 28, v61
	v_lshlrev_b64 v[58:59], v58, v[42:43]
	v_lshrrev_b32_e32 v60, 3, v56
	v_sub_u32_e32 v42, 29, v61
	v_and_b32_e32 v58, 7, v58
	v_cmp_gt_u32_e32 vcc, 8, v56
	v_cndmask_b32_e32 v42, v60, v42, vcc
	v_cndmask_b32_e32 v44, v44, v58, vcc
	v_lshlrev_b32_e32 v56, 16, v40
	v_lshlrev_b32_e32 v44, 20, v44
	v_and_b32_e32 v56, 0x80000000, v56
	v_lshl_add_u32 v42, v42, 23, v55
	v_or3_b32 v42, v56, v42, v44
	v_lshrrev_b32_e32 v44, 16, v42
.LBB935_369:                            ;   in Loop: Header=BB935_215 Depth=1
	s_or_b64 exec, exec, s[16:17]
.LBB935_370:                            ;   in Loop: Header=BB935_215 Depth=1
	s_or_b64 exec, exec, s[14:15]
.LBB935_371:                            ;   in Loop: Header=BB935_215 Depth=1
	s_or_b64 exec, exec, s[12:13]
	v_lshrrev_b32_e32 v42, 16, v40
	v_cmp_ne_u16_sdwa s[14:15], v42, v54 src0_sel:BYTE_0 src1_sel:DWORD
	s_and_saveexec_b64 s[12:13], s[14:15]
	s_cbranch_execz .LBB935_377
; %bb.372:                              ;   in Loop: Header=BB935_215 Depth=1
	v_cmp_ne_u16_sdwa s[16:17], v42, s9 src0_sel:BYTE_0 src1_sel:DWORD
	v_mov_b32_e32 v57, 0xffff8000
	s_and_saveexec_b64 s[14:15], s[16:17]
	s_cbranch_execz .LBB935_376
; %bb.373:                              ;   in Loop: Header=BB935_215 Depth=1
	v_bfe_u32 v56, v40, 16, 7
	v_cmp_ne_u32_e32 vcc, s21, v56
	v_mov_b32_e32 v57, 0x7f80
	s_and_saveexec_b64 s[16:17], vcc
	s_cbranch_execz .LBB935_375
; %bb.374:                              ;   in Loop: Header=BB935_215 Depth=1
	v_and_b32_e32 v57, 7, v42
	v_ffbh_u32_e32 v58, v57
	v_min_u32_e32 v61, 32, v58
	v_subrev_u32_e32 v58, 28, v61
	v_lshlrev_b64 v[58:59], v58, v[42:43]
	v_lshrrev_b32_e32 v60, 3, v56
	v_sub_u32_e32 v59, 29, v61
	v_and_b32_e32 v58, 7, v58
	v_cmp_gt_u32_e32 vcc, 8, v56
	v_cndmask_b32_e32 v56, v60, v59, vcc
	v_cndmask_b32_e32 v57, v57, v58, vcc
	v_lshlrev_b32_e32 v42, 24, v42
	v_lshlrev_b32_e32 v57, 20, v57
	v_and_b32_e32 v42, 0x80000000, v42
	v_lshl_add_u32 v56, v56, 23, v55
	v_or3_b32 v42, v42, v56, v57
	v_lshrrev_b32_e32 v57, 16, v42
.LBB935_375:                            ;   in Loop: Header=BB935_215 Depth=1
	s_or_b64 exec, exec, s[16:17]
.LBB935_376:                            ;   in Loop: Header=BB935_215 Depth=1
	s_or_b64 exec, exec, s[14:15]
.LBB935_377:                            ;   in Loop: Header=BB935_215 Depth=1
	s_or_b64 exec, exec, s[12:13]
	v_cmp_lt_u32_e32 vcc, s22, v40
	v_mov_b32_e32 v58, 0
	v_mov_b32_e32 v59, 0
	s_and_saveexec_b64 s[12:13], vcc
	s_cbranch_execz .LBB935_383
; %bb.378:                              ;   in Loop: Header=BB935_215 Depth=1
	v_lshrrev_b32_e32 v42, 24, v40
	v_cmp_ne_u32_e32 vcc, s9, v42
	v_mov_b32_e32 v59, 0xffff8000
	s_and_saveexec_b64 s[14:15], vcc
	s_cbranch_execz .LBB935_382
; %bb.379:                              ;   in Loop: Header=BB935_215 Depth=1
	v_bfe_u32 v40, v40, 24, 7
	v_cmp_ne_u32_e32 vcc, s21, v40
	v_mov_b32_e32 v59, 0x7f80
	s_and_saveexec_b64 s[16:17], vcc
	s_cbranch_execz .LBB935_381
; %bb.380:                              ;   in Loop: Header=BB935_215 Depth=1
	v_and_b32_e32 v56, 7, v42
	v_ffbh_u32_e32 v60, v56
	v_min_u32_e32 v62, 32, v60
	v_subrev_u32_e32 v60, 28, v62
	v_lshlrev_b64 v[60:61], v60, v[42:43]
	v_lshrrev_b32_e32 v59, 3, v40
	v_sub_u32_e32 v61, 29, v62
	v_and_b32_e32 v60, 7, v60
	v_cmp_gt_u32_e32 vcc, 8, v40
	v_cndmask_b32_e32 v40, v59, v61, vcc
	v_cndmask_b32_e32 v56, v56, v60, vcc
	v_lshlrev_b32_e32 v42, 24, v42
	v_lshlrev_b32_e32 v56, 20, v56
	v_and_b32_e32 v42, 0x80000000, v42
	v_lshl_add_u32 v40, v40, 23, v55
	v_or3_b32 v40, v42, v40, v56
	v_lshrrev_b32_e32 v59, 16, v40
.LBB935_381:                            ;   in Loop: Header=BB935_215 Depth=1
	s_or_b64 exec, exec, s[16:17]
.LBB935_382:                            ;   in Loop: Header=BB935_215 Depth=1
	s_or_b64 exec, exec, s[14:15]
.LBB935_383:                            ;   in Loop: Header=BB935_215 Depth=1
	s_or_b64 exec, exec, s[12:13]
	s_waitcnt vmcnt(0)
	v_cmp_ne_u16_sdwa s[14:15], v38, v54 src0_sel:BYTE_0 src1_sel:DWORD
	s_and_saveexec_b64 s[12:13], s[14:15]
	s_cbranch_execz .LBB935_389
; %bb.384:                              ;   in Loop: Header=BB935_215 Depth=1
	v_cmp_ne_u16_sdwa s[16:17], v38, s9 src0_sel:BYTE_0 src1_sel:DWORD
	v_mov_b32_e32 v58, 0xffff8000
	s_and_saveexec_b64 s[14:15], s[16:17]
	s_cbranch_execz .LBB935_388
; %bb.385:                              ;   in Loop: Header=BB935_215 Depth=1
	v_and_b32_e32 v40, 0x7f, v38
	v_cmp_ne_u32_e32 vcc, s21, v40
	v_mov_b32_e32 v58, 0x7f80
	s_and_saveexec_b64 s[16:17], vcc
	s_cbranch_execz .LBB935_387
; %bb.386:                              ;   in Loop: Header=BB935_215 Depth=1
	v_and_b32_e32 v42, 7, v38
	v_ffbh_u32_e32 v58, v42
	v_min_u32_e32 v58, 32, v58
	v_subrev_u32_e32 v60, 28, v58
	v_lshlrev_b64 v[60:61], v60, v[38:39]
	v_lshrrev_b32_e32 v56, 3, v40
	v_sub_u32_e32 v58, 29, v58
	v_and_b32_e32 v60, 7, v60
	v_cmp_gt_u32_e32 vcc, 8, v40
	v_cndmask_b32_e32 v40, v56, v58, vcc
	v_cndmask_b32_e32 v42, v42, v60, vcc
	v_lshlrev_b32_e32 v56, 24, v38
	v_lshlrev_b32_e32 v42, 20, v42
	v_and_b32_e32 v56, 0x80000000, v56
	v_lshl_add_u32 v40, v40, 23, v55
	v_or3_b32 v40, v56, v40, v42
	v_lshrrev_b32_e32 v58, 16, v40
.LBB935_387:                            ;   in Loop: Header=BB935_215 Depth=1
	s_or_b64 exec, exec, s[16:17]
.LBB935_388:                            ;   in Loop: Header=BB935_215 Depth=1
	s_or_b64 exec, exec, s[14:15]
.LBB935_389:                            ;   in Loop: Header=BB935_215 Depth=1
	s_or_b64 exec, exec, s[12:13]
	v_lshrrev_b16_e32 v40, 8, v38
	v_cmp_ne_u16_e32 vcc, 0, v40
	v_mov_b32_e32 v61, 0
	v_mov_b32_e32 v60, 0
	s_and_saveexec_b64 s[12:13], vcc
	s_cbranch_execz .LBB935_395
; %bb.390:                              ;   in Loop: Header=BB935_215 Depth=1
	v_cmp_ne_u16_e32 vcc, s9, v40
	v_mov_b32_e32 v60, 0xffff8000
	s_and_saveexec_b64 s[14:15], vcc
	s_cbranch_execz .LBB935_394
; %bb.391:                              ;   in Loop: Header=BB935_215 Depth=1
	v_and_b32_e32 v42, 0x7f, v40
	v_cmp_ne_u32_e32 vcc, s21, v42
	v_mov_b32_e32 v60, 0x7f80
	s_and_saveexec_b64 s[16:17], vcc
	s_cbranch_execz .LBB935_393
; %bb.392:                              ;   in Loop: Header=BB935_215 Depth=1
	v_and_b32_e32 v56, 7, v40
	v_ffbh_u32_e32 v62, v56
	v_min_u32_e32 v64, 32, v62
	v_subrev_u32_e32 v62, 28, v64
	v_lshlrev_b64 v[62:63], v62, v[40:41]
	v_lshrrev_b32_e32 v60, 3, v42
	v_sub_u32_e32 v40, 29, v64
	v_and_b32_e32 v62, 7, v62
	v_cmp_gt_u32_e32 vcc, 8, v42
	v_cndmask_b32_e32 v40, v60, v40, vcc
	v_cndmask_b32_e32 v42, v56, v62, vcc
	v_lshlrev_b32_e32 v56, 16, v38
	v_lshlrev_b32_e32 v42, 20, v42
	v_and_b32_e32 v56, 0x80000000, v56
	v_lshl_add_u32 v40, v40, 23, v55
	v_or3_b32 v40, v56, v40, v42
	v_lshrrev_b32_e32 v60, 16, v40
.LBB935_393:                            ;   in Loop: Header=BB935_215 Depth=1
	s_or_b64 exec, exec, s[16:17]
.LBB935_394:                            ;   in Loop: Header=BB935_215 Depth=1
	s_or_b64 exec, exec, s[14:15]
.LBB935_395:                            ;   in Loop: Header=BB935_215 Depth=1
	s_or_b64 exec, exec, s[12:13]
	v_lshrrev_b32_e32 v40, 16, v38
	v_cmp_ne_u16_sdwa s[14:15], v40, v54 src0_sel:BYTE_0 src1_sel:DWORD
	s_and_saveexec_b64 s[12:13], s[14:15]
	s_cbranch_execz .LBB935_401
; %bb.396:                              ;   in Loop: Header=BB935_215 Depth=1
	v_cmp_ne_u16_sdwa s[16:17], v40, s9 src0_sel:BYTE_0 src1_sel:DWORD
	v_mov_b32_e32 v61, 0xffff8000
	s_and_saveexec_b64 s[14:15], s[16:17]
	s_cbranch_execz .LBB935_400
; %bb.397:                              ;   in Loop: Header=BB935_215 Depth=1
	v_bfe_u32 v42, v38, 16, 7
	v_cmp_ne_u32_e32 vcc, s21, v42
	v_mov_b32_e32 v61, 0x7f80
	s_and_saveexec_b64 s[16:17], vcc
	s_cbranch_execz .LBB935_399
; %bb.398:                              ;   in Loop: Header=BB935_215 Depth=1
	v_and_b32_e32 v56, 7, v40
	v_ffbh_u32_e32 v62, v56
	v_min_u32_e32 v64, 32, v62
	v_subrev_u32_e32 v62, 28, v64
	v_lshlrev_b64 v[62:63], v62, v[40:41]
	v_lshrrev_b32_e32 v61, 3, v42
	v_sub_u32_e32 v63, 29, v64
	v_and_b32_e32 v62, 7, v62
	v_cmp_gt_u32_e32 vcc, 8, v42
	v_cndmask_b32_e32 v42, v61, v63, vcc
	v_cndmask_b32_e32 v56, v56, v62, vcc
	v_lshlrev_b32_e32 v40, 24, v40
	v_lshlrev_b32_e32 v56, 20, v56
	v_and_b32_e32 v40, 0x80000000, v40
	v_lshl_add_u32 v42, v42, 23, v55
	v_or3_b32 v40, v40, v42, v56
	v_lshrrev_b32_e32 v61, 16, v40
.LBB935_399:                            ;   in Loop: Header=BB935_215 Depth=1
	s_or_b64 exec, exec, s[16:17]
.LBB935_400:                            ;   in Loop: Header=BB935_215 Depth=1
	s_or_b64 exec, exec, s[14:15]
.LBB935_401:                            ;   in Loop: Header=BB935_215 Depth=1
	s_or_b64 exec, exec, s[12:13]
	v_cmp_lt_u32_e32 vcc, s22, v38
	v_mov_b32_e32 v56, 0
	v_mov_b32_e32 v62, 0
	s_and_saveexec_b64 s[12:13], vcc
	s_cbranch_execz .LBB935_407
; %bb.402:                              ;   in Loop: Header=BB935_215 Depth=1
	v_lshrrev_b32_e32 v40, 24, v38
	v_cmp_ne_u32_e32 vcc, s9, v40
	v_mov_b32_e32 v62, 0xffff8000
	s_and_saveexec_b64 s[14:15], vcc
	s_cbranch_execz .LBB935_406
; %bb.403:                              ;   in Loop: Header=BB935_215 Depth=1
	v_bfe_u32 v38, v38, 24, 7
	v_cmp_ne_u32_e32 vcc, s21, v38
	v_mov_b32_e32 v62, 0x7f80
	s_and_saveexec_b64 s[16:17], vcc
	s_cbranch_execz .LBB935_405
; %bb.404:                              ;   in Loop: Header=BB935_215 Depth=1
	v_and_b32_e32 v42, 7, v40
	v_ffbh_u32_e32 v62, v42
	v_min_u32_e32 v65, 32, v62
	v_subrev_u32_e32 v62, 28, v65
	v_lshlrev_b64 v[62:63], v62, v[40:41]
	v_lshrrev_b32_e32 v64, 3, v38
	v_sub_u32_e32 v63, 29, v65
	v_and_b32_e32 v62, 7, v62
	v_cmp_gt_u32_e32 vcc, 8, v38
	v_cndmask_b32_e32 v38, v64, v63, vcc
	v_cndmask_b32_e32 v42, v42, v62, vcc
	v_lshlrev_b32_e32 v40, 24, v40
	v_lshlrev_b32_e32 v42, 20, v42
	v_and_b32_e32 v40, 0x80000000, v40
	v_lshl_add_u32 v38, v38, 23, v55
	v_or3_b32 v38, v40, v38, v42
	v_lshrrev_b32_e32 v62, 16, v38
.LBB935_405:                            ;   in Loop: Header=BB935_215 Depth=1
	s_or_b64 exec, exec, s[16:17]
.LBB935_406:                            ;   in Loop: Header=BB935_215 Depth=1
	s_or_b64 exec, exec, s[14:15]
.LBB935_407:                            ;   in Loop: Header=BB935_215 Depth=1
	s_or_b64 exec, exec, s[12:13]
	v_perm_b32 v64, v44, v46, s23
	buffer_load_dword v44, v51, s[0:3], 0 offen
	buffer_load_dword v42, v51, s[0:3], 0 offen offset:4
	buffer_load_dword v40, v51, s[0:3], 0 offen offset:8
	;; [unrolled: 1-line block ×3, first 2 shown]
	v_perm_b32 v65, v59, v57, s23
	v_perm_b32 v59, v62, v61, s23
	;; [unrolled: 1-line block ×3, first 2 shown]
	v_mfma_f32_16x16x16bf16_1k v[34:37], v[64:65], v[14:15], v[34:37]
	s_waitcnt vmcnt(3)
	v_cmp_ne_u16_sdwa s[14:15], v44, v54 src0_sel:BYTE_0 src1_sel:DWORD
	v_mfma_f32_16x16x16bf16_1k v[34:37], v[58:59], v[16:17], v[34:37]
	s_and_saveexec_b64 s[12:13], s[14:15]
	s_cbranch_execz .LBB935_413
; %bb.408:                              ;   in Loop: Header=BB935_215 Depth=1
	v_cmp_ne_u16_sdwa s[16:17], v44, s9 src0_sel:BYTE_0 src1_sel:DWORD
	v_mov_b32_e32 v56, 0xffff8000
	s_and_saveexec_b64 s[14:15], s[16:17]
	s_cbranch_execz .LBB935_412
; %bb.409:                              ;   in Loop: Header=BB935_215 Depth=1
	v_and_b32_e32 v46, 0x7f, v44
	v_cmp_ne_u32_e32 vcc, s21, v46
	v_mov_b32_e32 v56, 0x7f80
	s_and_saveexec_b64 s[16:17], vcc
	s_cbranch_execz .LBB935_411
; %bb.410:                              ;   in Loop: Header=BB935_215 Depth=1
	v_and_b32_e32 v51, 7, v44
	v_ffbh_u32_e32 v56, v51
	v_min_u32_e32 v59, 32, v56
	v_subrev_u32_e32 v56, 28, v59
	v_lshlrev_b64 v[56:57], v56, v[44:45]
	v_lshrrev_b32_e32 v58, 3, v46
	v_sub_u32_e32 v57, 29, v59
	v_and_b32_e32 v56, 7, v56
	v_cmp_gt_u32_e32 vcc, 8, v46
	v_cndmask_b32_e32 v46, v58, v57, vcc
	v_cndmask_b32_e32 v51, v51, v56, vcc
	v_lshlrev_b32_e32 v56, 24, v44
	v_lshlrev_b32_e32 v51, 20, v51
	v_and_b32_e32 v56, 0x80000000, v56
	v_lshl_add_u32 v46, v46, 23, v55
	v_or3_b32 v46, v56, v46, v51
	v_lshrrev_b32_e32 v56, 16, v46
.LBB935_411:                            ;   in Loop: Header=BB935_215 Depth=1
	s_or_b64 exec, exec, s[16:17]
.LBB935_412:                            ;   in Loop: Header=BB935_215 Depth=1
	s_or_b64 exec, exec, s[14:15]
.LBB935_413:                            ;   in Loop: Header=BB935_215 Depth=1
	s_or_b64 exec, exec, s[12:13]
	v_lshrrev_b16_e32 v46, 8, v44
	v_cmp_ne_u16_e32 vcc, 0, v46
	v_mov_b32_e32 v57, 0
	v_mov_b32_e32 v51, 0
	s_and_saveexec_b64 s[12:13], vcc
	s_cbranch_execz .LBB935_419
; %bb.414:                              ;   in Loop: Header=BB935_215 Depth=1
	v_cmp_ne_u16_e32 vcc, s9, v46
	v_mov_b32_e32 v51, 0xffff8000
	s_and_saveexec_b64 s[14:15], vcc
	s_cbranch_execz .LBB935_418
; %bb.415:                              ;   in Loop: Header=BB935_215 Depth=1
	v_and_b32_e32 v58, 0x7f, v46
	v_cmp_ne_u32_e32 vcc, s21, v58
	v_mov_b32_e32 v51, 0x7f80
	s_and_saveexec_b64 s[16:17], vcc
	s_cbranch_execz .LBB935_417
; %bb.416:                              ;   in Loop: Header=BB935_215 Depth=1
	v_and_b32_e32 v51, 7, v46
	v_ffbh_u32_e32 v60, v51
	v_min_u32_e32 v62, 32, v60
	v_subrev_u32_e32 v60, 28, v62
	v_lshlrev_b64 v[60:61], v60, v[46:47]
	v_lshrrev_b32_e32 v59, 3, v58
	v_sub_u32_e32 v46, 29, v62
	v_and_b32_e32 v60, 7, v60
	v_cmp_gt_u32_e32 vcc, 8, v58
	v_cndmask_b32_e32 v46, v59, v46, vcc
	v_cndmask_b32_e32 v51, v51, v60, vcc
	v_lshlrev_b32_e32 v58, 16, v44
	v_lshlrev_b32_e32 v51, 20, v51
	v_and_b32_e32 v58, 0x80000000, v58
	v_lshl_add_u32 v46, v46, 23, v55
	v_or3_b32 v46, v58, v46, v51
	v_lshrrev_b32_e32 v51, 16, v46
.LBB935_417:                            ;   in Loop: Header=BB935_215 Depth=1
	s_or_b64 exec, exec, s[16:17]
.LBB935_418:                            ;   in Loop: Header=BB935_215 Depth=1
	s_or_b64 exec, exec, s[14:15]
.LBB935_419:                            ;   in Loop: Header=BB935_215 Depth=1
	s_or_b64 exec, exec, s[12:13]
	v_lshrrev_b32_e32 v46, 16, v44
	v_cmp_ne_u16_sdwa s[14:15], v46, v54 src0_sel:BYTE_0 src1_sel:DWORD
	s_and_saveexec_b64 s[12:13], s[14:15]
	s_cbranch_execz .LBB935_425
; %bb.420:                              ;   in Loop: Header=BB935_215 Depth=1
	v_cmp_ne_u16_sdwa s[16:17], v46, s9 src0_sel:BYTE_0 src1_sel:DWORD
	v_mov_b32_e32 v57, 0xffff8000
	s_and_saveexec_b64 s[14:15], s[16:17]
	s_cbranch_execz .LBB935_424
; %bb.421:                              ;   in Loop: Header=BB935_215 Depth=1
	v_bfe_u32 v58, v44, 16, 7
	v_cmp_ne_u32_e32 vcc, s21, v58
	v_mov_b32_e32 v57, 0x7f80
	s_and_saveexec_b64 s[16:17], vcc
	s_cbranch_execz .LBB935_423
; %bb.422:                              ;   in Loop: Header=BB935_215 Depth=1
	v_and_b32_e32 v57, 7, v46
	v_ffbh_u32_e32 v60, v57
	v_min_u32_e32 v62, 32, v60
	v_subrev_u32_e32 v60, 28, v62
	v_lshlrev_b64 v[60:61], v60, v[46:47]
	v_lshrrev_b32_e32 v59, 3, v58
	v_sub_u32_e32 v61, 29, v62
	v_and_b32_e32 v60, 7, v60
	v_cmp_gt_u32_e32 vcc, 8, v58
	v_cndmask_b32_e32 v58, v59, v61, vcc
	v_cndmask_b32_e32 v57, v57, v60, vcc
	v_lshlrev_b32_e32 v46, 24, v46
	v_lshlrev_b32_e32 v57, 20, v57
	v_and_b32_e32 v46, 0x80000000, v46
	v_lshl_add_u32 v58, v58, 23, v55
	v_or3_b32 v46, v46, v58, v57
	v_lshrrev_b32_e32 v57, 16, v46
.LBB935_423:                            ;   in Loop: Header=BB935_215 Depth=1
	s_or_b64 exec, exec, s[16:17]
.LBB935_424:                            ;   in Loop: Header=BB935_215 Depth=1
	s_or_b64 exec, exec, s[14:15]
.LBB935_425:                            ;   in Loop: Header=BB935_215 Depth=1
	s_or_b64 exec, exec, s[12:13]
	v_cmp_lt_u32_e32 vcc, s22, v44
	v_mov_b32_e32 v58, 0
	v_mov_b32_e32 v59, 0
	s_and_saveexec_b64 s[12:13], vcc
	s_cbranch_execz .LBB935_431
; %bb.426:                              ;   in Loop: Header=BB935_215 Depth=1
	v_lshrrev_b32_e32 v46, 24, v44
	v_cmp_ne_u32_e32 vcc, s9, v46
	v_mov_b32_e32 v59, 0xffff8000
	s_and_saveexec_b64 s[14:15], vcc
	s_cbranch_execz .LBB935_430
; %bb.427:                              ;   in Loop: Header=BB935_215 Depth=1
	v_bfe_u32 v44, v44, 24, 7
	v_cmp_ne_u32_e32 vcc, s21, v44
	v_mov_b32_e32 v59, 0x7f80
	s_and_saveexec_b64 s[16:17], vcc
	s_cbranch_execz .LBB935_429
; %bb.428:                              ;   in Loop: Header=BB935_215 Depth=1
	v_and_b32_e32 v59, 7, v46
	v_ffbh_u32_e32 v60, v59
	v_min_u32_e32 v63, 32, v60
	v_subrev_u32_e32 v60, 28, v63
	v_lshlrev_b64 v[60:61], v60, v[46:47]
	v_lshrrev_b32_e32 v62, 3, v44
	v_sub_u32_e32 v61, 29, v63
	v_and_b32_e32 v60, 7, v60
	v_cmp_gt_u32_e32 vcc, 8, v44
	v_cndmask_b32_e32 v44, v62, v61, vcc
	v_cndmask_b32_e32 v59, v59, v60, vcc
	v_lshlrev_b32_e32 v46, 24, v46
	v_lshlrev_b32_e32 v59, 20, v59
	v_and_b32_e32 v46, 0x80000000, v46
	v_lshl_add_u32 v44, v44, 23, v55
	v_or3_b32 v44, v46, v44, v59
	v_lshrrev_b32_e32 v59, 16, v44
.LBB935_429:                            ;   in Loop: Header=BB935_215 Depth=1
	s_or_b64 exec, exec, s[16:17]
.LBB935_430:                            ;   in Loop: Header=BB935_215 Depth=1
	s_or_b64 exec, exec, s[14:15]
.LBB935_431:                            ;   in Loop: Header=BB935_215 Depth=1
	s_or_b64 exec, exec, s[12:13]
	s_waitcnt vmcnt(2)
	v_cmp_ne_u16_sdwa s[14:15], v42, v54 src0_sel:BYTE_0 src1_sel:DWORD
	s_and_saveexec_b64 s[12:13], s[14:15]
	s_cbranch_execz .LBB935_437
; %bb.432:                              ;   in Loop: Header=BB935_215 Depth=1
	v_cmp_ne_u16_sdwa s[16:17], v42, s9 src0_sel:BYTE_0 src1_sel:DWORD
	v_mov_b32_e32 v58, 0xffff8000
	s_and_saveexec_b64 s[14:15], s[16:17]
	s_cbranch_execz .LBB935_436
; %bb.433:                              ;   in Loop: Header=BB935_215 Depth=1
	v_and_b32_e32 v44, 0x7f, v42
	v_cmp_ne_u32_e32 vcc, s21, v44
	v_mov_b32_e32 v58, 0x7f80
	s_and_saveexec_b64 s[16:17], vcc
	s_cbranch_execz .LBB935_435
; %bb.434:                              ;   in Loop: Header=BB935_215 Depth=1
	v_and_b32_e32 v46, 7, v42
	v_ffbh_u32_e32 v60, v46
	v_min_u32_e32 v62, 32, v60
	v_subrev_u32_e32 v60, 28, v62
	v_lshlrev_b64 v[60:61], v60, v[42:43]
	v_lshrrev_b32_e32 v58, 3, v44
	v_sub_u32_e32 v61, 29, v62
	v_and_b32_e32 v60, 7, v60
	v_cmp_gt_u32_e32 vcc, 8, v44
	v_cndmask_b32_e32 v44, v58, v61, vcc
	v_cndmask_b32_e32 v46, v46, v60, vcc
	v_lshlrev_b32_e32 v58, 24, v42
	v_lshlrev_b32_e32 v46, 20, v46
	v_and_b32_e32 v58, 0x80000000, v58
	v_lshl_add_u32 v44, v44, 23, v55
	v_or3_b32 v44, v58, v44, v46
	v_lshrrev_b32_e32 v58, 16, v44
.LBB935_435:                            ;   in Loop: Header=BB935_215 Depth=1
	s_or_b64 exec, exec, s[16:17]
.LBB935_436:                            ;   in Loop: Header=BB935_215 Depth=1
	s_or_b64 exec, exec, s[14:15]
.LBB935_437:                            ;   in Loop: Header=BB935_215 Depth=1
	s_or_b64 exec, exec, s[12:13]
	v_lshrrev_b16_e32 v44, 8, v42
	v_cmp_ne_u16_e32 vcc, 0, v44
	v_mov_b32_e32 v61, 0
	v_mov_b32_e32 v60, 0
	s_and_saveexec_b64 s[12:13], vcc
	s_cbranch_execz .LBB935_443
; %bb.438:                              ;   in Loop: Header=BB935_215 Depth=1
	v_cmp_ne_u16_e32 vcc, s9, v44
	v_mov_b32_e32 v60, 0xffff8000
	s_and_saveexec_b64 s[14:15], vcc
	s_cbranch_execz .LBB935_442
; %bb.439:                              ;   in Loop: Header=BB935_215 Depth=1
	v_and_b32_e32 v46, 0x7f, v44
	v_cmp_ne_u32_e32 vcc, s21, v46
	v_mov_b32_e32 v60, 0x7f80
	s_and_saveexec_b64 s[16:17], vcc
	s_cbranch_execz .LBB935_441
; %bb.440:                              ;   in Loop: Header=BB935_215 Depth=1
	v_and_b32_e32 v60, 7, v44
	v_ffbh_u32_e32 v62, v60
	v_min_u32_e32 v65, 32, v62
	v_subrev_u32_e32 v62, 28, v65
	v_lshlrev_b64 v[62:63], v62, v[44:45]
	v_lshrrev_b32_e32 v64, 3, v46
	v_sub_u32_e32 v44, 29, v65
	v_and_b32_e32 v62, 7, v62
	v_cmp_gt_u32_e32 vcc, 8, v46
	v_cndmask_b32_e32 v44, v64, v44, vcc
	v_cndmask_b32_e32 v46, v60, v62, vcc
	v_lshlrev_b32_e32 v60, 16, v42
	v_lshlrev_b32_e32 v46, 20, v46
	v_and_b32_e32 v60, 0x80000000, v60
	v_lshl_add_u32 v44, v44, 23, v55
	v_or3_b32 v44, v60, v44, v46
	v_lshrrev_b32_e32 v60, 16, v44
.LBB935_441:                            ;   in Loop: Header=BB935_215 Depth=1
	s_or_b64 exec, exec, s[16:17]
.LBB935_442:                            ;   in Loop: Header=BB935_215 Depth=1
	s_or_b64 exec, exec, s[14:15]
.LBB935_443:                            ;   in Loop: Header=BB935_215 Depth=1
	s_or_b64 exec, exec, s[12:13]
	v_lshrrev_b32_e32 v44, 16, v42
	v_cmp_ne_u16_sdwa s[14:15], v44, v54 src0_sel:BYTE_0 src1_sel:DWORD
	s_and_saveexec_b64 s[12:13], s[14:15]
	s_cbranch_execz .LBB935_449
; %bb.444:                              ;   in Loop: Header=BB935_215 Depth=1
	v_cmp_ne_u16_sdwa s[16:17], v44, s9 src0_sel:BYTE_0 src1_sel:DWORD
	v_mov_b32_e32 v61, 0xffff8000
	s_and_saveexec_b64 s[14:15], s[16:17]
	s_cbranch_execz .LBB935_448
; %bb.445:                              ;   in Loop: Header=BB935_215 Depth=1
	v_bfe_u32 v46, v42, 16, 7
	v_cmp_ne_u32_e32 vcc, s21, v46
	v_mov_b32_e32 v61, 0x7f80
	s_and_saveexec_b64 s[16:17], vcc
	s_cbranch_execz .LBB935_447
; %bb.446:                              ;   in Loop: Header=BB935_215 Depth=1
	v_and_b32_e32 v61, 7, v44
	v_ffbh_u32_e32 v62, v61
	v_min_u32_e32 v65, 32, v62
	v_subrev_u32_e32 v62, 28, v65
	v_lshlrev_b64 v[62:63], v62, v[44:45]
	v_lshrrev_b32_e32 v64, 3, v46
	v_sub_u32_e32 v63, 29, v65
	v_and_b32_e32 v62, 7, v62
	v_cmp_gt_u32_e32 vcc, 8, v46
	v_cndmask_b32_e32 v46, v64, v63, vcc
	v_cndmask_b32_e32 v61, v61, v62, vcc
	v_lshlrev_b32_e32 v44, 24, v44
	v_lshlrev_b32_e32 v61, 20, v61
	v_and_b32_e32 v44, 0x80000000, v44
	v_lshl_add_u32 v46, v46, 23, v55
	v_or3_b32 v44, v44, v46, v61
	v_lshrrev_b32_e32 v61, 16, v44
.LBB935_447:                            ;   in Loop: Header=BB935_215 Depth=1
	s_or_b64 exec, exec, s[16:17]
.LBB935_448:                            ;   in Loop: Header=BB935_215 Depth=1
	s_or_b64 exec, exec, s[14:15]
.LBB935_449:                            ;   in Loop: Header=BB935_215 Depth=1
	s_or_b64 exec, exec, s[12:13]
	v_cmp_lt_u32_e32 vcc, s22, v42
	v_mov_b32_e32 v46, 0
	v_mov_b32_e32 v62, 0
	s_and_saveexec_b64 s[12:13], vcc
	s_cbranch_execz .LBB935_455
; %bb.450:                              ;   in Loop: Header=BB935_215 Depth=1
	v_lshrrev_b32_e32 v44, 24, v42
	v_cmp_ne_u32_e32 vcc, s9, v44
	v_mov_b32_e32 v62, 0xffff8000
	s_and_saveexec_b64 s[14:15], vcc
	s_cbranch_execz .LBB935_454
; %bb.451:                              ;   in Loop: Header=BB935_215 Depth=1
	v_bfe_u32 v42, v42, 24, 7
	v_cmp_ne_u32_e32 vcc, s21, v42
	v_mov_b32_e32 v62, 0x7f80
	s_and_saveexec_b64 s[16:17], vcc
	s_cbranch_execz .LBB935_453
; %bb.452:                              ;   in Loop: Header=BB935_215 Depth=1
	v_and_b32_e32 v64, 7, v44
	v_ffbh_u32_e32 v62, v64
	v_min_u32_e32 v66, 32, v62
	v_subrev_u32_e32 v62, 28, v66
	v_lshlrev_b64 v[62:63], v62, v[44:45]
	v_lshrrev_b32_e32 v65, 3, v42
	v_sub_u32_e32 v63, 29, v66
	v_and_b32_e32 v62, 7, v62
	v_cmp_gt_u32_e32 vcc, 8, v42
	v_cndmask_b32_e32 v42, v65, v63, vcc
	v_cndmask_b32_e32 v62, v64, v62, vcc
	v_lshlrev_b32_e32 v44, 24, v44
	v_lshlrev_b32_e32 v62, 20, v62
	v_and_b32_e32 v44, 0x80000000, v44
	v_lshl_add_u32 v42, v42, 23, v55
	v_or3_b32 v42, v44, v42, v62
	v_lshrrev_b32_e32 v62, 16, v42
.LBB935_453:                            ;   in Loop: Header=BB935_215 Depth=1
	s_or_b64 exec, exec, s[16:17]
.LBB935_454:                            ;   in Loop: Header=BB935_215 Depth=1
	s_or_b64 exec, exec, s[14:15]
.LBB935_455:                            ;   in Loop: Header=BB935_215 Depth=1
	s_or_b64 exec, exec, s[12:13]
	v_perm_b32 v57, v59, v57, s23
	v_perm_b32 v56, v51, v56, s23
	s_waitcnt vmcnt(1)
	v_cmp_ne_u16_sdwa s[14:15], v40, v54 src0_sel:BYTE_0 src1_sel:DWORD
	v_mfma_f32_16x16x16bf16_1k v[34:37], v[56:57], v[18:19], v[34:37]
	v_perm_b32 v57, v62, v61, s23
	v_perm_b32 v56, v60, v58, s23
	s_nop 1
	v_mfma_f32_16x16x16bf16_1k v[34:37], v[56:57], v[20:21], v[34:37]
	s_and_saveexec_b64 s[12:13], s[14:15]
	s_cbranch_execz .LBB935_461
; %bb.456:                              ;   in Loop: Header=BB935_215 Depth=1
	v_cmp_ne_u16_sdwa s[16:17], v40, s9 src0_sel:BYTE_0 src1_sel:DWORD
	v_mov_b32_e32 v46, 0xffff8000
	s_and_saveexec_b64 s[14:15], s[16:17]
	s_cbranch_execz .LBB935_460
; %bb.457:                              ;   in Loop: Header=BB935_215 Depth=1
	v_and_b32_e32 v42, 0x7f, v40
	v_cmp_ne_u32_e32 vcc, s21, v42
	v_mov_b32_e32 v46, 0x7f80
	s_and_saveexec_b64 s[16:17], vcc
	s_cbranch_execz .LBB935_459
; %bb.458:                              ;   in Loop: Header=BB935_215 Depth=1
	v_and_b32_e32 v44, 7, v40
	v_ffbh_u32_e32 v51, v44
	v_min_u32_e32 v51, 32, v51
	v_subrev_u32_e32 v56, 28, v51
	v_lshlrev_b64 v[56:57], v56, v[40:41]
	v_lshrrev_b32_e32 v46, 3, v42
	v_sub_u32_e32 v51, 29, v51
	v_and_b32_e32 v56, 7, v56
	v_cmp_gt_u32_e32 vcc, 8, v42
	v_cndmask_b32_e32 v42, v46, v51, vcc
	v_cndmask_b32_e32 v44, v44, v56, vcc
	v_lshlrev_b32_e32 v46, 24, v40
	v_lshlrev_b32_e32 v44, 20, v44
	v_and_b32_e32 v46, 0x80000000, v46
	v_lshl_add_u32 v42, v42, 23, v55
	v_or3_b32 v42, v46, v42, v44
	v_lshrrev_b32_e32 v46, 16, v42
.LBB935_459:                            ;   in Loop: Header=BB935_215 Depth=1
	s_or_b64 exec, exec, s[16:17]
.LBB935_460:                            ;   in Loop: Header=BB935_215 Depth=1
	s_or_b64 exec, exec, s[14:15]
.LBB935_461:                            ;   in Loop: Header=BB935_215 Depth=1
	s_or_b64 exec, exec, s[12:13]
	v_lshrrev_b16_e32 v42, 8, v40
	v_cmp_ne_u16_e32 vcc, 0, v42
	v_mov_b32_e32 v56, 0
	v_mov_b32_e32 v44, 0
	s_and_saveexec_b64 s[12:13], vcc
	s_cbranch_execz .LBB935_467
; %bb.462:                              ;   in Loop: Header=BB935_215 Depth=1
	v_cmp_ne_u16_e32 vcc, s9, v42
	v_mov_b32_e32 v44, 0xffff8000
	s_and_saveexec_b64 s[14:15], vcc
	s_cbranch_execz .LBB935_466
; %bb.463:                              ;   in Loop: Header=BB935_215 Depth=1
	v_and_b32_e32 v51, 0x7f, v42
	v_cmp_ne_u32_e32 vcc, s21, v51
	v_mov_b32_e32 v44, 0x7f80
	s_and_saveexec_b64 s[16:17], vcc
	s_cbranch_execz .LBB935_465
; %bb.464:                              ;   in Loop: Header=BB935_215 Depth=1
	v_and_b32_e32 v44, 7, v42
	v_ffbh_u32_e32 v58, v44
	v_min_u32_e32 v60, 32, v58
	v_subrev_u32_e32 v58, 28, v60
	v_lshlrev_b64 v[58:59], v58, v[42:43]
	v_lshrrev_b32_e32 v57, 3, v51
	v_sub_u32_e32 v42, 29, v60
	v_and_b32_e32 v58, 7, v58
	v_cmp_gt_u32_e32 vcc, 8, v51
	v_cndmask_b32_e32 v42, v57, v42, vcc
	v_cndmask_b32_e32 v44, v44, v58, vcc
	v_lshlrev_b32_e32 v51, 16, v40
	v_lshlrev_b32_e32 v44, 20, v44
	v_and_b32_e32 v51, 0x80000000, v51
	v_lshl_add_u32 v42, v42, 23, v55
	v_or3_b32 v42, v51, v42, v44
	v_lshrrev_b32_e32 v44, 16, v42
.LBB935_465:                            ;   in Loop: Header=BB935_215 Depth=1
	s_or_b64 exec, exec, s[16:17]
.LBB935_466:                            ;   in Loop: Header=BB935_215 Depth=1
	s_or_b64 exec, exec, s[14:15]
.LBB935_467:                            ;   in Loop: Header=BB935_215 Depth=1
	s_or_b64 exec, exec, s[12:13]
	v_lshrrev_b32_e32 v42, 16, v40
	v_cmp_ne_u16_sdwa s[14:15], v42, v54 src0_sel:BYTE_0 src1_sel:DWORD
	s_and_saveexec_b64 s[12:13], s[14:15]
	s_cbranch_execz .LBB935_473
; %bb.468:                              ;   in Loop: Header=BB935_215 Depth=1
	v_cmp_ne_u16_sdwa s[16:17], v42, s9 src0_sel:BYTE_0 src1_sel:DWORD
	v_mov_b32_e32 v56, 0xffff8000
	s_and_saveexec_b64 s[14:15], s[16:17]
	s_cbranch_execz .LBB935_472
; %bb.469:                              ;   in Loop: Header=BB935_215 Depth=1
	v_bfe_u32 v51, v40, 16, 7
	v_cmp_ne_u32_e32 vcc, s21, v51
	v_mov_b32_e32 v56, 0x7f80
	s_and_saveexec_b64 s[16:17], vcc
	s_cbranch_execz .LBB935_471
; %bb.470:                              ;   in Loop: Header=BB935_215 Depth=1
	v_and_b32_e32 v58, 7, v42
	v_ffbh_u32_e32 v56, v58
	v_min_u32_e32 v60, 32, v56
	v_subrev_u32_e32 v56, 28, v60
	v_lshlrev_b64 v[56:57], v56, v[42:43]
	v_lshrrev_b32_e32 v59, 3, v51
	v_sub_u32_e32 v57, 29, v60
	v_and_b32_e32 v56, 7, v56
	v_cmp_gt_u32_e32 vcc, 8, v51
	v_cndmask_b32_e32 v51, v59, v57, vcc
	v_cndmask_b32_e32 v56, v58, v56, vcc
	v_lshlrev_b32_e32 v42, 24, v42
	v_lshlrev_b32_e32 v56, 20, v56
	v_and_b32_e32 v42, 0x80000000, v42
	v_lshl_add_u32 v51, v51, 23, v55
	v_or3_b32 v42, v42, v51, v56
	v_lshrrev_b32_e32 v56, 16, v42
.LBB935_471:                            ;   in Loop: Header=BB935_215 Depth=1
	s_or_b64 exec, exec, s[16:17]
.LBB935_472:                            ;   in Loop: Header=BB935_215 Depth=1
	s_or_b64 exec, exec, s[14:15]
.LBB935_473:                            ;   in Loop: Header=BB935_215 Depth=1
	s_or_b64 exec, exec, s[12:13]
	v_cmp_lt_u32_e32 vcc, s22, v40
	v_mov_b32_e32 v57, 0
	v_mov_b32_e32 v58, 0
	s_and_saveexec_b64 s[12:13], vcc
	s_cbranch_execz .LBB935_479
; %bb.474:                              ;   in Loop: Header=BB935_215 Depth=1
	v_lshrrev_b32_e32 v42, 24, v40
	v_cmp_ne_u32_e32 vcc, s9, v42
	v_mov_b32_e32 v58, 0xffff8000
	s_and_saveexec_b64 s[14:15], vcc
	s_cbranch_execz .LBB935_478
; %bb.475:                              ;   in Loop: Header=BB935_215 Depth=1
	v_bfe_u32 v40, v40, 24, 7
	v_cmp_ne_u32_e32 vcc, s21, v40
	v_mov_b32_e32 v58, 0x7f80
	s_and_saveexec_b64 s[16:17], vcc
	s_cbranch_execz .LBB935_477
; %bb.476:                              ;   in Loop: Header=BB935_215 Depth=1
	v_and_b32_e32 v51, 7, v42
	v_ffbh_u32_e32 v58, v51
	v_min_u32_e32 v61, 32, v58
	v_subrev_u32_e32 v58, 28, v61
	v_lshlrev_b64 v[58:59], v58, v[42:43]
	v_lshrrev_b32_e32 v60, 3, v40
	v_sub_u32_e32 v59, 29, v61
	v_and_b32_e32 v58, 7, v58
	v_cmp_gt_u32_e32 vcc, 8, v40
	v_cndmask_b32_e32 v40, v60, v59, vcc
	v_cndmask_b32_e32 v51, v51, v58, vcc
	v_lshlrev_b32_e32 v42, 24, v42
	v_lshlrev_b32_e32 v51, 20, v51
	v_and_b32_e32 v42, 0x80000000, v42
	v_lshl_add_u32 v40, v40, 23, v55
	v_or3_b32 v40, v42, v40, v51
	v_lshrrev_b32_e32 v58, 16, v40
.LBB935_477:                            ;   in Loop: Header=BB935_215 Depth=1
	s_or_b64 exec, exec, s[16:17]
.LBB935_478:                            ;   in Loop: Header=BB935_215 Depth=1
	s_or_b64 exec, exec, s[14:15]
.LBB935_479:                            ;   in Loop: Header=BB935_215 Depth=1
	s_or_b64 exec, exec, s[12:13]
	s_waitcnt vmcnt(0)
	v_cmp_ne_u16_sdwa s[14:15], v38, v54 src0_sel:BYTE_0 src1_sel:DWORD
	s_and_saveexec_b64 s[12:13], s[14:15]
	s_cbranch_execz .LBB935_485
; %bb.480:                              ;   in Loop: Header=BB935_215 Depth=1
	v_cmp_ne_u16_sdwa s[16:17], v38, s9 src0_sel:BYTE_0 src1_sel:DWORD
	v_mov_b32_e32 v57, 0xffff8000
	s_and_saveexec_b64 s[14:15], s[16:17]
	s_cbranch_execz .LBB935_484
; %bb.481:                              ;   in Loop: Header=BB935_215 Depth=1
	v_and_b32_e32 v40, 0x7f, v38
	v_cmp_ne_u32_e32 vcc, s21, v40
	v_mov_b32_e32 v57, 0x7f80
	s_and_saveexec_b64 s[16:17], vcc
	s_cbranch_execz .LBB935_483
; %bb.482:                              ;   in Loop: Header=BB935_215 Depth=1
	v_and_b32_e32 v42, 7, v38
	v_ffbh_u32_e32 v57, v42
	v_min_u32_e32 v57, 32, v57
	v_subrev_u32_e32 v59, 28, v57
	v_lshlrev_b64 v[60:61], v59, v[38:39]
	v_lshrrev_b32_e32 v51, 3, v40
	v_sub_u32_e32 v57, 29, v57
	v_and_b32_e32 v59, 7, v60
	v_cmp_gt_u32_e32 vcc, 8, v40
	v_cndmask_b32_e32 v40, v51, v57, vcc
	v_cndmask_b32_e32 v42, v42, v59, vcc
	v_lshlrev_b32_e32 v51, 24, v38
	v_lshlrev_b32_e32 v42, 20, v42
	v_and_b32_e32 v51, 0x80000000, v51
	v_lshl_add_u32 v40, v40, 23, v55
	v_or3_b32 v40, v51, v40, v42
	v_lshrrev_b32_e32 v57, 16, v40
.LBB935_483:                            ;   in Loop: Header=BB935_215 Depth=1
	s_or_b64 exec, exec, s[16:17]
.LBB935_484:                            ;   in Loop: Header=BB935_215 Depth=1
	s_or_b64 exec, exec, s[14:15]
.LBB935_485:                            ;   in Loop: Header=BB935_215 Depth=1
	s_or_b64 exec, exec, s[12:13]
	v_lshrrev_b16_e32 v40, 8, v38
	v_cmp_ne_u16_e32 vcc, 0, v40
	v_mov_b32_e32 v60, 0
	v_mov_b32_e32 v59, 0
	s_and_saveexec_b64 s[12:13], vcc
	s_cbranch_execz .LBB935_491
; %bb.486:                              ;   in Loop: Header=BB935_215 Depth=1
	v_cmp_ne_u16_e32 vcc, s9, v40
	v_mov_b32_e32 v59, 0xffff8000
	s_and_saveexec_b64 s[14:15], vcc
	s_cbranch_execz .LBB935_490
; %bb.487:                              ;   in Loop: Header=BB935_215 Depth=1
	v_and_b32_e32 v42, 0x7f, v40
	v_cmp_ne_u32_e32 vcc, s21, v42
	v_mov_b32_e32 v59, 0x7f80
	s_and_saveexec_b64 s[16:17], vcc
	s_cbranch_execz .LBB935_489
; %bb.488:                              ;   in Loop: Header=BB935_215 Depth=1
	v_and_b32_e32 v51, 7, v40
	v_ffbh_u32_e32 v61, v51
	v_min_u32_e32 v61, 32, v61
	v_subrev_u32_e32 v62, 28, v61
	v_lshlrev_b64 v[62:63], v62, v[40:41]
	v_lshrrev_b32_e32 v59, 3, v42
	v_sub_u32_e32 v40, 29, v61
	v_and_b32_e32 v61, 7, v62
	v_cmp_gt_u32_e32 vcc, 8, v42
	v_cndmask_b32_e32 v40, v59, v40, vcc
	v_cndmask_b32_e32 v42, v51, v61, vcc
	v_lshlrev_b32_e32 v51, 16, v38
	v_lshlrev_b32_e32 v42, 20, v42
	v_and_b32_e32 v51, 0x80000000, v51
	v_lshl_add_u32 v40, v40, 23, v55
	v_or3_b32 v40, v51, v40, v42
	v_lshrrev_b32_e32 v59, 16, v40
.LBB935_489:                            ;   in Loop: Header=BB935_215 Depth=1
	s_or_b64 exec, exec, s[16:17]
.LBB935_490:                            ;   in Loop: Header=BB935_215 Depth=1
	s_or_b64 exec, exec, s[14:15]
.LBB935_491:                            ;   in Loop: Header=BB935_215 Depth=1
	s_or_b64 exec, exec, s[12:13]
	v_lshrrev_b32_e32 v40, 16, v38
	v_cmp_ne_u16_sdwa s[14:15], v40, v54 src0_sel:BYTE_0 src1_sel:DWORD
	s_and_saveexec_b64 s[12:13], s[14:15]
	s_cbranch_execz .LBB935_497
; %bb.492:                              ;   in Loop: Header=BB935_215 Depth=1
	v_cmp_ne_u16_sdwa s[16:17], v40, s9 src0_sel:BYTE_0 src1_sel:DWORD
	v_mov_b32_e32 v60, 0xffff8000
	s_and_saveexec_b64 s[14:15], s[16:17]
	s_cbranch_execz .LBB935_496
; %bb.493:                              ;   in Loop: Header=BB935_215 Depth=1
	v_bfe_u32 v42, v38, 16, 7
	v_cmp_ne_u32_e32 vcc, s21, v42
	v_mov_b32_e32 v60, 0x7f80
	s_and_saveexec_b64 s[16:17], vcc
	s_cbranch_execz .LBB935_495
; %bb.494:                              ;   in Loop: Header=BB935_215 Depth=1
	v_and_b32_e32 v51, 7, v40
	v_ffbh_u32_e32 v60, v51
	v_min_u32_e32 v63, 32, v60
	v_subrev_u32_e32 v60, 28, v63
	v_lshlrev_b64 v[60:61], v60, v[40:41]
	v_lshrrev_b32_e32 v62, 3, v42
	v_sub_u32_e32 v61, 29, v63
	v_and_b32_e32 v60, 7, v60
	v_cmp_gt_u32_e32 vcc, 8, v42
	v_cndmask_b32_e32 v42, v62, v61, vcc
	v_cndmask_b32_e32 v51, v51, v60, vcc
	v_lshlrev_b32_e32 v40, 24, v40
	v_lshlrev_b32_e32 v51, 20, v51
	v_and_b32_e32 v40, 0x80000000, v40
	v_lshl_add_u32 v42, v42, 23, v55
	v_or3_b32 v40, v40, v42, v51
	v_lshrrev_b32_e32 v60, 16, v40
.LBB935_495:                            ;   in Loop: Header=BB935_215 Depth=1
	s_or_b64 exec, exec, s[16:17]
.LBB935_496:                            ;   in Loop: Header=BB935_215 Depth=1
	s_or_b64 exec, exec, s[14:15]
.LBB935_497:                            ;   in Loop: Header=BB935_215 Depth=1
	s_or_b64 exec, exec, s[12:13]
	v_cmp_lt_u32_e32 vcc, s22, v38
	v_mov_b32_e32 v51, 0
	v_mov_b32_e32 v61, 0
	s_and_saveexec_b64 s[12:13], vcc
	s_cbranch_execz .LBB935_503
; %bb.498:                              ;   in Loop: Header=BB935_215 Depth=1
	v_lshrrev_b32_e32 v40, 24, v38
	v_cmp_ne_u32_e32 vcc, s9, v40
	v_mov_b32_e32 v61, 0xffff8000
	s_and_saveexec_b64 s[14:15], vcc
	s_cbranch_execz .LBB935_502
; %bb.499:                              ;   in Loop: Header=BB935_215 Depth=1
	v_bfe_u32 v38, v38, 24, 7
	v_cmp_ne_u32_e32 vcc, s21, v38
	v_mov_b32_e32 v61, 0x7f80
	s_and_saveexec_b64 s[16:17], vcc
	s_cbranch_execz .LBB935_501
; %bb.500:                              ;   in Loop: Header=BB935_215 Depth=1
	v_and_b32_e32 v42, 7, v40
	v_ffbh_u32_e32 v62, v42
	v_min_u32_e32 v64, 32, v62
	v_subrev_u32_e32 v62, 28, v64
	v_lshlrev_b64 v[62:63], v62, v[40:41]
	v_lshrrev_b32_e32 v61, 3, v38
	v_sub_u32_e32 v63, 29, v64
	v_and_b32_e32 v62, 7, v62
	v_cmp_gt_u32_e32 vcc, 8, v38
	v_cndmask_b32_e32 v38, v61, v63, vcc
	v_cndmask_b32_e32 v42, v42, v62, vcc
	v_lshlrev_b32_e32 v40, 24, v40
	v_lshlrev_b32_e32 v42, 20, v42
	v_and_b32_e32 v40, 0x80000000, v40
	v_lshl_add_u32 v38, v38, 23, v55
	v_or3_b32 v38, v40, v38, v42
	v_lshrrev_b32_e32 v61, 16, v38
.LBB935_501:                            ;   in Loop: Header=BB935_215 Depth=1
	s_or_b64 exec, exec, s[16:17]
.LBB935_502:                            ;   in Loop: Header=BB935_215 Depth=1
	s_or_b64 exec, exec, s[14:15]
.LBB935_503:                            ;   in Loop: Header=BB935_215 Depth=1
	s_or_b64 exec, exec, s[12:13]
	v_perm_b32 v62, v44, v46, s23
	buffer_load_dword v44, v50, s[0:3], 0 offen
	buffer_load_dword v42, v50, s[0:3], 0 offen offset:4
	buffer_load_dword v40, v50, s[0:3], 0 offen offset:8
	buffer_load_dword v38, v50, s[0:3], 0 offen offset:12
	v_perm_b32 v63, v58, v56, s23
	v_perm_b32 v61, v61, v60, s23
	;; [unrolled: 1-line block ×3, first 2 shown]
	v_mfma_f32_16x16x16bf16_1k v[34:37], v[62:63], v[22:23], v[34:37]
	s_waitcnt vmcnt(3)
	v_cmp_ne_u16_sdwa s[14:15], v44, v54 src0_sel:BYTE_0 src1_sel:DWORD
	v_mfma_f32_16x16x16bf16_1k v[34:37], v[60:61], v[24:25], v[34:37]
	s_and_saveexec_b64 s[12:13], s[14:15]
	s_cbranch_execz .LBB935_509
; %bb.504:                              ;   in Loop: Header=BB935_215 Depth=1
	v_cmp_ne_u16_sdwa s[16:17], v44, s9 src0_sel:BYTE_0 src1_sel:DWORD
	v_mov_b32_e32 v51, 0xffff8000
	s_and_saveexec_b64 s[14:15], s[16:17]
	s_cbranch_execz .LBB935_508
; %bb.505:                              ;   in Loop: Header=BB935_215 Depth=1
	v_and_b32_e32 v46, 0x7f, v44
	v_cmp_ne_u32_e32 vcc, s21, v46
	v_mov_b32_e32 v51, 0x7f80
	s_and_saveexec_b64 s[16:17], vcc
	s_cbranch_execz .LBB935_507
; %bb.506:                              ;   in Loop: Header=BB935_215 Depth=1
	v_and_b32_e32 v56, 7, v44
	v_ffbh_u32_e32 v50, v56
	v_min_u32_e32 v58, 32, v50
	v_subrev_u32_e32 v50, 28, v58
	v_lshlrev_b64 v[50:51], v50, v[44:45]
	v_lshrrev_b32_e32 v57, 3, v46
	v_sub_u32_e32 v51, 29, v58
	v_and_b32_e32 v50, 7, v50
	v_cmp_gt_u32_e32 vcc, 8, v46
	v_cndmask_b32_e32 v46, v57, v51, vcc
	v_cndmask_b32_e32 v50, v56, v50, vcc
	v_lshlrev_b32_e32 v51, 24, v44
	v_lshlrev_b32_e32 v50, 20, v50
	v_and_b32_e32 v51, 0x80000000, v51
	v_lshl_add_u32 v46, v46, 23, v55
	v_or3_b32 v46, v51, v46, v50
	v_lshrrev_b32_e32 v51, 16, v46
.LBB935_507:                            ;   in Loop: Header=BB935_215 Depth=1
	s_or_b64 exec, exec, s[16:17]
.LBB935_508:                            ;   in Loop: Header=BB935_215 Depth=1
	s_or_b64 exec, exec, s[14:15]
.LBB935_509:                            ;   in Loop: Header=BB935_215 Depth=1
	s_or_b64 exec, exec, s[12:13]
	v_lshrrev_b16_e32 v46, 8, v44
	v_cmp_ne_u16_e32 vcc, 0, v46
	v_mov_b32_e32 v56, 0
	v_mov_b32_e32 v50, 0
	s_and_saveexec_b64 s[12:13], vcc
	s_cbranch_execz .LBB935_515
; %bb.510:                              ;   in Loop: Header=BB935_215 Depth=1
	v_cmp_ne_u16_e32 vcc, s9, v46
	v_mov_b32_e32 v50, 0xffff8000
	s_and_saveexec_b64 s[14:15], vcc
	s_cbranch_execz .LBB935_514
; %bb.511:                              ;   in Loop: Header=BB935_215 Depth=1
	v_and_b32_e32 v57, 0x7f, v46
	v_cmp_ne_u32_e32 vcc, s21, v57
	v_mov_b32_e32 v50, 0x7f80
	s_and_saveexec_b64 s[16:17], vcc
	s_cbranch_execz .LBB935_513
; %bb.512:                              ;   in Loop: Header=BB935_215 Depth=1
	v_and_b32_e32 v50, 7, v46
	v_ffbh_u32_e32 v58, v50
	v_min_u32_e32 v61, 32, v58
	v_subrev_u32_e32 v58, 28, v61
	v_lshlrev_b64 v[58:59], v58, v[46:47]
	v_lshrrev_b32_e32 v60, 3, v57
	v_sub_u32_e32 v46, 29, v61
	v_and_b32_e32 v58, 7, v58
	v_cmp_gt_u32_e32 vcc, 8, v57
	v_cndmask_b32_e32 v46, v60, v46, vcc
	v_cndmask_b32_e32 v50, v50, v58, vcc
	v_lshlrev_b32_e32 v57, 16, v44
	v_lshlrev_b32_e32 v50, 20, v50
	v_and_b32_e32 v57, 0x80000000, v57
	v_lshl_add_u32 v46, v46, 23, v55
	v_or3_b32 v46, v57, v46, v50
	v_lshrrev_b32_e32 v50, 16, v46
.LBB935_513:                            ;   in Loop: Header=BB935_215 Depth=1
	s_or_b64 exec, exec, s[16:17]
.LBB935_514:                            ;   in Loop: Header=BB935_215 Depth=1
	s_or_b64 exec, exec, s[14:15]
.LBB935_515:                            ;   in Loop: Header=BB935_215 Depth=1
	s_or_b64 exec, exec, s[12:13]
	v_lshrrev_b32_e32 v46, 16, v44
	v_cmp_ne_u16_sdwa s[14:15], v46, v54 src0_sel:BYTE_0 src1_sel:DWORD
	s_and_saveexec_b64 s[12:13], s[14:15]
	s_cbranch_execz .LBB935_521
; %bb.516:                              ;   in Loop: Header=BB935_215 Depth=1
	v_cmp_ne_u16_sdwa s[16:17], v46, s9 src0_sel:BYTE_0 src1_sel:DWORD
	v_mov_b32_e32 v56, 0xffff8000
	s_and_saveexec_b64 s[14:15], s[16:17]
	s_cbranch_execz .LBB935_520
; %bb.517:                              ;   in Loop: Header=BB935_215 Depth=1
	v_bfe_u32 v57, v44, 16, 7
	v_cmp_ne_u32_e32 vcc, s21, v57
	v_mov_b32_e32 v56, 0x7f80
	s_and_saveexec_b64 s[16:17], vcc
	s_cbranch_execz .LBB935_519
; %bb.518:                              ;   in Loop: Header=BB935_215 Depth=1
	v_and_b32_e32 v56, 7, v46
	v_ffbh_u32_e32 v58, v56
	v_min_u32_e32 v61, 32, v58
	v_subrev_u32_e32 v58, 28, v61
	v_lshlrev_b64 v[58:59], v58, v[46:47]
	v_lshrrev_b32_e32 v60, 3, v57
	v_sub_u32_e32 v59, 29, v61
	v_and_b32_e32 v58, 7, v58
	v_cmp_gt_u32_e32 vcc, 8, v57
	v_cndmask_b32_e32 v57, v60, v59, vcc
	v_cndmask_b32_e32 v56, v56, v58, vcc
	v_lshlrev_b32_e32 v46, 24, v46
	v_lshlrev_b32_e32 v56, 20, v56
	v_and_b32_e32 v46, 0x80000000, v46
	v_lshl_add_u32 v57, v57, 23, v55
	v_or3_b32 v46, v46, v57, v56
	v_lshrrev_b32_e32 v56, 16, v46
.LBB935_519:                            ;   in Loop: Header=BB935_215 Depth=1
	s_or_b64 exec, exec, s[16:17]
.LBB935_520:                            ;   in Loop: Header=BB935_215 Depth=1
	s_or_b64 exec, exec, s[14:15]
.LBB935_521:                            ;   in Loop: Header=BB935_215 Depth=1
	s_or_b64 exec, exec, s[12:13]
	v_cmp_lt_u32_e32 vcc, s22, v44
	v_mov_b32_e32 v57, 0
	v_mov_b32_e32 v58, 0
	s_and_saveexec_b64 s[12:13], vcc
	s_cbranch_execz .LBB935_527
; %bb.522:                              ;   in Loop: Header=BB935_215 Depth=1
	v_lshrrev_b32_e32 v46, 24, v44
	v_cmp_ne_u32_e32 vcc, s9, v46
	v_mov_b32_e32 v58, 0xffff8000
	s_and_saveexec_b64 s[14:15], vcc
	s_cbranch_execz .LBB935_526
; %bb.523:                              ;   in Loop: Header=BB935_215 Depth=1
	v_bfe_u32 v44, v44, 24, 7
	v_cmp_ne_u32_e32 vcc, s21, v44
	v_mov_b32_e32 v58, 0x7f80
	s_and_saveexec_b64 s[16:17], vcc
	s_cbranch_execz .LBB935_525
; %bb.524:                              ;   in Loop: Header=BB935_215 Depth=1
	v_and_b32_e32 v60, 7, v46
	v_ffbh_u32_e32 v58, v60
	v_min_u32_e32 v62, 32, v58
	v_subrev_u32_e32 v58, 28, v62
	v_lshlrev_b64 v[58:59], v58, v[46:47]
	v_lshrrev_b32_e32 v61, 3, v44
	v_sub_u32_e32 v59, 29, v62
	v_and_b32_e32 v58, 7, v58
	v_cmp_gt_u32_e32 vcc, 8, v44
	v_cndmask_b32_e32 v44, v61, v59, vcc
	v_cndmask_b32_e32 v58, v60, v58, vcc
	v_lshlrev_b32_e32 v46, 24, v46
	v_lshlrev_b32_e32 v58, 20, v58
	v_and_b32_e32 v46, 0x80000000, v46
	v_lshl_add_u32 v44, v44, 23, v55
	v_or3_b32 v44, v46, v44, v58
	v_lshrrev_b32_e32 v58, 16, v44
.LBB935_525:                            ;   in Loop: Header=BB935_215 Depth=1
	s_or_b64 exec, exec, s[16:17]
.LBB935_526:                            ;   in Loop: Header=BB935_215 Depth=1
	s_or_b64 exec, exec, s[14:15]
.LBB935_527:                            ;   in Loop: Header=BB935_215 Depth=1
	s_or_b64 exec, exec, s[12:13]
	s_waitcnt vmcnt(2)
	v_cmp_ne_u16_sdwa s[14:15], v42, v54 src0_sel:BYTE_0 src1_sel:DWORD
	s_and_saveexec_b64 s[12:13], s[14:15]
	s_cbranch_execz .LBB935_533
; %bb.528:                              ;   in Loop: Header=BB935_215 Depth=1
	v_cmp_ne_u16_sdwa s[16:17], v42, s9 src0_sel:BYTE_0 src1_sel:DWORD
	v_mov_b32_e32 v57, 0xffff8000
	s_and_saveexec_b64 s[14:15], s[16:17]
	s_cbranch_execz .LBB935_532
; %bb.529:                              ;   in Loop: Header=BB935_215 Depth=1
	v_and_b32_e32 v44, 0x7f, v42
	v_cmp_ne_u32_e32 vcc, s21, v44
	v_mov_b32_e32 v57, 0x7f80
	s_and_saveexec_b64 s[16:17], vcc
	s_cbranch_execz .LBB935_531
; %bb.530:                              ;   in Loop: Header=BB935_215 Depth=1
	v_and_b32_e32 v46, 7, v42
	v_ffbh_u32_e32 v59, v46
	v_min_u32_e32 v59, 32, v59
	v_subrev_u32_e32 v60, 28, v59
	v_lshlrev_b64 v[60:61], v60, v[42:43]
	v_lshrrev_b32_e32 v57, 3, v44
	v_sub_u32_e32 v59, 29, v59
	v_and_b32_e32 v60, 7, v60
	v_cmp_gt_u32_e32 vcc, 8, v44
	v_cndmask_b32_e32 v44, v57, v59, vcc
	v_cndmask_b32_e32 v46, v46, v60, vcc
	v_lshlrev_b32_e32 v57, 24, v42
	v_lshlrev_b32_e32 v46, 20, v46
	v_and_b32_e32 v57, 0x80000000, v57
	v_lshl_add_u32 v44, v44, 23, v55
	v_or3_b32 v44, v57, v44, v46
	v_lshrrev_b32_e32 v57, 16, v44
.LBB935_531:                            ;   in Loop: Header=BB935_215 Depth=1
	s_or_b64 exec, exec, s[16:17]
.LBB935_532:                            ;   in Loop: Header=BB935_215 Depth=1
	s_or_b64 exec, exec, s[14:15]
.LBB935_533:                            ;   in Loop: Header=BB935_215 Depth=1
	s_or_b64 exec, exec, s[12:13]
	v_lshrrev_b16_e32 v44, 8, v42
	v_cmp_ne_u16_e32 vcc, 0, v44
	v_mov_b32_e32 v60, 0
	v_mov_b32_e32 v59, 0
	s_and_saveexec_b64 s[12:13], vcc
	s_cbranch_execz .LBB935_539
; %bb.534:                              ;   in Loop: Header=BB935_215 Depth=1
	v_cmp_ne_u16_e32 vcc, s9, v44
	v_mov_b32_e32 v59, 0xffff8000
	s_and_saveexec_b64 s[14:15], vcc
	s_cbranch_execz .LBB935_538
; %bb.535:                              ;   in Loop: Header=BB935_215 Depth=1
	v_and_b32_e32 v46, 0x7f, v44
	v_cmp_ne_u32_e32 vcc, s21, v46
	v_mov_b32_e32 v59, 0x7f80
	s_and_saveexec_b64 s[16:17], vcc
	s_cbranch_execz .LBB935_537
; %bb.536:                              ;   in Loop: Header=BB935_215 Depth=1
	v_and_b32_e32 v59, 7, v44
	v_ffbh_u32_e32 v62, v59
	v_min_u32_e32 v64, 32, v62
	v_subrev_u32_e32 v62, 28, v64
	v_lshlrev_b64 v[62:63], v62, v[44:45]
	v_lshrrev_b32_e32 v61, 3, v46
	v_sub_u32_e32 v44, 29, v64
	v_and_b32_e32 v62, 7, v62
	v_cmp_gt_u32_e32 vcc, 8, v46
	v_cndmask_b32_e32 v44, v61, v44, vcc
	v_cndmask_b32_e32 v46, v59, v62, vcc
	v_lshlrev_b32_e32 v59, 16, v42
	v_lshlrev_b32_e32 v46, 20, v46
	v_and_b32_e32 v59, 0x80000000, v59
	v_lshl_add_u32 v44, v44, 23, v55
	v_or3_b32 v44, v59, v44, v46
	v_lshrrev_b32_e32 v59, 16, v44
.LBB935_537:                            ;   in Loop: Header=BB935_215 Depth=1
	s_or_b64 exec, exec, s[16:17]
.LBB935_538:                            ;   in Loop: Header=BB935_215 Depth=1
	s_or_b64 exec, exec, s[14:15]
.LBB935_539:                            ;   in Loop: Header=BB935_215 Depth=1
	s_or_b64 exec, exec, s[12:13]
	v_lshrrev_b32_e32 v44, 16, v42
	v_cmp_ne_u16_sdwa s[14:15], v44, v54 src0_sel:BYTE_0 src1_sel:DWORD
	s_and_saveexec_b64 s[12:13], s[14:15]
	s_cbranch_execz .LBB935_545
; %bb.540:                              ;   in Loop: Header=BB935_215 Depth=1
	v_cmp_ne_u16_sdwa s[16:17], v44, s9 src0_sel:BYTE_0 src1_sel:DWORD
	v_mov_b32_e32 v60, 0xffff8000
	s_and_saveexec_b64 s[14:15], s[16:17]
	s_cbranch_execz .LBB935_544
; %bb.541:                              ;   in Loop: Header=BB935_215 Depth=1
	v_bfe_u32 v46, v42, 16, 7
	v_cmp_ne_u32_e32 vcc, s21, v46
	v_mov_b32_e32 v60, 0x7f80
	s_and_saveexec_b64 s[16:17], vcc
	s_cbranch_execz .LBB935_543
; %bb.542:                              ;   in Loop: Header=BB935_215 Depth=1
	v_and_b32_e32 v62, 7, v44
	v_ffbh_u32_e32 v60, v62
	v_min_u32_e32 v64, 32, v60
	v_subrev_u32_e32 v60, 28, v64
	v_lshlrev_b64 v[60:61], v60, v[44:45]
	v_lshrrev_b32_e32 v63, 3, v46
	v_sub_u32_e32 v61, 29, v64
	v_and_b32_e32 v60, 7, v60
	v_cmp_gt_u32_e32 vcc, 8, v46
	v_cndmask_b32_e32 v46, v63, v61, vcc
	v_cndmask_b32_e32 v60, v62, v60, vcc
	v_lshlrev_b32_e32 v44, 24, v44
	v_lshlrev_b32_e32 v60, 20, v60
	v_and_b32_e32 v44, 0x80000000, v44
	v_lshl_add_u32 v46, v46, 23, v55
	v_or3_b32 v44, v44, v46, v60
	v_lshrrev_b32_e32 v60, 16, v44
.LBB935_543:                            ;   in Loop: Header=BB935_215 Depth=1
	s_or_b64 exec, exec, s[16:17]
.LBB935_544:                            ;   in Loop: Header=BB935_215 Depth=1
	s_or_b64 exec, exec, s[14:15]
.LBB935_545:                            ;   in Loop: Header=BB935_215 Depth=1
	s_or_b64 exec, exec, s[12:13]
	v_cmp_lt_u32_e32 vcc, s22, v42
	v_mov_b32_e32 v46, 0
	v_mov_b32_e32 v61, 0
	s_and_saveexec_b64 s[12:13], vcc
	s_cbranch_execz .LBB935_551
; %bb.546:                              ;   in Loop: Header=BB935_215 Depth=1
	v_lshrrev_b32_e32 v44, 24, v42
	v_cmp_ne_u32_e32 vcc, s9, v44
	v_mov_b32_e32 v61, 0xffff8000
	s_and_saveexec_b64 s[14:15], vcc
	s_cbranch_execz .LBB935_550
; %bb.547:                              ;   in Loop: Header=BB935_215 Depth=1
	v_bfe_u32 v42, v42, 24, 7
	v_cmp_ne_u32_e32 vcc, s21, v42
	v_mov_b32_e32 v61, 0x7f80
	s_and_saveexec_b64 s[16:17], vcc
	s_cbranch_execz .LBB935_549
; %bb.548:                              ;   in Loop: Header=BB935_215 Depth=1
	v_and_b32_e32 v61, 7, v44
	v_ffbh_u32_e32 v62, v61
	v_min_u32_e32 v65, 32, v62
	v_subrev_u32_e32 v62, 28, v65
	v_lshlrev_b64 v[62:63], v62, v[44:45]
	v_lshrrev_b32_e32 v64, 3, v42
	v_sub_u32_e32 v63, 29, v65
	v_and_b32_e32 v62, 7, v62
	v_cmp_gt_u32_e32 vcc, 8, v42
	v_cndmask_b32_e32 v42, v64, v63, vcc
	v_cndmask_b32_e32 v61, v61, v62, vcc
	v_lshlrev_b32_e32 v44, 24, v44
	v_lshlrev_b32_e32 v61, 20, v61
	v_and_b32_e32 v44, 0x80000000, v44
	v_lshl_add_u32 v42, v42, 23, v55
	v_or3_b32 v42, v44, v42, v61
	v_lshrrev_b32_e32 v61, 16, v42
.LBB935_549:                            ;   in Loop: Header=BB935_215 Depth=1
	s_or_b64 exec, exec, s[16:17]
.LBB935_550:                            ;   in Loop: Header=BB935_215 Depth=1
	s_or_b64 exec, exec, s[14:15]
.LBB935_551:                            ;   in Loop: Header=BB935_215 Depth=1
	s_or_b64 exec, exec, s[12:13]
	v_perm_b32 v63, v58, v56, s23
	v_perm_b32 v62, v50, v51, s23
	;; [unrolled: 1-line block ×4, first 2 shown]
	s_waitcnt vmcnt(1)
	v_cmp_ne_u16_sdwa s[14:15], v40, v54 src0_sel:BYTE_0 src1_sel:DWORD
	v_mfma_f32_16x16x16bf16_1k v[34:37], v[62:63], v[26:27], v[34:37]
	v_mfma_f32_16x16x16bf16_1k v[34:37], v[50:51], v[28:29], v[34:37]
	s_and_saveexec_b64 s[12:13], s[14:15]
	s_cbranch_execz .LBB935_557
; %bb.552:                              ;   in Loop: Header=BB935_215 Depth=1
	v_cmp_ne_u16_sdwa s[16:17], v40, s9 src0_sel:BYTE_0 src1_sel:DWORD
	v_mov_b32_e32 v46, 0xffff8000
	s_and_saveexec_b64 s[14:15], s[16:17]
	s_cbranch_execz .LBB935_556
; %bb.553:                              ;   in Loop: Header=BB935_215 Depth=1
	v_and_b32_e32 v42, 0x7f, v40
	v_cmp_ne_u32_e32 vcc, s21, v42
	v_mov_b32_e32 v46, 0x7f80
	s_and_saveexec_b64 s[16:17], vcc
	s_cbranch_execz .LBB935_555
; %bb.554:                              ;   in Loop: Header=BB935_215 Depth=1
	v_and_b32_e32 v44, 7, v40
	v_ffbh_u32_e32 v50, v44
	v_min_u32_e32 v56, 32, v50
	v_subrev_u32_e32 v50, 28, v56
	v_lshlrev_b64 v[50:51], v50, v[40:41]
	v_lshrrev_b32_e32 v46, 3, v42
	v_sub_u32_e32 v51, 29, v56
	v_and_b32_e32 v50, 7, v50
	v_cmp_gt_u32_e32 vcc, 8, v42
	v_cndmask_b32_e32 v42, v46, v51, vcc
	v_cndmask_b32_e32 v44, v44, v50, vcc
	v_lshlrev_b32_e32 v46, 24, v40
	v_lshlrev_b32_e32 v44, 20, v44
	v_and_b32_e32 v46, 0x80000000, v46
	v_lshl_add_u32 v42, v42, 23, v55
	v_or3_b32 v42, v46, v42, v44
	v_lshrrev_b32_e32 v46, 16, v42
.LBB935_555:                            ;   in Loop: Header=BB935_215 Depth=1
	s_or_b64 exec, exec, s[16:17]
.LBB935_556:                            ;   in Loop: Header=BB935_215 Depth=1
	s_or_b64 exec, exec, s[14:15]
.LBB935_557:                            ;   in Loop: Header=BB935_215 Depth=1
	s_or_b64 exec, exec, s[12:13]
	v_lshrrev_b16_e32 v42, 8, v40
	v_cmp_ne_u16_e32 vcc, 0, v42
	v_mov_b32_e32 v50, 0
	v_mov_b32_e32 v44, 0
	s_and_saveexec_b64 s[12:13], vcc
	s_cbranch_execz .LBB935_563
; %bb.558:                              ;   in Loop: Header=BB935_215 Depth=1
	v_cmp_ne_u16_e32 vcc, s9, v42
	v_mov_b32_e32 v44, 0xffff8000
	s_and_saveexec_b64 s[14:15], vcc
	s_cbranch_execz .LBB935_562
; %bb.559:                              ;   in Loop: Header=BB935_215 Depth=1
	v_and_b32_e32 v51, 0x7f, v42
	v_cmp_ne_u32_e32 vcc, s21, v51
	v_mov_b32_e32 v44, 0x7f80
	s_and_saveexec_b64 s[16:17], vcc
	s_cbranch_execz .LBB935_561
; %bb.560:                              ;   in Loop: Header=BB935_215 Depth=1
	v_and_b32_e32 v44, 7, v42
	v_ffbh_u32_e32 v56, v44
	v_min_u32_e32 v59, 32, v56
	v_subrev_u32_e32 v56, 28, v59
	v_lshlrev_b64 v[56:57], v56, v[42:43]
	v_lshrrev_b32_e32 v58, 3, v51
	v_sub_u32_e32 v42, 29, v59
	v_and_b32_e32 v56, 7, v56
	v_cmp_gt_u32_e32 vcc, 8, v51
	v_cndmask_b32_e32 v42, v58, v42, vcc
	v_cndmask_b32_e32 v44, v44, v56, vcc
	v_lshlrev_b32_e32 v51, 16, v40
	v_lshlrev_b32_e32 v44, 20, v44
	v_and_b32_e32 v51, 0x80000000, v51
	v_lshl_add_u32 v42, v42, 23, v55
	v_or3_b32 v42, v51, v42, v44
	v_lshrrev_b32_e32 v44, 16, v42
.LBB935_561:                            ;   in Loop: Header=BB935_215 Depth=1
	s_or_b64 exec, exec, s[16:17]
.LBB935_562:                            ;   in Loop: Header=BB935_215 Depth=1
	s_or_b64 exec, exec, s[14:15]
.LBB935_563:                            ;   in Loop: Header=BB935_215 Depth=1
	s_or_b64 exec, exec, s[12:13]
	v_lshrrev_b32_e32 v42, 16, v40
	v_cmp_ne_u16_sdwa s[14:15], v42, v54 src0_sel:BYTE_0 src1_sel:DWORD
	s_and_saveexec_b64 s[12:13], s[14:15]
	s_cbranch_execz .LBB935_569
; %bb.564:                              ;   in Loop: Header=BB935_215 Depth=1
	v_cmp_ne_u16_sdwa s[16:17], v42, s9 src0_sel:BYTE_0 src1_sel:DWORD
	v_mov_b32_e32 v50, 0xffff8000
	s_and_saveexec_b64 s[14:15], s[16:17]
	s_cbranch_execz .LBB935_568
; %bb.565:                              ;   in Loop: Header=BB935_215 Depth=1
	v_bfe_u32 v51, v40, 16, 7
	v_cmp_ne_u32_e32 vcc, s21, v51
	v_mov_b32_e32 v50, 0x7f80
	s_and_saveexec_b64 s[16:17], vcc
	s_cbranch_execz .LBB935_567
; %bb.566:                              ;   in Loop: Header=BB935_215 Depth=1
	v_and_b32_e32 v50, 7, v42
	v_ffbh_u32_e32 v56, v50
	v_min_u32_e32 v59, 32, v56
	v_subrev_u32_e32 v56, 28, v59
	v_lshlrev_b64 v[56:57], v56, v[42:43]
	v_lshrrev_b32_e32 v58, 3, v51
	v_sub_u32_e32 v57, 29, v59
	v_and_b32_e32 v56, 7, v56
	v_cmp_gt_u32_e32 vcc, 8, v51
	v_cndmask_b32_e32 v51, v58, v57, vcc
	v_cndmask_b32_e32 v50, v50, v56, vcc
	v_lshlrev_b32_e32 v42, 24, v42
	v_lshlrev_b32_e32 v50, 20, v50
	v_and_b32_e32 v42, 0x80000000, v42
	v_lshl_add_u32 v51, v51, 23, v55
	v_or3_b32 v42, v42, v51, v50
	v_lshrrev_b32_e32 v50, 16, v42
.LBB935_567:                            ;   in Loop: Header=BB935_215 Depth=1
	s_or_b64 exec, exec, s[16:17]
.LBB935_568:                            ;   in Loop: Header=BB935_215 Depth=1
	s_or_b64 exec, exec, s[14:15]
.LBB935_569:                            ;   in Loop: Header=BB935_215 Depth=1
	s_or_b64 exec, exec, s[12:13]
	v_cmp_lt_u32_e32 vcc, s22, v40
	v_mov_b32_e32 v51, 0
	v_mov_b32_e32 v56, 0
	s_and_saveexec_b64 s[12:13], vcc
	s_cbranch_execz .LBB935_575
; %bb.570:                              ;   in Loop: Header=BB935_215 Depth=1
	v_lshrrev_b32_e32 v42, 24, v40
	v_cmp_ne_u32_e32 vcc, s9, v42
	v_mov_b32_e32 v56, 0xffff8000
	s_and_saveexec_b64 s[14:15], vcc
	s_cbranch_execz .LBB935_574
; %bb.571:                              ;   in Loop: Header=BB935_215 Depth=1
	v_bfe_u32 v40, v40, 24, 7
	v_cmp_ne_u32_e32 vcc, s21, v40
	v_mov_b32_e32 v56, 0x7f80
	s_and_saveexec_b64 s[16:17], vcc
	s_cbranch_execz .LBB935_573
; %bb.572:                              ;   in Loop: Header=BB935_215 Depth=1
	v_and_b32_e32 v58, 7, v42
	v_ffbh_u32_e32 v56, v58
	v_min_u32_e32 v60, 32, v56
	v_subrev_u32_e32 v56, 28, v60
	v_lshlrev_b64 v[56:57], v56, v[42:43]
	v_lshrrev_b32_e32 v59, 3, v40
	v_sub_u32_e32 v57, 29, v60
	v_and_b32_e32 v56, 7, v56
	v_cmp_gt_u32_e32 vcc, 8, v40
	v_cndmask_b32_e32 v40, v59, v57, vcc
	v_cndmask_b32_e32 v56, v58, v56, vcc
	v_lshlrev_b32_e32 v42, 24, v42
	v_lshlrev_b32_e32 v56, 20, v56
	v_and_b32_e32 v42, 0x80000000, v42
	v_lshl_add_u32 v40, v40, 23, v55
	v_or3_b32 v40, v42, v40, v56
	v_lshrrev_b32_e32 v56, 16, v40
.LBB935_573:                            ;   in Loop: Header=BB935_215 Depth=1
	s_or_b64 exec, exec, s[16:17]
.LBB935_574:                            ;   in Loop: Header=BB935_215 Depth=1
	s_or_b64 exec, exec, s[14:15]
.LBB935_575:                            ;   in Loop: Header=BB935_215 Depth=1
	s_or_b64 exec, exec, s[12:13]
	s_waitcnt vmcnt(0)
	v_cmp_ne_u16_sdwa s[14:15], v38, v54 src0_sel:BYTE_0 src1_sel:DWORD
	s_and_saveexec_b64 s[12:13], s[14:15]
	s_cbranch_execz .LBB935_581
; %bb.576:                              ;   in Loop: Header=BB935_215 Depth=1
	v_cmp_ne_u16_sdwa s[16:17], v38, s9 src0_sel:BYTE_0 src1_sel:DWORD
	v_mov_b32_e32 v51, 0xffff8000
	s_and_saveexec_b64 s[14:15], s[16:17]
	s_cbranch_execz .LBB935_580
; %bb.577:                              ;   in Loop: Header=BB935_215 Depth=1
	v_and_b32_e32 v40, 0x7f, v38
	v_cmp_ne_u32_e32 vcc, s21, v40
	v_mov_b32_e32 v51, 0x7f80
	s_and_saveexec_b64 s[16:17], vcc
	s_cbranch_execz .LBB935_579
; %bb.578:                              ;   in Loop: Header=BB935_215 Depth=1
	v_and_b32_e32 v42, 7, v38
	v_ffbh_u32_e32 v57, v42
	v_min_u32_e32 v57, 32, v57
	v_subrev_u32_e32 v58, 28, v57
	v_lshlrev_b64 v[58:59], v58, v[38:39]
	v_lshrrev_b32_e32 v51, 3, v40
	v_sub_u32_e32 v57, 29, v57
	v_and_b32_e32 v58, 7, v58
	v_cmp_gt_u32_e32 vcc, 8, v40
	v_cndmask_b32_e32 v40, v51, v57, vcc
	v_cndmask_b32_e32 v42, v42, v58, vcc
	v_lshlrev_b32_e32 v51, 24, v38
	v_lshlrev_b32_e32 v42, 20, v42
	v_and_b32_e32 v51, 0x80000000, v51
	v_lshl_add_u32 v40, v40, 23, v55
	v_or3_b32 v40, v51, v40, v42
	v_lshrrev_b32_e32 v51, 16, v40
.LBB935_579:                            ;   in Loop: Header=BB935_215 Depth=1
	s_or_b64 exec, exec, s[16:17]
.LBB935_580:                            ;   in Loop: Header=BB935_215 Depth=1
	s_or_b64 exec, exec, s[14:15]
.LBB935_581:                            ;   in Loop: Header=BB935_215 Depth=1
	s_or_b64 exec, exec, s[12:13]
	v_lshrrev_b16_e32 v40, 8, v38
	v_cmp_ne_u16_e32 vcc, 0, v40
	v_mov_b32_e32 v57, 0
	v_mov_b32_e32 v42, 0
	s_and_saveexec_b64 s[12:13], vcc
	s_cbranch_execz .LBB935_587
; %bb.582:                              ;   in Loop: Header=BB935_215 Depth=1
	v_cmp_ne_u16_e32 vcc, s9, v40
	v_mov_b32_e32 v42, 0xffff8000
	s_and_saveexec_b64 s[14:15], vcc
	s_cbranch_execz .LBB935_586
; %bb.583:                              ;   in Loop: Header=BB935_215 Depth=1
	v_and_b32_e32 v58, 0x7f, v40
	v_cmp_ne_u32_e32 vcc, s21, v58
	v_mov_b32_e32 v42, 0x7f80
	s_and_saveexec_b64 s[16:17], vcc
	s_cbranch_execz .LBB935_585
; %bb.584:                              ;   in Loop: Header=BB935_215 Depth=1
	v_and_b32_e32 v42, 7, v40
	v_ffbh_u32_e32 v60, v42
	v_min_u32_e32 v62, 32, v60
	v_subrev_u32_e32 v60, 28, v62
	v_lshlrev_b64 v[60:61], v60, v[40:41]
	v_lshrrev_b32_e32 v59, 3, v58
	v_sub_u32_e32 v40, 29, v62
	v_and_b32_e32 v60, 7, v60
	v_cmp_gt_u32_e32 vcc, 8, v58
	v_cndmask_b32_e32 v40, v59, v40, vcc
	v_cndmask_b32_e32 v42, v42, v60, vcc
	v_lshlrev_b32_e32 v58, 16, v38
	v_lshlrev_b32_e32 v42, 20, v42
	v_and_b32_e32 v58, 0x80000000, v58
	v_lshl_add_u32 v40, v40, 23, v55
	v_or3_b32 v40, v58, v40, v42
	v_lshrrev_b32_e32 v42, 16, v40
.LBB935_585:                            ;   in Loop: Header=BB935_215 Depth=1
	s_or_b64 exec, exec, s[16:17]
.LBB935_586:                            ;   in Loop: Header=BB935_215 Depth=1
	s_or_b64 exec, exec, s[14:15]
.LBB935_587:                            ;   in Loop: Header=BB935_215 Depth=1
	s_or_b64 exec, exec, s[12:13]
	v_lshrrev_b32_e32 v40, 16, v38
	v_cmp_ne_u16_sdwa s[14:15], v40, v54 src0_sel:BYTE_0 src1_sel:DWORD
	s_and_saveexec_b64 s[12:13], s[14:15]
	s_cbranch_execz .LBB935_593
; %bb.588:                              ;   in Loop: Header=BB935_215 Depth=1
	v_cmp_ne_u16_sdwa s[16:17], v40, s9 src0_sel:BYTE_0 src1_sel:DWORD
	v_mov_b32_e32 v57, 0xffff8000
	s_and_saveexec_b64 s[14:15], s[16:17]
	s_cbranch_execz .LBB935_592
; %bb.589:                              ;   in Loop: Header=BB935_215 Depth=1
	v_bfe_u32 v58, v38, 16, 7
	v_cmp_ne_u32_e32 vcc, s21, v58
	v_mov_b32_e32 v57, 0x7f80
	s_and_saveexec_b64 s[16:17], vcc
	s_cbranch_execz .LBB935_591
; %bb.590:                              ;   in Loop: Header=BB935_215 Depth=1
	v_and_b32_e32 v57, 7, v40
	v_ffbh_u32_e32 v60, v57
	v_min_u32_e32 v62, 32, v60
	v_subrev_u32_e32 v60, 28, v62
	v_lshlrev_b64 v[60:61], v60, v[40:41]
	v_lshrrev_b32_e32 v59, 3, v58
	v_sub_u32_e32 v61, 29, v62
	v_and_b32_e32 v60, 7, v60
	v_cmp_gt_u32_e32 vcc, 8, v58
	v_cndmask_b32_e32 v58, v59, v61, vcc
	v_cndmask_b32_e32 v57, v57, v60, vcc
	v_lshlrev_b32_e32 v40, 24, v40
	v_lshlrev_b32_e32 v57, 20, v57
	v_and_b32_e32 v40, 0x80000000, v40
	v_lshl_add_u32 v58, v58, 23, v55
	v_or3_b32 v40, v40, v58, v57
	v_lshrrev_b32_e32 v57, 16, v40
.LBB935_591:                            ;   in Loop: Header=BB935_215 Depth=1
	s_or_b64 exec, exec, s[16:17]
.LBB935_592:                            ;   in Loop: Header=BB935_215 Depth=1
	s_or_b64 exec, exec, s[14:15]
.LBB935_593:                            ;   in Loop: Header=BB935_215 Depth=1
	s_or_b64 exec, exec, s[12:13]
	v_cmp_lt_u32_e32 vcc, s22, v38
	v_mov_b32_e32 v58, 0
	s_and_saveexec_b64 s[12:13], vcc
	s_cbranch_execz .LBB935_214
; %bb.594:                              ;   in Loop: Header=BB935_215 Depth=1
	v_lshrrev_b32_e32 v40, 24, v38
	v_cmp_ne_u32_e32 vcc, s9, v40
	v_mov_b32_e32 v58, 0xffff8000
	s_and_saveexec_b64 s[14:15], vcc
	s_cbranch_execz .LBB935_213
; %bb.595:                              ;   in Loop: Header=BB935_215 Depth=1
	v_bfe_u32 v38, v38, 24, 7
	v_cmp_ne_u32_e32 vcc, s21, v38
	v_mov_b32_e32 v58, 0x7f80
	s_and_saveexec_b64 s[16:17], vcc
	s_cbranch_execz .LBB935_212
; %bb.596:                              ;   in Loop: Header=BB935_215 Depth=1
	v_and_b32_e32 v60, 7, v40
	v_ffbh_u32_e32 v58, v60
	v_min_u32_e32 v62, 32, v58
	v_subrev_u32_e32 v58, 28, v62
	v_lshlrev_b64 v[58:59], v58, v[40:41]
	v_lshrrev_b32_e32 v61, 3, v38
	v_sub_u32_e32 v59, 29, v62
	v_and_b32_e32 v58, 7, v58
	v_cmp_gt_u32_e32 vcc, 8, v38
	v_cndmask_b32_e32 v38, v61, v59, vcc
	v_cndmask_b32_e32 v58, v60, v58, vcc
	v_lshlrev_b32_e32 v40, 24, v40
	v_lshlrev_b32_e32 v58, 20, v58
	v_and_b32_e32 v40, 0x80000000, v40
	v_lshl_add_u32 v38, v38, 23, v55
	v_or3_b32 v38, v40, v38, v58
	v_lshrrev_b32_e32 v58, 16, v38
	s_branch .LBB935_212
.LBB935_597:
	s_barrier
	buffer_load_dword v2, off, s[0:3], 0 offset:320
	buffer_load_dword v5, off, s[0:3], 0 offset:332
	;; [unrolled: 1-line block ×4, first 2 shown]
	v_cmp_gt_u32_e32 vcc, 64, v0
	s_waitcnt vmcnt(0)
	ds_write2st64_b64 v52, v[2:3], v[4:5] offset1:1
	s_waitcnt lgkmcnt(0)
	s_barrier
	s_and_saveexec_b64 s[4:5], vcc
	s_cbranch_execz .LBB935_600
; %bb.598:
	s_lshl_b32 s4, s48, 7
	s_mul_i32 s5, s18, s8
	s_mul_hi_u32 s9, s5, s4
	s_mul_i32 s8, s5, s4
	s_lshl_b64 s[8:9], s[8:9], 1
	v_lshlrev_b32_e32 v4, 6, v41
	s_add_u32 s5, s50, s8
	v_lshl_or_b32 v0, v0, 10, v4
	s_mov_b32 s7, 0
	s_addc_u32 s8, s51, s9
	s_lshl_b32 s6, s26, 7
	v_lshlrev_b32_e32 v2, 5, v1
	v_and_b32_e32 v3, 16, v43
	v_and_b32_e32 v0, 0x1a00, v0
	s_lshl_b64 s[6:7], s[6:7], 1
	v_or3_b32 v0, v0, v2, v3
	s_add_u32 s5, s5, s6
	v_or_b32_e32 v2, 8, v1
	s_addc_u32 s6, s8, s7
	ds_read_b128 v[6:9], v0 offset:128
	ds_read_b128 v[10:13], v0
	v_add_u32_e32 v1, s27, v1
	v_mov_b32_e32 v4, s6
	v_add_co_u32_e32 v3, vcc, s5, v39
	v_mad_u64_u32 v[14:15], s[6:7], v1, s4, 0
	v_addc_co_u32_e32 v4, vcc, 0, v4, vcc
	v_lshlrev_b64 v[14:15], 1, v[14:15]
	v_add_co_u32_e32 v14, vcc, v3, v14
	v_addc_co_u32_e32 v15, vcc, v4, v15, vcc
	v_add_u32_e32 v1, 4, v1
	s_waitcnt lgkmcnt(0)
	global_store_dwordx4 v[14:15], v[10:13], off
	s_nop 0
	v_mad_u64_u32 v[10:11], s[6:7], v1, s4, 0
	v_lshlrev_b64 v[10:11], 1, v[10:11]
	v_add_co_u32_e32 v10, vcc, v3, v10
	v_addc_co_u32_e32 v11, vcc, v4, v11, vcc
	v_cmp_gt_u32_e32 vcc, 10, v2
	global_store_dwordx4 v[10:11], v[6:9], off
	s_and_b64 exec, exec, vcc
	s_cbranch_execz .LBB935_600
; %bb.599:
	ds_read_b128 v[6:9], v0 offset:256
	v_add_u32_e32 v0, s27, v2
	v_mad_u64_u32 v[0:1], s[4:5], v0, s4, 0
	v_lshlrev_b64 v[0:1], 1, v[0:1]
	v_add_co_u32_e32 v0, vcc, v3, v0
	v_addc_co_u32_e32 v1, vcc, v4, v1, vcc
	s_waitcnt lgkmcnt(0)
	global_store_dwordx4 v[0:1], v[6:9], off
.LBB935_600:
	s_endpgm
	.section	.rodata,"a",@progbits
	.p2align	6, 0x0
	.amdhsa_kernel _Z39paged_attention_ll4mi_QKV_mfma16_kernelI14__hip_bfloat16hLN4vllm18Fp8KVCacheDataTypeE1ES0_Li32ELi128ELi256ELb1ELi10EL8MFMAType0EEvPKT_PKT0_S9_ifPKiSB_SB_iPKfiiiPfSE_PS4_PT2_iSD_SD_
		.amdhsa_group_segment_fixed_size 8192
		.amdhsa_private_segment_fixed_size 352
		.amdhsa_kernarg_size 400
		.amdhsa_user_sgpr_count 8
		.amdhsa_user_sgpr_private_segment_buffer 1
		.amdhsa_user_sgpr_dispatch_ptr 0
		.amdhsa_user_sgpr_queue_ptr 0
		.amdhsa_user_sgpr_kernarg_segment_ptr 1
		.amdhsa_user_sgpr_dispatch_id 0
		.amdhsa_user_sgpr_flat_scratch_init 1
		.amdhsa_user_sgpr_kernarg_preload_length 0
		.amdhsa_user_sgpr_kernarg_preload_offset 0
		.amdhsa_user_sgpr_private_segment_size 0
		.amdhsa_uses_dynamic_stack 0
		.amdhsa_system_sgpr_private_segment_wavefront_offset 1
		.amdhsa_system_sgpr_workgroup_id_x 1
		.amdhsa_system_sgpr_workgroup_id_y 1
		.amdhsa_system_sgpr_workgroup_id_z 1
		.amdhsa_system_sgpr_workgroup_info 0
		.amdhsa_system_vgpr_workitem_id 0
		.amdhsa_next_free_vgpr 80
		.amdhsa_next_free_sgpr 53
		.amdhsa_accum_offset 80
		.amdhsa_reserve_vcc 1
		.amdhsa_reserve_flat_scratch 0
		.amdhsa_float_round_mode_32 0
		.amdhsa_float_round_mode_16_64 0
		.amdhsa_float_denorm_mode_32 3
		.amdhsa_float_denorm_mode_16_64 3
		.amdhsa_dx10_clamp 1
		.amdhsa_ieee_mode 1
		.amdhsa_fp16_overflow 0
		.amdhsa_tg_split 0
		.amdhsa_exception_fp_ieee_invalid_op 0
		.amdhsa_exception_fp_denorm_src 0
		.amdhsa_exception_fp_ieee_div_zero 0
		.amdhsa_exception_fp_ieee_overflow 0
		.amdhsa_exception_fp_ieee_underflow 0
		.amdhsa_exception_fp_ieee_inexact 0
		.amdhsa_exception_int_div_zero 0
	.end_amdhsa_kernel
	.section	.text._Z39paged_attention_ll4mi_QKV_mfma16_kernelI14__hip_bfloat16hLN4vllm18Fp8KVCacheDataTypeE1ES0_Li32ELi128ELi256ELb1ELi10EL8MFMAType0EEvPKT_PKT0_S9_ifPKiSB_SB_iPKfiiiPfSE_PS4_PT2_iSD_SD_,"axG",@progbits,_Z39paged_attention_ll4mi_QKV_mfma16_kernelI14__hip_bfloat16hLN4vllm18Fp8KVCacheDataTypeE1ES0_Li32ELi128ELi256ELb1ELi10EL8MFMAType0EEvPKT_PKT0_S9_ifPKiSB_SB_iPKfiiiPfSE_PS4_PT2_iSD_SD_,comdat
.Lfunc_end935:
	.size	_Z39paged_attention_ll4mi_QKV_mfma16_kernelI14__hip_bfloat16hLN4vllm18Fp8KVCacheDataTypeE1ES0_Li32ELi128ELi256ELb1ELi10EL8MFMAType0EEvPKT_PKT0_S9_ifPKiSB_SB_iPKfiiiPfSE_PS4_PT2_iSD_SD_, .Lfunc_end935-_Z39paged_attention_ll4mi_QKV_mfma16_kernelI14__hip_bfloat16hLN4vllm18Fp8KVCacheDataTypeE1ES0_Li32ELi128ELi256ELb1ELi10EL8MFMAType0EEvPKT_PKT0_S9_ifPKiSB_SB_iPKfiiiPfSE_PS4_PT2_iSD_SD_
                                        ; -- End function
	.section	.AMDGPU.csdata,"",@progbits
; Kernel info:
; codeLenInByte = 22564
; NumSgprs: 57
; NumVgprs: 80
; NumAgprs: 0
; TotalNumVgprs: 80
; ScratchSize: 352
; MemoryBound: 0
; FloatMode: 240
; IeeeMode: 1
; LDSByteSize: 8192 bytes/workgroup (compile time only)
; SGPRBlocks: 7
; VGPRBlocks: 9
; NumSGPRsForWavesPerEU: 57
; NumVGPRsForWavesPerEU: 80
; AccumOffset: 80
; Occupancy: 6
; WaveLimiterHint : 1
; COMPUTE_PGM_RSRC2:SCRATCH_EN: 1
; COMPUTE_PGM_RSRC2:USER_SGPR: 8
; COMPUTE_PGM_RSRC2:TRAP_HANDLER: 0
; COMPUTE_PGM_RSRC2:TGID_X_EN: 1
; COMPUTE_PGM_RSRC2:TGID_Y_EN: 1
; COMPUTE_PGM_RSRC2:TGID_Z_EN: 1
; COMPUTE_PGM_RSRC2:TIDIG_COMP_CNT: 0
; COMPUTE_PGM_RSRC3_GFX90A:ACCUM_OFFSET: 19
; COMPUTE_PGM_RSRC3_GFX90A:TG_SPLIT: 0
	.section	.text._Z39paged_attention_ll4mi_QKV_mfma16_kernelI14__hip_bfloat16hLN4vllm18Fp8KVCacheDataTypeE1ES0_Li32ELi128ELi256ELb1ELi11EL8MFMAType0EEvPKT_PKT0_S9_ifPKiSB_SB_iPKfiiiPfSE_PS4_PT2_iSD_SD_,"axG",@progbits,_Z39paged_attention_ll4mi_QKV_mfma16_kernelI14__hip_bfloat16hLN4vllm18Fp8KVCacheDataTypeE1ES0_Li32ELi128ELi256ELb1ELi11EL8MFMAType0EEvPKT_PKT0_S9_ifPKiSB_SB_iPKfiiiPfSE_PS4_PT2_iSD_SD_,comdat
	.protected	_Z39paged_attention_ll4mi_QKV_mfma16_kernelI14__hip_bfloat16hLN4vllm18Fp8KVCacheDataTypeE1ES0_Li32ELi128ELi256ELb1ELi11EL8MFMAType0EEvPKT_PKT0_S9_ifPKiSB_SB_iPKfiiiPfSE_PS4_PT2_iSD_SD_ ; -- Begin function _Z39paged_attention_ll4mi_QKV_mfma16_kernelI14__hip_bfloat16hLN4vllm18Fp8KVCacheDataTypeE1ES0_Li32ELi128ELi256ELb1ELi11EL8MFMAType0EEvPKT_PKT0_S9_ifPKiSB_SB_iPKfiiiPfSE_PS4_PT2_iSD_SD_
	.globl	_Z39paged_attention_ll4mi_QKV_mfma16_kernelI14__hip_bfloat16hLN4vllm18Fp8KVCacheDataTypeE1ES0_Li32ELi128ELi256ELb1ELi11EL8MFMAType0EEvPKT_PKT0_S9_ifPKiSB_SB_iPKfiiiPfSE_PS4_PT2_iSD_SD_
	.p2align	8
	.type	_Z39paged_attention_ll4mi_QKV_mfma16_kernelI14__hip_bfloat16hLN4vllm18Fp8KVCacheDataTypeE1ES0_Li32ELi128ELi256ELb1ELi11EL8MFMAType0EEvPKT_PKT0_S9_ifPKiSB_SB_iPKfiiiPfSE_PS4_PT2_iSD_SD_,@function
_Z39paged_attention_ll4mi_QKV_mfma16_kernelI14__hip_bfloat16hLN4vllm18Fp8KVCacheDataTypeE1ES0_Li32ELi128ELi256ELb1ELi11EL8MFMAType0EEvPKT_PKT0_S9_ifPKiSB_SB_iPKfiiiPfSE_PS4_PT2_iSD_SD_: ; @_Z39paged_attention_ll4mi_QKV_mfma16_kernelI14__hip_bfloat16hLN4vllm18Fp8KVCacheDataTypeE1ES0_Li32ELi128ELi256ELb1ELi11EL8MFMAType0EEvPKT_PKT0_S9_ifPKiSB_SB_iPKfiiiPfSE_PS4_PT2_iSD_SD_
; %bb.0:
	s_load_dwordx2 s[6:7], s[4:5], 0x30
	s_add_u32 s0, s0, s11
	s_addc_u32 s1, s1, 0
	s_mov_b32 s26, s9
	s_mov_b64 s[14:15], 0
	s_waitcnt lgkmcnt(0)
	s_cmp_lg_u64 s[6:7], 0
	s_cselect_b64 s[12:13], -1, 0
	s_and_b64 vcc, exec, s[12:13]
	s_cbranch_vccz .LBB936_7
; %bb.1:
	s_add_i32 s16, s8, 1
	s_mov_b32 s17, 0
	s_lshl_b64 s[18:19], s[16:17], 2
	s_add_u32 s18, s6, s18
	s_mov_b32 s9, s17
	s_addc_u32 s19, s7, s19
	s_lshl_b64 s[16:17], s[8:9], 2
	s_add_u32 s16, s6, s16
	s_addc_u32 s17, s7, s17
	s_load_dword s11, s[18:19], 0x0
	s_load_dword s20, s[16:17], 0x0
	s_waitcnt lgkmcnt(0)
	s_sub_i32 s11, s11, s20
	s_cmp_eq_u32 s11, 1
	s_cselect_b64 s[16:17], -1, 0
	s_andn2_b64 vcc, exec, s[14:15]
	s_cbranch_vccnz .LBB936_3
.LBB936_2:
	s_mov_b32 s9, 0
	s_mov_b64 s[16:17], -1
.LBB936_3:
	s_andn2_b64 vcc, exec, s[16:17]
	s_cbranch_vccnz .LBB936_600
; %bb.4:
	s_load_dwordx2 s[16:17], s[4:5], 0x28
	s_lshl_b64 s[14:15], s[8:9], 2
	s_waitcnt lgkmcnt(0)
	s_add_u32 s16, s16, s14
	s_addc_u32 s17, s17, s15
	s_load_dword s33, s[16:17], 0x0
	s_lshl_b32 s20, s26, 8
	s_waitcnt lgkmcnt(0)
	s_cmp_ge_i32 s20, s33
	s_cbranch_scc1 .LBB936_600
; %bb.5:
	s_add_i32 s18, s33, 31
	s_load_dwordx2 s[16:17], s[4:5], 0x20
	s_load_dword s11, s[4:5], 0x38
	s_ashr_i32 s19, s18, 31
	v_and_b32_e32 v1, 0xcf, v0
	s_lshr_b32 s19, s19, 27
	v_add_u32_e32 v1, s20, v1
	s_add_i32 s18, s18, s19
	v_ashrrev_i32_e32 v2, 31, v1
	s_ashr_i32 s23, s18, 5
	v_lshrrev_b32_e32 v4, 27, v2
	s_add_i32 s23, s23, -1
	v_add_u32_e32 v2, v1, v4
	s_waitcnt lgkmcnt(0)
	s_mul_i32 s18, s8, s11
	s_mov_b32 s19, 0
	v_ashrrev_i32_e32 v2, 5, v2
	v_mov_b32_e32 v5, s23
	v_cmp_gt_i32_e32 vcc, s33, v1
	s_lshl_b64 s[18:19], s[18:19], 2
	v_cndmask_b32_e32 v2, v5, v2, vcc
	s_add_u32 s21, s16, s18
	v_ashrrev_i32_e32 v3, 31, v2
	s_addc_u32 s22, s17, s19
	v_lshlrev_b64 v[2:3], 2, v[2:3]
	v_mov_b32_e32 v7, s22
	v_add_co_u32_e32 v6, vcc, s21, v2
	v_or_b32_e32 v2, 16, v1
	v_addc_co_u32_e32 v7, vcc, v7, v3, vcc
	v_add_u32_e32 v3, v2, v4
	v_ashrrev_i32_e32 v3, 5, v3
	v_cmp_gt_i32_e32 vcc, s33, v2
	v_cndmask_b32_e32 v2, v5, v3, vcc
	v_ashrrev_i32_e32 v3, 31, v2
	v_lshlrev_b64 v[2:3], 2, v[2:3]
	v_mov_b32_e32 v9, s22
	v_add_co_u32_e32 v8, vcc, s21, v2
	v_or_b32_e32 v2, 32, v1
	v_addc_co_u32_e32 v9, vcc, v9, v3, vcc
	v_add_u32_e32 v3, v2, v4
	v_ashrrev_i32_e32 v3, 5, v3
	v_cmp_gt_i32_e32 vcc, s33, v2
	v_cndmask_b32_e32 v2, v5, v3, vcc
	v_ashrrev_i32_e32 v3, 31, v2
	;; [unrolled: 10-line block ×3, first 2 shown]
	v_lshlrev_b64 v[2:3], 2, v[2:3]
	v_mov_b32_e32 v1, s22
	v_add_co_u32_e32 v12, vcc, s21, v2
	v_addc_co_u32_e32 v13, vcc, v1, v3, vcc
	global_load_dword v5, v[6:7], off
	global_load_dword v4, v[8:9], off
	;; [unrolled: 1-line block ×4, first 2 shown]
	s_load_dwordx2 s[16:17], s[4:5], 0x8
	s_andn2_b64 vcc, exec, s[12:13]
	s_cbranch_vccnz .LBB936_8
; %bb.6:
	s_add_u32 s6, s6, s14
	s_addc_u32 s7, s7, s15
	s_load_dword s11, s[6:7], 0x0
	s_branch .LBB936_9
.LBB936_7:
	s_mov_b64 s[16:17], 0
	s_branch .LBB936_2
.LBB936_8:
	s_mov_b32 s11, s8
.LBB936_9:
	s_load_dwordx2 s[6:7], s[4:5], 0x10
	s_load_dwordx4 s[12:15], s[4:5], 0x48
	v_lshrrev_b32_e32 v27, 6, v0
	v_bfe_u32 v1, v0, 4, 2
	v_and_b32_e32 v41, 15, v0
	v_lshl_or_b32 v6, v27, 2, v1
	v_lshlrev_b32_e32 v7, 3, v41
	s_mul_i32 s27, s10, 11
	v_cmp_gt_u32_e32 vcc, 11, v6
	v_lshlrev_b32_e32 v39, 1, v7
	v_lshlrev_b32_e32 v43, 4, v0
	s_and_saveexec_b64 s[18:19], vcc
	s_cbranch_execz .LBB936_11
; %bb.10:
	s_load_dwordx2 s[24:25], s[4:5], 0x0
	s_waitcnt lgkmcnt(0)
	s_ashr_i32 s15, s12, 31
	s_mul_hi_u32 s28, s11, s12
	s_mul_i32 s15, s11, s15
	s_add_i32 s29, s28, s15
	s_mul_i32 s28, s11, s12
	s_lshl_b64 s[28:29], s[28:29], 1
	v_add_lshl_u32 v8, v6, s27, 7
	s_add_u32 s11, s24, s28
	v_ashrrev_i32_e32 v9, 31, v8
	s_addc_u32 s12, s25, s29
	v_lshlrev_b64 v[8:9], 1, v[8:9]
	v_mov_b32_e32 v7, s12
	v_add_co_u32_e32 v8, vcc, s11, v8
	v_addc_co_u32_e32 v7, vcc, v7, v9, vcc
	v_add_co_u32_e32 v8, vcc, v8, v39
	v_addc_co_u32_e32 v9, vcc, 0, v7, vcc
	global_load_dwordx4 v[8:11], v[8:9], off
	v_lshlrev_b32_e32 v12, 8, v0
	v_lshlrev_b32_e32 v7, 8, v41
	v_and_b32_e32 v12, 0x600, v12
	s_movk_i32 s11, 0x800
	v_and_or_b32 v7, v7, s11, v12
	v_lshlrev_b32_e32 v6, 5, v6
	v_and_b32_e32 v12, 16, v43
	v_or3_b32 v6, v7, v6, v12
	s_waitcnt vmcnt(0)
	ds_write_b128 v6, v[8:11]
.LBB936_11:
	s_or_b64 exec, exec, s[18:19]
	s_waitcnt lgkmcnt(0)
	s_mul_i32 s14, s10, s14
	s_add_u32 s10, s16, s14
	s_addc_u32 s11, s17, 0
	v_pk_mov_b32 v[6:7], s[10:11], s[10:11] op_sel:[0,1]
	s_waitcnt vmcnt(3)
	v_mad_i64_i32 v[8:9], s[10:11], v5, s13, v[6:7]
	v_lshlrev_b32_e32 v11, 4, v41
	v_and_b32_e32 v18, 48, v0
	v_add_co_u32_e32 v5, vcc, v8, v11
	v_lshlrev_b32_e32 v10, 5, v18
	v_addc_co_u32_e32 v9, vcc, 0, v9, vcc
	v_add_co_u32_e32 v8, vcc, v5, v10
	v_addc_co_u32_e32 v9, vcc, 0, v9, vcc
	s_load_dwordx2 s[48:49], s[4:5], 0x94
	s_waitcnt lgkmcnt(0)
	s_barrier
	global_load_dwordx4 v[20:23], v[8:9], off
	global_load_dwordx4 v[28:31], v[8:9], off offset:2048
	s_waitcnt vmcnt(4)
	v_mad_i64_i32 v[4:5], s[10:11], v4, s13, v[6:7]
	v_or_b32_e32 v8, 0x100, v11
	v_add_co_u32_e32 v4, vcc, v4, v8
	v_addc_co_u32_e32 v5, vcc, 0, v5, vcc
	v_add_co_u32_e32 v4, vcc, v4, v10
	v_addc_co_u32_e32 v5, vcc, 0, v5, vcc
	global_load_dwordx4 v[32:35], v[4:5], off
	global_load_dwordx4 v[44:47], v[4:5], off offset:2048
	s_waitcnt vmcnt(5)
	v_mad_i64_i32 v[4:5], s[10:11], v3, s13, v[6:7]
	v_add_co_u32_e32 v3, vcc, v4, v11
	v_addc_co_u32_e32 v5, vcc, 0, v5, vcc
	v_add_co_u32_e32 v4, vcc, v3, v10
	v_addc_co_u32_e32 v5, vcc, 0, v5, vcc
	s_waitcnt vmcnt(4)
	v_mad_i64_i32 v[2:3], s[10:11], v2, s13, v[6:7]
	v_add_co_u32_e32 v2, vcc, v2, v8
	v_addc_co_u32_e32 v3, vcc, 0, v3, vcc
	v_add_co_u32_e32 v2, vcc, v2, v10
	v_addc_co_u32_e32 v3, vcc, 0, v3, vcc
	global_load_dwordx4 v[48:51], v[4:5], off
	global_load_dwordx4 v[52:55], v[4:5], off offset:2048
	global_load_dwordx4 v[56:59], v[2:3], off
	global_load_dwordx4 v[60:63], v[2:3], off offset:2048
	v_add_u32_e32 v2, -11, v41
	v_cmp_gt_u32_e32 vcc, 11, v41
	v_cndmask_b32_e32 v2, v2, v41, vcc
	v_lshlrev_b32_e32 v2, 5, v2
	v_lshl_add_u32 v14, v1, 9, v2
	s_load_dwordx2 s[50:51], s[4:5], 0x68
	s_load_dwordx4 s[44:47], s[4:5], 0x58
	ds_read_b128 v[2:5], v14
	ds_read_b128 v[6:9], v14 offset:16
	ds_read_b128 v[10:13], v14 offset:2048
	;; [unrolled: 1-line block ×3, first 2 shown]
	s_mov_b32 s12, 0
	s_waitcnt vmcnt(7)
	buffer_store_dword v23, off, s[0:3], 0 offset:12
	buffer_store_dword v22, off, s[0:3], 0 offset:8
	;; [unrolled: 1-line block ×3, first 2 shown]
	buffer_store_dword v20, off, s[0:3], 0
	s_waitcnt vmcnt(10)
	buffer_store_dword v31, off, s[0:3], 0 offset:28
	buffer_store_dword v30, off, s[0:3], 0 offset:24
	buffer_store_dword v29, off, s[0:3], 0 offset:20
	buffer_store_dword v28, off, s[0:3], 0 offset:16
	s_waitcnt vmcnt(13)
	buffer_store_dword v35, off, s[0:3], 0 offset:44
	buffer_store_dword v34, off, s[0:3], 0 offset:40
	buffer_store_dword v33, off, s[0:3], 0 offset:36
	buffer_store_dword v32, off, s[0:3], 0 offset:32
	s_waitcnt vmcnt(16)
	buffer_store_dword v47, off, s[0:3], 0 offset:60
	buffer_store_dword v46, off, s[0:3], 0 offset:56
	buffer_store_dword v45, off, s[0:3], 0 offset:52
	buffer_store_dword v44, off, s[0:3], 0 offset:48
	s_waitcnt vmcnt(19)
	buffer_store_dword v51, off, s[0:3], 0 offset:76
	buffer_store_dword v50, off, s[0:3], 0 offset:72
	buffer_store_dword v49, off, s[0:3], 0 offset:68
	buffer_store_dword v48, off, s[0:3], 0 offset:64
	s_waitcnt vmcnt(22)
	buffer_store_dword v55, off, s[0:3], 0 offset:92
	buffer_store_dword v54, off, s[0:3], 0 offset:88
	buffer_store_dword v53, off, s[0:3], 0 offset:84
	buffer_store_dword v52, off, s[0:3], 0 offset:80
	s_waitcnt vmcnt(25)
	buffer_store_dword v59, off, s[0:3], 0 offset:108
	buffer_store_dword v58, off, s[0:3], 0 offset:104
	buffer_store_dword v57, off, s[0:3], 0 offset:100
	buffer_store_dword v56, off, s[0:3], 0 offset:96
	s_waitcnt vmcnt(28)
	buffer_store_dword v60, off, s[0:3], 0 offset:112
	buffer_store_dword v61, off, s[0:3], 0 offset:116
	buffer_store_dword v62, off, s[0:3], 0 offset:120
	buffer_store_dword v63, off, s[0:3], 0 offset:124
	v_mov_b32_e32 v35, 0
	v_mov_b32_e32 v31, 0
	s_and_saveexec_b64 s[10:11], vcc
	s_cbranch_execz .LBB936_13
; %bb.12:
	s_load_dwordx2 s[16:17], s[4:5], 0x40
	v_add_u32_e32 v20, s27, v41
	v_ashrrev_i32_e32 v21, 31, v20
	v_lshlrev_b64 v[20:21], 2, v[20:21]
	s_waitcnt lgkmcnt(0)
	v_mov_b32_e32 v19, s17
	v_add_co_u32_e32 v20, vcc, s16, v20
	v_addc_co_u32_e32 v21, vcc, v19, v21, vcc
	global_load_dword v31, v[20:21], off
.LBB936_13:
	s_or_b64 exec, exec, s[10:11]
	s_ashr_i32 s10, s20, 31
	v_or_b32_e32 v24, s20, v18
	s_lshr_b32 s10, s10, 27
	v_add_u32_e32 v18, s10, v24
	v_ashrrev_i32_e32 v18, 5, v18
	v_mov_b32_e32 v25, s23
	v_cmp_gt_i32_e32 vcc, s33, v24
	v_cndmask_b32_e32 v18, v25, v18, vcc
	v_ashrrev_i32_e32 v19, 31, v18
	v_lshlrev_b64 v[18:19], 2, v[18:19]
	v_mov_b32_e32 v20, s22
	v_add_co_u32_e32 v18, vcc, s21, v18
	v_addc_co_u32_e32 v19, vcc, v20, v19, vcc
	v_or_b32_e32 v20, 64, v24
	v_add_u32_e32 v21, s10, v20
	v_ashrrev_i32_e32 v21, 5, v21
	v_cmp_gt_i32_e32 vcc, s33, v20
	v_cndmask_b32_e32 v20, v25, v21, vcc
	v_ashrrev_i32_e32 v21, 31, v20
	v_lshlrev_b64 v[20:21], 2, v[20:21]
	v_mov_b32_e32 v22, s22
	v_add_co_u32_e32 v20, vcc, s21, v20
	v_addc_co_u32_e32 v21, vcc, v22, v21, vcc
	v_or_b32_e32 v22, 0x80, v24
	v_add_u32_e32 v23, s10, v22
	v_ashrrev_i32_e32 v23, 5, v23
	v_cmp_gt_i32_e32 vcc, s33, v22
	v_cndmask_b32_e32 v22, v25, v23, vcc
	v_ashrrev_i32_e32 v23, 31, v22
	v_lshlrev_b64 v[22:23], 2, v[22:23]
	v_mov_b32_e32 v26, s22
	v_add_co_u32_e32 v22, vcc, s21, v22
	v_addc_co_u32_e32 v23, vcc, v26, v23, vcc
	global_load_dword v26, v[18:19], off
	global_load_dword v28, v[20:21], off
	;; [unrolled: 1-line block ×3, first 2 shown]
	v_or_b32_e32 v18, 0xc0, v24
	v_add_u32_e32 v19, s10, v18
	v_ashrrev_i32_e32 v19, 5, v19
	v_cmp_gt_i32_e32 vcc, s33, v18
	v_cndmask_b32_e32 v18, v25, v19, vcc
	v_ashrrev_i32_e32 v19, 31, v18
	v_lshlrev_b64 v[18:19], 2, v[18:19]
	v_mov_b32_e32 v20, s22
	v_add_co_u32_e32 v18, vcc, s21, v18
	v_addc_co_u32_e32 v19, vcc, v20, v19, vcc
	global_load_dword v32, v[18:19], off
	s_add_u32 s6, s6, s14
	v_and_b32_e32 v18, 16, v0
	s_addc_u32 s7, s7, 0
	v_lshl_or_b32 v29, v27, 4, v41
	v_mov_b32_e32 v20, s7
	v_add_co_u32_e32 v34, vcc, s6, v18
	v_lshlrev_b32_e32 v19, 5, v29
	v_addc_co_u32_e32 v36, vcc, 0, v20, vcc
	v_add_co_u32_e32 v22, vcc, v34, v19
	v_addc_co_u32_e32 v23, vcc, 0, v36, vcc
	v_or_b32_e32 v33, 0x800, v19
	s_movk_i32 s14, 0x7f
	s_mov_b32 s15, 0xffffff
	s_mov_b32 s16, 0x5040100
	v_mov_b32_e32 v37, 0x100
	v_bfrev_b32_e32 v38, 60
	s_waitcnt vmcnt(3)
	v_mad_i64_i32 v[18:19], s[6:7], v26, s13, v[22:23]
	s_waitcnt vmcnt(2)
	v_mad_i64_i32 v[24:25], s[6:7], v28, s13, v[22:23]
	global_load_dwordx4 v[18:21], v[18:19], off
	s_nop 0
	global_load_dwordx4 v[52:55], v[24:25], off
	s_waitcnt vmcnt(3)
	v_mad_i64_i32 v[24:25], s[6:7], v30, s13, v[22:23]
	s_waitcnt vmcnt(2)
	v_mad_i64_i32 v[22:23], s[6:7], v32, s13, v[22:23]
	global_load_dwordx4 v[56:59], v[24:25], off
	global_load_dwordx4 v[60:63], v[22:23], off
	v_add_co_u32_e32 v22, vcc, v34, v33
	v_addc_co_u32_e32 v23, vcc, 0, v36, vcc
	v_mad_i64_i32 v[24:25], s[6:7], v26, s13, v[22:23]
	global_load_dwordx4 v[64:67], v[24:25], off
	v_mad_i64_i32 v[24:25], s[6:7], v28, s13, v[22:23]
	global_load_dwordx4 v[68:71], v[24:25], off
	;; [unrolled: 2-line block ×4, first 2 shown]
	s_load_dword s6, s[4:5], 0x1c
	s_load_dwordx4 s[40:43], s[4:5], 0x80
	v_mov_b32_e32 v22, 0x80
	v_add_u32_e32 v45, 16, v22
	v_add_u32_e32 v46, 32, v22
	v_add_u32_e32 v47, 48, v22
	s_waitcnt lgkmcnt(0)
	s_load_dword s4, s[40:41], 0x0
	v_add_u32_e32 v51, 64, v22
	v_add_u32_e32 v48, 0x50, v22
	;; [unrolled: 1-line block ×4, first 2 shown]
	v_mov_b32_e32 v22, s6
	s_waitcnt lgkmcnt(0)
	v_mul_f32_e32 v22, s4, v22
	v_and_b32_e32 v33, 63, v0
	s_movk_i32 s13, 0x80
	v_mov_b32_e32 v36, 0
	v_mov_b32_e32 v24, v22
	;; [unrolled: 1-line block ×3, first 2 shown]
	s_waitcnt vmcnt(7)
	buffer_store_dword v21, off, s[0:3], 0 offset:140
	buffer_store_dword v20, off, s[0:3], 0 offset:136
	buffer_store_dword v19, off, s[0:3], 0 offset:132
	buffer_store_dword v18, off, s[0:3], 0 offset:128
	s_waitcnt vmcnt(10)
	buffer_store_dword v55, off, s[0:3], 0 offset:172
	buffer_store_dword v54, off, s[0:3], 0 offset:168
	buffer_store_dword v53, off, s[0:3], 0 offset:164
	buffer_store_dword v52, off, s[0:3], 0 offset:160
	;; [unrolled: 5-line block ×8, first 2 shown]
	s_branch .LBB936_17
.LBB936_14:                             ;   in Loop: Header=BB936_17 Depth=1
	s_or_b64 exec, exec, s[10:11]
.LBB936_15:                             ;   in Loop: Header=BB936_17 Depth=1
	s_or_b64 exec, exec, s[6:7]
.LBB936_16:                             ;   in Loop: Header=BB936_17 Depth=1
	s_or_b64 exec, exec, s[4:5]
	v_perm_b32 v55, v40, v34, s16
	v_perm_b32 v54, v23, v32, s16
	;; [unrolled: 1-line block ×4, first 2 shown]
	v_add_u32_e32 v26, s12, v37
	v_mfma_f32_16x16x16bf16_1k v[18:21], v[54:55], v[14:15], v[18:21]
	s_add_i32 s12, s12, 16
	v_mov_b32_e32 v23, v22
	s_cmp_eq_u32 s12, 64
	v_add_u32_e32 v36, 32, v36
	v_mfma_f32_16x16x16bf16_1k v[18:21], v[52:53], v[16:17], v[18:21]
	s_nop 7
	s_nop 2
	v_pk_mul_f32 v[18:19], v[24:25], v[18:19]
	v_pk_mul_f32 v[20:21], v[22:23], v[20:21]
	buffer_store_dword v19, v26, s[0:3], 0 offen offset:4
	buffer_store_dword v18, v26, s[0:3], 0 offen
	buffer_store_dword v21, v26, s[0:3], 0 offen offset:12
	buffer_store_dword v20, v26, s[0:3], 0 offen offset:8
	s_cbranch_scc1 .LBB936_207
.LBB936_17:                             ; =>This Inner Loop Header: Depth=1
	buffer_load_dword v20, v36, s[0:3], 0 offen
	buffer_load_dword v18, v36, s[0:3], 0 offen offset:4
	buffer_load_dword v28, v36, s[0:3], 0 offen offset:8
	;; [unrolled: 1-line block ×3, first 2 shown]
	v_mov_b32_e32 v19, 0
	v_mov_b32_e32 v21, 0
	s_waitcnt vmcnt(3)
	v_cmp_ne_u16_sdwa s[6:7], v20, v35 src0_sel:BYTE_0 src1_sel:DWORD
	s_and_saveexec_b64 s[4:5], s[6:7]
	s_cbranch_execz .LBB936_23
; %bb.18:                               ;   in Loop: Header=BB936_17 Depth=1
	v_cmp_ne_u16_sdwa s[10:11], v20, s13 src0_sel:BYTE_0 src1_sel:DWORD
	v_mov_b32_e32 v21, 0xffff8000
	s_and_saveexec_b64 s[6:7], s[10:11]
	s_cbranch_execz .LBB936_22
; %bb.19:                               ;   in Loop: Header=BB936_17 Depth=1
	v_and_b32_e32 v23, 0x7f, v20
	v_cmp_ne_u32_e32 vcc, s14, v23
	v_mov_b32_e32 v21, 0x7f80
	s_and_saveexec_b64 s[10:11], vcc
	s_cbranch_execz .LBB936_21
; %bb.20:                               ;   in Loop: Header=BB936_17 Depth=1
	v_and_b32_e32 v21, 7, v20
	v_ffbh_u32_e32 v32, v21
	v_min_u32_e32 v32, 32, v32
	v_subrev_u32_e32 v34, 28, v32
	v_lshlrev_b64 v[52:53], v34, v[20:21]
	v_lshrrev_b32_e32 v30, 3, v23
	v_sub_u32_e32 v32, 29, v32
	v_and_b32_e32 v34, 7, v52
	v_cmp_gt_u32_e32 vcc, 8, v23
	v_cndmask_b32_e32 v23, v30, v32, vcc
	v_cndmask_b32_e32 v21, v21, v34, vcc
	v_lshlrev_b32_e32 v30, 24, v20
	v_lshlrev_b32_e32 v21, 20, v21
	v_and_b32_e32 v30, 0x80000000, v30
	v_lshl_add_u32 v23, v23, 23, v38
	v_or3_b32 v21, v30, v23, v21
	v_lshrrev_b32_e32 v21, 16, v21
.LBB936_21:                             ;   in Loop: Header=BB936_17 Depth=1
	s_or_b64 exec, exec, s[10:11]
.LBB936_22:                             ;   in Loop: Header=BB936_17 Depth=1
	s_or_b64 exec, exec, s[6:7]
.LBB936_23:                             ;   in Loop: Header=BB936_17 Depth=1
	s_or_b64 exec, exec, s[4:5]
	v_lshrrev_b16_e32 v30, 8, v20
	v_cmp_ne_u16_e32 vcc, 0, v30
	s_and_saveexec_b64 s[4:5], vcc
	s_cbranch_execz .LBB936_29
; %bb.24:                               ;   in Loop: Header=BB936_17 Depth=1
	v_cmp_ne_u16_e32 vcc, s13, v30
	v_mov_b32_e32 v19, 0xffff8000
	s_and_saveexec_b64 s[6:7], vcc
	s_cbranch_execz .LBB936_28
; %bb.25:                               ;   in Loop: Header=BB936_17 Depth=1
	v_and_b32_e32 v23, 0x7f, v30
	v_cmp_ne_u32_e32 vcc, s14, v23
	v_mov_b32_e32 v19, 0x7f80
	s_and_saveexec_b64 s[10:11], vcc
	s_cbranch_execz .LBB936_27
; %bb.26:                               ;   in Loop: Header=BB936_17 Depth=1
	v_and_b32_e32 v19, 7, v30
	v_ffbh_u32_e32 v34, v19
	v_min_u32_e32 v34, 32, v34
	v_subrev_u32_e32 v40, 28, v34
	v_lshlrev_b64 v[52:53], v40, v[30:31]
	v_lshrrev_b32_e32 v32, 3, v23
	v_sub_u32_e32 v30, 29, v34
	v_and_b32_e32 v34, 7, v52
	v_cmp_gt_u32_e32 vcc, 8, v23
	v_cndmask_b32_e32 v23, v32, v30, vcc
	v_cndmask_b32_e32 v19, v19, v34, vcc
	v_lshlrev_b32_e32 v30, 16, v20
	v_lshlrev_b32_e32 v19, 20, v19
	v_and_b32_e32 v30, 0x80000000, v30
	v_lshl_add_u32 v23, v23, 23, v38
	v_or3_b32 v19, v30, v23, v19
	v_lshrrev_b32_e32 v19, 16, v19
.LBB936_27:                             ;   in Loop: Header=BB936_17 Depth=1
	s_or_b64 exec, exec, s[10:11]
.LBB936_28:                             ;   in Loop: Header=BB936_17 Depth=1
	s_or_b64 exec, exec, s[6:7]
.LBB936_29:                             ;   in Loop: Header=BB936_17 Depth=1
	s_or_b64 exec, exec, s[4:5]
	v_lshrrev_b32_e32 v30, 16, v20
	v_cmp_ne_u16_sdwa s[6:7], v30, v35 src0_sel:BYTE_0 src1_sel:DWORD
	v_mov_b32_e32 v32, 0
	v_mov_b32_e32 v23, 0
	s_and_saveexec_b64 s[4:5], s[6:7]
	s_cbranch_execz .LBB936_35
; %bb.30:                               ;   in Loop: Header=BB936_17 Depth=1
	v_cmp_ne_u16_sdwa s[10:11], v30, s13 src0_sel:BYTE_0 src1_sel:DWORD
	v_mov_b32_e32 v23, 0xffff8000
	s_and_saveexec_b64 s[6:7], s[10:11]
	s_cbranch_execz .LBB936_34
; %bb.31:                               ;   in Loop: Header=BB936_17 Depth=1
	v_bfe_u32 v34, v20, 16, 7
	v_cmp_ne_u32_e32 vcc, s14, v34
	v_mov_b32_e32 v23, 0x7f80
	s_and_saveexec_b64 s[10:11], vcc
	s_cbranch_execz .LBB936_33
; %bb.32:                               ;   in Loop: Header=BB936_17 Depth=1
	v_and_b32_e32 v23, 7, v30
	v_ffbh_u32_e32 v42, v23
	v_min_u32_e32 v42, 32, v42
	v_subrev_u32_e32 v44, 28, v42
	v_lshlrev_b64 v[52:53], v44, v[30:31]
	v_lshrrev_b32_e32 v40, 3, v34
	v_sub_u32_e32 v42, 29, v42
	v_and_b32_e32 v44, 7, v52
	v_cmp_gt_u32_e32 vcc, 8, v34
	v_cndmask_b32_e32 v34, v40, v42, vcc
	v_cndmask_b32_e32 v23, v23, v44, vcc
	v_lshlrev_b32_e32 v30, 24, v30
	v_lshlrev_b32_e32 v23, 20, v23
	v_and_b32_e32 v30, 0x80000000, v30
	v_lshl_add_u32 v34, v34, 23, v38
	v_or3_b32 v23, v30, v34, v23
	v_lshrrev_b32_e32 v23, 16, v23
.LBB936_33:                             ;   in Loop: Header=BB936_17 Depth=1
	s_or_b64 exec, exec, s[10:11]
.LBB936_34:                             ;   in Loop: Header=BB936_17 Depth=1
	s_or_b64 exec, exec, s[6:7]
.LBB936_35:                             ;   in Loop: Header=BB936_17 Depth=1
	s_or_b64 exec, exec, s[4:5]
	v_cmp_lt_u32_e32 vcc, s15, v20
	s_and_saveexec_b64 s[4:5], vcc
	s_cbranch_execz .LBB936_41
; %bb.36:                               ;   in Loop: Header=BB936_17 Depth=1
	v_lshrrev_b32_e32 v30, 24, v20
	v_cmp_ne_u32_e32 vcc, s13, v30
	v_mov_b32_e32 v32, 0xffff8000
	s_and_saveexec_b64 s[6:7], vcc
	s_cbranch_execz .LBB936_40
; %bb.37:                               ;   in Loop: Header=BB936_17 Depth=1
	v_bfe_u32 v20, v20, 24, 7
	v_cmp_ne_u32_e32 vcc, s14, v20
	v_mov_b32_e32 v32, 0x7f80
	s_and_saveexec_b64 s[10:11], vcc
	s_cbranch_execz .LBB936_39
; %bb.38:                               ;   in Loop: Header=BB936_17 Depth=1
	v_and_b32_e32 v32, 7, v30
	v_ffbh_u32_e32 v40, v32
	v_min_u32_e32 v40, 32, v40
	v_subrev_u32_e32 v42, 28, v40
	v_lshlrev_b64 v[52:53], v42, v[30:31]
	v_lshrrev_b32_e32 v34, 3, v20
	v_sub_u32_e32 v40, 29, v40
	v_and_b32_e32 v42, 7, v52
	v_cmp_gt_u32_e32 vcc, 8, v20
	v_cndmask_b32_e32 v20, v34, v40, vcc
	v_cndmask_b32_e32 v32, v32, v42, vcc
	v_lshlrev_b32_e32 v30, 24, v30
	v_lshlrev_b32_e32 v32, 20, v32
	v_and_b32_e32 v30, 0x80000000, v30
	v_lshl_add_u32 v20, v20, 23, v38
	v_or3_b32 v20, v30, v20, v32
	v_lshrrev_b32_e32 v32, 16, v20
.LBB936_39:                             ;   in Loop: Header=BB936_17 Depth=1
	s_or_b64 exec, exec, s[10:11]
.LBB936_40:                             ;   in Loop: Header=BB936_17 Depth=1
	s_or_b64 exec, exec, s[6:7]
.LBB936_41:                             ;   in Loop: Header=BB936_17 Depth=1
	s_or_b64 exec, exec, s[4:5]
	s_waitcnt vmcnt(2)
	v_cmp_ne_u16_sdwa s[6:7], v18, v35 src0_sel:BYTE_0 src1_sel:DWORD
	v_mov_b32_e32 v30, 0
	v_mov_b32_e32 v34, 0
	s_and_saveexec_b64 s[4:5], s[6:7]
	s_cbranch_execz .LBB936_47
; %bb.42:                               ;   in Loop: Header=BB936_17 Depth=1
	v_cmp_ne_u16_sdwa s[10:11], v18, s13 src0_sel:BYTE_0 src1_sel:DWORD
	v_mov_b32_e32 v34, 0xffff8000
	s_and_saveexec_b64 s[6:7], s[10:11]
	s_cbranch_execz .LBB936_46
; %bb.43:                               ;   in Loop: Header=BB936_17 Depth=1
	v_and_b32_e32 v20, 0x7f, v18
	v_cmp_ne_u32_e32 vcc, s14, v20
	v_mov_b32_e32 v34, 0x7f80
	s_and_saveexec_b64 s[10:11], vcc
	s_cbranch_execz .LBB936_45
; %bb.44:                               ;   in Loop: Header=BB936_17 Depth=1
	v_and_b32_e32 v34, 7, v18
	v_ffbh_u32_e32 v42, v34
	v_min_u32_e32 v42, 32, v42
	v_subrev_u32_e32 v44, 28, v42
	v_lshlrev_b64 v[52:53], v44, v[18:19]
	v_lshrrev_b32_e32 v40, 3, v20
	v_sub_u32_e32 v42, 29, v42
	v_and_b32_e32 v44, 7, v52
	v_cmp_gt_u32_e32 vcc, 8, v20
	v_cndmask_b32_e32 v20, v40, v42, vcc
	v_cndmask_b32_e32 v34, v34, v44, vcc
	v_lshlrev_b32_e32 v40, 24, v18
	v_lshlrev_b32_e32 v34, 20, v34
	v_and_b32_e32 v40, 0x80000000, v40
	v_lshl_add_u32 v20, v20, 23, v38
	v_or3_b32 v20, v40, v20, v34
	v_lshrrev_b32_e32 v34, 16, v20
.LBB936_45:                             ;   in Loop: Header=BB936_17 Depth=1
	s_or_b64 exec, exec, s[10:11]
.LBB936_46:                             ;   in Loop: Header=BB936_17 Depth=1
	s_or_b64 exec, exec, s[6:7]
.LBB936_47:                             ;   in Loop: Header=BB936_17 Depth=1
	s_or_b64 exec, exec, s[4:5]
	v_lshrrev_b16_e32 v20, 8, v18
	v_cmp_ne_u16_e32 vcc, 0, v20
	s_and_saveexec_b64 s[4:5], vcc
	s_cbranch_execz .LBB936_53
; %bb.48:                               ;   in Loop: Header=BB936_17 Depth=1
	v_cmp_ne_u16_e32 vcc, s13, v20
	v_mov_b32_e32 v30, 0xffff8000
	s_and_saveexec_b64 s[6:7], vcc
	s_cbranch_execz .LBB936_52
; %bb.49:                               ;   in Loop: Header=BB936_17 Depth=1
	v_and_b32_e32 v40, 0x7f, v20
	v_cmp_ne_u32_e32 vcc, s14, v40
	v_mov_b32_e32 v30, 0x7f80
	s_and_saveexec_b64 s[10:11], vcc
	s_cbranch_execz .LBB936_51
; %bb.50:                               ;   in Loop: Header=BB936_17 Depth=1
	v_and_b32_e32 v30, 7, v20
	v_ffbh_u32_e32 v44, v30
	v_min_u32_e32 v44, 32, v44
	v_subrev_u32_e32 v52, 28, v44
	v_lshlrev_b64 v[52:53], v52, v[20:21]
	v_lshrrev_b32_e32 v42, 3, v40
	v_sub_u32_e32 v20, 29, v44
	v_and_b32_e32 v44, 7, v52
	v_cmp_gt_u32_e32 vcc, 8, v40
	v_cndmask_b32_e32 v20, v42, v20, vcc
	v_cndmask_b32_e32 v30, v30, v44, vcc
	v_lshlrev_b32_e32 v40, 16, v18
	v_lshlrev_b32_e32 v30, 20, v30
	v_and_b32_e32 v40, 0x80000000, v40
	v_lshl_add_u32 v20, v20, 23, v38
	v_or3_b32 v20, v40, v20, v30
	v_lshrrev_b32_e32 v30, 16, v20
.LBB936_51:                             ;   in Loop: Header=BB936_17 Depth=1
	s_or_b64 exec, exec, s[10:11]
.LBB936_52:                             ;   in Loop: Header=BB936_17 Depth=1
	s_or_b64 exec, exec, s[6:7]
.LBB936_53:                             ;   in Loop: Header=BB936_17 Depth=1
	s_or_b64 exec, exec, s[4:5]
	v_lshrrev_b32_e32 v20, 16, v18
	v_cmp_ne_u16_sdwa s[6:7], v20, v35 src0_sel:BYTE_0 src1_sel:DWORD
	v_mov_b32_e32 v42, 0
	v_mov_b32_e32 v40, 0
	s_and_saveexec_b64 s[4:5], s[6:7]
	s_cbranch_execz .LBB936_59
; %bb.54:                               ;   in Loop: Header=BB936_17 Depth=1
	v_cmp_ne_u16_sdwa s[10:11], v20, s13 src0_sel:BYTE_0 src1_sel:DWORD
	v_mov_b32_e32 v40, 0xffff8000
	s_and_saveexec_b64 s[6:7], s[10:11]
	s_cbranch_execz .LBB936_58
; %bb.55:                               ;   in Loop: Header=BB936_17 Depth=1
	v_bfe_u32 v44, v18, 16, 7
	v_cmp_ne_u32_e32 vcc, s14, v44
	v_mov_b32_e32 v40, 0x7f80
	s_and_saveexec_b64 s[10:11], vcc
	s_cbranch_execz .LBB936_57
; %bb.56:                               ;   in Loop: Header=BB936_17 Depth=1
	v_and_b32_e32 v40, 7, v20
	v_ffbh_u32_e32 v52, v40
	v_min_u32_e32 v55, 32, v52
	v_subrev_u32_e32 v52, 28, v55
	v_lshlrev_b64 v[52:53], v52, v[20:21]
	v_lshrrev_b32_e32 v54, 3, v44
	v_sub_u32_e32 v53, 29, v55
	v_and_b32_e32 v52, 7, v52
	v_cmp_gt_u32_e32 vcc, 8, v44
	v_cndmask_b32_e32 v44, v54, v53, vcc
	v_cndmask_b32_e32 v40, v40, v52, vcc
	v_lshlrev_b32_e32 v20, 24, v20
	v_lshlrev_b32_e32 v40, 20, v40
	v_and_b32_e32 v20, 0x80000000, v20
	v_lshl_add_u32 v44, v44, 23, v38
	v_or3_b32 v20, v20, v44, v40
	v_lshrrev_b32_e32 v40, 16, v20
.LBB936_57:                             ;   in Loop: Header=BB936_17 Depth=1
	s_or_b64 exec, exec, s[10:11]
.LBB936_58:                             ;   in Loop: Header=BB936_17 Depth=1
	s_or_b64 exec, exec, s[6:7]
.LBB936_59:                             ;   in Loop: Header=BB936_17 Depth=1
	s_or_b64 exec, exec, s[4:5]
	v_cmp_lt_u32_e32 vcc, s15, v18
	s_and_saveexec_b64 s[4:5], vcc
	s_cbranch_execz .LBB936_65
; %bb.60:                               ;   in Loop: Header=BB936_17 Depth=1
	v_lshrrev_b32_e32 v20, 24, v18
	v_cmp_ne_u32_e32 vcc, s13, v20
	v_mov_b32_e32 v42, 0xffff8000
	s_and_saveexec_b64 s[6:7], vcc
	s_cbranch_execz .LBB936_64
; %bb.61:                               ;   in Loop: Header=BB936_17 Depth=1
	v_bfe_u32 v18, v18, 24, 7
	v_cmp_ne_u32_e32 vcc, s14, v18
	v_mov_b32_e32 v42, 0x7f80
	s_and_saveexec_b64 s[10:11], vcc
	s_cbranch_execz .LBB936_63
; %bb.62:                               ;   in Loop: Header=BB936_17 Depth=1
	v_and_b32_e32 v42, 7, v20
	v_ffbh_u32_e32 v52, v42
	v_min_u32_e32 v54, 32, v52
	v_subrev_u32_e32 v52, 28, v54
	v_lshlrev_b64 v[52:53], v52, v[20:21]
	v_lshrrev_b32_e32 v44, 3, v18
	v_sub_u32_e32 v53, 29, v54
	v_and_b32_e32 v52, 7, v52
	v_cmp_gt_u32_e32 vcc, 8, v18
	v_cndmask_b32_e32 v18, v44, v53, vcc
	v_cndmask_b32_e32 v42, v42, v52, vcc
	v_lshlrev_b32_e32 v20, 24, v20
	v_lshlrev_b32_e32 v42, 20, v42
	v_and_b32_e32 v20, 0x80000000, v20
	v_lshl_add_u32 v18, v18, 23, v38
	v_or3_b32 v18, v20, v18, v42
	v_lshrrev_b32_e32 v42, 16, v18
.LBB936_63:                             ;   in Loop: Header=BB936_17 Depth=1
	s_or_b64 exec, exec, s[10:11]
.LBB936_64:                             ;   in Loop: Header=BB936_17 Depth=1
	s_or_b64 exec, exec, s[6:7]
.LBB936_65:                             ;   in Loop: Header=BB936_17 Depth=1
	s_or_b64 exec, exec, s[4:5]
	v_perm_b32 v53, v32, v23, s16
	v_perm_b32 v52, v19, v21, s16
	s_waitcnt vmcnt(1)
	v_cmp_ne_u16_sdwa s[6:7], v28, v35 src0_sel:BYTE_0 src1_sel:DWORD
	v_mov_b32_e32 v23, 0
	v_mov_b32_e32 v32, 0
	v_mfma_f32_16x16x16bf16_1k v[18:21], v[52:53], v[2:3], 0
	v_perm_b32 v53, v42, v40, s16
	v_perm_b32 v52, v30, v34, s16
	s_nop 1
	v_mfma_f32_16x16x16bf16_1k v[18:21], v[52:53], v[4:5], v[18:21]
	s_and_saveexec_b64 s[4:5], s[6:7]
	s_cbranch_execz .LBB936_71
; %bb.66:                               ;   in Loop: Header=BB936_17 Depth=1
	v_cmp_ne_u16_sdwa s[10:11], v28, s13 src0_sel:BYTE_0 src1_sel:DWORD
	v_mov_b32_e32 v32, 0xffff8000
	s_and_saveexec_b64 s[6:7], s[10:11]
	s_cbranch_execz .LBB936_70
; %bb.67:                               ;   in Loop: Header=BB936_17 Depth=1
	v_and_b32_e32 v30, 0x7f, v28
	v_cmp_ne_u32_e32 vcc, s14, v30
	v_mov_b32_e32 v32, 0x7f80
	s_and_saveexec_b64 s[10:11], vcc
	s_cbranch_execz .LBB936_69
; %bb.68:                               ;   in Loop: Header=BB936_17 Depth=1
	v_and_b32_e32 v32, 7, v28
	v_ffbh_u32_e32 v40, v32
	v_min_u32_e32 v40, 32, v40
	v_subrev_u32_e32 v42, 28, v40
	v_lshlrev_b64 v[52:53], v42, v[28:29]
	v_lshrrev_b32_e32 v34, 3, v30
	v_sub_u32_e32 v40, 29, v40
	v_and_b32_e32 v42, 7, v52
	v_cmp_gt_u32_e32 vcc, 8, v30
	v_cndmask_b32_e32 v30, v34, v40, vcc
	v_cndmask_b32_e32 v32, v32, v42, vcc
	v_lshlrev_b32_e32 v34, 24, v28
	v_lshlrev_b32_e32 v32, 20, v32
	v_and_b32_e32 v34, 0x80000000, v34
	v_lshl_add_u32 v30, v30, 23, v38
	v_or3_b32 v30, v34, v30, v32
	v_lshrrev_b32_e32 v32, 16, v30
.LBB936_69:                             ;   in Loop: Header=BB936_17 Depth=1
	s_or_b64 exec, exec, s[10:11]
.LBB936_70:                             ;   in Loop: Header=BB936_17 Depth=1
	s_or_b64 exec, exec, s[6:7]
.LBB936_71:                             ;   in Loop: Header=BB936_17 Depth=1
	s_or_b64 exec, exec, s[4:5]
	v_lshrrev_b16_e32 v30, 8, v28
	v_cmp_ne_u16_e32 vcc, 0, v30
	s_and_saveexec_b64 s[4:5], vcc
	s_cbranch_execz .LBB936_77
; %bb.72:                               ;   in Loop: Header=BB936_17 Depth=1
	v_cmp_ne_u16_e32 vcc, s13, v30
	v_mov_b32_e32 v23, 0xffff8000
	s_and_saveexec_b64 s[6:7], vcc
	s_cbranch_execz .LBB936_76
; %bb.73:                               ;   in Loop: Header=BB936_17 Depth=1
	v_and_b32_e32 v34, 0x7f, v30
	v_cmp_ne_u32_e32 vcc, s14, v34
	v_mov_b32_e32 v23, 0x7f80
	s_and_saveexec_b64 s[10:11], vcc
	s_cbranch_execz .LBB936_75
; %bb.74:                               ;   in Loop: Header=BB936_17 Depth=1
	v_and_b32_e32 v23, 7, v30
	v_ffbh_u32_e32 v42, v23
	v_min_u32_e32 v42, 32, v42
	v_subrev_u32_e32 v44, 28, v42
	v_lshlrev_b64 v[52:53], v44, v[30:31]
	v_lshrrev_b32_e32 v40, 3, v34
	v_sub_u32_e32 v30, 29, v42
	v_and_b32_e32 v42, 7, v52
	v_cmp_gt_u32_e32 vcc, 8, v34
	v_cndmask_b32_e32 v30, v40, v30, vcc
	v_cndmask_b32_e32 v23, v23, v42, vcc
	v_lshlrev_b32_e32 v34, 16, v28
	v_lshlrev_b32_e32 v23, 20, v23
	v_and_b32_e32 v34, 0x80000000, v34
	v_lshl_add_u32 v30, v30, 23, v38
	v_or3_b32 v23, v34, v30, v23
	v_lshrrev_b32_e32 v23, 16, v23
.LBB936_75:                             ;   in Loop: Header=BB936_17 Depth=1
	s_or_b64 exec, exec, s[10:11]
.LBB936_76:                             ;   in Loop: Header=BB936_17 Depth=1
	s_or_b64 exec, exec, s[6:7]
.LBB936_77:                             ;   in Loop: Header=BB936_17 Depth=1
	s_or_b64 exec, exec, s[4:5]
	v_lshrrev_b32_e32 v30, 16, v28
	v_cmp_ne_u16_sdwa s[6:7], v30, v35 src0_sel:BYTE_0 src1_sel:DWORD
	v_mov_b32_e32 v40, 0
	v_mov_b32_e32 v34, 0
	s_and_saveexec_b64 s[4:5], s[6:7]
	s_cbranch_execz .LBB936_83
; %bb.78:                               ;   in Loop: Header=BB936_17 Depth=1
	v_cmp_ne_u16_sdwa s[10:11], v30, s13 src0_sel:BYTE_0 src1_sel:DWORD
	v_mov_b32_e32 v34, 0xffff8000
	s_and_saveexec_b64 s[6:7], s[10:11]
	s_cbranch_execz .LBB936_82
; %bb.79:                               ;   in Loop: Header=BB936_17 Depth=1
	v_bfe_u32 v42, v28, 16, 7
	v_cmp_ne_u32_e32 vcc, s14, v42
	v_mov_b32_e32 v34, 0x7f80
	s_and_saveexec_b64 s[10:11], vcc
	s_cbranch_execz .LBB936_81
; %bb.80:                               ;   in Loop: Header=BB936_17 Depth=1
	v_and_b32_e32 v34, 7, v30
	v_ffbh_u32_e32 v52, v34
	v_min_u32_e32 v54, 32, v52
	v_subrev_u32_e32 v52, 28, v54
	v_lshlrev_b64 v[52:53], v52, v[30:31]
	v_lshrrev_b32_e32 v44, 3, v42
	v_sub_u32_e32 v53, 29, v54
	v_and_b32_e32 v52, 7, v52
	v_cmp_gt_u32_e32 vcc, 8, v42
	v_cndmask_b32_e32 v42, v44, v53, vcc
	v_cndmask_b32_e32 v34, v34, v52, vcc
	v_lshlrev_b32_e32 v30, 24, v30
	v_lshlrev_b32_e32 v34, 20, v34
	v_and_b32_e32 v30, 0x80000000, v30
	v_lshl_add_u32 v42, v42, 23, v38
	v_or3_b32 v30, v30, v42, v34
	v_lshrrev_b32_e32 v34, 16, v30
.LBB936_81:                             ;   in Loop: Header=BB936_17 Depth=1
	s_or_b64 exec, exec, s[10:11]
.LBB936_82:                             ;   in Loop: Header=BB936_17 Depth=1
	s_or_b64 exec, exec, s[6:7]
.LBB936_83:                             ;   in Loop: Header=BB936_17 Depth=1
	s_or_b64 exec, exec, s[4:5]
	v_cmp_lt_u32_e32 vcc, s15, v28
	s_and_saveexec_b64 s[4:5], vcc
	s_cbranch_execz .LBB936_89
; %bb.84:                               ;   in Loop: Header=BB936_17 Depth=1
	v_lshrrev_b32_e32 v30, 24, v28
	v_cmp_ne_u32_e32 vcc, s13, v30
	v_mov_b32_e32 v40, 0xffff8000
	s_and_saveexec_b64 s[6:7], vcc
	s_cbranch_execz .LBB936_88
; %bb.85:                               ;   in Loop: Header=BB936_17 Depth=1
	v_bfe_u32 v28, v28, 24, 7
	v_cmp_ne_u32_e32 vcc, s14, v28
	v_mov_b32_e32 v40, 0x7f80
	s_and_saveexec_b64 s[10:11], vcc
	s_cbranch_execz .LBB936_87
; %bb.86:                               ;   in Loop: Header=BB936_17 Depth=1
	v_and_b32_e32 v40, 7, v30
	v_ffbh_u32_e32 v44, v40
	v_min_u32_e32 v44, 32, v44
	v_subrev_u32_e32 v52, 28, v44
	v_lshlrev_b64 v[52:53], v52, v[30:31]
	v_lshrrev_b32_e32 v42, 3, v28
	v_sub_u32_e32 v44, 29, v44
	v_and_b32_e32 v52, 7, v52
	v_cmp_gt_u32_e32 vcc, 8, v28
	v_cndmask_b32_e32 v28, v42, v44, vcc
	v_cndmask_b32_e32 v40, v40, v52, vcc
	v_lshlrev_b32_e32 v30, 24, v30
	v_lshlrev_b32_e32 v40, 20, v40
	v_and_b32_e32 v30, 0x80000000, v30
	v_lshl_add_u32 v28, v28, 23, v38
	v_or3_b32 v28, v30, v28, v40
	v_lshrrev_b32_e32 v40, 16, v28
.LBB936_87:                             ;   in Loop: Header=BB936_17 Depth=1
	s_or_b64 exec, exec, s[10:11]
.LBB936_88:                             ;   in Loop: Header=BB936_17 Depth=1
	s_or_b64 exec, exec, s[6:7]
.LBB936_89:                             ;   in Loop: Header=BB936_17 Depth=1
	s_or_b64 exec, exec, s[4:5]
	s_waitcnt vmcnt(0)
	v_cmp_ne_u16_sdwa s[6:7], v26, v35 src0_sel:BYTE_0 src1_sel:DWORD
	v_mov_b32_e32 v42, 0
	v_mov_b32_e32 v44, 0
	s_and_saveexec_b64 s[4:5], s[6:7]
	s_cbranch_execz .LBB936_95
; %bb.90:                               ;   in Loop: Header=BB936_17 Depth=1
	v_cmp_ne_u16_sdwa s[10:11], v26, s13 src0_sel:BYTE_0 src1_sel:DWORD
	v_mov_b32_e32 v44, 0xffff8000
	s_and_saveexec_b64 s[6:7], s[10:11]
	s_cbranch_execz .LBB936_94
; %bb.91:                               ;   in Loop: Header=BB936_17 Depth=1
	v_and_b32_e32 v28, 0x7f, v26
	v_cmp_ne_u32_e32 vcc, s14, v28
	v_mov_b32_e32 v44, 0x7f80
	s_and_saveexec_b64 s[10:11], vcc
	s_cbranch_execz .LBB936_93
; %bb.92:                               ;   in Loop: Header=BB936_17 Depth=1
	v_and_b32_e32 v30, 7, v26
	v_ffbh_u32_e32 v52, v30
	v_min_u32_e32 v54, 32, v52
	v_subrev_u32_e32 v52, 28, v54
	v_lshlrev_b64 v[52:53], v52, v[26:27]
	v_lshrrev_b32_e32 v44, 3, v28
	v_sub_u32_e32 v53, 29, v54
	v_and_b32_e32 v52, 7, v52
	v_cmp_gt_u32_e32 vcc, 8, v28
	v_cndmask_b32_e32 v28, v44, v53, vcc
	v_cndmask_b32_e32 v30, v30, v52, vcc
	v_lshlrev_b32_e32 v44, 24, v26
	v_lshlrev_b32_e32 v30, 20, v30
	v_and_b32_e32 v44, 0x80000000, v44
	v_lshl_add_u32 v28, v28, 23, v38
	v_or3_b32 v28, v44, v28, v30
	v_lshrrev_b32_e32 v44, 16, v28
.LBB936_93:                             ;   in Loop: Header=BB936_17 Depth=1
	s_or_b64 exec, exec, s[10:11]
.LBB936_94:                             ;   in Loop: Header=BB936_17 Depth=1
	s_or_b64 exec, exec, s[6:7]
.LBB936_95:                             ;   in Loop: Header=BB936_17 Depth=1
	s_or_b64 exec, exec, s[4:5]
	v_lshrrev_b16_e32 v28, 8, v26
	v_cmp_ne_u16_e32 vcc, 0, v28
	s_and_saveexec_b64 s[4:5], vcc
	s_cbranch_execz .LBB936_101
; %bb.96:                               ;   in Loop: Header=BB936_17 Depth=1
	v_cmp_ne_u16_e32 vcc, s13, v28
	v_mov_b32_e32 v42, 0xffff8000
	s_and_saveexec_b64 s[6:7], vcc
	s_cbranch_execz .LBB936_100
; %bb.97:                               ;   in Loop: Header=BB936_17 Depth=1
	v_and_b32_e32 v30, 0x7f, v28
	v_cmp_ne_u32_e32 vcc, s14, v30
	v_mov_b32_e32 v42, 0x7f80
	s_and_saveexec_b64 s[10:11], vcc
	s_cbranch_execz .LBB936_99
; %bb.98:                               ;   in Loop: Header=BB936_17 Depth=1
	v_and_b32_e32 v42, 7, v28
	v_ffbh_u32_e32 v52, v42
	v_min_u32_e32 v55, 32, v52
	v_subrev_u32_e32 v52, 28, v55
	v_lshlrev_b64 v[52:53], v52, v[28:29]
	v_lshrrev_b32_e32 v54, 3, v30
	v_sub_u32_e32 v28, 29, v55
	v_and_b32_e32 v52, 7, v52
	v_cmp_gt_u32_e32 vcc, 8, v30
	v_cndmask_b32_e32 v28, v54, v28, vcc
	v_cndmask_b32_e32 v30, v42, v52, vcc
	v_lshlrev_b32_e32 v42, 16, v26
	v_lshlrev_b32_e32 v30, 20, v30
	v_and_b32_e32 v42, 0x80000000, v42
	v_lshl_add_u32 v28, v28, 23, v38
	v_or3_b32 v28, v42, v28, v30
	v_lshrrev_b32_e32 v42, 16, v28
.LBB936_99:                             ;   in Loop: Header=BB936_17 Depth=1
	s_or_b64 exec, exec, s[10:11]
.LBB936_100:                            ;   in Loop: Header=BB936_17 Depth=1
	s_or_b64 exec, exec, s[6:7]
.LBB936_101:                            ;   in Loop: Header=BB936_17 Depth=1
	s_or_b64 exec, exec, s[4:5]
	v_lshrrev_b32_e32 v28, 16, v26
	v_cmp_ne_u16_sdwa s[6:7], v28, v35 src0_sel:BYTE_0 src1_sel:DWORD
	v_mov_b32_e32 v53, 0
	v_mov_b32_e32 v52, 0
	s_and_saveexec_b64 s[4:5], s[6:7]
	s_cbranch_execz .LBB936_107
; %bb.102:                              ;   in Loop: Header=BB936_17 Depth=1
	v_cmp_ne_u16_sdwa s[10:11], v28, s13 src0_sel:BYTE_0 src1_sel:DWORD
	v_mov_b32_e32 v52, 0xffff8000
	s_and_saveexec_b64 s[6:7], s[10:11]
	s_cbranch_execz .LBB936_106
; %bb.103:                              ;   in Loop: Header=BB936_17 Depth=1
	v_bfe_u32 v30, v26, 16, 7
	v_cmp_ne_u32_e32 vcc, s14, v30
	v_mov_b32_e32 v52, 0x7f80
	s_and_saveexec_b64 s[10:11], vcc
	s_cbranch_execz .LBB936_105
; %bb.104:                              ;   in Loop: Header=BB936_17 Depth=1
	v_and_b32_e32 v52, 7, v28
	v_ffbh_u32_e32 v54, v52
	v_min_u32_e32 v57, 32, v54
	v_subrev_u32_e32 v54, 28, v57
	v_lshlrev_b64 v[54:55], v54, v[28:29]
	v_lshrrev_b32_e32 v56, 3, v30
	v_sub_u32_e32 v55, 29, v57
	v_and_b32_e32 v54, 7, v54
	v_cmp_gt_u32_e32 vcc, 8, v30
	v_cndmask_b32_e32 v30, v56, v55, vcc
	v_cndmask_b32_e32 v52, v52, v54, vcc
	v_lshlrev_b32_e32 v28, 24, v28
	v_lshlrev_b32_e32 v52, 20, v52
	v_and_b32_e32 v28, 0x80000000, v28
	v_lshl_add_u32 v30, v30, 23, v38
	v_or3_b32 v28, v28, v30, v52
	v_lshrrev_b32_e32 v52, 16, v28
.LBB936_105:                            ;   in Loop: Header=BB936_17 Depth=1
	s_or_b64 exec, exec, s[10:11]
.LBB936_106:                            ;   in Loop: Header=BB936_17 Depth=1
	s_or_b64 exec, exec, s[6:7]
.LBB936_107:                            ;   in Loop: Header=BB936_17 Depth=1
	s_or_b64 exec, exec, s[4:5]
	v_cmp_lt_u32_e32 vcc, s15, v26
	s_and_saveexec_b64 s[4:5], vcc
	s_cbranch_execz .LBB936_113
; %bb.108:                              ;   in Loop: Header=BB936_17 Depth=1
	v_lshrrev_b32_e32 v28, 24, v26
	v_cmp_ne_u32_e32 vcc, s13, v28
	v_mov_b32_e32 v53, 0xffff8000
	s_and_saveexec_b64 s[6:7], vcc
	s_cbranch_execz .LBB936_112
; %bb.109:                              ;   in Loop: Header=BB936_17 Depth=1
	v_bfe_u32 v26, v26, 24, 7
	v_cmp_ne_u32_e32 vcc, s14, v26
	v_mov_b32_e32 v53, 0x7f80
	s_and_saveexec_b64 s[10:11], vcc
	s_cbranch_execz .LBB936_111
; %bb.110:                              ;   in Loop: Header=BB936_17 Depth=1
	v_and_b32_e32 v30, 7, v28
	v_ffbh_u32_e32 v54, v30
	v_min_u32_e32 v56, 32, v54
	v_subrev_u32_e32 v54, 28, v56
	v_lshlrev_b64 v[54:55], v54, v[28:29]
	v_lshrrev_b32_e32 v53, 3, v26
	v_sub_u32_e32 v55, 29, v56
	v_and_b32_e32 v54, 7, v54
	v_cmp_gt_u32_e32 vcc, 8, v26
	v_cndmask_b32_e32 v26, v53, v55, vcc
	v_cndmask_b32_e32 v30, v30, v54, vcc
	v_lshlrev_b32_e32 v28, 24, v28
	v_lshlrev_b32_e32 v30, 20, v30
	v_and_b32_e32 v28, 0x80000000, v28
	v_lshl_add_u32 v26, v26, 23, v38
	v_or3_b32 v26, v28, v26, v30
	v_lshrrev_b32_e32 v53, 16, v26
.LBB936_111:                            ;   in Loop: Header=BB936_17 Depth=1
	s_or_b64 exec, exec, s[10:11]
.LBB936_112:                            ;   in Loop: Header=BB936_17 Depth=1
	s_or_b64 exec, exec, s[6:7]
.LBB936_113:                            ;   in Loop: Header=BB936_17 Depth=1
	s_or_b64 exec, exec, s[4:5]
	v_perm_b32 v54, v23, v32, s16
	buffer_load_dword v32, v36, s[0:3], 0 offen offset:16
	buffer_load_dword v30, v36, s[0:3], 0 offen offset:20
	;; [unrolled: 1-line block ×4, first 2 shown]
	v_perm_b32 v55, v40, v34, s16
	v_perm_b32 v53, v53, v52, s16
	;; [unrolled: 1-line block ×3, first 2 shown]
	v_mfma_f32_16x16x16bf16_1k v[18:21], v[54:55], v[6:7], v[18:21]
	v_mov_b32_e32 v23, 0
	v_mov_b32_e32 v40, 0
	s_waitcnt vmcnt(3)
	v_cmp_ne_u16_sdwa s[6:7], v32, v35 src0_sel:BYTE_0 src1_sel:DWORD
	v_mfma_f32_16x16x16bf16_1k v[18:21], v[52:53], v[8:9], v[18:21]
	s_and_saveexec_b64 s[4:5], s[6:7]
	s_cbranch_execz .LBB936_119
; %bb.114:                              ;   in Loop: Header=BB936_17 Depth=1
	v_cmp_ne_u16_sdwa s[10:11], v32, s13 src0_sel:BYTE_0 src1_sel:DWORD
	v_mov_b32_e32 v40, 0xffff8000
	s_and_saveexec_b64 s[6:7], s[10:11]
	s_cbranch_execz .LBB936_118
; %bb.115:                              ;   in Loop: Header=BB936_17 Depth=1
	v_and_b32_e32 v34, 0x7f, v32
	v_cmp_ne_u32_e32 vcc, s14, v34
	v_mov_b32_e32 v40, 0x7f80
	s_and_saveexec_b64 s[10:11], vcc
	s_cbranch_execz .LBB936_117
; %bb.116:                              ;   in Loop: Header=BB936_17 Depth=1
	v_and_b32_e32 v40, 7, v32
	v_ffbh_u32_e32 v44, v40
	v_min_u32_e32 v44, 32, v44
	v_subrev_u32_e32 v52, 28, v44
	v_lshlrev_b64 v[52:53], v52, v[32:33]
	v_lshrrev_b32_e32 v42, 3, v34
	v_sub_u32_e32 v44, 29, v44
	v_and_b32_e32 v52, 7, v52
	v_cmp_gt_u32_e32 vcc, 8, v34
	v_cndmask_b32_e32 v34, v42, v44, vcc
	v_cndmask_b32_e32 v40, v40, v52, vcc
	v_lshlrev_b32_e32 v42, 24, v32
	v_lshlrev_b32_e32 v40, 20, v40
	v_and_b32_e32 v42, 0x80000000, v42
	v_lshl_add_u32 v34, v34, 23, v38
	v_or3_b32 v34, v42, v34, v40
	v_lshrrev_b32_e32 v40, 16, v34
.LBB936_117:                            ;   in Loop: Header=BB936_17 Depth=1
	s_or_b64 exec, exec, s[10:11]
.LBB936_118:                            ;   in Loop: Header=BB936_17 Depth=1
	s_or_b64 exec, exec, s[6:7]
.LBB936_119:                            ;   in Loop: Header=BB936_17 Depth=1
	s_or_b64 exec, exec, s[4:5]
	v_lshrrev_b16_e32 v34, 8, v32
	v_cmp_ne_u16_e32 vcc, 0, v34
	s_and_saveexec_b64 s[4:5], vcc
	s_cbranch_execz .LBB936_125
; %bb.120:                              ;   in Loop: Header=BB936_17 Depth=1
	v_cmp_ne_u16_e32 vcc, s13, v34
	v_mov_b32_e32 v23, 0xffff8000
	s_and_saveexec_b64 s[6:7], vcc
	s_cbranch_execz .LBB936_124
; %bb.121:                              ;   in Loop: Header=BB936_17 Depth=1
	v_and_b32_e32 v42, 0x7f, v34
	v_cmp_ne_u32_e32 vcc, s14, v42
	v_mov_b32_e32 v23, 0x7f80
	s_and_saveexec_b64 s[10:11], vcc
	s_cbranch_execz .LBB936_123
; %bb.122:                              ;   in Loop: Header=BB936_17 Depth=1
	v_and_b32_e32 v23, 7, v34
	v_ffbh_u32_e32 v52, v23
	v_min_u32_e32 v54, 32, v52
	v_subrev_u32_e32 v52, 28, v54
	v_lshlrev_b64 v[52:53], v52, v[34:35]
	v_lshrrev_b32_e32 v44, 3, v42
	v_sub_u32_e32 v34, 29, v54
	v_and_b32_e32 v52, 7, v52
	v_cmp_gt_u32_e32 vcc, 8, v42
	v_cndmask_b32_e32 v34, v44, v34, vcc
	v_cndmask_b32_e32 v23, v23, v52, vcc
	v_lshlrev_b32_e32 v42, 16, v32
	v_lshlrev_b32_e32 v23, 20, v23
	v_and_b32_e32 v42, 0x80000000, v42
	v_lshl_add_u32 v34, v34, 23, v38
	v_or3_b32 v23, v42, v34, v23
	v_lshrrev_b32_e32 v23, 16, v23
.LBB936_123:                            ;   in Loop: Header=BB936_17 Depth=1
	s_or_b64 exec, exec, s[10:11]
.LBB936_124:                            ;   in Loop: Header=BB936_17 Depth=1
	s_or_b64 exec, exec, s[6:7]
.LBB936_125:                            ;   in Loop: Header=BB936_17 Depth=1
	s_or_b64 exec, exec, s[4:5]
	v_lshrrev_b32_e32 v34, 16, v32
	v_cmp_ne_u16_sdwa s[6:7], v34, v35 src0_sel:BYTE_0 src1_sel:DWORD
	v_mov_b32_e32 v44, 0
	v_mov_b32_e32 v42, 0
	s_and_saveexec_b64 s[4:5], s[6:7]
	s_cbranch_execz .LBB936_131
; %bb.126:                              ;   in Loop: Header=BB936_17 Depth=1
	v_cmp_ne_u16_sdwa s[10:11], v34, s13 src0_sel:BYTE_0 src1_sel:DWORD
	v_mov_b32_e32 v42, 0xffff8000
	s_and_saveexec_b64 s[6:7], s[10:11]
	s_cbranch_execz .LBB936_130
; %bb.127:                              ;   in Loop: Header=BB936_17 Depth=1
	v_bfe_u32 v52, v32, 16, 7
	v_cmp_ne_u32_e32 vcc, s14, v52
	v_mov_b32_e32 v42, 0x7f80
	s_and_saveexec_b64 s[10:11], vcc
	s_cbranch_execz .LBB936_129
; %bb.128:                              ;   in Loop: Header=BB936_17 Depth=1
	v_and_b32_e32 v42, 7, v34
	v_ffbh_u32_e32 v54, v42
	v_min_u32_e32 v56, 32, v54
	v_subrev_u32_e32 v54, 28, v56
	v_lshlrev_b64 v[54:55], v54, v[34:35]
	v_lshrrev_b32_e32 v53, 3, v52
	v_sub_u32_e32 v55, 29, v56
	v_and_b32_e32 v54, 7, v54
	v_cmp_gt_u32_e32 vcc, 8, v52
	v_cndmask_b32_e32 v52, v53, v55, vcc
	v_cndmask_b32_e32 v42, v42, v54, vcc
	v_lshlrev_b32_e32 v34, 24, v34
	v_lshlrev_b32_e32 v42, 20, v42
	v_and_b32_e32 v34, 0x80000000, v34
	v_lshl_add_u32 v52, v52, 23, v38
	v_or3_b32 v34, v34, v52, v42
	v_lshrrev_b32_e32 v42, 16, v34
.LBB936_129:                            ;   in Loop: Header=BB936_17 Depth=1
	s_or_b64 exec, exec, s[10:11]
.LBB936_130:                            ;   in Loop: Header=BB936_17 Depth=1
	s_or_b64 exec, exec, s[6:7]
.LBB936_131:                            ;   in Loop: Header=BB936_17 Depth=1
	s_or_b64 exec, exec, s[4:5]
	v_cmp_lt_u32_e32 vcc, s15, v32
	s_and_saveexec_b64 s[4:5], vcc
	s_cbranch_execz .LBB936_137
; %bb.132:                              ;   in Loop: Header=BB936_17 Depth=1
	v_lshrrev_b32_e32 v34, 24, v32
	v_cmp_ne_u32_e32 vcc, s13, v34
	v_mov_b32_e32 v44, 0xffff8000
	s_and_saveexec_b64 s[6:7], vcc
	s_cbranch_execz .LBB936_136
; %bb.133:                              ;   in Loop: Header=BB936_17 Depth=1
	v_bfe_u32 v32, v32, 24, 7
	v_cmp_ne_u32_e32 vcc, s14, v32
	v_mov_b32_e32 v44, 0x7f80
	s_and_saveexec_b64 s[10:11], vcc
	s_cbranch_execz .LBB936_135
; %bb.134:                              ;   in Loop: Header=BB936_17 Depth=1
	v_and_b32_e32 v44, 7, v34
	v_ffbh_u32_e32 v52, v44
	v_min_u32_e32 v55, 32, v52
	v_subrev_u32_e32 v52, 28, v55
	v_lshlrev_b64 v[52:53], v52, v[34:35]
	v_lshrrev_b32_e32 v54, 3, v32
	v_sub_u32_e32 v53, 29, v55
	v_and_b32_e32 v52, 7, v52
	v_cmp_gt_u32_e32 vcc, 8, v32
	v_cndmask_b32_e32 v32, v54, v53, vcc
	v_cndmask_b32_e32 v44, v44, v52, vcc
	v_lshlrev_b32_e32 v34, 24, v34
	v_lshlrev_b32_e32 v44, 20, v44
	v_and_b32_e32 v34, 0x80000000, v34
	v_lshl_add_u32 v32, v32, 23, v38
	v_or3_b32 v32, v34, v32, v44
	v_lshrrev_b32_e32 v44, 16, v32
.LBB936_135:                            ;   in Loop: Header=BB936_17 Depth=1
	s_or_b64 exec, exec, s[10:11]
.LBB936_136:                            ;   in Loop: Header=BB936_17 Depth=1
	s_or_b64 exec, exec, s[6:7]
.LBB936_137:                            ;   in Loop: Header=BB936_17 Depth=1
	s_or_b64 exec, exec, s[4:5]
	s_waitcnt vmcnt(2)
	v_cmp_ne_u16_sdwa s[6:7], v30, v35 src0_sel:BYTE_0 src1_sel:DWORD
	v_mov_b32_e32 v34, 0
	v_mov_b32_e32 v52, 0
	s_and_saveexec_b64 s[4:5], s[6:7]
	s_cbranch_execz .LBB936_143
; %bb.138:                              ;   in Loop: Header=BB936_17 Depth=1
	v_cmp_ne_u16_sdwa s[10:11], v30, s13 src0_sel:BYTE_0 src1_sel:DWORD
	v_mov_b32_e32 v52, 0xffff8000
	s_and_saveexec_b64 s[6:7], s[10:11]
	s_cbranch_execz .LBB936_142
; %bb.139:                              ;   in Loop: Header=BB936_17 Depth=1
	v_and_b32_e32 v32, 0x7f, v30
	v_cmp_ne_u32_e32 vcc, s14, v32
	v_mov_b32_e32 v52, 0x7f80
	s_and_saveexec_b64 s[10:11], vcc
	s_cbranch_execz .LBB936_141
; %bb.140:                              ;   in Loop: Header=BB936_17 Depth=1
	v_and_b32_e32 v54, 7, v30
	v_ffbh_u32_e32 v52, v54
	v_min_u32_e32 v56, 32, v52
	v_subrev_u32_e32 v52, 28, v56
	v_lshlrev_b64 v[52:53], v52, v[30:31]
	v_lshrrev_b32_e32 v55, 3, v32
	v_sub_u32_e32 v53, 29, v56
	v_and_b32_e32 v52, 7, v52
	v_cmp_gt_u32_e32 vcc, 8, v32
	v_cndmask_b32_e32 v32, v55, v53, vcc
	v_cndmask_b32_e32 v52, v54, v52, vcc
	v_lshlrev_b32_e32 v53, 24, v30
	v_lshlrev_b32_e32 v52, 20, v52
	v_and_b32_e32 v53, 0x80000000, v53
	v_lshl_add_u32 v32, v32, 23, v38
	v_or3_b32 v32, v53, v32, v52
	v_lshrrev_b32_e32 v52, 16, v32
.LBB936_141:                            ;   in Loop: Header=BB936_17 Depth=1
	s_or_b64 exec, exec, s[10:11]
.LBB936_142:                            ;   in Loop: Header=BB936_17 Depth=1
	s_or_b64 exec, exec, s[6:7]
.LBB936_143:                            ;   in Loop: Header=BB936_17 Depth=1
	s_or_b64 exec, exec, s[4:5]
	v_lshrrev_b16_e32 v32, 8, v30
	v_cmp_ne_u16_e32 vcc, 0, v32
	s_and_saveexec_b64 s[4:5], vcc
	s_cbranch_execz .LBB936_149
; %bb.144:                              ;   in Loop: Header=BB936_17 Depth=1
	v_cmp_ne_u16_e32 vcc, s13, v32
	v_mov_b32_e32 v34, 0xffff8000
	s_and_saveexec_b64 s[6:7], vcc
	s_cbranch_execz .LBB936_148
; %bb.145:                              ;   in Loop: Header=BB936_17 Depth=1
	v_and_b32_e32 v53, 0x7f, v32
	v_cmp_ne_u32_e32 vcc, s14, v53
	v_mov_b32_e32 v34, 0x7f80
	s_and_saveexec_b64 s[10:11], vcc
	s_cbranch_execz .LBB936_147
; %bb.146:                              ;   in Loop: Header=BB936_17 Depth=1
	v_and_b32_e32 v34, 7, v32
	v_ffbh_u32_e32 v54, v34
	v_min_u32_e32 v57, 32, v54
	v_subrev_u32_e32 v54, 28, v57
	v_lshlrev_b64 v[54:55], v54, v[32:33]
	v_lshrrev_b32_e32 v56, 3, v53
	v_sub_u32_e32 v32, 29, v57
	v_and_b32_e32 v54, 7, v54
	v_cmp_gt_u32_e32 vcc, 8, v53
	v_cndmask_b32_e32 v32, v56, v32, vcc
	v_cndmask_b32_e32 v34, v34, v54, vcc
	v_lshlrev_b32_e32 v53, 16, v30
	v_lshlrev_b32_e32 v34, 20, v34
	v_and_b32_e32 v53, 0x80000000, v53
	v_lshl_add_u32 v32, v32, 23, v38
	v_or3_b32 v32, v53, v32, v34
	v_lshrrev_b32_e32 v34, 16, v32
.LBB936_147:                            ;   in Loop: Header=BB936_17 Depth=1
	s_or_b64 exec, exec, s[10:11]
.LBB936_148:                            ;   in Loop: Header=BB936_17 Depth=1
	s_or_b64 exec, exec, s[6:7]
.LBB936_149:                            ;   in Loop: Header=BB936_17 Depth=1
	s_or_b64 exec, exec, s[4:5]
	v_lshrrev_b32_e32 v32, 16, v30
	v_cmp_ne_u16_sdwa s[6:7], v32, v35 src0_sel:BYTE_0 src1_sel:DWORD
	v_mov_b32_e32 v54, 0
	v_mov_b32_e32 v53, 0
	s_and_saveexec_b64 s[4:5], s[6:7]
	s_cbranch_execz .LBB936_155
; %bb.150:                              ;   in Loop: Header=BB936_17 Depth=1
	v_cmp_ne_u16_sdwa s[10:11], v32, s13 src0_sel:BYTE_0 src1_sel:DWORD
	v_mov_b32_e32 v53, 0xffff8000
	s_and_saveexec_b64 s[6:7], s[10:11]
	s_cbranch_execz .LBB936_154
; %bb.151:                              ;   in Loop: Header=BB936_17 Depth=1
	v_bfe_u32 v55, v30, 16, 7
	v_cmp_ne_u32_e32 vcc, s14, v55
	v_mov_b32_e32 v53, 0x7f80
	s_and_saveexec_b64 s[10:11], vcc
	s_cbranch_execz .LBB936_153
; %bb.152:                              ;   in Loop: Header=BB936_17 Depth=1
	v_and_b32_e32 v53, 7, v32
	v_ffbh_u32_e32 v56, v53
	v_min_u32_e32 v59, 32, v56
	v_subrev_u32_e32 v56, 28, v59
	v_lshlrev_b64 v[56:57], v56, v[32:33]
	v_lshrrev_b32_e32 v58, 3, v55
	v_sub_u32_e32 v57, 29, v59
	v_and_b32_e32 v56, 7, v56
	v_cmp_gt_u32_e32 vcc, 8, v55
	v_cndmask_b32_e32 v55, v58, v57, vcc
	v_cndmask_b32_e32 v53, v53, v56, vcc
	v_lshlrev_b32_e32 v32, 24, v32
	v_lshlrev_b32_e32 v53, 20, v53
	v_and_b32_e32 v32, 0x80000000, v32
	v_lshl_add_u32 v55, v55, 23, v38
	v_or3_b32 v32, v32, v55, v53
	v_lshrrev_b32_e32 v53, 16, v32
.LBB936_153:                            ;   in Loop: Header=BB936_17 Depth=1
	s_or_b64 exec, exec, s[10:11]
.LBB936_154:                            ;   in Loop: Header=BB936_17 Depth=1
	s_or_b64 exec, exec, s[6:7]
.LBB936_155:                            ;   in Loop: Header=BB936_17 Depth=1
	s_or_b64 exec, exec, s[4:5]
	v_cmp_lt_u32_e32 vcc, s15, v30
	s_and_saveexec_b64 s[4:5], vcc
	s_cbranch_execz .LBB936_161
; %bb.156:                              ;   in Loop: Header=BB936_17 Depth=1
	v_lshrrev_b32_e32 v32, 24, v30
	v_cmp_ne_u32_e32 vcc, s13, v32
	v_mov_b32_e32 v54, 0xffff8000
	s_and_saveexec_b64 s[6:7], vcc
	s_cbranch_execz .LBB936_160
; %bb.157:                              ;   in Loop: Header=BB936_17 Depth=1
	v_bfe_u32 v30, v30, 24, 7
	v_cmp_ne_u32_e32 vcc, s14, v30
	v_mov_b32_e32 v54, 0x7f80
	s_and_saveexec_b64 s[10:11], vcc
	s_cbranch_execz .LBB936_159
; %bb.158:                              ;   in Loop: Header=BB936_17 Depth=1
	v_and_b32_e32 v56, 7, v32
	v_ffbh_u32_e32 v54, v56
	v_min_u32_e32 v58, 32, v54
	v_subrev_u32_e32 v54, 28, v58
	v_lshlrev_b64 v[54:55], v54, v[32:33]
	v_lshrrev_b32_e32 v57, 3, v30
	v_sub_u32_e32 v55, 29, v58
	v_and_b32_e32 v54, 7, v54
	v_cmp_gt_u32_e32 vcc, 8, v30
	v_cndmask_b32_e32 v30, v57, v55, vcc
	v_cndmask_b32_e32 v54, v56, v54, vcc
	v_lshlrev_b32_e32 v32, 24, v32
	v_lshlrev_b32_e32 v54, 20, v54
	v_and_b32_e32 v32, 0x80000000, v32
	v_lshl_add_u32 v30, v30, 23, v38
	v_or3_b32 v30, v32, v30, v54
	v_lshrrev_b32_e32 v54, 16, v30
.LBB936_159:                            ;   in Loop: Header=BB936_17 Depth=1
	s_or_b64 exec, exec, s[10:11]
.LBB936_160:                            ;   in Loop: Header=BB936_17 Depth=1
	s_or_b64 exec, exec, s[6:7]
.LBB936_161:                            ;   in Loop: Header=BB936_17 Depth=1
	s_or_b64 exec, exec, s[4:5]
	v_perm_b32 v57, v44, v42, s16
	v_perm_b32 v56, v23, v40, s16
	;; [unrolled: 1-line block ×4, first 2 shown]
	s_waitcnt vmcnt(1)
	v_cmp_ne_u16_sdwa s[6:7], v28, v35 src0_sel:BYTE_0 src1_sel:DWORD
	v_mfma_f32_16x16x16bf16_1k v[18:21], v[56:57], v[10:11], v[18:21]
	v_mov_b32_e32 v23, 0
	v_mov_b32_e32 v32, 0
	v_mfma_f32_16x16x16bf16_1k v[18:21], v[52:53], v[12:13], v[18:21]
	s_and_saveexec_b64 s[4:5], s[6:7]
	s_cbranch_execz .LBB936_167
; %bb.162:                              ;   in Loop: Header=BB936_17 Depth=1
	v_cmp_ne_u16_sdwa s[10:11], v28, s13 src0_sel:BYTE_0 src1_sel:DWORD
	v_mov_b32_e32 v32, 0xffff8000
	s_and_saveexec_b64 s[6:7], s[10:11]
	s_cbranch_execz .LBB936_166
; %bb.163:                              ;   in Loop: Header=BB936_17 Depth=1
	v_and_b32_e32 v30, 0x7f, v28
	v_cmp_ne_u32_e32 vcc, s14, v30
	v_mov_b32_e32 v32, 0x7f80
	s_and_saveexec_b64 s[10:11], vcc
	s_cbranch_execz .LBB936_165
; %bb.164:                              ;   in Loop: Header=BB936_17 Depth=1
	v_and_b32_e32 v32, 7, v28
	v_ffbh_u32_e32 v40, v32
	v_min_u32_e32 v40, 32, v40
	v_subrev_u32_e32 v42, 28, v40
	v_lshlrev_b64 v[52:53], v42, v[28:29]
	v_lshrrev_b32_e32 v34, 3, v30
	v_sub_u32_e32 v40, 29, v40
	v_and_b32_e32 v42, 7, v52
	v_cmp_gt_u32_e32 vcc, 8, v30
	v_cndmask_b32_e32 v30, v34, v40, vcc
	v_cndmask_b32_e32 v32, v32, v42, vcc
	v_lshlrev_b32_e32 v34, 24, v28
	v_lshlrev_b32_e32 v32, 20, v32
	v_and_b32_e32 v34, 0x80000000, v34
	v_lshl_add_u32 v30, v30, 23, v38
	v_or3_b32 v30, v34, v30, v32
	v_lshrrev_b32_e32 v32, 16, v30
.LBB936_165:                            ;   in Loop: Header=BB936_17 Depth=1
	s_or_b64 exec, exec, s[10:11]
.LBB936_166:                            ;   in Loop: Header=BB936_17 Depth=1
	s_or_b64 exec, exec, s[6:7]
.LBB936_167:                            ;   in Loop: Header=BB936_17 Depth=1
	s_or_b64 exec, exec, s[4:5]
	v_lshrrev_b16_e32 v30, 8, v28
	v_cmp_ne_u16_e32 vcc, 0, v30
	s_and_saveexec_b64 s[4:5], vcc
	s_cbranch_execz .LBB936_173
; %bb.168:                              ;   in Loop: Header=BB936_17 Depth=1
	v_cmp_ne_u16_e32 vcc, s13, v30
	v_mov_b32_e32 v23, 0xffff8000
	s_and_saveexec_b64 s[6:7], vcc
	s_cbranch_execz .LBB936_172
; %bb.169:                              ;   in Loop: Header=BB936_17 Depth=1
	v_and_b32_e32 v34, 0x7f, v30
	v_cmp_ne_u32_e32 vcc, s14, v34
	v_mov_b32_e32 v23, 0x7f80
	s_and_saveexec_b64 s[10:11], vcc
	s_cbranch_execz .LBB936_171
; %bb.170:                              ;   in Loop: Header=BB936_17 Depth=1
	v_and_b32_e32 v23, 7, v30
	v_ffbh_u32_e32 v42, v23
	v_min_u32_e32 v42, 32, v42
	v_subrev_u32_e32 v44, 28, v42
	v_lshlrev_b64 v[52:53], v44, v[30:31]
	v_lshrrev_b32_e32 v40, 3, v34
	v_sub_u32_e32 v30, 29, v42
	v_and_b32_e32 v42, 7, v52
	v_cmp_gt_u32_e32 vcc, 8, v34
	v_cndmask_b32_e32 v30, v40, v30, vcc
	v_cndmask_b32_e32 v23, v23, v42, vcc
	v_lshlrev_b32_e32 v34, 16, v28
	v_lshlrev_b32_e32 v23, 20, v23
	v_and_b32_e32 v34, 0x80000000, v34
	v_lshl_add_u32 v30, v30, 23, v38
	v_or3_b32 v23, v34, v30, v23
	v_lshrrev_b32_e32 v23, 16, v23
.LBB936_171:                            ;   in Loop: Header=BB936_17 Depth=1
	s_or_b64 exec, exec, s[10:11]
.LBB936_172:                            ;   in Loop: Header=BB936_17 Depth=1
	s_or_b64 exec, exec, s[6:7]
.LBB936_173:                            ;   in Loop: Header=BB936_17 Depth=1
	s_or_b64 exec, exec, s[4:5]
	v_lshrrev_b32_e32 v30, 16, v28
	v_cmp_ne_u16_sdwa s[6:7], v30, v35 src0_sel:BYTE_0 src1_sel:DWORD
	v_mov_b32_e32 v40, 0
	v_mov_b32_e32 v34, 0
	s_and_saveexec_b64 s[4:5], s[6:7]
	s_cbranch_execz .LBB936_179
; %bb.174:                              ;   in Loop: Header=BB936_17 Depth=1
	v_cmp_ne_u16_sdwa s[10:11], v30, s13 src0_sel:BYTE_0 src1_sel:DWORD
	v_mov_b32_e32 v34, 0xffff8000
	s_and_saveexec_b64 s[6:7], s[10:11]
	s_cbranch_execz .LBB936_178
; %bb.175:                              ;   in Loop: Header=BB936_17 Depth=1
	v_bfe_u32 v42, v28, 16, 7
	v_cmp_ne_u32_e32 vcc, s14, v42
	v_mov_b32_e32 v34, 0x7f80
	s_and_saveexec_b64 s[10:11], vcc
	s_cbranch_execz .LBB936_177
; %bb.176:                              ;   in Loop: Header=BB936_17 Depth=1
	v_and_b32_e32 v34, 7, v30
	v_ffbh_u32_e32 v52, v34
	v_min_u32_e32 v54, 32, v52
	v_subrev_u32_e32 v52, 28, v54
	v_lshlrev_b64 v[52:53], v52, v[30:31]
	v_lshrrev_b32_e32 v44, 3, v42
	v_sub_u32_e32 v53, 29, v54
	v_and_b32_e32 v52, 7, v52
	v_cmp_gt_u32_e32 vcc, 8, v42
	v_cndmask_b32_e32 v42, v44, v53, vcc
	v_cndmask_b32_e32 v34, v34, v52, vcc
	v_lshlrev_b32_e32 v30, 24, v30
	v_lshlrev_b32_e32 v34, 20, v34
	v_and_b32_e32 v30, 0x80000000, v30
	v_lshl_add_u32 v42, v42, 23, v38
	v_or3_b32 v30, v30, v42, v34
	v_lshrrev_b32_e32 v34, 16, v30
.LBB936_177:                            ;   in Loop: Header=BB936_17 Depth=1
	s_or_b64 exec, exec, s[10:11]
.LBB936_178:                            ;   in Loop: Header=BB936_17 Depth=1
	s_or_b64 exec, exec, s[6:7]
.LBB936_179:                            ;   in Loop: Header=BB936_17 Depth=1
	s_or_b64 exec, exec, s[4:5]
	v_cmp_lt_u32_e32 vcc, s15, v28
	s_and_saveexec_b64 s[4:5], vcc
	s_cbranch_execz .LBB936_185
; %bb.180:                              ;   in Loop: Header=BB936_17 Depth=1
	v_lshrrev_b32_e32 v30, 24, v28
	v_cmp_ne_u32_e32 vcc, s13, v30
	v_mov_b32_e32 v40, 0xffff8000
	s_and_saveexec_b64 s[6:7], vcc
	s_cbranch_execz .LBB936_184
; %bb.181:                              ;   in Loop: Header=BB936_17 Depth=1
	v_bfe_u32 v28, v28, 24, 7
	v_cmp_ne_u32_e32 vcc, s14, v28
	v_mov_b32_e32 v40, 0x7f80
	s_and_saveexec_b64 s[10:11], vcc
	s_cbranch_execz .LBB936_183
; %bb.182:                              ;   in Loop: Header=BB936_17 Depth=1
	v_and_b32_e32 v40, 7, v30
	v_ffbh_u32_e32 v44, v40
	v_min_u32_e32 v44, 32, v44
	v_subrev_u32_e32 v52, 28, v44
	v_lshlrev_b64 v[52:53], v52, v[30:31]
	v_lshrrev_b32_e32 v42, 3, v28
	v_sub_u32_e32 v44, 29, v44
	v_and_b32_e32 v52, 7, v52
	v_cmp_gt_u32_e32 vcc, 8, v28
	v_cndmask_b32_e32 v28, v42, v44, vcc
	v_cndmask_b32_e32 v40, v40, v52, vcc
	v_lshlrev_b32_e32 v30, 24, v30
	v_lshlrev_b32_e32 v40, 20, v40
	v_and_b32_e32 v30, 0x80000000, v30
	v_lshl_add_u32 v28, v28, 23, v38
	v_or3_b32 v28, v30, v28, v40
	v_lshrrev_b32_e32 v40, 16, v28
.LBB936_183:                            ;   in Loop: Header=BB936_17 Depth=1
	s_or_b64 exec, exec, s[10:11]
.LBB936_184:                            ;   in Loop: Header=BB936_17 Depth=1
	s_or_b64 exec, exec, s[6:7]
.LBB936_185:                            ;   in Loop: Header=BB936_17 Depth=1
	s_or_b64 exec, exec, s[4:5]
	s_waitcnt vmcnt(0)
	v_cmp_ne_u16_sdwa s[6:7], v26, v35 src0_sel:BYTE_0 src1_sel:DWORD
	v_mov_b32_e32 v30, 0
	v_mov_b32_e32 v42, 0
	s_and_saveexec_b64 s[4:5], s[6:7]
	s_cbranch_execz .LBB936_191
; %bb.186:                              ;   in Loop: Header=BB936_17 Depth=1
	v_cmp_ne_u16_sdwa s[10:11], v26, s13 src0_sel:BYTE_0 src1_sel:DWORD
	v_mov_b32_e32 v42, 0xffff8000
	s_and_saveexec_b64 s[6:7], s[10:11]
	s_cbranch_execz .LBB936_190
; %bb.187:                              ;   in Loop: Header=BB936_17 Depth=1
	v_and_b32_e32 v28, 0x7f, v26
	v_cmp_ne_u32_e32 vcc, s14, v28
	v_mov_b32_e32 v42, 0x7f80
	s_and_saveexec_b64 s[10:11], vcc
	s_cbranch_execz .LBB936_189
; %bb.188:                              ;   in Loop: Header=BB936_17 Depth=1
	v_and_b32_e32 v42, 7, v26
	v_ffbh_u32_e32 v52, v42
	v_min_u32_e32 v54, 32, v52
	v_subrev_u32_e32 v52, 28, v54
	v_lshlrev_b64 v[52:53], v52, v[26:27]
	v_lshrrev_b32_e32 v44, 3, v28
	v_sub_u32_e32 v53, 29, v54
	v_and_b32_e32 v52, 7, v52
	v_cmp_gt_u32_e32 vcc, 8, v28
	v_cndmask_b32_e32 v28, v44, v53, vcc
	v_cndmask_b32_e32 v42, v42, v52, vcc
	v_lshlrev_b32_e32 v44, 24, v26
	v_lshlrev_b32_e32 v42, 20, v42
	v_and_b32_e32 v44, 0x80000000, v44
	v_lshl_add_u32 v28, v28, 23, v38
	v_or3_b32 v28, v44, v28, v42
	v_lshrrev_b32_e32 v42, 16, v28
.LBB936_189:                            ;   in Loop: Header=BB936_17 Depth=1
	s_or_b64 exec, exec, s[10:11]
.LBB936_190:                            ;   in Loop: Header=BB936_17 Depth=1
	s_or_b64 exec, exec, s[6:7]
.LBB936_191:                            ;   in Loop: Header=BB936_17 Depth=1
	s_or_b64 exec, exec, s[4:5]
	v_lshrrev_b16_e32 v28, 8, v26
	v_cmp_ne_u16_e32 vcc, 0, v28
	s_and_saveexec_b64 s[4:5], vcc
	s_cbranch_execz .LBB936_197
; %bb.192:                              ;   in Loop: Header=BB936_17 Depth=1
	v_cmp_ne_u16_e32 vcc, s13, v28
	v_mov_b32_e32 v30, 0xffff8000
	s_and_saveexec_b64 s[6:7], vcc
	s_cbranch_execz .LBB936_196
; %bb.193:                              ;   in Loop: Header=BB936_17 Depth=1
	v_and_b32_e32 v44, 0x7f, v28
	v_cmp_ne_u32_e32 vcc, s14, v44
	v_mov_b32_e32 v30, 0x7f80
	s_and_saveexec_b64 s[10:11], vcc
	s_cbranch_execz .LBB936_195
; %bb.194:                              ;   in Loop: Header=BB936_17 Depth=1
	v_and_b32_e32 v30, 7, v28
	v_ffbh_u32_e32 v52, v30
	v_min_u32_e32 v55, 32, v52
	v_subrev_u32_e32 v52, 28, v55
	v_lshlrev_b64 v[52:53], v52, v[28:29]
	v_lshrrev_b32_e32 v54, 3, v44
	v_sub_u32_e32 v28, 29, v55
	v_and_b32_e32 v52, 7, v52
	v_cmp_gt_u32_e32 vcc, 8, v44
	v_cndmask_b32_e32 v28, v54, v28, vcc
	v_cndmask_b32_e32 v30, v30, v52, vcc
	v_lshlrev_b32_e32 v44, 16, v26
	v_lshlrev_b32_e32 v30, 20, v30
	v_and_b32_e32 v44, 0x80000000, v44
	v_lshl_add_u32 v28, v28, 23, v38
	v_or3_b32 v28, v44, v28, v30
	v_lshrrev_b32_e32 v30, 16, v28
.LBB936_195:                            ;   in Loop: Header=BB936_17 Depth=1
	s_or_b64 exec, exec, s[10:11]
.LBB936_196:                            ;   in Loop: Header=BB936_17 Depth=1
	s_or_b64 exec, exec, s[6:7]
.LBB936_197:                            ;   in Loop: Header=BB936_17 Depth=1
	s_or_b64 exec, exec, s[4:5]
	v_lshrrev_b32_e32 v28, 16, v26
	v_cmp_ne_u16_sdwa s[6:7], v28, v35 src0_sel:BYTE_0 src1_sel:DWORD
	v_mov_b32_e32 v52, 0
	v_mov_b32_e32 v44, 0
	s_and_saveexec_b64 s[4:5], s[6:7]
	s_cbranch_execz .LBB936_203
; %bb.198:                              ;   in Loop: Header=BB936_17 Depth=1
	v_cmp_ne_u16_sdwa s[10:11], v28, s13 src0_sel:BYTE_0 src1_sel:DWORD
	v_mov_b32_e32 v44, 0xffff8000
	s_and_saveexec_b64 s[6:7], s[10:11]
	s_cbranch_execz .LBB936_202
; %bb.199:                              ;   in Loop: Header=BB936_17 Depth=1
	v_bfe_u32 v53, v26, 16, 7
	v_cmp_ne_u32_e32 vcc, s14, v53
	v_mov_b32_e32 v44, 0x7f80
	s_and_saveexec_b64 s[10:11], vcc
	s_cbranch_execz .LBB936_201
; %bb.200:                              ;   in Loop: Header=BB936_17 Depth=1
	v_and_b32_e32 v44, 7, v28
	v_ffbh_u32_e32 v54, v44
	v_min_u32_e32 v57, 32, v54
	v_subrev_u32_e32 v54, 28, v57
	v_lshlrev_b64 v[54:55], v54, v[28:29]
	v_lshrrev_b32_e32 v56, 3, v53
	v_sub_u32_e32 v55, 29, v57
	v_and_b32_e32 v54, 7, v54
	v_cmp_gt_u32_e32 vcc, 8, v53
	v_cndmask_b32_e32 v53, v56, v55, vcc
	v_cndmask_b32_e32 v44, v44, v54, vcc
	v_lshlrev_b32_e32 v28, 24, v28
	v_lshlrev_b32_e32 v44, 20, v44
	v_and_b32_e32 v28, 0x80000000, v28
	v_lshl_add_u32 v53, v53, 23, v38
	v_or3_b32 v28, v28, v53, v44
	v_lshrrev_b32_e32 v44, 16, v28
.LBB936_201:                            ;   in Loop: Header=BB936_17 Depth=1
	s_or_b64 exec, exec, s[10:11]
.LBB936_202:                            ;   in Loop: Header=BB936_17 Depth=1
	s_or_b64 exec, exec, s[6:7]
.LBB936_203:                            ;   in Loop: Header=BB936_17 Depth=1
	s_or_b64 exec, exec, s[4:5]
	v_cmp_lt_u32_e32 vcc, s15, v26
	s_and_saveexec_b64 s[4:5], vcc
	s_cbranch_execz .LBB936_16
; %bb.204:                              ;   in Loop: Header=BB936_17 Depth=1
	v_lshrrev_b32_e32 v28, 24, v26
	v_cmp_ne_u32_e32 vcc, s13, v28
	v_mov_b32_e32 v52, 0xffff8000
	s_and_saveexec_b64 s[6:7], vcc
	s_cbranch_execz .LBB936_15
; %bb.205:                              ;   in Loop: Header=BB936_17 Depth=1
	v_bfe_u32 v26, v26, 24, 7
	v_cmp_ne_u32_e32 vcc, s14, v26
	v_mov_b32_e32 v52, 0x7f80
	s_and_saveexec_b64 s[10:11], vcc
	s_cbranch_execz .LBB936_14
; %bb.206:                              ;   in Loop: Header=BB936_17 Depth=1
	v_and_b32_e32 v54, 7, v28
	v_ffbh_u32_e32 v52, v54
	v_min_u32_e32 v56, 32, v52
	v_subrev_u32_e32 v52, 28, v56
	v_lshlrev_b64 v[52:53], v52, v[28:29]
	v_lshrrev_b32_e32 v55, 3, v26
	v_sub_u32_e32 v53, 29, v56
	v_and_b32_e32 v52, 7, v52
	v_cmp_gt_u32_e32 vcc, 8, v26
	v_cndmask_b32_e32 v26, v55, v53, vcc
	v_cndmask_b32_e32 v52, v54, v52, vcc
	v_lshlrev_b32_e32 v28, 24, v28
	v_lshlrev_b32_e32 v52, 20, v52
	v_and_b32_e32 v28, 0x80000000, v28
	v_lshl_add_u32 v26, v26, 23, v38
	v_or3_b32 v26, v28, v26, v52
	v_lshrrev_b32_e32 v52, 16, v26
	s_branch .LBB936_14
.LBB936_207:
	buffer_load_dword v17, off, s[0:3], 0 offset:256
	buffer_load_dword v16, off, s[0:3], 0 offset:260
	;; [unrolled: 1-line block ×16, first 2 shown]
	v_and_b32_e32 v18, 0xc0, v0
	v_add_u32_e32 v18, s20, v18
	v_lshl_or_b32 v18, v1, 2, v18
	v_or_b32_e32 v20, 1, v18
	v_subrev_u32_e32 v24, s33, v20
	v_add_u32_e32 v26, 1, v24
	v_cvt_f32_i32_e32 v25, v24
	v_add_u32_e32 v28, 2, v24
	v_add_u32_e32 v30, 3, v24
	;; [unrolled: 1-line block ×14, first 2 shown]
	v_cvt_f32_i32_e32 v26, v26
	v_cvt_f32_i32_e32 v28, v28
	;; [unrolled: 1-line block ×4, first 2 shown]
	v_mov_b32_e32 v19, 0xff7fffff
	v_or_b32_e32 v21, 2, v18
	v_or_b32_e32 v22, 3, v18
	v_cvt_f32_i32_e32 v32, v32
	v_cvt_f32_i32_e32 v34, v34
	v_cmp_gt_i32_e64 s[28:29], s33, v18
	v_cmp_gt_i32_e64 s[30:31], s33, v20
	s_mov_b32 s52, 0xff7fffff
	v_cmp_gt_i32_e64 s[34:35], s33, v21
	v_cmp_gt_i32_e64 s[36:37], s33, v22
	v_or_b32_e32 v23, 16, v18
	v_cvt_f32_i32_e32 v35, v35
	v_cvt_f32_i32_e32 v36, v36
	v_cmp_gt_i32_e64 s[24:25], s33, v23
	v_cvt_f32_i32_e32 v37, v37
	v_cvt_f32_i32_e32 v38, v38
	;; [unrolled: 1-line block ×7, first 2 shown]
	s_waitcnt vmcnt(15)
	v_fmac_f32_e32 v17, v31, v25
	s_waitcnt vmcnt(14)
	v_fmac_f32_e32 v16, v31, v26
	;; [unrolled: 2-line block ×4, first 2 shown]
	v_cndmask_b32_e64 v20, v19, v16, s[30:31]
	v_cndmask_b32_e64 v21, v19, v15, s[34:35]
	;; [unrolled: 1-line block ×3, first 2 shown]
	s_waitcnt vmcnt(11)
	v_fmac_f32_e32 v13, v31, v32
	s_waitcnt vmcnt(10)
	v_fmac_f32_e32 v12, v31, v34
	;; [unrolled: 2-line block ×9, first 2 shown]
	v_cndmask_b32_e64 v24, v19, v17, s[28:29]
	v_max3_f32 v20, v24, s52, v20
	v_max3_f32 v20, v20, v21, v22
	v_or_b32_e32 v22, 17, v18
	v_cmp_gt_i32_e64 s[38:39], s33, v22
	v_cndmask_b32_e64 v21, v19, v13, s[24:25]
	v_cndmask_b32_e64 v22, v19, v12, s[38:39]
	v_max3_f32 v20, v20, v21, v22
	v_or_b32_e32 v21, 18, v18
	v_or_b32_e32 v22, 19, v18
	v_cmp_gt_i32_e64 s[20:21], s33, v21
	v_cmp_gt_i32_e64 s[22:23], s33, v22
	v_cndmask_b32_e64 v21, v19, v11, s[20:21]
	v_cndmask_b32_e64 v22, v19, v10, s[22:23]
	v_max3_f32 v20, v20, v21, v22
	v_or_b32_e32 v21, 32, v18
	v_or_b32_e32 v22, 33, v18
	v_cmp_gt_i32_e64 s[16:17], s33, v21
	;; [unrolled: 7-line block ×3, first 2 shown]
	v_cmp_gt_i32_e64 s[14:15], s33, v22
	v_cndmask_b32_e64 v21, v19, v7, s[12:13]
	v_cndmask_b32_e64 v22, v19, v6, s[14:15]
	v_max3_f32 v20, v20, v21, v22
	v_or_b32_e32 v21, 48, v18
	v_or_b32_e32 v22, 49, v18
	v_fmac_f32_e32 v5, v31, v44
	v_fmac_f32_e32 v4, v31, v52
	v_cmp_gt_i32_e64 s[6:7], s33, v21
	v_cmp_gt_i32_e64 s[10:11], s33, v22
	v_cndmask_b32_e64 v21, v19, v5, s[6:7]
	v_cndmask_b32_e64 v22, v19, v4, s[10:11]
	v_max3_f32 v20, v20, v21, v22
	v_or_b32_e32 v21, 50, v18
	v_or_b32_e32 v18, 51, v18
	v_fmac_f32_e32 v3, v31, v53
	v_cmp_gt_i32_e32 vcc, s33, v21
	v_cmp_gt_i32_e64 s[4:5], s33, v18
	v_cndmask_b32_e32 v21, v19, v3, vcc
	v_cndmask_b32_e64 v18, v19, v2, s[4:5]
	v_mbcnt_lo_u32_b32 v19, -1, 0
	v_mbcnt_hi_u32_b32 v19, -1, v19
	v_max3_f32 v18, v20, v21, v18
	v_and_b32_e32 v20, 64, v19
	v_add_u32_e32 v20, 64, v20
	v_xor_b32_e32 v21, 32, v19
	v_cmp_lt_i32_e64 s[40:41], v21, v20
	v_cndmask_b32_e64 v21, v19, v21, s[40:41]
	v_lshlrev_b32_e32 v21, 2, v21
	ds_bpermute_b32 v22, v21, v18
	s_waitcnt lgkmcnt(0)
	v_max_f32_e32 v22, v22, v22
	v_max_f32_e32 v18, v18, v22
	v_xor_b32_e32 v22, 16, v19
	v_cmp_lt_i32_e64 s[40:41], v22, v20
	v_cndmask_b32_e64 v19, v19, v22, s[40:41]
	v_lshlrev_b32_e32 v19, 2, v19
	ds_bpermute_b32 v20, v19, v18
	s_waitcnt lgkmcnt(0)
	v_max_f32_e32 v20, v20, v20
	v_max_f32_e32 v18, v18, v20
	v_sub_f32_e32 v17, v17, v18
	v_mul_f32_e32 v17, 0x3fb8aa3b, v17
	v_sub_f32_e32 v16, v16, v18
	v_exp_f32_e32 v17, v17
	v_mul_f32_e32 v16, 0x3fb8aa3b, v16
	v_sub_f32_e32 v15, v15, v18
	v_exp_f32_e32 v16, v16
	;; [unrolled: 3-line block ×4, first 2 shown]
	v_mul_f32_e32 v13, 0x3fb8aa3b, v13
	v_sub_f32_e32 v12, v12, v18
	v_cndmask_b32_e64 v17, 0, v17, s[28:29]
	v_exp_f32_e32 v13, v13
	v_mul_f32_e32 v12, 0x3fb8aa3b, v12
	v_sub_f32_e32 v11, v11, v18
	v_add_f32_e32 v20, 0, v17
	v_cndmask_b32_e64 v16, 0, v16, s[30:31]
	v_exp_f32_e32 v12, v12
	v_mul_f32_e32 v11, 0x3fb8aa3b, v11
	v_sub_f32_e32 v10, v10, v18
	v_add_f32_e32 v20, v20, v16
	;; [unrolled: 5-line block ×4, first 2 shown]
	v_cndmask_b32_e64 v13, 0, v13, s[24:25]
	v_exp_f32_e32 v9, v9
	v_mul_f32_e32 v8, 0x3fb8aa3b, v8
	v_sub_f32_e32 v7, v7, v18
	buffer_store_dword v17, off, s[0:3], 0 offset:256
	buffer_store_dword v16, off, s[0:3], 0 offset:260
	;; [unrolled: 1-line block ×4, first 2 shown]
	v_add_f32_e32 v14, v20, v13
	v_cndmask_b32_e64 v12, 0, v12, s[38:39]
	v_exp_f32_e32 v8, v8
	v_mul_f32_e32 v7, 0x3fb8aa3b, v7
	v_sub_f32_e32 v6, v6, v18
	v_add_f32_e32 v14, v14, v12
	v_cndmask_b32_e64 v11, 0, v11, s[20:21]
	v_exp_f32_e32 v7, v7
	v_mul_f32_e32 v6, 0x3fb8aa3b, v6
	v_sub_f32_e32 v5, v5, v18
	;; [unrolled: 5-line block ×4, first 2 shown]
	buffer_store_dword v13, off, s[0:3], 0 offset:272
	buffer_store_dword v12, off, s[0:3], 0 offset:276
	;; [unrolled: 1-line block ×4, first 2 shown]
	v_add_f32_e32 v10, v14, v9
	v_cndmask_b32_e64 v8, 0, v8, s[18:19]
	v_exp_f32_e32 v4, v4
	v_mul_f32_e32 v3, 0x3fb8aa3b, v3
	v_sub_f32_e32 v2, v2, v18
	v_add_f32_e32 v10, v10, v8
	v_cndmask_b32_e64 v7, 0, v7, s[12:13]
	v_exp_f32_e32 v3, v3
	v_mul_f32_e32 v2, 0x3fb8aa3b, v2
	v_add_f32_e32 v10, v10, v7
	v_cndmask_b32_e64 v6, 0, v6, s[14:15]
	v_exp_f32_e32 v2, v2
	v_add_f32_e32 v10, v10, v6
	v_cndmask_b32_e64 v5, 0, v5, s[6:7]
	buffer_store_dword v9, off, s[0:3], 0 offset:288
	buffer_store_dword v8, off, s[0:3], 0 offset:292
	;; [unrolled: 1-line block ×4, first 2 shown]
	v_add_f32_e32 v6, v10, v5
	v_cndmask_b32_e64 v4, 0, v4, s[10:11]
	v_add_f32_e32 v6, v6, v4
	v_cndmask_b32_e32 v3, 0, v3, vcc
	v_add_f32_e32 v6, v6, v3
	v_cndmask_b32_e64 v2, 0, v2, s[4:5]
	v_add_f32_e32 v6, v6, v2
	ds_bpermute_b32 v7, v21, v6
	buffer_store_dword v5, off, s[0:3], 0 offset:304
	buffer_store_dword v4, off, s[0:3], 0 offset:308
	;; [unrolled: 1-line block ×4, first 2 shown]
	v_cmp_gt_u32_e32 vcc, 16, v33
	s_waitcnt lgkmcnt(0)
	s_barrier
	v_add_f32_e32 v2, v6, v7
	ds_bpermute_b32 v3, v19, v2
	s_waitcnt lgkmcnt(0)
	s_and_saveexec_b64 s[4:5], vcc
	s_cbranch_execz .LBB936_209
; %bb.208:
	v_add_f32_e32 v2, v2, v3
	v_lshlrev_b32_e32 v3, 2, v29
	ds_write2st64_b32 v3, v18, v2 offset1:1
.LBB936_209:
	s_or_b64 exec, exec, s[4:5]
	v_lshlrev_b32_e32 v2, 2, v41
	s_waitcnt lgkmcnt(0)
	s_barrier
	ds_read2_b32 v[14:15], v2 offset1:16
	ds_read2_b32 v[16:17], v2 offset0:32 offset1:48
	ds_read2_b32 v[6:7], v2 offset0:64 offset1:80
	;; [unrolled: 1-line block ×3, first 2 shown]
	s_waitcnt lgkmcnt(0)
	s_barrier
	buffer_load_dword v22, off, s[0:3], 0 offset:264
	buffer_load_dword v23, off, s[0:3], 0 offset:268
	;; [unrolled: 1-line block ×16, first 2 shown]
	v_max3_f32 v20, v14, s52, v15
	v_max3_f32 v20, v20, v16, v17
	v_sub_f32_e32 v14, v14, v20
	v_sub_f32_e32 v15, v15, v20
	v_mul_f32_e32 v14, 0x3fb8aa3b, v14
	v_sub_f32_e32 v16, v16, v20
	v_mul_f32_e32 v15, 0x3fb8aa3b, v15
	v_exp_f32_e32 v14, v14
	v_sub_f32_e32 v17, v17, v20
	v_mul_f32_e32 v16, 0x3fb8aa3b, v16
	v_exp_f32_e32 v15, v15
	v_mul_f32_e32 v17, 0x3fb8aa3b, v17
	v_exp_f32_e32 v16, v16
	v_exp_f32_e32 v17, v17
	v_fma_f32 v6, v14, v6, 0
	v_fmac_f32_e32 v6, v15, v7
	v_fmac_f32_e32 v6, v16, v12
	;; [unrolled: 1-line block ×3, first 2 shown]
	v_cmp_eq_u32_e32 vcc, 1, v27
	v_add_f32_e32 v12, 0x358637bd, v6
	v_cndmask_b32_e32 v14, v14, v15, vcc
	v_cmp_eq_u32_e32 vcc, 2, v27
	v_div_scale_f32 v13, s[4:5], v12, v12, 1.0
	v_cndmask_b32_e32 v7, v14, v16, vcc
	v_rcp_f32_e32 v14, v13
	v_cmp_eq_u32_e32 vcc, 3, v27
	v_cndmask_b32_e32 v7, v7, v17, vcc
	v_div_scale_f32 v15, vcc, 1.0, v12, 1.0
	v_fma_f32 v16, -v13, v14, 1.0
	v_fmac_f32_e32 v14, v16, v14
	v_mul_f32_e32 v16, v15, v14
	v_fma_f32 v17, -v13, v16, v15
	v_fmac_f32_e32 v16, v17, v14
	v_fma_f32 v13, -v13, v16, v15
	v_div_fmas_f32 v13, v13, v14, v16
	v_div_fixup_f32 v12, v13, v12, 1.0
	v_mul_f32_e32 v12, v7, v12
	s_movk_i32 s19, 0x7fff
	s_mov_b32 s20, 0x7060302
	s_mul_i32 s18, s49, 11
	v_cmp_gt_u32_e32 vcc, 11, v0
	s_waitcnt vmcnt(14)
	v_pk_mul_f32 v[14:15], v[12:13], v[22:23] op_sel_hi:[0,1]
	v_bfe_u32 v21, v15, 16, 1
	s_waitcnt vmcnt(12)
	v_pk_mul_f32 v[16:17], v[12:13], v[24:25] op_sel_hi:[0,1]
	v_bfe_u32 v7, v17, 16, 1
	v_bfe_u32 v13, v16, 16, 1
	;; [unrolled: 1-line block ×3, first 2 shown]
	v_add3_u32 v13, v16, v13, s19
	v_add3_u32 v7, v17, v7, s19
	buffer_store_dword v16, off, s[0:3], 0 offset:256
	buffer_store_dword v17, off, s[0:3], 0 offset:260
	;; [unrolled: 1-line block ×4, first 2 shown]
	v_add3_u32 v16, v14, v22, s19
	v_add3_u32 v15, v15, v21, s19
	v_perm_b32 v14, v7, v13, s20
	v_lshlrev_b32_e32 v13, 3, v1
	v_perm_b32 v15, v15, v16, s20
	v_lshlrev_b32_e32 v7, 5, v41
	v_lshlrev_b32_e32 v16, 11, v27
	s_waitcnt vmcnt(12)
	v_pk_mul_f32 v[8:9], v[12:13], v[8:9] op_sel_hi:[0,1]
	v_or3_b32 v52, v16, v7, v13
	v_pk_mul_f32 v[10:11], v[12:13], v[10:11] op_sel_hi:[0,1]
	v_bfe_u32 v13, v9, 16, 1
	v_bfe_u32 v16, v8, 16, 1
	buffer_store_dword v8, off, s[0:3], 0 offset:272
	buffer_store_dword v9, off, s[0:3], 0 offset:276
	;; [unrolled: 1-line block ×4, first 2 shown]
	v_add3_u32 v8, v8, v16, s19
	v_add3_u32 v9, v9, v13, s19
	v_perm_b32 v8, v9, v8, s20
	v_bfe_u32 v9, v11, 16, 1
	v_bfe_u32 v13, v10, 16, 1
	v_add3_u32 v10, v10, v13, s19
	v_add3_u32 v9, v11, v9, s19
	v_perm_b32 v9, v9, v10, s20
	s_waitcnt vmcnt(14)
	v_pk_mul_f32 v[10:11], v[12:13], v[18:19] op_sel_hi:[0,1]
	ds_write2st64_b64 v52, v[14:15], v[8:9] offset1:1
	s_waitcnt vmcnt(12)
	v_pk_mul_f32 v[8:9], v[12:13], v[28:29] op_sel_hi:[0,1]
	v_bfe_u32 v13, v11, 16, 1
	v_bfe_u32 v14, v10, 16, 1
	buffer_store_dword v10, off, s[0:3], 0 offset:288
	buffer_store_dword v11, off, s[0:3], 0 offset:292
	buffer_store_dword v8, off, s[0:3], 0 offset:296
	buffer_store_dword v9, off, s[0:3], 0 offset:300
	v_add3_u32 v10, v10, v14, s19
	v_add3_u32 v11, v11, v13, s19
	v_perm_b32 v10, v11, v10, s20
	v_bfe_u32 v11, v9, 16, 1
	v_bfe_u32 v13, v8, 16, 1
	v_add3_u32 v8, v8, v13, s19
	v_add3_u32 v9, v9, v11, s19
	s_waitcnt vmcnt(14)
	v_pk_mul_f32 v[2:3], v[12:13], v[2:3] op_sel_hi:[0,1]
	v_perm_b32 v11, v9, v8, s20
	v_bfe_u32 v8, v3, 16, 1
	v_bfe_u32 v9, v2, 16, 1
	s_waitcnt vmcnt(12)
	v_pk_mul_f32 v[4:5], v[12:13], v[4:5] op_sel_hi:[0,1]
	buffer_store_dword v2, off, s[0:3], 0 offset:304
	buffer_store_dword v3, off, s[0:3], 0 offset:308
	;; [unrolled: 1-line block ×4, first 2 shown]
	v_add3_u32 v2, v2, v9, s19
	v_add3_u32 v3, v3, v8, s19
	v_perm_b32 v2, v3, v2, s20
	v_bfe_u32 v3, v5, 16, 1
	v_bfe_u32 v8, v4, 16, 1
	v_add3_u32 v4, v4, v8, s19
	v_add3_u32 v3, v5, v3, s19
	v_perm_b32 v3, v3, v4, s20
	ds_write2st64_b64 v52, v[10:11], v[2:3] offset0:2 offset1:3
	s_and_saveexec_b64 s[4:5], vcc
	s_cbranch_execz .LBB936_211
; %bb.210:
	v_add_co_u32_e32 v4, vcc, s27, v41
	v_addc_co_u32_e64 v5, s[6:7], 0, 0, vcc
	v_mov_b32_e32 v2, s18
	v_mad_u64_u32 v[4:5], s[6:7], s8, v2, v[4:5]
	v_mov_b32_e32 v3, 0
	s_mul_i32 s6, s9, s18
	v_mov_b32_e32 v2, s26
	v_add_u32_e32 v5, s6, v5
	v_mad_u64_u32 v[2:3], s[6:7], v4, s48, v[2:3]
	v_mov_b32_e32 v4, v3
	v_mad_u64_u32 v[4:5], s[6:7], v5, s48, v[4:5]
	v_mov_b32_e32 v3, v4
	v_lshlrev_b64 v[2:3], 2, v[2:3]
	v_mov_b32_e32 v5, s47
	v_add_co_u32_e32 v4, vcc, s46, v2
	v_addc_co_u32_e32 v5, vcc, v5, v3, vcc
	global_store_dword v[4:5], v20, off
	v_mov_b32_e32 v4, s45
	v_add_co_u32_e32 v2, vcc, s44, v2
	v_addc_co_u32_e32 v3, vcc, v4, v3, vcc
	global_store_dword v[2:3], v6, off
.LBB936_211:
	s_or_b64 exec, exec, s[4:5]
	v_lshl_or_b32 v30, v1, 9, v7
	s_waitcnt lgkmcnt(0)
	s_barrier
	s_load_dword s4, s[42:43], 0x0
	ds_read_b128 v[2:5], v30
	ds_read_b128 v[6:9], v30 offset:16
	ds_read_b128 v[10:13], v30 offset:2048
	;; [unrolled: 1-line block ×7, first 2 shown]
	v_mov_b32_e32 v35, 0x80
	v_mov_b32_e32 v53, 0x140
	s_mov_b64 s[10:11], -1
	s_waitcnt lgkmcnt(0)
	s_mov_b32 s5, s4
	s_mov_b32 s6, s4
	;; [unrolled: 1-line block ×3, first 2 shown]
	s_movk_i32 s9, 0x80
	s_movk_i32 s21, 0x7f
	s_mov_b32 s22, 0xffffff
	s_mov_b32 s23, 0x5040100
	v_mov_b32_e32 v54, 0
	v_bfrev_b32_e32 v55, 60
	s_branch .LBB936_215
.LBB936_212:                            ;   in Loop: Header=BB936_215 Depth=1
	s_or_b64 exec, exec, s[16:17]
.LBB936_213:                            ;   in Loop: Header=BB936_215 Depth=1
	s_or_b64 exec, exec, s[14:15]
.LBB936_214:                            ;   in Loop: Header=BB936_215 Depth=1
	s_or_b64 exec, exec, s[12:13]
	v_perm_b32 v61, v56, v50, s23
	v_perm_b32 v60, v44, v46, s23
	s_xor_b64 s[12:13], s[10:11], -1
	s_mov_b64 s[10:11], 0
	v_mov_b32_e32 v46, v47
	v_mfma_f32_16x16x16bf16_1k v[60:63], v[60:61], v[30:31], v[34:37]
	s_and_b64 vcc, exec, s[12:13]
	s_nop 5
	v_perm_b32 v37, v58, v57, s23
	v_perm_b32 v36, v42, v51, s23
	v_mov_b32_e32 v35, v45
	s_nop 0
	v_mfma_f32_16x16x16bf16_1k v[56:59], v[36:37], v[32:33], v[60:63]
	s_nop 7
	s_nop 2
	v_pk_mul_f32 v[50:51], v[56:57], s[4:5]
	v_pk_mul_f32 v[36:37], v[58:59], s[6:7]
	v_bfe_u32 v34, v51, 16, 1
	v_bfe_u32 v38, v50, 16, 1
	;; [unrolled: 1-line block ×4, first 2 shown]
	v_add3_u32 v38, v50, v38, s19
	v_add3_u32 v34, v51, v34, s19
	;; [unrolled: 1-line block ×4, first 2 shown]
	v_perm_b32 v34, v34, v38, s20
	v_perm_b32 v36, v37, v36, s20
	buffer_store_dword v34, v53, s[0:3], 0 offen
	buffer_store_dword v36, v53, s[0:3], 0 offen offset:4
	v_mov_b32_e32 v53, 0x148
	v_mov_b32_e32 v51, v48
	v_mov_b32_e32 v50, v49
	s_cbranch_vccnz .LBB936_597
.LBB936_215:                            ; =>This Inner Loop Header: Depth=1
	buffer_load_dword v36, v35, s[0:3], 0 offen
	buffer_load_dword v34, v35, s[0:3], 0 offen offset:4
	buffer_load_dword v40, v35, s[0:3], 0 offen offset:8
	;; [unrolled: 1-line block ×3, first 2 shown]
	v_mov_b32_e32 v35, 0
	s_waitcnt vmcnt(3)
	v_cmp_ne_u16_sdwa s[14:15], v36, v54 src0_sel:BYTE_0 src1_sel:DWORD
	s_and_saveexec_b64 s[12:13], s[14:15]
	s_cbranch_execz .LBB936_221
; %bb.216:                              ;   in Loop: Header=BB936_215 Depth=1
	v_cmp_ne_u16_sdwa s[16:17], v36, s9 src0_sel:BYTE_0 src1_sel:DWORD
	v_mov_b32_e32 v35, 0xffff8000
	s_and_saveexec_b64 s[14:15], s[16:17]
	s_cbranch_execz .LBB936_220
; %bb.217:                              ;   in Loop: Header=BB936_215 Depth=1
	v_and_b32_e32 v37, 0x7f, v36
	v_cmp_ne_u32_e32 vcc, s21, v37
	v_mov_b32_e32 v35, 0x7f80
	s_and_saveexec_b64 s[16:17], vcc
	s_cbranch_execz .LBB936_219
; %bb.218:                              ;   in Loop: Header=BB936_215 Depth=1
	v_and_b32_e32 v35, 7, v36
	v_ffbh_u32_e32 v44, v35
	v_min_u32_e32 v44, 32, v44
	v_subrev_u32_e32 v56, 28, v44
	v_lshlrev_b64 v[56:57], v56, v[36:37]
	v_lshrrev_b32_e32 v42, 3, v37
	v_sub_u32_e32 v44, 29, v44
	v_and_b32_e32 v56, 7, v56
	v_cmp_gt_u32_e32 vcc, 8, v37
	v_cndmask_b32_e32 v37, v42, v44, vcc
	v_cndmask_b32_e32 v35, v35, v56, vcc
	v_lshlrev_b32_e32 v42, 24, v36
	v_lshlrev_b32_e32 v35, 20, v35
	v_and_b32_e32 v42, 0x80000000, v42
	v_lshl_add_u32 v37, v37, 23, v55
	v_or3_b32 v35, v42, v37, v35
	v_lshrrev_b32_e32 v35, 16, v35
.LBB936_219:                            ;   in Loop: Header=BB936_215 Depth=1
	s_or_b64 exec, exec, s[16:17]
.LBB936_220:                            ;   in Loop: Header=BB936_215 Depth=1
	s_or_b64 exec, exec, s[14:15]
.LBB936_221:                            ;   in Loop: Header=BB936_215 Depth=1
	s_or_b64 exec, exec, s[12:13]
	v_lshrrev_b16_e32 v42, 8, v36
	v_cmp_ne_u16_e32 vcc, 0, v42
	v_mov_b32_e32 v56, 0
	v_mov_b32_e32 v37, 0
	s_and_saveexec_b64 s[12:13], vcc
	s_cbranch_execz .LBB936_227
; %bb.222:                              ;   in Loop: Header=BB936_215 Depth=1
	v_cmp_ne_u16_e32 vcc, s9, v42
	v_mov_b32_e32 v37, 0xffff8000
	s_and_saveexec_b64 s[14:15], vcc
	s_cbranch_execz .LBB936_226
; %bb.223:                              ;   in Loop: Header=BB936_215 Depth=1
	v_and_b32_e32 v44, 0x7f, v42
	v_cmp_ne_u32_e32 vcc, s21, v44
	v_mov_b32_e32 v37, 0x7f80
	s_and_saveexec_b64 s[16:17], vcc
	s_cbranch_execz .LBB936_225
; %bb.224:                              ;   in Loop: Header=BB936_215 Depth=1
	v_and_b32_e32 v37, 7, v42
	v_ffbh_u32_e32 v58, v37
	v_min_u32_e32 v60, 32, v58
	v_subrev_u32_e32 v58, 28, v60
	v_lshlrev_b64 v[58:59], v58, v[42:43]
	v_lshrrev_b32_e32 v57, 3, v44
	v_sub_u32_e32 v42, 29, v60
	v_and_b32_e32 v58, 7, v58
	v_cmp_gt_u32_e32 vcc, 8, v44
	v_cndmask_b32_e32 v42, v57, v42, vcc
	v_cndmask_b32_e32 v37, v37, v58, vcc
	v_lshlrev_b32_e32 v44, 16, v36
	v_lshlrev_b32_e32 v37, 20, v37
	v_and_b32_e32 v44, 0x80000000, v44
	v_lshl_add_u32 v42, v42, 23, v55
	v_or3_b32 v37, v44, v42, v37
	v_lshrrev_b32_e32 v37, 16, v37
.LBB936_225:                            ;   in Loop: Header=BB936_215 Depth=1
	s_or_b64 exec, exec, s[16:17]
.LBB936_226:                            ;   in Loop: Header=BB936_215 Depth=1
	s_or_b64 exec, exec, s[14:15]
.LBB936_227:                            ;   in Loop: Header=BB936_215 Depth=1
	s_or_b64 exec, exec, s[12:13]
	v_lshrrev_b32_e32 v42, 16, v36
	v_cmp_ne_u16_sdwa s[14:15], v42, v54 src0_sel:BYTE_0 src1_sel:DWORD
	s_and_saveexec_b64 s[12:13], s[14:15]
	s_cbranch_execz .LBB936_233
; %bb.228:                              ;   in Loop: Header=BB936_215 Depth=1
	v_cmp_ne_u16_sdwa s[16:17], v42, s9 src0_sel:BYTE_0 src1_sel:DWORD
	v_mov_b32_e32 v56, 0xffff8000
	s_and_saveexec_b64 s[14:15], s[16:17]
	s_cbranch_execz .LBB936_232
; %bb.229:                              ;   in Loop: Header=BB936_215 Depth=1
	v_bfe_u32 v44, v36, 16, 7
	v_cmp_ne_u32_e32 vcc, s21, v44
	v_mov_b32_e32 v56, 0x7f80
	s_and_saveexec_b64 s[16:17], vcc
	s_cbranch_execz .LBB936_231
; %bb.230:                              ;   in Loop: Header=BB936_215 Depth=1
	v_and_b32_e32 v58, 7, v42
	v_ffbh_u32_e32 v56, v58
	v_min_u32_e32 v60, 32, v56
	v_subrev_u32_e32 v56, 28, v60
	v_lshlrev_b64 v[56:57], v56, v[42:43]
	v_lshrrev_b32_e32 v59, 3, v44
	v_sub_u32_e32 v57, 29, v60
	v_and_b32_e32 v56, 7, v56
	v_cmp_gt_u32_e32 vcc, 8, v44
	v_cndmask_b32_e32 v44, v59, v57, vcc
	v_cndmask_b32_e32 v56, v58, v56, vcc
	v_lshlrev_b32_e32 v42, 24, v42
	v_lshlrev_b32_e32 v56, 20, v56
	v_and_b32_e32 v42, 0x80000000, v42
	v_lshl_add_u32 v44, v44, 23, v55
	v_or3_b32 v42, v42, v44, v56
	v_lshrrev_b32_e32 v56, 16, v42
.LBB936_231:                            ;   in Loop: Header=BB936_215 Depth=1
	s_or_b64 exec, exec, s[16:17]
.LBB936_232:                            ;   in Loop: Header=BB936_215 Depth=1
	s_or_b64 exec, exec, s[14:15]
.LBB936_233:                            ;   in Loop: Header=BB936_215 Depth=1
	s_or_b64 exec, exec, s[12:13]
	v_cmp_lt_u32_e32 vcc, s22, v36
	v_mov_b32_e32 v57, 0
	v_mov_b32_e32 v58, 0
	s_and_saveexec_b64 s[12:13], vcc
	s_cbranch_execz .LBB936_239
; %bb.234:                              ;   in Loop: Header=BB936_215 Depth=1
	v_lshrrev_b32_e32 v42, 24, v36
	v_cmp_ne_u32_e32 vcc, s9, v42
	v_mov_b32_e32 v58, 0xffff8000
	s_and_saveexec_b64 s[14:15], vcc
	s_cbranch_execz .LBB936_238
; %bb.235:                              ;   in Loop: Header=BB936_215 Depth=1
	v_bfe_u32 v36, v36, 24, 7
	v_cmp_ne_u32_e32 vcc, s21, v36
	v_mov_b32_e32 v58, 0x7f80
	s_and_saveexec_b64 s[16:17], vcc
	s_cbranch_execz .LBB936_237
; %bb.236:                              ;   in Loop: Header=BB936_215 Depth=1
	v_and_b32_e32 v44, 7, v42
	v_ffbh_u32_e32 v58, v44
	v_min_u32_e32 v61, 32, v58
	v_subrev_u32_e32 v58, 28, v61
	v_lshlrev_b64 v[58:59], v58, v[42:43]
	v_lshrrev_b32_e32 v60, 3, v36
	v_sub_u32_e32 v59, 29, v61
	v_and_b32_e32 v58, 7, v58
	v_cmp_gt_u32_e32 vcc, 8, v36
	v_cndmask_b32_e32 v36, v60, v59, vcc
	v_cndmask_b32_e32 v44, v44, v58, vcc
	v_lshlrev_b32_e32 v42, 24, v42
	v_lshlrev_b32_e32 v44, 20, v44
	v_and_b32_e32 v42, 0x80000000, v42
	v_lshl_add_u32 v36, v36, 23, v55
	v_or3_b32 v36, v42, v36, v44
	v_lshrrev_b32_e32 v58, 16, v36
.LBB936_237:                            ;   in Loop: Header=BB936_215 Depth=1
	s_or_b64 exec, exec, s[16:17]
.LBB936_238:                            ;   in Loop: Header=BB936_215 Depth=1
	s_or_b64 exec, exec, s[14:15]
.LBB936_239:                            ;   in Loop: Header=BB936_215 Depth=1
	s_or_b64 exec, exec, s[12:13]
	s_waitcnt vmcnt(2)
	v_cmp_ne_u16_sdwa s[14:15], v34, v54 src0_sel:BYTE_0 src1_sel:DWORD
	s_and_saveexec_b64 s[12:13], s[14:15]
	s_cbranch_execz .LBB936_245
; %bb.240:                              ;   in Loop: Header=BB936_215 Depth=1
	v_cmp_ne_u16_sdwa s[16:17], v34, s9 src0_sel:BYTE_0 src1_sel:DWORD
	v_mov_b32_e32 v57, 0xffff8000
	s_and_saveexec_b64 s[14:15], s[16:17]
	s_cbranch_execz .LBB936_244
; %bb.241:                              ;   in Loop: Header=BB936_215 Depth=1
	v_and_b32_e32 v36, 0x7f, v34
	v_cmp_ne_u32_e32 vcc, s21, v36
	v_mov_b32_e32 v57, 0x7f80
	s_and_saveexec_b64 s[16:17], vcc
	s_cbranch_execz .LBB936_243
; %bb.242:                              ;   in Loop: Header=BB936_215 Depth=1
	v_and_b32_e32 v42, 7, v34
	v_ffbh_u32_e32 v57, v42
	v_min_u32_e32 v57, 32, v57
	v_subrev_u32_e32 v59, 28, v57
	v_lshlrev_b64 v[60:61], v59, v[34:35]
	v_lshrrev_b32_e32 v44, 3, v36
	v_sub_u32_e32 v57, 29, v57
	v_and_b32_e32 v59, 7, v60
	v_cmp_gt_u32_e32 vcc, 8, v36
	v_cndmask_b32_e32 v36, v44, v57, vcc
	v_cndmask_b32_e32 v42, v42, v59, vcc
	v_lshlrev_b32_e32 v44, 24, v34
	v_lshlrev_b32_e32 v42, 20, v42
	v_and_b32_e32 v44, 0x80000000, v44
	v_lshl_add_u32 v36, v36, 23, v55
	v_or3_b32 v36, v44, v36, v42
	v_lshrrev_b32_e32 v57, 16, v36
.LBB936_243:                            ;   in Loop: Header=BB936_215 Depth=1
	s_or_b64 exec, exec, s[16:17]
.LBB936_244:                            ;   in Loop: Header=BB936_215 Depth=1
	s_or_b64 exec, exec, s[14:15]
.LBB936_245:                            ;   in Loop: Header=BB936_215 Depth=1
	s_or_b64 exec, exec, s[12:13]
	v_lshrrev_b16_e32 v36, 8, v34
	v_cmp_ne_u16_e32 vcc, 0, v36
	v_mov_b32_e32 v59, 0
	v_mov_b32_e32 v42, 0
	s_and_saveexec_b64 s[12:13], vcc
	s_cbranch_execz .LBB936_251
; %bb.246:                              ;   in Loop: Header=BB936_215 Depth=1
	v_cmp_ne_u16_e32 vcc, s9, v36
	v_mov_b32_e32 v42, 0xffff8000
	s_and_saveexec_b64 s[14:15], vcc
	s_cbranch_execz .LBB936_250
; %bb.247:                              ;   in Loop: Header=BB936_215 Depth=1
	v_and_b32_e32 v44, 0x7f, v36
	v_cmp_ne_u32_e32 vcc, s21, v44
	v_mov_b32_e32 v42, 0x7f80
	s_and_saveexec_b64 s[16:17], vcc
	s_cbranch_execz .LBB936_249
; %bb.248:                              ;   in Loop: Header=BB936_215 Depth=1
	v_and_b32_e32 v42, 7, v36
	v_ffbh_u32_e32 v60, v42
	v_min_u32_e32 v63, 32, v60
	v_subrev_u32_e32 v60, 28, v63
	v_lshlrev_b64 v[60:61], v60, v[36:37]
	v_lshrrev_b32_e32 v62, 3, v44
	v_sub_u32_e32 v36, 29, v63
	v_and_b32_e32 v60, 7, v60
	v_cmp_gt_u32_e32 vcc, 8, v44
	v_cndmask_b32_e32 v36, v62, v36, vcc
	v_cndmask_b32_e32 v42, v42, v60, vcc
	v_lshlrev_b32_e32 v44, 16, v34
	v_lshlrev_b32_e32 v42, 20, v42
	v_and_b32_e32 v44, 0x80000000, v44
	v_lshl_add_u32 v36, v36, 23, v55
	v_or3_b32 v36, v44, v36, v42
	v_lshrrev_b32_e32 v42, 16, v36
.LBB936_249:                            ;   in Loop: Header=BB936_215 Depth=1
	s_or_b64 exec, exec, s[16:17]
.LBB936_250:                            ;   in Loop: Header=BB936_215 Depth=1
	s_or_b64 exec, exec, s[14:15]
.LBB936_251:                            ;   in Loop: Header=BB936_215 Depth=1
	s_or_b64 exec, exec, s[12:13]
	v_lshrrev_b32_e32 v36, 16, v34
	v_cmp_ne_u16_sdwa s[14:15], v36, v54 src0_sel:BYTE_0 src1_sel:DWORD
	s_and_saveexec_b64 s[12:13], s[14:15]
	s_cbranch_execz .LBB936_257
; %bb.252:                              ;   in Loop: Header=BB936_215 Depth=1
	v_cmp_ne_u16_sdwa s[16:17], v36, s9 src0_sel:BYTE_0 src1_sel:DWORD
	v_mov_b32_e32 v59, 0xffff8000
	s_and_saveexec_b64 s[14:15], s[16:17]
	s_cbranch_execz .LBB936_256
; %bb.253:                              ;   in Loop: Header=BB936_215 Depth=1
	v_bfe_u32 v44, v34, 16, 7
	v_cmp_ne_u32_e32 vcc, s21, v44
	v_mov_b32_e32 v59, 0x7f80
	s_and_saveexec_b64 s[16:17], vcc
	s_cbranch_execz .LBB936_255
; %bb.254:                              ;   in Loop: Header=BB936_215 Depth=1
	v_and_b32_e32 v59, 7, v36
	v_ffbh_u32_e32 v60, v59
	v_min_u32_e32 v63, 32, v60
	v_subrev_u32_e32 v60, 28, v63
	v_lshlrev_b64 v[60:61], v60, v[36:37]
	v_lshrrev_b32_e32 v62, 3, v44
	v_sub_u32_e32 v61, 29, v63
	v_and_b32_e32 v60, 7, v60
	v_cmp_gt_u32_e32 vcc, 8, v44
	v_cndmask_b32_e32 v44, v62, v61, vcc
	v_cndmask_b32_e32 v59, v59, v60, vcc
	v_lshlrev_b32_e32 v36, 24, v36
	v_lshlrev_b32_e32 v59, 20, v59
	v_and_b32_e32 v36, 0x80000000, v36
	v_lshl_add_u32 v44, v44, 23, v55
	v_or3_b32 v36, v36, v44, v59
	v_lshrrev_b32_e32 v59, 16, v36
.LBB936_255:                            ;   in Loop: Header=BB936_215 Depth=1
	s_or_b64 exec, exec, s[16:17]
.LBB936_256:                            ;   in Loop: Header=BB936_215 Depth=1
	s_or_b64 exec, exec, s[14:15]
.LBB936_257:                            ;   in Loop: Header=BB936_215 Depth=1
	s_or_b64 exec, exec, s[12:13]
	v_cmp_lt_u32_e32 vcc, s22, v34
	v_mov_b32_e32 v44, 0
	v_mov_b32_e32 v60, 0
	s_and_saveexec_b64 s[12:13], vcc
	s_cbranch_execz .LBB936_263
; %bb.258:                              ;   in Loop: Header=BB936_215 Depth=1
	v_lshrrev_b32_e32 v36, 24, v34
	v_cmp_ne_u32_e32 vcc, s9, v36
	v_mov_b32_e32 v60, 0xffff8000
	s_and_saveexec_b64 s[14:15], vcc
	s_cbranch_execz .LBB936_262
; %bb.259:                              ;   in Loop: Header=BB936_215 Depth=1
	v_bfe_u32 v34, v34, 24, 7
	v_cmp_ne_u32_e32 vcc, s21, v34
	v_mov_b32_e32 v60, 0x7f80
	s_and_saveexec_b64 s[16:17], vcc
	s_cbranch_execz .LBB936_261
; %bb.260:                              ;   in Loop: Header=BB936_215 Depth=1
	v_and_b32_e32 v62, 7, v36
	v_ffbh_u32_e32 v60, v62
	v_min_u32_e32 v64, 32, v60
	v_subrev_u32_e32 v60, 28, v64
	v_lshlrev_b64 v[60:61], v60, v[36:37]
	v_lshrrev_b32_e32 v63, 3, v34
	v_sub_u32_e32 v61, 29, v64
	v_and_b32_e32 v60, 7, v60
	v_cmp_gt_u32_e32 vcc, 8, v34
	v_cndmask_b32_e32 v34, v63, v61, vcc
	v_cndmask_b32_e32 v60, v62, v60, vcc
	v_lshlrev_b32_e32 v36, 24, v36
	v_lshlrev_b32_e32 v60, 20, v60
	v_and_b32_e32 v36, 0x80000000, v36
	v_lshl_add_u32 v34, v34, 23, v55
	v_or3_b32 v34, v36, v34, v60
	v_lshrrev_b32_e32 v60, 16, v34
.LBB936_261:                            ;   in Loop: Header=BB936_215 Depth=1
	s_or_b64 exec, exec, s[16:17]
.LBB936_262:                            ;   in Loop: Header=BB936_215 Depth=1
	s_or_b64 exec, exec, s[14:15]
.LBB936_263:                            ;   in Loop: Header=BB936_215 Depth=1
	s_or_b64 exec, exec, s[12:13]
	v_perm_b32 v63, v58, v56, s23
	v_perm_b32 v62, v37, v35, s23
	;; [unrolled: 1-line block ×4, first 2 shown]
	s_waitcnt vmcnt(1)
	v_cmp_ne_u16_sdwa s[14:15], v40, v54 src0_sel:BYTE_0 src1_sel:DWORD
	v_mfma_f32_16x16x16bf16_1k v[34:37], v[62:63], v[2:3], 0
	v_mfma_f32_16x16x16bf16_1k v[34:37], v[58:59], v[4:5], v[34:37]
	s_and_saveexec_b64 s[12:13], s[14:15]
	s_cbranch_execz .LBB936_269
; %bb.264:                              ;   in Loop: Header=BB936_215 Depth=1
	v_cmp_ne_u16_sdwa s[16:17], v40, s9 src0_sel:BYTE_0 src1_sel:DWORD
	v_mov_b32_e32 v44, 0xffff8000
	s_and_saveexec_b64 s[14:15], s[16:17]
	s_cbranch_execz .LBB936_268
; %bb.265:                              ;   in Loop: Header=BB936_215 Depth=1
	v_and_b32_e32 v42, 0x7f, v40
	v_cmp_ne_u32_e32 vcc, s21, v42
	v_mov_b32_e32 v44, 0x7f80
	s_and_saveexec_b64 s[16:17], vcc
	s_cbranch_execz .LBB936_267
; %bb.266:                              ;   in Loop: Header=BB936_215 Depth=1
	v_and_b32_e32 v44, 7, v40
	v_ffbh_u32_e32 v56, v44
	v_min_u32_e32 v59, 32, v56
	v_subrev_u32_e32 v56, 28, v59
	v_lshlrev_b64 v[56:57], v56, v[40:41]
	v_lshrrev_b32_e32 v58, 3, v42
	v_sub_u32_e32 v57, 29, v59
	v_and_b32_e32 v56, 7, v56
	v_cmp_gt_u32_e32 vcc, 8, v42
	v_cndmask_b32_e32 v42, v58, v57, vcc
	v_cndmask_b32_e32 v44, v44, v56, vcc
	v_lshlrev_b32_e32 v56, 24, v40
	v_lshlrev_b32_e32 v44, 20, v44
	v_and_b32_e32 v56, 0x80000000, v56
	v_lshl_add_u32 v42, v42, 23, v55
	v_or3_b32 v42, v56, v42, v44
	v_lshrrev_b32_e32 v44, 16, v42
.LBB936_267:                            ;   in Loop: Header=BB936_215 Depth=1
	s_or_b64 exec, exec, s[16:17]
.LBB936_268:                            ;   in Loop: Header=BB936_215 Depth=1
	s_or_b64 exec, exec, s[14:15]
.LBB936_269:                            ;   in Loop: Header=BB936_215 Depth=1
	s_or_b64 exec, exec, s[12:13]
	v_lshrrev_b16_e32 v42, 8, v40
	v_cmp_ne_u16_e32 vcc, 0, v42
	v_mov_b32_e32 v58, 0
	v_mov_b32_e32 v57, 0
	s_and_saveexec_b64 s[12:13], vcc
	s_cbranch_execz .LBB936_275
; %bb.270:                              ;   in Loop: Header=BB936_215 Depth=1
	v_cmp_ne_u16_e32 vcc, s9, v42
	v_mov_b32_e32 v57, 0xffff8000
	s_and_saveexec_b64 s[14:15], vcc
	s_cbranch_execz .LBB936_274
; %bb.271:                              ;   in Loop: Header=BB936_215 Depth=1
	v_and_b32_e32 v56, 0x7f, v42
	v_cmp_ne_u32_e32 vcc, s21, v56
	v_mov_b32_e32 v57, 0x7f80
	s_and_saveexec_b64 s[16:17], vcc
	s_cbranch_execz .LBB936_273
; %bb.272:                              ;   in Loop: Header=BB936_215 Depth=1
	v_and_b32_e32 v57, 7, v42
	v_ffbh_u32_e32 v60, v57
	v_min_u32_e32 v62, 32, v60
	v_subrev_u32_e32 v60, 28, v62
	v_lshlrev_b64 v[60:61], v60, v[42:43]
	v_lshrrev_b32_e32 v59, 3, v56
	v_sub_u32_e32 v42, 29, v62
	v_and_b32_e32 v60, 7, v60
	v_cmp_gt_u32_e32 vcc, 8, v56
	v_cndmask_b32_e32 v42, v59, v42, vcc
	v_cndmask_b32_e32 v56, v57, v60, vcc
	v_lshlrev_b32_e32 v57, 16, v40
	v_lshlrev_b32_e32 v56, 20, v56
	v_and_b32_e32 v57, 0x80000000, v57
	v_lshl_add_u32 v42, v42, 23, v55
	v_or3_b32 v42, v57, v42, v56
	v_lshrrev_b32_e32 v57, 16, v42
.LBB936_273:                            ;   in Loop: Header=BB936_215 Depth=1
	s_or_b64 exec, exec, s[16:17]
.LBB936_274:                            ;   in Loop: Header=BB936_215 Depth=1
	s_or_b64 exec, exec, s[14:15]
.LBB936_275:                            ;   in Loop: Header=BB936_215 Depth=1
	s_or_b64 exec, exec, s[12:13]
	v_lshrrev_b32_e32 v42, 16, v40
	v_cmp_ne_u16_sdwa s[14:15], v42, v54 src0_sel:BYTE_0 src1_sel:DWORD
	s_and_saveexec_b64 s[12:13], s[14:15]
	s_cbranch_execz .LBB936_281
; %bb.276:                              ;   in Loop: Header=BB936_215 Depth=1
	v_cmp_ne_u16_sdwa s[16:17], v42, s9 src0_sel:BYTE_0 src1_sel:DWORD
	v_mov_b32_e32 v58, 0xffff8000
	s_and_saveexec_b64 s[14:15], s[16:17]
	s_cbranch_execz .LBB936_280
; %bb.277:                              ;   in Loop: Header=BB936_215 Depth=1
	v_bfe_u32 v56, v40, 16, 7
	v_cmp_ne_u32_e32 vcc, s21, v56
	v_mov_b32_e32 v58, 0x7f80
	s_and_saveexec_b64 s[16:17], vcc
	s_cbranch_execz .LBB936_279
; %bb.278:                              ;   in Loop: Header=BB936_215 Depth=1
	v_and_b32_e32 v60, 7, v42
	v_ffbh_u32_e32 v58, v60
	v_min_u32_e32 v62, 32, v58
	v_subrev_u32_e32 v58, 28, v62
	v_lshlrev_b64 v[58:59], v58, v[42:43]
	v_lshrrev_b32_e32 v61, 3, v56
	v_sub_u32_e32 v59, 29, v62
	v_and_b32_e32 v58, 7, v58
	v_cmp_gt_u32_e32 vcc, 8, v56
	v_cndmask_b32_e32 v56, v61, v59, vcc
	v_cndmask_b32_e32 v58, v60, v58, vcc
	v_lshlrev_b32_e32 v42, 24, v42
	v_lshlrev_b32_e32 v58, 20, v58
	v_and_b32_e32 v42, 0x80000000, v42
	v_lshl_add_u32 v56, v56, 23, v55
	v_or3_b32 v42, v42, v56, v58
	v_lshrrev_b32_e32 v58, 16, v42
.LBB936_279:                            ;   in Loop: Header=BB936_215 Depth=1
	s_or_b64 exec, exec, s[16:17]
.LBB936_280:                            ;   in Loop: Header=BB936_215 Depth=1
	s_or_b64 exec, exec, s[14:15]
.LBB936_281:                            ;   in Loop: Header=BB936_215 Depth=1
	s_or_b64 exec, exec, s[12:13]
	v_cmp_lt_u32_e32 vcc, s22, v40
	v_mov_b32_e32 v59, 0
	v_mov_b32_e32 v60, 0
	s_and_saveexec_b64 s[12:13], vcc
	s_cbranch_execz .LBB936_287
; %bb.282:                              ;   in Loop: Header=BB936_215 Depth=1
	v_lshrrev_b32_e32 v42, 24, v40
	v_cmp_ne_u32_e32 vcc, s9, v42
	v_mov_b32_e32 v60, 0xffff8000
	s_and_saveexec_b64 s[14:15], vcc
	s_cbranch_execz .LBB936_286
; %bb.283:                              ;   in Loop: Header=BB936_215 Depth=1
	v_bfe_u32 v40, v40, 24, 7
	v_cmp_ne_u32_e32 vcc, s21, v40
	v_mov_b32_e32 v60, 0x7f80
	s_and_saveexec_b64 s[16:17], vcc
	s_cbranch_execz .LBB936_285
; %bb.284:                              ;   in Loop: Header=BB936_215 Depth=1
	v_and_b32_e32 v56, 7, v42
	v_ffbh_u32_e32 v60, v56
	v_min_u32_e32 v63, 32, v60
	v_subrev_u32_e32 v60, 28, v63
	v_lshlrev_b64 v[60:61], v60, v[42:43]
	v_lshrrev_b32_e32 v62, 3, v40
	v_sub_u32_e32 v61, 29, v63
	v_and_b32_e32 v60, 7, v60
	v_cmp_gt_u32_e32 vcc, 8, v40
	v_cndmask_b32_e32 v40, v62, v61, vcc
	v_cndmask_b32_e32 v56, v56, v60, vcc
	v_lshlrev_b32_e32 v42, 24, v42
	v_lshlrev_b32_e32 v56, 20, v56
	v_and_b32_e32 v42, 0x80000000, v42
	v_lshl_add_u32 v40, v40, 23, v55
	v_or3_b32 v40, v42, v40, v56
	v_lshrrev_b32_e32 v60, 16, v40
.LBB936_285:                            ;   in Loop: Header=BB936_215 Depth=1
	s_or_b64 exec, exec, s[16:17]
.LBB936_286:                            ;   in Loop: Header=BB936_215 Depth=1
	s_or_b64 exec, exec, s[14:15]
.LBB936_287:                            ;   in Loop: Header=BB936_215 Depth=1
	s_or_b64 exec, exec, s[12:13]
	s_waitcnt vmcnt(0)
	v_cmp_ne_u16_sdwa s[14:15], v38, v54 src0_sel:BYTE_0 src1_sel:DWORD
	s_and_saveexec_b64 s[12:13], s[14:15]
	s_cbranch_execz .LBB936_293
; %bb.288:                              ;   in Loop: Header=BB936_215 Depth=1
	v_cmp_ne_u16_sdwa s[16:17], v38, s9 src0_sel:BYTE_0 src1_sel:DWORD
	v_mov_b32_e32 v59, 0xffff8000
	s_and_saveexec_b64 s[14:15], s[16:17]
	s_cbranch_execz .LBB936_292
; %bb.289:                              ;   in Loop: Header=BB936_215 Depth=1
	v_and_b32_e32 v40, 0x7f, v38
	v_cmp_ne_u32_e32 vcc, s21, v40
	v_mov_b32_e32 v59, 0x7f80
	s_and_saveexec_b64 s[16:17], vcc
	s_cbranch_execz .LBB936_291
; %bb.290:                              ;   in Loop: Header=BB936_215 Depth=1
	v_and_b32_e32 v42, 7, v38
	v_ffbh_u32_e32 v59, v42
	v_min_u32_e32 v59, 32, v59
	v_subrev_u32_e32 v61, 28, v59
	v_lshlrev_b64 v[62:63], v61, v[38:39]
	v_lshrrev_b32_e32 v56, 3, v40
	v_sub_u32_e32 v59, 29, v59
	v_and_b32_e32 v61, 7, v62
	v_cmp_gt_u32_e32 vcc, 8, v40
	v_cndmask_b32_e32 v40, v56, v59, vcc
	v_cndmask_b32_e32 v42, v42, v61, vcc
	v_lshlrev_b32_e32 v56, 24, v38
	v_lshlrev_b32_e32 v42, 20, v42
	v_and_b32_e32 v56, 0x80000000, v56
	v_lshl_add_u32 v40, v40, 23, v55
	v_or3_b32 v40, v56, v40, v42
	v_lshrrev_b32_e32 v59, 16, v40
.LBB936_291:                            ;   in Loop: Header=BB936_215 Depth=1
	s_or_b64 exec, exec, s[16:17]
.LBB936_292:                            ;   in Loop: Header=BB936_215 Depth=1
	s_or_b64 exec, exec, s[14:15]
.LBB936_293:                            ;   in Loop: Header=BB936_215 Depth=1
	s_or_b64 exec, exec, s[12:13]
	v_lshrrev_b16_e32 v40, 8, v38
	v_cmp_ne_u16_e32 vcc, 0, v40
	v_mov_b32_e32 v62, 0
	v_mov_b32_e32 v61, 0
	s_and_saveexec_b64 s[12:13], vcc
	s_cbranch_execz .LBB936_299
; %bb.294:                              ;   in Loop: Header=BB936_215 Depth=1
	v_cmp_ne_u16_e32 vcc, s9, v40
	v_mov_b32_e32 v61, 0xffff8000
	s_and_saveexec_b64 s[14:15], vcc
	s_cbranch_execz .LBB936_298
; %bb.295:                              ;   in Loop: Header=BB936_215 Depth=1
	v_and_b32_e32 v42, 0x7f, v40
	v_cmp_ne_u32_e32 vcc, s21, v42
	v_mov_b32_e32 v61, 0x7f80
	s_and_saveexec_b64 s[16:17], vcc
	s_cbranch_execz .LBB936_297
; %bb.296:                              ;   in Loop: Header=BB936_215 Depth=1
	v_and_b32_e32 v56, 7, v40
	v_ffbh_u32_e32 v63, v56
	v_min_u32_e32 v63, 32, v63
	v_subrev_u32_e32 v64, 28, v63
	v_lshlrev_b64 v[64:65], v64, v[40:41]
	v_lshrrev_b32_e32 v61, 3, v42
	v_sub_u32_e32 v40, 29, v63
	v_and_b32_e32 v63, 7, v64
	v_cmp_gt_u32_e32 vcc, 8, v42
	v_cndmask_b32_e32 v40, v61, v40, vcc
	v_cndmask_b32_e32 v42, v56, v63, vcc
	v_lshlrev_b32_e32 v56, 16, v38
	v_lshlrev_b32_e32 v42, 20, v42
	v_and_b32_e32 v56, 0x80000000, v56
	v_lshl_add_u32 v40, v40, 23, v55
	v_or3_b32 v40, v56, v40, v42
	v_lshrrev_b32_e32 v61, 16, v40
.LBB936_297:                            ;   in Loop: Header=BB936_215 Depth=1
	s_or_b64 exec, exec, s[16:17]
.LBB936_298:                            ;   in Loop: Header=BB936_215 Depth=1
	s_or_b64 exec, exec, s[14:15]
.LBB936_299:                            ;   in Loop: Header=BB936_215 Depth=1
	s_or_b64 exec, exec, s[12:13]
	v_lshrrev_b32_e32 v40, 16, v38
	v_cmp_ne_u16_sdwa s[14:15], v40, v54 src0_sel:BYTE_0 src1_sel:DWORD
	s_and_saveexec_b64 s[12:13], s[14:15]
	s_cbranch_execz .LBB936_305
; %bb.300:                              ;   in Loop: Header=BB936_215 Depth=1
	v_cmp_ne_u16_sdwa s[16:17], v40, s9 src0_sel:BYTE_0 src1_sel:DWORD
	v_mov_b32_e32 v62, 0xffff8000
	s_and_saveexec_b64 s[14:15], s[16:17]
	s_cbranch_execz .LBB936_304
; %bb.301:                              ;   in Loop: Header=BB936_215 Depth=1
	v_bfe_u32 v42, v38, 16, 7
	v_cmp_ne_u32_e32 vcc, s21, v42
	v_mov_b32_e32 v62, 0x7f80
	s_and_saveexec_b64 s[16:17], vcc
	s_cbranch_execz .LBB936_303
; %bb.302:                              ;   in Loop: Header=BB936_215 Depth=1
	v_and_b32_e32 v56, 7, v40
	v_ffbh_u32_e32 v62, v56
	v_min_u32_e32 v65, 32, v62
	v_subrev_u32_e32 v62, 28, v65
	v_lshlrev_b64 v[62:63], v62, v[40:41]
	v_lshrrev_b32_e32 v64, 3, v42
	v_sub_u32_e32 v63, 29, v65
	v_and_b32_e32 v62, 7, v62
	v_cmp_gt_u32_e32 vcc, 8, v42
	v_cndmask_b32_e32 v42, v64, v63, vcc
	v_cndmask_b32_e32 v56, v56, v62, vcc
	v_lshlrev_b32_e32 v40, 24, v40
	v_lshlrev_b32_e32 v56, 20, v56
	v_and_b32_e32 v40, 0x80000000, v40
	v_lshl_add_u32 v42, v42, 23, v55
	v_or3_b32 v40, v40, v42, v56
	v_lshrrev_b32_e32 v62, 16, v40
.LBB936_303:                            ;   in Loop: Header=BB936_215 Depth=1
	s_or_b64 exec, exec, s[16:17]
.LBB936_304:                            ;   in Loop: Header=BB936_215 Depth=1
	s_or_b64 exec, exec, s[14:15]
.LBB936_305:                            ;   in Loop: Header=BB936_215 Depth=1
	s_or_b64 exec, exec, s[12:13]
	v_cmp_lt_u32_e32 vcc, s22, v38
	v_mov_b32_e32 v56, 0
	v_mov_b32_e32 v63, 0
	s_and_saveexec_b64 s[12:13], vcc
	s_cbranch_execz .LBB936_311
; %bb.306:                              ;   in Loop: Header=BB936_215 Depth=1
	v_lshrrev_b32_e32 v40, 24, v38
	v_cmp_ne_u32_e32 vcc, s9, v40
	v_mov_b32_e32 v63, 0xffff8000
	s_and_saveexec_b64 s[14:15], vcc
	s_cbranch_execz .LBB936_310
; %bb.307:                              ;   in Loop: Header=BB936_215 Depth=1
	v_bfe_u32 v38, v38, 24, 7
	v_cmp_ne_u32_e32 vcc, s21, v38
	v_mov_b32_e32 v63, 0x7f80
	s_and_saveexec_b64 s[16:17], vcc
	s_cbranch_execz .LBB936_309
; %bb.308:                              ;   in Loop: Header=BB936_215 Depth=1
	v_and_b32_e32 v42, 7, v40
	v_ffbh_u32_e32 v64, v42
	v_min_u32_e32 v66, 32, v64
	v_subrev_u32_e32 v64, 28, v66
	v_lshlrev_b64 v[64:65], v64, v[40:41]
	v_lshrrev_b32_e32 v63, 3, v38
	v_sub_u32_e32 v65, 29, v66
	v_and_b32_e32 v64, 7, v64
	v_cmp_gt_u32_e32 vcc, 8, v38
	v_cndmask_b32_e32 v38, v63, v65, vcc
	v_cndmask_b32_e32 v42, v42, v64, vcc
	v_lshlrev_b32_e32 v40, 24, v40
	v_lshlrev_b32_e32 v42, 20, v42
	v_and_b32_e32 v40, 0x80000000, v40
	v_lshl_add_u32 v38, v38, 23, v55
	v_or3_b32 v38, v40, v38, v42
	v_lshrrev_b32_e32 v63, 16, v38
.LBB936_309:                            ;   in Loop: Header=BB936_215 Depth=1
	s_or_b64 exec, exec, s[16:17]
.LBB936_310:                            ;   in Loop: Header=BB936_215 Depth=1
	s_or_b64 exec, exec, s[14:15]
.LBB936_311:                            ;   in Loop: Header=BB936_215 Depth=1
	s_or_b64 exec, exec, s[12:13]
	v_perm_b32 v64, v57, v44, s23
	buffer_load_dword v44, v46, s[0:3], 0 offen
	buffer_load_dword v42, v46, s[0:3], 0 offen offset:4
	buffer_load_dword v40, v46, s[0:3], 0 offen offset:8
	;; [unrolled: 1-line block ×3, first 2 shown]
	v_perm_b32 v65, v60, v58, s23
	v_perm_b32 v63, v63, v62, s23
	;; [unrolled: 1-line block ×3, first 2 shown]
	v_mfma_f32_16x16x16bf16_1k v[34:37], v[64:65], v[6:7], v[34:37]
	s_waitcnt vmcnt(3)
	v_cmp_ne_u16_sdwa s[14:15], v44, v54 src0_sel:BYTE_0 src1_sel:DWORD
	v_mfma_f32_16x16x16bf16_1k v[34:37], v[62:63], v[8:9], v[34:37]
	s_and_saveexec_b64 s[12:13], s[14:15]
	s_cbranch_execz .LBB936_317
; %bb.312:                              ;   in Loop: Header=BB936_215 Depth=1
	v_cmp_ne_u16_sdwa s[16:17], v44, s9 src0_sel:BYTE_0 src1_sel:DWORD
	v_mov_b32_e32 v56, 0xffff8000
	s_and_saveexec_b64 s[14:15], s[16:17]
	s_cbranch_execz .LBB936_316
; %bb.313:                              ;   in Loop: Header=BB936_215 Depth=1
	v_and_b32_e32 v46, 0x7f, v44
	v_cmp_ne_u32_e32 vcc, s21, v46
	v_mov_b32_e32 v56, 0x7f80
	s_and_saveexec_b64 s[16:17], vcc
	s_cbranch_execz .LBB936_315
; %bb.314:                              ;   in Loop: Header=BB936_215 Depth=1
	v_and_b32_e32 v58, 7, v44
	v_ffbh_u32_e32 v56, v58
	v_min_u32_e32 v60, 32, v56
	v_subrev_u32_e32 v56, 28, v60
	v_lshlrev_b64 v[56:57], v56, v[44:45]
	v_lshrrev_b32_e32 v59, 3, v46
	v_sub_u32_e32 v57, 29, v60
	v_and_b32_e32 v56, 7, v56
	v_cmp_gt_u32_e32 vcc, 8, v46
	v_cndmask_b32_e32 v46, v59, v57, vcc
	v_cndmask_b32_e32 v56, v58, v56, vcc
	v_lshlrev_b32_e32 v57, 24, v44
	v_lshlrev_b32_e32 v56, 20, v56
	v_and_b32_e32 v57, 0x80000000, v57
	v_lshl_add_u32 v46, v46, 23, v55
	v_or3_b32 v46, v57, v46, v56
	v_lshrrev_b32_e32 v56, 16, v46
.LBB936_315:                            ;   in Loop: Header=BB936_215 Depth=1
	s_or_b64 exec, exec, s[16:17]
.LBB936_316:                            ;   in Loop: Header=BB936_215 Depth=1
	s_or_b64 exec, exec, s[14:15]
.LBB936_317:                            ;   in Loop: Header=BB936_215 Depth=1
	s_or_b64 exec, exec, s[12:13]
	v_lshrrev_b16_e32 v46, 8, v44
	v_cmp_ne_u16_e32 vcc, 0, v46
	v_mov_b32_e32 v58, 0
	v_mov_b32_e32 v57, 0
	s_and_saveexec_b64 s[12:13], vcc
	s_cbranch_execz .LBB936_323
; %bb.318:                              ;   in Loop: Header=BB936_215 Depth=1
	v_cmp_ne_u16_e32 vcc, s9, v46
	v_mov_b32_e32 v57, 0xffff8000
	s_and_saveexec_b64 s[14:15], vcc
	s_cbranch_execz .LBB936_322
; %bb.319:                              ;   in Loop: Header=BB936_215 Depth=1
	v_and_b32_e32 v59, 0x7f, v46
	v_cmp_ne_u32_e32 vcc, s21, v59
	v_mov_b32_e32 v57, 0x7f80
	s_and_saveexec_b64 s[16:17], vcc
	s_cbranch_execz .LBB936_321
; %bb.320:                              ;   in Loop: Header=BB936_215 Depth=1
	v_and_b32_e32 v57, 7, v46
	v_ffbh_u32_e32 v60, v57
	v_min_u32_e32 v63, 32, v60
	v_subrev_u32_e32 v60, 28, v63
	v_lshlrev_b64 v[60:61], v60, v[46:47]
	v_lshrrev_b32_e32 v62, 3, v59
	v_sub_u32_e32 v46, 29, v63
	v_and_b32_e32 v60, 7, v60
	v_cmp_gt_u32_e32 vcc, 8, v59
	v_cndmask_b32_e32 v46, v62, v46, vcc
	v_cndmask_b32_e32 v57, v57, v60, vcc
	v_lshlrev_b32_e32 v59, 16, v44
	v_lshlrev_b32_e32 v57, 20, v57
	v_and_b32_e32 v59, 0x80000000, v59
	v_lshl_add_u32 v46, v46, 23, v55
	v_or3_b32 v46, v59, v46, v57
	v_lshrrev_b32_e32 v57, 16, v46
.LBB936_321:                            ;   in Loop: Header=BB936_215 Depth=1
	s_or_b64 exec, exec, s[16:17]
.LBB936_322:                            ;   in Loop: Header=BB936_215 Depth=1
	s_or_b64 exec, exec, s[14:15]
.LBB936_323:                            ;   in Loop: Header=BB936_215 Depth=1
	s_or_b64 exec, exec, s[12:13]
	v_lshrrev_b32_e32 v46, 16, v44
	v_cmp_ne_u16_sdwa s[14:15], v46, v54 src0_sel:BYTE_0 src1_sel:DWORD
	s_and_saveexec_b64 s[12:13], s[14:15]
	s_cbranch_execz .LBB936_329
; %bb.324:                              ;   in Loop: Header=BB936_215 Depth=1
	v_cmp_ne_u16_sdwa s[16:17], v46, s9 src0_sel:BYTE_0 src1_sel:DWORD
	v_mov_b32_e32 v58, 0xffff8000
	s_and_saveexec_b64 s[14:15], s[16:17]
	s_cbranch_execz .LBB936_328
; %bb.325:                              ;   in Loop: Header=BB936_215 Depth=1
	v_bfe_u32 v59, v44, 16, 7
	v_cmp_ne_u32_e32 vcc, s21, v59
	v_mov_b32_e32 v58, 0x7f80
	s_and_saveexec_b64 s[16:17], vcc
	s_cbranch_execz .LBB936_327
; %bb.326:                              ;   in Loop: Header=BB936_215 Depth=1
	v_and_b32_e32 v58, 7, v46
	v_ffbh_u32_e32 v60, v58
	v_min_u32_e32 v63, 32, v60
	v_subrev_u32_e32 v60, 28, v63
	v_lshlrev_b64 v[60:61], v60, v[46:47]
	v_lshrrev_b32_e32 v62, 3, v59
	v_sub_u32_e32 v61, 29, v63
	v_and_b32_e32 v60, 7, v60
	v_cmp_gt_u32_e32 vcc, 8, v59
	v_cndmask_b32_e32 v59, v62, v61, vcc
	v_cndmask_b32_e32 v58, v58, v60, vcc
	v_lshlrev_b32_e32 v46, 24, v46
	v_lshlrev_b32_e32 v58, 20, v58
	v_and_b32_e32 v46, 0x80000000, v46
	v_lshl_add_u32 v59, v59, 23, v55
	v_or3_b32 v46, v46, v59, v58
	v_lshrrev_b32_e32 v58, 16, v46
.LBB936_327:                            ;   in Loop: Header=BB936_215 Depth=1
	s_or_b64 exec, exec, s[16:17]
.LBB936_328:                            ;   in Loop: Header=BB936_215 Depth=1
	s_or_b64 exec, exec, s[14:15]
.LBB936_329:                            ;   in Loop: Header=BB936_215 Depth=1
	s_or_b64 exec, exec, s[12:13]
	v_cmp_lt_u32_e32 vcc, s22, v44
	v_mov_b32_e32 v59, 0
	v_mov_b32_e32 v60, 0
	s_and_saveexec_b64 s[12:13], vcc
	s_cbranch_execz .LBB936_335
; %bb.330:                              ;   in Loop: Header=BB936_215 Depth=1
	v_lshrrev_b32_e32 v46, 24, v44
	v_cmp_ne_u32_e32 vcc, s9, v46
	v_mov_b32_e32 v60, 0xffff8000
	s_and_saveexec_b64 s[14:15], vcc
	s_cbranch_execz .LBB936_334
; %bb.331:                              ;   in Loop: Header=BB936_215 Depth=1
	v_bfe_u32 v44, v44, 24, 7
	v_cmp_ne_u32_e32 vcc, s21, v44
	v_mov_b32_e32 v60, 0x7f80
	s_and_saveexec_b64 s[16:17], vcc
	s_cbranch_execz .LBB936_333
; %bb.332:                              ;   in Loop: Header=BB936_215 Depth=1
	v_and_b32_e32 v62, 7, v46
	v_ffbh_u32_e32 v60, v62
	v_min_u32_e32 v64, 32, v60
	v_subrev_u32_e32 v60, 28, v64
	v_lshlrev_b64 v[60:61], v60, v[46:47]
	v_lshrrev_b32_e32 v63, 3, v44
	v_sub_u32_e32 v61, 29, v64
	v_and_b32_e32 v60, 7, v60
	v_cmp_gt_u32_e32 vcc, 8, v44
	v_cndmask_b32_e32 v44, v63, v61, vcc
	v_cndmask_b32_e32 v60, v62, v60, vcc
	v_lshlrev_b32_e32 v46, 24, v46
	v_lshlrev_b32_e32 v60, 20, v60
	v_and_b32_e32 v46, 0x80000000, v46
	v_lshl_add_u32 v44, v44, 23, v55
	v_or3_b32 v44, v46, v44, v60
	v_lshrrev_b32_e32 v60, 16, v44
.LBB936_333:                            ;   in Loop: Header=BB936_215 Depth=1
	s_or_b64 exec, exec, s[16:17]
.LBB936_334:                            ;   in Loop: Header=BB936_215 Depth=1
	s_or_b64 exec, exec, s[14:15]
.LBB936_335:                            ;   in Loop: Header=BB936_215 Depth=1
	s_or_b64 exec, exec, s[12:13]
	s_waitcnt vmcnt(2)
	v_cmp_ne_u16_sdwa s[14:15], v42, v54 src0_sel:BYTE_0 src1_sel:DWORD
	s_and_saveexec_b64 s[12:13], s[14:15]
	s_cbranch_execz .LBB936_341
; %bb.336:                              ;   in Loop: Header=BB936_215 Depth=1
	v_cmp_ne_u16_sdwa s[16:17], v42, s9 src0_sel:BYTE_0 src1_sel:DWORD
	v_mov_b32_e32 v59, 0xffff8000
	s_and_saveexec_b64 s[14:15], s[16:17]
	s_cbranch_execz .LBB936_340
; %bb.337:                              ;   in Loop: Header=BB936_215 Depth=1
	v_and_b32_e32 v44, 0x7f, v42
	v_cmp_ne_u32_e32 vcc, s21, v44
	v_mov_b32_e32 v59, 0x7f80
	s_and_saveexec_b64 s[16:17], vcc
	s_cbranch_execz .LBB936_339
; %bb.338:                              ;   in Loop: Header=BB936_215 Depth=1
	v_and_b32_e32 v46, 7, v42
	v_ffbh_u32_e32 v61, v46
	v_min_u32_e32 v61, 32, v61
	v_subrev_u32_e32 v62, 28, v61
	v_lshlrev_b64 v[62:63], v62, v[42:43]
	v_lshrrev_b32_e32 v59, 3, v44
	v_sub_u32_e32 v61, 29, v61
	v_and_b32_e32 v62, 7, v62
	v_cmp_gt_u32_e32 vcc, 8, v44
	v_cndmask_b32_e32 v44, v59, v61, vcc
	v_cndmask_b32_e32 v46, v46, v62, vcc
	v_lshlrev_b32_e32 v59, 24, v42
	v_lshlrev_b32_e32 v46, 20, v46
	v_and_b32_e32 v59, 0x80000000, v59
	v_lshl_add_u32 v44, v44, 23, v55
	v_or3_b32 v44, v59, v44, v46
	v_lshrrev_b32_e32 v59, 16, v44
.LBB936_339:                            ;   in Loop: Header=BB936_215 Depth=1
	s_or_b64 exec, exec, s[16:17]
.LBB936_340:                            ;   in Loop: Header=BB936_215 Depth=1
	s_or_b64 exec, exec, s[14:15]
.LBB936_341:                            ;   in Loop: Header=BB936_215 Depth=1
	s_or_b64 exec, exec, s[12:13]
	v_lshrrev_b16_e32 v44, 8, v42
	v_cmp_ne_u16_e32 vcc, 0, v44
	v_mov_b32_e32 v62, 0
	v_mov_b32_e32 v61, 0
	s_and_saveexec_b64 s[12:13], vcc
	s_cbranch_execz .LBB936_347
; %bb.342:                              ;   in Loop: Header=BB936_215 Depth=1
	v_cmp_ne_u16_e32 vcc, s9, v44
	v_mov_b32_e32 v61, 0xffff8000
	s_and_saveexec_b64 s[14:15], vcc
	s_cbranch_execz .LBB936_346
; %bb.343:                              ;   in Loop: Header=BB936_215 Depth=1
	v_and_b32_e32 v46, 0x7f, v44
	v_cmp_ne_u32_e32 vcc, s21, v46
	v_mov_b32_e32 v61, 0x7f80
	s_and_saveexec_b64 s[16:17], vcc
	s_cbranch_execz .LBB936_345
; %bb.344:                              ;   in Loop: Header=BB936_215 Depth=1
	v_and_b32_e32 v61, 7, v44
	v_ffbh_u32_e32 v64, v61
	v_min_u32_e32 v66, 32, v64
	v_subrev_u32_e32 v64, 28, v66
	v_lshlrev_b64 v[64:65], v64, v[44:45]
	v_lshrrev_b32_e32 v63, 3, v46
	v_sub_u32_e32 v44, 29, v66
	v_and_b32_e32 v64, 7, v64
	v_cmp_gt_u32_e32 vcc, 8, v46
	v_cndmask_b32_e32 v44, v63, v44, vcc
	v_cndmask_b32_e32 v46, v61, v64, vcc
	v_lshlrev_b32_e32 v61, 16, v42
	v_lshlrev_b32_e32 v46, 20, v46
	v_and_b32_e32 v61, 0x80000000, v61
	v_lshl_add_u32 v44, v44, 23, v55
	v_or3_b32 v44, v61, v44, v46
	v_lshrrev_b32_e32 v61, 16, v44
.LBB936_345:                            ;   in Loop: Header=BB936_215 Depth=1
	s_or_b64 exec, exec, s[16:17]
.LBB936_346:                            ;   in Loop: Header=BB936_215 Depth=1
	s_or_b64 exec, exec, s[14:15]
.LBB936_347:                            ;   in Loop: Header=BB936_215 Depth=1
	s_or_b64 exec, exec, s[12:13]
	v_lshrrev_b32_e32 v44, 16, v42
	v_cmp_ne_u16_sdwa s[14:15], v44, v54 src0_sel:BYTE_0 src1_sel:DWORD
	s_and_saveexec_b64 s[12:13], s[14:15]
	s_cbranch_execz .LBB936_353
; %bb.348:                              ;   in Loop: Header=BB936_215 Depth=1
	v_cmp_ne_u16_sdwa s[16:17], v44, s9 src0_sel:BYTE_0 src1_sel:DWORD
	v_mov_b32_e32 v62, 0xffff8000
	s_and_saveexec_b64 s[14:15], s[16:17]
	s_cbranch_execz .LBB936_352
; %bb.349:                              ;   in Loop: Header=BB936_215 Depth=1
	v_bfe_u32 v46, v42, 16, 7
	v_cmp_ne_u32_e32 vcc, s21, v46
	v_mov_b32_e32 v62, 0x7f80
	s_and_saveexec_b64 s[16:17], vcc
	s_cbranch_execz .LBB936_351
; %bb.350:                              ;   in Loop: Header=BB936_215 Depth=1
	v_and_b32_e32 v64, 7, v44
	v_ffbh_u32_e32 v62, v64
	v_min_u32_e32 v66, 32, v62
	v_subrev_u32_e32 v62, 28, v66
	v_lshlrev_b64 v[62:63], v62, v[44:45]
	v_lshrrev_b32_e32 v65, 3, v46
	v_sub_u32_e32 v63, 29, v66
	v_and_b32_e32 v62, 7, v62
	v_cmp_gt_u32_e32 vcc, 8, v46
	v_cndmask_b32_e32 v46, v65, v63, vcc
	v_cndmask_b32_e32 v62, v64, v62, vcc
	v_lshlrev_b32_e32 v44, 24, v44
	v_lshlrev_b32_e32 v62, 20, v62
	v_and_b32_e32 v44, 0x80000000, v44
	v_lshl_add_u32 v46, v46, 23, v55
	v_or3_b32 v44, v44, v46, v62
	v_lshrrev_b32_e32 v62, 16, v44
.LBB936_351:                            ;   in Loop: Header=BB936_215 Depth=1
	s_or_b64 exec, exec, s[16:17]
.LBB936_352:                            ;   in Loop: Header=BB936_215 Depth=1
	s_or_b64 exec, exec, s[14:15]
.LBB936_353:                            ;   in Loop: Header=BB936_215 Depth=1
	s_or_b64 exec, exec, s[12:13]
	v_cmp_lt_u32_e32 vcc, s22, v42
	v_mov_b32_e32 v46, 0
	v_mov_b32_e32 v63, 0
	s_and_saveexec_b64 s[12:13], vcc
	s_cbranch_execz .LBB936_359
; %bb.354:                              ;   in Loop: Header=BB936_215 Depth=1
	v_lshrrev_b32_e32 v44, 24, v42
	v_cmp_ne_u32_e32 vcc, s9, v44
	v_mov_b32_e32 v63, 0xffff8000
	s_and_saveexec_b64 s[14:15], vcc
	s_cbranch_execz .LBB936_358
; %bb.355:                              ;   in Loop: Header=BB936_215 Depth=1
	v_bfe_u32 v42, v42, 24, 7
	v_cmp_ne_u32_e32 vcc, s21, v42
	v_mov_b32_e32 v63, 0x7f80
	s_and_saveexec_b64 s[16:17], vcc
	s_cbranch_execz .LBB936_357
; %bb.356:                              ;   in Loop: Header=BB936_215 Depth=1
	v_and_b32_e32 v63, 7, v44
	v_ffbh_u32_e32 v64, v63
	v_min_u32_e32 v67, 32, v64
	v_subrev_u32_e32 v64, 28, v67
	v_lshlrev_b64 v[64:65], v64, v[44:45]
	v_lshrrev_b32_e32 v66, 3, v42
	v_sub_u32_e32 v65, 29, v67
	v_and_b32_e32 v64, 7, v64
	v_cmp_gt_u32_e32 vcc, 8, v42
	v_cndmask_b32_e32 v42, v66, v65, vcc
	v_cndmask_b32_e32 v63, v63, v64, vcc
	v_lshlrev_b32_e32 v44, 24, v44
	v_lshlrev_b32_e32 v63, 20, v63
	v_and_b32_e32 v44, 0x80000000, v44
	v_lshl_add_u32 v42, v42, 23, v55
	v_or3_b32 v42, v44, v42, v63
	v_lshrrev_b32_e32 v63, 16, v42
.LBB936_357:                            ;   in Loop: Header=BB936_215 Depth=1
	s_or_b64 exec, exec, s[16:17]
.LBB936_358:                            ;   in Loop: Header=BB936_215 Depth=1
	s_or_b64 exec, exec, s[14:15]
.LBB936_359:                            ;   in Loop: Header=BB936_215 Depth=1
	s_or_b64 exec, exec, s[12:13]
	v_perm_b32 v65, v60, v58, s23
	v_perm_b32 v64, v57, v56, s23
	;; [unrolled: 1-line block ×4, first 2 shown]
	s_waitcnt vmcnt(1)
	v_cmp_ne_u16_sdwa s[14:15], v40, v54 src0_sel:BYTE_0 src1_sel:DWORD
	v_mfma_f32_16x16x16bf16_1k v[34:37], v[64:65], v[10:11], v[34:37]
	v_mfma_f32_16x16x16bf16_1k v[34:37], v[56:57], v[12:13], v[34:37]
	s_and_saveexec_b64 s[12:13], s[14:15]
	s_cbranch_execz .LBB936_365
; %bb.360:                              ;   in Loop: Header=BB936_215 Depth=1
	v_cmp_ne_u16_sdwa s[16:17], v40, s9 src0_sel:BYTE_0 src1_sel:DWORD
	v_mov_b32_e32 v46, 0xffff8000
	s_and_saveexec_b64 s[14:15], s[16:17]
	s_cbranch_execz .LBB936_364
; %bb.361:                              ;   in Loop: Header=BB936_215 Depth=1
	v_and_b32_e32 v42, 0x7f, v40
	v_cmp_ne_u32_e32 vcc, s21, v42
	v_mov_b32_e32 v46, 0x7f80
	s_and_saveexec_b64 s[16:17], vcc
	s_cbranch_execz .LBB936_363
; %bb.362:                              ;   in Loop: Header=BB936_215 Depth=1
	v_and_b32_e32 v44, 7, v40
	v_ffbh_u32_e32 v56, v44
	v_min_u32_e32 v58, 32, v56
	v_subrev_u32_e32 v56, 28, v58
	v_lshlrev_b64 v[56:57], v56, v[40:41]
	v_lshrrev_b32_e32 v46, 3, v42
	v_sub_u32_e32 v57, 29, v58
	v_and_b32_e32 v56, 7, v56
	v_cmp_gt_u32_e32 vcc, 8, v42
	v_cndmask_b32_e32 v42, v46, v57, vcc
	v_cndmask_b32_e32 v44, v44, v56, vcc
	v_lshlrev_b32_e32 v46, 24, v40
	v_lshlrev_b32_e32 v44, 20, v44
	v_and_b32_e32 v46, 0x80000000, v46
	v_lshl_add_u32 v42, v42, 23, v55
	v_or3_b32 v42, v46, v42, v44
	v_lshrrev_b32_e32 v46, 16, v42
.LBB936_363:                            ;   in Loop: Header=BB936_215 Depth=1
	s_or_b64 exec, exec, s[16:17]
.LBB936_364:                            ;   in Loop: Header=BB936_215 Depth=1
	s_or_b64 exec, exec, s[14:15]
.LBB936_365:                            ;   in Loop: Header=BB936_215 Depth=1
	s_or_b64 exec, exec, s[12:13]
	v_lshrrev_b16_e32 v42, 8, v40
	v_cmp_ne_u16_e32 vcc, 0, v42
	v_mov_b32_e32 v57, 0
	v_mov_b32_e32 v44, 0
	s_and_saveexec_b64 s[12:13], vcc
	s_cbranch_execz .LBB936_371
; %bb.366:                              ;   in Loop: Header=BB936_215 Depth=1
	v_cmp_ne_u16_e32 vcc, s9, v42
	v_mov_b32_e32 v44, 0xffff8000
	s_and_saveexec_b64 s[14:15], vcc
	s_cbranch_execz .LBB936_370
; %bb.367:                              ;   in Loop: Header=BB936_215 Depth=1
	v_and_b32_e32 v56, 0x7f, v42
	v_cmp_ne_u32_e32 vcc, s21, v56
	v_mov_b32_e32 v44, 0x7f80
	s_and_saveexec_b64 s[16:17], vcc
	s_cbranch_execz .LBB936_369
; %bb.368:                              ;   in Loop: Header=BB936_215 Depth=1
	v_and_b32_e32 v44, 7, v42
	v_ffbh_u32_e32 v58, v44
	v_min_u32_e32 v61, 32, v58
	v_subrev_u32_e32 v58, 28, v61
	v_lshlrev_b64 v[58:59], v58, v[42:43]
	v_lshrrev_b32_e32 v60, 3, v56
	v_sub_u32_e32 v42, 29, v61
	v_and_b32_e32 v58, 7, v58
	v_cmp_gt_u32_e32 vcc, 8, v56
	v_cndmask_b32_e32 v42, v60, v42, vcc
	v_cndmask_b32_e32 v44, v44, v58, vcc
	v_lshlrev_b32_e32 v56, 16, v40
	v_lshlrev_b32_e32 v44, 20, v44
	v_and_b32_e32 v56, 0x80000000, v56
	v_lshl_add_u32 v42, v42, 23, v55
	v_or3_b32 v42, v56, v42, v44
	v_lshrrev_b32_e32 v44, 16, v42
.LBB936_369:                            ;   in Loop: Header=BB936_215 Depth=1
	s_or_b64 exec, exec, s[16:17]
.LBB936_370:                            ;   in Loop: Header=BB936_215 Depth=1
	s_or_b64 exec, exec, s[14:15]
.LBB936_371:                            ;   in Loop: Header=BB936_215 Depth=1
	s_or_b64 exec, exec, s[12:13]
	v_lshrrev_b32_e32 v42, 16, v40
	v_cmp_ne_u16_sdwa s[14:15], v42, v54 src0_sel:BYTE_0 src1_sel:DWORD
	s_and_saveexec_b64 s[12:13], s[14:15]
	s_cbranch_execz .LBB936_377
; %bb.372:                              ;   in Loop: Header=BB936_215 Depth=1
	v_cmp_ne_u16_sdwa s[16:17], v42, s9 src0_sel:BYTE_0 src1_sel:DWORD
	v_mov_b32_e32 v57, 0xffff8000
	s_and_saveexec_b64 s[14:15], s[16:17]
	s_cbranch_execz .LBB936_376
; %bb.373:                              ;   in Loop: Header=BB936_215 Depth=1
	v_bfe_u32 v56, v40, 16, 7
	v_cmp_ne_u32_e32 vcc, s21, v56
	v_mov_b32_e32 v57, 0x7f80
	s_and_saveexec_b64 s[16:17], vcc
	s_cbranch_execz .LBB936_375
; %bb.374:                              ;   in Loop: Header=BB936_215 Depth=1
	v_and_b32_e32 v57, 7, v42
	v_ffbh_u32_e32 v58, v57
	v_min_u32_e32 v61, 32, v58
	v_subrev_u32_e32 v58, 28, v61
	v_lshlrev_b64 v[58:59], v58, v[42:43]
	v_lshrrev_b32_e32 v60, 3, v56
	v_sub_u32_e32 v59, 29, v61
	v_and_b32_e32 v58, 7, v58
	v_cmp_gt_u32_e32 vcc, 8, v56
	v_cndmask_b32_e32 v56, v60, v59, vcc
	v_cndmask_b32_e32 v57, v57, v58, vcc
	v_lshlrev_b32_e32 v42, 24, v42
	v_lshlrev_b32_e32 v57, 20, v57
	v_and_b32_e32 v42, 0x80000000, v42
	v_lshl_add_u32 v56, v56, 23, v55
	v_or3_b32 v42, v42, v56, v57
	v_lshrrev_b32_e32 v57, 16, v42
.LBB936_375:                            ;   in Loop: Header=BB936_215 Depth=1
	s_or_b64 exec, exec, s[16:17]
.LBB936_376:                            ;   in Loop: Header=BB936_215 Depth=1
	s_or_b64 exec, exec, s[14:15]
.LBB936_377:                            ;   in Loop: Header=BB936_215 Depth=1
	s_or_b64 exec, exec, s[12:13]
	v_cmp_lt_u32_e32 vcc, s22, v40
	v_mov_b32_e32 v58, 0
	v_mov_b32_e32 v59, 0
	s_and_saveexec_b64 s[12:13], vcc
	s_cbranch_execz .LBB936_383
; %bb.378:                              ;   in Loop: Header=BB936_215 Depth=1
	v_lshrrev_b32_e32 v42, 24, v40
	v_cmp_ne_u32_e32 vcc, s9, v42
	v_mov_b32_e32 v59, 0xffff8000
	s_and_saveexec_b64 s[14:15], vcc
	s_cbranch_execz .LBB936_382
; %bb.379:                              ;   in Loop: Header=BB936_215 Depth=1
	v_bfe_u32 v40, v40, 24, 7
	v_cmp_ne_u32_e32 vcc, s21, v40
	v_mov_b32_e32 v59, 0x7f80
	s_and_saveexec_b64 s[16:17], vcc
	s_cbranch_execz .LBB936_381
; %bb.380:                              ;   in Loop: Header=BB936_215 Depth=1
	v_and_b32_e32 v56, 7, v42
	v_ffbh_u32_e32 v60, v56
	v_min_u32_e32 v62, 32, v60
	v_subrev_u32_e32 v60, 28, v62
	v_lshlrev_b64 v[60:61], v60, v[42:43]
	v_lshrrev_b32_e32 v59, 3, v40
	v_sub_u32_e32 v61, 29, v62
	v_and_b32_e32 v60, 7, v60
	v_cmp_gt_u32_e32 vcc, 8, v40
	v_cndmask_b32_e32 v40, v59, v61, vcc
	v_cndmask_b32_e32 v56, v56, v60, vcc
	v_lshlrev_b32_e32 v42, 24, v42
	v_lshlrev_b32_e32 v56, 20, v56
	v_and_b32_e32 v42, 0x80000000, v42
	v_lshl_add_u32 v40, v40, 23, v55
	v_or3_b32 v40, v42, v40, v56
	v_lshrrev_b32_e32 v59, 16, v40
.LBB936_381:                            ;   in Loop: Header=BB936_215 Depth=1
	s_or_b64 exec, exec, s[16:17]
.LBB936_382:                            ;   in Loop: Header=BB936_215 Depth=1
	s_or_b64 exec, exec, s[14:15]
.LBB936_383:                            ;   in Loop: Header=BB936_215 Depth=1
	s_or_b64 exec, exec, s[12:13]
	s_waitcnt vmcnt(0)
	v_cmp_ne_u16_sdwa s[14:15], v38, v54 src0_sel:BYTE_0 src1_sel:DWORD
	s_and_saveexec_b64 s[12:13], s[14:15]
	s_cbranch_execz .LBB936_389
; %bb.384:                              ;   in Loop: Header=BB936_215 Depth=1
	v_cmp_ne_u16_sdwa s[16:17], v38, s9 src0_sel:BYTE_0 src1_sel:DWORD
	v_mov_b32_e32 v58, 0xffff8000
	s_and_saveexec_b64 s[14:15], s[16:17]
	s_cbranch_execz .LBB936_388
; %bb.385:                              ;   in Loop: Header=BB936_215 Depth=1
	v_and_b32_e32 v40, 0x7f, v38
	v_cmp_ne_u32_e32 vcc, s21, v40
	v_mov_b32_e32 v58, 0x7f80
	s_and_saveexec_b64 s[16:17], vcc
	s_cbranch_execz .LBB936_387
; %bb.386:                              ;   in Loop: Header=BB936_215 Depth=1
	v_and_b32_e32 v42, 7, v38
	v_ffbh_u32_e32 v58, v42
	v_min_u32_e32 v58, 32, v58
	v_subrev_u32_e32 v60, 28, v58
	v_lshlrev_b64 v[60:61], v60, v[38:39]
	v_lshrrev_b32_e32 v56, 3, v40
	v_sub_u32_e32 v58, 29, v58
	v_and_b32_e32 v60, 7, v60
	v_cmp_gt_u32_e32 vcc, 8, v40
	v_cndmask_b32_e32 v40, v56, v58, vcc
	v_cndmask_b32_e32 v42, v42, v60, vcc
	v_lshlrev_b32_e32 v56, 24, v38
	v_lshlrev_b32_e32 v42, 20, v42
	v_and_b32_e32 v56, 0x80000000, v56
	v_lshl_add_u32 v40, v40, 23, v55
	v_or3_b32 v40, v56, v40, v42
	v_lshrrev_b32_e32 v58, 16, v40
.LBB936_387:                            ;   in Loop: Header=BB936_215 Depth=1
	s_or_b64 exec, exec, s[16:17]
.LBB936_388:                            ;   in Loop: Header=BB936_215 Depth=1
	s_or_b64 exec, exec, s[14:15]
.LBB936_389:                            ;   in Loop: Header=BB936_215 Depth=1
	s_or_b64 exec, exec, s[12:13]
	v_lshrrev_b16_e32 v40, 8, v38
	v_cmp_ne_u16_e32 vcc, 0, v40
	v_mov_b32_e32 v61, 0
	v_mov_b32_e32 v60, 0
	s_and_saveexec_b64 s[12:13], vcc
	s_cbranch_execz .LBB936_395
; %bb.390:                              ;   in Loop: Header=BB936_215 Depth=1
	v_cmp_ne_u16_e32 vcc, s9, v40
	v_mov_b32_e32 v60, 0xffff8000
	s_and_saveexec_b64 s[14:15], vcc
	s_cbranch_execz .LBB936_394
; %bb.391:                              ;   in Loop: Header=BB936_215 Depth=1
	v_and_b32_e32 v42, 0x7f, v40
	v_cmp_ne_u32_e32 vcc, s21, v42
	v_mov_b32_e32 v60, 0x7f80
	s_and_saveexec_b64 s[16:17], vcc
	s_cbranch_execz .LBB936_393
; %bb.392:                              ;   in Loop: Header=BB936_215 Depth=1
	v_and_b32_e32 v56, 7, v40
	v_ffbh_u32_e32 v62, v56
	v_min_u32_e32 v64, 32, v62
	v_subrev_u32_e32 v62, 28, v64
	v_lshlrev_b64 v[62:63], v62, v[40:41]
	v_lshrrev_b32_e32 v60, 3, v42
	v_sub_u32_e32 v40, 29, v64
	v_and_b32_e32 v62, 7, v62
	v_cmp_gt_u32_e32 vcc, 8, v42
	v_cndmask_b32_e32 v40, v60, v40, vcc
	v_cndmask_b32_e32 v42, v56, v62, vcc
	v_lshlrev_b32_e32 v56, 16, v38
	v_lshlrev_b32_e32 v42, 20, v42
	v_and_b32_e32 v56, 0x80000000, v56
	v_lshl_add_u32 v40, v40, 23, v55
	v_or3_b32 v40, v56, v40, v42
	v_lshrrev_b32_e32 v60, 16, v40
.LBB936_393:                            ;   in Loop: Header=BB936_215 Depth=1
	s_or_b64 exec, exec, s[16:17]
.LBB936_394:                            ;   in Loop: Header=BB936_215 Depth=1
	s_or_b64 exec, exec, s[14:15]
.LBB936_395:                            ;   in Loop: Header=BB936_215 Depth=1
	s_or_b64 exec, exec, s[12:13]
	v_lshrrev_b32_e32 v40, 16, v38
	v_cmp_ne_u16_sdwa s[14:15], v40, v54 src0_sel:BYTE_0 src1_sel:DWORD
	s_and_saveexec_b64 s[12:13], s[14:15]
	s_cbranch_execz .LBB936_401
; %bb.396:                              ;   in Loop: Header=BB936_215 Depth=1
	v_cmp_ne_u16_sdwa s[16:17], v40, s9 src0_sel:BYTE_0 src1_sel:DWORD
	v_mov_b32_e32 v61, 0xffff8000
	s_and_saveexec_b64 s[14:15], s[16:17]
	s_cbranch_execz .LBB936_400
; %bb.397:                              ;   in Loop: Header=BB936_215 Depth=1
	v_bfe_u32 v42, v38, 16, 7
	v_cmp_ne_u32_e32 vcc, s21, v42
	v_mov_b32_e32 v61, 0x7f80
	s_and_saveexec_b64 s[16:17], vcc
	s_cbranch_execz .LBB936_399
; %bb.398:                              ;   in Loop: Header=BB936_215 Depth=1
	v_and_b32_e32 v56, 7, v40
	v_ffbh_u32_e32 v62, v56
	v_min_u32_e32 v64, 32, v62
	v_subrev_u32_e32 v62, 28, v64
	v_lshlrev_b64 v[62:63], v62, v[40:41]
	v_lshrrev_b32_e32 v61, 3, v42
	v_sub_u32_e32 v63, 29, v64
	v_and_b32_e32 v62, 7, v62
	v_cmp_gt_u32_e32 vcc, 8, v42
	v_cndmask_b32_e32 v42, v61, v63, vcc
	v_cndmask_b32_e32 v56, v56, v62, vcc
	v_lshlrev_b32_e32 v40, 24, v40
	v_lshlrev_b32_e32 v56, 20, v56
	v_and_b32_e32 v40, 0x80000000, v40
	v_lshl_add_u32 v42, v42, 23, v55
	v_or3_b32 v40, v40, v42, v56
	v_lshrrev_b32_e32 v61, 16, v40
.LBB936_399:                            ;   in Loop: Header=BB936_215 Depth=1
	s_or_b64 exec, exec, s[16:17]
.LBB936_400:                            ;   in Loop: Header=BB936_215 Depth=1
	s_or_b64 exec, exec, s[14:15]
.LBB936_401:                            ;   in Loop: Header=BB936_215 Depth=1
	s_or_b64 exec, exec, s[12:13]
	v_cmp_lt_u32_e32 vcc, s22, v38
	v_mov_b32_e32 v56, 0
	v_mov_b32_e32 v62, 0
	s_and_saveexec_b64 s[12:13], vcc
	s_cbranch_execz .LBB936_407
; %bb.402:                              ;   in Loop: Header=BB936_215 Depth=1
	v_lshrrev_b32_e32 v40, 24, v38
	v_cmp_ne_u32_e32 vcc, s9, v40
	v_mov_b32_e32 v62, 0xffff8000
	s_and_saveexec_b64 s[14:15], vcc
	s_cbranch_execz .LBB936_406
; %bb.403:                              ;   in Loop: Header=BB936_215 Depth=1
	v_bfe_u32 v38, v38, 24, 7
	v_cmp_ne_u32_e32 vcc, s21, v38
	v_mov_b32_e32 v62, 0x7f80
	s_and_saveexec_b64 s[16:17], vcc
	s_cbranch_execz .LBB936_405
; %bb.404:                              ;   in Loop: Header=BB936_215 Depth=1
	v_and_b32_e32 v42, 7, v40
	v_ffbh_u32_e32 v62, v42
	v_min_u32_e32 v65, 32, v62
	v_subrev_u32_e32 v62, 28, v65
	v_lshlrev_b64 v[62:63], v62, v[40:41]
	v_lshrrev_b32_e32 v64, 3, v38
	v_sub_u32_e32 v63, 29, v65
	v_and_b32_e32 v62, 7, v62
	v_cmp_gt_u32_e32 vcc, 8, v38
	v_cndmask_b32_e32 v38, v64, v63, vcc
	v_cndmask_b32_e32 v42, v42, v62, vcc
	v_lshlrev_b32_e32 v40, 24, v40
	v_lshlrev_b32_e32 v42, 20, v42
	v_and_b32_e32 v40, 0x80000000, v40
	v_lshl_add_u32 v38, v38, 23, v55
	v_or3_b32 v38, v40, v38, v42
	v_lshrrev_b32_e32 v62, 16, v38
.LBB936_405:                            ;   in Loop: Header=BB936_215 Depth=1
	s_or_b64 exec, exec, s[16:17]
.LBB936_406:                            ;   in Loop: Header=BB936_215 Depth=1
	s_or_b64 exec, exec, s[14:15]
.LBB936_407:                            ;   in Loop: Header=BB936_215 Depth=1
	s_or_b64 exec, exec, s[12:13]
	v_perm_b32 v64, v44, v46, s23
	buffer_load_dword v44, v51, s[0:3], 0 offen
	buffer_load_dword v42, v51, s[0:3], 0 offen offset:4
	buffer_load_dword v40, v51, s[0:3], 0 offen offset:8
	;; [unrolled: 1-line block ×3, first 2 shown]
	v_perm_b32 v65, v59, v57, s23
	v_perm_b32 v59, v62, v61, s23
	;; [unrolled: 1-line block ×3, first 2 shown]
	v_mfma_f32_16x16x16bf16_1k v[34:37], v[64:65], v[14:15], v[34:37]
	s_waitcnt vmcnt(3)
	v_cmp_ne_u16_sdwa s[14:15], v44, v54 src0_sel:BYTE_0 src1_sel:DWORD
	v_mfma_f32_16x16x16bf16_1k v[34:37], v[58:59], v[16:17], v[34:37]
	s_and_saveexec_b64 s[12:13], s[14:15]
	s_cbranch_execz .LBB936_413
; %bb.408:                              ;   in Loop: Header=BB936_215 Depth=1
	v_cmp_ne_u16_sdwa s[16:17], v44, s9 src0_sel:BYTE_0 src1_sel:DWORD
	v_mov_b32_e32 v56, 0xffff8000
	s_and_saveexec_b64 s[14:15], s[16:17]
	s_cbranch_execz .LBB936_412
; %bb.409:                              ;   in Loop: Header=BB936_215 Depth=1
	v_and_b32_e32 v46, 0x7f, v44
	v_cmp_ne_u32_e32 vcc, s21, v46
	v_mov_b32_e32 v56, 0x7f80
	s_and_saveexec_b64 s[16:17], vcc
	s_cbranch_execz .LBB936_411
; %bb.410:                              ;   in Loop: Header=BB936_215 Depth=1
	v_and_b32_e32 v51, 7, v44
	v_ffbh_u32_e32 v56, v51
	v_min_u32_e32 v59, 32, v56
	v_subrev_u32_e32 v56, 28, v59
	v_lshlrev_b64 v[56:57], v56, v[44:45]
	v_lshrrev_b32_e32 v58, 3, v46
	v_sub_u32_e32 v57, 29, v59
	v_and_b32_e32 v56, 7, v56
	v_cmp_gt_u32_e32 vcc, 8, v46
	v_cndmask_b32_e32 v46, v58, v57, vcc
	v_cndmask_b32_e32 v51, v51, v56, vcc
	v_lshlrev_b32_e32 v56, 24, v44
	v_lshlrev_b32_e32 v51, 20, v51
	v_and_b32_e32 v56, 0x80000000, v56
	v_lshl_add_u32 v46, v46, 23, v55
	v_or3_b32 v46, v56, v46, v51
	v_lshrrev_b32_e32 v56, 16, v46
.LBB936_411:                            ;   in Loop: Header=BB936_215 Depth=1
	s_or_b64 exec, exec, s[16:17]
.LBB936_412:                            ;   in Loop: Header=BB936_215 Depth=1
	s_or_b64 exec, exec, s[14:15]
.LBB936_413:                            ;   in Loop: Header=BB936_215 Depth=1
	s_or_b64 exec, exec, s[12:13]
	v_lshrrev_b16_e32 v46, 8, v44
	v_cmp_ne_u16_e32 vcc, 0, v46
	v_mov_b32_e32 v57, 0
	v_mov_b32_e32 v51, 0
	s_and_saveexec_b64 s[12:13], vcc
	s_cbranch_execz .LBB936_419
; %bb.414:                              ;   in Loop: Header=BB936_215 Depth=1
	v_cmp_ne_u16_e32 vcc, s9, v46
	v_mov_b32_e32 v51, 0xffff8000
	s_and_saveexec_b64 s[14:15], vcc
	s_cbranch_execz .LBB936_418
; %bb.415:                              ;   in Loop: Header=BB936_215 Depth=1
	v_and_b32_e32 v58, 0x7f, v46
	v_cmp_ne_u32_e32 vcc, s21, v58
	v_mov_b32_e32 v51, 0x7f80
	s_and_saveexec_b64 s[16:17], vcc
	s_cbranch_execz .LBB936_417
; %bb.416:                              ;   in Loop: Header=BB936_215 Depth=1
	v_and_b32_e32 v51, 7, v46
	v_ffbh_u32_e32 v60, v51
	v_min_u32_e32 v62, 32, v60
	v_subrev_u32_e32 v60, 28, v62
	v_lshlrev_b64 v[60:61], v60, v[46:47]
	v_lshrrev_b32_e32 v59, 3, v58
	v_sub_u32_e32 v46, 29, v62
	v_and_b32_e32 v60, 7, v60
	v_cmp_gt_u32_e32 vcc, 8, v58
	v_cndmask_b32_e32 v46, v59, v46, vcc
	v_cndmask_b32_e32 v51, v51, v60, vcc
	v_lshlrev_b32_e32 v58, 16, v44
	v_lshlrev_b32_e32 v51, 20, v51
	v_and_b32_e32 v58, 0x80000000, v58
	v_lshl_add_u32 v46, v46, 23, v55
	v_or3_b32 v46, v58, v46, v51
	v_lshrrev_b32_e32 v51, 16, v46
.LBB936_417:                            ;   in Loop: Header=BB936_215 Depth=1
	s_or_b64 exec, exec, s[16:17]
.LBB936_418:                            ;   in Loop: Header=BB936_215 Depth=1
	s_or_b64 exec, exec, s[14:15]
.LBB936_419:                            ;   in Loop: Header=BB936_215 Depth=1
	s_or_b64 exec, exec, s[12:13]
	v_lshrrev_b32_e32 v46, 16, v44
	v_cmp_ne_u16_sdwa s[14:15], v46, v54 src0_sel:BYTE_0 src1_sel:DWORD
	s_and_saveexec_b64 s[12:13], s[14:15]
	s_cbranch_execz .LBB936_425
; %bb.420:                              ;   in Loop: Header=BB936_215 Depth=1
	v_cmp_ne_u16_sdwa s[16:17], v46, s9 src0_sel:BYTE_0 src1_sel:DWORD
	v_mov_b32_e32 v57, 0xffff8000
	s_and_saveexec_b64 s[14:15], s[16:17]
	s_cbranch_execz .LBB936_424
; %bb.421:                              ;   in Loop: Header=BB936_215 Depth=1
	v_bfe_u32 v58, v44, 16, 7
	v_cmp_ne_u32_e32 vcc, s21, v58
	v_mov_b32_e32 v57, 0x7f80
	s_and_saveexec_b64 s[16:17], vcc
	s_cbranch_execz .LBB936_423
; %bb.422:                              ;   in Loop: Header=BB936_215 Depth=1
	v_and_b32_e32 v57, 7, v46
	v_ffbh_u32_e32 v60, v57
	v_min_u32_e32 v62, 32, v60
	v_subrev_u32_e32 v60, 28, v62
	v_lshlrev_b64 v[60:61], v60, v[46:47]
	v_lshrrev_b32_e32 v59, 3, v58
	v_sub_u32_e32 v61, 29, v62
	v_and_b32_e32 v60, 7, v60
	v_cmp_gt_u32_e32 vcc, 8, v58
	v_cndmask_b32_e32 v58, v59, v61, vcc
	v_cndmask_b32_e32 v57, v57, v60, vcc
	v_lshlrev_b32_e32 v46, 24, v46
	v_lshlrev_b32_e32 v57, 20, v57
	v_and_b32_e32 v46, 0x80000000, v46
	v_lshl_add_u32 v58, v58, 23, v55
	v_or3_b32 v46, v46, v58, v57
	v_lshrrev_b32_e32 v57, 16, v46
.LBB936_423:                            ;   in Loop: Header=BB936_215 Depth=1
	s_or_b64 exec, exec, s[16:17]
.LBB936_424:                            ;   in Loop: Header=BB936_215 Depth=1
	s_or_b64 exec, exec, s[14:15]
.LBB936_425:                            ;   in Loop: Header=BB936_215 Depth=1
	s_or_b64 exec, exec, s[12:13]
	v_cmp_lt_u32_e32 vcc, s22, v44
	v_mov_b32_e32 v58, 0
	v_mov_b32_e32 v59, 0
	s_and_saveexec_b64 s[12:13], vcc
	s_cbranch_execz .LBB936_431
; %bb.426:                              ;   in Loop: Header=BB936_215 Depth=1
	v_lshrrev_b32_e32 v46, 24, v44
	v_cmp_ne_u32_e32 vcc, s9, v46
	v_mov_b32_e32 v59, 0xffff8000
	s_and_saveexec_b64 s[14:15], vcc
	s_cbranch_execz .LBB936_430
; %bb.427:                              ;   in Loop: Header=BB936_215 Depth=1
	v_bfe_u32 v44, v44, 24, 7
	v_cmp_ne_u32_e32 vcc, s21, v44
	v_mov_b32_e32 v59, 0x7f80
	s_and_saveexec_b64 s[16:17], vcc
	s_cbranch_execz .LBB936_429
; %bb.428:                              ;   in Loop: Header=BB936_215 Depth=1
	v_and_b32_e32 v59, 7, v46
	v_ffbh_u32_e32 v60, v59
	v_min_u32_e32 v63, 32, v60
	v_subrev_u32_e32 v60, 28, v63
	v_lshlrev_b64 v[60:61], v60, v[46:47]
	v_lshrrev_b32_e32 v62, 3, v44
	v_sub_u32_e32 v61, 29, v63
	v_and_b32_e32 v60, 7, v60
	v_cmp_gt_u32_e32 vcc, 8, v44
	v_cndmask_b32_e32 v44, v62, v61, vcc
	v_cndmask_b32_e32 v59, v59, v60, vcc
	v_lshlrev_b32_e32 v46, 24, v46
	v_lshlrev_b32_e32 v59, 20, v59
	v_and_b32_e32 v46, 0x80000000, v46
	v_lshl_add_u32 v44, v44, 23, v55
	v_or3_b32 v44, v46, v44, v59
	v_lshrrev_b32_e32 v59, 16, v44
.LBB936_429:                            ;   in Loop: Header=BB936_215 Depth=1
	s_or_b64 exec, exec, s[16:17]
.LBB936_430:                            ;   in Loop: Header=BB936_215 Depth=1
	s_or_b64 exec, exec, s[14:15]
.LBB936_431:                            ;   in Loop: Header=BB936_215 Depth=1
	s_or_b64 exec, exec, s[12:13]
	s_waitcnt vmcnt(2)
	v_cmp_ne_u16_sdwa s[14:15], v42, v54 src0_sel:BYTE_0 src1_sel:DWORD
	s_and_saveexec_b64 s[12:13], s[14:15]
	s_cbranch_execz .LBB936_437
; %bb.432:                              ;   in Loop: Header=BB936_215 Depth=1
	v_cmp_ne_u16_sdwa s[16:17], v42, s9 src0_sel:BYTE_0 src1_sel:DWORD
	v_mov_b32_e32 v58, 0xffff8000
	s_and_saveexec_b64 s[14:15], s[16:17]
	s_cbranch_execz .LBB936_436
; %bb.433:                              ;   in Loop: Header=BB936_215 Depth=1
	v_and_b32_e32 v44, 0x7f, v42
	v_cmp_ne_u32_e32 vcc, s21, v44
	v_mov_b32_e32 v58, 0x7f80
	s_and_saveexec_b64 s[16:17], vcc
	s_cbranch_execz .LBB936_435
; %bb.434:                              ;   in Loop: Header=BB936_215 Depth=1
	v_and_b32_e32 v46, 7, v42
	v_ffbh_u32_e32 v60, v46
	v_min_u32_e32 v62, 32, v60
	v_subrev_u32_e32 v60, 28, v62
	v_lshlrev_b64 v[60:61], v60, v[42:43]
	v_lshrrev_b32_e32 v58, 3, v44
	v_sub_u32_e32 v61, 29, v62
	v_and_b32_e32 v60, 7, v60
	v_cmp_gt_u32_e32 vcc, 8, v44
	v_cndmask_b32_e32 v44, v58, v61, vcc
	v_cndmask_b32_e32 v46, v46, v60, vcc
	v_lshlrev_b32_e32 v58, 24, v42
	v_lshlrev_b32_e32 v46, 20, v46
	v_and_b32_e32 v58, 0x80000000, v58
	v_lshl_add_u32 v44, v44, 23, v55
	v_or3_b32 v44, v58, v44, v46
	v_lshrrev_b32_e32 v58, 16, v44
.LBB936_435:                            ;   in Loop: Header=BB936_215 Depth=1
	s_or_b64 exec, exec, s[16:17]
.LBB936_436:                            ;   in Loop: Header=BB936_215 Depth=1
	s_or_b64 exec, exec, s[14:15]
.LBB936_437:                            ;   in Loop: Header=BB936_215 Depth=1
	s_or_b64 exec, exec, s[12:13]
	v_lshrrev_b16_e32 v44, 8, v42
	v_cmp_ne_u16_e32 vcc, 0, v44
	v_mov_b32_e32 v61, 0
	v_mov_b32_e32 v60, 0
	s_and_saveexec_b64 s[12:13], vcc
	s_cbranch_execz .LBB936_443
; %bb.438:                              ;   in Loop: Header=BB936_215 Depth=1
	v_cmp_ne_u16_e32 vcc, s9, v44
	v_mov_b32_e32 v60, 0xffff8000
	s_and_saveexec_b64 s[14:15], vcc
	s_cbranch_execz .LBB936_442
; %bb.439:                              ;   in Loop: Header=BB936_215 Depth=1
	v_and_b32_e32 v46, 0x7f, v44
	v_cmp_ne_u32_e32 vcc, s21, v46
	v_mov_b32_e32 v60, 0x7f80
	s_and_saveexec_b64 s[16:17], vcc
	s_cbranch_execz .LBB936_441
; %bb.440:                              ;   in Loop: Header=BB936_215 Depth=1
	v_and_b32_e32 v60, 7, v44
	v_ffbh_u32_e32 v62, v60
	v_min_u32_e32 v65, 32, v62
	v_subrev_u32_e32 v62, 28, v65
	v_lshlrev_b64 v[62:63], v62, v[44:45]
	v_lshrrev_b32_e32 v64, 3, v46
	v_sub_u32_e32 v44, 29, v65
	v_and_b32_e32 v62, 7, v62
	v_cmp_gt_u32_e32 vcc, 8, v46
	v_cndmask_b32_e32 v44, v64, v44, vcc
	v_cndmask_b32_e32 v46, v60, v62, vcc
	v_lshlrev_b32_e32 v60, 16, v42
	v_lshlrev_b32_e32 v46, 20, v46
	v_and_b32_e32 v60, 0x80000000, v60
	v_lshl_add_u32 v44, v44, 23, v55
	v_or3_b32 v44, v60, v44, v46
	v_lshrrev_b32_e32 v60, 16, v44
.LBB936_441:                            ;   in Loop: Header=BB936_215 Depth=1
	s_or_b64 exec, exec, s[16:17]
.LBB936_442:                            ;   in Loop: Header=BB936_215 Depth=1
	s_or_b64 exec, exec, s[14:15]
.LBB936_443:                            ;   in Loop: Header=BB936_215 Depth=1
	s_or_b64 exec, exec, s[12:13]
	v_lshrrev_b32_e32 v44, 16, v42
	v_cmp_ne_u16_sdwa s[14:15], v44, v54 src0_sel:BYTE_0 src1_sel:DWORD
	s_and_saveexec_b64 s[12:13], s[14:15]
	s_cbranch_execz .LBB936_449
; %bb.444:                              ;   in Loop: Header=BB936_215 Depth=1
	v_cmp_ne_u16_sdwa s[16:17], v44, s9 src0_sel:BYTE_0 src1_sel:DWORD
	v_mov_b32_e32 v61, 0xffff8000
	s_and_saveexec_b64 s[14:15], s[16:17]
	s_cbranch_execz .LBB936_448
; %bb.445:                              ;   in Loop: Header=BB936_215 Depth=1
	v_bfe_u32 v46, v42, 16, 7
	v_cmp_ne_u32_e32 vcc, s21, v46
	v_mov_b32_e32 v61, 0x7f80
	s_and_saveexec_b64 s[16:17], vcc
	s_cbranch_execz .LBB936_447
; %bb.446:                              ;   in Loop: Header=BB936_215 Depth=1
	v_and_b32_e32 v61, 7, v44
	v_ffbh_u32_e32 v62, v61
	v_min_u32_e32 v65, 32, v62
	v_subrev_u32_e32 v62, 28, v65
	v_lshlrev_b64 v[62:63], v62, v[44:45]
	v_lshrrev_b32_e32 v64, 3, v46
	v_sub_u32_e32 v63, 29, v65
	v_and_b32_e32 v62, 7, v62
	v_cmp_gt_u32_e32 vcc, 8, v46
	v_cndmask_b32_e32 v46, v64, v63, vcc
	v_cndmask_b32_e32 v61, v61, v62, vcc
	v_lshlrev_b32_e32 v44, 24, v44
	v_lshlrev_b32_e32 v61, 20, v61
	v_and_b32_e32 v44, 0x80000000, v44
	v_lshl_add_u32 v46, v46, 23, v55
	v_or3_b32 v44, v44, v46, v61
	v_lshrrev_b32_e32 v61, 16, v44
.LBB936_447:                            ;   in Loop: Header=BB936_215 Depth=1
	s_or_b64 exec, exec, s[16:17]
.LBB936_448:                            ;   in Loop: Header=BB936_215 Depth=1
	s_or_b64 exec, exec, s[14:15]
.LBB936_449:                            ;   in Loop: Header=BB936_215 Depth=1
	s_or_b64 exec, exec, s[12:13]
	v_cmp_lt_u32_e32 vcc, s22, v42
	v_mov_b32_e32 v46, 0
	v_mov_b32_e32 v62, 0
	s_and_saveexec_b64 s[12:13], vcc
	s_cbranch_execz .LBB936_455
; %bb.450:                              ;   in Loop: Header=BB936_215 Depth=1
	v_lshrrev_b32_e32 v44, 24, v42
	v_cmp_ne_u32_e32 vcc, s9, v44
	v_mov_b32_e32 v62, 0xffff8000
	s_and_saveexec_b64 s[14:15], vcc
	s_cbranch_execz .LBB936_454
; %bb.451:                              ;   in Loop: Header=BB936_215 Depth=1
	v_bfe_u32 v42, v42, 24, 7
	v_cmp_ne_u32_e32 vcc, s21, v42
	v_mov_b32_e32 v62, 0x7f80
	s_and_saveexec_b64 s[16:17], vcc
	s_cbranch_execz .LBB936_453
; %bb.452:                              ;   in Loop: Header=BB936_215 Depth=1
	v_and_b32_e32 v64, 7, v44
	v_ffbh_u32_e32 v62, v64
	v_min_u32_e32 v66, 32, v62
	v_subrev_u32_e32 v62, 28, v66
	v_lshlrev_b64 v[62:63], v62, v[44:45]
	v_lshrrev_b32_e32 v65, 3, v42
	v_sub_u32_e32 v63, 29, v66
	v_and_b32_e32 v62, 7, v62
	v_cmp_gt_u32_e32 vcc, 8, v42
	v_cndmask_b32_e32 v42, v65, v63, vcc
	v_cndmask_b32_e32 v62, v64, v62, vcc
	v_lshlrev_b32_e32 v44, 24, v44
	v_lshlrev_b32_e32 v62, 20, v62
	v_and_b32_e32 v44, 0x80000000, v44
	v_lshl_add_u32 v42, v42, 23, v55
	v_or3_b32 v42, v44, v42, v62
	v_lshrrev_b32_e32 v62, 16, v42
.LBB936_453:                            ;   in Loop: Header=BB936_215 Depth=1
	s_or_b64 exec, exec, s[16:17]
.LBB936_454:                            ;   in Loop: Header=BB936_215 Depth=1
	s_or_b64 exec, exec, s[14:15]
.LBB936_455:                            ;   in Loop: Header=BB936_215 Depth=1
	s_or_b64 exec, exec, s[12:13]
	v_perm_b32 v57, v59, v57, s23
	v_perm_b32 v56, v51, v56, s23
	s_waitcnt vmcnt(1)
	v_cmp_ne_u16_sdwa s[14:15], v40, v54 src0_sel:BYTE_0 src1_sel:DWORD
	v_mfma_f32_16x16x16bf16_1k v[34:37], v[56:57], v[18:19], v[34:37]
	v_perm_b32 v57, v62, v61, s23
	v_perm_b32 v56, v60, v58, s23
	s_nop 1
	v_mfma_f32_16x16x16bf16_1k v[34:37], v[56:57], v[20:21], v[34:37]
	s_and_saveexec_b64 s[12:13], s[14:15]
	s_cbranch_execz .LBB936_461
; %bb.456:                              ;   in Loop: Header=BB936_215 Depth=1
	v_cmp_ne_u16_sdwa s[16:17], v40, s9 src0_sel:BYTE_0 src1_sel:DWORD
	v_mov_b32_e32 v46, 0xffff8000
	s_and_saveexec_b64 s[14:15], s[16:17]
	s_cbranch_execz .LBB936_460
; %bb.457:                              ;   in Loop: Header=BB936_215 Depth=1
	v_and_b32_e32 v42, 0x7f, v40
	v_cmp_ne_u32_e32 vcc, s21, v42
	v_mov_b32_e32 v46, 0x7f80
	s_and_saveexec_b64 s[16:17], vcc
	s_cbranch_execz .LBB936_459
; %bb.458:                              ;   in Loop: Header=BB936_215 Depth=1
	v_and_b32_e32 v44, 7, v40
	v_ffbh_u32_e32 v51, v44
	v_min_u32_e32 v51, 32, v51
	v_subrev_u32_e32 v56, 28, v51
	v_lshlrev_b64 v[56:57], v56, v[40:41]
	v_lshrrev_b32_e32 v46, 3, v42
	v_sub_u32_e32 v51, 29, v51
	v_and_b32_e32 v56, 7, v56
	v_cmp_gt_u32_e32 vcc, 8, v42
	v_cndmask_b32_e32 v42, v46, v51, vcc
	v_cndmask_b32_e32 v44, v44, v56, vcc
	v_lshlrev_b32_e32 v46, 24, v40
	v_lshlrev_b32_e32 v44, 20, v44
	v_and_b32_e32 v46, 0x80000000, v46
	v_lshl_add_u32 v42, v42, 23, v55
	v_or3_b32 v42, v46, v42, v44
	v_lshrrev_b32_e32 v46, 16, v42
.LBB936_459:                            ;   in Loop: Header=BB936_215 Depth=1
	s_or_b64 exec, exec, s[16:17]
.LBB936_460:                            ;   in Loop: Header=BB936_215 Depth=1
	s_or_b64 exec, exec, s[14:15]
.LBB936_461:                            ;   in Loop: Header=BB936_215 Depth=1
	s_or_b64 exec, exec, s[12:13]
	v_lshrrev_b16_e32 v42, 8, v40
	v_cmp_ne_u16_e32 vcc, 0, v42
	v_mov_b32_e32 v56, 0
	v_mov_b32_e32 v44, 0
	s_and_saveexec_b64 s[12:13], vcc
	s_cbranch_execz .LBB936_467
; %bb.462:                              ;   in Loop: Header=BB936_215 Depth=1
	v_cmp_ne_u16_e32 vcc, s9, v42
	v_mov_b32_e32 v44, 0xffff8000
	s_and_saveexec_b64 s[14:15], vcc
	s_cbranch_execz .LBB936_466
; %bb.463:                              ;   in Loop: Header=BB936_215 Depth=1
	v_and_b32_e32 v51, 0x7f, v42
	v_cmp_ne_u32_e32 vcc, s21, v51
	v_mov_b32_e32 v44, 0x7f80
	s_and_saveexec_b64 s[16:17], vcc
	s_cbranch_execz .LBB936_465
; %bb.464:                              ;   in Loop: Header=BB936_215 Depth=1
	v_and_b32_e32 v44, 7, v42
	v_ffbh_u32_e32 v58, v44
	v_min_u32_e32 v60, 32, v58
	v_subrev_u32_e32 v58, 28, v60
	v_lshlrev_b64 v[58:59], v58, v[42:43]
	v_lshrrev_b32_e32 v57, 3, v51
	v_sub_u32_e32 v42, 29, v60
	v_and_b32_e32 v58, 7, v58
	v_cmp_gt_u32_e32 vcc, 8, v51
	v_cndmask_b32_e32 v42, v57, v42, vcc
	v_cndmask_b32_e32 v44, v44, v58, vcc
	v_lshlrev_b32_e32 v51, 16, v40
	v_lshlrev_b32_e32 v44, 20, v44
	v_and_b32_e32 v51, 0x80000000, v51
	v_lshl_add_u32 v42, v42, 23, v55
	v_or3_b32 v42, v51, v42, v44
	v_lshrrev_b32_e32 v44, 16, v42
.LBB936_465:                            ;   in Loop: Header=BB936_215 Depth=1
	s_or_b64 exec, exec, s[16:17]
.LBB936_466:                            ;   in Loop: Header=BB936_215 Depth=1
	s_or_b64 exec, exec, s[14:15]
.LBB936_467:                            ;   in Loop: Header=BB936_215 Depth=1
	s_or_b64 exec, exec, s[12:13]
	v_lshrrev_b32_e32 v42, 16, v40
	v_cmp_ne_u16_sdwa s[14:15], v42, v54 src0_sel:BYTE_0 src1_sel:DWORD
	s_and_saveexec_b64 s[12:13], s[14:15]
	s_cbranch_execz .LBB936_473
; %bb.468:                              ;   in Loop: Header=BB936_215 Depth=1
	v_cmp_ne_u16_sdwa s[16:17], v42, s9 src0_sel:BYTE_0 src1_sel:DWORD
	v_mov_b32_e32 v56, 0xffff8000
	s_and_saveexec_b64 s[14:15], s[16:17]
	s_cbranch_execz .LBB936_472
; %bb.469:                              ;   in Loop: Header=BB936_215 Depth=1
	v_bfe_u32 v51, v40, 16, 7
	v_cmp_ne_u32_e32 vcc, s21, v51
	v_mov_b32_e32 v56, 0x7f80
	s_and_saveexec_b64 s[16:17], vcc
	s_cbranch_execz .LBB936_471
; %bb.470:                              ;   in Loop: Header=BB936_215 Depth=1
	v_and_b32_e32 v58, 7, v42
	v_ffbh_u32_e32 v56, v58
	v_min_u32_e32 v60, 32, v56
	v_subrev_u32_e32 v56, 28, v60
	v_lshlrev_b64 v[56:57], v56, v[42:43]
	v_lshrrev_b32_e32 v59, 3, v51
	v_sub_u32_e32 v57, 29, v60
	v_and_b32_e32 v56, 7, v56
	v_cmp_gt_u32_e32 vcc, 8, v51
	v_cndmask_b32_e32 v51, v59, v57, vcc
	v_cndmask_b32_e32 v56, v58, v56, vcc
	v_lshlrev_b32_e32 v42, 24, v42
	v_lshlrev_b32_e32 v56, 20, v56
	v_and_b32_e32 v42, 0x80000000, v42
	v_lshl_add_u32 v51, v51, 23, v55
	v_or3_b32 v42, v42, v51, v56
	v_lshrrev_b32_e32 v56, 16, v42
.LBB936_471:                            ;   in Loop: Header=BB936_215 Depth=1
	s_or_b64 exec, exec, s[16:17]
.LBB936_472:                            ;   in Loop: Header=BB936_215 Depth=1
	s_or_b64 exec, exec, s[14:15]
.LBB936_473:                            ;   in Loop: Header=BB936_215 Depth=1
	s_or_b64 exec, exec, s[12:13]
	v_cmp_lt_u32_e32 vcc, s22, v40
	v_mov_b32_e32 v57, 0
	v_mov_b32_e32 v58, 0
	s_and_saveexec_b64 s[12:13], vcc
	s_cbranch_execz .LBB936_479
; %bb.474:                              ;   in Loop: Header=BB936_215 Depth=1
	v_lshrrev_b32_e32 v42, 24, v40
	v_cmp_ne_u32_e32 vcc, s9, v42
	v_mov_b32_e32 v58, 0xffff8000
	s_and_saveexec_b64 s[14:15], vcc
	s_cbranch_execz .LBB936_478
; %bb.475:                              ;   in Loop: Header=BB936_215 Depth=1
	v_bfe_u32 v40, v40, 24, 7
	v_cmp_ne_u32_e32 vcc, s21, v40
	v_mov_b32_e32 v58, 0x7f80
	s_and_saveexec_b64 s[16:17], vcc
	s_cbranch_execz .LBB936_477
; %bb.476:                              ;   in Loop: Header=BB936_215 Depth=1
	v_and_b32_e32 v51, 7, v42
	v_ffbh_u32_e32 v58, v51
	v_min_u32_e32 v61, 32, v58
	v_subrev_u32_e32 v58, 28, v61
	v_lshlrev_b64 v[58:59], v58, v[42:43]
	v_lshrrev_b32_e32 v60, 3, v40
	v_sub_u32_e32 v59, 29, v61
	v_and_b32_e32 v58, 7, v58
	v_cmp_gt_u32_e32 vcc, 8, v40
	v_cndmask_b32_e32 v40, v60, v59, vcc
	v_cndmask_b32_e32 v51, v51, v58, vcc
	v_lshlrev_b32_e32 v42, 24, v42
	v_lshlrev_b32_e32 v51, 20, v51
	v_and_b32_e32 v42, 0x80000000, v42
	v_lshl_add_u32 v40, v40, 23, v55
	v_or3_b32 v40, v42, v40, v51
	v_lshrrev_b32_e32 v58, 16, v40
.LBB936_477:                            ;   in Loop: Header=BB936_215 Depth=1
	s_or_b64 exec, exec, s[16:17]
.LBB936_478:                            ;   in Loop: Header=BB936_215 Depth=1
	s_or_b64 exec, exec, s[14:15]
.LBB936_479:                            ;   in Loop: Header=BB936_215 Depth=1
	s_or_b64 exec, exec, s[12:13]
	s_waitcnt vmcnt(0)
	v_cmp_ne_u16_sdwa s[14:15], v38, v54 src0_sel:BYTE_0 src1_sel:DWORD
	s_and_saveexec_b64 s[12:13], s[14:15]
	s_cbranch_execz .LBB936_485
; %bb.480:                              ;   in Loop: Header=BB936_215 Depth=1
	v_cmp_ne_u16_sdwa s[16:17], v38, s9 src0_sel:BYTE_0 src1_sel:DWORD
	v_mov_b32_e32 v57, 0xffff8000
	s_and_saveexec_b64 s[14:15], s[16:17]
	s_cbranch_execz .LBB936_484
; %bb.481:                              ;   in Loop: Header=BB936_215 Depth=1
	v_and_b32_e32 v40, 0x7f, v38
	v_cmp_ne_u32_e32 vcc, s21, v40
	v_mov_b32_e32 v57, 0x7f80
	s_and_saveexec_b64 s[16:17], vcc
	s_cbranch_execz .LBB936_483
; %bb.482:                              ;   in Loop: Header=BB936_215 Depth=1
	v_and_b32_e32 v42, 7, v38
	v_ffbh_u32_e32 v57, v42
	v_min_u32_e32 v57, 32, v57
	v_subrev_u32_e32 v59, 28, v57
	v_lshlrev_b64 v[60:61], v59, v[38:39]
	v_lshrrev_b32_e32 v51, 3, v40
	v_sub_u32_e32 v57, 29, v57
	v_and_b32_e32 v59, 7, v60
	v_cmp_gt_u32_e32 vcc, 8, v40
	v_cndmask_b32_e32 v40, v51, v57, vcc
	v_cndmask_b32_e32 v42, v42, v59, vcc
	v_lshlrev_b32_e32 v51, 24, v38
	v_lshlrev_b32_e32 v42, 20, v42
	v_and_b32_e32 v51, 0x80000000, v51
	v_lshl_add_u32 v40, v40, 23, v55
	v_or3_b32 v40, v51, v40, v42
	v_lshrrev_b32_e32 v57, 16, v40
.LBB936_483:                            ;   in Loop: Header=BB936_215 Depth=1
	s_or_b64 exec, exec, s[16:17]
.LBB936_484:                            ;   in Loop: Header=BB936_215 Depth=1
	s_or_b64 exec, exec, s[14:15]
.LBB936_485:                            ;   in Loop: Header=BB936_215 Depth=1
	s_or_b64 exec, exec, s[12:13]
	v_lshrrev_b16_e32 v40, 8, v38
	v_cmp_ne_u16_e32 vcc, 0, v40
	v_mov_b32_e32 v60, 0
	v_mov_b32_e32 v59, 0
	s_and_saveexec_b64 s[12:13], vcc
	s_cbranch_execz .LBB936_491
; %bb.486:                              ;   in Loop: Header=BB936_215 Depth=1
	v_cmp_ne_u16_e32 vcc, s9, v40
	v_mov_b32_e32 v59, 0xffff8000
	s_and_saveexec_b64 s[14:15], vcc
	s_cbranch_execz .LBB936_490
; %bb.487:                              ;   in Loop: Header=BB936_215 Depth=1
	v_and_b32_e32 v42, 0x7f, v40
	v_cmp_ne_u32_e32 vcc, s21, v42
	v_mov_b32_e32 v59, 0x7f80
	s_and_saveexec_b64 s[16:17], vcc
	s_cbranch_execz .LBB936_489
; %bb.488:                              ;   in Loop: Header=BB936_215 Depth=1
	v_and_b32_e32 v51, 7, v40
	v_ffbh_u32_e32 v61, v51
	v_min_u32_e32 v61, 32, v61
	v_subrev_u32_e32 v62, 28, v61
	v_lshlrev_b64 v[62:63], v62, v[40:41]
	v_lshrrev_b32_e32 v59, 3, v42
	v_sub_u32_e32 v40, 29, v61
	v_and_b32_e32 v61, 7, v62
	v_cmp_gt_u32_e32 vcc, 8, v42
	v_cndmask_b32_e32 v40, v59, v40, vcc
	v_cndmask_b32_e32 v42, v51, v61, vcc
	v_lshlrev_b32_e32 v51, 16, v38
	v_lshlrev_b32_e32 v42, 20, v42
	v_and_b32_e32 v51, 0x80000000, v51
	v_lshl_add_u32 v40, v40, 23, v55
	v_or3_b32 v40, v51, v40, v42
	v_lshrrev_b32_e32 v59, 16, v40
.LBB936_489:                            ;   in Loop: Header=BB936_215 Depth=1
	s_or_b64 exec, exec, s[16:17]
.LBB936_490:                            ;   in Loop: Header=BB936_215 Depth=1
	s_or_b64 exec, exec, s[14:15]
.LBB936_491:                            ;   in Loop: Header=BB936_215 Depth=1
	s_or_b64 exec, exec, s[12:13]
	v_lshrrev_b32_e32 v40, 16, v38
	v_cmp_ne_u16_sdwa s[14:15], v40, v54 src0_sel:BYTE_0 src1_sel:DWORD
	s_and_saveexec_b64 s[12:13], s[14:15]
	s_cbranch_execz .LBB936_497
; %bb.492:                              ;   in Loop: Header=BB936_215 Depth=1
	v_cmp_ne_u16_sdwa s[16:17], v40, s9 src0_sel:BYTE_0 src1_sel:DWORD
	v_mov_b32_e32 v60, 0xffff8000
	s_and_saveexec_b64 s[14:15], s[16:17]
	s_cbranch_execz .LBB936_496
; %bb.493:                              ;   in Loop: Header=BB936_215 Depth=1
	v_bfe_u32 v42, v38, 16, 7
	v_cmp_ne_u32_e32 vcc, s21, v42
	v_mov_b32_e32 v60, 0x7f80
	s_and_saveexec_b64 s[16:17], vcc
	s_cbranch_execz .LBB936_495
; %bb.494:                              ;   in Loop: Header=BB936_215 Depth=1
	v_and_b32_e32 v51, 7, v40
	v_ffbh_u32_e32 v60, v51
	v_min_u32_e32 v63, 32, v60
	v_subrev_u32_e32 v60, 28, v63
	v_lshlrev_b64 v[60:61], v60, v[40:41]
	v_lshrrev_b32_e32 v62, 3, v42
	v_sub_u32_e32 v61, 29, v63
	v_and_b32_e32 v60, 7, v60
	v_cmp_gt_u32_e32 vcc, 8, v42
	v_cndmask_b32_e32 v42, v62, v61, vcc
	v_cndmask_b32_e32 v51, v51, v60, vcc
	v_lshlrev_b32_e32 v40, 24, v40
	v_lshlrev_b32_e32 v51, 20, v51
	v_and_b32_e32 v40, 0x80000000, v40
	v_lshl_add_u32 v42, v42, 23, v55
	v_or3_b32 v40, v40, v42, v51
	v_lshrrev_b32_e32 v60, 16, v40
.LBB936_495:                            ;   in Loop: Header=BB936_215 Depth=1
	s_or_b64 exec, exec, s[16:17]
.LBB936_496:                            ;   in Loop: Header=BB936_215 Depth=1
	s_or_b64 exec, exec, s[14:15]
.LBB936_497:                            ;   in Loop: Header=BB936_215 Depth=1
	s_or_b64 exec, exec, s[12:13]
	v_cmp_lt_u32_e32 vcc, s22, v38
	v_mov_b32_e32 v51, 0
	v_mov_b32_e32 v61, 0
	s_and_saveexec_b64 s[12:13], vcc
	s_cbranch_execz .LBB936_503
; %bb.498:                              ;   in Loop: Header=BB936_215 Depth=1
	v_lshrrev_b32_e32 v40, 24, v38
	v_cmp_ne_u32_e32 vcc, s9, v40
	v_mov_b32_e32 v61, 0xffff8000
	s_and_saveexec_b64 s[14:15], vcc
	s_cbranch_execz .LBB936_502
; %bb.499:                              ;   in Loop: Header=BB936_215 Depth=1
	v_bfe_u32 v38, v38, 24, 7
	v_cmp_ne_u32_e32 vcc, s21, v38
	v_mov_b32_e32 v61, 0x7f80
	s_and_saveexec_b64 s[16:17], vcc
	s_cbranch_execz .LBB936_501
; %bb.500:                              ;   in Loop: Header=BB936_215 Depth=1
	v_and_b32_e32 v42, 7, v40
	v_ffbh_u32_e32 v62, v42
	v_min_u32_e32 v64, 32, v62
	v_subrev_u32_e32 v62, 28, v64
	v_lshlrev_b64 v[62:63], v62, v[40:41]
	v_lshrrev_b32_e32 v61, 3, v38
	v_sub_u32_e32 v63, 29, v64
	v_and_b32_e32 v62, 7, v62
	v_cmp_gt_u32_e32 vcc, 8, v38
	v_cndmask_b32_e32 v38, v61, v63, vcc
	v_cndmask_b32_e32 v42, v42, v62, vcc
	v_lshlrev_b32_e32 v40, 24, v40
	v_lshlrev_b32_e32 v42, 20, v42
	v_and_b32_e32 v40, 0x80000000, v40
	v_lshl_add_u32 v38, v38, 23, v55
	v_or3_b32 v38, v40, v38, v42
	v_lshrrev_b32_e32 v61, 16, v38
.LBB936_501:                            ;   in Loop: Header=BB936_215 Depth=1
	s_or_b64 exec, exec, s[16:17]
.LBB936_502:                            ;   in Loop: Header=BB936_215 Depth=1
	s_or_b64 exec, exec, s[14:15]
.LBB936_503:                            ;   in Loop: Header=BB936_215 Depth=1
	s_or_b64 exec, exec, s[12:13]
	v_perm_b32 v62, v44, v46, s23
	buffer_load_dword v44, v50, s[0:3], 0 offen
	buffer_load_dword v42, v50, s[0:3], 0 offen offset:4
	buffer_load_dword v40, v50, s[0:3], 0 offen offset:8
	buffer_load_dword v38, v50, s[0:3], 0 offen offset:12
	v_perm_b32 v63, v58, v56, s23
	v_perm_b32 v61, v61, v60, s23
	;; [unrolled: 1-line block ×3, first 2 shown]
	v_mfma_f32_16x16x16bf16_1k v[34:37], v[62:63], v[22:23], v[34:37]
	s_waitcnt vmcnt(3)
	v_cmp_ne_u16_sdwa s[14:15], v44, v54 src0_sel:BYTE_0 src1_sel:DWORD
	v_mfma_f32_16x16x16bf16_1k v[34:37], v[60:61], v[24:25], v[34:37]
	s_and_saveexec_b64 s[12:13], s[14:15]
	s_cbranch_execz .LBB936_509
; %bb.504:                              ;   in Loop: Header=BB936_215 Depth=1
	v_cmp_ne_u16_sdwa s[16:17], v44, s9 src0_sel:BYTE_0 src1_sel:DWORD
	v_mov_b32_e32 v51, 0xffff8000
	s_and_saveexec_b64 s[14:15], s[16:17]
	s_cbranch_execz .LBB936_508
; %bb.505:                              ;   in Loop: Header=BB936_215 Depth=1
	v_and_b32_e32 v46, 0x7f, v44
	v_cmp_ne_u32_e32 vcc, s21, v46
	v_mov_b32_e32 v51, 0x7f80
	s_and_saveexec_b64 s[16:17], vcc
	s_cbranch_execz .LBB936_507
; %bb.506:                              ;   in Loop: Header=BB936_215 Depth=1
	v_and_b32_e32 v56, 7, v44
	v_ffbh_u32_e32 v50, v56
	v_min_u32_e32 v58, 32, v50
	v_subrev_u32_e32 v50, 28, v58
	v_lshlrev_b64 v[50:51], v50, v[44:45]
	v_lshrrev_b32_e32 v57, 3, v46
	v_sub_u32_e32 v51, 29, v58
	v_and_b32_e32 v50, 7, v50
	v_cmp_gt_u32_e32 vcc, 8, v46
	v_cndmask_b32_e32 v46, v57, v51, vcc
	v_cndmask_b32_e32 v50, v56, v50, vcc
	v_lshlrev_b32_e32 v51, 24, v44
	v_lshlrev_b32_e32 v50, 20, v50
	v_and_b32_e32 v51, 0x80000000, v51
	v_lshl_add_u32 v46, v46, 23, v55
	v_or3_b32 v46, v51, v46, v50
	v_lshrrev_b32_e32 v51, 16, v46
.LBB936_507:                            ;   in Loop: Header=BB936_215 Depth=1
	s_or_b64 exec, exec, s[16:17]
.LBB936_508:                            ;   in Loop: Header=BB936_215 Depth=1
	s_or_b64 exec, exec, s[14:15]
.LBB936_509:                            ;   in Loop: Header=BB936_215 Depth=1
	s_or_b64 exec, exec, s[12:13]
	v_lshrrev_b16_e32 v46, 8, v44
	v_cmp_ne_u16_e32 vcc, 0, v46
	v_mov_b32_e32 v56, 0
	v_mov_b32_e32 v50, 0
	s_and_saveexec_b64 s[12:13], vcc
	s_cbranch_execz .LBB936_515
; %bb.510:                              ;   in Loop: Header=BB936_215 Depth=1
	v_cmp_ne_u16_e32 vcc, s9, v46
	v_mov_b32_e32 v50, 0xffff8000
	s_and_saveexec_b64 s[14:15], vcc
	s_cbranch_execz .LBB936_514
; %bb.511:                              ;   in Loop: Header=BB936_215 Depth=1
	v_and_b32_e32 v57, 0x7f, v46
	v_cmp_ne_u32_e32 vcc, s21, v57
	v_mov_b32_e32 v50, 0x7f80
	s_and_saveexec_b64 s[16:17], vcc
	s_cbranch_execz .LBB936_513
; %bb.512:                              ;   in Loop: Header=BB936_215 Depth=1
	v_and_b32_e32 v50, 7, v46
	v_ffbh_u32_e32 v58, v50
	v_min_u32_e32 v61, 32, v58
	v_subrev_u32_e32 v58, 28, v61
	v_lshlrev_b64 v[58:59], v58, v[46:47]
	v_lshrrev_b32_e32 v60, 3, v57
	v_sub_u32_e32 v46, 29, v61
	v_and_b32_e32 v58, 7, v58
	v_cmp_gt_u32_e32 vcc, 8, v57
	v_cndmask_b32_e32 v46, v60, v46, vcc
	v_cndmask_b32_e32 v50, v50, v58, vcc
	v_lshlrev_b32_e32 v57, 16, v44
	v_lshlrev_b32_e32 v50, 20, v50
	v_and_b32_e32 v57, 0x80000000, v57
	v_lshl_add_u32 v46, v46, 23, v55
	v_or3_b32 v46, v57, v46, v50
	v_lshrrev_b32_e32 v50, 16, v46
.LBB936_513:                            ;   in Loop: Header=BB936_215 Depth=1
	s_or_b64 exec, exec, s[16:17]
.LBB936_514:                            ;   in Loop: Header=BB936_215 Depth=1
	s_or_b64 exec, exec, s[14:15]
.LBB936_515:                            ;   in Loop: Header=BB936_215 Depth=1
	s_or_b64 exec, exec, s[12:13]
	v_lshrrev_b32_e32 v46, 16, v44
	v_cmp_ne_u16_sdwa s[14:15], v46, v54 src0_sel:BYTE_0 src1_sel:DWORD
	s_and_saveexec_b64 s[12:13], s[14:15]
	s_cbranch_execz .LBB936_521
; %bb.516:                              ;   in Loop: Header=BB936_215 Depth=1
	v_cmp_ne_u16_sdwa s[16:17], v46, s9 src0_sel:BYTE_0 src1_sel:DWORD
	v_mov_b32_e32 v56, 0xffff8000
	s_and_saveexec_b64 s[14:15], s[16:17]
	s_cbranch_execz .LBB936_520
; %bb.517:                              ;   in Loop: Header=BB936_215 Depth=1
	v_bfe_u32 v57, v44, 16, 7
	v_cmp_ne_u32_e32 vcc, s21, v57
	v_mov_b32_e32 v56, 0x7f80
	s_and_saveexec_b64 s[16:17], vcc
	s_cbranch_execz .LBB936_519
; %bb.518:                              ;   in Loop: Header=BB936_215 Depth=1
	v_and_b32_e32 v56, 7, v46
	v_ffbh_u32_e32 v58, v56
	v_min_u32_e32 v61, 32, v58
	v_subrev_u32_e32 v58, 28, v61
	v_lshlrev_b64 v[58:59], v58, v[46:47]
	v_lshrrev_b32_e32 v60, 3, v57
	v_sub_u32_e32 v59, 29, v61
	v_and_b32_e32 v58, 7, v58
	v_cmp_gt_u32_e32 vcc, 8, v57
	v_cndmask_b32_e32 v57, v60, v59, vcc
	v_cndmask_b32_e32 v56, v56, v58, vcc
	v_lshlrev_b32_e32 v46, 24, v46
	v_lshlrev_b32_e32 v56, 20, v56
	v_and_b32_e32 v46, 0x80000000, v46
	v_lshl_add_u32 v57, v57, 23, v55
	v_or3_b32 v46, v46, v57, v56
	v_lshrrev_b32_e32 v56, 16, v46
.LBB936_519:                            ;   in Loop: Header=BB936_215 Depth=1
	s_or_b64 exec, exec, s[16:17]
.LBB936_520:                            ;   in Loop: Header=BB936_215 Depth=1
	s_or_b64 exec, exec, s[14:15]
.LBB936_521:                            ;   in Loop: Header=BB936_215 Depth=1
	s_or_b64 exec, exec, s[12:13]
	v_cmp_lt_u32_e32 vcc, s22, v44
	v_mov_b32_e32 v57, 0
	v_mov_b32_e32 v58, 0
	s_and_saveexec_b64 s[12:13], vcc
	s_cbranch_execz .LBB936_527
; %bb.522:                              ;   in Loop: Header=BB936_215 Depth=1
	v_lshrrev_b32_e32 v46, 24, v44
	v_cmp_ne_u32_e32 vcc, s9, v46
	v_mov_b32_e32 v58, 0xffff8000
	s_and_saveexec_b64 s[14:15], vcc
	s_cbranch_execz .LBB936_526
; %bb.523:                              ;   in Loop: Header=BB936_215 Depth=1
	v_bfe_u32 v44, v44, 24, 7
	v_cmp_ne_u32_e32 vcc, s21, v44
	v_mov_b32_e32 v58, 0x7f80
	s_and_saveexec_b64 s[16:17], vcc
	s_cbranch_execz .LBB936_525
; %bb.524:                              ;   in Loop: Header=BB936_215 Depth=1
	v_and_b32_e32 v60, 7, v46
	v_ffbh_u32_e32 v58, v60
	v_min_u32_e32 v62, 32, v58
	v_subrev_u32_e32 v58, 28, v62
	v_lshlrev_b64 v[58:59], v58, v[46:47]
	v_lshrrev_b32_e32 v61, 3, v44
	v_sub_u32_e32 v59, 29, v62
	v_and_b32_e32 v58, 7, v58
	v_cmp_gt_u32_e32 vcc, 8, v44
	v_cndmask_b32_e32 v44, v61, v59, vcc
	v_cndmask_b32_e32 v58, v60, v58, vcc
	v_lshlrev_b32_e32 v46, 24, v46
	v_lshlrev_b32_e32 v58, 20, v58
	v_and_b32_e32 v46, 0x80000000, v46
	v_lshl_add_u32 v44, v44, 23, v55
	v_or3_b32 v44, v46, v44, v58
	v_lshrrev_b32_e32 v58, 16, v44
.LBB936_525:                            ;   in Loop: Header=BB936_215 Depth=1
	s_or_b64 exec, exec, s[16:17]
.LBB936_526:                            ;   in Loop: Header=BB936_215 Depth=1
	s_or_b64 exec, exec, s[14:15]
.LBB936_527:                            ;   in Loop: Header=BB936_215 Depth=1
	s_or_b64 exec, exec, s[12:13]
	s_waitcnt vmcnt(2)
	v_cmp_ne_u16_sdwa s[14:15], v42, v54 src0_sel:BYTE_0 src1_sel:DWORD
	s_and_saveexec_b64 s[12:13], s[14:15]
	s_cbranch_execz .LBB936_533
; %bb.528:                              ;   in Loop: Header=BB936_215 Depth=1
	v_cmp_ne_u16_sdwa s[16:17], v42, s9 src0_sel:BYTE_0 src1_sel:DWORD
	v_mov_b32_e32 v57, 0xffff8000
	s_and_saveexec_b64 s[14:15], s[16:17]
	s_cbranch_execz .LBB936_532
; %bb.529:                              ;   in Loop: Header=BB936_215 Depth=1
	v_and_b32_e32 v44, 0x7f, v42
	v_cmp_ne_u32_e32 vcc, s21, v44
	v_mov_b32_e32 v57, 0x7f80
	s_and_saveexec_b64 s[16:17], vcc
	s_cbranch_execz .LBB936_531
; %bb.530:                              ;   in Loop: Header=BB936_215 Depth=1
	v_and_b32_e32 v46, 7, v42
	v_ffbh_u32_e32 v59, v46
	v_min_u32_e32 v59, 32, v59
	v_subrev_u32_e32 v60, 28, v59
	v_lshlrev_b64 v[60:61], v60, v[42:43]
	v_lshrrev_b32_e32 v57, 3, v44
	v_sub_u32_e32 v59, 29, v59
	v_and_b32_e32 v60, 7, v60
	v_cmp_gt_u32_e32 vcc, 8, v44
	v_cndmask_b32_e32 v44, v57, v59, vcc
	v_cndmask_b32_e32 v46, v46, v60, vcc
	v_lshlrev_b32_e32 v57, 24, v42
	v_lshlrev_b32_e32 v46, 20, v46
	v_and_b32_e32 v57, 0x80000000, v57
	v_lshl_add_u32 v44, v44, 23, v55
	v_or3_b32 v44, v57, v44, v46
	v_lshrrev_b32_e32 v57, 16, v44
.LBB936_531:                            ;   in Loop: Header=BB936_215 Depth=1
	s_or_b64 exec, exec, s[16:17]
.LBB936_532:                            ;   in Loop: Header=BB936_215 Depth=1
	s_or_b64 exec, exec, s[14:15]
.LBB936_533:                            ;   in Loop: Header=BB936_215 Depth=1
	s_or_b64 exec, exec, s[12:13]
	v_lshrrev_b16_e32 v44, 8, v42
	v_cmp_ne_u16_e32 vcc, 0, v44
	v_mov_b32_e32 v60, 0
	v_mov_b32_e32 v59, 0
	s_and_saveexec_b64 s[12:13], vcc
	s_cbranch_execz .LBB936_539
; %bb.534:                              ;   in Loop: Header=BB936_215 Depth=1
	v_cmp_ne_u16_e32 vcc, s9, v44
	v_mov_b32_e32 v59, 0xffff8000
	s_and_saveexec_b64 s[14:15], vcc
	s_cbranch_execz .LBB936_538
; %bb.535:                              ;   in Loop: Header=BB936_215 Depth=1
	v_and_b32_e32 v46, 0x7f, v44
	v_cmp_ne_u32_e32 vcc, s21, v46
	v_mov_b32_e32 v59, 0x7f80
	s_and_saveexec_b64 s[16:17], vcc
	s_cbranch_execz .LBB936_537
; %bb.536:                              ;   in Loop: Header=BB936_215 Depth=1
	v_and_b32_e32 v59, 7, v44
	v_ffbh_u32_e32 v62, v59
	v_min_u32_e32 v64, 32, v62
	v_subrev_u32_e32 v62, 28, v64
	v_lshlrev_b64 v[62:63], v62, v[44:45]
	v_lshrrev_b32_e32 v61, 3, v46
	v_sub_u32_e32 v44, 29, v64
	v_and_b32_e32 v62, 7, v62
	v_cmp_gt_u32_e32 vcc, 8, v46
	v_cndmask_b32_e32 v44, v61, v44, vcc
	v_cndmask_b32_e32 v46, v59, v62, vcc
	v_lshlrev_b32_e32 v59, 16, v42
	v_lshlrev_b32_e32 v46, 20, v46
	v_and_b32_e32 v59, 0x80000000, v59
	v_lshl_add_u32 v44, v44, 23, v55
	v_or3_b32 v44, v59, v44, v46
	v_lshrrev_b32_e32 v59, 16, v44
.LBB936_537:                            ;   in Loop: Header=BB936_215 Depth=1
	s_or_b64 exec, exec, s[16:17]
.LBB936_538:                            ;   in Loop: Header=BB936_215 Depth=1
	s_or_b64 exec, exec, s[14:15]
.LBB936_539:                            ;   in Loop: Header=BB936_215 Depth=1
	s_or_b64 exec, exec, s[12:13]
	v_lshrrev_b32_e32 v44, 16, v42
	v_cmp_ne_u16_sdwa s[14:15], v44, v54 src0_sel:BYTE_0 src1_sel:DWORD
	s_and_saveexec_b64 s[12:13], s[14:15]
	s_cbranch_execz .LBB936_545
; %bb.540:                              ;   in Loop: Header=BB936_215 Depth=1
	v_cmp_ne_u16_sdwa s[16:17], v44, s9 src0_sel:BYTE_0 src1_sel:DWORD
	v_mov_b32_e32 v60, 0xffff8000
	s_and_saveexec_b64 s[14:15], s[16:17]
	s_cbranch_execz .LBB936_544
; %bb.541:                              ;   in Loop: Header=BB936_215 Depth=1
	v_bfe_u32 v46, v42, 16, 7
	v_cmp_ne_u32_e32 vcc, s21, v46
	v_mov_b32_e32 v60, 0x7f80
	s_and_saveexec_b64 s[16:17], vcc
	s_cbranch_execz .LBB936_543
; %bb.542:                              ;   in Loop: Header=BB936_215 Depth=1
	v_and_b32_e32 v62, 7, v44
	v_ffbh_u32_e32 v60, v62
	v_min_u32_e32 v64, 32, v60
	v_subrev_u32_e32 v60, 28, v64
	v_lshlrev_b64 v[60:61], v60, v[44:45]
	v_lshrrev_b32_e32 v63, 3, v46
	v_sub_u32_e32 v61, 29, v64
	v_and_b32_e32 v60, 7, v60
	v_cmp_gt_u32_e32 vcc, 8, v46
	v_cndmask_b32_e32 v46, v63, v61, vcc
	v_cndmask_b32_e32 v60, v62, v60, vcc
	v_lshlrev_b32_e32 v44, 24, v44
	v_lshlrev_b32_e32 v60, 20, v60
	v_and_b32_e32 v44, 0x80000000, v44
	v_lshl_add_u32 v46, v46, 23, v55
	v_or3_b32 v44, v44, v46, v60
	v_lshrrev_b32_e32 v60, 16, v44
.LBB936_543:                            ;   in Loop: Header=BB936_215 Depth=1
	s_or_b64 exec, exec, s[16:17]
.LBB936_544:                            ;   in Loop: Header=BB936_215 Depth=1
	s_or_b64 exec, exec, s[14:15]
.LBB936_545:                            ;   in Loop: Header=BB936_215 Depth=1
	s_or_b64 exec, exec, s[12:13]
	v_cmp_lt_u32_e32 vcc, s22, v42
	v_mov_b32_e32 v46, 0
	v_mov_b32_e32 v61, 0
	s_and_saveexec_b64 s[12:13], vcc
	s_cbranch_execz .LBB936_551
; %bb.546:                              ;   in Loop: Header=BB936_215 Depth=1
	v_lshrrev_b32_e32 v44, 24, v42
	v_cmp_ne_u32_e32 vcc, s9, v44
	v_mov_b32_e32 v61, 0xffff8000
	s_and_saveexec_b64 s[14:15], vcc
	s_cbranch_execz .LBB936_550
; %bb.547:                              ;   in Loop: Header=BB936_215 Depth=1
	v_bfe_u32 v42, v42, 24, 7
	v_cmp_ne_u32_e32 vcc, s21, v42
	v_mov_b32_e32 v61, 0x7f80
	s_and_saveexec_b64 s[16:17], vcc
	s_cbranch_execz .LBB936_549
; %bb.548:                              ;   in Loop: Header=BB936_215 Depth=1
	v_and_b32_e32 v61, 7, v44
	v_ffbh_u32_e32 v62, v61
	v_min_u32_e32 v65, 32, v62
	v_subrev_u32_e32 v62, 28, v65
	v_lshlrev_b64 v[62:63], v62, v[44:45]
	v_lshrrev_b32_e32 v64, 3, v42
	v_sub_u32_e32 v63, 29, v65
	v_and_b32_e32 v62, 7, v62
	v_cmp_gt_u32_e32 vcc, 8, v42
	v_cndmask_b32_e32 v42, v64, v63, vcc
	v_cndmask_b32_e32 v61, v61, v62, vcc
	v_lshlrev_b32_e32 v44, 24, v44
	v_lshlrev_b32_e32 v61, 20, v61
	v_and_b32_e32 v44, 0x80000000, v44
	v_lshl_add_u32 v42, v42, 23, v55
	v_or3_b32 v42, v44, v42, v61
	v_lshrrev_b32_e32 v61, 16, v42
.LBB936_549:                            ;   in Loop: Header=BB936_215 Depth=1
	s_or_b64 exec, exec, s[16:17]
.LBB936_550:                            ;   in Loop: Header=BB936_215 Depth=1
	s_or_b64 exec, exec, s[14:15]
.LBB936_551:                            ;   in Loop: Header=BB936_215 Depth=1
	s_or_b64 exec, exec, s[12:13]
	v_perm_b32 v63, v58, v56, s23
	v_perm_b32 v62, v50, v51, s23
	;; [unrolled: 1-line block ×4, first 2 shown]
	s_waitcnt vmcnt(1)
	v_cmp_ne_u16_sdwa s[14:15], v40, v54 src0_sel:BYTE_0 src1_sel:DWORD
	v_mfma_f32_16x16x16bf16_1k v[34:37], v[62:63], v[26:27], v[34:37]
	v_mfma_f32_16x16x16bf16_1k v[34:37], v[50:51], v[28:29], v[34:37]
	s_and_saveexec_b64 s[12:13], s[14:15]
	s_cbranch_execz .LBB936_557
; %bb.552:                              ;   in Loop: Header=BB936_215 Depth=1
	v_cmp_ne_u16_sdwa s[16:17], v40, s9 src0_sel:BYTE_0 src1_sel:DWORD
	v_mov_b32_e32 v46, 0xffff8000
	s_and_saveexec_b64 s[14:15], s[16:17]
	s_cbranch_execz .LBB936_556
; %bb.553:                              ;   in Loop: Header=BB936_215 Depth=1
	v_and_b32_e32 v42, 0x7f, v40
	v_cmp_ne_u32_e32 vcc, s21, v42
	v_mov_b32_e32 v46, 0x7f80
	s_and_saveexec_b64 s[16:17], vcc
	s_cbranch_execz .LBB936_555
; %bb.554:                              ;   in Loop: Header=BB936_215 Depth=1
	v_and_b32_e32 v44, 7, v40
	v_ffbh_u32_e32 v50, v44
	v_min_u32_e32 v56, 32, v50
	v_subrev_u32_e32 v50, 28, v56
	v_lshlrev_b64 v[50:51], v50, v[40:41]
	v_lshrrev_b32_e32 v46, 3, v42
	v_sub_u32_e32 v51, 29, v56
	v_and_b32_e32 v50, 7, v50
	v_cmp_gt_u32_e32 vcc, 8, v42
	v_cndmask_b32_e32 v42, v46, v51, vcc
	v_cndmask_b32_e32 v44, v44, v50, vcc
	v_lshlrev_b32_e32 v46, 24, v40
	v_lshlrev_b32_e32 v44, 20, v44
	v_and_b32_e32 v46, 0x80000000, v46
	v_lshl_add_u32 v42, v42, 23, v55
	v_or3_b32 v42, v46, v42, v44
	v_lshrrev_b32_e32 v46, 16, v42
.LBB936_555:                            ;   in Loop: Header=BB936_215 Depth=1
	s_or_b64 exec, exec, s[16:17]
.LBB936_556:                            ;   in Loop: Header=BB936_215 Depth=1
	s_or_b64 exec, exec, s[14:15]
.LBB936_557:                            ;   in Loop: Header=BB936_215 Depth=1
	s_or_b64 exec, exec, s[12:13]
	v_lshrrev_b16_e32 v42, 8, v40
	v_cmp_ne_u16_e32 vcc, 0, v42
	v_mov_b32_e32 v50, 0
	v_mov_b32_e32 v44, 0
	s_and_saveexec_b64 s[12:13], vcc
	s_cbranch_execz .LBB936_563
; %bb.558:                              ;   in Loop: Header=BB936_215 Depth=1
	v_cmp_ne_u16_e32 vcc, s9, v42
	v_mov_b32_e32 v44, 0xffff8000
	s_and_saveexec_b64 s[14:15], vcc
	s_cbranch_execz .LBB936_562
; %bb.559:                              ;   in Loop: Header=BB936_215 Depth=1
	v_and_b32_e32 v51, 0x7f, v42
	v_cmp_ne_u32_e32 vcc, s21, v51
	v_mov_b32_e32 v44, 0x7f80
	s_and_saveexec_b64 s[16:17], vcc
	s_cbranch_execz .LBB936_561
; %bb.560:                              ;   in Loop: Header=BB936_215 Depth=1
	v_and_b32_e32 v44, 7, v42
	v_ffbh_u32_e32 v56, v44
	v_min_u32_e32 v59, 32, v56
	v_subrev_u32_e32 v56, 28, v59
	v_lshlrev_b64 v[56:57], v56, v[42:43]
	v_lshrrev_b32_e32 v58, 3, v51
	v_sub_u32_e32 v42, 29, v59
	v_and_b32_e32 v56, 7, v56
	v_cmp_gt_u32_e32 vcc, 8, v51
	v_cndmask_b32_e32 v42, v58, v42, vcc
	v_cndmask_b32_e32 v44, v44, v56, vcc
	v_lshlrev_b32_e32 v51, 16, v40
	v_lshlrev_b32_e32 v44, 20, v44
	v_and_b32_e32 v51, 0x80000000, v51
	v_lshl_add_u32 v42, v42, 23, v55
	v_or3_b32 v42, v51, v42, v44
	v_lshrrev_b32_e32 v44, 16, v42
.LBB936_561:                            ;   in Loop: Header=BB936_215 Depth=1
	s_or_b64 exec, exec, s[16:17]
.LBB936_562:                            ;   in Loop: Header=BB936_215 Depth=1
	s_or_b64 exec, exec, s[14:15]
.LBB936_563:                            ;   in Loop: Header=BB936_215 Depth=1
	s_or_b64 exec, exec, s[12:13]
	v_lshrrev_b32_e32 v42, 16, v40
	v_cmp_ne_u16_sdwa s[14:15], v42, v54 src0_sel:BYTE_0 src1_sel:DWORD
	s_and_saveexec_b64 s[12:13], s[14:15]
	s_cbranch_execz .LBB936_569
; %bb.564:                              ;   in Loop: Header=BB936_215 Depth=1
	v_cmp_ne_u16_sdwa s[16:17], v42, s9 src0_sel:BYTE_0 src1_sel:DWORD
	v_mov_b32_e32 v50, 0xffff8000
	s_and_saveexec_b64 s[14:15], s[16:17]
	s_cbranch_execz .LBB936_568
; %bb.565:                              ;   in Loop: Header=BB936_215 Depth=1
	v_bfe_u32 v51, v40, 16, 7
	v_cmp_ne_u32_e32 vcc, s21, v51
	v_mov_b32_e32 v50, 0x7f80
	s_and_saveexec_b64 s[16:17], vcc
	s_cbranch_execz .LBB936_567
; %bb.566:                              ;   in Loop: Header=BB936_215 Depth=1
	v_and_b32_e32 v50, 7, v42
	v_ffbh_u32_e32 v56, v50
	v_min_u32_e32 v59, 32, v56
	v_subrev_u32_e32 v56, 28, v59
	v_lshlrev_b64 v[56:57], v56, v[42:43]
	v_lshrrev_b32_e32 v58, 3, v51
	v_sub_u32_e32 v57, 29, v59
	v_and_b32_e32 v56, 7, v56
	v_cmp_gt_u32_e32 vcc, 8, v51
	v_cndmask_b32_e32 v51, v58, v57, vcc
	v_cndmask_b32_e32 v50, v50, v56, vcc
	v_lshlrev_b32_e32 v42, 24, v42
	v_lshlrev_b32_e32 v50, 20, v50
	v_and_b32_e32 v42, 0x80000000, v42
	v_lshl_add_u32 v51, v51, 23, v55
	v_or3_b32 v42, v42, v51, v50
	v_lshrrev_b32_e32 v50, 16, v42
.LBB936_567:                            ;   in Loop: Header=BB936_215 Depth=1
	s_or_b64 exec, exec, s[16:17]
.LBB936_568:                            ;   in Loop: Header=BB936_215 Depth=1
	s_or_b64 exec, exec, s[14:15]
.LBB936_569:                            ;   in Loop: Header=BB936_215 Depth=1
	s_or_b64 exec, exec, s[12:13]
	v_cmp_lt_u32_e32 vcc, s22, v40
	v_mov_b32_e32 v51, 0
	v_mov_b32_e32 v56, 0
	s_and_saveexec_b64 s[12:13], vcc
	s_cbranch_execz .LBB936_575
; %bb.570:                              ;   in Loop: Header=BB936_215 Depth=1
	v_lshrrev_b32_e32 v42, 24, v40
	v_cmp_ne_u32_e32 vcc, s9, v42
	v_mov_b32_e32 v56, 0xffff8000
	s_and_saveexec_b64 s[14:15], vcc
	s_cbranch_execz .LBB936_574
; %bb.571:                              ;   in Loop: Header=BB936_215 Depth=1
	v_bfe_u32 v40, v40, 24, 7
	v_cmp_ne_u32_e32 vcc, s21, v40
	v_mov_b32_e32 v56, 0x7f80
	s_and_saveexec_b64 s[16:17], vcc
	s_cbranch_execz .LBB936_573
; %bb.572:                              ;   in Loop: Header=BB936_215 Depth=1
	v_and_b32_e32 v58, 7, v42
	v_ffbh_u32_e32 v56, v58
	v_min_u32_e32 v60, 32, v56
	v_subrev_u32_e32 v56, 28, v60
	v_lshlrev_b64 v[56:57], v56, v[42:43]
	v_lshrrev_b32_e32 v59, 3, v40
	v_sub_u32_e32 v57, 29, v60
	v_and_b32_e32 v56, 7, v56
	v_cmp_gt_u32_e32 vcc, 8, v40
	v_cndmask_b32_e32 v40, v59, v57, vcc
	v_cndmask_b32_e32 v56, v58, v56, vcc
	v_lshlrev_b32_e32 v42, 24, v42
	v_lshlrev_b32_e32 v56, 20, v56
	v_and_b32_e32 v42, 0x80000000, v42
	v_lshl_add_u32 v40, v40, 23, v55
	v_or3_b32 v40, v42, v40, v56
	v_lshrrev_b32_e32 v56, 16, v40
.LBB936_573:                            ;   in Loop: Header=BB936_215 Depth=1
	s_or_b64 exec, exec, s[16:17]
.LBB936_574:                            ;   in Loop: Header=BB936_215 Depth=1
	s_or_b64 exec, exec, s[14:15]
.LBB936_575:                            ;   in Loop: Header=BB936_215 Depth=1
	s_or_b64 exec, exec, s[12:13]
	s_waitcnt vmcnt(0)
	v_cmp_ne_u16_sdwa s[14:15], v38, v54 src0_sel:BYTE_0 src1_sel:DWORD
	s_and_saveexec_b64 s[12:13], s[14:15]
	s_cbranch_execz .LBB936_581
; %bb.576:                              ;   in Loop: Header=BB936_215 Depth=1
	v_cmp_ne_u16_sdwa s[16:17], v38, s9 src0_sel:BYTE_0 src1_sel:DWORD
	v_mov_b32_e32 v51, 0xffff8000
	s_and_saveexec_b64 s[14:15], s[16:17]
	s_cbranch_execz .LBB936_580
; %bb.577:                              ;   in Loop: Header=BB936_215 Depth=1
	v_and_b32_e32 v40, 0x7f, v38
	v_cmp_ne_u32_e32 vcc, s21, v40
	v_mov_b32_e32 v51, 0x7f80
	s_and_saveexec_b64 s[16:17], vcc
	s_cbranch_execz .LBB936_579
; %bb.578:                              ;   in Loop: Header=BB936_215 Depth=1
	v_and_b32_e32 v42, 7, v38
	v_ffbh_u32_e32 v57, v42
	v_min_u32_e32 v57, 32, v57
	v_subrev_u32_e32 v58, 28, v57
	v_lshlrev_b64 v[58:59], v58, v[38:39]
	v_lshrrev_b32_e32 v51, 3, v40
	v_sub_u32_e32 v57, 29, v57
	v_and_b32_e32 v58, 7, v58
	v_cmp_gt_u32_e32 vcc, 8, v40
	v_cndmask_b32_e32 v40, v51, v57, vcc
	v_cndmask_b32_e32 v42, v42, v58, vcc
	v_lshlrev_b32_e32 v51, 24, v38
	v_lshlrev_b32_e32 v42, 20, v42
	v_and_b32_e32 v51, 0x80000000, v51
	v_lshl_add_u32 v40, v40, 23, v55
	v_or3_b32 v40, v51, v40, v42
	v_lshrrev_b32_e32 v51, 16, v40
.LBB936_579:                            ;   in Loop: Header=BB936_215 Depth=1
	s_or_b64 exec, exec, s[16:17]
.LBB936_580:                            ;   in Loop: Header=BB936_215 Depth=1
	s_or_b64 exec, exec, s[14:15]
.LBB936_581:                            ;   in Loop: Header=BB936_215 Depth=1
	s_or_b64 exec, exec, s[12:13]
	v_lshrrev_b16_e32 v40, 8, v38
	v_cmp_ne_u16_e32 vcc, 0, v40
	v_mov_b32_e32 v57, 0
	v_mov_b32_e32 v42, 0
	s_and_saveexec_b64 s[12:13], vcc
	s_cbranch_execz .LBB936_587
; %bb.582:                              ;   in Loop: Header=BB936_215 Depth=1
	v_cmp_ne_u16_e32 vcc, s9, v40
	v_mov_b32_e32 v42, 0xffff8000
	s_and_saveexec_b64 s[14:15], vcc
	s_cbranch_execz .LBB936_586
; %bb.583:                              ;   in Loop: Header=BB936_215 Depth=1
	v_and_b32_e32 v58, 0x7f, v40
	v_cmp_ne_u32_e32 vcc, s21, v58
	v_mov_b32_e32 v42, 0x7f80
	s_and_saveexec_b64 s[16:17], vcc
	s_cbranch_execz .LBB936_585
; %bb.584:                              ;   in Loop: Header=BB936_215 Depth=1
	v_and_b32_e32 v42, 7, v40
	v_ffbh_u32_e32 v60, v42
	v_min_u32_e32 v62, 32, v60
	v_subrev_u32_e32 v60, 28, v62
	v_lshlrev_b64 v[60:61], v60, v[40:41]
	v_lshrrev_b32_e32 v59, 3, v58
	v_sub_u32_e32 v40, 29, v62
	v_and_b32_e32 v60, 7, v60
	v_cmp_gt_u32_e32 vcc, 8, v58
	v_cndmask_b32_e32 v40, v59, v40, vcc
	v_cndmask_b32_e32 v42, v42, v60, vcc
	v_lshlrev_b32_e32 v58, 16, v38
	v_lshlrev_b32_e32 v42, 20, v42
	v_and_b32_e32 v58, 0x80000000, v58
	v_lshl_add_u32 v40, v40, 23, v55
	v_or3_b32 v40, v58, v40, v42
	v_lshrrev_b32_e32 v42, 16, v40
.LBB936_585:                            ;   in Loop: Header=BB936_215 Depth=1
	s_or_b64 exec, exec, s[16:17]
.LBB936_586:                            ;   in Loop: Header=BB936_215 Depth=1
	s_or_b64 exec, exec, s[14:15]
.LBB936_587:                            ;   in Loop: Header=BB936_215 Depth=1
	s_or_b64 exec, exec, s[12:13]
	v_lshrrev_b32_e32 v40, 16, v38
	v_cmp_ne_u16_sdwa s[14:15], v40, v54 src0_sel:BYTE_0 src1_sel:DWORD
	s_and_saveexec_b64 s[12:13], s[14:15]
	s_cbranch_execz .LBB936_593
; %bb.588:                              ;   in Loop: Header=BB936_215 Depth=1
	v_cmp_ne_u16_sdwa s[16:17], v40, s9 src0_sel:BYTE_0 src1_sel:DWORD
	v_mov_b32_e32 v57, 0xffff8000
	s_and_saveexec_b64 s[14:15], s[16:17]
	s_cbranch_execz .LBB936_592
; %bb.589:                              ;   in Loop: Header=BB936_215 Depth=1
	v_bfe_u32 v58, v38, 16, 7
	v_cmp_ne_u32_e32 vcc, s21, v58
	v_mov_b32_e32 v57, 0x7f80
	s_and_saveexec_b64 s[16:17], vcc
	s_cbranch_execz .LBB936_591
; %bb.590:                              ;   in Loop: Header=BB936_215 Depth=1
	v_and_b32_e32 v57, 7, v40
	v_ffbh_u32_e32 v60, v57
	v_min_u32_e32 v62, 32, v60
	v_subrev_u32_e32 v60, 28, v62
	v_lshlrev_b64 v[60:61], v60, v[40:41]
	v_lshrrev_b32_e32 v59, 3, v58
	v_sub_u32_e32 v61, 29, v62
	v_and_b32_e32 v60, 7, v60
	v_cmp_gt_u32_e32 vcc, 8, v58
	v_cndmask_b32_e32 v58, v59, v61, vcc
	v_cndmask_b32_e32 v57, v57, v60, vcc
	v_lshlrev_b32_e32 v40, 24, v40
	v_lshlrev_b32_e32 v57, 20, v57
	v_and_b32_e32 v40, 0x80000000, v40
	v_lshl_add_u32 v58, v58, 23, v55
	v_or3_b32 v40, v40, v58, v57
	v_lshrrev_b32_e32 v57, 16, v40
.LBB936_591:                            ;   in Loop: Header=BB936_215 Depth=1
	s_or_b64 exec, exec, s[16:17]
.LBB936_592:                            ;   in Loop: Header=BB936_215 Depth=1
	s_or_b64 exec, exec, s[14:15]
.LBB936_593:                            ;   in Loop: Header=BB936_215 Depth=1
	s_or_b64 exec, exec, s[12:13]
	v_cmp_lt_u32_e32 vcc, s22, v38
	v_mov_b32_e32 v58, 0
	s_and_saveexec_b64 s[12:13], vcc
	s_cbranch_execz .LBB936_214
; %bb.594:                              ;   in Loop: Header=BB936_215 Depth=1
	v_lshrrev_b32_e32 v40, 24, v38
	v_cmp_ne_u32_e32 vcc, s9, v40
	v_mov_b32_e32 v58, 0xffff8000
	s_and_saveexec_b64 s[14:15], vcc
	s_cbranch_execz .LBB936_213
; %bb.595:                              ;   in Loop: Header=BB936_215 Depth=1
	v_bfe_u32 v38, v38, 24, 7
	v_cmp_ne_u32_e32 vcc, s21, v38
	v_mov_b32_e32 v58, 0x7f80
	s_and_saveexec_b64 s[16:17], vcc
	s_cbranch_execz .LBB936_212
; %bb.596:                              ;   in Loop: Header=BB936_215 Depth=1
	v_and_b32_e32 v60, 7, v40
	v_ffbh_u32_e32 v58, v60
	v_min_u32_e32 v62, 32, v58
	v_subrev_u32_e32 v58, 28, v62
	v_lshlrev_b64 v[58:59], v58, v[40:41]
	v_lshrrev_b32_e32 v61, 3, v38
	v_sub_u32_e32 v59, 29, v62
	v_and_b32_e32 v58, 7, v58
	v_cmp_gt_u32_e32 vcc, 8, v38
	v_cndmask_b32_e32 v38, v61, v59, vcc
	v_cndmask_b32_e32 v58, v60, v58, vcc
	v_lshlrev_b32_e32 v40, 24, v40
	v_lshlrev_b32_e32 v58, 20, v58
	v_and_b32_e32 v40, 0x80000000, v40
	v_lshl_add_u32 v38, v38, 23, v55
	v_or3_b32 v38, v40, v38, v58
	v_lshrrev_b32_e32 v58, 16, v38
	s_branch .LBB936_212
.LBB936_597:
	s_barrier
	buffer_load_dword v2, off, s[0:3], 0 offset:320
	buffer_load_dword v5, off, s[0:3], 0 offset:332
	;; [unrolled: 1-line block ×4, first 2 shown]
	v_cmp_gt_u32_e32 vcc, 64, v0
	s_waitcnt vmcnt(0)
	ds_write2st64_b64 v52, v[2:3], v[4:5] offset1:1
	s_waitcnt lgkmcnt(0)
	s_barrier
	s_and_saveexec_b64 s[4:5], vcc
	s_cbranch_execz .LBB936_600
; %bb.598:
	s_lshl_b32 s4, s48, 7
	s_mul_i32 s5, s18, s8
	s_mul_hi_u32 s9, s5, s4
	s_mul_i32 s8, s5, s4
	s_lshl_b64 s[8:9], s[8:9], 1
	v_lshlrev_b32_e32 v4, 6, v41
	s_add_u32 s5, s50, s8
	v_lshl_or_b32 v0, v0, 10, v4
	s_mov_b32 s7, 0
	s_addc_u32 s8, s51, s9
	s_lshl_b32 s6, s26, 7
	v_lshlrev_b32_e32 v2, 5, v1
	v_and_b32_e32 v3, 16, v43
	v_and_b32_e32 v0, 0x1a00, v0
	s_lshl_b64 s[6:7], s[6:7], 1
	v_or3_b32 v0, v0, v2, v3
	s_add_u32 s5, s5, s6
	s_addc_u32 s6, s8, s7
	ds_read_b128 v[4:7], v0 offset:128
	ds_read_b128 v[8:11], v0
	v_add_u32_e32 v14, s27, v1
	v_mov_b32_e32 v3, s6
	v_add_co_u32_e32 v2, vcc, s5, v39
	v_mad_u64_u32 v[12:13], s[6:7], v14, s4, 0
	v_addc_co_u32_e32 v3, vcc, 0, v3, vcc
	v_lshlrev_b64 v[12:13], 1, v[12:13]
	v_add_co_u32_e32 v12, vcc, v2, v12
	v_addc_co_u32_e32 v13, vcc, v3, v13, vcc
	s_waitcnt lgkmcnt(0)
	global_store_dwordx4 v[12:13], v[8:11], off
	s_nop 0
	v_add_u32_e32 v8, 4, v14
	v_mad_u64_u32 v[8:9], s[6:7], v8, s4, 0
	v_lshlrev_b64 v[8:9], 1, v[8:9]
	v_add_co_u32_e32 v8, vcc, v2, v8
	v_addc_co_u32_e32 v9, vcc, v3, v9, vcc
	v_cmp_ne_u32_e32 vcc, 3, v1
	global_store_dwordx4 v[8:9], v[4:7], off
	s_and_b64 exec, exec, vcc
	s_cbranch_execz .LBB936_600
; %bb.599:
	ds_read_b128 v[4:7], v0 offset:256
	v_add3_u32 v0, s27, v1, 8
	v_mad_u64_u32 v[0:1], s[4:5], v0, s4, 0
	v_lshlrev_b64 v[0:1], 1, v[0:1]
	v_add_co_u32_e32 v0, vcc, v2, v0
	v_addc_co_u32_e32 v1, vcc, v3, v1, vcc
	s_waitcnt lgkmcnt(0)
	global_store_dwordx4 v[0:1], v[4:7], off
.LBB936_600:
	s_endpgm
	.section	.rodata,"a",@progbits
	.p2align	6, 0x0
	.amdhsa_kernel _Z39paged_attention_ll4mi_QKV_mfma16_kernelI14__hip_bfloat16hLN4vllm18Fp8KVCacheDataTypeE1ES0_Li32ELi128ELi256ELb1ELi11EL8MFMAType0EEvPKT_PKT0_S9_ifPKiSB_SB_iPKfiiiPfSE_PS4_PT2_iSD_SD_
		.amdhsa_group_segment_fixed_size 8192
		.amdhsa_private_segment_fixed_size 352
		.amdhsa_kernarg_size 400
		.amdhsa_user_sgpr_count 8
		.amdhsa_user_sgpr_private_segment_buffer 1
		.amdhsa_user_sgpr_dispatch_ptr 0
		.amdhsa_user_sgpr_queue_ptr 0
		.amdhsa_user_sgpr_kernarg_segment_ptr 1
		.amdhsa_user_sgpr_dispatch_id 0
		.amdhsa_user_sgpr_flat_scratch_init 1
		.amdhsa_user_sgpr_kernarg_preload_length 0
		.amdhsa_user_sgpr_kernarg_preload_offset 0
		.amdhsa_user_sgpr_private_segment_size 0
		.amdhsa_uses_dynamic_stack 0
		.amdhsa_system_sgpr_private_segment_wavefront_offset 1
		.amdhsa_system_sgpr_workgroup_id_x 1
		.amdhsa_system_sgpr_workgroup_id_y 1
		.amdhsa_system_sgpr_workgroup_id_z 1
		.amdhsa_system_sgpr_workgroup_info 0
		.amdhsa_system_vgpr_workitem_id 0
		.amdhsa_next_free_vgpr 80
		.amdhsa_next_free_sgpr 53
		.amdhsa_accum_offset 80
		.amdhsa_reserve_vcc 1
		.amdhsa_reserve_flat_scratch 0
		.amdhsa_float_round_mode_32 0
		.amdhsa_float_round_mode_16_64 0
		.amdhsa_float_denorm_mode_32 3
		.amdhsa_float_denorm_mode_16_64 3
		.amdhsa_dx10_clamp 1
		.amdhsa_ieee_mode 1
		.amdhsa_fp16_overflow 0
		.amdhsa_tg_split 0
		.amdhsa_exception_fp_ieee_invalid_op 0
		.amdhsa_exception_fp_denorm_src 0
		.amdhsa_exception_fp_ieee_div_zero 0
		.amdhsa_exception_fp_ieee_overflow 0
		.amdhsa_exception_fp_ieee_underflow 0
		.amdhsa_exception_fp_ieee_inexact 0
		.amdhsa_exception_int_div_zero 0
	.end_amdhsa_kernel
	.section	.text._Z39paged_attention_ll4mi_QKV_mfma16_kernelI14__hip_bfloat16hLN4vllm18Fp8KVCacheDataTypeE1ES0_Li32ELi128ELi256ELb1ELi11EL8MFMAType0EEvPKT_PKT0_S9_ifPKiSB_SB_iPKfiiiPfSE_PS4_PT2_iSD_SD_,"axG",@progbits,_Z39paged_attention_ll4mi_QKV_mfma16_kernelI14__hip_bfloat16hLN4vllm18Fp8KVCacheDataTypeE1ES0_Li32ELi128ELi256ELb1ELi11EL8MFMAType0EEvPKT_PKT0_S9_ifPKiSB_SB_iPKfiiiPfSE_PS4_PT2_iSD_SD_,comdat
.Lfunc_end936:
	.size	_Z39paged_attention_ll4mi_QKV_mfma16_kernelI14__hip_bfloat16hLN4vllm18Fp8KVCacheDataTypeE1ES0_Li32ELi128ELi256ELb1ELi11EL8MFMAType0EEvPKT_PKT0_S9_ifPKiSB_SB_iPKfiiiPfSE_PS4_PT2_iSD_SD_, .Lfunc_end936-_Z39paged_attention_ll4mi_QKV_mfma16_kernelI14__hip_bfloat16hLN4vllm18Fp8KVCacheDataTypeE1ES0_Li32ELi128ELi256ELb1ELi11EL8MFMAType0EEvPKT_PKT0_S9_ifPKiSB_SB_iPKfiiiPfSE_PS4_PT2_iSD_SD_
                                        ; -- End function
	.section	.AMDGPU.csdata,"",@progbits
; Kernel info:
; codeLenInByte = 22564
; NumSgprs: 57
; NumVgprs: 80
; NumAgprs: 0
; TotalNumVgprs: 80
; ScratchSize: 352
; MemoryBound: 0
; FloatMode: 240
; IeeeMode: 1
; LDSByteSize: 8192 bytes/workgroup (compile time only)
; SGPRBlocks: 7
; VGPRBlocks: 9
; NumSGPRsForWavesPerEU: 57
; NumVGPRsForWavesPerEU: 80
; AccumOffset: 80
; Occupancy: 6
; WaveLimiterHint : 1
; COMPUTE_PGM_RSRC2:SCRATCH_EN: 1
; COMPUTE_PGM_RSRC2:USER_SGPR: 8
; COMPUTE_PGM_RSRC2:TRAP_HANDLER: 0
; COMPUTE_PGM_RSRC2:TGID_X_EN: 1
; COMPUTE_PGM_RSRC2:TGID_Y_EN: 1
; COMPUTE_PGM_RSRC2:TGID_Z_EN: 1
; COMPUTE_PGM_RSRC2:TIDIG_COMP_CNT: 0
; COMPUTE_PGM_RSRC3_GFX90A:ACCUM_OFFSET: 19
; COMPUTE_PGM_RSRC3_GFX90A:TG_SPLIT: 0
	.section	.text._Z39paged_attention_ll4mi_QKV_mfma16_kernelI14__hip_bfloat16hLN4vllm18Fp8KVCacheDataTypeE1ES0_Li32ELi128ELi256ELb1ELi12EL8MFMAType0EEvPKT_PKT0_S9_ifPKiSB_SB_iPKfiiiPfSE_PS4_PT2_iSD_SD_,"axG",@progbits,_Z39paged_attention_ll4mi_QKV_mfma16_kernelI14__hip_bfloat16hLN4vllm18Fp8KVCacheDataTypeE1ES0_Li32ELi128ELi256ELb1ELi12EL8MFMAType0EEvPKT_PKT0_S9_ifPKiSB_SB_iPKfiiiPfSE_PS4_PT2_iSD_SD_,comdat
	.protected	_Z39paged_attention_ll4mi_QKV_mfma16_kernelI14__hip_bfloat16hLN4vllm18Fp8KVCacheDataTypeE1ES0_Li32ELi128ELi256ELb1ELi12EL8MFMAType0EEvPKT_PKT0_S9_ifPKiSB_SB_iPKfiiiPfSE_PS4_PT2_iSD_SD_ ; -- Begin function _Z39paged_attention_ll4mi_QKV_mfma16_kernelI14__hip_bfloat16hLN4vllm18Fp8KVCacheDataTypeE1ES0_Li32ELi128ELi256ELb1ELi12EL8MFMAType0EEvPKT_PKT0_S9_ifPKiSB_SB_iPKfiiiPfSE_PS4_PT2_iSD_SD_
	.globl	_Z39paged_attention_ll4mi_QKV_mfma16_kernelI14__hip_bfloat16hLN4vllm18Fp8KVCacheDataTypeE1ES0_Li32ELi128ELi256ELb1ELi12EL8MFMAType0EEvPKT_PKT0_S9_ifPKiSB_SB_iPKfiiiPfSE_PS4_PT2_iSD_SD_
	.p2align	8
	.type	_Z39paged_attention_ll4mi_QKV_mfma16_kernelI14__hip_bfloat16hLN4vllm18Fp8KVCacheDataTypeE1ES0_Li32ELi128ELi256ELb1ELi12EL8MFMAType0EEvPKT_PKT0_S9_ifPKiSB_SB_iPKfiiiPfSE_PS4_PT2_iSD_SD_,@function
_Z39paged_attention_ll4mi_QKV_mfma16_kernelI14__hip_bfloat16hLN4vllm18Fp8KVCacheDataTypeE1ES0_Li32ELi128ELi256ELb1ELi12EL8MFMAType0EEvPKT_PKT0_S9_ifPKiSB_SB_iPKfiiiPfSE_PS4_PT2_iSD_SD_: ; @_Z39paged_attention_ll4mi_QKV_mfma16_kernelI14__hip_bfloat16hLN4vllm18Fp8KVCacheDataTypeE1ES0_Li32ELi128ELi256ELb1ELi12EL8MFMAType0EEvPKT_PKT0_S9_ifPKiSB_SB_iPKfiiiPfSE_PS4_PT2_iSD_SD_
; %bb.0:
	s_load_dwordx2 s[6:7], s[4:5], 0x30
	s_add_u32 s0, s0, s11
	s_addc_u32 s1, s1, 0
	s_mov_b32 s26, s9
	s_mov_b64 s[14:15], 0
	s_waitcnt lgkmcnt(0)
	s_cmp_lg_u64 s[6:7], 0
	s_cselect_b64 s[12:13], -1, 0
	s_and_b64 vcc, exec, s[12:13]
	s_cbranch_vccz .LBB937_7
; %bb.1:
	s_add_i32 s16, s8, 1
	s_mov_b32 s17, 0
	s_lshl_b64 s[18:19], s[16:17], 2
	s_add_u32 s18, s6, s18
	s_mov_b32 s9, s17
	s_addc_u32 s19, s7, s19
	s_lshl_b64 s[16:17], s[8:9], 2
	s_add_u32 s16, s6, s16
	s_addc_u32 s17, s7, s17
	s_load_dword s11, s[18:19], 0x0
	s_load_dword s20, s[16:17], 0x0
	s_waitcnt lgkmcnt(0)
	s_sub_i32 s11, s11, s20
	s_cmp_eq_u32 s11, 1
	s_cselect_b64 s[16:17], -1, 0
	s_andn2_b64 vcc, exec, s[14:15]
	s_cbranch_vccnz .LBB937_3
.LBB937_2:
	s_mov_b32 s9, 0
	s_mov_b64 s[16:17], -1
.LBB937_3:
	s_andn2_b64 vcc, exec, s[16:17]
	s_cbranch_vccnz .LBB937_599
; %bb.4:
	s_load_dwordx2 s[16:17], s[4:5], 0x28
	s_lshl_b64 s[14:15], s[8:9], 2
	s_waitcnt lgkmcnt(0)
	s_add_u32 s16, s16, s14
	s_addc_u32 s17, s17, s15
	s_load_dword s33, s[16:17], 0x0
	s_lshl_b32 s20, s26, 8
	s_waitcnt lgkmcnt(0)
	s_cmp_ge_i32 s20, s33
	s_cbranch_scc1 .LBB937_599
; %bb.5:
	s_add_i32 s18, s33, 31
	s_load_dwordx2 s[16:17], s[4:5], 0x20
	s_load_dword s11, s[4:5], 0x38
	s_ashr_i32 s19, s18, 31
	v_and_b32_e32 v1, 0xcf, v0
	s_lshr_b32 s19, s19, 27
	v_add_u32_e32 v1, s20, v1
	s_add_i32 s18, s18, s19
	v_ashrrev_i32_e32 v2, 31, v1
	s_ashr_i32 s23, s18, 5
	v_lshrrev_b32_e32 v4, 27, v2
	s_add_i32 s23, s23, -1
	v_add_u32_e32 v2, v1, v4
	s_waitcnt lgkmcnt(0)
	s_mul_i32 s18, s8, s11
	s_mov_b32 s19, 0
	v_ashrrev_i32_e32 v2, 5, v2
	v_mov_b32_e32 v5, s23
	v_cmp_gt_i32_e32 vcc, s33, v1
	s_lshl_b64 s[18:19], s[18:19], 2
	v_cndmask_b32_e32 v2, v5, v2, vcc
	s_add_u32 s21, s16, s18
	v_ashrrev_i32_e32 v3, 31, v2
	s_addc_u32 s22, s17, s19
	v_lshlrev_b64 v[2:3], 2, v[2:3]
	v_mov_b32_e32 v7, s22
	v_add_co_u32_e32 v6, vcc, s21, v2
	v_or_b32_e32 v2, 16, v1
	v_addc_co_u32_e32 v7, vcc, v7, v3, vcc
	v_add_u32_e32 v3, v2, v4
	v_ashrrev_i32_e32 v3, 5, v3
	v_cmp_gt_i32_e32 vcc, s33, v2
	v_cndmask_b32_e32 v2, v5, v3, vcc
	v_ashrrev_i32_e32 v3, 31, v2
	v_lshlrev_b64 v[2:3], 2, v[2:3]
	v_mov_b32_e32 v9, s22
	v_add_co_u32_e32 v8, vcc, s21, v2
	v_or_b32_e32 v2, 32, v1
	v_addc_co_u32_e32 v9, vcc, v9, v3, vcc
	v_add_u32_e32 v3, v2, v4
	v_ashrrev_i32_e32 v3, 5, v3
	v_cmp_gt_i32_e32 vcc, s33, v2
	v_cndmask_b32_e32 v2, v5, v3, vcc
	v_ashrrev_i32_e32 v3, 31, v2
	;; [unrolled: 10-line block ×3, first 2 shown]
	v_lshlrev_b64 v[2:3], 2, v[2:3]
	v_mov_b32_e32 v1, s22
	v_add_co_u32_e32 v12, vcc, s21, v2
	v_addc_co_u32_e32 v13, vcc, v1, v3, vcc
	global_load_dword v5, v[6:7], off
	global_load_dword v4, v[8:9], off
	;; [unrolled: 1-line block ×4, first 2 shown]
	s_load_dwordx2 s[16:17], s[4:5], 0x8
	s_andn2_b64 vcc, exec, s[12:13]
	s_cbranch_vccnz .LBB937_8
; %bb.6:
	s_add_u32 s6, s6, s14
	s_addc_u32 s7, s7, s15
	s_load_dword s11, s[6:7], 0x0
	s_branch .LBB937_9
.LBB937_7:
	s_mov_b64 s[16:17], 0
	s_branch .LBB937_2
.LBB937_8:
	s_mov_b32 s11, s8
.LBB937_9:
	s_load_dwordx2 s[6:7], s[4:5], 0x10
	s_load_dwordx4 s[12:15], s[4:5], 0x48
	v_and_b32_e32 v41, 15, v0
	v_lshlrev_b32_e32 v6, 3, v41
	s_waitcnt lgkmcnt(0)
	s_movk_i32 s15, 0xc0
	v_lshrrev_b32_e32 v27, 6, v0
	v_bfe_u32 v1, v0, 4, 2
	s_mul_i32 s27, s10, 12
	v_cmp_gt_u32_e32 vcc, s15, v0
	v_lshlrev_b32_e32 v39, 1, v6
	v_lshlrev_b32_e32 v43, 4, v0
	s_and_saveexec_b64 s[18:19], vcc
	s_cbranch_execz .LBB937_11
; %bb.10:
	s_load_dwordx2 s[24:25], s[4:5], 0x0
	s_ashr_i32 s15, s12, 31
	s_mul_hi_u32 s28, s11, s12
	s_mul_i32 s15, s11, s15
	v_lshl_or_b32 v10, v27, 2, v1
	s_add_i32 s29, s28, s15
	s_mul_i32 s28, s11, s12
	s_lshl_b64 s[28:29], s[28:29], 1
	v_add_lshl_u32 v6, v10, s27, 7
	s_waitcnt lgkmcnt(0)
	s_add_u32 s11, s24, s28
	v_ashrrev_i32_e32 v7, 31, v6
	s_addc_u32 s12, s25, s29
	v_lshlrev_b64 v[6:7], 1, v[6:7]
	v_mov_b32_e32 v8, s12
	v_add_co_u32_e32 v6, vcc, s11, v6
	v_addc_co_u32_e32 v7, vcc, v8, v7, vcc
	v_add_co_u32_e32 v6, vcc, v6, v39
	v_addc_co_u32_e32 v7, vcc, 0, v7, vcc
	global_load_dwordx4 v[6:9], v[6:7], off
	v_lshlrev_b32_e32 v12, 8, v0
	v_lshlrev_b32_e32 v11, 8, v41
	v_and_b32_e32 v12, 0x600, v12
	s_movk_i32 s11, 0x800
	v_and_or_b32 v11, v11, s11, v12
	v_lshlrev_b32_e32 v10, 5, v10
	v_and_b32_e32 v12, 16, v43
	v_or3_b32 v10, v11, v10, v12
	s_waitcnt vmcnt(0)
	ds_write_b128 v10, v[6:9]
.LBB937_11:
	s_or_b64 exec, exec, s[18:19]
	s_mul_i32 s14, s10, s14
	s_add_u32 s10, s16, s14
	s_addc_u32 s11, s17, 0
	v_pk_mov_b32 v[6:7], s[10:11], s[10:11] op_sel:[0,1]
	s_waitcnt vmcnt(3)
	v_mad_i64_i32 v[8:9], s[10:11], v5, s13, v[6:7]
	v_lshlrev_b32_e32 v11, 4, v41
	v_and_b32_e32 v18, 48, v0
	v_add_co_u32_e32 v5, vcc, v8, v11
	v_lshlrev_b32_e32 v10, 5, v18
	v_addc_co_u32_e32 v9, vcc, 0, v9, vcc
	v_add_co_u32_e32 v8, vcc, v5, v10
	v_addc_co_u32_e32 v9, vcc, 0, v9, vcc
	s_load_dwordx2 s[48:49], s[4:5], 0x94
	s_waitcnt lgkmcnt(0)
	s_barrier
	global_load_dwordx4 v[20:23], v[8:9], off
	global_load_dwordx4 v[28:31], v[8:9], off offset:2048
	s_waitcnt vmcnt(4)
	v_mad_i64_i32 v[4:5], s[10:11], v4, s13, v[6:7]
	v_or_b32_e32 v8, 0x100, v11
	v_add_co_u32_e32 v4, vcc, v4, v8
	v_addc_co_u32_e32 v5, vcc, 0, v5, vcc
	v_add_co_u32_e32 v4, vcc, v4, v10
	v_addc_co_u32_e32 v5, vcc, 0, v5, vcc
	global_load_dwordx4 v[32:35], v[4:5], off
	global_load_dwordx4 v[44:47], v[4:5], off offset:2048
	s_waitcnt vmcnt(5)
	v_mad_i64_i32 v[4:5], s[10:11], v3, s13, v[6:7]
	v_add_co_u32_e32 v3, vcc, v4, v11
	v_addc_co_u32_e32 v5, vcc, 0, v5, vcc
	v_add_co_u32_e32 v4, vcc, v3, v10
	v_addc_co_u32_e32 v5, vcc, 0, v5, vcc
	s_waitcnt vmcnt(4)
	v_mad_i64_i32 v[2:3], s[10:11], v2, s13, v[6:7]
	v_add_co_u32_e32 v2, vcc, v2, v8
	v_addc_co_u32_e32 v3, vcc, 0, v3, vcc
	v_add_co_u32_e32 v2, vcc, v2, v10
	v_addc_co_u32_e32 v3, vcc, 0, v3, vcc
	global_load_dwordx4 v[48:51], v[4:5], off
	global_load_dwordx4 v[52:55], v[4:5], off offset:2048
	global_load_dwordx4 v[56:59], v[2:3], off
	global_load_dwordx4 v[60:63], v[2:3], off offset:2048
	v_add_u32_e32 v2, -12, v41
	v_cmp_gt_u32_e32 vcc, 12, v41
	v_cndmask_b32_e32 v2, v2, v41, vcc
	v_lshlrev_b32_e32 v2, 5, v2
	v_lshl_add_u32 v14, v1, 9, v2
	s_load_dwordx2 s[50:51], s[4:5], 0x68
	s_load_dwordx4 s[44:47], s[4:5], 0x58
	ds_read_b128 v[2:5], v14
	ds_read_b128 v[6:9], v14 offset:16
	ds_read_b128 v[10:13], v14 offset:2048
	;; [unrolled: 1-line block ×3, first 2 shown]
	s_mov_b32 s12, 0
	s_waitcnt vmcnt(7)
	buffer_store_dword v23, off, s[0:3], 0 offset:12
	buffer_store_dword v22, off, s[0:3], 0 offset:8
	;; [unrolled: 1-line block ×3, first 2 shown]
	buffer_store_dword v20, off, s[0:3], 0
	s_waitcnt vmcnt(10)
	buffer_store_dword v31, off, s[0:3], 0 offset:28
	buffer_store_dword v30, off, s[0:3], 0 offset:24
	buffer_store_dword v29, off, s[0:3], 0 offset:20
	buffer_store_dword v28, off, s[0:3], 0 offset:16
	s_waitcnt vmcnt(13)
	buffer_store_dword v35, off, s[0:3], 0 offset:44
	buffer_store_dword v34, off, s[0:3], 0 offset:40
	buffer_store_dword v33, off, s[0:3], 0 offset:36
	buffer_store_dword v32, off, s[0:3], 0 offset:32
	;; [unrolled: 5-line block ×7, first 2 shown]
	v_mov_b32_e32 v35, 0
	v_mov_b32_e32 v31, 0
	s_and_saveexec_b64 s[10:11], vcc
	s_cbranch_execz .LBB937_13
; %bb.12:
	s_load_dwordx2 s[16:17], s[4:5], 0x40
	v_add_u32_e32 v20, s27, v41
	v_ashrrev_i32_e32 v21, 31, v20
	v_lshlrev_b64 v[20:21], 2, v[20:21]
	s_waitcnt lgkmcnt(0)
	v_mov_b32_e32 v19, s17
	v_add_co_u32_e32 v20, vcc, s16, v20
	v_addc_co_u32_e32 v21, vcc, v19, v21, vcc
	global_load_dword v31, v[20:21], off
.LBB937_13:
	s_or_b64 exec, exec, s[10:11]
	s_ashr_i32 s10, s20, 31
	v_or_b32_e32 v24, s20, v18
	s_lshr_b32 s10, s10, 27
	v_add_u32_e32 v18, s10, v24
	v_ashrrev_i32_e32 v18, 5, v18
	v_mov_b32_e32 v25, s23
	v_cmp_gt_i32_e32 vcc, s33, v24
	v_cndmask_b32_e32 v18, v25, v18, vcc
	v_ashrrev_i32_e32 v19, 31, v18
	v_lshlrev_b64 v[18:19], 2, v[18:19]
	v_mov_b32_e32 v20, s22
	v_add_co_u32_e32 v18, vcc, s21, v18
	v_addc_co_u32_e32 v19, vcc, v20, v19, vcc
	v_or_b32_e32 v20, 64, v24
	v_add_u32_e32 v21, s10, v20
	v_ashrrev_i32_e32 v21, 5, v21
	v_cmp_gt_i32_e32 vcc, s33, v20
	v_cndmask_b32_e32 v20, v25, v21, vcc
	v_ashrrev_i32_e32 v21, 31, v20
	v_lshlrev_b64 v[20:21], 2, v[20:21]
	v_mov_b32_e32 v22, s22
	v_add_co_u32_e32 v20, vcc, s21, v20
	v_addc_co_u32_e32 v21, vcc, v22, v21, vcc
	v_or_b32_e32 v22, 0x80, v24
	v_add_u32_e32 v23, s10, v22
	v_ashrrev_i32_e32 v23, 5, v23
	v_cmp_gt_i32_e32 vcc, s33, v22
	v_cndmask_b32_e32 v22, v25, v23, vcc
	v_ashrrev_i32_e32 v23, 31, v22
	v_lshlrev_b64 v[22:23], 2, v[22:23]
	v_mov_b32_e32 v26, s22
	v_add_co_u32_e32 v22, vcc, s21, v22
	v_addc_co_u32_e32 v23, vcc, v26, v23, vcc
	global_load_dword v26, v[18:19], off
	global_load_dword v28, v[20:21], off
	;; [unrolled: 1-line block ×3, first 2 shown]
	v_or_b32_e32 v18, 0xc0, v24
	v_add_u32_e32 v19, s10, v18
	v_ashrrev_i32_e32 v19, 5, v19
	v_cmp_gt_i32_e32 vcc, s33, v18
	v_cndmask_b32_e32 v18, v25, v19, vcc
	v_ashrrev_i32_e32 v19, 31, v18
	v_lshlrev_b64 v[18:19], 2, v[18:19]
	v_mov_b32_e32 v20, s22
	v_add_co_u32_e32 v18, vcc, s21, v18
	v_addc_co_u32_e32 v19, vcc, v20, v19, vcc
	global_load_dword v32, v[18:19], off
	s_add_u32 s6, s6, s14
	v_and_b32_e32 v18, 16, v0
	s_addc_u32 s7, s7, 0
	v_lshl_or_b32 v29, v27, 4, v41
	v_mov_b32_e32 v20, s7
	v_add_co_u32_e32 v34, vcc, s6, v18
	v_lshlrev_b32_e32 v19, 5, v29
	v_addc_co_u32_e32 v36, vcc, 0, v20, vcc
	v_add_co_u32_e32 v22, vcc, v34, v19
	v_addc_co_u32_e32 v23, vcc, 0, v36, vcc
	v_or_b32_e32 v33, 0x800, v19
	s_movk_i32 s14, 0x7f
	s_mov_b32 s15, 0xffffff
	s_mov_b32 s16, 0x5040100
	v_mov_b32_e32 v37, 0x100
	v_bfrev_b32_e32 v38, 60
	s_waitcnt vmcnt(3)
	v_mad_i64_i32 v[18:19], s[6:7], v26, s13, v[22:23]
	s_waitcnt vmcnt(2)
	v_mad_i64_i32 v[24:25], s[6:7], v28, s13, v[22:23]
	global_load_dwordx4 v[18:21], v[18:19], off
	s_nop 0
	global_load_dwordx4 v[52:55], v[24:25], off
	s_waitcnt vmcnt(3)
	v_mad_i64_i32 v[24:25], s[6:7], v30, s13, v[22:23]
	s_waitcnt vmcnt(2)
	v_mad_i64_i32 v[22:23], s[6:7], v32, s13, v[22:23]
	global_load_dwordx4 v[56:59], v[24:25], off
	global_load_dwordx4 v[60:63], v[22:23], off
	v_add_co_u32_e32 v22, vcc, v34, v33
	v_addc_co_u32_e32 v23, vcc, 0, v36, vcc
	v_mad_i64_i32 v[24:25], s[6:7], v26, s13, v[22:23]
	global_load_dwordx4 v[64:67], v[24:25], off
	v_mad_i64_i32 v[24:25], s[6:7], v28, s13, v[22:23]
	global_load_dwordx4 v[68:71], v[24:25], off
	;; [unrolled: 2-line block ×4, first 2 shown]
	s_load_dword s6, s[4:5], 0x1c
	s_load_dwordx4 s[40:43], s[4:5], 0x80
	v_mov_b32_e32 v22, 0x80
	v_add_u32_e32 v45, 16, v22
	v_add_u32_e32 v46, 32, v22
	;; [unrolled: 1-line block ×3, first 2 shown]
	s_waitcnt lgkmcnt(0)
	s_load_dword s4, s[40:41], 0x0
	v_add_u32_e32 v51, 64, v22
	v_add_u32_e32 v48, 0x50, v22
	;; [unrolled: 1-line block ×4, first 2 shown]
	v_mov_b32_e32 v22, s6
	s_waitcnt lgkmcnt(0)
	v_mul_f32_e32 v22, s4, v22
	v_and_b32_e32 v33, 63, v0
	s_movk_i32 s13, 0x80
	v_mov_b32_e32 v36, 0
	v_mov_b32_e32 v24, v22
	;; [unrolled: 1-line block ×3, first 2 shown]
	s_waitcnt vmcnt(7)
	buffer_store_dword v21, off, s[0:3], 0 offset:140
	buffer_store_dword v20, off, s[0:3], 0 offset:136
	buffer_store_dword v19, off, s[0:3], 0 offset:132
	buffer_store_dword v18, off, s[0:3], 0 offset:128
	s_waitcnt vmcnt(10)
	buffer_store_dword v55, off, s[0:3], 0 offset:172
	buffer_store_dword v54, off, s[0:3], 0 offset:168
	buffer_store_dword v53, off, s[0:3], 0 offset:164
	buffer_store_dword v52, off, s[0:3], 0 offset:160
	;; [unrolled: 5-line block ×8, first 2 shown]
	s_branch .LBB937_17
.LBB937_14:                             ;   in Loop: Header=BB937_17 Depth=1
	s_or_b64 exec, exec, s[10:11]
.LBB937_15:                             ;   in Loop: Header=BB937_17 Depth=1
	s_or_b64 exec, exec, s[6:7]
.LBB937_16:                             ;   in Loop: Header=BB937_17 Depth=1
	s_or_b64 exec, exec, s[4:5]
	v_perm_b32 v55, v40, v34, s16
	v_perm_b32 v54, v23, v32, s16
	;; [unrolled: 1-line block ×4, first 2 shown]
	v_add_u32_e32 v26, s12, v37
	v_mfma_f32_16x16x16bf16_1k v[18:21], v[54:55], v[14:15], v[18:21]
	s_add_i32 s12, s12, 16
	v_mov_b32_e32 v23, v22
	s_cmp_eq_u32 s12, 64
	v_add_u32_e32 v36, 32, v36
	v_mfma_f32_16x16x16bf16_1k v[18:21], v[52:53], v[16:17], v[18:21]
	s_nop 7
	s_nop 2
	v_pk_mul_f32 v[18:19], v[24:25], v[18:19]
	v_pk_mul_f32 v[20:21], v[22:23], v[20:21]
	buffer_store_dword v19, v26, s[0:3], 0 offen offset:4
	buffer_store_dword v18, v26, s[0:3], 0 offen
	buffer_store_dword v21, v26, s[0:3], 0 offen offset:12
	buffer_store_dword v20, v26, s[0:3], 0 offen offset:8
	s_cbranch_scc1 .LBB937_207
.LBB937_17:                             ; =>This Inner Loop Header: Depth=1
	buffer_load_dword v20, v36, s[0:3], 0 offen
	buffer_load_dword v18, v36, s[0:3], 0 offen offset:4
	buffer_load_dword v28, v36, s[0:3], 0 offen offset:8
	;; [unrolled: 1-line block ×3, first 2 shown]
	v_mov_b32_e32 v19, 0
	v_mov_b32_e32 v21, 0
	s_waitcnt vmcnt(3)
	v_cmp_ne_u16_sdwa s[6:7], v20, v35 src0_sel:BYTE_0 src1_sel:DWORD
	s_and_saveexec_b64 s[4:5], s[6:7]
	s_cbranch_execz .LBB937_23
; %bb.18:                               ;   in Loop: Header=BB937_17 Depth=1
	v_cmp_ne_u16_sdwa s[10:11], v20, s13 src0_sel:BYTE_0 src1_sel:DWORD
	v_mov_b32_e32 v21, 0xffff8000
	s_and_saveexec_b64 s[6:7], s[10:11]
	s_cbranch_execz .LBB937_22
; %bb.19:                               ;   in Loop: Header=BB937_17 Depth=1
	v_and_b32_e32 v23, 0x7f, v20
	v_cmp_ne_u32_e32 vcc, s14, v23
	v_mov_b32_e32 v21, 0x7f80
	s_and_saveexec_b64 s[10:11], vcc
	s_cbranch_execz .LBB937_21
; %bb.20:                               ;   in Loop: Header=BB937_17 Depth=1
	v_and_b32_e32 v21, 7, v20
	v_ffbh_u32_e32 v32, v21
	v_min_u32_e32 v32, 32, v32
	v_subrev_u32_e32 v34, 28, v32
	v_lshlrev_b64 v[52:53], v34, v[20:21]
	v_lshrrev_b32_e32 v30, 3, v23
	v_sub_u32_e32 v32, 29, v32
	v_and_b32_e32 v34, 7, v52
	v_cmp_gt_u32_e32 vcc, 8, v23
	v_cndmask_b32_e32 v23, v30, v32, vcc
	v_cndmask_b32_e32 v21, v21, v34, vcc
	v_lshlrev_b32_e32 v30, 24, v20
	v_lshlrev_b32_e32 v21, 20, v21
	v_and_b32_e32 v30, 0x80000000, v30
	v_lshl_add_u32 v23, v23, 23, v38
	v_or3_b32 v21, v30, v23, v21
	v_lshrrev_b32_e32 v21, 16, v21
.LBB937_21:                             ;   in Loop: Header=BB937_17 Depth=1
	s_or_b64 exec, exec, s[10:11]
.LBB937_22:                             ;   in Loop: Header=BB937_17 Depth=1
	s_or_b64 exec, exec, s[6:7]
.LBB937_23:                             ;   in Loop: Header=BB937_17 Depth=1
	s_or_b64 exec, exec, s[4:5]
	v_lshrrev_b16_e32 v30, 8, v20
	v_cmp_ne_u16_e32 vcc, 0, v30
	s_and_saveexec_b64 s[4:5], vcc
	s_cbranch_execz .LBB937_29
; %bb.24:                               ;   in Loop: Header=BB937_17 Depth=1
	v_cmp_ne_u16_e32 vcc, s13, v30
	v_mov_b32_e32 v19, 0xffff8000
	s_and_saveexec_b64 s[6:7], vcc
	s_cbranch_execz .LBB937_28
; %bb.25:                               ;   in Loop: Header=BB937_17 Depth=1
	v_and_b32_e32 v23, 0x7f, v30
	v_cmp_ne_u32_e32 vcc, s14, v23
	v_mov_b32_e32 v19, 0x7f80
	s_and_saveexec_b64 s[10:11], vcc
	s_cbranch_execz .LBB937_27
; %bb.26:                               ;   in Loop: Header=BB937_17 Depth=1
	v_and_b32_e32 v19, 7, v30
	v_ffbh_u32_e32 v34, v19
	v_min_u32_e32 v34, 32, v34
	v_subrev_u32_e32 v40, 28, v34
	v_lshlrev_b64 v[52:53], v40, v[30:31]
	v_lshrrev_b32_e32 v32, 3, v23
	v_sub_u32_e32 v30, 29, v34
	v_and_b32_e32 v34, 7, v52
	v_cmp_gt_u32_e32 vcc, 8, v23
	v_cndmask_b32_e32 v23, v32, v30, vcc
	v_cndmask_b32_e32 v19, v19, v34, vcc
	v_lshlrev_b32_e32 v30, 16, v20
	v_lshlrev_b32_e32 v19, 20, v19
	v_and_b32_e32 v30, 0x80000000, v30
	v_lshl_add_u32 v23, v23, 23, v38
	v_or3_b32 v19, v30, v23, v19
	v_lshrrev_b32_e32 v19, 16, v19
.LBB937_27:                             ;   in Loop: Header=BB937_17 Depth=1
	s_or_b64 exec, exec, s[10:11]
.LBB937_28:                             ;   in Loop: Header=BB937_17 Depth=1
	s_or_b64 exec, exec, s[6:7]
.LBB937_29:                             ;   in Loop: Header=BB937_17 Depth=1
	s_or_b64 exec, exec, s[4:5]
	v_lshrrev_b32_e32 v30, 16, v20
	v_cmp_ne_u16_sdwa s[6:7], v30, v35 src0_sel:BYTE_0 src1_sel:DWORD
	v_mov_b32_e32 v32, 0
	v_mov_b32_e32 v23, 0
	s_and_saveexec_b64 s[4:5], s[6:7]
	s_cbranch_execz .LBB937_35
; %bb.30:                               ;   in Loop: Header=BB937_17 Depth=1
	v_cmp_ne_u16_sdwa s[10:11], v30, s13 src0_sel:BYTE_0 src1_sel:DWORD
	v_mov_b32_e32 v23, 0xffff8000
	s_and_saveexec_b64 s[6:7], s[10:11]
	s_cbranch_execz .LBB937_34
; %bb.31:                               ;   in Loop: Header=BB937_17 Depth=1
	v_bfe_u32 v34, v20, 16, 7
	v_cmp_ne_u32_e32 vcc, s14, v34
	v_mov_b32_e32 v23, 0x7f80
	s_and_saveexec_b64 s[10:11], vcc
	s_cbranch_execz .LBB937_33
; %bb.32:                               ;   in Loop: Header=BB937_17 Depth=1
	v_and_b32_e32 v23, 7, v30
	v_ffbh_u32_e32 v42, v23
	v_min_u32_e32 v42, 32, v42
	v_subrev_u32_e32 v44, 28, v42
	v_lshlrev_b64 v[52:53], v44, v[30:31]
	v_lshrrev_b32_e32 v40, 3, v34
	v_sub_u32_e32 v42, 29, v42
	v_and_b32_e32 v44, 7, v52
	v_cmp_gt_u32_e32 vcc, 8, v34
	v_cndmask_b32_e32 v34, v40, v42, vcc
	v_cndmask_b32_e32 v23, v23, v44, vcc
	v_lshlrev_b32_e32 v30, 24, v30
	v_lshlrev_b32_e32 v23, 20, v23
	v_and_b32_e32 v30, 0x80000000, v30
	v_lshl_add_u32 v34, v34, 23, v38
	v_or3_b32 v23, v30, v34, v23
	v_lshrrev_b32_e32 v23, 16, v23
.LBB937_33:                             ;   in Loop: Header=BB937_17 Depth=1
	s_or_b64 exec, exec, s[10:11]
.LBB937_34:                             ;   in Loop: Header=BB937_17 Depth=1
	s_or_b64 exec, exec, s[6:7]
.LBB937_35:                             ;   in Loop: Header=BB937_17 Depth=1
	s_or_b64 exec, exec, s[4:5]
	v_cmp_lt_u32_e32 vcc, s15, v20
	s_and_saveexec_b64 s[4:5], vcc
	s_cbranch_execz .LBB937_41
; %bb.36:                               ;   in Loop: Header=BB937_17 Depth=1
	v_lshrrev_b32_e32 v30, 24, v20
	v_cmp_ne_u32_e32 vcc, s13, v30
	v_mov_b32_e32 v32, 0xffff8000
	s_and_saveexec_b64 s[6:7], vcc
	s_cbranch_execz .LBB937_40
; %bb.37:                               ;   in Loop: Header=BB937_17 Depth=1
	v_bfe_u32 v20, v20, 24, 7
	v_cmp_ne_u32_e32 vcc, s14, v20
	v_mov_b32_e32 v32, 0x7f80
	s_and_saveexec_b64 s[10:11], vcc
	s_cbranch_execz .LBB937_39
; %bb.38:                               ;   in Loop: Header=BB937_17 Depth=1
	v_and_b32_e32 v32, 7, v30
	v_ffbh_u32_e32 v40, v32
	v_min_u32_e32 v40, 32, v40
	v_subrev_u32_e32 v42, 28, v40
	v_lshlrev_b64 v[52:53], v42, v[30:31]
	v_lshrrev_b32_e32 v34, 3, v20
	v_sub_u32_e32 v40, 29, v40
	v_and_b32_e32 v42, 7, v52
	v_cmp_gt_u32_e32 vcc, 8, v20
	v_cndmask_b32_e32 v20, v34, v40, vcc
	v_cndmask_b32_e32 v32, v32, v42, vcc
	v_lshlrev_b32_e32 v30, 24, v30
	v_lshlrev_b32_e32 v32, 20, v32
	v_and_b32_e32 v30, 0x80000000, v30
	v_lshl_add_u32 v20, v20, 23, v38
	v_or3_b32 v20, v30, v20, v32
	v_lshrrev_b32_e32 v32, 16, v20
.LBB937_39:                             ;   in Loop: Header=BB937_17 Depth=1
	s_or_b64 exec, exec, s[10:11]
.LBB937_40:                             ;   in Loop: Header=BB937_17 Depth=1
	s_or_b64 exec, exec, s[6:7]
.LBB937_41:                             ;   in Loop: Header=BB937_17 Depth=1
	s_or_b64 exec, exec, s[4:5]
	s_waitcnt vmcnt(2)
	v_cmp_ne_u16_sdwa s[6:7], v18, v35 src0_sel:BYTE_0 src1_sel:DWORD
	v_mov_b32_e32 v30, 0
	v_mov_b32_e32 v34, 0
	s_and_saveexec_b64 s[4:5], s[6:7]
	s_cbranch_execz .LBB937_47
; %bb.42:                               ;   in Loop: Header=BB937_17 Depth=1
	v_cmp_ne_u16_sdwa s[10:11], v18, s13 src0_sel:BYTE_0 src1_sel:DWORD
	v_mov_b32_e32 v34, 0xffff8000
	s_and_saveexec_b64 s[6:7], s[10:11]
	s_cbranch_execz .LBB937_46
; %bb.43:                               ;   in Loop: Header=BB937_17 Depth=1
	v_and_b32_e32 v20, 0x7f, v18
	v_cmp_ne_u32_e32 vcc, s14, v20
	v_mov_b32_e32 v34, 0x7f80
	s_and_saveexec_b64 s[10:11], vcc
	s_cbranch_execz .LBB937_45
; %bb.44:                               ;   in Loop: Header=BB937_17 Depth=1
	v_and_b32_e32 v34, 7, v18
	v_ffbh_u32_e32 v42, v34
	v_min_u32_e32 v42, 32, v42
	v_subrev_u32_e32 v44, 28, v42
	v_lshlrev_b64 v[52:53], v44, v[18:19]
	v_lshrrev_b32_e32 v40, 3, v20
	v_sub_u32_e32 v42, 29, v42
	v_and_b32_e32 v44, 7, v52
	v_cmp_gt_u32_e32 vcc, 8, v20
	v_cndmask_b32_e32 v20, v40, v42, vcc
	v_cndmask_b32_e32 v34, v34, v44, vcc
	v_lshlrev_b32_e32 v40, 24, v18
	v_lshlrev_b32_e32 v34, 20, v34
	v_and_b32_e32 v40, 0x80000000, v40
	v_lshl_add_u32 v20, v20, 23, v38
	v_or3_b32 v20, v40, v20, v34
	v_lshrrev_b32_e32 v34, 16, v20
.LBB937_45:                             ;   in Loop: Header=BB937_17 Depth=1
	s_or_b64 exec, exec, s[10:11]
.LBB937_46:                             ;   in Loop: Header=BB937_17 Depth=1
	s_or_b64 exec, exec, s[6:7]
.LBB937_47:                             ;   in Loop: Header=BB937_17 Depth=1
	s_or_b64 exec, exec, s[4:5]
	v_lshrrev_b16_e32 v20, 8, v18
	v_cmp_ne_u16_e32 vcc, 0, v20
	s_and_saveexec_b64 s[4:5], vcc
	s_cbranch_execz .LBB937_53
; %bb.48:                               ;   in Loop: Header=BB937_17 Depth=1
	v_cmp_ne_u16_e32 vcc, s13, v20
	v_mov_b32_e32 v30, 0xffff8000
	s_and_saveexec_b64 s[6:7], vcc
	s_cbranch_execz .LBB937_52
; %bb.49:                               ;   in Loop: Header=BB937_17 Depth=1
	v_and_b32_e32 v40, 0x7f, v20
	v_cmp_ne_u32_e32 vcc, s14, v40
	v_mov_b32_e32 v30, 0x7f80
	s_and_saveexec_b64 s[10:11], vcc
	s_cbranch_execz .LBB937_51
; %bb.50:                               ;   in Loop: Header=BB937_17 Depth=1
	v_and_b32_e32 v30, 7, v20
	v_ffbh_u32_e32 v44, v30
	v_min_u32_e32 v44, 32, v44
	v_subrev_u32_e32 v52, 28, v44
	v_lshlrev_b64 v[52:53], v52, v[20:21]
	v_lshrrev_b32_e32 v42, 3, v40
	v_sub_u32_e32 v20, 29, v44
	v_and_b32_e32 v44, 7, v52
	v_cmp_gt_u32_e32 vcc, 8, v40
	v_cndmask_b32_e32 v20, v42, v20, vcc
	v_cndmask_b32_e32 v30, v30, v44, vcc
	v_lshlrev_b32_e32 v40, 16, v18
	v_lshlrev_b32_e32 v30, 20, v30
	v_and_b32_e32 v40, 0x80000000, v40
	v_lshl_add_u32 v20, v20, 23, v38
	v_or3_b32 v20, v40, v20, v30
	v_lshrrev_b32_e32 v30, 16, v20
.LBB937_51:                             ;   in Loop: Header=BB937_17 Depth=1
	s_or_b64 exec, exec, s[10:11]
.LBB937_52:                             ;   in Loop: Header=BB937_17 Depth=1
	s_or_b64 exec, exec, s[6:7]
.LBB937_53:                             ;   in Loop: Header=BB937_17 Depth=1
	s_or_b64 exec, exec, s[4:5]
	v_lshrrev_b32_e32 v20, 16, v18
	v_cmp_ne_u16_sdwa s[6:7], v20, v35 src0_sel:BYTE_0 src1_sel:DWORD
	v_mov_b32_e32 v42, 0
	v_mov_b32_e32 v40, 0
	s_and_saveexec_b64 s[4:5], s[6:7]
	s_cbranch_execz .LBB937_59
; %bb.54:                               ;   in Loop: Header=BB937_17 Depth=1
	v_cmp_ne_u16_sdwa s[10:11], v20, s13 src0_sel:BYTE_0 src1_sel:DWORD
	v_mov_b32_e32 v40, 0xffff8000
	s_and_saveexec_b64 s[6:7], s[10:11]
	s_cbranch_execz .LBB937_58
; %bb.55:                               ;   in Loop: Header=BB937_17 Depth=1
	v_bfe_u32 v44, v18, 16, 7
	v_cmp_ne_u32_e32 vcc, s14, v44
	v_mov_b32_e32 v40, 0x7f80
	s_and_saveexec_b64 s[10:11], vcc
	s_cbranch_execz .LBB937_57
; %bb.56:                               ;   in Loop: Header=BB937_17 Depth=1
	v_and_b32_e32 v40, 7, v20
	v_ffbh_u32_e32 v52, v40
	v_min_u32_e32 v55, 32, v52
	v_subrev_u32_e32 v52, 28, v55
	v_lshlrev_b64 v[52:53], v52, v[20:21]
	v_lshrrev_b32_e32 v54, 3, v44
	v_sub_u32_e32 v53, 29, v55
	v_and_b32_e32 v52, 7, v52
	v_cmp_gt_u32_e32 vcc, 8, v44
	v_cndmask_b32_e32 v44, v54, v53, vcc
	v_cndmask_b32_e32 v40, v40, v52, vcc
	v_lshlrev_b32_e32 v20, 24, v20
	v_lshlrev_b32_e32 v40, 20, v40
	v_and_b32_e32 v20, 0x80000000, v20
	v_lshl_add_u32 v44, v44, 23, v38
	v_or3_b32 v20, v20, v44, v40
	v_lshrrev_b32_e32 v40, 16, v20
.LBB937_57:                             ;   in Loop: Header=BB937_17 Depth=1
	s_or_b64 exec, exec, s[10:11]
.LBB937_58:                             ;   in Loop: Header=BB937_17 Depth=1
	s_or_b64 exec, exec, s[6:7]
.LBB937_59:                             ;   in Loop: Header=BB937_17 Depth=1
	s_or_b64 exec, exec, s[4:5]
	v_cmp_lt_u32_e32 vcc, s15, v18
	s_and_saveexec_b64 s[4:5], vcc
	s_cbranch_execz .LBB937_65
; %bb.60:                               ;   in Loop: Header=BB937_17 Depth=1
	v_lshrrev_b32_e32 v20, 24, v18
	v_cmp_ne_u32_e32 vcc, s13, v20
	v_mov_b32_e32 v42, 0xffff8000
	s_and_saveexec_b64 s[6:7], vcc
	s_cbranch_execz .LBB937_64
; %bb.61:                               ;   in Loop: Header=BB937_17 Depth=1
	v_bfe_u32 v18, v18, 24, 7
	v_cmp_ne_u32_e32 vcc, s14, v18
	v_mov_b32_e32 v42, 0x7f80
	s_and_saveexec_b64 s[10:11], vcc
	s_cbranch_execz .LBB937_63
; %bb.62:                               ;   in Loop: Header=BB937_17 Depth=1
	v_and_b32_e32 v42, 7, v20
	v_ffbh_u32_e32 v52, v42
	v_min_u32_e32 v54, 32, v52
	v_subrev_u32_e32 v52, 28, v54
	v_lshlrev_b64 v[52:53], v52, v[20:21]
	v_lshrrev_b32_e32 v44, 3, v18
	v_sub_u32_e32 v53, 29, v54
	v_and_b32_e32 v52, 7, v52
	v_cmp_gt_u32_e32 vcc, 8, v18
	v_cndmask_b32_e32 v18, v44, v53, vcc
	v_cndmask_b32_e32 v42, v42, v52, vcc
	v_lshlrev_b32_e32 v20, 24, v20
	v_lshlrev_b32_e32 v42, 20, v42
	v_and_b32_e32 v20, 0x80000000, v20
	v_lshl_add_u32 v18, v18, 23, v38
	v_or3_b32 v18, v20, v18, v42
	v_lshrrev_b32_e32 v42, 16, v18
.LBB937_63:                             ;   in Loop: Header=BB937_17 Depth=1
	s_or_b64 exec, exec, s[10:11]
.LBB937_64:                             ;   in Loop: Header=BB937_17 Depth=1
	s_or_b64 exec, exec, s[6:7]
.LBB937_65:                             ;   in Loop: Header=BB937_17 Depth=1
	s_or_b64 exec, exec, s[4:5]
	v_perm_b32 v53, v32, v23, s16
	v_perm_b32 v52, v19, v21, s16
	s_waitcnt vmcnt(1)
	v_cmp_ne_u16_sdwa s[6:7], v28, v35 src0_sel:BYTE_0 src1_sel:DWORD
	v_mov_b32_e32 v23, 0
	v_mov_b32_e32 v32, 0
	v_mfma_f32_16x16x16bf16_1k v[18:21], v[52:53], v[2:3], 0
	v_perm_b32 v53, v42, v40, s16
	v_perm_b32 v52, v30, v34, s16
	s_nop 1
	v_mfma_f32_16x16x16bf16_1k v[18:21], v[52:53], v[4:5], v[18:21]
	s_and_saveexec_b64 s[4:5], s[6:7]
	s_cbranch_execz .LBB937_71
; %bb.66:                               ;   in Loop: Header=BB937_17 Depth=1
	v_cmp_ne_u16_sdwa s[10:11], v28, s13 src0_sel:BYTE_0 src1_sel:DWORD
	v_mov_b32_e32 v32, 0xffff8000
	s_and_saveexec_b64 s[6:7], s[10:11]
	s_cbranch_execz .LBB937_70
; %bb.67:                               ;   in Loop: Header=BB937_17 Depth=1
	v_and_b32_e32 v30, 0x7f, v28
	v_cmp_ne_u32_e32 vcc, s14, v30
	v_mov_b32_e32 v32, 0x7f80
	s_and_saveexec_b64 s[10:11], vcc
	s_cbranch_execz .LBB937_69
; %bb.68:                               ;   in Loop: Header=BB937_17 Depth=1
	v_and_b32_e32 v32, 7, v28
	v_ffbh_u32_e32 v40, v32
	v_min_u32_e32 v40, 32, v40
	v_subrev_u32_e32 v42, 28, v40
	v_lshlrev_b64 v[52:53], v42, v[28:29]
	v_lshrrev_b32_e32 v34, 3, v30
	v_sub_u32_e32 v40, 29, v40
	v_and_b32_e32 v42, 7, v52
	v_cmp_gt_u32_e32 vcc, 8, v30
	v_cndmask_b32_e32 v30, v34, v40, vcc
	v_cndmask_b32_e32 v32, v32, v42, vcc
	v_lshlrev_b32_e32 v34, 24, v28
	v_lshlrev_b32_e32 v32, 20, v32
	v_and_b32_e32 v34, 0x80000000, v34
	v_lshl_add_u32 v30, v30, 23, v38
	v_or3_b32 v30, v34, v30, v32
	v_lshrrev_b32_e32 v32, 16, v30
.LBB937_69:                             ;   in Loop: Header=BB937_17 Depth=1
	s_or_b64 exec, exec, s[10:11]
.LBB937_70:                             ;   in Loop: Header=BB937_17 Depth=1
	s_or_b64 exec, exec, s[6:7]
.LBB937_71:                             ;   in Loop: Header=BB937_17 Depth=1
	s_or_b64 exec, exec, s[4:5]
	v_lshrrev_b16_e32 v30, 8, v28
	v_cmp_ne_u16_e32 vcc, 0, v30
	s_and_saveexec_b64 s[4:5], vcc
	s_cbranch_execz .LBB937_77
; %bb.72:                               ;   in Loop: Header=BB937_17 Depth=1
	v_cmp_ne_u16_e32 vcc, s13, v30
	v_mov_b32_e32 v23, 0xffff8000
	s_and_saveexec_b64 s[6:7], vcc
	s_cbranch_execz .LBB937_76
; %bb.73:                               ;   in Loop: Header=BB937_17 Depth=1
	v_and_b32_e32 v34, 0x7f, v30
	v_cmp_ne_u32_e32 vcc, s14, v34
	v_mov_b32_e32 v23, 0x7f80
	s_and_saveexec_b64 s[10:11], vcc
	s_cbranch_execz .LBB937_75
; %bb.74:                               ;   in Loop: Header=BB937_17 Depth=1
	v_and_b32_e32 v23, 7, v30
	v_ffbh_u32_e32 v42, v23
	v_min_u32_e32 v42, 32, v42
	v_subrev_u32_e32 v44, 28, v42
	v_lshlrev_b64 v[52:53], v44, v[30:31]
	v_lshrrev_b32_e32 v40, 3, v34
	v_sub_u32_e32 v30, 29, v42
	v_and_b32_e32 v42, 7, v52
	v_cmp_gt_u32_e32 vcc, 8, v34
	v_cndmask_b32_e32 v30, v40, v30, vcc
	v_cndmask_b32_e32 v23, v23, v42, vcc
	v_lshlrev_b32_e32 v34, 16, v28
	v_lshlrev_b32_e32 v23, 20, v23
	v_and_b32_e32 v34, 0x80000000, v34
	v_lshl_add_u32 v30, v30, 23, v38
	v_or3_b32 v23, v34, v30, v23
	v_lshrrev_b32_e32 v23, 16, v23
.LBB937_75:                             ;   in Loop: Header=BB937_17 Depth=1
	s_or_b64 exec, exec, s[10:11]
.LBB937_76:                             ;   in Loop: Header=BB937_17 Depth=1
	s_or_b64 exec, exec, s[6:7]
.LBB937_77:                             ;   in Loop: Header=BB937_17 Depth=1
	s_or_b64 exec, exec, s[4:5]
	v_lshrrev_b32_e32 v30, 16, v28
	v_cmp_ne_u16_sdwa s[6:7], v30, v35 src0_sel:BYTE_0 src1_sel:DWORD
	v_mov_b32_e32 v40, 0
	v_mov_b32_e32 v34, 0
	s_and_saveexec_b64 s[4:5], s[6:7]
	s_cbranch_execz .LBB937_83
; %bb.78:                               ;   in Loop: Header=BB937_17 Depth=1
	v_cmp_ne_u16_sdwa s[10:11], v30, s13 src0_sel:BYTE_0 src1_sel:DWORD
	v_mov_b32_e32 v34, 0xffff8000
	s_and_saveexec_b64 s[6:7], s[10:11]
	s_cbranch_execz .LBB937_82
; %bb.79:                               ;   in Loop: Header=BB937_17 Depth=1
	v_bfe_u32 v42, v28, 16, 7
	v_cmp_ne_u32_e32 vcc, s14, v42
	v_mov_b32_e32 v34, 0x7f80
	s_and_saveexec_b64 s[10:11], vcc
	s_cbranch_execz .LBB937_81
; %bb.80:                               ;   in Loop: Header=BB937_17 Depth=1
	v_and_b32_e32 v34, 7, v30
	v_ffbh_u32_e32 v52, v34
	v_min_u32_e32 v54, 32, v52
	v_subrev_u32_e32 v52, 28, v54
	v_lshlrev_b64 v[52:53], v52, v[30:31]
	v_lshrrev_b32_e32 v44, 3, v42
	v_sub_u32_e32 v53, 29, v54
	v_and_b32_e32 v52, 7, v52
	v_cmp_gt_u32_e32 vcc, 8, v42
	v_cndmask_b32_e32 v42, v44, v53, vcc
	v_cndmask_b32_e32 v34, v34, v52, vcc
	v_lshlrev_b32_e32 v30, 24, v30
	v_lshlrev_b32_e32 v34, 20, v34
	v_and_b32_e32 v30, 0x80000000, v30
	v_lshl_add_u32 v42, v42, 23, v38
	v_or3_b32 v30, v30, v42, v34
	v_lshrrev_b32_e32 v34, 16, v30
.LBB937_81:                             ;   in Loop: Header=BB937_17 Depth=1
	s_or_b64 exec, exec, s[10:11]
.LBB937_82:                             ;   in Loop: Header=BB937_17 Depth=1
	s_or_b64 exec, exec, s[6:7]
.LBB937_83:                             ;   in Loop: Header=BB937_17 Depth=1
	s_or_b64 exec, exec, s[4:5]
	v_cmp_lt_u32_e32 vcc, s15, v28
	s_and_saveexec_b64 s[4:5], vcc
	s_cbranch_execz .LBB937_89
; %bb.84:                               ;   in Loop: Header=BB937_17 Depth=1
	v_lshrrev_b32_e32 v30, 24, v28
	v_cmp_ne_u32_e32 vcc, s13, v30
	v_mov_b32_e32 v40, 0xffff8000
	s_and_saveexec_b64 s[6:7], vcc
	s_cbranch_execz .LBB937_88
; %bb.85:                               ;   in Loop: Header=BB937_17 Depth=1
	v_bfe_u32 v28, v28, 24, 7
	v_cmp_ne_u32_e32 vcc, s14, v28
	v_mov_b32_e32 v40, 0x7f80
	s_and_saveexec_b64 s[10:11], vcc
	s_cbranch_execz .LBB937_87
; %bb.86:                               ;   in Loop: Header=BB937_17 Depth=1
	v_and_b32_e32 v40, 7, v30
	v_ffbh_u32_e32 v44, v40
	v_min_u32_e32 v44, 32, v44
	v_subrev_u32_e32 v52, 28, v44
	v_lshlrev_b64 v[52:53], v52, v[30:31]
	v_lshrrev_b32_e32 v42, 3, v28
	v_sub_u32_e32 v44, 29, v44
	v_and_b32_e32 v52, 7, v52
	v_cmp_gt_u32_e32 vcc, 8, v28
	v_cndmask_b32_e32 v28, v42, v44, vcc
	v_cndmask_b32_e32 v40, v40, v52, vcc
	v_lshlrev_b32_e32 v30, 24, v30
	v_lshlrev_b32_e32 v40, 20, v40
	v_and_b32_e32 v30, 0x80000000, v30
	v_lshl_add_u32 v28, v28, 23, v38
	v_or3_b32 v28, v30, v28, v40
	v_lshrrev_b32_e32 v40, 16, v28
.LBB937_87:                             ;   in Loop: Header=BB937_17 Depth=1
	s_or_b64 exec, exec, s[10:11]
.LBB937_88:                             ;   in Loop: Header=BB937_17 Depth=1
	s_or_b64 exec, exec, s[6:7]
.LBB937_89:                             ;   in Loop: Header=BB937_17 Depth=1
	s_or_b64 exec, exec, s[4:5]
	s_waitcnt vmcnt(0)
	v_cmp_ne_u16_sdwa s[6:7], v26, v35 src0_sel:BYTE_0 src1_sel:DWORD
	v_mov_b32_e32 v42, 0
	v_mov_b32_e32 v44, 0
	s_and_saveexec_b64 s[4:5], s[6:7]
	s_cbranch_execz .LBB937_95
; %bb.90:                               ;   in Loop: Header=BB937_17 Depth=1
	v_cmp_ne_u16_sdwa s[10:11], v26, s13 src0_sel:BYTE_0 src1_sel:DWORD
	v_mov_b32_e32 v44, 0xffff8000
	s_and_saveexec_b64 s[6:7], s[10:11]
	s_cbranch_execz .LBB937_94
; %bb.91:                               ;   in Loop: Header=BB937_17 Depth=1
	v_and_b32_e32 v28, 0x7f, v26
	v_cmp_ne_u32_e32 vcc, s14, v28
	v_mov_b32_e32 v44, 0x7f80
	s_and_saveexec_b64 s[10:11], vcc
	s_cbranch_execz .LBB937_93
; %bb.92:                               ;   in Loop: Header=BB937_17 Depth=1
	v_and_b32_e32 v30, 7, v26
	v_ffbh_u32_e32 v52, v30
	v_min_u32_e32 v54, 32, v52
	v_subrev_u32_e32 v52, 28, v54
	v_lshlrev_b64 v[52:53], v52, v[26:27]
	v_lshrrev_b32_e32 v44, 3, v28
	v_sub_u32_e32 v53, 29, v54
	v_and_b32_e32 v52, 7, v52
	v_cmp_gt_u32_e32 vcc, 8, v28
	v_cndmask_b32_e32 v28, v44, v53, vcc
	v_cndmask_b32_e32 v30, v30, v52, vcc
	v_lshlrev_b32_e32 v44, 24, v26
	v_lshlrev_b32_e32 v30, 20, v30
	v_and_b32_e32 v44, 0x80000000, v44
	v_lshl_add_u32 v28, v28, 23, v38
	v_or3_b32 v28, v44, v28, v30
	v_lshrrev_b32_e32 v44, 16, v28
.LBB937_93:                             ;   in Loop: Header=BB937_17 Depth=1
	s_or_b64 exec, exec, s[10:11]
.LBB937_94:                             ;   in Loop: Header=BB937_17 Depth=1
	s_or_b64 exec, exec, s[6:7]
.LBB937_95:                             ;   in Loop: Header=BB937_17 Depth=1
	s_or_b64 exec, exec, s[4:5]
	v_lshrrev_b16_e32 v28, 8, v26
	v_cmp_ne_u16_e32 vcc, 0, v28
	s_and_saveexec_b64 s[4:5], vcc
	s_cbranch_execz .LBB937_101
; %bb.96:                               ;   in Loop: Header=BB937_17 Depth=1
	v_cmp_ne_u16_e32 vcc, s13, v28
	v_mov_b32_e32 v42, 0xffff8000
	s_and_saveexec_b64 s[6:7], vcc
	s_cbranch_execz .LBB937_100
; %bb.97:                               ;   in Loop: Header=BB937_17 Depth=1
	v_and_b32_e32 v30, 0x7f, v28
	v_cmp_ne_u32_e32 vcc, s14, v30
	v_mov_b32_e32 v42, 0x7f80
	s_and_saveexec_b64 s[10:11], vcc
	s_cbranch_execz .LBB937_99
; %bb.98:                               ;   in Loop: Header=BB937_17 Depth=1
	v_and_b32_e32 v42, 7, v28
	v_ffbh_u32_e32 v52, v42
	v_min_u32_e32 v55, 32, v52
	v_subrev_u32_e32 v52, 28, v55
	v_lshlrev_b64 v[52:53], v52, v[28:29]
	v_lshrrev_b32_e32 v54, 3, v30
	v_sub_u32_e32 v28, 29, v55
	v_and_b32_e32 v52, 7, v52
	v_cmp_gt_u32_e32 vcc, 8, v30
	v_cndmask_b32_e32 v28, v54, v28, vcc
	v_cndmask_b32_e32 v30, v42, v52, vcc
	v_lshlrev_b32_e32 v42, 16, v26
	v_lshlrev_b32_e32 v30, 20, v30
	v_and_b32_e32 v42, 0x80000000, v42
	v_lshl_add_u32 v28, v28, 23, v38
	v_or3_b32 v28, v42, v28, v30
	v_lshrrev_b32_e32 v42, 16, v28
.LBB937_99:                             ;   in Loop: Header=BB937_17 Depth=1
	s_or_b64 exec, exec, s[10:11]
.LBB937_100:                            ;   in Loop: Header=BB937_17 Depth=1
	s_or_b64 exec, exec, s[6:7]
.LBB937_101:                            ;   in Loop: Header=BB937_17 Depth=1
	s_or_b64 exec, exec, s[4:5]
	v_lshrrev_b32_e32 v28, 16, v26
	v_cmp_ne_u16_sdwa s[6:7], v28, v35 src0_sel:BYTE_0 src1_sel:DWORD
	v_mov_b32_e32 v53, 0
	v_mov_b32_e32 v52, 0
	s_and_saveexec_b64 s[4:5], s[6:7]
	s_cbranch_execz .LBB937_107
; %bb.102:                              ;   in Loop: Header=BB937_17 Depth=1
	v_cmp_ne_u16_sdwa s[10:11], v28, s13 src0_sel:BYTE_0 src1_sel:DWORD
	v_mov_b32_e32 v52, 0xffff8000
	s_and_saveexec_b64 s[6:7], s[10:11]
	s_cbranch_execz .LBB937_106
; %bb.103:                              ;   in Loop: Header=BB937_17 Depth=1
	v_bfe_u32 v30, v26, 16, 7
	v_cmp_ne_u32_e32 vcc, s14, v30
	v_mov_b32_e32 v52, 0x7f80
	s_and_saveexec_b64 s[10:11], vcc
	s_cbranch_execz .LBB937_105
; %bb.104:                              ;   in Loop: Header=BB937_17 Depth=1
	v_and_b32_e32 v52, 7, v28
	v_ffbh_u32_e32 v54, v52
	v_min_u32_e32 v57, 32, v54
	v_subrev_u32_e32 v54, 28, v57
	v_lshlrev_b64 v[54:55], v54, v[28:29]
	v_lshrrev_b32_e32 v56, 3, v30
	v_sub_u32_e32 v55, 29, v57
	v_and_b32_e32 v54, 7, v54
	v_cmp_gt_u32_e32 vcc, 8, v30
	v_cndmask_b32_e32 v30, v56, v55, vcc
	v_cndmask_b32_e32 v52, v52, v54, vcc
	v_lshlrev_b32_e32 v28, 24, v28
	v_lshlrev_b32_e32 v52, 20, v52
	v_and_b32_e32 v28, 0x80000000, v28
	v_lshl_add_u32 v30, v30, 23, v38
	v_or3_b32 v28, v28, v30, v52
	v_lshrrev_b32_e32 v52, 16, v28
.LBB937_105:                            ;   in Loop: Header=BB937_17 Depth=1
	s_or_b64 exec, exec, s[10:11]
.LBB937_106:                            ;   in Loop: Header=BB937_17 Depth=1
	s_or_b64 exec, exec, s[6:7]
.LBB937_107:                            ;   in Loop: Header=BB937_17 Depth=1
	s_or_b64 exec, exec, s[4:5]
	v_cmp_lt_u32_e32 vcc, s15, v26
	s_and_saveexec_b64 s[4:5], vcc
	s_cbranch_execz .LBB937_113
; %bb.108:                              ;   in Loop: Header=BB937_17 Depth=1
	v_lshrrev_b32_e32 v28, 24, v26
	v_cmp_ne_u32_e32 vcc, s13, v28
	v_mov_b32_e32 v53, 0xffff8000
	s_and_saveexec_b64 s[6:7], vcc
	s_cbranch_execz .LBB937_112
; %bb.109:                              ;   in Loop: Header=BB937_17 Depth=1
	v_bfe_u32 v26, v26, 24, 7
	v_cmp_ne_u32_e32 vcc, s14, v26
	v_mov_b32_e32 v53, 0x7f80
	s_and_saveexec_b64 s[10:11], vcc
	s_cbranch_execz .LBB937_111
; %bb.110:                              ;   in Loop: Header=BB937_17 Depth=1
	v_and_b32_e32 v30, 7, v28
	v_ffbh_u32_e32 v54, v30
	v_min_u32_e32 v56, 32, v54
	v_subrev_u32_e32 v54, 28, v56
	v_lshlrev_b64 v[54:55], v54, v[28:29]
	v_lshrrev_b32_e32 v53, 3, v26
	v_sub_u32_e32 v55, 29, v56
	v_and_b32_e32 v54, 7, v54
	v_cmp_gt_u32_e32 vcc, 8, v26
	v_cndmask_b32_e32 v26, v53, v55, vcc
	v_cndmask_b32_e32 v30, v30, v54, vcc
	v_lshlrev_b32_e32 v28, 24, v28
	v_lshlrev_b32_e32 v30, 20, v30
	v_and_b32_e32 v28, 0x80000000, v28
	v_lshl_add_u32 v26, v26, 23, v38
	v_or3_b32 v26, v28, v26, v30
	v_lshrrev_b32_e32 v53, 16, v26
.LBB937_111:                            ;   in Loop: Header=BB937_17 Depth=1
	s_or_b64 exec, exec, s[10:11]
.LBB937_112:                            ;   in Loop: Header=BB937_17 Depth=1
	s_or_b64 exec, exec, s[6:7]
.LBB937_113:                            ;   in Loop: Header=BB937_17 Depth=1
	s_or_b64 exec, exec, s[4:5]
	v_perm_b32 v54, v23, v32, s16
	buffer_load_dword v32, v36, s[0:3], 0 offen offset:16
	buffer_load_dword v30, v36, s[0:3], 0 offen offset:20
	;; [unrolled: 1-line block ×4, first 2 shown]
	v_perm_b32 v55, v40, v34, s16
	v_perm_b32 v53, v53, v52, s16
	;; [unrolled: 1-line block ×3, first 2 shown]
	v_mfma_f32_16x16x16bf16_1k v[18:21], v[54:55], v[6:7], v[18:21]
	v_mov_b32_e32 v23, 0
	v_mov_b32_e32 v40, 0
	s_waitcnt vmcnt(3)
	v_cmp_ne_u16_sdwa s[6:7], v32, v35 src0_sel:BYTE_0 src1_sel:DWORD
	v_mfma_f32_16x16x16bf16_1k v[18:21], v[52:53], v[8:9], v[18:21]
	s_and_saveexec_b64 s[4:5], s[6:7]
	s_cbranch_execz .LBB937_119
; %bb.114:                              ;   in Loop: Header=BB937_17 Depth=1
	v_cmp_ne_u16_sdwa s[10:11], v32, s13 src0_sel:BYTE_0 src1_sel:DWORD
	v_mov_b32_e32 v40, 0xffff8000
	s_and_saveexec_b64 s[6:7], s[10:11]
	s_cbranch_execz .LBB937_118
; %bb.115:                              ;   in Loop: Header=BB937_17 Depth=1
	v_and_b32_e32 v34, 0x7f, v32
	v_cmp_ne_u32_e32 vcc, s14, v34
	v_mov_b32_e32 v40, 0x7f80
	s_and_saveexec_b64 s[10:11], vcc
	s_cbranch_execz .LBB937_117
; %bb.116:                              ;   in Loop: Header=BB937_17 Depth=1
	v_and_b32_e32 v40, 7, v32
	v_ffbh_u32_e32 v44, v40
	v_min_u32_e32 v44, 32, v44
	v_subrev_u32_e32 v52, 28, v44
	v_lshlrev_b64 v[52:53], v52, v[32:33]
	v_lshrrev_b32_e32 v42, 3, v34
	v_sub_u32_e32 v44, 29, v44
	v_and_b32_e32 v52, 7, v52
	v_cmp_gt_u32_e32 vcc, 8, v34
	v_cndmask_b32_e32 v34, v42, v44, vcc
	v_cndmask_b32_e32 v40, v40, v52, vcc
	v_lshlrev_b32_e32 v42, 24, v32
	v_lshlrev_b32_e32 v40, 20, v40
	v_and_b32_e32 v42, 0x80000000, v42
	v_lshl_add_u32 v34, v34, 23, v38
	v_or3_b32 v34, v42, v34, v40
	v_lshrrev_b32_e32 v40, 16, v34
.LBB937_117:                            ;   in Loop: Header=BB937_17 Depth=1
	s_or_b64 exec, exec, s[10:11]
.LBB937_118:                            ;   in Loop: Header=BB937_17 Depth=1
	s_or_b64 exec, exec, s[6:7]
.LBB937_119:                            ;   in Loop: Header=BB937_17 Depth=1
	s_or_b64 exec, exec, s[4:5]
	v_lshrrev_b16_e32 v34, 8, v32
	v_cmp_ne_u16_e32 vcc, 0, v34
	s_and_saveexec_b64 s[4:5], vcc
	s_cbranch_execz .LBB937_125
; %bb.120:                              ;   in Loop: Header=BB937_17 Depth=1
	v_cmp_ne_u16_e32 vcc, s13, v34
	v_mov_b32_e32 v23, 0xffff8000
	s_and_saveexec_b64 s[6:7], vcc
	s_cbranch_execz .LBB937_124
; %bb.121:                              ;   in Loop: Header=BB937_17 Depth=1
	v_and_b32_e32 v42, 0x7f, v34
	v_cmp_ne_u32_e32 vcc, s14, v42
	v_mov_b32_e32 v23, 0x7f80
	s_and_saveexec_b64 s[10:11], vcc
	s_cbranch_execz .LBB937_123
; %bb.122:                              ;   in Loop: Header=BB937_17 Depth=1
	v_and_b32_e32 v23, 7, v34
	v_ffbh_u32_e32 v52, v23
	v_min_u32_e32 v54, 32, v52
	v_subrev_u32_e32 v52, 28, v54
	v_lshlrev_b64 v[52:53], v52, v[34:35]
	v_lshrrev_b32_e32 v44, 3, v42
	v_sub_u32_e32 v34, 29, v54
	v_and_b32_e32 v52, 7, v52
	v_cmp_gt_u32_e32 vcc, 8, v42
	v_cndmask_b32_e32 v34, v44, v34, vcc
	v_cndmask_b32_e32 v23, v23, v52, vcc
	v_lshlrev_b32_e32 v42, 16, v32
	v_lshlrev_b32_e32 v23, 20, v23
	v_and_b32_e32 v42, 0x80000000, v42
	v_lshl_add_u32 v34, v34, 23, v38
	v_or3_b32 v23, v42, v34, v23
	v_lshrrev_b32_e32 v23, 16, v23
.LBB937_123:                            ;   in Loop: Header=BB937_17 Depth=1
	s_or_b64 exec, exec, s[10:11]
.LBB937_124:                            ;   in Loop: Header=BB937_17 Depth=1
	s_or_b64 exec, exec, s[6:7]
.LBB937_125:                            ;   in Loop: Header=BB937_17 Depth=1
	s_or_b64 exec, exec, s[4:5]
	v_lshrrev_b32_e32 v34, 16, v32
	v_cmp_ne_u16_sdwa s[6:7], v34, v35 src0_sel:BYTE_0 src1_sel:DWORD
	v_mov_b32_e32 v44, 0
	v_mov_b32_e32 v42, 0
	s_and_saveexec_b64 s[4:5], s[6:7]
	s_cbranch_execz .LBB937_131
; %bb.126:                              ;   in Loop: Header=BB937_17 Depth=1
	v_cmp_ne_u16_sdwa s[10:11], v34, s13 src0_sel:BYTE_0 src1_sel:DWORD
	v_mov_b32_e32 v42, 0xffff8000
	s_and_saveexec_b64 s[6:7], s[10:11]
	s_cbranch_execz .LBB937_130
; %bb.127:                              ;   in Loop: Header=BB937_17 Depth=1
	v_bfe_u32 v52, v32, 16, 7
	v_cmp_ne_u32_e32 vcc, s14, v52
	v_mov_b32_e32 v42, 0x7f80
	s_and_saveexec_b64 s[10:11], vcc
	s_cbranch_execz .LBB937_129
; %bb.128:                              ;   in Loop: Header=BB937_17 Depth=1
	v_and_b32_e32 v42, 7, v34
	v_ffbh_u32_e32 v54, v42
	v_min_u32_e32 v56, 32, v54
	v_subrev_u32_e32 v54, 28, v56
	v_lshlrev_b64 v[54:55], v54, v[34:35]
	v_lshrrev_b32_e32 v53, 3, v52
	v_sub_u32_e32 v55, 29, v56
	v_and_b32_e32 v54, 7, v54
	v_cmp_gt_u32_e32 vcc, 8, v52
	v_cndmask_b32_e32 v52, v53, v55, vcc
	v_cndmask_b32_e32 v42, v42, v54, vcc
	v_lshlrev_b32_e32 v34, 24, v34
	v_lshlrev_b32_e32 v42, 20, v42
	v_and_b32_e32 v34, 0x80000000, v34
	v_lshl_add_u32 v52, v52, 23, v38
	v_or3_b32 v34, v34, v52, v42
	v_lshrrev_b32_e32 v42, 16, v34
.LBB937_129:                            ;   in Loop: Header=BB937_17 Depth=1
	s_or_b64 exec, exec, s[10:11]
.LBB937_130:                            ;   in Loop: Header=BB937_17 Depth=1
	s_or_b64 exec, exec, s[6:7]
.LBB937_131:                            ;   in Loop: Header=BB937_17 Depth=1
	s_or_b64 exec, exec, s[4:5]
	v_cmp_lt_u32_e32 vcc, s15, v32
	s_and_saveexec_b64 s[4:5], vcc
	s_cbranch_execz .LBB937_137
; %bb.132:                              ;   in Loop: Header=BB937_17 Depth=1
	v_lshrrev_b32_e32 v34, 24, v32
	v_cmp_ne_u32_e32 vcc, s13, v34
	v_mov_b32_e32 v44, 0xffff8000
	s_and_saveexec_b64 s[6:7], vcc
	s_cbranch_execz .LBB937_136
; %bb.133:                              ;   in Loop: Header=BB937_17 Depth=1
	v_bfe_u32 v32, v32, 24, 7
	v_cmp_ne_u32_e32 vcc, s14, v32
	v_mov_b32_e32 v44, 0x7f80
	s_and_saveexec_b64 s[10:11], vcc
	s_cbranch_execz .LBB937_135
; %bb.134:                              ;   in Loop: Header=BB937_17 Depth=1
	v_and_b32_e32 v44, 7, v34
	v_ffbh_u32_e32 v52, v44
	v_min_u32_e32 v55, 32, v52
	v_subrev_u32_e32 v52, 28, v55
	v_lshlrev_b64 v[52:53], v52, v[34:35]
	v_lshrrev_b32_e32 v54, 3, v32
	v_sub_u32_e32 v53, 29, v55
	v_and_b32_e32 v52, 7, v52
	v_cmp_gt_u32_e32 vcc, 8, v32
	v_cndmask_b32_e32 v32, v54, v53, vcc
	v_cndmask_b32_e32 v44, v44, v52, vcc
	v_lshlrev_b32_e32 v34, 24, v34
	v_lshlrev_b32_e32 v44, 20, v44
	v_and_b32_e32 v34, 0x80000000, v34
	v_lshl_add_u32 v32, v32, 23, v38
	v_or3_b32 v32, v34, v32, v44
	v_lshrrev_b32_e32 v44, 16, v32
.LBB937_135:                            ;   in Loop: Header=BB937_17 Depth=1
	s_or_b64 exec, exec, s[10:11]
.LBB937_136:                            ;   in Loop: Header=BB937_17 Depth=1
	s_or_b64 exec, exec, s[6:7]
.LBB937_137:                            ;   in Loop: Header=BB937_17 Depth=1
	s_or_b64 exec, exec, s[4:5]
	s_waitcnt vmcnt(2)
	v_cmp_ne_u16_sdwa s[6:7], v30, v35 src0_sel:BYTE_0 src1_sel:DWORD
	v_mov_b32_e32 v34, 0
	v_mov_b32_e32 v52, 0
	s_and_saveexec_b64 s[4:5], s[6:7]
	s_cbranch_execz .LBB937_143
; %bb.138:                              ;   in Loop: Header=BB937_17 Depth=1
	v_cmp_ne_u16_sdwa s[10:11], v30, s13 src0_sel:BYTE_0 src1_sel:DWORD
	v_mov_b32_e32 v52, 0xffff8000
	s_and_saveexec_b64 s[6:7], s[10:11]
	s_cbranch_execz .LBB937_142
; %bb.139:                              ;   in Loop: Header=BB937_17 Depth=1
	v_and_b32_e32 v32, 0x7f, v30
	v_cmp_ne_u32_e32 vcc, s14, v32
	v_mov_b32_e32 v52, 0x7f80
	s_and_saveexec_b64 s[10:11], vcc
	s_cbranch_execz .LBB937_141
; %bb.140:                              ;   in Loop: Header=BB937_17 Depth=1
	v_and_b32_e32 v54, 7, v30
	v_ffbh_u32_e32 v52, v54
	v_min_u32_e32 v56, 32, v52
	v_subrev_u32_e32 v52, 28, v56
	v_lshlrev_b64 v[52:53], v52, v[30:31]
	v_lshrrev_b32_e32 v55, 3, v32
	v_sub_u32_e32 v53, 29, v56
	v_and_b32_e32 v52, 7, v52
	v_cmp_gt_u32_e32 vcc, 8, v32
	v_cndmask_b32_e32 v32, v55, v53, vcc
	v_cndmask_b32_e32 v52, v54, v52, vcc
	v_lshlrev_b32_e32 v53, 24, v30
	v_lshlrev_b32_e32 v52, 20, v52
	v_and_b32_e32 v53, 0x80000000, v53
	v_lshl_add_u32 v32, v32, 23, v38
	v_or3_b32 v32, v53, v32, v52
	v_lshrrev_b32_e32 v52, 16, v32
.LBB937_141:                            ;   in Loop: Header=BB937_17 Depth=1
	s_or_b64 exec, exec, s[10:11]
.LBB937_142:                            ;   in Loop: Header=BB937_17 Depth=1
	s_or_b64 exec, exec, s[6:7]
.LBB937_143:                            ;   in Loop: Header=BB937_17 Depth=1
	s_or_b64 exec, exec, s[4:5]
	v_lshrrev_b16_e32 v32, 8, v30
	v_cmp_ne_u16_e32 vcc, 0, v32
	s_and_saveexec_b64 s[4:5], vcc
	s_cbranch_execz .LBB937_149
; %bb.144:                              ;   in Loop: Header=BB937_17 Depth=1
	v_cmp_ne_u16_e32 vcc, s13, v32
	v_mov_b32_e32 v34, 0xffff8000
	s_and_saveexec_b64 s[6:7], vcc
	s_cbranch_execz .LBB937_148
; %bb.145:                              ;   in Loop: Header=BB937_17 Depth=1
	v_and_b32_e32 v53, 0x7f, v32
	v_cmp_ne_u32_e32 vcc, s14, v53
	v_mov_b32_e32 v34, 0x7f80
	s_and_saveexec_b64 s[10:11], vcc
	s_cbranch_execz .LBB937_147
; %bb.146:                              ;   in Loop: Header=BB937_17 Depth=1
	v_and_b32_e32 v34, 7, v32
	v_ffbh_u32_e32 v54, v34
	v_min_u32_e32 v57, 32, v54
	v_subrev_u32_e32 v54, 28, v57
	v_lshlrev_b64 v[54:55], v54, v[32:33]
	v_lshrrev_b32_e32 v56, 3, v53
	v_sub_u32_e32 v32, 29, v57
	v_and_b32_e32 v54, 7, v54
	v_cmp_gt_u32_e32 vcc, 8, v53
	v_cndmask_b32_e32 v32, v56, v32, vcc
	v_cndmask_b32_e32 v34, v34, v54, vcc
	v_lshlrev_b32_e32 v53, 16, v30
	v_lshlrev_b32_e32 v34, 20, v34
	v_and_b32_e32 v53, 0x80000000, v53
	v_lshl_add_u32 v32, v32, 23, v38
	v_or3_b32 v32, v53, v32, v34
	v_lshrrev_b32_e32 v34, 16, v32
.LBB937_147:                            ;   in Loop: Header=BB937_17 Depth=1
	s_or_b64 exec, exec, s[10:11]
.LBB937_148:                            ;   in Loop: Header=BB937_17 Depth=1
	s_or_b64 exec, exec, s[6:7]
.LBB937_149:                            ;   in Loop: Header=BB937_17 Depth=1
	s_or_b64 exec, exec, s[4:5]
	v_lshrrev_b32_e32 v32, 16, v30
	v_cmp_ne_u16_sdwa s[6:7], v32, v35 src0_sel:BYTE_0 src1_sel:DWORD
	v_mov_b32_e32 v54, 0
	v_mov_b32_e32 v53, 0
	s_and_saveexec_b64 s[4:5], s[6:7]
	s_cbranch_execz .LBB937_155
; %bb.150:                              ;   in Loop: Header=BB937_17 Depth=1
	v_cmp_ne_u16_sdwa s[10:11], v32, s13 src0_sel:BYTE_0 src1_sel:DWORD
	v_mov_b32_e32 v53, 0xffff8000
	s_and_saveexec_b64 s[6:7], s[10:11]
	s_cbranch_execz .LBB937_154
; %bb.151:                              ;   in Loop: Header=BB937_17 Depth=1
	v_bfe_u32 v55, v30, 16, 7
	v_cmp_ne_u32_e32 vcc, s14, v55
	v_mov_b32_e32 v53, 0x7f80
	s_and_saveexec_b64 s[10:11], vcc
	s_cbranch_execz .LBB937_153
; %bb.152:                              ;   in Loop: Header=BB937_17 Depth=1
	v_and_b32_e32 v53, 7, v32
	v_ffbh_u32_e32 v56, v53
	v_min_u32_e32 v59, 32, v56
	v_subrev_u32_e32 v56, 28, v59
	v_lshlrev_b64 v[56:57], v56, v[32:33]
	v_lshrrev_b32_e32 v58, 3, v55
	v_sub_u32_e32 v57, 29, v59
	v_and_b32_e32 v56, 7, v56
	v_cmp_gt_u32_e32 vcc, 8, v55
	v_cndmask_b32_e32 v55, v58, v57, vcc
	v_cndmask_b32_e32 v53, v53, v56, vcc
	v_lshlrev_b32_e32 v32, 24, v32
	v_lshlrev_b32_e32 v53, 20, v53
	v_and_b32_e32 v32, 0x80000000, v32
	v_lshl_add_u32 v55, v55, 23, v38
	v_or3_b32 v32, v32, v55, v53
	v_lshrrev_b32_e32 v53, 16, v32
.LBB937_153:                            ;   in Loop: Header=BB937_17 Depth=1
	s_or_b64 exec, exec, s[10:11]
.LBB937_154:                            ;   in Loop: Header=BB937_17 Depth=1
	s_or_b64 exec, exec, s[6:7]
.LBB937_155:                            ;   in Loop: Header=BB937_17 Depth=1
	s_or_b64 exec, exec, s[4:5]
	v_cmp_lt_u32_e32 vcc, s15, v30
	s_and_saveexec_b64 s[4:5], vcc
	s_cbranch_execz .LBB937_161
; %bb.156:                              ;   in Loop: Header=BB937_17 Depth=1
	v_lshrrev_b32_e32 v32, 24, v30
	v_cmp_ne_u32_e32 vcc, s13, v32
	v_mov_b32_e32 v54, 0xffff8000
	s_and_saveexec_b64 s[6:7], vcc
	s_cbranch_execz .LBB937_160
; %bb.157:                              ;   in Loop: Header=BB937_17 Depth=1
	v_bfe_u32 v30, v30, 24, 7
	v_cmp_ne_u32_e32 vcc, s14, v30
	v_mov_b32_e32 v54, 0x7f80
	s_and_saveexec_b64 s[10:11], vcc
	s_cbranch_execz .LBB937_159
; %bb.158:                              ;   in Loop: Header=BB937_17 Depth=1
	v_and_b32_e32 v56, 7, v32
	v_ffbh_u32_e32 v54, v56
	v_min_u32_e32 v58, 32, v54
	v_subrev_u32_e32 v54, 28, v58
	v_lshlrev_b64 v[54:55], v54, v[32:33]
	v_lshrrev_b32_e32 v57, 3, v30
	v_sub_u32_e32 v55, 29, v58
	v_and_b32_e32 v54, 7, v54
	v_cmp_gt_u32_e32 vcc, 8, v30
	v_cndmask_b32_e32 v30, v57, v55, vcc
	v_cndmask_b32_e32 v54, v56, v54, vcc
	v_lshlrev_b32_e32 v32, 24, v32
	v_lshlrev_b32_e32 v54, 20, v54
	v_and_b32_e32 v32, 0x80000000, v32
	v_lshl_add_u32 v30, v30, 23, v38
	v_or3_b32 v30, v32, v30, v54
	v_lshrrev_b32_e32 v54, 16, v30
.LBB937_159:                            ;   in Loop: Header=BB937_17 Depth=1
	s_or_b64 exec, exec, s[10:11]
.LBB937_160:                            ;   in Loop: Header=BB937_17 Depth=1
	s_or_b64 exec, exec, s[6:7]
.LBB937_161:                            ;   in Loop: Header=BB937_17 Depth=1
	s_or_b64 exec, exec, s[4:5]
	v_perm_b32 v57, v44, v42, s16
	v_perm_b32 v56, v23, v40, s16
	;; [unrolled: 1-line block ×4, first 2 shown]
	s_waitcnt vmcnt(1)
	v_cmp_ne_u16_sdwa s[6:7], v28, v35 src0_sel:BYTE_0 src1_sel:DWORD
	v_mfma_f32_16x16x16bf16_1k v[18:21], v[56:57], v[10:11], v[18:21]
	v_mov_b32_e32 v23, 0
	v_mov_b32_e32 v32, 0
	v_mfma_f32_16x16x16bf16_1k v[18:21], v[52:53], v[12:13], v[18:21]
	s_and_saveexec_b64 s[4:5], s[6:7]
	s_cbranch_execz .LBB937_167
; %bb.162:                              ;   in Loop: Header=BB937_17 Depth=1
	v_cmp_ne_u16_sdwa s[10:11], v28, s13 src0_sel:BYTE_0 src1_sel:DWORD
	v_mov_b32_e32 v32, 0xffff8000
	s_and_saveexec_b64 s[6:7], s[10:11]
	s_cbranch_execz .LBB937_166
; %bb.163:                              ;   in Loop: Header=BB937_17 Depth=1
	v_and_b32_e32 v30, 0x7f, v28
	v_cmp_ne_u32_e32 vcc, s14, v30
	v_mov_b32_e32 v32, 0x7f80
	s_and_saveexec_b64 s[10:11], vcc
	s_cbranch_execz .LBB937_165
; %bb.164:                              ;   in Loop: Header=BB937_17 Depth=1
	v_and_b32_e32 v32, 7, v28
	v_ffbh_u32_e32 v40, v32
	v_min_u32_e32 v40, 32, v40
	v_subrev_u32_e32 v42, 28, v40
	v_lshlrev_b64 v[52:53], v42, v[28:29]
	v_lshrrev_b32_e32 v34, 3, v30
	v_sub_u32_e32 v40, 29, v40
	v_and_b32_e32 v42, 7, v52
	v_cmp_gt_u32_e32 vcc, 8, v30
	v_cndmask_b32_e32 v30, v34, v40, vcc
	v_cndmask_b32_e32 v32, v32, v42, vcc
	v_lshlrev_b32_e32 v34, 24, v28
	v_lshlrev_b32_e32 v32, 20, v32
	v_and_b32_e32 v34, 0x80000000, v34
	v_lshl_add_u32 v30, v30, 23, v38
	v_or3_b32 v30, v34, v30, v32
	v_lshrrev_b32_e32 v32, 16, v30
.LBB937_165:                            ;   in Loop: Header=BB937_17 Depth=1
	s_or_b64 exec, exec, s[10:11]
.LBB937_166:                            ;   in Loop: Header=BB937_17 Depth=1
	s_or_b64 exec, exec, s[6:7]
.LBB937_167:                            ;   in Loop: Header=BB937_17 Depth=1
	s_or_b64 exec, exec, s[4:5]
	v_lshrrev_b16_e32 v30, 8, v28
	v_cmp_ne_u16_e32 vcc, 0, v30
	s_and_saveexec_b64 s[4:5], vcc
	s_cbranch_execz .LBB937_173
; %bb.168:                              ;   in Loop: Header=BB937_17 Depth=1
	v_cmp_ne_u16_e32 vcc, s13, v30
	v_mov_b32_e32 v23, 0xffff8000
	s_and_saveexec_b64 s[6:7], vcc
	s_cbranch_execz .LBB937_172
; %bb.169:                              ;   in Loop: Header=BB937_17 Depth=1
	v_and_b32_e32 v34, 0x7f, v30
	v_cmp_ne_u32_e32 vcc, s14, v34
	v_mov_b32_e32 v23, 0x7f80
	s_and_saveexec_b64 s[10:11], vcc
	s_cbranch_execz .LBB937_171
; %bb.170:                              ;   in Loop: Header=BB937_17 Depth=1
	v_and_b32_e32 v23, 7, v30
	v_ffbh_u32_e32 v42, v23
	v_min_u32_e32 v42, 32, v42
	v_subrev_u32_e32 v44, 28, v42
	v_lshlrev_b64 v[52:53], v44, v[30:31]
	v_lshrrev_b32_e32 v40, 3, v34
	v_sub_u32_e32 v30, 29, v42
	v_and_b32_e32 v42, 7, v52
	v_cmp_gt_u32_e32 vcc, 8, v34
	v_cndmask_b32_e32 v30, v40, v30, vcc
	v_cndmask_b32_e32 v23, v23, v42, vcc
	v_lshlrev_b32_e32 v34, 16, v28
	v_lshlrev_b32_e32 v23, 20, v23
	v_and_b32_e32 v34, 0x80000000, v34
	v_lshl_add_u32 v30, v30, 23, v38
	v_or3_b32 v23, v34, v30, v23
	v_lshrrev_b32_e32 v23, 16, v23
.LBB937_171:                            ;   in Loop: Header=BB937_17 Depth=1
	s_or_b64 exec, exec, s[10:11]
.LBB937_172:                            ;   in Loop: Header=BB937_17 Depth=1
	s_or_b64 exec, exec, s[6:7]
.LBB937_173:                            ;   in Loop: Header=BB937_17 Depth=1
	s_or_b64 exec, exec, s[4:5]
	v_lshrrev_b32_e32 v30, 16, v28
	v_cmp_ne_u16_sdwa s[6:7], v30, v35 src0_sel:BYTE_0 src1_sel:DWORD
	v_mov_b32_e32 v40, 0
	v_mov_b32_e32 v34, 0
	s_and_saveexec_b64 s[4:5], s[6:7]
	s_cbranch_execz .LBB937_179
; %bb.174:                              ;   in Loop: Header=BB937_17 Depth=1
	v_cmp_ne_u16_sdwa s[10:11], v30, s13 src0_sel:BYTE_0 src1_sel:DWORD
	v_mov_b32_e32 v34, 0xffff8000
	s_and_saveexec_b64 s[6:7], s[10:11]
	s_cbranch_execz .LBB937_178
; %bb.175:                              ;   in Loop: Header=BB937_17 Depth=1
	v_bfe_u32 v42, v28, 16, 7
	v_cmp_ne_u32_e32 vcc, s14, v42
	v_mov_b32_e32 v34, 0x7f80
	s_and_saveexec_b64 s[10:11], vcc
	s_cbranch_execz .LBB937_177
; %bb.176:                              ;   in Loop: Header=BB937_17 Depth=1
	v_and_b32_e32 v34, 7, v30
	v_ffbh_u32_e32 v52, v34
	v_min_u32_e32 v54, 32, v52
	v_subrev_u32_e32 v52, 28, v54
	v_lshlrev_b64 v[52:53], v52, v[30:31]
	v_lshrrev_b32_e32 v44, 3, v42
	v_sub_u32_e32 v53, 29, v54
	v_and_b32_e32 v52, 7, v52
	v_cmp_gt_u32_e32 vcc, 8, v42
	v_cndmask_b32_e32 v42, v44, v53, vcc
	v_cndmask_b32_e32 v34, v34, v52, vcc
	v_lshlrev_b32_e32 v30, 24, v30
	v_lshlrev_b32_e32 v34, 20, v34
	v_and_b32_e32 v30, 0x80000000, v30
	v_lshl_add_u32 v42, v42, 23, v38
	v_or3_b32 v30, v30, v42, v34
	v_lshrrev_b32_e32 v34, 16, v30
.LBB937_177:                            ;   in Loop: Header=BB937_17 Depth=1
	s_or_b64 exec, exec, s[10:11]
.LBB937_178:                            ;   in Loop: Header=BB937_17 Depth=1
	s_or_b64 exec, exec, s[6:7]
.LBB937_179:                            ;   in Loop: Header=BB937_17 Depth=1
	s_or_b64 exec, exec, s[4:5]
	v_cmp_lt_u32_e32 vcc, s15, v28
	s_and_saveexec_b64 s[4:5], vcc
	s_cbranch_execz .LBB937_185
; %bb.180:                              ;   in Loop: Header=BB937_17 Depth=1
	v_lshrrev_b32_e32 v30, 24, v28
	v_cmp_ne_u32_e32 vcc, s13, v30
	v_mov_b32_e32 v40, 0xffff8000
	s_and_saveexec_b64 s[6:7], vcc
	s_cbranch_execz .LBB937_184
; %bb.181:                              ;   in Loop: Header=BB937_17 Depth=1
	v_bfe_u32 v28, v28, 24, 7
	v_cmp_ne_u32_e32 vcc, s14, v28
	v_mov_b32_e32 v40, 0x7f80
	s_and_saveexec_b64 s[10:11], vcc
	s_cbranch_execz .LBB937_183
; %bb.182:                              ;   in Loop: Header=BB937_17 Depth=1
	v_and_b32_e32 v40, 7, v30
	v_ffbh_u32_e32 v44, v40
	v_min_u32_e32 v44, 32, v44
	v_subrev_u32_e32 v52, 28, v44
	v_lshlrev_b64 v[52:53], v52, v[30:31]
	v_lshrrev_b32_e32 v42, 3, v28
	v_sub_u32_e32 v44, 29, v44
	v_and_b32_e32 v52, 7, v52
	v_cmp_gt_u32_e32 vcc, 8, v28
	v_cndmask_b32_e32 v28, v42, v44, vcc
	v_cndmask_b32_e32 v40, v40, v52, vcc
	v_lshlrev_b32_e32 v30, 24, v30
	v_lshlrev_b32_e32 v40, 20, v40
	v_and_b32_e32 v30, 0x80000000, v30
	v_lshl_add_u32 v28, v28, 23, v38
	v_or3_b32 v28, v30, v28, v40
	v_lshrrev_b32_e32 v40, 16, v28
.LBB937_183:                            ;   in Loop: Header=BB937_17 Depth=1
	s_or_b64 exec, exec, s[10:11]
.LBB937_184:                            ;   in Loop: Header=BB937_17 Depth=1
	s_or_b64 exec, exec, s[6:7]
.LBB937_185:                            ;   in Loop: Header=BB937_17 Depth=1
	s_or_b64 exec, exec, s[4:5]
	s_waitcnt vmcnt(0)
	v_cmp_ne_u16_sdwa s[6:7], v26, v35 src0_sel:BYTE_0 src1_sel:DWORD
	v_mov_b32_e32 v30, 0
	v_mov_b32_e32 v42, 0
	s_and_saveexec_b64 s[4:5], s[6:7]
	s_cbranch_execz .LBB937_191
; %bb.186:                              ;   in Loop: Header=BB937_17 Depth=1
	v_cmp_ne_u16_sdwa s[10:11], v26, s13 src0_sel:BYTE_0 src1_sel:DWORD
	v_mov_b32_e32 v42, 0xffff8000
	s_and_saveexec_b64 s[6:7], s[10:11]
	s_cbranch_execz .LBB937_190
; %bb.187:                              ;   in Loop: Header=BB937_17 Depth=1
	v_and_b32_e32 v28, 0x7f, v26
	v_cmp_ne_u32_e32 vcc, s14, v28
	v_mov_b32_e32 v42, 0x7f80
	s_and_saveexec_b64 s[10:11], vcc
	s_cbranch_execz .LBB937_189
; %bb.188:                              ;   in Loop: Header=BB937_17 Depth=1
	v_and_b32_e32 v42, 7, v26
	v_ffbh_u32_e32 v52, v42
	v_min_u32_e32 v54, 32, v52
	v_subrev_u32_e32 v52, 28, v54
	v_lshlrev_b64 v[52:53], v52, v[26:27]
	v_lshrrev_b32_e32 v44, 3, v28
	v_sub_u32_e32 v53, 29, v54
	v_and_b32_e32 v52, 7, v52
	v_cmp_gt_u32_e32 vcc, 8, v28
	v_cndmask_b32_e32 v28, v44, v53, vcc
	v_cndmask_b32_e32 v42, v42, v52, vcc
	v_lshlrev_b32_e32 v44, 24, v26
	v_lshlrev_b32_e32 v42, 20, v42
	v_and_b32_e32 v44, 0x80000000, v44
	v_lshl_add_u32 v28, v28, 23, v38
	v_or3_b32 v28, v44, v28, v42
	v_lshrrev_b32_e32 v42, 16, v28
.LBB937_189:                            ;   in Loop: Header=BB937_17 Depth=1
	s_or_b64 exec, exec, s[10:11]
.LBB937_190:                            ;   in Loop: Header=BB937_17 Depth=1
	s_or_b64 exec, exec, s[6:7]
.LBB937_191:                            ;   in Loop: Header=BB937_17 Depth=1
	s_or_b64 exec, exec, s[4:5]
	v_lshrrev_b16_e32 v28, 8, v26
	v_cmp_ne_u16_e32 vcc, 0, v28
	s_and_saveexec_b64 s[4:5], vcc
	s_cbranch_execz .LBB937_197
; %bb.192:                              ;   in Loop: Header=BB937_17 Depth=1
	v_cmp_ne_u16_e32 vcc, s13, v28
	v_mov_b32_e32 v30, 0xffff8000
	s_and_saveexec_b64 s[6:7], vcc
	s_cbranch_execz .LBB937_196
; %bb.193:                              ;   in Loop: Header=BB937_17 Depth=1
	v_and_b32_e32 v44, 0x7f, v28
	v_cmp_ne_u32_e32 vcc, s14, v44
	v_mov_b32_e32 v30, 0x7f80
	s_and_saveexec_b64 s[10:11], vcc
	s_cbranch_execz .LBB937_195
; %bb.194:                              ;   in Loop: Header=BB937_17 Depth=1
	v_and_b32_e32 v30, 7, v28
	v_ffbh_u32_e32 v52, v30
	v_min_u32_e32 v55, 32, v52
	v_subrev_u32_e32 v52, 28, v55
	v_lshlrev_b64 v[52:53], v52, v[28:29]
	v_lshrrev_b32_e32 v54, 3, v44
	v_sub_u32_e32 v28, 29, v55
	v_and_b32_e32 v52, 7, v52
	v_cmp_gt_u32_e32 vcc, 8, v44
	v_cndmask_b32_e32 v28, v54, v28, vcc
	v_cndmask_b32_e32 v30, v30, v52, vcc
	v_lshlrev_b32_e32 v44, 16, v26
	v_lshlrev_b32_e32 v30, 20, v30
	v_and_b32_e32 v44, 0x80000000, v44
	v_lshl_add_u32 v28, v28, 23, v38
	v_or3_b32 v28, v44, v28, v30
	v_lshrrev_b32_e32 v30, 16, v28
.LBB937_195:                            ;   in Loop: Header=BB937_17 Depth=1
	s_or_b64 exec, exec, s[10:11]
.LBB937_196:                            ;   in Loop: Header=BB937_17 Depth=1
	s_or_b64 exec, exec, s[6:7]
.LBB937_197:                            ;   in Loop: Header=BB937_17 Depth=1
	s_or_b64 exec, exec, s[4:5]
	v_lshrrev_b32_e32 v28, 16, v26
	v_cmp_ne_u16_sdwa s[6:7], v28, v35 src0_sel:BYTE_0 src1_sel:DWORD
	v_mov_b32_e32 v52, 0
	v_mov_b32_e32 v44, 0
	s_and_saveexec_b64 s[4:5], s[6:7]
	s_cbranch_execz .LBB937_203
; %bb.198:                              ;   in Loop: Header=BB937_17 Depth=1
	v_cmp_ne_u16_sdwa s[10:11], v28, s13 src0_sel:BYTE_0 src1_sel:DWORD
	v_mov_b32_e32 v44, 0xffff8000
	s_and_saveexec_b64 s[6:7], s[10:11]
	s_cbranch_execz .LBB937_202
; %bb.199:                              ;   in Loop: Header=BB937_17 Depth=1
	v_bfe_u32 v53, v26, 16, 7
	v_cmp_ne_u32_e32 vcc, s14, v53
	v_mov_b32_e32 v44, 0x7f80
	s_and_saveexec_b64 s[10:11], vcc
	s_cbranch_execz .LBB937_201
; %bb.200:                              ;   in Loop: Header=BB937_17 Depth=1
	v_and_b32_e32 v44, 7, v28
	v_ffbh_u32_e32 v54, v44
	v_min_u32_e32 v57, 32, v54
	v_subrev_u32_e32 v54, 28, v57
	v_lshlrev_b64 v[54:55], v54, v[28:29]
	v_lshrrev_b32_e32 v56, 3, v53
	v_sub_u32_e32 v55, 29, v57
	v_and_b32_e32 v54, 7, v54
	v_cmp_gt_u32_e32 vcc, 8, v53
	v_cndmask_b32_e32 v53, v56, v55, vcc
	v_cndmask_b32_e32 v44, v44, v54, vcc
	v_lshlrev_b32_e32 v28, 24, v28
	v_lshlrev_b32_e32 v44, 20, v44
	v_and_b32_e32 v28, 0x80000000, v28
	v_lshl_add_u32 v53, v53, 23, v38
	v_or3_b32 v28, v28, v53, v44
	v_lshrrev_b32_e32 v44, 16, v28
.LBB937_201:                            ;   in Loop: Header=BB937_17 Depth=1
	s_or_b64 exec, exec, s[10:11]
.LBB937_202:                            ;   in Loop: Header=BB937_17 Depth=1
	s_or_b64 exec, exec, s[6:7]
.LBB937_203:                            ;   in Loop: Header=BB937_17 Depth=1
	s_or_b64 exec, exec, s[4:5]
	v_cmp_lt_u32_e32 vcc, s15, v26
	s_and_saveexec_b64 s[4:5], vcc
	s_cbranch_execz .LBB937_16
; %bb.204:                              ;   in Loop: Header=BB937_17 Depth=1
	v_lshrrev_b32_e32 v28, 24, v26
	v_cmp_ne_u32_e32 vcc, s13, v28
	v_mov_b32_e32 v52, 0xffff8000
	s_and_saveexec_b64 s[6:7], vcc
	s_cbranch_execz .LBB937_15
; %bb.205:                              ;   in Loop: Header=BB937_17 Depth=1
	v_bfe_u32 v26, v26, 24, 7
	v_cmp_ne_u32_e32 vcc, s14, v26
	v_mov_b32_e32 v52, 0x7f80
	s_and_saveexec_b64 s[10:11], vcc
	s_cbranch_execz .LBB937_14
; %bb.206:                              ;   in Loop: Header=BB937_17 Depth=1
	v_and_b32_e32 v54, 7, v28
	v_ffbh_u32_e32 v52, v54
	v_min_u32_e32 v56, 32, v52
	v_subrev_u32_e32 v52, 28, v56
	v_lshlrev_b64 v[52:53], v52, v[28:29]
	v_lshrrev_b32_e32 v55, 3, v26
	v_sub_u32_e32 v53, 29, v56
	v_and_b32_e32 v52, 7, v52
	v_cmp_gt_u32_e32 vcc, 8, v26
	v_cndmask_b32_e32 v26, v55, v53, vcc
	v_cndmask_b32_e32 v52, v54, v52, vcc
	v_lshlrev_b32_e32 v28, 24, v28
	v_lshlrev_b32_e32 v52, 20, v52
	v_and_b32_e32 v28, 0x80000000, v28
	v_lshl_add_u32 v26, v26, 23, v38
	v_or3_b32 v26, v28, v26, v52
	v_lshrrev_b32_e32 v52, 16, v26
	s_branch .LBB937_14
.LBB937_207:
	buffer_load_dword v17, off, s[0:3], 0 offset:256
	buffer_load_dword v16, off, s[0:3], 0 offset:260
	;; [unrolled: 1-line block ×16, first 2 shown]
	v_and_b32_e32 v18, 0xc0, v0
	v_add_u32_e32 v18, s20, v18
	v_lshl_or_b32 v18, v1, 2, v18
	v_or_b32_e32 v20, 1, v18
	v_subrev_u32_e32 v24, s33, v20
	v_add_u32_e32 v26, 1, v24
	v_cvt_f32_i32_e32 v25, v24
	v_add_u32_e32 v28, 2, v24
	v_add_u32_e32 v30, 3, v24
	;; [unrolled: 1-line block ×14, first 2 shown]
	v_cvt_f32_i32_e32 v26, v26
	v_cvt_f32_i32_e32 v28, v28
	;; [unrolled: 1-line block ×4, first 2 shown]
	v_mov_b32_e32 v19, 0xff7fffff
	v_or_b32_e32 v21, 2, v18
	v_or_b32_e32 v22, 3, v18
	v_cvt_f32_i32_e32 v32, v32
	v_cvt_f32_i32_e32 v34, v34
	v_cmp_gt_i32_e64 s[28:29], s33, v18
	v_cmp_gt_i32_e64 s[30:31], s33, v20
	s_mov_b32 s52, 0xff7fffff
	v_cmp_gt_i32_e64 s[34:35], s33, v21
	v_cmp_gt_i32_e64 s[36:37], s33, v22
	v_or_b32_e32 v23, 16, v18
	v_cvt_f32_i32_e32 v35, v35
	v_cvt_f32_i32_e32 v36, v36
	v_cmp_gt_i32_e64 s[24:25], s33, v23
	v_cvt_f32_i32_e32 v37, v37
	v_cvt_f32_i32_e32 v38, v38
	;; [unrolled: 1-line block ×7, first 2 shown]
	s_waitcnt vmcnt(15)
	v_fmac_f32_e32 v17, v31, v25
	s_waitcnt vmcnt(14)
	v_fmac_f32_e32 v16, v31, v26
	;; [unrolled: 2-line block ×4, first 2 shown]
	v_cndmask_b32_e64 v20, v19, v16, s[30:31]
	v_cndmask_b32_e64 v21, v19, v15, s[34:35]
	;; [unrolled: 1-line block ×3, first 2 shown]
	s_waitcnt vmcnt(11)
	v_fmac_f32_e32 v13, v31, v32
	s_waitcnt vmcnt(10)
	v_fmac_f32_e32 v12, v31, v34
	;; [unrolled: 2-line block ×9, first 2 shown]
	v_cndmask_b32_e64 v24, v19, v17, s[28:29]
	v_max3_f32 v20, v24, s52, v20
	v_max3_f32 v20, v20, v21, v22
	v_or_b32_e32 v22, 17, v18
	v_cmp_gt_i32_e64 s[38:39], s33, v22
	v_cndmask_b32_e64 v21, v19, v13, s[24:25]
	v_cndmask_b32_e64 v22, v19, v12, s[38:39]
	v_max3_f32 v20, v20, v21, v22
	v_or_b32_e32 v21, 18, v18
	v_or_b32_e32 v22, 19, v18
	v_cmp_gt_i32_e64 s[20:21], s33, v21
	v_cmp_gt_i32_e64 s[22:23], s33, v22
	v_cndmask_b32_e64 v21, v19, v11, s[20:21]
	v_cndmask_b32_e64 v22, v19, v10, s[22:23]
	v_max3_f32 v20, v20, v21, v22
	v_or_b32_e32 v21, 32, v18
	v_or_b32_e32 v22, 33, v18
	v_cmp_gt_i32_e64 s[16:17], s33, v21
	;; [unrolled: 7-line block ×3, first 2 shown]
	v_cmp_gt_i32_e64 s[14:15], s33, v22
	v_cndmask_b32_e64 v21, v19, v7, s[12:13]
	v_cndmask_b32_e64 v22, v19, v6, s[14:15]
	v_max3_f32 v20, v20, v21, v22
	v_or_b32_e32 v21, 48, v18
	v_or_b32_e32 v22, 49, v18
	v_fmac_f32_e32 v5, v31, v44
	v_fmac_f32_e32 v4, v31, v52
	v_cmp_gt_i32_e64 s[6:7], s33, v21
	v_cmp_gt_i32_e64 s[10:11], s33, v22
	v_cndmask_b32_e64 v21, v19, v5, s[6:7]
	v_cndmask_b32_e64 v22, v19, v4, s[10:11]
	v_max3_f32 v20, v20, v21, v22
	v_or_b32_e32 v21, 50, v18
	v_or_b32_e32 v18, 51, v18
	v_fmac_f32_e32 v3, v31, v53
	v_cmp_gt_i32_e32 vcc, s33, v21
	v_cmp_gt_i32_e64 s[4:5], s33, v18
	v_cndmask_b32_e32 v21, v19, v3, vcc
	v_cndmask_b32_e64 v18, v19, v2, s[4:5]
	v_mbcnt_lo_u32_b32 v19, -1, 0
	v_mbcnt_hi_u32_b32 v19, -1, v19
	v_max3_f32 v18, v20, v21, v18
	v_and_b32_e32 v20, 64, v19
	v_add_u32_e32 v20, 64, v20
	v_xor_b32_e32 v21, 32, v19
	v_cmp_lt_i32_e64 s[40:41], v21, v20
	v_cndmask_b32_e64 v21, v19, v21, s[40:41]
	v_lshlrev_b32_e32 v21, 2, v21
	ds_bpermute_b32 v22, v21, v18
	s_waitcnt lgkmcnt(0)
	v_max_f32_e32 v22, v22, v22
	v_max_f32_e32 v18, v18, v22
	v_xor_b32_e32 v22, 16, v19
	v_cmp_lt_i32_e64 s[40:41], v22, v20
	v_cndmask_b32_e64 v19, v19, v22, s[40:41]
	v_lshlrev_b32_e32 v19, 2, v19
	ds_bpermute_b32 v20, v19, v18
	s_waitcnt lgkmcnt(0)
	v_max_f32_e32 v20, v20, v20
	v_max_f32_e32 v18, v18, v20
	v_sub_f32_e32 v17, v17, v18
	v_mul_f32_e32 v17, 0x3fb8aa3b, v17
	v_sub_f32_e32 v16, v16, v18
	v_exp_f32_e32 v17, v17
	v_mul_f32_e32 v16, 0x3fb8aa3b, v16
	v_sub_f32_e32 v15, v15, v18
	v_exp_f32_e32 v16, v16
	;; [unrolled: 3-line block ×4, first 2 shown]
	v_mul_f32_e32 v13, 0x3fb8aa3b, v13
	v_sub_f32_e32 v12, v12, v18
	v_cndmask_b32_e64 v17, 0, v17, s[28:29]
	v_exp_f32_e32 v13, v13
	v_mul_f32_e32 v12, 0x3fb8aa3b, v12
	v_sub_f32_e32 v11, v11, v18
	v_add_f32_e32 v20, 0, v17
	v_cndmask_b32_e64 v16, 0, v16, s[30:31]
	v_exp_f32_e32 v12, v12
	v_mul_f32_e32 v11, 0x3fb8aa3b, v11
	v_sub_f32_e32 v10, v10, v18
	v_add_f32_e32 v20, v20, v16
	;; [unrolled: 5-line block ×4, first 2 shown]
	v_cndmask_b32_e64 v13, 0, v13, s[24:25]
	v_exp_f32_e32 v9, v9
	v_mul_f32_e32 v8, 0x3fb8aa3b, v8
	v_sub_f32_e32 v7, v7, v18
	buffer_store_dword v17, off, s[0:3], 0 offset:256
	buffer_store_dword v16, off, s[0:3], 0 offset:260
	;; [unrolled: 1-line block ×4, first 2 shown]
	v_add_f32_e32 v14, v20, v13
	v_cndmask_b32_e64 v12, 0, v12, s[38:39]
	v_exp_f32_e32 v8, v8
	v_mul_f32_e32 v7, 0x3fb8aa3b, v7
	v_sub_f32_e32 v6, v6, v18
	v_add_f32_e32 v14, v14, v12
	v_cndmask_b32_e64 v11, 0, v11, s[20:21]
	v_exp_f32_e32 v7, v7
	v_mul_f32_e32 v6, 0x3fb8aa3b, v6
	v_sub_f32_e32 v5, v5, v18
	;; [unrolled: 5-line block ×4, first 2 shown]
	buffer_store_dword v13, off, s[0:3], 0 offset:272
	buffer_store_dword v12, off, s[0:3], 0 offset:276
	;; [unrolled: 1-line block ×4, first 2 shown]
	v_add_f32_e32 v10, v14, v9
	v_cndmask_b32_e64 v8, 0, v8, s[18:19]
	v_exp_f32_e32 v4, v4
	v_mul_f32_e32 v3, 0x3fb8aa3b, v3
	v_sub_f32_e32 v2, v2, v18
	v_add_f32_e32 v10, v10, v8
	v_cndmask_b32_e64 v7, 0, v7, s[12:13]
	v_exp_f32_e32 v3, v3
	v_mul_f32_e32 v2, 0x3fb8aa3b, v2
	v_add_f32_e32 v10, v10, v7
	v_cndmask_b32_e64 v6, 0, v6, s[14:15]
	v_exp_f32_e32 v2, v2
	v_add_f32_e32 v10, v10, v6
	v_cndmask_b32_e64 v5, 0, v5, s[6:7]
	buffer_store_dword v9, off, s[0:3], 0 offset:288
	buffer_store_dword v8, off, s[0:3], 0 offset:292
	;; [unrolled: 1-line block ×4, first 2 shown]
	v_add_f32_e32 v6, v10, v5
	v_cndmask_b32_e64 v4, 0, v4, s[10:11]
	v_add_f32_e32 v6, v6, v4
	v_cndmask_b32_e32 v3, 0, v3, vcc
	v_add_f32_e32 v6, v6, v3
	v_cndmask_b32_e64 v2, 0, v2, s[4:5]
	v_add_f32_e32 v6, v6, v2
	ds_bpermute_b32 v7, v21, v6
	buffer_store_dword v5, off, s[0:3], 0 offset:304
	buffer_store_dword v4, off, s[0:3], 0 offset:308
	;; [unrolled: 1-line block ×4, first 2 shown]
	v_cmp_gt_u32_e32 vcc, 16, v33
	s_waitcnt lgkmcnt(0)
	s_barrier
	v_add_f32_e32 v2, v6, v7
	ds_bpermute_b32 v3, v19, v2
	s_waitcnt lgkmcnt(0)
	s_and_saveexec_b64 s[4:5], vcc
	s_cbranch_execz .LBB937_209
; %bb.208:
	v_add_f32_e32 v2, v2, v3
	v_lshlrev_b32_e32 v3, 2, v29
	ds_write2st64_b32 v3, v18, v2 offset1:1
.LBB937_209:
	s_or_b64 exec, exec, s[4:5]
	v_lshlrev_b32_e32 v2, 2, v41
	s_waitcnt lgkmcnt(0)
	s_barrier
	ds_read2_b32 v[14:15], v2 offset1:16
	ds_read2_b32 v[16:17], v2 offset0:32 offset1:48
	ds_read2_b32 v[6:7], v2 offset0:64 offset1:80
	;; [unrolled: 1-line block ×3, first 2 shown]
	s_waitcnt lgkmcnt(0)
	s_barrier
	buffer_load_dword v22, off, s[0:3], 0 offset:264
	buffer_load_dword v23, off, s[0:3], 0 offset:268
	;; [unrolled: 1-line block ×16, first 2 shown]
	v_max3_f32 v20, v14, s52, v15
	v_max3_f32 v20, v20, v16, v17
	v_sub_f32_e32 v14, v14, v20
	v_sub_f32_e32 v15, v15, v20
	v_mul_f32_e32 v14, 0x3fb8aa3b, v14
	v_sub_f32_e32 v16, v16, v20
	v_mul_f32_e32 v15, 0x3fb8aa3b, v15
	v_exp_f32_e32 v14, v14
	v_sub_f32_e32 v17, v17, v20
	v_mul_f32_e32 v16, 0x3fb8aa3b, v16
	v_exp_f32_e32 v15, v15
	v_mul_f32_e32 v17, 0x3fb8aa3b, v17
	v_exp_f32_e32 v16, v16
	v_exp_f32_e32 v17, v17
	v_fma_f32 v6, v14, v6, 0
	v_fmac_f32_e32 v6, v15, v7
	v_fmac_f32_e32 v6, v16, v12
	;; [unrolled: 1-line block ×3, first 2 shown]
	v_cmp_eq_u32_e32 vcc, 1, v27
	v_add_f32_e32 v12, 0x358637bd, v6
	v_cndmask_b32_e32 v14, v14, v15, vcc
	v_cmp_eq_u32_e32 vcc, 2, v27
	v_div_scale_f32 v13, s[4:5], v12, v12, 1.0
	v_cndmask_b32_e32 v7, v14, v16, vcc
	v_rcp_f32_e32 v14, v13
	v_cmp_eq_u32_e32 vcc, 3, v27
	v_cndmask_b32_e32 v7, v7, v17, vcc
	v_div_scale_f32 v15, vcc, 1.0, v12, 1.0
	v_fma_f32 v16, -v13, v14, 1.0
	v_fmac_f32_e32 v14, v16, v14
	v_mul_f32_e32 v16, v15, v14
	v_fma_f32 v17, -v13, v16, v15
	v_fmac_f32_e32 v16, v17, v14
	v_fma_f32 v13, -v13, v16, v15
	v_div_fmas_f32 v13, v13, v14, v16
	v_div_fixup_f32 v12, v13, v12, 1.0
	v_mul_f32_e32 v12, v7, v12
	s_movk_i32 s19, 0x7fff
	s_mov_b32 s20, 0x7060302
	s_mul_i32 s18, s49, 12
	v_cmp_gt_u32_e32 vcc, 12, v0
	s_waitcnt vmcnt(14)
	v_pk_mul_f32 v[14:15], v[12:13], v[22:23] op_sel_hi:[0,1]
	v_bfe_u32 v21, v15, 16, 1
	s_waitcnt vmcnt(12)
	v_pk_mul_f32 v[16:17], v[12:13], v[24:25] op_sel_hi:[0,1]
	v_bfe_u32 v7, v17, 16, 1
	v_bfe_u32 v13, v16, 16, 1
	;; [unrolled: 1-line block ×3, first 2 shown]
	v_add3_u32 v13, v16, v13, s19
	v_add3_u32 v7, v17, v7, s19
	buffer_store_dword v16, off, s[0:3], 0 offset:256
	buffer_store_dword v17, off, s[0:3], 0 offset:260
	;; [unrolled: 1-line block ×4, first 2 shown]
	v_add3_u32 v16, v14, v22, s19
	v_add3_u32 v15, v15, v21, s19
	v_perm_b32 v14, v7, v13, s20
	v_lshlrev_b32_e32 v13, 3, v1
	v_perm_b32 v15, v15, v16, s20
	v_lshlrev_b32_e32 v7, 5, v41
	v_lshlrev_b32_e32 v16, 11, v27
	s_waitcnt vmcnt(12)
	v_pk_mul_f32 v[8:9], v[12:13], v[8:9] op_sel_hi:[0,1]
	v_or3_b32 v52, v16, v7, v13
	v_pk_mul_f32 v[10:11], v[12:13], v[10:11] op_sel_hi:[0,1]
	v_bfe_u32 v13, v9, 16, 1
	v_bfe_u32 v16, v8, 16, 1
	buffer_store_dword v8, off, s[0:3], 0 offset:272
	buffer_store_dword v9, off, s[0:3], 0 offset:276
	;; [unrolled: 1-line block ×4, first 2 shown]
	v_add3_u32 v8, v8, v16, s19
	v_add3_u32 v9, v9, v13, s19
	v_perm_b32 v8, v9, v8, s20
	v_bfe_u32 v9, v11, 16, 1
	v_bfe_u32 v13, v10, 16, 1
	v_add3_u32 v10, v10, v13, s19
	v_add3_u32 v9, v11, v9, s19
	v_perm_b32 v9, v9, v10, s20
	s_waitcnt vmcnt(14)
	v_pk_mul_f32 v[10:11], v[12:13], v[18:19] op_sel_hi:[0,1]
	ds_write2st64_b64 v52, v[14:15], v[8:9] offset1:1
	s_waitcnt vmcnt(12)
	v_pk_mul_f32 v[8:9], v[12:13], v[28:29] op_sel_hi:[0,1]
	v_bfe_u32 v13, v11, 16, 1
	v_bfe_u32 v14, v10, 16, 1
	buffer_store_dword v10, off, s[0:3], 0 offset:288
	buffer_store_dword v11, off, s[0:3], 0 offset:292
	buffer_store_dword v8, off, s[0:3], 0 offset:296
	buffer_store_dword v9, off, s[0:3], 0 offset:300
	v_add3_u32 v10, v10, v14, s19
	v_add3_u32 v11, v11, v13, s19
	v_perm_b32 v10, v11, v10, s20
	v_bfe_u32 v11, v9, 16, 1
	v_bfe_u32 v13, v8, 16, 1
	v_add3_u32 v8, v8, v13, s19
	v_add3_u32 v9, v9, v11, s19
	s_waitcnt vmcnt(14)
	v_pk_mul_f32 v[2:3], v[12:13], v[2:3] op_sel_hi:[0,1]
	v_perm_b32 v11, v9, v8, s20
	v_bfe_u32 v8, v3, 16, 1
	v_bfe_u32 v9, v2, 16, 1
	s_waitcnt vmcnt(12)
	v_pk_mul_f32 v[4:5], v[12:13], v[4:5] op_sel_hi:[0,1]
	buffer_store_dword v2, off, s[0:3], 0 offset:304
	buffer_store_dword v3, off, s[0:3], 0 offset:308
	;; [unrolled: 1-line block ×4, first 2 shown]
	v_add3_u32 v2, v2, v9, s19
	v_add3_u32 v3, v3, v8, s19
	v_perm_b32 v2, v3, v2, s20
	v_bfe_u32 v3, v5, 16, 1
	v_bfe_u32 v8, v4, 16, 1
	v_add3_u32 v4, v4, v8, s19
	v_add3_u32 v3, v5, v3, s19
	v_perm_b32 v3, v3, v4, s20
	ds_write2st64_b64 v52, v[10:11], v[2:3] offset0:2 offset1:3
	s_and_saveexec_b64 s[4:5], vcc
	s_cbranch_execz .LBB937_211
; %bb.210:
	v_add_co_u32_e32 v4, vcc, s27, v41
	v_addc_co_u32_e64 v5, s[6:7], 0, 0, vcc
	v_mov_b32_e32 v2, s18
	v_mad_u64_u32 v[4:5], s[6:7], s8, v2, v[4:5]
	v_mov_b32_e32 v3, 0
	s_mul_i32 s6, s9, s18
	v_mov_b32_e32 v2, s26
	v_add_u32_e32 v5, s6, v5
	v_mad_u64_u32 v[2:3], s[6:7], v4, s48, v[2:3]
	v_mov_b32_e32 v4, v3
	v_mad_u64_u32 v[4:5], s[6:7], v5, s48, v[4:5]
	v_mov_b32_e32 v3, v4
	v_lshlrev_b64 v[2:3], 2, v[2:3]
	v_mov_b32_e32 v5, s47
	v_add_co_u32_e32 v4, vcc, s46, v2
	v_addc_co_u32_e32 v5, vcc, v5, v3, vcc
	global_store_dword v[4:5], v20, off
	v_mov_b32_e32 v4, s45
	v_add_co_u32_e32 v2, vcc, s44, v2
	v_addc_co_u32_e32 v3, vcc, v4, v3, vcc
	global_store_dword v[2:3], v6, off
.LBB937_211:
	s_or_b64 exec, exec, s[4:5]
	v_lshl_or_b32 v30, v1, 9, v7
	s_waitcnt lgkmcnt(0)
	s_barrier
	s_load_dword s4, s[42:43], 0x0
	ds_read_b128 v[2:5], v30
	ds_read_b128 v[6:9], v30 offset:16
	ds_read_b128 v[10:13], v30 offset:2048
	;; [unrolled: 1-line block ×7, first 2 shown]
	v_mov_b32_e32 v35, 0x80
	v_mov_b32_e32 v53, 0x140
	s_mov_b64 s[10:11], -1
	s_waitcnt lgkmcnt(0)
	s_mov_b32 s5, s4
	s_mov_b32 s6, s4
	;; [unrolled: 1-line block ×3, first 2 shown]
	s_movk_i32 s9, 0x80
	s_movk_i32 s21, 0x7f
	s_mov_b32 s22, 0xffffff
	s_mov_b32 s23, 0x5040100
	v_mov_b32_e32 v54, 0
	v_bfrev_b32_e32 v55, 60
	s_branch .LBB937_215
.LBB937_212:                            ;   in Loop: Header=BB937_215 Depth=1
	s_or_b64 exec, exec, s[16:17]
.LBB937_213:                            ;   in Loop: Header=BB937_215 Depth=1
	s_or_b64 exec, exec, s[14:15]
.LBB937_214:                            ;   in Loop: Header=BB937_215 Depth=1
	s_or_b64 exec, exec, s[12:13]
	v_perm_b32 v61, v56, v50, s23
	v_perm_b32 v60, v44, v46, s23
	s_xor_b64 s[12:13], s[10:11], -1
	s_mov_b64 s[10:11], 0
	v_mov_b32_e32 v46, v47
	v_mfma_f32_16x16x16bf16_1k v[60:63], v[60:61], v[30:31], v[34:37]
	s_and_b64 vcc, exec, s[12:13]
	s_nop 5
	v_perm_b32 v37, v58, v57, s23
	v_perm_b32 v36, v42, v51, s23
	v_mov_b32_e32 v35, v45
	s_nop 0
	v_mfma_f32_16x16x16bf16_1k v[56:59], v[36:37], v[32:33], v[60:63]
	s_nop 7
	s_nop 2
	v_pk_mul_f32 v[50:51], v[56:57], s[4:5]
	v_pk_mul_f32 v[36:37], v[58:59], s[6:7]
	v_bfe_u32 v34, v51, 16, 1
	v_bfe_u32 v38, v50, 16, 1
	;; [unrolled: 1-line block ×4, first 2 shown]
	v_add3_u32 v38, v50, v38, s19
	v_add3_u32 v34, v51, v34, s19
	v_add3_u32 v36, v36, v42, s19
	v_add3_u32 v37, v37, v40, s19
	v_perm_b32 v34, v34, v38, s20
	v_perm_b32 v36, v37, v36, s20
	buffer_store_dword v34, v53, s[0:3], 0 offen
	buffer_store_dword v36, v53, s[0:3], 0 offen offset:4
	v_mov_b32_e32 v53, 0x148
	v_mov_b32_e32 v51, v48
	;; [unrolled: 1-line block ×3, first 2 shown]
	s_cbranch_vccnz .LBB937_597
.LBB937_215:                            ; =>This Inner Loop Header: Depth=1
	buffer_load_dword v36, v35, s[0:3], 0 offen
	buffer_load_dword v34, v35, s[0:3], 0 offen offset:4
	buffer_load_dword v40, v35, s[0:3], 0 offen offset:8
	;; [unrolled: 1-line block ×3, first 2 shown]
	v_mov_b32_e32 v35, 0
	s_waitcnt vmcnt(3)
	v_cmp_ne_u16_sdwa s[14:15], v36, v54 src0_sel:BYTE_0 src1_sel:DWORD
	s_and_saveexec_b64 s[12:13], s[14:15]
	s_cbranch_execz .LBB937_221
; %bb.216:                              ;   in Loop: Header=BB937_215 Depth=1
	v_cmp_ne_u16_sdwa s[16:17], v36, s9 src0_sel:BYTE_0 src1_sel:DWORD
	v_mov_b32_e32 v35, 0xffff8000
	s_and_saveexec_b64 s[14:15], s[16:17]
	s_cbranch_execz .LBB937_220
; %bb.217:                              ;   in Loop: Header=BB937_215 Depth=1
	v_and_b32_e32 v37, 0x7f, v36
	v_cmp_ne_u32_e32 vcc, s21, v37
	v_mov_b32_e32 v35, 0x7f80
	s_and_saveexec_b64 s[16:17], vcc
	s_cbranch_execz .LBB937_219
; %bb.218:                              ;   in Loop: Header=BB937_215 Depth=1
	v_and_b32_e32 v35, 7, v36
	v_ffbh_u32_e32 v44, v35
	v_min_u32_e32 v44, 32, v44
	v_subrev_u32_e32 v56, 28, v44
	v_lshlrev_b64 v[56:57], v56, v[36:37]
	v_lshrrev_b32_e32 v42, 3, v37
	v_sub_u32_e32 v44, 29, v44
	v_and_b32_e32 v56, 7, v56
	v_cmp_gt_u32_e32 vcc, 8, v37
	v_cndmask_b32_e32 v37, v42, v44, vcc
	v_cndmask_b32_e32 v35, v35, v56, vcc
	v_lshlrev_b32_e32 v42, 24, v36
	v_lshlrev_b32_e32 v35, 20, v35
	v_and_b32_e32 v42, 0x80000000, v42
	v_lshl_add_u32 v37, v37, 23, v55
	v_or3_b32 v35, v42, v37, v35
	v_lshrrev_b32_e32 v35, 16, v35
.LBB937_219:                            ;   in Loop: Header=BB937_215 Depth=1
	s_or_b64 exec, exec, s[16:17]
.LBB937_220:                            ;   in Loop: Header=BB937_215 Depth=1
	s_or_b64 exec, exec, s[14:15]
.LBB937_221:                            ;   in Loop: Header=BB937_215 Depth=1
	s_or_b64 exec, exec, s[12:13]
	v_lshrrev_b16_e32 v42, 8, v36
	v_cmp_ne_u16_e32 vcc, 0, v42
	v_mov_b32_e32 v56, 0
	v_mov_b32_e32 v37, 0
	s_and_saveexec_b64 s[12:13], vcc
	s_cbranch_execz .LBB937_227
; %bb.222:                              ;   in Loop: Header=BB937_215 Depth=1
	v_cmp_ne_u16_e32 vcc, s9, v42
	v_mov_b32_e32 v37, 0xffff8000
	s_and_saveexec_b64 s[14:15], vcc
	s_cbranch_execz .LBB937_226
; %bb.223:                              ;   in Loop: Header=BB937_215 Depth=1
	v_and_b32_e32 v44, 0x7f, v42
	v_cmp_ne_u32_e32 vcc, s21, v44
	v_mov_b32_e32 v37, 0x7f80
	s_and_saveexec_b64 s[16:17], vcc
	s_cbranch_execz .LBB937_225
; %bb.224:                              ;   in Loop: Header=BB937_215 Depth=1
	v_and_b32_e32 v37, 7, v42
	v_ffbh_u32_e32 v58, v37
	v_min_u32_e32 v60, 32, v58
	v_subrev_u32_e32 v58, 28, v60
	v_lshlrev_b64 v[58:59], v58, v[42:43]
	v_lshrrev_b32_e32 v57, 3, v44
	v_sub_u32_e32 v42, 29, v60
	v_and_b32_e32 v58, 7, v58
	v_cmp_gt_u32_e32 vcc, 8, v44
	v_cndmask_b32_e32 v42, v57, v42, vcc
	v_cndmask_b32_e32 v37, v37, v58, vcc
	v_lshlrev_b32_e32 v44, 16, v36
	v_lshlrev_b32_e32 v37, 20, v37
	v_and_b32_e32 v44, 0x80000000, v44
	v_lshl_add_u32 v42, v42, 23, v55
	v_or3_b32 v37, v44, v42, v37
	v_lshrrev_b32_e32 v37, 16, v37
.LBB937_225:                            ;   in Loop: Header=BB937_215 Depth=1
	s_or_b64 exec, exec, s[16:17]
.LBB937_226:                            ;   in Loop: Header=BB937_215 Depth=1
	s_or_b64 exec, exec, s[14:15]
.LBB937_227:                            ;   in Loop: Header=BB937_215 Depth=1
	s_or_b64 exec, exec, s[12:13]
	v_lshrrev_b32_e32 v42, 16, v36
	v_cmp_ne_u16_sdwa s[14:15], v42, v54 src0_sel:BYTE_0 src1_sel:DWORD
	s_and_saveexec_b64 s[12:13], s[14:15]
	s_cbranch_execz .LBB937_233
; %bb.228:                              ;   in Loop: Header=BB937_215 Depth=1
	v_cmp_ne_u16_sdwa s[16:17], v42, s9 src0_sel:BYTE_0 src1_sel:DWORD
	v_mov_b32_e32 v56, 0xffff8000
	s_and_saveexec_b64 s[14:15], s[16:17]
	s_cbranch_execz .LBB937_232
; %bb.229:                              ;   in Loop: Header=BB937_215 Depth=1
	v_bfe_u32 v44, v36, 16, 7
	v_cmp_ne_u32_e32 vcc, s21, v44
	v_mov_b32_e32 v56, 0x7f80
	s_and_saveexec_b64 s[16:17], vcc
	s_cbranch_execz .LBB937_231
; %bb.230:                              ;   in Loop: Header=BB937_215 Depth=1
	v_and_b32_e32 v58, 7, v42
	v_ffbh_u32_e32 v56, v58
	v_min_u32_e32 v60, 32, v56
	v_subrev_u32_e32 v56, 28, v60
	v_lshlrev_b64 v[56:57], v56, v[42:43]
	v_lshrrev_b32_e32 v59, 3, v44
	v_sub_u32_e32 v57, 29, v60
	v_and_b32_e32 v56, 7, v56
	v_cmp_gt_u32_e32 vcc, 8, v44
	v_cndmask_b32_e32 v44, v59, v57, vcc
	v_cndmask_b32_e32 v56, v58, v56, vcc
	v_lshlrev_b32_e32 v42, 24, v42
	v_lshlrev_b32_e32 v56, 20, v56
	v_and_b32_e32 v42, 0x80000000, v42
	v_lshl_add_u32 v44, v44, 23, v55
	v_or3_b32 v42, v42, v44, v56
	v_lshrrev_b32_e32 v56, 16, v42
.LBB937_231:                            ;   in Loop: Header=BB937_215 Depth=1
	s_or_b64 exec, exec, s[16:17]
.LBB937_232:                            ;   in Loop: Header=BB937_215 Depth=1
	s_or_b64 exec, exec, s[14:15]
.LBB937_233:                            ;   in Loop: Header=BB937_215 Depth=1
	s_or_b64 exec, exec, s[12:13]
	v_cmp_lt_u32_e32 vcc, s22, v36
	v_mov_b32_e32 v57, 0
	v_mov_b32_e32 v58, 0
	s_and_saveexec_b64 s[12:13], vcc
	s_cbranch_execz .LBB937_239
; %bb.234:                              ;   in Loop: Header=BB937_215 Depth=1
	v_lshrrev_b32_e32 v42, 24, v36
	v_cmp_ne_u32_e32 vcc, s9, v42
	v_mov_b32_e32 v58, 0xffff8000
	s_and_saveexec_b64 s[14:15], vcc
	s_cbranch_execz .LBB937_238
; %bb.235:                              ;   in Loop: Header=BB937_215 Depth=1
	v_bfe_u32 v36, v36, 24, 7
	v_cmp_ne_u32_e32 vcc, s21, v36
	v_mov_b32_e32 v58, 0x7f80
	s_and_saveexec_b64 s[16:17], vcc
	s_cbranch_execz .LBB937_237
; %bb.236:                              ;   in Loop: Header=BB937_215 Depth=1
	v_and_b32_e32 v44, 7, v42
	v_ffbh_u32_e32 v58, v44
	v_min_u32_e32 v61, 32, v58
	v_subrev_u32_e32 v58, 28, v61
	v_lshlrev_b64 v[58:59], v58, v[42:43]
	v_lshrrev_b32_e32 v60, 3, v36
	v_sub_u32_e32 v59, 29, v61
	v_and_b32_e32 v58, 7, v58
	v_cmp_gt_u32_e32 vcc, 8, v36
	v_cndmask_b32_e32 v36, v60, v59, vcc
	v_cndmask_b32_e32 v44, v44, v58, vcc
	v_lshlrev_b32_e32 v42, 24, v42
	v_lshlrev_b32_e32 v44, 20, v44
	v_and_b32_e32 v42, 0x80000000, v42
	v_lshl_add_u32 v36, v36, 23, v55
	v_or3_b32 v36, v42, v36, v44
	v_lshrrev_b32_e32 v58, 16, v36
.LBB937_237:                            ;   in Loop: Header=BB937_215 Depth=1
	s_or_b64 exec, exec, s[16:17]
.LBB937_238:                            ;   in Loop: Header=BB937_215 Depth=1
	s_or_b64 exec, exec, s[14:15]
.LBB937_239:                            ;   in Loop: Header=BB937_215 Depth=1
	s_or_b64 exec, exec, s[12:13]
	s_waitcnt vmcnt(2)
	v_cmp_ne_u16_sdwa s[14:15], v34, v54 src0_sel:BYTE_0 src1_sel:DWORD
	s_and_saveexec_b64 s[12:13], s[14:15]
	s_cbranch_execz .LBB937_245
; %bb.240:                              ;   in Loop: Header=BB937_215 Depth=1
	v_cmp_ne_u16_sdwa s[16:17], v34, s9 src0_sel:BYTE_0 src1_sel:DWORD
	v_mov_b32_e32 v57, 0xffff8000
	s_and_saveexec_b64 s[14:15], s[16:17]
	s_cbranch_execz .LBB937_244
; %bb.241:                              ;   in Loop: Header=BB937_215 Depth=1
	v_and_b32_e32 v36, 0x7f, v34
	v_cmp_ne_u32_e32 vcc, s21, v36
	v_mov_b32_e32 v57, 0x7f80
	s_and_saveexec_b64 s[16:17], vcc
	s_cbranch_execz .LBB937_243
; %bb.242:                              ;   in Loop: Header=BB937_215 Depth=1
	v_and_b32_e32 v42, 7, v34
	v_ffbh_u32_e32 v57, v42
	v_min_u32_e32 v57, 32, v57
	v_subrev_u32_e32 v59, 28, v57
	v_lshlrev_b64 v[60:61], v59, v[34:35]
	v_lshrrev_b32_e32 v44, 3, v36
	v_sub_u32_e32 v57, 29, v57
	v_and_b32_e32 v59, 7, v60
	v_cmp_gt_u32_e32 vcc, 8, v36
	v_cndmask_b32_e32 v36, v44, v57, vcc
	v_cndmask_b32_e32 v42, v42, v59, vcc
	v_lshlrev_b32_e32 v44, 24, v34
	v_lshlrev_b32_e32 v42, 20, v42
	v_and_b32_e32 v44, 0x80000000, v44
	v_lshl_add_u32 v36, v36, 23, v55
	v_or3_b32 v36, v44, v36, v42
	v_lshrrev_b32_e32 v57, 16, v36
.LBB937_243:                            ;   in Loop: Header=BB937_215 Depth=1
	s_or_b64 exec, exec, s[16:17]
.LBB937_244:                            ;   in Loop: Header=BB937_215 Depth=1
	s_or_b64 exec, exec, s[14:15]
.LBB937_245:                            ;   in Loop: Header=BB937_215 Depth=1
	s_or_b64 exec, exec, s[12:13]
	v_lshrrev_b16_e32 v36, 8, v34
	v_cmp_ne_u16_e32 vcc, 0, v36
	v_mov_b32_e32 v59, 0
	v_mov_b32_e32 v42, 0
	s_and_saveexec_b64 s[12:13], vcc
	s_cbranch_execz .LBB937_251
; %bb.246:                              ;   in Loop: Header=BB937_215 Depth=1
	v_cmp_ne_u16_e32 vcc, s9, v36
	v_mov_b32_e32 v42, 0xffff8000
	s_and_saveexec_b64 s[14:15], vcc
	s_cbranch_execz .LBB937_250
; %bb.247:                              ;   in Loop: Header=BB937_215 Depth=1
	v_and_b32_e32 v44, 0x7f, v36
	v_cmp_ne_u32_e32 vcc, s21, v44
	v_mov_b32_e32 v42, 0x7f80
	s_and_saveexec_b64 s[16:17], vcc
	s_cbranch_execz .LBB937_249
; %bb.248:                              ;   in Loop: Header=BB937_215 Depth=1
	v_and_b32_e32 v42, 7, v36
	v_ffbh_u32_e32 v60, v42
	v_min_u32_e32 v63, 32, v60
	v_subrev_u32_e32 v60, 28, v63
	v_lshlrev_b64 v[60:61], v60, v[36:37]
	v_lshrrev_b32_e32 v62, 3, v44
	v_sub_u32_e32 v36, 29, v63
	v_and_b32_e32 v60, 7, v60
	v_cmp_gt_u32_e32 vcc, 8, v44
	v_cndmask_b32_e32 v36, v62, v36, vcc
	v_cndmask_b32_e32 v42, v42, v60, vcc
	v_lshlrev_b32_e32 v44, 16, v34
	v_lshlrev_b32_e32 v42, 20, v42
	v_and_b32_e32 v44, 0x80000000, v44
	v_lshl_add_u32 v36, v36, 23, v55
	v_or3_b32 v36, v44, v36, v42
	v_lshrrev_b32_e32 v42, 16, v36
.LBB937_249:                            ;   in Loop: Header=BB937_215 Depth=1
	s_or_b64 exec, exec, s[16:17]
.LBB937_250:                            ;   in Loop: Header=BB937_215 Depth=1
	s_or_b64 exec, exec, s[14:15]
.LBB937_251:                            ;   in Loop: Header=BB937_215 Depth=1
	s_or_b64 exec, exec, s[12:13]
	v_lshrrev_b32_e32 v36, 16, v34
	v_cmp_ne_u16_sdwa s[14:15], v36, v54 src0_sel:BYTE_0 src1_sel:DWORD
	s_and_saveexec_b64 s[12:13], s[14:15]
	s_cbranch_execz .LBB937_257
; %bb.252:                              ;   in Loop: Header=BB937_215 Depth=1
	v_cmp_ne_u16_sdwa s[16:17], v36, s9 src0_sel:BYTE_0 src1_sel:DWORD
	v_mov_b32_e32 v59, 0xffff8000
	s_and_saveexec_b64 s[14:15], s[16:17]
	s_cbranch_execz .LBB937_256
; %bb.253:                              ;   in Loop: Header=BB937_215 Depth=1
	v_bfe_u32 v44, v34, 16, 7
	v_cmp_ne_u32_e32 vcc, s21, v44
	v_mov_b32_e32 v59, 0x7f80
	s_and_saveexec_b64 s[16:17], vcc
	s_cbranch_execz .LBB937_255
; %bb.254:                              ;   in Loop: Header=BB937_215 Depth=1
	v_and_b32_e32 v59, 7, v36
	v_ffbh_u32_e32 v60, v59
	v_min_u32_e32 v63, 32, v60
	v_subrev_u32_e32 v60, 28, v63
	v_lshlrev_b64 v[60:61], v60, v[36:37]
	v_lshrrev_b32_e32 v62, 3, v44
	v_sub_u32_e32 v61, 29, v63
	v_and_b32_e32 v60, 7, v60
	v_cmp_gt_u32_e32 vcc, 8, v44
	v_cndmask_b32_e32 v44, v62, v61, vcc
	v_cndmask_b32_e32 v59, v59, v60, vcc
	v_lshlrev_b32_e32 v36, 24, v36
	v_lshlrev_b32_e32 v59, 20, v59
	v_and_b32_e32 v36, 0x80000000, v36
	v_lshl_add_u32 v44, v44, 23, v55
	v_or3_b32 v36, v36, v44, v59
	v_lshrrev_b32_e32 v59, 16, v36
.LBB937_255:                            ;   in Loop: Header=BB937_215 Depth=1
	s_or_b64 exec, exec, s[16:17]
.LBB937_256:                            ;   in Loop: Header=BB937_215 Depth=1
	s_or_b64 exec, exec, s[14:15]
.LBB937_257:                            ;   in Loop: Header=BB937_215 Depth=1
	s_or_b64 exec, exec, s[12:13]
	v_cmp_lt_u32_e32 vcc, s22, v34
	v_mov_b32_e32 v44, 0
	v_mov_b32_e32 v60, 0
	s_and_saveexec_b64 s[12:13], vcc
	s_cbranch_execz .LBB937_263
; %bb.258:                              ;   in Loop: Header=BB937_215 Depth=1
	v_lshrrev_b32_e32 v36, 24, v34
	v_cmp_ne_u32_e32 vcc, s9, v36
	v_mov_b32_e32 v60, 0xffff8000
	s_and_saveexec_b64 s[14:15], vcc
	s_cbranch_execz .LBB937_262
; %bb.259:                              ;   in Loop: Header=BB937_215 Depth=1
	v_bfe_u32 v34, v34, 24, 7
	v_cmp_ne_u32_e32 vcc, s21, v34
	v_mov_b32_e32 v60, 0x7f80
	s_and_saveexec_b64 s[16:17], vcc
	s_cbranch_execz .LBB937_261
; %bb.260:                              ;   in Loop: Header=BB937_215 Depth=1
	v_and_b32_e32 v62, 7, v36
	v_ffbh_u32_e32 v60, v62
	v_min_u32_e32 v64, 32, v60
	v_subrev_u32_e32 v60, 28, v64
	v_lshlrev_b64 v[60:61], v60, v[36:37]
	v_lshrrev_b32_e32 v63, 3, v34
	v_sub_u32_e32 v61, 29, v64
	v_and_b32_e32 v60, 7, v60
	v_cmp_gt_u32_e32 vcc, 8, v34
	v_cndmask_b32_e32 v34, v63, v61, vcc
	v_cndmask_b32_e32 v60, v62, v60, vcc
	v_lshlrev_b32_e32 v36, 24, v36
	v_lshlrev_b32_e32 v60, 20, v60
	v_and_b32_e32 v36, 0x80000000, v36
	v_lshl_add_u32 v34, v34, 23, v55
	v_or3_b32 v34, v36, v34, v60
	v_lshrrev_b32_e32 v60, 16, v34
.LBB937_261:                            ;   in Loop: Header=BB937_215 Depth=1
	s_or_b64 exec, exec, s[16:17]
.LBB937_262:                            ;   in Loop: Header=BB937_215 Depth=1
	s_or_b64 exec, exec, s[14:15]
.LBB937_263:                            ;   in Loop: Header=BB937_215 Depth=1
	s_or_b64 exec, exec, s[12:13]
	v_perm_b32 v63, v58, v56, s23
	v_perm_b32 v62, v37, v35, s23
	;; [unrolled: 1-line block ×4, first 2 shown]
	s_waitcnt vmcnt(1)
	v_cmp_ne_u16_sdwa s[14:15], v40, v54 src0_sel:BYTE_0 src1_sel:DWORD
	v_mfma_f32_16x16x16bf16_1k v[34:37], v[62:63], v[2:3], 0
	v_mfma_f32_16x16x16bf16_1k v[34:37], v[58:59], v[4:5], v[34:37]
	s_and_saveexec_b64 s[12:13], s[14:15]
	s_cbranch_execz .LBB937_269
; %bb.264:                              ;   in Loop: Header=BB937_215 Depth=1
	v_cmp_ne_u16_sdwa s[16:17], v40, s9 src0_sel:BYTE_0 src1_sel:DWORD
	v_mov_b32_e32 v44, 0xffff8000
	s_and_saveexec_b64 s[14:15], s[16:17]
	s_cbranch_execz .LBB937_268
; %bb.265:                              ;   in Loop: Header=BB937_215 Depth=1
	v_and_b32_e32 v42, 0x7f, v40
	v_cmp_ne_u32_e32 vcc, s21, v42
	v_mov_b32_e32 v44, 0x7f80
	s_and_saveexec_b64 s[16:17], vcc
	s_cbranch_execz .LBB937_267
; %bb.266:                              ;   in Loop: Header=BB937_215 Depth=1
	v_and_b32_e32 v44, 7, v40
	v_ffbh_u32_e32 v56, v44
	v_min_u32_e32 v59, 32, v56
	v_subrev_u32_e32 v56, 28, v59
	v_lshlrev_b64 v[56:57], v56, v[40:41]
	v_lshrrev_b32_e32 v58, 3, v42
	v_sub_u32_e32 v57, 29, v59
	v_and_b32_e32 v56, 7, v56
	v_cmp_gt_u32_e32 vcc, 8, v42
	v_cndmask_b32_e32 v42, v58, v57, vcc
	v_cndmask_b32_e32 v44, v44, v56, vcc
	v_lshlrev_b32_e32 v56, 24, v40
	v_lshlrev_b32_e32 v44, 20, v44
	v_and_b32_e32 v56, 0x80000000, v56
	v_lshl_add_u32 v42, v42, 23, v55
	v_or3_b32 v42, v56, v42, v44
	v_lshrrev_b32_e32 v44, 16, v42
.LBB937_267:                            ;   in Loop: Header=BB937_215 Depth=1
	s_or_b64 exec, exec, s[16:17]
.LBB937_268:                            ;   in Loop: Header=BB937_215 Depth=1
	s_or_b64 exec, exec, s[14:15]
.LBB937_269:                            ;   in Loop: Header=BB937_215 Depth=1
	s_or_b64 exec, exec, s[12:13]
	v_lshrrev_b16_e32 v42, 8, v40
	v_cmp_ne_u16_e32 vcc, 0, v42
	v_mov_b32_e32 v58, 0
	v_mov_b32_e32 v57, 0
	s_and_saveexec_b64 s[12:13], vcc
	s_cbranch_execz .LBB937_275
; %bb.270:                              ;   in Loop: Header=BB937_215 Depth=1
	v_cmp_ne_u16_e32 vcc, s9, v42
	v_mov_b32_e32 v57, 0xffff8000
	s_and_saveexec_b64 s[14:15], vcc
	s_cbranch_execz .LBB937_274
; %bb.271:                              ;   in Loop: Header=BB937_215 Depth=1
	v_and_b32_e32 v56, 0x7f, v42
	v_cmp_ne_u32_e32 vcc, s21, v56
	v_mov_b32_e32 v57, 0x7f80
	s_and_saveexec_b64 s[16:17], vcc
	s_cbranch_execz .LBB937_273
; %bb.272:                              ;   in Loop: Header=BB937_215 Depth=1
	v_and_b32_e32 v57, 7, v42
	v_ffbh_u32_e32 v60, v57
	v_min_u32_e32 v62, 32, v60
	v_subrev_u32_e32 v60, 28, v62
	v_lshlrev_b64 v[60:61], v60, v[42:43]
	v_lshrrev_b32_e32 v59, 3, v56
	v_sub_u32_e32 v42, 29, v62
	v_and_b32_e32 v60, 7, v60
	v_cmp_gt_u32_e32 vcc, 8, v56
	v_cndmask_b32_e32 v42, v59, v42, vcc
	v_cndmask_b32_e32 v56, v57, v60, vcc
	v_lshlrev_b32_e32 v57, 16, v40
	v_lshlrev_b32_e32 v56, 20, v56
	v_and_b32_e32 v57, 0x80000000, v57
	v_lshl_add_u32 v42, v42, 23, v55
	v_or3_b32 v42, v57, v42, v56
	v_lshrrev_b32_e32 v57, 16, v42
.LBB937_273:                            ;   in Loop: Header=BB937_215 Depth=1
	s_or_b64 exec, exec, s[16:17]
.LBB937_274:                            ;   in Loop: Header=BB937_215 Depth=1
	s_or_b64 exec, exec, s[14:15]
.LBB937_275:                            ;   in Loop: Header=BB937_215 Depth=1
	s_or_b64 exec, exec, s[12:13]
	v_lshrrev_b32_e32 v42, 16, v40
	v_cmp_ne_u16_sdwa s[14:15], v42, v54 src0_sel:BYTE_0 src1_sel:DWORD
	s_and_saveexec_b64 s[12:13], s[14:15]
	s_cbranch_execz .LBB937_281
; %bb.276:                              ;   in Loop: Header=BB937_215 Depth=1
	v_cmp_ne_u16_sdwa s[16:17], v42, s9 src0_sel:BYTE_0 src1_sel:DWORD
	v_mov_b32_e32 v58, 0xffff8000
	s_and_saveexec_b64 s[14:15], s[16:17]
	s_cbranch_execz .LBB937_280
; %bb.277:                              ;   in Loop: Header=BB937_215 Depth=1
	v_bfe_u32 v56, v40, 16, 7
	v_cmp_ne_u32_e32 vcc, s21, v56
	v_mov_b32_e32 v58, 0x7f80
	s_and_saveexec_b64 s[16:17], vcc
	s_cbranch_execz .LBB937_279
; %bb.278:                              ;   in Loop: Header=BB937_215 Depth=1
	v_and_b32_e32 v60, 7, v42
	v_ffbh_u32_e32 v58, v60
	v_min_u32_e32 v62, 32, v58
	v_subrev_u32_e32 v58, 28, v62
	v_lshlrev_b64 v[58:59], v58, v[42:43]
	v_lshrrev_b32_e32 v61, 3, v56
	v_sub_u32_e32 v59, 29, v62
	v_and_b32_e32 v58, 7, v58
	v_cmp_gt_u32_e32 vcc, 8, v56
	v_cndmask_b32_e32 v56, v61, v59, vcc
	v_cndmask_b32_e32 v58, v60, v58, vcc
	v_lshlrev_b32_e32 v42, 24, v42
	v_lshlrev_b32_e32 v58, 20, v58
	v_and_b32_e32 v42, 0x80000000, v42
	v_lshl_add_u32 v56, v56, 23, v55
	v_or3_b32 v42, v42, v56, v58
	v_lshrrev_b32_e32 v58, 16, v42
.LBB937_279:                            ;   in Loop: Header=BB937_215 Depth=1
	s_or_b64 exec, exec, s[16:17]
.LBB937_280:                            ;   in Loop: Header=BB937_215 Depth=1
	s_or_b64 exec, exec, s[14:15]
.LBB937_281:                            ;   in Loop: Header=BB937_215 Depth=1
	s_or_b64 exec, exec, s[12:13]
	v_cmp_lt_u32_e32 vcc, s22, v40
	v_mov_b32_e32 v59, 0
	v_mov_b32_e32 v60, 0
	s_and_saveexec_b64 s[12:13], vcc
	s_cbranch_execz .LBB937_287
; %bb.282:                              ;   in Loop: Header=BB937_215 Depth=1
	v_lshrrev_b32_e32 v42, 24, v40
	v_cmp_ne_u32_e32 vcc, s9, v42
	v_mov_b32_e32 v60, 0xffff8000
	s_and_saveexec_b64 s[14:15], vcc
	s_cbranch_execz .LBB937_286
; %bb.283:                              ;   in Loop: Header=BB937_215 Depth=1
	v_bfe_u32 v40, v40, 24, 7
	v_cmp_ne_u32_e32 vcc, s21, v40
	v_mov_b32_e32 v60, 0x7f80
	s_and_saveexec_b64 s[16:17], vcc
	s_cbranch_execz .LBB937_285
; %bb.284:                              ;   in Loop: Header=BB937_215 Depth=1
	v_and_b32_e32 v56, 7, v42
	v_ffbh_u32_e32 v60, v56
	v_min_u32_e32 v63, 32, v60
	v_subrev_u32_e32 v60, 28, v63
	v_lshlrev_b64 v[60:61], v60, v[42:43]
	v_lshrrev_b32_e32 v62, 3, v40
	v_sub_u32_e32 v61, 29, v63
	v_and_b32_e32 v60, 7, v60
	v_cmp_gt_u32_e32 vcc, 8, v40
	v_cndmask_b32_e32 v40, v62, v61, vcc
	v_cndmask_b32_e32 v56, v56, v60, vcc
	v_lshlrev_b32_e32 v42, 24, v42
	v_lshlrev_b32_e32 v56, 20, v56
	v_and_b32_e32 v42, 0x80000000, v42
	v_lshl_add_u32 v40, v40, 23, v55
	v_or3_b32 v40, v42, v40, v56
	v_lshrrev_b32_e32 v60, 16, v40
.LBB937_285:                            ;   in Loop: Header=BB937_215 Depth=1
	s_or_b64 exec, exec, s[16:17]
.LBB937_286:                            ;   in Loop: Header=BB937_215 Depth=1
	s_or_b64 exec, exec, s[14:15]
.LBB937_287:                            ;   in Loop: Header=BB937_215 Depth=1
	s_or_b64 exec, exec, s[12:13]
	s_waitcnt vmcnt(0)
	v_cmp_ne_u16_sdwa s[14:15], v38, v54 src0_sel:BYTE_0 src1_sel:DWORD
	s_and_saveexec_b64 s[12:13], s[14:15]
	s_cbranch_execz .LBB937_293
; %bb.288:                              ;   in Loop: Header=BB937_215 Depth=1
	v_cmp_ne_u16_sdwa s[16:17], v38, s9 src0_sel:BYTE_0 src1_sel:DWORD
	v_mov_b32_e32 v59, 0xffff8000
	s_and_saveexec_b64 s[14:15], s[16:17]
	s_cbranch_execz .LBB937_292
; %bb.289:                              ;   in Loop: Header=BB937_215 Depth=1
	v_and_b32_e32 v40, 0x7f, v38
	v_cmp_ne_u32_e32 vcc, s21, v40
	v_mov_b32_e32 v59, 0x7f80
	s_and_saveexec_b64 s[16:17], vcc
	s_cbranch_execz .LBB937_291
; %bb.290:                              ;   in Loop: Header=BB937_215 Depth=1
	v_and_b32_e32 v42, 7, v38
	v_ffbh_u32_e32 v59, v42
	v_min_u32_e32 v59, 32, v59
	v_subrev_u32_e32 v61, 28, v59
	v_lshlrev_b64 v[62:63], v61, v[38:39]
	v_lshrrev_b32_e32 v56, 3, v40
	v_sub_u32_e32 v59, 29, v59
	v_and_b32_e32 v61, 7, v62
	v_cmp_gt_u32_e32 vcc, 8, v40
	v_cndmask_b32_e32 v40, v56, v59, vcc
	v_cndmask_b32_e32 v42, v42, v61, vcc
	v_lshlrev_b32_e32 v56, 24, v38
	v_lshlrev_b32_e32 v42, 20, v42
	v_and_b32_e32 v56, 0x80000000, v56
	v_lshl_add_u32 v40, v40, 23, v55
	v_or3_b32 v40, v56, v40, v42
	v_lshrrev_b32_e32 v59, 16, v40
.LBB937_291:                            ;   in Loop: Header=BB937_215 Depth=1
	s_or_b64 exec, exec, s[16:17]
.LBB937_292:                            ;   in Loop: Header=BB937_215 Depth=1
	s_or_b64 exec, exec, s[14:15]
.LBB937_293:                            ;   in Loop: Header=BB937_215 Depth=1
	s_or_b64 exec, exec, s[12:13]
	v_lshrrev_b16_e32 v40, 8, v38
	v_cmp_ne_u16_e32 vcc, 0, v40
	v_mov_b32_e32 v62, 0
	v_mov_b32_e32 v61, 0
	s_and_saveexec_b64 s[12:13], vcc
	s_cbranch_execz .LBB937_299
; %bb.294:                              ;   in Loop: Header=BB937_215 Depth=1
	v_cmp_ne_u16_e32 vcc, s9, v40
	v_mov_b32_e32 v61, 0xffff8000
	s_and_saveexec_b64 s[14:15], vcc
	s_cbranch_execz .LBB937_298
; %bb.295:                              ;   in Loop: Header=BB937_215 Depth=1
	v_and_b32_e32 v42, 0x7f, v40
	v_cmp_ne_u32_e32 vcc, s21, v42
	v_mov_b32_e32 v61, 0x7f80
	s_and_saveexec_b64 s[16:17], vcc
	s_cbranch_execz .LBB937_297
; %bb.296:                              ;   in Loop: Header=BB937_215 Depth=1
	v_and_b32_e32 v56, 7, v40
	v_ffbh_u32_e32 v63, v56
	v_min_u32_e32 v63, 32, v63
	v_subrev_u32_e32 v64, 28, v63
	v_lshlrev_b64 v[64:65], v64, v[40:41]
	v_lshrrev_b32_e32 v61, 3, v42
	v_sub_u32_e32 v40, 29, v63
	v_and_b32_e32 v63, 7, v64
	v_cmp_gt_u32_e32 vcc, 8, v42
	v_cndmask_b32_e32 v40, v61, v40, vcc
	v_cndmask_b32_e32 v42, v56, v63, vcc
	v_lshlrev_b32_e32 v56, 16, v38
	v_lshlrev_b32_e32 v42, 20, v42
	v_and_b32_e32 v56, 0x80000000, v56
	v_lshl_add_u32 v40, v40, 23, v55
	v_or3_b32 v40, v56, v40, v42
	v_lshrrev_b32_e32 v61, 16, v40
.LBB937_297:                            ;   in Loop: Header=BB937_215 Depth=1
	s_or_b64 exec, exec, s[16:17]
.LBB937_298:                            ;   in Loop: Header=BB937_215 Depth=1
	s_or_b64 exec, exec, s[14:15]
.LBB937_299:                            ;   in Loop: Header=BB937_215 Depth=1
	s_or_b64 exec, exec, s[12:13]
	v_lshrrev_b32_e32 v40, 16, v38
	v_cmp_ne_u16_sdwa s[14:15], v40, v54 src0_sel:BYTE_0 src1_sel:DWORD
	s_and_saveexec_b64 s[12:13], s[14:15]
	s_cbranch_execz .LBB937_305
; %bb.300:                              ;   in Loop: Header=BB937_215 Depth=1
	v_cmp_ne_u16_sdwa s[16:17], v40, s9 src0_sel:BYTE_0 src1_sel:DWORD
	v_mov_b32_e32 v62, 0xffff8000
	s_and_saveexec_b64 s[14:15], s[16:17]
	s_cbranch_execz .LBB937_304
; %bb.301:                              ;   in Loop: Header=BB937_215 Depth=1
	v_bfe_u32 v42, v38, 16, 7
	v_cmp_ne_u32_e32 vcc, s21, v42
	v_mov_b32_e32 v62, 0x7f80
	s_and_saveexec_b64 s[16:17], vcc
	s_cbranch_execz .LBB937_303
; %bb.302:                              ;   in Loop: Header=BB937_215 Depth=1
	v_and_b32_e32 v56, 7, v40
	v_ffbh_u32_e32 v62, v56
	v_min_u32_e32 v65, 32, v62
	v_subrev_u32_e32 v62, 28, v65
	v_lshlrev_b64 v[62:63], v62, v[40:41]
	v_lshrrev_b32_e32 v64, 3, v42
	v_sub_u32_e32 v63, 29, v65
	v_and_b32_e32 v62, 7, v62
	v_cmp_gt_u32_e32 vcc, 8, v42
	v_cndmask_b32_e32 v42, v64, v63, vcc
	v_cndmask_b32_e32 v56, v56, v62, vcc
	v_lshlrev_b32_e32 v40, 24, v40
	v_lshlrev_b32_e32 v56, 20, v56
	v_and_b32_e32 v40, 0x80000000, v40
	v_lshl_add_u32 v42, v42, 23, v55
	v_or3_b32 v40, v40, v42, v56
	v_lshrrev_b32_e32 v62, 16, v40
.LBB937_303:                            ;   in Loop: Header=BB937_215 Depth=1
	s_or_b64 exec, exec, s[16:17]
.LBB937_304:                            ;   in Loop: Header=BB937_215 Depth=1
	s_or_b64 exec, exec, s[14:15]
.LBB937_305:                            ;   in Loop: Header=BB937_215 Depth=1
	s_or_b64 exec, exec, s[12:13]
	v_cmp_lt_u32_e32 vcc, s22, v38
	v_mov_b32_e32 v56, 0
	v_mov_b32_e32 v63, 0
	s_and_saveexec_b64 s[12:13], vcc
	s_cbranch_execz .LBB937_311
; %bb.306:                              ;   in Loop: Header=BB937_215 Depth=1
	v_lshrrev_b32_e32 v40, 24, v38
	v_cmp_ne_u32_e32 vcc, s9, v40
	v_mov_b32_e32 v63, 0xffff8000
	s_and_saveexec_b64 s[14:15], vcc
	s_cbranch_execz .LBB937_310
; %bb.307:                              ;   in Loop: Header=BB937_215 Depth=1
	v_bfe_u32 v38, v38, 24, 7
	v_cmp_ne_u32_e32 vcc, s21, v38
	v_mov_b32_e32 v63, 0x7f80
	s_and_saveexec_b64 s[16:17], vcc
	s_cbranch_execz .LBB937_309
; %bb.308:                              ;   in Loop: Header=BB937_215 Depth=1
	v_and_b32_e32 v42, 7, v40
	v_ffbh_u32_e32 v64, v42
	v_min_u32_e32 v66, 32, v64
	v_subrev_u32_e32 v64, 28, v66
	v_lshlrev_b64 v[64:65], v64, v[40:41]
	v_lshrrev_b32_e32 v63, 3, v38
	v_sub_u32_e32 v65, 29, v66
	v_and_b32_e32 v64, 7, v64
	v_cmp_gt_u32_e32 vcc, 8, v38
	v_cndmask_b32_e32 v38, v63, v65, vcc
	v_cndmask_b32_e32 v42, v42, v64, vcc
	v_lshlrev_b32_e32 v40, 24, v40
	v_lshlrev_b32_e32 v42, 20, v42
	v_and_b32_e32 v40, 0x80000000, v40
	v_lshl_add_u32 v38, v38, 23, v55
	v_or3_b32 v38, v40, v38, v42
	v_lshrrev_b32_e32 v63, 16, v38
.LBB937_309:                            ;   in Loop: Header=BB937_215 Depth=1
	s_or_b64 exec, exec, s[16:17]
.LBB937_310:                            ;   in Loop: Header=BB937_215 Depth=1
	s_or_b64 exec, exec, s[14:15]
.LBB937_311:                            ;   in Loop: Header=BB937_215 Depth=1
	s_or_b64 exec, exec, s[12:13]
	v_perm_b32 v64, v57, v44, s23
	buffer_load_dword v44, v46, s[0:3], 0 offen
	buffer_load_dword v42, v46, s[0:3], 0 offen offset:4
	buffer_load_dword v40, v46, s[0:3], 0 offen offset:8
	;; [unrolled: 1-line block ×3, first 2 shown]
	v_perm_b32 v65, v60, v58, s23
	v_perm_b32 v63, v63, v62, s23
	;; [unrolled: 1-line block ×3, first 2 shown]
	v_mfma_f32_16x16x16bf16_1k v[34:37], v[64:65], v[6:7], v[34:37]
	s_waitcnt vmcnt(3)
	v_cmp_ne_u16_sdwa s[14:15], v44, v54 src0_sel:BYTE_0 src1_sel:DWORD
	v_mfma_f32_16x16x16bf16_1k v[34:37], v[62:63], v[8:9], v[34:37]
	s_and_saveexec_b64 s[12:13], s[14:15]
	s_cbranch_execz .LBB937_317
; %bb.312:                              ;   in Loop: Header=BB937_215 Depth=1
	v_cmp_ne_u16_sdwa s[16:17], v44, s9 src0_sel:BYTE_0 src1_sel:DWORD
	v_mov_b32_e32 v56, 0xffff8000
	s_and_saveexec_b64 s[14:15], s[16:17]
	s_cbranch_execz .LBB937_316
; %bb.313:                              ;   in Loop: Header=BB937_215 Depth=1
	v_and_b32_e32 v46, 0x7f, v44
	v_cmp_ne_u32_e32 vcc, s21, v46
	v_mov_b32_e32 v56, 0x7f80
	s_and_saveexec_b64 s[16:17], vcc
	s_cbranch_execz .LBB937_315
; %bb.314:                              ;   in Loop: Header=BB937_215 Depth=1
	v_and_b32_e32 v58, 7, v44
	v_ffbh_u32_e32 v56, v58
	v_min_u32_e32 v60, 32, v56
	v_subrev_u32_e32 v56, 28, v60
	v_lshlrev_b64 v[56:57], v56, v[44:45]
	v_lshrrev_b32_e32 v59, 3, v46
	v_sub_u32_e32 v57, 29, v60
	v_and_b32_e32 v56, 7, v56
	v_cmp_gt_u32_e32 vcc, 8, v46
	v_cndmask_b32_e32 v46, v59, v57, vcc
	v_cndmask_b32_e32 v56, v58, v56, vcc
	v_lshlrev_b32_e32 v57, 24, v44
	v_lshlrev_b32_e32 v56, 20, v56
	v_and_b32_e32 v57, 0x80000000, v57
	v_lshl_add_u32 v46, v46, 23, v55
	v_or3_b32 v46, v57, v46, v56
	v_lshrrev_b32_e32 v56, 16, v46
.LBB937_315:                            ;   in Loop: Header=BB937_215 Depth=1
	s_or_b64 exec, exec, s[16:17]
.LBB937_316:                            ;   in Loop: Header=BB937_215 Depth=1
	s_or_b64 exec, exec, s[14:15]
.LBB937_317:                            ;   in Loop: Header=BB937_215 Depth=1
	s_or_b64 exec, exec, s[12:13]
	v_lshrrev_b16_e32 v46, 8, v44
	v_cmp_ne_u16_e32 vcc, 0, v46
	v_mov_b32_e32 v58, 0
	v_mov_b32_e32 v57, 0
	s_and_saveexec_b64 s[12:13], vcc
	s_cbranch_execz .LBB937_323
; %bb.318:                              ;   in Loop: Header=BB937_215 Depth=1
	v_cmp_ne_u16_e32 vcc, s9, v46
	v_mov_b32_e32 v57, 0xffff8000
	s_and_saveexec_b64 s[14:15], vcc
	s_cbranch_execz .LBB937_322
; %bb.319:                              ;   in Loop: Header=BB937_215 Depth=1
	v_and_b32_e32 v59, 0x7f, v46
	v_cmp_ne_u32_e32 vcc, s21, v59
	v_mov_b32_e32 v57, 0x7f80
	s_and_saveexec_b64 s[16:17], vcc
	s_cbranch_execz .LBB937_321
; %bb.320:                              ;   in Loop: Header=BB937_215 Depth=1
	v_and_b32_e32 v57, 7, v46
	v_ffbh_u32_e32 v60, v57
	v_min_u32_e32 v63, 32, v60
	v_subrev_u32_e32 v60, 28, v63
	v_lshlrev_b64 v[60:61], v60, v[46:47]
	v_lshrrev_b32_e32 v62, 3, v59
	v_sub_u32_e32 v46, 29, v63
	v_and_b32_e32 v60, 7, v60
	v_cmp_gt_u32_e32 vcc, 8, v59
	v_cndmask_b32_e32 v46, v62, v46, vcc
	v_cndmask_b32_e32 v57, v57, v60, vcc
	v_lshlrev_b32_e32 v59, 16, v44
	v_lshlrev_b32_e32 v57, 20, v57
	v_and_b32_e32 v59, 0x80000000, v59
	v_lshl_add_u32 v46, v46, 23, v55
	v_or3_b32 v46, v59, v46, v57
	v_lshrrev_b32_e32 v57, 16, v46
.LBB937_321:                            ;   in Loop: Header=BB937_215 Depth=1
	s_or_b64 exec, exec, s[16:17]
.LBB937_322:                            ;   in Loop: Header=BB937_215 Depth=1
	s_or_b64 exec, exec, s[14:15]
.LBB937_323:                            ;   in Loop: Header=BB937_215 Depth=1
	s_or_b64 exec, exec, s[12:13]
	v_lshrrev_b32_e32 v46, 16, v44
	v_cmp_ne_u16_sdwa s[14:15], v46, v54 src0_sel:BYTE_0 src1_sel:DWORD
	s_and_saveexec_b64 s[12:13], s[14:15]
	s_cbranch_execz .LBB937_329
; %bb.324:                              ;   in Loop: Header=BB937_215 Depth=1
	v_cmp_ne_u16_sdwa s[16:17], v46, s9 src0_sel:BYTE_0 src1_sel:DWORD
	v_mov_b32_e32 v58, 0xffff8000
	s_and_saveexec_b64 s[14:15], s[16:17]
	s_cbranch_execz .LBB937_328
; %bb.325:                              ;   in Loop: Header=BB937_215 Depth=1
	v_bfe_u32 v59, v44, 16, 7
	v_cmp_ne_u32_e32 vcc, s21, v59
	v_mov_b32_e32 v58, 0x7f80
	s_and_saveexec_b64 s[16:17], vcc
	s_cbranch_execz .LBB937_327
; %bb.326:                              ;   in Loop: Header=BB937_215 Depth=1
	v_and_b32_e32 v58, 7, v46
	v_ffbh_u32_e32 v60, v58
	v_min_u32_e32 v63, 32, v60
	v_subrev_u32_e32 v60, 28, v63
	v_lshlrev_b64 v[60:61], v60, v[46:47]
	v_lshrrev_b32_e32 v62, 3, v59
	v_sub_u32_e32 v61, 29, v63
	v_and_b32_e32 v60, 7, v60
	v_cmp_gt_u32_e32 vcc, 8, v59
	v_cndmask_b32_e32 v59, v62, v61, vcc
	v_cndmask_b32_e32 v58, v58, v60, vcc
	v_lshlrev_b32_e32 v46, 24, v46
	v_lshlrev_b32_e32 v58, 20, v58
	v_and_b32_e32 v46, 0x80000000, v46
	v_lshl_add_u32 v59, v59, 23, v55
	v_or3_b32 v46, v46, v59, v58
	v_lshrrev_b32_e32 v58, 16, v46
.LBB937_327:                            ;   in Loop: Header=BB937_215 Depth=1
	s_or_b64 exec, exec, s[16:17]
.LBB937_328:                            ;   in Loop: Header=BB937_215 Depth=1
	s_or_b64 exec, exec, s[14:15]
.LBB937_329:                            ;   in Loop: Header=BB937_215 Depth=1
	s_or_b64 exec, exec, s[12:13]
	v_cmp_lt_u32_e32 vcc, s22, v44
	v_mov_b32_e32 v59, 0
	v_mov_b32_e32 v60, 0
	s_and_saveexec_b64 s[12:13], vcc
	s_cbranch_execz .LBB937_335
; %bb.330:                              ;   in Loop: Header=BB937_215 Depth=1
	v_lshrrev_b32_e32 v46, 24, v44
	v_cmp_ne_u32_e32 vcc, s9, v46
	v_mov_b32_e32 v60, 0xffff8000
	s_and_saveexec_b64 s[14:15], vcc
	s_cbranch_execz .LBB937_334
; %bb.331:                              ;   in Loop: Header=BB937_215 Depth=1
	v_bfe_u32 v44, v44, 24, 7
	v_cmp_ne_u32_e32 vcc, s21, v44
	v_mov_b32_e32 v60, 0x7f80
	s_and_saveexec_b64 s[16:17], vcc
	s_cbranch_execz .LBB937_333
; %bb.332:                              ;   in Loop: Header=BB937_215 Depth=1
	v_and_b32_e32 v62, 7, v46
	v_ffbh_u32_e32 v60, v62
	v_min_u32_e32 v64, 32, v60
	v_subrev_u32_e32 v60, 28, v64
	v_lshlrev_b64 v[60:61], v60, v[46:47]
	v_lshrrev_b32_e32 v63, 3, v44
	v_sub_u32_e32 v61, 29, v64
	v_and_b32_e32 v60, 7, v60
	v_cmp_gt_u32_e32 vcc, 8, v44
	v_cndmask_b32_e32 v44, v63, v61, vcc
	v_cndmask_b32_e32 v60, v62, v60, vcc
	v_lshlrev_b32_e32 v46, 24, v46
	v_lshlrev_b32_e32 v60, 20, v60
	v_and_b32_e32 v46, 0x80000000, v46
	v_lshl_add_u32 v44, v44, 23, v55
	v_or3_b32 v44, v46, v44, v60
	v_lshrrev_b32_e32 v60, 16, v44
.LBB937_333:                            ;   in Loop: Header=BB937_215 Depth=1
	s_or_b64 exec, exec, s[16:17]
.LBB937_334:                            ;   in Loop: Header=BB937_215 Depth=1
	s_or_b64 exec, exec, s[14:15]
.LBB937_335:                            ;   in Loop: Header=BB937_215 Depth=1
	s_or_b64 exec, exec, s[12:13]
	s_waitcnt vmcnt(2)
	v_cmp_ne_u16_sdwa s[14:15], v42, v54 src0_sel:BYTE_0 src1_sel:DWORD
	s_and_saveexec_b64 s[12:13], s[14:15]
	s_cbranch_execz .LBB937_341
; %bb.336:                              ;   in Loop: Header=BB937_215 Depth=1
	v_cmp_ne_u16_sdwa s[16:17], v42, s9 src0_sel:BYTE_0 src1_sel:DWORD
	v_mov_b32_e32 v59, 0xffff8000
	s_and_saveexec_b64 s[14:15], s[16:17]
	s_cbranch_execz .LBB937_340
; %bb.337:                              ;   in Loop: Header=BB937_215 Depth=1
	v_and_b32_e32 v44, 0x7f, v42
	v_cmp_ne_u32_e32 vcc, s21, v44
	v_mov_b32_e32 v59, 0x7f80
	s_and_saveexec_b64 s[16:17], vcc
	s_cbranch_execz .LBB937_339
; %bb.338:                              ;   in Loop: Header=BB937_215 Depth=1
	v_and_b32_e32 v46, 7, v42
	v_ffbh_u32_e32 v61, v46
	v_min_u32_e32 v61, 32, v61
	v_subrev_u32_e32 v62, 28, v61
	v_lshlrev_b64 v[62:63], v62, v[42:43]
	v_lshrrev_b32_e32 v59, 3, v44
	v_sub_u32_e32 v61, 29, v61
	v_and_b32_e32 v62, 7, v62
	v_cmp_gt_u32_e32 vcc, 8, v44
	v_cndmask_b32_e32 v44, v59, v61, vcc
	v_cndmask_b32_e32 v46, v46, v62, vcc
	v_lshlrev_b32_e32 v59, 24, v42
	v_lshlrev_b32_e32 v46, 20, v46
	v_and_b32_e32 v59, 0x80000000, v59
	v_lshl_add_u32 v44, v44, 23, v55
	v_or3_b32 v44, v59, v44, v46
	v_lshrrev_b32_e32 v59, 16, v44
.LBB937_339:                            ;   in Loop: Header=BB937_215 Depth=1
	s_or_b64 exec, exec, s[16:17]
.LBB937_340:                            ;   in Loop: Header=BB937_215 Depth=1
	s_or_b64 exec, exec, s[14:15]
.LBB937_341:                            ;   in Loop: Header=BB937_215 Depth=1
	s_or_b64 exec, exec, s[12:13]
	v_lshrrev_b16_e32 v44, 8, v42
	v_cmp_ne_u16_e32 vcc, 0, v44
	v_mov_b32_e32 v62, 0
	v_mov_b32_e32 v61, 0
	s_and_saveexec_b64 s[12:13], vcc
	s_cbranch_execz .LBB937_347
; %bb.342:                              ;   in Loop: Header=BB937_215 Depth=1
	v_cmp_ne_u16_e32 vcc, s9, v44
	v_mov_b32_e32 v61, 0xffff8000
	s_and_saveexec_b64 s[14:15], vcc
	s_cbranch_execz .LBB937_346
; %bb.343:                              ;   in Loop: Header=BB937_215 Depth=1
	v_and_b32_e32 v46, 0x7f, v44
	v_cmp_ne_u32_e32 vcc, s21, v46
	v_mov_b32_e32 v61, 0x7f80
	s_and_saveexec_b64 s[16:17], vcc
	s_cbranch_execz .LBB937_345
; %bb.344:                              ;   in Loop: Header=BB937_215 Depth=1
	v_and_b32_e32 v61, 7, v44
	v_ffbh_u32_e32 v64, v61
	v_min_u32_e32 v66, 32, v64
	v_subrev_u32_e32 v64, 28, v66
	v_lshlrev_b64 v[64:65], v64, v[44:45]
	v_lshrrev_b32_e32 v63, 3, v46
	v_sub_u32_e32 v44, 29, v66
	v_and_b32_e32 v64, 7, v64
	v_cmp_gt_u32_e32 vcc, 8, v46
	v_cndmask_b32_e32 v44, v63, v44, vcc
	v_cndmask_b32_e32 v46, v61, v64, vcc
	v_lshlrev_b32_e32 v61, 16, v42
	v_lshlrev_b32_e32 v46, 20, v46
	v_and_b32_e32 v61, 0x80000000, v61
	v_lshl_add_u32 v44, v44, 23, v55
	v_or3_b32 v44, v61, v44, v46
	v_lshrrev_b32_e32 v61, 16, v44
.LBB937_345:                            ;   in Loop: Header=BB937_215 Depth=1
	s_or_b64 exec, exec, s[16:17]
.LBB937_346:                            ;   in Loop: Header=BB937_215 Depth=1
	s_or_b64 exec, exec, s[14:15]
.LBB937_347:                            ;   in Loop: Header=BB937_215 Depth=1
	s_or_b64 exec, exec, s[12:13]
	v_lshrrev_b32_e32 v44, 16, v42
	v_cmp_ne_u16_sdwa s[14:15], v44, v54 src0_sel:BYTE_0 src1_sel:DWORD
	s_and_saveexec_b64 s[12:13], s[14:15]
	s_cbranch_execz .LBB937_353
; %bb.348:                              ;   in Loop: Header=BB937_215 Depth=1
	v_cmp_ne_u16_sdwa s[16:17], v44, s9 src0_sel:BYTE_0 src1_sel:DWORD
	v_mov_b32_e32 v62, 0xffff8000
	s_and_saveexec_b64 s[14:15], s[16:17]
	s_cbranch_execz .LBB937_352
; %bb.349:                              ;   in Loop: Header=BB937_215 Depth=1
	v_bfe_u32 v46, v42, 16, 7
	v_cmp_ne_u32_e32 vcc, s21, v46
	v_mov_b32_e32 v62, 0x7f80
	s_and_saveexec_b64 s[16:17], vcc
	s_cbranch_execz .LBB937_351
; %bb.350:                              ;   in Loop: Header=BB937_215 Depth=1
	v_and_b32_e32 v64, 7, v44
	v_ffbh_u32_e32 v62, v64
	v_min_u32_e32 v66, 32, v62
	v_subrev_u32_e32 v62, 28, v66
	v_lshlrev_b64 v[62:63], v62, v[44:45]
	v_lshrrev_b32_e32 v65, 3, v46
	v_sub_u32_e32 v63, 29, v66
	v_and_b32_e32 v62, 7, v62
	v_cmp_gt_u32_e32 vcc, 8, v46
	v_cndmask_b32_e32 v46, v65, v63, vcc
	v_cndmask_b32_e32 v62, v64, v62, vcc
	v_lshlrev_b32_e32 v44, 24, v44
	v_lshlrev_b32_e32 v62, 20, v62
	v_and_b32_e32 v44, 0x80000000, v44
	v_lshl_add_u32 v46, v46, 23, v55
	v_or3_b32 v44, v44, v46, v62
	v_lshrrev_b32_e32 v62, 16, v44
.LBB937_351:                            ;   in Loop: Header=BB937_215 Depth=1
	s_or_b64 exec, exec, s[16:17]
.LBB937_352:                            ;   in Loop: Header=BB937_215 Depth=1
	s_or_b64 exec, exec, s[14:15]
.LBB937_353:                            ;   in Loop: Header=BB937_215 Depth=1
	s_or_b64 exec, exec, s[12:13]
	v_cmp_lt_u32_e32 vcc, s22, v42
	v_mov_b32_e32 v46, 0
	v_mov_b32_e32 v63, 0
	s_and_saveexec_b64 s[12:13], vcc
	s_cbranch_execz .LBB937_359
; %bb.354:                              ;   in Loop: Header=BB937_215 Depth=1
	v_lshrrev_b32_e32 v44, 24, v42
	v_cmp_ne_u32_e32 vcc, s9, v44
	v_mov_b32_e32 v63, 0xffff8000
	s_and_saveexec_b64 s[14:15], vcc
	s_cbranch_execz .LBB937_358
; %bb.355:                              ;   in Loop: Header=BB937_215 Depth=1
	v_bfe_u32 v42, v42, 24, 7
	v_cmp_ne_u32_e32 vcc, s21, v42
	v_mov_b32_e32 v63, 0x7f80
	s_and_saveexec_b64 s[16:17], vcc
	s_cbranch_execz .LBB937_357
; %bb.356:                              ;   in Loop: Header=BB937_215 Depth=1
	v_and_b32_e32 v63, 7, v44
	v_ffbh_u32_e32 v64, v63
	v_min_u32_e32 v67, 32, v64
	v_subrev_u32_e32 v64, 28, v67
	v_lshlrev_b64 v[64:65], v64, v[44:45]
	v_lshrrev_b32_e32 v66, 3, v42
	v_sub_u32_e32 v65, 29, v67
	v_and_b32_e32 v64, 7, v64
	v_cmp_gt_u32_e32 vcc, 8, v42
	v_cndmask_b32_e32 v42, v66, v65, vcc
	v_cndmask_b32_e32 v63, v63, v64, vcc
	v_lshlrev_b32_e32 v44, 24, v44
	v_lshlrev_b32_e32 v63, 20, v63
	v_and_b32_e32 v44, 0x80000000, v44
	v_lshl_add_u32 v42, v42, 23, v55
	v_or3_b32 v42, v44, v42, v63
	v_lshrrev_b32_e32 v63, 16, v42
.LBB937_357:                            ;   in Loop: Header=BB937_215 Depth=1
	s_or_b64 exec, exec, s[16:17]
.LBB937_358:                            ;   in Loop: Header=BB937_215 Depth=1
	s_or_b64 exec, exec, s[14:15]
.LBB937_359:                            ;   in Loop: Header=BB937_215 Depth=1
	s_or_b64 exec, exec, s[12:13]
	v_perm_b32 v65, v60, v58, s23
	v_perm_b32 v64, v57, v56, s23
	;; [unrolled: 1-line block ×4, first 2 shown]
	s_waitcnt vmcnt(1)
	v_cmp_ne_u16_sdwa s[14:15], v40, v54 src0_sel:BYTE_0 src1_sel:DWORD
	v_mfma_f32_16x16x16bf16_1k v[34:37], v[64:65], v[10:11], v[34:37]
	v_mfma_f32_16x16x16bf16_1k v[34:37], v[56:57], v[12:13], v[34:37]
	s_and_saveexec_b64 s[12:13], s[14:15]
	s_cbranch_execz .LBB937_365
; %bb.360:                              ;   in Loop: Header=BB937_215 Depth=1
	v_cmp_ne_u16_sdwa s[16:17], v40, s9 src0_sel:BYTE_0 src1_sel:DWORD
	v_mov_b32_e32 v46, 0xffff8000
	s_and_saveexec_b64 s[14:15], s[16:17]
	s_cbranch_execz .LBB937_364
; %bb.361:                              ;   in Loop: Header=BB937_215 Depth=1
	v_and_b32_e32 v42, 0x7f, v40
	v_cmp_ne_u32_e32 vcc, s21, v42
	v_mov_b32_e32 v46, 0x7f80
	s_and_saveexec_b64 s[16:17], vcc
	s_cbranch_execz .LBB937_363
; %bb.362:                              ;   in Loop: Header=BB937_215 Depth=1
	v_and_b32_e32 v44, 7, v40
	v_ffbh_u32_e32 v56, v44
	v_min_u32_e32 v58, 32, v56
	v_subrev_u32_e32 v56, 28, v58
	v_lshlrev_b64 v[56:57], v56, v[40:41]
	v_lshrrev_b32_e32 v46, 3, v42
	v_sub_u32_e32 v57, 29, v58
	v_and_b32_e32 v56, 7, v56
	v_cmp_gt_u32_e32 vcc, 8, v42
	v_cndmask_b32_e32 v42, v46, v57, vcc
	v_cndmask_b32_e32 v44, v44, v56, vcc
	v_lshlrev_b32_e32 v46, 24, v40
	v_lshlrev_b32_e32 v44, 20, v44
	v_and_b32_e32 v46, 0x80000000, v46
	v_lshl_add_u32 v42, v42, 23, v55
	v_or3_b32 v42, v46, v42, v44
	v_lshrrev_b32_e32 v46, 16, v42
.LBB937_363:                            ;   in Loop: Header=BB937_215 Depth=1
	s_or_b64 exec, exec, s[16:17]
.LBB937_364:                            ;   in Loop: Header=BB937_215 Depth=1
	s_or_b64 exec, exec, s[14:15]
.LBB937_365:                            ;   in Loop: Header=BB937_215 Depth=1
	s_or_b64 exec, exec, s[12:13]
	v_lshrrev_b16_e32 v42, 8, v40
	v_cmp_ne_u16_e32 vcc, 0, v42
	v_mov_b32_e32 v57, 0
	v_mov_b32_e32 v44, 0
	s_and_saveexec_b64 s[12:13], vcc
	s_cbranch_execz .LBB937_371
; %bb.366:                              ;   in Loop: Header=BB937_215 Depth=1
	v_cmp_ne_u16_e32 vcc, s9, v42
	v_mov_b32_e32 v44, 0xffff8000
	s_and_saveexec_b64 s[14:15], vcc
	s_cbranch_execz .LBB937_370
; %bb.367:                              ;   in Loop: Header=BB937_215 Depth=1
	v_and_b32_e32 v56, 0x7f, v42
	v_cmp_ne_u32_e32 vcc, s21, v56
	v_mov_b32_e32 v44, 0x7f80
	s_and_saveexec_b64 s[16:17], vcc
	s_cbranch_execz .LBB937_369
; %bb.368:                              ;   in Loop: Header=BB937_215 Depth=1
	v_and_b32_e32 v44, 7, v42
	v_ffbh_u32_e32 v58, v44
	v_min_u32_e32 v61, 32, v58
	v_subrev_u32_e32 v58, 28, v61
	v_lshlrev_b64 v[58:59], v58, v[42:43]
	v_lshrrev_b32_e32 v60, 3, v56
	v_sub_u32_e32 v42, 29, v61
	v_and_b32_e32 v58, 7, v58
	v_cmp_gt_u32_e32 vcc, 8, v56
	v_cndmask_b32_e32 v42, v60, v42, vcc
	v_cndmask_b32_e32 v44, v44, v58, vcc
	v_lshlrev_b32_e32 v56, 16, v40
	v_lshlrev_b32_e32 v44, 20, v44
	v_and_b32_e32 v56, 0x80000000, v56
	v_lshl_add_u32 v42, v42, 23, v55
	v_or3_b32 v42, v56, v42, v44
	v_lshrrev_b32_e32 v44, 16, v42
.LBB937_369:                            ;   in Loop: Header=BB937_215 Depth=1
	s_or_b64 exec, exec, s[16:17]
.LBB937_370:                            ;   in Loop: Header=BB937_215 Depth=1
	s_or_b64 exec, exec, s[14:15]
.LBB937_371:                            ;   in Loop: Header=BB937_215 Depth=1
	s_or_b64 exec, exec, s[12:13]
	v_lshrrev_b32_e32 v42, 16, v40
	v_cmp_ne_u16_sdwa s[14:15], v42, v54 src0_sel:BYTE_0 src1_sel:DWORD
	s_and_saveexec_b64 s[12:13], s[14:15]
	s_cbranch_execz .LBB937_377
; %bb.372:                              ;   in Loop: Header=BB937_215 Depth=1
	v_cmp_ne_u16_sdwa s[16:17], v42, s9 src0_sel:BYTE_0 src1_sel:DWORD
	v_mov_b32_e32 v57, 0xffff8000
	s_and_saveexec_b64 s[14:15], s[16:17]
	s_cbranch_execz .LBB937_376
; %bb.373:                              ;   in Loop: Header=BB937_215 Depth=1
	v_bfe_u32 v56, v40, 16, 7
	v_cmp_ne_u32_e32 vcc, s21, v56
	v_mov_b32_e32 v57, 0x7f80
	s_and_saveexec_b64 s[16:17], vcc
	s_cbranch_execz .LBB937_375
; %bb.374:                              ;   in Loop: Header=BB937_215 Depth=1
	v_and_b32_e32 v57, 7, v42
	v_ffbh_u32_e32 v58, v57
	v_min_u32_e32 v61, 32, v58
	v_subrev_u32_e32 v58, 28, v61
	v_lshlrev_b64 v[58:59], v58, v[42:43]
	v_lshrrev_b32_e32 v60, 3, v56
	v_sub_u32_e32 v59, 29, v61
	v_and_b32_e32 v58, 7, v58
	v_cmp_gt_u32_e32 vcc, 8, v56
	v_cndmask_b32_e32 v56, v60, v59, vcc
	v_cndmask_b32_e32 v57, v57, v58, vcc
	v_lshlrev_b32_e32 v42, 24, v42
	v_lshlrev_b32_e32 v57, 20, v57
	v_and_b32_e32 v42, 0x80000000, v42
	v_lshl_add_u32 v56, v56, 23, v55
	v_or3_b32 v42, v42, v56, v57
	v_lshrrev_b32_e32 v57, 16, v42
.LBB937_375:                            ;   in Loop: Header=BB937_215 Depth=1
	s_or_b64 exec, exec, s[16:17]
.LBB937_376:                            ;   in Loop: Header=BB937_215 Depth=1
	s_or_b64 exec, exec, s[14:15]
.LBB937_377:                            ;   in Loop: Header=BB937_215 Depth=1
	s_or_b64 exec, exec, s[12:13]
	v_cmp_lt_u32_e32 vcc, s22, v40
	v_mov_b32_e32 v58, 0
	v_mov_b32_e32 v59, 0
	s_and_saveexec_b64 s[12:13], vcc
	s_cbranch_execz .LBB937_383
; %bb.378:                              ;   in Loop: Header=BB937_215 Depth=1
	v_lshrrev_b32_e32 v42, 24, v40
	v_cmp_ne_u32_e32 vcc, s9, v42
	v_mov_b32_e32 v59, 0xffff8000
	s_and_saveexec_b64 s[14:15], vcc
	s_cbranch_execz .LBB937_382
; %bb.379:                              ;   in Loop: Header=BB937_215 Depth=1
	v_bfe_u32 v40, v40, 24, 7
	v_cmp_ne_u32_e32 vcc, s21, v40
	v_mov_b32_e32 v59, 0x7f80
	s_and_saveexec_b64 s[16:17], vcc
	s_cbranch_execz .LBB937_381
; %bb.380:                              ;   in Loop: Header=BB937_215 Depth=1
	v_and_b32_e32 v56, 7, v42
	v_ffbh_u32_e32 v60, v56
	v_min_u32_e32 v62, 32, v60
	v_subrev_u32_e32 v60, 28, v62
	v_lshlrev_b64 v[60:61], v60, v[42:43]
	v_lshrrev_b32_e32 v59, 3, v40
	v_sub_u32_e32 v61, 29, v62
	v_and_b32_e32 v60, 7, v60
	v_cmp_gt_u32_e32 vcc, 8, v40
	v_cndmask_b32_e32 v40, v59, v61, vcc
	v_cndmask_b32_e32 v56, v56, v60, vcc
	v_lshlrev_b32_e32 v42, 24, v42
	v_lshlrev_b32_e32 v56, 20, v56
	v_and_b32_e32 v42, 0x80000000, v42
	v_lshl_add_u32 v40, v40, 23, v55
	v_or3_b32 v40, v42, v40, v56
	v_lshrrev_b32_e32 v59, 16, v40
.LBB937_381:                            ;   in Loop: Header=BB937_215 Depth=1
	s_or_b64 exec, exec, s[16:17]
.LBB937_382:                            ;   in Loop: Header=BB937_215 Depth=1
	s_or_b64 exec, exec, s[14:15]
.LBB937_383:                            ;   in Loop: Header=BB937_215 Depth=1
	s_or_b64 exec, exec, s[12:13]
	s_waitcnt vmcnt(0)
	v_cmp_ne_u16_sdwa s[14:15], v38, v54 src0_sel:BYTE_0 src1_sel:DWORD
	s_and_saveexec_b64 s[12:13], s[14:15]
	s_cbranch_execz .LBB937_389
; %bb.384:                              ;   in Loop: Header=BB937_215 Depth=1
	v_cmp_ne_u16_sdwa s[16:17], v38, s9 src0_sel:BYTE_0 src1_sel:DWORD
	v_mov_b32_e32 v58, 0xffff8000
	s_and_saveexec_b64 s[14:15], s[16:17]
	s_cbranch_execz .LBB937_388
; %bb.385:                              ;   in Loop: Header=BB937_215 Depth=1
	v_and_b32_e32 v40, 0x7f, v38
	v_cmp_ne_u32_e32 vcc, s21, v40
	v_mov_b32_e32 v58, 0x7f80
	s_and_saveexec_b64 s[16:17], vcc
	s_cbranch_execz .LBB937_387
; %bb.386:                              ;   in Loop: Header=BB937_215 Depth=1
	v_and_b32_e32 v42, 7, v38
	v_ffbh_u32_e32 v58, v42
	v_min_u32_e32 v58, 32, v58
	v_subrev_u32_e32 v60, 28, v58
	v_lshlrev_b64 v[60:61], v60, v[38:39]
	v_lshrrev_b32_e32 v56, 3, v40
	v_sub_u32_e32 v58, 29, v58
	v_and_b32_e32 v60, 7, v60
	v_cmp_gt_u32_e32 vcc, 8, v40
	v_cndmask_b32_e32 v40, v56, v58, vcc
	v_cndmask_b32_e32 v42, v42, v60, vcc
	v_lshlrev_b32_e32 v56, 24, v38
	v_lshlrev_b32_e32 v42, 20, v42
	v_and_b32_e32 v56, 0x80000000, v56
	v_lshl_add_u32 v40, v40, 23, v55
	v_or3_b32 v40, v56, v40, v42
	v_lshrrev_b32_e32 v58, 16, v40
.LBB937_387:                            ;   in Loop: Header=BB937_215 Depth=1
	s_or_b64 exec, exec, s[16:17]
.LBB937_388:                            ;   in Loop: Header=BB937_215 Depth=1
	s_or_b64 exec, exec, s[14:15]
.LBB937_389:                            ;   in Loop: Header=BB937_215 Depth=1
	s_or_b64 exec, exec, s[12:13]
	v_lshrrev_b16_e32 v40, 8, v38
	v_cmp_ne_u16_e32 vcc, 0, v40
	v_mov_b32_e32 v61, 0
	v_mov_b32_e32 v60, 0
	s_and_saveexec_b64 s[12:13], vcc
	s_cbranch_execz .LBB937_395
; %bb.390:                              ;   in Loop: Header=BB937_215 Depth=1
	v_cmp_ne_u16_e32 vcc, s9, v40
	v_mov_b32_e32 v60, 0xffff8000
	s_and_saveexec_b64 s[14:15], vcc
	s_cbranch_execz .LBB937_394
; %bb.391:                              ;   in Loop: Header=BB937_215 Depth=1
	v_and_b32_e32 v42, 0x7f, v40
	v_cmp_ne_u32_e32 vcc, s21, v42
	v_mov_b32_e32 v60, 0x7f80
	s_and_saveexec_b64 s[16:17], vcc
	s_cbranch_execz .LBB937_393
; %bb.392:                              ;   in Loop: Header=BB937_215 Depth=1
	v_and_b32_e32 v56, 7, v40
	v_ffbh_u32_e32 v62, v56
	v_min_u32_e32 v64, 32, v62
	v_subrev_u32_e32 v62, 28, v64
	v_lshlrev_b64 v[62:63], v62, v[40:41]
	v_lshrrev_b32_e32 v60, 3, v42
	v_sub_u32_e32 v40, 29, v64
	v_and_b32_e32 v62, 7, v62
	v_cmp_gt_u32_e32 vcc, 8, v42
	v_cndmask_b32_e32 v40, v60, v40, vcc
	v_cndmask_b32_e32 v42, v56, v62, vcc
	v_lshlrev_b32_e32 v56, 16, v38
	v_lshlrev_b32_e32 v42, 20, v42
	v_and_b32_e32 v56, 0x80000000, v56
	v_lshl_add_u32 v40, v40, 23, v55
	v_or3_b32 v40, v56, v40, v42
	v_lshrrev_b32_e32 v60, 16, v40
.LBB937_393:                            ;   in Loop: Header=BB937_215 Depth=1
	s_or_b64 exec, exec, s[16:17]
.LBB937_394:                            ;   in Loop: Header=BB937_215 Depth=1
	s_or_b64 exec, exec, s[14:15]
.LBB937_395:                            ;   in Loop: Header=BB937_215 Depth=1
	s_or_b64 exec, exec, s[12:13]
	v_lshrrev_b32_e32 v40, 16, v38
	v_cmp_ne_u16_sdwa s[14:15], v40, v54 src0_sel:BYTE_0 src1_sel:DWORD
	s_and_saveexec_b64 s[12:13], s[14:15]
	s_cbranch_execz .LBB937_401
; %bb.396:                              ;   in Loop: Header=BB937_215 Depth=1
	v_cmp_ne_u16_sdwa s[16:17], v40, s9 src0_sel:BYTE_0 src1_sel:DWORD
	v_mov_b32_e32 v61, 0xffff8000
	s_and_saveexec_b64 s[14:15], s[16:17]
	s_cbranch_execz .LBB937_400
; %bb.397:                              ;   in Loop: Header=BB937_215 Depth=1
	v_bfe_u32 v42, v38, 16, 7
	v_cmp_ne_u32_e32 vcc, s21, v42
	v_mov_b32_e32 v61, 0x7f80
	s_and_saveexec_b64 s[16:17], vcc
	s_cbranch_execz .LBB937_399
; %bb.398:                              ;   in Loop: Header=BB937_215 Depth=1
	v_and_b32_e32 v56, 7, v40
	v_ffbh_u32_e32 v62, v56
	v_min_u32_e32 v64, 32, v62
	v_subrev_u32_e32 v62, 28, v64
	v_lshlrev_b64 v[62:63], v62, v[40:41]
	v_lshrrev_b32_e32 v61, 3, v42
	v_sub_u32_e32 v63, 29, v64
	v_and_b32_e32 v62, 7, v62
	v_cmp_gt_u32_e32 vcc, 8, v42
	v_cndmask_b32_e32 v42, v61, v63, vcc
	v_cndmask_b32_e32 v56, v56, v62, vcc
	v_lshlrev_b32_e32 v40, 24, v40
	v_lshlrev_b32_e32 v56, 20, v56
	v_and_b32_e32 v40, 0x80000000, v40
	v_lshl_add_u32 v42, v42, 23, v55
	v_or3_b32 v40, v40, v42, v56
	v_lshrrev_b32_e32 v61, 16, v40
.LBB937_399:                            ;   in Loop: Header=BB937_215 Depth=1
	s_or_b64 exec, exec, s[16:17]
.LBB937_400:                            ;   in Loop: Header=BB937_215 Depth=1
	s_or_b64 exec, exec, s[14:15]
.LBB937_401:                            ;   in Loop: Header=BB937_215 Depth=1
	s_or_b64 exec, exec, s[12:13]
	v_cmp_lt_u32_e32 vcc, s22, v38
	v_mov_b32_e32 v56, 0
	v_mov_b32_e32 v62, 0
	s_and_saveexec_b64 s[12:13], vcc
	s_cbranch_execz .LBB937_407
; %bb.402:                              ;   in Loop: Header=BB937_215 Depth=1
	v_lshrrev_b32_e32 v40, 24, v38
	v_cmp_ne_u32_e32 vcc, s9, v40
	v_mov_b32_e32 v62, 0xffff8000
	s_and_saveexec_b64 s[14:15], vcc
	s_cbranch_execz .LBB937_406
; %bb.403:                              ;   in Loop: Header=BB937_215 Depth=1
	v_bfe_u32 v38, v38, 24, 7
	v_cmp_ne_u32_e32 vcc, s21, v38
	v_mov_b32_e32 v62, 0x7f80
	s_and_saveexec_b64 s[16:17], vcc
	s_cbranch_execz .LBB937_405
; %bb.404:                              ;   in Loop: Header=BB937_215 Depth=1
	v_and_b32_e32 v42, 7, v40
	v_ffbh_u32_e32 v62, v42
	v_min_u32_e32 v65, 32, v62
	v_subrev_u32_e32 v62, 28, v65
	v_lshlrev_b64 v[62:63], v62, v[40:41]
	v_lshrrev_b32_e32 v64, 3, v38
	v_sub_u32_e32 v63, 29, v65
	v_and_b32_e32 v62, 7, v62
	v_cmp_gt_u32_e32 vcc, 8, v38
	v_cndmask_b32_e32 v38, v64, v63, vcc
	v_cndmask_b32_e32 v42, v42, v62, vcc
	v_lshlrev_b32_e32 v40, 24, v40
	v_lshlrev_b32_e32 v42, 20, v42
	v_and_b32_e32 v40, 0x80000000, v40
	v_lshl_add_u32 v38, v38, 23, v55
	v_or3_b32 v38, v40, v38, v42
	v_lshrrev_b32_e32 v62, 16, v38
.LBB937_405:                            ;   in Loop: Header=BB937_215 Depth=1
	s_or_b64 exec, exec, s[16:17]
.LBB937_406:                            ;   in Loop: Header=BB937_215 Depth=1
	s_or_b64 exec, exec, s[14:15]
.LBB937_407:                            ;   in Loop: Header=BB937_215 Depth=1
	s_or_b64 exec, exec, s[12:13]
	v_perm_b32 v64, v44, v46, s23
	buffer_load_dword v44, v51, s[0:3], 0 offen
	buffer_load_dword v42, v51, s[0:3], 0 offen offset:4
	buffer_load_dword v40, v51, s[0:3], 0 offen offset:8
	;; [unrolled: 1-line block ×3, first 2 shown]
	v_perm_b32 v65, v59, v57, s23
	v_perm_b32 v59, v62, v61, s23
	;; [unrolled: 1-line block ×3, first 2 shown]
	v_mfma_f32_16x16x16bf16_1k v[34:37], v[64:65], v[14:15], v[34:37]
	s_waitcnt vmcnt(3)
	v_cmp_ne_u16_sdwa s[14:15], v44, v54 src0_sel:BYTE_0 src1_sel:DWORD
	v_mfma_f32_16x16x16bf16_1k v[34:37], v[58:59], v[16:17], v[34:37]
	s_and_saveexec_b64 s[12:13], s[14:15]
	s_cbranch_execz .LBB937_413
; %bb.408:                              ;   in Loop: Header=BB937_215 Depth=1
	v_cmp_ne_u16_sdwa s[16:17], v44, s9 src0_sel:BYTE_0 src1_sel:DWORD
	v_mov_b32_e32 v56, 0xffff8000
	s_and_saveexec_b64 s[14:15], s[16:17]
	s_cbranch_execz .LBB937_412
; %bb.409:                              ;   in Loop: Header=BB937_215 Depth=1
	v_and_b32_e32 v46, 0x7f, v44
	v_cmp_ne_u32_e32 vcc, s21, v46
	v_mov_b32_e32 v56, 0x7f80
	s_and_saveexec_b64 s[16:17], vcc
	s_cbranch_execz .LBB937_411
; %bb.410:                              ;   in Loop: Header=BB937_215 Depth=1
	v_and_b32_e32 v51, 7, v44
	v_ffbh_u32_e32 v56, v51
	v_min_u32_e32 v59, 32, v56
	v_subrev_u32_e32 v56, 28, v59
	v_lshlrev_b64 v[56:57], v56, v[44:45]
	v_lshrrev_b32_e32 v58, 3, v46
	v_sub_u32_e32 v57, 29, v59
	v_and_b32_e32 v56, 7, v56
	v_cmp_gt_u32_e32 vcc, 8, v46
	v_cndmask_b32_e32 v46, v58, v57, vcc
	v_cndmask_b32_e32 v51, v51, v56, vcc
	v_lshlrev_b32_e32 v56, 24, v44
	v_lshlrev_b32_e32 v51, 20, v51
	v_and_b32_e32 v56, 0x80000000, v56
	v_lshl_add_u32 v46, v46, 23, v55
	v_or3_b32 v46, v56, v46, v51
	v_lshrrev_b32_e32 v56, 16, v46
.LBB937_411:                            ;   in Loop: Header=BB937_215 Depth=1
	s_or_b64 exec, exec, s[16:17]
.LBB937_412:                            ;   in Loop: Header=BB937_215 Depth=1
	s_or_b64 exec, exec, s[14:15]
.LBB937_413:                            ;   in Loop: Header=BB937_215 Depth=1
	s_or_b64 exec, exec, s[12:13]
	v_lshrrev_b16_e32 v46, 8, v44
	v_cmp_ne_u16_e32 vcc, 0, v46
	v_mov_b32_e32 v57, 0
	v_mov_b32_e32 v51, 0
	s_and_saveexec_b64 s[12:13], vcc
	s_cbranch_execz .LBB937_419
; %bb.414:                              ;   in Loop: Header=BB937_215 Depth=1
	v_cmp_ne_u16_e32 vcc, s9, v46
	v_mov_b32_e32 v51, 0xffff8000
	s_and_saveexec_b64 s[14:15], vcc
	s_cbranch_execz .LBB937_418
; %bb.415:                              ;   in Loop: Header=BB937_215 Depth=1
	v_and_b32_e32 v58, 0x7f, v46
	v_cmp_ne_u32_e32 vcc, s21, v58
	v_mov_b32_e32 v51, 0x7f80
	s_and_saveexec_b64 s[16:17], vcc
	s_cbranch_execz .LBB937_417
; %bb.416:                              ;   in Loop: Header=BB937_215 Depth=1
	v_and_b32_e32 v51, 7, v46
	v_ffbh_u32_e32 v60, v51
	v_min_u32_e32 v62, 32, v60
	v_subrev_u32_e32 v60, 28, v62
	v_lshlrev_b64 v[60:61], v60, v[46:47]
	v_lshrrev_b32_e32 v59, 3, v58
	v_sub_u32_e32 v46, 29, v62
	v_and_b32_e32 v60, 7, v60
	v_cmp_gt_u32_e32 vcc, 8, v58
	v_cndmask_b32_e32 v46, v59, v46, vcc
	v_cndmask_b32_e32 v51, v51, v60, vcc
	v_lshlrev_b32_e32 v58, 16, v44
	v_lshlrev_b32_e32 v51, 20, v51
	v_and_b32_e32 v58, 0x80000000, v58
	v_lshl_add_u32 v46, v46, 23, v55
	v_or3_b32 v46, v58, v46, v51
	v_lshrrev_b32_e32 v51, 16, v46
.LBB937_417:                            ;   in Loop: Header=BB937_215 Depth=1
	s_or_b64 exec, exec, s[16:17]
.LBB937_418:                            ;   in Loop: Header=BB937_215 Depth=1
	s_or_b64 exec, exec, s[14:15]
.LBB937_419:                            ;   in Loop: Header=BB937_215 Depth=1
	s_or_b64 exec, exec, s[12:13]
	v_lshrrev_b32_e32 v46, 16, v44
	v_cmp_ne_u16_sdwa s[14:15], v46, v54 src0_sel:BYTE_0 src1_sel:DWORD
	s_and_saveexec_b64 s[12:13], s[14:15]
	s_cbranch_execz .LBB937_425
; %bb.420:                              ;   in Loop: Header=BB937_215 Depth=1
	v_cmp_ne_u16_sdwa s[16:17], v46, s9 src0_sel:BYTE_0 src1_sel:DWORD
	v_mov_b32_e32 v57, 0xffff8000
	s_and_saveexec_b64 s[14:15], s[16:17]
	s_cbranch_execz .LBB937_424
; %bb.421:                              ;   in Loop: Header=BB937_215 Depth=1
	v_bfe_u32 v58, v44, 16, 7
	v_cmp_ne_u32_e32 vcc, s21, v58
	v_mov_b32_e32 v57, 0x7f80
	s_and_saveexec_b64 s[16:17], vcc
	s_cbranch_execz .LBB937_423
; %bb.422:                              ;   in Loop: Header=BB937_215 Depth=1
	v_and_b32_e32 v57, 7, v46
	v_ffbh_u32_e32 v60, v57
	v_min_u32_e32 v62, 32, v60
	v_subrev_u32_e32 v60, 28, v62
	v_lshlrev_b64 v[60:61], v60, v[46:47]
	v_lshrrev_b32_e32 v59, 3, v58
	v_sub_u32_e32 v61, 29, v62
	v_and_b32_e32 v60, 7, v60
	v_cmp_gt_u32_e32 vcc, 8, v58
	v_cndmask_b32_e32 v58, v59, v61, vcc
	v_cndmask_b32_e32 v57, v57, v60, vcc
	v_lshlrev_b32_e32 v46, 24, v46
	v_lshlrev_b32_e32 v57, 20, v57
	v_and_b32_e32 v46, 0x80000000, v46
	v_lshl_add_u32 v58, v58, 23, v55
	v_or3_b32 v46, v46, v58, v57
	v_lshrrev_b32_e32 v57, 16, v46
.LBB937_423:                            ;   in Loop: Header=BB937_215 Depth=1
	s_or_b64 exec, exec, s[16:17]
.LBB937_424:                            ;   in Loop: Header=BB937_215 Depth=1
	s_or_b64 exec, exec, s[14:15]
.LBB937_425:                            ;   in Loop: Header=BB937_215 Depth=1
	s_or_b64 exec, exec, s[12:13]
	v_cmp_lt_u32_e32 vcc, s22, v44
	v_mov_b32_e32 v58, 0
	v_mov_b32_e32 v59, 0
	s_and_saveexec_b64 s[12:13], vcc
	s_cbranch_execz .LBB937_431
; %bb.426:                              ;   in Loop: Header=BB937_215 Depth=1
	v_lshrrev_b32_e32 v46, 24, v44
	v_cmp_ne_u32_e32 vcc, s9, v46
	v_mov_b32_e32 v59, 0xffff8000
	s_and_saveexec_b64 s[14:15], vcc
	s_cbranch_execz .LBB937_430
; %bb.427:                              ;   in Loop: Header=BB937_215 Depth=1
	v_bfe_u32 v44, v44, 24, 7
	v_cmp_ne_u32_e32 vcc, s21, v44
	v_mov_b32_e32 v59, 0x7f80
	s_and_saveexec_b64 s[16:17], vcc
	s_cbranch_execz .LBB937_429
; %bb.428:                              ;   in Loop: Header=BB937_215 Depth=1
	v_and_b32_e32 v59, 7, v46
	v_ffbh_u32_e32 v60, v59
	v_min_u32_e32 v63, 32, v60
	v_subrev_u32_e32 v60, 28, v63
	v_lshlrev_b64 v[60:61], v60, v[46:47]
	v_lshrrev_b32_e32 v62, 3, v44
	v_sub_u32_e32 v61, 29, v63
	v_and_b32_e32 v60, 7, v60
	v_cmp_gt_u32_e32 vcc, 8, v44
	v_cndmask_b32_e32 v44, v62, v61, vcc
	v_cndmask_b32_e32 v59, v59, v60, vcc
	v_lshlrev_b32_e32 v46, 24, v46
	v_lshlrev_b32_e32 v59, 20, v59
	v_and_b32_e32 v46, 0x80000000, v46
	v_lshl_add_u32 v44, v44, 23, v55
	v_or3_b32 v44, v46, v44, v59
	v_lshrrev_b32_e32 v59, 16, v44
.LBB937_429:                            ;   in Loop: Header=BB937_215 Depth=1
	s_or_b64 exec, exec, s[16:17]
.LBB937_430:                            ;   in Loop: Header=BB937_215 Depth=1
	s_or_b64 exec, exec, s[14:15]
.LBB937_431:                            ;   in Loop: Header=BB937_215 Depth=1
	s_or_b64 exec, exec, s[12:13]
	s_waitcnt vmcnt(2)
	v_cmp_ne_u16_sdwa s[14:15], v42, v54 src0_sel:BYTE_0 src1_sel:DWORD
	s_and_saveexec_b64 s[12:13], s[14:15]
	s_cbranch_execz .LBB937_437
; %bb.432:                              ;   in Loop: Header=BB937_215 Depth=1
	v_cmp_ne_u16_sdwa s[16:17], v42, s9 src0_sel:BYTE_0 src1_sel:DWORD
	v_mov_b32_e32 v58, 0xffff8000
	s_and_saveexec_b64 s[14:15], s[16:17]
	s_cbranch_execz .LBB937_436
; %bb.433:                              ;   in Loop: Header=BB937_215 Depth=1
	v_and_b32_e32 v44, 0x7f, v42
	v_cmp_ne_u32_e32 vcc, s21, v44
	v_mov_b32_e32 v58, 0x7f80
	s_and_saveexec_b64 s[16:17], vcc
	s_cbranch_execz .LBB937_435
; %bb.434:                              ;   in Loop: Header=BB937_215 Depth=1
	v_and_b32_e32 v46, 7, v42
	v_ffbh_u32_e32 v60, v46
	v_min_u32_e32 v62, 32, v60
	v_subrev_u32_e32 v60, 28, v62
	v_lshlrev_b64 v[60:61], v60, v[42:43]
	v_lshrrev_b32_e32 v58, 3, v44
	v_sub_u32_e32 v61, 29, v62
	v_and_b32_e32 v60, 7, v60
	v_cmp_gt_u32_e32 vcc, 8, v44
	v_cndmask_b32_e32 v44, v58, v61, vcc
	v_cndmask_b32_e32 v46, v46, v60, vcc
	v_lshlrev_b32_e32 v58, 24, v42
	v_lshlrev_b32_e32 v46, 20, v46
	v_and_b32_e32 v58, 0x80000000, v58
	v_lshl_add_u32 v44, v44, 23, v55
	v_or3_b32 v44, v58, v44, v46
	v_lshrrev_b32_e32 v58, 16, v44
.LBB937_435:                            ;   in Loop: Header=BB937_215 Depth=1
	s_or_b64 exec, exec, s[16:17]
.LBB937_436:                            ;   in Loop: Header=BB937_215 Depth=1
	s_or_b64 exec, exec, s[14:15]
.LBB937_437:                            ;   in Loop: Header=BB937_215 Depth=1
	s_or_b64 exec, exec, s[12:13]
	v_lshrrev_b16_e32 v44, 8, v42
	v_cmp_ne_u16_e32 vcc, 0, v44
	v_mov_b32_e32 v61, 0
	v_mov_b32_e32 v60, 0
	s_and_saveexec_b64 s[12:13], vcc
	s_cbranch_execz .LBB937_443
; %bb.438:                              ;   in Loop: Header=BB937_215 Depth=1
	v_cmp_ne_u16_e32 vcc, s9, v44
	v_mov_b32_e32 v60, 0xffff8000
	s_and_saveexec_b64 s[14:15], vcc
	s_cbranch_execz .LBB937_442
; %bb.439:                              ;   in Loop: Header=BB937_215 Depth=1
	v_and_b32_e32 v46, 0x7f, v44
	v_cmp_ne_u32_e32 vcc, s21, v46
	v_mov_b32_e32 v60, 0x7f80
	s_and_saveexec_b64 s[16:17], vcc
	s_cbranch_execz .LBB937_441
; %bb.440:                              ;   in Loop: Header=BB937_215 Depth=1
	v_and_b32_e32 v60, 7, v44
	v_ffbh_u32_e32 v62, v60
	v_min_u32_e32 v65, 32, v62
	v_subrev_u32_e32 v62, 28, v65
	v_lshlrev_b64 v[62:63], v62, v[44:45]
	v_lshrrev_b32_e32 v64, 3, v46
	v_sub_u32_e32 v44, 29, v65
	v_and_b32_e32 v62, 7, v62
	v_cmp_gt_u32_e32 vcc, 8, v46
	v_cndmask_b32_e32 v44, v64, v44, vcc
	v_cndmask_b32_e32 v46, v60, v62, vcc
	v_lshlrev_b32_e32 v60, 16, v42
	v_lshlrev_b32_e32 v46, 20, v46
	v_and_b32_e32 v60, 0x80000000, v60
	v_lshl_add_u32 v44, v44, 23, v55
	v_or3_b32 v44, v60, v44, v46
	v_lshrrev_b32_e32 v60, 16, v44
.LBB937_441:                            ;   in Loop: Header=BB937_215 Depth=1
	s_or_b64 exec, exec, s[16:17]
.LBB937_442:                            ;   in Loop: Header=BB937_215 Depth=1
	s_or_b64 exec, exec, s[14:15]
.LBB937_443:                            ;   in Loop: Header=BB937_215 Depth=1
	s_or_b64 exec, exec, s[12:13]
	v_lshrrev_b32_e32 v44, 16, v42
	v_cmp_ne_u16_sdwa s[14:15], v44, v54 src0_sel:BYTE_0 src1_sel:DWORD
	s_and_saveexec_b64 s[12:13], s[14:15]
	s_cbranch_execz .LBB937_449
; %bb.444:                              ;   in Loop: Header=BB937_215 Depth=1
	v_cmp_ne_u16_sdwa s[16:17], v44, s9 src0_sel:BYTE_0 src1_sel:DWORD
	v_mov_b32_e32 v61, 0xffff8000
	s_and_saveexec_b64 s[14:15], s[16:17]
	s_cbranch_execz .LBB937_448
; %bb.445:                              ;   in Loop: Header=BB937_215 Depth=1
	v_bfe_u32 v46, v42, 16, 7
	v_cmp_ne_u32_e32 vcc, s21, v46
	v_mov_b32_e32 v61, 0x7f80
	s_and_saveexec_b64 s[16:17], vcc
	s_cbranch_execz .LBB937_447
; %bb.446:                              ;   in Loop: Header=BB937_215 Depth=1
	v_and_b32_e32 v61, 7, v44
	v_ffbh_u32_e32 v62, v61
	v_min_u32_e32 v65, 32, v62
	v_subrev_u32_e32 v62, 28, v65
	v_lshlrev_b64 v[62:63], v62, v[44:45]
	v_lshrrev_b32_e32 v64, 3, v46
	v_sub_u32_e32 v63, 29, v65
	v_and_b32_e32 v62, 7, v62
	v_cmp_gt_u32_e32 vcc, 8, v46
	v_cndmask_b32_e32 v46, v64, v63, vcc
	v_cndmask_b32_e32 v61, v61, v62, vcc
	v_lshlrev_b32_e32 v44, 24, v44
	v_lshlrev_b32_e32 v61, 20, v61
	v_and_b32_e32 v44, 0x80000000, v44
	v_lshl_add_u32 v46, v46, 23, v55
	v_or3_b32 v44, v44, v46, v61
	v_lshrrev_b32_e32 v61, 16, v44
.LBB937_447:                            ;   in Loop: Header=BB937_215 Depth=1
	s_or_b64 exec, exec, s[16:17]
.LBB937_448:                            ;   in Loop: Header=BB937_215 Depth=1
	s_or_b64 exec, exec, s[14:15]
.LBB937_449:                            ;   in Loop: Header=BB937_215 Depth=1
	s_or_b64 exec, exec, s[12:13]
	v_cmp_lt_u32_e32 vcc, s22, v42
	v_mov_b32_e32 v46, 0
	v_mov_b32_e32 v62, 0
	s_and_saveexec_b64 s[12:13], vcc
	s_cbranch_execz .LBB937_455
; %bb.450:                              ;   in Loop: Header=BB937_215 Depth=1
	v_lshrrev_b32_e32 v44, 24, v42
	v_cmp_ne_u32_e32 vcc, s9, v44
	v_mov_b32_e32 v62, 0xffff8000
	s_and_saveexec_b64 s[14:15], vcc
	s_cbranch_execz .LBB937_454
; %bb.451:                              ;   in Loop: Header=BB937_215 Depth=1
	v_bfe_u32 v42, v42, 24, 7
	v_cmp_ne_u32_e32 vcc, s21, v42
	v_mov_b32_e32 v62, 0x7f80
	s_and_saveexec_b64 s[16:17], vcc
	s_cbranch_execz .LBB937_453
; %bb.452:                              ;   in Loop: Header=BB937_215 Depth=1
	v_and_b32_e32 v64, 7, v44
	v_ffbh_u32_e32 v62, v64
	v_min_u32_e32 v66, 32, v62
	v_subrev_u32_e32 v62, 28, v66
	v_lshlrev_b64 v[62:63], v62, v[44:45]
	v_lshrrev_b32_e32 v65, 3, v42
	v_sub_u32_e32 v63, 29, v66
	v_and_b32_e32 v62, 7, v62
	v_cmp_gt_u32_e32 vcc, 8, v42
	v_cndmask_b32_e32 v42, v65, v63, vcc
	v_cndmask_b32_e32 v62, v64, v62, vcc
	v_lshlrev_b32_e32 v44, 24, v44
	v_lshlrev_b32_e32 v62, 20, v62
	v_and_b32_e32 v44, 0x80000000, v44
	v_lshl_add_u32 v42, v42, 23, v55
	v_or3_b32 v42, v44, v42, v62
	v_lshrrev_b32_e32 v62, 16, v42
.LBB937_453:                            ;   in Loop: Header=BB937_215 Depth=1
	s_or_b64 exec, exec, s[16:17]
.LBB937_454:                            ;   in Loop: Header=BB937_215 Depth=1
	s_or_b64 exec, exec, s[14:15]
.LBB937_455:                            ;   in Loop: Header=BB937_215 Depth=1
	s_or_b64 exec, exec, s[12:13]
	v_perm_b32 v57, v59, v57, s23
	v_perm_b32 v56, v51, v56, s23
	s_waitcnt vmcnt(1)
	v_cmp_ne_u16_sdwa s[14:15], v40, v54 src0_sel:BYTE_0 src1_sel:DWORD
	v_mfma_f32_16x16x16bf16_1k v[34:37], v[56:57], v[18:19], v[34:37]
	v_perm_b32 v57, v62, v61, s23
	v_perm_b32 v56, v60, v58, s23
	s_nop 1
	v_mfma_f32_16x16x16bf16_1k v[34:37], v[56:57], v[20:21], v[34:37]
	s_and_saveexec_b64 s[12:13], s[14:15]
	s_cbranch_execz .LBB937_461
; %bb.456:                              ;   in Loop: Header=BB937_215 Depth=1
	v_cmp_ne_u16_sdwa s[16:17], v40, s9 src0_sel:BYTE_0 src1_sel:DWORD
	v_mov_b32_e32 v46, 0xffff8000
	s_and_saveexec_b64 s[14:15], s[16:17]
	s_cbranch_execz .LBB937_460
; %bb.457:                              ;   in Loop: Header=BB937_215 Depth=1
	v_and_b32_e32 v42, 0x7f, v40
	v_cmp_ne_u32_e32 vcc, s21, v42
	v_mov_b32_e32 v46, 0x7f80
	s_and_saveexec_b64 s[16:17], vcc
	s_cbranch_execz .LBB937_459
; %bb.458:                              ;   in Loop: Header=BB937_215 Depth=1
	v_and_b32_e32 v44, 7, v40
	v_ffbh_u32_e32 v51, v44
	v_min_u32_e32 v51, 32, v51
	v_subrev_u32_e32 v56, 28, v51
	v_lshlrev_b64 v[56:57], v56, v[40:41]
	v_lshrrev_b32_e32 v46, 3, v42
	v_sub_u32_e32 v51, 29, v51
	v_and_b32_e32 v56, 7, v56
	v_cmp_gt_u32_e32 vcc, 8, v42
	v_cndmask_b32_e32 v42, v46, v51, vcc
	v_cndmask_b32_e32 v44, v44, v56, vcc
	v_lshlrev_b32_e32 v46, 24, v40
	v_lshlrev_b32_e32 v44, 20, v44
	v_and_b32_e32 v46, 0x80000000, v46
	v_lshl_add_u32 v42, v42, 23, v55
	v_or3_b32 v42, v46, v42, v44
	v_lshrrev_b32_e32 v46, 16, v42
.LBB937_459:                            ;   in Loop: Header=BB937_215 Depth=1
	s_or_b64 exec, exec, s[16:17]
.LBB937_460:                            ;   in Loop: Header=BB937_215 Depth=1
	s_or_b64 exec, exec, s[14:15]
.LBB937_461:                            ;   in Loop: Header=BB937_215 Depth=1
	s_or_b64 exec, exec, s[12:13]
	v_lshrrev_b16_e32 v42, 8, v40
	v_cmp_ne_u16_e32 vcc, 0, v42
	v_mov_b32_e32 v56, 0
	v_mov_b32_e32 v44, 0
	s_and_saveexec_b64 s[12:13], vcc
	s_cbranch_execz .LBB937_467
; %bb.462:                              ;   in Loop: Header=BB937_215 Depth=1
	v_cmp_ne_u16_e32 vcc, s9, v42
	v_mov_b32_e32 v44, 0xffff8000
	s_and_saveexec_b64 s[14:15], vcc
	s_cbranch_execz .LBB937_466
; %bb.463:                              ;   in Loop: Header=BB937_215 Depth=1
	v_and_b32_e32 v51, 0x7f, v42
	v_cmp_ne_u32_e32 vcc, s21, v51
	v_mov_b32_e32 v44, 0x7f80
	s_and_saveexec_b64 s[16:17], vcc
	s_cbranch_execz .LBB937_465
; %bb.464:                              ;   in Loop: Header=BB937_215 Depth=1
	v_and_b32_e32 v44, 7, v42
	v_ffbh_u32_e32 v58, v44
	v_min_u32_e32 v60, 32, v58
	v_subrev_u32_e32 v58, 28, v60
	v_lshlrev_b64 v[58:59], v58, v[42:43]
	v_lshrrev_b32_e32 v57, 3, v51
	v_sub_u32_e32 v42, 29, v60
	v_and_b32_e32 v58, 7, v58
	v_cmp_gt_u32_e32 vcc, 8, v51
	v_cndmask_b32_e32 v42, v57, v42, vcc
	v_cndmask_b32_e32 v44, v44, v58, vcc
	v_lshlrev_b32_e32 v51, 16, v40
	v_lshlrev_b32_e32 v44, 20, v44
	v_and_b32_e32 v51, 0x80000000, v51
	v_lshl_add_u32 v42, v42, 23, v55
	v_or3_b32 v42, v51, v42, v44
	v_lshrrev_b32_e32 v44, 16, v42
.LBB937_465:                            ;   in Loop: Header=BB937_215 Depth=1
	s_or_b64 exec, exec, s[16:17]
.LBB937_466:                            ;   in Loop: Header=BB937_215 Depth=1
	s_or_b64 exec, exec, s[14:15]
.LBB937_467:                            ;   in Loop: Header=BB937_215 Depth=1
	s_or_b64 exec, exec, s[12:13]
	v_lshrrev_b32_e32 v42, 16, v40
	v_cmp_ne_u16_sdwa s[14:15], v42, v54 src0_sel:BYTE_0 src1_sel:DWORD
	s_and_saveexec_b64 s[12:13], s[14:15]
	s_cbranch_execz .LBB937_473
; %bb.468:                              ;   in Loop: Header=BB937_215 Depth=1
	v_cmp_ne_u16_sdwa s[16:17], v42, s9 src0_sel:BYTE_0 src1_sel:DWORD
	v_mov_b32_e32 v56, 0xffff8000
	s_and_saveexec_b64 s[14:15], s[16:17]
	s_cbranch_execz .LBB937_472
; %bb.469:                              ;   in Loop: Header=BB937_215 Depth=1
	v_bfe_u32 v51, v40, 16, 7
	v_cmp_ne_u32_e32 vcc, s21, v51
	v_mov_b32_e32 v56, 0x7f80
	s_and_saveexec_b64 s[16:17], vcc
	s_cbranch_execz .LBB937_471
; %bb.470:                              ;   in Loop: Header=BB937_215 Depth=1
	v_and_b32_e32 v58, 7, v42
	v_ffbh_u32_e32 v56, v58
	v_min_u32_e32 v60, 32, v56
	v_subrev_u32_e32 v56, 28, v60
	v_lshlrev_b64 v[56:57], v56, v[42:43]
	v_lshrrev_b32_e32 v59, 3, v51
	v_sub_u32_e32 v57, 29, v60
	v_and_b32_e32 v56, 7, v56
	v_cmp_gt_u32_e32 vcc, 8, v51
	v_cndmask_b32_e32 v51, v59, v57, vcc
	v_cndmask_b32_e32 v56, v58, v56, vcc
	v_lshlrev_b32_e32 v42, 24, v42
	v_lshlrev_b32_e32 v56, 20, v56
	v_and_b32_e32 v42, 0x80000000, v42
	v_lshl_add_u32 v51, v51, 23, v55
	v_or3_b32 v42, v42, v51, v56
	v_lshrrev_b32_e32 v56, 16, v42
.LBB937_471:                            ;   in Loop: Header=BB937_215 Depth=1
	s_or_b64 exec, exec, s[16:17]
.LBB937_472:                            ;   in Loop: Header=BB937_215 Depth=1
	s_or_b64 exec, exec, s[14:15]
.LBB937_473:                            ;   in Loop: Header=BB937_215 Depth=1
	s_or_b64 exec, exec, s[12:13]
	v_cmp_lt_u32_e32 vcc, s22, v40
	v_mov_b32_e32 v57, 0
	v_mov_b32_e32 v58, 0
	s_and_saveexec_b64 s[12:13], vcc
	s_cbranch_execz .LBB937_479
; %bb.474:                              ;   in Loop: Header=BB937_215 Depth=1
	v_lshrrev_b32_e32 v42, 24, v40
	v_cmp_ne_u32_e32 vcc, s9, v42
	v_mov_b32_e32 v58, 0xffff8000
	s_and_saveexec_b64 s[14:15], vcc
	s_cbranch_execz .LBB937_478
; %bb.475:                              ;   in Loop: Header=BB937_215 Depth=1
	v_bfe_u32 v40, v40, 24, 7
	v_cmp_ne_u32_e32 vcc, s21, v40
	v_mov_b32_e32 v58, 0x7f80
	s_and_saveexec_b64 s[16:17], vcc
	s_cbranch_execz .LBB937_477
; %bb.476:                              ;   in Loop: Header=BB937_215 Depth=1
	v_and_b32_e32 v51, 7, v42
	v_ffbh_u32_e32 v58, v51
	v_min_u32_e32 v61, 32, v58
	v_subrev_u32_e32 v58, 28, v61
	v_lshlrev_b64 v[58:59], v58, v[42:43]
	v_lshrrev_b32_e32 v60, 3, v40
	v_sub_u32_e32 v59, 29, v61
	v_and_b32_e32 v58, 7, v58
	v_cmp_gt_u32_e32 vcc, 8, v40
	v_cndmask_b32_e32 v40, v60, v59, vcc
	v_cndmask_b32_e32 v51, v51, v58, vcc
	v_lshlrev_b32_e32 v42, 24, v42
	v_lshlrev_b32_e32 v51, 20, v51
	v_and_b32_e32 v42, 0x80000000, v42
	v_lshl_add_u32 v40, v40, 23, v55
	v_or3_b32 v40, v42, v40, v51
	v_lshrrev_b32_e32 v58, 16, v40
.LBB937_477:                            ;   in Loop: Header=BB937_215 Depth=1
	s_or_b64 exec, exec, s[16:17]
.LBB937_478:                            ;   in Loop: Header=BB937_215 Depth=1
	s_or_b64 exec, exec, s[14:15]
.LBB937_479:                            ;   in Loop: Header=BB937_215 Depth=1
	s_or_b64 exec, exec, s[12:13]
	s_waitcnt vmcnt(0)
	v_cmp_ne_u16_sdwa s[14:15], v38, v54 src0_sel:BYTE_0 src1_sel:DWORD
	s_and_saveexec_b64 s[12:13], s[14:15]
	s_cbranch_execz .LBB937_485
; %bb.480:                              ;   in Loop: Header=BB937_215 Depth=1
	v_cmp_ne_u16_sdwa s[16:17], v38, s9 src0_sel:BYTE_0 src1_sel:DWORD
	v_mov_b32_e32 v57, 0xffff8000
	s_and_saveexec_b64 s[14:15], s[16:17]
	s_cbranch_execz .LBB937_484
; %bb.481:                              ;   in Loop: Header=BB937_215 Depth=1
	v_and_b32_e32 v40, 0x7f, v38
	v_cmp_ne_u32_e32 vcc, s21, v40
	v_mov_b32_e32 v57, 0x7f80
	s_and_saveexec_b64 s[16:17], vcc
	s_cbranch_execz .LBB937_483
; %bb.482:                              ;   in Loop: Header=BB937_215 Depth=1
	v_and_b32_e32 v42, 7, v38
	v_ffbh_u32_e32 v57, v42
	v_min_u32_e32 v57, 32, v57
	v_subrev_u32_e32 v59, 28, v57
	v_lshlrev_b64 v[60:61], v59, v[38:39]
	v_lshrrev_b32_e32 v51, 3, v40
	v_sub_u32_e32 v57, 29, v57
	v_and_b32_e32 v59, 7, v60
	v_cmp_gt_u32_e32 vcc, 8, v40
	v_cndmask_b32_e32 v40, v51, v57, vcc
	v_cndmask_b32_e32 v42, v42, v59, vcc
	v_lshlrev_b32_e32 v51, 24, v38
	v_lshlrev_b32_e32 v42, 20, v42
	v_and_b32_e32 v51, 0x80000000, v51
	v_lshl_add_u32 v40, v40, 23, v55
	v_or3_b32 v40, v51, v40, v42
	v_lshrrev_b32_e32 v57, 16, v40
.LBB937_483:                            ;   in Loop: Header=BB937_215 Depth=1
	s_or_b64 exec, exec, s[16:17]
.LBB937_484:                            ;   in Loop: Header=BB937_215 Depth=1
	s_or_b64 exec, exec, s[14:15]
.LBB937_485:                            ;   in Loop: Header=BB937_215 Depth=1
	s_or_b64 exec, exec, s[12:13]
	v_lshrrev_b16_e32 v40, 8, v38
	v_cmp_ne_u16_e32 vcc, 0, v40
	v_mov_b32_e32 v60, 0
	v_mov_b32_e32 v59, 0
	s_and_saveexec_b64 s[12:13], vcc
	s_cbranch_execz .LBB937_491
; %bb.486:                              ;   in Loop: Header=BB937_215 Depth=1
	v_cmp_ne_u16_e32 vcc, s9, v40
	v_mov_b32_e32 v59, 0xffff8000
	s_and_saveexec_b64 s[14:15], vcc
	s_cbranch_execz .LBB937_490
; %bb.487:                              ;   in Loop: Header=BB937_215 Depth=1
	v_and_b32_e32 v42, 0x7f, v40
	v_cmp_ne_u32_e32 vcc, s21, v42
	v_mov_b32_e32 v59, 0x7f80
	s_and_saveexec_b64 s[16:17], vcc
	s_cbranch_execz .LBB937_489
; %bb.488:                              ;   in Loop: Header=BB937_215 Depth=1
	v_and_b32_e32 v51, 7, v40
	v_ffbh_u32_e32 v61, v51
	v_min_u32_e32 v61, 32, v61
	v_subrev_u32_e32 v62, 28, v61
	v_lshlrev_b64 v[62:63], v62, v[40:41]
	v_lshrrev_b32_e32 v59, 3, v42
	v_sub_u32_e32 v40, 29, v61
	v_and_b32_e32 v61, 7, v62
	v_cmp_gt_u32_e32 vcc, 8, v42
	v_cndmask_b32_e32 v40, v59, v40, vcc
	v_cndmask_b32_e32 v42, v51, v61, vcc
	v_lshlrev_b32_e32 v51, 16, v38
	v_lshlrev_b32_e32 v42, 20, v42
	v_and_b32_e32 v51, 0x80000000, v51
	v_lshl_add_u32 v40, v40, 23, v55
	v_or3_b32 v40, v51, v40, v42
	v_lshrrev_b32_e32 v59, 16, v40
.LBB937_489:                            ;   in Loop: Header=BB937_215 Depth=1
	s_or_b64 exec, exec, s[16:17]
.LBB937_490:                            ;   in Loop: Header=BB937_215 Depth=1
	s_or_b64 exec, exec, s[14:15]
.LBB937_491:                            ;   in Loop: Header=BB937_215 Depth=1
	s_or_b64 exec, exec, s[12:13]
	v_lshrrev_b32_e32 v40, 16, v38
	v_cmp_ne_u16_sdwa s[14:15], v40, v54 src0_sel:BYTE_0 src1_sel:DWORD
	s_and_saveexec_b64 s[12:13], s[14:15]
	s_cbranch_execz .LBB937_497
; %bb.492:                              ;   in Loop: Header=BB937_215 Depth=1
	v_cmp_ne_u16_sdwa s[16:17], v40, s9 src0_sel:BYTE_0 src1_sel:DWORD
	v_mov_b32_e32 v60, 0xffff8000
	s_and_saveexec_b64 s[14:15], s[16:17]
	s_cbranch_execz .LBB937_496
; %bb.493:                              ;   in Loop: Header=BB937_215 Depth=1
	v_bfe_u32 v42, v38, 16, 7
	v_cmp_ne_u32_e32 vcc, s21, v42
	v_mov_b32_e32 v60, 0x7f80
	s_and_saveexec_b64 s[16:17], vcc
	s_cbranch_execz .LBB937_495
; %bb.494:                              ;   in Loop: Header=BB937_215 Depth=1
	v_and_b32_e32 v51, 7, v40
	v_ffbh_u32_e32 v60, v51
	v_min_u32_e32 v63, 32, v60
	v_subrev_u32_e32 v60, 28, v63
	v_lshlrev_b64 v[60:61], v60, v[40:41]
	v_lshrrev_b32_e32 v62, 3, v42
	v_sub_u32_e32 v61, 29, v63
	v_and_b32_e32 v60, 7, v60
	v_cmp_gt_u32_e32 vcc, 8, v42
	v_cndmask_b32_e32 v42, v62, v61, vcc
	v_cndmask_b32_e32 v51, v51, v60, vcc
	v_lshlrev_b32_e32 v40, 24, v40
	v_lshlrev_b32_e32 v51, 20, v51
	v_and_b32_e32 v40, 0x80000000, v40
	v_lshl_add_u32 v42, v42, 23, v55
	v_or3_b32 v40, v40, v42, v51
	v_lshrrev_b32_e32 v60, 16, v40
.LBB937_495:                            ;   in Loop: Header=BB937_215 Depth=1
	s_or_b64 exec, exec, s[16:17]
.LBB937_496:                            ;   in Loop: Header=BB937_215 Depth=1
	s_or_b64 exec, exec, s[14:15]
.LBB937_497:                            ;   in Loop: Header=BB937_215 Depth=1
	s_or_b64 exec, exec, s[12:13]
	v_cmp_lt_u32_e32 vcc, s22, v38
	v_mov_b32_e32 v51, 0
	v_mov_b32_e32 v61, 0
	s_and_saveexec_b64 s[12:13], vcc
	s_cbranch_execz .LBB937_503
; %bb.498:                              ;   in Loop: Header=BB937_215 Depth=1
	v_lshrrev_b32_e32 v40, 24, v38
	v_cmp_ne_u32_e32 vcc, s9, v40
	v_mov_b32_e32 v61, 0xffff8000
	s_and_saveexec_b64 s[14:15], vcc
	s_cbranch_execz .LBB937_502
; %bb.499:                              ;   in Loop: Header=BB937_215 Depth=1
	v_bfe_u32 v38, v38, 24, 7
	v_cmp_ne_u32_e32 vcc, s21, v38
	v_mov_b32_e32 v61, 0x7f80
	s_and_saveexec_b64 s[16:17], vcc
	s_cbranch_execz .LBB937_501
; %bb.500:                              ;   in Loop: Header=BB937_215 Depth=1
	v_and_b32_e32 v42, 7, v40
	v_ffbh_u32_e32 v62, v42
	v_min_u32_e32 v64, 32, v62
	v_subrev_u32_e32 v62, 28, v64
	v_lshlrev_b64 v[62:63], v62, v[40:41]
	v_lshrrev_b32_e32 v61, 3, v38
	v_sub_u32_e32 v63, 29, v64
	v_and_b32_e32 v62, 7, v62
	v_cmp_gt_u32_e32 vcc, 8, v38
	v_cndmask_b32_e32 v38, v61, v63, vcc
	v_cndmask_b32_e32 v42, v42, v62, vcc
	v_lshlrev_b32_e32 v40, 24, v40
	v_lshlrev_b32_e32 v42, 20, v42
	v_and_b32_e32 v40, 0x80000000, v40
	v_lshl_add_u32 v38, v38, 23, v55
	v_or3_b32 v38, v40, v38, v42
	v_lshrrev_b32_e32 v61, 16, v38
.LBB937_501:                            ;   in Loop: Header=BB937_215 Depth=1
	s_or_b64 exec, exec, s[16:17]
.LBB937_502:                            ;   in Loop: Header=BB937_215 Depth=1
	s_or_b64 exec, exec, s[14:15]
.LBB937_503:                            ;   in Loop: Header=BB937_215 Depth=1
	s_or_b64 exec, exec, s[12:13]
	v_perm_b32 v62, v44, v46, s23
	buffer_load_dword v44, v50, s[0:3], 0 offen
	buffer_load_dword v42, v50, s[0:3], 0 offen offset:4
	buffer_load_dword v40, v50, s[0:3], 0 offen offset:8
	buffer_load_dword v38, v50, s[0:3], 0 offen offset:12
	v_perm_b32 v63, v58, v56, s23
	v_perm_b32 v61, v61, v60, s23
	;; [unrolled: 1-line block ×3, first 2 shown]
	v_mfma_f32_16x16x16bf16_1k v[34:37], v[62:63], v[22:23], v[34:37]
	s_waitcnt vmcnt(3)
	v_cmp_ne_u16_sdwa s[14:15], v44, v54 src0_sel:BYTE_0 src1_sel:DWORD
	v_mfma_f32_16x16x16bf16_1k v[34:37], v[60:61], v[24:25], v[34:37]
	s_and_saveexec_b64 s[12:13], s[14:15]
	s_cbranch_execz .LBB937_509
; %bb.504:                              ;   in Loop: Header=BB937_215 Depth=1
	v_cmp_ne_u16_sdwa s[16:17], v44, s9 src0_sel:BYTE_0 src1_sel:DWORD
	v_mov_b32_e32 v51, 0xffff8000
	s_and_saveexec_b64 s[14:15], s[16:17]
	s_cbranch_execz .LBB937_508
; %bb.505:                              ;   in Loop: Header=BB937_215 Depth=1
	v_and_b32_e32 v46, 0x7f, v44
	v_cmp_ne_u32_e32 vcc, s21, v46
	v_mov_b32_e32 v51, 0x7f80
	s_and_saveexec_b64 s[16:17], vcc
	s_cbranch_execz .LBB937_507
; %bb.506:                              ;   in Loop: Header=BB937_215 Depth=1
	v_and_b32_e32 v56, 7, v44
	v_ffbh_u32_e32 v50, v56
	v_min_u32_e32 v58, 32, v50
	v_subrev_u32_e32 v50, 28, v58
	v_lshlrev_b64 v[50:51], v50, v[44:45]
	v_lshrrev_b32_e32 v57, 3, v46
	v_sub_u32_e32 v51, 29, v58
	v_and_b32_e32 v50, 7, v50
	v_cmp_gt_u32_e32 vcc, 8, v46
	v_cndmask_b32_e32 v46, v57, v51, vcc
	v_cndmask_b32_e32 v50, v56, v50, vcc
	v_lshlrev_b32_e32 v51, 24, v44
	v_lshlrev_b32_e32 v50, 20, v50
	v_and_b32_e32 v51, 0x80000000, v51
	v_lshl_add_u32 v46, v46, 23, v55
	v_or3_b32 v46, v51, v46, v50
	v_lshrrev_b32_e32 v51, 16, v46
.LBB937_507:                            ;   in Loop: Header=BB937_215 Depth=1
	s_or_b64 exec, exec, s[16:17]
.LBB937_508:                            ;   in Loop: Header=BB937_215 Depth=1
	s_or_b64 exec, exec, s[14:15]
.LBB937_509:                            ;   in Loop: Header=BB937_215 Depth=1
	s_or_b64 exec, exec, s[12:13]
	v_lshrrev_b16_e32 v46, 8, v44
	v_cmp_ne_u16_e32 vcc, 0, v46
	v_mov_b32_e32 v56, 0
	v_mov_b32_e32 v50, 0
	s_and_saveexec_b64 s[12:13], vcc
	s_cbranch_execz .LBB937_515
; %bb.510:                              ;   in Loop: Header=BB937_215 Depth=1
	v_cmp_ne_u16_e32 vcc, s9, v46
	v_mov_b32_e32 v50, 0xffff8000
	s_and_saveexec_b64 s[14:15], vcc
	s_cbranch_execz .LBB937_514
; %bb.511:                              ;   in Loop: Header=BB937_215 Depth=1
	v_and_b32_e32 v57, 0x7f, v46
	v_cmp_ne_u32_e32 vcc, s21, v57
	v_mov_b32_e32 v50, 0x7f80
	s_and_saveexec_b64 s[16:17], vcc
	s_cbranch_execz .LBB937_513
; %bb.512:                              ;   in Loop: Header=BB937_215 Depth=1
	v_and_b32_e32 v50, 7, v46
	v_ffbh_u32_e32 v58, v50
	v_min_u32_e32 v61, 32, v58
	v_subrev_u32_e32 v58, 28, v61
	v_lshlrev_b64 v[58:59], v58, v[46:47]
	v_lshrrev_b32_e32 v60, 3, v57
	v_sub_u32_e32 v46, 29, v61
	v_and_b32_e32 v58, 7, v58
	v_cmp_gt_u32_e32 vcc, 8, v57
	v_cndmask_b32_e32 v46, v60, v46, vcc
	v_cndmask_b32_e32 v50, v50, v58, vcc
	v_lshlrev_b32_e32 v57, 16, v44
	v_lshlrev_b32_e32 v50, 20, v50
	v_and_b32_e32 v57, 0x80000000, v57
	v_lshl_add_u32 v46, v46, 23, v55
	v_or3_b32 v46, v57, v46, v50
	v_lshrrev_b32_e32 v50, 16, v46
.LBB937_513:                            ;   in Loop: Header=BB937_215 Depth=1
	s_or_b64 exec, exec, s[16:17]
.LBB937_514:                            ;   in Loop: Header=BB937_215 Depth=1
	s_or_b64 exec, exec, s[14:15]
.LBB937_515:                            ;   in Loop: Header=BB937_215 Depth=1
	s_or_b64 exec, exec, s[12:13]
	v_lshrrev_b32_e32 v46, 16, v44
	v_cmp_ne_u16_sdwa s[14:15], v46, v54 src0_sel:BYTE_0 src1_sel:DWORD
	s_and_saveexec_b64 s[12:13], s[14:15]
	s_cbranch_execz .LBB937_521
; %bb.516:                              ;   in Loop: Header=BB937_215 Depth=1
	v_cmp_ne_u16_sdwa s[16:17], v46, s9 src0_sel:BYTE_0 src1_sel:DWORD
	v_mov_b32_e32 v56, 0xffff8000
	s_and_saveexec_b64 s[14:15], s[16:17]
	s_cbranch_execz .LBB937_520
; %bb.517:                              ;   in Loop: Header=BB937_215 Depth=1
	v_bfe_u32 v57, v44, 16, 7
	v_cmp_ne_u32_e32 vcc, s21, v57
	v_mov_b32_e32 v56, 0x7f80
	s_and_saveexec_b64 s[16:17], vcc
	s_cbranch_execz .LBB937_519
; %bb.518:                              ;   in Loop: Header=BB937_215 Depth=1
	v_and_b32_e32 v56, 7, v46
	v_ffbh_u32_e32 v58, v56
	v_min_u32_e32 v61, 32, v58
	v_subrev_u32_e32 v58, 28, v61
	v_lshlrev_b64 v[58:59], v58, v[46:47]
	v_lshrrev_b32_e32 v60, 3, v57
	v_sub_u32_e32 v59, 29, v61
	v_and_b32_e32 v58, 7, v58
	v_cmp_gt_u32_e32 vcc, 8, v57
	v_cndmask_b32_e32 v57, v60, v59, vcc
	v_cndmask_b32_e32 v56, v56, v58, vcc
	v_lshlrev_b32_e32 v46, 24, v46
	v_lshlrev_b32_e32 v56, 20, v56
	v_and_b32_e32 v46, 0x80000000, v46
	v_lshl_add_u32 v57, v57, 23, v55
	v_or3_b32 v46, v46, v57, v56
	v_lshrrev_b32_e32 v56, 16, v46
.LBB937_519:                            ;   in Loop: Header=BB937_215 Depth=1
	s_or_b64 exec, exec, s[16:17]
.LBB937_520:                            ;   in Loop: Header=BB937_215 Depth=1
	s_or_b64 exec, exec, s[14:15]
.LBB937_521:                            ;   in Loop: Header=BB937_215 Depth=1
	s_or_b64 exec, exec, s[12:13]
	v_cmp_lt_u32_e32 vcc, s22, v44
	v_mov_b32_e32 v57, 0
	v_mov_b32_e32 v58, 0
	s_and_saveexec_b64 s[12:13], vcc
	s_cbranch_execz .LBB937_527
; %bb.522:                              ;   in Loop: Header=BB937_215 Depth=1
	v_lshrrev_b32_e32 v46, 24, v44
	v_cmp_ne_u32_e32 vcc, s9, v46
	v_mov_b32_e32 v58, 0xffff8000
	s_and_saveexec_b64 s[14:15], vcc
	s_cbranch_execz .LBB937_526
; %bb.523:                              ;   in Loop: Header=BB937_215 Depth=1
	v_bfe_u32 v44, v44, 24, 7
	v_cmp_ne_u32_e32 vcc, s21, v44
	v_mov_b32_e32 v58, 0x7f80
	s_and_saveexec_b64 s[16:17], vcc
	s_cbranch_execz .LBB937_525
; %bb.524:                              ;   in Loop: Header=BB937_215 Depth=1
	v_and_b32_e32 v60, 7, v46
	v_ffbh_u32_e32 v58, v60
	v_min_u32_e32 v62, 32, v58
	v_subrev_u32_e32 v58, 28, v62
	v_lshlrev_b64 v[58:59], v58, v[46:47]
	v_lshrrev_b32_e32 v61, 3, v44
	v_sub_u32_e32 v59, 29, v62
	v_and_b32_e32 v58, 7, v58
	v_cmp_gt_u32_e32 vcc, 8, v44
	v_cndmask_b32_e32 v44, v61, v59, vcc
	v_cndmask_b32_e32 v58, v60, v58, vcc
	v_lshlrev_b32_e32 v46, 24, v46
	v_lshlrev_b32_e32 v58, 20, v58
	v_and_b32_e32 v46, 0x80000000, v46
	v_lshl_add_u32 v44, v44, 23, v55
	v_or3_b32 v44, v46, v44, v58
	v_lshrrev_b32_e32 v58, 16, v44
.LBB937_525:                            ;   in Loop: Header=BB937_215 Depth=1
	s_or_b64 exec, exec, s[16:17]
.LBB937_526:                            ;   in Loop: Header=BB937_215 Depth=1
	s_or_b64 exec, exec, s[14:15]
.LBB937_527:                            ;   in Loop: Header=BB937_215 Depth=1
	s_or_b64 exec, exec, s[12:13]
	s_waitcnt vmcnt(2)
	v_cmp_ne_u16_sdwa s[14:15], v42, v54 src0_sel:BYTE_0 src1_sel:DWORD
	s_and_saveexec_b64 s[12:13], s[14:15]
	s_cbranch_execz .LBB937_533
; %bb.528:                              ;   in Loop: Header=BB937_215 Depth=1
	v_cmp_ne_u16_sdwa s[16:17], v42, s9 src0_sel:BYTE_0 src1_sel:DWORD
	v_mov_b32_e32 v57, 0xffff8000
	s_and_saveexec_b64 s[14:15], s[16:17]
	s_cbranch_execz .LBB937_532
; %bb.529:                              ;   in Loop: Header=BB937_215 Depth=1
	v_and_b32_e32 v44, 0x7f, v42
	v_cmp_ne_u32_e32 vcc, s21, v44
	v_mov_b32_e32 v57, 0x7f80
	s_and_saveexec_b64 s[16:17], vcc
	s_cbranch_execz .LBB937_531
; %bb.530:                              ;   in Loop: Header=BB937_215 Depth=1
	v_and_b32_e32 v46, 7, v42
	v_ffbh_u32_e32 v59, v46
	v_min_u32_e32 v59, 32, v59
	v_subrev_u32_e32 v60, 28, v59
	v_lshlrev_b64 v[60:61], v60, v[42:43]
	v_lshrrev_b32_e32 v57, 3, v44
	v_sub_u32_e32 v59, 29, v59
	v_and_b32_e32 v60, 7, v60
	v_cmp_gt_u32_e32 vcc, 8, v44
	v_cndmask_b32_e32 v44, v57, v59, vcc
	v_cndmask_b32_e32 v46, v46, v60, vcc
	v_lshlrev_b32_e32 v57, 24, v42
	v_lshlrev_b32_e32 v46, 20, v46
	v_and_b32_e32 v57, 0x80000000, v57
	v_lshl_add_u32 v44, v44, 23, v55
	v_or3_b32 v44, v57, v44, v46
	v_lshrrev_b32_e32 v57, 16, v44
.LBB937_531:                            ;   in Loop: Header=BB937_215 Depth=1
	s_or_b64 exec, exec, s[16:17]
.LBB937_532:                            ;   in Loop: Header=BB937_215 Depth=1
	s_or_b64 exec, exec, s[14:15]
.LBB937_533:                            ;   in Loop: Header=BB937_215 Depth=1
	s_or_b64 exec, exec, s[12:13]
	v_lshrrev_b16_e32 v44, 8, v42
	v_cmp_ne_u16_e32 vcc, 0, v44
	v_mov_b32_e32 v60, 0
	v_mov_b32_e32 v59, 0
	s_and_saveexec_b64 s[12:13], vcc
	s_cbranch_execz .LBB937_539
; %bb.534:                              ;   in Loop: Header=BB937_215 Depth=1
	v_cmp_ne_u16_e32 vcc, s9, v44
	v_mov_b32_e32 v59, 0xffff8000
	s_and_saveexec_b64 s[14:15], vcc
	s_cbranch_execz .LBB937_538
; %bb.535:                              ;   in Loop: Header=BB937_215 Depth=1
	v_and_b32_e32 v46, 0x7f, v44
	v_cmp_ne_u32_e32 vcc, s21, v46
	v_mov_b32_e32 v59, 0x7f80
	s_and_saveexec_b64 s[16:17], vcc
	s_cbranch_execz .LBB937_537
; %bb.536:                              ;   in Loop: Header=BB937_215 Depth=1
	v_and_b32_e32 v59, 7, v44
	v_ffbh_u32_e32 v62, v59
	v_min_u32_e32 v64, 32, v62
	v_subrev_u32_e32 v62, 28, v64
	v_lshlrev_b64 v[62:63], v62, v[44:45]
	v_lshrrev_b32_e32 v61, 3, v46
	v_sub_u32_e32 v44, 29, v64
	v_and_b32_e32 v62, 7, v62
	v_cmp_gt_u32_e32 vcc, 8, v46
	v_cndmask_b32_e32 v44, v61, v44, vcc
	v_cndmask_b32_e32 v46, v59, v62, vcc
	v_lshlrev_b32_e32 v59, 16, v42
	v_lshlrev_b32_e32 v46, 20, v46
	v_and_b32_e32 v59, 0x80000000, v59
	v_lshl_add_u32 v44, v44, 23, v55
	v_or3_b32 v44, v59, v44, v46
	v_lshrrev_b32_e32 v59, 16, v44
.LBB937_537:                            ;   in Loop: Header=BB937_215 Depth=1
	s_or_b64 exec, exec, s[16:17]
.LBB937_538:                            ;   in Loop: Header=BB937_215 Depth=1
	s_or_b64 exec, exec, s[14:15]
.LBB937_539:                            ;   in Loop: Header=BB937_215 Depth=1
	s_or_b64 exec, exec, s[12:13]
	v_lshrrev_b32_e32 v44, 16, v42
	v_cmp_ne_u16_sdwa s[14:15], v44, v54 src0_sel:BYTE_0 src1_sel:DWORD
	s_and_saveexec_b64 s[12:13], s[14:15]
	s_cbranch_execz .LBB937_545
; %bb.540:                              ;   in Loop: Header=BB937_215 Depth=1
	v_cmp_ne_u16_sdwa s[16:17], v44, s9 src0_sel:BYTE_0 src1_sel:DWORD
	v_mov_b32_e32 v60, 0xffff8000
	s_and_saveexec_b64 s[14:15], s[16:17]
	s_cbranch_execz .LBB937_544
; %bb.541:                              ;   in Loop: Header=BB937_215 Depth=1
	v_bfe_u32 v46, v42, 16, 7
	v_cmp_ne_u32_e32 vcc, s21, v46
	v_mov_b32_e32 v60, 0x7f80
	s_and_saveexec_b64 s[16:17], vcc
	s_cbranch_execz .LBB937_543
; %bb.542:                              ;   in Loop: Header=BB937_215 Depth=1
	v_and_b32_e32 v62, 7, v44
	v_ffbh_u32_e32 v60, v62
	v_min_u32_e32 v64, 32, v60
	v_subrev_u32_e32 v60, 28, v64
	v_lshlrev_b64 v[60:61], v60, v[44:45]
	v_lshrrev_b32_e32 v63, 3, v46
	v_sub_u32_e32 v61, 29, v64
	v_and_b32_e32 v60, 7, v60
	v_cmp_gt_u32_e32 vcc, 8, v46
	v_cndmask_b32_e32 v46, v63, v61, vcc
	v_cndmask_b32_e32 v60, v62, v60, vcc
	v_lshlrev_b32_e32 v44, 24, v44
	v_lshlrev_b32_e32 v60, 20, v60
	v_and_b32_e32 v44, 0x80000000, v44
	v_lshl_add_u32 v46, v46, 23, v55
	v_or3_b32 v44, v44, v46, v60
	v_lshrrev_b32_e32 v60, 16, v44
.LBB937_543:                            ;   in Loop: Header=BB937_215 Depth=1
	s_or_b64 exec, exec, s[16:17]
.LBB937_544:                            ;   in Loop: Header=BB937_215 Depth=1
	s_or_b64 exec, exec, s[14:15]
.LBB937_545:                            ;   in Loop: Header=BB937_215 Depth=1
	s_or_b64 exec, exec, s[12:13]
	v_cmp_lt_u32_e32 vcc, s22, v42
	v_mov_b32_e32 v46, 0
	v_mov_b32_e32 v61, 0
	s_and_saveexec_b64 s[12:13], vcc
	s_cbranch_execz .LBB937_551
; %bb.546:                              ;   in Loop: Header=BB937_215 Depth=1
	v_lshrrev_b32_e32 v44, 24, v42
	v_cmp_ne_u32_e32 vcc, s9, v44
	v_mov_b32_e32 v61, 0xffff8000
	s_and_saveexec_b64 s[14:15], vcc
	s_cbranch_execz .LBB937_550
; %bb.547:                              ;   in Loop: Header=BB937_215 Depth=1
	v_bfe_u32 v42, v42, 24, 7
	v_cmp_ne_u32_e32 vcc, s21, v42
	v_mov_b32_e32 v61, 0x7f80
	s_and_saveexec_b64 s[16:17], vcc
	s_cbranch_execz .LBB937_549
; %bb.548:                              ;   in Loop: Header=BB937_215 Depth=1
	v_and_b32_e32 v61, 7, v44
	v_ffbh_u32_e32 v62, v61
	v_min_u32_e32 v65, 32, v62
	v_subrev_u32_e32 v62, 28, v65
	v_lshlrev_b64 v[62:63], v62, v[44:45]
	v_lshrrev_b32_e32 v64, 3, v42
	v_sub_u32_e32 v63, 29, v65
	v_and_b32_e32 v62, 7, v62
	v_cmp_gt_u32_e32 vcc, 8, v42
	v_cndmask_b32_e32 v42, v64, v63, vcc
	v_cndmask_b32_e32 v61, v61, v62, vcc
	v_lshlrev_b32_e32 v44, 24, v44
	v_lshlrev_b32_e32 v61, 20, v61
	v_and_b32_e32 v44, 0x80000000, v44
	v_lshl_add_u32 v42, v42, 23, v55
	v_or3_b32 v42, v44, v42, v61
	v_lshrrev_b32_e32 v61, 16, v42
.LBB937_549:                            ;   in Loop: Header=BB937_215 Depth=1
	s_or_b64 exec, exec, s[16:17]
.LBB937_550:                            ;   in Loop: Header=BB937_215 Depth=1
	s_or_b64 exec, exec, s[14:15]
.LBB937_551:                            ;   in Loop: Header=BB937_215 Depth=1
	s_or_b64 exec, exec, s[12:13]
	v_perm_b32 v63, v58, v56, s23
	v_perm_b32 v62, v50, v51, s23
	;; [unrolled: 1-line block ×4, first 2 shown]
	s_waitcnt vmcnt(1)
	v_cmp_ne_u16_sdwa s[14:15], v40, v54 src0_sel:BYTE_0 src1_sel:DWORD
	v_mfma_f32_16x16x16bf16_1k v[34:37], v[62:63], v[26:27], v[34:37]
	v_mfma_f32_16x16x16bf16_1k v[34:37], v[50:51], v[28:29], v[34:37]
	s_and_saveexec_b64 s[12:13], s[14:15]
	s_cbranch_execz .LBB937_557
; %bb.552:                              ;   in Loop: Header=BB937_215 Depth=1
	v_cmp_ne_u16_sdwa s[16:17], v40, s9 src0_sel:BYTE_0 src1_sel:DWORD
	v_mov_b32_e32 v46, 0xffff8000
	s_and_saveexec_b64 s[14:15], s[16:17]
	s_cbranch_execz .LBB937_556
; %bb.553:                              ;   in Loop: Header=BB937_215 Depth=1
	v_and_b32_e32 v42, 0x7f, v40
	v_cmp_ne_u32_e32 vcc, s21, v42
	v_mov_b32_e32 v46, 0x7f80
	s_and_saveexec_b64 s[16:17], vcc
	s_cbranch_execz .LBB937_555
; %bb.554:                              ;   in Loop: Header=BB937_215 Depth=1
	v_and_b32_e32 v44, 7, v40
	v_ffbh_u32_e32 v50, v44
	v_min_u32_e32 v56, 32, v50
	v_subrev_u32_e32 v50, 28, v56
	v_lshlrev_b64 v[50:51], v50, v[40:41]
	v_lshrrev_b32_e32 v46, 3, v42
	v_sub_u32_e32 v51, 29, v56
	v_and_b32_e32 v50, 7, v50
	v_cmp_gt_u32_e32 vcc, 8, v42
	v_cndmask_b32_e32 v42, v46, v51, vcc
	v_cndmask_b32_e32 v44, v44, v50, vcc
	v_lshlrev_b32_e32 v46, 24, v40
	v_lshlrev_b32_e32 v44, 20, v44
	v_and_b32_e32 v46, 0x80000000, v46
	v_lshl_add_u32 v42, v42, 23, v55
	v_or3_b32 v42, v46, v42, v44
	v_lshrrev_b32_e32 v46, 16, v42
.LBB937_555:                            ;   in Loop: Header=BB937_215 Depth=1
	s_or_b64 exec, exec, s[16:17]
.LBB937_556:                            ;   in Loop: Header=BB937_215 Depth=1
	s_or_b64 exec, exec, s[14:15]
.LBB937_557:                            ;   in Loop: Header=BB937_215 Depth=1
	s_or_b64 exec, exec, s[12:13]
	v_lshrrev_b16_e32 v42, 8, v40
	v_cmp_ne_u16_e32 vcc, 0, v42
	v_mov_b32_e32 v50, 0
	v_mov_b32_e32 v44, 0
	s_and_saveexec_b64 s[12:13], vcc
	s_cbranch_execz .LBB937_563
; %bb.558:                              ;   in Loop: Header=BB937_215 Depth=1
	v_cmp_ne_u16_e32 vcc, s9, v42
	v_mov_b32_e32 v44, 0xffff8000
	s_and_saveexec_b64 s[14:15], vcc
	s_cbranch_execz .LBB937_562
; %bb.559:                              ;   in Loop: Header=BB937_215 Depth=1
	v_and_b32_e32 v51, 0x7f, v42
	v_cmp_ne_u32_e32 vcc, s21, v51
	v_mov_b32_e32 v44, 0x7f80
	s_and_saveexec_b64 s[16:17], vcc
	s_cbranch_execz .LBB937_561
; %bb.560:                              ;   in Loop: Header=BB937_215 Depth=1
	v_and_b32_e32 v44, 7, v42
	v_ffbh_u32_e32 v56, v44
	v_min_u32_e32 v59, 32, v56
	v_subrev_u32_e32 v56, 28, v59
	v_lshlrev_b64 v[56:57], v56, v[42:43]
	v_lshrrev_b32_e32 v58, 3, v51
	v_sub_u32_e32 v42, 29, v59
	v_and_b32_e32 v56, 7, v56
	v_cmp_gt_u32_e32 vcc, 8, v51
	v_cndmask_b32_e32 v42, v58, v42, vcc
	v_cndmask_b32_e32 v44, v44, v56, vcc
	v_lshlrev_b32_e32 v51, 16, v40
	v_lshlrev_b32_e32 v44, 20, v44
	v_and_b32_e32 v51, 0x80000000, v51
	v_lshl_add_u32 v42, v42, 23, v55
	v_or3_b32 v42, v51, v42, v44
	v_lshrrev_b32_e32 v44, 16, v42
.LBB937_561:                            ;   in Loop: Header=BB937_215 Depth=1
	s_or_b64 exec, exec, s[16:17]
.LBB937_562:                            ;   in Loop: Header=BB937_215 Depth=1
	s_or_b64 exec, exec, s[14:15]
.LBB937_563:                            ;   in Loop: Header=BB937_215 Depth=1
	s_or_b64 exec, exec, s[12:13]
	v_lshrrev_b32_e32 v42, 16, v40
	v_cmp_ne_u16_sdwa s[14:15], v42, v54 src0_sel:BYTE_0 src1_sel:DWORD
	s_and_saveexec_b64 s[12:13], s[14:15]
	s_cbranch_execz .LBB937_569
; %bb.564:                              ;   in Loop: Header=BB937_215 Depth=1
	v_cmp_ne_u16_sdwa s[16:17], v42, s9 src0_sel:BYTE_0 src1_sel:DWORD
	v_mov_b32_e32 v50, 0xffff8000
	s_and_saveexec_b64 s[14:15], s[16:17]
	s_cbranch_execz .LBB937_568
; %bb.565:                              ;   in Loop: Header=BB937_215 Depth=1
	v_bfe_u32 v51, v40, 16, 7
	v_cmp_ne_u32_e32 vcc, s21, v51
	v_mov_b32_e32 v50, 0x7f80
	s_and_saveexec_b64 s[16:17], vcc
	s_cbranch_execz .LBB937_567
; %bb.566:                              ;   in Loop: Header=BB937_215 Depth=1
	v_and_b32_e32 v50, 7, v42
	v_ffbh_u32_e32 v56, v50
	v_min_u32_e32 v59, 32, v56
	v_subrev_u32_e32 v56, 28, v59
	v_lshlrev_b64 v[56:57], v56, v[42:43]
	v_lshrrev_b32_e32 v58, 3, v51
	v_sub_u32_e32 v57, 29, v59
	v_and_b32_e32 v56, 7, v56
	v_cmp_gt_u32_e32 vcc, 8, v51
	v_cndmask_b32_e32 v51, v58, v57, vcc
	v_cndmask_b32_e32 v50, v50, v56, vcc
	v_lshlrev_b32_e32 v42, 24, v42
	v_lshlrev_b32_e32 v50, 20, v50
	v_and_b32_e32 v42, 0x80000000, v42
	v_lshl_add_u32 v51, v51, 23, v55
	v_or3_b32 v42, v42, v51, v50
	v_lshrrev_b32_e32 v50, 16, v42
.LBB937_567:                            ;   in Loop: Header=BB937_215 Depth=1
	s_or_b64 exec, exec, s[16:17]
.LBB937_568:                            ;   in Loop: Header=BB937_215 Depth=1
	s_or_b64 exec, exec, s[14:15]
.LBB937_569:                            ;   in Loop: Header=BB937_215 Depth=1
	s_or_b64 exec, exec, s[12:13]
	v_cmp_lt_u32_e32 vcc, s22, v40
	v_mov_b32_e32 v51, 0
	v_mov_b32_e32 v56, 0
	s_and_saveexec_b64 s[12:13], vcc
	s_cbranch_execz .LBB937_575
; %bb.570:                              ;   in Loop: Header=BB937_215 Depth=1
	v_lshrrev_b32_e32 v42, 24, v40
	v_cmp_ne_u32_e32 vcc, s9, v42
	v_mov_b32_e32 v56, 0xffff8000
	s_and_saveexec_b64 s[14:15], vcc
	s_cbranch_execz .LBB937_574
; %bb.571:                              ;   in Loop: Header=BB937_215 Depth=1
	v_bfe_u32 v40, v40, 24, 7
	v_cmp_ne_u32_e32 vcc, s21, v40
	v_mov_b32_e32 v56, 0x7f80
	s_and_saveexec_b64 s[16:17], vcc
	s_cbranch_execz .LBB937_573
; %bb.572:                              ;   in Loop: Header=BB937_215 Depth=1
	v_and_b32_e32 v58, 7, v42
	v_ffbh_u32_e32 v56, v58
	v_min_u32_e32 v60, 32, v56
	v_subrev_u32_e32 v56, 28, v60
	v_lshlrev_b64 v[56:57], v56, v[42:43]
	v_lshrrev_b32_e32 v59, 3, v40
	v_sub_u32_e32 v57, 29, v60
	v_and_b32_e32 v56, 7, v56
	v_cmp_gt_u32_e32 vcc, 8, v40
	v_cndmask_b32_e32 v40, v59, v57, vcc
	v_cndmask_b32_e32 v56, v58, v56, vcc
	v_lshlrev_b32_e32 v42, 24, v42
	v_lshlrev_b32_e32 v56, 20, v56
	v_and_b32_e32 v42, 0x80000000, v42
	v_lshl_add_u32 v40, v40, 23, v55
	v_or3_b32 v40, v42, v40, v56
	v_lshrrev_b32_e32 v56, 16, v40
.LBB937_573:                            ;   in Loop: Header=BB937_215 Depth=1
	s_or_b64 exec, exec, s[16:17]
.LBB937_574:                            ;   in Loop: Header=BB937_215 Depth=1
	s_or_b64 exec, exec, s[14:15]
.LBB937_575:                            ;   in Loop: Header=BB937_215 Depth=1
	s_or_b64 exec, exec, s[12:13]
	s_waitcnt vmcnt(0)
	v_cmp_ne_u16_sdwa s[14:15], v38, v54 src0_sel:BYTE_0 src1_sel:DWORD
	s_and_saveexec_b64 s[12:13], s[14:15]
	s_cbranch_execz .LBB937_581
; %bb.576:                              ;   in Loop: Header=BB937_215 Depth=1
	v_cmp_ne_u16_sdwa s[16:17], v38, s9 src0_sel:BYTE_0 src1_sel:DWORD
	v_mov_b32_e32 v51, 0xffff8000
	s_and_saveexec_b64 s[14:15], s[16:17]
	s_cbranch_execz .LBB937_580
; %bb.577:                              ;   in Loop: Header=BB937_215 Depth=1
	v_and_b32_e32 v40, 0x7f, v38
	v_cmp_ne_u32_e32 vcc, s21, v40
	v_mov_b32_e32 v51, 0x7f80
	s_and_saveexec_b64 s[16:17], vcc
	s_cbranch_execz .LBB937_579
; %bb.578:                              ;   in Loop: Header=BB937_215 Depth=1
	v_and_b32_e32 v42, 7, v38
	v_ffbh_u32_e32 v57, v42
	v_min_u32_e32 v57, 32, v57
	v_subrev_u32_e32 v58, 28, v57
	v_lshlrev_b64 v[58:59], v58, v[38:39]
	v_lshrrev_b32_e32 v51, 3, v40
	v_sub_u32_e32 v57, 29, v57
	v_and_b32_e32 v58, 7, v58
	v_cmp_gt_u32_e32 vcc, 8, v40
	v_cndmask_b32_e32 v40, v51, v57, vcc
	v_cndmask_b32_e32 v42, v42, v58, vcc
	v_lshlrev_b32_e32 v51, 24, v38
	v_lshlrev_b32_e32 v42, 20, v42
	v_and_b32_e32 v51, 0x80000000, v51
	v_lshl_add_u32 v40, v40, 23, v55
	v_or3_b32 v40, v51, v40, v42
	v_lshrrev_b32_e32 v51, 16, v40
.LBB937_579:                            ;   in Loop: Header=BB937_215 Depth=1
	s_or_b64 exec, exec, s[16:17]
.LBB937_580:                            ;   in Loop: Header=BB937_215 Depth=1
	s_or_b64 exec, exec, s[14:15]
.LBB937_581:                            ;   in Loop: Header=BB937_215 Depth=1
	s_or_b64 exec, exec, s[12:13]
	v_lshrrev_b16_e32 v40, 8, v38
	v_cmp_ne_u16_e32 vcc, 0, v40
	v_mov_b32_e32 v57, 0
	v_mov_b32_e32 v42, 0
	s_and_saveexec_b64 s[12:13], vcc
	s_cbranch_execz .LBB937_587
; %bb.582:                              ;   in Loop: Header=BB937_215 Depth=1
	v_cmp_ne_u16_e32 vcc, s9, v40
	v_mov_b32_e32 v42, 0xffff8000
	s_and_saveexec_b64 s[14:15], vcc
	s_cbranch_execz .LBB937_586
; %bb.583:                              ;   in Loop: Header=BB937_215 Depth=1
	v_and_b32_e32 v58, 0x7f, v40
	v_cmp_ne_u32_e32 vcc, s21, v58
	v_mov_b32_e32 v42, 0x7f80
	s_and_saveexec_b64 s[16:17], vcc
	s_cbranch_execz .LBB937_585
; %bb.584:                              ;   in Loop: Header=BB937_215 Depth=1
	v_and_b32_e32 v42, 7, v40
	v_ffbh_u32_e32 v60, v42
	v_min_u32_e32 v62, 32, v60
	v_subrev_u32_e32 v60, 28, v62
	v_lshlrev_b64 v[60:61], v60, v[40:41]
	v_lshrrev_b32_e32 v59, 3, v58
	v_sub_u32_e32 v40, 29, v62
	v_and_b32_e32 v60, 7, v60
	v_cmp_gt_u32_e32 vcc, 8, v58
	v_cndmask_b32_e32 v40, v59, v40, vcc
	v_cndmask_b32_e32 v42, v42, v60, vcc
	v_lshlrev_b32_e32 v58, 16, v38
	v_lshlrev_b32_e32 v42, 20, v42
	v_and_b32_e32 v58, 0x80000000, v58
	v_lshl_add_u32 v40, v40, 23, v55
	v_or3_b32 v40, v58, v40, v42
	v_lshrrev_b32_e32 v42, 16, v40
.LBB937_585:                            ;   in Loop: Header=BB937_215 Depth=1
	s_or_b64 exec, exec, s[16:17]
.LBB937_586:                            ;   in Loop: Header=BB937_215 Depth=1
	s_or_b64 exec, exec, s[14:15]
.LBB937_587:                            ;   in Loop: Header=BB937_215 Depth=1
	s_or_b64 exec, exec, s[12:13]
	v_lshrrev_b32_e32 v40, 16, v38
	v_cmp_ne_u16_sdwa s[14:15], v40, v54 src0_sel:BYTE_0 src1_sel:DWORD
	s_and_saveexec_b64 s[12:13], s[14:15]
	s_cbranch_execz .LBB937_593
; %bb.588:                              ;   in Loop: Header=BB937_215 Depth=1
	v_cmp_ne_u16_sdwa s[16:17], v40, s9 src0_sel:BYTE_0 src1_sel:DWORD
	v_mov_b32_e32 v57, 0xffff8000
	s_and_saveexec_b64 s[14:15], s[16:17]
	s_cbranch_execz .LBB937_592
; %bb.589:                              ;   in Loop: Header=BB937_215 Depth=1
	v_bfe_u32 v58, v38, 16, 7
	v_cmp_ne_u32_e32 vcc, s21, v58
	v_mov_b32_e32 v57, 0x7f80
	s_and_saveexec_b64 s[16:17], vcc
	s_cbranch_execz .LBB937_591
; %bb.590:                              ;   in Loop: Header=BB937_215 Depth=1
	v_and_b32_e32 v57, 7, v40
	v_ffbh_u32_e32 v60, v57
	v_min_u32_e32 v62, 32, v60
	v_subrev_u32_e32 v60, 28, v62
	v_lshlrev_b64 v[60:61], v60, v[40:41]
	v_lshrrev_b32_e32 v59, 3, v58
	v_sub_u32_e32 v61, 29, v62
	v_and_b32_e32 v60, 7, v60
	v_cmp_gt_u32_e32 vcc, 8, v58
	v_cndmask_b32_e32 v58, v59, v61, vcc
	v_cndmask_b32_e32 v57, v57, v60, vcc
	v_lshlrev_b32_e32 v40, 24, v40
	v_lshlrev_b32_e32 v57, 20, v57
	v_and_b32_e32 v40, 0x80000000, v40
	v_lshl_add_u32 v58, v58, 23, v55
	v_or3_b32 v40, v40, v58, v57
	v_lshrrev_b32_e32 v57, 16, v40
.LBB937_591:                            ;   in Loop: Header=BB937_215 Depth=1
	s_or_b64 exec, exec, s[16:17]
.LBB937_592:                            ;   in Loop: Header=BB937_215 Depth=1
	s_or_b64 exec, exec, s[14:15]
.LBB937_593:                            ;   in Loop: Header=BB937_215 Depth=1
	s_or_b64 exec, exec, s[12:13]
	v_cmp_lt_u32_e32 vcc, s22, v38
	v_mov_b32_e32 v58, 0
	s_and_saveexec_b64 s[12:13], vcc
	s_cbranch_execz .LBB937_214
; %bb.594:                              ;   in Loop: Header=BB937_215 Depth=1
	v_lshrrev_b32_e32 v40, 24, v38
	v_cmp_ne_u32_e32 vcc, s9, v40
	v_mov_b32_e32 v58, 0xffff8000
	s_and_saveexec_b64 s[14:15], vcc
	s_cbranch_execz .LBB937_213
; %bb.595:                              ;   in Loop: Header=BB937_215 Depth=1
	v_bfe_u32 v38, v38, 24, 7
	v_cmp_ne_u32_e32 vcc, s21, v38
	v_mov_b32_e32 v58, 0x7f80
	s_and_saveexec_b64 s[16:17], vcc
	s_cbranch_execz .LBB937_212
; %bb.596:                              ;   in Loop: Header=BB937_215 Depth=1
	v_and_b32_e32 v60, 7, v40
	v_ffbh_u32_e32 v58, v60
	v_min_u32_e32 v62, 32, v58
	v_subrev_u32_e32 v58, 28, v62
	v_lshlrev_b64 v[58:59], v58, v[40:41]
	v_lshrrev_b32_e32 v61, 3, v38
	v_sub_u32_e32 v59, 29, v62
	v_and_b32_e32 v58, 7, v58
	v_cmp_gt_u32_e32 vcc, 8, v38
	v_cndmask_b32_e32 v38, v61, v59, vcc
	v_cndmask_b32_e32 v58, v60, v58, vcc
	v_lshlrev_b32_e32 v40, 24, v40
	v_lshlrev_b32_e32 v58, 20, v58
	v_and_b32_e32 v40, 0x80000000, v40
	v_lshl_add_u32 v38, v38, 23, v55
	v_or3_b32 v38, v40, v38, v58
	v_lshrrev_b32_e32 v58, 16, v38
	s_branch .LBB937_212
.LBB937_597:
	s_barrier
	buffer_load_dword v2, off, s[0:3], 0 offset:320
	buffer_load_dword v5, off, s[0:3], 0 offset:332
	;; [unrolled: 1-line block ×4, first 2 shown]
	v_cmp_gt_u32_e32 vcc, 64, v0
	s_waitcnt vmcnt(0)
	ds_write2st64_b64 v52, v[2:3], v[4:5] offset1:1
	s_waitcnt lgkmcnt(0)
	s_barrier
	s_and_saveexec_b64 s[4:5], vcc
	s_cbranch_execz .LBB937_599
; %bb.598:
	s_lshl_b32 s6, s48, 7
	s_mul_i32 s4, s18, s8
	s_mul_hi_u32 s5, s4, s6
	s_mul_i32 s4, s4, s6
	s_lshl_b64 s[4:5], s[4:5], 1
	s_add_u32 s7, s50, s4
	v_lshlrev_b32_e32 v4, 6, v41
	s_addc_u32 s8, s51, s5
	s_lshl_b32 s4, s26, 7
	s_mov_b32 s5, 0
	v_lshl_or_b32 v0, v0, 10, v4
	s_lshl_b64 s[4:5], s[4:5], 1
	v_lshlrev_b32_e32 v2, 5, v1
	v_and_b32_e32 v3, 16, v43
	v_and_b32_e32 v0, 0x1a00, v0
	s_add_u32 s4, s7, s4
	v_or3_b32 v0, v0, v2, v3
	s_addc_u32 s5, s8, s5
	ds_read_b128 v[2:5], v0
	ds_read_b128 v[6:9], v0 offset:128
	ds_read_b128 v[10:13], v0 offset:256
	v_or_b32_e32 v14, s27, v1
	v_mov_b32_e32 v0, s5
	v_add_co_u32_e32 v15, vcc, s4, v39
	v_addc_co_u32_e32 v16, vcc, 0, v0, vcc
	v_mad_u64_u32 v[0:1], s[4:5], v14, s6, 0
	v_lshlrev_b64 v[0:1], 1, v[0:1]
	v_add_co_u32_e32 v0, vcc, v15, v0
	v_addc_co_u32_e32 v1, vcc, v16, v1, vcc
	s_waitcnt lgkmcnt(2)
	global_store_dwordx4 v[0:1], v[2:5], off
	v_add_u32_e32 v0, 4, v14
	v_mad_u64_u32 v[0:1], s[4:5], v0, s6, 0
	v_lshlrev_b64 v[0:1], 1, v[0:1]
	v_add_co_u32_e32 v0, vcc, v15, v0
	v_addc_co_u32_e32 v1, vcc, v16, v1, vcc
	s_waitcnt lgkmcnt(1)
	global_store_dwordx4 v[0:1], v[6:9], off
	v_add_u32_e32 v0, 8, v14
	v_mad_u64_u32 v[0:1], s[4:5], v0, s6, 0
	v_lshlrev_b64 v[0:1], 1, v[0:1]
	v_add_co_u32_e32 v0, vcc, v15, v0
	v_addc_co_u32_e32 v1, vcc, v16, v1, vcc
	s_waitcnt lgkmcnt(0)
	global_store_dwordx4 v[0:1], v[10:13], off
.LBB937_599:
	s_endpgm
	.section	.rodata,"a",@progbits
	.p2align	6, 0x0
	.amdhsa_kernel _Z39paged_attention_ll4mi_QKV_mfma16_kernelI14__hip_bfloat16hLN4vllm18Fp8KVCacheDataTypeE1ES0_Li32ELi128ELi256ELb1ELi12EL8MFMAType0EEvPKT_PKT0_S9_ifPKiSB_SB_iPKfiiiPfSE_PS4_PT2_iSD_SD_
		.amdhsa_group_segment_fixed_size 8192
		.amdhsa_private_segment_fixed_size 352
		.amdhsa_kernarg_size 400
		.amdhsa_user_sgpr_count 8
		.amdhsa_user_sgpr_private_segment_buffer 1
		.amdhsa_user_sgpr_dispatch_ptr 0
		.amdhsa_user_sgpr_queue_ptr 0
		.amdhsa_user_sgpr_kernarg_segment_ptr 1
		.amdhsa_user_sgpr_dispatch_id 0
		.amdhsa_user_sgpr_flat_scratch_init 1
		.amdhsa_user_sgpr_kernarg_preload_length 0
		.amdhsa_user_sgpr_kernarg_preload_offset 0
		.amdhsa_user_sgpr_private_segment_size 0
		.amdhsa_uses_dynamic_stack 0
		.amdhsa_system_sgpr_private_segment_wavefront_offset 1
		.amdhsa_system_sgpr_workgroup_id_x 1
		.amdhsa_system_sgpr_workgroup_id_y 1
		.amdhsa_system_sgpr_workgroup_id_z 1
		.amdhsa_system_sgpr_workgroup_info 0
		.amdhsa_system_vgpr_workitem_id 0
		.amdhsa_next_free_vgpr 80
		.amdhsa_next_free_sgpr 53
		.amdhsa_accum_offset 80
		.amdhsa_reserve_vcc 1
		.amdhsa_reserve_flat_scratch 0
		.amdhsa_float_round_mode_32 0
		.amdhsa_float_round_mode_16_64 0
		.amdhsa_float_denorm_mode_32 3
		.amdhsa_float_denorm_mode_16_64 3
		.amdhsa_dx10_clamp 1
		.amdhsa_ieee_mode 1
		.amdhsa_fp16_overflow 0
		.amdhsa_tg_split 0
		.amdhsa_exception_fp_ieee_invalid_op 0
		.amdhsa_exception_fp_denorm_src 0
		.amdhsa_exception_fp_ieee_div_zero 0
		.amdhsa_exception_fp_ieee_overflow 0
		.amdhsa_exception_fp_ieee_underflow 0
		.amdhsa_exception_fp_ieee_inexact 0
		.amdhsa_exception_int_div_zero 0
	.end_amdhsa_kernel
	.section	.text._Z39paged_attention_ll4mi_QKV_mfma16_kernelI14__hip_bfloat16hLN4vllm18Fp8KVCacheDataTypeE1ES0_Li32ELi128ELi256ELb1ELi12EL8MFMAType0EEvPKT_PKT0_S9_ifPKiSB_SB_iPKfiiiPfSE_PS4_PT2_iSD_SD_,"axG",@progbits,_Z39paged_attention_ll4mi_QKV_mfma16_kernelI14__hip_bfloat16hLN4vllm18Fp8KVCacheDataTypeE1ES0_Li32ELi128ELi256ELb1ELi12EL8MFMAType0EEvPKT_PKT0_S9_ifPKiSB_SB_iPKfiiiPfSE_PS4_PT2_iSD_SD_,comdat
.Lfunc_end937:
	.size	_Z39paged_attention_ll4mi_QKV_mfma16_kernelI14__hip_bfloat16hLN4vllm18Fp8KVCacheDataTypeE1ES0_Li32ELi128ELi256ELb1ELi12EL8MFMAType0EEvPKT_PKT0_S9_ifPKiSB_SB_iPKfiiiPfSE_PS4_PT2_iSD_SD_, .Lfunc_end937-_Z39paged_attention_ll4mi_QKV_mfma16_kernelI14__hip_bfloat16hLN4vllm18Fp8KVCacheDataTypeE1ES0_Li32ELi128ELi256ELb1ELi12EL8MFMAType0EEvPKT_PKT0_S9_ifPKiSB_SB_iPKfiiiPfSE_PS4_PT2_iSD_SD_
                                        ; -- End function
	.section	.AMDGPU.csdata,"",@progbits
; Kernel info:
; codeLenInByte = 22552
; NumSgprs: 57
; NumVgprs: 80
; NumAgprs: 0
; TotalNumVgprs: 80
; ScratchSize: 352
; MemoryBound: 0
; FloatMode: 240
; IeeeMode: 1
; LDSByteSize: 8192 bytes/workgroup (compile time only)
; SGPRBlocks: 7
; VGPRBlocks: 9
; NumSGPRsForWavesPerEU: 57
; NumVGPRsForWavesPerEU: 80
; AccumOffset: 80
; Occupancy: 6
; WaveLimiterHint : 1
; COMPUTE_PGM_RSRC2:SCRATCH_EN: 1
; COMPUTE_PGM_RSRC2:USER_SGPR: 8
; COMPUTE_PGM_RSRC2:TRAP_HANDLER: 0
; COMPUTE_PGM_RSRC2:TGID_X_EN: 1
; COMPUTE_PGM_RSRC2:TGID_Y_EN: 1
; COMPUTE_PGM_RSRC2:TGID_Z_EN: 1
; COMPUTE_PGM_RSRC2:TIDIG_COMP_CNT: 0
; COMPUTE_PGM_RSRC3_GFX90A:ACCUM_OFFSET: 19
; COMPUTE_PGM_RSRC3_GFX90A:TG_SPLIT: 0
	.section	.text._Z39paged_attention_ll4mi_QKV_mfma16_kernelI14__hip_bfloat16hLN4vllm18Fp8KVCacheDataTypeE1ES0_Li32ELi128ELi256ELb1ELi13EL8MFMAType0EEvPKT_PKT0_S9_ifPKiSB_SB_iPKfiiiPfSE_PS4_PT2_iSD_SD_,"axG",@progbits,_Z39paged_attention_ll4mi_QKV_mfma16_kernelI14__hip_bfloat16hLN4vllm18Fp8KVCacheDataTypeE1ES0_Li32ELi128ELi256ELb1ELi13EL8MFMAType0EEvPKT_PKT0_S9_ifPKiSB_SB_iPKfiiiPfSE_PS4_PT2_iSD_SD_,comdat
	.protected	_Z39paged_attention_ll4mi_QKV_mfma16_kernelI14__hip_bfloat16hLN4vllm18Fp8KVCacheDataTypeE1ES0_Li32ELi128ELi256ELb1ELi13EL8MFMAType0EEvPKT_PKT0_S9_ifPKiSB_SB_iPKfiiiPfSE_PS4_PT2_iSD_SD_ ; -- Begin function _Z39paged_attention_ll4mi_QKV_mfma16_kernelI14__hip_bfloat16hLN4vllm18Fp8KVCacheDataTypeE1ES0_Li32ELi128ELi256ELb1ELi13EL8MFMAType0EEvPKT_PKT0_S9_ifPKiSB_SB_iPKfiiiPfSE_PS4_PT2_iSD_SD_
	.globl	_Z39paged_attention_ll4mi_QKV_mfma16_kernelI14__hip_bfloat16hLN4vllm18Fp8KVCacheDataTypeE1ES0_Li32ELi128ELi256ELb1ELi13EL8MFMAType0EEvPKT_PKT0_S9_ifPKiSB_SB_iPKfiiiPfSE_PS4_PT2_iSD_SD_
	.p2align	8
	.type	_Z39paged_attention_ll4mi_QKV_mfma16_kernelI14__hip_bfloat16hLN4vllm18Fp8KVCacheDataTypeE1ES0_Li32ELi128ELi256ELb1ELi13EL8MFMAType0EEvPKT_PKT0_S9_ifPKiSB_SB_iPKfiiiPfSE_PS4_PT2_iSD_SD_,@function
_Z39paged_attention_ll4mi_QKV_mfma16_kernelI14__hip_bfloat16hLN4vllm18Fp8KVCacheDataTypeE1ES0_Li32ELi128ELi256ELb1ELi13EL8MFMAType0EEvPKT_PKT0_S9_ifPKiSB_SB_iPKfiiiPfSE_PS4_PT2_iSD_SD_: ; @_Z39paged_attention_ll4mi_QKV_mfma16_kernelI14__hip_bfloat16hLN4vllm18Fp8KVCacheDataTypeE1ES0_Li32ELi128ELi256ELb1ELi13EL8MFMAType0EEvPKT_PKT0_S9_ifPKiSB_SB_iPKfiiiPfSE_PS4_PT2_iSD_SD_
; %bb.0:
	s_load_dwordx2 s[6:7], s[4:5], 0x30
	s_add_u32 s0, s0, s11
	s_addc_u32 s1, s1, 0
	s_mov_b32 s26, s9
	s_mov_b64 s[14:15], 0
	s_waitcnt lgkmcnt(0)
	s_cmp_lg_u64 s[6:7], 0
	s_cselect_b64 s[12:13], -1, 0
	s_and_b64 vcc, exec, s[12:13]
	s_cbranch_vccz .LBB938_7
; %bb.1:
	s_add_i32 s16, s8, 1
	s_mov_b32 s17, 0
	s_lshl_b64 s[18:19], s[16:17], 2
	s_add_u32 s18, s6, s18
	s_mov_b32 s9, s17
	s_addc_u32 s19, s7, s19
	s_lshl_b64 s[16:17], s[8:9], 2
	s_add_u32 s16, s6, s16
	s_addc_u32 s17, s7, s17
	s_load_dword s11, s[18:19], 0x0
	s_load_dword s20, s[16:17], 0x0
	s_waitcnt lgkmcnt(0)
	s_sub_i32 s11, s11, s20
	s_cmp_eq_u32 s11, 1
	s_cselect_b64 s[16:17], -1, 0
	s_andn2_b64 vcc, exec, s[14:15]
	s_cbranch_vccnz .LBB938_3
.LBB938_2:
	s_mov_b32 s9, 0
	s_mov_b64 s[16:17], -1
.LBB938_3:
	s_andn2_b64 vcc, exec, s[16:17]
	s_cbranch_vccnz .LBB938_600
; %bb.4:
	s_load_dwordx2 s[16:17], s[4:5], 0x28
	s_lshl_b64 s[14:15], s[8:9], 2
	s_waitcnt lgkmcnt(0)
	s_add_u32 s16, s16, s14
	s_addc_u32 s17, s17, s15
	s_load_dword s33, s[16:17], 0x0
	s_lshl_b32 s20, s26, 8
	s_waitcnt lgkmcnt(0)
	s_cmp_ge_i32 s20, s33
	s_cbranch_scc1 .LBB938_600
; %bb.5:
	s_add_i32 s18, s33, 31
	s_load_dwordx2 s[16:17], s[4:5], 0x20
	s_load_dword s11, s[4:5], 0x38
	s_ashr_i32 s19, s18, 31
	v_and_b32_e32 v1, 0xcf, v0
	s_lshr_b32 s19, s19, 27
	v_add_u32_e32 v1, s20, v1
	s_add_i32 s18, s18, s19
	v_ashrrev_i32_e32 v2, 31, v1
	s_ashr_i32 s23, s18, 5
	v_lshrrev_b32_e32 v4, 27, v2
	s_add_i32 s23, s23, -1
	v_add_u32_e32 v2, v1, v4
	s_waitcnt lgkmcnt(0)
	s_mul_i32 s18, s8, s11
	s_mov_b32 s19, 0
	v_ashrrev_i32_e32 v2, 5, v2
	v_mov_b32_e32 v5, s23
	v_cmp_gt_i32_e32 vcc, s33, v1
	s_lshl_b64 s[18:19], s[18:19], 2
	v_cndmask_b32_e32 v2, v5, v2, vcc
	s_add_u32 s21, s16, s18
	v_ashrrev_i32_e32 v3, 31, v2
	s_addc_u32 s22, s17, s19
	v_lshlrev_b64 v[2:3], 2, v[2:3]
	v_mov_b32_e32 v7, s22
	v_add_co_u32_e32 v6, vcc, s21, v2
	v_or_b32_e32 v2, 16, v1
	v_addc_co_u32_e32 v7, vcc, v7, v3, vcc
	v_add_u32_e32 v3, v2, v4
	v_ashrrev_i32_e32 v3, 5, v3
	v_cmp_gt_i32_e32 vcc, s33, v2
	v_cndmask_b32_e32 v2, v5, v3, vcc
	v_ashrrev_i32_e32 v3, 31, v2
	v_lshlrev_b64 v[2:3], 2, v[2:3]
	v_mov_b32_e32 v9, s22
	v_add_co_u32_e32 v8, vcc, s21, v2
	v_or_b32_e32 v2, 32, v1
	v_addc_co_u32_e32 v9, vcc, v9, v3, vcc
	v_add_u32_e32 v3, v2, v4
	v_ashrrev_i32_e32 v3, 5, v3
	v_cmp_gt_i32_e32 vcc, s33, v2
	v_cndmask_b32_e32 v2, v5, v3, vcc
	v_ashrrev_i32_e32 v3, 31, v2
	;; [unrolled: 10-line block ×3, first 2 shown]
	v_lshlrev_b64 v[2:3], 2, v[2:3]
	v_mov_b32_e32 v1, s22
	v_add_co_u32_e32 v12, vcc, s21, v2
	v_addc_co_u32_e32 v13, vcc, v1, v3, vcc
	global_load_dword v5, v[6:7], off
	global_load_dword v4, v[8:9], off
	;; [unrolled: 1-line block ×4, first 2 shown]
	s_load_dwordx2 s[16:17], s[4:5], 0x8
	s_andn2_b64 vcc, exec, s[12:13]
	s_cbranch_vccnz .LBB938_8
; %bb.6:
	s_add_u32 s6, s6, s14
	s_addc_u32 s7, s7, s15
	s_load_dword s11, s[6:7], 0x0
	s_branch .LBB938_9
.LBB938_7:
	s_mov_b64 s[16:17], 0
	s_branch .LBB938_2
.LBB938_8:
	s_mov_b32 s11, s8
.LBB938_9:
	s_load_dwordx2 s[6:7], s[4:5], 0x10
	s_load_dwordx4 s[12:15], s[4:5], 0x48
	v_lshrrev_b32_e32 v27, 6, v0
	v_bfe_u32 v1, v0, 4, 2
	v_and_b32_e32 v41, 15, v0
	v_lshl_or_b32 v6, v27, 2, v1
	v_lshlrev_b32_e32 v7, 3, v41
	s_mul_i32 s27, s10, 13
	v_cmp_gt_u32_e32 vcc, 13, v6
	v_lshlrev_b32_e32 v39, 1, v7
	v_lshlrev_b32_e32 v43, 4, v0
	s_and_saveexec_b64 s[18:19], vcc
	s_cbranch_execz .LBB938_11
; %bb.10:
	s_load_dwordx2 s[24:25], s[4:5], 0x0
	s_waitcnt lgkmcnt(0)
	s_ashr_i32 s15, s12, 31
	s_mul_hi_u32 s28, s11, s12
	s_mul_i32 s15, s11, s15
	s_add_i32 s29, s28, s15
	s_mul_i32 s28, s11, s12
	s_lshl_b64 s[28:29], s[28:29], 1
	v_add_lshl_u32 v8, v6, s27, 7
	s_add_u32 s11, s24, s28
	v_ashrrev_i32_e32 v9, 31, v8
	s_addc_u32 s12, s25, s29
	v_lshlrev_b64 v[8:9], 1, v[8:9]
	v_mov_b32_e32 v7, s12
	v_add_co_u32_e32 v8, vcc, s11, v8
	v_addc_co_u32_e32 v7, vcc, v7, v9, vcc
	v_add_co_u32_e32 v8, vcc, v8, v39
	v_addc_co_u32_e32 v9, vcc, 0, v7, vcc
	global_load_dwordx4 v[8:11], v[8:9], off
	v_lshlrev_b32_e32 v12, 8, v0
	v_lshlrev_b32_e32 v7, 8, v41
	v_and_b32_e32 v12, 0x600, v12
	s_movk_i32 s11, 0x800
	v_and_or_b32 v7, v7, s11, v12
	v_lshlrev_b32_e32 v6, 5, v6
	v_and_b32_e32 v12, 16, v43
	v_or3_b32 v6, v7, v6, v12
	s_waitcnt vmcnt(0)
	ds_write_b128 v6, v[8:11]
.LBB938_11:
	s_or_b64 exec, exec, s[18:19]
	s_waitcnt lgkmcnt(0)
	s_mul_i32 s14, s10, s14
	s_add_u32 s10, s16, s14
	s_addc_u32 s11, s17, 0
	v_pk_mov_b32 v[6:7], s[10:11], s[10:11] op_sel:[0,1]
	s_waitcnt vmcnt(3)
	v_mad_i64_i32 v[8:9], s[10:11], v5, s13, v[6:7]
	v_lshlrev_b32_e32 v11, 4, v41
	v_and_b32_e32 v18, 48, v0
	v_add_co_u32_e32 v5, vcc, v8, v11
	v_lshlrev_b32_e32 v10, 5, v18
	v_addc_co_u32_e32 v9, vcc, 0, v9, vcc
	v_add_co_u32_e32 v8, vcc, v5, v10
	v_addc_co_u32_e32 v9, vcc, 0, v9, vcc
	s_load_dwordx2 s[48:49], s[4:5], 0x94
	s_waitcnt lgkmcnt(0)
	s_barrier
	global_load_dwordx4 v[20:23], v[8:9], off
	global_load_dwordx4 v[28:31], v[8:9], off offset:2048
	s_waitcnt vmcnt(4)
	v_mad_i64_i32 v[4:5], s[10:11], v4, s13, v[6:7]
	v_or_b32_e32 v8, 0x100, v11
	v_add_co_u32_e32 v4, vcc, v4, v8
	v_addc_co_u32_e32 v5, vcc, 0, v5, vcc
	v_add_co_u32_e32 v4, vcc, v4, v10
	v_addc_co_u32_e32 v5, vcc, 0, v5, vcc
	global_load_dwordx4 v[32:35], v[4:5], off
	global_load_dwordx4 v[44:47], v[4:5], off offset:2048
	s_waitcnt vmcnt(5)
	v_mad_i64_i32 v[4:5], s[10:11], v3, s13, v[6:7]
	v_add_co_u32_e32 v3, vcc, v4, v11
	v_addc_co_u32_e32 v5, vcc, 0, v5, vcc
	v_add_co_u32_e32 v4, vcc, v3, v10
	v_addc_co_u32_e32 v5, vcc, 0, v5, vcc
	s_waitcnt vmcnt(4)
	v_mad_i64_i32 v[2:3], s[10:11], v2, s13, v[6:7]
	v_add_co_u32_e32 v2, vcc, v2, v8
	v_addc_co_u32_e32 v3, vcc, 0, v3, vcc
	v_add_co_u32_e32 v2, vcc, v2, v10
	v_addc_co_u32_e32 v3, vcc, 0, v3, vcc
	global_load_dwordx4 v[48:51], v[4:5], off
	global_load_dwordx4 v[52:55], v[4:5], off offset:2048
	global_load_dwordx4 v[56:59], v[2:3], off
	global_load_dwordx4 v[60:63], v[2:3], off offset:2048
	v_add_u32_e32 v2, -13, v41
	v_cmp_gt_u32_e32 vcc, 13, v41
	v_cndmask_b32_e32 v2, v2, v41, vcc
	v_lshlrev_b32_e32 v2, 5, v2
	v_lshl_add_u32 v14, v1, 9, v2
	s_load_dwordx2 s[50:51], s[4:5], 0x68
	s_load_dwordx4 s[44:47], s[4:5], 0x58
	ds_read_b128 v[2:5], v14
	ds_read_b128 v[6:9], v14 offset:16
	ds_read_b128 v[10:13], v14 offset:2048
	;; [unrolled: 1-line block ×3, first 2 shown]
	s_mov_b32 s12, 0
	s_waitcnt vmcnt(7)
	buffer_store_dword v23, off, s[0:3], 0 offset:12
	buffer_store_dword v22, off, s[0:3], 0 offset:8
	;; [unrolled: 1-line block ×3, first 2 shown]
	buffer_store_dword v20, off, s[0:3], 0
	s_waitcnt vmcnt(10)
	buffer_store_dword v31, off, s[0:3], 0 offset:28
	buffer_store_dword v30, off, s[0:3], 0 offset:24
	buffer_store_dword v29, off, s[0:3], 0 offset:20
	buffer_store_dword v28, off, s[0:3], 0 offset:16
	s_waitcnt vmcnt(13)
	buffer_store_dword v35, off, s[0:3], 0 offset:44
	buffer_store_dword v34, off, s[0:3], 0 offset:40
	buffer_store_dword v33, off, s[0:3], 0 offset:36
	buffer_store_dword v32, off, s[0:3], 0 offset:32
	;; [unrolled: 5-line block ×7, first 2 shown]
	v_mov_b32_e32 v35, 0
	v_mov_b32_e32 v31, 0
	s_and_saveexec_b64 s[10:11], vcc
	s_cbranch_execz .LBB938_13
; %bb.12:
	s_load_dwordx2 s[16:17], s[4:5], 0x40
	v_add_u32_e32 v20, s27, v41
	v_ashrrev_i32_e32 v21, 31, v20
	v_lshlrev_b64 v[20:21], 2, v[20:21]
	s_waitcnt lgkmcnt(0)
	v_mov_b32_e32 v19, s17
	v_add_co_u32_e32 v20, vcc, s16, v20
	v_addc_co_u32_e32 v21, vcc, v19, v21, vcc
	global_load_dword v31, v[20:21], off
.LBB938_13:
	s_or_b64 exec, exec, s[10:11]
	s_ashr_i32 s10, s20, 31
	v_or_b32_e32 v24, s20, v18
	s_lshr_b32 s10, s10, 27
	v_add_u32_e32 v18, s10, v24
	v_ashrrev_i32_e32 v18, 5, v18
	v_mov_b32_e32 v25, s23
	v_cmp_gt_i32_e32 vcc, s33, v24
	v_cndmask_b32_e32 v18, v25, v18, vcc
	v_ashrrev_i32_e32 v19, 31, v18
	v_lshlrev_b64 v[18:19], 2, v[18:19]
	v_mov_b32_e32 v20, s22
	v_add_co_u32_e32 v18, vcc, s21, v18
	v_addc_co_u32_e32 v19, vcc, v20, v19, vcc
	v_or_b32_e32 v20, 64, v24
	v_add_u32_e32 v21, s10, v20
	v_ashrrev_i32_e32 v21, 5, v21
	v_cmp_gt_i32_e32 vcc, s33, v20
	v_cndmask_b32_e32 v20, v25, v21, vcc
	v_ashrrev_i32_e32 v21, 31, v20
	v_lshlrev_b64 v[20:21], 2, v[20:21]
	v_mov_b32_e32 v22, s22
	v_add_co_u32_e32 v20, vcc, s21, v20
	v_addc_co_u32_e32 v21, vcc, v22, v21, vcc
	v_or_b32_e32 v22, 0x80, v24
	v_add_u32_e32 v23, s10, v22
	v_ashrrev_i32_e32 v23, 5, v23
	v_cmp_gt_i32_e32 vcc, s33, v22
	v_cndmask_b32_e32 v22, v25, v23, vcc
	v_ashrrev_i32_e32 v23, 31, v22
	v_lshlrev_b64 v[22:23], 2, v[22:23]
	v_mov_b32_e32 v26, s22
	v_add_co_u32_e32 v22, vcc, s21, v22
	v_addc_co_u32_e32 v23, vcc, v26, v23, vcc
	global_load_dword v26, v[18:19], off
	global_load_dword v28, v[20:21], off
	global_load_dword v30, v[22:23], off
	v_or_b32_e32 v18, 0xc0, v24
	v_add_u32_e32 v19, s10, v18
	v_ashrrev_i32_e32 v19, 5, v19
	v_cmp_gt_i32_e32 vcc, s33, v18
	v_cndmask_b32_e32 v18, v25, v19, vcc
	v_ashrrev_i32_e32 v19, 31, v18
	v_lshlrev_b64 v[18:19], 2, v[18:19]
	v_mov_b32_e32 v20, s22
	v_add_co_u32_e32 v18, vcc, s21, v18
	v_addc_co_u32_e32 v19, vcc, v20, v19, vcc
	global_load_dword v32, v[18:19], off
	s_add_u32 s6, s6, s14
	v_and_b32_e32 v18, 16, v0
	s_addc_u32 s7, s7, 0
	v_lshl_or_b32 v29, v27, 4, v41
	v_mov_b32_e32 v20, s7
	v_add_co_u32_e32 v34, vcc, s6, v18
	v_lshlrev_b32_e32 v19, 5, v29
	v_addc_co_u32_e32 v36, vcc, 0, v20, vcc
	v_add_co_u32_e32 v22, vcc, v34, v19
	v_addc_co_u32_e32 v23, vcc, 0, v36, vcc
	v_or_b32_e32 v33, 0x800, v19
	s_movk_i32 s14, 0x7f
	s_mov_b32 s15, 0xffffff
	s_mov_b32 s16, 0x5040100
	v_mov_b32_e32 v37, 0x100
	v_bfrev_b32_e32 v38, 60
	s_waitcnt vmcnt(3)
	v_mad_i64_i32 v[18:19], s[6:7], v26, s13, v[22:23]
	s_waitcnt vmcnt(2)
	v_mad_i64_i32 v[24:25], s[6:7], v28, s13, v[22:23]
	global_load_dwordx4 v[18:21], v[18:19], off
	s_nop 0
	global_load_dwordx4 v[52:55], v[24:25], off
	s_waitcnt vmcnt(3)
	v_mad_i64_i32 v[24:25], s[6:7], v30, s13, v[22:23]
	s_waitcnt vmcnt(2)
	v_mad_i64_i32 v[22:23], s[6:7], v32, s13, v[22:23]
	global_load_dwordx4 v[56:59], v[24:25], off
	global_load_dwordx4 v[60:63], v[22:23], off
	v_add_co_u32_e32 v22, vcc, v34, v33
	v_addc_co_u32_e32 v23, vcc, 0, v36, vcc
	v_mad_i64_i32 v[24:25], s[6:7], v26, s13, v[22:23]
	global_load_dwordx4 v[64:67], v[24:25], off
	v_mad_i64_i32 v[24:25], s[6:7], v28, s13, v[22:23]
	global_load_dwordx4 v[68:71], v[24:25], off
	;; [unrolled: 2-line block ×4, first 2 shown]
	s_load_dword s6, s[4:5], 0x1c
	s_load_dwordx4 s[40:43], s[4:5], 0x80
	v_mov_b32_e32 v22, 0x80
	v_add_u32_e32 v45, 16, v22
	v_add_u32_e32 v46, 32, v22
	;; [unrolled: 1-line block ×3, first 2 shown]
	s_waitcnt lgkmcnt(0)
	s_load_dword s4, s[40:41], 0x0
	v_add_u32_e32 v51, 64, v22
	v_add_u32_e32 v48, 0x50, v22
	;; [unrolled: 1-line block ×4, first 2 shown]
	v_mov_b32_e32 v22, s6
	s_waitcnt lgkmcnt(0)
	v_mul_f32_e32 v22, s4, v22
	v_and_b32_e32 v33, 63, v0
	s_movk_i32 s13, 0x80
	v_mov_b32_e32 v36, 0
	v_mov_b32_e32 v24, v22
	;; [unrolled: 1-line block ×3, first 2 shown]
	s_waitcnt vmcnt(7)
	buffer_store_dword v21, off, s[0:3], 0 offset:140
	buffer_store_dword v20, off, s[0:3], 0 offset:136
	buffer_store_dword v19, off, s[0:3], 0 offset:132
	buffer_store_dword v18, off, s[0:3], 0 offset:128
	s_waitcnt vmcnt(10)
	buffer_store_dword v55, off, s[0:3], 0 offset:172
	buffer_store_dword v54, off, s[0:3], 0 offset:168
	buffer_store_dword v53, off, s[0:3], 0 offset:164
	buffer_store_dword v52, off, s[0:3], 0 offset:160
	;; [unrolled: 5-line block ×8, first 2 shown]
	s_branch .LBB938_17
.LBB938_14:                             ;   in Loop: Header=BB938_17 Depth=1
	s_or_b64 exec, exec, s[10:11]
.LBB938_15:                             ;   in Loop: Header=BB938_17 Depth=1
	s_or_b64 exec, exec, s[6:7]
.LBB938_16:                             ;   in Loop: Header=BB938_17 Depth=1
	s_or_b64 exec, exec, s[4:5]
	v_perm_b32 v55, v40, v34, s16
	v_perm_b32 v54, v23, v32, s16
	;; [unrolled: 1-line block ×4, first 2 shown]
	v_add_u32_e32 v26, s12, v37
	v_mfma_f32_16x16x16bf16_1k v[18:21], v[54:55], v[14:15], v[18:21]
	s_add_i32 s12, s12, 16
	v_mov_b32_e32 v23, v22
	s_cmp_eq_u32 s12, 64
	v_add_u32_e32 v36, 32, v36
	v_mfma_f32_16x16x16bf16_1k v[18:21], v[52:53], v[16:17], v[18:21]
	s_nop 7
	s_nop 2
	v_pk_mul_f32 v[18:19], v[24:25], v[18:19]
	v_pk_mul_f32 v[20:21], v[22:23], v[20:21]
	buffer_store_dword v19, v26, s[0:3], 0 offen offset:4
	buffer_store_dword v18, v26, s[0:3], 0 offen
	buffer_store_dword v21, v26, s[0:3], 0 offen offset:12
	buffer_store_dword v20, v26, s[0:3], 0 offen offset:8
	s_cbranch_scc1 .LBB938_207
.LBB938_17:                             ; =>This Inner Loop Header: Depth=1
	buffer_load_dword v20, v36, s[0:3], 0 offen
	buffer_load_dword v18, v36, s[0:3], 0 offen offset:4
	buffer_load_dword v28, v36, s[0:3], 0 offen offset:8
	;; [unrolled: 1-line block ×3, first 2 shown]
	v_mov_b32_e32 v19, 0
	v_mov_b32_e32 v21, 0
	s_waitcnt vmcnt(3)
	v_cmp_ne_u16_sdwa s[6:7], v20, v35 src0_sel:BYTE_0 src1_sel:DWORD
	s_and_saveexec_b64 s[4:5], s[6:7]
	s_cbranch_execz .LBB938_23
; %bb.18:                               ;   in Loop: Header=BB938_17 Depth=1
	v_cmp_ne_u16_sdwa s[10:11], v20, s13 src0_sel:BYTE_0 src1_sel:DWORD
	v_mov_b32_e32 v21, 0xffff8000
	s_and_saveexec_b64 s[6:7], s[10:11]
	s_cbranch_execz .LBB938_22
; %bb.19:                               ;   in Loop: Header=BB938_17 Depth=1
	v_and_b32_e32 v23, 0x7f, v20
	v_cmp_ne_u32_e32 vcc, s14, v23
	v_mov_b32_e32 v21, 0x7f80
	s_and_saveexec_b64 s[10:11], vcc
	s_cbranch_execz .LBB938_21
; %bb.20:                               ;   in Loop: Header=BB938_17 Depth=1
	v_and_b32_e32 v21, 7, v20
	v_ffbh_u32_e32 v32, v21
	v_min_u32_e32 v32, 32, v32
	v_subrev_u32_e32 v34, 28, v32
	v_lshlrev_b64 v[52:53], v34, v[20:21]
	v_lshrrev_b32_e32 v30, 3, v23
	v_sub_u32_e32 v32, 29, v32
	v_and_b32_e32 v34, 7, v52
	v_cmp_gt_u32_e32 vcc, 8, v23
	v_cndmask_b32_e32 v23, v30, v32, vcc
	v_cndmask_b32_e32 v21, v21, v34, vcc
	v_lshlrev_b32_e32 v30, 24, v20
	v_lshlrev_b32_e32 v21, 20, v21
	v_and_b32_e32 v30, 0x80000000, v30
	v_lshl_add_u32 v23, v23, 23, v38
	v_or3_b32 v21, v30, v23, v21
	v_lshrrev_b32_e32 v21, 16, v21
.LBB938_21:                             ;   in Loop: Header=BB938_17 Depth=1
	s_or_b64 exec, exec, s[10:11]
.LBB938_22:                             ;   in Loop: Header=BB938_17 Depth=1
	s_or_b64 exec, exec, s[6:7]
.LBB938_23:                             ;   in Loop: Header=BB938_17 Depth=1
	s_or_b64 exec, exec, s[4:5]
	v_lshrrev_b16_e32 v30, 8, v20
	v_cmp_ne_u16_e32 vcc, 0, v30
	s_and_saveexec_b64 s[4:5], vcc
	s_cbranch_execz .LBB938_29
; %bb.24:                               ;   in Loop: Header=BB938_17 Depth=1
	v_cmp_ne_u16_e32 vcc, s13, v30
	v_mov_b32_e32 v19, 0xffff8000
	s_and_saveexec_b64 s[6:7], vcc
	s_cbranch_execz .LBB938_28
; %bb.25:                               ;   in Loop: Header=BB938_17 Depth=1
	v_and_b32_e32 v23, 0x7f, v30
	v_cmp_ne_u32_e32 vcc, s14, v23
	v_mov_b32_e32 v19, 0x7f80
	s_and_saveexec_b64 s[10:11], vcc
	s_cbranch_execz .LBB938_27
; %bb.26:                               ;   in Loop: Header=BB938_17 Depth=1
	v_and_b32_e32 v19, 7, v30
	v_ffbh_u32_e32 v34, v19
	v_min_u32_e32 v34, 32, v34
	v_subrev_u32_e32 v40, 28, v34
	v_lshlrev_b64 v[52:53], v40, v[30:31]
	v_lshrrev_b32_e32 v32, 3, v23
	v_sub_u32_e32 v30, 29, v34
	v_and_b32_e32 v34, 7, v52
	v_cmp_gt_u32_e32 vcc, 8, v23
	v_cndmask_b32_e32 v23, v32, v30, vcc
	v_cndmask_b32_e32 v19, v19, v34, vcc
	v_lshlrev_b32_e32 v30, 16, v20
	v_lshlrev_b32_e32 v19, 20, v19
	v_and_b32_e32 v30, 0x80000000, v30
	v_lshl_add_u32 v23, v23, 23, v38
	v_or3_b32 v19, v30, v23, v19
	v_lshrrev_b32_e32 v19, 16, v19
.LBB938_27:                             ;   in Loop: Header=BB938_17 Depth=1
	s_or_b64 exec, exec, s[10:11]
.LBB938_28:                             ;   in Loop: Header=BB938_17 Depth=1
	s_or_b64 exec, exec, s[6:7]
.LBB938_29:                             ;   in Loop: Header=BB938_17 Depth=1
	s_or_b64 exec, exec, s[4:5]
	v_lshrrev_b32_e32 v30, 16, v20
	v_cmp_ne_u16_sdwa s[6:7], v30, v35 src0_sel:BYTE_0 src1_sel:DWORD
	v_mov_b32_e32 v32, 0
	v_mov_b32_e32 v23, 0
	s_and_saveexec_b64 s[4:5], s[6:7]
	s_cbranch_execz .LBB938_35
; %bb.30:                               ;   in Loop: Header=BB938_17 Depth=1
	v_cmp_ne_u16_sdwa s[10:11], v30, s13 src0_sel:BYTE_0 src1_sel:DWORD
	v_mov_b32_e32 v23, 0xffff8000
	s_and_saveexec_b64 s[6:7], s[10:11]
	s_cbranch_execz .LBB938_34
; %bb.31:                               ;   in Loop: Header=BB938_17 Depth=1
	v_bfe_u32 v34, v20, 16, 7
	v_cmp_ne_u32_e32 vcc, s14, v34
	v_mov_b32_e32 v23, 0x7f80
	s_and_saveexec_b64 s[10:11], vcc
	s_cbranch_execz .LBB938_33
; %bb.32:                               ;   in Loop: Header=BB938_17 Depth=1
	v_and_b32_e32 v23, 7, v30
	v_ffbh_u32_e32 v42, v23
	v_min_u32_e32 v42, 32, v42
	v_subrev_u32_e32 v44, 28, v42
	v_lshlrev_b64 v[52:53], v44, v[30:31]
	v_lshrrev_b32_e32 v40, 3, v34
	v_sub_u32_e32 v42, 29, v42
	v_and_b32_e32 v44, 7, v52
	v_cmp_gt_u32_e32 vcc, 8, v34
	v_cndmask_b32_e32 v34, v40, v42, vcc
	v_cndmask_b32_e32 v23, v23, v44, vcc
	v_lshlrev_b32_e32 v30, 24, v30
	v_lshlrev_b32_e32 v23, 20, v23
	v_and_b32_e32 v30, 0x80000000, v30
	v_lshl_add_u32 v34, v34, 23, v38
	v_or3_b32 v23, v30, v34, v23
	v_lshrrev_b32_e32 v23, 16, v23
.LBB938_33:                             ;   in Loop: Header=BB938_17 Depth=1
	s_or_b64 exec, exec, s[10:11]
.LBB938_34:                             ;   in Loop: Header=BB938_17 Depth=1
	s_or_b64 exec, exec, s[6:7]
.LBB938_35:                             ;   in Loop: Header=BB938_17 Depth=1
	s_or_b64 exec, exec, s[4:5]
	v_cmp_lt_u32_e32 vcc, s15, v20
	s_and_saveexec_b64 s[4:5], vcc
	s_cbranch_execz .LBB938_41
; %bb.36:                               ;   in Loop: Header=BB938_17 Depth=1
	v_lshrrev_b32_e32 v30, 24, v20
	v_cmp_ne_u32_e32 vcc, s13, v30
	v_mov_b32_e32 v32, 0xffff8000
	s_and_saveexec_b64 s[6:7], vcc
	s_cbranch_execz .LBB938_40
; %bb.37:                               ;   in Loop: Header=BB938_17 Depth=1
	v_bfe_u32 v20, v20, 24, 7
	v_cmp_ne_u32_e32 vcc, s14, v20
	v_mov_b32_e32 v32, 0x7f80
	s_and_saveexec_b64 s[10:11], vcc
	s_cbranch_execz .LBB938_39
; %bb.38:                               ;   in Loop: Header=BB938_17 Depth=1
	v_and_b32_e32 v32, 7, v30
	v_ffbh_u32_e32 v40, v32
	v_min_u32_e32 v40, 32, v40
	v_subrev_u32_e32 v42, 28, v40
	v_lshlrev_b64 v[52:53], v42, v[30:31]
	v_lshrrev_b32_e32 v34, 3, v20
	v_sub_u32_e32 v40, 29, v40
	v_and_b32_e32 v42, 7, v52
	v_cmp_gt_u32_e32 vcc, 8, v20
	v_cndmask_b32_e32 v20, v34, v40, vcc
	v_cndmask_b32_e32 v32, v32, v42, vcc
	v_lshlrev_b32_e32 v30, 24, v30
	v_lshlrev_b32_e32 v32, 20, v32
	v_and_b32_e32 v30, 0x80000000, v30
	v_lshl_add_u32 v20, v20, 23, v38
	v_or3_b32 v20, v30, v20, v32
	v_lshrrev_b32_e32 v32, 16, v20
.LBB938_39:                             ;   in Loop: Header=BB938_17 Depth=1
	s_or_b64 exec, exec, s[10:11]
.LBB938_40:                             ;   in Loop: Header=BB938_17 Depth=1
	s_or_b64 exec, exec, s[6:7]
.LBB938_41:                             ;   in Loop: Header=BB938_17 Depth=1
	s_or_b64 exec, exec, s[4:5]
	s_waitcnt vmcnt(2)
	v_cmp_ne_u16_sdwa s[6:7], v18, v35 src0_sel:BYTE_0 src1_sel:DWORD
	v_mov_b32_e32 v30, 0
	v_mov_b32_e32 v34, 0
	s_and_saveexec_b64 s[4:5], s[6:7]
	s_cbranch_execz .LBB938_47
; %bb.42:                               ;   in Loop: Header=BB938_17 Depth=1
	v_cmp_ne_u16_sdwa s[10:11], v18, s13 src0_sel:BYTE_0 src1_sel:DWORD
	v_mov_b32_e32 v34, 0xffff8000
	s_and_saveexec_b64 s[6:7], s[10:11]
	s_cbranch_execz .LBB938_46
; %bb.43:                               ;   in Loop: Header=BB938_17 Depth=1
	v_and_b32_e32 v20, 0x7f, v18
	v_cmp_ne_u32_e32 vcc, s14, v20
	v_mov_b32_e32 v34, 0x7f80
	s_and_saveexec_b64 s[10:11], vcc
	s_cbranch_execz .LBB938_45
; %bb.44:                               ;   in Loop: Header=BB938_17 Depth=1
	v_and_b32_e32 v34, 7, v18
	v_ffbh_u32_e32 v42, v34
	v_min_u32_e32 v42, 32, v42
	v_subrev_u32_e32 v44, 28, v42
	v_lshlrev_b64 v[52:53], v44, v[18:19]
	v_lshrrev_b32_e32 v40, 3, v20
	v_sub_u32_e32 v42, 29, v42
	v_and_b32_e32 v44, 7, v52
	v_cmp_gt_u32_e32 vcc, 8, v20
	v_cndmask_b32_e32 v20, v40, v42, vcc
	v_cndmask_b32_e32 v34, v34, v44, vcc
	v_lshlrev_b32_e32 v40, 24, v18
	v_lshlrev_b32_e32 v34, 20, v34
	v_and_b32_e32 v40, 0x80000000, v40
	v_lshl_add_u32 v20, v20, 23, v38
	v_or3_b32 v20, v40, v20, v34
	v_lshrrev_b32_e32 v34, 16, v20
.LBB938_45:                             ;   in Loop: Header=BB938_17 Depth=1
	s_or_b64 exec, exec, s[10:11]
.LBB938_46:                             ;   in Loop: Header=BB938_17 Depth=1
	s_or_b64 exec, exec, s[6:7]
.LBB938_47:                             ;   in Loop: Header=BB938_17 Depth=1
	s_or_b64 exec, exec, s[4:5]
	v_lshrrev_b16_e32 v20, 8, v18
	v_cmp_ne_u16_e32 vcc, 0, v20
	s_and_saveexec_b64 s[4:5], vcc
	s_cbranch_execz .LBB938_53
; %bb.48:                               ;   in Loop: Header=BB938_17 Depth=1
	v_cmp_ne_u16_e32 vcc, s13, v20
	v_mov_b32_e32 v30, 0xffff8000
	s_and_saveexec_b64 s[6:7], vcc
	s_cbranch_execz .LBB938_52
; %bb.49:                               ;   in Loop: Header=BB938_17 Depth=1
	v_and_b32_e32 v40, 0x7f, v20
	v_cmp_ne_u32_e32 vcc, s14, v40
	v_mov_b32_e32 v30, 0x7f80
	s_and_saveexec_b64 s[10:11], vcc
	s_cbranch_execz .LBB938_51
; %bb.50:                               ;   in Loop: Header=BB938_17 Depth=1
	v_and_b32_e32 v30, 7, v20
	v_ffbh_u32_e32 v44, v30
	v_min_u32_e32 v44, 32, v44
	v_subrev_u32_e32 v52, 28, v44
	v_lshlrev_b64 v[52:53], v52, v[20:21]
	v_lshrrev_b32_e32 v42, 3, v40
	v_sub_u32_e32 v20, 29, v44
	v_and_b32_e32 v44, 7, v52
	v_cmp_gt_u32_e32 vcc, 8, v40
	v_cndmask_b32_e32 v20, v42, v20, vcc
	v_cndmask_b32_e32 v30, v30, v44, vcc
	v_lshlrev_b32_e32 v40, 16, v18
	v_lshlrev_b32_e32 v30, 20, v30
	v_and_b32_e32 v40, 0x80000000, v40
	v_lshl_add_u32 v20, v20, 23, v38
	v_or3_b32 v20, v40, v20, v30
	v_lshrrev_b32_e32 v30, 16, v20
.LBB938_51:                             ;   in Loop: Header=BB938_17 Depth=1
	s_or_b64 exec, exec, s[10:11]
.LBB938_52:                             ;   in Loop: Header=BB938_17 Depth=1
	s_or_b64 exec, exec, s[6:7]
.LBB938_53:                             ;   in Loop: Header=BB938_17 Depth=1
	s_or_b64 exec, exec, s[4:5]
	v_lshrrev_b32_e32 v20, 16, v18
	v_cmp_ne_u16_sdwa s[6:7], v20, v35 src0_sel:BYTE_0 src1_sel:DWORD
	v_mov_b32_e32 v42, 0
	v_mov_b32_e32 v40, 0
	s_and_saveexec_b64 s[4:5], s[6:7]
	s_cbranch_execz .LBB938_59
; %bb.54:                               ;   in Loop: Header=BB938_17 Depth=1
	v_cmp_ne_u16_sdwa s[10:11], v20, s13 src0_sel:BYTE_0 src1_sel:DWORD
	v_mov_b32_e32 v40, 0xffff8000
	s_and_saveexec_b64 s[6:7], s[10:11]
	s_cbranch_execz .LBB938_58
; %bb.55:                               ;   in Loop: Header=BB938_17 Depth=1
	v_bfe_u32 v44, v18, 16, 7
	v_cmp_ne_u32_e32 vcc, s14, v44
	v_mov_b32_e32 v40, 0x7f80
	s_and_saveexec_b64 s[10:11], vcc
	s_cbranch_execz .LBB938_57
; %bb.56:                               ;   in Loop: Header=BB938_17 Depth=1
	v_and_b32_e32 v40, 7, v20
	v_ffbh_u32_e32 v52, v40
	v_min_u32_e32 v55, 32, v52
	v_subrev_u32_e32 v52, 28, v55
	v_lshlrev_b64 v[52:53], v52, v[20:21]
	v_lshrrev_b32_e32 v54, 3, v44
	v_sub_u32_e32 v53, 29, v55
	v_and_b32_e32 v52, 7, v52
	v_cmp_gt_u32_e32 vcc, 8, v44
	v_cndmask_b32_e32 v44, v54, v53, vcc
	v_cndmask_b32_e32 v40, v40, v52, vcc
	v_lshlrev_b32_e32 v20, 24, v20
	v_lshlrev_b32_e32 v40, 20, v40
	v_and_b32_e32 v20, 0x80000000, v20
	v_lshl_add_u32 v44, v44, 23, v38
	v_or3_b32 v20, v20, v44, v40
	v_lshrrev_b32_e32 v40, 16, v20
.LBB938_57:                             ;   in Loop: Header=BB938_17 Depth=1
	s_or_b64 exec, exec, s[10:11]
.LBB938_58:                             ;   in Loop: Header=BB938_17 Depth=1
	s_or_b64 exec, exec, s[6:7]
.LBB938_59:                             ;   in Loop: Header=BB938_17 Depth=1
	s_or_b64 exec, exec, s[4:5]
	v_cmp_lt_u32_e32 vcc, s15, v18
	s_and_saveexec_b64 s[4:5], vcc
	s_cbranch_execz .LBB938_65
; %bb.60:                               ;   in Loop: Header=BB938_17 Depth=1
	v_lshrrev_b32_e32 v20, 24, v18
	v_cmp_ne_u32_e32 vcc, s13, v20
	v_mov_b32_e32 v42, 0xffff8000
	s_and_saveexec_b64 s[6:7], vcc
	s_cbranch_execz .LBB938_64
; %bb.61:                               ;   in Loop: Header=BB938_17 Depth=1
	v_bfe_u32 v18, v18, 24, 7
	v_cmp_ne_u32_e32 vcc, s14, v18
	v_mov_b32_e32 v42, 0x7f80
	s_and_saveexec_b64 s[10:11], vcc
	s_cbranch_execz .LBB938_63
; %bb.62:                               ;   in Loop: Header=BB938_17 Depth=1
	v_and_b32_e32 v42, 7, v20
	v_ffbh_u32_e32 v52, v42
	v_min_u32_e32 v54, 32, v52
	v_subrev_u32_e32 v52, 28, v54
	v_lshlrev_b64 v[52:53], v52, v[20:21]
	v_lshrrev_b32_e32 v44, 3, v18
	v_sub_u32_e32 v53, 29, v54
	v_and_b32_e32 v52, 7, v52
	v_cmp_gt_u32_e32 vcc, 8, v18
	v_cndmask_b32_e32 v18, v44, v53, vcc
	v_cndmask_b32_e32 v42, v42, v52, vcc
	v_lshlrev_b32_e32 v20, 24, v20
	v_lshlrev_b32_e32 v42, 20, v42
	v_and_b32_e32 v20, 0x80000000, v20
	v_lshl_add_u32 v18, v18, 23, v38
	v_or3_b32 v18, v20, v18, v42
	v_lshrrev_b32_e32 v42, 16, v18
.LBB938_63:                             ;   in Loop: Header=BB938_17 Depth=1
	s_or_b64 exec, exec, s[10:11]
.LBB938_64:                             ;   in Loop: Header=BB938_17 Depth=1
	s_or_b64 exec, exec, s[6:7]
.LBB938_65:                             ;   in Loop: Header=BB938_17 Depth=1
	s_or_b64 exec, exec, s[4:5]
	v_perm_b32 v53, v32, v23, s16
	v_perm_b32 v52, v19, v21, s16
	s_waitcnt vmcnt(1)
	v_cmp_ne_u16_sdwa s[6:7], v28, v35 src0_sel:BYTE_0 src1_sel:DWORD
	v_mov_b32_e32 v23, 0
	v_mov_b32_e32 v32, 0
	v_mfma_f32_16x16x16bf16_1k v[18:21], v[52:53], v[2:3], 0
	v_perm_b32 v53, v42, v40, s16
	v_perm_b32 v52, v30, v34, s16
	s_nop 1
	v_mfma_f32_16x16x16bf16_1k v[18:21], v[52:53], v[4:5], v[18:21]
	s_and_saveexec_b64 s[4:5], s[6:7]
	s_cbranch_execz .LBB938_71
; %bb.66:                               ;   in Loop: Header=BB938_17 Depth=1
	v_cmp_ne_u16_sdwa s[10:11], v28, s13 src0_sel:BYTE_0 src1_sel:DWORD
	v_mov_b32_e32 v32, 0xffff8000
	s_and_saveexec_b64 s[6:7], s[10:11]
	s_cbranch_execz .LBB938_70
; %bb.67:                               ;   in Loop: Header=BB938_17 Depth=1
	v_and_b32_e32 v30, 0x7f, v28
	v_cmp_ne_u32_e32 vcc, s14, v30
	v_mov_b32_e32 v32, 0x7f80
	s_and_saveexec_b64 s[10:11], vcc
	s_cbranch_execz .LBB938_69
; %bb.68:                               ;   in Loop: Header=BB938_17 Depth=1
	v_and_b32_e32 v32, 7, v28
	v_ffbh_u32_e32 v40, v32
	v_min_u32_e32 v40, 32, v40
	v_subrev_u32_e32 v42, 28, v40
	v_lshlrev_b64 v[52:53], v42, v[28:29]
	v_lshrrev_b32_e32 v34, 3, v30
	v_sub_u32_e32 v40, 29, v40
	v_and_b32_e32 v42, 7, v52
	v_cmp_gt_u32_e32 vcc, 8, v30
	v_cndmask_b32_e32 v30, v34, v40, vcc
	v_cndmask_b32_e32 v32, v32, v42, vcc
	v_lshlrev_b32_e32 v34, 24, v28
	v_lshlrev_b32_e32 v32, 20, v32
	v_and_b32_e32 v34, 0x80000000, v34
	v_lshl_add_u32 v30, v30, 23, v38
	v_or3_b32 v30, v34, v30, v32
	v_lshrrev_b32_e32 v32, 16, v30
.LBB938_69:                             ;   in Loop: Header=BB938_17 Depth=1
	s_or_b64 exec, exec, s[10:11]
.LBB938_70:                             ;   in Loop: Header=BB938_17 Depth=1
	s_or_b64 exec, exec, s[6:7]
.LBB938_71:                             ;   in Loop: Header=BB938_17 Depth=1
	s_or_b64 exec, exec, s[4:5]
	v_lshrrev_b16_e32 v30, 8, v28
	v_cmp_ne_u16_e32 vcc, 0, v30
	s_and_saveexec_b64 s[4:5], vcc
	s_cbranch_execz .LBB938_77
; %bb.72:                               ;   in Loop: Header=BB938_17 Depth=1
	v_cmp_ne_u16_e32 vcc, s13, v30
	v_mov_b32_e32 v23, 0xffff8000
	s_and_saveexec_b64 s[6:7], vcc
	s_cbranch_execz .LBB938_76
; %bb.73:                               ;   in Loop: Header=BB938_17 Depth=1
	v_and_b32_e32 v34, 0x7f, v30
	v_cmp_ne_u32_e32 vcc, s14, v34
	v_mov_b32_e32 v23, 0x7f80
	s_and_saveexec_b64 s[10:11], vcc
	s_cbranch_execz .LBB938_75
; %bb.74:                               ;   in Loop: Header=BB938_17 Depth=1
	v_and_b32_e32 v23, 7, v30
	v_ffbh_u32_e32 v42, v23
	v_min_u32_e32 v42, 32, v42
	v_subrev_u32_e32 v44, 28, v42
	v_lshlrev_b64 v[52:53], v44, v[30:31]
	v_lshrrev_b32_e32 v40, 3, v34
	v_sub_u32_e32 v30, 29, v42
	v_and_b32_e32 v42, 7, v52
	v_cmp_gt_u32_e32 vcc, 8, v34
	v_cndmask_b32_e32 v30, v40, v30, vcc
	v_cndmask_b32_e32 v23, v23, v42, vcc
	v_lshlrev_b32_e32 v34, 16, v28
	v_lshlrev_b32_e32 v23, 20, v23
	v_and_b32_e32 v34, 0x80000000, v34
	v_lshl_add_u32 v30, v30, 23, v38
	v_or3_b32 v23, v34, v30, v23
	v_lshrrev_b32_e32 v23, 16, v23
.LBB938_75:                             ;   in Loop: Header=BB938_17 Depth=1
	s_or_b64 exec, exec, s[10:11]
.LBB938_76:                             ;   in Loop: Header=BB938_17 Depth=1
	s_or_b64 exec, exec, s[6:7]
.LBB938_77:                             ;   in Loop: Header=BB938_17 Depth=1
	s_or_b64 exec, exec, s[4:5]
	v_lshrrev_b32_e32 v30, 16, v28
	v_cmp_ne_u16_sdwa s[6:7], v30, v35 src0_sel:BYTE_0 src1_sel:DWORD
	v_mov_b32_e32 v40, 0
	v_mov_b32_e32 v34, 0
	s_and_saveexec_b64 s[4:5], s[6:7]
	s_cbranch_execz .LBB938_83
; %bb.78:                               ;   in Loop: Header=BB938_17 Depth=1
	v_cmp_ne_u16_sdwa s[10:11], v30, s13 src0_sel:BYTE_0 src1_sel:DWORD
	v_mov_b32_e32 v34, 0xffff8000
	s_and_saveexec_b64 s[6:7], s[10:11]
	s_cbranch_execz .LBB938_82
; %bb.79:                               ;   in Loop: Header=BB938_17 Depth=1
	v_bfe_u32 v42, v28, 16, 7
	v_cmp_ne_u32_e32 vcc, s14, v42
	v_mov_b32_e32 v34, 0x7f80
	s_and_saveexec_b64 s[10:11], vcc
	s_cbranch_execz .LBB938_81
; %bb.80:                               ;   in Loop: Header=BB938_17 Depth=1
	v_and_b32_e32 v34, 7, v30
	v_ffbh_u32_e32 v52, v34
	v_min_u32_e32 v54, 32, v52
	v_subrev_u32_e32 v52, 28, v54
	v_lshlrev_b64 v[52:53], v52, v[30:31]
	v_lshrrev_b32_e32 v44, 3, v42
	v_sub_u32_e32 v53, 29, v54
	v_and_b32_e32 v52, 7, v52
	v_cmp_gt_u32_e32 vcc, 8, v42
	v_cndmask_b32_e32 v42, v44, v53, vcc
	v_cndmask_b32_e32 v34, v34, v52, vcc
	v_lshlrev_b32_e32 v30, 24, v30
	v_lshlrev_b32_e32 v34, 20, v34
	v_and_b32_e32 v30, 0x80000000, v30
	v_lshl_add_u32 v42, v42, 23, v38
	v_or3_b32 v30, v30, v42, v34
	v_lshrrev_b32_e32 v34, 16, v30
.LBB938_81:                             ;   in Loop: Header=BB938_17 Depth=1
	s_or_b64 exec, exec, s[10:11]
.LBB938_82:                             ;   in Loop: Header=BB938_17 Depth=1
	s_or_b64 exec, exec, s[6:7]
.LBB938_83:                             ;   in Loop: Header=BB938_17 Depth=1
	s_or_b64 exec, exec, s[4:5]
	v_cmp_lt_u32_e32 vcc, s15, v28
	s_and_saveexec_b64 s[4:5], vcc
	s_cbranch_execz .LBB938_89
; %bb.84:                               ;   in Loop: Header=BB938_17 Depth=1
	v_lshrrev_b32_e32 v30, 24, v28
	v_cmp_ne_u32_e32 vcc, s13, v30
	v_mov_b32_e32 v40, 0xffff8000
	s_and_saveexec_b64 s[6:7], vcc
	s_cbranch_execz .LBB938_88
; %bb.85:                               ;   in Loop: Header=BB938_17 Depth=1
	v_bfe_u32 v28, v28, 24, 7
	v_cmp_ne_u32_e32 vcc, s14, v28
	v_mov_b32_e32 v40, 0x7f80
	s_and_saveexec_b64 s[10:11], vcc
	s_cbranch_execz .LBB938_87
; %bb.86:                               ;   in Loop: Header=BB938_17 Depth=1
	v_and_b32_e32 v40, 7, v30
	v_ffbh_u32_e32 v44, v40
	v_min_u32_e32 v44, 32, v44
	v_subrev_u32_e32 v52, 28, v44
	v_lshlrev_b64 v[52:53], v52, v[30:31]
	v_lshrrev_b32_e32 v42, 3, v28
	v_sub_u32_e32 v44, 29, v44
	v_and_b32_e32 v52, 7, v52
	v_cmp_gt_u32_e32 vcc, 8, v28
	v_cndmask_b32_e32 v28, v42, v44, vcc
	v_cndmask_b32_e32 v40, v40, v52, vcc
	v_lshlrev_b32_e32 v30, 24, v30
	v_lshlrev_b32_e32 v40, 20, v40
	v_and_b32_e32 v30, 0x80000000, v30
	v_lshl_add_u32 v28, v28, 23, v38
	v_or3_b32 v28, v30, v28, v40
	v_lshrrev_b32_e32 v40, 16, v28
.LBB938_87:                             ;   in Loop: Header=BB938_17 Depth=1
	s_or_b64 exec, exec, s[10:11]
.LBB938_88:                             ;   in Loop: Header=BB938_17 Depth=1
	s_or_b64 exec, exec, s[6:7]
.LBB938_89:                             ;   in Loop: Header=BB938_17 Depth=1
	s_or_b64 exec, exec, s[4:5]
	s_waitcnt vmcnt(0)
	v_cmp_ne_u16_sdwa s[6:7], v26, v35 src0_sel:BYTE_0 src1_sel:DWORD
	v_mov_b32_e32 v42, 0
	v_mov_b32_e32 v44, 0
	s_and_saveexec_b64 s[4:5], s[6:7]
	s_cbranch_execz .LBB938_95
; %bb.90:                               ;   in Loop: Header=BB938_17 Depth=1
	v_cmp_ne_u16_sdwa s[10:11], v26, s13 src0_sel:BYTE_0 src1_sel:DWORD
	v_mov_b32_e32 v44, 0xffff8000
	s_and_saveexec_b64 s[6:7], s[10:11]
	s_cbranch_execz .LBB938_94
; %bb.91:                               ;   in Loop: Header=BB938_17 Depth=1
	v_and_b32_e32 v28, 0x7f, v26
	v_cmp_ne_u32_e32 vcc, s14, v28
	v_mov_b32_e32 v44, 0x7f80
	s_and_saveexec_b64 s[10:11], vcc
	s_cbranch_execz .LBB938_93
; %bb.92:                               ;   in Loop: Header=BB938_17 Depth=1
	v_and_b32_e32 v30, 7, v26
	v_ffbh_u32_e32 v52, v30
	v_min_u32_e32 v54, 32, v52
	v_subrev_u32_e32 v52, 28, v54
	v_lshlrev_b64 v[52:53], v52, v[26:27]
	v_lshrrev_b32_e32 v44, 3, v28
	v_sub_u32_e32 v53, 29, v54
	v_and_b32_e32 v52, 7, v52
	v_cmp_gt_u32_e32 vcc, 8, v28
	v_cndmask_b32_e32 v28, v44, v53, vcc
	v_cndmask_b32_e32 v30, v30, v52, vcc
	v_lshlrev_b32_e32 v44, 24, v26
	v_lshlrev_b32_e32 v30, 20, v30
	v_and_b32_e32 v44, 0x80000000, v44
	v_lshl_add_u32 v28, v28, 23, v38
	v_or3_b32 v28, v44, v28, v30
	v_lshrrev_b32_e32 v44, 16, v28
.LBB938_93:                             ;   in Loop: Header=BB938_17 Depth=1
	s_or_b64 exec, exec, s[10:11]
.LBB938_94:                             ;   in Loop: Header=BB938_17 Depth=1
	s_or_b64 exec, exec, s[6:7]
.LBB938_95:                             ;   in Loop: Header=BB938_17 Depth=1
	s_or_b64 exec, exec, s[4:5]
	v_lshrrev_b16_e32 v28, 8, v26
	v_cmp_ne_u16_e32 vcc, 0, v28
	s_and_saveexec_b64 s[4:5], vcc
	s_cbranch_execz .LBB938_101
; %bb.96:                               ;   in Loop: Header=BB938_17 Depth=1
	v_cmp_ne_u16_e32 vcc, s13, v28
	v_mov_b32_e32 v42, 0xffff8000
	s_and_saveexec_b64 s[6:7], vcc
	s_cbranch_execz .LBB938_100
; %bb.97:                               ;   in Loop: Header=BB938_17 Depth=1
	v_and_b32_e32 v30, 0x7f, v28
	v_cmp_ne_u32_e32 vcc, s14, v30
	v_mov_b32_e32 v42, 0x7f80
	s_and_saveexec_b64 s[10:11], vcc
	s_cbranch_execz .LBB938_99
; %bb.98:                               ;   in Loop: Header=BB938_17 Depth=1
	v_and_b32_e32 v42, 7, v28
	v_ffbh_u32_e32 v52, v42
	v_min_u32_e32 v55, 32, v52
	v_subrev_u32_e32 v52, 28, v55
	v_lshlrev_b64 v[52:53], v52, v[28:29]
	v_lshrrev_b32_e32 v54, 3, v30
	v_sub_u32_e32 v28, 29, v55
	v_and_b32_e32 v52, 7, v52
	v_cmp_gt_u32_e32 vcc, 8, v30
	v_cndmask_b32_e32 v28, v54, v28, vcc
	v_cndmask_b32_e32 v30, v42, v52, vcc
	v_lshlrev_b32_e32 v42, 16, v26
	v_lshlrev_b32_e32 v30, 20, v30
	v_and_b32_e32 v42, 0x80000000, v42
	v_lshl_add_u32 v28, v28, 23, v38
	v_or3_b32 v28, v42, v28, v30
	v_lshrrev_b32_e32 v42, 16, v28
.LBB938_99:                             ;   in Loop: Header=BB938_17 Depth=1
	s_or_b64 exec, exec, s[10:11]
.LBB938_100:                            ;   in Loop: Header=BB938_17 Depth=1
	s_or_b64 exec, exec, s[6:7]
.LBB938_101:                            ;   in Loop: Header=BB938_17 Depth=1
	s_or_b64 exec, exec, s[4:5]
	v_lshrrev_b32_e32 v28, 16, v26
	v_cmp_ne_u16_sdwa s[6:7], v28, v35 src0_sel:BYTE_0 src1_sel:DWORD
	v_mov_b32_e32 v53, 0
	v_mov_b32_e32 v52, 0
	s_and_saveexec_b64 s[4:5], s[6:7]
	s_cbranch_execz .LBB938_107
; %bb.102:                              ;   in Loop: Header=BB938_17 Depth=1
	v_cmp_ne_u16_sdwa s[10:11], v28, s13 src0_sel:BYTE_0 src1_sel:DWORD
	v_mov_b32_e32 v52, 0xffff8000
	s_and_saveexec_b64 s[6:7], s[10:11]
	s_cbranch_execz .LBB938_106
; %bb.103:                              ;   in Loop: Header=BB938_17 Depth=1
	v_bfe_u32 v30, v26, 16, 7
	v_cmp_ne_u32_e32 vcc, s14, v30
	v_mov_b32_e32 v52, 0x7f80
	s_and_saveexec_b64 s[10:11], vcc
	s_cbranch_execz .LBB938_105
; %bb.104:                              ;   in Loop: Header=BB938_17 Depth=1
	v_and_b32_e32 v52, 7, v28
	v_ffbh_u32_e32 v54, v52
	v_min_u32_e32 v57, 32, v54
	v_subrev_u32_e32 v54, 28, v57
	v_lshlrev_b64 v[54:55], v54, v[28:29]
	v_lshrrev_b32_e32 v56, 3, v30
	v_sub_u32_e32 v55, 29, v57
	v_and_b32_e32 v54, 7, v54
	v_cmp_gt_u32_e32 vcc, 8, v30
	v_cndmask_b32_e32 v30, v56, v55, vcc
	v_cndmask_b32_e32 v52, v52, v54, vcc
	v_lshlrev_b32_e32 v28, 24, v28
	v_lshlrev_b32_e32 v52, 20, v52
	v_and_b32_e32 v28, 0x80000000, v28
	v_lshl_add_u32 v30, v30, 23, v38
	v_or3_b32 v28, v28, v30, v52
	v_lshrrev_b32_e32 v52, 16, v28
.LBB938_105:                            ;   in Loop: Header=BB938_17 Depth=1
	s_or_b64 exec, exec, s[10:11]
.LBB938_106:                            ;   in Loop: Header=BB938_17 Depth=1
	s_or_b64 exec, exec, s[6:7]
.LBB938_107:                            ;   in Loop: Header=BB938_17 Depth=1
	s_or_b64 exec, exec, s[4:5]
	v_cmp_lt_u32_e32 vcc, s15, v26
	s_and_saveexec_b64 s[4:5], vcc
	s_cbranch_execz .LBB938_113
; %bb.108:                              ;   in Loop: Header=BB938_17 Depth=1
	v_lshrrev_b32_e32 v28, 24, v26
	v_cmp_ne_u32_e32 vcc, s13, v28
	v_mov_b32_e32 v53, 0xffff8000
	s_and_saveexec_b64 s[6:7], vcc
	s_cbranch_execz .LBB938_112
; %bb.109:                              ;   in Loop: Header=BB938_17 Depth=1
	v_bfe_u32 v26, v26, 24, 7
	v_cmp_ne_u32_e32 vcc, s14, v26
	v_mov_b32_e32 v53, 0x7f80
	s_and_saveexec_b64 s[10:11], vcc
	s_cbranch_execz .LBB938_111
; %bb.110:                              ;   in Loop: Header=BB938_17 Depth=1
	v_and_b32_e32 v30, 7, v28
	v_ffbh_u32_e32 v54, v30
	v_min_u32_e32 v56, 32, v54
	v_subrev_u32_e32 v54, 28, v56
	v_lshlrev_b64 v[54:55], v54, v[28:29]
	v_lshrrev_b32_e32 v53, 3, v26
	v_sub_u32_e32 v55, 29, v56
	v_and_b32_e32 v54, 7, v54
	v_cmp_gt_u32_e32 vcc, 8, v26
	v_cndmask_b32_e32 v26, v53, v55, vcc
	v_cndmask_b32_e32 v30, v30, v54, vcc
	v_lshlrev_b32_e32 v28, 24, v28
	v_lshlrev_b32_e32 v30, 20, v30
	v_and_b32_e32 v28, 0x80000000, v28
	v_lshl_add_u32 v26, v26, 23, v38
	v_or3_b32 v26, v28, v26, v30
	v_lshrrev_b32_e32 v53, 16, v26
.LBB938_111:                            ;   in Loop: Header=BB938_17 Depth=1
	s_or_b64 exec, exec, s[10:11]
.LBB938_112:                            ;   in Loop: Header=BB938_17 Depth=1
	s_or_b64 exec, exec, s[6:7]
.LBB938_113:                            ;   in Loop: Header=BB938_17 Depth=1
	s_or_b64 exec, exec, s[4:5]
	v_perm_b32 v54, v23, v32, s16
	buffer_load_dword v32, v36, s[0:3], 0 offen offset:16
	buffer_load_dword v30, v36, s[0:3], 0 offen offset:20
	;; [unrolled: 1-line block ×4, first 2 shown]
	v_perm_b32 v55, v40, v34, s16
	v_perm_b32 v53, v53, v52, s16
	;; [unrolled: 1-line block ×3, first 2 shown]
	v_mfma_f32_16x16x16bf16_1k v[18:21], v[54:55], v[6:7], v[18:21]
	v_mov_b32_e32 v23, 0
	v_mov_b32_e32 v40, 0
	s_waitcnt vmcnt(3)
	v_cmp_ne_u16_sdwa s[6:7], v32, v35 src0_sel:BYTE_0 src1_sel:DWORD
	v_mfma_f32_16x16x16bf16_1k v[18:21], v[52:53], v[8:9], v[18:21]
	s_and_saveexec_b64 s[4:5], s[6:7]
	s_cbranch_execz .LBB938_119
; %bb.114:                              ;   in Loop: Header=BB938_17 Depth=1
	v_cmp_ne_u16_sdwa s[10:11], v32, s13 src0_sel:BYTE_0 src1_sel:DWORD
	v_mov_b32_e32 v40, 0xffff8000
	s_and_saveexec_b64 s[6:7], s[10:11]
	s_cbranch_execz .LBB938_118
; %bb.115:                              ;   in Loop: Header=BB938_17 Depth=1
	v_and_b32_e32 v34, 0x7f, v32
	v_cmp_ne_u32_e32 vcc, s14, v34
	v_mov_b32_e32 v40, 0x7f80
	s_and_saveexec_b64 s[10:11], vcc
	s_cbranch_execz .LBB938_117
; %bb.116:                              ;   in Loop: Header=BB938_17 Depth=1
	v_and_b32_e32 v40, 7, v32
	v_ffbh_u32_e32 v44, v40
	v_min_u32_e32 v44, 32, v44
	v_subrev_u32_e32 v52, 28, v44
	v_lshlrev_b64 v[52:53], v52, v[32:33]
	v_lshrrev_b32_e32 v42, 3, v34
	v_sub_u32_e32 v44, 29, v44
	v_and_b32_e32 v52, 7, v52
	v_cmp_gt_u32_e32 vcc, 8, v34
	v_cndmask_b32_e32 v34, v42, v44, vcc
	v_cndmask_b32_e32 v40, v40, v52, vcc
	v_lshlrev_b32_e32 v42, 24, v32
	v_lshlrev_b32_e32 v40, 20, v40
	v_and_b32_e32 v42, 0x80000000, v42
	v_lshl_add_u32 v34, v34, 23, v38
	v_or3_b32 v34, v42, v34, v40
	v_lshrrev_b32_e32 v40, 16, v34
.LBB938_117:                            ;   in Loop: Header=BB938_17 Depth=1
	s_or_b64 exec, exec, s[10:11]
.LBB938_118:                            ;   in Loop: Header=BB938_17 Depth=1
	s_or_b64 exec, exec, s[6:7]
.LBB938_119:                            ;   in Loop: Header=BB938_17 Depth=1
	s_or_b64 exec, exec, s[4:5]
	v_lshrrev_b16_e32 v34, 8, v32
	v_cmp_ne_u16_e32 vcc, 0, v34
	s_and_saveexec_b64 s[4:5], vcc
	s_cbranch_execz .LBB938_125
; %bb.120:                              ;   in Loop: Header=BB938_17 Depth=1
	v_cmp_ne_u16_e32 vcc, s13, v34
	v_mov_b32_e32 v23, 0xffff8000
	s_and_saveexec_b64 s[6:7], vcc
	s_cbranch_execz .LBB938_124
; %bb.121:                              ;   in Loop: Header=BB938_17 Depth=1
	v_and_b32_e32 v42, 0x7f, v34
	v_cmp_ne_u32_e32 vcc, s14, v42
	v_mov_b32_e32 v23, 0x7f80
	s_and_saveexec_b64 s[10:11], vcc
	s_cbranch_execz .LBB938_123
; %bb.122:                              ;   in Loop: Header=BB938_17 Depth=1
	v_and_b32_e32 v23, 7, v34
	v_ffbh_u32_e32 v52, v23
	v_min_u32_e32 v54, 32, v52
	v_subrev_u32_e32 v52, 28, v54
	v_lshlrev_b64 v[52:53], v52, v[34:35]
	v_lshrrev_b32_e32 v44, 3, v42
	v_sub_u32_e32 v34, 29, v54
	v_and_b32_e32 v52, 7, v52
	v_cmp_gt_u32_e32 vcc, 8, v42
	v_cndmask_b32_e32 v34, v44, v34, vcc
	v_cndmask_b32_e32 v23, v23, v52, vcc
	v_lshlrev_b32_e32 v42, 16, v32
	v_lshlrev_b32_e32 v23, 20, v23
	v_and_b32_e32 v42, 0x80000000, v42
	v_lshl_add_u32 v34, v34, 23, v38
	v_or3_b32 v23, v42, v34, v23
	v_lshrrev_b32_e32 v23, 16, v23
.LBB938_123:                            ;   in Loop: Header=BB938_17 Depth=1
	s_or_b64 exec, exec, s[10:11]
.LBB938_124:                            ;   in Loop: Header=BB938_17 Depth=1
	s_or_b64 exec, exec, s[6:7]
.LBB938_125:                            ;   in Loop: Header=BB938_17 Depth=1
	s_or_b64 exec, exec, s[4:5]
	v_lshrrev_b32_e32 v34, 16, v32
	v_cmp_ne_u16_sdwa s[6:7], v34, v35 src0_sel:BYTE_0 src1_sel:DWORD
	v_mov_b32_e32 v44, 0
	v_mov_b32_e32 v42, 0
	s_and_saveexec_b64 s[4:5], s[6:7]
	s_cbranch_execz .LBB938_131
; %bb.126:                              ;   in Loop: Header=BB938_17 Depth=1
	v_cmp_ne_u16_sdwa s[10:11], v34, s13 src0_sel:BYTE_0 src1_sel:DWORD
	v_mov_b32_e32 v42, 0xffff8000
	s_and_saveexec_b64 s[6:7], s[10:11]
	s_cbranch_execz .LBB938_130
; %bb.127:                              ;   in Loop: Header=BB938_17 Depth=1
	v_bfe_u32 v52, v32, 16, 7
	v_cmp_ne_u32_e32 vcc, s14, v52
	v_mov_b32_e32 v42, 0x7f80
	s_and_saveexec_b64 s[10:11], vcc
	s_cbranch_execz .LBB938_129
; %bb.128:                              ;   in Loop: Header=BB938_17 Depth=1
	v_and_b32_e32 v42, 7, v34
	v_ffbh_u32_e32 v54, v42
	v_min_u32_e32 v56, 32, v54
	v_subrev_u32_e32 v54, 28, v56
	v_lshlrev_b64 v[54:55], v54, v[34:35]
	v_lshrrev_b32_e32 v53, 3, v52
	v_sub_u32_e32 v55, 29, v56
	v_and_b32_e32 v54, 7, v54
	v_cmp_gt_u32_e32 vcc, 8, v52
	v_cndmask_b32_e32 v52, v53, v55, vcc
	v_cndmask_b32_e32 v42, v42, v54, vcc
	v_lshlrev_b32_e32 v34, 24, v34
	v_lshlrev_b32_e32 v42, 20, v42
	v_and_b32_e32 v34, 0x80000000, v34
	v_lshl_add_u32 v52, v52, 23, v38
	v_or3_b32 v34, v34, v52, v42
	v_lshrrev_b32_e32 v42, 16, v34
.LBB938_129:                            ;   in Loop: Header=BB938_17 Depth=1
	s_or_b64 exec, exec, s[10:11]
.LBB938_130:                            ;   in Loop: Header=BB938_17 Depth=1
	s_or_b64 exec, exec, s[6:7]
.LBB938_131:                            ;   in Loop: Header=BB938_17 Depth=1
	s_or_b64 exec, exec, s[4:5]
	v_cmp_lt_u32_e32 vcc, s15, v32
	s_and_saveexec_b64 s[4:5], vcc
	s_cbranch_execz .LBB938_137
; %bb.132:                              ;   in Loop: Header=BB938_17 Depth=1
	v_lshrrev_b32_e32 v34, 24, v32
	v_cmp_ne_u32_e32 vcc, s13, v34
	v_mov_b32_e32 v44, 0xffff8000
	s_and_saveexec_b64 s[6:7], vcc
	s_cbranch_execz .LBB938_136
; %bb.133:                              ;   in Loop: Header=BB938_17 Depth=1
	v_bfe_u32 v32, v32, 24, 7
	v_cmp_ne_u32_e32 vcc, s14, v32
	v_mov_b32_e32 v44, 0x7f80
	s_and_saveexec_b64 s[10:11], vcc
	s_cbranch_execz .LBB938_135
; %bb.134:                              ;   in Loop: Header=BB938_17 Depth=1
	v_and_b32_e32 v44, 7, v34
	v_ffbh_u32_e32 v52, v44
	v_min_u32_e32 v55, 32, v52
	v_subrev_u32_e32 v52, 28, v55
	v_lshlrev_b64 v[52:53], v52, v[34:35]
	v_lshrrev_b32_e32 v54, 3, v32
	v_sub_u32_e32 v53, 29, v55
	v_and_b32_e32 v52, 7, v52
	v_cmp_gt_u32_e32 vcc, 8, v32
	v_cndmask_b32_e32 v32, v54, v53, vcc
	v_cndmask_b32_e32 v44, v44, v52, vcc
	v_lshlrev_b32_e32 v34, 24, v34
	v_lshlrev_b32_e32 v44, 20, v44
	v_and_b32_e32 v34, 0x80000000, v34
	v_lshl_add_u32 v32, v32, 23, v38
	v_or3_b32 v32, v34, v32, v44
	v_lshrrev_b32_e32 v44, 16, v32
.LBB938_135:                            ;   in Loop: Header=BB938_17 Depth=1
	s_or_b64 exec, exec, s[10:11]
.LBB938_136:                            ;   in Loop: Header=BB938_17 Depth=1
	s_or_b64 exec, exec, s[6:7]
.LBB938_137:                            ;   in Loop: Header=BB938_17 Depth=1
	s_or_b64 exec, exec, s[4:5]
	s_waitcnt vmcnt(2)
	v_cmp_ne_u16_sdwa s[6:7], v30, v35 src0_sel:BYTE_0 src1_sel:DWORD
	v_mov_b32_e32 v34, 0
	v_mov_b32_e32 v52, 0
	s_and_saveexec_b64 s[4:5], s[6:7]
	s_cbranch_execz .LBB938_143
; %bb.138:                              ;   in Loop: Header=BB938_17 Depth=1
	v_cmp_ne_u16_sdwa s[10:11], v30, s13 src0_sel:BYTE_0 src1_sel:DWORD
	v_mov_b32_e32 v52, 0xffff8000
	s_and_saveexec_b64 s[6:7], s[10:11]
	s_cbranch_execz .LBB938_142
; %bb.139:                              ;   in Loop: Header=BB938_17 Depth=1
	v_and_b32_e32 v32, 0x7f, v30
	v_cmp_ne_u32_e32 vcc, s14, v32
	v_mov_b32_e32 v52, 0x7f80
	s_and_saveexec_b64 s[10:11], vcc
	s_cbranch_execz .LBB938_141
; %bb.140:                              ;   in Loop: Header=BB938_17 Depth=1
	v_and_b32_e32 v54, 7, v30
	v_ffbh_u32_e32 v52, v54
	v_min_u32_e32 v56, 32, v52
	v_subrev_u32_e32 v52, 28, v56
	v_lshlrev_b64 v[52:53], v52, v[30:31]
	v_lshrrev_b32_e32 v55, 3, v32
	v_sub_u32_e32 v53, 29, v56
	v_and_b32_e32 v52, 7, v52
	v_cmp_gt_u32_e32 vcc, 8, v32
	v_cndmask_b32_e32 v32, v55, v53, vcc
	v_cndmask_b32_e32 v52, v54, v52, vcc
	v_lshlrev_b32_e32 v53, 24, v30
	v_lshlrev_b32_e32 v52, 20, v52
	v_and_b32_e32 v53, 0x80000000, v53
	v_lshl_add_u32 v32, v32, 23, v38
	v_or3_b32 v32, v53, v32, v52
	v_lshrrev_b32_e32 v52, 16, v32
.LBB938_141:                            ;   in Loop: Header=BB938_17 Depth=1
	s_or_b64 exec, exec, s[10:11]
.LBB938_142:                            ;   in Loop: Header=BB938_17 Depth=1
	s_or_b64 exec, exec, s[6:7]
.LBB938_143:                            ;   in Loop: Header=BB938_17 Depth=1
	s_or_b64 exec, exec, s[4:5]
	v_lshrrev_b16_e32 v32, 8, v30
	v_cmp_ne_u16_e32 vcc, 0, v32
	s_and_saveexec_b64 s[4:5], vcc
	s_cbranch_execz .LBB938_149
; %bb.144:                              ;   in Loop: Header=BB938_17 Depth=1
	v_cmp_ne_u16_e32 vcc, s13, v32
	v_mov_b32_e32 v34, 0xffff8000
	s_and_saveexec_b64 s[6:7], vcc
	s_cbranch_execz .LBB938_148
; %bb.145:                              ;   in Loop: Header=BB938_17 Depth=1
	v_and_b32_e32 v53, 0x7f, v32
	v_cmp_ne_u32_e32 vcc, s14, v53
	v_mov_b32_e32 v34, 0x7f80
	s_and_saveexec_b64 s[10:11], vcc
	s_cbranch_execz .LBB938_147
; %bb.146:                              ;   in Loop: Header=BB938_17 Depth=1
	v_and_b32_e32 v34, 7, v32
	v_ffbh_u32_e32 v54, v34
	v_min_u32_e32 v57, 32, v54
	v_subrev_u32_e32 v54, 28, v57
	v_lshlrev_b64 v[54:55], v54, v[32:33]
	v_lshrrev_b32_e32 v56, 3, v53
	v_sub_u32_e32 v32, 29, v57
	v_and_b32_e32 v54, 7, v54
	v_cmp_gt_u32_e32 vcc, 8, v53
	v_cndmask_b32_e32 v32, v56, v32, vcc
	v_cndmask_b32_e32 v34, v34, v54, vcc
	v_lshlrev_b32_e32 v53, 16, v30
	v_lshlrev_b32_e32 v34, 20, v34
	v_and_b32_e32 v53, 0x80000000, v53
	v_lshl_add_u32 v32, v32, 23, v38
	v_or3_b32 v32, v53, v32, v34
	v_lshrrev_b32_e32 v34, 16, v32
.LBB938_147:                            ;   in Loop: Header=BB938_17 Depth=1
	s_or_b64 exec, exec, s[10:11]
.LBB938_148:                            ;   in Loop: Header=BB938_17 Depth=1
	s_or_b64 exec, exec, s[6:7]
.LBB938_149:                            ;   in Loop: Header=BB938_17 Depth=1
	s_or_b64 exec, exec, s[4:5]
	v_lshrrev_b32_e32 v32, 16, v30
	v_cmp_ne_u16_sdwa s[6:7], v32, v35 src0_sel:BYTE_0 src1_sel:DWORD
	v_mov_b32_e32 v54, 0
	v_mov_b32_e32 v53, 0
	s_and_saveexec_b64 s[4:5], s[6:7]
	s_cbranch_execz .LBB938_155
; %bb.150:                              ;   in Loop: Header=BB938_17 Depth=1
	v_cmp_ne_u16_sdwa s[10:11], v32, s13 src0_sel:BYTE_0 src1_sel:DWORD
	v_mov_b32_e32 v53, 0xffff8000
	s_and_saveexec_b64 s[6:7], s[10:11]
	s_cbranch_execz .LBB938_154
; %bb.151:                              ;   in Loop: Header=BB938_17 Depth=1
	v_bfe_u32 v55, v30, 16, 7
	v_cmp_ne_u32_e32 vcc, s14, v55
	v_mov_b32_e32 v53, 0x7f80
	s_and_saveexec_b64 s[10:11], vcc
	s_cbranch_execz .LBB938_153
; %bb.152:                              ;   in Loop: Header=BB938_17 Depth=1
	v_and_b32_e32 v53, 7, v32
	v_ffbh_u32_e32 v56, v53
	v_min_u32_e32 v59, 32, v56
	v_subrev_u32_e32 v56, 28, v59
	v_lshlrev_b64 v[56:57], v56, v[32:33]
	v_lshrrev_b32_e32 v58, 3, v55
	v_sub_u32_e32 v57, 29, v59
	v_and_b32_e32 v56, 7, v56
	v_cmp_gt_u32_e32 vcc, 8, v55
	v_cndmask_b32_e32 v55, v58, v57, vcc
	v_cndmask_b32_e32 v53, v53, v56, vcc
	v_lshlrev_b32_e32 v32, 24, v32
	v_lshlrev_b32_e32 v53, 20, v53
	v_and_b32_e32 v32, 0x80000000, v32
	v_lshl_add_u32 v55, v55, 23, v38
	v_or3_b32 v32, v32, v55, v53
	v_lshrrev_b32_e32 v53, 16, v32
.LBB938_153:                            ;   in Loop: Header=BB938_17 Depth=1
	s_or_b64 exec, exec, s[10:11]
.LBB938_154:                            ;   in Loop: Header=BB938_17 Depth=1
	s_or_b64 exec, exec, s[6:7]
.LBB938_155:                            ;   in Loop: Header=BB938_17 Depth=1
	s_or_b64 exec, exec, s[4:5]
	v_cmp_lt_u32_e32 vcc, s15, v30
	s_and_saveexec_b64 s[4:5], vcc
	s_cbranch_execz .LBB938_161
; %bb.156:                              ;   in Loop: Header=BB938_17 Depth=1
	v_lshrrev_b32_e32 v32, 24, v30
	v_cmp_ne_u32_e32 vcc, s13, v32
	v_mov_b32_e32 v54, 0xffff8000
	s_and_saveexec_b64 s[6:7], vcc
	s_cbranch_execz .LBB938_160
; %bb.157:                              ;   in Loop: Header=BB938_17 Depth=1
	v_bfe_u32 v30, v30, 24, 7
	v_cmp_ne_u32_e32 vcc, s14, v30
	v_mov_b32_e32 v54, 0x7f80
	s_and_saveexec_b64 s[10:11], vcc
	s_cbranch_execz .LBB938_159
; %bb.158:                              ;   in Loop: Header=BB938_17 Depth=1
	v_and_b32_e32 v56, 7, v32
	v_ffbh_u32_e32 v54, v56
	v_min_u32_e32 v58, 32, v54
	v_subrev_u32_e32 v54, 28, v58
	v_lshlrev_b64 v[54:55], v54, v[32:33]
	v_lshrrev_b32_e32 v57, 3, v30
	v_sub_u32_e32 v55, 29, v58
	v_and_b32_e32 v54, 7, v54
	v_cmp_gt_u32_e32 vcc, 8, v30
	v_cndmask_b32_e32 v30, v57, v55, vcc
	v_cndmask_b32_e32 v54, v56, v54, vcc
	v_lshlrev_b32_e32 v32, 24, v32
	v_lshlrev_b32_e32 v54, 20, v54
	v_and_b32_e32 v32, 0x80000000, v32
	v_lshl_add_u32 v30, v30, 23, v38
	v_or3_b32 v30, v32, v30, v54
	v_lshrrev_b32_e32 v54, 16, v30
.LBB938_159:                            ;   in Loop: Header=BB938_17 Depth=1
	s_or_b64 exec, exec, s[10:11]
.LBB938_160:                            ;   in Loop: Header=BB938_17 Depth=1
	s_or_b64 exec, exec, s[6:7]
.LBB938_161:                            ;   in Loop: Header=BB938_17 Depth=1
	s_or_b64 exec, exec, s[4:5]
	v_perm_b32 v57, v44, v42, s16
	v_perm_b32 v56, v23, v40, s16
	;; [unrolled: 1-line block ×4, first 2 shown]
	s_waitcnt vmcnt(1)
	v_cmp_ne_u16_sdwa s[6:7], v28, v35 src0_sel:BYTE_0 src1_sel:DWORD
	v_mfma_f32_16x16x16bf16_1k v[18:21], v[56:57], v[10:11], v[18:21]
	v_mov_b32_e32 v23, 0
	v_mov_b32_e32 v32, 0
	v_mfma_f32_16x16x16bf16_1k v[18:21], v[52:53], v[12:13], v[18:21]
	s_and_saveexec_b64 s[4:5], s[6:7]
	s_cbranch_execz .LBB938_167
; %bb.162:                              ;   in Loop: Header=BB938_17 Depth=1
	v_cmp_ne_u16_sdwa s[10:11], v28, s13 src0_sel:BYTE_0 src1_sel:DWORD
	v_mov_b32_e32 v32, 0xffff8000
	s_and_saveexec_b64 s[6:7], s[10:11]
	s_cbranch_execz .LBB938_166
; %bb.163:                              ;   in Loop: Header=BB938_17 Depth=1
	v_and_b32_e32 v30, 0x7f, v28
	v_cmp_ne_u32_e32 vcc, s14, v30
	v_mov_b32_e32 v32, 0x7f80
	s_and_saveexec_b64 s[10:11], vcc
	s_cbranch_execz .LBB938_165
; %bb.164:                              ;   in Loop: Header=BB938_17 Depth=1
	v_and_b32_e32 v32, 7, v28
	v_ffbh_u32_e32 v40, v32
	v_min_u32_e32 v40, 32, v40
	v_subrev_u32_e32 v42, 28, v40
	v_lshlrev_b64 v[52:53], v42, v[28:29]
	v_lshrrev_b32_e32 v34, 3, v30
	v_sub_u32_e32 v40, 29, v40
	v_and_b32_e32 v42, 7, v52
	v_cmp_gt_u32_e32 vcc, 8, v30
	v_cndmask_b32_e32 v30, v34, v40, vcc
	v_cndmask_b32_e32 v32, v32, v42, vcc
	v_lshlrev_b32_e32 v34, 24, v28
	v_lshlrev_b32_e32 v32, 20, v32
	v_and_b32_e32 v34, 0x80000000, v34
	v_lshl_add_u32 v30, v30, 23, v38
	v_or3_b32 v30, v34, v30, v32
	v_lshrrev_b32_e32 v32, 16, v30
.LBB938_165:                            ;   in Loop: Header=BB938_17 Depth=1
	s_or_b64 exec, exec, s[10:11]
.LBB938_166:                            ;   in Loop: Header=BB938_17 Depth=1
	s_or_b64 exec, exec, s[6:7]
.LBB938_167:                            ;   in Loop: Header=BB938_17 Depth=1
	s_or_b64 exec, exec, s[4:5]
	v_lshrrev_b16_e32 v30, 8, v28
	v_cmp_ne_u16_e32 vcc, 0, v30
	s_and_saveexec_b64 s[4:5], vcc
	s_cbranch_execz .LBB938_173
; %bb.168:                              ;   in Loop: Header=BB938_17 Depth=1
	v_cmp_ne_u16_e32 vcc, s13, v30
	v_mov_b32_e32 v23, 0xffff8000
	s_and_saveexec_b64 s[6:7], vcc
	s_cbranch_execz .LBB938_172
; %bb.169:                              ;   in Loop: Header=BB938_17 Depth=1
	v_and_b32_e32 v34, 0x7f, v30
	v_cmp_ne_u32_e32 vcc, s14, v34
	v_mov_b32_e32 v23, 0x7f80
	s_and_saveexec_b64 s[10:11], vcc
	s_cbranch_execz .LBB938_171
; %bb.170:                              ;   in Loop: Header=BB938_17 Depth=1
	v_and_b32_e32 v23, 7, v30
	v_ffbh_u32_e32 v42, v23
	v_min_u32_e32 v42, 32, v42
	v_subrev_u32_e32 v44, 28, v42
	v_lshlrev_b64 v[52:53], v44, v[30:31]
	v_lshrrev_b32_e32 v40, 3, v34
	v_sub_u32_e32 v30, 29, v42
	v_and_b32_e32 v42, 7, v52
	v_cmp_gt_u32_e32 vcc, 8, v34
	v_cndmask_b32_e32 v30, v40, v30, vcc
	v_cndmask_b32_e32 v23, v23, v42, vcc
	v_lshlrev_b32_e32 v34, 16, v28
	v_lshlrev_b32_e32 v23, 20, v23
	v_and_b32_e32 v34, 0x80000000, v34
	v_lshl_add_u32 v30, v30, 23, v38
	v_or3_b32 v23, v34, v30, v23
	v_lshrrev_b32_e32 v23, 16, v23
.LBB938_171:                            ;   in Loop: Header=BB938_17 Depth=1
	s_or_b64 exec, exec, s[10:11]
.LBB938_172:                            ;   in Loop: Header=BB938_17 Depth=1
	s_or_b64 exec, exec, s[6:7]
.LBB938_173:                            ;   in Loop: Header=BB938_17 Depth=1
	s_or_b64 exec, exec, s[4:5]
	v_lshrrev_b32_e32 v30, 16, v28
	v_cmp_ne_u16_sdwa s[6:7], v30, v35 src0_sel:BYTE_0 src1_sel:DWORD
	v_mov_b32_e32 v40, 0
	v_mov_b32_e32 v34, 0
	s_and_saveexec_b64 s[4:5], s[6:7]
	s_cbranch_execz .LBB938_179
; %bb.174:                              ;   in Loop: Header=BB938_17 Depth=1
	v_cmp_ne_u16_sdwa s[10:11], v30, s13 src0_sel:BYTE_0 src1_sel:DWORD
	v_mov_b32_e32 v34, 0xffff8000
	s_and_saveexec_b64 s[6:7], s[10:11]
	s_cbranch_execz .LBB938_178
; %bb.175:                              ;   in Loop: Header=BB938_17 Depth=1
	v_bfe_u32 v42, v28, 16, 7
	v_cmp_ne_u32_e32 vcc, s14, v42
	v_mov_b32_e32 v34, 0x7f80
	s_and_saveexec_b64 s[10:11], vcc
	s_cbranch_execz .LBB938_177
; %bb.176:                              ;   in Loop: Header=BB938_17 Depth=1
	v_and_b32_e32 v34, 7, v30
	v_ffbh_u32_e32 v52, v34
	v_min_u32_e32 v54, 32, v52
	v_subrev_u32_e32 v52, 28, v54
	v_lshlrev_b64 v[52:53], v52, v[30:31]
	v_lshrrev_b32_e32 v44, 3, v42
	v_sub_u32_e32 v53, 29, v54
	v_and_b32_e32 v52, 7, v52
	v_cmp_gt_u32_e32 vcc, 8, v42
	v_cndmask_b32_e32 v42, v44, v53, vcc
	v_cndmask_b32_e32 v34, v34, v52, vcc
	v_lshlrev_b32_e32 v30, 24, v30
	v_lshlrev_b32_e32 v34, 20, v34
	v_and_b32_e32 v30, 0x80000000, v30
	v_lshl_add_u32 v42, v42, 23, v38
	v_or3_b32 v30, v30, v42, v34
	v_lshrrev_b32_e32 v34, 16, v30
.LBB938_177:                            ;   in Loop: Header=BB938_17 Depth=1
	s_or_b64 exec, exec, s[10:11]
.LBB938_178:                            ;   in Loop: Header=BB938_17 Depth=1
	s_or_b64 exec, exec, s[6:7]
.LBB938_179:                            ;   in Loop: Header=BB938_17 Depth=1
	s_or_b64 exec, exec, s[4:5]
	v_cmp_lt_u32_e32 vcc, s15, v28
	s_and_saveexec_b64 s[4:5], vcc
	s_cbranch_execz .LBB938_185
; %bb.180:                              ;   in Loop: Header=BB938_17 Depth=1
	v_lshrrev_b32_e32 v30, 24, v28
	v_cmp_ne_u32_e32 vcc, s13, v30
	v_mov_b32_e32 v40, 0xffff8000
	s_and_saveexec_b64 s[6:7], vcc
	s_cbranch_execz .LBB938_184
; %bb.181:                              ;   in Loop: Header=BB938_17 Depth=1
	v_bfe_u32 v28, v28, 24, 7
	v_cmp_ne_u32_e32 vcc, s14, v28
	v_mov_b32_e32 v40, 0x7f80
	s_and_saveexec_b64 s[10:11], vcc
	s_cbranch_execz .LBB938_183
; %bb.182:                              ;   in Loop: Header=BB938_17 Depth=1
	v_and_b32_e32 v40, 7, v30
	v_ffbh_u32_e32 v44, v40
	v_min_u32_e32 v44, 32, v44
	v_subrev_u32_e32 v52, 28, v44
	v_lshlrev_b64 v[52:53], v52, v[30:31]
	v_lshrrev_b32_e32 v42, 3, v28
	v_sub_u32_e32 v44, 29, v44
	v_and_b32_e32 v52, 7, v52
	v_cmp_gt_u32_e32 vcc, 8, v28
	v_cndmask_b32_e32 v28, v42, v44, vcc
	v_cndmask_b32_e32 v40, v40, v52, vcc
	v_lshlrev_b32_e32 v30, 24, v30
	v_lshlrev_b32_e32 v40, 20, v40
	v_and_b32_e32 v30, 0x80000000, v30
	v_lshl_add_u32 v28, v28, 23, v38
	v_or3_b32 v28, v30, v28, v40
	v_lshrrev_b32_e32 v40, 16, v28
.LBB938_183:                            ;   in Loop: Header=BB938_17 Depth=1
	s_or_b64 exec, exec, s[10:11]
.LBB938_184:                            ;   in Loop: Header=BB938_17 Depth=1
	s_or_b64 exec, exec, s[6:7]
.LBB938_185:                            ;   in Loop: Header=BB938_17 Depth=1
	s_or_b64 exec, exec, s[4:5]
	s_waitcnt vmcnt(0)
	v_cmp_ne_u16_sdwa s[6:7], v26, v35 src0_sel:BYTE_0 src1_sel:DWORD
	v_mov_b32_e32 v30, 0
	v_mov_b32_e32 v42, 0
	s_and_saveexec_b64 s[4:5], s[6:7]
	s_cbranch_execz .LBB938_191
; %bb.186:                              ;   in Loop: Header=BB938_17 Depth=1
	v_cmp_ne_u16_sdwa s[10:11], v26, s13 src0_sel:BYTE_0 src1_sel:DWORD
	v_mov_b32_e32 v42, 0xffff8000
	s_and_saveexec_b64 s[6:7], s[10:11]
	s_cbranch_execz .LBB938_190
; %bb.187:                              ;   in Loop: Header=BB938_17 Depth=1
	v_and_b32_e32 v28, 0x7f, v26
	v_cmp_ne_u32_e32 vcc, s14, v28
	v_mov_b32_e32 v42, 0x7f80
	s_and_saveexec_b64 s[10:11], vcc
	s_cbranch_execz .LBB938_189
; %bb.188:                              ;   in Loop: Header=BB938_17 Depth=1
	v_and_b32_e32 v42, 7, v26
	v_ffbh_u32_e32 v52, v42
	v_min_u32_e32 v54, 32, v52
	v_subrev_u32_e32 v52, 28, v54
	v_lshlrev_b64 v[52:53], v52, v[26:27]
	v_lshrrev_b32_e32 v44, 3, v28
	v_sub_u32_e32 v53, 29, v54
	v_and_b32_e32 v52, 7, v52
	v_cmp_gt_u32_e32 vcc, 8, v28
	v_cndmask_b32_e32 v28, v44, v53, vcc
	v_cndmask_b32_e32 v42, v42, v52, vcc
	v_lshlrev_b32_e32 v44, 24, v26
	v_lshlrev_b32_e32 v42, 20, v42
	v_and_b32_e32 v44, 0x80000000, v44
	v_lshl_add_u32 v28, v28, 23, v38
	v_or3_b32 v28, v44, v28, v42
	v_lshrrev_b32_e32 v42, 16, v28
.LBB938_189:                            ;   in Loop: Header=BB938_17 Depth=1
	s_or_b64 exec, exec, s[10:11]
.LBB938_190:                            ;   in Loop: Header=BB938_17 Depth=1
	s_or_b64 exec, exec, s[6:7]
.LBB938_191:                            ;   in Loop: Header=BB938_17 Depth=1
	s_or_b64 exec, exec, s[4:5]
	v_lshrrev_b16_e32 v28, 8, v26
	v_cmp_ne_u16_e32 vcc, 0, v28
	s_and_saveexec_b64 s[4:5], vcc
	s_cbranch_execz .LBB938_197
; %bb.192:                              ;   in Loop: Header=BB938_17 Depth=1
	v_cmp_ne_u16_e32 vcc, s13, v28
	v_mov_b32_e32 v30, 0xffff8000
	s_and_saveexec_b64 s[6:7], vcc
	s_cbranch_execz .LBB938_196
; %bb.193:                              ;   in Loop: Header=BB938_17 Depth=1
	v_and_b32_e32 v44, 0x7f, v28
	v_cmp_ne_u32_e32 vcc, s14, v44
	v_mov_b32_e32 v30, 0x7f80
	s_and_saveexec_b64 s[10:11], vcc
	s_cbranch_execz .LBB938_195
; %bb.194:                              ;   in Loop: Header=BB938_17 Depth=1
	v_and_b32_e32 v30, 7, v28
	v_ffbh_u32_e32 v52, v30
	v_min_u32_e32 v55, 32, v52
	v_subrev_u32_e32 v52, 28, v55
	v_lshlrev_b64 v[52:53], v52, v[28:29]
	v_lshrrev_b32_e32 v54, 3, v44
	v_sub_u32_e32 v28, 29, v55
	v_and_b32_e32 v52, 7, v52
	v_cmp_gt_u32_e32 vcc, 8, v44
	v_cndmask_b32_e32 v28, v54, v28, vcc
	v_cndmask_b32_e32 v30, v30, v52, vcc
	v_lshlrev_b32_e32 v44, 16, v26
	v_lshlrev_b32_e32 v30, 20, v30
	v_and_b32_e32 v44, 0x80000000, v44
	v_lshl_add_u32 v28, v28, 23, v38
	v_or3_b32 v28, v44, v28, v30
	v_lshrrev_b32_e32 v30, 16, v28
.LBB938_195:                            ;   in Loop: Header=BB938_17 Depth=1
	s_or_b64 exec, exec, s[10:11]
.LBB938_196:                            ;   in Loop: Header=BB938_17 Depth=1
	s_or_b64 exec, exec, s[6:7]
.LBB938_197:                            ;   in Loop: Header=BB938_17 Depth=1
	s_or_b64 exec, exec, s[4:5]
	v_lshrrev_b32_e32 v28, 16, v26
	v_cmp_ne_u16_sdwa s[6:7], v28, v35 src0_sel:BYTE_0 src1_sel:DWORD
	v_mov_b32_e32 v52, 0
	v_mov_b32_e32 v44, 0
	s_and_saveexec_b64 s[4:5], s[6:7]
	s_cbranch_execz .LBB938_203
; %bb.198:                              ;   in Loop: Header=BB938_17 Depth=1
	v_cmp_ne_u16_sdwa s[10:11], v28, s13 src0_sel:BYTE_0 src1_sel:DWORD
	v_mov_b32_e32 v44, 0xffff8000
	s_and_saveexec_b64 s[6:7], s[10:11]
	s_cbranch_execz .LBB938_202
; %bb.199:                              ;   in Loop: Header=BB938_17 Depth=1
	v_bfe_u32 v53, v26, 16, 7
	v_cmp_ne_u32_e32 vcc, s14, v53
	v_mov_b32_e32 v44, 0x7f80
	s_and_saveexec_b64 s[10:11], vcc
	s_cbranch_execz .LBB938_201
; %bb.200:                              ;   in Loop: Header=BB938_17 Depth=1
	v_and_b32_e32 v44, 7, v28
	v_ffbh_u32_e32 v54, v44
	v_min_u32_e32 v57, 32, v54
	v_subrev_u32_e32 v54, 28, v57
	v_lshlrev_b64 v[54:55], v54, v[28:29]
	v_lshrrev_b32_e32 v56, 3, v53
	v_sub_u32_e32 v55, 29, v57
	v_and_b32_e32 v54, 7, v54
	v_cmp_gt_u32_e32 vcc, 8, v53
	v_cndmask_b32_e32 v53, v56, v55, vcc
	v_cndmask_b32_e32 v44, v44, v54, vcc
	v_lshlrev_b32_e32 v28, 24, v28
	v_lshlrev_b32_e32 v44, 20, v44
	v_and_b32_e32 v28, 0x80000000, v28
	v_lshl_add_u32 v53, v53, 23, v38
	v_or3_b32 v28, v28, v53, v44
	v_lshrrev_b32_e32 v44, 16, v28
.LBB938_201:                            ;   in Loop: Header=BB938_17 Depth=1
	s_or_b64 exec, exec, s[10:11]
.LBB938_202:                            ;   in Loop: Header=BB938_17 Depth=1
	s_or_b64 exec, exec, s[6:7]
.LBB938_203:                            ;   in Loop: Header=BB938_17 Depth=1
	s_or_b64 exec, exec, s[4:5]
	v_cmp_lt_u32_e32 vcc, s15, v26
	s_and_saveexec_b64 s[4:5], vcc
	s_cbranch_execz .LBB938_16
; %bb.204:                              ;   in Loop: Header=BB938_17 Depth=1
	v_lshrrev_b32_e32 v28, 24, v26
	v_cmp_ne_u32_e32 vcc, s13, v28
	v_mov_b32_e32 v52, 0xffff8000
	s_and_saveexec_b64 s[6:7], vcc
	s_cbranch_execz .LBB938_15
; %bb.205:                              ;   in Loop: Header=BB938_17 Depth=1
	v_bfe_u32 v26, v26, 24, 7
	v_cmp_ne_u32_e32 vcc, s14, v26
	v_mov_b32_e32 v52, 0x7f80
	s_and_saveexec_b64 s[10:11], vcc
	s_cbranch_execz .LBB938_14
; %bb.206:                              ;   in Loop: Header=BB938_17 Depth=1
	v_and_b32_e32 v54, 7, v28
	v_ffbh_u32_e32 v52, v54
	v_min_u32_e32 v56, 32, v52
	v_subrev_u32_e32 v52, 28, v56
	v_lshlrev_b64 v[52:53], v52, v[28:29]
	v_lshrrev_b32_e32 v55, 3, v26
	v_sub_u32_e32 v53, 29, v56
	v_and_b32_e32 v52, 7, v52
	v_cmp_gt_u32_e32 vcc, 8, v26
	v_cndmask_b32_e32 v26, v55, v53, vcc
	v_cndmask_b32_e32 v52, v54, v52, vcc
	v_lshlrev_b32_e32 v28, 24, v28
	v_lshlrev_b32_e32 v52, 20, v52
	v_and_b32_e32 v28, 0x80000000, v28
	v_lshl_add_u32 v26, v26, 23, v38
	v_or3_b32 v26, v28, v26, v52
	v_lshrrev_b32_e32 v52, 16, v26
	s_branch .LBB938_14
.LBB938_207:
	buffer_load_dword v17, off, s[0:3], 0 offset:256
	buffer_load_dword v16, off, s[0:3], 0 offset:260
	;; [unrolled: 1-line block ×16, first 2 shown]
	v_and_b32_e32 v18, 0xc0, v0
	v_add_u32_e32 v18, s20, v18
	v_lshl_or_b32 v18, v1, 2, v18
	v_or_b32_e32 v20, 1, v18
	v_subrev_u32_e32 v24, s33, v20
	v_add_u32_e32 v26, 1, v24
	v_cvt_f32_i32_e32 v25, v24
	v_add_u32_e32 v28, 2, v24
	v_add_u32_e32 v30, 3, v24
	;; [unrolled: 1-line block ×14, first 2 shown]
	v_cvt_f32_i32_e32 v26, v26
	v_cvt_f32_i32_e32 v28, v28
	;; [unrolled: 1-line block ×4, first 2 shown]
	v_mov_b32_e32 v19, 0xff7fffff
	v_or_b32_e32 v21, 2, v18
	v_or_b32_e32 v22, 3, v18
	v_cvt_f32_i32_e32 v32, v32
	v_cvt_f32_i32_e32 v34, v34
	v_cmp_gt_i32_e64 s[28:29], s33, v18
	v_cmp_gt_i32_e64 s[30:31], s33, v20
	s_mov_b32 s52, 0xff7fffff
	v_cmp_gt_i32_e64 s[34:35], s33, v21
	v_cmp_gt_i32_e64 s[36:37], s33, v22
	v_or_b32_e32 v23, 16, v18
	v_cvt_f32_i32_e32 v35, v35
	v_cvt_f32_i32_e32 v36, v36
	v_cmp_gt_i32_e64 s[24:25], s33, v23
	v_cvt_f32_i32_e32 v37, v37
	v_cvt_f32_i32_e32 v38, v38
	;; [unrolled: 1-line block ×7, first 2 shown]
	s_waitcnt vmcnt(15)
	v_fmac_f32_e32 v17, v31, v25
	s_waitcnt vmcnt(14)
	v_fmac_f32_e32 v16, v31, v26
	s_waitcnt vmcnt(13)
	v_fmac_f32_e32 v15, v31, v28
	s_waitcnt vmcnt(12)
	v_fmac_f32_e32 v14, v31, v30
	v_cndmask_b32_e64 v20, v19, v16, s[30:31]
	v_cndmask_b32_e64 v21, v19, v15, s[34:35]
	;; [unrolled: 1-line block ×3, first 2 shown]
	s_waitcnt vmcnt(11)
	v_fmac_f32_e32 v13, v31, v32
	s_waitcnt vmcnt(10)
	v_fmac_f32_e32 v12, v31, v34
	;; [unrolled: 2-line block ×9, first 2 shown]
	v_cndmask_b32_e64 v24, v19, v17, s[28:29]
	v_max3_f32 v20, v24, s52, v20
	v_max3_f32 v20, v20, v21, v22
	v_or_b32_e32 v22, 17, v18
	v_cmp_gt_i32_e64 s[38:39], s33, v22
	v_cndmask_b32_e64 v21, v19, v13, s[24:25]
	v_cndmask_b32_e64 v22, v19, v12, s[38:39]
	v_max3_f32 v20, v20, v21, v22
	v_or_b32_e32 v21, 18, v18
	v_or_b32_e32 v22, 19, v18
	v_cmp_gt_i32_e64 s[20:21], s33, v21
	v_cmp_gt_i32_e64 s[22:23], s33, v22
	v_cndmask_b32_e64 v21, v19, v11, s[20:21]
	v_cndmask_b32_e64 v22, v19, v10, s[22:23]
	v_max3_f32 v20, v20, v21, v22
	v_or_b32_e32 v21, 32, v18
	v_or_b32_e32 v22, 33, v18
	v_cmp_gt_i32_e64 s[16:17], s33, v21
	;; [unrolled: 7-line block ×3, first 2 shown]
	v_cmp_gt_i32_e64 s[14:15], s33, v22
	v_cndmask_b32_e64 v21, v19, v7, s[12:13]
	v_cndmask_b32_e64 v22, v19, v6, s[14:15]
	v_max3_f32 v20, v20, v21, v22
	v_or_b32_e32 v21, 48, v18
	v_or_b32_e32 v22, 49, v18
	v_fmac_f32_e32 v5, v31, v44
	v_fmac_f32_e32 v4, v31, v52
	v_cmp_gt_i32_e64 s[6:7], s33, v21
	v_cmp_gt_i32_e64 s[10:11], s33, v22
	v_cndmask_b32_e64 v21, v19, v5, s[6:7]
	v_cndmask_b32_e64 v22, v19, v4, s[10:11]
	v_max3_f32 v20, v20, v21, v22
	v_or_b32_e32 v21, 50, v18
	v_or_b32_e32 v18, 51, v18
	v_fmac_f32_e32 v3, v31, v53
	v_cmp_gt_i32_e32 vcc, s33, v21
	v_cmp_gt_i32_e64 s[4:5], s33, v18
	v_cndmask_b32_e32 v21, v19, v3, vcc
	v_cndmask_b32_e64 v18, v19, v2, s[4:5]
	v_mbcnt_lo_u32_b32 v19, -1, 0
	v_mbcnt_hi_u32_b32 v19, -1, v19
	v_max3_f32 v18, v20, v21, v18
	v_and_b32_e32 v20, 64, v19
	v_add_u32_e32 v20, 64, v20
	v_xor_b32_e32 v21, 32, v19
	v_cmp_lt_i32_e64 s[40:41], v21, v20
	v_cndmask_b32_e64 v21, v19, v21, s[40:41]
	v_lshlrev_b32_e32 v21, 2, v21
	ds_bpermute_b32 v22, v21, v18
	s_waitcnt lgkmcnt(0)
	v_max_f32_e32 v22, v22, v22
	v_max_f32_e32 v18, v18, v22
	v_xor_b32_e32 v22, 16, v19
	v_cmp_lt_i32_e64 s[40:41], v22, v20
	v_cndmask_b32_e64 v19, v19, v22, s[40:41]
	v_lshlrev_b32_e32 v19, 2, v19
	ds_bpermute_b32 v20, v19, v18
	s_waitcnt lgkmcnt(0)
	v_max_f32_e32 v20, v20, v20
	v_max_f32_e32 v18, v18, v20
	v_sub_f32_e32 v17, v17, v18
	v_mul_f32_e32 v17, 0x3fb8aa3b, v17
	v_sub_f32_e32 v16, v16, v18
	v_exp_f32_e32 v17, v17
	v_mul_f32_e32 v16, 0x3fb8aa3b, v16
	v_sub_f32_e32 v15, v15, v18
	v_exp_f32_e32 v16, v16
	;; [unrolled: 3-line block ×4, first 2 shown]
	v_mul_f32_e32 v13, 0x3fb8aa3b, v13
	v_sub_f32_e32 v12, v12, v18
	v_cndmask_b32_e64 v17, 0, v17, s[28:29]
	v_exp_f32_e32 v13, v13
	v_mul_f32_e32 v12, 0x3fb8aa3b, v12
	v_sub_f32_e32 v11, v11, v18
	v_add_f32_e32 v20, 0, v17
	v_cndmask_b32_e64 v16, 0, v16, s[30:31]
	v_exp_f32_e32 v12, v12
	v_mul_f32_e32 v11, 0x3fb8aa3b, v11
	v_sub_f32_e32 v10, v10, v18
	v_add_f32_e32 v20, v20, v16
	;; [unrolled: 5-line block ×4, first 2 shown]
	v_cndmask_b32_e64 v13, 0, v13, s[24:25]
	v_exp_f32_e32 v9, v9
	v_mul_f32_e32 v8, 0x3fb8aa3b, v8
	v_sub_f32_e32 v7, v7, v18
	buffer_store_dword v17, off, s[0:3], 0 offset:256
	buffer_store_dword v16, off, s[0:3], 0 offset:260
	;; [unrolled: 1-line block ×4, first 2 shown]
	v_add_f32_e32 v14, v20, v13
	v_cndmask_b32_e64 v12, 0, v12, s[38:39]
	v_exp_f32_e32 v8, v8
	v_mul_f32_e32 v7, 0x3fb8aa3b, v7
	v_sub_f32_e32 v6, v6, v18
	v_add_f32_e32 v14, v14, v12
	v_cndmask_b32_e64 v11, 0, v11, s[20:21]
	v_exp_f32_e32 v7, v7
	v_mul_f32_e32 v6, 0x3fb8aa3b, v6
	v_sub_f32_e32 v5, v5, v18
	;; [unrolled: 5-line block ×4, first 2 shown]
	buffer_store_dword v13, off, s[0:3], 0 offset:272
	buffer_store_dword v12, off, s[0:3], 0 offset:276
	;; [unrolled: 1-line block ×4, first 2 shown]
	v_add_f32_e32 v10, v14, v9
	v_cndmask_b32_e64 v8, 0, v8, s[18:19]
	v_exp_f32_e32 v4, v4
	v_mul_f32_e32 v3, 0x3fb8aa3b, v3
	v_sub_f32_e32 v2, v2, v18
	v_add_f32_e32 v10, v10, v8
	v_cndmask_b32_e64 v7, 0, v7, s[12:13]
	v_exp_f32_e32 v3, v3
	v_mul_f32_e32 v2, 0x3fb8aa3b, v2
	v_add_f32_e32 v10, v10, v7
	v_cndmask_b32_e64 v6, 0, v6, s[14:15]
	v_exp_f32_e32 v2, v2
	v_add_f32_e32 v10, v10, v6
	v_cndmask_b32_e64 v5, 0, v5, s[6:7]
	buffer_store_dword v9, off, s[0:3], 0 offset:288
	buffer_store_dword v8, off, s[0:3], 0 offset:292
	;; [unrolled: 1-line block ×4, first 2 shown]
	v_add_f32_e32 v6, v10, v5
	v_cndmask_b32_e64 v4, 0, v4, s[10:11]
	v_add_f32_e32 v6, v6, v4
	v_cndmask_b32_e32 v3, 0, v3, vcc
	v_add_f32_e32 v6, v6, v3
	v_cndmask_b32_e64 v2, 0, v2, s[4:5]
	v_add_f32_e32 v6, v6, v2
	ds_bpermute_b32 v7, v21, v6
	buffer_store_dword v5, off, s[0:3], 0 offset:304
	buffer_store_dword v4, off, s[0:3], 0 offset:308
	;; [unrolled: 1-line block ×4, first 2 shown]
	v_cmp_gt_u32_e64 s[4:5], 16, v33
	s_waitcnt lgkmcnt(0)
	s_barrier
	v_add_f32_e32 v2, v6, v7
	ds_bpermute_b32 v3, v19, v2
	s_waitcnt lgkmcnt(0)
	s_and_saveexec_b64 s[6:7], s[4:5]
	s_cbranch_execz .LBB938_209
; %bb.208:
	v_add_f32_e32 v2, v2, v3
	v_lshlrev_b32_e32 v3, 2, v29
	ds_write2st64_b32 v3, v18, v2 offset1:1
.LBB938_209:
	s_or_b64 exec, exec, s[6:7]
	v_lshlrev_b32_e32 v2, 2, v41
	s_waitcnt lgkmcnt(0)
	s_barrier
	ds_read2_b32 v[14:15], v2 offset1:16
	ds_read2_b32 v[16:17], v2 offset0:32 offset1:48
	ds_read2_b32 v[6:7], v2 offset0:64 offset1:80
	;; [unrolled: 1-line block ×3, first 2 shown]
	s_waitcnt lgkmcnt(0)
	s_barrier
	buffer_load_dword v22, off, s[0:3], 0 offset:264
	buffer_load_dword v23, off, s[0:3], 0 offset:268
	buffer_load_dword v24, off, s[0:3], 0 offset:256
	buffer_load_dword v25, off, s[0:3], 0 offset:260
	buffer_load_dword v10, off, s[0:3], 0 offset:280
	buffer_load_dword v11, off, s[0:3], 0 offset:284
	buffer_load_dword v8, off, s[0:3], 0 offset:272
	buffer_load_dword v9, off, s[0:3], 0 offset:276
	buffer_load_dword v18, off, s[0:3], 0 offset:288
	buffer_load_dword v19, off, s[0:3], 0 offset:292
	buffer_load_dword v28, off, s[0:3], 0 offset:296
	buffer_load_dword v29, off, s[0:3], 0 offset:300
	buffer_load_dword v2, off, s[0:3], 0 offset:304
	buffer_load_dword v3, off, s[0:3], 0 offset:308
	buffer_load_dword v4, off, s[0:3], 0 offset:312
	buffer_load_dword v5, off, s[0:3], 0 offset:316
	v_max3_f32 v20, v14, s52, v15
	v_max3_f32 v20, v20, v16, v17
	v_sub_f32_e32 v14, v14, v20
	v_sub_f32_e32 v15, v15, v20
	v_mul_f32_e32 v14, 0x3fb8aa3b, v14
	v_sub_f32_e32 v16, v16, v20
	v_mul_f32_e32 v15, 0x3fb8aa3b, v15
	v_exp_f32_e32 v14, v14
	v_sub_f32_e32 v17, v17, v20
	v_mul_f32_e32 v16, 0x3fb8aa3b, v16
	v_exp_f32_e32 v15, v15
	v_mul_f32_e32 v17, 0x3fb8aa3b, v17
	v_exp_f32_e32 v16, v16
	v_exp_f32_e32 v17, v17
	v_fma_f32 v6, v14, v6, 0
	v_fmac_f32_e32 v6, v15, v7
	v_fmac_f32_e32 v6, v16, v12
	;; [unrolled: 1-line block ×3, first 2 shown]
	v_cmp_eq_u32_e32 vcc, 1, v27
	v_add_f32_e32 v12, 0x358637bd, v6
	v_cndmask_b32_e32 v14, v14, v15, vcc
	v_cmp_eq_u32_e32 vcc, 2, v27
	v_div_scale_f32 v13, s[6:7], v12, v12, 1.0
	v_cndmask_b32_e32 v7, v14, v16, vcc
	v_rcp_f32_e32 v14, v13
	v_cmp_eq_u32_e32 vcc, 3, v27
	v_cndmask_b32_e32 v7, v7, v17, vcc
	v_div_scale_f32 v15, vcc, 1.0, v12, 1.0
	v_fma_f32 v16, -v13, v14, 1.0
	v_fmac_f32_e32 v14, v16, v14
	v_mul_f32_e32 v16, v15, v14
	v_fma_f32 v17, -v13, v16, v15
	v_fmac_f32_e32 v16, v17, v14
	v_fma_f32 v13, -v13, v16, v15
	v_div_fmas_f32 v13, v13, v14, v16
	v_div_fixup_f32 v12, v13, v12, 1.0
	v_mul_f32_e32 v12, v7, v12
	s_movk_i32 s21, 0x7fff
	s_mov_b32 s22, 0x7060302
	s_mul_i32 s20, s49, 13
	v_cmp_gt_u32_e32 vcc, 13, v0
	s_waitcnt vmcnt(14)
	v_pk_mul_f32 v[14:15], v[12:13], v[22:23] op_sel_hi:[0,1]
	v_bfe_u32 v21, v15, 16, 1
	s_waitcnt vmcnt(12)
	v_pk_mul_f32 v[16:17], v[12:13], v[24:25] op_sel_hi:[0,1]
	v_bfe_u32 v7, v17, 16, 1
	v_bfe_u32 v13, v16, 16, 1
	;; [unrolled: 1-line block ×3, first 2 shown]
	v_add3_u32 v13, v16, v13, s21
	v_add3_u32 v7, v17, v7, s21
	buffer_store_dword v16, off, s[0:3], 0 offset:256
	buffer_store_dword v17, off, s[0:3], 0 offset:260
	;; [unrolled: 1-line block ×4, first 2 shown]
	v_add3_u32 v16, v14, v22, s21
	v_add3_u32 v15, v15, v21, s21
	v_perm_b32 v14, v7, v13, s22
	v_lshlrev_b32_e32 v13, 3, v1
	v_perm_b32 v15, v15, v16, s22
	v_lshlrev_b32_e32 v7, 5, v41
	v_lshlrev_b32_e32 v16, 11, v27
	s_waitcnt vmcnt(12)
	v_pk_mul_f32 v[8:9], v[12:13], v[8:9] op_sel_hi:[0,1]
	v_or3_b32 v52, v16, v7, v13
	v_pk_mul_f32 v[10:11], v[12:13], v[10:11] op_sel_hi:[0,1]
	v_bfe_u32 v13, v9, 16, 1
	v_bfe_u32 v16, v8, 16, 1
	buffer_store_dword v8, off, s[0:3], 0 offset:272
	buffer_store_dword v9, off, s[0:3], 0 offset:276
	;; [unrolled: 1-line block ×4, first 2 shown]
	v_add3_u32 v8, v8, v16, s21
	v_add3_u32 v9, v9, v13, s21
	v_perm_b32 v8, v9, v8, s22
	v_bfe_u32 v9, v11, 16, 1
	v_bfe_u32 v13, v10, 16, 1
	v_add3_u32 v10, v10, v13, s21
	v_add3_u32 v9, v11, v9, s21
	v_perm_b32 v9, v9, v10, s22
	s_waitcnt vmcnt(14)
	v_pk_mul_f32 v[10:11], v[12:13], v[18:19] op_sel_hi:[0,1]
	ds_write2st64_b64 v52, v[14:15], v[8:9] offset1:1
	s_waitcnt vmcnt(12)
	v_pk_mul_f32 v[8:9], v[12:13], v[28:29] op_sel_hi:[0,1]
	v_bfe_u32 v13, v11, 16, 1
	v_bfe_u32 v14, v10, 16, 1
	buffer_store_dword v10, off, s[0:3], 0 offset:288
	buffer_store_dword v11, off, s[0:3], 0 offset:292
	;; [unrolled: 1-line block ×4, first 2 shown]
	v_add3_u32 v10, v10, v14, s21
	v_add3_u32 v11, v11, v13, s21
	v_perm_b32 v10, v11, v10, s22
	v_bfe_u32 v11, v9, 16, 1
	v_bfe_u32 v13, v8, 16, 1
	v_add3_u32 v8, v8, v13, s21
	v_add3_u32 v9, v9, v11, s21
	s_waitcnt vmcnt(14)
	v_pk_mul_f32 v[2:3], v[12:13], v[2:3] op_sel_hi:[0,1]
	v_perm_b32 v11, v9, v8, s22
	v_bfe_u32 v8, v3, 16, 1
	v_bfe_u32 v9, v2, 16, 1
	s_waitcnt vmcnt(12)
	v_pk_mul_f32 v[4:5], v[12:13], v[4:5] op_sel_hi:[0,1]
	buffer_store_dword v2, off, s[0:3], 0 offset:304
	buffer_store_dword v3, off, s[0:3], 0 offset:308
	;; [unrolled: 1-line block ×4, first 2 shown]
	v_add3_u32 v2, v2, v9, s21
	v_add3_u32 v3, v3, v8, s21
	v_perm_b32 v2, v3, v2, s22
	v_bfe_u32 v3, v5, 16, 1
	v_bfe_u32 v8, v4, 16, 1
	v_add3_u32 v4, v4, v8, s21
	v_add3_u32 v3, v5, v3, s21
	v_perm_b32 v3, v3, v4, s22
	ds_write2st64_b64 v52, v[10:11], v[2:3] offset0:2 offset1:3
	s_and_saveexec_b64 s[6:7], vcc
	s_cbranch_execz .LBB938_211
; %bb.210:
	v_add_co_u32_e32 v4, vcc, s27, v41
	v_addc_co_u32_e64 v5, s[10:11], 0, 0, vcc
	v_mov_b32_e32 v2, s20
	v_mov_b32_e32 v3, 0
	v_mad_u64_u32 v[4:5], s[10:11], s8, v2, v[4:5]
	v_mov_b32_e32 v2, s26
	s_mul_i32 s9, s9, s20
	v_mad_u64_u32 v[2:3], s[10:11], v4, s48, v[2:3]
	v_add_u32_e32 v5, s9, v5
	v_mov_b32_e32 v4, v3
	v_mad_u64_u32 v[4:5], s[10:11], v5, s48, v[4:5]
	v_mov_b32_e32 v3, v4
	v_lshlrev_b64 v[2:3], 2, v[2:3]
	v_mov_b32_e32 v5, s47
	v_add_co_u32_e32 v4, vcc, s46, v2
	v_addc_co_u32_e32 v5, vcc, v5, v3, vcc
	global_store_dword v[4:5], v20, off
	v_mov_b32_e32 v4, s45
	v_add_co_u32_e32 v2, vcc, s44, v2
	v_addc_co_u32_e32 v3, vcc, v4, v3, vcc
	global_store_dword v[2:3], v6, off
.LBB938_211:
	s_or_b64 exec, exec, s[6:7]
	v_lshl_or_b32 v30, v1, 9, v7
	s_waitcnt lgkmcnt(0)
	s_barrier
	s_load_dword s6, s[42:43], 0x0
	ds_read_b128 v[2:5], v30
	ds_read_b128 v[6:9], v30 offset:16
	ds_read_b128 v[10:13], v30 offset:2048
	;; [unrolled: 1-line block ×7, first 2 shown]
	v_mov_b32_e32 v35, 0x80
	v_mov_b32_e32 v53, 0x140
	s_mov_b64 s[12:13], -1
	s_waitcnt lgkmcnt(0)
	s_mov_b32 s7, s6
	s_mov_b32 s10, s6
	;; [unrolled: 1-line block ×3, first 2 shown]
	s_movk_i32 s9, 0x80
	s_movk_i32 s23, 0x7f
	s_mov_b32 s24, 0xffffff
	s_mov_b32 s25, 0x5040100
	v_mov_b32_e32 v54, 0
	v_bfrev_b32_e32 v55, 60
	s_branch .LBB938_215
.LBB938_212:                            ;   in Loop: Header=BB938_215 Depth=1
	s_or_b64 exec, exec, s[18:19]
.LBB938_213:                            ;   in Loop: Header=BB938_215 Depth=1
	s_or_b64 exec, exec, s[16:17]
.LBB938_214:                            ;   in Loop: Header=BB938_215 Depth=1
	s_or_b64 exec, exec, s[14:15]
	v_perm_b32 v61, v56, v50, s25
	v_perm_b32 v60, v44, v46, s25
	s_xor_b64 s[14:15], s[12:13], -1
	s_mov_b64 s[12:13], 0
	v_mov_b32_e32 v46, v47
	v_mfma_f32_16x16x16bf16_1k v[60:63], v[60:61], v[30:31], v[34:37]
	s_and_b64 vcc, exec, s[14:15]
	s_nop 5
	v_perm_b32 v37, v58, v57, s25
	v_perm_b32 v36, v42, v51, s25
	v_mov_b32_e32 v35, v45
	s_nop 0
	v_mfma_f32_16x16x16bf16_1k v[56:59], v[36:37], v[32:33], v[60:63]
	s_nop 7
	s_nop 2
	v_pk_mul_f32 v[50:51], v[56:57], s[6:7]
	v_pk_mul_f32 v[36:37], v[58:59], s[10:11]
	v_bfe_u32 v34, v51, 16, 1
	v_bfe_u32 v38, v50, 16, 1
	;; [unrolled: 1-line block ×4, first 2 shown]
	v_add3_u32 v38, v50, v38, s21
	v_add3_u32 v34, v51, v34, s21
	;; [unrolled: 1-line block ×4, first 2 shown]
	v_perm_b32 v34, v34, v38, s22
	v_perm_b32 v36, v37, v36, s22
	buffer_store_dword v34, v53, s[0:3], 0 offen
	buffer_store_dword v36, v53, s[0:3], 0 offen offset:4
	v_mov_b32_e32 v53, 0x148
	v_mov_b32_e32 v51, v48
	;; [unrolled: 1-line block ×3, first 2 shown]
	s_cbranch_vccnz .LBB938_597
.LBB938_215:                            ; =>This Inner Loop Header: Depth=1
	buffer_load_dword v36, v35, s[0:3], 0 offen
	buffer_load_dword v34, v35, s[0:3], 0 offen offset:4
	buffer_load_dword v40, v35, s[0:3], 0 offen offset:8
	;; [unrolled: 1-line block ×3, first 2 shown]
	v_mov_b32_e32 v35, 0
	s_waitcnt vmcnt(3)
	v_cmp_ne_u16_sdwa s[16:17], v36, v54 src0_sel:BYTE_0 src1_sel:DWORD
	s_and_saveexec_b64 s[14:15], s[16:17]
	s_cbranch_execz .LBB938_221
; %bb.216:                              ;   in Loop: Header=BB938_215 Depth=1
	v_cmp_ne_u16_sdwa s[18:19], v36, s9 src0_sel:BYTE_0 src1_sel:DWORD
	v_mov_b32_e32 v35, 0xffff8000
	s_and_saveexec_b64 s[16:17], s[18:19]
	s_cbranch_execz .LBB938_220
; %bb.217:                              ;   in Loop: Header=BB938_215 Depth=1
	v_and_b32_e32 v37, 0x7f, v36
	v_cmp_ne_u32_e32 vcc, s23, v37
	v_mov_b32_e32 v35, 0x7f80
	s_and_saveexec_b64 s[18:19], vcc
	s_cbranch_execz .LBB938_219
; %bb.218:                              ;   in Loop: Header=BB938_215 Depth=1
	v_and_b32_e32 v35, 7, v36
	v_ffbh_u32_e32 v44, v35
	v_min_u32_e32 v44, 32, v44
	v_subrev_u32_e32 v56, 28, v44
	v_lshlrev_b64 v[56:57], v56, v[36:37]
	v_lshrrev_b32_e32 v42, 3, v37
	v_sub_u32_e32 v44, 29, v44
	v_and_b32_e32 v56, 7, v56
	v_cmp_gt_u32_e32 vcc, 8, v37
	v_cndmask_b32_e32 v37, v42, v44, vcc
	v_cndmask_b32_e32 v35, v35, v56, vcc
	v_lshlrev_b32_e32 v42, 24, v36
	v_lshlrev_b32_e32 v35, 20, v35
	v_and_b32_e32 v42, 0x80000000, v42
	v_lshl_add_u32 v37, v37, 23, v55
	v_or3_b32 v35, v42, v37, v35
	v_lshrrev_b32_e32 v35, 16, v35
.LBB938_219:                            ;   in Loop: Header=BB938_215 Depth=1
	s_or_b64 exec, exec, s[18:19]
.LBB938_220:                            ;   in Loop: Header=BB938_215 Depth=1
	s_or_b64 exec, exec, s[16:17]
.LBB938_221:                            ;   in Loop: Header=BB938_215 Depth=1
	s_or_b64 exec, exec, s[14:15]
	v_lshrrev_b16_e32 v42, 8, v36
	v_cmp_ne_u16_e32 vcc, 0, v42
	v_mov_b32_e32 v56, 0
	v_mov_b32_e32 v37, 0
	s_and_saveexec_b64 s[14:15], vcc
	s_cbranch_execz .LBB938_227
; %bb.222:                              ;   in Loop: Header=BB938_215 Depth=1
	v_cmp_ne_u16_e32 vcc, s9, v42
	v_mov_b32_e32 v37, 0xffff8000
	s_and_saveexec_b64 s[16:17], vcc
	s_cbranch_execz .LBB938_226
; %bb.223:                              ;   in Loop: Header=BB938_215 Depth=1
	v_and_b32_e32 v44, 0x7f, v42
	v_cmp_ne_u32_e32 vcc, s23, v44
	v_mov_b32_e32 v37, 0x7f80
	s_and_saveexec_b64 s[18:19], vcc
	s_cbranch_execz .LBB938_225
; %bb.224:                              ;   in Loop: Header=BB938_215 Depth=1
	v_and_b32_e32 v37, 7, v42
	v_ffbh_u32_e32 v58, v37
	v_min_u32_e32 v60, 32, v58
	v_subrev_u32_e32 v58, 28, v60
	v_lshlrev_b64 v[58:59], v58, v[42:43]
	v_lshrrev_b32_e32 v57, 3, v44
	v_sub_u32_e32 v42, 29, v60
	v_and_b32_e32 v58, 7, v58
	v_cmp_gt_u32_e32 vcc, 8, v44
	v_cndmask_b32_e32 v42, v57, v42, vcc
	v_cndmask_b32_e32 v37, v37, v58, vcc
	v_lshlrev_b32_e32 v44, 16, v36
	v_lshlrev_b32_e32 v37, 20, v37
	v_and_b32_e32 v44, 0x80000000, v44
	v_lshl_add_u32 v42, v42, 23, v55
	v_or3_b32 v37, v44, v42, v37
	v_lshrrev_b32_e32 v37, 16, v37
.LBB938_225:                            ;   in Loop: Header=BB938_215 Depth=1
	s_or_b64 exec, exec, s[18:19]
.LBB938_226:                            ;   in Loop: Header=BB938_215 Depth=1
	s_or_b64 exec, exec, s[16:17]
.LBB938_227:                            ;   in Loop: Header=BB938_215 Depth=1
	s_or_b64 exec, exec, s[14:15]
	v_lshrrev_b32_e32 v42, 16, v36
	v_cmp_ne_u16_sdwa s[16:17], v42, v54 src0_sel:BYTE_0 src1_sel:DWORD
	s_and_saveexec_b64 s[14:15], s[16:17]
	s_cbranch_execz .LBB938_233
; %bb.228:                              ;   in Loop: Header=BB938_215 Depth=1
	v_cmp_ne_u16_sdwa s[18:19], v42, s9 src0_sel:BYTE_0 src1_sel:DWORD
	v_mov_b32_e32 v56, 0xffff8000
	s_and_saveexec_b64 s[16:17], s[18:19]
	s_cbranch_execz .LBB938_232
; %bb.229:                              ;   in Loop: Header=BB938_215 Depth=1
	v_bfe_u32 v44, v36, 16, 7
	v_cmp_ne_u32_e32 vcc, s23, v44
	v_mov_b32_e32 v56, 0x7f80
	s_and_saveexec_b64 s[18:19], vcc
	s_cbranch_execz .LBB938_231
; %bb.230:                              ;   in Loop: Header=BB938_215 Depth=1
	v_and_b32_e32 v58, 7, v42
	v_ffbh_u32_e32 v56, v58
	v_min_u32_e32 v60, 32, v56
	v_subrev_u32_e32 v56, 28, v60
	v_lshlrev_b64 v[56:57], v56, v[42:43]
	v_lshrrev_b32_e32 v59, 3, v44
	v_sub_u32_e32 v57, 29, v60
	v_and_b32_e32 v56, 7, v56
	v_cmp_gt_u32_e32 vcc, 8, v44
	v_cndmask_b32_e32 v44, v59, v57, vcc
	v_cndmask_b32_e32 v56, v58, v56, vcc
	v_lshlrev_b32_e32 v42, 24, v42
	v_lshlrev_b32_e32 v56, 20, v56
	v_and_b32_e32 v42, 0x80000000, v42
	v_lshl_add_u32 v44, v44, 23, v55
	v_or3_b32 v42, v42, v44, v56
	v_lshrrev_b32_e32 v56, 16, v42
.LBB938_231:                            ;   in Loop: Header=BB938_215 Depth=1
	s_or_b64 exec, exec, s[18:19]
.LBB938_232:                            ;   in Loop: Header=BB938_215 Depth=1
	s_or_b64 exec, exec, s[16:17]
.LBB938_233:                            ;   in Loop: Header=BB938_215 Depth=1
	s_or_b64 exec, exec, s[14:15]
	v_cmp_lt_u32_e32 vcc, s24, v36
	v_mov_b32_e32 v57, 0
	v_mov_b32_e32 v58, 0
	s_and_saveexec_b64 s[14:15], vcc
	s_cbranch_execz .LBB938_239
; %bb.234:                              ;   in Loop: Header=BB938_215 Depth=1
	v_lshrrev_b32_e32 v42, 24, v36
	v_cmp_ne_u32_e32 vcc, s9, v42
	v_mov_b32_e32 v58, 0xffff8000
	s_and_saveexec_b64 s[16:17], vcc
	s_cbranch_execz .LBB938_238
; %bb.235:                              ;   in Loop: Header=BB938_215 Depth=1
	v_bfe_u32 v36, v36, 24, 7
	v_cmp_ne_u32_e32 vcc, s23, v36
	v_mov_b32_e32 v58, 0x7f80
	s_and_saveexec_b64 s[18:19], vcc
	s_cbranch_execz .LBB938_237
; %bb.236:                              ;   in Loop: Header=BB938_215 Depth=1
	v_and_b32_e32 v44, 7, v42
	v_ffbh_u32_e32 v58, v44
	v_min_u32_e32 v61, 32, v58
	v_subrev_u32_e32 v58, 28, v61
	v_lshlrev_b64 v[58:59], v58, v[42:43]
	v_lshrrev_b32_e32 v60, 3, v36
	v_sub_u32_e32 v59, 29, v61
	v_and_b32_e32 v58, 7, v58
	v_cmp_gt_u32_e32 vcc, 8, v36
	v_cndmask_b32_e32 v36, v60, v59, vcc
	v_cndmask_b32_e32 v44, v44, v58, vcc
	v_lshlrev_b32_e32 v42, 24, v42
	v_lshlrev_b32_e32 v44, 20, v44
	v_and_b32_e32 v42, 0x80000000, v42
	v_lshl_add_u32 v36, v36, 23, v55
	v_or3_b32 v36, v42, v36, v44
	v_lshrrev_b32_e32 v58, 16, v36
.LBB938_237:                            ;   in Loop: Header=BB938_215 Depth=1
	s_or_b64 exec, exec, s[18:19]
.LBB938_238:                            ;   in Loop: Header=BB938_215 Depth=1
	s_or_b64 exec, exec, s[16:17]
.LBB938_239:                            ;   in Loop: Header=BB938_215 Depth=1
	s_or_b64 exec, exec, s[14:15]
	s_waitcnt vmcnt(2)
	v_cmp_ne_u16_sdwa s[16:17], v34, v54 src0_sel:BYTE_0 src1_sel:DWORD
	s_and_saveexec_b64 s[14:15], s[16:17]
	s_cbranch_execz .LBB938_245
; %bb.240:                              ;   in Loop: Header=BB938_215 Depth=1
	v_cmp_ne_u16_sdwa s[18:19], v34, s9 src0_sel:BYTE_0 src1_sel:DWORD
	v_mov_b32_e32 v57, 0xffff8000
	s_and_saveexec_b64 s[16:17], s[18:19]
	s_cbranch_execz .LBB938_244
; %bb.241:                              ;   in Loop: Header=BB938_215 Depth=1
	v_and_b32_e32 v36, 0x7f, v34
	v_cmp_ne_u32_e32 vcc, s23, v36
	v_mov_b32_e32 v57, 0x7f80
	s_and_saveexec_b64 s[18:19], vcc
	s_cbranch_execz .LBB938_243
; %bb.242:                              ;   in Loop: Header=BB938_215 Depth=1
	v_and_b32_e32 v42, 7, v34
	v_ffbh_u32_e32 v57, v42
	v_min_u32_e32 v57, 32, v57
	v_subrev_u32_e32 v59, 28, v57
	v_lshlrev_b64 v[60:61], v59, v[34:35]
	v_lshrrev_b32_e32 v44, 3, v36
	v_sub_u32_e32 v57, 29, v57
	v_and_b32_e32 v59, 7, v60
	v_cmp_gt_u32_e32 vcc, 8, v36
	v_cndmask_b32_e32 v36, v44, v57, vcc
	v_cndmask_b32_e32 v42, v42, v59, vcc
	v_lshlrev_b32_e32 v44, 24, v34
	v_lshlrev_b32_e32 v42, 20, v42
	v_and_b32_e32 v44, 0x80000000, v44
	v_lshl_add_u32 v36, v36, 23, v55
	v_or3_b32 v36, v44, v36, v42
	v_lshrrev_b32_e32 v57, 16, v36
.LBB938_243:                            ;   in Loop: Header=BB938_215 Depth=1
	s_or_b64 exec, exec, s[18:19]
.LBB938_244:                            ;   in Loop: Header=BB938_215 Depth=1
	s_or_b64 exec, exec, s[16:17]
.LBB938_245:                            ;   in Loop: Header=BB938_215 Depth=1
	s_or_b64 exec, exec, s[14:15]
	v_lshrrev_b16_e32 v36, 8, v34
	v_cmp_ne_u16_e32 vcc, 0, v36
	v_mov_b32_e32 v59, 0
	v_mov_b32_e32 v42, 0
	s_and_saveexec_b64 s[14:15], vcc
	s_cbranch_execz .LBB938_251
; %bb.246:                              ;   in Loop: Header=BB938_215 Depth=1
	v_cmp_ne_u16_e32 vcc, s9, v36
	v_mov_b32_e32 v42, 0xffff8000
	s_and_saveexec_b64 s[16:17], vcc
	s_cbranch_execz .LBB938_250
; %bb.247:                              ;   in Loop: Header=BB938_215 Depth=1
	v_and_b32_e32 v44, 0x7f, v36
	v_cmp_ne_u32_e32 vcc, s23, v44
	v_mov_b32_e32 v42, 0x7f80
	s_and_saveexec_b64 s[18:19], vcc
	s_cbranch_execz .LBB938_249
; %bb.248:                              ;   in Loop: Header=BB938_215 Depth=1
	v_and_b32_e32 v42, 7, v36
	v_ffbh_u32_e32 v60, v42
	v_min_u32_e32 v63, 32, v60
	v_subrev_u32_e32 v60, 28, v63
	v_lshlrev_b64 v[60:61], v60, v[36:37]
	v_lshrrev_b32_e32 v62, 3, v44
	v_sub_u32_e32 v36, 29, v63
	v_and_b32_e32 v60, 7, v60
	v_cmp_gt_u32_e32 vcc, 8, v44
	v_cndmask_b32_e32 v36, v62, v36, vcc
	v_cndmask_b32_e32 v42, v42, v60, vcc
	v_lshlrev_b32_e32 v44, 16, v34
	v_lshlrev_b32_e32 v42, 20, v42
	v_and_b32_e32 v44, 0x80000000, v44
	v_lshl_add_u32 v36, v36, 23, v55
	v_or3_b32 v36, v44, v36, v42
	v_lshrrev_b32_e32 v42, 16, v36
.LBB938_249:                            ;   in Loop: Header=BB938_215 Depth=1
	s_or_b64 exec, exec, s[18:19]
.LBB938_250:                            ;   in Loop: Header=BB938_215 Depth=1
	s_or_b64 exec, exec, s[16:17]
.LBB938_251:                            ;   in Loop: Header=BB938_215 Depth=1
	s_or_b64 exec, exec, s[14:15]
	v_lshrrev_b32_e32 v36, 16, v34
	v_cmp_ne_u16_sdwa s[16:17], v36, v54 src0_sel:BYTE_0 src1_sel:DWORD
	s_and_saveexec_b64 s[14:15], s[16:17]
	s_cbranch_execz .LBB938_257
; %bb.252:                              ;   in Loop: Header=BB938_215 Depth=1
	v_cmp_ne_u16_sdwa s[18:19], v36, s9 src0_sel:BYTE_0 src1_sel:DWORD
	v_mov_b32_e32 v59, 0xffff8000
	s_and_saveexec_b64 s[16:17], s[18:19]
	s_cbranch_execz .LBB938_256
; %bb.253:                              ;   in Loop: Header=BB938_215 Depth=1
	v_bfe_u32 v44, v34, 16, 7
	v_cmp_ne_u32_e32 vcc, s23, v44
	v_mov_b32_e32 v59, 0x7f80
	s_and_saveexec_b64 s[18:19], vcc
	s_cbranch_execz .LBB938_255
; %bb.254:                              ;   in Loop: Header=BB938_215 Depth=1
	v_and_b32_e32 v59, 7, v36
	v_ffbh_u32_e32 v60, v59
	v_min_u32_e32 v63, 32, v60
	v_subrev_u32_e32 v60, 28, v63
	v_lshlrev_b64 v[60:61], v60, v[36:37]
	v_lshrrev_b32_e32 v62, 3, v44
	v_sub_u32_e32 v61, 29, v63
	v_and_b32_e32 v60, 7, v60
	v_cmp_gt_u32_e32 vcc, 8, v44
	v_cndmask_b32_e32 v44, v62, v61, vcc
	v_cndmask_b32_e32 v59, v59, v60, vcc
	v_lshlrev_b32_e32 v36, 24, v36
	v_lshlrev_b32_e32 v59, 20, v59
	v_and_b32_e32 v36, 0x80000000, v36
	v_lshl_add_u32 v44, v44, 23, v55
	v_or3_b32 v36, v36, v44, v59
	v_lshrrev_b32_e32 v59, 16, v36
.LBB938_255:                            ;   in Loop: Header=BB938_215 Depth=1
	s_or_b64 exec, exec, s[18:19]
.LBB938_256:                            ;   in Loop: Header=BB938_215 Depth=1
	s_or_b64 exec, exec, s[16:17]
.LBB938_257:                            ;   in Loop: Header=BB938_215 Depth=1
	s_or_b64 exec, exec, s[14:15]
	v_cmp_lt_u32_e32 vcc, s24, v34
	v_mov_b32_e32 v44, 0
	v_mov_b32_e32 v60, 0
	s_and_saveexec_b64 s[14:15], vcc
	s_cbranch_execz .LBB938_263
; %bb.258:                              ;   in Loop: Header=BB938_215 Depth=1
	v_lshrrev_b32_e32 v36, 24, v34
	v_cmp_ne_u32_e32 vcc, s9, v36
	v_mov_b32_e32 v60, 0xffff8000
	s_and_saveexec_b64 s[16:17], vcc
	s_cbranch_execz .LBB938_262
; %bb.259:                              ;   in Loop: Header=BB938_215 Depth=1
	v_bfe_u32 v34, v34, 24, 7
	v_cmp_ne_u32_e32 vcc, s23, v34
	v_mov_b32_e32 v60, 0x7f80
	s_and_saveexec_b64 s[18:19], vcc
	s_cbranch_execz .LBB938_261
; %bb.260:                              ;   in Loop: Header=BB938_215 Depth=1
	v_and_b32_e32 v62, 7, v36
	v_ffbh_u32_e32 v60, v62
	v_min_u32_e32 v64, 32, v60
	v_subrev_u32_e32 v60, 28, v64
	v_lshlrev_b64 v[60:61], v60, v[36:37]
	v_lshrrev_b32_e32 v63, 3, v34
	v_sub_u32_e32 v61, 29, v64
	v_and_b32_e32 v60, 7, v60
	v_cmp_gt_u32_e32 vcc, 8, v34
	v_cndmask_b32_e32 v34, v63, v61, vcc
	v_cndmask_b32_e32 v60, v62, v60, vcc
	v_lshlrev_b32_e32 v36, 24, v36
	v_lshlrev_b32_e32 v60, 20, v60
	v_and_b32_e32 v36, 0x80000000, v36
	v_lshl_add_u32 v34, v34, 23, v55
	v_or3_b32 v34, v36, v34, v60
	v_lshrrev_b32_e32 v60, 16, v34
.LBB938_261:                            ;   in Loop: Header=BB938_215 Depth=1
	s_or_b64 exec, exec, s[18:19]
.LBB938_262:                            ;   in Loop: Header=BB938_215 Depth=1
	s_or_b64 exec, exec, s[16:17]
.LBB938_263:                            ;   in Loop: Header=BB938_215 Depth=1
	s_or_b64 exec, exec, s[14:15]
	v_perm_b32 v63, v58, v56, s25
	v_perm_b32 v62, v37, v35, s25
	;; [unrolled: 1-line block ×4, first 2 shown]
	s_waitcnt vmcnt(1)
	v_cmp_ne_u16_sdwa s[16:17], v40, v54 src0_sel:BYTE_0 src1_sel:DWORD
	v_mfma_f32_16x16x16bf16_1k v[34:37], v[62:63], v[2:3], 0
	v_mfma_f32_16x16x16bf16_1k v[34:37], v[58:59], v[4:5], v[34:37]
	s_and_saveexec_b64 s[14:15], s[16:17]
	s_cbranch_execz .LBB938_269
; %bb.264:                              ;   in Loop: Header=BB938_215 Depth=1
	v_cmp_ne_u16_sdwa s[18:19], v40, s9 src0_sel:BYTE_0 src1_sel:DWORD
	v_mov_b32_e32 v44, 0xffff8000
	s_and_saveexec_b64 s[16:17], s[18:19]
	s_cbranch_execz .LBB938_268
; %bb.265:                              ;   in Loop: Header=BB938_215 Depth=1
	v_and_b32_e32 v42, 0x7f, v40
	v_cmp_ne_u32_e32 vcc, s23, v42
	v_mov_b32_e32 v44, 0x7f80
	s_and_saveexec_b64 s[18:19], vcc
	s_cbranch_execz .LBB938_267
; %bb.266:                              ;   in Loop: Header=BB938_215 Depth=1
	v_and_b32_e32 v44, 7, v40
	v_ffbh_u32_e32 v56, v44
	v_min_u32_e32 v59, 32, v56
	v_subrev_u32_e32 v56, 28, v59
	v_lshlrev_b64 v[56:57], v56, v[40:41]
	v_lshrrev_b32_e32 v58, 3, v42
	v_sub_u32_e32 v57, 29, v59
	v_and_b32_e32 v56, 7, v56
	v_cmp_gt_u32_e32 vcc, 8, v42
	v_cndmask_b32_e32 v42, v58, v57, vcc
	v_cndmask_b32_e32 v44, v44, v56, vcc
	v_lshlrev_b32_e32 v56, 24, v40
	v_lshlrev_b32_e32 v44, 20, v44
	v_and_b32_e32 v56, 0x80000000, v56
	v_lshl_add_u32 v42, v42, 23, v55
	v_or3_b32 v42, v56, v42, v44
	v_lshrrev_b32_e32 v44, 16, v42
.LBB938_267:                            ;   in Loop: Header=BB938_215 Depth=1
	s_or_b64 exec, exec, s[18:19]
.LBB938_268:                            ;   in Loop: Header=BB938_215 Depth=1
	s_or_b64 exec, exec, s[16:17]
.LBB938_269:                            ;   in Loop: Header=BB938_215 Depth=1
	s_or_b64 exec, exec, s[14:15]
	v_lshrrev_b16_e32 v42, 8, v40
	v_cmp_ne_u16_e32 vcc, 0, v42
	v_mov_b32_e32 v58, 0
	v_mov_b32_e32 v57, 0
	s_and_saveexec_b64 s[14:15], vcc
	s_cbranch_execz .LBB938_275
; %bb.270:                              ;   in Loop: Header=BB938_215 Depth=1
	v_cmp_ne_u16_e32 vcc, s9, v42
	v_mov_b32_e32 v57, 0xffff8000
	s_and_saveexec_b64 s[16:17], vcc
	s_cbranch_execz .LBB938_274
; %bb.271:                              ;   in Loop: Header=BB938_215 Depth=1
	v_and_b32_e32 v56, 0x7f, v42
	v_cmp_ne_u32_e32 vcc, s23, v56
	v_mov_b32_e32 v57, 0x7f80
	s_and_saveexec_b64 s[18:19], vcc
	s_cbranch_execz .LBB938_273
; %bb.272:                              ;   in Loop: Header=BB938_215 Depth=1
	v_and_b32_e32 v57, 7, v42
	v_ffbh_u32_e32 v60, v57
	v_min_u32_e32 v62, 32, v60
	v_subrev_u32_e32 v60, 28, v62
	v_lshlrev_b64 v[60:61], v60, v[42:43]
	v_lshrrev_b32_e32 v59, 3, v56
	v_sub_u32_e32 v42, 29, v62
	v_and_b32_e32 v60, 7, v60
	v_cmp_gt_u32_e32 vcc, 8, v56
	v_cndmask_b32_e32 v42, v59, v42, vcc
	v_cndmask_b32_e32 v56, v57, v60, vcc
	v_lshlrev_b32_e32 v57, 16, v40
	v_lshlrev_b32_e32 v56, 20, v56
	v_and_b32_e32 v57, 0x80000000, v57
	v_lshl_add_u32 v42, v42, 23, v55
	v_or3_b32 v42, v57, v42, v56
	v_lshrrev_b32_e32 v57, 16, v42
.LBB938_273:                            ;   in Loop: Header=BB938_215 Depth=1
	s_or_b64 exec, exec, s[18:19]
.LBB938_274:                            ;   in Loop: Header=BB938_215 Depth=1
	s_or_b64 exec, exec, s[16:17]
.LBB938_275:                            ;   in Loop: Header=BB938_215 Depth=1
	s_or_b64 exec, exec, s[14:15]
	v_lshrrev_b32_e32 v42, 16, v40
	v_cmp_ne_u16_sdwa s[16:17], v42, v54 src0_sel:BYTE_0 src1_sel:DWORD
	s_and_saveexec_b64 s[14:15], s[16:17]
	s_cbranch_execz .LBB938_281
; %bb.276:                              ;   in Loop: Header=BB938_215 Depth=1
	v_cmp_ne_u16_sdwa s[18:19], v42, s9 src0_sel:BYTE_0 src1_sel:DWORD
	v_mov_b32_e32 v58, 0xffff8000
	s_and_saveexec_b64 s[16:17], s[18:19]
	s_cbranch_execz .LBB938_280
; %bb.277:                              ;   in Loop: Header=BB938_215 Depth=1
	v_bfe_u32 v56, v40, 16, 7
	v_cmp_ne_u32_e32 vcc, s23, v56
	v_mov_b32_e32 v58, 0x7f80
	s_and_saveexec_b64 s[18:19], vcc
	s_cbranch_execz .LBB938_279
; %bb.278:                              ;   in Loop: Header=BB938_215 Depth=1
	v_and_b32_e32 v60, 7, v42
	v_ffbh_u32_e32 v58, v60
	v_min_u32_e32 v62, 32, v58
	v_subrev_u32_e32 v58, 28, v62
	v_lshlrev_b64 v[58:59], v58, v[42:43]
	v_lshrrev_b32_e32 v61, 3, v56
	v_sub_u32_e32 v59, 29, v62
	v_and_b32_e32 v58, 7, v58
	v_cmp_gt_u32_e32 vcc, 8, v56
	v_cndmask_b32_e32 v56, v61, v59, vcc
	v_cndmask_b32_e32 v58, v60, v58, vcc
	v_lshlrev_b32_e32 v42, 24, v42
	v_lshlrev_b32_e32 v58, 20, v58
	v_and_b32_e32 v42, 0x80000000, v42
	v_lshl_add_u32 v56, v56, 23, v55
	v_or3_b32 v42, v42, v56, v58
	v_lshrrev_b32_e32 v58, 16, v42
.LBB938_279:                            ;   in Loop: Header=BB938_215 Depth=1
	s_or_b64 exec, exec, s[18:19]
.LBB938_280:                            ;   in Loop: Header=BB938_215 Depth=1
	s_or_b64 exec, exec, s[16:17]
.LBB938_281:                            ;   in Loop: Header=BB938_215 Depth=1
	s_or_b64 exec, exec, s[14:15]
	v_cmp_lt_u32_e32 vcc, s24, v40
	v_mov_b32_e32 v59, 0
	v_mov_b32_e32 v60, 0
	s_and_saveexec_b64 s[14:15], vcc
	s_cbranch_execz .LBB938_287
; %bb.282:                              ;   in Loop: Header=BB938_215 Depth=1
	v_lshrrev_b32_e32 v42, 24, v40
	v_cmp_ne_u32_e32 vcc, s9, v42
	v_mov_b32_e32 v60, 0xffff8000
	s_and_saveexec_b64 s[16:17], vcc
	s_cbranch_execz .LBB938_286
; %bb.283:                              ;   in Loop: Header=BB938_215 Depth=1
	v_bfe_u32 v40, v40, 24, 7
	v_cmp_ne_u32_e32 vcc, s23, v40
	v_mov_b32_e32 v60, 0x7f80
	s_and_saveexec_b64 s[18:19], vcc
	s_cbranch_execz .LBB938_285
; %bb.284:                              ;   in Loop: Header=BB938_215 Depth=1
	v_and_b32_e32 v56, 7, v42
	v_ffbh_u32_e32 v60, v56
	v_min_u32_e32 v63, 32, v60
	v_subrev_u32_e32 v60, 28, v63
	v_lshlrev_b64 v[60:61], v60, v[42:43]
	v_lshrrev_b32_e32 v62, 3, v40
	v_sub_u32_e32 v61, 29, v63
	v_and_b32_e32 v60, 7, v60
	v_cmp_gt_u32_e32 vcc, 8, v40
	v_cndmask_b32_e32 v40, v62, v61, vcc
	v_cndmask_b32_e32 v56, v56, v60, vcc
	v_lshlrev_b32_e32 v42, 24, v42
	v_lshlrev_b32_e32 v56, 20, v56
	v_and_b32_e32 v42, 0x80000000, v42
	v_lshl_add_u32 v40, v40, 23, v55
	v_or3_b32 v40, v42, v40, v56
	v_lshrrev_b32_e32 v60, 16, v40
.LBB938_285:                            ;   in Loop: Header=BB938_215 Depth=1
	s_or_b64 exec, exec, s[18:19]
.LBB938_286:                            ;   in Loop: Header=BB938_215 Depth=1
	s_or_b64 exec, exec, s[16:17]
.LBB938_287:                            ;   in Loop: Header=BB938_215 Depth=1
	s_or_b64 exec, exec, s[14:15]
	s_waitcnt vmcnt(0)
	v_cmp_ne_u16_sdwa s[16:17], v38, v54 src0_sel:BYTE_0 src1_sel:DWORD
	s_and_saveexec_b64 s[14:15], s[16:17]
	s_cbranch_execz .LBB938_293
; %bb.288:                              ;   in Loop: Header=BB938_215 Depth=1
	v_cmp_ne_u16_sdwa s[18:19], v38, s9 src0_sel:BYTE_0 src1_sel:DWORD
	v_mov_b32_e32 v59, 0xffff8000
	s_and_saveexec_b64 s[16:17], s[18:19]
	s_cbranch_execz .LBB938_292
; %bb.289:                              ;   in Loop: Header=BB938_215 Depth=1
	v_and_b32_e32 v40, 0x7f, v38
	v_cmp_ne_u32_e32 vcc, s23, v40
	v_mov_b32_e32 v59, 0x7f80
	s_and_saveexec_b64 s[18:19], vcc
	s_cbranch_execz .LBB938_291
; %bb.290:                              ;   in Loop: Header=BB938_215 Depth=1
	v_and_b32_e32 v42, 7, v38
	v_ffbh_u32_e32 v59, v42
	v_min_u32_e32 v59, 32, v59
	v_subrev_u32_e32 v61, 28, v59
	v_lshlrev_b64 v[62:63], v61, v[38:39]
	v_lshrrev_b32_e32 v56, 3, v40
	v_sub_u32_e32 v59, 29, v59
	v_and_b32_e32 v61, 7, v62
	v_cmp_gt_u32_e32 vcc, 8, v40
	v_cndmask_b32_e32 v40, v56, v59, vcc
	v_cndmask_b32_e32 v42, v42, v61, vcc
	v_lshlrev_b32_e32 v56, 24, v38
	v_lshlrev_b32_e32 v42, 20, v42
	v_and_b32_e32 v56, 0x80000000, v56
	v_lshl_add_u32 v40, v40, 23, v55
	v_or3_b32 v40, v56, v40, v42
	v_lshrrev_b32_e32 v59, 16, v40
.LBB938_291:                            ;   in Loop: Header=BB938_215 Depth=1
	s_or_b64 exec, exec, s[18:19]
.LBB938_292:                            ;   in Loop: Header=BB938_215 Depth=1
	s_or_b64 exec, exec, s[16:17]
.LBB938_293:                            ;   in Loop: Header=BB938_215 Depth=1
	s_or_b64 exec, exec, s[14:15]
	v_lshrrev_b16_e32 v40, 8, v38
	v_cmp_ne_u16_e32 vcc, 0, v40
	v_mov_b32_e32 v62, 0
	v_mov_b32_e32 v61, 0
	s_and_saveexec_b64 s[14:15], vcc
	s_cbranch_execz .LBB938_299
; %bb.294:                              ;   in Loop: Header=BB938_215 Depth=1
	v_cmp_ne_u16_e32 vcc, s9, v40
	v_mov_b32_e32 v61, 0xffff8000
	s_and_saveexec_b64 s[16:17], vcc
	s_cbranch_execz .LBB938_298
; %bb.295:                              ;   in Loop: Header=BB938_215 Depth=1
	v_and_b32_e32 v42, 0x7f, v40
	v_cmp_ne_u32_e32 vcc, s23, v42
	v_mov_b32_e32 v61, 0x7f80
	s_and_saveexec_b64 s[18:19], vcc
	s_cbranch_execz .LBB938_297
; %bb.296:                              ;   in Loop: Header=BB938_215 Depth=1
	v_and_b32_e32 v56, 7, v40
	v_ffbh_u32_e32 v63, v56
	v_min_u32_e32 v63, 32, v63
	v_subrev_u32_e32 v64, 28, v63
	v_lshlrev_b64 v[64:65], v64, v[40:41]
	v_lshrrev_b32_e32 v61, 3, v42
	v_sub_u32_e32 v40, 29, v63
	v_and_b32_e32 v63, 7, v64
	v_cmp_gt_u32_e32 vcc, 8, v42
	v_cndmask_b32_e32 v40, v61, v40, vcc
	v_cndmask_b32_e32 v42, v56, v63, vcc
	v_lshlrev_b32_e32 v56, 16, v38
	v_lshlrev_b32_e32 v42, 20, v42
	v_and_b32_e32 v56, 0x80000000, v56
	v_lshl_add_u32 v40, v40, 23, v55
	v_or3_b32 v40, v56, v40, v42
	v_lshrrev_b32_e32 v61, 16, v40
.LBB938_297:                            ;   in Loop: Header=BB938_215 Depth=1
	s_or_b64 exec, exec, s[18:19]
.LBB938_298:                            ;   in Loop: Header=BB938_215 Depth=1
	s_or_b64 exec, exec, s[16:17]
.LBB938_299:                            ;   in Loop: Header=BB938_215 Depth=1
	s_or_b64 exec, exec, s[14:15]
	v_lshrrev_b32_e32 v40, 16, v38
	v_cmp_ne_u16_sdwa s[16:17], v40, v54 src0_sel:BYTE_0 src1_sel:DWORD
	s_and_saveexec_b64 s[14:15], s[16:17]
	s_cbranch_execz .LBB938_305
; %bb.300:                              ;   in Loop: Header=BB938_215 Depth=1
	v_cmp_ne_u16_sdwa s[18:19], v40, s9 src0_sel:BYTE_0 src1_sel:DWORD
	v_mov_b32_e32 v62, 0xffff8000
	s_and_saveexec_b64 s[16:17], s[18:19]
	s_cbranch_execz .LBB938_304
; %bb.301:                              ;   in Loop: Header=BB938_215 Depth=1
	v_bfe_u32 v42, v38, 16, 7
	v_cmp_ne_u32_e32 vcc, s23, v42
	v_mov_b32_e32 v62, 0x7f80
	s_and_saveexec_b64 s[18:19], vcc
	s_cbranch_execz .LBB938_303
; %bb.302:                              ;   in Loop: Header=BB938_215 Depth=1
	v_and_b32_e32 v56, 7, v40
	v_ffbh_u32_e32 v62, v56
	v_min_u32_e32 v65, 32, v62
	v_subrev_u32_e32 v62, 28, v65
	v_lshlrev_b64 v[62:63], v62, v[40:41]
	v_lshrrev_b32_e32 v64, 3, v42
	v_sub_u32_e32 v63, 29, v65
	v_and_b32_e32 v62, 7, v62
	v_cmp_gt_u32_e32 vcc, 8, v42
	v_cndmask_b32_e32 v42, v64, v63, vcc
	v_cndmask_b32_e32 v56, v56, v62, vcc
	v_lshlrev_b32_e32 v40, 24, v40
	v_lshlrev_b32_e32 v56, 20, v56
	v_and_b32_e32 v40, 0x80000000, v40
	v_lshl_add_u32 v42, v42, 23, v55
	v_or3_b32 v40, v40, v42, v56
	v_lshrrev_b32_e32 v62, 16, v40
.LBB938_303:                            ;   in Loop: Header=BB938_215 Depth=1
	s_or_b64 exec, exec, s[18:19]
.LBB938_304:                            ;   in Loop: Header=BB938_215 Depth=1
	s_or_b64 exec, exec, s[16:17]
.LBB938_305:                            ;   in Loop: Header=BB938_215 Depth=1
	s_or_b64 exec, exec, s[14:15]
	v_cmp_lt_u32_e32 vcc, s24, v38
	v_mov_b32_e32 v56, 0
	v_mov_b32_e32 v63, 0
	s_and_saveexec_b64 s[14:15], vcc
	s_cbranch_execz .LBB938_311
; %bb.306:                              ;   in Loop: Header=BB938_215 Depth=1
	v_lshrrev_b32_e32 v40, 24, v38
	v_cmp_ne_u32_e32 vcc, s9, v40
	v_mov_b32_e32 v63, 0xffff8000
	s_and_saveexec_b64 s[16:17], vcc
	s_cbranch_execz .LBB938_310
; %bb.307:                              ;   in Loop: Header=BB938_215 Depth=1
	v_bfe_u32 v38, v38, 24, 7
	v_cmp_ne_u32_e32 vcc, s23, v38
	v_mov_b32_e32 v63, 0x7f80
	s_and_saveexec_b64 s[18:19], vcc
	s_cbranch_execz .LBB938_309
; %bb.308:                              ;   in Loop: Header=BB938_215 Depth=1
	v_and_b32_e32 v42, 7, v40
	v_ffbh_u32_e32 v64, v42
	v_min_u32_e32 v66, 32, v64
	v_subrev_u32_e32 v64, 28, v66
	v_lshlrev_b64 v[64:65], v64, v[40:41]
	v_lshrrev_b32_e32 v63, 3, v38
	v_sub_u32_e32 v65, 29, v66
	v_and_b32_e32 v64, 7, v64
	v_cmp_gt_u32_e32 vcc, 8, v38
	v_cndmask_b32_e32 v38, v63, v65, vcc
	v_cndmask_b32_e32 v42, v42, v64, vcc
	v_lshlrev_b32_e32 v40, 24, v40
	v_lshlrev_b32_e32 v42, 20, v42
	v_and_b32_e32 v40, 0x80000000, v40
	v_lshl_add_u32 v38, v38, 23, v55
	v_or3_b32 v38, v40, v38, v42
	v_lshrrev_b32_e32 v63, 16, v38
.LBB938_309:                            ;   in Loop: Header=BB938_215 Depth=1
	s_or_b64 exec, exec, s[18:19]
.LBB938_310:                            ;   in Loop: Header=BB938_215 Depth=1
	s_or_b64 exec, exec, s[16:17]
.LBB938_311:                            ;   in Loop: Header=BB938_215 Depth=1
	s_or_b64 exec, exec, s[14:15]
	v_perm_b32 v64, v57, v44, s25
	buffer_load_dword v44, v46, s[0:3], 0 offen
	buffer_load_dword v42, v46, s[0:3], 0 offen offset:4
	buffer_load_dword v40, v46, s[0:3], 0 offen offset:8
	;; [unrolled: 1-line block ×3, first 2 shown]
	v_perm_b32 v65, v60, v58, s25
	v_perm_b32 v63, v63, v62, s25
	;; [unrolled: 1-line block ×3, first 2 shown]
	v_mfma_f32_16x16x16bf16_1k v[34:37], v[64:65], v[6:7], v[34:37]
	s_waitcnt vmcnt(3)
	v_cmp_ne_u16_sdwa s[16:17], v44, v54 src0_sel:BYTE_0 src1_sel:DWORD
	v_mfma_f32_16x16x16bf16_1k v[34:37], v[62:63], v[8:9], v[34:37]
	s_and_saveexec_b64 s[14:15], s[16:17]
	s_cbranch_execz .LBB938_317
; %bb.312:                              ;   in Loop: Header=BB938_215 Depth=1
	v_cmp_ne_u16_sdwa s[18:19], v44, s9 src0_sel:BYTE_0 src1_sel:DWORD
	v_mov_b32_e32 v56, 0xffff8000
	s_and_saveexec_b64 s[16:17], s[18:19]
	s_cbranch_execz .LBB938_316
; %bb.313:                              ;   in Loop: Header=BB938_215 Depth=1
	v_and_b32_e32 v46, 0x7f, v44
	v_cmp_ne_u32_e32 vcc, s23, v46
	v_mov_b32_e32 v56, 0x7f80
	s_and_saveexec_b64 s[18:19], vcc
	s_cbranch_execz .LBB938_315
; %bb.314:                              ;   in Loop: Header=BB938_215 Depth=1
	v_and_b32_e32 v58, 7, v44
	v_ffbh_u32_e32 v56, v58
	v_min_u32_e32 v60, 32, v56
	v_subrev_u32_e32 v56, 28, v60
	v_lshlrev_b64 v[56:57], v56, v[44:45]
	v_lshrrev_b32_e32 v59, 3, v46
	v_sub_u32_e32 v57, 29, v60
	v_and_b32_e32 v56, 7, v56
	v_cmp_gt_u32_e32 vcc, 8, v46
	v_cndmask_b32_e32 v46, v59, v57, vcc
	v_cndmask_b32_e32 v56, v58, v56, vcc
	v_lshlrev_b32_e32 v57, 24, v44
	v_lshlrev_b32_e32 v56, 20, v56
	v_and_b32_e32 v57, 0x80000000, v57
	v_lshl_add_u32 v46, v46, 23, v55
	v_or3_b32 v46, v57, v46, v56
	v_lshrrev_b32_e32 v56, 16, v46
.LBB938_315:                            ;   in Loop: Header=BB938_215 Depth=1
	s_or_b64 exec, exec, s[18:19]
.LBB938_316:                            ;   in Loop: Header=BB938_215 Depth=1
	s_or_b64 exec, exec, s[16:17]
.LBB938_317:                            ;   in Loop: Header=BB938_215 Depth=1
	s_or_b64 exec, exec, s[14:15]
	v_lshrrev_b16_e32 v46, 8, v44
	v_cmp_ne_u16_e32 vcc, 0, v46
	v_mov_b32_e32 v58, 0
	v_mov_b32_e32 v57, 0
	s_and_saveexec_b64 s[14:15], vcc
	s_cbranch_execz .LBB938_323
; %bb.318:                              ;   in Loop: Header=BB938_215 Depth=1
	v_cmp_ne_u16_e32 vcc, s9, v46
	v_mov_b32_e32 v57, 0xffff8000
	s_and_saveexec_b64 s[16:17], vcc
	s_cbranch_execz .LBB938_322
; %bb.319:                              ;   in Loop: Header=BB938_215 Depth=1
	v_and_b32_e32 v59, 0x7f, v46
	v_cmp_ne_u32_e32 vcc, s23, v59
	v_mov_b32_e32 v57, 0x7f80
	s_and_saveexec_b64 s[18:19], vcc
	s_cbranch_execz .LBB938_321
; %bb.320:                              ;   in Loop: Header=BB938_215 Depth=1
	v_and_b32_e32 v57, 7, v46
	v_ffbh_u32_e32 v60, v57
	v_min_u32_e32 v63, 32, v60
	v_subrev_u32_e32 v60, 28, v63
	v_lshlrev_b64 v[60:61], v60, v[46:47]
	v_lshrrev_b32_e32 v62, 3, v59
	v_sub_u32_e32 v46, 29, v63
	v_and_b32_e32 v60, 7, v60
	v_cmp_gt_u32_e32 vcc, 8, v59
	v_cndmask_b32_e32 v46, v62, v46, vcc
	v_cndmask_b32_e32 v57, v57, v60, vcc
	v_lshlrev_b32_e32 v59, 16, v44
	v_lshlrev_b32_e32 v57, 20, v57
	v_and_b32_e32 v59, 0x80000000, v59
	v_lshl_add_u32 v46, v46, 23, v55
	v_or3_b32 v46, v59, v46, v57
	v_lshrrev_b32_e32 v57, 16, v46
.LBB938_321:                            ;   in Loop: Header=BB938_215 Depth=1
	s_or_b64 exec, exec, s[18:19]
.LBB938_322:                            ;   in Loop: Header=BB938_215 Depth=1
	s_or_b64 exec, exec, s[16:17]
.LBB938_323:                            ;   in Loop: Header=BB938_215 Depth=1
	s_or_b64 exec, exec, s[14:15]
	v_lshrrev_b32_e32 v46, 16, v44
	v_cmp_ne_u16_sdwa s[16:17], v46, v54 src0_sel:BYTE_0 src1_sel:DWORD
	s_and_saveexec_b64 s[14:15], s[16:17]
	s_cbranch_execz .LBB938_329
; %bb.324:                              ;   in Loop: Header=BB938_215 Depth=1
	v_cmp_ne_u16_sdwa s[18:19], v46, s9 src0_sel:BYTE_0 src1_sel:DWORD
	v_mov_b32_e32 v58, 0xffff8000
	s_and_saveexec_b64 s[16:17], s[18:19]
	s_cbranch_execz .LBB938_328
; %bb.325:                              ;   in Loop: Header=BB938_215 Depth=1
	v_bfe_u32 v59, v44, 16, 7
	v_cmp_ne_u32_e32 vcc, s23, v59
	v_mov_b32_e32 v58, 0x7f80
	s_and_saveexec_b64 s[18:19], vcc
	s_cbranch_execz .LBB938_327
; %bb.326:                              ;   in Loop: Header=BB938_215 Depth=1
	v_and_b32_e32 v58, 7, v46
	v_ffbh_u32_e32 v60, v58
	v_min_u32_e32 v63, 32, v60
	v_subrev_u32_e32 v60, 28, v63
	v_lshlrev_b64 v[60:61], v60, v[46:47]
	v_lshrrev_b32_e32 v62, 3, v59
	v_sub_u32_e32 v61, 29, v63
	v_and_b32_e32 v60, 7, v60
	v_cmp_gt_u32_e32 vcc, 8, v59
	v_cndmask_b32_e32 v59, v62, v61, vcc
	v_cndmask_b32_e32 v58, v58, v60, vcc
	v_lshlrev_b32_e32 v46, 24, v46
	v_lshlrev_b32_e32 v58, 20, v58
	v_and_b32_e32 v46, 0x80000000, v46
	v_lshl_add_u32 v59, v59, 23, v55
	v_or3_b32 v46, v46, v59, v58
	v_lshrrev_b32_e32 v58, 16, v46
.LBB938_327:                            ;   in Loop: Header=BB938_215 Depth=1
	s_or_b64 exec, exec, s[18:19]
.LBB938_328:                            ;   in Loop: Header=BB938_215 Depth=1
	s_or_b64 exec, exec, s[16:17]
.LBB938_329:                            ;   in Loop: Header=BB938_215 Depth=1
	s_or_b64 exec, exec, s[14:15]
	v_cmp_lt_u32_e32 vcc, s24, v44
	v_mov_b32_e32 v59, 0
	v_mov_b32_e32 v60, 0
	s_and_saveexec_b64 s[14:15], vcc
	s_cbranch_execz .LBB938_335
; %bb.330:                              ;   in Loop: Header=BB938_215 Depth=1
	v_lshrrev_b32_e32 v46, 24, v44
	v_cmp_ne_u32_e32 vcc, s9, v46
	v_mov_b32_e32 v60, 0xffff8000
	s_and_saveexec_b64 s[16:17], vcc
	s_cbranch_execz .LBB938_334
; %bb.331:                              ;   in Loop: Header=BB938_215 Depth=1
	v_bfe_u32 v44, v44, 24, 7
	v_cmp_ne_u32_e32 vcc, s23, v44
	v_mov_b32_e32 v60, 0x7f80
	s_and_saveexec_b64 s[18:19], vcc
	s_cbranch_execz .LBB938_333
; %bb.332:                              ;   in Loop: Header=BB938_215 Depth=1
	v_and_b32_e32 v62, 7, v46
	v_ffbh_u32_e32 v60, v62
	v_min_u32_e32 v64, 32, v60
	v_subrev_u32_e32 v60, 28, v64
	v_lshlrev_b64 v[60:61], v60, v[46:47]
	v_lshrrev_b32_e32 v63, 3, v44
	v_sub_u32_e32 v61, 29, v64
	v_and_b32_e32 v60, 7, v60
	v_cmp_gt_u32_e32 vcc, 8, v44
	v_cndmask_b32_e32 v44, v63, v61, vcc
	v_cndmask_b32_e32 v60, v62, v60, vcc
	v_lshlrev_b32_e32 v46, 24, v46
	v_lshlrev_b32_e32 v60, 20, v60
	v_and_b32_e32 v46, 0x80000000, v46
	v_lshl_add_u32 v44, v44, 23, v55
	v_or3_b32 v44, v46, v44, v60
	v_lshrrev_b32_e32 v60, 16, v44
.LBB938_333:                            ;   in Loop: Header=BB938_215 Depth=1
	s_or_b64 exec, exec, s[18:19]
.LBB938_334:                            ;   in Loop: Header=BB938_215 Depth=1
	s_or_b64 exec, exec, s[16:17]
.LBB938_335:                            ;   in Loop: Header=BB938_215 Depth=1
	s_or_b64 exec, exec, s[14:15]
	s_waitcnt vmcnt(2)
	v_cmp_ne_u16_sdwa s[16:17], v42, v54 src0_sel:BYTE_0 src1_sel:DWORD
	s_and_saveexec_b64 s[14:15], s[16:17]
	s_cbranch_execz .LBB938_341
; %bb.336:                              ;   in Loop: Header=BB938_215 Depth=1
	v_cmp_ne_u16_sdwa s[18:19], v42, s9 src0_sel:BYTE_0 src1_sel:DWORD
	v_mov_b32_e32 v59, 0xffff8000
	s_and_saveexec_b64 s[16:17], s[18:19]
	s_cbranch_execz .LBB938_340
; %bb.337:                              ;   in Loop: Header=BB938_215 Depth=1
	v_and_b32_e32 v44, 0x7f, v42
	v_cmp_ne_u32_e32 vcc, s23, v44
	v_mov_b32_e32 v59, 0x7f80
	s_and_saveexec_b64 s[18:19], vcc
	s_cbranch_execz .LBB938_339
; %bb.338:                              ;   in Loop: Header=BB938_215 Depth=1
	v_and_b32_e32 v46, 7, v42
	v_ffbh_u32_e32 v61, v46
	v_min_u32_e32 v61, 32, v61
	v_subrev_u32_e32 v62, 28, v61
	v_lshlrev_b64 v[62:63], v62, v[42:43]
	v_lshrrev_b32_e32 v59, 3, v44
	v_sub_u32_e32 v61, 29, v61
	v_and_b32_e32 v62, 7, v62
	v_cmp_gt_u32_e32 vcc, 8, v44
	v_cndmask_b32_e32 v44, v59, v61, vcc
	v_cndmask_b32_e32 v46, v46, v62, vcc
	v_lshlrev_b32_e32 v59, 24, v42
	v_lshlrev_b32_e32 v46, 20, v46
	v_and_b32_e32 v59, 0x80000000, v59
	v_lshl_add_u32 v44, v44, 23, v55
	v_or3_b32 v44, v59, v44, v46
	v_lshrrev_b32_e32 v59, 16, v44
.LBB938_339:                            ;   in Loop: Header=BB938_215 Depth=1
	s_or_b64 exec, exec, s[18:19]
.LBB938_340:                            ;   in Loop: Header=BB938_215 Depth=1
	s_or_b64 exec, exec, s[16:17]
.LBB938_341:                            ;   in Loop: Header=BB938_215 Depth=1
	s_or_b64 exec, exec, s[14:15]
	v_lshrrev_b16_e32 v44, 8, v42
	v_cmp_ne_u16_e32 vcc, 0, v44
	v_mov_b32_e32 v62, 0
	v_mov_b32_e32 v61, 0
	s_and_saveexec_b64 s[14:15], vcc
	s_cbranch_execz .LBB938_347
; %bb.342:                              ;   in Loop: Header=BB938_215 Depth=1
	v_cmp_ne_u16_e32 vcc, s9, v44
	v_mov_b32_e32 v61, 0xffff8000
	s_and_saveexec_b64 s[16:17], vcc
	s_cbranch_execz .LBB938_346
; %bb.343:                              ;   in Loop: Header=BB938_215 Depth=1
	v_and_b32_e32 v46, 0x7f, v44
	v_cmp_ne_u32_e32 vcc, s23, v46
	v_mov_b32_e32 v61, 0x7f80
	s_and_saveexec_b64 s[18:19], vcc
	s_cbranch_execz .LBB938_345
; %bb.344:                              ;   in Loop: Header=BB938_215 Depth=1
	v_and_b32_e32 v61, 7, v44
	v_ffbh_u32_e32 v64, v61
	v_min_u32_e32 v66, 32, v64
	v_subrev_u32_e32 v64, 28, v66
	v_lshlrev_b64 v[64:65], v64, v[44:45]
	v_lshrrev_b32_e32 v63, 3, v46
	v_sub_u32_e32 v44, 29, v66
	v_and_b32_e32 v64, 7, v64
	v_cmp_gt_u32_e32 vcc, 8, v46
	v_cndmask_b32_e32 v44, v63, v44, vcc
	v_cndmask_b32_e32 v46, v61, v64, vcc
	v_lshlrev_b32_e32 v61, 16, v42
	v_lshlrev_b32_e32 v46, 20, v46
	v_and_b32_e32 v61, 0x80000000, v61
	v_lshl_add_u32 v44, v44, 23, v55
	v_or3_b32 v44, v61, v44, v46
	v_lshrrev_b32_e32 v61, 16, v44
.LBB938_345:                            ;   in Loop: Header=BB938_215 Depth=1
	s_or_b64 exec, exec, s[18:19]
.LBB938_346:                            ;   in Loop: Header=BB938_215 Depth=1
	s_or_b64 exec, exec, s[16:17]
.LBB938_347:                            ;   in Loop: Header=BB938_215 Depth=1
	s_or_b64 exec, exec, s[14:15]
	v_lshrrev_b32_e32 v44, 16, v42
	v_cmp_ne_u16_sdwa s[16:17], v44, v54 src0_sel:BYTE_0 src1_sel:DWORD
	s_and_saveexec_b64 s[14:15], s[16:17]
	s_cbranch_execz .LBB938_353
; %bb.348:                              ;   in Loop: Header=BB938_215 Depth=1
	v_cmp_ne_u16_sdwa s[18:19], v44, s9 src0_sel:BYTE_0 src1_sel:DWORD
	v_mov_b32_e32 v62, 0xffff8000
	s_and_saveexec_b64 s[16:17], s[18:19]
	s_cbranch_execz .LBB938_352
; %bb.349:                              ;   in Loop: Header=BB938_215 Depth=1
	v_bfe_u32 v46, v42, 16, 7
	v_cmp_ne_u32_e32 vcc, s23, v46
	v_mov_b32_e32 v62, 0x7f80
	s_and_saveexec_b64 s[18:19], vcc
	s_cbranch_execz .LBB938_351
; %bb.350:                              ;   in Loop: Header=BB938_215 Depth=1
	v_and_b32_e32 v64, 7, v44
	v_ffbh_u32_e32 v62, v64
	v_min_u32_e32 v66, 32, v62
	v_subrev_u32_e32 v62, 28, v66
	v_lshlrev_b64 v[62:63], v62, v[44:45]
	v_lshrrev_b32_e32 v65, 3, v46
	v_sub_u32_e32 v63, 29, v66
	v_and_b32_e32 v62, 7, v62
	v_cmp_gt_u32_e32 vcc, 8, v46
	v_cndmask_b32_e32 v46, v65, v63, vcc
	v_cndmask_b32_e32 v62, v64, v62, vcc
	v_lshlrev_b32_e32 v44, 24, v44
	v_lshlrev_b32_e32 v62, 20, v62
	v_and_b32_e32 v44, 0x80000000, v44
	v_lshl_add_u32 v46, v46, 23, v55
	v_or3_b32 v44, v44, v46, v62
	v_lshrrev_b32_e32 v62, 16, v44
.LBB938_351:                            ;   in Loop: Header=BB938_215 Depth=1
	s_or_b64 exec, exec, s[18:19]
.LBB938_352:                            ;   in Loop: Header=BB938_215 Depth=1
	s_or_b64 exec, exec, s[16:17]
.LBB938_353:                            ;   in Loop: Header=BB938_215 Depth=1
	s_or_b64 exec, exec, s[14:15]
	v_cmp_lt_u32_e32 vcc, s24, v42
	v_mov_b32_e32 v46, 0
	v_mov_b32_e32 v63, 0
	s_and_saveexec_b64 s[14:15], vcc
	s_cbranch_execz .LBB938_359
; %bb.354:                              ;   in Loop: Header=BB938_215 Depth=1
	v_lshrrev_b32_e32 v44, 24, v42
	v_cmp_ne_u32_e32 vcc, s9, v44
	v_mov_b32_e32 v63, 0xffff8000
	s_and_saveexec_b64 s[16:17], vcc
	s_cbranch_execz .LBB938_358
; %bb.355:                              ;   in Loop: Header=BB938_215 Depth=1
	v_bfe_u32 v42, v42, 24, 7
	v_cmp_ne_u32_e32 vcc, s23, v42
	v_mov_b32_e32 v63, 0x7f80
	s_and_saveexec_b64 s[18:19], vcc
	s_cbranch_execz .LBB938_357
; %bb.356:                              ;   in Loop: Header=BB938_215 Depth=1
	v_and_b32_e32 v63, 7, v44
	v_ffbh_u32_e32 v64, v63
	v_min_u32_e32 v67, 32, v64
	v_subrev_u32_e32 v64, 28, v67
	v_lshlrev_b64 v[64:65], v64, v[44:45]
	v_lshrrev_b32_e32 v66, 3, v42
	v_sub_u32_e32 v65, 29, v67
	v_and_b32_e32 v64, 7, v64
	v_cmp_gt_u32_e32 vcc, 8, v42
	v_cndmask_b32_e32 v42, v66, v65, vcc
	v_cndmask_b32_e32 v63, v63, v64, vcc
	v_lshlrev_b32_e32 v44, 24, v44
	v_lshlrev_b32_e32 v63, 20, v63
	v_and_b32_e32 v44, 0x80000000, v44
	v_lshl_add_u32 v42, v42, 23, v55
	v_or3_b32 v42, v44, v42, v63
	v_lshrrev_b32_e32 v63, 16, v42
.LBB938_357:                            ;   in Loop: Header=BB938_215 Depth=1
	s_or_b64 exec, exec, s[18:19]
.LBB938_358:                            ;   in Loop: Header=BB938_215 Depth=1
	s_or_b64 exec, exec, s[16:17]
.LBB938_359:                            ;   in Loop: Header=BB938_215 Depth=1
	s_or_b64 exec, exec, s[14:15]
	v_perm_b32 v65, v60, v58, s25
	v_perm_b32 v64, v57, v56, s25
	v_perm_b32 v57, v63, v62, s25
	v_perm_b32 v56, v61, v59, s25
	s_waitcnt vmcnt(1)
	v_cmp_ne_u16_sdwa s[16:17], v40, v54 src0_sel:BYTE_0 src1_sel:DWORD
	v_mfma_f32_16x16x16bf16_1k v[34:37], v[64:65], v[10:11], v[34:37]
	v_mfma_f32_16x16x16bf16_1k v[34:37], v[56:57], v[12:13], v[34:37]
	s_and_saveexec_b64 s[14:15], s[16:17]
	s_cbranch_execz .LBB938_365
; %bb.360:                              ;   in Loop: Header=BB938_215 Depth=1
	v_cmp_ne_u16_sdwa s[18:19], v40, s9 src0_sel:BYTE_0 src1_sel:DWORD
	v_mov_b32_e32 v46, 0xffff8000
	s_and_saveexec_b64 s[16:17], s[18:19]
	s_cbranch_execz .LBB938_364
; %bb.361:                              ;   in Loop: Header=BB938_215 Depth=1
	v_and_b32_e32 v42, 0x7f, v40
	v_cmp_ne_u32_e32 vcc, s23, v42
	v_mov_b32_e32 v46, 0x7f80
	s_and_saveexec_b64 s[18:19], vcc
	s_cbranch_execz .LBB938_363
; %bb.362:                              ;   in Loop: Header=BB938_215 Depth=1
	v_and_b32_e32 v44, 7, v40
	v_ffbh_u32_e32 v56, v44
	v_min_u32_e32 v58, 32, v56
	v_subrev_u32_e32 v56, 28, v58
	v_lshlrev_b64 v[56:57], v56, v[40:41]
	v_lshrrev_b32_e32 v46, 3, v42
	v_sub_u32_e32 v57, 29, v58
	v_and_b32_e32 v56, 7, v56
	v_cmp_gt_u32_e32 vcc, 8, v42
	v_cndmask_b32_e32 v42, v46, v57, vcc
	v_cndmask_b32_e32 v44, v44, v56, vcc
	v_lshlrev_b32_e32 v46, 24, v40
	v_lshlrev_b32_e32 v44, 20, v44
	v_and_b32_e32 v46, 0x80000000, v46
	v_lshl_add_u32 v42, v42, 23, v55
	v_or3_b32 v42, v46, v42, v44
	v_lshrrev_b32_e32 v46, 16, v42
.LBB938_363:                            ;   in Loop: Header=BB938_215 Depth=1
	s_or_b64 exec, exec, s[18:19]
.LBB938_364:                            ;   in Loop: Header=BB938_215 Depth=1
	s_or_b64 exec, exec, s[16:17]
.LBB938_365:                            ;   in Loop: Header=BB938_215 Depth=1
	s_or_b64 exec, exec, s[14:15]
	v_lshrrev_b16_e32 v42, 8, v40
	v_cmp_ne_u16_e32 vcc, 0, v42
	v_mov_b32_e32 v57, 0
	v_mov_b32_e32 v44, 0
	s_and_saveexec_b64 s[14:15], vcc
	s_cbranch_execz .LBB938_371
; %bb.366:                              ;   in Loop: Header=BB938_215 Depth=1
	v_cmp_ne_u16_e32 vcc, s9, v42
	v_mov_b32_e32 v44, 0xffff8000
	s_and_saveexec_b64 s[16:17], vcc
	s_cbranch_execz .LBB938_370
; %bb.367:                              ;   in Loop: Header=BB938_215 Depth=1
	v_and_b32_e32 v56, 0x7f, v42
	v_cmp_ne_u32_e32 vcc, s23, v56
	v_mov_b32_e32 v44, 0x7f80
	s_and_saveexec_b64 s[18:19], vcc
	s_cbranch_execz .LBB938_369
; %bb.368:                              ;   in Loop: Header=BB938_215 Depth=1
	v_and_b32_e32 v44, 7, v42
	v_ffbh_u32_e32 v58, v44
	v_min_u32_e32 v61, 32, v58
	v_subrev_u32_e32 v58, 28, v61
	v_lshlrev_b64 v[58:59], v58, v[42:43]
	v_lshrrev_b32_e32 v60, 3, v56
	v_sub_u32_e32 v42, 29, v61
	v_and_b32_e32 v58, 7, v58
	v_cmp_gt_u32_e32 vcc, 8, v56
	v_cndmask_b32_e32 v42, v60, v42, vcc
	v_cndmask_b32_e32 v44, v44, v58, vcc
	v_lshlrev_b32_e32 v56, 16, v40
	v_lshlrev_b32_e32 v44, 20, v44
	v_and_b32_e32 v56, 0x80000000, v56
	v_lshl_add_u32 v42, v42, 23, v55
	v_or3_b32 v42, v56, v42, v44
	v_lshrrev_b32_e32 v44, 16, v42
.LBB938_369:                            ;   in Loop: Header=BB938_215 Depth=1
	s_or_b64 exec, exec, s[18:19]
.LBB938_370:                            ;   in Loop: Header=BB938_215 Depth=1
	s_or_b64 exec, exec, s[16:17]
.LBB938_371:                            ;   in Loop: Header=BB938_215 Depth=1
	s_or_b64 exec, exec, s[14:15]
	v_lshrrev_b32_e32 v42, 16, v40
	v_cmp_ne_u16_sdwa s[16:17], v42, v54 src0_sel:BYTE_0 src1_sel:DWORD
	s_and_saveexec_b64 s[14:15], s[16:17]
	s_cbranch_execz .LBB938_377
; %bb.372:                              ;   in Loop: Header=BB938_215 Depth=1
	v_cmp_ne_u16_sdwa s[18:19], v42, s9 src0_sel:BYTE_0 src1_sel:DWORD
	v_mov_b32_e32 v57, 0xffff8000
	s_and_saveexec_b64 s[16:17], s[18:19]
	s_cbranch_execz .LBB938_376
; %bb.373:                              ;   in Loop: Header=BB938_215 Depth=1
	v_bfe_u32 v56, v40, 16, 7
	v_cmp_ne_u32_e32 vcc, s23, v56
	v_mov_b32_e32 v57, 0x7f80
	s_and_saveexec_b64 s[18:19], vcc
	s_cbranch_execz .LBB938_375
; %bb.374:                              ;   in Loop: Header=BB938_215 Depth=1
	v_and_b32_e32 v57, 7, v42
	v_ffbh_u32_e32 v58, v57
	v_min_u32_e32 v61, 32, v58
	v_subrev_u32_e32 v58, 28, v61
	v_lshlrev_b64 v[58:59], v58, v[42:43]
	v_lshrrev_b32_e32 v60, 3, v56
	v_sub_u32_e32 v59, 29, v61
	v_and_b32_e32 v58, 7, v58
	v_cmp_gt_u32_e32 vcc, 8, v56
	v_cndmask_b32_e32 v56, v60, v59, vcc
	v_cndmask_b32_e32 v57, v57, v58, vcc
	v_lshlrev_b32_e32 v42, 24, v42
	v_lshlrev_b32_e32 v57, 20, v57
	v_and_b32_e32 v42, 0x80000000, v42
	v_lshl_add_u32 v56, v56, 23, v55
	v_or3_b32 v42, v42, v56, v57
	v_lshrrev_b32_e32 v57, 16, v42
.LBB938_375:                            ;   in Loop: Header=BB938_215 Depth=1
	s_or_b64 exec, exec, s[18:19]
.LBB938_376:                            ;   in Loop: Header=BB938_215 Depth=1
	s_or_b64 exec, exec, s[16:17]
.LBB938_377:                            ;   in Loop: Header=BB938_215 Depth=1
	s_or_b64 exec, exec, s[14:15]
	v_cmp_lt_u32_e32 vcc, s24, v40
	v_mov_b32_e32 v58, 0
	v_mov_b32_e32 v59, 0
	s_and_saveexec_b64 s[14:15], vcc
	s_cbranch_execz .LBB938_383
; %bb.378:                              ;   in Loop: Header=BB938_215 Depth=1
	v_lshrrev_b32_e32 v42, 24, v40
	v_cmp_ne_u32_e32 vcc, s9, v42
	v_mov_b32_e32 v59, 0xffff8000
	s_and_saveexec_b64 s[16:17], vcc
	s_cbranch_execz .LBB938_382
; %bb.379:                              ;   in Loop: Header=BB938_215 Depth=1
	v_bfe_u32 v40, v40, 24, 7
	v_cmp_ne_u32_e32 vcc, s23, v40
	v_mov_b32_e32 v59, 0x7f80
	s_and_saveexec_b64 s[18:19], vcc
	s_cbranch_execz .LBB938_381
; %bb.380:                              ;   in Loop: Header=BB938_215 Depth=1
	v_and_b32_e32 v56, 7, v42
	v_ffbh_u32_e32 v60, v56
	v_min_u32_e32 v62, 32, v60
	v_subrev_u32_e32 v60, 28, v62
	v_lshlrev_b64 v[60:61], v60, v[42:43]
	v_lshrrev_b32_e32 v59, 3, v40
	v_sub_u32_e32 v61, 29, v62
	v_and_b32_e32 v60, 7, v60
	v_cmp_gt_u32_e32 vcc, 8, v40
	v_cndmask_b32_e32 v40, v59, v61, vcc
	v_cndmask_b32_e32 v56, v56, v60, vcc
	v_lshlrev_b32_e32 v42, 24, v42
	v_lshlrev_b32_e32 v56, 20, v56
	v_and_b32_e32 v42, 0x80000000, v42
	v_lshl_add_u32 v40, v40, 23, v55
	v_or3_b32 v40, v42, v40, v56
	v_lshrrev_b32_e32 v59, 16, v40
.LBB938_381:                            ;   in Loop: Header=BB938_215 Depth=1
	s_or_b64 exec, exec, s[18:19]
.LBB938_382:                            ;   in Loop: Header=BB938_215 Depth=1
	s_or_b64 exec, exec, s[16:17]
.LBB938_383:                            ;   in Loop: Header=BB938_215 Depth=1
	s_or_b64 exec, exec, s[14:15]
	s_waitcnt vmcnt(0)
	v_cmp_ne_u16_sdwa s[16:17], v38, v54 src0_sel:BYTE_0 src1_sel:DWORD
	s_and_saveexec_b64 s[14:15], s[16:17]
	s_cbranch_execz .LBB938_389
; %bb.384:                              ;   in Loop: Header=BB938_215 Depth=1
	v_cmp_ne_u16_sdwa s[18:19], v38, s9 src0_sel:BYTE_0 src1_sel:DWORD
	v_mov_b32_e32 v58, 0xffff8000
	s_and_saveexec_b64 s[16:17], s[18:19]
	s_cbranch_execz .LBB938_388
; %bb.385:                              ;   in Loop: Header=BB938_215 Depth=1
	v_and_b32_e32 v40, 0x7f, v38
	v_cmp_ne_u32_e32 vcc, s23, v40
	v_mov_b32_e32 v58, 0x7f80
	s_and_saveexec_b64 s[18:19], vcc
	s_cbranch_execz .LBB938_387
; %bb.386:                              ;   in Loop: Header=BB938_215 Depth=1
	v_and_b32_e32 v42, 7, v38
	v_ffbh_u32_e32 v58, v42
	v_min_u32_e32 v58, 32, v58
	v_subrev_u32_e32 v60, 28, v58
	v_lshlrev_b64 v[60:61], v60, v[38:39]
	v_lshrrev_b32_e32 v56, 3, v40
	v_sub_u32_e32 v58, 29, v58
	v_and_b32_e32 v60, 7, v60
	v_cmp_gt_u32_e32 vcc, 8, v40
	v_cndmask_b32_e32 v40, v56, v58, vcc
	v_cndmask_b32_e32 v42, v42, v60, vcc
	v_lshlrev_b32_e32 v56, 24, v38
	v_lshlrev_b32_e32 v42, 20, v42
	v_and_b32_e32 v56, 0x80000000, v56
	v_lshl_add_u32 v40, v40, 23, v55
	v_or3_b32 v40, v56, v40, v42
	v_lshrrev_b32_e32 v58, 16, v40
.LBB938_387:                            ;   in Loop: Header=BB938_215 Depth=1
	s_or_b64 exec, exec, s[18:19]
.LBB938_388:                            ;   in Loop: Header=BB938_215 Depth=1
	s_or_b64 exec, exec, s[16:17]
.LBB938_389:                            ;   in Loop: Header=BB938_215 Depth=1
	s_or_b64 exec, exec, s[14:15]
	v_lshrrev_b16_e32 v40, 8, v38
	v_cmp_ne_u16_e32 vcc, 0, v40
	v_mov_b32_e32 v61, 0
	v_mov_b32_e32 v60, 0
	s_and_saveexec_b64 s[14:15], vcc
	s_cbranch_execz .LBB938_395
; %bb.390:                              ;   in Loop: Header=BB938_215 Depth=1
	v_cmp_ne_u16_e32 vcc, s9, v40
	v_mov_b32_e32 v60, 0xffff8000
	s_and_saveexec_b64 s[16:17], vcc
	s_cbranch_execz .LBB938_394
; %bb.391:                              ;   in Loop: Header=BB938_215 Depth=1
	v_and_b32_e32 v42, 0x7f, v40
	v_cmp_ne_u32_e32 vcc, s23, v42
	v_mov_b32_e32 v60, 0x7f80
	s_and_saveexec_b64 s[18:19], vcc
	s_cbranch_execz .LBB938_393
; %bb.392:                              ;   in Loop: Header=BB938_215 Depth=1
	v_and_b32_e32 v56, 7, v40
	v_ffbh_u32_e32 v62, v56
	v_min_u32_e32 v64, 32, v62
	v_subrev_u32_e32 v62, 28, v64
	v_lshlrev_b64 v[62:63], v62, v[40:41]
	v_lshrrev_b32_e32 v60, 3, v42
	v_sub_u32_e32 v40, 29, v64
	v_and_b32_e32 v62, 7, v62
	v_cmp_gt_u32_e32 vcc, 8, v42
	v_cndmask_b32_e32 v40, v60, v40, vcc
	v_cndmask_b32_e32 v42, v56, v62, vcc
	v_lshlrev_b32_e32 v56, 16, v38
	v_lshlrev_b32_e32 v42, 20, v42
	v_and_b32_e32 v56, 0x80000000, v56
	v_lshl_add_u32 v40, v40, 23, v55
	v_or3_b32 v40, v56, v40, v42
	v_lshrrev_b32_e32 v60, 16, v40
.LBB938_393:                            ;   in Loop: Header=BB938_215 Depth=1
	s_or_b64 exec, exec, s[18:19]
.LBB938_394:                            ;   in Loop: Header=BB938_215 Depth=1
	s_or_b64 exec, exec, s[16:17]
.LBB938_395:                            ;   in Loop: Header=BB938_215 Depth=1
	s_or_b64 exec, exec, s[14:15]
	v_lshrrev_b32_e32 v40, 16, v38
	v_cmp_ne_u16_sdwa s[16:17], v40, v54 src0_sel:BYTE_0 src1_sel:DWORD
	s_and_saveexec_b64 s[14:15], s[16:17]
	s_cbranch_execz .LBB938_401
; %bb.396:                              ;   in Loop: Header=BB938_215 Depth=1
	v_cmp_ne_u16_sdwa s[18:19], v40, s9 src0_sel:BYTE_0 src1_sel:DWORD
	v_mov_b32_e32 v61, 0xffff8000
	s_and_saveexec_b64 s[16:17], s[18:19]
	s_cbranch_execz .LBB938_400
; %bb.397:                              ;   in Loop: Header=BB938_215 Depth=1
	v_bfe_u32 v42, v38, 16, 7
	v_cmp_ne_u32_e32 vcc, s23, v42
	v_mov_b32_e32 v61, 0x7f80
	s_and_saveexec_b64 s[18:19], vcc
	s_cbranch_execz .LBB938_399
; %bb.398:                              ;   in Loop: Header=BB938_215 Depth=1
	v_and_b32_e32 v56, 7, v40
	v_ffbh_u32_e32 v62, v56
	v_min_u32_e32 v64, 32, v62
	v_subrev_u32_e32 v62, 28, v64
	v_lshlrev_b64 v[62:63], v62, v[40:41]
	v_lshrrev_b32_e32 v61, 3, v42
	v_sub_u32_e32 v63, 29, v64
	v_and_b32_e32 v62, 7, v62
	v_cmp_gt_u32_e32 vcc, 8, v42
	v_cndmask_b32_e32 v42, v61, v63, vcc
	v_cndmask_b32_e32 v56, v56, v62, vcc
	v_lshlrev_b32_e32 v40, 24, v40
	v_lshlrev_b32_e32 v56, 20, v56
	v_and_b32_e32 v40, 0x80000000, v40
	v_lshl_add_u32 v42, v42, 23, v55
	v_or3_b32 v40, v40, v42, v56
	v_lshrrev_b32_e32 v61, 16, v40
.LBB938_399:                            ;   in Loop: Header=BB938_215 Depth=1
	s_or_b64 exec, exec, s[18:19]
.LBB938_400:                            ;   in Loop: Header=BB938_215 Depth=1
	s_or_b64 exec, exec, s[16:17]
.LBB938_401:                            ;   in Loop: Header=BB938_215 Depth=1
	s_or_b64 exec, exec, s[14:15]
	v_cmp_lt_u32_e32 vcc, s24, v38
	v_mov_b32_e32 v56, 0
	v_mov_b32_e32 v62, 0
	s_and_saveexec_b64 s[14:15], vcc
	s_cbranch_execz .LBB938_407
; %bb.402:                              ;   in Loop: Header=BB938_215 Depth=1
	v_lshrrev_b32_e32 v40, 24, v38
	v_cmp_ne_u32_e32 vcc, s9, v40
	v_mov_b32_e32 v62, 0xffff8000
	s_and_saveexec_b64 s[16:17], vcc
	s_cbranch_execz .LBB938_406
; %bb.403:                              ;   in Loop: Header=BB938_215 Depth=1
	v_bfe_u32 v38, v38, 24, 7
	v_cmp_ne_u32_e32 vcc, s23, v38
	v_mov_b32_e32 v62, 0x7f80
	s_and_saveexec_b64 s[18:19], vcc
	s_cbranch_execz .LBB938_405
; %bb.404:                              ;   in Loop: Header=BB938_215 Depth=1
	v_and_b32_e32 v42, 7, v40
	v_ffbh_u32_e32 v62, v42
	v_min_u32_e32 v65, 32, v62
	v_subrev_u32_e32 v62, 28, v65
	v_lshlrev_b64 v[62:63], v62, v[40:41]
	v_lshrrev_b32_e32 v64, 3, v38
	v_sub_u32_e32 v63, 29, v65
	v_and_b32_e32 v62, 7, v62
	v_cmp_gt_u32_e32 vcc, 8, v38
	v_cndmask_b32_e32 v38, v64, v63, vcc
	v_cndmask_b32_e32 v42, v42, v62, vcc
	v_lshlrev_b32_e32 v40, 24, v40
	v_lshlrev_b32_e32 v42, 20, v42
	v_and_b32_e32 v40, 0x80000000, v40
	v_lshl_add_u32 v38, v38, 23, v55
	v_or3_b32 v38, v40, v38, v42
	v_lshrrev_b32_e32 v62, 16, v38
.LBB938_405:                            ;   in Loop: Header=BB938_215 Depth=1
	s_or_b64 exec, exec, s[18:19]
.LBB938_406:                            ;   in Loop: Header=BB938_215 Depth=1
	s_or_b64 exec, exec, s[16:17]
.LBB938_407:                            ;   in Loop: Header=BB938_215 Depth=1
	s_or_b64 exec, exec, s[14:15]
	v_perm_b32 v64, v44, v46, s25
	buffer_load_dword v44, v51, s[0:3], 0 offen
	buffer_load_dword v42, v51, s[0:3], 0 offen offset:4
	buffer_load_dword v40, v51, s[0:3], 0 offen offset:8
	;; [unrolled: 1-line block ×3, first 2 shown]
	v_perm_b32 v65, v59, v57, s25
	v_perm_b32 v59, v62, v61, s25
	;; [unrolled: 1-line block ×3, first 2 shown]
	v_mfma_f32_16x16x16bf16_1k v[34:37], v[64:65], v[14:15], v[34:37]
	s_waitcnt vmcnt(3)
	v_cmp_ne_u16_sdwa s[16:17], v44, v54 src0_sel:BYTE_0 src1_sel:DWORD
	v_mfma_f32_16x16x16bf16_1k v[34:37], v[58:59], v[16:17], v[34:37]
	s_and_saveexec_b64 s[14:15], s[16:17]
	s_cbranch_execz .LBB938_413
; %bb.408:                              ;   in Loop: Header=BB938_215 Depth=1
	v_cmp_ne_u16_sdwa s[18:19], v44, s9 src0_sel:BYTE_0 src1_sel:DWORD
	v_mov_b32_e32 v56, 0xffff8000
	s_and_saveexec_b64 s[16:17], s[18:19]
	s_cbranch_execz .LBB938_412
; %bb.409:                              ;   in Loop: Header=BB938_215 Depth=1
	v_and_b32_e32 v46, 0x7f, v44
	v_cmp_ne_u32_e32 vcc, s23, v46
	v_mov_b32_e32 v56, 0x7f80
	s_and_saveexec_b64 s[18:19], vcc
	s_cbranch_execz .LBB938_411
; %bb.410:                              ;   in Loop: Header=BB938_215 Depth=1
	v_and_b32_e32 v51, 7, v44
	v_ffbh_u32_e32 v56, v51
	v_min_u32_e32 v59, 32, v56
	v_subrev_u32_e32 v56, 28, v59
	v_lshlrev_b64 v[56:57], v56, v[44:45]
	v_lshrrev_b32_e32 v58, 3, v46
	v_sub_u32_e32 v57, 29, v59
	v_and_b32_e32 v56, 7, v56
	v_cmp_gt_u32_e32 vcc, 8, v46
	v_cndmask_b32_e32 v46, v58, v57, vcc
	v_cndmask_b32_e32 v51, v51, v56, vcc
	v_lshlrev_b32_e32 v56, 24, v44
	v_lshlrev_b32_e32 v51, 20, v51
	v_and_b32_e32 v56, 0x80000000, v56
	v_lshl_add_u32 v46, v46, 23, v55
	v_or3_b32 v46, v56, v46, v51
	v_lshrrev_b32_e32 v56, 16, v46
.LBB938_411:                            ;   in Loop: Header=BB938_215 Depth=1
	s_or_b64 exec, exec, s[18:19]
.LBB938_412:                            ;   in Loop: Header=BB938_215 Depth=1
	s_or_b64 exec, exec, s[16:17]
.LBB938_413:                            ;   in Loop: Header=BB938_215 Depth=1
	s_or_b64 exec, exec, s[14:15]
	v_lshrrev_b16_e32 v46, 8, v44
	v_cmp_ne_u16_e32 vcc, 0, v46
	v_mov_b32_e32 v57, 0
	v_mov_b32_e32 v51, 0
	s_and_saveexec_b64 s[14:15], vcc
	s_cbranch_execz .LBB938_419
; %bb.414:                              ;   in Loop: Header=BB938_215 Depth=1
	v_cmp_ne_u16_e32 vcc, s9, v46
	v_mov_b32_e32 v51, 0xffff8000
	s_and_saveexec_b64 s[16:17], vcc
	s_cbranch_execz .LBB938_418
; %bb.415:                              ;   in Loop: Header=BB938_215 Depth=1
	v_and_b32_e32 v58, 0x7f, v46
	v_cmp_ne_u32_e32 vcc, s23, v58
	v_mov_b32_e32 v51, 0x7f80
	s_and_saveexec_b64 s[18:19], vcc
	s_cbranch_execz .LBB938_417
; %bb.416:                              ;   in Loop: Header=BB938_215 Depth=1
	v_and_b32_e32 v51, 7, v46
	v_ffbh_u32_e32 v60, v51
	v_min_u32_e32 v62, 32, v60
	v_subrev_u32_e32 v60, 28, v62
	v_lshlrev_b64 v[60:61], v60, v[46:47]
	v_lshrrev_b32_e32 v59, 3, v58
	v_sub_u32_e32 v46, 29, v62
	v_and_b32_e32 v60, 7, v60
	v_cmp_gt_u32_e32 vcc, 8, v58
	v_cndmask_b32_e32 v46, v59, v46, vcc
	v_cndmask_b32_e32 v51, v51, v60, vcc
	v_lshlrev_b32_e32 v58, 16, v44
	v_lshlrev_b32_e32 v51, 20, v51
	v_and_b32_e32 v58, 0x80000000, v58
	v_lshl_add_u32 v46, v46, 23, v55
	v_or3_b32 v46, v58, v46, v51
	v_lshrrev_b32_e32 v51, 16, v46
.LBB938_417:                            ;   in Loop: Header=BB938_215 Depth=1
	s_or_b64 exec, exec, s[18:19]
.LBB938_418:                            ;   in Loop: Header=BB938_215 Depth=1
	s_or_b64 exec, exec, s[16:17]
.LBB938_419:                            ;   in Loop: Header=BB938_215 Depth=1
	s_or_b64 exec, exec, s[14:15]
	v_lshrrev_b32_e32 v46, 16, v44
	v_cmp_ne_u16_sdwa s[16:17], v46, v54 src0_sel:BYTE_0 src1_sel:DWORD
	s_and_saveexec_b64 s[14:15], s[16:17]
	s_cbranch_execz .LBB938_425
; %bb.420:                              ;   in Loop: Header=BB938_215 Depth=1
	v_cmp_ne_u16_sdwa s[18:19], v46, s9 src0_sel:BYTE_0 src1_sel:DWORD
	v_mov_b32_e32 v57, 0xffff8000
	s_and_saveexec_b64 s[16:17], s[18:19]
	s_cbranch_execz .LBB938_424
; %bb.421:                              ;   in Loop: Header=BB938_215 Depth=1
	v_bfe_u32 v58, v44, 16, 7
	v_cmp_ne_u32_e32 vcc, s23, v58
	v_mov_b32_e32 v57, 0x7f80
	s_and_saveexec_b64 s[18:19], vcc
	s_cbranch_execz .LBB938_423
; %bb.422:                              ;   in Loop: Header=BB938_215 Depth=1
	v_and_b32_e32 v57, 7, v46
	v_ffbh_u32_e32 v60, v57
	v_min_u32_e32 v62, 32, v60
	v_subrev_u32_e32 v60, 28, v62
	v_lshlrev_b64 v[60:61], v60, v[46:47]
	v_lshrrev_b32_e32 v59, 3, v58
	v_sub_u32_e32 v61, 29, v62
	v_and_b32_e32 v60, 7, v60
	v_cmp_gt_u32_e32 vcc, 8, v58
	v_cndmask_b32_e32 v58, v59, v61, vcc
	v_cndmask_b32_e32 v57, v57, v60, vcc
	v_lshlrev_b32_e32 v46, 24, v46
	v_lshlrev_b32_e32 v57, 20, v57
	v_and_b32_e32 v46, 0x80000000, v46
	v_lshl_add_u32 v58, v58, 23, v55
	v_or3_b32 v46, v46, v58, v57
	v_lshrrev_b32_e32 v57, 16, v46
.LBB938_423:                            ;   in Loop: Header=BB938_215 Depth=1
	s_or_b64 exec, exec, s[18:19]
.LBB938_424:                            ;   in Loop: Header=BB938_215 Depth=1
	s_or_b64 exec, exec, s[16:17]
.LBB938_425:                            ;   in Loop: Header=BB938_215 Depth=1
	s_or_b64 exec, exec, s[14:15]
	v_cmp_lt_u32_e32 vcc, s24, v44
	v_mov_b32_e32 v58, 0
	v_mov_b32_e32 v59, 0
	s_and_saveexec_b64 s[14:15], vcc
	s_cbranch_execz .LBB938_431
; %bb.426:                              ;   in Loop: Header=BB938_215 Depth=1
	v_lshrrev_b32_e32 v46, 24, v44
	v_cmp_ne_u32_e32 vcc, s9, v46
	v_mov_b32_e32 v59, 0xffff8000
	s_and_saveexec_b64 s[16:17], vcc
	s_cbranch_execz .LBB938_430
; %bb.427:                              ;   in Loop: Header=BB938_215 Depth=1
	v_bfe_u32 v44, v44, 24, 7
	v_cmp_ne_u32_e32 vcc, s23, v44
	v_mov_b32_e32 v59, 0x7f80
	s_and_saveexec_b64 s[18:19], vcc
	s_cbranch_execz .LBB938_429
; %bb.428:                              ;   in Loop: Header=BB938_215 Depth=1
	v_and_b32_e32 v59, 7, v46
	v_ffbh_u32_e32 v60, v59
	v_min_u32_e32 v63, 32, v60
	v_subrev_u32_e32 v60, 28, v63
	v_lshlrev_b64 v[60:61], v60, v[46:47]
	v_lshrrev_b32_e32 v62, 3, v44
	v_sub_u32_e32 v61, 29, v63
	v_and_b32_e32 v60, 7, v60
	v_cmp_gt_u32_e32 vcc, 8, v44
	v_cndmask_b32_e32 v44, v62, v61, vcc
	v_cndmask_b32_e32 v59, v59, v60, vcc
	v_lshlrev_b32_e32 v46, 24, v46
	v_lshlrev_b32_e32 v59, 20, v59
	v_and_b32_e32 v46, 0x80000000, v46
	v_lshl_add_u32 v44, v44, 23, v55
	v_or3_b32 v44, v46, v44, v59
	v_lshrrev_b32_e32 v59, 16, v44
.LBB938_429:                            ;   in Loop: Header=BB938_215 Depth=1
	s_or_b64 exec, exec, s[18:19]
.LBB938_430:                            ;   in Loop: Header=BB938_215 Depth=1
	s_or_b64 exec, exec, s[16:17]
.LBB938_431:                            ;   in Loop: Header=BB938_215 Depth=1
	s_or_b64 exec, exec, s[14:15]
	s_waitcnt vmcnt(2)
	v_cmp_ne_u16_sdwa s[16:17], v42, v54 src0_sel:BYTE_0 src1_sel:DWORD
	s_and_saveexec_b64 s[14:15], s[16:17]
	s_cbranch_execz .LBB938_437
; %bb.432:                              ;   in Loop: Header=BB938_215 Depth=1
	v_cmp_ne_u16_sdwa s[18:19], v42, s9 src0_sel:BYTE_0 src1_sel:DWORD
	v_mov_b32_e32 v58, 0xffff8000
	s_and_saveexec_b64 s[16:17], s[18:19]
	s_cbranch_execz .LBB938_436
; %bb.433:                              ;   in Loop: Header=BB938_215 Depth=1
	v_and_b32_e32 v44, 0x7f, v42
	v_cmp_ne_u32_e32 vcc, s23, v44
	v_mov_b32_e32 v58, 0x7f80
	s_and_saveexec_b64 s[18:19], vcc
	s_cbranch_execz .LBB938_435
; %bb.434:                              ;   in Loop: Header=BB938_215 Depth=1
	v_and_b32_e32 v46, 7, v42
	v_ffbh_u32_e32 v60, v46
	v_min_u32_e32 v62, 32, v60
	v_subrev_u32_e32 v60, 28, v62
	v_lshlrev_b64 v[60:61], v60, v[42:43]
	v_lshrrev_b32_e32 v58, 3, v44
	v_sub_u32_e32 v61, 29, v62
	v_and_b32_e32 v60, 7, v60
	v_cmp_gt_u32_e32 vcc, 8, v44
	v_cndmask_b32_e32 v44, v58, v61, vcc
	v_cndmask_b32_e32 v46, v46, v60, vcc
	v_lshlrev_b32_e32 v58, 24, v42
	v_lshlrev_b32_e32 v46, 20, v46
	v_and_b32_e32 v58, 0x80000000, v58
	v_lshl_add_u32 v44, v44, 23, v55
	v_or3_b32 v44, v58, v44, v46
	v_lshrrev_b32_e32 v58, 16, v44
.LBB938_435:                            ;   in Loop: Header=BB938_215 Depth=1
	s_or_b64 exec, exec, s[18:19]
.LBB938_436:                            ;   in Loop: Header=BB938_215 Depth=1
	s_or_b64 exec, exec, s[16:17]
.LBB938_437:                            ;   in Loop: Header=BB938_215 Depth=1
	s_or_b64 exec, exec, s[14:15]
	v_lshrrev_b16_e32 v44, 8, v42
	v_cmp_ne_u16_e32 vcc, 0, v44
	v_mov_b32_e32 v61, 0
	v_mov_b32_e32 v60, 0
	s_and_saveexec_b64 s[14:15], vcc
	s_cbranch_execz .LBB938_443
; %bb.438:                              ;   in Loop: Header=BB938_215 Depth=1
	v_cmp_ne_u16_e32 vcc, s9, v44
	v_mov_b32_e32 v60, 0xffff8000
	s_and_saveexec_b64 s[16:17], vcc
	s_cbranch_execz .LBB938_442
; %bb.439:                              ;   in Loop: Header=BB938_215 Depth=1
	v_and_b32_e32 v46, 0x7f, v44
	v_cmp_ne_u32_e32 vcc, s23, v46
	v_mov_b32_e32 v60, 0x7f80
	s_and_saveexec_b64 s[18:19], vcc
	s_cbranch_execz .LBB938_441
; %bb.440:                              ;   in Loop: Header=BB938_215 Depth=1
	v_and_b32_e32 v60, 7, v44
	v_ffbh_u32_e32 v62, v60
	v_min_u32_e32 v65, 32, v62
	v_subrev_u32_e32 v62, 28, v65
	v_lshlrev_b64 v[62:63], v62, v[44:45]
	v_lshrrev_b32_e32 v64, 3, v46
	v_sub_u32_e32 v44, 29, v65
	v_and_b32_e32 v62, 7, v62
	v_cmp_gt_u32_e32 vcc, 8, v46
	v_cndmask_b32_e32 v44, v64, v44, vcc
	v_cndmask_b32_e32 v46, v60, v62, vcc
	v_lshlrev_b32_e32 v60, 16, v42
	v_lshlrev_b32_e32 v46, 20, v46
	v_and_b32_e32 v60, 0x80000000, v60
	v_lshl_add_u32 v44, v44, 23, v55
	v_or3_b32 v44, v60, v44, v46
	v_lshrrev_b32_e32 v60, 16, v44
.LBB938_441:                            ;   in Loop: Header=BB938_215 Depth=1
	s_or_b64 exec, exec, s[18:19]
.LBB938_442:                            ;   in Loop: Header=BB938_215 Depth=1
	s_or_b64 exec, exec, s[16:17]
.LBB938_443:                            ;   in Loop: Header=BB938_215 Depth=1
	s_or_b64 exec, exec, s[14:15]
	v_lshrrev_b32_e32 v44, 16, v42
	v_cmp_ne_u16_sdwa s[16:17], v44, v54 src0_sel:BYTE_0 src1_sel:DWORD
	s_and_saveexec_b64 s[14:15], s[16:17]
	s_cbranch_execz .LBB938_449
; %bb.444:                              ;   in Loop: Header=BB938_215 Depth=1
	v_cmp_ne_u16_sdwa s[18:19], v44, s9 src0_sel:BYTE_0 src1_sel:DWORD
	v_mov_b32_e32 v61, 0xffff8000
	s_and_saveexec_b64 s[16:17], s[18:19]
	s_cbranch_execz .LBB938_448
; %bb.445:                              ;   in Loop: Header=BB938_215 Depth=1
	v_bfe_u32 v46, v42, 16, 7
	v_cmp_ne_u32_e32 vcc, s23, v46
	v_mov_b32_e32 v61, 0x7f80
	s_and_saveexec_b64 s[18:19], vcc
	s_cbranch_execz .LBB938_447
; %bb.446:                              ;   in Loop: Header=BB938_215 Depth=1
	v_and_b32_e32 v61, 7, v44
	v_ffbh_u32_e32 v62, v61
	v_min_u32_e32 v65, 32, v62
	v_subrev_u32_e32 v62, 28, v65
	v_lshlrev_b64 v[62:63], v62, v[44:45]
	v_lshrrev_b32_e32 v64, 3, v46
	v_sub_u32_e32 v63, 29, v65
	v_and_b32_e32 v62, 7, v62
	v_cmp_gt_u32_e32 vcc, 8, v46
	v_cndmask_b32_e32 v46, v64, v63, vcc
	v_cndmask_b32_e32 v61, v61, v62, vcc
	v_lshlrev_b32_e32 v44, 24, v44
	v_lshlrev_b32_e32 v61, 20, v61
	v_and_b32_e32 v44, 0x80000000, v44
	v_lshl_add_u32 v46, v46, 23, v55
	v_or3_b32 v44, v44, v46, v61
	v_lshrrev_b32_e32 v61, 16, v44
.LBB938_447:                            ;   in Loop: Header=BB938_215 Depth=1
	s_or_b64 exec, exec, s[18:19]
.LBB938_448:                            ;   in Loop: Header=BB938_215 Depth=1
	s_or_b64 exec, exec, s[16:17]
.LBB938_449:                            ;   in Loop: Header=BB938_215 Depth=1
	s_or_b64 exec, exec, s[14:15]
	v_cmp_lt_u32_e32 vcc, s24, v42
	v_mov_b32_e32 v46, 0
	v_mov_b32_e32 v62, 0
	s_and_saveexec_b64 s[14:15], vcc
	s_cbranch_execz .LBB938_455
; %bb.450:                              ;   in Loop: Header=BB938_215 Depth=1
	v_lshrrev_b32_e32 v44, 24, v42
	v_cmp_ne_u32_e32 vcc, s9, v44
	v_mov_b32_e32 v62, 0xffff8000
	s_and_saveexec_b64 s[16:17], vcc
	s_cbranch_execz .LBB938_454
; %bb.451:                              ;   in Loop: Header=BB938_215 Depth=1
	v_bfe_u32 v42, v42, 24, 7
	v_cmp_ne_u32_e32 vcc, s23, v42
	v_mov_b32_e32 v62, 0x7f80
	s_and_saveexec_b64 s[18:19], vcc
	s_cbranch_execz .LBB938_453
; %bb.452:                              ;   in Loop: Header=BB938_215 Depth=1
	v_and_b32_e32 v64, 7, v44
	v_ffbh_u32_e32 v62, v64
	v_min_u32_e32 v66, 32, v62
	v_subrev_u32_e32 v62, 28, v66
	v_lshlrev_b64 v[62:63], v62, v[44:45]
	v_lshrrev_b32_e32 v65, 3, v42
	v_sub_u32_e32 v63, 29, v66
	v_and_b32_e32 v62, 7, v62
	v_cmp_gt_u32_e32 vcc, 8, v42
	v_cndmask_b32_e32 v42, v65, v63, vcc
	v_cndmask_b32_e32 v62, v64, v62, vcc
	v_lshlrev_b32_e32 v44, 24, v44
	v_lshlrev_b32_e32 v62, 20, v62
	v_and_b32_e32 v44, 0x80000000, v44
	v_lshl_add_u32 v42, v42, 23, v55
	v_or3_b32 v42, v44, v42, v62
	v_lshrrev_b32_e32 v62, 16, v42
.LBB938_453:                            ;   in Loop: Header=BB938_215 Depth=1
	s_or_b64 exec, exec, s[18:19]
.LBB938_454:                            ;   in Loop: Header=BB938_215 Depth=1
	s_or_b64 exec, exec, s[16:17]
.LBB938_455:                            ;   in Loop: Header=BB938_215 Depth=1
	s_or_b64 exec, exec, s[14:15]
	v_perm_b32 v57, v59, v57, s25
	v_perm_b32 v56, v51, v56, s25
	s_waitcnt vmcnt(1)
	v_cmp_ne_u16_sdwa s[16:17], v40, v54 src0_sel:BYTE_0 src1_sel:DWORD
	v_mfma_f32_16x16x16bf16_1k v[34:37], v[56:57], v[18:19], v[34:37]
	v_perm_b32 v57, v62, v61, s25
	v_perm_b32 v56, v60, v58, s25
	s_nop 1
	v_mfma_f32_16x16x16bf16_1k v[34:37], v[56:57], v[20:21], v[34:37]
	s_and_saveexec_b64 s[14:15], s[16:17]
	s_cbranch_execz .LBB938_461
; %bb.456:                              ;   in Loop: Header=BB938_215 Depth=1
	v_cmp_ne_u16_sdwa s[18:19], v40, s9 src0_sel:BYTE_0 src1_sel:DWORD
	v_mov_b32_e32 v46, 0xffff8000
	s_and_saveexec_b64 s[16:17], s[18:19]
	s_cbranch_execz .LBB938_460
; %bb.457:                              ;   in Loop: Header=BB938_215 Depth=1
	v_and_b32_e32 v42, 0x7f, v40
	v_cmp_ne_u32_e32 vcc, s23, v42
	v_mov_b32_e32 v46, 0x7f80
	s_and_saveexec_b64 s[18:19], vcc
	s_cbranch_execz .LBB938_459
; %bb.458:                              ;   in Loop: Header=BB938_215 Depth=1
	v_and_b32_e32 v44, 7, v40
	v_ffbh_u32_e32 v51, v44
	v_min_u32_e32 v51, 32, v51
	v_subrev_u32_e32 v56, 28, v51
	v_lshlrev_b64 v[56:57], v56, v[40:41]
	v_lshrrev_b32_e32 v46, 3, v42
	v_sub_u32_e32 v51, 29, v51
	v_and_b32_e32 v56, 7, v56
	v_cmp_gt_u32_e32 vcc, 8, v42
	v_cndmask_b32_e32 v42, v46, v51, vcc
	v_cndmask_b32_e32 v44, v44, v56, vcc
	v_lshlrev_b32_e32 v46, 24, v40
	v_lshlrev_b32_e32 v44, 20, v44
	v_and_b32_e32 v46, 0x80000000, v46
	v_lshl_add_u32 v42, v42, 23, v55
	v_or3_b32 v42, v46, v42, v44
	v_lshrrev_b32_e32 v46, 16, v42
.LBB938_459:                            ;   in Loop: Header=BB938_215 Depth=1
	s_or_b64 exec, exec, s[18:19]
.LBB938_460:                            ;   in Loop: Header=BB938_215 Depth=1
	s_or_b64 exec, exec, s[16:17]
.LBB938_461:                            ;   in Loop: Header=BB938_215 Depth=1
	s_or_b64 exec, exec, s[14:15]
	v_lshrrev_b16_e32 v42, 8, v40
	v_cmp_ne_u16_e32 vcc, 0, v42
	v_mov_b32_e32 v56, 0
	v_mov_b32_e32 v44, 0
	s_and_saveexec_b64 s[14:15], vcc
	s_cbranch_execz .LBB938_467
; %bb.462:                              ;   in Loop: Header=BB938_215 Depth=1
	v_cmp_ne_u16_e32 vcc, s9, v42
	v_mov_b32_e32 v44, 0xffff8000
	s_and_saveexec_b64 s[16:17], vcc
	s_cbranch_execz .LBB938_466
; %bb.463:                              ;   in Loop: Header=BB938_215 Depth=1
	v_and_b32_e32 v51, 0x7f, v42
	v_cmp_ne_u32_e32 vcc, s23, v51
	v_mov_b32_e32 v44, 0x7f80
	s_and_saveexec_b64 s[18:19], vcc
	s_cbranch_execz .LBB938_465
; %bb.464:                              ;   in Loop: Header=BB938_215 Depth=1
	v_and_b32_e32 v44, 7, v42
	v_ffbh_u32_e32 v58, v44
	v_min_u32_e32 v60, 32, v58
	v_subrev_u32_e32 v58, 28, v60
	v_lshlrev_b64 v[58:59], v58, v[42:43]
	v_lshrrev_b32_e32 v57, 3, v51
	v_sub_u32_e32 v42, 29, v60
	v_and_b32_e32 v58, 7, v58
	v_cmp_gt_u32_e32 vcc, 8, v51
	v_cndmask_b32_e32 v42, v57, v42, vcc
	v_cndmask_b32_e32 v44, v44, v58, vcc
	v_lshlrev_b32_e32 v51, 16, v40
	v_lshlrev_b32_e32 v44, 20, v44
	v_and_b32_e32 v51, 0x80000000, v51
	v_lshl_add_u32 v42, v42, 23, v55
	v_or3_b32 v42, v51, v42, v44
	v_lshrrev_b32_e32 v44, 16, v42
.LBB938_465:                            ;   in Loop: Header=BB938_215 Depth=1
	s_or_b64 exec, exec, s[18:19]
.LBB938_466:                            ;   in Loop: Header=BB938_215 Depth=1
	s_or_b64 exec, exec, s[16:17]
.LBB938_467:                            ;   in Loop: Header=BB938_215 Depth=1
	s_or_b64 exec, exec, s[14:15]
	v_lshrrev_b32_e32 v42, 16, v40
	v_cmp_ne_u16_sdwa s[16:17], v42, v54 src0_sel:BYTE_0 src1_sel:DWORD
	s_and_saveexec_b64 s[14:15], s[16:17]
	s_cbranch_execz .LBB938_473
; %bb.468:                              ;   in Loop: Header=BB938_215 Depth=1
	v_cmp_ne_u16_sdwa s[18:19], v42, s9 src0_sel:BYTE_0 src1_sel:DWORD
	v_mov_b32_e32 v56, 0xffff8000
	s_and_saveexec_b64 s[16:17], s[18:19]
	s_cbranch_execz .LBB938_472
; %bb.469:                              ;   in Loop: Header=BB938_215 Depth=1
	v_bfe_u32 v51, v40, 16, 7
	v_cmp_ne_u32_e32 vcc, s23, v51
	v_mov_b32_e32 v56, 0x7f80
	s_and_saveexec_b64 s[18:19], vcc
	s_cbranch_execz .LBB938_471
; %bb.470:                              ;   in Loop: Header=BB938_215 Depth=1
	v_and_b32_e32 v58, 7, v42
	v_ffbh_u32_e32 v56, v58
	v_min_u32_e32 v60, 32, v56
	v_subrev_u32_e32 v56, 28, v60
	v_lshlrev_b64 v[56:57], v56, v[42:43]
	v_lshrrev_b32_e32 v59, 3, v51
	v_sub_u32_e32 v57, 29, v60
	v_and_b32_e32 v56, 7, v56
	v_cmp_gt_u32_e32 vcc, 8, v51
	v_cndmask_b32_e32 v51, v59, v57, vcc
	v_cndmask_b32_e32 v56, v58, v56, vcc
	v_lshlrev_b32_e32 v42, 24, v42
	v_lshlrev_b32_e32 v56, 20, v56
	v_and_b32_e32 v42, 0x80000000, v42
	v_lshl_add_u32 v51, v51, 23, v55
	v_or3_b32 v42, v42, v51, v56
	v_lshrrev_b32_e32 v56, 16, v42
.LBB938_471:                            ;   in Loop: Header=BB938_215 Depth=1
	s_or_b64 exec, exec, s[18:19]
.LBB938_472:                            ;   in Loop: Header=BB938_215 Depth=1
	s_or_b64 exec, exec, s[16:17]
.LBB938_473:                            ;   in Loop: Header=BB938_215 Depth=1
	s_or_b64 exec, exec, s[14:15]
	v_cmp_lt_u32_e32 vcc, s24, v40
	v_mov_b32_e32 v57, 0
	v_mov_b32_e32 v58, 0
	s_and_saveexec_b64 s[14:15], vcc
	s_cbranch_execz .LBB938_479
; %bb.474:                              ;   in Loop: Header=BB938_215 Depth=1
	v_lshrrev_b32_e32 v42, 24, v40
	v_cmp_ne_u32_e32 vcc, s9, v42
	v_mov_b32_e32 v58, 0xffff8000
	s_and_saveexec_b64 s[16:17], vcc
	s_cbranch_execz .LBB938_478
; %bb.475:                              ;   in Loop: Header=BB938_215 Depth=1
	v_bfe_u32 v40, v40, 24, 7
	v_cmp_ne_u32_e32 vcc, s23, v40
	v_mov_b32_e32 v58, 0x7f80
	s_and_saveexec_b64 s[18:19], vcc
	s_cbranch_execz .LBB938_477
; %bb.476:                              ;   in Loop: Header=BB938_215 Depth=1
	v_and_b32_e32 v51, 7, v42
	v_ffbh_u32_e32 v58, v51
	v_min_u32_e32 v61, 32, v58
	v_subrev_u32_e32 v58, 28, v61
	v_lshlrev_b64 v[58:59], v58, v[42:43]
	v_lshrrev_b32_e32 v60, 3, v40
	v_sub_u32_e32 v59, 29, v61
	v_and_b32_e32 v58, 7, v58
	v_cmp_gt_u32_e32 vcc, 8, v40
	v_cndmask_b32_e32 v40, v60, v59, vcc
	v_cndmask_b32_e32 v51, v51, v58, vcc
	v_lshlrev_b32_e32 v42, 24, v42
	v_lshlrev_b32_e32 v51, 20, v51
	v_and_b32_e32 v42, 0x80000000, v42
	v_lshl_add_u32 v40, v40, 23, v55
	v_or3_b32 v40, v42, v40, v51
	v_lshrrev_b32_e32 v58, 16, v40
.LBB938_477:                            ;   in Loop: Header=BB938_215 Depth=1
	s_or_b64 exec, exec, s[18:19]
.LBB938_478:                            ;   in Loop: Header=BB938_215 Depth=1
	s_or_b64 exec, exec, s[16:17]
.LBB938_479:                            ;   in Loop: Header=BB938_215 Depth=1
	s_or_b64 exec, exec, s[14:15]
	s_waitcnt vmcnt(0)
	v_cmp_ne_u16_sdwa s[16:17], v38, v54 src0_sel:BYTE_0 src1_sel:DWORD
	s_and_saveexec_b64 s[14:15], s[16:17]
	s_cbranch_execz .LBB938_485
; %bb.480:                              ;   in Loop: Header=BB938_215 Depth=1
	v_cmp_ne_u16_sdwa s[18:19], v38, s9 src0_sel:BYTE_0 src1_sel:DWORD
	v_mov_b32_e32 v57, 0xffff8000
	s_and_saveexec_b64 s[16:17], s[18:19]
	s_cbranch_execz .LBB938_484
; %bb.481:                              ;   in Loop: Header=BB938_215 Depth=1
	v_and_b32_e32 v40, 0x7f, v38
	v_cmp_ne_u32_e32 vcc, s23, v40
	v_mov_b32_e32 v57, 0x7f80
	s_and_saveexec_b64 s[18:19], vcc
	s_cbranch_execz .LBB938_483
; %bb.482:                              ;   in Loop: Header=BB938_215 Depth=1
	v_and_b32_e32 v42, 7, v38
	v_ffbh_u32_e32 v57, v42
	v_min_u32_e32 v57, 32, v57
	v_subrev_u32_e32 v59, 28, v57
	v_lshlrev_b64 v[60:61], v59, v[38:39]
	v_lshrrev_b32_e32 v51, 3, v40
	v_sub_u32_e32 v57, 29, v57
	v_and_b32_e32 v59, 7, v60
	v_cmp_gt_u32_e32 vcc, 8, v40
	v_cndmask_b32_e32 v40, v51, v57, vcc
	v_cndmask_b32_e32 v42, v42, v59, vcc
	v_lshlrev_b32_e32 v51, 24, v38
	v_lshlrev_b32_e32 v42, 20, v42
	v_and_b32_e32 v51, 0x80000000, v51
	v_lshl_add_u32 v40, v40, 23, v55
	v_or3_b32 v40, v51, v40, v42
	v_lshrrev_b32_e32 v57, 16, v40
.LBB938_483:                            ;   in Loop: Header=BB938_215 Depth=1
	s_or_b64 exec, exec, s[18:19]
.LBB938_484:                            ;   in Loop: Header=BB938_215 Depth=1
	s_or_b64 exec, exec, s[16:17]
.LBB938_485:                            ;   in Loop: Header=BB938_215 Depth=1
	s_or_b64 exec, exec, s[14:15]
	v_lshrrev_b16_e32 v40, 8, v38
	v_cmp_ne_u16_e32 vcc, 0, v40
	v_mov_b32_e32 v60, 0
	v_mov_b32_e32 v59, 0
	s_and_saveexec_b64 s[14:15], vcc
	s_cbranch_execz .LBB938_491
; %bb.486:                              ;   in Loop: Header=BB938_215 Depth=1
	v_cmp_ne_u16_e32 vcc, s9, v40
	v_mov_b32_e32 v59, 0xffff8000
	s_and_saveexec_b64 s[16:17], vcc
	s_cbranch_execz .LBB938_490
; %bb.487:                              ;   in Loop: Header=BB938_215 Depth=1
	v_and_b32_e32 v42, 0x7f, v40
	v_cmp_ne_u32_e32 vcc, s23, v42
	v_mov_b32_e32 v59, 0x7f80
	s_and_saveexec_b64 s[18:19], vcc
	s_cbranch_execz .LBB938_489
; %bb.488:                              ;   in Loop: Header=BB938_215 Depth=1
	v_and_b32_e32 v51, 7, v40
	v_ffbh_u32_e32 v61, v51
	v_min_u32_e32 v61, 32, v61
	v_subrev_u32_e32 v62, 28, v61
	v_lshlrev_b64 v[62:63], v62, v[40:41]
	v_lshrrev_b32_e32 v59, 3, v42
	v_sub_u32_e32 v40, 29, v61
	v_and_b32_e32 v61, 7, v62
	v_cmp_gt_u32_e32 vcc, 8, v42
	v_cndmask_b32_e32 v40, v59, v40, vcc
	v_cndmask_b32_e32 v42, v51, v61, vcc
	v_lshlrev_b32_e32 v51, 16, v38
	v_lshlrev_b32_e32 v42, 20, v42
	v_and_b32_e32 v51, 0x80000000, v51
	v_lshl_add_u32 v40, v40, 23, v55
	v_or3_b32 v40, v51, v40, v42
	v_lshrrev_b32_e32 v59, 16, v40
.LBB938_489:                            ;   in Loop: Header=BB938_215 Depth=1
	s_or_b64 exec, exec, s[18:19]
.LBB938_490:                            ;   in Loop: Header=BB938_215 Depth=1
	s_or_b64 exec, exec, s[16:17]
.LBB938_491:                            ;   in Loop: Header=BB938_215 Depth=1
	s_or_b64 exec, exec, s[14:15]
	v_lshrrev_b32_e32 v40, 16, v38
	v_cmp_ne_u16_sdwa s[16:17], v40, v54 src0_sel:BYTE_0 src1_sel:DWORD
	s_and_saveexec_b64 s[14:15], s[16:17]
	s_cbranch_execz .LBB938_497
; %bb.492:                              ;   in Loop: Header=BB938_215 Depth=1
	v_cmp_ne_u16_sdwa s[18:19], v40, s9 src0_sel:BYTE_0 src1_sel:DWORD
	v_mov_b32_e32 v60, 0xffff8000
	s_and_saveexec_b64 s[16:17], s[18:19]
	s_cbranch_execz .LBB938_496
; %bb.493:                              ;   in Loop: Header=BB938_215 Depth=1
	v_bfe_u32 v42, v38, 16, 7
	v_cmp_ne_u32_e32 vcc, s23, v42
	v_mov_b32_e32 v60, 0x7f80
	s_and_saveexec_b64 s[18:19], vcc
	s_cbranch_execz .LBB938_495
; %bb.494:                              ;   in Loop: Header=BB938_215 Depth=1
	v_and_b32_e32 v51, 7, v40
	v_ffbh_u32_e32 v60, v51
	v_min_u32_e32 v63, 32, v60
	v_subrev_u32_e32 v60, 28, v63
	v_lshlrev_b64 v[60:61], v60, v[40:41]
	v_lshrrev_b32_e32 v62, 3, v42
	v_sub_u32_e32 v61, 29, v63
	v_and_b32_e32 v60, 7, v60
	v_cmp_gt_u32_e32 vcc, 8, v42
	v_cndmask_b32_e32 v42, v62, v61, vcc
	v_cndmask_b32_e32 v51, v51, v60, vcc
	v_lshlrev_b32_e32 v40, 24, v40
	v_lshlrev_b32_e32 v51, 20, v51
	v_and_b32_e32 v40, 0x80000000, v40
	v_lshl_add_u32 v42, v42, 23, v55
	v_or3_b32 v40, v40, v42, v51
	v_lshrrev_b32_e32 v60, 16, v40
.LBB938_495:                            ;   in Loop: Header=BB938_215 Depth=1
	s_or_b64 exec, exec, s[18:19]
.LBB938_496:                            ;   in Loop: Header=BB938_215 Depth=1
	s_or_b64 exec, exec, s[16:17]
.LBB938_497:                            ;   in Loop: Header=BB938_215 Depth=1
	s_or_b64 exec, exec, s[14:15]
	v_cmp_lt_u32_e32 vcc, s24, v38
	v_mov_b32_e32 v51, 0
	v_mov_b32_e32 v61, 0
	s_and_saveexec_b64 s[14:15], vcc
	s_cbranch_execz .LBB938_503
; %bb.498:                              ;   in Loop: Header=BB938_215 Depth=1
	v_lshrrev_b32_e32 v40, 24, v38
	v_cmp_ne_u32_e32 vcc, s9, v40
	v_mov_b32_e32 v61, 0xffff8000
	s_and_saveexec_b64 s[16:17], vcc
	s_cbranch_execz .LBB938_502
; %bb.499:                              ;   in Loop: Header=BB938_215 Depth=1
	v_bfe_u32 v38, v38, 24, 7
	v_cmp_ne_u32_e32 vcc, s23, v38
	v_mov_b32_e32 v61, 0x7f80
	s_and_saveexec_b64 s[18:19], vcc
	s_cbranch_execz .LBB938_501
; %bb.500:                              ;   in Loop: Header=BB938_215 Depth=1
	v_and_b32_e32 v42, 7, v40
	v_ffbh_u32_e32 v62, v42
	v_min_u32_e32 v64, 32, v62
	v_subrev_u32_e32 v62, 28, v64
	v_lshlrev_b64 v[62:63], v62, v[40:41]
	v_lshrrev_b32_e32 v61, 3, v38
	v_sub_u32_e32 v63, 29, v64
	v_and_b32_e32 v62, 7, v62
	v_cmp_gt_u32_e32 vcc, 8, v38
	v_cndmask_b32_e32 v38, v61, v63, vcc
	v_cndmask_b32_e32 v42, v42, v62, vcc
	v_lshlrev_b32_e32 v40, 24, v40
	v_lshlrev_b32_e32 v42, 20, v42
	v_and_b32_e32 v40, 0x80000000, v40
	v_lshl_add_u32 v38, v38, 23, v55
	v_or3_b32 v38, v40, v38, v42
	v_lshrrev_b32_e32 v61, 16, v38
.LBB938_501:                            ;   in Loop: Header=BB938_215 Depth=1
	s_or_b64 exec, exec, s[18:19]
.LBB938_502:                            ;   in Loop: Header=BB938_215 Depth=1
	s_or_b64 exec, exec, s[16:17]
.LBB938_503:                            ;   in Loop: Header=BB938_215 Depth=1
	s_or_b64 exec, exec, s[14:15]
	v_perm_b32 v62, v44, v46, s25
	buffer_load_dword v44, v50, s[0:3], 0 offen
	buffer_load_dword v42, v50, s[0:3], 0 offen offset:4
	buffer_load_dword v40, v50, s[0:3], 0 offen offset:8
	;; [unrolled: 1-line block ×3, first 2 shown]
	v_perm_b32 v63, v58, v56, s25
	v_perm_b32 v61, v61, v60, s25
	;; [unrolled: 1-line block ×3, first 2 shown]
	v_mfma_f32_16x16x16bf16_1k v[34:37], v[62:63], v[22:23], v[34:37]
	s_waitcnt vmcnt(3)
	v_cmp_ne_u16_sdwa s[16:17], v44, v54 src0_sel:BYTE_0 src1_sel:DWORD
	v_mfma_f32_16x16x16bf16_1k v[34:37], v[60:61], v[24:25], v[34:37]
	s_and_saveexec_b64 s[14:15], s[16:17]
	s_cbranch_execz .LBB938_509
; %bb.504:                              ;   in Loop: Header=BB938_215 Depth=1
	v_cmp_ne_u16_sdwa s[18:19], v44, s9 src0_sel:BYTE_0 src1_sel:DWORD
	v_mov_b32_e32 v51, 0xffff8000
	s_and_saveexec_b64 s[16:17], s[18:19]
	s_cbranch_execz .LBB938_508
; %bb.505:                              ;   in Loop: Header=BB938_215 Depth=1
	v_and_b32_e32 v46, 0x7f, v44
	v_cmp_ne_u32_e32 vcc, s23, v46
	v_mov_b32_e32 v51, 0x7f80
	s_and_saveexec_b64 s[18:19], vcc
	s_cbranch_execz .LBB938_507
; %bb.506:                              ;   in Loop: Header=BB938_215 Depth=1
	v_and_b32_e32 v56, 7, v44
	v_ffbh_u32_e32 v50, v56
	v_min_u32_e32 v58, 32, v50
	v_subrev_u32_e32 v50, 28, v58
	v_lshlrev_b64 v[50:51], v50, v[44:45]
	v_lshrrev_b32_e32 v57, 3, v46
	v_sub_u32_e32 v51, 29, v58
	v_and_b32_e32 v50, 7, v50
	v_cmp_gt_u32_e32 vcc, 8, v46
	v_cndmask_b32_e32 v46, v57, v51, vcc
	v_cndmask_b32_e32 v50, v56, v50, vcc
	v_lshlrev_b32_e32 v51, 24, v44
	v_lshlrev_b32_e32 v50, 20, v50
	v_and_b32_e32 v51, 0x80000000, v51
	v_lshl_add_u32 v46, v46, 23, v55
	v_or3_b32 v46, v51, v46, v50
	v_lshrrev_b32_e32 v51, 16, v46
.LBB938_507:                            ;   in Loop: Header=BB938_215 Depth=1
	s_or_b64 exec, exec, s[18:19]
.LBB938_508:                            ;   in Loop: Header=BB938_215 Depth=1
	s_or_b64 exec, exec, s[16:17]
.LBB938_509:                            ;   in Loop: Header=BB938_215 Depth=1
	s_or_b64 exec, exec, s[14:15]
	v_lshrrev_b16_e32 v46, 8, v44
	v_cmp_ne_u16_e32 vcc, 0, v46
	v_mov_b32_e32 v56, 0
	v_mov_b32_e32 v50, 0
	s_and_saveexec_b64 s[14:15], vcc
	s_cbranch_execz .LBB938_515
; %bb.510:                              ;   in Loop: Header=BB938_215 Depth=1
	v_cmp_ne_u16_e32 vcc, s9, v46
	v_mov_b32_e32 v50, 0xffff8000
	s_and_saveexec_b64 s[16:17], vcc
	s_cbranch_execz .LBB938_514
; %bb.511:                              ;   in Loop: Header=BB938_215 Depth=1
	v_and_b32_e32 v57, 0x7f, v46
	v_cmp_ne_u32_e32 vcc, s23, v57
	v_mov_b32_e32 v50, 0x7f80
	s_and_saveexec_b64 s[18:19], vcc
	s_cbranch_execz .LBB938_513
; %bb.512:                              ;   in Loop: Header=BB938_215 Depth=1
	v_and_b32_e32 v50, 7, v46
	v_ffbh_u32_e32 v58, v50
	v_min_u32_e32 v61, 32, v58
	v_subrev_u32_e32 v58, 28, v61
	v_lshlrev_b64 v[58:59], v58, v[46:47]
	v_lshrrev_b32_e32 v60, 3, v57
	v_sub_u32_e32 v46, 29, v61
	v_and_b32_e32 v58, 7, v58
	v_cmp_gt_u32_e32 vcc, 8, v57
	v_cndmask_b32_e32 v46, v60, v46, vcc
	v_cndmask_b32_e32 v50, v50, v58, vcc
	v_lshlrev_b32_e32 v57, 16, v44
	v_lshlrev_b32_e32 v50, 20, v50
	v_and_b32_e32 v57, 0x80000000, v57
	v_lshl_add_u32 v46, v46, 23, v55
	v_or3_b32 v46, v57, v46, v50
	v_lshrrev_b32_e32 v50, 16, v46
.LBB938_513:                            ;   in Loop: Header=BB938_215 Depth=1
	s_or_b64 exec, exec, s[18:19]
.LBB938_514:                            ;   in Loop: Header=BB938_215 Depth=1
	s_or_b64 exec, exec, s[16:17]
.LBB938_515:                            ;   in Loop: Header=BB938_215 Depth=1
	s_or_b64 exec, exec, s[14:15]
	v_lshrrev_b32_e32 v46, 16, v44
	v_cmp_ne_u16_sdwa s[16:17], v46, v54 src0_sel:BYTE_0 src1_sel:DWORD
	s_and_saveexec_b64 s[14:15], s[16:17]
	s_cbranch_execz .LBB938_521
; %bb.516:                              ;   in Loop: Header=BB938_215 Depth=1
	v_cmp_ne_u16_sdwa s[18:19], v46, s9 src0_sel:BYTE_0 src1_sel:DWORD
	v_mov_b32_e32 v56, 0xffff8000
	s_and_saveexec_b64 s[16:17], s[18:19]
	s_cbranch_execz .LBB938_520
; %bb.517:                              ;   in Loop: Header=BB938_215 Depth=1
	v_bfe_u32 v57, v44, 16, 7
	v_cmp_ne_u32_e32 vcc, s23, v57
	v_mov_b32_e32 v56, 0x7f80
	s_and_saveexec_b64 s[18:19], vcc
	s_cbranch_execz .LBB938_519
; %bb.518:                              ;   in Loop: Header=BB938_215 Depth=1
	v_and_b32_e32 v56, 7, v46
	v_ffbh_u32_e32 v58, v56
	v_min_u32_e32 v61, 32, v58
	v_subrev_u32_e32 v58, 28, v61
	v_lshlrev_b64 v[58:59], v58, v[46:47]
	v_lshrrev_b32_e32 v60, 3, v57
	v_sub_u32_e32 v59, 29, v61
	v_and_b32_e32 v58, 7, v58
	v_cmp_gt_u32_e32 vcc, 8, v57
	v_cndmask_b32_e32 v57, v60, v59, vcc
	v_cndmask_b32_e32 v56, v56, v58, vcc
	v_lshlrev_b32_e32 v46, 24, v46
	v_lshlrev_b32_e32 v56, 20, v56
	v_and_b32_e32 v46, 0x80000000, v46
	v_lshl_add_u32 v57, v57, 23, v55
	v_or3_b32 v46, v46, v57, v56
	v_lshrrev_b32_e32 v56, 16, v46
.LBB938_519:                            ;   in Loop: Header=BB938_215 Depth=1
	s_or_b64 exec, exec, s[18:19]
.LBB938_520:                            ;   in Loop: Header=BB938_215 Depth=1
	s_or_b64 exec, exec, s[16:17]
.LBB938_521:                            ;   in Loop: Header=BB938_215 Depth=1
	s_or_b64 exec, exec, s[14:15]
	v_cmp_lt_u32_e32 vcc, s24, v44
	v_mov_b32_e32 v57, 0
	v_mov_b32_e32 v58, 0
	s_and_saveexec_b64 s[14:15], vcc
	s_cbranch_execz .LBB938_527
; %bb.522:                              ;   in Loop: Header=BB938_215 Depth=1
	v_lshrrev_b32_e32 v46, 24, v44
	v_cmp_ne_u32_e32 vcc, s9, v46
	v_mov_b32_e32 v58, 0xffff8000
	s_and_saveexec_b64 s[16:17], vcc
	s_cbranch_execz .LBB938_526
; %bb.523:                              ;   in Loop: Header=BB938_215 Depth=1
	v_bfe_u32 v44, v44, 24, 7
	v_cmp_ne_u32_e32 vcc, s23, v44
	v_mov_b32_e32 v58, 0x7f80
	s_and_saveexec_b64 s[18:19], vcc
	s_cbranch_execz .LBB938_525
; %bb.524:                              ;   in Loop: Header=BB938_215 Depth=1
	v_and_b32_e32 v60, 7, v46
	v_ffbh_u32_e32 v58, v60
	v_min_u32_e32 v62, 32, v58
	v_subrev_u32_e32 v58, 28, v62
	v_lshlrev_b64 v[58:59], v58, v[46:47]
	v_lshrrev_b32_e32 v61, 3, v44
	v_sub_u32_e32 v59, 29, v62
	v_and_b32_e32 v58, 7, v58
	v_cmp_gt_u32_e32 vcc, 8, v44
	v_cndmask_b32_e32 v44, v61, v59, vcc
	v_cndmask_b32_e32 v58, v60, v58, vcc
	v_lshlrev_b32_e32 v46, 24, v46
	v_lshlrev_b32_e32 v58, 20, v58
	v_and_b32_e32 v46, 0x80000000, v46
	v_lshl_add_u32 v44, v44, 23, v55
	v_or3_b32 v44, v46, v44, v58
	v_lshrrev_b32_e32 v58, 16, v44
.LBB938_525:                            ;   in Loop: Header=BB938_215 Depth=1
	s_or_b64 exec, exec, s[18:19]
.LBB938_526:                            ;   in Loop: Header=BB938_215 Depth=1
	s_or_b64 exec, exec, s[16:17]
.LBB938_527:                            ;   in Loop: Header=BB938_215 Depth=1
	s_or_b64 exec, exec, s[14:15]
	s_waitcnt vmcnt(2)
	v_cmp_ne_u16_sdwa s[16:17], v42, v54 src0_sel:BYTE_0 src1_sel:DWORD
	s_and_saveexec_b64 s[14:15], s[16:17]
	s_cbranch_execz .LBB938_533
; %bb.528:                              ;   in Loop: Header=BB938_215 Depth=1
	v_cmp_ne_u16_sdwa s[18:19], v42, s9 src0_sel:BYTE_0 src1_sel:DWORD
	v_mov_b32_e32 v57, 0xffff8000
	s_and_saveexec_b64 s[16:17], s[18:19]
	s_cbranch_execz .LBB938_532
; %bb.529:                              ;   in Loop: Header=BB938_215 Depth=1
	v_and_b32_e32 v44, 0x7f, v42
	v_cmp_ne_u32_e32 vcc, s23, v44
	v_mov_b32_e32 v57, 0x7f80
	s_and_saveexec_b64 s[18:19], vcc
	s_cbranch_execz .LBB938_531
; %bb.530:                              ;   in Loop: Header=BB938_215 Depth=1
	v_and_b32_e32 v46, 7, v42
	v_ffbh_u32_e32 v59, v46
	v_min_u32_e32 v59, 32, v59
	v_subrev_u32_e32 v60, 28, v59
	v_lshlrev_b64 v[60:61], v60, v[42:43]
	v_lshrrev_b32_e32 v57, 3, v44
	v_sub_u32_e32 v59, 29, v59
	v_and_b32_e32 v60, 7, v60
	v_cmp_gt_u32_e32 vcc, 8, v44
	v_cndmask_b32_e32 v44, v57, v59, vcc
	v_cndmask_b32_e32 v46, v46, v60, vcc
	v_lshlrev_b32_e32 v57, 24, v42
	v_lshlrev_b32_e32 v46, 20, v46
	v_and_b32_e32 v57, 0x80000000, v57
	v_lshl_add_u32 v44, v44, 23, v55
	v_or3_b32 v44, v57, v44, v46
	v_lshrrev_b32_e32 v57, 16, v44
.LBB938_531:                            ;   in Loop: Header=BB938_215 Depth=1
	s_or_b64 exec, exec, s[18:19]
.LBB938_532:                            ;   in Loop: Header=BB938_215 Depth=1
	s_or_b64 exec, exec, s[16:17]
.LBB938_533:                            ;   in Loop: Header=BB938_215 Depth=1
	s_or_b64 exec, exec, s[14:15]
	v_lshrrev_b16_e32 v44, 8, v42
	v_cmp_ne_u16_e32 vcc, 0, v44
	v_mov_b32_e32 v60, 0
	v_mov_b32_e32 v59, 0
	s_and_saveexec_b64 s[14:15], vcc
	s_cbranch_execz .LBB938_539
; %bb.534:                              ;   in Loop: Header=BB938_215 Depth=1
	v_cmp_ne_u16_e32 vcc, s9, v44
	v_mov_b32_e32 v59, 0xffff8000
	s_and_saveexec_b64 s[16:17], vcc
	s_cbranch_execz .LBB938_538
; %bb.535:                              ;   in Loop: Header=BB938_215 Depth=1
	v_and_b32_e32 v46, 0x7f, v44
	v_cmp_ne_u32_e32 vcc, s23, v46
	v_mov_b32_e32 v59, 0x7f80
	s_and_saveexec_b64 s[18:19], vcc
	s_cbranch_execz .LBB938_537
; %bb.536:                              ;   in Loop: Header=BB938_215 Depth=1
	v_and_b32_e32 v59, 7, v44
	v_ffbh_u32_e32 v62, v59
	v_min_u32_e32 v64, 32, v62
	v_subrev_u32_e32 v62, 28, v64
	v_lshlrev_b64 v[62:63], v62, v[44:45]
	v_lshrrev_b32_e32 v61, 3, v46
	v_sub_u32_e32 v44, 29, v64
	v_and_b32_e32 v62, 7, v62
	v_cmp_gt_u32_e32 vcc, 8, v46
	v_cndmask_b32_e32 v44, v61, v44, vcc
	v_cndmask_b32_e32 v46, v59, v62, vcc
	v_lshlrev_b32_e32 v59, 16, v42
	v_lshlrev_b32_e32 v46, 20, v46
	v_and_b32_e32 v59, 0x80000000, v59
	v_lshl_add_u32 v44, v44, 23, v55
	v_or3_b32 v44, v59, v44, v46
	v_lshrrev_b32_e32 v59, 16, v44
.LBB938_537:                            ;   in Loop: Header=BB938_215 Depth=1
	s_or_b64 exec, exec, s[18:19]
.LBB938_538:                            ;   in Loop: Header=BB938_215 Depth=1
	s_or_b64 exec, exec, s[16:17]
.LBB938_539:                            ;   in Loop: Header=BB938_215 Depth=1
	s_or_b64 exec, exec, s[14:15]
	v_lshrrev_b32_e32 v44, 16, v42
	v_cmp_ne_u16_sdwa s[16:17], v44, v54 src0_sel:BYTE_0 src1_sel:DWORD
	s_and_saveexec_b64 s[14:15], s[16:17]
	s_cbranch_execz .LBB938_545
; %bb.540:                              ;   in Loop: Header=BB938_215 Depth=1
	v_cmp_ne_u16_sdwa s[18:19], v44, s9 src0_sel:BYTE_0 src1_sel:DWORD
	v_mov_b32_e32 v60, 0xffff8000
	s_and_saveexec_b64 s[16:17], s[18:19]
	s_cbranch_execz .LBB938_544
; %bb.541:                              ;   in Loop: Header=BB938_215 Depth=1
	v_bfe_u32 v46, v42, 16, 7
	v_cmp_ne_u32_e32 vcc, s23, v46
	v_mov_b32_e32 v60, 0x7f80
	s_and_saveexec_b64 s[18:19], vcc
	s_cbranch_execz .LBB938_543
; %bb.542:                              ;   in Loop: Header=BB938_215 Depth=1
	v_and_b32_e32 v62, 7, v44
	v_ffbh_u32_e32 v60, v62
	v_min_u32_e32 v64, 32, v60
	v_subrev_u32_e32 v60, 28, v64
	v_lshlrev_b64 v[60:61], v60, v[44:45]
	v_lshrrev_b32_e32 v63, 3, v46
	v_sub_u32_e32 v61, 29, v64
	v_and_b32_e32 v60, 7, v60
	v_cmp_gt_u32_e32 vcc, 8, v46
	v_cndmask_b32_e32 v46, v63, v61, vcc
	v_cndmask_b32_e32 v60, v62, v60, vcc
	v_lshlrev_b32_e32 v44, 24, v44
	v_lshlrev_b32_e32 v60, 20, v60
	v_and_b32_e32 v44, 0x80000000, v44
	v_lshl_add_u32 v46, v46, 23, v55
	v_or3_b32 v44, v44, v46, v60
	v_lshrrev_b32_e32 v60, 16, v44
.LBB938_543:                            ;   in Loop: Header=BB938_215 Depth=1
	s_or_b64 exec, exec, s[18:19]
.LBB938_544:                            ;   in Loop: Header=BB938_215 Depth=1
	s_or_b64 exec, exec, s[16:17]
.LBB938_545:                            ;   in Loop: Header=BB938_215 Depth=1
	s_or_b64 exec, exec, s[14:15]
	v_cmp_lt_u32_e32 vcc, s24, v42
	v_mov_b32_e32 v46, 0
	v_mov_b32_e32 v61, 0
	s_and_saveexec_b64 s[14:15], vcc
	s_cbranch_execz .LBB938_551
; %bb.546:                              ;   in Loop: Header=BB938_215 Depth=1
	v_lshrrev_b32_e32 v44, 24, v42
	v_cmp_ne_u32_e32 vcc, s9, v44
	v_mov_b32_e32 v61, 0xffff8000
	s_and_saveexec_b64 s[16:17], vcc
	s_cbranch_execz .LBB938_550
; %bb.547:                              ;   in Loop: Header=BB938_215 Depth=1
	v_bfe_u32 v42, v42, 24, 7
	v_cmp_ne_u32_e32 vcc, s23, v42
	v_mov_b32_e32 v61, 0x7f80
	s_and_saveexec_b64 s[18:19], vcc
	s_cbranch_execz .LBB938_549
; %bb.548:                              ;   in Loop: Header=BB938_215 Depth=1
	v_and_b32_e32 v61, 7, v44
	v_ffbh_u32_e32 v62, v61
	v_min_u32_e32 v65, 32, v62
	v_subrev_u32_e32 v62, 28, v65
	v_lshlrev_b64 v[62:63], v62, v[44:45]
	v_lshrrev_b32_e32 v64, 3, v42
	v_sub_u32_e32 v63, 29, v65
	v_and_b32_e32 v62, 7, v62
	v_cmp_gt_u32_e32 vcc, 8, v42
	v_cndmask_b32_e32 v42, v64, v63, vcc
	v_cndmask_b32_e32 v61, v61, v62, vcc
	v_lshlrev_b32_e32 v44, 24, v44
	v_lshlrev_b32_e32 v61, 20, v61
	v_and_b32_e32 v44, 0x80000000, v44
	v_lshl_add_u32 v42, v42, 23, v55
	v_or3_b32 v42, v44, v42, v61
	v_lshrrev_b32_e32 v61, 16, v42
.LBB938_549:                            ;   in Loop: Header=BB938_215 Depth=1
	s_or_b64 exec, exec, s[18:19]
.LBB938_550:                            ;   in Loop: Header=BB938_215 Depth=1
	s_or_b64 exec, exec, s[16:17]
.LBB938_551:                            ;   in Loop: Header=BB938_215 Depth=1
	s_or_b64 exec, exec, s[14:15]
	v_perm_b32 v63, v58, v56, s25
	v_perm_b32 v62, v50, v51, s25
	;; [unrolled: 1-line block ×4, first 2 shown]
	s_waitcnt vmcnt(1)
	v_cmp_ne_u16_sdwa s[16:17], v40, v54 src0_sel:BYTE_0 src1_sel:DWORD
	v_mfma_f32_16x16x16bf16_1k v[34:37], v[62:63], v[26:27], v[34:37]
	v_mfma_f32_16x16x16bf16_1k v[34:37], v[50:51], v[28:29], v[34:37]
	s_and_saveexec_b64 s[14:15], s[16:17]
	s_cbranch_execz .LBB938_557
; %bb.552:                              ;   in Loop: Header=BB938_215 Depth=1
	v_cmp_ne_u16_sdwa s[18:19], v40, s9 src0_sel:BYTE_0 src1_sel:DWORD
	v_mov_b32_e32 v46, 0xffff8000
	s_and_saveexec_b64 s[16:17], s[18:19]
	s_cbranch_execz .LBB938_556
; %bb.553:                              ;   in Loop: Header=BB938_215 Depth=1
	v_and_b32_e32 v42, 0x7f, v40
	v_cmp_ne_u32_e32 vcc, s23, v42
	v_mov_b32_e32 v46, 0x7f80
	s_and_saveexec_b64 s[18:19], vcc
	s_cbranch_execz .LBB938_555
; %bb.554:                              ;   in Loop: Header=BB938_215 Depth=1
	v_and_b32_e32 v44, 7, v40
	v_ffbh_u32_e32 v50, v44
	v_min_u32_e32 v56, 32, v50
	v_subrev_u32_e32 v50, 28, v56
	v_lshlrev_b64 v[50:51], v50, v[40:41]
	v_lshrrev_b32_e32 v46, 3, v42
	v_sub_u32_e32 v51, 29, v56
	v_and_b32_e32 v50, 7, v50
	v_cmp_gt_u32_e32 vcc, 8, v42
	v_cndmask_b32_e32 v42, v46, v51, vcc
	v_cndmask_b32_e32 v44, v44, v50, vcc
	v_lshlrev_b32_e32 v46, 24, v40
	v_lshlrev_b32_e32 v44, 20, v44
	v_and_b32_e32 v46, 0x80000000, v46
	v_lshl_add_u32 v42, v42, 23, v55
	v_or3_b32 v42, v46, v42, v44
	v_lshrrev_b32_e32 v46, 16, v42
.LBB938_555:                            ;   in Loop: Header=BB938_215 Depth=1
	s_or_b64 exec, exec, s[18:19]
.LBB938_556:                            ;   in Loop: Header=BB938_215 Depth=1
	s_or_b64 exec, exec, s[16:17]
.LBB938_557:                            ;   in Loop: Header=BB938_215 Depth=1
	s_or_b64 exec, exec, s[14:15]
	v_lshrrev_b16_e32 v42, 8, v40
	v_cmp_ne_u16_e32 vcc, 0, v42
	v_mov_b32_e32 v50, 0
	v_mov_b32_e32 v44, 0
	s_and_saveexec_b64 s[14:15], vcc
	s_cbranch_execz .LBB938_563
; %bb.558:                              ;   in Loop: Header=BB938_215 Depth=1
	v_cmp_ne_u16_e32 vcc, s9, v42
	v_mov_b32_e32 v44, 0xffff8000
	s_and_saveexec_b64 s[16:17], vcc
	s_cbranch_execz .LBB938_562
; %bb.559:                              ;   in Loop: Header=BB938_215 Depth=1
	v_and_b32_e32 v51, 0x7f, v42
	v_cmp_ne_u32_e32 vcc, s23, v51
	v_mov_b32_e32 v44, 0x7f80
	s_and_saveexec_b64 s[18:19], vcc
	s_cbranch_execz .LBB938_561
; %bb.560:                              ;   in Loop: Header=BB938_215 Depth=1
	v_and_b32_e32 v44, 7, v42
	v_ffbh_u32_e32 v56, v44
	v_min_u32_e32 v59, 32, v56
	v_subrev_u32_e32 v56, 28, v59
	v_lshlrev_b64 v[56:57], v56, v[42:43]
	v_lshrrev_b32_e32 v58, 3, v51
	v_sub_u32_e32 v42, 29, v59
	v_and_b32_e32 v56, 7, v56
	v_cmp_gt_u32_e32 vcc, 8, v51
	v_cndmask_b32_e32 v42, v58, v42, vcc
	v_cndmask_b32_e32 v44, v44, v56, vcc
	v_lshlrev_b32_e32 v51, 16, v40
	v_lshlrev_b32_e32 v44, 20, v44
	v_and_b32_e32 v51, 0x80000000, v51
	v_lshl_add_u32 v42, v42, 23, v55
	v_or3_b32 v42, v51, v42, v44
	v_lshrrev_b32_e32 v44, 16, v42
.LBB938_561:                            ;   in Loop: Header=BB938_215 Depth=1
	s_or_b64 exec, exec, s[18:19]
.LBB938_562:                            ;   in Loop: Header=BB938_215 Depth=1
	s_or_b64 exec, exec, s[16:17]
.LBB938_563:                            ;   in Loop: Header=BB938_215 Depth=1
	s_or_b64 exec, exec, s[14:15]
	v_lshrrev_b32_e32 v42, 16, v40
	v_cmp_ne_u16_sdwa s[16:17], v42, v54 src0_sel:BYTE_0 src1_sel:DWORD
	s_and_saveexec_b64 s[14:15], s[16:17]
	s_cbranch_execz .LBB938_569
; %bb.564:                              ;   in Loop: Header=BB938_215 Depth=1
	v_cmp_ne_u16_sdwa s[18:19], v42, s9 src0_sel:BYTE_0 src1_sel:DWORD
	v_mov_b32_e32 v50, 0xffff8000
	s_and_saveexec_b64 s[16:17], s[18:19]
	s_cbranch_execz .LBB938_568
; %bb.565:                              ;   in Loop: Header=BB938_215 Depth=1
	v_bfe_u32 v51, v40, 16, 7
	v_cmp_ne_u32_e32 vcc, s23, v51
	v_mov_b32_e32 v50, 0x7f80
	s_and_saveexec_b64 s[18:19], vcc
	s_cbranch_execz .LBB938_567
; %bb.566:                              ;   in Loop: Header=BB938_215 Depth=1
	v_and_b32_e32 v50, 7, v42
	v_ffbh_u32_e32 v56, v50
	v_min_u32_e32 v59, 32, v56
	v_subrev_u32_e32 v56, 28, v59
	v_lshlrev_b64 v[56:57], v56, v[42:43]
	v_lshrrev_b32_e32 v58, 3, v51
	v_sub_u32_e32 v57, 29, v59
	v_and_b32_e32 v56, 7, v56
	v_cmp_gt_u32_e32 vcc, 8, v51
	v_cndmask_b32_e32 v51, v58, v57, vcc
	v_cndmask_b32_e32 v50, v50, v56, vcc
	v_lshlrev_b32_e32 v42, 24, v42
	v_lshlrev_b32_e32 v50, 20, v50
	v_and_b32_e32 v42, 0x80000000, v42
	v_lshl_add_u32 v51, v51, 23, v55
	v_or3_b32 v42, v42, v51, v50
	v_lshrrev_b32_e32 v50, 16, v42
.LBB938_567:                            ;   in Loop: Header=BB938_215 Depth=1
	s_or_b64 exec, exec, s[18:19]
.LBB938_568:                            ;   in Loop: Header=BB938_215 Depth=1
	s_or_b64 exec, exec, s[16:17]
.LBB938_569:                            ;   in Loop: Header=BB938_215 Depth=1
	s_or_b64 exec, exec, s[14:15]
	v_cmp_lt_u32_e32 vcc, s24, v40
	v_mov_b32_e32 v51, 0
	v_mov_b32_e32 v56, 0
	s_and_saveexec_b64 s[14:15], vcc
	s_cbranch_execz .LBB938_575
; %bb.570:                              ;   in Loop: Header=BB938_215 Depth=1
	v_lshrrev_b32_e32 v42, 24, v40
	v_cmp_ne_u32_e32 vcc, s9, v42
	v_mov_b32_e32 v56, 0xffff8000
	s_and_saveexec_b64 s[16:17], vcc
	s_cbranch_execz .LBB938_574
; %bb.571:                              ;   in Loop: Header=BB938_215 Depth=1
	v_bfe_u32 v40, v40, 24, 7
	v_cmp_ne_u32_e32 vcc, s23, v40
	v_mov_b32_e32 v56, 0x7f80
	s_and_saveexec_b64 s[18:19], vcc
	s_cbranch_execz .LBB938_573
; %bb.572:                              ;   in Loop: Header=BB938_215 Depth=1
	v_and_b32_e32 v58, 7, v42
	v_ffbh_u32_e32 v56, v58
	v_min_u32_e32 v60, 32, v56
	v_subrev_u32_e32 v56, 28, v60
	v_lshlrev_b64 v[56:57], v56, v[42:43]
	v_lshrrev_b32_e32 v59, 3, v40
	v_sub_u32_e32 v57, 29, v60
	v_and_b32_e32 v56, 7, v56
	v_cmp_gt_u32_e32 vcc, 8, v40
	v_cndmask_b32_e32 v40, v59, v57, vcc
	v_cndmask_b32_e32 v56, v58, v56, vcc
	v_lshlrev_b32_e32 v42, 24, v42
	v_lshlrev_b32_e32 v56, 20, v56
	v_and_b32_e32 v42, 0x80000000, v42
	v_lshl_add_u32 v40, v40, 23, v55
	v_or3_b32 v40, v42, v40, v56
	v_lshrrev_b32_e32 v56, 16, v40
.LBB938_573:                            ;   in Loop: Header=BB938_215 Depth=1
	s_or_b64 exec, exec, s[18:19]
.LBB938_574:                            ;   in Loop: Header=BB938_215 Depth=1
	s_or_b64 exec, exec, s[16:17]
.LBB938_575:                            ;   in Loop: Header=BB938_215 Depth=1
	s_or_b64 exec, exec, s[14:15]
	s_waitcnt vmcnt(0)
	v_cmp_ne_u16_sdwa s[16:17], v38, v54 src0_sel:BYTE_0 src1_sel:DWORD
	s_and_saveexec_b64 s[14:15], s[16:17]
	s_cbranch_execz .LBB938_581
; %bb.576:                              ;   in Loop: Header=BB938_215 Depth=1
	v_cmp_ne_u16_sdwa s[18:19], v38, s9 src0_sel:BYTE_0 src1_sel:DWORD
	v_mov_b32_e32 v51, 0xffff8000
	s_and_saveexec_b64 s[16:17], s[18:19]
	s_cbranch_execz .LBB938_580
; %bb.577:                              ;   in Loop: Header=BB938_215 Depth=1
	v_and_b32_e32 v40, 0x7f, v38
	v_cmp_ne_u32_e32 vcc, s23, v40
	v_mov_b32_e32 v51, 0x7f80
	s_and_saveexec_b64 s[18:19], vcc
	s_cbranch_execz .LBB938_579
; %bb.578:                              ;   in Loop: Header=BB938_215 Depth=1
	v_and_b32_e32 v42, 7, v38
	v_ffbh_u32_e32 v57, v42
	v_min_u32_e32 v57, 32, v57
	v_subrev_u32_e32 v58, 28, v57
	v_lshlrev_b64 v[58:59], v58, v[38:39]
	v_lshrrev_b32_e32 v51, 3, v40
	v_sub_u32_e32 v57, 29, v57
	v_and_b32_e32 v58, 7, v58
	v_cmp_gt_u32_e32 vcc, 8, v40
	v_cndmask_b32_e32 v40, v51, v57, vcc
	v_cndmask_b32_e32 v42, v42, v58, vcc
	v_lshlrev_b32_e32 v51, 24, v38
	v_lshlrev_b32_e32 v42, 20, v42
	v_and_b32_e32 v51, 0x80000000, v51
	v_lshl_add_u32 v40, v40, 23, v55
	v_or3_b32 v40, v51, v40, v42
	v_lshrrev_b32_e32 v51, 16, v40
.LBB938_579:                            ;   in Loop: Header=BB938_215 Depth=1
	s_or_b64 exec, exec, s[18:19]
.LBB938_580:                            ;   in Loop: Header=BB938_215 Depth=1
	s_or_b64 exec, exec, s[16:17]
.LBB938_581:                            ;   in Loop: Header=BB938_215 Depth=1
	s_or_b64 exec, exec, s[14:15]
	v_lshrrev_b16_e32 v40, 8, v38
	v_cmp_ne_u16_e32 vcc, 0, v40
	v_mov_b32_e32 v57, 0
	v_mov_b32_e32 v42, 0
	s_and_saveexec_b64 s[14:15], vcc
	s_cbranch_execz .LBB938_587
; %bb.582:                              ;   in Loop: Header=BB938_215 Depth=1
	v_cmp_ne_u16_e32 vcc, s9, v40
	v_mov_b32_e32 v42, 0xffff8000
	s_and_saveexec_b64 s[16:17], vcc
	s_cbranch_execz .LBB938_586
; %bb.583:                              ;   in Loop: Header=BB938_215 Depth=1
	v_and_b32_e32 v58, 0x7f, v40
	v_cmp_ne_u32_e32 vcc, s23, v58
	v_mov_b32_e32 v42, 0x7f80
	s_and_saveexec_b64 s[18:19], vcc
	s_cbranch_execz .LBB938_585
; %bb.584:                              ;   in Loop: Header=BB938_215 Depth=1
	v_and_b32_e32 v42, 7, v40
	v_ffbh_u32_e32 v60, v42
	v_min_u32_e32 v62, 32, v60
	v_subrev_u32_e32 v60, 28, v62
	v_lshlrev_b64 v[60:61], v60, v[40:41]
	v_lshrrev_b32_e32 v59, 3, v58
	v_sub_u32_e32 v40, 29, v62
	v_and_b32_e32 v60, 7, v60
	v_cmp_gt_u32_e32 vcc, 8, v58
	v_cndmask_b32_e32 v40, v59, v40, vcc
	v_cndmask_b32_e32 v42, v42, v60, vcc
	v_lshlrev_b32_e32 v58, 16, v38
	v_lshlrev_b32_e32 v42, 20, v42
	v_and_b32_e32 v58, 0x80000000, v58
	v_lshl_add_u32 v40, v40, 23, v55
	v_or3_b32 v40, v58, v40, v42
	v_lshrrev_b32_e32 v42, 16, v40
.LBB938_585:                            ;   in Loop: Header=BB938_215 Depth=1
	s_or_b64 exec, exec, s[18:19]
.LBB938_586:                            ;   in Loop: Header=BB938_215 Depth=1
	s_or_b64 exec, exec, s[16:17]
.LBB938_587:                            ;   in Loop: Header=BB938_215 Depth=1
	s_or_b64 exec, exec, s[14:15]
	v_lshrrev_b32_e32 v40, 16, v38
	v_cmp_ne_u16_sdwa s[16:17], v40, v54 src0_sel:BYTE_0 src1_sel:DWORD
	s_and_saveexec_b64 s[14:15], s[16:17]
	s_cbranch_execz .LBB938_593
; %bb.588:                              ;   in Loop: Header=BB938_215 Depth=1
	v_cmp_ne_u16_sdwa s[18:19], v40, s9 src0_sel:BYTE_0 src1_sel:DWORD
	v_mov_b32_e32 v57, 0xffff8000
	s_and_saveexec_b64 s[16:17], s[18:19]
	s_cbranch_execz .LBB938_592
; %bb.589:                              ;   in Loop: Header=BB938_215 Depth=1
	v_bfe_u32 v58, v38, 16, 7
	v_cmp_ne_u32_e32 vcc, s23, v58
	v_mov_b32_e32 v57, 0x7f80
	s_and_saveexec_b64 s[18:19], vcc
	s_cbranch_execz .LBB938_591
; %bb.590:                              ;   in Loop: Header=BB938_215 Depth=1
	v_and_b32_e32 v57, 7, v40
	v_ffbh_u32_e32 v60, v57
	v_min_u32_e32 v62, 32, v60
	v_subrev_u32_e32 v60, 28, v62
	v_lshlrev_b64 v[60:61], v60, v[40:41]
	v_lshrrev_b32_e32 v59, 3, v58
	v_sub_u32_e32 v61, 29, v62
	v_and_b32_e32 v60, 7, v60
	v_cmp_gt_u32_e32 vcc, 8, v58
	v_cndmask_b32_e32 v58, v59, v61, vcc
	v_cndmask_b32_e32 v57, v57, v60, vcc
	v_lshlrev_b32_e32 v40, 24, v40
	v_lshlrev_b32_e32 v57, 20, v57
	v_and_b32_e32 v40, 0x80000000, v40
	v_lshl_add_u32 v58, v58, 23, v55
	v_or3_b32 v40, v40, v58, v57
	v_lshrrev_b32_e32 v57, 16, v40
.LBB938_591:                            ;   in Loop: Header=BB938_215 Depth=1
	s_or_b64 exec, exec, s[18:19]
.LBB938_592:                            ;   in Loop: Header=BB938_215 Depth=1
	s_or_b64 exec, exec, s[16:17]
.LBB938_593:                            ;   in Loop: Header=BB938_215 Depth=1
	s_or_b64 exec, exec, s[14:15]
	v_cmp_lt_u32_e32 vcc, s24, v38
	v_mov_b32_e32 v58, 0
	s_and_saveexec_b64 s[14:15], vcc
	s_cbranch_execz .LBB938_214
; %bb.594:                              ;   in Loop: Header=BB938_215 Depth=1
	v_lshrrev_b32_e32 v40, 24, v38
	v_cmp_ne_u32_e32 vcc, s9, v40
	v_mov_b32_e32 v58, 0xffff8000
	s_and_saveexec_b64 s[16:17], vcc
	s_cbranch_execz .LBB938_213
; %bb.595:                              ;   in Loop: Header=BB938_215 Depth=1
	v_bfe_u32 v38, v38, 24, 7
	v_cmp_ne_u32_e32 vcc, s23, v38
	v_mov_b32_e32 v58, 0x7f80
	s_and_saveexec_b64 s[18:19], vcc
	s_cbranch_execz .LBB938_212
; %bb.596:                              ;   in Loop: Header=BB938_215 Depth=1
	v_and_b32_e32 v60, 7, v40
	v_ffbh_u32_e32 v58, v60
	v_min_u32_e32 v62, 32, v58
	v_subrev_u32_e32 v58, 28, v62
	v_lshlrev_b64 v[58:59], v58, v[40:41]
	v_lshrrev_b32_e32 v61, 3, v38
	v_sub_u32_e32 v59, 29, v62
	v_and_b32_e32 v58, 7, v58
	v_cmp_gt_u32_e32 vcc, 8, v38
	v_cndmask_b32_e32 v38, v61, v59, vcc
	v_cndmask_b32_e32 v58, v60, v58, vcc
	v_lshlrev_b32_e32 v40, 24, v40
	v_lshlrev_b32_e32 v58, 20, v58
	v_and_b32_e32 v40, 0x80000000, v40
	v_lshl_add_u32 v38, v38, 23, v55
	v_or3_b32 v38, v40, v38, v58
	v_lshrrev_b32_e32 v58, 16, v38
	s_branch .LBB938_212
.LBB938_597:
	s_barrier
	buffer_load_dword v2, off, s[0:3], 0 offset:320
	buffer_load_dword v5, off, s[0:3], 0 offset:332
	;; [unrolled: 1-line block ×4, first 2 shown]
	v_cmp_gt_u32_e32 vcc, 64, v0
	s_waitcnt vmcnt(0)
	ds_write2st64_b64 v52, v[2:3], v[4:5] offset1:1
	s_waitcnt lgkmcnt(0)
	s_barrier
	s_and_saveexec_b64 s[6:7], vcc
	s_cbranch_execz .LBB938_600
; %bb.598:
	s_lshl_b32 s6, s48, 7
	s_mul_i32 s7, s20, s8
	s_mul_hi_u32 s11, s7, s6
	s_mul_i32 s10, s7, s6
	s_lshl_b64 s[10:11], s[10:11], 1
	v_lshlrev_b32_e32 v4, 6, v41
	s_add_u32 s7, s50, s10
	v_lshl_or_b32 v0, v0, 10, v4
	s_mov_b32 s9, 0
	s_addc_u32 s10, s51, s11
	s_lshl_b32 s8, s26, 7
	v_lshlrev_b32_e32 v2, 5, v1
	v_and_b32_e32 v3, 16, v43
	v_and_b32_e32 v0, 0x1a00, v0
	s_lshl_b64 s[8:9], s[8:9], 1
	v_or3_b32 v0, v0, v2, v3
	s_add_u32 s7, s7, s8
	ds_read_b128 v[4:7], v0 offset:256
	s_addc_u32 s8, s10, s9
	ds_read_b128 v[8:11], v0 offset:128
	ds_read_b128 v[12:15], v0
	v_add_u32_e32 v18, s27, v1
	v_mov_b32_e32 v3, s8
	v_add_co_u32_e32 v2, vcc, s7, v39
	v_mad_u64_u32 v[16:17], s[8:9], v18, s6, 0
	v_addc_co_u32_e32 v3, vcc, 0, v3, vcc
	v_lshlrev_b64 v[16:17], 1, v[16:17]
	v_add_co_u32_e32 v16, vcc, v2, v16
	v_addc_co_u32_e32 v17, vcc, v3, v17, vcc
	s_waitcnt lgkmcnt(0)
	global_store_dwordx4 v[16:17], v[12:15], off
	s_nop 0
	v_add_u32_e32 v12, 4, v18
	v_mad_u64_u32 v[12:13], s[8:9], v12, s6, 0
	v_lshlrev_b64 v[12:13], 1, v[12:13]
	v_add_co_u32_e32 v12, vcc, v2, v12
	v_addc_co_u32_e32 v13, vcc, v3, v13, vcc
	global_store_dwordx4 v[12:13], v[8:11], off
	s_nop 0
	v_add_u32_e32 v8, 8, v18
	v_mad_u64_u32 v[8:9], s[8:9], v8, s6, 0
	v_lshlrev_b64 v[8:9], 1, v[8:9]
	v_add_co_u32_e32 v8, vcc, v2, v8
	v_addc_co_u32_e32 v9, vcc, v3, v9, vcc
	global_store_dwordx4 v[8:9], v[4:7], off
	s_and_b64 exec, exec, s[4:5]
	s_cbranch_execz .LBB938_600
; %bb.599:
	ds_read_b128 v[4:7], v0 offset:384
	v_add3_u32 v0, s27, v1, 12
	v_mad_u64_u32 v[0:1], s[4:5], v0, s6, 0
	v_lshlrev_b64 v[0:1], 1, v[0:1]
	v_add_co_u32_e32 v0, vcc, v2, v0
	v_addc_co_u32_e32 v1, vcc, v3, v1, vcc
	s_waitcnt lgkmcnt(0)
	global_store_dwordx4 v[0:1], v[4:7], off
.LBB938_600:
	s_endpgm
	.section	.rodata,"a",@progbits
	.p2align	6, 0x0
	.amdhsa_kernel _Z39paged_attention_ll4mi_QKV_mfma16_kernelI14__hip_bfloat16hLN4vllm18Fp8KVCacheDataTypeE1ES0_Li32ELi128ELi256ELb1ELi13EL8MFMAType0EEvPKT_PKT0_S9_ifPKiSB_SB_iPKfiiiPfSE_PS4_PT2_iSD_SD_
		.amdhsa_group_segment_fixed_size 8192
		.amdhsa_private_segment_fixed_size 352
		.amdhsa_kernarg_size 400
		.amdhsa_user_sgpr_count 8
		.amdhsa_user_sgpr_private_segment_buffer 1
		.amdhsa_user_sgpr_dispatch_ptr 0
		.amdhsa_user_sgpr_queue_ptr 0
		.amdhsa_user_sgpr_kernarg_segment_ptr 1
		.amdhsa_user_sgpr_dispatch_id 0
		.amdhsa_user_sgpr_flat_scratch_init 1
		.amdhsa_user_sgpr_kernarg_preload_length 0
		.amdhsa_user_sgpr_kernarg_preload_offset 0
		.amdhsa_user_sgpr_private_segment_size 0
		.amdhsa_uses_dynamic_stack 0
		.amdhsa_system_sgpr_private_segment_wavefront_offset 1
		.amdhsa_system_sgpr_workgroup_id_x 1
		.amdhsa_system_sgpr_workgroup_id_y 1
		.amdhsa_system_sgpr_workgroup_id_z 1
		.amdhsa_system_sgpr_workgroup_info 0
		.amdhsa_system_vgpr_workitem_id 0
		.amdhsa_next_free_vgpr 80
		.amdhsa_next_free_sgpr 53
		.amdhsa_accum_offset 80
		.amdhsa_reserve_vcc 1
		.amdhsa_reserve_flat_scratch 0
		.amdhsa_float_round_mode_32 0
		.amdhsa_float_round_mode_16_64 0
		.amdhsa_float_denorm_mode_32 3
		.amdhsa_float_denorm_mode_16_64 3
		.amdhsa_dx10_clamp 1
		.amdhsa_ieee_mode 1
		.amdhsa_fp16_overflow 0
		.amdhsa_tg_split 0
		.amdhsa_exception_fp_ieee_invalid_op 0
		.amdhsa_exception_fp_denorm_src 0
		.amdhsa_exception_fp_ieee_div_zero 0
		.amdhsa_exception_fp_ieee_overflow 0
		.amdhsa_exception_fp_ieee_underflow 0
		.amdhsa_exception_fp_ieee_inexact 0
		.amdhsa_exception_int_div_zero 0
	.end_amdhsa_kernel
	.section	.text._Z39paged_attention_ll4mi_QKV_mfma16_kernelI14__hip_bfloat16hLN4vllm18Fp8KVCacheDataTypeE1ES0_Li32ELi128ELi256ELb1ELi13EL8MFMAType0EEvPKT_PKT0_S9_ifPKiSB_SB_iPKfiiiPfSE_PS4_PT2_iSD_SD_,"axG",@progbits,_Z39paged_attention_ll4mi_QKV_mfma16_kernelI14__hip_bfloat16hLN4vllm18Fp8KVCacheDataTypeE1ES0_Li32ELi128ELi256ELb1ELi13EL8MFMAType0EEvPKT_PKT0_S9_ifPKiSB_SB_iPKfiiiPfSE_PS4_PT2_iSD_SD_,comdat
.Lfunc_end938:
	.size	_Z39paged_attention_ll4mi_QKV_mfma16_kernelI14__hip_bfloat16hLN4vllm18Fp8KVCacheDataTypeE1ES0_Li32ELi128ELi256ELb1ELi13EL8MFMAType0EEvPKT_PKT0_S9_ifPKiSB_SB_iPKfiiiPfSE_PS4_PT2_iSD_SD_, .Lfunc_end938-_Z39paged_attention_ll4mi_QKV_mfma16_kernelI14__hip_bfloat16hLN4vllm18Fp8KVCacheDataTypeE1ES0_Li32ELi128ELi256ELb1ELi13EL8MFMAType0EEvPKT_PKT0_S9_ifPKiSB_SB_iPKfiiiPfSE_PS4_PT2_iSD_SD_
                                        ; -- End function
	.section	.AMDGPU.csdata,"",@progbits
; Kernel info:
; codeLenInByte = 22612
; NumSgprs: 57
; NumVgprs: 80
; NumAgprs: 0
; TotalNumVgprs: 80
; ScratchSize: 352
; MemoryBound: 0
; FloatMode: 240
; IeeeMode: 1
; LDSByteSize: 8192 bytes/workgroup (compile time only)
; SGPRBlocks: 7
; VGPRBlocks: 9
; NumSGPRsForWavesPerEU: 57
; NumVGPRsForWavesPerEU: 80
; AccumOffset: 80
; Occupancy: 6
; WaveLimiterHint : 1
; COMPUTE_PGM_RSRC2:SCRATCH_EN: 1
; COMPUTE_PGM_RSRC2:USER_SGPR: 8
; COMPUTE_PGM_RSRC2:TRAP_HANDLER: 0
; COMPUTE_PGM_RSRC2:TGID_X_EN: 1
; COMPUTE_PGM_RSRC2:TGID_Y_EN: 1
; COMPUTE_PGM_RSRC2:TGID_Z_EN: 1
; COMPUTE_PGM_RSRC2:TIDIG_COMP_CNT: 0
; COMPUTE_PGM_RSRC3_GFX90A:ACCUM_OFFSET: 19
; COMPUTE_PGM_RSRC3_GFX90A:TG_SPLIT: 0
	.section	.text._Z39paged_attention_ll4mi_QKV_mfma16_kernelI14__hip_bfloat16hLN4vllm18Fp8KVCacheDataTypeE1ES0_Li32ELi128ELi256ELb1ELi14EL8MFMAType0EEvPKT_PKT0_S9_ifPKiSB_SB_iPKfiiiPfSE_PS4_PT2_iSD_SD_,"axG",@progbits,_Z39paged_attention_ll4mi_QKV_mfma16_kernelI14__hip_bfloat16hLN4vllm18Fp8KVCacheDataTypeE1ES0_Li32ELi128ELi256ELb1ELi14EL8MFMAType0EEvPKT_PKT0_S9_ifPKiSB_SB_iPKfiiiPfSE_PS4_PT2_iSD_SD_,comdat
	.protected	_Z39paged_attention_ll4mi_QKV_mfma16_kernelI14__hip_bfloat16hLN4vllm18Fp8KVCacheDataTypeE1ES0_Li32ELi128ELi256ELb1ELi14EL8MFMAType0EEvPKT_PKT0_S9_ifPKiSB_SB_iPKfiiiPfSE_PS4_PT2_iSD_SD_ ; -- Begin function _Z39paged_attention_ll4mi_QKV_mfma16_kernelI14__hip_bfloat16hLN4vllm18Fp8KVCacheDataTypeE1ES0_Li32ELi128ELi256ELb1ELi14EL8MFMAType0EEvPKT_PKT0_S9_ifPKiSB_SB_iPKfiiiPfSE_PS4_PT2_iSD_SD_
	.globl	_Z39paged_attention_ll4mi_QKV_mfma16_kernelI14__hip_bfloat16hLN4vllm18Fp8KVCacheDataTypeE1ES0_Li32ELi128ELi256ELb1ELi14EL8MFMAType0EEvPKT_PKT0_S9_ifPKiSB_SB_iPKfiiiPfSE_PS4_PT2_iSD_SD_
	.p2align	8
	.type	_Z39paged_attention_ll4mi_QKV_mfma16_kernelI14__hip_bfloat16hLN4vllm18Fp8KVCacheDataTypeE1ES0_Li32ELi128ELi256ELb1ELi14EL8MFMAType0EEvPKT_PKT0_S9_ifPKiSB_SB_iPKfiiiPfSE_PS4_PT2_iSD_SD_,@function
_Z39paged_attention_ll4mi_QKV_mfma16_kernelI14__hip_bfloat16hLN4vllm18Fp8KVCacheDataTypeE1ES0_Li32ELi128ELi256ELb1ELi14EL8MFMAType0EEvPKT_PKT0_S9_ifPKiSB_SB_iPKfiiiPfSE_PS4_PT2_iSD_SD_: ; @_Z39paged_attention_ll4mi_QKV_mfma16_kernelI14__hip_bfloat16hLN4vllm18Fp8KVCacheDataTypeE1ES0_Li32ELi128ELi256ELb1ELi14EL8MFMAType0EEvPKT_PKT0_S9_ifPKiSB_SB_iPKfiiiPfSE_PS4_PT2_iSD_SD_
; %bb.0:
	s_load_dwordx2 s[6:7], s[4:5], 0x30
	s_add_u32 s0, s0, s11
	s_addc_u32 s1, s1, 0
	s_mov_b32 s26, s9
	s_mov_b64 s[14:15], 0
	s_waitcnt lgkmcnt(0)
	s_cmp_lg_u64 s[6:7], 0
	s_cselect_b64 s[12:13], -1, 0
	s_and_b64 vcc, exec, s[12:13]
	s_cbranch_vccz .LBB939_7
; %bb.1:
	s_add_i32 s16, s8, 1
	s_mov_b32 s17, 0
	s_lshl_b64 s[18:19], s[16:17], 2
	s_add_u32 s18, s6, s18
	s_mov_b32 s9, s17
	s_addc_u32 s19, s7, s19
	s_lshl_b64 s[16:17], s[8:9], 2
	s_add_u32 s16, s6, s16
	s_addc_u32 s17, s7, s17
	s_load_dword s11, s[18:19], 0x0
	s_load_dword s20, s[16:17], 0x0
	s_waitcnt lgkmcnt(0)
	s_sub_i32 s11, s11, s20
	s_cmp_eq_u32 s11, 1
	s_cselect_b64 s[16:17], -1, 0
	s_andn2_b64 vcc, exec, s[14:15]
	s_cbranch_vccnz .LBB939_3
.LBB939_2:
	s_mov_b32 s9, 0
	s_mov_b64 s[16:17], -1
.LBB939_3:
	s_andn2_b64 vcc, exec, s[16:17]
	s_cbranch_vccnz .LBB939_600
; %bb.4:
	s_load_dwordx2 s[16:17], s[4:5], 0x28
	s_lshl_b64 s[14:15], s[8:9], 2
	s_waitcnt lgkmcnt(0)
	s_add_u32 s16, s16, s14
	s_addc_u32 s17, s17, s15
	s_load_dword s33, s[16:17], 0x0
	s_lshl_b32 s20, s26, 8
	s_waitcnt lgkmcnt(0)
	s_cmp_ge_i32 s20, s33
	s_cbranch_scc1 .LBB939_600
; %bb.5:
	s_add_i32 s18, s33, 31
	s_load_dwordx2 s[16:17], s[4:5], 0x20
	s_load_dword s11, s[4:5], 0x38
	s_ashr_i32 s19, s18, 31
	v_and_b32_e32 v1, 0xcf, v0
	s_lshr_b32 s19, s19, 27
	v_add_u32_e32 v1, s20, v1
	s_add_i32 s18, s18, s19
	v_ashrrev_i32_e32 v2, 31, v1
	s_ashr_i32 s23, s18, 5
	v_lshrrev_b32_e32 v4, 27, v2
	s_add_i32 s23, s23, -1
	v_add_u32_e32 v2, v1, v4
	s_waitcnt lgkmcnt(0)
	s_mul_i32 s18, s8, s11
	s_mov_b32 s19, 0
	v_ashrrev_i32_e32 v2, 5, v2
	v_mov_b32_e32 v5, s23
	v_cmp_gt_i32_e32 vcc, s33, v1
	s_lshl_b64 s[18:19], s[18:19], 2
	v_cndmask_b32_e32 v2, v5, v2, vcc
	s_add_u32 s21, s16, s18
	v_ashrrev_i32_e32 v3, 31, v2
	s_addc_u32 s22, s17, s19
	v_lshlrev_b64 v[2:3], 2, v[2:3]
	v_mov_b32_e32 v7, s22
	v_add_co_u32_e32 v6, vcc, s21, v2
	v_or_b32_e32 v2, 16, v1
	v_addc_co_u32_e32 v7, vcc, v7, v3, vcc
	v_add_u32_e32 v3, v2, v4
	v_ashrrev_i32_e32 v3, 5, v3
	v_cmp_gt_i32_e32 vcc, s33, v2
	v_cndmask_b32_e32 v2, v5, v3, vcc
	v_ashrrev_i32_e32 v3, 31, v2
	v_lshlrev_b64 v[2:3], 2, v[2:3]
	v_mov_b32_e32 v9, s22
	v_add_co_u32_e32 v8, vcc, s21, v2
	v_or_b32_e32 v2, 32, v1
	v_addc_co_u32_e32 v9, vcc, v9, v3, vcc
	v_add_u32_e32 v3, v2, v4
	v_ashrrev_i32_e32 v3, 5, v3
	v_cmp_gt_i32_e32 vcc, s33, v2
	v_cndmask_b32_e32 v2, v5, v3, vcc
	v_ashrrev_i32_e32 v3, 31, v2
	;; [unrolled: 10-line block ×3, first 2 shown]
	v_lshlrev_b64 v[2:3], 2, v[2:3]
	v_mov_b32_e32 v1, s22
	v_add_co_u32_e32 v12, vcc, s21, v2
	v_addc_co_u32_e32 v13, vcc, v1, v3, vcc
	global_load_dword v5, v[6:7], off
	global_load_dword v4, v[8:9], off
	;; [unrolled: 1-line block ×4, first 2 shown]
	s_load_dwordx2 s[16:17], s[4:5], 0x8
	s_andn2_b64 vcc, exec, s[12:13]
	s_cbranch_vccnz .LBB939_8
; %bb.6:
	s_add_u32 s6, s6, s14
	s_addc_u32 s7, s7, s15
	s_load_dword s11, s[6:7], 0x0
	s_branch .LBB939_9
.LBB939_7:
	s_mov_b64 s[16:17], 0
	s_branch .LBB939_2
.LBB939_8:
	s_mov_b32 s11, s8
.LBB939_9:
	s_load_dwordx2 s[6:7], s[4:5], 0x10
	s_load_dwordx4 s[12:15], s[4:5], 0x48
	v_lshrrev_b32_e32 v27, 6, v0
	v_bfe_u32 v1, v0, 4, 2
	v_and_b32_e32 v41, 15, v0
	v_lshl_or_b32 v6, v27, 2, v1
	v_lshlrev_b32_e32 v7, 3, v41
	s_mul_i32 s27, s10, 14
	v_cmp_gt_u32_e32 vcc, 14, v6
	v_lshlrev_b32_e32 v39, 1, v7
	v_lshlrev_b32_e32 v43, 4, v0
	s_and_saveexec_b64 s[18:19], vcc
	s_cbranch_execz .LBB939_11
; %bb.10:
	s_load_dwordx2 s[24:25], s[4:5], 0x0
	s_waitcnt lgkmcnt(0)
	s_ashr_i32 s15, s12, 31
	s_mul_hi_u32 s28, s11, s12
	s_mul_i32 s15, s11, s15
	s_add_i32 s29, s28, s15
	s_mul_i32 s28, s11, s12
	s_lshl_b64 s[28:29], s[28:29], 1
	v_add_lshl_u32 v8, v6, s27, 7
	s_add_u32 s11, s24, s28
	v_ashrrev_i32_e32 v9, 31, v8
	s_addc_u32 s12, s25, s29
	v_lshlrev_b64 v[8:9], 1, v[8:9]
	v_mov_b32_e32 v7, s12
	v_add_co_u32_e32 v8, vcc, s11, v8
	v_addc_co_u32_e32 v7, vcc, v7, v9, vcc
	v_add_co_u32_e32 v8, vcc, v8, v39
	v_addc_co_u32_e32 v9, vcc, 0, v7, vcc
	global_load_dwordx4 v[8:11], v[8:9], off
	v_lshlrev_b32_e32 v12, 8, v0
	v_lshlrev_b32_e32 v7, 8, v41
	v_and_b32_e32 v12, 0x600, v12
	s_movk_i32 s11, 0x800
	v_and_or_b32 v7, v7, s11, v12
	v_lshlrev_b32_e32 v6, 5, v6
	v_and_b32_e32 v12, 16, v43
	v_or3_b32 v6, v7, v6, v12
	s_waitcnt vmcnt(0)
	ds_write_b128 v6, v[8:11]
.LBB939_11:
	s_or_b64 exec, exec, s[18:19]
	s_waitcnt lgkmcnt(0)
	s_mul_i32 s14, s10, s14
	s_add_u32 s10, s16, s14
	s_addc_u32 s11, s17, 0
	v_pk_mov_b32 v[6:7], s[10:11], s[10:11] op_sel:[0,1]
	s_waitcnt vmcnt(3)
	v_mad_i64_i32 v[8:9], s[10:11], v5, s13, v[6:7]
	v_lshlrev_b32_e32 v11, 4, v41
	v_and_b32_e32 v18, 48, v0
	v_add_co_u32_e32 v5, vcc, v8, v11
	v_lshlrev_b32_e32 v10, 5, v18
	v_addc_co_u32_e32 v9, vcc, 0, v9, vcc
	v_add_co_u32_e32 v8, vcc, v5, v10
	v_addc_co_u32_e32 v9, vcc, 0, v9, vcc
	s_load_dwordx2 s[48:49], s[4:5], 0x94
	s_waitcnt lgkmcnt(0)
	s_barrier
	global_load_dwordx4 v[20:23], v[8:9], off
	global_load_dwordx4 v[28:31], v[8:9], off offset:2048
	s_waitcnt vmcnt(4)
	v_mad_i64_i32 v[4:5], s[10:11], v4, s13, v[6:7]
	v_or_b32_e32 v8, 0x100, v11
	v_add_co_u32_e32 v4, vcc, v4, v8
	v_addc_co_u32_e32 v5, vcc, 0, v5, vcc
	v_add_co_u32_e32 v4, vcc, v4, v10
	v_addc_co_u32_e32 v5, vcc, 0, v5, vcc
	global_load_dwordx4 v[32:35], v[4:5], off
	global_load_dwordx4 v[44:47], v[4:5], off offset:2048
	s_waitcnt vmcnt(5)
	v_mad_i64_i32 v[4:5], s[10:11], v3, s13, v[6:7]
	v_add_co_u32_e32 v3, vcc, v4, v11
	v_addc_co_u32_e32 v5, vcc, 0, v5, vcc
	v_add_co_u32_e32 v4, vcc, v3, v10
	v_addc_co_u32_e32 v5, vcc, 0, v5, vcc
	s_waitcnt vmcnt(4)
	v_mad_i64_i32 v[2:3], s[10:11], v2, s13, v[6:7]
	v_add_co_u32_e32 v2, vcc, v2, v8
	v_addc_co_u32_e32 v3, vcc, 0, v3, vcc
	v_add_co_u32_e32 v2, vcc, v2, v10
	v_addc_co_u32_e32 v3, vcc, 0, v3, vcc
	global_load_dwordx4 v[48:51], v[4:5], off
	global_load_dwordx4 v[52:55], v[4:5], off offset:2048
	global_load_dwordx4 v[56:59], v[2:3], off
	global_load_dwordx4 v[60:63], v[2:3], off offset:2048
	v_add_u32_e32 v2, -14, v41
	v_cmp_gt_u32_e32 vcc, 14, v41
	v_cndmask_b32_e32 v2, v2, v41, vcc
	v_lshlrev_b32_e32 v2, 5, v2
	v_lshl_add_u32 v14, v1, 9, v2
	s_load_dwordx2 s[50:51], s[4:5], 0x68
	s_load_dwordx4 s[44:47], s[4:5], 0x58
	ds_read_b128 v[2:5], v14
	ds_read_b128 v[6:9], v14 offset:16
	ds_read_b128 v[10:13], v14 offset:2048
	;; [unrolled: 1-line block ×3, first 2 shown]
	s_mov_b32 s12, 0
	s_waitcnt vmcnt(7)
	buffer_store_dword v23, off, s[0:3], 0 offset:12
	buffer_store_dword v22, off, s[0:3], 0 offset:8
	;; [unrolled: 1-line block ×3, first 2 shown]
	buffer_store_dword v20, off, s[0:3], 0
	s_waitcnt vmcnt(10)
	buffer_store_dword v31, off, s[0:3], 0 offset:28
	buffer_store_dword v30, off, s[0:3], 0 offset:24
	buffer_store_dword v29, off, s[0:3], 0 offset:20
	buffer_store_dword v28, off, s[0:3], 0 offset:16
	s_waitcnt vmcnt(13)
	buffer_store_dword v35, off, s[0:3], 0 offset:44
	buffer_store_dword v34, off, s[0:3], 0 offset:40
	buffer_store_dword v33, off, s[0:3], 0 offset:36
	buffer_store_dword v32, off, s[0:3], 0 offset:32
	;; [unrolled: 5-line block ×7, first 2 shown]
	v_mov_b32_e32 v35, 0
	v_mov_b32_e32 v31, 0
	s_and_saveexec_b64 s[10:11], vcc
	s_cbranch_execz .LBB939_13
; %bb.12:
	s_load_dwordx2 s[16:17], s[4:5], 0x40
	v_add_u32_e32 v20, s27, v41
	v_ashrrev_i32_e32 v21, 31, v20
	v_lshlrev_b64 v[20:21], 2, v[20:21]
	s_waitcnt lgkmcnt(0)
	v_mov_b32_e32 v19, s17
	v_add_co_u32_e32 v20, vcc, s16, v20
	v_addc_co_u32_e32 v21, vcc, v19, v21, vcc
	global_load_dword v31, v[20:21], off
.LBB939_13:
	s_or_b64 exec, exec, s[10:11]
	s_ashr_i32 s10, s20, 31
	v_or_b32_e32 v24, s20, v18
	s_lshr_b32 s10, s10, 27
	v_add_u32_e32 v18, s10, v24
	v_ashrrev_i32_e32 v18, 5, v18
	v_mov_b32_e32 v25, s23
	v_cmp_gt_i32_e32 vcc, s33, v24
	v_cndmask_b32_e32 v18, v25, v18, vcc
	v_ashrrev_i32_e32 v19, 31, v18
	v_lshlrev_b64 v[18:19], 2, v[18:19]
	v_mov_b32_e32 v20, s22
	v_add_co_u32_e32 v18, vcc, s21, v18
	v_addc_co_u32_e32 v19, vcc, v20, v19, vcc
	v_or_b32_e32 v20, 64, v24
	v_add_u32_e32 v21, s10, v20
	v_ashrrev_i32_e32 v21, 5, v21
	v_cmp_gt_i32_e32 vcc, s33, v20
	v_cndmask_b32_e32 v20, v25, v21, vcc
	v_ashrrev_i32_e32 v21, 31, v20
	v_lshlrev_b64 v[20:21], 2, v[20:21]
	v_mov_b32_e32 v22, s22
	v_add_co_u32_e32 v20, vcc, s21, v20
	v_addc_co_u32_e32 v21, vcc, v22, v21, vcc
	v_or_b32_e32 v22, 0x80, v24
	v_add_u32_e32 v23, s10, v22
	v_ashrrev_i32_e32 v23, 5, v23
	v_cmp_gt_i32_e32 vcc, s33, v22
	v_cndmask_b32_e32 v22, v25, v23, vcc
	v_ashrrev_i32_e32 v23, 31, v22
	v_lshlrev_b64 v[22:23], 2, v[22:23]
	v_mov_b32_e32 v26, s22
	v_add_co_u32_e32 v22, vcc, s21, v22
	v_addc_co_u32_e32 v23, vcc, v26, v23, vcc
	global_load_dword v26, v[18:19], off
	global_load_dword v28, v[20:21], off
	;; [unrolled: 1-line block ×3, first 2 shown]
	v_or_b32_e32 v18, 0xc0, v24
	v_add_u32_e32 v19, s10, v18
	v_ashrrev_i32_e32 v19, 5, v19
	v_cmp_gt_i32_e32 vcc, s33, v18
	v_cndmask_b32_e32 v18, v25, v19, vcc
	v_ashrrev_i32_e32 v19, 31, v18
	v_lshlrev_b64 v[18:19], 2, v[18:19]
	v_mov_b32_e32 v20, s22
	v_add_co_u32_e32 v18, vcc, s21, v18
	v_addc_co_u32_e32 v19, vcc, v20, v19, vcc
	global_load_dword v32, v[18:19], off
	s_add_u32 s6, s6, s14
	v_and_b32_e32 v18, 16, v0
	s_addc_u32 s7, s7, 0
	v_lshl_or_b32 v29, v27, 4, v41
	v_mov_b32_e32 v20, s7
	v_add_co_u32_e32 v34, vcc, s6, v18
	v_lshlrev_b32_e32 v19, 5, v29
	v_addc_co_u32_e32 v36, vcc, 0, v20, vcc
	v_add_co_u32_e32 v22, vcc, v34, v19
	v_addc_co_u32_e32 v23, vcc, 0, v36, vcc
	v_or_b32_e32 v33, 0x800, v19
	s_movk_i32 s14, 0x7f
	s_mov_b32 s15, 0xffffff
	s_mov_b32 s16, 0x5040100
	v_mov_b32_e32 v37, 0x100
	v_bfrev_b32_e32 v38, 60
	s_waitcnt vmcnt(3)
	v_mad_i64_i32 v[18:19], s[6:7], v26, s13, v[22:23]
	s_waitcnt vmcnt(2)
	v_mad_i64_i32 v[24:25], s[6:7], v28, s13, v[22:23]
	global_load_dwordx4 v[18:21], v[18:19], off
	s_nop 0
	global_load_dwordx4 v[52:55], v[24:25], off
	s_waitcnt vmcnt(3)
	v_mad_i64_i32 v[24:25], s[6:7], v30, s13, v[22:23]
	s_waitcnt vmcnt(2)
	v_mad_i64_i32 v[22:23], s[6:7], v32, s13, v[22:23]
	global_load_dwordx4 v[56:59], v[24:25], off
	global_load_dwordx4 v[60:63], v[22:23], off
	v_add_co_u32_e32 v22, vcc, v34, v33
	v_addc_co_u32_e32 v23, vcc, 0, v36, vcc
	v_mad_i64_i32 v[24:25], s[6:7], v26, s13, v[22:23]
	global_load_dwordx4 v[64:67], v[24:25], off
	v_mad_i64_i32 v[24:25], s[6:7], v28, s13, v[22:23]
	global_load_dwordx4 v[68:71], v[24:25], off
	;; [unrolled: 2-line block ×4, first 2 shown]
	s_load_dword s6, s[4:5], 0x1c
	s_load_dwordx4 s[40:43], s[4:5], 0x80
	v_mov_b32_e32 v22, 0x80
	v_add_u32_e32 v45, 16, v22
	v_add_u32_e32 v46, 32, v22
	;; [unrolled: 1-line block ×3, first 2 shown]
	s_waitcnt lgkmcnt(0)
	s_load_dword s4, s[40:41], 0x0
	v_add_u32_e32 v51, 64, v22
	v_add_u32_e32 v48, 0x50, v22
	v_add_u32_e32 v50, 0x60, v22
	v_add_u32_e32 v49, 0x70, v22
	v_mov_b32_e32 v22, s6
	s_waitcnt lgkmcnt(0)
	v_mul_f32_e32 v22, s4, v22
	v_and_b32_e32 v33, 63, v0
	s_movk_i32 s13, 0x80
	v_mov_b32_e32 v36, 0
	v_mov_b32_e32 v24, v22
	;; [unrolled: 1-line block ×3, first 2 shown]
	s_waitcnt vmcnt(7)
	buffer_store_dword v21, off, s[0:3], 0 offset:140
	buffer_store_dword v20, off, s[0:3], 0 offset:136
	buffer_store_dword v19, off, s[0:3], 0 offset:132
	buffer_store_dword v18, off, s[0:3], 0 offset:128
	s_waitcnt vmcnt(10)
	buffer_store_dword v55, off, s[0:3], 0 offset:172
	buffer_store_dword v54, off, s[0:3], 0 offset:168
	buffer_store_dword v53, off, s[0:3], 0 offset:164
	buffer_store_dword v52, off, s[0:3], 0 offset:160
	;; [unrolled: 5-line block ×8, first 2 shown]
	s_branch .LBB939_17
.LBB939_14:                             ;   in Loop: Header=BB939_17 Depth=1
	s_or_b64 exec, exec, s[10:11]
.LBB939_15:                             ;   in Loop: Header=BB939_17 Depth=1
	s_or_b64 exec, exec, s[6:7]
.LBB939_16:                             ;   in Loop: Header=BB939_17 Depth=1
	s_or_b64 exec, exec, s[4:5]
	v_perm_b32 v55, v40, v34, s16
	v_perm_b32 v54, v23, v32, s16
	;; [unrolled: 1-line block ×4, first 2 shown]
	v_add_u32_e32 v26, s12, v37
	v_mfma_f32_16x16x16bf16_1k v[18:21], v[54:55], v[14:15], v[18:21]
	s_add_i32 s12, s12, 16
	v_mov_b32_e32 v23, v22
	s_cmp_eq_u32 s12, 64
	v_add_u32_e32 v36, 32, v36
	v_mfma_f32_16x16x16bf16_1k v[18:21], v[52:53], v[16:17], v[18:21]
	s_nop 7
	s_nop 2
	v_pk_mul_f32 v[18:19], v[24:25], v[18:19]
	v_pk_mul_f32 v[20:21], v[22:23], v[20:21]
	buffer_store_dword v19, v26, s[0:3], 0 offen offset:4
	buffer_store_dword v18, v26, s[0:3], 0 offen
	buffer_store_dword v21, v26, s[0:3], 0 offen offset:12
	buffer_store_dword v20, v26, s[0:3], 0 offen offset:8
	s_cbranch_scc1 .LBB939_207
.LBB939_17:                             ; =>This Inner Loop Header: Depth=1
	buffer_load_dword v20, v36, s[0:3], 0 offen
	buffer_load_dword v18, v36, s[0:3], 0 offen offset:4
	buffer_load_dword v28, v36, s[0:3], 0 offen offset:8
	;; [unrolled: 1-line block ×3, first 2 shown]
	v_mov_b32_e32 v19, 0
	v_mov_b32_e32 v21, 0
	s_waitcnt vmcnt(3)
	v_cmp_ne_u16_sdwa s[6:7], v20, v35 src0_sel:BYTE_0 src1_sel:DWORD
	s_and_saveexec_b64 s[4:5], s[6:7]
	s_cbranch_execz .LBB939_23
; %bb.18:                               ;   in Loop: Header=BB939_17 Depth=1
	v_cmp_ne_u16_sdwa s[10:11], v20, s13 src0_sel:BYTE_0 src1_sel:DWORD
	v_mov_b32_e32 v21, 0xffff8000
	s_and_saveexec_b64 s[6:7], s[10:11]
	s_cbranch_execz .LBB939_22
; %bb.19:                               ;   in Loop: Header=BB939_17 Depth=1
	v_and_b32_e32 v23, 0x7f, v20
	v_cmp_ne_u32_e32 vcc, s14, v23
	v_mov_b32_e32 v21, 0x7f80
	s_and_saveexec_b64 s[10:11], vcc
	s_cbranch_execz .LBB939_21
; %bb.20:                               ;   in Loop: Header=BB939_17 Depth=1
	v_and_b32_e32 v21, 7, v20
	v_ffbh_u32_e32 v32, v21
	v_min_u32_e32 v32, 32, v32
	v_subrev_u32_e32 v34, 28, v32
	v_lshlrev_b64 v[52:53], v34, v[20:21]
	v_lshrrev_b32_e32 v30, 3, v23
	v_sub_u32_e32 v32, 29, v32
	v_and_b32_e32 v34, 7, v52
	v_cmp_gt_u32_e32 vcc, 8, v23
	v_cndmask_b32_e32 v23, v30, v32, vcc
	v_cndmask_b32_e32 v21, v21, v34, vcc
	v_lshlrev_b32_e32 v30, 24, v20
	v_lshlrev_b32_e32 v21, 20, v21
	v_and_b32_e32 v30, 0x80000000, v30
	v_lshl_add_u32 v23, v23, 23, v38
	v_or3_b32 v21, v30, v23, v21
	v_lshrrev_b32_e32 v21, 16, v21
.LBB939_21:                             ;   in Loop: Header=BB939_17 Depth=1
	s_or_b64 exec, exec, s[10:11]
.LBB939_22:                             ;   in Loop: Header=BB939_17 Depth=1
	s_or_b64 exec, exec, s[6:7]
.LBB939_23:                             ;   in Loop: Header=BB939_17 Depth=1
	s_or_b64 exec, exec, s[4:5]
	v_lshrrev_b16_e32 v30, 8, v20
	v_cmp_ne_u16_e32 vcc, 0, v30
	s_and_saveexec_b64 s[4:5], vcc
	s_cbranch_execz .LBB939_29
; %bb.24:                               ;   in Loop: Header=BB939_17 Depth=1
	v_cmp_ne_u16_e32 vcc, s13, v30
	v_mov_b32_e32 v19, 0xffff8000
	s_and_saveexec_b64 s[6:7], vcc
	s_cbranch_execz .LBB939_28
; %bb.25:                               ;   in Loop: Header=BB939_17 Depth=1
	v_and_b32_e32 v23, 0x7f, v30
	v_cmp_ne_u32_e32 vcc, s14, v23
	v_mov_b32_e32 v19, 0x7f80
	s_and_saveexec_b64 s[10:11], vcc
	s_cbranch_execz .LBB939_27
; %bb.26:                               ;   in Loop: Header=BB939_17 Depth=1
	v_and_b32_e32 v19, 7, v30
	v_ffbh_u32_e32 v34, v19
	v_min_u32_e32 v34, 32, v34
	v_subrev_u32_e32 v40, 28, v34
	v_lshlrev_b64 v[52:53], v40, v[30:31]
	v_lshrrev_b32_e32 v32, 3, v23
	v_sub_u32_e32 v30, 29, v34
	v_and_b32_e32 v34, 7, v52
	v_cmp_gt_u32_e32 vcc, 8, v23
	v_cndmask_b32_e32 v23, v32, v30, vcc
	v_cndmask_b32_e32 v19, v19, v34, vcc
	v_lshlrev_b32_e32 v30, 16, v20
	v_lshlrev_b32_e32 v19, 20, v19
	v_and_b32_e32 v30, 0x80000000, v30
	v_lshl_add_u32 v23, v23, 23, v38
	v_or3_b32 v19, v30, v23, v19
	v_lshrrev_b32_e32 v19, 16, v19
.LBB939_27:                             ;   in Loop: Header=BB939_17 Depth=1
	s_or_b64 exec, exec, s[10:11]
.LBB939_28:                             ;   in Loop: Header=BB939_17 Depth=1
	s_or_b64 exec, exec, s[6:7]
.LBB939_29:                             ;   in Loop: Header=BB939_17 Depth=1
	s_or_b64 exec, exec, s[4:5]
	v_lshrrev_b32_e32 v30, 16, v20
	v_cmp_ne_u16_sdwa s[6:7], v30, v35 src0_sel:BYTE_0 src1_sel:DWORD
	v_mov_b32_e32 v32, 0
	v_mov_b32_e32 v23, 0
	s_and_saveexec_b64 s[4:5], s[6:7]
	s_cbranch_execz .LBB939_35
; %bb.30:                               ;   in Loop: Header=BB939_17 Depth=1
	v_cmp_ne_u16_sdwa s[10:11], v30, s13 src0_sel:BYTE_0 src1_sel:DWORD
	v_mov_b32_e32 v23, 0xffff8000
	s_and_saveexec_b64 s[6:7], s[10:11]
	s_cbranch_execz .LBB939_34
; %bb.31:                               ;   in Loop: Header=BB939_17 Depth=1
	v_bfe_u32 v34, v20, 16, 7
	v_cmp_ne_u32_e32 vcc, s14, v34
	v_mov_b32_e32 v23, 0x7f80
	s_and_saveexec_b64 s[10:11], vcc
	s_cbranch_execz .LBB939_33
; %bb.32:                               ;   in Loop: Header=BB939_17 Depth=1
	v_and_b32_e32 v23, 7, v30
	v_ffbh_u32_e32 v42, v23
	v_min_u32_e32 v42, 32, v42
	v_subrev_u32_e32 v44, 28, v42
	v_lshlrev_b64 v[52:53], v44, v[30:31]
	v_lshrrev_b32_e32 v40, 3, v34
	v_sub_u32_e32 v42, 29, v42
	v_and_b32_e32 v44, 7, v52
	v_cmp_gt_u32_e32 vcc, 8, v34
	v_cndmask_b32_e32 v34, v40, v42, vcc
	v_cndmask_b32_e32 v23, v23, v44, vcc
	v_lshlrev_b32_e32 v30, 24, v30
	v_lshlrev_b32_e32 v23, 20, v23
	v_and_b32_e32 v30, 0x80000000, v30
	v_lshl_add_u32 v34, v34, 23, v38
	v_or3_b32 v23, v30, v34, v23
	v_lshrrev_b32_e32 v23, 16, v23
.LBB939_33:                             ;   in Loop: Header=BB939_17 Depth=1
	s_or_b64 exec, exec, s[10:11]
.LBB939_34:                             ;   in Loop: Header=BB939_17 Depth=1
	s_or_b64 exec, exec, s[6:7]
.LBB939_35:                             ;   in Loop: Header=BB939_17 Depth=1
	s_or_b64 exec, exec, s[4:5]
	v_cmp_lt_u32_e32 vcc, s15, v20
	s_and_saveexec_b64 s[4:5], vcc
	s_cbranch_execz .LBB939_41
; %bb.36:                               ;   in Loop: Header=BB939_17 Depth=1
	v_lshrrev_b32_e32 v30, 24, v20
	v_cmp_ne_u32_e32 vcc, s13, v30
	v_mov_b32_e32 v32, 0xffff8000
	s_and_saveexec_b64 s[6:7], vcc
	s_cbranch_execz .LBB939_40
; %bb.37:                               ;   in Loop: Header=BB939_17 Depth=1
	v_bfe_u32 v20, v20, 24, 7
	v_cmp_ne_u32_e32 vcc, s14, v20
	v_mov_b32_e32 v32, 0x7f80
	s_and_saveexec_b64 s[10:11], vcc
	s_cbranch_execz .LBB939_39
; %bb.38:                               ;   in Loop: Header=BB939_17 Depth=1
	v_and_b32_e32 v32, 7, v30
	v_ffbh_u32_e32 v40, v32
	v_min_u32_e32 v40, 32, v40
	v_subrev_u32_e32 v42, 28, v40
	v_lshlrev_b64 v[52:53], v42, v[30:31]
	v_lshrrev_b32_e32 v34, 3, v20
	v_sub_u32_e32 v40, 29, v40
	v_and_b32_e32 v42, 7, v52
	v_cmp_gt_u32_e32 vcc, 8, v20
	v_cndmask_b32_e32 v20, v34, v40, vcc
	v_cndmask_b32_e32 v32, v32, v42, vcc
	v_lshlrev_b32_e32 v30, 24, v30
	v_lshlrev_b32_e32 v32, 20, v32
	v_and_b32_e32 v30, 0x80000000, v30
	v_lshl_add_u32 v20, v20, 23, v38
	v_or3_b32 v20, v30, v20, v32
	v_lshrrev_b32_e32 v32, 16, v20
.LBB939_39:                             ;   in Loop: Header=BB939_17 Depth=1
	s_or_b64 exec, exec, s[10:11]
.LBB939_40:                             ;   in Loop: Header=BB939_17 Depth=1
	s_or_b64 exec, exec, s[6:7]
.LBB939_41:                             ;   in Loop: Header=BB939_17 Depth=1
	s_or_b64 exec, exec, s[4:5]
	s_waitcnt vmcnt(2)
	v_cmp_ne_u16_sdwa s[6:7], v18, v35 src0_sel:BYTE_0 src1_sel:DWORD
	v_mov_b32_e32 v30, 0
	v_mov_b32_e32 v34, 0
	s_and_saveexec_b64 s[4:5], s[6:7]
	s_cbranch_execz .LBB939_47
; %bb.42:                               ;   in Loop: Header=BB939_17 Depth=1
	v_cmp_ne_u16_sdwa s[10:11], v18, s13 src0_sel:BYTE_0 src1_sel:DWORD
	v_mov_b32_e32 v34, 0xffff8000
	s_and_saveexec_b64 s[6:7], s[10:11]
	s_cbranch_execz .LBB939_46
; %bb.43:                               ;   in Loop: Header=BB939_17 Depth=1
	v_and_b32_e32 v20, 0x7f, v18
	v_cmp_ne_u32_e32 vcc, s14, v20
	v_mov_b32_e32 v34, 0x7f80
	s_and_saveexec_b64 s[10:11], vcc
	s_cbranch_execz .LBB939_45
; %bb.44:                               ;   in Loop: Header=BB939_17 Depth=1
	v_and_b32_e32 v34, 7, v18
	v_ffbh_u32_e32 v42, v34
	v_min_u32_e32 v42, 32, v42
	v_subrev_u32_e32 v44, 28, v42
	v_lshlrev_b64 v[52:53], v44, v[18:19]
	v_lshrrev_b32_e32 v40, 3, v20
	v_sub_u32_e32 v42, 29, v42
	v_and_b32_e32 v44, 7, v52
	v_cmp_gt_u32_e32 vcc, 8, v20
	v_cndmask_b32_e32 v20, v40, v42, vcc
	v_cndmask_b32_e32 v34, v34, v44, vcc
	v_lshlrev_b32_e32 v40, 24, v18
	v_lshlrev_b32_e32 v34, 20, v34
	v_and_b32_e32 v40, 0x80000000, v40
	v_lshl_add_u32 v20, v20, 23, v38
	v_or3_b32 v20, v40, v20, v34
	v_lshrrev_b32_e32 v34, 16, v20
.LBB939_45:                             ;   in Loop: Header=BB939_17 Depth=1
	s_or_b64 exec, exec, s[10:11]
.LBB939_46:                             ;   in Loop: Header=BB939_17 Depth=1
	s_or_b64 exec, exec, s[6:7]
.LBB939_47:                             ;   in Loop: Header=BB939_17 Depth=1
	s_or_b64 exec, exec, s[4:5]
	v_lshrrev_b16_e32 v20, 8, v18
	v_cmp_ne_u16_e32 vcc, 0, v20
	s_and_saveexec_b64 s[4:5], vcc
	s_cbranch_execz .LBB939_53
; %bb.48:                               ;   in Loop: Header=BB939_17 Depth=1
	v_cmp_ne_u16_e32 vcc, s13, v20
	v_mov_b32_e32 v30, 0xffff8000
	s_and_saveexec_b64 s[6:7], vcc
	s_cbranch_execz .LBB939_52
; %bb.49:                               ;   in Loop: Header=BB939_17 Depth=1
	v_and_b32_e32 v40, 0x7f, v20
	v_cmp_ne_u32_e32 vcc, s14, v40
	v_mov_b32_e32 v30, 0x7f80
	s_and_saveexec_b64 s[10:11], vcc
	s_cbranch_execz .LBB939_51
; %bb.50:                               ;   in Loop: Header=BB939_17 Depth=1
	v_and_b32_e32 v30, 7, v20
	v_ffbh_u32_e32 v44, v30
	v_min_u32_e32 v44, 32, v44
	v_subrev_u32_e32 v52, 28, v44
	v_lshlrev_b64 v[52:53], v52, v[20:21]
	v_lshrrev_b32_e32 v42, 3, v40
	v_sub_u32_e32 v20, 29, v44
	v_and_b32_e32 v44, 7, v52
	v_cmp_gt_u32_e32 vcc, 8, v40
	v_cndmask_b32_e32 v20, v42, v20, vcc
	v_cndmask_b32_e32 v30, v30, v44, vcc
	v_lshlrev_b32_e32 v40, 16, v18
	v_lshlrev_b32_e32 v30, 20, v30
	v_and_b32_e32 v40, 0x80000000, v40
	v_lshl_add_u32 v20, v20, 23, v38
	v_or3_b32 v20, v40, v20, v30
	v_lshrrev_b32_e32 v30, 16, v20
.LBB939_51:                             ;   in Loop: Header=BB939_17 Depth=1
	s_or_b64 exec, exec, s[10:11]
.LBB939_52:                             ;   in Loop: Header=BB939_17 Depth=1
	s_or_b64 exec, exec, s[6:7]
.LBB939_53:                             ;   in Loop: Header=BB939_17 Depth=1
	s_or_b64 exec, exec, s[4:5]
	v_lshrrev_b32_e32 v20, 16, v18
	v_cmp_ne_u16_sdwa s[6:7], v20, v35 src0_sel:BYTE_0 src1_sel:DWORD
	v_mov_b32_e32 v42, 0
	v_mov_b32_e32 v40, 0
	s_and_saveexec_b64 s[4:5], s[6:7]
	s_cbranch_execz .LBB939_59
; %bb.54:                               ;   in Loop: Header=BB939_17 Depth=1
	v_cmp_ne_u16_sdwa s[10:11], v20, s13 src0_sel:BYTE_0 src1_sel:DWORD
	v_mov_b32_e32 v40, 0xffff8000
	s_and_saveexec_b64 s[6:7], s[10:11]
	s_cbranch_execz .LBB939_58
; %bb.55:                               ;   in Loop: Header=BB939_17 Depth=1
	v_bfe_u32 v44, v18, 16, 7
	v_cmp_ne_u32_e32 vcc, s14, v44
	v_mov_b32_e32 v40, 0x7f80
	s_and_saveexec_b64 s[10:11], vcc
	s_cbranch_execz .LBB939_57
; %bb.56:                               ;   in Loop: Header=BB939_17 Depth=1
	v_and_b32_e32 v40, 7, v20
	v_ffbh_u32_e32 v52, v40
	v_min_u32_e32 v55, 32, v52
	v_subrev_u32_e32 v52, 28, v55
	v_lshlrev_b64 v[52:53], v52, v[20:21]
	v_lshrrev_b32_e32 v54, 3, v44
	v_sub_u32_e32 v53, 29, v55
	v_and_b32_e32 v52, 7, v52
	v_cmp_gt_u32_e32 vcc, 8, v44
	v_cndmask_b32_e32 v44, v54, v53, vcc
	v_cndmask_b32_e32 v40, v40, v52, vcc
	v_lshlrev_b32_e32 v20, 24, v20
	v_lshlrev_b32_e32 v40, 20, v40
	v_and_b32_e32 v20, 0x80000000, v20
	v_lshl_add_u32 v44, v44, 23, v38
	v_or3_b32 v20, v20, v44, v40
	v_lshrrev_b32_e32 v40, 16, v20
.LBB939_57:                             ;   in Loop: Header=BB939_17 Depth=1
	s_or_b64 exec, exec, s[10:11]
.LBB939_58:                             ;   in Loop: Header=BB939_17 Depth=1
	s_or_b64 exec, exec, s[6:7]
.LBB939_59:                             ;   in Loop: Header=BB939_17 Depth=1
	s_or_b64 exec, exec, s[4:5]
	v_cmp_lt_u32_e32 vcc, s15, v18
	s_and_saveexec_b64 s[4:5], vcc
	s_cbranch_execz .LBB939_65
; %bb.60:                               ;   in Loop: Header=BB939_17 Depth=1
	v_lshrrev_b32_e32 v20, 24, v18
	v_cmp_ne_u32_e32 vcc, s13, v20
	v_mov_b32_e32 v42, 0xffff8000
	s_and_saveexec_b64 s[6:7], vcc
	s_cbranch_execz .LBB939_64
; %bb.61:                               ;   in Loop: Header=BB939_17 Depth=1
	v_bfe_u32 v18, v18, 24, 7
	v_cmp_ne_u32_e32 vcc, s14, v18
	v_mov_b32_e32 v42, 0x7f80
	s_and_saveexec_b64 s[10:11], vcc
	s_cbranch_execz .LBB939_63
; %bb.62:                               ;   in Loop: Header=BB939_17 Depth=1
	v_and_b32_e32 v42, 7, v20
	v_ffbh_u32_e32 v52, v42
	v_min_u32_e32 v54, 32, v52
	v_subrev_u32_e32 v52, 28, v54
	v_lshlrev_b64 v[52:53], v52, v[20:21]
	v_lshrrev_b32_e32 v44, 3, v18
	v_sub_u32_e32 v53, 29, v54
	v_and_b32_e32 v52, 7, v52
	v_cmp_gt_u32_e32 vcc, 8, v18
	v_cndmask_b32_e32 v18, v44, v53, vcc
	v_cndmask_b32_e32 v42, v42, v52, vcc
	v_lshlrev_b32_e32 v20, 24, v20
	v_lshlrev_b32_e32 v42, 20, v42
	v_and_b32_e32 v20, 0x80000000, v20
	v_lshl_add_u32 v18, v18, 23, v38
	v_or3_b32 v18, v20, v18, v42
	v_lshrrev_b32_e32 v42, 16, v18
.LBB939_63:                             ;   in Loop: Header=BB939_17 Depth=1
	s_or_b64 exec, exec, s[10:11]
.LBB939_64:                             ;   in Loop: Header=BB939_17 Depth=1
	s_or_b64 exec, exec, s[6:7]
.LBB939_65:                             ;   in Loop: Header=BB939_17 Depth=1
	s_or_b64 exec, exec, s[4:5]
	v_perm_b32 v53, v32, v23, s16
	v_perm_b32 v52, v19, v21, s16
	s_waitcnt vmcnt(1)
	v_cmp_ne_u16_sdwa s[6:7], v28, v35 src0_sel:BYTE_0 src1_sel:DWORD
	v_mov_b32_e32 v23, 0
	v_mov_b32_e32 v32, 0
	v_mfma_f32_16x16x16bf16_1k v[18:21], v[52:53], v[2:3], 0
	v_perm_b32 v53, v42, v40, s16
	v_perm_b32 v52, v30, v34, s16
	s_nop 1
	v_mfma_f32_16x16x16bf16_1k v[18:21], v[52:53], v[4:5], v[18:21]
	s_and_saveexec_b64 s[4:5], s[6:7]
	s_cbranch_execz .LBB939_71
; %bb.66:                               ;   in Loop: Header=BB939_17 Depth=1
	v_cmp_ne_u16_sdwa s[10:11], v28, s13 src0_sel:BYTE_0 src1_sel:DWORD
	v_mov_b32_e32 v32, 0xffff8000
	s_and_saveexec_b64 s[6:7], s[10:11]
	s_cbranch_execz .LBB939_70
; %bb.67:                               ;   in Loop: Header=BB939_17 Depth=1
	v_and_b32_e32 v30, 0x7f, v28
	v_cmp_ne_u32_e32 vcc, s14, v30
	v_mov_b32_e32 v32, 0x7f80
	s_and_saveexec_b64 s[10:11], vcc
	s_cbranch_execz .LBB939_69
; %bb.68:                               ;   in Loop: Header=BB939_17 Depth=1
	v_and_b32_e32 v32, 7, v28
	v_ffbh_u32_e32 v40, v32
	v_min_u32_e32 v40, 32, v40
	v_subrev_u32_e32 v42, 28, v40
	v_lshlrev_b64 v[52:53], v42, v[28:29]
	v_lshrrev_b32_e32 v34, 3, v30
	v_sub_u32_e32 v40, 29, v40
	v_and_b32_e32 v42, 7, v52
	v_cmp_gt_u32_e32 vcc, 8, v30
	v_cndmask_b32_e32 v30, v34, v40, vcc
	v_cndmask_b32_e32 v32, v32, v42, vcc
	v_lshlrev_b32_e32 v34, 24, v28
	v_lshlrev_b32_e32 v32, 20, v32
	v_and_b32_e32 v34, 0x80000000, v34
	v_lshl_add_u32 v30, v30, 23, v38
	v_or3_b32 v30, v34, v30, v32
	v_lshrrev_b32_e32 v32, 16, v30
.LBB939_69:                             ;   in Loop: Header=BB939_17 Depth=1
	s_or_b64 exec, exec, s[10:11]
.LBB939_70:                             ;   in Loop: Header=BB939_17 Depth=1
	s_or_b64 exec, exec, s[6:7]
.LBB939_71:                             ;   in Loop: Header=BB939_17 Depth=1
	s_or_b64 exec, exec, s[4:5]
	v_lshrrev_b16_e32 v30, 8, v28
	v_cmp_ne_u16_e32 vcc, 0, v30
	s_and_saveexec_b64 s[4:5], vcc
	s_cbranch_execz .LBB939_77
; %bb.72:                               ;   in Loop: Header=BB939_17 Depth=1
	v_cmp_ne_u16_e32 vcc, s13, v30
	v_mov_b32_e32 v23, 0xffff8000
	s_and_saveexec_b64 s[6:7], vcc
	s_cbranch_execz .LBB939_76
; %bb.73:                               ;   in Loop: Header=BB939_17 Depth=1
	v_and_b32_e32 v34, 0x7f, v30
	v_cmp_ne_u32_e32 vcc, s14, v34
	v_mov_b32_e32 v23, 0x7f80
	s_and_saveexec_b64 s[10:11], vcc
	s_cbranch_execz .LBB939_75
; %bb.74:                               ;   in Loop: Header=BB939_17 Depth=1
	v_and_b32_e32 v23, 7, v30
	v_ffbh_u32_e32 v42, v23
	v_min_u32_e32 v42, 32, v42
	v_subrev_u32_e32 v44, 28, v42
	v_lshlrev_b64 v[52:53], v44, v[30:31]
	v_lshrrev_b32_e32 v40, 3, v34
	v_sub_u32_e32 v30, 29, v42
	v_and_b32_e32 v42, 7, v52
	v_cmp_gt_u32_e32 vcc, 8, v34
	v_cndmask_b32_e32 v30, v40, v30, vcc
	v_cndmask_b32_e32 v23, v23, v42, vcc
	v_lshlrev_b32_e32 v34, 16, v28
	v_lshlrev_b32_e32 v23, 20, v23
	v_and_b32_e32 v34, 0x80000000, v34
	v_lshl_add_u32 v30, v30, 23, v38
	v_or3_b32 v23, v34, v30, v23
	v_lshrrev_b32_e32 v23, 16, v23
.LBB939_75:                             ;   in Loop: Header=BB939_17 Depth=1
	s_or_b64 exec, exec, s[10:11]
.LBB939_76:                             ;   in Loop: Header=BB939_17 Depth=1
	s_or_b64 exec, exec, s[6:7]
.LBB939_77:                             ;   in Loop: Header=BB939_17 Depth=1
	s_or_b64 exec, exec, s[4:5]
	v_lshrrev_b32_e32 v30, 16, v28
	v_cmp_ne_u16_sdwa s[6:7], v30, v35 src0_sel:BYTE_0 src1_sel:DWORD
	v_mov_b32_e32 v40, 0
	v_mov_b32_e32 v34, 0
	s_and_saveexec_b64 s[4:5], s[6:7]
	s_cbranch_execz .LBB939_83
; %bb.78:                               ;   in Loop: Header=BB939_17 Depth=1
	v_cmp_ne_u16_sdwa s[10:11], v30, s13 src0_sel:BYTE_0 src1_sel:DWORD
	v_mov_b32_e32 v34, 0xffff8000
	s_and_saveexec_b64 s[6:7], s[10:11]
	s_cbranch_execz .LBB939_82
; %bb.79:                               ;   in Loop: Header=BB939_17 Depth=1
	v_bfe_u32 v42, v28, 16, 7
	v_cmp_ne_u32_e32 vcc, s14, v42
	v_mov_b32_e32 v34, 0x7f80
	s_and_saveexec_b64 s[10:11], vcc
	s_cbranch_execz .LBB939_81
; %bb.80:                               ;   in Loop: Header=BB939_17 Depth=1
	v_and_b32_e32 v34, 7, v30
	v_ffbh_u32_e32 v52, v34
	v_min_u32_e32 v54, 32, v52
	v_subrev_u32_e32 v52, 28, v54
	v_lshlrev_b64 v[52:53], v52, v[30:31]
	v_lshrrev_b32_e32 v44, 3, v42
	v_sub_u32_e32 v53, 29, v54
	v_and_b32_e32 v52, 7, v52
	v_cmp_gt_u32_e32 vcc, 8, v42
	v_cndmask_b32_e32 v42, v44, v53, vcc
	v_cndmask_b32_e32 v34, v34, v52, vcc
	v_lshlrev_b32_e32 v30, 24, v30
	v_lshlrev_b32_e32 v34, 20, v34
	v_and_b32_e32 v30, 0x80000000, v30
	v_lshl_add_u32 v42, v42, 23, v38
	v_or3_b32 v30, v30, v42, v34
	v_lshrrev_b32_e32 v34, 16, v30
.LBB939_81:                             ;   in Loop: Header=BB939_17 Depth=1
	s_or_b64 exec, exec, s[10:11]
.LBB939_82:                             ;   in Loop: Header=BB939_17 Depth=1
	s_or_b64 exec, exec, s[6:7]
.LBB939_83:                             ;   in Loop: Header=BB939_17 Depth=1
	s_or_b64 exec, exec, s[4:5]
	v_cmp_lt_u32_e32 vcc, s15, v28
	s_and_saveexec_b64 s[4:5], vcc
	s_cbranch_execz .LBB939_89
; %bb.84:                               ;   in Loop: Header=BB939_17 Depth=1
	v_lshrrev_b32_e32 v30, 24, v28
	v_cmp_ne_u32_e32 vcc, s13, v30
	v_mov_b32_e32 v40, 0xffff8000
	s_and_saveexec_b64 s[6:7], vcc
	s_cbranch_execz .LBB939_88
; %bb.85:                               ;   in Loop: Header=BB939_17 Depth=1
	v_bfe_u32 v28, v28, 24, 7
	v_cmp_ne_u32_e32 vcc, s14, v28
	v_mov_b32_e32 v40, 0x7f80
	s_and_saveexec_b64 s[10:11], vcc
	s_cbranch_execz .LBB939_87
; %bb.86:                               ;   in Loop: Header=BB939_17 Depth=1
	v_and_b32_e32 v40, 7, v30
	v_ffbh_u32_e32 v44, v40
	v_min_u32_e32 v44, 32, v44
	v_subrev_u32_e32 v52, 28, v44
	v_lshlrev_b64 v[52:53], v52, v[30:31]
	v_lshrrev_b32_e32 v42, 3, v28
	v_sub_u32_e32 v44, 29, v44
	v_and_b32_e32 v52, 7, v52
	v_cmp_gt_u32_e32 vcc, 8, v28
	v_cndmask_b32_e32 v28, v42, v44, vcc
	v_cndmask_b32_e32 v40, v40, v52, vcc
	v_lshlrev_b32_e32 v30, 24, v30
	v_lshlrev_b32_e32 v40, 20, v40
	v_and_b32_e32 v30, 0x80000000, v30
	v_lshl_add_u32 v28, v28, 23, v38
	v_or3_b32 v28, v30, v28, v40
	v_lshrrev_b32_e32 v40, 16, v28
.LBB939_87:                             ;   in Loop: Header=BB939_17 Depth=1
	s_or_b64 exec, exec, s[10:11]
.LBB939_88:                             ;   in Loop: Header=BB939_17 Depth=1
	s_or_b64 exec, exec, s[6:7]
.LBB939_89:                             ;   in Loop: Header=BB939_17 Depth=1
	s_or_b64 exec, exec, s[4:5]
	s_waitcnt vmcnt(0)
	v_cmp_ne_u16_sdwa s[6:7], v26, v35 src0_sel:BYTE_0 src1_sel:DWORD
	v_mov_b32_e32 v42, 0
	v_mov_b32_e32 v44, 0
	s_and_saveexec_b64 s[4:5], s[6:7]
	s_cbranch_execz .LBB939_95
; %bb.90:                               ;   in Loop: Header=BB939_17 Depth=1
	v_cmp_ne_u16_sdwa s[10:11], v26, s13 src0_sel:BYTE_0 src1_sel:DWORD
	v_mov_b32_e32 v44, 0xffff8000
	s_and_saveexec_b64 s[6:7], s[10:11]
	s_cbranch_execz .LBB939_94
; %bb.91:                               ;   in Loop: Header=BB939_17 Depth=1
	v_and_b32_e32 v28, 0x7f, v26
	v_cmp_ne_u32_e32 vcc, s14, v28
	v_mov_b32_e32 v44, 0x7f80
	s_and_saveexec_b64 s[10:11], vcc
	s_cbranch_execz .LBB939_93
; %bb.92:                               ;   in Loop: Header=BB939_17 Depth=1
	v_and_b32_e32 v30, 7, v26
	v_ffbh_u32_e32 v52, v30
	v_min_u32_e32 v54, 32, v52
	v_subrev_u32_e32 v52, 28, v54
	v_lshlrev_b64 v[52:53], v52, v[26:27]
	v_lshrrev_b32_e32 v44, 3, v28
	v_sub_u32_e32 v53, 29, v54
	v_and_b32_e32 v52, 7, v52
	v_cmp_gt_u32_e32 vcc, 8, v28
	v_cndmask_b32_e32 v28, v44, v53, vcc
	v_cndmask_b32_e32 v30, v30, v52, vcc
	v_lshlrev_b32_e32 v44, 24, v26
	v_lshlrev_b32_e32 v30, 20, v30
	v_and_b32_e32 v44, 0x80000000, v44
	v_lshl_add_u32 v28, v28, 23, v38
	v_or3_b32 v28, v44, v28, v30
	v_lshrrev_b32_e32 v44, 16, v28
.LBB939_93:                             ;   in Loop: Header=BB939_17 Depth=1
	s_or_b64 exec, exec, s[10:11]
.LBB939_94:                             ;   in Loop: Header=BB939_17 Depth=1
	s_or_b64 exec, exec, s[6:7]
.LBB939_95:                             ;   in Loop: Header=BB939_17 Depth=1
	s_or_b64 exec, exec, s[4:5]
	v_lshrrev_b16_e32 v28, 8, v26
	v_cmp_ne_u16_e32 vcc, 0, v28
	s_and_saveexec_b64 s[4:5], vcc
	s_cbranch_execz .LBB939_101
; %bb.96:                               ;   in Loop: Header=BB939_17 Depth=1
	v_cmp_ne_u16_e32 vcc, s13, v28
	v_mov_b32_e32 v42, 0xffff8000
	s_and_saveexec_b64 s[6:7], vcc
	s_cbranch_execz .LBB939_100
; %bb.97:                               ;   in Loop: Header=BB939_17 Depth=1
	v_and_b32_e32 v30, 0x7f, v28
	v_cmp_ne_u32_e32 vcc, s14, v30
	v_mov_b32_e32 v42, 0x7f80
	s_and_saveexec_b64 s[10:11], vcc
	s_cbranch_execz .LBB939_99
; %bb.98:                               ;   in Loop: Header=BB939_17 Depth=1
	v_and_b32_e32 v42, 7, v28
	v_ffbh_u32_e32 v52, v42
	v_min_u32_e32 v55, 32, v52
	v_subrev_u32_e32 v52, 28, v55
	v_lshlrev_b64 v[52:53], v52, v[28:29]
	v_lshrrev_b32_e32 v54, 3, v30
	v_sub_u32_e32 v28, 29, v55
	v_and_b32_e32 v52, 7, v52
	v_cmp_gt_u32_e32 vcc, 8, v30
	v_cndmask_b32_e32 v28, v54, v28, vcc
	v_cndmask_b32_e32 v30, v42, v52, vcc
	v_lshlrev_b32_e32 v42, 16, v26
	v_lshlrev_b32_e32 v30, 20, v30
	v_and_b32_e32 v42, 0x80000000, v42
	v_lshl_add_u32 v28, v28, 23, v38
	v_or3_b32 v28, v42, v28, v30
	v_lshrrev_b32_e32 v42, 16, v28
.LBB939_99:                             ;   in Loop: Header=BB939_17 Depth=1
	s_or_b64 exec, exec, s[10:11]
.LBB939_100:                            ;   in Loop: Header=BB939_17 Depth=1
	s_or_b64 exec, exec, s[6:7]
.LBB939_101:                            ;   in Loop: Header=BB939_17 Depth=1
	s_or_b64 exec, exec, s[4:5]
	v_lshrrev_b32_e32 v28, 16, v26
	v_cmp_ne_u16_sdwa s[6:7], v28, v35 src0_sel:BYTE_0 src1_sel:DWORD
	v_mov_b32_e32 v53, 0
	v_mov_b32_e32 v52, 0
	s_and_saveexec_b64 s[4:5], s[6:7]
	s_cbranch_execz .LBB939_107
; %bb.102:                              ;   in Loop: Header=BB939_17 Depth=1
	v_cmp_ne_u16_sdwa s[10:11], v28, s13 src0_sel:BYTE_0 src1_sel:DWORD
	v_mov_b32_e32 v52, 0xffff8000
	s_and_saveexec_b64 s[6:7], s[10:11]
	s_cbranch_execz .LBB939_106
; %bb.103:                              ;   in Loop: Header=BB939_17 Depth=1
	v_bfe_u32 v30, v26, 16, 7
	v_cmp_ne_u32_e32 vcc, s14, v30
	v_mov_b32_e32 v52, 0x7f80
	s_and_saveexec_b64 s[10:11], vcc
	s_cbranch_execz .LBB939_105
; %bb.104:                              ;   in Loop: Header=BB939_17 Depth=1
	v_and_b32_e32 v52, 7, v28
	v_ffbh_u32_e32 v54, v52
	v_min_u32_e32 v57, 32, v54
	v_subrev_u32_e32 v54, 28, v57
	v_lshlrev_b64 v[54:55], v54, v[28:29]
	v_lshrrev_b32_e32 v56, 3, v30
	v_sub_u32_e32 v55, 29, v57
	v_and_b32_e32 v54, 7, v54
	v_cmp_gt_u32_e32 vcc, 8, v30
	v_cndmask_b32_e32 v30, v56, v55, vcc
	v_cndmask_b32_e32 v52, v52, v54, vcc
	v_lshlrev_b32_e32 v28, 24, v28
	v_lshlrev_b32_e32 v52, 20, v52
	v_and_b32_e32 v28, 0x80000000, v28
	v_lshl_add_u32 v30, v30, 23, v38
	v_or3_b32 v28, v28, v30, v52
	v_lshrrev_b32_e32 v52, 16, v28
.LBB939_105:                            ;   in Loop: Header=BB939_17 Depth=1
	s_or_b64 exec, exec, s[10:11]
.LBB939_106:                            ;   in Loop: Header=BB939_17 Depth=1
	s_or_b64 exec, exec, s[6:7]
.LBB939_107:                            ;   in Loop: Header=BB939_17 Depth=1
	s_or_b64 exec, exec, s[4:5]
	v_cmp_lt_u32_e32 vcc, s15, v26
	s_and_saveexec_b64 s[4:5], vcc
	s_cbranch_execz .LBB939_113
; %bb.108:                              ;   in Loop: Header=BB939_17 Depth=1
	v_lshrrev_b32_e32 v28, 24, v26
	v_cmp_ne_u32_e32 vcc, s13, v28
	v_mov_b32_e32 v53, 0xffff8000
	s_and_saveexec_b64 s[6:7], vcc
	s_cbranch_execz .LBB939_112
; %bb.109:                              ;   in Loop: Header=BB939_17 Depth=1
	v_bfe_u32 v26, v26, 24, 7
	v_cmp_ne_u32_e32 vcc, s14, v26
	v_mov_b32_e32 v53, 0x7f80
	s_and_saveexec_b64 s[10:11], vcc
	s_cbranch_execz .LBB939_111
; %bb.110:                              ;   in Loop: Header=BB939_17 Depth=1
	v_and_b32_e32 v30, 7, v28
	v_ffbh_u32_e32 v54, v30
	v_min_u32_e32 v56, 32, v54
	v_subrev_u32_e32 v54, 28, v56
	v_lshlrev_b64 v[54:55], v54, v[28:29]
	v_lshrrev_b32_e32 v53, 3, v26
	v_sub_u32_e32 v55, 29, v56
	v_and_b32_e32 v54, 7, v54
	v_cmp_gt_u32_e32 vcc, 8, v26
	v_cndmask_b32_e32 v26, v53, v55, vcc
	v_cndmask_b32_e32 v30, v30, v54, vcc
	v_lshlrev_b32_e32 v28, 24, v28
	v_lshlrev_b32_e32 v30, 20, v30
	v_and_b32_e32 v28, 0x80000000, v28
	v_lshl_add_u32 v26, v26, 23, v38
	v_or3_b32 v26, v28, v26, v30
	v_lshrrev_b32_e32 v53, 16, v26
.LBB939_111:                            ;   in Loop: Header=BB939_17 Depth=1
	s_or_b64 exec, exec, s[10:11]
.LBB939_112:                            ;   in Loop: Header=BB939_17 Depth=1
	s_or_b64 exec, exec, s[6:7]
.LBB939_113:                            ;   in Loop: Header=BB939_17 Depth=1
	s_or_b64 exec, exec, s[4:5]
	v_perm_b32 v54, v23, v32, s16
	buffer_load_dword v32, v36, s[0:3], 0 offen offset:16
	buffer_load_dword v30, v36, s[0:3], 0 offen offset:20
	;; [unrolled: 1-line block ×4, first 2 shown]
	v_perm_b32 v55, v40, v34, s16
	v_perm_b32 v53, v53, v52, s16
	v_perm_b32 v52, v42, v44, s16
	v_mfma_f32_16x16x16bf16_1k v[18:21], v[54:55], v[6:7], v[18:21]
	v_mov_b32_e32 v23, 0
	v_mov_b32_e32 v40, 0
	s_waitcnt vmcnt(3)
	v_cmp_ne_u16_sdwa s[6:7], v32, v35 src0_sel:BYTE_0 src1_sel:DWORD
	v_mfma_f32_16x16x16bf16_1k v[18:21], v[52:53], v[8:9], v[18:21]
	s_and_saveexec_b64 s[4:5], s[6:7]
	s_cbranch_execz .LBB939_119
; %bb.114:                              ;   in Loop: Header=BB939_17 Depth=1
	v_cmp_ne_u16_sdwa s[10:11], v32, s13 src0_sel:BYTE_0 src1_sel:DWORD
	v_mov_b32_e32 v40, 0xffff8000
	s_and_saveexec_b64 s[6:7], s[10:11]
	s_cbranch_execz .LBB939_118
; %bb.115:                              ;   in Loop: Header=BB939_17 Depth=1
	v_and_b32_e32 v34, 0x7f, v32
	v_cmp_ne_u32_e32 vcc, s14, v34
	v_mov_b32_e32 v40, 0x7f80
	s_and_saveexec_b64 s[10:11], vcc
	s_cbranch_execz .LBB939_117
; %bb.116:                              ;   in Loop: Header=BB939_17 Depth=1
	v_and_b32_e32 v40, 7, v32
	v_ffbh_u32_e32 v44, v40
	v_min_u32_e32 v44, 32, v44
	v_subrev_u32_e32 v52, 28, v44
	v_lshlrev_b64 v[52:53], v52, v[32:33]
	v_lshrrev_b32_e32 v42, 3, v34
	v_sub_u32_e32 v44, 29, v44
	v_and_b32_e32 v52, 7, v52
	v_cmp_gt_u32_e32 vcc, 8, v34
	v_cndmask_b32_e32 v34, v42, v44, vcc
	v_cndmask_b32_e32 v40, v40, v52, vcc
	v_lshlrev_b32_e32 v42, 24, v32
	v_lshlrev_b32_e32 v40, 20, v40
	v_and_b32_e32 v42, 0x80000000, v42
	v_lshl_add_u32 v34, v34, 23, v38
	v_or3_b32 v34, v42, v34, v40
	v_lshrrev_b32_e32 v40, 16, v34
.LBB939_117:                            ;   in Loop: Header=BB939_17 Depth=1
	s_or_b64 exec, exec, s[10:11]
.LBB939_118:                            ;   in Loop: Header=BB939_17 Depth=1
	s_or_b64 exec, exec, s[6:7]
.LBB939_119:                            ;   in Loop: Header=BB939_17 Depth=1
	s_or_b64 exec, exec, s[4:5]
	v_lshrrev_b16_e32 v34, 8, v32
	v_cmp_ne_u16_e32 vcc, 0, v34
	s_and_saveexec_b64 s[4:5], vcc
	s_cbranch_execz .LBB939_125
; %bb.120:                              ;   in Loop: Header=BB939_17 Depth=1
	v_cmp_ne_u16_e32 vcc, s13, v34
	v_mov_b32_e32 v23, 0xffff8000
	s_and_saveexec_b64 s[6:7], vcc
	s_cbranch_execz .LBB939_124
; %bb.121:                              ;   in Loop: Header=BB939_17 Depth=1
	v_and_b32_e32 v42, 0x7f, v34
	v_cmp_ne_u32_e32 vcc, s14, v42
	v_mov_b32_e32 v23, 0x7f80
	s_and_saveexec_b64 s[10:11], vcc
	s_cbranch_execz .LBB939_123
; %bb.122:                              ;   in Loop: Header=BB939_17 Depth=1
	v_and_b32_e32 v23, 7, v34
	v_ffbh_u32_e32 v52, v23
	v_min_u32_e32 v54, 32, v52
	v_subrev_u32_e32 v52, 28, v54
	v_lshlrev_b64 v[52:53], v52, v[34:35]
	v_lshrrev_b32_e32 v44, 3, v42
	v_sub_u32_e32 v34, 29, v54
	v_and_b32_e32 v52, 7, v52
	v_cmp_gt_u32_e32 vcc, 8, v42
	v_cndmask_b32_e32 v34, v44, v34, vcc
	v_cndmask_b32_e32 v23, v23, v52, vcc
	v_lshlrev_b32_e32 v42, 16, v32
	v_lshlrev_b32_e32 v23, 20, v23
	v_and_b32_e32 v42, 0x80000000, v42
	v_lshl_add_u32 v34, v34, 23, v38
	v_or3_b32 v23, v42, v34, v23
	v_lshrrev_b32_e32 v23, 16, v23
.LBB939_123:                            ;   in Loop: Header=BB939_17 Depth=1
	s_or_b64 exec, exec, s[10:11]
.LBB939_124:                            ;   in Loop: Header=BB939_17 Depth=1
	s_or_b64 exec, exec, s[6:7]
.LBB939_125:                            ;   in Loop: Header=BB939_17 Depth=1
	s_or_b64 exec, exec, s[4:5]
	v_lshrrev_b32_e32 v34, 16, v32
	v_cmp_ne_u16_sdwa s[6:7], v34, v35 src0_sel:BYTE_0 src1_sel:DWORD
	v_mov_b32_e32 v44, 0
	v_mov_b32_e32 v42, 0
	s_and_saveexec_b64 s[4:5], s[6:7]
	s_cbranch_execz .LBB939_131
; %bb.126:                              ;   in Loop: Header=BB939_17 Depth=1
	v_cmp_ne_u16_sdwa s[10:11], v34, s13 src0_sel:BYTE_0 src1_sel:DWORD
	v_mov_b32_e32 v42, 0xffff8000
	s_and_saveexec_b64 s[6:7], s[10:11]
	s_cbranch_execz .LBB939_130
; %bb.127:                              ;   in Loop: Header=BB939_17 Depth=1
	v_bfe_u32 v52, v32, 16, 7
	v_cmp_ne_u32_e32 vcc, s14, v52
	v_mov_b32_e32 v42, 0x7f80
	s_and_saveexec_b64 s[10:11], vcc
	s_cbranch_execz .LBB939_129
; %bb.128:                              ;   in Loop: Header=BB939_17 Depth=1
	v_and_b32_e32 v42, 7, v34
	v_ffbh_u32_e32 v54, v42
	v_min_u32_e32 v56, 32, v54
	v_subrev_u32_e32 v54, 28, v56
	v_lshlrev_b64 v[54:55], v54, v[34:35]
	v_lshrrev_b32_e32 v53, 3, v52
	v_sub_u32_e32 v55, 29, v56
	v_and_b32_e32 v54, 7, v54
	v_cmp_gt_u32_e32 vcc, 8, v52
	v_cndmask_b32_e32 v52, v53, v55, vcc
	v_cndmask_b32_e32 v42, v42, v54, vcc
	v_lshlrev_b32_e32 v34, 24, v34
	v_lshlrev_b32_e32 v42, 20, v42
	v_and_b32_e32 v34, 0x80000000, v34
	v_lshl_add_u32 v52, v52, 23, v38
	v_or3_b32 v34, v34, v52, v42
	v_lshrrev_b32_e32 v42, 16, v34
.LBB939_129:                            ;   in Loop: Header=BB939_17 Depth=1
	s_or_b64 exec, exec, s[10:11]
.LBB939_130:                            ;   in Loop: Header=BB939_17 Depth=1
	s_or_b64 exec, exec, s[6:7]
.LBB939_131:                            ;   in Loop: Header=BB939_17 Depth=1
	s_or_b64 exec, exec, s[4:5]
	v_cmp_lt_u32_e32 vcc, s15, v32
	s_and_saveexec_b64 s[4:5], vcc
	s_cbranch_execz .LBB939_137
; %bb.132:                              ;   in Loop: Header=BB939_17 Depth=1
	v_lshrrev_b32_e32 v34, 24, v32
	v_cmp_ne_u32_e32 vcc, s13, v34
	v_mov_b32_e32 v44, 0xffff8000
	s_and_saveexec_b64 s[6:7], vcc
	s_cbranch_execz .LBB939_136
; %bb.133:                              ;   in Loop: Header=BB939_17 Depth=1
	v_bfe_u32 v32, v32, 24, 7
	v_cmp_ne_u32_e32 vcc, s14, v32
	v_mov_b32_e32 v44, 0x7f80
	s_and_saveexec_b64 s[10:11], vcc
	s_cbranch_execz .LBB939_135
; %bb.134:                              ;   in Loop: Header=BB939_17 Depth=1
	v_and_b32_e32 v44, 7, v34
	v_ffbh_u32_e32 v52, v44
	v_min_u32_e32 v55, 32, v52
	v_subrev_u32_e32 v52, 28, v55
	v_lshlrev_b64 v[52:53], v52, v[34:35]
	v_lshrrev_b32_e32 v54, 3, v32
	v_sub_u32_e32 v53, 29, v55
	v_and_b32_e32 v52, 7, v52
	v_cmp_gt_u32_e32 vcc, 8, v32
	v_cndmask_b32_e32 v32, v54, v53, vcc
	v_cndmask_b32_e32 v44, v44, v52, vcc
	v_lshlrev_b32_e32 v34, 24, v34
	v_lshlrev_b32_e32 v44, 20, v44
	v_and_b32_e32 v34, 0x80000000, v34
	v_lshl_add_u32 v32, v32, 23, v38
	v_or3_b32 v32, v34, v32, v44
	v_lshrrev_b32_e32 v44, 16, v32
.LBB939_135:                            ;   in Loop: Header=BB939_17 Depth=1
	s_or_b64 exec, exec, s[10:11]
.LBB939_136:                            ;   in Loop: Header=BB939_17 Depth=1
	s_or_b64 exec, exec, s[6:7]
.LBB939_137:                            ;   in Loop: Header=BB939_17 Depth=1
	s_or_b64 exec, exec, s[4:5]
	s_waitcnt vmcnt(2)
	v_cmp_ne_u16_sdwa s[6:7], v30, v35 src0_sel:BYTE_0 src1_sel:DWORD
	v_mov_b32_e32 v34, 0
	v_mov_b32_e32 v52, 0
	s_and_saveexec_b64 s[4:5], s[6:7]
	s_cbranch_execz .LBB939_143
; %bb.138:                              ;   in Loop: Header=BB939_17 Depth=1
	v_cmp_ne_u16_sdwa s[10:11], v30, s13 src0_sel:BYTE_0 src1_sel:DWORD
	v_mov_b32_e32 v52, 0xffff8000
	s_and_saveexec_b64 s[6:7], s[10:11]
	s_cbranch_execz .LBB939_142
; %bb.139:                              ;   in Loop: Header=BB939_17 Depth=1
	v_and_b32_e32 v32, 0x7f, v30
	v_cmp_ne_u32_e32 vcc, s14, v32
	v_mov_b32_e32 v52, 0x7f80
	s_and_saveexec_b64 s[10:11], vcc
	s_cbranch_execz .LBB939_141
; %bb.140:                              ;   in Loop: Header=BB939_17 Depth=1
	v_and_b32_e32 v54, 7, v30
	v_ffbh_u32_e32 v52, v54
	v_min_u32_e32 v56, 32, v52
	v_subrev_u32_e32 v52, 28, v56
	v_lshlrev_b64 v[52:53], v52, v[30:31]
	v_lshrrev_b32_e32 v55, 3, v32
	v_sub_u32_e32 v53, 29, v56
	v_and_b32_e32 v52, 7, v52
	v_cmp_gt_u32_e32 vcc, 8, v32
	v_cndmask_b32_e32 v32, v55, v53, vcc
	v_cndmask_b32_e32 v52, v54, v52, vcc
	v_lshlrev_b32_e32 v53, 24, v30
	v_lshlrev_b32_e32 v52, 20, v52
	v_and_b32_e32 v53, 0x80000000, v53
	v_lshl_add_u32 v32, v32, 23, v38
	v_or3_b32 v32, v53, v32, v52
	v_lshrrev_b32_e32 v52, 16, v32
.LBB939_141:                            ;   in Loop: Header=BB939_17 Depth=1
	s_or_b64 exec, exec, s[10:11]
.LBB939_142:                            ;   in Loop: Header=BB939_17 Depth=1
	s_or_b64 exec, exec, s[6:7]
.LBB939_143:                            ;   in Loop: Header=BB939_17 Depth=1
	s_or_b64 exec, exec, s[4:5]
	v_lshrrev_b16_e32 v32, 8, v30
	v_cmp_ne_u16_e32 vcc, 0, v32
	s_and_saveexec_b64 s[4:5], vcc
	s_cbranch_execz .LBB939_149
; %bb.144:                              ;   in Loop: Header=BB939_17 Depth=1
	v_cmp_ne_u16_e32 vcc, s13, v32
	v_mov_b32_e32 v34, 0xffff8000
	s_and_saveexec_b64 s[6:7], vcc
	s_cbranch_execz .LBB939_148
; %bb.145:                              ;   in Loop: Header=BB939_17 Depth=1
	v_and_b32_e32 v53, 0x7f, v32
	v_cmp_ne_u32_e32 vcc, s14, v53
	v_mov_b32_e32 v34, 0x7f80
	s_and_saveexec_b64 s[10:11], vcc
	s_cbranch_execz .LBB939_147
; %bb.146:                              ;   in Loop: Header=BB939_17 Depth=1
	v_and_b32_e32 v34, 7, v32
	v_ffbh_u32_e32 v54, v34
	v_min_u32_e32 v57, 32, v54
	v_subrev_u32_e32 v54, 28, v57
	v_lshlrev_b64 v[54:55], v54, v[32:33]
	v_lshrrev_b32_e32 v56, 3, v53
	v_sub_u32_e32 v32, 29, v57
	v_and_b32_e32 v54, 7, v54
	v_cmp_gt_u32_e32 vcc, 8, v53
	v_cndmask_b32_e32 v32, v56, v32, vcc
	v_cndmask_b32_e32 v34, v34, v54, vcc
	v_lshlrev_b32_e32 v53, 16, v30
	v_lshlrev_b32_e32 v34, 20, v34
	v_and_b32_e32 v53, 0x80000000, v53
	v_lshl_add_u32 v32, v32, 23, v38
	v_or3_b32 v32, v53, v32, v34
	v_lshrrev_b32_e32 v34, 16, v32
.LBB939_147:                            ;   in Loop: Header=BB939_17 Depth=1
	s_or_b64 exec, exec, s[10:11]
.LBB939_148:                            ;   in Loop: Header=BB939_17 Depth=1
	s_or_b64 exec, exec, s[6:7]
.LBB939_149:                            ;   in Loop: Header=BB939_17 Depth=1
	s_or_b64 exec, exec, s[4:5]
	v_lshrrev_b32_e32 v32, 16, v30
	v_cmp_ne_u16_sdwa s[6:7], v32, v35 src0_sel:BYTE_0 src1_sel:DWORD
	v_mov_b32_e32 v54, 0
	v_mov_b32_e32 v53, 0
	s_and_saveexec_b64 s[4:5], s[6:7]
	s_cbranch_execz .LBB939_155
; %bb.150:                              ;   in Loop: Header=BB939_17 Depth=1
	v_cmp_ne_u16_sdwa s[10:11], v32, s13 src0_sel:BYTE_0 src1_sel:DWORD
	v_mov_b32_e32 v53, 0xffff8000
	s_and_saveexec_b64 s[6:7], s[10:11]
	s_cbranch_execz .LBB939_154
; %bb.151:                              ;   in Loop: Header=BB939_17 Depth=1
	v_bfe_u32 v55, v30, 16, 7
	v_cmp_ne_u32_e32 vcc, s14, v55
	v_mov_b32_e32 v53, 0x7f80
	s_and_saveexec_b64 s[10:11], vcc
	s_cbranch_execz .LBB939_153
; %bb.152:                              ;   in Loop: Header=BB939_17 Depth=1
	v_and_b32_e32 v53, 7, v32
	v_ffbh_u32_e32 v56, v53
	v_min_u32_e32 v59, 32, v56
	v_subrev_u32_e32 v56, 28, v59
	v_lshlrev_b64 v[56:57], v56, v[32:33]
	v_lshrrev_b32_e32 v58, 3, v55
	v_sub_u32_e32 v57, 29, v59
	v_and_b32_e32 v56, 7, v56
	v_cmp_gt_u32_e32 vcc, 8, v55
	v_cndmask_b32_e32 v55, v58, v57, vcc
	v_cndmask_b32_e32 v53, v53, v56, vcc
	v_lshlrev_b32_e32 v32, 24, v32
	v_lshlrev_b32_e32 v53, 20, v53
	v_and_b32_e32 v32, 0x80000000, v32
	v_lshl_add_u32 v55, v55, 23, v38
	v_or3_b32 v32, v32, v55, v53
	v_lshrrev_b32_e32 v53, 16, v32
.LBB939_153:                            ;   in Loop: Header=BB939_17 Depth=1
	s_or_b64 exec, exec, s[10:11]
.LBB939_154:                            ;   in Loop: Header=BB939_17 Depth=1
	s_or_b64 exec, exec, s[6:7]
.LBB939_155:                            ;   in Loop: Header=BB939_17 Depth=1
	s_or_b64 exec, exec, s[4:5]
	v_cmp_lt_u32_e32 vcc, s15, v30
	s_and_saveexec_b64 s[4:5], vcc
	s_cbranch_execz .LBB939_161
; %bb.156:                              ;   in Loop: Header=BB939_17 Depth=1
	v_lshrrev_b32_e32 v32, 24, v30
	v_cmp_ne_u32_e32 vcc, s13, v32
	v_mov_b32_e32 v54, 0xffff8000
	s_and_saveexec_b64 s[6:7], vcc
	s_cbranch_execz .LBB939_160
; %bb.157:                              ;   in Loop: Header=BB939_17 Depth=1
	v_bfe_u32 v30, v30, 24, 7
	v_cmp_ne_u32_e32 vcc, s14, v30
	v_mov_b32_e32 v54, 0x7f80
	s_and_saveexec_b64 s[10:11], vcc
	s_cbranch_execz .LBB939_159
; %bb.158:                              ;   in Loop: Header=BB939_17 Depth=1
	v_and_b32_e32 v56, 7, v32
	v_ffbh_u32_e32 v54, v56
	v_min_u32_e32 v58, 32, v54
	v_subrev_u32_e32 v54, 28, v58
	v_lshlrev_b64 v[54:55], v54, v[32:33]
	v_lshrrev_b32_e32 v57, 3, v30
	v_sub_u32_e32 v55, 29, v58
	v_and_b32_e32 v54, 7, v54
	v_cmp_gt_u32_e32 vcc, 8, v30
	v_cndmask_b32_e32 v30, v57, v55, vcc
	v_cndmask_b32_e32 v54, v56, v54, vcc
	v_lshlrev_b32_e32 v32, 24, v32
	v_lshlrev_b32_e32 v54, 20, v54
	v_and_b32_e32 v32, 0x80000000, v32
	v_lshl_add_u32 v30, v30, 23, v38
	v_or3_b32 v30, v32, v30, v54
	v_lshrrev_b32_e32 v54, 16, v30
.LBB939_159:                            ;   in Loop: Header=BB939_17 Depth=1
	s_or_b64 exec, exec, s[10:11]
.LBB939_160:                            ;   in Loop: Header=BB939_17 Depth=1
	s_or_b64 exec, exec, s[6:7]
.LBB939_161:                            ;   in Loop: Header=BB939_17 Depth=1
	s_or_b64 exec, exec, s[4:5]
	v_perm_b32 v57, v44, v42, s16
	v_perm_b32 v56, v23, v40, s16
	;; [unrolled: 1-line block ×4, first 2 shown]
	s_waitcnt vmcnt(1)
	v_cmp_ne_u16_sdwa s[6:7], v28, v35 src0_sel:BYTE_0 src1_sel:DWORD
	v_mfma_f32_16x16x16bf16_1k v[18:21], v[56:57], v[10:11], v[18:21]
	v_mov_b32_e32 v23, 0
	v_mov_b32_e32 v32, 0
	v_mfma_f32_16x16x16bf16_1k v[18:21], v[52:53], v[12:13], v[18:21]
	s_and_saveexec_b64 s[4:5], s[6:7]
	s_cbranch_execz .LBB939_167
; %bb.162:                              ;   in Loop: Header=BB939_17 Depth=1
	v_cmp_ne_u16_sdwa s[10:11], v28, s13 src0_sel:BYTE_0 src1_sel:DWORD
	v_mov_b32_e32 v32, 0xffff8000
	s_and_saveexec_b64 s[6:7], s[10:11]
	s_cbranch_execz .LBB939_166
; %bb.163:                              ;   in Loop: Header=BB939_17 Depth=1
	v_and_b32_e32 v30, 0x7f, v28
	v_cmp_ne_u32_e32 vcc, s14, v30
	v_mov_b32_e32 v32, 0x7f80
	s_and_saveexec_b64 s[10:11], vcc
	s_cbranch_execz .LBB939_165
; %bb.164:                              ;   in Loop: Header=BB939_17 Depth=1
	v_and_b32_e32 v32, 7, v28
	v_ffbh_u32_e32 v40, v32
	v_min_u32_e32 v40, 32, v40
	v_subrev_u32_e32 v42, 28, v40
	v_lshlrev_b64 v[52:53], v42, v[28:29]
	v_lshrrev_b32_e32 v34, 3, v30
	v_sub_u32_e32 v40, 29, v40
	v_and_b32_e32 v42, 7, v52
	v_cmp_gt_u32_e32 vcc, 8, v30
	v_cndmask_b32_e32 v30, v34, v40, vcc
	v_cndmask_b32_e32 v32, v32, v42, vcc
	v_lshlrev_b32_e32 v34, 24, v28
	v_lshlrev_b32_e32 v32, 20, v32
	v_and_b32_e32 v34, 0x80000000, v34
	v_lshl_add_u32 v30, v30, 23, v38
	v_or3_b32 v30, v34, v30, v32
	v_lshrrev_b32_e32 v32, 16, v30
.LBB939_165:                            ;   in Loop: Header=BB939_17 Depth=1
	s_or_b64 exec, exec, s[10:11]
.LBB939_166:                            ;   in Loop: Header=BB939_17 Depth=1
	s_or_b64 exec, exec, s[6:7]
.LBB939_167:                            ;   in Loop: Header=BB939_17 Depth=1
	s_or_b64 exec, exec, s[4:5]
	v_lshrrev_b16_e32 v30, 8, v28
	v_cmp_ne_u16_e32 vcc, 0, v30
	s_and_saveexec_b64 s[4:5], vcc
	s_cbranch_execz .LBB939_173
; %bb.168:                              ;   in Loop: Header=BB939_17 Depth=1
	v_cmp_ne_u16_e32 vcc, s13, v30
	v_mov_b32_e32 v23, 0xffff8000
	s_and_saveexec_b64 s[6:7], vcc
	s_cbranch_execz .LBB939_172
; %bb.169:                              ;   in Loop: Header=BB939_17 Depth=1
	v_and_b32_e32 v34, 0x7f, v30
	v_cmp_ne_u32_e32 vcc, s14, v34
	v_mov_b32_e32 v23, 0x7f80
	s_and_saveexec_b64 s[10:11], vcc
	s_cbranch_execz .LBB939_171
; %bb.170:                              ;   in Loop: Header=BB939_17 Depth=1
	v_and_b32_e32 v23, 7, v30
	v_ffbh_u32_e32 v42, v23
	v_min_u32_e32 v42, 32, v42
	v_subrev_u32_e32 v44, 28, v42
	v_lshlrev_b64 v[52:53], v44, v[30:31]
	v_lshrrev_b32_e32 v40, 3, v34
	v_sub_u32_e32 v30, 29, v42
	v_and_b32_e32 v42, 7, v52
	v_cmp_gt_u32_e32 vcc, 8, v34
	v_cndmask_b32_e32 v30, v40, v30, vcc
	v_cndmask_b32_e32 v23, v23, v42, vcc
	v_lshlrev_b32_e32 v34, 16, v28
	v_lshlrev_b32_e32 v23, 20, v23
	v_and_b32_e32 v34, 0x80000000, v34
	v_lshl_add_u32 v30, v30, 23, v38
	v_or3_b32 v23, v34, v30, v23
	v_lshrrev_b32_e32 v23, 16, v23
.LBB939_171:                            ;   in Loop: Header=BB939_17 Depth=1
	s_or_b64 exec, exec, s[10:11]
.LBB939_172:                            ;   in Loop: Header=BB939_17 Depth=1
	s_or_b64 exec, exec, s[6:7]
.LBB939_173:                            ;   in Loop: Header=BB939_17 Depth=1
	s_or_b64 exec, exec, s[4:5]
	v_lshrrev_b32_e32 v30, 16, v28
	v_cmp_ne_u16_sdwa s[6:7], v30, v35 src0_sel:BYTE_0 src1_sel:DWORD
	v_mov_b32_e32 v40, 0
	v_mov_b32_e32 v34, 0
	s_and_saveexec_b64 s[4:5], s[6:7]
	s_cbranch_execz .LBB939_179
; %bb.174:                              ;   in Loop: Header=BB939_17 Depth=1
	v_cmp_ne_u16_sdwa s[10:11], v30, s13 src0_sel:BYTE_0 src1_sel:DWORD
	v_mov_b32_e32 v34, 0xffff8000
	s_and_saveexec_b64 s[6:7], s[10:11]
	s_cbranch_execz .LBB939_178
; %bb.175:                              ;   in Loop: Header=BB939_17 Depth=1
	v_bfe_u32 v42, v28, 16, 7
	v_cmp_ne_u32_e32 vcc, s14, v42
	v_mov_b32_e32 v34, 0x7f80
	s_and_saveexec_b64 s[10:11], vcc
	s_cbranch_execz .LBB939_177
; %bb.176:                              ;   in Loop: Header=BB939_17 Depth=1
	v_and_b32_e32 v34, 7, v30
	v_ffbh_u32_e32 v52, v34
	v_min_u32_e32 v54, 32, v52
	v_subrev_u32_e32 v52, 28, v54
	v_lshlrev_b64 v[52:53], v52, v[30:31]
	v_lshrrev_b32_e32 v44, 3, v42
	v_sub_u32_e32 v53, 29, v54
	v_and_b32_e32 v52, 7, v52
	v_cmp_gt_u32_e32 vcc, 8, v42
	v_cndmask_b32_e32 v42, v44, v53, vcc
	v_cndmask_b32_e32 v34, v34, v52, vcc
	v_lshlrev_b32_e32 v30, 24, v30
	v_lshlrev_b32_e32 v34, 20, v34
	v_and_b32_e32 v30, 0x80000000, v30
	v_lshl_add_u32 v42, v42, 23, v38
	v_or3_b32 v30, v30, v42, v34
	v_lshrrev_b32_e32 v34, 16, v30
.LBB939_177:                            ;   in Loop: Header=BB939_17 Depth=1
	s_or_b64 exec, exec, s[10:11]
.LBB939_178:                            ;   in Loop: Header=BB939_17 Depth=1
	s_or_b64 exec, exec, s[6:7]
.LBB939_179:                            ;   in Loop: Header=BB939_17 Depth=1
	s_or_b64 exec, exec, s[4:5]
	v_cmp_lt_u32_e32 vcc, s15, v28
	s_and_saveexec_b64 s[4:5], vcc
	s_cbranch_execz .LBB939_185
; %bb.180:                              ;   in Loop: Header=BB939_17 Depth=1
	v_lshrrev_b32_e32 v30, 24, v28
	v_cmp_ne_u32_e32 vcc, s13, v30
	v_mov_b32_e32 v40, 0xffff8000
	s_and_saveexec_b64 s[6:7], vcc
	s_cbranch_execz .LBB939_184
; %bb.181:                              ;   in Loop: Header=BB939_17 Depth=1
	v_bfe_u32 v28, v28, 24, 7
	v_cmp_ne_u32_e32 vcc, s14, v28
	v_mov_b32_e32 v40, 0x7f80
	s_and_saveexec_b64 s[10:11], vcc
	s_cbranch_execz .LBB939_183
; %bb.182:                              ;   in Loop: Header=BB939_17 Depth=1
	v_and_b32_e32 v40, 7, v30
	v_ffbh_u32_e32 v44, v40
	v_min_u32_e32 v44, 32, v44
	v_subrev_u32_e32 v52, 28, v44
	v_lshlrev_b64 v[52:53], v52, v[30:31]
	v_lshrrev_b32_e32 v42, 3, v28
	v_sub_u32_e32 v44, 29, v44
	v_and_b32_e32 v52, 7, v52
	v_cmp_gt_u32_e32 vcc, 8, v28
	v_cndmask_b32_e32 v28, v42, v44, vcc
	v_cndmask_b32_e32 v40, v40, v52, vcc
	v_lshlrev_b32_e32 v30, 24, v30
	v_lshlrev_b32_e32 v40, 20, v40
	v_and_b32_e32 v30, 0x80000000, v30
	v_lshl_add_u32 v28, v28, 23, v38
	v_or3_b32 v28, v30, v28, v40
	v_lshrrev_b32_e32 v40, 16, v28
.LBB939_183:                            ;   in Loop: Header=BB939_17 Depth=1
	s_or_b64 exec, exec, s[10:11]
.LBB939_184:                            ;   in Loop: Header=BB939_17 Depth=1
	s_or_b64 exec, exec, s[6:7]
.LBB939_185:                            ;   in Loop: Header=BB939_17 Depth=1
	s_or_b64 exec, exec, s[4:5]
	s_waitcnt vmcnt(0)
	v_cmp_ne_u16_sdwa s[6:7], v26, v35 src0_sel:BYTE_0 src1_sel:DWORD
	v_mov_b32_e32 v30, 0
	v_mov_b32_e32 v42, 0
	s_and_saveexec_b64 s[4:5], s[6:7]
	s_cbranch_execz .LBB939_191
; %bb.186:                              ;   in Loop: Header=BB939_17 Depth=1
	v_cmp_ne_u16_sdwa s[10:11], v26, s13 src0_sel:BYTE_0 src1_sel:DWORD
	v_mov_b32_e32 v42, 0xffff8000
	s_and_saveexec_b64 s[6:7], s[10:11]
	s_cbranch_execz .LBB939_190
; %bb.187:                              ;   in Loop: Header=BB939_17 Depth=1
	v_and_b32_e32 v28, 0x7f, v26
	v_cmp_ne_u32_e32 vcc, s14, v28
	v_mov_b32_e32 v42, 0x7f80
	s_and_saveexec_b64 s[10:11], vcc
	s_cbranch_execz .LBB939_189
; %bb.188:                              ;   in Loop: Header=BB939_17 Depth=1
	v_and_b32_e32 v42, 7, v26
	v_ffbh_u32_e32 v52, v42
	v_min_u32_e32 v54, 32, v52
	v_subrev_u32_e32 v52, 28, v54
	v_lshlrev_b64 v[52:53], v52, v[26:27]
	v_lshrrev_b32_e32 v44, 3, v28
	v_sub_u32_e32 v53, 29, v54
	v_and_b32_e32 v52, 7, v52
	v_cmp_gt_u32_e32 vcc, 8, v28
	v_cndmask_b32_e32 v28, v44, v53, vcc
	v_cndmask_b32_e32 v42, v42, v52, vcc
	v_lshlrev_b32_e32 v44, 24, v26
	v_lshlrev_b32_e32 v42, 20, v42
	v_and_b32_e32 v44, 0x80000000, v44
	v_lshl_add_u32 v28, v28, 23, v38
	v_or3_b32 v28, v44, v28, v42
	v_lshrrev_b32_e32 v42, 16, v28
.LBB939_189:                            ;   in Loop: Header=BB939_17 Depth=1
	s_or_b64 exec, exec, s[10:11]
.LBB939_190:                            ;   in Loop: Header=BB939_17 Depth=1
	s_or_b64 exec, exec, s[6:7]
.LBB939_191:                            ;   in Loop: Header=BB939_17 Depth=1
	s_or_b64 exec, exec, s[4:5]
	v_lshrrev_b16_e32 v28, 8, v26
	v_cmp_ne_u16_e32 vcc, 0, v28
	s_and_saveexec_b64 s[4:5], vcc
	s_cbranch_execz .LBB939_197
; %bb.192:                              ;   in Loop: Header=BB939_17 Depth=1
	v_cmp_ne_u16_e32 vcc, s13, v28
	v_mov_b32_e32 v30, 0xffff8000
	s_and_saveexec_b64 s[6:7], vcc
	s_cbranch_execz .LBB939_196
; %bb.193:                              ;   in Loop: Header=BB939_17 Depth=1
	v_and_b32_e32 v44, 0x7f, v28
	v_cmp_ne_u32_e32 vcc, s14, v44
	v_mov_b32_e32 v30, 0x7f80
	s_and_saveexec_b64 s[10:11], vcc
	s_cbranch_execz .LBB939_195
; %bb.194:                              ;   in Loop: Header=BB939_17 Depth=1
	v_and_b32_e32 v30, 7, v28
	v_ffbh_u32_e32 v52, v30
	v_min_u32_e32 v55, 32, v52
	v_subrev_u32_e32 v52, 28, v55
	v_lshlrev_b64 v[52:53], v52, v[28:29]
	v_lshrrev_b32_e32 v54, 3, v44
	v_sub_u32_e32 v28, 29, v55
	v_and_b32_e32 v52, 7, v52
	v_cmp_gt_u32_e32 vcc, 8, v44
	v_cndmask_b32_e32 v28, v54, v28, vcc
	v_cndmask_b32_e32 v30, v30, v52, vcc
	v_lshlrev_b32_e32 v44, 16, v26
	v_lshlrev_b32_e32 v30, 20, v30
	v_and_b32_e32 v44, 0x80000000, v44
	v_lshl_add_u32 v28, v28, 23, v38
	v_or3_b32 v28, v44, v28, v30
	v_lshrrev_b32_e32 v30, 16, v28
.LBB939_195:                            ;   in Loop: Header=BB939_17 Depth=1
	s_or_b64 exec, exec, s[10:11]
.LBB939_196:                            ;   in Loop: Header=BB939_17 Depth=1
	s_or_b64 exec, exec, s[6:7]
.LBB939_197:                            ;   in Loop: Header=BB939_17 Depth=1
	s_or_b64 exec, exec, s[4:5]
	v_lshrrev_b32_e32 v28, 16, v26
	v_cmp_ne_u16_sdwa s[6:7], v28, v35 src0_sel:BYTE_0 src1_sel:DWORD
	v_mov_b32_e32 v52, 0
	v_mov_b32_e32 v44, 0
	s_and_saveexec_b64 s[4:5], s[6:7]
	s_cbranch_execz .LBB939_203
; %bb.198:                              ;   in Loop: Header=BB939_17 Depth=1
	v_cmp_ne_u16_sdwa s[10:11], v28, s13 src0_sel:BYTE_0 src1_sel:DWORD
	v_mov_b32_e32 v44, 0xffff8000
	s_and_saveexec_b64 s[6:7], s[10:11]
	s_cbranch_execz .LBB939_202
; %bb.199:                              ;   in Loop: Header=BB939_17 Depth=1
	v_bfe_u32 v53, v26, 16, 7
	v_cmp_ne_u32_e32 vcc, s14, v53
	v_mov_b32_e32 v44, 0x7f80
	s_and_saveexec_b64 s[10:11], vcc
	s_cbranch_execz .LBB939_201
; %bb.200:                              ;   in Loop: Header=BB939_17 Depth=1
	v_and_b32_e32 v44, 7, v28
	v_ffbh_u32_e32 v54, v44
	v_min_u32_e32 v57, 32, v54
	v_subrev_u32_e32 v54, 28, v57
	v_lshlrev_b64 v[54:55], v54, v[28:29]
	v_lshrrev_b32_e32 v56, 3, v53
	v_sub_u32_e32 v55, 29, v57
	v_and_b32_e32 v54, 7, v54
	v_cmp_gt_u32_e32 vcc, 8, v53
	v_cndmask_b32_e32 v53, v56, v55, vcc
	v_cndmask_b32_e32 v44, v44, v54, vcc
	v_lshlrev_b32_e32 v28, 24, v28
	v_lshlrev_b32_e32 v44, 20, v44
	v_and_b32_e32 v28, 0x80000000, v28
	v_lshl_add_u32 v53, v53, 23, v38
	v_or3_b32 v28, v28, v53, v44
	v_lshrrev_b32_e32 v44, 16, v28
.LBB939_201:                            ;   in Loop: Header=BB939_17 Depth=1
	s_or_b64 exec, exec, s[10:11]
.LBB939_202:                            ;   in Loop: Header=BB939_17 Depth=1
	s_or_b64 exec, exec, s[6:7]
.LBB939_203:                            ;   in Loop: Header=BB939_17 Depth=1
	s_or_b64 exec, exec, s[4:5]
	v_cmp_lt_u32_e32 vcc, s15, v26
	s_and_saveexec_b64 s[4:5], vcc
	s_cbranch_execz .LBB939_16
; %bb.204:                              ;   in Loop: Header=BB939_17 Depth=1
	v_lshrrev_b32_e32 v28, 24, v26
	v_cmp_ne_u32_e32 vcc, s13, v28
	v_mov_b32_e32 v52, 0xffff8000
	s_and_saveexec_b64 s[6:7], vcc
	s_cbranch_execz .LBB939_15
; %bb.205:                              ;   in Loop: Header=BB939_17 Depth=1
	v_bfe_u32 v26, v26, 24, 7
	v_cmp_ne_u32_e32 vcc, s14, v26
	v_mov_b32_e32 v52, 0x7f80
	s_and_saveexec_b64 s[10:11], vcc
	s_cbranch_execz .LBB939_14
; %bb.206:                              ;   in Loop: Header=BB939_17 Depth=1
	v_and_b32_e32 v54, 7, v28
	v_ffbh_u32_e32 v52, v54
	v_min_u32_e32 v56, 32, v52
	v_subrev_u32_e32 v52, 28, v56
	v_lshlrev_b64 v[52:53], v52, v[28:29]
	v_lshrrev_b32_e32 v55, 3, v26
	v_sub_u32_e32 v53, 29, v56
	v_and_b32_e32 v52, 7, v52
	v_cmp_gt_u32_e32 vcc, 8, v26
	v_cndmask_b32_e32 v26, v55, v53, vcc
	v_cndmask_b32_e32 v52, v54, v52, vcc
	v_lshlrev_b32_e32 v28, 24, v28
	v_lshlrev_b32_e32 v52, 20, v52
	v_and_b32_e32 v28, 0x80000000, v28
	v_lshl_add_u32 v26, v26, 23, v38
	v_or3_b32 v26, v28, v26, v52
	v_lshrrev_b32_e32 v52, 16, v26
	s_branch .LBB939_14
.LBB939_207:
	buffer_load_dword v17, off, s[0:3], 0 offset:256
	buffer_load_dword v16, off, s[0:3], 0 offset:260
	;; [unrolled: 1-line block ×16, first 2 shown]
	v_and_b32_e32 v18, 0xc0, v0
	v_add_u32_e32 v18, s20, v18
	v_lshl_or_b32 v18, v1, 2, v18
	v_or_b32_e32 v20, 1, v18
	v_subrev_u32_e32 v24, s33, v20
	v_add_u32_e32 v26, 1, v24
	v_cvt_f32_i32_e32 v25, v24
	v_add_u32_e32 v28, 2, v24
	v_add_u32_e32 v30, 3, v24
	v_add_u32_e32 v32, 16, v24
	v_add_u32_e32 v34, 17, v24
	v_add_u32_e32 v35, 18, v24
	v_add_u32_e32 v36, 19, v24
	v_add_u32_e32 v37, 32, v24
	v_add_u32_e32 v38, 33, v24
	v_add_u32_e32 v40, 34, v24
	v_add_u32_e32 v42, 35, v24
	v_add_u32_e32 v44, 48, v24
	v_add_u32_e32 v52, 49, v24
	v_add_u32_e32 v53, 50, v24
	v_add_u32_e32 v24, 51, v24
	v_cvt_f32_i32_e32 v26, v26
	v_cvt_f32_i32_e32 v28, v28
	v_cvt_f32_i32_e32 v30, v30
	v_cvt_f32_i32_e32 v24, v24
	v_mov_b32_e32 v19, 0xff7fffff
	v_or_b32_e32 v21, 2, v18
	v_or_b32_e32 v22, 3, v18
	v_cvt_f32_i32_e32 v32, v32
	v_cvt_f32_i32_e32 v34, v34
	v_cmp_gt_i32_e64 s[28:29], s33, v18
	v_cmp_gt_i32_e64 s[30:31], s33, v20
	s_mov_b32 s52, 0xff7fffff
	v_cmp_gt_i32_e64 s[34:35], s33, v21
	v_cmp_gt_i32_e64 s[36:37], s33, v22
	v_or_b32_e32 v23, 16, v18
	v_cvt_f32_i32_e32 v35, v35
	v_cvt_f32_i32_e32 v36, v36
	v_cmp_gt_i32_e64 s[24:25], s33, v23
	v_cvt_f32_i32_e32 v37, v37
	v_cvt_f32_i32_e32 v38, v38
	;; [unrolled: 1-line block ×7, first 2 shown]
	s_waitcnt vmcnt(15)
	v_fmac_f32_e32 v17, v31, v25
	s_waitcnt vmcnt(14)
	v_fmac_f32_e32 v16, v31, v26
	;; [unrolled: 2-line block ×4, first 2 shown]
	v_cndmask_b32_e64 v20, v19, v16, s[30:31]
	v_cndmask_b32_e64 v21, v19, v15, s[34:35]
	;; [unrolled: 1-line block ×3, first 2 shown]
	s_waitcnt vmcnt(11)
	v_fmac_f32_e32 v13, v31, v32
	s_waitcnt vmcnt(10)
	v_fmac_f32_e32 v12, v31, v34
	;; [unrolled: 2-line block ×9, first 2 shown]
	v_cndmask_b32_e64 v24, v19, v17, s[28:29]
	v_max3_f32 v20, v24, s52, v20
	v_max3_f32 v20, v20, v21, v22
	v_or_b32_e32 v22, 17, v18
	v_cmp_gt_i32_e64 s[38:39], s33, v22
	v_cndmask_b32_e64 v21, v19, v13, s[24:25]
	v_cndmask_b32_e64 v22, v19, v12, s[38:39]
	v_max3_f32 v20, v20, v21, v22
	v_or_b32_e32 v21, 18, v18
	v_or_b32_e32 v22, 19, v18
	v_cmp_gt_i32_e64 s[20:21], s33, v21
	v_cmp_gt_i32_e64 s[22:23], s33, v22
	v_cndmask_b32_e64 v21, v19, v11, s[20:21]
	v_cndmask_b32_e64 v22, v19, v10, s[22:23]
	v_max3_f32 v20, v20, v21, v22
	v_or_b32_e32 v21, 32, v18
	v_or_b32_e32 v22, 33, v18
	v_cmp_gt_i32_e64 s[16:17], s33, v21
	;; [unrolled: 7-line block ×3, first 2 shown]
	v_cmp_gt_i32_e64 s[14:15], s33, v22
	v_cndmask_b32_e64 v21, v19, v7, s[12:13]
	v_cndmask_b32_e64 v22, v19, v6, s[14:15]
	v_max3_f32 v20, v20, v21, v22
	v_or_b32_e32 v21, 48, v18
	v_or_b32_e32 v22, 49, v18
	v_fmac_f32_e32 v5, v31, v44
	v_fmac_f32_e32 v4, v31, v52
	v_cmp_gt_i32_e64 s[6:7], s33, v21
	v_cmp_gt_i32_e64 s[10:11], s33, v22
	v_cndmask_b32_e64 v21, v19, v5, s[6:7]
	v_cndmask_b32_e64 v22, v19, v4, s[10:11]
	v_max3_f32 v20, v20, v21, v22
	v_or_b32_e32 v21, 50, v18
	v_or_b32_e32 v18, 51, v18
	v_fmac_f32_e32 v3, v31, v53
	v_cmp_gt_i32_e32 vcc, s33, v21
	v_cmp_gt_i32_e64 s[4:5], s33, v18
	v_cndmask_b32_e32 v21, v19, v3, vcc
	v_cndmask_b32_e64 v18, v19, v2, s[4:5]
	v_mbcnt_lo_u32_b32 v19, -1, 0
	v_mbcnt_hi_u32_b32 v19, -1, v19
	v_max3_f32 v18, v20, v21, v18
	v_and_b32_e32 v20, 64, v19
	v_add_u32_e32 v20, 64, v20
	v_xor_b32_e32 v21, 32, v19
	v_cmp_lt_i32_e64 s[40:41], v21, v20
	v_cndmask_b32_e64 v21, v19, v21, s[40:41]
	v_lshlrev_b32_e32 v21, 2, v21
	ds_bpermute_b32 v22, v21, v18
	s_waitcnt lgkmcnt(0)
	v_max_f32_e32 v22, v22, v22
	v_max_f32_e32 v18, v18, v22
	v_xor_b32_e32 v22, 16, v19
	v_cmp_lt_i32_e64 s[40:41], v22, v20
	v_cndmask_b32_e64 v19, v19, v22, s[40:41]
	v_lshlrev_b32_e32 v19, 2, v19
	ds_bpermute_b32 v20, v19, v18
	s_waitcnt lgkmcnt(0)
	v_max_f32_e32 v20, v20, v20
	v_max_f32_e32 v18, v18, v20
	v_sub_f32_e32 v17, v17, v18
	v_mul_f32_e32 v17, 0x3fb8aa3b, v17
	v_sub_f32_e32 v16, v16, v18
	v_exp_f32_e32 v17, v17
	v_mul_f32_e32 v16, 0x3fb8aa3b, v16
	v_sub_f32_e32 v15, v15, v18
	v_exp_f32_e32 v16, v16
	;; [unrolled: 3-line block ×4, first 2 shown]
	v_mul_f32_e32 v13, 0x3fb8aa3b, v13
	v_sub_f32_e32 v12, v12, v18
	v_cndmask_b32_e64 v17, 0, v17, s[28:29]
	v_exp_f32_e32 v13, v13
	v_mul_f32_e32 v12, 0x3fb8aa3b, v12
	v_sub_f32_e32 v11, v11, v18
	v_add_f32_e32 v20, 0, v17
	v_cndmask_b32_e64 v16, 0, v16, s[30:31]
	v_exp_f32_e32 v12, v12
	v_mul_f32_e32 v11, 0x3fb8aa3b, v11
	v_sub_f32_e32 v10, v10, v18
	v_add_f32_e32 v20, v20, v16
	;; [unrolled: 5-line block ×4, first 2 shown]
	v_cndmask_b32_e64 v13, 0, v13, s[24:25]
	v_exp_f32_e32 v9, v9
	v_mul_f32_e32 v8, 0x3fb8aa3b, v8
	v_sub_f32_e32 v7, v7, v18
	buffer_store_dword v17, off, s[0:3], 0 offset:256
	buffer_store_dword v16, off, s[0:3], 0 offset:260
	;; [unrolled: 1-line block ×4, first 2 shown]
	v_add_f32_e32 v14, v20, v13
	v_cndmask_b32_e64 v12, 0, v12, s[38:39]
	v_exp_f32_e32 v8, v8
	v_mul_f32_e32 v7, 0x3fb8aa3b, v7
	v_sub_f32_e32 v6, v6, v18
	v_add_f32_e32 v14, v14, v12
	v_cndmask_b32_e64 v11, 0, v11, s[20:21]
	v_exp_f32_e32 v7, v7
	v_mul_f32_e32 v6, 0x3fb8aa3b, v6
	v_sub_f32_e32 v5, v5, v18
	;; [unrolled: 5-line block ×4, first 2 shown]
	buffer_store_dword v13, off, s[0:3], 0 offset:272
	buffer_store_dword v12, off, s[0:3], 0 offset:276
	;; [unrolled: 1-line block ×4, first 2 shown]
	v_add_f32_e32 v10, v14, v9
	v_cndmask_b32_e64 v8, 0, v8, s[18:19]
	v_exp_f32_e32 v4, v4
	v_mul_f32_e32 v3, 0x3fb8aa3b, v3
	v_sub_f32_e32 v2, v2, v18
	v_add_f32_e32 v10, v10, v8
	v_cndmask_b32_e64 v7, 0, v7, s[12:13]
	v_exp_f32_e32 v3, v3
	v_mul_f32_e32 v2, 0x3fb8aa3b, v2
	v_add_f32_e32 v10, v10, v7
	v_cndmask_b32_e64 v6, 0, v6, s[14:15]
	v_exp_f32_e32 v2, v2
	v_add_f32_e32 v10, v10, v6
	v_cndmask_b32_e64 v5, 0, v5, s[6:7]
	buffer_store_dword v9, off, s[0:3], 0 offset:288
	buffer_store_dword v8, off, s[0:3], 0 offset:292
	;; [unrolled: 1-line block ×4, first 2 shown]
	v_add_f32_e32 v6, v10, v5
	v_cndmask_b32_e64 v4, 0, v4, s[10:11]
	v_add_f32_e32 v6, v6, v4
	v_cndmask_b32_e32 v3, 0, v3, vcc
	v_add_f32_e32 v6, v6, v3
	v_cndmask_b32_e64 v2, 0, v2, s[4:5]
	v_add_f32_e32 v6, v6, v2
	ds_bpermute_b32 v7, v21, v6
	buffer_store_dword v5, off, s[0:3], 0 offset:304
	buffer_store_dword v4, off, s[0:3], 0 offset:308
	;; [unrolled: 1-line block ×4, first 2 shown]
	v_cmp_gt_u32_e32 vcc, 16, v33
	s_waitcnt lgkmcnt(0)
	s_barrier
	v_add_f32_e32 v2, v6, v7
	ds_bpermute_b32 v3, v19, v2
	s_waitcnt lgkmcnt(0)
	s_and_saveexec_b64 s[4:5], vcc
	s_cbranch_execz .LBB939_209
; %bb.208:
	v_add_f32_e32 v2, v2, v3
	v_lshlrev_b32_e32 v3, 2, v29
	ds_write2st64_b32 v3, v18, v2 offset1:1
.LBB939_209:
	s_or_b64 exec, exec, s[4:5]
	v_lshlrev_b32_e32 v2, 2, v41
	s_waitcnt lgkmcnt(0)
	s_barrier
	ds_read2_b32 v[14:15], v2 offset1:16
	ds_read2_b32 v[16:17], v2 offset0:32 offset1:48
	ds_read2_b32 v[6:7], v2 offset0:64 offset1:80
	;; [unrolled: 1-line block ×3, first 2 shown]
	s_waitcnt lgkmcnt(0)
	s_barrier
	buffer_load_dword v22, off, s[0:3], 0 offset:264
	buffer_load_dword v23, off, s[0:3], 0 offset:268
	buffer_load_dword v24, off, s[0:3], 0 offset:256
	buffer_load_dword v25, off, s[0:3], 0 offset:260
	buffer_load_dword v10, off, s[0:3], 0 offset:280
	buffer_load_dword v11, off, s[0:3], 0 offset:284
	buffer_load_dword v8, off, s[0:3], 0 offset:272
	buffer_load_dword v9, off, s[0:3], 0 offset:276
	buffer_load_dword v18, off, s[0:3], 0 offset:288
	buffer_load_dword v19, off, s[0:3], 0 offset:292
	buffer_load_dword v28, off, s[0:3], 0 offset:296
	buffer_load_dword v29, off, s[0:3], 0 offset:300
	buffer_load_dword v2, off, s[0:3], 0 offset:304
	buffer_load_dword v3, off, s[0:3], 0 offset:308
	buffer_load_dword v4, off, s[0:3], 0 offset:312
	buffer_load_dword v5, off, s[0:3], 0 offset:316
	v_max3_f32 v20, v14, s52, v15
	v_max3_f32 v20, v20, v16, v17
	v_sub_f32_e32 v14, v14, v20
	v_sub_f32_e32 v15, v15, v20
	v_mul_f32_e32 v14, 0x3fb8aa3b, v14
	v_sub_f32_e32 v16, v16, v20
	v_mul_f32_e32 v15, 0x3fb8aa3b, v15
	v_exp_f32_e32 v14, v14
	v_sub_f32_e32 v17, v17, v20
	v_mul_f32_e32 v16, 0x3fb8aa3b, v16
	v_exp_f32_e32 v15, v15
	v_mul_f32_e32 v17, 0x3fb8aa3b, v17
	v_exp_f32_e32 v16, v16
	v_exp_f32_e32 v17, v17
	v_fma_f32 v6, v14, v6, 0
	v_fmac_f32_e32 v6, v15, v7
	v_fmac_f32_e32 v6, v16, v12
	;; [unrolled: 1-line block ×3, first 2 shown]
	v_cmp_eq_u32_e32 vcc, 1, v27
	v_add_f32_e32 v12, 0x358637bd, v6
	v_cndmask_b32_e32 v14, v14, v15, vcc
	v_cmp_eq_u32_e32 vcc, 2, v27
	v_div_scale_f32 v13, s[4:5], v12, v12, 1.0
	v_cndmask_b32_e32 v7, v14, v16, vcc
	v_rcp_f32_e32 v14, v13
	v_cmp_eq_u32_e32 vcc, 3, v27
	v_cndmask_b32_e32 v7, v7, v17, vcc
	v_div_scale_f32 v15, vcc, 1.0, v12, 1.0
	v_fma_f32 v16, -v13, v14, 1.0
	v_fmac_f32_e32 v14, v16, v14
	v_mul_f32_e32 v16, v15, v14
	v_fma_f32 v17, -v13, v16, v15
	v_fmac_f32_e32 v16, v17, v14
	v_fma_f32 v13, -v13, v16, v15
	v_div_fmas_f32 v13, v13, v14, v16
	v_div_fixup_f32 v12, v13, v12, 1.0
	v_mul_f32_e32 v12, v7, v12
	s_movk_i32 s19, 0x7fff
	s_mov_b32 s20, 0x7060302
	s_mul_i32 s18, s49, 14
	v_cmp_gt_u32_e32 vcc, 14, v0
	s_waitcnt vmcnt(14)
	v_pk_mul_f32 v[14:15], v[12:13], v[22:23] op_sel_hi:[0,1]
	v_bfe_u32 v21, v15, 16, 1
	s_waitcnt vmcnt(12)
	v_pk_mul_f32 v[16:17], v[12:13], v[24:25] op_sel_hi:[0,1]
	v_bfe_u32 v7, v17, 16, 1
	v_bfe_u32 v13, v16, 16, 1
	;; [unrolled: 1-line block ×3, first 2 shown]
	v_add3_u32 v13, v16, v13, s19
	v_add3_u32 v7, v17, v7, s19
	buffer_store_dword v16, off, s[0:3], 0 offset:256
	buffer_store_dword v17, off, s[0:3], 0 offset:260
	;; [unrolled: 1-line block ×4, first 2 shown]
	v_add3_u32 v16, v14, v22, s19
	v_add3_u32 v15, v15, v21, s19
	v_perm_b32 v14, v7, v13, s20
	v_lshlrev_b32_e32 v13, 3, v1
	v_perm_b32 v15, v15, v16, s20
	v_lshlrev_b32_e32 v7, 5, v41
	v_lshlrev_b32_e32 v16, 11, v27
	s_waitcnt vmcnt(12)
	v_pk_mul_f32 v[8:9], v[12:13], v[8:9] op_sel_hi:[0,1]
	v_or3_b32 v52, v16, v7, v13
	v_pk_mul_f32 v[10:11], v[12:13], v[10:11] op_sel_hi:[0,1]
	v_bfe_u32 v13, v9, 16, 1
	v_bfe_u32 v16, v8, 16, 1
	buffer_store_dword v8, off, s[0:3], 0 offset:272
	buffer_store_dword v9, off, s[0:3], 0 offset:276
	;; [unrolled: 1-line block ×4, first 2 shown]
	v_add3_u32 v8, v8, v16, s19
	v_add3_u32 v9, v9, v13, s19
	v_perm_b32 v8, v9, v8, s20
	v_bfe_u32 v9, v11, 16, 1
	v_bfe_u32 v13, v10, 16, 1
	v_add3_u32 v10, v10, v13, s19
	v_add3_u32 v9, v11, v9, s19
	v_perm_b32 v9, v9, v10, s20
	s_waitcnt vmcnt(14)
	v_pk_mul_f32 v[10:11], v[12:13], v[18:19] op_sel_hi:[0,1]
	ds_write2st64_b64 v52, v[14:15], v[8:9] offset1:1
	s_waitcnt vmcnt(12)
	v_pk_mul_f32 v[8:9], v[12:13], v[28:29] op_sel_hi:[0,1]
	v_bfe_u32 v13, v11, 16, 1
	v_bfe_u32 v14, v10, 16, 1
	buffer_store_dword v10, off, s[0:3], 0 offset:288
	buffer_store_dword v11, off, s[0:3], 0 offset:292
	;; [unrolled: 1-line block ×4, first 2 shown]
	v_add3_u32 v10, v10, v14, s19
	v_add3_u32 v11, v11, v13, s19
	v_perm_b32 v10, v11, v10, s20
	v_bfe_u32 v11, v9, 16, 1
	v_bfe_u32 v13, v8, 16, 1
	v_add3_u32 v8, v8, v13, s19
	v_add3_u32 v9, v9, v11, s19
	s_waitcnt vmcnt(14)
	v_pk_mul_f32 v[2:3], v[12:13], v[2:3] op_sel_hi:[0,1]
	v_perm_b32 v11, v9, v8, s20
	v_bfe_u32 v8, v3, 16, 1
	v_bfe_u32 v9, v2, 16, 1
	s_waitcnt vmcnt(12)
	v_pk_mul_f32 v[4:5], v[12:13], v[4:5] op_sel_hi:[0,1]
	buffer_store_dword v2, off, s[0:3], 0 offset:304
	buffer_store_dword v3, off, s[0:3], 0 offset:308
	;; [unrolled: 1-line block ×4, first 2 shown]
	v_add3_u32 v2, v2, v9, s19
	v_add3_u32 v3, v3, v8, s19
	v_perm_b32 v2, v3, v2, s20
	v_bfe_u32 v3, v5, 16, 1
	v_bfe_u32 v8, v4, 16, 1
	v_add3_u32 v4, v4, v8, s19
	v_add3_u32 v3, v5, v3, s19
	v_perm_b32 v3, v3, v4, s20
	ds_write2st64_b64 v52, v[10:11], v[2:3] offset0:2 offset1:3
	s_and_saveexec_b64 s[4:5], vcc
	s_cbranch_execz .LBB939_211
; %bb.210:
	v_add_co_u32_e32 v4, vcc, s27, v41
	v_addc_co_u32_e64 v5, s[6:7], 0, 0, vcc
	v_mov_b32_e32 v2, s18
	v_mad_u64_u32 v[4:5], s[6:7], s8, v2, v[4:5]
	v_mov_b32_e32 v3, 0
	s_mul_i32 s6, s9, s18
	v_mov_b32_e32 v2, s26
	v_add_u32_e32 v5, s6, v5
	v_mad_u64_u32 v[2:3], s[6:7], v4, s48, v[2:3]
	v_mov_b32_e32 v4, v3
	v_mad_u64_u32 v[4:5], s[6:7], v5, s48, v[4:5]
	v_mov_b32_e32 v3, v4
	v_lshlrev_b64 v[2:3], 2, v[2:3]
	v_mov_b32_e32 v5, s47
	v_add_co_u32_e32 v4, vcc, s46, v2
	v_addc_co_u32_e32 v5, vcc, v5, v3, vcc
	global_store_dword v[4:5], v20, off
	v_mov_b32_e32 v4, s45
	v_add_co_u32_e32 v2, vcc, s44, v2
	v_addc_co_u32_e32 v3, vcc, v4, v3, vcc
	global_store_dword v[2:3], v6, off
.LBB939_211:
	s_or_b64 exec, exec, s[4:5]
	v_lshl_or_b32 v30, v1, 9, v7
	s_waitcnt lgkmcnt(0)
	s_barrier
	s_load_dword s4, s[42:43], 0x0
	ds_read_b128 v[2:5], v30
	ds_read_b128 v[6:9], v30 offset:16
	ds_read_b128 v[10:13], v30 offset:2048
	;; [unrolled: 1-line block ×7, first 2 shown]
	v_mov_b32_e32 v35, 0x80
	v_mov_b32_e32 v53, 0x140
	s_mov_b64 s[10:11], -1
	s_waitcnt lgkmcnt(0)
	s_mov_b32 s5, s4
	s_mov_b32 s6, s4
	;; [unrolled: 1-line block ×3, first 2 shown]
	s_movk_i32 s9, 0x80
	s_movk_i32 s21, 0x7f
	s_mov_b32 s22, 0xffffff
	s_mov_b32 s23, 0x5040100
	v_mov_b32_e32 v54, 0
	v_bfrev_b32_e32 v55, 60
	s_branch .LBB939_215
.LBB939_212:                            ;   in Loop: Header=BB939_215 Depth=1
	s_or_b64 exec, exec, s[16:17]
.LBB939_213:                            ;   in Loop: Header=BB939_215 Depth=1
	s_or_b64 exec, exec, s[14:15]
.LBB939_214:                            ;   in Loop: Header=BB939_215 Depth=1
	s_or_b64 exec, exec, s[12:13]
	v_perm_b32 v61, v56, v50, s23
	v_perm_b32 v60, v44, v46, s23
	s_xor_b64 s[12:13], s[10:11], -1
	s_mov_b64 s[10:11], 0
	v_mov_b32_e32 v46, v47
	v_mfma_f32_16x16x16bf16_1k v[60:63], v[60:61], v[30:31], v[34:37]
	s_and_b64 vcc, exec, s[12:13]
	s_nop 5
	v_perm_b32 v37, v58, v57, s23
	v_perm_b32 v36, v42, v51, s23
	v_mov_b32_e32 v35, v45
	s_nop 0
	v_mfma_f32_16x16x16bf16_1k v[56:59], v[36:37], v[32:33], v[60:63]
	s_nop 7
	s_nop 2
	v_pk_mul_f32 v[50:51], v[56:57], s[4:5]
	v_pk_mul_f32 v[36:37], v[58:59], s[6:7]
	v_bfe_u32 v34, v51, 16, 1
	v_bfe_u32 v38, v50, 16, 1
	;; [unrolled: 1-line block ×4, first 2 shown]
	v_add3_u32 v38, v50, v38, s19
	v_add3_u32 v34, v51, v34, s19
	;; [unrolled: 1-line block ×4, first 2 shown]
	v_perm_b32 v34, v34, v38, s20
	v_perm_b32 v36, v37, v36, s20
	buffer_store_dword v34, v53, s[0:3], 0 offen
	buffer_store_dword v36, v53, s[0:3], 0 offen offset:4
	v_mov_b32_e32 v53, 0x148
	v_mov_b32_e32 v51, v48
	;; [unrolled: 1-line block ×3, first 2 shown]
	s_cbranch_vccnz .LBB939_597
.LBB939_215:                            ; =>This Inner Loop Header: Depth=1
	buffer_load_dword v36, v35, s[0:3], 0 offen
	buffer_load_dword v34, v35, s[0:3], 0 offen offset:4
	buffer_load_dword v40, v35, s[0:3], 0 offen offset:8
	;; [unrolled: 1-line block ×3, first 2 shown]
	v_mov_b32_e32 v35, 0
	s_waitcnt vmcnt(3)
	v_cmp_ne_u16_sdwa s[14:15], v36, v54 src0_sel:BYTE_0 src1_sel:DWORD
	s_and_saveexec_b64 s[12:13], s[14:15]
	s_cbranch_execz .LBB939_221
; %bb.216:                              ;   in Loop: Header=BB939_215 Depth=1
	v_cmp_ne_u16_sdwa s[16:17], v36, s9 src0_sel:BYTE_0 src1_sel:DWORD
	v_mov_b32_e32 v35, 0xffff8000
	s_and_saveexec_b64 s[14:15], s[16:17]
	s_cbranch_execz .LBB939_220
; %bb.217:                              ;   in Loop: Header=BB939_215 Depth=1
	v_and_b32_e32 v37, 0x7f, v36
	v_cmp_ne_u32_e32 vcc, s21, v37
	v_mov_b32_e32 v35, 0x7f80
	s_and_saveexec_b64 s[16:17], vcc
	s_cbranch_execz .LBB939_219
; %bb.218:                              ;   in Loop: Header=BB939_215 Depth=1
	v_and_b32_e32 v35, 7, v36
	v_ffbh_u32_e32 v44, v35
	v_min_u32_e32 v44, 32, v44
	v_subrev_u32_e32 v56, 28, v44
	v_lshlrev_b64 v[56:57], v56, v[36:37]
	v_lshrrev_b32_e32 v42, 3, v37
	v_sub_u32_e32 v44, 29, v44
	v_and_b32_e32 v56, 7, v56
	v_cmp_gt_u32_e32 vcc, 8, v37
	v_cndmask_b32_e32 v37, v42, v44, vcc
	v_cndmask_b32_e32 v35, v35, v56, vcc
	v_lshlrev_b32_e32 v42, 24, v36
	v_lshlrev_b32_e32 v35, 20, v35
	v_and_b32_e32 v42, 0x80000000, v42
	v_lshl_add_u32 v37, v37, 23, v55
	v_or3_b32 v35, v42, v37, v35
	v_lshrrev_b32_e32 v35, 16, v35
.LBB939_219:                            ;   in Loop: Header=BB939_215 Depth=1
	s_or_b64 exec, exec, s[16:17]
.LBB939_220:                            ;   in Loop: Header=BB939_215 Depth=1
	s_or_b64 exec, exec, s[14:15]
.LBB939_221:                            ;   in Loop: Header=BB939_215 Depth=1
	s_or_b64 exec, exec, s[12:13]
	v_lshrrev_b16_e32 v42, 8, v36
	v_cmp_ne_u16_e32 vcc, 0, v42
	v_mov_b32_e32 v56, 0
	v_mov_b32_e32 v37, 0
	s_and_saveexec_b64 s[12:13], vcc
	s_cbranch_execz .LBB939_227
; %bb.222:                              ;   in Loop: Header=BB939_215 Depth=1
	v_cmp_ne_u16_e32 vcc, s9, v42
	v_mov_b32_e32 v37, 0xffff8000
	s_and_saveexec_b64 s[14:15], vcc
	s_cbranch_execz .LBB939_226
; %bb.223:                              ;   in Loop: Header=BB939_215 Depth=1
	v_and_b32_e32 v44, 0x7f, v42
	v_cmp_ne_u32_e32 vcc, s21, v44
	v_mov_b32_e32 v37, 0x7f80
	s_and_saveexec_b64 s[16:17], vcc
	s_cbranch_execz .LBB939_225
; %bb.224:                              ;   in Loop: Header=BB939_215 Depth=1
	v_and_b32_e32 v37, 7, v42
	v_ffbh_u32_e32 v58, v37
	v_min_u32_e32 v60, 32, v58
	v_subrev_u32_e32 v58, 28, v60
	v_lshlrev_b64 v[58:59], v58, v[42:43]
	v_lshrrev_b32_e32 v57, 3, v44
	v_sub_u32_e32 v42, 29, v60
	v_and_b32_e32 v58, 7, v58
	v_cmp_gt_u32_e32 vcc, 8, v44
	v_cndmask_b32_e32 v42, v57, v42, vcc
	v_cndmask_b32_e32 v37, v37, v58, vcc
	v_lshlrev_b32_e32 v44, 16, v36
	v_lshlrev_b32_e32 v37, 20, v37
	v_and_b32_e32 v44, 0x80000000, v44
	v_lshl_add_u32 v42, v42, 23, v55
	v_or3_b32 v37, v44, v42, v37
	v_lshrrev_b32_e32 v37, 16, v37
.LBB939_225:                            ;   in Loop: Header=BB939_215 Depth=1
	s_or_b64 exec, exec, s[16:17]
.LBB939_226:                            ;   in Loop: Header=BB939_215 Depth=1
	s_or_b64 exec, exec, s[14:15]
.LBB939_227:                            ;   in Loop: Header=BB939_215 Depth=1
	s_or_b64 exec, exec, s[12:13]
	v_lshrrev_b32_e32 v42, 16, v36
	v_cmp_ne_u16_sdwa s[14:15], v42, v54 src0_sel:BYTE_0 src1_sel:DWORD
	s_and_saveexec_b64 s[12:13], s[14:15]
	s_cbranch_execz .LBB939_233
; %bb.228:                              ;   in Loop: Header=BB939_215 Depth=1
	v_cmp_ne_u16_sdwa s[16:17], v42, s9 src0_sel:BYTE_0 src1_sel:DWORD
	v_mov_b32_e32 v56, 0xffff8000
	s_and_saveexec_b64 s[14:15], s[16:17]
	s_cbranch_execz .LBB939_232
; %bb.229:                              ;   in Loop: Header=BB939_215 Depth=1
	v_bfe_u32 v44, v36, 16, 7
	v_cmp_ne_u32_e32 vcc, s21, v44
	v_mov_b32_e32 v56, 0x7f80
	s_and_saveexec_b64 s[16:17], vcc
	s_cbranch_execz .LBB939_231
; %bb.230:                              ;   in Loop: Header=BB939_215 Depth=1
	v_and_b32_e32 v58, 7, v42
	v_ffbh_u32_e32 v56, v58
	v_min_u32_e32 v60, 32, v56
	v_subrev_u32_e32 v56, 28, v60
	v_lshlrev_b64 v[56:57], v56, v[42:43]
	v_lshrrev_b32_e32 v59, 3, v44
	v_sub_u32_e32 v57, 29, v60
	v_and_b32_e32 v56, 7, v56
	v_cmp_gt_u32_e32 vcc, 8, v44
	v_cndmask_b32_e32 v44, v59, v57, vcc
	v_cndmask_b32_e32 v56, v58, v56, vcc
	v_lshlrev_b32_e32 v42, 24, v42
	v_lshlrev_b32_e32 v56, 20, v56
	v_and_b32_e32 v42, 0x80000000, v42
	v_lshl_add_u32 v44, v44, 23, v55
	v_or3_b32 v42, v42, v44, v56
	v_lshrrev_b32_e32 v56, 16, v42
.LBB939_231:                            ;   in Loop: Header=BB939_215 Depth=1
	s_or_b64 exec, exec, s[16:17]
.LBB939_232:                            ;   in Loop: Header=BB939_215 Depth=1
	s_or_b64 exec, exec, s[14:15]
.LBB939_233:                            ;   in Loop: Header=BB939_215 Depth=1
	s_or_b64 exec, exec, s[12:13]
	v_cmp_lt_u32_e32 vcc, s22, v36
	v_mov_b32_e32 v57, 0
	v_mov_b32_e32 v58, 0
	s_and_saveexec_b64 s[12:13], vcc
	s_cbranch_execz .LBB939_239
; %bb.234:                              ;   in Loop: Header=BB939_215 Depth=1
	v_lshrrev_b32_e32 v42, 24, v36
	v_cmp_ne_u32_e32 vcc, s9, v42
	v_mov_b32_e32 v58, 0xffff8000
	s_and_saveexec_b64 s[14:15], vcc
	s_cbranch_execz .LBB939_238
; %bb.235:                              ;   in Loop: Header=BB939_215 Depth=1
	v_bfe_u32 v36, v36, 24, 7
	v_cmp_ne_u32_e32 vcc, s21, v36
	v_mov_b32_e32 v58, 0x7f80
	s_and_saveexec_b64 s[16:17], vcc
	s_cbranch_execz .LBB939_237
; %bb.236:                              ;   in Loop: Header=BB939_215 Depth=1
	v_and_b32_e32 v44, 7, v42
	v_ffbh_u32_e32 v58, v44
	v_min_u32_e32 v61, 32, v58
	v_subrev_u32_e32 v58, 28, v61
	v_lshlrev_b64 v[58:59], v58, v[42:43]
	v_lshrrev_b32_e32 v60, 3, v36
	v_sub_u32_e32 v59, 29, v61
	v_and_b32_e32 v58, 7, v58
	v_cmp_gt_u32_e32 vcc, 8, v36
	v_cndmask_b32_e32 v36, v60, v59, vcc
	v_cndmask_b32_e32 v44, v44, v58, vcc
	v_lshlrev_b32_e32 v42, 24, v42
	v_lshlrev_b32_e32 v44, 20, v44
	v_and_b32_e32 v42, 0x80000000, v42
	v_lshl_add_u32 v36, v36, 23, v55
	v_or3_b32 v36, v42, v36, v44
	v_lshrrev_b32_e32 v58, 16, v36
.LBB939_237:                            ;   in Loop: Header=BB939_215 Depth=1
	s_or_b64 exec, exec, s[16:17]
.LBB939_238:                            ;   in Loop: Header=BB939_215 Depth=1
	s_or_b64 exec, exec, s[14:15]
.LBB939_239:                            ;   in Loop: Header=BB939_215 Depth=1
	s_or_b64 exec, exec, s[12:13]
	s_waitcnt vmcnt(2)
	v_cmp_ne_u16_sdwa s[14:15], v34, v54 src0_sel:BYTE_0 src1_sel:DWORD
	s_and_saveexec_b64 s[12:13], s[14:15]
	s_cbranch_execz .LBB939_245
; %bb.240:                              ;   in Loop: Header=BB939_215 Depth=1
	v_cmp_ne_u16_sdwa s[16:17], v34, s9 src0_sel:BYTE_0 src1_sel:DWORD
	v_mov_b32_e32 v57, 0xffff8000
	s_and_saveexec_b64 s[14:15], s[16:17]
	s_cbranch_execz .LBB939_244
; %bb.241:                              ;   in Loop: Header=BB939_215 Depth=1
	v_and_b32_e32 v36, 0x7f, v34
	v_cmp_ne_u32_e32 vcc, s21, v36
	v_mov_b32_e32 v57, 0x7f80
	s_and_saveexec_b64 s[16:17], vcc
	s_cbranch_execz .LBB939_243
; %bb.242:                              ;   in Loop: Header=BB939_215 Depth=1
	v_and_b32_e32 v42, 7, v34
	v_ffbh_u32_e32 v57, v42
	v_min_u32_e32 v57, 32, v57
	v_subrev_u32_e32 v59, 28, v57
	v_lshlrev_b64 v[60:61], v59, v[34:35]
	v_lshrrev_b32_e32 v44, 3, v36
	v_sub_u32_e32 v57, 29, v57
	v_and_b32_e32 v59, 7, v60
	v_cmp_gt_u32_e32 vcc, 8, v36
	v_cndmask_b32_e32 v36, v44, v57, vcc
	v_cndmask_b32_e32 v42, v42, v59, vcc
	v_lshlrev_b32_e32 v44, 24, v34
	v_lshlrev_b32_e32 v42, 20, v42
	v_and_b32_e32 v44, 0x80000000, v44
	v_lshl_add_u32 v36, v36, 23, v55
	v_or3_b32 v36, v44, v36, v42
	v_lshrrev_b32_e32 v57, 16, v36
.LBB939_243:                            ;   in Loop: Header=BB939_215 Depth=1
	s_or_b64 exec, exec, s[16:17]
.LBB939_244:                            ;   in Loop: Header=BB939_215 Depth=1
	s_or_b64 exec, exec, s[14:15]
.LBB939_245:                            ;   in Loop: Header=BB939_215 Depth=1
	s_or_b64 exec, exec, s[12:13]
	v_lshrrev_b16_e32 v36, 8, v34
	v_cmp_ne_u16_e32 vcc, 0, v36
	v_mov_b32_e32 v59, 0
	v_mov_b32_e32 v42, 0
	s_and_saveexec_b64 s[12:13], vcc
	s_cbranch_execz .LBB939_251
; %bb.246:                              ;   in Loop: Header=BB939_215 Depth=1
	v_cmp_ne_u16_e32 vcc, s9, v36
	v_mov_b32_e32 v42, 0xffff8000
	s_and_saveexec_b64 s[14:15], vcc
	s_cbranch_execz .LBB939_250
; %bb.247:                              ;   in Loop: Header=BB939_215 Depth=1
	v_and_b32_e32 v44, 0x7f, v36
	v_cmp_ne_u32_e32 vcc, s21, v44
	v_mov_b32_e32 v42, 0x7f80
	s_and_saveexec_b64 s[16:17], vcc
	s_cbranch_execz .LBB939_249
; %bb.248:                              ;   in Loop: Header=BB939_215 Depth=1
	v_and_b32_e32 v42, 7, v36
	v_ffbh_u32_e32 v60, v42
	v_min_u32_e32 v63, 32, v60
	v_subrev_u32_e32 v60, 28, v63
	v_lshlrev_b64 v[60:61], v60, v[36:37]
	v_lshrrev_b32_e32 v62, 3, v44
	v_sub_u32_e32 v36, 29, v63
	v_and_b32_e32 v60, 7, v60
	v_cmp_gt_u32_e32 vcc, 8, v44
	v_cndmask_b32_e32 v36, v62, v36, vcc
	v_cndmask_b32_e32 v42, v42, v60, vcc
	v_lshlrev_b32_e32 v44, 16, v34
	v_lshlrev_b32_e32 v42, 20, v42
	v_and_b32_e32 v44, 0x80000000, v44
	v_lshl_add_u32 v36, v36, 23, v55
	v_or3_b32 v36, v44, v36, v42
	v_lshrrev_b32_e32 v42, 16, v36
.LBB939_249:                            ;   in Loop: Header=BB939_215 Depth=1
	s_or_b64 exec, exec, s[16:17]
.LBB939_250:                            ;   in Loop: Header=BB939_215 Depth=1
	s_or_b64 exec, exec, s[14:15]
.LBB939_251:                            ;   in Loop: Header=BB939_215 Depth=1
	s_or_b64 exec, exec, s[12:13]
	v_lshrrev_b32_e32 v36, 16, v34
	v_cmp_ne_u16_sdwa s[14:15], v36, v54 src0_sel:BYTE_0 src1_sel:DWORD
	s_and_saveexec_b64 s[12:13], s[14:15]
	s_cbranch_execz .LBB939_257
; %bb.252:                              ;   in Loop: Header=BB939_215 Depth=1
	v_cmp_ne_u16_sdwa s[16:17], v36, s9 src0_sel:BYTE_0 src1_sel:DWORD
	v_mov_b32_e32 v59, 0xffff8000
	s_and_saveexec_b64 s[14:15], s[16:17]
	s_cbranch_execz .LBB939_256
; %bb.253:                              ;   in Loop: Header=BB939_215 Depth=1
	v_bfe_u32 v44, v34, 16, 7
	v_cmp_ne_u32_e32 vcc, s21, v44
	v_mov_b32_e32 v59, 0x7f80
	s_and_saveexec_b64 s[16:17], vcc
	s_cbranch_execz .LBB939_255
; %bb.254:                              ;   in Loop: Header=BB939_215 Depth=1
	v_and_b32_e32 v59, 7, v36
	v_ffbh_u32_e32 v60, v59
	v_min_u32_e32 v63, 32, v60
	v_subrev_u32_e32 v60, 28, v63
	v_lshlrev_b64 v[60:61], v60, v[36:37]
	v_lshrrev_b32_e32 v62, 3, v44
	v_sub_u32_e32 v61, 29, v63
	v_and_b32_e32 v60, 7, v60
	v_cmp_gt_u32_e32 vcc, 8, v44
	v_cndmask_b32_e32 v44, v62, v61, vcc
	v_cndmask_b32_e32 v59, v59, v60, vcc
	v_lshlrev_b32_e32 v36, 24, v36
	v_lshlrev_b32_e32 v59, 20, v59
	v_and_b32_e32 v36, 0x80000000, v36
	v_lshl_add_u32 v44, v44, 23, v55
	v_or3_b32 v36, v36, v44, v59
	v_lshrrev_b32_e32 v59, 16, v36
.LBB939_255:                            ;   in Loop: Header=BB939_215 Depth=1
	s_or_b64 exec, exec, s[16:17]
.LBB939_256:                            ;   in Loop: Header=BB939_215 Depth=1
	s_or_b64 exec, exec, s[14:15]
.LBB939_257:                            ;   in Loop: Header=BB939_215 Depth=1
	s_or_b64 exec, exec, s[12:13]
	v_cmp_lt_u32_e32 vcc, s22, v34
	v_mov_b32_e32 v44, 0
	v_mov_b32_e32 v60, 0
	s_and_saveexec_b64 s[12:13], vcc
	s_cbranch_execz .LBB939_263
; %bb.258:                              ;   in Loop: Header=BB939_215 Depth=1
	v_lshrrev_b32_e32 v36, 24, v34
	v_cmp_ne_u32_e32 vcc, s9, v36
	v_mov_b32_e32 v60, 0xffff8000
	s_and_saveexec_b64 s[14:15], vcc
	s_cbranch_execz .LBB939_262
; %bb.259:                              ;   in Loop: Header=BB939_215 Depth=1
	v_bfe_u32 v34, v34, 24, 7
	v_cmp_ne_u32_e32 vcc, s21, v34
	v_mov_b32_e32 v60, 0x7f80
	s_and_saveexec_b64 s[16:17], vcc
	s_cbranch_execz .LBB939_261
; %bb.260:                              ;   in Loop: Header=BB939_215 Depth=1
	v_and_b32_e32 v62, 7, v36
	v_ffbh_u32_e32 v60, v62
	v_min_u32_e32 v64, 32, v60
	v_subrev_u32_e32 v60, 28, v64
	v_lshlrev_b64 v[60:61], v60, v[36:37]
	v_lshrrev_b32_e32 v63, 3, v34
	v_sub_u32_e32 v61, 29, v64
	v_and_b32_e32 v60, 7, v60
	v_cmp_gt_u32_e32 vcc, 8, v34
	v_cndmask_b32_e32 v34, v63, v61, vcc
	v_cndmask_b32_e32 v60, v62, v60, vcc
	v_lshlrev_b32_e32 v36, 24, v36
	v_lshlrev_b32_e32 v60, 20, v60
	v_and_b32_e32 v36, 0x80000000, v36
	v_lshl_add_u32 v34, v34, 23, v55
	v_or3_b32 v34, v36, v34, v60
	v_lshrrev_b32_e32 v60, 16, v34
.LBB939_261:                            ;   in Loop: Header=BB939_215 Depth=1
	s_or_b64 exec, exec, s[16:17]
.LBB939_262:                            ;   in Loop: Header=BB939_215 Depth=1
	s_or_b64 exec, exec, s[14:15]
.LBB939_263:                            ;   in Loop: Header=BB939_215 Depth=1
	s_or_b64 exec, exec, s[12:13]
	v_perm_b32 v63, v58, v56, s23
	v_perm_b32 v62, v37, v35, s23
	;; [unrolled: 1-line block ×4, first 2 shown]
	s_waitcnt vmcnt(1)
	v_cmp_ne_u16_sdwa s[14:15], v40, v54 src0_sel:BYTE_0 src1_sel:DWORD
	v_mfma_f32_16x16x16bf16_1k v[34:37], v[62:63], v[2:3], 0
	v_mfma_f32_16x16x16bf16_1k v[34:37], v[58:59], v[4:5], v[34:37]
	s_and_saveexec_b64 s[12:13], s[14:15]
	s_cbranch_execz .LBB939_269
; %bb.264:                              ;   in Loop: Header=BB939_215 Depth=1
	v_cmp_ne_u16_sdwa s[16:17], v40, s9 src0_sel:BYTE_0 src1_sel:DWORD
	v_mov_b32_e32 v44, 0xffff8000
	s_and_saveexec_b64 s[14:15], s[16:17]
	s_cbranch_execz .LBB939_268
; %bb.265:                              ;   in Loop: Header=BB939_215 Depth=1
	v_and_b32_e32 v42, 0x7f, v40
	v_cmp_ne_u32_e32 vcc, s21, v42
	v_mov_b32_e32 v44, 0x7f80
	s_and_saveexec_b64 s[16:17], vcc
	s_cbranch_execz .LBB939_267
; %bb.266:                              ;   in Loop: Header=BB939_215 Depth=1
	v_and_b32_e32 v44, 7, v40
	v_ffbh_u32_e32 v56, v44
	v_min_u32_e32 v59, 32, v56
	v_subrev_u32_e32 v56, 28, v59
	v_lshlrev_b64 v[56:57], v56, v[40:41]
	v_lshrrev_b32_e32 v58, 3, v42
	v_sub_u32_e32 v57, 29, v59
	v_and_b32_e32 v56, 7, v56
	v_cmp_gt_u32_e32 vcc, 8, v42
	v_cndmask_b32_e32 v42, v58, v57, vcc
	v_cndmask_b32_e32 v44, v44, v56, vcc
	v_lshlrev_b32_e32 v56, 24, v40
	v_lshlrev_b32_e32 v44, 20, v44
	v_and_b32_e32 v56, 0x80000000, v56
	v_lshl_add_u32 v42, v42, 23, v55
	v_or3_b32 v42, v56, v42, v44
	v_lshrrev_b32_e32 v44, 16, v42
.LBB939_267:                            ;   in Loop: Header=BB939_215 Depth=1
	s_or_b64 exec, exec, s[16:17]
.LBB939_268:                            ;   in Loop: Header=BB939_215 Depth=1
	s_or_b64 exec, exec, s[14:15]
.LBB939_269:                            ;   in Loop: Header=BB939_215 Depth=1
	s_or_b64 exec, exec, s[12:13]
	v_lshrrev_b16_e32 v42, 8, v40
	v_cmp_ne_u16_e32 vcc, 0, v42
	v_mov_b32_e32 v58, 0
	v_mov_b32_e32 v57, 0
	s_and_saveexec_b64 s[12:13], vcc
	s_cbranch_execz .LBB939_275
; %bb.270:                              ;   in Loop: Header=BB939_215 Depth=1
	v_cmp_ne_u16_e32 vcc, s9, v42
	v_mov_b32_e32 v57, 0xffff8000
	s_and_saveexec_b64 s[14:15], vcc
	s_cbranch_execz .LBB939_274
; %bb.271:                              ;   in Loop: Header=BB939_215 Depth=1
	v_and_b32_e32 v56, 0x7f, v42
	v_cmp_ne_u32_e32 vcc, s21, v56
	v_mov_b32_e32 v57, 0x7f80
	s_and_saveexec_b64 s[16:17], vcc
	s_cbranch_execz .LBB939_273
; %bb.272:                              ;   in Loop: Header=BB939_215 Depth=1
	v_and_b32_e32 v57, 7, v42
	v_ffbh_u32_e32 v60, v57
	v_min_u32_e32 v62, 32, v60
	v_subrev_u32_e32 v60, 28, v62
	v_lshlrev_b64 v[60:61], v60, v[42:43]
	v_lshrrev_b32_e32 v59, 3, v56
	v_sub_u32_e32 v42, 29, v62
	v_and_b32_e32 v60, 7, v60
	v_cmp_gt_u32_e32 vcc, 8, v56
	v_cndmask_b32_e32 v42, v59, v42, vcc
	v_cndmask_b32_e32 v56, v57, v60, vcc
	v_lshlrev_b32_e32 v57, 16, v40
	v_lshlrev_b32_e32 v56, 20, v56
	v_and_b32_e32 v57, 0x80000000, v57
	v_lshl_add_u32 v42, v42, 23, v55
	v_or3_b32 v42, v57, v42, v56
	v_lshrrev_b32_e32 v57, 16, v42
.LBB939_273:                            ;   in Loop: Header=BB939_215 Depth=1
	s_or_b64 exec, exec, s[16:17]
.LBB939_274:                            ;   in Loop: Header=BB939_215 Depth=1
	s_or_b64 exec, exec, s[14:15]
.LBB939_275:                            ;   in Loop: Header=BB939_215 Depth=1
	s_or_b64 exec, exec, s[12:13]
	v_lshrrev_b32_e32 v42, 16, v40
	v_cmp_ne_u16_sdwa s[14:15], v42, v54 src0_sel:BYTE_0 src1_sel:DWORD
	s_and_saveexec_b64 s[12:13], s[14:15]
	s_cbranch_execz .LBB939_281
; %bb.276:                              ;   in Loop: Header=BB939_215 Depth=1
	v_cmp_ne_u16_sdwa s[16:17], v42, s9 src0_sel:BYTE_0 src1_sel:DWORD
	v_mov_b32_e32 v58, 0xffff8000
	s_and_saveexec_b64 s[14:15], s[16:17]
	s_cbranch_execz .LBB939_280
; %bb.277:                              ;   in Loop: Header=BB939_215 Depth=1
	v_bfe_u32 v56, v40, 16, 7
	v_cmp_ne_u32_e32 vcc, s21, v56
	v_mov_b32_e32 v58, 0x7f80
	s_and_saveexec_b64 s[16:17], vcc
	s_cbranch_execz .LBB939_279
; %bb.278:                              ;   in Loop: Header=BB939_215 Depth=1
	v_and_b32_e32 v60, 7, v42
	v_ffbh_u32_e32 v58, v60
	v_min_u32_e32 v62, 32, v58
	v_subrev_u32_e32 v58, 28, v62
	v_lshlrev_b64 v[58:59], v58, v[42:43]
	v_lshrrev_b32_e32 v61, 3, v56
	v_sub_u32_e32 v59, 29, v62
	v_and_b32_e32 v58, 7, v58
	v_cmp_gt_u32_e32 vcc, 8, v56
	v_cndmask_b32_e32 v56, v61, v59, vcc
	v_cndmask_b32_e32 v58, v60, v58, vcc
	v_lshlrev_b32_e32 v42, 24, v42
	v_lshlrev_b32_e32 v58, 20, v58
	v_and_b32_e32 v42, 0x80000000, v42
	v_lshl_add_u32 v56, v56, 23, v55
	v_or3_b32 v42, v42, v56, v58
	v_lshrrev_b32_e32 v58, 16, v42
.LBB939_279:                            ;   in Loop: Header=BB939_215 Depth=1
	s_or_b64 exec, exec, s[16:17]
.LBB939_280:                            ;   in Loop: Header=BB939_215 Depth=1
	s_or_b64 exec, exec, s[14:15]
.LBB939_281:                            ;   in Loop: Header=BB939_215 Depth=1
	s_or_b64 exec, exec, s[12:13]
	v_cmp_lt_u32_e32 vcc, s22, v40
	v_mov_b32_e32 v59, 0
	v_mov_b32_e32 v60, 0
	s_and_saveexec_b64 s[12:13], vcc
	s_cbranch_execz .LBB939_287
; %bb.282:                              ;   in Loop: Header=BB939_215 Depth=1
	v_lshrrev_b32_e32 v42, 24, v40
	v_cmp_ne_u32_e32 vcc, s9, v42
	v_mov_b32_e32 v60, 0xffff8000
	s_and_saveexec_b64 s[14:15], vcc
	s_cbranch_execz .LBB939_286
; %bb.283:                              ;   in Loop: Header=BB939_215 Depth=1
	v_bfe_u32 v40, v40, 24, 7
	v_cmp_ne_u32_e32 vcc, s21, v40
	v_mov_b32_e32 v60, 0x7f80
	s_and_saveexec_b64 s[16:17], vcc
	s_cbranch_execz .LBB939_285
; %bb.284:                              ;   in Loop: Header=BB939_215 Depth=1
	v_and_b32_e32 v56, 7, v42
	v_ffbh_u32_e32 v60, v56
	v_min_u32_e32 v63, 32, v60
	v_subrev_u32_e32 v60, 28, v63
	v_lshlrev_b64 v[60:61], v60, v[42:43]
	v_lshrrev_b32_e32 v62, 3, v40
	v_sub_u32_e32 v61, 29, v63
	v_and_b32_e32 v60, 7, v60
	v_cmp_gt_u32_e32 vcc, 8, v40
	v_cndmask_b32_e32 v40, v62, v61, vcc
	v_cndmask_b32_e32 v56, v56, v60, vcc
	v_lshlrev_b32_e32 v42, 24, v42
	v_lshlrev_b32_e32 v56, 20, v56
	v_and_b32_e32 v42, 0x80000000, v42
	v_lshl_add_u32 v40, v40, 23, v55
	v_or3_b32 v40, v42, v40, v56
	v_lshrrev_b32_e32 v60, 16, v40
.LBB939_285:                            ;   in Loop: Header=BB939_215 Depth=1
	s_or_b64 exec, exec, s[16:17]
.LBB939_286:                            ;   in Loop: Header=BB939_215 Depth=1
	s_or_b64 exec, exec, s[14:15]
.LBB939_287:                            ;   in Loop: Header=BB939_215 Depth=1
	s_or_b64 exec, exec, s[12:13]
	s_waitcnt vmcnt(0)
	v_cmp_ne_u16_sdwa s[14:15], v38, v54 src0_sel:BYTE_0 src1_sel:DWORD
	s_and_saveexec_b64 s[12:13], s[14:15]
	s_cbranch_execz .LBB939_293
; %bb.288:                              ;   in Loop: Header=BB939_215 Depth=1
	v_cmp_ne_u16_sdwa s[16:17], v38, s9 src0_sel:BYTE_0 src1_sel:DWORD
	v_mov_b32_e32 v59, 0xffff8000
	s_and_saveexec_b64 s[14:15], s[16:17]
	s_cbranch_execz .LBB939_292
; %bb.289:                              ;   in Loop: Header=BB939_215 Depth=1
	v_and_b32_e32 v40, 0x7f, v38
	v_cmp_ne_u32_e32 vcc, s21, v40
	v_mov_b32_e32 v59, 0x7f80
	s_and_saveexec_b64 s[16:17], vcc
	s_cbranch_execz .LBB939_291
; %bb.290:                              ;   in Loop: Header=BB939_215 Depth=1
	v_and_b32_e32 v42, 7, v38
	v_ffbh_u32_e32 v59, v42
	v_min_u32_e32 v59, 32, v59
	v_subrev_u32_e32 v61, 28, v59
	v_lshlrev_b64 v[62:63], v61, v[38:39]
	v_lshrrev_b32_e32 v56, 3, v40
	v_sub_u32_e32 v59, 29, v59
	v_and_b32_e32 v61, 7, v62
	v_cmp_gt_u32_e32 vcc, 8, v40
	v_cndmask_b32_e32 v40, v56, v59, vcc
	v_cndmask_b32_e32 v42, v42, v61, vcc
	v_lshlrev_b32_e32 v56, 24, v38
	v_lshlrev_b32_e32 v42, 20, v42
	v_and_b32_e32 v56, 0x80000000, v56
	v_lshl_add_u32 v40, v40, 23, v55
	v_or3_b32 v40, v56, v40, v42
	v_lshrrev_b32_e32 v59, 16, v40
.LBB939_291:                            ;   in Loop: Header=BB939_215 Depth=1
	s_or_b64 exec, exec, s[16:17]
.LBB939_292:                            ;   in Loop: Header=BB939_215 Depth=1
	s_or_b64 exec, exec, s[14:15]
.LBB939_293:                            ;   in Loop: Header=BB939_215 Depth=1
	s_or_b64 exec, exec, s[12:13]
	v_lshrrev_b16_e32 v40, 8, v38
	v_cmp_ne_u16_e32 vcc, 0, v40
	v_mov_b32_e32 v62, 0
	v_mov_b32_e32 v61, 0
	s_and_saveexec_b64 s[12:13], vcc
	s_cbranch_execz .LBB939_299
; %bb.294:                              ;   in Loop: Header=BB939_215 Depth=1
	v_cmp_ne_u16_e32 vcc, s9, v40
	v_mov_b32_e32 v61, 0xffff8000
	s_and_saveexec_b64 s[14:15], vcc
	s_cbranch_execz .LBB939_298
; %bb.295:                              ;   in Loop: Header=BB939_215 Depth=1
	v_and_b32_e32 v42, 0x7f, v40
	v_cmp_ne_u32_e32 vcc, s21, v42
	v_mov_b32_e32 v61, 0x7f80
	s_and_saveexec_b64 s[16:17], vcc
	s_cbranch_execz .LBB939_297
; %bb.296:                              ;   in Loop: Header=BB939_215 Depth=1
	v_and_b32_e32 v56, 7, v40
	v_ffbh_u32_e32 v63, v56
	v_min_u32_e32 v63, 32, v63
	v_subrev_u32_e32 v64, 28, v63
	v_lshlrev_b64 v[64:65], v64, v[40:41]
	v_lshrrev_b32_e32 v61, 3, v42
	v_sub_u32_e32 v40, 29, v63
	v_and_b32_e32 v63, 7, v64
	v_cmp_gt_u32_e32 vcc, 8, v42
	v_cndmask_b32_e32 v40, v61, v40, vcc
	v_cndmask_b32_e32 v42, v56, v63, vcc
	v_lshlrev_b32_e32 v56, 16, v38
	v_lshlrev_b32_e32 v42, 20, v42
	v_and_b32_e32 v56, 0x80000000, v56
	v_lshl_add_u32 v40, v40, 23, v55
	v_or3_b32 v40, v56, v40, v42
	v_lshrrev_b32_e32 v61, 16, v40
.LBB939_297:                            ;   in Loop: Header=BB939_215 Depth=1
	s_or_b64 exec, exec, s[16:17]
.LBB939_298:                            ;   in Loop: Header=BB939_215 Depth=1
	s_or_b64 exec, exec, s[14:15]
.LBB939_299:                            ;   in Loop: Header=BB939_215 Depth=1
	s_or_b64 exec, exec, s[12:13]
	v_lshrrev_b32_e32 v40, 16, v38
	v_cmp_ne_u16_sdwa s[14:15], v40, v54 src0_sel:BYTE_0 src1_sel:DWORD
	s_and_saveexec_b64 s[12:13], s[14:15]
	s_cbranch_execz .LBB939_305
; %bb.300:                              ;   in Loop: Header=BB939_215 Depth=1
	v_cmp_ne_u16_sdwa s[16:17], v40, s9 src0_sel:BYTE_0 src1_sel:DWORD
	v_mov_b32_e32 v62, 0xffff8000
	s_and_saveexec_b64 s[14:15], s[16:17]
	s_cbranch_execz .LBB939_304
; %bb.301:                              ;   in Loop: Header=BB939_215 Depth=1
	v_bfe_u32 v42, v38, 16, 7
	v_cmp_ne_u32_e32 vcc, s21, v42
	v_mov_b32_e32 v62, 0x7f80
	s_and_saveexec_b64 s[16:17], vcc
	s_cbranch_execz .LBB939_303
; %bb.302:                              ;   in Loop: Header=BB939_215 Depth=1
	v_and_b32_e32 v56, 7, v40
	v_ffbh_u32_e32 v62, v56
	v_min_u32_e32 v65, 32, v62
	v_subrev_u32_e32 v62, 28, v65
	v_lshlrev_b64 v[62:63], v62, v[40:41]
	v_lshrrev_b32_e32 v64, 3, v42
	v_sub_u32_e32 v63, 29, v65
	v_and_b32_e32 v62, 7, v62
	v_cmp_gt_u32_e32 vcc, 8, v42
	v_cndmask_b32_e32 v42, v64, v63, vcc
	v_cndmask_b32_e32 v56, v56, v62, vcc
	v_lshlrev_b32_e32 v40, 24, v40
	v_lshlrev_b32_e32 v56, 20, v56
	v_and_b32_e32 v40, 0x80000000, v40
	v_lshl_add_u32 v42, v42, 23, v55
	v_or3_b32 v40, v40, v42, v56
	v_lshrrev_b32_e32 v62, 16, v40
.LBB939_303:                            ;   in Loop: Header=BB939_215 Depth=1
	s_or_b64 exec, exec, s[16:17]
.LBB939_304:                            ;   in Loop: Header=BB939_215 Depth=1
	s_or_b64 exec, exec, s[14:15]
.LBB939_305:                            ;   in Loop: Header=BB939_215 Depth=1
	s_or_b64 exec, exec, s[12:13]
	v_cmp_lt_u32_e32 vcc, s22, v38
	v_mov_b32_e32 v56, 0
	v_mov_b32_e32 v63, 0
	s_and_saveexec_b64 s[12:13], vcc
	s_cbranch_execz .LBB939_311
; %bb.306:                              ;   in Loop: Header=BB939_215 Depth=1
	v_lshrrev_b32_e32 v40, 24, v38
	v_cmp_ne_u32_e32 vcc, s9, v40
	v_mov_b32_e32 v63, 0xffff8000
	s_and_saveexec_b64 s[14:15], vcc
	s_cbranch_execz .LBB939_310
; %bb.307:                              ;   in Loop: Header=BB939_215 Depth=1
	v_bfe_u32 v38, v38, 24, 7
	v_cmp_ne_u32_e32 vcc, s21, v38
	v_mov_b32_e32 v63, 0x7f80
	s_and_saveexec_b64 s[16:17], vcc
	s_cbranch_execz .LBB939_309
; %bb.308:                              ;   in Loop: Header=BB939_215 Depth=1
	v_and_b32_e32 v42, 7, v40
	v_ffbh_u32_e32 v64, v42
	v_min_u32_e32 v66, 32, v64
	v_subrev_u32_e32 v64, 28, v66
	v_lshlrev_b64 v[64:65], v64, v[40:41]
	v_lshrrev_b32_e32 v63, 3, v38
	v_sub_u32_e32 v65, 29, v66
	v_and_b32_e32 v64, 7, v64
	v_cmp_gt_u32_e32 vcc, 8, v38
	v_cndmask_b32_e32 v38, v63, v65, vcc
	v_cndmask_b32_e32 v42, v42, v64, vcc
	v_lshlrev_b32_e32 v40, 24, v40
	v_lshlrev_b32_e32 v42, 20, v42
	v_and_b32_e32 v40, 0x80000000, v40
	v_lshl_add_u32 v38, v38, 23, v55
	v_or3_b32 v38, v40, v38, v42
	v_lshrrev_b32_e32 v63, 16, v38
.LBB939_309:                            ;   in Loop: Header=BB939_215 Depth=1
	s_or_b64 exec, exec, s[16:17]
.LBB939_310:                            ;   in Loop: Header=BB939_215 Depth=1
	s_or_b64 exec, exec, s[14:15]
.LBB939_311:                            ;   in Loop: Header=BB939_215 Depth=1
	s_or_b64 exec, exec, s[12:13]
	v_perm_b32 v64, v57, v44, s23
	buffer_load_dword v44, v46, s[0:3], 0 offen
	buffer_load_dword v42, v46, s[0:3], 0 offen offset:4
	buffer_load_dword v40, v46, s[0:3], 0 offen offset:8
	;; [unrolled: 1-line block ×3, first 2 shown]
	v_perm_b32 v65, v60, v58, s23
	v_perm_b32 v63, v63, v62, s23
	;; [unrolled: 1-line block ×3, first 2 shown]
	v_mfma_f32_16x16x16bf16_1k v[34:37], v[64:65], v[6:7], v[34:37]
	s_waitcnt vmcnt(3)
	v_cmp_ne_u16_sdwa s[14:15], v44, v54 src0_sel:BYTE_0 src1_sel:DWORD
	v_mfma_f32_16x16x16bf16_1k v[34:37], v[62:63], v[8:9], v[34:37]
	s_and_saveexec_b64 s[12:13], s[14:15]
	s_cbranch_execz .LBB939_317
; %bb.312:                              ;   in Loop: Header=BB939_215 Depth=1
	v_cmp_ne_u16_sdwa s[16:17], v44, s9 src0_sel:BYTE_0 src1_sel:DWORD
	v_mov_b32_e32 v56, 0xffff8000
	s_and_saveexec_b64 s[14:15], s[16:17]
	s_cbranch_execz .LBB939_316
; %bb.313:                              ;   in Loop: Header=BB939_215 Depth=1
	v_and_b32_e32 v46, 0x7f, v44
	v_cmp_ne_u32_e32 vcc, s21, v46
	v_mov_b32_e32 v56, 0x7f80
	s_and_saveexec_b64 s[16:17], vcc
	s_cbranch_execz .LBB939_315
; %bb.314:                              ;   in Loop: Header=BB939_215 Depth=1
	v_and_b32_e32 v58, 7, v44
	v_ffbh_u32_e32 v56, v58
	v_min_u32_e32 v60, 32, v56
	v_subrev_u32_e32 v56, 28, v60
	v_lshlrev_b64 v[56:57], v56, v[44:45]
	v_lshrrev_b32_e32 v59, 3, v46
	v_sub_u32_e32 v57, 29, v60
	v_and_b32_e32 v56, 7, v56
	v_cmp_gt_u32_e32 vcc, 8, v46
	v_cndmask_b32_e32 v46, v59, v57, vcc
	v_cndmask_b32_e32 v56, v58, v56, vcc
	v_lshlrev_b32_e32 v57, 24, v44
	v_lshlrev_b32_e32 v56, 20, v56
	v_and_b32_e32 v57, 0x80000000, v57
	v_lshl_add_u32 v46, v46, 23, v55
	v_or3_b32 v46, v57, v46, v56
	v_lshrrev_b32_e32 v56, 16, v46
.LBB939_315:                            ;   in Loop: Header=BB939_215 Depth=1
	s_or_b64 exec, exec, s[16:17]
.LBB939_316:                            ;   in Loop: Header=BB939_215 Depth=1
	s_or_b64 exec, exec, s[14:15]
.LBB939_317:                            ;   in Loop: Header=BB939_215 Depth=1
	s_or_b64 exec, exec, s[12:13]
	v_lshrrev_b16_e32 v46, 8, v44
	v_cmp_ne_u16_e32 vcc, 0, v46
	v_mov_b32_e32 v58, 0
	v_mov_b32_e32 v57, 0
	s_and_saveexec_b64 s[12:13], vcc
	s_cbranch_execz .LBB939_323
; %bb.318:                              ;   in Loop: Header=BB939_215 Depth=1
	v_cmp_ne_u16_e32 vcc, s9, v46
	v_mov_b32_e32 v57, 0xffff8000
	s_and_saveexec_b64 s[14:15], vcc
	s_cbranch_execz .LBB939_322
; %bb.319:                              ;   in Loop: Header=BB939_215 Depth=1
	v_and_b32_e32 v59, 0x7f, v46
	v_cmp_ne_u32_e32 vcc, s21, v59
	v_mov_b32_e32 v57, 0x7f80
	s_and_saveexec_b64 s[16:17], vcc
	s_cbranch_execz .LBB939_321
; %bb.320:                              ;   in Loop: Header=BB939_215 Depth=1
	v_and_b32_e32 v57, 7, v46
	v_ffbh_u32_e32 v60, v57
	v_min_u32_e32 v63, 32, v60
	v_subrev_u32_e32 v60, 28, v63
	v_lshlrev_b64 v[60:61], v60, v[46:47]
	v_lshrrev_b32_e32 v62, 3, v59
	v_sub_u32_e32 v46, 29, v63
	v_and_b32_e32 v60, 7, v60
	v_cmp_gt_u32_e32 vcc, 8, v59
	v_cndmask_b32_e32 v46, v62, v46, vcc
	v_cndmask_b32_e32 v57, v57, v60, vcc
	v_lshlrev_b32_e32 v59, 16, v44
	v_lshlrev_b32_e32 v57, 20, v57
	v_and_b32_e32 v59, 0x80000000, v59
	v_lshl_add_u32 v46, v46, 23, v55
	v_or3_b32 v46, v59, v46, v57
	v_lshrrev_b32_e32 v57, 16, v46
.LBB939_321:                            ;   in Loop: Header=BB939_215 Depth=1
	s_or_b64 exec, exec, s[16:17]
.LBB939_322:                            ;   in Loop: Header=BB939_215 Depth=1
	s_or_b64 exec, exec, s[14:15]
.LBB939_323:                            ;   in Loop: Header=BB939_215 Depth=1
	s_or_b64 exec, exec, s[12:13]
	v_lshrrev_b32_e32 v46, 16, v44
	v_cmp_ne_u16_sdwa s[14:15], v46, v54 src0_sel:BYTE_0 src1_sel:DWORD
	s_and_saveexec_b64 s[12:13], s[14:15]
	s_cbranch_execz .LBB939_329
; %bb.324:                              ;   in Loop: Header=BB939_215 Depth=1
	v_cmp_ne_u16_sdwa s[16:17], v46, s9 src0_sel:BYTE_0 src1_sel:DWORD
	v_mov_b32_e32 v58, 0xffff8000
	s_and_saveexec_b64 s[14:15], s[16:17]
	s_cbranch_execz .LBB939_328
; %bb.325:                              ;   in Loop: Header=BB939_215 Depth=1
	v_bfe_u32 v59, v44, 16, 7
	v_cmp_ne_u32_e32 vcc, s21, v59
	v_mov_b32_e32 v58, 0x7f80
	s_and_saveexec_b64 s[16:17], vcc
	s_cbranch_execz .LBB939_327
; %bb.326:                              ;   in Loop: Header=BB939_215 Depth=1
	v_and_b32_e32 v58, 7, v46
	v_ffbh_u32_e32 v60, v58
	v_min_u32_e32 v63, 32, v60
	v_subrev_u32_e32 v60, 28, v63
	v_lshlrev_b64 v[60:61], v60, v[46:47]
	v_lshrrev_b32_e32 v62, 3, v59
	v_sub_u32_e32 v61, 29, v63
	v_and_b32_e32 v60, 7, v60
	v_cmp_gt_u32_e32 vcc, 8, v59
	v_cndmask_b32_e32 v59, v62, v61, vcc
	v_cndmask_b32_e32 v58, v58, v60, vcc
	v_lshlrev_b32_e32 v46, 24, v46
	v_lshlrev_b32_e32 v58, 20, v58
	v_and_b32_e32 v46, 0x80000000, v46
	v_lshl_add_u32 v59, v59, 23, v55
	v_or3_b32 v46, v46, v59, v58
	v_lshrrev_b32_e32 v58, 16, v46
.LBB939_327:                            ;   in Loop: Header=BB939_215 Depth=1
	s_or_b64 exec, exec, s[16:17]
.LBB939_328:                            ;   in Loop: Header=BB939_215 Depth=1
	s_or_b64 exec, exec, s[14:15]
.LBB939_329:                            ;   in Loop: Header=BB939_215 Depth=1
	s_or_b64 exec, exec, s[12:13]
	v_cmp_lt_u32_e32 vcc, s22, v44
	v_mov_b32_e32 v59, 0
	v_mov_b32_e32 v60, 0
	s_and_saveexec_b64 s[12:13], vcc
	s_cbranch_execz .LBB939_335
; %bb.330:                              ;   in Loop: Header=BB939_215 Depth=1
	v_lshrrev_b32_e32 v46, 24, v44
	v_cmp_ne_u32_e32 vcc, s9, v46
	v_mov_b32_e32 v60, 0xffff8000
	s_and_saveexec_b64 s[14:15], vcc
	s_cbranch_execz .LBB939_334
; %bb.331:                              ;   in Loop: Header=BB939_215 Depth=1
	v_bfe_u32 v44, v44, 24, 7
	v_cmp_ne_u32_e32 vcc, s21, v44
	v_mov_b32_e32 v60, 0x7f80
	s_and_saveexec_b64 s[16:17], vcc
	s_cbranch_execz .LBB939_333
; %bb.332:                              ;   in Loop: Header=BB939_215 Depth=1
	v_and_b32_e32 v62, 7, v46
	v_ffbh_u32_e32 v60, v62
	v_min_u32_e32 v64, 32, v60
	v_subrev_u32_e32 v60, 28, v64
	v_lshlrev_b64 v[60:61], v60, v[46:47]
	v_lshrrev_b32_e32 v63, 3, v44
	v_sub_u32_e32 v61, 29, v64
	v_and_b32_e32 v60, 7, v60
	v_cmp_gt_u32_e32 vcc, 8, v44
	v_cndmask_b32_e32 v44, v63, v61, vcc
	v_cndmask_b32_e32 v60, v62, v60, vcc
	v_lshlrev_b32_e32 v46, 24, v46
	v_lshlrev_b32_e32 v60, 20, v60
	v_and_b32_e32 v46, 0x80000000, v46
	v_lshl_add_u32 v44, v44, 23, v55
	v_or3_b32 v44, v46, v44, v60
	v_lshrrev_b32_e32 v60, 16, v44
.LBB939_333:                            ;   in Loop: Header=BB939_215 Depth=1
	s_or_b64 exec, exec, s[16:17]
.LBB939_334:                            ;   in Loop: Header=BB939_215 Depth=1
	s_or_b64 exec, exec, s[14:15]
.LBB939_335:                            ;   in Loop: Header=BB939_215 Depth=1
	s_or_b64 exec, exec, s[12:13]
	s_waitcnt vmcnt(2)
	v_cmp_ne_u16_sdwa s[14:15], v42, v54 src0_sel:BYTE_0 src1_sel:DWORD
	s_and_saveexec_b64 s[12:13], s[14:15]
	s_cbranch_execz .LBB939_341
; %bb.336:                              ;   in Loop: Header=BB939_215 Depth=1
	v_cmp_ne_u16_sdwa s[16:17], v42, s9 src0_sel:BYTE_0 src1_sel:DWORD
	v_mov_b32_e32 v59, 0xffff8000
	s_and_saveexec_b64 s[14:15], s[16:17]
	s_cbranch_execz .LBB939_340
; %bb.337:                              ;   in Loop: Header=BB939_215 Depth=1
	v_and_b32_e32 v44, 0x7f, v42
	v_cmp_ne_u32_e32 vcc, s21, v44
	v_mov_b32_e32 v59, 0x7f80
	s_and_saveexec_b64 s[16:17], vcc
	s_cbranch_execz .LBB939_339
; %bb.338:                              ;   in Loop: Header=BB939_215 Depth=1
	v_and_b32_e32 v46, 7, v42
	v_ffbh_u32_e32 v61, v46
	v_min_u32_e32 v61, 32, v61
	v_subrev_u32_e32 v62, 28, v61
	v_lshlrev_b64 v[62:63], v62, v[42:43]
	v_lshrrev_b32_e32 v59, 3, v44
	v_sub_u32_e32 v61, 29, v61
	v_and_b32_e32 v62, 7, v62
	v_cmp_gt_u32_e32 vcc, 8, v44
	v_cndmask_b32_e32 v44, v59, v61, vcc
	v_cndmask_b32_e32 v46, v46, v62, vcc
	v_lshlrev_b32_e32 v59, 24, v42
	v_lshlrev_b32_e32 v46, 20, v46
	v_and_b32_e32 v59, 0x80000000, v59
	v_lshl_add_u32 v44, v44, 23, v55
	v_or3_b32 v44, v59, v44, v46
	v_lshrrev_b32_e32 v59, 16, v44
.LBB939_339:                            ;   in Loop: Header=BB939_215 Depth=1
	s_or_b64 exec, exec, s[16:17]
.LBB939_340:                            ;   in Loop: Header=BB939_215 Depth=1
	s_or_b64 exec, exec, s[14:15]
.LBB939_341:                            ;   in Loop: Header=BB939_215 Depth=1
	s_or_b64 exec, exec, s[12:13]
	v_lshrrev_b16_e32 v44, 8, v42
	v_cmp_ne_u16_e32 vcc, 0, v44
	v_mov_b32_e32 v62, 0
	v_mov_b32_e32 v61, 0
	s_and_saveexec_b64 s[12:13], vcc
	s_cbranch_execz .LBB939_347
; %bb.342:                              ;   in Loop: Header=BB939_215 Depth=1
	v_cmp_ne_u16_e32 vcc, s9, v44
	v_mov_b32_e32 v61, 0xffff8000
	s_and_saveexec_b64 s[14:15], vcc
	s_cbranch_execz .LBB939_346
; %bb.343:                              ;   in Loop: Header=BB939_215 Depth=1
	v_and_b32_e32 v46, 0x7f, v44
	v_cmp_ne_u32_e32 vcc, s21, v46
	v_mov_b32_e32 v61, 0x7f80
	s_and_saveexec_b64 s[16:17], vcc
	s_cbranch_execz .LBB939_345
; %bb.344:                              ;   in Loop: Header=BB939_215 Depth=1
	v_and_b32_e32 v61, 7, v44
	v_ffbh_u32_e32 v64, v61
	v_min_u32_e32 v66, 32, v64
	v_subrev_u32_e32 v64, 28, v66
	v_lshlrev_b64 v[64:65], v64, v[44:45]
	v_lshrrev_b32_e32 v63, 3, v46
	v_sub_u32_e32 v44, 29, v66
	v_and_b32_e32 v64, 7, v64
	v_cmp_gt_u32_e32 vcc, 8, v46
	v_cndmask_b32_e32 v44, v63, v44, vcc
	v_cndmask_b32_e32 v46, v61, v64, vcc
	v_lshlrev_b32_e32 v61, 16, v42
	v_lshlrev_b32_e32 v46, 20, v46
	v_and_b32_e32 v61, 0x80000000, v61
	v_lshl_add_u32 v44, v44, 23, v55
	v_or3_b32 v44, v61, v44, v46
	v_lshrrev_b32_e32 v61, 16, v44
.LBB939_345:                            ;   in Loop: Header=BB939_215 Depth=1
	s_or_b64 exec, exec, s[16:17]
.LBB939_346:                            ;   in Loop: Header=BB939_215 Depth=1
	s_or_b64 exec, exec, s[14:15]
.LBB939_347:                            ;   in Loop: Header=BB939_215 Depth=1
	s_or_b64 exec, exec, s[12:13]
	v_lshrrev_b32_e32 v44, 16, v42
	v_cmp_ne_u16_sdwa s[14:15], v44, v54 src0_sel:BYTE_0 src1_sel:DWORD
	s_and_saveexec_b64 s[12:13], s[14:15]
	s_cbranch_execz .LBB939_353
; %bb.348:                              ;   in Loop: Header=BB939_215 Depth=1
	v_cmp_ne_u16_sdwa s[16:17], v44, s9 src0_sel:BYTE_0 src1_sel:DWORD
	v_mov_b32_e32 v62, 0xffff8000
	s_and_saveexec_b64 s[14:15], s[16:17]
	s_cbranch_execz .LBB939_352
; %bb.349:                              ;   in Loop: Header=BB939_215 Depth=1
	v_bfe_u32 v46, v42, 16, 7
	v_cmp_ne_u32_e32 vcc, s21, v46
	v_mov_b32_e32 v62, 0x7f80
	s_and_saveexec_b64 s[16:17], vcc
	s_cbranch_execz .LBB939_351
; %bb.350:                              ;   in Loop: Header=BB939_215 Depth=1
	v_and_b32_e32 v64, 7, v44
	v_ffbh_u32_e32 v62, v64
	v_min_u32_e32 v66, 32, v62
	v_subrev_u32_e32 v62, 28, v66
	v_lshlrev_b64 v[62:63], v62, v[44:45]
	v_lshrrev_b32_e32 v65, 3, v46
	v_sub_u32_e32 v63, 29, v66
	v_and_b32_e32 v62, 7, v62
	v_cmp_gt_u32_e32 vcc, 8, v46
	v_cndmask_b32_e32 v46, v65, v63, vcc
	v_cndmask_b32_e32 v62, v64, v62, vcc
	v_lshlrev_b32_e32 v44, 24, v44
	v_lshlrev_b32_e32 v62, 20, v62
	v_and_b32_e32 v44, 0x80000000, v44
	v_lshl_add_u32 v46, v46, 23, v55
	v_or3_b32 v44, v44, v46, v62
	v_lshrrev_b32_e32 v62, 16, v44
.LBB939_351:                            ;   in Loop: Header=BB939_215 Depth=1
	s_or_b64 exec, exec, s[16:17]
.LBB939_352:                            ;   in Loop: Header=BB939_215 Depth=1
	s_or_b64 exec, exec, s[14:15]
.LBB939_353:                            ;   in Loop: Header=BB939_215 Depth=1
	s_or_b64 exec, exec, s[12:13]
	v_cmp_lt_u32_e32 vcc, s22, v42
	v_mov_b32_e32 v46, 0
	v_mov_b32_e32 v63, 0
	s_and_saveexec_b64 s[12:13], vcc
	s_cbranch_execz .LBB939_359
; %bb.354:                              ;   in Loop: Header=BB939_215 Depth=1
	v_lshrrev_b32_e32 v44, 24, v42
	v_cmp_ne_u32_e32 vcc, s9, v44
	v_mov_b32_e32 v63, 0xffff8000
	s_and_saveexec_b64 s[14:15], vcc
	s_cbranch_execz .LBB939_358
; %bb.355:                              ;   in Loop: Header=BB939_215 Depth=1
	v_bfe_u32 v42, v42, 24, 7
	v_cmp_ne_u32_e32 vcc, s21, v42
	v_mov_b32_e32 v63, 0x7f80
	s_and_saveexec_b64 s[16:17], vcc
	s_cbranch_execz .LBB939_357
; %bb.356:                              ;   in Loop: Header=BB939_215 Depth=1
	v_and_b32_e32 v63, 7, v44
	v_ffbh_u32_e32 v64, v63
	v_min_u32_e32 v67, 32, v64
	v_subrev_u32_e32 v64, 28, v67
	v_lshlrev_b64 v[64:65], v64, v[44:45]
	v_lshrrev_b32_e32 v66, 3, v42
	v_sub_u32_e32 v65, 29, v67
	v_and_b32_e32 v64, 7, v64
	v_cmp_gt_u32_e32 vcc, 8, v42
	v_cndmask_b32_e32 v42, v66, v65, vcc
	v_cndmask_b32_e32 v63, v63, v64, vcc
	v_lshlrev_b32_e32 v44, 24, v44
	v_lshlrev_b32_e32 v63, 20, v63
	v_and_b32_e32 v44, 0x80000000, v44
	v_lshl_add_u32 v42, v42, 23, v55
	v_or3_b32 v42, v44, v42, v63
	v_lshrrev_b32_e32 v63, 16, v42
.LBB939_357:                            ;   in Loop: Header=BB939_215 Depth=1
	s_or_b64 exec, exec, s[16:17]
.LBB939_358:                            ;   in Loop: Header=BB939_215 Depth=1
	s_or_b64 exec, exec, s[14:15]
.LBB939_359:                            ;   in Loop: Header=BB939_215 Depth=1
	s_or_b64 exec, exec, s[12:13]
	v_perm_b32 v65, v60, v58, s23
	v_perm_b32 v64, v57, v56, s23
	;; [unrolled: 1-line block ×4, first 2 shown]
	s_waitcnt vmcnt(1)
	v_cmp_ne_u16_sdwa s[14:15], v40, v54 src0_sel:BYTE_0 src1_sel:DWORD
	v_mfma_f32_16x16x16bf16_1k v[34:37], v[64:65], v[10:11], v[34:37]
	v_mfma_f32_16x16x16bf16_1k v[34:37], v[56:57], v[12:13], v[34:37]
	s_and_saveexec_b64 s[12:13], s[14:15]
	s_cbranch_execz .LBB939_365
; %bb.360:                              ;   in Loop: Header=BB939_215 Depth=1
	v_cmp_ne_u16_sdwa s[16:17], v40, s9 src0_sel:BYTE_0 src1_sel:DWORD
	v_mov_b32_e32 v46, 0xffff8000
	s_and_saveexec_b64 s[14:15], s[16:17]
	s_cbranch_execz .LBB939_364
; %bb.361:                              ;   in Loop: Header=BB939_215 Depth=1
	v_and_b32_e32 v42, 0x7f, v40
	v_cmp_ne_u32_e32 vcc, s21, v42
	v_mov_b32_e32 v46, 0x7f80
	s_and_saveexec_b64 s[16:17], vcc
	s_cbranch_execz .LBB939_363
; %bb.362:                              ;   in Loop: Header=BB939_215 Depth=1
	v_and_b32_e32 v44, 7, v40
	v_ffbh_u32_e32 v56, v44
	v_min_u32_e32 v58, 32, v56
	v_subrev_u32_e32 v56, 28, v58
	v_lshlrev_b64 v[56:57], v56, v[40:41]
	v_lshrrev_b32_e32 v46, 3, v42
	v_sub_u32_e32 v57, 29, v58
	v_and_b32_e32 v56, 7, v56
	v_cmp_gt_u32_e32 vcc, 8, v42
	v_cndmask_b32_e32 v42, v46, v57, vcc
	v_cndmask_b32_e32 v44, v44, v56, vcc
	v_lshlrev_b32_e32 v46, 24, v40
	v_lshlrev_b32_e32 v44, 20, v44
	v_and_b32_e32 v46, 0x80000000, v46
	v_lshl_add_u32 v42, v42, 23, v55
	v_or3_b32 v42, v46, v42, v44
	v_lshrrev_b32_e32 v46, 16, v42
.LBB939_363:                            ;   in Loop: Header=BB939_215 Depth=1
	s_or_b64 exec, exec, s[16:17]
.LBB939_364:                            ;   in Loop: Header=BB939_215 Depth=1
	s_or_b64 exec, exec, s[14:15]
.LBB939_365:                            ;   in Loop: Header=BB939_215 Depth=1
	s_or_b64 exec, exec, s[12:13]
	v_lshrrev_b16_e32 v42, 8, v40
	v_cmp_ne_u16_e32 vcc, 0, v42
	v_mov_b32_e32 v57, 0
	v_mov_b32_e32 v44, 0
	s_and_saveexec_b64 s[12:13], vcc
	s_cbranch_execz .LBB939_371
; %bb.366:                              ;   in Loop: Header=BB939_215 Depth=1
	v_cmp_ne_u16_e32 vcc, s9, v42
	v_mov_b32_e32 v44, 0xffff8000
	s_and_saveexec_b64 s[14:15], vcc
	s_cbranch_execz .LBB939_370
; %bb.367:                              ;   in Loop: Header=BB939_215 Depth=1
	v_and_b32_e32 v56, 0x7f, v42
	v_cmp_ne_u32_e32 vcc, s21, v56
	v_mov_b32_e32 v44, 0x7f80
	s_and_saveexec_b64 s[16:17], vcc
	s_cbranch_execz .LBB939_369
; %bb.368:                              ;   in Loop: Header=BB939_215 Depth=1
	v_and_b32_e32 v44, 7, v42
	v_ffbh_u32_e32 v58, v44
	v_min_u32_e32 v61, 32, v58
	v_subrev_u32_e32 v58, 28, v61
	v_lshlrev_b64 v[58:59], v58, v[42:43]
	v_lshrrev_b32_e32 v60, 3, v56
	v_sub_u32_e32 v42, 29, v61
	v_and_b32_e32 v58, 7, v58
	v_cmp_gt_u32_e32 vcc, 8, v56
	v_cndmask_b32_e32 v42, v60, v42, vcc
	v_cndmask_b32_e32 v44, v44, v58, vcc
	v_lshlrev_b32_e32 v56, 16, v40
	v_lshlrev_b32_e32 v44, 20, v44
	v_and_b32_e32 v56, 0x80000000, v56
	v_lshl_add_u32 v42, v42, 23, v55
	v_or3_b32 v42, v56, v42, v44
	v_lshrrev_b32_e32 v44, 16, v42
.LBB939_369:                            ;   in Loop: Header=BB939_215 Depth=1
	s_or_b64 exec, exec, s[16:17]
.LBB939_370:                            ;   in Loop: Header=BB939_215 Depth=1
	s_or_b64 exec, exec, s[14:15]
.LBB939_371:                            ;   in Loop: Header=BB939_215 Depth=1
	s_or_b64 exec, exec, s[12:13]
	v_lshrrev_b32_e32 v42, 16, v40
	v_cmp_ne_u16_sdwa s[14:15], v42, v54 src0_sel:BYTE_0 src1_sel:DWORD
	s_and_saveexec_b64 s[12:13], s[14:15]
	s_cbranch_execz .LBB939_377
; %bb.372:                              ;   in Loop: Header=BB939_215 Depth=1
	v_cmp_ne_u16_sdwa s[16:17], v42, s9 src0_sel:BYTE_0 src1_sel:DWORD
	v_mov_b32_e32 v57, 0xffff8000
	s_and_saveexec_b64 s[14:15], s[16:17]
	s_cbranch_execz .LBB939_376
; %bb.373:                              ;   in Loop: Header=BB939_215 Depth=1
	v_bfe_u32 v56, v40, 16, 7
	v_cmp_ne_u32_e32 vcc, s21, v56
	v_mov_b32_e32 v57, 0x7f80
	s_and_saveexec_b64 s[16:17], vcc
	s_cbranch_execz .LBB939_375
; %bb.374:                              ;   in Loop: Header=BB939_215 Depth=1
	v_and_b32_e32 v57, 7, v42
	v_ffbh_u32_e32 v58, v57
	v_min_u32_e32 v61, 32, v58
	v_subrev_u32_e32 v58, 28, v61
	v_lshlrev_b64 v[58:59], v58, v[42:43]
	v_lshrrev_b32_e32 v60, 3, v56
	v_sub_u32_e32 v59, 29, v61
	v_and_b32_e32 v58, 7, v58
	v_cmp_gt_u32_e32 vcc, 8, v56
	v_cndmask_b32_e32 v56, v60, v59, vcc
	v_cndmask_b32_e32 v57, v57, v58, vcc
	v_lshlrev_b32_e32 v42, 24, v42
	v_lshlrev_b32_e32 v57, 20, v57
	v_and_b32_e32 v42, 0x80000000, v42
	v_lshl_add_u32 v56, v56, 23, v55
	v_or3_b32 v42, v42, v56, v57
	v_lshrrev_b32_e32 v57, 16, v42
.LBB939_375:                            ;   in Loop: Header=BB939_215 Depth=1
	s_or_b64 exec, exec, s[16:17]
.LBB939_376:                            ;   in Loop: Header=BB939_215 Depth=1
	s_or_b64 exec, exec, s[14:15]
.LBB939_377:                            ;   in Loop: Header=BB939_215 Depth=1
	s_or_b64 exec, exec, s[12:13]
	v_cmp_lt_u32_e32 vcc, s22, v40
	v_mov_b32_e32 v58, 0
	v_mov_b32_e32 v59, 0
	s_and_saveexec_b64 s[12:13], vcc
	s_cbranch_execz .LBB939_383
; %bb.378:                              ;   in Loop: Header=BB939_215 Depth=1
	v_lshrrev_b32_e32 v42, 24, v40
	v_cmp_ne_u32_e32 vcc, s9, v42
	v_mov_b32_e32 v59, 0xffff8000
	s_and_saveexec_b64 s[14:15], vcc
	s_cbranch_execz .LBB939_382
; %bb.379:                              ;   in Loop: Header=BB939_215 Depth=1
	v_bfe_u32 v40, v40, 24, 7
	v_cmp_ne_u32_e32 vcc, s21, v40
	v_mov_b32_e32 v59, 0x7f80
	s_and_saveexec_b64 s[16:17], vcc
	s_cbranch_execz .LBB939_381
; %bb.380:                              ;   in Loop: Header=BB939_215 Depth=1
	v_and_b32_e32 v56, 7, v42
	v_ffbh_u32_e32 v60, v56
	v_min_u32_e32 v62, 32, v60
	v_subrev_u32_e32 v60, 28, v62
	v_lshlrev_b64 v[60:61], v60, v[42:43]
	v_lshrrev_b32_e32 v59, 3, v40
	v_sub_u32_e32 v61, 29, v62
	v_and_b32_e32 v60, 7, v60
	v_cmp_gt_u32_e32 vcc, 8, v40
	v_cndmask_b32_e32 v40, v59, v61, vcc
	v_cndmask_b32_e32 v56, v56, v60, vcc
	v_lshlrev_b32_e32 v42, 24, v42
	v_lshlrev_b32_e32 v56, 20, v56
	v_and_b32_e32 v42, 0x80000000, v42
	v_lshl_add_u32 v40, v40, 23, v55
	v_or3_b32 v40, v42, v40, v56
	v_lshrrev_b32_e32 v59, 16, v40
.LBB939_381:                            ;   in Loop: Header=BB939_215 Depth=1
	s_or_b64 exec, exec, s[16:17]
.LBB939_382:                            ;   in Loop: Header=BB939_215 Depth=1
	s_or_b64 exec, exec, s[14:15]
.LBB939_383:                            ;   in Loop: Header=BB939_215 Depth=1
	s_or_b64 exec, exec, s[12:13]
	s_waitcnt vmcnt(0)
	v_cmp_ne_u16_sdwa s[14:15], v38, v54 src0_sel:BYTE_0 src1_sel:DWORD
	s_and_saveexec_b64 s[12:13], s[14:15]
	s_cbranch_execz .LBB939_389
; %bb.384:                              ;   in Loop: Header=BB939_215 Depth=1
	v_cmp_ne_u16_sdwa s[16:17], v38, s9 src0_sel:BYTE_0 src1_sel:DWORD
	v_mov_b32_e32 v58, 0xffff8000
	s_and_saveexec_b64 s[14:15], s[16:17]
	s_cbranch_execz .LBB939_388
; %bb.385:                              ;   in Loop: Header=BB939_215 Depth=1
	v_and_b32_e32 v40, 0x7f, v38
	v_cmp_ne_u32_e32 vcc, s21, v40
	v_mov_b32_e32 v58, 0x7f80
	s_and_saveexec_b64 s[16:17], vcc
	s_cbranch_execz .LBB939_387
; %bb.386:                              ;   in Loop: Header=BB939_215 Depth=1
	v_and_b32_e32 v42, 7, v38
	v_ffbh_u32_e32 v58, v42
	v_min_u32_e32 v58, 32, v58
	v_subrev_u32_e32 v60, 28, v58
	v_lshlrev_b64 v[60:61], v60, v[38:39]
	v_lshrrev_b32_e32 v56, 3, v40
	v_sub_u32_e32 v58, 29, v58
	v_and_b32_e32 v60, 7, v60
	v_cmp_gt_u32_e32 vcc, 8, v40
	v_cndmask_b32_e32 v40, v56, v58, vcc
	v_cndmask_b32_e32 v42, v42, v60, vcc
	v_lshlrev_b32_e32 v56, 24, v38
	v_lshlrev_b32_e32 v42, 20, v42
	v_and_b32_e32 v56, 0x80000000, v56
	v_lshl_add_u32 v40, v40, 23, v55
	v_or3_b32 v40, v56, v40, v42
	v_lshrrev_b32_e32 v58, 16, v40
.LBB939_387:                            ;   in Loop: Header=BB939_215 Depth=1
	s_or_b64 exec, exec, s[16:17]
.LBB939_388:                            ;   in Loop: Header=BB939_215 Depth=1
	s_or_b64 exec, exec, s[14:15]
.LBB939_389:                            ;   in Loop: Header=BB939_215 Depth=1
	s_or_b64 exec, exec, s[12:13]
	v_lshrrev_b16_e32 v40, 8, v38
	v_cmp_ne_u16_e32 vcc, 0, v40
	v_mov_b32_e32 v61, 0
	v_mov_b32_e32 v60, 0
	s_and_saveexec_b64 s[12:13], vcc
	s_cbranch_execz .LBB939_395
; %bb.390:                              ;   in Loop: Header=BB939_215 Depth=1
	v_cmp_ne_u16_e32 vcc, s9, v40
	v_mov_b32_e32 v60, 0xffff8000
	s_and_saveexec_b64 s[14:15], vcc
	s_cbranch_execz .LBB939_394
; %bb.391:                              ;   in Loop: Header=BB939_215 Depth=1
	v_and_b32_e32 v42, 0x7f, v40
	v_cmp_ne_u32_e32 vcc, s21, v42
	v_mov_b32_e32 v60, 0x7f80
	s_and_saveexec_b64 s[16:17], vcc
	s_cbranch_execz .LBB939_393
; %bb.392:                              ;   in Loop: Header=BB939_215 Depth=1
	v_and_b32_e32 v56, 7, v40
	v_ffbh_u32_e32 v62, v56
	v_min_u32_e32 v64, 32, v62
	v_subrev_u32_e32 v62, 28, v64
	v_lshlrev_b64 v[62:63], v62, v[40:41]
	v_lshrrev_b32_e32 v60, 3, v42
	v_sub_u32_e32 v40, 29, v64
	v_and_b32_e32 v62, 7, v62
	v_cmp_gt_u32_e32 vcc, 8, v42
	v_cndmask_b32_e32 v40, v60, v40, vcc
	v_cndmask_b32_e32 v42, v56, v62, vcc
	v_lshlrev_b32_e32 v56, 16, v38
	v_lshlrev_b32_e32 v42, 20, v42
	v_and_b32_e32 v56, 0x80000000, v56
	v_lshl_add_u32 v40, v40, 23, v55
	v_or3_b32 v40, v56, v40, v42
	v_lshrrev_b32_e32 v60, 16, v40
.LBB939_393:                            ;   in Loop: Header=BB939_215 Depth=1
	s_or_b64 exec, exec, s[16:17]
.LBB939_394:                            ;   in Loop: Header=BB939_215 Depth=1
	s_or_b64 exec, exec, s[14:15]
.LBB939_395:                            ;   in Loop: Header=BB939_215 Depth=1
	s_or_b64 exec, exec, s[12:13]
	v_lshrrev_b32_e32 v40, 16, v38
	v_cmp_ne_u16_sdwa s[14:15], v40, v54 src0_sel:BYTE_0 src1_sel:DWORD
	s_and_saveexec_b64 s[12:13], s[14:15]
	s_cbranch_execz .LBB939_401
; %bb.396:                              ;   in Loop: Header=BB939_215 Depth=1
	v_cmp_ne_u16_sdwa s[16:17], v40, s9 src0_sel:BYTE_0 src1_sel:DWORD
	v_mov_b32_e32 v61, 0xffff8000
	s_and_saveexec_b64 s[14:15], s[16:17]
	s_cbranch_execz .LBB939_400
; %bb.397:                              ;   in Loop: Header=BB939_215 Depth=1
	v_bfe_u32 v42, v38, 16, 7
	v_cmp_ne_u32_e32 vcc, s21, v42
	v_mov_b32_e32 v61, 0x7f80
	s_and_saveexec_b64 s[16:17], vcc
	s_cbranch_execz .LBB939_399
; %bb.398:                              ;   in Loop: Header=BB939_215 Depth=1
	v_and_b32_e32 v56, 7, v40
	v_ffbh_u32_e32 v62, v56
	v_min_u32_e32 v64, 32, v62
	v_subrev_u32_e32 v62, 28, v64
	v_lshlrev_b64 v[62:63], v62, v[40:41]
	v_lshrrev_b32_e32 v61, 3, v42
	v_sub_u32_e32 v63, 29, v64
	v_and_b32_e32 v62, 7, v62
	v_cmp_gt_u32_e32 vcc, 8, v42
	v_cndmask_b32_e32 v42, v61, v63, vcc
	v_cndmask_b32_e32 v56, v56, v62, vcc
	v_lshlrev_b32_e32 v40, 24, v40
	v_lshlrev_b32_e32 v56, 20, v56
	v_and_b32_e32 v40, 0x80000000, v40
	v_lshl_add_u32 v42, v42, 23, v55
	v_or3_b32 v40, v40, v42, v56
	v_lshrrev_b32_e32 v61, 16, v40
.LBB939_399:                            ;   in Loop: Header=BB939_215 Depth=1
	s_or_b64 exec, exec, s[16:17]
.LBB939_400:                            ;   in Loop: Header=BB939_215 Depth=1
	s_or_b64 exec, exec, s[14:15]
.LBB939_401:                            ;   in Loop: Header=BB939_215 Depth=1
	s_or_b64 exec, exec, s[12:13]
	v_cmp_lt_u32_e32 vcc, s22, v38
	v_mov_b32_e32 v56, 0
	v_mov_b32_e32 v62, 0
	s_and_saveexec_b64 s[12:13], vcc
	s_cbranch_execz .LBB939_407
; %bb.402:                              ;   in Loop: Header=BB939_215 Depth=1
	v_lshrrev_b32_e32 v40, 24, v38
	v_cmp_ne_u32_e32 vcc, s9, v40
	v_mov_b32_e32 v62, 0xffff8000
	s_and_saveexec_b64 s[14:15], vcc
	s_cbranch_execz .LBB939_406
; %bb.403:                              ;   in Loop: Header=BB939_215 Depth=1
	v_bfe_u32 v38, v38, 24, 7
	v_cmp_ne_u32_e32 vcc, s21, v38
	v_mov_b32_e32 v62, 0x7f80
	s_and_saveexec_b64 s[16:17], vcc
	s_cbranch_execz .LBB939_405
; %bb.404:                              ;   in Loop: Header=BB939_215 Depth=1
	v_and_b32_e32 v42, 7, v40
	v_ffbh_u32_e32 v62, v42
	v_min_u32_e32 v65, 32, v62
	v_subrev_u32_e32 v62, 28, v65
	v_lshlrev_b64 v[62:63], v62, v[40:41]
	v_lshrrev_b32_e32 v64, 3, v38
	v_sub_u32_e32 v63, 29, v65
	v_and_b32_e32 v62, 7, v62
	v_cmp_gt_u32_e32 vcc, 8, v38
	v_cndmask_b32_e32 v38, v64, v63, vcc
	v_cndmask_b32_e32 v42, v42, v62, vcc
	v_lshlrev_b32_e32 v40, 24, v40
	v_lshlrev_b32_e32 v42, 20, v42
	v_and_b32_e32 v40, 0x80000000, v40
	v_lshl_add_u32 v38, v38, 23, v55
	v_or3_b32 v38, v40, v38, v42
	v_lshrrev_b32_e32 v62, 16, v38
.LBB939_405:                            ;   in Loop: Header=BB939_215 Depth=1
	s_or_b64 exec, exec, s[16:17]
.LBB939_406:                            ;   in Loop: Header=BB939_215 Depth=1
	s_or_b64 exec, exec, s[14:15]
.LBB939_407:                            ;   in Loop: Header=BB939_215 Depth=1
	s_or_b64 exec, exec, s[12:13]
	v_perm_b32 v64, v44, v46, s23
	buffer_load_dword v44, v51, s[0:3], 0 offen
	buffer_load_dword v42, v51, s[0:3], 0 offen offset:4
	buffer_load_dword v40, v51, s[0:3], 0 offen offset:8
	;; [unrolled: 1-line block ×3, first 2 shown]
	v_perm_b32 v65, v59, v57, s23
	v_perm_b32 v59, v62, v61, s23
	;; [unrolled: 1-line block ×3, first 2 shown]
	v_mfma_f32_16x16x16bf16_1k v[34:37], v[64:65], v[14:15], v[34:37]
	s_waitcnt vmcnt(3)
	v_cmp_ne_u16_sdwa s[14:15], v44, v54 src0_sel:BYTE_0 src1_sel:DWORD
	v_mfma_f32_16x16x16bf16_1k v[34:37], v[58:59], v[16:17], v[34:37]
	s_and_saveexec_b64 s[12:13], s[14:15]
	s_cbranch_execz .LBB939_413
; %bb.408:                              ;   in Loop: Header=BB939_215 Depth=1
	v_cmp_ne_u16_sdwa s[16:17], v44, s9 src0_sel:BYTE_0 src1_sel:DWORD
	v_mov_b32_e32 v56, 0xffff8000
	s_and_saveexec_b64 s[14:15], s[16:17]
	s_cbranch_execz .LBB939_412
; %bb.409:                              ;   in Loop: Header=BB939_215 Depth=1
	v_and_b32_e32 v46, 0x7f, v44
	v_cmp_ne_u32_e32 vcc, s21, v46
	v_mov_b32_e32 v56, 0x7f80
	s_and_saveexec_b64 s[16:17], vcc
	s_cbranch_execz .LBB939_411
; %bb.410:                              ;   in Loop: Header=BB939_215 Depth=1
	v_and_b32_e32 v51, 7, v44
	v_ffbh_u32_e32 v56, v51
	v_min_u32_e32 v59, 32, v56
	v_subrev_u32_e32 v56, 28, v59
	v_lshlrev_b64 v[56:57], v56, v[44:45]
	v_lshrrev_b32_e32 v58, 3, v46
	v_sub_u32_e32 v57, 29, v59
	v_and_b32_e32 v56, 7, v56
	v_cmp_gt_u32_e32 vcc, 8, v46
	v_cndmask_b32_e32 v46, v58, v57, vcc
	v_cndmask_b32_e32 v51, v51, v56, vcc
	v_lshlrev_b32_e32 v56, 24, v44
	v_lshlrev_b32_e32 v51, 20, v51
	v_and_b32_e32 v56, 0x80000000, v56
	v_lshl_add_u32 v46, v46, 23, v55
	v_or3_b32 v46, v56, v46, v51
	v_lshrrev_b32_e32 v56, 16, v46
.LBB939_411:                            ;   in Loop: Header=BB939_215 Depth=1
	s_or_b64 exec, exec, s[16:17]
.LBB939_412:                            ;   in Loop: Header=BB939_215 Depth=1
	s_or_b64 exec, exec, s[14:15]
.LBB939_413:                            ;   in Loop: Header=BB939_215 Depth=1
	s_or_b64 exec, exec, s[12:13]
	v_lshrrev_b16_e32 v46, 8, v44
	v_cmp_ne_u16_e32 vcc, 0, v46
	v_mov_b32_e32 v57, 0
	v_mov_b32_e32 v51, 0
	s_and_saveexec_b64 s[12:13], vcc
	s_cbranch_execz .LBB939_419
; %bb.414:                              ;   in Loop: Header=BB939_215 Depth=1
	v_cmp_ne_u16_e32 vcc, s9, v46
	v_mov_b32_e32 v51, 0xffff8000
	s_and_saveexec_b64 s[14:15], vcc
	s_cbranch_execz .LBB939_418
; %bb.415:                              ;   in Loop: Header=BB939_215 Depth=1
	v_and_b32_e32 v58, 0x7f, v46
	v_cmp_ne_u32_e32 vcc, s21, v58
	v_mov_b32_e32 v51, 0x7f80
	s_and_saveexec_b64 s[16:17], vcc
	s_cbranch_execz .LBB939_417
; %bb.416:                              ;   in Loop: Header=BB939_215 Depth=1
	v_and_b32_e32 v51, 7, v46
	v_ffbh_u32_e32 v60, v51
	v_min_u32_e32 v62, 32, v60
	v_subrev_u32_e32 v60, 28, v62
	v_lshlrev_b64 v[60:61], v60, v[46:47]
	v_lshrrev_b32_e32 v59, 3, v58
	v_sub_u32_e32 v46, 29, v62
	v_and_b32_e32 v60, 7, v60
	v_cmp_gt_u32_e32 vcc, 8, v58
	v_cndmask_b32_e32 v46, v59, v46, vcc
	v_cndmask_b32_e32 v51, v51, v60, vcc
	v_lshlrev_b32_e32 v58, 16, v44
	v_lshlrev_b32_e32 v51, 20, v51
	v_and_b32_e32 v58, 0x80000000, v58
	v_lshl_add_u32 v46, v46, 23, v55
	v_or3_b32 v46, v58, v46, v51
	v_lshrrev_b32_e32 v51, 16, v46
.LBB939_417:                            ;   in Loop: Header=BB939_215 Depth=1
	s_or_b64 exec, exec, s[16:17]
.LBB939_418:                            ;   in Loop: Header=BB939_215 Depth=1
	s_or_b64 exec, exec, s[14:15]
.LBB939_419:                            ;   in Loop: Header=BB939_215 Depth=1
	s_or_b64 exec, exec, s[12:13]
	v_lshrrev_b32_e32 v46, 16, v44
	v_cmp_ne_u16_sdwa s[14:15], v46, v54 src0_sel:BYTE_0 src1_sel:DWORD
	s_and_saveexec_b64 s[12:13], s[14:15]
	s_cbranch_execz .LBB939_425
; %bb.420:                              ;   in Loop: Header=BB939_215 Depth=1
	v_cmp_ne_u16_sdwa s[16:17], v46, s9 src0_sel:BYTE_0 src1_sel:DWORD
	v_mov_b32_e32 v57, 0xffff8000
	s_and_saveexec_b64 s[14:15], s[16:17]
	s_cbranch_execz .LBB939_424
; %bb.421:                              ;   in Loop: Header=BB939_215 Depth=1
	v_bfe_u32 v58, v44, 16, 7
	v_cmp_ne_u32_e32 vcc, s21, v58
	v_mov_b32_e32 v57, 0x7f80
	s_and_saveexec_b64 s[16:17], vcc
	s_cbranch_execz .LBB939_423
; %bb.422:                              ;   in Loop: Header=BB939_215 Depth=1
	v_and_b32_e32 v57, 7, v46
	v_ffbh_u32_e32 v60, v57
	v_min_u32_e32 v62, 32, v60
	v_subrev_u32_e32 v60, 28, v62
	v_lshlrev_b64 v[60:61], v60, v[46:47]
	v_lshrrev_b32_e32 v59, 3, v58
	v_sub_u32_e32 v61, 29, v62
	v_and_b32_e32 v60, 7, v60
	v_cmp_gt_u32_e32 vcc, 8, v58
	v_cndmask_b32_e32 v58, v59, v61, vcc
	v_cndmask_b32_e32 v57, v57, v60, vcc
	v_lshlrev_b32_e32 v46, 24, v46
	v_lshlrev_b32_e32 v57, 20, v57
	v_and_b32_e32 v46, 0x80000000, v46
	v_lshl_add_u32 v58, v58, 23, v55
	v_or3_b32 v46, v46, v58, v57
	v_lshrrev_b32_e32 v57, 16, v46
.LBB939_423:                            ;   in Loop: Header=BB939_215 Depth=1
	s_or_b64 exec, exec, s[16:17]
.LBB939_424:                            ;   in Loop: Header=BB939_215 Depth=1
	s_or_b64 exec, exec, s[14:15]
.LBB939_425:                            ;   in Loop: Header=BB939_215 Depth=1
	s_or_b64 exec, exec, s[12:13]
	v_cmp_lt_u32_e32 vcc, s22, v44
	v_mov_b32_e32 v58, 0
	v_mov_b32_e32 v59, 0
	s_and_saveexec_b64 s[12:13], vcc
	s_cbranch_execz .LBB939_431
; %bb.426:                              ;   in Loop: Header=BB939_215 Depth=1
	v_lshrrev_b32_e32 v46, 24, v44
	v_cmp_ne_u32_e32 vcc, s9, v46
	v_mov_b32_e32 v59, 0xffff8000
	s_and_saveexec_b64 s[14:15], vcc
	s_cbranch_execz .LBB939_430
; %bb.427:                              ;   in Loop: Header=BB939_215 Depth=1
	v_bfe_u32 v44, v44, 24, 7
	v_cmp_ne_u32_e32 vcc, s21, v44
	v_mov_b32_e32 v59, 0x7f80
	s_and_saveexec_b64 s[16:17], vcc
	s_cbranch_execz .LBB939_429
; %bb.428:                              ;   in Loop: Header=BB939_215 Depth=1
	v_and_b32_e32 v59, 7, v46
	v_ffbh_u32_e32 v60, v59
	v_min_u32_e32 v63, 32, v60
	v_subrev_u32_e32 v60, 28, v63
	v_lshlrev_b64 v[60:61], v60, v[46:47]
	v_lshrrev_b32_e32 v62, 3, v44
	v_sub_u32_e32 v61, 29, v63
	v_and_b32_e32 v60, 7, v60
	v_cmp_gt_u32_e32 vcc, 8, v44
	v_cndmask_b32_e32 v44, v62, v61, vcc
	v_cndmask_b32_e32 v59, v59, v60, vcc
	v_lshlrev_b32_e32 v46, 24, v46
	v_lshlrev_b32_e32 v59, 20, v59
	v_and_b32_e32 v46, 0x80000000, v46
	v_lshl_add_u32 v44, v44, 23, v55
	v_or3_b32 v44, v46, v44, v59
	v_lshrrev_b32_e32 v59, 16, v44
.LBB939_429:                            ;   in Loop: Header=BB939_215 Depth=1
	s_or_b64 exec, exec, s[16:17]
.LBB939_430:                            ;   in Loop: Header=BB939_215 Depth=1
	s_or_b64 exec, exec, s[14:15]
.LBB939_431:                            ;   in Loop: Header=BB939_215 Depth=1
	s_or_b64 exec, exec, s[12:13]
	s_waitcnt vmcnt(2)
	v_cmp_ne_u16_sdwa s[14:15], v42, v54 src0_sel:BYTE_0 src1_sel:DWORD
	s_and_saveexec_b64 s[12:13], s[14:15]
	s_cbranch_execz .LBB939_437
; %bb.432:                              ;   in Loop: Header=BB939_215 Depth=1
	v_cmp_ne_u16_sdwa s[16:17], v42, s9 src0_sel:BYTE_0 src1_sel:DWORD
	v_mov_b32_e32 v58, 0xffff8000
	s_and_saveexec_b64 s[14:15], s[16:17]
	s_cbranch_execz .LBB939_436
; %bb.433:                              ;   in Loop: Header=BB939_215 Depth=1
	v_and_b32_e32 v44, 0x7f, v42
	v_cmp_ne_u32_e32 vcc, s21, v44
	v_mov_b32_e32 v58, 0x7f80
	s_and_saveexec_b64 s[16:17], vcc
	s_cbranch_execz .LBB939_435
; %bb.434:                              ;   in Loop: Header=BB939_215 Depth=1
	v_and_b32_e32 v46, 7, v42
	v_ffbh_u32_e32 v60, v46
	v_min_u32_e32 v62, 32, v60
	v_subrev_u32_e32 v60, 28, v62
	v_lshlrev_b64 v[60:61], v60, v[42:43]
	v_lshrrev_b32_e32 v58, 3, v44
	v_sub_u32_e32 v61, 29, v62
	v_and_b32_e32 v60, 7, v60
	v_cmp_gt_u32_e32 vcc, 8, v44
	v_cndmask_b32_e32 v44, v58, v61, vcc
	v_cndmask_b32_e32 v46, v46, v60, vcc
	v_lshlrev_b32_e32 v58, 24, v42
	v_lshlrev_b32_e32 v46, 20, v46
	v_and_b32_e32 v58, 0x80000000, v58
	v_lshl_add_u32 v44, v44, 23, v55
	v_or3_b32 v44, v58, v44, v46
	v_lshrrev_b32_e32 v58, 16, v44
.LBB939_435:                            ;   in Loop: Header=BB939_215 Depth=1
	s_or_b64 exec, exec, s[16:17]
.LBB939_436:                            ;   in Loop: Header=BB939_215 Depth=1
	s_or_b64 exec, exec, s[14:15]
.LBB939_437:                            ;   in Loop: Header=BB939_215 Depth=1
	s_or_b64 exec, exec, s[12:13]
	v_lshrrev_b16_e32 v44, 8, v42
	v_cmp_ne_u16_e32 vcc, 0, v44
	v_mov_b32_e32 v61, 0
	v_mov_b32_e32 v60, 0
	s_and_saveexec_b64 s[12:13], vcc
	s_cbranch_execz .LBB939_443
; %bb.438:                              ;   in Loop: Header=BB939_215 Depth=1
	v_cmp_ne_u16_e32 vcc, s9, v44
	v_mov_b32_e32 v60, 0xffff8000
	s_and_saveexec_b64 s[14:15], vcc
	s_cbranch_execz .LBB939_442
; %bb.439:                              ;   in Loop: Header=BB939_215 Depth=1
	v_and_b32_e32 v46, 0x7f, v44
	v_cmp_ne_u32_e32 vcc, s21, v46
	v_mov_b32_e32 v60, 0x7f80
	s_and_saveexec_b64 s[16:17], vcc
	s_cbranch_execz .LBB939_441
; %bb.440:                              ;   in Loop: Header=BB939_215 Depth=1
	v_and_b32_e32 v60, 7, v44
	v_ffbh_u32_e32 v62, v60
	v_min_u32_e32 v65, 32, v62
	v_subrev_u32_e32 v62, 28, v65
	v_lshlrev_b64 v[62:63], v62, v[44:45]
	v_lshrrev_b32_e32 v64, 3, v46
	v_sub_u32_e32 v44, 29, v65
	v_and_b32_e32 v62, 7, v62
	v_cmp_gt_u32_e32 vcc, 8, v46
	v_cndmask_b32_e32 v44, v64, v44, vcc
	v_cndmask_b32_e32 v46, v60, v62, vcc
	v_lshlrev_b32_e32 v60, 16, v42
	v_lshlrev_b32_e32 v46, 20, v46
	v_and_b32_e32 v60, 0x80000000, v60
	v_lshl_add_u32 v44, v44, 23, v55
	v_or3_b32 v44, v60, v44, v46
	v_lshrrev_b32_e32 v60, 16, v44
.LBB939_441:                            ;   in Loop: Header=BB939_215 Depth=1
	s_or_b64 exec, exec, s[16:17]
.LBB939_442:                            ;   in Loop: Header=BB939_215 Depth=1
	s_or_b64 exec, exec, s[14:15]
.LBB939_443:                            ;   in Loop: Header=BB939_215 Depth=1
	s_or_b64 exec, exec, s[12:13]
	v_lshrrev_b32_e32 v44, 16, v42
	v_cmp_ne_u16_sdwa s[14:15], v44, v54 src0_sel:BYTE_0 src1_sel:DWORD
	s_and_saveexec_b64 s[12:13], s[14:15]
	s_cbranch_execz .LBB939_449
; %bb.444:                              ;   in Loop: Header=BB939_215 Depth=1
	v_cmp_ne_u16_sdwa s[16:17], v44, s9 src0_sel:BYTE_0 src1_sel:DWORD
	v_mov_b32_e32 v61, 0xffff8000
	s_and_saveexec_b64 s[14:15], s[16:17]
	s_cbranch_execz .LBB939_448
; %bb.445:                              ;   in Loop: Header=BB939_215 Depth=1
	v_bfe_u32 v46, v42, 16, 7
	v_cmp_ne_u32_e32 vcc, s21, v46
	v_mov_b32_e32 v61, 0x7f80
	s_and_saveexec_b64 s[16:17], vcc
	s_cbranch_execz .LBB939_447
; %bb.446:                              ;   in Loop: Header=BB939_215 Depth=1
	v_and_b32_e32 v61, 7, v44
	v_ffbh_u32_e32 v62, v61
	v_min_u32_e32 v65, 32, v62
	v_subrev_u32_e32 v62, 28, v65
	v_lshlrev_b64 v[62:63], v62, v[44:45]
	v_lshrrev_b32_e32 v64, 3, v46
	v_sub_u32_e32 v63, 29, v65
	v_and_b32_e32 v62, 7, v62
	v_cmp_gt_u32_e32 vcc, 8, v46
	v_cndmask_b32_e32 v46, v64, v63, vcc
	v_cndmask_b32_e32 v61, v61, v62, vcc
	v_lshlrev_b32_e32 v44, 24, v44
	v_lshlrev_b32_e32 v61, 20, v61
	v_and_b32_e32 v44, 0x80000000, v44
	v_lshl_add_u32 v46, v46, 23, v55
	v_or3_b32 v44, v44, v46, v61
	v_lshrrev_b32_e32 v61, 16, v44
.LBB939_447:                            ;   in Loop: Header=BB939_215 Depth=1
	s_or_b64 exec, exec, s[16:17]
.LBB939_448:                            ;   in Loop: Header=BB939_215 Depth=1
	s_or_b64 exec, exec, s[14:15]
.LBB939_449:                            ;   in Loop: Header=BB939_215 Depth=1
	s_or_b64 exec, exec, s[12:13]
	v_cmp_lt_u32_e32 vcc, s22, v42
	v_mov_b32_e32 v46, 0
	v_mov_b32_e32 v62, 0
	s_and_saveexec_b64 s[12:13], vcc
	s_cbranch_execz .LBB939_455
; %bb.450:                              ;   in Loop: Header=BB939_215 Depth=1
	v_lshrrev_b32_e32 v44, 24, v42
	v_cmp_ne_u32_e32 vcc, s9, v44
	v_mov_b32_e32 v62, 0xffff8000
	s_and_saveexec_b64 s[14:15], vcc
	s_cbranch_execz .LBB939_454
; %bb.451:                              ;   in Loop: Header=BB939_215 Depth=1
	v_bfe_u32 v42, v42, 24, 7
	v_cmp_ne_u32_e32 vcc, s21, v42
	v_mov_b32_e32 v62, 0x7f80
	s_and_saveexec_b64 s[16:17], vcc
	s_cbranch_execz .LBB939_453
; %bb.452:                              ;   in Loop: Header=BB939_215 Depth=1
	v_and_b32_e32 v64, 7, v44
	v_ffbh_u32_e32 v62, v64
	v_min_u32_e32 v66, 32, v62
	v_subrev_u32_e32 v62, 28, v66
	v_lshlrev_b64 v[62:63], v62, v[44:45]
	v_lshrrev_b32_e32 v65, 3, v42
	v_sub_u32_e32 v63, 29, v66
	v_and_b32_e32 v62, 7, v62
	v_cmp_gt_u32_e32 vcc, 8, v42
	v_cndmask_b32_e32 v42, v65, v63, vcc
	v_cndmask_b32_e32 v62, v64, v62, vcc
	v_lshlrev_b32_e32 v44, 24, v44
	v_lshlrev_b32_e32 v62, 20, v62
	v_and_b32_e32 v44, 0x80000000, v44
	v_lshl_add_u32 v42, v42, 23, v55
	v_or3_b32 v42, v44, v42, v62
	v_lshrrev_b32_e32 v62, 16, v42
.LBB939_453:                            ;   in Loop: Header=BB939_215 Depth=1
	s_or_b64 exec, exec, s[16:17]
.LBB939_454:                            ;   in Loop: Header=BB939_215 Depth=1
	s_or_b64 exec, exec, s[14:15]
.LBB939_455:                            ;   in Loop: Header=BB939_215 Depth=1
	s_or_b64 exec, exec, s[12:13]
	v_perm_b32 v57, v59, v57, s23
	v_perm_b32 v56, v51, v56, s23
	s_waitcnt vmcnt(1)
	v_cmp_ne_u16_sdwa s[14:15], v40, v54 src0_sel:BYTE_0 src1_sel:DWORD
	v_mfma_f32_16x16x16bf16_1k v[34:37], v[56:57], v[18:19], v[34:37]
	v_perm_b32 v57, v62, v61, s23
	v_perm_b32 v56, v60, v58, s23
	s_nop 1
	v_mfma_f32_16x16x16bf16_1k v[34:37], v[56:57], v[20:21], v[34:37]
	s_and_saveexec_b64 s[12:13], s[14:15]
	s_cbranch_execz .LBB939_461
; %bb.456:                              ;   in Loop: Header=BB939_215 Depth=1
	v_cmp_ne_u16_sdwa s[16:17], v40, s9 src0_sel:BYTE_0 src1_sel:DWORD
	v_mov_b32_e32 v46, 0xffff8000
	s_and_saveexec_b64 s[14:15], s[16:17]
	s_cbranch_execz .LBB939_460
; %bb.457:                              ;   in Loop: Header=BB939_215 Depth=1
	v_and_b32_e32 v42, 0x7f, v40
	v_cmp_ne_u32_e32 vcc, s21, v42
	v_mov_b32_e32 v46, 0x7f80
	s_and_saveexec_b64 s[16:17], vcc
	s_cbranch_execz .LBB939_459
; %bb.458:                              ;   in Loop: Header=BB939_215 Depth=1
	v_and_b32_e32 v44, 7, v40
	v_ffbh_u32_e32 v51, v44
	v_min_u32_e32 v51, 32, v51
	v_subrev_u32_e32 v56, 28, v51
	v_lshlrev_b64 v[56:57], v56, v[40:41]
	v_lshrrev_b32_e32 v46, 3, v42
	v_sub_u32_e32 v51, 29, v51
	v_and_b32_e32 v56, 7, v56
	v_cmp_gt_u32_e32 vcc, 8, v42
	v_cndmask_b32_e32 v42, v46, v51, vcc
	v_cndmask_b32_e32 v44, v44, v56, vcc
	v_lshlrev_b32_e32 v46, 24, v40
	v_lshlrev_b32_e32 v44, 20, v44
	v_and_b32_e32 v46, 0x80000000, v46
	v_lshl_add_u32 v42, v42, 23, v55
	v_or3_b32 v42, v46, v42, v44
	v_lshrrev_b32_e32 v46, 16, v42
.LBB939_459:                            ;   in Loop: Header=BB939_215 Depth=1
	s_or_b64 exec, exec, s[16:17]
.LBB939_460:                            ;   in Loop: Header=BB939_215 Depth=1
	s_or_b64 exec, exec, s[14:15]
.LBB939_461:                            ;   in Loop: Header=BB939_215 Depth=1
	s_or_b64 exec, exec, s[12:13]
	v_lshrrev_b16_e32 v42, 8, v40
	v_cmp_ne_u16_e32 vcc, 0, v42
	v_mov_b32_e32 v56, 0
	v_mov_b32_e32 v44, 0
	s_and_saveexec_b64 s[12:13], vcc
	s_cbranch_execz .LBB939_467
; %bb.462:                              ;   in Loop: Header=BB939_215 Depth=1
	v_cmp_ne_u16_e32 vcc, s9, v42
	v_mov_b32_e32 v44, 0xffff8000
	s_and_saveexec_b64 s[14:15], vcc
	s_cbranch_execz .LBB939_466
; %bb.463:                              ;   in Loop: Header=BB939_215 Depth=1
	v_and_b32_e32 v51, 0x7f, v42
	v_cmp_ne_u32_e32 vcc, s21, v51
	v_mov_b32_e32 v44, 0x7f80
	s_and_saveexec_b64 s[16:17], vcc
	s_cbranch_execz .LBB939_465
; %bb.464:                              ;   in Loop: Header=BB939_215 Depth=1
	v_and_b32_e32 v44, 7, v42
	v_ffbh_u32_e32 v58, v44
	v_min_u32_e32 v60, 32, v58
	v_subrev_u32_e32 v58, 28, v60
	v_lshlrev_b64 v[58:59], v58, v[42:43]
	v_lshrrev_b32_e32 v57, 3, v51
	v_sub_u32_e32 v42, 29, v60
	v_and_b32_e32 v58, 7, v58
	v_cmp_gt_u32_e32 vcc, 8, v51
	v_cndmask_b32_e32 v42, v57, v42, vcc
	v_cndmask_b32_e32 v44, v44, v58, vcc
	v_lshlrev_b32_e32 v51, 16, v40
	v_lshlrev_b32_e32 v44, 20, v44
	v_and_b32_e32 v51, 0x80000000, v51
	v_lshl_add_u32 v42, v42, 23, v55
	v_or3_b32 v42, v51, v42, v44
	v_lshrrev_b32_e32 v44, 16, v42
.LBB939_465:                            ;   in Loop: Header=BB939_215 Depth=1
	s_or_b64 exec, exec, s[16:17]
.LBB939_466:                            ;   in Loop: Header=BB939_215 Depth=1
	s_or_b64 exec, exec, s[14:15]
.LBB939_467:                            ;   in Loop: Header=BB939_215 Depth=1
	s_or_b64 exec, exec, s[12:13]
	v_lshrrev_b32_e32 v42, 16, v40
	v_cmp_ne_u16_sdwa s[14:15], v42, v54 src0_sel:BYTE_0 src1_sel:DWORD
	s_and_saveexec_b64 s[12:13], s[14:15]
	s_cbranch_execz .LBB939_473
; %bb.468:                              ;   in Loop: Header=BB939_215 Depth=1
	v_cmp_ne_u16_sdwa s[16:17], v42, s9 src0_sel:BYTE_0 src1_sel:DWORD
	v_mov_b32_e32 v56, 0xffff8000
	s_and_saveexec_b64 s[14:15], s[16:17]
	s_cbranch_execz .LBB939_472
; %bb.469:                              ;   in Loop: Header=BB939_215 Depth=1
	v_bfe_u32 v51, v40, 16, 7
	v_cmp_ne_u32_e32 vcc, s21, v51
	v_mov_b32_e32 v56, 0x7f80
	s_and_saveexec_b64 s[16:17], vcc
	s_cbranch_execz .LBB939_471
; %bb.470:                              ;   in Loop: Header=BB939_215 Depth=1
	v_and_b32_e32 v58, 7, v42
	v_ffbh_u32_e32 v56, v58
	v_min_u32_e32 v60, 32, v56
	v_subrev_u32_e32 v56, 28, v60
	v_lshlrev_b64 v[56:57], v56, v[42:43]
	v_lshrrev_b32_e32 v59, 3, v51
	v_sub_u32_e32 v57, 29, v60
	v_and_b32_e32 v56, 7, v56
	v_cmp_gt_u32_e32 vcc, 8, v51
	v_cndmask_b32_e32 v51, v59, v57, vcc
	v_cndmask_b32_e32 v56, v58, v56, vcc
	v_lshlrev_b32_e32 v42, 24, v42
	v_lshlrev_b32_e32 v56, 20, v56
	v_and_b32_e32 v42, 0x80000000, v42
	v_lshl_add_u32 v51, v51, 23, v55
	v_or3_b32 v42, v42, v51, v56
	v_lshrrev_b32_e32 v56, 16, v42
.LBB939_471:                            ;   in Loop: Header=BB939_215 Depth=1
	s_or_b64 exec, exec, s[16:17]
.LBB939_472:                            ;   in Loop: Header=BB939_215 Depth=1
	s_or_b64 exec, exec, s[14:15]
.LBB939_473:                            ;   in Loop: Header=BB939_215 Depth=1
	s_or_b64 exec, exec, s[12:13]
	v_cmp_lt_u32_e32 vcc, s22, v40
	v_mov_b32_e32 v57, 0
	v_mov_b32_e32 v58, 0
	s_and_saveexec_b64 s[12:13], vcc
	s_cbranch_execz .LBB939_479
; %bb.474:                              ;   in Loop: Header=BB939_215 Depth=1
	v_lshrrev_b32_e32 v42, 24, v40
	v_cmp_ne_u32_e32 vcc, s9, v42
	v_mov_b32_e32 v58, 0xffff8000
	s_and_saveexec_b64 s[14:15], vcc
	s_cbranch_execz .LBB939_478
; %bb.475:                              ;   in Loop: Header=BB939_215 Depth=1
	v_bfe_u32 v40, v40, 24, 7
	v_cmp_ne_u32_e32 vcc, s21, v40
	v_mov_b32_e32 v58, 0x7f80
	s_and_saveexec_b64 s[16:17], vcc
	s_cbranch_execz .LBB939_477
; %bb.476:                              ;   in Loop: Header=BB939_215 Depth=1
	v_and_b32_e32 v51, 7, v42
	v_ffbh_u32_e32 v58, v51
	v_min_u32_e32 v61, 32, v58
	v_subrev_u32_e32 v58, 28, v61
	v_lshlrev_b64 v[58:59], v58, v[42:43]
	v_lshrrev_b32_e32 v60, 3, v40
	v_sub_u32_e32 v59, 29, v61
	v_and_b32_e32 v58, 7, v58
	v_cmp_gt_u32_e32 vcc, 8, v40
	v_cndmask_b32_e32 v40, v60, v59, vcc
	v_cndmask_b32_e32 v51, v51, v58, vcc
	v_lshlrev_b32_e32 v42, 24, v42
	v_lshlrev_b32_e32 v51, 20, v51
	v_and_b32_e32 v42, 0x80000000, v42
	v_lshl_add_u32 v40, v40, 23, v55
	v_or3_b32 v40, v42, v40, v51
	v_lshrrev_b32_e32 v58, 16, v40
.LBB939_477:                            ;   in Loop: Header=BB939_215 Depth=1
	s_or_b64 exec, exec, s[16:17]
.LBB939_478:                            ;   in Loop: Header=BB939_215 Depth=1
	s_or_b64 exec, exec, s[14:15]
.LBB939_479:                            ;   in Loop: Header=BB939_215 Depth=1
	s_or_b64 exec, exec, s[12:13]
	s_waitcnt vmcnt(0)
	v_cmp_ne_u16_sdwa s[14:15], v38, v54 src0_sel:BYTE_0 src1_sel:DWORD
	s_and_saveexec_b64 s[12:13], s[14:15]
	s_cbranch_execz .LBB939_485
; %bb.480:                              ;   in Loop: Header=BB939_215 Depth=1
	v_cmp_ne_u16_sdwa s[16:17], v38, s9 src0_sel:BYTE_0 src1_sel:DWORD
	v_mov_b32_e32 v57, 0xffff8000
	s_and_saveexec_b64 s[14:15], s[16:17]
	s_cbranch_execz .LBB939_484
; %bb.481:                              ;   in Loop: Header=BB939_215 Depth=1
	v_and_b32_e32 v40, 0x7f, v38
	v_cmp_ne_u32_e32 vcc, s21, v40
	v_mov_b32_e32 v57, 0x7f80
	s_and_saveexec_b64 s[16:17], vcc
	s_cbranch_execz .LBB939_483
; %bb.482:                              ;   in Loop: Header=BB939_215 Depth=1
	v_and_b32_e32 v42, 7, v38
	v_ffbh_u32_e32 v57, v42
	v_min_u32_e32 v57, 32, v57
	v_subrev_u32_e32 v59, 28, v57
	v_lshlrev_b64 v[60:61], v59, v[38:39]
	v_lshrrev_b32_e32 v51, 3, v40
	v_sub_u32_e32 v57, 29, v57
	v_and_b32_e32 v59, 7, v60
	v_cmp_gt_u32_e32 vcc, 8, v40
	v_cndmask_b32_e32 v40, v51, v57, vcc
	v_cndmask_b32_e32 v42, v42, v59, vcc
	v_lshlrev_b32_e32 v51, 24, v38
	v_lshlrev_b32_e32 v42, 20, v42
	v_and_b32_e32 v51, 0x80000000, v51
	v_lshl_add_u32 v40, v40, 23, v55
	v_or3_b32 v40, v51, v40, v42
	v_lshrrev_b32_e32 v57, 16, v40
.LBB939_483:                            ;   in Loop: Header=BB939_215 Depth=1
	s_or_b64 exec, exec, s[16:17]
.LBB939_484:                            ;   in Loop: Header=BB939_215 Depth=1
	s_or_b64 exec, exec, s[14:15]
.LBB939_485:                            ;   in Loop: Header=BB939_215 Depth=1
	s_or_b64 exec, exec, s[12:13]
	v_lshrrev_b16_e32 v40, 8, v38
	v_cmp_ne_u16_e32 vcc, 0, v40
	v_mov_b32_e32 v60, 0
	v_mov_b32_e32 v59, 0
	s_and_saveexec_b64 s[12:13], vcc
	s_cbranch_execz .LBB939_491
; %bb.486:                              ;   in Loop: Header=BB939_215 Depth=1
	v_cmp_ne_u16_e32 vcc, s9, v40
	v_mov_b32_e32 v59, 0xffff8000
	s_and_saveexec_b64 s[14:15], vcc
	s_cbranch_execz .LBB939_490
; %bb.487:                              ;   in Loop: Header=BB939_215 Depth=1
	v_and_b32_e32 v42, 0x7f, v40
	v_cmp_ne_u32_e32 vcc, s21, v42
	v_mov_b32_e32 v59, 0x7f80
	s_and_saveexec_b64 s[16:17], vcc
	s_cbranch_execz .LBB939_489
; %bb.488:                              ;   in Loop: Header=BB939_215 Depth=1
	v_and_b32_e32 v51, 7, v40
	v_ffbh_u32_e32 v61, v51
	v_min_u32_e32 v61, 32, v61
	v_subrev_u32_e32 v62, 28, v61
	v_lshlrev_b64 v[62:63], v62, v[40:41]
	v_lshrrev_b32_e32 v59, 3, v42
	v_sub_u32_e32 v40, 29, v61
	v_and_b32_e32 v61, 7, v62
	v_cmp_gt_u32_e32 vcc, 8, v42
	v_cndmask_b32_e32 v40, v59, v40, vcc
	v_cndmask_b32_e32 v42, v51, v61, vcc
	v_lshlrev_b32_e32 v51, 16, v38
	v_lshlrev_b32_e32 v42, 20, v42
	v_and_b32_e32 v51, 0x80000000, v51
	v_lshl_add_u32 v40, v40, 23, v55
	v_or3_b32 v40, v51, v40, v42
	v_lshrrev_b32_e32 v59, 16, v40
.LBB939_489:                            ;   in Loop: Header=BB939_215 Depth=1
	s_or_b64 exec, exec, s[16:17]
.LBB939_490:                            ;   in Loop: Header=BB939_215 Depth=1
	s_or_b64 exec, exec, s[14:15]
.LBB939_491:                            ;   in Loop: Header=BB939_215 Depth=1
	s_or_b64 exec, exec, s[12:13]
	v_lshrrev_b32_e32 v40, 16, v38
	v_cmp_ne_u16_sdwa s[14:15], v40, v54 src0_sel:BYTE_0 src1_sel:DWORD
	s_and_saveexec_b64 s[12:13], s[14:15]
	s_cbranch_execz .LBB939_497
; %bb.492:                              ;   in Loop: Header=BB939_215 Depth=1
	v_cmp_ne_u16_sdwa s[16:17], v40, s9 src0_sel:BYTE_0 src1_sel:DWORD
	v_mov_b32_e32 v60, 0xffff8000
	s_and_saveexec_b64 s[14:15], s[16:17]
	s_cbranch_execz .LBB939_496
; %bb.493:                              ;   in Loop: Header=BB939_215 Depth=1
	v_bfe_u32 v42, v38, 16, 7
	v_cmp_ne_u32_e32 vcc, s21, v42
	v_mov_b32_e32 v60, 0x7f80
	s_and_saveexec_b64 s[16:17], vcc
	s_cbranch_execz .LBB939_495
; %bb.494:                              ;   in Loop: Header=BB939_215 Depth=1
	v_and_b32_e32 v51, 7, v40
	v_ffbh_u32_e32 v60, v51
	v_min_u32_e32 v63, 32, v60
	v_subrev_u32_e32 v60, 28, v63
	v_lshlrev_b64 v[60:61], v60, v[40:41]
	v_lshrrev_b32_e32 v62, 3, v42
	v_sub_u32_e32 v61, 29, v63
	v_and_b32_e32 v60, 7, v60
	v_cmp_gt_u32_e32 vcc, 8, v42
	v_cndmask_b32_e32 v42, v62, v61, vcc
	v_cndmask_b32_e32 v51, v51, v60, vcc
	v_lshlrev_b32_e32 v40, 24, v40
	v_lshlrev_b32_e32 v51, 20, v51
	v_and_b32_e32 v40, 0x80000000, v40
	v_lshl_add_u32 v42, v42, 23, v55
	v_or3_b32 v40, v40, v42, v51
	v_lshrrev_b32_e32 v60, 16, v40
.LBB939_495:                            ;   in Loop: Header=BB939_215 Depth=1
	s_or_b64 exec, exec, s[16:17]
.LBB939_496:                            ;   in Loop: Header=BB939_215 Depth=1
	s_or_b64 exec, exec, s[14:15]
.LBB939_497:                            ;   in Loop: Header=BB939_215 Depth=1
	s_or_b64 exec, exec, s[12:13]
	v_cmp_lt_u32_e32 vcc, s22, v38
	v_mov_b32_e32 v51, 0
	v_mov_b32_e32 v61, 0
	s_and_saveexec_b64 s[12:13], vcc
	s_cbranch_execz .LBB939_503
; %bb.498:                              ;   in Loop: Header=BB939_215 Depth=1
	v_lshrrev_b32_e32 v40, 24, v38
	v_cmp_ne_u32_e32 vcc, s9, v40
	v_mov_b32_e32 v61, 0xffff8000
	s_and_saveexec_b64 s[14:15], vcc
	s_cbranch_execz .LBB939_502
; %bb.499:                              ;   in Loop: Header=BB939_215 Depth=1
	v_bfe_u32 v38, v38, 24, 7
	v_cmp_ne_u32_e32 vcc, s21, v38
	v_mov_b32_e32 v61, 0x7f80
	s_and_saveexec_b64 s[16:17], vcc
	s_cbranch_execz .LBB939_501
; %bb.500:                              ;   in Loop: Header=BB939_215 Depth=1
	v_and_b32_e32 v42, 7, v40
	v_ffbh_u32_e32 v62, v42
	v_min_u32_e32 v64, 32, v62
	v_subrev_u32_e32 v62, 28, v64
	v_lshlrev_b64 v[62:63], v62, v[40:41]
	v_lshrrev_b32_e32 v61, 3, v38
	v_sub_u32_e32 v63, 29, v64
	v_and_b32_e32 v62, 7, v62
	v_cmp_gt_u32_e32 vcc, 8, v38
	v_cndmask_b32_e32 v38, v61, v63, vcc
	v_cndmask_b32_e32 v42, v42, v62, vcc
	v_lshlrev_b32_e32 v40, 24, v40
	v_lshlrev_b32_e32 v42, 20, v42
	v_and_b32_e32 v40, 0x80000000, v40
	v_lshl_add_u32 v38, v38, 23, v55
	v_or3_b32 v38, v40, v38, v42
	v_lshrrev_b32_e32 v61, 16, v38
.LBB939_501:                            ;   in Loop: Header=BB939_215 Depth=1
	s_or_b64 exec, exec, s[16:17]
.LBB939_502:                            ;   in Loop: Header=BB939_215 Depth=1
	s_or_b64 exec, exec, s[14:15]
.LBB939_503:                            ;   in Loop: Header=BB939_215 Depth=1
	s_or_b64 exec, exec, s[12:13]
	v_perm_b32 v62, v44, v46, s23
	buffer_load_dword v44, v50, s[0:3], 0 offen
	buffer_load_dword v42, v50, s[0:3], 0 offen offset:4
	buffer_load_dword v40, v50, s[0:3], 0 offen offset:8
	;; [unrolled: 1-line block ×3, first 2 shown]
	v_perm_b32 v63, v58, v56, s23
	v_perm_b32 v61, v61, v60, s23
	;; [unrolled: 1-line block ×3, first 2 shown]
	v_mfma_f32_16x16x16bf16_1k v[34:37], v[62:63], v[22:23], v[34:37]
	s_waitcnt vmcnt(3)
	v_cmp_ne_u16_sdwa s[14:15], v44, v54 src0_sel:BYTE_0 src1_sel:DWORD
	v_mfma_f32_16x16x16bf16_1k v[34:37], v[60:61], v[24:25], v[34:37]
	s_and_saveexec_b64 s[12:13], s[14:15]
	s_cbranch_execz .LBB939_509
; %bb.504:                              ;   in Loop: Header=BB939_215 Depth=1
	v_cmp_ne_u16_sdwa s[16:17], v44, s9 src0_sel:BYTE_0 src1_sel:DWORD
	v_mov_b32_e32 v51, 0xffff8000
	s_and_saveexec_b64 s[14:15], s[16:17]
	s_cbranch_execz .LBB939_508
; %bb.505:                              ;   in Loop: Header=BB939_215 Depth=1
	v_and_b32_e32 v46, 0x7f, v44
	v_cmp_ne_u32_e32 vcc, s21, v46
	v_mov_b32_e32 v51, 0x7f80
	s_and_saveexec_b64 s[16:17], vcc
	s_cbranch_execz .LBB939_507
; %bb.506:                              ;   in Loop: Header=BB939_215 Depth=1
	v_and_b32_e32 v56, 7, v44
	v_ffbh_u32_e32 v50, v56
	v_min_u32_e32 v58, 32, v50
	v_subrev_u32_e32 v50, 28, v58
	v_lshlrev_b64 v[50:51], v50, v[44:45]
	v_lshrrev_b32_e32 v57, 3, v46
	v_sub_u32_e32 v51, 29, v58
	v_and_b32_e32 v50, 7, v50
	v_cmp_gt_u32_e32 vcc, 8, v46
	v_cndmask_b32_e32 v46, v57, v51, vcc
	v_cndmask_b32_e32 v50, v56, v50, vcc
	v_lshlrev_b32_e32 v51, 24, v44
	v_lshlrev_b32_e32 v50, 20, v50
	v_and_b32_e32 v51, 0x80000000, v51
	v_lshl_add_u32 v46, v46, 23, v55
	v_or3_b32 v46, v51, v46, v50
	v_lshrrev_b32_e32 v51, 16, v46
.LBB939_507:                            ;   in Loop: Header=BB939_215 Depth=1
	s_or_b64 exec, exec, s[16:17]
.LBB939_508:                            ;   in Loop: Header=BB939_215 Depth=1
	s_or_b64 exec, exec, s[14:15]
.LBB939_509:                            ;   in Loop: Header=BB939_215 Depth=1
	s_or_b64 exec, exec, s[12:13]
	v_lshrrev_b16_e32 v46, 8, v44
	v_cmp_ne_u16_e32 vcc, 0, v46
	v_mov_b32_e32 v56, 0
	v_mov_b32_e32 v50, 0
	s_and_saveexec_b64 s[12:13], vcc
	s_cbranch_execz .LBB939_515
; %bb.510:                              ;   in Loop: Header=BB939_215 Depth=1
	v_cmp_ne_u16_e32 vcc, s9, v46
	v_mov_b32_e32 v50, 0xffff8000
	s_and_saveexec_b64 s[14:15], vcc
	s_cbranch_execz .LBB939_514
; %bb.511:                              ;   in Loop: Header=BB939_215 Depth=1
	v_and_b32_e32 v57, 0x7f, v46
	v_cmp_ne_u32_e32 vcc, s21, v57
	v_mov_b32_e32 v50, 0x7f80
	s_and_saveexec_b64 s[16:17], vcc
	s_cbranch_execz .LBB939_513
; %bb.512:                              ;   in Loop: Header=BB939_215 Depth=1
	v_and_b32_e32 v50, 7, v46
	v_ffbh_u32_e32 v58, v50
	v_min_u32_e32 v61, 32, v58
	v_subrev_u32_e32 v58, 28, v61
	v_lshlrev_b64 v[58:59], v58, v[46:47]
	v_lshrrev_b32_e32 v60, 3, v57
	v_sub_u32_e32 v46, 29, v61
	v_and_b32_e32 v58, 7, v58
	v_cmp_gt_u32_e32 vcc, 8, v57
	v_cndmask_b32_e32 v46, v60, v46, vcc
	v_cndmask_b32_e32 v50, v50, v58, vcc
	v_lshlrev_b32_e32 v57, 16, v44
	v_lshlrev_b32_e32 v50, 20, v50
	v_and_b32_e32 v57, 0x80000000, v57
	v_lshl_add_u32 v46, v46, 23, v55
	v_or3_b32 v46, v57, v46, v50
	v_lshrrev_b32_e32 v50, 16, v46
.LBB939_513:                            ;   in Loop: Header=BB939_215 Depth=1
	s_or_b64 exec, exec, s[16:17]
.LBB939_514:                            ;   in Loop: Header=BB939_215 Depth=1
	s_or_b64 exec, exec, s[14:15]
.LBB939_515:                            ;   in Loop: Header=BB939_215 Depth=1
	s_or_b64 exec, exec, s[12:13]
	v_lshrrev_b32_e32 v46, 16, v44
	v_cmp_ne_u16_sdwa s[14:15], v46, v54 src0_sel:BYTE_0 src1_sel:DWORD
	s_and_saveexec_b64 s[12:13], s[14:15]
	s_cbranch_execz .LBB939_521
; %bb.516:                              ;   in Loop: Header=BB939_215 Depth=1
	v_cmp_ne_u16_sdwa s[16:17], v46, s9 src0_sel:BYTE_0 src1_sel:DWORD
	v_mov_b32_e32 v56, 0xffff8000
	s_and_saveexec_b64 s[14:15], s[16:17]
	s_cbranch_execz .LBB939_520
; %bb.517:                              ;   in Loop: Header=BB939_215 Depth=1
	v_bfe_u32 v57, v44, 16, 7
	v_cmp_ne_u32_e32 vcc, s21, v57
	v_mov_b32_e32 v56, 0x7f80
	s_and_saveexec_b64 s[16:17], vcc
	s_cbranch_execz .LBB939_519
; %bb.518:                              ;   in Loop: Header=BB939_215 Depth=1
	v_and_b32_e32 v56, 7, v46
	v_ffbh_u32_e32 v58, v56
	v_min_u32_e32 v61, 32, v58
	v_subrev_u32_e32 v58, 28, v61
	v_lshlrev_b64 v[58:59], v58, v[46:47]
	v_lshrrev_b32_e32 v60, 3, v57
	v_sub_u32_e32 v59, 29, v61
	v_and_b32_e32 v58, 7, v58
	v_cmp_gt_u32_e32 vcc, 8, v57
	v_cndmask_b32_e32 v57, v60, v59, vcc
	v_cndmask_b32_e32 v56, v56, v58, vcc
	v_lshlrev_b32_e32 v46, 24, v46
	v_lshlrev_b32_e32 v56, 20, v56
	v_and_b32_e32 v46, 0x80000000, v46
	v_lshl_add_u32 v57, v57, 23, v55
	v_or3_b32 v46, v46, v57, v56
	v_lshrrev_b32_e32 v56, 16, v46
.LBB939_519:                            ;   in Loop: Header=BB939_215 Depth=1
	s_or_b64 exec, exec, s[16:17]
.LBB939_520:                            ;   in Loop: Header=BB939_215 Depth=1
	s_or_b64 exec, exec, s[14:15]
.LBB939_521:                            ;   in Loop: Header=BB939_215 Depth=1
	s_or_b64 exec, exec, s[12:13]
	v_cmp_lt_u32_e32 vcc, s22, v44
	v_mov_b32_e32 v57, 0
	v_mov_b32_e32 v58, 0
	s_and_saveexec_b64 s[12:13], vcc
	s_cbranch_execz .LBB939_527
; %bb.522:                              ;   in Loop: Header=BB939_215 Depth=1
	v_lshrrev_b32_e32 v46, 24, v44
	v_cmp_ne_u32_e32 vcc, s9, v46
	v_mov_b32_e32 v58, 0xffff8000
	s_and_saveexec_b64 s[14:15], vcc
	s_cbranch_execz .LBB939_526
; %bb.523:                              ;   in Loop: Header=BB939_215 Depth=1
	v_bfe_u32 v44, v44, 24, 7
	v_cmp_ne_u32_e32 vcc, s21, v44
	v_mov_b32_e32 v58, 0x7f80
	s_and_saveexec_b64 s[16:17], vcc
	s_cbranch_execz .LBB939_525
; %bb.524:                              ;   in Loop: Header=BB939_215 Depth=1
	v_and_b32_e32 v60, 7, v46
	v_ffbh_u32_e32 v58, v60
	v_min_u32_e32 v62, 32, v58
	v_subrev_u32_e32 v58, 28, v62
	v_lshlrev_b64 v[58:59], v58, v[46:47]
	v_lshrrev_b32_e32 v61, 3, v44
	v_sub_u32_e32 v59, 29, v62
	v_and_b32_e32 v58, 7, v58
	v_cmp_gt_u32_e32 vcc, 8, v44
	v_cndmask_b32_e32 v44, v61, v59, vcc
	v_cndmask_b32_e32 v58, v60, v58, vcc
	v_lshlrev_b32_e32 v46, 24, v46
	v_lshlrev_b32_e32 v58, 20, v58
	v_and_b32_e32 v46, 0x80000000, v46
	v_lshl_add_u32 v44, v44, 23, v55
	v_or3_b32 v44, v46, v44, v58
	v_lshrrev_b32_e32 v58, 16, v44
.LBB939_525:                            ;   in Loop: Header=BB939_215 Depth=1
	s_or_b64 exec, exec, s[16:17]
.LBB939_526:                            ;   in Loop: Header=BB939_215 Depth=1
	s_or_b64 exec, exec, s[14:15]
.LBB939_527:                            ;   in Loop: Header=BB939_215 Depth=1
	s_or_b64 exec, exec, s[12:13]
	s_waitcnt vmcnt(2)
	v_cmp_ne_u16_sdwa s[14:15], v42, v54 src0_sel:BYTE_0 src1_sel:DWORD
	s_and_saveexec_b64 s[12:13], s[14:15]
	s_cbranch_execz .LBB939_533
; %bb.528:                              ;   in Loop: Header=BB939_215 Depth=1
	v_cmp_ne_u16_sdwa s[16:17], v42, s9 src0_sel:BYTE_0 src1_sel:DWORD
	v_mov_b32_e32 v57, 0xffff8000
	s_and_saveexec_b64 s[14:15], s[16:17]
	s_cbranch_execz .LBB939_532
; %bb.529:                              ;   in Loop: Header=BB939_215 Depth=1
	v_and_b32_e32 v44, 0x7f, v42
	v_cmp_ne_u32_e32 vcc, s21, v44
	v_mov_b32_e32 v57, 0x7f80
	s_and_saveexec_b64 s[16:17], vcc
	s_cbranch_execz .LBB939_531
; %bb.530:                              ;   in Loop: Header=BB939_215 Depth=1
	v_and_b32_e32 v46, 7, v42
	v_ffbh_u32_e32 v59, v46
	v_min_u32_e32 v59, 32, v59
	v_subrev_u32_e32 v60, 28, v59
	v_lshlrev_b64 v[60:61], v60, v[42:43]
	v_lshrrev_b32_e32 v57, 3, v44
	v_sub_u32_e32 v59, 29, v59
	v_and_b32_e32 v60, 7, v60
	v_cmp_gt_u32_e32 vcc, 8, v44
	v_cndmask_b32_e32 v44, v57, v59, vcc
	v_cndmask_b32_e32 v46, v46, v60, vcc
	v_lshlrev_b32_e32 v57, 24, v42
	v_lshlrev_b32_e32 v46, 20, v46
	v_and_b32_e32 v57, 0x80000000, v57
	v_lshl_add_u32 v44, v44, 23, v55
	v_or3_b32 v44, v57, v44, v46
	v_lshrrev_b32_e32 v57, 16, v44
.LBB939_531:                            ;   in Loop: Header=BB939_215 Depth=1
	s_or_b64 exec, exec, s[16:17]
.LBB939_532:                            ;   in Loop: Header=BB939_215 Depth=1
	s_or_b64 exec, exec, s[14:15]
.LBB939_533:                            ;   in Loop: Header=BB939_215 Depth=1
	s_or_b64 exec, exec, s[12:13]
	v_lshrrev_b16_e32 v44, 8, v42
	v_cmp_ne_u16_e32 vcc, 0, v44
	v_mov_b32_e32 v60, 0
	v_mov_b32_e32 v59, 0
	s_and_saveexec_b64 s[12:13], vcc
	s_cbranch_execz .LBB939_539
; %bb.534:                              ;   in Loop: Header=BB939_215 Depth=1
	v_cmp_ne_u16_e32 vcc, s9, v44
	v_mov_b32_e32 v59, 0xffff8000
	s_and_saveexec_b64 s[14:15], vcc
	s_cbranch_execz .LBB939_538
; %bb.535:                              ;   in Loop: Header=BB939_215 Depth=1
	v_and_b32_e32 v46, 0x7f, v44
	v_cmp_ne_u32_e32 vcc, s21, v46
	v_mov_b32_e32 v59, 0x7f80
	s_and_saveexec_b64 s[16:17], vcc
	s_cbranch_execz .LBB939_537
; %bb.536:                              ;   in Loop: Header=BB939_215 Depth=1
	v_and_b32_e32 v59, 7, v44
	v_ffbh_u32_e32 v62, v59
	v_min_u32_e32 v64, 32, v62
	v_subrev_u32_e32 v62, 28, v64
	v_lshlrev_b64 v[62:63], v62, v[44:45]
	v_lshrrev_b32_e32 v61, 3, v46
	v_sub_u32_e32 v44, 29, v64
	v_and_b32_e32 v62, 7, v62
	v_cmp_gt_u32_e32 vcc, 8, v46
	v_cndmask_b32_e32 v44, v61, v44, vcc
	v_cndmask_b32_e32 v46, v59, v62, vcc
	v_lshlrev_b32_e32 v59, 16, v42
	v_lshlrev_b32_e32 v46, 20, v46
	v_and_b32_e32 v59, 0x80000000, v59
	v_lshl_add_u32 v44, v44, 23, v55
	v_or3_b32 v44, v59, v44, v46
	v_lshrrev_b32_e32 v59, 16, v44
.LBB939_537:                            ;   in Loop: Header=BB939_215 Depth=1
	s_or_b64 exec, exec, s[16:17]
.LBB939_538:                            ;   in Loop: Header=BB939_215 Depth=1
	s_or_b64 exec, exec, s[14:15]
.LBB939_539:                            ;   in Loop: Header=BB939_215 Depth=1
	s_or_b64 exec, exec, s[12:13]
	v_lshrrev_b32_e32 v44, 16, v42
	v_cmp_ne_u16_sdwa s[14:15], v44, v54 src0_sel:BYTE_0 src1_sel:DWORD
	s_and_saveexec_b64 s[12:13], s[14:15]
	s_cbranch_execz .LBB939_545
; %bb.540:                              ;   in Loop: Header=BB939_215 Depth=1
	v_cmp_ne_u16_sdwa s[16:17], v44, s9 src0_sel:BYTE_0 src1_sel:DWORD
	v_mov_b32_e32 v60, 0xffff8000
	s_and_saveexec_b64 s[14:15], s[16:17]
	s_cbranch_execz .LBB939_544
; %bb.541:                              ;   in Loop: Header=BB939_215 Depth=1
	v_bfe_u32 v46, v42, 16, 7
	v_cmp_ne_u32_e32 vcc, s21, v46
	v_mov_b32_e32 v60, 0x7f80
	s_and_saveexec_b64 s[16:17], vcc
	s_cbranch_execz .LBB939_543
; %bb.542:                              ;   in Loop: Header=BB939_215 Depth=1
	v_and_b32_e32 v62, 7, v44
	v_ffbh_u32_e32 v60, v62
	v_min_u32_e32 v64, 32, v60
	v_subrev_u32_e32 v60, 28, v64
	v_lshlrev_b64 v[60:61], v60, v[44:45]
	v_lshrrev_b32_e32 v63, 3, v46
	v_sub_u32_e32 v61, 29, v64
	v_and_b32_e32 v60, 7, v60
	v_cmp_gt_u32_e32 vcc, 8, v46
	v_cndmask_b32_e32 v46, v63, v61, vcc
	v_cndmask_b32_e32 v60, v62, v60, vcc
	v_lshlrev_b32_e32 v44, 24, v44
	v_lshlrev_b32_e32 v60, 20, v60
	v_and_b32_e32 v44, 0x80000000, v44
	v_lshl_add_u32 v46, v46, 23, v55
	v_or3_b32 v44, v44, v46, v60
	v_lshrrev_b32_e32 v60, 16, v44
.LBB939_543:                            ;   in Loop: Header=BB939_215 Depth=1
	s_or_b64 exec, exec, s[16:17]
.LBB939_544:                            ;   in Loop: Header=BB939_215 Depth=1
	s_or_b64 exec, exec, s[14:15]
.LBB939_545:                            ;   in Loop: Header=BB939_215 Depth=1
	s_or_b64 exec, exec, s[12:13]
	v_cmp_lt_u32_e32 vcc, s22, v42
	v_mov_b32_e32 v46, 0
	v_mov_b32_e32 v61, 0
	s_and_saveexec_b64 s[12:13], vcc
	s_cbranch_execz .LBB939_551
; %bb.546:                              ;   in Loop: Header=BB939_215 Depth=1
	v_lshrrev_b32_e32 v44, 24, v42
	v_cmp_ne_u32_e32 vcc, s9, v44
	v_mov_b32_e32 v61, 0xffff8000
	s_and_saveexec_b64 s[14:15], vcc
	s_cbranch_execz .LBB939_550
; %bb.547:                              ;   in Loop: Header=BB939_215 Depth=1
	v_bfe_u32 v42, v42, 24, 7
	v_cmp_ne_u32_e32 vcc, s21, v42
	v_mov_b32_e32 v61, 0x7f80
	s_and_saveexec_b64 s[16:17], vcc
	s_cbranch_execz .LBB939_549
; %bb.548:                              ;   in Loop: Header=BB939_215 Depth=1
	v_and_b32_e32 v61, 7, v44
	v_ffbh_u32_e32 v62, v61
	v_min_u32_e32 v65, 32, v62
	v_subrev_u32_e32 v62, 28, v65
	v_lshlrev_b64 v[62:63], v62, v[44:45]
	v_lshrrev_b32_e32 v64, 3, v42
	v_sub_u32_e32 v63, 29, v65
	v_and_b32_e32 v62, 7, v62
	v_cmp_gt_u32_e32 vcc, 8, v42
	v_cndmask_b32_e32 v42, v64, v63, vcc
	v_cndmask_b32_e32 v61, v61, v62, vcc
	v_lshlrev_b32_e32 v44, 24, v44
	v_lshlrev_b32_e32 v61, 20, v61
	v_and_b32_e32 v44, 0x80000000, v44
	v_lshl_add_u32 v42, v42, 23, v55
	v_or3_b32 v42, v44, v42, v61
	v_lshrrev_b32_e32 v61, 16, v42
.LBB939_549:                            ;   in Loop: Header=BB939_215 Depth=1
	s_or_b64 exec, exec, s[16:17]
.LBB939_550:                            ;   in Loop: Header=BB939_215 Depth=1
	s_or_b64 exec, exec, s[14:15]
.LBB939_551:                            ;   in Loop: Header=BB939_215 Depth=1
	s_or_b64 exec, exec, s[12:13]
	v_perm_b32 v63, v58, v56, s23
	v_perm_b32 v62, v50, v51, s23
	;; [unrolled: 1-line block ×4, first 2 shown]
	s_waitcnt vmcnt(1)
	v_cmp_ne_u16_sdwa s[14:15], v40, v54 src0_sel:BYTE_0 src1_sel:DWORD
	v_mfma_f32_16x16x16bf16_1k v[34:37], v[62:63], v[26:27], v[34:37]
	v_mfma_f32_16x16x16bf16_1k v[34:37], v[50:51], v[28:29], v[34:37]
	s_and_saveexec_b64 s[12:13], s[14:15]
	s_cbranch_execz .LBB939_557
; %bb.552:                              ;   in Loop: Header=BB939_215 Depth=1
	v_cmp_ne_u16_sdwa s[16:17], v40, s9 src0_sel:BYTE_0 src1_sel:DWORD
	v_mov_b32_e32 v46, 0xffff8000
	s_and_saveexec_b64 s[14:15], s[16:17]
	s_cbranch_execz .LBB939_556
; %bb.553:                              ;   in Loop: Header=BB939_215 Depth=1
	v_and_b32_e32 v42, 0x7f, v40
	v_cmp_ne_u32_e32 vcc, s21, v42
	v_mov_b32_e32 v46, 0x7f80
	s_and_saveexec_b64 s[16:17], vcc
	s_cbranch_execz .LBB939_555
; %bb.554:                              ;   in Loop: Header=BB939_215 Depth=1
	v_and_b32_e32 v44, 7, v40
	v_ffbh_u32_e32 v50, v44
	v_min_u32_e32 v56, 32, v50
	v_subrev_u32_e32 v50, 28, v56
	v_lshlrev_b64 v[50:51], v50, v[40:41]
	v_lshrrev_b32_e32 v46, 3, v42
	v_sub_u32_e32 v51, 29, v56
	v_and_b32_e32 v50, 7, v50
	v_cmp_gt_u32_e32 vcc, 8, v42
	v_cndmask_b32_e32 v42, v46, v51, vcc
	v_cndmask_b32_e32 v44, v44, v50, vcc
	v_lshlrev_b32_e32 v46, 24, v40
	v_lshlrev_b32_e32 v44, 20, v44
	v_and_b32_e32 v46, 0x80000000, v46
	v_lshl_add_u32 v42, v42, 23, v55
	v_or3_b32 v42, v46, v42, v44
	v_lshrrev_b32_e32 v46, 16, v42
.LBB939_555:                            ;   in Loop: Header=BB939_215 Depth=1
	s_or_b64 exec, exec, s[16:17]
.LBB939_556:                            ;   in Loop: Header=BB939_215 Depth=1
	s_or_b64 exec, exec, s[14:15]
.LBB939_557:                            ;   in Loop: Header=BB939_215 Depth=1
	s_or_b64 exec, exec, s[12:13]
	v_lshrrev_b16_e32 v42, 8, v40
	v_cmp_ne_u16_e32 vcc, 0, v42
	v_mov_b32_e32 v50, 0
	v_mov_b32_e32 v44, 0
	s_and_saveexec_b64 s[12:13], vcc
	s_cbranch_execz .LBB939_563
; %bb.558:                              ;   in Loop: Header=BB939_215 Depth=1
	v_cmp_ne_u16_e32 vcc, s9, v42
	v_mov_b32_e32 v44, 0xffff8000
	s_and_saveexec_b64 s[14:15], vcc
	s_cbranch_execz .LBB939_562
; %bb.559:                              ;   in Loop: Header=BB939_215 Depth=1
	v_and_b32_e32 v51, 0x7f, v42
	v_cmp_ne_u32_e32 vcc, s21, v51
	v_mov_b32_e32 v44, 0x7f80
	s_and_saveexec_b64 s[16:17], vcc
	s_cbranch_execz .LBB939_561
; %bb.560:                              ;   in Loop: Header=BB939_215 Depth=1
	v_and_b32_e32 v44, 7, v42
	v_ffbh_u32_e32 v56, v44
	v_min_u32_e32 v59, 32, v56
	v_subrev_u32_e32 v56, 28, v59
	v_lshlrev_b64 v[56:57], v56, v[42:43]
	v_lshrrev_b32_e32 v58, 3, v51
	v_sub_u32_e32 v42, 29, v59
	v_and_b32_e32 v56, 7, v56
	v_cmp_gt_u32_e32 vcc, 8, v51
	v_cndmask_b32_e32 v42, v58, v42, vcc
	v_cndmask_b32_e32 v44, v44, v56, vcc
	v_lshlrev_b32_e32 v51, 16, v40
	v_lshlrev_b32_e32 v44, 20, v44
	v_and_b32_e32 v51, 0x80000000, v51
	v_lshl_add_u32 v42, v42, 23, v55
	v_or3_b32 v42, v51, v42, v44
	v_lshrrev_b32_e32 v44, 16, v42
.LBB939_561:                            ;   in Loop: Header=BB939_215 Depth=1
	s_or_b64 exec, exec, s[16:17]
.LBB939_562:                            ;   in Loop: Header=BB939_215 Depth=1
	s_or_b64 exec, exec, s[14:15]
.LBB939_563:                            ;   in Loop: Header=BB939_215 Depth=1
	s_or_b64 exec, exec, s[12:13]
	v_lshrrev_b32_e32 v42, 16, v40
	v_cmp_ne_u16_sdwa s[14:15], v42, v54 src0_sel:BYTE_0 src1_sel:DWORD
	s_and_saveexec_b64 s[12:13], s[14:15]
	s_cbranch_execz .LBB939_569
; %bb.564:                              ;   in Loop: Header=BB939_215 Depth=1
	v_cmp_ne_u16_sdwa s[16:17], v42, s9 src0_sel:BYTE_0 src1_sel:DWORD
	v_mov_b32_e32 v50, 0xffff8000
	s_and_saveexec_b64 s[14:15], s[16:17]
	s_cbranch_execz .LBB939_568
; %bb.565:                              ;   in Loop: Header=BB939_215 Depth=1
	v_bfe_u32 v51, v40, 16, 7
	v_cmp_ne_u32_e32 vcc, s21, v51
	v_mov_b32_e32 v50, 0x7f80
	s_and_saveexec_b64 s[16:17], vcc
	s_cbranch_execz .LBB939_567
; %bb.566:                              ;   in Loop: Header=BB939_215 Depth=1
	v_and_b32_e32 v50, 7, v42
	v_ffbh_u32_e32 v56, v50
	v_min_u32_e32 v59, 32, v56
	v_subrev_u32_e32 v56, 28, v59
	v_lshlrev_b64 v[56:57], v56, v[42:43]
	v_lshrrev_b32_e32 v58, 3, v51
	v_sub_u32_e32 v57, 29, v59
	v_and_b32_e32 v56, 7, v56
	v_cmp_gt_u32_e32 vcc, 8, v51
	v_cndmask_b32_e32 v51, v58, v57, vcc
	v_cndmask_b32_e32 v50, v50, v56, vcc
	v_lshlrev_b32_e32 v42, 24, v42
	v_lshlrev_b32_e32 v50, 20, v50
	v_and_b32_e32 v42, 0x80000000, v42
	v_lshl_add_u32 v51, v51, 23, v55
	v_or3_b32 v42, v42, v51, v50
	v_lshrrev_b32_e32 v50, 16, v42
.LBB939_567:                            ;   in Loop: Header=BB939_215 Depth=1
	s_or_b64 exec, exec, s[16:17]
.LBB939_568:                            ;   in Loop: Header=BB939_215 Depth=1
	s_or_b64 exec, exec, s[14:15]
.LBB939_569:                            ;   in Loop: Header=BB939_215 Depth=1
	s_or_b64 exec, exec, s[12:13]
	v_cmp_lt_u32_e32 vcc, s22, v40
	v_mov_b32_e32 v51, 0
	v_mov_b32_e32 v56, 0
	s_and_saveexec_b64 s[12:13], vcc
	s_cbranch_execz .LBB939_575
; %bb.570:                              ;   in Loop: Header=BB939_215 Depth=1
	v_lshrrev_b32_e32 v42, 24, v40
	v_cmp_ne_u32_e32 vcc, s9, v42
	v_mov_b32_e32 v56, 0xffff8000
	s_and_saveexec_b64 s[14:15], vcc
	s_cbranch_execz .LBB939_574
; %bb.571:                              ;   in Loop: Header=BB939_215 Depth=1
	v_bfe_u32 v40, v40, 24, 7
	v_cmp_ne_u32_e32 vcc, s21, v40
	v_mov_b32_e32 v56, 0x7f80
	s_and_saveexec_b64 s[16:17], vcc
	s_cbranch_execz .LBB939_573
; %bb.572:                              ;   in Loop: Header=BB939_215 Depth=1
	v_and_b32_e32 v58, 7, v42
	v_ffbh_u32_e32 v56, v58
	v_min_u32_e32 v60, 32, v56
	v_subrev_u32_e32 v56, 28, v60
	v_lshlrev_b64 v[56:57], v56, v[42:43]
	v_lshrrev_b32_e32 v59, 3, v40
	v_sub_u32_e32 v57, 29, v60
	v_and_b32_e32 v56, 7, v56
	v_cmp_gt_u32_e32 vcc, 8, v40
	v_cndmask_b32_e32 v40, v59, v57, vcc
	v_cndmask_b32_e32 v56, v58, v56, vcc
	v_lshlrev_b32_e32 v42, 24, v42
	v_lshlrev_b32_e32 v56, 20, v56
	v_and_b32_e32 v42, 0x80000000, v42
	v_lshl_add_u32 v40, v40, 23, v55
	v_or3_b32 v40, v42, v40, v56
	v_lshrrev_b32_e32 v56, 16, v40
.LBB939_573:                            ;   in Loop: Header=BB939_215 Depth=1
	s_or_b64 exec, exec, s[16:17]
.LBB939_574:                            ;   in Loop: Header=BB939_215 Depth=1
	s_or_b64 exec, exec, s[14:15]
.LBB939_575:                            ;   in Loop: Header=BB939_215 Depth=1
	s_or_b64 exec, exec, s[12:13]
	s_waitcnt vmcnt(0)
	v_cmp_ne_u16_sdwa s[14:15], v38, v54 src0_sel:BYTE_0 src1_sel:DWORD
	s_and_saveexec_b64 s[12:13], s[14:15]
	s_cbranch_execz .LBB939_581
; %bb.576:                              ;   in Loop: Header=BB939_215 Depth=1
	v_cmp_ne_u16_sdwa s[16:17], v38, s9 src0_sel:BYTE_0 src1_sel:DWORD
	v_mov_b32_e32 v51, 0xffff8000
	s_and_saveexec_b64 s[14:15], s[16:17]
	s_cbranch_execz .LBB939_580
; %bb.577:                              ;   in Loop: Header=BB939_215 Depth=1
	v_and_b32_e32 v40, 0x7f, v38
	v_cmp_ne_u32_e32 vcc, s21, v40
	v_mov_b32_e32 v51, 0x7f80
	s_and_saveexec_b64 s[16:17], vcc
	s_cbranch_execz .LBB939_579
; %bb.578:                              ;   in Loop: Header=BB939_215 Depth=1
	v_and_b32_e32 v42, 7, v38
	v_ffbh_u32_e32 v57, v42
	v_min_u32_e32 v57, 32, v57
	v_subrev_u32_e32 v58, 28, v57
	v_lshlrev_b64 v[58:59], v58, v[38:39]
	v_lshrrev_b32_e32 v51, 3, v40
	v_sub_u32_e32 v57, 29, v57
	v_and_b32_e32 v58, 7, v58
	v_cmp_gt_u32_e32 vcc, 8, v40
	v_cndmask_b32_e32 v40, v51, v57, vcc
	v_cndmask_b32_e32 v42, v42, v58, vcc
	v_lshlrev_b32_e32 v51, 24, v38
	v_lshlrev_b32_e32 v42, 20, v42
	v_and_b32_e32 v51, 0x80000000, v51
	v_lshl_add_u32 v40, v40, 23, v55
	v_or3_b32 v40, v51, v40, v42
	v_lshrrev_b32_e32 v51, 16, v40
.LBB939_579:                            ;   in Loop: Header=BB939_215 Depth=1
	s_or_b64 exec, exec, s[16:17]
.LBB939_580:                            ;   in Loop: Header=BB939_215 Depth=1
	s_or_b64 exec, exec, s[14:15]
.LBB939_581:                            ;   in Loop: Header=BB939_215 Depth=1
	s_or_b64 exec, exec, s[12:13]
	v_lshrrev_b16_e32 v40, 8, v38
	v_cmp_ne_u16_e32 vcc, 0, v40
	v_mov_b32_e32 v57, 0
	v_mov_b32_e32 v42, 0
	s_and_saveexec_b64 s[12:13], vcc
	s_cbranch_execz .LBB939_587
; %bb.582:                              ;   in Loop: Header=BB939_215 Depth=1
	v_cmp_ne_u16_e32 vcc, s9, v40
	v_mov_b32_e32 v42, 0xffff8000
	s_and_saveexec_b64 s[14:15], vcc
	s_cbranch_execz .LBB939_586
; %bb.583:                              ;   in Loop: Header=BB939_215 Depth=1
	v_and_b32_e32 v58, 0x7f, v40
	v_cmp_ne_u32_e32 vcc, s21, v58
	v_mov_b32_e32 v42, 0x7f80
	s_and_saveexec_b64 s[16:17], vcc
	s_cbranch_execz .LBB939_585
; %bb.584:                              ;   in Loop: Header=BB939_215 Depth=1
	v_and_b32_e32 v42, 7, v40
	v_ffbh_u32_e32 v60, v42
	v_min_u32_e32 v62, 32, v60
	v_subrev_u32_e32 v60, 28, v62
	v_lshlrev_b64 v[60:61], v60, v[40:41]
	v_lshrrev_b32_e32 v59, 3, v58
	v_sub_u32_e32 v40, 29, v62
	v_and_b32_e32 v60, 7, v60
	v_cmp_gt_u32_e32 vcc, 8, v58
	v_cndmask_b32_e32 v40, v59, v40, vcc
	v_cndmask_b32_e32 v42, v42, v60, vcc
	v_lshlrev_b32_e32 v58, 16, v38
	v_lshlrev_b32_e32 v42, 20, v42
	v_and_b32_e32 v58, 0x80000000, v58
	v_lshl_add_u32 v40, v40, 23, v55
	v_or3_b32 v40, v58, v40, v42
	v_lshrrev_b32_e32 v42, 16, v40
.LBB939_585:                            ;   in Loop: Header=BB939_215 Depth=1
	s_or_b64 exec, exec, s[16:17]
.LBB939_586:                            ;   in Loop: Header=BB939_215 Depth=1
	s_or_b64 exec, exec, s[14:15]
.LBB939_587:                            ;   in Loop: Header=BB939_215 Depth=1
	s_or_b64 exec, exec, s[12:13]
	v_lshrrev_b32_e32 v40, 16, v38
	v_cmp_ne_u16_sdwa s[14:15], v40, v54 src0_sel:BYTE_0 src1_sel:DWORD
	s_and_saveexec_b64 s[12:13], s[14:15]
	s_cbranch_execz .LBB939_593
; %bb.588:                              ;   in Loop: Header=BB939_215 Depth=1
	v_cmp_ne_u16_sdwa s[16:17], v40, s9 src0_sel:BYTE_0 src1_sel:DWORD
	v_mov_b32_e32 v57, 0xffff8000
	s_and_saveexec_b64 s[14:15], s[16:17]
	s_cbranch_execz .LBB939_592
; %bb.589:                              ;   in Loop: Header=BB939_215 Depth=1
	v_bfe_u32 v58, v38, 16, 7
	v_cmp_ne_u32_e32 vcc, s21, v58
	v_mov_b32_e32 v57, 0x7f80
	s_and_saveexec_b64 s[16:17], vcc
	s_cbranch_execz .LBB939_591
; %bb.590:                              ;   in Loop: Header=BB939_215 Depth=1
	v_and_b32_e32 v57, 7, v40
	v_ffbh_u32_e32 v60, v57
	v_min_u32_e32 v62, 32, v60
	v_subrev_u32_e32 v60, 28, v62
	v_lshlrev_b64 v[60:61], v60, v[40:41]
	v_lshrrev_b32_e32 v59, 3, v58
	v_sub_u32_e32 v61, 29, v62
	v_and_b32_e32 v60, 7, v60
	v_cmp_gt_u32_e32 vcc, 8, v58
	v_cndmask_b32_e32 v58, v59, v61, vcc
	v_cndmask_b32_e32 v57, v57, v60, vcc
	v_lshlrev_b32_e32 v40, 24, v40
	v_lshlrev_b32_e32 v57, 20, v57
	v_and_b32_e32 v40, 0x80000000, v40
	v_lshl_add_u32 v58, v58, 23, v55
	v_or3_b32 v40, v40, v58, v57
	v_lshrrev_b32_e32 v57, 16, v40
.LBB939_591:                            ;   in Loop: Header=BB939_215 Depth=1
	s_or_b64 exec, exec, s[16:17]
.LBB939_592:                            ;   in Loop: Header=BB939_215 Depth=1
	s_or_b64 exec, exec, s[14:15]
.LBB939_593:                            ;   in Loop: Header=BB939_215 Depth=1
	s_or_b64 exec, exec, s[12:13]
	v_cmp_lt_u32_e32 vcc, s22, v38
	v_mov_b32_e32 v58, 0
	s_and_saveexec_b64 s[12:13], vcc
	s_cbranch_execz .LBB939_214
; %bb.594:                              ;   in Loop: Header=BB939_215 Depth=1
	v_lshrrev_b32_e32 v40, 24, v38
	v_cmp_ne_u32_e32 vcc, s9, v40
	v_mov_b32_e32 v58, 0xffff8000
	s_and_saveexec_b64 s[14:15], vcc
	s_cbranch_execz .LBB939_213
; %bb.595:                              ;   in Loop: Header=BB939_215 Depth=1
	v_bfe_u32 v38, v38, 24, 7
	v_cmp_ne_u32_e32 vcc, s21, v38
	v_mov_b32_e32 v58, 0x7f80
	s_and_saveexec_b64 s[16:17], vcc
	s_cbranch_execz .LBB939_212
; %bb.596:                              ;   in Loop: Header=BB939_215 Depth=1
	v_and_b32_e32 v60, 7, v40
	v_ffbh_u32_e32 v58, v60
	v_min_u32_e32 v62, 32, v58
	v_subrev_u32_e32 v58, 28, v62
	v_lshlrev_b64 v[58:59], v58, v[40:41]
	v_lshrrev_b32_e32 v61, 3, v38
	v_sub_u32_e32 v59, 29, v62
	v_and_b32_e32 v58, 7, v58
	v_cmp_gt_u32_e32 vcc, 8, v38
	v_cndmask_b32_e32 v38, v61, v59, vcc
	v_cndmask_b32_e32 v58, v60, v58, vcc
	v_lshlrev_b32_e32 v40, 24, v40
	v_lshlrev_b32_e32 v58, 20, v58
	v_and_b32_e32 v40, 0x80000000, v40
	v_lshl_add_u32 v38, v38, 23, v55
	v_or3_b32 v38, v40, v38, v58
	v_lshrrev_b32_e32 v58, 16, v38
	s_branch .LBB939_212
.LBB939_597:
	s_barrier
	buffer_load_dword v2, off, s[0:3], 0 offset:320
	buffer_load_dword v5, off, s[0:3], 0 offset:332
	;; [unrolled: 1-line block ×4, first 2 shown]
	v_cmp_gt_u32_e32 vcc, 64, v0
	s_waitcnt vmcnt(0)
	ds_write2st64_b64 v52, v[2:3], v[4:5] offset1:1
	s_waitcnt lgkmcnt(0)
	s_barrier
	s_and_saveexec_b64 s[4:5], vcc
	s_cbranch_execz .LBB939_600
; %bb.598:
	s_lshl_b32 s4, s48, 7
	s_mul_i32 s5, s18, s8
	s_mul_hi_u32 s9, s5, s4
	s_mul_i32 s8, s5, s4
	s_lshl_b64 s[8:9], s[8:9], 1
	v_lshlrev_b32_e32 v4, 6, v41
	s_add_u32 s5, s50, s8
	v_lshl_or_b32 v0, v0, 10, v4
	s_mov_b32 s7, 0
	s_addc_u32 s8, s51, s9
	s_lshl_b32 s6, s26, 7
	v_lshlrev_b32_e32 v2, 5, v1
	v_and_b32_e32 v3, 16, v43
	v_and_b32_e32 v0, 0x1a00, v0
	s_lshl_b64 s[6:7], s[6:7], 1
	v_or3_b32 v0, v0, v2, v3
	s_add_u32 s5, s5, s6
	ds_read_b128 v[6:9], v0 offset:256
	v_or_b32_e32 v2, 12, v1
	s_addc_u32 s6, s8, s7
	ds_read_b128 v[10:13], v0 offset:128
	ds_read_b128 v[14:17], v0
	v_add_u32_e32 v1, s27, v1
	v_mov_b32_e32 v4, s6
	v_add_co_u32_e32 v3, vcc, s5, v39
	v_mad_u64_u32 v[18:19], s[6:7], v1, s4, 0
	v_addc_co_u32_e32 v4, vcc, 0, v4, vcc
	v_lshlrev_b64 v[18:19], 1, v[18:19]
	v_add_co_u32_e32 v18, vcc, v3, v18
	v_addc_co_u32_e32 v19, vcc, v4, v19, vcc
	v_add_u32_e32 v5, 4, v1
	s_waitcnt lgkmcnt(0)
	global_store_dwordx4 v[18:19], v[14:17], off
	v_add_u32_e32 v1, 8, v1
	v_mad_u64_u32 v[14:15], s[6:7], v5, s4, 0
	v_lshlrev_b64 v[14:15], 1, v[14:15]
	v_add_co_u32_e32 v14, vcc, v3, v14
	v_addc_co_u32_e32 v15, vcc, v4, v15, vcc
	global_store_dwordx4 v[14:15], v[10:13], off
	s_nop 0
	v_mad_u64_u32 v[10:11], s[6:7], v1, s4, 0
	v_lshlrev_b64 v[10:11], 1, v[10:11]
	v_add_co_u32_e32 v10, vcc, v3, v10
	v_addc_co_u32_e32 v11, vcc, v4, v11, vcc
	v_cmp_gt_u32_e32 vcc, 14, v2
	global_store_dwordx4 v[10:11], v[6:9], off
	s_and_b64 exec, exec, vcc
	s_cbranch_execz .LBB939_600
; %bb.599:
	ds_read_b128 v[6:9], v0 offset:384
	v_add_u32_e32 v0, s27, v2
	v_mad_u64_u32 v[0:1], s[4:5], v0, s4, 0
	v_lshlrev_b64 v[0:1], 1, v[0:1]
	v_add_co_u32_e32 v0, vcc, v3, v0
	v_addc_co_u32_e32 v1, vcc, v4, v1, vcc
	s_waitcnt lgkmcnt(0)
	global_store_dwordx4 v[0:1], v[6:9], off
.LBB939_600:
	s_endpgm
	.section	.rodata,"a",@progbits
	.p2align	6, 0x0
	.amdhsa_kernel _Z39paged_attention_ll4mi_QKV_mfma16_kernelI14__hip_bfloat16hLN4vllm18Fp8KVCacheDataTypeE1ES0_Li32ELi128ELi256ELb1ELi14EL8MFMAType0EEvPKT_PKT0_S9_ifPKiSB_SB_iPKfiiiPfSE_PS4_PT2_iSD_SD_
		.amdhsa_group_segment_fixed_size 8192
		.amdhsa_private_segment_fixed_size 352
		.amdhsa_kernarg_size 400
		.amdhsa_user_sgpr_count 8
		.amdhsa_user_sgpr_private_segment_buffer 1
		.amdhsa_user_sgpr_dispatch_ptr 0
		.amdhsa_user_sgpr_queue_ptr 0
		.amdhsa_user_sgpr_kernarg_segment_ptr 1
		.amdhsa_user_sgpr_dispatch_id 0
		.amdhsa_user_sgpr_flat_scratch_init 1
		.amdhsa_user_sgpr_kernarg_preload_length 0
		.amdhsa_user_sgpr_kernarg_preload_offset 0
		.amdhsa_user_sgpr_private_segment_size 0
		.amdhsa_uses_dynamic_stack 0
		.amdhsa_system_sgpr_private_segment_wavefront_offset 1
		.amdhsa_system_sgpr_workgroup_id_x 1
		.amdhsa_system_sgpr_workgroup_id_y 1
		.amdhsa_system_sgpr_workgroup_id_z 1
		.amdhsa_system_sgpr_workgroup_info 0
		.amdhsa_system_vgpr_workitem_id 0
		.amdhsa_next_free_vgpr 80
		.amdhsa_next_free_sgpr 53
		.amdhsa_accum_offset 80
		.amdhsa_reserve_vcc 1
		.amdhsa_reserve_flat_scratch 0
		.amdhsa_float_round_mode_32 0
		.amdhsa_float_round_mode_16_64 0
		.amdhsa_float_denorm_mode_32 3
		.amdhsa_float_denorm_mode_16_64 3
		.amdhsa_dx10_clamp 1
		.amdhsa_ieee_mode 1
		.amdhsa_fp16_overflow 0
		.amdhsa_tg_split 0
		.amdhsa_exception_fp_ieee_invalid_op 0
		.amdhsa_exception_fp_denorm_src 0
		.amdhsa_exception_fp_ieee_div_zero 0
		.amdhsa_exception_fp_ieee_overflow 0
		.amdhsa_exception_fp_ieee_underflow 0
		.amdhsa_exception_fp_ieee_inexact 0
		.amdhsa_exception_int_div_zero 0
	.end_amdhsa_kernel
	.section	.text._Z39paged_attention_ll4mi_QKV_mfma16_kernelI14__hip_bfloat16hLN4vllm18Fp8KVCacheDataTypeE1ES0_Li32ELi128ELi256ELb1ELi14EL8MFMAType0EEvPKT_PKT0_S9_ifPKiSB_SB_iPKfiiiPfSE_PS4_PT2_iSD_SD_,"axG",@progbits,_Z39paged_attention_ll4mi_QKV_mfma16_kernelI14__hip_bfloat16hLN4vllm18Fp8KVCacheDataTypeE1ES0_Li32ELi128ELi256ELb1ELi14EL8MFMAType0EEvPKT_PKT0_S9_ifPKiSB_SB_iPKfiiiPfSE_PS4_PT2_iSD_SD_,comdat
.Lfunc_end939:
	.size	_Z39paged_attention_ll4mi_QKV_mfma16_kernelI14__hip_bfloat16hLN4vllm18Fp8KVCacheDataTypeE1ES0_Li32ELi128ELi256ELb1ELi14EL8MFMAType0EEvPKT_PKT0_S9_ifPKiSB_SB_iPKfiiiPfSE_PS4_PT2_iSD_SD_, .Lfunc_end939-_Z39paged_attention_ll4mi_QKV_mfma16_kernelI14__hip_bfloat16hLN4vllm18Fp8KVCacheDataTypeE1ES0_Li32ELi128ELi256ELb1ELi14EL8MFMAType0EEvPKT_PKT0_S9_ifPKiSB_SB_iPKfiiiPfSE_PS4_PT2_iSD_SD_
                                        ; -- End function
	.section	.AMDGPU.csdata,"",@progbits
; Kernel info:
; codeLenInByte = 22608
; NumSgprs: 57
; NumVgprs: 80
; NumAgprs: 0
; TotalNumVgprs: 80
; ScratchSize: 352
; MemoryBound: 0
; FloatMode: 240
; IeeeMode: 1
; LDSByteSize: 8192 bytes/workgroup (compile time only)
; SGPRBlocks: 7
; VGPRBlocks: 9
; NumSGPRsForWavesPerEU: 57
; NumVGPRsForWavesPerEU: 80
; AccumOffset: 80
; Occupancy: 6
; WaveLimiterHint : 1
; COMPUTE_PGM_RSRC2:SCRATCH_EN: 1
; COMPUTE_PGM_RSRC2:USER_SGPR: 8
; COMPUTE_PGM_RSRC2:TRAP_HANDLER: 0
; COMPUTE_PGM_RSRC2:TGID_X_EN: 1
; COMPUTE_PGM_RSRC2:TGID_Y_EN: 1
; COMPUTE_PGM_RSRC2:TGID_Z_EN: 1
; COMPUTE_PGM_RSRC2:TIDIG_COMP_CNT: 0
; COMPUTE_PGM_RSRC3_GFX90A:ACCUM_OFFSET: 19
; COMPUTE_PGM_RSRC3_GFX90A:TG_SPLIT: 0
	.section	.text._Z39paged_attention_ll4mi_QKV_mfma16_kernelI14__hip_bfloat16hLN4vllm18Fp8KVCacheDataTypeE1ES0_Li32ELi128ELi256ELb1ELi15EL8MFMAType0EEvPKT_PKT0_S9_ifPKiSB_SB_iPKfiiiPfSE_PS4_PT2_iSD_SD_,"axG",@progbits,_Z39paged_attention_ll4mi_QKV_mfma16_kernelI14__hip_bfloat16hLN4vllm18Fp8KVCacheDataTypeE1ES0_Li32ELi128ELi256ELb1ELi15EL8MFMAType0EEvPKT_PKT0_S9_ifPKiSB_SB_iPKfiiiPfSE_PS4_PT2_iSD_SD_,comdat
	.protected	_Z39paged_attention_ll4mi_QKV_mfma16_kernelI14__hip_bfloat16hLN4vllm18Fp8KVCacheDataTypeE1ES0_Li32ELi128ELi256ELb1ELi15EL8MFMAType0EEvPKT_PKT0_S9_ifPKiSB_SB_iPKfiiiPfSE_PS4_PT2_iSD_SD_ ; -- Begin function _Z39paged_attention_ll4mi_QKV_mfma16_kernelI14__hip_bfloat16hLN4vllm18Fp8KVCacheDataTypeE1ES0_Li32ELi128ELi256ELb1ELi15EL8MFMAType0EEvPKT_PKT0_S9_ifPKiSB_SB_iPKfiiiPfSE_PS4_PT2_iSD_SD_
	.globl	_Z39paged_attention_ll4mi_QKV_mfma16_kernelI14__hip_bfloat16hLN4vllm18Fp8KVCacheDataTypeE1ES0_Li32ELi128ELi256ELb1ELi15EL8MFMAType0EEvPKT_PKT0_S9_ifPKiSB_SB_iPKfiiiPfSE_PS4_PT2_iSD_SD_
	.p2align	8
	.type	_Z39paged_attention_ll4mi_QKV_mfma16_kernelI14__hip_bfloat16hLN4vllm18Fp8KVCacheDataTypeE1ES0_Li32ELi128ELi256ELb1ELi15EL8MFMAType0EEvPKT_PKT0_S9_ifPKiSB_SB_iPKfiiiPfSE_PS4_PT2_iSD_SD_,@function
_Z39paged_attention_ll4mi_QKV_mfma16_kernelI14__hip_bfloat16hLN4vllm18Fp8KVCacheDataTypeE1ES0_Li32ELi128ELi256ELb1ELi15EL8MFMAType0EEvPKT_PKT0_S9_ifPKiSB_SB_iPKfiiiPfSE_PS4_PT2_iSD_SD_: ; @_Z39paged_attention_ll4mi_QKV_mfma16_kernelI14__hip_bfloat16hLN4vllm18Fp8KVCacheDataTypeE1ES0_Li32ELi128ELi256ELb1ELi15EL8MFMAType0EEvPKT_PKT0_S9_ifPKiSB_SB_iPKfiiiPfSE_PS4_PT2_iSD_SD_
; %bb.0:
	s_load_dwordx2 s[6:7], s[4:5], 0x30
	s_add_u32 s0, s0, s11
	s_addc_u32 s1, s1, 0
	s_mov_b32 s26, s9
	s_mov_b64 s[14:15], 0
	s_waitcnt lgkmcnt(0)
	s_cmp_lg_u64 s[6:7], 0
	s_cselect_b64 s[12:13], -1, 0
	s_and_b64 vcc, exec, s[12:13]
	s_cbranch_vccz .LBB940_7
; %bb.1:
	s_add_i32 s16, s8, 1
	s_mov_b32 s17, 0
	s_lshl_b64 s[18:19], s[16:17], 2
	s_add_u32 s18, s6, s18
	s_mov_b32 s9, s17
	s_addc_u32 s19, s7, s19
	s_lshl_b64 s[16:17], s[8:9], 2
	s_add_u32 s16, s6, s16
	s_addc_u32 s17, s7, s17
	s_load_dword s11, s[18:19], 0x0
	s_load_dword s20, s[16:17], 0x0
	s_waitcnt lgkmcnt(0)
	s_sub_i32 s11, s11, s20
	s_cmp_eq_u32 s11, 1
	s_cselect_b64 s[16:17], -1, 0
	s_andn2_b64 vcc, exec, s[14:15]
	s_cbranch_vccnz .LBB940_3
.LBB940_2:
	s_mov_b32 s9, 0
	s_mov_b64 s[16:17], -1
.LBB940_3:
	s_andn2_b64 vcc, exec, s[16:17]
	s_cbranch_vccnz .LBB940_600
; %bb.4:
	s_load_dwordx2 s[16:17], s[4:5], 0x28
	s_lshl_b64 s[14:15], s[8:9], 2
	s_waitcnt lgkmcnt(0)
	s_add_u32 s16, s16, s14
	s_addc_u32 s17, s17, s15
	s_load_dword s33, s[16:17], 0x0
	s_lshl_b32 s20, s26, 8
	s_waitcnt lgkmcnt(0)
	s_cmp_ge_i32 s20, s33
	s_cbranch_scc1 .LBB940_600
; %bb.5:
	s_add_i32 s18, s33, 31
	s_load_dwordx2 s[16:17], s[4:5], 0x20
	s_load_dword s11, s[4:5], 0x38
	s_ashr_i32 s19, s18, 31
	v_and_b32_e32 v1, 0xcf, v0
	s_lshr_b32 s19, s19, 27
	v_add_u32_e32 v1, s20, v1
	s_add_i32 s18, s18, s19
	v_ashrrev_i32_e32 v2, 31, v1
	s_ashr_i32 s23, s18, 5
	v_lshrrev_b32_e32 v4, 27, v2
	s_add_i32 s23, s23, -1
	v_add_u32_e32 v2, v1, v4
	s_waitcnt lgkmcnt(0)
	s_mul_i32 s18, s8, s11
	s_mov_b32 s19, 0
	v_ashrrev_i32_e32 v2, 5, v2
	v_mov_b32_e32 v5, s23
	v_cmp_gt_i32_e32 vcc, s33, v1
	s_lshl_b64 s[18:19], s[18:19], 2
	v_cndmask_b32_e32 v2, v5, v2, vcc
	s_add_u32 s21, s16, s18
	v_ashrrev_i32_e32 v3, 31, v2
	s_addc_u32 s22, s17, s19
	v_lshlrev_b64 v[2:3], 2, v[2:3]
	v_mov_b32_e32 v7, s22
	v_add_co_u32_e32 v6, vcc, s21, v2
	v_or_b32_e32 v2, 16, v1
	v_addc_co_u32_e32 v7, vcc, v7, v3, vcc
	v_add_u32_e32 v3, v2, v4
	v_ashrrev_i32_e32 v3, 5, v3
	v_cmp_gt_i32_e32 vcc, s33, v2
	v_cndmask_b32_e32 v2, v5, v3, vcc
	v_ashrrev_i32_e32 v3, 31, v2
	v_lshlrev_b64 v[2:3], 2, v[2:3]
	v_mov_b32_e32 v9, s22
	v_add_co_u32_e32 v8, vcc, s21, v2
	v_or_b32_e32 v2, 32, v1
	v_addc_co_u32_e32 v9, vcc, v9, v3, vcc
	v_add_u32_e32 v3, v2, v4
	v_ashrrev_i32_e32 v3, 5, v3
	v_cmp_gt_i32_e32 vcc, s33, v2
	v_cndmask_b32_e32 v2, v5, v3, vcc
	v_ashrrev_i32_e32 v3, 31, v2
	;; [unrolled: 10-line block ×3, first 2 shown]
	v_lshlrev_b64 v[2:3], 2, v[2:3]
	v_mov_b32_e32 v1, s22
	v_add_co_u32_e32 v12, vcc, s21, v2
	v_addc_co_u32_e32 v13, vcc, v1, v3, vcc
	global_load_dword v5, v[6:7], off
	global_load_dword v4, v[8:9], off
	;; [unrolled: 1-line block ×4, first 2 shown]
	s_load_dwordx2 s[16:17], s[4:5], 0x8
	s_andn2_b64 vcc, exec, s[12:13]
	s_cbranch_vccnz .LBB940_8
; %bb.6:
	s_add_u32 s6, s6, s14
	s_addc_u32 s7, s7, s15
	s_load_dword s11, s[6:7], 0x0
	s_branch .LBB940_9
.LBB940_7:
	s_mov_b64 s[16:17], 0
	s_branch .LBB940_2
.LBB940_8:
	s_mov_b32 s11, s8
.LBB940_9:
	s_load_dwordx2 s[6:7], s[4:5], 0x10
	s_load_dwordx4 s[12:15], s[4:5], 0x48
	v_lshrrev_b32_e32 v27, 6, v0
	v_bfe_u32 v1, v0, 4, 2
	v_and_b32_e32 v41, 15, v0
	v_lshl_or_b32 v6, v27, 2, v1
	v_lshlrev_b32_e32 v7, 3, v41
	s_mul_i32 s27, s10, 15
	v_cmp_gt_u32_e32 vcc, 15, v6
	v_lshlrev_b32_e32 v39, 1, v7
	v_lshlrev_b32_e32 v43, 4, v0
	s_and_saveexec_b64 s[18:19], vcc
	s_cbranch_execz .LBB940_11
; %bb.10:
	s_load_dwordx2 s[24:25], s[4:5], 0x0
	s_waitcnt lgkmcnt(0)
	s_ashr_i32 s15, s12, 31
	s_mul_hi_u32 s28, s11, s12
	s_mul_i32 s15, s11, s15
	s_add_i32 s29, s28, s15
	s_mul_i32 s28, s11, s12
	s_lshl_b64 s[28:29], s[28:29], 1
	v_add_lshl_u32 v8, v6, s27, 7
	s_add_u32 s11, s24, s28
	v_ashrrev_i32_e32 v9, 31, v8
	s_addc_u32 s12, s25, s29
	v_lshlrev_b64 v[8:9], 1, v[8:9]
	v_mov_b32_e32 v7, s12
	v_add_co_u32_e32 v8, vcc, s11, v8
	v_addc_co_u32_e32 v7, vcc, v7, v9, vcc
	v_add_co_u32_e32 v8, vcc, v8, v39
	v_addc_co_u32_e32 v9, vcc, 0, v7, vcc
	global_load_dwordx4 v[8:11], v[8:9], off
	v_lshlrev_b32_e32 v12, 8, v0
	v_lshlrev_b32_e32 v7, 8, v41
	v_and_b32_e32 v12, 0x600, v12
	s_movk_i32 s11, 0x800
	v_and_or_b32 v7, v7, s11, v12
	v_lshlrev_b32_e32 v6, 5, v6
	v_and_b32_e32 v12, 16, v43
	v_or3_b32 v6, v7, v6, v12
	s_waitcnt vmcnt(0)
	ds_write_b128 v6, v[8:11]
.LBB940_11:
	s_or_b64 exec, exec, s[18:19]
	s_waitcnt lgkmcnt(0)
	s_mul_i32 s14, s10, s14
	s_add_u32 s10, s16, s14
	s_addc_u32 s11, s17, 0
	v_pk_mov_b32 v[6:7], s[10:11], s[10:11] op_sel:[0,1]
	s_waitcnt vmcnt(3)
	v_mad_i64_i32 v[8:9], s[10:11], v5, s13, v[6:7]
	v_lshlrev_b32_e32 v11, 4, v41
	v_and_b32_e32 v18, 48, v0
	v_add_co_u32_e32 v5, vcc, v8, v11
	v_lshlrev_b32_e32 v10, 5, v18
	v_addc_co_u32_e32 v9, vcc, 0, v9, vcc
	v_add_co_u32_e32 v8, vcc, v5, v10
	v_addc_co_u32_e32 v9, vcc, 0, v9, vcc
	s_load_dwordx2 s[48:49], s[4:5], 0x94
	s_waitcnt lgkmcnt(0)
	s_barrier
	global_load_dwordx4 v[20:23], v[8:9], off
	global_load_dwordx4 v[28:31], v[8:9], off offset:2048
	s_waitcnt vmcnt(4)
	v_mad_i64_i32 v[4:5], s[10:11], v4, s13, v[6:7]
	v_or_b32_e32 v8, 0x100, v11
	v_add_co_u32_e32 v4, vcc, v4, v8
	v_addc_co_u32_e32 v5, vcc, 0, v5, vcc
	v_add_co_u32_e32 v4, vcc, v4, v10
	v_addc_co_u32_e32 v5, vcc, 0, v5, vcc
	global_load_dwordx4 v[32:35], v[4:5], off
	global_load_dwordx4 v[44:47], v[4:5], off offset:2048
	s_waitcnt vmcnt(5)
	v_mad_i64_i32 v[4:5], s[10:11], v3, s13, v[6:7]
	v_add_co_u32_e32 v3, vcc, v4, v11
	v_addc_co_u32_e32 v5, vcc, 0, v5, vcc
	v_add_co_u32_e32 v4, vcc, v3, v10
	v_addc_co_u32_e32 v5, vcc, 0, v5, vcc
	s_waitcnt vmcnt(4)
	v_mad_i64_i32 v[2:3], s[10:11], v2, s13, v[6:7]
	v_add_co_u32_e32 v2, vcc, v2, v8
	v_addc_co_u32_e32 v3, vcc, 0, v3, vcc
	v_add_co_u32_e32 v2, vcc, v2, v10
	v_addc_co_u32_e32 v3, vcc, 0, v3, vcc
	global_load_dwordx4 v[48:51], v[4:5], off
	global_load_dwordx4 v[52:55], v[4:5], off offset:2048
	global_load_dwordx4 v[56:59], v[2:3], off
	global_load_dwordx4 v[60:63], v[2:3], off offset:2048
	v_cmp_ne_u32_e32 vcc, 15, v41
	v_cndmask_b32_e32 v2, 0, v41, vcc
	v_lshlrev_b32_e32 v2, 5, v2
	v_lshl_or_b32 v14, v1, 9, v2
	s_load_dwordx2 s[50:51], s[4:5], 0x68
	s_load_dwordx4 s[44:47], s[4:5], 0x58
	ds_read_b128 v[2:5], v14
	ds_read_b128 v[6:9], v14 offset:16
	ds_read_b128 v[10:13], v14 offset:2048
	ds_read_b128 v[14:17], v14 offset:2064
	s_mov_b32 s12, 0
	s_waitcnt vmcnt(7)
	buffer_store_dword v23, off, s[0:3], 0 offset:12
	buffer_store_dword v22, off, s[0:3], 0 offset:8
	;; [unrolled: 1-line block ×3, first 2 shown]
	buffer_store_dword v20, off, s[0:3], 0
	s_waitcnt vmcnt(10)
	buffer_store_dword v31, off, s[0:3], 0 offset:28
	buffer_store_dword v30, off, s[0:3], 0 offset:24
	buffer_store_dword v29, off, s[0:3], 0 offset:20
	buffer_store_dword v28, off, s[0:3], 0 offset:16
	s_waitcnt vmcnt(13)
	buffer_store_dword v35, off, s[0:3], 0 offset:44
	buffer_store_dword v34, off, s[0:3], 0 offset:40
	buffer_store_dword v33, off, s[0:3], 0 offset:36
	buffer_store_dword v32, off, s[0:3], 0 offset:32
	;; [unrolled: 5-line block ×7, first 2 shown]
	v_mov_b32_e32 v35, 0
	v_mov_b32_e32 v31, 0
	s_and_saveexec_b64 s[10:11], vcc
	s_cbranch_execz .LBB940_13
; %bb.12:
	s_load_dwordx2 s[16:17], s[4:5], 0x40
	v_add_u32_e32 v20, s27, v41
	v_ashrrev_i32_e32 v21, 31, v20
	v_lshlrev_b64 v[20:21], 2, v[20:21]
	s_waitcnt lgkmcnt(0)
	v_mov_b32_e32 v19, s17
	v_add_co_u32_e32 v20, vcc, s16, v20
	v_addc_co_u32_e32 v21, vcc, v19, v21, vcc
	global_load_dword v31, v[20:21], off
.LBB940_13:
	s_or_b64 exec, exec, s[10:11]
	s_ashr_i32 s10, s20, 31
	v_or_b32_e32 v24, s20, v18
	s_lshr_b32 s10, s10, 27
	v_add_u32_e32 v18, s10, v24
	v_ashrrev_i32_e32 v18, 5, v18
	v_mov_b32_e32 v25, s23
	v_cmp_gt_i32_e32 vcc, s33, v24
	v_cndmask_b32_e32 v18, v25, v18, vcc
	v_ashrrev_i32_e32 v19, 31, v18
	v_lshlrev_b64 v[18:19], 2, v[18:19]
	v_mov_b32_e32 v20, s22
	v_add_co_u32_e32 v18, vcc, s21, v18
	v_addc_co_u32_e32 v19, vcc, v20, v19, vcc
	v_or_b32_e32 v20, 64, v24
	v_add_u32_e32 v21, s10, v20
	v_ashrrev_i32_e32 v21, 5, v21
	v_cmp_gt_i32_e32 vcc, s33, v20
	v_cndmask_b32_e32 v20, v25, v21, vcc
	v_ashrrev_i32_e32 v21, 31, v20
	v_lshlrev_b64 v[20:21], 2, v[20:21]
	v_mov_b32_e32 v22, s22
	v_add_co_u32_e32 v20, vcc, s21, v20
	v_addc_co_u32_e32 v21, vcc, v22, v21, vcc
	v_or_b32_e32 v22, 0x80, v24
	v_add_u32_e32 v23, s10, v22
	v_ashrrev_i32_e32 v23, 5, v23
	v_cmp_gt_i32_e32 vcc, s33, v22
	v_cndmask_b32_e32 v22, v25, v23, vcc
	v_ashrrev_i32_e32 v23, 31, v22
	v_lshlrev_b64 v[22:23], 2, v[22:23]
	v_mov_b32_e32 v26, s22
	v_add_co_u32_e32 v22, vcc, s21, v22
	v_addc_co_u32_e32 v23, vcc, v26, v23, vcc
	global_load_dword v26, v[18:19], off
	global_load_dword v28, v[20:21], off
	;; [unrolled: 1-line block ×3, first 2 shown]
	v_or_b32_e32 v18, 0xc0, v24
	v_add_u32_e32 v19, s10, v18
	v_ashrrev_i32_e32 v19, 5, v19
	v_cmp_gt_i32_e32 vcc, s33, v18
	v_cndmask_b32_e32 v18, v25, v19, vcc
	v_ashrrev_i32_e32 v19, 31, v18
	v_lshlrev_b64 v[18:19], 2, v[18:19]
	v_mov_b32_e32 v20, s22
	v_add_co_u32_e32 v18, vcc, s21, v18
	v_addc_co_u32_e32 v19, vcc, v20, v19, vcc
	global_load_dword v32, v[18:19], off
	s_add_u32 s6, s6, s14
	v_and_b32_e32 v18, 16, v0
	s_addc_u32 s7, s7, 0
	v_lshl_or_b32 v29, v27, 4, v41
	v_mov_b32_e32 v20, s7
	v_add_co_u32_e32 v34, vcc, s6, v18
	v_lshlrev_b32_e32 v19, 5, v29
	v_addc_co_u32_e32 v36, vcc, 0, v20, vcc
	v_add_co_u32_e32 v22, vcc, v34, v19
	v_addc_co_u32_e32 v23, vcc, 0, v36, vcc
	v_or_b32_e32 v33, 0x800, v19
	s_movk_i32 s14, 0x7f
	s_mov_b32 s15, 0xffffff
	s_mov_b32 s16, 0x5040100
	v_mov_b32_e32 v37, 0x100
	v_bfrev_b32_e32 v38, 60
	s_waitcnt vmcnt(3)
	v_mad_i64_i32 v[18:19], s[6:7], v26, s13, v[22:23]
	s_waitcnt vmcnt(2)
	v_mad_i64_i32 v[24:25], s[6:7], v28, s13, v[22:23]
	global_load_dwordx4 v[18:21], v[18:19], off
	s_nop 0
	global_load_dwordx4 v[52:55], v[24:25], off
	s_waitcnt vmcnt(3)
	v_mad_i64_i32 v[24:25], s[6:7], v30, s13, v[22:23]
	s_waitcnt vmcnt(2)
	v_mad_i64_i32 v[22:23], s[6:7], v32, s13, v[22:23]
	global_load_dwordx4 v[56:59], v[24:25], off
	global_load_dwordx4 v[60:63], v[22:23], off
	v_add_co_u32_e32 v22, vcc, v34, v33
	v_addc_co_u32_e32 v23, vcc, 0, v36, vcc
	v_mad_i64_i32 v[24:25], s[6:7], v26, s13, v[22:23]
	global_load_dwordx4 v[64:67], v[24:25], off
	v_mad_i64_i32 v[24:25], s[6:7], v28, s13, v[22:23]
	global_load_dwordx4 v[68:71], v[24:25], off
	;; [unrolled: 2-line block ×4, first 2 shown]
	s_load_dword s6, s[4:5], 0x1c
	s_load_dwordx4 s[40:43], s[4:5], 0x80
	v_mov_b32_e32 v22, 0x80
	v_add_u32_e32 v45, 16, v22
	v_add_u32_e32 v46, 32, v22
	;; [unrolled: 1-line block ×3, first 2 shown]
	s_waitcnt lgkmcnt(0)
	s_load_dword s4, s[40:41], 0x0
	v_add_u32_e32 v51, 64, v22
	v_add_u32_e32 v48, 0x50, v22
	;; [unrolled: 1-line block ×4, first 2 shown]
	v_mov_b32_e32 v22, s6
	s_waitcnt lgkmcnt(0)
	v_mul_f32_e32 v22, s4, v22
	v_and_b32_e32 v33, 63, v0
	s_movk_i32 s13, 0x80
	v_mov_b32_e32 v36, 0
	v_mov_b32_e32 v24, v22
	;; [unrolled: 1-line block ×3, first 2 shown]
	s_waitcnt vmcnt(7)
	buffer_store_dword v21, off, s[0:3], 0 offset:140
	buffer_store_dword v20, off, s[0:3], 0 offset:136
	buffer_store_dword v19, off, s[0:3], 0 offset:132
	buffer_store_dword v18, off, s[0:3], 0 offset:128
	s_waitcnt vmcnt(10)
	buffer_store_dword v55, off, s[0:3], 0 offset:172
	buffer_store_dword v54, off, s[0:3], 0 offset:168
	buffer_store_dword v53, off, s[0:3], 0 offset:164
	buffer_store_dword v52, off, s[0:3], 0 offset:160
	;; [unrolled: 5-line block ×8, first 2 shown]
	s_branch .LBB940_17
.LBB940_14:                             ;   in Loop: Header=BB940_17 Depth=1
	s_or_b64 exec, exec, s[10:11]
.LBB940_15:                             ;   in Loop: Header=BB940_17 Depth=1
	s_or_b64 exec, exec, s[6:7]
.LBB940_16:                             ;   in Loop: Header=BB940_17 Depth=1
	s_or_b64 exec, exec, s[4:5]
	v_perm_b32 v55, v40, v34, s16
	v_perm_b32 v54, v23, v32, s16
	;; [unrolled: 1-line block ×4, first 2 shown]
	v_add_u32_e32 v26, s12, v37
	v_mfma_f32_16x16x16bf16_1k v[18:21], v[54:55], v[14:15], v[18:21]
	s_add_i32 s12, s12, 16
	v_mov_b32_e32 v23, v22
	s_cmp_eq_u32 s12, 64
	v_add_u32_e32 v36, 32, v36
	v_mfma_f32_16x16x16bf16_1k v[18:21], v[52:53], v[16:17], v[18:21]
	s_nop 7
	s_nop 2
	v_pk_mul_f32 v[18:19], v[24:25], v[18:19]
	v_pk_mul_f32 v[20:21], v[22:23], v[20:21]
	buffer_store_dword v19, v26, s[0:3], 0 offen offset:4
	buffer_store_dword v18, v26, s[0:3], 0 offen
	buffer_store_dword v21, v26, s[0:3], 0 offen offset:12
	buffer_store_dword v20, v26, s[0:3], 0 offen offset:8
	s_cbranch_scc1 .LBB940_207
.LBB940_17:                             ; =>This Inner Loop Header: Depth=1
	buffer_load_dword v20, v36, s[0:3], 0 offen
	buffer_load_dword v18, v36, s[0:3], 0 offen offset:4
	buffer_load_dword v28, v36, s[0:3], 0 offen offset:8
	;; [unrolled: 1-line block ×3, first 2 shown]
	v_mov_b32_e32 v19, 0
	v_mov_b32_e32 v21, 0
	s_waitcnt vmcnt(3)
	v_cmp_ne_u16_sdwa s[6:7], v20, v35 src0_sel:BYTE_0 src1_sel:DWORD
	s_and_saveexec_b64 s[4:5], s[6:7]
	s_cbranch_execz .LBB940_23
; %bb.18:                               ;   in Loop: Header=BB940_17 Depth=1
	v_cmp_ne_u16_sdwa s[10:11], v20, s13 src0_sel:BYTE_0 src1_sel:DWORD
	v_mov_b32_e32 v21, 0xffff8000
	s_and_saveexec_b64 s[6:7], s[10:11]
	s_cbranch_execz .LBB940_22
; %bb.19:                               ;   in Loop: Header=BB940_17 Depth=1
	v_and_b32_e32 v23, 0x7f, v20
	v_cmp_ne_u32_e32 vcc, s14, v23
	v_mov_b32_e32 v21, 0x7f80
	s_and_saveexec_b64 s[10:11], vcc
	s_cbranch_execz .LBB940_21
; %bb.20:                               ;   in Loop: Header=BB940_17 Depth=1
	v_and_b32_e32 v21, 7, v20
	v_ffbh_u32_e32 v32, v21
	v_min_u32_e32 v32, 32, v32
	v_subrev_u32_e32 v34, 28, v32
	v_lshlrev_b64 v[52:53], v34, v[20:21]
	v_lshrrev_b32_e32 v30, 3, v23
	v_sub_u32_e32 v32, 29, v32
	v_and_b32_e32 v34, 7, v52
	v_cmp_gt_u32_e32 vcc, 8, v23
	v_cndmask_b32_e32 v23, v30, v32, vcc
	v_cndmask_b32_e32 v21, v21, v34, vcc
	v_lshlrev_b32_e32 v30, 24, v20
	v_lshlrev_b32_e32 v21, 20, v21
	v_and_b32_e32 v30, 0x80000000, v30
	v_lshl_add_u32 v23, v23, 23, v38
	v_or3_b32 v21, v30, v23, v21
	v_lshrrev_b32_e32 v21, 16, v21
.LBB940_21:                             ;   in Loop: Header=BB940_17 Depth=1
	s_or_b64 exec, exec, s[10:11]
.LBB940_22:                             ;   in Loop: Header=BB940_17 Depth=1
	s_or_b64 exec, exec, s[6:7]
.LBB940_23:                             ;   in Loop: Header=BB940_17 Depth=1
	s_or_b64 exec, exec, s[4:5]
	v_lshrrev_b16_e32 v30, 8, v20
	v_cmp_ne_u16_e32 vcc, 0, v30
	s_and_saveexec_b64 s[4:5], vcc
	s_cbranch_execz .LBB940_29
; %bb.24:                               ;   in Loop: Header=BB940_17 Depth=1
	v_cmp_ne_u16_e32 vcc, s13, v30
	v_mov_b32_e32 v19, 0xffff8000
	s_and_saveexec_b64 s[6:7], vcc
	s_cbranch_execz .LBB940_28
; %bb.25:                               ;   in Loop: Header=BB940_17 Depth=1
	v_and_b32_e32 v23, 0x7f, v30
	v_cmp_ne_u32_e32 vcc, s14, v23
	v_mov_b32_e32 v19, 0x7f80
	s_and_saveexec_b64 s[10:11], vcc
	s_cbranch_execz .LBB940_27
; %bb.26:                               ;   in Loop: Header=BB940_17 Depth=1
	v_and_b32_e32 v19, 7, v30
	v_ffbh_u32_e32 v34, v19
	v_min_u32_e32 v34, 32, v34
	v_subrev_u32_e32 v40, 28, v34
	v_lshlrev_b64 v[52:53], v40, v[30:31]
	v_lshrrev_b32_e32 v32, 3, v23
	v_sub_u32_e32 v30, 29, v34
	v_and_b32_e32 v34, 7, v52
	v_cmp_gt_u32_e32 vcc, 8, v23
	v_cndmask_b32_e32 v23, v32, v30, vcc
	v_cndmask_b32_e32 v19, v19, v34, vcc
	v_lshlrev_b32_e32 v30, 16, v20
	v_lshlrev_b32_e32 v19, 20, v19
	v_and_b32_e32 v30, 0x80000000, v30
	v_lshl_add_u32 v23, v23, 23, v38
	v_or3_b32 v19, v30, v23, v19
	v_lshrrev_b32_e32 v19, 16, v19
.LBB940_27:                             ;   in Loop: Header=BB940_17 Depth=1
	s_or_b64 exec, exec, s[10:11]
.LBB940_28:                             ;   in Loop: Header=BB940_17 Depth=1
	s_or_b64 exec, exec, s[6:7]
.LBB940_29:                             ;   in Loop: Header=BB940_17 Depth=1
	s_or_b64 exec, exec, s[4:5]
	v_lshrrev_b32_e32 v30, 16, v20
	v_cmp_ne_u16_sdwa s[6:7], v30, v35 src0_sel:BYTE_0 src1_sel:DWORD
	v_mov_b32_e32 v32, 0
	v_mov_b32_e32 v23, 0
	s_and_saveexec_b64 s[4:5], s[6:7]
	s_cbranch_execz .LBB940_35
; %bb.30:                               ;   in Loop: Header=BB940_17 Depth=1
	v_cmp_ne_u16_sdwa s[10:11], v30, s13 src0_sel:BYTE_0 src1_sel:DWORD
	v_mov_b32_e32 v23, 0xffff8000
	s_and_saveexec_b64 s[6:7], s[10:11]
	s_cbranch_execz .LBB940_34
; %bb.31:                               ;   in Loop: Header=BB940_17 Depth=1
	v_bfe_u32 v34, v20, 16, 7
	v_cmp_ne_u32_e32 vcc, s14, v34
	v_mov_b32_e32 v23, 0x7f80
	s_and_saveexec_b64 s[10:11], vcc
	s_cbranch_execz .LBB940_33
; %bb.32:                               ;   in Loop: Header=BB940_17 Depth=1
	v_and_b32_e32 v23, 7, v30
	v_ffbh_u32_e32 v42, v23
	v_min_u32_e32 v42, 32, v42
	v_subrev_u32_e32 v44, 28, v42
	v_lshlrev_b64 v[52:53], v44, v[30:31]
	v_lshrrev_b32_e32 v40, 3, v34
	v_sub_u32_e32 v42, 29, v42
	v_and_b32_e32 v44, 7, v52
	v_cmp_gt_u32_e32 vcc, 8, v34
	v_cndmask_b32_e32 v34, v40, v42, vcc
	v_cndmask_b32_e32 v23, v23, v44, vcc
	v_lshlrev_b32_e32 v30, 24, v30
	v_lshlrev_b32_e32 v23, 20, v23
	v_and_b32_e32 v30, 0x80000000, v30
	v_lshl_add_u32 v34, v34, 23, v38
	v_or3_b32 v23, v30, v34, v23
	v_lshrrev_b32_e32 v23, 16, v23
.LBB940_33:                             ;   in Loop: Header=BB940_17 Depth=1
	s_or_b64 exec, exec, s[10:11]
.LBB940_34:                             ;   in Loop: Header=BB940_17 Depth=1
	s_or_b64 exec, exec, s[6:7]
.LBB940_35:                             ;   in Loop: Header=BB940_17 Depth=1
	s_or_b64 exec, exec, s[4:5]
	v_cmp_lt_u32_e32 vcc, s15, v20
	s_and_saveexec_b64 s[4:5], vcc
	s_cbranch_execz .LBB940_41
; %bb.36:                               ;   in Loop: Header=BB940_17 Depth=1
	v_lshrrev_b32_e32 v30, 24, v20
	v_cmp_ne_u32_e32 vcc, s13, v30
	v_mov_b32_e32 v32, 0xffff8000
	s_and_saveexec_b64 s[6:7], vcc
	s_cbranch_execz .LBB940_40
; %bb.37:                               ;   in Loop: Header=BB940_17 Depth=1
	v_bfe_u32 v20, v20, 24, 7
	v_cmp_ne_u32_e32 vcc, s14, v20
	v_mov_b32_e32 v32, 0x7f80
	s_and_saveexec_b64 s[10:11], vcc
	s_cbranch_execz .LBB940_39
; %bb.38:                               ;   in Loop: Header=BB940_17 Depth=1
	v_and_b32_e32 v32, 7, v30
	v_ffbh_u32_e32 v40, v32
	v_min_u32_e32 v40, 32, v40
	v_subrev_u32_e32 v42, 28, v40
	v_lshlrev_b64 v[52:53], v42, v[30:31]
	v_lshrrev_b32_e32 v34, 3, v20
	v_sub_u32_e32 v40, 29, v40
	v_and_b32_e32 v42, 7, v52
	v_cmp_gt_u32_e32 vcc, 8, v20
	v_cndmask_b32_e32 v20, v34, v40, vcc
	v_cndmask_b32_e32 v32, v32, v42, vcc
	v_lshlrev_b32_e32 v30, 24, v30
	v_lshlrev_b32_e32 v32, 20, v32
	v_and_b32_e32 v30, 0x80000000, v30
	v_lshl_add_u32 v20, v20, 23, v38
	v_or3_b32 v20, v30, v20, v32
	v_lshrrev_b32_e32 v32, 16, v20
.LBB940_39:                             ;   in Loop: Header=BB940_17 Depth=1
	s_or_b64 exec, exec, s[10:11]
.LBB940_40:                             ;   in Loop: Header=BB940_17 Depth=1
	s_or_b64 exec, exec, s[6:7]
.LBB940_41:                             ;   in Loop: Header=BB940_17 Depth=1
	s_or_b64 exec, exec, s[4:5]
	s_waitcnt vmcnt(2)
	v_cmp_ne_u16_sdwa s[6:7], v18, v35 src0_sel:BYTE_0 src1_sel:DWORD
	v_mov_b32_e32 v30, 0
	v_mov_b32_e32 v34, 0
	s_and_saveexec_b64 s[4:5], s[6:7]
	s_cbranch_execz .LBB940_47
; %bb.42:                               ;   in Loop: Header=BB940_17 Depth=1
	v_cmp_ne_u16_sdwa s[10:11], v18, s13 src0_sel:BYTE_0 src1_sel:DWORD
	v_mov_b32_e32 v34, 0xffff8000
	s_and_saveexec_b64 s[6:7], s[10:11]
	s_cbranch_execz .LBB940_46
; %bb.43:                               ;   in Loop: Header=BB940_17 Depth=1
	v_and_b32_e32 v20, 0x7f, v18
	v_cmp_ne_u32_e32 vcc, s14, v20
	v_mov_b32_e32 v34, 0x7f80
	s_and_saveexec_b64 s[10:11], vcc
	s_cbranch_execz .LBB940_45
; %bb.44:                               ;   in Loop: Header=BB940_17 Depth=1
	v_and_b32_e32 v34, 7, v18
	v_ffbh_u32_e32 v42, v34
	v_min_u32_e32 v42, 32, v42
	v_subrev_u32_e32 v44, 28, v42
	v_lshlrev_b64 v[52:53], v44, v[18:19]
	v_lshrrev_b32_e32 v40, 3, v20
	v_sub_u32_e32 v42, 29, v42
	v_and_b32_e32 v44, 7, v52
	v_cmp_gt_u32_e32 vcc, 8, v20
	v_cndmask_b32_e32 v20, v40, v42, vcc
	v_cndmask_b32_e32 v34, v34, v44, vcc
	v_lshlrev_b32_e32 v40, 24, v18
	v_lshlrev_b32_e32 v34, 20, v34
	v_and_b32_e32 v40, 0x80000000, v40
	v_lshl_add_u32 v20, v20, 23, v38
	v_or3_b32 v20, v40, v20, v34
	v_lshrrev_b32_e32 v34, 16, v20
.LBB940_45:                             ;   in Loop: Header=BB940_17 Depth=1
	s_or_b64 exec, exec, s[10:11]
.LBB940_46:                             ;   in Loop: Header=BB940_17 Depth=1
	s_or_b64 exec, exec, s[6:7]
.LBB940_47:                             ;   in Loop: Header=BB940_17 Depth=1
	s_or_b64 exec, exec, s[4:5]
	v_lshrrev_b16_e32 v20, 8, v18
	v_cmp_ne_u16_e32 vcc, 0, v20
	s_and_saveexec_b64 s[4:5], vcc
	s_cbranch_execz .LBB940_53
; %bb.48:                               ;   in Loop: Header=BB940_17 Depth=1
	v_cmp_ne_u16_e32 vcc, s13, v20
	v_mov_b32_e32 v30, 0xffff8000
	s_and_saveexec_b64 s[6:7], vcc
	s_cbranch_execz .LBB940_52
; %bb.49:                               ;   in Loop: Header=BB940_17 Depth=1
	v_and_b32_e32 v40, 0x7f, v20
	v_cmp_ne_u32_e32 vcc, s14, v40
	v_mov_b32_e32 v30, 0x7f80
	s_and_saveexec_b64 s[10:11], vcc
	s_cbranch_execz .LBB940_51
; %bb.50:                               ;   in Loop: Header=BB940_17 Depth=1
	v_and_b32_e32 v30, 7, v20
	v_ffbh_u32_e32 v44, v30
	v_min_u32_e32 v44, 32, v44
	v_subrev_u32_e32 v52, 28, v44
	v_lshlrev_b64 v[52:53], v52, v[20:21]
	v_lshrrev_b32_e32 v42, 3, v40
	v_sub_u32_e32 v20, 29, v44
	v_and_b32_e32 v44, 7, v52
	v_cmp_gt_u32_e32 vcc, 8, v40
	v_cndmask_b32_e32 v20, v42, v20, vcc
	v_cndmask_b32_e32 v30, v30, v44, vcc
	v_lshlrev_b32_e32 v40, 16, v18
	v_lshlrev_b32_e32 v30, 20, v30
	v_and_b32_e32 v40, 0x80000000, v40
	v_lshl_add_u32 v20, v20, 23, v38
	v_or3_b32 v20, v40, v20, v30
	v_lshrrev_b32_e32 v30, 16, v20
.LBB940_51:                             ;   in Loop: Header=BB940_17 Depth=1
	s_or_b64 exec, exec, s[10:11]
.LBB940_52:                             ;   in Loop: Header=BB940_17 Depth=1
	s_or_b64 exec, exec, s[6:7]
.LBB940_53:                             ;   in Loop: Header=BB940_17 Depth=1
	s_or_b64 exec, exec, s[4:5]
	v_lshrrev_b32_e32 v20, 16, v18
	v_cmp_ne_u16_sdwa s[6:7], v20, v35 src0_sel:BYTE_0 src1_sel:DWORD
	v_mov_b32_e32 v42, 0
	v_mov_b32_e32 v40, 0
	s_and_saveexec_b64 s[4:5], s[6:7]
	s_cbranch_execz .LBB940_59
; %bb.54:                               ;   in Loop: Header=BB940_17 Depth=1
	v_cmp_ne_u16_sdwa s[10:11], v20, s13 src0_sel:BYTE_0 src1_sel:DWORD
	v_mov_b32_e32 v40, 0xffff8000
	s_and_saveexec_b64 s[6:7], s[10:11]
	s_cbranch_execz .LBB940_58
; %bb.55:                               ;   in Loop: Header=BB940_17 Depth=1
	v_bfe_u32 v44, v18, 16, 7
	v_cmp_ne_u32_e32 vcc, s14, v44
	v_mov_b32_e32 v40, 0x7f80
	s_and_saveexec_b64 s[10:11], vcc
	s_cbranch_execz .LBB940_57
; %bb.56:                               ;   in Loop: Header=BB940_17 Depth=1
	v_and_b32_e32 v40, 7, v20
	v_ffbh_u32_e32 v52, v40
	v_min_u32_e32 v55, 32, v52
	v_subrev_u32_e32 v52, 28, v55
	v_lshlrev_b64 v[52:53], v52, v[20:21]
	v_lshrrev_b32_e32 v54, 3, v44
	v_sub_u32_e32 v53, 29, v55
	v_and_b32_e32 v52, 7, v52
	v_cmp_gt_u32_e32 vcc, 8, v44
	v_cndmask_b32_e32 v44, v54, v53, vcc
	v_cndmask_b32_e32 v40, v40, v52, vcc
	v_lshlrev_b32_e32 v20, 24, v20
	v_lshlrev_b32_e32 v40, 20, v40
	v_and_b32_e32 v20, 0x80000000, v20
	v_lshl_add_u32 v44, v44, 23, v38
	v_or3_b32 v20, v20, v44, v40
	v_lshrrev_b32_e32 v40, 16, v20
.LBB940_57:                             ;   in Loop: Header=BB940_17 Depth=1
	s_or_b64 exec, exec, s[10:11]
.LBB940_58:                             ;   in Loop: Header=BB940_17 Depth=1
	s_or_b64 exec, exec, s[6:7]
.LBB940_59:                             ;   in Loop: Header=BB940_17 Depth=1
	s_or_b64 exec, exec, s[4:5]
	v_cmp_lt_u32_e32 vcc, s15, v18
	s_and_saveexec_b64 s[4:5], vcc
	s_cbranch_execz .LBB940_65
; %bb.60:                               ;   in Loop: Header=BB940_17 Depth=1
	v_lshrrev_b32_e32 v20, 24, v18
	v_cmp_ne_u32_e32 vcc, s13, v20
	v_mov_b32_e32 v42, 0xffff8000
	s_and_saveexec_b64 s[6:7], vcc
	s_cbranch_execz .LBB940_64
; %bb.61:                               ;   in Loop: Header=BB940_17 Depth=1
	v_bfe_u32 v18, v18, 24, 7
	v_cmp_ne_u32_e32 vcc, s14, v18
	v_mov_b32_e32 v42, 0x7f80
	s_and_saveexec_b64 s[10:11], vcc
	s_cbranch_execz .LBB940_63
; %bb.62:                               ;   in Loop: Header=BB940_17 Depth=1
	v_and_b32_e32 v42, 7, v20
	v_ffbh_u32_e32 v52, v42
	v_min_u32_e32 v54, 32, v52
	v_subrev_u32_e32 v52, 28, v54
	v_lshlrev_b64 v[52:53], v52, v[20:21]
	v_lshrrev_b32_e32 v44, 3, v18
	v_sub_u32_e32 v53, 29, v54
	v_and_b32_e32 v52, 7, v52
	v_cmp_gt_u32_e32 vcc, 8, v18
	v_cndmask_b32_e32 v18, v44, v53, vcc
	v_cndmask_b32_e32 v42, v42, v52, vcc
	v_lshlrev_b32_e32 v20, 24, v20
	v_lshlrev_b32_e32 v42, 20, v42
	v_and_b32_e32 v20, 0x80000000, v20
	v_lshl_add_u32 v18, v18, 23, v38
	v_or3_b32 v18, v20, v18, v42
	v_lshrrev_b32_e32 v42, 16, v18
.LBB940_63:                             ;   in Loop: Header=BB940_17 Depth=1
	s_or_b64 exec, exec, s[10:11]
.LBB940_64:                             ;   in Loop: Header=BB940_17 Depth=1
	s_or_b64 exec, exec, s[6:7]
.LBB940_65:                             ;   in Loop: Header=BB940_17 Depth=1
	s_or_b64 exec, exec, s[4:5]
	v_perm_b32 v53, v32, v23, s16
	v_perm_b32 v52, v19, v21, s16
	s_waitcnt vmcnt(1)
	v_cmp_ne_u16_sdwa s[6:7], v28, v35 src0_sel:BYTE_0 src1_sel:DWORD
	v_mov_b32_e32 v23, 0
	v_mov_b32_e32 v32, 0
	v_mfma_f32_16x16x16bf16_1k v[18:21], v[52:53], v[2:3], 0
	v_perm_b32 v53, v42, v40, s16
	v_perm_b32 v52, v30, v34, s16
	s_nop 1
	v_mfma_f32_16x16x16bf16_1k v[18:21], v[52:53], v[4:5], v[18:21]
	s_and_saveexec_b64 s[4:5], s[6:7]
	s_cbranch_execz .LBB940_71
; %bb.66:                               ;   in Loop: Header=BB940_17 Depth=1
	v_cmp_ne_u16_sdwa s[10:11], v28, s13 src0_sel:BYTE_0 src1_sel:DWORD
	v_mov_b32_e32 v32, 0xffff8000
	s_and_saveexec_b64 s[6:7], s[10:11]
	s_cbranch_execz .LBB940_70
; %bb.67:                               ;   in Loop: Header=BB940_17 Depth=1
	v_and_b32_e32 v30, 0x7f, v28
	v_cmp_ne_u32_e32 vcc, s14, v30
	v_mov_b32_e32 v32, 0x7f80
	s_and_saveexec_b64 s[10:11], vcc
	s_cbranch_execz .LBB940_69
; %bb.68:                               ;   in Loop: Header=BB940_17 Depth=1
	v_and_b32_e32 v32, 7, v28
	v_ffbh_u32_e32 v40, v32
	v_min_u32_e32 v40, 32, v40
	v_subrev_u32_e32 v42, 28, v40
	v_lshlrev_b64 v[52:53], v42, v[28:29]
	v_lshrrev_b32_e32 v34, 3, v30
	v_sub_u32_e32 v40, 29, v40
	v_and_b32_e32 v42, 7, v52
	v_cmp_gt_u32_e32 vcc, 8, v30
	v_cndmask_b32_e32 v30, v34, v40, vcc
	v_cndmask_b32_e32 v32, v32, v42, vcc
	v_lshlrev_b32_e32 v34, 24, v28
	v_lshlrev_b32_e32 v32, 20, v32
	v_and_b32_e32 v34, 0x80000000, v34
	v_lshl_add_u32 v30, v30, 23, v38
	v_or3_b32 v30, v34, v30, v32
	v_lshrrev_b32_e32 v32, 16, v30
.LBB940_69:                             ;   in Loop: Header=BB940_17 Depth=1
	s_or_b64 exec, exec, s[10:11]
.LBB940_70:                             ;   in Loop: Header=BB940_17 Depth=1
	s_or_b64 exec, exec, s[6:7]
.LBB940_71:                             ;   in Loop: Header=BB940_17 Depth=1
	s_or_b64 exec, exec, s[4:5]
	v_lshrrev_b16_e32 v30, 8, v28
	v_cmp_ne_u16_e32 vcc, 0, v30
	s_and_saveexec_b64 s[4:5], vcc
	s_cbranch_execz .LBB940_77
; %bb.72:                               ;   in Loop: Header=BB940_17 Depth=1
	v_cmp_ne_u16_e32 vcc, s13, v30
	v_mov_b32_e32 v23, 0xffff8000
	s_and_saveexec_b64 s[6:7], vcc
	s_cbranch_execz .LBB940_76
; %bb.73:                               ;   in Loop: Header=BB940_17 Depth=1
	v_and_b32_e32 v34, 0x7f, v30
	v_cmp_ne_u32_e32 vcc, s14, v34
	v_mov_b32_e32 v23, 0x7f80
	s_and_saveexec_b64 s[10:11], vcc
	s_cbranch_execz .LBB940_75
; %bb.74:                               ;   in Loop: Header=BB940_17 Depth=1
	v_and_b32_e32 v23, 7, v30
	v_ffbh_u32_e32 v42, v23
	v_min_u32_e32 v42, 32, v42
	v_subrev_u32_e32 v44, 28, v42
	v_lshlrev_b64 v[52:53], v44, v[30:31]
	v_lshrrev_b32_e32 v40, 3, v34
	v_sub_u32_e32 v30, 29, v42
	v_and_b32_e32 v42, 7, v52
	v_cmp_gt_u32_e32 vcc, 8, v34
	v_cndmask_b32_e32 v30, v40, v30, vcc
	v_cndmask_b32_e32 v23, v23, v42, vcc
	v_lshlrev_b32_e32 v34, 16, v28
	v_lshlrev_b32_e32 v23, 20, v23
	v_and_b32_e32 v34, 0x80000000, v34
	v_lshl_add_u32 v30, v30, 23, v38
	v_or3_b32 v23, v34, v30, v23
	v_lshrrev_b32_e32 v23, 16, v23
.LBB940_75:                             ;   in Loop: Header=BB940_17 Depth=1
	s_or_b64 exec, exec, s[10:11]
.LBB940_76:                             ;   in Loop: Header=BB940_17 Depth=1
	s_or_b64 exec, exec, s[6:7]
.LBB940_77:                             ;   in Loop: Header=BB940_17 Depth=1
	s_or_b64 exec, exec, s[4:5]
	v_lshrrev_b32_e32 v30, 16, v28
	v_cmp_ne_u16_sdwa s[6:7], v30, v35 src0_sel:BYTE_0 src1_sel:DWORD
	v_mov_b32_e32 v40, 0
	v_mov_b32_e32 v34, 0
	s_and_saveexec_b64 s[4:5], s[6:7]
	s_cbranch_execz .LBB940_83
; %bb.78:                               ;   in Loop: Header=BB940_17 Depth=1
	v_cmp_ne_u16_sdwa s[10:11], v30, s13 src0_sel:BYTE_0 src1_sel:DWORD
	v_mov_b32_e32 v34, 0xffff8000
	s_and_saveexec_b64 s[6:7], s[10:11]
	s_cbranch_execz .LBB940_82
; %bb.79:                               ;   in Loop: Header=BB940_17 Depth=1
	v_bfe_u32 v42, v28, 16, 7
	v_cmp_ne_u32_e32 vcc, s14, v42
	v_mov_b32_e32 v34, 0x7f80
	s_and_saveexec_b64 s[10:11], vcc
	s_cbranch_execz .LBB940_81
; %bb.80:                               ;   in Loop: Header=BB940_17 Depth=1
	v_and_b32_e32 v34, 7, v30
	v_ffbh_u32_e32 v52, v34
	v_min_u32_e32 v54, 32, v52
	v_subrev_u32_e32 v52, 28, v54
	v_lshlrev_b64 v[52:53], v52, v[30:31]
	v_lshrrev_b32_e32 v44, 3, v42
	v_sub_u32_e32 v53, 29, v54
	v_and_b32_e32 v52, 7, v52
	v_cmp_gt_u32_e32 vcc, 8, v42
	v_cndmask_b32_e32 v42, v44, v53, vcc
	v_cndmask_b32_e32 v34, v34, v52, vcc
	v_lshlrev_b32_e32 v30, 24, v30
	v_lshlrev_b32_e32 v34, 20, v34
	v_and_b32_e32 v30, 0x80000000, v30
	v_lshl_add_u32 v42, v42, 23, v38
	v_or3_b32 v30, v30, v42, v34
	v_lshrrev_b32_e32 v34, 16, v30
.LBB940_81:                             ;   in Loop: Header=BB940_17 Depth=1
	s_or_b64 exec, exec, s[10:11]
.LBB940_82:                             ;   in Loop: Header=BB940_17 Depth=1
	s_or_b64 exec, exec, s[6:7]
.LBB940_83:                             ;   in Loop: Header=BB940_17 Depth=1
	s_or_b64 exec, exec, s[4:5]
	v_cmp_lt_u32_e32 vcc, s15, v28
	s_and_saveexec_b64 s[4:5], vcc
	s_cbranch_execz .LBB940_89
; %bb.84:                               ;   in Loop: Header=BB940_17 Depth=1
	v_lshrrev_b32_e32 v30, 24, v28
	v_cmp_ne_u32_e32 vcc, s13, v30
	v_mov_b32_e32 v40, 0xffff8000
	s_and_saveexec_b64 s[6:7], vcc
	s_cbranch_execz .LBB940_88
; %bb.85:                               ;   in Loop: Header=BB940_17 Depth=1
	v_bfe_u32 v28, v28, 24, 7
	v_cmp_ne_u32_e32 vcc, s14, v28
	v_mov_b32_e32 v40, 0x7f80
	s_and_saveexec_b64 s[10:11], vcc
	s_cbranch_execz .LBB940_87
; %bb.86:                               ;   in Loop: Header=BB940_17 Depth=1
	v_and_b32_e32 v40, 7, v30
	v_ffbh_u32_e32 v44, v40
	v_min_u32_e32 v44, 32, v44
	v_subrev_u32_e32 v52, 28, v44
	v_lshlrev_b64 v[52:53], v52, v[30:31]
	v_lshrrev_b32_e32 v42, 3, v28
	v_sub_u32_e32 v44, 29, v44
	v_and_b32_e32 v52, 7, v52
	v_cmp_gt_u32_e32 vcc, 8, v28
	v_cndmask_b32_e32 v28, v42, v44, vcc
	v_cndmask_b32_e32 v40, v40, v52, vcc
	v_lshlrev_b32_e32 v30, 24, v30
	v_lshlrev_b32_e32 v40, 20, v40
	v_and_b32_e32 v30, 0x80000000, v30
	v_lshl_add_u32 v28, v28, 23, v38
	v_or3_b32 v28, v30, v28, v40
	v_lshrrev_b32_e32 v40, 16, v28
.LBB940_87:                             ;   in Loop: Header=BB940_17 Depth=1
	s_or_b64 exec, exec, s[10:11]
.LBB940_88:                             ;   in Loop: Header=BB940_17 Depth=1
	s_or_b64 exec, exec, s[6:7]
.LBB940_89:                             ;   in Loop: Header=BB940_17 Depth=1
	s_or_b64 exec, exec, s[4:5]
	s_waitcnt vmcnt(0)
	v_cmp_ne_u16_sdwa s[6:7], v26, v35 src0_sel:BYTE_0 src1_sel:DWORD
	v_mov_b32_e32 v42, 0
	v_mov_b32_e32 v44, 0
	s_and_saveexec_b64 s[4:5], s[6:7]
	s_cbranch_execz .LBB940_95
; %bb.90:                               ;   in Loop: Header=BB940_17 Depth=1
	v_cmp_ne_u16_sdwa s[10:11], v26, s13 src0_sel:BYTE_0 src1_sel:DWORD
	v_mov_b32_e32 v44, 0xffff8000
	s_and_saveexec_b64 s[6:7], s[10:11]
	s_cbranch_execz .LBB940_94
; %bb.91:                               ;   in Loop: Header=BB940_17 Depth=1
	v_and_b32_e32 v28, 0x7f, v26
	v_cmp_ne_u32_e32 vcc, s14, v28
	v_mov_b32_e32 v44, 0x7f80
	s_and_saveexec_b64 s[10:11], vcc
	s_cbranch_execz .LBB940_93
; %bb.92:                               ;   in Loop: Header=BB940_17 Depth=1
	v_and_b32_e32 v30, 7, v26
	v_ffbh_u32_e32 v52, v30
	v_min_u32_e32 v54, 32, v52
	v_subrev_u32_e32 v52, 28, v54
	v_lshlrev_b64 v[52:53], v52, v[26:27]
	v_lshrrev_b32_e32 v44, 3, v28
	v_sub_u32_e32 v53, 29, v54
	v_and_b32_e32 v52, 7, v52
	v_cmp_gt_u32_e32 vcc, 8, v28
	v_cndmask_b32_e32 v28, v44, v53, vcc
	v_cndmask_b32_e32 v30, v30, v52, vcc
	v_lshlrev_b32_e32 v44, 24, v26
	v_lshlrev_b32_e32 v30, 20, v30
	v_and_b32_e32 v44, 0x80000000, v44
	v_lshl_add_u32 v28, v28, 23, v38
	v_or3_b32 v28, v44, v28, v30
	v_lshrrev_b32_e32 v44, 16, v28
.LBB940_93:                             ;   in Loop: Header=BB940_17 Depth=1
	s_or_b64 exec, exec, s[10:11]
.LBB940_94:                             ;   in Loop: Header=BB940_17 Depth=1
	s_or_b64 exec, exec, s[6:7]
.LBB940_95:                             ;   in Loop: Header=BB940_17 Depth=1
	s_or_b64 exec, exec, s[4:5]
	v_lshrrev_b16_e32 v28, 8, v26
	v_cmp_ne_u16_e32 vcc, 0, v28
	s_and_saveexec_b64 s[4:5], vcc
	s_cbranch_execz .LBB940_101
; %bb.96:                               ;   in Loop: Header=BB940_17 Depth=1
	v_cmp_ne_u16_e32 vcc, s13, v28
	v_mov_b32_e32 v42, 0xffff8000
	s_and_saveexec_b64 s[6:7], vcc
	s_cbranch_execz .LBB940_100
; %bb.97:                               ;   in Loop: Header=BB940_17 Depth=1
	v_and_b32_e32 v30, 0x7f, v28
	v_cmp_ne_u32_e32 vcc, s14, v30
	v_mov_b32_e32 v42, 0x7f80
	s_and_saveexec_b64 s[10:11], vcc
	s_cbranch_execz .LBB940_99
; %bb.98:                               ;   in Loop: Header=BB940_17 Depth=1
	v_and_b32_e32 v42, 7, v28
	v_ffbh_u32_e32 v52, v42
	v_min_u32_e32 v55, 32, v52
	v_subrev_u32_e32 v52, 28, v55
	v_lshlrev_b64 v[52:53], v52, v[28:29]
	v_lshrrev_b32_e32 v54, 3, v30
	v_sub_u32_e32 v28, 29, v55
	v_and_b32_e32 v52, 7, v52
	v_cmp_gt_u32_e32 vcc, 8, v30
	v_cndmask_b32_e32 v28, v54, v28, vcc
	v_cndmask_b32_e32 v30, v42, v52, vcc
	v_lshlrev_b32_e32 v42, 16, v26
	v_lshlrev_b32_e32 v30, 20, v30
	v_and_b32_e32 v42, 0x80000000, v42
	v_lshl_add_u32 v28, v28, 23, v38
	v_or3_b32 v28, v42, v28, v30
	v_lshrrev_b32_e32 v42, 16, v28
.LBB940_99:                             ;   in Loop: Header=BB940_17 Depth=1
	s_or_b64 exec, exec, s[10:11]
.LBB940_100:                            ;   in Loop: Header=BB940_17 Depth=1
	s_or_b64 exec, exec, s[6:7]
.LBB940_101:                            ;   in Loop: Header=BB940_17 Depth=1
	s_or_b64 exec, exec, s[4:5]
	v_lshrrev_b32_e32 v28, 16, v26
	v_cmp_ne_u16_sdwa s[6:7], v28, v35 src0_sel:BYTE_0 src1_sel:DWORD
	v_mov_b32_e32 v53, 0
	v_mov_b32_e32 v52, 0
	s_and_saveexec_b64 s[4:5], s[6:7]
	s_cbranch_execz .LBB940_107
; %bb.102:                              ;   in Loop: Header=BB940_17 Depth=1
	v_cmp_ne_u16_sdwa s[10:11], v28, s13 src0_sel:BYTE_0 src1_sel:DWORD
	v_mov_b32_e32 v52, 0xffff8000
	s_and_saveexec_b64 s[6:7], s[10:11]
	s_cbranch_execz .LBB940_106
; %bb.103:                              ;   in Loop: Header=BB940_17 Depth=1
	v_bfe_u32 v30, v26, 16, 7
	v_cmp_ne_u32_e32 vcc, s14, v30
	v_mov_b32_e32 v52, 0x7f80
	s_and_saveexec_b64 s[10:11], vcc
	s_cbranch_execz .LBB940_105
; %bb.104:                              ;   in Loop: Header=BB940_17 Depth=1
	v_and_b32_e32 v52, 7, v28
	v_ffbh_u32_e32 v54, v52
	v_min_u32_e32 v57, 32, v54
	v_subrev_u32_e32 v54, 28, v57
	v_lshlrev_b64 v[54:55], v54, v[28:29]
	v_lshrrev_b32_e32 v56, 3, v30
	v_sub_u32_e32 v55, 29, v57
	v_and_b32_e32 v54, 7, v54
	v_cmp_gt_u32_e32 vcc, 8, v30
	v_cndmask_b32_e32 v30, v56, v55, vcc
	v_cndmask_b32_e32 v52, v52, v54, vcc
	v_lshlrev_b32_e32 v28, 24, v28
	v_lshlrev_b32_e32 v52, 20, v52
	v_and_b32_e32 v28, 0x80000000, v28
	v_lshl_add_u32 v30, v30, 23, v38
	v_or3_b32 v28, v28, v30, v52
	v_lshrrev_b32_e32 v52, 16, v28
.LBB940_105:                            ;   in Loop: Header=BB940_17 Depth=1
	s_or_b64 exec, exec, s[10:11]
.LBB940_106:                            ;   in Loop: Header=BB940_17 Depth=1
	s_or_b64 exec, exec, s[6:7]
.LBB940_107:                            ;   in Loop: Header=BB940_17 Depth=1
	s_or_b64 exec, exec, s[4:5]
	v_cmp_lt_u32_e32 vcc, s15, v26
	s_and_saveexec_b64 s[4:5], vcc
	s_cbranch_execz .LBB940_113
; %bb.108:                              ;   in Loop: Header=BB940_17 Depth=1
	v_lshrrev_b32_e32 v28, 24, v26
	v_cmp_ne_u32_e32 vcc, s13, v28
	v_mov_b32_e32 v53, 0xffff8000
	s_and_saveexec_b64 s[6:7], vcc
	s_cbranch_execz .LBB940_112
; %bb.109:                              ;   in Loop: Header=BB940_17 Depth=1
	v_bfe_u32 v26, v26, 24, 7
	v_cmp_ne_u32_e32 vcc, s14, v26
	v_mov_b32_e32 v53, 0x7f80
	s_and_saveexec_b64 s[10:11], vcc
	s_cbranch_execz .LBB940_111
; %bb.110:                              ;   in Loop: Header=BB940_17 Depth=1
	v_and_b32_e32 v30, 7, v28
	v_ffbh_u32_e32 v54, v30
	v_min_u32_e32 v56, 32, v54
	v_subrev_u32_e32 v54, 28, v56
	v_lshlrev_b64 v[54:55], v54, v[28:29]
	v_lshrrev_b32_e32 v53, 3, v26
	v_sub_u32_e32 v55, 29, v56
	v_and_b32_e32 v54, 7, v54
	v_cmp_gt_u32_e32 vcc, 8, v26
	v_cndmask_b32_e32 v26, v53, v55, vcc
	v_cndmask_b32_e32 v30, v30, v54, vcc
	v_lshlrev_b32_e32 v28, 24, v28
	v_lshlrev_b32_e32 v30, 20, v30
	v_and_b32_e32 v28, 0x80000000, v28
	v_lshl_add_u32 v26, v26, 23, v38
	v_or3_b32 v26, v28, v26, v30
	v_lshrrev_b32_e32 v53, 16, v26
.LBB940_111:                            ;   in Loop: Header=BB940_17 Depth=1
	s_or_b64 exec, exec, s[10:11]
.LBB940_112:                            ;   in Loop: Header=BB940_17 Depth=1
	s_or_b64 exec, exec, s[6:7]
.LBB940_113:                            ;   in Loop: Header=BB940_17 Depth=1
	s_or_b64 exec, exec, s[4:5]
	v_perm_b32 v54, v23, v32, s16
	buffer_load_dword v32, v36, s[0:3], 0 offen offset:16
	buffer_load_dword v30, v36, s[0:3], 0 offen offset:20
	;; [unrolled: 1-line block ×4, first 2 shown]
	v_perm_b32 v55, v40, v34, s16
	v_perm_b32 v53, v53, v52, s16
	;; [unrolled: 1-line block ×3, first 2 shown]
	v_mfma_f32_16x16x16bf16_1k v[18:21], v[54:55], v[6:7], v[18:21]
	v_mov_b32_e32 v23, 0
	v_mov_b32_e32 v40, 0
	s_waitcnt vmcnt(3)
	v_cmp_ne_u16_sdwa s[6:7], v32, v35 src0_sel:BYTE_0 src1_sel:DWORD
	v_mfma_f32_16x16x16bf16_1k v[18:21], v[52:53], v[8:9], v[18:21]
	s_and_saveexec_b64 s[4:5], s[6:7]
	s_cbranch_execz .LBB940_119
; %bb.114:                              ;   in Loop: Header=BB940_17 Depth=1
	v_cmp_ne_u16_sdwa s[10:11], v32, s13 src0_sel:BYTE_0 src1_sel:DWORD
	v_mov_b32_e32 v40, 0xffff8000
	s_and_saveexec_b64 s[6:7], s[10:11]
	s_cbranch_execz .LBB940_118
; %bb.115:                              ;   in Loop: Header=BB940_17 Depth=1
	v_and_b32_e32 v34, 0x7f, v32
	v_cmp_ne_u32_e32 vcc, s14, v34
	v_mov_b32_e32 v40, 0x7f80
	s_and_saveexec_b64 s[10:11], vcc
	s_cbranch_execz .LBB940_117
; %bb.116:                              ;   in Loop: Header=BB940_17 Depth=1
	v_and_b32_e32 v40, 7, v32
	v_ffbh_u32_e32 v44, v40
	v_min_u32_e32 v44, 32, v44
	v_subrev_u32_e32 v52, 28, v44
	v_lshlrev_b64 v[52:53], v52, v[32:33]
	v_lshrrev_b32_e32 v42, 3, v34
	v_sub_u32_e32 v44, 29, v44
	v_and_b32_e32 v52, 7, v52
	v_cmp_gt_u32_e32 vcc, 8, v34
	v_cndmask_b32_e32 v34, v42, v44, vcc
	v_cndmask_b32_e32 v40, v40, v52, vcc
	v_lshlrev_b32_e32 v42, 24, v32
	v_lshlrev_b32_e32 v40, 20, v40
	v_and_b32_e32 v42, 0x80000000, v42
	v_lshl_add_u32 v34, v34, 23, v38
	v_or3_b32 v34, v42, v34, v40
	v_lshrrev_b32_e32 v40, 16, v34
.LBB940_117:                            ;   in Loop: Header=BB940_17 Depth=1
	s_or_b64 exec, exec, s[10:11]
.LBB940_118:                            ;   in Loop: Header=BB940_17 Depth=1
	s_or_b64 exec, exec, s[6:7]
.LBB940_119:                            ;   in Loop: Header=BB940_17 Depth=1
	s_or_b64 exec, exec, s[4:5]
	v_lshrrev_b16_e32 v34, 8, v32
	v_cmp_ne_u16_e32 vcc, 0, v34
	s_and_saveexec_b64 s[4:5], vcc
	s_cbranch_execz .LBB940_125
; %bb.120:                              ;   in Loop: Header=BB940_17 Depth=1
	v_cmp_ne_u16_e32 vcc, s13, v34
	v_mov_b32_e32 v23, 0xffff8000
	s_and_saveexec_b64 s[6:7], vcc
	s_cbranch_execz .LBB940_124
; %bb.121:                              ;   in Loop: Header=BB940_17 Depth=1
	v_and_b32_e32 v42, 0x7f, v34
	v_cmp_ne_u32_e32 vcc, s14, v42
	v_mov_b32_e32 v23, 0x7f80
	s_and_saveexec_b64 s[10:11], vcc
	s_cbranch_execz .LBB940_123
; %bb.122:                              ;   in Loop: Header=BB940_17 Depth=1
	v_and_b32_e32 v23, 7, v34
	v_ffbh_u32_e32 v52, v23
	v_min_u32_e32 v54, 32, v52
	v_subrev_u32_e32 v52, 28, v54
	v_lshlrev_b64 v[52:53], v52, v[34:35]
	v_lshrrev_b32_e32 v44, 3, v42
	v_sub_u32_e32 v34, 29, v54
	v_and_b32_e32 v52, 7, v52
	v_cmp_gt_u32_e32 vcc, 8, v42
	v_cndmask_b32_e32 v34, v44, v34, vcc
	v_cndmask_b32_e32 v23, v23, v52, vcc
	v_lshlrev_b32_e32 v42, 16, v32
	v_lshlrev_b32_e32 v23, 20, v23
	v_and_b32_e32 v42, 0x80000000, v42
	v_lshl_add_u32 v34, v34, 23, v38
	v_or3_b32 v23, v42, v34, v23
	v_lshrrev_b32_e32 v23, 16, v23
.LBB940_123:                            ;   in Loop: Header=BB940_17 Depth=1
	s_or_b64 exec, exec, s[10:11]
.LBB940_124:                            ;   in Loop: Header=BB940_17 Depth=1
	s_or_b64 exec, exec, s[6:7]
.LBB940_125:                            ;   in Loop: Header=BB940_17 Depth=1
	s_or_b64 exec, exec, s[4:5]
	v_lshrrev_b32_e32 v34, 16, v32
	v_cmp_ne_u16_sdwa s[6:7], v34, v35 src0_sel:BYTE_0 src1_sel:DWORD
	v_mov_b32_e32 v44, 0
	v_mov_b32_e32 v42, 0
	s_and_saveexec_b64 s[4:5], s[6:7]
	s_cbranch_execz .LBB940_131
; %bb.126:                              ;   in Loop: Header=BB940_17 Depth=1
	v_cmp_ne_u16_sdwa s[10:11], v34, s13 src0_sel:BYTE_0 src1_sel:DWORD
	v_mov_b32_e32 v42, 0xffff8000
	s_and_saveexec_b64 s[6:7], s[10:11]
	s_cbranch_execz .LBB940_130
; %bb.127:                              ;   in Loop: Header=BB940_17 Depth=1
	v_bfe_u32 v52, v32, 16, 7
	v_cmp_ne_u32_e32 vcc, s14, v52
	v_mov_b32_e32 v42, 0x7f80
	s_and_saveexec_b64 s[10:11], vcc
	s_cbranch_execz .LBB940_129
; %bb.128:                              ;   in Loop: Header=BB940_17 Depth=1
	v_and_b32_e32 v42, 7, v34
	v_ffbh_u32_e32 v54, v42
	v_min_u32_e32 v56, 32, v54
	v_subrev_u32_e32 v54, 28, v56
	v_lshlrev_b64 v[54:55], v54, v[34:35]
	v_lshrrev_b32_e32 v53, 3, v52
	v_sub_u32_e32 v55, 29, v56
	v_and_b32_e32 v54, 7, v54
	v_cmp_gt_u32_e32 vcc, 8, v52
	v_cndmask_b32_e32 v52, v53, v55, vcc
	v_cndmask_b32_e32 v42, v42, v54, vcc
	v_lshlrev_b32_e32 v34, 24, v34
	v_lshlrev_b32_e32 v42, 20, v42
	v_and_b32_e32 v34, 0x80000000, v34
	v_lshl_add_u32 v52, v52, 23, v38
	v_or3_b32 v34, v34, v52, v42
	v_lshrrev_b32_e32 v42, 16, v34
.LBB940_129:                            ;   in Loop: Header=BB940_17 Depth=1
	s_or_b64 exec, exec, s[10:11]
.LBB940_130:                            ;   in Loop: Header=BB940_17 Depth=1
	s_or_b64 exec, exec, s[6:7]
.LBB940_131:                            ;   in Loop: Header=BB940_17 Depth=1
	s_or_b64 exec, exec, s[4:5]
	v_cmp_lt_u32_e32 vcc, s15, v32
	s_and_saveexec_b64 s[4:5], vcc
	s_cbranch_execz .LBB940_137
; %bb.132:                              ;   in Loop: Header=BB940_17 Depth=1
	v_lshrrev_b32_e32 v34, 24, v32
	v_cmp_ne_u32_e32 vcc, s13, v34
	v_mov_b32_e32 v44, 0xffff8000
	s_and_saveexec_b64 s[6:7], vcc
	s_cbranch_execz .LBB940_136
; %bb.133:                              ;   in Loop: Header=BB940_17 Depth=1
	v_bfe_u32 v32, v32, 24, 7
	v_cmp_ne_u32_e32 vcc, s14, v32
	v_mov_b32_e32 v44, 0x7f80
	s_and_saveexec_b64 s[10:11], vcc
	s_cbranch_execz .LBB940_135
; %bb.134:                              ;   in Loop: Header=BB940_17 Depth=1
	v_and_b32_e32 v44, 7, v34
	v_ffbh_u32_e32 v52, v44
	v_min_u32_e32 v55, 32, v52
	v_subrev_u32_e32 v52, 28, v55
	v_lshlrev_b64 v[52:53], v52, v[34:35]
	v_lshrrev_b32_e32 v54, 3, v32
	v_sub_u32_e32 v53, 29, v55
	v_and_b32_e32 v52, 7, v52
	v_cmp_gt_u32_e32 vcc, 8, v32
	v_cndmask_b32_e32 v32, v54, v53, vcc
	v_cndmask_b32_e32 v44, v44, v52, vcc
	v_lshlrev_b32_e32 v34, 24, v34
	v_lshlrev_b32_e32 v44, 20, v44
	v_and_b32_e32 v34, 0x80000000, v34
	v_lshl_add_u32 v32, v32, 23, v38
	v_or3_b32 v32, v34, v32, v44
	v_lshrrev_b32_e32 v44, 16, v32
.LBB940_135:                            ;   in Loop: Header=BB940_17 Depth=1
	s_or_b64 exec, exec, s[10:11]
.LBB940_136:                            ;   in Loop: Header=BB940_17 Depth=1
	s_or_b64 exec, exec, s[6:7]
.LBB940_137:                            ;   in Loop: Header=BB940_17 Depth=1
	s_or_b64 exec, exec, s[4:5]
	s_waitcnt vmcnt(2)
	v_cmp_ne_u16_sdwa s[6:7], v30, v35 src0_sel:BYTE_0 src1_sel:DWORD
	v_mov_b32_e32 v34, 0
	v_mov_b32_e32 v52, 0
	s_and_saveexec_b64 s[4:5], s[6:7]
	s_cbranch_execz .LBB940_143
; %bb.138:                              ;   in Loop: Header=BB940_17 Depth=1
	v_cmp_ne_u16_sdwa s[10:11], v30, s13 src0_sel:BYTE_0 src1_sel:DWORD
	v_mov_b32_e32 v52, 0xffff8000
	s_and_saveexec_b64 s[6:7], s[10:11]
	s_cbranch_execz .LBB940_142
; %bb.139:                              ;   in Loop: Header=BB940_17 Depth=1
	v_and_b32_e32 v32, 0x7f, v30
	v_cmp_ne_u32_e32 vcc, s14, v32
	v_mov_b32_e32 v52, 0x7f80
	s_and_saveexec_b64 s[10:11], vcc
	s_cbranch_execz .LBB940_141
; %bb.140:                              ;   in Loop: Header=BB940_17 Depth=1
	v_and_b32_e32 v54, 7, v30
	v_ffbh_u32_e32 v52, v54
	v_min_u32_e32 v56, 32, v52
	v_subrev_u32_e32 v52, 28, v56
	v_lshlrev_b64 v[52:53], v52, v[30:31]
	v_lshrrev_b32_e32 v55, 3, v32
	v_sub_u32_e32 v53, 29, v56
	v_and_b32_e32 v52, 7, v52
	v_cmp_gt_u32_e32 vcc, 8, v32
	v_cndmask_b32_e32 v32, v55, v53, vcc
	v_cndmask_b32_e32 v52, v54, v52, vcc
	v_lshlrev_b32_e32 v53, 24, v30
	v_lshlrev_b32_e32 v52, 20, v52
	v_and_b32_e32 v53, 0x80000000, v53
	v_lshl_add_u32 v32, v32, 23, v38
	v_or3_b32 v32, v53, v32, v52
	v_lshrrev_b32_e32 v52, 16, v32
.LBB940_141:                            ;   in Loop: Header=BB940_17 Depth=1
	s_or_b64 exec, exec, s[10:11]
.LBB940_142:                            ;   in Loop: Header=BB940_17 Depth=1
	s_or_b64 exec, exec, s[6:7]
.LBB940_143:                            ;   in Loop: Header=BB940_17 Depth=1
	s_or_b64 exec, exec, s[4:5]
	v_lshrrev_b16_e32 v32, 8, v30
	v_cmp_ne_u16_e32 vcc, 0, v32
	s_and_saveexec_b64 s[4:5], vcc
	s_cbranch_execz .LBB940_149
; %bb.144:                              ;   in Loop: Header=BB940_17 Depth=1
	v_cmp_ne_u16_e32 vcc, s13, v32
	v_mov_b32_e32 v34, 0xffff8000
	s_and_saveexec_b64 s[6:7], vcc
	s_cbranch_execz .LBB940_148
; %bb.145:                              ;   in Loop: Header=BB940_17 Depth=1
	v_and_b32_e32 v53, 0x7f, v32
	v_cmp_ne_u32_e32 vcc, s14, v53
	v_mov_b32_e32 v34, 0x7f80
	s_and_saveexec_b64 s[10:11], vcc
	s_cbranch_execz .LBB940_147
; %bb.146:                              ;   in Loop: Header=BB940_17 Depth=1
	v_and_b32_e32 v34, 7, v32
	v_ffbh_u32_e32 v54, v34
	v_min_u32_e32 v57, 32, v54
	v_subrev_u32_e32 v54, 28, v57
	v_lshlrev_b64 v[54:55], v54, v[32:33]
	v_lshrrev_b32_e32 v56, 3, v53
	v_sub_u32_e32 v32, 29, v57
	v_and_b32_e32 v54, 7, v54
	v_cmp_gt_u32_e32 vcc, 8, v53
	v_cndmask_b32_e32 v32, v56, v32, vcc
	v_cndmask_b32_e32 v34, v34, v54, vcc
	v_lshlrev_b32_e32 v53, 16, v30
	v_lshlrev_b32_e32 v34, 20, v34
	v_and_b32_e32 v53, 0x80000000, v53
	v_lshl_add_u32 v32, v32, 23, v38
	v_or3_b32 v32, v53, v32, v34
	v_lshrrev_b32_e32 v34, 16, v32
.LBB940_147:                            ;   in Loop: Header=BB940_17 Depth=1
	s_or_b64 exec, exec, s[10:11]
.LBB940_148:                            ;   in Loop: Header=BB940_17 Depth=1
	s_or_b64 exec, exec, s[6:7]
.LBB940_149:                            ;   in Loop: Header=BB940_17 Depth=1
	s_or_b64 exec, exec, s[4:5]
	v_lshrrev_b32_e32 v32, 16, v30
	v_cmp_ne_u16_sdwa s[6:7], v32, v35 src0_sel:BYTE_0 src1_sel:DWORD
	v_mov_b32_e32 v54, 0
	v_mov_b32_e32 v53, 0
	s_and_saveexec_b64 s[4:5], s[6:7]
	s_cbranch_execz .LBB940_155
; %bb.150:                              ;   in Loop: Header=BB940_17 Depth=1
	v_cmp_ne_u16_sdwa s[10:11], v32, s13 src0_sel:BYTE_0 src1_sel:DWORD
	v_mov_b32_e32 v53, 0xffff8000
	s_and_saveexec_b64 s[6:7], s[10:11]
	s_cbranch_execz .LBB940_154
; %bb.151:                              ;   in Loop: Header=BB940_17 Depth=1
	v_bfe_u32 v55, v30, 16, 7
	v_cmp_ne_u32_e32 vcc, s14, v55
	v_mov_b32_e32 v53, 0x7f80
	s_and_saveexec_b64 s[10:11], vcc
	s_cbranch_execz .LBB940_153
; %bb.152:                              ;   in Loop: Header=BB940_17 Depth=1
	v_and_b32_e32 v53, 7, v32
	v_ffbh_u32_e32 v56, v53
	v_min_u32_e32 v59, 32, v56
	v_subrev_u32_e32 v56, 28, v59
	v_lshlrev_b64 v[56:57], v56, v[32:33]
	v_lshrrev_b32_e32 v58, 3, v55
	v_sub_u32_e32 v57, 29, v59
	v_and_b32_e32 v56, 7, v56
	v_cmp_gt_u32_e32 vcc, 8, v55
	v_cndmask_b32_e32 v55, v58, v57, vcc
	v_cndmask_b32_e32 v53, v53, v56, vcc
	v_lshlrev_b32_e32 v32, 24, v32
	v_lshlrev_b32_e32 v53, 20, v53
	v_and_b32_e32 v32, 0x80000000, v32
	v_lshl_add_u32 v55, v55, 23, v38
	v_or3_b32 v32, v32, v55, v53
	v_lshrrev_b32_e32 v53, 16, v32
.LBB940_153:                            ;   in Loop: Header=BB940_17 Depth=1
	s_or_b64 exec, exec, s[10:11]
.LBB940_154:                            ;   in Loop: Header=BB940_17 Depth=1
	s_or_b64 exec, exec, s[6:7]
.LBB940_155:                            ;   in Loop: Header=BB940_17 Depth=1
	s_or_b64 exec, exec, s[4:5]
	v_cmp_lt_u32_e32 vcc, s15, v30
	s_and_saveexec_b64 s[4:5], vcc
	s_cbranch_execz .LBB940_161
; %bb.156:                              ;   in Loop: Header=BB940_17 Depth=1
	v_lshrrev_b32_e32 v32, 24, v30
	v_cmp_ne_u32_e32 vcc, s13, v32
	v_mov_b32_e32 v54, 0xffff8000
	s_and_saveexec_b64 s[6:7], vcc
	s_cbranch_execz .LBB940_160
; %bb.157:                              ;   in Loop: Header=BB940_17 Depth=1
	v_bfe_u32 v30, v30, 24, 7
	v_cmp_ne_u32_e32 vcc, s14, v30
	v_mov_b32_e32 v54, 0x7f80
	s_and_saveexec_b64 s[10:11], vcc
	s_cbranch_execz .LBB940_159
; %bb.158:                              ;   in Loop: Header=BB940_17 Depth=1
	v_and_b32_e32 v56, 7, v32
	v_ffbh_u32_e32 v54, v56
	v_min_u32_e32 v58, 32, v54
	v_subrev_u32_e32 v54, 28, v58
	v_lshlrev_b64 v[54:55], v54, v[32:33]
	v_lshrrev_b32_e32 v57, 3, v30
	v_sub_u32_e32 v55, 29, v58
	v_and_b32_e32 v54, 7, v54
	v_cmp_gt_u32_e32 vcc, 8, v30
	v_cndmask_b32_e32 v30, v57, v55, vcc
	v_cndmask_b32_e32 v54, v56, v54, vcc
	v_lshlrev_b32_e32 v32, 24, v32
	v_lshlrev_b32_e32 v54, 20, v54
	v_and_b32_e32 v32, 0x80000000, v32
	v_lshl_add_u32 v30, v30, 23, v38
	v_or3_b32 v30, v32, v30, v54
	v_lshrrev_b32_e32 v54, 16, v30
.LBB940_159:                            ;   in Loop: Header=BB940_17 Depth=1
	s_or_b64 exec, exec, s[10:11]
.LBB940_160:                            ;   in Loop: Header=BB940_17 Depth=1
	s_or_b64 exec, exec, s[6:7]
.LBB940_161:                            ;   in Loop: Header=BB940_17 Depth=1
	s_or_b64 exec, exec, s[4:5]
	v_perm_b32 v57, v44, v42, s16
	v_perm_b32 v56, v23, v40, s16
	;; [unrolled: 1-line block ×4, first 2 shown]
	s_waitcnt vmcnt(1)
	v_cmp_ne_u16_sdwa s[6:7], v28, v35 src0_sel:BYTE_0 src1_sel:DWORD
	v_mfma_f32_16x16x16bf16_1k v[18:21], v[56:57], v[10:11], v[18:21]
	v_mov_b32_e32 v23, 0
	v_mov_b32_e32 v32, 0
	v_mfma_f32_16x16x16bf16_1k v[18:21], v[52:53], v[12:13], v[18:21]
	s_and_saveexec_b64 s[4:5], s[6:7]
	s_cbranch_execz .LBB940_167
; %bb.162:                              ;   in Loop: Header=BB940_17 Depth=1
	v_cmp_ne_u16_sdwa s[10:11], v28, s13 src0_sel:BYTE_0 src1_sel:DWORD
	v_mov_b32_e32 v32, 0xffff8000
	s_and_saveexec_b64 s[6:7], s[10:11]
	s_cbranch_execz .LBB940_166
; %bb.163:                              ;   in Loop: Header=BB940_17 Depth=1
	v_and_b32_e32 v30, 0x7f, v28
	v_cmp_ne_u32_e32 vcc, s14, v30
	v_mov_b32_e32 v32, 0x7f80
	s_and_saveexec_b64 s[10:11], vcc
	s_cbranch_execz .LBB940_165
; %bb.164:                              ;   in Loop: Header=BB940_17 Depth=1
	v_and_b32_e32 v32, 7, v28
	v_ffbh_u32_e32 v40, v32
	v_min_u32_e32 v40, 32, v40
	v_subrev_u32_e32 v42, 28, v40
	v_lshlrev_b64 v[52:53], v42, v[28:29]
	v_lshrrev_b32_e32 v34, 3, v30
	v_sub_u32_e32 v40, 29, v40
	v_and_b32_e32 v42, 7, v52
	v_cmp_gt_u32_e32 vcc, 8, v30
	v_cndmask_b32_e32 v30, v34, v40, vcc
	v_cndmask_b32_e32 v32, v32, v42, vcc
	v_lshlrev_b32_e32 v34, 24, v28
	v_lshlrev_b32_e32 v32, 20, v32
	v_and_b32_e32 v34, 0x80000000, v34
	v_lshl_add_u32 v30, v30, 23, v38
	v_or3_b32 v30, v34, v30, v32
	v_lshrrev_b32_e32 v32, 16, v30
.LBB940_165:                            ;   in Loop: Header=BB940_17 Depth=1
	s_or_b64 exec, exec, s[10:11]
.LBB940_166:                            ;   in Loop: Header=BB940_17 Depth=1
	s_or_b64 exec, exec, s[6:7]
.LBB940_167:                            ;   in Loop: Header=BB940_17 Depth=1
	s_or_b64 exec, exec, s[4:5]
	v_lshrrev_b16_e32 v30, 8, v28
	v_cmp_ne_u16_e32 vcc, 0, v30
	s_and_saveexec_b64 s[4:5], vcc
	s_cbranch_execz .LBB940_173
; %bb.168:                              ;   in Loop: Header=BB940_17 Depth=1
	v_cmp_ne_u16_e32 vcc, s13, v30
	v_mov_b32_e32 v23, 0xffff8000
	s_and_saveexec_b64 s[6:7], vcc
	s_cbranch_execz .LBB940_172
; %bb.169:                              ;   in Loop: Header=BB940_17 Depth=1
	v_and_b32_e32 v34, 0x7f, v30
	v_cmp_ne_u32_e32 vcc, s14, v34
	v_mov_b32_e32 v23, 0x7f80
	s_and_saveexec_b64 s[10:11], vcc
	s_cbranch_execz .LBB940_171
; %bb.170:                              ;   in Loop: Header=BB940_17 Depth=1
	v_and_b32_e32 v23, 7, v30
	v_ffbh_u32_e32 v42, v23
	v_min_u32_e32 v42, 32, v42
	v_subrev_u32_e32 v44, 28, v42
	v_lshlrev_b64 v[52:53], v44, v[30:31]
	v_lshrrev_b32_e32 v40, 3, v34
	v_sub_u32_e32 v30, 29, v42
	v_and_b32_e32 v42, 7, v52
	v_cmp_gt_u32_e32 vcc, 8, v34
	v_cndmask_b32_e32 v30, v40, v30, vcc
	v_cndmask_b32_e32 v23, v23, v42, vcc
	v_lshlrev_b32_e32 v34, 16, v28
	v_lshlrev_b32_e32 v23, 20, v23
	v_and_b32_e32 v34, 0x80000000, v34
	v_lshl_add_u32 v30, v30, 23, v38
	v_or3_b32 v23, v34, v30, v23
	v_lshrrev_b32_e32 v23, 16, v23
.LBB940_171:                            ;   in Loop: Header=BB940_17 Depth=1
	s_or_b64 exec, exec, s[10:11]
.LBB940_172:                            ;   in Loop: Header=BB940_17 Depth=1
	s_or_b64 exec, exec, s[6:7]
.LBB940_173:                            ;   in Loop: Header=BB940_17 Depth=1
	s_or_b64 exec, exec, s[4:5]
	v_lshrrev_b32_e32 v30, 16, v28
	v_cmp_ne_u16_sdwa s[6:7], v30, v35 src0_sel:BYTE_0 src1_sel:DWORD
	v_mov_b32_e32 v40, 0
	v_mov_b32_e32 v34, 0
	s_and_saveexec_b64 s[4:5], s[6:7]
	s_cbranch_execz .LBB940_179
; %bb.174:                              ;   in Loop: Header=BB940_17 Depth=1
	v_cmp_ne_u16_sdwa s[10:11], v30, s13 src0_sel:BYTE_0 src1_sel:DWORD
	v_mov_b32_e32 v34, 0xffff8000
	s_and_saveexec_b64 s[6:7], s[10:11]
	s_cbranch_execz .LBB940_178
; %bb.175:                              ;   in Loop: Header=BB940_17 Depth=1
	v_bfe_u32 v42, v28, 16, 7
	v_cmp_ne_u32_e32 vcc, s14, v42
	v_mov_b32_e32 v34, 0x7f80
	s_and_saveexec_b64 s[10:11], vcc
	s_cbranch_execz .LBB940_177
; %bb.176:                              ;   in Loop: Header=BB940_17 Depth=1
	v_and_b32_e32 v34, 7, v30
	v_ffbh_u32_e32 v52, v34
	v_min_u32_e32 v54, 32, v52
	v_subrev_u32_e32 v52, 28, v54
	v_lshlrev_b64 v[52:53], v52, v[30:31]
	v_lshrrev_b32_e32 v44, 3, v42
	v_sub_u32_e32 v53, 29, v54
	v_and_b32_e32 v52, 7, v52
	v_cmp_gt_u32_e32 vcc, 8, v42
	v_cndmask_b32_e32 v42, v44, v53, vcc
	v_cndmask_b32_e32 v34, v34, v52, vcc
	v_lshlrev_b32_e32 v30, 24, v30
	v_lshlrev_b32_e32 v34, 20, v34
	v_and_b32_e32 v30, 0x80000000, v30
	v_lshl_add_u32 v42, v42, 23, v38
	v_or3_b32 v30, v30, v42, v34
	v_lshrrev_b32_e32 v34, 16, v30
.LBB940_177:                            ;   in Loop: Header=BB940_17 Depth=1
	s_or_b64 exec, exec, s[10:11]
.LBB940_178:                            ;   in Loop: Header=BB940_17 Depth=1
	s_or_b64 exec, exec, s[6:7]
.LBB940_179:                            ;   in Loop: Header=BB940_17 Depth=1
	s_or_b64 exec, exec, s[4:5]
	v_cmp_lt_u32_e32 vcc, s15, v28
	s_and_saveexec_b64 s[4:5], vcc
	s_cbranch_execz .LBB940_185
; %bb.180:                              ;   in Loop: Header=BB940_17 Depth=1
	v_lshrrev_b32_e32 v30, 24, v28
	v_cmp_ne_u32_e32 vcc, s13, v30
	v_mov_b32_e32 v40, 0xffff8000
	s_and_saveexec_b64 s[6:7], vcc
	s_cbranch_execz .LBB940_184
; %bb.181:                              ;   in Loop: Header=BB940_17 Depth=1
	v_bfe_u32 v28, v28, 24, 7
	v_cmp_ne_u32_e32 vcc, s14, v28
	v_mov_b32_e32 v40, 0x7f80
	s_and_saveexec_b64 s[10:11], vcc
	s_cbranch_execz .LBB940_183
; %bb.182:                              ;   in Loop: Header=BB940_17 Depth=1
	v_and_b32_e32 v40, 7, v30
	v_ffbh_u32_e32 v44, v40
	v_min_u32_e32 v44, 32, v44
	v_subrev_u32_e32 v52, 28, v44
	v_lshlrev_b64 v[52:53], v52, v[30:31]
	v_lshrrev_b32_e32 v42, 3, v28
	v_sub_u32_e32 v44, 29, v44
	v_and_b32_e32 v52, 7, v52
	v_cmp_gt_u32_e32 vcc, 8, v28
	v_cndmask_b32_e32 v28, v42, v44, vcc
	v_cndmask_b32_e32 v40, v40, v52, vcc
	v_lshlrev_b32_e32 v30, 24, v30
	v_lshlrev_b32_e32 v40, 20, v40
	v_and_b32_e32 v30, 0x80000000, v30
	v_lshl_add_u32 v28, v28, 23, v38
	v_or3_b32 v28, v30, v28, v40
	v_lshrrev_b32_e32 v40, 16, v28
.LBB940_183:                            ;   in Loop: Header=BB940_17 Depth=1
	s_or_b64 exec, exec, s[10:11]
.LBB940_184:                            ;   in Loop: Header=BB940_17 Depth=1
	s_or_b64 exec, exec, s[6:7]
.LBB940_185:                            ;   in Loop: Header=BB940_17 Depth=1
	s_or_b64 exec, exec, s[4:5]
	s_waitcnt vmcnt(0)
	v_cmp_ne_u16_sdwa s[6:7], v26, v35 src0_sel:BYTE_0 src1_sel:DWORD
	v_mov_b32_e32 v30, 0
	v_mov_b32_e32 v42, 0
	s_and_saveexec_b64 s[4:5], s[6:7]
	s_cbranch_execz .LBB940_191
; %bb.186:                              ;   in Loop: Header=BB940_17 Depth=1
	v_cmp_ne_u16_sdwa s[10:11], v26, s13 src0_sel:BYTE_0 src1_sel:DWORD
	v_mov_b32_e32 v42, 0xffff8000
	s_and_saveexec_b64 s[6:7], s[10:11]
	s_cbranch_execz .LBB940_190
; %bb.187:                              ;   in Loop: Header=BB940_17 Depth=1
	v_and_b32_e32 v28, 0x7f, v26
	v_cmp_ne_u32_e32 vcc, s14, v28
	v_mov_b32_e32 v42, 0x7f80
	s_and_saveexec_b64 s[10:11], vcc
	s_cbranch_execz .LBB940_189
; %bb.188:                              ;   in Loop: Header=BB940_17 Depth=1
	v_and_b32_e32 v42, 7, v26
	v_ffbh_u32_e32 v52, v42
	v_min_u32_e32 v54, 32, v52
	v_subrev_u32_e32 v52, 28, v54
	v_lshlrev_b64 v[52:53], v52, v[26:27]
	v_lshrrev_b32_e32 v44, 3, v28
	v_sub_u32_e32 v53, 29, v54
	v_and_b32_e32 v52, 7, v52
	v_cmp_gt_u32_e32 vcc, 8, v28
	v_cndmask_b32_e32 v28, v44, v53, vcc
	v_cndmask_b32_e32 v42, v42, v52, vcc
	v_lshlrev_b32_e32 v44, 24, v26
	v_lshlrev_b32_e32 v42, 20, v42
	v_and_b32_e32 v44, 0x80000000, v44
	v_lshl_add_u32 v28, v28, 23, v38
	v_or3_b32 v28, v44, v28, v42
	v_lshrrev_b32_e32 v42, 16, v28
.LBB940_189:                            ;   in Loop: Header=BB940_17 Depth=1
	s_or_b64 exec, exec, s[10:11]
.LBB940_190:                            ;   in Loop: Header=BB940_17 Depth=1
	s_or_b64 exec, exec, s[6:7]
.LBB940_191:                            ;   in Loop: Header=BB940_17 Depth=1
	s_or_b64 exec, exec, s[4:5]
	v_lshrrev_b16_e32 v28, 8, v26
	v_cmp_ne_u16_e32 vcc, 0, v28
	s_and_saveexec_b64 s[4:5], vcc
	s_cbranch_execz .LBB940_197
; %bb.192:                              ;   in Loop: Header=BB940_17 Depth=1
	v_cmp_ne_u16_e32 vcc, s13, v28
	v_mov_b32_e32 v30, 0xffff8000
	s_and_saveexec_b64 s[6:7], vcc
	s_cbranch_execz .LBB940_196
; %bb.193:                              ;   in Loop: Header=BB940_17 Depth=1
	v_and_b32_e32 v44, 0x7f, v28
	v_cmp_ne_u32_e32 vcc, s14, v44
	v_mov_b32_e32 v30, 0x7f80
	s_and_saveexec_b64 s[10:11], vcc
	s_cbranch_execz .LBB940_195
; %bb.194:                              ;   in Loop: Header=BB940_17 Depth=1
	v_and_b32_e32 v30, 7, v28
	v_ffbh_u32_e32 v52, v30
	v_min_u32_e32 v55, 32, v52
	v_subrev_u32_e32 v52, 28, v55
	v_lshlrev_b64 v[52:53], v52, v[28:29]
	v_lshrrev_b32_e32 v54, 3, v44
	v_sub_u32_e32 v28, 29, v55
	v_and_b32_e32 v52, 7, v52
	v_cmp_gt_u32_e32 vcc, 8, v44
	v_cndmask_b32_e32 v28, v54, v28, vcc
	v_cndmask_b32_e32 v30, v30, v52, vcc
	v_lshlrev_b32_e32 v44, 16, v26
	v_lshlrev_b32_e32 v30, 20, v30
	v_and_b32_e32 v44, 0x80000000, v44
	v_lshl_add_u32 v28, v28, 23, v38
	v_or3_b32 v28, v44, v28, v30
	v_lshrrev_b32_e32 v30, 16, v28
.LBB940_195:                            ;   in Loop: Header=BB940_17 Depth=1
	s_or_b64 exec, exec, s[10:11]
.LBB940_196:                            ;   in Loop: Header=BB940_17 Depth=1
	s_or_b64 exec, exec, s[6:7]
.LBB940_197:                            ;   in Loop: Header=BB940_17 Depth=1
	s_or_b64 exec, exec, s[4:5]
	v_lshrrev_b32_e32 v28, 16, v26
	v_cmp_ne_u16_sdwa s[6:7], v28, v35 src0_sel:BYTE_0 src1_sel:DWORD
	v_mov_b32_e32 v52, 0
	v_mov_b32_e32 v44, 0
	s_and_saveexec_b64 s[4:5], s[6:7]
	s_cbranch_execz .LBB940_203
; %bb.198:                              ;   in Loop: Header=BB940_17 Depth=1
	v_cmp_ne_u16_sdwa s[10:11], v28, s13 src0_sel:BYTE_0 src1_sel:DWORD
	v_mov_b32_e32 v44, 0xffff8000
	s_and_saveexec_b64 s[6:7], s[10:11]
	s_cbranch_execz .LBB940_202
; %bb.199:                              ;   in Loop: Header=BB940_17 Depth=1
	v_bfe_u32 v53, v26, 16, 7
	v_cmp_ne_u32_e32 vcc, s14, v53
	v_mov_b32_e32 v44, 0x7f80
	s_and_saveexec_b64 s[10:11], vcc
	s_cbranch_execz .LBB940_201
; %bb.200:                              ;   in Loop: Header=BB940_17 Depth=1
	v_and_b32_e32 v44, 7, v28
	v_ffbh_u32_e32 v54, v44
	v_min_u32_e32 v57, 32, v54
	v_subrev_u32_e32 v54, 28, v57
	v_lshlrev_b64 v[54:55], v54, v[28:29]
	v_lshrrev_b32_e32 v56, 3, v53
	v_sub_u32_e32 v55, 29, v57
	v_and_b32_e32 v54, 7, v54
	v_cmp_gt_u32_e32 vcc, 8, v53
	v_cndmask_b32_e32 v53, v56, v55, vcc
	v_cndmask_b32_e32 v44, v44, v54, vcc
	v_lshlrev_b32_e32 v28, 24, v28
	v_lshlrev_b32_e32 v44, 20, v44
	v_and_b32_e32 v28, 0x80000000, v28
	v_lshl_add_u32 v53, v53, 23, v38
	v_or3_b32 v28, v28, v53, v44
	v_lshrrev_b32_e32 v44, 16, v28
.LBB940_201:                            ;   in Loop: Header=BB940_17 Depth=1
	s_or_b64 exec, exec, s[10:11]
.LBB940_202:                            ;   in Loop: Header=BB940_17 Depth=1
	s_or_b64 exec, exec, s[6:7]
.LBB940_203:                            ;   in Loop: Header=BB940_17 Depth=1
	s_or_b64 exec, exec, s[4:5]
	v_cmp_lt_u32_e32 vcc, s15, v26
	s_and_saveexec_b64 s[4:5], vcc
	s_cbranch_execz .LBB940_16
; %bb.204:                              ;   in Loop: Header=BB940_17 Depth=1
	v_lshrrev_b32_e32 v28, 24, v26
	v_cmp_ne_u32_e32 vcc, s13, v28
	v_mov_b32_e32 v52, 0xffff8000
	s_and_saveexec_b64 s[6:7], vcc
	s_cbranch_execz .LBB940_15
; %bb.205:                              ;   in Loop: Header=BB940_17 Depth=1
	v_bfe_u32 v26, v26, 24, 7
	v_cmp_ne_u32_e32 vcc, s14, v26
	v_mov_b32_e32 v52, 0x7f80
	s_and_saveexec_b64 s[10:11], vcc
	s_cbranch_execz .LBB940_14
; %bb.206:                              ;   in Loop: Header=BB940_17 Depth=1
	v_and_b32_e32 v54, 7, v28
	v_ffbh_u32_e32 v52, v54
	v_min_u32_e32 v56, 32, v52
	v_subrev_u32_e32 v52, 28, v56
	v_lshlrev_b64 v[52:53], v52, v[28:29]
	v_lshrrev_b32_e32 v55, 3, v26
	v_sub_u32_e32 v53, 29, v56
	v_and_b32_e32 v52, 7, v52
	v_cmp_gt_u32_e32 vcc, 8, v26
	v_cndmask_b32_e32 v26, v55, v53, vcc
	v_cndmask_b32_e32 v52, v54, v52, vcc
	v_lshlrev_b32_e32 v28, 24, v28
	v_lshlrev_b32_e32 v52, 20, v52
	v_and_b32_e32 v28, 0x80000000, v28
	v_lshl_add_u32 v26, v26, 23, v38
	v_or3_b32 v26, v28, v26, v52
	v_lshrrev_b32_e32 v52, 16, v26
	s_branch .LBB940_14
.LBB940_207:
	buffer_load_dword v17, off, s[0:3], 0 offset:256
	buffer_load_dword v16, off, s[0:3], 0 offset:260
	;; [unrolled: 1-line block ×16, first 2 shown]
	v_and_b32_e32 v18, 0xc0, v0
	v_add_u32_e32 v18, s20, v18
	v_lshl_or_b32 v18, v1, 2, v18
	v_or_b32_e32 v20, 1, v18
	v_subrev_u32_e32 v24, s33, v20
	v_add_u32_e32 v26, 1, v24
	v_cvt_f32_i32_e32 v25, v24
	v_add_u32_e32 v28, 2, v24
	v_add_u32_e32 v30, 3, v24
	;; [unrolled: 1-line block ×14, first 2 shown]
	v_cvt_f32_i32_e32 v26, v26
	v_cvt_f32_i32_e32 v28, v28
	;; [unrolled: 1-line block ×4, first 2 shown]
	v_mov_b32_e32 v19, 0xff7fffff
	v_or_b32_e32 v21, 2, v18
	v_or_b32_e32 v22, 3, v18
	v_cvt_f32_i32_e32 v32, v32
	v_cvt_f32_i32_e32 v34, v34
	v_cmp_gt_i32_e64 s[28:29], s33, v18
	v_cmp_gt_i32_e64 s[30:31], s33, v20
	s_mov_b32 s52, 0xff7fffff
	v_cmp_gt_i32_e64 s[34:35], s33, v21
	v_cmp_gt_i32_e64 s[36:37], s33, v22
	v_or_b32_e32 v23, 16, v18
	v_cvt_f32_i32_e32 v35, v35
	v_cvt_f32_i32_e32 v36, v36
	v_cmp_gt_i32_e64 s[24:25], s33, v23
	v_cvt_f32_i32_e32 v37, v37
	v_cvt_f32_i32_e32 v38, v38
	v_cvt_f32_i32_e32 v40, v40
	v_cvt_f32_i32_e32 v42, v42
	v_cvt_f32_i32_e32 v44, v44
	v_cvt_f32_i32_e32 v52, v52
	v_cvt_f32_i32_e32 v53, v53
	s_waitcnt vmcnt(15)
	v_fmac_f32_e32 v17, v31, v25
	s_waitcnt vmcnt(14)
	v_fmac_f32_e32 v16, v31, v26
	;; [unrolled: 2-line block ×4, first 2 shown]
	v_cndmask_b32_e64 v20, v19, v16, s[30:31]
	v_cndmask_b32_e64 v21, v19, v15, s[34:35]
	;; [unrolled: 1-line block ×3, first 2 shown]
	s_waitcnt vmcnt(11)
	v_fmac_f32_e32 v13, v31, v32
	s_waitcnt vmcnt(10)
	v_fmac_f32_e32 v12, v31, v34
	;; [unrolled: 2-line block ×9, first 2 shown]
	v_cndmask_b32_e64 v24, v19, v17, s[28:29]
	v_max3_f32 v20, v24, s52, v20
	v_max3_f32 v20, v20, v21, v22
	v_or_b32_e32 v22, 17, v18
	v_cmp_gt_i32_e64 s[38:39], s33, v22
	v_cndmask_b32_e64 v21, v19, v13, s[24:25]
	v_cndmask_b32_e64 v22, v19, v12, s[38:39]
	v_max3_f32 v20, v20, v21, v22
	v_or_b32_e32 v21, 18, v18
	v_or_b32_e32 v22, 19, v18
	v_cmp_gt_i32_e64 s[20:21], s33, v21
	v_cmp_gt_i32_e64 s[22:23], s33, v22
	v_cndmask_b32_e64 v21, v19, v11, s[20:21]
	v_cndmask_b32_e64 v22, v19, v10, s[22:23]
	v_max3_f32 v20, v20, v21, v22
	v_or_b32_e32 v21, 32, v18
	v_or_b32_e32 v22, 33, v18
	v_cmp_gt_i32_e64 s[16:17], s33, v21
	;; [unrolled: 7-line block ×3, first 2 shown]
	v_cmp_gt_i32_e64 s[14:15], s33, v22
	v_cndmask_b32_e64 v21, v19, v7, s[12:13]
	v_cndmask_b32_e64 v22, v19, v6, s[14:15]
	v_max3_f32 v20, v20, v21, v22
	v_or_b32_e32 v21, 48, v18
	v_or_b32_e32 v22, 49, v18
	v_fmac_f32_e32 v5, v31, v44
	v_fmac_f32_e32 v4, v31, v52
	v_cmp_gt_i32_e64 s[6:7], s33, v21
	v_cmp_gt_i32_e64 s[10:11], s33, v22
	v_cndmask_b32_e64 v21, v19, v5, s[6:7]
	v_cndmask_b32_e64 v22, v19, v4, s[10:11]
	v_max3_f32 v20, v20, v21, v22
	v_or_b32_e32 v21, 50, v18
	v_or_b32_e32 v18, 51, v18
	v_fmac_f32_e32 v3, v31, v53
	v_cmp_gt_i32_e32 vcc, s33, v21
	v_cmp_gt_i32_e64 s[4:5], s33, v18
	v_cndmask_b32_e32 v21, v19, v3, vcc
	v_cndmask_b32_e64 v18, v19, v2, s[4:5]
	v_mbcnt_lo_u32_b32 v19, -1, 0
	v_mbcnt_hi_u32_b32 v19, -1, v19
	v_max3_f32 v18, v20, v21, v18
	v_and_b32_e32 v20, 64, v19
	v_add_u32_e32 v20, 64, v20
	v_xor_b32_e32 v21, 32, v19
	v_cmp_lt_i32_e64 s[40:41], v21, v20
	v_cndmask_b32_e64 v21, v19, v21, s[40:41]
	v_lshlrev_b32_e32 v21, 2, v21
	ds_bpermute_b32 v22, v21, v18
	s_waitcnt lgkmcnt(0)
	v_max_f32_e32 v22, v22, v22
	v_max_f32_e32 v18, v18, v22
	v_xor_b32_e32 v22, 16, v19
	v_cmp_lt_i32_e64 s[40:41], v22, v20
	v_cndmask_b32_e64 v19, v19, v22, s[40:41]
	v_lshlrev_b32_e32 v19, 2, v19
	ds_bpermute_b32 v20, v19, v18
	s_waitcnt lgkmcnt(0)
	v_max_f32_e32 v20, v20, v20
	v_max_f32_e32 v18, v18, v20
	v_sub_f32_e32 v17, v17, v18
	v_mul_f32_e32 v17, 0x3fb8aa3b, v17
	v_sub_f32_e32 v16, v16, v18
	v_exp_f32_e32 v17, v17
	v_mul_f32_e32 v16, 0x3fb8aa3b, v16
	v_sub_f32_e32 v15, v15, v18
	v_exp_f32_e32 v16, v16
	;; [unrolled: 3-line block ×4, first 2 shown]
	v_mul_f32_e32 v13, 0x3fb8aa3b, v13
	v_sub_f32_e32 v12, v12, v18
	v_cndmask_b32_e64 v17, 0, v17, s[28:29]
	v_exp_f32_e32 v13, v13
	v_mul_f32_e32 v12, 0x3fb8aa3b, v12
	v_sub_f32_e32 v11, v11, v18
	v_add_f32_e32 v20, 0, v17
	v_cndmask_b32_e64 v16, 0, v16, s[30:31]
	v_exp_f32_e32 v12, v12
	v_mul_f32_e32 v11, 0x3fb8aa3b, v11
	v_sub_f32_e32 v10, v10, v18
	v_add_f32_e32 v20, v20, v16
	v_cndmask_b32_e64 v15, 0, v15, s[34:35]
	v_exp_f32_e32 v11, v11
	v_mul_f32_e32 v10, 0x3fb8aa3b, v10
	v_sub_f32_e32 v9, v9, v18
	v_add_f32_e32 v20, v20, v15
	v_cndmask_b32_e64 v14, 0, v14, s[36:37]
	v_exp_f32_e32 v10, v10
	v_mul_f32_e32 v9, 0x3fb8aa3b, v9
	v_sub_f32_e32 v8, v8, v18
	v_add_f32_e32 v20, v20, v14
	v_cndmask_b32_e64 v13, 0, v13, s[24:25]
	v_exp_f32_e32 v9, v9
	v_mul_f32_e32 v8, 0x3fb8aa3b, v8
	v_sub_f32_e32 v7, v7, v18
	buffer_store_dword v17, off, s[0:3], 0 offset:256
	buffer_store_dword v16, off, s[0:3], 0 offset:260
	buffer_store_dword v15, off, s[0:3], 0 offset:264
	buffer_store_dword v14, off, s[0:3], 0 offset:268
	v_add_f32_e32 v14, v20, v13
	v_cndmask_b32_e64 v12, 0, v12, s[38:39]
	v_exp_f32_e32 v8, v8
	v_mul_f32_e32 v7, 0x3fb8aa3b, v7
	v_sub_f32_e32 v6, v6, v18
	v_add_f32_e32 v14, v14, v12
	v_cndmask_b32_e64 v11, 0, v11, s[20:21]
	v_exp_f32_e32 v7, v7
	v_mul_f32_e32 v6, 0x3fb8aa3b, v6
	v_sub_f32_e32 v5, v5, v18
	;; [unrolled: 5-line block ×4, first 2 shown]
	buffer_store_dword v13, off, s[0:3], 0 offset:272
	buffer_store_dword v12, off, s[0:3], 0 offset:276
	;; [unrolled: 1-line block ×4, first 2 shown]
	v_add_f32_e32 v10, v14, v9
	v_cndmask_b32_e64 v8, 0, v8, s[18:19]
	v_exp_f32_e32 v4, v4
	v_mul_f32_e32 v3, 0x3fb8aa3b, v3
	v_sub_f32_e32 v2, v2, v18
	v_add_f32_e32 v10, v10, v8
	v_cndmask_b32_e64 v7, 0, v7, s[12:13]
	v_exp_f32_e32 v3, v3
	v_mul_f32_e32 v2, 0x3fb8aa3b, v2
	v_add_f32_e32 v10, v10, v7
	v_cndmask_b32_e64 v6, 0, v6, s[14:15]
	v_exp_f32_e32 v2, v2
	v_add_f32_e32 v10, v10, v6
	v_cndmask_b32_e64 v5, 0, v5, s[6:7]
	buffer_store_dword v9, off, s[0:3], 0 offset:288
	buffer_store_dword v8, off, s[0:3], 0 offset:292
	;; [unrolled: 1-line block ×4, first 2 shown]
	v_add_f32_e32 v6, v10, v5
	v_cndmask_b32_e64 v4, 0, v4, s[10:11]
	v_add_f32_e32 v6, v6, v4
	v_cndmask_b32_e32 v3, 0, v3, vcc
	v_add_f32_e32 v6, v6, v3
	v_cndmask_b32_e64 v2, 0, v2, s[4:5]
	v_add_f32_e32 v6, v6, v2
	ds_bpermute_b32 v7, v21, v6
	buffer_store_dword v5, off, s[0:3], 0 offset:304
	buffer_store_dword v4, off, s[0:3], 0 offset:308
	;; [unrolled: 1-line block ×4, first 2 shown]
	v_cmp_gt_u32_e32 vcc, 16, v33
	s_waitcnt lgkmcnt(0)
	s_barrier
	v_add_f32_e32 v2, v6, v7
	ds_bpermute_b32 v3, v19, v2
	s_waitcnt lgkmcnt(0)
	s_and_saveexec_b64 s[4:5], vcc
	s_cbranch_execz .LBB940_209
; %bb.208:
	v_add_f32_e32 v2, v2, v3
	v_lshlrev_b32_e32 v3, 2, v29
	ds_write2st64_b32 v3, v18, v2 offset1:1
.LBB940_209:
	s_or_b64 exec, exec, s[4:5]
	v_lshlrev_b32_e32 v2, 2, v41
	s_waitcnt lgkmcnt(0)
	s_barrier
	ds_read2_b32 v[14:15], v2 offset1:16
	ds_read2_b32 v[16:17], v2 offset0:32 offset1:48
	ds_read2_b32 v[6:7], v2 offset0:64 offset1:80
	;; [unrolled: 1-line block ×3, first 2 shown]
	s_waitcnt lgkmcnt(0)
	s_barrier
	buffer_load_dword v22, off, s[0:3], 0 offset:264
	buffer_load_dword v23, off, s[0:3], 0 offset:268
	;; [unrolled: 1-line block ×16, first 2 shown]
	v_max3_f32 v20, v14, s52, v15
	v_max3_f32 v20, v20, v16, v17
	v_sub_f32_e32 v14, v14, v20
	v_sub_f32_e32 v15, v15, v20
	v_mul_f32_e32 v14, 0x3fb8aa3b, v14
	v_sub_f32_e32 v16, v16, v20
	v_mul_f32_e32 v15, 0x3fb8aa3b, v15
	v_exp_f32_e32 v14, v14
	v_sub_f32_e32 v17, v17, v20
	v_mul_f32_e32 v16, 0x3fb8aa3b, v16
	v_exp_f32_e32 v15, v15
	v_mul_f32_e32 v17, 0x3fb8aa3b, v17
	v_exp_f32_e32 v16, v16
	v_exp_f32_e32 v17, v17
	v_fma_f32 v6, v14, v6, 0
	v_fmac_f32_e32 v6, v15, v7
	v_fmac_f32_e32 v6, v16, v12
	;; [unrolled: 1-line block ×3, first 2 shown]
	v_cmp_eq_u32_e32 vcc, 1, v27
	v_add_f32_e32 v12, 0x358637bd, v6
	v_cndmask_b32_e32 v14, v14, v15, vcc
	v_cmp_eq_u32_e32 vcc, 2, v27
	v_div_scale_f32 v13, s[4:5], v12, v12, 1.0
	v_cndmask_b32_e32 v7, v14, v16, vcc
	v_rcp_f32_e32 v14, v13
	v_cmp_eq_u32_e32 vcc, 3, v27
	v_cndmask_b32_e32 v7, v7, v17, vcc
	v_div_scale_f32 v15, vcc, 1.0, v12, 1.0
	v_fma_f32 v16, -v13, v14, 1.0
	v_fmac_f32_e32 v14, v16, v14
	v_mul_f32_e32 v16, v15, v14
	v_fma_f32 v17, -v13, v16, v15
	v_fmac_f32_e32 v16, v17, v14
	v_fma_f32 v13, -v13, v16, v15
	v_div_fmas_f32 v13, v13, v14, v16
	v_div_fixup_f32 v12, v13, v12, 1.0
	v_mul_f32_e32 v12, v7, v12
	s_movk_i32 s19, 0x7fff
	s_mov_b32 s20, 0x7060302
	s_mul_i32 s18, s49, 15
	v_cmp_gt_u32_e32 vcc, 15, v0
	s_waitcnt vmcnt(14)
	v_pk_mul_f32 v[14:15], v[12:13], v[22:23] op_sel_hi:[0,1]
	v_bfe_u32 v21, v15, 16, 1
	s_waitcnt vmcnt(12)
	v_pk_mul_f32 v[16:17], v[12:13], v[24:25] op_sel_hi:[0,1]
	v_bfe_u32 v7, v17, 16, 1
	v_bfe_u32 v13, v16, 16, 1
	;; [unrolled: 1-line block ×3, first 2 shown]
	v_add3_u32 v13, v16, v13, s19
	v_add3_u32 v7, v17, v7, s19
	buffer_store_dword v16, off, s[0:3], 0 offset:256
	buffer_store_dword v17, off, s[0:3], 0 offset:260
	;; [unrolled: 1-line block ×4, first 2 shown]
	v_add3_u32 v16, v14, v22, s19
	v_add3_u32 v15, v15, v21, s19
	v_perm_b32 v14, v7, v13, s20
	v_lshlrev_b32_e32 v13, 3, v1
	v_perm_b32 v15, v15, v16, s20
	v_lshlrev_b32_e32 v7, 5, v41
	v_lshlrev_b32_e32 v16, 11, v27
	s_waitcnt vmcnt(12)
	v_pk_mul_f32 v[8:9], v[12:13], v[8:9] op_sel_hi:[0,1]
	v_or3_b32 v52, v16, v7, v13
	v_pk_mul_f32 v[10:11], v[12:13], v[10:11] op_sel_hi:[0,1]
	v_bfe_u32 v13, v9, 16, 1
	v_bfe_u32 v16, v8, 16, 1
	buffer_store_dword v8, off, s[0:3], 0 offset:272
	buffer_store_dword v9, off, s[0:3], 0 offset:276
	;; [unrolled: 1-line block ×4, first 2 shown]
	v_add3_u32 v8, v8, v16, s19
	v_add3_u32 v9, v9, v13, s19
	v_perm_b32 v8, v9, v8, s20
	v_bfe_u32 v9, v11, 16, 1
	v_bfe_u32 v13, v10, 16, 1
	v_add3_u32 v10, v10, v13, s19
	v_add3_u32 v9, v11, v9, s19
	v_perm_b32 v9, v9, v10, s20
	s_waitcnt vmcnt(14)
	v_pk_mul_f32 v[10:11], v[12:13], v[18:19] op_sel_hi:[0,1]
	ds_write2st64_b64 v52, v[14:15], v[8:9] offset1:1
	s_waitcnt vmcnt(12)
	v_pk_mul_f32 v[8:9], v[12:13], v[28:29] op_sel_hi:[0,1]
	v_bfe_u32 v13, v11, 16, 1
	v_bfe_u32 v14, v10, 16, 1
	buffer_store_dword v10, off, s[0:3], 0 offset:288
	buffer_store_dword v11, off, s[0:3], 0 offset:292
	;; [unrolled: 1-line block ×4, first 2 shown]
	v_add3_u32 v10, v10, v14, s19
	v_add3_u32 v11, v11, v13, s19
	v_perm_b32 v10, v11, v10, s20
	v_bfe_u32 v11, v9, 16, 1
	v_bfe_u32 v13, v8, 16, 1
	v_add3_u32 v8, v8, v13, s19
	v_add3_u32 v9, v9, v11, s19
	s_waitcnt vmcnt(14)
	v_pk_mul_f32 v[2:3], v[12:13], v[2:3] op_sel_hi:[0,1]
	v_perm_b32 v11, v9, v8, s20
	v_bfe_u32 v8, v3, 16, 1
	v_bfe_u32 v9, v2, 16, 1
	s_waitcnt vmcnt(12)
	v_pk_mul_f32 v[4:5], v[12:13], v[4:5] op_sel_hi:[0,1]
	buffer_store_dword v2, off, s[0:3], 0 offset:304
	buffer_store_dword v3, off, s[0:3], 0 offset:308
	;; [unrolled: 1-line block ×4, first 2 shown]
	v_add3_u32 v2, v2, v9, s19
	v_add3_u32 v3, v3, v8, s19
	v_perm_b32 v2, v3, v2, s20
	v_bfe_u32 v3, v5, 16, 1
	v_bfe_u32 v8, v4, 16, 1
	v_add3_u32 v4, v4, v8, s19
	v_add3_u32 v3, v5, v3, s19
	v_perm_b32 v3, v3, v4, s20
	ds_write2st64_b64 v52, v[10:11], v[2:3] offset0:2 offset1:3
	s_and_saveexec_b64 s[4:5], vcc
	s_cbranch_execz .LBB940_211
; %bb.210:
	v_add_co_u32_e32 v4, vcc, s27, v41
	v_addc_co_u32_e64 v5, s[6:7], 0, 0, vcc
	v_mov_b32_e32 v2, s18
	v_mad_u64_u32 v[4:5], s[6:7], s8, v2, v[4:5]
	v_mov_b32_e32 v3, 0
	s_mul_i32 s6, s9, s18
	v_mov_b32_e32 v2, s26
	v_add_u32_e32 v5, s6, v5
	v_mad_u64_u32 v[2:3], s[6:7], v4, s48, v[2:3]
	v_mov_b32_e32 v4, v3
	v_mad_u64_u32 v[4:5], s[6:7], v5, s48, v[4:5]
	v_mov_b32_e32 v3, v4
	v_lshlrev_b64 v[2:3], 2, v[2:3]
	v_mov_b32_e32 v5, s47
	v_add_co_u32_e32 v4, vcc, s46, v2
	v_addc_co_u32_e32 v5, vcc, v5, v3, vcc
	global_store_dword v[4:5], v20, off
	v_mov_b32_e32 v4, s45
	v_add_co_u32_e32 v2, vcc, s44, v2
	v_addc_co_u32_e32 v3, vcc, v4, v3, vcc
	global_store_dword v[2:3], v6, off
.LBB940_211:
	s_or_b64 exec, exec, s[4:5]
	v_lshl_or_b32 v30, v1, 9, v7
	s_waitcnt lgkmcnt(0)
	s_barrier
	s_load_dword s4, s[42:43], 0x0
	ds_read_b128 v[2:5], v30
	ds_read_b128 v[6:9], v30 offset:16
	ds_read_b128 v[10:13], v30 offset:2048
	;; [unrolled: 1-line block ×7, first 2 shown]
	v_mov_b32_e32 v35, 0x80
	v_mov_b32_e32 v53, 0x140
	s_mov_b64 s[10:11], -1
	s_waitcnt lgkmcnt(0)
	s_mov_b32 s5, s4
	s_mov_b32 s6, s4
	;; [unrolled: 1-line block ×3, first 2 shown]
	s_movk_i32 s9, 0x80
	s_movk_i32 s21, 0x7f
	s_mov_b32 s22, 0xffffff
	s_mov_b32 s23, 0x5040100
	v_mov_b32_e32 v54, 0
	v_bfrev_b32_e32 v55, 60
	s_branch .LBB940_215
.LBB940_212:                            ;   in Loop: Header=BB940_215 Depth=1
	s_or_b64 exec, exec, s[16:17]
.LBB940_213:                            ;   in Loop: Header=BB940_215 Depth=1
	s_or_b64 exec, exec, s[14:15]
.LBB940_214:                            ;   in Loop: Header=BB940_215 Depth=1
	s_or_b64 exec, exec, s[12:13]
	v_perm_b32 v61, v56, v50, s23
	v_perm_b32 v60, v44, v46, s23
	s_xor_b64 s[12:13], s[10:11], -1
	s_mov_b64 s[10:11], 0
	v_mov_b32_e32 v46, v47
	v_mfma_f32_16x16x16bf16_1k v[60:63], v[60:61], v[30:31], v[34:37]
	s_and_b64 vcc, exec, s[12:13]
	s_nop 5
	v_perm_b32 v37, v58, v57, s23
	v_perm_b32 v36, v42, v51, s23
	v_mov_b32_e32 v35, v45
	s_nop 0
	v_mfma_f32_16x16x16bf16_1k v[56:59], v[36:37], v[32:33], v[60:63]
	s_nop 7
	s_nop 2
	v_pk_mul_f32 v[50:51], v[56:57], s[4:5]
	v_pk_mul_f32 v[36:37], v[58:59], s[6:7]
	v_bfe_u32 v34, v51, 16, 1
	v_bfe_u32 v38, v50, 16, 1
	;; [unrolled: 1-line block ×4, first 2 shown]
	v_add3_u32 v38, v50, v38, s19
	v_add3_u32 v34, v51, v34, s19
	;; [unrolled: 1-line block ×4, first 2 shown]
	v_perm_b32 v34, v34, v38, s20
	v_perm_b32 v36, v37, v36, s20
	buffer_store_dword v34, v53, s[0:3], 0 offen
	buffer_store_dword v36, v53, s[0:3], 0 offen offset:4
	v_mov_b32_e32 v53, 0x148
	v_mov_b32_e32 v51, v48
	;; [unrolled: 1-line block ×3, first 2 shown]
	s_cbranch_vccnz .LBB940_597
.LBB940_215:                            ; =>This Inner Loop Header: Depth=1
	buffer_load_dword v36, v35, s[0:3], 0 offen
	buffer_load_dword v34, v35, s[0:3], 0 offen offset:4
	buffer_load_dword v40, v35, s[0:3], 0 offen offset:8
	;; [unrolled: 1-line block ×3, first 2 shown]
	v_mov_b32_e32 v35, 0
	s_waitcnt vmcnt(3)
	v_cmp_ne_u16_sdwa s[14:15], v36, v54 src0_sel:BYTE_0 src1_sel:DWORD
	s_and_saveexec_b64 s[12:13], s[14:15]
	s_cbranch_execz .LBB940_221
; %bb.216:                              ;   in Loop: Header=BB940_215 Depth=1
	v_cmp_ne_u16_sdwa s[16:17], v36, s9 src0_sel:BYTE_0 src1_sel:DWORD
	v_mov_b32_e32 v35, 0xffff8000
	s_and_saveexec_b64 s[14:15], s[16:17]
	s_cbranch_execz .LBB940_220
; %bb.217:                              ;   in Loop: Header=BB940_215 Depth=1
	v_and_b32_e32 v37, 0x7f, v36
	v_cmp_ne_u32_e32 vcc, s21, v37
	v_mov_b32_e32 v35, 0x7f80
	s_and_saveexec_b64 s[16:17], vcc
	s_cbranch_execz .LBB940_219
; %bb.218:                              ;   in Loop: Header=BB940_215 Depth=1
	v_and_b32_e32 v35, 7, v36
	v_ffbh_u32_e32 v44, v35
	v_min_u32_e32 v44, 32, v44
	v_subrev_u32_e32 v56, 28, v44
	v_lshlrev_b64 v[56:57], v56, v[36:37]
	v_lshrrev_b32_e32 v42, 3, v37
	v_sub_u32_e32 v44, 29, v44
	v_and_b32_e32 v56, 7, v56
	v_cmp_gt_u32_e32 vcc, 8, v37
	v_cndmask_b32_e32 v37, v42, v44, vcc
	v_cndmask_b32_e32 v35, v35, v56, vcc
	v_lshlrev_b32_e32 v42, 24, v36
	v_lshlrev_b32_e32 v35, 20, v35
	v_and_b32_e32 v42, 0x80000000, v42
	v_lshl_add_u32 v37, v37, 23, v55
	v_or3_b32 v35, v42, v37, v35
	v_lshrrev_b32_e32 v35, 16, v35
.LBB940_219:                            ;   in Loop: Header=BB940_215 Depth=1
	s_or_b64 exec, exec, s[16:17]
.LBB940_220:                            ;   in Loop: Header=BB940_215 Depth=1
	s_or_b64 exec, exec, s[14:15]
.LBB940_221:                            ;   in Loop: Header=BB940_215 Depth=1
	s_or_b64 exec, exec, s[12:13]
	v_lshrrev_b16_e32 v42, 8, v36
	v_cmp_ne_u16_e32 vcc, 0, v42
	v_mov_b32_e32 v56, 0
	v_mov_b32_e32 v37, 0
	s_and_saveexec_b64 s[12:13], vcc
	s_cbranch_execz .LBB940_227
; %bb.222:                              ;   in Loop: Header=BB940_215 Depth=1
	v_cmp_ne_u16_e32 vcc, s9, v42
	v_mov_b32_e32 v37, 0xffff8000
	s_and_saveexec_b64 s[14:15], vcc
	s_cbranch_execz .LBB940_226
; %bb.223:                              ;   in Loop: Header=BB940_215 Depth=1
	v_and_b32_e32 v44, 0x7f, v42
	v_cmp_ne_u32_e32 vcc, s21, v44
	v_mov_b32_e32 v37, 0x7f80
	s_and_saveexec_b64 s[16:17], vcc
	s_cbranch_execz .LBB940_225
; %bb.224:                              ;   in Loop: Header=BB940_215 Depth=1
	v_and_b32_e32 v37, 7, v42
	v_ffbh_u32_e32 v58, v37
	v_min_u32_e32 v60, 32, v58
	v_subrev_u32_e32 v58, 28, v60
	v_lshlrev_b64 v[58:59], v58, v[42:43]
	v_lshrrev_b32_e32 v57, 3, v44
	v_sub_u32_e32 v42, 29, v60
	v_and_b32_e32 v58, 7, v58
	v_cmp_gt_u32_e32 vcc, 8, v44
	v_cndmask_b32_e32 v42, v57, v42, vcc
	v_cndmask_b32_e32 v37, v37, v58, vcc
	v_lshlrev_b32_e32 v44, 16, v36
	v_lshlrev_b32_e32 v37, 20, v37
	v_and_b32_e32 v44, 0x80000000, v44
	v_lshl_add_u32 v42, v42, 23, v55
	v_or3_b32 v37, v44, v42, v37
	v_lshrrev_b32_e32 v37, 16, v37
.LBB940_225:                            ;   in Loop: Header=BB940_215 Depth=1
	s_or_b64 exec, exec, s[16:17]
.LBB940_226:                            ;   in Loop: Header=BB940_215 Depth=1
	s_or_b64 exec, exec, s[14:15]
.LBB940_227:                            ;   in Loop: Header=BB940_215 Depth=1
	s_or_b64 exec, exec, s[12:13]
	v_lshrrev_b32_e32 v42, 16, v36
	v_cmp_ne_u16_sdwa s[14:15], v42, v54 src0_sel:BYTE_0 src1_sel:DWORD
	s_and_saveexec_b64 s[12:13], s[14:15]
	s_cbranch_execz .LBB940_233
; %bb.228:                              ;   in Loop: Header=BB940_215 Depth=1
	v_cmp_ne_u16_sdwa s[16:17], v42, s9 src0_sel:BYTE_0 src1_sel:DWORD
	v_mov_b32_e32 v56, 0xffff8000
	s_and_saveexec_b64 s[14:15], s[16:17]
	s_cbranch_execz .LBB940_232
; %bb.229:                              ;   in Loop: Header=BB940_215 Depth=1
	v_bfe_u32 v44, v36, 16, 7
	v_cmp_ne_u32_e32 vcc, s21, v44
	v_mov_b32_e32 v56, 0x7f80
	s_and_saveexec_b64 s[16:17], vcc
	s_cbranch_execz .LBB940_231
; %bb.230:                              ;   in Loop: Header=BB940_215 Depth=1
	v_and_b32_e32 v58, 7, v42
	v_ffbh_u32_e32 v56, v58
	v_min_u32_e32 v60, 32, v56
	v_subrev_u32_e32 v56, 28, v60
	v_lshlrev_b64 v[56:57], v56, v[42:43]
	v_lshrrev_b32_e32 v59, 3, v44
	v_sub_u32_e32 v57, 29, v60
	v_and_b32_e32 v56, 7, v56
	v_cmp_gt_u32_e32 vcc, 8, v44
	v_cndmask_b32_e32 v44, v59, v57, vcc
	v_cndmask_b32_e32 v56, v58, v56, vcc
	v_lshlrev_b32_e32 v42, 24, v42
	v_lshlrev_b32_e32 v56, 20, v56
	v_and_b32_e32 v42, 0x80000000, v42
	v_lshl_add_u32 v44, v44, 23, v55
	v_or3_b32 v42, v42, v44, v56
	v_lshrrev_b32_e32 v56, 16, v42
.LBB940_231:                            ;   in Loop: Header=BB940_215 Depth=1
	s_or_b64 exec, exec, s[16:17]
.LBB940_232:                            ;   in Loop: Header=BB940_215 Depth=1
	s_or_b64 exec, exec, s[14:15]
.LBB940_233:                            ;   in Loop: Header=BB940_215 Depth=1
	s_or_b64 exec, exec, s[12:13]
	v_cmp_lt_u32_e32 vcc, s22, v36
	v_mov_b32_e32 v57, 0
	v_mov_b32_e32 v58, 0
	s_and_saveexec_b64 s[12:13], vcc
	s_cbranch_execz .LBB940_239
; %bb.234:                              ;   in Loop: Header=BB940_215 Depth=1
	v_lshrrev_b32_e32 v42, 24, v36
	v_cmp_ne_u32_e32 vcc, s9, v42
	v_mov_b32_e32 v58, 0xffff8000
	s_and_saveexec_b64 s[14:15], vcc
	s_cbranch_execz .LBB940_238
; %bb.235:                              ;   in Loop: Header=BB940_215 Depth=1
	v_bfe_u32 v36, v36, 24, 7
	v_cmp_ne_u32_e32 vcc, s21, v36
	v_mov_b32_e32 v58, 0x7f80
	s_and_saveexec_b64 s[16:17], vcc
	s_cbranch_execz .LBB940_237
; %bb.236:                              ;   in Loop: Header=BB940_215 Depth=1
	v_and_b32_e32 v44, 7, v42
	v_ffbh_u32_e32 v58, v44
	v_min_u32_e32 v61, 32, v58
	v_subrev_u32_e32 v58, 28, v61
	v_lshlrev_b64 v[58:59], v58, v[42:43]
	v_lshrrev_b32_e32 v60, 3, v36
	v_sub_u32_e32 v59, 29, v61
	v_and_b32_e32 v58, 7, v58
	v_cmp_gt_u32_e32 vcc, 8, v36
	v_cndmask_b32_e32 v36, v60, v59, vcc
	v_cndmask_b32_e32 v44, v44, v58, vcc
	v_lshlrev_b32_e32 v42, 24, v42
	v_lshlrev_b32_e32 v44, 20, v44
	v_and_b32_e32 v42, 0x80000000, v42
	v_lshl_add_u32 v36, v36, 23, v55
	v_or3_b32 v36, v42, v36, v44
	v_lshrrev_b32_e32 v58, 16, v36
.LBB940_237:                            ;   in Loop: Header=BB940_215 Depth=1
	s_or_b64 exec, exec, s[16:17]
.LBB940_238:                            ;   in Loop: Header=BB940_215 Depth=1
	s_or_b64 exec, exec, s[14:15]
.LBB940_239:                            ;   in Loop: Header=BB940_215 Depth=1
	s_or_b64 exec, exec, s[12:13]
	s_waitcnt vmcnt(2)
	v_cmp_ne_u16_sdwa s[14:15], v34, v54 src0_sel:BYTE_0 src1_sel:DWORD
	s_and_saveexec_b64 s[12:13], s[14:15]
	s_cbranch_execz .LBB940_245
; %bb.240:                              ;   in Loop: Header=BB940_215 Depth=1
	v_cmp_ne_u16_sdwa s[16:17], v34, s9 src0_sel:BYTE_0 src1_sel:DWORD
	v_mov_b32_e32 v57, 0xffff8000
	s_and_saveexec_b64 s[14:15], s[16:17]
	s_cbranch_execz .LBB940_244
; %bb.241:                              ;   in Loop: Header=BB940_215 Depth=1
	v_and_b32_e32 v36, 0x7f, v34
	v_cmp_ne_u32_e32 vcc, s21, v36
	v_mov_b32_e32 v57, 0x7f80
	s_and_saveexec_b64 s[16:17], vcc
	s_cbranch_execz .LBB940_243
; %bb.242:                              ;   in Loop: Header=BB940_215 Depth=1
	v_and_b32_e32 v42, 7, v34
	v_ffbh_u32_e32 v57, v42
	v_min_u32_e32 v57, 32, v57
	v_subrev_u32_e32 v59, 28, v57
	v_lshlrev_b64 v[60:61], v59, v[34:35]
	v_lshrrev_b32_e32 v44, 3, v36
	v_sub_u32_e32 v57, 29, v57
	v_and_b32_e32 v59, 7, v60
	v_cmp_gt_u32_e32 vcc, 8, v36
	v_cndmask_b32_e32 v36, v44, v57, vcc
	v_cndmask_b32_e32 v42, v42, v59, vcc
	v_lshlrev_b32_e32 v44, 24, v34
	v_lshlrev_b32_e32 v42, 20, v42
	v_and_b32_e32 v44, 0x80000000, v44
	v_lshl_add_u32 v36, v36, 23, v55
	v_or3_b32 v36, v44, v36, v42
	v_lshrrev_b32_e32 v57, 16, v36
.LBB940_243:                            ;   in Loop: Header=BB940_215 Depth=1
	s_or_b64 exec, exec, s[16:17]
.LBB940_244:                            ;   in Loop: Header=BB940_215 Depth=1
	s_or_b64 exec, exec, s[14:15]
.LBB940_245:                            ;   in Loop: Header=BB940_215 Depth=1
	s_or_b64 exec, exec, s[12:13]
	v_lshrrev_b16_e32 v36, 8, v34
	v_cmp_ne_u16_e32 vcc, 0, v36
	v_mov_b32_e32 v59, 0
	v_mov_b32_e32 v42, 0
	s_and_saveexec_b64 s[12:13], vcc
	s_cbranch_execz .LBB940_251
; %bb.246:                              ;   in Loop: Header=BB940_215 Depth=1
	v_cmp_ne_u16_e32 vcc, s9, v36
	v_mov_b32_e32 v42, 0xffff8000
	s_and_saveexec_b64 s[14:15], vcc
	s_cbranch_execz .LBB940_250
; %bb.247:                              ;   in Loop: Header=BB940_215 Depth=1
	v_and_b32_e32 v44, 0x7f, v36
	v_cmp_ne_u32_e32 vcc, s21, v44
	v_mov_b32_e32 v42, 0x7f80
	s_and_saveexec_b64 s[16:17], vcc
	s_cbranch_execz .LBB940_249
; %bb.248:                              ;   in Loop: Header=BB940_215 Depth=1
	v_and_b32_e32 v42, 7, v36
	v_ffbh_u32_e32 v60, v42
	v_min_u32_e32 v63, 32, v60
	v_subrev_u32_e32 v60, 28, v63
	v_lshlrev_b64 v[60:61], v60, v[36:37]
	v_lshrrev_b32_e32 v62, 3, v44
	v_sub_u32_e32 v36, 29, v63
	v_and_b32_e32 v60, 7, v60
	v_cmp_gt_u32_e32 vcc, 8, v44
	v_cndmask_b32_e32 v36, v62, v36, vcc
	v_cndmask_b32_e32 v42, v42, v60, vcc
	v_lshlrev_b32_e32 v44, 16, v34
	v_lshlrev_b32_e32 v42, 20, v42
	v_and_b32_e32 v44, 0x80000000, v44
	v_lshl_add_u32 v36, v36, 23, v55
	v_or3_b32 v36, v44, v36, v42
	v_lshrrev_b32_e32 v42, 16, v36
.LBB940_249:                            ;   in Loop: Header=BB940_215 Depth=1
	s_or_b64 exec, exec, s[16:17]
.LBB940_250:                            ;   in Loop: Header=BB940_215 Depth=1
	s_or_b64 exec, exec, s[14:15]
.LBB940_251:                            ;   in Loop: Header=BB940_215 Depth=1
	s_or_b64 exec, exec, s[12:13]
	v_lshrrev_b32_e32 v36, 16, v34
	v_cmp_ne_u16_sdwa s[14:15], v36, v54 src0_sel:BYTE_0 src1_sel:DWORD
	s_and_saveexec_b64 s[12:13], s[14:15]
	s_cbranch_execz .LBB940_257
; %bb.252:                              ;   in Loop: Header=BB940_215 Depth=1
	v_cmp_ne_u16_sdwa s[16:17], v36, s9 src0_sel:BYTE_0 src1_sel:DWORD
	v_mov_b32_e32 v59, 0xffff8000
	s_and_saveexec_b64 s[14:15], s[16:17]
	s_cbranch_execz .LBB940_256
; %bb.253:                              ;   in Loop: Header=BB940_215 Depth=1
	v_bfe_u32 v44, v34, 16, 7
	v_cmp_ne_u32_e32 vcc, s21, v44
	v_mov_b32_e32 v59, 0x7f80
	s_and_saveexec_b64 s[16:17], vcc
	s_cbranch_execz .LBB940_255
; %bb.254:                              ;   in Loop: Header=BB940_215 Depth=1
	v_and_b32_e32 v59, 7, v36
	v_ffbh_u32_e32 v60, v59
	v_min_u32_e32 v63, 32, v60
	v_subrev_u32_e32 v60, 28, v63
	v_lshlrev_b64 v[60:61], v60, v[36:37]
	v_lshrrev_b32_e32 v62, 3, v44
	v_sub_u32_e32 v61, 29, v63
	v_and_b32_e32 v60, 7, v60
	v_cmp_gt_u32_e32 vcc, 8, v44
	v_cndmask_b32_e32 v44, v62, v61, vcc
	v_cndmask_b32_e32 v59, v59, v60, vcc
	v_lshlrev_b32_e32 v36, 24, v36
	v_lshlrev_b32_e32 v59, 20, v59
	v_and_b32_e32 v36, 0x80000000, v36
	v_lshl_add_u32 v44, v44, 23, v55
	v_or3_b32 v36, v36, v44, v59
	v_lshrrev_b32_e32 v59, 16, v36
.LBB940_255:                            ;   in Loop: Header=BB940_215 Depth=1
	s_or_b64 exec, exec, s[16:17]
.LBB940_256:                            ;   in Loop: Header=BB940_215 Depth=1
	s_or_b64 exec, exec, s[14:15]
.LBB940_257:                            ;   in Loop: Header=BB940_215 Depth=1
	s_or_b64 exec, exec, s[12:13]
	v_cmp_lt_u32_e32 vcc, s22, v34
	v_mov_b32_e32 v44, 0
	v_mov_b32_e32 v60, 0
	s_and_saveexec_b64 s[12:13], vcc
	s_cbranch_execz .LBB940_263
; %bb.258:                              ;   in Loop: Header=BB940_215 Depth=1
	v_lshrrev_b32_e32 v36, 24, v34
	v_cmp_ne_u32_e32 vcc, s9, v36
	v_mov_b32_e32 v60, 0xffff8000
	s_and_saveexec_b64 s[14:15], vcc
	s_cbranch_execz .LBB940_262
; %bb.259:                              ;   in Loop: Header=BB940_215 Depth=1
	v_bfe_u32 v34, v34, 24, 7
	v_cmp_ne_u32_e32 vcc, s21, v34
	v_mov_b32_e32 v60, 0x7f80
	s_and_saveexec_b64 s[16:17], vcc
	s_cbranch_execz .LBB940_261
; %bb.260:                              ;   in Loop: Header=BB940_215 Depth=1
	v_and_b32_e32 v62, 7, v36
	v_ffbh_u32_e32 v60, v62
	v_min_u32_e32 v64, 32, v60
	v_subrev_u32_e32 v60, 28, v64
	v_lshlrev_b64 v[60:61], v60, v[36:37]
	v_lshrrev_b32_e32 v63, 3, v34
	v_sub_u32_e32 v61, 29, v64
	v_and_b32_e32 v60, 7, v60
	v_cmp_gt_u32_e32 vcc, 8, v34
	v_cndmask_b32_e32 v34, v63, v61, vcc
	v_cndmask_b32_e32 v60, v62, v60, vcc
	v_lshlrev_b32_e32 v36, 24, v36
	v_lshlrev_b32_e32 v60, 20, v60
	v_and_b32_e32 v36, 0x80000000, v36
	v_lshl_add_u32 v34, v34, 23, v55
	v_or3_b32 v34, v36, v34, v60
	v_lshrrev_b32_e32 v60, 16, v34
.LBB940_261:                            ;   in Loop: Header=BB940_215 Depth=1
	s_or_b64 exec, exec, s[16:17]
.LBB940_262:                            ;   in Loop: Header=BB940_215 Depth=1
	s_or_b64 exec, exec, s[14:15]
.LBB940_263:                            ;   in Loop: Header=BB940_215 Depth=1
	s_or_b64 exec, exec, s[12:13]
	v_perm_b32 v63, v58, v56, s23
	v_perm_b32 v62, v37, v35, s23
	;; [unrolled: 1-line block ×4, first 2 shown]
	s_waitcnt vmcnt(1)
	v_cmp_ne_u16_sdwa s[14:15], v40, v54 src0_sel:BYTE_0 src1_sel:DWORD
	v_mfma_f32_16x16x16bf16_1k v[34:37], v[62:63], v[2:3], 0
	v_mfma_f32_16x16x16bf16_1k v[34:37], v[58:59], v[4:5], v[34:37]
	s_and_saveexec_b64 s[12:13], s[14:15]
	s_cbranch_execz .LBB940_269
; %bb.264:                              ;   in Loop: Header=BB940_215 Depth=1
	v_cmp_ne_u16_sdwa s[16:17], v40, s9 src0_sel:BYTE_0 src1_sel:DWORD
	v_mov_b32_e32 v44, 0xffff8000
	s_and_saveexec_b64 s[14:15], s[16:17]
	s_cbranch_execz .LBB940_268
; %bb.265:                              ;   in Loop: Header=BB940_215 Depth=1
	v_and_b32_e32 v42, 0x7f, v40
	v_cmp_ne_u32_e32 vcc, s21, v42
	v_mov_b32_e32 v44, 0x7f80
	s_and_saveexec_b64 s[16:17], vcc
	s_cbranch_execz .LBB940_267
; %bb.266:                              ;   in Loop: Header=BB940_215 Depth=1
	v_and_b32_e32 v44, 7, v40
	v_ffbh_u32_e32 v56, v44
	v_min_u32_e32 v59, 32, v56
	v_subrev_u32_e32 v56, 28, v59
	v_lshlrev_b64 v[56:57], v56, v[40:41]
	v_lshrrev_b32_e32 v58, 3, v42
	v_sub_u32_e32 v57, 29, v59
	v_and_b32_e32 v56, 7, v56
	v_cmp_gt_u32_e32 vcc, 8, v42
	v_cndmask_b32_e32 v42, v58, v57, vcc
	v_cndmask_b32_e32 v44, v44, v56, vcc
	v_lshlrev_b32_e32 v56, 24, v40
	v_lshlrev_b32_e32 v44, 20, v44
	v_and_b32_e32 v56, 0x80000000, v56
	v_lshl_add_u32 v42, v42, 23, v55
	v_or3_b32 v42, v56, v42, v44
	v_lshrrev_b32_e32 v44, 16, v42
.LBB940_267:                            ;   in Loop: Header=BB940_215 Depth=1
	s_or_b64 exec, exec, s[16:17]
.LBB940_268:                            ;   in Loop: Header=BB940_215 Depth=1
	s_or_b64 exec, exec, s[14:15]
.LBB940_269:                            ;   in Loop: Header=BB940_215 Depth=1
	s_or_b64 exec, exec, s[12:13]
	v_lshrrev_b16_e32 v42, 8, v40
	v_cmp_ne_u16_e32 vcc, 0, v42
	v_mov_b32_e32 v58, 0
	v_mov_b32_e32 v57, 0
	s_and_saveexec_b64 s[12:13], vcc
	s_cbranch_execz .LBB940_275
; %bb.270:                              ;   in Loop: Header=BB940_215 Depth=1
	v_cmp_ne_u16_e32 vcc, s9, v42
	v_mov_b32_e32 v57, 0xffff8000
	s_and_saveexec_b64 s[14:15], vcc
	s_cbranch_execz .LBB940_274
; %bb.271:                              ;   in Loop: Header=BB940_215 Depth=1
	v_and_b32_e32 v56, 0x7f, v42
	v_cmp_ne_u32_e32 vcc, s21, v56
	v_mov_b32_e32 v57, 0x7f80
	s_and_saveexec_b64 s[16:17], vcc
	s_cbranch_execz .LBB940_273
; %bb.272:                              ;   in Loop: Header=BB940_215 Depth=1
	v_and_b32_e32 v57, 7, v42
	v_ffbh_u32_e32 v60, v57
	v_min_u32_e32 v62, 32, v60
	v_subrev_u32_e32 v60, 28, v62
	v_lshlrev_b64 v[60:61], v60, v[42:43]
	v_lshrrev_b32_e32 v59, 3, v56
	v_sub_u32_e32 v42, 29, v62
	v_and_b32_e32 v60, 7, v60
	v_cmp_gt_u32_e32 vcc, 8, v56
	v_cndmask_b32_e32 v42, v59, v42, vcc
	v_cndmask_b32_e32 v56, v57, v60, vcc
	v_lshlrev_b32_e32 v57, 16, v40
	v_lshlrev_b32_e32 v56, 20, v56
	v_and_b32_e32 v57, 0x80000000, v57
	v_lshl_add_u32 v42, v42, 23, v55
	v_or3_b32 v42, v57, v42, v56
	v_lshrrev_b32_e32 v57, 16, v42
.LBB940_273:                            ;   in Loop: Header=BB940_215 Depth=1
	s_or_b64 exec, exec, s[16:17]
.LBB940_274:                            ;   in Loop: Header=BB940_215 Depth=1
	s_or_b64 exec, exec, s[14:15]
.LBB940_275:                            ;   in Loop: Header=BB940_215 Depth=1
	s_or_b64 exec, exec, s[12:13]
	v_lshrrev_b32_e32 v42, 16, v40
	v_cmp_ne_u16_sdwa s[14:15], v42, v54 src0_sel:BYTE_0 src1_sel:DWORD
	s_and_saveexec_b64 s[12:13], s[14:15]
	s_cbranch_execz .LBB940_281
; %bb.276:                              ;   in Loop: Header=BB940_215 Depth=1
	v_cmp_ne_u16_sdwa s[16:17], v42, s9 src0_sel:BYTE_0 src1_sel:DWORD
	v_mov_b32_e32 v58, 0xffff8000
	s_and_saveexec_b64 s[14:15], s[16:17]
	s_cbranch_execz .LBB940_280
; %bb.277:                              ;   in Loop: Header=BB940_215 Depth=1
	v_bfe_u32 v56, v40, 16, 7
	v_cmp_ne_u32_e32 vcc, s21, v56
	v_mov_b32_e32 v58, 0x7f80
	s_and_saveexec_b64 s[16:17], vcc
	s_cbranch_execz .LBB940_279
; %bb.278:                              ;   in Loop: Header=BB940_215 Depth=1
	v_and_b32_e32 v60, 7, v42
	v_ffbh_u32_e32 v58, v60
	v_min_u32_e32 v62, 32, v58
	v_subrev_u32_e32 v58, 28, v62
	v_lshlrev_b64 v[58:59], v58, v[42:43]
	v_lshrrev_b32_e32 v61, 3, v56
	v_sub_u32_e32 v59, 29, v62
	v_and_b32_e32 v58, 7, v58
	v_cmp_gt_u32_e32 vcc, 8, v56
	v_cndmask_b32_e32 v56, v61, v59, vcc
	v_cndmask_b32_e32 v58, v60, v58, vcc
	v_lshlrev_b32_e32 v42, 24, v42
	v_lshlrev_b32_e32 v58, 20, v58
	v_and_b32_e32 v42, 0x80000000, v42
	v_lshl_add_u32 v56, v56, 23, v55
	v_or3_b32 v42, v42, v56, v58
	v_lshrrev_b32_e32 v58, 16, v42
.LBB940_279:                            ;   in Loop: Header=BB940_215 Depth=1
	s_or_b64 exec, exec, s[16:17]
.LBB940_280:                            ;   in Loop: Header=BB940_215 Depth=1
	s_or_b64 exec, exec, s[14:15]
.LBB940_281:                            ;   in Loop: Header=BB940_215 Depth=1
	s_or_b64 exec, exec, s[12:13]
	v_cmp_lt_u32_e32 vcc, s22, v40
	v_mov_b32_e32 v59, 0
	v_mov_b32_e32 v60, 0
	s_and_saveexec_b64 s[12:13], vcc
	s_cbranch_execz .LBB940_287
; %bb.282:                              ;   in Loop: Header=BB940_215 Depth=1
	v_lshrrev_b32_e32 v42, 24, v40
	v_cmp_ne_u32_e32 vcc, s9, v42
	v_mov_b32_e32 v60, 0xffff8000
	s_and_saveexec_b64 s[14:15], vcc
	s_cbranch_execz .LBB940_286
; %bb.283:                              ;   in Loop: Header=BB940_215 Depth=1
	v_bfe_u32 v40, v40, 24, 7
	v_cmp_ne_u32_e32 vcc, s21, v40
	v_mov_b32_e32 v60, 0x7f80
	s_and_saveexec_b64 s[16:17], vcc
	s_cbranch_execz .LBB940_285
; %bb.284:                              ;   in Loop: Header=BB940_215 Depth=1
	v_and_b32_e32 v56, 7, v42
	v_ffbh_u32_e32 v60, v56
	v_min_u32_e32 v63, 32, v60
	v_subrev_u32_e32 v60, 28, v63
	v_lshlrev_b64 v[60:61], v60, v[42:43]
	v_lshrrev_b32_e32 v62, 3, v40
	v_sub_u32_e32 v61, 29, v63
	v_and_b32_e32 v60, 7, v60
	v_cmp_gt_u32_e32 vcc, 8, v40
	v_cndmask_b32_e32 v40, v62, v61, vcc
	v_cndmask_b32_e32 v56, v56, v60, vcc
	v_lshlrev_b32_e32 v42, 24, v42
	v_lshlrev_b32_e32 v56, 20, v56
	v_and_b32_e32 v42, 0x80000000, v42
	v_lshl_add_u32 v40, v40, 23, v55
	v_or3_b32 v40, v42, v40, v56
	v_lshrrev_b32_e32 v60, 16, v40
.LBB940_285:                            ;   in Loop: Header=BB940_215 Depth=1
	s_or_b64 exec, exec, s[16:17]
.LBB940_286:                            ;   in Loop: Header=BB940_215 Depth=1
	s_or_b64 exec, exec, s[14:15]
.LBB940_287:                            ;   in Loop: Header=BB940_215 Depth=1
	s_or_b64 exec, exec, s[12:13]
	s_waitcnt vmcnt(0)
	v_cmp_ne_u16_sdwa s[14:15], v38, v54 src0_sel:BYTE_0 src1_sel:DWORD
	s_and_saveexec_b64 s[12:13], s[14:15]
	s_cbranch_execz .LBB940_293
; %bb.288:                              ;   in Loop: Header=BB940_215 Depth=1
	v_cmp_ne_u16_sdwa s[16:17], v38, s9 src0_sel:BYTE_0 src1_sel:DWORD
	v_mov_b32_e32 v59, 0xffff8000
	s_and_saveexec_b64 s[14:15], s[16:17]
	s_cbranch_execz .LBB940_292
; %bb.289:                              ;   in Loop: Header=BB940_215 Depth=1
	v_and_b32_e32 v40, 0x7f, v38
	v_cmp_ne_u32_e32 vcc, s21, v40
	v_mov_b32_e32 v59, 0x7f80
	s_and_saveexec_b64 s[16:17], vcc
	s_cbranch_execz .LBB940_291
; %bb.290:                              ;   in Loop: Header=BB940_215 Depth=1
	v_and_b32_e32 v42, 7, v38
	v_ffbh_u32_e32 v59, v42
	v_min_u32_e32 v59, 32, v59
	v_subrev_u32_e32 v61, 28, v59
	v_lshlrev_b64 v[62:63], v61, v[38:39]
	v_lshrrev_b32_e32 v56, 3, v40
	v_sub_u32_e32 v59, 29, v59
	v_and_b32_e32 v61, 7, v62
	v_cmp_gt_u32_e32 vcc, 8, v40
	v_cndmask_b32_e32 v40, v56, v59, vcc
	v_cndmask_b32_e32 v42, v42, v61, vcc
	v_lshlrev_b32_e32 v56, 24, v38
	v_lshlrev_b32_e32 v42, 20, v42
	v_and_b32_e32 v56, 0x80000000, v56
	v_lshl_add_u32 v40, v40, 23, v55
	v_or3_b32 v40, v56, v40, v42
	v_lshrrev_b32_e32 v59, 16, v40
.LBB940_291:                            ;   in Loop: Header=BB940_215 Depth=1
	s_or_b64 exec, exec, s[16:17]
.LBB940_292:                            ;   in Loop: Header=BB940_215 Depth=1
	s_or_b64 exec, exec, s[14:15]
.LBB940_293:                            ;   in Loop: Header=BB940_215 Depth=1
	s_or_b64 exec, exec, s[12:13]
	v_lshrrev_b16_e32 v40, 8, v38
	v_cmp_ne_u16_e32 vcc, 0, v40
	v_mov_b32_e32 v62, 0
	v_mov_b32_e32 v61, 0
	s_and_saveexec_b64 s[12:13], vcc
	s_cbranch_execz .LBB940_299
; %bb.294:                              ;   in Loop: Header=BB940_215 Depth=1
	v_cmp_ne_u16_e32 vcc, s9, v40
	v_mov_b32_e32 v61, 0xffff8000
	s_and_saveexec_b64 s[14:15], vcc
	s_cbranch_execz .LBB940_298
; %bb.295:                              ;   in Loop: Header=BB940_215 Depth=1
	v_and_b32_e32 v42, 0x7f, v40
	v_cmp_ne_u32_e32 vcc, s21, v42
	v_mov_b32_e32 v61, 0x7f80
	s_and_saveexec_b64 s[16:17], vcc
	s_cbranch_execz .LBB940_297
; %bb.296:                              ;   in Loop: Header=BB940_215 Depth=1
	v_and_b32_e32 v56, 7, v40
	v_ffbh_u32_e32 v63, v56
	v_min_u32_e32 v63, 32, v63
	v_subrev_u32_e32 v64, 28, v63
	v_lshlrev_b64 v[64:65], v64, v[40:41]
	v_lshrrev_b32_e32 v61, 3, v42
	v_sub_u32_e32 v40, 29, v63
	v_and_b32_e32 v63, 7, v64
	v_cmp_gt_u32_e32 vcc, 8, v42
	v_cndmask_b32_e32 v40, v61, v40, vcc
	v_cndmask_b32_e32 v42, v56, v63, vcc
	v_lshlrev_b32_e32 v56, 16, v38
	v_lshlrev_b32_e32 v42, 20, v42
	v_and_b32_e32 v56, 0x80000000, v56
	v_lshl_add_u32 v40, v40, 23, v55
	v_or3_b32 v40, v56, v40, v42
	v_lshrrev_b32_e32 v61, 16, v40
.LBB940_297:                            ;   in Loop: Header=BB940_215 Depth=1
	s_or_b64 exec, exec, s[16:17]
.LBB940_298:                            ;   in Loop: Header=BB940_215 Depth=1
	s_or_b64 exec, exec, s[14:15]
.LBB940_299:                            ;   in Loop: Header=BB940_215 Depth=1
	s_or_b64 exec, exec, s[12:13]
	v_lshrrev_b32_e32 v40, 16, v38
	v_cmp_ne_u16_sdwa s[14:15], v40, v54 src0_sel:BYTE_0 src1_sel:DWORD
	s_and_saveexec_b64 s[12:13], s[14:15]
	s_cbranch_execz .LBB940_305
; %bb.300:                              ;   in Loop: Header=BB940_215 Depth=1
	v_cmp_ne_u16_sdwa s[16:17], v40, s9 src0_sel:BYTE_0 src1_sel:DWORD
	v_mov_b32_e32 v62, 0xffff8000
	s_and_saveexec_b64 s[14:15], s[16:17]
	s_cbranch_execz .LBB940_304
; %bb.301:                              ;   in Loop: Header=BB940_215 Depth=1
	v_bfe_u32 v42, v38, 16, 7
	v_cmp_ne_u32_e32 vcc, s21, v42
	v_mov_b32_e32 v62, 0x7f80
	s_and_saveexec_b64 s[16:17], vcc
	s_cbranch_execz .LBB940_303
; %bb.302:                              ;   in Loop: Header=BB940_215 Depth=1
	v_and_b32_e32 v56, 7, v40
	v_ffbh_u32_e32 v62, v56
	v_min_u32_e32 v65, 32, v62
	v_subrev_u32_e32 v62, 28, v65
	v_lshlrev_b64 v[62:63], v62, v[40:41]
	v_lshrrev_b32_e32 v64, 3, v42
	v_sub_u32_e32 v63, 29, v65
	v_and_b32_e32 v62, 7, v62
	v_cmp_gt_u32_e32 vcc, 8, v42
	v_cndmask_b32_e32 v42, v64, v63, vcc
	v_cndmask_b32_e32 v56, v56, v62, vcc
	v_lshlrev_b32_e32 v40, 24, v40
	v_lshlrev_b32_e32 v56, 20, v56
	v_and_b32_e32 v40, 0x80000000, v40
	v_lshl_add_u32 v42, v42, 23, v55
	v_or3_b32 v40, v40, v42, v56
	v_lshrrev_b32_e32 v62, 16, v40
.LBB940_303:                            ;   in Loop: Header=BB940_215 Depth=1
	s_or_b64 exec, exec, s[16:17]
.LBB940_304:                            ;   in Loop: Header=BB940_215 Depth=1
	s_or_b64 exec, exec, s[14:15]
.LBB940_305:                            ;   in Loop: Header=BB940_215 Depth=1
	s_or_b64 exec, exec, s[12:13]
	v_cmp_lt_u32_e32 vcc, s22, v38
	v_mov_b32_e32 v56, 0
	v_mov_b32_e32 v63, 0
	s_and_saveexec_b64 s[12:13], vcc
	s_cbranch_execz .LBB940_311
; %bb.306:                              ;   in Loop: Header=BB940_215 Depth=1
	v_lshrrev_b32_e32 v40, 24, v38
	v_cmp_ne_u32_e32 vcc, s9, v40
	v_mov_b32_e32 v63, 0xffff8000
	s_and_saveexec_b64 s[14:15], vcc
	s_cbranch_execz .LBB940_310
; %bb.307:                              ;   in Loop: Header=BB940_215 Depth=1
	v_bfe_u32 v38, v38, 24, 7
	v_cmp_ne_u32_e32 vcc, s21, v38
	v_mov_b32_e32 v63, 0x7f80
	s_and_saveexec_b64 s[16:17], vcc
	s_cbranch_execz .LBB940_309
; %bb.308:                              ;   in Loop: Header=BB940_215 Depth=1
	v_and_b32_e32 v42, 7, v40
	v_ffbh_u32_e32 v64, v42
	v_min_u32_e32 v66, 32, v64
	v_subrev_u32_e32 v64, 28, v66
	v_lshlrev_b64 v[64:65], v64, v[40:41]
	v_lshrrev_b32_e32 v63, 3, v38
	v_sub_u32_e32 v65, 29, v66
	v_and_b32_e32 v64, 7, v64
	v_cmp_gt_u32_e32 vcc, 8, v38
	v_cndmask_b32_e32 v38, v63, v65, vcc
	v_cndmask_b32_e32 v42, v42, v64, vcc
	v_lshlrev_b32_e32 v40, 24, v40
	v_lshlrev_b32_e32 v42, 20, v42
	v_and_b32_e32 v40, 0x80000000, v40
	v_lshl_add_u32 v38, v38, 23, v55
	v_or3_b32 v38, v40, v38, v42
	v_lshrrev_b32_e32 v63, 16, v38
.LBB940_309:                            ;   in Loop: Header=BB940_215 Depth=1
	s_or_b64 exec, exec, s[16:17]
.LBB940_310:                            ;   in Loop: Header=BB940_215 Depth=1
	s_or_b64 exec, exec, s[14:15]
.LBB940_311:                            ;   in Loop: Header=BB940_215 Depth=1
	s_or_b64 exec, exec, s[12:13]
	v_perm_b32 v64, v57, v44, s23
	buffer_load_dword v44, v46, s[0:3], 0 offen
	buffer_load_dword v42, v46, s[0:3], 0 offen offset:4
	buffer_load_dword v40, v46, s[0:3], 0 offen offset:8
	;; [unrolled: 1-line block ×3, first 2 shown]
	v_perm_b32 v65, v60, v58, s23
	v_perm_b32 v63, v63, v62, s23
	;; [unrolled: 1-line block ×3, first 2 shown]
	v_mfma_f32_16x16x16bf16_1k v[34:37], v[64:65], v[6:7], v[34:37]
	s_waitcnt vmcnt(3)
	v_cmp_ne_u16_sdwa s[14:15], v44, v54 src0_sel:BYTE_0 src1_sel:DWORD
	v_mfma_f32_16x16x16bf16_1k v[34:37], v[62:63], v[8:9], v[34:37]
	s_and_saveexec_b64 s[12:13], s[14:15]
	s_cbranch_execz .LBB940_317
; %bb.312:                              ;   in Loop: Header=BB940_215 Depth=1
	v_cmp_ne_u16_sdwa s[16:17], v44, s9 src0_sel:BYTE_0 src1_sel:DWORD
	v_mov_b32_e32 v56, 0xffff8000
	s_and_saveexec_b64 s[14:15], s[16:17]
	s_cbranch_execz .LBB940_316
; %bb.313:                              ;   in Loop: Header=BB940_215 Depth=1
	v_and_b32_e32 v46, 0x7f, v44
	v_cmp_ne_u32_e32 vcc, s21, v46
	v_mov_b32_e32 v56, 0x7f80
	s_and_saveexec_b64 s[16:17], vcc
	s_cbranch_execz .LBB940_315
; %bb.314:                              ;   in Loop: Header=BB940_215 Depth=1
	v_and_b32_e32 v58, 7, v44
	v_ffbh_u32_e32 v56, v58
	v_min_u32_e32 v60, 32, v56
	v_subrev_u32_e32 v56, 28, v60
	v_lshlrev_b64 v[56:57], v56, v[44:45]
	v_lshrrev_b32_e32 v59, 3, v46
	v_sub_u32_e32 v57, 29, v60
	v_and_b32_e32 v56, 7, v56
	v_cmp_gt_u32_e32 vcc, 8, v46
	v_cndmask_b32_e32 v46, v59, v57, vcc
	v_cndmask_b32_e32 v56, v58, v56, vcc
	v_lshlrev_b32_e32 v57, 24, v44
	v_lshlrev_b32_e32 v56, 20, v56
	v_and_b32_e32 v57, 0x80000000, v57
	v_lshl_add_u32 v46, v46, 23, v55
	v_or3_b32 v46, v57, v46, v56
	v_lshrrev_b32_e32 v56, 16, v46
.LBB940_315:                            ;   in Loop: Header=BB940_215 Depth=1
	s_or_b64 exec, exec, s[16:17]
.LBB940_316:                            ;   in Loop: Header=BB940_215 Depth=1
	s_or_b64 exec, exec, s[14:15]
.LBB940_317:                            ;   in Loop: Header=BB940_215 Depth=1
	s_or_b64 exec, exec, s[12:13]
	v_lshrrev_b16_e32 v46, 8, v44
	v_cmp_ne_u16_e32 vcc, 0, v46
	v_mov_b32_e32 v58, 0
	v_mov_b32_e32 v57, 0
	s_and_saveexec_b64 s[12:13], vcc
	s_cbranch_execz .LBB940_323
; %bb.318:                              ;   in Loop: Header=BB940_215 Depth=1
	v_cmp_ne_u16_e32 vcc, s9, v46
	v_mov_b32_e32 v57, 0xffff8000
	s_and_saveexec_b64 s[14:15], vcc
	s_cbranch_execz .LBB940_322
; %bb.319:                              ;   in Loop: Header=BB940_215 Depth=1
	v_and_b32_e32 v59, 0x7f, v46
	v_cmp_ne_u32_e32 vcc, s21, v59
	v_mov_b32_e32 v57, 0x7f80
	s_and_saveexec_b64 s[16:17], vcc
	s_cbranch_execz .LBB940_321
; %bb.320:                              ;   in Loop: Header=BB940_215 Depth=1
	v_and_b32_e32 v57, 7, v46
	v_ffbh_u32_e32 v60, v57
	v_min_u32_e32 v63, 32, v60
	v_subrev_u32_e32 v60, 28, v63
	v_lshlrev_b64 v[60:61], v60, v[46:47]
	v_lshrrev_b32_e32 v62, 3, v59
	v_sub_u32_e32 v46, 29, v63
	v_and_b32_e32 v60, 7, v60
	v_cmp_gt_u32_e32 vcc, 8, v59
	v_cndmask_b32_e32 v46, v62, v46, vcc
	v_cndmask_b32_e32 v57, v57, v60, vcc
	v_lshlrev_b32_e32 v59, 16, v44
	v_lshlrev_b32_e32 v57, 20, v57
	v_and_b32_e32 v59, 0x80000000, v59
	v_lshl_add_u32 v46, v46, 23, v55
	v_or3_b32 v46, v59, v46, v57
	v_lshrrev_b32_e32 v57, 16, v46
.LBB940_321:                            ;   in Loop: Header=BB940_215 Depth=1
	s_or_b64 exec, exec, s[16:17]
.LBB940_322:                            ;   in Loop: Header=BB940_215 Depth=1
	s_or_b64 exec, exec, s[14:15]
.LBB940_323:                            ;   in Loop: Header=BB940_215 Depth=1
	s_or_b64 exec, exec, s[12:13]
	v_lshrrev_b32_e32 v46, 16, v44
	v_cmp_ne_u16_sdwa s[14:15], v46, v54 src0_sel:BYTE_0 src1_sel:DWORD
	s_and_saveexec_b64 s[12:13], s[14:15]
	s_cbranch_execz .LBB940_329
; %bb.324:                              ;   in Loop: Header=BB940_215 Depth=1
	v_cmp_ne_u16_sdwa s[16:17], v46, s9 src0_sel:BYTE_0 src1_sel:DWORD
	v_mov_b32_e32 v58, 0xffff8000
	s_and_saveexec_b64 s[14:15], s[16:17]
	s_cbranch_execz .LBB940_328
; %bb.325:                              ;   in Loop: Header=BB940_215 Depth=1
	v_bfe_u32 v59, v44, 16, 7
	v_cmp_ne_u32_e32 vcc, s21, v59
	v_mov_b32_e32 v58, 0x7f80
	s_and_saveexec_b64 s[16:17], vcc
	s_cbranch_execz .LBB940_327
; %bb.326:                              ;   in Loop: Header=BB940_215 Depth=1
	v_and_b32_e32 v58, 7, v46
	v_ffbh_u32_e32 v60, v58
	v_min_u32_e32 v63, 32, v60
	v_subrev_u32_e32 v60, 28, v63
	v_lshlrev_b64 v[60:61], v60, v[46:47]
	v_lshrrev_b32_e32 v62, 3, v59
	v_sub_u32_e32 v61, 29, v63
	v_and_b32_e32 v60, 7, v60
	v_cmp_gt_u32_e32 vcc, 8, v59
	v_cndmask_b32_e32 v59, v62, v61, vcc
	v_cndmask_b32_e32 v58, v58, v60, vcc
	v_lshlrev_b32_e32 v46, 24, v46
	v_lshlrev_b32_e32 v58, 20, v58
	v_and_b32_e32 v46, 0x80000000, v46
	v_lshl_add_u32 v59, v59, 23, v55
	v_or3_b32 v46, v46, v59, v58
	v_lshrrev_b32_e32 v58, 16, v46
.LBB940_327:                            ;   in Loop: Header=BB940_215 Depth=1
	s_or_b64 exec, exec, s[16:17]
.LBB940_328:                            ;   in Loop: Header=BB940_215 Depth=1
	s_or_b64 exec, exec, s[14:15]
.LBB940_329:                            ;   in Loop: Header=BB940_215 Depth=1
	s_or_b64 exec, exec, s[12:13]
	v_cmp_lt_u32_e32 vcc, s22, v44
	v_mov_b32_e32 v59, 0
	v_mov_b32_e32 v60, 0
	s_and_saveexec_b64 s[12:13], vcc
	s_cbranch_execz .LBB940_335
; %bb.330:                              ;   in Loop: Header=BB940_215 Depth=1
	v_lshrrev_b32_e32 v46, 24, v44
	v_cmp_ne_u32_e32 vcc, s9, v46
	v_mov_b32_e32 v60, 0xffff8000
	s_and_saveexec_b64 s[14:15], vcc
	s_cbranch_execz .LBB940_334
; %bb.331:                              ;   in Loop: Header=BB940_215 Depth=1
	v_bfe_u32 v44, v44, 24, 7
	v_cmp_ne_u32_e32 vcc, s21, v44
	v_mov_b32_e32 v60, 0x7f80
	s_and_saveexec_b64 s[16:17], vcc
	s_cbranch_execz .LBB940_333
; %bb.332:                              ;   in Loop: Header=BB940_215 Depth=1
	v_and_b32_e32 v62, 7, v46
	v_ffbh_u32_e32 v60, v62
	v_min_u32_e32 v64, 32, v60
	v_subrev_u32_e32 v60, 28, v64
	v_lshlrev_b64 v[60:61], v60, v[46:47]
	v_lshrrev_b32_e32 v63, 3, v44
	v_sub_u32_e32 v61, 29, v64
	v_and_b32_e32 v60, 7, v60
	v_cmp_gt_u32_e32 vcc, 8, v44
	v_cndmask_b32_e32 v44, v63, v61, vcc
	v_cndmask_b32_e32 v60, v62, v60, vcc
	v_lshlrev_b32_e32 v46, 24, v46
	v_lshlrev_b32_e32 v60, 20, v60
	v_and_b32_e32 v46, 0x80000000, v46
	v_lshl_add_u32 v44, v44, 23, v55
	v_or3_b32 v44, v46, v44, v60
	v_lshrrev_b32_e32 v60, 16, v44
.LBB940_333:                            ;   in Loop: Header=BB940_215 Depth=1
	s_or_b64 exec, exec, s[16:17]
.LBB940_334:                            ;   in Loop: Header=BB940_215 Depth=1
	s_or_b64 exec, exec, s[14:15]
.LBB940_335:                            ;   in Loop: Header=BB940_215 Depth=1
	s_or_b64 exec, exec, s[12:13]
	s_waitcnt vmcnt(2)
	v_cmp_ne_u16_sdwa s[14:15], v42, v54 src0_sel:BYTE_0 src1_sel:DWORD
	s_and_saveexec_b64 s[12:13], s[14:15]
	s_cbranch_execz .LBB940_341
; %bb.336:                              ;   in Loop: Header=BB940_215 Depth=1
	v_cmp_ne_u16_sdwa s[16:17], v42, s9 src0_sel:BYTE_0 src1_sel:DWORD
	v_mov_b32_e32 v59, 0xffff8000
	s_and_saveexec_b64 s[14:15], s[16:17]
	s_cbranch_execz .LBB940_340
; %bb.337:                              ;   in Loop: Header=BB940_215 Depth=1
	v_and_b32_e32 v44, 0x7f, v42
	v_cmp_ne_u32_e32 vcc, s21, v44
	v_mov_b32_e32 v59, 0x7f80
	s_and_saveexec_b64 s[16:17], vcc
	s_cbranch_execz .LBB940_339
; %bb.338:                              ;   in Loop: Header=BB940_215 Depth=1
	v_and_b32_e32 v46, 7, v42
	v_ffbh_u32_e32 v61, v46
	v_min_u32_e32 v61, 32, v61
	v_subrev_u32_e32 v62, 28, v61
	v_lshlrev_b64 v[62:63], v62, v[42:43]
	v_lshrrev_b32_e32 v59, 3, v44
	v_sub_u32_e32 v61, 29, v61
	v_and_b32_e32 v62, 7, v62
	v_cmp_gt_u32_e32 vcc, 8, v44
	v_cndmask_b32_e32 v44, v59, v61, vcc
	v_cndmask_b32_e32 v46, v46, v62, vcc
	v_lshlrev_b32_e32 v59, 24, v42
	v_lshlrev_b32_e32 v46, 20, v46
	v_and_b32_e32 v59, 0x80000000, v59
	v_lshl_add_u32 v44, v44, 23, v55
	v_or3_b32 v44, v59, v44, v46
	v_lshrrev_b32_e32 v59, 16, v44
.LBB940_339:                            ;   in Loop: Header=BB940_215 Depth=1
	s_or_b64 exec, exec, s[16:17]
.LBB940_340:                            ;   in Loop: Header=BB940_215 Depth=1
	s_or_b64 exec, exec, s[14:15]
.LBB940_341:                            ;   in Loop: Header=BB940_215 Depth=1
	s_or_b64 exec, exec, s[12:13]
	v_lshrrev_b16_e32 v44, 8, v42
	v_cmp_ne_u16_e32 vcc, 0, v44
	v_mov_b32_e32 v62, 0
	v_mov_b32_e32 v61, 0
	s_and_saveexec_b64 s[12:13], vcc
	s_cbranch_execz .LBB940_347
; %bb.342:                              ;   in Loop: Header=BB940_215 Depth=1
	v_cmp_ne_u16_e32 vcc, s9, v44
	v_mov_b32_e32 v61, 0xffff8000
	s_and_saveexec_b64 s[14:15], vcc
	s_cbranch_execz .LBB940_346
; %bb.343:                              ;   in Loop: Header=BB940_215 Depth=1
	v_and_b32_e32 v46, 0x7f, v44
	v_cmp_ne_u32_e32 vcc, s21, v46
	v_mov_b32_e32 v61, 0x7f80
	s_and_saveexec_b64 s[16:17], vcc
	s_cbranch_execz .LBB940_345
; %bb.344:                              ;   in Loop: Header=BB940_215 Depth=1
	v_and_b32_e32 v61, 7, v44
	v_ffbh_u32_e32 v64, v61
	v_min_u32_e32 v66, 32, v64
	v_subrev_u32_e32 v64, 28, v66
	v_lshlrev_b64 v[64:65], v64, v[44:45]
	v_lshrrev_b32_e32 v63, 3, v46
	v_sub_u32_e32 v44, 29, v66
	v_and_b32_e32 v64, 7, v64
	v_cmp_gt_u32_e32 vcc, 8, v46
	v_cndmask_b32_e32 v44, v63, v44, vcc
	v_cndmask_b32_e32 v46, v61, v64, vcc
	v_lshlrev_b32_e32 v61, 16, v42
	v_lshlrev_b32_e32 v46, 20, v46
	v_and_b32_e32 v61, 0x80000000, v61
	v_lshl_add_u32 v44, v44, 23, v55
	v_or3_b32 v44, v61, v44, v46
	v_lshrrev_b32_e32 v61, 16, v44
.LBB940_345:                            ;   in Loop: Header=BB940_215 Depth=1
	s_or_b64 exec, exec, s[16:17]
.LBB940_346:                            ;   in Loop: Header=BB940_215 Depth=1
	s_or_b64 exec, exec, s[14:15]
.LBB940_347:                            ;   in Loop: Header=BB940_215 Depth=1
	s_or_b64 exec, exec, s[12:13]
	v_lshrrev_b32_e32 v44, 16, v42
	v_cmp_ne_u16_sdwa s[14:15], v44, v54 src0_sel:BYTE_0 src1_sel:DWORD
	s_and_saveexec_b64 s[12:13], s[14:15]
	s_cbranch_execz .LBB940_353
; %bb.348:                              ;   in Loop: Header=BB940_215 Depth=1
	v_cmp_ne_u16_sdwa s[16:17], v44, s9 src0_sel:BYTE_0 src1_sel:DWORD
	v_mov_b32_e32 v62, 0xffff8000
	s_and_saveexec_b64 s[14:15], s[16:17]
	s_cbranch_execz .LBB940_352
; %bb.349:                              ;   in Loop: Header=BB940_215 Depth=1
	v_bfe_u32 v46, v42, 16, 7
	v_cmp_ne_u32_e32 vcc, s21, v46
	v_mov_b32_e32 v62, 0x7f80
	s_and_saveexec_b64 s[16:17], vcc
	s_cbranch_execz .LBB940_351
; %bb.350:                              ;   in Loop: Header=BB940_215 Depth=1
	v_and_b32_e32 v64, 7, v44
	v_ffbh_u32_e32 v62, v64
	v_min_u32_e32 v66, 32, v62
	v_subrev_u32_e32 v62, 28, v66
	v_lshlrev_b64 v[62:63], v62, v[44:45]
	v_lshrrev_b32_e32 v65, 3, v46
	v_sub_u32_e32 v63, 29, v66
	v_and_b32_e32 v62, 7, v62
	v_cmp_gt_u32_e32 vcc, 8, v46
	v_cndmask_b32_e32 v46, v65, v63, vcc
	v_cndmask_b32_e32 v62, v64, v62, vcc
	v_lshlrev_b32_e32 v44, 24, v44
	v_lshlrev_b32_e32 v62, 20, v62
	v_and_b32_e32 v44, 0x80000000, v44
	v_lshl_add_u32 v46, v46, 23, v55
	v_or3_b32 v44, v44, v46, v62
	v_lshrrev_b32_e32 v62, 16, v44
.LBB940_351:                            ;   in Loop: Header=BB940_215 Depth=1
	s_or_b64 exec, exec, s[16:17]
.LBB940_352:                            ;   in Loop: Header=BB940_215 Depth=1
	s_or_b64 exec, exec, s[14:15]
.LBB940_353:                            ;   in Loop: Header=BB940_215 Depth=1
	s_or_b64 exec, exec, s[12:13]
	v_cmp_lt_u32_e32 vcc, s22, v42
	v_mov_b32_e32 v46, 0
	v_mov_b32_e32 v63, 0
	s_and_saveexec_b64 s[12:13], vcc
	s_cbranch_execz .LBB940_359
; %bb.354:                              ;   in Loop: Header=BB940_215 Depth=1
	v_lshrrev_b32_e32 v44, 24, v42
	v_cmp_ne_u32_e32 vcc, s9, v44
	v_mov_b32_e32 v63, 0xffff8000
	s_and_saveexec_b64 s[14:15], vcc
	s_cbranch_execz .LBB940_358
; %bb.355:                              ;   in Loop: Header=BB940_215 Depth=1
	v_bfe_u32 v42, v42, 24, 7
	v_cmp_ne_u32_e32 vcc, s21, v42
	v_mov_b32_e32 v63, 0x7f80
	s_and_saveexec_b64 s[16:17], vcc
	s_cbranch_execz .LBB940_357
; %bb.356:                              ;   in Loop: Header=BB940_215 Depth=1
	v_and_b32_e32 v63, 7, v44
	v_ffbh_u32_e32 v64, v63
	v_min_u32_e32 v67, 32, v64
	v_subrev_u32_e32 v64, 28, v67
	v_lshlrev_b64 v[64:65], v64, v[44:45]
	v_lshrrev_b32_e32 v66, 3, v42
	v_sub_u32_e32 v65, 29, v67
	v_and_b32_e32 v64, 7, v64
	v_cmp_gt_u32_e32 vcc, 8, v42
	v_cndmask_b32_e32 v42, v66, v65, vcc
	v_cndmask_b32_e32 v63, v63, v64, vcc
	v_lshlrev_b32_e32 v44, 24, v44
	v_lshlrev_b32_e32 v63, 20, v63
	v_and_b32_e32 v44, 0x80000000, v44
	v_lshl_add_u32 v42, v42, 23, v55
	v_or3_b32 v42, v44, v42, v63
	v_lshrrev_b32_e32 v63, 16, v42
.LBB940_357:                            ;   in Loop: Header=BB940_215 Depth=1
	s_or_b64 exec, exec, s[16:17]
.LBB940_358:                            ;   in Loop: Header=BB940_215 Depth=1
	s_or_b64 exec, exec, s[14:15]
.LBB940_359:                            ;   in Loop: Header=BB940_215 Depth=1
	s_or_b64 exec, exec, s[12:13]
	v_perm_b32 v65, v60, v58, s23
	v_perm_b32 v64, v57, v56, s23
	v_perm_b32 v57, v63, v62, s23
	v_perm_b32 v56, v61, v59, s23
	s_waitcnt vmcnt(1)
	v_cmp_ne_u16_sdwa s[14:15], v40, v54 src0_sel:BYTE_0 src1_sel:DWORD
	v_mfma_f32_16x16x16bf16_1k v[34:37], v[64:65], v[10:11], v[34:37]
	v_mfma_f32_16x16x16bf16_1k v[34:37], v[56:57], v[12:13], v[34:37]
	s_and_saveexec_b64 s[12:13], s[14:15]
	s_cbranch_execz .LBB940_365
; %bb.360:                              ;   in Loop: Header=BB940_215 Depth=1
	v_cmp_ne_u16_sdwa s[16:17], v40, s9 src0_sel:BYTE_0 src1_sel:DWORD
	v_mov_b32_e32 v46, 0xffff8000
	s_and_saveexec_b64 s[14:15], s[16:17]
	s_cbranch_execz .LBB940_364
; %bb.361:                              ;   in Loop: Header=BB940_215 Depth=1
	v_and_b32_e32 v42, 0x7f, v40
	v_cmp_ne_u32_e32 vcc, s21, v42
	v_mov_b32_e32 v46, 0x7f80
	s_and_saveexec_b64 s[16:17], vcc
	s_cbranch_execz .LBB940_363
; %bb.362:                              ;   in Loop: Header=BB940_215 Depth=1
	v_and_b32_e32 v44, 7, v40
	v_ffbh_u32_e32 v56, v44
	v_min_u32_e32 v58, 32, v56
	v_subrev_u32_e32 v56, 28, v58
	v_lshlrev_b64 v[56:57], v56, v[40:41]
	v_lshrrev_b32_e32 v46, 3, v42
	v_sub_u32_e32 v57, 29, v58
	v_and_b32_e32 v56, 7, v56
	v_cmp_gt_u32_e32 vcc, 8, v42
	v_cndmask_b32_e32 v42, v46, v57, vcc
	v_cndmask_b32_e32 v44, v44, v56, vcc
	v_lshlrev_b32_e32 v46, 24, v40
	v_lshlrev_b32_e32 v44, 20, v44
	v_and_b32_e32 v46, 0x80000000, v46
	v_lshl_add_u32 v42, v42, 23, v55
	v_or3_b32 v42, v46, v42, v44
	v_lshrrev_b32_e32 v46, 16, v42
.LBB940_363:                            ;   in Loop: Header=BB940_215 Depth=1
	s_or_b64 exec, exec, s[16:17]
.LBB940_364:                            ;   in Loop: Header=BB940_215 Depth=1
	s_or_b64 exec, exec, s[14:15]
.LBB940_365:                            ;   in Loop: Header=BB940_215 Depth=1
	s_or_b64 exec, exec, s[12:13]
	v_lshrrev_b16_e32 v42, 8, v40
	v_cmp_ne_u16_e32 vcc, 0, v42
	v_mov_b32_e32 v57, 0
	v_mov_b32_e32 v44, 0
	s_and_saveexec_b64 s[12:13], vcc
	s_cbranch_execz .LBB940_371
; %bb.366:                              ;   in Loop: Header=BB940_215 Depth=1
	v_cmp_ne_u16_e32 vcc, s9, v42
	v_mov_b32_e32 v44, 0xffff8000
	s_and_saveexec_b64 s[14:15], vcc
	s_cbranch_execz .LBB940_370
; %bb.367:                              ;   in Loop: Header=BB940_215 Depth=1
	v_and_b32_e32 v56, 0x7f, v42
	v_cmp_ne_u32_e32 vcc, s21, v56
	v_mov_b32_e32 v44, 0x7f80
	s_and_saveexec_b64 s[16:17], vcc
	s_cbranch_execz .LBB940_369
; %bb.368:                              ;   in Loop: Header=BB940_215 Depth=1
	v_and_b32_e32 v44, 7, v42
	v_ffbh_u32_e32 v58, v44
	v_min_u32_e32 v61, 32, v58
	v_subrev_u32_e32 v58, 28, v61
	v_lshlrev_b64 v[58:59], v58, v[42:43]
	v_lshrrev_b32_e32 v60, 3, v56
	v_sub_u32_e32 v42, 29, v61
	v_and_b32_e32 v58, 7, v58
	v_cmp_gt_u32_e32 vcc, 8, v56
	v_cndmask_b32_e32 v42, v60, v42, vcc
	v_cndmask_b32_e32 v44, v44, v58, vcc
	v_lshlrev_b32_e32 v56, 16, v40
	v_lshlrev_b32_e32 v44, 20, v44
	v_and_b32_e32 v56, 0x80000000, v56
	v_lshl_add_u32 v42, v42, 23, v55
	v_or3_b32 v42, v56, v42, v44
	v_lshrrev_b32_e32 v44, 16, v42
.LBB940_369:                            ;   in Loop: Header=BB940_215 Depth=1
	s_or_b64 exec, exec, s[16:17]
.LBB940_370:                            ;   in Loop: Header=BB940_215 Depth=1
	s_or_b64 exec, exec, s[14:15]
.LBB940_371:                            ;   in Loop: Header=BB940_215 Depth=1
	s_or_b64 exec, exec, s[12:13]
	v_lshrrev_b32_e32 v42, 16, v40
	v_cmp_ne_u16_sdwa s[14:15], v42, v54 src0_sel:BYTE_0 src1_sel:DWORD
	s_and_saveexec_b64 s[12:13], s[14:15]
	s_cbranch_execz .LBB940_377
; %bb.372:                              ;   in Loop: Header=BB940_215 Depth=1
	v_cmp_ne_u16_sdwa s[16:17], v42, s9 src0_sel:BYTE_0 src1_sel:DWORD
	v_mov_b32_e32 v57, 0xffff8000
	s_and_saveexec_b64 s[14:15], s[16:17]
	s_cbranch_execz .LBB940_376
; %bb.373:                              ;   in Loop: Header=BB940_215 Depth=1
	v_bfe_u32 v56, v40, 16, 7
	v_cmp_ne_u32_e32 vcc, s21, v56
	v_mov_b32_e32 v57, 0x7f80
	s_and_saveexec_b64 s[16:17], vcc
	s_cbranch_execz .LBB940_375
; %bb.374:                              ;   in Loop: Header=BB940_215 Depth=1
	v_and_b32_e32 v57, 7, v42
	v_ffbh_u32_e32 v58, v57
	v_min_u32_e32 v61, 32, v58
	v_subrev_u32_e32 v58, 28, v61
	v_lshlrev_b64 v[58:59], v58, v[42:43]
	v_lshrrev_b32_e32 v60, 3, v56
	v_sub_u32_e32 v59, 29, v61
	v_and_b32_e32 v58, 7, v58
	v_cmp_gt_u32_e32 vcc, 8, v56
	v_cndmask_b32_e32 v56, v60, v59, vcc
	v_cndmask_b32_e32 v57, v57, v58, vcc
	v_lshlrev_b32_e32 v42, 24, v42
	v_lshlrev_b32_e32 v57, 20, v57
	v_and_b32_e32 v42, 0x80000000, v42
	v_lshl_add_u32 v56, v56, 23, v55
	v_or3_b32 v42, v42, v56, v57
	v_lshrrev_b32_e32 v57, 16, v42
.LBB940_375:                            ;   in Loop: Header=BB940_215 Depth=1
	s_or_b64 exec, exec, s[16:17]
.LBB940_376:                            ;   in Loop: Header=BB940_215 Depth=1
	s_or_b64 exec, exec, s[14:15]
.LBB940_377:                            ;   in Loop: Header=BB940_215 Depth=1
	s_or_b64 exec, exec, s[12:13]
	v_cmp_lt_u32_e32 vcc, s22, v40
	v_mov_b32_e32 v58, 0
	v_mov_b32_e32 v59, 0
	s_and_saveexec_b64 s[12:13], vcc
	s_cbranch_execz .LBB940_383
; %bb.378:                              ;   in Loop: Header=BB940_215 Depth=1
	v_lshrrev_b32_e32 v42, 24, v40
	v_cmp_ne_u32_e32 vcc, s9, v42
	v_mov_b32_e32 v59, 0xffff8000
	s_and_saveexec_b64 s[14:15], vcc
	s_cbranch_execz .LBB940_382
; %bb.379:                              ;   in Loop: Header=BB940_215 Depth=1
	v_bfe_u32 v40, v40, 24, 7
	v_cmp_ne_u32_e32 vcc, s21, v40
	v_mov_b32_e32 v59, 0x7f80
	s_and_saveexec_b64 s[16:17], vcc
	s_cbranch_execz .LBB940_381
; %bb.380:                              ;   in Loop: Header=BB940_215 Depth=1
	v_and_b32_e32 v56, 7, v42
	v_ffbh_u32_e32 v60, v56
	v_min_u32_e32 v62, 32, v60
	v_subrev_u32_e32 v60, 28, v62
	v_lshlrev_b64 v[60:61], v60, v[42:43]
	v_lshrrev_b32_e32 v59, 3, v40
	v_sub_u32_e32 v61, 29, v62
	v_and_b32_e32 v60, 7, v60
	v_cmp_gt_u32_e32 vcc, 8, v40
	v_cndmask_b32_e32 v40, v59, v61, vcc
	v_cndmask_b32_e32 v56, v56, v60, vcc
	v_lshlrev_b32_e32 v42, 24, v42
	v_lshlrev_b32_e32 v56, 20, v56
	v_and_b32_e32 v42, 0x80000000, v42
	v_lshl_add_u32 v40, v40, 23, v55
	v_or3_b32 v40, v42, v40, v56
	v_lshrrev_b32_e32 v59, 16, v40
.LBB940_381:                            ;   in Loop: Header=BB940_215 Depth=1
	s_or_b64 exec, exec, s[16:17]
.LBB940_382:                            ;   in Loop: Header=BB940_215 Depth=1
	s_or_b64 exec, exec, s[14:15]
.LBB940_383:                            ;   in Loop: Header=BB940_215 Depth=1
	s_or_b64 exec, exec, s[12:13]
	s_waitcnt vmcnt(0)
	v_cmp_ne_u16_sdwa s[14:15], v38, v54 src0_sel:BYTE_0 src1_sel:DWORD
	s_and_saveexec_b64 s[12:13], s[14:15]
	s_cbranch_execz .LBB940_389
; %bb.384:                              ;   in Loop: Header=BB940_215 Depth=1
	v_cmp_ne_u16_sdwa s[16:17], v38, s9 src0_sel:BYTE_0 src1_sel:DWORD
	v_mov_b32_e32 v58, 0xffff8000
	s_and_saveexec_b64 s[14:15], s[16:17]
	s_cbranch_execz .LBB940_388
; %bb.385:                              ;   in Loop: Header=BB940_215 Depth=1
	v_and_b32_e32 v40, 0x7f, v38
	v_cmp_ne_u32_e32 vcc, s21, v40
	v_mov_b32_e32 v58, 0x7f80
	s_and_saveexec_b64 s[16:17], vcc
	s_cbranch_execz .LBB940_387
; %bb.386:                              ;   in Loop: Header=BB940_215 Depth=1
	v_and_b32_e32 v42, 7, v38
	v_ffbh_u32_e32 v58, v42
	v_min_u32_e32 v58, 32, v58
	v_subrev_u32_e32 v60, 28, v58
	v_lshlrev_b64 v[60:61], v60, v[38:39]
	v_lshrrev_b32_e32 v56, 3, v40
	v_sub_u32_e32 v58, 29, v58
	v_and_b32_e32 v60, 7, v60
	v_cmp_gt_u32_e32 vcc, 8, v40
	v_cndmask_b32_e32 v40, v56, v58, vcc
	v_cndmask_b32_e32 v42, v42, v60, vcc
	v_lshlrev_b32_e32 v56, 24, v38
	v_lshlrev_b32_e32 v42, 20, v42
	v_and_b32_e32 v56, 0x80000000, v56
	v_lshl_add_u32 v40, v40, 23, v55
	v_or3_b32 v40, v56, v40, v42
	v_lshrrev_b32_e32 v58, 16, v40
.LBB940_387:                            ;   in Loop: Header=BB940_215 Depth=1
	s_or_b64 exec, exec, s[16:17]
.LBB940_388:                            ;   in Loop: Header=BB940_215 Depth=1
	s_or_b64 exec, exec, s[14:15]
.LBB940_389:                            ;   in Loop: Header=BB940_215 Depth=1
	s_or_b64 exec, exec, s[12:13]
	v_lshrrev_b16_e32 v40, 8, v38
	v_cmp_ne_u16_e32 vcc, 0, v40
	v_mov_b32_e32 v61, 0
	v_mov_b32_e32 v60, 0
	s_and_saveexec_b64 s[12:13], vcc
	s_cbranch_execz .LBB940_395
; %bb.390:                              ;   in Loop: Header=BB940_215 Depth=1
	v_cmp_ne_u16_e32 vcc, s9, v40
	v_mov_b32_e32 v60, 0xffff8000
	s_and_saveexec_b64 s[14:15], vcc
	s_cbranch_execz .LBB940_394
; %bb.391:                              ;   in Loop: Header=BB940_215 Depth=1
	v_and_b32_e32 v42, 0x7f, v40
	v_cmp_ne_u32_e32 vcc, s21, v42
	v_mov_b32_e32 v60, 0x7f80
	s_and_saveexec_b64 s[16:17], vcc
	s_cbranch_execz .LBB940_393
; %bb.392:                              ;   in Loop: Header=BB940_215 Depth=1
	v_and_b32_e32 v56, 7, v40
	v_ffbh_u32_e32 v62, v56
	v_min_u32_e32 v64, 32, v62
	v_subrev_u32_e32 v62, 28, v64
	v_lshlrev_b64 v[62:63], v62, v[40:41]
	v_lshrrev_b32_e32 v60, 3, v42
	v_sub_u32_e32 v40, 29, v64
	v_and_b32_e32 v62, 7, v62
	v_cmp_gt_u32_e32 vcc, 8, v42
	v_cndmask_b32_e32 v40, v60, v40, vcc
	v_cndmask_b32_e32 v42, v56, v62, vcc
	v_lshlrev_b32_e32 v56, 16, v38
	v_lshlrev_b32_e32 v42, 20, v42
	v_and_b32_e32 v56, 0x80000000, v56
	v_lshl_add_u32 v40, v40, 23, v55
	v_or3_b32 v40, v56, v40, v42
	v_lshrrev_b32_e32 v60, 16, v40
.LBB940_393:                            ;   in Loop: Header=BB940_215 Depth=1
	s_or_b64 exec, exec, s[16:17]
.LBB940_394:                            ;   in Loop: Header=BB940_215 Depth=1
	s_or_b64 exec, exec, s[14:15]
.LBB940_395:                            ;   in Loop: Header=BB940_215 Depth=1
	s_or_b64 exec, exec, s[12:13]
	v_lshrrev_b32_e32 v40, 16, v38
	v_cmp_ne_u16_sdwa s[14:15], v40, v54 src0_sel:BYTE_0 src1_sel:DWORD
	s_and_saveexec_b64 s[12:13], s[14:15]
	s_cbranch_execz .LBB940_401
; %bb.396:                              ;   in Loop: Header=BB940_215 Depth=1
	v_cmp_ne_u16_sdwa s[16:17], v40, s9 src0_sel:BYTE_0 src1_sel:DWORD
	v_mov_b32_e32 v61, 0xffff8000
	s_and_saveexec_b64 s[14:15], s[16:17]
	s_cbranch_execz .LBB940_400
; %bb.397:                              ;   in Loop: Header=BB940_215 Depth=1
	v_bfe_u32 v42, v38, 16, 7
	v_cmp_ne_u32_e32 vcc, s21, v42
	v_mov_b32_e32 v61, 0x7f80
	s_and_saveexec_b64 s[16:17], vcc
	s_cbranch_execz .LBB940_399
; %bb.398:                              ;   in Loop: Header=BB940_215 Depth=1
	v_and_b32_e32 v56, 7, v40
	v_ffbh_u32_e32 v62, v56
	v_min_u32_e32 v64, 32, v62
	v_subrev_u32_e32 v62, 28, v64
	v_lshlrev_b64 v[62:63], v62, v[40:41]
	v_lshrrev_b32_e32 v61, 3, v42
	v_sub_u32_e32 v63, 29, v64
	v_and_b32_e32 v62, 7, v62
	v_cmp_gt_u32_e32 vcc, 8, v42
	v_cndmask_b32_e32 v42, v61, v63, vcc
	v_cndmask_b32_e32 v56, v56, v62, vcc
	v_lshlrev_b32_e32 v40, 24, v40
	v_lshlrev_b32_e32 v56, 20, v56
	v_and_b32_e32 v40, 0x80000000, v40
	v_lshl_add_u32 v42, v42, 23, v55
	v_or3_b32 v40, v40, v42, v56
	v_lshrrev_b32_e32 v61, 16, v40
.LBB940_399:                            ;   in Loop: Header=BB940_215 Depth=1
	s_or_b64 exec, exec, s[16:17]
.LBB940_400:                            ;   in Loop: Header=BB940_215 Depth=1
	s_or_b64 exec, exec, s[14:15]
.LBB940_401:                            ;   in Loop: Header=BB940_215 Depth=1
	s_or_b64 exec, exec, s[12:13]
	v_cmp_lt_u32_e32 vcc, s22, v38
	v_mov_b32_e32 v56, 0
	v_mov_b32_e32 v62, 0
	s_and_saveexec_b64 s[12:13], vcc
	s_cbranch_execz .LBB940_407
; %bb.402:                              ;   in Loop: Header=BB940_215 Depth=1
	v_lshrrev_b32_e32 v40, 24, v38
	v_cmp_ne_u32_e32 vcc, s9, v40
	v_mov_b32_e32 v62, 0xffff8000
	s_and_saveexec_b64 s[14:15], vcc
	s_cbranch_execz .LBB940_406
; %bb.403:                              ;   in Loop: Header=BB940_215 Depth=1
	v_bfe_u32 v38, v38, 24, 7
	v_cmp_ne_u32_e32 vcc, s21, v38
	v_mov_b32_e32 v62, 0x7f80
	s_and_saveexec_b64 s[16:17], vcc
	s_cbranch_execz .LBB940_405
; %bb.404:                              ;   in Loop: Header=BB940_215 Depth=1
	v_and_b32_e32 v42, 7, v40
	v_ffbh_u32_e32 v62, v42
	v_min_u32_e32 v65, 32, v62
	v_subrev_u32_e32 v62, 28, v65
	v_lshlrev_b64 v[62:63], v62, v[40:41]
	v_lshrrev_b32_e32 v64, 3, v38
	v_sub_u32_e32 v63, 29, v65
	v_and_b32_e32 v62, 7, v62
	v_cmp_gt_u32_e32 vcc, 8, v38
	v_cndmask_b32_e32 v38, v64, v63, vcc
	v_cndmask_b32_e32 v42, v42, v62, vcc
	v_lshlrev_b32_e32 v40, 24, v40
	v_lshlrev_b32_e32 v42, 20, v42
	v_and_b32_e32 v40, 0x80000000, v40
	v_lshl_add_u32 v38, v38, 23, v55
	v_or3_b32 v38, v40, v38, v42
	v_lshrrev_b32_e32 v62, 16, v38
.LBB940_405:                            ;   in Loop: Header=BB940_215 Depth=1
	s_or_b64 exec, exec, s[16:17]
.LBB940_406:                            ;   in Loop: Header=BB940_215 Depth=1
	s_or_b64 exec, exec, s[14:15]
.LBB940_407:                            ;   in Loop: Header=BB940_215 Depth=1
	s_or_b64 exec, exec, s[12:13]
	v_perm_b32 v64, v44, v46, s23
	buffer_load_dword v44, v51, s[0:3], 0 offen
	buffer_load_dword v42, v51, s[0:3], 0 offen offset:4
	buffer_load_dword v40, v51, s[0:3], 0 offen offset:8
	;; [unrolled: 1-line block ×3, first 2 shown]
	v_perm_b32 v65, v59, v57, s23
	v_perm_b32 v59, v62, v61, s23
	;; [unrolled: 1-line block ×3, first 2 shown]
	v_mfma_f32_16x16x16bf16_1k v[34:37], v[64:65], v[14:15], v[34:37]
	s_waitcnt vmcnt(3)
	v_cmp_ne_u16_sdwa s[14:15], v44, v54 src0_sel:BYTE_0 src1_sel:DWORD
	v_mfma_f32_16x16x16bf16_1k v[34:37], v[58:59], v[16:17], v[34:37]
	s_and_saveexec_b64 s[12:13], s[14:15]
	s_cbranch_execz .LBB940_413
; %bb.408:                              ;   in Loop: Header=BB940_215 Depth=1
	v_cmp_ne_u16_sdwa s[16:17], v44, s9 src0_sel:BYTE_0 src1_sel:DWORD
	v_mov_b32_e32 v56, 0xffff8000
	s_and_saveexec_b64 s[14:15], s[16:17]
	s_cbranch_execz .LBB940_412
; %bb.409:                              ;   in Loop: Header=BB940_215 Depth=1
	v_and_b32_e32 v46, 0x7f, v44
	v_cmp_ne_u32_e32 vcc, s21, v46
	v_mov_b32_e32 v56, 0x7f80
	s_and_saveexec_b64 s[16:17], vcc
	s_cbranch_execz .LBB940_411
; %bb.410:                              ;   in Loop: Header=BB940_215 Depth=1
	v_and_b32_e32 v51, 7, v44
	v_ffbh_u32_e32 v56, v51
	v_min_u32_e32 v59, 32, v56
	v_subrev_u32_e32 v56, 28, v59
	v_lshlrev_b64 v[56:57], v56, v[44:45]
	v_lshrrev_b32_e32 v58, 3, v46
	v_sub_u32_e32 v57, 29, v59
	v_and_b32_e32 v56, 7, v56
	v_cmp_gt_u32_e32 vcc, 8, v46
	v_cndmask_b32_e32 v46, v58, v57, vcc
	v_cndmask_b32_e32 v51, v51, v56, vcc
	v_lshlrev_b32_e32 v56, 24, v44
	v_lshlrev_b32_e32 v51, 20, v51
	v_and_b32_e32 v56, 0x80000000, v56
	v_lshl_add_u32 v46, v46, 23, v55
	v_or3_b32 v46, v56, v46, v51
	v_lshrrev_b32_e32 v56, 16, v46
.LBB940_411:                            ;   in Loop: Header=BB940_215 Depth=1
	s_or_b64 exec, exec, s[16:17]
.LBB940_412:                            ;   in Loop: Header=BB940_215 Depth=1
	s_or_b64 exec, exec, s[14:15]
.LBB940_413:                            ;   in Loop: Header=BB940_215 Depth=1
	s_or_b64 exec, exec, s[12:13]
	v_lshrrev_b16_e32 v46, 8, v44
	v_cmp_ne_u16_e32 vcc, 0, v46
	v_mov_b32_e32 v57, 0
	v_mov_b32_e32 v51, 0
	s_and_saveexec_b64 s[12:13], vcc
	s_cbranch_execz .LBB940_419
; %bb.414:                              ;   in Loop: Header=BB940_215 Depth=1
	v_cmp_ne_u16_e32 vcc, s9, v46
	v_mov_b32_e32 v51, 0xffff8000
	s_and_saveexec_b64 s[14:15], vcc
	s_cbranch_execz .LBB940_418
; %bb.415:                              ;   in Loop: Header=BB940_215 Depth=1
	v_and_b32_e32 v58, 0x7f, v46
	v_cmp_ne_u32_e32 vcc, s21, v58
	v_mov_b32_e32 v51, 0x7f80
	s_and_saveexec_b64 s[16:17], vcc
	s_cbranch_execz .LBB940_417
; %bb.416:                              ;   in Loop: Header=BB940_215 Depth=1
	v_and_b32_e32 v51, 7, v46
	v_ffbh_u32_e32 v60, v51
	v_min_u32_e32 v62, 32, v60
	v_subrev_u32_e32 v60, 28, v62
	v_lshlrev_b64 v[60:61], v60, v[46:47]
	v_lshrrev_b32_e32 v59, 3, v58
	v_sub_u32_e32 v46, 29, v62
	v_and_b32_e32 v60, 7, v60
	v_cmp_gt_u32_e32 vcc, 8, v58
	v_cndmask_b32_e32 v46, v59, v46, vcc
	v_cndmask_b32_e32 v51, v51, v60, vcc
	v_lshlrev_b32_e32 v58, 16, v44
	v_lshlrev_b32_e32 v51, 20, v51
	v_and_b32_e32 v58, 0x80000000, v58
	v_lshl_add_u32 v46, v46, 23, v55
	v_or3_b32 v46, v58, v46, v51
	v_lshrrev_b32_e32 v51, 16, v46
.LBB940_417:                            ;   in Loop: Header=BB940_215 Depth=1
	s_or_b64 exec, exec, s[16:17]
.LBB940_418:                            ;   in Loop: Header=BB940_215 Depth=1
	s_or_b64 exec, exec, s[14:15]
.LBB940_419:                            ;   in Loop: Header=BB940_215 Depth=1
	s_or_b64 exec, exec, s[12:13]
	v_lshrrev_b32_e32 v46, 16, v44
	v_cmp_ne_u16_sdwa s[14:15], v46, v54 src0_sel:BYTE_0 src1_sel:DWORD
	s_and_saveexec_b64 s[12:13], s[14:15]
	s_cbranch_execz .LBB940_425
; %bb.420:                              ;   in Loop: Header=BB940_215 Depth=1
	v_cmp_ne_u16_sdwa s[16:17], v46, s9 src0_sel:BYTE_0 src1_sel:DWORD
	v_mov_b32_e32 v57, 0xffff8000
	s_and_saveexec_b64 s[14:15], s[16:17]
	s_cbranch_execz .LBB940_424
; %bb.421:                              ;   in Loop: Header=BB940_215 Depth=1
	v_bfe_u32 v58, v44, 16, 7
	v_cmp_ne_u32_e32 vcc, s21, v58
	v_mov_b32_e32 v57, 0x7f80
	s_and_saveexec_b64 s[16:17], vcc
	s_cbranch_execz .LBB940_423
; %bb.422:                              ;   in Loop: Header=BB940_215 Depth=1
	v_and_b32_e32 v57, 7, v46
	v_ffbh_u32_e32 v60, v57
	v_min_u32_e32 v62, 32, v60
	v_subrev_u32_e32 v60, 28, v62
	v_lshlrev_b64 v[60:61], v60, v[46:47]
	v_lshrrev_b32_e32 v59, 3, v58
	v_sub_u32_e32 v61, 29, v62
	v_and_b32_e32 v60, 7, v60
	v_cmp_gt_u32_e32 vcc, 8, v58
	v_cndmask_b32_e32 v58, v59, v61, vcc
	v_cndmask_b32_e32 v57, v57, v60, vcc
	v_lshlrev_b32_e32 v46, 24, v46
	v_lshlrev_b32_e32 v57, 20, v57
	v_and_b32_e32 v46, 0x80000000, v46
	v_lshl_add_u32 v58, v58, 23, v55
	v_or3_b32 v46, v46, v58, v57
	v_lshrrev_b32_e32 v57, 16, v46
.LBB940_423:                            ;   in Loop: Header=BB940_215 Depth=1
	s_or_b64 exec, exec, s[16:17]
.LBB940_424:                            ;   in Loop: Header=BB940_215 Depth=1
	s_or_b64 exec, exec, s[14:15]
.LBB940_425:                            ;   in Loop: Header=BB940_215 Depth=1
	s_or_b64 exec, exec, s[12:13]
	v_cmp_lt_u32_e32 vcc, s22, v44
	v_mov_b32_e32 v58, 0
	v_mov_b32_e32 v59, 0
	s_and_saveexec_b64 s[12:13], vcc
	s_cbranch_execz .LBB940_431
; %bb.426:                              ;   in Loop: Header=BB940_215 Depth=1
	v_lshrrev_b32_e32 v46, 24, v44
	v_cmp_ne_u32_e32 vcc, s9, v46
	v_mov_b32_e32 v59, 0xffff8000
	s_and_saveexec_b64 s[14:15], vcc
	s_cbranch_execz .LBB940_430
; %bb.427:                              ;   in Loop: Header=BB940_215 Depth=1
	v_bfe_u32 v44, v44, 24, 7
	v_cmp_ne_u32_e32 vcc, s21, v44
	v_mov_b32_e32 v59, 0x7f80
	s_and_saveexec_b64 s[16:17], vcc
	s_cbranch_execz .LBB940_429
; %bb.428:                              ;   in Loop: Header=BB940_215 Depth=1
	v_and_b32_e32 v59, 7, v46
	v_ffbh_u32_e32 v60, v59
	v_min_u32_e32 v63, 32, v60
	v_subrev_u32_e32 v60, 28, v63
	v_lshlrev_b64 v[60:61], v60, v[46:47]
	v_lshrrev_b32_e32 v62, 3, v44
	v_sub_u32_e32 v61, 29, v63
	v_and_b32_e32 v60, 7, v60
	v_cmp_gt_u32_e32 vcc, 8, v44
	v_cndmask_b32_e32 v44, v62, v61, vcc
	v_cndmask_b32_e32 v59, v59, v60, vcc
	v_lshlrev_b32_e32 v46, 24, v46
	v_lshlrev_b32_e32 v59, 20, v59
	v_and_b32_e32 v46, 0x80000000, v46
	v_lshl_add_u32 v44, v44, 23, v55
	v_or3_b32 v44, v46, v44, v59
	v_lshrrev_b32_e32 v59, 16, v44
.LBB940_429:                            ;   in Loop: Header=BB940_215 Depth=1
	s_or_b64 exec, exec, s[16:17]
.LBB940_430:                            ;   in Loop: Header=BB940_215 Depth=1
	s_or_b64 exec, exec, s[14:15]
.LBB940_431:                            ;   in Loop: Header=BB940_215 Depth=1
	s_or_b64 exec, exec, s[12:13]
	s_waitcnt vmcnt(2)
	v_cmp_ne_u16_sdwa s[14:15], v42, v54 src0_sel:BYTE_0 src1_sel:DWORD
	s_and_saveexec_b64 s[12:13], s[14:15]
	s_cbranch_execz .LBB940_437
; %bb.432:                              ;   in Loop: Header=BB940_215 Depth=1
	v_cmp_ne_u16_sdwa s[16:17], v42, s9 src0_sel:BYTE_0 src1_sel:DWORD
	v_mov_b32_e32 v58, 0xffff8000
	s_and_saveexec_b64 s[14:15], s[16:17]
	s_cbranch_execz .LBB940_436
; %bb.433:                              ;   in Loop: Header=BB940_215 Depth=1
	v_and_b32_e32 v44, 0x7f, v42
	v_cmp_ne_u32_e32 vcc, s21, v44
	v_mov_b32_e32 v58, 0x7f80
	s_and_saveexec_b64 s[16:17], vcc
	s_cbranch_execz .LBB940_435
; %bb.434:                              ;   in Loop: Header=BB940_215 Depth=1
	v_and_b32_e32 v46, 7, v42
	v_ffbh_u32_e32 v60, v46
	v_min_u32_e32 v62, 32, v60
	v_subrev_u32_e32 v60, 28, v62
	v_lshlrev_b64 v[60:61], v60, v[42:43]
	v_lshrrev_b32_e32 v58, 3, v44
	v_sub_u32_e32 v61, 29, v62
	v_and_b32_e32 v60, 7, v60
	v_cmp_gt_u32_e32 vcc, 8, v44
	v_cndmask_b32_e32 v44, v58, v61, vcc
	v_cndmask_b32_e32 v46, v46, v60, vcc
	v_lshlrev_b32_e32 v58, 24, v42
	v_lshlrev_b32_e32 v46, 20, v46
	v_and_b32_e32 v58, 0x80000000, v58
	v_lshl_add_u32 v44, v44, 23, v55
	v_or3_b32 v44, v58, v44, v46
	v_lshrrev_b32_e32 v58, 16, v44
.LBB940_435:                            ;   in Loop: Header=BB940_215 Depth=1
	s_or_b64 exec, exec, s[16:17]
.LBB940_436:                            ;   in Loop: Header=BB940_215 Depth=1
	s_or_b64 exec, exec, s[14:15]
.LBB940_437:                            ;   in Loop: Header=BB940_215 Depth=1
	s_or_b64 exec, exec, s[12:13]
	v_lshrrev_b16_e32 v44, 8, v42
	v_cmp_ne_u16_e32 vcc, 0, v44
	v_mov_b32_e32 v61, 0
	v_mov_b32_e32 v60, 0
	s_and_saveexec_b64 s[12:13], vcc
	s_cbranch_execz .LBB940_443
; %bb.438:                              ;   in Loop: Header=BB940_215 Depth=1
	v_cmp_ne_u16_e32 vcc, s9, v44
	v_mov_b32_e32 v60, 0xffff8000
	s_and_saveexec_b64 s[14:15], vcc
	s_cbranch_execz .LBB940_442
; %bb.439:                              ;   in Loop: Header=BB940_215 Depth=1
	v_and_b32_e32 v46, 0x7f, v44
	v_cmp_ne_u32_e32 vcc, s21, v46
	v_mov_b32_e32 v60, 0x7f80
	s_and_saveexec_b64 s[16:17], vcc
	s_cbranch_execz .LBB940_441
; %bb.440:                              ;   in Loop: Header=BB940_215 Depth=1
	v_and_b32_e32 v60, 7, v44
	v_ffbh_u32_e32 v62, v60
	v_min_u32_e32 v65, 32, v62
	v_subrev_u32_e32 v62, 28, v65
	v_lshlrev_b64 v[62:63], v62, v[44:45]
	v_lshrrev_b32_e32 v64, 3, v46
	v_sub_u32_e32 v44, 29, v65
	v_and_b32_e32 v62, 7, v62
	v_cmp_gt_u32_e32 vcc, 8, v46
	v_cndmask_b32_e32 v44, v64, v44, vcc
	v_cndmask_b32_e32 v46, v60, v62, vcc
	v_lshlrev_b32_e32 v60, 16, v42
	v_lshlrev_b32_e32 v46, 20, v46
	v_and_b32_e32 v60, 0x80000000, v60
	v_lshl_add_u32 v44, v44, 23, v55
	v_or3_b32 v44, v60, v44, v46
	v_lshrrev_b32_e32 v60, 16, v44
.LBB940_441:                            ;   in Loop: Header=BB940_215 Depth=1
	s_or_b64 exec, exec, s[16:17]
.LBB940_442:                            ;   in Loop: Header=BB940_215 Depth=1
	s_or_b64 exec, exec, s[14:15]
.LBB940_443:                            ;   in Loop: Header=BB940_215 Depth=1
	s_or_b64 exec, exec, s[12:13]
	v_lshrrev_b32_e32 v44, 16, v42
	v_cmp_ne_u16_sdwa s[14:15], v44, v54 src0_sel:BYTE_0 src1_sel:DWORD
	s_and_saveexec_b64 s[12:13], s[14:15]
	s_cbranch_execz .LBB940_449
; %bb.444:                              ;   in Loop: Header=BB940_215 Depth=1
	v_cmp_ne_u16_sdwa s[16:17], v44, s9 src0_sel:BYTE_0 src1_sel:DWORD
	v_mov_b32_e32 v61, 0xffff8000
	s_and_saveexec_b64 s[14:15], s[16:17]
	s_cbranch_execz .LBB940_448
; %bb.445:                              ;   in Loop: Header=BB940_215 Depth=1
	v_bfe_u32 v46, v42, 16, 7
	v_cmp_ne_u32_e32 vcc, s21, v46
	v_mov_b32_e32 v61, 0x7f80
	s_and_saveexec_b64 s[16:17], vcc
	s_cbranch_execz .LBB940_447
; %bb.446:                              ;   in Loop: Header=BB940_215 Depth=1
	v_and_b32_e32 v61, 7, v44
	v_ffbh_u32_e32 v62, v61
	v_min_u32_e32 v65, 32, v62
	v_subrev_u32_e32 v62, 28, v65
	v_lshlrev_b64 v[62:63], v62, v[44:45]
	v_lshrrev_b32_e32 v64, 3, v46
	v_sub_u32_e32 v63, 29, v65
	v_and_b32_e32 v62, 7, v62
	v_cmp_gt_u32_e32 vcc, 8, v46
	v_cndmask_b32_e32 v46, v64, v63, vcc
	v_cndmask_b32_e32 v61, v61, v62, vcc
	v_lshlrev_b32_e32 v44, 24, v44
	v_lshlrev_b32_e32 v61, 20, v61
	v_and_b32_e32 v44, 0x80000000, v44
	v_lshl_add_u32 v46, v46, 23, v55
	v_or3_b32 v44, v44, v46, v61
	v_lshrrev_b32_e32 v61, 16, v44
.LBB940_447:                            ;   in Loop: Header=BB940_215 Depth=1
	s_or_b64 exec, exec, s[16:17]
.LBB940_448:                            ;   in Loop: Header=BB940_215 Depth=1
	s_or_b64 exec, exec, s[14:15]
.LBB940_449:                            ;   in Loop: Header=BB940_215 Depth=1
	s_or_b64 exec, exec, s[12:13]
	v_cmp_lt_u32_e32 vcc, s22, v42
	v_mov_b32_e32 v46, 0
	v_mov_b32_e32 v62, 0
	s_and_saveexec_b64 s[12:13], vcc
	s_cbranch_execz .LBB940_455
; %bb.450:                              ;   in Loop: Header=BB940_215 Depth=1
	v_lshrrev_b32_e32 v44, 24, v42
	v_cmp_ne_u32_e32 vcc, s9, v44
	v_mov_b32_e32 v62, 0xffff8000
	s_and_saveexec_b64 s[14:15], vcc
	s_cbranch_execz .LBB940_454
; %bb.451:                              ;   in Loop: Header=BB940_215 Depth=1
	v_bfe_u32 v42, v42, 24, 7
	v_cmp_ne_u32_e32 vcc, s21, v42
	v_mov_b32_e32 v62, 0x7f80
	s_and_saveexec_b64 s[16:17], vcc
	s_cbranch_execz .LBB940_453
; %bb.452:                              ;   in Loop: Header=BB940_215 Depth=1
	v_and_b32_e32 v64, 7, v44
	v_ffbh_u32_e32 v62, v64
	v_min_u32_e32 v66, 32, v62
	v_subrev_u32_e32 v62, 28, v66
	v_lshlrev_b64 v[62:63], v62, v[44:45]
	v_lshrrev_b32_e32 v65, 3, v42
	v_sub_u32_e32 v63, 29, v66
	v_and_b32_e32 v62, 7, v62
	v_cmp_gt_u32_e32 vcc, 8, v42
	v_cndmask_b32_e32 v42, v65, v63, vcc
	v_cndmask_b32_e32 v62, v64, v62, vcc
	v_lshlrev_b32_e32 v44, 24, v44
	v_lshlrev_b32_e32 v62, 20, v62
	v_and_b32_e32 v44, 0x80000000, v44
	v_lshl_add_u32 v42, v42, 23, v55
	v_or3_b32 v42, v44, v42, v62
	v_lshrrev_b32_e32 v62, 16, v42
.LBB940_453:                            ;   in Loop: Header=BB940_215 Depth=1
	s_or_b64 exec, exec, s[16:17]
.LBB940_454:                            ;   in Loop: Header=BB940_215 Depth=1
	s_or_b64 exec, exec, s[14:15]
.LBB940_455:                            ;   in Loop: Header=BB940_215 Depth=1
	s_or_b64 exec, exec, s[12:13]
	v_perm_b32 v57, v59, v57, s23
	v_perm_b32 v56, v51, v56, s23
	s_waitcnt vmcnt(1)
	v_cmp_ne_u16_sdwa s[14:15], v40, v54 src0_sel:BYTE_0 src1_sel:DWORD
	v_mfma_f32_16x16x16bf16_1k v[34:37], v[56:57], v[18:19], v[34:37]
	v_perm_b32 v57, v62, v61, s23
	v_perm_b32 v56, v60, v58, s23
	s_nop 1
	v_mfma_f32_16x16x16bf16_1k v[34:37], v[56:57], v[20:21], v[34:37]
	s_and_saveexec_b64 s[12:13], s[14:15]
	s_cbranch_execz .LBB940_461
; %bb.456:                              ;   in Loop: Header=BB940_215 Depth=1
	v_cmp_ne_u16_sdwa s[16:17], v40, s9 src0_sel:BYTE_0 src1_sel:DWORD
	v_mov_b32_e32 v46, 0xffff8000
	s_and_saveexec_b64 s[14:15], s[16:17]
	s_cbranch_execz .LBB940_460
; %bb.457:                              ;   in Loop: Header=BB940_215 Depth=1
	v_and_b32_e32 v42, 0x7f, v40
	v_cmp_ne_u32_e32 vcc, s21, v42
	v_mov_b32_e32 v46, 0x7f80
	s_and_saveexec_b64 s[16:17], vcc
	s_cbranch_execz .LBB940_459
; %bb.458:                              ;   in Loop: Header=BB940_215 Depth=1
	v_and_b32_e32 v44, 7, v40
	v_ffbh_u32_e32 v51, v44
	v_min_u32_e32 v51, 32, v51
	v_subrev_u32_e32 v56, 28, v51
	v_lshlrev_b64 v[56:57], v56, v[40:41]
	v_lshrrev_b32_e32 v46, 3, v42
	v_sub_u32_e32 v51, 29, v51
	v_and_b32_e32 v56, 7, v56
	v_cmp_gt_u32_e32 vcc, 8, v42
	v_cndmask_b32_e32 v42, v46, v51, vcc
	v_cndmask_b32_e32 v44, v44, v56, vcc
	v_lshlrev_b32_e32 v46, 24, v40
	v_lshlrev_b32_e32 v44, 20, v44
	v_and_b32_e32 v46, 0x80000000, v46
	v_lshl_add_u32 v42, v42, 23, v55
	v_or3_b32 v42, v46, v42, v44
	v_lshrrev_b32_e32 v46, 16, v42
.LBB940_459:                            ;   in Loop: Header=BB940_215 Depth=1
	s_or_b64 exec, exec, s[16:17]
.LBB940_460:                            ;   in Loop: Header=BB940_215 Depth=1
	s_or_b64 exec, exec, s[14:15]
.LBB940_461:                            ;   in Loop: Header=BB940_215 Depth=1
	s_or_b64 exec, exec, s[12:13]
	v_lshrrev_b16_e32 v42, 8, v40
	v_cmp_ne_u16_e32 vcc, 0, v42
	v_mov_b32_e32 v56, 0
	v_mov_b32_e32 v44, 0
	s_and_saveexec_b64 s[12:13], vcc
	s_cbranch_execz .LBB940_467
; %bb.462:                              ;   in Loop: Header=BB940_215 Depth=1
	v_cmp_ne_u16_e32 vcc, s9, v42
	v_mov_b32_e32 v44, 0xffff8000
	s_and_saveexec_b64 s[14:15], vcc
	s_cbranch_execz .LBB940_466
; %bb.463:                              ;   in Loop: Header=BB940_215 Depth=1
	v_and_b32_e32 v51, 0x7f, v42
	v_cmp_ne_u32_e32 vcc, s21, v51
	v_mov_b32_e32 v44, 0x7f80
	s_and_saveexec_b64 s[16:17], vcc
	s_cbranch_execz .LBB940_465
; %bb.464:                              ;   in Loop: Header=BB940_215 Depth=1
	v_and_b32_e32 v44, 7, v42
	v_ffbh_u32_e32 v58, v44
	v_min_u32_e32 v60, 32, v58
	v_subrev_u32_e32 v58, 28, v60
	v_lshlrev_b64 v[58:59], v58, v[42:43]
	v_lshrrev_b32_e32 v57, 3, v51
	v_sub_u32_e32 v42, 29, v60
	v_and_b32_e32 v58, 7, v58
	v_cmp_gt_u32_e32 vcc, 8, v51
	v_cndmask_b32_e32 v42, v57, v42, vcc
	v_cndmask_b32_e32 v44, v44, v58, vcc
	v_lshlrev_b32_e32 v51, 16, v40
	v_lshlrev_b32_e32 v44, 20, v44
	v_and_b32_e32 v51, 0x80000000, v51
	v_lshl_add_u32 v42, v42, 23, v55
	v_or3_b32 v42, v51, v42, v44
	v_lshrrev_b32_e32 v44, 16, v42
.LBB940_465:                            ;   in Loop: Header=BB940_215 Depth=1
	s_or_b64 exec, exec, s[16:17]
.LBB940_466:                            ;   in Loop: Header=BB940_215 Depth=1
	s_or_b64 exec, exec, s[14:15]
.LBB940_467:                            ;   in Loop: Header=BB940_215 Depth=1
	s_or_b64 exec, exec, s[12:13]
	v_lshrrev_b32_e32 v42, 16, v40
	v_cmp_ne_u16_sdwa s[14:15], v42, v54 src0_sel:BYTE_0 src1_sel:DWORD
	s_and_saveexec_b64 s[12:13], s[14:15]
	s_cbranch_execz .LBB940_473
; %bb.468:                              ;   in Loop: Header=BB940_215 Depth=1
	v_cmp_ne_u16_sdwa s[16:17], v42, s9 src0_sel:BYTE_0 src1_sel:DWORD
	v_mov_b32_e32 v56, 0xffff8000
	s_and_saveexec_b64 s[14:15], s[16:17]
	s_cbranch_execz .LBB940_472
; %bb.469:                              ;   in Loop: Header=BB940_215 Depth=1
	v_bfe_u32 v51, v40, 16, 7
	v_cmp_ne_u32_e32 vcc, s21, v51
	v_mov_b32_e32 v56, 0x7f80
	s_and_saveexec_b64 s[16:17], vcc
	s_cbranch_execz .LBB940_471
; %bb.470:                              ;   in Loop: Header=BB940_215 Depth=1
	v_and_b32_e32 v58, 7, v42
	v_ffbh_u32_e32 v56, v58
	v_min_u32_e32 v60, 32, v56
	v_subrev_u32_e32 v56, 28, v60
	v_lshlrev_b64 v[56:57], v56, v[42:43]
	v_lshrrev_b32_e32 v59, 3, v51
	v_sub_u32_e32 v57, 29, v60
	v_and_b32_e32 v56, 7, v56
	v_cmp_gt_u32_e32 vcc, 8, v51
	v_cndmask_b32_e32 v51, v59, v57, vcc
	v_cndmask_b32_e32 v56, v58, v56, vcc
	v_lshlrev_b32_e32 v42, 24, v42
	v_lshlrev_b32_e32 v56, 20, v56
	v_and_b32_e32 v42, 0x80000000, v42
	v_lshl_add_u32 v51, v51, 23, v55
	v_or3_b32 v42, v42, v51, v56
	v_lshrrev_b32_e32 v56, 16, v42
.LBB940_471:                            ;   in Loop: Header=BB940_215 Depth=1
	s_or_b64 exec, exec, s[16:17]
.LBB940_472:                            ;   in Loop: Header=BB940_215 Depth=1
	s_or_b64 exec, exec, s[14:15]
.LBB940_473:                            ;   in Loop: Header=BB940_215 Depth=1
	s_or_b64 exec, exec, s[12:13]
	v_cmp_lt_u32_e32 vcc, s22, v40
	v_mov_b32_e32 v57, 0
	v_mov_b32_e32 v58, 0
	s_and_saveexec_b64 s[12:13], vcc
	s_cbranch_execz .LBB940_479
; %bb.474:                              ;   in Loop: Header=BB940_215 Depth=1
	v_lshrrev_b32_e32 v42, 24, v40
	v_cmp_ne_u32_e32 vcc, s9, v42
	v_mov_b32_e32 v58, 0xffff8000
	s_and_saveexec_b64 s[14:15], vcc
	s_cbranch_execz .LBB940_478
; %bb.475:                              ;   in Loop: Header=BB940_215 Depth=1
	v_bfe_u32 v40, v40, 24, 7
	v_cmp_ne_u32_e32 vcc, s21, v40
	v_mov_b32_e32 v58, 0x7f80
	s_and_saveexec_b64 s[16:17], vcc
	s_cbranch_execz .LBB940_477
; %bb.476:                              ;   in Loop: Header=BB940_215 Depth=1
	v_and_b32_e32 v51, 7, v42
	v_ffbh_u32_e32 v58, v51
	v_min_u32_e32 v61, 32, v58
	v_subrev_u32_e32 v58, 28, v61
	v_lshlrev_b64 v[58:59], v58, v[42:43]
	v_lshrrev_b32_e32 v60, 3, v40
	v_sub_u32_e32 v59, 29, v61
	v_and_b32_e32 v58, 7, v58
	v_cmp_gt_u32_e32 vcc, 8, v40
	v_cndmask_b32_e32 v40, v60, v59, vcc
	v_cndmask_b32_e32 v51, v51, v58, vcc
	v_lshlrev_b32_e32 v42, 24, v42
	v_lshlrev_b32_e32 v51, 20, v51
	v_and_b32_e32 v42, 0x80000000, v42
	v_lshl_add_u32 v40, v40, 23, v55
	v_or3_b32 v40, v42, v40, v51
	v_lshrrev_b32_e32 v58, 16, v40
.LBB940_477:                            ;   in Loop: Header=BB940_215 Depth=1
	s_or_b64 exec, exec, s[16:17]
.LBB940_478:                            ;   in Loop: Header=BB940_215 Depth=1
	s_or_b64 exec, exec, s[14:15]
.LBB940_479:                            ;   in Loop: Header=BB940_215 Depth=1
	s_or_b64 exec, exec, s[12:13]
	s_waitcnt vmcnt(0)
	v_cmp_ne_u16_sdwa s[14:15], v38, v54 src0_sel:BYTE_0 src1_sel:DWORD
	s_and_saveexec_b64 s[12:13], s[14:15]
	s_cbranch_execz .LBB940_485
; %bb.480:                              ;   in Loop: Header=BB940_215 Depth=1
	v_cmp_ne_u16_sdwa s[16:17], v38, s9 src0_sel:BYTE_0 src1_sel:DWORD
	v_mov_b32_e32 v57, 0xffff8000
	s_and_saveexec_b64 s[14:15], s[16:17]
	s_cbranch_execz .LBB940_484
; %bb.481:                              ;   in Loop: Header=BB940_215 Depth=1
	v_and_b32_e32 v40, 0x7f, v38
	v_cmp_ne_u32_e32 vcc, s21, v40
	v_mov_b32_e32 v57, 0x7f80
	s_and_saveexec_b64 s[16:17], vcc
	s_cbranch_execz .LBB940_483
; %bb.482:                              ;   in Loop: Header=BB940_215 Depth=1
	v_and_b32_e32 v42, 7, v38
	v_ffbh_u32_e32 v57, v42
	v_min_u32_e32 v57, 32, v57
	v_subrev_u32_e32 v59, 28, v57
	v_lshlrev_b64 v[60:61], v59, v[38:39]
	v_lshrrev_b32_e32 v51, 3, v40
	v_sub_u32_e32 v57, 29, v57
	v_and_b32_e32 v59, 7, v60
	v_cmp_gt_u32_e32 vcc, 8, v40
	v_cndmask_b32_e32 v40, v51, v57, vcc
	v_cndmask_b32_e32 v42, v42, v59, vcc
	v_lshlrev_b32_e32 v51, 24, v38
	v_lshlrev_b32_e32 v42, 20, v42
	v_and_b32_e32 v51, 0x80000000, v51
	v_lshl_add_u32 v40, v40, 23, v55
	v_or3_b32 v40, v51, v40, v42
	v_lshrrev_b32_e32 v57, 16, v40
.LBB940_483:                            ;   in Loop: Header=BB940_215 Depth=1
	s_or_b64 exec, exec, s[16:17]
.LBB940_484:                            ;   in Loop: Header=BB940_215 Depth=1
	s_or_b64 exec, exec, s[14:15]
.LBB940_485:                            ;   in Loop: Header=BB940_215 Depth=1
	s_or_b64 exec, exec, s[12:13]
	v_lshrrev_b16_e32 v40, 8, v38
	v_cmp_ne_u16_e32 vcc, 0, v40
	v_mov_b32_e32 v60, 0
	v_mov_b32_e32 v59, 0
	s_and_saveexec_b64 s[12:13], vcc
	s_cbranch_execz .LBB940_491
; %bb.486:                              ;   in Loop: Header=BB940_215 Depth=1
	v_cmp_ne_u16_e32 vcc, s9, v40
	v_mov_b32_e32 v59, 0xffff8000
	s_and_saveexec_b64 s[14:15], vcc
	s_cbranch_execz .LBB940_490
; %bb.487:                              ;   in Loop: Header=BB940_215 Depth=1
	v_and_b32_e32 v42, 0x7f, v40
	v_cmp_ne_u32_e32 vcc, s21, v42
	v_mov_b32_e32 v59, 0x7f80
	s_and_saveexec_b64 s[16:17], vcc
	s_cbranch_execz .LBB940_489
; %bb.488:                              ;   in Loop: Header=BB940_215 Depth=1
	v_and_b32_e32 v51, 7, v40
	v_ffbh_u32_e32 v61, v51
	v_min_u32_e32 v61, 32, v61
	v_subrev_u32_e32 v62, 28, v61
	v_lshlrev_b64 v[62:63], v62, v[40:41]
	v_lshrrev_b32_e32 v59, 3, v42
	v_sub_u32_e32 v40, 29, v61
	v_and_b32_e32 v61, 7, v62
	v_cmp_gt_u32_e32 vcc, 8, v42
	v_cndmask_b32_e32 v40, v59, v40, vcc
	v_cndmask_b32_e32 v42, v51, v61, vcc
	v_lshlrev_b32_e32 v51, 16, v38
	v_lshlrev_b32_e32 v42, 20, v42
	v_and_b32_e32 v51, 0x80000000, v51
	v_lshl_add_u32 v40, v40, 23, v55
	v_or3_b32 v40, v51, v40, v42
	v_lshrrev_b32_e32 v59, 16, v40
.LBB940_489:                            ;   in Loop: Header=BB940_215 Depth=1
	s_or_b64 exec, exec, s[16:17]
.LBB940_490:                            ;   in Loop: Header=BB940_215 Depth=1
	s_or_b64 exec, exec, s[14:15]
.LBB940_491:                            ;   in Loop: Header=BB940_215 Depth=1
	s_or_b64 exec, exec, s[12:13]
	v_lshrrev_b32_e32 v40, 16, v38
	v_cmp_ne_u16_sdwa s[14:15], v40, v54 src0_sel:BYTE_0 src1_sel:DWORD
	s_and_saveexec_b64 s[12:13], s[14:15]
	s_cbranch_execz .LBB940_497
; %bb.492:                              ;   in Loop: Header=BB940_215 Depth=1
	v_cmp_ne_u16_sdwa s[16:17], v40, s9 src0_sel:BYTE_0 src1_sel:DWORD
	v_mov_b32_e32 v60, 0xffff8000
	s_and_saveexec_b64 s[14:15], s[16:17]
	s_cbranch_execz .LBB940_496
; %bb.493:                              ;   in Loop: Header=BB940_215 Depth=1
	v_bfe_u32 v42, v38, 16, 7
	v_cmp_ne_u32_e32 vcc, s21, v42
	v_mov_b32_e32 v60, 0x7f80
	s_and_saveexec_b64 s[16:17], vcc
	s_cbranch_execz .LBB940_495
; %bb.494:                              ;   in Loop: Header=BB940_215 Depth=1
	v_and_b32_e32 v51, 7, v40
	v_ffbh_u32_e32 v60, v51
	v_min_u32_e32 v63, 32, v60
	v_subrev_u32_e32 v60, 28, v63
	v_lshlrev_b64 v[60:61], v60, v[40:41]
	v_lshrrev_b32_e32 v62, 3, v42
	v_sub_u32_e32 v61, 29, v63
	v_and_b32_e32 v60, 7, v60
	v_cmp_gt_u32_e32 vcc, 8, v42
	v_cndmask_b32_e32 v42, v62, v61, vcc
	v_cndmask_b32_e32 v51, v51, v60, vcc
	v_lshlrev_b32_e32 v40, 24, v40
	v_lshlrev_b32_e32 v51, 20, v51
	v_and_b32_e32 v40, 0x80000000, v40
	v_lshl_add_u32 v42, v42, 23, v55
	v_or3_b32 v40, v40, v42, v51
	v_lshrrev_b32_e32 v60, 16, v40
.LBB940_495:                            ;   in Loop: Header=BB940_215 Depth=1
	s_or_b64 exec, exec, s[16:17]
.LBB940_496:                            ;   in Loop: Header=BB940_215 Depth=1
	s_or_b64 exec, exec, s[14:15]
.LBB940_497:                            ;   in Loop: Header=BB940_215 Depth=1
	s_or_b64 exec, exec, s[12:13]
	v_cmp_lt_u32_e32 vcc, s22, v38
	v_mov_b32_e32 v51, 0
	v_mov_b32_e32 v61, 0
	s_and_saveexec_b64 s[12:13], vcc
	s_cbranch_execz .LBB940_503
; %bb.498:                              ;   in Loop: Header=BB940_215 Depth=1
	v_lshrrev_b32_e32 v40, 24, v38
	v_cmp_ne_u32_e32 vcc, s9, v40
	v_mov_b32_e32 v61, 0xffff8000
	s_and_saveexec_b64 s[14:15], vcc
	s_cbranch_execz .LBB940_502
; %bb.499:                              ;   in Loop: Header=BB940_215 Depth=1
	v_bfe_u32 v38, v38, 24, 7
	v_cmp_ne_u32_e32 vcc, s21, v38
	v_mov_b32_e32 v61, 0x7f80
	s_and_saveexec_b64 s[16:17], vcc
	s_cbranch_execz .LBB940_501
; %bb.500:                              ;   in Loop: Header=BB940_215 Depth=1
	v_and_b32_e32 v42, 7, v40
	v_ffbh_u32_e32 v62, v42
	v_min_u32_e32 v64, 32, v62
	v_subrev_u32_e32 v62, 28, v64
	v_lshlrev_b64 v[62:63], v62, v[40:41]
	v_lshrrev_b32_e32 v61, 3, v38
	v_sub_u32_e32 v63, 29, v64
	v_and_b32_e32 v62, 7, v62
	v_cmp_gt_u32_e32 vcc, 8, v38
	v_cndmask_b32_e32 v38, v61, v63, vcc
	v_cndmask_b32_e32 v42, v42, v62, vcc
	v_lshlrev_b32_e32 v40, 24, v40
	v_lshlrev_b32_e32 v42, 20, v42
	v_and_b32_e32 v40, 0x80000000, v40
	v_lshl_add_u32 v38, v38, 23, v55
	v_or3_b32 v38, v40, v38, v42
	v_lshrrev_b32_e32 v61, 16, v38
.LBB940_501:                            ;   in Loop: Header=BB940_215 Depth=1
	s_or_b64 exec, exec, s[16:17]
.LBB940_502:                            ;   in Loop: Header=BB940_215 Depth=1
	s_or_b64 exec, exec, s[14:15]
.LBB940_503:                            ;   in Loop: Header=BB940_215 Depth=1
	s_or_b64 exec, exec, s[12:13]
	v_perm_b32 v62, v44, v46, s23
	buffer_load_dword v44, v50, s[0:3], 0 offen
	buffer_load_dword v42, v50, s[0:3], 0 offen offset:4
	buffer_load_dword v40, v50, s[0:3], 0 offen offset:8
	;; [unrolled: 1-line block ×3, first 2 shown]
	v_perm_b32 v63, v58, v56, s23
	v_perm_b32 v61, v61, v60, s23
	;; [unrolled: 1-line block ×3, first 2 shown]
	v_mfma_f32_16x16x16bf16_1k v[34:37], v[62:63], v[22:23], v[34:37]
	s_waitcnt vmcnt(3)
	v_cmp_ne_u16_sdwa s[14:15], v44, v54 src0_sel:BYTE_0 src1_sel:DWORD
	v_mfma_f32_16x16x16bf16_1k v[34:37], v[60:61], v[24:25], v[34:37]
	s_and_saveexec_b64 s[12:13], s[14:15]
	s_cbranch_execz .LBB940_509
; %bb.504:                              ;   in Loop: Header=BB940_215 Depth=1
	v_cmp_ne_u16_sdwa s[16:17], v44, s9 src0_sel:BYTE_0 src1_sel:DWORD
	v_mov_b32_e32 v51, 0xffff8000
	s_and_saveexec_b64 s[14:15], s[16:17]
	s_cbranch_execz .LBB940_508
; %bb.505:                              ;   in Loop: Header=BB940_215 Depth=1
	v_and_b32_e32 v46, 0x7f, v44
	v_cmp_ne_u32_e32 vcc, s21, v46
	v_mov_b32_e32 v51, 0x7f80
	s_and_saveexec_b64 s[16:17], vcc
	s_cbranch_execz .LBB940_507
; %bb.506:                              ;   in Loop: Header=BB940_215 Depth=1
	v_and_b32_e32 v56, 7, v44
	v_ffbh_u32_e32 v50, v56
	v_min_u32_e32 v58, 32, v50
	v_subrev_u32_e32 v50, 28, v58
	v_lshlrev_b64 v[50:51], v50, v[44:45]
	v_lshrrev_b32_e32 v57, 3, v46
	v_sub_u32_e32 v51, 29, v58
	v_and_b32_e32 v50, 7, v50
	v_cmp_gt_u32_e32 vcc, 8, v46
	v_cndmask_b32_e32 v46, v57, v51, vcc
	v_cndmask_b32_e32 v50, v56, v50, vcc
	v_lshlrev_b32_e32 v51, 24, v44
	v_lshlrev_b32_e32 v50, 20, v50
	v_and_b32_e32 v51, 0x80000000, v51
	v_lshl_add_u32 v46, v46, 23, v55
	v_or3_b32 v46, v51, v46, v50
	v_lshrrev_b32_e32 v51, 16, v46
.LBB940_507:                            ;   in Loop: Header=BB940_215 Depth=1
	s_or_b64 exec, exec, s[16:17]
.LBB940_508:                            ;   in Loop: Header=BB940_215 Depth=1
	s_or_b64 exec, exec, s[14:15]
.LBB940_509:                            ;   in Loop: Header=BB940_215 Depth=1
	s_or_b64 exec, exec, s[12:13]
	v_lshrrev_b16_e32 v46, 8, v44
	v_cmp_ne_u16_e32 vcc, 0, v46
	v_mov_b32_e32 v56, 0
	v_mov_b32_e32 v50, 0
	s_and_saveexec_b64 s[12:13], vcc
	s_cbranch_execz .LBB940_515
; %bb.510:                              ;   in Loop: Header=BB940_215 Depth=1
	v_cmp_ne_u16_e32 vcc, s9, v46
	v_mov_b32_e32 v50, 0xffff8000
	s_and_saveexec_b64 s[14:15], vcc
	s_cbranch_execz .LBB940_514
; %bb.511:                              ;   in Loop: Header=BB940_215 Depth=1
	v_and_b32_e32 v57, 0x7f, v46
	v_cmp_ne_u32_e32 vcc, s21, v57
	v_mov_b32_e32 v50, 0x7f80
	s_and_saveexec_b64 s[16:17], vcc
	s_cbranch_execz .LBB940_513
; %bb.512:                              ;   in Loop: Header=BB940_215 Depth=1
	v_and_b32_e32 v50, 7, v46
	v_ffbh_u32_e32 v58, v50
	v_min_u32_e32 v61, 32, v58
	v_subrev_u32_e32 v58, 28, v61
	v_lshlrev_b64 v[58:59], v58, v[46:47]
	v_lshrrev_b32_e32 v60, 3, v57
	v_sub_u32_e32 v46, 29, v61
	v_and_b32_e32 v58, 7, v58
	v_cmp_gt_u32_e32 vcc, 8, v57
	v_cndmask_b32_e32 v46, v60, v46, vcc
	v_cndmask_b32_e32 v50, v50, v58, vcc
	v_lshlrev_b32_e32 v57, 16, v44
	v_lshlrev_b32_e32 v50, 20, v50
	v_and_b32_e32 v57, 0x80000000, v57
	v_lshl_add_u32 v46, v46, 23, v55
	v_or3_b32 v46, v57, v46, v50
	v_lshrrev_b32_e32 v50, 16, v46
.LBB940_513:                            ;   in Loop: Header=BB940_215 Depth=1
	s_or_b64 exec, exec, s[16:17]
.LBB940_514:                            ;   in Loop: Header=BB940_215 Depth=1
	s_or_b64 exec, exec, s[14:15]
.LBB940_515:                            ;   in Loop: Header=BB940_215 Depth=1
	s_or_b64 exec, exec, s[12:13]
	v_lshrrev_b32_e32 v46, 16, v44
	v_cmp_ne_u16_sdwa s[14:15], v46, v54 src0_sel:BYTE_0 src1_sel:DWORD
	s_and_saveexec_b64 s[12:13], s[14:15]
	s_cbranch_execz .LBB940_521
; %bb.516:                              ;   in Loop: Header=BB940_215 Depth=1
	v_cmp_ne_u16_sdwa s[16:17], v46, s9 src0_sel:BYTE_0 src1_sel:DWORD
	v_mov_b32_e32 v56, 0xffff8000
	s_and_saveexec_b64 s[14:15], s[16:17]
	s_cbranch_execz .LBB940_520
; %bb.517:                              ;   in Loop: Header=BB940_215 Depth=1
	v_bfe_u32 v57, v44, 16, 7
	v_cmp_ne_u32_e32 vcc, s21, v57
	v_mov_b32_e32 v56, 0x7f80
	s_and_saveexec_b64 s[16:17], vcc
	s_cbranch_execz .LBB940_519
; %bb.518:                              ;   in Loop: Header=BB940_215 Depth=1
	v_and_b32_e32 v56, 7, v46
	v_ffbh_u32_e32 v58, v56
	v_min_u32_e32 v61, 32, v58
	v_subrev_u32_e32 v58, 28, v61
	v_lshlrev_b64 v[58:59], v58, v[46:47]
	v_lshrrev_b32_e32 v60, 3, v57
	v_sub_u32_e32 v59, 29, v61
	v_and_b32_e32 v58, 7, v58
	v_cmp_gt_u32_e32 vcc, 8, v57
	v_cndmask_b32_e32 v57, v60, v59, vcc
	v_cndmask_b32_e32 v56, v56, v58, vcc
	v_lshlrev_b32_e32 v46, 24, v46
	v_lshlrev_b32_e32 v56, 20, v56
	v_and_b32_e32 v46, 0x80000000, v46
	v_lshl_add_u32 v57, v57, 23, v55
	v_or3_b32 v46, v46, v57, v56
	v_lshrrev_b32_e32 v56, 16, v46
.LBB940_519:                            ;   in Loop: Header=BB940_215 Depth=1
	s_or_b64 exec, exec, s[16:17]
.LBB940_520:                            ;   in Loop: Header=BB940_215 Depth=1
	s_or_b64 exec, exec, s[14:15]
.LBB940_521:                            ;   in Loop: Header=BB940_215 Depth=1
	s_or_b64 exec, exec, s[12:13]
	v_cmp_lt_u32_e32 vcc, s22, v44
	v_mov_b32_e32 v57, 0
	v_mov_b32_e32 v58, 0
	s_and_saveexec_b64 s[12:13], vcc
	s_cbranch_execz .LBB940_527
; %bb.522:                              ;   in Loop: Header=BB940_215 Depth=1
	v_lshrrev_b32_e32 v46, 24, v44
	v_cmp_ne_u32_e32 vcc, s9, v46
	v_mov_b32_e32 v58, 0xffff8000
	s_and_saveexec_b64 s[14:15], vcc
	s_cbranch_execz .LBB940_526
; %bb.523:                              ;   in Loop: Header=BB940_215 Depth=1
	v_bfe_u32 v44, v44, 24, 7
	v_cmp_ne_u32_e32 vcc, s21, v44
	v_mov_b32_e32 v58, 0x7f80
	s_and_saveexec_b64 s[16:17], vcc
	s_cbranch_execz .LBB940_525
; %bb.524:                              ;   in Loop: Header=BB940_215 Depth=1
	v_and_b32_e32 v60, 7, v46
	v_ffbh_u32_e32 v58, v60
	v_min_u32_e32 v62, 32, v58
	v_subrev_u32_e32 v58, 28, v62
	v_lshlrev_b64 v[58:59], v58, v[46:47]
	v_lshrrev_b32_e32 v61, 3, v44
	v_sub_u32_e32 v59, 29, v62
	v_and_b32_e32 v58, 7, v58
	v_cmp_gt_u32_e32 vcc, 8, v44
	v_cndmask_b32_e32 v44, v61, v59, vcc
	v_cndmask_b32_e32 v58, v60, v58, vcc
	v_lshlrev_b32_e32 v46, 24, v46
	v_lshlrev_b32_e32 v58, 20, v58
	v_and_b32_e32 v46, 0x80000000, v46
	v_lshl_add_u32 v44, v44, 23, v55
	v_or3_b32 v44, v46, v44, v58
	v_lshrrev_b32_e32 v58, 16, v44
.LBB940_525:                            ;   in Loop: Header=BB940_215 Depth=1
	s_or_b64 exec, exec, s[16:17]
.LBB940_526:                            ;   in Loop: Header=BB940_215 Depth=1
	s_or_b64 exec, exec, s[14:15]
.LBB940_527:                            ;   in Loop: Header=BB940_215 Depth=1
	s_or_b64 exec, exec, s[12:13]
	s_waitcnt vmcnt(2)
	v_cmp_ne_u16_sdwa s[14:15], v42, v54 src0_sel:BYTE_0 src1_sel:DWORD
	s_and_saveexec_b64 s[12:13], s[14:15]
	s_cbranch_execz .LBB940_533
; %bb.528:                              ;   in Loop: Header=BB940_215 Depth=1
	v_cmp_ne_u16_sdwa s[16:17], v42, s9 src0_sel:BYTE_0 src1_sel:DWORD
	v_mov_b32_e32 v57, 0xffff8000
	s_and_saveexec_b64 s[14:15], s[16:17]
	s_cbranch_execz .LBB940_532
; %bb.529:                              ;   in Loop: Header=BB940_215 Depth=1
	v_and_b32_e32 v44, 0x7f, v42
	v_cmp_ne_u32_e32 vcc, s21, v44
	v_mov_b32_e32 v57, 0x7f80
	s_and_saveexec_b64 s[16:17], vcc
	s_cbranch_execz .LBB940_531
; %bb.530:                              ;   in Loop: Header=BB940_215 Depth=1
	v_and_b32_e32 v46, 7, v42
	v_ffbh_u32_e32 v59, v46
	v_min_u32_e32 v59, 32, v59
	v_subrev_u32_e32 v60, 28, v59
	v_lshlrev_b64 v[60:61], v60, v[42:43]
	v_lshrrev_b32_e32 v57, 3, v44
	v_sub_u32_e32 v59, 29, v59
	v_and_b32_e32 v60, 7, v60
	v_cmp_gt_u32_e32 vcc, 8, v44
	v_cndmask_b32_e32 v44, v57, v59, vcc
	v_cndmask_b32_e32 v46, v46, v60, vcc
	v_lshlrev_b32_e32 v57, 24, v42
	v_lshlrev_b32_e32 v46, 20, v46
	v_and_b32_e32 v57, 0x80000000, v57
	v_lshl_add_u32 v44, v44, 23, v55
	v_or3_b32 v44, v57, v44, v46
	v_lshrrev_b32_e32 v57, 16, v44
.LBB940_531:                            ;   in Loop: Header=BB940_215 Depth=1
	s_or_b64 exec, exec, s[16:17]
.LBB940_532:                            ;   in Loop: Header=BB940_215 Depth=1
	s_or_b64 exec, exec, s[14:15]
.LBB940_533:                            ;   in Loop: Header=BB940_215 Depth=1
	s_or_b64 exec, exec, s[12:13]
	v_lshrrev_b16_e32 v44, 8, v42
	v_cmp_ne_u16_e32 vcc, 0, v44
	v_mov_b32_e32 v60, 0
	v_mov_b32_e32 v59, 0
	s_and_saveexec_b64 s[12:13], vcc
	s_cbranch_execz .LBB940_539
; %bb.534:                              ;   in Loop: Header=BB940_215 Depth=1
	v_cmp_ne_u16_e32 vcc, s9, v44
	v_mov_b32_e32 v59, 0xffff8000
	s_and_saveexec_b64 s[14:15], vcc
	s_cbranch_execz .LBB940_538
; %bb.535:                              ;   in Loop: Header=BB940_215 Depth=1
	v_and_b32_e32 v46, 0x7f, v44
	v_cmp_ne_u32_e32 vcc, s21, v46
	v_mov_b32_e32 v59, 0x7f80
	s_and_saveexec_b64 s[16:17], vcc
	s_cbranch_execz .LBB940_537
; %bb.536:                              ;   in Loop: Header=BB940_215 Depth=1
	v_and_b32_e32 v59, 7, v44
	v_ffbh_u32_e32 v62, v59
	v_min_u32_e32 v64, 32, v62
	v_subrev_u32_e32 v62, 28, v64
	v_lshlrev_b64 v[62:63], v62, v[44:45]
	v_lshrrev_b32_e32 v61, 3, v46
	v_sub_u32_e32 v44, 29, v64
	v_and_b32_e32 v62, 7, v62
	v_cmp_gt_u32_e32 vcc, 8, v46
	v_cndmask_b32_e32 v44, v61, v44, vcc
	v_cndmask_b32_e32 v46, v59, v62, vcc
	v_lshlrev_b32_e32 v59, 16, v42
	v_lshlrev_b32_e32 v46, 20, v46
	v_and_b32_e32 v59, 0x80000000, v59
	v_lshl_add_u32 v44, v44, 23, v55
	v_or3_b32 v44, v59, v44, v46
	v_lshrrev_b32_e32 v59, 16, v44
.LBB940_537:                            ;   in Loop: Header=BB940_215 Depth=1
	s_or_b64 exec, exec, s[16:17]
.LBB940_538:                            ;   in Loop: Header=BB940_215 Depth=1
	s_or_b64 exec, exec, s[14:15]
.LBB940_539:                            ;   in Loop: Header=BB940_215 Depth=1
	s_or_b64 exec, exec, s[12:13]
	v_lshrrev_b32_e32 v44, 16, v42
	v_cmp_ne_u16_sdwa s[14:15], v44, v54 src0_sel:BYTE_0 src1_sel:DWORD
	s_and_saveexec_b64 s[12:13], s[14:15]
	s_cbranch_execz .LBB940_545
; %bb.540:                              ;   in Loop: Header=BB940_215 Depth=1
	v_cmp_ne_u16_sdwa s[16:17], v44, s9 src0_sel:BYTE_0 src1_sel:DWORD
	v_mov_b32_e32 v60, 0xffff8000
	s_and_saveexec_b64 s[14:15], s[16:17]
	s_cbranch_execz .LBB940_544
; %bb.541:                              ;   in Loop: Header=BB940_215 Depth=1
	v_bfe_u32 v46, v42, 16, 7
	v_cmp_ne_u32_e32 vcc, s21, v46
	v_mov_b32_e32 v60, 0x7f80
	s_and_saveexec_b64 s[16:17], vcc
	s_cbranch_execz .LBB940_543
; %bb.542:                              ;   in Loop: Header=BB940_215 Depth=1
	v_and_b32_e32 v62, 7, v44
	v_ffbh_u32_e32 v60, v62
	v_min_u32_e32 v64, 32, v60
	v_subrev_u32_e32 v60, 28, v64
	v_lshlrev_b64 v[60:61], v60, v[44:45]
	v_lshrrev_b32_e32 v63, 3, v46
	v_sub_u32_e32 v61, 29, v64
	v_and_b32_e32 v60, 7, v60
	v_cmp_gt_u32_e32 vcc, 8, v46
	v_cndmask_b32_e32 v46, v63, v61, vcc
	v_cndmask_b32_e32 v60, v62, v60, vcc
	v_lshlrev_b32_e32 v44, 24, v44
	v_lshlrev_b32_e32 v60, 20, v60
	v_and_b32_e32 v44, 0x80000000, v44
	v_lshl_add_u32 v46, v46, 23, v55
	v_or3_b32 v44, v44, v46, v60
	v_lshrrev_b32_e32 v60, 16, v44
.LBB940_543:                            ;   in Loop: Header=BB940_215 Depth=1
	s_or_b64 exec, exec, s[16:17]
.LBB940_544:                            ;   in Loop: Header=BB940_215 Depth=1
	s_or_b64 exec, exec, s[14:15]
.LBB940_545:                            ;   in Loop: Header=BB940_215 Depth=1
	s_or_b64 exec, exec, s[12:13]
	v_cmp_lt_u32_e32 vcc, s22, v42
	v_mov_b32_e32 v46, 0
	v_mov_b32_e32 v61, 0
	s_and_saveexec_b64 s[12:13], vcc
	s_cbranch_execz .LBB940_551
; %bb.546:                              ;   in Loop: Header=BB940_215 Depth=1
	v_lshrrev_b32_e32 v44, 24, v42
	v_cmp_ne_u32_e32 vcc, s9, v44
	v_mov_b32_e32 v61, 0xffff8000
	s_and_saveexec_b64 s[14:15], vcc
	s_cbranch_execz .LBB940_550
; %bb.547:                              ;   in Loop: Header=BB940_215 Depth=1
	v_bfe_u32 v42, v42, 24, 7
	v_cmp_ne_u32_e32 vcc, s21, v42
	v_mov_b32_e32 v61, 0x7f80
	s_and_saveexec_b64 s[16:17], vcc
	s_cbranch_execz .LBB940_549
; %bb.548:                              ;   in Loop: Header=BB940_215 Depth=1
	v_and_b32_e32 v61, 7, v44
	v_ffbh_u32_e32 v62, v61
	v_min_u32_e32 v65, 32, v62
	v_subrev_u32_e32 v62, 28, v65
	v_lshlrev_b64 v[62:63], v62, v[44:45]
	v_lshrrev_b32_e32 v64, 3, v42
	v_sub_u32_e32 v63, 29, v65
	v_and_b32_e32 v62, 7, v62
	v_cmp_gt_u32_e32 vcc, 8, v42
	v_cndmask_b32_e32 v42, v64, v63, vcc
	v_cndmask_b32_e32 v61, v61, v62, vcc
	v_lshlrev_b32_e32 v44, 24, v44
	v_lshlrev_b32_e32 v61, 20, v61
	v_and_b32_e32 v44, 0x80000000, v44
	v_lshl_add_u32 v42, v42, 23, v55
	v_or3_b32 v42, v44, v42, v61
	v_lshrrev_b32_e32 v61, 16, v42
.LBB940_549:                            ;   in Loop: Header=BB940_215 Depth=1
	s_or_b64 exec, exec, s[16:17]
.LBB940_550:                            ;   in Loop: Header=BB940_215 Depth=1
	s_or_b64 exec, exec, s[14:15]
.LBB940_551:                            ;   in Loop: Header=BB940_215 Depth=1
	s_or_b64 exec, exec, s[12:13]
	v_perm_b32 v63, v58, v56, s23
	v_perm_b32 v62, v50, v51, s23
	;; [unrolled: 1-line block ×4, first 2 shown]
	s_waitcnt vmcnt(1)
	v_cmp_ne_u16_sdwa s[14:15], v40, v54 src0_sel:BYTE_0 src1_sel:DWORD
	v_mfma_f32_16x16x16bf16_1k v[34:37], v[62:63], v[26:27], v[34:37]
	v_mfma_f32_16x16x16bf16_1k v[34:37], v[50:51], v[28:29], v[34:37]
	s_and_saveexec_b64 s[12:13], s[14:15]
	s_cbranch_execz .LBB940_557
; %bb.552:                              ;   in Loop: Header=BB940_215 Depth=1
	v_cmp_ne_u16_sdwa s[16:17], v40, s9 src0_sel:BYTE_0 src1_sel:DWORD
	v_mov_b32_e32 v46, 0xffff8000
	s_and_saveexec_b64 s[14:15], s[16:17]
	s_cbranch_execz .LBB940_556
; %bb.553:                              ;   in Loop: Header=BB940_215 Depth=1
	v_and_b32_e32 v42, 0x7f, v40
	v_cmp_ne_u32_e32 vcc, s21, v42
	v_mov_b32_e32 v46, 0x7f80
	s_and_saveexec_b64 s[16:17], vcc
	s_cbranch_execz .LBB940_555
; %bb.554:                              ;   in Loop: Header=BB940_215 Depth=1
	v_and_b32_e32 v44, 7, v40
	v_ffbh_u32_e32 v50, v44
	v_min_u32_e32 v56, 32, v50
	v_subrev_u32_e32 v50, 28, v56
	v_lshlrev_b64 v[50:51], v50, v[40:41]
	v_lshrrev_b32_e32 v46, 3, v42
	v_sub_u32_e32 v51, 29, v56
	v_and_b32_e32 v50, 7, v50
	v_cmp_gt_u32_e32 vcc, 8, v42
	v_cndmask_b32_e32 v42, v46, v51, vcc
	v_cndmask_b32_e32 v44, v44, v50, vcc
	v_lshlrev_b32_e32 v46, 24, v40
	v_lshlrev_b32_e32 v44, 20, v44
	v_and_b32_e32 v46, 0x80000000, v46
	v_lshl_add_u32 v42, v42, 23, v55
	v_or3_b32 v42, v46, v42, v44
	v_lshrrev_b32_e32 v46, 16, v42
.LBB940_555:                            ;   in Loop: Header=BB940_215 Depth=1
	s_or_b64 exec, exec, s[16:17]
.LBB940_556:                            ;   in Loop: Header=BB940_215 Depth=1
	s_or_b64 exec, exec, s[14:15]
.LBB940_557:                            ;   in Loop: Header=BB940_215 Depth=1
	s_or_b64 exec, exec, s[12:13]
	v_lshrrev_b16_e32 v42, 8, v40
	v_cmp_ne_u16_e32 vcc, 0, v42
	v_mov_b32_e32 v50, 0
	v_mov_b32_e32 v44, 0
	s_and_saveexec_b64 s[12:13], vcc
	s_cbranch_execz .LBB940_563
; %bb.558:                              ;   in Loop: Header=BB940_215 Depth=1
	v_cmp_ne_u16_e32 vcc, s9, v42
	v_mov_b32_e32 v44, 0xffff8000
	s_and_saveexec_b64 s[14:15], vcc
	s_cbranch_execz .LBB940_562
; %bb.559:                              ;   in Loop: Header=BB940_215 Depth=1
	v_and_b32_e32 v51, 0x7f, v42
	v_cmp_ne_u32_e32 vcc, s21, v51
	v_mov_b32_e32 v44, 0x7f80
	s_and_saveexec_b64 s[16:17], vcc
	s_cbranch_execz .LBB940_561
; %bb.560:                              ;   in Loop: Header=BB940_215 Depth=1
	v_and_b32_e32 v44, 7, v42
	v_ffbh_u32_e32 v56, v44
	v_min_u32_e32 v59, 32, v56
	v_subrev_u32_e32 v56, 28, v59
	v_lshlrev_b64 v[56:57], v56, v[42:43]
	v_lshrrev_b32_e32 v58, 3, v51
	v_sub_u32_e32 v42, 29, v59
	v_and_b32_e32 v56, 7, v56
	v_cmp_gt_u32_e32 vcc, 8, v51
	v_cndmask_b32_e32 v42, v58, v42, vcc
	v_cndmask_b32_e32 v44, v44, v56, vcc
	v_lshlrev_b32_e32 v51, 16, v40
	v_lshlrev_b32_e32 v44, 20, v44
	v_and_b32_e32 v51, 0x80000000, v51
	v_lshl_add_u32 v42, v42, 23, v55
	v_or3_b32 v42, v51, v42, v44
	v_lshrrev_b32_e32 v44, 16, v42
.LBB940_561:                            ;   in Loop: Header=BB940_215 Depth=1
	s_or_b64 exec, exec, s[16:17]
.LBB940_562:                            ;   in Loop: Header=BB940_215 Depth=1
	s_or_b64 exec, exec, s[14:15]
.LBB940_563:                            ;   in Loop: Header=BB940_215 Depth=1
	s_or_b64 exec, exec, s[12:13]
	v_lshrrev_b32_e32 v42, 16, v40
	v_cmp_ne_u16_sdwa s[14:15], v42, v54 src0_sel:BYTE_0 src1_sel:DWORD
	s_and_saveexec_b64 s[12:13], s[14:15]
	s_cbranch_execz .LBB940_569
; %bb.564:                              ;   in Loop: Header=BB940_215 Depth=1
	v_cmp_ne_u16_sdwa s[16:17], v42, s9 src0_sel:BYTE_0 src1_sel:DWORD
	v_mov_b32_e32 v50, 0xffff8000
	s_and_saveexec_b64 s[14:15], s[16:17]
	s_cbranch_execz .LBB940_568
; %bb.565:                              ;   in Loop: Header=BB940_215 Depth=1
	v_bfe_u32 v51, v40, 16, 7
	v_cmp_ne_u32_e32 vcc, s21, v51
	v_mov_b32_e32 v50, 0x7f80
	s_and_saveexec_b64 s[16:17], vcc
	s_cbranch_execz .LBB940_567
; %bb.566:                              ;   in Loop: Header=BB940_215 Depth=1
	v_and_b32_e32 v50, 7, v42
	v_ffbh_u32_e32 v56, v50
	v_min_u32_e32 v59, 32, v56
	v_subrev_u32_e32 v56, 28, v59
	v_lshlrev_b64 v[56:57], v56, v[42:43]
	v_lshrrev_b32_e32 v58, 3, v51
	v_sub_u32_e32 v57, 29, v59
	v_and_b32_e32 v56, 7, v56
	v_cmp_gt_u32_e32 vcc, 8, v51
	v_cndmask_b32_e32 v51, v58, v57, vcc
	v_cndmask_b32_e32 v50, v50, v56, vcc
	v_lshlrev_b32_e32 v42, 24, v42
	v_lshlrev_b32_e32 v50, 20, v50
	v_and_b32_e32 v42, 0x80000000, v42
	v_lshl_add_u32 v51, v51, 23, v55
	v_or3_b32 v42, v42, v51, v50
	v_lshrrev_b32_e32 v50, 16, v42
.LBB940_567:                            ;   in Loop: Header=BB940_215 Depth=1
	s_or_b64 exec, exec, s[16:17]
.LBB940_568:                            ;   in Loop: Header=BB940_215 Depth=1
	s_or_b64 exec, exec, s[14:15]
.LBB940_569:                            ;   in Loop: Header=BB940_215 Depth=1
	s_or_b64 exec, exec, s[12:13]
	v_cmp_lt_u32_e32 vcc, s22, v40
	v_mov_b32_e32 v51, 0
	v_mov_b32_e32 v56, 0
	s_and_saveexec_b64 s[12:13], vcc
	s_cbranch_execz .LBB940_575
; %bb.570:                              ;   in Loop: Header=BB940_215 Depth=1
	v_lshrrev_b32_e32 v42, 24, v40
	v_cmp_ne_u32_e32 vcc, s9, v42
	v_mov_b32_e32 v56, 0xffff8000
	s_and_saveexec_b64 s[14:15], vcc
	s_cbranch_execz .LBB940_574
; %bb.571:                              ;   in Loop: Header=BB940_215 Depth=1
	v_bfe_u32 v40, v40, 24, 7
	v_cmp_ne_u32_e32 vcc, s21, v40
	v_mov_b32_e32 v56, 0x7f80
	s_and_saveexec_b64 s[16:17], vcc
	s_cbranch_execz .LBB940_573
; %bb.572:                              ;   in Loop: Header=BB940_215 Depth=1
	v_and_b32_e32 v58, 7, v42
	v_ffbh_u32_e32 v56, v58
	v_min_u32_e32 v60, 32, v56
	v_subrev_u32_e32 v56, 28, v60
	v_lshlrev_b64 v[56:57], v56, v[42:43]
	v_lshrrev_b32_e32 v59, 3, v40
	v_sub_u32_e32 v57, 29, v60
	v_and_b32_e32 v56, 7, v56
	v_cmp_gt_u32_e32 vcc, 8, v40
	v_cndmask_b32_e32 v40, v59, v57, vcc
	v_cndmask_b32_e32 v56, v58, v56, vcc
	v_lshlrev_b32_e32 v42, 24, v42
	v_lshlrev_b32_e32 v56, 20, v56
	v_and_b32_e32 v42, 0x80000000, v42
	v_lshl_add_u32 v40, v40, 23, v55
	v_or3_b32 v40, v42, v40, v56
	v_lshrrev_b32_e32 v56, 16, v40
.LBB940_573:                            ;   in Loop: Header=BB940_215 Depth=1
	s_or_b64 exec, exec, s[16:17]
.LBB940_574:                            ;   in Loop: Header=BB940_215 Depth=1
	s_or_b64 exec, exec, s[14:15]
.LBB940_575:                            ;   in Loop: Header=BB940_215 Depth=1
	s_or_b64 exec, exec, s[12:13]
	s_waitcnt vmcnt(0)
	v_cmp_ne_u16_sdwa s[14:15], v38, v54 src0_sel:BYTE_0 src1_sel:DWORD
	s_and_saveexec_b64 s[12:13], s[14:15]
	s_cbranch_execz .LBB940_581
; %bb.576:                              ;   in Loop: Header=BB940_215 Depth=1
	v_cmp_ne_u16_sdwa s[16:17], v38, s9 src0_sel:BYTE_0 src1_sel:DWORD
	v_mov_b32_e32 v51, 0xffff8000
	s_and_saveexec_b64 s[14:15], s[16:17]
	s_cbranch_execz .LBB940_580
; %bb.577:                              ;   in Loop: Header=BB940_215 Depth=1
	v_and_b32_e32 v40, 0x7f, v38
	v_cmp_ne_u32_e32 vcc, s21, v40
	v_mov_b32_e32 v51, 0x7f80
	s_and_saveexec_b64 s[16:17], vcc
	s_cbranch_execz .LBB940_579
; %bb.578:                              ;   in Loop: Header=BB940_215 Depth=1
	v_and_b32_e32 v42, 7, v38
	v_ffbh_u32_e32 v57, v42
	v_min_u32_e32 v57, 32, v57
	v_subrev_u32_e32 v58, 28, v57
	v_lshlrev_b64 v[58:59], v58, v[38:39]
	v_lshrrev_b32_e32 v51, 3, v40
	v_sub_u32_e32 v57, 29, v57
	v_and_b32_e32 v58, 7, v58
	v_cmp_gt_u32_e32 vcc, 8, v40
	v_cndmask_b32_e32 v40, v51, v57, vcc
	v_cndmask_b32_e32 v42, v42, v58, vcc
	v_lshlrev_b32_e32 v51, 24, v38
	v_lshlrev_b32_e32 v42, 20, v42
	v_and_b32_e32 v51, 0x80000000, v51
	v_lshl_add_u32 v40, v40, 23, v55
	v_or3_b32 v40, v51, v40, v42
	v_lshrrev_b32_e32 v51, 16, v40
.LBB940_579:                            ;   in Loop: Header=BB940_215 Depth=1
	s_or_b64 exec, exec, s[16:17]
.LBB940_580:                            ;   in Loop: Header=BB940_215 Depth=1
	s_or_b64 exec, exec, s[14:15]
.LBB940_581:                            ;   in Loop: Header=BB940_215 Depth=1
	s_or_b64 exec, exec, s[12:13]
	v_lshrrev_b16_e32 v40, 8, v38
	v_cmp_ne_u16_e32 vcc, 0, v40
	v_mov_b32_e32 v57, 0
	v_mov_b32_e32 v42, 0
	s_and_saveexec_b64 s[12:13], vcc
	s_cbranch_execz .LBB940_587
; %bb.582:                              ;   in Loop: Header=BB940_215 Depth=1
	v_cmp_ne_u16_e32 vcc, s9, v40
	v_mov_b32_e32 v42, 0xffff8000
	s_and_saveexec_b64 s[14:15], vcc
	s_cbranch_execz .LBB940_586
; %bb.583:                              ;   in Loop: Header=BB940_215 Depth=1
	v_and_b32_e32 v58, 0x7f, v40
	v_cmp_ne_u32_e32 vcc, s21, v58
	v_mov_b32_e32 v42, 0x7f80
	s_and_saveexec_b64 s[16:17], vcc
	s_cbranch_execz .LBB940_585
; %bb.584:                              ;   in Loop: Header=BB940_215 Depth=1
	v_and_b32_e32 v42, 7, v40
	v_ffbh_u32_e32 v60, v42
	v_min_u32_e32 v62, 32, v60
	v_subrev_u32_e32 v60, 28, v62
	v_lshlrev_b64 v[60:61], v60, v[40:41]
	v_lshrrev_b32_e32 v59, 3, v58
	v_sub_u32_e32 v40, 29, v62
	v_and_b32_e32 v60, 7, v60
	v_cmp_gt_u32_e32 vcc, 8, v58
	v_cndmask_b32_e32 v40, v59, v40, vcc
	v_cndmask_b32_e32 v42, v42, v60, vcc
	v_lshlrev_b32_e32 v58, 16, v38
	v_lshlrev_b32_e32 v42, 20, v42
	v_and_b32_e32 v58, 0x80000000, v58
	v_lshl_add_u32 v40, v40, 23, v55
	v_or3_b32 v40, v58, v40, v42
	v_lshrrev_b32_e32 v42, 16, v40
.LBB940_585:                            ;   in Loop: Header=BB940_215 Depth=1
	s_or_b64 exec, exec, s[16:17]
.LBB940_586:                            ;   in Loop: Header=BB940_215 Depth=1
	s_or_b64 exec, exec, s[14:15]
.LBB940_587:                            ;   in Loop: Header=BB940_215 Depth=1
	s_or_b64 exec, exec, s[12:13]
	v_lshrrev_b32_e32 v40, 16, v38
	v_cmp_ne_u16_sdwa s[14:15], v40, v54 src0_sel:BYTE_0 src1_sel:DWORD
	s_and_saveexec_b64 s[12:13], s[14:15]
	s_cbranch_execz .LBB940_593
; %bb.588:                              ;   in Loop: Header=BB940_215 Depth=1
	v_cmp_ne_u16_sdwa s[16:17], v40, s9 src0_sel:BYTE_0 src1_sel:DWORD
	v_mov_b32_e32 v57, 0xffff8000
	s_and_saveexec_b64 s[14:15], s[16:17]
	s_cbranch_execz .LBB940_592
; %bb.589:                              ;   in Loop: Header=BB940_215 Depth=1
	v_bfe_u32 v58, v38, 16, 7
	v_cmp_ne_u32_e32 vcc, s21, v58
	v_mov_b32_e32 v57, 0x7f80
	s_and_saveexec_b64 s[16:17], vcc
	s_cbranch_execz .LBB940_591
; %bb.590:                              ;   in Loop: Header=BB940_215 Depth=1
	v_and_b32_e32 v57, 7, v40
	v_ffbh_u32_e32 v60, v57
	v_min_u32_e32 v62, 32, v60
	v_subrev_u32_e32 v60, 28, v62
	v_lshlrev_b64 v[60:61], v60, v[40:41]
	v_lshrrev_b32_e32 v59, 3, v58
	v_sub_u32_e32 v61, 29, v62
	v_and_b32_e32 v60, 7, v60
	v_cmp_gt_u32_e32 vcc, 8, v58
	v_cndmask_b32_e32 v58, v59, v61, vcc
	v_cndmask_b32_e32 v57, v57, v60, vcc
	v_lshlrev_b32_e32 v40, 24, v40
	v_lshlrev_b32_e32 v57, 20, v57
	v_and_b32_e32 v40, 0x80000000, v40
	v_lshl_add_u32 v58, v58, 23, v55
	v_or3_b32 v40, v40, v58, v57
	v_lshrrev_b32_e32 v57, 16, v40
.LBB940_591:                            ;   in Loop: Header=BB940_215 Depth=1
	s_or_b64 exec, exec, s[16:17]
.LBB940_592:                            ;   in Loop: Header=BB940_215 Depth=1
	s_or_b64 exec, exec, s[14:15]
.LBB940_593:                            ;   in Loop: Header=BB940_215 Depth=1
	s_or_b64 exec, exec, s[12:13]
	v_cmp_lt_u32_e32 vcc, s22, v38
	v_mov_b32_e32 v58, 0
	s_and_saveexec_b64 s[12:13], vcc
	s_cbranch_execz .LBB940_214
; %bb.594:                              ;   in Loop: Header=BB940_215 Depth=1
	v_lshrrev_b32_e32 v40, 24, v38
	v_cmp_ne_u32_e32 vcc, s9, v40
	v_mov_b32_e32 v58, 0xffff8000
	s_and_saveexec_b64 s[14:15], vcc
	s_cbranch_execz .LBB940_213
; %bb.595:                              ;   in Loop: Header=BB940_215 Depth=1
	v_bfe_u32 v38, v38, 24, 7
	v_cmp_ne_u32_e32 vcc, s21, v38
	v_mov_b32_e32 v58, 0x7f80
	s_and_saveexec_b64 s[16:17], vcc
	s_cbranch_execz .LBB940_212
; %bb.596:                              ;   in Loop: Header=BB940_215 Depth=1
	v_and_b32_e32 v60, 7, v40
	v_ffbh_u32_e32 v58, v60
	v_min_u32_e32 v62, 32, v58
	v_subrev_u32_e32 v58, 28, v62
	v_lshlrev_b64 v[58:59], v58, v[40:41]
	v_lshrrev_b32_e32 v61, 3, v38
	v_sub_u32_e32 v59, 29, v62
	v_and_b32_e32 v58, 7, v58
	v_cmp_gt_u32_e32 vcc, 8, v38
	v_cndmask_b32_e32 v38, v61, v59, vcc
	v_cndmask_b32_e32 v58, v60, v58, vcc
	v_lshlrev_b32_e32 v40, 24, v40
	v_lshlrev_b32_e32 v58, 20, v58
	v_and_b32_e32 v40, 0x80000000, v40
	v_lshl_add_u32 v38, v38, 23, v55
	v_or3_b32 v38, v40, v38, v58
	v_lshrrev_b32_e32 v58, 16, v38
	s_branch .LBB940_212
.LBB940_597:
	s_barrier
	buffer_load_dword v2, off, s[0:3], 0 offset:320
	buffer_load_dword v5, off, s[0:3], 0 offset:332
	;; [unrolled: 1-line block ×4, first 2 shown]
	v_cmp_gt_u32_e32 vcc, 64, v0
	s_waitcnt vmcnt(0)
	ds_write2st64_b64 v52, v[2:3], v[4:5] offset1:1
	s_waitcnt lgkmcnt(0)
	s_barrier
	s_and_saveexec_b64 s[4:5], vcc
	s_cbranch_execz .LBB940_600
; %bb.598:
	s_lshl_b32 s4, s48, 7
	s_mul_i32 s5, s18, s8
	s_mul_hi_u32 s9, s5, s4
	s_mul_i32 s8, s5, s4
	s_lshl_b64 s[8:9], s[8:9], 1
	v_lshlrev_b32_e32 v4, 6, v41
	s_add_u32 s5, s50, s8
	v_lshl_or_b32 v0, v0, 10, v4
	s_mov_b32 s7, 0
	s_addc_u32 s8, s51, s9
	s_lshl_b32 s6, s26, 7
	v_lshlrev_b32_e32 v2, 5, v1
	v_and_b32_e32 v3, 16, v43
	v_and_b32_e32 v0, 0x1a00, v0
	s_lshl_b64 s[6:7], s[6:7], 1
	v_or3_b32 v0, v0, v2, v3
	s_add_u32 s5, s5, s6
	ds_read_b128 v[4:7], v0 offset:256
	s_addc_u32 s6, s8, s7
	ds_read_b128 v[8:11], v0 offset:128
	ds_read_b128 v[12:15], v0
	v_add_u32_e32 v18, s27, v1
	v_mov_b32_e32 v3, s6
	v_add_co_u32_e32 v2, vcc, s5, v39
	v_mad_u64_u32 v[16:17], s[6:7], v18, s4, 0
	v_addc_co_u32_e32 v3, vcc, 0, v3, vcc
	v_lshlrev_b64 v[16:17], 1, v[16:17]
	v_add_co_u32_e32 v16, vcc, v2, v16
	v_addc_co_u32_e32 v17, vcc, v3, v17, vcc
	s_waitcnt lgkmcnt(0)
	global_store_dwordx4 v[16:17], v[12:15], off
	s_nop 0
	v_add_u32_e32 v12, 4, v18
	v_mad_u64_u32 v[12:13], s[6:7], v12, s4, 0
	v_lshlrev_b64 v[12:13], 1, v[12:13]
	v_add_co_u32_e32 v12, vcc, v2, v12
	v_addc_co_u32_e32 v13, vcc, v3, v13, vcc
	global_store_dwordx4 v[12:13], v[8:11], off
	s_nop 0
	v_add_u32_e32 v8, 8, v18
	v_mad_u64_u32 v[8:9], s[6:7], v8, s4, 0
	v_lshlrev_b64 v[8:9], 1, v[8:9]
	v_add_co_u32_e32 v8, vcc, v2, v8
	v_addc_co_u32_e32 v9, vcc, v3, v9, vcc
	v_cmp_ne_u32_e32 vcc, 3, v1
	global_store_dwordx4 v[8:9], v[4:7], off
	s_and_b64 exec, exec, vcc
	s_cbranch_execz .LBB940_600
; %bb.599:
	ds_read_b128 v[4:7], v0 offset:384
	v_add3_u32 v0, s27, v1, 12
	v_mad_u64_u32 v[0:1], s[4:5], v0, s4, 0
	v_lshlrev_b64 v[0:1], 1, v[0:1]
	v_add_co_u32_e32 v0, vcc, v2, v0
	v_addc_co_u32_e32 v1, vcc, v3, v1, vcc
	s_waitcnt lgkmcnt(0)
	global_store_dwordx4 v[0:1], v[4:7], off
.LBB940_600:
	s_endpgm
	.section	.rodata,"a",@progbits
	.p2align	6, 0x0
	.amdhsa_kernel _Z39paged_attention_ll4mi_QKV_mfma16_kernelI14__hip_bfloat16hLN4vllm18Fp8KVCacheDataTypeE1ES0_Li32ELi128ELi256ELb1ELi15EL8MFMAType0EEvPKT_PKT0_S9_ifPKiSB_SB_iPKfiiiPfSE_PS4_PT2_iSD_SD_
		.amdhsa_group_segment_fixed_size 8192
		.amdhsa_private_segment_fixed_size 352
		.amdhsa_kernarg_size 400
		.amdhsa_user_sgpr_count 8
		.amdhsa_user_sgpr_private_segment_buffer 1
		.amdhsa_user_sgpr_dispatch_ptr 0
		.amdhsa_user_sgpr_queue_ptr 0
		.amdhsa_user_sgpr_kernarg_segment_ptr 1
		.amdhsa_user_sgpr_dispatch_id 0
		.amdhsa_user_sgpr_flat_scratch_init 1
		.amdhsa_user_sgpr_kernarg_preload_length 0
		.amdhsa_user_sgpr_kernarg_preload_offset 0
		.amdhsa_user_sgpr_private_segment_size 0
		.amdhsa_uses_dynamic_stack 0
		.amdhsa_system_sgpr_private_segment_wavefront_offset 1
		.amdhsa_system_sgpr_workgroup_id_x 1
		.amdhsa_system_sgpr_workgroup_id_y 1
		.amdhsa_system_sgpr_workgroup_id_z 1
		.amdhsa_system_sgpr_workgroup_info 0
		.amdhsa_system_vgpr_workitem_id 0
		.amdhsa_next_free_vgpr 80
		.amdhsa_next_free_sgpr 53
		.amdhsa_accum_offset 80
		.amdhsa_reserve_vcc 1
		.amdhsa_reserve_flat_scratch 0
		.amdhsa_float_round_mode_32 0
		.amdhsa_float_round_mode_16_64 0
		.amdhsa_float_denorm_mode_32 3
		.amdhsa_float_denorm_mode_16_64 3
		.amdhsa_dx10_clamp 1
		.amdhsa_ieee_mode 1
		.amdhsa_fp16_overflow 0
		.amdhsa_tg_split 0
		.amdhsa_exception_fp_ieee_invalid_op 0
		.amdhsa_exception_fp_denorm_src 0
		.amdhsa_exception_fp_ieee_div_zero 0
		.amdhsa_exception_fp_ieee_overflow 0
		.amdhsa_exception_fp_ieee_underflow 0
		.amdhsa_exception_fp_ieee_inexact 0
		.amdhsa_exception_int_div_zero 0
	.end_amdhsa_kernel
	.section	.text._Z39paged_attention_ll4mi_QKV_mfma16_kernelI14__hip_bfloat16hLN4vllm18Fp8KVCacheDataTypeE1ES0_Li32ELi128ELi256ELb1ELi15EL8MFMAType0EEvPKT_PKT0_S9_ifPKiSB_SB_iPKfiiiPfSE_PS4_PT2_iSD_SD_,"axG",@progbits,_Z39paged_attention_ll4mi_QKV_mfma16_kernelI14__hip_bfloat16hLN4vllm18Fp8KVCacheDataTypeE1ES0_Li32ELi128ELi256ELb1ELi15EL8MFMAType0EEvPKT_PKT0_S9_ifPKiSB_SB_iPKfiiiPfSE_PS4_PT2_iSD_SD_,comdat
.Lfunc_end940:
	.size	_Z39paged_attention_ll4mi_QKV_mfma16_kernelI14__hip_bfloat16hLN4vllm18Fp8KVCacheDataTypeE1ES0_Li32ELi128ELi256ELb1ELi15EL8MFMAType0EEvPKT_PKT0_S9_ifPKiSB_SB_iPKfiiiPfSE_PS4_PT2_iSD_SD_, .Lfunc_end940-_Z39paged_attention_ll4mi_QKV_mfma16_kernelI14__hip_bfloat16hLN4vllm18Fp8KVCacheDataTypeE1ES0_Li32ELi128ELi256ELb1ELi15EL8MFMAType0EEvPKT_PKT0_S9_ifPKiSB_SB_iPKfiiiPfSE_PS4_PT2_iSD_SD_
                                        ; -- End function
	.section	.AMDGPU.csdata,"",@progbits
; Kernel info:
; codeLenInByte = 22608
; NumSgprs: 57
; NumVgprs: 80
; NumAgprs: 0
; TotalNumVgprs: 80
; ScratchSize: 352
; MemoryBound: 0
; FloatMode: 240
; IeeeMode: 1
; LDSByteSize: 8192 bytes/workgroup (compile time only)
; SGPRBlocks: 7
; VGPRBlocks: 9
; NumSGPRsForWavesPerEU: 57
; NumVGPRsForWavesPerEU: 80
; AccumOffset: 80
; Occupancy: 6
; WaveLimiterHint : 1
; COMPUTE_PGM_RSRC2:SCRATCH_EN: 1
; COMPUTE_PGM_RSRC2:USER_SGPR: 8
; COMPUTE_PGM_RSRC2:TRAP_HANDLER: 0
; COMPUTE_PGM_RSRC2:TGID_X_EN: 1
; COMPUTE_PGM_RSRC2:TGID_Y_EN: 1
; COMPUTE_PGM_RSRC2:TGID_Z_EN: 1
; COMPUTE_PGM_RSRC2:TIDIG_COMP_CNT: 0
; COMPUTE_PGM_RSRC3_GFX90A:ACCUM_OFFSET: 19
; COMPUTE_PGM_RSRC3_GFX90A:TG_SPLIT: 0
	.section	.text._Z39paged_attention_ll4mi_QKV_mfma16_kernelI14__hip_bfloat16hLN4vllm18Fp8KVCacheDataTypeE1ES0_Li32ELi128ELi256ELb1ELi16EL8MFMAType0EEvPKT_PKT0_S9_ifPKiSB_SB_iPKfiiiPfSE_PS4_PT2_iSD_SD_,"axG",@progbits,_Z39paged_attention_ll4mi_QKV_mfma16_kernelI14__hip_bfloat16hLN4vllm18Fp8KVCacheDataTypeE1ES0_Li32ELi128ELi256ELb1ELi16EL8MFMAType0EEvPKT_PKT0_S9_ifPKiSB_SB_iPKfiiiPfSE_PS4_PT2_iSD_SD_,comdat
	.protected	_Z39paged_attention_ll4mi_QKV_mfma16_kernelI14__hip_bfloat16hLN4vllm18Fp8KVCacheDataTypeE1ES0_Li32ELi128ELi256ELb1ELi16EL8MFMAType0EEvPKT_PKT0_S9_ifPKiSB_SB_iPKfiiiPfSE_PS4_PT2_iSD_SD_ ; -- Begin function _Z39paged_attention_ll4mi_QKV_mfma16_kernelI14__hip_bfloat16hLN4vllm18Fp8KVCacheDataTypeE1ES0_Li32ELi128ELi256ELb1ELi16EL8MFMAType0EEvPKT_PKT0_S9_ifPKiSB_SB_iPKfiiiPfSE_PS4_PT2_iSD_SD_
	.globl	_Z39paged_attention_ll4mi_QKV_mfma16_kernelI14__hip_bfloat16hLN4vllm18Fp8KVCacheDataTypeE1ES0_Li32ELi128ELi256ELb1ELi16EL8MFMAType0EEvPKT_PKT0_S9_ifPKiSB_SB_iPKfiiiPfSE_PS4_PT2_iSD_SD_
	.p2align	8
	.type	_Z39paged_attention_ll4mi_QKV_mfma16_kernelI14__hip_bfloat16hLN4vllm18Fp8KVCacheDataTypeE1ES0_Li32ELi128ELi256ELb1ELi16EL8MFMAType0EEvPKT_PKT0_S9_ifPKiSB_SB_iPKfiiiPfSE_PS4_PT2_iSD_SD_,@function
_Z39paged_attention_ll4mi_QKV_mfma16_kernelI14__hip_bfloat16hLN4vllm18Fp8KVCacheDataTypeE1ES0_Li32ELi128ELi256ELb1ELi16EL8MFMAType0EEvPKT_PKT0_S9_ifPKiSB_SB_iPKfiiiPfSE_PS4_PT2_iSD_SD_: ; @_Z39paged_attention_ll4mi_QKV_mfma16_kernelI14__hip_bfloat16hLN4vllm18Fp8KVCacheDataTypeE1ES0_Li32ELi128ELi256ELb1ELi16EL8MFMAType0EEvPKT_PKT0_S9_ifPKiSB_SB_iPKfiiiPfSE_PS4_PT2_iSD_SD_
; %bb.0:
	s_load_dwordx2 s[16:17], s[4:5], 0x30
	s_add_u32 s0, s0, s11
	s_addc_u32 s1, s1, 0
	s_mov_b32 s26, s9
	s_mov_b64 s[6:7], 0
	s_waitcnt lgkmcnt(0)
	s_cmp_lg_u64 s[16:17], 0
	s_cselect_b64 s[18:19], -1, 0
	s_and_b64 vcc, exec, s[18:19]
	s_cbranch_vccz .LBB941_7
; %bb.1:
	s_add_i32 s12, s8, 1
	s_mov_b32 s13, 0
	s_lshl_b64 s[14:15], s[12:13], 2
	s_add_u32 s14, s16, s14
	s_mov_b32 s9, s13
	s_addc_u32 s15, s17, s15
	s_lshl_b64 s[12:13], s[8:9], 2
	s_add_u32 s12, s16, s12
	s_addc_u32 s13, s17, s13
	s_load_dword s11, s[14:15], 0x0
	s_load_dword s20, s[12:13], 0x0
	s_waitcnt lgkmcnt(0)
	s_sub_i32 s11, s11, s20
	s_cmp_eq_u32 s11, 1
	s_cselect_b64 s[12:13], -1, 0
	s_andn2_b64 vcc, exec, s[6:7]
	s_cbranch_vccnz .LBB941_3
.LBB941_2:
	s_mov_b32 s9, 0
	s_mov_b64 s[12:13], -1
.LBB941_3:
	s_andn2_b64 vcc, exec, s[12:13]
	s_cbranch_vccnz .LBB941_597
; %bb.4:
	s_load_dwordx2 s[6:7], s[4:5], 0x28
	s_lshl_b64 s[20:21], s[8:9], 2
	s_waitcnt lgkmcnt(0)
	s_add_u32 s6, s6, s20
	s_addc_u32 s7, s7, s21
	s_load_dword s33, s[6:7], 0x0
	s_lshl_b32 s22, s26, 8
	s_waitcnt lgkmcnt(0)
	s_cmp_ge_i32 s22, s33
	s_cbranch_scc1 .LBB941_597
; %bb.5:
	s_add_i32 s12, s33, 31
	s_load_dwordx2 s[6:7], s[4:5], 0x20
	s_load_dword s11, s[4:5], 0x38
	s_ashr_i32 s13, s12, 31
	v_and_b32_e32 v1, 0xcf, v0
	s_lshr_b32 s13, s13, 27
	v_add_u32_e32 v1, s22, v1
	s_add_i32 s12, s12, s13
	v_ashrrev_i32_e32 v2, 31, v1
	s_ashr_i32 s24, s12, 5
	v_lshrrev_b32_e32 v10, 27, v2
	s_add_i32 s24, s24, -1
	v_add_u32_e32 v2, v1, v10
	s_waitcnt lgkmcnt(0)
	s_mul_i32 s12, s8, s11
	s_mov_b32 s13, 0
	v_ashrrev_i32_e32 v2, 5, v2
	v_mov_b32_e32 v11, s24
	v_cmp_gt_i32_e32 vcc, s33, v1
	s_lshl_b64 s[12:13], s[12:13], 2
	v_cndmask_b32_e32 v2, v11, v2, vcc
	s_add_u32 s11, s6, s12
	v_ashrrev_i32_e32 v3, 31, v2
	s_addc_u32 s23, s7, s13
	v_lshlrev_b64 v[2:3], 2, v[2:3]
	v_mov_b32_e32 v5, s23
	v_add_co_u32_e32 v4, vcc, s11, v2
	v_or_b32_e32 v2, 16, v1
	v_addc_co_u32_e32 v5, vcc, v5, v3, vcc
	v_add_u32_e32 v3, v2, v10
	v_ashrrev_i32_e32 v3, 5, v3
	v_cmp_gt_i32_e32 vcc, s33, v2
	v_cndmask_b32_e32 v2, v11, v3, vcc
	v_ashrrev_i32_e32 v3, 31, v2
	v_lshlrev_b64 v[2:3], 2, v[2:3]
	v_mov_b32_e32 v7, s23
	v_add_co_u32_e32 v6, vcc, s11, v2
	v_or_b32_e32 v2, 32, v1
	v_addc_co_u32_e32 v7, vcc, v7, v3, vcc
	v_add_u32_e32 v3, v2, v10
	v_ashrrev_i32_e32 v3, 5, v3
	v_cmp_gt_i32_e32 vcc, s33, v2
	v_cndmask_b32_e32 v2, v11, v3, vcc
	v_ashrrev_i32_e32 v3, 31, v2
	;; [unrolled: 10-line block ×3, first 2 shown]
	v_lshlrev_b64 v[2:3], 2, v[2:3]
	v_mov_b32_e32 v1, s23
	v_add_co_u32_e32 v12, vcc, s11, v2
	v_addc_co_u32_e32 v13, vcc, v1, v3, vcc
	global_load_dword v2, v[4:5], off
	global_load_dword v11, v[6:7], off
	;; [unrolled: 1-line block ×4, first 2 shown]
	s_load_dwordx2 s[6:7], s[4:5], 0x40
	s_load_dwordx4 s[12:15], s[4:5], 0x8
	s_andn2_b64 vcc, exec, s[18:19]
	s_cbranch_vccnz .LBB941_8
; %bb.6:
	s_add_u32 s16, s16, s20
	s_addc_u32 s17, s17, s21
	s_load_dword s18, s[16:17], 0x0
	s_branch .LBB941_9
.LBB941_7:
	s_mov_b64 s[12:13], 0
	s_branch .LBB941_2
.LBB941_8:
	s_mov_b32 s18, s8
.LBB941_9:
	s_load_dwordx2 s[48:49], s[4:5], 0x68
	s_load_dwordx8 s[40:47], s[4:5], 0x48
	v_and_b32_e32 v48, 15, v0
	v_lshlrev_b32_e32 v3, 3, v48
	s_movk_i32 s16, 0x100
	v_lshrrev_b32_e32 v56, 6, v0
	v_bfe_u32 v1, v0, 4, 2
	s_lshl_b32 s27, s10, 4
	v_cmp_gt_u32_e32 vcc, s16, v0
	v_lshlrev_b32_e32 v47, 1, v3
	v_lshlrev_b32_e32 v49, 4, v0
	s_and_saveexec_b64 s[16:17], vcc
	s_cbranch_execz .LBB941_11
; %bb.10:
	s_load_dwordx2 s[20:21], s[4:5], 0x0
	s_waitcnt lgkmcnt(0)
	s_ashr_i32 s19, s40, 31
	s_mul_hi_u32 s25, s18, s40
	s_mul_i32 s19, s18, s19
	v_lshl_or_b32 v3, v56, 2, v1
	s_add_i32 s19, s25, s19
	s_mul_i32 s18, s18, s40
	s_lshl_b64 s[18:19], s[18:19], 1
	v_add_lshl_u32 v4, v3, s27, 7
	s_add_u32 s18, s20, s18
	v_ashrrev_i32_e32 v5, 31, v4
	s_addc_u32 s19, s21, s19
	v_lshlrev_b64 v[4:5], 1, v[4:5]
	v_mov_b32_e32 v6, s19
	v_add_co_u32_e32 v4, vcc, s18, v4
	v_addc_co_u32_e32 v5, vcc, v6, v5, vcc
	v_add_co_u32_e32 v4, vcc, v4, v47
	v_addc_co_u32_e32 v5, vcc, 0, v5, vcc
	global_load_dwordx4 v[4:7], v[4:5], off
	v_lshlrev_b32_e32 v9, 8, v0
	v_lshlrev_b32_e32 v8, 8, v48
	v_and_b32_e32 v9, 0x600, v9
	s_movk_i32 s18, 0x800
	v_and_or_b32 v8, v8, s18, v9
	v_lshlrev_b32_e32 v3, 5, v3
	v_and_b32_e32 v9, 16, v49
	v_or3_b32 v3, v8, v3, v9
	s_waitcnt vmcnt(0)
	ds_write_b128 v3, v[4:7]
.LBB941_11:
	s_or_b64 exec, exec, s[16:17]
	s_waitcnt lgkmcnt(0)
	s_mul_i32 s10, s10, s42
	s_add_u32 s12, s12, s10
	s_addc_u32 s13, s13, 0
	v_pk_mov_b32 v[16:17], s[12:13], s[12:13] op_sel:[0,1]
	s_waitcnt vmcnt(3)
	v_mad_i64_i32 v[2:3], s[12:13], v2, s41, v[16:17]
	v_lshlrev_b32_e32 v22, 4, v48
	v_and_b32_e32 v14, 48, v0
	v_add_co_u32_e32 v2, vcc, v2, v22
	v_lshlrev_b32_e32 v19, 5, v14
	v_addc_co_u32_e32 v3, vcc, 0, v3, vcc
	v_add_co_u32_e32 v12, vcc, v2, v19
	s_ashr_i32 s12, s22, 31
	v_addc_co_u32_e32 v13, vcc, 0, v3, vcc
	v_or_b32_e32 v23, s22, v14
	s_lshr_b32 s12, s12, 27
	s_load_dwordx2 s[50:51], s[4:5], 0x94
	s_waitcnt lgkmcnt(0)
	s_barrier
	global_load_dwordx4 v[6:9], v[12:13], off
	global_load_dwordx4 v[2:5], v[12:13], off offset:2048
	v_add_u32_e32 v12, s12, v23
	v_ashrrev_i32_e32 v12, 5, v12
	v_mov_b32_e32 v24, s24
	v_cmp_gt_i32_e32 vcc, s33, v23
	v_cndmask_b32_e32 v12, v24, v12, vcc
	v_ashrrev_i32_e32 v13, 31, v12
	v_lshlrev_b64 v[12:13], 2, v[12:13]
	v_mov_b32_e32 v14, s23
	v_add_co_u32_e32 v12, vcc, s11, v12
	v_addc_co_u32_e32 v13, vcc, v14, v13, vcc
	v_or_b32_e32 v14, 64, v23
	v_add_u32_e32 v15, s12, v14
	v_ashrrev_i32_e32 v15, 5, v15
	v_cmp_gt_i32_e32 vcc, s33, v14
	v_cndmask_b32_e32 v14, v24, v15, vcc
	v_ashrrev_i32_e32 v15, 31, v14
	v_lshlrev_b64 v[14:15], 2, v[14:15]
	v_mov_b32_e32 v20, s23
	v_add_co_u32_e32 v14, vcc, s11, v14
	v_addc_co_u32_e32 v15, vcc, v20, v15, vcc
	v_or_b32_e32 v20, 0x80, v23
	v_add_u32_e32 v21, s12, v20
	v_ashrrev_i32_e32 v21, 5, v21
	v_cmp_gt_i32_e32 vcc, s33, v20
	v_cndmask_b32_e32 v20, v24, v21, vcc
	v_ashrrev_i32_e32 v21, 31, v20
	v_lshlrev_b64 v[20:21], 2, v[20:21]
	v_mov_b32_e32 v25, s23
	v_add_co_u32_e32 v20, vcc, s11, v20
	v_addc_co_u32_e32 v21, vcc, v25, v21, vcc
	global_load_dword v46, v[12:13], off
	global_load_dword v52, v[14:15], off
	;; [unrolled: 1-line block ×3, first 2 shown]
	v_or_b32_e32 v12, 0xc0, v23
	v_add_u32_e32 v13, s12, v12
	v_ashrrev_i32_e32 v13, 5, v13
	v_cmp_gt_i32_e32 vcc, s33, v12
	v_cndmask_b32_e32 v12, v24, v13, vcc
	v_ashrrev_i32_e32 v13, 31, v12
	v_lshlrev_b64 v[12:13], 2, v[12:13]
	v_mov_b32_e32 v14, s23
	v_add_co_u32_e32 v12, vcc, s11, v12
	v_addc_co_u32_e32 v13, vcc, v14, v13, vcc
	global_load_dword v54, v[12:13], off
	s_waitcnt vmcnt(8)
	v_mad_i64_i32 v[12:13], s[12:13], v11, s41, v[16:17]
	v_or_b32_e32 v23, 0x100, v22
	v_add_co_u32_e32 v11, vcc, v12, v23
	v_addc_co_u32_e32 v12, vcc, 0, v13, vcc
	v_add_co_u32_e32 v20, vcc, v11, v19
	v_addc_co_u32_e32 v21, vcc, 0, v12, vcc
	global_load_dwordx4 v[12:15], v[20:21], off
	global_load_dwordx4 v[34:37], v[20:21], off offset:2048
	s_add_u32 s10, s14, s10
	s_addc_u32 s11, s15, 0
	s_waitcnt vmcnt(7)
	buffer_store_dword v9, off, s[0:3], 0 offset:12
	buffer_store_dword v8, off, s[0:3], 0 offset:8
	;; [unrolled: 1-line block ×3, first 2 shown]
	buffer_store_dword v6, off, s[0:3], 0
	s_waitcnt vmcnt(10)
	buffer_store_dword v5, off, s[0:3], 0 offset:28
	buffer_store_dword v4, off, s[0:3], 0 offset:24
	v_mad_i64_i32 v[4:5], s[12:13], v10, s41, v[16:17]
	v_add_co_u32_e32 v4, vcc, v4, v22
	v_addc_co_u32_e32 v5, vcc, 0, v5, vcc
	v_add_co_u32_e32 v20, vcc, v4, v19
	v_addc_co_u32_e32 v21, vcc, 0, v5, vcc
	v_mad_i64_i32 v[16:17], s[12:13], v18, s41, v[16:17]
	v_add_co_u32_e32 v16, vcc, v16, v23
	v_addc_co_u32_e32 v17, vcc, 0, v17, vcc
	v_add_co_u32_e32 v16, vcc, v16, v19
	v_addc_co_u32_e32 v17, vcc, 0, v17, vcc
	global_load_dwordx4 v[8:11], v[20:21], off
	global_load_dwordx4 v[4:7], v[20:21], off offset:2048
	global_load_dwordx4 v[22:25], v[16:17], off
	s_nop 0
	global_load_dwordx4 v[18:21], v[16:17], off offset:2048
	v_and_b32_e32 v16, 16, v0
	v_mov_b32_e32 v17, s11
	v_add_co_u32_e32 v50, vcc, s10, v16
	v_lshl_or_b32 v57, v56, 4, v48
	v_addc_co_u32_e32 v51, vcc, 0, v17, vcc
	v_lshlrev_b32_e32 v55, 5, v57
	v_add_co_u32_e32 v16, vcc, v50, v55
	v_addc_co_u32_e32 v17, vcc, 0, v51, vcc
	s_waitcnt vmcnt(15)
	v_mad_i64_i32 v[26:27], s[10:11], v46, s41, v[16:17]
	s_waitcnt vmcnt(14)
	v_mad_i64_i32 v[30:31], s[10:11], v52, s41, v[16:17]
	;; [unrolled: 2-line block ×3, first 2 shown]
	global_load_dwordx4 v[26:29], v[26:27], off
	v_and_b32_e32 v58, 63, v0
	global_load_dwordx4 v[30:33], v[30:31], off
	s_mov_b32 s12, 0
	s_movk_i32 s13, 0x80
	s_movk_i32 s14, 0x7f
	s_mov_b32 s15, 0xffffff
	s_mov_b32 s16, 0x5040100
	s_waitcnt vmcnt(14)
	v_mad_i64_i32 v[16:17], s[10:11], v54, s41, v[16:17]
	global_load_dwordx4 v[42:45], v[38:39], off
	s_nop 0
	global_load_dwordx4 v[38:41], v[16:17], off
	v_or_b32_e32 v16, 0x800, v55
	v_add_co_u32_e32 v16, vcc, v50, v16
	v_addc_co_u32_e32 v17, vcc, 0, v51, vcc
	v_mad_i64_i32 v[50:51], s[10:11], v46, s41, v[16:17]
	buffer_store_dword v3, off, s[0:3], 0 offset:20
	buffer_store_dword v2, off, s[0:3], 0 offset:16
	v_mad_i64_i32 v[2:3], s[10:11], v53, s41, v[16:17]
	global_load_dwordx4 v[60:63], v[50:51], off
	global_load_dwordx4 v[68:71], v[2:3], off
	v_mad_i64_i32 v[50:51], s[10:11], v52, s41, v[16:17]
	v_mad_i64_i32 v[2:3], s[10:11], v54, s41, v[16:17]
	global_load_dwordx4 v[64:67], v[50:51], off
	global_load_dwordx4 v[72:75], v[2:3], off
	s_waitcnt vmcnt(21)
	buffer_store_dword v15, off, s[0:3], 0 offset:44
	buffer_store_dword v14, off, s[0:3], 0 offset:40
	;; [unrolled: 1-line block ×4, first 2 shown]
	s_waitcnt vmcnt(24)
	buffer_store_dword v37, off, s[0:3], 0 offset:60
	buffer_store_dword v36, off, s[0:3], 0 offset:56
	;; [unrolled: 1-line block ×4, first 2 shown]
	v_or_b32_e32 v34, s27, v48
	v_ashrrev_i32_e32 v35, 31, v34
	v_lshlrev_b64 v[2:3], 2, v[34:35]
	v_mov_b32_e32 v12, s7
	v_add_co_u32_e32 v2, vcc, s6, v2
	v_addc_co_u32_e32 v3, vcc, v12, v3, vcc
	global_load_dword v59, v[2:3], off
	s_load_dword s6, s[4:5], 0x1c
	s_load_dwordx4 s[40:43], s[4:5], 0x80
	v_lshlrev_b32_e32 v35, 5, v48
	v_mov_b32_e32 v2, 0x80
	s_waitcnt vmcnt(22)
	buffer_store_dword v11, off, s[0:3], 0 offset:76
	buffer_store_dword v10, off, s[0:3], 0 offset:72
	;; [unrolled: 1-line block ×4, first 2 shown]
	s_waitcnt vmcnt(25)
	buffer_store_dword v7, off, s[0:3], 0 offset:92
	buffer_store_dword v6, off, s[0:3], 0 offset:88
	;; [unrolled: 1-line block ×4, first 2 shown]
	v_lshl_or_b32 v37, v1, 9, v35
	v_add_u32_e32 v50, 16, v2
	v_add_u32_e32 v46, 32, v2
	;; [unrolled: 1-line block ×7, first 2 shown]
	ds_read_b128 v[2:5], v37
	ds_read_b128 v[6:9], v37 offset:16
	ds_read_b128 v[10:13], v37 offset:2048
	;; [unrolled: 1-line block ×3, first 2 shown]
	s_waitcnt vmcnt(28)
	buffer_store_dword v25, off, s[0:3], 0 offset:108
	buffer_store_dword v24, off, s[0:3], 0 offset:104
	buffer_store_dword v23, off, s[0:3], 0 offset:100
	buffer_store_dword v22, off, s[0:3], 0 offset:96
	s_waitcnt vmcnt(31)
	buffer_store_dword v18, off, s[0:3], 0 offset:112
	buffer_store_dword v19, off, s[0:3], 0 offset:116
	buffer_store_dword v20, off, s[0:3], 0 offset:120
	buffer_store_dword v21, off, s[0:3], 0 offset:124
	;; [unrolled: 5-line block ×8, first 2 shown]
	buffer_store_dword v71, off, s[0:3], 0 offset:220
	buffer_store_dword v70, off, s[0:3], 0 offset:216
	;; [unrolled: 1-line block ×4, first 2 shown]
	s_waitcnt vmcnt(53)
	buffer_store_dword v75, off, s[0:3], 0 offset:252
	s_waitcnt lgkmcnt(0)
	s_load_dword s4, s[40:41], 0x0
	v_mov_b32_e32 v18, s6
	v_mov_b32_e32 v27, 0
	;; [unrolled: 1-line block ×4, first 2 shown]
	s_waitcnt lgkmcnt(0)
	v_mul_f32_e32 v22, s4, v18
	v_mov_b32_e32 v24, v22
	v_mov_b32_e32 v25, v22
	v_bfrev_b32_e32 v33, 60
	buffer_store_dword v74, off, s[0:3], 0 offset:248
	buffer_store_dword v73, off, s[0:3], 0 offset:244
	;; [unrolled: 1-line block ×3, first 2 shown]
	s_branch .LBB941_15
.LBB941_12:                             ;   in Loop: Header=BB941_15 Depth=1
	s_or_b64 exec, exec, s[10:11]
.LBB941_13:                             ;   in Loop: Header=BB941_15 Depth=1
	s_or_b64 exec, exec, s[6:7]
.LBB941_14:                             ;   in Loop: Header=BB941_15 Depth=1
	s_or_b64 exec, exec, s[4:5]
	v_perm_b32 v43, v39, v32, s16
	v_perm_b32 v42, v23, v36, s16
	;; [unrolled: 1-line block ×4, first 2 shown]
	v_add_u32_e32 v26, s12, v29
	v_mfma_f32_16x16x16bf16_1k v[18:21], v[42:43], v[14:15], v[18:21]
	s_add_i32 s12, s12, 16
	v_mov_b32_e32 v23, v22
	s_cmp_eq_u32 s12, 64
	v_add_u32_e32 v27, 32, v27
	v_mfma_f32_16x16x16bf16_1k v[18:21], v[38:39], v[16:17], v[18:21]
	s_nop 7
	s_nop 2
	v_pk_mul_f32 v[18:19], v[24:25], v[18:19]
	v_pk_mul_f32 v[20:21], v[22:23], v[20:21]
	buffer_store_dword v19, v26, s[0:3], 0 offen offset:4
	buffer_store_dword v18, v26, s[0:3], 0 offen
	buffer_store_dword v21, v26, s[0:3], 0 offen offset:12
	buffer_store_dword v20, v26, s[0:3], 0 offen offset:8
	s_cbranch_scc1 .LBB941_205
.LBB941_15:                             ; =>This Inner Loop Header: Depth=1
	buffer_load_dword v20, v27, s[0:3], 0 offen
	buffer_load_dword v18, v27, s[0:3], 0 offen offset:4
	buffer_load_dword v28, v27, s[0:3], 0 offen offset:8
	;; [unrolled: 1-line block ×3, first 2 shown]
	v_mov_b32_e32 v19, 0
	s_waitcnt vmcnt(3)
	v_cmp_ne_u16_sdwa s[6:7], v20, v31 src0_sel:BYTE_0 src1_sel:DWORD
	s_and_saveexec_b64 s[4:5], s[6:7]
	s_cbranch_execz .LBB941_21
; %bb.16:                               ;   in Loop: Header=BB941_15 Depth=1
	v_cmp_ne_u16_sdwa s[10:11], v20, s13 src0_sel:BYTE_0 src1_sel:DWORD
	v_mov_b32_e32 v19, 0xffff8000
	s_and_saveexec_b64 s[6:7], s[10:11]
	s_cbranch_execz .LBB941_20
; %bb.17:                               ;   in Loop: Header=BB941_15 Depth=1
	v_and_b32_e32 v21, 0x7f, v20
	v_cmp_ne_u32_e32 vcc, s14, v21
	v_mov_b32_e32 v19, 0x7f80
	s_and_saveexec_b64 s[10:11], vcc
	s_cbranch_execz .LBB941_19
; %bb.18:                               ;   in Loop: Header=BB941_15 Depth=1
	v_and_b32_e32 v19, 7, v20
	v_ffbh_u32_e32 v30, v19
	v_min_u32_e32 v30, 32, v30
	v_subrev_u32_e32 v32, 28, v30
	v_lshlrev_b64 v[38:39], v32, v[20:21]
	v_lshrrev_b32_e32 v23, 3, v21
	v_sub_u32_e32 v30, 29, v30
	v_and_b32_e32 v32, 7, v38
	v_cmp_gt_u32_e32 vcc, 8, v21
	v_cndmask_b32_e32 v21, v23, v30, vcc
	v_cndmask_b32_e32 v19, v19, v32, vcc
	v_lshlrev_b32_e32 v23, 24, v20
	v_lshlrev_b32_e32 v19, 20, v19
	v_and_b32_e32 v23, 0x80000000, v23
	v_lshl_add_u32 v21, v21, 23, v33
	v_or3_b32 v19, v23, v21, v19
	v_lshrrev_b32_e32 v19, 16, v19
.LBB941_19:                             ;   in Loop: Header=BB941_15 Depth=1
	s_or_b64 exec, exec, s[10:11]
.LBB941_20:                             ;   in Loop: Header=BB941_15 Depth=1
	s_or_b64 exec, exec, s[6:7]
.LBB941_21:                             ;   in Loop: Header=BB941_15 Depth=1
	s_or_b64 exec, exec, s[4:5]
	v_lshrrev_b16_e32 v30, 8, v20
	v_cmp_ne_u16_e32 vcc, 0, v30
	v_mov_b32_e32 v23, 0
	v_mov_b32_e32 v21, 0
	s_and_saveexec_b64 s[4:5], vcc
	s_cbranch_execz .LBB941_27
; %bb.22:                               ;   in Loop: Header=BB941_15 Depth=1
	v_cmp_ne_u16_e32 vcc, s13, v30
	v_mov_b32_e32 v21, 0xffff8000
	s_and_saveexec_b64 s[6:7], vcc
	s_cbranch_execz .LBB941_26
; %bb.23:                               ;   in Loop: Header=BB941_15 Depth=1
	v_and_b32_e32 v32, 0x7f, v30
	v_cmp_ne_u32_e32 vcc, s14, v32
	v_mov_b32_e32 v21, 0x7f80
	s_and_saveexec_b64 s[10:11], vcc
	s_cbranch_execz .LBB941_25
; %bb.24:                               ;   in Loop: Header=BB941_15 Depth=1
	v_and_b32_e32 v21, 7, v30
	v_ffbh_u32_e32 v38, v21
	v_min_u32_e32 v40, 32, v38
	v_subrev_u32_e32 v38, 28, v40
	v_lshlrev_b64 v[38:39], v38, v[30:31]
	v_lshrrev_b32_e32 v36, 3, v32
	v_sub_u32_e32 v30, 29, v40
	v_and_b32_e32 v38, 7, v38
	v_cmp_gt_u32_e32 vcc, 8, v32
	v_cndmask_b32_e32 v30, v36, v30, vcc
	v_cndmask_b32_e32 v21, v21, v38, vcc
	v_lshlrev_b32_e32 v32, 16, v20
	v_lshlrev_b32_e32 v21, 20, v21
	v_and_b32_e32 v32, 0x80000000, v32
	v_lshl_add_u32 v30, v30, 23, v33
	v_or3_b32 v21, v32, v30, v21
	v_lshrrev_b32_e32 v21, 16, v21
.LBB941_25:                             ;   in Loop: Header=BB941_15 Depth=1
	s_or_b64 exec, exec, s[10:11]
.LBB941_26:                             ;   in Loop: Header=BB941_15 Depth=1
	s_or_b64 exec, exec, s[6:7]
.LBB941_27:                             ;   in Loop: Header=BB941_15 Depth=1
	s_or_b64 exec, exec, s[4:5]
	v_lshrrev_b32_e32 v30, 16, v20
	v_cmp_ne_u16_sdwa s[6:7], v30, v31 src0_sel:BYTE_0 src1_sel:DWORD
	s_and_saveexec_b64 s[4:5], s[6:7]
	s_cbranch_execz .LBB941_33
; %bb.28:                               ;   in Loop: Header=BB941_15 Depth=1
	v_cmp_ne_u16_sdwa s[10:11], v30, s13 src0_sel:BYTE_0 src1_sel:DWORD
	v_mov_b32_e32 v23, 0xffff8000
	s_and_saveexec_b64 s[6:7], s[10:11]
	s_cbranch_execz .LBB941_32
; %bb.29:                               ;   in Loop: Header=BB941_15 Depth=1
	v_bfe_u32 v32, v20, 16, 7
	v_cmp_ne_u32_e32 vcc, s14, v32
	v_mov_b32_e32 v23, 0x7f80
	s_and_saveexec_b64 s[10:11], vcc
	s_cbranch_execz .LBB941_31
; %bb.30:                               ;   in Loop: Header=BB941_15 Depth=1
	v_and_b32_e32 v23, 7, v30
	v_ffbh_u32_e32 v38, v23
	v_min_u32_e32 v40, 32, v38
	v_subrev_u32_e32 v38, 28, v40
	v_lshlrev_b64 v[38:39], v38, v[30:31]
	v_lshrrev_b32_e32 v36, 3, v32
	v_sub_u32_e32 v39, 29, v40
	v_and_b32_e32 v38, 7, v38
	v_cmp_gt_u32_e32 vcc, 8, v32
	v_cndmask_b32_e32 v32, v36, v39, vcc
	v_cndmask_b32_e32 v23, v23, v38, vcc
	v_lshlrev_b32_e32 v30, 24, v30
	v_lshlrev_b32_e32 v23, 20, v23
	v_and_b32_e32 v30, 0x80000000, v30
	v_lshl_add_u32 v32, v32, 23, v33
	v_or3_b32 v23, v30, v32, v23
	v_lshrrev_b32_e32 v23, 16, v23
.LBB941_31:                             ;   in Loop: Header=BB941_15 Depth=1
	s_or_b64 exec, exec, s[10:11]
.LBB941_32:                             ;   in Loop: Header=BB941_15 Depth=1
	s_or_b64 exec, exec, s[6:7]
.LBB941_33:                             ;   in Loop: Header=BB941_15 Depth=1
	s_or_b64 exec, exec, s[4:5]
	v_cmp_lt_u32_e32 vcc, s15, v20
	v_mov_b32_e32 v36, 0
	v_mov_b32_e32 v38, 0
	s_and_saveexec_b64 s[4:5], vcc
	s_cbranch_execz .LBB941_39
; %bb.34:                               ;   in Loop: Header=BB941_15 Depth=1
	v_lshrrev_b32_e32 v30, 24, v20
	v_cmp_ne_u32_e32 vcc, s13, v30
	v_mov_b32_e32 v38, 0xffff8000
	s_and_saveexec_b64 s[6:7], vcc
	s_cbranch_execz .LBB941_38
; %bb.35:                               ;   in Loop: Header=BB941_15 Depth=1
	v_bfe_u32 v20, v20, 24, 7
	v_cmp_ne_u32_e32 vcc, s14, v20
	v_mov_b32_e32 v38, 0x7f80
	s_and_saveexec_b64 s[10:11], vcc
	s_cbranch_execz .LBB941_37
; %bb.36:                               ;   in Loop: Header=BB941_15 Depth=1
	v_and_b32_e32 v32, 7, v30
	v_ffbh_u32_e32 v38, v32
	v_min_u32_e32 v41, 32, v38
	v_subrev_u32_e32 v38, 28, v41
	v_lshlrev_b64 v[38:39], v38, v[30:31]
	v_lshrrev_b32_e32 v40, 3, v20
	v_sub_u32_e32 v39, 29, v41
	v_and_b32_e32 v38, 7, v38
	v_cmp_gt_u32_e32 vcc, 8, v20
	v_cndmask_b32_e32 v20, v40, v39, vcc
	v_cndmask_b32_e32 v32, v32, v38, vcc
	v_lshlrev_b32_e32 v30, 24, v30
	v_lshlrev_b32_e32 v32, 20, v32
	v_and_b32_e32 v30, 0x80000000, v30
	v_lshl_add_u32 v20, v20, 23, v33
	v_or3_b32 v20, v30, v20, v32
	v_lshrrev_b32_e32 v38, 16, v20
.LBB941_37:                             ;   in Loop: Header=BB941_15 Depth=1
	s_or_b64 exec, exec, s[10:11]
.LBB941_38:                             ;   in Loop: Header=BB941_15 Depth=1
	s_or_b64 exec, exec, s[6:7]
.LBB941_39:                             ;   in Loop: Header=BB941_15 Depth=1
	s_or_b64 exec, exec, s[4:5]
	s_waitcnt vmcnt(2)
	v_cmp_ne_u16_sdwa s[6:7], v18, v31 src0_sel:BYTE_0 src1_sel:DWORD
	s_and_saveexec_b64 s[4:5], s[6:7]
	s_cbranch_execz .LBB941_45
; %bb.40:                               ;   in Loop: Header=BB941_15 Depth=1
	v_cmp_ne_u16_sdwa s[10:11], v18, s13 src0_sel:BYTE_0 src1_sel:DWORD
	v_mov_b32_e32 v36, 0xffff8000
	s_and_saveexec_b64 s[6:7], s[10:11]
	s_cbranch_execz .LBB941_44
; %bb.41:                               ;   in Loop: Header=BB941_15 Depth=1
	v_and_b32_e32 v20, 0x7f, v18
	v_cmp_ne_u32_e32 vcc, s14, v20
	v_mov_b32_e32 v36, 0x7f80
	s_and_saveexec_b64 s[10:11], vcc
	s_cbranch_execz .LBB941_43
; %bb.42:                               ;   in Loop: Header=BB941_15 Depth=1
	v_and_b32_e32 v30, 7, v18
	v_ffbh_u32_e32 v36, v30
	v_min_u32_e32 v36, 32, v36
	v_subrev_u32_e32 v39, 28, v36
	v_lshlrev_b64 v[40:41], v39, v[18:19]
	v_lshrrev_b32_e32 v32, 3, v20
	v_sub_u32_e32 v36, 29, v36
	v_and_b32_e32 v39, 7, v40
	v_cmp_gt_u32_e32 vcc, 8, v20
	v_cndmask_b32_e32 v20, v32, v36, vcc
	v_cndmask_b32_e32 v30, v30, v39, vcc
	v_lshlrev_b32_e32 v32, 24, v18
	v_lshlrev_b32_e32 v30, 20, v30
	v_and_b32_e32 v32, 0x80000000, v32
	v_lshl_add_u32 v20, v20, 23, v33
	v_or3_b32 v20, v32, v20, v30
	v_lshrrev_b32_e32 v36, 16, v20
.LBB941_43:                             ;   in Loop: Header=BB941_15 Depth=1
	s_or_b64 exec, exec, s[10:11]
.LBB941_44:                             ;   in Loop: Header=BB941_15 Depth=1
	s_or_b64 exec, exec, s[6:7]
.LBB941_45:                             ;   in Loop: Header=BB941_15 Depth=1
	s_or_b64 exec, exec, s[4:5]
	v_lshrrev_b16_e32 v20, 8, v18
	v_cmp_ne_u16_e32 vcc, 0, v20
	v_mov_b32_e32 v39, 0
	v_mov_b32_e32 v30, 0
	s_and_saveexec_b64 s[4:5], vcc
	s_cbranch_execz .LBB941_51
; %bb.46:                               ;   in Loop: Header=BB941_15 Depth=1
	v_cmp_ne_u16_e32 vcc, s13, v20
	v_mov_b32_e32 v30, 0xffff8000
	s_and_saveexec_b64 s[6:7], vcc
	s_cbranch_execz .LBB941_50
; %bb.47:                               ;   in Loop: Header=BB941_15 Depth=1
	v_and_b32_e32 v32, 0x7f, v20
	v_cmp_ne_u32_e32 vcc, s14, v32
	v_mov_b32_e32 v30, 0x7f80
	s_and_saveexec_b64 s[10:11], vcc
	s_cbranch_execz .LBB941_49
; %bb.48:                               ;   in Loop: Header=BB941_15 Depth=1
	v_and_b32_e32 v30, 7, v20
	v_ffbh_u32_e32 v40, v30
	v_min_u32_e32 v43, 32, v40
	v_subrev_u32_e32 v40, 28, v43
	v_lshlrev_b64 v[40:41], v40, v[20:21]
	v_lshrrev_b32_e32 v42, 3, v32
	v_sub_u32_e32 v20, 29, v43
	v_and_b32_e32 v40, 7, v40
	v_cmp_gt_u32_e32 vcc, 8, v32
	v_cndmask_b32_e32 v20, v42, v20, vcc
	v_cndmask_b32_e32 v30, v30, v40, vcc
	v_lshlrev_b32_e32 v32, 16, v18
	v_lshlrev_b32_e32 v30, 20, v30
	v_and_b32_e32 v32, 0x80000000, v32
	v_lshl_add_u32 v20, v20, 23, v33
	v_or3_b32 v20, v32, v20, v30
	v_lshrrev_b32_e32 v30, 16, v20
.LBB941_49:                             ;   in Loop: Header=BB941_15 Depth=1
	s_or_b64 exec, exec, s[10:11]
.LBB941_50:                             ;   in Loop: Header=BB941_15 Depth=1
	s_or_b64 exec, exec, s[6:7]
.LBB941_51:                             ;   in Loop: Header=BB941_15 Depth=1
	s_or_b64 exec, exec, s[4:5]
	v_lshrrev_b32_e32 v20, 16, v18
	v_cmp_ne_u16_sdwa s[6:7], v20, v31 src0_sel:BYTE_0 src1_sel:DWORD
	s_and_saveexec_b64 s[4:5], s[6:7]
	s_cbranch_execz .LBB941_57
; %bb.52:                               ;   in Loop: Header=BB941_15 Depth=1
	v_cmp_ne_u16_sdwa s[10:11], v20, s13 src0_sel:BYTE_0 src1_sel:DWORD
	v_mov_b32_e32 v39, 0xffff8000
	s_and_saveexec_b64 s[6:7], s[10:11]
	s_cbranch_execz .LBB941_56
; %bb.53:                               ;   in Loop: Header=BB941_15 Depth=1
	v_bfe_u32 v32, v18, 16, 7
	v_cmp_ne_u32_e32 vcc, s14, v32
	v_mov_b32_e32 v39, 0x7f80
	s_and_saveexec_b64 s[10:11], vcc
	s_cbranch_execz .LBB941_55
; %bb.54:                               ;   in Loop: Header=BB941_15 Depth=1
	v_and_b32_e32 v39, 7, v20
	v_ffbh_u32_e32 v40, v39
	v_min_u32_e32 v43, 32, v40
	v_subrev_u32_e32 v40, 28, v43
	v_lshlrev_b64 v[40:41], v40, v[20:21]
	v_lshrrev_b32_e32 v42, 3, v32
	v_sub_u32_e32 v41, 29, v43
	v_and_b32_e32 v40, 7, v40
	v_cmp_gt_u32_e32 vcc, 8, v32
	v_cndmask_b32_e32 v32, v42, v41, vcc
	v_cndmask_b32_e32 v39, v39, v40, vcc
	v_lshlrev_b32_e32 v20, 24, v20
	v_lshlrev_b32_e32 v39, 20, v39
	v_and_b32_e32 v20, 0x80000000, v20
	v_lshl_add_u32 v32, v32, 23, v33
	v_or3_b32 v20, v20, v32, v39
	v_lshrrev_b32_e32 v39, 16, v20
.LBB941_55:                             ;   in Loop: Header=BB941_15 Depth=1
	s_or_b64 exec, exec, s[10:11]
.LBB941_56:                             ;   in Loop: Header=BB941_15 Depth=1
	s_or_b64 exec, exec, s[6:7]
.LBB941_57:                             ;   in Loop: Header=BB941_15 Depth=1
	s_or_b64 exec, exec, s[4:5]
	v_cmp_lt_u32_e32 vcc, s15, v18
	v_mov_b32_e32 v32, 0
	v_mov_b32_e32 v40, 0
	s_and_saveexec_b64 s[4:5], vcc
	s_cbranch_execz .LBB941_63
; %bb.58:                               ;   in Loop: Header=BB941_15 Depth=1
	v_lshrrev_b32_e32 v20, 24, v18
	v_cmp_ne_u32_e32 vcc, s13, v20
	v_mov_b32_e32 v40, 0xffff8000
	s_and_saveexec_b64 s[6:7], vcc
	s_cbranch_execz .LBB941_62
; %bb.59:                               ;   in Loop: Header=BB941_15 Depth=1
	v_bfe_u32 v18, v18, 24, 7
	v_cmp_ne_u32_e32 vcc, s14, v18
	v_mov_b32_e32 v40, 0x7f80
	s_and_saveexec_b64 s[10:11], vcc
	s_cbranch_execz .LBB941_61
; %bb.60:                               ;   in Loop: Header=BB941_15 Depth=1
	v_and_b32_e32 v42, 7, v20
	v_ffbh_u32_e32 v40, v42
	v_min_u32_e32 v44, 32, v40
	v_subrev_u32_e32 v40, 28, v44
	v_lshlrev_b64 v[40:41], v40, v[20:21]
	v_lshrrev_b32_e32 v43, 3, v18
	v_sub_u32_e32 v41, 29, v44
	v_and_b32_e32 v40, 7, v40
	v_cmp_gt_u32_e32 vcc, 8, v18
	v_cndmask_b32_e32 v18, v43, v41, vcc
	v_cndmask_b32_e32 v40, v42, v40, vcc
	v_lshlrev_b32_e32 v20, 24, v20
	v_lshlrev_b32_e32 v40, 20, v40
	v_and_b32_e32 v20, 0x80000000, v20
	v_lshl_add_u32 v18, v18, 23, v33
	v_or3_b32 v18, v20, v18, v40
	v_lshrrev_b32_e32 v40, 16, v18
.LBB941_61:                             ;   in Loop: Header=BB941_15 Depth=1
	s_or_b64 exec, exec, s[10:11]
.LBB941_62:                             ;   in Loop: Header=BB941_15 Depth=1
	s_or_b64 exec, exec, s[6:7]
.LBB941_63:                             ;   in Loop: Header=BB941_15 Depth=1
	s_or_b64 exec, exec, s[4:5]
	v_perm_b32 v43, v38, v23, s16
	v_perm_b32 v42, v21, v19, s16
	;; [unrolled: 1-line block ×4, first 2 shown]
	s_waitcnt vmcnt(1)
	v_cmp_ne_u16_sdwa s[6:7], v28, v31 src0_sel:BYTE_0 src1_sel:DWORD
	v_mfma_f32_16x16x16bf16_1k v[18:21], v[42:43], v[2:3], 0
	v_mfma_f32_16x16x16bf16_1k v[18:21], v[38:39], v[4:5], v[18:21]
	s_and_saveexec_b64 s[4:5], s[6:7]
	s_cbranch_execz .LBB941_69
; %bb.64:                               ;   in Loop: Header=BB941_15 Depth=1
	v_cmp_ne_u16_sdwa s[10:11], v28, s13 src0_sel:BYTE_0 src1_sel:DWORD
	v_mov_b32_e32 v32, 0xffff8000
	s_and_saveexec_b64 s[6:7], s[10:11]
	s_cbranch_execz .LBB941_68
; %bb.65:                               ;   in Loop: Header=BB941_15 Depth=1
	v_and_b32_e32 v23, 0x7f, v28
	v_cmp_ne_u32_e32 vcc, s14, v23
	v_mov_b32_e32 v32, 0x7f80
	s_and_saveexec_b64 s[10:11], vcc
	s_cbranch_execz .LBB941_67
; %bb.66:                               ;   in Loop: Header=BB941_15 Depth=1
	v_and_b32_e32 v30, 7, v28
	v_ffbh_u32_e32 v36, v30
	v_min_u32_e32 v36, 32, v36
	v_subrev_u32_e32 v38, 28, v36
	v_lshlrev_b64 v[38:39], v38, v[28:29]
	v_lshrrev_b32_e32 v32, 3, v23
	v_sub_u32_e32 v36, 29, v36
	v_and_b32_e32 v38, 7, v38
	v_cmp_gt_u32_e32 vcc, 8, v23
	v_cndmask_b32_e32 v23, v32, v36, vcc
	v_cndmask_b32_e32 v30, v30, v38, vcc
	v_lshlrev_b32_e32 v32, 24, v28
	v_lshlrev_b32_e32 v30, 20, v30
	v_and_b32_e32 v32, 0x80000000, v32
	v_lshl_add_u32 v23, v23, 23, v33
	v_or3_b32 v23, v32, v23, v30
	v_lshrrev_b32_e32 v32, 16, v23
.LBB941_67:                             ;   in Loop: Header=BB941_15 Depth=1
	s_or_b64 exec, exec, s[10:11]
.LBB941_68:                             ;   in Loop: Header=BB941_15 Depth=1
	s_or_b64 exec, exec, s[6:7]
.LBB941_69:                             ;   in Loop: Header=BB941_15 Depth=1
	s_or_b64 exec, exec, s[4:5]
	v_lshrrev_b16_e32 v30, 8, v28
	v_cmp_ne_u16_e32 vcc, 0, v30
	v_mov_b32_e32 v38, 0
	v_mov_b32_e32 v36, 0
	s_and_saveexec_b64 s[4:5], vcc
	s_cbranch_execz .LBB941_75
; %bb.70:                               ;   in Loop: Header=BB941_15 Depth=1
	v_cmp_ne_u16_e32 vcc, s13, v30
	v_mov_b32_e32 v36, 0xffff8000
	s_and_saveexec_b64 s[6:7], vcc
	s_cbranch_execz .LBB941_74
; %bb.71:                               ;   in Loop: Header=BB941_15 Depth=1
	v_and_b32_e32 v23, 0x7f, v30
	v_cmp_ne_u32_e32 vcc, s14, v23
	v_mov_b32_e32 v36, 0x7f80
	s_and_saveexec_b64 s[10:11], vcc
	s_cbranch_execz .LBB941_73
; %bb.72:                               ;   in Loop: Header=BB941_15 Depth=1
	v_and_b32_e32 v36, 7, v30
	v_ffbh_u32_e32 v40, v36
	v_min_u32_e32 v42, 32, v40
	v_subrev_u32_e32 v40, 28, v42
	v_lshlrev_b64 v[40:41], v40, v[30:31]
	v_lshrrev_b32_e32 v39, 3, v23
	v_sub_u32_e32 v30, 29, v42
	v_and_b32_e32 v40, 7, v40
	v_cmp_gt_u32_e32 vcc, 8, v23
	v_cndmask_b32_e32 v23, v39, v30, vcc
	v_cndmask_b32_e32 v30, v36, v40, vcc
	v_lshlrev_b32_e32 v36, 16, v28
	v_lshlrev_b32_e32 v30, 20, v30
	v_and_b32_e32 v36, 0x80000000, v36
	v_lshl_add_u32 v23, v23, 23, v33
	v_or3_b32 v23, v36, v23, v30
	v_lshrrev_b32_e32 v36, 16, v23
.LBB941_73:                             ;   in Loop: Header=BB941_15 Depth=1
	s_or_b64 exec, exec, s[10:11]
.LBB941_74:                             ;   in Loop: Header=BB941_15 Depth=1
	s_or_b64 exec, exec, s[6:7]
.LBB941_75:                             ;   in Loop: Header=BB941_15 Depth=1
	s_or_b64 exec, exec, s[4:5]
	v_lshrrev_b32_e32 v30, 16, v28
	v_cmp_ne_u16_sdwa s[6:7], v30, v31 src0_sel:BYTE_0 src1_sel:DWORD
	s_and_saveexec_b64 s[4:5], s[6:7]
	s_cbranch_execz .LBB941_81
; %bb.76:                               ;   in Loop: Header=BB941_15 Depth=1
	v_cmp_ne_u16_sdwa s[10:11], v30, s13 src0_sel:BYTE_0 src1_sel:DWORD
	v_mov_b32_e32 v38, 0xffff8000
	s_and_saveexec_b64 s[6:7], s[10:11]
	s_cbranch_execz .LBB941_80
; %bb.77:                               ;   in Loop: Header=BB941_15 Depth=1
	v_bfe_u32 v23, v28, 16, 7
	v_cmp_ne_u32_e32 vcc, s14, v23
	v_mov_b32_e32 v38, 0x7f80
	s_and_saveexec_b64 s[10:11], vcc
	s_cbranch_execz .LBB941_79
; %bb.78:                               ;   in Loop: Header=BB941_15 Depth=1
	v_and_b32_e32 v40, 7, v30
	v_ffbh_u32_e32 v38, v40
	v_min_u32_e32 v42, 32, v38
	v_subrev_u32_e32 v38, 28, v42
	v_lshlrev_b64 v[38:39], v38, v[30:31]
	v_lshrrev_b32_e32 v41, 3, v23
	v_sub_u32_e32 v39, 29, v42
	v_and_b32_e32 v38, 7, v38
	v_cmp_gt_u32_e32 vcc, 8, v23
	v_cndmask_b32_e32 v23, v41, v39, vcc
	v_cndmask_b32_e32 v38, v40, v38, vcc
	v_lshlrev_b32_e32 v30, 24, v30
	v_lshlrev_b32_e32 v38, 20, v38
	v_and_b32_e32 v30, 0x80000000, v30
	v_lshl_add_u32 v23, v23, 23, v33
	v_or3_b32 v23, v30, v23, v38
	v_lshrrev_b32_e32 v38, 16, v23
.LBB941_79:                             ;   in Loop: Header=BB941_15 Depth=1
	s_or_b64 exec, exec, s[10:11]
.LBB941_80:                             ;   in Loop: Header=BB941_15 Depth=1
	s_or_b64 exec, exec, s[6:7]
.LBB941_81:                             ;   in Loop: Header=BB941_15 Depth=1
	s_or_b64 exec, exec, s[4:5]
	v_cmp_lt_u32_e32 vcc, s15, v28
	v_mov_b32_e32 v39, 0
	v_mov_b32_e32 v40, 0
	s_and_saveexec_b64 s[4:5], vcc
	s_cbranch_execz .LBB941_87
; %bb.82:                               ;   in Loop: Header=BB941_15 Depth=1
	v_lshrrev_b32_e32 v30, 24, v28
	v_cmp_ne_u32_e32 vcc, s13, v30
	v_mov_b32_e32 v40, 0xffff8000
	s_and_saveexec_b64 s[6:7], vcc
	s_cbranch_execz .LBB941_86
; %bb.83:                               ;   in Loop: Header=BB941_15 Depth=1
	v_bfe_u32 v23, v28, 24, 7
	v_cmp_ne_u32_e32 vcc, s14, v23
	v_mov_b32_e32 v40, 0x7f80
	s_and_saveexec_b64 s[10:11], vcc
	s_cbranch_execz .LBB941_85
; %bb.84:                               ;   in Loop: Header=BB941_15 Depth=1
	v_and_b32_e32 v28, 7, v30
	v_ffbh_u32_e32 v40, v28
	v_min_u32_e32 v43, 32, v40
	v_subrev_u32_e32 v40, 28, v43
	v_lshlrev_b64 v[40:41], v40, v[30:31]
	v_lshrrev_b32_e32 v42, 3, v23
	v_sub_u32_e32 v41, 29, v43
	v_and_b32_e32 v40, 7, v40
	v_cmp_gt_u32_e32 vcc, 8, v23
	v_cndmask_b32_e32 v23, v42, v41, vcc
	v_cndmask_b32_e32 v28, v28, v40, vcc
	v_lshlrev_b32_e32 v30, 24, v30
	v_lshlrev_b32_e32 v28, 20, v28
	v_and_b32_e32 v30, 0x80000000, v30
	v_lshl_add_u32 v23, v23, 23, v33
	v_or3_b32 v23, v30, v23, v28
	v_lshrrev_b32_e32 v40, 16, v23
.LBB941_85:                             ;   in Loop: Header=BB941_15 Depth=1
	s_or_b64 exec, exec, s[10:11]
.LBB941_86:                             ;   in Loop: Header=BB941_15 Depth=1
	s_or_b64 exec, exec, s[6:7]
.LBB941_87:                             ;   in Loop: Header=BB941_15 Depth=1
	s_or_b64 exec, exec, s[4:5]
	s_waitcnt vmcnt(0)
	v_cmp_ne_u16_sdwa s[6:7], v26, v31 src0_sel:BYTE_0 src1_sel:DWORD
	s_and_saveexec_b64 s[4:5], s[6:7]
	s_cbranch_execz .LBB941_93
; %bb.88:                               ;   in Loop: Header=BB941_15 Depth=1
	v_cmp_ne_u16_sdwa s[10:11], v26, s13 src0_sel:BYTE_0 src1_sel:DWORD
	v_mov_b32_e32 v39, 0xffff8000
	s_and_saveexec_b64 s[6:7], s[10:11]
	s_cbranch_execz .LBB941_92
; %bb.89:                               ;   in Loop: Header=BB941_15 Depth=1
	v_and_b32_e32 v23, 0x7f, v26
	v_cmp_ne_u32_e32 vcc, s14, v23
	v_mov_b32_e32 v39, 0x7f80
	s_and_saveexec_b64 s[10:11], vcc
	s_cbranch_execz .LBB941_91
; %bb.90:                               ;   in Loop: Header=BB941_15 Depth=1
	v_and_b32_e32 v28, 7, v26
	v_ffbh_u32_e32 v39, v28
	v_min_u32_e32 v39, 32, v39
	v_subrev_u32_e32 v41, 28, v39
	v_lshlrev_b64 v[42:43], v41, v[26:27]
	v_lshrrev_b32_e32 v30, 3, v23
	v_sub_u32_e32 v39, 29, v39
	v_and_b32_e32 v41, 7, v42
	v_cmp_gt_u32_e32 vcc, 8, v23
	v_cndmask_b32_e32 v23, v30, v39, vcc
	v_cndmask_b32_e32 v28, v28, v41, vcc
	v_lshlrev_b32_e32 v30, 24, v26
	v_lshlrev_b32_e32 v28, 20, v28
	v_and_b32_e32 v30, 0x80000000, v30
	v_lshl_add_u32 v23, v23, 23, v33
	v_or3_b32 v23, v30, v23, v28
	v_lshrrev_b32_e32 v39, 16, v23
.LBB941_91:                             ;   in Loop: Header=BB941_15 Depth=1
	s_or_b64 exec, exec, s[10:11]
.LBB941_92:                             ;   in Loop: Header=BB941_15 Depth=1
	s_or_b64 exec, exec, s[6:7]
.LBB941_93:                             ;   in Loop: Header=BB941_15 Depth=1
	s_or_b64 exec, exec, s[4:5]
	v_lshrrev_b16_e32 v28, 8, v26
	v_cmp_ne_u16_e32 vcc, 0, v28
	v_mov_b32_e32 v42, 0
	v_mov_b32_e32 v41, 0
	s_and_saveexec_b64 s[4:5], vcc
	s_cbranch_execz .LBB941_99
; %bb.94:                               ;   in Loop: Header=BB941_15 Depth=1
	v_cmp_ne_u16_e32 vcc, s13, v28
	v_mov_b32_e32 v41, 0xffff8000
	s_and_saveexec_b64 s[6:7], vcc
	s_cbranch_execz .LBB941_98
; %bb.95:                               ;   in Loop: Header=BB941_15 Depth=1
	v_and_b32_e32 v23, 0x7f, v28
	v_cmp_ne_u32_e32 vcc, s14, v23
	v_mov_b32_e32 v41, 0x7f80
	s_and_saveexec_b64 s[10:11], vcc
	s_cbranch_execz .LBB941_97
; %bb.96:                               ;   in Loop: Header=BB941_15 Depth=1
	v_and_b32_e32 v30, 7, v28
	v_ffbh_u32_e32 v43, v30
	v_min_u32_e32 v43, 32, v43
	v_subrev_u32_e32 v44, 28, v43
	v_lshlrev_b64 v[44:45], v44, v[28:29]
	v_lshrrev_b32_e32 v41, 3, v23
	v_sub_u32_e32 v28, 29, v43
	v_and_b32_e32 v43, 7, v44
	v_cmp_gt_u32_e32 vcc, 8, v23
	v_cndmask_b32_e32 v23, v41, v28, vcc
	v_cndmask_b32_e32 v28, v30, v43, vcc
	v_lshlrev_b32_e32 v30, 16, v26
	v_lshlrev_b32_e32 v28, 20, v28
	v_and_b32_e32 v30, 0x80000000, v30
	v_lshl_add_u32 v23, v23, 23, v33
	v_or3_b32 v23, v30, v23, v28
	v_lshrrev_b32_e32 v41, 16, v23
.LBB941_97:                             ;   in Loop: Header=BB941_15 Depth=1
	s_or_b64 exec, exec, s[10:11]
.LBB941_98:                             ;   in Loop: Header=BB941_15 Depth=1
	s_or_b64 exec, exec, s[6:7]
.LBB941_99:                             ;   in Loop: Header=BB941_15 Depth=1
	s_or_b64 exec, exec, s[4:5]
	v_lshrrev_b32_e32 v28, 16, v26
	v_cmp_ne_u16_sdwa s[6:7], v28, v31 src0_sel:BYTE_0 src1_sel:DWORD
	s_and_saveexec_b64 s[4:5], s[6:7]
	s_cbranch_execz .LBB941_105
; %bb.100:                              ;   in Loop: Header=BB941_15 Depth=1
	v_cmp_ne_u16_sdwa s[10:11], v28, s13 src0_sel:BYTE_0 src1_sel:DWORD
	v_mov_b32_e32 v42, 0xffff8000
	s_and_saveexec_b64 s[6:7], s[10:11]
	s_cbranch_execz .LBB941_104
; %bb.101:                              ;   in Loop: Header=BB941_15 Depth=1
	v_bfe_u32 v23, v26, 16, 7
	v_cmp_ne_u32_e32 vcc, s14, v23
	v_mov_b32_e32 v42, 0x7f80
	s_and_saveexec_b64 s[10:11], vcc
	s_cbranch_execz .LBB941_103
; %bb.102:                              ;   in Loop: Header=BB941_15 Depth=1
	v_and_b32_e32 v30, 7, v28
	v_ffbh_u32_e32 v42, v30
	v_min_u32_e32 v45, 32, v42
	v_subrev_u32_e32 v42, 28, v45
	v_lshlrev_b64 v[42:43], v42, v[28:29]
	v_lshrrev_b32_e32 v44, 3, v23
	v_sub_u32_e32 v43, 29, v45
	v_and_b32_e32 v42, 7, v42
	v_cmp_gt_u32_e32 vcc, 8, v23
	v_cndmask_b32_e32 v23, v44, v43, vcc
	v_cndmask_b32_e32 v30, v30, v42, vcc
	v_lshlrev_b32_e32 v28, 24, v28
	v_lshlrev_b32_e32 v30, 20, v30
	v_and_b32_e32 v28, 0x80000000, v28
	v_lshl_add_u32 v23, v23, 23, v33
	v_or3_b32 v23, v28, v23, v30
	v_lshrrev_b32_e32 v42, 16, v23
.LBB941_103:                            ;   in Loop: Header=BB941_15 Depth=1
	s_or_b64 exec, exec, s[10:11]
.LBB941_104:                            ;   in Loop: Header=BB941_15 Depth=1
	s_or_b64 exec, exec, s[6:7]
.LBB941_105:                            ;   in Loop: Header=BB941_15 Depth=1
	s_or_b64 exec, exec, s[4:5]
	v_cmp_lt_u32_e32 vcc, s15, v26
	v_mov_b32_e32 v23, 0
	v_mov_b32_e32 v43, 0
	s_and_saveexec_b64 s[4:5], vcc
	s_cbranch_execz .LBB941_111
; %bb.106:                              ;   in Loop: Header=BB941_15 Depth=1
	v_lshrrev_b32_e32 v28, 24, v26
	v_cmp_ne_u32_e32 vcc, s13, v28
	v_mov_b32_e32 v43, 0xffff8000
	s_and_saveexec_b64 s[6:7], vcc
	s_cbranch_execz .LBB941_110
; %bb.107:                              ;   in Loop: Header=BB941_15 Depth=1
	v_bfe_u32 v26, v26, 24, 7
	v_cmp_ne_u32_e32 vcc, s14, v26
	v_mov_b32_e32 v43, 0x7f80
	s_and_saveexec_b64 s[10:11], vcc
	s_cbranch_execz .LBB941_109
; %bb.108:                              ;   in Loop: Header=BB941_15 Depth=1
	v_and_b32_e32 v30, 7, v28
	v_ffbh_u32_e32 v44, v30
	v_min_u32_e32 v60, 32, v44
	v_subrev_u32_e32 v44, 28, v60
	v_lshlrev_b64 v[44:45], v44, v[28:29]
	v_lshrrev_b32_e32 v43, 3, v26
	v_sub_u32_e32 v45, 29, v60
	v_and_b32_e32 v44, 7, v44
	v_cmp_gt_u32_e32 vcc, 8, v26
	v_cndmask_b32_e32 v26, v43, v45, vcc
	v_cndmask_b32_e32 v30, v30, v44, vcc
	v_lshlrev_b32_e32 v28, 24, v28
	v_lshlrev_b32_e32 v30, 20, v30
	v_and_b32_e32 v28, 0x80000000, v28
	v_lshl_add_u32 v26, v26, 23, v33
	v_or3_b32 v26, v28, v26, v30
	v_lshrrev_b32_e32 v43, 16, v26
.LBB941_109:                            ;   in Loop: Header=BB941_15 Depth=1
	s_or_b64 exec, exec, s[10:11]
.LBB941_110:                            ;   in Loop: Header=BB941_15 Depth=1
	s_or_b64 exec, exec, s[6:7]
.LBB941_111:                            ;   in Loop: Header=BB941_15 Depth=1
	s_or_b64 exec, exec, s[4:5]
	v_perm_b32 v44, v36, v32, s16
	buffer_load_dword v32, v27, s[0:3], 0 offen offset:16
	buffer_load_dword v30, v27, s[0:3], 0 offen offset:20
	;; [unrolled: 1-line block ×4, first 2 shown]
	v_perm_b32 v45, v40, v38, s16
	v_perm_b32 v43, v43, v42, s16
	;; [unrolled: 1-line block ×3, first 2 shown]
	v_mfma_f32_16x16x16bf16_1k v[18:21], v[44:45], v[6:7], v[18:21]
	s_waitcnt vmcnt(3)
	v_cmp_ne_u16_sdwa s[6:7], v32, v31 src0_sel:BYTE_0 src1_sel:DWORD
	v_mfma_f32_16x16x16bf16_1k v[18:21], v[42:43], v[8:9], v[18:21]
	s_and_saveexec_b64 s[4:5], s[6:7]
	s_cbranch_execz .LBB941_117
; %bb.112:                              ;   in Loop: Header=BB941_15 Depth=1
	v_cmp_ne_u16_sdwa s[10:11], v32, s13 src0_sel:BYTE_0 src1_sel:DWORD
	v_mov_b32_e32 v23, 0xffff8000
	s_and_saveexec_b64 s[6:7], s[10:11]
	s_cbranch_execz .LBB941_116
; %bb.113:                              ;   in Loop: Header=BB941_15 Depth=1
	v_and_b32_e32 v36, 0x7f, v32
	v_cmp_ne_u32_e32 vcc, s14, v36
	v_mov_b32_e32 v23, 0x7f80
	s_and_saveexec_b64 s[10:11], vcc
	s_cbranch_execz .LBB941_115
; %bb.114:                              ;   in Loop: Header=BB941_15 Depth=1
	v_and_b32_e32 v23, 7, v32
	v_ffbh_u32_e32 v38, v23
	v_min_u32_e32 v41, 32, v38
	v_subrev_u32_e32 v38, 28, v41
	v_lshlrev_b64 v[38:39], v38, v[32:33]
	v_lshrrev_b32_e32 v40, 3, v36
	v_sub_u32_e32 v39, 29, v41
	v_and_b32_e32 v38, 7, v38
	v_cmp_gt_u32_e32 vcc, 8, v36
	v_cndmask_b32_e32 v36, v40, v39, vcc
	v_cndmask_b32_e32 v23, v23, v38, vcc
	v_lshlrev_b32_e32 v38, 24, v32
	v_lshlrev_b32_e32 v23, 20, v23
	v_and_b32_e32 v38, 0x80000000, v38
	v_lshl_add_u32 v36, v36, 23, v33
	v_or3_b32 v23, v38, v36, v23
	v_lshrrev_b32_e32 v23, 16, v23
.LBB941_115:                            ;   in Loop: Header=BB941_15 Depth=1
	s_or_b64 exec, exec, s[10:11]
.LBB941_116:                            ;   in Loop: Header=BB941_15 Depth=1
	s_or_b64 exec, exec, s[6:7]
.LBB941_117:                            ;   in Loop: Header=BB941_15 Depth=1
	s_or_b64 exec, exec, s[4:5]
	v_lshrrev_b16_e32 v36, 8, v32
	v_cmp_ne_u16_e32 vcc, 0, v36
	v_mov_b32_e32 v39, 0
	v_mov_b32_e32 v38, 0
	s_and_saveexec_b64 s[4:5], vcc
	s_cbranch_execz .LBB941_123
; %bb.118:                              ;   in Loop: Header=BB941_15 Depth=1
	v_cmp_ne_u16_e32 vcc, s13, v36
	v_mov_b32_e32 v38, 0xffff8000
	s_and_saveexec_b64 s[6:7], vcc
	s_cbranch_execz .LBB941_122
; %bb.119:                              ;   in Loop: Header=BB941_15 Depth=1
	v_and_b32_e32 v40, 0x7f, v36
	v_cmp_ne_u32_e32 vcc, s14, v40
	v_mov_b32_e32 v38, 0x7f80
	s_and_saveexec_b64 s[10:11], vcc
	s_cbranch_execz .LBB941_121
; %bb.120:                              ;   in Loop: Header=BB941_15 Depth=1
	v_and_b32_e32 v38, 7, v36
	v_ffbh_u32_e32 v42, v38
	v_min_u32_e32 v44, 32, v42
	v_subrev_u32_e32 v42, 28, v44
	v_lshlrev_b64 v[42:43], v42, v[36:37]
	v_lshrrev_b32_e32 v41, 3, v40
	v_sub_u32_e32 v36, 29, v44
	v_and_b32_e32 v42, 7, v42
	v_cmp_gt_u32_e32 vcc, 8, v40
	v_cndmask_b32_e32 v36, v41, v36, vcc
	v_cndmask_b32_e32 v38, v38, v42, vcc
	v_lshlrev_b32_e32 v40, 16, v32
	v_lshlrev_b32_e32 v38, 20, v38
	v_and_b32_e32 v40, 0x80000000, v40
	v_lshl_add_u32 v36, v36, 23, v33
	v_or3_b32 v36, v40, v36, v38
	v_lshrrev_b32_e32 v38, 16, v36
.LBB941_121:                            ;   in Loop: Header=BB941_15 Depth=1
	s_or_b64 exec, exec, s[10:11]
.LBB941_122:                            ;   in Loop: Header=BB941_15 Depth=1
	s_or_b64 exec, exec, s[6:7]
.LBB941_123:                            ;   in Loop: Header=BB941_15 Depth=1
	s_or_b64 exec, exec, s[4:5]
	v_lshrrev_b32_e32 v36, 16, v32
	v_cmp_ne_u16_sdwa s[6:7], v36, v31 src0_sel:BYTE_0 src1_sel:DWORD
	s_and_saveexec_b64 s[4:5], s[6:7]
	s_cbranch_execz .LBB941_129
; %bb.124:                              ;   in Loop: Header=BB941_15 Depth=1
	v_cmp_ne_u16_sdwa s[10:11], v36, s13 src0_sel:BYTE_0 src1_sel:DWORD
	v_mov_b32_e32 v39, 0xffff8000
	s_and_saveexec_b64 s[6:7], s[10:11]
	s_cbranch_execz .LBB941_128
; %bb.125:                              ;   in Loop: Header=BB941_15 Depth=1
	v_bfe_u32 v40, v32, 16, 7
	v_cmp_ne_u32_e32 vcc, s14, v40
	v_mov_b32_e32 v39, 0x7f80
	s_and_saveexec_b64 s[10:11], vcc
	s_cbranch_execz .LBB941_127
; %bb.126:                              ;   in Loop: Header=BB941_15 Depth=1
	v_and_b32_e32 v39, 7, v36
	v_ffbh_u32_e32 v42, v39
	v_min_u32_e32 v44, 32, v42
	v_subrev_u32_e32 v42, 28, v44
	v_lshlrev_b64 v[42:43], v42, v[36:37]
	v_lshrrev_b32_e32 v41, 3, v40
	v_sub_u32_e32 v43, 29, v44
	v_and_b32_e32 v42, 7, v42
	v_cmp_gt_u32_e32 vcc, 8, v40
	v_cndmask_b32_e32 v40, v41, v43, vcc
	v_cndmask_b32_e32 v39, v39, v42, vcc
	v_lshlrev_b32_e32 v36, 24, v36
	v_lshlrev_b32_e32 v39, 20, v39
	v_and_b32_e32 v36, 0x80000000, v36
	v_lshl_add_u32 v40, v40, 23, v33
	v_or3_b32 v36, v36, v40, v39
	v_lshrrev_b32_e32 v39, 16, v36
.LBB941_127:                            ;   in Loop: Header=BB941_15 Depth=1
	s_or_b64 exec, exec, s[10:11]
.LBB941_128:                            ;   in Loop: Header=BB941_15 Depth=1
	s_or_b64 exec, exec, s[6:7]
.LBB941_129:                            ;   in Loop: Header=BB941_15 Depth=1
	s_or_b64 exec, exec, s[4:5]
	v_cmp_lt_u32_e32 vcc, s15, v32
	v_mov_b32_e32 v40, 0
	v_mov_b32_e32 v41, 0
	s_and_saveexec_b64 s[4:5], vcc
	s_cbranch_execz .LBB941_135
; %bb.130:                              ;   in Loop: Header=BB941_15 Depth=1
	v_lshrrev_b32_e32 v36, 24, v32
	v_cmp_ne_u32_e32 vcc, s13, v36
	v_mov_b32_e32 v41, 0xffff8000
	s_and_saveexec_b64 s[6:7], vcc
	s_cbranch_execz .LBB941_134
; %bb.131:                              ;   in Loop: Header=BB941_15 Depth=1
	v_bfe_u32 v32, v32, 24, 7
	v_cmp_ne_u32_e32 vcc, s14, v32
	v_mov_b32_e32 v41, 0x7f80
	s_and_saveexec_b64 s[10:11], vcc
	s_cbranch_execz .LBB941_133
; %bb.132:                              ;   in Loop: Header=BB941_15 Depth=1
	v_and_b32_e32 v41, 7, v36
	v_ffbh_u32_e32 v42, v41
	v_min_u32_e32 v45, 32, v42
	v_subrev_u32_e32 v42, 28, v45
	v_lshlrev_b64 v[42:43], v42, v[36:37]
	v_lshrrev_b32_e32 v44, 3, v32
	v_sub_u32_e32 v43, 29, v45
	v_and_b32_e32 v42, 7, v42
	v_cmp_gt_u32_e32 vcc, 8, v32
	v_cndmask_b32_e32 v32, v44, v43, vcc
	v_cndmask_b32_e32 v41, v41, v42, vcc
	v_lshlrev_b32_e32 v36, 24, v36
	v_lshlrev_b32_e32 v41, 20, v41
	v_and_b32_e32 v36, 0x80000000, v36
	v_lshl_add_u32 v32, v32, 23, v33
	v_or3_b32 v32, v36, v32, v41
	v_lshrrev_b32_e32 v41, 16, v32
.LBB941_133:                            ;   in Loop: Header=BB941_15 Depth=1
	s_or_b64 exec, exec, s[10:11]
.LBB941_134:                            ;   in Loop: Header=BB941_15 Depth=1
	s_or_b64 exec, exec, s[6:7]
.LBB941_135:                            ;   in Loop: Header=BB941_15 Depth=1
	s_or_b64 exec, exec, s[4:5]
	s_waitcnt vmcnt(2)
	v_cmp_ne_u16_sdwa s[6:7], v30, v31 src0_sel:BYTE_0 src1_sel:DWORD
	s_and_saveexec_b64 s[4:5], s[6:7]
	s_cbranch_execz .LBB941_141
; %bb.136:                              ;   in Loop: Header=BB941_15 Depth=1
	v_cmp_ne_u16_sdwa s[10:11], v30, s13 src0_sel:BYTE_0 src1_sel:DWORD
	v_mov_b32_e32 v40, 0xffff8000
	s_and_saveexec_b64 s[6:7], s[10:11]
	s_cbranch_execz .LBB941_140
; %bb.137:                              ;   in Loop: Header=BB941_15 Depth=1
	v_and_b32_e32 v32, 0x7f, v30
	v_cmp_ne_u32_e32 vcc, s14, v32
	v_mov_b32_e32 v40, 0x7f80
	s_and_saveexec_b64 s[10:11], vcc
	s_cbranch_execz .LBB941_139
; %bb.138:                              ;   in Loop: Header=BB941_15 Depth=1
	v_and_b32_e32 v36, 7, v30
	v_ffbh_u32_e32 v42, v36
	v_min_u32_e32 v44, 32, v42
	v_subrev_u32_e32 v42, 28, v44
	v_lshlrev_b64 v[42:43], v42, v[30:31]
	v_lshrrev_b32_e32 v40, 3, v32
	v_sub_u32_e32 v43, 29, v44
	v_and_b32_e32 v42, 7, v42
	v_cmp_gt_u32_e32 vcc, 8, v32
	v_cndmask_b32_e32 v32, v40, v43, vcc
	v_cndmask_b32_e32 v36, v36, v42, vcc
	v_lshlrev_b32_e32 v40, 24, v30
	v_lshlrev_b32_e32 v36, 20, v36
	v_and_b32_e32 v40, 0x80000000, v40
	v_lshl_add_u32 v32, v32, 23, v33
	v_or3_b32 v32, v40, v32, v36
	v_lshrrev_b32_e32 v40, 16, v32
.LBB941_139:                            ;   in Loop: Header=BB941_15 Depth=1
	s_or_b64 exec, exec, s[10:11]
.LBB941_140:                            ;   in Loop: Header=BB941_15 Depth=1
	s_or_b64 exec, exec, s[6:7]
.LBB941_141:                            ;   in Loop: Header=BB941_15 Depth=1
	s_or_b64 exec, exec, s[4:5]
	v_lshrrev_b16_e32 v32, 8, v30
	v_cmp_ne_u16_e32 vcc, 0, v32
	v_mov_b32_e32 v43, 0
	v_mov_b32_e32 v42, 0
	s_and_saveexec_b64 s[4:5], vcc
	s_cbranch_execz .LBB941_147
; %bb.142:                              ;   in Loop: Header=BB941_15 Depth=1
	v_cmp_ne_u16_e32 vcc, s13, v32
	v_mov_b32_e32 v42, 0xffff8000
	s_and_saveexec_b64 s[6:7], vcc
	s_cbranch_execz .LBB941_146
; %bb.143:                              ;   in Loop: Header=BB941_15 Depth=1
	v_and_b32_e32 v36, 0x7f, v32
	v_cmp_ne_u32_e32 vcc, s14, v36
	v_mov_b32_e32 v42, 0x7f80
	s_and_saveexec_b64 s[10:11], vcc
	s_cbranch_execz .LBB941_145
; %bb.144:                              ;   in Loop: Header=BB941_15 Depth=1
	v_and_b32_e32 v42, 7, v32
	v_ffbh_u32_e32 v44, v42
	v_min_u32_e32 v61, 32, v44
	v_subrev_u32_e32 v44, 28, v61
	v_lshlrev_b64 v[44:45], v44, v[32:33]
	v_lshrrev_b32_e32 v60, 3, v36
	v_sub_u32_e32 v32, 29, v61
	v_and_b32_e32 v44, 7, v44
	v_cmp_gt_u32_e32 vcc, 8, v36
	v_cndmask_b32_e32 v32, v60, v32, vcc
	v_cndmask_b32_e32 v36, v42, v44, vcc
	v_lshlrev_b32_e32 v42, 16, v30
	v_lshlrev_b32_e32 v36, 20, v36
	v_and_b32_e32 v42, 0x80000000, v42
	v_lshl_add_u32 v32, v32, 23, v33
	v_or3_b32 v32, v42, v32, v36
	v_lshrrev_b32_e32 v42, 16, v32
.LBB941_145:                            ;   in Loop: Header=BB941_15 Depth=1
	s_or_b64 exec, exec, s[10:11]
.LBB941_146:                            ;   in Loop: Header=BB941_15 Depth=1
	s_or_b64 exec, exec, s[6:7]
.LBB941_147:                            ;   in Loop: Header=BB941_15 Depth=1
	s_or_b64 exec, exec, s[4:5]
	v_lshrrev_b32_e32 v32, 16, v30
	v_cmp_ne_u16_sdwa s[6:7], v32, v31 src0_sel:BYTE_0 src1_sel:DWORD
	s_and_saveexec_b64 s[4:5], s[6:7]
	s_cbranch_execz .LBB941_153
; %bb.148:                              ;   in Loop: Header=BB941_15 Depth=1
	v_cmp_ne_u16_sdwa s[10:11], v32, s13 src0_sel:BYTE_0 src1_sel:DWORD
	v_mov_b32_e32 v43, 0xffff8000
	s_and_saveexec_b64 s[6:7], s[10:11]
	s_cbranch_execz .LBB941_152
; %bb.149:                              ;   in Loop: Header=BB941_15 Depth=1
	v_bfe_u32 v36, v30, 16, 7
	v_cmp_ne_u32_e32 vcc, s14, v36
	v_mov_b32_e32 v43, 0x7f80
	s_and_saveexec_b64 s[10:11], vcc
	s_cbranch_execz .LBB941_151
; %bb.150:                              ;   in Loop: Header=BB941_15 Depth=1
	v_and_b32_e32 v43, 7, v32
	v_ffbh_u32_e32 v44, v43
	v_min_u32_e32 v61, 32, v44
	v_subrev_u32_e32 v44, 28, v61
	v_lshlrev_b64 v[44:45], v44, v[32:33]
	v_lshrrev_b32_e32 v60, 3, v36
	v_sub_u32_e32 v45, 29, v61
	v_and_b32_e32 v44, 7, v44
	v_cmp_gt_u32_e32 vcc, 8, v36
	v_cndmask_b32_e32 v36, v60, v45, vcc
	v_cndmask_b32_e32 v43, v43, v44, vcc
	v_lshlrev_b32_e32 v32, 24, v32
	v_lshlrev_b32_e32 v43, 20, v43
	v_and_b32_e32 v32, 0x80000000, v32
	v_lshl_add_u32 v36, v36, 23, v33
	v_or3_b32 v32, v32, v36, v43
	v_lshrrev_b32_e32 v43, 16, v32
.LBB941_151:                            ;   in Loop: Header=BB941_15 Depth=1
	s_or_b64 exec, exec, s[10:11]
.LBB941_152:                            ;   in Loop: Header=BB941_15 Depth=1
	s_or_b64 exec, exec, s[6:7]
.LBB941_153:                            ;   in Loop: Header=BB941_15 Depth=1
	s_or_b64 exec, exec, s[4:5]
	v_cmp_lt_u32_e32 vcc, s15, v30
	v_mov_b32_e32 v36, 0
	v_mov_b32_e32 v44, 0
	s_and_saveexec_b64 s[4:5], vcc
	s_cbranch_execz .LBB941_159
; %bb.154:                              ;   in Loop: Header=BB941_15 Depth=1
	v_lshrrev_b32_e32 v32, 24, v30
	v_cmp_ne_u32_e32 vcc, s13, v32
	v_mov_b32_e32 v44, 0xffff8000
	s_and_saveexec_b64 s[6:7], vcc
	s_cbranch_execz .LBB941_158
; %bb.155:                              ;   in Loop: Header=BB941_15 Depth=1
	v_bfe_u32 v30, v30, 24, 7
	v_cmp_ne_u32_e32 vcc, s14, v30
	v_mov_b32_e32 v44, 0x7f80
	s_and_saveexec_b64 s[10:11], vcc
	s_cbranch_execz .LBB941_157
; %bb.156:                              ;   in Loop: Header=BB941_15 Depth=1
	v_and_b32_e32 v60, 7, v32
	v_ffbh_u32_e32 v44, v60
	v_min_u32_e32 v62, 32, v44
	v_subrev_u32_e32 v44, 28, v62
	v_lshlrev_b64 v[44:45], v44, v[32:33]
	v_lshrrev_b32_e32 v61, 3, v30
	v_sub_u32_e32 v45, 29, v62
	v_and_b32_e32 v44, 7, v44
	v_cmp_gt_u32_e32 vcc, 8, v30
	v_cndmask_b32_e32 v30, v61, v45, vcc
	v_cndmask_b32_e32 v44, v60, v44, vcc
	v_lshlrev_b32_e32 v32, 24, v32
	v_lshlrev_b32_e32 v44, 20, v44
	v_and_b32_e32 v32, 0x80000000, v32
	v_lshl_add_u32 v30, v30, 23, v33
	v_or3_b32 v30, v32, v30, v44
	v_lshrrev_b32_e32 v44, 16, v30
.LBB941_157:                            ;   in Loop: Header=BB941_15 Depth=1
	s_or_b64 exec, exec, s[10:11]
.LBB941_158:                            ;   in Loop: Header=BB941_15 Depth=1
	s_or_b64 exec, exec, s[6:7]
.LBB941_159:                            ;   in Loop: Header=BB941_15 Depth=1
	s_or_b64 exec, exec, s[4:5]
	v_perm_b32 v39, v41, v39, s16
	v_perm_b32 v38, v38, v23, s16
	s_waitcnt vmcnt(1)
	v_cmp_ne_u16_sdwa s[6:7], v28, v31 src0_sel:BYTE_0 src1_sel:DWORD
	v_mfma_f32_16x16x16bf16_1k v[18:21], v[38:39], v[10:11], v[18:21]
	v_perm_b32 v39, v44, v43, s16
	v_perm_b32 v38, v42, v40, s16
	s_nop 1
	v_mfma_f32_16x16x16bf16_1k v[18:21], v[38:39], v[12:13], v[18:21]
	s_and_saveexec_b64 s[4:5], s[6:7]
	s_cbranch_execz .LBB941_165
; %bb.160:                              ;   in Loop: Header=BB941_15 Depth=1
	v_cmp_ne_u16_sdwa s[10:11], v28, s13 src0_sel:BYTE_0 src1_sel:DWORD
	v_mov_b32_e32 v36, 0xffff8000
	s_and_saveexec_b64 s[6:7], s[10:11]
	s_cbranch_execz .LBB941_164
; %bb.161:                              ;   in Loop: Header=BB941_15 Depth=1
	v_and_b32_e32 v23, 0x7f, v28
	v_cmp_ne_u32_e32 vcc, s14, v23
	v_mov_b32_e32 v36, 0x7f80
	s_and_saveexec_b64 s[10:11], vcc
	s_cbranch_execz .LBB941_163
; %bb.162:                              ;   in Loop: Header=BB941_15 Depth=1
	v_and_b32_e32 v30, 7, v28
	v_ffbh_u32_e32 v36, v30
	v_min_u32_e32 v36, 32, v36
	v_subrev_u32_e32 v38, 28, v36
	v_lshlrev_b64 v[38:39], v38, v[28:29]
	v_lshrrev_b32_e32 v32, 3, v23
	v_sub_u32_e32 v36, 29, v36
	v_and_b32_e32 v38, 7, v38
	v_cmp_gt_u32_e32 vcc, 8, v23
	v_cndmask_b32_e32 v23, v32, v36, vcc
	v_cndmask_b32_e32 v30, v30, v38, vcc
	v_lshlrev_b32_e32 v32, 24, v28
	v_lshlrev_b32_e32 v30, 20, v30
	v_and_b32_e32 v32, 0x80000000, v32
	v_lshl_add_u32 v23, v23, 23, v33
	v_or3_b32 v23, v32, v23, v30
	v_lshrrev_b32_e32 v36, 16, v23
.LBB941_163:                            ;   in Loop: Header=BB941_15 Depth=1
	s_or_b64 exec, exec, s[10:11]
.LBB941_164:                            ;   in Loop: Header=BB941_15 Depth=1
	s_or_b64 exec, exec, s[6:7]
.LBB941_165:                            ;   in Loop: Header=BB941_15 Depth=1
	s_or_b64 exec, exec, s[4:5]
	v_lshrrev_b16_e32 v30, 8, v28
	v_cmp_ne_u16_e32 vcc, 0, v30
	v_mov_b32_e32 v32, 0
	v_mov_b32_e32 v23, 0
	s_and_saveexec_b64 s[4:5], vcc
	s_cbranch_execz .LBB941_171
; %bb.166:                              ;   in Loop: Header=BB941_15 Depth=1
	v_cmp_ne_u16_e32 vcc, s13, v30
	v_mov_b32_e32 v23, 0xffff8000
	s_and_saveexec_b64 s[6:7], vcc
	s_cbranch_execz .LBB941_170
; %bb.167:                              ;   in Loop: Header=BB941_15 Depth=1
	v_and_b32_e32 v38, 0x7f, v30
	v_cmp_ne_u32_e32 vcc, s14, v38
	v_mov_b32_e32 v23, 0x7f80
	s_and_saveexec_b64 s[10:11], vcc
	s_cbranch_execz .LBB941_169
; %bb.168:                              ;   in Loop: Header=BB941_15 Depth=1
	v_and_b32_e32 v23, 7, v30
	v_ffbh_u32_e32 v40, v23
	v_min_u32_e32 v42, 32, v40
	v_subrev_u32_e32 v40, 28, v42
	v_lshlrev_b64 v[40:41], v40, v[30:31]
	v_lshrrev_b32_e32 v39, 3, v38
	v_sub_u32_e32 v30, 29, v42
	v_and_b32_e32 v40, 7, v40
	v_cmp_gt_u32_e32 vcc, 8, v38
	v_cndmask_b32_e32 v30, v39, v30, vcc
	v_cndmask_b32_e32 v23, v23, v40, vcc
	v_lshlrev_b32_e32 v38, 16, v28
	v_lshlrev_b32_e32 v23, 20, v23
	v_and_b32_e32 v38, 0x80000000, v38
	v_lshl_add_u32 v30, v30, 23, v33
	v_or3_b32 v23, v38, v30, v23
	v_lshrrev_b32_e32 v23, 16, v23
.LBB941_169:                            ;   in Loop: Header=BB941_15 Depth=1
	s_or_b64 exec, exec, s[10:11]
.LBB941_170:                            ;   in Loop: Header=BB941_15 Depth=1
	s_or_b64 exec, exec, s[6:7]
.LBB941_171:                            ;   in Loop: Header=BB941_15 Depth=1
	s_or_b64 exec, exec, s[4:5]
	v_lshrrev_b32_e32 v30, 16, v28
	v_cmp_ne_u16_sdwa s[6:7], v30, v31 src0_sel:BYTE_0 src1_sel:DWORD
	s_and_saveexec_b64 s[4:5], s[6:7]
	s_cbranch_execz .LBB941_177
; %bb.172:                              ;   in Loop: Header=BB941_15 Depth=1
	v_cmp_ne_u16_sdwa s[10:11], v30, s13 src0_sel:BYTE_0 src1_sel:DWORD
	v_mov_b32_e32 v32, 0xffff8000
	s_and_saveexec_b64 s[6:7], s[10:11]
	s_cbranch_execz .LBB941_176
; %bb.173:                              ;   in Loop: Header=BB941_15 Depth=1
	v_bfe_u32 v38, v28, 16, 7
	v_cmp_ne_u32_e32 vcc, s14, v38
	v_mov_b32_e32 v32, 0x7f80
	s_and_saveexec_b64 s[10:11], vcc
	s_cbranch_execz .LBB941_175
; %bb.174:                              ;   in Loop: Header=BB941_15 Depth=1
	v_and_b32_e32 v32, 7, v30
	v_ffbh_u32_e32 v40, v32
	v_min_u32_e32 v42, 32, v40
	v_subrev_u32_e32 v40, 28, v42
	v_lshlrev_b64 v[40:41], v40, v[30:31]
	v_lshrrev_b32_e32 v39, 3, v38
	v_sub_u32_e32 v41, 29, v42
	v_and_b32_e32 v40, 7, v40
	v_cmp_gt_u32_e32 vcc, 8, v38
	v_cndmask_b32_e32 v38, v39, v41, vcc
	v_cndmask_b32_e32 v32, v32, v40, vcc
	v_lshlrev_b32_e32 v30, 24, v30
	v_lshlrev_b32_e32 v32, 20, v32
	v_and_b32_e32 v30, 0x80000000, v30
	v_lshl_add_u32 v38, v38, 23, v33
	v_or3_b32 v30, v30, v38, v32
	v_lshrrev_b32_e32 v32, 16, v30
.LBB941_175:                            ;   in Loop: Header=BB941_15 Depth=1
	s_or_b64 exec, exec, s[10:11]
.LBB941_176:                            ;   in Loop: Header=BB941_15 Depth=1
	s_or_b64 exec, exec, s[6:7]
.LBB941_177:                            ;   in Loop: Header=BB941_15 Depth=1
	s_or_b64 exec, exec, s[4:5]
	v_cmp_lt_u32_e32 vcc, s15, v28
	v_mov_b32_e32 v38, 0
	v_mov_b32_e32 v39, 0
	s_and_saveexec_b64 s[4:5], vcc
	s_cbranch_execz .LBB941_183
; %bb.178:                              ;   in Loop: Header=BB941_15 Depth=1
	v_lshrrev_b32_e32 v30, 24, v28
	v_cmp_ne_u32_e32 vcc, s13, v30
	v_mov_b32_e32 v39, 0xffff8000
	s_and_saveexec_b64 s[6:7], vcc
	s_cbranch_execz .LBB941_182
; %bb.179:                              ;   in Loop: Header=BB941_15 Depth=1
	v_bfe_u32 v28, v28, 24, 7
	v_cmp_ne_u32_e32 vcc, s14, v28
	v_mov_b32_e32 v39, 0x7f80
	s_and_saveexec_b64 s[10:11], vcc
	s_cbranch_execz .LBB941_181
; %bb.180:                              ;   in Loop: Header=BB941_15 Depth=1
	v_and_b32_e32 v39, 7, v30
	v_ffbh_u32_e32 v40, v39
	v_min_u32_e32 v43, 32, v40
	v_subrev_u32_e32 v40, 28, v43
	v_lshlrev_b64 v[40:41], v40, v[30:31]
	v_lshrrev_b32_e32 v42, 3, v28
	v_sub_u32_e32 v41, 29, v43
	v_and_b32_e32 v40, 7, v40
	v_cmp_gt_u32_e32 vcc, 8, v28
	v_cndmask_b32_e32 v28, v42, v41, vcc
	v_cndmask_b32_e32 v39, v39, v40, vcc
	v_lshlrev_b32_e32 v30, 24, v30
	v_lshlrev_b32_e32 v39, 20, v39
	v_and_b32_e32 v30, 0x80000000, v30
	v_lshl_add_u32 v28, v28, 23, v33
	v_or3_b32 v28, v30, v28, v39
	v_lshrrev_b32_e32 v39, 16, v28
.LBB941_181:                            ;   in Loop: Header=BB941_15 Depth=1
	s_or_b64 exec, exec, s[10:11]
.LBB941_182:                            ;   in Loop: Header=BB941_15 Depth=1
	s_or_b64 exec, exec, s[6:7]
.LBB941_183:                            ;   in Loop: Header=BB941_15 Depth=1
	s_or_b64 exec, exec, s[4:5]
	s_waitcnt vmcnt(0)
	v_cmp_ne_u16_sdwa s[6:7], v26, v31 src0_sel:BYTE_0 src1_sel:DWORD
	s_and_saveexec_b64 s[4:5], s[6:7]
	s_cbranch_execz .LBB941_189
; %bb.184:                              ;   in Loop: Header=BB941_15 Depth=1
	v_cmp_ne_u16_sdwa s[10:11], v26, s13 src0_sel:BYTE_0 src1_sel:DWORD
	v_mov_b32_e32 v38, 0xffff8000
	s_and_saveexec_b64 s[6:7], s[10:11]
	s_cbranch_execz .LBB941_188
; %bb.185:                              ;   in Loop: Header=BB941_15 Depth=1
	v_and_b32_e32 v28, 0x7f, v26
	v_cmp_ne_u32_e32 vcc, s14, v28
	v_mov_b32_e32 v38, 0x7f80
	s_and_saveexec_b64 s[10:11], vcc
	s_cbranch_execz .LBB941_187
; %bb.186:                              ;   in Loop: Header=BB941_15 Depth=1
	v_and_b32_e32 v30, 7, v26
	v_ffbh_u32_e32 v40, v30
	v_min_u32_e32 v42, 32, v40
	v_subrev_u32_e32 v40, 28, v42
	v_lshlrev_b64 v[40:41], v40, v[26:27]
	v_lshrrev_b32_e32 v38, 3, v28
	v_sub_u32_e32 v41, 29, v42
	v_and_b32_e32 v40, 7, v40
	v_cmp_gt_u32_e32 vcc, 8, v28
	v_cndmask_b32_e32 v28, v38, v41, vcc
	v_cndmask_b32_e32 v30, v30, v40, vcc
	v_lshlrev_b32_e32 v38, 24, v26
	v_lshlrev_b32_e32 v30, 20, v30
	v_and_b32_e32 v38, 0x80000000, v38
	v_lshl_add_u32 v28, v28, 23, v33
	v_or3_b32 v28, v38, v28, v30
	v_lshrrev_b32_e32 v38, 16, v28
.LBB941_187:                            ;   in Loop: Header=BB941_15 Depth=1
	s_or_b64 exec, exec, s[10:11]
.LBB941_188:                            ;   in Loop: Header=BB941_15 Depth=1
	s_or_b64 exec, exec, s[6:7]
.LBB941_189:                            ;   in Loop: Header=BB941_15 Depth=1
	s_or_b64 exec, exec, s[4:5]
	v_lshrrev_b16_e32 v28, 8, v26
	v_cmp_ne_u16_e32 vcc, 0, v28
	v_mov_b32_e32 v40, 0
	v_mov_b32_e32 v30, 0
	s_and_saveexec_b64 s[4:5], vcc
	s_cbranch_execz .LBB941_195
; %bb.190:                              ;   in Loop: Header=BB941_15 Depth=1
	v_cmp_ne_u16_e32 vcc, s13, v28
	v_mov_b32_e32 v30, 0xffff8000
	s_and_saveexec_b64 s[6:7], vcc
	s_cbranch_execz .LBB941_194
; %bb.191:                              ;   in Loop: Header=BB941_15 Depth=1
	v_and_b32_e32 v41, 0x7f, v28
	v_cmp_ne_u32_e32 vcc, s14, v41
	v_mov_b32_e32 v30, 0x7f80
	s_and_saveexec_b64 s[10:11], vcc
	s_cbranch_execz .LBB941_193
; %bb.192:                              ;   in Loop: Header=BB941_15 Depth=1
	v_and_b32_e32 v30, 7, v28
	v_ffbh_u32_e32 v42, v30
	v_min_u32_e32 v45, 32, v42
	v_subrev_u32_e32 v42, 28, v45
	v_lshlrev_b64 v[42:43], v42, v[28:29]
	v_lshrrev_b32_e32 v44, 3, v41
	v_sub_u32_e32 v28, 29, v45
	v_and_b32_e32 v42, 7, v42
	v_cmp_gt_u32_e32 vcc, 8, v41
	v_cndmask_b32_e32 v28, v44, v28, vcc
	v_cndmask_b32_e32 v30, v30, v42, vcc
	v_lshlrev_b32_e32 v41, 16, v26
	v_lshlrev_b32_e32 v30, 20, v30
	v_and_b32_e32 v41, 0x80000000, v41
	v_lshl_add_u32 v28, v28, 23, v33
	v_or3_b32 v28, v41, v28, v30
	v_lshrrev_b32_e32 v30, 16, v28
.LBB941_193:                            ;   in Loop: Header=BB941_15 Depth=1
	s_or_b64 exec, exec, s[10:11]
.LBB941_194:                            ;   in Loop: Header=BB941_15 Depth=1
	s_or_b64 exec, exec, s[6:7]
.LBB941_195:                            ;   in Loop: Header=BB941_15 Depth=1
	s_or_b64 exec, exec, s[4:5]
	v_lshrrev_b32_e32 v28, 16, v26
	v_cmp_ne_u16_sdwa s[6:7], v28, v31 src0_sel:BYTE_0 src1_sel:DWORD
	s_and_saveexec_b64 s[4:5], s[6:7]
	s_cbranch_execz .LBB941_201
; %bb.196:                              ;   in Loop: Header=BB941_15 Depth=1
	v_cmp_ne_u16_sdwa s[10:11], v28, s13 src0_sel:BYTE_0 src1_sel:DWORD
	v_mov_b32_e32 v40, 0xffff8000
	s_and_saveexec_b64 s[6:7], s[10:11]
	s_cbranch_execz .LBB941_200
; %bb.197:                              ;   in Loop: Header=BB941_15 Depth=1
	v_bfe_u32 v41, v26, 16, 7
	v_cmp_ne_u32_e32 vcc, s14, v41
	v_mov_b32_e32 v40, 0x7f80
	s_and_saveexec_b64 s[10:11], vcc
	s_cbranch_execz .LBB941_199
; %bb.198:                              ;   in Loop: Header=BB941_15 Depth=1
	v_and_b32_e32 v40, 7, v28
	v_ffbh_u32_e32 v42, v40
	v_min_u32_e32 v45, 32, v42
	v_subrev_u32_e32 v42, 28, v45
	v_lshlrev_b64 v[42:43], v42, v[28:29]
	v_lshrrev_b32_e32 v44, 3, v41
	v_sub_u32_e32 v43, 29, v45
	v_and_b32_e32 v42, 7, v42
	v_cmp_gt_u32_e32 vcc, 8, v41
	v_cndmask_b32_e32 v41, v44, v43, vcc
	v_cndmask_b32_e32 v40, v40, v42, vcc
	v_lshlrev_b32_e32 v28, 24, v28
	v_lshlrev_b32_e32 v40, 20, v40
	v_and_b32_e32 v28, 0x80000000, v28
	v_lshl_add_u32 v41, v41, 23, v33
	v_or3_b32 v28, v28, v41, v40
	v_lshrrev_b32_e32 v40, 16, v28
.LBB941_199:                            ;   in Loop: Header=BB941_15 Depth=1
	s_or_b64 exec, exec, s[10:11]
.LBB941_200:                            ;   in Loop: Header=BB941_15 Depth=1
	s_or_b64 exec, exec, s[6:7]
.LBB941_201:                            ;   in Loop: Header=BB941_15 Depth=1
	s_or_b64 exec, exec, s[4:5]
	v_cmp_lt_u32_e32 vcc, s15, v26
	v_mov_b32_e32 v41, 0
	s_and_saveexec_b64 s[4:5], vcc
	s_cbranch_execz .LBB941_14
; %bb.202:                              ;   in Loop: Header=BB941_15 Depth=1
	v_lshrrev_b32_e32 v28, 24, v26
	v_cmp_ne_u32_e32 vcc, s13, v28
	v_mov_b32_e32 v41, 0xffff8000
	s_and_saveexec_b64 s[6:7], vcc
	s_cbranch_execz .LBB941_13
; %bb.203:                              ;   in Loop: Header=BB941_15 Depth=1
	v_bfe_u32 v26, v26, 24, 7
	v_cmp_ne_u32_e32 vcc, s14, v26
	v_mov_b32_e32 v41, 0x7f80
	s_and_saveexec_b64 s[10:11], vcc
	s_cbranch_execz .LBB941_12
; %bb.204:                              ;   in Loop: Header=BB941_15 Depth=1
	v_and_b32_e32 v41, 7, v28
	v_ffbh_u32_e32 v42, v41
	v_min_u32_e32 v45, 32, v42
	v_subrev_u32_e32 v42, 28, v45
	v_lshlrev_b64 v[42:43], v42, v[28:29]
	v_lshrrev_b32_e32 v44, 3, v26
	v_sub_u32_e32 v43, 29, v45
	v_and_b32_e32 v42, 7, v42
	v_cmp_gt_u32_e32 vcc, 8, v26
	v_cndmask_b32_e32 v26, v44, v43, vcc
	v_cndmask_b32_e32 v41, v41, v42, vcc
	v_lshlrev_b32_e32 v28, 24, v28
	v_lshlrev_b32_e32 v41, 20, v41
	v_and_b32_e32 v28, 0x80000000, v28
	v_lshl_add_u32 v26, v26, 23, v33
	v_or3_b32 v26, v28, v26, v41
	v_lshrrev_b32_e32 v41, 16, v26
	s_branch .LBB941_12
.LBB941_205:
	buffer_load_dword v17, off, s[0:3], 0 offset:256
	buffer_load_dword v16, off, s[0:3], 0 offset:260
	;; [unrolled: 1-line block ×16, first 2 shown]
	v_and_b32_e32 v18, 0xc0, v0
	v_add_u32_e32 v18, s22, v18
	v_lshl_or_b32 v18, v1, 2, v18
	v_or_b32_e32 v20, 1, v18
	v_subrev_u32_e32 v24, s33, v20
	v_add_u32_e32 v26, 1, v24
	v_cvt_f32_i32_e32 v25, v24
	v_add_u32_e32 v27, 2, v24
	v_add_u32_e32 v28, 3, v24
	;; [unrolled: 1-line block ×14, first 2 shown]
	v_cvt_f32_i32_e32 v26, v26
	v_cvt_f32_i32_e32 v27, v27
	;; [unrolled: 1-line block ×4, first 2 shown]
	v_mov_b32_e32 v19, 0xff7fffff
	v_or_b32_e32 v21, 2, v18
	v_or_b32_e32 v22, 3, v18
	v_cvt_f32_i32_e32 v29, v29
	v_cvt_f32_i32_e32 v30, v30
	v_cmp_gt_i32_e64 s[28:29], s33, v18
	v_cmp_gt_i32_e64 s[30:31], s33, v20
	s_mov_b32 s52, 0xff7fffff
	v_cmp_gt_i32_e64 s[34:35], s33, v21
	v_cmp_gt_i32_e64 s[36:37], s33, v22
	v_or_b32_e32 v23, 16, v18
	v_cvt_f32_i32_e32 v31, v31
	v_cvt_f32_i32_e32 v32, v32
	v_cmp_gt_i32_e64 s[24:25], s33, v23
	v_cvt_f32_i32_e32 v33, v33
	v_cvt_f32_i32_e32 v36, v36
	;; [unrolled: 1-line block ×7, first 2 shown]
	s_waitcnt vmcnt(15)
	v_fmac_f32_e32 v17, v59, v25
	s_waitcnt vmcnt(14)
	v_fmac_f32_e32 v16, v59, v26
	;; [unrolled: 2-line block ×4, first 2 shown]
	v_cndmask_b32_e64 v20, v19, v16, s[30:31]
	v_cndmask_b32_e64 v21, v19, v15, s[34:35]
	;; [unrolled: 1-line block ×3, first 2 shown]
	s_waitcnt vmcnt(11)
	v_fmac_f32_e32 v13, v59, v29
	s_waitcnt vmcnt(10)
	v_fmac_f32_e32 v12, v59, v30
	;; [unrolled: 2-line block ×9, first 2 shown]
	v_cndmask_b32_e64 v24, v19, v17, s[28:29]
	v_max3_f32 v20, v24, s52, v20
	v_max3_f32 v20, v20, v21, v22
	v_or_b32_e32 v22, 17, v18
	v_cmp_gt_i32_e64 s[38:39], s33, v22
	v_cndmask_b32_e64 v21, v19, v13, s[24:25]
	v_cndmask_b32_e64 v22, v19, v12, s[38:39]
	v_max3_f32 v20, v20, v21, v22
	v_or_b32_e32 v21, 18, v18
	v_or_b32_e32 v22, 19, v18
	v_cmp_gt_i32_e64 s[20:21], s33, v21
	v_cmp_gt_i32_e64 s[22:23], s33, v22
	v_cndmask_b32_e64 v21, v19, v11, s[20:21]
	v_cndmask_b32_e64 v22, v19, v10, s[22:23]
	v_max3_f32 v20, v20, v21, v22
	v_or_b32_e32 v21, 32, v18
	v_or_b32_e32 v22, 33, v18
	v_cmp_gt_i32_e64 s[16:17], s33, v21
	v_cmp_gt_i32_e64 s[18:19], s33, v22
	v_cndmask_b32_e64 v21, v19, v9, s[16:17]
	v_cndmask_b32_e64 v22, v19, v8, s[18:19]
	v_max3_f32 v20, v20, v21, v22
	v_or_b32_e32 v21, 34, v18
	v_or_b32_e32 v22, 35, v18
	v_cmp_gt_i32_e64 s[12:13], s33, v21
	v_cmp_gt_i32_e64 s[14:15], s33, v22
	v_cndmask_b32_e64 v21, v19, v7, s[12:13]
	v_cndmask_b32_e64 v22, v19, v6, s[14:15]
	v_max3_f32 v20, v20, v21, v22
	v_or_b32_e32 v21, 48, v18
	v_or_b32_e32 v22, 49, v18
	v_fmac_f32_e32 v5, v59, v40
	v_fmac_f32_e32 v4, v59, v41
	v_cmp_gt_i32_e64 s[6:7], s33, v21
	v_cmp_gt_i32_e64 s[10:11], s33, v22
	v_cndmask_b32_e64 v21, v19, v5, s[6:7]
	v_cndmask_b32_e64 v22, v19, v4, s[10:11]
	v_max3_f32 v20, v20, v21, v22
	v_or_b32_e32 v21, 50, v18
	v_or_b32_e32 v18, 51, v18
	v_fmac_f32_e32 v3, v59, v42
	v_cmp_gt_i32_e32 vcc, s33, v21
	v_cmp_gt_i32_e64 s[4:5], s33, v18
	v_cndmask_b32_e32 v21, v19, v3, vcc
	v_cndmask_b32_e64 v18, v19, v2, s[4:5]
	v_mbcnt_lo_u32_b32 v19, -1, 0
	v_mbcnt_hi_u32_b32 v19, -1, v19
	v_max3_f32 v18, v20, v21, v18
	v_and_b32_e32 v20, 64, v19
	v_add_u32_e32 v20, 64, v20
	v_xor_b32_e32 v21, 32, v19
	v_cmp_lt_i32_e64 s[40:41], v21, v20
	v_cndmask_b32_e64 v21, v19, v21, s[40:41]
	v_lshlrev_b32_e32 v21, 2, v21
	ds_bpermute_b32 v22, v21, v18
	s_waitcnt lgkmcnt(0)
	v_max_f32_e32 v22, v22, v22
	v_max_f32_e32 v18, v18, v22
	v_xor_b32_e32 v22, 16, v19
	v_cmp_lt_i32_e64 s[40:41], v22, v20
	v_cndmask_b32_e64 v19, v19, v22, s[40:41]
	v_lshlrev_b32_e32 v19, 2, v19
	ds_bpermute_b32 v20, v19, v18
	s_waitcnt lgkmcnt(0)
	v_max_f32_e32 v20, v20, v20
	v_max_f32_e32 v18, v18, v20
	v_sub_f32_e32 v17, v17, v18
	v_mul_f32_e32 v17, 0x3fb8aa3b, v17
	v_sub_f32_e32 v16, v16, v18
	v_exp_f32_e32 v17, v17
	v_mul_f32_e32 v16, 0x3fb8aa3b, v16
	v_sub_f32_e32 v15, v15, v18
	v_exp_f32_e32 v16, v16
	v_mul_f32_e32 v15, 0x3fb8aa3b, v15
	v_sub_f32_e32 v14, v14, v18
	v_exp_f32_e32 v15, v15
	v_mul_f32_e32 v14, 0x3fb8aa3b, v14
	v_sub_f32_e32 v13, v13, v18
	v_exp_f32_e32 v14, v14
	v_mul_f32_e32 v13, 0x3fb8aa3b, v13
	v_sub_f32_e32 v12, v12, v18
	v_cndmask_b32_e64 v17, 0, v17, s[28:29]
	v_exp_f32_e32 v13, v13
	v_mul_f32_e32 v12, 0x3fb8aa3b, v12
	v_sub_f32_e32 v11, v11, v18
	v_add_f32_e32 v20, 0, v17
	v_cndmask_b32_e64 v16, 0, v16, s[30:31]
	v_exp_f32_e32 v12, v12
	v_mul_f32_e32 v11, 0x3fb8aa3b, v11
	v_sub_f32_e32 v10, v10, v18
	v_add_f32_e32 v20, v20, v16
	;; [unrolled: 5-line block ×4, first 2 shown]
	v_cndmask_b32_e64 v13, 0, v13, s[24:25]
	v_exp_f32_e32 v9, v9
	v_mul_f32_e32 v8, 0x3fb8aa3b, v8
	v_sub_f32_e32 v7, v7, v18
	buffer_store_dword v17, off, s[0:3], 0 offset:256
	buffer_store_dword v16, off, s[0:3], 0 offset:260
	;; [unrolled: 1-line block ×4, first 2 shown]
	v_add_f32_e32 v14, v20, v13
	v_cndmask_b32_e64 v12, 0, v12, s[38:39]
	v_exp_f32_e32 v8, v8
	v_mul_f32_e32 v7, 0x3fb8aa3b, v7
	v_sub_f32_e32 v6, v6, v18
	v_add_f32_e32 v14, v14, v12
	v_cndmask_b32_e64 v11, 0, v11, s[20:21]
	v_exp_f32_e32 v7, v7
	v_mul_f32_e32 v6, 0x3fb8aa3b, v6
	v_sub_f32_e32 v5, v5, v18
	;; [unrolled: 5-line block ×4, first 2 shown]
	buffer_store_dword v13, off, s[0:3], 0 offset:272
	buffer_store_dword v12, off, s[0:3], 0 offset:276
	;; [unrolled: 1-line block ×4, first 2 shown]
	v_add_f32_e32 v10, v14, v9
	v_cndmask_b32_e64 v8, 0, v8, s[18:19]
	v_exp_f32_e32 v4, v4
	v_mul_f32_e32 v3, 0x3fb8aa3b, v3
	v_sub_f32_e32 v2, v2, v18
	v_add_f32_e32 v10, v10, v8
	v_cndmask_b32_e64 v7, 0, v7, s[12:13]
	v_exp_f32_e32 v3, v3
	v_mul_f32_e32 v2, 0x3fb8aa3b, v2
	v_add_f32_e32 v10, v10, v7
	v_cndmask_b32_e64 v6, 0, v6, s[14:15]
	v_exp_f32_e32 v2, v2
	v_add_f32_e32 v10, v10, v6
	v_cndmask_b32_e64 v5, 0, v5, s[6:7]
	buffer_store_dword v9, off, s[0:3], 0 offset:288
	buffer_store_dword v8, off, s[0:3], 0 offset:292
	;; [unrolled: 1-line block ×4, first 2 shown]
	v_add_f32_e32 v6, v10, v5
	v_cndmask_b32_e64 v4, 0, v4, s[10:11]
	v_add_f32_e32 v6, v6, v4
	v_cndmask_b32_e32 v3, 0, v3, vcc
	v_add_f32_e32 v6, v6, v3
	v_cndmask_b32_e64 v2, 0, v2, s[4:5]
	v_add_f32_e32 v6, v6, v2
	ds_bpermute_b32 v7, v21, v6
	buffer_store_dword v5, off, s[0:3], 0 offset:304
	buffer_store_dword v4, off, s[0:3], 0 offset:308
	;; [unrolled: 1-line block ×4, first 2 shown]
	v_cmp_gt_u32_e32 vcc, 16, v58
	s_waitcnt lgkmcnt(0)
	s_barrier
	v_add_f32_e32 v2, v6, v7
	ds_bpermute_b32 v3, v19, v2
	s_waitcnt lgkmcnt(0)
	s_and_saveexec_b64 s[4:5], vcc
	s_cbranch_execz .LBB941_207
; %bb.206:
	v_add_f32_e32 v2, v2, v3
	v_lshlrev_b32_e32 v3, 2, v57
	ds_write2st64_b32 v3, v18, v2 offset1:1
.LBB941_207:
	s_or_b64 exec, exec, s[4:5]
	v_lshlrev_b32_e32 v2, 2, v48
	s_waitcnt lgkmcnt(0)
	s_barrier
	ds_read2_b32 v[14:15], v2 offset1:16
	ds_read2_b32 v[16:17], v2 offset0:32 offset1:48
	ds_read2_b32 v[6:7], v2 offset0:64 offset1:80
	;; [unrolled: 1-line block ×3, first 2 shown]
	s_waitcnt lgkmcnt(0)
	s_barrier
	buffer_load_dword v20, off, s[0:3], 0 offset:264
	buffer_load_dword v21, off, s[0:3], 0 offset:268
	;; [unrolled: 1-line block ×16, first 2 shown]
	v_max3_f32 v18, v14, s52, v15
	v_max3_f32 v18, v18, v16, v17
	v_sub_f32_e32 v14, v14, v18
	v_sub_f32_e32 v15, v15, v18
	v_mul_f32_e32 v14, 0x3fb8aa3b, v14
	v_sub_f32_e32 v16, v16, v18
	v_mul_f32_e32 v15, 0x3fb8aa3b, v15
	v_exp_f32_e32 v14, v14
	v_sub_f32_e32 v17, v17, v18
	v_mul_f32_e32 v16, 0x3fb8aa3b, v16
	v_exp_f32_e32 v15, v15
	v_mul_f32_e32 v17, 0x3fb8aa3b, v17
	v_exp_f32_e32 v16, v16
	v_exp_f32_e32 v17, v17
	v_fma_f32 v6, v14, v6, 0
	v_fmac_f32_e32 v6, v15, v7
	v_fmac_f32_e32 v6, v16, v10
	;; [unrolled: 1-line block ×3, first 2 shown]
	v_cmp_eq_u32_e32 vcc, 1, v56
	v_add_f32_e32 v10, 0x358637bd, v6
	v_cndmask_b32_e32 v14, v14, v15, vcc
	v_cmp_eq_u32_e32 vcc, 2, v56
	v_div_scale_f32 v11, s[4:5], v10, v10, 1.0
	v_cndmask_b32_e32 v7, v14, v16, vcc
	v_rcp_f32_e32 v14, v11
	v_cmp_eq_u32_e32 vcc, 3, v56
	v_cndmask_b32_e32 v7, v7, v17, vcc
	v_div_scale_f32 v15, vcc, 1.0, v10, 1.0
	v_fma_f32 v16, -v11, v14, 1.0
	v_fmac_f32_e32 v14, v16, v14
	v_mul_f32_e32 v16, v15, v14
	v_fma_f32 v17, -v11, v16, v15
	v_fmac_f32_e32 v16, v17, v14
	v_fma_f32 v11, -v11, v16, v15
	v_div_fmas_f32 v11, v11, v14, v16
	v_div_fixup_f32 v10, v11, v10, 1.0
	v_mul_f32_e32 v10, v7, v10
	s_movk_i32 s19, 0x7fff
	s_mov_b32 s20, 0x7060302
	s_lshl_b32 s18, s51, 4
	v_cmp_gt_u32_e32 vcc, 16, v0
	s_waitcnt vmcnt(14)
	v_pk_mul_f32 v[14:15], v[10:11], v[20:21] op_sel_hi:[0,1]
	v_bfe_u32 v20, v14, 16, 1
	s_waitcnt vmcnt(12)
	v_pk_mul_f32 v[16:17], v[10:11], v[22:23] op_sel_hi:[0,1]
	v_bfe_u32 v7, v17, 16, 1
	v_bfe_u32 v11, v16, 16, 1
	v_add3_u32 v11, v16, v11, s19
	v_add3_u32 v7, v17, v7, s19
	buffer_store_dword v16, off, s[0:3], 0 offset:256
	buffer_store_dword v17, off, s[0:3], 0 offset:260
	;; [unrolled: 1-line block ×4, first 2 shown]
	v_add3_u32 v16, v14, v20, s19
	v_perm_b32 v14, v7, v11, s20
	v_lshlrev_b32_e32 v11, 11, v56
	v_lshlrev_b32_e32 v7, 3, v1
	s_waitcnt vmcnt(12)
	v_pk_mul_f32 v[8:9], v[10:11], v[8:9] op_sel_hi:[0,1]
	v_or3_b32 v39, v11, v35, v7
	v_pk_mul_f32 v[12:13], v[10:11], v[12:13] op_sel_hi:[0,1]
	v_bfe_u32 v7, v9, 16, 1
	v_bfe_u32 v11, v8, 16, 1
	buffer_store_dword v8, off, s[0:3], 0 offset:272
	buffer_store_dword v9, off, s[0:3], 0 offset:276
	;; [unrolled: 1-line block ×4, first 2 shown]
	v_add3_u32 v8, v8, v11, s19
	v_add3_u32 v7, v9, v7, s19
	v_bfe_u32 v19, v15, 16, 1
	v_perm_b32 v8, v7, v8, s20
	v_bfe_u32 v7, v13, 16, 1
	v_bfe_u32 v9, v12, 16, 1
	v_add3_u32 v15, v15, v19, s19
	v_add3_u32 v9, v12, v9, s19
	;; [unrolled: 1-line block ×3, first 2 shown]
	v_perm_b32 v15, v15, v16, s20
	v_perm_b32 v9, v7, v9, s20
	s_waitcnt vmcnt(14)
	v_pk_mul_f32 v[12:13], v[10:11], v[24:25] op_sel_hi:[0,1]
	ds_write2st64_b64 v39, v[14:15], v[8:9] offset1:1
	s_waitcnt vmcnt(12)
	v_pk_mul_f32 v[8:9], v[10:11], v[26:27] op_sel_hi:[0,1]
	v_bfe_u32 v7, v13, 16, 1
	v_bfe_u32 v11, v12, 16, 1
	v_add3_u32 v11, v12, v11, s19
	v_add3_u32 v7, v13, v7, s19
	buffer_store_dword v12, off, s[0:3], 0 offset:288
	buffer_store_dword v13, off, s[0:3], 0 offset:292
	;; [unrolled: 1-line block ×4, first 2 shown]
	v_perm_b32 v12, v7, v11, s20
	v_bfe_u32 v7, v9, 16, 1
	v_bfe_u32 v11, v8, 16, 1
	v_add3_u32 v8, v8, v11, s19
	v_add3_u32 v7, v9, v7, s19
	s_waitcnt vmcnt(14)
	v_pk_mul_f32 v[2:3], v[10:11], v[2:3] op_sel_hi:[0,1]
	v_perm_b32 v13, v7, v8, s20
	v_bfe_u32 v7, v3, 16, 1
	v_bfe_u32 v8, v2, 16, 1
	s_waitcnt vmcnt(12)
	v_pk_mul_f32 v[4:5], v[10:11], v[4:5] op_sel_hi:[0,1]
	buffer_store_dword v2, off, s[0:3], 0 offset:304
	buffer_store_dword v3, off, s[0:3], 0 offset:308
	;; [unrolled: 1-line block ×4, first 2 shown]
	v_add3_u32 v2, v2, v8, s19
	v_add3_u32 v3, v3, v7, s19
	v_perm_b32 v2, v3, v2, s20
	v_bfe_u32 v3, v5, 16, 1
	v_bfe_u32 v7, v4, 16, 1
	v_add3_u32 v4, v4, v7, s19
	v_add3_u32 v3, v5, v3, s19
	v_perm_b32 v3, v3, v4, s20
	ds_write2st64_b64 v39, v[12:13], v[2:3] offset0:2 offset1:3
	s_and_saveexec_b64 s[4:5], vcc
	s_cbranch_execz .LBB941_209
; %bb.208:
	v_mov_b32_e32 v35, 0
	v_mov_b32_e32 v2, s18
	s_mul_i32 s9, s9, s18
	v_mad_u64_u32 v[2:3], s[6:7], s8, v2, v[34:35]
	v_mov_b32_e32 v34, s26
	v_add_u32_e32 v5, s9, v3
	v_mad_u64_u32 v[2:3], s[6:7], v2, s50, v[34:35]
	v_mov_b32_e32 v4, v3
	v_mad_u64_u32 v[4:5], s[6:7], v5, s50, v[4:5]
	v_mov_b32_e32 v3, v4
	v_lshlrev_b64 v[2:3], 2, v[2:3]
	v_mov_b32_e32 v5, s47
	v_add_co_u32_e32 v4, vcc, s46, v2
	v_addc_co_u32_e32 v5, vcc, v5, v3, vcc
	global_store_dword v[4:5], v18, off
	v_mov_b32_e32 v4, s45
	v_add_co_u32_e32 v2, vcc, s44, v2
	v_addc_co_u32_e32 v3, vcc, v4, v3, vcc
	global_store_dword v[2:3], v6, off
.LBB941_209:
	s_or_b64 exec, exec, s[4:5]
	s_waitcnt lgkmcnt(0)
	s_barrier
	s_load_dword s4, s[42:43], 0x0
	ds_read_b128 v[2:5], v37
	ds_read_b128 v[6:9], v37 offset:16
	ds_read_b128 v[10:13], v37 offset:2048
	;; [unrolled: 1-line block ×7, first 2 shown]
	v_mov_b32_e32 v35, 0x80
	v_mov_b32_e32 v41, 0x140
	s_mov_b64 s[10:11], -1
	s_waitcnt lgkmcnt(0)
	s_mov_b32 s5, s4
	s_mov_b32 s6, s4
	;; [unrolled: 1-line block ×3, first 2 shown]
	s_movk_i32 s9, 0x80
	s_movk_i32 s21, 0x7f
	s_mov_b32 s22, 0xffffff
	s_mov_b32 s23, 0x5040100
	v_mov_b32_e32 v43, 0
	v_bfrev_b32_e32 v45, 60
	s_branch .LBB941_213
.LBB941_210:                            ;   in Loop: Header=BB941_213 Depth=1
	s_or_b64 exec, exec, s[16:17]
.LBB941_211:                            ;   in Loop: Header=BB941_213 Depth=1
	s_or_b64 exec, exec, s[14:15]
.LBB941_212:                            ;   in Loop: Header=BB941_213 Depth=1
	s_or_b64 exec, exec, s[12:13]
	v_perm_b32 v61, v56, v54, s23
	v_perm_b32 v60, v44, v46, s23
	s_xor_b64 s[12:13], s[10:11], -1
	s_mov_b64 s[10:11], 0
	v_mov_b32_e32 v46, v51
	v_mfma_f32_16x16x16bf16_1k v[60:63], v[60:61], v[30:31], v[34:37]
	s_and_b64 vcc, exec, s[12:13]
	s_nop 5
	v_perm_b32 v37, v58, v57, s23
	v_perm_b32 v36, v42, v55, s23
	v_mov_b32_e32 v35, v50
	s_nop 0
	v_mfma_f32_16x16x16bf16_1k v[54:57], v[36:37], v[32:33], v[60:63]
	s_nop 7
	s_nop 2
	v_pk_mul_f32 v[54:55], v[54:55], s[4:5]
	v_pk_mul_f32 v[36:37], v[56:57], s[6:7]
	v_bfe_u32 v34, v55, 16, 1
	v_bfe_u32 v38, v54, 16, 1
	;; [unrolled: 1-line block ×4, first 2 shown]
	v_add3_u32 v38, v54, v38, s19
	v_add3_u32 v34, v55, v34, s19
	;; [unrolled: 1-line block ×4, first 2 shown]
	v_perm_b32 v34, v34, v38, s20
	v_perm_b32 v36, v37, v36, s20
	buffer_store_dword v34, v41, s[0:3], 0 offen
	buffer_store_dword v36, v41, s[0:3], 0 offen offset:4
	v_mov_b32_e32 v41, 0x148
	v_mov_b32_e32 v55, v52
	;; [unrolled: 1-line block ×3, first 2 shown]
	s_cbranch_vccnz .LBB941_595
.LBB941_213:                            ; =>This Inner Loop Header: Depth=1
	buffer_load_dword v36, v35, s[0:3], 0 offen
	buffer_load_dword v34, v35, s[0:3], 0 offen offset:4
	buffer_load_dword v40, v35, s[0:3], 0 offen offset:8
	;; [unrolled: 1-line block ×3, first 2 shown]
	v_mov_b32_e32 v35, 0
	s_waitcnt vmcnt(3)
	v_cmp_ne_u16_sdwa s[14:15], v36, v43 src0_sel:BYTE_0 src1_sel:DWORD
	s_and_saveexec_b64 s[12:13], s[14:15]
	s_cbranch_execz .LBB941_219
; %bb.214:                              ;   in Loop: Header=BB941_213 Depth=1
	v_cmp_ne_u16_sdwa s[16:17], v36, s9 src0_sel:BYTE_0 src1_sel:DWORD
	v_mov_b32_e32 v35, 0xffff8000
	s_and_saveexec_b64 s[14:15], s[16:17]
	s_cbranch_execz .LBB941_218
; %bb.215:                              ;   in Loop: Header=BB941_213 Depth=1
	v_and_b32_e32 v37, 0x7f, v36
	v_cmp_ne_u32_e32 vcc, s21, v37
	v_mov_b32_e32 v35, 0x7f80
	s_and_saveexec_b64 s[16:17], vcc
	s_cbranch_execz .LBB941_217
; %bb.216:                              ;   in Loop: Header=BB941_213 Depth=1
	v_and_b32_e32 v35, 7, v36
	v_ffbh_u32_e32 v44, v35
	v_min_u32_e32 v44, 32, v44
	v_subrev_u32_e32 v56, 28, v44
	v_lshlrev_b64 v[56:57], v56, v[36:37]
	v_lshrrev_b32_e32 v42, 3, v37
	v_sub_u32_e32 v44, 29, v44
	v_and_b32_e32 v56, 7, v56
	v_cmp_gt_u32_e32 vcc, 8, v37
	v_cndmask_b32_e32 v37, v42, v44, vcc
	v_cndmask_b32_e32 v35, v35, v56, vcc
	v_lshlrev_b32_e32 v42, 24, v36
	v_lshlrev_b32_e32 v35, 20, v35
	v_and_b32_e32 v42, 0x80000000, v42
	v_lshl_add_u32 v37, v37, 23, v45
	v_or3_b32 v35, v42, v37, v35
	v_lshrrev_b32_e32 v35, 16, v35
.LBB941_217:                            ;   in Loop: Header=BB941_213 Depth=1
	s_or_b64 exec, exec, s[16:17]
.LBB941_218:                            ;   in Loop: Header=BB941_213 Depth=1
	s_or_b64 exec, exec, s[14:15]
.LBB941_219:                            ;   in Loop: Header=BB941_213 Depth=1
	s_or_b64 exec, exec, s[12:13]
	v_lshrrev_b16_e32 v42, 8, v36
	v_cmp_ne_u16_e32 vcc, 0, v42
	v_mov_b32_e32 v56, 0
	v_mov_b32_e32 v37, 0
	s_and_saveexec_b64 s[12:13], vcc
	s_cbranch_execz .LBB941_225
; %bb.220:                              ;   in Loop: Header=BB941_213 Depth=1
	v_cmp_ne_u16_e32 vcc, s9, v42
	v_mov_b32_e32 v37, 0xffff8000
	s_and_saveexec_b64 s[14:15], vcc
	s_cbranch_execz .LBB941_224
; %bb.221:                              ;   in Loop: Header=BB941_213 Depth=1
	v_and_b32_e32 v44, 0x7f, v42
	v_cmp_ne_u32_e32 vcc, s21, v44
	v_mov_b32_e32 v37, 0x7f80
	s_and_saveexec_b64 s[16:17], vcc
	s_cbranch_execz .LBB941_223
; %bb.222:                              ;   in Loop: Header=BB941_213 Depth=1
	v_and_b32_e32 v37, 7, v42
	v_ffbh_u32_e32 v58, v37
	v_min_u32_e32 v60, 32, v58
	v_subrev_u32_e32 v58, 28, v60
	v_lshlrev_b64 v[58:59], v58, v[42:43]
	v_lshrrev_b32_e32 v57, 3, v44
	v_sub_u32_e32 v42, 29, v60
	v_and_b32_e32 v58, 7, v58
	v_cmp_gt_u32_e32 vcc, 8, v44
	v_cndmask_b32_e32 v42, v57, v42, vcc
	v_cndmask_b32_e32 v37, v37, v58, vcc
	v_lshlrev_b32_e32 v44, 16, v36
	v_lshlrev_b32_e32 v37, 20, v37
	v_and_b32_e32 v44, 0x80000000, v44
	v_lshl_add_u32 v42, v42, 23, v45
	v_or3_b32 v37, v44, v42, v37
	v_lshrrev_b32_e32 v37, 16, v37
.LBB941_223:                            ;   in Loop: Header=BB941_213 Depth=1
	s_or_b64 exec, exec, s[16:17]
.LBB941_224:                            ;   in Loop: Header=BB941_213 Depth=1
	s_or_b64 exec, exec, s[14:15]
.LBB941_225:                            ;   in Loop: Header=BB941_213 Depth=1
	s_or_b64 exec, exec, s[12:13]
	v_lshrrev_b32_e32 v42, 16, v36
	v_cmp_ne_u16_sdwa s[14:15], v42, v43 src0_sel:BYTE_0 src1_sel:DWORD
	s_and_saveexec_b64 s[12:13], s[14:15]
	s_cbranch_execz .LBB941_231
; %bb.226:                              ;   in Loop: Header=BB941_213 Depth=1
	v_cmp_ne_u16_sdwa s[16:17], v42, s9 src0_sel:BYTE_0 src1_sel:DWORD
	v_mov_b32_e32 v56, 0xffff8000
	s_and_saveexec_b64 s[14:15], s[16:17]
	s_cbranch_execz .LBB941_230
; %bb.227:                              ;   in Loop: Header=BB941_213 Depth=1
	v_bfe_u32 v44, v36, 16, 7
	v_cmp_ne_u32_e32 vcc, s21, v44
	v_mov_b32_e32 v56, 0x7f80
	s_and_saveexec_b64 s[16:17], vcc
	s_cbranch_execz .LBB941_229
; %bb.228:                              ;   in Loop: Header=BB941_213 Depth=1
	v_and_b32_e32 v58, 7, v42
	v_ffbh_u32_e32 v56, v58
	v_min_u32_e32 v60, 32, v56
	v_subrev_u32_e32 v56, 28, v60
	v_lshlrev_b64 v[56:57], v56, v[42:43]
	v_lshrrev_b32_e32 v59, 3, v44
	v_sub_u32_e32 v57, 29, v60
	v_and_b32_e32 v56, 7, v56
	v_cmp_gt_u32_e32 vcc, 8, v44
	v_cndmask_b32_e32 v44, v59, v57, vcc
	v_cndmask_b32_e32 v56, v58, v56, vcc
	v_lshlrev_b32_e32 v42, 24, v42
	v_lshlrev_b32_e32 v56, 20, v56
	v_and_b32_e32 v42, 0x80000000, v42
	v_lshl_add_u32 v44, v44, 23, v45
	v_or3_b32 v42, v42, v44, v56
	v_lshrrev_b32_e32 v56, 16, v42
.LBB941_229:                            ;   in Loop: Header=BB941_213 Depth=1
	s_or_b64 exec, exec, s[16:17]
.LBB941_230:                            ;   in Loop: Header=BB941_213 Depth=1
	s_or_b64 exec, exec, s[14:15]
.LBB941_231:                            ;   in Loop: Header=BB941_213 Depth=1
	s_or_b64 exec, exec, s[12:13]
	v_cmp_lt_u32_e32 vcc, s22, v36
	v_mov_b32_e32 v57, 0
	v_mov_b32_e32 v58, 0
	s_and_saveexec_b64 s[12:13], vcc
	s_cbranch_execz .LBB941_237
; %bb.232:                              ;   in Loop: Header=BB941_213 Depth=1
	v_lshrrev_b32_e32 v42, 24, v36
	v_cmp_ne_u32_e32 vcc, s9, v42
	v_mov_b32_e32 v58, 0xffff8000
	s_and_saveexec_b64 s[14:15], vcc
	s_cbranch_execz .LBB941_236
; %bb.233:                              ;   in Loop: Header=BB941_213 Depth=1
	v_bfe_u32 v36, v36, 24, 7
	v_cmp_ne_u32_e32 vcc, s21, v36
	v_mov_b32_e32 v58, 0x7f80
	s_and_saveexec_b64 s[16:17], vcc
	s_cbranch_execz .LBB941_235
; %bb.234:                              ;   in Loop: Header=BB941_213 Depth=1
	v_and_b32_e32 v44, 7, v42
	v_ffbh_u32_e32 v58, v44
	v_min_u32_e32 v61, 32, v58
	v_subrev_u32_e32 v58, 28, v61
	v_lshlrev_b64 v[58:59], v58, v[42:43]
	v_lshrrev_b32_e32 v60, 3, v36
	v_sub_u32_e32 v59, 29, v61
	v_and_b32_e32 v58, 7, v58
	v_cmp_gt_u32_e32 vcc, 8, v36
	v_cndmask_b32_e32 v36, v60, v59, vcc
	v_cndmask_b32_e32 v44, v44, v58, vcc
	v_lshlrev_b32_e32 v42, 24, v42
	v_lshlrev_b32_e32 v44, 20, v44
	v_and_b32_e32 v42, 0x80000000, v42
	v_lshl_add_u32 v36, v36, 23, v45
	v_or3_b32 v36, v42, v36, v44
	v_lshrrev_b32_e32 v58, 16, v36
.LBB941_235:                            ;   in Loop: Header=BB941_213 Depth=1
	s_or_b64 exec, exec, s[16:17]
.LBB941_236:                            ;   in Loop: Header=BB941_213 Depth=1
	s_or_b64 exec, exec, s[14:15]
.LBB941_237:                            ;   in Loop: Header=BB941_213 Depth=1
	s_or_b64 exec, exec, s[12:13]
	s_waitcnt vmcnt(2)
	v_cmp_ne_u16_sdwa s[14:15], v34, v43 src0_sel:BYTE_0 src1_sel:DWORD
	s_and_saveexec_b64 s[12:13], s[14:15]
	s_cbranch_execz .LBB941_243
; %bb.238:                              ;   in Loop: Header=BB941_213 Depth=1
	v_cmp_ne_u16_sdwa s[16:17], v34, s9 src0_sel:BYTE_0 src1_sel:DWORD
	v_mov_b32_e32 v57, 0xffff8000
	s_and_saveexec_b64 s[14:15], s[16:17]
	s_cbranch_execz .LBB941_242
; %bb.239:                              ;   in Loop: Header=BB941_213 Depth=1
	v_and_b32_e32 v36, 0x7f, v34
	v_cmp_ne_u32_e32 vcc, s21, v36
	v_mov_b32_e32 v57, 0x7f80
	s_and_saveexec_b64 s[16:17], vcc
	s_cbranch_execz .LBB941_241
; %bb.240:                              ;   in Loop: Header=BB941_213 Depth=1
	v_and_b32_e32 v42, 7, v34
	v_ffbh_u32_e32 v57, v42
	v_min_u32_e32 v57, 32, v57
	v_subrev_u32_e32 v59, 28, v57
	v_lshlrev_b64 v[60:61], v59, v[34:35]
	v_lshrrev_b32_e32 v44, 3, v36
	v_sub_u32_e32 v57, 29, v57
	v_and_b32_e32 v59, 7, v60
	v_cmp_gt_u32_e32 vcc, 8, v36
	v_cndmask_b32_e32 v36, v44, v57, vcc
	v_cndmask_b32_e32 v42, v42, v59, vcc
	v_lshlrev_b32_e32 v44, 24, v34
	v_lshlrev_b32_e32 v42, 20, v42
	v_and_b32_e32 v44, 0x80000000, v44
	v_lshl_add_u32 v36, v36, 23, v45
	v_or3_b32 v36, v44, v36, v42
	v_lshrrev_b32_e32 v57, 16, v36
.LBB941_241:                            ;   in Loop: Header=BB941_213 Depth=1
	s_or_b64 exec, exec, s[16:17]
.LBB941_242:                            ;   in Loop: Header=BB941_213 Depth=1
	s_or_b64 exec, exec, s[14:15]
.LBB941_243:                            ;   in Loop: Header=BB941_213 Depth=1
	s_or_b64 exec, exec, s[12:13]
	v_lshrrev_b16_e32 v36, 8, v34
	v_cmp_ne_u16_e32 vcc, 0, v36
	v_mov_b32_e32 v59, 0
	v_mov_b32_e32 v42, 0
	s_and_saveexec_b64 s[12:13], vcc
	s_cbranch_execz .LBB941_249
; %bb.244:                              ;   in Loop: Header=BB941_213 Depth=1
	v_cmp_ne_u16_e32 vcc, s9, v36
	v_mov_b32_e32 v42, 0xffff8000
	s_and_saveexec_b64 s[14:15], vcc
	s_cbranch_execz .LBB941_248
; %bb.245:                              ;   in Loop: Header=BB941_213 Depth=1
	v_and_b32_e32 v44, 0x7f, v36
	v_cmp_ne_u32_e32 vcc, s21, v44
	v_mov_b32_e32 v42, 0x7f80
	s_and_saveexec_b64 s[16:17], vcc
	s_cbranch_execz .LBB941_247
; %bb.246:                              ;   in Loop: Header=BB941_213 Depth=1
	v_and_b32_e32 v42, 7, v36
	v_ffbh_u32_e32 v60, v42
	v_min_u32_e32 v63, 32, v60
	v_subrev_u32_e32 v60, 28, v63
	v_lshlrev_b64 v[60:61], v60, v[36:37]
	v_lshrrev_b32_e32 v62, 3, v44
	v_sub_u32_e32 v36, 29, v63
	v_and_b32_e32 v60, 7, v60
	v_cmp_gt_u32_e32 vcc, 8, v44
	v_cndmask_b32_e32 v36, v62, v36, vcc
	v_cndmask_b32_e32 v42, v42, v60, vcc
	v_lshlrev_b32_e32 v44, 16, v34
	v_lshlrev_b32_e32 v42, 20, v42
	v_and_b32_e32 v44, 0x80000000, v44
	v_lshl_add_u32 v36, v36, 23, v45
	v_or3_b32 v36, v44, v36, v42
	v_lshrrev_b32_e32 v42, 16, v36
.LBB941_247:                            ;   in Loop: Header=BB941_213 Depth=1
	s_or_b64 exec, exec, s[16:17]
.LBB941_248:                            ;   in Loop: Header=BB941_213 Depth=1
	s_or_b64 exec, exec, s[14:15]
.LBB941_249:                            ;   in Loop: Header=BB941_213 Depth=1
	s_or_b64 exec, exec, s[12:13]
	v_lshrrev_b32_e32 v36, 16, v34
	v_cmp_ne_u16_sdwa s[14:15], v36, v43 src0_sel:BYTE_0 src1_sel:DWORD
	s_and_saveexec_b64 s[12:13], s[14:15]
	s_cbranch_execz .LBB941_255
; %bb.250:                              ;   in Loop: Header=BB941_213 Depth=1
	v_cmp_ne_u16_sdwa s[16:17], v36, s9 src0_sel:BYTE_0 src1_sel:DWORD
	v_mov_b32_e32 v59, 0xffff8000
	s_and_saveexec_b64 s[14:15], s[16:17]
	s_cbranch_execz .LBB941_254
; %bb.251:                              ;   in Loop: Header=BB941_213 Depth=1
	v_bfe_u32 v44, v34, 16, 7
	v_cmp_ne_u32_e32 vcc, s21, v44
	v_mov_b32_e32 v59, 0x7f80
	s_and_saveexec_b64 s[16:17], vcc
	s_cbranch_execz .LBB941_253
; %bb.252:                              ;   in Loop: Header=BB941_213 Depth=1
	v_and_b32_e32 v59, 7, v36
	v_ffbh_u32_e32 v60, v59
	v_min_u32_e32 v63, 32, v60
	v_subrev_u32_e32 v60, 28, v63
	v_lshlrev_b64 v[60:61], v60, v[36:37]
	v_lshrrev_b32_e32 v62, 3, v44
	v_sub_u32_e32 v61, 29, v63
	v_and_b32_e32 v60, 7, v60
	v_cmp_gt_u32_e32 vcc, 8, v44
	v_cndmask_b32_e32 v44, v62, v61, vcc
	v_cndmask_b32_e32 v59, v59, v60, vcc
	v_lshlrev_b32_e32 v36, 24, v36
	v_lshlrev_b32_e32 v59, 20, v59
	v_and_b32_e32 v36, 0x80000000, v36
	v_lshl_add_u32 v44, v44, 23, v45
	v_or3_b32 v36, v36, v44, v59
	v_lshrrev_b32_e32 v59, 16, v36
.LBB941_253:                            ;   in Loop: Header=BB941_213 Depth=1
	s_or_b64 exec, exec, s[16:17]
.LBB941_254:                            ;   in Loop: Header=BB941_213 Depth=1
	s_or_b64 exec, exec, s[14:15]
.LBB941_255:                            ;   in Loop: Header=BB941_213 Depth=1
	s_or_b64 exec, exec, s[12:13]
	v_cmp_lt_u32_e32 vcc, s22, v34
	v_mov_b32_e32 v44, 0
	v_mov_b32_e32 v60, 0
	s_and_saveexec_b64 s[12:13], vcc
	s_cbranch_execz .LBB941_261
; %bb.256:                              ;   in Loop: Header=BB941_213 Depth=1
	v_lshrrev_b32_e32 v36, 24, v34
	v_cmp_ne_u32_e32 vcc, s9, v36
	v_mov_b32_e32 v60, 0xffff8000
	s_and_saveexec_b64 s[14:15], vcc
	s_cbranch_execz .LBB941_260
; %bb.257:                              ;   in Loop: Header=BB941_213 Depth=1
	v_bfe_u32 v34, v34, 24, 7
	v_cmp_ne_u32_e32 vcc, s21, v34
	v_mov_b32_e32 v60, 0x7f80
	s_and_saveexec_b64 s[16:17], vcc
	s_cbranch_execz .LBB941_259
; %bb.258:                              ;   in Loop: Header=BB941_213 Depth=1
	v_and_b32_e32 v62, 7, v36
	v_ffbh_u32_e32 v60, v62
	v_min_u32_e32 v64, 32, v60
	v_subrev_u32_e32 v60, 28, v64
	v_lshlrev_b64 v[60:61], v60, v[36:37]
	v_lshrrev_b32_e32 v63, 3, v34
	v_sub_u32_e32 v61, 29, v64
	v_and_b32_e32 v60, 7, v60
	v_cmp_gt_u32_e32 vcc, 8, v34
	v_cndmask_b32_e32 v34, v63, v61, vcc
	v_cndmask_b32_e32 v60, v62, v60, vcc
	v_lshlrev_b32_e32 v36, 24, v36
	v_lshlrev_b32_e32 v60, 20, v60
	v_and_b32_e32 v36, 0x80000000, v36
	v_lshl_add_u32 v34, v34, 23, v45
	v_or3_b32 v34, v36, v34, v60
	v_lshrrev_b32_e32 v60, 16, v34
.LBB941_259:                            ;   in Loop: Header=BB941_213 Depth=1
	s_or_b64 exec, exec, s[16:17]
.LBB941_260:                            ;   in Loop: Header=BB941_213 Depth=1
	s_or_b64 exec, exec, s[14:15]
.LBB941_261:                            ;   in Loop: Header=BB941_213 Depth=1
	s_or_b64 exec, exec, s[12:13]
	v_perm_b32 v63, v58, v56, s23
	v_perm_b32 v62, v37, v35, s23
	;; [unrolled: 1-line block ×4, first 2 shown]
	s_waitcnt vmcnt(1)
	v_cmp_ne_u16_sdwa s[14:15], v40, v43 src0_sel:BYTE_0 src1_sel:DWORD
	v_mfma_f32_16x16x16bf16_1k v[34:37], v[62:63], v[2:3], 0
	v_mfma_f32_16x16x16bf16_1k v[34:37], v[58:59], v[4:5], v[34:37]
	s_and_saveexec_b64 s[12:13], s[14:15]
	s_cbranch_execz .LBB941_267
; %bb.262:                              ;   in Loop: Header=BB941_213 Depth=1
	v_cmp_ne_u16_sdwa s[16:17], v40, s9 src0_sel:BYTE_0 src1_sel:DWORD
	v_mov_b32_e32 v44, 0xffff8000
	s_and_saveexec_b64 s[14:15], s[16:17]
	s_cbranch_execz .LBB941_266
; %bb.263:                              ;   in Loop: Header=BB941_213 Depth=1
	v_and_b32_e32 v42, 0x7f, v40
	v_cmp_ne_u32_e32 vcc, s21, v42
	v_mov_b32_e32 v44, 0x7f80
	s_and_saveexec_b64 s[16:17], vcc
	s_cbranch_execz .LBB941_265
; %bb.264:                              ;   in Loop: Header=BB941_213 Depth=1
	v_and_b32_e32 v44, 7, v40
	v_ffbh_u32_e32 v56, v44
	v_min_u32_e32 v59, 32, v56
	v_subrev_u32_e32 v56, 28, v59
	v_lshlrev_b64 v[56:57], v56, v[40:41]
	v_lshrrev_b32_e32 v58, 3, v42
	v_sub_u32_e32 v57, 29, v59
	v_and_b32_e32 v56, 7, v56
	v_cmp_gt_u32_e32 vcc, 8, v42
	v_cndmask_b32_e32 v42, v58, v57, vcc
	v_cndmask_b32_e32 v44, v44, v56, vcc
	v_lshlrev_b32_e32 v56, 24, v40
	v_lshlrev_b32_e32 v44, 20, v44
	v_and_b32_e32 v56, 0x80000000, v56
	v_lshl_add_u32 v42, v42, 23, v45
	v_or3_b32 v42, v56, v42, v44
	v_lshrrev_b32_e32 v44, 16, v42
.LBB941_265:                            ;   in Loop: Header=BB941_213 Depth=1
	s_or_b64 exec, exec, s[16:17]
.LBB941_266:                            ;   in Loop: Header=BB941_213 Depth=1
	s_or_b64 exec, exec, s[14:15]
.LBB941_267:                            ;   in Loop: Header=BB941_213 Depth=1
	s_or_b64 exec, exec, s[12:13]
	v_lshrrev_b16_e32 v42, 8, v40
	v_cmp_ne_u16_e32 vcc, 0, v42
	v_mov_b32_e32 v58, 0
	v_mov_b32_e32 v57, 0
	s_and_saveexec_b64 s[12:13], vcc
	s_cbranch_execz .LBB941_273
; %bb.268:                              ;   in Loop: Header=BB941_213 Depth=1
	v_cmp_ne_u16_e32 vcc, s9, v42
	v_mov_b32_e32 v57, 0xffff8000
	s_and_saveexec_b64 s[14:15], vcc
	s_cbranch_execz .LBB941_272
; %bb.269:                              ;   in Loop: Header=BB941_213 Depth=1
	v_and_b32_e32 v56, 0x7f, v42
	v_cmp_ne_u32_e32 vcc, s21, v56
	v_mov_b32_e32 v57, 0x7f80
	s_and_saveexec_b64 s[16:17], vcc
	s_cbranch_execz .LBB941_271
; %bb.270:                              ;   in Loop: Header=BB941_213 Depth=1
	v_and_b32_e32 v57, 7, v42
	v_ffbh_u32_e32 v60, v57
	v_min_u32_e32 v62, 32, v60
	v_subrev_u32_e32 v60, 28, v62
	v_lshlrev_b64 v[60:61], v60, v[42:43]
	v_lshrrev_b32_e32 v59, 3, v56
	v_sub_u32_e32 v42, 29, v62
	v_and_b32_e32 v60, 7, v60
	v_cmp_gt_u32_e32 vcc, 8, v56
	v_cndmask_b32_e32 v42, v59, v42, vcc
	v_cndmask_b32_e32 v56, v57, v60, vcc
	v_lshlrev_b32_e32 v57, 16, v40
	v_lshlrev_b32_e32 v56, 20, v56
	v_and_b32_e32 v57, 0x80000000, v57
	v_lshl_add_u32 v42, v42, 23, v45
	v_or3_b32 v42, v57, v42, v56
	v_lshrrev_b32_e32 v57, 16, v42
.LBB941_271:                            ;   in Loop: Header=BB941_213 Depth=1
	s_or_b64 exec, exec, s[16:17]
.LBB941_272:                            ;   in Loop: Header=BB941_213 Depth=1
	s_or_b64 exec, exec, s[14:15]
.LBB941_273:                            ;   in Loop: Header=BB941_213 Depth=1
	s_or_b64 exec, exec, s[12:13]
	v_lshrrev_b32_e32 v42, 16, v40
	v_cmp_ne_u16_sdwa s[14:15], v42, v43 src0_sel:BYTE_0 src1_sel:DWORD
	s_and_saveexec_b64 s[12:13], s[14:15]
	s_cbranch_execz .LBB941_279
; %bb.274:                              ;   in Loop: Header=BB941_213 Depth=1
	v_cmp_ne_u16_sdwa s[16:17], v42, s9 src0_sel:BYTE_0 src1_sel:DWORD
	v_mov_b32_e32 v58, 0xffff8000
	s_and_saveexec_b64 s[14:15], s[16:17]
	s_cbranch_execz .LBB941_278
; %bb.275:                              ;   in Loop: Header=BB941_213 Depth=1
	v_bfe_u32 v56, v40, 16, 7
	v_cmp_ne_u32_e32 vcc, s21, v56
	v_mov_b32_e32 v58, 0x7f80
	s_and_saveexec_b64 s[16:17], vcc
	s_cbranch_execz .LBB941_277
; %bb.276:                              ;   in Loop: Header=BB941_213 Depth=1
	v_and_b32_e32 v60, 7, v42
	v_ffbh_u32_e32 v58, v60
	v_min_u32_e32 v62, 32, v58
	v_subrev_u32_e32 v58, 28, v62
	v_lshlrev_b64 v[58:59], v58, v[42:43]
	v_lshrrev_b32_e32 v61, 3, v56
	v_sub_u32_e32 v59, 29, v62
	v_and_b32_e32 v58, 7, v58
	v_cmp_gt_u32_e32 vcc, 8, v56
	v_cndmask_b32_e32 v56, v61, v59, vcc
	v_cndmask_b32_e32 v58, v60, v58, vcc
	v_lshlrev_b32_e32 v42, 24, v42
	v_lshlrev_b32_e32 v58, 20, v58
	v_and_b32_e32 v42, 0x80000000, v42
	v_lshl_add_u32 v56, v56, 23, v45
	v_or3_b32 v42, v42, v56, v58
	v_lshrrev_b32_e32 v58, 16, v42
.LBB941_277:                            ;   in Loop: Header=BB941_213 Depth=1
	s_or_b64 exec, exec, s[16:17]
.LBB941_278:                            ;   in Loop: Header=BB941_213 Depth=1
	s_or_b64 exec, exec, s[14:15]
.LBB941_279:                            ;   in Loop: Header=BB941_213 Depth=1
	s_or_b64 exec, exec, s[12:13]
	v_cmp_lt_u32_e32 vcc, s22, v40
	v_mov_b32_e32 v59, 0
	v_mov_b32_e32 v60, 0
	s_and_saveexec_b64 s[12:13], vcc
	s_cbranch_execz .LBB941_285
; %bb.280:                              ;   in Loop: Header=BB941_213 Depth=1
	v_lshrrev_b32_e32 v42, 24, v40
	v_cmp_ne_u32_e32 vcc, s9, v42
	v_mov_b32_e32 v60, 0xffff8000
	s_and_saveexec_b64 s[14:15], vcc
	s_cbranch_execz .LBB941_284
; %bb.281:                              ;   in Loop: Header=BB941_213 Depth=1
	v_bfe_u32 v40, v40, 24, 7
	v_cmp_ne_u32_e32 vcc, s21, v40
	v_mov_b32_e32 v60, 0x7f80
	s_and_saveexec_b64 s[16:17], vcc
	s_cbranch_execz .LBB941_283
; %bb.282:                              ;   in Loop: Header=BB941_213 Depth=1
	v_and_b32_e32 v56, 7, v42
	v_ffbh_u32_e32 v60, v56
	v_min_u32_e32 v63, 32, v60
	v_subrev_u32_e32 v60, 28, v63
	v_lshlrev_b64 v[60:61], v60, v[42:43]
	v_lshrrev_b32_e32 v62, 3, v40
	v_sub_u32_e32 v61, 29, v63
	v_and_b32_e32 v60, 7, v60
	v_cmp_gt_u32_e32 vcc, 8, v40
	v_cndmask_b32_e32 v40, v62, v61, vcc
	v_cndmask_b32_e32 v56, v56, v60, vcc
	v_lshlrev_b32_e32 v42, 24, v42
	v_lshlrev_b32_e32 v56, 20, v56
	v_and_b32_e32 v42, 0x80000000, v42
	v_lshl_add_u32 v40, v40, 23, v45
	v_or3_b32 v40, v42, v40, v56
	v_lshrrev_b32_e32 v60, 16, v40
.LBB941_283:                            ;   in Loop: Header=BB941_213 Depth=1
	s_or_b64 exec, exec, s[16:17]
.LBB941_284:                            ;   in Loop: Header=BB941_213 Depth=1
	s_or_b64 exec, exec, s[14:15]
.LBB941_285:                            ;   in Loop: Header=BB941_213 Depth=1
	s_or_b64 exec, exec, s[12:13]
	s_waitcnt vmcnt(0)
	v_cmp_ne_u16_sdwa s[14:15], v38, v43 src0_sel:BYTE_0 src1_sel:DWORD
	s_and_saveexec_b64 s[12:13], s[14:15]
	s_cbranch_execz .LBB941_291
; %bb.286:                              ;   in Loop: Header=BB941_213 Depth=1
	v_cmp_ne_u16_sdwa s[16:17], v38, s9 src0_sel:BYTE_0 src1_sel:DWORD
	v_mov_b32_e32 v59, 0xffff8000
	s_and_saveexec_b64 s[14:15], s[16:17]
	s_cbranch_execz .LBB941_290
; %bb.287:                              ;   in Loop: Header=BB941_213 Depth=1
	v_and_b32_e32 v40, 0x7f, v38
	v_cmp_ne_u32_e32 vcc, s21, v40
	v_mov_b32_e32 v59, 0x7f80
	s_and_saveexec_b64 s[16:17], vcc
	s_cbranch_execz .LBB941_289
; %bb.288:                              ;   in Loop: Header=BB941_213 Depth=1
	v_and_b32_e32 v42, 7, v38
	v_ffbh_u32_e32 v59, v42
	v_min_u32_e32 v59, 32, v59
	v_subrev_u32_e32 v61, 28, v59
	v_lshlrev_b64 v[62:63], v61, v[38:39]
	v_lshrrev_b32_e32 v56, 3, v40
	v_sub_u32_e32 v59, 29, v59
	v_and_b32_e32 v61, 7, v62
	v_cmp_gt_u32_e32 vcc, 8, v40
	v_cndmask_b32_e32 v40, v56, v59, vcc
	v_cndmask_b32_e32 v42, v42, v61, vcc
	v_lshlrev_b32_e32 v56, 24, v38
	v_lshlrev_b32_e32 v42, 20, v42
	v_and_b32_e32 v56, 0x80000000, v56
	v_lshl_add_u32 v40, v40, 23, v45
	v_or3_b32 v40, v56, v40, v42
	v_lshrrev_b32_e32 v59, 16, v40
.LBB941_289:                            ;   in Loop: Header=BB941_213 Depth=1
	s_or_b64 exec, exec, s[16:17]
.LBB941_290:                            ;   in Loop: Header=BB941_213 Depth=1
	s_or_b64 exec, exec, s[14:15]
.LBB941_291:                            ;   in Loop: Header=BB941_213 Depth=1
	s_or_b64 exec, exec, s[12:13]
	v_lshrrev_b16_e32 v40, 8, v38
	v_cmp_ne_u16_e32 vcc, 0, v40
	v_mov_b32_e32 v62, 0
	v_mov_b32_e32 v61, 0
	s_and_saveexec_b64 s[12:13], vcc
	s_cbranch_execz .LBB941_297
; %bb.292:                              ;   in Loop: Header=BB941_213 Depth=1
	v_cmp_ne_u16_e32 vcc, s9, v40
	v_mov_b32_e32 v61, 0xffff8000
	s_and_saveexec_b64 s[14:15], vcc
	s_cbranch_execz .LBB941_296
; %bb.293:                              ;   in Loop: Header=BB941_213 Depth=1
	v_and_b32_e32 v42, 0x7f, v40
	v_cmp_ne_u32_e32 vcc, s21, v42
	v_mov_b32_e32 v61, 0x7f80
	s_and_saveexec_b64 s[16:17], vcc
	s_cbranch_execz .LBB941_295
; %bb.294:                              ;   in Loop: Header=BB941_213 Depth=1
	v_and_b32_e32 v56, 7, v40
	v_ffbh_u32_e32 v63, v56
	v_min_u32_e32 v63, 32, v63
	v_subrev_u32_e32 v64, 28, v63
	v_lshlrev_b64 v[64:65], v64, v[40:41]
	v_lshrrev_b32_e32 v61, 3, v42
	v_sub_u32_e32 v40, 29, v63
	v_and_b32_e32 v63, 7, v64
	v_cmp_gt_u32_e32 vcc, 8, v42
	v_cndmask_b32_e32 v40, v61, v40, vcc
	v_cndmask_b32_e32 v42, v56, v63, vcc
	v_lshlrev_b32_e32 v56, 16, v38
	v_lshlrev_b32_e32 v42, 20, v42
	v_and_b32_e32 v56, 0x80000000, v56
	v_lshl_add_u32 v40, v40, 23, v45
	v_or3_b32 v40, v56, v40, v42
	v_lshrrev_b32_e32 v61, 16, v40
.LBB941_295:                            ;   in Loop: Header=BB941_213 Depth=1
	s_or_b64 exec, exec, s[16:17]
.LBB941_296:                            ;   in Loop: Header=BB941_213 Depth=1
	s_or_b64 exec, exec, s[14:15]
.LBB941_297:                            ;   in Loop: Header=BB941_213 Depth=1
	s_or_b64 exec, exec, s[12:13]
	v_lshrrev_b32_e32 v40, 16, v38
	v_cmp_ne_u16_sdwa s[14:15], v40, v43 src0_sel:BYTE_0 src1_sel:DWORD
	s_and_saveexec_b64 s[12:13], s[14:15]
	s_cbranch_execz .LBB941_303
; %bb.298:                              ;   in Loop: Header=BB941_213 Depth=1
	v_cmp_ne_u16_sdwa s[16:17], v40, s9 src0_sel:BYTE_0 src1_sel:DWORD
	v_mov_b32_e32 v62, 0xffff8000
	s_and_saveexec_b64 s[14:15], s[16:17]
	s_cbranch_execz .LBB941_302
; %bb.299:                              ;   in Loop: Header=BB941_213 Depth=1
	v_bfe_u32 v42, v38, 16, 7
	v_cmp_ne_u32_e32 vcc, s21, v42
	v_mov_b32_e32 v62, 0x7f80
	s_and_saveexec_b64 s[16:17], vcc
	s_cbranch_execz .LBB941_301
; %bb.300:                              ;   in Loop: Header=BB941_213 Depth=1
	v_and_b32_e32 v56, 7, v40
	v_ffbh_u32_e32 v62, v56
	v_min_u32_e32 v65, 32, v62
	v_subrev_u32_e32 v62, 28, v65
	v_lshlrev_b64 v[62:63], v62, v[40:41]
	v_lshrrev_b32_e32 v64, 3, v42
	v_sub_u32_e32 v63, 29, v65
	v_and_b32_e32 v62, 7, v62
	v_cmp_gt_u32_e32 vcc, 8, v42
	v_cndmask_b32_e32 v42, v64, v63, vcc
	v_cndmask_b32_e32 v56, v56, v62, vcc
	v_lshlrev_b32_e32 v40, 24, v40
	v_lshlrev_b32_e32 v56, 20, v56
	v_and_b32_e32 v40, 0x80000000, v40
	v_lshl_add_u32 v42, v42, 23, v45
	v_or3_b32 v40, v40, v42, v56
	v_lshrrev_b32_e32 v62, 16, v40
.LBB941_301:                            ;   in Loop: Header=BB941_213 Depth=1
	s_or_b64 exec, exec, s[16:17]
.LBB941_302:                            ;   in Loop: Header=BB941_213 Depth=1
	s_or_b64 exec, exec, s[14:15]
.LBB941_303:                            ;   in Loop: Header=BB941_213 Depth=1
	s_or_b64 exec, exec, s[12:13]
	v_cmp_lt_u32_e32 vcc, s22, v38
	v_mov_b32_e32 v56, 0
	v_mov_b32_e32 v63, 0
	s_and_saveexec_b64 s[12:13], vcc
	s_cbranch_execz .LBB941_309
; %bb.304:                              ;   in Loop: Header=BB941_213 Depth=1
	v_lshrrev_b32_e32 v40, 24, v38
	v_cmp_ne_u32_e32 vcc, s9, v40
	v_mov_b32_e32 v63, 0xffff8000
	s_and_saveexec_b64 s[14:15], vcc
	s_cbranch_execz .LBB941_308
; %bb.305:                              ;   in Loop: Header=BB941_213 Depth=1
	v_bfe_u32 v38, v38, 24, 7
	v_cmp_ne_u32_e32 vcc, s21, v38
	v_mov_b32_e32 v63, 0x7f80
	s_and_saveexec_b64 s[16:17], vcc
	s_cbranch_execz .LBB941_307
; %bb.306:                              ;   in Loop: Header=BB941_213 Depth=1
	v_and_b32_e32 v42, 7, v40
	v_ffbh_u32_e32 v64, v42
	v_min_u32_e32 v66, 32, v64
	v_subrev_u32_e32 v64, 28, v66
	v_lshlrev_b64 v[64:65], v64, v[40:41]
	v_lshrrev_b32_e32 v63, 3, v38
	v_sub_u32_e32 v65, 29, v66
	v_and_b32_e32 v64, 7, v64
	v_cmp_gt_u32_e32 vcc, 8, v38
	v_cndmask_b32_e32 v38, v63, v65, vcc
	v_cndmask_b32_e32 v42, v42, v64, vcc
	v_lshlrev_b32_e32 v40, 24, v40
	v_lshlrev_b32_e32 v42, 20, v42
	v_and_b32_e32 v40, 0x80000000, v40
	v_lshl_add_u32 v38, v38, 23, v45
	v_or3_b32 v38, v40, v38, v42
	v_lshrrev_b32_e32 v63, 16, v38
.LBB941_307:                            ;   in Loop: Header=BB941_213 Depth=1
	s_or_b64 exec, exec, s[16:17]
.LBB941_308:                            ;   in Loop: Header=BB941_213 Depth=1
	s_or_b64 exec, exec, s[14:15]
.LBB941_309:                            ;   in Loop: Header=BB941_213 Depth=1
	s_or_b64 exec, exec, s[12:13]
	v_perm_b32 v64, v57, v44, s23
	buffer_load_dword v44, v46, s[0:3], 0 offen
	buffer_load_dword v42, v46, s[0:3], 0 offen offset:4
	buffer_load_dword v40, v46, s[0:3], 0 offen offset:8
	;; [unrolled: 1-line block ×3, first 2 shown]
	v_perm_b32 v65, v60, v58, s23
	v_perm_b32 v63, v63, v62, s23
	v_perm_b32 v62, v61, v59, s23
	v_mfma_f32_16x16x16bf16_1k v[34:37], v[64:65], v[6:7], v[34:37]
	s_waitcnt vmcnt(3)
	v_cmp_ne_u16_sdwa s[14:15], v44, v43 src0_sel:BYTE_0 src1_sel:DWORD
	v_mfma_f32_16x16x16bf16_1k v[34:37], v[62:63], v[8:9], v[34:37]
	s_and_saveexec_b64 s[12:13], s[14:15]
	s_cbranch_execz .LBB941_315
; %bb.310:                              ;   in Loop: Header=BB941_213 Depth=1
	v_cmp_ne_u16_sdwa s[16:17], v44, s9 src0_sel:BYTE_0 src1_sel:DWORD
	v_mov_b32_e32 v56, 0xffff8000
	s_and_saveexec_b64 s[14:15], s[16:17]
	s_cbranch_execz .LBB941_314
; %bb.311:                              ;   in Loop: Header=BB941_213 Depth=1
	v_and_b32_e32 v46, 0x7f, v44
	v_cmp_ne_u32_e32 vcc, s21, v46
	v_mov_b32_e32 v56, 0x7f80
	s_and_saveexec_b64 s[16:17], vcc
	s_cbranch_execz .LBB941_313
; %bb.312:                              ;   in Loop: Header=BB941_213 Depth=1
	v_and_b32_e32 v58, 7, v44
	v_ffbh_u32_e32 v56, v58
	v_min_u32_e32 v60, 32, v56
	v_subrev_u32_e32 v56, 28, v60
	v_lshlrev_b64 v[56:57], v56, v[44:45]
	v_lshrrev_b32_e32 v59, 3, v46
	v_sub_u32_e32 v57, 29, v60
	v_and_b32_e32 v56, 7, v56
	v_cmp_gt_u32_e32 vcc, 8, v46
	v_cndmask_b32_e32 v46, v59, v57, vcc
	v_cndmask_b32_e32 v56, v58, v56, vcc
	v_lshlrev_b32_e32 v57, 24, v44
	v_lshlrev_b32_e32 v56, 20, v56
	v_and_b32_e32 v57, 0x80000000, v57
	v_lshl_add_u32 v46, v46, 23, v45
	v_or3_b32 v46, v57, v46, v56
	v_lshrrev_b32_e32 v56, 16, v46
.LBB941_313:                            ;   in Loop: Header=BB941_213 Depth=1
	s_or_b64 exec, exec, s[16:17]
.LBB941_314:                            ;   in Loop: Header=BB941_213 Depth=1
	s_or_b64 exec, exec, s[14:15]
.LBB941_315:                            ;   in Loop: Header=BB941_213 Depth=1
	s_or_b64 exec, exec, s[12:13]
	v_lshrrev_b16_e32 v46, 8, v44
	v_cmp_ne_u16_e32 vcc, 0, v46
	v_mov_b32_e32 v58, 0
	v_mov_b32_e32 v57, 0
	s_and_saveexec_b64 s[12:13], vcc
	s_cbranch_execz .LBB941_321
; %bb.316:                              ;   in Loop: Header=BB941_213 Depth=1
	v_cmp_ne_u16_e32 vcc, s9, v46
	v_mov_b32_e32 v57, 0xffff8000
	s_and_saveexec_b64 s[14:15], vcc
	s_cbranch_execz .LBB941_320
; %bb.317:                              ;   in Loop: Header=BB941_213 Depth=1
	v_and_b32_e32 v59, 0x7f, v46
	v_cmp_ne_u32_e32 vcc, s21, v59
	v_mov_b32_e32 v57, 0x7f80
	s_and_saveexec_b64 s[16:17], vcc
	s_cbranch_execz .LBB941_319
; %bb.318:                              ;   in Loop: Header=BB941_213 Depth=1
	v_and_b32_e32 v57, 7, v46
	v_ffbh_u32_e32 v60, v57
	v_min_u32_e32 v63, 32, v60
	v_subrev_u32_e32 v60, 28, v63
	v_lshlrev_b64 v[60:61], v60, v[46:47]
	v_lshrrev_b32_e32 v62, 3, v59
	v_sub_u32_e32 v46, 29, v63
	v_and_b32_e32 v60, 7, v60
	v_cmp_gt_u32_e32 vcc, 8, v59
	v_cndmask_b32_e32 v46, v62, v46, vcc
	v_cndmask_b32_e32 v57, v57, v60, vcc
	v_lshlrev_b32_e32 v59, 16, v44
	v_lshlrev_b32_e32 v57, 20, v57
	v_and_b32_e32 v59, 0x80000000, v59
	v_lshl_add_u32 v46, v46, 23, v45
	v_or3_b32 v46, v59, v46, v57
	v_lshrrev_b32_e32 v57, 16, v46
.LBB941_319:                            ;   in Loop: Header=BB941_213 Depth=1
	s_or_b64 exec, exec, s[16:17]
.LBB941_320:                            ;   in Loop: Header=BB941_213 Depth=1
	s_or_b64 exec, exec, s[14:15]
.LBB941_321:                            ;   in Loop: Header=BB941_213 Depth=1
	s_or_b64 exec, exec, s[12:13]
	v_lshrrev_b32_e32 v46, 16, v44
	v_cmp_ne_u16_sdwa s[14:15], v46, v43 src0_sel:BYTE_0 src1_sel:DWORD
	s_and_saveexec_b64 s[12:13], s[14:15]
	s_cbranch_execz .LBB941_327
; %bb.322:                              ;   in Loop: Header=BB941_213 Depth=1
	v_cmp_ne_u16_sdwa s[16:17], v46, s9 src0_sel:BYTE_0 src1_sel:DWORD
	v_mov_b32_e32 v58, 0xffff8000
	s_and_saveexec_b64 s[14:15], s[16:17]
	s_cbranch_execz .LBB941_326
; %bb.323:                              ;   in Loop: Header=BB941_213 Depth=1
	v_bfe_u32 v59, v44, 16, 7
	v_cmp_ne_u32_e32 vcc, s21, v59
	v_mov_b32_e32 v58, 0x7f80
	s_and_saveexec_b64 s[16:17], vcc
	s_cbranch_execz .LBB941_325
; %bb.324:                              ;   in Loop: Header=BB941_213 Depth=1
	v_and_b32_e32 v58, 7, v46
	v_ffbh_u32_e32 v60, v58
	v_min_u32_e32 v63, 32, v60
	v_subrev_u32_e32 v60, 28, v63
	v_lshlrev_b64 v[60:61], v60, v[46:47]
	v_lshrrev_b32_e32 v62, 3, v59
	v_sub_u32_e32 v61, 29, v63
	v_and_b32_e32 v60, 7, v60
	v_cmp_gt_u32_e32 vcc, 8, v59
	v_cndmask_b32_e32 v59, v62, v61, vcc
	v_cndmask_b32_e32 v58, v58, v60, vcc
	v_lshlrev_b32_e32 v46, 24, v46
	v_lshlrev_b32_e32 v58, 20, v58
	v_and_b32_e32 v46, 0x80000000, v46
	v_lshl_add_u32 v59, v59, 23, v45
	v_or3_b32 v46, v46, v59, v58
	v_lshrrev_b32_e32 v58, 16, v46
.LBB941_325:                            ;   in Loop: Header=BB941_213 Depth=1
	s_or_b64 exec, exec, s[16:17]
.LBB941_326:                            ;   in Loop: Header=BB941_213 Depth=1
	s_or_b64 exec, exec, s[14:15]
.LBB941_327:                            ;   in Loop: Header=BB941_213 Depth=1
	s_or_b64 exec, exec, s[12:13]
	v_cmp_lt_u32_e32 vcc, s22, v44
	v_mov_b32_e32 v59, 0
	v_mov_b32_e32 v60, 0
	s_and_saveexec_b64 s[12:13], vcc
	s_cbranch_execz .LBB941_333
; %bb.328:                              ;   in Loop: Header=BB941_213 Depth=1
	v_lshrrev_b32_e32 v46, 24, v44
	v_cmp_ne_u32_e32 vcc, s9, v46
	v_mov_b32_e32 v60, 0xffff8000
	s_and_saveexec_b64 s[14:15], vcc
	s_cbranch_execz .LBB941_332
; %bb.329:                              ;   in Loop: Header=BB941_213 Depth=1
	v_bfe_u32 v44, v44, 24, 7
	v_cmp_ne_u32_e32 vcc, s21, v44
	v_mov_b32_e32 v60, 0x7f80
	s_and_saveexec_b64 s[16:17], vcc
	s_cbranch_execz .LBB941_331
; %bb.330:                              ;   in Loop: Header=BB941_213 Depth=1
	v_and_b32_e32 v62, 7, v46
	v_ffbh_u32_e32 v60, v62
	v_min_u32_e32 v64, 32, v60
	v_subrev_u32_e32 v60, 28, v64
	v_lshlrev_b64 v[60:61], v60, v[46:47]
	v_lshrrev_b32_e32 v63, 3, v44
	v_sub_u32_e32 v61, 29, v64
	v_and_b32_e32 v60, 7, v60
	v_cmp_gt_u32_e32 vcc, 8, v44
	v_cndmask_b32_e32 v44, v63, v61, vcc
	v_cndmask_b32_e32 v60, v62, v60, vcc
	v_lshlrev_b32_e32 v46, 24, v46
	v_lshlrev_b32_e32 v60, 20, v60
	v_and_b32_e32 v46, 0x80000000, v46
	v_lshl_add_u32 v44, v44, 23, v45
	v_or3_b32 v44, v46, v44, v60
	v_lshrrev_b32_e32 v60, 16, v44
.LBB941_331:                            ;   in Loop: Header=BB941_213 Depth=1
	s_or_b64 exec, exec, s[16:17]
.LBB941_332:                            ;   in Loop: Header=BB941_213 Depth=1
	s_or_b64 exec, exec, s[14:15]
.LBB941_333:                            ;   in Loop: Header=BB941_213 Depth=1
	s_or_b64 exec, exec, s[12:13]
	s_waitcnt vmcnt(2)
	v_cmp_ne_u16_sdwa s[14:15], v42, v43 src0_sel:BYTE_0 src1_sel:DWORD
	s_and_saveexec_b64 s[12:13], s[14:15]
	s_cbranch_execz .LBB941_339
; %bb.334:                              ;   in Loop: Header=BB941_213 Depth=1
	v_cmp_ne_u16_sdwa s[16:17], v42, s9 src0_sel:BYTE_0 src1_sel:DWORD
	v_mov_b32_e32 v59, 0xffff8000
	s_and_saveexec_b64 s[14:15], s[16:17]
	s_cbranch_execz .LBB941_338
; %bb.335:                              ;   in Loop: Header=BB941_213 Depth=1
	v_and_b32_e32 v44, 0x7f, v42
	v_cmp_ne_u32_e32 vcc, s21, v44
	v_mov_b32_e32 v59, 0x7f80
	s_and_saveexec_b64 s[16:17], vcc
	s_cbranch_execz .LBB941_337
; %bb.336:                              ;   in Loop: Header=BB941_213 Depth=1
	v_and_b32_e32 v46, 7, v42
	v_ffbh_u32_e32 v61, v46
	v_min_u32_e32 v61, 32, v61
	v_subrev_u32_e32 v62, 28, v61
	v_lshlrev_b64 v[62:63], v62, v[42:43]
	v_lshrrev_b32_e32 v59, 3, v44
	v_sub_u32_e32 v61, 29, v61
	v_and_b32_e32 v62, 7, v62
	v_cmp_gt_u32_e32 vcc, 8, v44
	v_cndmask_b32_e32 v44, v59, v61, vcc
	v_cndmask_b32_e32 v46, v46, v62, vcc
	v_lshlrev_b32_e32 v59, 24, v42
	v_lshlrev_b32_e32 v46, 20, v46
	v_and_b32_e32 v59, 0x80000000, v59
	v_lshl_add_u32 v44, v44, 23, v45
	v_or3_b32 v44, v59, v44, v46
	v_lshrrev_b32_e32 v59, 16, v44
.LBB941_337:                            ;   in Loop: Header=BB941_213 Depth=1
	s_or_b64 exec, exec, s[16:17]
.LBB941_338:                            ;   in Loop: Header=BB941_213 Depth=1
	s_or_b64 exec, exec, s[14:15]
.LBB941_339:                            ;   in Loop: Header=BB941_213 Depth=1
	s_or_b64 exec, exec, s[12:13]
	v_lshrrev_b16_e32 v44, 8, v42
	v_cmp_ne_u16_e32 vcc, 0, v44
	v_mov_b32_e32 v62, 0
	v_mov_b32_e32 v61, 0
	s_and_saveexec_b64 s[12:13], vcc
	s_cbranch_execz .LBB941_345
; %bb.340:                              ;   in Loop: Header=BB941_213 Depth=1
	v_cmp_ne_u16_e32 vcc, s9, v44
	v_mov_b32_e32 v61, 0xffff8000
	s_and_saveexec_b64 s[14:15], vcc
	s_cbranch_execz .LBB941_344
; %bb.341:                              ;   in Loop: Header=BB941_213 Depth=1
	v_and_b32_e32 v46, 0x7f, v44
	v_cmp_ne_u32_e32 vcc, s21, v46
	v_mov_b32_e32 v61, 0x7f80
	s_and_saveexec_b64 s[16:17], vcc
	s_cbranch_execz .LBB941_343
; %bb.342:                              ;   in Loop: Header=BB941_213 Depth=1
	v_and_b32_e32 v61, 7, v44
	v_ffbh_u32_e32 v64, v61
	v_min_u32_e32 v66, 32, v64
	v_subrev_u32_e32 v64, 28, v66
	v_lshlrev_b64 v[64:65], v64, v[44:45]
	v_lshrrev_b32_e32 v63, 3, v46
	v_sub_u32_e32 v44, 29, v66
	v_and_b32_e32 v64, 7, v64
	v_cmp_gt_u32_e32 vcc, 8, v46
	v_cndmask_b32_e32 v44, v63, v44, vcc
	v_cndmask_b32_e32 v46, v61, v64, vcc
	v_lshlrev_b32_e32 v61, 16, v42
	v_lshlrev_b32_e32 v46, 20, v46
	v_and_b32_e32 v61, 0x80000000, v61
	v_lshl_add_u32 v44, v44, 23, v45
	v_or3_b32 v44, v61, v44, v46
	v_lshrrev_b32_e32 v61, 16, v44
.LBB941_343:                            ;   in Loop: Header=BB941_213 Depth=1
	s_or_b64 exec, exec, s[16:17]
.LBB941_344:                            ;   in Loop: Header=BB941_213 Depth=1
	s_or_b64 exec, exec, s[14:15]
.LBB941_345:                            ;   in Loop: Header=BB941_213 Depth=1
	s_or_b64 exec, exec, s[12:13]
	v_lshrrev_b32_e32 v44, 16, v42
	v_cmp_ne_u16_sdwa s[14:15], v44, v43 src0_sel:BYTE_0 src1_sel:DWORD
	s_and_saveexec_b64 s[12:13], s[14:15]
	s_cbranch_execz .LBB941_351
; %bb.346:                              ;   in Loop: Header=BB941_213 Depth=1
	v_cmp_ne_u16_sdwa s[16:17], v44, s9 src0_sel:BYTE_0 src1_sel:DWORD
	v_mov_b32_e32 v62, 0xffff8000
	s_and_saveexec_b64 s[14:15], s[16:17]
	s_cbranch_execz .LBB941_350
; %bb.347:                              ;   in Loop: Header=BB941_213 Depth=1
	v_bfe_u32 v46, v42, 16, 7
	v_cmp_ne_u32_e32 vcc, s21, v46
	v_mov_b32_e32 v62, 0x7f80
	s_and_saveexec_b64 s[16:17], vcc
	s_cbranch_execz .LBB941_349
; %bb.348:                              ;   in Loop: Header=BB941_213 Depth=1
	v_and_b32_e32 v64, 7, v44
	v_ffbh_u32_e32 v62, v64
	v_min_u32_e32 v66, 32, v62
	v_subrev_u32_e32 v62, 28, v66
	v_lshlrev_b64 v[62:63], v62, v[44:45]
	v_lshrrev_b32_e32 v65, 3, v46
	v_sub_u32_e32 v63, 29, v66
	v_and_b32_e32 v62, 7, v62
	v_cmp_gt_u32_e32 vcc, 8, v46
	v_cndmask_b32_e32 v46, v65, v63, vcc
	v_cndmask_b32_e32 v62, v64, v62, vcc
	v_lshlrev_b32_e32 v44, 24, v44
	v_lshlrev_b32_e32 v62, 20, v62
	v_and_b32_e32 v44, 0x80000000, v44
	v_lshl_add_u32 v46, v46, 23, v45
	v_or3_b32 v44, v44, v46, v62
	v_lshrrev_b32_e32 v62, 16, v44
.LBB941_349:                            ;   in Loop: Header=BB941_213 Depth=1
	s_or_b64 exec, exec, s[16:17]
.LBB941_350:                            ;   in Loop: Header=BB941_213 Depth=1
	s_or_b64 exec, exec, s[14:15]
.LBB941_351:                            ;   in Loop: Header=BB941_213 Depth=1
	s_or_b64 exec, exec, s[12:13]
	v_cmp_lt_u32_e32 vcc, s22, v42
	v_mov_b32_e32 v46, 0
	v_mov_b32_e32 v63, 0
	s_and_saveexec_b64 s[12:13], vcc
	s_cbranch_execz .LBB941_357
; %bb.352:                              ;   in Loop: Header=BB941_213 Depth=1
	v_lshrrev_b32_e32 v44, 24, v42
	v_cmp_ne_u32_e32 vcc, s9, v44
	v_mov_b32_e32 v63, 0xffff8000
	s_and_saveexec_b64 s[14:15], vcc
	s_cbranch_execz .LBB941_356
; %bb.353:                              ;   in Loop: Header=BB941_213 Depth=1
	v_bfe_u32 v42, v42, 24, 7
	v_cmp_ne_u32_e32 vcc, s21, v42
	v_mov_b32_e32 v63, 0x7f80
	s_and_saveexec_b64 s[16:17], vcc
	s_cbranch_execz .LBB941_355
; %bb.354:                              ;   in Loop: Header=BB941_213 Depth=1
	v_and_b32_e32 v63, 7, v44
	v_ffbh_u32_e32 v64, v63
	v_min_u32_e32 v67, 32, v64
	v_subrev_u32_e32 v64, 28, v67
	v_lshlrev_b64 v[64:65], v64, v[44:45]
	v_lshrrev_b32_e32 v66, 3, v42
	v_sub_u32_e32 v65, 29, v67
	v_and_b32_e32 v64, 7, v64
	v_cmp_gt_u32_e32 vcc, 8, v42
	v_cndmask_b32_e32 v42, v66, v65, vcc
	v_cndmask_b32_e32 v63, v63, v64, vcc
	v_lshlrev_b32_e32 v44, 24, v44
	v_lshlrev_b32_e32 v63, 20, v63
	v_and_b32_e32 v44, 0x80000000, v44
	v_lshl_add_u32 v42, v42, 23, v45
	v_or3_b32 v42, v44, v42, v63
	v_lshrrev_b32_e32 v63, 16, v42
.LBB941_355:                            ;   in Loop: Header=BB941_213 Depth=1
	s_or_b64 exec, exec, s[16:17]
.LBB941_356:                            ;   in Loop: Header=BB941_213 Depth=1
	s_or_b64 exec, exec, s[14:15]
.LBB941_357:                            ;   in Loop: Header=BB941_213 Depth=1
	s_or_b64 exec, exec, s[12:13]
	v_perm_b32 v65, v60, v58, s23
	v_perm_b32 v64, v57, v56, s23
	;; [unrolled: 1-line block ×4, first 2 shown]
	s_waitcnt vmcnt(1)
	v_cmp_ne_u16_sdwa s[14:15], v40, v43 src0_sel:BYTE_0 src1_sel:DWORD
	v_mfma_f32_16x16x16bf16_1k v[34:37], v[64:65], v[10:11], v[34:37]
	v_mfma_f32_16x16x16bf16_1k v[34:37], v[56:57], v[12:13], v[34:37]
	s_and_saveexec_b64 s[12:13], s[14:15]
	s_cbranch_execz .LBB941_363
; %bb.358:                              ;   in Loop: Header=BB941_213 Depth=1
	v_cmp_ne_u16_sdwa s[16:17], v40, s9 src0_sel:BYTE_0 src1_sel:DWORD
	v_mov_b32_e32 v46, 0xffff8000
	s_and_saveexec_b64 s[14:15], s[16:17]
	s_cbranch_execz .LBB941_362
; %bb.359:                              ;   in Loop: Header=BB941_213 Depth=1
	v_and_b32_e32 v42, 0x7f, v40
	v_cmp_ne_u32_e32 vcc, s21, v42
	v_mov_b32_e32 v46, 0x7f80
	s_and_saveexec_b64 s[16:17], vcc
	s_cbranch_execz .LBB941_361
; %bb.360:                              ;   in Loop: Header=BB941_213 Depth=1
	v_and_b32_e32 v44, 7, v40
	v_ffbh_u32_e32 v56, v44
	v_min_u32_e32 v58, 32, v56
	v_subrev_u32_e32 v56, 28, v58
	v_lshlrev_b64 v[56:57], v56, v[40:41]
	v_lshrrev_b32_e32 v46, 3, v42
	v_sub_u32_e32 v57, 29, v58
	v_and_b32_e32 v56, 7, v56
	v_cmp_gt_u32_e32 vcc, 8, v42
	v_cndmask_b32_e32 v42, v46, v57, vcc
	v_cndmask_b32_e32 v44, v44, v56, vcc
	v_lshlrev_b32_e32 v46, 24, v40
	v_lshlrev_b32_e32 v44, 20, v44
	v_and_b32_e32 v46, 0x80000000, v46
	v_lshl_add_u32 v42, v42, 23, v45
	v_or3_b32 v42, v46, v42, v44
	v_lshrrev_b32_e32 v46, 16, v42
.LBB941_361:                            ;   in Loop: Header=BB941_213 Depth=1
	s_or_b64 exec, exec, s[16:17]
.LBB941_362:                            ;   in Loop: Header=BB941_213 Depth=1
	s_or_b64 exec, exec, s[14:15]
.LBB941_363:                            ;   in Loop: Header=BB941_213 Depth=1
	s_or_b64 exec, exec, s[12:13]
	v_lshrrev_b16_e32 v42, 8, v40
	v_cmp_ne_u16_e32 vcc, 0, v42
	v_mov_b32_e32 v57, 0
	v_mov_b32_e32 v44, 0
	s_and_saveexec_b64 s[12:13], vcc
	s_cbranch_execz .LBB941_369
; %bb.364:                              ;   in Loop: Header=BB941_213 Depth=1
	v_cmp_ne_u16_e32 vcc, s9, v42
	v_mov_b32_e32 v44, 0xffff8000
	s_and_saveexec_b64 s[14:15], vcc
	s_cbranch_execz .LBB941_368
; %bb.365:                              ;   in Loop: Header=BB941_213 Depth=1
	v_and_b32_e32 v56, 0x7f, v42
	v_cmp_ne_u32_e32 vcc, s21, v56
	v_mov_b32_e32 v44, 0x7f80
	s_and_saveexec_b64 s[16:17], vcc
	s_cbranch_execz .LBB941_367
; %bb.366:                              ;   in Loop: Header=BB941_213 Depth=1
	v_and_b32_e32 v44, 7, v42
	v_ffbh_u32_e32 v58, v44
	v_min_u32_e32 v61, 32, v58
	v_subrev_u32_e32 v58, 28, v61
	v_lshlrev_b64 v[58:59], v58, v[42:43]
	v_lshrrev_b32_e32 v60, 3, v56
	v_sub_u32_e32 v42, 29, v61
	v_and_b32_e32 v58, 7, v58
	v_cmp_gt_u32_e32 vcc, 8, v56
	v_cndmask_b32_e32 v42, v60, v42, vcc
	v_cndmask_b32_e32 v44, v44, v58, vcc
	v_lshlrev_b32_e32 v56, 16, v40
	v_lshlrev_b32_e32 v44, 20, v44
	v_and_b32_e32 v56, 0x80000000, v56
	v_lshl_add_u32 v42, v42, 23, v45
	v_or3_b32 v42, v56, v42, v44
	v_lshrrev_b32_e32 v44, 16, v42
.LBB941_367:                            ;   in Loop: Header=BB941_213 Depth=1
	s_or_b64 exec, exec, s[16:17]
.LBB941_368:                            ;   in Loop: Header=BB941_213 Depth=1
	s_or_b64 exec, exec, s[14:15]
.LBB941_369:                            ;   in Loop: Header=BB941_213 Depth=1
	s_or_b64 exec, exec, s[12:13]
	v_lshrrev_b32_e32 v42, 16, v40
	v_cmp_ne_u16_sdwa s[14:15], v42, v43 src0_sel:BYTE_0 src1_sel:DWORD
	s_and_saveexec_b64 s[12:13], s[14:15]
	s_cbranch_execz .LBB941_375
; %bb.370:                              ;   in Loop: Header=BB941_213 Depth=1
	v_cmp_ne_u16_sdwa s[16:17], v42, s9 src0_sel:BYTE_0 src1_sel:DWORD
	v_mov_b32_e32 v57, 0xffff8000
	s_and_saveexec_b64 s[14:15], s[16:17]
	s_cbranch_execz .LBB941_374
; %bb.371:                              ;   in Loop: Header=BB941_213 Depth=1
	v_bfe_u32 v56, v40, 16, 7
	v_cmp_ne_u32_e32 vcc, s21, v56
	v_mov_b32_e32 v57, 0x7f80
	s_and_saveexec_b64 s[16:17], vcc
	s_cbranch_execz .LBB941_373
; %bb.372:                              ;   in Loop: Header=BB941_213 Depth=1
	v_and_b32_e32 v57, 7, v42
	v_ffbh_u32_e32 v58, v57
	v_min_u32_e32 v61, 32, v58
	v_subrev_u32_e32 v58, 28, v61
	v_lshlrev_b64 v[58:59], v58, v[42:43]
	v_lshrrev_b32_e32 v60, 3, v56
	v_sub_u32_e32 v59, 29, v61
	v_and_b32_e32 v58, 7, v58
	v_cmp_gt_u32_e32 vcc, 8, v56
	v_cndmask_b32_e32 v56, v60, v59, vcc
	v_cndmask_b32_e32 v57, v57, v58, vcc
	v_lshlrev_b32_e32 v42, 24, v42
	v_lshlrev_b32_e32 v57, 20, v57
	v_and_b32_e32 v42, 0x80000000, v42
	v_lshl_add_u32 v56, v56, 23, v45
	v_or3_b32 v42, v42, v56, v57
	v_lshrrev_b32_e32 v57, 16, v42
.LBB941_373:                            ;   in Loop: Header=BB941_213 Depth=1
	s_or_b64 exec, exec, s[16:17]
.LBB941_374:                            ;   in Loop: Header=BB941_213 Depth=1
	s_or_b64 exec, exec, s[14:15]
.LBB941_375:                            ;   in Loop: Header=BB941_213 Depth=1
	s_or_b64 exec, exec, s[12:13]
	v_cmp_lt_u32_e32 vcc, s22, v40
	v_mov_b32_e32 v58, 0
	v_mov_b32_e32 v59, 0
	s_and_saveexec_b64 s[12:13], vcc
	s_cbranch_execz .LBB941_381
; %bb.376:                              ;   in Loop: Header=BB941_213 Depth=1
	v_lshrrev_b32_e32 v42, 24, v40
	v_cmp_ne_u32_e32 vcc, s9, v42
	v_mov_b32_e32 v59, 0xffff8000
	s_and_saveexec_b64 s[14:15], vcc
	s_cbranch_execz .LBB941_380
; %bb.377:                              ;   in Loop: Header=BB941_213 Depth=1
	v_bfe_u32 v40, v40, 24, 7
	v_cmp_ne_u32_e32 vcc, s21, v40
	v_mov_b32_e32 v59, 0x7f80
	s_and_saveexec_b64 s[16:17], vcc
	s_cbranch_execz .LBB941_379
; %bb.378:                              ;   in Loop: Header=BB941_213 Depth=1
	v_and_b32_e32 v56, 7, v42
	v_ffbh_u32_e32 v60, v56
	v_min_u32_e32 v62, 32, v60
	v_subrev_u32_e32 v60, 28, v62
	v_lshlrev_b64 v[60:61], v60, v[42:43]
	v_lshrrev_b32_e32 v59, 3, v40
	v_sub_u32_e32 v61, 29, v62
	v_and_b32_e32 v60, 7, v60
	v_cmp_gt_u32_e32 vcc, 8, v40
	v_cndmask_b32_e32 v40, v59, v61, vcc
	v_cndmask_b32_e32 v56, v56, v60, vcc
	v_lshlrev_b32_e32 v42, 24, v42
	v_lshlrev_b32_e32 v56, 20, v56
	v_and_b32_e32 v42, 0x80000000, v42
	v_lshl_add_u32 v40, v40, 23, v45
	v_or3_b32 v40, v42, v40, v56
	v_lshrrev_b32_e32 v59, 16, v40
.LBB941_379:                            ;   in Loop: Header=BB941_213 Depth=1
	s_or_b64 exec, exec, s[16:17]
.LBB941_380:                            ;   in Loop: Header=BB941_213 Depth=1
	s_or_b64 exec, exec, s[14:15]
.LBB941_381:                            ;   in Loop: Header=BB941_213 Depth=1
	s_or_b64 exec, exec, s[12:13]
	s_waitcnt vmcnt(0)
	v_cmp_ne_u16_sdwa s[14:15], v38, v43 src0_sel:BYTE_0 src1_sel:DWORD
	s_and_saveexec_b64 s[12:13], s[14:15]
	s_cbranch_execz .LBB941_387
; %bb.382:                              ;   in Loop: Header=BB941_213 Depth=1
	v_cmp_ne_u16_sdwa s[16:17], v38, s9 src0_sel:BYTE_0 src1_sel:DWORD
	v_mov_b32_e32 v58, 0xffff8000
	s_and_saveexec_b64 s[14:15], s[16:17]
	s_cbranch_execz .LBB941_386
; %bb.383:                              ;   in Loop: Header=BB941_213 Depth=1
	v_and_b32_e32 v40, 0x7f, v38
	v_cmp_ne_u32_e32 vcc, s21, v40
	v_mov_b32_e32 v58, 0x7f80
	s_and_saveexec_b64 s[16:17], vcc
	s_cbranch_execz .LBB941_385
; %bb.384:                              ;   in Loop: Header=BB941_213 Depth=1
	v_and_b32_e32 v42, 7, v38
	v_ffbh_u32_e32 v58, v42
	v_min_u32_e32 v58, 32, v58
	v_subrev_u32_e32 v60, 28, v58
	v_lshlrev_b64 v[60:61], v60, v[38:39]
	v_lshrrev_b32_e32 v56, 3, v40
	v_sub_u32_e32 v58, 29, v58
	v_and_b32_e32 v60, 7, v60
	v_cmp_gt_u32_e32 vcc, 8, v40
	v_cndmask_b32_e32 v40, v56, v58, vcc
	v_cndmask_b32_e32 v42, v42, v60, vcc
	v_lshlrev_b32_e32 v56, 24, v38
	v_lshlrev_b32_e32 v42, 20, v42
	v_and_b32_e32 v56, 0x80000000, v56
	v_lshl_add_u32 v40, v40, 23, v45
	v_or3_b32 v40, v56, v40, v42
	v_lshrrev_b32_e32 v58, 16, v40
.LBB941_385:                            ;   in Loop: Header=BB941_213 Depth=1
	s_or_b64 exec, exec, s[16:17]
.LBB941_386:                            ;   in Loop: Header=BB941_213 Depth=1
	s_or_b64 exec, exec, s[14:15]
.LBB941_387:                            ;   in Loop: Header=BB941_213 Depth=1
	s_or_b64 exec, exec, s[12:13]
	v_lshrrev_b16_e32 v40, 8, v38
	v_cmp_ne_u16_e32 vcc, 0, v40
	v_mov_b32_e32 v61, 0
	v_mov_b32_e32 v60, 0
	s_and_saveexec_b64 s[12:13], vcc
	s_cbranch_execz .LBB941_393
; %bb.388:                              ;   in Loop: Header=BB941_213 Depth=1
	v_cmp_ne_u16_e32 vcc, s9, v40
	v_mov_b32_e32 v60, 0xffff8000
	s_and_saveexec_b64 s[14:15], vcc
	s_cbranch_execz .LBB941_392
; %bb.389:                              ;   in Loop: Header=BB941_213 Depth=1
	v_and_b32_e32 v42, 0x7f, v40
	v_cmp_ne_u32_e32 vcc, s21, v42
	v_mov_b32_e32 v60, 0x7f80
	s_and_saveexec_b64 s[16:17], vcc
	s_cbranch_execz .LBB941_391
; %bb.390:                              ;   in Loop: Header=BB941_213 Depth=1
	v_and_b32_e32 v56, 7, v40
	v_ffbh_u32_e32 v62, v56
	v_min_u32_e32 v64, 32, v62
	v_subrev_u32_e32 v62, 28, v64
	v_lshlrev_b64 v[62:63], v62, v[40:41]
	v_lshrrev_b32_e32 v60, 3, v42
	v_sub_u32_e32 v40, 29, v64
	v_and_b32_e32 v62, 7, v62
	v_cmp_gt_u32_e32 vcc, 8, v42
	v_cndmask_b32_e32 v40, v60, v40, vcc
	v_cndmask_b32_e32 v42, v56, v62, vcc
	v_lshlrev_b32_e32 v56, 16, v38
	v_lshlrev_b32_e32 v42, 20, v42
	v_and_b32_e32 v56, 0x80000000, v56
	v_lshl_add_u32 v40, v40, 23, v45
	v_or3_b32 v40, v56, v40, v42
	v_lshrrev_b32_e32 v60, 16, v40
.LBB941_391:                            ;   in Loop: Header=BB941_213 Depth=1
	s_or_b64 exec, exec, s[16:17]
.LBB941_392:                            ;   in Loop: Header=BB941_213 Depth=1
	s_or_b64 exec, exec, s[14:15]
.LBB941_393:                            ;   in Loop: Header=BB941_213 Depth=1
	s_or_b64 exec, exec, s[12:13]
	v_lshrrev_b32_e32 v40, 16, v38
	v_cmp_ne_u16_sdwa s[14:15], v40, v43 src0_sel:BYTE_0 src1_sel:DWORD
	s_and_saveexec_b64 s[12:13], s[14:15]
	s_cbranch_execz .LBB941_399
; %bb.394:                              ;   in Loop: Header=BB941_213 Depth=1
	v_cmp_ne_u16_sdwa s[16:17], v40, s9 src0_sel:BYTE_0 src1_sel:DWORD
	v_mov_b32_e32 v61, 0xffff8000
	s_and_saveexec_b64 s[14:15], s[16:17]
	s_cbranch_execz .LBB941_398
; %bb.395:                              ;   in Loop: Header=BB941_213 Depth=1
	v_bfe_u32 v42, v38, 16, 7
	v_cmp_ne_u32_e32 vcc, s21, v42
	v_mov_b32_e32 v61, 0x7f80
	s_and_saveexec_b64 s[16:17], vcc
	s_cbranch_execz .LBB941_397
; %bb.396:                              ;   in Loop: Header=BB941_213 Depth=1
	v_and_b32_e32 v56, 7, v40
	v_ffbh_u32_e32 v62, v56
	v_min_u32_e32 v64, 32, v62
	v_subrev_u32_e32 v62, 28, v64
	v_lshlrev_b64 v[62:63], v62, v[40:41]
	v_lshrrev_b32_e32 v61, 3, v42
	v_sub_u32_e32 v63, 29, v64
	v_and_b32_e32 v62, 7, v62
	v_cmp_gt_u32_e32 vcc, 8, v42
	v_cndmask_b32_e32 v42, v61, v63, vcc
	v_cndmask_b32_e32 v56, v56, v62, vcc
	v_lshlrev_b32_e32 v40, 24, v40
	v_lshlrev_b32_e32 v56, 20, v56
	v_and_b32_e32 v40, 0x80000000, v40
	v_lshl_add_u32 v42, v42, 23, v45
	v_or3_b32 v40, v40, v42, v56
	v_lshrrev_b32_e32 v61, 16, v40
.LBB941_397:                            ;   in Loop: Header=BB941_213 Depth=1
	s_or_b64 exec, exec, s[16:17]
.LBB941_398:                            ;   in Loop: Header=BB941_213 Depth=1
	s_or_b64 exec, exec, s[14:15]
.LBB941_399:                            ;   in Loop: Header=BB941_213 Depth=1
	s_or_b64 exec, exec, s[12:13]
	v_cmp_lt_u32_e32 vcc, s22, v38
	v_mov_b32_e32 v56, 0
	v_mov_b32_e32 v62, 0
	s_and_saveexec_b64 s[12:13], vcc
	s_cbranch_execz .LBB941_405
; %bb.400:                              ;   in Loop: Header=BB941_213 Depth=1
	v_lshrrev_b32_e32 v40, 24, v38
	v_cmp_ne_u32_e32 vcc, s9, v40
	v_mov_b32_e32 v62, 0xffff8000
	s_and_saveexec_b64 s[14:15], vcc
	s_cbranch_execz .LBB941_404
; %bb.401:                              ;   in Loop: Header=BB941_213 Depth=1
	v_bfe_u32 v38, v38, 24, 7
	v_cmp_ne_u32_e32 vcc, s21, v38
	v_mov_b32_e32 v62, 0x7f80
	s_and_saveexec_b64 s[16:17], vcc
	s_cbranch_execz .LBB941_403
; %bb.402:                              ;   in Loop: Header=BB941_213 Depth=1
	v_and_b32_e32 v42, 7, v40
	v_ffbh_u32_e32 v62, v42
	v_min_u32_e32 v65, 32, v62
	v_subrev_u32_e32 v62, 28, v65
	v_lshlrev_b64 v[62:63], v62, v[40:41]
	v_lshrrev_b32_e32 v64, 3, v38
	v_sub_u32_e32 v63, 29, v65
	v_and_b32_e32 v62, 7, v62
	v_cmp_gt_u32_e32 vcc, 8, v38
	v_cndmask_b32_e32 v38, v64, v63, vcc
	v_cndmask_b32_e32 v42, v42, v62, vcc
	v_lshlrev_b32_e32 v40, 24, v40
	v_lshlrev_b32_e32 v42, 20, v42
	v_and_b32_e32 v40, 0x80000000, v40
	v_lshl_add_u32 v38, v38, 23, v45
	v_or3_b32 v38, v40, v38, v42
	v_lshrrev_b32_e32 v62, 16, v38
.LBB941_403:                            ;   in Loop: Header=BB941_213 Depth=1
	s_or_b64 exec, exec, s[16:17]
.LBB941_404:                            ;   in Loop: Header=BB941_213 Depth=1
	s_or_b64 exec, exec, s[14:15]
.LBB941_405:                            ;   in Loop: Header=BB941_213 Depth=1
	s_or_b64 exec, exec, s[12:13]
	v_perm_b32 v64, v44, v46, s23
	buffer_load_dword v44, v55, s[0:3], 0 offen
	buffer_load_dword v42, v55, s[0:3], 0 offen offset:4
	buffer_load_dword v40, v55, s[0:3], 0 offen offset:8
	;; [unrolled: 1-line block ×3, first 2 shown]
	v_perm_b32 v65, v59, v57, s23
	v_perm_b32 v59, v62, v61, s23
	;; [unrolled: 1-line block ×3, first 2 shown]
	v_mfma_f32_16x16x16bf16_1k v[34:37], v[64:65], v[14:15], v[34:37]
	s_waitcnt vmcnt(3)
	v_cmp_ne_u16_sdwa s[14:15], v44, v43 src0_sel:BYTE_0 src1_sel:DWORD
	v_mfma_f32_16x16x16bf16_1k v[34:37], v[58:59], v[16:17], v[34:37]
	s_and_saveexec_b64 s[12:13], s[14:15]
	s_cbranch_execz .LBB941_411
; %bb.406:                              ;   in Loop: Header=BB941_213 Depth=1
	v_cmp_ne_u16_sdwa s[16:17], v44, s9 src0_sel:BYTE_0 src1_sel:DWORD
	v_mov_b32_e32 v56, 0xffff8000
	s_and_saveexec_b64 s[14:15], s[16:17]
	s_cbranch_execz .LBB941_410
; %bb.407:                              ;   in Loop: Header=BB941_213 Depth=1
	v_and_b32_e32 v46, 0x7f, v44
	v_cmp_ne_u32_e32 vcc, s21, v46
	v_mov_b32_e32 v56, 0x7f80
	s_and_saveexec_b64 s[16:17], vcc
	s_cbranch_execz .LBB941_409
; %bb.408:                              ;   in Loop: Header=BB941_213 Depth=1
	v_and_b32_e32 v55, 7, v44
	v_ffbh_u32_e32 v56, v55
	v_min_u32_e32 v59, 32, v56
	v_subrev_u32_e32 v56, 28, v59
	v_lshlrev_b64 v[56:57], v56, v[44:45]
	v_lshrrev_b32_e32 v58, 3, v46
	v_sub_u32_e32 v57, 29, v59
	v_and_b32_e32 v56, 7, v56
	v_cmp_gt_u32_e32 vcc, 8, v46
	v_cndmask_b32_e32 v46, v58, v57, vcc
	v_cndmask_b32_e32 v55, v55, v56, vcc
	v_lshlrev_b32_e32 v56, 24, v44
	v_lshlrev_b32_e32 v55, 20, v55
	v_and_b32_e32 v56, 0x80000000, v56
	v_lshl_add_u32 v46, v46, 23, v45
	v_or3_b32 v46, v56, v46, v55
	v_lshrrev_b32_e32 v56, 16, v46
.LBB941_409:                            ;   in Loop: Header=BB941_213 Depth=1
	s_or_b64 exec, exec, s[16:17]
.LBB941_410:                            ;   in Loop: Header=BB941_213 Depth=1
	s_or_b64 exec, exec, s[14:15]
.LBB941_411:                            ;   in Loop: Header=BB941_213 Depth=1
	s_or_b64 exec, exec, s[12:13]
	v_lshrrev_b16_e32 v46, 8, v44
	v_cmp_ne_u16_e32 vcc, 0, v46
	v_mov_b32_e32 v57, 0
	v_mov_b32_e32 v55, 0
	s_and_saveexec_b64 s[12:13], vcc
	s_cbranch_execz .LBB941_417
; %bb.412:                              ;   in Loop: Header=BB941_213 Depth=1
	v_cmp_ne_u16_e32 vcc, s9, v46
	v_mov_b32_e32 v55, 0xffff8000
	s_and_saveexec_b64 s[14:15], vcc
	s_cbranch_execz .LBB941_416
; %bb.413:                              ;   in Loop: Header=BB941_213 Depth=1
	v_and_b32_e32 v58, 0x7f, v46
	v_cmp_ne_u32_e32 vcc, s21, v58
	v_mov_b32_e32 v55, 0x7f80
	s_and_saveexec_b64 s[16:17], vcc
	s_cbranch_execz .LBB941_415
; %bb.414:                              ;   in Loop: Header=BB941_213 Depth=1
	v_and_b32_e32 v55, 7, v46
	v_ffbh_u32_e32 v60, v55
	v_min_u32_e32 v62, 32, v60
	v_subrev_u32_e32 v60, 28, v62
	v_lshlrev_b64 v[60:61], v60, v[46:47]
	v_lshrrev_b32_e32 v59, 3, v58
	v_sub_u32_e32 v46, 29, v62
	v_and_b32_e32 v60, 7, v60
	v_cmp_gt_u32_e32 vcc, 8, v58
	v_cndmask_b32_e32 v46, v59, v46, vcc
	v_cndmask_b32_e32 v55, v55, v60, vcc
	v_lshlrev_b32_e32 v58, 16, v44
	v_lshlrev_b32_e32 v55, 20, v55
	v_and_b32_e32 v58, 0x80000000, v58
	v_lshl_add_u32 v46, v46, 23, v45
	v_or3_b32 v46, v58, v46, v55
	v_lshrrev_b32_e32 v55, 16, v46
.LBB941_415:                            ;   in Loop: Header=BB941_213 Depth=1
	s_or_b64 exec, exec, s[16:17]
.LBB941_416:                            ;   in Loop: Header=BB941_213 Depth=1
	s_or_b64 exec, exec, s[14:15]
.LBB941_417:                            ;   in Loop: Header=BB941_213 Depth=1
	s_or_b64 exec, exec, s[12:13]
	v_lshrrev_b32_e32 v46, 16, v44
	v_cmp_ne_u16_sdwa s[14:15], v46, v43 src0_sel:BYTE_0 src1_sel:DWORD
	s_and_saveexec_b64 s[12:13], s[14:15]
	s_cbranch_execz .LBB941_423
; %bb.418:                              ;   in Loop: Header=BB941_213 Depth=1
	v_cmp_ne_u16_sdwa s[16:17], v46, s9 src0_sel:BYTE_0 src1_sel:DWORD
	v_mov_b32_e32 v57, 0xffff8000
	s_and_saveexec_b64 s[14:15], s[16:17]
	s_cbranch_execz .LBB941_422
; %bb.419:                              ;   in Loop: Header=BB941_213 Depth=1
	v_bfe_u32 v58, v44, 16, 7
	v_cmp_ne_u32_e32 vcc, s21, v58
	v_mov_b32_e32 v57, 0x7f80
	s_and_saveexec_b64 s[16:17], vcc
	s_cbranch_execz .LBB941_421
; %bb.420:                              ;   in Loop: Header=BB941_213 Depth=1
	v_and_b32_e32 v57, 7, v46
	v_ffbh_u32_e32 v60, v57
	v_min_u32_e32 v62, 32, v60
	v_subrev_u32_e32 v60, 28, v62
	v_lshlrev_b64 v[60:61], v60, v[46:47]
	v_lshrrev_b32_e32 v59, 3, v58
	v_sub_u32_e32 v61, 29, v62
	v_and_b32_e32 v60, 7, v60
	v_cmp_gt_u32_e32 vcc, 8, v58
	v_cndmask_b32_e32 v58, v59, v61, vcc
	v_cndmask_b32_e32 v57, v57, v60, vcc
	v_lshlrev_b32_e32 v46, 24, v46
	v_lshlrev_b32_e32 v57, 20, v57
	v_and_b32_e32 v46, 0x80000000, v46
	v_lshl_add_u32 v58, v58, 23, v45
	v_or3_b32 v46, v46, v58, v57
	v_lshrrev_b32_e32 v57, 16, v46
.LBB941_421:                            ;   in Loop: Header=BB941_213 Depth=1
	s_or_b64 exec, exec, s[16:17]
.LBB941_422:                            ;   in Loop: Header=BB941_213 Depth=1
	s_or_b64 exec, exec, s[14:15]
.LBB941_423:                            ;   in Loop: Header=BB941_213 Depth=1
	s_or_b64 exec, exec, s[12:13]
	v_cmp_lt_u32_e32 vcc, s22, v44
	v_mov_b32_e32 v58, 0
	v_mov_b32_e32 v59, 0
	s_and_saveexec_b64 s[12:13], vcc
	s_cbranch_execz .LBB941_429
; %bb.424:                              ;   in Loop: Header=BB941_213 Depth=1
	v_lshrrev_b32_e32 v46, 24, v44
	v_cmp_ne_u32_e32 vcc, s9, v46
	v_mov_b32_e32 v59, 0xffff8000
	s_and_saveexec_b64 s[14:15], vcc
	s_cbranch_execz .LBB941_428
; %bb.425:                              ;   in Loop: Header=BB941_213 Depth=1
	v_bfe_u32 v44, v44, 24, 7
	v_cmp_ne_u32_e32 vcc, s21, v44
	v_mov_b32_e32 v59, 0x7f80
	s_and_saveexec_b64 s[16:17], vcc
	s_cbranch_execz .LBB941_427
; %bb.426:                              ;   in Loop: Header=BB941_213 Depth=1
	v_and_b32_e32 v59, 7, v46
	v_ffbh_u32_e32 v60, v59
	v_min_u32_e32 v63, 32, v60
	v_subrev_u32_e32 v60, 28, v63
	v_lshlrev_b64 v[60:61], v60, v[46:47]
	v_lshrrev_b32_e32 v62, 3, v44
	v_sub_u32_e32 v61, 29, v63
	v_and_b32_e32 v60, 7, v60
	v_cmp_gt_u32_e32 vcc, 8, v44
	v_cndmask_b32_e32 v44, v62, v61, vcc
	v_cndmask_b32_e32 v59, v59, v60, vcc
	v_lshlrev_b32_e32 v46, 24, v46
	v_lshlrev_b32_e32 v59, 20, v59
	v_and_b32_e32 v46, 0x80000000, v46
	v_lshl_add_u32 v44, v44, 23, v45
	v_or3_b32 v44, v46, v44, v59
	v_lshrrev_b32_e32 v59, 16, v44
.LBB941_427:                            ;   in Loop: Header=BB941_213 Depth=1
	s_or_b64 exec, exec, s[16:17]
.LBB941_428:                            ;   in Loop: Header=BB941_213 Depth=1
	s_or_b64 exec, exec, s[14:15]
.LBB941_429:                            ;   in Loop: Header=BB941_213 Depth=1
	s_or_b64 exec, exec, s[12:13]
	s_waitcnt vmcnt(2)
	v_cmp_ne_u16_sdwa s[14:15], v42, v43 src0_sel:BYTE_0 src1_sel:DWORD
	s_and_saveexec_b64 s[12:13], s[14:15]
	s_cbranch_execz .LBB941_435
; %bb.430:                              ;   in Loop: Header=BB941_213 Depth=1
	v_cmp_ne_u16_sdwa s[16:17], v42, s9 src0_sel:BYTE_0 src1_sel:DWORD
	v_mov_b32_e32 v58, 0xffff8000
	s_and_saveexec_b64 s[14:15], s[16:17]
	s_cbranch_execz .LBB941_434
; %bb.431:                              ;   in Loop: Header=BB941_213 Depth=1
	v_and_b32_e32 v44, 0x7f, v42
	v_cmp_ne_u32_e32 vcc, s21, v44
	v_mov_b32_e32 v58, 0x7f80
	s_and_saveexec_b64 s[16:17], vcc
	s_cbranch_execz .LBB941_433
; %bb.432:                              ;   in Loop: Header=BB941_213 Depth=1
	v_and_b32_e32 v46, 7, v42
	v_ffbh_u32_e32 v60, v46
	v_min_u32_e32 v62, 32, v60
	v_subrev_u32_e32 v60, 28, v62
	v_lshlrev_b64 v[60:61], v60, v[42:43]
	v_lshrrev_b32_e32 v58, 3, v44
	v_sub_u32_e32 v61, 29, v62
	v_and_b32_e32 v60, 7, v60
	v_cmp_gt_u32_e32 vcc, 8, v44
	v_cndmask_b32_e32 v44, v58, v61, vcc
	v_cndmask_b32_e32 v46, v46, v60, vcc
	v_lshlrev_b32_e32 v58, 24, v42
	v_lshlrev_b32_e32 v46, 20, v46
	v_and_b32_e32 v58, 0x80000000, v58
	v_lshl_add_u32 v44, v44, 23, v45
	v_or3_b32 v44, v58, v44, v46
	v_lshrrev_b32_e32 v58, 16, v44
.LBB941_433:                            ;   in Loop: Header=BB941_213 Depth=1
	s_or_b64 exec, exec, s[16:17]
.LBB941_434:                            ;   in Loop: Header=BB941_213 Depth=1
	s_or_b64 exec, exec, s[14:15]
.LBB941_435:                            ;   in Loop: Header=BB941_213 Depth=1
	s_or_b64 exec, exec, s[12:13]
	v_lshrrev_b16_e32 v44, 8, v42
	v_cmp_ne_u16_e32 vcc, 0, v44
	v_mov_b32_e32 v61, 0
	v_mov_b32_e32 v60, 0
	s_and_saveexec_b64 s[12:13], vcc
	s_cbranch_execz .LBB941_441
; %bb.436:                              ;   in Loop: Header=BB941_213 Depth=1
	v_cmp_ne_u16_e32 vcc, s9, v44
	v_mov_b32_e32 v60, 0xffff8000
	s_and_saveexec_b64 s[14:15], vcc
	s_cbranch_execz .LBB941_440
; %bb.437:                              ;   in Loop: Header=BB941_213 Depth=1
	v_and_b32_e32 v46, 0x7f, v44
	v_cmp_ne_u32_e32 vcc, s21, v46
	v_mov_b32_e32 v60, 0x7f80
	s_and_saveexec_b64 s[16:17], vcc
	s_cbranch_execz .LBB941_439
; %bb.438:                              ;   in Loop: Header=BB941_213 Depth=1
	v_and_b32_e32 v60, 7, v44
	v_ffbh_u32_e32 v62, v60
	v_min_u32_e32 v65, 32, v62
	v_subrev_u32_e32 v62, 28, v65
	v_lshlrev_b64 v[62:63], v62, v[44:45]
	v_lshrrev_b32_e32 v64, 3, v46
	v_sub_u32_e32 v44, 29, v65
	v_and_b32_e32 v62, 7, v62
	v_cmp_gt_u32_e32 vcc, 8, v46
	v_cndmask_b32_e32 v44, v64, v44, vcc
	v_cndmask_b32_e32 v46, v60, v62, vcc
	v_lshlrev_b32_e32 v60, 16, v42
	v_lshlrev_b32_e32 v46, 20, v46
	v_and_b32_e32 v60, 0x80000000, v60
	v_lshl_add_u32 v44, v44, 23, v45
	v_or3_b32 v44, v60, v44, v46
	v_lshrrev_b32_e32 v60, 16, v44
.LBB941_439:                            ;   in Loop: Header=BB941_213 Depth=1
	s_or_b64 exec, exec, s[16:17]
.LBB941_440:                            ;   in Loop: Header=BB941_213 Depth=1
	s_or_b64 exec, exec, s[14:15]
.LBB941_441:                            ;   in Loop: Header=BB941_213 Depth=1
	s_or_b64 exec, exec, s[12:13]
	v_lshrrev_b32_e32 v44, 16, v42
	v_cmp_ne_u16_sdwa s[14:15], v44, v43 src0_sel:BYTE_0 src1_sel:DWORD
	s_and_saveexec_b64 s[12:13], s[14:15]
	s_cbranch_execz .LBB941_447
; %bb.442:                              ;   in Loop: Header=BB941_213 Depth=1
	v_cmp_ne_u16_sdwa s[16:17], v44, s9 src0_sel:BYTE_0 src1_sel:DWORD
	v_mov_b32_e32 v61, 0xffff8000
	s_and_saveexec_b64 s[14:15], s[16:17]
	s_cbranch_execz .LBB941_446
; %bb.443:                              ;   in Loop: Header=BB941_213 Depth=1
	v_bfe_u32 v46, v42, 16, 7
	v_cmp_ne_u32_e32 vcc, s21, v46
	v_mov_b32_e32 v61, 0x7f80
	s_and_saveexec_b64 s[16:17], vcc
	s_cbranch_execz .LBB941_445
; %bb.444:                              ;   in Loop: Header=BB941_213 Depth=1
	v_and_b32_e32 v61, 7, v44
	v_ffbh_u32_e32 v62, v61
	v_min_u32_e32 v65, 32, v62
	v_subrev_u32_e32 v62, 28, v65
	v_lshlrev_b64 v[62:63], v62, v[44:45]
	v_lshrrev_b32_e32 v64, 3, v46
	v_sub_u32_e32 v63, 29, v65
	v_and_b32_e32 v62, 7, v62
	v_cmp_gt_u32_e32 vcc, 8, v46
	v_cndmask_b32_e32 v46, v64, v63, vcc
	v_cndmask_b32_e32 v61, v61, v62, vcc
	v_lshlrev_b32_e32 v44, 24, v44
	v_lshlrev_b32_e32 v61, 20, v61
	v_and_b32_e32 v44, 0x80000000, v44
	v_lshl_add_u32 v46, v46, 23, v45
	v_or3_b32 v44, v44, v46, v61
	v_lshrrev_b32_e32 v61, 16, v44
.LBB941_445:                            ;   in Loop: Header=BB941_213 Depth=1
	s_or_b64 exec, exec, s[16:17]
.LBB941_446:                            ;   in Loop: Header=BB941_213 Depth=1
	s_or_b64 exec, exec, s[14:15]
.LBB941_447:                            ;   in Loop: Header=BB941_213 Depth=1
	s_or_b64 exec, exec, s[12:13]
	v_cmp_lt_u32_e32 vcc, s22, v42
	v_mov_b32_e32 v46, 0
	v_mov_b32_e32 v62, 0
	s_and_saveexec_b64 s[12:13], vcc
	s_cbranch_execz .LBB941_453
; %bb.448:                              ;   in Loop: Header=BB941_213 Depth=1
	v_lshrrev_b32_e32 v44, 24, v42
	v_cmp_ne_u32_e32 vcc, s9, v44
	v_mov_b32_e32 v62, 0xffff8000
	s_and_saveexec_b64 s[14:15], vcc
	s_cbranch_execz .LBB941_452
; %bb.449:                              ;   in Loop: Header=BB941_213 Depth=1
	v_bfe_u32 v42, v42, 24, 7
	v_cmp_ne_u32_e32 vcc, s21, v42
	v_mov_b32_e32 v62, 0x7f80
	s_and_saveexec_b64 s[16:17], vcc
	s_cbranch_execz .LBB941_451
; %bb.450:                              ;   in Loop: Header=BB941_213 Depth=1
	v_and_b32_e32 v64, 7, v44
	v_ffbh_u32_e32 v62, v64
	v_min_u32_e32 v66, 32, v62
	v_subrev_u32_e32 v62, 28, v66
	v_lshlrev_b64 v[62:63], v62, v[44:45]
	v_lshrrev_b32_e32 v65, 3, v42
	v_sub_u32_e32 v63, 29, v66
	v_and_b32_e32 v62, 7, v62
	v_cmp_gt_u32_e32 vcc, 8, v42
	v_cndmask_b32_e32 v42, v65, v63, vcc
	v_cndmask_b32_e32 v62, v64, v62, vcc
	v_lshlrev_b32_e32 v44, 24, v44
	v_lshlrev_b32_e32 v62, 20, v62
	v_and_b32_e32 v44, 0x80000000, v44
	v_lshl_add_u32 v42, v42, 23, v45
	v_or3_b32 v42, v44, v42, v62
	v_lshrrev_b32_e32 v62, 16, v42
.LBB941_451:                            ;   in Loop: Header=BB941_213 Depth=1
	s_or_b64 exec, exec, s[16:17]
.LBB941_452:                            ;   in Loop: Header=BB941_213 Depth=1
	s_or_b64 exec, exec, s[14:15]
.LBB941_453:                            ;   in Loop: Header=BB941_213 Depth=1
	s_or_b64 exec, exec, s[12:13]
	v_perm_b32 v57, v59, v57, s23
	v_perm_b32 v56, v55, v56, s23
	s_waitcnt vmcnt(1)
	v_cmp_ne_u16_sdwa s[14:15], v40, v43 src0_sel:BYTE_0 src1_sel:DWORD
	v_mfma_f32_16x16x16bf16_1k v[34:37], v[56:57], v[18:19], v[34:37]
	v_perm_b32 v57, v62, v61, s23
	v_perm_b32 v56, v60, v58, s23
	s_nop 1
	v_mfma_f32_16x16x16bf16_1k v[34:37], v[56:57], v[20:21], v[34:37]
	s_and_saveexec_b64 s[12:13], s[14:15]
	s_cbranch_execz .LBB941_459
; %bb.454:                              ;   in Loop: Header=BB941_213 Depth=1
	v_cmp_ne_u16_sdwa s[16:17], v40, s9 src0_sel:BYTE_0 src1_sel:DWORD
	v_mov_b32_e32 v46, 0xffff8000
	s_and_saveexec_b64 s[14:15], s[16:17]
	s_cbranch_execz .LBB941_458
; %bb.455:                              ;   in Loop: Header=BB941_213 Depth=1
	v_and_b32_e32 v42, 0x7f, v40
	v_cmp_ne_u32_e32 vcc, s21, v42
	v_mov_b32_e32 v46, 0x7f80
	s_and_saveexec_b64 s[16:17], vcc
	s_cbranch_execz .LBB941_457
; %bb.456:                              ;   in Loop: Header=BB941_213 Depth=1
	v_and_b32_e32 v44, 7, v40
	v_ffbh_u32_e32 v55, v44
	v_min_u32_e32 v55, 32, v55
	v_subrev_u32_e32 v56, 28, v55
	v_lshlrev_b64 v[56:57], v56, v[40:41]
	v_lshrrev_b32_e32 v46, 3, v42
	v_sub_u32_e32 v55, 29, v55
	v_and_b32_e32 v56, 7, v56
	v_cmp_gt_u32_e32 vcc, 8, v42
	v_cndmask_b32_e32 v42, v46, v55, vcc
	v_cndmask_b32_e32 v44, v44, v56, vcc
	v_lshlrev_b32_e32 v46, 24, v40
	v_lshlrev_b32_e32 v44, 20, v44
	v_and_b32_e32 v46, 0x80000000, v46
	v_lshl_add_u32 v42, v42, 23, v45
	v_or3_b32 v42, v46, v42, v44
	v_lshrrev_b32_e32 v46, 16, v42
.LBB941_457:                            ;   in Loop: Header=BB941_213 Depth=1
	s_or_b64 exec, exec, s[16:17]
.LBB941_458:                            ;   in Loop: Header=BB941_213 Depth=1
	s_or_b64 exec, exec, s[14:15]
.LBB941_459:                            ;   in Loop: Header=BB941_213 Depth=1
	s_or_b64 exec, exec, s[12:13]
	v_lshrrev_b16_e32 v42, 8, v40
	v_cmp_ne_u16_e32 vcc, 0, v42
	v_mov_b32_e32 v56, 0
	v_mov_b32_e32 v44, 0
	s_and_saveexec_b64 s[12:13], vcc
	s_cbranch_execz .LBB941_465
; %bb.460:                              ;   in Loop: Header=BB941_213 Depth=1
	v_cmp_ne_u16_e32 vcc, s9, v42
	v_mov_b32_e32 v44, 0xffff8000
	s_and_saveexec_b64 s[14:15], vcc
	s_cbranch_execz .LBB941_464
; %bb.461:                              ;   in Loop: Header=BB941_213 Depth=1
	v_and_b32_e32 v55, 0x7f, v42
	v_cmp_ne_u32_e32 vcc, s21, v55
	v_mov_b32_e32 v44, 0x7f80
	s_and_saveexec_b64 s[16:17], vcc
	s_cbranch_execz .LBB941_463
; %bb.462:                              ;   in Loop: Header=BB941_213 Depth=1
	v_and_b32_e32 v44, 7, v42
	v_ffbh_u32_e32 v58, v44
	v_min_u32_e32 v60, 32, v58
	v_subrev_u32_e32 v58, 28, v60
	v_lshlrev_b64 v[58:59], v58, v[42:43]
	v_lshrrev_b32_e32 v57, 3, v55
	v_sub_u32_e32 v42, 29, v60
	v_and_b32_e32 v58, 7, v58
	v_cmp_gt_u32_e32 vcc, 8, v55
	v_cndmask_b32_e32 v42, v57, v42, vcc
	v_cndmask_b32_e32 v44, v44, v58, vcc
	v_lshlrev_b32_e32 v55, 16, v40
	v_lshlrev_b32_e32 v44, 20, v44
	v_and_b32_e32 v55, 0x80000000, v55
	v_lshl_add_u32 v42, v42, 23, v45
	v_or3_b32 v42, v55, v42, v44
	v_lshrrev_b32_e32 v44, 16, v42
.LBB941_463:                            ;   in Loop: Header=BB941_213 Depth=1
	s_or_b64 exec, exec, s[16:17]
.LBB941_464:                            ;   in Loop: Header=BB941_213 Depth=1
	s_or_b64 exec, exec, s[14:15]
.LBB941_465:                            ;   in Loop: Header=BB941_213 Depth=1
	s_or_b64 exec, exec, s[12:13]
	v_lshrrev_b32_e32 v42, 16, v40
	v_cmp_ne_u16_sdwa s[14:15], v42, v43 src0_sel:BYTE_0 src1_sel:DWORD
	s_and_saveexec_b64 s[12:13], s[14:15]
	s_cbranch_execz .LBB941_471
; %bb.466:                              ;   in Loop: Header=BB941_213 Depth=1
	v_cmp_ne_u16_sdwa s[16:17], v42, s9 src0_sel:BYTE_0 src1_sel:DWORD
	v_mov_b32_e32 v56, 0xffff8000
	s_and_saveexec_b64 s[14:15], s[16:17]
	s_cbranch_execz .LBB941_470
; %bb.467:                              ;   in Loop: Header=BB941_213 Depth=1
	v_bfe_u32 v55, v40, 16, 7
	v_cmp_ne_u32_e32 vcc, s21, v55
	v_mov_b32_e32 v56, 0x7f80
	s_and_saveexec_b64 s[16:17], vcc
	s_cbranch_execz .LBB941_469
; %bb.468:                              ;   in Loop: Header=BB941_213 Depth=1
	v_and_b32_e32 v58, 7, v42
	v_ffbh_u32_e32 v56, v58
	v_min_u32_e32 v60, 32, v56
	v_subrev_u32_e32 v56, 28, v60
	v_lshlrev_b64 v[56:57], v56, v[42:43]
	v_lshrrev_b32_e32 v59, 3, v55
	v_sub_u32_e32 v57, 29, v60
	v_and_b32_e32 v56, 7, v56
	v_cmp_gt_u32_e32 vcc, 8, v55
	v_cndmask_b32_e32 v55, v59, v57, vcc
	v_cndmask_b32_e32 v56, v58, v56, vcc
	v_lshlrev_b32_e32 v42, 24, v42
	v_lshlrev_b32_e32 v56, 20, v56
	v_and_b32_e32 v42, 0x80000000, v42
	v_lshl_add_u32 v55, v55, 23, v45
	v_or3_b32 v42, v42, v55, v56
	v_lshrrev_b32_e32 v56, 16, v42
.LBB941_469:                            ;   in Loop: Header=BB941_213 Depth=1
	s_or_b64 exec, exec, s[16:17]
.LBB941_470:                            ;   in Loop: Header=BB941_213 Depth=1
	s_or_b64 exec, exec, s[14:15]
.LBB941_471:                            ;   in Loop: Header=BB941_213 Depth=1
	s_or_b64 exec, exec, s[12:13]
	v_cmp_lt_u32_e32 vcc, s22, v40
	v_mov_b32_e32 v57, 0
	v_mov_b32_e32 v58, 0
	s_and_saveexec_b64 s[12:13], vcc
	s_cbranch_execz .LBB941_477
; %bb.472:                              ;   in Loop: Header=BB941_213 Depth=1
	v_lshrrev_b32_e32 v42, 24, v40
	v_cmp_ne_u32_e32 vcc, s9, v42
	v_mov_b32_e32 v58, 0xffff8000
	s_and_saveexec_b64 s[14:15], vcc
	s_cbranch_execz .LBB941_476
; %bb.473:                              ;   in Loop: Header=BB941_213 Depth=1
	v_bfe_u32 v40, v40, 24, 7
	v_cmp_ne_u32_e32 vcc, s21, v40
	v_mov_b32_e32 v58, 0x7f80
	s_and_saveexec_b64 s[16:17], vcc
	s_cbranch_execz .LBB941_475
; %bb.474:                              ;   in Loop: Header=BB941_213 Depth=1
	v_and_b32_e32 v55, 7, v42
	v_ffbh_u32_e32 v58, v55
	v_min_u32_e32 v61, 32, v58
	v_subrev_u32_e32 v58, 28, v61
	v_lshlrev_b64 v[58:59], v58, v[42:43]
	v_lshrrev_b32_e32 v60, 3, v40
	v_sub_u32_e32 v59, 29, v61
	v_and_b32_e32 v58, 7, v58
	v_cmp_gt_u32_e32 vcc, 8, v40
	v_cndmask_b32_e32 v40, v60, v59, vcc
	v_cndmask_b32_e32 v55, v55, v58, vcc
	v_lshlrev_b32_e32 v42, 24, v42
	v_lshlrev_b32_e32 v55, 20, v55
	v_and_b32_e32 v42, 0x80000000, v42
	v_lshl_add_u32 v40, v40, 23, v45
	v_or3_b32 v40, v42, v40, v55
	v_lshrrev_b32_e32 v58, 16, v40
.LBB941_475:                            ;   in Loop: Header=BB941_213 Depth=1
	s_or_b64 exec, exec, s[16:17]
.LBB941_476:                            ;   in Loop: Header=BB941_213 Depth=1
	s_or_b64 exec, exec, s[14:15]
.LBB941_477:                            ;   in Loop: Header=BB941_213 Depth=1
	s_or_b64 exec, exec, s[12:13]
	s_waitcnt vmcnt(0)
	v_cmp_ne_u16_sdwa s[14:15], v38, v43 src0_sel:BYTE_0 src1_sel:DWORD
	s_and_saveexec_b64 s[12:13], s[14:15]
	s_cbranch_execz .LBB941_483
; %bb.478:                              ;   in Loop: Header=BB941_213 Depth=1
	v_cmp_ne_u16_sdwa s[16:17], v38, s9 src0_sel:BYTE_0 src1_sel:DWORD
	v_mov_b32_e32 v57, 0xffff8000
	s_and_saveexec_b64 s[14:15], s[16:17]
	s_cbranch_execz .LBB941_482
; %bb.479:                              ;   in Loop: Header=BB941_213 Depth=1
	v_and_b32_e32 v40, 0x7f, v38
	v_cmp_ne_u32_e32 vcc, s21, v40
	v_mov_b32_e32 v57, 0x7f80
	s_and_saveexec_b64 s[16:17], vcc
	s_cbranch_execz .LBB941_481
; %bb.480:                              ;   in Loop: Header=BB941_213 Depth=1
	v_and_b32_e32 v42, 7, v38
	v_ffbh_u32_e32 v57, v42
	v_min_u32_e32 v57, 32, v57
	v_subrev_u32_e32 v59, 28, v57
	v_lshlrev_b64 v[60:61], v59, v[38:39]
	v_lshrrev_b32_e32 v55, 3, v40
	v_sub_u32_e32 v57, 29, v57
	v_and_b32_e32 v59, 7, v60
	v_cmp_gt_u32_e32 vcc, 8, v40
	v_cndmask_b32_e32 v40, v55, v57, vcc
	v_cndmask_b32_e32 v42, v42, v59, vcc
	v_lshlrev_b32_e32 v55, 24, v38
	v_lshlrev_b32_e32 v42, 20, v42
	v_and_b32_e32 v55, 0x80000000, v55
	v_lshl_add_u32 v40, v40, 23, v45
	v_or3_b32 v40, v55, v40, v42
	v_lshrrev_b32_e32 v57, 16, v40
.LBB941_481:                            ;   in Loop: Header=BB941_213 Depth=1
	s_or_b64 exec, exec, s[16:17]
.LBB941_482:                            ;   in Loop: Header=BB941_213 Depth=1
	s_or_b64 exec, exec, s[14:15]
.LBB941_483:                            ;   in Loop: Header=BB941_213 Depth=1
	s_or_b64 exec, exec, s[12:13]
	v_lshrrev_b16_e32 v40, 8, v38
	v_cmp_ne_u16_e32 vcc, 0, v40
	v_mov_b32_e32 v60, 0
	v_mov_b32_e32 v59, 0
	s_and_saveexec_b64 s[12:13], vcc
	s_cbranch_execz .LBB941_489
; %bb.484:                              ;   in Loop: Header=BB941_213 Depth=1
	v_cmp_ne_u16_e32 vcc, s9, v40
	v_mov_b32_e32 v59, 0xffff8000
	s_and_saveexec_b64 s[14:15], vcc
	s_cbranch_execz .LBB941_488
; %bb.485:                              ;   in Loop: Header=BB941_213 Depth=1
	v_and_b32_e32 v42, 0x7f, v40
	v_cmp_ne_u32_e32 vcc, s21, v42
	v_mov_b32_e32 v59, 0x7f80
	s_and_saveexec_b64 s[16:17], vcc
	s_cbranch_execz .LBB941_487
; %bb.486:                              ;   in Loop: Header=BB941_213 Depth=1
	v_and_b32_e32 v55, 7, v40
	v_ffbh_u32_e32 v61, v55
	v_min_u32_e32 v61, 32, v61
	v_subrev_u32_e32 v62, 28, v61
	v_lshlrev_b64 v[62:63], v62, v[40:41]
	v_lshrrev_b32_e32 v59, 3, v42
	v_sub_u32_e32 v40, 29, v61
	v_and_b32_e32 v61, 7, v62
	v_cmp_gt_u32_e32 vcc, 8, v42
	v_cndmask_b32_e32 v40, v59, v40, vcc
	v_cndmask_b32_e32 v42, v55, v61, vcc
	v_lshlrev_b32_e32 v55, 16, v38
	v_lshlrev_b32_e32 v42, 20, v42
	v_and_b32_e32 v55, 0x80000000, v55
	v_lshl_add_u32 v40, v40, 23, v45
	v_or3_b32 v40, v55, v40, v42
	v_lshrrev_b32_e32 v59, 16, v40
.LBB941_487:                            ;   in Loop: Header=BB941_213 Depth=1
	s_or_b64 exec, exec, s[16:17]
.LBB941_488:                            ;   in Loop: Header=BB941_213 Depth=1
	s_or_b64 exec, exec, s[14:15]
.LBB941_489:                            ;   in Loop: Header=BB941_213 Depth=1
	s_or_b64 exec, exec, s[12:13]
	v_lshrrev_b32_e32 v40, 16, v38
	v_cmp_ne_u16_sdwa s[14:15], v40, v43 src0_sel:BYTE_0 src1_sel:DWORD
	s_and_saveexec_b64 s[12:13], s[14:15]
	s_cbranch_execz .LBB941_495
; %bb.490:                              ;   in Loop: Header=BB941_213 Depth=1
	v_cmp_ne_u16_sdwa s[16:17], v40, s9 src0_sel:BYTE_0 src1_sel:DWORD
	v_mov_b32_e32 v60, 0xffff8000
	s_and_saveexec_b64 s[14:15], s[16:17]
	s_cbranch_execz .LBB941_494
; %bb.491:                              ;   in Loop: Header=BB941_213 Depth=1
	v_bfe_u32 v42, v38, 16, 7
	v_cmp_ne_u32_e32 vcc, s21, v42
	v_mov_b32_e32 v60, 0x7f80
	s_and_saveexec_b64 s[16:17], vcc
	s_cbranch_execz .LBB941_493
; %bb.492:                              ;   in Loop: Header=BB941_213 Depth=1
	v_and_b32_e32 v55, 7, v40
	v_ffbh_u32_e32 v60, v55
	v_min_u32_e32 v63, 32, v60
	v_subrev_u32_e32 v60, 28, v63
	v_lshlrev_b64 v[60:61], v60, v[40:41]
	v_lshrrev_b32_e32 v62, 3, v42
	v_sub_u32_e32 v61, 29, v63
	v_and_b32_e32 v60, 7, v60
	v_cmp_gt_u32_e32 vcc, 8, v42
	v_cndmask_b32_e32 v42, v62, v61, vcc
	v_cndmask_b32_e32 v55, v55, v60, vcc
	v_lshlrev_b32_e32 v40, 24, v40
	v_lshlrev_b32_e32 v55, 20, v55
	v_and_b32_e32 v40, 0x80000000, v40
	v_lshl_add_u32 v42, v42, 23, v45
	v_or3_b32 v40, v40, v42, v55
	v_lshrrev_b32_e32 v60, 16, v40
.LBB941_493:                            ;   in Loop: Header=BB941_213 Depth=1
	s_or_b64 exec, exec, s[16:17]
.LBB941_494:                            ;   in Loop: Header=BB941_213 Depth=1
	s_or_b64 exec, exec, s[14:15]
.LBB941_495:                            ;   in Loop: Header=BB941_213 Depth=1
	s_or_b64 exec, exec, s[12:13]
	v_cmp_lt_u32_e32 vcc, s22, v38
	v_mov_b32_e32 v55, 0
	v_mov_b32_e32 v61, 0
	s_and_saveexec_b64 s[12:13], vcc
	s_cbranch_execz .LBB941_501
; %bb.496:                              ;   in Loop: Header=BB941_213 Depth=1
	v_lshrrev_b32_e32 v40, 24, v38
	v_cmp_ne_u32_e32 vcc, s9, v40
	v_mov_b32_e32 v61, 0xffff8000
	s_and_saveexec_b64 s[14:15], vcc
	s_cbranch_execz .LBB941_500
; %bb.497:                              ;   in Loop: Header=BB941_213 Depth=1
	v_bfe_u32 v38, v38, 24, 7
	v_cmp_ne_u32_e32 vcc, s21, v38
	v_mov_b32_e32 v61, 0x7f80
	s_and_saveexec_b64 s[16:17], vcc
	s_cbranch_execz .LBB941_499
; %bb.498:                              ;   in Loop: Header=BB941_213 Depth=1
	v_and_b32_e32 v42, 7, v40
	v_ffbh_u32_e32 v62, v42
	v_min_u32_e32 v64, 32, v62
	v_subrev_u32_e32 v62, 28, v64
	v_lshlrev_b64 v[62:63], v62, v[40:41]
	v_lshrrev_b32_e32 v61, 3, v38
	v_sub_u32_e32 v63, 29, v64
	v_and_b32_e32 v62, 7, v62
	v_cmp_gt_u32_e32 vcc, 8, v38
	v_cndmask_b32_e32 v38, v61, v63, vcc
	v_cndmask_b32_e32 v42, v42, v62, vcc
	v_lshlrev_b32_e32 v40, 24, v40
	v_lshlrev_b32_e32 v42, 20, v42
	v_and_b32_e32 v40, 0x80000000, v40
	v_lshl_add_u32 v38, v38, 23, v45
	v_or3_b32 v38, v40, v38, v42
	v_lshrrev_b32_e32 v61, 16, v38
.LBB941_499:                            ;   in Loop: Header=BB941_213 Depth=1
	s_or_b64 exec, exec, s[16:17]
.LBB941_500:                            ;   in Loop: Header=BB941_213 Depth=1
	s_or_b64 exec, exec, s[14:15]
.LBB941_501:                            ;   in Loop: Header=BB941_213 Depth=1
	s_or_b64 exec, exec, s[12:13]
	v_perm_b32 v62, v44, v46, s23
	buffer_load_dword v44, v54, s[0:3], 0 offen
	buffer_load_dword v42, v54, s[0:3], 0 offen offset:4
	buffer_load_dword v40, v54, s[0:3], 0 offen offset:8
	buffer_load_dword v38, v54, s[0:3], 0 offen offset:12
	v_perm_b32 v63, v58, v56, s23
	v_perm_b32 v61, v61, v60, s23
	;; [unrolled: 1-line block ×3, first 2 shown]
	v_mfma_f32_16x16x16bf16_1k v[34:37], v[62:63], v[22:23], v[34:37]
	s_waitcnt vmcnt(3)
	v_cmp_ne_u16_sdwa s[14:15], v44, v43 src0_sel:BYTE_0 src1_sel:DWORD
	v_mfma_f32_16x16x16bf16_1k v[34:37], v[60:61], v[24:25], v[34:37]
	s_and_saveexec_b64 s[12:13], s[14:15]
	s_cbranch_execz .LBB941_507
; %bb.502:                              ;   in Loop: Header=BB941_213 Depth=1
	v_cmp_ne_u16_sdwa s[16:17], v44, s9 src0_sel:BYTE_0 src1_sel:DWORD
	v_mov_b32_e32 v55, 0xffff8000
	s_and_saveexec_b64 s[14:15], s[16:17]
	s_cbranch_execz .LBB941_506
; %bb.503:                              ;   in Loop: Header=BB941_213 Depth=1
	v_and_b32_e32 v46, 0x7f, v44
	v_cmp_ne_u32_e32 vcc, s21, v46
	v_mov_b32_e32 v55, 0x7f80
	s_and_saveexec_b64 s[16:17], vcc
	s_cbranch_execz .LBB941_505
; %bb.504:                              ;   in Loop: Header=BB941_213 Depth=1
	v_and_b32_e32 v56, 7, v44
	v_ffbh_u32_e32 v54, v56
	v_min_u32_e32 v58, 32, v54
	v_subrev_u32_e32 v54, 28, v58
	v_lshlrev_b64 v[54:55], v54, v[44:45]
	v_lshrrev_b32_e32 v57, 3, v46
	v_sub_u32_e32 v55, 29, v58
	v_and_b32_e32 v54, 7, v54
	v_cmp_gt_u32_e32 vcc, 8, v46
	v_cndmask_b32_e32 v46, v57, v55, vcc
	v_cndmask_b32_e32 v54, v56, v54, vcc
	v_lshlrev_b32_e32 v55, 24, v44
	v_lshlrev_b32_e32 v54, 20, v54
	v_and_b32_e32 v55, 0x80000000, v55
	v_lshl_add_u32 v46, v46, 23, v45
	v_or3_b32 v46, v55, v46, v54
	v_lshrrev_b32_e32 v55, 16, v46
.LBB941_505:                            ;   in Loop: Header=BB941_213 Depth=1
	s_or_b64 exec, exec, s[16:17]
.LBB941_506:                            ;   in Loop: Header=BB941_213 Depth=1
	s_or_b64 exec, exec, s[14:15]
.LBB941_507:                            ;   in Loop: Header=BB941_213 Depth=1
	s_or_b64 exec, exec, s[12:13]
	v_lshrrev_b16_e32 v46, 8, v44
	v_cmp_ne_u16_e32 vcc, 0, v46
	v_mov_b32_e32 v56, 0
	v_mov_b32_e32 v54, 0
	s_and_saveexec_b64 s[12:13], vcc
	s_cbranch_execz .LBB941_513
; %bb.508:                              ;   in Loop: Header=BB941_213 Depth=1
	v_cmp_ne_u16_e32 vcc, s9, v46
	v_mov_b32_e32 v54, 0xffff8000
	s_and_saveexec_b64 s[14:15], vcc
	s_cbranch_execz .LBB941_512
; %bb.509:                              ;   in Loop: Header=BB941_213 Depth=1
	v_and_b32_e32 v57, 0x7f, v46
	v_cmp_ne_u32_e32 vcc, s21, v57
	v_mov_b32_e32 v54, 0x7f80
	s_and_saveexec_b64 s[16:17], vcc
	s_cbranch_execz .LBB941_511
; %bb.510:                              ;   in Loop: Header=BB941_213 Depth=1
	v_and_b32_e32 v54, 7, v46
	v_ffbh_u32_e32 v58, v54
	v_min_u32_e32 v61, 32, v58
	v_subrev_u32_e32 v58, 28, v61
	v_lshlrev_b64 v[58:59], v58, v[46:47]
	v_lshrrev_b32_e32 v60, 3, v57
	v_sub_u32_e32 v46, 29, v61
	v_and_b32_e32 v58, 7, v58
	v_cmp_gt_u32_e32 vcc, 8, v57
	v_cndmask_b32_e32 v46, v60, v46, vcc
	v_cndmask_b32_e32 v54, v54, v58, vcc
	v_lshlrev_b32_e32 v57, 16, v44
	v_lshlrev_b32_e32 v54, 20, v54
	v_and_b32_e32 v57, 0x80000000, v57
	v_lshl_add_u32 v46, v46, 23, v45
	v_or3_b32 v46, v57, v46, v54
	v_lshrrev_b32_e32 v54, 16, v46
.LBB941_511:                            ;   in Loop: Header=BB941_213 Depth=1
	s_or_b64 exec, exec, s[16:17]
.LBB941_512:                            ;   in Loop: Header=BB941_213 Depth=1
	s_or_b64 exec, exec, s[14:15]
.LBB941_513:                            ;   in Loop: Header=BB941_213 Depth=1
	s_or_b64 exec, exec, s[12:13]
	v_lshrrev_b32_e32 v46, 16, v44
	v_cmp_ne_u16_sdwa s[14:15], v46, v43 src0_sel:BYTE_0 src1_sel:DWORD
	s_and_saveexec_b64 s[12:13], s[14:15]
	s_cbranch_execz .LBB941_519
; %bb.514:                              ;   in Loop: Header=BB941_213 Depth=1
	v_cmp_ne_u16_sdwa s[16:17], v46, s9 src0_sel:BYTE_0 src1_sel:DWORD
	v_mov_b32_e32 v56, 0xffff8000
	s_and_saveexec_b64 s[14:15], s[16:17]
	s_cbranch_execz .LBB941_518
; %bb.515:                              ;   in Loop: Header=BB941_213 Depth=1
	v_bfe_u32 v57, v44, 16, 7
	v_cmp_ne_u32_e32 vcc, s21, v57
	v_mov_b32_e32 v56, 0x7f80
	s_and_saveexec_b64 s[16:17], vcc
	s_cbranch_execz .LBB941_517
; %bb.516:                              ;   in Loop: Header=BB941_213 Depth=1
	v_and_b32_e32 v56, 7, v46
	v_ffbh_u32_e32 v58, v56
	v_min_u32_e32 v61, 32, v58
	v_subrev_u32_e32 v58, 28, v61
	v_lshlrev_b64 v[58:59], v58, v[46:47]
	v_lshrrev_b32_e32 v60, 3, v57
	v_sub_u32_e32 v59, 29, v61
	v_and_b32_e32 v58, 7, v58
	v_cmp_gt_u32_e32 vcc, 8, v57
	v_cndmask_b32_e32 v57, v60, v59, vcc
	v_cndmask_b32_e32 v56, v56, v58, vcc
	v_lshlrev_b32_e32 v46, 24, v46
	v_lshlrev_b32_e32 v56, 20, v56
	v_and_b32_e32 v46, 0x80000000, v46
	v_lshl_add_u32 v57, v57, 23, v45
	v_or3_b32 v46, v46, v57, v56
	v_lshrrev_b32_e32 v56, 16, v46
.LBB941_517:                            ;   in Loop: Header=BB941_213 Depth=1
	s_or_b64 exec, exec, s[16:17]
.LBB941_518:                            ;   in Loop: Header=BB941_213 Depth=1
	s_or_b64 exec, exec, s[14:15]
.LBB941_519:                            ;   in Loop: Header=BB941_213 Depth=1
	s_or_b64 exec, exec, s[12:13]
	v_cmp_lt_u32_e32 vcc, s22, v44
	v_mov_b32_e32 v57, 0
	v_mov_b32_e32 v58, 0
	s_and_saveexec_b64 s[12:13], vcc
	s_cbranch_execz .LBB941_525
; %bb.520:                              ;   in Loop: Header=BB941_213 Depth=1
	v_lshrrev_b32_e32 v46, 24, v44
	v_cmp_ne_u32_e32 vcc, s9, v46
	v_mov_b32_e32 v58, 0xffff8000
	s_and_saveexec_b64 s[14:15], vcc
	s_cbranch_execz .LBB941_524
; %bb.521:                              ;   in Loop: Header=BB941_213 Depth=1
	v_bfe_u32 v44, v44, 24, 7
	v_cmp_ne_u32_e32 vcc, s21, v44
	v_mov_b32_e32 v58, 0x7f80
	s_and_saveexec_b64 s[16:17], vcc
	s_cbranch_execz .LBB941_523
; %bb.522:                              ;   in Loop: Header=BB941_213 Depth=1
	v_and_b32_e32 v60, 7, v46
	v_ffbh_u32_e32 v58, v60
	v_min_u32_e32 v62, 32, v58
	v_subrev_u32_e32 v58, 28, v62
	v_lshlrev_b64 v[58:59], v58, v[46:47]
	v_lshrrev_b32_e32 v61, 3, v44
	v_sub_u32_e32 v59, 29, v62
	v_and_b32_e32 v58, 7, v58
	v_cmp_gt_u32_e32 vcc, 8, v44
	v_cndmask_b32_e32 v44, v61, v59, vcc
	v_cndmask_b32_e32 v58, v60, v58, vcc
	v_lshlrev_b32_e32 v46, 24, v46
	v_lshlrev_b32_e32 v58, 20, v58
	v_and_b32_e32 v46, 0x80000000, v46
	v_lshl_add_u32 v44, v44, 23, v45
	v_or3_b32 v44, v46, v44, v58
	v_lshrrev_b32_e32 v58, 16, v44
.LBB941_523:                            ;   in Loop: Header=BB941_213 Depth=1
	s_or_b64 exec, exec, s[16:17]
.LBB941_524:                            ;   in Loop: Header=BB941_213 Depth=1
	s_or_b64 exec, exec, s[14:15]
.LBB941_525:                            ;   in Loop: Header=BB941_213 Depth=1
	s_or_b64 exec, exec, s[12:13]
	s_waitcnt vmcnt(2)
	v_cmp_ne_u16_sdwa s[14:15], v42, v43 src0_sel:BYTE_0 src1_sel:DWORD
	s_and_saveexec_b64 s[12:13], s[14:15]
	s_cbranch_execz .LBB941_531
; %bb.526:                              ;   in Loop: Header=BB941_213 Depth=1
	v_cmp_ne_u16_sdwa s[16:17], v42, s9 src0_sel:BYTE_0 src1_sel:DWORD
	v_mov_b32_e32 v57, 0xffff8000
	s_and_saveexec_b64 s[14:15], s[16:17]
	s_cbranch_execz .LBB941_530
; %bb.527:                              ;   in Loop: Header=BB941_213 Depth=1
	v_and_b32_e32 v44, 0x7f, v42
	v_cmp_ne_u32_e32 vcc, s21, v44
	v_mov_b32_e32 v57, 0x7f80
	s_and_saveexec_b64 s[16:17], vcc
	s_cbranch_execz .LBB941_529
; %bb.528:                              ;   in Loop: Header=BB941_213 Depth=1
	v_and_b32_e32 v46, 7, v42
	v_ffbh_u32_e32 v59, v46
	v_min_u32_e32 v59, 32, v59
	v_subrev_u32_e32 v60, 28, v59
	v_lshlrev_b64 v[60:61], v60, v[42:43]
	v_lshrrev_b32_e32 v57, 3, v44
	v_sub_u32_e32 v59, 29, v59
	v_and_b32_e32 v60, 7, v60
	v_cmp_gt_u32_e32 vcc, 8, v44
	v_cndmask_b32_e32 v44, v57, v59, vcc
	v_cndmask_b32_e32 v46, v46, v60, vcc
	v_lshlrev_b32_e32 v57, 24, v42
	v_lshlrev_b32_e32 v46, 20, v46
	v_and_b32_e32 v57, 0x80000000, v57
	v_lshl_add_u32 v44, v44, 23, v45
	v_or3_b32 v44, v57, v44, v46
	v_lshrrev_b32_e32 v57, 16, v44
.LBB941_529:                            ;   in Loop: Header=BB941_213 Depth=1
	s_or_b64 exec, exec, s[16:17]
.LBB941_530:                            ;   in Loop: Header=BB941_213 Depth=1
	s_or_b64 exec, exec, s[14:15]
.LBB941_531:                            ;   in Loop: Header=BB941_213 Depth=1
	s_or_b64 exec, exec, s[12:13]
	v_lshrrev_b16_e32 v44, 8, v42
	v_cmp_ne_u16_e32 vcc, 0, v44
	v_mov_b32_e32 v60, 0
	v_mov_b32_e32 v59, 0
	s_and_saveexec_b64 s[12:13], vcc
	s_cbranch_execz .LBB941_537
; %bb.532:                              ;   in Loop: Header=BB941_213 Depth=1
	v_cmp_ne_u16_e32 vcc, s9, v44
	v_mov_b32_e32 v59, 0xffff8000
	s_and_saveexec_b64 s[14:15], vcc
	s_cbranch_execz .LBB941_536
; %bb.533:                              ;   in Loop: Header=BB941_213 Depth=1
	v_and_b32_e32 v46, 0x7f, v44
	v_cmp_ne_u32_e32 vcc, s21, v46
	v_mov_b32_e32 v59, 0x7f80
	s_and_saveexec_b64 s[16:17], vcc
	s_cbranch_execz .LBB941_535
; %bb.534:                              ;   in Loop: Header=BB941_213 Depth=1
	v_and_b32_e32 v59, 7, v44
	v_ffbh_u32_e32 v62, v59
	v_min_u32_e32 v64, 32, v62
	v_subrev_u32_e32 v62, 28, v64
	v_lshlrev_b64 v[62:63], v62, v[44:45]
	v_lshrrev_b32_e32 v61, 3, v46
	v_sub_u32_e32 v44, 29, v64
	v_and_b32_e32 v62, 7, v62
	v_cmp_gt_u32_e32 vcc, 8, v46
	v_cndmask_b32_e32 v44, v61, v44, vcc
	v_cndmask_b32_e32 v46, v59, v62, vcc
	v_lshlrev_b32_e32 v59, 16, v42
	v_lshlrev_b32_e32 v46, 20, v46
	v_and_b32_e32 v59, 0x80000000, v59
	v_lshl_add_u32 v44, v44, 23, v45
	v_or3_b32 v44, v59, v44, v46
	v_lshrrev_b32_e32 v59, 16, v44
.LBB941_535:                            ;   in Loop: Header=BB941_213 Depth=1
	s_or_b64 exec, exec, s[16:17]
.LBB941_536:                            ;   in Loop: Header=BB941_213 Depth=1
	s_or_b64 exec, exec, s[14:15]
.LBB941_537:                            ;   in Loop: Header=BB941_213 Depth=1
	s_or_b64 exec, exec, s[12:13]
	v_lshrrev_b32_e32 v44, 16, v42
	v_cmp_ne_u16_sdwa s[14:15], v44, v43 src0_sel:BYTE_0 src1_sel:DWORD
	s_and_saveexec_b64 s[12:13], s[14:15]
	s_cbranch_execz .LBB941_543
; %bb.538:                              ;   in Loop: Header=BB941_213 Depth=1
	v_cmp_ne_u16_sdwa s[16:17], v44, s9 src0_sel:BYTE_0 src1_sel:DWORD
	v_mov_b32_e32 v60, 0xffff8000
	s_and_saveexec_b64 s[14:15], s[16:17]
	s_cbranch_execz .LBB941_542
; %bb.539:                              ;   in Loop: Header=BB941_213 Depth=1
	v_bfe_u32 v46, v42, 16, 7
	v_cmp_ne_u32_e32 vcc, s21, v46
	v_mov_b32_e32 v60, 0x7f80
	s_and_saveexec_b64 s[16:17], vcc
	s_cbranch_execz .LBB941_541
; %bb.540:                              ;   in Loop: Header=BB941_213 Depth=1
	v_and_b32_e32 v62, 7, v44
	v_ffbh_u32_e32 v60, v62
	v_min_u32_e32 v64, 32, v60
	v_subrev_u32_e32 v60, 28, v64
	v_lshlrev_b64 v[60:61], v60, v[44:45]
	v_lshrrev_b32_e32 v63, 3, v46
	v_sub_u32_e32 v61, 29, v64
	v_and_b32_e32 v60, 7, v60
	v_cmp_gt_u32_e32 vcc, 8, v46
	v_cndmask_b32_e32 v46, v63, v61, vcc
	v_cndmask_b32_e32 v60, v62, v60, vcc
	v_lshlrev_b32_e32 v44, 24, v44
	v_lshlrev_b32_e32 v60, 20, v60
	v_and_b32_e32 v44, 0x80000000, v44
	v_lshl_add_u32 v46, v46, 23, v45
	v_or3_b32 v44, v44, v46, v60
	v_lshrrev_b32_e32 v60, 16, v44
.LBB941_541:                            ;   in Loop: Header=BB941_213 Depth=1
	s_or_b64 exec, exec, s[16:17]
.LBB941_542:                            ;   in Loop: Header=BB941_213 Depth=1
	s_or_b64 exec, exec, s[14:15]
.LBB941_543:                            ;   in Loop: Header=BB941_213 Depth=1
	s_or_b64 exec, exec, s[12:13]
	v_cmp_lt_u32_e32 vcc, s22, v42
	v_mov_b32_e32 v46, 0
	v_mov_b32_e32 v61, 0
	s_and_saveexec_b64 s[12:13], vcc
	s_cbranch_execz .LBB941_549
; %bb.544:                              ;   in Loop: Header=BB941_213 Depth=1
	v_lshrrev_b32_e32 v44, 24, v42
	v_cmp_ne_u32_e32 vcc, s9, v44
	v_mov_b32_e32 v61, 0xffff8000
	s_and_saveexec_b64 s[14:15], vcc
	s_cbranch_execz .LBB941_548
; %bb.545:                              ;   in Loop: Header=BB941_213 Depth=1
	v_bfe_u32 v42, v42, 24, 7
	v_cmp_ne_u32_e32 vcc, s21, v42
	v_mov_b32_e32 v61, 0x7f80
	s_and_saveexec_b64 s[16:17], vcc
	s_cbranch_execz .LBB941_547
; %bb.546:                              ;   in Loop: Header=BB941_213 Depth=1
	v_and_b32_e32 v61, 7, v44
	v_ffbh_u32_e32 v62, v61
	v_min_u32_e32 v65, 32, v62
	v_subrev_u32_e32 v62, 28, v65
	v_lshlrev_b64 v[62:63], v62, v[44:45]
	v_lshrrev_b32_e32 v64, 3, v42
	v_sub_u32_e32 v63, 29, v65
	v_and_b32_e32 v62, 7, v62
	v_cmp_gt_u32_e32 vcc, 8, v42
	v_cndmask_b32_e32 v42, v64, v63, vcc
	v_cndmask_b32_e32 v61, v61, v62, vcc
	v_lshlrev_b32_e32 v44, 24, v44
	v_lshlrev_b32_e32 v61, 20, v61
	v_and_b32_e32 v44, 0x80000000, v44
	v_lshl_add_u32 v42, v42, 23, v45
	v_or3_b32 v42, v44, v42, v61
	v_lshrrev_b32_e32 v61, 16, v42
.LBB941_547:                            ;   in Loop: Header=BB941_213 Depth=1
	s_or_b64 exec, exec, s[16:17]
.LBB941_548:                            ;   in Loop: Header=BB941_213 Depth=1
	s_or_b64 exec, exec, s[14:15]
.LBB941_549:                            ;   in Loop: Header=BB941_213 Depth=1
	s_or_b64 exec, exec, s[12:13]
	v_perm_b32 v63, v58, v56, s23
	v_perm_b32 v62, v54, v55, s23
	;; [unrolled: 1-line block ×4, first 2 shown]
	s_waitcnt vmcnt(1)
	v_cmp_ne_u16_sdwa s[14:15], v40, v43 src0_sel:BYTE_0 src1_sel:DWORD
	v_mfma_f32_16x16x16bf16_1k v[34:37], v[62:63], v[26:27], v[34:37]
	v_mfma_f32_16x16x16bf16_1k v[34:37], v[54:55], v[28:29], v[34:37]
	s_and_saveexec_b64 s[12:13], s[14:15]
	s_cbranch_execz .LBB941_555
; %bb.550:                              ;   in Loop: Header=BB941_213 Depth=1
	v_cmp_ne_u16_sdwa s[16:17], v40, s9 src0_sel:BYTE_0 src1_sel:DWORD
	v_mov_b32_e32 v46, 0xffff8000
	s_and_saveexec_b64 s[14:15], s[16:17]
	s_cbranch_execz .LBB941_554
; %bb.551:                              ;   in Loop: Header=BB941_213 Depth=1
	v_and_b32_e32 v42, 0x7f, v40
	v_cmp_ne_u32_e32 vcc, s21, v42
	v_mov_b32_e32 v46, 0x7f80
	s_and_saveexec_b64 s[16:17], vcc
	s_cbranch_execz .LBB941_553
; %bb.552:                              ;   in Loop: Header=BB941_213 Depth=1
	v_and_b32_e32 v44, 7, v40
	v_ffbh_u32_e32 v54, v44
	v_min_u32_e32 v56, 32, v54
	v_subrev_u32_e32 v54, 28, v56
	v_lshlrev_b64 v[54:55], v54, v[40:41]
	v_lshrrev_b32_e32 v46, 3, v42
	v_sub_u32_e32 v55, 29, v56
	v_and_b32_e32 v54, 7, v54
	v_cmp_gt_u32_e32 vcc, 8, v42
	v_cndmask_b32_e32 v42, v46, v55, vcc
	v_cndmask_b32_e32 v44, v44, v54, vcc
	v_lshlrev_b32_e32 v46, 24, v40
	v_lshlrev_b32_e32 v44, 20, v44
	v_and_b32_e32 v46, 0x80000000, v46
	v_lshl_add_u32 v42, v42, 23, v45
	v_or3_b32 v42, v46, v42, v44
	v_lshrrev_b32_e32 v46, 16, v42
.LBB941_553:                            ;   in Loop: Header=BB941_213 Depth=1
	s_or_b64 exec, exec, s[16:17]
.LBB941_554:                            ;   in Loop: Header=BB941_213 Depth=1
	s_or_b64 exec, exec, s[14:15]
.LBB941_555:                            ;   in Loop: Header=BB941_213 Depth=1
	s_or_b64 exec, exec, s[12:13]
	v_lshrrev_b16_e32 v42, 8, v40
	v_cmp_ne_u16_e32 vcc, 0, v42
	v_mov_b32_e32 v54, 0
	v_mov_b32_e32 v44, 0
	s_and_saveexec_b64 s[12:13], vcc
	s_cbranch_execz .LBB941_561
; %bb.556:                              ;   in Loop: Header=BB941_213 Depth=1
	v_cmp_ne_u16_e32 vcc, s9, v42
	v_mov_b32_e32 v44, 0xffff8000
	s_and_saveexec_b64 s[14:15], vcc
	s_cbranch_execz .LBB941_560
; %bb.557:                              ;   in Loop: Header=BB941_213 Depth=1
	v_and_b32_e32 v55, 0x7f, v42
	v_cmp_ne_u32_e32 vcc, s21, v55
	v_mov_b32_e32 v44, 0x7f80
	s_and_saveexec_b64 s[16:17], vcc
	s_cbranch_execz .LBB941_559
; %bb.558:                              ;   in Loop: Header=BB941_213 Depth=1
	v_and_b32_e32 v44, 7, v42
	v_ffbh_u32_e32 v56, v44
	v_min_u32_e32 v59, 32, v56
	v_subrev_u32_e32 v56, 28, v59
	v_lshlrev_b64 v[56:57], v56, v[42:43]
	v_lshrrev_b32_e32 v58, 3, v55
	v_sub_u32_e32 v42, 29, v59
	v_and_b32_e32 v56, 7, v56
	v_cmp_gt_u32_e32 vcc, 8, v55
	v_cndmask_b32_e32 v42, v58, v42, vcc
	v_cndmask_b32_e32 v44, v44, v56, vcc
	v_lshlrev_b32_e32 v55, 16, v40
	v_lshlrev_b32_e32 v44, 20, v44
	v_and_b32_e32 v55, 0x80000000, v55
	v_lshl_add_u32 v42, v42, 23, v45
	v_or3_b32 v42, v55, v42, v44
	v_lshrrev_b32_e32 v44, 16, v42
.LBB941_559:                            ;   in Loop: Header=BB941_213 Depth=1
	s_or_b64 exec, exec, s[16:17]
.LBB941_560:                            ;   in Loop: Header=BB941_213 Depth=1
	s_or_b64 exec, exec, s[14:15]
.LBB941_561:                            ;   in Loop: Header=BB941_213 Depth=1
	s_or_b64 exec, exec, s[12:13]
	v_lshrrev_b32_e32 v42, 16, v40
	v_cmp_ne_u16_sdwa s[14:15], v42, v43 src0_sel:BYTE_0 src1_sel:DWORD
	s_and_saveexec_b64 s[12:13], s[14:15]
	s_cbranch_execz .LBB941_567
; %bb.562:                              ;   in Loop: Header=BB941_213 Depth=1
	v_cmp_ne_u16_sdwa s[16:17], v42, s9 src0_sel:BYTE_0 src1_sel:DWORD
	v_mov_b32_e32 v54, 0xffff8000
	s_and_saveexec_b64 s[14:15], s[16:17]
	s_cbranch_execz .LBB941_566
; %bb.563:                              ;   in Loop: Header=BB941_213 Depth=1
	v_bfe_u32 v55, v40, 16, 7
	v_cmp_ne_u32_e32 vcc, s21, v55
	v_mov_b32_e32 v54, 0x7f80
	s_and_saveexec_b64 s[16:17], vcc
	s_cbranch_execz .LBB941_565
; %bb.564:                              ;   in Loop: Header=BB941_213 Depth=1
	v_and_b32_e32 v54, 7, v42
	v_ffbh_u32_e32 v56, v54
	v_min_u32_e32 v59, 32, v56
	v_subrev_u32_e32 v56, 28, v59
	v_lshlrev_b64 v[56:57], v56, v[42:43]
	v_lshrrev_b32_e32 v58, 3, v55
	v_sub_u32_e32 v57, 29, v59
	v_and_b32_e32 v56, 7, v56
	v_cmp_gt_u32_e32 vcc, 8, v55
	v_cndmask_b32_e32 v55, v58, v57, vcc
	v_cndmask_b32_e32 v54, v54, v56, vcc
	v_lshlrev_b32_e32 v42, 24, v42
	v_lshlrev_b32_e32 v54, 20, v54
	v_and_b32_e32 v42, 0x80000000, v42
	v_lshl_add_u32 v55, v55, 23, v45
	v_or3_b32 v42, v42, v55, v54
	v_lshrrev_b32_e32 v54, 16, v42
.LBB941_565:                            ;   in Loop: Header=BB941_213 Depth=1
	s_or_b64 exec, exec, s[16:17]
.LBB941_566:                            ;   in Loop: Header=BB941_213 Depth=1
	s_or_b64 exec, exec, s[14:15]
.LBB941_567:                            ;   in Loop: Header=BB941_213 Depth=1
	s_or_b64 exec, exec, s[12:13]
	v_cmp_lt_u32_e32 vcc, s22, v40
	v_mov_b32_e32 v55, 0
	v_mov_b32_e32 v56, 0
	s_and_saveexec_b64 s[12:13], vcc
	s_cbranch_execz .LBB941_573
; %bb.568:                              ;   in Loop: Header=BB941_213 Depth=1
	v_lshrrev_b32_e32 v42, 24, v40
	v_cmp_ne_u32_e32 vcc, s9, v42
	v_mov_b32_e32 v56, 0xffff8000
	s_and_saveexec_b64 s[14:15], vcc
	s_cbranch_execz .LBB941_572
; %bb.569:                              ;   in Loop: Header=BB941_213 Depth=1
	v_bfe_u32 v40, v40, 24, 7
	v_cmp_ne_u32_e32 vcc, s21, v40
	v_mov_b32_e32 v56, 0x7f80
	s_and_saveexec_b64 s[16:17], vcc
	s_cbranch_execz .LBB941_571
; %bb.570:                              ;   in Loop: Header=BB941_213 Depth=1
	v_and_b32_e32 v58, 7, v42
	v_ffbh_u32_e32 v56, v58
	v_min_u32_e32 v60, 32, v56
	v_subrev_u32_e32 v56, 28, v60
	v_lshlrev_b64 v[56:57], v56, v[42:43]
	v_lshrrev_b32_e32 v59, 3, v40
	v_sub_u32_e32 v57, 29, v60
	v_and_b32_e32 v56, 7, v56
	v_cmp_gt_u32_e32 vcc, 8, v40
	v_cndmask_b32_e32 v40, v59, v57, vcc
	v_cndmask_b32_e32 v56, v58, v56, vcc
	v_lshlrev_b32_e32 v42, 24, v42
	v_lshlrev_b32_e32 v56, 20, v56
	v_and_b32_e32 v42, 0x80000000, v42
	v_lshl_add_u32 v40, v40, 23, v45
	v_or3_b32 v40, v42, v40, v56
	v_lshrrev_b32_e32 v56, 16, v40
.LBB941_571:                            ;   in Loop: Header=BB941_213 Depth=1
	s_or_b64 exec, exec, s[16:17]
.LBB941_572:                            ;   in Loop: Header=BB941_213 Depth=1
	s_or_b64 exec, exec, s[14:15]
.LBB941_573:                            ;   in Loop: Header=BB941_213 Depth=1
	s_or_b64 exec, exec, s[12:13]
	s_waitcnt vmcnt(0)
	v_cmp_ne_u16_sdwa s[14:15], v38, v43 src0_sel:BYTE_0 src1_sel:DWORD
	s_and_saveexec_b64 s[12:13], s[14:15]
	s_cbranch_execz .LBB941_579
; %bb.574:                              ;   in Loop: Header=BB941_213 Depth=1
	v_cmp_ne_u16_sdwa s[16:17], v38, s9 src0_sel:BYTE_0 src1_sel:DWORD
	v_mov_b32_e32 v55, 0xffff8000
	s_and_saveexec_b64 s[14:15], s[16:17]
	s_cbranch_execz .LBB941_578
; %bb.575:                              ;   in Loop: Header=BB941_213 Depth=1
	v_and_b32_e32 v40, 0x7f, v38
	v_cmp_ne_u32_e32 vcc, s21, v40
	v_mov_b32_e32 v55, 0x7f80
	s_and_saveexec_b64 s[16:17], vcc
	s_cbranch_execz .LBB941_577
; %bb.576:                              ;   in Loop: Header=BB941_213 Depth=1
	v_and_b32_e32 v42, 7, v38
	v_ffbh_u32_e32 v57, v42
	v_min_u32_e32 v57, 32, v57
	v_subrev_u32_e32 v58, 28, v57
	v_lshlrev_b64 v[58:59], v58, v[38:39]
	v_lshrrev_b32_e32 v55, 3, v40
	v_sub_u32_e32 v57, 29, v57
	v_and_b32_e32 v58, 7, v58
	v_cmp_gt_u32_e32 vcc, 8, v40
	v_cndmask_b32_e32 v40, v55, v57, vcc
	v_cndmask_b32_e32 v42, v42, v58, vcc
	v_lshlrev_b32_e32 v55, 24, v38
	v_lshlrev_b32_e32 v42, 20, v42
	v_and_b32_e32 v55, 0x80000000, v55
	v_lshl_add_u32 v40, v40, 23, v45
	v_or3_b32 v40, v55, v40, v42
	v_lshrrev_b32_e32 v55, 16, v40
.LBB941_577:                            ;   in Loop: Header=BB941_213 Depth=1
	s_or_b64 exec, exec, s[16:17]
.LBB941_578:                            ;   in Loop: Header=BB941_213 Depth=1
	s_or_b64 exec, exec, s[14:15]
.LBB941_579:                            ;   in Loop: Header=BB941_213 Depth=1
	s_or_b64 exec, exec, s[12:13]
	v_lshrrev_b16_e32 v40, 8, v38
	v_cmp_ne_u16_e32 vcc, 0, v40
	v_mov_b32_e32 v57, 0
	v_mov_b32_e32 v42, 0
	s_and_saveexec_b64 s[12:13], vcc
	s_cbranch_execz .LBB941_585
; %bb.580:                              ;   in Loop: Header=BB941_213 Depth=1
	v_cmp_ne_u16_e32 vcc, s9, v40
	v_mov_b32_e32 v42, 0xffff8000
	s_and_saveexec_b64 s[14:15], vcc
	s_cbranch_execz .LBB941_584
; %bb.581:                              ;   in Loop: Header=BB941_213 Depth=1
	v_and_b32_e32 v58, 0x7f, v40
	v_cmp_ne_u32_e32 vcc, s21, v58
	v_mov_b32_e32 v42, 0x7f80
	s_and_saveexec_b64 s[16:17], vcc
	s_cbranch_execz .LBB941_583
; %bb.582:                              ;   in Loop: Header=BB941_213 Depth=1
	v_and_b32_e32 v42, 7, v40
	v_ffbh_u32_e32 v60, v42
	v_min_u32_e32 v62, 32, v60
	v_subrev_u32_e32 v60, 28, v62
	v_lshlrev_b64 v[60:61], v60, v[40:41]
	v_lshrrev_b32_e32 v59, 3, v58
	v_sub_u32_e32 v40, 29, v62
	v_and_b32_e32 v60, 7, v60
	v_cmp_gt_u32_e32 vcc, 8, v58
	v_cndmask_b32_e32 v40, v59, v40, vcc
	v_cndmask_b32_e32 v42, v42, v60, vcc
	v_lshlrev_b32_e32 v58, 16, v38
	v_lshlrev_b32_e32 v42, 20, v42
	v_and_b32_e32 v58, 0x80000000, v58
	v_lshl_add_u32 v40, v40, 23, v45
	v_or3_b32 v40, v58, v40, v42
	v_lshrrev_b32_e32 v42, 16, v40
.LBB941_583:                            ;   in Loop: Header=BB941_213 Depth=1
	s_or_b64 exec, exec, s[16:17]
.LBB941_584:                            ;   in Loop: Header=BB941_213 Depth=1
	s_or_b64 exec, exec, s[14:15]
.LBB941_585:                            ;   in Loop: Header=BB941_213 Depth=1
	s_or_b64 exec, exec, s[12:13]
	v_lshrrev_b32_e32 v40, 16, v38
	v_cmp_ne_u16_sdwa s[14:15], v40, v43 src0_sel:BYTE_0 src1_sel:DWORD
	s_and_saveexec_b64 s[12:13], s[14:15]
	s_cbranch_execz .LBB941_591
; %bb.586:                              ;   in Loop: Header=BB941_213 Depth=1
	v_cmp_ne_u16_sdwa s[16:17], v40, s9 src0_sel:BYTE_0 src1_sel:DWORD
	v_mov_b32_e32 v57, 0xffff8000
	s_and_saveexec_b64 s[14:15], s[16:17]
	s_cbranch_execz .LBB941_590
; %bb.587:                              ;   in Loop: Header=BB941_213 Depth=1
	v_bfe_u32 v58, v38, 16, 7
	v_cmp_ne_u32_e32 vcc, s21, v58
	v_mov_b32_e32 v57, 0x7f80
	s_and_saveexec_b64 s[16:17], vcc
	s_cbranch_execz .LBB941_589
; %bb.588:                              ;   in Loop: Header=BB941_213 Depth=1
	v_and_b32_e32 v57, 7, v40
	v_ffbh_u32_e32 v60, v57
	v_min_u32_e32 v62, 32, v60
	v_subrev_u32_e32 v60, 28, v62
	v_lshlrev_b64 v[60:61], v60, v[40:41]
	v_lshrrev_b32_e32 v59, 3, v58
	v_sub_u32_e32 v61, 29, v62
	v_and_b32_e32 v60, 7, v60
	v_cmp_gt_u32_e32 vcc, 8, v58
	v_cndmask_b32_e32 v58, v59, v61, vcc
	v_cndmask_b32_e32 v57, v57, v60, vcc
	v_lshlrev_b32_e32 v40, 24, v40
	v_lshlrev_b32_e32 v57, 20, v57
	v_and_b32_e32 v40, 0x80000000, v40
	v_lshl_add_u32 v58, v58, 23, v45
	v_or3_b32 v40, v40, v58, v57
	v_lshrrev_b32_e32 v57, 16, v40
.LBB941_589:                            ;   in Loop: Header=BB941_213 Depth=1
	s_or_b64 exec, exec, s[16:17]
.LBB941_590:                            ;   in Loop: Header=BB941_213 Depth=1
	s_or_b64 exec, exec, s[14:15]
.LBB941_591:                            ;   in Loop: Header=BB941_213 Depth=1
	s_or_b64 exec, exec, s[12:13]
	v_cmp_lt_u32_e32 vcc, s22, v38
	v_mov_b32_e32 v58, 0
	s_and_saveexec_b64 s[12:13], vcc
	s_cbranch_execz .LBB941_212
; %bb.592:                              ;   in Loop: Header=BB941_213 Depth=1
	v_lshrrev_b32_e32 v40, 24, v38
	v_cmp_ne_u32_e32 vcc, s9, v40
	v_mov_b32_e32 v58, 0xffff8000
	s_and_saveexec_b64 s[14:15], vcc
	s_cbranch_execz .LBB941_211
; %bb.593:                              ;   in Loop: Header=BB941_213 Depth=1
	v_bfe_u32 v38, v38, 24, 7
	v_cmp_ne_u32_e32 vcc, s21, v38
	v_mov_b32_e32 v58, 0x7f80
	s_and_saveexec_b64 s[16:17], vcc
	s_cbranch_execz .LBB941_210
; %bb.594:                              ;   in Loop: Header=BB941_213 Depth=1
	v_and_b32_e32 v60, 7, v40
	v_ffbh_u32_e32 v58, v60
	v_min_u32_e32 v62, 32, v58
	v_subrev_u32_e32 v58, 28, v62
	v_lshlrev_b64 v[58:59], v58, v[40:41]
	v_lshrrev_b32_e32 v61, 3, v38
	v_sub_u32_e32 v59, 29, v62
	v_and_b32_e32 v58, 7, v58
	v_cmp_gt_u32_e32 vcc, 8, v38
	v_cndmask_b32_e32 v38, v61, v59, vcc
	v_cndmask_b32_e32 v58, v60, v58, vcc
	v_lshlrev_b32_e32 v40, 24, v40
	v_lshlrev_b32_e32 v58, 20, v58
	v_and_b32_e32 v40, 0x80000000, v40
	v_lshl_add_u32 v38, v38, 23, v45
	v_or3_b32 v38, v40, v38, v58
	v_lshrrev_b32_e32 v58, 16, v38
	s_branch .LBB941_210
.LBB941_595:
	s_barrier
	buffer_load_dword v2, off, s[0:3], 0 offset:320
	buffer_load_dword v5, off, s[0:3], 0 offset:332
	;; [unrolled: 1-line block ×4, first 2 shown]
	v_cmp_gt_u32_e32 vcc, 64, v0
	s_waitcnt vmcnt(0)
	ds_write2st64_b64 v39, v[2:3], v[4:5] offset1:1
	s_waitcnt lgkmcnt(0)
	s_barrier
	s_and_saveexec_b64 s[4:5], vcc
	s_cbranch_execz .LBB941_597
; %bb.596:
	s_lshl_b32 s6, s50, 7
	s_mul_i32 s4, s18, s8
	s_mul_hi_u32 s5, s4, s6
	s_mul_i32 s4, s4, s6
	s_lshl_b64 s[4:5], s[4:5], 1
	s_add_u32 s7, s48, s4
	v_lshlrev_b32_e32 v4, 6, v48
	s_addc_u32 s8, s49, s5
	s_lshl_b32 s4, s26, 7
	s_mov_b32 s5, 0
	v_lshl_or_b32 v0, v0, 10, v4
	s_lshl_b64 s[4:5], s[4:5], 1
	v_lshlrev_b32_e32 v2, 5, v1
	v_and_b32_e32 v3, 16, v49
	v_and_b32_e32 v0, 0x1a00, v0
	s_add_u32 s4, s7, s4
	v_or3_b32 v0, v0, v2, v3
	s_addc_u32 s5, s8, s5
	ds_read_b128 v[2:5], v0
	ds_read_b128 v[6:9], v0 offset:128
	ds_read_b128 v[10:13], v0 offset:256
	;; [unrolled: 1-line block ×3, first 2 shown]
	v_mov_b32_e32 v0, s5
	v_add_co_u32_e32 v18, vcc, s4, v47
	v_or_b32_e32 v20, s27, v1
	v_addc_co_u32_e32 v19, vcc, 0, v0, vcc
	v_mad_u64_u32 v[0:1], s[4:5], v20, s6, 0
	v_lshlrev_b64 v[0:1], 1, v[0:1]
	v_add_co_u32_e32 v0, vcc, v18, v0
	v_addc_co_u32_e32 v1, vcc, v19, v1, vcc
	s_waitcnt lgkmcnt(3)
	global_store_dwordx4 v[0:1], v[2:5], off
	v_or_b32_e32 v0, 4, v20
	v_mad_u64_u32 v[0:1], s[4:5], v0, s6, 0
	v_lshlrev_b64 v[0:1], 1, v[0:1]
	v_add_co_u32_e32 v0, vcc, v18, v0
	v_addc_co_u32_e32 v1, vcc, v19, v1, vcc
	s_waitcnt lgkmcnt(2)
	global_store_dwordx4 v[0:1], v[6:9], off
	v_or_b32_e32 v0, 8, v20
	;; [unrolled: 7-line block ×3, first 2 shown]
	v_mad_u64_u32 v[0:1], s[4:5], v0, s6, 0
	v_lshlrev_b64 v[0:1], 1, v[0:1]
	v_add_co_u32_e32 v0, vcc, v18, v0
	v_addc_co_u32_e32 v1, vcc, v19, v1, vcc
	s_waitcnt lgkmcnt(0)
	global_store_dwordx4 v[0:1], v[14:17], off
.LBB941_597:
	s_endpgm
	.section	.rodata,"a",@progbits
	.p2align	6, 0x0
	.amdhsa_kernel _Z39paged_attention_ll4mi_QKV_mfma16_kernelI14__hip_bfloat16hLN4vllm18Fp8KVCacheDataTypeE1ES0_Li32ELi128ELi256ELb1ELi16EL8MFMAType0EEvPKT_PKT0_S9_ifPKiSB_SB_iPKfiiiPfSE_PS4_PT2_iSD_SD_
		.amdhsa_group_segment_fixed_size 8192
		.amdhsa_private_segment_fixed_size 352
		.amdhsa_kernarg_size 400
		.amdhsa_user_sgpr_count 8
		.amdhsa_user_sgpr_private_segment_buffer 1
		.amdhsa_user_sgpr_dispatch_ptr 0
		.amdhsa_user_sgpr_queue_ptr 0
		.amdhsa_user_sgpr_kernarg_segment_ptr 1
		.amdhsa_user_sgpr_dispatch_id 0
		.amdhsa_user_sgpr_flat_scratch_init 1
		.amdhsa_user_sgpr_kernarg_preload_length 0
		.amdhsa_user_sgpr_kernarg_preload_offset 0
		.amdhsa_user_sgpr_private_segment_size 0
		.amdhsa_uses_dynamic_stack 0
		.amdhsa_system_sgpr_private_segment_wavefront_offset 1
		.amdhsa_system_sgpr_workgroup_id_x 1
		.amdhsa_system_sgpr_workgroup_id_y 1
		.amdhsa_system_sgpr_workgroup_id_z 1
		.amdhsa_system_sgpr_workgroup_info 0
		.amdhsa_system_vgpr_workitem_id 0
		.amdhsa_next_free_vgpr 76
		.amdhsa_next_free_sgpr 53
		.amdhsa_accum_offset 76
		.amdhsa_reserve_vcc 1
		.amdhsa_reserve_flat_scratch 0
		.amdhsa_float_round_mode_32 0
		.amdhsa_float_round_mode_16_64 0
		.amdhsa_float_denorm_mode_32 3
		.amdhsa_float_denorm_mode_16_64 3
		.amdhsa_dx10_clamp 1
		.amdhsa_ieee_mode 1
		.amdhsa_fp16_overflow 0
		.amdhsa_tg_split 0
		.amdhsa_exception_fp_ieee_invalid_op 0
		.amdhsa_exception_fp_denorm_src 0
		.amdhsa_exception_fp_ieee_div_zero 0
		.amdhsa_exception_fp_ieee_overflow 0
		.amdhsa_exception_fp_ieee_underflow 0
		.amdhsa_exception_fp_ieee_inexact 0
		.amdhsa_exception_int_div_zero 0
	.end_amdhsa_kernel
	.section	.text._Z39paged_attention_ll4mi_QKV_mfma16_kernelI14__hip_bfloat16hLN4vllm18Fp8KVCacheDataTypeE1ES0_Li32ELi128ELi256ELb1ELi16EL8MFMAType0EEvPKT_PKT0_S9_ifPKiSB_SB_iPKfiiiPfSE_PS4_PT2_iSD_SD_,"axG",@progbits,_Z39paged_attention_ll4mi_QKV_mfma16_kernelI14__hip_bfloat16hLN4vllm18Fp8KVCacheDataTypeE1ES0_Li32ELi128ELi256ELb1ELi16EL8MFMAType0EEvPKT_PKT0_S9_ifPKiSB_SB_iPKfiiiPfSE_PS4_PT2_iSD_SD_,comdat
.Lfunc_end941:
	.size	_Z39paged_attention_ll4mi_QKV_mfma16_kernelI14__hip_bfloat16hLN4vllm18Fp8KVCacheDataTypeE1ES0_Li32ELi128ELi256ELb1ELi16EL8MFMAType0EEvPKT_PKT0_S9_ifPKiSB_SB_iPKfiiiPfSE_PS4_PT2_iSD_SD_, .Lfunc_end941-_Z39paged_attention_ll4mi_QKV_mfma16_kernelI14__hip_bfloat16hLN4vllm18Fp8KVCacheDataTypeE1ES0_Li32ELi128ELi256ELb1ELi16EL8MFMAType0EEvPKT_PKT0_S9_ifPKiSB_SB_iPKfiiiPfSE_PS4_PT2_iSD_SD_
                                        ; -- End function
	.section	.AMDGPU.csdata,"",@progbits
; Kernel info:
; codeLenInByte = 22520
; NumSgprs: 57
; NumVgprs: 76
; NumAgprs: 0
; TotalNumVgprs: 76
; ScratchSize: 352
; MemoryBound: 0
; FloatMode: 240
; IeeeMode: 1
; LDSByteSize: 8192 bytes/workgroup (compile time only)
; SGPRBlocks: 7
; VGPRBlocks: 9
; NumSGPRsForWavesPerEU: 57
; NumVGPRsForWavesPerEU: 76
; AccumOffset: 76
; Occupancy: 6
; WaveLimiterHint : 1
; COMPUTE_PGM_RSRC2:SCRATCH_EN: 1
; COMPUTE_PGM_RSRC2:USER_SGPR: 8
; COMPUTE_PGM_RSRC2:TRAP_HANDLER: 0
; COMPUTE_PGM_RSRC2:TGID_X_EN: 1
; COMPUTE_PGM_RSRC2:TGID_Y_EN: 1
; COMPUTE_PGM_RSRC2:TGID_Z_EN: 1
; COMPUTE_PGM_RSRC2:TIDIG_COMP_CNT: 0
; COMPUTE_PGM_RSRC3_GFX90A:ACCUM_OFFSET: 18
; COMPUTE_PGM_RSRC3_GFX90A:TG_SPLIT: 0
	.section	.text._Z39paged_attention_ll4mi_QKV_mfma16_kernelI14__hip_bfloat16hLN4vllm18Fp8KVCacheDataTypeE1ES0_Li32ELi128ELi256ELb1ELi1EL8MFMAType0EEvPKT_PKT0_S9_ifPKiSB_SB_iPKfiiiPfSE_PS4_PT2_iSD_SD_,"axG",@progbits,_Z39paged_attention_ll4mi_QKV_mfma16_kernelI14__hip_bfloat16hLN4vllm18Fp8KVCacheDataTypeE1ES0_Li32ELi128ELi256ELb1ELi1EL8MFMAType0EEvPKT_PKT0_S9_ifPKiSB_SB_iPKfiiiPfSE_PS4_PT2_iSD_SD_,comdat
	.protected	_Z39paged_attention_ll4mi_QKV_mfma16_kernelI14__hip_bfloat16hLN4vllm18Fp8KVCacheDataTypeE1ES0_Li32ELi128ELi256ELb1ELi1EL8MFMAType0EEvPKT_PKT0_S9_ifPKiSB_SB_iPKfiiiPfSE_PS4_PT2_iSD_SD_ ; -- Begin function _Z39paged_attention_ll4mi_QKV_mfma16_kernelI14__hip_bfloat16hLN4vllm18Fp8KVCacheDataTypeE1ES0_Li32ELi128ELi256ELb1ELi1EL8MFMAType0EEvPKT_PKT0_S9_ifPKiSB_SB_iPKfiiiPfSE_PS4_PT2_iSD_SD_
	.globl	_Z39paged_attention_ll4mi_QKV_mfma16_kernelI14__hip_bfloat16hLN4vllm18Fp8KVCacheDataTypeE1ES0_Li32ELi128ELi256ELb1ELi1EL8MFMAType0EEvPKT_PKT0_S9_ifPKiSB_SB_iPKfiiiPfSE_PS4_PT2_iSD_SD_
	.p2align	8
	.type	_Z39paged_attention_ll4mi_QKV_mfma16_kernelI14__hip_bfloat16hLN4vllm18Fp8KVCacheDataTypeE1ES0_Li32ELi128ELi256ELb1ELi1EL8MFMAType0EEvPKT_PKT0_S9_ifPKiSB_SB_iPKfiiiPfSE_PS4_PT2_iSD_SD_,@function
_Z39paged_attention_ll4mi_QKV_mfma16_kernelI14__hip_bfloat16hLN4vllm18Fp8KVCacheDataTypeE1ES0_Li32ELi128ELi256ELb1ELi1EL8MFMAType0EEvPKT_PKT0_S9_ifPKiSB_SB_iPKfiiiPfSE_PS4_PT2_iSD_SD_: ; @_Z39paged_attention_ll4mi_QKV_mfma16_kernelI14__hip_bfloat16hLN4vllm18Fp8KVCacheDataTypeE1ES0_Li32ELi128ELi256ELb1ELi1EL8MFMAType0EEvPKT_PKT0_S9_ifPKiSB_SB_iPKfiiiPfSE_PS4_PT2_iSD_SD_
; %bb.0:
	s_load_dwordx2 s[6:7], s[4:5], 0x30
	s_add_u32 s0, s0, s11
	s_addc_u32 s1, s1, 0
	s_mov_b32 s28, s9
	s_mov_b64 s[14:15], 0
	s_waitcnt lgkmcnt(0)
	s_cmp_lg_u64 s[6:7], 0
	s_cselect_b64 s[12:13], -1, 0
	s_and_b64 vcc, exec, s[12:13]
	s_cbranch_vccz .LBB942_7
; %bb.1:
	s_add_i32 s16, s8, 1
	s_mov_b32 s17, 0
	s_lshl_b64 s[18:19], s[16:17], 2
	s_add_u32 s18, s6, s18
	s_mov_b32 s9, s17
	s_addc_u32 s19, s7, s19
	s_lshl_b64 s[16:17], s[8:9], 2
	s_add_u32 s16, s6, s16
	s_addc_u32 s17, s7, s17
	s_load_dword s11, s[18:19], 0x0
	s_load_dword s20, s[16:17], 0x0
	s_waitcnt lgkmcnt(0)
	s_sub_i32 s11, s11, s20
	s_cmp_eq_u32 s11, 1
	s_cselect_b64 s[16:17], -1, 0
	s_andn2_b64 vcc, exec, s[14:15]
	s_cbranch_vccnz .LBB942_3
.LBB942_2:
	s_mov_b32 s9, 0
	s_mov_b64 s[16:17], -1
.LBB942_3:
	s_andn2_b64 vcc, exec, s[16:17]
	s_cbranch_vccnz .LBB942_599
; %bb.4:
	s_load_dwordx2 s[16:17], s[4:5], 0x28
	s_lshl_b64 s[14:15], s[8:9], 2
	s_waitcnt lgkmcnt(0)
	s_add_u32 s16, s16, s14
	s_addc_u32 s17, s17, s15
	s_load_dword s29, s[16:17], 0x0
	s_lshl_b32 s20, s28, 8
	s_waitcnt lgkmcnt(0)
	s_cmp_ge_i32 s20, s29
	s_cbranch_scc1 .LBB942_599
; %bb.5:
	s_add_i32 s18, s29, 31
	s_load_dwordx2 s[16:17], s[4:5], 0x20
	s_load_dword s11, s[4:5], 0x38
	s_ashr_i32 s19, s18, 31
	v_and_b32_e32 v1, 0xcf, v0
	s_lshr_b32 s19, s19, 27
	v_add_u32_e32 v1, s20, v1
	s_add_i32 s18, s18, s19
	v_ashrrev_i32_e32 v2, 31, v1
	s_ashr_i32 s23, s18, 5
	v_lshrrev_b32_e32 v4, 27, v2
	s_add_i32 s23, s23, -1
	v_add_u32_e32 v2, v1, v4
	s_waitcnt lgkmcnt(0)
	s_mul_i32 s18, s8, s11
	s_mov_b32 s19, 0
	v_ashrrev_i32_e32 v2, 5, v2
	v_mov_b32_e32 v5, s23
	v_cmp_gt_i32_e32 vcc, s29, v1
	s_lshl_b64 s[18:19], s[18:19], 2
	v_cndmask_b32_e32 v2, v5, v2, vcc
	s_add_u32 s21, s16, s18
	v_ashrrev_i32_e32 v3, 31, v2
	s_addc_u32 s22, s17, s19
	v_lshlrev_b64 v[2:3], 2, v[2:3]
	v_mov_b32_e32 v7, s22
	v_add_co_u32_e32 v6, vcc, s21, v2
	v_or_b32_e32 v2, 16, v1
	v_addc_co_u32_e32 v7, vcc, v7, v3, vcc
	v_add_u32_e32 v3, v2, v4
	v_ashrrev_i32_e32 v3, 5, v3
	v_cmp_gt_i32_e32 vcc, s29, v2
	v_cndmask_b32_e32 v2, v5, v3, vcc
	v_ashrrev_i32_e32 v3, 31, v2
	v_lshlrev_b64 v[2:3], 2, v[2:3]
	v_mov_b32_e32 v9, s22
	v_add_co_u32_e32 v8, vcc, s21, v2
	v_or_b32_e32 v2, 32, v1
	v_addc_co_u32_e32 v9, vcc, v9, v3, vcc
	v_add_u32_e32 v3, v2, v4
	v_ashrrev_i32_e32 v3, 5, v3
	v_cmp_gt_i32_e32 vcc, s29, v2
	v_cndmask_b32_e32 v2, v5, v3, vcc
	v_ashrrev_i32_e32 v3, 31, v2
	;; [unrolled: 10-line block ×3, first 2 shown]
	v_lshlrev_b64 v[2:3], 2, v[2:3]
	v_mov_b32_e32 v1, s22
	v_add_co_u32_e32 v12, vcc, s21, v2
	v_addc_co_u32_e32 v13, vcc, v1, v3, vcc
	global_load_dword v5, v[6:7], off
	global_load_dword v4, v[8:9], off
	;; [unrolled: 1-line block ×4, first 2 shown]
	s_load_dwordx2 s[16:17], s[4:5], 0x8
	s_andn2_b64 vcc, exec, s[12:13]
	s_cbranch_vccnz .LBB942_8
; %bb.6:
	s_add_u32 s6, s6, s14
	s_addc_u32 s7, s7, s15
	s_load_dword s11, s[6:7], 0x0
	s_branch .LBB942_9
.LBB942_7:
	s_mov_b64 s[16:17], 0
	s_branch .LBB942_2
.LBB942_8:
	s_mov_b32 s11, s8
.LBB942_9:
	s_load_dwordx2 s[6:7], s[4:5], 0x10
	s_load_dwordx4 s[12:15], s[4:5], 0x48
	v_lshrrev_b32_e32 v27, 6, v0
	v_bfe_u32 v39, v0, 4, 2
	v_and_b32_e32 v41, 15, v0
	v_lshl_or_b32 v1, v27, 2, v39
	v_lshlrev_b32_e32 v6, 3, v41
	v_cmp_eq_u32_e32 vcc, 0, v1
	v_lshlrev_b32_e32 v1, 1, v6
	v_lshlrev_b32_e32 v43, 4, v0
	s_and_saveexec_b64 s[18:19], vcc
	s_cbranch_execz .LBB942_11
; %bb.10:
	s_load_dwordx2 s[24:25], s[4:5], 0x0
	s_waitcnt lgkmcnt(0)
	s_ashr_i32 s15, s12, 31
	s_mul_hi_u32 s26, s11, s12
	s_mul_i32 s15, s11, s15
	s_add_i32 s27, s26, s15
	s_mul_i32 s26, s11, s12
	s_lshl_b64 s[26:27], s[26:27], 1
	s_add_u32 s11, s24, s26
	s_addc_u32 s12, s25, s27
	s_lshl_b32 s24, s10, 7
	s_ashr_i32 s25, s24, 31
	s_lshl_b64 s[24:25], s[24:25], 1
	s_add_u32 s24, s11, s24
	s_addc_u32 s25, s12, s25
	global_load_dwordx4 v[6:9], v1, s[24:25]
	v_lshlrev_b32_e32 v10, 8, v0
	v_lshlrev_b32_e32 v11, 8, v41
	v_and_b32_e32 v10, 0x600, v10
	v_and_b32_e32 v11, 0x800, v11
	;; [unrolled: 1-line block ×3, first 2 shown]
	v_or3_b32 v10, v11, v10, v12
	s_waitcnt vmcnt(0)
	ds_write_b128 v10, v[6:9]
.LBB942_11:
	s_or_b64 exec, exec, s[18:19]
	s_waitcnt lgkmcnt(0)
	s_mul_i32 s12, s10, s14
	s_add_u32 s14, s16, s12
	s_addc_u32 s15, s17, 0
	v_pk_mov_b32 v[6:7], s[14:15], s[14:15] op_sel:[0,1]
	s_waitcnt vmcnt(3)
	v_mad_i64_i32 v[8:9], s[14:15], v5, s13, v[6:7]
	v_lshlrev_b32_e32 v11, 4, v41
	v_and_b32_e32 v18, 48, v0
	v_add_co_u32_e32 v5, vcc, v8, v11
	v_lshlrev_b32_e32 v10, 5, v18
	v_addc_co_u32_e32 v9, vcc, 0, v9, vcc
	v_add_co_u32_e32 v8, vcc, v5, v10
	v_addc_co_u32_e32 v9, vcc, 0, v9, vcc
	s_load_dwordx2 s[52:53], s[4:5], 0x94
	s_waitcnt lgkmcnt(0)
	s_barrier
	global_load_dwordx4 v[20:23], v[8:9], off
	global_load_dwordx4 v[28:31], v[8:9], off offset:2048
	s_waitcnt vmcnt(4)
	v_mad_i64_i32 v[4:5], s[14:15], v4, s13, v[6:7]
	v_or_b32_e32 v8, 0x100, v11
	v_add_co_u32_e32 v4, vcc, v4, v8
	v_addc_co_u32_e32 v5, vcc, 0, v5, vcc
	v_add_co_u32_e32 v4, vcc, v4, v10
	v_addc_co_u32_e32 v5, vcc, 0, v5, vcc
	global_load_dwordx4 v[32:35], v[4:5], off
	global_load_dwordx4 v[44:47], v[4:5], off offset:2048
	s_waitcnt vmcnt(5)
	v_mad_i64_i32 v[4:5], s[14:15], v3, s13, v[6:7]
	v_add_co_u32_e32 v3, vcc, v4, v11
	v_addc_co_u32_e32 v5, vcc, 0, v5, vcc
	v_add_co_u32_e32 v4, vcc, v3, v10
	v_addc_co_u32_e32 v5, vcc, 0, v5, vcc
	s_waitcnt vmcnt(4)
	v_mad_i64_i32 v[2:3], s[14:15], v2, s13, v[6:7]
	v_add_co_u32_e32 v2, vcc, v2, v8
	v_addc_co_u32_e32 v3, vcc, 0, v3, vcc
	v_add_co_u32_e32 v2, vcc, v2, v10
	v_addc_co_u32_e32 v3, vcc, 0, v3, vcc
	global_load_dwordx4 v[48:51], v[4:5], off
	global_load_dwordx4 v[52:55], v[4:5], off offset:2048
	global_load_dwordx4 v[56:59], v[2:3], off
	global_load_dwordx4 v[60:63], v[2:3], off offset:2048
	v_lshlrev_b32_e32 v14, 9, v39
	s_load_dwordx2 s[54:55], s[4:5], 0x68
	s_load_dwordx4 s[44:47], s[4:5], 0x58
	ds_read_b128 v[2:5], v14
	ds_read_b128 v[6:9], v14 offset:16
	ds_read_b128 v[10:13], v14 offset:2048
	;; [unrolled: 1-line block ×3, first 2 shown]
	s_mov_b32 s16, 0
	v_cmp_eq_u32_e32 vcc, 0, v41
	s_waitcnt vmcnt(7)
	buffer_store_dword v23, off, s[0:3], 0 offset:12
	buffer_store_dword v22, off, s[0:3], 0 offset:8
	;; [unrolled: 1-line block ×3, first 2 shown]
	buffer_store_dword v20, off, s[0:3], 0
	s_waitcnt vmcnt(10)
	buffer_store_dword v31, off, s[0:3], 0 offset:28
	buffer_store_dword v30, off, s[0:3], 0 offset:24
	buffer_store_dword v29, off, s[0:3], 0 offset:20
	buffer_store_dword v28, off, s[0:3], 0 offset:16
	s_waitcnt vmcnt(13)
	buffer_store_dword v35, off, s[0:3], 0 offset:44
	buffer_store_dword v34, off, s[0:3], 0 offset:40
	buffer_store_dword v33, off, s[0:3], 0 offset:36
	buffer_store_dword v32, off, s[0:3], 0 offset:32
	;; [unrolled: 5-line block ×7, first 2 shown]
	v_mov_b32_e32 v35, 0
	v_mov_b32_e32 v31, 0
	s_and_saveexec_b64 s[14:15], vcc
	s_cbranch_execz .LBB942_13
; %bb.12:
	s_load_dwordx2 s[18:19], s[4:5], 0x40
	s_ashr_i32 s11, s10, 31
	s_lshl_b64 s[24:25], s[10:11], 2
	s_waitcnt lgkmcnt(0)
	s_add_u32 s18, s18, s24
	s_addc_u32 s19, s19, s25
	s_load_dword s11, s[18:19], 0x0
	s_waitcnt lgkmcnt(0)
	v_mov_b32_e32 v31, s11
.LBB942_13:
	s_or_b64 exec, exec, s[14:15]
	s_ashr_i32 s11, s20, 31
	v_or_b32_e32 v24, s20, v18
	s_lshr_b32 s11, s11, 27
	v_add_u32_e32 v18, s11, v24
	v_ashrrev_i32_e32 v18, 5, v18
	v_mov_b32_e32 v25, s23
	v_cmp_gt_i32_e32 vcc, s29, v24
	v_cndmask_b32_e32 v18, v25, v18, vcc
	v_ashrrev_i32_e32 v19, 31, v18
	v_lshlrev_b64 v[18:19], 2, v[18:19]
	v_mov_b32_e32 v20, s22
	v_add_co_u32_e32 v18, vcc, s21, v18
	v_addc_co_u32_e32 v19, vcc, v20, v19, vcc
	v_or_b32_e32 v20, 64, v24
	v_add_u32_e32 v21, s11, v20
	v_ashrrev_i32_e32 v21, 5, v21
	v_cmp_gt_i32_e32 vcc, s29, v20
	v_cndmask_b32_e32 v20, v25, v21, vcc
	v_ashrrev_i32_e32 v21, 31, v20
	v_lshlrev_b64 v[20:21], 2, v[20:21]
	v_mov_b32_e32 v22, s22
	v_add_co_u32_e32 v20, vcc, s21, v20
	v_addc_co_u32_e32 v21, vcc, v22, v21, vcc
	v_or_b32_e32 v22, 0x80, v24
	v_add_u32_e32 v23, s11, v22
	v_ashrrev_i32_e32 v23, 5, v23
	v_cmp_gt_i32_e32 vcc, s29, v22
	v_cndmask_b32_e32 v22, v25, v23, vcc
	v_ashrrev_i32_e32 v23, 31, v22
	v_lshlrev_b64 v[22:23], 2, v[22:23]
	v_mov_b32_e32 v26, s22
	v_add_co_u32_e32 v22, vcc, s21, v22
	v_addc_co_u32_e32 v23, vcc, v26, v23, vcc
	global_load_dword v26, v[18:19], off
	global_load_dword v28, v[20:21], off
	global_load_dword v30, v[22:23], off
	v_or_b32_e32 v18, 0xc0, v24
	v_add_u32_e32 v19, s11, v18
	v_ashrrev_i32_e32 v19, 5, v19
	v_cmp_gt_i32_e32 vcc, s29, v18
	v_cndmask_b32_e32 v18, v25, v19, vcc
	v_ashrrev_i32_e32 v19, 31, v18
	v_lshlrev_b64 v[18:19], 2, v[18:19]
	v_mov_b32_e32 v20, s22
	v_add_co_u32_e32 v18, vcc, s21, v18
	v_addc_co_u32_e32 v19, vcc, v20, v19, vcc
	global_load_dword v32, v[18:19], off
	s_add_u32 s6, s6, s12
	v_and_b32_e32 v18, 16, v0
	s_addc_u32 s7, s7, 0
	v_lshl_or_b32 v29, v27, 4, v41
	v_mov_b32_e32 v20, s7
	v_add_co_u32_e32 v34, vcc, s6, v18
	v_lshlrev_b32_e32 v19, 5, v29
	v_addc_co_u32_e32 v36, vcc, 0, v20, vcc
	v_add_co_u32_e32 v22, vcc, v34, v19
	v_addc_co_u32_e32 v23, vcc, 0, v36, vcc
	v_or_b32_e32 v33, 0x800, v19
	s_movk_i32 s11, 0x80
	s_movk_i32 s14, 0x7f
	s_mov_b32 s15, 0xffffff
	s_mov_b32 s17, 0x5040100
	v_mov_b32_e32 v37, 0x100
	v_bfrev_b32_e32 v38, 60
	s_waitcnt vmcnt(3)
	v_mad_i64_i32 v[18:19], s[6:7], v26, s13, v[22:23]
	s_waitcnt vmcnt(2)
	v_mad_i64_i32 v[24:25], s[6:7], v28, s13, v[22:23]
	global_load_dwordx4 v[18:21], v[18:19], off
	s_nop 0
	global_load_dwordx4 v[52:55], v[24:25], off
	s_waitcnt vmcnt(3)
	v_mad_i64_i32 v[24:25], s[6:7], v30, s13, v[22:23]
	s_waitcnt vmcnt(2)
	v_mad_i64_i32 v[22:23], s[6:7], v32, s13, v[22:23]
	global_load_dwordx4 v[56:59], v[24:25], off
	global_load_dwordx4 v[60:63], v[22:23], off
	v_add_co_u32_e32 v22, vcc, v34, v33
	v_addc_co_u32_e32 v23, vcc, 0, v36, vcc
	v_mad_i64_i32 v[24:25], s[6:7], v26, s13, v[22:23]
	global_load_dwordx4 v[64:67], v[24:25], off
	v_mad_i64_i32 v[24:25], s[6:7], v28, s13, v[22:23]
	global_load_dwordx4 v[68:71], v[24:25], off
	;; [unrolled: 2-line block ×4, first 2 shown]
	s_load_dword s6, s[4:5], 0x1c
	s_load_dwordx4 s[48:51], s[4:5], 0x80
	v_mov_b32_e32 v22, 0x80
	v_add_u32_e32 v45, 16, v22
	v_add_u32_e32 v46, 32, v22
	;; [unrolled: 1-line block ×3, first 2 shown]
	s_waitcnt lgkmcnt(0)
	s_load_dword s4, s[48:49], 0x0
	v_add_u32_e32 v51, 64, v22
	v_add_u32_e32 v48, 0x50, v22
	;; [unrolled: 1-line block ×4, first 2 shown]
	v_mov_b32_e32 v22, s6
	s_waitcnt lgkmcnt(0)
	v_mul_f32_e32 v22, s4, v22
	v_and_b32_e32 v33, 63, v0
	v_mov_b32_e32 v36, 0
	v_mov_b32_e32 v24, v22
	;; [unrolled: 1-line block ×3, first 2 shown]
	s_waitcnt vmcnt(7)
	buffer_store_dword v21, off, s[0:3], 0 offset:140
	buffer_store_dword v20, off, s[0:3], 0 offset:136
	buffer_store_dword v19, off, s[0:3], 0 offset:132
	buffer_store_dword v18, off, s[0:3], 0 offset:128
	s_waitcnt vmcnt(10)
	buffer_store_dword v55, off, s[0:3], 0 offset:172
	buffer_store_dword v54, off, s[0:3], 0 offset:168
	buffer_store_dword v53, off, s[0:3], 0 offset:164
	buffer_store_dword v52, off, s[0:3], 0 offset:160
	;; [unrolled: 5-line block ×8, first 2 shown]
	s_branch .LBB942_17
.LBB942_14:                             ;   in Loop: Header=BB942_17 Depth=1
	s_or_b64 exec, exec, s[12:13]
.LBB942_15:                             ;   in Loop: Header=BB942_17 Depth=1
	s_or_b64 exec, exec, s[6:7]
.LBB942_16:                             ;   in Loop: Header=BB942_17 Depth=1
	s_or_b64 exec, exec, s[4:5]
	v_perm_b32 v55, v40, v34, s17
	v_perm_b32 v54, v23, v32, s17
	;; [unrolled: 1-line block ×4, first 2 shown]
	v_add_u32_e32 v26, s16, v37
	v_mfma_f32_16x16x16bf16_1k v[18:21], v[54:55], v[14:15], v[18:21]
	s_add_i32 s16, s16, 16
	v_mov_b32_e32 v23, v22
	s_cmp_eq_u32 s16, 64
	v_add_u32_e32 v36, 32, v36
	v_mfma_f32_16x16x16bf16_1k v[18:21], v[52:53], v[16:17], v[18:21]
	s_nop 7
	s_nop 2
	v_pk_mul_f32 v[18:19], v[24:25], v[18:19]
	v_pk_mul_f32 v[20:21], v[22:23], v[20:21]
	buffer_store_dword v19, v26, s[0:3], 0 offen offset:4
	buffer_store_dword v18, v26, s[0:3], 0 offen
	buffer_store_dword v21, v26, s[0:3], 0 offen offset:12
	buffer_store_dword v20, v26, s[0:3], 0 offen offset:8
	s_cbranch_scc1 .LBB942_207
.LBB942_17:                             ; =>This Inner Loop Header: Depth=1
	buffer_load_dword v20, v36, s[0:3], 0 offen
	buffer_load_dword v18, v36, s[0:3], 0 offen offset:4
	buffer_load_dword v28, v36, s[0:3], 0 offen offset:8
	;; [unrolled: 1-line block ×3, first 2 shown]
	v_mov_b32_e32 v19, 0
	v_mov_b32_e32 v21, 0
	s_waitcnt vmcnt(3)
	v_cmp_ne_u16_sdwa s[6:7], v20, v35 src0_sel:BYTE_0 src1_sel:DWORD
	s_and_saveexec_b64 s[4:5], s[6:7]
	s_cbranch_execz .LBB942_23
; %bb.18:                               ;   in Loop: Header=BB942_17 Depth=1
	v_cmp_ne_u16_sdwa s[12:13], v20, s11 src0_sel:BYTE_0 src1_sel:DWORD
	v_mov_b32_e32 v21, 0xffff8000
	s_and_saveexec_b64 s[6:7], s[12:13]
	s_cbranch_execz .LBB942_22
; %bb.19:                               ;   in Loop: Header=BB942_17 Depth=1
	v_and_b32_e32 v23, 0x7f, v20
	v_cmp_ne_u32_e32 vcc, s14, v23
	v_mov_b32_e32 v21, 0x7f80
	s_and_saveexec_b64 s[12:13], vcc
	s_cbranch_execz .LBB942_21
; %bb.20:                               ;   in Loop: Header=BB942_17 Depth=1
	v_and_b32_e32 v21, 7, v20
	v_ffbh_u32_e32 v32, v21
	v_min_u32_e32 v32, 32, v32
	v_subrev_u32_e32 v34, 28, v32
	v_lshlrev_b64 v[52:53], v34, v[20:21]
	v_lshrrev_b32_e32 v30, 3, v23
	v_sub_u32_e32 v32, 29, v32
	v_and_b32_e32 v34, 7, v52
	v_cmp_gt_u32_e32 vcc, 8, v23
	v_cndmask_b32_e32 v23, v30, v32, vcc
	v_cndmask_b32_e32 v21, v21, v34, vcc
	v_lshlrev_b32_e32 v30, 24, v20
	v_lshlrev_b32_e32 v21, 20, v21
	v_and_b32_e32 v30, 0x80000000, v30
	v_lshl_add_u32 v23, v23, 23, v38
	v_or3_b32 v21, v30, v23, v21
	v_lshrrev_b32_e32 v21, 16, v21
.LBB942_21:                             ;   in Loop: Header=BB942_17 Depth=1
	s_or_b64 exec, exec, s[12:13]
.LBB942_22:                             ;   in Loop: Header=BB942_17 Depth=1
	s_or_b64 exec, exec, s[6:7]
.LBB942_23:                             ;   in Loop: Header=BB942_17 Depth=1
	s_or_b64 exec, exec, s[4:5]
	v_lshrrev_b16_e32 v30, 8, v20
	v_cmp_ne_u16_e32 vcc, 0, v30
	s_and_saveexec_b64 s[4:5], vcc
	s_cbranch_execz .LBB942_29
; %bb.24:                               ;   in Loop: Header=BB942_17 Depth=1
	v_cmp_ne_u16_e32 vcc, s11, v30
	v_mov_b32_e32 v19, 0xffff8000
	s_and_saveexec_b64 s[6:7], vcc
	s_cbranch_execz .LBB942_28
; %bb.25:                               ;   in Loop: Header=BB942_17 Depth=1
	v_and_b32_e32 v23, 0x7f, v30
	v_cmp_ne_u32_e32 vcc, s14, v23
	v_mov_b32_e32 v19, 0x7f80
	s_and_saveexec_b64 s[12:13], vcc
	s_cbranch_execz .LBB942_27
; %bb.26:                               ;   in Loop: Header=BB942_17 Depth=1
	v_and_b32_e32 v19, 7, v30
	v_ffbh_u32_e32 v34, v19
	v_min_u32_e32 v34, 32, v34
	v_subrev_u32_e32 v40, 28, v34
	v_lshlrev_b64 v[52:53], v40, v[30:31]
	v_lshrrev_b32_e32 v32, 3, v23
	v_sub_u32_e32 v30, 29, v34
	v_and_b32_e32 v34, 7, v52
	v_cmp_gt_u32_e32 vcc, 8, v23
	v_cndmask_b32_e32 v23, v32, v30, vcc
	v_cndmask_b32_e32 v19, v19, v34, vcc
	v_lshlrev_b32_e32 v30, 16, v20
	v_lshlrev_b32_e32 v19, 20, v19
	v_and_b32_e32 v30, 0x80000000, v30
	v_lshl_add_u32 v23, v23, 23, v38
	v_or3_b32 v19, v30, v23, v19
	v_lshrrev_b32_e32 v19, 16, v19
.LBB942_27:                             ;   in Loop: Header=BB942_17 Depth=1
	s_or_b64 exec, exec, s[12:13]
.LBB942_28:                             ;   in Loop: Header=BB942_17 Depth=1
	s_or_b64 exec, exec, s[6:7]
.LBB942_29:                             ;   in Loop: Header=BB942_17 Depth=1
	s_or_b64 exec, exec, s[4:5]
	v_lshrrev_b32_e32 v30, 16, v20
	v_cmp_ne_u16_sdwa s[6:7], v30, v35 src0_sel:BYTE_0 src1_sel:DWORD
	v_mov_b32_e32 v32, 0
	v_mov_b32_e32 v23, 0
	s_and_saveexec_b64 s[4:5], s[6:7]
	s_cbranch_execz .LBB942_35
; %bb.30:                               ;   in Loop: Header=BB942_17 Depth=1
	v_cmp_ne_u16_sdwa s[12:13], v30, s11 src0_sel:BYTE_0 src1_sel:DWORD
	v_mov_b32_e32 v23, 0xffff8000
	s_and_saveexec_b64 s[6:7], s[12:13]
	s_cbranch_execz .LBB942_34
; %bb.31:                               ;   in Loop: Header=BB942_17 Depth=1
	v_bfe_u32 v34, v20, 16, 7
	v_cmp_ne_u32_e32 vcc, s14, v34
	v_mov_b32_e32 v23, 0x7f80
	s_and_saveexec_b64 s[12:13], vcc
	s_cbranch_execz .LBB942_33
; %bb.32:                               ;   in Loop: Header=BB942_17 Depth=1
	v_and_b32_e32 v23, 7, v30
	v_ffbh_u32_e32 v42, v23
	v_min_u32_e32 v42, 32, v42
	v_subrev_u32_e32 v44, 28, v42
	v_lshlrev_b64 v[52:53], v44, v[30:31]
	v_lshrrev_b32_e32 v40, 3, v34
	v_sub_u32_e32 v42, 29, v42
	v_and_b32_e32 v44, 7, v52
	v_cmp_gt_u32_e32 vcc, 8, v34
	v_cndmask_b32_e32 v34, v40, v42, vcc
	v_cndmask_b32_e32 v23, v23, v44, vcc
	v_lshlrev_b32_e32 v30, 24, v30
	v_lshlrev_b32_e32 v23, 20, v23
	v_and_b32_e32 v30, 0x80000000, v30
	v_lshl_add_u32 v34, v34, 23, v38
	v_or3_b32 v23, v30, v34, v23
	v_lshrrev_b32_e32 v23, 16, v23
.LBB942_33:                             ;   in Loop: Header=BB942_17 Depth=1
	s_or_b64 exec, exec, s[12:13]
.LBB942_34:                             ;   in Loop: Header=BB942_17 Depth=1
	s_or_b64 exec, exec, s[6:7]
.LBB942_35:                             ;   in Loop: Header=BB942_17 Depth=1
	s_or_b64 exec, exec, s[4:5]
	v_cmp_lt_u32_e32 vcc, s15, v20
	s_and_saveexec_b64 s[4:5], vcc
	s_cbranch_execz .LBB942_41
; %bb.36:                               ;   in Loop: Header=BB942_17 Depth=1
	v_lshrrev_b32_e32 v30, 24, v20
	v_cmp_ne_u32_e32 vcc, s11, v30
	v_mov_b32_e32 v32, 0xffff8000
	s_and_saveexec_b64 s[6:7], vcc
	s_cbranch_execz .LBB942_40
; %bb.37:                               ;   in Loop: Header=BB942_17 Depth=1
	v_bfe_u32 v20, v20, 24, 7
	v_cmp_ne_u32_e32 vcc, s14, v20
	v_mov_b32_e32 v32, 0x7f80
	s_and_saveexec_b64 s[12:13], vcc
	s_cbranch_execz .LBB942_39
; %bb.38:                               ;   in Loop: Header=BB942_17 Depth=1
	v_and_b32_e32 v32, 7, v30
	v_ffbh_u32_e32 v40, v32
	v_min_u32_e32 v40, 32, v40
	v_subrev_u32_e32 v42, 28, v40
	v_lshlrev_b64 v[52:53], v42, v[30:31]
	v_lshrrev_b32_e32 v34, 3, v20
	v_sub_u32_e32 v40, 29, v40
	v_and_b32_e32 v42, 7, v52
	v_cmp_gt_u32_e32 vcc, 8, v20
	v_cndmask_b32_e32 v20, v34, v40, vcc
	v_cndmask_b32_e32 v32, v32, v42, vcc
	v_lshlrev_b32_e32 v30, 24, v30
	v_lshlrev_b32_e32 v32, 20, v32
	v_and_b32_e32 v30, 0x80000000, v30
	v_lshl_add_u32 v20, v20, 23, v38
	v_or3_b32 v20, v30, v20, v32
	v_lshrrev_b32_e32 v32, 16, v20
.LBB942_39:                             ;   in Loop: Header=BB942_17 Depth=1
	s_or_b64 exec, exec, s[12:13]
.LBB942_40:                             ;   in Loop: Header=BB942_17 Depth=1
	s_or_b64 exec, exec, s[6:7]
.LBB942_41:                             ;   in Loop: Header=BB942_17 Depth=1
	s_or_b64 exec, exec, s[4:5]
	s_waitcnt vmcnt(2)
	v_cmp_ne_u16_sdwa s[6:7], v18, v35 src0_sel:BYTE_0 src1_sel:DWORD
	v_mov_b32_e32 v30, 0
	v_mov_b32_e32 v34, 0
	s_and_saveexec_b64 s[4:5], s[6:7]
	s_cbranch_execz .LBB942_47
; %bb.42:                               ;   in Loop: Header=BB942_17 Depth=1
	v_cmp_ne_u16_sdwa s[12:13], v18, s11 src0_sel:BYTE_0 src1_sel:DWORD
	v_mov_b32_e32 v34, 0xffff8000
	s_and_saveexec_b64 s[6:7], s[12:13]
	s_cbranch_execz .LBB942_46
; %bb.43:                               ;   in Loop: Header=BB942_17 Depth=1
	v_and_b32_e32 v20, 0x7f, v18
	v_cmp_ne_u32_e32 vcc, s14, v20
	v_mov_b32_e32 v34, 0x7f80
	s_and_saveexec_b64 s[12:13], vcc
	s_cbranch_execz .LBB942_45
; %bb.44:                               ;   in Loop: Header=BB942_17 Depth=1
	v_and_b32_e32 v34, 7, v18
	v_ffbh_u32_e32 v42, v34
	v_min_u32_e32 v42, 32, v42
	v_subrev_u32_e32 v44, 28, v42
	v_lshlrev_b64 v[52:53], v44, v[18:19]
	v_lshrrev_b32_e32 v40, 3, v20
	v_sub_u32_e32 v42, 29, v42
	v_and_b32_e32 v44, 7, v52
	v_cmp_gt_u32_e32 vcc, 8, v20
	v_cndmask_b32_e32 v20, v40, v42, vcc
	v_cndmask_b32_e32 v34, v34, v44, vcc
	v_lshlrev_b32_e32 v40, 24, v18
	v_lshlrev_b32_e32 v34, 20, v34
	v_and_b32_e32 v40, 0x80000000, v40
	v_lshl_add_u32 v20, v20, 23, v38
	v_or3_b32 v20, v40, v20, v34
	v_lshrrev_b32_e32 v34, 16, v20
.LBB942_45:                             ;   in Loop: Header=BB942_17 Depth=1
	s_or_b64 exec, exec, s[12:13]
.LBB942_46:                             ;   in Loop: Header=BB942_17 Depth=1
	s_or_b64 exec, exec, s[6:7]
.LBB942_47:                             ;   in Loop: Header=BB942_17 Depth=1
	s_or_b64 exec, exec, s[4:5]
	v_lshrrev_b16_e32 v20, 8, v18
	v_cmp_ne_u16_e32 vcc, 0, v20
	s_and_saveexec_b64 s[4:5], vcc
	s_cbranch_execz .LBB942_53
; %bb.48:                               ;   in Loop: Header=BB942_17 Depth=1
	v_cmp_ne_u16_e32 vcc, s11, v20
	v_mov_b32_e32 v30, 0xffff8000
	s_and_saveexec_b64 s[6:7], vcc
	s_cbranch_execz .LBB942_52
; %bb.49:                               ;   in Loop: Header=BB942_17 Depth=1
	v_and_b32_e32 v40, 0x7f, v20
	v_cmp_ne_u32_e32 vcc, s14, v40
	v_mov_b32_e32 v30, 0x7f80
	s_and_saveexec_b64 s[12:13], vcc
	s_cbranch_execz .LBB942_51
; %bb.50:                               ;   in Loop: Header=BB942_17 Depth=1
	v_and_b32_e32 v30, 7, v20
	v_ffbh_u32_e32 v44, v30
	v_min_u32_e32 v44, 32, v44
	v_subrev_u32_e32 v52, 28, v44
	v_lshlrev_b64 v[52:53], v52, v[20:21]
	v_lshrrev_b32_e32 v42, 3, v40
	v_sub_u32_e32 v20, 29, v44
	v_and_b32_e32 v44, 7, v52
	v_cmp_gt_u32_e32 vcc, 8, v40
	v_cndmask_b32_e32 v20, v42, v20, vcc
	v_cndmask_b32_e32 v30, v30, v44, vcc
	v_lshlrev_b32_e32 v40, 16, v18
	v_lshlrev_b32_e32 v30, 20, v30
	v_and_b32_e32 v40, 0x80000000, v40
	v_lshl_add_u32 v20, v20, 23, v38
	v_or3_b32 v20, v40, v20, v30
	v_lshrrev_b32_e32 v30, 16, v20
.LBB942_51:                             ;   in Loop: Header=BB942_17 Depth=1
	s_or_b64 exec, exec, s[12:13]
.LBB942_52:                             ;   in Loop: Header=BB942_17 Depth=1
	s_or_b64 exec, exec, s[6:7]
.LBB942_53:                             ;   in Loop: Header=BB942_17 Depth=1
	s_or_b64 exec, exec, s[4:5]
	v_lshrrev_b32_e32 v20, 16, v18
	v_cmp_ne_u16_sdwa s[6:7], v20, v35 src0_sel:BYTE_0 src1_sel:DWORD
	v_mov_b32_e32 v42, 0
	v_mov_b32_e32 v40, 0
	s_and_saveexec_b64 s[4:5], s[6:7]
	s_cbranch_execz .LBB942_59
; %bb.54:                               ;   in Loop: Header=BB942_17 Depth=1
	v_cmp_ne_u16_sdwa s[12:13], v20, s11 src0_sel:BYTE_0 src1_sel:DWORD
	v_mov_b32_e32 v40, 0xffff8000
	s_and_saveexec_b64 s[6:7], s[12:13]
	s_cbranch_execz .LBB942_58
; %bb.55:                               ;   in Loop: Header=BB942_17 Depth=1
	v_bfe_u32 v44, v18, 16, 7
	v_cmp_ne_u32_e32 vcc, s14, v44
	v_mov_b32_e32 v40, 0x7f80
	s_and_saveexec_b64 s[12:13], vcc
	s_cbranch_execz .LBB942_57
; %bb.56:                               ;   in Loop: Header=BB942_17 Depth=1
	v_and_b32_e32 v40, 7, v20
	v_ffbh_u32_e32 v52, v40
	v_min_u32_e32 v55, 32, v52
	v_subrev_u32_e32 v52, 28, v55
	v_lshlrev_b64 v[52:53], v52, v[20:21]
	v_lshrrev_b32_e32 v54, 3, v44
	v_sub_u32_e32 v53, 29, v55
	v_and_b32_e32 v52, 7, v52
	v_cmp_gt_u32_e32 vcc, 8, v44
	v_cndmask_b32_e32 v44, v54, v53, vcc
	v_cndmask_b32_e32 v40, v40, v52, vcc
	v_lshlrev_b32_e32 v20, 24, v20
	v_lshlrev_b32_e32 v40, 20, v40
	v_and_b32_e32 v20, 0x80000000, v20
	v_lshl_add_u32 v44, v44, 23, v38
	v_or3_b32 v20, v20, v44, v40
	v_lshrrev_b32_e32 v40, 16, v20
.LBB942_57:                             ;   in Loop: Header=BB942_17 Depth=1
	s_or_b64 exec, exec, s[12:13]
.LBB942_58:                             ;   in Loop: Header=BB942_17 Depth=1
	s_or_b64 exec, exec, s[6:7]
.LBB942_59:                             ;   in Loop: Header=BB942_17 Depth=1
	s_or_b64 exec, exec, s[4:5]
	v_cmp_lt_u32_e32 vcc, s15, v18
	s_and_saveexec_b64 s[4:5], vcc
	s_cbranch_execz .LBB942_65
; %bb.60:                               ;   in Loop: Header=BB942_17 Depth=1
	v_lshrrev_b32_e32 v20, 24, v18
	v_cmp_ne_u32_e32 vcc, s11, v20
	v_mov_b32_e32 v42, 0xffff8000
	s_and_saveexec_b64 s[6:7], vcc
	s_cbranch_execz .LBB942_64
; %bb.61:                               ;   in Loop: Header=BB942_17 Depth=1
	v_bfe_u32 v18, v18, 24, 7
	v_cmp_ne_u32_e32 vcc, s14, v18
	v_mov_b32_e32 v42, 0x7f80
	s_and_saveexec_b64 s[12:13], vcc
	s_cbranch_execz .LBB942_63
; %bb.62:                               ;   in Loop: Header=BB942_17 Depth=1
	v_and_b32_e32 v42, 7, v20
	v_ffbh_u32_e32 v52, v42
	v_min_u32_e32 v54, 32, v52
	v_subrev_u32_e32 v52, 28, v54
	v_lshlrev_b64 v[52:53], v52, v[20:21]
	v_lshrrev_b32_e32 v44, 3, v18
	v_sub_u32_e32 v53, 29, v54
	v_and_b32_e32 v52, 7, v52
	v_cmp_gt_u32_e32 vcc, 8, v18
	v_cndmask_b32_e32 v18, v44, v53, vcc
	v_cndmask_b32_e32 v42, v42, v52, vcc
	v_lshlrev_b32_e32 v20, 24, v20
	v_lshlrev_b32_e32 v42, 20, v42
	v_and_b32_e32 v20, 0x80000000, v20
	v_lshl_add_u32 v18, v18, 23, v38
	v_or3_b32 v18, v20, v18, v42
	v_lshrrev_b32_e32 v42, 16, v18
.LBB942_63:                             ;   in Loop: Header=BB942_17 Depth=1
	s_or_b64 exec, exec, s[12:13]
.LBB942_64:                             ;   in Loop: Header=BB942_17 Depth=1
	s_or_b64 exec, exec, s[6:7]
.LBB942_65:                             ;   in Loop: Header=BB942_17 Depth=1
	s_or_b64 exec, exec, s[4:5]
	v_perm_b32 v53, v32, v23, s17
	v_perm_b32 v52, v19, v21, s17
	s_waitcnt vmcnt(1)
	v_cmp_ne_u16_sdwa s[6:7], v28, v35 src0_sel:BYTE_0 src1_sel:DWORD
	v_mov_b32_e32 v23, 0
	v_mov_b32_e32 v32, 0
	v_mfma_f32_16x16x16bf16_1k v[18:21], v[52:53], v[2:3], 0
	v_perm_b32 v53, v42, v40, s17
	v_perm_b32 v52, v30, v34, s17
	s_nop 1
	v_mfma_f32_16x16x16bf16_1k v[18:21], v[52:53], v[4:5], v[18:21]
	s_and_saveexec_b64 s[4:5], s[6:7]
	s_cbranch_execz .LBB942_71
; %bb.66:                               ;   in Loop: Header=BB942_17 Depth=1
	v_cmp_ne_u16_sdwa s[12:13], v28, s11 src0_sel:BYTE_0 src1_sel:DWORD
	v_mov_b32_e32 v32, 0xffff8000
	s_and_saveexec_b64 s[6:7], s[12:13]
	s_cbranch_execz .LBB942_70
; %bb.67:                               ;   in Loop: Header=BB942_17 Depth=1
	v_and_b32_e32 v30, 0x7f, v28
	v_cmp_ne_u32_e32 vcc, s14, v30
	v_mov_b32_e32 v32, 0x7f80
	s_and_saveexec_b64 s[12:13], vcc
	s_cbranch_execz .LBB942_69
; %bb.68:                               ;   in Loop: Header=BB942_17 Depth=1
	v_and_b32_e32 v32, 7, v28
	v_ffbh_u32_e32 v40, v32
	v_min_u32_e32 v40, 32, v40
	v_subrev_u32_e32 v42, 28, v40
	v_lshlrev_b64 v[52:53], v42, v[28:29]
	v_lshrrev_b32_e32 v34, 3, v30
	v_sub_u32_e32 v40, 29, v40
	v_and_b32_e32 v42, 7, v52
	v_cmp_gt_u32_e32 vcc, 8, v30
	v_cndmask_b32_e32 v30, v34, v40, vcc
	v_cndmask_b32_e32 v32, v32, v42, vcc
	v_lshlrev_b32_e32 v34, 24, v28
	v_lshlrev_b32_e32 v32, 20, v32
	v_and_b32_e32 v34, 0x80000000, v34
	v_lshl_add_u32 v30, v30, 23, v38
	v_or3_b32 v30, v34, v30, v32
	v_lshrrev_b32_e32 v32, 16, v30
.LBB942_69:                             ;   in Loop: Header=BB942_17 Depth=1
	s_or_b64 exec, exec, s[12:13]
.LBB942_70:                             ;   in Loop: Header=BB942_17 Depth=1
	s_or_b64 exec, exec, s[6:7]
.LBB942_71:                             ;   in Loop: Header=BB942_17 Depth=1
	s_or_b64 exec, exec, s[4:5]
	v_lshrrev_b16_e32 v30, 8, v28
	v_cmp_ne_u16_e32 vcc, 0, v30
	s_and_saveexec_b64 s[4:5], vcc
	s_cbranch_execz .LBB942_77
; %bb.72:                               ;   in Loop: Header=BB942_17 Depth=1
	v_cmp_ne_u16_e32 vcc, s11, v30
	v_mov_b32_e32 v23, 0xffff8000
	s_and_saveexec_b64 s[6:7], vcc
	s_cbranch_execz .LBB942_76
; %bb.73:                               ;   in Loop: Header=BB942_17 Depth=1
	v_and_b32_e32 v34, 0x7f, v30
	v_cmp_ne_u32_e32 vcc, s14, v34
	v_mov_b32_e32 v23, 0x7f80
	s_and_saveexec_b64 s[12:13], vcc
	s_cbranch_execz .LBB942_75
; %bb.74:                               ;   in Loop: Header=BB942_17 Depth=1
	v_and_b32_e32 v23, 7, v30
	v_ffbh_u32_e32 v42, v23
	v_min_u32_e32 v42, 32, v42
	v_subrev_u32_e32 v44, 28, v42
	v_lshlrev_b64 v[52:53], v44, v[30:31]
	v_lshrrev_b32_e32 v40, 3, v34
	v_sub_u32_e32 v30, 29, v42
	v_and_b32_e32 v42, 7, v52
	v_cmp_gt_u32_e32 vcc, 8, v34
	v_cndmask_b32_e32 v30, v40, v30, vcc
	v_cndmask_b32_e32 v23, v23, v42, vcc
	v_lshlrev_b32_e32 v34, 16, v28
	v_lshlrev_b32_e32 v23, 20, v23
	v_and_b32_e32 v34, 0x80000000, v34
	v_lshl_add_u32 v30, v30, 23, v38
	v_or3_b32 v23, v34, v30, v23
	v_lshrrev_b32_e32 v23, 16, v23
.LBB942_75:                             ;   in Loop: Header=BB942_17 Depth=1
	s_or_b64 exec, exec, s[12:13]
.LBB942_76:                             ;   in Loop: Header=BB942_17 Depth=1
	s_or_b64 exec, exec, s[6:7]
.LBB942_77:                             ;   in Loop: Header=BB942_17 Depth=1
	s_or_b64 exec, exec, s[4:5]
	v_lshrrev_b32_e32 v30, 16, v28
	v_cmp_ne_u16_sdwa s[6:7], v30, v35 src0_sel:BYTE_0 src1_sel:DWORD
	v_mov_b32_e32 v40, 0
	v_mov_b32_e32 v34, 0
	s_and_saveexec_b64 s[4:5], s[6:7]
	s_cbranch_execz .LBB942_83
; %bb.78:                               ;   in Loop: Header=BB942_17 Depth=1
	v_cmp_ne_u16_sdwa s[12:13], v30, s11 src0_sel:BYTE_0 src1_sel:DWORD
	v_mov_b32_e32 v34, 0xffff8000
	s_and_saveexec_b64 s[6:7], s[12:13]
	s_cbranch_execz .LBB942_82
; %bb.79:                               ;   in Loop: Header=BB942_17 Depth=1
	v_bfe_u32 v42, v28, 16, 7
	v_cmp_ne_u32_e32 vcc, s14, v42
	v_mov_b32_e32 v34, 0x7f80
	s_and_saveexec_b64 s[12:13], vcc
	s_cbranch_execz .LBB942_81
; %bb.80:                               ;   in Loop: Header=BB942_17 Depth=1
	v_and_b32_e32 v34, 7, v30
	v_ffbh_u32_e32 v52, v34
	v_min_u32_e32 v54, 32, v52
	v_subrev_u32_e32 v52, 28, v54
	v_lshlrev_b64 v[52:53], v52, v[30:31]
	v_lshrrev_b32_e32 v44, 3, v42
	v_sub_u32_e32 v53, 29, v54
	v_and_b32_e32 v52, 7, v52
	v_cmp_gt_u32_e32 vcc, 8, v42
	v_cndmask_b32_e32 v42, v44, v53, vcc
	v_cndmask_b32_e32 v34, v34, v52, vcc
	v_lshlrev_b32_e32 v30, 24, v30
	v_lshlrev_b32_e32 v34, 20, v34
	v_and_b32_e32 v30, 0x80000000, v30
	v_lshl_add_u32 v42, v42, 23, v38
	v_or3_b32 v30, v30, v42, v34
	v_lshrrev_b32_e32 v34, 16, v30
.LBB942_81:                             ;   in Loop: Header=BB942_17 Depth=1
	s_or_b64 exec, exec, s[12:13]
.LBB942_82:                             ;   in Loop: Header=BB942_17 Depth=1
	s_or_b64 exec, exec, s[6:7]
.LBB942_83:                             ;   in Loop: Header=BB942_17 Depth=1
	s_or_b64 exec, exec, s[4:5]
	v_cmp_lt_u32_e32 vcc, s15, v28
	s_and_saveexec_b64 s[4:5], vcc
	s_cbranch_execz .LBB942_89
; %bb.84:                               ;   in Loop: Header=BB942_17 Depth=1
	v_lshrrev_b32_e32 v30, 24, v28
	v_cmp_ne_u32_e32 vcc, s11, v30
	v_mov_b32_e32 v40, 0xffff8000
	s_and_saveexec_b64 s[6:7], vcc
	s_cbranch_execz .LBB942_88
; %bb.85:                               ;   in Loop: Header=BB942_17 Depth=1
	v_bfe_u32 v28, v28, 24, 7
	v_cmp_ne_u32_e32 vcc, s14, v28
	v_mov_b32_e32 v40, 0x7f80
	s_and_saveexec_b64 s[12:13], vcc
	s_cbranch_execz .LBB942_87
; %bb.86:                               ;   in Loop: Header=BB942_17 Depth=1
	v_and_b32_e32 v40, 7, v30
	v_ffbh_u32_e32 v44, v40
	v_min_u32_e32 v44, 32, v44
	v_subrev_u32_e32 v52, 28, v44
	v_lshlrev_b64 v[52:53], v52, v[30:31]
	v_lshrrev_b32_e32 v42, 3, v28
	v_sub_u32_e32 v44, 29, v44
	v_and_b32_e32 v52, 7, v52
	v_cmp_gt_u32_e32 vcc, 8, v28
	v_cndmask_b32_e32 v28, v42, v44, vcc
	v_cndmask_b32_e32 v40, v40, v52, vcc
	v_lshlrev_b32_e32 v30, 24, v30
	v_lshlrev_b32_e32 v40, 20, v40
	v_and_b32_e32 v30, 0x80000000, v30
	v_lshl_add_u32 v28, v28, 23, v38
	v_or3_b32 v28, v30, v28, v40
	v_lshrrev_b32_e32 v40, 16, v28
.LBB942_87:                             ;   in Loop: Header=BB942_17 Depth=1
	s_or_b64 exec, exec, s[12:13]
.LBB942_88:                             ;   in Loop: Header=BB942_17 Depth=1
	s_or_b64 exec, exec, s[6:7]
.LBB942_89:                             ;   in Loop: Header=BB942_17 Depth=1
	s_or_b64 exec, exec, s[4:5]
	s_waitcnt vmcnt(0)
	v_cmp_ne_u16_sdwa s[6:7], v26, v35 src0_sel:BYTE_0 src1_sel:DWORD
	v_mov_b32_e32 v42, 0
	v_mov_b32_e32 v44, 0
	s_and_saveexec_b64 s[4:5], s[6:7]
	s_cbranch_execz .LBB942_95
; %bb.90:                               ;   in Loop: Header=BB942_17 Depth=1
	v_cmp_ne_u16_sdwa s[12:13], v26, s11 src0_sel:BYTE_0 src1_sel:DWORD
	v_mov_b32_e32 v44, 0xffff8000
	s_and_saveexec_b64 s[6:7], s[12:13]
	s_cbranch_execz .LBB942_94
; %bb.91:                               ;   in Loop: Header=BB942_17 Depth=1
	v_and_b32_e32 v28, 0x7f, v26
	v_cmp_ne_u32_e32 vcc, s14, v28
	v_mov_b32_e32 v44, 0x7f80
	s_and_saveexec_b64 s[12:13], vcc
	s_cbranch_execz .LBB942_93
; %bb.92:                               ;   in Loop: Header=BB942_17 Depth=1
	v_and_b32_e32 v30, 7, v26
	v_ffbh_u32_e32 v52, v30
	v_min_u32_e32 v54, 32, v52
	v_subrev_u32_e32 v52, 28, v54
	v_lshlrev_b64 v[52:53], v52, v[26:27]
	v_lshrrev_b32_e32 v44, 3, v28
	v_sub_u32_e32 v53, 29, v54
	v_and_b32_e32 v52, 7, v52
	v_cmp_gt_u32_e32 vcc, 8, v28
	v_cndmask_b32_e32 v28, v44, v53, vcc
	v_cndmask_b32_e32 v30, v30, v52, vcc
	v_lshlrev_b32_e32 v44, 24, v26
	v_lshlrev_b32_e32 v30, 20, v30
	v_and_b32_e32 v44, 0x80000000, v44
	v_lshl_add_u32 v28, v28, 23, v38
	v_or3_b32 v28, v44, v28, v30
	v_lshrrev_b32_e32 v44, 16, v28
.LBB942_93:                             ;   in Loop: Header=BB942_17 Depth=1
	s_or_b64 exec, exec, s[12:13]
.LBB942_94:                             ;   in Loop: Header=BB942_17 Depth=1
	s_or_b64 exec, exec, s[6:7]
.LBB942_95:                             ;   in Loop: Header=BB942_17 Depth=1
	s_or_b64 exec, exec, s[4:5]
	v_lshrrev_b16_e32 v28, 8, v26
	v_cmp_ne_u16_e32 vcc, 0, v28
	s_and_saveexec_b64 s[4:5], vcc
	s_cbranch_execz .LBB942_101
; %bb.96:                               ;   in Loop: Header=BB942_17 Depth=1
	v_cmp_ne_u16_e32 vcc, s11, v28
	v_mov_b32_e32 v42, 0xffff8000
	s_and_saveexec_b64 s[6:7], vcc
	s_cbranch_execz .LBB942_100
; %bb.97:                               ;   in Loop: Header=BB942_17 Depth=1
	v_and_b32_e32 v30, 0x7f, v28
	v_cmp_ne_u32_e32 vcc, s14, v30
	v_mov_b32_e32 v42, 0x7f80
	s_and_saveexec_b64 s[12:13], vcc
	s_cbranch_execz .LBB942_99
; %bb.98:                               ;   in Loop: Header=BB942_17 Depth=1
	v_and_b32_e32 v42, 7, v28
	v_ffbh_u32_e32 v52, v42
	v_min_u32_e32 v55, 32, v52
	v_subrev_u32_e32 v52, 28, v55
	v_lshlrev_b64 v[52:53], v52, v[28:29]
	v_lshrrev_b32_e32 v54, 3, v30
	v_sub_u32_e32 v28, 29, v55
	v_and_b32_e32 v52, 7, v52
	v_cmp_gt_u32_e32 vcc, 8, v30
	v_cndmask_b32_e32 v28, v54, v28, vcc
	v_cndmask_b32_e32 v30, v42, v52, vcc
	v_lshlrev_b32_e32 v42, 16, v26
	v_lshlrev_b32_e32 v30, 20, v30
	v_and_b32_e32 v42, 0x80000000, v42
	v_lshl_add_u32 v28, v28, 23, v38
	v_or3_b32 v28, v42, v28, v30
	v_lshrrev_b32_e32 v42, 16, v28
.LBB942_99:                             ;   in Loop: Header=BB942_17 Depth=1
	s_or_b64 exec, exec, s[12:13]
.LBB942_100:                            ;   in Loop: Header=BB942_17 Depth=1
	s_or_b64 exec, exec, s[6:7]
.LBB942_101:                            ;   in Loop: Header=BB942_17 Depth=1
	s_or_b64 exec, exec, s[4:5]
	v_lshrrev_b32_e32 v28, 16, v26
	v_cmp_ne_u16_sdwa s[6:7], v28, v35 src0_sel:BYTE_0 src1_sel:DWORD
	v_mov_b32_e32 v53, 0
	v_mov_b32_e32 v52, 0
	s_and_saveexec_b64 s[4:5], s[6:7]
	s_cbranch_execz .LBB942_107
; %bb.102:                              ;   in Loop: Header=BB942_17 Depth=1
	v_cmp_ne_u16_sdwa s[12:13], v28, s11 src0_sel:BYTE_0 src1_sel:DWORD
	v_mov_b32_e32 v52, 0xffff8000
	s_and_saveexec_b64 s[6:7], s[12:13]
	s_cbranch_execz .LBB942_106
; %bb.103:                              ;   in Loop: Header=BB942_17 Depth=1
	v_bfe_u32 v30, v26, 16, 7
	v_cmp_ne_u32_e32 vcc, s14, v30
	v_mov_b32_e32 v52, 0x7f80
	s_and_saveexec_b64 s[12:13], vcc
	s_cbranch_execz .LBB942_105
; %bb.104:                              ;   in Loop: Header=BB942_17 Depth=1
	v_and_b32_e32 v52, 7, v28
	v_ffbh_u32_e32 v54, v52
	v_min_u32_e32 v57, 32, v54
	v_subrev_u32_e32 v54, 28, v57
	v_lshlrev_b64 v[54:55], v54, v[28:29]
	v_lshrrev_b32_e32 v56, 3, v30
	v_sub_u32_e32 v55, 29, v57
	v_and_b32_e32 v54, 7, v54
	v_cmp_gt_u32_e32 vcc, 8, v30
	v_cndmask_b32_e32 v30, v56, v55, vcc
	v_cndmask_b32_e32 v52, v52, v54, vcc
	v_lshlrev_b32_e32 v28, 24, v28
	v_lshlrev_b32_e32 v52, 20, v52
	v_and_b32_e32 v28, 0x80000000, v28
	v_lshl_add_u32 v30, v30, 23, v38
	v_or3_b32 v28, v28, v30, v52
	v_lshrrev_b32_e32 v52, 16, v28
.LBB942_105:                            ;   in Loop: Header=BB942_17 Depth=1
	s_or_b64 exec, exec, s[12:13]
.LBB942_106:                            ;   in Loop: Header=BB942_17 Depth=1
	s_or_b64 exec, exec, s[6:7]
.LBB942_107:                            ;   in Loop: Header=BB942_17 Depth=1
	s_or_b64 exec, exec, s[4:5]
	v_cmp_lt_u32_e32 vcc, s15, v26
	s_and_saveexec_b64 s[4:5], vcc
	s_cbranch_execz .LBB942_113
; %bb.108:                              ;   in Loop: Header=BB942_17 Depth=1
	v_lshrrev_b32_e32 v28, 24, v26
	v_cmp_ne_u32_e32 vcc, s11, v28
	v_mov_b32_e32 v53, 0xffff8000
	s_and_saveexec_b64 s[6:7], vcc
	s_cbranch_execz .LBB942_112
; %bb.109:                              ;   in Loop: Header=BB942_17 Depth=1
	v_bfe_u32 v26, v26, 24, 7
	v_cmp_ne_u32_e32 vcc, s14, v26
	v_mov_b32_e32 v53, 0x7f80
	s_and_saveexec_b64 s[12:13], vcc
	s_cbranch_execz .LBB942_111
; %bb.110:                              ;   in Loop: Header=BB942_17 Depth=1
	v_and_b32_e32 v30, 7, v28
	v_ffbh_u32_e32 v54, v30
	v_min_u32_e32 v56, 32, v54
	v_subrev_u32_e32 v54, 28, v56
	v_lshlrev_b64 v[54:55], v54, v[28:29]
	v_lshrrev_b32_e32 v53, 3, v26
	v_sub_u32_e32 v55, 29, v56
	v_and_b32_e32 v54, 7, v54
	v_cmp_gt_u32_e32 vcc, 8, v26
	v_cndmask_b32_e32 v26, v53, v55, vcc
	v_cndmask_b32_e32 v30, v30, v54, vcc
	v_lshlrev_b32_e32 v28, 24, v28
	v_lshlrev_b32_e32 v30, 20, v30
	v_and_b32_e32 v28, 0x80000000, v28
	v_lshl_add_u32 v26, v26, 23, v38
	v_or3_b32 v26, v28, v26, v30
	v_lshrrev_b32_e32 v53, 16, v26
.LBB942_111:                            ;   in Loop: Header=BB942_17 Depth=1
	s_or_b64 exec, exec, s[12:13]
.LBB942_112:                            ;   in Loop: Header=BB942_17 Depth=1
	s_or_b64 exec, exec, s[6:7]
.LBB942_113:                            ;   in Loop: Header=BB942_17 Depth=1
	s_or_b64 exec, exec, s[4:5]
	v_perm_b32 v54, v23, v32, s17
	buffer_load_dword v32, v36, s[0:3], 0 offen offset:16
	buffer_load_dword v30, v36, s[0:3], 0 offen offset:20
	;; [unrolled: 1-line block ×4, first 2 shown]
	v_perm_b32 v55, v40, v34, s17
	v_perm_b32 v53, v53, v52, s17
	v_perm_b32 v52, v42, v44, s17
	v_mfma_f32_16x16x16bf16_1k v[18:21], v[54:55], v[6:7], v[18:21]
	v_mov_b32_e32 v23, 0
	v_mov_b32_e32 v40, 0
	s_waitcnt vmcnt(3)
	v_cmp_ne_u16_sdwa s[6:7], v32, v35 src0_sel:BYTE_0 src1_sel:DWORD
	v_mfma_f32_16x16x16bf16_1k v[18:21], v[52:53], v[8:9], v[18:21]
	s_and_saveexec_b64 s[4:5], s[6:7]
	s_cbranch_execz .LBB942_119
; %bb.114:                              ;   in Loop: Header=BB942_17 Depth=1
	v_cmp_ne_u16_sdwa s[12:13], v32, s11 src0_sel:BYTE_0 src1_sel:DWORD
	v_mov_b32_e32 v40, 0xffff8000
	s_and_saveexec_b64 s[6:7], s[12:13]
	s_cbranch_execz .LBB942_118
; %bb.115:                              ;   in Loop: Header=BB942_17 Depth=1
	v_and_b32_e32 v34, 0x7f, v32
	v_cmp_ne_u32_e32 vcc, s14, v34
	v_mov_b32_e32 v40, 0x7f80
	s_and_saveexec_b64 s[12:13], vcc
	s_cbranch_execz .LBB942_117
; %bb.116:                              ;   in Loop: Header=BB942_17 Depth=1
	v_and_b32_e32 v40, 7, v32
	v_ffbh_u32_e32 v44, v40
	v_min_u32_e32 v44, 32, v44
	v_subrev_u32_e32 v52, 28, v44
	v_lshlrev_b64 v[52:53], v52, v[32:33]
	v_lshrrev_b32_e32 v42, 3, v34
	v_sub_u32_e32 v44, 29, v44
	v_and_b32_e32 v52, 7, v52
	v_cmp_gt_u32_e32 vcc, 8, v34
	v_cndmask_b32_e32 v34, v42, v44, vcc
	v_cndmask_b32_e32 v40, v40, v52, vcc
	v_lshlrev_b32_e32 v42, 24, v32
	v_lshlrev_b32_e32 v40, 20, v40
	v_and_b32_e32 v42, 0x80000000, v42
	v_lshl_add_u32 v34, v34, 23, v38
	v_or3_b32 v34, v42, v34, v40
	v_lshrrev_b32_e32 v40, 16, v34
.LBB942_117:                            ;   in Loop: Header=BB942_17 Depth=1
	s_or_b64 exec, exec, s[12:13]
.LBB942_118:                            ;   in Loop: Header=BB942_17 Depth=1
	s_or_b64 exec, exec, s[6:7]
.LBB942_119:                            ;   in Loop: Header=BB942_17 Depth=1
	s_or_b64 exec, exec, s[4:5]
	v_lshrrev_b16_e32 v34, 8, v32
	v_cmp_ne_u16_e32 vcc, 0, v34
	s_and_saveexec_b64 s[4:5], vcc
	s_cbranch_execz .LBB942_125
; %bb.120:                              ;   in Loop: Header=BB942_17 Depth=1
	v_cmp_ne_u16_e32 vcc, s11, v34
	v_mov_b32_e32 v23, 0xffff8000
	s_and_saveexec_b64 s[6:7], vcc
	s_cbranch_execz .LBB942_124
; %bb.121:                              ;   in Loop: Header=BB942_17 Depth=1
	v_and_b32_e32 v42, 0x7f, v34
	v_cmp_ne_u32_e32 vcc, s14, v42
	v_mov_b32_e32 v23, 0x7f80
	s_and_saveexec_b64 s[12:13], vcc
	s_cbranch_execz .LBB942_123
; %bb.122:                              ;   in Loop: Header=BB942_17 Depth=1
	v_and_b32_e32 v23, 7, v34
	v_ffbh_u32_e32 v52, v23
	v_min_u32_e32 v54, 32, v52
	v_subrev_u32_e32 v52, 28, v54
	v_lshlrev_b64 v[52:53], v52, v[34:35]
	v_lshrrev_b32_e32 v44, 3, v42
	v_sub_u32_e32 v34, 29, v54
	v_and_b32_e32 v52, 7, v52
	v_cmp_gt_u32_e32 vcc, 8, v42
	v_cndmask_b32_e32 v34, v44, v34, vcc
	v_cndmask_b32_e32 v23, v23, v52, vcc
	v_lshlrev_b32_e32 v42, 16, v32
	v_lshlrev_b32_e32 v23, 20, v23
	v_and_b32_e32 v42, 0x80000000, v42
	v_lshl_add_u32 v34, v34, 23, v38
	v_or3_b32 v23, v42, v34, v23
	v_lshrrev_b32_e32 v23, 16, v23
.LBB942_123:                            ;   in Loop: Header=BB942_17 Depth=1
	s_or_b64 exec, exec, s[12:13]
.LBB942_124:                            ;   in Loop: Header=BB942_17 Depth=1
	s_or_b64 exec, exec, s[6:7]
.LBB942_125:                            ;   in Loop: Header=BB942_17 Depth=1
	s_or_b64 exec, exec, s[4:5]
	v_lshrrev_b32_e32 v34, 16, v32
	v_cmp_ne_u16_sdwa s[6:7], v34, v35 src0_sel:BYTE_0 src1_sel:DWORD
	v_mov_b32_e32 v44, 0
	v_mov_b32_e32 v42, 0
	s_and_saveexec_b64 s[4:5], s[6:7]
	s_cbranch_execz .LBB942_131
; %bb.126:                              ;   in Loop: Header=BB942_17 Depth=1
	v_cmp_ne_u16_sdwa s[12:13], v34, s11 src0_sel:BYTE_0 src1_sel:DWORD
	v_mov_b32_e32 v42, 0xffff8000
	s_and_saveexec_b64 s[6:7], s[12:13]
	s_cbranch_execz .LBB942_130
; %bb.127:                              ;   in Loop: Header=BB942_17 Depth=1
	v_bfe_u32 v52, v32, 16, 7
	v_cmp_ne_u32_e32 vcc, s14, v52
	v_mov_b32_e32 v42, 0x7f80
	s_and_saveexec_b64 s[12:13], vcc
	s_cbranch_execz .LBB942_129
; %bb.128:                              ;   in Loop: Header=BB942_17 Depth=1
	v_and_b32_e32 v42, 7, v34
	v_ffbh_u32_e32 v54, v42
	v_min_u32_e32 v56, 32, v54
	v_subrev_u32_e32 v54, 28, v56
	v_lshlrev_b64 v[54:55], v54, v[34:35]
	v_lshrrev_b32_e32 v53, 3, v52
	v_sub_u32_e32 v55, 29, v56
	v_and_b32_e32 v54, 7, v54
	v_cmp_gt_u32_e32 vcc, 8, v52
	v_cndmask_b32_e32 v52, v53, v55, vcc
	v_cndmask_b32_e32 v42, v42, v54, vcc
	v_lshlrev_b32_e32 v34, 24, v34
	v_lshlrev_b32_e32 v42, 20, v42
	v_and_b32_e32 v34, 0x80000000, v34
	v_lshl_add_u32 v52, v52, 23, v38
	v_or3_b32 v34, v34, v52, v42
	v_lshrrev_b32_e32 v42, 16, v34
.LBB942_129:                            ;   in Loop: Header=BB942_17 Depth=1
	s_or_b64 exec, exec, s[12:13]
.LBB942_130:                            ;   in Loop: Header=BB942_17 Depth=1
	s_or_b64 exec, exec, s[6:7]
.LBB942_131:                            ;   in Loop: Header=BB942_17 Depth=1
	s_or_b64 exec, exec, s[4:5]
	v_cmp_lt_u32_e32 vcc, s15, v32
	s_and_saveexec_b64 s[4:5], vcc
	s_cbranch_execz .LBB942_137
; %bb.132:                              ;   in Loop: Header=BB942_17 Depth=1
	v_lshrrev_b32_e32 v34, 24, v32
	v_cmp_ne_u32_e32 vcc, s11, v34
	v_mov_b32_e32 v44, 0xffff8000
	s_and_saveexec_b64 s[6:7], vcc
	s_cbranch_execz .LBB942_136
; %bb.133:                              ;   in Loop: Header=BB942_17 Depth=1
	v_bfe_u32 v32, v32, 24, 7
	v_cmp_ne_u32_e32 vcc, s14, v32
	v_mov_b32_e32 v44, 0x7f80
	s_and_saveexec_b64 s[12:13], vcc
	s_cbranch_execz .LBB942_135
; %bb.134:                              ;   in Loop: Header=BB942_17 Depth=1
	v_and_b32_e32 v44, 7, v34
	v_ffbh_u32_e32 v52, v44
	v_min_u32_e32 v55, 32, v52
	v_subrev_u32_e32 v52, 28, v55
	v_lshlrev_b64 v[52:53], v52, v[34:35]
	v_lshrrev_b32_e32 v54, 3, v32
	v_sub_u32_e32 v53, 29, v55
	v_and_b32_e32 v52, 7, v52
	v_cmp_gt_u32_e32 vcc, 8, v32
	v_cndmask_b32_e32 v32, v54, v53, vcc
	v_cndmask_b32_e32 v44, v44, v52, vcc
	v_lshlrev_b32_e32 v34, 24, v34
	v_lshlrev_b32_e32 v44, 20, v44
	v_and_b32_e32 v34, 0x80000000, v34
	v_lshl_add_u32 v32, v32, 23, v38
	v_or3_b32 v32, v34, v32, v44
	v_lshrrev_b32_e32 v44, 16, v32
.LBB942_135:                            ;   in Loop: Header=BB942_17 Depth=1
	s_or_b64 exec, exec, s[12:13]
.LBB942_136:                            ;   in Loop: Header=BB942_17 Depth=1
	s_or_b64 exec, exec, s[6:7]
.LBB942_137:                            ;   in Loop: Header=BB942_17 Depth=1
	s_or_b64 exec, exec, s[4:5]
	s_waitcnt vmcnt(2)
	v_cmp_ne_u16_sdwa s[6:7], v30, v35 src0_sel:BYTE_0 src1_sel:DWORD
	v_mov_b32_e32 v34, 0
	v_mov_b32_e32 v52, 0
	s_and_saveexec_b64 s[4:5], s[6:7]
	s_cbranch_execz .LBB942_143
; %bb.138:                              ;   in Loop: Header=BB942_17 Depth=1
	v_cmp_ne_u16_sdwa s[12:13], v30, s11 src0_sel:BYTE_0 src1_sel:DWORD
	v_mov_b32_e32 v52, 0xffff8000
	s_and_saveexec_b64 s[6:7], s[12:13]
	s_cbranch_execz .LBB942_142
; %bb.139:                              ;   in Loop: Header=BB942_17 Depth=1
	v_and_b32_e32 v32, 0x7f, v30
	v_cmp_ne_u32_e32 vcc, s14, v32
	v_mov_b32_e32 v52, 0x7f80
	s_and_saveexec_b64 s[12:13], vcc
	s_cbranch_execz .LBB942_141
; %bb.140:                              ;   in Loop: Header=BB942_17 Depth=1
	v_and_b32_e32 v54, 7, v30
	v_ffbh_u32_e32 v52, v54
	v_min_u32_e32 v56, 32, v52
	v_subrev_u32_e32 v52, 28, v56
	v_lshlrev_b64 v[52:53], v52, v[30:31]
	v_lshrrev_b32_e32 v55, 3, v32
	v_sub_u32_e32 v53, 29, v56
	v_and_b32_e32 v52, 7, v52
	v_cmp_gt_u32_e32 vcc, 8, v32
	v_cndmask_b32_e32 v32, v55, v53, vcc
	v_cndmask_b32_e32 v52, v54, v52, vcc
	v_lshlrev_b32_e32 v53, 24, v30
	v_lshlrev_b32_e32 v52, 20, v52
	v_and_b32_e32 v53, 0x80000000, v53
	v_lshl_add_u32 v32, v32, 23, v38
	v_or3_b32 v32, v53, v32, v52
	v_lshrrev_b32_e32 v52, 16, v32
.LBB942_141:                            ;   in Loop: Header=BB942_17 Depth=1
	s_or_b64 exec, exec, s[12:13]
.LBB942_142:                            ;   in Loop: Header=BB942_17 Depth=1
	s_or_b64 exec, exec, s[6:7]
.LBB942_143:                            ;   in Loop: Header=BB942_17 Depth=1
	s_or_b64 exec, exec, s[4:5]
	v_lshrrev_b16_e32 v32, 8, v30
	v_cmp_ne_u16_e32 vcc, 0, v32
	s_and_saveexec_b64 s[4:5], vcc
	s_cbranch_execz .LBB942_149
; %bb.144:                              ;   in Loop: Header=BB942_17 Depth=1
	v_cmp_ne_u16_e32 vcc, s11, v32
	v_mov_b32_e32 v34, 0xffff8000
	s_and_saveexec_b64 s[6:7], vcc
	s_cbranch_execz .LBB942_148
; %bb.145:                              ;   in Loop: Header=BB942_17 Depth=1
	v_and_b32_e32 v53, 0x7f, v32
	v_cmp_ne_u32_e32 vcc, s14, v53
	v_mov_b32_e32 v34, 0x7f80
	s_and_saveexec_b64 s[12:13], vcc
	s_cbranch_execz .LBB942_147
; %bb.146:                              ;   in Loop: Header=BB942_17 Depth=1
	v_and_b32_e32 v34, 7, v32
	v_ffbh_u32_e32 v54, v34
	v_min_u32_e32 v57, 32, v54
	v_subrev_u32_e32 v54, 28, v57
	v_lshlrev_b64 v[54:55], v54, v[32:33]
	v_lshrrev_b32_e32 v56, 3, v53
	v_sub_u32_e32 v32, 29, v57
	v_and_b32_e32 v54, 7, v54
	v_cmp_gt_u32_e32 vcc, 8, v53
	v_cndmask_b32_e32 v32, v56, v32, vcc
	v_cndmask_b32_e32 v34, v34, v54, vcc
	v_lshlrev_b32_e32 v53, 16, v30
	v_lshlrev_b32_e32 v34, 20, v34
	v_and_b32_e32 v53, 0x80000000, v53
	v_lshl_add_u32 v32, v32, 23, v38
	v_or3_b32 v32, v53, v32, v34
	v_lshrrev_b32_e32 v34, 16, v32
.LBB942_147:                            ;   in Loop: Header=BB942_17 Depth=1
	s_or_b64 exec, exec, s[12:13]
.LBB942_148:                            ;   in Loop: Header=BB942_17 Depth=1
	s_or_b64 exec, exec, s[6:7]
.LBB942_149:                            ;   in Loop: Header=BB942_17 Depth=1
	s_or_b64 exec, exec, s[4:5]
	v_lshrrev_b32_e32 v32, 16, v30
	v_cmp_ne_u16_sdwa s[6:7], v32, v35 src0_sel:BYTE_0 src1_sel:DWORD
	v_mov_b32_e32 v54, 0
	v_mov_b32_e32 v53, 0
	s_and_saveexec_b64 s[4:5], s[6:7]
	s_cbranch_execz .LBB942_155
; %bb.150:                              ;   in Loop: Header=BB942_17 Depth=1
	v_cmp_ne_u16_sdwa s[12:13], v32, s11 src0_sel:BYTE_0 src1_sel:DWORD
	v_mov_b32_e32 v53, 0xffff8000
	s_and_saveexec_b64 s[6:7], s[12:13]
	s_cbranch_execz .LBB942_154
; %bb.151:                              ;   in Loop: Header=BB942_17 Depth=1
	v_bfe_u32 v55, v30, 16, 7
	v_cmp_ne_u32_e32 vcc, s14, v55
	v_mov_b32_e32 v53, 0x7f80
	s_and_saveexec_b64 s[12:13], vcc
	s_cbranch_execz .LBB942_153
; %bb.152:                              ;   in Loop: Header=BB942_17 Depth=1
	v_and_b32_e32 v53, 7, v32
	v_ffbh_u32_e32 v56, v53
	v_min_u32_e32 v59, 32, v56
	v_subrev_u32_e32 v56, 28, v59
	v_lshlrev_b64 v[56:57], v56, v[32:33]
	v_lshrrev_b32_e32 v58, 3, v55
	v_sub_u32_e32 v57, 29, v59
	v_and_b32_e32 v56, 7, v56
	v_cmp_gt_u32_e32 vcc, 8, v55
	v_cndmask_b32_e32 v55, v58, v57, vcc
	v_cndmask_b32_e32 v53, v53, v56, vcc
	v_lshlrev_b32_e32 v32, 24, v32
	v_lshlrev_b32_e32 v53, 20, v53
	v_and_b32_e32 v32, 0x80000000, v32
	v_lshl_add_u32 v55, v55, 23, v38
	v_or3_b32 v32, v32, v55, v53
	v_lshrrev_b32_e32 v53, 16, v32
.LBB942_153:                            ;   in Loop: Header=BB942_17 Depth=1
	s_or_b64 exec, exec, s[12:13]
.LBB942_154:                            ;   in Loop: Header=BB942_17 Depth=1
	s_or_b64 exec, exec, s[6:7]
.LBB942_155:                            ;   in Loop: Header=BB942_17 Depth=1
	s_or_b64 exec, exec, s[4:5]
	v_cmp_lt_u32_e32 vcc, s15, v30
	s_and_saveexec_b64 s[4:5], vcc
	s_cbranch_execz .LBB942_161
; %bb.156:                              ;   in Loop: Header=BB942_17 Depth=1
	v_lshrrev_b32_e32 v32, 24, v30
	v_cmp_ne_u32_e32 vcc, s11, v32
	v_mov_b32_e32 v54, 0xffff8000
	s_and_saveexec_b64 s[6:7], vcc
	s_cbranch_execz .LBB942_160
; %bb.157:                              ;   in Loop: Header=BB942_17 Depth=1
	v_bfe_u32 v30, v30, 24, 7
	v_cmp_ne_u32_e32 vcc, s14, v30
	v_mov_b32_e32 v54, 0x7f80
	s_and_saveexec_b64 s[12:13], vcc
	s_cbranch_execz .LBB942_159
; %bb.158:                              ;   in Loop: Header=BB942_17 Depth=1
	v_and_b32_e32 v56, 7, v32
	v_ffbh_u32_e32 v54, v56
	v_min_u32_e32 v58, 32, v54
	v_subrev_u32_e32 v54, 28, v58
	v_lshlrev_b64 v[54:55], v54, v[32:33]
	v_lshrrev_b32_e32 v57, 3, v30
	v_sub_u32_e32 v55, 29, v58
	v_and_b32_e32 v54, 7, v54
	v_cmp_gt_u32_e32 vcc, 8, v30
	v_cndmask_b32_e32 v30, v57, v55, vcc
	v_cndmask_b32_e32 v54, v56, v54, vcc
	v_lshlrev_b32_e32 v32, 24, v32
	v_lshlrev_b32_e32 v54, 20, v54
	v_and_b32_e32 v32, 0x80000000, v32
	v_lshl_add_u32 v30, v30, 23, v38
	v_or3_b32 v30, v32, v30, v54
	v_lshrrev_b32_e32 v54, 16, v30
.LBB942_159:                            ;   in Loop: Header=BB942_17 Depth=1
	s_or_b64 exec, exec, s[12:13]
.LBB942_160:                            ;   in Loop: Header=BB942_17 Depth=1
	s_or_b64 exec, exec, s[6:7]
.LBB942_161:                            ;   in Loop: Header=BB942_17 Depth=1
	s_or_b64 exec, exec, s[4:5]
	v_perm_b32 v57, v44, v42, s17
	v_perm_b32 v56, v23, v40, s17
	;; [unrolled: 1-line block ×4, first 2 shown]
	s_waitcnt vmcnt(1)
	v_cmp_ne_u16_sdwa s[6:7], v28, v35 src0_sel:BYTE_0 src1_sel:DWORD
	v_mfma_f32_16x16x16bf16_1k v[18:21], v[56:57], v[10:11], v[18:21]
	v_mov_b32_e32 v23, 0
	v_mov_b32_e32 v32, 0
	v_mfma_f32_16x16x16bf16_1k v[18:21], v[52:53], v[12:13], v[18:21]
	s_and_saveexec_b64 s[4:5], s[6:7]
	s_cbranch_execz .LBB942_167
; %bb.162:                              ;   in Loop: Header=BB942_17 Depth=1
	v_cmp_ne_u16_sdwa s[12:13], v28, s11 src0_sel:BYTE_0 src1_sel:DWORD
	v_mov_b32_e32 v32, 0xffff8000
	s_and_saveexec_b64 s[6:7], s[12:13]
	s_cbranch_execz .LBB942_166
; %bb.163:                              ;   in Loop: Header=BB942_17 Depth=1
	v_and_b32_e32 v30, 0x7f, v28
	v_cmp_ne_u32_e32 vcc, s14, v30
	v_mov_b32_e32 v32, 0x7f80
	s_and_saveexec_b64 s[12:13], vcc
	s_cbranch_execz .LBB942_165
; %bb.164:                              ;   in Loop: Header=BB942_17 Depth=1
	v_and_b32_e32 v32, 7, v28
	v_ffbh_u32_e32 v40, v32
	v_min_u32_e32 v40, 32, v40
	v_subrev_u32_e32 v42, 28, v40
	v_lshlrev_b64 v[52:53], v42, v[28:29]
	v_lshrrev_b32_e32 v34, 3, v30
	v_sub_u32_e32 v40, 29, v40
	v_and_b32_e32 v42, 7, v52
	v_cmp_gt_u32_e32 vcc, 8, v30
	v_cndmask_b32_e32 v30, v34, v40, vcc
	v_cndmask_b32_e32 v32, v32, v42, vcc
	v_lshlrev_b32_e32 v34, 24, v28
	v_lshlrev_b32_e32 v32, 20, v32
	v_and_b32_e32 v34, 0x80000000, v34
	v_lshl_add_u32 v30, v30, 23, v38
	v_or3_b32 v30, v34, v30, v32
	v_lshrrev_b32_e32 v32, 16, v30
.LBB942_165:                            ;   in Loop: Header=BB942_17 Depth=1
	s_or_b64 exec, exec, s[12:13]
.LBB942_166:                            ;   in Loop: Header=BB942_17 Depth=1
	s_or_b64 exec, exec, s[6:7]
.LBB942_167:                            ;   in Loop: Header=BB942_17 Depth=1
	s_or_b64 exec, exec, s[4:5]
	v_lshrrev_b16_e32 v30, 8, v28
	v_cmp_ne_u16_e32 vcc, 0, v30
	s_and_saveexec_b64 s[4:5], vcc
	s_cbranch_execz .LBB942_173
; %bb.168:                              ;   in Loop: Header=BB942_17 Depth=1
	v_cmp_ne_u16_e32 vcc, s11, v30
	v_mov_b32_e32 v23, 0xffff8000
	s_and_saveexec_b64 s[6:7], vcc
	s_cbranch_execz .LBB942_172
; %bb.169:                              ;   in Loop: Header=BB942_17 Depth=1
	v_and_b32_e32 v34, 0x7f, v30
	v_cmp_ne_u32_e32 vcc, s14, v34
	v_mov_b32_e32 v23, 0x7f80
	s_and_saveexec_b64 s[12:13], vcc
	s_cbranch_execz .LBB942_171
; %bb.170:                              ;   in Loop: Header=BB942_17 Depth=1
	v_and_b32_e32 v23, 7, v30
	v_ffbh_u32_e32 v42, v23
	v_min_u32_e32 v42, 32, v42
	v_subrev_u32_e32 v44, 28, v42
	v_lshlrev_b64 v[52:53], v44, v[30:31]
	v_lshrrev_b32_e32 v40, 3, v34
	v_sub_u32_e32 v30, 29, v42
	v_and_b32_e32 v42, 7, v52
	v_cmp_gt_u32_e32 vcc, 8, v34
	v_cndmask_b32_e32 v30, v40, v30, vcc
	v_cndmask_b32_e32 v23, v23, v42, vcc
	v_lshlrev_b32_e32 v34, 16, v28
	v_lshlrev_b32_e32 v23, 20, v23
	v_and_b32_e32 v34, 0x80000000, v34
	v_lshl_add_u32 v30, v30, 23, v38
	v_or3_b32 v23, v34, v30, v23
	v_lshrrev_b32_e32 v23, 16, v23
.LBB942_171:                            ;   in Loop: Header=BB942_17 Depth=1
	s_or_b64 exec, exec, s[12:13]
.LBB942_172:                            ;   in Loop: Header=BB942_17 Depth=1
	s_or_b64 exec, exec, s[6:7]
.LBB942_173:                            ;   in Loop: Header=BB942_17 Depth=1
	s_or_b64 exec, exec, s[4:5]
	v_lshrrev_b32_e32 v30, 16, v28
	v_cmp_ne_u16_sdwa s[6:7], v30, v35 src0_sel:BYTE_0 src1_sel:DWORD
	v_mov_b32_e32 v40, 0
	v_mov_b32_e32 v34, 0
	s_and_saveexec_b64 s[4:5], s[6:7]
	s_cbranch_execz .LBB942_179
; %bb.174:                              ;   in Loop: Header=BB942_17 Depth=1
	v_cmp_ne_u16_sdwa s[12:13], v30, s11 src0_sel:BYTE_0 src1_sel:DWORD
	v_mov_b32_e32 v34, 0xffff8000
	s_and_saveexec_b64 s[6:7], s[12:13]
	s_cbranch_execz .LBB942_178
; %bb.175:                              ;   in Loop: Header=BB942_17 Depth=1
	v_bfe_u32 v42, v28, 16, 7
	v_cmp_ne_u32_e32 vcc, s14, v42
	v_mov_b32_e32 v34, 0x7f80
	s_and_saveexec_b64 s[12:13], vcc
	s_cbranch_execz .LBB942_177
; %bb.176:                              ;   in Loop: Header=BB942_17 Depth=1
	v_and_b32_e32 v34, 7, v30
	v_ffbh_u32_e32 v52, v34
	v_min_u32_e32 v54, 32, v52
	v_subrev_u32_e32 v52, 28, v54
	v_lshlrev_b64 v[52:53], v52, v[30:31]
	v_lshrrev_b32_e32 v44, 3, v42
	v_sub_u32_e32 v53, 29, v54
	v_and_b32_e32 v52, 7, v52
	v_cmp_gt_u32_e32 vcc, 8, v42
	v_cndmask_b32_e32 v42, v44, v53, vcc
	v_cndmask_b32_e32 v34, v34, v52, vcc
	v_lshlrev_b32_e32 v30, 24, v30
	v_lshlrev_b32_e32 v34, 20, v34
	v_and_b32_e32 v30, 0x80000000, v30
	v_lshl_add_u32 v42, v42, 23, v38
	v_or3_b32 v30, v30, v42, v34
	v_lshrrev_b32_e32 v34, 16, v30
.LBB942_177:                            ;   in Loop: Header=BB942_17 Depth=1
	s_or_b64 exec, exec, s[12:13]
.LBB942_178:                            ;   in Loop: Header=BB942_17 Depth=1
	s_or_b64 exec, exec, s[6:7]
.LBB942_179:                            ;   in Loop: Header=BB942_17 Depth=1
	s_or_b64 exec, exec, s[4:5]
	v_cmp_lt_u32_e32 vcc, s15, v28
	s_and_saveexec_b64 s[4:5], vcc
	s_cbranch_execz .LBB942_185
; %bb.180:                              ;   in Loop: Header=BB942_17 Depth=1
	v_lshrrev_b32_e32 v30, 24, v28
	v_cmp_ne_u32_e32 vcc, s11, v30
	v_mov_b32_e32 v40, 0xffff8000
	s_and_saveexec_b64 s[6:7], vcc
	s_cbranch_execz .LBB942_184
; %bb.181:                              ;   in Loop: Header=BB942_17 Depth=1
	v_bfe_u32 v28, v28, 24, 7
	v_cmp_ne_u32_e32 vcc, s14, v28
	v_mov_b32_e32 v40, 0x7f80
	s_and_saveexec_b64 s[12:13], vcc
	s_cbranch_execz .LBB942_183
; %bb.182:                              ;   in Loop: Header=BB942_17 Depth=1
	v_and_b32_e32 v40, 7, v30
	v_ffbh_u32_e32 v44, v40
	v_min_u32_e32 v44, 32, v44
	v_subrev_u32_e32 v52, 28, v44
	v_lshlrev_b64 v[52:53], v52, v[30:31]
	v_lshrrev_b32_e32 v42, 3, v28
	v_sub_u32_e32 v44, 29, v44
	v_and_b32_e32 v52, 7, v52
	v_cmp_gt_u32_e32 vcc, 8, v28
	v_cndmask_b32_e32 v28, v42, v44, vcc
	v_cndmask_b32_e32 v40, v40, v52, vcc
	v_lshlrev_b32_e32 v30, 24, v30
	v_lshlrev_b32_e32 v40, 20, v40
	v_and_b32_e32 v30, 0x80000000, v30
	v_lshl_add_u32 v28, v28, 23, v38
	v_or3_b32 v28, v30, v28, v40
	v_lshrrev_b32_e32 v40, 16, v28
.LBB942_183:                            ;   in Loop: Header=BB942_17 Depth=1
	s_or_b64 exec, exec, s[12:13]
.LBB942_184:                            ;   in Loop: Header=BB942_17 Depth=1
	s_or_b64 exec, exec, s[6:7]
.LBB942_185:                            ;   in Loop: Header=BB942_17 Depth=1
	s_or_b64 exec, exec, s[4:5]
	s_waitcnt vmcnt(0)
	v_cmp_ne_u16_sdwa s[6:7], v26, v35 src0_sel:BYTE_0 src1_sel:DWORD
	v_mov_b32_e32 v30, 0
	v_mov_b32_e32 v42, 0
	s_and_saveexec_b64 s[4:5], s[6:7]
	s_cbranch_execz .LBB942_191
; %bb.186:                              ;   in Loop: Header=BB942_17 Depth=1
	v_cmp_ne_u16_sdwa s[12:13], v26, s11 src0_sel:BYTE_0 src1_sel:DWORD
	v_mov_b32_e32 v42, 0xffff8000
	s_and_saveexec_b64 s[6:7], s[12:13]
	s_cbranch_execz .LBB942_190
; %bb.187:                              ;   in Loop: Header=BB942_17 Depth=1
	v_and_b32_e32 v28, 0x7f, v26
	v_cmp_ne_u32_e32 vcc, s14, v28
	v_mov_b32_e32 v42, 0x7f80
	s_and_saveexec_b64 s[12:13], vcc
	s_cbranch_execz .LBB942_189
; %bb.188:                              ;   in Loop: Header=BB942_17 Depth=1
	v_and_b32_e32 v42, 7, v26
	v_ffbh_u32_e32 v52, v42
	v_min_u32_e32 v54, 32, v52
	v_subrev_u32_e32 v52, 28, v54
	v_lshlrev_b64 v[52:53], v52, v[26:27]
	v_lshrrev_b32_e32 v44, 3, v28
	v_sub_u32_e32 v53, 29, v54
	v_and_b32_e32 v52, 7, v52
	v_cmp_gt_u32_e32 vcc, 8, v28
	v_cndmask_b32_e32 v28, v44, v53, vcc
	v_cndmask_b32_e32 v42, v42, v52, vcc
	v_lshlrev_b32_e32 v44, 24, v26
	v_lshlrev_b32_e32 v42, 20, v42
	v_and_b32_e32 v44, 0x80000000, v44
	v_lshl_add_u32 v28, v28, 23, v38
	v_or3_b32 v28, v44, v28, v42
	v_lshrrev_b32_e32 v42, 16, v28
.LBB942_189:                            ;   in Loop: Header=BB942_17 Depth=1
	s_or_b64 exec, exec, s[12:13]
.LBB942_190:                            ;   in Loop: Header=BB942_17 Depth=1
	s_or_b64 exec, exec, s[6:7]
.LBB942_191:                            ;   in Loop: Header=BB942_17 Depth=1
	s_or_b64 exec, exec, s[4:5]
	v_lshrrev_b16_e32 v28, 8, v26
	v_cmp_ne_u16_e32 vcc, 0, v28
	s_and_saveexec_b64 s[4:5], vcc
	s_cbranch_execz .LBB942_197
; %bb.192:                              ;   in Loop: Header=BB942_17 Depth=1
	v_cmp_ne_u16_e32 vcc, s11, v28
	v_mov_b32_e32 v30, 0xffff8000
	s_and_saveexec_b64 s[6:7], vcc
	s_cbranch_execz .LBB942_196
; %bb.193:                              ;   in Loop: Header=BB942_17 Depth=1
	v_and_b32_e32 v44, 0x7f, v28
	v_cmp_ne_u32_e32 vcc, s14, v44
	v_mov_b32_e32 v30, 0x7f80
	s_and_saveexec_b64 s[12:13], vcc
	s_cbranch_execz .LBB942_195
; %bb.194:                              ;   in Loop: Header=BB942_17 Depth=1
	v_and_b32_e32 v30, 7, v28
	v_ffbh_u32_e32 v52, v30
	v_min_u32_e32 v55, 32, v52
	v_subrev_u32_e32 v52, 28, v55
	v_lshlrev_b64 v[52:53], v52, v[28:29]
	v_lshrrev_b32_e32 v54, 3, v44
	v_sub_u32_e32 v28, 29, v55
	v_and_b32_e32 v52, 7, v52
	v_cmp_gt_u32_e32 vcc, 8, v44
	v_cndmask_b32_e32 v28, v54, v28, vcc
	v_cndmask_b32_e32 v30, v30, v52, vcc
	v_lshlrev_b32_e32 v44, 16, v26
	v_lshlrev_b32_e32 v30, 20, v30
	v_and_b32_e32 v44, 0x80000000, v44
	v_lshl_add_u32 v28, v28, 23, v38
	v_or3_b32 v28, v44, v28, v30
	v_lshrrev_b32_e32 v30, 16, v28
.LBB942_195:                            ;   in Loop: Header=BB942_17 Depth=1
	s_or_b64 exec, exec, s[12:13]
.LBB942_196:                            ;   in Loop: Header=BB942_17 Depth=1
	s_or_b64 exec, exec, s[6:7]
.LBB942_197:                            ;   in Loop: Header=BB942_17 Depth=1
	s_or_b64 exec, exec, s[4:5]
	v_lshrrev_b32_e32 v28, 16, v26
	v_cmp_ne_u16_sdwa s[6:7], v28, v35 src0_sel:BYTE_0 src1_sel:DWORD
	v_mov_b32_e32 v52, 0
	v_mov_b32_e32 v44, 0
	s_and_saveexec_b64 s[4:5], s[6:7]
	s_cbranch_execz .LBB942_203
; %bb.198:                              ;   in Loop: Header=BB942_17 Depth=1
	v_cmp_ne_u16_sdwa s[12:13], v28, s11 src0_sel:BYTE_0 src1_sel:DWORD
	v_mov_b32_e32 v44, 0xffff8000
	s_and_saveexec_b64 s[6:7], s[12:13]
	s_cbranch_execz .LBB942_202
; %bb.199:                              ;   in Loop: Header=BB942_17 Depth=1
	v_bfe_u32 v53, v26, 16, 7
	v_cmp_ne_u32_e32 vcc, s14, v53
	v_mov_b32_e32 v44, 0x7f80
	s_and_saveexec_b64 s[12:13], vcc
	s_cbranch_execz .LBB942_201
; %bb.200:                              ;   in Loop: Header=BB942_17 Depth=1
	v_and_b32_e32 v44, 7, v28
	v_ffbh_u32_e32 v54, v44
	v_min_u32_e32 v57, 32, v54
	v_subrev_u32_e32 v54, 28, v57
	v_lshlrev_b64 v[54:55], v54, v[28:29]
	v_lshrrev_b32_e32 v56, 3, v53
	v_sub_u32_e32 v55, 29, v57
	v_and_b32_e32 v54, 7, v54
	v_cmp_gt_u32_e32 vcc, 8, v53
	v_cndmask_b32_e32 v53, v56, v55, vcc
	v_cndmask_b32_e32 v44, v44, v54, vcc
	v_lshlrev_b32_e32 v28, 24, v28
	v_lshlrev_b32_e32 v44, 20, v44
	v_and_b32_e32 v28, 0x80000000, v28
	v_lshl_add_u32 v53, v53, 23, v38
	v_or3_b32 v28, v28, v53, v44
	v_lshrrev_b32_e32 v44, 16, v28
.LBB942_201:                            ;   in Loop: Header=BB942_17 Depth=1
	s_or_b64 exec, exec, s[12:13]
.LBB942_202:                            ;   in Loop: Header=BB942_17 Depth=1
	s_or_b64 exec, exec, s[6:7]
.LBB942_203:                            ;   in Loop: Header=BB942_17 Depth=1
	s_or_b64 exec, exec, s[4:5]
	v_cmp_lt_u32_e32 vcc, s15, v26
	s_and_saveexec_b64 s[4:5], vcc
	s_cbranch_execz .LBB942_16
; %bb.204:                              ;   in Loop: Header=BB942_17 Depth=1
	v_lshrrev_b32_e32 v28, 24, v26
	v_cmp_ne_u32_e32 vcc, s11, v28
	v_mov_b32_e32 v52, 0xffff8000
	s_and_saveexec_b64 s[6:7], vcc
	s_cbranch_execz .LBB942_15
; %bb.205:                              ;   in Loop: Header=BB942_17 Depth=1
	v_bfe_u32 v26, v26, 24, 7
	v_cmp_ne_u32_e32 vcc, s14, v26
	v_mov_b32_e32 v52, 0x7f80
	s_and_saveexec_b64 s[12:13], vcc
	s_cbranch_execz .LBB942_14
; %bb.206:                              ;   in Loop: Header=BB942_17 Depth=1
	v_and_b32_e32 v54, 7, v28
	v_ffbh_u32_e32 v52, v54
	v_min_u32_e32 v56, 32, v52
	v_subrev_u32_e32 v52, 28, v56
	v_lshlrev_b64 v[52:53], v52, v[28:29]
	v_lshrrev_b32_e32 v55, 3, v26
	v_sub_u32_e32 v53, 29, v56
	v_and_b32_e32 v52, 7, v52
	v_cmp_gt_u32_e32 vcc, 8, v26
	v_cndmask_b32_e32 v26, v55, v53, vcc
	v_cndmask_b32_e32 v52, v54, v52, vcc
	v_lshlrev_b32_e32 v28, 24, v28
	v_lshlrev_b32_e32 v52, 20, v52
	v_and_b32_e32 v28, 0x80000000, v28
	v_lshl_add_u32 v26, v26, 23, v38
	v_or3_b32 v26, v28, v26, v52
	v_lshrrev_b32_e32 v52, 16, v26
	s_branch .LBB942_14
.LBB942_207:
	buffer_load_dword v17, off, s[0:3], 0 offset:256
	buffer_load_dword v16, off, s[0:3], 0 offset:260
	;; [unrolled: 1-line block ×16, first 2 shown]
	v_and_b32_e32 v18, 0xc0, v0
	v_add_u32_e32 v18, s20, v18
	v_lshl_or_b32 v18, v39, 2, v18
	v_or_b32_e32 v20, 1, v18
	v_subrev_u32_e32 v24, s29, v20
	v_add_u32_e32 v26, 1, v24
	v_cvt_f32_i32_e32 v25, v24
	v_add_u32_e32 v28, 2, v24
	v_add_u32_e32 v30, 3, v24
	;; [unrolled: 1-line block ×14, first 2 shown]
	v_cvt_f32_i32_e32 v26, v26
	v_cvt_f32_i32_e32 v28, v28
	;; [unrolled: 1-line block ×4, first 2 shown]
	v_mov_b32_e32 v19, 0xff7fffff
	v_or_b32_e32 v21, 2, v18
	v_or_b32_e32 v22, 3, v18
	v_cvt_f32_i32_e32 v32, v32
	v_cvt_f32_i32_e32 v34, v34
	v_cmp_gt_i32_e64 s[30:31], s29, v18
	v_cmp_gt_i32_e64 s[34:35], s29, v20
	s_mov_b32 s33, 0xff7fffff
	v_cmp_gt_i32_e64 s[36:37], s29, v21
	v_cmp_gt_i32_e64 s[38:39], s29, v22
	v_or_b32_e32 v23, 16, v18
	v_cvt_f32_i32_e32 v35, v35
	v_cvt_f32_i32_e32 v36, v36
	v_cmp_gt_i32_e64 s[26:27], s29, v23
	v_cvt_f32_i32_e32 v37, v37
	v_cvt_f32_i32_e32 v38, v38
	;; [unrolled: 1-line block ×7, first 2 shown]
	s_waitcnt vmcnt(15)
	v_fmac_f32_e32 v17, v31, v25
	s_waitcnt vmcnt(14)
	v_fmac_f32_e32 v16, v31, v26
	;; [unrolled: 2-line block ×4, first 2 shown]
	v_cndmask_b32_e64 v20, v19, v16, s[34:35]
	v_cndmask_b32_e64 v21, v19, v15, s[36:37]
	;; [unrolled: 1-line block ×3, first 2 shown]
	s_waitcnt vmcnt(11)
	v_fmac_f32_e32 v13, v31, v32
	s_waitcnt vmcnt(10)
	v_fmac_f32_e32 v12, v31, v34
	;; [unrolled: 2-line block ×9, first 2 shown]
	v_cndmask_b32_e64 v24, v19, v17, s[30:31]
	v_max3_f32 v20, v24, s33, v20
	v_max3_f32 v20, v20, v21, v22
	v_or_b32_e32 v22, 17, v18
	v_cmp_gt_i32_e64 s[40:41], s29, v22
	v_cndmask_b32_e64 v21, v19, v13, s[26:27]
	v_cndmask_b32_e64 v22, v19, v12, s[40:41]
	v_max3_f32 v20, v20, v21, v22
	v_or_b32_e32 v21, 18, v18
	v_or_b32_e32 v22, 19, v18
	v_cmp_gt_i32_e64 s[22:23], s29, v21
	v_cmp_gt_i32_e64 s[24:25], s29, v22
	v_cndmask_b32_e64 v21, v19, v11, s[22:23]
	v_cndmask_b32_e64 v22, v19, v10, s[24:25]
	v_max3_f32 v20, v20, v21, v22
	v_or_b32_e32 v21, 32, v18
	v_or_b32_e32 v22, 33, v18
	v_cmp_gt_i32_e64 s[18:19], s29, v21
	v_cmp_gt_i32_e64 s[20:21], s29, v22
	v_cndmask_b32_e64 v21, v19, v9, s[18:19]
	v_cndmask_b32_e64 v22, v19, v8, s[20:21]
	v_max3_f32 v20, v20, v21, v22
	v_or_b32_e32 v21, 34, v18
	v_or_b32_e32 v22, 35, v18
	v_cmp_gt_i32_e64 s[14:15], s29, v21
	v_cmp_gt_i32_e64 s[16:17], s29, v22
	v_cndmask_b32_e64 v21, v19, v7, s[14:15]
	v_cndmask_b32_e64 v22, v19, v6, s[16:17]
	v_max3_f32 v20, v20, v21, v22
	v_or_b32_e32 v21, 48, v18
	v_or_b32_e32 v22, 49, v18
	v_fmac_f32_e32 v5, v31, v44
	v_fmac_f32_e32 v4, v31, v52
	v_cmp_gt_i32_e64 s[6:7], s29, v21
	v_cmp_gt_i32_e64 s[12:13], s29, v22
	v_cndmask_b32_e64 v21, v19, v5, s[6:7]
	v_cndmask_b32_e64 v22, v19, v4, s[12:13]
	v_max3_f32 v20, v20, v21, v22
	v_or_b32_e32 v21, 50, v18
	v_or_b32_e32 v18, 51, v18
	v_fmac_f32_e32 v3, v31, v53
	v_cmp_gt_i32_e32 vcc, s29, v21
	v_cmp_gt_i32_e64 s[4:5], s29, v18
	v_cndmask_b32_e32 v21, v19, v3, vcc
	v_cndmask_b32_e64 v18, v19, v2, s[4:5]
	v_mbcnt_lo_u32_b32 v19, -1, 0
	v_mbcnt_hi_u32_b32 v19, -1, v19
	v_max3_f32 v18, v20, v21, v18
	v_and_b32_e32 v20, 64, v19
	v_add_u32_e32 v20, 64, v20
	v_xor_b32_e32 v21, 32, v19
	v_cmp_lt_i32_e64 s[42:43], v21, v20
	v_cndmask_b32_e64 v21, v19, v21, s[42:43]
	v_lshlrev_b32_e32 v21, 2, v21
	ds_bpermute_b32 v22, v21, v18
	s_waitcnt lgkmcnt(0)
	v_max_f32_e32 v22, v22, v22
	v_max_f32_e32 v18, v18, v22
	v_xor_b32_e32 v22, 16, v19
	v_cmp_lt_i32_e64 s[42:43], v22, v20
	v_cndmask_b32_e64 v19, v19, v22, s[42:43]
	v_lshlrev_b32_e32 v19, 2, v19
	ds_bpermute_b32 v20, v19, v18
	s_waitcnt lgkmcnt(0)
	v_max_f32_e32 v20, v20, v20
	v_max_f32_e32 v18, v18, v20
	v_sub_f32_e32 v17, v17, v18
	v_mul_f32_e32 v17, 0x3fb8aa3b, v17
	v_sub_f32_e32 v16, v16, v18
	v_exp_f32_e32 v17, v17
	v_mul_f32_e32 v16, 0x3fb8aa3b, v16
	v_sub_f32_e32 v15, v15, v18
	v_exp_f32_e32 v16, v16
	;; [unrolled: 3-line block ×4, first 2 shown]
	v_mul_f32_e32 v13, 0x3fb8aa3b, v13
	v_sub_f32_e32 v12, v12, v18
	v_cndmask_b32_e64 v17, 0, v17, s[30:31]
	v_exp_f32_e32 v13, v13
	v_mul_f32_e32 v12, 0x3fb8aa3b, v12
	v_sub_f32_e32 v11, v11, v18
	v_add_f32_e32 v20, 0, v17
	v_cndmask_b32_e64 v16, 0, v16, s[34:35]
	v_exp_f32_e32 v12, v12
	v_mul_f32_e32 v11, 0x3fb8aa3b, v11
	v_sub_f32_e32 v10, v10, v18
	v_add_f32_e32 v20, v20, v16
	;; [unrolled: 5-line block ×4, first 2 shown]
	v_cndmask_b32_e64 v13, 0, v13, s[26:27]
	v_exp_f32_e32 v9, v9
	v_mul_f32_e32 v8, 0x3fb8aa3b, v8
	v_sub_f32_e32 v7, v7, v18
	buffer_store_dword v17, off, s[0:3], 0 offset:256
	buffer_store_dword v16, off, s[0:3], 0 offset:260
	;; [unrolled: 1-line block ×4, first 2 shown]
	v_add_f32_e32 v14, v20, v13
	v_cndmask_b32_e64 v12, 0, v12, s[40:41]
	v_exp_f32_e32 v8, v8
	v_mul_f32_e32 v7, 0x3fb8aa3b, v7
	v_sub_f32_e32 v6, v6, v18
	v_add_f32_e32 v14, v14, v12
	v_cndmask_b32_e64 v11, 0, v11, s[22:23]
	v_exp_f32_e32 v7, v7
	v_mul_f32_e32 v6, 0x3fb8aa3b, v6
	v_sub_f32_e32 v5, v5, v18
	;; [unrolled: 5-line block ×4, first 2 shown]
	buffer_store_dword v13, off, s[0:3], 0 offset:272
	buffer_store_dword v12, off, s[0:3], 0 offset:276
	;; [unrolled: 1-line block ×4, first 2 shown]
	v_add_f32_e32 v10, v14, v9
	v_cndmask_b32_e64 v8, 0, v8, s[20:21]
	v_exp_f32_e32 v4, v4
	v_mul_f32_e32 v3, 0x3fb8aa3b, v3
	v_sub_f32_e32 v2, v2, v18
	v_add_f32_e32 v10, v10, v8
	v_cndmask_b32_e64 v7, 0, v7, s[14:15]
	v_exp_f32_e32 v3, v3
	v_mul_f32_e32 v2, 0x3fb8aa3b, v2
	v_add_f32_e32 v10, v10, v7
	v_cndmask_b32_e64 v6, 0, v6, s[16:17]
	v_exp_f32_e32 v2, v2
	v_add_f32_e32 v10, v10, v6
	v_cndmask_b32_e64 v5, 0, v5, s[6:7]
	buffer_store_dword v9, off, s[0:3], 0 offset:288
	buffer_store_dword v8, off, s[0:3], 0 offset:292
	;; [unrolled: 1-line block ×4, first 2 shown]
	v_add_f32_e32 v6, v10, v5
	v_cndmask_b32_e64 v4, 0, v4, s[12:13]
	v_add_f32_e32 v6, v6, v4
	v_cndmask_b32_e32 v3, 0, v3, vcc
	v_add_f32_e32 v6, v6, v3
	v_cndmask_b32_e64 v2, 0, v2, s[4:5]
	v_add_f32_e32 v6, v6, v2
	ds_bpermute_b32 v7, v21, v6
	buffer_store_dword v5, off, s[0:3], 0 offset:304
	buffer_store_dword v4, off, s[0:3], 0 offset:308
	buffer_store_dword v3, off, s[0:3], 0 offset:312
	buffer_store_dword v2, off, s[0:3], 0 offset:316
	v_cmp_lt_u32_e64 s[4:5], 15, v33
	v_cmp_gt_u32_e32 vcc, 16, v33
	s_waitcnt lgkmcnt(0)
	v_add_f32_e32 v2, v6, v7
	ds_bpermute_b32 v3, v19, v2
	s_barrier
	s_waitcnt lgkmcnt(0)
	s_and_saveexec_b64 s[6:7], vcc
	s_cbranch_execz .LBB942_209
; %bb.208:
	v_add_f32_e32 v2, v2, v3
	v_lshlrev_b32_e32 v3, 2, v29
	ds_write2st64_b32 v3, v18, v2 offset1:1
.LBB942_209:
	s_or_b64 exec, exec, s[6:7]
	v_lshlrev_b32_e32 v2, 2, v41
	s_waitcnt lgkmcnt(0)
	s_barrier
	ds_read2_b32 v[12:13], v2 offset1:16
	ds_read2_b32 v[14:15], v2 offset0:32 offset1:48
	ds_read2_b32 v[6:7], v2 offset0:64 offset1:80
	;; [unrolled: 1-line block ×3, first 2 shown]
	s_waitcnt lgkmcnt(0)
	s_barrier
	buffer_load_dword v22, off, s[0:3], 0 offset:264
	buffer_load_dword v23, off, s[0:3], 0 offset:268
	;; [unrolled: 1-line block ×16, first 2 shown]
	v_max3_f32 v20, v12, s33, v13
	v_max3_f32 v20, v20, v14, v15
	v_sub_f32_e32 v12, v12, v20
	v_sub_f32_e32 v13, v13, v20
	v_mul_f32_e32 v12, 0x3fb8aa3b, v12
	v_sub_f32_e32 v14, v14, v20
	v_mul_f32_e32 v13, 0x3fb8aa3b, v13
	v_exp_f32_e32 v12, v12
	v_sub_f32_e32 v15, v15, v20
	v_mul_f32_e32 v14, 0x3fb8aa3b, v14
	v_exp_f32_e32 v13, v13
	v_mul_f32_e32 v15, 0x3fb8aa3b, v15
	v_exp_f32_e32 v14, v14
	v_exp_f32_e32 v15, v15
	v_fma_f32 v6, v12, v6, 0
	v_fmac_f32_e32 v6, v13, v7
	v_cmp_eq_u32_e32 vcc, 1, v27
	v_fmac_f32_e32 v6, v14, v16
	v_cndmask_b32_e32 v12, v12, v13, vcc
	v_cmp_eq_u32_e32 vcc, 2, v27
	v_fmac_f32_e32 v6, v15, v17
	v_cndmask_b32_e32 v7, v12, v14, vcc
	v_add_f32_e32 v12, 0x358637bd, v6
	v_div_scale_f32 v13, s[6:7], v12, v12, 1.0
	v_rcp_f32_e32 v14, v13
	v_cmp_eq_u32_e32 vcc, 3, v27
	v_cndmask_b32_e32 v7, v7, v15, vcc
	v_div_scale_f32 v15, vcc, 1.0, v12, 1.0
	v_fma_f32 v16, -v13, v14, 1.0
	v_fmac_f32_e32 v14, v16, v14
	v_mul_f32_e32 v16, v15, v14
	v_fma_f32 v17, -v13, v16, v15
	v_fmac_f32_e32 v16, v17, v14
	v_fma_f32 v13, -v13, v16, v15
	v_div_fmas_f32 v13, v13, v14, v16
	v_div_fixup_f32 v12, v13, v12, 1.0
	v_mul_f32_e32 v12, v7, v12
	s_movk_i32 s11, 0x7fff
	s_mov_b32 s22, 0x7060302
	v_mov_b32_e32 v52, 0
	v_cmp_eq_u32_e32 vcc, 0, v0
	s_waitcnt vmcnt(14)
	v_pk_mul_f32 v[14:15], v[12:13], v[22:23] op_sel_hi:[0,1]
	v_bfe_u32 v21, v15, 16, 1
	s_waitcnt vmcnt(12)
	v_pk_mul_f32 v[16:17], v[12:13], v[24:25] op_sel_hi:[0,1]
	v_bfe_u32 v7, v17, 16, 1
	v_bfe_u32 v13, v16, 16, 1
	;; [unrolled: 1-line block ×3, first 2 shown]
	v_add3_u32 v13, v16, v13, s11
	v_add3_u32 v7, v17, v7, s11
	buffer_store_dword v16, off, s[0:3], 0 offset:256
	buffer_store_dword v17, off, s[0:3], 0 offset:260
	buffer_store_dword v14, off, s[0:3], 0 offset:264
	buffer_store_dword v15, off, s[0:3], 0 offset:268
	v_add3_u32 v16, v14, v22, s11
	v_add3_u32 v15, v15, v21, s11
	v_perm_b32 v14, v7, v13, s22
	v_lshlrev_b32_e32 v13, 3, v39
	v_perm_b32 v15, v15, v16, s22
	v_lshlrev_b32_e32 v7, 5, v41
	v_lshlrev_b32_e32 v16, 11, v27
	s_waitcnt vmcnt(12)
	v_pk_mul_f32 v[8:9], v[12:13], v[8:9] op_sel_hi:[0,1]
	v_or3_b32 v53, v16, v7, v13
	v_pk_mul_f32 v[10:11], v[12:13], v[10:11] op_sel_hi:[0,1]
	v_bfe_u32 v13, v9, 16, 1
	v_bfe_u32 v16, v8, 16, 1
	buffer_store_dword v8, off, s[0:3], 0 offset:272
	buffer_store_dword v9, off, s[0:3], 0 offset:276
	buffer_store_dword v10, off, s[0:3], 0 offset:280
	buffer_store_dword v11, off, s[0:3], 0 offset:284
	v_add3_u32 v8, v8, v16, s11
	v_add3_u32 v9, v9, v13, s11
	v_perm_b32 v8, v9, v8, s22
	v_bfe_u32 v9, v11, 16, 1
	v_bfe_u32 v13, v10, 16, 1
	v_add3_u32 v10, v10, v13, s11
	v_add3_u32 v9, v11, v9, s11
	v_perm_b32 v9, v9, v10, s22
	s_waitcnt vmcnt(14)
	v_pk_mul_f32 v[10:11], v[12:13], v[18:19] op_sel_hi:[0,1]
	ds_write2st64_b64 v53, v[14:15], v[8:9] offset1:1
	s_waitcnt vmcnt(12)
	v_pk_mul_f32 v[8:9], v[12:13], v[28:29] op_sel_hi:[0,1]
	v_bfe_u32 v13, v11, 16, 1
	v_bfe_u32 v14, v10, 16, 1
	buffer_store_dword v10, off, s[0:3], 0 offset:288
	buffer_store_dword v11, off, s[0:3], 0 offset:292
	;; [unrolled: 1-line block ×4, first 2 shown]
	v_add3_u32 v10, v10, v14, s11
	v_add3_u32 v11, v11, v13, s11
	v_perm_b32 v10, v11, v10, s22
	v_bfe_u32 v11, v9, 16, 1
	v_bfe_u32 v13, v8, 16, 1
	v_add3_u32 v8, v8, v13, s11
	v_add3_u32 v9, v9, v11, s11
	s_waitcnt vmcnt(14)
	v_pk_mul_f32 v[2:3], v[12:13], v[2:3] op_sel_hi:[0,1]
	v_perm_b32 v11, v9, v8, s22
	v_bfe_u32 v8, v3, 16, 1
	v_bfe_u32 v9, v2, 16, 1
	s_waitcnt vmcnt(12)
	v_pk_mul_f32 v[4:5], v[12:13], v[4:5] op_sel_hi:[0,1]
	buffer_store_dword v2, off, s[0:3], 0 offset:304
	buffer_store_dword v3, off, s[0:3], 0 offset:308
	;; [unrolled: 1-line block ×4, first 2 shown]
	v_add3_u32 v2, v2, v9, s11
	v_add3_u32 v3, v3, v8, s11
	v_perm_b32 v2, v3, v2, s22
	v_bfe_u32 v3, v5, 16, 1
	v_bfe_u32 v8, v4, 16, 1
	v_add3_u32 v4, v4, v8, s11
	v_add3_u32 v3, v5, v3, s11
	v_perm_b32 v3, v3, v4, s22
	ds_write2st64_b64 v53, v[10:11], v[2:3] offset0:2 offset1:3
	s_and_saveexec_b64 s[6:7], vcc
	s_cbranch_execz .LBB942_211
; %bb.210:
	s_mul_i32 s9, s9, s53
	s_mul_hi_u32 s12, s8, s53
	s_add_i32 s12, s12, s9
	s_mul_i32 s9, s8, s53
	s_add_u32 s9, s9, s10
	s_addc_u32 s12, s12, 0
	s_mul_i32 s12, s12, s52
	s_mul_hi_u32 s13, s9, s52
	s_add_i32 s13, s13, s12
	s_mul_i32 s9, s9, s52
	s_add_u32 s12, s9, s28
	s_addc_u32 s13, s13, 0
	s_lshl_b64 s[12:13], s[12:13], 2
	s_add_u32 s14, s46, s12
	s_addc_u32 s15, s47, s13
	s_add_u32 s12, s44, s12
	s_addc_u32 s13, s45, s13
	global_store_dword v52, v20, s[14:15]
	global_store_dword v52, v6, s[12:13]
.LBB942_211:
	s_or_b64 exec, exec, s[6:7]
	v_lshl_or_b32 v30, v39, 9, v7
	s_waitcnt lgkmcnt(0)
	s_barrier
	s_load_dword s6, s[50:51], 0x0
	ds_read_b128 v[2:5], v30
	ds_read_b128 v[6:9], v30 offset:16
	ds_read_b128 v[10:13], v30 offset:2048
	;; [unrolled: 1-line block ×7, first 2 shown]
	v_mov_b32_e32 v35, 0x80
	v_mov_b32_e32 v54, 0x140
	s_mov_b64 s[14:15], -1
	s_waitcnt lgkmcnt(0)
	s_mov_b32 s7, s6
	s_mov_b32 s12, s6
	s_mov_b32 s13, s6
	s_movk_i32 s9, 0x80
	s_movk_i32 s23, 0x7f
	s_mov_b32 s24, 0xffffff
	s_mov_b32 s25, 0x5040100
	v_bfrev_b32_e32 v55, 60
	s_branch .LBB942_215
.LBB942_212:                            ;   in Loop: Header=BB942_215 Depth=1
	s_or_b64 exec, exec, s[20:21]
.LBB942_213:                            ;   in Loop: Header=BB942_215 Depth=1
	s_or_b64 exec, exec, s[18:19]
.LBB942_214:                            ;   in Loop: Header=BB942_215 Depth=1
	s_or_b64 exec, exec, s[16:17]
	v_perm_b32 v51, v51, v50, s25
	v_perm_b32 v50, v44, v46, s25
	s_xor_b64 s[16:17], s[14:15], -1
	s_mov_b64 s[14:15], 0
	v_mov_b32_e32 v46, v47
	v_mfma_f32_16x16x16bf16_1k v[60:63], v[50:51], v[30:31], v[34:37]
	s_and_b64 vcc, exec, s[16:17]
	s_nop 5
	v_perm_b32 v37, v58, v57, s25
	v_perm_b32 v36, v42, v56, s25
	v_mov_b32_e32 v35, v45
	s_nop 0
	v_mfma_f32_16x16x16bf16_1k v[56:59], v[36:37], v[32:33], v[60:63]
	s_nop 7
	s_nop 2
	v_pk_mul_f32 v[50:51], v[56:57], s[6:7]
	v_pk_mul_f32 v[36:37], v[58:59], s[12:13]
	v_bfe_u32 v34, v51, 16, 1
	v_bfe_u32 v38, v50, 16, 1
	;; [unrolled: 1-line block ×4, first 2 shown]
	v_add3_u32 v38, v50, v38, s11
	v_add3_u32 v34, v51, v34, s11
	;; [unrolled: 1-line block ×4, first 2 shown]
	v_perm_b32 v34, v34, v38, s22
	v_perm_b32 v36, v37, v36, s22
	buffer_store_dword v34, v54, s[0:3], 0 offen
	buffer_store_dword v36, v54, s[0:3], 0 offen offset:4
	v_mov_b32_e32 v54, 0x148
	v_mov_b32_e32 v51, v48
	;; [unrolled: 1-line block ×3, first 2 shown]
	s_cbranch_vccnz .LBB942_597
.LBB942_215:                            ; =>This Inner Loop Header: Depth=1
	buffer_load_dword v36, v35, s[0:3], 0 offen
	buffer_load_dword v34, v35, s[0:3], 0 offen offset:4
	buffer_load_dword v40, v35, s[0:3], 0 offen offset:8
	;; [unrolled: 1-line block ×3, first 2 shown]
	v_mov_b32_e32 v35, 0
	v_mov_b32_e32 v37, 0
	s_waitcnt vmcnt(3)
	v_cmp_ne_u16_sdwa s[18:19], v36, v52 src0_sel:BYTE_0 src1_sel:DWORD
	s_and_saveexec_b64 s[16:17], s[18:19]
	s_cbranch_execz .LBB942_221
; %bb.216:                              ;   in Loop: Header=BB942_215 Depth=1
	v_cmp_ne_u16_sdwa s[20:21], v36, s9 src0_sel:BYTE_0 src1_sel:DWORD
	v_mov_b32_e32 v37, 0xffff8000
	s_and_saveexec_b64 s[18:19], s[20:21]
	s_cbranch_execz .LBB942_220
; %bb.217:                              ;   in Loop: Header=BB942_215 Depth=1
	v_and_b32_e32 v42, 0x7f, v36
	v_cmp_ne_u32_e32 vcc, s23, v42
	v_mov_b32_e32 v37, 0x7f80
	s_and_saveexec_b64 s[20:21], vcc
	s_cbranch_execz .LBB942_219
; %bb.218:                              ;   in Loop: Header=BB942_215 Depth=1
	v_and_b32_e32 v37, 7, v36
	v_ffbh_u32_e32 v56, v37
	v_min_u32_e32 v58, 32, v56
	v_subrev_u32_e32 v56, 28, v58
	v_lshlrev_b64 v[56:57], v56, v[36:37]
	v_lshrrev_b32_e32 v44, 3, v42
	v_sub_u32_e32 v57, 29, v58
	v_and_b32_e32 v56, 7, v56
	v_cmp_gt_u32_e32 vcc, 8, v42
	v_cndmask_b32_e32 v42, v44, v57, vcc
	v_cndmask_b32_e32 v37, v37, v56, vcc
	v_lshlrev_b32_e32 v44, 24, v36
	v_lshlrev_b32_e32 v37, 20, v37
	v_and_b32_e32 v44, 0x80000000, v44
	v_lshl_add_u32 v42, v42, 23, v55
	v_or3_b32 v37, v44, v42, v37
	v_lshrrev_b32_e32 v37, 16, v37
.LBB942_219:                            ;   in Loop: Header=BB942_215 Depth=1
	s_or_b64 exec, exec, s[20:21]
.LBB942_220:                            ;   in Loop: Header=BB942_215 Depth=1
	s_or_b64 exec, exec, s[18:19]
.LBB942_221:                            ;   in Loop: Header=BB942_215 Depth=1
	s_or_b64 exec, exec, s[16:17]
	v_lshrrev_b16_e32 v42, 8, v36
	v_cmp_ne_u16_e32 vcc, 0, v42
	s_and_saveexec_b64 s[16:17], vcc
	s_cbranch_execz .LBB942_227
; %bb.222:                              ;   in Loop: Header=BB942_215 Depth=1
	v_cmp_ne_u16_e32 vcc, s9, v42
	v_mov_b32_e32 v35, 0xffff8000
	s_and_saveexec_b64 s[18:19], vcc
	s_cbranch_execz .LBB942_226
; %bb.223:                              ;   in Loop: Header=BB942_215 Depth=1
	v_and_b32_e32 v44, 0x7f, v42
	v_cmp_ne_u32_e32 vcc, s23, v44
	v_mov_b32_e32 v35, 0x7f80
	s_and_saveexec_b64 s[20:21], vcc
	s_cbranch_execz .LBB942_225
; %bb.224:                              ;   in Loop: Header=BB942_215 Depth=1
	v_and_b32_e32 v35, 7, v42
	v_ffbh_u32_e32 v56, v35
	v_min_u32_e32 v59, 32, v56
	v_subrev_u32_e32 v56, 28, v59
	v_lshlrev_b64 v[56:57], v56, v[42:43]
	v_lshrrev_b32_e32 v58, 3, v44
	v_sub_u32_e32 v42, 29, v59
	v_and_b32_e32 v56, 7, v56
	v_cmp_gt_u32_e32 vcc, 8, v44
	v_cndmask_b32_e32 v42, v58, v42, vcc
	v_cndmask_b32_e32 v35, v35, v56, vcc
	v_lshlrev_b32_e32 v44, 16, v36
	v_lshlrev_b32_e32 v35, 20, v35
	v_and_b32_e32 v44, 0x80000000, v44
	v_lshl_add_u32 v42, v42, 23, v55
	v_or3_b32 v35, v44, v42, v35
	v_lshrrev_b32_e32 v35, 16, v35
.LBB942_225:                            ;   in Loop: Header=BB942_215 Depth=1
	s_or_b64 exec, exec, s[20:21]
.LBB942_226:                            ;   in Loop: Header=BB942_215 Depth=1
	s_or_b64 exec, exec, s[18:19]
.LBB942_227:                            ;   in Loop: Header=BB942_215 Depth=1
	s_or_b64 exec, exec, s[16:17]
	v_lshrrev_b32_e32 v42, 16, v36
	v_cmp_ne_u16_sdwa s[18:19], v42, v52 src0_sel:BYTE_0 src1_sel:DWORD
	v_mov_b32_e32 v56, 0
	v_mov_b32_e32 v44, 0
	s_and_saveexec_b64 s[16:17], s[18:19]
	s_cbranch_execz .LBB942_233
; %bb.228:                              ;   in Loop: Header=BB942_215 Depth=1
	v_cmp_ne_u16_sdwa s[20:21], v42, s9 src0_sel:BYTE_0 src1_sel:DWORD
	v_mov_b32_e32 v44, 0xffff8000
	s_and_saveexec_b64 s[18:19], s[20:21]
	s_cbranch_execz .LBB942_232
; %bb.229:                              ;   in Loop: Header=BB942_215 Depth=1
	v_bfe_u32 v57, v36, 16, 7
	v_cmp_ne_u32_e32 vcc, s23, v57
	v_mov_b32_e32 v44, 0x7f80
	s_and_saveexec_b64 s[20:21], vcc
	s_cbranch_execz .LBB942_231
; %bb.230:                              ;   in Loop: Header=BB942_215 Depth=1
	v_and_b32_e32 v44, 7, v42
	v_ffbh_u32_e32 v58, v44
	v_min_u32_e32 v61, 32, v58
	v_subrev_u32_e32 v58, 28, v61
	v_lshlrev_b64 v[58:59], v58, v[42:43]
	v_lshrrev_b32_e32 v60, 3, v57
	v_sub_u32_e32 v59, 29, v61
	v_and_b32_e32 v58, 7, v58
	v_cmp_gt_u32_e32 vcc, 8, v57
	v_cndmask_b32_e32 v57, v60, v59, vcc
	v_cndmask_b32_e32 v44, v44, v58, vcc
	v_lshlrev_b32_e32 v42, 24, v42
	v_lshlrev_b32_e32 v44, 20, v44
	v_and_b32_e32 v42, 0x80000000, v42
	v_lshl_add_u32 v57, v57, 23, v55
	v_or3_b32 v42, v42, v57, v44
	v_lshrrev_b32_e32 v44, 16, v42
.LBB942_231:                            ;   in Loop: Header=BB942_215 Depth=1
	s_or_b64 exec, exec, s[20:21]
.LBB942_232:                            ;   in Loop: Header=BB942_215 Depth=1
	s_or_b64 exec, exec, s[18:19]
.LBB942_233:                            ;   in Loop: Header=BB942_215 Depth=1
	s_or_b64 exec, exec, s[16:17]
	v_cmp_lt_u32_e32 vcc, s24, v36
	s_and_saveexec_b64 s[16:17], vcc
	s_cbranch_execz .LBB942_239
; %bb.234:                              ;   in Loop: Header=BB942_215 Depth=1
	v_lshrrev_b32_e32 v42, 24, v36
	v_cmp_ne_u32_e32 vcc, s9, v42
	v_mov_b32_e32 v56, 0xffff8000
	s_and_saveexec_b64 s[18:19], vcc
	s_cbranch_execz .LBB942_238
; %bb.235:                              ;   in Loop: Header=BB942_215 Depth=1
	v_bfe_u32 v36, v36, 24, 7
	v_cmp_ne_u32_e32 vcc, s23, v36
	v_mov_b32_e32 v56, 0x7f80
	s_and_saveexec_b64 s[20:21], vcc
	s_cbranch_execz .LBB942_237
; %bb.236:                              ;   in Loop: Header=BB942_215 Depth=1
	v_and_b32_e32 v58, 7, v42
	v_ffbh_u32_e32 v56, v58
	v_min_u32_e32 v60, 32, v56
	v_subrev_u32_e32 v56, 28, v60
	v_lshlrev_b64 v[56:57], v56, v[42:43]
	v_lshrrev_b32_e32 v59, 3, v36
	v_sub_u32_e32 v57, 29, v60
	v_and_b32_e32 v56, 7, v56
	v_cmp_gt_u32_e32 vcc, 8, v36
	v_cndmask_b32_e32 v36, v59, v57, vcc
	v_cndmask_b32_e32 v56, v58, v56, vcc
	v_lshlrev_b32_e32 v42, 24, v42
	v_lshlrev_b32_e32 v56, 20, v56
	v_and_b32_e32 v42, 0x80000000, v42
	v_lshl_add_u32 v36, v36, 23, v55
	v_or3_b32 v36, v42, v36, v56
	v_lshrrev_b32_e32 v56, 16, v36
.LBB942_237:                            ;   in Loop: Header=BB942_215 Depth=1
	s_or_b64 exec, exec, s[20:21]
.LBB942_238:                            ;   in Loop: Header=BB942_215 Depth=1
	s_or_b64 exec, exec, s[18:19]
.LBB942_239:                            ;   in Loop: Header=BB942_215 Depth=1
	s_or_b64 exec, exec, s[16:17]
	s_waitcnt vmcnt(2)
	v_cmp_ne_u16_sdwa s[18:19], v34, v52 src0_sel:BYTE_0 src1_sel:DWORD
	v_mov_b32_e32 v42, 0
	v_mov_b32_e32 v57, 0
	s_and_saveexec_b64 s[16:17], s[18:19]
	s_cbranch_execz .LBB942_245
; %bb.240:                              ;   in Loop: Header=BB942_215 Depth=1
	v_cmp_ne_u16_sdwa s[20:21], v34, s9 src0_sel:BYTE_0 src1_sel:DWORD
	v_mov_b32_e32 v57, 0xffff8000
	s_and_saveexec_b64 s[18:19], s[20:21]
	s_cbranch_execz .LBB942_244
; %bb.241:                              ;   in Loop: Header=BB942_215 Depth=1
	v_and_b32_e32 v36, 0x7f, v34
	v_cmp_ne_u32_e32 vcc, s23, v36
	v_mov_b32_e32 v57, 0x7f80
	s_and_saveexec_b64 s[20:21], vcc
	s_cbranch_execz .LBB942_243
; %bb.242:                              ;   in Loop: Header=BB942_215 Depth=1
	v_and_b32_e32 v57, 7, v34
	v_ffbh_u32_e32 v58, v57
	v_min_u32_e32 v61, 32, v58
	v_subrev_u32_e32 v58, 28, v61
	v_lshlrev_b64 v[58:59], v58, v[34:35]
	v_lshrrev_b32_e32 v60, 3, v36
	v_sub_u32_e32 v59, 29, v61
	v_and_b32_e32 v58, 7, v58
	v_cmp_gt_u32_e32 vcc, 8, v36
	v_cndmask_b32_e32 v36, v60, v59, vcc
	v_cndmask_b32_e32 v57, v57, v58, vcc
	v_lshlrev_b32_e32 v58, 24, v34
	v_lshlrev_b32_e32 v57, 20, v57
	v_and_b32_e32 v58, 0x80000000, v58
	v_lshl_add_u32 v36, v36, 23, v55
	v_or3_b32 v36, v58, v36, v57
	v_lshrrev_b32_e32 v57, 16, v36
.LBB942_243:                            ;   in Loop: Header=BB942_215 Depth=1
	s_or_b64 exec, exec, s[20:21]
.LBB942_244:                            ;   in Loop: Header=BB942_215 Depth=1
	s_or_b64 exec, exec, s[18:19]
.LBB942_245:                            ;   in Loop: Header=BB942_215 Depth=1
	s_or_b64 exec, exec, s[16:17]
	v_lshrrev_b16_e32 v36, 8, v34
	v_cmp_ne_u16_e32 vcc, 0, v36
	s_and_saveexec_b64 s[16:17], vcc
	s_cbranch_execz .LBB942_251
; %bb.246:                              ;   in Loop: Header=BB942_215 Depth=1
	v_cmp_ne_u16_e32 vcc, s9, v36
	v_mov_b32_e32 v42, 0xffff8000
	s_and_saveexec_b64 s[18:19], vcc
	s_cbranch_execz .LBB942_250
; %bb.247:                              ;   in Loop: Header=BB942_215 Depth=1
	v_and_b32_e32 v58, 0x7f, v36
	v_cmp_ne_u32_e32 vcc, s23, v58
	v_mov_b32_e32 v42, 0x7f80
	s_and_saveexec_b64 s[20:21], vcc
	s_cbranch_execz .LBB942_249
; %bb.248:                              ;   in Loop: Header=BB942_215 Depth=1
	v_and_b32_e32 v42, 7, v36
	v_ffbh_u32_e32 v60, v42
	v_min_u32_e32 v62, 32, v60
	v_subrev_u32_e32 v60, 28, v62
	v_lshlrev_b64 v[60:61], v60, v[36:37]
	v_lshrrev_b32_e32 v59, 3, v58
	v_sub_u32_e32 v36, 29, v62
	v_and_b32_e32 v60, 7, v60
	v_cmp_gt_u32_e32 vcc, 8, v58
	v_cndmask_b32_e32 v36, v59, v36, vcc
	v_cndmask_b32_e32 v42, v42, v60, vcc
	v_lshlrev_b32_e32 v58, 16, v34
	v_lshlrev_b32_e32 v42, 20, v42
	v_and_b32_e32 v58, 0x80000000, v58
	v_lshl_add_u32 v36, v36, 23, v55
	v_or3_b32 v36, v58, v36, v42
	v_lshrrev_b32_e32 v42, 16, v36
.LBB942_249:                            ;   in Loop: Header=BB942_215 Depth=1
	s_or_b64 exec, exec, s[20:21]
.LBB942_250:                            ;   in Loop: Header=BB942_215 Depth=1
	s_or_b64 exec, exec, s[18:19]
.LBB942_251:                            ;   in Loop: Header=BB942_215 Depth=1
	s_or_b64 exec, exec, s[16:17]
	v_lshrrev_b32_e32 v36, 16, v34
	v_cmp_ne_u16_sdwa s[18:19], v36, v52 src0_sel:BYTE_0 src1_sel:DWORD
	v_mov_b32_e32 v59, 0
	v_mov_b32_e32 v58, 0
	s_and_saveexec_b64 s[16:17], s[18:19]
	s_cbranch_execz .LBB942_257
; %bb.252:                              ;   in Loop: Header=BB942_215 Depth=1
	v_cmp_ne_u16_sdwa s[20:21], v36, s9 src0_sel:BYTE_0 src1_sel:DWORD
	v_mov_b32_e32 v58, 0xffff8000
	s_and_saveexec_b64 s[18:19], s[20:21]
	s_cbranch_execz .LBB942_256
; %bb.253:                              ;   in Loop: Header=BB942_215 Depth=1
	v_bfe_u32 v60, v34, 16, 7
	v_cmp_ne_u32_e32 vcc, s23, v60
	v_mov_b32_e32 v58, 0x7f80
	s_and_saveexec_b64 s[20:21], vcc
	s_cbranch_execz .LBB942_255
; %bb.254:                              ;   in Loop: Header=BB942_215 Depth=1
	v_and_b32_e32 v58, 7, v36
	v_ffbh_u32_e32 v62, v58
	v_min_u32_e32 v64, 32, v62
	v_subrev_u32_e32 v62, 28, v64
	v_lshlrev_b64 v[62:63], v62, v[36:37]
	v_lshrrev_b32_e32 v61, 3, v60
	v_sub_u32_e32 v63, 29, v64
	v_and_b32_e32 v62, 7, v62
	v_cmp_gt_u32_e32 vcc, 8, v60
	v_cndmask_b32_e32 v60, v61, v63, vcc
	v_cndmask_b32_e32 v58, v58, v62, vcc
	v_lshlrev_b32_e32 v36, 24, v36
	v_lshlrev_b32_e32 v58, 20, v58
	v_and_b32_e32 v36, 0x80000000, v36
	v_lshl_add_u32 v60, v60, 23, v55
	v_or3_b32 v36, v36, v60, v58
	v_lshrrev_b32_e32 v58, 16, v36
.LBB942_255:                            ;   in Loop: Header=BB942_215 Depth=1
	s_or_b64 exec, exec, s[20:21]
.LBB942_256:                            ;   in Loop: Header=BB942_215 Depth=1
	s_or_b64 exec, exec, s[18:19]
.LBB942_257:                            ;   in Loop: Header=BB942_215 Depth=1
	s_or_b64 exec, exec, s[16:17]
	v_cmp_lt_u32_e32 vcc, s24, v34
	s_and_saveexec_b64 s[16:17], vcc
	s_cbranch_execz .LBB942_263
; %bb.258:                              ;   in Loop: Header=BB942_215 Depth=1
	v_lshrrev_b32_e32 v36, 24, v34
	v_cmp_ne_u32_e32 vcc, s9, v36
	v_mov_b32_e32 v59, 0xffff8000
	s_and_saveexec_b64 s[18:19], vcc
	s_cbranch_execz .LBB942_262
; %bb.259:                              ;   in Loop: Header=BB942_215 Depth=1
	v_bfe_u32 v34, v34, 24, 7
	v_cmp_ne_u32_e32 vcc, s23, v34
	v_mov_b32_e32 v59, 0x7f80
	s_and_saveexec_b64 s[20:21], vcc
	s_cbranch_execz .LBB942_261
; %bb.260:                              ;   in Loop: Header=BB942_215 Depth=1
	v_and_b32_e32 v59, 7, v36
	v_ffbh_u32_e32 v60, v59
	v_min_u32_e32 v63, 32, v60
	v_subrev_u32_e32 v60, 28, v63
	v_lshlrev_b64 v[60:61], v60, v[36:37]
	v_lshrrev_b32_e32 v62, 3, v34
	v_sub_u32_e32 v61, 29, v63
	v_and_b32_e32 v60, 7, v60
	v_cmp_gt_u32_e32 vcc, 8, v34
	v_cndmask_b32_e32 v34, v62, v61, vcc
	v_cndmask_b32_e32 v59, v59, v60, vcc
	v_lshlrev_b32_e32 v36, 24, v36
	v_lshlrev_b32_e32 v59, 20, v59
	v_and_b32_e32 v36, 0x80000000, v36
	v_lshl_add_u32 v34, v34, 23, v55
	v_or3_b32 v34, v36, v34, v59
	v_lshrrev_b32_e32 v59, 16, v34
.LBB942_261:                            ;   in Loop: Header=BB942_215 Depth=1
	s_or_b64 exec, exec, s[20:21]
.LBB942_262:                            ;   in Loop: Header=BB942_215 Depth=1
	s_or_b64 exec, exec, s[18:19]
.LBB942_263:                            ;   in Loop: Header=BB942_215 Depth=1
	s_or_b64 exec, exec, s[16:17]
	v_perm_b32 v61, v56, v44, s25
	v_perm_b32 v60, v35, v37, s25
	;; [unrolled: 1-line block ×4, first 2 shown]
	s_waitcnt vmcnt(1)
	v_cmp_ne_u16_sdwa s[18:19], v40, v52 src0_sel:BYTE_0 src1_sel:DWORD
	v_mfma_f32_16x16x16bf16_1k v[34:37], v[60:61], v[2:3], 0
	v_mov_b32_e32 v44, 0
	v_mov_b32_e32 v56, 0
	v_mfma_f32_16x16x16bf16_1k v[34:37], v[58:59], v[4:5], v[34:37]
	s_and_saveexec_b64 s[16:17], s[18:19]
	s_cbranch_execz .LBB942_269
; %bb.264:                              ;   in Loop: Header=BB942_215 Depth=1
	v_cmp_ne_u16_sdwa s[20:21], v40, s9 src0_sel:BYTE_0 src1_sel:DWORD
	v_mov_b32_e32 v56, 0xffff8000
	s_and_saveexec_b64 s[18:19], s[20:21]
	s_cbranch_execz .LBB942_268
; %bb.265:                              ;   in Loop: Header=BB942_215 Depth=1
	v_and_b32_e32 v42, 0x7f, v40
	v_cmp_ne_u32_e32 vcc, s23, v42
	v_mov_b32_e32 v56, 0x7f80
	s_and_saveexec_b64 s[20:21], vcc
	s_cbranch_execz .LBB942_267
; %bb.266:                              ;   in Loop: Header=BB942_215 Depth=1
	v_and_b32_e32 v58, 7, v40
	v_ffbh_u32_e32 v56, v58
	v_min_u32_e32 v60, 32, v56
	v_subrev_u32_e32 v56, 28, v60
	v_lshlrev_b64 v[56:57], v56, v[40:41]
	v_lshrrev_b32_e32 v59, 3, v42
	v_sub_u32_e32 v57, 29, v60
	v_and_b32_e32 v56, 7, v56
	v_cmp_gt_u32_e32 vcc, 8, v42
	v_cndmask_b32_e32 v42, v59, v57, vcc
	v_cndmask_b32_e32 v56, v58, v56, vcc
	v_lshlrev_b32_e32 v57, 24, v40
	v_lshlrev_b32_e32 v56, 20, v56
	v_and_b32_e32 v57, 0x80000000, v57
	v_lshl_add_u32 v42, v42, 23, v55
	v_or3_b32 v42, v57, v42, v56
	v_lshrrev_b32_e32 v56, 16, v42
.LBB942_267:                            ;   in Loop: Header=BB942_215 Depth=1
	s_or_b64 exec, exec, s[20:21]
.LBB942_268:                            ;   in Loop: Header=BB942_215 Depth=1
	s_or_b64 exec, exec, s[18:19]
.LBB942_269:                            ;   in Loop: Header=BB942_215 Depth=1
	s_or_b64 exec, exec, s[16:17]
	v_lshrrev_b16_e32 v42, 8, v40
	v_cmp_ne_u16_e32 vcc, 0, v42
	s_and_saveexec_b64 s[16:17], vcc
	s_cbranch_execz .LBB942_275
; %bb.270:                              ;   in Loop: Header=BB942_215 Depth=1
	v_cmp_ne_u16_e32 vcc, s9, v42
	v_mov_b32_e32 v44, 0xffff8000
	s_and_saveexec_b64 s[18:19], vcc
	s_cbranch_execz .LBB942_274
; %bb.271:                              ;   in Loop: Header=BB942_215 Depth=1
	v_and_b32_e32 v57, 0x7f, v42
	v_cmp_ne_u32_e32 vcc, s23, v57
	v_mov_b32_e32 v44, 0x7f80
	s_and_saveexec_b64 s[20:21], vcc
	s_cbranch_execz .LBB942_273
; %bb.272:                              ;   in Loop: Header=BB942_215 Depth=1
	v_and_b32_e32 v44, 7, v42
	v_ffbh_u32_e32 v58, v44
	v_min_u32_e32 v61, 32, v58
	v_subrev_u32_e32 v58, 28, v61
	v_lshlrev_b64 v[58:59], v58, v[42:43]
	v_lshrrev_b32_e32 v60, 3, v57
	v_sub_u32_e32 v42, 29, v61
	v_and_b32_e32 v58, 7, v58
	v_cmp_gt_u32_e32 vcc, 8, v57
	v_cndmask_b32_e32 v42, v60, v42, vcc
	v_cndmask_b32_e32 v44, v44, v58, vcc
	v_lshlrev_b32_e32 v57, 16, v40
	v_lshlrev_b32_e32 v44, 20, v44
	v_and_b32_e32 v57, 0x80000000, v57
	v_lshl_add_u32 v42, v42, 23, v55
	v_or3_b32 v42, v57, v42, v44
	v_lshrrev_b32_e32 v44, 16, v42
.LBB942_273:                            ;   in Loop: Header=BB942_215 Depth=1
	s_or_b64 exec, exec, s[20:21]
.LBB942_274:                            ;   in Loop: Header=BB942_215 Depth=1
	s_or_b64 exec, exec, s[18:19]
.LBB942_275:                            ;   in Loop: Header=BB942_215 Depth=1
	s_or_b64 exec, exec, s[16:17]
	v_lshrrev_b32_e32 v42, 16, v40
	v_cmp_ne_u16_sdwa s[18:19], v42, v52 src0_sel:BYTE_0 src1_sel:DWORD
	v_mov_b32_e32 v58, 0
	v_mov_b32_e32 v57, 0
	s_and_saveexec_b64 s[16:17], s[18:19]
	s_cbranch_execz .LBB942_281
; %bb.276:                              ;   in Loop: Header=BB942_215 Depth=1
	v_cmp_ne_u16_sdwa s[20:21], v42, s9 src0_sel:BYTE_0 src1_sel:DWORD
	v_mov_b32_e32 v57, 0xffff8000
	s_and_saveexec_b64 s[18:19], s[20:21]
	s_cbranch_execz .LBB942_280
; %bb.277:                              ;   in Loop: Header=BB942_215 Depth=1
	v_bfe_u32 v59, v40, 16, 7
	v_cmp_ne_u32_e32 vcc, s23, v59
	v_mov_b32_e32 v57, 0x7f80
	s_and_saveexec_b64 s[20:21], vcc
	s_cbranch_execz .LBB942_279
; %bb.278:                              ;   in Loop: Header=BB942_215 Depth=1
	v_and_b32_e32 v57, 7, v42
	v_ffbh_u32_e32 v60, v57
	v_min_u32_e32 v63, 32, v60
	v_subrev_u32_e32 v60, 28, v63
	v_lshlrev_b64 v[60:61], v60, v[42:43]
	v_lshrrev_b32_e32 v62, 3, v59
	v_sub_u32_e32 v61, 29, v63
	v_and_b32_e32 v60, 7, v60
	v_cmp_gt_u32_e32 vcc, 8, v59
	v_cndmask_b32_e32 v59, v62, v61, vcc
	v_cndmask_b32_e32 v57, v57, v60, vcc
	v_lshlrev_b32_e32 v42, 24, v42
	v_lshlrev_b32_e32 v57, 20, v57
	v_and_b32_e32 v42, 0x80000000, v42
	v_lshl_add_u32 v59, v59, 23, v55
	v_or3_b32 v42, v42, v59, v57
	v_lshrrev_b32_e32 v57, 16, v42
.LBB942_279:                            ;   in Loop: Header=BB942_215 Depth=1
	s_or_b64 exec, exec, s[20:21]
.LBB942_280:                            ;   in Loop: Header=BB942_215 Depth=1
	s_or_b64 exec, exec, s[18:19]
.LBB942_281:                            ;   in Loop: Header=BB942_215 Depth=1
	s_or_b64 exec, exec, s[16:17]
	v_cmp_lt_u32_e32 vcc, s24, v40
	s_and_saveexec_b64 s[16:17], vcc
	s_cbranch_execz .LBB942_287
; %bb.282:                              ;   in Loop: Header=BB942_215 Depth=1
	v_lshrrev_b32_e32 v42, 24, v40
	v_cmp_ne_u32_e32 vcc, s9, v42
	v_mov_b32_e32 v58, 0xffff8000
	s_and_saveexec_b64 s[18:19], vcc
	s_cbranch_execz .LBB942_286
; %bb.283:                              ;   in Loop: Header=BB942_215 Depth=1
	v_bfe_u32 v40, v40, 24, 7
	v_cmp_ne_u32_e32 vcc, s23, v40
	v_mov_b32_e32 v58, 0x7f80
	s_and_saveexec_b64 s[20:21], vcc
	s_cbranch_execz .LBB942_285
; %bb.284:                              ;   in Loop: Header=BB942_215 Depth=1
	v_and_b32_e32 v60, 7, v42
	v_ffbh_u32_e32 v58, v60
	v_min_u32_e32 v62, 32, v58
	v_subrev_u32_e32 v58, 28, v62
	v_lshlrev_b64 v[58:59], v58, v[42:43]
	v_lshrrev_b32_e32 v61, 3, v40
	v_sub_u32_e32 v59, 29, v62
	v_and_b32_e32 v58, 7, v58
	v_cmp_gt_u32_e32 vcc, 8, v40
	v_cndmask_b32_e32 v40, v61, v59, vcc
	v_cndmask_b32_e32 v58, v60, v58, vcc
	v_lshlrev_b32_e32 v42, 24, v42
	v_lshlrev_b32_e32 v58, 20, v58
	v_and_b32_e32 v42, 0x80000000, v42
	v_lshl_add_u32 v40, v40, 23, v55
	v_or3_b32 v40, v42, v40, v58
	v_lshrrev_b32_e32 v58, 16, v40
.LBB942_285:                            ;   in Loop: Header=BB942_215 Depth=1
	s_or_b64 exec, exec, s[20:21]
.LBB942_286:                            ;   in Loop: Header=BB942_215 Depth=1
	s_or_b64 exec, exec, s[18:19]
.LBB942_287:                            ;   in Loop: Header=BB942_215 Depth=1
	s_or_b64 exec, exec, s[16:17]
	s_waitcnt vmcnt(0)
	v_cmp_ne_u16_sdwa s[18:19], v38, v52 src0_sel:BYTE_0 src1_sel:DWORD
	v_mov_b32_e32 v59, 0
	v_mov_b32_e32 v60, 0
	s_and_saveexec_b64 s[16:17], s[18:19]
	s_cbranch_execz .LBB942_293
; %bb.288:                              ;   in Loop: Header=BB942_215 Depth=1
	v_cmp_ne_u16_sdwa s[20:21], v38, s9 src0_sel:BYTE_0 src1_sel:DWORD
	v_mov_b32_e32 v60, 0xffff8000
	s_and_saveexec_b64 s[18:19], s[20:21]
	s_cbranch_execz .LBB942_292
; %bb.289:                              ;   in Loop: Header=BB942_215 Depth=1
	v_and_b32_e32 v40, 0x7f, v38
	v_cmp_ne_u32_e32 vcc, s23, v40
	v_mov_b32_e32 v60, 0x7f80
	s_and_saveexec_b64 s[20:21], vcc
	s_cbranch_execz .LBB942_291
; %bb.290:                              ;   in Loop: Header=BB942_215 Depth=1
	v_and_b32_e32 v42, 7, v38
	v_ffbh_u32_e32 v60, v42
	v_min_u32_e32 v63, 32, v60
	v_subrev_u32_e32 v60, 28, v63
	v_lshlrev_b64 v[60:61], v60, v[38:39]
	v_lshrrev_b32_e32 v62, 3, v40
	v_sub_u32_e32 v61, 29, v63
	v_and_b32_e32 v60, 7, v60
	v_cmp_gt_u32_e32 vcc, 8, v40
	v_cndmask_b32_e32 v40, v62, v61, vcc
	v_cndmask_b32_e32 v42, v42, v60, vcc
	v_lshlrev_b32_e32 v60, 24, v38
	v_lshlrev_b32_e32 v42, 20, v42
	v_and_b32_e32 v60, 0x80000000, v60
	v_lshl_add_u32 v40, v40, 23, v55
	v_or3_b32 v40, v60, v40, v42
	v_lshrrev_b32_e32 v60, 16, v40
.LBB942_291:                            ;   in Loop: Header=BB942_215 Depth=1
	s_or_b64 exec, exec, s[20:21]
.LBB942_292:                            ;   in Loop: Header=BB942_215 Depth=1
	s_or_b64 exec, exec, s[18:19]
.LBB942_293:                            ;   in Loop: Header=BB942_215 Depth=1
	s_or_b64 exec, exec, s[16:17]
	v_lshrrev_b16_e32 v40, 8, v38
	v_cmp_ne_u16_e32 vcc, 0, v40
	s_and_saveexec_b64 s[16:17], vcc
	s_cbranch_execz .LBB942_299
; %bb.294:                              ;   in Loop: Header=BB942_215 Depth=1
	v_cmp_ne_u16_e32 vcc, s9, v40
	v_mov_b32_e32 v59, 0xffff8000
	s_and_saveexec_b64 s[18:19], vcc
	s_cbranch_execz .LBB942_298
; %bb.295:                              ;   in Loop: Header=BB942_215 Depth=1
	v_and_b32_e32 v42, 0x7f, v40
	v_cmp_ne_u32_e32 vcc, s23, v42
	v_mov_b32_e32 v59, 0x7f80
	s_and_saveexec_b64 s[20:21], vcc
	s_cbranch_execz .LBB942_297
; %bb.296:                              ;   in Loop: Header=BB942_215 Depth=1
	v_and_b32_e32 v59, 7, v40
	v_ffbh_u32_e32 v62, v59
	v_min_u32_e32 v64, 32, v62
	v_subrev_u32_e32 v62, 28, v64
	v_lshlrev_b64 v[62:63], v62, v[40:41]
	v_lshrrev_b32_e32 v61, 3, v42
	v_sub_u32_e32 v40, 29, v64
	v_and_b32_e32 v62, 7, v62
	v_cmp_gt_u32_e32 vcc, 8, v42
	v_cndmask_b32_e32 v40, v61, v40, vcc
	v_cndmask_b32_e32 v42, v59, v62, vcc
	v_lshlrev_b32_e32 v59, 16, v38
	v_lshlrev_b32_e32 v42, 20, v42
	v_and_b32_e32 v59, 0x80000000, v59
	v_lshl_add_u32 v40, v40, 23, v55
	v_or3_b32 v40, v59, v40, v42
	v_lshrrev_b32_e32 v59, 16, v40
.LBB942_297:                            ;   in Loop: Header=BB942_215 Depth=1
	s_or_b64 exec, exec, s[20:21]
.LBB942_298:                            ;   in Loop: Header=BB942_215 Depth=1
	s_or_b64 exec, exec, s[18:19]
.LBB942_299:                            ;   in Loop: Header=BB942_215 Depth=1
	s_or_b64 exec, exec, s[16:17]
	v_lshrrev_b32_e32 v40, 16, v38
	v_cmp_ne_u16_sdwa s[18:19], v40, v52 src0_sel:BYTE_0 src1_sel:DWORD
	v_mov_b32_e32 v62, 0
	v_mov_b32_e32 v61, 0
	s_and_saveexec_b64 s[16:17], s[18:19]
	s_cbranch_execz .LBB942_305
; %bb.300:                              ;   in Loop: Header=BB942_215 Depth=1
	v_cmp_ne_u16_sdwa s[20:21], v40, s9 src0_sel:BYTE_0 src1_sel:DWORD
	v_mov_b32_e32 v61, 0xffff8000
	s_and_saveexec_b64 s[18:19], s[20:21]
	s_cbranch_execz .LBB942_304
; %bb.301:                              ;   in Loop: Header=BB942_215 Depth=1
	v_bfe_u32 v42, v38, 16, 7
	v_cmp_ne_u32_e32 vcc, s23, v42
	v_mov_b32_e32 v61, 0x7f80
	s_and_saveexec_b64 s[20:21], vcc
	s_cbranch_execz .LBB942_303
; %bb.302:                              ;   in Loop: Header=BB942_215 Depth=1
	v_and_b32_e32 v61, 7, v40
	v_ffbh_u32_e32 v64, v61
	v_min_u32_e32 v66, 32, v64
	v_subrev_u32_e32 v64, 28, v66
	v_lshlrev_b64 v[64:65], v64, v[40:41]
	v_lshrrev_b32_e32 v63, 3, v42
	v_sub_u32_e32 v65, 29, v66
	v_and_b32_e32 v64, 7, v64
	v_cmp_gt_u32_e32 vcc, 8, v42
	v_cndmask_b32_e32 v42, v63, v65, vcc
	v_cndmask_b32_e32 v61, v61, v64, vcc
	v_lshlrev_b32_e32 v40, 24, v40
	v_lshlrev_b32_e32 v61, 20, v61
	v_and_b32_e32 v40, 0x80000000, v40
	v_lshl_add_u32 v42, v42, 23, v55
	v_or3_b32 v40, v40, v42, v61
	v_lshrrev_b32_e32 v61, 16, v40
.LBB942_303:                            ;   in Loop: Header=BB942_215 Depth=1
	s_or_b64 exec, exec, s[20:21]
.LBB942_304:                            ;   in Loop: Header=BB942_215 Depth=1
	s_or_b64 exec, exec, s[18:19]
.LBB942_305:                            ;   in Loop: Header=BB942_215 Depth=1
	s_or_b64 exec, exec, s[16:17]
	v_cmp_lt_u32_e32 vcc, s24, v38
	s_and_saveexec_b64 s[16:17], vcc
	s_cbranch_execz .LBB942_311
; %bb.306:                              ;   in Loop: Header=BB942_215 Depth=1
	v_lshrrev_b32_e32 v40, 24, v38
	v_cmp_ne_u32_e32 vcc, s9, v40
	v_mov_b32_e32 v62, 0xffff8000
	s_and_saveexec_b64 s[18:19], vcc
	s_cbranch_execz .LBB942_310
; %bb.307:                              ;   in Loop: Header=BB942_215 Depth=1
	v_bfe_u32 v38, v38, 24, 7
	v_cmp_ne_u32_e32 vcc, s23, v38
	v_mov_b32_e32 v62, 0x7f80
	s_and_saveexec_b64 s[20:21], vcc
	s_cbranch_execz .LBB942_309
; %bb.308:                              ;   in Loop: Header=BB942_215 Depth=1
	v_and_b32_e32 v42, 7, v40
	v_ffbh_u32_e32 v62, v42
	v_min_u32_e32 v65, 32, v62
	v_subrev_u32_e32 v62, 28, v65
	v_lshlrev_b64 v[62:63], v62, v[40:41]
	v_lshrrev_b32_e32 v64, 3, v38
	v_sub_u32_e32 v63, 29, v65
	v_and_b32_e32 v62, 7, v62
	v_cmp_gt_u32_e32 vcc, 8, v38
	v_cndmask_b32_e32 v38, v64, v63, vcc
	v_cndmask_b32_e32 v42, v42, v62, vcc
	v_lshlrev_b32_e32 v40, 24, v40
	v_lshlrev_b32_e32 v42, 20, v42
	v_and_b32_e32 v40, 0x80000000, v40
	v_lshl_add_u32 v38, v38, 23, v55
	v_or3_b32 v38, v40, v38, v42
	v_lshrrev_b32_e32 v62, 16, v38
.LBB942_309:                            ;   in Loop: Header=BB942_215 Depth=1
	s_or_b64 exec, exec, s[20:21]
.LBB942_310:                            ;   in Loop: Header=BB942_215 Depth=1
	s_or_b64 exec, exec, s[18:19]
.LBB942_311:                            ;   in Loop: Header=BB942_215 Depth=1
	s_or_b64 exec, exec, s[16:17]
	v_perm_b32 v56, v44, v56, s25
	buffer_load_dword v44, v46, s[0:3], 0 offen
	buffer_load_dword v42, v46, s[0:3], 0 offen offset:4
	buffer_load_dword v40, v46, s[0:3], 0 offen offset:8
	;; [unrolled: 1-line block ×3, first 2 shown]
	v_perm_b32 v57, v58, v57, s25
	s_waitcnt vmcnt(3)
	v_cmp_ne_u16_sdwa s[18:19], v44, v52 src0_sel:BYTE_0 src1_sel:DWORD
	v_mfma_f32_16x16x16bf16_1k v[34:37], v[56:57], v[6:7], v[34:37]
	v_perm_b32 v57, v62, v61, s25
	v_perm_b32 v56, v59, v60, s25
	s_nop 1
	v_mfma_f32_16x16x16bf16_1k v[34:37], v[56:57], v[8:9], v[34:37]
	v_mov_b32_e32 v56, 0
	v_mov_b32_e32 v57, 0
	s_and_saveexec_b64 s[16:17], s[18:19]
	s_cbranch_execz .LBB942_317
; %bb.312:                              ;   in Loop: Header=BB942_215 Depth=1
	v_cmp_ne_u16_sdwa s[20:21], v44, s9 src0_sel:BYTE_0 src1_sel:DWORD
	v_mov_b32_e32 v57, 0xffff8000
	s_and_saveexec_b64 s[18:19], s[20:21]
	s_cbranch_execz .LBB942_316
; %bb.313:                              ;   in Loop: Header=BB942_215 Depth=1
	v_and_b32_e32 v46, 0x7f, v44
	v_cmp_ne_u32_e32 vcc, s23, v46
	v_mov_b32_e32 v57, 0x7f80
	s_and_saveexec_b64 s[20:21], vcc
	s_cbranch_execz .LBB942_315
; %bb.314:                              ;   in Loop: Header=BB942_215 Depth=1
	v_and_b32_e32 v57, 7, v44
	v_ffbh_u32_e32 v58, v57
	v_min_u32_e32 v61, 32, v58
	v_subrev_u32_e32 v58, 28, v61
	v_lshlrev_b64 v[58:59], v58, v[44:45]
	v_lshrrev_b32_e32 v60, 3, v46
	v_sub_u32_e32 v59, 29, v61
	v_and_b32_e32 v58, 7, v58
	v_cmp_gt_u32_e32 vcc, 8, v46
	v_cndmask_b32_e32 v46, v60, v59, vcc
	v_cndmask_b32_e32 v57, v57, v58, vcc
	v_lshlrev_b32_e32 v58, 24, v44
	v_lshlrev_b32_e32 v57, 20, v57
	v_and_b32_e32 v58, 0x80000000, v58
	v_lshl_add_u32 v46, v46, 23, v55
	v_or3_b32 v46, v58, v46, v57
	v_lshrrev_b32_e32 v57, 16, v46
.LBB942_315:                            ;   in Loop: Header=BB942_215 Depth=1
	s_or_b64 exec, exec, s[20:21]
.LBB942_316:                            ;   in Loop: Header=BB942_215 Depth=1
	s_or_b64 exec, exec, s[18:19]
.LBB942_317:                            ;   in Loop: Header=BB942_215 Depth=1
	s_or_b64 exec, exec, s[16:17]
	v_lshrrev_b16_e32 v46, 8, v44
	v_cmp_ne_u16_e32 vcc, 0, v46
	s_and_saveexec_b64 s[16:17], vcc
	s_cbranch_execz .LBB942_323
; %bb.318:                              ;   in Loop: Header=BB942_215 Depth=1
	v_cmp_ne_u16_e32 vcc, s9, v46
	v_mov_b32_e32 v56, 0xffff8000
	s_and_saveexec_b64 s[18:19], vcc
	s_cbranch_execz .LBB942_322
; %bb.319:                              ;   in Loop: Header=BB942_215 Depth=1
	v_and_b32_e32 v58, 0x7f, v46
	v_cmp_ne_u32_e32 vcc, s23, v58
	v_mov_b32_e32 v56, 0x7f80
	s_and_saveexec_b64 s[20:21], vcc
	s_cbranch_execz .LBB942_321
; %bb.320:                              ;   in Loop: Header=BB942_215 Depth=1
	v_and_b32_e32 v56, 7, v46
	v_ffbh_u32_e32 v60, v56
	v_min_u32_e32 v62, 32, v60
	v_subrev_u32_e32 v60, 28, v62
	v_lshlrev_b64 v[60:61], v60, v[46:47]
	v_lshrrev_b32_e32 v59, 3, v58
	v_sub_u32_e32 v46, 29, v62
	v_and_b32_e32 v60, 7, v60
	v_cmp_gt_u32_e32 vcc, 8, v58
	v_cndmask_b32_e32 v46, v59, v46, vcc
	v_cndmask_b32_e32 v56, v56, v60, vcc
	v_lshlrev_b32_e32 v58, 16, v44
	v_lshlrev_b32_e32 v56, 20, v56
	v_and_b32_e32 v58, 0x80000000, v58
	v_lshl_add_u32 v46, v46, 23, v55
	v_or3_b32 v46, v58, v46, v56
	v_lshrrev_b32_e32 v56, 16, v46
.LBB942_321:                            ;   in Loop: Header=BB942_215 Depth=1
	s_or_b64 exec, exec, s[20:21]
.LBB942_322:                            ;   in Loop: Header=BB942_215 Depth=1
	s_or_b64 exec, exec, s[18:19]
.LBB942_323:                            ;   in Loop: Header=BB942_215 Depth=1
	s_or_b64 exec, exec, s[16:17]
	v_lshrrev_b32_e32 v46, 16, v44
	v_cmp_ne_u16_sdwa s[18:19], v46, v52 src0_sel:BYTE_0 src1_sel:DWORD
	v_mov_b32_e32 v59, 0
	v_mov_b32_e32 v58, 0
	s_and_saveexec_b64 s[16:17], s[18:19]
	s_cbranch_execz .LBB942_329
; %bb.324:                              ;   in Loop: Header=BB942_215 Depth=1
	v_cmp_ne_u16_sdwa s[20:21], v46, s9 src0_sel:BYTE_0 src1_sel:DWORD
	v_mov_b32_e32 v58, 0xffff8000
	s_and_saveexec_b64 s[18:19], s[20:21]
	s_cbranch_execz .LBB942_328
; %bb.325:                              ;   in Loop: Header=BB942_215 Depth=1
	v_bfe_u32 v60, v44, 16, 7
	v_cmp_ne_u32_e32 vcc, s23, v60
	v_mov_b32_e32 v58, 0x7f80
	s_and_saveexec_b64 s[20:21], vcc
	s_cbranch_execz .LBB942_327
; %bb.326:                              ;   in Loop: Header=BB942_215 Depth=1
	v_and_b32_e32 v58, 7, v46
	v_ffbh_u32_e32 v62, v58
	v_min_u32_e32 v64, 32, v62
	v_subrev_u32_e32 v62, 28, v64
	v_lshlrev_b64 v[62:63], v62, v[46:47]
	v_lshrrev_b32_e32 v61, 3, v60
	v_sub_u32_e32 v63, 29, v64
	v_and_b32_e32 v62, 7, v62
	v_cmp_gt_u32_e32 vcc, 8, v60
	v_cndmask_b32_e32 v60, v61, v63, vcc
	v_cndmask_b32_e32 v58, v58, v62, vcc
	v_lshlrev_b32_e32 v46, 24, v46
	v_lshlrev_b32_e32 v58, 20, v58
	v_and_b32_e32 v46, 0x80000000, v46
	v_lshl_add_u32 v60, v60, 23, v55
	v_or3_b32 v46, v46, v60, v58
	v_lshrrev_b32_e32 v58, 16, v46
.LBB942_327:                            ;   in Loop: Header=BB942_215 Depth=1
	s_or_b64 exec, exec, s[20:21]
.LBB942_328:                            ;   in Loop: Header=BB942_215 Depth=1
	s_or_b64 exec, exec, s[18:19]
.LBB942_329:                            ;   in Loop: Header=BB942_215 Depth=1
	s_or_b64 exec, exec, s[16:17]
	v_cmp_lt_u32_e32 vcc, s24, v44
	s_and_saveexec_b64 s[16:17], vcc
	s_cbranch_execz .LBB942_335
; %bb.330:                              ;   in Loop: Header=BB942_215 Depth=1
	v_lshrrev_b32_e32 v46, 24, v44
	v_cmp_ne_u32_e32 vcc, s9, v46
	v_mov_b32_e32 v59, 0xffff8000
	s_and_saveexec_b64 s[18:19], vcc
	s_cbranch_execz .LBB942_334
; %bb.331:                              ;   in Loop: Header=BB942_215 Depth=1
	v_bfe_u32 v44, v44, 24, 7
	v_cmp_ne_u32_e32 vcc, s23, v44
	v_mov_b32_e32 v59, 0x7f80
	s_and_saveexec_b64 s[20:21], vcc
	s_cbranch_execz .LBB942_333
; %bb.332:                              ;   in Loop: Header=BB942_215 Depth=1
	v_and_b32_e32 v59, 7, v46
	v_ffbh_u32_e32 v60, v59
	v_min_u32_e32 v63, 32, v60
	v_subrev_u32_e32 v60, 28, v63
	v_lshlrev_b64 v[60:61], v60, v[46:47]
	v_lshrrev_b32_e32 v62, 3, v44
	v_sub_u32_e32 v61, 29, v63
	v_and_b32_e32 v60, 7, v60
	v_cmp_gt_u32_e32 vcc, 8, v44
	v_cndmask_b32_e32 v44, v62, v61, vcc
	v_cndmask_b32_e32 v59, v59, v60, vcc
	v_lshlrev_b32_e32 v46, 24, v46
	v_lshlrev_b32_e32 v59, 20, v59
	v_and_b32_e32 v46, 0x80000000, v46
	v_lshl_add_u32 v44, v44, 23, v55
	v_or3_b32 v44, v46, v44, v59
	v_lshrrev_b32_e32 v59, 16, v44
.LBB942_333:                            ;   in Loop: Header=BB942_215 Depth=1
	s_or_b64 exec, exec, s[20:21]
.LBB942_334:                            ;   in Loop: Header=BB942_215 Depth=1
	s_or_b64 exec, exec, s[18:19]
.LBB942_335:                            ;   in Loop: Header=BB942_215 Depth=1
	s_or_b64 exec, exec, s[16:17]
	s_waitcnt vmcnt(2)
	v_cmp_ne_u16_sdwa s[18:19], v42, v52 src0_sel:BYTE_0 src1_sel:DWORD
	v_mov_b32_e32 v46, 0
	v_mov_b32_e32 v60, 0
	s_and_saveexec_b64 s[16:17], s[18:19]
	s_cbranch_execz .LBB942_341
; %bb.336:                              ;   in Loop: Header=BB942_215 Depth=1
	v_cmp_ne_u16_sdwa s[20:21], v42, s9 src0_sel:BYTE_0 src1_sel:DWORD
	v_mov_b32_e32 v60, 0xffff8000
	s_and_saveexec_b64 s[18:19], s[20:21]
	s_cbranch_execz .LBB942_340
; %bb.337:                              ;   in Loop: Header=BB942_215 Depth=1
	v_and_b32_e32 v44, 0x7f, v42
	v_cmp_ne_u32_e32 vcc, s23, v44
	v_mov_b32_e32 v60, 0x7f80
	s_and_saveexec_b64 s[20:21], vcc
	s_cbranch_execz .LBB942_339
; %bb.338:                              ;   in Loop: Header=BB942_215 Depth=1
	v_and_b32_e32 v62, 7, v42
	v_ffbh_u32_e32 v60, v62
	v_min_u32_e32 v64, 32, v60
	v_subrev_u32_e32 v60, 28, v64
	v_lshlrev_b64 v[60:61], v60, v[42:43]
	v_lshrrev_b32_e32 v63, 3, v44
	v_sub_u32_e32 v61, 29, v64
	v_and_b32_e32 v60, 7, v60
	v_cmp_gt_u32_e32 vcc, 8, v44
	v_cndmask_b32_e32 v44, v63, v61, vcc
	v_cndmask_b32_e32 v60, v62, v60, vcc
	v_lshlrev_b32_e32 v61, 24, v42
	v_lshlrev_b32_e32 v60, 20, v60
	v_and_b32_e32 v61, 0x80000000, v61
	v_lshl_add_u32 v44, v44, 23, v55
	v_or3_b32 v44, v61, v44, v60
	v_lshrrev_b32_e32 v60, 16, v44
.LBB942_339:                            ;   in Loop: Header=BB942_215 Depth=1
	s_or_b64 exec, exec, s[20:21]
.LBB942_340:                            ;   in Loop: Header=BB942_215 Depth=1
	s_or_b64 exec, exec, s[18:19]
.LBB942_341:                            ;   in Loop: Header=BB942_215 Depth=1
	s_or_b64 exec, exec, s[16:17]
	v_lshrrev_b16_e32 v44, 8, v42
	v_cmp_ne_u16_e32 vcc, 0, v44
	s_and_saveexec_b64 s[16:17], vcc
	s_cbranch_execz .LBB942_347
; %bb.342:                              ;   in Loop: Header=BB942_215 Depth=1
	v_cmp_ne_u16_e32 vcc, s9, v44
	v_mov_b32_e32 v46, 0xffff8000
	s_and_saveexec_b64 s[18:19], vcc
	s_cbranch_execz .LBB942_346
; %bb.343:                              ;   in Loop: Header=BB942_215 Depth=1
	v_and_b32_e32 v61, 0x7f, v44
	v_cmp_ne_u32_e32 vcc, s23, v61
	v_mov_b32_e32 v46, 0x7f80
	s_and_saveexec_b64 s[20:21], vcc
	s_cbranch_execz .LBB942_345
; %bb.344:                              ;   in Loop: Header=BB942_215 Depth=1
	v_and_b32_e32 v46, 7, v44
	v_ffbh_u32_e32 v62, v46
	v_min_u32_e32 v65, 32, v62
	v_subrev_u32_e32 v62, 28, v65
	v_lshlrev_b64 v[62:63], v62, v[44:45]
	v_lshrrev_b32_e32 v64, 3, v61
	v_sub_u32_e32 v44, 29, v65
	v_and_b32_e32 v62, 7, v62
	v_cmp_gt_u32_e32 vcc, 8, v61
	v_cndmask_b32_e32 v44, v64, v44, vcc
	v_cndmask_b32_e32 v46, v46, v62, vcc
	v_lshlrev_b32_e32 v61, 16, v42
	v_lshlrev_b32_e32 v46, 20, v46
	v_and_b32_e32 v61, 0x80000000, v61
	v_lshl_add_u32 v44, v44, 23, v55
	v_or3_b32 v44, v61, v44, v46
	v_lshrrev_b32_e32 v46, 16, v44
.LBB942_345:                            ;   in Loop: Header=BB942_215 Depth=1
	s_or_b64 exec, exec, s[20:21]
.LBB942_346:                            ;   in Loop: Header=BB942_215 Depth=1
	s_or_b64 exec, exec, s[18:19]
.LBB942_347:                            ;   in Loop: Header=BB942_215 Depth=1
	s_or_b64 exec, exec, s[16:17]
	v_lshrrev_b32_e32 v44, 16, v42
	v_cmp_ne_u16_sdwa s[18:19], v44, v52 src0_sel:BYTE_0 src1_sel:DWORD
	v_mov_b32_e32 v62, 0
	v_mov_b32_e32 v61, 0
	s_and_saveexec_b64 s[16:17], s[18:19]
	s_cbranch_execz .LBB942_353
; %bb.348:                              ;   in Loop: Header=BB942_215 Depth=1
	v_cmp_ne_u16_sdwa s[20:21], v44, s9 src0_sel:BYTE_0 src1_sel:DWORD
	v_mov_b32_e32 v61, 0xffff8000
	s_and_saveexec_b64 s[18:19], s[20:21]
	s_cbranch_execz .LBB942_352
; %bb.349:                              ;   in Loop: Header=BB942_215 Depth=1
	v_bfe_u32 v63, v42, 16, 7
	v_cmp_ne_u32_e32 vcc, s23, v63
	v_mov_b32_e32 v61, 0x7f80
	s_and_saveexec_b64 s[20:21], vcc
	s_cbranch_execz .LBB942_351
; %bb.350:                              ;   in Loop: Header=BB942_215 Depth=1
	v_and_b32_e32 v61, 7, v44
	v_ffbh_u32_e32 v64, v61
	v_min_u32_e32 v67, 32, v64
	v_subrev_u32_e32 v64, 28, v67
	v_lshlrev_b64 v[64:65], v64, v[44:45]
	v_lshrrev_b32_e32 v66, 3, v63
	v_sub_u32_e32 v65, 29, v67
	v_and_b32_e32 v64, 7, v64
	v_cmp_gt_u32_e32 vcc, 8, v63
	v_cndmask_b32_e32 v63, v66, v65, vcc
	v_cndmask_b32_e32 v61, v61, v64, vcc
	v_lshlrev_b32_e32 v44, 24, v44
	v_lshlrev_b32_e32 v61, 20, v61
	v_and_b32_e32 v44, 0x80000000, v44
	v_lshl_add_u32 v63, v63, 23, v55
	v_or3_b32 v44, v44, v63, v61
	v_lshrrev_b32_e32 v61, 16, v44
.LBB942_351:                            ;   in Loop: Header=BB942_215 Depth=1
	s_or_b64 exec, exec, s[20:21]
.LBB942_352:                            ;   in Loop: Header=BB942_215 Depth=1
	s_or_b64 exec, exec, s[18:19]
.LBB942_353:                            ;   in Loop: Header=BB942_215 Depth=1
	s_or_b64 exec, exec, s[16:17]
	v_cmp_lt_u32_e32 vcc, s24, v42
	s_and_saveexec_b64 s[16:17], vcc
	s_cbranch_execz .LBB942_359
; %bb.354:                              ;   in Loop: Header=BB942_215 Depth=1
	v_lshrrev_b32_e32 v44, 24, v42
	v_cmp_ne_u32_e32 vcc, s9, v44
	v_mov_b32_e32 v62, 0xffff8000
	s_and_saveexec_b64 s[18:19], vcc
	s_cbranch_execz .LBB942_358
; %bb.355:                              ;   in Loop: Header=BB942_215 Depth=1
	v_bfe_u32 v42, v42, 24, 7
	v_cmp_ne_u32_e32 vcc, s23, v42
	v_mov_b32_e32 v62, 0x7f80
	s_and_saveexec_b64 s[20:21], vcc
	s_cbranch_execz .LBB942_357
; %bb.356:                              ;   in Loop: Header=BB942_215 Depth=1
	v_and_b32_e32 v64, 7, v44
	v_ffbh_u32_e32 v62, v64
	v_min_u32_e32 v66, 32, v62
	v_subrev_u32_e32 v62, 28, v66
	v_lshlrev_b64 v[62:63], v62, v[44:45]
	v_lshrrev_b32_e32 v65, 3, v42
	v_sub_u32_e32 v63, 29, v66
	v_and_b32_e32 v62, 7, v62
	v_cmp_gt_u32_e32 vcc, 8, v42
	v_cndmask_b32_e32 v42, v65, v63, vcc
	v_cndmask_b32_e32 v62, v64, v62, vcc
	v_lshlrev_b32_e32 v44, 24, v44
	v_lshlrev_b32_e32 v62, 20, v62
	v_and_b32_e32 v44, 0x80000000, v44
	v_lshl_add_u32 v42, v42, 23, v55
	v_or3_b32 v42, v44, v42, v62
	v_lshrrev_b32_e32 v62, 16, v42
.LBB942_357:                            ;   in Loop: Header=BB942_215 Depth=1
	s_or_b64 exec, exec, s[20:21]
.LBB942_358:                            ;   in Loop: Header=BB942_215 Depth=1
	s_or_b64 exec, exec, s[18:19]
.LBB942_359:                            ;   in Loop: Header=BB942_215 Depth=1
	s_or_b64 exec, exec, s[16:17]
	v_perm_b32 v59, v59, v58, s25
	v_perm_b32 v58, v56, v57, s25
	v_perm_b32 v57, v62, v61, s25
	v_perm_b32 v56, v46, v60, s25
	s_waitcnt vmcnt(1)
	v_cmp_ne_u16_sdwa s[18:19], v40, v52 src0_sel:BYTE_0 src1_sel:DWORD
	v_mfma_f32_16x16x16bf16_1k v[34:37], v[58:59], v[10:11], v[34:37]
	v_mov_b32_e32 v44, 0
	v_mov_b32_e32 v46, 0
	v_mfma_f32_16x16x16bf16_1k v[34:37], v[56:57], v[12:13], v[34:37]
	s_and_saveexec_b64 s[16:17], s[18:19]
	s_cbranch_execz .LBB942_365
; %bb.360:                              ;   in Loop: Header=BB942_215 Depth=1
	v_cmp_ne_u16_sdwa s[20:21], v40, s9 src0_sel:BYTE_0 src1_sel:DWORD
	v_mov_b32_e32 v46, 0xffff8000
	s_and_saveexec_b64 s[18:19], s[20:21]
	s_cbranch_execz .LBB942_364
; %bb.361:                              ;   in Loop: Header=BB942_215 Depth=1
	v_and_b32_e32 v42, 0x7f, v40
	v_cmp_ne_u32_e32 vcc, s23, v42
	v_mov_b32_e32 v46, 0x7f80
	s_and_saveexec_b64 s[20:21], vcc
	s_cbranch_execz .LBB942_363
; %bb.362:                              ;   in Loop: Header=BB942_215 Depth=1
	v_and_b32_e32 v46, 7, v40
	v_ffbh_u32_e32 v56, v46
	v_min_u32_e32 v59, 32, v56
	v_subrev_u32_e32 v56, 28, v59
	v_lshlrev_b64 v[56:57], v56, v[40:41]
	v_lshrrev_b32_e32 v58, 3, v42
	v_sub_u32_e32 v57, 29, v59
	v_and_b32_e32 v56, 7, v56
	v_cmp_gt_u32_e32 vcc, 8, v42
	v_cndmask_b32_e32 v42, v58, v57, vcc
	v_cndmask_b32_e32 v46, v46, v56, vcc
	v_lshlrev_b32_e32 v56, 24, v40
	v_lshlrev_b32_e32 v46, 20, v46
	v_and_b32_e32 v56, 0x80000000, v56
	v_lshl_add_u32 v42, v42, 23, v55
	v_or3_b32 v42, v56, v42, v46
	v_lshrrev_b32_e32 v46, 16, v42
.LBB942_363:                            ;   in Loop: Header=BB942_215 Depth=1
	s_or_b64 exec, exec, s[20:21]
.LBB942_364:                            ;   in Loop: Header=BB942_215 Depth=1
	s_or_b64 exec, exec, s[18:19]
.LBB942_365:                            ;   in Loop: Header=BB942_215 Depth=1
	s_or_b64 exec, exec, s[16:17]
	v_lshrrev_b16_e32 v42, 8, v40
	v_cmp_ne_u16_e32 vcc, 0, v42
	s_and_saveexec_b64 s[16:17], vcc
	s_cbranch_execz .LBB942_371
; %bb.366:                              ;   in Loop: Header=BB942_215 Depth=1
	v_cmp_ne_u16_e32 vcc, s9, v42
	v_mov_b32_e32 v44, 0xffff8000
	s_and_saveexec_b64 s[18:19], vcc
	s_cbranch_execz .LBB942_370
; %bb.367:                              ;   in Loop: Header=BB942_215 Depth=1
	v_and_b32_e32 v56, 0x7f, v42
	v_cmp_ne_u32_e32 vcc, s23, v56
	v_mov_b32_e32 v44, 0x7f80
	s_and_saveexec_b64 s[20:21], vcc
	s_cbranch_execz .LBB942_369
; %bb.368:                              ;   in Loop: Header=BB942_215 Depth=1
	v_and_b32_e32 v44, 7, v42
	v_ffbh_u32_e32 v58, v44
	v_min_u32_e32 v60, 32, v58
	v_subrev_u32_e32 v58, 28, v60
	v_lshlrev_b64 v[58:59], v58, v[42:43]
	v_lshrrev_b32_e32 v57, 3, v56
	v_sub_u32_e32 v42, 29, v60
	v_and_b32_e32 v58, 7, v58
	v_cmp_gt_u32_e32 vcc, 8, v56
	v_cndmask_b32_e32 v42, v57, v42, vcc
	v_cndmask_b32_e32 v44, v44, v58, vcc
	v_lshlrev_b32_e32 v56, 16, v40
	v_lshlrev_b32_e32 v44, 20, v44
	v_and_b32_e32 v56, 0x80000000, v56
	v_lshl_add_u32 v42, v42, 23, v55
	v_or3_b32 v42, v56, v42, v44
	v_lshrrev_b32_e32 v44, 16, v42
.LBB942_369:                            ;   in Loop: Header=BB942_215 Depth=1
	s_or_b64 exec, exec, s[20:21]
.LBB942_370:                            ;   in Loop: Header=BB942_215 Depth=1
	s_or_b64 exec, exec, s[18:19]
.LBB942_371:                            ;   in Loop: Header=BB942_215 Depth=1
	s_or_b64 exec, exec, s[16:17]
	v_lshrrev_b32_e32 v42, 16, v40
	v_cmp_ne_u16_sdwa s[18:19], v42, v52 src0_sel:BYTE_0 src1_sel:DWORD
	v_mov_b32_e32 v57, 0
	v_mov_b32_e32 v56, 0
	s_and_saveexec_b64 s[16:17], s[18:19]
	s_cbranch_execz .LBB942_377
; %bb.372:                              ;   in Loop: Header=BB942_215 Depth=1
	v_cmp_ne_u16_sdwa s[20:21], v42, s9 src0_sel:BYTE_0 src1_sel:DWORD
	v_mov_b32_e32 v56, 0xffff8000
	s_and_saveexec_b64 s[18:19], s[20:21]
	s_cbranch_execz .LBB942_376
; %bb.373:                              ;   in Loop: Header=BB942_215 Depth=1
	v_bfe_u32 v58, v40, 16, 7
	v_cmp_ne_u32_e32 vcc, s23, v58
	v_mov_b32_e32 v56, 0x7f80
	s_and_saveexec_b64 s[20:21], vcc
	s_cbranch_execz .LBB942_375
; %bb.374:                              ;   in Loop: Header=BB942_215 Depth=1
	v_and_b32_e32 v56, 7, v42
	v_ffbh_u32_e32 v60, v56
	v_min_u32_e32 v62, 32, v60
	v_subrev_u32_e32 v60, 28, v62
	v_lshlrev_b64 v[60:61], v60, v[42:43]
	v_lshrrev_b32_e32 v59, 3, v58
	v_sub_u32_e32 v61, 29, v62
	v_and_b32_e32 v60, 7, v60
	v_cmp_gt_u32_e32 vcc, 8, v58
	v_cndmask_b32_e32 v58, v59, v61, vcc
	v_cndmask_b32_e32 v56, v56, v60, vcc
	v_lshlrev_b32_e32 v42, 24, v42
	v_lshlrev_b32_e32 v56, 20, v56
	v_and_b32_e32 v42, 0x80000000, v42
	v_lshl_add_u32 v58, v58, 23, v55
	v_or3_b32 v42, v42, v58, v56
	v_lshrrev_b32_e32 v56, 16, v42
.LBB942_375:                            ;   in Loop: Header=BB942_215 Depth=1
	s_or_b64 exec, exec, s[20:21]
.LBB942_376:                            ;   in Loop: Header=BB942_215 Depth=1
	s_or_b64 exec, exec, s[18:19]
.LBB942_377:                            ;   in Loop: Header=BB942_215 Depth=1
	s_or_b64 exec, exec, s[16:17]
	v_cmp_lt_u32_e32 vcc, s24, v40
	s_and_saveexec_b64 s[16:17], vcc
	s_cbranch_execz .LBB942_383
; %bb.378:                              ;   in Loop: Header=BB942_215 Depth=1
	v_lshrrev_b32_e32 v42, 24, v40
	v_cmp_ne_u32_e32 vcc, s9, v42
	v_mov_b32_e32 v57, 0xffff8000
	s_and_saveexec_b64 s[18:19], vcc
	s_cbranch_execz .LBB942_382
; %bb.379:                              ;   in Loop: Header=BB942_215 Depth=1
	v_bfe_u32 v40, v40, 24, 7
	v_cmp_ne_u32_e32 vcc, s23, v40
	v_mov_b32_e32 v57, 0x7f80
	s_and_saveexec_b64 s[20:21], vcc
	s_cbranch_execz .LBB942_381
; %bb.380:                              ;   in Loop: Header=BB942_215 Depth=1
	v_and_b32_e32 v57, 7, v42
	v_ffbh_u32_e32 v58, v57
	v_min_u32_e32 v61, 32, v58
	v_subrev_u32_e32 v58, 28, v61
	v_lshlrev_b64 v[58:59], v58, v[42:43]
	v_lshrrev_b32_e32 v60, 3, v40
	v_sub_u32_e32 v59, 29, v61
	v_and_b32_e32 v58, 7, v58
	v_cmp_gt_u32_e32 vcc, 8, v40
	v_cndmask_b32_e32 v40, v60, v59, vcc
	v_cndmask_b32_e32 v57, v57, v58, vcc
	v_lshlrev_b32_e32 v42, 24, v42
	v_lshlrev_b32_e32 v57, 20, v57
	v_and_b32_e32 v42, 0x80000000, v42
	v_lshl_add_u32 v40, v40, 23, v55
	v_or3_b32 v40, v42, v40, v57
	v_lshrrev_b32_e32 v57, 16, v40
.LBB942_381:                            ;   in Loop: Header=BB942_215 Depth=1
	s_or_b64 exec, exec, s[20:21]
.LBB942_382:                            ;   in Loop: Header=BB942_215 Depth=1
	s_or_b64 exec, exec, s[18:19]
.LBB942_383:                            ;   in Loop: Header=BB942_215 Depth=1
	s_or_b64 exec, exec, s[16:17]
	s_waitcnt vmcnt(0)
	v_cmp_ne_u16_sdwa s[18:19], v38, v52 src0_sel:BYTE_0 src1_sel:DWORD
	v_mov_b32_e32 v58, 0
	v_mov_b32_e32 v59, 0
	s_and_saveexec_b64 s[16:17], s[18:19]
	s_cbranch_execz .LBB942_389
; %bb.384:                              ;   in Loop: Header=BB942_215 Depth=1
	v_cmp_ne_u16_sdwa s[20:21], v38, s9 src0_sel:BYTE_0 src1_sel:DWORD
	v_mov_b32_e32 v59, 0xffff8000
	s_and_saveexec_b64 s[18:19], s[20:21]
	s_cbranch_execz .LBB942_388
; %bb.385:                              ;   in Loop: Header=BB942_215 Depth=1
	v_and_b32_e32 v40, 0x7f, v38
	v_cmp_ne_u32_e32 vcc, s23, v40
	v_mov_b32_e32 v59, 0x7f80
	s_and_saveexec_b64 s[20:21], vcc
	s_cbranch_execz .LBB942_387
; %bb.386:                              ;   in Loop: Header=BB942_215 Depth=1
	v_and_b32_e32 v42, 7, v38
	v_ffbh_u32_e32 v60, v42
	v_min_u32_e32 v62, 32, v60
	v_subrev_u32_e32 v60, 28, v62
	v_lshlrev_b64 v[60:61], v60, v[38:39]
	v_lshrrev_b32_e32 v59, 3, v40
	v_sub_u32_e32 v61, 29, v62
	v_and_b32_e32 v60, 7, v60
	v_cmp_gt_u32_e32 vcc, 8, v40
	v_cndmask_b32_e32 v40, v59, v61, vcc
	v_cndmask_b32_e32 v42, v42, v60, vcc
	v_lshlrev_b32_e32 v59, 24, v38
	v_lshlrev_b32_e32 v42, 20, v42
	v_and_b32_e32 v59, 0x80000000, v59
	v_lshl_add_u32 v40, v40, 23, v55
	v_or3_b32 v40, v59, v40, v42
	v_lshrrev_b32_e32 v59, 16, v40
.LBB942_387:                            ;   in Loop: Header=BB942_215 Depth=1
	s_or_b64 exec, exec, s[20:21]
.LBB942_388:                            ;   in Loop: Header=BB942_215 Depth=1
	s_or_b64 exec, exec, s[18:19]
.LBB942_389:                            ;   in Loop: Header=BB942_215 Depth=1
	s_or_b64 exec, exec, s[16:17]
	v_lshrrev_b16_e32 v40, 8, v38
	v_cmp_ne_u16_e32 vcc, 0, v40
	s_and_saveexec_b64 s[16:17], vcc
	s_cbranch_execz .LBB942_395
; %bb.390:                              ;   in Loop: Header=BB942_215 Depth=1
	v_cmp_ne_u16_e32 vcc, s9, v40
	v_mov_b32_e32 v58, 0xffff8000
	s_and_saveexec_b64 s[18:19], vcc
	s_cbranch_execz .LBB942_394
; %bb.391:                              ;   in Loop: Header=BB942_215 Depth=1
	v_and_b32_e32 v42, 0x7f, v40
	v_cmp_ne_u32_e32 vcc, s23, v42
	v_mov_b32_e32 v58, 0x7f80
	s_and_saveexec_b64 s[20:21], vcc
	s_cbranch_execz .LBB942_393
; %bb.392:                              ;   in Loop: Header=BB942_215 Depth=1
	v_and_b32_e32 v58, 7, v40
	v_ffbh_u32_e32 v60, v58
	v_min_u32_e32 v63, 32, v60
	v_subrev_u32_e32 v60, 28, v63
	v_lshlrev_b64 v[60:61], v60, v[40:41]
	v_lshrrev_b32_e32 v62, 3, v42
	v_sub_u32_e32 v40, 29, v63
	v_and_b32_e32 v60, 7, v60
	v_cmp_gt_u32_e32 vcc, 8, v42
	v_cndmask_b32_e32 v40, v62, v40, vcc
	v_cndmask_b32_e32 v42, v58, v60, vcc
	v_lshlrev_b32_e32 v58, 16, v38
	v_lshlrev_b32_e32 v42, 20, v42
	v_and_b32_e32 v58, 0x80000000, v58
	v_lshl_add_u32 v40, v40, 23, v55
	v_or3_b32 v40, v58, v40, v42
	v_lshrrev_b32_e32 v58, 16, v40
.LBB942_393:                            ;   in Loop: Header=BB942_215 Depth=1
	s_or_b64 exec, exec, s[20:21]
.LBB942_394:                            ;   in Loop: Header=BB942_215 Depth=1
	s_or_b64 exec, exec, s[18:19]
.LBB942_395:                            ;   in Loop: Header=BB942_215 Depth=1
	s_or_b64 exec, exec, s[16:17]
	v_lshrrev_b32_e32 v40, 16, v38
	v_cmp_ne_u16_sdwa s[18:19], v40, v52 src0_sel:BYTE_0 src1_sel:DWORD
	v_mov_b32_e32 v61, 0
	v_mov_b32_e32 v60, 0
	s_and_saveexec_b64 s[16:17], s[18:19]
	s_cbranch_execz .LBB942_401
; %bb.396:                              ;   in Loop: Header=BB942_215 Depth=1
	v_cmp_ne_u16_sdwa s[20:21], v40, s9 src0_sel:BYTE_0 src1_sel:DWORD
	v_mov_b32_e32 v60, 0xffff8000
	s_and_saveexec_b64 s[18:19], s[20:21]
	s_cbranch_execz .LBB942_400
; %bb.397:                              ;   in Loop: Header=BB942_215 Depth=1
	v_bfe_u32 v42, v38, 16, 7
	v_cmp_ne_u32_e32 vcc, s23, v42
	v_mov_b32_e32 v60, 0x7f80
	s_and_saveexec_b64 s[20:21], vcc
	s_cbranch_execz .LBB942_399
; %bb.398:                              ;   in Loop: Header=BB942_215 Depth=1
	v_and_b32_e32 v60, 7, v40
	v_ffbh_u32_e32 v62, v60
	v_min_u32_e32 v65, 32, v62
	v_subrev_u32_e32 v62, 28, v65
	v_lshlrev_b64 v[62:63], v62, v[40:41]
	v_lshrrev_b32_e32 v64, 3, v42
	v_sub_u32_e32 v63, 29, v65
	v_and_b32_e32 v62, 7, v62
	v_cmp_gt_u32_e32 vcc, 8, v42
	v_cndmask_b32_e32 v42, v64, v63, vcc
	v_cndmask_b32_e32 v60, v60, v62, vcc
	v_lshlrev_b32_e32 v40, 24, v40
	v_lshlrev_b32_e32 v60, 20, v60
	v_and_b32_e32 v40, 0x80000000, v40
	v_lshl_add_u32 v42, v42, 23, v55
	v_or3_b32 v40, v40, v42, v60
	v_lshrrev_b32_e32 v60, 16, v40
.LBB942_399:                            ;   in Loop: Header=BB942_215 Depth=1
	s_or_b64 exec, exec, s[20:21]
.LBB942_400:                            ;   in Loop: Header=BB942_215 Depth=1
	s_or_b64 exec, exec, s[18:19]
.LBB942_401:                            ;   in Loop: Header=BB942_215 Depth=1
	s_or_b64 exec, exec, s[16:17]
	v_cmp_lt_u32_e32 vcc, s24, v38
	s_and_saveexec_b64 s[16:17], vcc
	s_cbranch_execz .LBB942_407
; %bb.402:                              ;   in Loop: Header=BB942_215 Depth=1
	v_lshrrev_b32_e32 v40, 24, v38
	v_cmp_ne_u32_e32 vcc, s9, v40
	v_mov_b32_e32 v61, 0xffff8000
	s_and_saveexec_b64 s[18:19], vcc
	s_cbranch_execz .LBB942_406
; %bb.403:                              ;   in Loop: Header=BB942_215 Depth=1
	v_bfe_u32 v38, v38, 24, 7
	v_cmp_ne_u32_e32 vcc, s23, v38
	v_mov_b32_e32 v61, 0x7f80
	s_and_saveexec_b64 s[20:21], vcc
	s_cbranch_execz .LBB942_405
; %bb.404:                              ;   in Loop: Header=BB942_215 Depth=1
	v_and_b32_e32 v42, 7, v40
	v_ffbh_u32_e32 v62, v42
	v_min_u32_e32 v64, 32, v62
	v_subrev_u32_e32 v62, 28, v64
	v_lshlrev_b64 v[62:63], v62, v[40:41]
	v_lshrrev_b32_e32 v61, 3, v38
	v_sub_u32_e32 v63, 29, v64
	v_and_b32_e32 v62, 7, v62
	v_cmp_gt_u32_e32 vcc, 8, v38
	v_cndmask_b32_e32 v38, v61, v63, vcc
	v_cndmask_b32_e32 v42, v42, v62, vcc
	v_lshlrev_b32_e32 v40, 24, v40
	v_lshlrev_b32_e32 v42, 20, v42
	v_and_b32_e32 v40, 0x80000000, v40
	v_lshl_add_u32 v38, v38, 23, v55
	v_or3_b32 v38, v40, v38, v42
	v_lshrrev_b32_e32 v61, 16, v38
.LBB942_405:                            ;   in Loop: Header=BB942_215 Depth=1
	s_or_b64 exec, exec, s[20:21]
.LBB942_406:                            ;   in Loop: Header=BB942_215 Depth=1
	s_or_b64 exec, exec, s[18:19]
.LBB942_407:                            ;   in Loop: Header=BB942_215 Depth=1
	s_or_b64 exec, exec, s[16:17]
	v_perm_b32 v57, v57, v56, s25
	v_perm_b32 v56, v44, v46, s25
	buffer_load_dword v44, v51, s[0:3], 0 offen
	buffer_load_dword v42, v51, s[0:3], 0 offen offset:4
	buffer_load_dword v40, v51, s[0:3], 0 offen offset:8
	;; [unrolled: 1-line block ×3, first 2 shown]
	v_mov_b32_e32 v51, 0
	v_mfma_f32_16x16x16bf16_1k v[34:37], v[56:57], v[14:15], v[34:37]
	v_perm_b32 v57, v61, v60, s25
	v_perm_b32 v56, v58, v59, s25
	s_waitcnt vmcnt(3)
	v_cmp_ne_u16_sdwa s[18:19], v44, v52 src0_sel:BYTE_0 src1_sel:DWORD
	v_mfma_f32_16x16x16bf16_1k v[34:37], v[56:57], v[16:17], v[34:37]
	v_mov_b32_e32 v56, 0
	s_and_saveexec_b64 s[16:17], s[18:19]
	s_cbranch_execz .LBB942_413
; %bb.408:                              ;   in Loop: Header=BB942_215 Depth=1
	v_cmp_ne_u16_sdwa s[20:21], v44, s9 src0_sel:BYTE_0 src1_sel:DWORD
	v_mov_b32_e32 v56, 0xffff8000
	s_and_saveexec_b64 s[18:19], s[20:21]
	s_cbranch_execz .LBB942_412
; %bb.409:                              ;   in Loop: Header=BB942_215 Depth=1
	v_and_b32_e32 v46, 0x7f, v44
	v_cmp_ne_u32_e32 vcc, s23, v46
	v_mov_b32_e32 v56, 0x7f80
	s_and_saveexec_b64 s[20:21], vcc
	s_cbranch_execz .LBB942_411
; %bb.410:                              ;   in Loop: Header=BB942_215 Depth=1
	v_and_b32_e32 v58, 7, v44
	v_ffbh_u32_e32 v56, v58
	v_min_u32_e32 v60, 32, v56
	v_subrev_u32_e32 v56, 28, v60
	v_lshlrev_b64 v[56:57], v56, v[44:45]
	v_lshrrev_b32_e32 v59, 3, v46
	v_sub_u32_e32 v57, 29, v60
	v_and_b32_e32 v56, 7, v56
	v_cmp_gt_u32_e32 vcc, 8, v46
	v_cndmask_b32_e32 v46, v59, v57, vcc
	v_cndmask_b32_e32 v56, v58, v56, vcc
	v_lshlrev_b32_e32 v57, 24, v44
	v_lshlrev_b32_e32 v56, 20, v56
	v_and_b32_e32 v57, 0x80000000, v57
	v_lshl_add_u32 v46, v46, 23, v55
	v_or3_b32 v46, v57, v46, v56
	v_lshrrev_b32_e32 v56, 16, v46
.LBB942_411:                            ;   in Loop: Header=BB942_215 Depth=1
	s_or_b64 exec, exec, s[20:21]
.LBB942_412:                            ;   in Loop: Header=BB942_215 Depth=1
	s_or_b64 exec, exec, s[18:19]
.LBB942_413:                            ;   in Loop: Header=BB942_215 Depth=1
	s_or_b64 exec, exec, s[16:17]
	v_lshrrev_b16_e32 v46, 8, v44
	v_cmp_ne_u16_e32 vcc, 0, v46
	s_and_saveexec_b64 s[16:17], vcc
	s_cbranch_execz .LBB942_419
; %bb.414:                              ;   in Loop: Header=BB942_215 Depth=1
	v_cmp_ne_u16_e32 vcc, s9, v46
	v_mov_b32_e32 v51, 0xffff8000
	s_and_saveexec_b64 s[18:19], vcc
	s_cbranch_execz .LBB942_418
; %bb.415:                              ;   in Loop: Header=BB942_215 Depth=1
	v_and_b32_e32 v57, 0x7f, v46
	v_cmp_ne_u32_e32 vcc, s23, v57
	v_mov_b32_e32 v51, 0x7f80
	s_and_saveexec_b64 s[20:21], vcc
	s_cbranch_execz .LBB942_417
; %bb.416:                              ;   in Loop: Header=BB942_215 Depth=1
	v_and_b32_e32 v51, 7, v46
	v_ffbh_u32_e32 v58, v51
	v_min_u32_e32 v61, 32, v58
	v_subrev_u32_e32 v58, 28, v61
	v_lshlrev_b64 v[58:59], v58, v[46:47]
	v_lshrrev_b32_e32 v60, 3, v57
	v_sub_u32_e32 v46, 29, v61
	v_and_b32_e32 v58, 7, v58
	v_cmp_gt_u32_e32 vcc, 8, v57
	v_cndmask_b32_e32 v46, v60, v46, vcc
	v_cndmask_b32_e32 v51, v51, v58, vcc
	v_lshlrev_b32_e32 v57, 16, v44
	v_lshlrev_b32_e32 v51, 20, v51
	v_and_b32_e32 v57, 0x80000000, v57
	v_lshl_add_u32 v46, v46, 23, v55
	v_or3_b32 v46, v57, v46, v51
	v_lshrrev_b32_e32 v51, 16, v46
.LBB942_417:                            ;   in Loop: Header=BB942_215 Depth=1
	s_or_b64 exec, exec, s[20:21]
.LBB942_418:                            ;   in Loop: Header=BB942_215 Depth=1
	s_or_b64 exec, exec, s[18:19]
.LBB942_419:                            ;   in Loop: Header=BB942_215 Depth=1
	s_or_b64 exec, exec, s[16:17]
	v_lshrrev_b32_e32 v46, 16, v44
	v_cmp_ne_u16_sdwa s[18:19], v46, v52 src0_sel:BYTE_0 src1_sel:DWORD
	v_mov_b32_e32 v58, 0
	v_mov_b32_e32 v57, 0
	s_and_saveexec_b64 s[16:17], s[18:19]
	s_cbranch_execz .LBB942_425
; %bb.420:                              ;   in Loop: Header=BB942_215 Depth=1
	v_cmp_ne_u16_sdwa s[20:21], v46, s9 src0_sel:BYTE_0 src1_sel:DWORD
	v_mov_b32_e32 v57, 0xffff8000
	s_and_saveexec_b64 s[18:19], s[20:21]
	s_cbranch_execz .LBB942_424
; %bb.421:                              ;   in Loop: Header=BB942_215 Depth=1
	v_bfe_u32 v59, v44, 16, 7
	v_cmp_ne_u32_e32 vcc, s23, v59
	v_mov_b32_e32 v57, 0x7f80
	s_and_saveexec_b64 s[20:21], vcc
	s_cbranch_execz .LBB942_423
; %bb.422:                              ;   in Loop: Header=BB942_215 Depth=1
	v_and_b32_e32 v57, 7, v46
	v_ffbh_u32_e32 v60, v57
	v_min_u32_e32 v63, 32, v60
	v_subrev_u32_e32 v60, 28, v63
	v_lshlrev_b64 v[60:61], v60, v[46:47]
	v_lshrrev_b32_e32 v62, 3, v59
	v_sub_u32_e32 v61, 29, v63
	v_and_b32_e32 v60, 7, v60
	v_cmp_gt_u32_e32 vcc, 8, v59
	v_cndmask_b32_e32 v59, v62, v61, vcc
	v_cndmask_b32_e32 v57, v57, v60, vcc
	v_lshlrev_b32_e32 v46, 24, v46
	v_lshlrev_b32_e32 v57, 20, v57
	v_and_b32_e32 v46, 0x80000000, v46
	v_lshl_add_u32 v59, v59, 23, v55
	v_or3_b32 v46, v46, v59, v57
	v_lshrrev_b32_e32 v57, 16, v46
.LBB942_423:                            ;   in Loop: Header=BB942_215 Depth=1
	s_or_b64 exec, exec, s[20:21]
.LBB942_424:                            ;   in Loop: Header=BB942_215 Depth=1
	s_or_b64 exec, exec, s[18:19]
.LBB942_425:                            ;   in Loop: Header=BB942_215 Depth=1
	s_or_b64 exec, exec, s[16:17]
	v_cmp_lt_u32_e32 vcc, s24, v44
	s_and_saveexec_b64 s[16:17], vcc
	s_cbranch_execz .LBB942_431
; %bb.426:                              ;   in Loop: Header=BB942_215 Depth=1
	v_lshrrev_b32_e32 v46, 24, v44
	v_cmp_ne_u32_e32 vcc, s9, v46
	v_mov_b32_e32 v58, 0xffff8000
	s_and_saveexec_b64 s[18:19], vcc
	s_cbranch_execz .LBB942_430
; %bb.427:                              ;   in Loop: Header=BB942_215 Depth=1
	v_bfe_u32 v44, v44, 24, 7
	v_cmp_ne_u32_e32 vcc, s23, v44
	v_mov_b32_e32 v58, 0x7f80
	s_and_saveexec_b64 s[20:21], vcc
	s_cbranch_execz .LBB942_429
; %bb.428:                              ;   in Loop: Header=BB942_215 Depth=1
	v_and_b32_e32 v60, 7, v46
	v_ffbh_u32_e32 v58, v60
	v_min_u32_e32 v62, 32, v58
	v_subrev_u32_e32 v58, 28, v62
	v_lshlrev_b64 v[58:59], v58, v[46:47]
	v_lshrrev_b32_e32 v61, 3, v44
	v_sub_u32_e32 v59, 29, v62
	v_and_b32_e32 v58, 7, v58
	v_cmp_gt_u32_e32 vcc, 8, v44
	v_cndmask_b32_e32 v44, v61, v59, vcc
	v_cndmask_b32_e32 v58, v60, v58, vcc
	v_lshlrev_b32_e32 v46, 24, v46
	v_lshlrev_b32_e32 v58, 20, v58
	v_and_b32_e32 v46, 0x80000000, v46
	v_lshl_add_u32 v44, v44, 23, v55
	v_or3_b32 v44, v46, v44, v58
	v_lshrrev_b32_e32 v58, 16, v44
.LBB942_429:                            ;   in Loop: Header=BB942_215 Depth=1
	s_or_b64 exec, exec, s[20:21]
.LBB942_430:                            ;   in Loop: Header=BB942_215 Depth=1
	s_or_b64 exec, exec, s[18:19]
.LBB942_431:                            ;   in Loop: Header=BB942_215 Depth=1
	s_or_b64 exec, exec, s[16:17]
	s_waitcnt vmcnt(2)
	v_cmp_ne_u16_sdwa s[18:19], v42, v52 src0_sel:BYTE_0 src1_sel:DWORD
	v_mov_b32_e32 v46, 0
	v_mov_b32_e32 v59, 0
	s_and_saveexec_b64 s[16:17], s[18:19]
	s_cbranch_execz .LBB942_437
; %bb.432:                              ;   in Loop: Header=BB942_215 Depth=1
	v_cmp_ne_u16_sdwa s[20:21], v42, s9 src0_sel:BYTE_0 src1_sel:DWORD
	v_mov_b32_e32 v59, 0xffff8000
	s_and_saveexec_b64 s[18:19], s[20:21]
	s_cbranch_execz .LBB942_436
; %bb.433:                              ;   in Loop: Header=BB942_215 Depth=1
	v_and_b32_e32 v44, 0x7f, v42
	v_cmp_ne_u32_e32 vcc, s23, v44
	v_mov_b32_e32 v59, 0x7f80
	s_and_saveexec_b64 s[20:21], vcc
	s_cbranch_execz .LBB942_435
; %bb.434:                              ;   in Loop: Header=BB942_215 Depth=1
	v_and_b32_e32 v59, 7, v42
	v_ffbh_u32_e32 v60, v59
	v_min_u32_e32 v63, 32, v60
	v_subrev_u32_e32 v60, 28, v63
	v_lshlrev_b64 v[60:61], v60, v[42:43]
	v_lshrrev_b32_e32 v62, 3, v44
	v_sub_u32_e32 v61, 29, v63
	v_and_b32_e32 v60, 7, v60
	v_cmp_gt_u32_e32 vcc, 8, v44
	v_cndmask_b32_e32 v44, v62, v61, vcc
	v_cndmask_b32_e32 v59, v59, v60, vcc
	v_lshlrev_b32_e32 v60, 24, v42
	v_lshlrev_b32_e32 v59, 20, v59
	v_and_b32_e32 v60, 0x80000000, v60
	v_lshl_add_u32 v44, v44, 23, v55
	v_or3_b32 v44, v60, v44, v59
	v_lshrrev_b32_e32 v59, 16, v44
.LBB942_435:                            ;   in Loop: Header=BB942_215 Depth=1
	s_or_b64 exec, exec, s[20:21]
.LBB942_436:                            ;   in Loop: Header=BB942_215 Depth=1
	s_or_b64 exec, exec, s[18:19]
.LBB942_437:                            ;   in Loop: Header=BB942_215 Depth=1
	s_or_b64 exec, exec, s[16:17]
	v_lshrrev_b16_e32 v44, 8, v42
	v_cmp_ne_u16_e32 vcc, 0, v44
	s_and_saveexec_b64 s[16:17], vcc
	s_cbranch_execz .LBB942_443
; %bb.438:                              ;   in Loop: Header=BB942_215 Depth=1
	v_cmp_ne_u16_e32 vcc, s9, v44
	v_mov_b32_e32 v46, 0xffff8000
	s_and_saveexec_b64 s[18:19], vcc
	s_cbranch_execz .LBB942_442
; %bb.439:                              ;   in Loop: Header=BB942_215 Depth=1
	v_and_b32_e32 v60, 0x7f, v44
	v_cmp_ne_u32_e32 vcc, s23, v60
	v_mov_b32_e32 v46, 0x7f80
	s_and_saveexec_b64 s[20:21], vcc
	s_cbranch_execz .LBB942_441
; %bb.440:                              ;   in Loop: Header=BB942_215 Depth=1
	v_and_b32_e32 v46, 7, v44
	v_ffbh_u32_e32 v62, v46
	v_min_u32_e32 v64, 32, v62
	v_subrev_u32_e32 v62, 28, v64
	v_lshlrev_b64 v[62:63], v62, v[44:45]
	v_lshrrev_b32_e32 v61, 3, v60
	v_sub_u32_e32 v44, 29, v64
	v_and_b32_e32 v62, 7, v62
	v_cmp_gt_u32_e32 vcc, 8, v60
	v_cndmask_b32_e32 v44, v61, v44, vcc
	v_cndmask_b32_e32 v46, v46, v62, vcc
	v_lshlrev_b32_e32 v60, 16, v42
	v_lshlrev_b32_e32 v46, 20, v46
	v_and_b32_e32 v60, 0x80000000, v60
	v_lshl_add_u32 v44, v44, 23, v55
	v_or3_b32 v44, v60, v44, v46
	v_lshrrev_b32_e32 v46, 16, v44
.LBB942_441:                            ;   in Loop: Header=BB942_215 Depth=1
	s_or_b64 exec, exec, s[20:21]
.LBB942_442:                            ;   in Loop: Header=BB942_215 Depth=1
	s_or_b64 exec, exec, s[18:19]
.LBB942_443:                            ;   in Loop: Header=BB942_215 Depth=1
	s_or_b64 exec, exec, s[16:17]
	v_lshrrev_b32_e32 v44, 16, v42
	v_cmp_ne_u16_sdwa s[18:19], v44, v52 src0_sel:BYTE_0 src1_sel:DWORD
	v_mov_b32_e32 v61, 0
	v_mov_b32_e32 v60, 0
	s_and_saveexec_b64 s[16:17], s[18:19]
	s_cbranch_execz .LBB942_449
; %bb.444:                              ;   in Loop: Header=BB942_215 Depth=1
	v_cmp_ne_u16_sdwa s[20:21], v44, s9 src0_sel:BYTE_0 src1_sel:DWORD
	v_mov_b32_e32 v60, 0xffff8000
	s_and_saveexec_b64 s[18:19], s[20:21]
	s_cbranch_execz .LBB942_448
; %bb.445:                              ;   in Loop: Header=BB942_215 Depth=1
	v_bfe_u32 v62, v42, 16, 7
	v_cmp_ne_u32_e32 vcc, s23, v62
	v_mov_b32_e32 v60, 0x7f80
	s_and_saveexec_b64 s[20:21], vcc
	s_cbranch_execz .LBB942_447
; %bb.446:                              ;   in Loop: Header=BB942_215 Depth=1
	v_and_b32_e32 v60, 7, v44
	v_ffbh_u32_e32 v64, v60
	v_min_u32_e32 v66, 32, v64
	v_subrev_u32_e32 v64, 28, v66
	v_lshlrev_b64 v[64:65], v64, v[44:45]
	v_lshrrev_b32_e32 v63, 3, v62
	v_sub_u32_e32 v65, 29, v66
	v_and_b32_e32 v64, 7, v64
	v_cmp_gt_u32_e32 vcc, 8, v62
	v_cndmask_b32_e32 v62, v63, v65, vcc
	v_cndmask_b32_e32 v60, v60, v64, vcc
	v_lshlrev_b32_e32 v44, 24, v44
	v_lshlrev_b32_e32 v60, 20, v60
	v_and_b32_e32 v44, 0x80000000, v44
	v_lshl_add_u32 v62, v62, 23, v55
	v_or3_b32 v44, v44, v62, v60
	v_lshrrev_b32_e32 v60, 16, v44
.LBB942_447:                            ;   in Loop: Header=BB942_215 Depth=1
	s_or_b64 exec, exec, s[20:21]
.LBB942_448:                            ;   in Loop: Header=BB942_215 Depth=1
	s_or_b64 exec, exec, s[18:19]
.LBB942_449:                            ;   in Loop: Header=BB942_215 Depth=1
	s_or_b64 exec, exec, s[16:17]
	v_cmp_lt_u32_e32 vcc, s24, v42
	s_and_saveexec_b64 s[16:17], vcc
	s_cbranch_execz .LBB942_455
; %bb.450:                              ;   in Loop: Header=BB942_215 Depth=1
	v_lshrrev_b32_e32 v44, 24, v42
	v_cmp_ne_u32_e32 vcc, s9, v44
	v_mov_b32_e32 v61, 0xffff8000
	s_and_saveexec_b64 s[18:19], vcc
	s_cbranch_execz .LBB942_454
; %bb.451:                              ;   in Loop: Header=BB942_215 Depth=1
	v_bfe_u32 v42, v42, 24, 7
	v_cmp_ne_u32_e32 vcc, s23, v42
	v_mov_b32_e32 v61, 0x7f80
	s_and_saveexec_b64 s[20:21], vcc
	s_cbranch_execz .LBB942_453
; %bb.452:                              ;   in Loop: Header=BB942_215 Depth=1
	v_and_b32_e32 v61, 7, v44
	v_ffbh_u32_e32 v62, v61
	v_min_u32_e32 v65, 32, v62
	v_subrev_u32_e32 v62, 28, v65
	v_lshlrev_b64 v[62:63], v62, v[44:45]
	v_lshrrev_b32_e32 v64, 3, v42
	v_sub_u32_e32 v63, 29, v65
	v_and_b32_e32 v62, 7, v62
	v_cmp_gt_u32_e32 vcc, 8, v42
	v_cndmask_b32_e32 v42, v64, v63, vcc
	v_cndmask_b32_e32 v61, v61, v62, vcc
	v_lshlrev_b32_e32 v44, 24, v44
	v_lshlrev_b32_e32 v61, 20, v61
	v_and_b32_e32 v44, 0x80000000, v44
	v_lshl_add_u32 v42, v42, 23, v55
	v_or3_b32 v42, v44, v42, v61
	v_lshrrev_b32_e32 v61, 16, v42
.LBB942_453:                            ;   in Loop: Header=BB942_215 Depth=1
	s_or_b64 exec, exec, s[20:21]
.LBB942_454:                            ;   in Loop: Header=BB942_215 Depth=1
	s_or_b64 exec, exec, s[18:19]
.LBB942_455:                            ;   in Loop: Header=BB942_215 Depth=1
	s_or_b64 exec, exec, s[16:17]
	v_perm_b32 v57, v58, v57, s25
	v_perm_b32 v56, v51, v56, s25
	s_waitcnt vmcnt(1)
	v_cmp_ne_u16_sdwa s[18:19], v40, v52 src0_sel:BYTE_0 src1_sel:DWORD
	v_mov_b32_e32 v44, 0
	v_mfma_f32_16x16x16bf16_1k v[34:37], v[56:57], v[18:19], v[34:37]
	v_perm_b32 v57, v61, v60, s25
	v_perm_b32 v56, v46, v59, s25
	v_mov_b32_e32 v46, 0
	s_nop 0
	v_mfma_f32_16x16x16bf16_1k v[34:37], v[56:57], v[20:21], v[34:37]
	s_and_saveexec_b64 s[16:17], s[18:19]
	s_cbranch_execz .LBB942_461
; %bb.456:                              ;   in Loop: Header=BB942_215 Depth=1
	v_cmp_ne_u16_sdwa s[20:21], v40, s9 src0_sel:BYTE_0 src1_sel:DWORD
	v_mov_b32_e32 v46, 0xffff8000
	s_and_saveexec_b64 s[18:19], s[20:21]
	s_cbranch_execz .LBB942_460
; %bb.457:                              ;   in Loop: Header=BB942_215 Depth=1
	v_and_b32_e32 v42, 0x7f, v40
	v_cmp_ne_u32_e32 vcc, s23, v42
	v_mov_b32_e32 v46, 0x7f80
	s_and_saveexec_b64 s[20:21], vcc
	s_cbranch_execz .LBB942_459
; %bb.458:                              ;   in Loop: Header=BB942_215 Depth=1
	v_and_b32_e32 v46, 7, v40
	v_ffbh_u32_e32 v56, v46
	v_min_u32_e32 v58, 32, v56
	v_subrev_u32_e32 v56, 28, v58
	v_lshlrev_b64 v[56:57], v56, v[40:41]
	v_lshrrev_b32_e32 v51, 3, v42
	v_sub_u32_e32 v57, 29, v58
	v_and_b32_e32 v56, 7, v56
	v_cmp_gt_u32_e32 vcc, 8, v42
	v_cndmask_b32_e32 v42, v51, v57, vcc
	v_cndmask_b32_e32 v46, v46, v56, vcc
	v_lshlrev_b32_e32 v51, 24, v40
	v_lshlrev_b32_e32 v46, 20, v46
	v_and_b32_e32 v51, 0x80000000, v51
	v_lshl_add_u32 v42, v42, 23, v55
	v_or3_b32 v42, v51, v42, v46
	v_lshrrev_b32_e32 v46, 16, v42
.LBB942_459:                            ;   in Loop: Header=BB942_215 Depth=1
	s_or_b64 exec, exec, s[20:21]
.LBB942_460:                            ;   in Loop: Header=BB942_215 Depth=1
	s_or_b64 exec, exec, s[18:19]
.LBB942_461:                            ;   in Loop: Header=BB942_215 Depth=1
	s_or_b64 exec, exec, s[16:17]
	v_lshrrev_b16_e32 v42, 8, v40
	v_cmp_ne_u16_e32 vcc, 0, v42
	s_and_saveexec_b64 s[16:17], vcc
	s_cbranch_execz .LBB942_467
; %bb.462:                              ;   in Loop: Header=BB942_215 Depth=1
	v_cmp_ne_u16_e32 vcc, s9, v42
	v_mov_b32_e32 v44, 0xffff8000
	s_and_saveexec_b64 s[18:19], vcc
	s_cbranch_execz .LBB942_466
; %bb.463:                              ;   in Loop: Header=BB942_215 Depth=1
	v_and_b32_e32 v51, 0x7f, v42
	v_cmp_ne_u32_e32 vcc, s23, v51
	v_mov_b32_e32 v44, 0x7f80
	s_and_saveexec_b64 s[20:21], vcc
	s_cbranch_execz .LBB942_465
; %bb.464:                              ;   in Loop: Header=BB942_215 Depth=1
	v_and_b32_e32 v44, 7, v42
	v_ffbh_u32_e32 v56, v44
	v_min_u32_e32 v59, 32, v56
	v_subrev_u32_e32 v56, 28, v59
	v_lshlrev_b64 v[56:57], v56, v[42:43]
	v_lshrrev_b32_e32 v58, 3, v51
	v_sub_u32_e32 v42, 29, v59
	v_and_b32_e32 v56, 7, v56
	v_cmp_gt_u32_e32 vcc, 8, v51
	v_cndmask_b32_e32 v42, v58, v42, vcc
	v_cndmask_b32_e32 v44, v44, v56, vcc
	v_lshlrev_b32_e32 v51, 16, v40
	v_lshlrev_b32_e32 v44, 20, v44
	v_and_b32_e32 v51, 0x80000000, v51
	v_lshl_add_u32 v42, v42, 23, v55
	v_or3_b32 v42, v51, v42, v44
	v_lshrrev_b32_e32 v44, 16, v42
.LBB942_465:                            ;   in Loop: Header=BB942_215 Depth=1
	s_or_b64 exec, exec, s[20:21]
.LBB942_466:                            ;   in Loop: Header=BB942_215 Depth=1
	s_or_b64 exec, exec, s[18:19]
.LBB942_467:                            ;   in Loop: Header=BB942_215 Depth=1
	s_or_b64 exec, exec, s[16:17]
	v_lshrrev_b32_e32 v42, 16, v40
	v_cmp_ne_u16_sdwa s[18:19], v42, v52 src0_sel:BYTE_0 src1_sel:DWORD
	v_mov_b32_e32 v56, 0
	v_mov_b32_e32 v51, 0
	s_and_saveexec_b64 s[16:17], s[18:19]
	s_cbranch_execz .LBB942_473
; %bb.468:                              ;   in Loop: Header=BB942_215 Depth=1
	v_cmp_ne_u16_sdwa s[20:21], v42, s9 src0_sel:BYTE_0 src1_sel:DWORD
	v_mov_b32_e32 v51, 0xffff8000
	s_and_saveexec_b64 s[18:19], s[20:21]
	s_cbranch_execz .LBB942_472
; %bb.469:                              ;   in Loop: Header=BB942_215 Depth=1
	v_bfe_u32 v57, v40, 16, 7
	v_cmp_ne_u32_e32 vcc, s23, v57
	v_mov_b32_e32 v51, 0x7f80
	s_and_saveexec_b64 s[20:21], vcc
	s_cbranch_execz .LBB942_471
; %bb.470:                              ;   in Loop: Header=BB942_215 Depth=1
	v_and_b32_e32 v51, 7, v42
	v_ffbh_u32_e32 v58, v51
	v_min_u32_e32 v61, 32, v58
	v_subrev_u32_e32 v58, 28, v61
	v_lshlrev_b64 v[58:59], v58, v[42:43]
	v_lshrrev_b32_e32 v60, 3, v57
	v_sub_u32_e32 v59, 29, v61
	v_and_b32_e32 v58, 7, v58
	v_cmp_gt_u32_e32 vcc, 8, v57
	v_cndmask_b32_e32 v57, v60, v59, vcc
	v_cndmask_b32_e32 v51, v51, v58, vcc
	v_lshlrev_b32_e32 v42, 24, v42
	v_lshlrev_b32_e32 v51, 20, v51
	v_and_b32_e32 v42, 0x80000000, v42
	v_lshl_add_u32 v57, v57, 23, v55
	v_or3_b32 v42, v42, v57, v51
	v_lshrrev_b32_e32 v51, 16, v42
.LBB942_471:                            ;   in Loop: Header=BB942_215 Depth=1
	s_or_b64 exec, exec, s[20:21]
.LBB942_472:                            ;   in Loop: Header=BB942_215 Depth=1
	s_or_b64 exec, exec, s[18:19]
.LBB942_473:                            ;   in Loop: Header=BB942_215 Depth=1
	s_or_b64 exec, exec, s[16:17]
	v_cmp_lt_u32_e32 vcc, s24, v40
	s_and_saveexec_b64 s[16:17], vcc
	s_cbranch_execz .LBB942_479
; %bb.474:                              ;   in Loop: Header=BB942_215 Depth=1
	v_lshrrev_b32_e32 v42, 24, v40
	v_cmp_ne_u32_e32 vcc, s9, v42
	v_mov_b32_e32 v56, 0xffff8000
	s_and_saveexec_b64 s[18:19], vcc
	s_cbranch_execz .LBB942_478
; %bb.475:                              ;   in Loop: Header=BB942_215 Depth=1
	v_bfe_u32 v40, v40, 24, 7
	v_cmp_ne_u32_e32 vcc, s23, v40
	v_mov_b32_e32 v56, 0x7f80
	s_and_saveexec_b64 s[20:21], vcc
	s_cbranch_execz .LBB942_477
; %bb.476:                              ;   in Loop: Header=BB942_215 Depth=1
	v_and_b32_e32 v58, 7, v42
	v_ffbh_u32_e32 v56, v58
	v_min_u32_e32 v60, 32, v56
	v_subrev_u32_e32 v56, 28, v60
	v_lshlrev_b64 v[56:57], v56, v[42:43]
	v_lshrrev_b32_e32 v59, 3, v40
	v_sub_u32_e32 v57, 29, v60
	v_and_b32_e32 v56, 7, v56
	v_cmp_gt_u32_e32 vcc, 8, v40
	v_cndmask_b32_e32 v40, v59, v57, vcc
	v_cndmask_b32_e32 v56, v58, v56, vcc
	v_lshlrev_b32_e32 v42, 24, v42
	v_lshlrev_b32_e32 v56, 20, v56
	v_and_b32_e32 v42, 0x80000000, v42
	v_lshl_add_u32 v40, v40, 23, v55
	v_or3_b32 v40, v42, v40, v56
	v_lshrrev_b32_e32 v56, 16, v40
.LBB942_477:                            ;   in Loop: Header=BB942_215 Depth=1
	s_or_b64 exec, exec, s[20:21]
.LBB942_478:                            ;   in Loop: Header=BB942_215 Depth=1
	s_or_b64 exec, exec, s[18:19]
.LBB942_479:                            ;   in Loop: Header=BB942_215 Depth=1
	s_or_b64 exec, exec, s[16:17]
	s_waitcnt vmcnt(0)
	v_cmp_ne_u16_sdwa s[18:19], v38, v52 src0_sel:BYTE_0 src1_sel:DWORD
	v_mov_b32_e32 v57, 0
	v_mov_b32_e32 v58, 0
	s_and_saveexec_b64 s[16:17], s[18:19]
	s_cbranch_execz .LBB942_485
; %bb.480:                              ;   in Loop: Header=BB942_215 Depth=1
	v_cmp_ne_u16_sdwa s[20:21], v38, s9 src0_sel:BYTE_0 src1_sel:DWORD
	v_mov_b32_e32 v58, 0xffff8000
	s_and_saveexec_b64 s[18:19], s[20:21]
	s_cbranch_execz .LBB942_484
; %bb.481:                              ;   in Loop: Header=BB942_215 Depth=1
	v_and_b32_e32 v40, 0x7f, v38
	v_cmp_ne_u32_e32 vcc, s23, v40
	v_mov_b32_e32 v58, 0x7f80
	s_and_saveexec_b64 s[20:21], vcc
	s_cbranch_execz .LBB942_483
; %bb.482:                              ;   in Loop: Header=BB942_215 Depth=1
	v_and_b32_e32 v42, 7, v38
	v_ffbh_u32_e32 v58, v42
	v_min_u32_e32 v61, 32, v58
	v_subrev_u32_e32 v58, 28, v61
	v_lshlrev_b64 v[58:59], v58, v[38:39]
	v_lshrrev_b32_e32 v60, 3, v40
	v_sub_u32_e32 v59, 29, v61
	v_and_b32_e32 v58, 7, v58
	v_cmp_gt_u32_e32 vcc, 8, v40
	v_cndmask_b32_e32 v40, v60, v59, vcc
	v_cndmask_b32_e32 v42, v42, v58, vcc
	v_lshlrev_b32_e32 v58, 24, v38
	v_lshlrev_b32_e32 v42, 20, v42
	v_and_b32_e32 v58, 0x80000000, v58
	v_lshl_add_u32 v40, v40, 23, v55
	v_or3_b32 v40, v58, v40, v42
	v_lshrrev_b32_e32 v58, 16, v40
.LBB942_483:                            ;   in Loop: Header=BB942_215 Depth=1
	s_or_b64 exec, exec, s[20:21]
.LBB942_484:                            ;   in Loop: Header=BB942_215 Depth=1
	s_or_b64 exec, exec, s[18:19]
.LBB942_485:                            ;   in Loop: Header=BB942_215 Depth=1
	s_or_b64 exec, exec, s[16:17]
	v_lshrrev_b16_e32 v40, 8, v38
	v_cmp_ne_u16_e32 vcc, 0, v40
	s_and_saveexec_b64 s[16:17], vcc
	s_cbranch_execz .LBB942_491
; %bb.486:                              ;   in Loop: Header=BB942_215 Depth=1
	v_cmp_ne_u16_e32 vcc, s9, v40
	v_mov_b32_e32 v57, 0xffff8000
	s_and_saveexec_b64 s[18:19], vcc
	s_cbranch_execz .LBB942_490
; %bb.487:                              ;   in Loop: Header=BB942_215 Depth=1
	v_and_b32_e32 v42, 0x7f, v40
	v_cmp_ne_u32_e32 vcc, s23, v42
	v_mov_b32_e32 v57, 0x7f80
	s_and_saveexec_b64 s[20:21], vcc
	s_cbranch_execz .LBB942_489
; %bb.488:                              ;   in Loop: Header=BB942_215 Depth=1
	v_and_b32_e32 v57, 7, v40
	v_ffbh_u32_e32 v60, v57
	v_min_u32_e32 v62, 32, v60
	v_subrev_u32_e32 v60, 28, v62
	v_lshlrev_b64 v[60:61], v60, v[40:41]
	v_lshrrev_b32_e32 v59, 3, v42
	v_sub_u32_e32 v40, 29, v62
	v_and_b32_e32 v60, 7, v60
	v_cmp_gt_u32_e32 vcc, 8, v42
	v_cndmask_b32_e32 v40, v59, v40, vcc
	v_cndmask_b32_e32 v42, v57, v60, vcc
	v_lshlrev_b32_e32 v57, 16, v38
	v_lshlrev_b32_e32 v42, 20, v42
	v_and_b32_e32 v57, 0x80000000, v57
	v_lshl_add_u32 v40, v40, 23, v55
	v_or3_b32 v40, v57, v40, v42
	v_lshrrev_b32_e32 v57, 16, v40
.LBB942_489:                            ;   in Loop: Header=BB942_215 Depth=1
	s_or_b64 exec, exec, s[20:21]
.LBB942_490:                            ;   in Loop: Header=BB942_215 Depth=1
	s_or_b64 exec, exec, s[18:19]
.LBB942_491:                            ;   in Loop: Header=BB942_215 Depth=1
	s_or_b64 exec, exec, s[16:17]
	v_lshrrev_b32_e32 v40, 16, v38
	v_cmp_ne_u16_sdwa s[18:19], v40, v52 src0_sel:BYTE_0 src1_sel:DWORD
	v_mov_b32_e32 v60, 0
	v_mov_b32_e32 v59, 0
	s_and_saveexec_b64 s[16:17], s[18:19]
	s_cbranch_execz .LBB942_497
; %bb.492:                              ;   in Loop: Header=BB942_215 Depth=1
	v_cmp_ne_u16_sdwa s[20:21], v40, s9 src0_sel:BYTE_0 src1_sel:DWORD
	v_mov_b32_e32 v59, 0xffff8000
	s_and_saveexec_b64 s[18:19], s[20:21]
	s_cbranch_execz .LBB942_496
; %bb.493:                              ;   in Loop: Header=BB942_215 Depth=1
	v_bfe_u32 v42, v38, 16, 7
	v_cmp_ne_u32_e32 vcc, s23, v42
	v_mov_b32_e32 v59, 0x7f80
	s_and_saveexec_b64 s[20:21], vcc
	s_cbranch_execz .LBB942_495
; %bb.494:                              ;   in Loop: Header=BB942_215 Depth=1
	v_and_b32_e32 v59, 7, v40
	v_ffbh_u32_e32 v62, v59
	v_min_u32_e32 v64, 32, v62
	v_subrev_u32_e32 v62, 28, v64
	v_lshlrev_b64 v[62:63], v62, v[40:41]
	v_lshrrev_b32_e32 v61, 3, v42
	v_sub_u32_e32 v63, 29, v64
	v_and_b32_e32 v62, 7, v62
	v_cmp_gt_u32_e32 vcc, 8, v42
	v_cndmask_b32_e32 v42, v61, v63, vcc
	v_cndmask_b32_e32 v59, v59, v62, vcc
	v_lshlrev_b32_e32 v40, 24, v40
	v_lshlrev_b32_e32 v59, 20, v59
	v_and_b32_e32 v40, 0x80000000, v40
	v_lshl_add_u32 v42, v42, 23, v55
	v_or3_b32 v40, v40, v42, v59
	v_lshrrev_b32_e32 v59, 16, v40
.LBB942_495:                            ;   in Loop: Header=BB942_215 Depth=1
	s_or_b64 exec, exec, s[20:21]
.LBB942_496:                            ;   in Loop: Header=BB942_215 Depth=1
	s_or_b64 exec, exec, s[18:19]
.LBB942_497:                            ;   in Loop: Header=BB942_215 Depth=1
	s_or_b64 exec, exec, s[16:17]
	v_cmp_lt_u32_e32 vcc, s24, v38
	s_and_saveexec_b64 s[16:17], vcc
	s_cbranch_execz .LBB942_503
; %bb.498:                              ;   in Loop: Header=BB942_215 Depth=1
	v_lshrrev_b32_e32 v40, 24, v38
	v_cmp_ne_u32_e32 vcc, s9, v40
	v_mov_b32_e32 v60, 0xffff8000
	s_and_saveexec_b64 s[18:19], vcc
	s_cbranch_execz .LBB942_502
; %bb.499:                              ;   in Loop: Header=BB942_215 Depth=1
	v_bfe_u32 v38, v38, 24, 7
	v_cmp_ne_u32_e32 vcc, s23, v38
	v_mov_b32_e32 v60, 0x7f80
	s_and_saveexec_b64 s[20:21], vcc
	s_cbranch_execz .LBB942_501
; %bb.500:                              ;   in Loop: Header=BB942_215 Depth=1
	v_and_b32_e32 v42, 7, v40
	v_ffbh_u32_e32 v60, v42
	v_min_u32_e32 v63, 32, v60
	v_subrev_u32_e32 v60, 28, v63
	v_lshlrev_b64 v[60:61], v60, v[40:41]
	v_lshrrev_b32_e32 v62, 3, v38
	v_sub_u32_e32 v61, 29, v63
	v_and_b32_e32 v60, 7, v60
	v_cmp_gt_u32_e32 vcc, 8, v38
	v_cndmask_b32_e32 v38, v62, v61, vcc
	v_cndmask_b32_e32 v42, v42, v60, vcc
	v_lshlrev_b32_e32 v40, 24, v40
	v_lshlrev_b32_e32 v42, 20, v42
	v_and_b32_e32 v40, 0x80000000, v40
	v_lshl_add_u32 v38, v38, 23, v55
	v_or3_b32 v38, v40, v38, v42
	v_lshrrev_b32_e32 v60, 16, v38
.LBB942_501:                            ;   in Loop: Header=BB942_215 Depth=1
	s_or_b64 exec, exec, s[20:21]
.LBB942_502:                            ;   in Loop: Header=BB942_215 Depth=1
	s_or_b64 exec, exec, s[18:19]
.LBB942_503:                            ;   in Loop: Header=BB942_215 Depth=1
	s_or_b64 exec, exec, s[16:17]
	v_perm_b32 v62, v44, v46, s25
	buffer_load_dword v44, v50, s[0:3], 0 offen
	buffer_load_dword v42, v50, s[0:3], 0 offen offset:4
	buffer_load_dword v40, v50, s[0:3], 0 offen offset:8
	;; [unrolled: 1-line block ×3, first 2 shown]
	v_perm_b32 v63, v56, v51, s25
	v_perm_b32 v51, v60, v59, s25
	;; [unrolled: 1-line block ×3, first 2 shown]
	v_mfma_f32_16x16x16bf16_1k v[34:37], v[62:63], v[22:23], v[34:37]
	s_waitcnt vmcnt(3)
	v_cmp_ne_u16_sdwa s[18:19], v44, v52 src0_sel:BYTE_0 src1_sel:DWORD
	v_mfma_f32_16x16x16bf16_1k v[34:37], v[50:51], v[24:25], v[34:37]
	v_mov_b32_e32 v50, 0
	v_mov_b32_e32 v51, 0
	s_and_saveexec_b64 s[16:17], s[18:19]
	s_cbranch_execz .LBB942_509
; %bb.504:                              ;   in Loop: Header=BB942_215 Depth=1
	v_cmp_ne_u16_sdwa s[20:21], v44, s9 src0_sel:BYTE_0 src1_sel:DWORD
	v_mov_b32_e32 v51, 0xffff8000
	s_and_saveexec_b64 s[18:19], s[20:21]
	s_cbranch_execz .LBB942_508
; %bb.505:                              ;   in Loop: Header=BB942_215 Depth=1
	v_and_b32_e32 v46, 0x7f, v44
	v_cmp_ne_u32_e32 vcc, s23, v46
	v_mov_b32_e32 v51, 0x7f80
	s_and_saveexec_b64 s[20:21], vcc
	s_cbranch_execz .LBB942_507
; %bb.506:                              ;   in Loop: Header=BB942_215 Depth=1
	v_and_b32_e32 v51, 7, v44
	v_ffbh_u32_e32 v56, v51
	v_min_u32_e32 v59, 32, v56
	v_subrev_u32_e32 v56, 28, v59
	v_lshlrev_b64 v[56:57], v56, v[44:45]
	v_lshrrev_b32_e32 v58, 3, v46
	v_sub_u32_e32 v57, 29, v59
	v_and_b32_e32 v56, 7, v56
	v_cmp_gt_u32_e32 vcc, 8, v46
	v_cndmask_b32_e32 v46, v58, v57, vcc
	v_cndmask_b32_e32 v51, v51, v56, vcc
	v_lshlrev_b32_e32 v56, 24, v44
	v_lshlrev_b32_e32 v51, 20, v51
	v_and_b32_e32 v56, 0x80000000, v56
	v_lshl_add_u32 v46, v46, 23, v55
	v_or3_b32 v46, v56, v46, v51
	v_lshrrev_b32_e32 v51, 16, v46
.LBB942_507:                            ;   in Loop: Header=BB942_215 Depth=1
	s_or_b64 exec, exec, s[20:21]
.LBB942_508:                            ;   in Loop: Header=BB942_215 Depth=1
	s_or_b64 exec, exec, s[18:19]
.LBB942_509:                            ;   in Loop: Header=BB942_215 Depth=1
	s_or_b64 exec, exec, s[16:17]
	v_lshrrev_b16_e32 v46, 8, v44
	v_cmp_ne_u16_e32 vcc, 0, v46
	s_and_saveexec_b64 s[16:17], vcc
	s_cbranch_execz .LBB942_515
; %bb.510:                              ;   in Loop: Header=BB942_215 Depth=1
	v_cmp_ne_u16_e32 vcc, s9, v46
	v_mov_b32_e32 v50, 0xffff8000
	s_and_saveexec_b64 s[18:19], vcc
	s_cbranch_execz .LBB942_514
; %bb.511:                              ;   in Loop: Header=BB942_215 Depth=1
	v_and_b32_e32 v56, 0x7f, v46
	v_cmp_ne_u32_e32 vcc, s23, v56
	v_mov_b32_e32 v50, 0x7f80
	s_and_saveexec_b64 s[20:21], vcc
	s_cbranch_execz .LBB942_513
; %bb.512:                              ;   in Loop: Header=BB942_215 Depth=1
	v_and_b32_e32 v50, 7, v46
	v_ffbh_u32_e32 v58, v50
	v_min_u32_e32 v60, 32, v58
	v_subrev_u32_e32 v58, 28, v60
	v_lshlrev_b64 v[58:59], v58, v[46:47]
	v_lshrrev_b32_e32 v57, 3, v56
	v_sub_u32_e32 v46, 29, v60
	v_and_b32_e32 v58, 7, v58
	v_cmp_gt_u32_e32 vcc, 8, v56
	v_cndmask_b32_e32 v46, v57, v46, vcc
	v_cndmask_b32_e32 v50, v50, v58, vcc
	v_lshlrev_b32_e32 v56, 16, v44
	v_lshlrev_b32_e32 v50, 20, v50
	v_and_b32_e32 v56, 0x80000000, v56
	v_lshl_add_u32 v46, v46, 23, v55
	v_or3_b32 v46, v56, v46, v50
	v_lshrrev_b32_e32 v50, 16, v46
.LBB942_513:                            ;   in Loop: Header=BB942_215 Depth=1
	s_or_b64 exec, exec, s[20:21]
.LBB942_514:                            ;   in Loop: Header=BB942_215 Depth=1
	s_or_b64 exec, exec, s[18:19]
.LBB942_515:                            ;   in Loop: Header=BB942_215 Depth=1
	s_or_b64 exec, exec, s[16:17]
	v_lshrrev_b32_e32 v46, 16, v44
	v_cmp_ne_u16_sdwa s[18:19], v46, v52 src0_sel:BYTE_0 src1_sel:DWORD
	v_mov_b32_e32 v57, 0
	v_mov_b32_e32 v56, 0
	s_and_saveexec_b64 s[16:17], s[18:19]
	s_cbranch_execz .LBB942_521
; %bb.516:                              ;   in Loop: Header=BB942_215 Depth=1
	v_cmp_ne_u16_sdwa s[20:21], v46, s9 src0_sel:BYTE_0 src1_sel:DWORD
	v_mov_b32_e32 v56, 0xffff8000
	s_and_saveexec_b64 s[18:19], s[20:21]
	s_cbranch_execz .LBB942_520
; %bb.517:                              ;   in Loop: Header=BB942_215 Depth=1
	v_bfe_u32 v58, v44, 16, 7
	v_cmp_ne_u32_e32 vcc, s23, v58
	v_mov_b32_e32 v56, 0x7f80
	s_and_saveexec_b64 s[20:21], vcc
	s_cbranch_execz .LBB942_519
; %bb.518:                              ;   in Loop: Header=BB942_215 Depth=1
	v_and_b32_e32 v56, 7, v46
	v_ffbh_u32_e32 v60, v56
	v_min_u32_e32 v62, 32, v60
	v_subrev_u32_e32 v60, 28, v62
	v_lshlrev_b64 v[60:61], v60, v[46:47]
	v_lshrrev_b32_e32 v59, 3, v58
	v_sub_u32_e32 v61, 29, v62
	v_and_b32_e32 v60, 7, v60
	v_cmp_gt_u32_e32 vcc, 8, v58
	v_cndmask_b32_e32 v58, v59, v61, vcc
	v_cndmask_b32_e32 v56, v56, v60, vcc
	v_lshlrev_b32_e32 v46, 24, v46
	v_lshlrev_b32_e32 v56, 20, v56
	v_and_b32_e32 v46, 0x80000000, v46
	v_lshl_add_u32 v58, v58, 23, v55
	v_or3_b32 v46, v46, v58, v56
	v_lshrrev_b32_e32 v56, 16, v46
.LBB942_519:                            ;   in Loop: Header=BB942_215 Depth=1
	s_or_b64 exec, exec, s[20:21]
.LBB942_520:                            ;   in Loop: Header=BB942_215 Depth=1
	s_or_b64 exec, exec, s[18:19]
.LBB942_521:                            ;   in Loop: Header=BB942_215 Depth=1
	s_or_b64 exec, exec, s[16:17]
	v_cmp_lt_u32_e32 vcc, s24, v44
	s_and_saveexec_b64 s[16:17], vcc
	s_cbranch_execz .LBB942_527
; %bb.522:                              ;   in Loop: Header=BB942_215 Depth=1
	v_lshrrev_b32_e32 v46, 24, v44
	v_cmp_ne_u32_e32 vcc, s9, v46
	v_mov_b32_e32 v57, 0xffff8000
	s_and_saveexec_b64 s[18:19], vcc
	s_cbranch_execz .LBB942_526
; %bb.523:                              ;   in Loop: Header=BB942_215 Depth=1
	v_bfe_u32 v44, v44, 24, 7
	v_cmp_ne_u32_e32 vcc, s23, v44
	v_mov_b32_e32 v57, 0x7f80
	s_and_saveexec_b64 s[20:21], vcc
	s_cbranch_execz .LBB942_525
; %bb.524:                              ;   in Loop: Header=BB942_215 Depth=1
	v_and_b32_e32 v57, 7, v46
	v_ffbh_u32_e32 v58, v57
	v_min_u32_e32 v61, 32, v58
	v_subrev_u32_e32 v58, 28, v61
	v_lshlrev_b64 v[58:59], v58, v[46:47]
	v_lshrrev_b32_e32 v60, 3, v44
	v_sub_u32_e32 v59, 29, v61
	v_and_b32_e32 v58, 7, v58
	v_cmp_gt_u32_e32 vcc, 8, v44
	v_cndmask_b32_e32 v44, v60, v59, vcc
	v_cndmask_b32_e32 v57, v57, v58, vcc
	v_lshlrev_b32_e32 v46, 24, v46
	v_lshlrev_b32_e32 v57, 20, v57
	v_and_b32_e32 v46, 0x80000000, v46
	v_lshl_add_u32 v44, v44, 23, v55
	v_or3_b32 v44, v46, v44, v57
	v_lshrrev_b32_e32 v57, 16, v44
.LBB942_525:                            ;   in Loop: Header=BB942_215 Depth=1
	s_or_b64 exec, exec, s[20:21]
.LBB942_526:                            ;   in Loop: Header=BB942_215 Depth=1
	s_or_b64 exec, exec, s[18:19]
.LBB942_527:                            ;   in Loop: Header=BB942_215 Depth=1
	s_or_b64 exec, exec, s[16:17]
	s_waitcnt vmcnt(2)
	v_cmp_ne_u16_sdwa s[18:19], v42, v52 src0_sel:BYTE_0 src1_sel:DWORD
	v_mov_b32_e32 v46, 0
	v_mov_b32_e32 v58, 0
	s_and_saveexec_b64 s[16:17], s[18:19]
	s_cbranch_execz .LBB942_533
; %bb.528:                              ;   in Loop: Header=BB942_215 Depth=1
	v_cmp_ne_u16_sdwa s[20:21], v42, s9 src0_sel:BYTE_0 src1_sel:DWORD
	v_mov_b32_e32 v58, 0xffff8000
	s_and_saveexec_b64 s[18:19], s[20:21]
	s_cbranch_execz .LBB942_532
; %bb.529:                              ;   in Loop: Header=BB942_215 Depth=1
	v_and_b32_e32 v44, 0x7f, v42
	v_cmp_ne_u32_e32 vcc, s23, v44
	v_mov_b32_e32 v58, 0x7f80
	s_and_saveexec_b64 s[20:21], vcc
	s_cbranch_execz .LBB942_531
; %bb.530:                              ;   in Loop: Header=BB942_215 Depth=1
	v_and_b32_e32 v60, 7, v42
	v_ffbh_u32_e32 v58, v60
	v_min_u32_e32 v62, 32, v58
	v_subrev_u32_e32 v58, 28, v62
	v_lshlrev_b64 v[58:59], v58, v[42:43]
	v_lshrrev_b32_e32 v61, 3, v44
	v_sub_u32_e32 v59, 29, v62
	v_and_b32_e32 v58, 7, v58
	v_cmp_gt_u32_e32 vcc, 8, v44
	v_cndmask_b32_e32 v44, v61, v59, vcc
	v_cndmask_b32_e32 v58, v60, v58, vcc
	v_lshlrev_b32_e32 v59, 24, v42
	v_lshlrev_b32_e32 v58, 20, v58
	v_and_b32_e32 v59, 0x80000000, v59
	v_lshl_add_u32 v44, v44, 23, v55
	v_or3_b32 v44, v59, v44, v58
	v_lshrrev_b32_e32 v58, 16, v44
.LBB942_531:                            ;   in Loop: Header=BB942_215 Depth=1
	s_or_b64 exec, exec, s[20:21]
.LBB942_532:                            ;   in Loop: Header=BB942_215 Depth=1
	s_or_b64 exec, exec, s[18:19]
.LBB942_533:                            ;   in Loop: Header=BB942_215 Depth=1
	s_or_b64 exec, exec, s[16:17]
	v_lshrrev_b16_e32 v44, 8, v42
	v_cmp_ne_u16_e32 vcc, 0, v44
	s_and_saveexec_b64 s[16:17], vcc
	s_cbranch_execz .LBB942_539
; %bb.534:                              ;   in Loop: Header=BB942_215 Depth=1
	v_cmp_ne_u16_e32 vcc, s9, v44
	v_mov_b32_e32 v46, 0xffff8000
	s_and_saveexec_b64 s[18:19], vcc
	s_cbranch_execz .LBB942_538
; %bb.535:                              ;   in Loop: Header=BB942_215 Depth=1
	v_and_b32_e32 v59, 0x7f, v44
	v_cmp_ne_u32_e32 vcc, s23, v59
	v_mov_b32_e32 v46, 0x7f80
	s_and_saveexec_b64 s[20:21], vcc
	s_cbranch_execz .LBB942_537
; %bb.536:                              ;   in Loop: Header=BB942_215 Depth=1
	v_and_b32_e32 v46, 7, v44
	v_ffbh_u32_e32 v60, v46
	v_min_u32_e32 v63, 32, v60
	v_subrev_u32_e32 v60, 28, v63
	v_lshlrev_b64 v[60:61], v60, v[44:45]
	v_lshrrev_b32_e32 v62, 3, v59
	v_sub_u32_e32 v44, 29, v63
	v_and_b32_e32 v60, 7, v60
	v_cmp_gt_u32_e32 vcc, 8, v59
	v_cndmask_b32_e32 v44, v62, v44, vcc
	v_cndmask_b32_e32 v46, v46, v60, vcc
	v_lshlrev_b32_e32 v59, 16, v42
	v_lshlrev_b32_e32 v46, 20, v46
	v_and_b32_e32 v59, 0x80000000, v59
	v_lshl_add_u32 v44, v44, 23, v55
	v_or3_b32 v44, v59, v44, v46
	v_lshrrev_b32_e32 v46, 16, v44
.LBB942_537:                            ;   in Loop: Header=BB942_215 Depth=1
	s_or_b64 exec, exec, s[20:21]
.LBB942_538:                            ;   in Loop: Header=BB942_215 Depth=1
	s_or_b64 exec, exec, s[18:19]
.LBB942_539:                            ;   in Loop: Header=BB942_215 Depth=1
	s_or_b64 exec, exec, s[16:17]
	v_lshrrev_b32_e32 v44, 16, v42
	v_cmp_ne_u16_sdwa s[18:19], v44, v52 src0_sel:BYTE_0 src1_sel:DWORD
	v_mov_b32_e32 v60, 0
	v_mov_b32_e32 v59, 0
	s_and_saveexec_b64 s[16:17], s[18:19]
	s_cbranch_execz .LBB942_545
; %bb.540:                              ;   in Loop: Header=BB942_215 Depth=1
	v_cmp_ne_u16_sdwa s[20:21], v44, s9 src0_sel:BYTE_0 src1_sel:DWORD
	v_mov_b32_e32 v59, 0xffff8000
	s_and_saveexec_b64 s[18:19], s[20:21]
	s_cbranch_execz .LBB942_544
; %bb.541:                              ;   in Loop: Header=BB942_215 Depth=1
	v_bfe_u32 v61, v42, 16, 7
	v_cmp_ne_u32_e32 vcc, s23, v61
	v_mov_b32_e32 v59, 0x7f80
	s_and_saveexec_b64 s[20:21], vcc
	s_cbranch_execz .LBB942_543
; %bb.542:                              ;   in Loop: Header=BB942_215 Depth=1
	v_and_b32_e32 v59, 7, v44
	v_ffbh_u32_e32 v62, v59
	v_min_u32_e32 v65, 32, v62
	v_subrev_u32_e32 v62, 28, v65
	v_lshlrev_b64 v[62:63], v62, v[44:45]
	v_lshrrev_b32_e32 v64, 3, v61
	v_sub_u32_e32 v63, 29, v65
	v_and_b32_e32 v62, 7, v62
	v_cmp_gt_u32_e32 vcc, 8, v61
	v_cndmask_b32_e32 v61, v64, v63, vcc
	v_cndmask_b32_e32 v59, v59, v62, vcc
	v_lshlrev_b32_e32 v44, 24, v44
	v_lshlrev_b32_e32 v59, 20, v59
	v_and_b32_e32 v44, 0x80000000, v44
	v_lshl_add_u32 v61, v61, 23, v55
	v_or3_b32 v44, v44, v61, v59
	v_lshrrev_b32_e32 v59, 16, v44
.LBB942_543:                            ;   in Loop: Header=BB942_215 Depth=1
	s_or_b64 exec, exec, s[20:21]
.LBB942_544:                            ;   in Loop: Header=BB942_215 Depth=1
	s_or_b64 exec, exec, s[18:19]
.LBB942_545:                            ;   in Loop: Header=BB942_215 Depth=1
	s_or_b64 exec, exec, s[16:17]
	v_cmp_lt_u32_e32 vcc, s24, v42
	s_and_saveexec_b64 s[16:17], vcc
	s_cbranch_execz .LBB942_551
; %bb.546:                              ;   in Loop: Header=BB942_215 Depth=1
	v_lshrrev_b32_e32 v44, 24, v42
	v_cmp_ne_u32_e32 vcc, s9, v44
	v_mov_b32_e32 v60, 0xffff8000
	s_and_saveexec_b64 s[18:19], vcc
	s_cbranch_execz .LBB942_550
; %bb.547:                              ;   in Loop: Header=BB942_215 Depth=1
	v_bfe_u32 v42, v42, 24, 7
	v_cmp_ne_u32_e32 vcc, s23, v42
	v_mov_b32_e32 v60, 0x7f80
	s_and_saveexec_b64 s[20:21], vcc
	s_cbranch_execz .LBB942_549
; %bb.548:                              ;   in Loop: Header=BB942_215 Depth=1
	v_and_b32_e32 v62, 7, v44
	v_ffbh_u32_e32 v60, v62
	v_min_u32_e32 v64, 32, v60
	v_subrev_u32_e32 v60, 28, v64
	v_lshlrev_b64 v[60:61], v60, v[44:45]
	v_lshrrev_b32_e32 v63, 3, v42
	v_sub_u32_e32 v61, 29, v64
	v_and_b32_e32 v60, 7, v60
	v_cmp_gt_u32_e32 vcc, 8, v42
	v_cndmask_b32_e32 v42, v63, v61, vcc
	v_cndmask_b32_e32 v60, v62, v60, vcc
	v_lshlrev_b32_e32 v44, 24, v44
	v_lshlrev_b32_e32 v60, 20, v60
	v_and_b32_e32 v44, 0x80000000, v44
	v_lshl_add_u32 v42, v42, 23, v55
	v_or3_b32 v42, v44, v42, v60
	v_lshrrev_b32_e32 v60, 16, v42
.LBB942_549:                            ;   in Loop: Header=BB942_215 Depth=1
	s_or_b64 exec, exec, s[20:21]
.LBB942_550:                            ;   in Loop: Header=BB942_215 Depth=1
	s_or_b64 exec, exec, s[18:19]
.LBB942_551:                            ;   in Loop: Header=BB942_215 Depth=1
	s_or_b64 exec, exec, s[16:17]
	v_perm_b32 v57, v57, v56, s25
	v_perm_b32 v56, v50, v51, s25
	v_perm_b32 v51, v60, v59, s25
	v_perm_b32 v50, v46, v58, s25
	s_waitcnt vmcnt(1)
	v_cmp_ne_u16_sdwa s[18:19], v40, v52 src0_sel:BYTE_0 src1_sel:DWORD
	v_mfma_f32_16x16x16bf16_1k v[34:37], v[56:57], v[26:27], v[34:37]
	v_mov_b32_e32 v44, 0
	v_mov_b32_e32 v46, 0
	v_mfma_f32_16x16x16bf16_1k v[34:37], v[50:51], v[28:29], v[34:37]
	s_and_saveexec_b64 s[16:17], s[18:19]
	s_cbranch_execz .LBB942_557
; %bb.552:                              ;   in Loop: Header=BB942_215 Depth=1
	v_cmp_ne_u16_sdwa s[20:21], v40, s9 src0_sel:BYTE_0 src1_sel:DWORD
	v_mov_b32_e32 v46, 0xffff8000
	s_and_saveexec_b64 s[18:19], s[20:21]
	s_cbranch_execz .LBB942_556
; %bb.553:                              ;   in Loop: Header=BB942_215 Depth=1
	v_and_b32_e32 v42, 0x7f, v40
	v_cmp_ne_u32_e32 vcc, s23, v42
	v_mov_b32_e32 v46, 0x7f80
	s_and_saveexec_b64 s[20:21], vcc
	s_cbranch_execz .LBB942_555
; %bb.554:                              ;   in Loop: Header=BB942_215 Depth=1
	v_and_b32_e32 v46, 7, v40
	v_ffbh_u32_e32 v50, v46
	v_min_u32_e32 v57, 32, v50
	v_subrev_u32_e32 v50, 28, v57
	v_lshlrev_b64 v[50:51], v50, v[40:41]
	v_lshrrev_b32_e32 v56, 3, v42
	v_sub_u32_e32 v51, 29, v57
	v_and_b32_e32 v50, 7, v50
	v_cmp_gt_u32_e32 vcc, 8, v42
	v_cndmask_b32_e32 v42, v56, v51, vcc
	v_cndmask_b32_e32 v46, v46, v50, vcc
	v_lshlrev_b32_e32 v50, 24, v40
	v_lshlrev_b32_e32 v46, 20, v46
	v_and_b32_e32 v50, 0x80000000, v50
	v_lshl_add_u32 v42, v42, 23, v55
	v_or3_b32 v42, v50, v42, v46
	v_lshrrev_b32_e32 v46, 16, v42
.LBB942_555:                            ;   in Loop: Header=BB942_215 Depth=1
	s_or_b64 exec, exec, s[20:21]
.LBB942_556:                            ;   in Loop: Header=BB942_215 Depth=1
	s_or_b64 exec, exec, s[18:19]
.LBB942_557:                            ;   in Loop: Header=BB942_215 Depth=1
	s_or_b64 exec, exec, s[16:17]
	v_lshrrev_b16_e32 v42, 8, v40
	v_cmp_ne_u16_e32 vcc, 0, v42
	s_and_saveexec_b64 s[16:17], vcc
	s_cbranch_execz .LBB942_563
; %bb.558:                              ;   in Loop: Header=BB942_215 Depth=1
	v_cmp_ne_u16_e32 vcc, s9, v42
	v_mov_b32_e32 v44, 0xffff8000
	s_and_saveexec_b64 s[18:19], vcc
	s_cbranch_execz .LBB942_562
; %bb.559:                              ;   in Loop: Header=BB942_215 Depth=1
	v_and_b32_e32 v50, 0x7f, v42
	v_cmp_ne_u32_e32 vcc, s23, v50
	v_mov_b32_e32 v44, 0x7f80
	s_and_saveexec_b64 s[20:21], vcc
	s_cbranch_execz .LBB942_561
; %bb.560:                              ;   in Loop: Header=BB942_215 Depth=1
	v_and_b32_e32 v44, 7, v42
	v_ffbh_u32_e32 v56, v44
	v_min_u32_e32 v58, 32, v56
	v_subrev_u32_e32 v56, 28, v58
	v_lshlrev_b64 v[56:57], v56, v[42:43]
	v_lshrrev_b32_e32 v51, 3, v50
	v_sub_u32_e32 v42, 29, v58
	v_and_b32_e32 v56, 7, v56
	v_cmp_gt_u32_e32 vcc, 8, v50
	v_cndmask_b32_e32 v42, v51, v42, vcc
	v_cndmask_b32_e32 v44, v44, v56, vcc
	v_lshlrev_b32_e32 v50, 16, v40
	v_lshlrev_b32_e32 v44, 20, v44
	v_and_b32_e32 v50, 0x80000000, v50
	v_lshl_add_u32 v42, v42, 23, v55
	v_or3_b32 v42, v50, v42, v44
	v_lshrrev_b32_e32 v44, 16, v42
.LBB942_561:                            ;   in Loop: Header=BB942_215 Depth=1
	s_or_b64 exec, exec, s[20:21]
.LBB942_562:                            ;   in Loop: Header=BB942_215 Depth=1
	s_or_b64 exec, exec, s[18:19]
.LBB942_563:                            ;   in Loop: Header=BB942_215 Depth=1
	s_or_b64 exec, exec, s[16:17]
	v_lshrrev_b32_e32 v42, 16, v40
	v_cmp_ne_u16_sdwa s[18:19], v42, v52 src0_sel:BYTE_0 src1_sel:DWORD
	v_mov_b32_e32 v51, 0
	v_mov_b32_e32 v50, 0
	s_and_saveexec_b64 s[16:17], s[18:19]
	s_cbranch_execz .LBB942_569
; %bb.564:                              ;   in Loop: Header=BB942_215 Depth=1
	v_cmp_ne_u16_sdwa s[20:21], v42, s9 src0_sel:BYTE_0 src1_sel:DWORD
	v_mov_b32_e32 v50, 0xffff8000
	s_and_saveexec_b64 s[18:19], s[20:21]
	s_cbranch_execz .LBB942_568
; %bb.565:                              ;   in Loop: Header=BB942_215 Depth=1
	v_bfe_u32 v56, v40, 16, 7
	v_cmp_ne_u32_e32 vcc, s23, v56
	v_mov_b32_e32 v50, 0x7f80
	s_and_saveexec_b64 s[20:21], vcc
	s_cbranch_execz .LBB942_567
; %bb.566:                              ;   in Loop: Header=BB942_215 Depth=1
	v_and_b32_e32 v50, 7, v42
	v_ffbh_u32_e32 v58, v50
	v_min_u32_e32 v60, 32, v58
	v_subrev_u32_e32 v58, 28, v60
	v_lshlrev_b64 v[58:59], v58, v[42:43]
	v_lshrrev_b32_e32 v57, 3, v56
	v_sub_u32_e32 v59, 29, v60
	v_and_b32_e32 v58, 7, v58
	v_cmp_gt_u32_e32 vcc, 8, v56
	v_cndmask_b32_e32 v56, v57, v59, vcc
	v_cndmask_b32_e32 v50, v50, v58, vcc
	v_lshlrev_b32_e32 v42, 24, v42
	v_lshlrev_b32_e32 v50, 20, v50
	v_and_b32_e32 v42, 0x80000000, v42
	v_lshl_add_u32 v56, v56, 23, v55
	v_or3_b32 v42, v42, v56, v50
	v_lshrrev_b32_e32 v50, 16, v42
.LBB942_567:                            ;   in Loop: Header=BB942_215 Depth=1
	s_or_b64 exec, exec, s[20:21]
.LBB942_568:                            ;   in Loop: Header=BB942_215 Depth=1
	s_or_b64 exec, exec, s[18:19]
.LBB942_569:                            ;   in Loop: Header=BB942_215 Depth=1
	s_or_b64 exec, exec, s[16:17]
	v_cmp_lt_u32_e32 vcc, s24, v40
	s_and_saveexec_b64 s[16:17], vcc
	s_cbranch_execz .LBB942_575
; %bb.570:                              ;   in Loop: Header=BB942_215 Depth=1
	v_lshrrev_b32_e32 v42, 24, v40
	v_cmp_ne_u32_e32 vcc, s9, v42
	v_mov_b32_e32 v51, 0xffff8000
	s_and_saveexec_b64 s[18:19], vcc
	s_cbranch_execz .LBB942_574
; %bb.571:                              ;   in Loop: Header=BB942_215 Depth=1
	v_bfe_u32 v40, v40, 24, 7
	v_cmp_ne_u32_e32 vcc, s23, v40
	v_mov_b32_e32 v51, 0x7f80
	s_and_saveexec_b64 s[20:21], vcc
	s_cbranch_execz .LBB942_573
; %bb.572:                              ;   in Loop: Header=BB942_215 Depth=1
	v_and_b32_e32 v51, 7, v42
	v_ffbh_u32_e32 v56, v51
	v_min_u32_e32 v59, 32, v56
	v_subrev_u32_e32 v56, 28, v59
	v_lshlrev_b64 v[56:57], v56, v[42:43]
	v_lshrrev_b32_e32 v58, 3, v40
	v_sub_u32_e32 v57, 29, v59
	v_and_b32_e32 v56, 7, v56
	v_cmp_gt_u32_e32 vcc, 8, v40
	v_cndmask_b32_e32 v40, v58, v57, vcc
	v_cndmask_b32_e32 v51, v51, v56, vcc
	v_lshlrev_b32_e32 v42, 24, v42
	v_lshlrev_b32_e32 v51, 20, v51
	v_and_b32_e32 v42, 0x80000000, v42
	v_lshl_add_u32 v40, v40, 23, v55
	v_or3_b32 v40, v42, v40, v51
	v_lshrrev_b32_e32 v51, 16, v40
.LBB942_573:                            ;   in Loop: Header=BB942_215 Depth=1
	s_or_b64 exec, exec, s[20:21]
.LBB942_574:                            ;   in Loop: Header=BB942_215 Depth=1
	s_or_b64 exec, exec, s[18:19]
.LBB942_575:                            ;   in Loop: Header=BB942_215 Depth=1
	s_or_b64 exec, exec, s[16:17]
	s_waitcnt vmcnt(0)
	v_cmp_ne_u16_sdwa s[18:19], v38, v52 src0_sel:BYTE_0 src1_sel:DWORD
	v_mov_b32_e32 v42, 0
	v_mov_b32_e32 v56, 0
	s_and_saveexec_b64 s[16:17], s[18:19]
	s_cbranch_execz .LBB942_581
; %bb.576:                              ;   in Loop: Header=BB942_215 Depth=1
	v_cmp_ne_u16_sdwa s[20:21], v38, s9 src0_sel:BYTE_0 src1_sel:DWORD
	v_mov_b32_e32 v56, 0xffff8000
	s_and_saveexec_b64 s[18:19], s[20:21]
	s_cbranch_execz .LBB942_580
; %bb.577:                              ;   in Loop: Header=BB942_215 Depth=1
	v_and_b32_e32 v40, 0x7f, v38
	v_cmp_ne_u32_e32 vcc, s23, v40
	v_mov_b32_e32 v56, 0x7f80
	s_and_saveexec_b64 s[20:21], vcc
	s_cbranch_execz .LBB942_579
; %bb.578:                              ;   in Loop: Header=BB942_215 Depth=1
	v_and_b32_e32 v58, 7, v38
	v_ffbh_u32_e32 v56, v58
	v_min_u32_e32 v60, 32, v56
	v_subrev_u32_e32 v56, 28, v60
	v_lshlrev_b64 v[56:57], v56, v[38:39]
	v_lshrrev_b32_e32 v59, 3, v40
	v_sub_u32_e32 v57, 29, v60
	v_and_b32_e32 v56, 7, v56
	v_cmp_gt_u32_e32 vcc, 8, v40
	v_cndmask_b32_e32 v40, v59, v57, vcc
	v_cndmask_b32_e32 v56, v58, v56, vcc
	v_lshlrev_b32_e32 v57, 24, v38
	v_lshlrev_b32_e32 v56, 20, v56
	v_and_b32_e32 v57, 0x80000000, v57
	v_lshl_add_u32 v40, v40, 23, v55
	v_or3_b32 v40, v57, v40, v56
	v_lshrrev_b32_e32 v56, 16, v40
.LBB942_579:                            ;   in Loop: Header=BB942_215 Depth=1
	s_or_b64 exec, exec, s[20:21]
.LBB942_580:                            ;   in Loop: Header=BB942_215 Depth=1
	s_or_b64 exec, exec, s[18:19]
.LBB942_581:                            ;   in Loop: Header=BB942_215 Depth=1
	s_or_b64 exec, exec, s[16:17]
	v_lshrrev_b16_e32 v40, 8, v38
	v_cmp_ne_u16_e32 vcc, 0, v40
	s_and_saveexec_b64 s[16:17], vcc
	s_cbranch_execz .LBB942_587
; %bb.582:                              ;   in Loop: Header=BB942_215 Depth=1
	v_cmp_ne_u16_e32 vcc, s9, v40
	v_mov_b32_e32 v42, 0xffff8000
	s_and_saveexec_b64 s[18:19], vcc
	s_cbranch_execz .LBB942_586
; %bb.583:                              ;   in Loop: Header=BB942_215 Depth=1
	v_and_b32_e32 v57, 0x7f, v40
	v_cmp_ne_u32_e32 vcc, s23, v57
	v_mov_b32_e32 v42, 0x7f80
	s_and_saveexec_b64 s[20:21], vcc
	s_cbranch_execz .LBB942_585
; %bb.584:                              ;   in Loop: Header=BB942_215 Depth=1
	v_and_b32_e32 v42, 7, v40
	v_ffbh_u32_e32 v58, v42
	v_min_u32_e32 v61, 32, v58
	v_subrev_u32_e32 v58, 28, v61
	v_lshlrev_b64 v[58:59], v58, v[40:41]
	v_lshrrev_b32_e32 v60, 3, v57
	v_sub_u32_e32 v40, 29, v61
	v_and_b32_e32 v58, 7, v58
	v_cmp_gt_u32_e32 vcc, 8, v57
	v_cndmask_b32_e32 v40, v60, v40, vcc
	v_cndmask_b32_e32 v42, v42, v58, vcc
	v_lshlrev_b32_e32 v57, 16, v38
	v_lshlrev_b32_e32 v42, 20, v42
	v_and_b32_e32 v57, 0x80000000, v57
	v_lshl_add_u32 v40, v40, 23, v55
	v_or3_b32 v40, v57, v40, v42
	v_lshrrev_b32_e32 v42, 16, v40
.LBB942_585:                            ;   in Loop: Header=BB942_215 Depth=1
	s_or_b64 exec, exec, s[20:21]
.LBB942_586:                            ;   in Loop: Header=BB942_215 Depth=1
	s_or_b64 exec, exec, s[18:19]
.LBB942_587:                            ;   in Loop: Header=BB942_215 Depth=1
	s_or_b64 exec, exec, s[16:17]
	v_lshrrev_b32_e32 v40, 16, v38
	v_cmp_ne_u16_sdwa s[18:19], v40, v52 src0_sel:BYTE_0 src1_sel:DWORD
	v_mov_b32_e32 v58, 0
	v_mov_b32_e32 v57, 0
	s_and_saveexec_b64 s[16:17], s[18:19]
	s_cbranch_execz .LBB942_593
; %bb.588:                              ;   in Loop: Header=BB942_215 Depth=1
	v_cmp_ne_u16_sdwa s[20:21], v40, s9 src0_sel:BYTE_0 src1_sel:DWORD
	v_mov_b32_e32 v57, 0xffff8000
	s_and_saveexec_b64 s[18:19], s[20:21]
	s_cbranch_execz .LBB942_592
; %bb.589:                              ;   in Loop: Header=BB942_215 Depth=1
	v_bfe_u32 v59, v38, 16, 7
	v_cmp_ne_u32_e32 vcc, s23, v59
	v_mov_b32_e32 v57, 0x7f80
	s_and_saveexec_b64 s[20:21], vcc
	s_cbranch_execz .LBB942_591
; %bb.590:                              ;   in Loop: Header=BB942_215 Depth=1
	v_and_b32_e32 v57, 7, v40
	v_ffbh_u32_e32 v60, v57
	v_min_u32_e32 v63, 32, v60
	v_subrev_u32_e32 v60, 28, v63
	v_lshlrev_b64 v[60:61], v60, v[40:41]
	v_lshrrev_b32_e32 v62, 3, v59
	v_sub_u32_e32 v61, 29, v63
	v_and_b32_e32 v60, 7, v60
	v_cmp_gt_u32_e32 vcc, 8, v59
	v_cndmask_b32_e32 v59, v62, v61, vcc
	v_cndmask_b32_e32 v57, v57, v60, vcc
	v_lshlrev_b32_e32 v40, 24, v40
	v_lshlrev_b32_e32 v57, 20, v57
	v_and_b32_e32 v40, 0x80000000, v40
	v_lshl_add_u32 v59, v59, 23, v55
	v_or3_b32 v40, v40, v59, v57
	v_lshrrev_b32_e32 v57, 16, v40
.LBB942_591:                            ;   in Loop: Header=BB942_215 Depth=1
	s_or_b64 exec, exec, s[20:21]
.LBB942_592:                            ;   in Loop: Header=BB942_215 Depth=1
	s_or_b64 exec, exec, s[18:19]
.LBB942_593:                            ;   in Loop: Header=BB942_215 Depth=1
	s_or_b64 exec, exec, s[16:17]
	v_cmp_lt_u32_e32 vcc, s24, v38
	s_and_saveexec_b64 s[16:17], vcc
	s_cbranch_execz .LBB942_214
; %bb.594:                              ;   in Loop: Header=BB942_215 Depth=1
	v_lshrrev_b32_e32 v40, 24, v38
	v_cmp_ne_u32_e32 vcc, s9, v40
	v_mov_b32_e32 v58, 0xffff8000
	s_and_saveexec_b64 s[18:19], vcc
	s_cbranch_execz .LBB942_213
; %bb.595:                              ;   in Loop: Header=BB942_215 Depth=1
	v_bfe_u32 v38, v38, 24, 7
	v_cmp_ne_u32_e32 vcc, s23, v38
	v_mov_b32_e32 v58, 0x7f80
	s_and_saveexec_b64 s[20:21], vcc
	s_cbranch_execz .LBB942_212
; %bb.596:                              ;   in Loop: Header=BB942_215 Depth=1
	v_and_b32_e32 v60, 7, v40
	v_ffbh_u32_e32 v58, v60
	v_min_u32_e32 v62, 32, v58
	v_subrev_u32_e32 v58, 28, v62
	v_lshlrev_b64 v[58:59], v58, v[40:41]
	v_lshrrev_b32_e32 v61, 3, v38
	v_sub_u32_e32 v59, 29, v62
	v_and_b32_e32 v58, 7, v58
	v_cmp_gt_u32_e32 vcc, 8, v38
	v_cndmask_b32_e32 v38, v61, v59, vcc
	v_cndmask_b32_e32 v58, v60, v58, vcc
	v_lshlrev_b32_e32 v40, 24, v40
	v_lshlrev_b32_e32 v58, 20, v58
	v_and_b32_e32 v40, 0x80000000, v40
	v_lshl_add_u32 v38, v38, 23, v55
	v_or3_b32 v38, v40, v38, v58
	v_lshrrev_b32_e32 v58, 16, v38
	s_branch .LBB942_212
.LBB942_597:
	s_barrier
	buffer_load_dword v2, off, s[0:3], 0 offset:320
	buffer_load_dword v5, off, s[0:3], 0 offset:332
	;; [unrolled: 1-line block ×4, first 2 shown]
	v_cmp_gt_u32_e32 vcc, 64, v0
	s_xor_b64 s[4:5], s[4:5], -1
	s_and_b64 s[4:5], vcc, s[4:5]
	s_waitcnt vmcnt(0)
	ds_write2st64_b64 v53, v[2:3], v[4:5] offset1:1
	s_waitcnt lgkmcnt(0)
	s_barrier
	s_and_saveexec_b64 s[6:7], s[4:5]
	s_cbranch_execz .LBB942_599
; %bb.598:
	s_mul_i32 s4, s53, s8
	s_lshl_b32 s6, s52, 7
	s_mul_hi_u32 s5, s4, s6
	s_mul_i32 s4, s4, s6
	v_lshlrev_b32_e32 v4, 6, v41
	s_lshl_b64 s[4:5], s[4:5], 1
	v_lshl_or_b32 v0, v0, 10, v4
	s_add_u32 s7, s54, s4
	v_lshlrev_b32_e32 v2, 5, v39
	v_and_b32_e32 v3, 16, v43
	v_and_b32_e32 v0, 0x1a00, v0
	s_addc_u32 s8, s55, s5
	s_lshl_b32 s4, s28, 7
	s_mov_b32 s5, 0
	v_or3_b32 v0, v0, v2, v3
	s_lshl_b64 s[4:5], s[4:5], 1
	ds_read_b128 v[2:5], v0
	s_add_u32 s7, s7, s4
	s_addc_u32 s8, s8, s5
	s_mul_hi_u32 s5, s6, s10
	s_mul_i32 s4, s6, s10
	s_lshl_b64 s[4:5], s[4:5], 1
	s_add_u32 s4, s7, s4
	s_addc_u32 s5, s8, s5
	s_waitcnt lgkmcnt(0)
	global_store_dwordx4 v1, v[2:5], s[4:5]
.LBB942_599:
	s_endpgm
	.section	.rodata,"a",@progbits
	.p2align	6, 0x0
	.amdhsa_kernel _Z39paged_attention_ll4mi_QKV_mfma16_kernelI14__hip_bfloat16hLN4vllm18Fp8KVCacheDataTypeE1ES0_Li32ELi128ELi256ELb1ELi1EL8MFMAType0EEvPKT_PKT0_S9_ifPKiSB_SB_iPKfiiiPfSE_PS4_PT2_iSD_SD_
		.amdhsa_group_segment_fixed_size 8192
		.amdhsa_private_segment_fixed_size 352
		.amdhsa_kernarg_size 400
		.amdhsa_user_sgpr_count 8
		.amdhsa_user_sgpr_private_segment_buffer 1
		.amdhsa_user_sgpr_dispatch_ptr 0
		.amdhsa_user_sgpr_queue_ptr 0
		.amdhsa_user_sgpr_kernarg_segment_ptr 1
		.amdhsa_user_sgpr_dispatch_id 0
		.amdhsa_user_sgpr_flat_scratch_init 1
		.amdhsa_user_sgpr_kernarg_preload_length 0
		.amdhsa_user_sgpr_kernarg_preload_offset 0
		.amdhsa_user_sgpr_private_segment_size 0
		.amdhsa_uses_dynamic_stack 0
		.amdhsa_system_sgpr_private_segment_wavefront_offset 1
		.amdhsa_system_sgpr_workgroup_id_x 1
		.amdhsa_system_sgpr_workgroup_id_y 1
		.amdhsa_system_sgpr_workgroup_id_z 1
		.amdhsa_system_sgpr_workgroup_info 0
		.amdhsa_system_vgpr_workitem_id 0
		.amdhsa_next_free_vgpr 80
		.amdhsa_next_free_sgpr 56
		.amdhsa_accum_offset 80
		.amdhsa_reserve_vcc 1
		.amdhsa_reserve_flat_scratch 0
		.amdhsa_float_round_mode_32 0
		.amdhsa_float_round_mode_16_64 0
		.amdhsa_float_denorm_mode_32 3
		.amdhsa_float_denorm_mode_16_64 3
		.amdhsa_dx10_clamp 1
		.amdhsa_ieee_mode 1
		.amdhsa_fp16_overflow 0
		.amdhsa_tg_split 0
		.amdhsa_exception_fp_ieee_invalid_op 0
		.amdhsa_exception_fp_denorm_src 0
		.amdhsa_exception_fp_ieee_div_zero 0
		.amdhsa_exception_fp_ieee_overflow 0
		.amdhsa_exception_fp_ieee_underflow 0
		.amdhsa_exception_fp_ieee_inexact 0
		.amdhsa_exception_int_div_zero 0
	.end_amdhsa_kernel
	.section	.text._Z39paged_attention_ll4mi_QKV_mfma16_kernelI14__hip_bfloat16hLN4vllm18Fp8KVCacheDataTypeE1ES0_Li32ELi128ELi256ELb1ELi1EL8MFMAType0EEvPKT_PKT0_S9_ifPKiSB_SB_iPKfiiiPfSE_PS4_PT2_iSD_SD_,"axG",@progbits,_Z39paged_attention_ll4mi_QKV_mfma16_kernelI14__hip_bfloat16hLN4vllm18Fp8KVCacheDataTypeE1ES0_Li32ELi128ELi256ELb1ELi1EL8MFMAType0EEvPKT_PKT0_S9_ifPKiSB_SB_iPKfiiiPfSE_PS4_PT2_iSD_SD_,comdat
.Lfunc_end942:
	.size	_Z39paged_attention_ll4mi_QKV_mfma16_kernelI14__hip_bfloat16hLN4vllm18Fp8KVCacheDataTypeE1ES0_Li32ELi128ELi256ELb1ELi1EL8MFMAType0EEvPKT_PKT0_S9_ifPKiSB_SB_iPKfiiiPfSE_PS4_PT2_iSD_SD_, .Lfunc_end942-_Z39paged_attention_ll4mi_QKV_mfma16_kernelI14__hip_bfloat16hLN4vllm18Fp8KVCacheDataTypeE1ES0_Li32ELi128ELi256ELb1ELi1EL8MFMAType0EEvPKT_PKT0_S9_ifPKiSB_SB_iPKfiiiPfSE_PS4_PT2_iSD_SD_
                                        ; -- End function
	.section	.AMDGPU.csdata,"",@progbits
; Kernel info:
; codeLenInByte = 22368
; NumSgprs: 60
; NumVgprs: 80
; NumAgprs: 0
; TotalNumVgprs: 80
; ScratchSize: 352
; MemoryBound: 0
; FloatMode: 240
; IeeeMode: 1
; LDSByteSize: 8192 bytes/workgroup (compile time only)
; SGPRBlocks: 7
; VGPRBlocks: 9
; NumSGPRsForWavesPerEU: 60
; NumVGPRsForWavesPerEU: 80
; AccumOffset: 80
; Occupancy: 6
; WaveLimiterHint : 1
; COMPUTE_PGM_RSRC2:SCRATCH_EN: 1
; COMPUTE_PGM_RSRC2:USER_SGPR: 8
; COMPUTE_PGM_RSRC2:TRAP_HANDLER: 0
; COMPUTE_PGM_RSRC2:TGID_X_EN: 1
; COMPUTE_PGM_RSRC2:TGID_Y_EN: 1
; COMPUTE_PGM_RSRC2:TGID_Z_EN: 1
; COMPUTE_PGM_RSRC2:TIDIG_COMP_CNT: 0
; COMPUTE_PGM_RSRC3_GFX90A:ACCUM_OFFSET: 19
; COMPUTE_PGM_RSRC3_GFX90A:TG_SPLIT: 0
	.section	.text._Z39paged_attention_ll4mi_QKV_mfma16_kernelI14__hip_bfloat16hLN4vllm18Fp8KVCacheDataTypeE1ES0_Li32ELi128ELi256ELb1ELi2EL8MFMAType0EEvPKT_PKT0_S9_ifPKiSB_SB_iPKfiiiPfSE_PS4_PT2_iSD_SD_,"axG",@progbits,_Z39paged_attention_ll4mi_QKV_mfma16_kernelI14__hip_bfloat16hLN4vllm18Fp8KVCacheDataTypeE1ES0_Li32ELi128ELi256ELb1ELi2EL8MFMAType0EEvPKT_PKT0_S9_ifPKiSB_SB_iPKfiiiPfSE_PS4_PT2_iSD_SD_,comdat
	.protected	_Z39paged_attention_ll4mi_QKV_mfma16_kernelI14__hip_bfloat16hLN4vllm18Fp8KVCacheDataTypeE1ES0_Li32ELi128ELi256ELb1ELi2EL8MFMAType0EEvPKT_PKT0_S9_ifPKiSB_SB_iPKfiiiPfSE_PS4_PT2_iSD_SD_ ; -- Begin function _Z39paged_attention_ll4mi_QKV_mfma16_kernelI14__hip_bfloat16hLN4vllm18Fp8KVCacheDataTypeE1ES0_Li32ELi128ELi256ELb1ELi2EL8MFMAType0EEvPKT_PKT0_S9_ifPKiSB_SB_iPKfiiiPfSE_PS4_PT2_iSD_SD_
	.globl	_Z39paged_attention_ll4mi_QKV_mfma16_kernelI14__hip_bfloat16hLN4vllm18Fp8KVCacheDataTypeE1ES0_Li32ELi128ELi256ELb1ELi2EL8MFMAType0EEvPKT_PKT0_S9_ifPKiSB_SB_iPKfiiiPfSE_PS4_PT2_iSD_SD_
	.p2align	8
	.type	_Z39paged_attention_ll4mi_QKV_mfma16_kernelI14__hip_bfloat16hLN4vllm18Fp8KVCacheDataTypeE1ES0_Li32ELi128ELi256ELb1ELi2EL8MFMAType0EEvPKT_PKT0_S9_ifPKiSB_SB_iPKfiiiPfSE_PS4_PT2_iSD_SD_,@function
_Z39paged_attention_ll4mi_QKV_mfma16_kernelI14__hip_bfloat16hLN4vllm18Fp8KVCacheDataTypeE1ES0_Li32ELi128ELi256ELb1ELi2EL8MFMAType0EEvPKT_PKT0_S9_ifPKiSB_SB_iPKfiiiPfSE_PS4_PT2_iSD_SD_: ; @_Z39paged_attention_ll4mi_QKV_mfma16_kernelI14__hip_bfloat16hLN4vllm18Fp8KVCacheDataTypeE1ES0_Li32ELi128ELi256ELb1ELi2EL8MFMAType0EEvPKT_PKT0_S9_ifPKiSB_SB_iPKfiiiPfSE_PS4_PT2_iSD_SD_
; %bb.0:
	s_load_dwordx2 s[6:7], s[4:5], 0x30
	s_add_u32 s0, s0, s11
	s_addc_u32 s1, s1, 0
	s_mov_b32 s26, s9
	s_mov_b64 s[14:15], 0
	s_waitcnt lgkmcnt(0)
	s_cmp_lg_u64 s[6:7], 0
	s_cselect_b64 s[12:13], -1, 0
	s_and_b64 vcc, exec, s[12:13]
	s_cbranch_vccz .LBB943_7
; %bb.1:
	s_add_i32 s16, s8, 1
	s_mov_b32 s17, 0
	s_lshl_b64 s[18:19], s[16:17], 2
	s_add_u32 s18, s6, s18
	s_mov_b32 s9, s17
	s_addc_u32 s19, s7, s19
	s_lshl_b64 s[16:17], s[8:9], 2
	s_add_u32 s16, s6, s16
	s_addc_u32 s17, s7, s17
	s_load_dword s11, s[18:19], 0x0
	s_load_dword s20, s[16:17], 0x0
	s_waitcnt lgkmcnt(0)
	s_sub_i32 s11, s11, s20
	s_cmp_eq_u32 s11, 1
	s_cselect_b64 s[16:17], -1, 0
	s_andn2_b64 vcc, exec, s[14:15]
	s_cbranch_vccnz .LBB943_3
.LBB943_2:
	s_mov_b32 s9, 0
	s_mov_b64 s[16:17], -1
.LBB943_3:
	s_andn2_b64 vcc, exec, s[16:17]
	s_cbranch_vccnz .LBB943_599
; %bb.4:
	s_load_dwordx2 s[16:17], s[4:5], 0x28
	s_lshl_b64 s[14:15], s[8:9], 2
	s_waitcnt lgkmcnt(0)
	s_add_u32 s16, s16, s14
	s_addc_u32 s17, s17, s15
	s_load_dword s33, s[16:17], 0x0
	s_lshl_b32 s20, s26, 8
	s_waitcnt lgkmcnt(0)
	s_cmp_ge_i32 s20, s33
	s_cbranch_scc1 .LBB943_599
; %bb.5:
	s_add_i32 s18, s33, 31
	s_load_dwordx2 s[16:17], s[4:5], 0x20
	s_load_dword s11, s[4:5], 0x38
	s_ashr_i32 s19, s18, 31
	v_and_b32_e32 v1, 0xcf, v0
	s_lshr_b32 s19, s19, 27
	v_add_u32_e32 v1, s20, v1
	s_add_i32 s18, s18, s19
	v_ashrrev_i32_e32 v2, 31, v1
	s_ashr_i32 s23, s18, 5
	v_lshrrev_b32_e32 v4, 27, v2
	s_add_i32 s23, s23, -1
	v_add_u32_e32 v2, v1, v4
	s_waitcnt lgkmcnt(0)
	s_mul_i32 s18, s8, s11
	s_mov_b32 s19, 0
	v_ashrrev_i32_e32 v2, 5, v2
	v_mov_b32_e32 v5, s23
	v_cmp_gt_i32_e32 vcc, s33, v1
	s_lshl_b64 s[18:19], s[18:19], 2
	v_cndmask_b32_e32 v2, v5, v2, vcc
	s_add_u32 s21, s16, s18
	v_ashrrev_i32_e32 v3, 31, v2
	s_addc_u32 s22, s17, s19
	v_lshlrev_b64 v[2:3], 2, v[2:3]
	v_mov_b32_e32 v7, s22
	v_add_co_u32_e32 v6, vcc, s21, v2
	v_or_b32_e32 v2, 16, v1
	v_addc_co_u32_e32 v7, vcc, v7, v3, vcc
	v_add_u32_e32 v3, v2, v4
	v_ashrrev_i32_e32 v3, 5, v3
	v_cmp_gt_i32_e32 vcc, s33, v2
	v_cndmask_b32_e32 v2, v5, v3, vcc
	v_ashrrev_i32_e32 v3, 31, v2
	v_lshlrev_b64 v[2:3], 2, v[2:3]
	v_mov_b32_e32 v9, s22
	v_add_co_u32_e32 v8, vcc, s21, v2
	v_or_b32_e32 v2, 32, v1
	v_addc_co_u32_e32 v9, vcc, v9, v3, vcc
	v_add_u32_e32 v3, v2, v4
	v_ashrrev_i32_e32 v3, 5, v3
	v_cmp_gt_i32_e32 vcc, s33, v2
	v_cndmask_b32_e32 v2, v5, v3, vcc
	v_ashrrev_i32_e32 v3, 31, v2
	;; [unrolled: 10-line block ×3, first 2 shown]
	v_lshlrev_b64 v[2:3], 2, v[2:3]
	v_mov_b32_e32 v1, s22
	v_add_co_u32_e32 v12, vcc, s21, v2
	v_addc_co_u32_e32 v13, vcc, v1, v3, vcc
	global_load_dword v5, v[6:7], off
	global_load_dword v4, v[8:9], off
	;; [unrolled: 1-line block ×4, first 2 shown]
	s_load_dwordx2 s[16:17], s[4:5], 0x8
	s_andn2_b64 vcc, exec, s[12:13]
	s_cbranch_vccnz .LBB943_8
; %bb.6:
	s_add_u32 s6, s6, s14
	s_addc_u32 s7, s7, s15
	s_load_dword s11, s[6:7], 0x0
	s_branch .LBB943_9
.LBB943_7:
	s_mov_b64 s[16:17], 0
	s_branch .LBB943_2
.LBB943_8:
	s_mov_b32 s11, s8
.LBB943_9:
	s_load_dwordx2 s[6:7], s[4:5], 0x10
	s_load_dwordx4 s[12:15], s[4:5], 0x48
	v_lshrrev_b32_e32 v27, 6, v0
	v_bfe_u32 v39, v0, 4, 2
	v_and_b32_e32 v41, 15, v0
	v_lshl_or_b32 v6, v27, 2, v39
	v_lshlrev_b32_e32 v1, 3, v41
	s_lshl_b32 s27, s10, 1
	v_cmp_gt_u32_e32 vcc, 2, v6
	v_lshlrev_b32_e32 v1, 1, v1
	v_lshlrev_b32_e32 v43, 4, v0
	s_and_saveexec_b64 s[18:19], vcc
	s_cbranch_execz .LBB943_11
; %bb.10:
	s_load_dwordx2 s[24:25], s[4:5], 0x0
	s_waitcnt lgkmcnt(0)
	s_ashr_i32 s15, s12, 31
	s_mul_hi_u32 s28, s11, s12
	s_mul_i32 s15, s11, s15
	s_add_i32 s29, s28, s15
	s_mul_i32 s28, s11, s12
	s_lshl_b64 s[28:29], s[28:29], 1
	v_add_lshl_u32 v8, v39, s27, 7
	s_add_u32 s11, s24, s28
	v_ashrrev_i32_e32 v9, 31, v8
	s_addc_u32 s12, s25, s29
	v_lshlrev_b64 v[8:9], 1, v[8:9]
	v_mov_b32_e32 v7, s12
	v_add_co_u32_e32 v8, vcc, s11, v8
	v_addc_co_u32_e32 v7, vcc, v7, v9, vcc
	v_add_co_u32_e32 v8, vcc, v8, v1
	v_addc_co_u32_e32 v9, vcc, 0, v7, vcc
	global_load_dwordx4 v[8:11], v[8:9], off
	v_lshlrev_b32_e32 v12, 8, v0
	v_lshlrev_b32_e32 v7, 8, v41
	v_and_b32_e32 v12, 0x600, v12
	s_movk_i32 s11, 0x800
	v_and_or_b32 v7, v7, s11, v12
	v_lshlrev_b32_e32 v6, 5, v6
	v_and_b32_e32 v12, 16, v43
	v_or3_b32 v6, v7, v6, v12
	s_waitcnt vmcnt(0)
	ds_write_b128 v6, v[8:11]
.LBB943_11:
	s_or_b64 exec, exec, s[18:19]
	s_waitcnt lgkmcnt(0)
	s_mul_i32 s14, s10, s14
	s_add_u32 s10, s16, s14
	s_addc_u32 s11, s17, 0
	v_pk_mov_b32 v[6:7], s[10:11], s[10:11] op_sel:[0,1]
	s_waitcnt vmcnt(3)
	v_mad_i64_i32 v[8:9], s[10:11], v5, s13, v[6:7]
	v_lshlrev_b32_e32 v11, 4, v41
	v_and_b32_e32 v18, 48, v0
	v_add_co_u32_e32 v5, vcc, v8, v11
	v_lshlrev_b32_e32 v10, 5, v18
	v_addc_co_u32_e32 v9, vcc, 0, v9, vcc
	v_add_co_u32_e32 v8, vcc, v5, v10
	v_addc_co_u32_e32 v9, vcc, 0, v9, vcc
	s_load_dwordx2 s[48:49], s[4:5], 0x94
	s_waitcnt lgkmcnt(0)
	s_barrier
	global_load_dwordx4 v[20:23], v[8:9], off
	global_load_dwordx4 v[28:31], v[8:9], off offset:2048
	s_waitcnt vmcnt(4)
	v_mad_i64_i32 v[4:5], s[10:11], v4, s13, v[6:7]
	v_or_b32_e32 v8, 0x100, v11
	v_add_co_u32_e32 v4, vcc, v4, v8
	v_addc_co_u32_e32 v5, vcc, 0, v5, vcc
	v_add_co_u32_e32 v4, vcc, v4, v10
	v_addc_co_u32_e32 v5, vcc, 0, v5, vcc
	global_load_dwordx4 v[32:35], v[4:5], off
	global_load_dwordx4 v[44:47], v[4:5], off offset:2048
	s_waitcnt vmcnt(5)
	v_mad_i64_i32 v[4:5], s[10:11], v3, s13, v[6:7]
	v_add_co_u32_e32 v3, vcc, v4, v11
	v_addc_co_u32_e32 v5, vcc, 0, v5, vcc
	v_add_co_u32_e32 v4, vcc, v3, v10
	v_addc_co_u32_e32 v5, vcc, 0, v5, vcc
	s_waitcnt vmcnt(4)
	v_mad_i64_i32 v[2:3], s[10:11], v2, s13, v[6:7]
	v_add_co_u32_e32 v2, vcc, v2, v8
	v_addc_co_u32_e32 v3, vcc, 0, v3, vcc
	v_add_co_u32_e32 v2, vcc, v2, v10
	v_addc_co_u32_e32 v3, vcc, 0, v3, vcc
	global_load_dwordx4 v[48:51], v[4:5], off
	global_load_dwordx4 v[52:55], v[4:5], off offset:2048
	global_load_dwordx4 v[56:59], v[2:3], off
	global_load_dwordx4 v[60:63], v[2:3], off offset:2048
	v_and_b32_e32 v2, 1, v0
	v_lshlrev_b32_e32 v2, 5, v2
	v_lshl_or_b32 v14, v39, 9, v2
	s_load_dwordx2 s[50:51], s[4:5], 0x68
	s_load_dwordx4 s[44:47], s[4:5], 0x58
	ds_read_b128 v[2:5], v14
	ds_read_b128 v[6:9], v14 offset:16
	ds_read_b128 v[10:13], v14 offset:2048
	;; [unrolled: 1-line block ×3, first 2 shown]
	s_mov_b32 s12, 0
	v_cmp_gt_u32_e32 vcc, 2, v41
	s_waitcnt vmcnt(7)
	buffer_store_dword v23, off, s[0:3], 0 offset:12
	buffer_store_dword v22, off, s[0:3], 0 offset:8
	;; [unrolled: 1-line block ×3, first 2 shown]
	buffer_store_dword v20, off, s[0:3], 0
	s_waitcnt vmcnt(10)
	buffer_store_dword v31, off, s[0:3], 0 offset:28
	buffer_store_dword v30, off, s[0:3], 0 offset:24
	buffer_store_dword v29, off, s[0:3], 0 offset:20
	buffer_store_dword v28, off, s[0:3], 0 offset:16
	s_waitcnt vmcnt(13)
	buffer_store_dword v35, off, s[0:3], 0 offset:44
	buffer_store_dword v34, off, s[0:3], 0 offset:40
	buffer_store_dword v33, off, s[0:3], 0 offset:36
	buffer_store_dword v32, off, s[0:3], 0 offset:32
	;; [unrolled: 5-line block ×7, first 2 shown]
	v_mov_b32_e32 v33, 0
	v_mov_b32_e32 v31, 0
	s_and_saveexec_b64 s[10:11], vcc
	s_cbranch_execz .LBB943_13
; %bb.12:
	s_load_dwordx2 s[16:17], s[4:5], 0x40
	v_or_b32_e32 v20, s27, v41
	v_ashrrev_i32_e32 v21, 31, v20
	v_lshlrev_b64 v[20:21], 2, v[20:21]
	s_waitcnt lgkmcnt(0)
	v_mov_b32_e32 v19, s17
	v_add_co_u32_e32 v20, vcc, s16, v20
	v_addc_co_u32_e32 v21, vcc, v19, v21, vcc
	global_load_dword v31, v[20:21], off
.LBB943_13:
	s_or_b64 exec, exec, s[10:11]
	s_ashr_i32 s10, s20, 31
	v_or_b32_e32 v24, s20, v18
	s_lshr_b32 s10, s10, 27
	v_add_u32_e32 v18, s10, v24
	v_ashrrev_i32_e32 v18, 5, v18
	v_mov_b32_e32 v25, s23
	v_cmp_gt_i32_e32 vcc, s33, v24
	v_cndmask_b32_e32 v18, v25, v18, vcc
	v_ashrrev_i32_e32 v19, 31, v18
	v_lshlrev_b64 v[18:19], 2, v[18:19]
	v_mov_b32_e32 v20, s22
	v_add_co_u32_e32 v18, vcc, s21, v18
	v_addc_co_u32_e32 v19, vcc, v20, v19, vcc
	v_or_b32_e32 v20, 64, v24
	v_add_u32_e32 v21, s10, v20
	v_ashrrev_i32_e32 v21, 5, v21
	v_cmp_gt_i32_e32 vcc, s33, v20
	v_cndmask_b32_e32 v20, v25, v21, vcc
	v_ashrrev_i32_e32 v21, 31, v20
	v_lshlrev_b64 v[20:21], 2, v[20:21]
	v_mov_b32_e32 v22, s22
	v_add_co_u32_e32 v20, vcc, s21, v20
	v_addc_co_u32_e32 v21, vcc, v22, v21, vcc
	v_or_b32_e32 v22, 0x80, v24
	v_add_u32_e32 v23, s10, v22
	v_ashrrev_i32_e32 v23, 5, v23
	v_cmp_gt_i32_e32 vcc, s33, v22
	v_cndmask_b32_e32 v22, v25, v23, vcc
	v_ashrrev_i32_e32 v23, 31, v22
	v_lshlrev_b64 v[22:23], 2, v[22:23]
	v_mov_b32_e32 v26, s22
	v_add_co_u32_e32 v22, vcc, s21, v22
	v_addc_co_u32_e32 v23, vcc, v26, v23, vcc
	global_load_dword v26, v[18:19], off
	global_load_dword v28, v[20:21], off
	;; [unrolled: 1-line block ×3, first 2 shown]
	v_or_b32_e32 v18, 0xc0, v24
	v_add_u32_e32 v19, s10, v18
	v_ashrrev_i32_e32 v19, 5, v19
	v_cmp_gt_i32_e32 vcc, s33, v18
	v_cndmask_b32_e32 v18, v25, v19, vcc
	v_ashrrev_i32_e32 v19, 31, v18
	v_lshlrev_b64 v[18:19], 2, v[18:19]
	v_mov_b32_e32 v20, s22
	v_add_co_u32_e32 v18, vcc, s21, v18
	v_addc_co_u32_e32 v19, vcc, v20, v19, vcc
	global_load_dword v32, v[18:19], off
	s_add_u32 s6, s6, s14
	v_and_b32_e32 v18, 16, v0
	s_addc_u32 s7, s7, 0
	v_lshl_or_b32 v29, v27, 4, v41
	v_mov_b32_e32 v20, s7
	v_add_co_u32_e32 v35, vcc, s6, v18
	v_lshlrev_b32_e32 v19, 5, v29
	v_addc_co_u32_e32 v36, vcc, 0, v20, vcc
	v_add_co_u32_e32 v22, vcc, v35, v19
	v_addc_co_u32_e32 v23, vcc, 0, v36, vcc
	v_or_b32_e32 v34, 0x800, v19
	v_and_b32_e32 v45, 63, v0
	s_movk_i32 s14, 0x7f
	s_mov_b32 s15, 0xffffff
	s_mov_b32 s16, 0x5040100
	v_bfrev_b32_e32 v37, 60
	s_waitcnt vmcnt(3)
	v_mad_i64_i32 v[18:19], s[6:7], v26, s13, v[22:23]
	s_waitcnt vmcnt(2)
	v_mad_i64_i32 v[24:25], s[6:7], v28, s13, v[22:23]
	global_load_dwordx4 v[18:21], v[18:19], off
	s_nop 0
	global_load_dwordx4 v[54:57], v[24:25], off
	s_waitcnt vmcnt(3)
	v_mad_i64_i32 v[24:25], s[6:7], v30, s13, v[22:23]
	s_waitcnt vmcnt(2)
	v_mad_i64_i32 v[22:23], s[6:7], v32, s13, v[22:23]
	global_load_dwordx4 v[58:61], v[24:25], off
	global_load_dwordx4 v[62:65], v[22:23], off
	v_add_co_u32_e32 v22, vcc, v35, v34
	v_addc_co_u32_e32 v23, vcc, 0, v36, vcc
	v_mad_i64_i32 v[24:25], s[6:7], v26, s13, v[22:23]
	global_load_dwordx4 v[66:69], v[24:25], off
	v_mad_i64_i32 v[24:25], s[6:7], v28, s13, v[22:23]
	global_load_dwordx4 v[70:73], v[24:25], off
	;; [unrolled: 2-line block ×4, first 2 shown]
	s_load_dword s6, s[4:5], 0x1c
	s_load_dwordx4 s[40:43], s[4:5], 0x80
	v_mov_b32_e32 v22, 0x80
	v_add_u32_e32 v47, 16, v22
	v_add_u32_e32 v46, 32, v22
	;; [unrolled: 1-line block ×3, first 2 shown]
	s_waitcnt lgkmcnt(0)
	s_load_dword s4, s[40:41], 0x0
	v_add_u32_e32 v52, 64, v22
	v_add_u32_e32 v49, 0x50, v22
	;; [unrolled: 1-line block ×4, first 2 shown]
	v_mov_b32_e32 v22, s6
	s_waitcnt lgkmcnt(0)
	v_mul_f32_e32 v22, s4, v22
	s_movk_i32 s13, 0x80
	v_mov_b32_e32 v35, 0
	v_mov_b32_e32 v36, 0x100
	;; [unrolled: 1-line block ×4, first 2 shown]
	s_waitcnt vmcnt(7)
	buffer_store_dword v21, off, s[0:3], 0 offset:140
	buffer_store_dword v20, off, s[0:3], 0 offset:136
	buffer_store_dword v19, off, s[0:3], 0 offset:132
	buffer_store_dword v18, off, s[0:3], 0 offset:128
	s_waitcnt vmcnt(10)
	buffer_store_dword v57, off, s[0:3], 0 offset:172
	buffer_store_dword v56, off, s[0:3], 0 offset:168
	buffer_store_dword v55, off, s[0:3], 0 offset:164
	buffer_store_dword v54, off, s[0:3], 0 offset:160
	s_waitcnt vmcnt(13)
	buffer_store_dword v61, off, s[0:3], 0 offset:204
	buffer_store_dword v60, off, s[0:3], 0 offset:200
	buffer_store_dword v59, off, s[0:3], 0 offset:196
	buffer_store_dword v58, off, s[0:3], 0 offset:192
	s_waitcnt vmcnt(16)
	buffer_store_dword v65, off, s[0:3], 0 offset:236
	buffer_store_dword v64, off, s[0:3], 0 offset:232
	buffer_store_dword v63, off, s[0:3], 0 offset:228
	buffer_store_dword v62, off, s[0:3], 0 offset:224
	s_waitcnt vmcnt(19)
	buffer_store_dword v69, off, s[0:3], 0 offset:156
	buffer_store_dword v68, off, s[0:3], 0 offset:152
	buffer_store_dword v67, off, s[0:3], 0 offset:148
	buffer_store_dword v66, off, s[0:3], 0 offset:144
	s_waitcnt vmcnt(22)
	buffer_store_dword v73, off, s[0:3], 0 offset:188
	buffer_store_dword v72, off, s[0:3], 0 offset:184
	buffer_store_dword v71, off, s[0:3], 0 offset:180
	buffer_store_dword v70, off, s[0:3], 0 offset:176
	s_waitcnt vmcnt(25)
	buffer_store_dword v77, off, s[0:3], 0 offset:220
	buffer_store_dword v76, off, s[0:3], 0 offset:216
	buffer_store_dword v75, off, s[0:3], 0 offset:212
	buffer_store_dword v74, off, s[0:3], 0 offset:208
	s_waitcnt vmcnt(28)
	buffer_store_dword v81, off, s[0:3], 0 offset:252
	buffer_store_dword v80, off, s[0:3], 0 offset:248
	buffer_store_dword v79, off, s[0:3], 0 offset:244
	buffer_store_dword v78, off, s[0:3], 0 offset:240
	s_branch .LBB943_17
.LBB943_14:                             ;   in Loop: Header=BB943_17 Depth=1
	s_or_b64 exec, exec, s[10:11]
.LBB943_15:                             ;   in Loop: Header=BB943_17 Depth=1
	s_or_b64 exec, exec, s[6:7]
.LBB943_16:                             ;   in Loop: Header=BB943_17 Depth=1
	s_or_b64 exec, exec, s[4:5]
	v_perm_b32 v55, v38, v34, s16
	v_perm_b32 v54, v23, v32, s16
	v_add_u32_e32 v26, s12, v36
	s_add_i32 s12, s12, 16
	v_mov_b32_e32 v23, v22
	v_mfma_f32_16x16x16bf16_1k v[18:21], v[54:55], v[14:15], v[18:21]
	v_perm_b32 v55, v44, v42, s16
	v_perm_b32 v54, v30, v40, s16
	s_cmp_eq_u32 s12, 64
	v_add_u32_e32 v35, 32, v35
	v_mfma_f32_16x16x16bf16_1k v[18:21], v[54:55], v[16:17], v[18:21]
	s_nop 7
	s_nop 2
	v_pk_mul_f32 v[18:19], v[24:25], v[18:19]
	v_pk_mul_f32 v[20:21], v[22:23], v[20:21]
	buffer_store_dword v19, v26, s[0:3], 0 offen offset:4
	buffer_store_dword v18, v26, s[0:3], 0 offen
	buffer_store_dword v21, v26, s[0:3], 0 offen offset:12
	buffer_store_dword v20, v26, s[0:3], 0 offen offset:8
	s_cbranch_scc1 .LBB943_207
.LBB943_17:                             ; =>This Inner Loop Header: Depth=1
	buffer_load_dword v20, v35, s[0:3], 0 offen
	buffer_load_dword v18, v35, s[0:3], 0 offen offset:4
	buffer_load_dword v28, v35, s[0:3], 0 offen offset:8
	;; [unrolled: 1-line block ×3, first 2 shown]
	v_mov_b32_e32 v19, 0
	v_mov_b32_e32 v21, 0
	s_waitcnt vmcnt(3)
	v_cmp_ne_u16_sdwa s[6:7], v20, v33 src0_sel:BYTE_0 src1_sel:DWORD
	s_and_saveexec_b64 s[4:5], s[6:7]
	s_cbranch_execz .LBB943_23
; %bb.18:                               ;   in Loop: Header=BB943_17 Depth=1
	v_cmp_ne_u16_sdwa s[10:11], v20, s13 src0_sel:BYTE_0 src1_sel:DWORD
	v_mov_b32_e32 v21, 0xffff8000
	s_and_saveexec_b64 s[6:7], s[10:11]
	s_cbranch_execz .LBB943_22
; %bb.19:                               ;   in Loop: Header=BB943_17 Depth=1
	v_and_b32_e32 v23, 0x7f, v20
	v_cmp_ne_u32_e32 vcc, s14, v23
	v_mov_b32_e32 v21, 0x7f80
	s_and_saveexec_b64 s[10:11], vcc
	s_cbranch_execz .LBB943_21
; %bb.20:                               ;   in Loop: Header=BB943_17 Depth=1
	v_and_b32_e32 v21, 7, v20
	v_ffbh_u32_e32 v32, v21
	v_min_u32_e32 v32, 32, v32
	v_subrev_u32_e32 v34, 28, v32
	v_lshlrev_b64 v[54:55], v34, v[20:21]
	v_lshrrev_b32_e32 v30, 3, v23
	v_sub_u32_e32 v32, 29, v32
	v_and_b32_e32 v34, 7, v54
	v_cmp_gt_u32_e32 vcc, 8, v23
	v_cndmask_b32_e32 v23, v30, v32, vcc
	v_cndmask_b32_e32 v21, v21, v34, vcc
	v_lshlrev_b32_e32 v30, 24, v20
	v_lshlrev_b32_e32 v21, 20, v21
	v_and_b32_e32 v30, 0x80000000, v30
	v_lshl_add_u32 v23, v23, 23, v37
	v_or3_b32 v21, v30, v23, v21
	v_lshrrev_b32_e32 v21, 16, v21
.LBB943_21:                             ;   in Loop: Header=BB943_17 Depth=1
	s_or_b64 exec, exec, s[10:11]
.LBB943_22:                             ;   in Loop: Header=BB943_17 Depth=1
	s_or_b64 exec, exec, s[6:7]
.LBB943_23:                             ;   in Loop: Header=BB943_17 Depth=1
	s_or_b64 exec, exec, s[4:5]
	v_lshrrev_b16_e32 v30, 8, v20
	v_cmp_ne_u16_e32 vcc, 0, v30
	s_and_saveexec_b64 s[4:5], vcc
	s_cbranch_execz .LBB943_29
; %bb.24:                               ;   in Loop: Header=BB943_17 Depth=1
	v_cmp_ne_u16_e32 vcc, s13, v30
	v_mov_b32_e32 v19, 0xffff8000
	s_and_saveexec_b64 s[6:7], vcc
	s_cbranch_execz .LBB943_28
; %bb.25:                               ;   in Loop: Header=BB943_17 Depth=1
	v_and_b32_e32 v23, 0x7f, v30
	v_cmp_ne_u32_e32 vcc, s14, v23
	v_mov_b32_e32 v19, 0x7f80
	s_and_saveexec_b64 s[10:11], vcc
	s_cbranch_execz .LBB943_27
; %bb.26:                               ;   in Loop: Header=BB943_17 Depth=1
	v_and_b32_e32 v19, 7, v30
	v_ffbh_u32_e32 v34, v19
	v_min_u32_e32 v34, 32, v34
	v_subrev_u32_e32 v38, 28, v34
	v_lshlrev_b64 v[54:55], v38, v[30:31]
	v_lshrrev_b32_e32 v32, 3, v23
	v_sub_u32_e32 v30, 29, v34
	v_and_b32_e32 v34, 7, v54
	v_cmp_gt_u32_e32 vcc, 8, v23
	v_cndmask_b32_e32 v23, v32, v30, vcc
	v_cndmask_b32_e32 v19, v19, v34, vcc
	v_lshlrev_b32_e32 v30, 16, v20
	v_lshlrev_b32_e32 v19, 20, v19
	v_and_b32_e32 v30, 0x80000000, v30
	v_lshl_add_u32 v23, v23, 23, v37
	v_or3_b32 v19, v30, v23, v19
	v_lshrrev_b32_e32 v19, 16, v19
.LBB943_27:                             ;   in Loop: Header=BB943_17 Depth=1
	s_or_b64 exec, exec, s[10:11]
.LBB943_28:                             ;   in Loop: Header=BB943_17 Depth=1
	s_or_b64 exec, exec, s[6:7]
.LBB943_29:                             ;   in Loop: Header=BB943_17 Depth=1
	s_or_b64 exec, exec, s[4:5]
	v_lshrrev_b32_e32 v30, 16, v20
	v_cmp_ne_u16_sdwa s[6:7], v30, v33 src0_sel:BYTE_0 src1_sel:DWORD
	v_mov_b32_e32 v32, 0
	v_mov_b32_e32 v23, 0
	s_and_saveexec_b64 s[4:5], s[6:7]
	s_cbranch_execz .LBB943_35
; %bb.30:                               ;   in Loop: Header=BB943_17 Depth=1
	v_cmp_ne_u16_sdwa s[10:11], v30, s13 src0_sel:BYTE_0 src1_sel:DWORD
	v_mov_b32_e32 v23, 0xffff8000
	s_and_saveexec_b64 s[6:7], s[10:11]
	s_cbranch_execz .LBB943_34
; %bb.31:                               ;   in Loop: Header=BB943_17 Depth=1
	v_bfe_u32 v34, v20, 16, 7
	v_cmp_ne_u32_e32 vcc, s14, v34
	v_mov_b32_e32 v23, 0x7f80
	s_and_saveexec_b64 s[10:11], vcc
	s_cbranch_execz .LBB943_33
; %bb.32:                               ;   in Loop: Header=BB943_17 Depth=1
	v_and_b32_e32 v23, 7, v30
	v_ffbh_u32_e32 v40, v23
	v_min_u32_e32 v40, 32, v40
	v_subrev_u32_e32 v42, 28, v40
	v_lshlrev_b64 v[54:55], v42, v[30:31]
	v_lshrrev_b32_e32 v38, 3, v34
	v_sub_u32_e32 v40, 29, v40
	v_and_b32_e32 v42, 7, v54
	v_cmp_gt_u32_e32 vcc, 8, v34
	v_cndmask_b32_e32 v34, v38, v40, vcc
	v_cndmask_b32_e32 v23, v23, v42, vcc
	v_lshlrev_b32_e32 v30, 24, v30
	v_lshlrev_b32_e32 v23, 20, v23
	v_and_b32_e32 v30, 0x80000000, v30
	v_lshl_add_u32 v34, v34, 23, v37
	v_or3_b32 v23, v30, v34, v23
	v_lshrrev_b32_e32 v23, 16, v23
.LBB943_33:                             ;   in Loop: Header=BB943_17 Depth=1
	s_or_b64 exec, exec, s[10:11]
.LBB943_34:                             ;   in Loop: Header=BB943_17 Depth=1
	s_or_b64 exec, exec, s[6:7]
.LBB943_35:                             ;   in Loop: Header=BB943_17 Depth=1
	s_or_b64 exec, exec, s[4:5]
	v_cmp_lt_u32_e32 vcc, s15, v20
	s_and_saveexec_b64 s[4:5], vcc
	s_cbranch_execz .LBB943_41
; %bb.36:                               ;   in Loop: Header=BB943_17 Depth=1
	v_lshrrev_b32_e32 v30, 24, v20
	v_cmp_ne_u32_e32 vcc, s13, v30
	v_mov_b32_e32 v32, 0xffff8000
	s_and_saveexec_b64 s[6:7], vcc
	s_cbranch_execz .LBB943_40
; %bb.37:                               ;   in Loop: Header=BB943_17 Depth=1
	v_bfe_u32 v20, v20, 24, 7
	v_cmp_ne_u32_e32 vcc, s14, v20
	v_mov_b32_e32 v32, 0x7f80
	s_and_saveexec_b64 s[10:11], vcc
	s_cbranch_execz .LBB943_39
; %bb.38:                               ;   in Loop: Header=BB943_17 Depth=1
	v_and_b32_e32 v32, 7, v30
	v_ffbh_u32_e32 v38, v32
	v_min_u32_e32 v38, 32, v38
	v_subrev_u32_e32 v40, 28, v38
	v_lshlrev_b64 v[54:55], v40, v[30:31]
	v_lshrrev_b32_e32 v34, 3, v20
	v_sub_u32_e32 v38, 29, v38
	v_and_b32_e32 v40, 7, v54
	v_cmp_gt_u32_e32 vcc, 8, v20
	v_cndmask_b32_e32 v20, v34, v38, vcc
	v_cndmask_b32_e32 v32, v32, v40, vcc
	v_lshlrev_b32_e32 v30, 24, v30
	v_lshlrev_b32_e32 v32, 20, v32
	v_and_b32_e32 v30, 0x80000000, v30
	v_lshl_add_u32 v20, v20, 23, v37
	v_or3_b32 v20, v30, v20, v32
	v_lshrrev_b32_e32 v32, 16, v20
.LBB943_39:                             ;   in Loop: Header=BB943_17 Depth=1
	s_or_b64 exec, exec, s[10:11]
.LBB943_40:                             ;   in Loop: Header=BB943_17 Depth=1
	s_or_b64 exec, exec, s[6:7]
.LBB943_41:                             ;   in Loop: Header=BB943_17 Depth=1
	s_or_b64 exec, exec, s[4:5]
	s_waitcnt vmcnt(2)
	v_cmp_ne_u16_sdwa s[6:7], v18, v33 src0_sel:BYTE_0 src1_sel:DWORD
	v_mov_b32_e32 v30, 0
	v_mov_b32_e32 v34, 0
	s_and_saveexec_b64 s[4:5], s[6:7]
	s_cbranch_execz .LBB943_47
; %bb.42:                               ;   in Loop: Header=BB943_17 Depth=1
	v_cmp_ne_u16_sdwa s[10:11], v18, s13 src0_sel:BYTE_0 src1_sel:DWORD
	v_mov_b32_e32 v34, 0xffff8000
	s_and_saveexec_b64 s[6:7], s[10:11]
	s_cbranch_execz .LBB943_46
; %bb.43:                               ;   in Loop: Header=BB943_17 Depth=1
	v_and_b32_e32 v20, 0x7f, v18
	v_cmp_ne_u32_e32 vcc, s14, v20
	v_mov_b32_e32 v34, 0x7f80
	s_and_saveexec_b64 s[10:11], vcc
	s_cbranch_execz .LBB943_45
; %bb.44:                               ;   in Loop: Header=BB943_17 Depth=1
	v_and_b32_e32 v34, 7, v18
	v_ffbh_u32_e32 v40, v34
	v_min_u32_e32 v40, 32, v40
	v_subrev_u32_e32 v42, 28, v40
	v_lshlrev_b64 v[54:55], v42, v[18:19]
	v_lshrrev_b32_e32 v38, 3, v20
	v_sub_u32_e32 v40, 29, v40
	v_and_b32_e32 v42, 7, v54
	v_cmp_gt_u32_e32 vcc, 8, v20
	v_cndmask_b32_e32 v20, v38, v40, vcc
	v_cndmask_b32_e32 v34, v34, v42, vcc
	v_lshlrev_b32_e32 v38, 24, v18
	v_lshlrev_b32_e32 v34, 20, v34
	v_and_b32_e32 v38, 0x80000000, v38
	v_lshl_add_u32 v20, v20, 23, v37
	v_or3_b32 v20, v38, v20, v34
	v_lshrrev_b32_e32 v34, 16, v20
.LBB943_45:                             ;   in Loop: Header=BB943_17 Depth=1
	s_or_b64 exec, exec, s[10:11]
.LBB943_46:                             ;   in Loop: Header=BB943_17 Depth=1
	s_or_b64 exec, exec, s[6:7]
.LBB943_47:                             ;   in Loop: Header=BB943_17 Depth=1
	s_or_b64 exec, exec, s[4:5]
	v_lshrrev_b16_e32 v20, 8, v18
	v_cmp_ne_u16_e32 vcc, 0, v20
	s_and_saveexec_b64 s[4:5], vcc
	s_cbranch_execz .LBB943_53
; %bb.48:                               ;   in Loop: Header=BB943_17 Depth=1
	v_cmp_ne_u16_e32 vcc, s13, v20
	v_mov_b32_e32 v30, 0xffff8000
	s_and_saveexec_b64 s[6:7], vcc
	s_cbranch_execz .LBB943_52
; %bb.49:                               ;   in Loop: Header=BB943_17 Depth=1
	v_and_b32_e32 v38, 0x7f, v20
	v_cmp_ne_u32_e32 vcc, s14, v38
	v_mov_b32_e32 v30, 0x7f80
	s_and_saveexec_b64 s[10:11], vcc
	s_cbranch_execz .LBB943_51
; %bb.50:                               ;   in Loop: Header=BB943_17 Depth=1
	v_and_b32_e32 v30, 7, v20
	v_ffbh_u32_e32 v42, v30
	v_min_u32_e32 v42, 32, v42
	v_subrev_u32_e32 v44, 28, v42
	v_lshlrev_b64 v[54:55], v44, v[20:21]
	v_lshrrev_b32_e32 v40, 3, v38
	v_sub_u32_e32 v20, 29, v42
	v_and_b32_e32 v42, 7, v54
	v_cmp_gt_u32_e32 vcc, 8, v38
	v_cndmask_b32_e32 v20, v40, v20, vcc
	v_cndmask_b32_e32 v30, v30, v42, vcc
	v_lshlrev_b32_e32 v38, 16, v18
	v_lshlrev_b32_e32 v30, 20, v30
	v_and_b32_e32 v38, 0x80000000, v38
	v_lshl_add_u32 v20, v20, 23, v37
	v_or3_b32 v20, v38, v20, v30
	v_lshrrev_b32_e32 v30, 16, v20
.LBB943_51:                             ;   in Loop: Header=BB943_17 Depth=1
	s_or_b64 exec, exec, s[10:11]
.LBB943_52:                             ;   in Loop: Header=BB943_17 Depth=1
	s_or_b64 exec, exec, s[6:7]
.LBB943_53:                             ;   in Loop: Header=BB943_17 Depth=1
	s_or_b64 exec, exec, s[4:5]
	v_lshrrev_b32_e32 v20, 16, v18
	v_cmp_ne_u16_sdwa s[6:7], v20, v33 src0_sel:BYTE_0 src1_sel:DWORD
	v_mov_b32_e32 v40, 0
	v_mov_b32_e32 v38, 0
	s_and_saveexec_b64 s[4:5], s[6:7]
	s_cbranch_execz .LBB943_59
; %bb.54:                               ;   in Loop: Header=BB943_17 Depth=1
	v_cmp_ne_u16_sdwa s[10:11], v20, s13 src0_sel:BYTE_0 src1_sel:DWORD
	v_mov_b32_e32 v38, 0xffff8000
	s_and_saveexec_b64 s[6:7], s[10:11]
	s_cbranch_execz .LBB943_58
; %bb.55:                               ;   in Loop: Header=BB943_17 Depth=1
	v_bfe_u32 v42, v18, 16, 7
	v_cmp_ne_u32_e32 vcc, s14, v42
	v_mov_b32_e32 v38, 0x7f80
	s_and_saveexec_b64 s[10:11], vcc
	s_cbranch_execz .LBB943_57
; %bb.56:                               ;   in Loop: Header=BB943_17 Depth=1
	v_and_b32_e32 v38, 7, v20
	v_ffbh_u32_e32 v53, v38
	v_min_u32_e32 v53, 32, v53
	v_subrev_u32_e32 v54, 28, v53
	v_lshlrev_b64 v[54:55], v54, v[20:21]
	v_lshrrev_b32_e32 v44, 3, v42
	v_sub_u32_e32 v53, 29, v53
	v_and_b32_e32 v54, 7, v54
	v_cmp_gt_u32_e32 vcc, 8, v42
	v_cndmask_b32_e32 v42, v44, v53, vcc
	v_cndmask_b32_e32 v38, v38, v54, vcc
	v_lshlrev_b32_e32 v20, 24, v20
	v_lshlrev_b32_e32 v38, 20, v38
	v_and_b32_e32 v20, 0x80000000, v20
	v_lshl_add_u32 v42, v42, 23, v37
	v_or3_b32 v20, v20, v42, v38
	v_lshrrev_b32_e32 v38, 16, v20
.LBB943_57:                             ;   in Loop: Header=BB943_17 Depth=1
	s_or_b64 exec, exec, s[10:11]
.LBB943_58:                             ;   in Loop: Header=BB943_17 Depth=1
	s_or_b64 exec, exec, s[6:7]
.LBB943_59:                             ;   in Loop: Header=BB943_17 Depth=1
	s_or_b64 exec, exec, s[4:5]
	v_cmp_lt_u32_e32 vcc, s15, v18
	s_and_saveexec_b64 s[4:5], vcc
	s_cbranch_execz .LBB943_65
; %bb.60:                               ;   in Loop: Header=BB943_17 Depth=1
	v_lshrrev_b32_e32 v20, 24, v18
	v_cmp_ne_u32_e32 vcc, s13, v20
	v_mov_b32_e32 v40, 0xffff8000
	s_and_saveexec_b64 s[6:7], vcc
	s_cbranch_execz .LBB943_64
; %bb.61:                               ;   in Loop: Header=BB943_17 Depth=1
	v_bfe_u32 v18, v18, 24, 7
	v_cmp_ne_u32_e32 vcc, s14, v18
	v_mov_b32_e32 v40, 0x7f80
	s_and_saveexec_b64 s[10:11], vcc
	s_cbranch_execz .LBB943_63
; %bb.62:                               ;   in Loop: Header=BB943_17 Depth=1
	v_and_b32_e32 v40, 7, v20
	v_ffbh_u32_e32 v44, v40
	v_min_u32_e32 v44, 32, v44
	v_subrev_u32_e32 v53, 28, v44
	v_lshlrev_b64 v[54:55], v53, v[20:21]
	v_lshrrev_b32_e32 v42, 3, v18
	v_sub_u32_e32 v44, 29, v44
	v_and_b32_e32 v53, 7, v54
	v_cmp_gt_u32_e32 vcc, 8, v18
	v_cndmask_b32_e32 v18, v42, v44, vcc
	v_cndmask_b32_e32 v40, v40, v53, vcc
	v_lshlrev_b32_e32 v20, 24, v20
	v_lshlrev_b32_e32 v40, 20, v40
	v_and_b32_e32 v20, 0x80000000, v20
	v_lshl_add_u32 v18, v18, 23, v37
	v_or3_b32 v18, v20, v18, v40
	v_lshrrev_b32_e32 v40, 16, v18
.LBB943_63:                             ;   in Loop: Header=BB943_17 Depth=1
	s_or_b64 exec, exec, s[10:11]
.LBB943_64:                             ;   in Loop: Header=BB943_17 Depth=1
	s_or_b64 exec, exec, s[6:7]
.LBB943_65:                             ;   in Loop: Header=BB943_17 Depth=1
	s_or_b64 exec, exec, s[4:5]
	v_perm_b32 v55, v32, v23, s16
	v_perm_b32 v54, v19, v21, s16
	s_waitcnt vmcnt(1)
	v_cmp_ne_u16_sdwa s[6:7], v28, v33 src0_sel:BYTE_0 src1_sel:DWORD
	v_mov_b32_e32 v23, 0
	v_mov_b32_e32 v32, 0
	v_mfma_f32_16x16x16bf16_1k v[18:21], v[54:55], v[2:3], 0
	v_perm_b32 v55, v40, v38, s16
	v_perm_b32 v54, v30, v34, s16
	s_nop 1
	v_mfma_f32_16x16x16bf16_1k v[18:21], v[54:55], v[4:5], v[18:21]
	s_and_saveexec_b64 s[4:5], s[6:7]
	s_cbranch_execz .LBB943_71
; %bb.66:                               ;   in Loop: Header=BB943_17 Depth=1
	v_cmp_ne_u16_sdwa s[10:11], v28, s13 src0_sel:BYTE_0 src1_sel:DWORD
	v_mov_b32_e32 v32, 0xffff8000
	s_and_saveexec_b64 s[6:7], s[10:11]
	s_cbranch_execz .LBB943_70
; %bb.67:                               ;   in Loop: Header=BB943_17 Depth=1
	v_and_b32_e32 v30, 0x7f, v28
	v_cmp_ne_u32_e32 vcc, s14, v30
	v_mov_b32_e32 v32, 0x7f80
	s_and_saveexec_b64 s[10:11], vcc
	s_cbranch_execz .LBB943_69
; %bb.68:                               ;   in Loop: Header=BB943_17 Depth=1
	v_and_b32_e32 v32, 7, v28
	v_ffbh_u32_e32 v38, v32
	v_min_u32_e32 v38, 32, v38
	v_subrev_u32_e32 v40, 28, v38
	v_lshlrev_b64 v[54:55], v40, v[28:29]
	v_lshrrev_b32_e32 v34, 3, v30
	v_sub_u32_e32 v38, 29, v38
	v_and_b32_e32 v40, 7, v54
	v_cmp_gt_u32_e32 vcc, 8, v30
	v_cndmask_b32_e32 v30, v34, v38, vcc
	v_cndmask_b32_e32 v32, v32, v40, vcc
	v_lshlrev_b32_e32 v34, 24, v28
	v_lshlrev_b32_e32 v32, 20, v32
	v_and_b32_e32 v34, 0x80000000, v34
	v_lshl_add_u32 v30, v30, 23, v37
	v_or3_b32 v30, v34, v30, v32
	v_lshrrev_b32_e32 v32, 16, v30
.LBB943_69:                             ;   in Loop: Header=BB943_17 Depth=1
	s_or_b64 exec, exec, s[10:11]
.LBB943_70:                             ;   in Loop: Header=BB943_17 Depth=1
	s_or_b64 exec, exec, s[6:7]
.LBB943_71:                             ;   in Loop: Header=BB943_17 Depth=1
	s_or_b64 exec, exec, s[4:5]
	v_lshrrev_b16_e32 v30, 8, v28
	v_cmp_ne_u16_e32 vcc, 0, v30
	s_and_saveexec_b64 s[4:5], vcc
	s_cbranch_execz .LBB943_77
; %bb.72:                               ;   in Loop: Header=BB943_17 Depth=1
	v_cmp_ne_u16_e32 vcc, s13, v30
	v_mov_b32_e32 v23, 0xffff8000
	s_and_saveexec_b64 s[6:7], vcc
	s_cbranch_execz .LBB943_76
; %bb.73:                               ;   in Loop: Header=BB943_17 Depth=1
	v_and_b32_e32 v34, 0x7f, v30
	v_cmp_ne_u32_e32 vcc, s14, v34
	v_mov_b32_e32 v23, 0x7f80
	s_and_saveexec_b64 s[10:11], vcc
	s_cbranch_execz .LBB943_75
; %bb.74:                               ;   in Loop: Header=BB943_17 Depth=1
	v_and_b32_e32 v23, 7, v30
	v_ffbh_u32_e32 v40, v23
	v_min_u32_e32 v40, 32, v40
	v_subrev_u32_e32 v42, 28, v40
	v_lshlrev_b64 v[54:55], v42, v[30:31]
	v_lshrrev_b32_e32 v38, 3, v34
	v_sub_u32_e32 v30, 29, v40
	v_and_b32_e32 v40, 7, v54
	v_cmp_gt_u32_e32 vcc, 8, v34
	v_cndmask_b32_e32 v30, v38, v30, vcc
	v_cndmask_b32_e32 v23, v23, v40, vcc
	v_lshlrev_b32_e32 v34, 16, v28
	v_lshlrev_b32_e32 v23, 20, v23
	v_and_b32_e32 v34, 0x80000000, v34
	v_lshl_add_u32 v30, v30, 23, v37
	v_or3_b32 v23, v34, v30, v23
	v_lshrrev_b32_e32 v23, 16, v23
.LBB943_75:                             ;   in Loop: Header=BB943_17 Depth=1
	s_or_b64 exec, exec, s[10:11]
.LBB943_76:                             ;   in Loop: Header=BB943_17 Depth=1
	s_or_b64 exec, exec, s[6:7]
.LBB943_77:                             ;   in Loop: Header=BB943_17 Depth=1
	s_or_b64 exec, exec, s[4:5]
	v_lshrrev_b32_e32 v30, 16, v28
	v_cmp_ne_u16_sdwa s[6:7], v30, v33 src0_sel:BYTE_0 src1_sel:DWORD
	v_mov_b32_e32 v38, 0
	v_mov_b32_e32 v34, 0
	s_and_saveexec_b64 s[4:5], s[6:7]
	s_cbranch_execz .LBB943_83
; %bb.78:                               ;   in Loop: Header=BB943_17 Depth=1
	v_cmp_ne_u16_sdwa s[10:11], v30, s13 src0_sel:BYTE_0 src1_sel:DWORD
	v_mov_b32_e32 v34, 0xffff8000
	s_and_saveexec_b64 s[6:7], s[10:11]
	s_cbranch_execz .LBB943_82
; %bb.79:                               ;   in Loop: Header=BB943_17 Depth=1
	v_bfe_u32 v40, v28, 16, 7
	v_cmp_ne_u32_e32 vcc, s14, v40
	v_mov_b32_e32 v34, 0x7f80
	s_and_saveexec_b64 s[10:11], vcc
	s_cbranch_execz .LBB943_81
; %bb.80:                               ;   in Loop: Header=BB943_17 Depth=1
	v_and_b32_e32 v34, 7, v30
	v_ffbh_u32_e32 v44, v34
	v_min_u32_e32 v44, 32, v44
	v_subrev_u32_e32 v53, 28, v44
	v_lshlrev_b64 v[54:55], v53, v[30:31]
	v_lshrrev_b32_e32 v42, 3, v40
	v_sub_u32_e32 v44, 29, v44
	v_and_b32_e32 v53, 7, v54
	v_cmp_gt_u32_e32 vcc, 8, v40
	v_cndmask_b32_e32 v40, v42, v44, vcc
	v_cndmask_b32_e32 v34, v34, v53, vcc
	v_lshlrev_b32_e32 v30, 24, v30
	v_lshlrev_b32_e32 v34, 20, v34
	v_and_b32_e32 v30, 0x80000000, v30
	v_lshl_add_u32 v40, v40, 23, v37
	v_or3_b32 v30, v30, v40, v34
	v_lshrrev_b32_e32 v34, 16, v30
.LBB943_81:                             ;   in Loop: Header=BB943_17 Depth=1
	s_or_b64 exec, exec, s[10:11]
.LBB943_82:                             ;   in Loop: Header=BB943_17 Depth=1
	s_or_b64 exec, exec, s[6:7]
.LBB943_83:                             ;   in Loop: Header=BB943_17 Depth=1
	s_or_b64 exec, exec, s[4:5]
	v_cmp_lt_u32_e32 vcc, s15, v28
	s_and_saveexec_b64 s[4:5], vcc
	s_cbranch_execz .LBB943_89
; %bb.84:                               ;   in Loop: Header=BB943_17 Depth=1
	v_lshrrev_b32_e32 v30, 24, v28
	v_cmp_ne_u32_e32 vcc, s13, v30
	v_mov_b32_e32 v38, 0xffff8000
	s_and_saveexec_b64 s[6:7], vcc
	s_cbranch_execz .LBB943_88
; %bb.85:                               ;   in Loop: Header=BB943_17 Depth=1
	v_bfe_u32 v28, v28, 24, 7
	v_cmp_ne_u32_e32 vcc, s14, v28
	v_mov_b32_e32 v38, 0x7f80
	s_and_saveexec_b64 s[10:11], vcc
	s_cbranch_execz .LBB943_87
; %bb.86:                               ;   in Loop: Header=BB943_17 Depth=1
	v_and_b32_e32 v38, 7, v30
	v_ffbh_u32_e32 v42, v38
	v_min_u32_e32 v42, 32, v42
	v_subrev_u32_e32 v44, 28, v42
	v_lshlrev_b64 v[54:55], v44, v[30:31]
	v_lshrrev_b32_e32 v40, 3, v28
	v_sub_u32_e32 v42, 29, v42
	v_and_b32_e32 v44, 7, v54
	v_cmp_gt_u32_e32 vcc, 8, v28
	v_cndmask_b32_e32 v28, v40, v42, vcc
	v_cndmask_b32_e32 v38, v38, v44, vcc
	v_lshlrev_b32_e32 v30, 24, v30
	v_lshlrev_b32_e32 v38, 20, v38
	v_and_b32_e32 v30, 0x80000000, v30
	v_lshl_add_u32 v28, v28, 23, v37
	v_or3_b32 v28, v30, v28, v38
	v_lshrrev_b32_e32 v38, 16, v28
.LBB943_87:                             ;   in Loop: Header=BB943_17 Depth=1
	s_or_b64 exec, exec, s[10:11]
.LBB943_88:                             ;   in Loop: Header=BB943_17 Depth=1
	s_or_b64 exec, exec, s[6:7]
.LBB943_89:                             ;   in Loop: Header=BB943_17 Depth=1
	s_or_b64 exec, exec, s[4:5]
	s_waitcnt vmcnt(0)
	v_cmp_ne_u16_sdwa s[6:7], v26, v33 src0_sel:BYTE_0 src1_sel:DWORD
	v_mov_b32_e32 v40, 0
	v_mov_b32_e32 v42, 0
	s_and_saveexec_b64 s[4:5], s[6:7]
	s_cbranch_execz .LBB943_95
; %bb.90:                               ;   in Loop: Header=BB943_17 Depth=1
	v_cmp_ne_u16_sdwa s[10:11], v26, s13 src0_sel:BYTE_0 src1_sel:DWORD
	v_mov_b32_e32 v42, 0xffff8000
	s_and_saveexec_b64 s[6:7], s[10:11]
	s_cbranch_execz .LBB943_94
; %bb.91:                               ;   in Loop: Header=BB943_17 Depth=1
	v_and_b32_e32 v28, 0x7f, v26
	v_cmp_ne_u32_e32 vcc, s14, v28
	v_mov_b32_e32 v42, 0x7f80
	s_and_saveexec_b64 s[10:11], vcc
	s_cbranch_execz .LBB943_93
; %bb.92:                               ;   in Loop: Header=BB943_17 Depth=1
	v_and_b32_e32 v30, 7, v26
	v_ffbh_u32_e32 v44, v30
	v_min_u32_e32 v44, 32, v44
	v_subrev_u32_e32 v53, 28, v44
	v_lshlrev_b64 v[54:55], v53, v[26:27]
	v_lshrrev_b32_e32 v42, 3, v28
	v_sub_u32_e32 v44, 29, v44
	v_and_b32_e32 v53, 7, v54
	v_cmp_gt_u32_e32 vcc, 8, v28
	v_cndmask_b32_e32 v28, v42, v44, vcc
	v_cndmask_b32_e32 v30, v30, v53, vcc
	v_lshlrev_b32_e32 v42, 24, v26
	v_lshlrev_b32_e32 v30, 20, v30
	v_and_b32_e32 v42, 0x80000000, v42
	v_lshl_add_u32 v28, v28, 23, v37
	v_or3_b32 v28, v42, v28, v30
	v_lshrrev_b32_e32 v42, 16, v28
.LBB943_93:                             ;   in Loop: Header=BB943_17 Depth=1
	s_or_b64 exec, exec, s[10:11]
.LBB943_94:                             ;   in Loop: Header=BB943_17 Depth=1
	s_or_b64 exec, exec, s[6:7]
.LBB943_95:                             ;   in Loop: Header=BB943_17 Depth=1
	s_or_b64 exec, exec, s[4:5]
	v_lshrrev_b16_e32 v28, 8, v26
	v_cmp_ne_u16_e32 vcc, 0, v28
	s_and_saveexec_b64 s[4:5], vcc
	s_cbranch_execz .LBB943_101
; %bb.96:                               ;   in Loop: Header=BB943_17 Depth=1
	v_cmp_ne_u16_e32 vcc, s13, v28
	v_mov_b32_e32 v40, 0xffff8000
	s_and_saveexec_b64 s[6:7], vcc
	s_cbranch_execz .LBB943_100
; %bb.97:                               ;   in Loop: Header=BB943_17 Depth=1
	v_and_b32_e32 v30, 0x7f, v28
	v_cmp_ne_u32_e32 vcc, s14, v30
	v_mov_b32_e32 v40, 0x7f80
	s_and_saveexec_b64 s[10:11], vcc
	s_cbranch_execz .LBB943_99
; %bb.98:                               ;   in Loop: Header=BB943_17 Depth=1
	v_and_b32_e32 v40, 7, v28
	v_ffbh_u32_e32 v53, v40
	v_min_u32_e32 v53, 32, v53
	v_subrev_u32_e32 v54, 28, v53
	v_lshlrev_b64 v[54:55], v54, v[28:29]
	v_lshrrev_b32_e32 v44, 3, v30
	v_sub_u32_e32 v28, 29, v53
	v_and_b32_e32 v53, 7, v54
	v_cmp_gt_u32_e32 vcc, 8, v30
	v_cndmask_b32_e32 v28, v44, v28, vcc
	v_cndmask_b32_e32 v30, v40, v53, vcc
	v_lshlrev_b32_e32 v40, 16, v26
	v_lshlrev_b32_e32 v30, 20, v30
	v_and_b32_e32 v40, 0x80000000, v40
	v_lshl_add_u32 v28, v28, 23, v37
	v_or3_b32 v28, v40, v28, v30
	v_lshrrev_b32_e32 v40, 16, v28
.LBB943_99:                             ;   in Loop: Header=BB943_17 Depth=1
	s_or_b64 exec, exec, s[10:11]
.LBB943_100:                            ;   in Loop: Header=BB943_17 Depth=1
	s_or_b64 exec, exec, s[6:7]
.LBB943_101:                            ;   in Loop: Header=BB943_17 Depth=1
	s_or_b64 exec, exec, s[4:5]
	v_lshrrev_b32_e32 v28, 16, v26
	v_cmp_ne_u16_sdwa s[6:7], v28, v33 src0_sel:BYTE_0 src1_sel:DWORD
	v_mov_b32_e32 v53, 0
	v_mov_b32_e32 v44, 0
	s_and_saveexec_b64 s[4:5], s[6:7]
	s_cbranch_execz .LBB943_107
; %bb.102:                              ;   in Loop: Header=BB943_17 Depth=1
	v_cmp_ne_u16_sdwa s[10:11], v28, s13 src0_sel:BYTE_0 src1_sel:DWORD
	v_mov_b32_e32 v44, 0xffff8000
	s_and_saveexec_b64 s[6:7], s[10:11]
	s_cbranch_execz .LBB943_106
; %bb.103:                              ;   in Loop: Header=BB943_17 Depth=1
	v_bfe_u32 v30, v26, 16, 7
	v_cmp_ne_u32_e32 vcc, s14, v30
	v_mov_b32_e32 v44, 0x7f80
	s_and_saveexec_b64 s[10:11], vcc
	s_cbranch_execz .LBB943_105
; %bb.104:                              ;   in Loop: Header=BB943_17 Depth=1
	v_and_b32_e32 v44, 7, v28
	v_ffbh_u32_e32 v54, v44
	v_min_u32_e32 v57, 32, v54
	v_subrev_u32_e32 v54, 28, v57
	v_lshlrev_b64 v[54:55], v54, v[28:29]
	v_lshrrev_b32_e32 v56, 3, v30
	v_sub_u32_e32 v55, 29, v57
	v_and_b32_e32 v54, 7, v54
	v_cmp_gt_u32_e32 vcc, 8, v30
	v_cndmask_b32_e32 v30, v56, v55, vcc
	v_cndmask_b32_e32 v44, v44, v54, vcc
	v_lshlrev_b32_e32 v28, 24, v28
	v_lshlrev_b32_e32 v44, 20, v44
	v_and_b32_e32 v28, 0x80000000, v28
	v_lshl_add_u32 v30, v30, 23, v37
	v_or3_b32 v28, v28, v30, v44
	v_lshrrev_b32_e32 v44, 16, v28
.LBB943_105:                            ;   in Loop: Header=BB943_17 Depth=1
	s_or_b64 exec, exec, s[10:11]
.LBB943_106:                            ;   in Loop: Header=BB943_17 Depth=1
	s_or_b64 exec, exec, s[6:7]
.LBB943_107:                            ;   in Loop: Header=BB943_17 Depth=1
	s_or_b64 exec, exec, s[4:5]
	v_cmp_lt_u32_e32 vcc, s15, v26
	s_and_saveexec_b64 s[4:5], vcc
	s_cbranch_execz .LBB943_113
; %bb.108:                              ;   in Loop: Header=BB943_17 Depth=1
	v_lshrrev_b32_e32 v28, 24, v26
	v_cmp_ne_u32_e32 vcc, s13, v28
	v_mov_b32_e32 v53, 0xffff8000
	s_and_saveexec_b64 s[6:7], vcc
	s_cbranch_execz .LBB943_112
; %bb.109:                              ;   in Loop: Header=BB943_17 Depth=1
	v_bfe_u32 v26, v26, 24, 7
	v_cmp_ne_u32_e32 vcc, s14, v26
	v_mov_b32_e32 v53, 0x7f80
	s_and_saveexec_b64 s[10:11], vcc
	s_cbranch_execz .LBB943_111
; %bb.110:                              ;   in Loop: Header=BB943_17 Depth=1
	v_and_b32_e32 v30, 7, v28
	v_ffbh_u32_e32 v54, v30
	v_min_u32_e32 v56, 32, v54
	v_subrev_u32_e32 v54, 28, v56
	v_lshlrev_b64 v[54:55], v54, v[28:29]
	v_lshrrev_b32_e32 v53, 3, v26
	v_sub_u32_e32 v55, 29, v56
	v_and_b32_e32 v54, 7, v54
	v_cmp_gt_u32_e32 vcc, 8, v26
	v_cndmask_b32_e32 v26, v53, v55, vcc
	v_cndmask_b32_e32 v30, v30, v54, vcc
	v_lshlrev_b32_e32 v28, 24, v28
	v_lshlrev_b32_e32 v30, 20, v30
	v_and_b32_e32 v28, 0x80000000, v28
	v_lshl_add_u32 v26, v26, 23, v37
	v_or3_b32 v26, v28, v26, v30
	v_lshrrev_b32_e32 v53, 16, v26
.LBB943_111:                            ;   in Loop: Header=BB943_17 Depth=1
	s_or_b64 exec, exec, s[10:11]
.LBB943_112:                            ;   in Loop: Header=BB943_17 Depth=1
	s_or_b64 exec, exec, s[6:7]
.LBB943_113:                            ;   in Loop: Header=BB943_17 Depth=1
	s_or_b64 exec, exec, s[4:5]
	v_perm_b32 v54, v23, v32, s16
	buffer_load_dword v32, v35, s[0:3], 0 offen offset:16
	buffer_load_dword v30, v35, s[0:3], 0 offen offset:20
	;; [unrolled: 1-line block ×4, first 2 shown]
	v_perm_b32 v55, v38, v34, s16
	v_mov_b32_e32 v23, 0
	v_mov_b32_e32 v38, 0
	v_mfma_f32_16x16x16bf16_1k v[18:21], v[54:55], v[6:7], v[18:21]
	v_perm_b32 v55, v53, v44, s16
	v_perm_b32 v54, v40, v42, s16
	s_waitcnt vmcnt(3)
	v_cmp_ne_u16_sdwa s[6:7], v32, v33 src0_sel:BYTE_0 src1_sel:DWORD
	v_mfma_f32_16x16x16bf16_1k v[18:21], v[54:55], v[8:9], v[18:21]
	s_and_saveexec_b64 s[4:5], s[6:7]
	s_cbranch_execz .LBB943_119
; %bb.114:                              ;   in Loop: Header=BB943_17 Depth=1
	v_cmp_ne_u16_sdwa s[10:11], v32, s13 src0_sel:BYTE_0 src1_sel:DWORD
	v_mov_b32_e32 v38, 0xffff8000
	s_and_saveexec_b64 s[6:7], s[10:11]
	s_cbranch_execz .LBB943_118
; %bb.115:                              ;   in Loop: Header=BB943_17 Depth=1
	v_and_b32_e32 v34, 0x7f, v32
	v_cmp_ne_u32_e32 vcc, s14, v34
	v_mov_b32_e32 v38, 0x7f80
	s_and_saveexec_b64 s[10:11], vcc
	s_cbranch_execz .LBB943_117
; %bb.116:                              ;   in Loop: Header=BB943_17 Depth=1
	v_and_b32_e32 v38, 7, v32
	v_ffbh_u32_e32 v42, v38
	v_min_u32_e32 v42, 32, v42
	v_subrev_u32_e32 v44, 28, v42
	v_lshlrev_b64 v[54:55], v44, v[32:33]
	v_lshrrev_b32_e32 v40, 3, v34
	v_sub_u32_e32 v42, 29, v42
	v_and_b32_e32 v44, 7, v54
	v_cmp_gt_u32_e32 vcc, 8, v34
	v_cndmask_b32_e32 v34, v40, v42, vcc
	v_cndmask_b32_e32 v38, v38, v44, vcc
	v_lshlrev_b32_e32 v40, 24, v32
	v_lshlrev_b32_e32 v38, 20, v38
	v_and_b32_e32 v40, 0x80000000, v40
	v_lshl_add_u32 v34, v34, 23, v37
	v_or3_b32 v34, v40, v34, v38
	v_lshrrev_b32_e32 v38, 16, v34
.LBB943_117:                            ;   in Loop: Header=BB943_17 Depth=1
	s_or_b64 exec, exec, s[10:11]
.LBB943_118:                            ;   in Loop: Header=BB943_17 Depth=1
	s_or_b64 exec, exec, s[6:7]
.LBB943_119:                            ;   in Loop: Header=BB943_17 Depth=1
	s_or_b64 exec, exec, s[4:5]
	v_lshrrev_b16_e32 v34, 8, v32
	v_cmp_ne_u16_e32 vcc, 0, v34
	s_and_saveexec_b64 s[4:5], vcc
	s_cbranch_execz .LBB943_125
; %bb.120:                              ;   in Loop: Header=BB943_17 Depth=1
	v_cmp_ne_u16_e32 vcc, s13, v34
	v_mov_b32_e32 v23, 0xffff8000
	s_and_saveexec_b64 s[6:7], vcc
	s_cbranch_execz .LBB943_124
; %bb.121:                              ;   in Loop: Header=BB943_17 Depth=1
	v_and_b32_e32 v40, 0x7f, v34
	v_cmp_ne_u32_e32 vcc, s14, v40
	v_mov_b32_e32 v23, 0x7f80
	s_and_saveexec_b64 s[10:11], vcc
	s_cbranch_execz .LBB943_123
; %bb.122:                              ;   in Loop: Header=BB943_17 Depth=1
	v_and_b32_e32 v23, 7, v34
	v_ffbh_u32_e32 v44, v23
	v_min_u32_e32 v44, 32, v44
	v_subrev_u32_e32 v53, 28, v44
	v_lshlrev_b64 v[54:55], v53, v[34:35]
	v_lshrrev_b32_e32 v42, 3, v40
	v_sub_u32_e32 v34, 29, v44
	v_and_b32_e32 v44, 7, v54
	v_cmp_gt_u32_e32 vcc, 8, v40
	v_cndmask_b32_e32 v34, v42, v34, vcc
	v_cndmask_b32_e32 v23, v23, v44, vcc
	v_lshlrev_b32_e32 v40, 16, v32
	v_lshlrev_b32_e32 v23, 20, v23
	v_and_b32_e32 v40, 0x80000000, v40
	v_lshl_add_u32 v34, v34, 23, v37
	v_or3_b32 v23, v40, v34, v23
	v_lshrrev_b32_e32 v23, 16, v23
.LBB943_123:                            ;   in Loop: Header=BB943_17 Depth=1
	s_or_b64 exec, exec, s[10:11]
.LBB943_124:                            ;   in Loop: Header=BB943_17 Depth=1
	s_or_b64 exec, exec, s[6:7]
.LBB943_125:                            ;   in Loop: Header=BB943_17 Depth=1
	s_or_b64 exec, exec, s[4:5]
	v_lshrrev_b32_e32 v34, 16, v32
	v_cmp_ne_u16_sdwa s[6:7], v34, v33 src0_sel:BYTE_0 src1_sel:DWORD
	v_mov_b32_e32 v42, 0
	v_mov_b32_e32 v40, 0
	s_and_saveexec_b64 s[4:5], s[6:7]
	s_cbranch_execz .LBB943_131
; %bb.126:                              ;   in Loop: Header=BB943_17 Depth=1
	v_cmp_ne_u16_sdwa s[10:11], v34, s13 src0_sel:BYTE_0 src1_sel:DWORD
	v_mov_b32_e32 v40, 0xffff8000
	s_and_saveexec_b64 s[6:7], s[10:11]
	s_cbranch_execz .LBB943_130
; %bb.127:                              ;   in Loop: Header=BB943_17 Depth=1
	v_bfe_u32 v44, v32, 16, 7
	v_cmp_ne_u32_e32 vcc, s14, v44
	v_mov_b32_e32 v40, 0x7f80
	s_and_saveexec_b64 s[10:11], vcc
	s_cbranch_execz .LBB943_129
; %bb.128:                              ;   in Loop: Header=BB943_17 Depth=1
	v_and_b32_e32 v40, 7, v34
	v_ffbh_u32_e32 v54, v40
	v_min_u32_e32 v56, 32, v54
	v_subrev_u32_e32 v54, 28, v56
	v_lshlrev_b64 v[54:55], v54, v[34:35]
	v_lshrrev_b32_e32 v53, 3, v44
	v_sub_u32_e32 v55, 29, v56
	v_and_b32_e32 v54, 7, v54
	v_cmp_gt_u32_e32 vcc, 8, v44
	v_cndmask_b32_e32 v44, v53, v55, vcc
	v_cndmask_b32_e32 v40, v40, v54, vcc
	v_lshlrev_b32_e32 v34, 24, v34
	v_lshlrev_b32_e32 v40, 20, v40
	v_and_b32_e32 v34, 0x80000000, v34
	v_lshl_add_u32 v44, v44, 23, v37
	v_or3_b32 v34, v34, v44, v40
	v_lshrrev_b32_e32 v40, 16, v34
.LBB943_129:                            ;   in Loop: Header=BB943_17 Depth=1
	s_or_b64 exec, exec, s[10:11]
.LBB943_130:                            ;   in Loop: Header=BB943_17 Depth=1
	s_or_b64 exec, exec, s[6:7]
.LBB943_131:                            ;   in Loop: Header=BB943_17 Depth=1
	s_or_b64 exec, exec, s[4:5]
	v_cmp_lt_u32_e32 vcc, s15, v32
	s_and_saveexec_b64 s[4:5], vcc
	s_cbranch_execz .LBB943_137
; %bb.132:                              ;   in Loop: Header=BB943_17 Depth=1
	v_lshrrev_b32_e32 v34, 24, v32
	v_cmp_ne_u32_e32 vcc, s13, v34
	v_mov_b32_e32 v42, 0xffff8000
	s_and_saveexec_b64 s[6:7], vcc
	s_cbranch_execz .LBB943_136
; %bb.133:                              ;   in Loop: Header=BB943_17 Depth=1
	v_bfe_u32 v32, v32, 24, 7
	v_cmp_ne_u32_e32 vcc, s14, v32
	v_mov_b32_e32 v42, 0x7f80
	s_and_saveexec_b64 s[10:11], vcc
	s_cbranch_execz .LBB943_135
; %bb.134:                              ;   in Loop: Header=BB943_17 Depth=1
	v_and_b32_e32 v42, 7, v34
	v_ffbh_u32_e32 v53, v42
	v_min_u32_e32 v53, 32, v53
	v_subrev_u32_e32 v54, 28, v53
	v_lshlrev_b64 v[54:55], v54, v[34:35]
	v_lshrrev_b32_e32 v44, 3, v32
	v_sub_u32_e32 v53, 29, v53
	v_and_b32_e32 v54, 7, v54
	v_cmp_gt_u32_e32 vcc, 8, v32
	v_cndmask_b32_e32 v32, v44, v53, vcc
	v_cndmask_b32_e32 v42, v42, v54, vcc
	v_lshlrev_b32_e32 v34, 24, v34
	v_lshlrev_b32_e32 v42, 20, v42
	v_and_b32_e32 v34, 0x80000000, v34
	v_lshl_add_u32 v32, v32, 23, v37
	v_or3_b32 v32, v34, v32, v42
	v_lshrrev_b32_e32 v42, 16, v32
.LBB943_135:                            ;   in Loop: Header=BB943_17 Depth=1
	s_or_b64 exec, exec, s[10:11]
.LBB943_136:                            ;   in Loop: Header=BB943_17 Depth=1
	s_or_b64 exec, exec, s[6:7]
.LBB943_137:                            ;   in Loop: Header=BB943_17 Depth=1
	s_or_b64 exec, exec, s[4:5]
	s_waitcnt vmcnt(2)
	v_cmp_ne_u16_sdwa s[6:7], v30, v33 src0_sel:BYTE_0 src1_sel:DWORD
	v_mov_b32_e32 v34, 0
	v_mov_b32_e32 v44, 0
	s_and_saveexec_b64 s[4:5], s[6:7]
	s_cbranch_execz .LBB943_143
; %bb.138:                              ;   in Loop: Header=BB943_17 Depth=1
	v_cmp_ne_u16_sdwa s[10:11], v30, s13 src0_sel:BYTE_0 src1_sel:DWORD
	v_mov_b32_e32 v44, 0xffff8000
	s_and_saveexec_b64 s[6:7], s[10:11]
	s_cbranch_execz .LBB943_142
; %bb.139:                              ;   in Loop: Header=BB943_17 Depth=1
	v_and_b32_e32 v32, 0x7f, v30
	v_cmp_ne_u32_e32 vcc, s14, v32
	v_mov_b32_e32 v44, 0x7f80
	s_and_saveexec_b64 s[10:11], vcc
	s_cbranch_execz .LBB943_141
; %bb.140:                              ;   in Loop: Header=BB943_17 Depth=1
	v_and_b32_e32 v44, 7, v30
	v_ffbh_u32_e32 v54, v44
	v_min_u32_e32 v56, 32, v54
	v_subrev_u32_e32 v54, 28, v56
	v_lshlrev_b64 v[54:55], v54, v[30:31]
	v_lshrrev_b32_e32 v53, 3, v32
	v_sub_u32_e32 v55, 29, v56
	v_and_b32_e32 v54, 7, v54
	v_cmp_gt_u32_e32 vcc, 8, v32
	v_cndmask_b32_e32 v32, v53, v55, vcc
	v_cndmask_b32_e32 v44, v44, v54, vcc
	v_lshlrev_b32_e32 v53, 24, v30
	v_lshlrev_b32_e32 v44, 20, v44
	v_and_b32_e32 v53, 0x80000000, v53
	v_lshl_add_u32 v32, v32, 23, v37
	v_or3_b32 v32, v53, v32, v44
	v_lshrrev_b32_e32 v44, 16, v32
.LBB943_141:                            ;   in Loop: Header=BB943_17 Depth=1
	s_or_b64 exec, exec, s[10:11]
.LBB943_142:                            ;   in Loop: Header=BB943_17 Depth=1
	s_or_b64 exec, exec, s[6:7]
.LBB943_143:                            ;   in Loop: Header=BB943_17 Depth=1
	s_or_b64 exec, exec, s[4:5]
	v_lshrrev_b16_e32 v32, 8, v30
	v_cmp_ne_u16_e32 vcc, 0, v32
	s_and_saveexec_b64 s[4:5], vcc
	s_cbranch_execz .LBB943_149
; %bb.144:                              ;   in Loop: Header=BB943_17 Depth=1
	v_cmp_ne_u16_e32 vcc, s13, v32
	v_mov_b32_e32 v34, 0xffff8000
	s_and_saveexec_b64 s[6:7], vcc
	s_cbranch_execz .LBB943_148
; %bb.145:                              ;   in Loop: Header=BB943_17 Depth=1
	v_and_b32_e32 v53, 0x7f, v32
	v_cmp_ne_u32_e32 vcc, s14, v53
	v_mov_b32_e32 v34, 0x7f80
	s_and_saveexec_b64 s[10:11], vcc
	s_cbranch_execz .LBB943_147
; %bb.146:                              ;   in Loop: Header=BB943_17 Depth=1
	v_and_b32_e32 v34, 7, v32
	v_ffbh_u32_e32 v54, v34
	v_min_u32_e32 v57, 32, v54
	v_subrev_u32_e32 v54, 28, v57
	v_lshlrev_b64 v[54:55], v54, v[32:33]
	v_lshrrev_b32_e32 v56, 3, v53
	v_sub_u32_e32 v32, 29, v57
	v_and_b32_e32 v54, 7, v54
	v_cmp_gt_u32_e32 vcc, 8, v53
	v_cndmask_b32_e32 v32, v56, v32, vcc
	v_cndmask_b32_e32 v34, v34, v54, vcc
	v_lshlrev_b32_e32 v53, 16, v30
	v_lshlrev_b32_e32 v34, 20, v34
	v_and_b32_e32 v53, 0x80000000, v53
	v_lshl_add_u32 v32, v32, 23, v37
	v_or3_b32 v32, v53, v32, v34
	v_lshrrev_b32_e32 v34, 16, v32
.LBB943_147:                            ;   in Loop: Header=BB943_17 Depth=1
	s_or_b64 exec, exec, s[10:11]
.LBB943_148:                            ;   in Loop: Header=BB943_17 Depth=1
	s_or_b64 exec, exec, s[6:7]
.LBB943_149:                            ;   in Loop: Header=BB943_17 Depth=1
	s_or_b64 exec, exec, s[4:5]
	v_lshrrev_b32_e32 v32, 16, v30
	v_cmp_ne_u16_sdwa s[6:7], v32, v33 src0_sel:BYTE_0 src1_sel:DWORD
	v_mov_b32_e32 v54, 0
	v_mov_b32_e32 v53, 0
	s_and_saveexec_b64 s[4:5], s[6:7]
	s_cbranch_execz .LBB943_155
; %bb.150:                              ;   in Loop: Header=BB943_17 Depth=1
	v_cmp_ne_u16_sdwa s[10:11], v32, s13 src0_sel:BYTE_0 src1_sel:DWORD
	v_mov_b32_e32 v53, 0xffff8000
	s_and_saveexec_b64 s[6:7], s[10:11]
	s_cbranch_execz .LBB943_154
; %bb.151:                              ;   in Loop: Header=BB943_17 Depth=1
	v_bfe_u32 v55, v30, 16, 7
	v_cmp_ne_u32_e32 vcc, s14, v55
	v_mov_b32_e32 v53, 0x7f80
	s_and_saveexec_b64 s[10:11], vcc
	s_cbranch_execz .LBB943_153
; %bb.152:                              ;   in Loop: Header=BB943_17 Depth=1
	v_and_b32_e32 v53, 7, v32
	v_ffbh_u32_e32 v56, v53
	v_min_u32_e32 v59, 32, v56
	v_subrev_u32_e32 v56, 28, v59
	v_lshlrev_b64 v[56:57], v56, v[32:33]
	v_lshrrev_b32_e32 v58, 3, v55
	v_sub_u32_e32 v57, 29, v59
	v_and_b32_e32 v56, 7, v56
	v_cmp_gt_u32_e32 vcc, 8, v55
	v_cndmask_b32_e32 v55, v58, v57, vcc
	v_cndmask_b32_e32 v53, v53, v56, vcc
	v_lshlrev_b32_e32 v32, 24, v32
	v_lshlrev_b32_e32 v53, 20, v53
	v_and_b32_e32 v32, 0x80000000, v32
	v_lshl_add_u32 v55, v55, 23, v37
	v_or3_b32 v32, v32, v55, v53
	v_lshrrev_b32_e32 v53, 16, v32
.LBB943_153:                            ;   in Loop: Header=BB943_17 Depth=1
	s_or_b64 exec, exec, s[10:11]
.LBB943_154:                            ;   in Loop: Header=BB943_17 Depth=1
	s_or_b64 exec, exec, s[6:7]
.LBB943_155:                            ;   in Loop: Header=BB943_17 Depth=1
	s_or_b64 exec, exec, s[4:5]
	v_cmp_lt_u32_e32 vcc, s15, v30
	s_and_saveexec_b64 s[4:5], vcc
	s_cbranch_execz .LBB943_161
; %bb.156:                              ;   in Loop: Header=BB943_17 Depth=1
	v_lshrrev_b32_e32 v32, 24, v30
	v_cmp_ne_u32_e32 vcc, s13, v32
	v_mov_b32_e32 v54, 0xffff8000
	s_and_saveexec_b64 s[6:7], vcc
	s_cbranch_execz .LBB943_160
; %bb.157:                              ;   in Loop: Header=BB943_17 Depth=1
	v_bfe_u32 v30, v30, 24, 7
	v_cmp_ne_u32_e32 vcc, s14, v30
	v_mov_b32_e32 v54, 0x7f80
	s_and_saveexec_b64 s[10:11], vcc
	s_cbranch_execz .LBB943_159
; %bb.158:                              ;   in Loop: Header=BB943_17 Depth=1
	v_and_b32_e32 v56, 7, v32
	v_ffbh_u32_e32 v54, v56
	v_min_u32_e32 v58, 32, v54
	v_subrev_u32_e32 v54, 28, v58
	v_lshlrev_b64 v[54:55], v54, v[32:33]
	v_lshrrev_b32_e32 v57, 3, v30
	v_sub_u32_e32 v55, 29, v58
	v_and_b32_e32 v54, 7, v54
	v_cmp_gt_u32_e32 vcc, 8, v30
	v_cndmask_b32_e32 v30, v57, v55, vcc
	v_cndmask_b32_e32 v54, v56, v54, vcc
	v_lshlrev_b32_e32 v32, 24, v32
	v_lshlrev_b32_e32 v54, 20, v54
	v_and_b32_e32 v32, 0x80000000, v32
	v_lshl_add_u32 v30, v30, 23, v37
	v_or3_b32 v30, v32, v30, v54
	v_lshrrev_b32_e32 v54, 16, v30
.LBB943_159:                            ;   in Loop: Header=BB943_17 Depth=1
	s_or_b64 exec, exec, s[10:11]
.LBB943_160:                            ;   in Loop: Header=BB943_17 Depth=1
	s_or_b64 exec, exec, s[6:7]
.LBB943_161:                            ;   in Loop: Header=BB943_17 Depth=1
	s_or_b64 exec, exec, s[4:5]
	v_perm_b32 v57, v42, v40, s16
	v_perm_b32 v56, v23, v38, s16
	;; [unrolled: 1-line block ×4, first 2 shown]
	s_waitcnt vmcnt(1)
	v_cmp_ne_u16_sdwa s[6:7], v28, v33 src0_sel:BYTE_0 src1_sel:DWORD
	v_mfma_f32_16x16x16bf16_1k v[18:21], v[56:57], v[10:11], v[18:21]
	v_mov_b32_e32 v23, 0
	v_mov_b32_e32 v32, 0
	v_mfma_f32_16x16x16bf16_1k v[18:21], v[54:55], v[12:13], v[18:21]
	s_and_saveexec_b64 s[4:5], s[6:7]
	s_cbranch_execz .LBB943_167
; %bb.162:                              ;   in Loop: Header=BB943_17 Depth=1
	v_cmp_ne_u16_sdwa s[10:11], v28, s13 src0_sel:BYTE_0 src1_sel:DWORD
	v_mov_b32_e32 v32, 0xffff8000
	s_and_saveexec_b64 s[6:7], s[10:11]
	s_cbranch_execz .LBB943_166
; %bb.163:                              ;   in Loop: Header=BB943_17 Depth=1
	v_and_b32_e32 v30, 0x7f, v28
	v_cmp_ne_u32_e32 vcc, s14, v30
	v_mov_b32_e32 v32, 0x7f80
	s_and_saveexec_b64 s[10:11], vcc
	s_cbranch_execz .LBB943_165
; %bb.164:                              ;   in Loop: Header=BB943_17 Depth=1
	v_and_b32_e32 v32, 7, v28
	v_ffbh_u32_e32 v38, v32
	v_min_u32_e32 v38, 32, v38
	v_subrev_u32_e32 v40, 28, v38
	v_lshlrev_b64 v[54:55], v40, v[28:29]
	v_lshrrev_b32_e32 v34, 3, v30
	v_sub_u32_e32 v38, 29, v38
	v_and_b32_e32 v40, 7, v54
	v_cmp_gt_u32_e32 vcc, 8, v30
	v_cndmask_b32_e32 v30, v34, v38, vcc
	v_cndmask_b32_e32 v32, v32, v40, vcc
	v_lshlrev_b32_e32 v34, 24, v28
	v_lshlrev_b32_e32 v32, 20, v32
	v_and_b32_e32 v34, 0x80000000, v34
	v_lshl_add_u32 v30, v30, 23, v37
	v_or3_b32 v30, v34, v30, v32
	v_lshrrev_b32_e32 v32, 16, v30
.LBB943_165:                            ;   in Loop: Header=BB943_17 Depth=1
	s_or_b64 exec, exec, s[10:11]
.LBB943_166:                            ;   in Loop: Header=BB943_17 Depth=1
	s_or_b64 exec, exec, s[6:7]
.LBB943_167:                            ;   in Loop: Header=BB943_17 Depth=1
	s_or_b64 exec, exec, s[4:5]
	v_lshrrev_b16_e32 v30, 8, v28
	v_cmp_ne_u16_e32 vcc, 0, v30
	s_and_saveexec_b64 s[4:5], vcc
	s_cbranch_execz .LBB943_173
; %bb.168:                              ;   in Loop: Header=BB943_17 Depth=1
	v_cmp_ne_u16_e32 vcc, s13, v30
	v_mov_b32_e32 v23, 0xffff8000
	s_and_saveexec_b64 s[6:7], vcc
	s_cbranch_execz .LBB943_172
; %bb.169:                              ;   in Loop: Header=BB943_17 Depth=1
	v_and_b32_e32 v34, 0x7f, v30
	v_cmp_ne_u32_e32 vcc, s14, v34
	v_mov_b32_e32 v23, 0x7f80
	s_and_saveexec_b64 s[10:11], vcc
	s_cbranch_execz .LBB943_171
; %bb.170:                              ;   in Loop: Header=BB943_17 Depth=1
	v_and_b32_e32 v23, 7, v30
	v_ffbh_u32_e32 v40, v23
	v_min_u32_e32 v40, 32, v40
	v_subrev_u32_e32 v42, 28, v40
	v_lshlrev_b64 v[54:55], v42, v[30:31]
	v_lshrrev_b32_e32 v38, 3, v34
	v_sub_u32_e32 v30, 29, v40
	v_and_b32_e32 v40, 7, v54
	v_cmp_gt_u32_e32 vcc, 8, v34
	v_cndmask_b32_e32 v30, v38, v30, vcc
	v_cndmask_b32_e32 v23, v23, v40, vcc
	v_lshlrev_b32_e32 v34, 16, v28
	v_lshlrev_b32_e32 v23, 20, v23
	v_and_b32_e32 v34, 0x80000000, v34
	v_lshl_add_u32 v30, v30, 23, v37
	v_or3_b32 v23, v34, v30, v23
	v_lshrrev_b32_e32 v23, 16, v23
.LBB943_171:                            ;   in Loop: Header=BB943_17 Depth=1
	s_or_b64 exec, exec, s[10:11]
.LBB943_172:                            ;   in Loop: Header=BB943_17 Depth=1
	s_or_b64 exec, exec, s[6:7]
.LBB943_173:                            ;   in Loop: Header=BB943_17 Depth=1
	s_or_b64 exec, exec, s[4:5]
	v_lshrrev_b32_e32 v30, 16, v28
	v_cmp_ne_u16_sdwa s[6:7], v30, v33 src0_sel:BYTE_0 src1_sel:DWORD
	v_mov_b32_e32 v38, 0
	v_mov_b32_e32 v34, 0
	s_and_saveexec_b64 s[4:5], s[6:7]
	s_cbranch_execz .LBB943_179
; %bb.174:                              ;   in Loop: Header=BB943_17 Depth=1
	v_cmp_ne_u16_sdwa s[10:11], v30, s13 src0_sel:BYTE_0 src1_sel:DWORD
	v_mov_b32_e32 v34, 0xffff8000
	s_and_saveexec_b64 s[6:7], s[10:11]
	s_cbranch_execz .LBB943_178
; %bb.175:                              ;   in Loop: Header=BB943_17 Depth=1
	v_bfe_u32 v40, v28, 16, 7
	v_cmp_ne_u32_e32 vcc, s14, v40
	v_mov_b32_e32 v34, 0x7f80
	s_and_saveexec_b64 s[10:11], vcc
	s_cbranch_execz .LBB943_177
; %bb.176:                              ;   in Loop: Header=BB943_17 Depth=1
	v_and_b32_e32 v34, 7, v30
	v_ffbh_u32_e32 v44, v34
	v_min_u32_e32 v44, 32, v44
	v_subrev_u32_e32 v53, 28, v44
	v_lshlrev_b64 v[54:55], v53, v[30:31]
	v_lshrrev_b32_e32 v42, 3, v40
	v_sub_u32_e32 v44, 29, v44
	v_and_b32_e32 v53, 7, v54
	v_cmp_gt_u32_e32 vcc, 8, v40
	v_cndmask_b32_e32 v40, v42, v44, vcc
	v_cndmask_b32_e32 v34, v34, v53, vcc
	v_lshlrev_b32_e32 v30, 24, v30
	v_lshlrev_b32_e32 v34, 20, v34
	v_and_b32_e32 v30, 0x80000000, v30
	v_lshl_add_u32 v40, v40, 23, v37
	v_or3_b32 v30, v30, v40, v34
	v_lshrrev_b32_e32 v34, 16, v30
.LBB943_177:                            ;   in Loop: Header=BB943_17 Depth=1
	s_or_b64 exec, exec, s[10:11]
.LBB943_178:                            ;   in Loop: Header=BB943_17 Depth=1
	s_or_b64 exec, exec, s[6:7]
.LBB943_179:                            ;   in Loop: Header=BB943_17 Depth=1
	s_or_b64 exec, exec, s[4:5]
	v_cmp_lt_u32_e32 vcc, s15, v28
	s_and_saveexec_b64 s[4:5], vcc
	s_cbranch_execz .LBB943_185
; %bb.180:                              ;   in Loop: Header=BB943_17 Depth=1
	v_lshrrev_b32_e32 v30, 24, v28
	v_cmp_ne_u32_e32 vcc, s13, v30
	v_mov_b32_e32 v38, 0xffff8000
	s_and_saveexec_b64 s[6:7], vcc
	s_cbranch_execz .LBB943_184
; %bb.181:                              ;   in Loop: Header=BB943_17 Depth=1
	v_bfe_u32 v28, v28, 24, 7
	v_cmp_ne_u32_e32 vcc, s14, v28
	v_mov_b32_e32 v38, 0x7f80
	s_and_saveexec_b64 s[10:11], vcc
	s_cbranch_execz .LBB943_183
; %bb.182:                              ;   in Loop: Header=BB943_17 Depth=1
	v_and_b32_e32 v38, 7, v30
	v_ffbh_u32_e32 v42, v38
	v_min_u32_e32 v42, 32, v42
	v_subrev_u32_e32 v44, 28, v42
	v_lshlrev_b64 v[54:55], v44, v[30:31]
	v_lshrrev_b32_e32 v40, 3, v28
	v_sub_u32_e32 v42, 29, v42
	v_and_b32_e32 v44, 7, v54
	v_cmp_gt_u32_e32 vcc, 8, v28
	v_cndmask_b32_e32 v28, v40, v42, vcc
	v_cndmask_b32_e32 v38, v38, v44, vcc
	v_lshlrev_b32_e32 v30, 24, v30
	v_lshlrev_b32_e32 v38, 20, v38
	v_and_b32_e32 v30, 0x80000000, v30
	v_lshl_add_u32 v28, v28, 23, v37
	v_or3_b32 v28, v30, v28, v38
	v_lshrrev_b32_e32 v38, 16, v28
.LBB943_183:                            ;   in Loop: Header=BB943_17 Depth=1
	s_or_b64 exec, exec, s[10:11]
.LBB943_184:                            ;   in Loop: Header=BB943_17 Depth=1
	s_or_b64 exec, exec, s[6:7]
.LBB943_185:                            ;   in Loop: Header=BB943_17 Depth=1
	s_or_b64 exec, exec, s[4:5]
	s_waitcnt vmcnt(0)
	v_cmp_ne_u16_sdwa s[6:7], v26, v33 src0_sel:BYTE_0 src1_sel:DWORD
	v_mov_b32_e32 v30, 0
	v_mov_b32_e32 v40, 0
	s_and_saveexec_b64 s[4:5], s[6:7]
	s_cbranch_execz .LBB943_191
; %bb.186:                              ;   in Loop: Header=BB943_17 Depth=1
	v_cmp_ne_u16_sdwa s[10:11], v26, s13 src0_sel:BYTE_0 src1_sel:DWORD
	v_mov_b32_e32 v40, 0xffff8000
	s_and_saveexec_b64 s[6:7], s[10:11]
	s_cbranch_execz .LBB943_190
; %bb.187:                              ;   in Loop: Header=BB943_17 Depth=1
	v_and_b32_e32 v28, 0x7f, v26
	v_cmp_ne_u32_e32 vcc, s14, v28
	v_mov_b32_e32 v40, 0x7f80
	s_and_saveexec_b64 s[10:11], vcc
	s_cbranch_execz .LBB943_189
; %bb.188:                              ;   in Loop: Header=BB943_17 Depth=1
	v_and_b32_e32 v40, 7, v26
	v_ffbh_u32_e32 v44, v40
	v_min_u32_e32 v44, 32, v44
	v_subrev_u32_e32 v53, 28, v44
	v_lshlrev_b64 v[54:55], v53, v[26:27]
	v_lshrrev_b32_e32 v42, 3, v28
	v_sub_u32_e32 v44, 29, v44
	v_and_b32_e32 v53, 7, v54
	v_cmp_gt_u32_e32 vcc, 8, v28
	v_cndmask_b32_e32 v28, v42, v44, vcc
	v_cndmask_b32_e32 v40, v40, v53, vcc
	v_lshlrev_b32_e32 v42, 24, v26
	v_lshlrev_b32_e32 v40, 20, v40
	v_and_b32_e32 v42, 0x80000000, v42
	v_lshl_add_u32 v28, v28, 23, v37
	v_or3_b32 v28, v42, v28, v40
	v_lshrrev_b32_e32 v40, 16, v28
.LBB943_189:                            ;   in Loop: Header=BB943_17 Depth=1
	s_or_b64 exec, exec, s[10:11]
.LBB943_190:                            ;   in Loop: Header=BB943_17 Depth=1
	s_or_b64 exec, exec, s[6:7]
.LBB943_191:                            ;   in Loop: Header=BB943_17 Depth=1
	s_or_b64 exec, exec, s[4:5]
	v_lshrrev_b16_e32 v28, 8, v26
	v_cmp_ne_u16_e32 vcc, 0, v28
	s_and_saveexec_b64 s[4:5], vcc
	s_cbranch_execz .LBB943_197
; %bb.192:                              ;   in Loop: Header=BB943_17 Depth=1
	v_cmp_ne_u16_e32 vcc, s13, v28
	v_mov_b32_e32 v30, 0xffff8000
	s_and_saveexec_b64 s[6:7], vcc
	s_cbranch_execz .LBB943_196
; %bb.193:                              ;   in Loop: Header=BB943_17 Depth=1
	v_and_b32_e32 v42, 0x7f, v28
	v_cmp_ne_u32_e32 vcc, s14, v42
	v_mov_b32_e32 v30, 0x7f80
	s_and_saveexec_b64 s[10:11], vcc
	s_cbranch_execz .LBB943_195
; %bb.194:                              ;   in Loop: Header=BB943_17 Depth=1
	v_and_b32_e32 v30, 7, v28
	v_ffbh_u32_e32 v53, v30
	v_min_u32_e32 v53, 32, v53
	v_subrev_u32_e32 v54, 28, v53
	v_lshlrev_b64 v[54:55], v54, v[28:29]
	v_lshrrev_b32_e32 v44, 3, v42
	v_sub_u32_e32 v28, 29, v53
	v_and_b32_e32 v53, 7, v54
	v_cmp_gt_u32_e32 vcc, 8, v42
	v_cndmask_b32_e32 v28, v44, v28, vcc
	v_cndmask_b32_e32 v30, v30, v53, vcc
	v_lshlrev_b32_e32 v42, 16, v26
	v_lshlrev_b32_e32 v30, 20, v30
	v_and_b32_e32 v42, 0x80000000, v42
	v_lshl_add_u32 v28, v28, 23, v37
	v_or3_b32 v28, v42, v28, v30
	v_lshrrev_b32_e32 v30, 16, v28
.LBB943_195:                            ;   in Loop: Header=BB943_17 Depth=1
	s_or_b64 exec, exec, s[10:11]
.LBB943_196:                            ;   in Loop: Header=BB943_17 Depth=1
	s_or_b64 exec, exec, s[6:7]
.LBB943_197:                            ;   in Loop: Header=BB943_17 Depth=1
	s_or_b64 exec, exec, s[4:5]
	v_lshrrev_b32_e32 v28, 16, v26
	v_cmp_ne_u16_sdwa s[6:7], v28, v33 src0_sel:BYTE_0 src1_sel:DWORD
	v_mov_b32_e32 v44, 0
	v_mov_b32_e32 v42, 0
	s_and_saveexec_b64 s[4:5], s[6:7]
	s_cbranch_execz .LBB943_203
; %bb.198:                              ;   in Loop: Header=BB943_17 Depth=1
	v_cmp_ne_u16_sdwa s[10:11], v28, s13 src0_sel:BYTE_0 src1_sel:DWORD
	v_mov_b32_e32 v42, 0xffff8000
	s_and_saveexec_b64 s[6:7], s[10:11]
	s_cbranch_execz .LBB943_202
; %bb.199:                              ;   in Loop: Header=BB943_17 Depth=1
	v_bfe_u32 v53, v26, 16, 7
	v_cmp_ne_u32_e32 vcc, s14, v53
	v_mov_b32_e32 v42, 0x7f80
	s_and_saveexec_b64 s[10:11], vcc
	s_cbranch_execz .LBB943_201
; %bb.200:                              ;   in Loop: Header=BB943_17 Depth=1
	v_and_b32_e32 v42, 7, v28
	v_ffbh_u32_e32 v54, v42
	v_min_u32_e32 v57, 32, v54
	v_subrev_u32_e32 v54, 28, v57
	v_lshlrev_b64 v[54:55], v54, v[28:29]
	v_lshrrev_b32_e32 v56, 3, v53
	v_sub_u32_e32 v55, 29, v57
	v_and_b32_e32 v54, 7, v54
	v_cmp_gt_u32_e32 vcc, 8, v53
	v_cndmask_b32_e32 v53, v56, v55, vcc
	v_cndmask_b32_e32 v42, v42, v54, vcc
	v_lshlrev_b32_e32 v28, 24, v28
	v_lshlrev_b32_e32 v42, 20, v42
	v_and_b32_e32 v28, 0x80000000, v28
	v_lshl_add_u32 v53, v53, 23, v37
	v_or3_b32 v28, v28, v53, v42
	v_lshrrev_b32_e32 v42, 16, v28
.LBB943_201:                            ;   in Loop: Header=BB943_17 Depth=1
	s_or_b64 exec, exec, s[10:11]
.LBB943_202:                            ;   in Loop: Header=BB943_17 Depth=1
	s_or_b64 exec, exec, s[6:7]
.LBB943_203:                            ;   in Loop: Header=BB943_17 Depth=1
	s_or_b64 exec, exec, s[4:5]
	v_cmp_lt_u32_e32 vcc, s15, v26
	s_and_saveexec_b64 s[4:5], vcc
	s_cbranch_execz .LBB943_16
; %bb.204:                              ;   in Loop: Header=BB943_17 Depth=1
	v_lshrrev_b32_e32 v28, 24, v26
	v_cmp_ne_u32_e32 vcc, s13, v28
	v_mov_b32_e32 v44, 0xffff8000
	s_and_saveexec_b64 s[6:7], vcc
	s_cbranch_execz .LBB943_15
; %bb.205:                              ;   in Loop: Header=BB943_17 Depth=1
	v_bfe_u32 v26, v26, 24, 7
	v_cmp_ne_u32_e32 vcc, s14, v26
	v_mov_b32_e32 v44, 0x7f80
	s_and_saveexec_b64 s[10:11], vcc
	s_cbranch_execz .LBB943_14
; %bb.206:                              ;   in Loop: Header=BB943_17 Depth=1
	v_and_b32_e32 v44, 7, v28
	v_ffbh_u32_e32 v54, v44
	v_min_u32_e32 v56, 32, v54
	v_subrev_u32_e32 v54, 28, v56
	v_lshlrev_b64 v[54:55], v54, v[28:29]
	v_lshrrev_b32_e32 v53, 3, v26
	v_sub_u32_e32 v55, 29, v56
	v_and_b32_e32 v54, 7, v54
	v_cmp_gt_u32_e32 vcc, 8, v26
	v_cndmask_b32_e32 v26, v53, v55, vcc
	v_cndmask_b32_e32 v44, v44, v54, vcc
	v_lshlrev_b32_e32 v28, 24, v28
	v_lshlrev_b32_e32 v44, 20, v44
	v_and_b32_e32 v28, 0x80000000, v28
	v_lshl_add_u32 v26, v26, 23, v37
	v_or3_b32 v26, v28, v26, v44
	v_lshrrev_b32_e32 v44, 16, v26
	s_branch .LBB943_14
.LBB943_207:
	buffer_load_dword v17, off, s[0:3], 0 offset:256
	buffer_load_dword v16, off, s[0:3], 0 offset:260
	;; [unrolled: 1-line block ×16, first 2 shown]
	v_and_b32_e32 v18, 0xc0, v0
	v_add_u32_e32 v18, s20, v18
	v_lshl_or_b32 v18, v39, 2, v18
	v_or_b32_e32 v20, 1, v18
	v_subrev_u32_e32 v24, s33, v20
	v_add_u32_e32 v26, 1, v24
	v_cvt_f32_i32_e32 v25, v24
	v_add_u32_e32 v28, 2, v24
	v_add_u32_e32 v30, 3, v24
	;; [unrolled: 1-line block ×14, first 2 shown]
	v_cvt_f32_i32_e32 v26, v26
	v_cvt_f32_i32_e32 v28, v28
	v_cvt_f32_i32_e32 v30, v30
	v_cvt_f32_i32_e32 v24, v24
	v_mov_b32_e32 v19, 0xff7fffff
	v_or_b32_e32 v21, 2, v18
	v_or_b32_e32 v22, 3, v18
	v_cvt_f32_i32_e32 v32, v32
	v_cvt_f32_i32_e32 v33, v33
	v_cmp_gt_i32_e64 s[28:29], s33, v18
	v_cmp_gt_i32_e64 s[30:31], s33, v20
	s_mov_b32 s52, 0xff7fffff
	v_cmp_gt_i32_e64 s[34:35], s33, v21
	v_cmp_gt_i32_e64 s[36:37], s33, v22
	v_or_b32_e32 v23, 16, v18
	v_cvt_f32_i32_e32 v34, v34
	v_cvt_f32_i32_e32 v35, v35
	v_cmp_gt_i32_e64 s[24:25], s33, v23
	v_cvt_f32_i32_e32 v36, v36
	v_cvt_f32_i32_e32 v37, v37
	;; [unrolled: 1-line block ×7, first 2 shown]
	s_waitcnt vmcnt(15)
	v_fmac_f32_e32 v17, v31, v25
	s_waitcnt vmcnt(14)
	v_fmac_f32_e32 v16, v31, v26
	;; [unrolled: 2-line block ×4, first 2 shown]
	v_cndmask_b32_e64 v20, v19, v16, s[30:31]
	v_cndmask_b32_e64 v21, v19, v15, s[34:35]
	;; [unrolled: 1-line block ×3, first 2 shown]
	s_waitcnt vmcnt(11)
	v_fmac_f32_e32 v13, v31, v32
	s_waitcnt vmcnt(10)
	v_fmac_f32_e32 v12, v31, v33
	;; [unrolled: 2-line block ×9, first 2 shown]
	v_cndmask_b32_e64 v24, v19, v17, s[28:29]
	v_max3_f32 v20, v24, s52, v20
	v_max3_f32 v20, v20, v21, v22
	v_or_b32_e32 v22, 17, v18
	v_cmp_gt_i32_e64 s[38:39], s33, v22
	v_cndmask_b32_e64 v21, v19, v13, s[24:25]
	v_cndmask_b32_e64 v22, v19, v12, s[38:39]
	v_max3_f32 v20, v20, v21, v22
	v_or_b32_e32 v21, 18, v18
	v_or_b32_e32 v22, 19, v18
	v_cmp_gt_i32_e64 s[20:21], s33, v21
	v_cmp_gt_i32_e64 s[22:23], s33, v22
	v_cndmask_b32_e64 v21, v19, v11, s[20:21]
	v_cndmask_b32_e64 v22, v19, v10, s[22:23]
	v_max3_f32 v20, v20, v21, v22
	v_or_b32_e32 v21, 32, v18
	v_or_b32_e32 v22, 33, v18
	v_cmp_gt_i32_e64 s[16:17], s33, v21
	;; [unrolled: 7-line block ×3, first 2 shown]
	v_cmp_gt_i32_e64 s[14:15], s33, v22
	v_cndmask_b32_e64 v21, v19, v7, s[12:13]
	v_cndmask_b32_e64 v22, v19, v6, s[14:15]
	v_max3_f32 v20, v20, v21, v22
	v_or_b32_e32 v21, 48, v18
	v_or_b32_e32 v22, 49, v18
	v_fmac_f32_e32 v5, v31, v42
	v_fmac_f32_e32 v4, v31, v44
	v_cmp_gt_i32_e64 s[6:7], s33, v21
	v_cmp_gt_i32_e64 s[10:11], s33, v22
	v_cndmask_b32_e64 v21, v19, v5, s[6:7]
	v_cndmask_b32_e64 v22, v19, v4, s[10:11]
	v_max3_f32 v20, v20, v21, v22
	v_or_b32_e32 v21, 50, v18
	v_or_b32_e32 v18, 51, v18
	v_fmac_f32_e32 v3, v31, v53
	v_cmp_gt_i32_e32 vcc, s33, v21
	v_cmp_gt_i32_e64 s[4:5], s33, v18
	v_cndmask_b32_e32 v21, v19, v3, vcc
	v_cndmask_b32_e64 v18, v19, v2, s[4:5]
	v_mbcnt_lo_u32_b32 v19, -1, 0
	v_mbcnt_hi_u32_b32 v19, -1, v19
	v_max3_f32 v18, v20, v21, v18
	v_and_b32_e32 v20, 64, v19
	v_add_u32_e32 v20, 64, v20
	v_xor_b32_e32 v21, 32, v19
	v_cmp_lt_i32_e64 s[40:41], v21, v20
	v_cndmask_b32_e64 v21, v19, v21, s[40:41]
	v_lshlrev_b32_e32 v21, 2, v21
	ds_bpermute_b32 v22, v21, v18
	s_waitcnt lgkmcnt(0)
	v_max_f32_e32 v22, v22, v22
	v_max_f32_e32 v18, v18, v22
	v_xor_b32_e32 v22, 16, v19
	v_cmp_lt_i32_e64 s[40:41], v22, v20
	v_cndmask_b32_e64 v19, v19, v22, s[40:41]
	v_lshlrev_b32_e32 v19, 2, v19
	ds_bpermute_b32 v20, v19, v18
	s_waitcnt lgkmcnt(0)
	v_max_f32_e32 v20, v20, v20
	v_max_f32_e32 v18, v18, v20
	v_sub_f32_e32 v17, v17, v18
	v_mul_f32_e32 v17, 0x3fb8aa3b, v17
	v_sub_f32_e32 v16, v16, v18
	v_exp_f32_e32 v17, v17
	v_mul_f32_e32 v16, 0x3fb8aa3b, v16
	v_sub_f32_e32 v15, v15, v18
	v_exp_f32_e32 v16, v16
	;; [unrolled: 3-line block ×4, first 2 shown]
	v_mul_f32_e32 v13, 0x3fb8aa3b, v13
	v_sub_f32_e32 v12, v12, v18
	v_cndmask_b32_e64 v17, 0, v17, s[28:29]
	v_exp_f32_e32 v13, v13
	v_mul_f32_e32 v12, 0x3fb8aa3b, v12
	v_sub_f32_e32 v11, v11, v18
	v_add_f32_e32 v20, 0, v17
	v_cndmask_b32_e64 v16, 0, v16, s[30:31]
	v_exp_f32_e32 v12, v12
	v_mul_f32_e32 v11, 0x3fb8aa3b, v11
	v_sub_f32_e32 v10, v10, v18
	v_add_f32_e32 v20, v20, v16
	;; [unrolled: 5-line block ×4, first 2 shown]
	v_cndmask_b32_e64 v13, 0, v13, s[24:25]
	v_exp_f32_e32 v9, v9
	v_mul_f32_e32 v8, 0x3fb8aa3b, v8
	v_sub_f32_e32 v7, v7, v18
	buffer_store_dword v17, off, s[0:3], 0 offset:256
	buffer_store_dword v16, off, s[0:3], 0 offset:260
	;; [unrolled: 1-line block ×4, first 2 shown]
	v_add_f32_e32 v14, v20, v13
	v_cndmask_b32_e64 v12, 0, v12, s[38:39]
	v_exp_f32_e32 v8, v8
	v_mul_f32_e32 v7, 0x3fb8aa3b, v7
	v_sub_f32_e32 v6, v6, v18
	v_add_f32_e32 v14, v14, v12
	v_cndmask_b32_e64 v11, 0, v11, s[20:21]
	v_exp_f32_e32 v7, v7
	v_mul_f32_e32 v6, 0x3fb8aa3b, v6
	v_sub_f32_e32 v5, v5, v18
	;; [unrolled: 5-line block ×4, first 2 shown]
	buffer_store_dword v13, off, s[0:3], 0 offset:272
	buffer_store_dword v12, off, s[0:3], 0 offset:276
	;; [unrolled: 1-line block ×4, first 2 shown]
	v_add_f32_e32 v10, v14, v9
	v_cndmask_b32_e64 v8, 0, v8, s[18:19]
	v_exp_f32_e32 v4, v4
	v_mul_f32_e32 v3, 0x3fb8aa3b, v3
	v_sub_f32_e32 v2, v2, v18
	v_add_f32_e32 v10, v10, v8
	v_cndmask_b32_e64 v7, 0, v7, s[12:13]
	v_exp_f32_e32 v3, v3
	v_mul_f32_e32 v2, 0x3fb8aa3b, v2
	v_add_f32_e32 v10, v10, v7
	v_cndmask_b32_e64 v6, 0, v6, s[14:15]
	v_exp_f32_e32 v2, v2
	v_add_f32_e32 v10, v10, v6
	v_cndmask_b32_e64 v5, 0, v5, s[6:7]
	buffer_store_dword v9, off, s[0:3], 0 offset:288
	buffer_store_dword v8, off, s[0:3], 0 offset:292
	;; [unrolled: 1-line block ×4, first 2 shown]
	v_add_f32_e32 v6, v10, v5
	v_cndmask_b32_e64 v4, 0, v4, s[10:11]
	v_add_f32_e32 v6, v6, v4
	v_cndmask_b32_e32 v3, 0, v3, vcc
	v_add_f32_e32 v6, v6, v3
	v_cndmask_b32_e64 v2, 0, v2, s[4:5]
	v_add_f32_e32 v6, v6, v2
	ds_bpermute_b32 v7, v21, v6
	buffer_store_dword v5, off, s[0:3], 0 offset:304
	buffer_store_dword v4, off, s[0:3], 0 offset:308
	buffer_store_dword v3, off, s[0:3], 0 offset:312
	buffer_store_dword v2, off, s[0:3], 0 offset:316
	v_cmp_gt_u32_e32 vcc, 16, v45
	s_waitcnt lgkmcnt(0)
	s_barrier
	v_add_f32_e32 v2, v6, v7
	ds_bpermute_b32 v3, v19, v2
	s_waitcnt lgkmcnt(0)
	s_and_saveexec_b64 s[4:5], vcc
	s_cbranch_execz .LBB943_209
; %bb.208:
	v_add_f32_e32 v2, v2, v3
	v_lshlrev_b32_e32 v3, 2, v29
	ds_write2st64_b32 v3, v18, v2 offset1:1
.LBB943_209:
	s_or_b64 exec, exec, s[4:5]
	v_lshlrev_b32_e32 v2, 2, v41
	s_waitcnt lgkmcnt(0)
	s_barrier
	ds_read2_b32 v[14:15], v2 offset1:16
	ds_read2_b32 v[16:17], v2 offset0:32 offset1:48
	ds_read2_b32 v[6:7], v2 offset0:64 offset1:80
	;; [unrolled: 1-line block ×3, first 2 shown]
	s_waitcnt lgkmcnt(0)
	s_barrier
	buffer_load_dword v22, off, s[0:3], 0 offset:264
	buffer_load_dword v23, off, s[0:3], 0 offset:268
	;; [unrolled: 1-line block ×16, first 2 shown]
	v_max3_f32 v20, v14, s52, v15
	v_max3_f32 v20, v20, v16, v17
	v_sub_f32_e32 v14, v14, v20
	v_sub_f32_e32 v15, v15, v20
	v_mul_f32_e32 v14, 0x3fb8aa3b, v14
	v_sub_f32_e32 v16, v16, v20
	v_mul_f32_e32 v15, 0x3fb8aa3b, v15
	v_exp_f32_e32 v14, v14
	v_sub_f32_e32 v17, v17, v20
	v_mul_f32_e32 v16, 0x3fb8aa3b, v16
	v_exp_f32_e32 v15, v15
	v_mul_f32_e32 v17, 0x3fb8aa3b, v17
	v_exp_f32_e32 v16, v16
	v_exp_f32_e32 v17, v17
	v_fma_f32 v6, v14, v6, 0
	v_fmac_f32_e32 v6, v15, v7
	v_fmac_f32_e32 v6, v16, v12
	;; [unrolled: 1-line block ×3, first 2 shown]
	v_cmp_eq_u32_e32 vcc, 1, v27
	v_add_f32_e32 v12, 0x358637bd, v6
	v_cndmask_b32_e32 v14, v14, v15, vcc
	v_cmp_eq_u32_e32 vcc, 2, v27
	v_div_scale_f32 v13, s[4:5], v12, v12, 1.0
	v_cndmask_b32_e32 v7, v14, v16, vcc
	v_rcp_f32_e32 v14, v13
	v_cmp_eq_u32_e32 vcc, 3, v27
	v_cndmask_b32_e32 v7, v7, v17, vcc
	v_div_scale_f32 v15, vcc, 1.0, v12, 1.0
	v_fma_f32 v16, -v13, v14, 1.0
	v_fmac_f32_e32 v14, v16, v14
	v_mul_f32_e32 v16, v15, v14
	v_fma_f32 v17, -v13, v16, v15
	v_fmac_f32_e32 v16, v17, v14
	v_fma_f32 v13, -v13, v16, v15
	v_div_fmas_f32 v13, v13, v14, v16
	v_div_fixup_f32 v12, v13, v12, 1.0
	v_mul_f32_e32 v12, v7, v12
	s_movk_i32 s19, 0x7fff
	s_mov_b32 s20, 0x7060302
	s_lshl_b32 s18, s49, 1
	v_cmp_gt_u32_e32 vcc, 2, v0
	s_waitcnt vmcnt(14)
	v_pk_mul_f32 v[14:15], v[12:13], v[22:23] op_sel_hi:[0,1]
	v_bfe_u32 v21, v15, 16, 1
	s_waitcnt vmcnt(12)
	v_pk_mul_f32 v[16:17], v[12:13], v[24:25] op_sel_hi:[0,1]
	v_bfe_u32 v7, v17, 16, 1
	v_bfe_u32 v13, v16, 16, 1
	;; [unrolled: 1-line block ×3, first 2 shown]
	v_add3_u32 v13, v16, v13, s19
	v_add3_u32 v7, v17, v7, s19
	buffer_store_dword v16, off, s[0:3], 0 offset:256
	buffer_store_dword v17, off, s[0:3], 0 offset:260
	buffer_store_dword v14, off, s[0:3], 0 offset:264
	buffer_store_dword v15, off, s[0:3], 0 offset:268
	v_add3_u32 v16, v14, v22, s19
	v_add3_u32 v15, v15, v21, s19
	v_perm_b32 v14, v7, v13, s20
	v_lshlrev_b32_e32 v13, 3, v39
	v_perm_b32 v15, v15, v16, s20
	v_lshlrev_b32_e32 v7, 5, v41
	v_lshlrev_b32_e32 v16, 11, v27
	s_waitcnt vmcnt(12)
	v_pk_mul_f32 v[8:9], v[12:13], v[8:9] op_sel_hi:[0,1]
	v_or3_b32 v53, v16, v7, v13
	v_pk_mul_f32 v[10:11], v[12:13], v[10:11] op_sel_hi:[0,1]
	v_bfe_u32 v13, v9, 16, 1
	v_bfe_u32 v16, v8, 16, 1
	buffer_store_dword v8, off, s[0:3], 0 offset:272
	buffer_store_dword v9, off, s[0:3], 0 offset:276
	;; [unrolled: 1-line block ×4, first 2 shown]
	v_add3_u32 v8, v8, v16, s19
	v_add3_u32 v9, v9, v13, s19
	v_perm_b32 v8, v9, v8, s20
	v_bfe_u32 v9, v11, 16, 1
	v_bfe_u32 v13, v10, 16, 1
	v_add3_u32 v10, v10, v13, s19
	v_add3_u32 v9, v11, v9, s19
	v_perm_b32 v9, v9, v10, s20
	s_waitcnt vmcnt(14)
	v_pk_mul_f32 v[10:11], v[12:13], v[18:19] op_sel_hi:[0,1]
	ds_write2st64_b64 v53, v[14:15], v[8:9] offset1:1
	s_waitcnt vmcnt(12)
	v_pk_mul_f32 v[8:9], v[12:13], v[28:29] op_sel_hi:[0,1]
	v_bfe_u32 v13, v11, 16, 1
	v_bfe_u32 v14, v10, 16, 1
	buffer_store_dword v10, off, s[0:3], 0 offset:288
	buffer_store_dword v11, off, s[0:3], 0 offset:292
	;; [unrolled: 1-line block ×4, first 2 shown]
	v_add3_u32 v10, v10, v14, s19
	v_add3_u32 v11, v11, v13, s19
	v_perm_b32 v10, v11, v10, s20
	v_bfe_u32 v11, v9, 16, 1
	v_bfe_u32 v13, v8, 16, 1
	v_add3_u32 v8, v8, v13, s19
	v_add3_u32 v9, v9, v11, s19
	s_waitcnt vmcnt(14)
	v_pk_mul_f32 v[2:3], v[12:13], v[2:3] op_sel_hi:[0,1]
	v_perm_b32 v11, v9, v8, s20
	v_bfe_u32 v8, v3, 16, 1
	v_bfe_u32 v9, v2, 16, 1
	s_waitcnt vmcnt(12)
	v_pk_mul_f32 v[4:5], v[12:13], v[4:5] op_sel_hi:[0,1]
	buffer_store_dword v2, off, s[0:3], 0 offset:304
	buffer_store_dword v3, off, s[0:3], 0 offset:308
	;; [unrolled: 1-line block ×4, first 2 shown]
	v_add3_u32 v2, v2, v9, s19
	v_add3_u32 v3, v3, v8, s19
	v_perm_b32 v2, v3, v2, s20
	v_bfe_u32 v3, v5, 16, 1
	v_bfe_u32 v8, v4, 16, 1
	v_add3_u32 v4, v4, v8, s19
	v_add3_u32 v3, v5, v3, s19
	v_perm_b32 v3, v3, v4, s20
	ds_write2st64_b64 v53, v[10:11], v[2:3] offset0:2 offset1:3
	s_and_saveexec_b64 s[4:5], vcc
	s_cbranch_execz .LBB943_211
; %bb.210:
	v_or_b32_e32 v2, s27, v0
	v_mov_b32_e32 v3, 0
	v_mov_b32_e32 v4, s18
	v_mad_u64_u32 v[4:5], s[6:7], s8, v4, v[2:3]
	v_mov_b32_e32 v2, s26
	s_mul_i32 s9, s9, s18
	v_mad_u64_u32 v[2:3], s[6:7], v4, s48, v[2:3]
	v_add_u32_e32 v5, s9, v5
	v_mov_b32_e32 v4, v3
	v_mad_u64_u32 v[4:5], s[6:7], v5, s48, v[4:5]
	v_mov_b32_e32 v3, v4
	v_lshlrev_b64 v[2:3], 2, v[2:3]
	v_mov_b32_e32 v5, s47
	v_add_co_u32_e32 v4, vcc, s46, v2
	v_addc_co_u32_e32 v5, vcc, v5, v3, vcc
	global_store_dword v[4:5], v20, off
	v_mov_b32_e32 v4, s45
	v_add_co_u32_e32 v2, vcc, s44, v2
	v_addc_co_u32_e32 v3, vcc, v4, v3, vcc
	global_store_dword v[2:3], v6, off
.LBB943_211:
	s_or_b64 exec, exec, s[4:5]
	v_lshl_or_b32 v30, v39, 9, v7
	s_waitcnt lgkmcnt(0)
	s_barrier
	s_load_dword s4, s[42:43], 0x0
	ds_read_b128 v[2:5], v30
	ds_read_b128 v[6:9], v30 offset:16
	ds_read_b128 v[10:13], v30 offset:2048
	;; [unrolled: 1-line block ×7, first 2 shown]
	v_mov_b32_e32 v35, 0x80
	v_mov_b32_e32 v54, 0x140
	s_mov_b64 s[10:11], -1
	s_waitcnt lgkmcnt(0)
	s_mov_b32 s5, s4
	s_mov_b32 s6, s4
	;; [unrolled: 1-line block ×3, first 2 shown]
	s_movk_i32 s9, 0x80
	s_movk_i32 s21, 0x7f
	s_mov_b32 s22, 0xffffff
	s_mov_b32 s23, 0x5040100
	v_mov_b32_e32 v55, 0
	v_bfrev_b32_e32 v56, 60
	s_branch .LBB943_215
.LBB943_212:                            ;   in Loop: Header=BB943_215 Depth=1
	s_or_b64 exec, exec, s[16:17]
.LBB943_213:                            ;   in Loop: Header=BB943_215 Depth=1
	s_or_b64 exec, exec, s[14:15]
.LBB943_214:                            ;   in Loop: Header=BB943_215 Depth=1
	s_or_b64 exec, exec, s[12:13]
	v_perm_b32 v61, v57, v51, s23
	v_perm_b32 v60, v44, v46, s23
	s_xor_b64 s[12:13], s[10:11], -1
	s_mov_b64 s[10:11], 0
	v_mov_b32_e32 v46, v48
	v_mfma_f32_16x16x16bf16_1k v[60:63], v[60:61], v[30:31], v[34:37]
	s_and_b64 vcc, exec, s[12:13]
	v_mov_b32_e32 v51, v50
	s_nop 4
	v_perm_b32 v37, v59, v58, s23
	v_perm_b32 v36, v42, v52, s23
	v_mov_b32_e32 v35, v47
	v_mov_b32_e32 v52, v49
	v_mfma_f32_16x16x16bf16_1k v[58:61], v[36:37], v[32:33], v[60:63]
	s_nop 7
	s_nop 2
	v_pk_mul_f32 v[58:59], v[58:59], s[4:5]
	v_pk_mul_f32 v[36:37], v[60:61], s[6:7]
	v_bfe_u32 v34, v59, 16, 1
	v_bfe_u32 v38, v58, 16, 1
	;; [unrolled: 1-line block ×4, first 2 shown]
	v_add3_u32 v38, v58, v38, s19
	v_add3_u32 v34, v59, v34, s19
	;; [unrolled: 1-line block ×4, first 2 shown]
	v_perm_b32 v34, v34, v38, s20
	v_perm_b32 v36, v37, v36, s20
	buffer_store_dword v34, v54, s[0:3], 0 offen
	buffer_store_dword v36, v54, s[0:3], 0 offen offset:4
	v_mov_b32_e32 v54, 0x148
	s_cbranch_vccnz .LBB943_597
.LBB943_215:                            ; =>This Inner Loop Header: Depth=1
	buffer_load_dword v36, v35, s[0:3], 0 offen
	buffer_load_dword v34, v35, s[0:3], 0 offen offset:4
	buffer_load_dword v40, v35, s[0:3], 0 offen offset:8
	buffer_load_dword v38, v35, s[0:3], 0 offen offset:12
	v_mov_b32_e32 v35, 0
	s_waitcnt vmcnt(3)
	v_cmp_ne_u16_sdwa s[14:15], v36, v55 src0_sel:BYTE_0 src1_sel:DWORD
	s_and_saveexec_b64 s[12:13], s[14:15]
	s_cbranch_execz .LBB943_221
; %bb.216:                              ;   in Loop: Header=BB943_215 Depth=1
	v_cmp_ne_u16_sdwa s[16:17], v36, s9 src0_sel:BYTE_0 src1_sel:DWORD
	v_mov_b32_e32 v35, 0xffff8000
	s_and_saveexec_b64 s[14:15], s[16:17]
	s_cbranch_execz .LBB943_220
; %bb.217:                              ;   in Loop: Header=BB943_215 Depth=1
	v_and_b32_e32 v37, 0x7f, v36
	v_cmp_ne_u32_e32 vcc, s21, v37
	v_mov_b32_e32 v35, 0x7f80
	s_and_saveexec_b64 s[16:17], vcc
	s_cbranch_execz .LBB943_219
; %bb.218:                              ;   in Loop: Header=BB943_215 Depth=1
	v_and_b32_e32 v35, 7, v36
	v_ffbh_u32_e32 v44, v35
	v_min_u32_e32 v44, 32, v44
	v_subrev_u32_e32 v57, 28, v44
	v_lshlrev_b64 v[58:59], v57, v[36:37]
	v_lshrrev_b32_e32 v42, 3, v37
	v_sub_u32_e32 v44, 29, v44
	v_and_b32_e32 v57, 7, v58
	v_cmp_gt_u32_e32 vcc, 8, v37
	v_cndmask_b32_e32 v37, v42, v44, vcc
	v_cndmask_b32_e32 v35, v35, v57, vcc
	v_lshlrev_b32_e32 v42, 24, v36
	v_lshlrev_b32_e32 v35, 20, v35
	v_and_b32_e32 v42, 0x80000000, v42
	v_lshl_add_u32 v37, v37, 23, v56
	v_or3_b32 v35, v42, v37, v35
	v_lshrrev_b32_e32 v35, 16, v35
.LBB943_219:                            ;   in Loop: Header=BB943_215 Depth=1
	s_or_b64 exec, exec, s[16:17]
.LBB943_220:                            ;   in Loop: Header=BB943_215 Depth=1
	s_or_b64 exec, exec, s[14:15]
.LBB943_221:                            ;   in Loop: Header=BB943_215 Depth=1
	s_or_b64 exec, exec, s[12:13]
	v_lshrrev_b16_e32 v42, 8, v36
	v_cmp_ne_u16_e32 vcc, 0, v42
	v_mov_b32_e32 v57, 0
	v_mov_b32_e32 v37, 0
	s_and_saveexec_b64 s[12:13], vcc
	s_cbranch_execz .LBB943_227
; %bb.222:                              ;   in Loop: Header=BB943_215 Depth=1
	v_cmp_ne_u16_e32 vcc, s9, v42
	v_mov_b32_e32 v37, 0xffff8000
	s_and_saveexec_b64 s[14:15], vcc
	s_cbranch_execz .LBB943_226
; %bb.223:                              ;   in Loop: Header=BB943_215 Depth=1
	v_and_b32_e32 v44, 0x7f, v42
	v_cmp_ne_u32_e32 vcc, s21, v44
	v_mov_b32_e32 v37, 0x7f80
	s_and_saveexec_b64 s[16:17], vcc
	s_cbranch_execz .LBB943_225
; %bb.224:                              ;   in Loop: Header=BB943_215 Depth=1
	v_and_b32_e32 v37, 7, v42
	v_ffbh_u32_e32 v58, v37
	v_min_u32_e32 v61, 32, v58
	v_subrev_u32_e32 v58, 28, v61
	v_lshlrev_b64 v[58:59], v58, v[42:43]
	v_lshrrev_b32_e32 v60, 3, v44
	v_sub_u32_e32 v42, 29, v61
	v_and_b32_e32 v58, 7, v58
	v_cmp_gt_u32_e32 vcc, 8, v44
	v_cndmask_b32_e32 v42, v60, v42, vcc
	v_cndmask_b32_e32 v37, v37, v58, vcc
	v_lshlrev_b32_e32 v44, 16, v36
	v_lshlrev_b32_e32 v37, 20, v37
	v_and_b32_e32 v44, 0x80000000, v44
	v_lshl_add_u32 v42, v42, 23, v56
	v_or3_b32 v37, v44, v42, v37
	v_lshrrev_b32_e32 v37, 16, v37
.LBB943_225:                            ;   in Loop: Header=BB943_215 Depth=1
	s_or_b64 exec, exec, s[16:17]
.LBB943_226:                            ;   in Loop: Header=BB943_215 Depth=1
	s_or_b64 exec, exec, s[14:15]
.LBB943_227:                            ;   in Loop: Header=BB943_215 Depth=1
	s_or_b64 exec, exec, s[12:13]
	v_lshrrev_b32_e32 v42, 16, v36
	v_cmp_ne_u16_sdwa s[14:15], v42, v55 src0_sel:BYTE_0 src1_sel:DWORD
	s_and_saveexec_b64 s[12:13], s[14:15]
	s_cbranch_execz .LBB943_233
; %bb.228:                              ;   in Loop: Header=BB943_215 Depth=1
	v_cmp_ne_u16_sdwa s[16:17], v42, s9 src0_sel:BYTE_0 src1_sel:DWORD
	v_mov_b32_e32 v57, 0xffff8000
	s_and_saveexec_b64 s[14:15], s[16:17]
	s_cbranch_execz .LBB943_232
; %bb.229:                              ;   in Loop: Header=BB943_215 Depth=1
	v_bfe_u32 v44, v36, 16, 7
	v_cmp_ne_u32_e32 vcc, s21, v44
	v_mov_b32_e32 v57, 0x7f80
	s_and_saveexec_b64 s[16:17], vcc
	s_cbranch_execz .LBB943_231
; %bb.230:                              ;   in Loop: Header=BB943_215 Depth=1
	v_and_b32_e32 v57, 7, v42
	v_ffbh_u32_e32 v58, v57
	v_min_u32_e32 v61, 32, v58
	v_subrev_u32_e32 v58, 28, v61
	v_lshlrev_b64 v[58:59], v58, v[42:43]
	v_lshrrev_b32_e32 v60, 3, v44
	v_sub_u32_e32 v59, 29, v61
	v_and_b32_e32 v58, 7, v58
	v_cmp_gt_u32_e32 vcc, 8, v44
	v_cndmask_b32_e32 v44, v60, v59, vcc
	v_cndmask_b32_e32 v57, v57, v58, vcc
	v_lshlrev_b32_e32 v42, 24, v42
	v_lshlrev_b32_e32 v57, 20, v57
	v_and_b32_e32 v42, 0x80000000, v42
	v_lshl_add_u32 v44, v44, 23, v56
	v_or3_b32 v42, v42, v44, v57
	v_lshrrev_b32_e32 v57, 16, v42
.LBB943_231:                            ;   in Loop: Header=BB943_215 Depth=1
	s_or_b64 exec, exec, s[16:17]
.LBB943_232:                            ;   in Loop: Header=BB943_215 Depth=1
	s_or_b64 exec, exec, s[14:15]
.LBB943_233:                            ;   in Loop: Header=BB943_215 Depth=1
	s_or_b64 exec, exec, s[12:13]
	v_cmp_lt_u32_e32 vcc, s22, v36
	v_mov_b32_e32 v58, 0
	v_mov_b32_e32 v59, 0
	s_and_saveexec_b64 s[12:13], vcc
	s_cbranch_execz .LBB943_239
; %bb.234:                              ;   in Loop: Header=BB943_215 Depth=1
	v_lshrrev_b32_e32 v42, 24, v36
	v_cmp_ne_u32_e32 vcc, s9, v42
	v_mov_b32_e32 v59, 0xffff8000
	s_and_saveexec_b64 s[14:15], vcc
	s_cbranch_execz .LBB943_238
; %bb.235:                              ;   in Loop: Header=BB943_215 Depth=1
	v_bfe_u32 v36, v36, 24, 7
	v_cmp_ne_u32_e32 vcc, s21, v36
	v_mov_b32_e32 v59, 0x7f80
	s_and_saveexec_b64 s[16:17], vcc
	s_cbranch_execz .LBB943_237
; %bb.236:                              ;   in Loop: Header=BB943_215 Depth=1
	v_and_b32_e32 v44, 7, v42
	v_ffbh_u32_e32 v60, v44
	v_min_u32_e32 v62, 32, v60
	v_subrev_u32_e32 v60, 28, v62
	v_lshlrev_b64 v[60:61], v60, v[42:43]
	v_lshrrev_b32_e32 v59, 3, v36
	v_sub_u32_e32 v61, 29, v62
	v_and_b32_e32 v60, 7, v60
	v_cmp_gt_u32_e32 vcc, 8, v36
	v_cndmask_b32_e32 v36, v59, v61, vcc
	v_cndmask_b32_e32 v44, v44, v60, vcc
	v_lshlrev_b32_e32 v42, 24, v42
	v_lshlrev_b32_e32 v44, 20, v44
	v_and_b32_e32 v42, 0x80000000, v42
	v_lshl_add_u32 v36, v36, 23, v56
	v_or3_b32 v36, v42, v36, v44
	v_lshrrev_b32_e32 v59, 16, v36
.LBB943_237:                            ;   in Loop: Header=BB943_215 Depth=1
	s_or_b64 exec, exec, s[16:17]
.LBB943_238:                            ;   in Loop: Header=BB943_215 Depth=1
	s_or_b64 exec, exec, s[14:15]
.LBB943_239:                            ;   in Loop: Header=BB943_215 Depth=1
	s_or_b64 exec, exec, s[12:13]
	s_waitcnt vmcnt(2)
	v_cmp_ne_u16_sdwa s[14:15], v34, v55 src0_sel:BYTE_0 src1_sel:DWORD
	s_and_saveexec_b64 s[12:13], s[14:15]
	s_cbranch_execz .LBB943_245
; %bb.240:                              ;   in Loop: Header=BB943_215 Depth=1
	v_cmp_ne_u16_sdwa s[16:17], v34, s9 src0_sel:BYTE_0 src1_sel:DWORD
	v_mov_b32_e32 v58, 0xffff8000
	s_and_saveexec_b64 s[14:15], s[16:17]
	s_cbranch_execz .LBB943_244
; %bb.241:                              ;   in Loop: Header=BB943_215 Depth=1
	v_and_b32_e32 v36, 0x7f, v34
	v_cmp_ne_u32_e32 vcc, s21, v36
	v_mov_b32_e32 v58, 0x7f80
	s_and_saveexec_b64 s[16:17], vcc
	s_cbranch_execz .LBB943_243
; %bb.242:                              ;   in Loop: Header=BB943_215 Depth=1
	v_and_b32_e32 v42, 7, v34
	v_ffbh_u32_e32 v58, v42
	v_min_u32_e32 v58, 32, v58
	v_subrev_u32_e32 v60, 28, v58
	v_lshlrev_b64 v[60:61], v60, v[34:35]
	v_lshrrev_b32_e32 v44, 3, v36
	v_sub_u32_e32 v58, 29, v58
	v_and_b32_e32 v60, 7, v60
	v_cmp_gt_u32_e32 vcc, 8, v36
	v_cndmask_b32_e32 v36, v44, v58, vcc
	v_cndmask_b32_e32 v42, v42, v60, vcc
	v_lshlrev_b32_e32 v44, 24, v34
	v_lshlrev_b32_e32 v42, 20, v42
	v_and_b32_e32 v44, 0x80000000, v44
	v_lshl_add_u32 v36, v36, 23, v56
	v_or3_b32 v36, v44, v36, v42
	v_lshrrev_b32_e32 v58, 16, v36
.LBB943_243:                            ;   in Loop: Header=BB943_215 Depth=1
	s_or_b64 exec, exec, s[16:17]
.LBB943_244:                            ;   in Loop: Header=BB943_215 Depth=1
	s_or_b64 exec, exec, s[14:15]
.LBB943_245:                            ;   in Loop: Header=BB943_215 Depth=1
	s_or_b64 exec, exec, s[12:13]
	v_lshrrev_b16_e32 v36, 8, v34
	v_cmp_ne_u16_e32 vcc, 0, v36
	v_mov_b32_e32 v60, 0
	v_mov_b32_e32 v42, 0
	s_and_saveexec_b64 s[12:13], vcc
	s_cbranch_execz .LBB943_251
; %bb.246:                              ;   in Loop: Header=BB943_215 Depth=1
	v_cmp_ne_u16_e32 vcc, s9, v36
	v_mov_b32_e32 v42, 0xffff8000
	s_and_saveexec_b64 s[14:15], vcc
	s_cbranch_execz .LBB943_250
; %bb.247:                              ;   in Loop: Header=BB943_215 Depth=1
	v_and_b32_e32 v44, 0x7f, v36
	v_cmp_ne_u32_e32 vcc, s21, v44
	v_mov_b32_e32 v42, 0x7f80
	s_and_saveexec_b64 s[16:17], vcc
	s_cbranch_execz .LBB943_249
; %bb.248:                              ;   in Loop: Header=BB943_215 Depth=1
	v_and_b32_e32 v42, 7, v36
	v_ffbh_u32_e32 v62, v42
	v_min_u32_e32 v64, 32, v62
	v_subrev_u32_e32 v62, 28, v64
	v_lshlrev_b64 v[62:63], v62, v[36:37]
	v_lshrrev_b32_e32 v61, 3, v44
	v_sub_u32_e32 v36, 29, v64
	v_and_b32_e32 v62, 7, v62
	v_cmp_gt_u32_e32 vcc, 8, v44
	v_cndmask_b32_e32 v36, v61, v36, vcc
	v_cndmask_b32_e32 v42, v42, v62, vcc
	v_lshlrev_b32_e32 v44, 16, v34
	v_lshlrev_b32_e32 v42, 20, v42
	v_and_b32_e32 v44, 0x80000000, v44
	v_lshl_add_u32 v36, v36, 23, v56
	v_or3_b32 v36, v44, v36, v42
	v_lshrrev_b32_e32 v42, 16, v36
.LBB943_249:                            ;   in Loop: Header=BB943_215 Depth=1
	s_or_b64 exec, exec, s[16:17]
.LBB943_250:                            ;   in Loop: Header=BB943_215 Depth=1
	s_or_b64 exec, exec, s[14:15]
.LBB943_251:                            ;   in Loop: Header=BB943_215 Depth=1
	s_or_b64 exec, exec, s[12:13]
	v_lshrrev_b32_e32 v36, 16, v34
	v_cmp_ne_u16_sdwa s[14:15], v36, v55 src0_sel:BYTE_0 src1_sel:DWORD
	s_and_saveexec_b64 s[12:13], s[14:15]
	s_cbranch_execz .LBB943_257
; %bb.252:                              ;   in Loop: Header=BB943_215 Depth=1
	v_cmp_ne_u16_sdwa s[16:17], v36, s9 src0_sel:BYTE_0 src1_sel:DWORD
	v_mov_b32_e32 v60, 0xffff8000
	s_and_saveexec_b64 s[14:15], s[16:17]
	s_cbranch_execz .LBB943_256
; %bb.253:                              ;   in Loop: Header=BB943_215 Depth=1
	v_bfe_u32 v44, v34, 16, 7
	v_cmp_ne_u32_e32 vcc, s21, v44
	v_mov_b32_e32 v60, 0x7f80
	s_and_saveexec_b64 s[16:17], vcc
	s_cbranch_execz .LBB943_255
; %bb.254:                              ;   in Loop: Header=BB943_215 Depth=1
	v_and_b32_e32 v62, 7, v36
	v_ffbh_u32_e32 v60, v62
	v_min_u32_e32 v64, 32, v60
	v_subrev_u32_e32 v60, 28, v64
	v_lshlrev_b64 v[60:61], v60, v[36:37]
	v_lshrrev_b32_e32 v63, 3, v44
	v_sub_u32_e32 v61, 29, v64
	v_and_b32_e32 v60, 7, v60
	v_cmp_gt_u32_e32 vcc, 8, v44
	v_cndmask_b32_e32 v44, v63, v61, vcc
	v_cndmask_b32_e32 v60, v62, v60, vcc
	v_lshlrev_b32_e32 v36, 24, v36
	v_lshlrev_b32_e32 v60, 20, v60
	v_and_b32_e32 v36, 0x80000000, v36
	v_lshl_add_u32 v44, v44, 23, v56
	v_or3_b32 v36, v36, v44, v60
	v_lshrrev_b32_e32 v60, 16, v36
.LBB943_255:                            ;   in Loop: Header=BB943_215 Depth=1
	s_or_b64 exec, exec, s[16:17]
.LBB943_256:                            ;   in Loop: Header=BB943_215 Depth=1
	s_or_b64 exec, exec, s[14:15]
.LBB943_257:                            ;   in Loop: Header=BB943_215 Depth=1
	s_or_b64 exec, exec, s[12:13]
	v_cmp_lt_u32_e32 vcc, s22, v34
	v_mov_b32_e32 v44, 0
	v_mov_b32_e32 v61, 0
	s_and_saveexec_b64 s[12:13], vcc
	s_cbranch_execz .LBB943_263
; %bb.258:                              ;   in Loop: Header=BB943_215 Depth=1
	v_lshrrev_b32_e32 v36, 24, v34
	v_cmp_ne_u32_e32 vcc, s9, v36
	v_mov_b32_e32 v61, 0xffff8000
	s_and_saveexec_b64 s[14:15], vcc
	s_cbranch_execz .LBB943_262
; %bb.259:                              ;   in Loop: Header=BB943_215 Depth=1
	v_bfe_u32 v34, v34, 24, 7
	v_cmp_ne_u32_e32 vcc, s21, v34
	v_mov_b32_e32 v61, 0x7f80
	s_and_saveexec_b64 s[16:17], vcc
	s_cbranch_execz .LBB943_261
; %bb.260:                              ;   in Loop: Header=BB943_215 Depth=1
	v_and_b32_e32 v61, 7, v36
	v_ffbh_u32_e32 v62, v61
	v_min_u32_e32 v65, 32, v62
	v_subrev_u32_e32 v62, 28, v65
	v_lshlrev_b64 v[62:63], v62, v[36:37]
	v_lshrrev_b32_e32 v64, 3, v34
	v_sub_u32_e32 v63, 29, v65
	v_and_b32_e32 v62, 7, v62
	v_cmp_gt_u32_e32 vcc, 8, v34
	v_cndmask_b32_e32 v34, v64, v63, vcc
	v_cndmask_b32_e32 v61, v61, v62, vcc
	v_lshlrev_b32_e32 v36, 24, v36
	v_lshlrev_b32_e32 v61, 20, v61
	v_and_b32_e32 v36, 0x80000000, v36
	v_lshl_add_u32 v34, v34, 23, v56
	v_or3_b32 v34, v36, v34, v61
	v_lshrrev_b32_e32 v61, 16, v34
.LBB943_261:                            ;   in Loop: Header=BB943_215 Depth=1
	s_or_b64 exec, exec, s[16:17]
.LBB943_262:                            ;   in Loop: Header=BB943_215 Depth=1
	s_or_b64 exec, exec, s[14:15]
.LBB943_263:                            ;   in Loop: Header=BB943_215 Depth=1
	s_or_b64 exec, exec, s[12:13]
	v_perm_b32 v63, v59, v57, s23
	v_perm_b32 v62, v37, v35, s23
	;; [unrolled: 1-line block ×4, first 2 shown]
	s_waitcnt vmcnt(1)
	v_cmp_ne_u16_sdwa s[14:15], v40, v55 src0_sel:BYTE_0 src1_sel:DWORD
	v_mfma_f32_16x16x16bf16_1k v[34:37], v[62:63], v[2:3], 0
	v_mfma_f32_16x16x16bf16_1k v[34:37], v[58:59], v[4:5], v[34:37]
	s_and_saveexec_b64 s[12:13], s[14:15]
	s_cbranch_execz .LBB943_269
; %bb.264:                              ;   in Loop: Header=BB943_215 Depth=1
	v_cmp_ne_u16_sdwa s[16:17], v40, s9 src0_sel:BYTE_0 src1_sel:DWORD
	v_mov_b32_e32 v44, 0xffff8000
	s_and_saveexec_b64 s[14:15], s[16:17]
	s_cbranch_execz .LBB943_268
; %bb.265:                              ;   in Loop: Header=BB943_215 Depth=1
	v_and_b32_e32 v42, 0x7f, v40
	v_cmp_ne_u32_e32 vcc, s21, v42
	v_mov_b32_e32 v44, 0x7f80
	s_and_saveexec_b64 s[16:17], vcc
	s_cbranch_execz .LBB943_267
; %bb.266:                              ;   in Loop: Header=BB943_215 Depth=1
	v_and_b32_e32 v44, 7, v40
	v_ffbh_u32_e32 v58, v44
	v_min_u32_e32 v60, 32, v58
	v_subrev_u32_e32 v58, 28, v60
	v_lshlrev_b64 v[58:59], v58, v[40:41]
	v_lshrrev_b32_e32 v57, 3, v42
	v_sub_u32_e32 v59, 29, v60
	v_and_b32_e32 v58, 7, v58
	v_cmp_gt_u32_e32 vcc, 8, v42
	v_cndmask_b32_e32 v42, v57, v59, vcc
	v_cndmask_b32_e32 v44, v44, v58, vcc
	v_lshlrev_b32_e32 v57, 24, v40
	v_lshlrev_b32_e32 v44, 20, v44
	v_and_b32_e32 v57, 0x80000000, v57
	v_lshl_add_u32 v42, v42, 23, v56
	v_or3_b32 v42, v57, v42, v44
	v_lshrrev_b32_e32 v44, 16, v42
.LBB943_267:                            ;   in Loop: Header=BB943_215 Depth=1
	s_or_b64 exec, exec, s[16:17]
.LBB943_268:                            ;   in Loop: Header=BB943_215 Depth=1
	s_or_b64 exec, exec, s[14:15]
.LBB943_269:                            ;   in Loop: Header=BB943_215 Depth=1
	s_or_b64 exec, exec, s[12:13]
	v_lshrrev_b16_e32 v42, 8, v40
	v_cmp_ne_u16_e32 vcc, 0, v42
	v_mov_b32_e32 v59, 0
	v_mov_b32_e32 v58, 0
	s_and_saveexec_b64 s[12:13], vcc
	s_cbranch_execz .LBB943_275
; %bb.270:                              ;   in Loop: Header=BB943_215 Depth=1
	v_cmp_ne_u16_e32 vcc, s9, v42
	v_mov_b32_e32 v58, 0xffff8000
	s_and_saveexec_b64 s[14:15], vcc
	s_cbranch_execz .LBB943_274
; %bb.271:                              ;   in Loop: Header=BB943_215 Depth=1
	v_and_b32_e32 v57, 0x7f, v42
	v_cmp_ne_u32_e32 vcc, s21, v57
	v_mov_b32_e32 v58, 0x7f80
	s_and_saveexec_b64 s[16:17], vcc
	s_cbranch_execz .LBB943_273
; %bb.272:                              ;   in Loop: Header=BB943_215 Depth=1
	v_and_b32_e32 v58, 7, v42
	v_ffbh_u32_e32 v60, v58
	v_min_u32_e32 v63, 32, v60
	v_subrev_u32_e32 v60, 28, v63
	v_lshlrev_b64 v[60:61], v60, v[42:43]
	v_lshrrev_b32_e32 v62, 3, v57
	v_sub_u32_e32 v42, 29, v63
	v_and_b32_e32 v60, 7, v60
	v_cmp_gt_u32_e32 vcc, 8, v57
	v_cndmask_b32_e32 v42, v62, v42, vcc
	v_cndmask_b32_e32 v57, v58, v60, vcc
	v_lshlrev_b32_e32 v58, 16, v40
	v_lshlrev_b32_e32 v57, 20, v57
	v_and_b32_e32 v58, 0x80000000, v58
	v_lshl_add_u32 v42, v42, 23, v56
	v_or3_b32 v42, v58, v42, v57
	v_lshrrev_b32_e32 v58, 16, v42
.LBB943_273:                            ;   in Loop: Header=BB943_215 Depth=1
	s_or_b64 exec, exec, s[16:17]
.LBB943_274:                            ;   in Loop: Header=BB943_215 Depth=1
	s_or_b64 exec, exec, s[14:15]
.LBB943_275:                            ;   in Loop: Header=BB943_215 Depth=1
	s_or_b64 exec, exec, s[12:13]
	v_lshrrev_b32_e32 v42, 16, v40
	v_cmp_ne_u16_sdwa s[14:15], v42, v55 src0_sel:BYTE_0 src1_sel:DWORD
	s_and_saveexec_b64 s[12:13], s[14:15]
	s_cbranch_execz .LBB943_281
; %bb.276:                              ;   in Loop: Header=BB943_215 Depth=1
	v_cmp_ne_u16_sdwa s[16:17], v42, s9 src0_sel:BYTE_0 src1_sel:DWORD
	v_mov_b32_e32 v59, 0xffff8000
	s_and_saveexec_b64 s[14:15], s[16:17]
	s_cbranch_execz .LBB943_280
; %bb.277:                              ;   in Loop: Header=BB943_215 Depth=1
	v_bfe_u32 v57, v40, 16, 7
	v_cmp_ne_u32_e32 vcc, s21, v57
	v_mov_b32_e32 v59, 0x7f80
	s_and_saveexec_b64 s[16:17], vcc
	s_cbranch_execz .LBB943_279
; %bb.278:                              ;   in Loop: Header=BB943_215 Depth=1
	v_and_b32_e32 v59, 7, v42
	v_ffbh_u32_e32 v60, v59
	v_min_u32_e32 v63, 32, v60
	v_subrev_u32_e32 v60, 28, v63
	v_lshlrev_b64 v[60:61], v60, v[42:43]
	v_lshrrev_b32_e32 v62, 3, v57
	v_sub_u32_e32 v61, 29, v63
	v_and_b32_e32 v60, 7, v60
	v_cmp_gt_u32_e32 vcc, 8, v57
	v_cndmask_b32_e32 v57, v62, v61, vcc
	v_cndmask_b32_e32 v59, v59, v60, vcc
	v_lshlrev_b32_e32 v42, 24, v42
	v_lshlrev_b32_e32 v59, 20, v59
	v_and_b32_e32 v42, 0x80000000, v42
	v_lshl_add_u32 v57, v57, 23, v56
	v_or3_b32 v42, v42, v57, v59
	v_lshrrev_b32_e32 v59, 16, v42
.LBB943_279:                            ;   in Loop: Header=BB943_215 Depth=1
	s_or_b64 exec, exec, s[16:17]
.LBB943_280:                            ;   in Loop: Header=BB943_215 Depth=1
	s_or_b64 exec, exec, s[14:15]
.LBB943_281:                            ;   in Loop: Header=BB943_215 Depth=1
	s_or_b64 exec, exec, s[12:13]
	v_cmp_lt_u32_e32 vcc, s22, v40
	v_mov_b32_e32 v60, 0
	v_mov_b32_e32 v61, 0
	s_and_saveexec_b64 s[12:13], vcc
	s_cbranch_execz .LBB943_287
; %bb.282:                              ;   in Loop: Header=BB943_215 Depth=1
	v_lshrrev_b32_e32 v42, 24, v40
	v_cmp_ne_u32_e32 vcc, s9, v42
	v_mov_b32_e32 v61, 0xffff8000
	s_and_saveexec_b64 s[14:15], vcc
	s_cbranch_execz .LBB943_286
; %bb.283:                              ;   in Loop: Header=BB943_215 Depth=1
	v_bfe_u32 v40, v40, 24, 7
	v_cmp_ne_u32_e32 vcc, s21, v40
	v_mov_b32_e32 v61, 0x7f80
	s_and_saveexec_b64 s[16:17], vcc
	s_cbranch_execz .LBB943_285
; %bb.284:                              ;   in Loop: Header=BB943_215 Depth=1
	v_and_b32_e32 v57, 7, v42
	v_ffbh_u32_e32 v62, v57
	v_min_u32_e32 v64, 32, v62
	v_subrev_u32_e32 v62, 28, v64
	v_lshlrev_b64 v[62:63], v62, v[42:43]
	v_lshrrev_b32_e32 v61, 3, v40
	v_sub_u32_e32 v63, 29, v64
	v_and_b32_e32 v62, 7, v62
	v_cmp_gt_u32_e32 vcc, 8, v40
	v_cndmask_b32_e32 v40, v61, v63, vcc
	v_cndmask_b32_e32 v57, v57, v62, vcc
	v_lshlrev_b32_e32 v42, 24, v42
	v_lshlrev_b32_e32 v57, 20, v57
	v_and_b32_e32 v42, 0x80000000, v42
	v_lshl_add_u32 v40, v40, 23, v56
	v_or3_b32 v40, v42, v40, v57
	v_lshrrev_b32_e32 v61, 16, v40
.LBB943_285:                            ;   in Loop: Header=BB943_215 Depth=1
	s_or_b64 exec, exec, s[16:17]
.LBB943_286:                            ;   in Loop: Header=BB943_215 Depth=1
	s_or_b64 exec, exec, s[14:15]
.LBB943_287:                            ;   in Loop: Header=BB943_215 Depth=1
	s_or_b64 exec, exec, s[12:13]
	s_waitcnt vmcnt(0)
	v_cmp_ne_u16_sdwa s[14:15], v38, v55 src0_sel:BYTE_0 src1_sel:DWORD
	s_and_saveexec_b64 s[12:13], s[14:15]
	s_cbranch_execz .LBB943_293
; %bb.288:                              ;   in Loop: Header=BB943_215 Depth=1
	v_cmp_ne_u16_sdwa s[16:17], v38, s9 src0_sel:BYTE_0 src1_sel:DWORD
	v_mov_b32_e32 v60, 0xffff8000
	s_and_saveexec_b64 s[14:15], s[16:17]
	s_cbranch_execz .LBB943_292
; %bb.289:                              ;   in Loop: Header=BB943_215 Depth=1
	v_and_b32_e32 v40, 0x7f, v38
	v_cmp_ne_u32_e32 vcc, s21, v40
	v_mov_b32_e32 v60, 0x7f80
	s_and_saveexec_b64 s[16:17], vcc
	s_cbranch_execz .LBB943_291
; %bb.290:                              ;   in Loop: Header=BB943_215 Depth=1
	v_and_b32_e32 v42, 7, v38
	v_ffbh_u32_e32 v60, v42
	v_min_u32_e32 v60, 32, v60
	v_subrev_u32_e32 v62, 28, v60
	v_lshlrev_b64 v[62:63], v62, v[38:39]
	v_lshrrev_b32_e32 v57, 3, v40
	v_sub_u32_e32 v60, 29, v60
	v_and_b32_e32 v62, 7, v62
	v_cmp_gt_u32_e32 vcc, 8, v40
	v_cndmask_b32_e32 v40, v57, v60, vcc
	v_cndmask_b32_e32 v42, v42, v62, vcc
	v_lshlrev_b32_e32 v57, 24, v38
	v_lshlrev_b32_e32 v42, 20, v42
	v_and_b32_e32 v57, 0x80000000, v57
	v_lshl_add_u32 v40, v40, 23, v56
	v_or3_b32 v40, v57, v40, v42
	v_lshrrev_b32_e32 v60, 16, v40
.LBB943_291:                            ;   in Loop: Header=BB943_215 Depth=1
	s_or_b64 exec, exec, s[16:17]
.LBB943_292:                            ;   in Loop: Header=BB943_215 Depth=1
	s_or_b64 exec, exec, s[14:15]
.LBB943_293:                            ;   in Loop: Header=BB943_215 Depth=1
	s_or_b64 exec, exec, s[12:13]
	v_lshrrev_b16_e32 v40, 8, v38
	v_cmp_ne_u16_e32 vcc, 0, v40
	v_mov_b32_e32 v63, 0
	v_mov_b32_e32 v62, 0
	s_and_saveexec_b64 s[12:13], vcc
	s_cbranch_execz .LBB943_299
; %bb.294:                              ;   in Loop: Header=BB943_215 Depth=1
	v_cmp_ne_u16_e32 vcc, s9, v40
	v_mov_b32_e32 v62, 0xffff8000
	s_and_saveexec_b64 s[14:15], vcc
	s_cbranch_execz .LBB943_298
; %bb.295:                              ;   in Loop: Header=BB943_215 Depth=1
	v_and_b32_e32 v42, 0x7f, v40
	v_cmp_ne_u32_e32 vcc, s21, v42
	v_mov_b32_e32 v62, 0x7f80
	s_and_saveexec_b64 s[16:17], vcc
	s_cbranch_execz .LBB943_297
; %bb.296:                              ;   in Loop: Header=BB943_215 Depth=1
	v_and_b32_e32 v57, 7, v40
	v_ffbh_u32_e32 v64, v57
	v_min_u32_e32 v66, 32, v64
	v_subrev_u32_e32 v64, 28, v66
	v_lshlrev_b64 v[64:65], v64, v[40:41]
	v_lshrrev_b32_e32 v62, 3, v42
	v_sub_u32_e32 v40, 29, v66
	v_and_b32_e32 v64, 7, v64
	v_cmp_gt_u32_e32 vcc, 8, v42
	v_cndmask_b32_e32 v40, v62, v40, vcc
	v_cndmask_b32_e32 v42, v57, v64, vcc
	v_lshlrev_b32_e32 v57, 16, v38
	v_lshlrev_b32_e32 v42, 20, v42
	v_and_b32_e32 v57, 0x80000000, v57
	v_lshl_add_u32 v40, v40, 23, v56
	v_or3_b32 v40, v57, v40, v42
	v_lshrrev_b32_e32 v62, 16, v40
.LBB943_297:                            ;   in Loop: Header=BB943_215 Depth=1
	s_or_b64 exec, exec, s[16:17]
.LBB943_298:                            ;   in Loop: Header=BB943_215 Depth=1
	s_or_b64 exec, exec, s[14:15]
.LBB943_299:                            ;   in Loop: Header=BB943_215 Depth=1
	s_or_b64 exec, exec, s[12:13]
	v_lshrrev_b32_e32 v40, 16, v38
	v_cmp_ne_u16_sdwa s[14:15], v40, v55 src0_sel:BYTE_0 src1_sel:DWORD
	s_and_saveexec_b64 s[12:13], s[14:15]
	s_cbranch_execz .LBB943_305
; %bb.300:                              ;   in Loop: Header=BB943_215 Depth=1
	v_cmp_ne_u16_sdwa s[16:17], v40, s9 src0_sel:BYTE_0 src1_sel:DWORD
	v_mov_b32_e32 v63, 0xffff8000
	s_and_saveexec_b64 s[14:15], s[16:17]
	s_cbranch_execz .LBB943_304
; %bb.301:                              ;   in Loop: Header=BB943_215 Depth=1
	v_bfe_u32 v42, v38, 16, 7
	v_cmp_ne_u32_e32 vcc, s21, v42
	v_mov_b32_e32 v63, 0x7f80
	s_and_saveexec_b64 s[16:17], vcc
	s_cbranch_execz .LBB943_303
; %bb.302:                              ;   in Loop: Header=BB943_215 Depth=1
	v_and_b32_e32 v57, 7, v40
	v_ffbh_u32_e32 v64, v57
	v_min_u32_e32 v66, 32, v64
	v_subrev_u32_e32 v64, 28, v66
	v_lshlrev_b64 v[64:65], v64, v[40:41]
	v_lshrrev_b32_e32 v63, 3, v42
	v_sub_u32_e32 v65, 29, v66
	v_and_b32_e32 v64, 7, v64
	v_cmp_gt_u32_e32 vcc, 8, v42
	v_cndmask_b32_e32 v42, v63, v65, vcc
	v_cndmask_b32_e32 v57, v57, v64, vcc
	v_lshlrev_b32_e32 v40, 24, v40
	v_lshlrev_b32_e32 v57, 20, v57
	v_and_b32_e32 v40, 0x80000000, v40
	v_lshl_add_u32 v42, v42, 23, v56
	v_or3_b32 v40, v40, v42, v57
	v_lshrrev_b32_e32 v63, 16, v40
.LBB943_303:                            ;   in Loop: Header=BB943_215 Depth=1
	s_or_b64 exec, exec, s[16:17]
.LBB943_304:                            ;   in Loop: Header=BB943_215 Depth=1
	s_or_b64 exec, exec, s[14:15]
.LBB943_305:                            ;   in Loop: Header=BB943_215 Depth=1
	s_or_b64 exec, exec, s[12:13]
	v_cmp_lt_u32_e32 vcc, s22, v38
	v_mov_b32_e32 v57, 0
	v_mov_b32_e32 v64, 0
	s_and_saveexec_b64 s[12:13], vcc
	s_cbranch_execz .LBB943_311
; %bb.306:                              ;   in Loop: Header=BB943_215 Depth=1
	v_lshrrev_b32_e32 v40, 24, v38
	v_cmp_ne_u32_e32 vcc, s9, v40
	v_mov_b32_e32 v64, 0xffff8000
	s_and_saveexec_b64 s[14:15], vcc
	s_cbranch_execz .LBB943_310
; %bb.307:                              ;   in Loop: Header=BB943_215 Depth=1
	v_bfe_u32 v38, v38, 24, 7
	v_cmp_ne_u32_e32 vcc, s21, v38
	v_mov_b32_e32 v64, 0x7f80
	s_and_saveexec_b64 s[16:17], vcc
	s_cbranch_execz .LBB943_309
; %bb.308:                              ;   in Loop: Header=BB943_215 Depth=1
	v_and_b32_e32 v42, 7, v40
	v_ffbh_u32_e32 v64, v42
	v_min_u32_e32 v67, 32, v64
	v_subrev_u32_e32 v64, 28, v67
	v_lshlrev_b64 v[64:65], v64, v[40:41]
	v_lshrrev_b32_e32 v66, 3, v38
	v_sub_u32_e32 v65, 29, v67
	v_and_b32_e32 v64, 7, v64
	v_cmp_gt_u32_e32 vcc, 8, v38
	v_cndmask_b32_e32 v38, v66, v65, vcc
	v_cndmask_b32_e32 v42, v42, v64, vcc
	v_lshlrev_b32_e32 v40, 24, v40
	v_lshlrev_b32_e32 v42, 20, v42
	v_and_b32_e32 v40, 0x80000000, v40
	v_lshl_add_u32 v38, v38, 23, v56
	v_or3_b32 v38, v40, v38, v42
	v_lshrrev_b32_e32 v64, 16, v38
.LBB943_309:                            ;   in Loop: Header=BB943_215 Depth=1
	s_or_b64 exec, exec, s[16:17]
.LBB943_310:                            ;   in Loop: Header=BB943_215 Depth=1
	s_or_b64 exec, exec, s[14:15]
.LBB943_311:                            ;   in Loop: Header=BB943_215 Depth=1
	s_or_b64 exec, exec, s[12:13]
	v_perm_b32 v58, v58, v44, s23
	buffer_load_dword v44, v46, s[0:3], 0 offen
	buffer_load_dword v42, v46, s[0:3], 0 offen offset:4
	buffer_load_dword v40, v46, s[0:3], 0 offen offset:8
	;; [unrolled: 1-line block ×3, first 2 shown]
	v_perm_b32 v59, v61, v59, s23
	s_waitcnt vmcnt(3)
	v_cmp_ne_u16_sdwa s[14:15], v44, v55 src0_sel:BYTE_0 src1_sel:DWORD
	v_mfma_f32_16x16x16bf16_1k v[34:37], v[58:59], v[6:7], v[34:37]
	v_perm_b32 v59, v64, v63, s23
	v_perm_b32 v58, v62, v60, s23
	s_nop 1
	v_mfma_f32_16x16x16bf16_1k v[34:37], v[58:59], v[8:9], v[34:37]
	s_and_saveexec_b64 s[12:13], s[14:15]
	s_cbranch_execz .LBB943_317
; %bb.312:                              ;   in Loop: Header=BB943_215 Depth=1
	v_cmp_ne_u16_sdwa s[16:17], v44, s9 src0_sel:BYTE_0 src1_sel:DWORD
	v_mov_b32_e32 v57, 0xffff8000
	s_and_saveexec_b64 s[14:15], s[16:17]
	s_cbranch_execz .LBB943_316
; %bb.313:                              ;   in Loop: Header=BB943_215 Depth=1
	v_and_b32_e32 v46, 0x7f, v44
	v_cmp_ne_u32_e32 vcc, s21, v46
	v_mov_b32_e32 v57, 0x7f80
	s_and_saveexec_b64 s[16:17], vcc
	s_cbranch_execz .LBB943_315
; %bb.314:                              ;   in Loop: Header=BB943_215 Depth=1
	v_and_b32_e32 v57, 7, v44
	v_ffbh_u32_e32 v58, v57
	v_min_u32_e32 v61, 32, v58
	v_subrev_u32_e32 v58, 28, v61
	v_lshlrev_b64 v[58:59], v58, v[44:45]
	v_lshrrev_b32_e32 v60, 3, v46
	v_sub_u32_e32 v59, 29, v61
	v_and_b32_e32 v58, 7, v58
	v_cmp_gt_u32_e32 vcc, 8, v46
	v_cndmask_b32_e32 v46, v60, v59, vcc
	v_cndmask_b32_e32 v57, v57, v58, vcc
	v_lshlrev_b32_e32 v58, 24, v44
	v_lshlrev_b32_e32 v57, 20, v57
	v_and_b32_e32 v58, 0x80000000, v58
	v_lshl_add_u32 v46, v46, 23, v56
	v_or3_b32 v46, v58, v46, v57
	v_lshrrev_b32_e32 v57, 16, v46
.LBB943_315:                            ;   in Loop: Header=BB943_215 Depth=1
	s_or_b64 exec, exec, s[16:17]
.LBB943_316:                            ;   in Loop: Header=BB943_215 Depth=1
	s_or_b64 exec, exec, s[14:15]
.LBB943_317:                            ;   in Loop: Header=BB943_215 Depth=1
	s_or_b64 exec, exec, s[12:13]
	v_lshrrev_b16_e32 v46, 8, v44
	v_cmp_ne_u16_e32 vcc, 0, v46
	v_mov_b32_e32 v59, 0
	v_mov_b32_e32 v58, 0
	s_and_saveexec_b64 s[12:13], vcc
	s_cbranch_execz .LBB943_323
; %bb.318:                              ;   in Loop: Header=BB943_215 Depth=1
	v_cmp_ne_u16_e32 vcc, s9, v46
	v_mov_b32_e32 v58, 0xffff8000
	s_and_saveexec_b64 s[14:15], vcc
	s_cbranch_execz .LBB943_322
; %bb.319:                              ;   in Loop: Header=BB943_215 Depth=1
	v_and_b32_e32 v60, 0x7f, v46
	v_cmp_ne_u32_e32 vcc, s21, v60
	v_mov_b32_e32 v58, 0x7f80
	s_and_saveexec_b64 s[16:17], vcc
	s_cbranch_execz .LBB943_321
; %bb.320:                              ;   in Loop: Header=BB943_215 Depth=1
	v_and_b32_e32 v58, 7, v46
	v_ffbh_u32_e32 v62, v58
	v_min_u32_e32 v64, 32, v62
	v_subrev_u32_e32 v62, 28, v64
	v_lshlrev_b64 v[62:63], v62, v[46:47]
	v_lshrrev_b32_e32 v61, 3, v60
	v_sub_u32_e32 v46, 29, v64
	v_and_b32_e32 v62, 7, v62
	v_cmp_gt_u32_e32 vcc, 8, v60
	v_cndmask_b32_e32 v46, v61, v46, vcc
	v_cndmask_b32_e32 v58, v58, v62, vcc
	v_lshlrev_b32_e32 v60, 16, v44
	v_lshlrev_b32_e32 v58, 20, v58
	v_and_b32_e32 v60, 0x80000000, v60
	v_lshl_add_u32 v46, v46, 23, v56
	v_or3_b32 v46, v60, v46, v58
	v_lshrrev_b32_e32 v58, 16, v46
.LBB943_321:                            ;   in Loop: Header=BB943_215 Depth=1
	s_or_b64 exec, exec, s[16:17]
.LBB943_322:                            ;   in Loop: Header=BB943_215 Depth=1
	s_or_b64 exec, exec, s[14:15]
.LBB943_323:                            ;   in Loop: Header=BB943_215 Depth=1
	s_or_b64 exec, exec, s[12:13]
	v_lshrrev_b32_e32 v46, 16, v44
	v_cmp_ne_u16_sdwa s[14:15], v46, v55 src0_sel:BYTE_0 src1_sel:DWORD
	s_and_saveexec_b64 s[12:13], s[14:15]
	s_cbranch_execz .LBB943_329
; %bb.324:                              ;   in Loop: Header=BB943_215 Depth=1
	v_cmp_ne_u16_sdwa s[16:17], v46, s9 src0_sel:BYTE_0 src1_sel:DWORD
	v_mov_b32_e32 v59, 0xffff8000
	s_and_saveexec_b64 s[14:15], s[16:17]
	s_cbranch_execz .LBB943_328
; %bb.325:                              ;   in Loop: Header=BB943_215 Depth=1
	v_bfe_u32 v60, v44, 16, 7
	v_cmp_ne_u32_e32 vcc, s21, v60
	v_mov_b32_e32 v59, 0x7f80
	s_and_saveexec_b64 s[16:17], vcc
	s_cbranch_execz .LBB943_327
; %bb.326:                              ;   in Loop: Header=BB943_215 Depth=1
	v_and_b32_e32 v59, 7, v46
	v_ffbh_u32_e32 v62, v59
	v_min_u32_e32 v64, 32, v62
	v_subrev_u32_e32 v62, 28, v64
	v_lshlrev_b64 v[62:63], v62, v[46:47]
	v_lshrrev_b32_e32 v61, 3, v60
	v_sub_u32_e32 v63, 29, v64
	v_and_b32_e32 v62, 7, v62
	v_cmp_gt_u32_e32 vcc, 8, v60
	v_cndmask_b32_e32 v60, v61, v63, vcc
	v_cndmask_b32_e32 v59, v59, v62, vcc
	v_lshlrev_b32_e32 v46, 24, v46
	v_lshlrev_b32_e32 v59, 20, v59
	v_and_b32_e32 v46, 0x80000000, v46
	v_lshl_add_u32 v60, v60, 23, v56
	v_or3_b32 v46, v46, v60, v59
	v_lshrrev_b32_e32 v59, 16, v46
.LBB943_327:                            ;   in Loop: Header=BB943_215 Depth=1
	s_or_b64 exec, exec, s[16:17]
.LBB943_328:                            ;   in Loop: Header=BB943_215 Depth=1
	s_or_b64 exec, exec, s[14:15]
.LBB943_329:                            ;   in Loop: Header=BB943_215 Depth=1
	s_or_b64 exec, exec, s[12:13]
	v_cmp_lt_u32_e32 vcc, s22, v44
	v_mov_b32_e32 v60, 0
	v_mov_b32_e32 v61, 0
	s_and_saveexec_b64 s[12:13], vcc
	s_cbranch_execz .LBB943_335
; %bb.330:                              ;   in Loop: Header=BB943_215 Depth=1
	v_lshrrev_b32_e32 v46, 24, v44
	v_cmp_ne_u32_e32 vcc, s9, v46
	v_mov_b32_e32 v61, 0xffff8000
	s_and_saveexec_b64 s[14:15], vcc
	s_cbranch_execz .LBB943_334
; %bb.331:                              ;   in Loop: Header=BB943_215 Depth=1
	v_bfe_u32 v44, v44, 24, 7
	v_cmp_ne_u32_e32 vcc, s21, v44
	v_mov_b32_e32 v61, 0x7f80
	s_and_saveexec_b64 s[16:17], vcc
	s_cbranch_execz .LBB943_333
; %bb.332:                              ;   in Loop: Header=BB943_215 Depth=1
	v_and_b32_e32 v61, 7, v46
	v_ffbh_u32_e32 v62, v61
	v_min_u32_e32 v65, 32, v62
	v_subrev_u32_e32 v62, 28, v65
	v_lshlrev_b64 v[62:63], v62, v[46:47]
	v_lshrrev_b32_e32 v64, 3, v44
	v_sub_u32_e32 v63, 29, v65
	v_and_b32_e32 v62, 7, v62
	v_cmp_gt_u32_e32 vcc, 8, v44
	v_cndmask_b32_e32 v44, v64, v63, vcc
	v_cndmask_b32_e32 v61, v61, v62, vcc
	v_lshlrev_b32_e32 v46, 24, v46
	v_lshlrev_b32_e32 v61, 20, v61
	v_and_b32_e32 v46, 0x80000000, v46
	v_lshl_add_u32 v44, v44, 23, v56
	v_or3_b32 v44, v46, v44, v61
	v_lshrrev_b32_e32 v61, 16, v44
.LBB943_333:                            ;   in Loop: Header=BB943_215 Depth=1
	s_or_b64 exec, exec, s[16:17]
.LBB943_334:                            ;   in Loop: Header=BB943_215 Depth=1
	s_or_b64 exec, exec, s[14:15]
.LBB943_335:                            ;   in Loop: Header=BB943_215 Depth=1
	s_or_b64 exec, exec, s[12:13]
	s_waitcnt vmcnt(2)
	v_cmp_ne_u16_sdwa s[14:15], v42, v55 src0_sel:BYTE_0 src1_sel:DWORD
	s_and_saveexec_b64 s[12:13], s[14:15]
	s_cbranch_execz .LBB943_341
; %bb.336:                              ;   in Loop: Header=BB943_215 Depth=1
	v_cmp_ne_u16_sdwa s[16:17], v42, s9 src0_sel:BYTE_0 src1_sel:DWORD
	v_mov_b32_e32 v60, 0xffff8000
	s_and_saveexec_b64 s[14:15], s[16:17]
	s_cbranch_execz .LBB943_340
; %bb.337:                              ;   in Loop: Header=BB943_215 Depth=1
	v_and_b32_e32 v44, 0x7f, v42
	v_cmp_ne_u32_e32 vcc, s21, v44
	v_mov_b32_e32 v60, 0x7f80
	s_and_saveexec_b64 s[16:17], vcc
	s_cbranch_execz .LBB943_339
; %bb.338:                              ;   in Loop: Header=BB943_215 Depth=1
	v_and_b32_e32 v46, 7, v42
	v_ffbh_u32_e32 v62, v46
	v_min_u32_e32 v64, 32, v62
	v_subrev_u32_e32 v62, 28, v64
	v_lshlrev_b64 v[62:63], v62, v[42:43]
	v_lshrrev_b32_e32 v60, 3, v44
	v_sub_u32_e32 v63, 29, v64
	v_and_b32_e32 v62, 7, v62
	v_cmp_gt_u32_e32 vcc, 8, v44
	v_cndmask_b32_e32 v44, v60, v63, vcc
	v_cndmask_b32_e32 v46, v46, v62, vcc
	v_lshlrev_b32_e32 v60, 24, v42
	v_lshlrev_b32_e32 v46, 20, v46
	v_and_b32_e32 v60, 0x80000000, v60
	v_lshl_add_u32 v44, v44, 23, v56
	v_or3_b32 v44, v60, v44, v46
	v_lshrrev_b32_e32 v60, 16, v44
.LBB943_339:                            ;   in Loop: Header=BB943_215 Depth=1
	s_or_b64 exec, exec, s[16:17]
.LBB943_340:                            ;   in Loop: Header=BB943_215 Depth=1
	s_or_b64 exec, exec, s[14:15]
.LBB943_341:                            ;   in Loop: Header=BB943_215 Depth=1
	s_or_b64 exec, exec, s[12:13]
	v_lshrrev_b16_e32 v44, 8, v42
	v_cmp_ne_u16_e32 vcc, 0, v44
	v_mov_b32_e32 v63, 0
	v_mov_b32_e32 v62, 0
	s_and_saveexec_b64 s[12:13], vcc
	s_cbranch_execz .LBB943_347
; %bb.342:                              ;   in Loop: Header=BB943_215 Depth=1
	v_cmp_ne_u16_e32 vcc, s9, v44
	v_mov_b32_e32 v62, 0xffff8000
	s_and_saveexec_b64 s[14:15], vcc
	s_cbranch_execz .LBB943_346
; %bb.343:                              ;   in Loop: Header=BB943_215 Depth=1
	v_and_b32_e32 v46, 0x7f, v44
	v_cmp_ne_u32_e32 vcc, s21, v46
	v_mov_b32_e32 v62, 0x7f80
	s_and_saveexec_b64 s[16:17], vcc
	s_cbranch_execz .LBB943_345
; %bb.344:                              ;   in Loop: Header=BB943_215 Depth=1
	v_and_b32_e32 v62, 7, v44
	v_ffbh_u32_e32 v64, v62
	v_min_u32_e32 v67, 32, v64
	v_subrev_u32_e32 v64, 28, v67
	v_lshlrev_b64 v[64:65], v64, v[44:45]
	v_lshrrev_b32_e32 v66, 3, v46
	v_sub_u32_e32 v44, 29, v67
	v_and_b32_e32 v64, 7, v64
	v_cmp_gt_u32_e32 vcc, 8, v46
	v_cndmask_b32_e32 v44, v66, v44, vcc
	v_cndmask_b32_e32 v46, v62, v64, vcc
	v_lshlrev_b32_e32 v62, 16, v42
	v_lshlrev_b32_e32 v46, 20, v46
	v_and_b32_e32 v62, 0x80000000, v62
	v_lshl_add_u32 v44, v44, 23, v56
	v_or3_b32 v44, v62, v44, v46
	v_lshrrev_b32_e32 v62, 16, v44
.LBB943_345:                            ;   in Loop: Header=BB943_215 Depth=1
	s_or_b64 exec, exec, s[16:17]
.LBB943_346:                            ;   in Loop: Header=BB943_215 Depth=1
	s_or_b64 exec, exec, s[14:15]
.LBB943_347:                            ;   in Loop: Header=BB943_215 Depth=1
	s_or_b64 exec, exec, s[12:13]
	v_lshrrev_b32_e32 v44, 16, v42
	v_cmp_ne_u16_sdwa s[14:15], v44, v55 src0_sel:BYTE_0 src1_sel:DWORD
	s_and_saveexec_b64 s[12:13], s[14:15]
	s_cbranch_execz .LBB943_353
; %bb.348:                              ;   in Loop: Header=BB943_215 Depth=1
	v_cmp_ne_u16_sdwa s[16:17], v44, s9 src0_sel:BYTE_0 src1_sel:DWORD
	v_mov_b32_e32 v63, 0xffff8000
	s_and_saveexec_b64 s[14:15], s[16:17]
	s_cbranch_execz .LBB943_352
; %bb.349:                              ;   in Loop: Header=BB943_215 Depth=1
	v_bfe_u32 v46, v42, 16, 7
	v_cmp_ne_u32_e32 vcc, s21, v46
	v_mov_b32_e32 v63, 0x7f80
	s_and_saveexec_b64 s[16:17], vcc
	s_cbranch_execz .LBB943_351
; %bb.350:                              ;   in Loop: Header=BB943_215 Depth=1
	v_and_b32_e32 v63, 7, v44
	v_ffbh_u32_e32 v64, v63
	v_min_u32_e32 v67, 32, v64
	v_subrev_u32_e32 v64, 28, v67
	v_lshlrev_b64 v[64:65], v64, v[44:45]
	v_lshrrev_b32_e32 v66, 3, v46
	v_sub_u32_e32 v65, 29, v67
	v_and_b32_e32 v64, 7, v64
	v_cmp_gt_u32_e32 vcc, 8, v46
	v_cndmask_b32_e32 v46, v66, v65, vcc
	v_cndmask_b32_e32 v63, v63, v64, vcc
	v_lshlrev_b32_e32 v44, 24, v44
	v_lshlrev_b32_e32 v63, 20, v63
	v_and_b32_e32 v44, 0x80000000, v44
	v_lshl_add_u32 v46, v46, 23, v56
	v_or3_b32 v44, v44, v46, v63
	v_lshrrev_b32_e32 v63, 16, v44
.LBB943_351:                            ;   in Loop: Header=BB943_215 Depth=1
	s_or_b64 exec, exec, s[16:17]
.LBB943_352:                            ;   in Loop: Header=BB943_215 Depth=1
	s_or_b64 exec, exec, s[14:15]
.LBB943_353:                            ;   in Loop: Header=BB943_215 Depth=1
	s_or_b64 exec, exec, s[12:13]
	v_cmp_lt_u32_e32 vcc, s22, v42
	v_mov_b32_e32 v46, 0
	v_mov_b32_e32 v64, 0
	s_and_saveexec_b64 s[12:13], vcc
	s_cbranch_execz .LBB943_359
; %bb.354:                              ;   in Loop: Header=BB943_215 Depth=1
	v_lshrrev_b32_e32 v44, 24, v42
	v_cmp_ne_u32_e32 vcc, s9, v44
	v_mov_b32_e32 v64, 0xffff8000
	s_and_saveexec_b64 s[14:15], vcc
	s_cbranch_execz .LBB943_358
; %bb.355:                              ;   in Loop: Header=BB943_215 Depth=1
	v_bfe_u32 v42, v42, 24, 7
	v_cmp_ne_u32_e32 vcc, s21, v42
	v_mov_b32_e32 v64, 0x7f80
	s_and_saveexec_b64 s[16:17], vcc
	s_cbranch_execz .LBB943_357
; %bb.356:                              ;   in Loop: Header=BB943_215 Depth=1
	v_and_b32_e32 v66, 7, v44
	v_ffbh_u32_e32 v64, v66
	v_min_u32_e32 v68, 32, v64
	v_subrev_u32_e32 v64, 28, v68
	v_lshlrev_b64 v[64:65], v64, v[44:45]
	v_lshrrev_b32_e32 v67, 3, v42
	v_sub_u32_e32 v65, 29, v68
	v_and_b32_e32 v64, 7, v64
	v_cmp_gt_u32_e32 vcc, 8, v42
	v_cndmask_b32_e32 v42, v67, v65, vcc
	v_cndmask_b32_e32 v64, v66, v64, vcc
	v_lshlrev_b32_e32 v44, 24, v44
	v_lshlrev_b32_e32 v64, 20, v64
	v_and_b32_e32 v44, 0x80000000, v44
	v_lshl_add_u32 v42, v42, 23, v56
	v_or3_b32 v42, v44, v42, v64
	v_lshrrev_b32_e32 v64, 16, v42
.LBB943_357:                            ;   in Loop: Header=BB943_215 Depth=1
	s_or_b64 exec, exec, s[16:17]
.LBB943_358:                            ;   in Loop: Header=BB943_215 Depth=1
	s_or_b64 exec, exec, s[14:15]
.LBB943_359:                            ;   in Loop: Header=BB943_215 Depth=1
	s_or_b64 exec, exec, s[12:13]
	v_perm_b32 v59, v61, v59, s23
	v_perm_b32 v58, v58, v57, s23
	s_waitcnt vmcnt(1)
	v_cmp_ne_u16_sdwa s[14:15], v40, v55 src0_sel:BYTE_0 src1_sel:DWORD
	v_mfma_f32_16x16x16bf16_1k v[34:37], v[58:59], v[10:11], v[34:37]
	v_perm_b32 v59, v64, v63, s23
	v_perm_b32 v58, v62, v60, s23
	s_nop 1
	v_mfma_f32_16x16x16bf16_1k v[34:37], v[58:59], v[12:13], v[34:37]
	s_and_saveexec_b64 s[12:13], s[14:15]
	s_cbranch_execz .LBB943_365
; %bb.360:                              ;   in Loop: Header=BB943_215 Depth=1
	v_cmp_ne_u16_sdwa s[16:17], v40, s9 src0_sel:BYTE_0 src1_sel:DWORD
	v_mov_b32_e32 v46, 0xffff8000
	s_and_saveexec_b64 s[14:15], s[16:17]
	s_cbranch_execz .LBB943_364
; %bb.361:                              ;   in Loop: Header=BB943_215 Depth=1
	v_and_b32_e32 v42, 0x7f, v40
	v_cmp_ne_u32_e32 vcc, s21, v42
	v_mov_b32_e32 v46, 0x7f80
	s_and_saveexec_b64 s[16:17], vcc
	s_cbranch_execz .LBB943_363
; %bb.362:                              ;   in Loop: Header=BB943_215 Depth=1
	v_and_b32_e32 v44, 7, v40
	v_ffbh_u32_e32 v57, v44
	v_min_u32_e32 v57, 32, v57
	v_subrev_u32_e32 v58, 28, v57
	v_lshlrev_b64 v[58:59], v58, v[40:41]
	v_lshrrev_b32_e32 v46, 3, v42
	v_sub_u32_e32 v57, 29, v57
	v_and_b32_e32 v58, 7, v58
	v_cmp_gt_u32_e32 vcc, 8, v42
	v_cndmask_b32_e32 v42, v46, v57, vcc
	v_cndmask_b32_e32 v44, v44, v58, vcc
	v_lshlrev_b32_e32 v46, 24, v40
	v_lshlrev_b32_e32 v44, 20, v44
	v_and_b32_e32 v46, 0x80000000, v46
	v_lshl_add_u32 v42, v42, 23, v56
	v_or3_b32 v42, v46, v42, v44
	v_lshrrev_b32_e32 v46, 16, v42
.LBB943_363:                            ;   in Loop: Header=BB943_215 Depth=1
	s_or_b64 exec, exec, s[16:17]
.LBB943_364:                            ;   in Loop: Header=BB943_215 Depth=1
	s_or_b64 exec, exec, s[14:15]
.LBB943_365:                            ;   in Loop: Header=BB943_215 Depth=1
	s_or_b64 exec, exec, s[12:13]
	v_lshrrev_b16_e32 v42, 8, v40
	v_cmp_ne_u16_e32 vcc, 0, v42
	v_mov_b32_e32 v58, 0
	v_mov_b32_e32 v44, 0
	s_and_saveexec_b64 s[12:13], vcc
	s_cbranch_execz .LBB943_371
; %bb.366:                              ;   in Loop: Header=BB943_215 Depth=1
	v_cmp_ne_u16_e32 vcc, s9, v42
	v_mov_b32_e32 v44, 0xffff8000
	s_and_saveexec_b64 s[14:15], vcc
	s_cbranch_execz .LBB943_370
; %bb.367:                              ;   in Loop: Header=BB943_215 Depth=1
	v_and_b32_e32 v57, 0x7f, v42
	v_cmp_ne_u32_e32 vcc, s21, v57
	v_mov_b32_e32 v44, 0x7f80
	s_and_saveexec_b64 s[16:17], vcc
	s_cbranch_execz .LBB943_369
; %bb.368:                              ;   in Loop: Header=BB943_215 Depth=1
	v_and_b32_e32 v44, 7, v42
	v_ffbh_u32_e32 v60, v44
	v_min_u32_e32 v62, 32, v60
	v_subrev_u32_e32 v60, 28, v62
	v_lshlrev_b64 v[60:61], v60, v[42:43]
	v_lshrrev_b32_e32 v59, 3, v57
	v_sub_u32_e32 v42, 29, v62
	v_and_b32_e32 v60, 7, v60
	v_cmp_gt_u32_e32 vcc, 8, v57
	v_cndmask_b32_e32 v42, v59, v42, vcc
	v_cndmask_b32_e32 v44, v44, v60, vcc
	v_lshlrev_b32_e32 v57, 16, v40
	v_lshlrev_b32_e32 v44, 20, v44
	v_and_b32_e32 v57, 0x80000000, v57
	v_lshl_add_u32 v42, v42, 23, v56
	v_or3_b32 v42, v57, v42, v44
	v_lshrrev_b32_e32 v44, 16, v42
.LBB943_369:                            ;   in Loop: Header=BB943_215 Depth=1
	s_or_b64 exec, exec, s[16:17]
.LBB943_370:                            ;   in Loop: Header=BB943_215 Depth=1
	s_or_b64 exec, exec, s[14:15]
.LBB943_371:                            ;   in Loop: Header=BB943_215 Depth=1
	s_or_b64 exec, exec, s[12:13]
	v_lshrrev_b32_e32 v42, 16, v40
	v_cmp_ne_u16_sdwa s[14:15], v42, v55 src0_sel:BYTE_0 src1_sel:DWORD
	s_and_saveexec_b64 s[12:13], s[14:15]
	s_cbranch_execz .LBB943_377
; %bb.372:                              ;   in Loop: Header=BB943_215 Depth=1
	v_cmp_ne_u16_sdwa s[16:17], v42, s9 src0_sel:BYTE_0 src1_sel:DWORD
	v_mov_b32_e32 v58, 0xffff8000
	s_and_saveexec_b64 s[14:15], s[16:17]
	s_cbranch_execz .LBB943_376
; %bb.373:                              ;   in Loop: Header=BB943_215 Depth=1
	v_bfe_u32 v57, v40, 16, 7
	v_cmp_ne_u32_e32 vcc, s21, v57
	v_mov_b32_e32 v58, 0x7f80
	s_and_saveexec_b64 s[16:17], vcc
	s_cbranch_execz .LBB943_375
; %bb.374:                              ;   in Loop: Header=BB943_215 Depth=1
	v_and_b32_e32 v60, 7, v42
	v_ffbh_u32_e32 v58, v60
	v_min_u32_e32 v62, 32, v58
	v_subrev_u32_e32 v58, 28, v62
	v_lshlrev_b64 v[58:59], v58, v[42:43]
	v_lshrrev_b32_e32 v61, 3, v57
	v_sub_u32_e32 v59, 29, v62
	v_and_b32_e32 v58, 7, v58
	v_cmp_gt_u32_e32 vcc, 8, v57
	v_cndmask_b32_e32 v57, v61, v59, vcc
	v_cndmask_b32_e32 v58, v60, v58, vcc
	v_lshlrev_b32_e32 v42, 24, v42
	v_lshlrev_b32_e32 v58, 20, v58
	v_and_b32_e32 v42, 0x80000000, v42
	v_lshl_add_u32 v57, v57, 23, v56
	v_or3_b32 v42, v42, v57, v58
	v_lshrrev_b32_e32 v58, 16, v42
.LBB943_375:                            ;   in Loop: Header=BB943_215 Depth=1
	s_or_b64 exec, exec, s[16:17]
.LBB943_376:                            ;   in Loop: Header=BB943_215 Depth=1
	s_or_b64 exec, exec, s[14:15]
.LBB943_377:                            ;   in Loop: Header=BB943_215 Depth=1
	s_or_b64 exec, exec, s[12:13]
	v_cmp_lt_u32_e32 vcc, s22, v40
	v_mov_b32_e32 v59, 0
	v_mov_b32_e32 v60, 0
	s_and_saveexec_b64 s[12:13], vcc
	s_cbranch_execz .LBB943_383
; %bb.378:                              ;   in Loop: Header=BB943_215 Depth=1
	v_lshrrev_b32_e32 v42, 24, v40
	v_cmp_ne_u32_e32 vcc, s9, v42
	v_mov_b32_e32 v60, 0xffff8000
	s_and_saveexec_b64 s[14:15], vcc
	s_cbranch_execz .LBB943_382
; %bb.379:                              ;   in Loop: Header=BB943_215 Depth=1
	v_bfe_u32 v40, v40, 24, 7
	v_cmp_ne_u32_e32 vcc, s21, v40
	v_mov_b32_e32 v60, 0x7f80
	s_and_saveexec_b64 s[16:17], vcc
	s_cbranch_execz .LBB943_381
; %bb.380:                              ;   in Loop: Header=BB943_215 Depth=1
	v_and_b32_e32 v57, 7, v42
	v_ffbh_u32_e32 v60, v57
	v_min_u32_e32 v63, 32, v60
	v_subrev_u32_e32 v60, 28, v63
	v_lshlrev_b64 v[60:61], v60, v[42:43]
	v_lshrrev_b32_e32 v62, 3, v40
	v_sub_u32_e32 v61, 29, v63
	v_and_b32_e32 v60, 7, v60
	v_cmp_gt_u32_e32 vcc, 8, v40
	v_cndmask_b32_e32 v40, v62, v61, vcc
	v_cndmask_b32_e32 v57, v57, v60, vcc
	v_lshlrev_b32_e32 v42, 24, v42
	v_lshlrev_b32_e32 v57, 20, v57
	v_and_b32_e32 v42, 0x80000000, v42
	v_lshl_add_u32 v40, v40, 23, v56
	v_or3_b32 v40, v42, v40, v57
	v_lshrrev_b32_e32 v60, 16, v40
.LBB943_381:                            ;   in Loop: Header=BB943_215 Depth=1
	s_or_b64 exec, exec, s[16:17]
.LBB943_382:                            ;   in Loop: Header=BB943_215 Depth=1
	s_or_b64 exec, exec, s[14:15]
.LBB943_383:                            ;   in Loop: Header=BB943_215 Depth=1
	s_or_b64 exec, exec, s[12:13]
	s_waitcnt vmcnt(0)
	v_cmp_ne_u16_sdwa s[14:15], v38, v55 src0_sel:BYTE_0 src1_sel:DWORD
	s_and_saveexec_b64 s[12:13], s[14:15]
	s_cbranch_execz .LBB943_389
; %bb.384:                              ;   in Loop: Header=BB943_215 Depth=1
	v_cmp_ne_u16_sdwa s[16:17], v38, s9 src0_sel:BYTE_0 src1_sel:DWORD
	v_mov_b32_e32 v59, 0xffff8000
	s_and_saveexec_b64 s[14:15], s[16:17]
	s_cbranch_execz .LBB943_388
; %bb.385:                              ;   in Loop: Header=BB943_215 Depth=1
	v_and_b32_e32 v40, 0x7f, v38
	v_cmp_ne_u32_e32 vcc, s21, v40
	v_mov_b32_e32 v59, 0x7f80
	s_and_saveexec_b64 s[16:17], vcc
	s_cbranch_execz .LBB943_387
; %bb.386:                              ;   in Loop: Header=BB943_215 Depth=1
	v_and_b32_e32 v42, 7, v38
	v_ffbh_u32_e32 v59, v42
	v_min_u32_e32 v59, 32, v59
	v_subrev_u32_e32 v61, 28, v59
	v_lshlrev_b64 v[62:63], v61, v[38:39]
	v_lshrrev_b32_e32 v57, 3, v40
	v_sub_u32_e32 v59, 29, v59
	v_and_b32_e32 v61, 7, v62
	v_cmp_gt_u32_e32 vcc, 8, v40
	v_cndmask_b32_e32 v40, v57, v59, vcc
	v_cndmask_b32_e32 v42, v42, v61, vcc
	v_lshlrev_b32_e32 v57, 24, v38
	v_lshlrev_b32_e32 v42, 20, v42
	v_and_b32_e32 v57, 0x80000000, v57
	v_lshl_add_u32 v40, v40, 23, v56
	v_or3_b32 v40, v57, v40, v42
	v_lshrrev_b32_e32 v59, 16, v40
.LBB943_387:                            ;   in Loop: Header=BB943_215 Depth=1
	s_or_b64 exec, exec, s[16:17]
.LBB943_388:                            ;   in Loop: Header=BB943_215 Depth=1
	s_or_b64 exec, exec, s[14:15]
.LBB943_389:                            ;   in Loop: Header=BB943_215 Depth=1
	s_or_b64 exec, exec, s[12:13]
	v_lshrrev_b16_e32 v40, 8, v38
	v_cmp_ne_u16_e32 vcc, 0, v40
	v_mov_b32_e32 v62, 0
	v_mov_b32_e32 v61, 0
	s_and_saveexec_b64 s[12:13], vcc
	s_cbranch_execz .LBB943_395
; %bb.390:                              ;   in Loop: Header=BB943_215 Depth=1
	v_cmp_ne_u16_e32 vcc, s9, v40
	v_mov_b32_e32 v61, 0xffff8000
	s_and_saveexec_b64 s[14:15], vcc
	s_cbranch_execz .LBB943_394
; %bb.391:                              ;   in Loop: Header=BB943_215 Depth=1
	v_and_b32_e32 v42, 0x7f, v40
	v_cmp_ne_u32_e32 vcc, s21, v42
	v_mov_b32_e32 v61, 0x7f80
	s_and_saveexec_b64 s[16:17], vcc
	s_cbranch_execz .LBB943_393
; %bb.392:                              ;   in Loop: Header=BB943_215 Depth=1
	v_and_b32_e32 v57, 7, v40
	v_ffbh_u32_e32 v63, v57
	v_min_u32_e32 v63, 32, v63
	v_subrev_u32_e32 v64, 28, v63
	v_lshlrev_b64 v[64:65], v64, v[40:41]
	v_lshrrev_b32_e32 v61, 3, v42
	v_sub_u32_e32 v40, 29, v63
	v_and_b32_e32 v63, 7, v64
	v_cmp_gt_u32_e32 vcc, 8, v42
	v_cndmask_b32_e32 v40, v61, v40, vcc
	v_cndmask_b32_e32 v42, v57, v63, vcc
	v_lshlrev_b32_e32 v57, 16, v38
	v_lshlrev_b32_e32 v42, 20, v42
	v_and_b32_e32 v57, 0x80000000, v57
	v_lshl_add_u32 v40, v40, 23, v56
	v_or3_b32 v40, v57, v40, v42
	v_lshrrev_b32_e32 v61, 16, v40
.LBB943_393:                            ;   in Loop: Header=BB943_215 Depth=1
	s_or_b64 exec, exec, s[16:17]
.LBB943_394:                            ;   in Loop: Header=BB943_215 Depth=1
	s_or_b64 exec, exec, s[14:15]
.LBB943_395:                            ;   in Loop: Header=BB943_215 Depth=1
	s_or_b64 exec, exec, s[12:13]
	v_lshrrev_b32_e32 v40, 16, v38
	v_cmp_ne_u16_sdwa s[14:15], v40, v55 src0_sel:BYTE_0 src1_sel:DWORD
	s_and_saveexec_b64 s[12:13], s[14:15]
	s_cbranch_execz .LBB943_401
; %bb.396:                              ;   in Loop: Header=BB943_215 Depth=1
	v_cmp_ne_u16_sdwa s[16:17], v40, s9 src0_sel:BYTE_0 src1_sel:DWORD
	v_mov_b32_e32 v62, 0xffff8000
	s_and_saveexec_b64 s[14:15], s[16:17]
	s_cbranch_execz .LBB943_400
; %bb.397:                              ;   in Loop: Header=BB943_215 Depth=1
	v_bfe_u32 v42, v38, 16, 7
	v_cmp_ne_u32_e32 vcc, s21, v42
	v_mov_b32_e32 v62, 0x7f80
	s_and_saveexec_b64 s[16:17], vcc
	s_cbranch_execz .LBB943_399
; %bb.398:                              ;   in Loop: Header=BB943_215 Depth=1
	v_and_b32_e32 v57, 7, v40
	v_ffbh_u32_e32 v62, v57
	v_min_u32_e32 v65, 32, v62
	v_subrev_u32_e32 v62, 28, v65
	v_lshlrev_b64 v[62:63], v62, v[40:41]
	v_lshrrev_b32_e32 v64, 3, v42
	v_sub_u32_e32 v63, 29, v65
	v_and_b32_e32 v62, 7, v62
	v_cmp_gt_u32_e32 vcc, 8, v42
	v_cndmask_b32_e32 v42, v64, v63, vcc
	v_cndmask_b32_e32 v57, v57, v62, vcc
	v_lshlrev_b32_e32 v40, 24, v40
	v_lshlrev_b32_e32 v57, 20, v57
	v_and_b32_e32 v40, 0x80000000, v40
	v_lshl_add_u32 v42, v42, 23, v56
	v_or3_b32 v40, v40, v42, v57
	v_lshrrev_b32_e32 v62, 16, v40
.LBB943_399:                            ;   in Loop: Header=BB943_215 Depth=1
	s_or_b64 exec, exec, s[16:17]
.LBB943_400:                            ;   in Loop: Header=BB943_215 Depth=1
	s_or_b64 exec, exec, s[14:15]
.LBB943_401:                            ;   in Loop: Header=BB943_215 Depth=1
	s_or_b64 exec, exec, s[12:13]
	v_cmp_lt_u32_e32 vcc, s22, v38
	v_mov_b32_e32 v57, 0
	v_mov_b32_e32 v63, 0
	s_and_saveexec_b64 s[12:13], vcc
	s_cbranch_execz .LBB943_407
; %bb.402:                              ;   in Loop: Header=BB943_215 Depth=1
	v_lshrrev_b32_e32 v40, 24, v38
	v_cmp_ne_u32_e32 vcc, s9, v40
	v_mov_b32_e32 v63, 0xffff8000
	s_and_saveexec_b64 s[14:15], vcc
	s_cbranch_execz .LBB943_406
; %bb.403:                              ;   in Loop: Header=BB943_215 Depth=1
	v_bfe_u32 v38, v38, 24, 7
	v_cmp_ne_u32_e32 vcc, s21, v38
	v_mov_b32_e32 v63, 0x7f80
	s_and_saveexec_b64 s[16:17], vcc
	s_cbranch_execz .LBB943_405
; %bb.404:                              ;   in Loop: Header=BB943_215 Depth=1
	v_and_b32_e32 v42, 7, v40
	v_ffbh_u32_e32 v64, v42
	v_min_u32_e32 v66, 32, v64
	v_subrev_u32_e32 v64, 28, v66
	v_lshlrev_b64 v[64:65], v64, v[40:41]
	v_lshrrev_b32_e32 v63, 3, v38
	v_sub_u32_e32 v65, 29, v66
	v_and_b32_e32 v64, 7, v64
	v_cmp_gt_u32_e32 vcc, 8, v38
	v_cndmask_b32_e32 v38, v63, v65, vcc
	v_cndmask_b32_e32 v42, v42, v64, vcc
	v_lshlrev_b32_e32 v40, 24, v40
	v_lshlrev_b32_e32 v42, 20, v42
	v_and_b32_e32 v40, 0x80000000, v40
	v_lshl_add_u32 v38, v38, 23, v56
	v_or3_b32 v38, v40, v38, v42
	v_lshrrev_b32_e32 v63, 16, v38
.LBB943_405:                            ;   in Loop: Header=BB943_215 Depth=1
	s_or_b64 exec, exec, s[16:17]
.LBB943_406:                            ;   in Loop: Header=BB943_215 Depth=1
	s_or_b64 exec, exec, s[14:15]
.LBB943_407:                            ;   in Loop: Header=BB943_215 Depth=1
	s_or_b64 exec, exec, s[12:13]
	v_perm_b32 v64, v44, v46, s23
	buffer_load_dword v44, v52, s[0:3], 0 offen
	buffer_load_dword v42, v52, s[0:3], 0 offen offset:4
	buffer_load_dword v40, v52, s[0:3], 0 offen offset:8
	;; [unrolled: 1-line block ×3, first 2 shown]
	v_perm_b32 v65, v60, v58, s23
	v_perm_b32 v63, v63, v62, s23
	;; [unrolled: 1-line block ×3, first 2 shown]
	v_mfma_f32_16x16x16bf16_1k v[34:37], v[64:65], v[14:15], v[34:37]
	s_waitcnt vmcnt(3)
	v_cmp_ne_u16_sdwa s[14:15], v44, v55 src0_sel:BYTE_0 src1_sel:DWORD
	v_mfma_f32_16x16x16bf16_1k v[34:37], v[62:63], v[16:17], v[34:37]
	s_and_saveexec_b64 s[12:13], s[14:15]
	s_cbranch_execz .LBB943_413
; %bb.408:                              ;   in Loop: Header=BB943_215 Depth=1
	v_cmp_ne_u16_sdwa s[16:17], v44, s9 src0_sel:BYTE_0 src1_sel:DWORD
	v_mov_b32_e32 v57, 0xffff8000
	s_and_saveexec_b64 s[14:15], s[16:17]
	s_cbranch_execz .LBB943_412
; %bb.409:                              ;   in Loop: Header=BB943_215 Depth=1
	v_and_b32_e32 v46, 0x7f, v44
	v_cmp_ne_u32_e32 vcc, s21, v46
	v_mov_b32_e32 v57, 0x7f80
	s_and_saveexec_b64 s[16:17], vcc
	s_cbranch_execz .LBB943_411
; %bb.410:                              ;   in Loop: Header=BB943_215 Depth=1
	v_and_b32_e32 v52, 7, v44
	v_ffbh_u32_e32 v58, v52
	v_min_u32_e32 v60, 32, v58
	v_subrev_u32_e32 v58, 28, v60
	v_lshlrev_b64 v[58:59], v58, v[44:45]
	v_lshrrev_b32_e32 v57, 3, v46
	v_sub_u32_e32 v59, 29, v60
	v_and_b32_e32 v58, 7, v58
	v_cmp_gt_u32_e32 vcc, 8, v46
	v_cndmask_b32_e32 v46, v57, v59, vcc
	v_cndmask_b32_e32 v52, v52, v58, vcc
	v_lshlrev_b32_e32 v57, 24, v44
	v_lshlrev_b32_e32 v52, 20, v52
	v_and_b32_e32 v57, 0x80000000, v57
	v_lshl_add_u32 v46, v46, 23, v56
	v_or3_b32 v46, v57, v46, v52
	v_lshrrev_b32_e32 v57, 16, v46
.LBB943_411:                            ;   in Loop: Header=BB943_215 Depth=1
	s_or_b64 exec, exec, s[16:17]
.LBB943_412:                            ;   in Loop: Header=BB943_215 Depth=1
	s_or_b64 exec, exec, s[14:15]
.LBB943_413:                            ;   in Loop: Header=BB943_215 Depth=1
	s_or_b64 exec, exec, s[12:13]
	v_lshrrev_b16_e32 v46, 8, v44
	v_cmp_ne_u16_e32 vcc, 0, v46
	v_mov_b32_e32 v58, 0
	v_mov_b32_e32 v52, 0
	s_and_saveexec_b64 s[12:13], vcc
	s_cbranch_execz .LBB943_419
; %bb.414:                              ;   in Loop: Header=BB943_215 Depth=1
	v_cmp_ne_u16_e32 vcc, s9, v46
	v_mov_b32_e32 v52, 0xffff8000
	s_and_saveexec_b64 s[14:15], vcc
	s_cbranch_execz .LBB943_418
; %bb.415:                              ;   in Loop: Header=BB943_215 Depth=1
	v_and_b32_e32 v59, 0x7f, v46
	v_cmp_ne_u32_e32 vcc, s21, v59
	v_mov_b32_e32 v52, 0x7f80
	s_and_saveexec_b64 s[16:17], vcc
	s_cbranch_execz .LBB943_417
; %bb.416:                              ;   in Loop: Header=BB943_215 Depth=1
	v_and_b32_e32 v52, 7, v46
	v_ffbh_u32_e32 v60, v52
	v_min_u32_e32 v63, 32, v60
	v_subrev_u32_e32 v60, 28, v63
	v_lshlrev_b64 v[60:61], v60, v[46:47]
	v_lshrrev_b32_e32 v62, 3, v59
	v_sub_u32_e32 v46, 29, v63
	v_and_b32_e32 v60, 7, v60
	v_cmp_gt_u32_e32 vcc, 8, v59
	v_cndmask_b32_e32 v46, v62, v46, vcc
	v_cndmask_b32_e32 v52, v52, v60, vcc
	v_lshlrev_b32_e32 v59, 16, v44
	v_lshlrev_b32_e32 v52, 20, v52
	v_and_b32_e32 v59, 0x80000000, v59
	v_lshl_add_u32 v46, v46, 23, v56
	v_or3_b32 v46, v59, v46, v52
	v_lshrrev_b32_e32 v52, 16, v46
.LBB943_417:                            ;   in Loop: Header=BB943_215 Depth=1
	s_or_b64 exec, exec, s[16:17]
.LBB943_418:                            ;   in Loop: Header=BB943_215 Depth=1
	s_or_b64 exec, exec, s[14:15]
.LBB943_419:                            ;   in Loop: Header=BB943_215 Depth=1
	s_or_b64 exec, exec, s[12:13]
	v_lshrrev_b32_e32 v46, 16, v44
	v_cmp_ne_u16_sdwa s[14:15], v46, v55 src0_sel:BYTE_0 src1_sel:DWORD
	s_and_saveexec_b64 s[12:13], s[14:15]
	s_cbranch_execz .LBB943_425
; %bb.420:                              ;   in Loop: Header=BB943_215 Depth=1
	v_cmp_ne_u16_sdwa s[16:17], v46, s9 src0_sel:BYTE_0 src1_sel:DWORD
	v_mov_b32_e32 v58, 0xffff8000
	s_and_saveexec_b64 s[14:15], s[16:17]
	s_cbranch_execz .LBB943_424
; %bb.421:                              ;   in Loop: Header=BB943_215 Depth=1
	v_bfe_u32 v59, v44, 16, 7
	v_cmp_ne_u32_e32 vcc, s21, v59
	v_mov_b32_e32 v58, 0x7f80
	s_and_saveexec_b64 s[16:17], vcc
	s_cbranch_execz .LBB943_423
; %bb.422:                              ;   in Loop: Header=BB943_215 Depth=1
	v_and_b32_e32 v58, 7, v46
	v_ffbh_u32_e32 v60, v58
	v_min_u32_e32 v63, 32, v60
	v_subrev_u32_e32 v60, 28, v63
	v_lshlrev_b64 v[60:61], v60, v[46:47]
	v_lshrrev_b32_e32 v62, 3, v59
	v_sub_u32_e32 v61, 29, v63
	v_and_b32_e32 v60, 7, v60
	v_cmp_gt_u32_e32 vcc, 8, v59
	v_cndmask_b32_e32 v59, v62, v61, vcc
	v_cndmask_b32_e32 v58, v58, v60, vcc
	v_lshlrev_b32_e32 v46, 24, v46
	v_lshlrev_b32_e32 v58, 20, v58
	v_and_b32_e32 v46, 0x80000000, v46
	v_lshl_add_u32 v59, v59, 23, v56
	v_or3_b32 v46, v46, v59, v58
	v_lshrrev_b32_e32 v58, 16, v46
.LBB943_423:                            ;   in Loop: Header=BB943_215 Depth=1
	s_or_b64 exec, exec, s[16:17]
.LBB943_424:                            ;   in Loop: Header=BB943_215 Depth=1
	s_or_b64 exec, exec, s[14:15]
.LBB943_425:                            ;   in Loop: Header=BB943_215 Depth=1
	s_or_b64 exec, exec, s[12:13]
	v_cmp_lt_u32_e32 vcc, s22, v44
	v_mov_b32_e32 v59, 0
	v_mov_b32_e32 v60, 0
	s_and_saveexec_b64 s[12:13], vcc
	s_cbranch_execz .LBB943_431
; %bb.426:                              ;   in Loop: Header=BB943_215 Depth=1
	v_lshrrev_b32_e32 v46, 24, v44
	v_cmp_ne_u32_e32 vcc, s9, v46
	v_mov_b32_e32 v60, 0xffff8000
	s_and_saveexec_b64 s[14:15], vcc
	s_cbranch_execz .LBB943_430
; %bb.427:                              ;   in Loop: Header=BB943_215 Depth=1
	v_bfe_u32 v44, v44, 24, 7
	v_cmp_ne_u32_e32 vcc, s21, v44
	v_mov_b32_e32 v60, 0x7f80
	s_and_saveexec_b64 s[16:17], vcc
	s_cbranch_execz .LBB943_429
; %bb.428:                              ;   in Loop: Header=BB943_215 Depth=1
	v_and_b32_e32 v62, 7, v46
	v_ffbh_u32_e32 v60, v62
	v_min_u32_e32 v64, 32, v60
	v_subrev_u32_e32 v60, 28, v64
	v_lshlrev_b64 v[60:61], v60, v[46:47]
	v_lshrrev_b32_e32 v63, 3, v44
	v_sub_u32_e32 v61, 29, v64
	v_and_b32_e32 v60, 7, v60
	v_cmp_gt_u32_e32 vcc, 8, v44
	v_cndmask_b32_e32 v44, v63, v61, vcc
	v_cndmask_b32_e32 v60, v62, v60, vcc
	v_lshlrev_b32_e32 v46, 24, v46
	v_lshlrev_b32_e32 v60, 20, v60
	v_and_b32_e32 v46, 0x80000000, v46
	v_lshl_add_u32 v44, v44, 23, v56
	v_or3_b32 v44, v46, v44, v60
	v_lshrrev_b32_e32 v60, 16, v44
.LBB943_429:                            ;   in Loop: Header=BB943_215 Depth=1
	s_or_b64 exec, exec, s[16:17]
.LBB943_430:                            ;   in Loop: Header=BB943_215 Depth=1
	s_or_b64 exec, exec, s[14:15]
.LBB943_431:                            ;   in Loop: Header=BB943_215 Depth=1
	s_or_b64 exec, exec, s[12:13]
	s_waitcnt vmcnt(2)
	v_cmp_ne_u16_sdwa s[14:15], v42, v55 src0_sel:BYTE_0 src1_sel:DWORD
	s_and_saveexec_b64 s[12:13], s[14:15]
	s_cbranch_execz .LBB943_437
; %bb.432:                              ;   in Loop: Header=BB943_215 Depth=1
	v_cmp_ne_u16_sdwa s[16:17], v42, s9 src0_sel:BYTE_0 src1_sel:DWORD
	v_mov_b32_e32 v59, 0xffff8000
	s_and_saveexec_b64 s[14:15], s[16:17]
	s_cbranch_execz .LBB943_436
; %bb.433:                              ;   in Loop: Header=BB943_215 Depth=1
	v_and_b32_e32 v44, 0x7f, v42
	v_cmp_ne_u32_e32 vcc, s21, v44
	v_mov_b32_e32 v59, 0x7f80
	s_and_saveexec_b64 s[16:17], vcc
	s_cbranch_execz .LBB943_435
; %bb.434:                              ;   in Loop: Header=BB943_215 Depth=1
	v_and_b32_e32 v46, 7, v42
	v_ffbh_u32_e32 v61, v46
	v_min_u32_e32 v61, 32, v61
	v_subrev_u32_e32 v62, 28, v61
	v_lshlrev_b64 v[62:63], v62, v[42:43]
	v_lshrrev_b32_e32 v59, 3, v44
	v_sub_u32_e32 v61, 29, v61
	v_and_b32_e32 v62, 7, v62
	v_cmp_gt_u32_e32 vcc, 8, v44
	v_cndmask_b32_e32 v44, v59, v61, vcc
	v_cndmask_b32_e32 v46, v46, v62, vcc
	v_lshlrev_b32_e32 v59, 24, v42
	v_lshlrev_b32_e32 v46, 20, v46
	v_and_b32_e32 v59, 0x80000000, v59
	v_lshl_add_u32 v44, v44, 23, v56
	v_or3_b32 v44, v59, v44, v46
	v_lshrrev_b32_e32 v59, 16, v44
.LBB943_435:                            ;   in Loop: Header=BB943_215 Depth=1
	s_or_b64 exec, exec, s[16:17]
.LBB943_436:                            ;   in Loop: Header=BB943_215 Depth=1
	s_or_b64 exec, exec, s[14:15]
.LBB943_437:                            ;   in Loop: Header=BB943_215 Depth=1
	s_or_b64 exec, exec, s[12:13]
	v_lshrrev_b16_e32 v44, 8, v42
	v_cmp_ne_u16_e32 vcc, 0, v44
	v_mov_b32_e32 v62, 0
	v_mov_b32_e32 v61, 0
	s_and_saveexec_b64 s[12:13], vcc
	s_cbranch_execz .LBB943_443
; %bb.438:                              ;   in Loop: Header=BB943_215 Depth=1
	v_cmp_ne_u16_e32 vcc, s9, v44
	v_mov_b32_e32 v61, 0xffff8000
	s_and_saveexec_b64 s[14:15], vcc
	s_cbranch_execz .LBB943_442
; %bb.439:                              ;   in Loop: Header=BB943_215 Depth=1
	v_and_b32_e32 v46, 0x7f, v44
	v_cmp_ne_u32_e32 vcc, s21, v46
	v_mov_b32_e32 v61, 0x7f80
	s_and_saveexec_b64 s[16:17], vcc
	s_cbranch_execz .LBB943_441
; %bb.440:                              ;   in Loop: Header=BB943_215 Depth=1
	v_and_b32_e32 v61, 7, v44
	v_ffbh_u32_e32 v64, v61
	v_min_u32_e32 v66, 32, v64
	v_subrev_u32_e32 v64, 28, v66
	v_lshlrev_b64 v[64:65], v64, v[44:45]
	v_lshrrev_b32_e32 v63, 3, v46
	v_sub_u32_e32 v44, 29, v66
	v_and_b32_e32 v64, 7, v64
	v_cmp_gt_u32_e32 vcc, 8, v46
	v_cndmask_b32_e32 v44, v63, v44, vcc
	v_cndmask_b32_e32 v46, v61, v64, vcc
	v_lshlrev_b32_e32 v61, 16, v42
	v_lshlrev_b32_e32 v46, 20, v46
	v_and_b32_e32 v61, 0x80000000, v61
	v_lshl_add_u32 v44, v44, 23, v56
	v_or3_b32 v44, v61, v44, v46
	v_lshrrev_b32_e32 v61, 16, v44
.LBB943_441:                            ;   in Loop: Header=BB943_215 Depth=1
	s_or_b64 exec, exec, s[16:17]
.LBB943_442:                            ;   in Loop: Header=BB943_215 Depth=1
	s_or_b64 exec, exec, s[14:15]
.LBB943_443:                            ;   in Loop: Header=BB943_215 Depth=1
	s_or_b64 exec, exec, s[12:13]
	v_lshrrev_b32_e32 v44, 16, v42
	v_cmp_ne_u16_sdwa s[14:15], v44, v55 src0_sel:BYTE_0 src1_sel:DWORD
	s_and_saveexec_b64 s[12:13], s[14:15]
	s_cbranch_execz .LBB943_449
; %bb.444:                              ;   in Loop: Header=BB943_215 Depth=1
	v_cmp_ne_u16_sdwa s[16:17], v44, s9 src0_sel:BYTE_0 src1_sel:DWORD
	v_mov_b32_e32 v62, 0xffff8000
	s_and_saveexec_b64 s[14:15], s[16:17]
	s_cbranch_execz .LBB943_448
; %bb.445:                              ;   in Loop: Header=BB943_215 Depth=1
	v_bfe_u32 v46, v42, 16, 7
	v_cmp_ne_u32_e32 vcc, s21, v46
	v_mov_b32_e32 v62, 0x7f80
	s_and_saveexec_b64 s[16:17], vcc
	s_cbranch_execz .LBB943_447
; %bb.446:                              ;   in Loop: Header=BB943_215 Depth=1
	v_and_b32_e32 v64, 7, v44
	v_ffbh_u32_e32 v62, v64
	v_min_u32_e32 v66, 32, v62
	v_subrev_u32_e32 v62, 28, v66
	v_lshlrev_b64 v[62:63], v62, v[44:45]
	v_lshrrev_b32_e32 v65, 3, v46
	v_sub_u32_e32 v63, 29, v66
	v_and_b32_e32 v62, 7, v62
	v_cmp_gt_u32_e32 vcc, 8, v46
	v_cndmask_b32_e32 v46, v65, v63, vcc
	v_cndmask_b32_e32 v62, v64, v62, vcc
	v_lshlrev_b32_e32 v44, 24, v44
	v_lshlrev_b32_e32 v62, 20, v62
	v_and_b32_e32 v44, 0x80000000, v44
	v_lshl_add_u32 v46, v46, 23, v56
	v_or3_b32 v44, v44, v46, v62
	v_lshrrev_b32_e32 v62, 16, v44
.LBB943_447:                            ;   in Loop: Header=BB943_215 Depth=1
	s_or_b64 exec, exec, s[16:17]
.LBB943_448:                            ;   in Loop: Header=BB943_215 Depth=1
	s_or_b64 exec, exec, s[14:15]
.LBB943_449:                            ;   in Loop: Header=BB943_215 Depth=1
	s_or_b64 exec, exec, s[12:13]
	v_cmp_lt_u32_e32 vcc, s22, v42
	v_mov_b32_e32 v46, 0
	v_mov_b32_e32 v63, 0
	s_and_saveexec_b64 s[12:13], vcc
	s_cbranch_execz .LBB943_455
; %bb.450:                              ;   in Loop: Header=BB943_215 Depth=1
	v_lshrrev_b32_e32 v44, 24, v42
	v_cmp_ne_u32_e32 vcc, s9, v44
	v_mov_b32_e32 v63, 0xffff8000
	s_and_saveexec_b64 s[14:15], vcc
	s_cbranch_execz .LBB943_454
; %bb.451:                              ;   in Loop: Header=BB943_215 Depth=1
	v_bfe_u32 v42, v42, 24, 7
	v_cmp_ne_u32_e32 vcc, s21, v42
	v_mov_b32_e32 v63, 0x7f80
	s_and_saveexec_b64 s[16:17], vcc
	s_cbranch_execz .LBB943_453
; %bb.452:                              ;   in Loop: Header=BB943_215 Depth=1
	v_and_b32_e32 v63, 7, v44
	v_ffbh_u32_e32 v64, v63
	v_min_u32_e32 v67, 32, v64
	v_subrev_u32_e32 v64, 28, v67
	v_lshlrev_b64 v[64:65], v64, v[44:45]
	v_lshrrev_b32_e32 v66, 3, v42
	v_sub_u32_e32 v65, 29, v67
	v_and_b32_e32 v64, 7, v64
	v_cmp_gt_u32_e32 vcc, 8, v42
	v_cndmask_b32_e32 v42, v66, v65, vcc
	v_cndmask_b32_e32 v63, v63, v64, vcc
	v_lshlrev_b32_e32 v44, 24, v44
	v_lshlrev_b32_e32 v63, 20, v63
	v_and_b32_e32 v44, 0x80000000, v44
	v_lshl_add_u32 v42, v42, 23, v56
	v_or3_b32 v42, v44, v42, v63
	v_lshrrev_b32_e32 v63, 16, v42
.LBB943_453:                            ;   in Loop: Header=BB943_215 Depth=1
	s_or_b64 exec, exec, s[16:17]
.LBB943_454:                            ;   in Loop: Header=BB943_215 Depth=1
	s_or_b64 exec, exec, s[14:15]
.LBB943_455:                            ;   in Loop: Header=BB943_215 Depth=1
	s_or_b64 exec, exec, s[12:13]
	v_perm_b32 v65, v60, v58, s23
	v_perm_b32 v64, v52, v57, s23
	;; [unrolled: 1-line block ×4, first 2 shown]
	s_waitcnt vmcnt(1)
	v_cmp_ne_u16_sdwa s[14:15], v40, v55 src0_sel:BYTE_0 src1_sel:DWORD
	v_mfma_f32_16x16x16bf16_1k v[34:37], v[64:65], v[18:19], v[34:37]
	v_mfma_f32_16x16x16bf16_1k v[34:37], v[62:63], v[20:21], v[34:37]
	s_and_saveexec_b64 s[12:13], s[14:15]
	s_cbranch_execz .LBB943_461
; %bb.456:                              ;   in Loop: Header=BB943_215 Depth=1
	v_cmp_ne_u16_sdwa s[16:17], v40, s9 src0_sel:BYTE_0 src1_sel:DWORD
	v_mov_b32_e32 v46, 0xffff8000
	s_and_saveexec_b64 s[14:15], s[16:17]
	s_cbranch_execz .LBB943_460
; %bb.457:                              ;   in Loop: Header=BB943_215 Depth=1
	v_and_b32_e32 v42, 0x7f, v40
	v_cmp_ne_u32_e32 vcc, s21, v42
	v_mov_b32_e32 v46, 0x7f80
	s_and_saveexec_b64 s[16:17], vcc
	s_cbranch_execz .LBB943_459
; %bb.458:                              ;   in Loop: Header=BB943_215 Depth=1
	v_and_b32_e32 v44, 7, v40
	v_ffbh_u32_e32 v52, v44
	v_min_u32_e32 v52, 32, v52
	v_subrev_u32_e32 v57, 28, v52
	v_lshlrev_b64 v[58:59], v57, v[40:41]
	v_lshrrev_b32_e32 v46, 3, v42
	v_sub_u32_e32 v52, 29, v52
	v_and_b32_e32 v57, 7, v58
	v_cmp_gt_u32_e32 vcc, 8, v42
	v_cndmask_b32_e32 v42, v46, v52, vcc
	v_cndmask_b32_e32 v44, v44, v57, vcc
	v_lshlrev_b32_e32 v46, 24, v40
	v_lshlrev_b32_e32 v44, 20, v44
	v_and_b32_e32 v46, 0x80000000, v46
	v_lshl_add_u32 v42, v42, 23, v56
	v_or3_b32 v42, v46, v42, v44
	v_lshrrev_b32_e32 v46, 16, v42
.LBB943_459:                            ;   in Loop: Header=BB943_215 Depth=1
	s_or_b64 exec, exec, s[16:17]
.LBB943_460:                            ;   in Loop: Header=BB943_215 Depth=1
	s_or_b64 exec, exec, s[14:15]
.LBB943_461:                            ;   in Loop: Header=BB943_215 Depth=1
	s_or_b64 exec, exec, s[12:13]
	v_lshrrev_b16_e32 v42, 8, v40
	v_cmp_ne_u16_e32 vcc, 0, v42
	v_mov_b32_e32 v57, 0
	v_mov_b32_e32 v44, 0
	s_and_saveexec_b64 s[12:13], vcc
	s_cbranch_execz .LBB943_467
; %bb.462:                              ;   in Loop: Header=BB943_215 Depth=1
	v_cmp_ne_u16_e32 vcc, s9, v42
	v_mov_b32_e32 v44, 0xffff8000
	s_and_saveexec_b64 s[14:15], vcc
	s_cbranch_execz .LBB943_466
; %bb.463:                              ;   in Loop: Header=BB943_215 Depth=1
	v_and_b32_e32 v52, 0x7f, v42
	v_cmp_ne_u32_e32 vcc, s21, v52
	v_mov_b32_e32 v44, 0x7f80
	s_and_saveexec_b64 s[16:17], vcc
	s_cbranch_execz .LBB943_465
; %bb.464:                              ;   in Loop: Header=BB943_215 Depth=1
	v_and_b32_e32 v44, 7, v42
	v_ffbh_u32_e32 v58, v44
	v_min_u32_e32 v61, 32, v58
	v_subrev_u32_e32 v58, 28, v61
	v_lshlrev_b64 v[58:59], v58, v[42:43]
	v_lshrrev_b32_e32 v60, 3, v52
	v_sub_u32_e32 v42, 29, v61
	v_and_b32_e32 v58, 7, v58
	v_cmp_gt_u32_e32 vcc, 8, v52
	v_cndmask_b32_e32 v42, v60, v42, vcc
	v_cndmask_b32_e32 v44, v44, v58, vcc
	v_lshlrev_b32_e32 v52, 16, v40
	v_lshlrev_b32_e32 v44, 20, v44
	v_and_b32_e32 v52, 0x80000000, v52
	v_lshl_add_u32 v42, v42, 23, v56
	v_or3_b32 v42, v52, v42, v44
	v_lshrrev_b32_e32 v44, 16, v42
.LBB943_465:                            ;   in Loop: Header=BB943_215 Depth=1
	s_or_b64 exec, exec, s[16:17]
.LBB943_466:                            ;   in Loop: Header=BB943_215 Depth=1
	s_or_b64 exec, exec, s[14:15]
.LBB943_467:                            ;   in Loop: Header=BB943_215 Depth=1
	s_or_b64 exec, exec, s[12:13]
	v_lshrrev_b32_e32 v42, 16, v40
	v_cmp_ne_u16_sdwa s[14:15], v42, v55 src0_sel:BYTE_0 src1_sel:DWORD
	s_and_saveexec_b64 s[12:13], s[14:15]
	s_cbranch_execz .LBB943_473
; %bb.468:                              ;   in Loop: Header=BB943_215 Depth=1
	v_cmp_ne_u16_sdwa s[16:17], v42, s9 src0_sel:BYTE_0 src1_sel:DWORD
	v_mov_b32_e32 v57, 0xffff8000
	s_and_saveexec_b64 s[14:15], s[16:17]
	s_cbranch_execz .LBB943_472
; %bb.469:                              ;   in Loop: Header=BB943_215 Depth=1
	v_bfe_u32 v52, v40, 16, 7
	v_cmp_ne_u32_e32 vcc, s21, v52
	v_mov_b32_e32 v57, 0x7f80
	s_and_saveexec_b64 s[16:17], vcc
	s_cbranch_execz .LBB943_471
; %bb.470:                              ;   in Loop: Header=BB943_215 Depth=1
	v_and_b32_e32 v57, 7, v42
	v_ffbh_u32_e32 v58, v57
	v_min_u32_e32 v61, 32, v58
	v_subrev_u32_e32 v58, 28, v61
	v_lshlrev_b64 v[58:59], v58, v[42:43]
	v_lshrrev_b32_e32 v60, 3, v52
	v_sub_u32_e32 v59, 29, v61
	v_and_b32_e32 v58, 7, v58
	v_cmp_gt_u32_e32 vcc, 8, v52
	v_cndmask_b32_e32 v52, v60, v59, vcc
	v_cndmask_b32_e32 v57, v57, v58, vcc
	v_lshlrev_b32_e32 v42, 24, v42
	v_lshlrev_b32_e32 v57, 20, v57
	v_and_b32_e32 v42, 0x80000000, v42
	v_lshl_add_u32 v52, v52, 23, v56
	v_or3_b32 v42, v42, v52, v57
	v_lshrrev_b32_e32 v57, 16, v42
.LBB943_471:                            ;   in Loop: Header=BB943_215 Depth=1
	s_or_b64 exec, exec, s[16:17]
.LBB943_472:                            ;   in Loop: Header=BB943_215 Depth=1
	s_or_b64 exec, exec, s[14:15]
.LBB943_473:                            ;   in Loop: Header=BB943_215 Depth=1
	s_or_b64 exec, exec, s[12:13]
	v_cmp_lt_u32_e32 vcc, s22, v40
	v_mov_b32_e32 v58, 0
	v_mov_b32_e32 v59, 0
	s_and_saveexec_b64 s[12:13], vcc
	s_cbranch_execz .LBB943_479
; %bb.474:                              ;   in Loop: Header=BB943_215 Depth=1
	v_lshrrev_b32_e32 v42, 24, v40
	v_cmp_ne_u32_e32 vcc, s9, v42
	v_mov_b32_e32 v59, 0xffff8000
	s_and_saveexec_b64 s[14:15], vcc
	s_cbranch_execz .LBB943_478
; %bb.475:                              ;   in Loop: Header=BB943_215 Depth=1
	v_bfe_u32 v40, v40, 24, 7
	v_cmp_ne_u32_e32 vcc, s21, v40
	v_mov_b32_e32 v59, 0x7f80
	s_and_saveexec_b64 s[16:17], vcc
	s_cbranch_execz .LBB943_477
; %bb.476:                              ;   in Loop: Header=BB943_215 Depth=1
	v_and_b32_e32 v52, 7, v42
	v_ffbh_u32_e32 v60, v52
	v_min_u32_e32 v62, 32, v60
	v_subrev_u32_e32 v60, 28, v62
	v_lshlrev_b64 v[60:61], v60, v[42:43]
	v_lshrrev_b32_e32 v59, 3, v40
	v_sub_u32_e32 v61, 29, v62
	v_and_b32_e32 v60, 7, v60
	v_cmp_gt_u32_e32 vcc, 8, v40
	v_cndmask_b32_e32 v40, v59, v61, vcc
	v_cndmask_b32_e32 v52, v52, v60, vcc
	v_lshlrev_b32_e32 v42, 24, v42
	v_lshlrev_b32_e32 v52, 20, v52
	v_and_b32_e32 v42, 0x80000000, v42
	v_lshl_add_u32 v40, v40, 23, v56
	v_or3_b32 v40, v42, v40, v52
	v_lshrrev_b32_e32 v59, 16, v40
.LBB943_477:                            ;   in Loop: Header=BB943_215 Depth=1
	s_or_b64 exec, exec, s[16:17]
.LBB943_478:                            ;   in Loop: Header=BB943_215 Depth=1
	s_or_b64 exec, exec, s[14:15]
.LBB943_479:                            ;   in Loop: Header=BB943_215 Depth=1
	s_or_b64 exec, exec, s[12:13]
	s_waitcnt vmcnt(0)
	v_cmp_ne_u16_sdwa s[14:15], v38, v55 src0_sel:BYTE_0 src1_sel:DWORD
	s_and_saveexec_b64 s[12:13], s[14:15]
	s_cbranch_execz .LBB943_485
; %bb.480:                              ;   in Loop: Header=BB943_215 Depth=1
	v_cmp_ne_u16_sdwa s[16:17], v38, s9 src0_sel:BYTE_0 src1_sel:DWORD
	v_mov_b32_e32 v58, 0xffff8000
	s_and_saveexec_b64 s[14:15], s[16:17]
	s_cbranch_execz .LBB943_484
; %bb.481:                              ;   in Loop: Header=BB943_215 Depth=1
	v_and_b32_e32 v40, 0x7f, v38
	v_cmp_ne_u32_e32 vcc, s21, v40
	v_mov_b32_e32 v58, 0x7f80
	s_and_saveexec_b64 s[16:17], vcc
	s_cbranch_execz .LBB943_483
; %bb.482:                              ;   in Loop: Header=BB943_215 Depth=1
	v_and_b32_e32 v42, 7, v38
	v_ffbh_u32_e32 v58, v42
	v_min_u32_e32 v58, 32, v58
	v_subrev_u32_e32 v60, 28, v58
	v_lshlrev_b64 v[60:61], v60, v[38:39]
	v_lshrrev_b32_e32 v52, 3, v40
	v_sub_u32_e32 v58, 29, v58
	v_and_b32_e32 v60, 7, v60
	v_cmp_gt_u32_e32 vcc, 8, v40
	v_cndmask_b32_e32 v40, v52, v58, vcc
	v_cndmask_b32_e32 v42, v42, v60, vcc
	v_lshlrev_b32_e32 v52, 24, v38
	v_lshlrev_b32_e32 v42, 20, v42
	v_and_b32_e32 v52, 0x80000000, v52
	v_lshl_add_u32 v40, v40, 23, v56
	v_or3_b32 v40, v52, v40, v42
	v_lshrrev_b32_e32 v58, 16, v40
.LBB943_483:                            ;   in Loop: Header=BB943_215 Depth=1
	s_or_b64 exec, exec, s[16:17]
.LBB943_484:                            ;   in Loop: Header=BB943_215 Depth=1
	s_or_b64 exec, exec, s[14:15]
.LBB943_485:                            ;   in Loop: Header=BB943_215 Depth=1
	s_or_b64 exec, exec, s[12:13]
	v_lshrrev_b16_e32 v40, 8, v38
	v_cmp_ne_u16_e32 vcc, 0, v40
	v_mov_b32_e32 v61, 0
	v_mov_b32_e32 v60, 0
	s_and_saveexec_b64 s[12:13], vcc
	s_cbranch_execz .LBB943_491
; %bb.486:                              ;   in Loop: Header=BB943_215 Depth=1
	v_cmp_ne_u16_e32 vcc, s9, v40
	v_mov_b32_e32 v60, 0xffff8000
	s_and_saveexec_b64 s[14:15], vcc
	s_cbranch_execz .LBB943_490
; %bb.487:                              ;   in Loop: Header=BB943_215 Depth=1
	v_and_b32_e32 v42, 0x7f, v40
	v_cmp_ne_u32_e32 vcc, s21, v42
	v_mov_b32_e32 v60, 0x7f80
	s_and_saveexec_b64 s[16:17], vcc
	s_cbranch_execz .LBB943_489
; %bb.488:                              ;   in Loop: Header=BB943_215 Depth=1
	v_and_b32_e32 v52, 7, v40
	v_ffbh_u32_e32 v62, v52
	v_min_u32_e32 v64, 32, v62
	v_subrev_u32_e32 v62, 28, v64
	v_lshlrev_b64 v[62:63], v62, v[40:41]
	v_lshrrev_b32_e32 v60, 3, v42
	v_sub_u32_e32 v40, 29, v64
	v_and_b32_e32 v62, 7, v62
	v_cmp_gt_u32_e32 vcc, 8, v42
	v_cndmask_b32_e32 v40, v60, v40, vcc
	v_cndmask_b32_e32 v42, v52, v62, vcc
	v_lshlrev_b32_e32 v52, 16, v38
	v_lshlrev_b32_e32 v42, 20, v42
	v_and_b32_e32 v52, 0x80000000, v52
	v_lshl_add_u32 v40, v40, 23, v56
	v_or3_b32 v40, v52, v40, v42
	v_lshrrev_b32_e32 v60, 16, v40
.LBB943_489:                            ;   in Loop: Header=BB943_215 Depth=1
	s_or_b64 exec, exec, s[16:17]
.LBB943_490:                            ;   in Loop: Header=BB943_215 Depth=1
	s_or_b64 exec, exec, s[14:15]
.LBB943_491:                            ;   in Loop: Header=BB943_215 Depth=1
	s_or_b64 exec, exec, s[12:13]
	v_lshrrev_b32_e32 v40, 16, v38
	v_cmp_ne_u16_sdwa s[14:15], v40, v55 src0_sel:BYTE_0 src1_sel:DWORD
	s_and_saveexec_b64 s[12:13], s[14:15]
	s_cbranch_execz .LBB943_497
; %bb.492:                              ;   in Loop: Header=BB943_215 Depth=1
	v_cmp_ne_u16_sdwa s[16:17], v40, s9 src0_sel:BYTE_0 src1_sel:DWORD
	v_mov_b32_e32 v61, 0xffff8000
	s_and_saveexec_b64 s[14:15], s[16:17]
	s_cbranch_execz .LBB943_496
; %bb.493:                              ;   in Loop: Header=BB943_215 Depth=1
	v_bfe_u32 v42, v38, 16, 7
	v_cmp_ne_u32_e32 vcc, s21, v42
	v_mov_b32_e32 v61, 0x7f80
	s_and_saveexec_b64 s[16:17], vcc
	s_cbranch_execz .LBB943_495
; %bb.494:                              ;   in Loop: Header=BB943_215 Depth=1
	v_and_b32_e32 v52, 7, v40
	v_ffbh_u32_e32 v62, v52
	v_min_u32_e32 v64, 32, v62
	v_subrev_u32_e32 v62, 28, v64
	v_lshlrev_b64 v[62:63], v62, v[40:41]
	v_lshrrev_b32_e32 v61, 3, v42
	v_sub_u32_e32 v63, 29, v64
	v_and_b32_e32 v62, 7, v62
	v_cmp_gt_u32_e32 vcc, 8, v42
	v_cndmask_b32_e32 v42, v61, v63, vcc
	v_cndmask_b32_e32 v52, v52, v62, vcc
	v_lshlrev_b32_e32 v40, 24, v40
	v_lshlrev_b32_e32 v52, 20, v52
	v_and_b32_e32 v40, 0x80000000, v40
	v_lshl_add_u32 v42, v42, 23, v56
	v_or3_b32 v40, v40, v42, v52
	v_lshrrev_b32_e32 v61, 16, v40
.LBB943_495:                            ;   in Loop: Header=BB943_215 Depth=1
	s_or_b64 exec, exec, s[16:17]
.LBB943_496:                            ;   in Loop: Header=BB943_215 Depth=1
	s_or_b64 exec, exec, s[14:15]
.LBB943_497:                            ;   in Loop: Header=BB943_215 Depth=1
	s_or_b64 exec, exec, s[12:13]
	v_cmp_lt_u32_e32 vcc, s22, v38
	v_mov_b32_e32 v52, 0
	v_mov_b32_e32 v62, 0
	s_and_saveexec_b64 s[12:13], vcc
	s_cbranch_execz .LBB943_503
; %bb.498:                              ;   in Loop: Header=BB943_215 Depth=1
	v_lshrrev_b32_e32 v40, 24, v38
	v_cmp_ne_u32_e32 vcc, s9, v40
	v_mov_b32_e32 v62, 0xffff8000
	s_and_saveexec_b64 s[14:15], vcc
	s_cbranch_execz .LBB943_502
; %bb.499:                              ;   in Loop: Header=BB943_215 Depth=1
	v_bfe_u32 v38, v38, 24, 7
	v_cmp_ne_u32_e32 vcc, s21, v38
	v_mov_b32_e32 v62, 0x7f80
	s_and_saveexec_b64 s[16:17], vcc
	s_cbranch_execz .LBB943_501
; %bb.500:                              ;   in Loop: Header=BB943_215 Depth=1
	v_and_b32_e32 v42, 7, v40
	v_ffbh_u32_e32 v62, v42
	v_min_u32_e32 v65, 32, v62
	v_subrev_u32_e32 v62, 28, v65
	v_lshlrev_b64 v[62:63], v62, v[40:41]
	v_lshrrev_b32_e32 v64, 3, v38
	v_sub_u32_e32 v63, 29, v65
	v_and_b32_e32 v62, 7, v62
	v_cmp_gt_u32_e32 vcc, 8, v38
	v_cndmask_b32_e32 v38, v64, v63, vcc
	v_cndmask_b32_e32 v42, v42, v62, vcc
	v_lshlrev_b32_e32 v40, 24, v40
	v_lshlrev_b32_e32 v42, 20, v42
	v_and_b32_e32 v40, 0x80000000, v40
	v_lshl_add_u32 v38, v38, 23, v56
	v_or3_b32 v38, v40, v38, v42
	v_lshrrev_b32_e32 v62, 16, v38
.LBB943_501:                            ;   in Loop: Header=BB943_215 Depth=1
	s_or_b64 exec, exec, s[16:17]
.LBB943_502:                            ;   in Loop: Header=BB943_215 Depth=1
	s_or_b64 exec, exec, s[14:15]
.LBB943_503:                            ;   in Loop: Header=BB943_215 Depth=1
	s_or_b64 exec, exec, s[12:13]
	v_perm_b32 v64, v44, v46, s23
	buffer_load_dword v44, v51, s[0:3], 0 offen
	buffer_load_dword v42, v51, s[0:3], 0 offen offset:4
	buffer_load_dword v40, v51, s[0:3], 0 offen offset:8
	buffer_load_dword v38, v51, s[0:3], 0 offen offset:12
	v_perm_b32 v65, v59, v57, s23
	v_perm_b32 v59, v62, v61, s23
	v_perm_b32 v58, v60, v58, s23
	v_mfma_f32_16x16x16bf16_1k v[34:37], v[64:65], v[22:23], v[34:37]
	s_waitcnt vmcnt(3)
	v_cmp_ne_u16_sdwa s[14:15], v44, v55 src0_sel:BYTE_0 src1_sel:DWORD
	v_mfma_f32_16x16x16bf16_1k v[34:37], v[58:59], v[24:25], v[34:37]
	s_and_saveexec_b64 s[12:13], s[14:15]
	s_cbranch_execz .LBB943_509
; %bb.504:                              ;   in Loop: Header=BB943_215 Depth=1
	v_cmp_ne_u16_sdwa s[16:17], v44, s9 src0_sel:BYTE_0 src1_sel:DWORD
	v_mov_b32_e32 v52, 0xffff8000
	s_and_saveexec_b64 s[14:15], s[16:17]
	s_cbranch_execz .LBB943_508
; %bb.505:                              ;   in Loop: Header=BB943_215 Depth=1
	v_and_b32_e32 v46, 0x7f, v44
	v_cmp_ne_u32_e32 vcc, s21, v46
	v_mov_b32_e32 v52, 0x7f80
	s_and_saveexec_b64 s[16:17], vcc
	s_cbranch_execz .LBB943_507
; %bb.506:                              ;   in Loop: Header=BB943_215 Depth=1
	v_and_b32_e32 v51, 7, v44
	v_ffbh_u32_e32 v57, v51
	v_min_u32_e32 v57, 32, v57
	v_subrev_u32_e32 v58, 28, v57
	v_lshlrev_b64 v[58:59], v58, v[44:45]
	v_lshrrev_b32_e32 v52, 3, v46
	v_sub_u32_e32 v57, 29, v57
	v_and_b32_e32 v58, 7, v58
	v_cmp_gt_u32_e32 vcc, 8, v46
	v_cndmask_b32_e32 v46, v52, v57, vcc
	v_cndmask_b32_e32 v51, v51, v58, vcc
	v_lshlrev_b32_e32 v52, 24, v44
	v_lshlrev_b32_e32 v51, 20, v51
	v_and_b32_e32 v52, 0x80000000, v52
	v_lshl_add_u32 v46, v46, 23, v56
	v_or3_b32 v46, v52, v46, v51
	v_lshrrev_b32_e32 v52, 16, v46
.LBB943_507:                            ;   in Loop: Header=BB943_215 Depth=1
	s_or_b64 exec, exec, s[16:17]
.LBB943_508:                            ;   in Loop: Header=BB943_215 Depth=1
	s_or_b64 exec, exec, s[14:15]
.LBB943_509:                            ;   in Loop: Header=BB943_215 Depth=1
	s_or_b64 exec, exec, s[12:13]
	v_lshrrev_b16_e32 v46, 8, v44
	v_cmp_ne_u16_e32 vcc, 0, v46
	v_mov_b32_e32 v57, 0
	v_mov_b32_e32 v51, 0
	s_and_saveexec_b64 s[12:13], vcc
	s_cbranch_execz .LBB943_515
; %bb.510:                              ;   in Loop: Header=BB943_215 Depth=1
	v_cmp_ne_u16_e32 vcc, s9, v46
	v_mov_b32_e32 v51, 0xffff8000
	s_and_saveexec_b64 s[14:15], vcc
	s_cbranch_execz .LBB943_514
; %bb.511:                              ;   in Loop: Header=BB943_215 Depth=1
	v_and_b32_e32 v58, 0x7f, v46
	v_cmp_ne_u32_e32 vcc, s21, v58
	v_mov_b32_e32 v51, 0x7f80
	s_and_saveexec_b64 s[16:17], vcc
	s_cbranch_execz .LBB943_513
; %bb.512:                              ;   in Loop: Header=BB943_215 Depth=1
	v_and_b32_e32 v51, 7, v46
	v_ffbh_u32_e32 v60, v51
	v_min_u32_e32 v62, 32, v60
	v_subrev_u32_e32 v60, 28, v62
	v_lshlrev_b64 v[60:61], v60, v[46:47]
	v_lshrrev_b32_e32 v59, 3, v58
	v_sub_u32_e32 v46, 29, v62
	v_and_b32_e32 v60, 7, v60
	v_cmp_gt_u32_e32 vcc, 8, v58
	v_cndmask_b32_e32 v46, v59, v46, vcc
	v_cndmask_b32_e32 v51, v51, v60, vcc
	v_lshlrev_b32_e32 v58, 16, v44
	v_lshlrev_b32_e32 v51, 20, v51
	v_and_b32_e32 v58, 0x80000000, v58
	v_lshl_add_u32 v46, v46, 23, v56
	v_or3_b32 v46, v58, v46, v51
	v_lshrrev_b32_e32 v51, 16, v46
.LBB943_513:                            ;   in Loop: Header=BB943_215 Depth=1
	s_or_b64 exec, exec, s[16:17]
.LBB943_514:                            ;   in Loop: Header=BB943_215 Depth=1
	s_or_b64 exec, exec, s[14:15]
.LBB943_515:                            ;   in Loop: Header=BB943_215 Depth=1
	s_or_b64 exec, exec, s[12:13]
	v_lshrrev_b32_e32 v46, 16, v44
	v_cmp_ne_u16_sdwa s[14:15], v46, v55 src0_sel:BYTE_0 src1_sel:DWORD
	s_and_saveexec_b64 s[12:13], s[14:15]
	s_cbranch_execz .LBB943_521
; %bb.516:                              ;   in Loop: Header=BB943_215 Depth=1
	v_cmp_ne_u16_sdwa s[16:17], v46, s9 src0_sel:BYTE_0 src1_sel:DWORD
	v_mov_b32_e32 v57, 0xffff8000
	s_and_saveexec_b64 s[14:15], s[16:17]
	s_cbranch_execz .LBB943_520
; %bb.517:                              ;   in Loop: Header=BB943_215 Depth=1
	v_bfe_u32 v58, v44, 16, 7
	v_cmp_ne_u32_e32 vcc, s21, v58
	v_mov_b32_e32 v57, 0x7f80
	s_and_saveexec_b64 s[16:17], vcc
	s_cbranch_execz .LBB943_519
; %bb.518:                              ;   in Loop: Header=BB943_215 Depth=1
	v_and_b32_e32 v57, 7, v46
	v_ffbh_u32_e32 v60, v57
	v_min_u32_e32 v62, 32, v60
	v_subrev_u32_e32 v60, 28, v62
	v_lshlrev_b64 v[60:61], v60, v[46:47]
	v_lshrrev_b32_e32 v59, 3, v58
	v_sub_u32_e32 v61, 29, v62
	v_and_b32_e32 v60, 7, v60
	v_cmp_gt_u32_e32 vcc, 8, v58
	v_cndmask_b32_e32 v58, v59, v61, vcc
	v_cndmask_b32_e32 v57, v57, v60, vcc
	v_lshlrev_b32_e32 v46, 24, v46
	v_lshlrev_b32_e32 v57, 20, v57
	v_and_b32_e32 v46, 0x80000000, v46
	v_lshl_add_u32 v58, v58, 23, v56
	v_or3_b32 v46, v46, v58, v57
	v_lshrrev_b32_e32 v57, 16, v46
.LBB943_519:                            ;   in Loop: Header=BB943_215 Depth=1
	s_or_b64 exec, exec, s[16:17]
.LBB943_520:                            ;   in Loop: Header=BB943_215 Depth=1
	s_or_b64 exec, exec, s[14:15]
.LBB943_521:                            ;   in Loop: Header=BB943_215 Depth=1
	s_or_b64 exec, exec, s[12:13]
	v_cmp_lt_u32_e32 vcc, s22, v44
	v_mov_b32_e32 v58, 0
	v_mov_b32_e32 v59, 0
	s_and_saveexec_b64 s[12:13], vcc
	s_cbranch_execz .LBB943_527
; %bb.522:                              ;   in Loop: Header=BB943_215 Depth=1
	v_lshrrev_b32_e32 v46, 24, v44
	v_cmp_ne_u32_e32 vcc, s9, v46
	v_mov_b32_e32 v59, 0xffff8000
	s_and_saveexec_b64 s[14:15], vcc
	s_cbranch_execz .LBB943_526
; %bb.523:                              ;   in Loop: Header=BB943_215 Depth=1
	v_bfe_u32 v44, v44, 24, 7
	v_cmp_ne_u32_e32 vcc, s21, v44
	v_mov_b32_e32 v59, 0x7f80
	s_and_saveexec_b64 s[16:17], vcc
	s_cbranch_execz .LBB943_525
; %bb.524:                              ;   in Loop: Header=BB943_215 Depth=1
	v_and_b32_e32 v59, 7, v46
	v_ffbh_u32_e32 v60, v59
	v_min_u32_e32 v63, 32, v60
	v_subrev_u32_e32 v60, 28, v63
	v_lshlrev_b64 v[60:61], v60, v[46:47]
	v_lshrrev_b32_e32 v62, 3, v44
	v_sub_u32_e32 v61, 29, v63
	v_and_b32_e32 v60, 7, v60
	v_cmp_gt_u32_e32 vcc, 8, v44
	v_cndmask_b32_e32 v44, v62, v61, vcc
	v_cndmask_b32_e32 v59, v59, v60, vcc
	v_lshlrev_b32_e32 v46, 24, v46
	v_lshlrev_b32_e32 v59, 20, v59
	v_and_b32_e32 v46, 0x80000000, v46
	v_lshl_add_u32 v44, v44, 23, v56
	v_or3_b32 v44, v46, v44, v59
	v_lshrrev_b32_e32 v59, 16, v44
.LBB943_525:                            ;   in Loop: Header=BB943_215 Depth=1
	s_or_b64 exec, exec, s[16:17]
.LBB943_526:                            ;   in Loop: Header=BB943_215 Depth=1
	s_or_b64 exec, exec, s[14:15]
.LBB943_527:                            ;   in Loop: Header=BB943_215 Depth=1
	s_or_b64 exec, exec, s[12:13]
	s_waitcnt vmcnt(2)
	v_cmp_ne_u16_sdwa s[14:15], v42, v55 src0_sel:BYTE_0 src1_sel:DWORD
	s_and_saveexec_b64 s[12:13], s[14:15]
	s_cbranch_execz .LBB943_533
; %bb.528:                              ;   in Loop: Header=BB943_215 Depth=1
	v_cmp_ne_u16_sdwa s[16:17], v42, s9 src0_sel:BYTE_0 src1_sel:DWORD
	v_mov_b32_e32 v58, 0xffff8000
	s_and_saveexec_b64 s[14:15], s[16:17]
	s_cbranch_execz .LBB943_532
; %bb.529:                              ;   in Loop: Header=BB943_215 Depth=1
	v_and_b32_e32 v44, 0x7f, v42
	v_cmp_ne_u32_e32 vcc, s21, v44
	v_mov_b32_e32 v58, 0x7f80
	s_and_saveexec_b64 s[16:17], vcc
	s_cbranch_execz .LBB943_531
; %bb.530:                              ;   in Loop: Header=BB943_215 Depth=1
	v_and_b32_e32 v46, 7, v42
	v_ffbh_u32_e32 v60, v46
	v_min_u32_e32 v62, 32, v60
	v_subrev_u32_e32 v60, 28, v62
	v_lshlrev_b64 v[60:61], v60, v[42:43]
	v_lshrrev_b32_e32 v58, 3, v44
	v_sub_u32_e32 v61, 29, v62
	v_and_b32_e32 v60, 7, v60
	v_cmp_gt_u32_e32 vcc, 8, v44
	v_cndmask_b32_e32 v44, v58, v61, vcc
	v_cndmask_b32_e32 v46, v46, v60, vcc
	v_lshlrev_b32_e32 v58, 24, v42
	v_lshlrev_b32_e32 v46, 20, v46
	v_and_b32_e32 v58, 0x80000000, v58
	v_lshl_add_u32 v44, v44, 23, v56
	v_or3_b32 v44, v58, v44, v46
	v_lshrrev_b32_e32 v58, 16, v44
.LBB943_531:                            ;   in Loop: Header=BB943_215 Depth=1
	s_or_b64 exec, exec, s[16:17]
.LBB943_532:                            ;   in Loop: Header=BB943_215 Depth=1
	s_or_b64 exec, exec, s[14:15]
.LBB943_533:                            ;   in Loop: Header=BB943_215 Depth=1
	s_or_b64 exec, exec, s[12:13]
	v_lshrrev_b16_e32 v44, 8, v42
	v_cmp_ne_u16_e32 vcc, 0, v44
	v_mov_b32_e32 v61, 0
	v_mov_b32_e32 v60, 0
	s_and_saveexec_b64 s[12:13], vcc
	s_cbranch_execz .LBB943_539
; %bb.534:                              ;   in Loop: Header=BB943_215 Depth=1
	v_cmp_ne_u16_e32 vcc, s9, v44
	v_mov_b32_e32 v60, 0xffff8000
	s_and_saveexec_b64 s[14:15], vcc
	s_cbranch_execz .LBB943_538
; %bb.535:                              ;   in Loop: Header=BB943_215 Depth=1
	v_and_b32_e32 v46, 0x7f, v44
	v_cmp_ne_u32_e32 vcc, s21, v46
	v_mov_b32_e32 v60, 0x7f80
	s_and_saveexec_b64 s[16:17], vcc
	s_cbranch_execz .LBB943_537
; %bb.536:                              ;   in Loop: Header=BB943_215 Depth=1
	v_and_b32_e32 v60, 7, v44
	v_ffbh_u32_e32 v62, v60
	v_min_u32_e32 v65, 32, v62
	v_subrev_u32_e32 v62, 28, v65
	v_lshlrev_b64 v[62:63], v62, v[44:45]
	v_lshrrev_b32_e32 v64, 3, v46
	v_sub_u32_e32 v44, 29, v65
	v_and_b32_e32 v62, 7, v62
	v_cmp_gt_u32_e32 vcc, 8, v46
	v_cndmask_b32_e32 v44, v64, v44, vcc
	v_cndmask_b32_e32 v46, v60, v62, vcc
	v_lshlrev_b32_e32 v60, 16, v42
	v_lshlrev_b32_e32 v46, 20, v46
	v_and_b32_e32 v60, 0x80000000, v60
	v_lshl_add_u32 v44, v44, 23, v56
	v_or3_b32 v44, v60, v44, v46
	v_lshrrev_b32_e32 v60, 16, v44
.LBB943_537:                            ;   in Loop: Header=BB943_215 Depth=1
	s_or_b64 exec, exec, s[16:17]
.LBB943_538:                            ;   in Loop: Header=BB943_215 Depth=1
	s_or_b64 exec, exec, s[14:15]
.LBB943_539:                            ;   in Loop: Header=BB943_215 Depth=1
	s_or_b64 exec, exec, s[12:13]
	v_lshrrev_b32_e32 v44, 16, v42
	v_cmp_ne_u16_sdwa s[14:15], v44, v55 src0_sel:BYTE_0 src1_sel:DWORD
	s_and_saveexec_b64 s[12:13], s[14:15]
	s_cbranch_execz .LBB943_545
; %bb.540:                              ;   in Loop: Header=BB943_215 Depth=1
	v_cmp_ne_u16_sdwa s[16:17], v44, s9 src0_sel:BYTE_0 src1_sel:DWORD
	v_mov_b32_e32 v61, 0xffff8000
	s_and_saveexec_b64 s[14:15], s[16:17]
	s_cbranch_execz .LBB943_544
; %bb.541:                              ;   in Loop: Header=BB943_215 Depth=1
	v_bfe_u32 v46, v42, 16, 7
	v_cmp_ne_u32_e32 vcc, s21, v46
	v_mov_b32_e32 v61, 0x7f80
	s_and_saveexec_b64 s[16:17], vcc
	s_cbranch_execz .LBB943_543
; %bb.542:                              ;   in Loop: Header=BB943_215 Depth=1
	v_and_b32_e32 v61, 7, v44
	v_ffbh_u32_e32 v62, v61
	v_min_u32_e32 v65, 32, v62
	v_subrev_u32_e32 v62, 28, v65
	v_lshlrev_b64 v[62:63], v62, v[44:45]
	v_lshrrev_b32_e32 v64, 3, v46
	v_sub_u32_e32 v63, 29, v65
	v_and_b32_e32 v62, 7, v62
	v_cmp_gt_u32_e32 vcc, 8, v46
	v_cndmask_b32_e32 v46, v64, v63, vcc
	v_cndmask_b32_e32 v61, v61, v62, vcc
	v_lshlrev_b32_e32 v44, 24, v44
	v_lshlrev_b32_e32 v61, 20, v61
	v_and_b32_e32 v44, 0x80000000, v44
	v_lshl_add_u32 v46, v46, 23, v56
	v_or3_b32 v44, v44, v46, v61
	v_lshrrev_b32_e32 v61, 16, v44
.LBB943_543:                            ;   in Loop: Header=BB943_215 Depth=1
	s_or_b64 exec, exec, s[16:17]
.LBB943_544:                            ;   in Loop: Header=BB943_215 Depth=1
	s_or_b64 exec, exec, s[14:15]
.LBB943_545:                            ;   in Loop: Header=BB943_215 Depth=1
	s_or_b64 exec, exec, s[12:13]
	v_cmp_lt_u32_e32 vcc, s22, v42
	v_mov_b32_e32 v46, 0
	v_mov_b32_e32 v62, 0
	s_and_saveexec_b64 s[12:13], vcc
	s_cbranch_execz .LBB943_551
; %bb.546:                              ;   in Loop: Header=BB943_215 Depth=1
	v_lshrrev_b32_e32 v44, 24, v42
	v_cmp_ne_u32_e32 vcc, s9, v44
	v_mov_b32_e32 v62, 0xffff8000
	s_and_saveexec_b64 s[14:15], vcc
	s_cbranch_execz .LBB943_550
; %bb.547:                              ;   in Loop: Header=BB943_215 Depth=1
	v_bfe_u32 v42, v42, 24, 7
	v_cmp_ne_u32_e32 vcc, s21, v42
	v_mov_b32_e32 v62, 0x7f80
	s_and_saveexec_b64 s[16:17], vcc
	s_cbranch_execz .LBB943_549
; %bb.548:                              ;   in Loop: Header=BB943_215 Depth=1
	v_and_b32_e32 v64, 7, v44
	v_ffbh_u32_e32 v62, v64
	v_min_u32_e32 v66, 32, v62
	v_subrev_u32_e32 v62, 28, v66
	v_lshlrev_b64 v[62:63], v62, v[44:45]
	v_lshrrev_b32_e32 v65, 3, v42
	v_sub_u32_e32 v63, 29, v66
	v_and_b32_e32 v62, 7, v62
	v_cmp_gt_u32_e32 vcc, 8, v42
	v_cndmask_b32_e32 v42, v65, v63, vcc
	v_cndmask_b32_e32 v62, v64, v62, vcc
	v_lshlrev_b32_e32 v44, 24, v44
	v_lshlrev_b32_e32 v62, 20, v62
	v_and_b32_e32 v44, 0x80000000, v44
	v_lshl_add_u32 v42, v42, 23, v56
	v_or3_b32 v42, v44, v42, v62
	v_lshrrev_b32_e32 v62, 16, v42
.LBB943_549:                            ;   in Loop: Header=BB943_215 Depth=1
	s_or_b64 exec, exec, s[16:17]
.LBB943_550:                            ;   in Loop: Header=BB943_215 Depth=1
	s_or_b64 exec, exec, s[14:15]
.LBB943_551:                            ;   in Loop: Header=BB943_215 Depth=1
	s_or_b64 exec, exec, s[12:13]
	v_perm_b32 v65, v59, v57, s23
	v_perm_b32 v64, v51, v52, s23
	;; [unrolled: 1-line block ×4, first 2 shown]
	s_waitcnt vmcnt(1)
	v_cmp_ne_u16_sdwa s[14:15], v40, v55 src0_sel:BYTE_0 src1_sel:DWORD
	v_mfma_f32_16x16x16bf16_1k v[34:37], v[64:65], v[26:27], v[34:37]
	v_mfma_f32_16x16x16bf16_1k v[34:37], v[58:59], v[28:29], v[34:37]
	s_and_saveexec_b64 s[12:13], s[14:15]
	s_cbranch_execz .LBB943_557
; %bb.552:                              ;   in Loop: Header=BB943_215 Depth=1
	v_cmp_ne_u16_sdwa s[16:17], v40, s9 src0_sel:BYTE_0 src1_sel:DWORD
	v_mov_b32_e32 v46, 0xffff8000
	s_and_saveexec_b64 s[14:15], s[16:17]
	s_cbranch_execz .LBB943_556
; %bb.553:                              ;   in Loop: Header=BB943_215 Depth=1
	v_and_b32_e32 v42, 0x7f, v40
	v_cmp_ne_u32_e32 vcc, s21, v42
	v_mov_b32_e32 v46, 0x7f80
	s_and_saveexec_b64 s[16:17], vcc
	s_cbranch_execz .LBB943_555
; %bb.554:                              ;   in Loop: Header=BB943_215 Depth=1
	v_and_b32_e32 v44, 7, v40
	v_ffbh_u32_e32 v51, v44
	v_min_u32_e32 v51, 32, v51
	v_subrev_u32_e32 v52, 28, v51
	v_lshlrev_b64 v[58:59], v52, v[40:41]
	v_lshrrev_b32_e32 v46, 3, v42
	v_sub_u32_e32 v51, 29, v51
	v_and_b32_e32 v52, 7, v58
	v_cmp_gt_u32_e32 vcc, 8, v42
	v_cndmask_b32_e32 v42, v46, v51, vcc
	v_cndmask_b32_e32 v44, v44, v52, vcc
	v_lshlrev_b32_e32 v46, 24, v40
	v_lshlrev_b32_e32 v44, 20, v44
	v_and_b32_e32 v46, 0x80000000, v46
	v_lshl_add_u32 v42, v42, 23, v56
	v_or3_b32 v42, v46, v42, v44
	v_lshrrev_b32_e32 v46, 16, v42
.LBB943_555:                            ;   in Loop: Header=BB943_215 Depth=1
	s_or_b64 exec, exec, s[16:17]
.LBB943_556:                            ;   in Loop: Header=BB943_215 Depth=1
	s_or_b64 exec, exec, s[14:15]
.LBB943_557:                            ;   in Loop: Header=BB943_215 Depth=1
	s_or_b64 exec, exec, s[12:13]
	v_lshrrev_b16_e32 v42, 8, v40
	v_cmp_ne_u16_e32 vcc, 0, v42
	v_mov_b32_e32 v51, 0
	v_mov_b32_e32 v44, 0
	s_and_saveexec_b64 s[12:13], vcc
	s_cbranch_execz .LBB943_563
; %bb.558:                              ;   in Loop: Header=BB943_215 Depth=1
	v_cmp_ne_u16_e32 vcc, s9, v42
	v_mov_b32_e32 v44, 0xffff8000
	s_and_saveexec_b64 s[14:15], vcc
	s_cbranch_execz .LBB943_562
; %bb.559:                              ;   in Loop: Header=BB943_215 Depth=1
	v_and_b32_e32 v52, 0x7f, v42
	v_cmp_ne_u32_e32 vcc, s21, v52
	v_mov_b32_e32 v44, 0x7f80
	s_and_saveexec_b64 s[16:17], vcc
	s_cbranch_execz .LBB943_561
; %bb.560:                              ;   in Loop: Header=BB943_215 Depth=1
	v_and_b32_e32 v44, 7, v42
	v_ffbh_u32_e32 v58, v44
	v_min_u32_e32 v60, 32, v58
	v_subrev_u32_e32 v58, 28, v60
	v_lshlrev_b64 v[58:59], v58, v[42:43]
	v_lshrrev_b32_e32 v57, 3, v52
	v_sub_u32_e32 v42, 29, v60
	v_and_b32_e32 v58, 7, v58
	v_cmp_gt_u32_e32 vcc, 8, v52
	v_cndmask_b32_e32 v42, v57, v42, vcc
	v_cndmask_b32_e32 v44, v44, v58, vcc
	v_lshlrev_b32_e32 v52, 16, v40
	v_lshlrev_b32_e32 v44, 20, v44
	v_and_b32_e32 v52, 0x80000000, v52
	v_lshl_add_u32 v42, v42, 23, v56
	v_or3_b32 v42, v52, v42, v44
	v_lshrrev_b32_e32 v44, 16, v42
.LBB943_561:                            ;   in Loop: Header=BB943_215 Depth=1
	s_or_b64 exec, exec, s[16:17]
.LBB943_562:                            ;   in Loop: Header=BB943_215 Depth=1
	s_or_b64 exec, exec, s[14:15]
.LBB943_563:                            ;   in Loop: Header=BB943_215 Depth=1
	s_or_b64 exec, exec, s[12:13]
	v_lshrrev_b32_e32 v42, 16, v40
	v_cmp_ne_u16_sdwa s[14:15], v42, v55 src0_sel:BYTE_0 src1_sel:DWORD
	s_and_saveexec_b64 s[12:13], s[14:15]
	s_cbranch_execz .LBB943_569
; %bb.564:                              ;   in Loop: Header=BB943_215 Depth=1
	v_cmp_ne_u16_sdwa s[16:17], v42, s9 src0_sel:BYTE_0 src1_sel:DWORD
	v_mov_b32_e32 v51, 0xffff8000
	s_and_saveexec_b64 s[14:15], s[16:17]
	s_cbranch_execz .LBB943_568
; %bb.565:                              ;   in Loop: Header=BB943_215 Depth=1
	v_bfe_u32 v52, v40, 16, 7
	v_cmp_ne_u32_e32 vcc, s21, v52
	v_mov_b32_e32 v51, 0x7f80
	s_and_saveexec_b64 s[16:17], vcc
	s_cbranch_execz .LBB943_567
; %bb.566:                              ;   in Loop: Header=BB943_215 Depth=1
	v_and_b32_e32 v51, 7, v42
	v_ffbh_u32_e32 v58, v51
	v_min_u32_e32 v60, 32, v58
	v_subrev_u32_e32 v58, 28, v60
	v_lshlrev_b64 v[58:59], v58, v[42:43]
	v_lshrrev_b32_e32 v57, 3, v52
	v_sub_u32_e32 v59, 29, v60
	v_and_b32_e32 v58, 7, v58
	v_cmp_gt_u32_e32 vcc, 8, v52
	v_cndmask_b32_e32 v52, v57, v59, vcc
	v_cndmask_b32_e32 v51, v51, v58, vcc
	v_lshlrev_b32_e32 v42, 24, v42
	v_lshlrev_b32_e32 v51, 20, v51
	v_and_b32_e32 v42, 0x80000000, v42
	v_lshl_add_u32 v52, v52, 23, v56
	v_or3_b32 v42, v42, v52, v51
	v_lshrrev_b32_e32 v51, 16, v42
.LBB943_567:                            ;   in Loop: Header=BB943_215 Depth=1
	s_or_b64 exec, exec, s[16:17]
.LBB943_568:                            ;   in Loop: Header=BB943_215 Depth=1
	s_or_b64 exec, exec, s[14:15]
.LBB943_569:                            ;   in Loop: Header=BB943_215 Depth=1
	s_or_b64 exec, exec, s[12:13]
	v_cmp_lt_u32_e32 vcc, s22, v40
	v_mov_b32_e32 v52, 0
	v_mov_b32_e32 v57, 0
	s_and_saveexec_b64 s[12:13], vcc
	s_cbranch_execz .LBB943_575
; %bb.570:                              ;   in Loop: Header=BB943_215 Depth=1
	v_lshrrev_b32_e32 v42, 24, v40
	v_cmp_ne_u32_e32 vcc, s9, v42
	v_mov_b32_e32 v57, 0xffff8000
	s_and_saveexec_b64 s[14:15], vcc
	s_cbranch_execz .LBB943_574
; %bb.571:                              ;   in Loop: Header=BB943_215 Depth=1
	v_bfe_u32 v40, v40, 24, 7
	v_cmp_ne_u32_e32 vcc, s21, v40
	v_mov_b32_e32 v57, 0x7f80
	s_and_saveexec_b64 s[16:17], vcc
	s_cbranch_execz .LBB943_573
; %bb.572:                              ;   in Loop: Header=BB943_215 Depth=1
	v_and_b32_e32 v57, 7, v42
	v_ffbh_u32_e32 v58, v57
	v_min_u32_e32 v61, 32, v58
	v_subrev_u32_e32 v58, 28, v61
	v_lshlrev_b64 v[58:59], v58, v[42:43]
	v_lshrrev_b32_e32 v60, 3, v40
	v_sub_u32_e32 v59, 29, v61
	v_and_b32_e32 v58, 7, v58
	v_cmp_gt_u32_e32 vcc, 8, v40
	v_cndmask_b32_e32 v40, v60, v59, vcc
	v_cndmask_b32_e32 v57, v57, v58, vcc
	v_lshlrev_b32_e32 v42, 24, v42
	v_lshlrev_b32_e32 v57, 20, v57
	v_and_b32_e32 v42, 0x80000000, v42
	v_lshl_add_u32 v40, v40, 23, v56
	v_or3_b32 v40, v42, v40, v57
	v_lshrrev_b32_e32 v57, 16, v40
.LBB943_573:                            ;   in Loop: Header=BB943_215 Depth=1
	s_or_b64 exec, exec, s[16:17]
.LBB943_574:                            ;   in Loop: Header=BB943_215 Depth=1
	s_or_b64 exec, exec, s[14:15]
.LBB943_575:                            ;   in Loop: Header=BB943_215 Depth=1
	s_or_b64 exec, exec, s[12:13]
	s_waitcnt vmcnt(0)
	v_cmp_ne_u16_sdwa s[14:15], v38, v55 src0_sel:BYTE_0 src1_sel:DWORD
	s_and_saveexec_b64 s[12:13], s[14:15]
	s_cbranch_execz .LBB943_581
; %bb.576:                              ;   in Loop: Header=BB943_215 Depth=1
	v_cmp_ne_u16_sdwa s[16:17], v38, s9 src0_sel:BYTE_0 src1_sel:DWORD
	v_mov_b32_e32 v52, 0xffff8000
	s_and_saveexec_b64 s[14:15], s[16:17]
	s_cbranch_execz .LBB943_580
; %bb.577:                              ;   in Loop: Header=BB943_215 Depth=1
	v_and_b32_e32 v40, 0x7f, v38
	v_cmp_ne_u32_e32 vcc, s21, v40
	v_mov_b32_e32 v52, 0x7f80
	s_and_saveexec_b64 s[16:17], vcc
	s_cbranch_execz .LBB943_579
; %bb.578:                              ;   in Loop: Header=BB943_215 Depth=1
	v_and_b32_e32 v42, 7, v38
	v_ffbh_u32_e32 v58, v42
	v_min_u32_e32 v60, 32, v58
	v_subrev_u32_e32 v58, 28, v60
	v_lshlrev_b64 v[58:59], v58, v[38:39]
	v_lshrrev_b32_e32 v52, 3, v40
	v_sub_u32_e32 v59, 29, v60
	v_and_b32_e32 v58, 7, v58
	v_cmp_gt_u32_e32 vcc, 8, v40
	v_cndmask_b32_e32 v40, v52, v59, vcc
	v_cndmask_b32_e32 v42, v42, v58, vcc
	v_lshlrev_b32_e32 v52, 24, v38
	v_lshlrev_b32_e32 v42, 20, v42
	v_and_b32_e32 v52, 0x80000000, v52
	v_lshl_add_u32 v40, v40, 23, v56
	v_or3_b32 v40, v52, v40, v42
	v_lshrrev_b32_e32 v52, 16, v40
.LBB943_579:                            ;   in Loop: Header=BB943_215 Depth=1
	s_or_b64 exec, exec, s[16:17]
.LBB943_580:                            ;   in Loop: Header=BB943_215 Depth=1
	s_or_b64 exec, exec, s[14:15]
.LBB943_581:                            ;   in Loop: Header=BB943_215 Depth=1
	s_or_b64 exec, exec, s[12:13]
	v_lshrrev_b16_e32 v40, 8, v38
	v_cmp_ne_u16_e32 vcc, 0, v40
	v_mov_b32_e32 v58, 0
	v_mov_b32_e32 v42, 0
	s_and_saveexec_b64 s[12:13], vcc
	s_cbranch_execz .LBB943_587
; %bb.582:                              ;   in Loop: Header=BB943_215 Depth=1
	v_cmp_ne_u16_e32 vcc, s9, v40
	v_mov_b32_e32 v42, 0xffff8000
	s_and_saveexec_b64 s[14:15], vcc
	s_cbranch_execz .LBB943_586
; %bb.583:                              ;   in Loop: Header=BB943_215 Depth=1
	v_and_b32_e32 v59, 0x7f, v40
	v_cmp_ne_u32_e32 vcc, s21, v59
	v_mov_b32_e32 v42, 0x7f80
	s_and_saveexec_b64 s[16:17], vcc
	s_cbranch_execz .LBB943_585
; %bb.584:                              ;   in Loop: Header=BB943_215 Depth=1
	v_and_b32_e32 v42, 7, v40
	v_ffbh_u32_e32 v60, v42
	v_min_u32_e32 v63, 32, v60
	v_subrev_u32_e32 v60, 28, v63
	v_lshlrev_b64 v[60:61], v60, v[40:41]
	v_lshrrev_b32_e32 v62, 3, v59
	v_sub_u32_e32 v40, 29, v63
	v_and_b32_e32 v60, 7, v60
	v_cmp_gt_u32_e32 vcc, 8, v59
	v_cndmask_b32_e32 v40, v62, v40, vcc
	v_cndmask_b32_e32 v42, v42, v60, vcc
	v_lshlrev_b32_e32 v59, 16, v38
	v_lshlrev_b32_e32 v42, 20, v42
	v_and_b32_e32 v59, 0x80000000, v59
	v_lshl_add_u32 v40, v40, 23, v56
	v_or3_b32 v40, v59, v40, v42
	v_lshrrev_b32_e32 v42, 16, v40
.LBB943_585:                            ;   in Loop: Header=BB943_215 Depth=1
	s_or_b64 exec, exec, s[16:17]
.LBB943_586:                            ;   in Loop: Header=BB943_215 Depth=1
	s_or_b64 exec, exec, s[14:15]
.LBB943_587:                            ;   in Loop: Header=BB943_215 Depth=1
	s_or_b64 exec, exec, s[12:13]
	v_lshrrev_b32_e32 v40, 16, v38
	v_cmp_ne_u16_sdwa s[14:15], v40, v55 src0_sel:BYTE_0 src1_sel:DWORD
	s_and_saveexec_b64 s[12:13], s[14:15]
	s_cbranch_execz .LBB943_593
; %bb.588:                              ;   in Loop: Header=BB943_215 Depth=1
	v_cmp_ne_u16_sdwa s[16:17], v40, s9 src0_sel:BYTE_0 src1_sel:DWORD
	v_mov_b32_e32 v58, 0xffff8000
	s_and_saveexec_b64 s[14:15], s[16:17]
	s_cbranch_execz .LBB943_592
; %bb.589:                              ;   in Loop: Header=BB943_215 Depth=1
	v_bfe_u32 v59, v38, 16, 7
	v_cmp_ne_u32_e32 vcc, s21, v59
	v_mov_b32_e32 v58, 0x7f80
	s_and_saveexec_b64 s[16:17], vcc
	s_cbranch_execz .LBB943_591
; %bb.590:                              ;   in Loop: Header=BB943_215 Depth=1
	v_and_b32_e32 v58, 7, v40
	v_ffbh_u32_e32 v60, v58
	v_min_u32_e32 v63, 32, v60
	v_subrev_u32_e32 v60, 28, v63
	v_lshlrev_b64 v[60:61], v60, v[40:41]
	v_lshrrev_b32_e32 v62, 3, v59
	v_sub_u32_e32 v61, 29, v63
	v_and_b32_e32 v60, 7, v60
	v_cmp_gt_u32_e32 vcc, 8, v59
	v_cndmask_b32_e32 v59, v62, v61, vcc
	v_cndmask_b32_e32 v58, v58, v60, vcc
	v_lshlrev_b32_e32 v40, 24, v40
	v_lshlrev_b32_e32 v58, 20, v58
	v_and_b32_e32 v40, 0x80000000, v40
	v_lshl_add_u32 v59, v59, 23, v56
	v_or3_b32 v40, v40, v59, v58
	v_lshrrev_b32_e32 v58, 16, v40
.LBB943_591:                            ;   in Loop: Header=BB943_215 Depth=1
	s_or_b64 exec, exec, s[16:17]
.LBB943_592:                            ;   in Loop: Header=BB943_215 Depth=1
	s_or_b64 exec, exec, s[14:15]
.LBB943_593:                            ;   in Loop: Header=BB943_215 Depth=1
	s_or_b64 exec, exec, s[12:13]
	v_cmp_lt_u32_e32 vcc, s22, v38
	v_mov_b32_e32 v59, 0
	s_and_saveexec_b64 s[12:13], vcc
	s_cbranch_execz .LBB943_214
; %bb.594:                              ;   in Loop: Header=BB943_215 Depth=1
	v_lshrrev_b32_e32 v40, 24, v38
	v_cmp_ne_u32_e32 vcc, s9, v40
	v_mov_b32_e32 v59, 0xffff8000
	s_and_saveexec_b64 s[14:15], vcc
	s_cbranch_execz .LBB943_213
; %bb.595:                              ;   in Loop: Header=BB943_215 Depth=1
	v_bfe_u32 v38, v38, 24, 7
	v_cmp_ne_u32_e32 vcc, s21, v38
	v_mov_b32_e32 v59, 0x7f80
	s_and_saveexec_b64 s[16:17], vcc
	s_cbranch_execz .LBB943_212
; %bb.596:                              ;   in Loop: Header=BB943_215 Depth=1
	v_and_b32_e32 v59, 7, v40
	v_ffbh_u32_e32 v60, v59
	v_min_u32_e32 v63, 32, v60
	v_subrev_u32_e32 v60, 28, v63
	v_lshlrev_b64 v[60:61], v60, v[40:41]
	v_lshrrev_b32_e32 v62, 3, v38
	v_sub_u32_e32 v61, 29, v63
	v_and_b32_e32 v60, 7, v60
	v_cmp_gt_u32_e32 vcc, 8, v38
	v_cndmask_b32_e32 v38, v62, v61, vcc
	v_cndmask_b32_e32 v59, v59, v60, vcc
	v_lshlrev_b32_e32 v40, 24, v40
	v_lshlrev_b32_e32 v59, 20, v59
	v_and_b32_e32 v40, 0x80000000, v40
	v_lshl_add_u32 v38, v38, 23, v56
	v_or3_b32 v38, v40, v38, v59
	v_lshrrev_b32_e32 v59, 16, v38
	s_branch .LBB943_212
.LBB943_597:
	s_barrier
	buffer_load_dword v2, off, s[0:3], 0 offset:320
	buffer_load_dword v5, off, s[0:3], 0 offset:332
	;; [unrolled: 1-line block ×4, first 2 shown]
	v_cmp_gt_u32_e32 vcc, 64, v0
	v_cmp_gt_u32_e64 s[4:5], 32, v45
	s_and_b64 s[4:5], vcc, s[4:5]
	s_waitcnt vmcnt(0)
	ds_write2st64_b64 v53, v[2:3], v[4:5] offset1:1
	s_waitcnt lgkmcnt(0)
	s_barrier
	s_and_saveexec_b64 s[6:7], s[4:5]
	s_cbranch_execz .LBB943_599
; %bb.598:
	s_mul_i32 s4, s18, s8
	s_lshl_b32 s6, s48, 7
	s_mul_hi_u32 s5, s4, s6
	s_mul_i32 s4, s4, s6
	v_lshlrev_b32_e32 v4, 6, v41
	s_lshl_b64 s[4:5], s[4:5], 1
	v_lshl_or_b32 v0, v0, 10, v4
	s_add_u32 s7, s50, s4
	v_lshlrev_b32_e32 v2, 5, v39
	v_and_b32_e32 v3, 16, v43
	v_and_b32_e32 v0, 0x1a00, v0
	s_addc_u32 s8, s51, s5
	s_lshl_b32 s4, s26, 7
	s_mov_b32 s5, 0
	v_or3_b32 v0, v0, v2, v3
	s_lshl_b64 s[4:5], s[4:5], 1
	ds_read_b128 v[2:5], v0
	s_add_u32 s7, s7, s4
	v_or_b32_e32 v0, s27, v39
	s_addc_u32 s8, s8, s5
	v_mad_u64_u32 v[6:7], s[4:5], s6, v0, 0
	v_lshlrev_b64 v[6:7], 1, v[6:7]
	v_mov_b32_e32 v0, s8
	v_add_co_u32_e32 v6, vcc, s7, v6
	v_addc_co_u32_e32 v7, vcc, v0, v7, vcc
	v_add_co_u32_e32 v0, vcc, v6, v1
	v_addc_co_u32_e32 v1, vcc, 0, v7, vcc
	s_waitcnt lgkmcnt(0)
	global_store_dwordx4 v[0:1], v[2:5], off
.LBB943_599:
	s_endpgm
	.section	.rodata,"a",@progbits
	.p2align	6, 0x0
	.amdhsa_kernel _Z39paged_attention_ll4mi_QKV_mfma16_kernelI14__hip_bfloat16hLN4vllm18Fp8KVCacheDataTypeE1ES0_Li32ELi128ELi256ELb1ELi2EL8MFMAType0EEvPKT_PKT0_S9_ifPKiSB_SB_iPKfiiiPfSE_PS4_PT2_iSD_SD_
		.amdhsa_group_segment_fixed_size 8192
		.amdhsa_private_segment_fixed_size 352
		.amdhsa_kernarg_size 400
		.amdhsa_user_sgpr_count 8
		.amdhsa_user_sgpr_private_segment_buffer 1
		.amdhsa_user_sgpr_dispatch_ptr 0
		.amdhsa_user_sgpr_queue_ptr 0
		.amdhsa_user_sgpr_kernarg_segment_ptr 1
		.amdhsa_user_sgpr_dispatch_id 0
		.amdhsa_user_sgpr_flat_scratch_init 1
		.amdhsa_user_sgpr_kernarg_preload_length 0
		.amdhsa_user_sgpr_kernarg_preload_offset 0
		.amdhsa_user_sgpr_private_segment_size 0
		.amdhsa_uses_dynamic_stack 0
		.amdhsa_system_sgpr_private_segment_wavefront_offset 1
		.amdhsa_system_sgpr_workgroup_id_x 1
		.amdhsa_system_sgpr_workgroup_id_y 1
		.amdhsa_system_sgpr_workgroup_id_z 1
		.amdhsa_system_sgpr_workgroup_info 0
		.amdhsa_system_vgpr_workitem_id 0
		.amdhsa_next_free_vgpr 82
		.amdhsa_next_free_sgpr 53
		.amdhsa_accum_offset 84
		.amdhsa_reserve_vcc 1
		.amdhsa_reserve_flat_scratch 0
		.amdhsa_float_round_mode_32 0
		.amdhsa_float_round_mode_16_64 0
		.amdhsa_float_denorm_mode_32 3
		.amdhsa_float_denorm_mode_16_64 3
		.amdhsa_dx10_clamp 1
		.amdhsa_ieee_mode 1
		.amdhsa_fp16_overflow 0
		.amdhsa_tg_split 0
		.amdhsa_exception_fp_ieee_invalid_op 0
		.amdhsa_exception_fp_denorm_src 0
		.amdhsa_exception_fp_ieee_div_zero 0
		.amdhsa_exception_fp_ieee_overflow 0
		.amdhsa_exception_fp_ieee_underflow 0
		.amdhsa_exception_fp_ieee_inexact 0
		.amdhsa_exception_int_div_zero 0
	.end_amdhsa_kernel
	.section	.text._Z39paged_attention_ll4mi_QKV_mfma16_kernelI14__hip_bfloat16hLN4vllm18Fp8KVCacheDataTypeE1ES0_Li32ELi128ELi256ELb1ELi2EL8MFMAType0EEvPKT_PKT0_S9_ifPKiSB_SB_iPKfiiiPfSE_PS4_PT2_iSD_SD_,"axG",@progbits,_Z39paged_attention_ll4mi_QKV_mfma16_kernelI14__hip_bfloat16hLN4vllm18Fp8KVCacheDataTypeE1ES0_Li32ELi128ELi256ELb1ELi2EL8MFMAType0EEvPKT_PKT0_S9_ifPKiSB_SB_iPKfiiiPfSE_PS4_PT2_iSD_SD_,comdat
.Lfunc_end943:
	.size	_Z39paged_attention_ll4mi_QKV_mfma16_kernelI14__hip_bfloat16hLN4vllm18Fp8KVCacheDataTypeE1ES0_Li32ELi128ELi256ELb1ELi2EL8MFMAType0EEvPKT_PKT0_S9_ifPKiSB_SB_iPKfiiiPfSE_PS4_PT2_iSD_SD_, .Lfunc_end943-_Z39paged_attention_ll4mi_QKV_mfma16_kernelI14__hip_bfloat16hLN4vllm18Fp8KVCacheDataTypeE1ES0_Li32ELi128ELi256ELb1ELi2EL8MFMAType0EEvPKT_PKT0_S9_ifPKiSB_SB_iPKfiiiPfSE_PS4_PT2_iSD_SD_
                                        ; -- End function
	.section	.AMDGPU.csdata,"",@progbits
; Kernel info:
; codeLenInByte = 22452
; NumSgprs: 57
; NumVgprs: 82
; NumAgprs: 0
; TotalNumVgprs: 82
; ScratchSize: 352
; MemoryBound: 0
; FloatMode: 240
; IeeeMode: 1
; LDSByteSize: 8192 bytes/workgroup (compile time only)
; SGPRBlocks: 7
; VGPRBlocks: 10
; NumSGPRsForWavesPerEU: 57
; NumVGPRsForWavesPerEU: 82
; AccumOffset: 84
; Occupancy: 5
; WaveLimiterHint : 1
; COMPUTE_PGM_RSRC2:SCRATCH_EN: 1
; COMPUTE_PGM_RSRC2:USER_SGPR: 8
; COMPUTE_PGM_RSRC2:TRAP_HANDLER: 0
; COMPUTE_PGM_RSRC2:TGID_X_EN: 1
; COMPUTE_PGM_RSRC2:TGID_Y_EN: 1
; COMPUTE_PGM_RSRC2:TGID_Z_EN: 1
; COMPUTE_PGM_RSRC2:TIDIG_COMP_CNT: 0
; COMPUTE_PGM_RSRC3_GFX90A:ACCUM_OFFSET: 20
; COMPUTE_PGM_RSRC3_GFX90A:TG_SPLIT: 0
	.section	.text._Z39paged_attention_ll4mi_QKV_mfma16_kernelI14__hip_bfloat16hLN4vllm18Fp8KVCacheDataTypeE1ES0_Li32ELi128ELi256ELb1ELi3EL8MFMAType0EEvPKT_PKT0_S9_ifPKiSB_SB_iPKfiiiPfSE_PS4_PT2_iSD_SD_,"axG",@progbits,_Z39paged_attention_ll4mi_QKV_mfma16_kernelI14__hip_bfloat16hLN4vllm18Fp8KVCacheDataTypeE1ES0_Li32ELi128ELi256ELb1ELi3EL8MFMAType0EEvPKT_PKT0_S9_ifPKiSB_SB_iPKfiiiPfSE_PS4_PT2_iSD_SD_,comdat
	.protected	_Z39paged_attention_ll4mi_QKV_mfma16_kernelI14__hip_bfloat16hLN4vllm18Fp8KVCacheDataTypeE1ES0_Li32ELi128ELi256ELb1ELi3EL8MFMAType0EEvPKT_PKT0_S9_ifPKiSB_SB_iPKfiiiPfSE_PS4_PT2_iSD_SD_ ; -- Begin function _Z39paged_attention_ll4mi_QKV_mfma16_kernelI14__hip_bfloat16hLN4vllm18Fp8KVCacheDataTypeE1ES0_Li32ELi128ELi256ELb1ELi3EL8MFMAType0EEvPKT_PKT0_S9_ifPKiSB_SB_iPKfiiiPfSE_PS4_PT2_iSD_SD_
	.globl	_Z39paged_attention_ll4mi_QKV_mfma16_kernelI14__hip_bfloat16hLN4vllm18Fp8KVCacheDataTypeE1ES0_Li32ELi128ELi256ELb1ELi3EL8MFMAType0EEvPKT_PKT0_S9_ifPKiSB_SB_iPKfiiiPfSE_PS4_PT2_iSD_SD_
	.p2align	8
	.type	_Z39paged_attention_ll4mi_QKV_mfma16_kernelI14__hip_bfloat16hLN4vllm18Fp8KVCacheDataTypeE1ES0_Li32ELi128ELi256ELb1ELi3EL8MFMAType0EEvPKT_PKT0_S9_ifPKiSB_SB_iPKfiiiPfSE_PS4_PT2_iSD_SD_,@function
_Z39paged_attention_ll4mi_QKV_mfma16_kernelI14__hip_bfloat16hLN4vllm18Fp8KVCacheDataTypeE1ES0_Li32ELi128ELi256ELb1ELi3EL8MFMAType0EEvPKT_PKT0_S9_ifPKiSB_SB_iPKfiiiPfSE_PS4_PT2_iSD_SD_: ; @_Z39paged_attention_ll4mi_QKV_mfma16_kernelI14__hip_bfloat16hLN4vllm18Fp8KVCacheDataTypeE1ES0_Li32ELi128ELi256ELb1ELi3EL8MFMAType0EEvPKT_PKT0_S9_ifPKiSB_SB_iPKfiiiPfSE_PS4_PT2_iSD_SD_
; %bb.0:
	s_load_dwordx2 s[6:7], s[4:5], 0x30
	s_add_u32 s0, s0, s11
	s_addc_u32 s1, s1, 0
	s_mov_b32 s26, s9
	s_mov_b64 s[14:15], 0
	s_waitcnt lgkmcnt(0)
	s_cmp_lg_u64 s[6:7], 0
	s_cselect_b64 s[12:13], -1, 0
	s_and_b64 vcc, exec, s[12:13]
	s_cbranch_vccz .LBB944_7
; %bb.1:
	s_add_i32 s16, s8, 1
	s_mov_b32 s17, 0
	s_lshl_b64 s[18:19], s[16:17], 2
	s_add_u32 s18, s6, s18
	s_mov_b32 s9, s17
	s_addc_u32 s19, s7, s19
	s_lshl_b64 s[16:17], s[8:9], 2
	s_add_u32 s16, s6, s16
	s_addc_u32 s17, s7, s17
	s_load_dword s11, s[18:19], 0x0
	s_load_dword s20, s[16:17], 0x0
	s_waitcnt lgkmcnt(0)
	s_sub_i32 s11, s11, s20
	s_cmp_eq_u32 s11, 1
	s_cselect_b64 s[16:17], -1, 0
	s_andn2_b64 vcc, exec, s[14:15]
	s_cbranch_vccnz .LBB944_3
.LBB944_2:
	s_mov_b32 s9, 0
	s_mov_b64 s[16:17], -1
.LBB944_3:
	s_andn2_b64 vcc, exec, s[16:17]
	s_cbranch_vccnz .LBB944_599
; %bb.4:
	s_load_dwordx2 s[16:17], s[4:5], 0x28
	s_lshl_b64 s[14:15], s[8:9], 2
	s_waitcnt lgkmcnt(0)
	s_add_u32 s16, s16, s14
	s_addc_u32 s17, s17, s15
	s_load_dword s33, s[16:17], 0x0
	s_lshl_b32 s20, s26, 8
	s_waitcnt lgkmcnt(0)
	s_cmp_ge_i32 s20, s33
	s_cbranch_scc1 .LBB944_599
; %bb.5:
	s_add_i32 s18, s33, 31
	s_load_dwordx2 s[16:17], s[4:5], 0x20
	s_load_dword s11, s[4:5], 0x38
	s_ashr_i32 s19, s18, 31
	v_and_b32_e32 v1, 0xcf, v0
	s_lshr_b32 s19, s19, 27
	v_add_u32_e32 v1, s20, v1
	s_add_i32 s18, s18, s19
	v_ashrrev_i32_e32 v2, 31, v1
	s_ashr_i32 s23, s18, 5
	v_lshrrev_b32_e32 v4, 27, v2
	s_add_i32 s23, s23, -1
	v_add_u32_e32 v2, v1, v4
	s_waitcnt lgkmcnt(0)
	s_mul_i32 s18, s8, s11
	s_mov_b32 s19, 0
	v_ashrrev_i32_e32 v2, 5, v2
	v_mov_b32_e32 v5, s23
	v_cmp_gt_i32_e32 vcc, s33, v1
	s_lshl_b64 s[18:19], s[18:19], 2
	v_cndmask_b32_e32 v2, v5, v2, vcc
	s_add_u32 s21, s16, s18
	v_ashrrev_i32_e32 v3, 31, v2
	s_addc_u32 s22, s17, s19
	v_lshlrev_b64 v[2:3], 2, v[2:3]
	v_mov_b32_e32 v7, s22
	v_add_co_u32_e32 v6, vcc, s21, v2
	v_or_b32_e32 v2, 16, v1
	v_addc_co_u32_e32 v7, vcc, v7, v3, vcc
	v_add_u32_e32 v3, v2, v4
	v_ashrrev_i32_e32 v3, 5, v3
	v_cmp_gt_i32_e32 vcc, s33, v2
	v_cndmask_b32_e32 v2, v5, v3, vcc
	v_ashrrev_i32_e32 v3, 31, v2
	v_lshlrev_b64 v[2:3], 2, v[2:3]
	v_mov_b32_e32 v9, s22
	v_add_co_u32_e32 v8, vcc, s21, v2
	v_or_b32_e32 v2, 32, v1
	v_addc_co_u32_e32 v9, vcc, v9, v3, vcc
	v_add_u32_e32 v3, v2, v4
	v_ashrrev_i32_e32 v3, 5, v3
	v_cmp_gt_i32_e32 vcc, s33, v2
	v_cndmask_b32_e32 v2, v5, v3, vcc
	v_ashrrev_i32_e32 v3, 31, v2
	;; [unrolled: 10-line block ×3, first 2 shown]
	v_lshlrev_b64 v[2:3], 2, v[2:3]
	v_mov_b32_e32 v1, s22
	v_add_co_u32_e32 v12, vcc, s21, v2
	v_addc_co_u32_e32 v13, vcc, v1, v3, vcc
	global_load_dword v5, v[6:7], off
	global_load_dword v4, v[8:9], off
	;; [unrolled: 1-line block ×4, first 2 shown]
	s_load_dwordx2 s[16:17], s[4:5], 0x8
	s_andn2_b64 vcc, exec, s[12:13]
	s_cbranch_vccnz .LBB944_8
; %bb.6:
	s_add_u32 s6, s6, s14
	s_addc_u32 s7, s7, s15
	s_load_dword s11, s[6:7], 0x0
	s_branch .LBB944_9
.LBB944_7:
	s_mov_b64 s[16:17], 0
	s_branch .LBB944_2
.LBB944_8:
	s_mov_b32 s11, s8
.LBB944_9:
	s_load_dwordx2 s[6:7], s[4:5], 0x10
	s_load_dwordx4 s[12:15], s[4:5], 0x48
	v_lshrrev_b32_e32 v27, 6, v0
	v_bfe_u32 v41, v0, 4, 2
	v_and_b32_e32 v43, 15, v0
	s_mul_i32 s27, s10, 3
	v_lshl_or_b32 v6, v27, 2, v41
	v_lshlrev_b32_e32 v1, 3, v43
	v_add_u32_e32 v39, s27, v41
	v_cmp_gt_u32_e32 vcc, 3, v6
	v_lshlrev_b32_e32 v1, 1, v1
	v_lshlrev_b32_e32 v45, 4, v0
	s_and_saveexec_b64 s[18:19], vcc
	s_cbranch_execz .LBB944_11
; %bb.10:
	s_load_dwordx2 s[24:25], s[4:5], 0x0
	s_waitcnt lgkmcnt(0)
	s_ashr_i32 s15, s12, 31
	s_mul_hi_u32 s28, s11, s12
	s_mul_i32 s15, s11, s15
	s_add_i32 s29, s28, s15
	s_mul_i32 s28, s11, s12
	s_lshl_b64 s[28:29], s[28:29], 1
	v_lshlrev_b32_e32 v8, 7, v39
	s_add_u32 s11, s24, s28
	v_ashrrev_i32_e32 v9, 31, v8
	s_addc_u32 s12, s25, s29
	v_lshlrev_b64 v[8:9], 1, v[8:9]
	v_mov_b32_e32 v7, s12
	v_add_co_u32_e32 v8, vcc, s11, v8
	v_addc_co_u32_e32 v7, vcc, v7, v9, vcc
	v_add_co_u32_e32 v8, vcc, v8, v1
	v_addc_co_u32_e32 v9, vcc, 0, v7, vcc
	global_load_dwordx4 v[8:11], v[8:9], off
	v_lshlrev_b32_e32 v12, 8, v0
	v_lshlrev_b32_e32 v7, 8, v43
	v_and_b32_e32 v12, 0x600, v12
	s_movk_i32 s11, 0x800
	v_and_or_b32 v7, v7, s11, v12
	v_lshlrev_b32_e32 v6, 5, v6
	v_and_b32_e32 v12, 16, v45
	v_or3_b32 v6, v7, v6, v12
	s_waitcnt vmcnt(0)
	ds_write_b128 v6, v[8:11]
.LBB944_11:
	s_or_b64 exec, exec, s[18:19]
	s_waitcnt lgkmcnt(0)
	s_mul_i32 s14, s10, s14
	s_add_u32 s10, s16, s14
	s_addc_u32 s11, s17, 0
	v_pk_mov_b32 v[6:7], s[10:11], s[10:11] op_sel:[0,1]
	s_waitcnt vmcnt(3)
	v_mad_i64_i32 v[8:9], s[10:11], v5, s13, v[6:7]
	v_lshlrev_b32_e32 v11, 4, v43
	v_and_b32_e32 v18, 48, v0
	v_add_co_u32_e32 v5, vcc, v8, v11
	v_lshlrev_b32_e32 v10, 5, v18
	v_addc_co_u32_e32 v9, vcc, 0, v9, vcc
	v_add_co_u32_e32 v8, vcc, v5, v10
	v_addc_co_u32_e32 v9, vcc, 0, v9, vcc
	s_load_dwordx2 s[48:49], s[4:5], 0x94
	s_waitcnt lgkmcnt(0)
	s_barrier
	global_load_dwordx4 v[20:23], v[8:9], off
	global_load_dwordx4 v[28:31], v[8:9], off offset:2048
	s_waitcnt vmcnt(4)
	v_mad_i64_i32 v[4:5], s[10:11], v4, s13, v[6:7]
	v_or_b32_e32 v8, 0x100, v11
	v_add_co_u32_e32 v4, vcc, v4, v8
	v_addc_co_u32_e32 v5, vcc, 0, v5, vcc
	v_add_co_u32_e32 v4, vcc, v4, v10
	v_addc_co_u32_e32 v5, vcc, 0, v5, vcc
	global_load_dwordx4 v[32:35], v[4:5], off
	global_load_dwordx4 v[46:49], v[4:5], off offset:2048
	s_waitcnt vmcnt(5)
	v_mad_i64_i32 v[4:5], s[10:11], v3, s13, v[6:7]
	v_add_co_u32_e32 v3, vcc, v4, v11
	v_addc_co_u32_e32 v5, vcc, 0, v5, vcc
	v_add_co_u32_e32 v4, vcc, v3, v10
	v_addc_co_u32_e32 v5, vcc, 0, v5, vcc
	s_waitcnt vmcnt(4)
	v_mad_i64_i32 v[2:3], s[10:11], v2, s13, v[6:7]
	v_add_co_u32_e32 v2, vcc, v2, v8
	v_addc_co_u32_e32 v3, vcc, 0, v3, vcc
	v_add_co_u32_e32 v2, vcc, v2, v10
	v_addc_co_u32_e32 v3, vcc, 0, v3, vcc
	global_load_dwordx4 v[50:53], v[4:5], off
	global_load_dwordx4 v[54:57], v[4:5], off offset:2048
	global_load_dwordx4 v[58:61], v[2:3], off
	global_load_dwordx4 v[62:65], v[2:3], off offset:2048
	v_mul_lo_u16_e32 v2, 0x56, v43
	v_mov_b32_e32 v3, 3
	v_mul_lo_u16_sdwa v2, v2, v3 dst_sel:DWORD dst_unused:UNUSED_PAD src0_sel:BYTE_1 src1_sel:DWORD
	v_mov_b32_e32 v4, 5
	v_sub_u16_e32 v2, v43, v2
	v_lshlrev_b32_sdwa v2, v4, v2 dst_sel:DWORD dst_unused:UNUSED_PAD src0_sel:DWORD src1_sel:BYTE_0
	v_lshl_add_u32 v14, v41, 9, v2
	s_load_dwordx2 s[50:51], s[4:5], 0x68
	s_load_dwordx4 s[44:47], s[4:5], 0x58
	ds_read_b128 v[2:5], v14
	ds_read_b128 v[6:9], v14 offset:16
	ds_read_b128 v[10:13], v14 offset:2048
	;; [unrolled: 1-line block ×3, first 2 shown]
	s_mov_b32 s12, 0
	v_cmp_gt_u32_e32 vcc, 3, v43
	s_waitcnt vmcnt(7)
	buffer_store_dword v23, off, s[0:3], 0 offset:12
	buffer_store_dword v22, off, s[0:3], 0 offset:8
	;; [unrolled: 1-line block ×3, first 2 shown]
	buffer_store_dword v20, off, s[0:3], 0
	s_waitcnt vmcnt(10)
	buffer_store_dword v31, off, s[0:3], 0 offset:28
	buffer_store_dword v30, off, s[0:3], 0 offset:24
	buffer_store_dword v29, off, s[0:3], 0 offset:20
	buffer_store_dword v28, off, s[0:3], 0 offset:16
	s_waitcnt vmcnt(13)
	buffer_store_dword v35, off, s[0:3], 0 offset:44
	buffer_store_dword v34, off, s[0:3], 0 offset:40
	buffer_store_dword v33, off, s[0:3], 0 offset:36
	buffer_store_dword v32, off, s[0:3], 0 offset:32
	;; [unrolled: 5-line block ×7, first 2 shown]
	v_mov_b32_e32 v35, 0
	v_mov_b32_e32 v31, 0
	s_and_saveexec_b64 s[10:11], vcc
	s_cbranch_execz .LBB944_13
; %bb.12:
	s_load_dwordx2 s[16:17], s[4:5], 0x40
	v_add_u32_e32 v20, s27, v43
	v_ashrrev_i32_e32 v21, 31, v20
	v_lshlrev_b64 v[20:21], 2, v[20:21]
	s_waitcnt lgkmcnt(0)
	v_mov_b32_e32 v19, s17
	v_add_co_u32_e32 v20, vcc, s16, v20
	v_addc_co_u32_e32 v21, vcc, v19, v21, vcc
	global_load_dword v31, v[20:21], off
.LBB944_13:
	s_or_b64 exec, exec, s[10:11]
	s_ashr_i32 s10, s20, 31
	v_or_b32_e32 v24, s20, v18
	s_lshr_b32 s10, s10, 27
	v_add_u32_e32 v18, s10, v24
	v_ashrrev_i32_e32 v18, 5, v18
	v_mov_b32_e32 v25, s23
	v_cmp_gt_i32_e32 vcc, s33, v24
	v_cndmask_b32_e32 v18, v25, v18, vcc
	v_ashrrev_i32_e32 v19, 31, v18
	v_lshlrev_b64 v[18:19], 2, v[18:19]
	v_mov_b32_e32 v20, s22
	v_add_co_u32_e32 v18, vcc, s21, v18
	v_addc_co_u32_e32 v19, vcc, v20, v19, vcc
	v_or_b32_e32 v20, 64, v24
	v_add_u32_e32 v21, s10, v20
	v_ashrrev_i32_e32 v21, 5, v21
	v_cmp_gt_i32_e32 vcc, s33, v20
	v_cndmask_b32_e32 v20, v25, v21, vcc
	v_ashrrev_i32_e32 v21, 31, v20
	v_lshlrev_b64 v[20:21], 2, v[20:21]
	v_mov_b32_e32 v22, s22
	v_add_co_u32_e32 v20, vcc, s21, v20
	v_addc_co_u32_e32 v21, vcc, v22, v21, vcc
	v_or_b32_e32 v22, 0x80, v24
	v_add_u32_e32 v23, s10, v22
	v_ashrrev_i32_e32 v23, 5, v23
	v_cmp_gt_i32_e32 vcc, s33, v22
	v_cndmask_b32_e32 v22, v25, v23, vcc
	v_ashrrev_i32_e32 v23, 31, v22
	v_lshlrev_b64 v[22:23], 2, v[22:23]
	v_mov_b32_e32 v26, s22
	v_add_co_u32_e32 v22, vcc, s21, v22
	v_addc_co_u32_e32 v23, vcc, v26, v23, vcc
	global_load_dword v26, v[18:19], off
	global_load_dword v28, v[20:21], off
	;; [unrolled: 1-line block ×3, first 2 shown]
	v_or_b32_e32 v18, 0xc0, v24
	v_add_u32_e32 v19, s10, v18
	v_ashrrev_i32_e32 v19, 5, v19
	v_cmp_gt_i32_e32 vcc, s33, v18
	v_cndmask_b32_e32 v18, v25, v19, vcc
	v_ashrrev_i32_e32 v19, 31, v18
	v_lshlrev_b64 v[18:19], 2, v[18:19]
	v_mov_b32_e32 v20, s22
	v_add_co_u32_e32 v18, vcc, s21, v18
	v_addc_co_u32_e32 v19, vcc, v20, v19, vcc
	global_load_dword v32, v[18:19], off
	s_add_u32 s6, s6, s14
	v_and_b32_e32 v18, 16, v0
	s_addc_u32 s7, s7, 0
	v_lshl_or_b32 v29, v27, 4, v43
	v_mov_b32_e32 v20, s7
	v_add_co_u32_e32 v34, vcc, s6, v18
	v_lshlrev_b32_e32 v19, 5, v29
	v_addc_co_u32_e32 v36, vcc, 0, v20, vcc
	v_add_co_u32_e32 v22, vcc, v34, v19
	v_addc_co_u32_e32 v23, vcc, 0, v36, vcc
	v_or_b32_e32 v33, 0x800, v19
	s_movk_i32 s14, 0x7f
	s_mov_b32 s15, 0xffffff
	s_mov_b32 s16, 0x5040100
	v_mov_b32_e32 v37, 0x100
	v_bfrev_b32_e32 v38, 60
	s_waitcnt vmcnt(3)
	v_mad_i64_i32 v[18:19], s[6:7], v26, s13, v[22:23]
	s_waitcnt vmcnt(2)
	v_mad_i64_i32 v[24:25], s[6:7], v28, s13, v[22:23]
	global_load_dwordx4 v[18:21], v[18:19], off
	s_nop 0
	global_load_dwordx4 v[54:57], v[24:25], off
	s_waitcnt vmcnt(3)
	v_mad_i64_i32 v[24:25], s[6:7], v30, s13, v[22:23]
	s_waitcnt vmcnt(2)
	v_mad_i64_i32 v[22:23], s[6:7], v32, s13, v[22:23]
	global_load_dwordx4 v[58:61], v[24:25], off
	global_load_dwordx4 v[62:65], v[22:23], off
	v_add_co_u32_e32 v22, vcc, v34, v33
	v_addc_co_u32_e32 v23, vcc, 0, v36, vcc
	v_mad_i64_i32 v[24:25], s[6:7], v26, s13, v[22:23]
	global_load_dwordx4 v[66:69], v[24:25], off
	v_mad_i64_i32 v[24:25], s[6:7], v28, s13, v[22:23]
	global_load_dwordx4 v[70:73], v[24:25], off
	;; [unrolled: 2-line block ×4, first 2 shown]
	s_load_dword s6, s[4:5], 0x1c
	s_load_dwordx4 s[40:43], s[4:5], 0x80
	v_mov_b32_e32 v22, 0x80
	v_add_u32_e32 v47, 16, v22
	v_add_u32_e32 v46, 32, v22
	;; [unrolled: 1-line block ×3, first 2 shown]
	s_waitcnt lgkmcnt(0)
	s_load_dword s4, s[40:41], 0x0
	v_add_u32_e32 v52, 64, v22
	v_add_u32_e32 v49, 0x50, v22
	;; [unrolled: 1-line block ×4, first 2 shown]
	v_mov_b32_e32 v22, s6
	s_waitcnt lgkmcnt(0)
	v_mul_f32_e32 v22, s4, v22
	v_and_b32_e32 v33, 63, v0
	s_movk_i32 s13, 0x80
	v_mov_b32_e32 v36, 0
	v_mov_b32_e32 v24, v22
	;; [unrolled: 1-line block ×3, first 2 shown]
	s_waitcnt vmcnt(7)
	buffer_store_dword v21, off, s[0:3], 0 offset:140
	buffer_store_dword v20, off, s[0:3], 0 offset:136
	buffer_store_dword v19, off, s[0:3], 0 offset:132
	buffer_store_dword v18, off, s[0:3], 0 offset:128
	s_waitcnt vmcnt(10)
	buffer_store_dword v57, off, s[0:3], 0 offset:172
	buffer_store_dword v56, off, s[0:3], 0 offset:168
	buffer_store_dword v55, off, s[0:3], 0 offset:164
	buffer_store_dword v54, off, s[0:3], 0 offset:160
	;; [unrolled: 5-line block ×8, first 2 shown]
	s_branch .LBB944_17
.LBB944_14:                             ;   in Loop: Header=BB944_17 Depth=1
	s_or_b64 exec, exec, s[10:11]
.LBB944_15:                             ;   in Loop: Header=BB944_17 Depth=1
	s_or_b64 exec, exec, s[6:7]
.LBB944_16:                             ;   in Loop: Header=BB944_17 Depth=1
	s_or_b64 exec, exec, s[4:5]
	v_perm_b32 v55, v40, v34, s16
	v_perm_b32 v54, v23, v32, s16
	v_add_u32_e32 v26, s12, v37
	s_add_i32 s12, s12, 16
	v_mov_b32_e32 v23, v22
	v_mfma_f32_16x16x16bf16_1k v[18:21], v[54:55], v[14:15], v[18:21]
	v_perm_b32 v55, v53, v44, s16
	v_perm_b32 v54, v30, v42, s16
	s_cmp_eq_u32 s12, 64
	v_add_u32_e32 v36, 32, v36
	v_mfma_f32_16x16x16bf16_1k v[18:21], v[54:55], v[16:17], v[18:21]
	s_nop 7
	s_nop 2
	v_pk_mul_f32 v[18:19], v[24:25], v[18:19]
	v_pk_mul_f32 v[20:21], v[22:23], v[20:21]
	buffer_store_dword v19, v26, s[0:3], 0 offen offset:4
	buffer_store_dword v18, v26, s[0:3], 0 offen
	buffer_store_dword v21, v26, s[0:3], 0 offen offset:12
	buffer_store_dword v20, v26, s[0:3], 0 offen offset:8
	s_cbranch_scc1 .LBB944_207
.LBB944_17:                             ; =>This Inner Loop Header: Depth=1
	buffer_load_dword v20, v36, s[0:3], 0 offen
	buffer_load_dword v18, v36, s[0:3], 0 offen offset:4
	buffer_load_dword v28, v36, s[0:3], 0 offen offset:8
	;; [unrolled: 1-line block ×3, first 2 shown]
	v_mov_b32_e32 v19, 0
	v_mov_b32_e32 v21, 0
	s_waitcnt vmcnt(3)
	v_cmp_ne_u16_sdwa s[6:7], v20, v35 src0_sel:BYTE_0 src1_sel:DWORD
	s_and_saveexec_b64 s[4:5], s[6:7]
	s_cbranch_execz .LBB944_23
; %bb.18:                               ;   in Loop: Header=BB944_17 Depth=1
	v_cmp_ne_u16_sdwa s[10:11], v20, s13 src0_sel:BYTE_0 src1_sel:DWORD
	v_mov_b32_e32 v21, 0xffff8000
	s_and_saveexec_b64 s[6:7], s[10:11]
	s_cbranch_execz .LBB944_22
; %bb.19:                               ;   in Loop: Header=BB944_17 Depth=1
	v_and_b32_e32 v23, 0x7f, v20
	v_cmp_ne_u32_e32 vcc, s14, v23
	v_mov_b32_e32 v21, 0x7f80
	s_and_saveexec_b64 s[10:11], vcc
	s_cbranch_execz .LBB944_21
; %bb.20:                               ;   in Loop: Header=BB944_17 Depth=1
	v_and_b32_e32 v21, 7, v20
	v_ffbh_u32_e32 v32, v21
	v_min_u32_e32 v32, 32, v32
	v_subrev_u32_e32 v34, 28, v32
	v_lshlrev_b64 v[54:55], v34, v[20:21]
	v_lshrrev_b32_e32 v30, 3, v23
	v_sub_u32_e32 v32, 29, v32
	v_and_b32_e32 v34, 7, v54
	v_cmp_gt_u32_e32 vcc, 8, v23
	v_cndmask_b32_e32 v23, v30, v32, vcc
	v_cndmask_b32_e32 v21, v21, v34, vcc
	v_lshlrev_b32_e32 v30, 24, v20
	v_lshlrev_b32_e32 v21, 20, v21
	v_and_b32_e32 v30, 0x80000000, v30
	v_lshl_add_u32 v23, v23, 23, v38
	v_or3_b32 v21, v30, v23, v21
	v_lshrrev_b32_e32 v21, 16, v21
.LBB944_21:                             ;   in Loop: Header=BB944_17 Depth=1
	s_or_b64 exec, exec, s[10:11]
.LBB944_22:                             ;   in Loop: Header=BB944_17 Depth=1
	s_or_b64 exec, exec, s[6:7]
.LBB944_23:                             ;   in Loop: Header=BB944_17 Depth=1
	s_or_b64 exec, exec, s[4:5]
	v_lshrrev_b16_e32 v30, 8, v20
	v_cmp_ne_u16_e32 vcc, 0, v30
	s_and_saveexec_b64 s[4:5], vcc
	s_cbranch_execz .LBB944_29
; %bb.24:                               ;   in Loop: Header=BB944_17 Depth=1
	v_cmp_ne_u16_e32 vcc, s13, v30
	v_mov_b32_e32 v19, 0xffff8000
	s_and_saveexec_b64 s[6:7], vcc
	s_cbranch_execz .LBB944_28
; %bb.25:                               ;   in Loop: Header=BB944_17 Depth=1
	v_and_b32_e32 v23, 0x7f, v30
	v_cmp_ne_u32_e32 vcc, s14, v23
	v_mov_b32_e32 v19, 0x7f80
	s_and_saveexec_b64 s[10:11], vcc
	s_cbranch_execz .LBB944_27
; %bb.26:                               ;   in Loop: Header=BB944_17 Depth=1
	v_and_b32_e32 v19, 7, v30
	v_ffbh_u32_e32 v34, v19
	v_min_u32_e32 v34, 32, v34
	v_subrev_u32_e32 v40, 28, v34
	v_lshlrev_b64 v[54:55], v40, v[30:31]
	v_lshrrev_b32_e32 v32, 3, v23
	v_sub_u32_e32 v30, 29, v34
	v_and_b32_e32 v34, 7, v54
	v_cmp_gt_u32_e32 vcc, 8, v23
	v_cndmask_b32_e32 v23, v32, v30, vcc
	v_cndmask_b32_e32 v19, v19, v34, vcc
	v_lshlrev_b32_e32 v30, 16, v20
	v_lshlrev_b32_e32 v19, 20, v19
	v_and_b32_e32 v30, 0x80000000, v30
	v_lshl_add_u32 v23, v23, 23, v38
	v_or3_b32 v19, v30, v23, v19
	v_lshrrev_b32_e32 v19, 16, v19
.LBB944_27:                             ;   in Loop: Header=BB944_17 Depth=1
	s_or_b64 exec, exec, s[10:11]
.LBB944_28:                             ;   in Loop: Header=BB944_17 Depth=1
	s_or_b64 exec, exec, s[6:7]
.LBB944_29:                             ;   in Loop: Header=BB944_17 Depth=1
	s_or_b64 exec, exec, s[4:5]
	v_lshrrev_b32_e32 v30, 16, v20
	v_cmp_ne_u16_sdwa s[6:7], v30, v35 src0_sel:BYTE_0 src1_sel:DWORD
	v_mov_b32_e32 v32, 0
	v_mov_b32_e32 v23, 0
	s_and_saveexec_b64 s[4:5], s[6:7]
	s_cbranch_execz .LBB944_35
; %bb.30:                               ;   in Loop: Header=BB944_17 Depth=1
	v_cmp_ne_u16_sdwa s[10:11], v30, s13 src0_sel:BYTE_0 src1_sel:DWORD
	v_mov_b32_e32 v23, 0xffff8000
	s_and_saveexec_b64 s[6:7], s[10:11]
	s_cbranch_execz .LBB944_34
; %bb.31:                               ;   in Loop: Header=BB944_17 Depth=1
	v_bfe_u32 v34, v20, 16, 7
	v_cmp_ne_u32_e32 vcc, s14, v34
	v_mov_b32_e32 v23, 0x7f80
	s_and_saveexec_b64 s[10:11], vcc
	s_cbranch_execz .LBB944_33
; %bb.32:                               ;   in Loop: Header=BB944_17 Depth=1
	v_and_b32_e32 v23, 7, v30
	v_ffbh_u32_e32 v42, v23
	v_min_u32_e32 v42, 32, v42
	v_subrev_u32_e32 v44, 28, v42
	v_lshlrev_b64 v[54:55], v44, v[30:31]
	v_lshrrev_b32_e32 v40, 3, v34
	v_sub_u32_e32 v42, 29, v42
	v_and_b32_e32 v44, 7, v54
	v_cmp_gt_u32_e32 vcc, 8, v34
	v_cndmask_b32_e32 v34, v40, v42, vcc
	v_cndmask_b32_e32 v23, v23, v44, vcc
	v_lshlrev_b32_e32 v30, 24, v30
	v_lshlrev_b32_e32 v23, 20, v23
	v_and_b32_e32 v30, 0x80000000, v30
	v_lshl_add_u32 v34, v34, 23, v38
	v_or3_b32 v23, v30, v34, v23
	v_lshrrev_b32_e32 v23, 16, v23
.LBB944_33:                             ;   in Loop: Header=BB944_17 Depth=1
	s_or_b64 exec, exec, s[10:11]
.LBB944_34:                             ;   in Loop: Header=BB944_17 Depth=1
	s_or_b64 exec, exec, s[6:7]
.LBB944_35:                             ;   in Loop: Header=BB944_17 Depth=1
	s_or_b64 exec, exec, s[4:5]
	v_cmp_lt_u32_e32 vcc, s15, v20
	s_and_saveexec_b64 s[4:5], vcc
	s_cbranch_execz .LBB944_41
; %bb.36:                               ;   in Loop: Header=BB944_17 Depth=1
	v_lshrrev_b32_e32 v30, 24, v20
	v_cmp_ne_u32_e32 vcc, s13, v30
	v_mov_b32_e32 v32, 0xffff8000
	s_and_saveexec_b64 s[6:7], vcc
	s_cbranch_execz .LBB944_40
; %bb.37:                               ;   in Loop: Header=BB944_17 Depth=1
	v_bfe_u32 v20, v20, 24, 7
	v_cmp_ne_u32_e32 vcc, s14, v20
	v_mov_b32_e32 v32, 0x7f80
	s_and_saveexec_b64 s[10:11], vcc
	s_cbranch_execz .LBB944_39
; %bb.38:                               ;   in Loop: Header=BB944_17 Depth=1
	v_and_b32_e32 v32, 7, v30
	v_ffbh_u32_e32 v40, v32
	v_min_u32_e32 v40, 32, v40
	v_subrev_u32_e32 v42, 28, v40
	v_lshlrev_b64 v[54:55], v42, v[30:31]
	v_lshrrev_b32_e32 v34, 3, v20
	v_sub_u32_e32 v40, 29, v40
	v_and_b32_e32 v42, 7, v54
	v_cmp_gt_u32_e32 vcc, 8, v20
	v_cndmask_b32_e32 v20, v34, v40, vcc
	v_cndmask_b32_e32 v32, v32, v42, vcc
	v_lshlrev_b32_e32 v30, 24, v30
	v_lshlrev_b32_e32 v32, 20, v32
	v_and_b32_e32 v30, 0x80000000, v30
	v_lshl_add_u32 v20, v20, 23, v38
	v_or3_b32 v20, v30, v20, v32
	v_lshrrev_b32_e32 v32, 16, v20
.LBB944_39:                             ;   in Loop: Header=BB944_17 Depth=1
	s_or_b64 exec, exec, s[10:11]
.LBB944_40:                             ;   in Loop: Header=BB944_17 Depth=1
	s_or_b64 exec, exec, s[6:7]
.LBB944_41:                             ;   in Loop: Header=BB944_17 Depth=1
	s_or_b64 exec, exec, s[4:5]
	s_waitcnt vmcnt(2)
	v_cmp_ne_u16_sdwa s[6:7], v18, v35 src0_sel:BYTE_0 src1_sel:DWORD
	v_mov_b32_e32 v30, 0
	v_mov_b32_e32 v34, 0
	s_and_saveexec_b64 s[4:5], s[6:7]
	s_cbranch_execz .LBB944_47
; %bb.42:                               ;   in Loop: Header=BB944_17 Depth=1
	v_cmp_ne_u16_sdwa s[10:11], v18, s13 src0_sel:BYTE_0 src1_sel:DWORD
	v_mov_b32_e32 v34, 0xffff8000
	s_and_saveexec_b64 s[6:7], s[10:11]
	s_cbranch_execz .LBB944_46
; %bb.43:                               ;   in Loop: Header=BB944_17 Depth=1
	v_and_b32_e32 v20, 0x7f, v18
	v_cmp_ne_u32_e32 vcc, s14, v20
	v_mov_b32_e32 v34, 0x7f80
	s_and_saveexec_b64 s[10:11], vcc
	s_cbranch_execz .LBB944_45
; %bb.44:                               ;   in Loop: Header=BB944_17 Depth=1
	v_and_b32_e32 v34, 7, v18
	v_ffbh_u32_e32 v42, v34
	v_min_u32_e32 v42, 32, v42
	v_subrev_u32_e32 v44, 28, v42
	v_lshlrev_b64 v[54:55], v44, v[18:19]
	v_lshrrev_b32_e32 v40, 3, v20
	v_sub_u32_e32 v42, 29, v42
	v_and_b32_e32 v44, 7, v54
	v_cmp_gt_u32_e32 vcc, 8, v20
	v_cndmask_b32_e32 v20, v40, v42, vcc
	v_cndmask_b32_e32 v34, v34, v44, vcc
	v_lshlrev_b32_e32 v40, 24, v18
	v_lshlrev_b32_e32 v34, 20, v34
	v_and_b32_e32 v40, 0x80000000, v40
	v_lshl_add_u32 v20, v20, 23, v38
	v_or3_b32 v20, v40, v20, v34
	v_lshrrev_b32_e32 v34, 16, v20
.LBB944_45:                             ;   in Loop: Header=BB944_17 Depth=1
	s_or_b64 exec, exec, s[10:11]
.LBB944_46:                             ;   in Loop: Header=BB944_17 Depth=1
	s_or_b64 exec, exec, s[6:7]
.LBB944_47:                             ;   in Loop: Header=BB944_17 Depth=1
	s_or_b64 exec, exec, s[4:5]
	v_lshrrev_b16_e32 v20, 8, v18
	v_cmp_ne_u16_e32 vcc, 0, v20
	s_and_saveexec_b64 s[4:5], vcc
	s_cbranch_execz .LBB944_53
; %bb.48:                               ;   in Loop: Header=BB944_17 Depth=1
	v_cmp_ne_u16_e32 vcc, s13, v20
	v_mov_b32_e32 v30, 0xffff8000
	s_and_saveexec_b64 s[6:7], vcc
	s_cbranch_execz .LBB944_52
; %bb.49:                               ;   in Loop: Header=BB944_17 Depth=1
	v_and_b32_e32 v40, 0x7f, v20
	v_cmp_ne_u32_e32 vcc, s14, v40
	v_mov_b32_e32 v30, 0x7f80
	s_and_saveexec_b64 s[10:11], vcc
	s_cbranch_execz .LBB944_51
; %bb.50:                               ;   in Loop: Header=BB944_17 Depth=1
	v_and_b32_e32 v30, 7, v20
	v_ffbh_u32_e32 v44, v30
	v_min_u32_e32 v44, 32, v44
	v_subrev_u32_e32 v53, 28, v44
	v_lshlrev_b64 v[54:55], v53, v[20:21]
	v_lshrrev_b32_e32 v42, 3, v40
	v_sub_u32_e32 v20, 29, v44
	v_and_b32_e32 v44, 7, v54
	v_cmp_gt_u32_e32 vcc, 8, v40
	v_cndmask_b32_e32 v20, v42, v20, vcc
	v_cndmask_b32_e32 v30, v30, v44, vcc
	v_lshlrev_b32_e32 v40, 16, v18
	v_lshlrev_b32_e32 v30, 20, v30
	v_and_b32_e32 v40, 0x80000000, v40
	v_lshl_add_u32 v20, v20, 23, v38
	v_or3_b32 v20, v40, v20, v30
	v_lshrrev_b32_e32 v30, 16, v20
.LBB944_51:                             ;   in Loop: Header=BB944_17 Depth=1
	s_or_b64 exec, exec, s[10:11]
.LBB944_52:                             ;   in Loop: Header=BB944_17 Depth=1
	s_or_b64 exec, exec, s[6:7]
.LBB944_53:                             ;   in Loop: Header=BB944_17 Depth=1
	s_or_b64 exec, exec, s[4:5]
	v_lshrrev_b32_e32 v20, 16, v18
	v_cmp_ne_u16_sdwa s[6:7], v20, v35 src0_sel:BYTE_0 src1_sel:DWORD
	v_mov_b32_e32 v42, 0
	v_mov_b32_e32 v40, 0
	s_and_saveexec_b64 s[4:5], s[6:7]
	s_cbranch_execz .LBB944_59
; %bb.54:                               ;   in Loop: Header=BB944_17 Depth=1
	v_cmp_ne_u16_sdwa s[10:11], v20, s13 src0_sel:BYTE_0 src1_sel:DWORD
	v_mov_b32_e32 v40, 0xffff8000
	s_and_saveexec_b64 s[6:7], s[10:11]
	s_cbranch_execz .LBB944_58
; %bb.55:                               ;   in Loop: Header=BB944_17 Depth=1
	v_bfe_u32 v44, v18, 16, 7
	v_cmp_ne_u32_e32 vcc, s14, v44
	v_mov_b32_e32 v40, 0x7f80
	s_and_saveexec_b64 s[10:11], vcc
	s_cbranch_execz .LBB944_57
; %bb.56:                               ;   in Loop: Header=BB944_17 Depth=1
	v_and_b32_e32 v40, 7, v20
	v_ffbh_u32_e32 v54, v40
	v_min_u32_e32 v56, 32, v54
	v_subrev_u32_e32 v54, 28, v56
	v_lshlrev_b64 v[54:55], v54, v[20:21]
	v_lshrrev_b32_e32 v53, 3, v44
	v_sub_u32_e32 v55, 29, v56
	v_and_b32_e32 v54, 7, v54
	v_cmp_gt_u32_e32 vcc, 8, v44
	v_cndmask_b32_e32 v44, v53, v55, vcc
	v_cndmask_b32_e32 v40, v40, v54, vcc
	v_lshlrev_b32_e32 v20, 24, v20
	v_lshlrev_b32_e32 v40, 20, v40
	v_and_b32_e32 v20, 0x80000000, v20
	v_lshl_add_u32 v44, v44, 23, v38
	v_or3_b32 v20, v20, v44, v40
	v_lshrrev_b32_e32 v40, 16, v20
.LBB944_57:                             ;   in Loop: Header=BB944_17 Depth=1
	s_or_b64 exec, exec, s[10:11]
.LBB944_58:                             ;   in Loop: Header=BB944_17 Depth=1
	s_or_b64 exec, exec, s[6:7]
.LBB944_59:                             ;   in Loop: Header=BB944_17 Depth=1
	s_or_b64 exec, exec, s[4:5]
	v_cmp_lt_u32_e32 vcc, s15, v18
	s_and_saveexec_b64 s[4:5], vcc
	s_cbranch_execz .LBB944_65
; %bb.60:                               ;   in Loop: Header=BB944_17 Depth=1
	v_lshrrev_b32_e32 v20, 24, v18
	v_cmp_ne_u32_e32 vcc, s13, v20
	v_mov_b32_e32 v42, 0xffff8000
	s_and_saveexec_b64 s[6:7], vcc
	s_cbranch_execz .LBB944_64
; %bb.61:                               ;   in Loop: Header=BB944_17 Depth=1
	v_bfe_u32 v18, v18, 24, 7
	v_cmp_ne_u32_e32 vcc, s14, v18
	v_mov_b32_e32 v42, 0x7f80
	s_and_saveexec_b64 s[10:11], vcc
	s_cbranch_execz .LBB944_63
; %bb.62:                               ;   in Loop: Header=BB944_17 Depth=1
	v_and_b32_e32 v42, 7, v20
	v_ffbh_u32_e32 v53, v42
	v_min_u32_e32 v53, 32, v53
	v_subrev_u32_e32 v54, 28, v53
	v_lshlrev_b64 v[54:55], v54, v[20:21]
	v_lshrrev_b32_e32 v44, 3, v18
	v_sub_u32_e32 v53, 29, v53
	v_and_b32_e32 v54, 7, v54
	v_cmp_gt_u32_e32 vcc, 8, v18
	v_cndmask_b32_e32 v18, v44, v53, vcc
	v_cndmask_b32_e32 v42, v42, v54, vcc
	v_lshlrev_b32_e32 v20, 24, v20
	v_lshlrev_b32_e32 v42, 20, v42
	v_and_b32_e32 v20, 0x80000000, v20
	v_lshl_add_u32 v18, v18, 23, v38
	v_or3_b32 v18, v20, v18, v42
	v_lshrrev_b32_e32 v42, 16, v18
.LBB944_63:                             ;   in Loop: Header=BB944_17 Depth=1
	s_or_b64 exec, exec, s[10:11]
.LBB944_64:                             ;   in Loop: Header=BB944_17 Depth=1
	s_or_b64 exec, exec, s[6:7]
.LBB944_65:                             ;   in Loop: Header=BB944_17 Depth=1
	s_or_b64 exec, exec, s[4:5]
	v_perm_b32 v55, v32, v23, s16
	v_perm_b32 v54, v19, v21, s16
	s_waitcnt vmcnt(1)
	v_cmp_ne_u16_sdwa s[6:7], v28, v35 src0_sel:BYTE_0 src1_sel:DWORD
	v_mov_b32_e32 v23, 0
	v_mov_b32_e32 v32, 0
	v_mfma_f32_16x16x16bf16_1k v[18:21], v[54:55], v[2:3], 0
	v_perm_b32 v55, v42, v40, s16
	v_perm_b32 v54, v30, v34, s16
	s_nop 1
	v_mfma_f32_16x16x16bf16_1k v[18:21], v[54:55], v[4:5], v[18:21]
	s_and_saveexec_b64 s[4:5], s[6:7]
	s_cbranch_execz .LBB944_71
; %bb.66:                               ;   in Loop: Header=BB944_17 Depth=1
	v_cmp_ne_u16_sdwa s[10:11], v28, s13 src0_sel:BYTE_0 src1_sel:DWORD
	v_mov_b32_e32 v32, 0xffff8000
	s_and_saveexec_b64 s[6:7], s[10:11]
	s_cbranch_execz .LBB944_70
; %bb.67:                               ;   in Loop: Header=BB944_17 Depth=1
	v_and_b32_e32 v30, 0x7f, v28
	v_cmp_ne_u32_e32 vcc, s14, v30
	v_mov_b32_e32 v32, 0x7f80
	s_and_saveexec_b64 s[10:11], vcc
	s_cbranch_execz .LBB944_69
; %bb.68:                               ;   in Loop: Header=BB944_17 Depth=1
	v_and_b32_e32 v32, 7, v28
	v_ffbh_u32_e32 v40, v32
	v_min_u32_e32 v40, 32, v40
	v_subrev_u32_e32 v42, 28, v40
	v_lshlrev_b64 v[54:55], v42, v[28:29]
	v_lshrrev_b32_e32 v34, 3, v30
	v_sub_u32_e32 v40, 29, v40
	v_and_b32_e32 v42, 7, v54
	v_cmp_gt_u32_e32 vcc, 8, v30
	v_cndmask_b32_e32 v30, v34, v40, vcc
	v_cndmask_b32_e32 v32, v32, v42, vcc
	v_lshlrev_b32_e32 v34, 24, v28
	v_lshlrev_b32_e32 v32, 20, v32
	v_and_b32_e32 v34, 0x80000000, v34
	v_lshl_add_u32 v30, v30, 23, v38
	v_or3_b32 v30, v34, v30, v32
	v_lshrrev_b32_e32 v32, 16, v30
.LBB944_69:                             ;   in Loop: Header=BB944_17 Depth=1
	s_or_b64 exec, exec, s[10:11]
.LBB944_70:                             ;   in Loop: Header=BB944_17 Depth=1
	s_or_b64 exec, exec, s[6:7]
.LBB944_71:                             ;   in Loop: Header=BB944_17 Depth=1
	s_or_b64 exec, exec, s[4:5]
	v_lshrrev_b16_e32 v30, 8, v28
	v_cmp_ne_u16_e32 vcc, 0, v30
	s_and_saveexec_b64 s[4:5], vcc
	s_cbranch_execz .LBB944_77
; %bb.72:                               ;   in Loop: Header=BB944_17 Depth=1
	v_cmp_ne_u16_e32 vcc, s13, v30
	v_mov_b32_e32 v23, 0xffff8000
	s_and_saveexec_b64 s[6:7], vcc
	s_cbranch_execz .LBB944_76
; %bb.73:                               ;   in Loop: Header=BB944_17 Depth=1
	v_and_b32_e32 v34, 0x7f, v30
	v_cmp_ne_u32_e32 vcc, s14, v34
	v_mov_b32_e32 v23, 0x7f80
	s_and_saveexec_b64 s[10:11], vcc
	s_cbranch_execz .LBB944_75
; %bb.74:                               ;   in Loop: Header=BB944_17 Depth=1
	v_and_b32_e32 v23, 7, v30
	v_ffbh_u32_e32 v42, v23
	v_min_u32_e32 v42, 32, v42
	v_subrev_u32_e32 v44, 28, v42
	v_lshlrev_b64 v[54:55], v44, v[30:31]
	v_lshrrev_b32_e32 v40, 3, v34
	v_sub_u32_e32 v30, 29, v42
	v_and_b32_e32 v42, 7, v54
	v_cmp_gt_u32_e32 vcc, 8, v34
	v_cndmask_b32_e32 v30, v40, v30, vcc
	v_cndmask_b32_e32 v23, v23, v42, vcc
	v_lshlrev_b32_e32 v34, 16, v28
	v_lshlrev_b32_e32 v23, 20, v23
	v_and_b32_e32 v34, 0x80000000, v34
	v_lshl_add_u32 v30, v30, 23, v38
	v_or3_b32 v23, v34, v30, v23
	v_lshrrev_b32_e32 v23, 16, v23
.LBB944_75:                             ;   in Loop: Header=BB944_17 Depth=1
	s_or_b64 exec, exec, s[10:11]
.LBB944_76:                             ;   in Loop: Header=BB944_17 Depth=1
	s_or_b64 exec, exec, s[6:7]
.LBB944_77:                             ;   in Loop: Header=BB944_17 Depth=1
	s_or_b64 exec, exec, s[4:5]
	v_lshrrev_b32_e32 v30, 16, v28
	v_cmp_ne_u16_sdwa s[6:7], v30, v35 src0_sel:BYTE_0 src1_sel:DWORD
	v_mov_b32_e32 v40, 0
	v_mov_b32_e32 v34, 0
	s_and_saveexec_b64 s[4:5], s[6:7]
	s_cbranch_execz .LBB944_83
; %bb.78:                               ;   in Loop: Header=BB944_17 Depth=1
	v_cmp_ne_u16_sdwa s[10:11], v30, s13 src0_sel:BYTE_0 src1_sel:DWORD
	v_mov_b32_e32 v34, 0xffff8000
	s_and_saveexec_b64 s[6:7], s[10:11]
	s_cbranch_execz .LBB944_82
; %bb.79:                               ;   in Loop: Header=BB944_17 Depth=1
	v_bfe_u32 v42, v28, 16, 7
	v_cmp_ne_u32_e32 vcc, s14, v42
	v_mov_b32_e32 v34, 0x7f80
	s_and_saveexec_b64 s[10:11], vcc
	s_cbranch_execz .LBB944_81
; %bb.80:                               ;   in Loop: Header=BB944_17 Depth=1
	v_and_b32_e32 v34, 7, v30
	v_ffbh_u32_e32 v53, v34
	v_min_u32_e32 v53, 32, v53
	v_subrev_u32_e32 v54, 28, v53
	v_lshlrev_b64 v[54:55], v54, v[30:31]
	v_lshrrev_b32_e32 v44, 3, v42
	v_sub_u32_e32 v53, 29, v53
	v_and_b32_e32 v54, 7, v54
	v_cmp_gt_u32_e32 vcc, 8, v42
	v_cndmask_b32_e32 v42, v44, v53, vcc
	v_cndmask_b32_e32 v34, v34, v54, vcc
	v_lshlrev_b32_e32 v30, 24, v30
	v_lshlrev_b32_e32 v34, 20, v34
	v_and_b32_e32 v30, 0x80000000, v30
	v_lshl_add_u32 v42, v42, 23, v38
	v_or3_b32 v30, v30, v42, v34
	v_lshrrev_b32_e32 v34, 16, v30
.LBB944_81:                             ;   in Loop: Header=BB944_17 Depth=1
	s_or_b64 exec, exec, s[10:11]
.LBB944_82:                             ;   in Loop: Header=BB944_17 Depth=1
	s_or_b64 exec, exec, s[6:7]
.LBB944_83:                             ;   in Loop: Header=BB944_17 Depth=1
	s_or_b64 exec, exec, s[4:5]
	v_cmp_lt_u32_e32 vcc, s15, v28
	s_and_saveexec_b64 s[4:5], vcc
	s_cbranch_execz .LBB944_89
; %bb.84:                               ;   in Loop: Header=BB944_17 Depth=1
	v_lshrrev_b32_e32 v30, 24, v28
	v_cmp_ne_u32_e32 vcc, s13, v30
	v_mov_b32_e32 v40, 0xffff8000
	s_and_saveexec_b64 s[6:7], vcc
	s_cbranch_execz .LBB944_88
; %bb.85:                               ;   in Loop: Header=BB944_17 Depth=1
	v_bfe_u32 v28, v28, 24, 7
	v_cmp_ne_u32_e32 vcc, s14, v28
	v_mov_b32_e32 v40, 0x7f80
	s_and_saveexec_b64 s[10:11], vcc
	s_cbranch_execz .LBB944_87
; %bb.86:                               ;   in Loop: Header=BB944_17 Depth=1
	v_and_b32_e32 v40, 7, v30
	v_ffbh_u32_e32 v44, v40
	v_min_u32_e32 v44, 32, v44
	v_subrev_u32_e32 v53, 28, v44
	v_lshlrev_b64 v[54:55], v53, v[30:31]
	v_lshrrev_b32_e32 v42, 3, v28
	v_sub_u32_e32 v44, 29, v44
	v_and_b32_e32 v53, 7, v54
	v_cmp_gt_u32_e32 vcc, 8, v28
	v_cndmask_b32_e32 v28, v42, v44, vcc
	v_cndmask_b32_e32 v40, v40, v53, vcc
	v_lshlrev_b32_e32 v30, 24, v30
	v_lshlrev_b32_e32 v40, 20, v40
	v_and_b32_e32 v30, 0x80000000, v30
	v_lshl_add_u32 v28, v28, 23, v38
	v_or3_b32 v28, v30, v28, v40
	v_lshrrev_b32_e32 v40, 16, v28
.LBB944_87:                             ;   in Loop: Header=BB944_17 Depth=1
	s_or_b64 exec, exec, s[10:11]
.LBB944_88:                             ;   in Loop: Header=BB944_17 Depth=1
	s_or_b64 exec, exec, s[6:7]
.LBB944_89:                             ;   in Loop: Header=BB944_17 Depth=1
	s_or_b64 exec, exec, s[4:5]
	s_waitcnt vmcnt(0)
	v_cmp_ne_u16_sdwa s[6:7], v26, v35 src0_sel:BYTE_0 src1_sel:DWORD
	v_mov_b32_e32 v42, 0
	v_mov_b32_e32 v44, 0
	s_and_saveexec_b64 s[4:5], s[6:7]
	s_cbranch_execz .LBB944_95
; %bb.90:                               ;   in Loop: Header=BB944_17 Depth=1
	v_cmp_ne_u16_sdwa s[10:11], v26, s13 src0_sel:BYTE_0 src1_sel:DWORD
	v_mov_b32_e32 v44, 0xffff8000
	s_and_saveexec_b64 s[6:7], s[10:11]
	s_cbranch_execz .LBB944_94
; %bb.91:                               ;   in Loop: Header=BB944_17 Depth=1
	v_and_b32_e32 v28, 0x7f, v26
	v_cmp_ne_u32_e32 vcc, s14, v28
	v_mov_b32_e32 v44, 0x7f80
	s_and_saveexec_b64 s[10:11], vcc
	s_cbranch_execz .LBB944_93
; %bb.92:                               ;   in Loop: Header=BB944_17 Depth=1
	v_and_b32_e32 v30, 7, v26
	v_ffbh_u32_e32 v53, v30
	v_min_u32_e32 v53, 32, v53
	v_subrev_u32_e32 v54, 28, v53
	v_lshlrev_b64 v[54:55], v54, v[26:27]
	v_lshrrev_b32_e32 v44, 3, v28
	v_sub_u32_e32 v53, 29, v53
	v_and_b32_e32 v54, 7, v54
	v_cmp_gt_u32_e32 vcc, 8, v28
	v_cndmask_b32_e32 v28, v44, v53, vcc
	v_cndmask_b32_e32 v30, v30, v54, vcc
	v_lshlrev_b32_e32 v44, 24, v26
	v_lshlrev_b32_e32 v30, 20, v30
	v_and_b32_e32 v44, 0x80000000, v44
	v_lshl_add_u32 v28, v28, 23, v38
	v_or3_b32 v28, v44, v28, v30
	v_lshrrev_b32_e32 v44, 16, v28
.LBB944_93:                             ;   in Loop: Header=BB944_17 Depth=1
	s_or_b64 exec, exec, s[10:11]
.LBB944_94:                             ;   in Loop: Header=BB944_17 Depth=1
	s_or_b64 exec, exec, s[6:7]
.LBB944_95:                             ;   in Loop: Header=BB944_17 Depth=1
	s_or_b64 exec, exec, s[4:5]
	v_lshrrev_b16_e32 v28, 8, v26
	v_cmp_ne_u16_e32 vcc, 0, v28
	s_and_saveexec_b64 s[4:5], vcc
	s_cbranch_execz .LBB944_101
; %bb.96:                               ;   in Loop: Header=BB944_17 Depth=1
	v_cmp_ne_u16_e32 vcc, s13, v28
	v_mov_b32_e32 v42, 0xffff8000
	s_and_saveexec_b64 s[6:7], vcc
	s_cbranch_execz .LBB944_100
; %bb.97:                               ;   in Loop: Header=BB944_17 Depth=1
	v_and_b32_e32 v30, 0x7f, v28
	v_cmp_ne_u32_e32 vcc, s14, v30
	v_mov_b32_e32 v42, 0x7f80
	s_and_saveexec_b64 s[10:11], vcc
	s_cbranch_execz .LBB944_99
; %bb.98:                               ;   in Loop: Header=BB944_17 Depth=1
	v_and_b32_e32 v42, 7, v28
	v_ffbh_u32_e32 v54, v42
	v_min_u32_e32 v56, 32, v54
	v_subrev_u32_e32 v54, 28, v56
	v_lshlrev_b64 v[54:55], v54, v[28:29]
	v_lshrrev_b32_e32 v53, 3, v30
	v_sub_u32_e32 v28, 29, v56
	v_and_b32_e32 v54, 7, v54
	v_cmp_gt_u32_e32 vcc, 8, v30
	v_cndmask_b32_e32 v28, v53, v28, vcc
	v_cndmask_b32_e32 v30, v42, v54, vcc
	v_lshlrev_b32_e32 v42, 16, v26
	v_lshlrev_b32_e32 v30, 20, v30
	v_and_b32_e32 v42, 0x80000000, v42
	v_lshl_add_u32 v28, v28, 23, v38
	v_or3_b32 v28, v42, v28, v30
	v_lshrrev_b32_e32 v42, 16, v28
.LBB944_99:                             ;   in Loop: Header=BB944_17 Depth=1
	s_or_b64 exec, exec, s[10:11]
.LBB944_100:                            ;   in Loop: Header=BB944_17 Depth=1
	s_or_b64 exec, exec, s[6:7]
.LBB944_101:                            ;   in Loop: Header=BB944_17 Depth=1
	s_or_b64 exec, exec, s[4:5]
	v_lshrrev_b32_e32 v28, 16, v26
	v_cmp_ne_u16_sdwa s[6:7], v28, v35 src0_sel:BYTE_0 src1_sel:DWORD
	v_mov_b32_e32 v54, 0
	v_mov_b32_e32 v53, 0
	s_and_saveexec_b64 s[4:5], s[6:7]
	s_cbranch_execz .LBB944_107
; %bb.102:                              ;   in Loop: Header=BB944_17 Depth=1
	v_cmp_ne_u16_sdwa s[10:11], v28, s13 src0_sel:BYTE_0 src1_sel:DWORD
	v_mov_b32_e32 v53, 0xffff8000
	s_and_saveexec_b64 s[6:7], s[10:11]
	s_cbranch_execz .LBB944_106
; %bb.103:                              ;   in Loop: Header=BB944_17 Depth=1
	v_bfe_u32 v30, v26, 16, 7
	v_cmp_ne_u32_e32 vcc, s14, v30
	v_mov_b32_e32 v53, 0x7f80
	s_and_saveexec_b64 s[10:11], vcc
	s_cbranch_execz .LBB944_105
; %bb.104:                              ;   in Loop: Header=BB944_17 Depth=1
	v_and_b32_e32 v53, 7, v28
	v_ffbh_u32_e32 v56, v53
	v_min_u32_e32 v58, 32, v56
	v_subrev_u32_e32 v56, 28, v58
	v_lshlrev_b64 v[56:57], v56, v[28:29]
	v_lshrrev_b32_e32 v55, 3, v30
	v_sub_u32_e32 v57, 29, v58
	v_and_b32_e32 v56, 7, v56
	v_cmp_gt_u32_e32 vcc, 8, v30
	v_cndmask_b32_e32 v30, v55, v57, vcc
	v_cndmask_b32_e32 v53, v53, v56, vcc
	v_lshlrev_b32_e32 v28, 24, v28
	v_lshlrev_b32_e32 v53, 20, v53
	v_and_b32_e32 v28, 0x80000000, v28
	v_lshl_add_u32 v30, v30, 23, v38
	v_or3_b32 v28, v28, v30, v53
	v_lshrrev_b32_e32 v53, 16, v28
.LBB944_105:                            ;   in Loop: Header=BB944_17 Depth=1
	s_or_b64 exec, exec, s[10:11]
.LBB944_106:                            ;   in Loop: Header=BB944_17 Depth=1
	s_or_b64 exec, exec, s[6:7]
.LBB944_107:                            ;   in Loop: Header=BB944_17 Depth=1
	s_or_b64 exec, exec, s[4:5]
	v_cmp_lt_u32_e32 vcc, s15, v26
	s_and_saveexec_b64 s[4:5], vcc
	s_cbranch_execz .LBB944_113
; %bb.108:                              ;   in Loop: Header=BB944_17 Depth=1
	v_lshrrev_b32_e32 v28, 24, v26
	v_cmp_ne_u32_e32 vcc, s13, v28
	v_mov_b32_e32 v54, 0xffff8000
	s_and_saveexec_b64 s[6:7], vcc
	s_cbranch_execz .LBB944_112
; %bb.109:                              ;   in Loop: Header=BB944_17 Depth=1
	v_bfe_u32 v26, v26, 24, 7
	v_cmp_ne_u32_e32 vcc, s14, v26
	v_mov_b32_e32 v54, 0x7f80
	s_and_saveexec_b64 s[10:11], vcc
	s_cbranch_execz .LBB944_111
; %bb.110:                              ;   in Loop: Header=BB944_17 Depth=1
	v_and_b32_e32 v30, 7, v28
	v_ffbh_u32_e32 v54, v30
	v_min_u32_e32 v57, 32, v54
	v_subrev_u32_e32 v54, 28, v57
	v_lshlrev_b64 v[54:55], v54, v[28:29]
	v_lshrrev_b32_e32 v56, 3, v26
	v_sub_u32_e32 v55, 29, v57
	v_and_b32_e32 v54, 7, v54
	v_cmp_gt_u32_e32 vcc, 8, v26
	v_cndmask_b32_e32 v26, v56, v55, vcc
	v_cndmask_b32_e32 v30, v30, v54, vcc
	v_lshlrev_b32_e32 v28, 24, v28
	v_lshlrev_b32_e32 v30, 20, v30
	v_and_b32_e32 v28, 0x80000000, v28
	v_lshl_add_u32 v26, v26, 23, v38
	v_or3_b32 v26, v28, v26, v30
	v_lshrrev_b32_e32 v54, 16, v26
.LBB944_111:                            ;   in Loop: Header=BB944_17 Depth=1
	s_or_b64 exec, exec, s[10:11]
.LBB944_112:                            ;   in Loop: Header=BB944_17 Depth=1
	s_or_b64 exec, exec, s[6:7]
.LBB944_113:                            ;   in Loop: Header=BB944_17 Depth=1
	s_or_b64 exec, exec, s[4:5]
	v_perm_b32 v56, v23, v32, s16
	buffer_load_dword v32, v36, s[0:3], 0 offen offset:16
	buffer_load_dword v30, v36, s[0:3], 0 offen offset:20
	;; [unrolled: 1-line block ×4, first 2 shown]
	v_perm_b32 v57, v40, v34, s16
	v_perm_b32 v55, v54, v53, s16
	;; [unrolled: 1-line block ×3, first 2 shown]
	v_mfma_f32_16x16x16bf16_1k v[18:21], v[56:57], v[6:7], v[18:21]
	v_mov_b32_e32 v23, 0
	v_mov_b32_e32 v40, 0
	s_waitcnt vmcnt(3)
	v_cmp_ne_u16_sdwa s[6:7], v32, v35 src0_sel:BYTE_0 src1_sel:DWORD
	v_mfma_f32_16x16x16bf16_1k v[18:21], v[54:55], v[8:9], v[18:21]
	s_and_saveexec_b64 s[4:5], s[6:7]
	s_cbranch_execz .LBB944_119
; %bb.114:                              ;   in Loop: Header=BB944_17 Depth=1
	v_cmp_ne_u16_sdwa s[10:11], v32, s13 src0_sel:BYTE_0 src1_sel:DWORD
	v_mov_b32_e32 v40, 0xffff8000
	s_and_saveexec_b64 s[6:7], s[10:11]
	s_cbranch_execz .LBB944_118
; %bb.115:                              ;   in Loop: Header=BB944_17 Depth=1
	v_and_b32_e32 v34, 0x7f, v32
	v_cmp_ne_u32_e32 vcc, s14, v34
	v_mov_b32_e32 v40, 0x7f80
	s_and_saveexec_b64 s[10:11], vcc
	s_cbranch_execz .LBB944_117
; %bb.116:                              ;   in Loop: Header=BB944_17 Depth=1
	v_and_b32_e32 v40, 7, v32
	v_ffbh_u32_e32 v44, v40
	v_min_u32_e32 v44, 32, v44
	v_subrev_u32_e32 v53, 28, v44
	v_lshlrev_b64 v[54:55], v53, v[32:33]
	v_lshrrev_b32_e32 v42, 3, v34
	v_sub_u32_e32 v44, 29, v44
	v_and_b32_e32 v53, 7, v54
	v_cmp_gt_u32_e32 vcc, 8, v34
	v_cndmask_b32_e32 v34, v42, v44, vcc
	v_cndmask_b32_e32 v40, v40, v53, vcc
	v_lshlrev_b32_e32 v42, 24, v32
	v_lshlrev_b32_e32 v40, 20, v40
	v_and_b32_e32 v42, 0x80000000, v42
	v_lshl_add_u32 v34, v34, 23, v38
	v_or3_b32 v34, v42, v34, v40
	v_lshrrev_b32_e32 v40, 16, v34
.LBB944_117:                            ;   in Loop: Header=BB944_17 Depth=1
	s_or_b64 exec, exec, s[10:11]
.LBB944_118:                            ;   in Loop: Header=BB944_17 Depth=1
	s_or_b64 exec, exec, s[6:7]
.LBB944_119:                            ;   in Loop: Header=BB944_17 Depth=1
	s_or_b64 exec, exec, s[4:5]
	v_lshrrev_b16_e32 v34, 8, v32
	v_cmp_ne_u16_e32 vcc, 0, v34
	s_and_saveexec_b64 s[4:5], vcc
	s_cbranch_execz .LBB944_125
; %bb.120:                              ;   in Loop: Header=BB944_17 Depth=1
	v_cmp_ne_u16_e32 vcc, s13, v34
	v_mov_b32_e32 v23, 0xffff8000
	s_and_saveexec_b64 s[6:7], vcc
	s_cbranch_execz .LBB944_124
; %bb.121:                              ;   in Loop: Header=BB944_17 Depth=1
	v_and_b32_e32 v42, 0x7f, v34
	v_cmp_ne_u32_e32 vcc, s14, v42
	v_mov_b32_e32 v23, 0x7f80
	s_and_saveexec_b64 s[10:11], vcc
	s_cbranch_execz .LBB944_123
; %bb.122:                              ;   in Loop: Header=BB944_17 Depth=1
	v_and_b32_e32 v23, 7, v34
	v_ffbh_u32_e32 v53, v23
	v_min_u32_e32 v53, 32, v53
	v_subrev_u32_e32 v54, 28, v53
	v_lshlrev_b64 v[54:55], v54, v[34:35]
	v_lshrrev_b32_e32 v44, 3, v42
	v_sub_u32_e32 v34, 29, v53
	v_and_b32_e32 v53, 7, v54
	v_cmp_gt_u32_e32 vcc, 8, v42
	v_cndmask_b32_e32 v34, v44, v34, vcc
	v_cndmask_b32_e32 v23, v23, v53, vcc
	v_lshlrev_b32_e32 v42, 16, v32
	v_lshlrev_b32_e32 v23, 20, v23
	v_and_b32_e32 v42, 0x80000000, v42
	v_lshl_add_u32 v34, v34, 23, v38
	v_or3_b32 v23, v42, v34, v23
	v_lshrrev_b32_e32 v23, 16, v23
.LBB944_123:                            ;   in Loop: Header=BB944_17 Depth=1
	s_or_b64 exec, exec, s[10:11]
.LBB944_124:                            ;   in Loop: Header=BB944_17 Depth=1
	s_or_b64 exec, exec, s[6:7]
.LBB944_125:                            ;   in Loop: Header=BB944_17 Depth=1
	s_or_b64 exec, exec, s[4:5]
	v_lshrrev_b32_e32 v34, 16, v32
	v_cmp_ne_u16_sdwa s[6:7], v34, v35 src0_sel:BYTE_0 src1_sel:DWORD
	v_mov_b32_e32 v44, 0
	v_mov_b32_e32 v42, 0
	s_and_saveexec_b64 s[4:5], s[6:7]
	s_cbranch_execz .LBB944_131
; %bb.126:                              ;   in Loop: Header=BB944_17 Depth=1
	v_cmp_ne_u16_sdwa s[10:11], v34, s13 src0_sel:BYTE_0 src1_sel:DWORD
	v_mov_b32_e32 v42, 0xffff8000
	s_and_saveexec_b64 s[6:7], s[10:11]
	s_cbranch_execz .LBB944_130
; %bb.127:                              ;   in Loop: Header=BB944_17 Depth=1
	v_bfe_u32 v53, v32, 16, 7
	v_cmp_ne_u32_e32 vcc, s14, v53
	v_mov_b32_e32 v42, 0x7f80
	s_and_saveexec_b64 s[10:11], vcc
	s_cbranch_execz .LBB944_129
; %bb.128:                              ;   in Loop: Header=BB944_17 Depth=1
	v_and_b32_e32 v42, 7, v34
	v_ffbh_u32_e32 v54, v42
	v_min_u32_e32 v57, 32, v54
	v_subrev_u32_e32 v54, 28, v57
	v_lshlrev_b64 v[54:55], v54, v[34:35]
	v_lshrrev_b32_e32 v56, 3, v53
	v_sub_u32_e32 v55, 29, v57
	v_and_b32_e32 v54, 7, v54
	v_cmp_gt_u32_e32 vcc, 8, v53
	v_cndmask_b32_e32 v53, v56, v55, vcc
	v_cndmask_b32_e32 v42, v42, v54, vcc
	v_lshlrev_b32_e32 v34, 24, v34
	v_lshlrev_b32_e32 v42, 20, v42
	v_and_b32_e32 v34, 0x80000000, v34
	v_lshl_add_u32 v53, v53, 23, v38
	v_or3_b32 v34, v34, v53, v42
	v_lshrrev_b32_e32 v42, 16, v34
.LBB944_129:                            ;   in Loop: Header=BB944_17 Depth=1
	s_or_b64 exec, exec, s[10:11]
.LBB944_130:                            ;   in Loop: Header=BB944_17 Depth=1
	s_or_b64 exec, exec, s[6:7]
.LBB944_131:                            ;   in Loop: Header=BB944_17 Depth=1
	s_or_b64 exec, exec, s[4:5]
	v_cmp_lt_u32_e32 vcc, s15, v32
	s_and_saveexec_b64 s[4:5], vcc
	s_cbranch_execz .LBB944_137
; %bb.132:                              ;   in Loop: Header=BB944_17 Depth=1
	v_lshrrev_b32_e32 v34, 24, v32
	v_cmp_ne_u32_e32 vcc, s13, v34
	v_mov_b32_e32 v44, 0xffff8000
	s_and_saveexec_b64 s[6:7], vcc
	s_cbranch_execz .LBB944_136
; %bb.133:                              ;   in Loop: Header=BB944_17 Depth=1
	v_bfe_u32 v32, v32, 24, 7
	v_cmp_ne_u32_e32 vcc, s14, v32
	v_mov_b32_e32 v44, 0x7f80
	s_and_saveexec_b64 s[10:11], vcc
	s_cbranch_execz .LBB944_135
; %bb.134:                              ;   in Loop: Header=BB944_17 Depth=1
	v_and_b32_e32 v44, 7, v34
	v_ffbh_u32_e32 v54, v44
	v_min_u32_e32 v56, 32, v54
	v_subrev_u32_e32 v54, 28, v56
	v_lshlrev_b64 v[54:55], v54, v[34:35]
	v_lshrrev_b32_e32 v53, 3, v32
	v_sub_u32_e32 v55, 29, v56
	v_and_b32_e32 v54, 7, v54
	v_cmp_gt_u32_e32 vcc, 8, v32
	v_cndmask_b32_e32 v32, v53, v55, vcc
	v_cndmask_b32_e32 v44, v44, v54, vcc
	v_lshlrev_b32_e32 v34, 24, v34
	v_lshlrev_b32_e32 v44, 20, v44
	v_and_b32_e32 v34, 0x80000000, v34
	v_lshl_add_u32 v32, v32, 23, v38
	v_or3_b32 v32, v34, v32, v44
	v_lshrrev_b32_e32 v44, 16, v32
.LBB944_135:                            ;   in Loop: Header=BB944_17 Depth=1
	s_or_b64 exec, exec, s[10:11]
.LBB944_136:                            ;   in Loop: Header=BB944_17 Depth=1
	s_or_b64 exec, exec, s[6:7]
.LBB944_137:                            ;   in Loop: Header=BB944_17 Depth=1
	s_or_b64 exec, exec, s[4:5]
	s_waitcnt vmcnt(2)
	v_cmp_ne_u16_sdwa s[6:7], v30, v35 src0_sel:BYTE_0 src1_sel:DWORD
	v_mov_b32_e32 v34, 0
	v_mov_b32_e32 v53, 0
	s_and_saveexec_b64 s[4:5], s[6:7]
	s_cbranch_execz .LBB944_143
; %bb.138:                              ;   in Loop: Header=BB944_17 Depth=1
	v_cmp_ne_u16_sdwa s[10:11], v30, s13 src0_sel:BYTE_0 src1_sel:DWORD
	v_mov_b32_e32 v53, 0xffff8000
	s_and_saveexec_b64 s[6:7], s[10:11]
	s_cbranch_execz .LBB944_142
; %bb.139:                              ;   in Loop: Header=BB944_17 Depth=1
	v_and_b32_e32 v32, 0x7f, v30
	v_cmp_ne_u32_e32 vcc, s14, v32
	v_mov_b32_e32 v53, 0x7f80
	s_and_saveexec_b64 s[10:11], vcc
	s_cbranch_execz .LBB944_141
; %bb.140:                              ;   in Loop: Header=BB944_17 Depth=1
	v_and_b32_e32 v53, 7, v30
	v_ffbh_u32_e32 v54, v53
	v_min_u32_e32 v57, 32, v54
	v_subrev_u32_e32 v54, 28, v57
	v_lshlrev_b64 v[54:55], v54, v[30:31]
	v_lshrrev_b32_e32 v56, 3, v32
	v_sub_u32_e32 v55, 29, v57
	v_and_b32_e32 v54, 7, v54
	v_cmp_gt_u32_e32 vcc, 8, v32
	v_cndmask_b32_e32 v32, v56, v55, vcc
	v_cndmask_b32_e32 v53, v53, v54, vcc
	v_lshlrev_b32_e32 v54, 24, v30
	v_lshlrev_b32_e32 v53, 20, v53
	v_and_b32_e32 v54, 0x80000000, v54
	v_lshl_add_u32 v32, v32, 23, v38
	v_or3_b32 v32, v54, v32, v53
	v_lshrrev_b32_e32 v53, 16, v32
.LBB944_141:                            ;   in Loop: Header=BB944_17 Depth=1
	s_or_b64 exec, exec, s[10:11]
.LBB944_142:                            ;   in Loop: Header=BB944_17 Depth=1
	s_or_b64 exec, exec, s[6:7]
.LBB944_143:                            ;   in Loop: Header=BB944_17 Depth=1
	s_or_b64 exec, exec, s[4:5]
	v_lshrrev_b16_e32 v32, 8, v30
	v_cmp_ne_u16_e32 vcc, 0, v32
	s_and_saveexec_b64 s[4:5], vcc
	s_cbranch_execz .LBB944_149
; %bb.144:                              ;   in Loop: Header=BB944_17 Depth=1
	v_cmp_ne_u16_e32 vcc, s13, v32
	v_mov_b32_e32 v34, 0xffff8000
	s_and_saveexec_b64 s[6:7], vcc
	s_cbranch_execz .LBB944_148
; %bb.145:                              ;   in Loop: Header=BB944_17 Depth=1
	v_and_b32_e32 v54, 0x7f, v32
	v_cmp_ne_u32_e32 vcc, s14, v54
	v_mov_b32_e32 v34, 0x7f80
	s_and_saveexec_b64 s[10:11], vcc
	s_cbranch_execz .LBB944_147
; %bb.146:                              ;   in Loop: Header=BB944_17 Depth=1
	v_and_b32_e32 v34, 7, v32
	v_ffbh_u32_e32 v56, v34
	v_min_u32_e32 v58, 32, v56
	v_subrev_u32_e32 v56, 28, v58
	v_lshlrev_b64 v[56:57], v56, v[32:33]
	v_lshrrev_b32_e32 v55, 3, v54
	v_sub_u32_e32 v32, 29, v58
	v_and_b32_e32 v56, 7, v56
	v_cmp_gt_u32_e32 vcc, 8, v54
	v_cndmask_b32_e32 v32, v55, v32, vcc
	v_cndmask_b32_e32 v34, v34, v56, vcc
	v_lshlrev_b32_e32 v54, 16, v30
	v_lshlrev_b32_e32 v34, 20, v34
	v_and_b32_e32 v54, 0x80000000, v54
	v_lshl_add_u32 v32, v32, 23, v38
	v_or3_b32 v32, v54, v32, v34
	v_lshrrev_b32_e32 v34, 16, v32
.LBB944_147:                            ;   in Loop: Header=BB944_17 Depth=1
	s_or_b64 exec, exec, s[10:11]
.LBB944_148:                            ;   in Loop: Header=BB944_17 Depth=1
	s_or_b64 exec, exec, s[6:7]
.LBB944_149:                            ;   in Loop: Header=BB944_17 Depth=1
	s_or_b64 exec, exec, s[4:5]
	v_lshrrev_b32_e32 v32, 16, v30
	v_cmp_ne_u16_sdwa s[6:7], v32, v35 src0_sel:BYTE_0 src1_sel:DWORD
	v_mov_b32_e32 v55, 0
	v_mov_b32_e32 v54, 0
	s_and_saveexec_b64 s[4:5], s[6:7]
	s_cbranch_execz .LBB944_155
; %bb.150:                              ;   in Loop: Header=BB944_17 Depth=1
	v_cmp_ne_u16_sdwa s[10:11], v32, s13 src0_sel:BYTE_0 src1_sel:DWORD
	v_mov_b32_e32 v54, 0xffff8000
	s_and_saveexec_b64 s[6:7], s[10:11]
	s_cbranch_execz .LBB944_154
; %bb.151:                              ;   in Loop: Header=BB944_17 Depth=1
	v_bfe_u32 v56, v30, 16, 7
	v_cmp_ne_u32_e32 vcc, s14, v56
	v_mov_b32_e32 v54, 0x7f80
	s_and_saveexec_b64 s[10:11], vcc
	s_cbranch_execz .LBB944_153
; %bb.152:                              ;   in Loop: Header=BB944_17 Depth=1
	v_and_b32_e32 v54, 7, v32
	v_ffbh_u32_e32 v58, v54
	v_min_u32_e32 v60, 32, v58
	v_subrev_u32_e32 v58, 28, v60
	v_lshlrev_b64 v[58:59], v58, v[32:33]
	v_lshrrev_b32_e32 v57, 3, v56
	v_sub_u32_e32 v59, 29, v60
	v_and_b32_e32 v58, 7, v58
	v_cmp_gt_u32_e32 vcc, 8, v56
	v_cndmask_b32_e32 v56, v57, v59, vcc
	v_cndmask_b32_e32 v54, v54, v58, vcc
	v_lshlrev_b32_e32 v32, 24, v32
	v_lshlrev_b32_e32 v54, 20, v54
	v_and_b32_e32 v32, 0x80000000, v32
	v_lshl_add_u32 v56, v56, 23, v38
	v_or3_b32 v32, v32, v56, v54
	v_lshrrev_b32_e32 v54, 16, v32
.LBB944_153:                            ;   in Loop: Header=BB944_17 Depth=1
	s_or_b64 exec, exec, s[10:11]
.LBB944_154:                            ;   in Loop: Header=BB944_17 Depth=1
	s_or_b64 exec, exec, s[6:7]
.LBB944_155:                            ;   in Loop: Header=BB944_17 Depth=1
	s_or_b64 exec, exec, s[4:5]
	v_cmp_lt_u32_e32 vcc, s15, v30
	s_and_saveexec_b64 s[4:5], vcc
	s_cbranch_execz .LBB944_161
; %bb.156:                              ;   in Loop: Header=BB944_17 Depth=1
	v_lshrrev_b32_e32 v32, 24, v30
	v_cmp_ne_u32_e32 vcc, s13, v32
	v_mov_b32_e32 v55, 0xffff8000
	s_and_saveexec_b64 s[6:7], vcc
	s_cbranch_execz .LBB944_160
; %bb.157:                              ;   in Loop: Header=BB944_17 Depth=1
	v_bfe_u32 v30, v30, 24, 7
	v_cmp_ne_u32_e32 vcc, s14, v30
	v_mov_b32_e32 v55, 0x7f80
	s_and_saveexec_b64 s[10:11], vcc
	s_cbranch_execz .LBB944_159
; %bb.158:                              ;   in Loop: Header=BB944_17 Depth=1
	v_and_b32_e32 v55, 7, v32
	v_ffbh_u32_e32 v56, v55
	v_min_u32_e32 v59, 32, v56
	v_subrev_u32_e32 v56, 28, v59
	v_lshlrev_b64 v[56:57], v56, v[32:33]
	v_lshrrev_b32_e32 v58, 3, v30
	v_sub_u32_e32 v57, 29, v59
	v_and_b32_e32 v56, 7, v56
	v_cmp_gt_u32_e32 vcc, 8, v30
	v_cndmask_b32_e32 v30, v58, v57, vcc
	v_cndmask_b32_e32 v55, v55, v56, vcc
	v_lshlrev_b32_e32 v32, 24, v32
	v_lshlrev_b32_e32 v55, 20, v55
	v_and_b32_e32 v32, 0x80000000, v32
	v_lshl_add_u32 v30, v30, 23, v38
	v_or3_b32 v30, v32, v30, v55
	v_lshrrev_b32_e32 v55, 16, v30
.LBB944_159:                            ;   in Loop: Header=BB944_17 Depth=1
	s_or_b64 exec, exec, s[10:11]
.LBB944_160:                            ;   in Loop: Header=BB944_17 Depth=1
	s_or_b64 exec, exec, s[6:7]
.LBB944_161:                            ;   in Loop: Header=BB944_17 Depth=1
	s_or_b64 exec, exec, s[4:5]
	v_perm_b32 v57, v44, v42, s16
	v_perm_b32 v56, v23, v40, s16
	;; [unrolled: 1-line block ×4, first 2 shown]
	s_waitcnt vmcnt(1)
	v_cmp_ne_u16_sdwa s[6:7], v28, v35 src0_sel:BYTE_0 src1_sel:DWORD
	v_mfma_f32_16x16x16bf16_1k v[18:21], v[56:57], v[10:11], v[18:21]
	v_mov_b32_e32 v23, 0
	v_mov_b32_e32 v32, 0
	v_mfma_f32_16x16x16bf16_1k v[18:21], v[54:55], v[12:13], v[18:21]
	s_and_saveexec_b64 s[4:5], s[6:7]
	s_cbranch_execz .LBB944_167
; %bb.162:                              ;   in Loop: Header=BB944_17 Depth=1
	v_cmp_ne_u16_sdwa s[10:11], v28, s13 src0_sel:BYTE_0 src1_sel:DWORD
	v_mov_b32_e32 v32, 0xffff8000
	s_and_saveexec_b64 s[6:7], s[10:11]
	s_cbranch_execz .LBB944_166
; %bb.163:                              ;   in Loop: Header=BB944_17 Depth=1
	v_and_b32_e32 v30, 0x7f, v28
	v_cmp_ne_u32_e32 vcc, s14, v30
	v_mov_b32_e32 v32, 0x7f80
	s_and_saveexec_b64 s[10:11], vcc
	s_cbranch_execz .LBB944_165
; %bb.164:                              ;   in Loop: Header=BB944_17 Depth=1
	v_and_b32_e32 v32, 7, v28
	v_ffbh_u32_e32 v40, v32
	v_min_u32_e32 v40, 32, v40
	v_subrev_u32_e32 v42, 28, v40
	v_lshlrev_b64 v[54:55], v42, v[28:29]
	v_lshrrev_b32_e32 v34, 3, v30
	v_sub_u32_e32 v40, 29, v40
	v_and_b32_e32 v42, 7, v54
	v_cmp_gt_u32_e32 vcc, 8, v30
	v_cndmask_b32_e32 v30, v34, v40, vcc
	v_cndmask_b32_e32 v32, v32, v42, vcc
	v_lshlrev_b32_e32 v34, 24, v28
	v_lshlrev_b32_e32 v32, 20, v32
	v_and_b32_e32 v34, 0x80000000, v34
	v_lshl_add_u32 v30, v30, 23, v38
	v_or3_b32 v30, v34, v30, v32
	v_lshrrev_b32_e32 v32, 16, v30
.LBB944_165:                            ;   in Loop: Header=BB944_17 Depth=1
	s_or_b64 exec, exec, s[10:11]
.LBB944_166:                            ;   in Loop: Header=BB944_17 Depth=1
	s_or_b64 exec, exec, s[6:7]
.LBB944_167:                            ;   in Loop: Header=BB944_17 Depth=1
	s_or_b64 exec, exec, s[4:5]
	v_lshrrev_b16_e32 v30, 8, v28
	v_cmp_ne_u16_e32 vcc, 0, v30
	s_and_saveexec_b64 s[4:5], vcc
	s_cbranch_execz .LBB944_173
; %bb.168:                              ;   in Loop: Header=BB944_17 Depth=1
	v_cmp_ne_u16_e32 vcc, s13, v30
	v_mov_b32_e32 v23, 0xffff8000
	s_and_saveexec_b64 s[6:7], vcc
	s_cbranch_execz .LBB944_172
; %bb.169:                              ;   in Loop: Header=BB944_17 Depth=1
	v_and_b32_e32 v34, 0x7f, v30
	v_cmp_ne_u32_e32 vcc, s14, v34
	v_mov_b32_e32 v23, 0x7f80
	s_and_saveexec_b64 s[10:11], vcc
	s_cbranch_execz .LBB944_171
; %bb.170:                              ;   in Loop: Header=BB944_17 Depth=1
	v_and_b32_e32 v23, 7, v30
	v_ffbh_u32_e32 v42, v23
	v_min_u32_e32 v42, 32, v42
	v_subrev_u32_e32 v44, 28, v42
	v_lshlrev_b64 v[54:55], v44, v[30:31]
	v_lshrrev_b32_e32 v40, 3, v34
	v_sub_u32_e32 v30, 29, v42
	v_and_b32_e32 v42, 7, v54
	v_cmp_gt_u32_e32 vcc, 8, v34
	v_cndmask_b32_e32 v30, v40, v30, vcc
	v_cndmask_b32_e32 v23, v23, v42, vcc
	v_lshlrev_b32_e32 v34, 16, v28
	v_lshlrev_b32_e32 v23, 20, v23
	v_and_b32_e32 v34, 0x80000000, v34
	v_lshl_add_u32 v30, v30, 23, v38
	v_or3_b32 v23, v34, v30, v23
	v_lshrrev_b32_e32 v23, 16, v23
.LBB944_171:                            ;   in Loop: Header=BB944_17 Depth=1
	s_or_b64 exec, exec, s[10:11]
.LBB944_172:                            ;   in Loop: Header=BB944_17 Depth=1
	s_or_b64 exec, exec, s[6:7]
.LBB944_173:                            ;   in Loop: Header=BB944_17 Depth=1
	s_or_b64 exec, exec, s[4:5]
	v_lshrrev_b32_e32 v30, 16, v28
	v_cmp_ne_u16_sdwa s[6:7], v30, v35 src0_sel:BYTE_0 src1_sel:DWORD
	v_mov_b32_e32 v40, 0
	v_mov_b32_e32 v34, 0
	s_and_saveexec_b64 s[4:5], s[6:7]
	s_cbranch_execz .LBB944_179
; %bb.174:                              ;   in Loop: Header=BB944_17 Depth=1
	v_cmp_ne_u16_sdwa s[10:11], v30, s13 src0_sel:BYTE_0 src1_sel:DWORD
	v_mov_b32_e32 v34, 0xffff8000
	s_and_saveexec_b64 s[6:7], s[10:11]
	s_cbranch_execz .LBB944_178
; %bb.175:                              ;   in Loop: Header=BB944_17 Depth=1
	v_bfe_u32 v42, v28, 16, 7
	v_cmp_ne_u32_e32 vcc, s14, v42
	v_mov_b32_e32 v34, 0x7f80
	s_and_saveexec_b64 s[10:11], vcc
	s_cbranch_execz .LBB944_177
; %bb.176:                              ;   in Loop: Header=BB944_17 Depth=1
	v_and_b32_e32 v34, 7, v30
	v_ffbh_u32_e32 v53, v34
	v_min_u32_e32 v53, 32, v53
	v_subrev_u32_e32 v54, 28, v53
	v_lshlrev_b64 v[54:55], v54, v[30:31]
	v_lshrrev_b32_e32 v44, 3, v42
	v_sub_u32_e32 v53, 29, v53
	v_and_b32_e32 v54, 7, v54
	v_cmp_gt_u32_e32 vcc, 8, v42
	v_cndmask_b32_e32 v42, v44, v53, vcc
	v_cndmask_b32_e32 v34, v34, v54, vcc
	v_lshlrev_b32_e32 v30, 24, v30
	v_lshlrev_b32_e32 v34, 20, v34
	v_and_b32_e32 v30, 0x80000000, v30
	v_lshl_add_u32 v42, v42, 23, v38
	v_or3_b32 v30, v30, v42, v34
	v_lshrrev_b32_e32 v34, 16, v30
.LBB944_177:                            ;   in Loop: Header=BB944_17 Depth=1
	s_or_b64 exec, exec, s[10:11]
.LBB944_178:                            ;   in Loop: Header=BB944_17 Depth=1
	s_or_b64 exec, exec, s[6:7]
.LBB944_179:                            ;   in Loop: Header=BB944_17 Depth=1
	s_or_b64 exec, exec, s[4:5]
	v_cmp_lt_u32_e32 vcc, s15, v28
	s_and_saveexec_b64 s[4:5], vcc
	s_cbranch_execz .LBB944_185
; %bb.180:                              ;   in Loop: Header=BB944_17 Depth=1
	v_lshrrev_b32_e32 v30, 24, v28
	v_cmp_ne_u32_e32 vcc, s13, v30
	v_mov_b32_e32 v40, 0xffff8000
	s_and_saveexec_b64 s[6:7], vcc
	s_cbranch_execz .LBB944_184
; %bb.181:                              ;   in Loop: Header=BB944_17 Depth=1
	v_bfe_u32 v28, v28, 24, 7
	v_cmp_ne_u32_e32 vcc, s14, v28
	v_mov_b32_e32 v40, 0x7f80
	s_and_saveexec_b64 s[10:11], vcc
	s_cbranch_execz .LBB944_183
; %bb.182:                              ;   in Loop: Header=BB944_17 Depth=1
	v_and_b32_e32 v40, 7, v30
	v_ffbh_u32_e32 v44, v40
	v_min_u32_e32 v44, 32, v44
	v_subrev_u32_e32 v53, 28, v44
	v_lshlrev_b64 v[54:55], v53, v[30:31]
	v_lshrrev_b32_e32 v42, 3, v28
	v_sub_u32_e32 v44, 29, v44
	v_and_b32_e32 v53, 7, v54
	v_cmp_gt_u32_e32 vcc, 8, v28
	v_cndmask_b32_e32 v28, v42, v44, vcc
	v_cndmask_b32_e32 v40, v40, v53, vcc
	v_lshlrev_b32_e32 v30, 24, v30
	v_lshlrev_b32_e32 v40, 20, v40
	v_and_b32_e32 v30, 0x80000000, v30
	v_lshl_add_u32 v28, v28, 23, v38
	v_or3_b32 v28, v30, v28, v40
	v_lshrrev_b32_e32 v40, 16, v28
.LBB944_183:                            ;   in Loop: Header=BB944_17 Depth=1
	s_or_b64 exec, exec, s[10:11]
.LBB944_184:                            ;   in Loop: Header=BB944_17 Depth=1
	s_or_b64 exec, exec, s[6:7]
.LBB944_185:                            ;   in Loop: Header=BB944_17 Depth=1
	s_or_b64 exec, exec, s[4:5]
	s_waitcnt vmcnt(0)
	v_cmp_ne_u16_sdwa s[6:7], v26, v35 src0_sel:BYTE_0 src1_sel:DWORD
	v_mov_b32_e32 v30, 0
	v_mov_b32_e32 v42, 0
	s_and_saveexec_b64 s[4:5], s[6:7]
	s_cbranch_execz .LBB944_191
; %bb.186:                              ;   in Loop: Header=BB944_17 Depth=1
	v_cmp_ne_u16_sdwa s[10:11], v26, s13 src0_sel:BYTE_0 src1_sel:DWORD
	v_mov_b32_e32 v42, 0xffff8000
	s_and_saveexec_b64 s[6:7], s[10:11]
	s_cbranch_execz .LBB944_190
; %bb.187:                              ;   in Loop: Header=BB944_17 Depth=1
	v_and_b32_e32 v28, 0x7f, v26
	v_cmp_ne_u32_e32 vcc, s14, v28
	v_mov_b32_e32 v42, 0x7f80
	s_and_saveexec_b64 s[10:11], vcc
	s_cbranch_execz .LBB944_189
; %bb.188:                              ;   in Loop: Header=BB944_17 Depth=1
	v_and_b32_e32 v42, 7, v26
	v_ffbh_u32_e32 v53, v42
	v_min_u32_e32 v53, 32, v53
	v_subrev_u32_e32 v54, 28, v53
	v_lshlrev_b64 v[54:55], v54, v[26:27]
	v_lshrrev_b32_e32 v44, 3, v28
	v_sub_u32_e32 v53, 29, v53
	v_and_b32_e32 v54, 7, v54
	v_cmp_gt_u32_e32 vcc, 8, v28
	v_cndmask_b32_e32 v28, v44, v53, vcc
	v_cndmask_b32_e32 v42, v42, v54, vcc
	v_lshlrev_b32_e32 v44, 24, v26
	v_lshlrev_b32_e32 v42, 20, v42
	v_and_b32_e32 v44, 0x80000000, v44
	v_lshl_add_u32 v28, v28, 23, v38
	v_or3_b32 v28, v44, v28, v42
	v_lshrrev_b32_e32 v42, 16, v28
.LBB944_189:                            ;   in Loop: Header=BB944_17 Depth=1
	s_or_b64 exec, exec, s[10:11]
.LBB944_190:                            ;   in Loop: Header=BB944_17 Depth=1
	s_or_b64 exec, exec, s[6:7]
.LBB944_191:                            ;   in Loop: Header=BB944_17 Depth=1
	s_or_b64 exec, exec, s[4:5]
	v_lshrrev_b16_e32 v28, 8, v26
	v_cmp_ne_u16_e32 vcc, 0, v28
	s_and_saveexec_b64 s[4:5], vcc
	s_cbranch_execz .LBB944_197
; %bb.192:                              ;   in Loop: Header=BB944_17 Depth=1
	v_cmp_ne_u16_e32 vcc, s13, v28
	v_mov_b32_e32 v30, 0xffff8000
	s_and_saveexec_b64 s[6:7], vcc
	s_cbranch_execz .LBB944_196
; %bb.193:                              ;   in Loop: Header=BB944_17 Depth=1
	v_and_b32_e32 v44, 0x7f, v28
	v_cmp_ne_u32_e32 vcc, s14, v44
	v_mov_b32_e32 v30, 0x7f80
	s_and_saveexec_b64 s[10:11], vcc
	s_cbranch_execz .LBB944_195
; %bb.194:                              ;   in Loop: Header=BB944_17 Depth=1
	v_and_b32_e32 v30, 7, v28
	v_ffbh_u32_e32 v54, v30
	v_min_u32_e32 v56, 32, v54
	v_subrev_u32_e32 v54, 28, v56
	v_lshlrev_b64 v[54:55], v54, v[28:29]
	v_lshrrev_b32_e32 v53, 3, v44
	v_sub_u32_e32 v28, 29, v56
	v_and_b32_e32 v54, 7, v54
	v_cmp_gt_u32_e32 vcc, 8, v44
	v_cndmask_b32_e32 v28, v53, v28, vcc
	v_cndmask_b32_e32 v30, v30, v54, vcc
	v_lshlrev_b32_e32 v44, 16, v26
	v_lshlrev_b32_e32 v30, 20, v30
	v_and_b32_e32 v44, 0x80000000, v44
	v_lshl_add_u32 v28, v28, 23, v38
	v_or3_b32 v28, v44, v28, v30
	v_lshrrev_b32_e32 v30, 16, v28
.LBB944_195:                            ;   in Loop: Header=BB944_17 Depth=1
	s_or_b64 exec, exec, s[10:11]
.LBB944_196:                            ;   in Loop: Header=BB944_17 Depth=1
	s_or_b64 exec, exec, s[6:7]
.LBB944_197:                            ;   in Loop: Header=BB944_17 Depth=1
	s_or_b64 exec, exec, s[4:5]
	v_lshrrev_b32_e32 v28, 16, v26
	v_cmp_ne_u16_sdwa s[6:7], v28, v35 src0_sel:BYTE_0 src1_sel:DWORD
	v_mov_b32_e32 v53, 0
	v_mov_b32_e32 v44, 0
	s_and_saveexec_b64 s[4:5], s[6:7]
	s_cbranch_execz .LBB944_203
; %bb.198:                              ;   in Loop: Header=BB944_17 Depth=1
	v_cmp_ne_u16_sdwa s[10:11], v28, s13 src0_sel:BYTE_0 src1_sel:DWORD
	v_mov_b32_e32 v44, 0xffff8000
	s_and_saveexec_b64 s[6:7], s[10:11]
	s_cbranch_execz .LBB944_202
; %bb.199:                              ;   in Loop: Header=BB944_17 Depth=1
	v_bfe_u32 v54, v26, 16, 7
	v_cmp_ne_u32_e32 vcc, s14, v54
	v_mov_b32_e32 v44, 0x7f80
	s_and_saveexec_b64 s[10:11], vcc
	s_cbranch_execz .LBB944_201
; %bb.200:                              ;   in Loop: Header=BB944_17 Depth=1
	v_and_b32_e32 v44, 7, v28
	v_ffbh_u32_e32 v56, v44
	v_min_u32_e32 v58, 32, v56
	v_subrev_u32_e32 v56, 28, v58
	v_lshlrev_b64 v[56:57], v56, v[28:29]
	v_lshrrev_b32_e32 v55, 3, v54
	v_sub_u32_e32 v57, 29, v58
	v_and_b32_e32 v56, 7, v56
	v_cmp_gt_u32_e32 vcc, 8, v54
	v_cndmask_b32_e32 v54, v55, v57, vcc
	v_cndmask_b32_e32 v44, v44, v56, vcc
	v_lshlrev_b32_e32 v28, 24, v28
	v_lshlrev_b32_e32 v44, 20, v44
	v_and_b32_e32 v28, 0x80000000, v28
	v_lshl_add_u32 v54, v54, 23, v38
	v_or3_b32 v28, v28, v54, v44
	v_lshrrev_b32_e32 v44, 16, v28
.LBB944_201:                            ;   in Loop: Header=BB944_17 Depth=1
	s_or_b64 exec, exec, s[10:11]
.LBB944_202:                            ;   in Loop: Header=BB944_17 Depth=1
	s_or_b64 exec, exec, s[6:7]
.LBB944_203:                            ;   in Loop: Header=BB944_17 Depth=1
	s_or_b64 exec, exec, s[4:5]
	v_cmp_lt_u32_e32 vcc, s15, v26
	s_and_saveexec_b64 s[4:5], vcc
	s_cbranch_execz .LBB944_16
; %bb.204:                              ;   in Loop: Header=BB944_17 Depth=1
	v_lshrrev_b32_e32 v28, 24, v26
	v_cmp_ne_u32_e32 vcc, s13, v28
	v_mov_b32_e32 v53, 0xffff8000
	s_and_saveexec_b64 s[6:7], vcc
	s_cbranch_execz .LBB944_15
; %bb.205:                              ;   in Loop: Header=BB944_17 Depth=1
	v_bfe_u32 v26, v26, 24, 7
	v_cmp_ne_u32_e32 vcc, s14, v26
	v_mov_b32_e32 v53, 0x7f80
	s_and_saveexec_b64 s[10:11], vcc
	s_cbranch_execz .LBB944_14
; %bb.206:                              ;   in Loop: Header=BB944_17 Depth=1
	v_and_b32_e32 v53, 7, v28
	v_ffbh_u32_e32 v54, v53
	v_min_u32_e32 v57, 32, v54
	v_subrev_u32_e32 v54, 28, v57
	v_lshlrev_b64 v[54:55], v54, v[28:29]
	v_lshrrev_b32_e32 v56, 3, v26
	v_sub_u32_e32 v55, 29, v57
	v_and_b32_e32 v54, 7, v54
	v_cmp_gt_u32_e32 vcc, 8, v26
	v_cndmask_b32_e32 v26, v56, v55, vcc
	v_cndmask_b32_e32 v53, v53, v54, vcc
	v_lshlrev_b32_e32 v28, 24, v28
	v_lshlrev_b32_e32 v53, 20, v53
	v_and_b32_e32 v28, 0x80000000, v28
	v_lshl_add_u32 v26, v26, 23, v38
	v_or3_b32 v26, v28, v26, v53
	v_lshrrev_b32_e32 v53, 16, v26
	s_branch .LBB944_14
.LBB944_207:
	buffer_load_dword v17, off, s[0:3], 0 offset:256
	buffer_load_dword v16, off, s[0:3], 0 offset:260
	;; [unrolled: 1-line block ×16, first 2 shown]
	v_and_b32_e32 v18, 0xc0, v0
	v_add_u32_e32 v18, s20, v18
	v_lshl_or_b32 v18, v41, 2, v18
	v_or_b32_e32 v20, 1, v18
	v_subrev_u32_e32 v24, s33, v20
	v_add_u32_e32 v26, 1, v24
	v_cvt_f32_i32_e32 v25, v24
	v_add_u32_e32 v28, 2, v24
	v_add_u32_e32 v30, 3, v24
	;; [unrolled: 1-line block ×14, first 2 shown]
	v_cvt_f32_i32_e32 v26, v26
	v_cvt_f32_i32_e32 v28, v28
	;; [unrolled: 1-line block ×4, first 2 shown]
	v_mov_b32_e32 v19, 0xff7fffff
	v_or_b32_e32 v21, 2, v18
	v_or_b32_e32 v22, 3, v18
	v_cvt_f32_i32_e32 v32, v32
	v_cvt_f32_i32_e32 v34, v34
	v_cmp_gt_i32_e64 s[28:29], s33, v18
	v_cmp_gt_i32_e64 s[30:31], s33, v20
	s_mov_b32 s52, 0xff7fffff
	v_cmp_gt_i32_e64 s[34:35], s33, v21
	v_cmp_gt_i32_e64 s[36:37], s33, v22
	v_or_b32_e32 v23, 16, v18
	v_cvt_f32_i32_e32 v35, v35
	v_cvt_f32_i32_e32 v36, v36
	v_cmp_gt_i32_e64 s[24:25], s33, v23
	v_cvt_f32_i32_e32 v37, v37
	v_cvt_f32_i32_e32 v38, v38
	;; [unrolled: 1-line block ×7, first 2 shown]
	s_waitcnt vmcnt(15)
	v_fmac_f32_e32 v17, v31, v25
	s_waitcnt vmcnt(14)
	v_fmac_f32_e32 v16, v31, v26
	;; [unrolled: 2-line block ×4, first 2 shown]
	v_cndmask_b32_e64 v20, v19, v16, s[30:31]
	v_cndmask_b32_e64 v21, v19, v15, s[34:35]
	;; [unrolled: 1-line block ×3, first 2 shown]
	s_waitcnt vmcnt(11)
	v_fmac_f32_e32 v13, v31, v32
	s_waitcnt vmcnt(10)
	v_fmac_f32_e32 v12, v31, v34
	;; [unrolled: 2-line block ×9, first 2 shown]
	v_cndmask_b32_e64 v24, v19, v17, s[28:29]
	v_max3_f32 v20, v24, s52, v20
	v_max3_f32 v20, v20, v21, v22
	v_or_b32_e32 v22, 17, v18
	v_cmp_gt_i32_e64 s[38:39], s33, v22
	v_cndmask_b32_e64 v21, v19, v13, s[24:25]
	v_cndmask_b32_e64 v22, v19, v12, s[38:39]
	v_max3_f32 v20, v20, v21, v22
	v_or_b32_e32 v21, 18, v18
	v_or_b32_e32 v22, 19, v18
	v_cmp_gt_i32_e64 s[20:21], s33, v21
	v_cmp_gt_i32_e64 s[22:23], s33, v22
	v_cndmask_b32_e64 v21, v19, v11, s[20:21]
	v_cndmask_b32_e64 v22, v19, v10, s[22:23]
	v_max3_f32 v20, v20, v21, v22
	v_or_b32_e32 v21, 32, v18
	v_or_b32_e32 v22, 33, v18
	v_cmp_gt_i32_e64 s[16:17], s33, v21
	;; [unrolled: 7-line block ×3, first 2 shown]
	v_cmp_gt_i32_e64 s[14:15], s33, v22
	v_cndmask_b32_e64 v21, v19, v7, s[12:13]
	v_cndmask_b32_e64 v22, v19, v6, s[14:15]
	v_max3_f32 v20, v20, v21, v22
	v_or_b32_e32 v21, 48, v18
	v_or_b32_e32 v22, 49, v18
	v_fmac_f32_e32 v5, v31, v44
	v_fmac_f32_e32 v4, v31, v53
	v_cmp_gt_i32_e64 s[6:7], s33, v21
	v_cmp_gt_i32_e64 s[10:11], s33, v22
	v_cndmask_b32_e64 v21, v19, v5, s[6:7]
	v_cndmask_b32_e64 v22, v19, v4, s[10:11]
	v_max3_f32 v20, v20, v21, v22
	v_or_b32_e32 v21, 50, v18
	v_or_b32_e32 v18, 51, v18
	v_fmac_f32_e32 v3, v31, v54
	v_cmp_gt_i32_e32 vcc, s33, v21
	v_cmp_gt_i32_e64 s[4:5], s33, v18
	v_cndmask_b32_e32 v21, v19, v3, vcc
	v_cndmask_b32_e64 v18, v19, v2, s[4:5]
	v_mbcnt_lo_u32_b32 v19, -1, 0
	v_mbcnt_hi_u32_b32 v19, -1, v19
	v_max3_f32 v18, v20, v21, v18
	v_and_b32_e32 v20, 64, v19
	v_add_u32_e32 v20, 64, v20
	v_xor_b32_e32 v21, 32, v19
	v_cmp_lt_i32_e64 s[40:41], v21, v20
	v_cndmask_b32_e64 v21, v19, v21, s[40:41]
	v_lshlrev_b32_e32 v21, 2, v21
	ds_bpermute_b32 v22, v21, v18
	s_waitcnt lgkmcnt(0)
	v_max_f32_e32 v22, v22, v22
	v_max_f32_e32 v18, v18, v22
	v_xor_b32_e32 v22, 16, v19
	v_cmp_lt_i32_e64 s[40:41], v22, v20
	v_cndmask_b32_e64 v19, v19, v22, s[40:41]
	v_lshlrev_b32_e32 v19, 2, v19
	ds_bpermute_b32 v20, v19, v18
	s_waitcnt lgkmcnt(0)
	v_max_f32_e32 v20, v20, v20
	v_max_f32_e32 v18, v18, v20
	v_sub_f32_e32 v17, v17, v18
	v_mul_f32_e32 v17, 0x3fb8aa3b, v17
	v_sub_f32_e32 v16, v16, v18
	v_exp_f32_e32 v17, v17
	v_mul_f32_e32 v16, 0x3fb8aa3b, v16
	v_sub_f32_e32 v15, v15, v18
	v_exp_f32_e32 v16, v16
	;; [unrolled: 3-line block ×4, first 2 shown]
	v_mul_f32_e32 v13, 0x3fb8aa3b, v13
	v_sub_f32_e32 v12, v12, v18
	v_cndmask_b32_e64 v17, 0, v17, s[28:29]
	v_exp_f32_e32 v13, v13
	v_mul_f32_e32 v12, 0x3fb8aa3b, v12
	v_sub_f32_e32 v11, v11, v18
	v_add_f32_e32 v20, 0, v17
	v_cndmask_b32_e64 v16, 0, v16, s[30:31]
	v_exp_f32_e32 v12, v12
	v_mul_f32_e32 v11, 0x3fb8aa3b, v11
	v_sub_f32_e32 v10, v10, v18
	v_add_f32_e32 v20, v20, v16
	;; [unrolled: 5-line block ×4, first 2 shown]
	v_cndmask_b32_e64 v13, 0, v13, s[24:25]
	v_exp_f32_e32 v9, v9
	v_mul_f32_e32 v8, 0x3fb8aa3b, v8
	v_sub_f32_e32 v7, v7, v18
	buffer_store_dword v17, off, s[0:3], 0 offset:256
	buffer_store_dword v16, off, s[0:3], 0 offset:260
	;; [unrolled: 1-line block ×4, first 2 shown]
	v_add_f32_e32 v14, v20, v13
	v_cndmask_b32_e64 v12, 0, v12, s[38:39]
	v_exp_f32_e32 v8, v8
	v_mul_f32_e32 v7, 0x3fb8aa3b, v7
	v_sub_f32_e32 v6, v6, v18
	v_add_f32_e32 v14, v14, v12
	v_cndmask_b32_e64 v11, 0, v11, s[20:21]
	v_exp_f32_e32 v7, v7
	v_mul_f32_e32 v6, 0x3fb8aa3b, v6
	v_sub_f32_e32 v5, v5, v18
	;; [unrolled: 5-line block ×4, first 2 shown]
	buffer_store_dword v13, off, s[0:3], 0 offset:272
	buffer_store_dword v12, off, s[0:3], 0 offset:276
	;; [unrolled: 1-line block ×4, first 2 shown]
	v_add_f32_e32 v10, v14, v9
	v_cndmask_b32_e64 v8, 0, v8, s[18:19]
	v_exp_f32_e32 v4, v4
	v_mul_f32_e32 v3, 0x3fb8aa3b, v3
	v_sub_f32_e32 v2, v2, v18
	v_add_f32_e32 v10, v10, v8
	v_cndmask_b32_e64 v7, 0, v7, s[12:13]
	v_exp_f32_e32 v3, v3
	v_mul_f32_e32 v2, 0x3fb8aa3b, v2
	v_add_f32_e32 v10, v10, v7
	v_cndmask_b32_e64 v6, 0, v6, s[14:15]
	v_exp_f32_e32 v2, v2
	v_add_f32_e32 v10, v10, v6
	v_cndmask_b32_e64 v5, 0, v5, s[6:7]
	buffer_store_dword v9, off, s[0:3], 0 offset:288
	buffer_store_dword v8, off, s[0:3], 0 offset:292
	buffer_store_dword v7, off, s[0:3], 0 offset:296
	buffer_store_dword v6, off, s[0:3], 0 offset:300
	v_add_f32_e32 v6, v10, v5
	v_cndmask_b32_e64 v4, 0, v4, s[10:11]
	v_add_f32_e32 v6, v6, v4
	v_cndmask_b32_e32 v3, 0, v3, vcc
	v_add_f32_e32 v6, v6, v3
	v_cndmask_b32_e64 v2, 0, v2, s[4:5]
	v_add_f32_e32 v6, v6, v2
	ds_bpermute_b32 v7, v21, v6
	buffer_store_dword v5, off, s[0:3], 0 offset:304
	buffer_store_dword v4, off, s[0:3], 0 offset:308
	;; [unrolled: 1-line block ×4, first 2 shown]
	v_cmp_gt_u32_e32 vcc, 16, v33
	s_waitcnt lgkmcnt(0)
	s_barrier
	v_add_f32_e32 v2, v6, v7
	ds_bpermute_b32 v3, v19, v2
	s_waitcnt lgkmcnt(0)
	s_and_saveexec_b64 s[4:5], vcc
	s_cbranch_execz .LBB944_209
; %bb.208:
	v_add_f32_e32 v2, v2, v3
	v_lshlrev_b32_e32 v3, 2, v29
	ds_write2st64_b32 v3, v18, v2 offset1:1
.LBB944_209:
	s_or_b64 exec, exec, s[4:5]
	v_lshlrev_b32_e32 v2, 2, v43
	s_waitcnt lgkmcnt(0)
	s_barrier
	ds_read2_b32 v[14:15], v2 offset1:16
	ds_read2_b32 v[16:17], v2 offset0:32 offset1:48
	ds_read2_b32 v[6:7], v2 offset0:64 offset1:80
	;; [unrolled: 1-line block ×3, first 2 shown]
	s_waitcnt lgkmcnt(0)
	s_barrier
	buffer_load_dword v22, off, s[0:3], 0 offset:264
	buffer_load_dword v23, off, s[0:3], 0 offset:268
	;; [unrolled: 1-line block ×16, first 2 shown]
	v_max3_f32 v20, v14, s52, v15
	v_max3_f32 v20, v20, v16, v17
	v_sub_f32_e32 v14, v14, v20
	v_sub_f32_e32 v15, v15, v20
	v_mul_f32_e32 v14, 0x3fb8aa3b, v14
	v_sub_f32_e32 v16, v16, v20
	v_mul_f32_e32 v15, 0x3fb8aa3b, v15
	v_exp_f32_e32 v14, v14
	v_sub_f32_e32 v17, v17, v20
	v_mul_f32_e32 v16, 0x3fb8aa3b, v16
	v_exp_f32_e32 v15, v15
	v_mul_f32_e32 v17, 0x3fb8aa3b, v17
	v_exp_f32_e32 v16, v16
	v_exp_f32_e32 v17, v17
	v_fma_f32 v6, v14, v6, 0
	v_fmac_f32_e32 v6, v15, v7
	v_fmac_f32_e32 v6, v16, v12
	;; [unrolled: 1-line block ×3, first 2 shown]
	v_cmp_eq_u32_e32 vcc, 1, v27
	v_add_f32_e32 v12, 0x358637bd, v6
	v_cndmask_b32_e32 v14, v14, v15, vcc
	v_cmp_eq_u32_e32 vcc, 2, v27
	v_div_scale_f32 v13, s[4:5], v12, v12, 1.0
	v_cndmask_b32_e32 v7, v14, v16, vcc
	v_rcp_f32_e32 v14, v13
	v_cmp_eq_u32_e32 vcc, 3, v27
	v_cndmask_b32_e32 v7, v7, v17, vcc
	v_div_scale_f32 v15, vcc, 1.0, v12, 1.0
	v_fma_f32 v16, -v13, v14, 1.0
	v_fmac_f32_e32 v14, v16, v14
	v_mul_f32_e32 v16, v15, v14
	v_fma_f32 v17, -v13, v16, v15
	v_fmac_f32_e32 v16, v17, v14
	v_fma_f32 v13, -v13, v16, v15
	v_div_fmas_f32 v13, v13, v14, v16
	v_div_fixup_f32 v12, v13, v12, 1.0
	v_mul_f32_e32 v12, v7, v12
	s_movk_i32 s19, 0x7fff
	s_mov_b32 s20, 0x7060302
	s_mul_i32 s18, s49, 3
	v_cmp_gt_u32_e32 vcc, 3, v0
	s_waitcnt vmcnt(14)
	v_pk_mul_f32 v[14:15], v[12:13], v[22:23] op_sel_hi:[0,1]
	v_bfe_u32 v21, v15, 16, 1
	s_waitcnt vmcnt(12)
	v_pk_mul_f32 v[16:17], v[12:13], v[24:25] op_sel_hi:[0,1]
	v_bfe_u32 v7, v17, 16, 1
	v_bfe_u32 v13, v16, 16, 1
	;; [unrolled: 1-line block ×3, first 2 shown]
	v_add3_u32 v13, v16, v13, s19
	v_add3_u32 v7, v17, v7, s19
	buffer_store_dword v16, off, s[0:3], 0 offset:256
	buffer_store_dword v17, off, s[0:3], 0 offset:260
	;; [unrolled: 1-line block ×4, first 2 shown]
	v_add3_u32 v16, v14, v22, s19
	v_add3_u32 v15, v15, v21, s19
	v_perm_b32 v14, v7, v13, s20
	v_lshlrev_b32_e32 v13, 3, v41
	v_perm_b32 v15, v15, v16, s20
	v_lshlrev_b32_e32 v7, 5, v43
	v_lshlrev_b32_e32 v16, 11, v27
	s_waitcnt vmcnt(12)
	v_pk_mul_f32 v[8:9], v[12:13], v[8:9] op_sel_hi:[0,1]
	v_or3_b32 v53, v16, v7, v13
	v_pk_mul_f32 v[10:11], v[12:13], v[10:11] op_sel_hi:[0,1]
	v_bfe_u32 v13, v9, 16, 1
	v_bfe_u32 v16, v8, 16, 1
	buffer_store_dword v8, off, s[0:3], 0 offset:272
	buffer_store_dword v9, off, s[0:3], 0 offset:276
	;; [unrolled: 1-line block ×4, first 2 shown]
	v_add3_u32 v8, v8, v16, s19
	v_add3_u32 v9, v9, v13, s19
	v_perm_b32 v8, v9, v8, s20
	v_bfe_u32 v9, v11, 16, 1
	v_bfe_u32 v13, v10, 16, 1
	v_add3_u32 v10, v10, v13, s19
	v_add3_u32 v9, v11, v9, s19
	v_perm_b32 v9, v9, v10, s20
	s_waitcnt vmcnt(14)
	v_pk_mul_f32 v[10:11], v[12:13], v[18:19] op_sel_hi:[0,1]
	ds_write2st64_b64 v53, v[14:15], v[8:9] offset1:1
	s_waitcnt vmcnt(12)
	v_pk_mul_f32 v[8:9], v[12:13], v[28:29] op_sel_hi:[0,1]
	v_bfe_u32 v13, v11, 16, 1
	v_bfe_u32 v14, v10, 16, 1
	buffer_store_dword v10, off, s[0:3], 0 offset:288
	buffer_store_dword v11, off, s[0:3], 0 offset:292
	buffer_store_dword v8, off, s[0:3], 0 offset:296
	buffer_store_dword v9, off, s[0:3], 0 offset:300
	v_add3_u32 v10, v10, v14, s19
	v_add3_u32 v11, v11, v13, s19
	v_perm_b32 v10, v11, v10, s20
	v_bfe_u32 v11, v9, 16, 1
	v_bfe_u32 v13, v8, 16, 1
	v_add3_u32 v8, v8, v13, s19
	v_add3_u32 v9, v9, v11, s19
	s_waitcnt vmcnt(14)
	v_pk_mul_f32 v[2:3], v[12:13], v[2:3] op_sel_hi:[0,1]
	v_perm_b32 v11, v9, v8, s20
	v_bfe_u32 v8, v3, 16, 1
	v_bfe_u32 v9, v2, 16, 1
	s_waitcnt vmcnt(12)
	v_pk_mul_f32 v[4:5], v[12:13], v[4:5] op_sel_hi:[0,1]
	buffer_store_dword v2, off, s[0:3], 0 offset:304
	buffer_store_dword v3, off, s[0:3], 0 offset:308
	;; [unrolled: 1-line block ×4, first 2 shown]
	v_add3_u32 v2, v2, v9, s19
	v_add3_u32 v3, v3, v8, s19
	v_perm_b32 v2, v3, v2, s20
	v_bfe_u32 v3, v5, 16, 1
	v_bfe_u32 v8, v4, 16, 1
	v_add3_u32 v4, v4, v8, s19
	v_add3_u32 v3, v5, v3, s19
	v_perm_b32 v3, v3, v4, s20
	ds_write2st64_b64 v53, v[10:11], v[2:3] offset0:2 offset1:3
	s_and_saveexec_b64 s[4:5], vcc
	s_cbranch_execz .LBB944_211
; %bb.210:
	v_add_co_u32_e32 v4, vcc, s27, v43
	v_addc_co_u32_e64 v5, s[6:7], 0, 0, vcc
	v_mov_b32_e32 v2, s18
	v_mad_u64_u32 v[4:5], s[6:7], s8, v2, v[4:5]
	v_mov_b32_e32 v3, 0
	s_mul_i32 s6, s9, s18
	v_mov_b32_e32 v2, s26
	v_add_u32_e32 v5, s6, v5
	v_mad_u64_u32 v[2:3], s[6:7], v4, s48, v[2:3]
	v_mov_b32_e32 v4, v3
	v_mad_u64_u32 v[4:5], s[6:7], v5, s48, v[4:5]
	v_mov_b32_e32 v3, v4
	v_lshlrev_b64 v[2:3], 2, v[2:3]
	v_mov_b32_e32 v5, s47
	v_add_co_u32_e32 v4, vcc, s46, v2
	v_addc_co_u32_e32 v5, vcc, v5, v3, vcc
	global_store_dword v[4:5], v20, off
	v_mov_b32_e32 v4, s45
	v_add_co_u32_e32 v2, vcc, s44, v2
	v_addc_co_u32_e32 v3, vcc, v4, v3, vcc
	global_store_dword v[2:3], v6, off
.LBB944_211:
	s_or_b64 exec, exec, s[4:5]
	v_lshl_or_b32 v30, v41, 9, v7
	s_waitcnt lgkmcnt(0)
	s_barrier
	s_load_dword s4, s[42:43], 0x0
	ds_read_b128 v[2:5], v30
	ds_read_b128 v[6:9], v30 offset:16
	ds_read_b128 v[10:13], v30 offset:2048
	;; [unrolled: 1-line block ×7, first 2 shown]
	v_mov_b32_e32 v35, 0x80
	v_mov_b32_e32 v54, 0x140
	s_mov_b64 s[10:11], -1
	s_waitcnt lgkmcnt(0)
	s_mov_b32 s5, s4
	s_mov_b32 s6, s4
	;; [unrolled: 1-line block ×3, first 2 shown]
	s_movk_i32 s9, 0x80
	s_movk_i32 s21, 0x7f
	s_mov_b32 s22, 0xffffff
	s_mov_b32 s23, 0x5040100
	v_mov_b32_e32 v55, 0
	v_bfrev_b32_e32 v56, 60
	s_branch .LBB944_215
.LBB944_212:                            ;   in Loop: Header=BB944_215 Depth=1
	s_or_b64 exec, exec, s[16:17]
.LBB944_213:                            ;   in Loop: Header=BB944_215 Depth=1
	s_or_b64 exec, exec, s[14:15]
.LBB944_214:                            ;   in Loop: Header=BB944_215 Depth=1
	s_or_b64 exec, exec, s[12:13]
	v_perm_b32 v61, v57, v51, s23
	v_perm_b32 v60, v44, v46, s23
	s_xor_b64 s[12:13], s[10:11], -1
	s_mov_b64 s[10:11], 0
	v_mov_b32_e32 v46, v48
	v_mfma_f32_16x16x16bf16_1k v[60:63], v[60:61], v[30:31], v[34:37]
	s_and_b64 vcc, exec, s[12:13]
	v_mov_b32_e32 v51, v50
	s_nop 4
	v_perm_b32 v37, v59, v58, s23
	v_perm_b32 v36, v42, v52, s23
	v_mov_b32_e32 v35, v47
	v_mov_b32_e32 v52, v49
	v_mfma_f32_16x16x16bf16_1k v[58:61], v[36:37], v[32:33], v[60:63]
	s_nop 7
	s_nop 2
	v_pk_mul_f32 v[58:59], v[58:59], s[4:5]
	v_pk_mul_f32 v[36:37], v[60:61], s[6:7]
	v_bfe_u32 v34, v59, 16, 1
	v_bfe_u32 v38, v58, 16, 1
	;; [unrolled: 1-line block ×4, first 2 shown]
	v_add3_u32 v38, v58, v38, s19
	v_add3_u32 v34, v59, v34, s19
	;; [unrolled: 1-line block ×4, first 2 shown]
	v_perm_b32 v34, v34, v38, s20
	v_perm_b32 v36, v37, v36, s20
	buffer_store_dword v34, v54, s[0:3], 0 offen
	buffer_store_dword v36, v54, s[0:3], 0 offen offset:4
	v_mov_b32_e32 v54, 0x148
	s_cbranch_vccnz .LBB944_597
.LBB944_215:                            ; =>This Inner Loop Header: Depth=1
	buffer_load_dword v36, v35, s[0:3], 0 offen
	buffer_load_dword v34, v35, s[0:3], 0 offen offset:4
	buffer_load_dword v40, v35, s[0:3], 0 offen offset:8
	;; [unrolled: 1-line block ×3, first 2 shown]
	v_mov_b32_e32 v35, 0
	s_waitcnt vmcnt(3)
	v_cmp_ne_u16_sdwa s[14:15], v36, v55 src0_sel:BYTE_0 src1_sel:DWORD
	s_and_saveexec_b64 s[12:13], s[14:15]
	s_cbranch_execz .LBB944_221
; %bb.216:                              ;   in Loop: Header=BB944_215 Depth=1
	v_cmp_ne_u16_sdwa s[16:17], v36, s9 src0_sel:BYTE_0 src1_sel:DWORD
	v_mov_b32_e32 v35, 0xffff8000
	s_and_saveexec_b64 s[14:15], s[16:17]
	s_cbranch_execz .LBB944_220
; %bb.217:                              ;   in Loop: Header=BB944_215 Depth=1
	v_and_b32_e32 v37, 0x7f, v36
	v_cmp_ne_u32_e32 vcc, s21, v37
	v_mov_b32_e32 v35, 0x7f80
	s_and_saveexec_b64 s[16:17], vcc
	s_cbranch_execz .LBB944_219
; %bb.218:                              ;   in Loop: Header=BB944_215 Depth=1
	v_and_b32_e32 v35, 7, v36
	v_ffbh_u32_e32 v44, v35
	v_min_u32_e32 v44, 32, v44
	v_subrev_u32_e32 v57, 28, v44
	v_lshlrev_b64 v[58:59], v57, v[36:37]
	v_lshrrev_b32_e32 v42, 3, v37
	v_sub_u32_e32 v44, 29, v44
	v_and_b32_e32 v57, 7, v58
	v_cmp_gt_u32_e32 vcc, 8, v37
	v_cndmask_b32_e32 v37, v42, v44, vcc
	v_cndmask_b32_e32 v35, v35, v57, vcc
	v_lshlrev_b32_e32 v42, 24, v36
	v_lshlrev_b32_e32 v35, 20, v35
	v_and_b32_e32 v42, 0x80000000, v42
	v_lshl_add_u32 v37, v37, 23, v56
	v_or3_b32 v35, v42, v37, v35
	v_lshrrev_b32_e32 v35, 16, v35
.LBB944_219:                            ;   in Loop: Header=BB944_215 Depth=1
	s_or_b64 exec, exec, s[16:17]
.LBB944_220:                            ;   in Loop: Header=BB944_215 Depth=1
	s_or_b64 exec, exec, s[14:15]
.LBB944_221:                            ;   in Loop: Header=BB944_215 Depth=1
	s_or_b64 exec, exec, s[12:13]
	v_lshrrev_b16_e32 v42, 8, v36
	v_cmp_ne_u16_e32 vcc, 0, v42
	v_mov_b32_e32 v57, 0
	v_mov_b32_e32 v37, 0
	s_and_saveexec_b64 s[12:13], vcc
	s_cbranch_execz .LBB944_227
; %bb.222:                              ;   in Loop: Header=BB944_215 Depth=1
	v_cmp_ne_u16_e32 vcc, s9, v42
	v_mov_b32_e32 v37, 0xffff8000
	s_and_saveexec_b64 s[14:15], vcc
	s_cbranch_execz .LBB944_226
; %bb.223:                              ;   in Loop: Header=BB944_215 Depth=1
	v_and_b32_e32 v44, 0x7f, v42
	v_cmp_ne_u32_e32 vcc, s21, v44
	v_mov_b32_e32 v37, 0x7f80
	s_and_saveexec_b64 s[16:17], vcc
	s_cbranch_execz .LBB944_225
; %bb.224:                              ;   in Loop: Header=BB944_215 Depth=1
	v_and_b32_e32 v37, 7, v42
	v_ffbh_u32_e32 v58, v37
	v_min_u32_e32 v61, 32, v58
	v_subrev_u32_e32 v58, 28, v61
	v_lshlrev_b64 v[58:59], v58, v[42:43]
	v_lshrrev_b32_e32 v60, 3, v44
	v_sub_u32_e32 v42, 29, v61
	v_and_b32_e32 v58, 7, v58
	v_cmp_gt_u32_e32 vcc, 8, v44
	v_cndmask_b32_e32 v42, v60, v42, vcc
	v_cndmask_b32_e32 v37, v37, v58, vcc
	v_lshlrev_b32_e32 v44, 16, v36
	v_lshlrev_b32_e32 v37, 20, v37
	v_and_b32_e32 v44, 0x80000000, v44
	v_lshl_add_u32 v42, v42, 23, v56
	v_or3_b32 v37, v44, v42, v37
	v_lshrrev_b32_e32 v37, 16, v37
.LBB944_225:                            ;   in Loop: Header=BB944_215 Depth=1
	s_or_b64 exec, exec, s[16:17]
.LBB944_226:                            ;   in Loop: Header=BB944_215 Depth=1
	s_or_b64 exec, exec, s[14:15]
.LBB944_227:                            ;   in Loop: Header=BB944_215 Depth=1
	s_or_b64 exec, exec, s[12:13]
	v_lshrrev_b32_e32 v42, 16, v36
	v_cmp_ne_u16_sdwa s[14:15], v42, v55 src0_sel:BYTE_0 src1_sel:DWORD
	s_and_saveexec_b64 s[12:13], s[14:15]
	s_cbranch_execz .LBB944_233
; %bb.228:                              ;   in Loop: Header=BB944_215 Depth=1
	v_cmp_ne_u16_sdwa s[16:17], v42, s9 src0_sel:BYTE_0 src1_sel:DWORD
	v_mov_b32_e32 v57, 0xffff8000
	s_and_saveexec_b64 s[14:15], s[16:17]
	s_cbranch_execz .LBB944_232
; %bb.229:                              ;   in Loop: Header=BB944_215 Depth=1
	v_bfe_u32 v44, v36, 16, 7
	v_cmp_ne_u32_e32 vcc, s21, v44
	v_mov_b32_e32 v57, 0x7f80
	s_and_saveexec_b64 s[16:17], vcc
	s_cbranch_execz .LBB944_231
; %bb.230:                              ;   in Loop: Header=BB944_215 Depth=1
	v_and_b32_e32 v57, 7, v42
	v_ffbh_u32_e32 v58, v57
	v_min_u32_e32 v61, 32, v58
	v_subrev_u32_e32 v58, 28, v61
	v_lshlrev_b64 v[58:59], v58, v[42:43]
	v_lshrrev_b32_e32 v60, 3, v44
	v_sub_u32_e32 v59, 29, v61
	v_and_b32_e32 v58, 7, v58
	v_cmp_gt_u32_e32 vcc, 8, v44
	v_cndmask_b32_e32 v44, v60, v59, vcc
	v_cndmask_b32_e32 v57, v57, v58, vcc
	v_lshlrev_b32_e32 v42, 24, v42
	v_lshlrev_b32_e32 v57, 20, v57
	v_and_b32_e32 v42, 0x80000000, v42
	v_lshl_add_u32 v44, v44, 23, v56
	v_or3_b32 v42, v42, v44, v57
	v_lshrrev_b32_e32 v57, 16, v42
.LBB944_231:                            ;   in Loop: Header=BB944_215 Depth=1
	s_or_b64 exec, exec, s[16:17]
.LBB944_232:                            ;   in Loop: Header=BB944_215 Depth=1
	s_or_b64 exec, exec, s[14:15]
.LBB944_233:                            ;   in Loop: Header=BB944_215 Depth=1
	s_or_b64 exec, exec, s[12:13]
	v_cmp_lt_u32_e32 vcc, s22, v36
	v_mov_b32_e32 v58, 0
	v_mov_b32_e32 v59, 0
	s_and_saveexec_b64 s[12:13], vcc
	s_cbranch_execz .LBB944_239
; %bb.234:                              ;   in Loop: Header=BB944_215 Depth=1
	v_lshrrev_b32_e32 v42, 24, v36
	v_cmp_ne_u32_e32 vcc, s9, v42
	v_mov_b32_e32 v59, 0xffff8000
	s_and_saveexec_b64 s[14:15], vcc
	s_cbranch_execz .LBB944_238
; %bb.235:                              ;   in Loop: Header=BB944_215 Depth=1
	v_bfe_u32 v36, v36, 24, 7
	v_cmp_ne_u32_e32 vcc, s21, v36
	v_mov_b32_e32 v59, 0x7f80
	s_and_saveexec_b64 s[16:17], vcc
	s_cbranch_execz .LBB944_237
; %bb.236:                              ;   in Loop: Header=BB944_215 Depth=1
	v_and_b32_e32 v44, 7, v42
	v_ffbh_u32_e32 v60, v44
	v_min_u32_e32 v62, 32, v60
	v_subrev_u32_e32 v60, 28, v62
	v_lshlrev_b64 v[60:61], v60, v[42:43]
	v_lshrrev_b32_e32 v59, 3, v36
	v_sub_u32_e32 v61, 29, v62
	v_and_b32_e32 v60, 7, v60
	v_cmp_gt_u32_e32 vcc, 8, v36
	v_cndmask_b32_e32 v36, v59, v61, vcc
	v_cndmask_b32_e32 v44, v44, v60, vcc
	v_lshlrev_b32_e32 v42, 24, v42
	v_lshlrev_b32_e32 v44, 20, v44
	v_and_b32_e32 v42, 0x80000000, v42
	v_lshl_add_u32 v36, v36, 23, v56
	v_or3_b32 v36, v42, v36, v44
	v_lshrrev_b32_e32 v59, 16, v36
.LBB944_237:                            ;   in Loop: Header=BB944_215 Depth=1
	s_or_b64 exec, exec, s[16:17]
.LBB944_238:                            ;   in Loop: Header=BB944_215 Depth=1
	s_or_b64 exec, exec, s[14:15]
.LBB944_239:                            ;   in Loop: Header=BB944_215 Depth=1
	s_or_b64 exec, exec, s[12:13]
	s_waitcnt vmcnt(2)
	v_cmp_ne_u16_sdwa s[14:15], v34, v55 src0_sel:BYTE_0 src1_sel:DWORD
	s_and_saveexec_b64 s[12:13], s[14:15]
	s_cbranch_execz .LBB944_245
; %bb.240:                              ;   in Loop: Header=BB944_215 Depth=1
	v_cmp_ne_u16_sdwa s[16:17], v34, s9 src0_sel:BYTE_0 src1_sel:DWORD
	v_mov_b32_e32 v58, 0xffff8000
	s_and_saveexec_b64 s[14:15], s[16:17]
	s_cbranch_execz .LBB944_244
; %bb.241:                              ;   in Loop: Header=BB944_215 Depth=1
	v_and_b32_e32 v36, 0x7f, v34
	v_cmp_ne_u32_e32 vcc, s21, v36
	v_mov_b32_e32 v58, 0x7f80
	s_and_saveexec_b64 s[16:17], vcc
	s_cbranch_execz .LBB944_243
; %bb.242:                              ;   in Loop: Header=BB944_215 Depth=1
	v_and_b32_e32 v42, 7, v34
	v_ffbh_u32_e32 v58, v42
	v_min_u32_e32 v58, 32, v58
	v_subrev_u32_e32 v60, 28, v58
	v_lshlrev_b64 v[60:61], v60, v[34:35]
	v_lshrrev_b32_e32 v44, 3, v36
	v_sub_u32_e32 v58, 29, v58
	v_and_b32_e32 v60, 7, v60
	v_cmp_gt_u32_e32 vcc, 8, v36
	v_cndmask_b32_e32 v36, v44, v58, vcc
	v_cndmask_b32_e32 v42, v42, v60, vcc
	v_lshlrev_b32_e32 v44, 24, v34
	v_lshlrev_b32_e32 v42, 20, v42
	v_and_b32_e32 v44, 0x80000000, v44
	v_lshl_add_u32 v36, v36, 23, v56
	v_or3_b32 v36, v44, v36, v42
	v_lshrrev_b32_e32 v58, 16, v36
.LBB944_243:                            ;   in Loop: Header=BB944_215 Depth=1
	s_or_b64 exec, exec, s[16:17]
.LBB944_244:                            ;   in Loop: Header=BB944_215 Depth=1
	s_or_b64 exec, exec, s[14:15]
.LBB944_245:                            ;   in Loop: Header=BB944_215 Depth=1
	s_or_b64 exec, exec, s[12:13]
	v_lshrrev_b16_e32 v36, 8, v34
	v_cmp_ne_u16_e32 vcc, 0, v36
	v_mov_b32_e32 v60, 0
	v_mov_b32_e32 v42, 0
	s_and_saveexec_b64 s[12:13], vcc
	s_cbranch_execz .LBB944_251
; %bb.246:                              ;   in Loop: Header=BB944_215 Depth=1
	v_cmp_ne_u16_e32 vcc, s9, v36
	v_mov_b32_e32 v42, 0xffff8000
	s_and_saveexec_b64 s[14:15], vcc
	s_cbranch_execz .LBB944_250
; %bb.247:                              ;   in Loop: Header=BB944_215 Depth=1
	v_and_b32_e32 v44, 0x7f, v36
	v_cmp_ne_u32_e32 vcc, s21, v44
	v_mov_b32_e32 v42, 0x7f80
	s_and_saveexec_b64 s[16:17], vcc
	s_cbranch_execz .LBB944_249
; %bb.248:                              ;   in Loop: Header=BB944_215 Depth=1
	v_and_b32_e32 v42, 7, v36
	v_ffbh_u32_e32 v62, v42
	v_min_u32_e32 v64, 32, v62
	v_subrev_u32_e32 v62, 28, v64
	v_lshlrev_b64 v[62:63], v62, v[36:37]
	v_lshrrev_b32_e32 v61, 3, v44
	v_sub_u32_e32 v36, 29, v64
	v_and_b32_e32 v62, 7, v62
	v_cmp_gt_u32_e32 vcc, 8, v44
	v_cndmask_b32_e32 v36, v61, v36, vcc
	v_cndmask_b32_e32 v42, v42, v62, vcc
	v_lshlrev_b32_e32 v44, 16, v34
	v_lshlrev_b32_e32 v42, 20, v42
	v_and_b32_e32 v44, 0x80000000, v44
	v_lshl_add_u32 v36, v36, 23, v56
	v_or3_b32 v36, v44, v36, v42
	v_lshrrev_b32_e32 v42, 16, v36
.LBB944_249:                            ;   in Loop: Header=BB944_215 Depth=1
	s_or_b64 exec, exec, s[16:17]
.LBB944_250:                            ;   in Loop: Header=BB944_215 Depth=1
	s_or_b64 exec, exec, s[14:15]
.LBB944_251:                            ;   in Loop: Header=BB944_215 Depth=1
	s_or_b64 exec, exec, s[12:13]
	v_lshrrev_b32_e32 v36, 16, v34
	v_cmp_ne_u16_sdwa s[14:15], v36, v55 src0_sel:BYTE_0 src1_sel:DWORD
	s_and_saveexec_b64 s[12:13], s[14:15]
	s_cbranch_execz .LBB944_257
; %bb.252:                              ;   in Loop: Header=BB944_215 Depth=1
	v_cmp_ne_u16_sdwa s[16:17], v36, s9 src0_sel:BYTE_0 src1_sel:DWORD
	v_mov_b32_e32 v60, 0xffff8000
	s_and_saveexec_b64 s[14:15], s[16:17]
	s_cbranch_execz .LBB944_256
; %bb.253:                              ;   in Loop: Header=BB944_215 Depth=1
	v_bfe_u32 v44, v34, 16, 7
	v_cmp_ne_u32_e32 vcc, s21, v44
	v_mov_b32_e32 v60, 0x7f80
	s_and_saveexec_b64 s[16:17], vcc
	s_cbranch_execz .LBB944_255
; %bb.254:                              ;   in Loop: Header=BB944_215 Depth=1
	v_and_b32_e32 v62, 7, v36
	v_ffbh_u32_e32 v60, v62
	v_min_u32_e32 v64, 32, v60
	v_subrev_u32_e32 v60, 28, v64
	v_lshlrev_b64 v[60:61], v60, v[36:37]
	v_lshrrev_b32_e32 v63, 3, v44
	v_sub_u32_e32 v61, 29, v64
	v_and_b32_e32 v60, 7, v60
	v_cmp_gt_u32_e32 vcc, 8, v44
	v_cndmask_b32_e32 v44, v63, v61, vcc
	v_cndmask_b32_e32 v60, v62, v60, vcc
	v_lshlrev_b32_e32 v36, 24, v36
	v_lshlrev_b32_e32 v60, 20, v60
	v_and_b32_e32 v36, 0x80000000, v36
	v_lshl_add_u32 v44, v44, 23, v56
	v_or3_b32 v36, v36, v44, v60
	v_lshrrev_b32_e32 v60, 16, v36
.LBB944_255:                            ;   in Loop: Header=BB944_215 Depth=1
	s_or_b64 exec, exec, s[16:17]
.LBB944_256:                            ;   in Loop: Header=BB944_215 Depth=1
	s_or_b64 exec, exec, s[14:15]
.LBB944_257:                            ;   in Loop: Header=BB944_215 Depth=1
	s_or_b64 exec, exec, s[12:13]
	v_cmp_lt_u32_e32 vcc, s22, v34
	v_mov_b32_e32 v44, 0
	v_mov_b32_e32 v61, 0
	s_and_saveexec_b64 s[12:13], vcc
	s_cbranch_execz .LBB944_263
; %bb.258:                              ;   in Loop: Header=BB944_215 Depth=1
	v_lshrrev_b32_e32 v36, 24, v34
	v_cmp_ne_u32_e32 vcc, s9, v36
	v_mov_b32_e32 v61, 0xffff8000
	s_and_saveexec_b64 s[14:15], vcc
	s_cbranch_execz .LBB944_262
; %bb.259:                              ;   in Loop: Header=BB944_215 Depth=1
	v_bfe_u32 v34, v34, 24, 7
	v_cmp_ne_u32_e32 vcc, s21, v34
	v_mov_b32_e32 v61, 0x7f80
	s_and_saveexec_b64 s[16:17], vcc
	s_cbranch_execz .LBB944_261
; %bb.260:                              ;   in Loop: Header=BB944_215 Depth=1
	v_and_b32_e32 v61, 7, v36
	v_ffbh_u32_e32 v62, v61
	v_min_u32_e32 v65, 32, v62
	v_subrev_u32_e32 v62, 28, v65
	v_lshlrev_b64 v[62:63], v62, v[36:37]
	v_lshrrev_b32_e32 v64, 3, v34
	v_sub_u32_e32 v63, 29, v65
	v_and_b32_e32 v62, 7, v62
	v_cmp_gt_u32_e32 vcc, 8, v34
	v_cndmask_b32_e32 v34, v64, v63, vcc
	v_cndmask_b32_e32 v61, v61, v62, vcc
	v_lshlrev_b32_e32 v36, 24, v36
	v_lshlrev_b32_e32 v61, 20, v61
	v_and_b32_e32 v36, 0x80000000, v36
	v_lshl_add_u32 v34, v34, 23, v56
	v_or3_b32 v34, v36, v34, v61
	v_lshrrev_b32_e32 v61, 16, v34
.LBB944_261:                            ;   in Loop: Header=BB944_215 Depth=1
	s_or_b64 exec, exec, s[16:17]
.LBB944_262:                            ;   in Loop: Header=BB944_215 Depth=1
	s_or_b64 exec, exec, s[14:15]
.LBB944_263:                            ;   in Loop: Header=BB944_215 Depth=1
	s_or_b64 exec, exec, s[12:13]
	v_perm_b32 v63, v59, v57, s23
	v_perm_b32 v62, v37, v35, s23
	;; [unrolled: 1-line block ×4, first 2 shown]
	s_waitcnt vmcnt(1)
	v_cmp_ne_u16_sdwa s[14:15], v40, v55 src0_sel:BYTE_0 src1_sel:DWORD
	v_mfma_f32_16x16x16bf16_1k v[34:37], v[62:63], v[2:3], 0
	v_mfma_f32_16x16x16bf16_1k v[34:37], v[58:59], v[4:5], v[34:37]
	s_and_saveexec_b64 s[12:13], s[14:15]
	s_cbranch_execz .LBB944_269
; %bb.264:                              ;   in Loop: Header=BB944_215 Depth=1
	v_cmp_ne_u16_sdwa s[16:17], v40, s9 src0_sel:BYTE_0 src1_sel:DWORD
	v_mov_b32_e32 v44, 0xffff8000
	s_and_saveexec_b64 s[14:15], s[16:17]
	s_cbranch_execz .LBB944_268
; %bb.265:                              ;   in Loop: Header=BB944_215 Depth=1
	v_and_b32_e32 v42, 0x7f, v40
	v_cmp_ne_u32_e32 vcc, s21, v42
	v_mov_b32_e32 v44, 0x7f80
	s_and_saveexec_b64 s[16:17], vcc
	s_cbranch_execz .LBB944_267
; %bb.266:                              ;   in Loop: Header=BB944_215 Depth=1
	v_and_b32_e32 v44, 7, v40
	v_ffbh_u32_e32 v58, v44
	v_min_u32_e32 v60, 32, v58
	v_subrev_u32_e32 v58, 28, v60
	v_lshlrev_b64 v[58:59], v58, v[40:41]
	v_lshrrev_b32_e32 v57, 3, v42
	v_sub_u32_e32 v59, 29, v60
	v_and_b32_e32 v58, 7, v58
	v_cmp_gt_u32_e32 vcc, 8, v42
	v_cndmask_b32_e32 v42, v57, v59, vcc
	v_cndmask_b32_e32 v44, v44, v58, vcc
	v_lshlrev_b32_e32 v57, 24, v40
	v_lshlrev_b32_e32 v44, 20, v44
	v_and_b32_e32 v57, 0x80000000, v57
	v_lshl_add_u32 v42, v42, 23, v56
	v_or3_b32 v42, v57, v42, v44
	v_lshrrev_b32_e32 v44, 16, v42
.LBB944_267:                            ;   in Loop: Header=BB944_215 Depth=1
	s_or_b64 exec, exec, s[16:17]
.LBB944_268:                            ;   in Loop: Header=BB944_215 Depth=1
	s_or_b64 exec, exec, s[14:15]
.LBB944_269:                            ;   in Loop: Header=BB944_215 Depth=1
	s_or_b64 exec, exec, s[12:13]
	v_lshrrev_b16_e32 v42, 8, v40
	v_cmp_ne_u16_e32 vcc, 0, v42
	v_mov_b32_e32 v59, 0
	v_mov_b32_e32 v58, 0
	s_and_saveexec_b64 s[12:13], vcc
	s_cbranch_execz .LBB944_275
; %bb.270:                              ;   in Loop: Header=BB944_215 Depth=1
	v_cmp_ne_u16_e32 vcc, s9, v42
	v_mov_b32_e32 v58, 0xffff8000
	s_and_saveexec_b64 s[14:15], vcc
	s_cbranch_execz .LBB944_274
; %bb.271:                              ;   in Loop: Header=BB944_215 Depth=1
	v_and_b32_e32 v57, 0x7f, v42
	v_cmp_ne_u32_e32 vcc, s21, v57
	v_mov_b32_e32 v58, 0x7f80
	s_and_saveexec_b64 s[16:17], vcc
	s_cbranch_execz .LBB944_273
; %bb.272:                              ;   in Loop: Header=BB944_215 Depth=1
	v_and_b32_e32 v58, 7, v42
	v_ffbh_u32_e32 v60, v58
	v_min_u32_e32 v63, 32, v60
	v_subrev_u32_e32 v60, 28, v63
	v_lshlrev_b64 v[60:61], v60, v[42:43]
	v_lshrrev_b32_e32 v62, 3, v57
	v_sub_u32_e32 v42, 29, v63
	v_and_b32_e32 v60, 7, v60
	v_cmp_gt_u32_e32 vcc, 8, v57
	v_cndmask_b32_e32 v42, v62, v42, vcc
	v_cndmask_b32_e32 v57, v58, v60, vcc
	v_lshlrev_b32_e32 v58, 16, v40
	v_lshlrev_b32_e32 v57, 20, v57
	v_and_b32_e32 v58, 0x80000000, v58
	v_lshl_add_u32 v42, v42, 23, v56
	v_or3_b32 v42, v58, v42, v57
	v_lshrrev_b32_e32 v58, 16, v42
.LBB944_273:                            ;   in Loop: Header=BB944_215 Depth=1
	s_or_b64 exec, exec, s[16:17]
.LBB944_274:                            ;   in Loop: Header=BB944_215 Depth=1
	s_or_b64 exec, exec, s[14:15]
.LBB944_275:                            ;   in Loop: Header=BB944_215 Depth=1
	s_or_b64 exec, exec, s[12:13]
	v_lshrrev_b32_e32 v42, 16, v40
	v_cmp_ne_u16_sdwa s[14:15], v42, v55 src0_sel:BYTE_0 src1_sel:DWORD
	s_and_saveexec_b64 s[12:13], s[14:15]
	s_cbranch_execz .LBB944_281
; %bb.276:                              ;   in Loop: Header=BB944_215 Depth=1
	v_cmp_ne_u16_sdwa s[16:17], v42, s9 src0_sel:BYTE_0 src1_sel:DWORD
	v_mov_b32_e32 v59, 0xffff8000
	s_and_saveexec_b64 s[14:15], s[16:17]
	s_cbranch_execz .LBB944_280
; %bb.277:                              ;   in Loop: Header=BB944_215 Depth=1
	v_bfe_u32 v57, v40, 16, 7
	v_cmp_ne_u32_e32 vcc, s21, v57
	v_mov_b32_e32 v59, 0x7f80
	s_and_saveexec_b64 s[16:17], vcc
	s_cbranch_execz .LBB944_279
; %bb.278:                              ;   in Loop: Header=BB944_215 Depth=1
	v_and_b32_e32 v59, 7, v42
	v_ffbh_u32_e32 v60, v59
	v_min_u32_e32 v63, 32, v60
	v_subrev_u32_e32 v60, 28, v63
	v_lshlrev_b64 v[60:61], v60, v[42:43]
	v_lshrrev_b32_e32 v62, 3, v57
	v_sub_u32_e32 v61, 29, v63
	v_and_b32_e32 v60, 7, v60
	v_cmp_gt_u32_e32 vcc, 8, v57
	v_cndmask_b32_e32 v57, v62, v61, vcc
	v_cndmask_b32_e32 v59, v59, v60, vcc
	v_lshlrev_b32_e32 v42, 24, v42
	v_lshlrev_b32_e32 v59, 20, v59
	v_and_b32_e32 v42, 0x80000000, v42
	v_lshl_add_u32 v57, v57, 23, v56
	v_or3_b32 v42, v42, v57, v59
	v_lshrrev_b32_e32 v59, 16, v42
.LBB944_279:                            ;   in Loop: Header=BB944_215 Depth=1
	s_or_b64 exec, exec, s[16:17]
.LBB944_280:                            ;   in Loop: Header=BB944_215 Depth=1
	s_or_b64 exec, exec, s[14:15]
.LBB944_281:                            ;   in Loop: Header=BB944_215 Depth=1
	s_or_b64 exec, exec, s[12:13]
	v_cmp_lt_u32_e32 vcc, s22, v40
	v_mov_b32_e32 v60, 0
	v_mov_b32_e32 v61, 0
	s_and_saveexec_b64 s[12:13], vcc
	s_cbranch_execz .LBB944_287
; %bb.282:                              ;   in Loop: Header=BB944_215 Depth=1
	v_lshrrev_b32_e32 v42, 24, v40
	v_cmp_ne_u32_e32 vcc, s9, v42
	v_mov_b32_e32 v61, 0xffff8000
	s_and_saveexec_b64 s[14:15], vcc
	s_cbranch_execz .LBB944_286
; %bb.283:                              ;   in Loop: Header=BB944_215 Depth=1
	v_bfe_u32 v40, v40, 24, 7
	v_cmp_ne_u32_e32 vcc, s21, v40
	v_mov_b32_e32 v61, 0x7f80
	s_and_saveexec_b64 s[16:17], vcc
	s_cbranch_execz .LBB944_285
; %bb.284:                              ;   in Loop: Header=BB944_215 Depth=1
	v_and_b32_e32 v57, 7, v42
	v_ffbh_u32_e32 v62, v57
	v_min_u32_e32 v64, 32, v62
	v_subrev_u32_e32 v62, 28, v64
	v_lshlrev_b64 v[62:63], v62, v[42:43]
	v_lshrrev_b32_e32 v61, 3, v40
	v_sub_u32_e32 v63, 29, v64
	v_and_b32_e32 v62, 7, v62
	v_cmp_gt_u32_e32 vcc, 8, v40
	v_cndmask_b32_e32 v40, v61, v63, vcc
	v_cndmask_b32_e32 v57, v57, v62, vcc
	v_lshlrev_b32_e32 v42, 24, v42
	v_lshlrev_b32_e32 v57, 20, v57
	v_and_b32_e32 v42, 0x80000000, v42
	v_lshl_add_u32 v40, v40, 23, v56
	v_or3_b32 v40, v42, v40, v57
	v_lshrrev_b32_e32 v61, 16, v40
.LBB944_285:                            ;   in Loop: Header=BB944_215 Depth=1
	s_or_b64 exec, exec, s[16:17]
.LBB944_286:                            ;   in Loop: Header=BB944_215 Depth=1
	s_or_b64 exec, exec, s[14:15]
.LBB944_287:                            ;   in Loop: Header=BB944_215 Depth=1
	s_or_b64 exec, exec, s[12:13]
	s_waitcnt vmcnt(0)
	v_cmp_ne_u16_sdwa s[14:15], v38, v55 src0_sel:BYTE_0 src1_sel:DWORD
	s_and_saveexec_b64 s[12:13], s[14:15]
	s_cbranch_execz .LBB944_293
; %bb.288:                              ;   in Loop: Header=BB944_215 Depth=1
	v_cmp_ne_u16_sdwa s[16:17], v38, s9 src0_sel:BYTE_0 src1_sel:DWORD
	v_mov_b32_e32 v60, 0xffff8000
	s_and_saveexec_b64 s[14:15], s[16:17]
	s_cbranch_execz .LBB944_292
; %bb.289:                              ;   in Loop: Header=BB944_215 Depth=1
	v_and_b32_e32 v40, 0x7f, v38
	v_cmp_ne_u32_e32 vcc, s21, v40
	v_mov_b32_e32 v60, 0x7f80
	s_and_saveexec_b64 s[16:17], vcc
	s_cbranch_execz .LBB944_291
; %bb.290:                              ;   in Loop: Header=BB944_215 Depth=1
	v_and_b32_e32 v42, 7, v38
	v_ffbh_u32_e32 v60, v42
	v_min_u32_e32 v60, 32, v60
	v_subrev_u32_e32 v62, 28, v60
	v_lshlrev_b64 v[62:63], v62, v[38:39]
	v_lshrrev_b32_e32 v57, 3, v40
	v_sub_u32_e32 v60, 29, v60
	v_and_b32_e32 v62, 7, v62
	v_cmp_gt_u32_e32 vcc, 8, v40
	v_cndmask_b32_e32 v40, v57, v60, vcc
	v_cndmask_b32_e32 v42, v42, v62, vcc
	v_lshlrev_b32_e32 v57, 24, v38
	v_lshlrev_b32_e32 v42, 20, v42
	v_and_b32_e32 v57, 0x80000000, v57
	v_lshl_add_u32 v40, v40, 23, v56
	v_or3_b32 v40, v57, v40, v42
	v_lshrrev_b32_e32 v60, 16, v40
.LBB944_291:                            ;   in Loop: Header=BB944_215 Depth=1
	s_or_b64 exec, exec, s[16:17]
.LBB944_292:                            ;   in Loop: Header=BB944_215 Depth=1
	s_or_b64 exec, exec, s[14:15]
.LBB944_293:                            ;   in Loop: Header=BB944_215 Depth=1
	s_or_b64 exec, exec, s[12:13]
	v_lshrrev_b16_e32 v40, 8, v38
	v_cmp_ne_u16_e32 vcc, 0, v40
	v_mov_b32_e32 v63, 0
	v_mov_b32_e32 v62, 0
	s_and_saveexec_b64 s[12:13], vcc
	s_cbranch_execz .LBB944_299
; %bb.294:                              ;   in Loop: Header=BB944_215 Depth=1
	v_cmp_ne_u16_e32 vcc, s9, v40
	v_mov_b32_e32 v62, 0xffff8000
	s_and_saveexec_b64 s[14:15], vcc
	s_cbranch_execz .LBB944_298
; %bb.295:                              ;   in Loop: Header=BB944_215 Depth=1
	v_and_b32_e32 v42, 0x7f, v40
	v_cmp_ne_u32_e32 vcc, s21, v42
	v_mov_b32_e32 v62, 0x7f80
	s_and_saveexec_b64 s[16:17], vcc
	s_cbranch_execz .LBB944_297
; %bb.296:                              ;   in Loop: Header=BB944_215 Depth=1
	v_and_b32_e32 v57, 7, v40
	v_ffbh_u32_e32 v64, v57
	v_min_u32_e32 v66, 32, v64
	v_subrev_u32_e32 v64, 28, v66
	v_lshlrev_b64 v[64:65], v64, v[40:41]
	v_lshrrev_b32_e32 v62, 3, v42
	v_sub_u32_e32 v40, 29, v66
	v_and_b32_e32 v64, 7, v64
	v_cmp_gt_u32_e32 vcc, 8, v42
	v_cndmask_b32_e32 v40, v62, v40, vcc
	v_cndmask_b32_e32 v42, v57, v64, vcc
	v_lshlrev_b32_e32 v57, 16, v38
	v_lshlrev_b32_e32 v42, 20, v42
	v_and_b32_e32 v57, 0x80000000, v57
	v_lshl_add_u32 v40, v40, 23, v56
	v_or3_b32 v40, v57, v40, v42
	v_lshrrev_b32_e32 v62, 16, v40
.LBB944_297:                            ;   in Loop: Header=BB944_215 Depth=1
	s_or_b64 exec, exec, s[16:17]
.LBB944_298:                            ;   in Loop: Header=BB944_215 Depth=1
	s_or_b64 exec, exec, s[14:15]
.LBB944_299:                            ;   in Loop: Header=BB944_215 Depth=1
	s_or_b64 exec, exec, s[12:13]
	v_lshrrev_b32_e32 v40, 16, v38
	v_cmp_ne_u16_sdwa s[14:15], v40, v55 src0_sel:BYTE_0 src1_sel:DWORD
	s_and_saveexec_b64 s[12:13], s[14:15]
	s_cbranch_execz .LBB944_305
; %bb.300:                              ;   in Loop: Header=BB944_215 Depth=1
	v_cmp_ne_u16_sdwa s[16:17], v40, s9 src0_sel:BYTE_0 src1_sel:DWORD
	v_mov_b32_e32 v63, 0xffff8000
	s_and_saveexec_b64 s[14:15], s[16:17]
	s_cbranch_execz .LBB944_304
; %bb.301:                              ;   in Loop: Header=BB944_215 Depth=1
	v_bfe_u32 v42, v38, 16, 7
	v_cmp_ne_u32_e32 vcc, s21, v42
	v_mov_b32_e32 v63, 0x7f80
	s_and_saveexec_b64 s[16:17], vcc
	s_cbranch_execz .LBB944_303
; %bb.302:                              ;   in Loop: Header=BB944_215 Depth=1
	v_and_b32_e32 v57, 7, v40
	v_ffbh_u32_e32 v64, v57
	v_min_u32_e32 v66, 32, v64
	v_subrev_u32_e32 v64, 28, v66
	v_lshlrev_b64 v[64:65], v64, v[40:41]
	v_lshrrev_b32_e32 v63, 3, v42
	v_sub_u32_e32 v65, 29, v66
	v_and_b32_e32 v64, 7, v64
	v_cmp_gt_u32_e32 vcc, 8, v42
	v_cndmask_b32_e32 v42, v63, v65, vcc
	v_cndmask_b32_e32 v57, v57, v64, vcc
	v_lshlrev_b32_e32 v40, 24, v40
	v_lshlrev_b32_e32 v57, 20, v57
	v_and_b32_e32 v40, 0x80000000, v40
	v_lshl_add_u32 v42, v42, 23, v56
	v_or3_b32 v40, v40, v42, v57
	v_lshrrev_b32_e32 v63, 16, v40
.LBB944_303:                            ;   in Loop: Header=BB944_215 Depth=1
	s_or_b64 exec, exec, s[16:17]
.LBB944_304:                            ;   in Loop: Header=BB944_215 Depth=1
	s_or_b64 exec, exec, s[14:15]
.LBB944_305:                            ;   in Loop: Header=BB944_215 Depth=1
	s_or_b64 exec, exec, s[12:13]
	v_cmp_lt_u32_e32 vcc, s22, v38
	v_mov_b32_e32 v57, 0
	v_mov_b32_e32 v64, 0
	s_and_saveexec_b64 s[12:13], vcc
	s_cbranch_execz .LBB944_311
; %bb.306:                              ;   in Loop: Header=BB944_215 Depth=1
	v_lshrrev_b32_e32 v40, 24, v38
	v_cmp_ne_u32_e32 vcc, s9, v40
	v_mov_b32_e32 v64, 0xffff8000
	s_and_saveexec_b64 s[14:15], vcc
	s_cbranch_execz .LBB944_310
; %bb.307:                              ;   in Loop: Header=BB944_215 Depth=1
	v_bfe_u32 v38, v38, 24, 7
	v_cmp_ne_u32_e32 vcc, s21, v38
	v_mov_b32_e32 v64, 0x7f80
	s_and_saveexec_b64 s[16:17], vcc
	s_cbranch_execz .LBB944_309
; %bb.308:                              ;   in Loop: Header=BB944_215 Depth=1
	v_and_b32_e32 v42, 7, v40
	v_ffbh_u32_e32 v64, v42
	v_min_u32_e32 v67, 32, v64
	v_subrev_u32_e32 v64, 28, v67
	v_lshlrev_b64 v[64:65], v64, v[40:41]
	v_lshrrev_b32_e32 v66, 3, v38
	v_sub_u32_e32 v65, 29, v67
	v_and_b32_e32 v64, 7, v64
	v_cmp_gt_u32_e32 vcc, 8, v38
	v_cndmask_b32_e32 v38, v66, v65, vcc
	v_cndmask_b32_e32 v42, v42, v64, vcc
	v_lshlrev_b32_e32 v40, 24, v40
	v_lshlrev_b32_e32 v42, 20, v42
	v_and_b32_e32 v40, 0x80000000, v40
	v_lshl_add_u32 v38, v38, 23, v56
	v_or3_b32 v38, v40, v38, v42
	v_lshrrev_b32_e32 v64, 16, v38
.LBB944_309:                            ;   in Loop: Header=BB944_215 Depth=1
	s_or_b64 exec, exec, s[16:17]
.LBB944_310:                            ;   in Loop: Header=BB944_215 Depth=1
	s_or_b64 exec, exec, s[14:15]
.LBB944_311:                            ;   in Loop: Header=BB944_215 Depth=1
	s_or_b64 exec, exec, s[12:13]
	v_perm_b32 v58, v58, v44, s23
	buffer_load_dword v44, v46, s[0:3], 0 offen
	buffer_load_dword v42, v46, s[0:3], 0 offen offset:4
	buffer_load_dword v40, v46, s[0:3], 0 offen offset:8
	;; [unrolled: 1-line block ×3, first 2 shown]
	v_perm_b32 v59, v61, v59, s23
	s_waitcnt vmcnt(3)
	v_cmp_ne_u16_sdwa s[14:15], v44, v55 src0_sel:BYTE_0 src1_sel:DWORD
	v_mfma_f32_16x16x16bf16_1k v[34:37], v[58:59], v[6:7], v[34:37]
	v_perm_b32 v59, v64, v63, s23
	v_perm_b32 v58, v62, v60, s23
	s_nop 1
	v_mfma_f32_16x16x16bf16_1k v[34:37], v[58:59], v[8:9], v[34:37]
	s_and_saveexec_b64 s[12:13], s[14:15]
	s_cbranch_execz .LBB944_317
; %bb.312:                              ;   in Loop: Header=BB944_215 Depth=1
	v_cmp_ne_u16_sdwa s[16:17], v44, s9 src0_sel:BYTE_0 src1_sel:DWORD
	v_mov_b32_e32 v57, 0xffff8000
	s_and_saveexec_b64 s[14:15], s[16:17]
	s_cbranch_execz .LBB944_316
; %bb.313:                              ;   in Loop: Header=BB944_215 Depth=1
	v_and_b32_e32 v46, 0x7f, v44
	v_cmp_ne_u32_e32 vcc, s21, v46
	v_mov_b32_e32 v57, 0x7f80
	s_and_saveexec_b64 s[16:17], vcc
	s_cbranch_execz .LBB944_315
; %bb.314:                              ;   in Loop: Header=BB944_215 Depth=1
	v_and_b32_e32 v57, 7, v44
	v_ffbh_u32_e32 v58, v57
	v_min_u32_e32 v61, 32, v58
	v_subrev_u32_e32 v58, 28, v61
	v_lshlrev_b64 v[58:59], v58, v[44:45]
	v_lshrrev_b32_e32 v60, 3, v46
	v_sub_u32_e32 v59, 29, v61
	v_and_b32_e32 v58, 7, v58
	v_cmp_gt_u32_e32 vcc, 8, v46
	v_cndmask_b32_e32 v46, v60, v59, vcc
	v_cndmask_b32_e32 v57, v57, v58, vcc
	v_lshlrev_b32_e32 v58, 24, v44
	v_lshlrev_b32_e32 v57, 20, v57
	v_and_b32_e32 v58, 0x80000000, v58
	v_lshl_add_u32 v46, v46, 23, v56
	v_or3_b32 v46, v58, v46, v57
	v_lshrrev_b32_e32 v57, 16, v46
.LBB944_315:                            ;   in Loop: Header=BB944_215 Depth=1
	s_or_b64 exec, exec, s[16:17]
.LBB944_316:                            ;   in Loop: Header=BB944_215 Depth=1
	s_or_b64 exec, exec, s[14:15]
.LBB944_317:                            ;   in Loop: Header=BB944_215 Depth=1
	s_or_b64 exec, exec, s[12:13]
	v_lshrrev_b16_e32 v46, 8, v44
	v_cmp_ne_u16_e32 vcc, 0, v46
	v_mov_b32_e32 v59, 0
	v_mov_b32_e32 v58, 0
	s_and_saveexec_b64 s[12:13], vcc
	s_cbranch_execz .LBB944_323
; %bb.318:                              ;   in Loop: Header=BB944_215 Depth=1
	v_cmp_ne_u16_e32 vcc, s9, v46
	v_mov_b32_e32 v58, 0xffff8000
	s_and_saveexec_b64 s[14:15], vcc
	s_cbranch_execz .LBB944_322
; %bb.319:                              ;   in Loop: Header=BB944_215 Depth=1
	v_and_b32_e32 v60, 0x7f, v46
	v_cmp_ne_u32_e32 vcc, s21, v60
	v_mov_b32_e32 v58, 0x7f80
	s_and_saveexec_b64 s[16:17], vcc
	s_cbranch_execz .LBB944_321
; %bb.320:                              ;   in Loop: Header=BB944_215 Depth=1
	v_and_b32_e32 v58, 7, v46
	v_ffbh_u32_e32 v62, v58
	v_min_u32_e32 v64, 32, v62
	v_subrev_u32_e32 v62, 28, v64
	v_lshlrev_b64 v[62:63], v62, v[46:47]
	v_lshrrev_b32_e32 v61, 3, v60
	v_sub_u32_e32 v46, 29, v64
	v_and_b32_e32 v62, 7, v62
	v_cmp_gt_u32_e32 vcc, 8, v60
	v_cndmask_b32_e32 v46, v61, v46, vcc
	v_cndmask_b32_e32 v58, v58, v62, vcc
	v_lshlrev_b32_e32 v60, 16, v44
	v_lshlrev_b32_e32 v58, 20, v58
	v_and_b32_e32 v60, 0x80000000, v60
	v_lshl_add_u32 v46, v46, 23, v56
	v_or3_b32 v46, v60, v46, v58
	v_lshrrev_b32_e32 v58, 16, v46
.LBB944_321:                            ;   in Loop: Header=BB944_215 Depth=1
	s_or_b64 exec, exec, s[16:17]
.LBB944_322:                            ;   in Loop: Header=BB944_215 Depth=1
	s_or_b64 exec, exec, s[14:15]
.LBB944_323:                            ;   in Loop: Header=BB944_215 Depth=1
	s_or_b64 exec, exec, s[12:13]
	v_lshrrev_b32_e32 v46, 16, v44
	v_cmp_ne_u16_sdwa s[14:15], v46, v55 src0_sel:BYTE_0 src1_sel:DWORD
	s_and_saveexec_b64 s[12:13], s[14:15]
	s_cbranch_execz .LBB944_329
; %bb.324:                              ;   in Loop: Header=BB944_215 Depth=1
	v_cmp_ne_u16_sdwa s[16:17], v46, s9 src0_sel:BYTE_0 src1_sel:DWORD
	v_mov_b32_e32 v59, 0xffff8000
	s_and_saveexec_b64 s[14:15], s[16:17]
	s_cbranch_execz .LBB944_328
; %bb.325:                              ;   in Loop: Header=BB944_215 Depth=1
	v_bfe_u32 v60, v44, 16, 7
	v_cmp_ne_u32_e32 vcc, s21, v60
	v_mov_b32_e32 v59, 0x7f80
	s_and_saveexec_b64 s[16:17], vcc
	s_cbranch_execz .LBB944_327
; %bb.326:                              ;   in Loop: Header=BB944_215 Depth=1
	v_and_b32_e32 v59, 7, v46
	v_ffbh_u32_e32 v62, v59
	v_min_u32_e32 v64, 32, v62
	v_subrev_u32_e32 v62, 28, v64
	v_lshlrev_b64 v[62:63], v62, v[46:47]
	v_lshrrev_b32_e32 v61, 3, v60
	v_sub_u32_e32 v63, 29, v64
	v_and_b32_e32 v62, 7, v62
	v_cmp_gt_u32_e32 vcc, 8, v60
	v_cndmask_b32_e32 v60, v61, v63, vcc
	v_cndmask_b32_e32 v59, v59, v62, vcc
	v_lshlrev_b32_e32 v46, 24, v46
	v_lshlrev_b32_e32 v59, 20, v59
	v_and_b32_e32 v46, 0x80000000, v46
	v_lshl_add_u32 v60, v60, 23, v56
	v_or3_b32 v46, v46, v60, v59
	v_lshrrev_b32_e32 v59, 16, v46
.LBB944_327:                            ;   in Loop: Header=BB944_215 Depth=1
	s_or_b64 exec, exec, s[16:17]
.LBB944_328:                            ;   in Loop: Header=BB944_215 Depth=1
	s_or_b64 exec, exec, s[14:15]
.LBB944_329:                            ;   in Loop: Header=BB944_215 Depth=1
	s_or_b64 exec, exec, s[12:13]
	v_cmp_lt_u32_e32 vcc, s22, v44
	v_mov_b32_e32 v60, 0
	v_mov_b32_e32 v61, 0
	s_and_saveexec_b64 s[12:13], vcc
	s_cbranch_execz .LBB944_335
; %bb.330:                              ;   in Loop: Header=BB944_215 Depth=1
	v_lshrrev_b32_e32 v46, 24, v44
	v_cmp_ne_u32_e32 vcc, s9, v46
	v_mov_b32_e32 v61, 0xffff8000
	s_and_saveexec_b64 s[14:15], vcc
	s_cbranch_execz .LBB944_334
; %bb.331:                              ;   in Loop: Header=BB944_215 Depth=1
	v_bfe_u32 v44, v44, 24, 7
	v_cmp_ne_u32_e32 vcc, s21, v44
	v_mov_b32_e32 v61, 0x7f80
	s_and_saveexec_b64 s[16:17], vcc
	s_cbranch_execz .LBB944_333
; %bb.332:                              ;   in Loop: Header=BB944_215 Depth=1
	v_and_b32_e32 v61, 7, v46
	v_ffbh_u32_e32 v62, v61
	v_min_u32_e32 v65, 32, v62
	v_subrev_u32_e32 v62, 28, v65
	v_lshlrev_b64 v[62:63], v62, v[46:47]
	v_lshrrev_b32_e32 v64, 3, v44
	v_sub_u32_e32 v63, 29, v65
	v_and_b32_e32 v62, 7, v62
	v_cmp_gt_u32_e32 vcc, 8, v44
	v_cndmask_b32_e32 v44, v64, v63, vcc
	v_cndmask_b32_e32 v61, v61, v62, vcc
	v_lshlrev_b32_e32 v46, 24, v46
	v_lshlrev_b32_e32 v61, 20, v61
	v_and_b32_e32 v46, 0x80000000, v46
	v_lshl_add_u32 v44, v44, 23, v56
	v_or3_b32 v44, v46, v44, v61
	v_lshrrev_b32_e32 v61, 16, v44
.LBB944_333:                            ;   in Loop: Header=BB944_215 Depth=1
	s_or_b64 exec, exec, s[16:17]
.LBB944_334:                            ;   in Loop: Header=BB944_215 Depth=1
	s_or_b64 exec, exec, s[14:15]
.LBB944_335:                            ;   in Loop: Header=BB944_215 Depth=1
	s_or_b64 exec, exec, s[12:13]
	s_waitcnt vmcnt(2)
	v_cmp_ne_u16_sdwa s[14:15], v42, v55 src0_sel:BYTE_0 src1_sel:DWORD
	s_and_saveexec_b64 s[12:13], s[14:15]
	s_cbranch_execz .LBB944_341
; %bb.336:                              ;   in Loop: Header=BB944_215 Depth=1
	v_cmp_ne_u16_sdwa s[16:17], v42, s9 src0_sel:BYTE_0 src1_sel:DWORD
	v_mov_b32_e32 v60, 0xffff8000
	s_and_saveexec_b64 s[14:15], s[16:17]
	s_cbranch_execz .LBB944_340
; %bb.337:                              ;   in Loop: Header=BB944_215 Depth=1
	v_and_b32_e32 v44, 0x7f, v42
	v_cmp_ne_u32_e32 vcc, s21, v44
	v_mov_b32_e32 v60, 0x7f80
	s_and_saveexec_b64 s[16:17], vcc
	s_cbranch_execz .LBB944_339
; %bb.338:                              ;   in Loop: Header=BB944_215 Depth=1
	v_and_b32_e32 v46, 7, v42
	v_ffbh_u32_e32 v62, v46
	v_min_u32_e32 v64, 32, v62
	v_subrev_u32_e32 v62, 28, v64
	v_lshlrev_b64 v[62:63], v62, v[42:43]
	v_lshrrev_b32_e32 v60, 3, v44
	v_sub_u32_e32 v63, 29, v64
	v_and_b32_e32 v62, 7, v62
	v_cmp_gt_u32_e32 vcc, 8, v44
	v_cndmask_b32_e32 v44, v60, v63, vcc
	v_cndmask_b32_e32 v46, v46, v62, vcc
	v_lshlrev_b32_e32 v60, 24, v42
	v_lshlrev_b32_e32 v46, 20, v46
	v_and_b32_e32 v60, 0x80000000, v60
	v_lshl_add_u32 v44, v44, 23, v56
	v_or3_b32 v44, v60, v44, v46
	v_lshrrev_b32_e32 v60, 16, v44
.LBB944_339:                            ;   in Loop: Header=BB944_215 Depth=1
	s_or_b64 exec, exec, s[16:17]
.LBB944_340:                            ;   in Loop: Header=BB944_215 Depth=1
	s_or_b64 exec, exec, s[14:15]
.LBB944_341:                            ;   in Loop: Header=BB944_215 Depth=1
	s_or_b64 exec, exec, s[12:13]
	v_lshrrev_b16_e32 v44, 8, v42
	v_cmp_ne_u16_e32 vcc, 0, v44
	v_mov_b32_e32 v63, 0
	v_mov_b32_e32 v62, 0
	s_and_saveexec_b64 s[12:13], vcc
	s_cbranch_execz .LBB944_347
; %bb.342:                              ;   in Loop: Header=BB944_215 Depth=1
	v_cmp_ne_u16_e32 vcc, s9, v44
	v_mov_b32_e32 v62, 0xffff8000
	s_and_saveexec_b64 s[14:15], vcc
	s_cbranch_execz .LBB944_346
; %bb.343:                              ;   in Loop: Header=BB944_215 Depth=1
	v_and_b32_e32 v46, 0x7f, v44
	v_cmp_ne_u32_e32 vcc, s21, v46
	v_mov_b32_e32 v62, 0x7f80
	s_and_saveexec_b64 s[16:17], vcc
	s_cbranch_execz .LBB944_345
; %bb.344:                              ;   in Loop: Header=BB944_215 Depth=1
	v_and_b32_e32 v62, 7, v44
	v_ffbh_u32_e32 v64, v62
	v_min_u32_e32 v67, 32, v64
	v_subrev_u32_e32 v64, 28, v67
	v_lshlrev_b64 v[64:65], v64, v[44:45]
	v_lshrrev_b32_e32 v66, 3, v46
	v_sub_u32_e32 v44, 29, v67
	v_and_b32_e32 v64, 7, v64
	v_cmp_gt_u32_e32 vcc, 8, v46
	v_cndmask_b32_e32 v44, v66, v44, vcc
	v_cndmask_b32_e32 v46, v62, v64, vcc
	v_lshlrev_b32_e32 v62, 16, v42
	v_lshlrev_b32_e32 v46, 20, v46
	v_and_b32_e32 v62, 0x80000000, v62
	v_lshl_add_u32 v44, v44, 23, v56
	v_or3_b32 v44, v62, v44, v46
	v_lshrrev_b32_e32 v62, 16, v44
.LBB944_345:                            ;   in Loop: Header=BB944_215 Depth=1
	s_or_b64 exec, exec, s[16:17]
.LBB944_346:                            ;   in Loop: Header=BB944_215 Depth=1
	s_or_b64 exec, exec, s[14:15]
.LBB944_347:                            ;   in Loop: Header=BB944_215 Depth=1
	s_or_b64 exec, exec, s[12:13]
	v_lshrrev_b32_e32 v44, 16, v42
	v_cmp_ne_u16_sdwa s[14:15], v44, v55 src0_sel:BYTE_0 src1_sel:DWORD
	s_and_saveexec_b64 s[12:13], s[14:15]
	s_cbranch_execz .LBB944_353
; %bb.348:                              ;   in Loop: Header=BB944_215 Depth=1
	v_cmp_ne_u16_sdwa s[16:17], v44, s9 src0_sel:BYTE_0 src1_sel:DWORD
	v_mov_b32_e32 v63, 0xffff8000
	s_and_saveexec_b64 s[14:15], s[16:17]
	s_cbranch_execz .LBB944_352
; %bb.349:                              ;   in Loop: Header=BB944_215 Depth=1
	v_bfe_u32 v46, v42, 16, 7
	v_cmp_ne_u32_e32 vcc, s21, v46
	v_mov_b32_e32 v63, 0x7f80
	s_and_saveexec_b64 s[16:17], vcc
	s_cbranch_execz .LBB944_351
; %bb.350:                              ;   in Loop: Header=BB944_215 Depth=1
	v_and_b32_e32 v63, 7, v44
	v_ffbh_u32_e32 v64, v63
	v_min_u32_e32 v67, 32, v64
	v_subrev_u32_e32 v64, 28, v67
	v_lshlrev_b64 v[64:65], v64, v[44:45]
	v_lshrrev_b32_e32 v66, 3, v46
	v_sub_u32_e32 v65, 29, v67
	v_and_b32_e32 v64, 7, v64
	v_cmp_gt_u32_e32 vcc, 8, v46
	v_cndmask_b32_e32 v46, v66, v65, vcc
	v_cndmask_b32_e32 v63, v63, v64, vcc
	v_lshlrev_b32_e32 v44, 24, v44
	v_lshlrev_b32_e32 v63, 20, v63
	v_and_b32_e32 v44, 0x80000000, v44
	v_lshl_add_u32 v46, v46, 23, v56
	v_or3_b32 v44, v44, v46, v63
	v_lshrrev_b32_e32 v63, 16, v44
.LBB944_351:                            ;   in Loop: Header=BB944_215 Depth=1
	s_or_b64 exec, exec, s[16:17]
.LBB944_352:                            ;   in Loop: Header=BB944_215 Depth=1
	s_or_b64 exec, exec, s[14:15]
.LBB944_353:                            ;   in Loop: Header=BB944_215 Depth=1
	s_or_b64 exec, exec, s[12:13]
	v_cmp_lt_u32_e32 vcc, s22, v42
	v_mov_b32_e32 v46, 0
	v_mov_b32_e32 v64, 0
	s_and_saveexec_b64 s[12:13], vcc
	s_cbranch_execz .LBB944_359
; %bb.354:                              ;   in Loop: Header=BB944_215 Depth=1
	v_lshrrev_b32_e32 v44, 24, v42
	v_cmp_ne_u32_e32 vcc, s9, v44
	v_mov_b32_e32 v64, 0xffff8000
	s_and_saveexec_b64 s[14:15], vcc
	s_cbranch_execz .LBB944_358
; %bb.355:                              ;   in Loop: Header=BB944_215 Depth=1
	v_bfe_u32 v42, v42, 24, 7
	v_cmp_ne_u32_e32 vcc, s21, v42
	v_mov_b32_e32 v64, 0x7f80
	s_and_saveexec_b64 s[16:17], vcc
	s_cbranch_execz .LBB944_357
; %bb.356:                              ;   in Loop: Header=BB944_215 Depth=1
	v_and_b32_e32 v66, 7, v44
	v_ffbh_u32_e32 v64, v66
	v_min_u32_e32 v68, 32, v64
	v_subrev_u32_e32 v64, 28, v68
	v_lshlrev_b64 v[64:65], v64, v[44:45]
	v_lshrrev_b32_e32 v67, 3, v42
	v_sub_u32_e32 v65, 29, v68
	v_and_b32_e32 v64, 7, v64
	v_cmp_gt_u32_e32 vcc, 8, v42
	v_cndmask_b32_e32 v42, v67, v65, vcc
	v_cndmask_b32_e32 v64, v66, v64, vcc
	v_lshlrev_b32_e32 v44, 24, v44
	v_lshlrev_b32_e32 v64, 20, v64
	v_and_b32_e32 v44, 0x80000000, v44
	v_lshl_add_u32 v42, v42, 23, v56
	v_or3_b32 v42, v44, v42, v64
	v_lshrrev_b32_e32 v64, 16, v42
.LBB944_357:                            ;   in Loop: Header=BB944_215 Depth=1
	s_or_b64 exec, exec, s[16:17]
.LBB944_358:                            ;   in Loop: Header=BB944_215 Depth=1
	s_or_b64 exec, exec, s[14:15]
.LBB944_359:                            ;   in Loop: Header=BB944_215 Depth=1
	s_or_b64 exec, exec, s[12:13]
	v_perm_b32 v59, v61, v59, s23
	v_perm_b32 v58, v58, v57, s23
	s_waitcnt vmcnt(1)
	v_cmp_ne_u16_sdwa s[14:15], v40, v55 src0_sel:BYTE_0 src1_sel:DWORD
	v_mfma_f32_16x16x16bf16_1k v[34:37], v[58:59], v[10:11], v[34:37]
	v_perm_b32 v59, v64, v63, s23
	v_perm_b32 v58, v62, v60, s23
	s_nop 1
	v_mfma_f32_16x16x16bf16_1k v[34:37], v[58:59], v[12:13], v[34:37]
	s_and_saveexec_b64 s[12:13], s[14:15]
	s_cbranch_execz .LBB944_365
; %bb.360:                              ;   in Loop: Header=BB944_215 Depth=1
	v_cmp_ne_u16_sdwa s[16:17], v40, s9 src0_sel:BYTE_0 src1_sel:DWORD
	v_mov_b32_e32 v46, 0xffff8000
	s_and_saveexec_b64 s[14:15], s[16:17]
	s_cbranch_execz .LBB944_364
; %bb.361:                              ;   in Loop: Header=BB944_215 Depth=1
	v_and_b32_e32 v42, 0x7f, v40
	v_cmp_ne_u32_e32 vcc, s21, v42
	v_mov_b32_e32 v46, 0x7f80
	s_and_saveexec_b64 s[16:17], vcc
	s_cbranch_execz .LBB944_363
; %bb.362:                              ;   in Loop: Header=BB944_215 Depth=1
	v_and_b32_e32 v44, 7, v40
	v_ffbh_u32_e32 v57, v44
	v_min_u32_e32 v57, 32, v57
	v_subrev_u32_e32 v58, 28, v57
	v_lshlrev_b64 v[58:59], v58, v[40:41]
	v_lshrrev_b32_e32 v46, 3, v42
	v_sub_u32_e32 v57, 29, v57
	v_and_b32_e32 v58, 7, v58
	v_cmp_gt_u32_e32 vcc, 8, v42
	v_cndmask_b32_e32 v42, v46, v57, vcc
	v_cndmask_b32_e32 v44, v44, v58, vcc
	v_lshlrev_b32_e32 v46, 24, v40
	v_lshlrev_b32_e32 v44, 20, v44
	v_and_b32_e32 v46, 0x80000000, v46
	v_lshl_add_u32 v42, v42, 23, v56
	v_or3_b32 v42, v46, v42, v44
	v_lshrrev_b32_e32 v46, 16, v42
.LBB944_363:                            ;   in Loop: Header=BB944_215 Depth=1
	s_or_b64 exec, exec, s[16:17]
.LBB944_364:                            ;   in Loop: Header=BB944_215 Depth=1
	s_or_b64 exec, exec, s[14:15]
.LBB944_365:                            ;   in Loop: Header=BB944_215 Depth=1
	s_or_b64 exec, exec, s[12:13]
	v_lshrrev_b16_e32 v42, 8, v40
	v_cmp_ne_u16_e32 vcc, 0, v42
	v_mov_b32_e32 v58, 0
	v_mov_b32_e32 v44, 0
	s_and_saveexec_b64 s[12:13], vcc
	s_cbranch_execz .LBB944_371
; %bb.366:                              ;   in Loop: Header=BB944_215 Depth=1
	v_cmp_ne_u16_e32 vcc, s9, v42
	v_mov_b32_e32 v44, 0xffff8000
	s_and_saveexec_b64 s[14:15], vcc
	s_cbranch_execz .LBB944_370
; %bb.367:                              ;   in Loop: Header=BB944_215 Depth=1
	v_and_b32_e32 v57, 0x7f, v42
	v_cmp_ne_u32_e32 vcc, s21, v57
	v_mov_b32_e32 v44, 0x7f80
	s_and_saveexec_b64 s[16:17], vcc
	s_cbranch_execz .LBB944_369
; %bb.368:                              ;   in Loop: Header=BB944_215 Depth=1
	v_and_b32_e32 v44, 7, v42
	v_ffbh_u32_e32 v60, v44
	v_min_u32_e32 v62, 32, v60
	v_subrev_u32_e32 v60, 28, v62
	v_lshlrev_b64 v[60:61], v60, v[42:43]
	v_lshrrev_b32_e32 v59, 3, v57
	v_sub_u32_e32 v42, 29, v62
	v_and_b32_e32 v60, 7, v60
	v_cmp_gt_u32_e32 vcc, 8, v57
	v_cndmask_b32_e32 v42, v59, v42, vcc
	v_cndmask_b32_e32 v44, v44, v60, vcc
	v_lshlrev_b32_e32 v57, 16, v40
	v_lshlrev_b32_e32 v44, 20, v44
	v_and_b32_e32 v57, 0x80000000, v57
	v_lshl_add_u32 v42, v42, 23, v56
	v_or3_b32 v42, v57, v42, v44
	v_lshrrev_b32_e32 v44, 16, v42
.LBB944_369:                            ;   in Loop: Header=BB944_215 Depth=1
	s_or_b64 exec, exec, s[16:17]
.LBB944_370:                            ;   in Loop: Header=BB944_215 Depth=1
	s_or_b64 exec, exec, s[14:15]
.LBB944_371:                            ;   in Loop: Header=BB944_215 Depth=1
	s_or_b64 exec, exec, s[12:13]
	v_lshrrev_b32_e32 v42, 16, v40
	v_cmp_ne_u16_sdwa s[14:15], v42, v55 src0_sel:BYTE_0 src1_sel:DWORD
	s_and_saveexec_b64 s[12:13], s[14:15]
	s_cbranch_execz .LBB944_377
; %bb.372:                              ;   in Loop: Header=BB944_215 Depth=1
	v_cmp_ne_u16_sdwa s[16:17], v42, s9 src0_sel:BYTE_0 src1_sel:DWORD
	v_mov_b32_e32 v58, 0xffff8000
	s_and_saveexec_b64 s[14:15], s[16:17]
	s_cbranch_execz .LBB944_376
; %bb.373:                              ;   in Loop: Header=BB944_215 Depth=1
	v_bfe_u32 v57, v40, 16, 7
	v_cmp_ne_u32_e32 vcc, s21, v57
	v_mov_b32_e32 v58, 0x7f80
	s_and_saveexec_b64 s[16:17], vcc
	s_cbranch_execz .LBB944_375
; %bb.374:                              ;   in Loop: Header=BB944_215 Depth=1
	v_and_b32_e32 v60, 7, v42
	v_ffbh_u32_e32 v58, v60
	v_min_u32_e32 v62, 32, v58
	v_subrev_u32_e32 v58, 28, v62
	v_lshlrev_b64 v[58:59], v58, v[42:43]
	v_lshrrev_b32_e32 v61, 3, v57
	v_sub_u32_e32 v59, 29, v62
	v_and_b32_e32 v58, 7, v58
	v_cmp_gt_u32_e32 vcc, 8, v57
	v_cndmask_b32_e32 v57, v61, v59, vcc
	v_cndmask_b32_e32 v58, v60, v58, vcc
	v_lshlrev_b32_e32 v42, 24, v42
	v_lshlrev_b32_e32 v58, 20, v58
	v_and_b32_e32 v42, 0x80000000, v42
	v_lshl_add_u32 v57, v57, 23, v56
	v_or3_b32 v42, v42, v57, v58
	v_lshrrev_b32_e32 v58, 16, v42
.LBB944_375:                            ;   in Loop: Header=BB944_215 Depth=1
	s_or_b64 exec, exec, s[16:17]
.LBB944_376:                            ;   in Loop: Header=BB944_215 Depth=1
	s_or_b64 exec, exec, s[14:15]
.LBB944_377:                            ;   in Loop: Header=BB944_215 Depth=1
	s_or_b64 exec, exec, s[12:13]
	v_cmp_lt_u32_e32 vcc, s22, v40
	v_mov_b32_e32 v59, 0
	v_mov_b32_e32 v60, 0
	s_and_saveexec_b64 s[12:13], vcc
	s_cbranch_execz .LBB944_383
; %bb.378:                              ;   in Loop: Header=BB944_215 Depth=1
	v_lshrrev_b32_e32 v42, 24, v40
	v_cmp_ne_u32_e32 vcc, s9, v42
	v_mov_b32_e32 v60, 0xffff8000
	s_and_saveexec_b64 s[14:15], vcc
	s_cbranch_execz .LBB944_382
; %bb.379:                              ;   in Loop: Header=BB944_215 Depth=1
	v_bfe_u32 v40, v40, 24, 7
	v_cmp_ne_u32_e32 vcc, s21, v40
	v_mov_b32_e32 v60, 0x7f80
	s_and_saveexec_b64 s[16:17], vcc
	s_cbranch_execz .LBB944_381
; %bb.380:                              ;   in Loop: Header=BB944_215 Depth=1
	v_and_b32_e32 v57, 7, v42
	v_ffbh_u32_e32 v60, v57
	v_min_u32_e32 v63, 32, v60
	v_subrev_u32_e32 v60, 28, v63
	v_lshlrev_b64 v[60:61], v60, v[42:43]
	v_lshrrev_b32_e32 v62, 3, v40
	v_sub_u32_e32 v61, 29, v63
	v_and_b32_e32 v60, 7, v60
	v_cmp_gt_u32_e32 vcc, 8, v40
	v_cndmask_b32_e32 v40, v62, v61, vcc
	v_cndmask_b32_e32 v57, v57, v60, vcc
	v_lshlrev_b32_e32 v42, 24, v42
	v_lshlrev_b32_e32 v57, 20, v57
	v_and_b32_e32 v42, 0x80000000, v42
	v_lshl_add_u32 v40, v40, 23, v56
	v_or3_b32 v40, v42, v40, v57
	v_lshrrev_b32_e32 v60, 16, v40
.LBB944_381:                            ;   in Loop: Header=BB944_215 Depth=1
	s_or_b64 exec, exec, s[16:17]
.LBB944_382:                            ;   in Loop: Header=BB944_215 Depth=1
	s_or_b64 exec, exec, s[14:15]
.LBB944_383:                            ;   in Loop: Header=BB944_215 Depth=1
	s_or_b64 exec, exec, s[12:13]
	s_waitcnt vmcnt(0)
	v_cmp_ne_u16_sdwa s[14:15], v38, v55 src0_sel:BYTE_0 src1_sel:DWORD
	s_and_saveexec_b64 s[12:13], s[14:15]
	s_cbranch_execz .LBB944_389
; %bb.384:                              ;   in Loop: Header=BB944_215 Depth=1
	v_cmp_ne_u16_sdwa s[16:17], v38, s9 src0_sel:BYTE_0 src1_sel:DWORD
	v_mov_b32_e32 v59, 0xffff8000
	s_and_saveexec_b64 s[14:15], s[16:17]
	s_cbranch_execz .LBB944_388
; %bb.385:                              ;   in Loop: Header=BB944_215 Depth=1
	v_and_b32_e32 v40, 0x7f, v38
	v_cmp_ne_u32_e32 vcc, s21, v40
	v_mov_b32_e32 v59, 0x7f80
	s_and_saveexec_b64 s[16:17], vcc
	s_cbranch_execz .LBB944_387
; %bb.386:                              ;   in Loop: Header=BB944_215 Depth=1
	v_and_b32_e32 v42, 7, v38
	v_ffbh_u32_e32 v59, v42
	v_min_u32_e32 v59, 32, v59
	v_subrev_u32_e32 v61, 28, v59
	v_lshlrev_b64 v[62:63], v61, v[38:39]
	v_lshrrev_b32_e32 v57, 3, v40
	v_sub_u32_e32 v59, 29, v59
	v_and_b32_e32 v61, 7, v62
	v_cmp_gt_u32_e32 vcc, 8, v40
	v_cndmask_b32_e32 v40, v57, v59, vcc
	v_cndmask_b32_e32 v42, v42, v61, vcc
	v_lshlrev_b32_e32 v57, 24, v38
	v_lshlrev_b32_e32 v42, 20, v42
	v_and_b32_e32 v57, 0x80000000, v57
	v_lshl_add_u32 v40, v40, 23, v56
	v_or3_b32 v40, v57, v40, v42
	v_lshrrev_b32_e32 v59, 16, v40
.LBB944_387:                            ;   in Loop: Header=BB944_215 Depth=1
	s_or_b64 exec, exec, s[16:17]
.LBB944_388:                            ;   in Loop: Header=BB944_215 Depth=1
	s_or_b64 exec, exec, s[14:15]
.LBB944_389:                            ;   in Loop: Header=BB944_215 Depth=1
	s_or_b64 exec, exec, s[12:13]
	v_lshrrev_b16_e32 v40, 8, v38
	v_cmp_ne_u16_e32 vcc, 0, v40
	v_mov_b32_e32 v62, 0
	v_mov_b32_e32 v61, 0
	s_and_saveexec_b64 s[12:13], vcc
	s_cbranch_execz .LBB944_395
; %bb.390:                              ;   in Loop: Header=BB944_215 Depth=1
	v_cmp_ne_u16_e32 vcc, s9, v40
	v_mov_b32_e32 v61, 0xffff8000
	s_and_saveexec_b64 s[14:15], vcc
	s_cbranch_execz .LBB944_394
; %bb.391:                              ;   in Loop: Header=BB944_215 Depth=1
	v_and_b32_e32 v42, 0x7f, v40
	v_cmp_ne_u32_e32 vcc, s21, v42
	v_mov_b32_e32 v61, 0x7f80
	s_and_saveexec_b64 s[16:17], vcc
	s_cbranch_execz .LBB944_393
; %bb.392:                              ;   in Loop: Header=BB944_215 Depth=1
	v_and_b32_e32 v57, 7, v40
	v_ffbh_u32_e32 v63, v57
	v_min_u32_e32 v63, 32, v63
	v_subrev_u32_e32 v64, 28, v63
	v_lshlrev_b64 v[64:65], v64, v[40:41]
	v_lshrrev_b32_e32 v61, 3, v42
	v_sub_u32_e32 v40, 29, v63
	v_and_b32_e32 v63, 7, v64
	v_cmp_gt_u32_e32 vcc, 8, v42
	v_cndmask_b32_e32 v40, v61, v40, vcc
	v_cndmask_b32_e32 v42, v57, v63, vcc
	v_lshlrev_b32_e32 v57, 16, v38
	v_lshlrev_b32_e32 v42, 20, v42
	v_and_b32_e32 v57, 0x80000000, v57
	v_lshl_add_u32 v40, v40, 23, v56
	v_or3_b32 v40, v57, v40, v42
	v_lshrrev_b32_e32 v61, 16, v40
.LBB944_393:                            ;   in Loop: Header=BB944_215 Depth=1
	s_or_b64 exec, exec, s[16:17]
.LBB944_394:                            ;   in Loop: Header=BB944_215 Depth=1
	s_or_b64 exec, exec, s[14:15]
.LBB944_395:                            ;   in Loop: Header=BB944_215 Depth=1
	s_or_b64 exec, exec, s[12:13]
	v_lshrrev_b32_e32 v40, 16, v38
	v_cmp_ne_u16_sdwa s[14:15], v40, v55 src0_sel:BYTE_0 src1_sel:DWORD
	s_and_saveexec_b64 s[12:13], s[14:15]
	s_cbranch_execz .LBB944_401
; %bb.396:                              ;   in Loop: Header=BB944_215 Depth=1
	v_cmp_ne_u16_sdwa s[16:17], v40, s9 src0_sel:BYTE_0 src1_sel:DWORD
	v_mov_b32_e32 v62, 0xffff8000
	s_and_saveexec_b64 s[14:15], s[16:17]
	s_cbranch_execz .LBB944_400
; %bb.397:                              ;   in Loop: Header=BB944_215 Depth=1
	v_bfe_u32 v42, v38, 16, 7
	v_cmp_ne_u32_e32 vcc, s21, v42
	v_mov_b32_e32 v62, 0x7f80
	s_and_saveexec_b64 s[16:17], vcc
	s_cbranch_execz .LBB944_399
; %bb.398:                              ;   in Loop: Header=BB944_215 Depth=1
	v_and_b32_e32 v57, 7, v40
	v_ffbh_u32_e32 v62, v57
	v_min_u32_e32 v65, 32, v62
	v_subrev_u32_e32 v62, 28, v65
	v_lshlrev_b64 v[62:63], v62, v[40:41]
	v_lshrrev_b32_e32 v64, 3, v42
	v_sub_u32_e32 v63, 29, v65
	v_and_b32_e32 v62, 7, v62
	v_cmp_gt_u32_e32 vcc, 8, v42
	v_cndmask_b32_e32 v42, v64, v63, vcc
	v_cndmask_b32_e32 v57, v57, v62, vcc
	v_lshlrev_b32_e32 v40, 24, v40
	v_lshlrev_b32_e32 v57, 20, v57
	v_and_b32_e32 v40, 0x80000000, v40
	v_lshl_add_u32 v42, v42, 23, v56
	v_or3_b32 v40, v40, v42, v57
	v_lshrrev_b32_e32 v62, 16, v40
.LBB944_399:                            ;   in Loop: Header=BB944_215 Depth=1
	s_or_b64 exec, exec, s[16:17]
.LBB944_400:                            ;   in Loop: Header=BB944_215 Depth=1
	s_or_b64 exec, exec, s[14:15]
.LBB944_401:                            ;   in Loop: Header=BB944_215 Depth=1
	s_or_b64 exec, exec, s[12:13]
	v_cmp_lt_u32_e32 vcc, s22, v38
	v_mov_b32_e32 v57, 0
	v_mov_b32_e32 v63, 0
	s_and_saveexec_b64 s[12:13], vcc
	s_cbranch_execz .LBB944_407
; %bb.402:                              ;   in Loop: Header=BB944_215 Depth=1
	v_lshrrev_b32_e32 v40, 24, v38
	v_cmp_ne_u32_e32 vcc, s9, v40
	v_mov_b32_e32 v63, 0xffff8000
	s_and_saveexec_b64 s[14:15], vcc
	s_cbranch_execz .LBB944_406
; %bb.403:                              ;   in Loop: Header=BB944_215 Depth=1
	v_bfe_u32 v38, v38, 24, 7
	v_cmp_ne_u32_e32 vcc, s21, v38
	v_mov_b32_e32 v63, 0x7f80
	s_and_saveexec_b64 s[16:17], vcc
	s_cbranch_execz .LBB944_405
; %bb.404:                              ;   in Loop: Header=BB944_215 Depth=1
	v_and_b32_e32 v42, 7, v40
	v_ffbh_u32_e32 v64, v42
	v_min_u32_e32 v66, 32, v64
	v_subrev_u32_e32 v64, 28, v66
	v_lshlrev_b64 v[64:65], v64, v[40:41]
	v_lshrrev_b32_e32 v63, 3, v38
	v_sub_u32_e32 v65, 29, v66
	v_and_b32_e32 v64, 7, v64
	v_cmp_gt_u32_e32 vcc, 8, v38
	v_cndmask_b32_e32 v38, v63, v65, vcc
	v_cndmask_b32_e32 v42, v42, v64, vcc
	v_lshlrev_b32_e32 v40, 24, v40
	v_lshlrev_b32_e32 v42, 20, v42
	v_and_b32_e32 v40, 0x80000000, v40
	v_lshl_add_u32 v38, v38, 23, v56
	v_or3_b32 v38, v40, v38, v42
	v_lshrrev_b32_e32 v63, 16, v38
.LBB944_405:                            ;   in Loop: Header=BB944_215 Depth=1
	s_or_b64 exec, exec, s[16:17]
.LBB944_406:                            ;   in Loop: Header=BB944_215 Depth=1
	s_or_b64 exec, exec, s[14:15]
.LBB944_407:                            ;   in Loop: Header=BB944_215 Depth=1
	s_or_b64 exec, exec, s[12:13]
	v_perm_b32 v64, v44, v46, s23
	buffer_load_dword v44, v52, s[0:3], 0 offen
	buffer_load_dword v42, v52, s[0:3], 0 offen offset:4
	buffer_load_dword v40, v52, s[0:3], 0 offen offset:8
	;; [unrolled: 1-line block ×3, first 2 shown]
	v_perm_b32 v65, v60, v58, s23
	v_perm_b32 v63, v63, v62, s23
	;; [unrolled: 1-line block ×3, first 2 shown]
	v_mfma_f32_16x16x16bf16_1k v[34:37], v[64:65], v[14:15], v[34:37]
	s_waitcnt vmcnt(3)
	v_cmp_ne_u16_sdwa s[14:15], v44, v55 src0_sel:BYTE_0 src1_sel:DWORD
	v_mfma_f32_16x16x16bf16_1k v[34:37], v[62:63], v[16:17], v[34:37]
	s_and_saveexec_b64 s[12:13], s[14:15]
	s_cbranch_execz .LBB944_413
; %bb.408:                              ;   in Loop: Header=BB944_215 Depth=1
	v_cmp_ne_u16_sdwa s[16:17], v44, s9 src0_sel:BYTE_0 src1_sel:DWORD
	v_mov_b32_e32 v57, 0xffff8000
	s_and_saveexec_b64 s[14:15], s[16:17]
	s_cbranch_execz .LBB944_412
; %bb.409:                              ;   in Loop: Header=BB944_215 Depth=1
	v_and_b32_e32 v46, 0x7f, v44
	v_cmp_ne_u32_e32 vcc, s21, v46
	v_mov_b32_e32 v57, 0x7f80
	s_and_saveexec_b64 s[16:17], vcc
	s_cbranch_execz .LBB944_411
; %bb.410:                              ;   in Loop: Header=BB944_215 Depth=1
	v_and_b32_e32 v52, 7, v44
	v_ffbh_u32_e32 v58, v52
	v_min_u32_e32 v60, 32, v58
	v_subrev_u32_e32 v58, 28, v60
	v_lshlrev_b64 v[58:59], v58, v[44:45]
	v_lshrrev_b32_e32 v57, 3, v46
	v_sub_u32_e32 v59, 29, v60
	v_and_b32_e32 v58, 7, v58
	v_cmp_gt_u32_e32 vcc, 8, v46
	v_cndmask_b32_e32 v46, v57, v59, vcc
	v_cndmask_b32_e32 v52, v52, v58, vcc
	v_lshlrev_b32_e32 v57, 24, v44
	v_lshlrev_b32_e32 v52, 20, v52
	v_and_b32_e32 v57, 0x80000000, v57
	v_lshl_add_u32 v46, v46, 23, v56
	v_or3_b32 v46, v57, v46, v52
	v_lshrrev_b32_e32 v57, 16, v46
.LBB944_411:                            ;   in Loop: Header=BB944_215 Depth=1
	s_or_b64 exec, exec, s[16:17]
.LBB944_412:                            ;   in Loop: Header=BB944_215 Depth=1
	s_or_b64 exec, exec, s[14:15]
.LBB944_413:                            ;   in Loop: Header=BB944_215 Depth=1
	s_or_b64 exec, exec, s[12:13]
	v_lshrrev_b16_e32 v46, 8, v44
	v_cmp_ne_u16_e32 vcc, 0, v46
	v_mov_b32_e32 v58, 0
	v_mov_b32_e32 v52, 0
	s_and_saveexec_b64 s[12:13], vcc
	s_cbranch_execz .LBB944_419
; %bb.414:                              ;   in Loop: Header=BB944_215 Depth=1
	v_cmp_ne_u16_e32 vcc, s9, v46
	v_mov_b32_e32 v52, 0xffff8000
	s_and_saveexec_b64 s[14:15], vcc
	s_cbranch_execz .LBB944_418
; %bb.415:                              ;   in Loop: Header=BB944_215 Depth=1
	v_and_b32_e32 v59, 0x7f, v46
	v_cmp_ne_u32_e32 vcc, s21, v59
	v_mov_b32_e32 v52, 0x7f80
	s_and_saveexec_b64 s[16:17], vcc
	s_cbranch_execz .LBB944_417
; %bb.416:                              ;   in Loop: Header=BB944_215 Depth=1
	v_and_b32_e32 v52, 7, v46
	v_ffbh_u32_e32 v60, v52
	v_min_u32_e32 v63, 32, v60
	v_subrev_u32_e32 v60, 28, v63
	v_lshlrev_b64 v[60:61], v60, v[46:47]
	v_lshrrev_b32_e32 v62, 3, v59
	v_sub_u32_e32 v46, 29, v63
	v_and_b32_e32 v60, 7, v60
	v_cmp_gt_u32_e32 vcc, 8, v59
	v_cndmask_b32_e32 v46, v62, v46, vcc
	v_cndmask_b32_e32 v52, v52, v60, vcc
	v_lshlrev_b32_e32 v59, 16, v44
	v_lshlrev_b32_e32 v52, 20, v52
	v_and_b32_e32 v59, 0x80000000, v59
	v_lshl_add_u32 v46, v46, 23, v56
	v_or3_b32 v46, v59, v46, v52
	v_lshrrev_b32_e32 v52, 16, v46
.LBB944_417:                            ;   in Loop: Header=BB944_215 Depth=1
	s_or_b64 exec, exec, s[16:17]
.LBB944_418:                            ;   in Loop: Header=BB944_215 Depth=1
	s_or_b64 exec, exec, s[14:15]
.LBB944_419:                            ;   in Loop: Header=BB944_215 Depth=1
	s_or_b64 exec, exec, s[12:13]
	v_lshrrev_b32_e32 v46, 16, v44
	v_cmp_ne_u16_sdwa s[14:15], v46, v55 src0_sel:BYTE_0 src1_sel:DWORD
	s_and_saveexec_b64 s[12:13], s[14:15]
	s_cbranch_execz .LBB944_425
; %bb.420:                              ;   in Loop: Header=BB944_215 Depth=1
	v_cmp_ne_u16_sdwa s[16:17], v46, s9 src0_sel:BYTE_0 src1_sel:DWORD
	v_mov_b32_e32 v58, 0xffff8000
	s_and_saveexec_b64 s[14:15], s[16:17]
	s_cbranch_execz .LBB944_424
; %bb.421:                              ;   in Loop: Header=BB944_215 Depth=1
	v_bfe_u32 v59, v44, 16, 7
	v_cmp_ne_u32_e32 vcc, s21, v59
	v_mov_b32_e32 v58, 0x7f80
	s_and_saveexec_b64 s[16:17], vcc
	s_cbranch_execz .LBB944_423
; %bb.422:                              ;   in Loop: Header=BB944_215 Depth=1
	v_and_b32_e32 v58, 7, v46
	v_ffbh_u32_e32 v60, v58
	v_min_u32_e32 v63, 32, v60
	v_subrev_u32_e32 v60, 28, v63
	v_lshlrev_b64 v[60:61], v60, v[46:47]
	v_lshrrev_b32_e32 v62, 3, v59
	v_sub_u32_e32 v61, 29, v63
	v_and_b32_e32 v60, 7, v60
	v_cmp_gt_u32_e32 vcc, 8, v59
	v_cndmask_b32_e32 v59, v62, v61, vcc
	v_cndmask_b32_e32 v58, v58, v60, vcc
	v_lshlrev_b32_e32 v46, 24, v46
	v_lshlrev_b32_e32 v58, 20, v58
	v_and_b32_e32 v46, 0x80000000, v46
	v_lshl_add_u32 v59, v59, 23, v56
	v_or3_b32 v46, v46, v59, v58
	v_lshrrev_b32_e32 v58, 16, v46
.LBB944_423:                            ;   in Loop: Header=BB944_215 Depth=1
	s_or_b64 exec, exec, s[16:17]
.LBB944_424:                            ;   in Loop: Header=BB944_215 Depth=1
	s_or_b64 exec, exec, s[14:15]
.LBB944_425:                            ;   in Loop: Header=BB944_215 Depth=1
	s_or_b64 exec, exec, s[12:13]
	v_cmp_lt_u32_e32 vcc, s22, v44
	v_mov_b32_e32 v59, 0
	v_mov_b32_e32 v60, 0
	s_and_saveexec_b64 s[12:13], vcc
	s_cbranch_execz .LBB944_431
; %bb.426:                              ;   in Loop: Header=BB944_215 Depth=1
	v_lshrrev_b32_e32 v46, 24, v44
	v_cmp_ne_u32_e32 vcc, s9, v46
	v_mov_b32_e32 v60, 0xffff8000
	s_and_saveexec_b64 s[14:15], vcc
	s_cbranch_execz .LBB944_430
; %bb.427:                              ;   in Loop: Header=BB944_215 Depth=1
	v_bfe_u32 v44, v44, 24, 7
	v_cmp_ne_u32_e32 vcc, s21, v44
	v_mov_b32_e32 v60, 0x7f80
	s_and_saveexec_b64 s[16:17], vcc
	s_cbranch_execz .LBB944_429
; %bb.428:                              ;   in Loop: Header=BB944_215 Depth=1
	v_and_b32_e32 v62, 7, v46
	v_ffbh_u32_e32 v60, v62
	v_min_u32_e32 v64, 32, v60
	v_subrev_u32_e32 v60, 28, v64
	v_lshlrev_b64 v[60:61], v60, v[46:47]
	v_lshrrev_b32_e32 v63, 3, v44
	v_sub_u32_e32 v61, 29, v64
	v_and_b32_e32 v60, 7, v60
	v_cmp_gt_u32_e32 vcc, 8, v44
	v_cndmask_b32_e32 v44, v63, v61, vcc
	v_cndmask_b32_e32 v60, v62, v60, vcc
	v_lshlrev_b32_e32 v46, 24, v46
	v_lshlrev_b32_e32 v60, 20, v60
	v_and_b32_e32 v46, 0x80000000, v46
	v_lshl_add_u32 v44, v44, 23, v56
	v_or3_b32 v44, v46, v44, v60
	v_lshrrev_b32_e32 v60, 16, v44
.LBB944_429:                            ;   in Loop: Header=BB944_215 Depth=1
	s_or_b64 exec, exec, s[16:17]
.LBB944_430:                            ;   in Loop: Header=BB944_215 Depth=1
	s_or_b64 exec, exec, s[14:15]
.LBB944_431:                            ;   in Loop: Header=BB944_215 Depth=1
	s_or_b64 exec, exec, s[12:13]
	s_waitcnt vmcnt(2)
	v_cmp_ne_u16_sdwa s[14:15], v42, v55 src0_sel:BYTE_0 src1_sel:DWORD
	s_and_saveexec_b64 s[12:13], s[14:15]
	s_cbranch_execz .LBB944_437
; %bb.432:                              ;   in Loop: Header=BB944_215 Depth=1
	v_cmp_ne_u16_sdwa s[16:17], v42, s9 src0_sel:BYTE_0 src1_sel:DWORD
	v_mov_b32_e32 v59, 0xffff8000
	s_and_saveexec_b64 s[14:15], s[16:17]
	s_cbranch_execz .LBB944_436
; %bb.433:                              ;   in Loop: Header=BB944_215 Depth=1
	v_and_b32_e32 v44, 0x7f, v42
	v_cmp_ne_u32_e32 vcc, s21, v44
	v_mov_b32_e32 v59, 0x7f80
	s_and_saveexec_b64 s[16:17], vcc
	s_cbranch_execz .LBB944_435
; %bb.434:                              ;   in Loop: Header=BB944_215 Depth=1
	v_and_b32_e32 v46, 7, v42
	v_ffbh_u32_e32 v61, v46
	v_min_u32_e32 v61, 32, v61
	v_subrev_u32_e32 v62, 28, v61
	v_lshlrev_b64 v[62:63], v62, v[42:43]
	v_lshrrev_b32_e32 v59, 3, v44
	v_sub_u32_e32 v61, 29, v61
	v_and_b32_e32 v62, 7, v62
	v_cmp_gt_u32_e32 vcc, 8, v44
	v_cndmask_b32_e32 v44, v59, v61, vcc
	v_cndmask_b32_e32 v46, v46, v62, vcc
	v_lshlrev_b32_e32 v59, 24, v42
	v_lshlrev_b32_e32 v46, 20, v46
	v_and_b32_e32 v59, 0x80000000, v59
	v_lshl_add_u32 v44, v44, 23, v56
	v_or3_b32 v44, v59, v44, v46
	v_lshrrev_b32_e32 v59, 16, v44
.LBB944_435:                            ;   in Loop: Header=BB944_215 Depth=1
	s_or_b64 exec, exec, s[16:17]
.LBB944_436:                            ;   in Loop: Header=BB944_215 Depth=1
	s_or_b64 exec, exec, s[14:15]
.LBB944_437:                            ;   in Loop: Header=BB944_215 Depth=1
	s_or_b64 exec, exec, s[12:13]
	v_lshrrev_b16_e32 v44, 8, v42
	v_cmp_ne_u16_e32 vcc, 0, v44
	v_mov_b32_e32 v62, 0
	v_mov_b32_e32 v61, 0
	s_and_saveexec_b64 s[12:13], vcc
	s_cbranch_execz .LBB944_443
; %bb.438:                              ;   in Loop: Header=BB944_215 Depth=1
	v_cmp_ne_u16_e32 vcc, s9, v44
	v_mov_b32_e32 v61, 0xffff8000
	s_and_saveexec_b64 s[14:15], vcc
	s_cbranch_execz .LBB944_442
; %bb.439:                              ;   in Loop: Header=BB944_215 Depth=1
	v_and_b32_e32 v46, 0x7f, v44
	v_cmp_ne_u32_e32 vcc, s21, v46
	v_mov_b32_e32 v61, 0x7f80
	s_and_saveexec_b64 s[16:17], vcc
	s_cbranch_execz .LBB944_441
; %bb.440:                              ;   in Loop: Header=BB944_215 Depth=1
	v_and_b32_e32 v61, 7, v44
	v_ffbh_u32_e32 v64, v61
	v_min_u32_e32 v66, 32, v64
	v_subrev_u32_e32 v64, 28, v66
	v_lshlrev_b64 v[64:65], v64, v[44:45]
	v_lshrrev_b32_e32 v63, 3, v46
	v_sub_u32_e32 v44, 29, v66
	v_and_b32_e32 v64, 7, v64
	v_cmp_gt_u32_e32 vcc, 8, v46
	v_cndmask_b32_e32 v44, v63, v44, vcc
	v_cndmask_b32_e32 v46, v61, v64, vcc
	v_lshlrev_b32_e32 v61, 16, v42
	v_lshlrev_b32_e32 v46, 20, v46
	v_and_b32_e32 v61, 0x80000000, v61
	v_lshl_add_u32 v44, v44, 23, v56
	v_or3_b32 v44, v61, v44, v46
	v_lshrrev_b32_e32 v61, 16, v44
.LBB944_441:                            ;   in Loop: Header=BB944_215 Depth=1
	s_or_b64 exec, exec, s[16:17]
.LBB944_442:                            ;   in Loop: Header=BB944_215 Depth=1
	s_or_b64 exec, exec, s[14:15]
.LBB944_443:                            ;   in Loop: Header=BB944_215 Depth=1
	s_or_b64 exec, exec, s[12:13]
	v_lshrrev_b32_e32 v44, 16, v42
	v_cmp_ne_u16_sdwa s[14:15], v44, v55 src0_sel:BYTE_0 src1_sel:DWORD
	s_and_saveexec_b64 s[12:13], s[14:15]
	s_cbranch_execz .LBB944_449
; %bb.444:                              ;   in Loop: Header=BB944_215 Depth=1
	v_cmp_ne_u16_sdwa s[16:17], v44, s9 src0_sel:BYTE_0 src1_sel:DWORD
	v_mov_b32_e32 v62, 0xffff8000
	s_and_saveexec_b64 s[14:15], s[16:17]
	s_cbranch_execz .LBB944_448
; %bb.445:                              ;   in Loop: Header=BB944_215 Depth=1
	v_bfe_u32 v46, v42, 16, 7
	v_cmp_ne_u32_e32 vcc, s21, v46
	v_mov_b32_e32 v62, 0x7f80
	s_and_saveexec_b64 s[16:17], vcc
	s_cbranch_execz .LBB944_447
; %bb.446:                              ;   in Loop: Header=BB944_215 Depth=1
	v_and_b32_e32 v64, 7, v44
	v_ffbh_u32_e32 v62, v64
	v_min_u32_e32 v66, 32, v62
	v_subrev_u32_e32 v62, 28, v66
	v_lshlrev_b64 v[62:63], v62, v[44:45]
	v_lshrrev_b32_e32 v65, 3, v46
	v_sub_u32_e32 v63, 29, v66
	v_and_b32_e32 v62, 7, v62
	v_cmp_gt_u32_e32 vcc, 8, v46
	v_cndmask_b32_e32 v46, v65, v63, vcc
	v_cndmask_b32_e32 v62, v64, v62, vcc
	v_lshlrev_b32_e32 v44, 24, v44
	v_lshlrev_b32_e32 v62, 20, v62
	v_and_b32_e32 v44, 0x80000000, v44
	v_lshl_add_u32 v46, v46, 23, v56
	v_or3_b32 v44, v44, v46, v62
	v_lshrrev_b32_e32 v62, 16, v44
.LBB944_447:                            ;   in Loop: Header=BB944_215 Depth=1
	s_or_b64 exec, exec, s[16:17]
.LBB944_448:                            ;   in Loop: Header=BB944_215 Depth=1
	s_or_b64 exec, exec, s[14:15]
.LBB944_449:                            ;   in Loop: Header=BB944_215 Depth=1
	s_or_b64 exec, exec, s[12:13]
	v_cmp_lt_u32_e32 vcc, s22, v42
	v_mov_b32_e32 v46, 0
	v_mov_b32_e32 v63, 0
	s_and_saveexec_b64 s[12:13], vcc
	s_cbranch_execz .LBB944_455
; %bb.450:                              ;   in Loop: Header=BB944_215 Depth=1
	v_lshrrev_b32_e32 v44, 24, v42
	v_cmp_ne_u32_e32 vcc, s9, v44
	v_mov_b32_e32 v63, 0xffff8000
	s_and_saveexec_b64 s[14:15], vcc
	s_cbranch_execz .LBB944_454
; %bb.451:                              ;   in Loop: Header=BB944_215 Depth=1
	v_bfe_u32 v42, v42, 24, 7
	v_cmp_ne_u32_e32 vcc, s21, v42
	v_mov_b32_e32 v63, 0x7f80
	s_and_saveexec_b64 s[16:17], vcc
	s_cbranch_execz .LBB944_453
; %bb.452:                              ;   in Loop: Header=BB944_215 Depth=1
	v_and_b32_e32 v63, 7, v44
	v_ffbh_u32_e32 v64, v63
	v_min_u32_e32 v67, 32, v64
	v_subrev_u32_e32 v64, 28, v67
	v_lshlrev_b64 v[64:65], v64, v[44:45]
	v_lshrrev_b32_e32 v66, 3, v42
	v_sub_u32_e32 v65, 29, v67
	v_and_b32_e32 v64, 7, v64
	v_cmp_gt_u32_e32 vcc, 8, v42
	v_cndmask_b32_e32 v42, v66, v65, vcc
	v_cndmask_b32_e32 v63, v63, v64, vcc
	v_lshlrev_b32_e32 v44, 24, v44
	v_lshlrev_b32_e32 v63, 20, v63
	v_and_b32_e32 v44, 0x80000000, v44
	v_lshl_add_u32 v42, v42, 23, v56
	v_or3_b32 v42, v44, v42, v63
	v_lshrrev_b32_e32 v63, 16, v42
.LBB944_453:                            ;   in Loop: Header=BB944_215 Depth=1
	s_or_b64 exec, exec, s[16:17]
.LBB944_454:                            ;   in Loop: Header=BB944_215 Depth=1
	s_or_b64 exec, exec, s[14:15]
.LBB944_455:                            ;   in Loop: Header=BB944_215 Depth=1
	s_or_b64 exec, exec, s[12:13]
	v_perm_b32 v65, v60, v58, s23
	v_perm_b32 v64, v52, v57, s23
	v_perm_b32 v63, v63, v62, s23
	v_perm_b32 v62, v61, v59, s23
	s_waitcnt vmcnt(1)
	v_cmp_ne_u16_sdwa s[14:15], v40, v55 src0_sel:BYTE_0 src1_sel:DWORD
	v_mfma_f32_16x16x16bf16_1k v[34:37], v[64:65], v[18:19], v[34:37]
	v_mfma_f32_16x16x16bf16_1k v[34:37], v[62:63], v[20:21], v[34:37]
	s_and_saveexec_b64 s[12:13], s[14:15]
	s_cbranch_execz .LBB944_461
; %bb.456:                              ;   in Loop: Header=BB944_215 Depth=1
	v_cmp_ne_u16_sdwa s[16:17], v40, s9 src0_sel:BYTE_0 src1_sel:DWORD
	v_mov_b32_e32 v46, 0xffff8000
	s_and_saveexec_b64 s[14:15], s[16:17]
	s_cbranch_execz .LBB944_460
; %bb.457:                              ;   in Loop: Header=BB944_215 Depth=1
	v_and_b32_e32 v42, 0x7f, v40
	v_cmp_ne_u32_e32 vcc, s21, v42
	v_mov_b32_e32 v46, 0x7f80
	s_and_saveexec_b64 s[16:17], vcc
	s_cbranch_execz .LBB944_459
; %bb.458:                              ;   in Loop: Header=BB944_215 Depth=1
	v_and_b32_e32 v44, 7, v40
	v_ffbh_u32_e32 v52, v44
	v_min_u32_e32 v52, 32, v52
	v_subrev_u32_e32 v57, 28, v52
	v_lshlrev_b64 v[58:59], v57, v[40:41]
	v_lshrrev_b32_e32 v46, 3, v42
	v_sub_u32_e32 v52, 29, v52
	v_and_b32_e32 v57, 7, v58
	v_cmp_gt_u32_e32 vcc, 8, v42
	v_cndmask_b32_e32 v42, v46, v52, vcc
	v_cndmask_b32_e32 v44, v44, v57, vcc
	v_lshlrev_b32_e32 v46, 24, v40
	v_lshlrev_b32_e32 v44, 20, v44
	v_and_b32_e32 v46, 0x80000000, v46
	v_lshl_add_u32 v42, v42, 23, v56
	v_or3_b32 v42, v46, v42, v44
	v_lshrrev_b32_e32 v46, 16, v42
.LBB944_459:                            ;   in Loop: Header=BB944_215 Depth=1
	s_or_b64 exec, exec, s[16:17]
.LBB944_460:                            ;   in Loop: Header=BB944_215 Depth=1
	s_or_b64 exec, exec, s[14:15]
.LBB944_461:                            ;   in Loop: Header=BB944_215 Depth=1
	s_or_b64 exec, exec, s[12:13]
	v_lshrrev_b16_e32 v42, 8, v40
	v_cmp_ne_u16_e32 vcc, 0, v42
	v_mov_b32_e32 v57, 0
	v_mov_b32_e32 v44, 0
	s_and_saveexec_b64 s[12:13], vcc
	s_cbranch_execz .LBB944_467
; %bb.462:                              ;   in Loop: Header=BB944_215 Depth=1
	v_cmp_ne_u16_e32 vcc, s9, v42
	v_mov_b32_e32 v44, 0xffff8000
	s_and_saveexec_b64 s[14:15], vcc
	s_cbranch_execz .LBB944_466
; %bb.463:                              ;   in Loop: Header=BB944_215 Depth=1
	v_and_b32_e32 v52, 0x7f, v42
	v_cmp_ne_u32_e32 vcc, s21, v52
	v_mov_b32_e32 v44, 0x7f80
	s_and_saveexec_b64 s[16:17], vcc
	s_cbranch_execz .LBB944_465
; %bb.464:                              ;   in Loop: Header=BB944_215 Depth=1
	v_and_b32_e32 v44, 7, v42
	v_ffbh_u32_e32 v58, v44
	v_min_u32_e32 v61, 32, v58
	v_subrev_u32_e32 v58, 28, v61
	v_lshlrev_b64 v[58:59], v58, v[42:43]
	v_lshrrev_b32_e32 v60, 3, v52
	v_sub_u32_e32 v42, 29, v61
	v_and_b32_e32 v58, 7, v58
	v_cmp_gt_u32_e32 vcc, 8, v52
	v_cndmask_b32_e32 v42, v60, v42, vcc
	v_cndmask_b32_e32 v44, v44, v58, vcc
	v_lshlrev_b32_e32 v52, 16, v40
	v_lshlrev_b32_e32 v44, 20, v44
	v_and_b32_e32 v52, 0x80000000, v52
	v_lshl_add_u32 v42, v42, 23, v56
	v_or3_b32 v42, v52, v42, v44
	v_lshrrev_b32_e32 v44, 16, v42
.LBB944_465:                            ;   in Loop: Header=BB944_215 Depth=1
	s_or_b64 exec, exec, s[16:17]
.LBB944_466:                            ;   in Loop: Header=BB944_215 Depth=1
	s_or_b64 exec, exec, s[14:15]
.LBB944_467:                            ;   in Loop: Header=BB944_215 Depth=1
	s_or_b64 exec, exec, s[12:13]
	v_lshrrev_b32_e32 v42, 16, v40
	v_cmp_ne_u16_sdwa s[14:15], v42, v55 src0_sel:BYTE_0 src1_sel:DWORD
	s_and_saveexec_b64 s[12:13], s[14:15]
	s_cbranch_execz .LBB944_473
; %bb.468:                              ;   in Loop: Header=BB944_215 Depth=1
	v_cmp_ne_u16_sdwa s[16:17], v42, s9 src0_sel:BYTE_0 src1_sel:DWORD
	v_mov_b32_e32 v57, 0xffff8000
	s_and_saveexec_b64 s[14:15], s[16:17]
	s_cbranch_execz .LBB944_472
; %bb.469:                              ;   in Loop: Header=BB944_215 Depth=1
	v_bfe_u32 v52, v40, 16, 7
	v_cmp_ne_u32_e32 vcc, s21, v52
	v_mov_b32_e32 v57, 0x7f80
	s_and_saveexec_b64 s[16:17], vcc
	s_cbranch_execz .LBB944_471
; %bb.470:                              ;   in Loop: Header=BB944_215 Depth=1
	v_and_b32_e32 v57, 7, v42
	v_ffbh_u32_e32 v58, v57
	v_min_u32_e32 v61, 32, v58
	v_subrev_u32_e32 v58, 28, v61
	v_lshlrev_b64 v[58:59], v58, v[42:43]
	v_lshrrev_b32_e32 v60, 3, v52
	v_sub_u32_e32 v59, 29, v61
	v_and_b32_e32 v58, 7, v58
	v_cmp_gt_u32_e32 vcc, 8, v52
	v_cndmask_b32_e32 v52, v60, v59, vcc
	v_cndmask_b32_e32 v57, v57, v58, vcc
	v_lshlrev_b32_e32 v42, 24, v42
	v_lshlrev_b32_e32 v57, 20, v57
	v_and_b32_e32 v42, 0x80000000, v42
	v_lshl_add_u32 v52, v52, 23, v56
	v_or3_b32 v42, v42, v52, v57
	v_lshrrev_b32_e32 v57, 16, v42
.LBB944_471:                            ;   in Loop: Header=BB944_215 Depth=1
	s_or_b64 exec, exec, s[16:17]
.LBB944_472:                            ;   in Loop: Header=BB944_215 Depth=1
	s_or_b64 exec, exec, s[14:15]
.LBB944_473:                            ;   in Loop: Header=BB944_215 Depth=1
	s_or_b64 exec, exec, s[12:13]
	v_cmp_lt_u32_e32 vcc, s22, v40
	v_mov_b32_e32 v58, 0
	v_mov_b32_e32 v59, 0
	s_and_saveexec_b64 s[12:13], vcc
	s_cbranch_execz .LBB944_479
; %bb.474:                              ;   in Loop: Header=BB944_215 Depth=1
	v_lshrrev_b32_e32 v42, 24, v40
	v_cmp_ne_u32_e32 vcc, s9, v42
	v_mov_b32_e32 v59, 0xffff8000
	s_and_saveexec_b64 s[14:15], vcc
	s_cbranch_execz .LBB944_478
; %bb.475:                              ;   in Loop: Header=BB944_215 Depth=1
	v_bfe_u32 v40, v40, 24, 7
	v_cmp_ne_u32_e32 vcc, s21, v40
	v_mov_b32_e32 v59, 0x7f80
	s_and_saveexec_b64 s[16:17], vcc
	s_cbranch_execz .LBB944_477
; %bb.476:                              ;   in Loop: Header=BB944_215 Depth=1
	v_and_b32_e32 v52, 7, v42
	v_ffbh_u32_e32 v60, v52
	v_min_u32_e32 v62, 32, v60
	v_subrev_u32_e32 v60, 28, v62
	v_lshlrev_b64 v[60:61], v60, v[42:43]
	v_lshrrev_b32_e32 v59, 3, v40
	v_sub_u32_e32 v61, 29, v62
	v_and_b32_e32 v60, 7, v60
	v_cmp_gt_u32_e32 vcc, 8, v40
	v_cndmask_b32_e32 v40, v59, v61, vcc
	v_cndmask_b32_e32 v52, v52, v60, vcc
	v_lshlrev_b32_e32 v42, 24, v42
	v_lshlrev_b32_e32 v52, 20, v52
	v_and_b32_e32 v42, 0x80000000, v42
	v_lshl_add_u32 v40, v40, 23, v56
	v_or3_b32 v40, v42, v40, v52
	v_lshrrev_b32_e32 v59, 16, v40
.LBB944_477:                            ;   in Loop: Header=BB944_215 Depth=1
	s_or_b64 exec, exec, s[16:17]
.LBB944_478:                            ;   in Loop: Header=BB944_215 Depth=1
	s_or_b64 exec, exec, s[14:15]
.LBB944_479:                            ;   in Loop: Header=BB944_215 Depth=1
	s_or_b64 exec, exec, s[12:13]
	s_waitcnt vmcnt(0)
	v_cmp_ne_u16_sdwa s[14:15], v38, v55 src0_sel:BYTE_0 src1_sel:DWORD
	s_and_saveexec_b64 s[12:13], s[14:15]
	s_cbranch_execz .LBB944_485
; %bb.480:                              ;   in Loop: Header=BB944_215 Depth=1
	v_cmp_ne_u16_sdwa s[16:17], v38, s9 src0_sel:BYTE_0 src1_sel:DWORD
	v_mov_b32_e32 v58, 0xffff8000
	s_and_saveexec_b64 s[14:15], s[16:17]
	s_cbranch_execz .LBB944_484
; %bb.481:                              ;   in Loop: Header=BB944_215 Depth=1
	v_and_b32_e32 v40, 0x7f, v38
	v_cmp_ne_u32_e32 vcc, s21, v40
	v_mov_b32_e32 v58, 0x7f80
	s_and_saveexec_b64 s[16:17], vcc
	s_cbranch_execz .LBB944_483
; %bb.482:                              ;   in Loop: Header=BB944_215 Depth=1
	v_and_b32_e32 v42, 7, v38
	v_ffbh_u32_e32 v58, v42
	v_min_u32_e32 v58, 32, v58
	v_subrev_u32_e32 v60, 28, v58
	v_lshlrev_b64 v[60:61], v60, v[38:39]
	v_lshrrev_b32_e32 v52, 3, v40
	v_sub_u32_e32 v58, 29, v58
	v_and_b32_e32 v60, 7, v60
	v_cmp_gt_u32_e32 vcc, 8, v40
	v_cndmask_b32_e32 v40, v52, v58, vcc
	v_cndmask_b32_e32 v42, v42, v60, vcc
	v_lshlrev_b32_e32 v52, 24, v38
	v_lshlrev_b32_e32 v42, 20, v42
	v_and_b32_e32 v52, 0x80000000, v52
	v_lshl_add_u32 v40, v40, 23, v56
	v_or3_b32 v40, v52, v40, v42
	v_lshrrev_b32_e32 v58, 16, v40
.LBB944_483:                            ;   in Loop: Header=BB944_215 Depth=1
	s_or_b64 exec, exec, s[16:17]
.LBB944_484:                            ;   in Loop: Header=BB944_215 Depth=1
	s_or_b64 exec, exec, s[14:15]
.LBB944_485:                            ;   in Loop: Header=BB944_215 Depth=1
	s_or_b64 exec, exec, s[12:13]
	v_lshrrev_b16_e32 v40, 8, v38
	v_cmp_ne_u16_e32 vcc, 0, v40
	v_mov_b32_e32 v61, 0
	v_mov_b32_e32 v60, 0
	s_and_saveexec_b64 s[12:13], vcc
	s_cbranch_execz .LBB944_491
; %bb.486:                              ;   in Loop: Header=BB944_215 Depth=1
	v_cmp_ne_u16_e32 vcc, s9, v40
	v_mov_b32_e32 v60, 0xffff8000
	s_and_saveexec_b64 s[14:15], vcc
	s_cbranch_execz .LBB944_490
; %bb.487:                              ;   in Loop: Header=BB944_215 Depth=1
	v_and_b32_e32 v42, 0x7f, v40
	v_cmp_ne_u32_e32 vcc, s21, v42
	v_mov_b32_e32 v60, 0x7f80
	s_and_saveexec_b64 s[16:17], vcc
	s_cbranch_execz .LBB944_489
; %bb.488:                              ;   in Loop: Header=BB944_215 Depth=1
	v_and_b32_e32 v52, 7, v40
	v_ffbh_u32_e32 v62, v52
	v_min_u32_e32 v64, 32, v62
	v_subrev_u32_e32 v62, 28, v64
	v_lshlrev_b64 v[62:63], v62, v[40:41]
	v_lshrrev_b32_e32 v60, 3, v42
	v_sub_u32_e32 v40, 29, v64
	v_and_b32_e32 v62, 7, v62
	v_cmp_gt_u32_e32 vcc, 8, v42
	v_cndmask_b32_e32 v40, v60, v40, vcc
	v_cndmask_b32_e32 v42, v52, v62, vcc
	v_lshlrev_b32_e32 v52, 16, v38
	v_lshlrev_b32_e32 v42, 20, v42
	v_and_b32_e32 v52, 0x80000000, v52
	v_lshl_add_u32 v40, v40, 23, v56
	v_or3_b32 v40, v52, v40, v42
	v_lshrrev_b32_e32 v60, 16, v40
.LBB944_489:                            ;   in Loop: Header=BB944_215 Depth=1
	s_or_b64 exec, exec, s[16:17]
.LBB944_490:                            ;   in Loop: Header=BB944_215 Depth=1
	s_or_b64 exec, exec, s[14:15]
.LBB944_491:                            ;   in Loop: Header=BB944_215 Depth=1
	s_or_b64 exec, exec, s[12:13]
	v_lshrrev_b32_e32 v40, 16, v38
	v_cmp_ne_u16_sdwa s[14:15], v40, v55 src0_sel:BYTE_0 src1_sel:DWORD
	s_and_saveexec_b64 s[12:13], s[14:15]
	s_cbranch_execz .LBB944_497
; %bb.492:                              ;   in Loop: Header=BB944_215 Depth=1
	v_cmp_ne_u16_sdwa s[16:17], v40, s9 src0_sel:BYTE_0 src1_sel:DWORD
	v_mov_b32_e32 v61, 0xffff8000
	s_and_saveexec_b64 s[14:15], s[16:17]
	s_cbranch_execz .LBB944_496
; %bb.493:                              ;   in Loop: Header=BB944_215 Depth=1
	v_bfe_u32 v42, v38, 16, 7
	v_cmp_ne_u32_e32 vcc, s21, v42
	v_mov_b32_e32 v61, 0x7f80
	s_and_saveexec_b64 s[16:17], vcc
	s_cbranch_execz .LBB944_495
; %bb.494:                              ;   in Loop: Header=BB944_215 Depth=1
	v_and_b32_e32 v52, 7, v40
	v_ffbh_u32_e32 v62, v52
	v_min_u32_e32 v64, 32, v62
	v_subrev_u32_e32 v62, 28, v64
	v_lshlrev_b64 v[62:63], v62, v[40:41]
	v_lshrrev_b32_e32 v61, 3, v42
	v_sub_u32_e32 v63, 29, v64
	v_and_b32_e32 v62, 7, v62
	v_cmp_gt_u32_e32 vcc, 8, v42
	v_cndmask_b32_e32 v42, v61, v63, vcc
	v_cndmask_b32_e32 v52, v52, v62, vcc
	v_lshlrev_b32_e32 v40, 24, v40
	v_lshlrev_b32_e32 v52, 20, v52
	v_and_b32_e32 v40, 0x80000000, v40
	v_lshl_add_u32 v42, v42, 23, v56
	v_or3_b32 v40, v40, v42, v52
	v_lshrrev_b32_e32 v61, 16, v40
.LBB944_495:                            ;   in Loop: Header=BB944_215 Depth=1
	s_or_b64 exec, exec, s[16:17]
.LBB944_496:                            ;   in Loop: Header=BB944_215 Depth=1
	s_or_b64 exec, exec, s[14:15]
.LBB944_497:                            ;   in Loop: Header=BB944_215 Depth=1
	s_or_b64 exec, exec, s[12:13]
	v_cmp_lt_u32_e32 vcc, s22, v38
	v_mov_b32_e32 v52, 0
	v_mov_b32_e32 v62, 0
	s_and_saveexec_b64 s[12:13], vcc
	s_cbranch_execz .LBB944_503
; %bb.498:                              ;   in Loop: Header=BB944_215 Depth=1
	v_lshrrev_b32_e32 v40, 24, v38
	v_cmp_ne_u32_e32 vcc, s9, v40
	v_mov_b32_e32 v62, 0xffff8000
	s_and_saveexec_b64 s[14:15], vcc
	s_cbranch_execz .LBB944_502
; %bb.499:                              ;   in Loop: Header=BB944_215 Depth=1
	v_bfe_u32 v38, v38, 24, 7
	v_cmp_ne_u32_e32 vcc, s21, v38
	v_mov_b32_e32 v62, 0x7f80
	s_and_saveexec_b64 s[16:17], vcc
	s_cbranch_execz .LBB944_501
; %bb.500:                              ;   in Loop: Header=BB944_215 Depth=1
	v_and_b32_e32 v42, 7, v40
	v_ffbh_u32_e32 v62, v42
	v_min_u32_e32 v65, 32, v62
	v_subrev_u32_e32 v62, 28, v65
	v_lshlrev_b64 v[62:63], v62, v[40:41]
	v_lshrrev_b32_e32 v64, 3, v38
	v_sub_u32_e32 v63, 29, v65
	v_and_b32_e32 v62, 7, v62
	v_cmp_gt_u32_e32 vcc, 8, v38
	v_cndmask_b32_e32 v38, v64, v63, vcc
	v_cndmask_b32_e32 v42, v42, v62, vcc
	v_lshlrev_b32_e32 v40, 24, v40
	v_lshlrev_b32_e32 v42, 20, v42
	v_and_b32_e32 v40, 0x80000000, v40
	v_lshl_add_u32 v38, v38, 23, v56
	v_or3_b32 v38, v40, v38, v42
	v_lshrrev_b32_e32 v62, 16, v38
.LBB944_501:                            ;   in Loop: Header=BB944_215 Depth=1
	s_or_b64 exec, exec, s[16:17]
.LBB944_502:                            ;   in Loop: Header=BB944_215 Depth=1
	s_or_b64 exec, exec, s[14:15]
.LBB944_503:                            ;   in Loop: Header=BB944_215 Depth=1
	s_or_b64 exec, exec, s[12:13]
	v_perm_b32 v64, v44, v46, s23
	buffer_load_dword v44, v51, s[0:3], 0 offen
	buffer_load_dword v42, v51, s[0:3], 0 offen offset:4
	buffer_load_dword v40, v51, s[0:3], 0 offen offset:8
	;; [unrolled: 1-line block ×3, first 2 shown]
	v_perm_b32 v65, v59, v57, s23
	v_perm_b32 v59, v62, v61, s23
	;; [unrolled: 1-line block ×3, first 2 shown]
	v_mfma_f32_16x16x16bf16_1k v[34:37], v[64:65], v[22:23], v[34:37]
	s_waitcnt vmcnt(3)
	v_cmp_ne_u16_sdwa s[14:15], v44, v55 src0_sel:BYTE_0 src1_sel:DWORD
	v_mfma_f32_16x16x16bf16_1k v[34:37], v[58:59], v[24:25], v[34:37]
	s_and_saveexec_b64 s[12:13], s[14:15]
	s_cbranch_execz .LBB944_509
; %bb.504:                              ;   in Loop: Header=BB944_215 Depth=1
	v_cmp_ne_u16_sdwa s[16:17], v44, s9 src0_sel:BYTE_0 src1_sel:DWORD
	v_mov_b32_e32 v52, 0xffff8000
	s_and_saveexec_b64 s[14:15], s[16:17]
	s_cbranch_execz .LBB944_508
; %bb.505:                              ;   in Loop: Header=BB944_215 Depth=1
	v_and_b32_e32 v46, 0x7f, v44
	v_cmp_ne_u32_e32 vcc, s21, v46
	v_mov_b32_e32 v52, 0x7f80
	s_and_saveexec_b64 s[16:17], vcc
	s_cbranch_execz .LBB944_507
; %bb.506:                              ;   in Loop: Header=BB944_215 Depth=1
	v_and_b32_e32 v51, 7, v44
	v_ffbh_u32_e32 v57, v51
	v_min_u32_e32 v57, 32, v57
	v_subrev_u32_e32 v58, 28, v57
	v_lshlrev_b64 v[58:59], v58, v[44:45]
	v_lshrrev_b32_e32 v52, 3, v46
	v_sub_u32_e32 v57, 29, v57
	v_and_b32_e32 v58, 7, v58
	v_cmp_gt_u32_e32 vcc, 8, v46
	v_cndmask_b32_e32 v46, v52, v57, vcc
	v_cndmask_b32_e32 v51, v51, v58, vcc
	v_lshlrev_b32_e32 v52, 24, v44
	v_lshlrev_b32_e32 v51, 20, v51
	v_and_b32_e32 v52, 0x80000000, v52
	v_lshl_add_u32 v46, v46, 23, v56
	v_or3_b32 v46, v52, v46, v51
	v_lshrrev_b32_e32 v52, 16, v46
.LBB944_507:                            ;   in Loop: Header=BB944_215 Depth=1
	s_or_b64 exec, exec, s[16:17]
.LBB944_508:                            ;   in Loop: Header=BB944_215 Depth=1
	s_or_b64 exec, exec, s[14:15]
.LBB944_509:                            ;   in Loop: Header=BB944_215 Depth=1
	s_or_b64 exec, exec, s[12:13]
	v_lshrrev_b16_e32 v46, 8, v44
	v_cmp_ne_u16_e32 vcc, 0, v46
	v_mov_b32_e32 v57, 0
	v_mov_b32_e32 v51, 0
	s_and_saveexec_b64 s[12:13], vcc
	s_cbranch_execz .LBB944_515
; %bb.510:                              ;   in Loop: Header=BB944_215 Depth=1
	v_cmp_ne_u16_e32 vcc, s9, v46
	v_mov_b32_e32 v51, 0xffff8000
	s_and_saveexec_b64 s[14:15], vcc
	s_cbranch_execz .LBB944_514
; %bb.511:                              ;   in Loop: Header=BB944_215 Depth=1
	v_and_b32_e32 v58, 0x7f, v46
	v_cmp_ne_u32_e32 vcc, s21, v58
	v_mov_b32_e32 v51, 0x7f80
	s_and_saveexec_b64 s[16:17], vcc
	s_cbranch_execz .LBB944_513
; %bb.512:                              ;   in Loop: Header=BB944_215 Depth=1
	v_and_b32_e32 v51, 7, v46
	v_ffbh_u32_e32 v60, v51
	v_min_u32_e32 v62, 32, v60
	v_subrev_u32_e32 v60, 28, v62
	v_lshlrev_b64 v[60:61], v60, v[46:47]
	v_lshrrev_b32_e32 v59, 3, v58
	v_sub_u32_e32 v46, 29, v62
	v_and_b32_e32 v60, 7, v60
	v_cmp_gt_u32_e32 vcc, 8, v58
	v_cndmask_b32_e32 v46, v59, v46, vcc
	v_cndmask_b32_e32 v51, v51, v60, vcc
	v_lshlrev_b32_e32 v58, 16, v44
	v_lshlrev_b32_e32 v51, 20, v51
	v_and_b32_e32 v58, 0x80000000, v58
	v_lshl_add_u32 v46, v46, 23, v56
	v_or3_b32 v46, v58, v46, v51
	v_lshrrev_b32_e32 v51, 16, v46
.LBB944_513:                            ;   in Loop: Header=BB944_215 Depth=1
	s_or_b64 exec, exec, s[16:17]
.LBB944_514:                            ;   in Loop: Header=BB944_215 Depth=1
	s_or_b64 exec, exec, s[14:15]
.LBB944_515:                            ;   in Loop: Header=BB944_215 Depth=1
	s_or_b64 exec, exec, s[12:13]
	v_lshrrev_b32_e32 v46, 16, v44
	v_cmp_ne_u16_sdwa s[14:15], v46, v55 src0_sel:BYTE_0 src1_sel:DWORD
	s_and_saveexec_b64 s[12:13], s[14:15]
	s_cbranch_execz .LBB944_521
; %bb.516:                              ;   in Loop: Header=BB944_215 Depth=1
	v_cmp_ne_u16_sdwa s[16:17], v46, s9 src0_sel:BYTE_0 src1_sel:DWORD
	v_mov_b32_e32 v57, 0xffff8000
	s_and_saveexec_b64 s[14:15], s[16:17]
	s_cbranch_execz .LBB944_520
; %bb.517:                              ;   in Loop: Header=BB944_215 Depth=1
	v_bfe_u32 v58, v44, 16, 7
	v_cmp_ne_u32_e32 vcc, s21, v58
	v_mov_b32_e32 v57, 0x7f80
	s_and_saveexec_b64 s[16:17], vcc
	s_cbranch_execz .LBB944_519
; %bb.518:                              ;   in Loop: Header=BB944_215 Depth=1
	v_and_b32_e32 v57, 7, v46
	v_ffbh_u32_e32 v60, v57
	v_min_u32_e32 v62, 32, v60
	v_subrev_u32_e32 v60, 28, v62
	v_lshlrev_b64 v[60:61], v60, v[46:47]
	v_lshrrev_b32_e32 v59, 3, v58
	v_sub_u32_e32 v61, 29, v62
	v_and_b32_e32 v60, 7, v60
	v_cmp_gt_u32_e32 vcc, 8, v58
	v_cndmask_b32_e32 v58, v59, v61, vcc
	v_cndmask_b32_e32 v57, v57, v60, vcc
	v_lshlrev_b32_e32 v46, 24, v46
	v_lshlrev_b32_e32 v57, 20, v57
	v_and_b32_e32 v46, 0x80000000, v46
	v_lshl_add_u32 v58, v58, 23, v56
	v_or3_b32 v46, v46, v58, v57
	v_lshrrev_b32_e32 v57, 16, v46
.LBB944_519:                            ;   in Loop: Header=BB944_215 Depth=1
	s_or_b64 exec, exec, s[16:17]
.LBB944_520:                            ;   in Loop: Header=BB944_215 Depth=1
	s_or_b64 exec, exec, s[14:15]
.LBB944_521:                            ;   in Loop: Header=BB944_215 Depth=1
	s_or_b64 exec, exec, s[12:13]
	v_cmp_lt_u32_e32 vcc, s22, v44
	v_mov_b32_e32 v58, 0
	v_mov_b32_e32 v59, 0
	s_and_saveexec_b64 s[12:13], vcc
	s_cbranch_execz .LBB944_527
; %bb.522:                              ;   in Loop: Header=BB944_215 Depth=1
	v_lshrrev_b32_e32 v46, 24, v44
	v_cmp_ne_u32_e32 vcc, s9, v46
	v_mov_b32_e32 v59, 0xffff8000
	s_and_saveexec_b64 s[14:15], vcc
	s_cbranch_execz .LBB944_526
; %bb.523:                              ;   in Loop: Header=BB944_215 Depth=1
	v_bfe_u32 v44, v44, 24, 7
	v_cmp_ne_u32_e32 vcc, s21, v44
	v_mov_b32_e32 v59, 0x7f80
	s_and_saveexec_b64 s[16:17], vcc
	s_cbranch_execz .LBB944_525
; %bb.524:                              ;   in Loop: Header=BB944_215 Depth=1
	v_and_b32_e32 v59, 7, v46
	v_ffbh_u32_e32 v60, v59
	v_min_u32_e32 v63, 32, v60
	v_subrev_u32_e32 v60, 28, v63
	v_lshlrev_b64 v[60:61], v60, v[46:47]
	v_lshrrev_b32_e32 v62, 3, v44
	v_sub_u32_e32 v61, 29, v63
	v_and_b32_e32 v60, 7, v60
	v_cmp_gt_u32_e32 vcc, 8, v44
	v_cndmask_b32_e32 v44, v62, v61, vcc
	v_cndmask_b32_e32 v59, v59, v60, vcc
	v_lshlrev_b32_e32 v46, 24, v46
	v_lshlrev_b32_e32 v59, 20, v59
	v_and_b32_e32 v46, 0x80000000, v46
	v_lshl_add_u32 v44, v44, 23, v56
	v_or3_b32 v44, v46, v44, v59
	v_lshrrev_b32_e32 v59, 16, v44
.LBB944_525:                            ;   in Loop: Header=BB944_215 Depth=1
	s_or_b64 exec, exec, s[16:17]
.LBB944_526:                            ;   in Loop: Header=BB944_215 Depth=1
	s_or_b64 exec, exec, s[14:15]
.LBB944_527:                            ;   in Loop: Header=BB944_215 Depth=1
	s_or_b64 exec, exec, s[12:13]
	s_waitcnt vmcnt(2)
	v_cmp_ne_u16_sdwa s[14:15], v42, v55 src0_sel:BYTE_0 src1_sel:DWORD
	s_and_saveexec_b64 s[12:13], s[14:15]
	s_cbranch_execz .LBB944_533
; %bb.528:                              ;   in Loop: Header=BB944_215 Depth=1
	v_cmp_ne_u16_sdwa s[16:17], v42, s9 src0_sel:BYTE_0 src1_sel:DWORD
	v_mov_b32_e32 v58, 0xffff8000
	s_and_saveexec_b64 s[14:15], s[16:17]
	s_cbranch_execz .LBB944_532
; %bb.529:                              ;   in Loop: Header=BB944_215 Depth=1
	v_and_b32_e32 v44, 0x7f, v42
	v_cmp_ne_u32_e32 vcc, s21, v44
	v_mov_b32_e32 v58, 0x7f80
	s_and_saveexec_b64 s[16:17], vcc
	s_cbranch_execz .LBB944_531
; %bb.530:                              ;   in Loop: Header=BB944_215 Depth=1
	v_and_b32_e32 v46, 7, v42
	v_ffbh_u32_e32 v60, v46
	v_min_u32_e32 v62, 32, v60
	v_subrev_u32_e32 v60, 28, v62
	v_lshlrev_b64 v[60:61], v60, v[42:43]
	v_lshrrev_b32_e32 v58, 3, v44
	v_sub_u32_e32 v61, 29, v62
	v_and_b32_e32 v60, 7, v60
	v_cmp_gt_u32_e32 vcc, 8, v44
	v_cndmask_b32_e32 v44, v58, v61, vcc
	v_cndmask_b32_e32 v46, v46, v60, vcc
	v_lshlrev_b32_e32 v58, 24, v42
	v_lshlrev_b32_e32 v46, 20, v46
	v_and_b32_e32 v58, 0x80000000, v58
	v_lshl_add_u32 v44, v44, 23, v56
	v_or3_b32 v44, v58, v44, v46
	v_lshrrev_b32_e32 v58, 16, v44
.LBB944_531:                            ;   in Loop: Header=BB944_215 Depth=1
	s_or_b64 exec, exec, s[16:17]
.LBB944_532:                            ;   in Loop: Header=BB944_215 Depth=1
	s_or_b64 exec, exec, s[14:15]
.LBB944_533:                            ;   in Loop: Header=BB944_215 Depth=1
	s_or_b64 exec, exec, s[12:13]
	v_lshrrev_b16_e32 v44, 8, v42
	v_cmp_ne_u16_e32 vcc, 0, v44
	v_mov_b32_e32 v61, 0
	v_mov_b32_e32 v60, 0
	s_and_saveexec_b64 s[12:13], vcc
	s_cbranch_execz .LBB944_539
; %bb.534:                              ;   in Loop: Header=BB944_215 Depth=1
	v_cmp_ne_u16_e32 vcc, s9, v44
	v_mov_b32_e32 v60, 0xffff8000
	s_and_saveexec_b64 s[14:15], vcc
	s_cbranch_execz .LBB944_538
; %bb.535:                              ;   in Loop: Header=BB944_215 Depth=1
	v_and_b32_e32 v46, 0x7f, v44
	v_cmp_ne_u32_e32 vcc, s21, v46
	v_mov_b32_e32 v60, 0x7f80
	s_and_saveexec_b64 s[16:17], vcc
	s_cbranch_execz .LBB944_537
; %bb.536:                              ;   in Loop: Header=BB944_215 Depth=1
	v_and_b32_e32 v60, 7, v44
	v_ffbh_u32_e32 v62, v60
	v_min_u32_e32 v65, 32, v62
	v_subrev_u32_e32 v62, 28, v65
	v_lshlrev_b64 v[62:63], v62, v[44:45]
	v_lshrrev_b32_e32 v64, 3, v46
	v_sub_u32_e32 v44, 29, v65
	v_and_b32_e32 v62, 7, v62
	v_cmp_gt_u32_e32 vcc, 8, v46
	v_cndmask_b32_e32 v44, v64, v44, vcc
	v_cndmask_b32_e32 v46, v60, v62, vcc
	v_lshlrev_b32_e32 v60, 16, v42
	v_lshlrev_b32_e32 v46, 20, v46
	v_and_b32_e32 v60, 0x80000000, v60
	v_lshl_add_u32 v44, v44, 23, v56
	v_or3_b32 v44, v60, v44, v46
	v_lshrrev_b32_e32 v60, 16, v44
.LBB944_537:                            ;   in Loop: Header=BB944_215 Depth=1
	s_or_b64 exec, exec, s[16:17]
.LBB944_538:                            ;   in Loop: Header=BB944_215 Depth=1
	s_or_b64 exec, exec, s[14:15]
.LBB944_539:                            ;   in Loop: Header=BB944_215 Depth=1
	s_or_b64 exec, exec, s[12:13]
	v_lshrrev_b32_e32 v44, 16, v42
	v_cmp_ne_u16_sdwa s[14:15], v44, v55 src0_sel:BYTE_0 src1_sel:DWORD
	s_and_saveexec_b64 s[12:13], s[14:15]
	s_cbranch_execz .LBB944_545
; %bb.540:                              ;   in Loop: Header=BB944_215 Depth=1
	v_cmp_ne_u16_sdwa s[16:17], v44, s9 src0_sel:BYTE_0 src1_sel:DWORD
	v_mov_b32_e32 v61, 0xffff8000
	s_and_saveexec_b64 s[14:15], s[16:17]
	s_cbranch_execz .LBB944_544
; %bb.541:                              ;   in Loop: Header=BB944_215 Depth=1
	v_bfe_u32 v46, v42, 16, 7
	v_cmp_ne_u32_e32 vcc, s21, v46
	v_mov_b32_e32 v61, 0x7f80
	s_and_saveexec_b64 s[16:17], vcc
	s_cbranch_execz .LBB944_543
; %bb.542:                              ;   in Loop: Header=BB944_215 Depth=1
	v_and_b32_e32 v61, 7, v44
	v_ffbh_u32_e32 v62, v61
	v_min_u32_e32 v65, 32, v62
	v_subrev_u32_e32 v62, 28, v65
	v_lshlrev_b64 v[62:63], v62, v[44:45]
	v_lshrrev_b32_e32 v64, 3, v46
	v_sub_u32_e32 v63, 29, v65
	v_and_b32_e32 v62, 7, v62
	v_cmp_gt_u32_e32 vcc, 8, v46
	v_cndmask_b32_e32 v46, v64, v63, vcc
	v_cndmask_b32_e32 v61, v61, v62, vcc
	v_lshlrev_b32_e32 v44, 24, v44
	v_lshlrev_b32_e32 v61, 20, v61
	v_and_b32_e32 v44, 0x80000000, v44
	v_lshl_add_u32 v46, v46, 23, v56
	v_or3_b32 v44, v44, v46, v61
	v_lshrrev_b32_e32 v61, 16, v44
.LBB944_543:                            ;   in Loop: Header=BB944_215 Depth=1
	s_or_b64 exec, exec, s[16:17]
.LBB944_544:                            ;   in Loop: Header=BB944_215 Depth=1
	s_or_b64 exec, exec, s[14:15]
.LBB944_545:                            ;   in Loop: Header=BB944_215 Depth=1
	s_or_b64 exec, exec, s[12:13]
	v_cmp_lt_u32_e32 vcc, s22, v42
	v_mov_b32_e32 v46, 0
	v_mov_b32_e32 v62, 0
	s_and_saveexec_b64 s[12:13], vcc
	s_cbranch_execz .LBB944_551
; %bb.546:                              ;   in Loop: Header=BB944_215 Depth=1
	v_lshrrev_b32_e32 v44, 24, v42
	v_cmp_ne_u32_e32 vcc, s9, v44
	v_mov_b32_e32 v62, 0xffff8000
	s_and_saveexec_b64 s[14:15], vcc
	s_cbranch_execz .LBB944_550
; %bb.547:                              ;   in Loop: Header=BB944_215 Depth=1
	v_bfe_u32 v42, v42, 24, 7
	v_cmp_ne_u32_e32 vcc, s21, v42
	v_mov_b32_e32 v62, 0x7f80
	s_and_saveexec_b64 s[16:17], vcc
	s_cbranch_execz .LBB944_549
; %bb.548:                              ;   in Loop: Header=BB944_215 Depth=1
	v_and_b32_e32 v64, 7, v44
	v_ffbh_u32_e32 v62, v64
	v_min_u32_e32 v66, 32, v62
	v_subrev_u32_e32 v62, 28, v66
	v_lshlrev_b64 v[62:63], v62, v[44:45]
	v_lshrrev_b32_e32 v65, 3, v42
	v_sub_u32_e32 v63, 29, v66
	v_and_b32_e32 v62, 7, v62
	v_cmp_gt_u32_e32 vcc, 8, v42
	v_cndmask_b32_e32 v42, v65, v63, vcc
	v_cndmask_b32_e32 v62, v64, v62, vcc
	v_lshlrev_b32_e32 v44, 24, v44
	v_lshlrev_b32_e32 v62, 20, v62
	v_and_b32_e32 v44, 0x80000000, v44
	v_lshl_add_u32 v42, v42, 23, v56
	v_or3_b32 v42, v44, v42, v62
	v_lshrrev_b32_e32 v62, 16, v42
.LBB944_549:                            ;   in Loop: Header=BB944_215 Depth=1
	s_or_b64 exec, exec, s[16:17]
.LBB944_550:                            ;   in Loop: Header=BB944_215 Depth=1
	s_or_b64 exec, exec, s[14:15]
.LBB944_551:                            ;   in Loop: Header=BB944_215 Depth=1
	s_or_b64 exec, exec, s[12:13]
	v_perm_b32 v65, v59, v57, s23
	v_perm_b32 v64, v51, v52, s23
	;; [unrolled: 1-line block ×4, first 2 shown]
	s_waitcnt vmcnt(1)
	v_cmp_ne_u16_sdwa s[14:15], v40, v55 src0_sel:BYTE_0 src1_sel:DWORD
	v_mfma_f32_16x16x16bf16_1k v[34:37], v[64:65], v[26:27], v[34:37]
	v_mfma_f32_16x16x16bf16_1k v[34:37], v[58:59], v[28:29], v[34:37]
	s_and_saveexec_b64 s[12:13], s[14:15]
	s_cbranch_execz .LBB944_557
; %bb.552:                              ;   in Loop: Header=BB944_215 Depth=1
	v_cmp_ne_u16_sdwa s[16:17], v40, s9 src0_sel:BYTE_0 src1_sel:DWORD
	v_mov_b32_e32 v46, 0xffff8000
	s_and_saveexec_b64 s[14:15], s[16:17]
	s_cbranch_execz .LBB944_556
; %bb.553:                              ;   in Loop: Header=BB944_215 Depth=1
	v_and_b32_e32 v42, 0x7f, v40
	v_cmp_ne_u32_e32 vcc, s21, v42
	v_mov_b32_e32 v46, 0x7f80
	s_and_saveexec_b64 s[16:17], vcc
	s_cbranch_execz .LBB944_555
; %bb.554:                              ;   in Loop: Header=BB944_215 Depth=1
	v_and_b32_e32 v44, 7, v40
	v_ffbh_u32_e32 v51, v44
	v_min_u32_e32 v51, 32, v51
	v_subrev_u32_e32 v52, 28, v51
	v_lshlrev_b64 v[58:59], v52, v[40:41]
	v_lshrrev_b32_e32 v46, 3, v42
	v_sub_u32_e32 v51, 29, v51
	v_and_b32_e32 v52, 7, v58
	v_cmp_gt_u32_e32 vcc, 8, v42
	v_cndmask_b32_e32 v42, v46, v51, vcc
	v_cndmask_b32_e32 v44, v44, v52, vcc
	v_lshlrev_b32_e32 v46, 24, v40
	v_lshlrev_b32_e32 v44, 20, v44
	v_and_b32_e32 v46, 0x80000000, v46
	v_lshl_add_u32 v42, v42, 23, v56
	v_or3_b32 v42, v46, v42, v44
	v_lshrrev_b32_e32 v46, 16, v42
.LBB944_555:                            ;   in Loop: Header=BB944_215 Depth=1
	s_or_b64 exec, exec, s[16:17]
.LBB944_556:                            ;   in Loop: Header=BB944_215 Depth=1
	s_or_b64 exec, exec, s[14:15]
.LBB944_557:                            ;   in Loop: Header=BB944_215 Depth=1
	s_or_b64 exec, exec, s[12:13]
	v_lshrrev_b16_e32 v42, 8, v40
	v_cmp_ne_u16_e32 vcc, 0, v42
	v_mov_b32_e32 v51, 0
	v_mov_b32_e32 v44, 0
	s_and_saveexec_b64 s[12:13], vcc
	s_cbranch_execz .LBB944_563
; %bb.558:                              ;   in Loop: Header=BB944_215 Depth=1
	v_cmp_ne_u16_e32 vcc, s9, v42
	v_mov_b32_e32 v44, 0xffff8000
	s_and_saveexec_b64 s[14:15], vcc
	s_cbranch_execz .LBB944_562
; %bb.559:                              ;   in Loop: Header=BB944_215 Depth=1
	v_and_b32_e32 v52, 0x7f, v42
	v_cmp_ne_u32_e32 vcc, s21, v52
	v_mov_b32_e32 v44, 0x7f80
	s_and_saveexec_b64 s[16:17], vcc
	s_cbranch_execz .LBB944_561
; %bb.560:                              ;   in Loop: Header=BB944_215 Depth=1
	v_and_b32_e32 v44, 7, v42
	v_ffbh_u32_e32 v58, v44
	v_min_u32_e32 v60, 32, v58
	v_subrev_u32_e32 v58, 28, v60
	v_lshlrev_b64 v[58:59], v58, v[42:43]
	v_lshrrev_b32_e32 v57, 3, v52
	v_sub_u32_e32 v42, 29, v60
	v_and_b32_e32 v58, 7, v58
	v_cmp_gt_u32_e32 vcc, 8, v52
	v_cndmask_b32_e32 v42, v57, v42, vcc
	v_cndmask_b32_e32 v44, v44, v58, vcc
	v_lshlrev_b32_e32 v52, 16, v40
	v_lshlrev_b32_e32 v44, 20, v44
	v_and_b32_e32 v52, 0x80000000, v52
	v_lshl_add_u32 v42, v42, 23, v56
	v_or3_b32 v42, v52, v42, v44
	v_lshrrev_b32_e32 v44, 16, v42
.LBB944_561:                            ;   in Loop: Header=BB944_215 Depth=1
	s_or_b64 exec, exec, s[16:17]
.LBB944_562:                            ;   in Loop: Header=BB944_215 Depth=1
	s_or_b64 exec, exec, s[14:15]
.LBB944_563:                            ;   in Loop: Header=BB944_215 Depth=1
	s_or_b64 exec, exec, s[12:13]
	v_lshrrev_b32_e32 v42, 16, v40
	v_cmp_ne_u16_sdwa s[14:15], v42, v55 src0_sel:BYTE_0 src1_sel:DWORD
	s_and_saveexec_b64 s[12:13], s[14:15]
	s_cbranch_execz .LBB944_569
; %bb.564:                              ;   in Loop: Header=BB944_215 Depth=1
	v_cmp_ne_u16_sdwa s[16:17], v42, s9 src0_sel:BYTE_0 src1_sel:DWORD
	v_mov_b32_e32 v51, 0xffff8000
	s_and_saveexec_b64 s[14:15], s[16:17]
	s_cbranch_execz .LBB944_568
; %bb.565:                              ;   in Loop: Header=BB944_215 Depth=1
	v_bfe_u32 v52, v40, 16, 7
	v_cmp_ne_u32_e32 vcc, s21, v52
	v_mov_b32_e32 v51, 0x7f80
	s_and_saveexec_b64 s[16:17], vcc
	s_cbranch_execz .LBB944_567
; %bb.566:                              ;   in Loop: Header=BB944_215 Depth=1
	v_and_b32_e32 v51, 7, v42
	v_ffbh_u32_e32 v58, v51
	v_min_u32_e32 v60, 32, v58
	v_subrev_u32_e32 v58, 28, v60
	v_lshlrev_b64 v[58:59], v58, v[42:43]
	v_lshrrev_b32_e32 v57, 3, v52
	v_sub_u32_e32 v59, 29, v60
	v_and_b32_e32 v58, 7, v58
	v_cmp_gt_u32_e32 vcc, 8, v52
	v_cndmask_b32_e32 v52, v57, v59, vcc
	v_cndmask_b32_e32 v51, v51, v58, vcc
	v_lshlrev_b32_e32 v42, 24, v42
	v_lshlrev_b32_e32 v51, 20, v51
	v_and_b32_e32 v42, 0x80000000, v42
	v_lshl_add_u32 v52, v52, 23, v56
	v_or3_b32 v42, v42, v52, v51
	v_lshrrev_b32_e32 v51, 16, v42
.LBB944_567:                            ;   in Loop: Header=BB944_215 Depth=1
	s_or_b64 exec, exec, s[16:17]
.LBB944_568:                            ;   in Loop: Header=BB944_215 Depth=1
	s_or_b64 exec, exec, s[14:15]
.LBB944_569:                            ;   in Loop: Header=BB944_215 Depth=1
	s_or_b64 exec, exec, s[12:13]
	v_cmp_lt_u32_e32 vcc, s22, v40
	v_mov_b32_e32 v52, 0
	v_mov_b32_e32 v57, 0
	s_and_saveexec_b64 s[12:13], vcc
	s_cbranch_execz .LBB944_575
; %bb.570:                              ;   in Loop: Header=BB944_215 Depth=1
	v_lshrrev_b32_e32 v42, 24, v40
	v_cmp_ne_u32_e32 vcc, s9, v42
	v_mov_b32_e32 v57, 0xffff8000
	s_and_saveexec_b64 s[14:15], vcc
	s_cbranch_execz .LBB944_574
; %bb.571:                              ;   in Loop: Header=BB944_215 Depth=1
	v_bfe_u32 v40, v40, 24, 7
	v_cmp_ne_u32_e32 vcc, s21, v40
	v_mov_b32_e32 v57, 0x7f80
	s_and_saveexec_b64 s[16:17], vcc
	s_cbranch_execz .LBB944_573
; %bb.572:                              ;   in Loop: Header=BB944_215 Depth=1
	v_and_b32_e32 v57, 7, v42
	v_ffbh_u32_e32 v58, v57
	v_min_u32_e32 v61, 32, v58
	v_subrev_u32_e32 v58, 28, v61
	v_lshlrev_b64 v[58:59], v58, v[42:43]
	v_lshrrev_b32_e32 v60, 3, v40
	v_sub_u32_e32 v59, 29, v61
	v_and_b32_e32 v58, 7, v58
	v_cmp_gt_u32_e32 vcc, 8, v40
	v_cndmask_b32_e32 v40, v60, v59, vcc
	v_cndmask_b32_e32 v57, v57, v58, vcc
	v_lshlrev_b32_e32 v42, 24, v42
	v_lshlrev_b32_e32 v57, 20, v57
	v_and_b32_e32 v42, 0x80000000, v42
	v_lshl_add_u32 v40, v40, 23, v56
	v_or3_b32 v40, v42, v40, v57
	v_lshrrev_b32_e32 v57, 16, v40
.LBB944_573:                            ;   in Loop: Header=BB944_215 Depth=1
	s_or_b64 exec, exec, s[16:17]
.LBB944_574:                            ;   in Loop: Header=BB944_215 Depth=1
	s_or_b64 exec, exec, s[14:15]
.LBB944_575:                            ;   in Loop: Header=BB944_215 Depth=1
	s_or_b64 exec, exec, s[12:13]
	s_waitcnt vmcnt(0)
	v_cmp_ne_u16_sdwa s[14:15], v38, v55 src0_sel:BYTE_0 src1_sel:DWORD
	s_and_saveexec_b64 s[12:13], s[14:15]
	s_cbranch_execz .LBB944_581
; %bb.576:                              ;   in Loop: Header=BB944_215 Depth=1
	v_cmp_ne_u16_sdwa s[16:17], v38, s9 src0_sel:BYTE_0 src1_sel:DWORD
	v_mov_b32_e32 v52, 0xffff8000
	s_and_saveexec_b64 s[14:15], s[16:17]
	s_cbranch_execz .LBB944_580
; %bb.577:                              ;   in Loop: Header=BB944_215 Depth=1
	v_and_b32_e32 v40, 0x7f, v38
	v_cmp_ne_u32_e32 vcc, s21, v40
	v_mov_b32_e32 v52, 0x7f80
	s_and_saveexec_b64 s[16:17], vcc
	s_cbranch_execz .LBB944_579
; %bb.578:                              ;   in Loop: Header=BB944_215 Depth=1
	v_and_b32_e32 v42, 7, v38
	v_ffbh_u32_e32 v58, v42
	v_min_u32_e32 v60, 32, v58
	v_subrev_u32_e32 v58, 28, v60
	v_lshlrev_b64 v[58:59], v58, v[38:39]
	v_lshrrev_b32_e32 v52, 3, v40
	v_sub_u32_e32 v59, 29, v60
	v_and_b32_e32 v58, 7, v58
	v_cmp_gt_u32_e32 vcc, 8, v40
	v_cndmask_b32_e32 v40, v52, v59, vcc
	v_cndmask_b32_e32 v42, v42, v58, vcc
	v_lshlrev_b32_e32 v52, 24, v38
	v_lshlrev_b32_e32 v42, 20, v42
	v_and_b32_e32 v52, 0x80000000, v52
	v_lshl_add_u32 v40, v40, 23, v56
	v_or3_b32 v40, v52, v40, v42
	v_lshrrev_b32_e32 v52, 16, v40
.LBB944_579:                            ;   in Loop: Header=BB944_215 Depth=1
	s_or_b64 exec, exec, s[16:17]
.LBB944_580:                            ;   in Loop: Header=BB944_215 Depth=1
	s_or_b64 exec, exec, s[14:15]
.LBB944_581:                            ;   in Loop: Header=BB944_215 Depth=1
	s_or_b64 exec, exec, s[12:13]
	v_lshrrev_b16_e32 v40, 8, v38
	v_cmp_ne_u16_e32 vcc, 0, v40
	v_mov_b32_e32 v58, 0
	v_mov_b32_e32 v42, 0
	s_and_saveexec_b64 s[12:13], vcc
	s_cbranch_execz .LBB944_587
; %bb.582:                              ;   in Loop: Header=BB944_215 Depth=1
	v_cmp_ne_u16_e32 vcc, s9, v40
	v_mov_b32_e32 v42, 0xffff8000
	s_and_saveexec_b64 s[14:15], vcc
	s_cbranch_execz .LBB944_586
; %bb.583:                              ;   in Loop: Header=BB944_215 Depth=1
	v_and_b32_e32 v59, 0x7f, v40
	v_cmp_ne_u32_e32 vcc, s21, v59
	v_mov_b32_e32 v42, 0x7f80
	s_and_saveexec_b64 s[16:17], vcc
	s_cbranch_execz .LBB944_585
; %bb.584:                              ;   in Loop: Header=BB944_215 Depth=1
	v_and_b32_e32 v42, 7, v40
	v_ffbh_u32_e32 v60, v42
	v_min_u32_e32 v63, 32, v60
	v_subrev_u32_e32 v60, 28, v63
	v_lshlrev_b64 v[60:61], v60, v[40:41]
	v_lshrrev_b32_e32 v62, 3, v59
	v_sub_u32_e32 v40, 29, v63
	v_and_b32_e32 v60, 7, v60
	v_cmp_gt_u32_e32 vcc, 8, v59
	v_cndmask_b32_e32 v40, v62, v40, vcc
	v_cndmask_b32_e32 v42, v42, v60, vcc
	v_lshlrev_b32_e32 v59, 16, v38
	v_lshlrev_b32_e32 v42, 20, v42
	v_and_b32_e32 v59, 0x80000000, v59
	v_lshl_add_u32 v40, v40, 23, v56
	v_or3_b32 v40, v59, v40, v42
	v_lshrrev_b32_e32 v42, 16, v40
.LBB944_585:                            ;   in Loop: Header=BB944_215 Depth=1
	s_or_b64 exec, exec, s[16:17]
.LBB944_586:                            ;   in Loop: Header=BB944_215 Depth=1
	s_or_b64 exec, exec, s[14:15]
.LBB944_587:                            ;   in Loop: Header=BB944_215 Depth=1
	s_or_b64 exec, exec, s[12:13]
	v_lshrrev_b32_e32 v40, 16, v38
	v_cmp_ne_u16_sdwa s[14:15], v40, v55 src0_sel:BYTE_0 src1_sel:DWORD
	s_and_saveexec_b64 s[12:13], s[14:15]
	s_cbranch_execz .LBB944_593
; %bb.588:                              ;   in Loop: Header=BB944_215 Depth=1
	v_cmp_ne_u16_sdwa s[16:17], v40, s9 src0_sel:BYTE_0 src1_sel:DWORD
	v_mov_b32_e32 v58, 0xffff8000
	s_and_saveexec_b64 s[14:15], s[16:17]
	s_cbranch_execz .LBB944_592
; %bb.589:                              ;   in Loop: Header=BB944_215 Depth=1
	v_bfe_u32 v59, v38, 16, 7
	v_cmp_ne_u32_e32 vcc, s21, v59
	v_mov_b32_e32 v58, 0x7f80
	s_and_saveexec_b64 s[16:17], vcc
	s_cbranch_execz .LBB944_591
; %bb.590:                              ;   in Loop: Header=BB944_215 Depth=1
	v_and_b32_e32 v58, 7, v40
	v_ffbh_u32_e32 v60, v58
	v_min_u32_e32 v63, 32, v60
	v_subrev_u32_e32 v60, 28, v63
	v_lshlrev_b64 v[60:61], v60, v[40:41]
	v_lshrrev_b32_e32 v62, 3, v59
	v_sub_u32_e32 v61, 29, v63
	v_and_b32_e32 v60, 7, v60
	v_cmp_gt_u32_e32 vcc, 8, v59
	v_cndmask_b32_e32 v59, v62, v61, vcc
	v_cndmask_b32_e32 v58, v58, v60, vcc
	v_lshlrev_b32_e32 v40, 24, v40
	v_lshlrev_b32_e32 v58, 20, v58
	v_and_b32_e32 v40, 0x80000000, v40
	v_lshl_add_u32 v59, v59, 23, v56
	v_or3_b32 v40, v40, v59, v58
	v_lshrrev_b32_e32 v58, 16, v40
.LBB944_591:                            ;   in Loop: Header=BB944_215 Depth=1
	s_or_b64 exec, exec, s[16:17]
.LBB944_592:                            ;   in Loop: Header=BB944_215 Depth=1
	s_or_b64 exec, exec, s[14:15]
.LBB944_593:                            ;   in Loop: Header=BB944_215 Depth=1
	s_or_b64 exec, exec, s[12:13]
	v_cmp_lt_u32_e32 vcc, s22, v38
	v_mov_b32_e32 v59, 0
	s_and_saveexec_b64 s[12:13], vcc
	s_cbranch_execz .LBB944_214
; %bb.594:                              ;   in Loop: Header=BB944_215 Depth=1
	v_lshrrev_b32_e32 v40, 24, v38
	v_cmp_ne_u32_e32 vcc, s9, v40
	v_mov_b32_e32 v59, 0xffff8000
	s_and_saveexec_b64 s[14:15], vcc
	s_cbranch_execz .LBB944_213
; %bb.595:                              ;   in Loop: Header=BB944_215 Depth=1
	v_bfe_u32 v38, v38, 24, 7
	v_cmp_ne_u32_e32 vcc, s21, v38
	v_mov_b32_e32 v59, 0x7f80
	s_and_saveexec_b64 s[16:17], vcc
	s_cbranch_execz .LBB944_212
; %bb.596:                              ;   in Loop: Header=BB944_215 Depth=1
	v_and_b32_e32 v59, 7, v40
	v_ffbh_u32_e32 v60, v59
	v_min_u32_e32 v63, 32, v60
	v_subrev_u32_e32 v60, 28, v63
	v_lshlrev_b64 v[60:61], v60, v[40:41]
	v_lshrrev_b32_e32 v62, 3, v38
	v_sub_u32_e32 v61, 29, v63
	v_and_b32_e32 v60, 7, v60
	v_cmp_gt_u32_e32 vcc, 8, v38
	v_cndmask_b32_e32 v38, v62, v61, vcc
	v_cndmask_b32_e32 v59, v59, v60, vcc
	v_lshlrev_b32_e32 v40, 24, v40
	v_lshlrev_b32_e32 v59, 20, v59
	v_and_b32_e32 v40, 0x80000000, v40
	v_lshl_add_u32 v38, v38, 23, v56
	v_or3_b32 v38, v40, v38, v59
	v_lshrrev_b32_e32 v59, 16, v38
	s_branch .LBB944_212
.LBB944_597:
	s_barrier
	buffer_load_dword v2, off, s[0:3], 0 offset:320
	buffer_load_dword v5, off, s[0:3], 0 offset:332
	;; [unrolled: 1-line block ×4, first 2 shown]
	v_cmp_gt_u32_e32 vcc, 64, v0
	v_cmp_ne_u32_e64 s[4:5], 3, v41
	s_and_b64 s[4:5], vcc, s[4:5]
	s_waitcnt vmcnt(0)
	ds_write2st64_b64 v53, v[2:3], v[4:5] offset1:1
	s_waitcnt lgkmcnt(0)
	s_barrier
	s_and_saveexec_b64 s[6:7], s[4:5]
	s_cbranch_execz .LBB944_599
; %bb.598:
	s_mul_i32 s4, s18, s8
	s_lshl_b32 s6, s48, 7
	s_mul_hi_u32 s5, s4, s6
	s_mul_i32 s4, s4, s6
	s_lshl_b64 s[4:5], s[4:5], 1
	s_add_u32 s7, s50, s4
	v_lshlrev_b32_e32 v4, 6, v43
	s_addc_u32 s8, s51, s5
	s_lshl_b32 s4, s26, 7
	s_mov_b32 s5, 0
	v_lshl_or_b32 v0, v0, 10, v4
	s_lshl_b64 s[4:5], s[4:5], 1
	v_lshlrev_b32_e32 v2, 5, v41
	v_and_b32_e32 v3, 16, v45
	v_and_b32_e32 v0, 0x1a00, v0
	s_add_u32 s7, s7, s4
	v_or3_b32 v0, v0, v2, v3
	s_addc_u32 s8, s8, s5
	v_mad_u64_u32 v[6:7], s[4:5], s6, v39, 0
	ds_read_b128 v[2:5], v0
	v_lshlrev_b64 v[6:7], 1, v[6:7]
	v_mov_b32_e32 v0, s8
	v_add_co_u32_e32 v6, vcc, s7, v6
	v_addc_co_u32_e32 v7, vcc, v0, v7, vcc
	v_add_co_u32_e32 v0, vcc, v6, v1
	v_addc_co_u32_e32 v1, vcc, 0, v7, vcc
	s_waitcnt lgkmcnt(0)
	global_store_dwordx4 v[0:1], v[2:5], off
.LBB944_599:
	s_endpgm
	.section	.rodata,"a",@progbits
	.p2align	6, 0x0
	.amdhsa_kernel _Z39paged_attention_ll4mi_QKV_mfma16_kernelI14__hip_bfloat16hLN4vllm18Fp8KVCacheDataTypeE1ES0_Li32ELi128ELi256ELb1ELi3EL8MFMAType0EEvPKT_PKT0_S9_ifPKiSB_SB_iPKfiiiPfSE_PS4_PT2_iSD_SD_
		.amdhsa_group_segment_fixed_size 8192
		.amdhsa_private_segment_fixed_size 352
		.amdhsa_kernarg_size 400
		.amdhsa_user_sgpr_count 8
		.amdhsa_user_sgpr_private_segment_buffer 1
		.amdhsa_user_sgpr_dispatch_ptr 0
		.amdhsa_user_sgpr_queue_ptr 0
		.amdhsa_user_sgpr_kernarg_segment_ptr 1
		.amdhsa_user_sgpr_dispatch_id 0
		.amdhsa_user_sgpr_flat_scratch_init 1
		.amdhsa_user_sgpr_kernarg_preload_length 0
		.amdhsa_user_sgpr_kernarg_preload_offset 0
		.amdhsa_user_sgpr_private_segment_size 0
		.amdhsa_uses_dynamic_stack 0
		.amdhsa_system_sgpr_private_segment_wavefront_offset 1
		.amdhsa_system_sgpr_workgroup_id_x 1
		.amdhsa_system_sgpr_workgroup_id_y 1
		.amdhsa_system_sgpr_workgroup_id_z 1
		.amdhsa_system_sgpr_workgroup_info 0
		.amdhsa_system_vgpr_workitem_id 0
		.amdhsa_next_free_vgpr 82
		.amdhsa_next_free_sgpr 53
		.amdhsa_accum_offset 84
		.amdhsa_reserve_vcc 1
		.amdhsa_reserve_flat_scratch 0
		.amdhsa_float_round_mode_32 0
		.amdhsa_float_round_mode_16_64 0
		.amdhsa_float_denorm_mode_32 3
		.amdhsa_float_denorm_mode_16_64 3
		.amdhsa_dx10_clamp 1
		.amdhsa_ieee_mode 1
		.amdhsa_fp16_overflow 0
		.amdhsa_tg_split 0
		.amdhsa_exception_fp_ieee_invalid_op 0
		.amdhsa_exception_fp_denorm_src 0
		.amdhsa_exception_fp_ieee_div_zero 0
		.amdhsa_exception_fp_ieee_overflow 0
		.amdhsa_exception_fp_ieee_underflow 0
		.amdhsa_exception_fp_ieee_inexact 0
		.amdhsa_exception_int_div_zero 0
	.end_amdhsa_kernel
	.section	.text._Z39paged_attention_ll4mi_QKV_mfma16_kernelI14__hip_bfloat16hLN4vllm18Fp8KVCacheDataTypeE1ES0_Li32ELi128ELi256ELb1ELi3EL8MFMAType0EEvPKT_PKT0_S9_ifPKiSB_SB_iPKfiiiPfSE_PS4_PT2_iSD_SD_,"axG",@progbits,_Z39paged_attention_ll4mi_QKV_mfma16_kernelI14__hip_bfloat16hLN4vllm18Fp8KVCacheDataTypeE1ES0_Li32ELi128ELi256ELb1ELi3EL8MFMAType0EEvPKT_PKT0_S9_ifPKiSB_SB_iPKfiiiPfSE_PS4_PT2_iSD_SD_,comdat
.Lfunc_end944:
	.size	_Z39paged_attention_ll4mi_QKV_mfma16_kernelI14__hip_bfloat16hLN4vllm18Fp8KVCacheDataTypeE1ES0_Li32ELi128ELi256ELb1ELi3EL8MFMAType0EEvPKT_PKT0_S9_ifPKiSB_SB_iPKfiiiPfSE_PS4_PT2_iSD_SD_, .Lfunc_end944-_Z39paged_attention_ll4mi_QKV_mfma16_kernelI14__hip_bfloat16hLN4vllm18Fp8KVCacheDataTypeE1ES0_Li32ELi128ELi256ELb1ELi3EL8MFMAType0EEvPKT_PKT0_S9_ifPKiSB_SB_iPKfiiiPfSE_PS4_PT2_iSD_SD_
                                        ; -- End function
	.section	.AMDGPU.csdata,"",@progbits
; Kernel info:
; codeLenInByte = 22484
; NumSgprs: 57
; NumVgprs: 82
; NumAgprs: 0
; TotalNumVgprs: 82
; ScratchSize: 352
; MemoryBound: 0
; FloatMode: 240
; IeeeMode: 1
; LDSByteSize: 8192 bytes/workgroup (compile time only)
; SGPRBlocks: 7
; VGPRBlocks: 10
; NumSGPRsForWavesPerEU: 57
; NumVGPRsForWavesPerEU: 82
; AccumOffset: 84
; Occupancy: 5
; WaveLimiterHint : 1
; COMPUTE_PGM_RSRC2:SCRATCH_EN: 1
; COMPUTE_PGM_RSRC2:USER_SGPR: 8
; COMPUTE_PGM_RSRC2:TRAP_HANDLER: 0
; COMPUTE_PGM_RSRC2:TGID_X_EN: 1
; COMPUTE_PGM_RSRC2:TGID_Y_EN: 1
; COMPUTE_PGM_RSRC2:TGID_Z_EN: 1
; COMPUTE_PGM_RSRC2:TIDIG_COMP_CNT: 0
; COMPUTE_PGM_RSRC3_GFX90A:ACCUM_OFFSET: 20
; COMPUTE_PGM_RSRC3_GFX90A:TG_SPLIT: 0
	.section	.text._Z39paged_attention_ll4mi_QKV_mfma16_kernelI14__hip_bfloat16hLN4vllm18Fp8KVCacheDataTypeE1ES0_Li32ELi128ELi256ELb1ELi4EL8MFMAType0EEvPKT_PKT0_S9_ifPKiSB_SB_iPKfiiiPfSE_PS4_PT2_iSD_SD_,"axG",@progbits,_Z39paged_attention_ll4mi_QKV_mfma16_kernelI14__hip_bfloat16hLN4vllm18Fp8KVCacheDataTypeE1ES0_Li32ELi128ELi256ELb1ELi4EL8MFMAType0EEvPKT_PKT0_S9_ifPKiSB_SB_iPKfiiiPfSE_PS4_PT2_iSD_SD_,comdat
	.protected	_Z39paged_attention_ll4mi_QKV_mfma16_kernelI14__hip_bfloat16hLN4vllm18Fp8KVCacheDataTypeE1ES0_Li32ELi128ELi256ELb1ELi4EL8MFMAType0EEvPKT_PKT0_S9_ifPKiSB_SB_iPKfiiiPfSE_PS4_PT2_iSD_SD_ ; -- Begin function _Z39paged_attention_ll4mi_QKV_mfma16_kernelI14__hip_bfloat16hLN4vllm18Fp8KVCacheDataTypeE1ES0_Li32ELi128ELi256ELb1ELi4EL8MFMAType0EEvPKT_PKT0_S9_ifPKiSB_SB_iPKfiiiPfSE_PS4_PT2_iSD_SD_
	.globl	_Z39paged_attention_ll4mi_QKV_mfma16_kernelI14__hip_bfloat16hLN4vllm18Fp8KVCacheDataTypeE1ES0_Li32ELi128ELi256ELb1ELi4EL8MFMAType0EEvPKT_PKT0_S9_ifPKiSB_SB_iPKfiiiPfSE_PS4_PT2_iSD_SD_
	.p2align	8
	.type	_Z39paged_attention_ll4mi_QKV_mfma16_kernelI14__hip_bfloat16hLN4vllm18Fp8KVCacheDataTypeE1ES0_Li32ELi128ELi256ELb1ELi4EL8MFMAType0EEvPKT_PKT0_S9_ifPKiSB_SB_iPKfiiiPfSE_PS4_PT2_iSD_SD_,@function
_Z39paged_attention_ll4mi_QKV_mfma16_kernelI14__hip_bfloat16hLN4vllm18Fp8KVCacheDataTypeE1ES0_Li32ELi128ELi256ELb1ELi4EL8MFMAType0EEvPKT_PKT0_S9_ifPKiSB_SB_iPKfiiiPfSE_PS4_PT2_iSD_SD_: ; @_Z39paged_attention_ll4mi_QKV_mfma16_kernelI14__hip_bfloat16hLN4vllm18Fp8KVCacheDataTypeE1ES0_Li32ELi128ELi256ELb1ELi4EL8MFMAType0EEvPKT_PKT0_S9_ifPKiSB_SB_iPKfiiiPfSE_PS4_PT2_iSD_SD_
; %bb.0:
	s_load_dwordx2 s[6:7], s[4:5], 0x30
	s_add_u32 s0, s0, s11
	s_addc_u32 s1, s1, 0
	s_mov_b32 s28, s9
	s_mov_b64 s[14:15], 0
	s_waitcnt lgkmcnt(0)
	s_cmp_lg_u64 s[6:7], 0
	s_cselect_b64 s[12:13], -1, 0
	s_and_b64 vcc, exec, s[12:13]
	s_cbranch_vccz .LBB945_7
; %bb.1:
	s_add_i32 s16, s8, 1
	s_mov_b32 s17, 0
	s_lshl_b64 s[18:19], s[16:17], 2
	s_add_u32 s18, s6, s18
	s_mov_b32 s9, s17
	s_addc_u32 s19, s7, s19
	s_lshl_b64 s[16:17], s[8:9], 2
	s_add_u32 s16, s6, s16
	s_addc_u32 s17, s7, s17
	s_load_dword s11, s[18:19], 0x0
	s_load_dword s20, s[16:17], 0x0
	s_waitcnt lgkmcnt(0)
	s_sub_i32 s11, s11, s20
	s_cmp_eq_u32 s11, 1
	s_cselect_b64 s[16:17], -1, 0
	s_andn2_b64 vcc, exec, s[14:15]
	s_cbranch_vccnz .LBB945_3
.LBB945_2:
	s_mov_b32 s9, 0
	s_mov_b64 s[16:17], -1
.LBB945_3:
	s_andn2_b64 vcc, exec, s[16:17]
	s_cbranch_vccnz .LBB945_599
; %bb.4:
	s_load_dwordx2 s[16:17], s[4:5], 0x28
	s_lshl_b64 s[14:15], s[8:9], 2
	s_waitcnt lgkmcnt(0)
	s_add_u32 s16, s16, s14
	s_addc_u32 s17, s17, s15
	s_load_dword s33, s[16:17], 0x0
	s_lshl_b32 s22, s28, 8
	s_waitcnt lgkmcnt(0)
	s_cmp_ge_i32 s22, s33
	s_cbranch_scc1 .LBB945_599
; %bb.5:
	s_add_i32 s18, s33, 31
	s_load_dwordx2 s[16:17], s[4:5], 0x20
	s_load_dword s11, s[4:5], 0x38
	s_ashr_i32 s19, s18, 31
	v_and_b32_e32 v1, 0xcf, v0
	s_lshr_b32 s19, s19, 27
	v_add_u32_e32 v1, s22, v1
	s_add_i32 s18, s18, s19
	v_ashrrev_i32_e32 v2, 31, v1
	s_ashr_i32 s25, s18, 5
	v_lshrrev_b32_e32 v4, 27, v2
	s_add_i32 s25, s25, -1
	v_add_u32_e32 v2, v1, v4
	s_waitcnt lgkmcnt(0)
	s_mul_i32 s18, s8, s11
	s_mov_b32 s19, 0
	v_ashrrev_i32_e32 v2, 5, v2
	v_mov_b32_e32 v5, s25
	v_cmp_gt_i32_e32 vcc, s33, v1
	s_lshl_b64 s[18:19], s[18:19], 2
	v_cndmask_b32_e32 v2, v5, v2, vcc
	s_add_u32 s23, s16, s18
	v_ashrrev_i32_e32 v3, 31, v2
	s_addc_u32 s24, s17, s19
	v_lshlrev_b64 v[2:3], 2, v[2:3]
	v_mov_b32_e32 v7, s24
	v_add_co_u32_e32 v6, vcc, s23, v2
	v_or_b32_e32 v2, 16, v1
	v_addc_co_u32_e32 v7, vcc, v7, v3, vcc
	v_add_u32_e32 v3, v2, v4
	v_ashrrev_i32_e32 v3, 5, v3
	v_cmp_gt_i32_e32 vcc, s33, v2
	v_cndmask_b32_e32 v2, v5, v3, vcc
	v_ashrrev_i32_e32 v3, 31, v2
	v_lshlrev_b64 v[2:3], 2, v[2:3]
	v_mov_b32_e32 v9, s24
	v_add_co_u32_e32 v8, vcc, s23, v2
	v_or_b32_e32 v2, 32, v1
	v_addc_co_u32_e32 v9, vcc, v9, v3, vcc
	v_add_u32_e32 v3, v2, v4
	v_ashrrev_i32_e32 v3, 5, v3
	v_cmp_gt_i32_e32 vcc, s33, v2
	v_cndmask_b32_e32 v2, v5, v3, vcc
	v_ashrrev_i32_e32 v3, 31, v2
	v_lshlrev_b64 v[2:3], 2, v[2:3]
	v_mov_b32_e32 v11, s24
	v_add_co_u32_e32 v10, vcc, s23, v2
	v_or_b32_e32 v1, 48, v1
	v_addc_co_u32_e32 v11, vcc, v11, v3, vcc
	v_add_u32_e32 v2, v1, v4
	v_ashrrev_i32_e32 v2, 5, v2
	v_cmp_gt_i32_e32 vcc, s33, v1
	v_cndmask_b32_e32 v2, v5, v2, vcc
	v_ashrrev_i32_e32 v3, 31, v2
	v_lshlrev_b64 v[2:3], 2, v[2:3]
	v_mov_b32_e32 v1, s24
	v_add_co_u32_e32 v12, vcc, s23, v2
	v_addc_co_u32_e32 v13, vcc, v1, v3, vcc
	global_load_dword v5, v[6:7], off
	global_load_dword v4, v[8:9], off
	;; [unrolled: 1-line block ×4, first 2 shown]
	s_load_dwordx2 s[18:19], s[4:5], 0x8
	s_andn2_b64 vcc, exec, s[12:13]
	s_cbranch_vccnz .LBB945_8
; %bb.6:
	s_add_u32 s6, s6, s14
	s_addc_u32 s7, s7, s15
	s_load_dword s11, s[6:7], 0x0
	s_branch .LBB945_9
.LBB945_7:
	s_mov_b64 s[16:17], 0
	s_branch .LBB945_2
.LBB945_8:
	s_mov_b32 s11, s8
.LBB945_9:
	s_load_dwordx2 s[16:17], s[4:5], 0x10
	s_load_dwordx4 s[12:15], s[4:5], 0x48
	v_and_b32_e32 v41, 15, v0
	v_bfe_u32 v27, v0, 4, 2
	s_lshl_b32 s29, s10, 2
	v_lshlrev_b32_e32 v1, 3, v41
	v_lshrrev_b32_e32 v29, 6, v0
	v_or_b32_e32 v39, s29, v27
	v_cmp_gt_u32_e64 s[6:7], 64, v0
	v_lshlrev_b32_e32 v1, 1, v1
	v_lshlrev_b32_e32 v43, 5, v27
	;; [unrolled: 1-line block ×3, first 2 shown]
	s_and_saveexec_b64 s[20:21], s[6:7]
	s_cbranch_execz .LBB945_11
; %bb.10:
	s_load_dwordx2 s[26:27], s[4:5], 0x0
	s_waitcnt lgkmcnt(0)
	s_ashr_i32 s15, s12, 31
	s_mul_hi_u32 s30, s11, s12
	s_mul_i32 s15, s11, s15
	s_add_i32 s31, s30, s15
	s_mul_i32 s30, s11, s12
	s_lshl_b64 s[30:31], s[30:31], 1
	v_lshlrev_b32_e32 v6, 7, v39
	s_add_u32 s11, s26, s30
	v_ashrrev_i32_e32 v7, 31, v6
	s_addc_u32 s12, s27, s31
	v_lshlrev_b64 v[6:7], 1, v[6:7]
	v_mov_b32_e32 v8, s12
	v_add_co_u32_e32 v6, vcc, s11, v6
	v_addc_co_u32_e32 v7, vcc, v8, v7, vcc
	v_add_co_u32_e32 v6, vcc, v6, v1
	v_addc_co_u32_e32 v7, vcc, 0, v7, vcc
	global_load_dwordx4 v[6:9], v[6:7], off
	v_lshlrev_b32_e32 v11, 8, v0
	v_lshlrev_b32_e32 v10, 8, v41
	v_and_b32_e32 v11, 0x600, v11
	s_movk_i32 s11, 0x800
	v_and_or_b32 v10, v10, s11, v11
	v_lshl_or_b32 v11, v29, 7, v43
	v_and_b32_e32 v12, 16, v45
	v_or3_b32 v10, v10, v11, v12
	s_waitcnt vmcnt(0)
	ds_write_b128 v10, v[6:9]
.LBB945_11:
	s_or_b64 exec, exec, s[20:21]
	s_waitcnt lgkmcnt(0)
	s_mul_i32 s12, s10, s14
	s_add_u32 s10, s18, s12
	s_addc_u32 s11, s19, 0
	v_pk_mov_b32 v[6:7], s[10:11], s[10:11] op_sel:[0,1]
	s_waitcnt vmcnt(3)
	v_mad_i64_i32 v[8:9], s[10:11], v5, s13, v[6:7]
	v_lshlrev_b32_e32 v11, 4, v41
	v_and_b32_e32 v18, 48, v0
	v_add_co_u32_e32 v5, vcc, v8, v11
	v_lshlrev_b32_e32 v10, 5, v18
	v_addc_co_u32_e32 v9, vcc, 0, v9, vcc
	v_add_co_u32_e32 v8, vcc, v5, v10
	v_addc_co_u32_e32 v9, vcc, 0, v9, vcc
	s_load_dwordx2 s[52:53], s[4:5], 0x94
	s_waitcnt lgkmcnt(0)
	s_barrier
	global_load_dwordx4 v[20:23], v[8:9], off
	global_load_dwordx4 v[30:33], v[8:9], off offset:2048
	s_waitcnt vmcnt(4)
	v_mad_i64_i32 v[4:5], s[10:11], v4, s13, v[6:7]
	v_or_b32_e32 v8, 0x100, v11
	v_add_co_u32_e32 v4, vcc, v4, v8
	v_addc_co_u32_e32 v5, vcc, 0, v5, vcc
	v_add_co_u32_e32 v4, vcc, v4, v10
	v_addc_co_u32_e32 v5, vcc, 0, v5, vcc
	global_load_dwordx4 v[34:37], v[4:5], off
	global_load_dwordx4 v[46:49], v[4:5], off offset:2048
	s_waitcnt vmcnt(5)
	v_mad_i64_i32 v[4:5], s[10:11], v3, s13, v[6:7]
	v_add_co_u32_e32 v3, vcc, v4, v11
	v_addc_co_u32_e32 v5, vcc, 0, v5, vcc
	v_add_co_u32_e32 v4, vcc, v3, v10
	v_addc_co_u32_e32 v5, vcc, 0, v5, vcc
	s_waitcnt vmcnt(4)
	v_mad_i64_i32 v[2:3], s[10:11], v2, s13, v[6:7]
	v_add_co_u32_e32 v2, vcc, v2, v8
	v_addc_co_u32_e32 v3, vcc, 0, v3, vcc
	v_add_co_u32_e32 v2, vcc, v2, v10
	v_addc_co_u32_e32 v3, vcc, 0, v3, vcc
	global_load_dwordx4 v[50:53], v[4:5], off
	global_load_dwordx4 v[54:57], v[4:5], off offset:2048
	global_load_dwordx4 v[58:61], v[2:3], off
	global_load_dwordx4 v[62:65], v[2:3], off offset:2048
	v_and_b32_e32 v2, 3, v0
	v_lshlrev_b32_e32 v2, 5, v2
	v_lshl_or_b32 v14, v27, 9, v2
	s_load_dwordx2 s[54:55], s[4:5], 0x68
	s_load_dwordx4 s[44:47], s[4:5], 0x58
	ds_read_b128 v[2:5], v14
	ds_read_b128 v[6:9], v14 offset:16
	ds_read_b128 v[10:13], v14 offset:2048
	;; [unrolled: 1-line block ×3, first 2 shown]
	s_mov_b32 s14, 0
	v_cmp_gt_u32_e32 vcc, 4, v41
	s_waitcnt vmcnt(7)
	buffer_store_dword v23, off, s[0:3], 0 offset:12
	buffer_store_dword v22, off, s[0:3], 0 offset:8
	;; [unrolled: 1-line block ×3, first 2 shown]
	buffer_store_dword v20, off, s[0:3], 0
	s_waitcnt vmcnt(10)
	buffer_store_dword v33, off, s[0:3], 0 offset:28
	buffer_store_dword v32, off, s[0:3], 0 offset:24
	buffer_store_dword v31, off, s[0:3], 0 offset:20
	buffer_store_dword v30, off, s[0:3], 0 offset:16
	s_waitcnt vmcnt(13)
	buffer_store_dword v37, off, s[0:3], 0 offset:44
	buffer_store_dword v36, off, s[0:3], 0 offset:40
	buffer_store_dword v35, off, s[0:3], 0 offset:36
	buffer_store_dword v34, off, s[0:3], 0 offset:32
	;; [unrolled: 5-line block ×7, first 2 shown]
	v_mov_b32_e32 v36, 0
	v_mov_b32_e32 v33, 0
	s_and_saveexec_b64 s[10:11], vcc
	s_cbranch_execz .LBB945_13
; %bb.12:
	s_load_dwordx2 s[18:19], s[4:5], 0x40
	v_or_b32_e32 v20, s29, v41
	v_ashrrev_i32_e32 v21, 31, v20
	v_lshlrev_b64 v[20:21], 2, v[20:21]
	s_waitcnt lgkmcnt(0)
	v_mov_b32_e32 v19, s19
	v_add_co_u32_e32 v20, vcc, s18, v20
	v_addc_co_u32_e32 v21, vcc, v19, v21, vcc
	global_load_dword v33, v[20:21], off
.LBB945_13:
	s_or_b64 exec, exec, s[10:11]
	s_ashr_i32 s10, s22, 31
	v_or_b32_e32 v24, s22, v18
	s_lshr_b32 s10, s10, 27
	v_add_u32_e32 v18, s10, v24
	v_ashrrev_i32_e32 v18, 5, v18
	v_mov_b32_e32 v25, s25
	v_cmp_gt_i32_e32 vcc, s33, v24
	v_cndmask_b32_e32 v18, v25, v18, vcc
	v_ashrrev_i32_e32 v19, 31, v18
	v_lshlrev_b64 v[18:19], 2, v[18:19]
	v_mov_b32_e32 v20, s24
	v_add_co_u32_e32 v18, vcc, s23, v18
	v_addc_co_u32_e32 v19, vcc, v20, v19, vcc
	v_or_b32_e32 v20, 64, v24
	v_add_u32_e32 v21, s10, v20
	v_ashrrev_i32_e32 v21, 5, v21
	v_cmp_gt_i32_e32 vcc, s33, v20
	v_cndmask_b32_e32 v20, v25, v21, vcc
	v_ashrrev_i32_e32 v21, 31, v20
	v_lshlrev_b64 v[20:21], 2, v[20:21]
	v_mov_b32_e32 v22, s24
	v_add_co_u32_e32 v20, vcc, s23, v20
	v_addc_co_u32_e32 v21, vcc, v22, v21, vcc
	v_or_b32_e32 v22, 0x80, v24
	v_add_u32_e32 v23, s10, v22
	v_ashrrev_i32_e32 v23, 5, v23
	v_cmp_gt_i32_e32 vcc, s33, v22
	v_cndmask_b32_e32 v22, v25, v23, vcc
	v_ashrrev_i32_e32 v23, 31, v22
	v_lshlrev_b64 v[22:23], 2, v[22:23]
	v_mov_b32_e32 v26, s24
	v_add_co_u32_e32 v22, vcc, s23, v22
	v_addc_co_u32_e32 v23, vcc, v26, v23, vcc
	global_load_dword v26, v[18:19], off
	global_load_dword v28, v[20:21], off
	;; [unrolled: 1-line block ×3, first 2 shown]
	v_or_b32_e32 v18, 0xc0, v24
	v_add_u32_e32 v19, s10, v18
	v_ashrrev_i32_e32 v19, 5, v19
	v_cmp_gt_i32_e32 vcc, s33, v18
	v_cndmask_b32_e32 v18, v25, v19, vcc
	v_ashrrev_i32_e32 v19, 31, v18
	v_lshlrev_b64 v[18:19], 2, v[18:19]
	v_mov_b32_e32 v20, s24
	v_add_co_u32_e32 v18, vcc, s23, v18
	v_addc_co_u32_e32 v19, vcc, v20, v19, vcc
	global_load_dword v32, v[18:19], off
	s_add_u32 s10, s16, s12
	v_and_b32_e32 v18, 16, v0
	s_addc_u32 s11, s17, 0
	v_lshl_or_b32 v31, v29, 4, v41
	v_mov_b32_e32 v20, s11
	v_add_co_u32_e32 v35, vcc, s10, v18
	v_lshlrev_b32_e32 v19, 5, v31
	v_addc_co_u32_e32 v37, vcc, 0, v20, vcc
	v_add_co_u32_e32 v22, vcc, v35, v19
	v_addc_co_u32_e32 v23, vcc, 0, v37, vcc
	v_or_b32_e32 v34, 0x800, v19
	s_movk_i32 s15, 0x80
	s_movk_i32 s16, 0x7f
	s_mov_b32 s17, 0xffffff
	s_mov_b32 s18, 0x5040100
	v_mov_b32_e32 v38, 0x100
	v_bfrev_b32_e32 v40, 60
	s_waitcnt vmcnt(3)
	v_mad_i64_i32 v[18:19], s[10:11], v26, s13, v[22:23]
	s_waitcnt vmcnt(2)
	v_mad_i64_i32 v[24:25], s[10:11], v28, s13, v[22:23]
	global_load_dwordx4 v[18:21], v[18:19], off
	s_nop 0
	global_load_dwordx4 v[54:57], v[24:25], off
	s_waitcnt vmcnt(3)
	v_mad_i64_i32 v[24:25], s[10:11], v30, s13, v[22:23]
	s_waitcnt vmcnt(2)
	v_mad_i64_i32 v[22:23], s[10:11], v32, s13, v[22:23]
	global_load_dwordx4 v[58:61], v[24:25], off
	global_load_dwordx4 v[62:65], v[22:23], off
	v_add_co_u32_e32 v22, vcc, v35, v34
	v_addc_co_u32_e32 v23, vcc, 0, v37, vcc
	v_mad_i64_i32 v[24:25], s[10:11], v26, s13, v[22:23]
	global_load_dwordx4 v[66:69], v[24:25], off
	v_mad_i64_i32 v[24:25], s[10:11], v28, s13, v[22:23]
	global_load_dwordx4 v[70:73], v[24:25], off
	;; [unrolled: 2-line block ×4, first 2 shown]
	s_load_dword s10, s[4:5], 0x1c
	s_load_dwordx4 s[48:51], s[4:5], 0x80
	v_mov_b32_e32 v22, 0x80
	v_add_u32_e32 v47, 16, v22
	v_add_u32_e32 v46, 32, v22
	;; [unrolled: 1-line block ×3, first 2 shown]
	s_waitcnt lgkmcnt(0)
	s_load_dword s4, s[48:49], 0x0
	v_add_u32_e32 v52, 64, v22
	v_add_u32_e32 v49, 0x50, v22
	;; [unrolled: 1-line block ×4, first 2 shown]
	v_mov_b32_e32 v22, s10
	s_waitcnt lgkmcnt(0)
	v_mul_f32_e32 v22, s4, v22
	v_and_b32_e32 v35, 63, v0
	v_mov_b32_e32 v37, 0
	v_mov_b32_e32 v24, v22
	;; [unrolled: 1-line block ×3, first 2 shown]
	s_waitcnt vmcnt(7)
	buffer_store_dword v21, off, s[0:3], 0 offset:140
	buffer_store_dword v20, off, s[0:3], 0 offset:136
	buffer_store_dword v19, off, s[0:3], 0 offset:132
	buffer_store_dword v18, off, s[0:3], 0 offset:128
	s_waitcnt vmcnt(10)
	buffer_store_dword v57, off, s[0:3], 0 offset:172
	buffer_store_dword v56, off, s[0:3], 0 offset:168
	buffer_store_dword v55, off, s[0:3], 0 offset:164
	buffer_store_dword v54, off, s[0:3], 0 offset:160
	;; [unrolled: 5-line block ×8, first 2 shown]
	s_branch .LBB945_17
.LBB945_14:                             ;   in Loop: Header=BB945_17 Depth=1
	s_or_b64 exec, exec, s[12:13]
.LBB945_15:                             ;   in Loop: Header=BB945_17 Depth=1
	s_or_b64 exec, exec, s[10:11]
.LBB945_16:                             ;   in Loop: Header=BB945_17 Depth=1
	s_or_b64 exec, exec, s[4:5]
	v_perm_b32 v57, v42, v34, s18
	v_perm_b32 v56, v23, v32, s18
	;; [unrolled: 1-line block ×4, first 2 shown]
	v_add_u32_e32 v26, s14, v38
	v_mfma_f32_16x16x16bf16_1k v[18:21], v[56:57], v[14:15], v[18:21]
	s_add_i32 s14, s14, 16
	v_mov_b32_e32 v23, v22
	s_cmp_eq_u32 s14, 64
	v_add_u32_e32 v37, 32, v37
	v_mfma_f32_16x16x16bf16_1k v[18:21], v[54:55], v[16:17], v[18:21]
	s_nop 7
	s_nop 2
	v_pk_mul_f32 v[18:19], v[24:25], v[18:19]
	v_pk_mul_f32 v[20:21], v[22:23], v[20:21]
	buffer_store_dword v19, v26, s[0:3], 0 offen offset:4
	buffer_store_dword v18, v26, s[0:3], 0 offen
	buffer_store_dword v21, v26, s[0:3], 0 offen offset:12
	buffer_store_dword v20, v26, s[0:3], 0 offen offset:8
	s_cbranch_scc1 .LBB945_207
.LBB945_17:                             ; =>This Inner Loop Header: Depth=1
	buffer_load_dword v20, v37, s[0:3], 0 offen
	buffer_load_dword v18, v37, s[0:3], 0 offen offset:4
	buffer_load_dword v28, v37, s[0:3], 0 offen offset:8
	;; [unrolled: 1-line block ×3, first 2 shown]
	v_mov_b32_e32 v19, 0
	v_mov_b32_e32 v21, 0
	s_waitcnt vmcnt(3)
	v_cmp_ne_u16_sdwa s[10:11], v20, v36 src0_sel:BYTE_0 src1_sel:DWORD
	s_and_saveexec_b64 s[4:5], s[10:11]
	s_cbranch_execz .LBB945_23
; %bb.18:                               ;   in Loop: Header=BB945_17 Depth=1
	v_cmp_ne_u16_sdwa s[12:13], v20, s15 src0_sel:BYTE_0 src1_sel:DWORD
	v_mov_b32_e32 v21, 0xffff8000
	s_and_saveexec_b64 s[10:11], s[12:13]
	s_cbranch_execz .LBB945_22
; %bb.19:                               ;   in Loop: Header=BB945_17 Depth=1
	v_and_b32_e32 v23, 0x7f, v20
	v_cmp_ne_u32_e32 vcc, s16, v23
	v_mov_b32_e32 v21, 0x7f80
	s_and_saveexec_b64 s[12:13], vcc
	s_cbranch_execz .LBB945_21
; %bb.20:                               ;   in Loop: Header=BB945_17 Depth=1
	v_and_b32_e32 v21, 7, v20
	v_ffbh_u32_e32 v32, v21
	v_min_u32_e32 v32, 32, v32
	v_subrev_u32_e32 v34, 28, v32
	v_lshlrev_b64 v[54:55], v34, v[20:21]
	v_lshrrev_b32_e32 v30, 3, v23
	v_sub_u32_e32 v32, 29, v32
	v_and_b32_e32 v34, 7, v54
	v_cmp_gt_u32_e32 vcc, 8, v23
	v_cndmask_b32_e32 v23, v30, v32, vcc
	v_cndmask_b32_e32 v21, v21, v34, vcc
	v_lshlrev_b32_e32 v30, 24, v20
	v_lshlrev_b32_e32 v21, 20, v21
	v_and_b32_e32 v30, 0x80000000, v30
	v_lshl_add_u32 v23, v23, 23, v40
	v_or3_b32 v21, v30, v23, v21
	v_lshrrev_b32_e32 v21, 16, v21
.LBB945_21:                             ;   in Loop: Header=BB945_17 Depth=1
	s_or_b64 exec, exec, s[12:13]
.LBB945_22:                             ;   in Loop: Header=BB945_17 Depth=1
	s_or_b64 exec, exec, s[10:11]
.LBB945_23:                             ;   in Loop: Header=BB945_17 Depth=1
	s_or_b64 exec, exec, s[4:5]
	v_lshrrev_b16_e32 v30, 8, v20
	v_cmp_ne_u16_e32 vcc, 0, v30
	s_and_saveexec_b64 s[4:5], vcc
	s_cbranch_execz .LBB945_29
; %bb.24:                               ;   in Loop: Header=BB945_17 Depth=1
	v_cmp_ne_u16_e32 vcc, s15, v30
	v_mov_b32_e32 v19, 0xffff8000
	s_and_saveexec_b64 s[10:11], vcc
	s_cbranch_execz .LBB945_28
; %bb.25:                               ;   in Loop: Header=BB945_17 Depth=1
	v_and_b32_e32 v23, 0x7f, v30
	v_cmp_ne_u32_e32 vcc, s16, v23
	v_mov_b32_e32 v19, 0x7f80
	s_and_saveexec_b64 s[12:13], vcc
	s_cbranch_execz .LBB945_27
; %bb.26:                               ;   in Loop: Header=BB945_17 Depth=1
	v_and_b32_e32 v19, 7, v30
	v_ffbh_u32_e32 v34, v19
	v_min_u32_e32 v34, 32, v34
	v_subrev_u32_e32 v42, 28, v34
	v_lshlrev_b64 v[54:55], v42, v[30:31]
	v_lshrrev_b32_e32 v32, 3, v23
	v_sub_u32_e32 v30, 29, v34
	v_and_b32_e32 v34, 7, v54
	v_cmp_gt_u32_e32 vcc, 8, v23
	v_cndmask_b32_e32 v23, v32, v30, vcc
	v_cndmask_b32_e32 v19, v19, v34, vcc
	v_lshlrev_b32_e32 v30, 16, v20
	v_lshlrev_b32_e32 v19, 20, v19
	v_and_b32_e32 v30, 0x80000000, v30
	v_lshl_add_u32 v23, v23, 23, v40
	v_or3_b32 v19, v30, v23, v19
	v_lshrrev_b32_e32 v19, 16, v19
.LBB945_27:                             ;   in Loop: Header=BB945_17 Depth=1
	s_or_b64 exec, exec, s[12:13]
.LBB945_28:                             ;   in Loop: Header=BB945_17 Depth=1
	s_or_b64 exec, exec, s[10:11]
.LBB945_29:                             ;   in Loop: Header=BB945_17 Depth=1
	s_or_b64 exec, exec, s[4:5]
	v_lshrrev_b32_e32 v30, 16, v20
	v_cmp_ne_u16_sdwa s[10:11], v30, v36 src0_sel:BYTE_0 src1_sel:DWORD
	v_mov_b32_e32 v32, 0
	v_mov_b32_e32 v23, 0
	s_and_saveexec_b64 s[4:5], s[10:11]
	s_cbranch_execz .LBB945_35
; %bb.30:                               ;   in Loop: Header=BB945_17 Depth=1
	v_cmp_ne_u16_sdwa s[12:13], v30, s15 src0_sel:BYTE_0 src1_sel:DWORD
	v_mov_b32_e32 v23, 0xffff8000
	s_and_saveexec_b64 s[10:11], s[12:13]
	s_cbranch_execz .LBB945_34
; %bb.31:                               ;   in Loop: Header=BB945_17 Depth=1
	v_bfe_u32 v34, v20, 16, 7
	v_cmp_ne_u32_e32 vcc, s16, v34
	v_mov_b32_e32 v23, 0x7f80
	s_and_saveexec_b64 s[12:13], vcc
	s_cbranch_execz .LBB945_33
; %bb.32:                               ;   in Loop: Header=BB945_17 Depth=1
	v_and_b32_e32 v23, 7, v30
	v_ffbh_u32_e32 v44, v23
	v_min_u32_e32 v44, 32, v44
	v_subrev_u32_e32 v53, 28, v44
	v_lshlrev_b64 v[54:55], v53, v[30:31]
	v_lshrrev_b32_e32 v42, 3, v34
	v_sub_u32_e32 v44, 29, v44
	v_and_b32_e32 v53, 7, v54
	v_cmp_gt_u32_e32 vcc, 8, v34
	v_cndmask_b32_e32 v34, v42, v44, vcc
	v_cndmask_b32_e32 v23, v23, v53, vcc
	v_lshlrev_b32_e32 v30, 24, v30
	v_lshlrev_b32_e32 v23, 20, v23
	v_and_b32_e32 v30, 0x80000000, v30
	v_lshl_add_u32 v34, v34, 23, v40
	v_or3_b32 v23, v30, v34, v23
	v_lshrrev_b32_e32 v23, 16, v23
.LBB945_33:                             ;   in Loop: Header=BB945_17 Depth=1
	s_or_b64 exec, exec, s[12:13]
.LBB945_34:                             ;   in Loop: Header=BB945_17 Depth=1
	s_or_b64 exec, exec, s[10:11]
.LBB945_35:                             ;   in Loop: Header=BB945_17 Depth=1
	s_or_b64 exec, exec, s[4:5]
	v_cmp_lt_u32_e32 vcc, s17, v20
	s_and_saveexec_b64 s[4:5], vcc
	s_cbranch_execz .LBB945_41
; %bb.36:                               ;   in Loop: Header=BB945_17 Depth=1
	v_lshrrev_b32_e32 v30, 24, v20
	v_cmp_ne_u32_e32 vcc, s15, v30
	v_mov_b32_e32 v32, 0xffff8000
	s_and_saveexec_b64 s[10:11], vcc
	s_cbranch_execz .LBB945_40
; %bb.37:                               ;   in Loop: Header=BB945_17 Depth=1
	v_bfe_u32 v20, v20, 24, 7
	v_cmp_ne_u32_e32 vcc, s16, v20
	v_mov_b32_e32 v32, 0x7f80
	s_and_saveexec_b64 s[12:13], vcc
	s_cbranch_execz .LBB945_39
; %bb.38:                               ;   in Loop: Header=BB945_17 Depth=1
	v_and_b32_e32 v32, 7, v30
	v_ffbh_u32_e32 v42, v32
	v_min_u32_e32 v42, 32, v42
	v_subrev_u32_e32 v44, 28, v42
	v_lshlrev_b64 v[54:55], v44, v[30:31]
	v_lshrrev_b32_e32 v34, 3, v20
	v_sub_u32_e32 v42, 29, v42
	v_and_b32_e32 v44, 7, v54
	v_cmp_gt_u32_e32 vcc, 8, v20
	v_cndmask_b32_e32 v20, v34, v42, vcc
	v_cndmask_b32_e32 v32, v32, v44, vcc
	v_lshlrev_b32_e32 v30, 24, v30
	v_lshlrev_b32_e32 v32, 20, v32
	v_and_b32_e32 v30, 0x80000000, v30
	v_lshl_add_u32 v20, v20, 23, v40
	v_or3_b32 v20, v30, v20, v32
	v_lshrrev_b32_e32 v32, 16, v20
.LBB945_39:                             ;   in Loop: Header=BB945_17 Depth=1
	s_or_b64 exec, exec, s[12:13]
.LBB945_40:                             ;   in Loop: Header=BB945_17 Depth=1
	s_or_b64 exec, exec, s[10:11]
.LBB945_41:                             ;   in Loop: Header=BB945_17 Depth=1
	s_or_b64 exec, exec, s[4:5]
	s_waitcnt vmcnt(2)
	v_cmp_ne_u16_sdwa s[10:11], v18, v36 src0_sel:BYTE_0 src1_sel:DWORD
	v_mov_b32_e32 v30, 0
	v_mov_b32_e32 v34, 0
	s_and_saveexec_b64 s[4:5], s[10:11]
	s_cbranch_execz .LBB945_47
; %bb.42:                               ;   in Loop: Header=BB945_17 Depth=1
	v_cmp_ne_u16_sdwa s[12:13], v18, s15 src0_sel:BYTE_0 src1_sel:DWORD
	v_mov_b32_e32 v34, 0xffff8000
	s_and_saveexec_b64 s[10:11], s[12:13]
	s_cbranch_execz .LBB945_46
; %bb.43:                               ;   in Loop: Header=BB945_17 Depth=1
	v_and_b32_e32 v20, 0x7f, v18
	v_cmp_ne_u32_e32 vcc, s16, v20
	v_mov_b32_e32 v34, 0x7f80
	s_and_saveexec_b64 s[12:13], vcc
	s_cbranch_execz .LBB945_45
; %bb.44:                               ;   in Loop: Header=BB945_17 Depth=1
	v_and_b32_e32 v34, 7, v18
	v_ffbh_u32_e32 v44, v34
	v_min_u32_e32 v44, 32, v44
	v_subrev_u32_e32 v53, 28, v44
	v_lshlrev_b64 v[54:55], v53, v[18:19]
	v_lshrrev_b32_e32 v42, 3, v20
	v_sub_u32_e32 v44, 29, v44
	v_and_b32_e32 v53, 7, v54
	v_cmp_gt_u32_e32 vcc, 8, v20
	v_cndmask_b32_e32 v20, v42, v44, vcc
	v_cndmask_b32_e32 v34, v34, v53, vcc
	v_lshlrev_b32_e32 v42, 24, v18
	v_lshlrev_b32_e32 v34, 20, v34
	v_and_b32_e32 v42, 0x80000000, v42
	v_lshl_add_u32 v20, v20, 23, v40
	v_or3_b32 v20, v42, v20, v34
	v_lshrrev_b32_e32 v34, 16, v20
.LBB945_45:                             ;   in Loop: Header=BB945_17 Depth=1
	s_or_b64 exec, exec, s[12:13]
.LBB945_46:                             ;   in Loop: Header=BB945_17 Depth=1
	s_or_b64 exec, exec, s[10:11]
.LBB945_47:                             ;   in Loop: Header=BB945_17 Depth=1
	s_or_b64 exec, exec, s[4:5]
	v_lshrrev_b16_e32 v20, 8, v18
	v_cmp_ne_u16_e32 vcc, 0, v20
	s_and_saveexec_b64 s[4:5], vcc
	s_cbranch_execz .LBB945_53
; %bb.48:                               ;   in Loop: Header=BB945_17 Depth=1
	v_cmp_ne_u16_e32 vcc, s15, v20
	v_mov_b32_e32 v30, 0xffff8000
	s_and_saveexec_b64 s[10:11], vcc
	s_cbranch_execz .LBB945_52
; %bb.49:                               ;   in Loop: Header=BB945_17 Depth=1
	v_and_b32_e32 v42, 0x7f, v20
	v_cmp_ne_u32_e32 vcc, s16, v42
	v_mov_b32_e32 v30, 0x7f80
	s_and_saveexec_b64 s[12:13], vcc
	s_cbranch_execz .LBB945_51
; %bb.50:                               ;   in Loop: Header=BB945_17 Depth=1
	v_and_b32_e32 v30, 7, v20
	v_ffbh_u32_e32 v53, v30
	v_min_u32_e32 v53, 32, v53
	v_subrev_u32_e32 v54, 28, v53
	v_lshlrev_b64 v[54:55], v54, v[20:21]
	v_lshrrev_b32_e32 v44, 3, v42
	v_sub_u32_e32 v20, 29, v53
	v_and_b32_e32 v53, 7, v54
	v_cmp_gt_u32_e32 vcc, 8, v42
	v_cndmask_b32_e32 v20, v44, v20, vcc
	v_cndmask_b32_e32 v30, v30, v53, vcc
	v_lshlrev_b32_e32 v42, 16, v18
	v_lshlrev_b32_e32 v30, 20, v30
	v_and_b32_e32 v42, 0x80000000, v42
	v_lshl_add_u32 v20, v20, 23, v40
	v_or3_b32 v20, v42, v20, v30
	v_lshrrev_b32_e32 v30, 16, v20
.LBB945_51:                             ;   in Loop: Header=BB945_17 Depth=1
	s_or_b64 exec, exec, s[12:13]
.LBB945_52:                             ;   in Loop: Header=BB945_17 Depth=1
	s_or_b64 exec, exec, s[10:11]
.LBB945_53:                             ;   in Loop: Header=BB945_17 Depth=1
	s_or_b64 exec, exec, s[4:5]
	v_lshrrev_b32_e32 v20, 16, v18
	v_cmp_ne_u16_sdwa s[10:11], v20, v36 src0_sel:BYTE_0 src1_sel:DWORD
	v_mov_b32_e32 v44, 0
	v_mov_b32_e32 v42, 0
	s_and_saveexec_b64 s[4:5], s[10:11]
	s_cbranch_execz .LBB945_59
; %bb.54:                               ;   in Loop: Header=BB945_17 Depth=1
	v_cmp_ne_u16_sdwa s[12:13], v20, s15 src0_sel:BYTE_0 src1_sel:DWORD
	v_mov_b32_e32 v42, 0xffff8000
	s_and_saveexec_b64 s[10:11], s[12:13]
	s_cbranch_execz .LBB945_58
; %bb.55:                               ;   in Loop: Header=BB945_17 Depth=1
	v_bfe_u32 v53, v18, 16, 7
	v_cmp_ne_u32_e32 vcc, s16, v53
	v_mov_b32_e32 v42, 0x7f80
	s_and_saveexec_b64 s[12:13], vcc
	s_cbranch_execz .LBB945_57
; %bb.56:                               ;   in Loop: Header=BB945_17 Depth=1
	v_and_b32_e32 v42, 7, v20
	v_ffbh_u32_e32 v54, v42
	v_min_u32_e32 v57, 32, v54
	v_subrev_u32_e32 v54, 28, v57
	v_lshlrev_b64 v[54:55], v54, v[20:21]
	v_lshrrev_b32_e32 v56, 3, v53
	v_sub_u32_e32 v55, 29, v57
	v_and_b32_e32 v54, 7, v54
	v_cmp_gt_u32_e32 vcc, 8, v53
	v_cndmask_b32_e32 v53, v56, v55, vcc
	v_cndmask_b32_e32 v42, v42, v54, vcc
	v_lshlrev_b32_e32 v20, 24, v20
	v_lshlrev_b32_e32 v42, 20, v42
	v_and_b32_e32 v20, 0x80000000, v20
	v_lshl_add_u32 v53, v53, 23, v40
	v_or3_b32 v20, v20, v53, v42
	v_lshrrev_b32_e32 v42, 16, v20
.LBB945_57:                             ;   in Loop: Header=BB945_17 Depth=1
	s_or_b64 exec, exec, s[12:13]
.LBB945_58:                             ;   in Loop: Header=BB945_17 Depth=1
	s_or_b64 exec, exec, s[10:11]
.LBB945_59:                             ;   in Loop: Header=BB945_17 Depth=1
	s_or_b64 exec, exec, s[4:5]
	v_cmp_lt_u32_e32 vcc, s17, v18
	s_and_saveexec_b64 s[4:5], vcc
	s_cbranch_execz .LBB945_65
; %bb.60:                               ;   in Loop: Header=BB945_17 Depth=1
	v_lshrrev_b32_e32 v20, 24, v18
	v_cmp_ne_u32_e32 vcc, s15, v20
	v_mov_b32_e32 v44, 0xffff8000
	s_and_saveexec_b64 s[10:11], vcc
	s_cbranch_execz .LBB945_64
; %bb.61:                               ;   in Loop: Header=BB945_17 Depth=1
	v_bfe_u32 v18, v18, 24, 7
	v_cmp_ne_u32_e32 vcc, s16, v18
	v_mov_b32_e32 v44, 0x7f80
	s_and_saveexec_b64 s[12:13], vcc
	s_cbranch_execz .LBB945_63
; %bb.62:                               ;   in Loop: Header=BB945_17 Depth=1
	v_and_b32_e32 v44, 7, v20
	v_ffbh_u32_e32 v54, v44
	v_min_u32_e32 v56, 32, v54
	v_subrev_u32_e32 v54, 28, v56
	v_lshlrev_b64 v[54:55], v54, v[20:21]
	v_lshrrev_b32_e32 v53, 3, v18
	v_sub_u32_e32 v55, 29, v56
	v_and_b32_e32 v54, 7, v54
	v_cmp_gt_u32_e32 vcc, 8, v18
	v_cndmask_b32_e32 v18, v53, v55, vcc
	v_cndmask_b32_e32 v44, v44, v54, vcc
	v_lshlrev_b32_e32 v20, 24, v20
	v_lshlrev_b32_e32 v44, 20, v44
	v_and_b32_e32 v20, 0x80000000, v20
	v_lshl_add_u32 v18, v18, 23, v40
	v_or3_b32 v18, v20, v18, v44
	v_lshrrev_b32_e32 v44, 16, v18
.LBB945_63:                             ;   in Loop: Header=BB945_17 Depth=1
	s_or_b64 exec, exec, s[12:13]
.LBB945_64:                             ;   in Loop: Header=BB945_17 Depth=1
	s_or_b64 exec, exec, s[10:11]
.LBB945_65:                             ;   in Loop: Header=BB945_17 Depth=1
	s_or_b64 exec, exec, s[4:5]
	v_perm_b32 v55, v32, v23, s18
	v_perm_b32 v54, v19, v21, s18
	s_waitcnt vmcnt(1)
	v_cmp_ne_u16_sdwa s[10:11], v28, v36 src0_sel:BYTE_0 src1_sel:DWORD
	v_mov_b32_e32 v23, 0
	v_mov_b32_e32 v32, 0
	v_mfma_f32_16x16x16bf16_1k v[18:21], v[54:55], v[2:3], 0
	v_perm_b32 v55, v44, v42, s18
	v_perm_b32 v54, v30, v34, s18
	s_nop 1
	v_mfma_f32_16x16x16bf16_1k v[18:21], v[54:55], v[4:5], v[18:21]
	s_and_saveexec_b64 s[4:5], s[10:11]
	s_cbranch_execz .LBB945_71
; %bb.66:                               ;   in Loop: Header=BB945_17 Depth=1
	v_cmp_ne_u16_sdwa s[12:13], v28, s15 src0_sel:BYTE_0 src1_sel:DWORD
	v_mov_b32_e32 v32, 0xffff8000
	s_and_saveexec_b64 s[10:11], s[12:13]
	s_cbranch_execz .LBB945_70
; %bb.67:                               ;   in Loop: Header=BB945_17 Depth=1
	v_and_b32_e32 v30, 0x7f, v28
	v_cmp_ne_u32_e32 vcc, s16, v30
	v_mov_b32_e32 v32, 0x7f80
	s_and_saveexec_b64 s[12:13], vcc
	s_cbranch_execz .LBB945_69
; %bb.68:                               ;   in Loop: Header=BB945_17 Depth=1
	v_and_b32_e32 v32, 7, v28
	v_ffbh_u32_e32 v42, v32
	v_min_u32_e32 v42, 32, v42
	v_subrev_u32_e32 v44, 28, v42
	v_lshlrev_b64 v[54:55], v44, v[28:29]
	v_lshrrev_b32_e32 v34, 3, v30
	v_sub_u32_e32 v42, 29, v42
	v_and_b32_e32 v44, 7, v54
	v_cmp_gt_u32_e32 vcc, 8, v30
	v_cndmask_b32_e32 v30, v34, v42, vcc
	v_cndmask_b32_e32 v32, v32, v44, vcc
	v_lshlrev_b32_e32 v34, 24, v28
	v_lshlrev_b32_e32 v32, 20, v32
	v_and_b32_e32 v34, 0x80000000, v34
	v_lshl_add_u32 v30, v30, 23, v40
	v_or3_b32 v30, v34, v30, v32
	v_lshrrev_b32_e32 v32, 16, v30
.LBB945_69:                             ;   in Loop: Header=BB945_17 Depth=1
	s_or_b64 exec, exec, s[12:13]
.LBB945_70:                             ;   in Loop: Header=BB945_17 Depth=1
	s_or_b64 exec, exec, s[10:11]
.LBB945_71:                             ;   in Loop: Header=BB945_17 Depth=1
	s_or_b64 exec, exec, s[4:5]
	v_lshrrev_b16_e32 v30, 8, v28
	v_cmp_ne_u16_e32 vcc, 0, v30
	s_and_saveexec_b64 s[4:5], vcc
	s_cbranch_execz .LBB945_77
; %bb.72:                               ;   in Loop: Header=BB945_17 Depth=1
	v_cmp_ne_u16_e32 vcc, s15, v30
	v_mov_b32_e32 v23, 0xffff8000
	s_and_saveexec_b64 s[10:11], vcc
	s_cbranch_execz .LBB945_76
; %bb.73:                               ;   in Loop: Header=BB945_17 Depth=1
	v_and_b32_e32 v34, 0x7f, v30
	v_cmp_ne_u32_e32 vcc, s16, v34
	v_mov_b32_e32 v23, 0x7f80
	s_and_saveexec_b64 s[12:13], vcc
	s_cbranch_execz .LBB945_75
; %bb.74:                               ;   in Loop: Header=BB945_17 Depth=1
	v_and_b32_e32 v23, 7, v30
	v_ffbh_u32_e32 v44, v23
	v_min_u32_e32 v44, 32, v44
	v_subrev_u32_e32 v53, 28, v44
	v_lshlrev_b64 v[54:55], v53, v[30:31]
	v_lshrrev_b32_e32 v42, 3, v34
	v_sub_u32_e32 v30, 29, v44
	v_and_b32_e32 v44, 7, v54
	v_cmp_gt_u32_e32 vcc, 8, v34
	v_cndmask_b32_e32 v30, v42, v30, vcc
	v_cndmask_b32_e32 v23, v23, v44, vcc
	v_lshlrev_b32_e32 v34, 16, v28
	v_lshlrev_b32_e32 v23, 20, v23
	v_and_b32_e32 v34, 0x80000000, v34
	v_lshl_add_u32 v30, v30, 23, v40
	v_or3_b32 v23, v34, v30, v23
	v_lshrrev_b32_e32 v23, 16, v23
.LBB945_75:                             ;   in Loop: Header=BB945_17 Depth=1
	s_or_b64 exec, exec, s[12:13]
.LBB945_76:                             ;   in Loop: Header=BB945_17 Depth=1
	s_or_b64 exec, exec, s[10:11]
.LBB945_77:                             ;   in Loop: Header=BB945_17 Depth=1
	s_or_b64 exec, exec, s[4:5]
	v_lshrrev_b32_e32 v30, 16, v28
	v_cmp_ne_u16_sdwa s[10:11], v30, v36 src0_sel:BYTE_0 src1_sel:DWORD
	v_mov_b32_e32 v42, 0
	v_mov_b32_e32 v34, 0
	s_and_saveexec_b64 s[4:5], s[10:11]
	s_cbranch_execz .LBB945_83
; %bb.78:                               ;   in Loop: Header=BB945_17 Depth=1
	v_cmp_ne_u16_sdwa s[12:13], v30, s15 src0_sel:BYTE_0 src1_sel:DWORD
	v_mov_b32_e32 v34, 0xffff8000
	s_and_saveexec_b64 s[10:11], s[12:13]
	s_cbranch_execz .LBB945_82
; %bb.79:                               ;   in Loop: Header=BB945_17 Depth=1
	v_bfe_u32 v44, v28, 16, 7
	v_cmp_ne_u32_e32 vcc, s16, v44
	v_mov_b32_e32 v34, 0x7f80
	s_and_saveexec_b64 s[12:13], vcc
	s_cbranch_execz .LBB945_81
; %bb.80:                               ;   in Loop: Header=BB945_17 Depth=1
	v_and_b32_e32 v34, 7, v30
	v_ffbh_u32_e32 v54, v34
	v_min_u32_e32 v56, 32, v54
	v_subrev_u32_e32 v54, 28, v56
	v_lshlrev_b64 v[54:55], v54, v[30:31]
	v_lshrrev_b32_e32 v53, 3, v44
	v_sub_u32_e32 v55, 29, v56
	v_and_b32_e32 v54, 7, v54
	v_cmp_gt_u32_e32 vcc, 8, v44
	v_cndmask_b32_e32 v44, v53, v55, vcc
	v_cndmask_b32_e32 v34, v34, v54, vcc
	v_lshlrev_b32_e32 v30, 24, v30
	v_lshlrev_b32_e32 v34, 20, v34
	v_and_b32_e32 v30, 0x80000000, v30
	v_lshl_add_u32 v44, v44, 23, v40
	v_or3_b32 v30, v30, v44, v34
	v_lshrrev_b32_e32 v34, 16, v30
.LBB945_81:                             ;   in Loop: Header=BB945_17 Depth=1
	s_or_b64 exec, exec, s[12:13]
.LBB945_82:                             ;   in Loop: Header=BB945_17 Depth=1
	s_or_b64 exec, exec, s[10:11]
.LBB945_83:                             ;   in Loop: Header=BB945_17 Depth=1
	s_or_b64 exec, exec, s[4:5]
	v_cmp_lt_u32_e32 vcc, s17, v28
	s_and_saveexec_b64 s[4:5], vcc
	s_cbranch_execz .LBB945_89
; %bb.84:                               ;   in Loop: Header=BB945_17 Depth=1
	v_lshrrev_b32_e32 v30, 24, v28
	v_cmp_ne_u32_e32 vcc, s15, v30
	v_mov_b32_e32 v42, 0xffff8000
	s_and_saveexec_b64 s[10:11], vcc
	s_cbranch_execz .LBB945_88
; %bb.85:                               ;   in Loop: Header=BB945_17 Depth=1
	v_bfe_u32 v28, v28, 24, 7
	v_cmp_ne_u32_e32 vcc, s16, v28
	v_mov_b32_e32 v42, 0x7f80
	s_and_saveexec_b64 s[12:13], vcc
	s_cbranch_execz .LBB945_87
; %bb.86:                               ;   in Loop: Header=BB945_17 Depth=1
	v_and_b32_e32 v42, 7, v30
	v_ffbh_u32_e32 v53, v42
	v_min_u32_e32 v53, 32, v53
	v_subrev_u32_e32 v54, 28, v53
	v_lshlrev_b64 v[54:55], v54, v[30:31]
	v_lshrrev_b32_e32 v44, 3, v28
	v_sub_u32_e32 v53, 29, v53
	v_and_b32_e32 v54, 7, v54
	v_cmp_gt_u32_e32 vcc, 8, v28
	v_cndmask_b32_e32 v28, v44, v53, vcc
	v_cndmask_b32_e32 v42, v42, v54, vcc
	v_lshlrev_b32_e32 v30, 24, v30
	v_lshlrev_b32_e32 v42, 20, v42
	v_and_b32_e32 v30, 0x80000000, v30
	v_lshl_add_u32 v28, v28, 23, v40
	v_or3_b32 v28, v30, v28, v42
	v_lshrrev_b32_e32 v42, 16, v28
.LBB945_87:                             ;   in Loop: Header=BB945_17 Depth=1
	s_or_b64 exec, exec, s[12:13]
.LBB945_88:                             ;   in Loop: Header=BB945_17 Depth=1
	s_or_b64 exec, exec, s[10:11]
.LBB945_89:                             ;   in Loop: Header=BB945_17 Depth=1
	s_or_b64 exec, exec, s[4:5]
	s_waitcnt vmcnt(0)
	v_cmp_ne_u16_sdwa s[10:11], v26, v36 src0_sel:BYTE_0 src1_sel:DWORD
	v_mov_b32_e32 v44, 0
	v_mov_b32_e32 v53, 0
	s_and_saveexec_b64 s[4:5], s[10:11]
	s_cbranch_execz .LBB945_95
; %bb.90:                               ;   in Loop: Header=BB945_17 Depth=1
	v_cmp_ne_u16_sdwa s[12:13], v26, s15 src0_sel:BYTE_0 src1_sel:DWORD
	v_mov_b32_e32 v53, 0xffff8000
	s_and_saveexec_b64 s[10:11], s[12:13]
	s_cbranch_execz .LBB945_94
; %bb.91:                               ;   in Loop: Header=BB945_17 Depth=1
	v_and_b32_e32 v28, 0x7f, v26
	v_cmp_ne_u32_e32 vcc, s16, v28
	v_mov_b32_e32 v53, 0x7f80
	s_and_saveexec_b64 s[12:13], vcc
	s_cbranch_execz .LBB945_93
; %bb.92:                               ;   in Loop: Header=BB945_17 Depth=1
	v_and_b32_e32 v30, 7, v26
	v_ffbh_u32_e32 v54, v30
	v_min_u32_e32 v56, 32, v54
	v_subrev_u32_e32 v54, 28, v56
	v_lshlrev_b64 v[54:55], v54, v[26:27]
	v_lshrrev_b32_e32 v53, 3, v28
	v_sub_u32_e32 v55, 29, v56
	v_and_b32_e32 v54, 7, v54
	v_cmp_gt_u32_e32 vcc, 8, v28
	v_cndmask_b32_e32 v28, v53, v55, vcc
	v_cndmask_b32_e32 v30, v30, v54, vcc
	v_lshlrev_b32_e32 v53, 24, v26
	v_lshlrev_b32_e32 v30, 20, v30
	v_and_b32_e32 v53, 0x80000000, v53
	v_lshl_add_u32 v28, v28, 23, v40
	v_or3_b32 v28, v53, v28, v30
	v_lshrrev_b32_e32 v53, 16, v28
.LBB945_93:                             ;   in Loop: Header=BB945_17 Depth=1
	s_or_b64 exec, exec, s[12:13]
.LBB945_94:                             ;   in Loop: Header=BB945_17 Depth=1
	s_or_b64 exec, exec, s[10:11]
.LBB945_95:                             ;   in Loop: Header=BB945_17 Depth=1
	s_or_b64 exec, exec, s[4:5]
	v_lshrrev_b16_e32 v28, 8, v26
	v_cmp_ne_u16_e32 vcc, 0, v28
	s_and_saveexec_b64 s[4:5], vcc
	s_cbranch_execz .LBB945_101
; %bb.96:                               ;   in Loop: Header=BB945_17 Depth=1
	v_cmp_ne_u16_e32 vcc, s15, v28
	v_mov_b32_e32 v44, 0xffff8000
	s_and_saveexec_b64 s[10:11], vcc
	s_cbranch_execz .LBB945_100
; %bb.97:                               ;   in Loop: Header=BB945_17 Depth=1
	v_and_b32_e32 v30, 0x7f, v28
	v_cmp_ne_u32_e32 vcc, s16, v30
	v_mov_b32_e32 v44, 0x7f80
	s_and_saveexec_b64 s[12:13], vcc
	s_cbranch_execz .LBB945_99
; %bb.98:                               ;   in Loop: Header=BB945_17 Depth=1
	v_and_b32_e32 v44, 7, v28
	v_ffbh_u32_e32 v54, v44
	v_min_u32_e32 v57, 32, v54
	v_subrev_u32_e32 v54, 28, v57
	v_lshlrev_b64 v[54:55], v54, v[28:29]
	v_lshrrev_b32_e32 v56, 3, v30
	v_sub_u32_e32 v28, 29, v57
	v_and_b32_e32 v54, 7, v54
	v_cmp_gt_u32_e32 vcc, 8, v30
	v_cndmask_b32_e32 v28, v56, v28, vcc
	v_cndmask_b32_e32 v30, v44, v54, vcc
	v_lshlrev_b32_e32 v44, 16, v26
	v_lshlrev_b32_e32 v30, 20, v30
	v_and_b32_e32 v44, 0x80000000, v44
	v_lshl_add_u32 v28, v28, 23, v40
	v_or3_b32 v28, v44, v28, v30
	v_lshrrev_b32_e32 v44, 16, v28
.LBB945_99:                             ;   in Loop: Header=BB945_17 Depth=1
	s_or_b64 exec, exec, s[12:13]
.LBB945_100:                            ;   in Loop: Header=BB945_17 Depth=1
	s_or_b64 exec, exec, s[10:11]
.LBB945_101:                            ;   in Loop: Header=BB945_17 Depth=1
	s_or_b64 exec, exec, s[4:5]
	v_lshrrev_b32_e32 v28, 16, v26
	v_cmp_ne_u16_sdwa s[10:11], v28, v36 src0_sel:BYTE_0 src1_sel:DWORD
	v_mov_b32_e32 v55, 0
	v_mov_b32_e32 v54, 0
	s_and_saveexec_b64 s[4:5], s[10:11]
	s_cbranch_execz .LBB945_107
; %bb.102:                              ;   in Loop: Header=BB945_17 Depth=1
	v_cmp_ne_u16_sdwa s[12:13], v28, s15 src0_sel:BYTE_0 src1_sel:DWORD
	v_mov_b32_e32 v54, 0xffff8000
	s_and_saveexec_b64 s[10:11], s[12:13]
	s_cbranch_execz .LBB945_106
; %bb.103:                              ;   in Loop: Header=BB945_17 Depth=1
	v_bfe_u32 v30, v26, 16, 7
	v_cmp_ne_u32_e32 vcc, s16, v30
	v_mov_b32_e32 v54, 0x7f80
	s_and_saveexec_b64 s[12:13], vcc
	s_cbranch_execz .LBB945_105
; %bb.104:                              ;   in Loop: Header=BB945_17 Depth=1
	v_and_b32_e32 v54, 7, v28
	v_ffbh_u32_e32 v56, v54
	v_min_u32_e32 v59, 32, v56
	v_subrev_u32_e32 v56, 28, v59
	v_lshlrev_b64 v[56:57], v56, v[28:29]
	v_lshrrev_b32_e32 v58, 3, v30
	v_sub_u32_e32 v57, 29, v59
	v_and_b32_e32 v56, 7, v56
	v_cmp_gt_u32_e32 vcc, 8, v30
	v_cndmask_b32_e32 v30, v58, v57, vcc
	v_cndmask_b32_e32 v54, v54, v56, vcc
	v_lshlrev_b32_e32 v28, 24, v28
	v_lshlrev_b32_e32 v54, 20, v54
	v_and_b32_e32 v28, 0x80000000, v28
	v_lshl_add_u32 v30, v30, 23, v40
	v_or3_b32 v28, v28, v30, v54
	v_lshrrev_b32_e32 v54, 16, v28
.LBB945_105:                            ;   in Loop: Header=BB945_17 Depth=1
	s_or_b64 exec, exec, s[12:13]
.LBB945_106:                            ;   in Loop: Header=BB945_17 Depth=1
	s_or_b64 exec, exec, s[10:11]
.LBB945_107:                            ;   in Loop: Header=BB945_17 Depth=1
	s_or_b64 exec, exec, s[4:5]
	v_cmp_lt_u32_e32 vcc, s17, v26
	s_and_saveexec_b64 s[4:5], vcc
	s_cbranch_execz .LBB945_113
; %bb.108:                              ;   in Loop: Header=BB945_17 Depth=1
	v_lshrrev_b32_e32 v28, 24, v26
	v_cmp_ne_u32_e32 vcc, s15, v28
	v_mov_b32_e32 v55, 0xffff8000
	s_and_saveexec_b64 s[10:11], vcc
	s_cbranch_execz .LBB945_112
; %bb.109:                              ;   in Loop: Header=BB945_17 Depth=1
	v_bfe_u32 v26, v26, 24, 7
	v_cmp_ne_u32_e32 vcc, s16, v26
	v_mov_b32_e32 v55, 0x7f80
	s_and_saveexec_b64 s[12:13], vcc
	s_cbranch_execz .LBB945_111
; %bb.110:                              ;   in Loop: Header=BB945_17 Depth=1
	v_and_b32_e32 v30, 7, v28
	v_ffbh_u32_e32 v56, v30
	v_min_u32_e32 v58, 32, v56
	v_subrev_u32_e32 v56, 28, v58
	v_lshlrev_b64 v[56:57], v56, v[28:29]
	v_lshrrev_b32_e32 v55, 3, v26
	v_sub_u32_e32 v57, 29, v58
	v_and_b32_e32 v56, 7, v56
	v_cmp_gt_u32_e32 vcc, 8, v26
	v_cndmask_b32_e32 v26, v55, v57, vcc
	v_cndmask_b32_e32 v30, v30, v56, vcc
	v_lshlrev_b32_e32 v28, 24, v28
	v_lshlrev_b32_e32 v30, 20, v30
	v_and_b32_e32 v28, 0x80000000, v28
	v_lshl_add_u32 v26, v26, 23, v40
	v_or3_b32 v26, v28, v26, v30
	v_lshrrev_b32_e32 v55, 16, v26
.LBB945_111:                            ;   in Loop: Header=BB945_17 Depth=1
	s_or_b64 exec, exec, s[12:13]
.LBB945_112:                            ;   in Loop: Header=BB945_17 Depth=1
	s_or_b64 exec, exec, s[10:11]
.LBB945_113:                            ;   in Loop: Header=BB945_17 Depth=1
	s_or_b64 exec, exec, s[4:5]
	v_perm_b32 v56, v23, v32, s18
	buffer_load_dword v32, v37, s[0:3], 0 offen offset:16
	buffer_load_dword v30, v37, s[0:3], 0 offen offset:20
	;; [unrolled: 1-line block ×4, first 2 shown]
	v_perm_b32 v57, v42, v34, s18
	v_perm_b32 v55, v55, v54, s18
	;; [unrolled: 1-line block ×3, first 2 shown]
	v_mfma_f32_16x16x16bf16_1k v[18:21], v[56:57], v[6:7], v[18:21]
	v_mov_b32_e32 v23, 0
	v_mov_b32_e32 v42, 0
	s_waitcnt vmcnt(3)
	v_cmp_ne_u16_sdwa s[10:11], v32, v36 src0_sel:BYTE_0 src1_sel:DWORD
	v_mfma_f32_16x16x16bf16_1k v[18:21], v[54:55], v[8:9], v[18:21]
	s_and_saveexec_b64 s[4:5], s[10:11]
	s_cbranch_execz .LBB945_119
; %bb.114:                              ;   in Loop: Header=BB945_17 Depth=1
	v_cmp_ne_u16_sdwa s[12:13], v32, s15 src0_sel:BYTE_0 src1_sel:DWORD
	v_mov_b32_e32 v42, 0xffff8000
	s_and_saveexec_b64 s[10:11], s[12:13]
	s_cbranch_execz .LBB945_118
; %bb.115:                              ;   in Loop: Header=BB945_17 Depth=1
	v_and_b32_e32 v34, 0x7f, v32
	v_cmp_ne_u32_e32 vcc, s16, v34
	v_mov_b32_e32 v42, 0x7f80
	s_and_saveexec_b64 s[12:13], vcc
	s_cbranch_execz .LBB945_117
; %bb.116:                              ;   in Loop: Header=BB945_17 Depth=1
	v_and_b32_e32 v42, 7, v32
	v_ffbh_u32_e32 v53, v42
	v_min_u32_e32 v53, 32, v53
	v_subrev_u32_e32 v54, 28, v53
	v_lshlrev_b64 v[54:55], v54, v[32:33]
	v_lshrrev_b32_e32 v44, 3, v34
	v_sub_u32_e32 v53, 29, v53
	v_and_b32_e32 v54, 7, v54
	v_cmp_gt_u32_e32 vcc, 8, v34
	v_cndmask_b32_e32 v34, v44, v53, vcc
	v_cndmask_b32_e32 v42, v42, v54, vcc
	v_lshlrev_b32_e32 v44, 24, v32
	v_lshlrev_b32_e32 v42, 20, v42
	v_and_b32_e32 v44, 0x80000000, v44
	v_lshl_add_u32 v34, v34, 23, v40
	v_or3_b32 v34, v44, v34, v42
	v_lshrrev_b32_e32 v42, 16, v34
.LBB945_117:                            ;   in Loop: Header=BB945_17 Depth=1
	s_or_b64 exec, exec, s[12:13]
.LBB945_118:                            ;   in Loop: Header=BB945_17 Depth=1
	s_or_b64 exec, exec, s[10:11]
.LBB945_119:                            ;   in Loop: Header=BB945_17 Depth=1
	s_or_b64 exec, exec, s[4:5]
	v_lshrrev_b16_e32 v34, 8, v32
	v_cmp_ne_u16_e32 vcc, 0, v34
	s_and_saveexec_b64 s[4:5], vcc
	s_cbranch_execz .LBB945_125
; %bb.120:                              ;   in Loop: Header=BB945_17 Depth=1
	v_cmp_ne_u16_e32 vcc, s15, v34
	v_mov_b32_e32 v23, 0xffff8000
	s_and_saveexec_b64 s[10:11], vcc
	s_cbranch_execz .LBB945_124
; %bb.121:                              ;   in Loop: Header=BB945_17 Depth=1
	v_and_b32_e32 v44, 0x7f, v34
	v_cmp_ne_u32_e32 vcc, s16, v44
	v_mov_b32_e32 v23, 0x7f80
	s_and_saveexec_b64 s[12:13], vcc
	s_cbranch_execz .LBB945_123
; %bb.122:                              ;   in Loop: Header=BB945_17 Depth=1
	v_and_b32_e32 v23, 7, v34
	v_ffbh_u32_e32 v54, v23
	v_min_u32_e32 v56, 32, v54
	v_subrev_u32_e32 v54, 28, v56
	v_lshlrev_b64 v[54:55], v54, v[34:35]
	v_lshrrev_b32_e32 v53, 3, v44
	v_sub_u32_e32 v34, 29, v56
	v_and_b32_e32 v54, 7, v54
	v_cmp_gt_u32_e32 vcc, 8, v44
	v_cndmask_b32_e32 v34, v53, v34, vcc
	v_cndmask_b32_e32 v23, v23, v54, vcc
	v_lshlrev_b32_e32 v44, 16, v32
	v_lshlrev_b32_e32 v23, 20, v23
	v_and_b32_e32 v44, 0x80000000, v44
	v_lshl_add_u32 v34, v34, 23, v40
	v_or3_b32 v23, v44, v34, v23
	v_lshrrev_b32_e32 v23, 16, v23
.LBB945_123:                            ;   in Loop: Header=BB945_17 Depth=1
	s_or_b64 exec, exec, s[12:13]
.LBB945_124:                            ;   in Loop: Header=BB945_17 Depth=1
	s_or_b64 exec, exec, s[10:11]
.LBB945_125:                            ;   in Loop: Header=BB945_17 Depth=1
	s_or_b64 exec, exec, s[4:5]
	v_lshrrev_b32_e32 v34, 16, v32
	v_cmp_ne_u16_sdwa s[10:11], v34, v36 src0_sel:BYTE_0 src1_sel:DWORD
	v_mov_b32_e32 v53, 0
	v_mov_b32_e32 v44, 0
	s_and_saveexec_b64 s[4:5], s[10:11]
	s_cbranch_execz .LBB945_131
; %bb.126:                              ;   in Loop: Header=BB945_17 Depth=1
	v_cmp_ne_u16_sdwa s[12:13], v34, s15 src0_sel:BYTE_0 src1_sel:DWORD
	v_mov_b32_e32 v44, 0xffff8000
	s_and_saveexec_b64 s[10:11], s[12:13]
	s_cbranch_execz .LBB945_130
; %bb.127:                              ;   in Loop: Header=BB945_17 Depth=1
	v_bfe_u32 v54, v32, 16, 7
	v_cmp_ne_u32_e32 vcc, s16, v54
	v_mov_b32_e32 v44, 0x7f80
	s_and_saveexec_b64 s[12:13], vcc
	s_cbranch_execz .LBB945_129
; %bb.128:                              ;   in Loop: Header=BB945_17 Depth=1
	v_and_b32_e32 v44, 7, v34
	v_ffbh_u32_e32 v56, v44
	v_min_u32_e32 v58, 32, v56
	v_subrev_u32_e32 v56, 28, v58
	v_lshlrev_b64 v[56:57], v56, v[34:35]
	v_lshrrev_b32_e32 v55, 3, v54
	v_sub_u32_e32 v57, 29, v58
	v_and_b32_e32 v56, 7, v56
	v_cmp_gt_u32_e32 vcc, 8, v54
	v_cndmask_b32_e32 v54, v55, v57, vcc
	v_cndmask_b32_e32 v44, v44, v56, vcc
	v_lshlrev_b32_e32 v34, 24, v34
	v_lshlrev_b32_e32 v44, 20, v44
	v_and_b32_e32 v34, 0x80000000, v34
	v_lshl_add_u32 v54, v54, 23, v40
	v_or3_b32 v34, v34, v54, v44
	v_lshrrev_b32_e32 v44, 16, v34
.LBB945_129:                            ;   in Loop: Header=BB945_17 Depth=1
	s_or_b64 exec, exec, s[12:13]
.LBB945_130:                            ;   in Loop: Header=BB945_17 Depth=1
	s_or_b64 exec, exec, s[10:11]
.LBB945_131:                            ;   in Loop: Header=BB945_17 Depth=1
	s_or_b64 exec, exec, s[4:5]
	v_cmp_lt_u32_e32 vcc, s17, v32
	s_and_saveexec_b64 s[4:5], vcc
	s_cbranch_execz .LBB945_137
; %bb.132:                              ;   in Loop: Header=BB945_17 Depth=1
	v_lshrrev_b32_e32 v34, 24, v32
	v_cmp_ne_u32_e32 vcc, s15, v34
	v_mov_b32_e32 v53, 0xffff8000
	s_and_saveexec_b64 s[10:11], vcc
	s_cbranch_execz .LBB945_136
; %bb.133:                              ;   in Loop: Header=BB945_17 Depth=1
	v_bfe_u32 v32, v32, 24, 7
	v_cmp_ne_u32_e32 vcc, s16, v32
	v_mov_b32_e32 v53, 0x7f80
	s_and_saveexec_b64 s[12:13], vcc
	s_cbranch_execz .LBB945_135
; %bb.134:                              ;   in Loop: Header=BB945_17 Depth=1
	v_and_b32_e32 v53, 7, v34
	v_ffbh_u32_e32 v54, v53
	v_min_u32_e32 v57, 32, v54
	v_subrev_u32_e32 v54, 28, v57
	v_lshlrev_b64 v[54:55], v54, v[34:35]
	v_lshrrev_b32_e32 v56, 3, v32
	v_sub_u32_e32 v55, 29, v57
	v_and_b32_e32 v54, 7, v54
	v_cmp_gt_u32_e32 vcc, 8, v32
	v_cndmask_b32_e32 v32, v56, v55, vcc
	v_cndmask_b32_e32 v53, v53, v54, vcc
	v_lshlrev_b32_e32 v34, 24, v34
	v_lshlrev_b32_e32 v53, 20, v53
	v_and_b32_e32 v34, 0x80000000, v34
	v_lshl_add_u32 v32, v32, 23, v40
	v_or3_b32 v32, v34, v32, v53
	v_lshrrev_b32_e32 v53, 16, v32
.LBB945_135:                            ;   in Loop: Header=BB945_17 Depth=1
	s_or_b64 exec, exec, s[12:13]
.LBB945_136:                            ;   in Loop: Header=BB945_17 Depth=1
	s_or_b64 exec, exec, s[10:11]
.LBB945_137:                            ;   in Loop: Header=BB945_17 Depth=1
	s_or_b64 exec, exec, s[4:5]
	s_waitcnt vmcnt(2)
	v_cmp_ne_u16_sdwa s[10:11], v30, v36 src0_sel:BYTE_0 src1_sel:DWORD
	v_mov_b32_e32 v34, 0
	v_mov_b32_e32 v54, 0
	s_and_saveexec_b64 s[4:5], s[10:11]
	s_cbranch_execz .LBB945_143
; %bb.138:                              ;   in Loop: Header=BB945_17 Depth=1
	v_cmp_ne_u16_sdwa s[12:13], v30, s15 src0_sel:BYTE_0 src1_sel:DWORD
	v_mov_b32_e32 v54, 0xffff8000
	s_and_saveexec_b64 s[10:11], s[12:13]
	s_cbranch_execz .LBB945_142
; %bb.139:                              ;   in Loop: Header=BB945_17 Depth=1
	v_and_b32_e32 v32, 0x7f, v30
	v_cmp_ne_u32_e32 vcc, s16, v32
	v_mov_b32_e32 v54, 0x7f80
	s_and_saveexec_b64 s[12:13], vcc
	s_cbranch_execz .LBB945_141
; %bb.140:                              ;   in Loop: Header=BB945_17 Depth=1
	v_and_b32_e32 v56, 7, v30
	v_ffbh_u32_e32 v54, v56
	v_min_u32_e32 v58, 32, v54
	v_subrev_u32_e32 v54, 28, v58
	v_lshlrev_b64 v[54:55], v54, v[30:31]
	v_lshrrev_b32_e32 v57, 3, v32
	v_sub_u32_e32 v55, 29, v58
	v_and_b32_e32 v54, 7, v54
	v_cmp_gt_u32_e32 vcc, 8, v32
	v_cndmask_b32_e32 v32, v57, v55, vcc
	v_cndmask_b32_e32 v54, v56, v54, vcc
	v_lshlrev_b32_e32 v55, 24, v30
	v_lshlrev_b32_e32 v54, 20, v54
	v_and_b32_e32 v55, 0x80000000, v55
	v_lshl_add_u32 v32, v32, 23, v40
	v_or3_b32 v32, v55, v32, v54
	v_lshrrev_b32_e32 v54, 16, v32
.LBB945_141:                            ;   in Loop: Header=BB945_17 Depth=1
	s_or_b64 exec, exec, s[12:13]
.LBB945_142:                            ;   in Loop: Header=BB945_17 Depth=1
	s_or_b64 exec, exec, s[10:11]
.LBB945_143:                            ;   in Loop: Header=BB945_17 Depth=1
	s_or_b64 exec, exec, s[4:5]
	v_lshrrev_b16_e32 v32, 8, v30
	v_cmp_ne_u16_e32 vcc, 0, v32
	s_and_saveexec_b64 s[4:5], vcc
	s_cbranch_execz .LBB945_149
; %bb.144:                              ;   in Loop: Header=BB945_17 Depth=1
	v_cmp_ne_u16_e32 vcc, s15, v32
	v_mov_b32_e32 v34, 0xffff8000
	s_and_saveexec_b64 s[10:11], vcc
	s_cbranch_execz .LBB945_148
; %bb.145:                              ;   in Loop: Header=BB945_17 Depth=1
	v_and_b32_e32 v55, 0x7f, v32
	v_cmp_ne_u32_e32 vcc, s16, v55
	v_mov_b32_e32 v34, 0x7f80
	s_and_saveexec_b64 s[12:13], vcc
	s_cbranch_execz .LBB945_147
; %bb.146:                              ;   in Loop: Header=BB945_17 Depth=1
	v_and_b32_e32 v34, 7, v32
	v_ffbh_u32_e32 v56, v34
	v_min_u32_e32 v59, 32, v56
	v_subrev_u32_e32 v56, 28, v59
	v_lshlrev_b64 v[56:57], v56, v[32:33]
	v_lshrrev_b32_e32 v58, 3, v55
	v_sub_u32_e32 v32, 29, v59
	v_and_b32_e32 v56, 7, v56
	v_cmp_gt_u32_e32 vcc, 8, v55
	v_cndmask_b32_e32 v32, v58, v32, vcc
	v_cndmask_b32_e32 v34, v34, v56, vcc
	v_lshlrev_b32_e32 v55, 16, v30
	v_lshlrev_b32_e32 v34, 20, v34
	v_and_b32_e32 v55, 0x80000000, v55
	v_lshl_add_u32 v32, v32, 23, v40
	v_or3_b32 v32, v55, v32, v34
	v_lshrrev_b32_e32 v34, 16, v32
.LBB945_147:                            ;   in Loop: Header=BB945_17 Depth=1
	s_or_b64 exec, exec, s[12:13]
.LBB945_148:                            ;   in Loop: Header=BB945_17 Depth=1
	s_or_b64 exec, exec, s[10:11]
.LBB945_149:                            ;   in Loop: Header=BB945_17 Depth=1
	s_or_b64 exec, exec, s[4:5]
	v_lshrrev_b32_e32 v32, 16, v30
	v_cmp_ne_u16_sdwa s[10:11], v32, v36 src0_sel:BYTE_0 src1_sel:DWORD
	v_mov_b32_e32 v56, 0
	v_mov_b32_e32 v55, 0
	s_and_saveexec_b64 s[4:5], s[10:11]
	s_cbranch_execz .LBB945_155
; %bb.150:                              ;   in Loop: Header=BB945_17 Depth=1
	v_cmp_ne_u16_sdwa s[12:13], v32, s15 src0_sel:BYTE_0 src1_sel:DWORD
	v_mov_b32_e32 v55, 0xffff8000
	s_and_saveexec_b64 s[10:11], s[12:13]
	s_cbranch_execz .LBB945_154
; %bb.151:                              ;   in Loop: Header=BB945_17 Depth=1
	v_bfe_u32 v57, v30, 16, 7
	v_cmp_ne_u32_e32 vcc, s16, v57
	v_mov_b32_e32 v55, 0x7f80
	s_and_saveexec_b64 s[12:13], vcc
	s_cbranch_execz .LBB945_153
; %bb.152:                              ;   in Loop: Header=BB945_17 Depth=1
	v_and_b32_e32 v55, 7, v32
	v_ffbh_u32_e32 v58, v55
	v_min_u32_e32 v61, 32, v58
	v_subrev_u32_e32 v58, 28, v61
	v_lshlrev_b64 v[58:59], v58, v[32:33]
	v_lshrrev_b32_e32 v60, 3, v57
	v_sub_u32_e32 v59, 29, v61
	v_and_b32_e32 v58, 7, v58
	v_cmp_gt_u32_e32 vcc, 8, v57
	v_cndmask_b32_e32 v57, v60, v59, vcc
	v_cndmask_b32_e32 v55, v55, v58, vcc
	v_lshlrev_b32_e32 v32, 24, v32
	v_lshlrev_b32_e32 v55, 20, v55
	v_and_b32_e32 v32, 0x80000000, v32
	v_lshl_add_u32 v57, v57, 23, v40
	v_or3_b32 v32, v32, v57, v55
	v_lshrrev_b32_e32 v55, 16, v32
.LBB945_153:                            ;   in Loop: Header=BB945_17 Depth=1
	s_or_b64 exec, exec, s[12:13]
.LBB945_154:                            ;   in Loop: Header=BB945_17 Depth=1
	s_or_b64 exec, exec, s[10:11]
.LBB945_155:                            ;   in Loop: Header=BB945_17 Depth=1
	s_or_b64 exec, exec, s[4:5]
	v_cmp_lt_u32_e32 vcc, s17, v30
	s_and_saveexec_b64 s[4:5], vcc
	s_cbranch_execz .LBB945_161
; %bb.156:                              ;   in Loop: Header=BB945_17 Depth=1
	v_lshrrev_b32_e32 v32, 24, v30
	v_cmp_ne_u32_e32 vcc, s15, v32
	v_mov_b32_e32 v56, 0xffff8000
	s_and_saveexec_b64 s[10:11], vcc
	s_cbranch_execz .LBB945_160
; %bb.157:                              ;   in Loop: Header=BB945_17 Depth=1
	v_bfe_u32 v30, v30, 24, 7
	v_cmp_ne_u32_e32 vcc, s16, v30
	v_mov_b32_e32 v56, 0x7f80
	s_and_saveexec_b64 s[12:13], vcc
	s_cbranch_execz .LBB945_159
; %bb.158:                              ;   in Loop: Header=BB945_17 Depth=1
	v_and_b32_e32 v58, 7, v32
	v_ffbh_u32_e32 v56, v58
	v_min_u32_e32 v60, 32, v56
	v_subrev_u32_e32 v56, 28, v60
	v_lshlrev_b64 v[56:57], v56, v[32:33]
	v_lshrrev_b32_e32 v59, 3, v30
	v_sub_u32_e32 v57, 29, v60
	v_and_b32_e32 v56, 7, v56
	v_cmp_gt_u32_e32 vcc, 8, v30
	v_cndmask_b32_e32 v30, v59, v57, vcc
	v_cndmask_b32_e32 v56, v58, v56, vcc
	v_lshlrev_b32_e32 v32, 24, v32
	v_lshlrev_b32_e32 v56, 20, v56
	v_and_b32_e32 v32, 0x80000000, v32
	v_lshl_add_u32 v30, v30, 23, v40
	v_or3_b32 v30, v32, v30, v56
	v_lshrrev_b32_e32 v56, 16, v30
.LBB945_159:                            ;   in Loop: Header=BB945_17 Depth=1
	s_or_b64 exec, exec, s[12:13]
.LBB945_160:                            ;   in Loop: Header=BB945_17 Depth=1
	s_or_b64 exec, exec, s[10:11]
.LBB945_161:                            ;   in Loop: Header=BB945_17 Depth=1
	s_or_b64 exec, exec, s[4:5]
	v_perm_b32 v59, v53, v44, s18
	v_perm_b32 v58, v23, v42, s18
	;; [unrolled: 1-line block ×4, first 2 shown]
	s_waitcnt vmcnt(1)
	v_cmp_ne_u16_sdwa s[10:11], v28, v36 src0_sel:BYTE_0 src1_sel:DWORD
	v_mfma_f32_16x16x16bf16_1k v[18:21], v[58:59], v[10:11], v[18:21]
	v_mov_b32_e32 v23, 0
	v_mov_b32_e32 v32, 0
	v_mfma_f32_16x16x16bf16_1k v[18:21], v[54:55], v[12:13], v[18:21]
	s_and_saveexec_b64 s[4:5], s[10:11]
	s_cbranch_execz .LBB945_167
; %bb.162:                              ;   in Loop: Header=BB945_17 Depth=1
	v_cmp_ne_u16_sdwa s[12:13], v28, s15 src0_sel:BYTE_0 src1_sel:DWORD
	v_mov_b32_e32 v32, 0xffff8000
	s_and_saveexec_b64 s[10:11], s[12:13]
	s_cbranch_execz .LBB945_166
; %bb.163:                              ;   in Loop: Header=BB945_17 Depth=1
	v_and_b32_e32 v30, 0x7f, v28
	v_cmp_ne_u32_e32 vcc, s16, v30
	v_mov_b32_e32 v32, 0x7f80
	s_and_saveexec_b64 s[12:13], vcc
	s_cbranch_execz .LBB945_165
; %bb.164:                              ;   in Loop: Header=BB945_17 Depth=1
	v_and_b32_e32 v32, 7, v28
	v_ffbh_u32_e32 v42, v32
	v_min_u32_e32 v42, 32, v42
	v_subrev_u32_e32 v44, 28, v42
	v_lshlrev_b64 v[54:55], v44, v[28:29]
	v_lshrrev_b32_e32 v34, 3, v30
	v_sub_u32_e32 v42, 29, v42
	v_and_b32_e32 v44, 7, v54
	v_cmp_gt_u32_e32 vcc, 8, v30
	v_cndmask_b32_e32 v30, v34, v42, vcc
	v_cndmask_b32_e32 v32, v32, v44, vcc
	v_lshlrev_b32_e32 v34, 24, v28
	v_lshlrev_b32_e32 v32, 20, v32
	v_and_b32_e32 v34, 0x80000000, v34
	v_lshl_add_u32 v30, v30, 23, v40
	v_or3_b32 v30, v34, v30, v32
	v_lshrrev_b32_e32 v32, 16, v30
.LBB945_165:                            ;   in Loop: Header=BB945_17 Depth=1
	s_or_b64 exec, exec, s[12:13]
.LBB945_166:                            ;   in Loop: Header=BB945_17 Depth=1
	s_or_b64 exec, exec, s[10:11]
.LBB945_167:                            ;   in Loop: Header=BB945_17 Depth=1
	s_or_b64 exec, exec, s[4:5]
	v_lshrrev_b16_e32 v30, 8, v28
	v_cmp_ne_u16_e32 vcc, 0, v30
	s_and_saveexec_b64 s[4:5], vcc
	s_cbranch_execz .LBB945_173
; %bb.168:                              ;   in Loop: Header=BB945_17 Depth=1
	v_cmp_ne_u16_e32 vcc, s15, v30
	v_mov_b32_e32 v23, 0xffff8000
	s_and_saveexec_b64 s[10:11], vcc
	s_cbranch_execz .LBB945_172
; %bb.169:                              ;   in Loop: Header=BB945_17 Depth=1
	v_and_b32_e32 v34, 0x7f, v30
	v_cmp_ne_u32_e32 vcc, s16, v34
	v_mov_b32_e32 v23, 0x7f80
	s_and_saveexec_b64 s[12:13], vcc
	s_cbranch_execz .LBB945_171
; %bb.170:                              ;   in Loop: Header=BB945_17 Depth=1
	v_and_b32_e32 v23, 7, v30
	v_ffbh_u32_e32 v44, v23
	v_min_u32_e32 v44, 32, v44
	v_subrev_u32_e32 v53, 28, v44
	v_lshlrev_b64 v[54:55], v53, v[30:31]
	v_lshrrev_b32_e32 v42, 3, v34
	v_sub_u32_e32 v30, 29, v44
	v_and_b32_e32 v44, 7, v54
	v_cmp_gt_u32_e32 vcc, 8, v34
	v_cndmask_b32_e32 v30, v42, v30, vcc
	v_cndmask_b32_e32 v23, v23, v44, vcc
	v_lshlrev_b32_e32 v34, 16, v28
	v_lshlrev_b32_e32 v23, 20, v23
	v_and_b32_e32 v34, 0x80000000, v34
	v_lshl_add_u32 v30, v30, 23, v40
	v_or3_b32 v23, v34, v30, v23
	v_lshrrev_b32_e32 v23, 16, v23
.LBB945_171:                            ;   in Loop: Header=BB945_17 Depth=1
	s_or_b64 exec, exec, s[12:13]
.LBB945_172:                            ;   in Loop: Header=BB945_17 Depth=1
	s_or_b64 exec, exec, s[10:11]
.LBB945_173:                            ;   in Loop: Header=BB945_17 Depth=1
	s_or_b64 exec, exec, s[4:5]
	v_lshrrev_b32_e32 v30, 16, v28
	v_cmp_ne_u16_sdwa s[10:11], v30, v36 src0_sel:BYTE_0 src1_sel:DWORD
	v_mov_b32_e32 v42, 0
	v_mov_b32_e32 v34, 0
	s_and_saveexec_b64 s[4:5], s[10:11]
	s_cbranch_execz .LBB945_179
; %bb.174:                              ;   in Loop: Header=BB945_17 Depth=1
	v_cmp_ne_u16_sdwa s[12:13], v30, s15 src0_sel:BYTE_0 src1_sel:DWORD
	v_mov_b32_e32 v34, 0xffff8000
	s_and_saveexec_b64 s[10:11], s[12:13]
	s_cbranch_execz .LBB945_178
; %bb.175:                              ;   in Loop: Header=BB945_17 Depth=1
	v_bfe_u32 v44, v28, 16, 7
	v_cmp_ne_u32_e32 vcc, s16, v44
	v_mov_b32_e32 v34, 0x7f80
	s_and_saveexec_b64 s[12:13], vcc
	s_cbranch_execz .LBB945_177
; %bb.176:                              ;   in Loop: Header=BB945_17 Depth=1
	v_and_b32_e32 v34, 7, v30
	v_ffbh_u32_e32 v54, v34
	v_min_u32_e32 v56, 32, v54
	v_subrev_u32_e32 v54, 28, v56
	v_lshlrev_b64 v[54:55], v54, v[30:31]
	v_lshrrev_b32_e32 v53, 3, v44
	v_sub_u32_e32 v55, 29, v56
	v_and_b32_e32 v54, 7, v54
	v_cmp_gt_u32_e32 vcc, 8, v44
	v_cndmask_b32_e32 v44, v53, v55, vcc
	v_cndmask_b32_e32 v34, v34, v54, vcc
	v_lshlrev_b32_e32 v30, 24, v30
	v_lshlrev_b32_e32 v34, 20, v34
	v_and_b32_e32 v30, 0x80000000, v30
	v_lshl_add_u32 v44, v44, 23, v40
	v_or3_b32 v30, v30, v44, v34
	v_lshrrev_b32_e32 v34, 16, v30
.LBB945_177:                            ;   in Loop: Header=BB945_17 Depth=1
	s_or_b64 exec, exec, s[12:13]
.LBB945_178:                            ;   in Loop: Header=BB945_17 Depth=1
	s_or_b64 exec, exec, s[10:11]
.LBB945_179:                            ;   in Loop: Header=BB945_17 Depth=1
	s_or_b64 exec, exec, s[4:5]
	v_cmp_lt_u32_e32 vcc, s17, v28
	s_and_saveexec_b64 s[4:5], vcc
	s_cbranch_execz .LBB945_185
; %bb.180:                              ;   in Loop: Header=BB945_17 Depth=1
	v_lshrrev_b32_e32 v30, 24, v28
	v_cmp_ne_u32_e32 vcc, s15, v30
	v_mov_b32_e32 v42, 0xffff8000
	s_and_saveexec_b64 s[10:11], vcc
	s_cbranch_execz .LBB945_184
; %bb.181:                              ;   in Loop: Header=BB945_17 Depth=1
	v_bfe_u32 v28, v28, 24, 7
	v_cmp_ne_u32_e32 vcc, s16, v28
	v_mov_b32_e32 v42, 0x7f80
	s_and_saveexec_b64 s[12:13], vcc
	s_cbranch_execz .LBB945_183
; %bb.182:                              ;   in Loop: Header=BB945_17 Depth=1
	v_and_b32_e32 v42, 7, v30
	v_ffbh_u32_e32 v53, v42
	v_min_u32_e32 v53, 32, v53
	v_subrev_u32_e32 v54, 28, v53
	v_lshlrev_b64 v[54:55], v54, v[30:31]
	v_lshrrev_b32_e32 v44, 3, v28
	v_sub_u32_e32 v53, 29, v53
	v_and_b32_e32 v54, 7, v54
	v_cmp_gt_u32_e32 vcc, 8, v28
	v_cndmask_b32_e32 v28, v44, v53, vcc
	v_cndmask_b32_e32 v42, v42, v54, vcc
	v_lshlrev_b32_e32 v30, 24, v30
	v_lshlrev_b32_e32 v42, 20, v42
	v_and_b32_e32 v30, 0x80000000, v30
	v_lshl_add_u32 v28, v28, 23, v40
	v_or3_b32 v28, v30, v28, v42
	v_lshrrev_b32_e32 v42, 16, v28
.LBB945_183:                            ;   in Loop: Header=BB945_17 Depth=1
	s_or_b64 exec, exec, s[12:13]
.LBB945_184:                            ;   in Loop: Header=BB945_17 Depth=1
	s_or_b64 exec, exec, s[10:11]
.LBB945_185:                            ;   in Loop: Header=BB945_17 Depth=1
	s_or_b64 exec, exec, s[4:5]
	s_waitcnt vmcnt(0)
	v_cmp_ne_u16_sdwa s[10:11], v26, v36 src0_sel:BYTE_0 src1_sel:DWORD
	v_mov_b32_e32 v30, 0
	v_mov_b32_e32 v44, 0
	s_and_saveexec_b64 s[4:5], s[10:11]
	s_cbranch_execz .LBB945_191
; %bb.186:                              ;   in Loop: Header=BB945_17 Depth=1
	v_cmp_ne_u16_sdwa s[12:13], v26, s15 src0_sel:BYTE_0 src1_sel:DWORD
	v_mov_b32_e32 v44, 0xffff8000
	s_and_saveexec_b64 s[10:11], s[12:13]
	s_cbranch_execz .LBB945_190
; %bb.187:                              ;   in Loop: Header=BB945_17 Depth=1
	v_and_b32_e32 v28, 0x7f, v26
	v_cmp_ne_u32_e32 vcc, s16, v28
	v_mov_b32_e32 v44, 0x7f80
	s_and_saveexec_b64 s[12:13], vcc
	s_cbranch_execz .LBB945_189
; %bb.188:                              ;   in Loop: Header=BB945_17 Depth=1
	v_and_b32_e32 v44, 7, v26
	v_ffbh_u32_e32 v54, v44
	v_min_u32_e32 v56, 32, v54
	v_subrev_u32_e32 v54, 28, v56
	v_lshlrev_b64 v[54:55], v54, v[26:27]
	v_lshrrev_b32_e32 v53, 3, v28
	v_sub_u32_e32 v55, 29, v56
	v_and_b32_e32 v54, 7, v54
	v_cmp_gt_u32_e32 vcc, 8, v28
	v_cndmask_b32_e32 v28, v53, v55, vcc
	v_cndmask_b32_e32 v44, v44, v54, vcc
	v_lshlrev_b32_e32 v53, 24, v26
	v_lshlrev_b32_e32 v44, 20, v44
	v_and_b32_e32 v53, 0x80000000, v53
	v_lshl_add_u32 v28, v28, 23, v40
	v_or3_b32 v28, v53, v28, v44
	v_lshrrev_b32_e32 v44, 16, v28
.LBB945_189:                            ;   in Loop: Header=BB945_17 Depth=1
	s_or_b64 exec, exec, s[12:13]
.LBB945_190:                            ;   in Loop: Header=BB945_17 Depth=1
	s_or_b64 exec, exec, s[10:11]
.LBB945_191:                            ;   in Loop: Header=BB945_17 Depth=1
	s_or_b64 exec, exec, s[4:5]
	v_lshrrev_b16_e32 v28, 8, v26
	v_cmp_ne_u16_e32 vcc, 0, v28
	s_and_saveexec_b64 s[4:5], vcc
	s_cbranch_execz .LBB945_197
; %bb.192:                              ;   in Loop: Header=BB945_17 Depth=1
	v_cmp_ne_u16_e32 vcc, s15, v28
	v_mov_b32_e32 v30, 0xffff8000
	s_and_saveexec_b64 s[10:11], vcc
	s_cbranch_execz .LBB945_196
; %bb.193:                              ;   in Loop: Header=BB945_17 Depth=1
	v_and_b32_e32 v53, 0x7f, v28
	v_cmp_ne_u32_e32 vcc, s16, v53
	v_mov_b32_e32 v30, 0x7f80
	s_and_saveexec_b64 s[12:13], vcc
	s_cbranch_execz .LBB945_195
; %bb.194:                              ;   in Loop: Header=BB945_17 Depth=1
	v_and_b32_e32 v30, 7, v28
	v_ffbh_u32_e32 v54, v30
	v_min_u32_e32 v57, 32, v54
	v_subrev_u32_e32 v54, 28, v57
	v_lshlrev_b64 v[54:55], v54, v[28:29]
	v_lshrrev_b32_e32 v56, 3, v53
	v_sub_u32_e32 v28, 29, v57
	v_and_b32_e32 v54, 7, v54
	v_cmp_gt_u32_e32 vcc, 8, v53
	v_cndmask_b32_e32 v28, v56, v28, vcc
	v_cndmask_b32_e32 v30, v30, v54, vcc
	v_lshlrev_b32_e32 v53, 16, v26
	v_lshlrev_b32_e32 v30, 20, v30
	v_and_b32_e32 v53, 0x80000000, v53
	v_lshl_add_u32 v28, v28, 23, v40
	v_or3_b32 v28, v53, v28, v30
	v_lshrrev_b32_e32 v30, 16, v28
.LBB945_195:                            ;   in Loop: Header=BB945_17 Depth=1
	s_or_b64 exec, exec, s[12:13]
.LBB945_196:                            ;   in Loop: Header=BB945_17 Depth=1
	s_or_b64 exec, exec, s[10:11]
.LBB945_197:                            ;   in Loop: Header=BB945_17 Depth=1
	s_or_b64 exec, exec, s[4:5]
	v_lshrrev_b32_e32 v28, 16, v26
	v_cmp_ne_u16_sdwa s[10:11], v28, v36 src0_sel:BYTE_0 src1_sel:DWORD
	v_mov_b32_e32 v54, 0
	v_mov_b32_e32 v53, 0
	s_and_saveexec_b64 s[4:5], s[10:11]
	s_cbranch_execz .LBB945_203
; %bb.198:                              ;   in Loop: Header=BB945_17 Depth=1
	v_cmp_ne_u16_sdwa s[12:13], v28, s15 src0_sel:BYTE_0 src1_sel:DWORD
	v_mov_b32_e32 v53, 0xffff8000
	s_and_saveexec_b64 s[10:11], s[12:13]
	s_cbranch_execz .LBB945_202
; %bb.199:                              ;   in Loop: Header=BB945_17 Depth=1
	v_bfe_u32 v55, v26, 16, 7
	v_cmp_ne_u32_e32 vcc, s16, v55
	v_mov_b32_e32 v53, 0x7f80
	s_and_saveexec_b64 s[12:13], vcc
	s_cbranch_execz .LBB945_201
; %bb.200:                              ;   in Loop: Header=BB945_17 Depth=1
	v_and_b32_e32 v53, 7, v28
	v_ffbh_u32_e32 v56, v53
	v_min_u32_e32 v59, 32, v56
	v_subrev_u32_e32 v56, 28, v59
	v_lshlrev_b64 v[56:57], v56, v[28:29]
	v_lshrrev_b32_e32 v58, 3, v55
	v_sub_u32_e32 v57, 29, v59
	v_and_b32_e32 v56, 7, v56
	v_cmp_gt_u32_e32 vcc, 8, v55
	v_cndmask_b32_e32 v55, v58, v57, vcc
	v_cndmask_b32_e32 v53, v53, v56, vcc
	v_lshlrev_b32_e32 v28, 24, v28
	v_lshlrev_b32_e32 v53, 20, v53
	v_and_b32_e32 v28, 0x80000000, v28
	v_lshl_add_u32 v55, v55, 23, v40
	v_or3_b32 v28, v28, v55, v53
	v_lshrrev_b32_e32 v53, 16, v28
.LBB945_201:                            ;   in Loop: Header=BB945_17 Depth=1
	s_or_b64 exec, exec, s[12:13]
.LBB945_202:                            ;   in Loop: Header=BB945_17 Depth=1
	s_or_b64 exec, exec, s[10:11]
.LBB945_203:                            ;   in Loop: Header=BB945_17 Depth=1
	s_or_b64 exec, exec, s[4:5]
	v_cmp_lt_u32_e32 vcc, s17, v26
	s_and_saveexec_b64 s[4:5], vcc
	s_cbranch_execz .LBB945_16
; %bb.204:                              ;   in Loop: Header=BB945_17 Depth=1
	v_lshrrev_b32_e32 v28, 24, v26
	v_cmp_ne_u32_e32 vcc, s15, v28
	v_mov_b32_e32 v54, 0xffff8000
	s_and_saveexec_b64 s[10:11], vcc
	s_cbranch_execz .LBB945_15
; %bb.205:                              ;   in Loop: Header=BB945_17 Depth=1
	v_bfe_u32 v26, v26, 24, 7
	v_cmp_ne_u32_e32 vcc, s16, v26
	v_mov_b32_e32 v54, 0x7f80
	s_and_saveexec_b64 s[12:13], vcc
	s_cbranch_execz .LBB945_14
; %bb.206:                              ;   in Loop: Header=BB945_17 Depth=1
	v_and_b32_e32 v56, 7, v28
	v_ffbh_u32_e32 v54, v56
	v_min_u32_e32 v58, 32, v54
	v_subrev_u32_e32 v54, 28, v58
	v_lshlrev_b64 v[54:55], v54, v[28:29]
	v_lshrrev_b32_e32 v57, 3, v26
	v_sub_u32_e32 v55, 29, v58
	v_and_b32_e32 v54, 7, v54
	v_cmp_gt_u32_e32 vcc, 8, v26
	v_cndmask_b32_e32 v26, v57, v55, vcc
	v_cndmask_b32_e32 v54, v56, v54, vcc
	v_lshlrev_b32_e32 v28, 24, v28
	v_lshlrev_b32_e32 v54, 20, v54
	v_and_b32_e32 v28, 0x80000000, v28
	v_lshl_add_u32 v26, v26, 23, v40
	v_or3_b32 v26, v28, v26, v54
	v_lshrrev_b32_e32 v54, 16, v26
	s_branch .LBB945_14
.LBB945_207:
	buffer_load_dword v17, off, s[0:3], 0 offset:256
	buffer_load_dword v16, off, s[0:3], 0 offset:260
	;; [unrolled: 1-line block ×16, first 2 shown]
	v_and_b32_e32 v18, 0xc0, v0
	v_add_u32_e32 v18, s22, v18
	v_lshl_or_b32 v18, v27, 2, v18
	v_or_b32_e32 v20, 1, v18
	v_subrev_u32_e32 v24, s33, v20
	v_add_u32_e32 v26, 1, v24
	v_cvt_f32_i32_e32 v25, v24
	v_add_u32_e32 v28, 2, v24
	v_add_u32_e32 v30, 3, v24
	v_add_u32_e32 v32, 16, v24
	v_add_u32_e32 v34, 17, v24
	v_add_u32_e32 v36, 18, v24
	v_add_u32_e32 v37, 19, v24
	v_add_u32_e32 v38, 32, v24
	v_add_u32_e32 v40, 33, v24
	v_add_u32_e32 v42, 34, v24
	v_add_u32_e32 v44, 35, v24
	v_add_u32_e32 v53, 48, v24
	v_add_u32_e32 v54, 49, v24
	v_add_u32_e32 v55, 50, v24
	v_add_u32_e32 v24, 51, v24
	v_cvt_f32_i32_e32 v26, v26
	v_cvt_f32_i32_e32 v28, v28
	;; [unrolled: 1-line block ×4, first 2 shown]
	v_mov_b32_e32 v19, 0xff7fffff
	v_or_b32_e32 v21, 2, v18
	v_or_b32_e32 v22, 3, v18
	v_cvt_f32_i32_e32 v32, v32
	v_cvt_f32_i32_e32 v34, v34
	v_cmp_gt_i32_e64 s[30:31], s33, v18
	v_cmp_gt_i32_e64 s[34:35], s33, v20
	s_mov_b32 s48, 0xff7fffff
	v_cmp_gt_i32_e64 s[36:37], s33, v21
	v_cmp_gt_i32_e64 s[38:39], s33, v22
	v_or_b32_e32 v23, 16, v18
	v_cvt_f32_i32_e32 v36, v36
	v_cvt_f32_i32_e32 v37, v37
	v_cmp_gt_i32_e64 s[26:27], s33, v23
	v_cvt_f32_i32_e32 v38, v38
	v_cvt_f32_i32_e32 v40, v40
	;; [unrolled: 1-line block ×7, first 2 shown]
	s_waitcnt vmcnt(15)
	v_fmac_f32_e32 v17, v33, v25
	s_waitcnt vmcnt(14)
	v_fmac_f32_e32 v16, v33, v26
	;; [unrolled: 2-line block ×4, first 2 shown]
	v_cndmask_b32_e64 v20, v19, v16, s[34:35]
	v_cndmask_b32_e64 v21, v19, v15, s[36:37]
	;; [unrolled: 1-line block ×3, first 2 shown]
	s_waitcnt vmcnt(11)
	v_fmac_f32_e32 v13, v33, v32
	s_waitcnt vmcnt(10)
	v_fmac_f32_e32 v12, v33, v34
	;; [unrolled: 2-line block ×9, first 2 shown]
	v_cndmask_b32_e64 v24, v19, v17, s[30:31]
	v_max3_f32 v20, v24, s48, v20
	v_max3_f32 v20, v20, v21, v22
	v_or_b32_e32 v22, 17, v18
	v_cmp_gt_i32_e64 s[40:41], s33, v22
	v_cndmask_b32_e64 v21, v19, v13, s[26:27]
	v_cndmask_b32_e64 v22, v19, v12, s[40:41]
	v_max3_f32 v20, v20, v21, v22
	v_or_b32_e32 v21, 18, v18
	v_or_b32_e32 v22, 19, v18
	v_cmp_gt_i32_e64 s[22:23], s33, v21
	v_cmp_gt_i32_e64 s[24:25], s33, v22
	v_cndmask_b32_e64 v21, v19, v11, s[22:23]
	v_cndmask_b32_e64 v22, v19, v10, s[24:25]
	v_max3_f32 v20, v20, v21, v22
	v_or_b32_e32 v21, 32, v18
	v_or_b32_e32 v22, 33, v18
	v_cmp_gt_i32_e64 s[18:19], s33, v21
	;; [unrolled: 7-line block ×3, first 2 shown]
	v_cmp_gt_i32_e64 s[16:17], s33, v22
	v_cndmask_b32_e64 v21, v19, v7, s[14:15]
	v_cndmask_b32_e64 v22, v19, v6, s[16:17]
	v_max3_f32 v20, v20, v21, v22
	v_or_b32_e32 v21, 48, v18
	v_or_b32_e32 v22, 49, v18
	v_fmac_f32_e32 v5, v33, v53
	v_fmac_f32_e32 v4, v33, v54
	v_cmp_gt_i32_e64 s[10:11], s33, v21
	v_cmp_gt_i32_e64 s[12:13], s33, v22
	v_cndmask_b32_e64 v21, v19, v5, s[10:11]
	v_cndmask_b32_e64 v22, v19, v4, s[12:13]
	v_max3_f32 v20, v20, v21, v22
	v_or_b32_e32 v21, 50, v18
	v_or_b32_e32 v18, 51, v18
	v_fmac_f32_e32 v3, v33, v55
	v_cmp_gt_i32_e32 vcc, s33, v21
	v_cmp_gt_i32_e64 s[4:5], s33, v18
	v_cndmask_b32_e32 v21, v19, v3, vcc
	v_cndmask_b32_e64 v18, v19, v2, s[4:5]
	v_mbcnt_lo_u32_b32 v19, -1, 0
	v_mbcnt_hi_u32_b32 v19, -1, v19
	v_max3_f32 v18, v20, v21, v18
	v_and_b32_e32 v20, 64, v19
	v_add_u32_e32 v20, 64, v20
	v_xor_b32_e32 v21, 32, v19
	v_cmp_lt_i32_e64 s[42:43], v21, v20
	v_cndmask_b32_e64 v21, v19, v21, s[42:43]
	v_lshlrev_b32_e32 v21, 2, v21
	ds_bpermute_b32 v22, v21, v18
	s_waitcnt lgkmcnt(0)
	v_max_f32_e32 v22, v22, v22
	v_max_f32_e32 v18, v18, v22
	v_xor_b32_e32 v22, 16, v19
	v_cmp_lt_i32_e64 s[42:43], v22, v20
	v_cndmask_b32_e64 v19, v19, v22, s[42:43]
	v_lshlrev_b32_e32 v19, 2, v19
	ds_bpermute_b32 v20, v19, v18
	s_waitcnt lgkmcnt(0)
	v_max_f32_e32 v20, v20, v20
	v_max_f32_e32 v18, v18, v20
	v_sub_f32_e32 v17, v17, v18
	v_mul_f32_e32 v17, 0x3fb8aa3b, v17
	v_sub_f32_e32 v16, v16, v18
	v_exp_f32_e32 v17, v17
	v_mul_f32_e32 v16, 0x3fb8aa3b, v16
	v_sub_f32_e32 v15, v15, v18
	v_exp_f32_e32 v16, v16
	v_mul_f32_e32 v15, 0x3fb8aa3b, v15
	v_sub_f32_e32 v14, v14, v18
	v_exp_f32_e32 v15, v15
	v_mul_f32_e32 v14, 0x3fb8aa3b, v14
	v_sub_f32_e32 v13, v13, v18
	v_exp_f32_e32 v14, v14
	v_mul_f32_e32 v13, 0x3fb8aa3b, v13
	v_sub_f32_e32 v12, v12, v18
	v_cndmask_b32_e64 v17, 0, v17, s[30:31]
	v_exp_f32_e32 v13, v13
	v_mul_f32_e32 v12, 0x3fb8aa3b, v12
	v_sub_f32_e32 v11, v11, v18
	v_add_f32_e32 v20, 0, v17
	v_cndmask_b32_e64 v16, 0, v16, s[34:35]
	v_exp_f32_e32 v12, v12
	v_mul_f32_e32 v11, 0x3fb8aa3b, v11
	v_sub_f32_e32 v10, v10, v18
	v_add_f32_e32 v20, v20, v16
	;; [unrolled: 5-line block ×4, first 2 shown]
	v_cndmask_b32_e64 v13, 0, v13, s[26:27]
	v_exp_f32_e32 v9, v9
	v_mul_f32_e32 v8, 0x3fb8aa3b, v8
	v_sub_f32_e32 v7, v7, v18
	buffer_store_dword v17, off, s[0:3], 0 offset:256
	buffer_store_dword v16, off, s[0:3], 0 offset:260
	buffer_store_dword v15, off, s[0:3], 0 offset:264
	buffer_store_dword v14, off, s[0:3], 0 offset:268
	v_add_f32_e32 v14, v20, v13
	v_cndmask_b32_e64 v12, 0, v12, s[40:41]
	v_exp_f32_e32 v8, v8
	v_mul_f32_e32 v7, 0x3fb8aa3b, v7
	v_sub_f32_e32 v6, v6, v18
	v_add_f32_e32 v14, v14, v12
	v_cndmask_b32_e64 v11, 0, v11, s[22:23]
	v_exp_f32_e32 v7, v7
	v_mul_f32_e32 v6, 0x3fb8aa3b, v6
	v_sub_f32_e32 v5, v5, v18
	;; [unrolled: 5-line block ×4, first 2 shown]
	buffer_store_dword v13, off, s[0:3], 0 offset:272
	buffer_store_dword v12, off, s[0:3], 0 offset:276
	buffer_store_dword v11, off, s[0:3], 0 offset:280
	buffer_store_dword v10, off, s[0:3], 0 offset:284
	v_add_f32_e32 v10, v14, v9
	v_cndmask_b32_e64 v8, 0, v8, s[20:21]
	v_exp_f32_e32 v4, v4
	v_mul_f32_e32 v3, 0x3fb8aa3b, v3
	v_sub_f32_e32 v2, v2, v18
	v_add_f32_e32 v10, v10, v8
	v_cndmask_b32_e64 v7, 0, v7, s[14:15]
	v_exp_f32_e32 v3, v3
	v_mul_f32_e32 v2, 0x3fb8aa3b, v2
	v_add_f32_e32 v10, v10, v7
	v_cndmask_b32_e64 v6, 0, v6, s[16:17]
	v_exp_f32_e32 v2, v2
	v_add_f32_e32 v10, v10, v6
	v_cndmask_b32_e64 v5, 0, v5, s[10:11]
	buffer_store_dword v9, off, s[0:3], 0 offset:288
	buffer_store_dword v8, off, s[0:3], 0 offset:292
	;; [unrolled: 1-line block ×4, first 2 shown]
	v_add_f32_e32 v6, v10, v5
	v_cndmask_b32_e64 v4, 0, v4, s[12:13]
	v_add_f32_e32 v6, v6, v4
	v_cndmask_b32_e32 v3, 0, v3, vcc
	v_add_f32_e32 v6, v6, v3
	v_cndmask_b32_e64 v2, 0, v2, s[4:5]
	v_add_f32_e32 v6, v6, v2
	ds_bpermute_b32 v7, v21, v6
	buffer_store_dword v5, off, s[0:3], 0 offset:304
	buffer_store_dword v4, off, s[0:3], 0 offset:308
	;; [unrolled: 1-line block ×4, first 2 shown]
	v_cmp_gt_u32_e32 vcc, 16, v35
	s_waitcnt lgkmcnt(0)
	s_barrier
	v_add_f32_e32 v2, v6, v7
	ds_bpermute_b32 v3, v19, v2
	s_waitcnt lgkmcnt(0)
	s_and_saveexec_b64 s[4:5], vcc
	s_cbranch_execz .LBB945_209
; %bb.208:
	v_add_f32_e32 v2, v2, v3
	v_lshlrev_b32_e32 v3, 2, v31
	ds_write2st64_b32 v3, v18, v2 offset1:1
.LBB945_209:
	s_or_b64 exec, exec, s[4:5]
	v_lshlrev_b32_e32 v2, 2, v41
	s_waitcnt lgkmcnt(0)
	s_barrier
	ds_read2_b32 v[14:15], v2 offset1:16
	ds_read2_b32 v[16:17], v2 offset0:32 offset1:48
	ds_read2_b32 v[6:7], v2 offset0:64 offset1:80
	;; [unrolled: 1-line block ×3, first 2 shown]
	s_waitcnt lgkmcnt(0)
	s_barrier
	buffer_load_dword v22, off, s[0:3], 0 offset:264
	buffer_load_dword v23, off, s[0:3], 0 offset:268
	;; [unrolled: 1-line block ×16, first 2 shown]
	v_max3_f32 v20, v14, s48, v15
	v_max3_f32 v20, v20, v16, v17
	v_sub_f32_e32 v14, v14, v20
	v_sub_f32_e32 v15, v15, v20
	v_mul_f32_e32 v14, 0x3fb8aa3b, v14
	v_sub_f32_e32 v16, v16, v20
	v_mul_f32_e32 v15, 0x3fb8aa3b, v15
	v_exp_f32_e32 v14, v14
	v_sub_f32_e32 v17, v17, v20
	v_mul_f32_e32 v16, 0x3fb8aa3b, v16
	v_exp_f32_e32 v15, v15
	v_mul_f32_e32 v17, 0x3fb8aa3b, v17
	v_exp_f32_e32 v16, v16
	v_exp_f32_e32 v17, v17
	v_fma_f32 v6, v14, v6, 0
	v_fmac_f32_e32 v6, v15, v7
	v_fmac_f32_e32 v6, v16, v12
	;; [unrolled: 1-line block ×3, first 2 shown]
	v_cmp_eq_u32_e32 vcc, 1, v29
	v_add_f32_e32 v12, 0x358637bd, v6
	v_cndmask_b32_e32 v14, v14, v15, vcc
	v_cmp_eq_u32_e32 vcc, 2, v29
	v_div_scale_f32 v13, s[4:5], v12, v12, 1.0
	v_cndmask_b32_e32 v7, v14, v16, vcc
	v_rcp_f32_e32 v14, v13
	v_cmp_eq_u32_e32 vcc, 3, v29
	v_cndmask_b32_e32 v7, v7, v17, vcc
	v_div_scale_f32 v15, vcc, 1.0, v12, 1.0
	v_fma_f32 v16, -v13, v14, 1.0
	v_fmac_f32_e32 v14, v16, v14
	v_mul_f32_e32 v16, v15, v14
	v_fma_f32 v17, -v13, v16, v15
	v_fmac_f32_e32 v16, v17, v14
	v_fma_f32 v13, -v13, v16, v15
	v_div_fmas_f32 v13, v13, v14, v16
	v_div_fixup_f32 v12, v13, v12, 1.0
	v_mul_f32_e32 v12, v7, v12
	s_movk_i32 s21, 0x7fff
	s_mov_b32 s22, 0x7060302
	s_lshl_b32 s20, s53, 2
	v_cmp_gt_u32_e32 vcc, 4, v0
	s_waitcnt vmcnt(14)
	v_pk_mul_f32 v[14:15], v[12:13], v[22:23] op_sel_hi:[0,1]
	v_bfe_u32 v21, v15, 16, 1
	s_waitcnt vmcnt(12)
	v_pk_mul_f32 v[16:17], v[12:13], v[24:25] op_sel_hi:[0,1]
	v_bfe_u32 v7, v17, 16, 1
	v_bfe_u32 v13, v16, 16, 1
	;; [unrolled: 1-line block ×3, first 2 shown]
	v_add3_u32 v13, v16, v13, s21
	v_add3_u32 v7, v17, v7, s21
	buffer_store_dword v16, off, s[0:3], 0 offset:256
	buffer_store_dword v17, off, s[0:3], 0 offset:260
	;; [unrolled: 1-line block ×4, first 2 shown]
	v_add3_u32 v16, v14, v22, s21
	v_add3_u32 v15, v15, v21, s21
	v_perm_b32 v14, v7, v13, s22
	v_lshlrev_b32_e32 v13, 3, v27
	v_perm_b32 v15, v15, v16, s22
	v_lshlrev_b32_e32 v7, 5, v41
	v_lshlrev_b32_e32 v16, 11, v29
	s_waitcnt vmcnt(12)
	v_pk_mul_f32 v[8:9], v[12:13], v[8:9] op_sel_hi:[0,1]
	v_or3_b32 v53, v16, v7, v13
	v_pk_mul_f32 v[10:11], v[12:13], v[10:11] op_sel_hi:[0,1]
	v_bfe_u32 v13, v9, 16, 1
	v_bfe_u32 v16, v8, 16, 1
	buffer_store_dword v8, off, s[0:3], 0 offset:272
	buffer_store_dword v9, off, s[0:3], 0 offset:276
	;; [unrolled: 1-line block ×4, first 2 shown]
	v_add3_u32 v8, v8, v16, s21
	v_add3_u32 v9, v9, v13, s21
	v_perm_b32 v8, v9, v8, s22
	v_bfe_u32 v9, v11, 16, 1
	v_bfe_u32 v13, v10, 16, 1
	v_add3_u32 v10, v10, v13, s21
	v_add3_u32 v9, v11, v9, s21
	v_perm_b32 v9, v9, v10, s22
	s_waitcnt vmcnt(14)
	v_pk_mul_f32 v[10:11], v[12:13], v[18:19] op_sel_hi:[0,1]
	ds_write2st64_b64 v53, v[14:15], v[8:9] offset1:1
	s_waitcnt vmcnt(12)
	v_pk_mul_f32 v[8:9], v[12:13], v[30:31] op_sel_hi:[0,1]
	v_bfe_u32 v13, v11, 16, 1
	v_bfe_u32 v14, v10, 16, 1
	buffer_store_dword v10, off, s[0:3], 0 offset:288
	buffer_store_dword v11, off, s[0:3], 0 offset:292
	buffer_store_dword v8, off, s[0:3], 0 offset:296
	buffer_store_dword v9, off, s[0:3], 0 offset:300
	v_add3_u32 v10, v10, v14, s21
	v_add3_u32 v11, v11, v13, s21
	v_perm_b32 v10, v11, v10, s22
	v_bfe_u32 v11, v9, 16, 1
	v_bfe_u32 v13, v8, 16, 1
	v_add3_u32 v8, v8, v13, s21
	v_add3_u32 v9, v9, v11, s21
	s_waitcnt vmcnt(14)
	v_pk_mul_f32 v[2:3], v[12:13], v[2:3] op_sel_hi:[0,1]
	v_perm_b32 v11, v9, v8, s22
	v_bfe_u32 v8, v3, 16, 1
	v_bfe_u32 v9, v2, 16, 1
	s_waitcnt vmcnt(12)
	v_pk_mul_f32 v[4:5], v[12:13], v[4:5] op_sel_hi:[0,1]
	buffer_store_dword v2, off, s[0:3], 0 offset:304
	buffer_store_dword v3, off, s[0:3], 0 offset:308
	;; [unrolled: 1-line block ×4, first 2 shown]
	v_add3_u32 v2, v2, v9, s21
	v_add3_u32 v3, v3, v8, s21
	v_perm_b32 v2, v3, v2, s22
	v_bfe_u32 v3, v5, 16, 1
	v_bfe_u32 v8, v4, 16, 1
	v_add3_u32 v4, v4, v8, s21
	v_add3_u32 v3, v5, v3, s21
	v_perm_b32 v3, v3, v4, s22
	ds_write2st64_b64 v53, v[10:11], v[2:3] offset0:2 offset1:3
	s_and_saveexec_b64 s[4:5], vcc
	s_cbranch_execz .LBB945_211
; %bb.210:
	v_or_b32_e32 v2, s29, v0
	v_mov_b32_e32 v3, 0
	v_mov_b32_e32 v4, s20
	v_mad_u64_u32 v[4:5], s[10:11], s8, v4, v[2:3]
	v_mov_b32_e32 v2, s28
	s_mul_i32 s9, s9, s20
	v_mad_u64_u32 v[2:3], s[10:11], v4, s52, v[2:3]
	v_add_u32_e32 v5, s9, v5
	v_mov_b32_e32 v4, v3
	v_mad_u64_u32 v[4:5], s[10:11], v5, s52, v[4:5]
	v_mov_b32_e32 v3, v4
	v_lshlrev_b64 v[2:3], 2, v[2:3]
	v_mov_b32_e32 v5, s47
	v_add_co_u32_e32 v4, vcc, s46, v2
	v_addc_co_u32_e32 v5, vcc, v5, v3, vcc
	global_store_dword v[4:5], v20, off
	v_mov_b32_e32 v4, s45
	v_add_co_u32_e32 v2, vcc, s44, v2
	v_addc_co_u32_e32 v3, vcc, v4, v3, vcc
	global_store_dword v[2:3], v6, off
.LBB945_211:
	s_or_b64 exec, exec, s[4:5]
	v_lshl_or_b32 v30, v27, 9, v7
	s_waitcnt lgkmcnt(0)
	s_barrier
	s_load_dword s4, s[50:51], 0x0
	ds_read_b128 v[2:5], v30
	ds_read_b128 v[6:9], v30 offset:16
	ds_read_b128 v[10:13], v30 offset:2048
	;; [unrolled: 1-line block ×7, first 2 shown]
	v_mov_b32_e32 v35, 0x80
	v_mov_b32_e32 v54, 0x140
	s_mov_b64 s[12:13], -1
	s_waitcnt lgkmcnt(0)
	s_mov_b32 s5, s4
	s_mov_b32 s10, s4
	;; [unrolled: 1-line block ×3, first 2 shown]
	s_movk_i32 s9, 0x80
	s_movk_i32 s23, 0x7f
	s_mov_b32 s24, 0xffffff
	s_mov_b32 s25, 0x5040100
	v_mov_b32_e32 v55, 0
	v_bfrev_b32_e32 v56, 60
	s_branch .LBB945_215
.LBB945_212:                            ;   in Loop: Header=BB945_215 Depth=1
	s_or_b64 exec, exec, s[18:19]
.LBB945_213:                            ;   in Loop: Header=BB945_215 Depth=1
	s_or_b64 exec, exec, s[16:17]
.LBB945_214:                            ;   in Loop: Header=BB945_215 Depth=1
	s_or_b64 exec, exec, s[14:15]
	v_perm_b32 v61, v57, v51, s25
	v_perm_b32 v60, v44, v46, s25
	s_xor_b64 s[14:15], s[12:13], -1
	s_mov_b64 s[12:13], 0
	v_mov_b32_e32 v46, v48
	v_mfma_f32_16x16x16bf16_1k v[60:63], v[60:61], v[30:31], v[34:37]
	s_and_b64 vcc, exec, s[14:15]
	v_mov_b32_e32 v51, v50
	s_nop 4
	v_perm_b32 v37, v59, v58, s25
	v_perm_b32 v36, v42, v52, s25
	v_mov_b32_e32 v35, v47
	v_mov_b32_e32 v52, v49
	v_mfma_f32_16x16x16bf16_1k v[58:61], v[36:37], v[32:33], v[60:63]
	s_nop 7
	s_nop 2
	v_pk_mul_f32 v[58:59], v[58:59], s[4:5]
	v_pk_mul_f32 v[36:37], v[60:61], s[10:11]
	v_bfe_u32 v34, v59, 16, 1
	v_bfe_u32 v38, v58, 16, 1
	;; [unrolled: 1-line block ×4, first 2 shown]
	v_add3_u32 v38, v58, v38, s21
	v_add3_u32 v34, v59, v34, s21
	;; [unrolled: 1-line block ×4, first 2 shown]
	v_perm_b32 v34, v34, v38, s22
	v_perm_b32 v36, v37, v36, s22
	buffer_store_dword v34, v54, s[0:3], 0 offen
	buffer_store_dword v36, v54, s[0:3], 0 offen offset:4
	v_mov_b32_e32 v54, 0x148
	s_cbranch_vccnz .LBB945_597
.LBB945_215:                            ; =>This Inner Loop Header: Depth=1
	buffer_load_dword v36, v35, s[0:3], 0 offen
	buffer_load_dword v34, v35, s[0:3], 0 offen offset:4
	buffer_load_dword v40, v35, s[0:3], 0 offen offset:8
	;; [unrolled: 1-line block ×3, first 2 shown]
	v_mov_b32_e32 v35, 0
	s_waitcnt vmcnt(3)
	v_cmp_ne_u16_sdwa s[16:17], v36, v55 src0_sel:BYTE_0 src1_sel:DWORD
	s_and_saveexec_b64 s[14:15], s[16:17]
	s_cbranch_execz .LBB945_221
; %bb.216:                              ;   in Loop: Header=BB945_215 Depth=1
	v_cmp_ne_u16_sdwa s[18:19], v36, s9 src0_sel:BYTE_0 src1_sel:DWORD
	v_mov_b32_e32 v35, 0xffff8000
	s_and_saveexec_b64 s[16:17], s[18:19]
	s_cbranch_execz .LBB945_220
; %bb.217:                              ;   in Loop: Header=BB945_215 Depth=1
	v_and_b32_e32 v37, 0x7f, v36
	v_cmp_ne_u32_e32 vcc, s23, v37
	v_mov_b32_e32 v35, 0x7f80
	s_and_saveexec_b64 s[18:19], vcc
	s_cbranch_execz .LBB945_219
; %bb.218:                              ;   in Loop: Header=BB945_215 Depth=1
	v_and_b32_e32 v35, 7, v36
	v_ffbh_u32_e32 v44, v35
	v_min_u32_e32 v44, 32, v44
	v_subrev_u32_e32 v57, 28, v44
	v_lshlrev_b64 v[58:59], v57, v[36:37]
	v_lshrrev_b32_e32 v42, 3, v37
	v_sub_u32_e32 v44, 29, v44
	v_and_b32_e32 v57, 7, v58
	v_cmp_gt_u32_e32 vcc, 8, v37
	v_cndmask_b32_e32 v37, v42, v44, vcc
	v_cndmask_b32_e32 v35, v35, v57, vcc
	v_lshlrev_b32_e32 v42, 24, v36
	v_lshlrev_b32_e32 v35, 20, v35
	v_and_b32_e32 v42, 0x80000000, v42
	v_lshl_add_u32 v37, v37, 23, v56
	v_or3_b32 v35, v42, v37, v35
	v_lshrrev_b32_e32 v35, 16, v35
.LBB945_219:                            ;   in Loop: Header=BB945_215 Depth=1
	s_or_b64 exec, exec, s[18:19]
.LBB945_220:                            ;   in Loop: Header=BB945_215 Depth=1
	s_or_b64 exec, exec, s[16:17]
.LBB945_221:                            ;   in Loop: Header=BB945_215 Depth=1
	s_or_b64 exec, exec, s[14:15]
	v_lshrrev_b16_e32 v42, 8, v36
	v_cmp_ne_u16_e32 vcc, 0, v42
	v_mov_b32_e32 v57, 0
	v_mov_b32_e32 v37, 0
	s_and_saveexec_b64 s[14:15], vcc
	s_cbranch_execz .LBB945_227
; %bb.222:                              ;   in Loop: Header=BB945_215 Depth=1
	v_cmp_ne_u16_e32 vcc, s9, v42
	v_mov_b32_e32 v37, 0xffff8000
	s_and_saveexec_b64 s[16:17], vcc
	s_cbranch_execz .LBB945_226
; %bb.223:                              ;   in Loop: Header=BB945_215 Depth=1
	v_and_b32_e32 v44, 0x7f, v42
	v_cmp_ne_u32_e32 vcc, s23, v44
	v_mov_b32_e32 v37, 0x7f80
	s_and_saveexec_b64 s[18:19], vcc
	s_cbranch_execz .LBB945_225
; %bb.224:                              ;   in Loop: Header=BB945_215 Depth=1
	v_and_b32_e32 v37, 7, v42
	v_ffbh_u32_e32 v58, v37
	v_min_u32_e32 v61, 32, v58
	v_subrev_u32_e32 v58, 28, v61
	v_lshlrev_b64 v[58:59], v58, v[42:43]
	v_lshrrev_b32_e32 v60, 3, v44
	v_sub_u32_e32 v42, 29, v61
	v_and_b32_e32 v58, 7, v58
	v_cmp_gt_u32_e32 vcc, 8, v44
	v_cndmask_b32_e32 v42, v60, v42, vcc
	v_cndmask_b32_e32 v37, v37, v58, vcc
	v_lshlrev_b32_e32 v44, 16, v36
	v_lshlrev_b32_e32 v37, 20, v37
	v_and_b32_e32 v44, 0x80000000, v44
	v_lshl_add_u32 v42, v42, 23, v56
	v_or3_b32 v37, v44, v42, v37
	v_lshrrev_b32_e32 v37, 16, v37
.LBB945_225:                            ;   in Loop: Header=BB945_215 Depth=1
	s_or_b64 exec, exec, s[18:19]
.LBB945_226:                            ;   in Loop: Header=BB945_215 Depth=1
	s_or_b64 exec, exec, s[16:17]
.LBB945_227:                            ;   in Loop: Header=BB945_215 Depth=1
	s_or_b64 exec, exec, s[14:15]
	v_lshrrev_b32_e32 v42, 16, v36
	v_cmp_ne_u16_sdwa s[16:17], v42, v55 src0_sel:BYTE_0 src1_sel:DWORD
	s_and_saveexec_b64 s[14:15], s[16:17]
	s_cbranch_execz .LBB945_233
; %bb.228:                              ;   in Loop: Header=BB945_215 Depth=1
	v_cmp_ne_u16_sdwa s[18:19], v42, s9 src0_sel:BYTE_0 src1_sel:DWORD
	v_mov_b32_e32 v57, 0xffff8000
	s_and_saveexec_b64 s[16:17], s[18:19]
	s_cbranch_execz .LBB945_232
; %bb.229:                              ;   in Loop: Header=BB945_215 Depth=1
	v_bfe_u32 v44, v36, 16, 7
	v_cmp_ne_u32_e32 vcc, s23, v44
	v_mov_b32_e32 v57, 0x7f80
	s_and_saveexec_b64 s[18:19], vcc
	s_cbranch_execz .LBB945_231
; %bb.230:                              ;   in Loop: Header=BB945_215 Depth=1
	v_and_b32_e32 v57, 7, v42
	v_ffbh_u32_e32 v58, v57
	v_min_u32_e32 v61, 32, v58
	v_subrev_u32_e32 v58, 28, v61
	v_lshlrev_b64 v[58:59], v58, v[42:43]
	v_lshrrev_b32_e32 v60, 3, v44
	v_sub_u32_e32 v59, 29, v61
	v_and_b32_e32 v58, 7, v58
	v_cmp_gt_u32_e32 vcc, 8, v44
	v_cndmask_b32_e32 v44, v60, v59, vcc
	v_cndmask_b32_e32 v57, v57, v58, vcc
	v_lshlrev_b32_e32 v42, 24, v42
	v_lshlrev_b32_e32 v57, 20, v57
	v_and_b32_e32 v42, 0x80000000, v42
	v_lshl_add_u32 v44, v44, 23, v56
	v_or3_b32 v42, v42, v44, v57
	v_lshrrev_b32_e32 v57, 16, v42
.LBB945_231:                            ;   in Loop: Header=BB945_215 Depth=1
	s_or_b64 exec, exec, s[18:19]
.LBB945_232:                            ;   in Loop: Header=BB945_215 Depth=1
	s_or_b64 exec, exec, s[16:17]
.LBB945_233:                            ;   in Loop: Header=BB945_215 Depth=1
	s_or_b64 exec, exec, s[14:15]
	v_cmp_lt_u32_e32 vcc, s24, v36
	v_mov_b32_e32 v58, 0
	v_mov_b32_e32 v59, 0
	s_and_saveexec_b64 s[14:15], vcc
	s_cbranch_execz .LBB945_239
; %bb.234:                              ;   in Loop: Header=BB945_215 Depth=1
	v_lshrrev_b32_e32 v42, 24, v36
	v_cmp_ne_u32_e32 vcc, s9, v42
	v_mov_b32_e32 v59, 0xffff8000
	s_and_saveexec_b64 s[16:17], vcc
	s_cbranch_execz .LBB945_238
; %bb.235:                              ;   in Loop: Header=BB945_215 Depth=1
	v_bfe_u32 v36, v36, 24, 7
	v_cmp_ne_u32_e32 vcc, s23, v36
	v_mov_b32_e32 v59, 0x7f80
	s_and_saveexec_b64 s[18:19], vcc
	s_cbranch_execz .LBB945_237
; %bb.236:                              ;   in Loop: Header=BB945_215 Depth=1
	v_and_b32_e32 v44, 7, v42
	v_ffbh_u32_e32 v60, v44
	v_min_u32_e32 v62, 32, v60
	v_subrev_u32_e32 v60, 28, v62
	v_lshlrev_b64 v[60:61], v60, v[42:43]
	v_lshrrev_b32_e32 v59, 3, v36
	v_sub_u32_e32 v61, 29, v62
	v_and_b32_e32 v60, 7, v60
	v_cmp_gt_u32_e32 vcc, 8, v36
	v_cndmask_b32_e32 v36, v59, v61, vcc
	v_cndmask_b32_e32 v44, v44, v60, vcc
	v_lshlrev_b32_e32 v42, 24, v42
	v_lshlrev_b32_e32 v44, 20, v44
	v_and_b32_e32 v42, 0x80000000, v42
	v_lshl_add_u32 v36, v36, 23, v56
	v_or3_b32 v36, v42, v36, v44
	v_lshrrev_b32_e32 v59, 16, v36
.LBB945_237:                            ;   in Loop: Header=BB945_215 Depth=1
	s_or_b64 exec, exec, s[18:19]
.LBB945_238:                            ;   in Loop: Header=BB945_215 Depth=1
	s_or_b64 exec, exec, s[16:17]
.LBB945_239:                            ;   in Loop: Header=BB945_215 Depth=1
	s_or_b64 exec, exec, s[14:15]
	s_waitcnt vmcnt(2)
	v_cmp_ne_u16_sdwa s[16:17], v34, v55 src0_sel:BYTE_0 src1_sel:DWORD
	s_and_saveexec_b64 s[14:15], s[16:17]
	s_cbranch_execz .LBB945_245
; %bb.240:                              ;   in Loop: Header=BB945_215 Depth=1
	v_cmp_ne_u16_sdwa s[18:19], v34, s9 src0_sel:BYTE_0 src1_sel:DWORD
	v_mov_b32_e32 v58, 0xffff8000
	s_and_saveexec_b64 s[16:17], s[18:19]
	s_cbranch_execz .LBB945_244
; %bb.241:                              ;   in Loop: Header=BB945_215 Depth=1
	v_and_b32_e32 v36, 0x7f, v34
	v_cmp_ne_u32_e32 vcc, s23, v36
	v_mov_b32_e32 v58, 0x7f80
	s_and_saveexec_b64 s[18:19], vcc
	s_cbranch_execz .LBB945_243
; %bb.242:                              ;   in Loop: Header=BB945_215 Depth=1
	v_and_b32_e32 v42, 7, v34
	v_ffbh_u32_e32 v58, v42
	v_min_u32_e32 v58, 32, v58
	v_subrev_u32_e32 v60, 28, v58
	v_lshlrev_b64 v[60:61], v60, v[34:35]
	v_lshrrev_b32_e32 v44, 3, v36
	v_sub_u32_e32 v58, 29, v58
	v_and_b32_e32 v60, 7, v60
	v_cmp_gt_u32_e32 vcc, 8, v36
	v_cndmask_b32_e32 v36, v44, v58, vcc
	v_cndmask_b32_e32 v42, v42, v60, vcc
	v_lshlrev_b32_e32 v44, 24, v34
	v_lshlrev_b32_e32 v42, 20, v42
	v_and_b32_e32 v44, 0x80000000, v44
	v_lshl_add_u32 v36, v36, 23, v56
	v_or3_b32 v36, v44, v36, v42
	v_lshrrev_b32_e32 v58, 16, v36
.LBB945_243:                            ;   in Loop: Header=BB945_215 Depth=1
	s_or_b64 exec, exec, s[18:19]
.LBB945_244:                            ;   in Loop: Header=BB945_215 Depth=1
	s_or_b64 exec, exec, s[16:17]
.LBB945_245:                            ;   in Loop: Header=BB945_215 Depth=1
	s_or_b64 exec, exec, s[14:15]
	v_lshrrev_b16_e32 v36, 8, v34
	v_cmp_ne_u16_e32 vcc, 0, v36
	v_mov_b32_e32 v60, 0
	v_mov_b32_e32 v42, 0
	s_and_saveexec_b64 s[14:15], vcc
	s_cbranch_execz .LBB945_251
; %bb.246:                              ;   in Loop: Header=BB945_215 Depth=1
	v_cmp_ne_u16_e32 vcc, s9, v36
	v_mov_b32_e32 v42, 0xffff8000
	s_and_saveexec_b64 s[16:17], vcc
	s_cbranch_execz .LBB945_250
; %bb.247:                              ;   in Loop: Header=BB945_215 Depth=1
	v_and_b32_e32 v44, 0x7f, v36
	v_cmp_ne_u32_e32 vcc, s23, v44
	v_mov_b32_e32 v42, 0x7f80
	s_and_saveexec_b64 s[18:19], vcc
	s_cbranch_execz .LBB945_249
; %bb.248:                              ;   in Loop: Header=BB945_215 Depth=1
	v_and_b32_e32 v42, 7, v36
	v_ffbh_u32_e32 v62, v42
	v_min_u32_e32 v64, 32, v62
	v_subrev_u32_e32 v62, 28, v64
	v_lshlrev_b64 v[62:63], v62, v[36:37]
	v_lshrrev_b32_e32 v61, 3, v44
	v_sub_u32_e32 v36, 29, v64
	v_and_b32_e32 v62, 7, v62
	v_cmp_gt_u32_e32 vcc, 8, v44
	v_cndmask_b32_e32 v36, v61, v36, vcc
	v_cndmask_b32_e32 v42, v42, v62, vcc
	v_lshlrev_b32_e32 v44, 16, v34
	v_lshlrev_b32_e32 v42, 20, v42
	v_and_b32_e32 v44, 0x80000000, v44
	v_lshl_add_u32 v36, v36, 23, v56
	v_or3_b32 v36, v44, v36, v42
	v_lshrrev_b32_e32 v42, 16, v36
.LBB945_249:                            ;   in Loop: Header=BB945_215 Depth=1
	s_or_b64 exec, exec, s[18:19]
.LBB945_250:                            ;   in Loop: Header=BB945_215 Depth=1
	s_or_b64 exec, exec, s[16:17]
.LBB945_251:                            ;   in Loop: Header=BB945_215 Depth=1
	s_or_b64 exec, exec, s[14:15]
	v_lshrrev_b32_e32 v36, 16, v34
	v_cmp_ne_u16_sdwa s[16:17], v36, v55 src0_sel:BYTE_0 src1_sel:DWORD
	s_and_saveexec_b64 s[14:15], s[16:17]
	s_cbranch_execz .LBB945_257
; %bb.252:                              ;   in Loop: Header=BB945_215 Depth=1
	v_cmp_ne_u16_sdwa s[18:19], v36, s9 src0_sel:BYTE_0 src1_sel:DWORD
	v_mov_b32_e32 v60, 0xffff8000
	s_and_saveexec_b64 s[16:17], s[18:19]
	s_cbranch_execz .LBB945_256
; %bb.253:                              ;   in Loop: Header=BB945_215 Depth=1
	v_bfe_u32 v44, v34, 16, 7
	v_cmp_ne_u32_e32 vcc, s23, v44
	v_mov_b32_e32 v60, 0x7f80
	s_and_saveexec_b64 s[18:19], vcc
	s_cbranch_execz .LBB945_255
; %bb.254:                              ;   in Loop: Header=BB945_215 Depth=1
	v_and_b32_e32 v62, 7, v36
	v_ffbh_u32_e32 v60, v62
	v_min_u32_e32 v64, 32, v60
	v_subrev_u32_e32 v60, 28, v64
	v_lshlrev_b64 v[60:61], v60, v[36:37]
	v_lshrrev_b32_e32 v63, 3, v44
	v_sub_u32_e32 v61, 29, v64
	v_and_b32_e32 v60, 7, v60
	v_cmp_gt_u32_e32 vcc, 8, v44
	v_cndmask_b32_e32 v44, v63, v61, vcc
	v_cndmask_b32_e32 v60, v62, v60, vcc
	v_lshlrev_b32_e32 v36, 24, v36
	v_lshlrev_b32_e32 v60, 20, v60
	v_and_b32_e32 v36, 0x80000000, v36
	v_lshl_add_u32 v44, v44, 23, v56
	v_or3_b32 v36, v36, v44, v60
	v_lshrrev_b32_e32 v60, 16, v36
.LBB945_255:                            ;   in Loop: Header=BB945_215 Depth=1
	s_or_b64 exec, exec, s[18:19]
.LBB945_256:                            ;   in Loop: Header=BB945_215 Depth=1
	s_or_b64 exec, exec, s[16:17]
.LBB945_257:                            ;   in Loop: Header=BB945_215 Depth=1
	s_or_b64 exec, exec, s[14:15]
	v_cmp_lt_u32_e32 vcc, s24, v34
	v_mov_b32_e32 v44, 0
	v_mov_b32_e32 v61, 0
	s_and_saveexec_b64 s[14:15], vcc
	s_cbranch_execz .LBB945_263
; %bb.258:                              ;   in Loop: Header=BB945_215 Depth=1
	v_lshrrev_b32_e32 v36, 24, v34
	v_cmp_ne_u32_e32 vcc, s9, v36
	v_mov_b32_e32 v61, 0xffff8000
	s_and_saveexec_b64 s[16:17], vcc
	s_cbranch_execz .LBB945_262
; %bb.259:                              ;   in Loop: Header=BB945_215 Depth=1
	v_bfe_u32 v34, v34, 24, 7
	v_cmp_ne_u32_e32 vcc, s23, v34
	v_mov_b32_e32 v61, 0x7f80
	s_and_saveexec_b64 s[18:19], vcc
	s_cbranch_execz .LBB945_261
; %bb.260:                              ;   in Loop: Header=BB945_215 Depth=1
	v_and_b32_e32 v61, 7, v36
	v_ffbh_u32_e32 v62, v61
	v_min_u32_e32 v65, 32, v62
	v_subrev_u32_e32 v62, 28, v65
	v_lshlrev_b64 v[62:63], v62, v[36:37]
	v_lshrrev_b32_e32 v64, 3, v34
	v_sub_u32_e32 v63, 29, v65
	v_and_b32_e32 v62, 7, v62
	v_cmp_gt_u32_e32 vcc, 8, v34
	v_cndmask_b32_e32 v34, v64, v63, vcc
	v_cndmask_b32_e32 v61, v61, v62, vcc
	v_lshlrev_b32_e32 v36, 24, v36
	v_lshlrev_b32_e32 v61, 20, v61
	v_and_b32_e32 v36, 0x80000000, v36
	v_lshl_add_u32 v34, v34, 23, v56
	v_or3_b32 v34, v36, v34, v61
	v_lshrrev_b32_e32 v61, 16, v34
.LBB945_261:                            ;   in Loop: Header=BB945_215 Depth=1
	s_or_b64 exec, exec, s[18:19]
.LBB945_262:                            ;   in Loop: Header=BB945_215 Depth=1
	s_or_b64 exec, exec, s[16:17]
.LBB945_263:                            ;   in Loop: Header=BB945_215 Depth=1
	s_or_b64 exec, exec, s[14:15]
	v_perm_b32 v63, v59, v57, s25
	v_perm_b32 v62, v37, v35, s25
	;; [unrolled: 1-line block ×4, first 2 shown]
	s_waitcnt vmcnt(1)
	v_cmp_ne_u16_sdwa s[16:17], v40, v55 src0_sel:BYTE_0 src1_sel:DWORD
	v_mfma_f32_16x16x16bf16_1k v[34:37], v[62:63], v[2:3], 0
	v_mfma_f32_16x16x16bf16_1k v[34:37], v[58:59], v[4:5], v[34:37]
	s_and_saveexec_b64 s[14:15], s[16:17]
	s_cbranch_execz .LBB945_269
; %bb.264:                              ;   in Loop: Header=BB945_215 Depth=1
	v_cmp_ne_u16_sdwa s[18:19], v40, s9 src0_sel:BYTE_0 src1_sel:DWORD
	v_mov_b32_e32 v44, 0xffff8000
	s_and_saveexec_b64 s[16:17], s[18:19]
	s_cbranch_execz .LBB945_268
; %bb.265:                              ;   in Loop: Header=BB945_215 Depth=1
	v_and_b32_e32 v42, 0x7f, v40
	v_cmp_ne_u32_e32 vcc, s23, v42
	v_mov_b32_e32 v44, 0x7f80
	s_and_saveexec_b64 s[18:19], vcc
	s_cbranch_execz .LBB945_267
; %bb.266:                              ;   in Loop: Header=BB945_215 Depth=1
	v_and_b32_e32 v44, 7, v40
	v_ffbh_u32_e32 v58, v44
	v_min_u32_e32 v60, 32, v58
	v_subrev_u32_e32 v58, 28, v60
	v_lshlrev_b64 v[58:59], v58, v[40:41]
	v_lshrrev_b32_e32 v57, 3, v42
	v_sub_u32_e32 v59, 29, v60
	v_and_b32_e32 v58, 7, v58
	v_cmp_gt_u32_e32 vcc, 8, v42
	v_cndmask_b32_e32 v42, v57, v59, vcc
	v_cndmask_b32_e32 v44, v44, v58, vcc
	v_lshlrev_b32_e32 v57, 24, v40
	v_lshlrev_b32_e32 v44, 20, v44
	v_and_b32_e32 v57, 0x80000000, v57
	v_lshl_add_u32 v42, v42, 23, v56
	v_or3_b32 v42, v57, v42, v44
	v_lshrrev_b32_e32 v44, 16, v42
.LBB945_267:                            ;   in Loop: Header=BB945_215 Depth=1
	s_or_b64 exec, exec, s[18:19]
.LBB945_268:                            ;   in Loop: Header=BB945_215 Depth=1
	s_or_b64 exec, exec, s[16:17]
.LBB945_269:                            ;   in Loop: Header=BB945_215 Depth=1
	s_or_b64 exec, exec, s[14:15]
	v_lshrrev_b16_e32 v42, 8, v40
	v_cmp_ne_u16_e32 vcc, 0, v42
	v_mov_b32_e32 v59, 0
	v_mov_b32_e32 v58, 0
	s_and_saveexec_b64 s[14:15], vcc
	s_cbranch_execz .LBB945_275
; %bb.270:                              ;   in Loop: Header=BB945_215 Depth=1
	v_cmp_ne_u16_e32 vcc, s9, v42
	v_mov_b32_e32 v58, 0xffff8000
	s_and_saveexec_b64 s[16:17], vcc
	s_cbranch_execz .LBB945_274
; %bb.271:                              ;   in Loop: Header=BB945_215 Depth=1
	v_and_b32_e32 v57, 0x7f, v42
	v_cmp_ne_u32_e32 vcc, s23, v57
	v_mov_b32_e32 v58, 0x7f80
	s_and_saveexec_b64 s[18:19], vcc
	s_cbranch_execz .LBB945_273
; %bb.272:                              ;   in Loop: Header=BB945_215 Depth=1
	v_and_b32_e32 v58, 7, v42
	v_ffbh_u32_e32 v60, v58
	v_min_u32_e32 v63, 32, v60
	v_subrev_u32_e32 v60, 28, v63
	v_lshlrev_b64 v[60:61], v60, v[42:43]
	v_lshrrev_b32_e32 v62, 3, v57
	v_sub_u32_e32 v42, 29, v63
	v_and_b32_e32 v60, 7, v60
	v_cmp_gt_u32_e32 vcc, 8, v57
	v_cndmask_b32_e32 v42, v62, v42, vcc
	v_cndmask_b32_e32 v57, v58, v60, vcc
	v_lshlrev_b32_e32 v58, 16, v40
	v_lshlrev_b32_e32 v57, 20, v57
	v_and_b32_e32 v58, 0x80000000, v58
	v_lshl_add_u32 v42, v42, 23, v56
	v_or3_b32 v42, v58, v42, v57
	v_lshrrev_b32_e32 v58, 16, v42
.LBB945_273:                            ;   in Loop: Header=BB945_215 Depth=1
	s_or_b64 exec, exec, s[18:19]
.LBB945_274:                            ;   in Loop: Header=BB945_215 Depth=1
	s_or_b64 exec, exec, s[16:17]
.LBB945_275:                            ;   in Loop: Header=BB945_215 Depth=1
	s_or_b64 exec, exec, s[14:15]
	v_lshrrev_b32_e32 v42, 16, v40
	v_cmp_ne_u16_sdwa s[16:17], v42, v55 src0_sel:BYTE_0 src1_sel:DWORD
	s_and_saveexec_b64 s[14:15], s[16:17]
	s_cbranch_execz .LBB945_281
; %bb.276:                              ;   in Loop: Header=BB945_215 Depth=1
	v_cmp_ne_u16_sdwa s[18:19], v42, s9 src0_sel:BYTE_0 src1_sel:DWORD
	v_mov_b32_e32 v59, 0xffff8000
	s_and_saveexec_b64 s[16:17], s[18:19]
	s_cbranch_execz .LBB945_280
; %bb.277:                              ;   in Loop: Header=BB945_215 Depth=1
	v_bfe_u32 v57, v40, 16, 7
	v_cmp_ne_u32_e32 vcc, s23, v57
	v_mov_b32_e32 v59, 0x7f80
	s_and_saveexec_b64 s[18:19], vcc
	s_cbranch_execz .LBB945_279
; %bb.278:                              ;   in Loop: Header=BB945_215 Depth=1
	v_and_b32_e32 v59, 7, v42
	v_ffbh_u32_e32 v60, v59
	v_min_u32_e32 v63, 32, v60
	v_subrev_u32_e32 v60, 28, v63
	v_lshlrev_b64 v[60:61], v60, v[42:43]
	v_lshrrev_b32_e32 v62, 3, v57
	v_sub_u32_e32 v61, 29, v63
	v_and_b32_e32 v60, 7, v60
	v_cmp_gt_u32_e32 vcc, 8, v57
	v_cndmask_b32_e32 v57, v62, v61, vcc
	v_cndmask_b32_e32 v59, v59, v60, vcc
	v_lshlrev_b32_e32 v42, 24, v42
	v_lshlrev_b32_e32 v59, 20, v59
	v_and_b32_e32 v42, 0x80000000, v42
	v_lshl_add_u32 v57, v57, 23, v56
	v_or3_b32 v42, v42, v57, v59
	v_lshrrev_b32_e32 v59, 16, v42
.LBB945_279:                            ;   in Loop: Header=BB945_215 Depth=1
	s_or_b64 exec, exec, s[18:19]
.LBB945_280:                            ;   in Loop: Header=BB945_215 Depth=1
	s_or_b64 exec, exec, s[16:17]
.LBB945_281:                            ;   in Loop: Header=BB945_215 Depth=1
	s_or_b64 exec, exec, s[14:15]
	v_cmp_lt_u32_e32 vcc, s24, v40
	v_mov_b32_e32 v60, 0
	v_mov_b32_e32 v61, 0
	s_and_saveexec_b64 s[14:15], vcc
	s_cbranch_execz .LBB945_287
; %bb.282:                              ;   in Loop: Header=BB945_215 Depth=1
	v_lshrrev_b32_e32 v42, 24, v40
	v_cmp_ne_u32_e32 vcc, s9, v42
	v_mov_b32_e32 v61, 0xffff8000
	s_and_saveexec_b64 s[16:17], vcc
	s_cbranch_execz .LBB945_286
; %bb.283:                              ;   in Loop: Header=BB945_215 Depth=1
	v_bfe_u32 v40, v40, 24, 7
	v_cmp_ne_u32_e32 vcc, s23, v40
	v_mov_b32_e32 v61, 0x7f80
	s_and_saveexec_b64 s[18:19], vcc
	s_cbranch_execz .LBB945_285
; %bb.284:                              ;   in Loop: Header=BB945_215 Depth=1
	v_and_b32_e32 v57, 7, v42
	v_ffbh_u32_e32 v62, v57
	v_min_u32_e32 v64, 32, v62
	v_subrev_u32_e32 v62, 28, v64
	v_lshlrev_b64 v[62:63], v62, v[42:43]
	v_lshrrev_b32_e32 v61, 3, v40
	v_sub_u32_e32 v63, 29, v64
	v_and_b32_e32 v62, 7, v62
	v_cmp_gt_u32_e32 vcc, 8, v40
	v_cndmask_b32_e32 v40, v61, v63, vcc
	v_cndmask_b32_e32 v57, v57, v62, vcc
	v_lshlrev_b32_e32 v42, 24, v42
	v_lshlrev_b32_e32 v57, 20, v57
	v_and_b32_e32 v42, 0x80000000, v42
	v_lshl_add_u32 v40, v40, 23, v56
	v_or3_b32 v40, v42, v40, v57
	v_lshrrev_b32_e32 v61, 16, v40
.LBB945_285:                            ;   in Loop: Header=BB945_215 Depth=1
	s_or_b64 exec, exec, s[18:19]
.LBB945_286:                            ;   in Loop: Header=BB945_215 Depth=1
	s_or_b64 exec, exec, s[16:17]
.LBB945_287:                            ;   in Loop: Header=BB945_215 Depth=1
	s_or_b64 exec, exec, s[14:15]
	s_waitcnt vmcnt(0)
	v_cmp_ne_u16_sdwa s[16:17], v38, v55 src0_sel:BYTE_0 src1_sel:DWORD
	s_and_saveexec_b64 s[14:15], s[16:17]
	s_cbranch_execz .LBB945_293
; %bb.288:                              ;   in Loop: Header=BB945_215 Depth=1
	v_cmp_ne_u16_sdwa s[18:19], v38, s9 src0_sel:BYTE_0 src1_sel:DWORD
	v_mov_b32_e32 v60, 0xffff8000
	s_and_saveexec_b64 s[16:17], s[18:19]
	s_cbranch_execz .LBB945_292
; %bb.289:                              ;   in Loop: Header=BB945_215 Depth=1
	v_and_b32_e32 v40, 0x7f, v38
	v_cmp_ne_u32_e32 vcc, s23, v40
	v_mov_b32_e32 v60, 0x7f80
	s_and_saveexec_b64 s[18:19], vcc
	s_cbranch_execz .LBB945_291
; %bb.290:                              ;   in Loop: Header=BB945_215 Depth=1
	v_and_b32_e32 v42, 7, v38
	v_ffbh_u32_e32 v60, v42
	v_min_u32_e32 v60, 32, v60
	v_subrev_u32_e32 v62, 28, v60
	v_lshlrev_b64 v[62:63], v62, v[38:39]
	v_lshrrev_b32_e32 v57, 3, v40
	v_sub_u32_e32 v60, 29, v60
	v_and_b32_e32 v62, 7, v62
	v_cmp_gt_u32_e32 vcc, 8, v40
	v_cndmask_b32_e32 v40, v57, v60, vcc
	v_cndmask_b32_e32 v42, v42, v62, vcc
	v_lshlrev_b32_e32 v57, 24, v38
	v_lshlrev_b32_e32 v42, 20, v42
	v_and_b32_e32 v57, 0x80000000, v57
	v_lshl_add_u32 v40, v40, 23, v56
	v_or3_b32 v40, v57, v40, v42
	v_lshrrev_b32_e32 v60, 16, v40
.LBB945_291:                            ;   in Loop: Header=BB945_215 Depth=1
	s_or_b64 exec, exec, s[18:19]
.LBB945_292:                            ;   in Loop: Header=BB945_215 Depth=1
	s_or_b64 exec, exec, s[16:17]
.LBB945_293:                            ;   in Loop: Header=BB945_215 Depth=1
	s_or_b64 exec, exec, s[14:15]
	v_lshrrev_b16_e32 v40, 8, v38
	v_cmp_ne_u16_e32 vcc, 0, v40
	v_mov_b32_e32 v63, 0
	v_mov_b32_e32 v62, 0
	s_and_saveexec_b64 s[14:15], vcc
	s_cbranch_execz .LBB945_299
; %bb.294:                              ;   in Loop: Header=BB945_215 Depth=1
	v_cmp_ne_u16_e32 vcc, s9, v40
	v_mov_b32_e32 v62, 0xffff8000
	s_and_saveexec_b64 s[16:17], vcc
	s_cbranch_execz .LBB945_298
; %bb.295:                              ;   in Loop: Header=BB945_215 Depth=1
	v_and_b32_e32 v42, 0x7f, v40
	v_cmp_ne_u32_e32 vcc, s23, v42
	v_mov_b32_e32 v62, 0x7f80
	s_and_saveexec_b64 s[18:19], vcc
	s_cbranch_execz .LBB945_297
; %bb.296:                              ;   in Loop: Header=BB945_215 Depth=1
	v_and_b32_e32 v57, 7, v40
	v_ffbh_u32_e32 v64, v57
	v_min_u32_e32 v66, 32, v64
	v_subrev_u32_e32 v64, 28, v66
	v_lshlrev_b64 v[64:65], v64, v[40:41]
	v_lshrrev_b32_e32 v62, 3, v42
	v_sub_u32_e32 v40, 29, v66
	v_and_b32_e32 v64, 7, v64
	v_cmp_gt_u32_e32 vcc, 8, v42
	v_cndmask_b32_e32 v40, v62, v40, vcc
	v_cndmask_b32_e32 v42, v57, v64, vcc
	v_lshlrev_b32_e32 v57, 16, v38
	v_lshlrev_b32_e32 v42, 20, v42
	v_and_b32_e32 v57, 0x80000000, v57
	v_lshl_add_u32 v40, v40, 23, v56
	v_or3_b32 v40, v57, v40, v42
	v_lshrrev_b32_e32 v62, 16, v40
.LBB945_297:                            ;   in Loop: Header=BB945_215 Depth=1
	s_or_b64 exec, exec, s[18:19]
.LBB945_298:                            ;   in Loop: Header=BB945_215 Depth=1
	s_or_b64 exec, exec, s[16:17]
.LBB945_299:                            ;   in Loop: Header=BB945_215 Depth=1
	s_or_b64 exec, exec, s[14:15]
	v_lshrrev_b32_e32 v40, 16, v38
	v_cmp_ne_u16_sdwa s[16:17], v40, v55 src0_sel:BYTE_0 src1_sel:DWORD
	s_and_saveexec_b64 s[14:15], s[16:17]
	s_cbranch_execz .LBB945_305
; %bb.300:                              ;   in Loop: Header=BB945_215 Depth=1
	v_cmp_ne_u16_sdwa s[18:19], v40, s9 src0_sel:BYTE_0 src1_sel:DWORD
	v_mov_b32_e32 v63, 0xffff8000
	s_and_saveexec_b64 s[16:17], s[18:19]
	s_cbranch_execz .LBB945_304
; %bb.301:                              ;   in Loop: Header=BB945_215 Depth=1
	v_bfe_u32 v42, v38, 16, 7
	v_cmp_ne_u32_e32 vcc, s23, v42
	v_mov_b32_e32 v63, 0x7f80
	s_and_saveexec_b64 s[18:19], vcc
	s_cbranch_execz .LBB945_303
; %bb.302:                              ;   in Loop: Header=BB945_215 Depth=1
	v_and_b32_e32 v57, 7, v40
	v_ffbh_u32_e32 v64, v57
	v_min_u32_e32 v66, 32, v64
	v_subrev_u32_e32 v64, 28, v66
	v_lshlrev_b64 v[64:65], v64, v[40:41]
	v_lshrrev_b32_e32 v63, 3, v42
	v_sub_u32_e32 v65, 29, v66
	v_and_b32_e32 v64, 7, v64
	v_cmp_gt_u32_e32 vcc, 8, v42
	v_cndmask_b32_e32 v42, v63, v65, vcc
	v_cndmask_b32_e32 v57, v57, v64, vcc
	v_lshlrev_b32_e32 v40, 24, v40
	v_lshlrev_b32_e32 v57, 20, v57
	v_and_b32_e32 v40, 0x80000000, v40
	v_lshl_add_u32 v42, v42, 23, v56
	v_or3_b32 v40, v40, v42, v57
	v_lshrrev_b32_e32 v63, 16, v40
.LBB945_303:                            ;   in Loop: Header=BB945_215 Depth=1
	s_or_b64 exec, exec, s[18:19]
.LBB945_304:                            ;   in Loop: Header=BB945_215 Depth=1
	s_or_b64 exec, exec, s[16:17]
.LBB945_305:                            ;   in Loop: Header=BB945_215 Depth=1
	s_or_b64 exec, exec, s[14:15]
	v_cmp_lt_u32_e32 vcc, s24, v38
	v_mov_b32_e32 v57, 0
	v_mov_b32_e32 v64, 0
	s_and_saveexec_b64 s[14:15], vcc
	s_cbranch_execz .LBB945_311
; %bb.306:                              ;   in Loop: Header=BB945_215 Depth=1
	v_lshrrev_b32_e32 v40, 24, v38
	v_cmp_ne_u32_e32 vcc, s9, v40
	v_mov_b32_e32 v64, 0xffff8000
	s_and_saveexec_b64 s[16:17], vcc
	s_cbranch_execz .LBB945_310
; %bb.307:                              ;   in Loop: Header=BB945_215 Depth=1
	v_bfe_u32 v38, v38, 24, 7
	v_cmp_ne_u32_e32 vcc, s23, v38
	v_mov_b32_e32 v64, 0x7f80
	s_and_saveexec_b64 s[18:19], vcc
	s_cbranch_execz .LBB945_309
; %bb.308:                              ;   in Loop: Header=BB945_215 Depth=1
	v_and_b32_e32 v42, 7, v40
	v_ffbh_u32_e32 v64, v42
	v_min_u32_e32 v67, 32, v64
	v_subrev_u32_e32 v64, 28, v67
	v_lshlrev_b64 v[64:65], v64, v[40:41]
	v_lshrrev_b32_e32 v66, 3, v38
	v_sub_u32_e32 v65, 29, v67
	v_and_b32_e32 v64, 7, v64
	v_cmp_gt_u32_e32 vcc, 8, v38
	v_cndmask_b32_e32 v38, v66, v65, vcc
	v_cndmask_b32_e32 v42, v42, v64, vcc
	v_lshlrev_b32_e32 v40, 24, v40
	v_lshlrev_b32_e32 v42, 20, v42
	v_and_b32_e32 v40, 0x80000000, v40
	v_lshl_add_u32 v38, v38, 23, v56
	v_or3_b32 v38, v40, v38, v42
	v_lshrrev_b32_e32 v64, 16, v38
.LBB945_309:                            ;   in Loop: Header=BB945_215 Depth=1
	s_or_b64 exec, exec, s[18:19]
.LBB945_310:                            ;   in Loop: Header=BB945_215 Depth=1
	s_or_b64 exec, exec, s[16:17]
.LBB945_311:                            ;   in Loop: Header=BB945_215 Depth=1
	s_or_b64 exec, exec, s[14:15]
	v_perm_b32 v58, v58, v44, s25
	buffer_load_dword v44, v46, s[0:3], 0 offen
	buffer_load_dword v42, v46, s[0:3], 0 offen offset:4
	buffer_load_dword v40, v46, s[0:3], 0 offen offset:8
	;; [unrolled: 1-line block ×3, first 2 shown]
	v_perm_b32 v59, v61, v59, s25
	s_waitcnt vmcnt(3)
	v_cmp_ne_u16_sdwa s[16:17], v44, v55 src0_sel:BYTE_0 src1_sel:DWORD
	v_mfma_f32_16x16x16bf16_1k v[34:37], v[58:59], v[6:7], v[34:37]
	v_perm_b32 v59, v64, v63, s25
	v_perm_b32 v58, v62, v60, s25
	s_nop 1
	v_mfma_f32_16x16x16bf16_1k v[34:37], v[58:59], v[8:9], v[34:37]
	s_and_saveexec_b64 s[14:15], s[16:17]
	s_cbranch_execz .LBB945_317
; %bb.312:                              ;   in Loop: Header=BB945_215 Depth=1
	v_cmp_ne_u16_sdwa s[18:19], v44, s9 src0_sel:BYTE_0 src1_sel:DWORD
	v_mov_b32_e32 v57, 0xffff8000
	s_and_saveexec_b64 s[16:17], s[18:19]
	s_cbranch_execz .LBB945_316
; %bb.313:                              ;   in Loop: Header=BB945_215 Depth=1
	v_and_b32_e32 v46, 0x7f, v44
	v_cmp_ne_u32_e32 vcc, s23, v46
	v_mov_b32_e32 v57, 0x7f80
	s_and_saveexec_b64 s[18:19], vcc
	s_cbranch_execz .LBB945_315
; %bb.314:                              ;   in Loop: Header=BB945_215 Depth=1
	v_and_b32_e32 v57, 7, v44
	v_ffbh_u32_e32 v58, v57
	v_min_u32_e32 v61, 32, v58
	v_subrev_u32_e32 v58, 28, v61
	v_lshlrev_b64 v[58:59], v58, v[44:45]
	v_lshrrev_b32_e32 v60, 3, v46
	v_sub_u32_e32 v59, 29, v61
	v_and_b32_e32 v58, 7, v58
	v_cmp_gt_u32_e32 vcc, 8, v46
	v_cndmask_b32_e32 v46, v60, v59, vcc
	v_cndmask_b32_e32 v57, v57, v58, vcc
	v_lshlrev_b32_e32 v58, 24, v44
	v_lshlrev_b32_e32 v57, 20, v57
	v_and_b32_e32 v58, 0x80000000, v58
	v_lshl_add_u32 v46, v46, 23, v56
	v_or3_b32 v46, v58, v46, v57
	v_lshrrev_b32_e32 v57, 16, v46
.LBB945_315:                            ;   in Loop: Header=BB945_215 Depth=1
	s_or_b64 exec, exec, s[18:19]
.LBB945_316:                            ;   in Loop: Header=BB945_215 Depth=1
	s_or_b64 exec, exec, s[16:17]
.LBB945_317:                            ;   in Loop: Header=BB945_215 Depth=1
	s_or_b64 exec, exec, s[14:15]
	v_lshrrev_b16_e32 v46, 8, v44
	v_cmp_ne_u16_e32 vcc, 0, v46
	v_mov_b32_e32 v59, 0
	v_mov_b32_e32 v58, 0
	s_and_saveexec_b64 s[14:15], vcc
	s_cbranch_execz .LBB945_323
; %bb.318:                              ;   in Loop: Header=BB945_215 Depth=1
	v_cmp_ne_u16_e32 vcc, s9, v46
	v_mov_b32_e32 v58, 0xffff8000
	s_and_saveexec_b64 s[16:17], vcc
	s_cbranch_execz .LBB945_322
; %bb.319:                              ;   in Loop: Header=BB945_215 Depth=1
	v_and_b32_e32 v60, 0x7f, v46
	v_cmp_ne_u32_e32 vcc, s23, v60
	v_mov_b32_e32 v58, 0x7f80
	s_and_saveexec_b64 s[18:19], vcc
	s_cbranch_execz .LBB945_321
; %bb.320:                              ;   in Loop: Header=BB945_215 Depth=1
	v_and_b32_e32 v58, 7, v46
	v_ffbh_u32_e32 v62, v58
	v_min_u32_e32 v64, 32, v62
	v_subrev_u32_e32 v62, 28, v64
	v_lshlrev_b64 v[62:63], v62, v[46:47]
	v_lshrrev_b32_e32 v61, 3, v60
	v_sub_u32_e32 v46, 29, v64
	v_and_b32_e32 v62, 7, v62
	v_cmp_gt_u32_e32 vcc, 8, v60
	v_cndmask_b32_e32 v46, v61, v46, vcc
	v_cndmask_b32_e32 v58, v58, v62, vcc
	v_lshlrev_b32_e32 v60, 16, v44
	v_lshlrev_b32_e32 v58, 20, v58
	v_and_b32_e32 v60, 0x80000000, v60
	v_lshl_add_u32 v46, v46, 23, v56
	v_or3_b32 v46, v60, v46, v58
	v_lshrrev_b32_e32 v58, 16, v46
.LBB945_321:                            ;   in Loop: Header=BB945_215 Depth=1
	s_or_b64 exec, exec, s[18:19]
.LBB945_322:                            ;   in Loop: Header=BB945_215 Depth=1
	s_or_b64 exec, exec, s[16:17]
.LBB945_323:                            ;   in Loop: Header=BB945_215 Depth=1
	s_or_b64 exec, exec, s[14:15]
	v_lshrrev_b32_e32 v46, 16, v44
	v_cmp_ne_u16_sdwa s[16:17], v46, v55 src0_sel:BYTE_0 src1_sel:DWORD
	s_and_saveexec_b64 s[14:15], s[16:17]
	s_cbranch_execz .LBB945_329
; %bb.324:                              ;   in Loop: Header=BB945_215 Depth=1
	v_cmp_ne_u16_sdwa s[18:19], v46, s9 src0_sel:BYTE_0 src1_sel:DWORD
	v_mov_b32_e32 v59, 0xffff8000
	s_and_saveexec_b64 s[16:17], s[18:19]
	s_cbranch_execz .LBB945_328
; %bb.325:                              ;   in Loop: Header=BB945_215 Depth=1
	v_bfe_u32 v60, v44, 16, 7
	v_cmp_ne_u32_e32 vcc, s23, v60
	v_mov_b32_e32 v59, 0x7f80
	s_and_saveexec_b64 s[18:19], vcc
	s_cbranch_execz .LBB945_327
; %bb.326:                              ;   in Loop: Header=BB945_215 Depth=1
	v_and_b32_e32 v59, 7, v46
	v_ffbh_u32_e32 v62, v59
	v_min_u32_e32 v64, 32, v62
	v_subrev_u32_e32 v62, 28, v64
	v_lshlrev_b64 v[62:63], v62, v[46:47]
	v_lshrrev_b32_e32 v61, 3, v60
	v_sub_u32_e32 v63, 29, v64
	v_and_b32_e32 v62, 7, v62
	v_cmp_gt_u32_e32 vcc, 8, v60
	v_cndmask_b32_e32 v60, v61, v63, vcc
	v_cndmask_b32_e32 v59, v59, v62, vcc
	v_lshlrev_b32_e32 v46, 24, v46
	v_lshlrev_b32_e32 v59, 20, v59
	v_and_b32_e32 v46, 0x80000000, v46
	v_lshl_add_u32 v60, v60, 23, v56
	v_or3_b32 v46, v46, v60, v59
	v_lshrrev_b32_e32 v59, 16, v46
.LBB945_327:                            ;   in Loop: Header=BB945_215 Depth=1
	s_or_b64 exec, exec, s[18:19]
.LBB945_328:                            ;   in Loop: Header=BB945_215 Depth=1
	s_or_b64 exec, exec, s[16:17]
.LBB945_329:                            ;   in Loop: Header=BB945_215 Depth=1
	s_or_b64 exec, exec, s[14:15]
	v_cmp_lt_u32_e32 vcc, s24, v44
	v_mov_b32_e32 v60, 0
	v_mov_b32_e32 v61, 0
	s_and_saveexec_b64 s[14:15], vcc
	s_cbranch_execz .LBB945_335
; %bb.330:                              ;   in Loop: Header=BB945_215 Depth=1
	v_lshrrev_b32_e32 v46, 24, v44
	v_cmp_ne_u32_e32 vcc, s9, v46
	v_mov_b32_e32 v61, 0xffff8000
	s_and_saveexec_b64 s[16:17], vcc
	s_cbranch_execz .LBB945_334
; %bb.331:                              ;   in Loop: Header=BB945_215 Depth=1
	v_bfe_u32 v44, v44, 24, 7
	v_cmp_ne_u32_e32 vcc, s23, v44
	v_mov_b32_e32 v61, 0x7f80
	s_and_saveexec_b64 s[18:19], vcc
	s_cbranch_execz .LBB945_333
; %bb.332:                              ;   in Loop: Header=BB945_215 Depth=1
	v_and_b32_e32 v61, 7, v46
	v_ffbh_u32_e32 v62, v61
	v_min_u32_e32 v65, 32, v62
	v_subrev_u32_e32 v62, 28, v65
	v_lshlrev_b64 v[62:63], v62, v[46:47]
	v_lshrrev_b32_e32 v64, 3, v44
	v_sub_u32_e32 v63, 29, v65
	v_and_b32_e32 v62, 7, v62
	v_cmp_gt_u32_e32 vcc, 8, v44
	v_cndmask_b32_e32 v44, v64, v63, vcc
	v_cndmask_b32_e32 v61, v61, v62, vcc
	v_lshlrev_b32_e32 v46, 24, v46
	v_lshlrev_b32_e32 v61, 20, v61
	v_and_b32_e32 v46, 0x80000000, v46
	v_lshl_add_u32 v44, v44, 23, v56
	v_or3_b32 v44, v46, v44, v61
	v_lshrrev_b32_e32 v61, 16, v44
.LBB945_333:                            ;   in Loop: Header=BB945_215 Depth=1
	s_or_b64 exec, exec, s[18:19]
.LBB945_334:                            ;   in Loop: Header=BB945_215 Depth=1
	s_or_b64 exec, exec, s[16:17]
.LBB945_335:                            ;   in Loop: Header=BB945_215 Depth=1
	s_or_b64 exec, exec, s[14:15]
	s_waitcnt vmcnt(2)
	v_cmp_ne_u16_sdwa s[16:17], v42, v55 src0_sel:BYTE_0 src1_sel:DWORD
	s_and_saveexec_b64 s[14:15], s[16:17]
	s_cbranch_execz .LBB945_341
; %bb.336:                              ;   in Loop: Header=BB945_215 Depth=1
	v_cmp_ne_u16_sdwa s[18:19], v42, s9 src0_sel:BYTE_0 src1_sel:DWORD
	v_mov_b32_e32 v60, 0xffff8000
	s_and_saveexec_b64 s[16:17], s[18:19]
	s_cbranch_execz .LBB945_340
; %bb.337:                              ;   in Loop: Header=BB945_215 Depth=1
	v_and_b32_e32 v44, 0x7f, v42
	v_cmp_ne_u32_e32 vcc, s23, v44
	v_mov_b32_e32 v60, 0x7f80
	s_and_saveexec_b64 s[18:19], vcc
	s_cbranch_execz .LBB945_339
; %bb.338:                              ;   in Loop: Header=BB945_215 Depth=1
	v_and_b32_e32 v46, 7, v42
	v_ffbh_u32_e32 v62, v46
	v_min_u32_e32 v64, 32, v62
	v_subrev_u32_e32 v62, 28, v64
	v_lshlrev_b64 v[62:63], v62, v[42:43]
	v_lshrrev_b32_e32 v60, 3, v44
	v_sub_u32_e32 v63, 29, v64
	v_and_b32_e32 v62, 7, v62
	v_cmp_gt_u32_e32 vcc, 8, v44
	v_cndmask_b32_e32 v44, v60, v63, vcc
	v_cndmask_b32_e32 v46, v46, v62, vcc
	v_lshlrev_b32_e32 v60, 24, v42
	v_lshlrev_b32_e32 v46, 20, v46
	v_and_b32_e32 v60, 0x80000000, v60
	v_lshl_add_u32 v44, v44, 23, v56
	v_or3_b32 v44, v60, v44, v46
	v_lshrrev_b32_e32 v60, 16, v44
.LBB945_339:                            ;   in Loop: Header=BB945_215 Depth=1
	s_or_b64 exec, exec, s[18:19]
.LBB945_340:                            ;   in Loop: Header=BB945_215 Depth=1
	s_or_b64 exec, exec, s[16:17]
.LBB945_341:                            ;   in Loop: Header=BB945_215 Depth=1
	s_or_b64 exec, exec, s[14:15]
	v_lshrrev_b16_e32 v44, 8, v42
	v_cmp_ne_u16_e32 vcc, 0, v44
	v_mov_b32_e32 v63, 0
	v_mov_b32_e32 v62, 0
	s_and_saveexec_b64 s[14:15], vcc
	s_cbranch_execz .LBB945_347
; %bb.342:                              ;   in Loop: Header=BB945_215 Depth=1
	v_cmp_ne_u16_e32 vcc, s9, v44
	v_mov_b32_e32 v62, 0xffff8000
	s_and_saveexec_b64 s[16:17], vcc
	s_cbranch_execz .LBB945_346
; %bb.343:                              ;   in Loop: Header=BB945_215 Depth=1
	v_and_b32_e32 v46, 0x7f, v44
	v_cmp_ne_u32_e32 vcc, s23, v46
	v_mov_b32_e32 v62, 0x7f80
	s_and_saveexec_b64 s[18:19], vcc
	s_cbranch_execz .LBB945_345
; %bb.344:                              ;   in Loop: Header=BB945_215 Depth=1
	v_and_b32_e32 v62, 7, v44
	v_ffbh_u32_e32 v64, v62
	v_min_u32_e32 v67, 32, v64
	v_subrev_u32_e32 v64, 28, v67
	v_lshlrev_b64 v[64:65], v64, v[44:45]
	v_lshrrev_b32_e32 v66, 3, v46
	v_sub_u32_e32 v44, 29, v67
	v_and_b32_e32 v64, 7, v64
	v_cmp_gt_u32_e32 vcc, 8, v46
	v_cndmask_b32_e32 v44, v66, v44, vcc
	v_cndmask_b32_e32 v46, v62, v64, vcc
	v_lshlrev_b32_e32 v62, 16, v42
	v_lshlrev_b32_e32 v46, 20, v46
	v_and_b32_e32 v62, 0x80000000, v62
	v_lshl_add_u32 v44, v44, 23, v56
	v_or3_b32 v44, v62, v44, v46
	v_lshrrev_b32_e32 v62, 16, v44
.LBB945_345:                            ;   in Loop: Header=BB945_215 Depth=1
	s_or_b64 exec, exec, s[18:19]
.LBB945_346:                            ;   in Loop: Header=BB945_215 Depth=1
	s_or_b64 exec, exec, s[16:17]
.LBB945_347:                            ;   in Loop: Header=BB945_215 Depth=1
	s_or_b64 exec, exec, s[14:15]
	v_lshrrev_b32_e32 v44, 16, v42
	v_cmp_ne_u16_sdwa s[16:17], v44, v55 src0_sel:BYTE_0 src1_sel:DWORD
	s_and_saveexec_b64 s[14:15], s[16:17]
	s_cbranch_execz .LBB945_353
; %bb.348:                              ;   in Loop: Header=BB945_215 Depth=1
	v_cmp_ne_u16_sdwa s[18:19], v44, s9 src0_sel:BYTE_0 src1_sel:DWORD
	v_mov_b32_e32 v63, 0xffff8000
	s_and_saveexec_b64 s[16:17], s[18:19]
	s_cbranch_execz .LBB945_352
; %bb.349:                              ;   in Loop: Header=BB945_215 Depth=1
	v_bfe_u32 v46, v42, 16, 7
	v_cmp_ne_u32_e32 vcc, s23, v46
	v_mov_b32_e32 v63, 0x7f80
	s_and_saveexec_b64 s[18:19], vcc
	s_cbranch_execz .LBB945_351
; %bb.350:                              ;   in Loop: Header=BB945_215 Depth=1
	v_and_b32_e32 v63, 7, v44
	v_ffbh_u32_e32 v64, v63
	v_min_u32_e32 v67, 32, v64
	v_subrev_u32_e32 v64, 28, v67
	v_lshlrev_b64 v[64:65], v64, v[44:45]
	v_lshrrev_b32_e32 v66, 3, v46
	v_sub_u32_e32 v65, 29, v67
	v_and_b32_e32 v64, 7, v64
	v_cmp_gt_u32_e32 vcc, 8, v46
	v_cndmask_b32_e32 v46, v66, v65, vcc
	v_cndmask_b32_e32 v63, v63, v64, vcc
	v_lshlrev_b32_e32 v44, 24, v44
	v_lshlrev_b32_e32 v63, 20, v63
	v_and_b32_e32 v44, 0x80000000, v44
	v_lshl_add_u32 v46, v46, 23, v56
	v_or3_b32 v44, v44, v46, v63
	v_lshrrev_b32_e32 v63, 16, v44
.LBB945_351:                            ;   in Loop: Header=BB945_215 Depth=1
	s_or_b64 exec, exec, s[18:19]
.LBB945_352:                            ;   in Loop: Header=BB945_215 Depth=1
	s_or_b64 exec, exec, s[16:17]
.LBB945_353:                            ;   in Loop: Header=BB945_215 Depth=1
	s_or_b64 exec, exec, s[14:15]
	v_cmp_lt_u32_e32 vcc, s24, v42
	v_mov_b32_e32 v46, 0
	v_mov_b32_e32 v64, 0
	s_and_saveexec_b64 s[14:15], vcc
	s_cbranch_execz .LBB945_359
; %bb.354:                              ;   in Loop: Header=BB945_215 Depth=1
	v_lshrrev_b32_e32 v44, 24, v42
	v_cmp_ne_u32_e32 vcc, s9, v44
	v_mov_b32_e32 v64, 0xffff8000
	s_and_saveexec_b64 s[16:17], vcc
	s_cbranch_execz .LBB945_358
; %bb.355:                              ;   in Loop: Header=BB945_215 Depth=1
	v_bfe_u32 v42, v42, 24, 7
	v_cmp_ne_u32_e32 vcc, s23, v42
	v_mov_b32_e32 v64, 0x7f80
	s_and_saveexec_b64 s[18:19], vcc
	s_cbranch_execz .LBB945_357
; %bb.356:                              ;   in Loop: Header=BB945_215 Depth=1
	v_and_b32_e32 v66, 7, v44
	v_ffbh_u32_e32 v64, v66
	v_min_u32_e32 v68, 32, v64
	v_subrev_u32_e32 v64, 28, v68
	v_lshlrev_b64 v[64:65], v64, v[44:45]
	v_lshrrev_b32_e32 v67, 3, v42
	v_sub_u32_e32 v65, 29, v68
	v_and_b32_e32 v64, 7, v64
	v_cmp_gt_u32_e32 vcc, 8, v42
	v_cndmask_b32_e32 v42, v67, v65, vcc
	v_cndmask_b32_e32 v64, v66, v64, vcc
	v_lshlrev_b32_e32 v44, 24, v44
	v_lshlrev_b32_e32 v64, 20, v64
	v_and_b32_e32 v44, 0x80000000, v44
	v_lshl_add_u32 v42, v42, 23, v56
	v_or3_b32 v42, v44, v42, v64
	v_lshrrev_b32_e32 v64, 16, v42
.LBB945_357:                            ;   in Loop: Header=BB945_215 Depth=1
	s_or_b64 exec, exec, s[18:19]
.LBB945_358:                            ;   in Loop: Header=BB945_215 Depth=1
	s_or_b64 exec, exec, s[16:17]
.LBB945_359:                            ;   in Loop: Header=BB945_215 Depth=1
	s_or_b64 exec, exec, s[14:15]
	v_perm_b32 v59, v61, v59, s25
	v_perm_b32 v58, v58, v57, s25
	s_waitcnt vmcnt(1)
	v_cmp_ne_u16_sdwa s[16:17], v40, v55 src0_sel:BYTE_0 src1_sel:DWORD
	v_mfma_f32_16x16x16bf16_1k v[34:37], v[58:59], v[10:11], v[34:37]
	v_perm_b32 v59, v64, v63, s25
	v_perm_b32 v58, v62, v60, s25
	s_nop 1
	v_mfma_f32_16x16x16bf16_1k v[34:37], v[58:59], v[12:13], v[34:37]
	s_and_saveexec_b64 s[14:15], s[16:17]
	s_cbranch_execz .LBB945_365
; %bb.360:                              ;   in Loop: Header=BB945_215 Depth=1
	v_cmp_ne_u16_sdwa s[18:19], v40, s9 src0_sel:BYTE_0 src1_sel:DWORD
	v_mov_b32_e32 v46, 0xffff8000
	s_and_saveexec_b64 s[16:17], s[18:19]
	s_cbranch_execz .LBB945_364
; %bb.361:                              ;   in Loop: Header=BB945_215 Depth=1
	v_and_b32_e32 v42, 0x7f, v40
	v_cmp_ne_u32_e32 vcc, s23, v42
	v_mov_b32_e32 v46, 0x7f80
	s_and_saveexec_b64 s[18:19], vcc
	s_cbranch_execz .LBB945_363
; %bb.362:                              ;   in Loop: Header=BB945_215 Depth=1
	v_and_b32_e32 v44, 7, v40
	v_ffbh_u32_e32 v57, v44
	v_min_u32_e32 v57, 32, v57
	v_subrev_u32_e32 v58, 28, v57
	v_lshlrev_b64 v[58:59], v58, v[40:41]
	v_lshrrev_b32_e32 v46, 3, v42
	v_sub_u32_e32 v57, 29, v57
	v_and_b32_e32 v58, 7, v58
	v_cmp_gt_u32_e32 vcc, 8, v42
	v_cndmask_b32_e32 v42, v46, v57, vcc
	v_cndmask_b32_e32 v44, v44, v58, vcc
	v_lshlrev_b32_e32 v46, 24, v40
	v_lshlrev_b32_e32 v44, 20, v44
	v_and_b32_e32 v46, 0x80000000, v46
	v_lshl_add_u32 v42, v42, 23, v56
	v_or3_b32 v42, v46, v42, v44
	v_lshrrev_b32_e32 v46, 16, v42
.LBB945_363:                            ;   in Loop: Header=BB945_215 Depth=1
	s_or_b64 exec, exec, s[18:19]
.LBB945_364:                            ;   in Loop: Header=BB945_215 Depth=1
	s_or_b64 exec, exec, s[16:17]
.LBB945_365:                            ;   in Loop: Header=BB945_215 Depth=1
	s_or_b64 exec, exec, s[14:15]
	v_lshrrev_b16_e32 v42, 8, v40
	v_cmp_ne_u16_e32 vcc, 0, v42
	v_mov_b32_e32 v58, 0
	v_mov_b32_e32 v44, 0
	s_and_saveexec_b64 s[14:15], vcc
	s_cbranch_execz .LBB945_371
; %bb.366:                              ;   in Loop: Header=BB945_215 Depth=1
	v_cmp_ne_u16_e32 vcc, s9, v42
	v_mov_b32_e32 v44, 0xffff8000
	s_and_saveexec_b64 s[16:17], vcc
	s_cbranch_execz .LBB945_370
; %bb.367:                              ;   in Loop: Header=BB945_215 Depth=1
	v_and_b32_e32 v57, 0x7f, v42
	v_cmp_ne_u32_e32 vcc, s23, v57
	v_mov_b32_e32 v44, 0x7f80
	s_and_saveexec_b64 s[18:19], vcc
	s_cbranch_execz .LBB945_369
; %bb.368:                              ;   in Loop: Header=BB945_215 Depth=1
	v_and_b32_e32 v44, 7, v42
	v_ffbh_u32_e32 v60, v44
	v_min_u32_e32 v62, 32, v60
	v_subrev_u32_e32 v60, 28, v62
	v_lshlrev_b64 v[60:61], v60, v[42:43]
	v_lshrrev_b32_e32 v59, 3, v57
	v_sub_u32_e32 v42, 29, v62
	v_and_b32_e32 v60, 7, v60
	v_cmp_gt_u32_e32 vcc, 8, v57
	v_cndmask_b32_e32 v42, v59, v42, vcc
	v_cndmask_b32_e32 v44, v44, v60, vcc
	v_lshlrev_b32_e32 v57, 16, v40
	v_lshlrev_b32_e32 v44, 20, v44
	v_and_b32_e32 v57, 0x80000000, v57
	v_lshl_add_u32 v42, v42, 23, v56
	v_or3_b32 v42, v57, v42, v44
	v_lshrrev_b32_e32 v44, 16, v42
.LBB945_369:                            ;   in Loop: Header=BB945_215 Depth=1
	s_or_b64 exec, exec, s[18:19]
.LBB945_370:                            ;   in Loop: Header=BB945_215 Depth=1
	s_or_b64 exec, exec, s[16:17]
.LBB945_371:                            ;   in Loop: Header=BB945_215 Depth=1
	s_or_b64 exec, exec, s[14:15]
	v_lshrrev_b32_e32 v42, 16, v40
	v_cmp_ne_u16_sdwa s[16:17], v42, v55 src0_sel:BYTE_0 src1_sel:DWORD
	s_and_saveexec_b64 s[14:15], s[16:17]
	s_cbranch_execz .LBB945_377
; %bb.372:                              ;   in Loop: Header=BB945_215 Depth=1
	v_cmp_ne_u16_sdwa s[18:19], v42, s9 src0_sel:BYTE_0 src1_sel:DWORD
	v_mov_b32_e32 v58, 0xffff8000
	s_and_saveexec_b64 s[16:17], s[18:19]
	s_cbranch_execz .LBB945_376
; %bb.373:                              ;   in Loop: Header=BB945_215 Depth=1
	v_bfe_u32 v57, v40, 16, 7
	v_cmp_ne_u32_e32 vcc, s23, v57
	v_mov_b32_e32 v58, 0x7f80
	s_and_saveexec_b64 s[18:19], vcc
	s_cbranch_execz .LBB945_375
; %bb.374:                              ;   in Loop: Header=BB945_215 Depth=1
	v_and_b32_e32 v60, 7, v42
	v_ffbh_u32_e32 v58, v60
	v_min_u32_e32 v62, 32, v58
	v_subrev_u32_e32 v58, 28, v62
	v_lshlrev_b64 v[58:59], v58, v[42:43]
	v_lshrrev_b32_e32 v61, 3, v57
	v_sub_u32_e32 v59, 29, v62
	v_and_b32_e32 v58, 7, v58
	v_cmp_gt_u32_e32 vcc, 8, v57
	v_cndmask_b32_e32 v57, v61, v59, vcc
	v_cndmask_b32_e32 v58, v60, v58, vcc
	v_lshlrev_b32_e32 v42, 24, v42
	v_lshlrev_b32_e32 v58, 20, v58
	v_and_b32_e32 v42, 0x80000000, v42
	v_lshl_add_u32 v57, v57, 23, v56
	v_or3_b32 v42, v42, v57, v58
	v_lshrrev_b32_e32 v58, 16, v42
.LBB945_375:                            ;   in Loop: Header=BB945_215 Depth=1
	s_or_b64 exec, exec, s[18:19]
.LBB945_376:                            ;   in Loop: Header=BB945_215 Depth=1
	s_or_b64 exec, exec, s[16:17]
.LBB945_377:                            ;   in Loop: Header=BB945_215 Depth=1
	s_or_b64 exec, exec, s[14:15]
	v_cmp_lt_u32_e32 vcc, s24, v40
	v_mov_b32_e32 v59, 0
	v_mov_b32_e32 v60, 0
	s_and_saveexec_b64 s[14:15], vcc
	s_cbranch_execz .LBB945_383
; %bb.378:                              ;   in Loop: Header=BB945_215 Depth=1
	v_lshrrev_b32_e32 v42, 24, v40
	v_cmp_ne_u32_e32 vcc, s9, v42
	v_mov_b32_e32 v60, 0xffff8000
	s_and_saveexec_b64 s[16:17], vcc
	s_cbranch_execz .LBB945_382
; %bb.379:                              ;   in Loop: Header=BB945_215 Depth=1
	v_bfe_u32 v40, v40, 24, 7
	v_cmp_ne_u32_e32 vcc, s23, v40
	v_mov_b32_e32 v60, 0x7f80
	s_and_saveexec_b64 s[18:19], vcc
	s_cbranch_execz .LBB945_381
; %bb.380:                              ;   in Loop: Header=BB945_215 Depth=1
	v_and_b32_e32 v57, 7, v42
	v_ffbh_u32_e32 v60, v57
	v_min_u32_e32 v63, 32, v60
	v_subrev_u32_e32 v60, 28, v63
	v_lshlrev_b64 v[60:61], v60, v[42:43]
	v_lshrrev_b32_e32 v62, 3, v40
	v_sub_u32_e32 v61, 29, v63
	v_and_b32_e32 v60, 7, v60
	v_cmp_gt_u32_e32 vcc, 8, v40
	v_cndmask_b32_e32 v40, v62, v61, vcc
	v_cndmask_b32_e32 v57, v57, v60, vcc
	v_lshlrev_b32_e32 v42, 24, v42
	v_lshlrev_b32_e32 v57, 20, v57
	v_and_b32_e32 v42, 0x80000000, v42
	v_lshl_add_u32 v40, v40, 23, v56
	v_or3_b32 v40, v42, v40, v57
	v_lshrrev_b32_e32 v60, 16, v40
.LBB945_381:                            ;   in Loop: Header=BB945_215 Depth=1
	s_or_b64 exec, exec, s[18:19]
.LBB945_382:                            ;   in Loop: Header=BB945_215 Depth=1
	s_or_b64 exec, exec, s[16:17]
.LBB945_383:                            ;   in Loop: Header=BB945_215 Depth=1
	s_or_b64 exec, exec, s[14:15]
	s_waitcnt vmcnt(0)
	v_cmp_ne_u16_sdwa s[16:17], v38, v55 src0_sel:BYTE_0 src1_sel:DWORD
	s_and_saveexec_b64 s[14:15], s[16:17]
	s_cbranch_execz .LBB945_389
; %bb.384:                              ;   in Loop: Header=BB945_215 Depth=1
	v_cmp_ne_u16_sdwa s[18:19], v38, s9 src0_sel:BYTE_0 src1_sel:DWORD
	v_mov_b32_e32 v59, 0xffff8000
	s_and_saveexec_b64 s[16:17], s[18:19]
	s_cbranch_execz .LBB945_388
; %bb.385:                              ;   in Loop: Header=BB945_215 Depth=1
	v_and_b32_e32 v40, 0x7f, v38
	v_cmp_ne_u32_e32 vcc, s23, v40
	v_mov_b32_e32 v59, 0x7f80
	s_and_saveexec_b64 s[18:19], vcc
	s_cbranch_execz .LBB945_387
; %bb.386:                              ;   in Loop: Header=BB945_215 Depth=1
	v_and_b32_e32 v42, 7, v38
	v_ffbh_u32_e32 v59, v42
	v_min_u32_e32 v59, 32, v59
	v_subrev_u32_e32 v61, 28, v59
	v_lshlrev_b64 v[62:63], v61, v[38:39]
	v_lshrrev_b32_e32 v57, 3, v40
	v_sub_u32_e32 v59, 29, v59
	v_and_b32_e32 v61, 7, v62
	v_cmp_gt_u32_e32 vcc, 8, v40
	v_cndmask_b32_e32 v40, v57, v59, vcc
	v_cndmask_b32_e32 v42, v42, v61, vcc
	v_lshlrev_b32_e32 v57, 24, v38
	v_lshlrev_b32_e32 v42, 20, v42
	v_and_b32_e32 v57, 0x80000000, v57
	v_lshl_add_u32 v40, v40, 23, v56
	v_or3_b32 v40, v57, v40, v42
	v_lshrrev_b32_e32 v59, 16, v40
.LBB945_387:                            ;   in Loop: Header=BB945_215 Depth=1
	s_or_b64 exec, exec, s[18:19]
.LBB945_388:                            ;   in Loop: Header=BB945_215 Depth=1
	s_or_b64 exec, exec, s[16:17]
.LBB945_389:                            ;   in Loop: Header=BB945_215 Depth=1
	s_or_b64 exec, exec, s[14:15]
	v_lshrrev_b16_e32 v40, 8, v38
	v_cmp_ne_u16_e32 vcc, 0, v40
	v_mov_b32_e32 v62, 0
	v_mov_b32_e32 v61, 0
	s_and_saveexec_b64 s[14:15], vcc
	s_cbranch_execz .LBB945_395
; %bb.390:                              ;   in Loop: Header=BB945_215 Depth=1
	v_cmp_ne_u16_e32 vcc, s9, v40
	v_mov_b32_e32 v61, 0xffff8000
	s_and_saveexec_b64 s[16:17], vcc
	s_cbranch_execz .LBB945_394
; %bb.391:                              ;   in Loop: Header=BB945_215 Depth=1
	v_and_b32_e32 v42, 0x7f, v40
	v_cmp_ne_u32_e32 vcc, s23, v42
	v_mov_b32_e32 v61, 0x7f80
	s_and_saveexec_b64 s[18:19], vcc
	s_cbranch_execz .LBB945_393
; %bb.392:                              ;   in Loop: Header=BB945_215 Depth=1
	v_and_b32_e32 v57, 7, v40
	v_ffbh_u32_e32 v63, v57
	v_min_u32_e32 v63, 32, v63
	v_subrev_u32_e32 v64, 28, v63
	v_lshlrev_b64 v[64:65], v64, v[40:41]
	v_lshrrev_b32_e32 v61, 3, v42
	v_sub_u32_e32 v40, 29, v63
	v_and_b32_e32 v63, 7, v64
	v_cmp_gt_u32_e32 vcc, 8, v42
	v_cndmask_b32_e32 v40, v61, v40, vcc
	v_cndmask_b32_e32 v42, v57, v63, vcc
	v_lshlrev_b32_e32 v57, 16, v38
	v_lshlrev_b32_e32 v42, 20, v42
	v_and_b32_e32 v57, 0x80000000, v57
	v_lshl_add_u32 v40, v40, 23, v56
	v_or3_b32 v40, v57, v40, v42
	v_lshrrev_b32_e32 v61, 16, v40
.LBB945_393:                            ;   in Loop: Header=BB945_215 Depth=1
	s_or_b64 exec, exec, s[18:19]
.LBB945_394:                            ;   in Loop: Header=BB945_215 Depth=1
	s_or_b64 exec, exec, s[16:17]
.LBB945_395:                            ;   in Loop: Header=BB945_215 Depth=1
	s_or_b64 exec, exec, s[14:15]
	v_lshrrev_b32_e32 v40, 16, v38
	v_cmp_ne_u16_sdwa s[16:17], v40, v55 src0_sel:BYTE_0 src1_sel:DWORD
	s_and_saveexec_b64 s[14:15], s[16:17]
	s_cbranch_execz .LBB945_401
; %bb.396:                              ;   in Loop: Header=BB945_215 Depth=1
	v_cmp_ne_u16_sdwa s[18:19], v40, s9 src0_sel:BYTE_0 src1_sel:DWORD
	v_mov_b32_e32 v62, 0xffff8000
	s_and_saveexec_b64 s[16:17], s[18:19]
	s_cbranch_execz .LBB945_400
; %bb.397:                              ;   in Loop: Header=BB945_215 Depth=1
	v_bfe_u32 v42, v38, 16, 7
	v_cmp_ne_u32_e32 vcc, s23, v42
	v_mov_b32_e32 v62, 0x7f80
	s_and_saveexec_b64 s[18:19], vcc
	s_cbranch_execz .LBB945_399
; %bb.398:                              ;   in Loop: Header=BB945_215 Depth=1
	v_and_b32_e32 v57, 7, v40
	v_ffbh_u32_e32 v62, v57
	v_min_u32_e32 v65, 32, v62
	v_subrev_u32_e32 v62, 28, v65
	v_lshlrev_b64 v[62:63], v62, v[40:41]
	v_lshrrev_b32_e32 v64, 3, v42
	v_sub_u32_e32 v63, 29, v65
	v_and_b32_e32 v62, 7, v62
	v_cmp_gt_u32_e32 vcc, 8, v42
	v_cndmask_b32_e32 v42, v64, v63, vcc
	v_cndmask_b32_e32 v57, v57, v62, vcc
	v_lshlrev_b32_e32 v40, 24, v40
	v_lshlrev_b32_e32 v57, 20, v57
	v_and_b32_e32 v40, 0x80000000, v40
	v_lshl_add_u32 v42, v42, 23, v56
	v_or3_b32 v40, v40, v42, v57
	v_lshrrev_b32_e32 v62, 16, v40
.LBB945_399:                            ;   in Loop: Header=BB945_215 Depth=1
	s_or_b64 exec, exec, s[18:19]
.LBB945_400:                            ;   in Loop: Header=BB945_215 Depth=1
	s_or_b64 exec, exec, s[16:17]
.LBB945_401:                            ;   in Loop: Header=BB945_215 Depth=1
	s_or_b64 exec, exec, s[14:15]
	v_cmp_lt_u32_e32 vcc, s24, v38
	v_mov_b32_e32 v57, 0
	v_mov_b32_e32 v63, 0
	s_and_saveexec_b64 s[14:15], vcc
	s_cbranch_execz .LBB945_407
; %bb.402:                              ;   in Loop: Header=BB945_215 Depth=1
	v_lshrrev_b32_e32 v40, 24, v38
	v_cmp_ne_u32_e32 vcc, s9, v40
	v_mov_b32_e32 v63, 0xffff8000
	s_and_saveexec_b64 s[16:17], vcc
	s_cbranch_execz .LBB945_406
; %bb.403:                              ;   in Loop: Header=BB945_215 Depth=1
	v_bfe_u32 v38, v38, 24, 7
	v_cmp_ne_u32_e32 vcc, s23, v38
	v_mov_b32_e32 v63, 0x7f80
	s_and_saveexec_b64 s[18:19], vcc
	s_cbranch_execz .LBB945_405
; %bb.404:                              ;   in Loop: Header=BB945_215 Depth=1
	v_and_b32_e32 v42, 7, v40
	v_ffbh_u32_e32 v64, v42
	v_min_u32_e32 v66, 32, v64
	v_subrev_u32_e32 v64, 28, v66
	v_lshlrev_b64 v[64:65], v64, v[40:41]
	v_lshrrev_b32_e32 v63, 3, v38
	v_sub_u32_e32 v65, 29, v66
	v_and_b32_e32 v64, 7, v64
	v_cmp_gt_u32_e32 vcc, 8, v38
	v_cndmask_b32_e32 v38, v63, v65, vcc
	v_cndmask_b32_e32 v42, v42, v64, vcc
	v_lshlrev_b32_e32 v40, 24, v40
	v_lshlrev_b32_e32 v42, 20, v42
	v_and_b32_e32 v40, 0x80000000, v40
	v_lshl_add_u32 v38, v38, 23, v56
	v_or3_b32 v38, v40, v38, v42
	v_lshrrev_b32_e32 v63, 16, v38
.LBB945_405:                            ;   in Loop: Header=BB945_215 Depth=1
	s_or_b64 exec, exec, s[18:19]
.LBB945_406:                            ;   in Loop: Header=BB945_215 Depth=1
	s_or_b64 exec, exec, s[16:17]
.LBB945_407:                            ;   in Loop: Header=BB945_215 Depth=1
	s_or_b64 exec, exec, s[14:15]
	v_perm_b32 v64, v44, v46, s25
	buffer_load_dword v44, v52, s[0:3], 0 offen
	buffer_load_dword v42, v52, s[0:3], 0 offen offset:4
	buffer_load_dword v40, v52, s[0:3], 0 offen offset:8
	;; [unrolled: 1-line block ×3, first 2 shown]
	v_perm_b32 v65, v60, v58, s25
	v_perm_b32 v63, v63, v62, s25
	;; [unrolled: 1-line block ×3, first 2 shown]
	v_mfma_f32_16x16x16bf16_1k v[34:37], v[64:65], v[14:15], v[34:37]
	s_waitcnt vmcnt(3)
	v_cmp_ne_u16_sdwa s[16:17], v44, v55 src0_sel:BYTE_0 src1_sel:DWORD
	v_mfma_f32_16x16x16bf16_1k v[34:37], v[62:63], v[16:17], v[34:37]
	s_and_saveexec_b64 s[14:15], s[16:17]
	s_cbranch_execz .LBB945_413
; %bb.408:                              ;   in Loop: Header=BB945_215 Depth=1
	v_cmp_ne_u16_sdwa s[18:19], v44, s9 src0_sel:BYTE_0 src1_sel:DWORD
	v_mov_b32_e32 v57, 0xffff8000
	s_and_saveexec_b64 s[16:17], s[18:19]
	s_cbranch_execz .LBB945_412
; %bb.409:                              ;   in Loop: Header=BB945_215 Depth=1
	v_and_b32_e32 v46, 0x7f, v44
	v_cmp_ne_u32_e32 vcc, s23, v46
	v_mov_b32_e32 v57, 0x7f80
	s_and_saveexec_b64 s[18:19], vcc
	s_cbranch_execz .LBB945_411
; %bb.410:                              ;   in Loop: Header=BB945_215 Depth=1
	v_and_b32_e32 v52, 7, v44
	v_ffbh_u32_e32 v58, v52
	v_min_u32_e32 v60, 32, v58
	v_subrev_u32_e32 v58, 28, v60
	v_lshlrev_b64 v[58:59], v58, v[44:45]
	v_lshrrev_b32_e32 v57, 3, v46
	v_sub_u32_e32 v59, 29, v60
	v_and_b32_e32 v58, 7, v58
	v_cmp_gt_u32_e32 vcc, 8, v46
	v_cndmask_b32_e32 v46, v57, v59, vcc
	v_cndmask_b32_e32 v52, v52, v58, vcc
	v_lshlrev_b32_e32 v57, 24, v44
	v_lshlrev_b32_e32 v52, 20, v52
	v_and_b32_e32 v57, 0x80000000, v57
	v_lshl_add_u32 v46, v46, 23, v56
	v_or3_b32 v46, v57, v46, v52
	v_lshrrev_b32_e32 v57, 16, v46
.LBB945_411:                            ;   in Loop: Header=BB945_215 Depth=1
	s_or_b64 exec, exec, s[18:19]
.LBB945_412:                            ;   in Loop: Header=BB945_215 Depth=1
	s_or_b64 exec, exec, s[16:17]
.LBB945_413:                            ;   in Loop: Header=BB945_215 Depth=1
	s_or_b64 exec, exec, s[14:15]
	v_lshrrev_b16_e32 v46, 8, v44
	v_cmp_ne_u16_e32 vcc, 0, v46
	v_mov_b32_e32 v58, 0
	v_mov_b32_e32 v52, 0
	s_and_saveexec_b64 s[14:15], vcc
	s_cbranch_execz .LBB945_419
; %bb.414:                              ;   in Loop: Header=BB945_215 Depth=1
	v_cmp_ne_u16_e32 vcc, s9, v46
	v_mov_b32_e32 v52, 0xffff8000
	s_and_saveexec_b64 s[16:17], vcc
	s_cbranch_execz .LBB945_418
; %bb.415:                              ;   in Loop: Header=BB945_215 Depth=1
	v_and_b32_e32 v59, 0x7f, v46
	v_cmp_ne_u32_e32 vcc, s23, v59
	v_mov_b32_e32 v52, 0x7f80
	s_and_saveexec_b64 s[18:19], vcc
	s_cbranch_execz .LBB945_417
; %bb.416:                              ;   in Loop: Header=BB945_215 Depth=1
	v_and_b32_e32 v52, 7, v46
	v_ffbh_u32_e32 v60, v52
	v_min_u32_e32 v63, 32, v60
	v_subrev_u32_e32 v60, 28, v63
	v_lshlrev_b64 v[60:61], v60, v[46:47]
	v_lshrrev_b32_e32 v62, 3, v59
	v_sub_u32_e32 v46, 29, v63
	v_and_b32_e32 v60, 7, v60
	v_cmp_gt_u32_e32 vcc, 8, v59
	v_cndmask_b32_e32 v46, v62, v46, vcc
	v_cndmask_b32_e32 v52, v52, v60, vcc
	v_lshlrev_b32_e32 v59, 16, v44
	v_lshlrev_b32_e32 v52, 20, v52
	v_and_b32_e32 v59, 0x80000000, v59
	v_lshl_add_u32 v46, v46, 23, v56
	v_or3_b32 v46, v59, v46, v52
	v_lshrrev_b32_e32 v52, 16, v46
.LBB945_417:                            ;   in Loop: Header=BB945_215 Depth=1
	s_or_b64 exec, exec, s[18:19]
.LBB945_418:                            ;   in Loop: Header=BB945_215 Depth=1
	s_or_b64 exec, exec, s[16:17]
.LBB945_419:                            ;   in Loop: Header=BB945_215 Depth=1
	s_or_b64 exec, exec, s[14:15]
	v_lshrrev_b32_e32 v46, 16, v44
	v_cmp_ne_u16_sdwa s[16:17], v46, v55 src0_sel:BYTE_0 src1_sel:DWORD
	s_and_saveexec_b64 s[14:15], s[16:17]
	s_cbranch_execz .LBB945_425
; %bb.420:                              ;   in Loop: Header=BB945_215 Depth=1
	v_cmp_ne_u16_sdwa s[18:19], v46, s9 src0_sel:BYTE_0 src1_sel:DWORD
	v_mov_b32_e32 v58, 0xffff8000
	s_and_saveexec_b64 s[16:17], s[18:19]
	s_cbranch_execz .LBB945_424
; %bb.421:                              ;   in Loop: Header=BB945_215 Depth=1
	v_bfe_u32 v59, v44, 16, 7
	v_cmp_ne_u32_e32 vcc, s23, v59
	v_mov_b32_e32 v58, 0x7f80
	s_and_saveexec_b64 s[18:19], vcc
	s_cbranch_execz .LBB945_423
; %bb.422:                              ;   in Loop: Header=BB945_215 Depth=1
	v_and_b32_e32 v58, 7, v46
	v_ffbh_u32_e32 v60, v58
	v_min_u32_e32 v63, 32, v60
	v_subrev_u32_e32 v60, 28, v63
	v_lshlrev_b64 v[60:61], v60, v[46:47]
	v_lshrrev_b32_e32 v62, 3, v59
	v_sub_u32_e32 v61, 29, v63
	v_and_b32_e32 v60, 7, v60
	v_cmp_gt_u32_e32 vcc, 8, v59
	v_cndmask_b32_e32 v59, v62, v61, vcc
	v_cndmask_b32_e32 v58, v58, v60, vcc
	v_lshlrev_b32_e32 v46, 24, v46
	v_lshlrev_b32_e32 v58, 20, v58
	v_and_b32_e32 v46, 0x80000000, v46
	v_lshl_add_u32 v59, v59, 23, v56
	v_or3_b32 v46, v46, v59, v58
	v_lshrrev_b32_e32 v58, 16, v46
.LBB945_423:                            ;   in Loop: Header=BB945_215 Depth=1
	s_or_b64 exec, exec, s[18:19]
.LBB945_424:                            ;   in Loop: Header=BB945_215 Depth=1
	s_or_b64 exec, exec, s[16:17]
.LBB945_425:                            ;   in Loop: Header=BB945_215 Depth=1
	s_or_b64 exec, exec, s[14:15]
	v_cmp_lt_u32_e32 vcc, s24, v44
	v_mov_b32_e32 v59, 0
	v_mov_b32_e32 v60, 0
	s_and_saveexec_b64 s[14:15], vcc
	s_cbranch_execz .LBB945_431
; %bb.426:                              ;   in Loop: Header=BB945_215 Depth=1
	v_lshrrev_b32_e32 v46, 24, v44
	v_cmp_ne_u32_e32 vcc, s9, v46
	v_mov_b32_e32 v60, 0xffff8000
	s_and_saveexec_b64 s[16:17], vcc
	s_cbranch_execz .LBB945_430
; %bb.427:                              ;   in Loop: Header=BB945_215 Depth=1
	v_bfe_u32 v44, v44, 24, 7
	v_cmp_ne_u32_e32 vcc, s23, v44
	v_mov_b32_e32 v60, 0x7f80
	s_and_saveexec_b64 s[18:19], vcc
	s_cbranch_execz .LBB945_429
; %bb.428:                              ;   in Loop: Header=BB945_215 Depth=1
	v_and_b32_e32 v62, 7, v46
	v_ffbh_u32_e32 v60, v62
	v_min_u32_e32 v64, 32, v60
	v_subrev_u32_e32 v60, 28, v64
	v_lshlrev_b64 v[60:61], v60, v[46:47]
	v_lshrrev_b32_e32 v63, 3, v44
	v_sub_u32_e32 v61, 29, v64
	v_and_b32_e32 v60, 7, v60
	v_cmp_gt_u32_e32 vcc, 8, v44
	v_cndmask_b32_e32 v44, v63, v61, vcc
	v_cndmask_b32_e32 v60, v62, v60, vcc
	v_lshlrev_b32_e32 v46, 24, v46
	v_lshlrev_b32_e32 v60, 20, v60
	v_and_b32_e32 v46, 0x80000000, v46
	v_lshl_add_u32 v44, v44, 23, v56
	v_or3_b32 v44, v46, v44, v60
	v_lshrrev_b32_e32 v60, 16, v44
.LBB945_429:                            ;   in Loop: Header=BB945_215 Depth=1
	s_or_b64 exec, exec, s[18:19]
.LBB945_430:                            ;   in Loop: Header=BB945_215 Depth=1
	s_or_b64 exec, exec, s[16:17]
.LBB945_431:                            ;   in Loop: Header=BB945_215 Depth=1
	s_or_b64 exec, exec, s[14:15]
	s_waitcnt vmcnt(2)
	v_cmp_ne_u16_sdwa s[16:17], v42, v55 src0_sel:BYTE_0 src1_sel:DWORD
	s_and_saveexec_b64 s[14:15], s[16:17]
	s_cbranch_execz .LBB945_437
; %bb.432:                              ;   in Loop: Header=BB945_215 Depth=1
	v_cmp_ne_u16_sdwa s[18:19], v42, s9 src0_sel:BYTE_0 src1_sel:DWORD
	v_mov_b32_e32 v59, 0xffff8000
	s_and_saveexec_b64 s[16:17], s[18:19]
	s_cbranch_execz .LBB945_436
; %bb.433:                              ;   in Loop: Header=BB945_215 Depth=1
	v_and_b32_e32 v44, 0x7f, v42
	v_cmp_ne_u32_e32 vcc, s23, v44
	v_mov_b32_e32 v59, 0x7f80
	s_and_saveexec_b64 s[18:19], vcc
	s_cbranch_execz .LBB945_435
; %bb.434:                              ;   in Loop: Header=BB945_215 Depth=1
	v_and_b32_e32 v46, 7, v42
	v_ffbh_u32_e32 v61, v46
	v_min_u32_e32 v61, 32, v61
	v_subrev_u32_e32 v62, 28, v61
	v_lshlrev_b64 v[62:63], v62, v[42:43]
	v_lshrrev_b32_e32 v59, 3, v44
	v_sub_u32_e32 v61, 29, v61
	v_and_b32_e32 v62, 7, v62
	v_cmp_gt_u32_e32 vcc, 8, v44
	v_cndmask_b32_e32 v44, v59, v61, vcc
	v_cndmask_b32_e32 v46, v46, v62, vcc
	v_lshlrev_b32_e32 v59, 24, v42
	v_lshlrev_b32_e32 v46, 20, v46
	v_and_b32_e32 v59, 0x80000000, v59
	v_lshl_add_u32 v44, v44, 23, v56
	v_or3_b32 v44, v59, v44, v46
	v_lshrrev_b32_e32 v59, 16, v44
.LBB945_435:                            ;   in Loop: Header=BB945_215 Depth=1
	s_or_b64 exec, exec, s[18:19]
.LBB945_436:                            ;   in Loop: Header=BB945_215 Depth=1
	s_or_b64 exec, exec, s[16:17]
.LBB945_437:                            ;   in Loop: Header=BB945_215 Depth=1
	s_or_b64 exec, exec, s[14:15]
	v_lshrrev_b16_e32 v44, 8, v42
	v_cmp_ne_u16_e32 vcc, 0, v44
	v_mov_b32_e32 v62, 0
	v_mov_b32_e32 v61, 0
	s_and_saveexec_b64 s[14:15], vcc
	s_cbranch_execz .LBB945_443
; %bb.438:                              ;   in Loop: Header=BB945_215 Depth=1
	v_cmp_ne_u16_e32 vcc, s9, v44
	v_mov_b32_e32 v61, 0xffff8000
	s_and_saveexec_b64 s[16:17], vcc
	s_cbranch_execz .LBB945_442
; %bb.439:                              ;   in Loop: Header=BB945_215 Depth=1
	v_and_b32_e32 v46, 0x7f, v44
	v_cmp_ne_u32_e32 vcc, s23, v46
	v_mov_b32_e32 v61, 0x7f80
	s_and_saveexec_b64 s[18:19], vcc
	s_cbranch_execz .LBB945_441
; %bb.440:                              ;   in Loop: Header=BB945_215 Depth=1
	v_and_b32_e32 v61, 7, v44
	v_ffbh_u32_e32 v64, v61
	v_min_u32_e32 v66, 32, v64
	v_subrev_u32_e32 v64, 28, v66
	v_lshlrev_b64 v[64:65], v64, v[44:45]
	v_lshrrev_b32_e32 v63, 3, v46
	v_sub_u32_e32 v44, 29, v66
	v_and_b32_e32 v64, 7, v64
	v_cmp_gt_u32_e32 vcc, 8, v46
	v_cndmask_b32_e32 v44, v63, v44, vcc
	v_cndmask_b32_e32 v46, v61, v64, vcc
	v_lshlrev_b32_e32 v61, 16, v42
	v_lshlrev_b32_e32 v46, 20, v46
	v_and_b32_e32 v61, 0x80000000, v61
	v_lshl_add_u32 v44, v44, 23, v56
	v_or3_b32 v44, v61, v44, v46
	v_lshrrev_b32_e32 v61, 16, v44
.LBB945_441:                            ;   in Loop: Header=BB945_215 Depth=1
	s_or_b64 exec, exec, s[18:19]
.LBB945_442:                            ;   in Loop: Header=BB945_215 Depth=1
	s_or_b64 exec, exec, s[16:17]
.LBB945_443:                            ;   in Loop: Header=BB945_215 Depth=1
	s_or_b64 exec, exec, s[14:15]
	v_lshrrev_b32_e32 v44, 16, v42
	v_cmp_ne_u16_sdwa s[16:17], v44, v55 src0_sel:BYTE_0 src1_sel:DWORD
	s_and_saveexec_b64 s[14:15], s[16:17]
	s_cbranch_execz .LBB945_449
; %bb.444:                              ;   in Loop: Header=BB945_215 Depth=1
	v_cmp_ne_u16_sdwa s[18:19], v44, s9 src0_sel:BYTE_0 src1_sel:DWORD
	v_mov_b32_e32 v62, 0xffff8000
	s_and_saveexec_b64 s[16:17], s[18:19]
	s_cbranch_execz .LBB945_448
; %bb.445:                              ;   in Loop: Header=BB945_215 Depth=1
	v_bfe_u32 v46, v42, 16, 7
	v_cmp_ne_u32_e32 vcc, s23, v46
	v_mov_b32_e32 v62, 0x7f80
	s_and_saveexec_b64 s[18:19], vcc
	s_cbranch_execz .LBB945_447
; %bb.446:                              ;   in Loop: Header=BB945_215 Depth=1
	v_and_b32_e32 v64, 7, v44
	v_ffbh_u32_e32 v62, v64
	v_min_u32_e32 v66, 32, v62
	v_subrev_u32_e32 v62, 28, v66
	v_lshlrev_b64 v[62:63], v62, v[44:45]
	v_lshrrev_b32_e32 v65, 3, v46
	v_sub_u32_e32 v63, 29, v66
	v_and_b32_e32 v62, 7, v62
	v_cmp_gt_u32_e32 vcc, 8, v46
	v_cndmask_b32_e32 v46, v65, v63, vcc
	v_cndmask_b32_e32 v62, v64, v62, vcc
	v_lshlrev_b32_e32 v44, 24, v44
	v_lshlrev_b32_e32 v62, 20, v62
	v_and_b32_e32 v44, 0x80000000, v44
	v_lshl_add_u32 v46, v46, 23, v56
	v_or3_b32 v44, v44, v46, v62
	v_lshrrev_b32_e32 v62, 16, v44
.LBB945_447:                            ;   in Loop: Header=BB945_215 Depth=1
	s_or_b64 exec, exec, s[18:19]
.LBB945_448:                            ;   in Loop: Header=BB945_215 Depth=1
	s_or_b64 exec, exec, s[16:17]
.LBB945_449:                            ;   in Loop: Header=BB945_215 Depth=1
	s_or_b64 exec, exec, s[14:15]
	v_cmp_lt_u32_e32 vcc, s24, v42
	v_mov_b32_e32 v46, 0
	v_mov_b32_e32 v63, 0
	s_and_saveexec_b64 s[14:15], vcc
	s_cbranch_execz .LBB945_455
; %bb.450:                              ;   in Loop: Header=BB945_215 Depth=1
	v_lshrrev_b32_e32 v44, 24, v42
	v_cmp_ne_u32_e32 vcc, s9, v44
	v_mov_b32_e32 v63, 0xffff8000
	s_and_saveexec_b64 s[16:17], vcc
	s_cbranch_execz .LBB945_454
; %bb.451:                              ;   in Loop: Header=BB945_215 Depth=1
	v_bfe_u32 v42, v42, 24, 7
	v_cmp_ne_u32_e32 vcc, s23, v42
	v_mov_b32_e32 v63, 0x7f80
	s_and_saveexec_b64 s[18:19], vcc
	s_cbranch_execz .LBB945_453
; %bb.452:                              ;   in Loop: Header=BB945_215 Depth=1
	v_and_b32_e32 v63, 7, v44
	v_ffbh_u32_e32 v64, v63
	v_min_u32_e32 v67, 32, v64
	v_subrev_u32_e32 v64, 28, v67
	v_lshlrev_b64 v[64:65], v64, v[44:45]
	v_lshrrev_b32_e32 v66, 3, v42
	v_sub_u32_e32 v65, 29, v67
	v_and_b32_e32 v64, 7, v64
	v_cmp_gt_u32_e32 vcc, 8, v42
	v_cndmask_b32_e32 v42, v66, v65, vcc
	v_cndmask_b32_e32 v63, v63, v64, vcc
	v_lshlrev_b32_e32 v44, 24, v44
	v_lshlrev_b32_e32 v63, 20, v63
	v_and_b32_e32 v44, 0x80000000, v44
	v_lshl_add_u32 v42, v42, 23, v56
	v_or3_b32 v42, v44, v42, v63
	v_lshrrev_b32_e32 v63, 16, v42
.LBB945_453:                            ;   in Loop: Header=BB945_215 Depth=1
	s_or_b64 exec, exec, s[18:19]
.LBB945_454:                            ;   in Loop: Header=BB945_215 Depth=1
	s_or_b64 exec, exec, s[16:17]
.LBB945_455:                            ;   in Loop: Header=BB945_215 Depth=1
	s_or_b64 exec, exec, s[14:15]
	v_perm_b32 v65, v60, v58, s25
	v_perm_b32 v64, v52, v57, s25
	;; [unrolled: 1-line block ×4, first 2 shown]
	s_waitcnt vmcnt(1)
	v_cmp_ne_u16_sdwa s[16:17], v40, v55 src0_sel:BYTE_0 src1_sel:DWORD
	v_mfma_f32_16x16x16bf16_1k v[34:37], v[64:65], v[18:19], v[34:37]
	v_mfma_f32_16x16x16bf16_1k v[34:37], v[62:63], v[20:21], v[34:37]
	s_and_saveexec_b64 s[14:15], s[16:17]
	s_cbranch_execz .LBB945_461
; %bb.456:                              ;   in Loop: Header=BB945_215 Depth=1
	v_cmp_ne_u16_sdwa s[18:19], v40, s9 src0_sel:BYTE_0 src1_sel:DWORD
	v_mov_b32_e32 v46, 0xffff8000
	s_and_saveexec_b64 s[16:17], s[18:19]
	s_cbranch_execz .LBB945_460
; %bb.457:                              ;   in Loop: Header=BB945_215 Depth=1
	v_and_b32_e32 v42, 0x7f, v40
	v_cmp_ne_u32_e32 vcc, s23, v42
	v_mov_b32_e32 v46, 0x7f80
	s_and_saveexec_b64 s[18:19], vcc
	s_cbranch_execz .LBB945_459
; %bb.458:                              ;   in Loop: Header=BB945_215 Depth=1
	v_and_b32_e32 v44, 7, v40
	v_ffbh_u32_e32 v52, v44
	v_min_u32_e32 v52, 32, v52
	v_subrev_u32_e32 v57, 28, v52
	v_lshlrev_b64 v[58:59], v57, v[40:41]
	v_lshrrev_b32_e32 v46, 3, v42
	v_sub_u32_e32 v52, 29, v52
	v_and_b32_e32 v57, 7, v58
	v_cmp_gt_u32_e32 vcc, 8, v42
	v_cndmask_b32_e32 v42, v46, v52, vcc
	v_cndmask_b32_e32 v44, v44, v57, vcc
	v_lshlrev_b32_e32 v46, 24, v40
	v_lshlrev_b32_e32 v44, 20, v44
	v_and_b32_e32 v46, 0x80000000, v46
	v_lshl_add_u32 v42, v42, 23, v56
	v_or3_b32 v42, v46, v42, v44
	v_lshrrev_b32_e32 v46, 16, v42
.LBB945_459:                            ;   in Loop: Header=BB945_215 Depth=1
	s_or_b64 exec, exec, s[18:19]
.LBB945_460:                            ;   in Loop: Header=BB945_215 Depth=1
	s_or_b64 exec, exec, s[16:17]
.LBB945_461:                            ;   in Loop: Header=BB945_215 Depth=1
	s_or_b64 exec, exec, s[14:15]
	v_lshrrev_b16_e32 v42, 8, v40
	v_cmp_ne_u16_e32 vcc, 0, v42
	v_mov_b32_e32 v57, 0
	v_mov_b32_e32 v44, 0
	s_and_saveexec_b64 s[14:15], vcc
	s_cbranch_execz .LBB945_467
; %bb.462:                              ;   in Loop: Header=BB945_215 Depth=1
	v_cmp_ne_u16_e32 vcc, s9, v42
	v_mov_b32_e32 v44, 0xffff8000
	s_and_saveexec_b64 s[16:17], vcc
	s_cbranch_execz .LBB945_466
; %bb.463:                              ;   in Loop: Header=BB945_215 Depth=1
	v_and_b32_e32 v52, 0x7f, v42
	v_cmp_ne_u32_e32 vcc, s23, v52
	v_mov_b32_e32 v44, 0x7f80
	s_and_saveexec_b64 s[18:19], vcc
	s_cbranch_execz .LBB945_465
; %bb.464:                              ;   in Loop: Header=BB945_215 Depth=1
	v_and_b32_e32 v44, 7, v42
	v_ffbh_u32_e32 v58, v44
	v_min_u32_e32 v61, 32, v58
	v_subrev_u32_e32 v58, 28, v61
	v_lshlrev_b64 v[58:59], v58, v[42:43]
	v_lshrrev_b32_e32 v60, 3, v52
	v_sub_u32_e32 v42, 29, v61
	v_and_b32_e32 v58, 7, v58
	v_cmp_gt_u32_e32 vcc, 8, v52
	v_cndmask_b32_e32 v42, v60, v42, vcc
	v_cndmask_b32_e32 v44, v44, v58, vcc
	v_lshlrev_b32_e32 v52, 16, v40
	v_lshlrev_b32_e32 v44, 20, v44
	v_and_b32_e32 v52, 0x80000000, v52
	v_lshl_add_u32 v42, v42, 23, v56
	v_or3_b32 v42, v52, v42, v44
	v_lshrrev_b32_e32 v44, 16, v42
.LBB945_465:                            ;   in Loop: Header=BB945_215 Depth=1
	s_or_b64 exec, exec, s[18:19]
.LBB945_466:                            ;   in Loop: Header=BB945_215 Depth=1
	s_or_b64 exec, exec, s[16:17]
.LBB945_467:                            ;   in Loop: Header=BB945_215 Depth=1
	s_or_b64 exec, exec, s[14:15]
	v_lshrrev_b32_e32 v42, 16, v40
	v_cmp_ne_u16_sdwa s[16:17], v42, v55 src0_sel:BYTE_0 src1_sel:DWORD
	s_and_saveexec_b64 s[14:15], s[16:17]
	s_cbranch_execz .LBB945_473
; %bb.468:                              ;   in Loop: Header=BB945_215 Depth=1
	v_cmp_ne_u16_sdwa s[18:19], v42, s9 src0_sel:BYTE_0 src1_sel:DWORD
	v_mov_b32_e32 v57, 0xffff8000
	s_and_saveexec_b64 s[16:17], s[18:19]
	s_cbranch_execz .LBB945_472
; %bb.469:                              ;   in Loop: Header=BB945_215 Depth=1
	v_bfe_u32 v52, v40, 16, 7
	v_cmp_ne_u32_e32 vcc, s23, v52
	v_mov_b32_e32 v57, 0x7f80
	s_and_saveexec_b64 s[18:19], vcc
	s_cbranch_execz .LBB945_471
; %bb.470:                              ;   in Loop: Header=BB945_215 Depth=1
	v_and_b32_e32 v57, 7, v42
	v_ffbh_u32_e32 v58, v57
	v_min_u32_e32 v61, 32, v58
	v_subrev_u32_e32 v58, 28, v61
	v_lshlrev_b64 v[58:59], v58, v[42:43]
	v_lshrrev_b32_e32 v60, 3, v52
	v_sub_u32_e32 v59, 29, v61
	v_and_b32_e32 v58, 7, v58
	v_cmp_gt_u32_e32 vcc, 8, v52
	v_cndmask_b32_e32 v52, v60, v59, vcc
	v_cndmask_b32_e32 v57, v57, v58, vcc
	v_lshlrev_b32_e32 v42, 24, v42
	v_lshlrev_b32_e32 v57, 20, v57
	v_and_b32_e32 v42, 0x80000000, v42
	v_lshl_add_u32 v52, v52, 23, v56
	v_or3_b32 v42, v42, v52, v57
	v_lshrrev_b32_e32 v57, 16, v42
.LBB945_471:                            ;   in Loop: Header=BB945_215 Depth=1
	s_or_b64 exec, exec, s[18:19]
.LBB945_472:                            ;   in Loop: Header=BB945_215 Depth=1
	s_or_b64 exec, exec, s[16:17]
.LBB945_473:                            ;   in Loop: Header=BB945_215 Depth=1
	s_or_b64 exec, exec, s[14:15]
	v_cmp_lt_u32_e32 vcc, s24, v40
	v_mov_b32_e32 v58, 0
	v_mov_b32_e32 v59, 0
	s_and_saveexec_b64 s[14:15], vcc
	s_cbranch_execz .LBB945_479
; %bb.474:                              ;   in Loop: Header=BB945_215 Depth=1
	v_lshrrev_b32_e32 v42, 24, v40
	v_cmp_ne_u32_e32 vcc, s9, v42
	v_mov_b32_e32 v59, 0xffff8000
	s_and_saveexec_b64 s[16:17], vcc
	s_cbranch_execz .LBB945_478
; %bb.475:                              ;   in Loop: Header=BB945_215 Depth=1
	v_bfe_u32 v40, v40, 24, 7
	v_cmp_ne_u32_e32 vcc, s23, v40
	v_mov_b32_e32 v59, 0x7f80
	s_and_saveexec_b64 s[18:19], vcc
	s_cbranch_execz .LBB945_477
; %bb.476:                              ;   in Loop: Header=BB945_215 Depth=1
	v_and_b32_e32 v52, 7, v42
	v_ffbh_u32_e32 v60, v52
	v_min_u32_e32 v62, 32, v60
	v_subrev_u32_e32 v60, 28, v62
	v_lshlrev_b64 v[60:61], v60, v[42:43]
	v_lshrrev_b32_e32 v59, 3, v40
	v_sub_u32_e32 v61, 29, v62
	v_and_b32_e32 v60, 7, v60
	v_cmp_gt_u32_e32 vcc, 8, v40
	v_cndmask_b32_e32 v40, v59, v61, vcc
	v_cndmask_b32_e32 v52, v52, v60, vcc
	v_lshlrev_b32_e32 v42, 24, v42
	v_lshlrev_b32_e32 v52, 20, v52
	v_and_b32_e32 v42, 0x80000000, v42
	v_lshl_add_u32 v40, v40, 23, v56
	v_or3_b32 v40, v42, v40, v52
	v_lshrrev_b32_e32 v59, 16, v40
.LBB945_477:                            ;   in Loop: Header=BB945_215 Depth=1
	s_or_b64 exec, exec, s[18:19]
.LBB945_478:                            ;   in Loop: Header=BB945_215 Depth=1
	s_or_b64 exec, exec, s[16:17]
.LBB945_479:                            ;   in Loop: Header=BB945_215 Depth=1
	s_or_b64 exec, exec, s[14:15]
	s_waitcnt vmcnt(0)
	v_cmp_ne_u16_sdwa s[16:17], v38, v55 src0_sel:BYTE_0 src1_sel:DWORD
	s_and_saveexec_b64 s[14:15], s[16:17]
	s_cbranch_execz .LBB945_485
; %bb.480:                              ;   in Loop: Header=BB945_215 Depth=1
	v_cmp_ne_u16_sdwa s[18:19], v38, s9 src0_sel:BYTE_0 src1_sel:DWORD
	v_mov_b32_e32 v58, 0xffff8000
	s_and_saveexec_b64 s[16:17], s[18:19]
	s_cbranch_execz .LBB945_484
; %bb.481:                              ;   in Loop: Header=BB945_215 Depth=1
	v_and_b32_e32 v40, 0x7f, v38
	v_cmp_ne_u32_e32 vcc, s23, v40
	v_mov_b32_e32 v58, 0x7f80
	s_and_saveexec_b64 s[18:19], vcc
	s_cbranch_execz .LBB945_483
; %bb.482:                              ;   in Loop: Header=BB945_215 Depth=1
	v_and_b32_e32 v42, 7, v38
	v_ffbh_u32_e32 v58, v42
	v_min_u32_e32 v58, 32, v58
	v_subrev_u32_e32 v60, 28, v58
	v_lshlrev_b64 v[60:61], v60, v[38:39]
	v_lshrrev_b32_e32 v52, 3, v40
	v_sub_u32_e32 v58, 29, v58
	v_and_b32_e32 v60, 7, v60
	v_cmp_gt_u32_e32 vcc, 8, v40
	v_cndmask_b32_e32 v40, v52, v58, vcc
	v_cndmask_b32_e32 v42, v42, v60, vcc
	v_lshlrev_b32_e32 v52, 24, v38
	v_lshlrev_b32_e32 v42, 20, v42
	v_and_b32_e32 v52, 0x80000000, v52
	v_lshl_add_u32 v40, v40, 23, v56
	v_or3_b32 v40, v52, v40, v42
	v_lshrrev_b32_e32 v58, 16, v40
.LBB945_483:                            ;   in Loop: Header=BB945_215 Depth=1
	s_or_b64 exec, exec, s[18:19]
.LBB945_484:                            ;   in Loop: Header=BB945_215 Depth=1
	s_or_b64 exec, exec, s[16:17]
.LBB945_485:                            ;   in Loop: Header=BB945_215 Depth=1
	s_or_b64 exec, exec, s[14:15]
	v_lshrrev_b16_e32 v40, 8, v38
	v_cmp_ne_u16_e32 vcc, 0, v40
	v_mov_b32_e32 v61, 0
	v_mov_b32_e32 v60, 0
	s_and_saveexec_b64 s[14:15], vcc
	s_cbranch_execz .LBB945_491
; %bb.486:                              ;   in Loop: Header=BB945_215 Depth=1
	v_cmp_ne_u16_e32 vcc, s9, v40
	v_mov_b32_e32 v60, 0xffff8000
	s_and_saveexec_b64 s[16:17], vcc
	s_cbranch_execz .LBB945_490
; %bb.487:                              ;   in Loop: Header=BB945_215 Depth=1
	v_and_b32_e32 v42, 0x7f, v40
	v_cmp_ne_u32_e32 vcc, s23, v42
	v_mov_b32_e32 v60, 0x7f80
	s_and_saveexec_b64 s[18:19], vcc
	s_cbranch_execz .LBB945_489
; %bb.488:                              ;   in Loop: Header=BB945_215 Depth=1
	v_and_b32_e32 v52, 7, v40
	v_ffbh_u32_e32 v62, v52
	v_min_u32_e32 v64, 32, v62
	v_subrev_u32_e32 v62, 28, v64
	v_lshlrev_b64 v[62:63], v62, v[40:41]
	v_lshrrev_b32_e32 v60, 3, v42
	v_sub_u32_e32 v40, 29, v64
	v_and_b32_e32 v62, 7, v62
	v_cmp_gt_u32_e32 vcc, 8, v42
	v_cndmask_b32_e32 v40, v60, v40, vcc
	v_cndmask_b32_e32 v42, v52, v62, vcc
	v_lshlrev_b32_e32 v52, 16, v38
	v_lshlrev_b32_e32 v42, 20, v42
	v_and_b32_e32 v52, 0x80000000, v52
	v_lshl_add_u32 v40, v40, 23, v56
	v_or3_b32 v40, v52, v40, v42
	v_lshrrev_b32_e32 v60, 16, v40
.LBB945_489:                            ;   in Loop: Header=BB945_215 Depth=1
	s_or_b64 exec, exec, s[18:19]
.LBB945_490:                            ;   in Loop: Header=BB945_215 Depth=1
	s_or_b64 exec, exec, s[16:17]
.LBB945_491:                            ;   in Loop: Header=BB945_215 Depth=1
	s_or_b64 exec, exec, s[14:15]
	v_lshrrev_b32_e32 v40, 16, v38
	v_cmp_ne_u16_sdwa s[16:17], v40, v55 src0_sel:BYTE_0 src1_sel:DWORD
	s_and_saveexec_b64 s[14:15], s[16:17]
	s_cbranch_execz .LBB945_497
; %bb.492:                              ;   in Loop: Header=BB945_215 Depth=1
	v_cmp_ne_u16_sdwa s[18:19], v40, s9 src0_sel:BYTE_0 src1_sel:DWORD
	v_mov_b32_e32 v61, 0xffff8000
	s_and_saveexec_b64 s[16:17], s[18:19]
	s_cbranch_execz .LBB945_496
; %bb.493:                              ;   in Loop: Header=BB945_215 Depth=1
	v_bfe_u32 v42, v38, 16, 7
	v_cmp_ne_u32_e32 vcc, s23, v42
	v_mov_b32_e32 v61, 0x7f80
	s_and_saveexec_b64 s[18:19], vcc
	s_cbranch_execz .LBB945_495
; %bb.494:                              ;   in Loop: Header=BB945_215 Depth=1
	v_and_b32_e32 v52, 7, v40
	v_ffbh_u32_e32 v62, v52
	v_min_u32_e32 v64, 32, v62
	v_subrev_u32_e32 v62, 28, v64
	v_lshlrev_b64 v[62:63], v62, v[40:41]
	v_lshrrev_b32_e32 v61, 3, v42
	v_sub_u32_e32 v63, 29, v64
	v_and_b32_e32 v62, 7, v62
	v_cmp_gt_u32_e32 vcc, 8, v42
	v_cndmask_b32_e32 v42, v61, v63, vcc
	v_cndmask_b32_e32 v52, v52, v62, vcc
	v_lshlrev_b32_e32 v40, 24, v40
	v_lshlrev_b32_e32 v52, 20, v52
	v_and_b32_e32 v40, 0x80000000, v40
	v_lshl_add_u32 v42, v42, 23, v56
	v_or3_b32 v40, v40, v42, v52
	v_lshrrev_b32_e32 v61, 16, v40
.LBB945_495:                            ;   in Loop: Header=BB945_215 Depth=1
	s_or_b64 exec, exec, s[18:19]
.LBB945_496:                            ;   in Loop: Header=BB945_215 Depth=1
	s_or_b64 exec, exec, s[16:17]
.LBB945_497:                            ;   in Loop: Header=BB945_215 Depth=1
	s_or_b64 exec, exec, s[14:15]
	v_cmp_lt_u32_e32 vcc, s24, v38
	v_mov_b32_e32 v52, 0
	v_mov_b32_e32 v62, 0
	s_and_saveexec_b64 s[14:15], vcc
	s_cbranch_execz .LBB945_503
; %bb.498:                              ;   in Loop: Header=BB945_215 Depth=1
	v_lshrrev_b32_e32 v40, 24, v38
	v_cmp_ne_u32_e32 vcc, s9, v40
	v_mov_b32_e32 v62, 0xffff8000
	s_and_saveexec_b64 s[16:17], vcc
	s_cbranch_execz .LBB945_502
; %bb.499:                              ;   in Loop: Header=BB945_215 Depth=1
	v_bfe_u32 v38, v38, 24, 7
	v_cmp_ne_u32_e32 vcc, s23, v38
	v_mov_b32_e32 v62, 0x7f80
	s_and_saveexec_b64 s[18:19], vcc
	s_cbranch_execz .LBB945_501
; %bb.500:                              ;   in Loop: Header=BB945_215 Depth=1
	v_and_b32_e32 v42, 7, v40
	v_ffbh_u32_e32 v62, v42
	v_min_u32_e32 v65, 32, v62
	v_subrev_u32_e32 v62, 28, v65
	v_lshlrev_b64 v[62:63], v62, v[40:41]
	v_lshrrev_b32_e32 v64, 3, v38
	v_sub_u32_e32 v63, 29, v65
	v_and_b32_e32 v62, 7, v62
	v_cmp_gt_u32_e32 vcc, 8, v38
	v_cndmask_b32_e32 v38, v64, v63, vcc
	v_cndmask_b32_e32 v42, v42, v62, vcc
	v_lshlrev_b32_e32 v40, 24, v40
	v_lshlrev_b32_e32 v42, 20, v42
	v_and_b32_e32 v40, 0x80000000, v40
	v_lshl_add_u32 v38, v38, 23, v56
	v_or3_b32 v38, v40, v38, v42
	v_lshrrev_b32_e32 v62, 16, v38
.LBB945_501:                            ;   in Loop: Header=BB945_215 Depth=1
	s_or_b64 exec, exec, s[18:19]
.LBB945_502:                            ;   in Loop: Header=BB945_215 Depth=1
	s_or_b64 exec, exec, s[16:17]
.LBB945_503:                            ;   in Loop: Header=BB945_215 Depth=1
	s_or_b64 exec, exec, s[14:15]
	v_perm_b32 v64, v44, v46, s25
	buffer_load_dword v44, v51, s[0:3], 0 offen
	buffer_load_dword v42, v51, s[0:3], 0 offen offset:4
	buffer_load_dword v40, v51, s[0:3], 0 offen offset:8
	;; [unrolled: 1-line block ×3, first 2 shown]
	v_perm_b32 v65, v59, v57, s25
	v_perm_b32 v59, v62, v61, s25
	;; [unrolled: 1-line block ×3, first 2 shown]
	v_mfma_f32_16x16x16bf16_1k v[34:37], v[64:65], v[22:23], v[34:37]
	s_waitcnt vmcnt(3)
	v_cmp_ne_u16_sdwa s[16:17], v44, v55 src0_sel:BYTE_0 src1_sel:DWORD
	v_mfma_f32_16x16x16bf16_1k v[34:37], v[58:59], v[24:25], v[34:37]
	s_and_saveexec_b64 s[14:15], s[16:17]
	s_cbranch_execz .LBB945_509
; %bb.504:                              ;   in Loop: Header=BB945_215 Depth=1
	v_cmp_ne_u16_sdwa s[18:19], v44, s9 src0_sel:BYTE_0 src1_sel:DWORD
	v_mov_b32_e32 v52, 0xffff8000
	s_and_saveexec_b64 s[16:17], s[18:19]
	s_cbranch_execz .LBB945_508
; %bb.505:                              ;   in Loop: Header=BB945_215 Depth=1
	v_and_b32_e32 v46, 0x7f, v44
	v_cmp_ne_u32_e32 vcc, s23, v46
	v_mov_b32_e32 v52, 0x7f80
	s_and_saveexec_b64 s[18:19], vcc
	s_cbranch_execz .LBB945_507
; %bb.506:                              ;   in Loop: Header=BB945_215 Depth=1
	v_and_b32_e32 v51, 7, v44
	v_ffbh_u32_e32 v57, v51
	v_min_u32_e32 v57, 32, v57
	v_subrev_u32_e32 v58, 28, v57
	v_lshlrev_b64 v[58:59], v58, v[44:45]
	v_lshrrev_b32_e32 v52, 3, v46
	v_sub_u32_e32 v57, 29, v57
	v_and_b32_e32 v58, 7, v58
	v_cmp_gt_u32_e32 vcc, 8, v46
	v_cndmask_b32_e32 v46, v52, v57, vcc
	v_cndmask_b32_e32 v51, v51, v58, vcc
	v_lshlrev_b32_e32 v52, 24, v44
	v_lshlrev_b32_e32 v51, 20, v51
	v_and_b32_e32 v52, 0x80000000, v52
	v_lshl_add_u32 v46, v46, 23, v56
	v_or3_b32 v46, v52, v46, v51
	v_lshrrev_b32_e32 v52, 16, v46
.LBB945_507:                            ;   in Loop: Header=BB945_215 Depth=1
	s_or_b64 exec, exec, s[18:19]
.LBB945_508:                            ;   in Loop: Header=BB945_215 Depth=1
	s_or_b64 exec, exec, s[16:17]
.LBB945_509:                            ;   in Loop: Header=BB945_215 Depth=1
	s_or_b64 exec, exec, s[14:15]
	v_lshrrev_b16_e32 v46, 8, v44
	v_cmp_ne_u16_e32 vcc, 0, v46
	v_mov_b32_e32 v57, 0
	v_mov_b32_e32 v51, 0
	s_and_saveexec_b64 s[14:15], vcc
	s_cbranch_execz .LBB945_515
; %bb.510:                              ;   in Loop: Header=BB945_215 Depth=1
	v_cmp_ne_u16_e32 vcc, s9, v46
	v_mov_b32_e32 v51, 0xffff8000
	s_and_saveexec_b64 s[16:17], vcc
	s_cbranch_execz .LBB945_514
; %bb.511:                              ;   in Loop: Header=BB945_215 Depth=1
	v_and_b32_e32 v58, 0x7f, v46
	v_cmp_ne_u32_e32 vcc, s23, v58
	v_mov_b32_e32 v51, 0x7f80
	s_and_saveexec_b64 s[18:19], vcc
	s_cbranch_execz .LBB945_513
; %bb.512:                              ;   in Loop: Header=BB945_215 Depth=1
	v_and_b32_e32 v51, 7, v46
	v_ffbh_u32_e32 v60, v51
	v_min_u32_e32 v62, 32, v60
	v_subrev_u32_e32 v60, 28, v62
	v_lshlrev_b64 v[60:61], v60, v[46:47]
	v_lshrrev_b32_e32 v59, 3, v58
	v_sub_u32_e32 v46, 29, v62
	v_and_b32_e32 v60, 7, v60
	v_cmp_gt_u32_e32 vcc, 8, v58
	v_cndmask_b32_e32 v46, v59, v46, vcc
	v_cndmask_b32_e32 v51, v51, v60, vcc
	v_lshlrev_b32_e32 v58, 16, v44
	v_lshlrev_b32_e32 v51, 20, v51
	v_and_b32_e32 v58, 0x80000000, v58
	v_lshl_add_u32 v46, v46, 23, v56
	v_or3_b32 v46, v58, v46, v51
	v_lshrrev_b32_e32 v51, 16, v46
.LBB945_513:                            ;   in Loop: Header=BB945_215 Depth=1
	s_or_b64 exec, exec, s[18:19]
.LBB945_514:                            ;   in Loop: Header=BB945_215 Depth=1
	s_or_b64 exec, exec, s[16:17]
.LBB945_515:                            ;   in Loop: Header=BB945_215 Depth=1
	s_or_b64 exec, exec, s[14:15]
	v_lshrrev_b32_e32 v46, 16, v44
	v_cmp_ne_u16_sdwa s[16:17], v46, v55 src0_sel:BYTE_0 src1_sel:DWORD
	s_and_saveexec_b64 s[14:15], s[16:17]
	s_cbranch_execz .LBB945_521
; %bb.516:                              ;   in Loop: Header=BB945_215 Depth=1
	v_cmp_ne_u16_sdwa s[18:19], v46, s9 src0_sel:BYTE_0 src1_sel:DWORD
	v_mov_b32_e32 v57, 0xffff8000
	s_and_saveexec_b64 s[16:17], s[18:19]
	s_cbranch_execz .LBB945_520
; %bb.517:                              ;   in Loop: Header=BB945_215 Depth=1
	v_bfe_u32 v58, v44, 16, 7
	v_cmp_ne_u32_e32 vcc, s23, v58
	v_mov_b32_e32 v57, 0x7f80
	s_and_saveexec_b64 s[18:19], vcc
	s_cbranch_execz .LBB945_519
; %bb.518:                              ;   in Loop: Header=BB945_215 Depth=1
	v_and_b32_e32 v57, 7, v46
	v_ffbh_u32_e32 v60, v57
	v_min_u32_e32 v62, 32, v60
	v_subrev_u32_e32 v60, 28, v62
	v_lshlrev_b64 v[60:61], v60, v[46:47]
	v_lshrrev_b32_e32 v59, 3, v58
	v_sub_u32_e32 v61, 29, v62
	v_and_b32_e32 v60, 7, v60
	v_cmp_gt_u32_e32 vcc, 8, v58
	v_cndmask_b32_e32 v58, v59, v61, vcc
	v_cndmask_b32_e32 v57, v57, v60, vcc
	v_lshlrev_b32_e32 v46, 24, v46
	v_lshlrev_b32_e32 v57, 20, v57
	v_and_b32_e32 v46, 0x80000000, v46
	v_lshl_add_u32 v58, v58, 23, v56
	v_or3_b32 v46, v46, v58, v57
	v_lshrrev_b32_e32 v57, 16, v46
.LBB945_519:                            ;   in Loop: Header=BB945_215 Depth=1
	s_or_b64 exec, exec, s[18:19]
.LBB945_520:                            ;   in Loop: Header=BB945_215 Depth=1
	s_or_b64 exec, exec, s[16:17]
.LBB945_521:                            ;   in Loop: Header=BB945_215 Depth=1
	s_or_b64 exec, exec, s[14:15]
	v_cmp_lt_u32_e32 vcc, s24, v44
	v_mov_b32_e32 v58, 0
	v_mov_b32_e32 v59, 0
	s_and_saveexec_b64 s[14:15], vcc
	s_cbranch_execz .LBB945_527
; %bb.522:                              ;   in Loop: Header=BB945_215 Depth=1
	v_lshrrev_b32_e32 v46, 24, v44
	v_cmp_ne_u32_e32 vcc, s9, v46
	v_mov_b32_e32 v59, 0xffff8000
	s_and_saveexec_b64 s[16:17], vcc
	s_cbranch_execz .LBB945_526
; %bb.523:                              ;   in Loop: Header=BB945_215 Depth=1
	v_bfe_u32 v44, v44, 24, 7
	v_cmp_ne_u32_e32 vcc, s23, v44
	v_mov_b32_e32 v59, 0x7f80
	s_and_saveexec_b64 s[18:19], vcc
	s_cbranch_execz .LBB945_525
; %bb.524:                              ;   in Loop: Header=BB945_215 Depth=1
	v_and_b32_e32 v59, 7, v46
	v_ffbh_u32_e32 v60, v59
	v_min_u32_e32 v63, 32, v60
	v_subrev_u32_e32 v60, 28, v63
	v_lshlrev_b64 v[60:61], v60, v[46:47]
	v_lshrrev_b32_e32 v62, 3, v44
	v_sub_u32_e32 v61, 29, v63
	v_and_b32_e32 v60, 7, v60
	v_cmp_gt_u32_e32 vcc, 8, v44
	v_cndmask_b32_e32 v44, v62, v61, vcc
	v_cndmask_b32_e32 v59, v59, v60, vcc
	v_lshlrev_b32_e32 v46, 24, v46
	v_lshlrev_b32_e32 v59, 20, v59
	v_and_b32_e32 v46, 0x80000000, v46
	v_lshl_add_u32 v44, v44, 23, v56
	v_or3_b32 v44, v46, v44, v59
	v_lshrrev_b32_e32 v59, 16, v44
.LBB945_525:                            ;   in Loop: Header=BB945_215 Depth=1
	s_or_b64 exec, exec, s[18:19]
.LBB945_526:                            ;   in Loop: Header=BB945_215 Depth=1
	s_or_b64 exec, exec, s[16:17]
.LBB945_527:                            ;   in Loop: Header=BB945_215 Depth=1
	s_or_b64 exec, exec, s[14:15]
	s_waitcnt vmcnt(2)
	v_cmp_ne_u16_sdwa s[16:17], v42, v55 src0_sel:BYTE_0 src1_sel:DWORD
	s_and_saveexec_b64 s[14:15], s[16:17]
	s_cbranch_execz .LBB945_533
; %bb.528:                              ;   in Loop: Header=BB945_215 Depth=1
	v_cmp_ne_u16_sdwa s[18:19], v42, s9 src0_sel:BYTE_0 src1_sel:DWORD
	v_mov_b32_e32 v58, 0xffff8000
	s_and_saveexec_b64 s[16:17], s[18:19]
	s_cbranch_execz .LBB945_532
; %bb.529:                              ;   in Loop: Header=BB945_215 Depth=1
	v_and_b32_e32 v44, 0x7f, v42
	v_cmp_ne_u32_e32 vcc, s23, v44
	v_mov_b32_e32 v58, 0x7f80
	s_and_saveexec_b64 s[18:19], vcc
	s_cbranch_execz .LBB945_531
; %bb.530:                              ;   in Loop: Header=BB945_215 Depth=1
	v_and_b32_e32 v46, 7, v42
	v_ffbh_u32_e32 v60, v46
	v_min_u32_e32 v62, 32, v60
	v_subrev_u32_e32 v60, 28, v62
	v_lshlrev_b64 v[60:61], v60, v[42:43]
	v_lshrrev_b32_e32 v58, 3, v44
	v_sub_u32_e32 v61, 29, v62
	v_and_b32_e32 v60, 7, v60
	v_cmp_gt_u32_e32 vcc, 8, v44
	v_cndmask_b32_e32 v44, v58, v61, vcc
	v_cndmask_b32_e32 v46, v46, v60, vcc
	v_lshlrev_b32_e32 v58, 24, v42
	v_lshlrev_b32_e32 v46, 20, v46
	v_and_b32_e32 v58, 0x80000000, v58
	v_lshl_add_u32 v44, v44, 23, v56
	v_or3_b32 v44, v58, v44, v46
	v_lshrrev_b32_e32 v58, 16, v44
.LBB945_531:                            ;   in Loop: Header=BB945_215 Depth=1
	s_or_b64 exec, exec, s[18:19]
.LBB945_532:                            ;   in Loop: Header=BB945_215 Depth=1
	s_or_b64 exec, exec, s[16:17]
.LBB945_533:                            ;   in Loop: Header=BB945_215 Depth=1
	s_or_b64 exec, exec, s[14:15]
	v_lshrrev_b16_e32 v44, 8, v42
	v_cmp_ne_u16_e32 vcc, 0, v44
	v_mov_b32_e32 v61, 0
	v_mov_b32_e32 v60, 0
	s_and_saveexec_b64 s[14:15], vcc
	s_cbranch_execz .LBB945_539
; %bb.534:                              ;   in Loop: Header=BB945_215 Depth=1
	v_cmp_ne_u16_e32 vcc, s9, v44
	v_mov_b32_e32 v60, 0xffff8000
	s_and_saveexec_b64 s[16:17], vcc
	s_cbranch_execz .LBB945_538
; %bb.535:                              ;   in Loop: Header=BB945_215 Depth=1
	v_and_b32_e32 v46, 0x7f, v44
	v_cmp_ne_u32_e32 vcc, s23, v46
	v_mov_b32_e32 v60, 0x7f80
	s_and_saveexec_b64 s[18:19], vcc
	s_cbranch_execz .LBB945_537
; %bb.536:                              ;   in Loop: Header=BB945_215 Depth=1
	v_and_b32_e32 v60, 7, v44
	v_ffbh_u32_e32 v62, v60
	v_min_u32_e32 v65, 32, v62
	v_subrev_u32_e32 v62, 28, v65
	v_lshlrev_b64 v[62:63], v62, v[44:45]
	v_lshrrev_b32_e32 v64, 3, v46
	v_sub_u32_e32 v44, 29, v65
	v_and_b32_e32 v62, 7, v62
	v_cmp_gt_u32_e32 vcc, 8, v46
	v_cndmask_b32_e32 v44, v64, v44, vcc
	v_cndmask_b32_e32 v46, v60, v62, vcc
	v_lshlrev_b32_e32 v60, 16, v42
	v_lshlrev_b32_e32 v46, 20, v46
	v_and_b32_e32 v60, 0x80000000, v60
	v_lshl_add_u32 v44, v44, 23, v56
	v_or3_b32 v44, v60, v44, v46
	v_lshrrev_b32_e32 v60, 16, v44
.LBB945_537:                            ;   in Loop: Header=BB945_215 Depth=1
	s_or_b64 exec, exec, s[18:19]
.LBB945_538:                            ;   in Loop: Header=BB945_215 Depth=1
	s_or_b64 exec, exec, s[16:17]
.LBB945_539:                            ;   in Loop: Header=BB945_215 Depth=1
	s_or_b64 exec, exec, s[14:15]
	v_lshrrev_b32_e32 v44, 16, v42
	v_cmp_ne_u16_sdwa s[16:17], v44, v55 src0_sel:BYTE_0 src1_sel:DWORD
	s_and_saveexec_b64 s[14:15], s[16:17]
	s_cbranch_execz .LBB945_545
; %bb.540:                              ;   in Loop: Header=BB945_215 Depth=1
	v_cmp_ne_u16_sdwa s[18:19], v44, s9 src0_sel:BYTE_0 src1_sel:DWORD
	v_mov_b32_e32 v61, 0xffff8000
	s_and_saveexec_b64 s[16:17], s[18:19]
	s_cbranch_execz .LBB945_544
; %bb.541:                              ;   in Loop: Header=BB945_215 Depth=1
	v_bfe_u32 v46, v42, 16, 7
	v_cmp_ne_u32_e32 vcc, s23, v46
	v_mov_b32_e32 v61, 0x7f80
	s_and_saveexec_b64 s[18:19], vcc
	s_cbranch_execz .LBB945_543
; %bb.542:                              ;   in Loop: Header=BB945_215 Depth=1
	v_and_b32_e32 v61, 7, v44
	v_ffbh_u32_e32 v62, v61
	v_min_u32_e32 v65, 32, v62
	v_subrev_u32_e32 v62, 28, v65
	v_lshlrev_b64 v[62:63], v62, v[44:45]
	v_lshrrev_b32_e32 v64, 3, v46
	v_sub_u32_e32 v63, 29, v65
	v_and_b32_e32 v62, 7, v62
	v_cmp_gt_u32_e32 vcc, 8, v46
	v_cndmask_b32_e32 v46, v64, v63, vcc
	v_cndmask_b32_e32 v61, v61, v62, vcc
	v_lshlrev_b32_e32 v44, 24, v44
	v_lshlrev_b32_e32 v61, 20, v61
	v_and_b32_e32 v44, 0x80000000, v44
	v_lshl_add_u32 v46, v46, 23, v56
	v_or3_b32 v44, v44, v46, v61
	v_lshrrev_b32_e32 v61, 16, v44
.LBB945_543:                            ;   in Loop: Header=BB945_215 Depth=1
	s_or_b64 exec, exec, s[18:19]
.LBB945_544:                            ;   in Loop: Header=BB945_215 Depth=1
	s_or_b64 exec, exec, s[16:17]
.LBB945_545:                            ;   in Loop: Header=BB945_215 Depth=1
	s_or_b64 exec, exec, s[14:15]
	v_cmp_lt_u32_e32 vcc, s24, v42
	v_mov_b32_e32 v46, 0
	v_mov_b32_e32 v62, 0
	s_and_saveexec_b64 s[14:15], vcc
	s_cbranch_execz .LBB945_551
; %bb.546:                              ;   in Loop: Header=BB945_215 Depth=1
	v_lshrrev_b32_e32 v44, 24, v42
	v_cmp_ne_u32_e32 vcc, s9, v44
	v_mov_b32_e32 v62, 0xffff8000
	s_and_saveexec_b64 s[16:17], vcc
	s_cbranch_execz .LBB945_550
; %bb.547:                              ;   in Loop: Header=BB945_215 Depth=1
	v_bfe_u32 v42, v42, 24, 7
	v_cmp_ne_u32_e32 vcc, s23, v42
	v_mov_b32_e32 v62, 0x7f80
	s_and_saveexec_b64 s[18:19], vcc
	s_cbranch_execz .LBB945_549
; %bb.548:                              ;   in Loop: Header=BB945_215 Depth=1
	v_and_b32_e32 v64, 7, v44
	v_ffbh_u32_e32 v62, v64
	v_min_u32_e32 v66, 32, v62
	v_subrev_u32_e32 v62, 28, v66
	v_lshlrev_b64 v[62:63], v62, v[44:45]
	v_lshrrev_b32_e32 v65, 3, v42
	v_sub_u32_e32 v63, 29, v66
	v_and_b32_e32 v62, 7, v62
	v_cmp_gt_u32_e32 vcc, 8, v42
	v_cndmask_b32_e32 v42, v65, v63, vcc
	v_cndmask_b32_e32 v62, v64, v62, vcc
	v_lshlrev_b32_e32 v44, 24, v44
	v_lshlrev_b32_e32 v62, 20, v62
	v_and_b32_e32 v44, 0x80000000, v44
	v_lshl_add_u32 v42, v42, 23, v56
	v_or3_b32 v42, v44, v42, v62
	v_lshrrev_b32_e32 v62, 16, v42
.LBB945_549:                            ;   in Loop: Header=BB945_215 Depth=1
	s_or_b64 exec, exec, s[18:19]
.LBB945_550:                            ;   in Loop: Header=BB945_215 Depth=1
	s_or_b64 exec, exec, s[16:17]
.LBB945_551:                            ;   in Loop: Header=BB945_215 Depth=1
	s_or_b64 exec, exec, s[14:15]
	v_perm_b32 v65, v59, v57, s25
	v_perm_b32 v64, v51, v52, s25
	;; [unrolled: 1-line block ×4, first 2 shown]
	s_waitcnt vmcnt(1)
	v_cmp_ne_u16_sdwa s[16:17], v40, v55 src0_sel:BYTE_0 src1_sel:DWORD
	v_mfma_f32_16x16x16bf16_1k v[34:37], v[64:65], v[26:27], v[34:37]
	v_mfma_f32_16x16x16bf16_1k v[34:37], v[58:59], v[28:29], v[34:37]
	s_and_saveexec_b64 s[14:15], s[16:17]
	s_cbranch_execz .LBB945_557
; %bb.552:                              ;   in Loop: Header=BB945_215 Depth=1
	v_cmp_ne_u16_sdwa s[18:19], v40, s9 src0_sel:BYTE_0 src1_sel:DWORD
	v_mov_b32_e32 v46, 0xffff8000
	s_and_saveexec_b64 s[16:17], s[18:19]
	s_cbranch_execz .LBB945_556
; %bb.553:                              ;   in Loop: Header=BB945_215 Depth=1
	v_and_b32_e32 v42, 0x7f, v40
	v_cmp_ne_u32_e32 vcc, s23, v42
	v_mov_b32_e32 v46, 0x7f80
	s_and_saveexec_b64 s[18:19], vcc
	s_cbranch_execz .LBB945_555
; %bb.554:                              ;   in Loop: Header=BB945_215 Depth=1
	v_and_b32_e32 v44, 7, v40
	v_ffbh_u32_e32 v51, v44
	v_min_u32_e32 v51, 32, v51
	v_subrev_u32_e32 v52, 28, v51
	v_lshlrev_b64 v[58:59], v52, v[40:41]
	v_lshrrev_b32_e32 v46, 3, v42
	v_sub_u32_e32 v51, 29, v51
	v_and_b32_e32 v52, 7, v58
	v_cmp_gt_u32_e32 vcc, 8, v42
	v_cndmask_b32_e32 v42, v46, v51, vcc
	v_cndmask_b32_e32 v44, v44, v52, vcc
	v_lshlrev_b32_e32 v46, 24, v40
	v_lshlrev_b32_e32 v44, 20, v44
	v_and_b32_e32 v46, 0x80000000, v46
	v_lshl_add_u32 v42, v42, 23, v56
	v_or3_b32 v42, v46, v42, v44
	v_lshrrev_b32_e32 v46, 16, v42
.LBB945_555:                            ;   in Loop: Header=BB945_215 Depth=1
	s_or_b64 exec, exec, s[18:19]
.LBB945_556:                            ;   in Loop: Header=BB945_215 Depth=1
	s_or_b64 exec, exec, s[16:17]
.LBB945_557:                            ;   in Loop: Header=BB945_215 Depth=1
	s_or_b64 exec, exec, s[14:15]
	v_lshrrev_b16_e32 v42, 8, v40
	v_cmp_ne_u16_e32 vcc, 0, v42
	v_mov_b32_e32 v51, 0
	v_mov_b32_e32 v44, 0
	s_and_saveexec_b64 s[14:15], vcc
	s_cbranch_execz .LBB945_563
; %bb.558:                              ;   in Loop: Header=BB945_215 Depth=1
	v_cmp_ne_u16_e32 vcc, s9, v42
	v_mov_b32_e32 v44, 0xffff8000
	s_and_saveexec_b64 s[16:17], vcc
	s_cbranch_execz .LBB945_562
; %bb.559:                              ;   in Loop: Header=BB945_215 Depth=1
	v_and_b32_e32 v52, 0x7f, v42
	v_cmp_ne_u32_e32 vcc, s23, v52
	v_mov_b32_e32 v44, 0x7f80
	s_and_saveexec_b64 s[18:19], vcc
	s_cbranch_execz .LBB945_561
; %bb.560:                              ;   in Loop: Header=BB945_215 Depth=1
	v_and_b32_e32 v44, 7, v42
	v_ffbh_u32_e32 v58, v44
	v_min_u32_e32 v60, 32, v58
	v_subrev_u32_e32 v58, 28, v60
	v_lshlrev_b64 v[58:59], v58, v[42:43]
	v_lshrrev_b32_e32 v57, 3, v52
	v_sub_u32_e32 v42, 29, v60
	v_and_b32_e32 v58, 7, v58
	v_cmp_gt_u32_e32 vcc, 8, v52
	v_cndmask_b32_e32 v42, v57, v42, vcc
	v_cndmask_b32_e32 v44, v44, v58, vcc
	v_lshlrev_b32_e32 v52, 16, v40
	v_lshlrev_b32_e32 v44, 20, v44
	v_and_b32_e32 v52, 0x80000000, v52
	v_lshl_add_u32 v42, v42, 23, v56
	v_or3_b32 v42, v52, v42, v44
	v_lshrrev_b32_e32 v44, 16, v42
.LBB945_561:                            ;   in Loop: Header=BB945_215 Depth=1
	s_or_b64 exec, exec, s[18:19]
.LBB945_562:                            ;   in Loop: Header=BB945_215 Depth=1
	s_or_b64 exec, exec, s[16:17]
.LBB945_563:                            ;   in Loop: Header=BB945_215 Depth=1
	s_or_b64 exec, exec, s[14:15]
	v_lshrrev_b32_e32 v42, 16, v40
	v_cmp_ne_u16_sdwa s[16:17], v42, v55 src0_sel:BYTE_0 src1_sel:DWORD
	s_and_saveexec_b64 s[14:15], s[16:17]
	s_cbranch_execz .LBB945_569
; %bb.564:                              ;   in Loop: Header=BB945_215 Depth=1
	v_cmp_ne_u16_sdwa s[18:19], v42, s9 src0_sel:BYTE_0 src1_sel:DWORD
	v_mov_b32_e32 v51, 0xffff8000
	s_and_saveexec_b64 s[16:17], s[18:19]
	s_cbranch_execz .LBB945_568
; %bb.565:                              ;   in Loop: Header=BB945_215 Depth=1
	v_bfe_u32 v52, v40, 16, 7
	v_cmp_ne_u32_e32 vcc, s23, v52
	v_mov_b32_e32 v51, 0x7f80
	s_and_saveexec_b64 s[18:19], vcc
	s_cbranch_execz .LBB945_567
; %bb.566:                              ;   in Loop: Header=BB945_215 Depth=1
	v_and_b32_e32 v51, 7, v42
	v_ffbh_u32_e32 v58, v51
	v_min_u32_e32 v60, 32, v58
	v_subrev_u32_e32 v58, 28, v60
	v_lshlrev_b64 v[58:59], v58, v[42:43]
	v_lshrrev_b32_e32 v57, 3, v52
	v_sub_u32_e32 v59, 29, v60
	v_and_b32_e32 v58, 7, v58
	v_cmp_gt_u32_e32 vcc, 8, v52
	v_cndmask_b32_e32 v52, v57, v59, vcc
	v_cndmask_b32_e32 v51, v51, v58, vcc
	v_lshlrev_b32_e32 v42, 24, v42
	v_lshlrev_b32_e32 v51, 20, v51
	v_and_b32_e32 v42, 0x80000000, v42
	v_lshl_add_u32 v52, v52, 23, v56
	v_or3_b32 v42, v42, v52, v51
	v_lshrrev_b32_e32 v51, 16, v42
.LBB945_567:                            ;   in Loop: Header=BB945_215 Depth=1
	s_or_b64 exec, exec, s[18:19]
.LBB945_568:                            ;   in Loop: Header=BB945_215 Depth=1
	s_or_b64 exec, exec, s[16:17]
.LBB945_569:                            ;   in Loop: Header=BB945_215 Depth=1
	s_or_b64 exec, exec, s[14:15]
	v_cmp_lt_u32_e32 vcc, s24, v40
	v_mov_b32_e32 v52, 0
	v_mov_b32_e32 v57, 0
	s_and_saveexec_b64 s[14:15], vcc
	s_cbranch_execz .LBB945_575
; %bb.570:                              ;   in Loop: Header=BB945_215 Depth=1
	v_lshrrev_b32_e32 v42, 24, v40
	v_cmp_ne_u32_e32 vcc, s9, v42
	v_mov_b32_e32 v57, 0xffff8000
	s_and_saveexec_b64 s[16:17], vcc
	s_cbranch_execz .LBB945_574
; %bb.571:                              ;   in Loop: Header=BB945_215 Depth=1
	v_bfe_u32 v40, v40, 24, 7
	v_cmp_ne_u32_e32 vcc, s23, v40
	v_mov_b32_e32 v57, 0x7f80
	s_and_saveexec_b64 s[18:19], vcc
	s_cbranch_execz .LBB945_573
; %bb.572:                              ;   in Loop: Header=BB945_215 Depth=1
	v_and_b32_e32 v57, 7, v42
	v_ffbh_u32_e32 v58, v57
	v_min_u32_e32 v61, 32, v58
	v_subrev_u32_e32 v58, 28, v61
	v_lshlrev_b64 v[58:59], v58, v[42:43]
	v_lshrrev_b32_e32 v60, 3, v40
	v_sub_u32_e32 v59, 29, v61
	v_and_b32_e32 v58, 7, v58
	v_cmp_gt_u32_e32 vcc, 8, v40
	v_cndmask_b32_e32 v40, v60, v59, vcc
	v_cndmask_b32_e32 v57, v57, v58, vcc
	v_lshlrev_b32_e32 v42, 24, v42
	v_lshlrev_b32_e32 v57, 20, v57
	v_and_b32_e32 v42, 0x80000000, v42
	v_lshl_add_u32 v40, v40, 23, v56
	v_or3_b32 v40, v42, v40, v57
	v_lshrrev_b32_e32 v57, 16, v40
.LBB945_573:                            ;   in Loop: Header=BB945_215 Depth=1
	s_or_b64 exec, exec, s[18:19]
.LBB945_574:                            ;   in Loop: Header=BB945_215 Depth=1
	s_or_b64 exec, exec, s[16:17]
.LBB945_575:                            ;   in Loop: Header=BB945_215 Depth=1
	s_or_b64 exec, exec, s[14:15]
	s_waitcnt vmcnt(0)
	v_cmp_ne_u16_sdwa s[16:17], v38, v55 src0_sel:BYTE_0 src1_sel:DWORD
	s_and_saveexec_b64 s[14:15], s[16:17]
	s_cbranch_execz .LBB945_581
; %bb.576:                              ;   in Loop: Header=BB945_215 Depth=1
	v_cmp_ne_u16_sdwa s[18:19], v38, s9 src0_sel:BYTE_0 src1_sel:DWORD
	v_mov_b32_e32 v52, 0xffff8000
	s_and_saveexec_b64 s[16:17], s[18:19]
	s_cbranch_execz .LBB945_580
; %bb.577:                              ;   in Loop: Header=BB945_215 Depth=1
	v_and_b32_e32 v40, 0x7f, v38
	v_cmp_ne_u32_e32 vcc, s23, v40
	v_mov_b32_e32 v52, 0x7f80
	s_and_saveexec_b64 s[18:19], vcc
	s_cbranch_execz .LBB945_579
; %bb.578:                              ;   in Loop: Header=BB945_215 Depth=1
	v_and_b32_e32 v42, 7, v38
	v_ffbh_u32_e32 v58, v42
	v_min_u32_e32 v60, 32, v58
	v_subrev_u32_e32 v58, 28, v60
	v_lshlrev_b64 v[58:59], v58, v[38:39]
	v_lshrrev_b32_e32 v52, 3, v40
	v_sub_u32_e32 v59, 29, v60
	v_and_b32_e32 v58, 7, v58
	v_cmp_gt_u32_e32 vcc, 8, v40
	v_cndmask_b32_e32 v40, v52, v59, vcc
	v_cndmask_b32_e32 v42, v42, v58, vcc
	v_lshlrev_b32_e32 v52, 24, v38
	v_lshlrev_b32_e32 v42, 20, v42
	v_and_b32_e32 v52, 0x80000000, v52
	v_lshl_add_u32 v40, v40, 23, v56
	v_or3_b32 v40, v52, v40, v42
	v_lshrrev_b32_e32 v52, 16, v40
.LBB945_579:                            ;   in Loop: Header=BB945_215 Depth=1
	s_or_b64 exec, exec, s[18:19]
.LBB945_580:                            ;   in Loop: Header=BB945_215 Depth=1
	s_or_b64 exec, exec, s[16:17]
.LBB945_581:                            ;   in Loop: Header=BB945_215 Depth=1
	s_or_b64 exec, exec, s[14:15]
	v_lshrrev_b16_e32 v40, 8, v38
	v_cmp_ne_u16_e32 vcc, 0, v40
	v_mov_b32_e32 v58, 0
	v_mov_b32_e32 v42, 0
	s_and_saveexec_b64 s[14:15], vcc
	s_cbranch_execz .LBB945_587
; %bb.582:                              ;   in Loop: Header=BB945_215 Depth=1
	v_cmp_ne_u16_e32 vcc, s9, v40
	v_mov_b32_e32 v42, 0xffff8000
	s_and_saveexec_b64 s[16:17], vcc
	s_cbranch_execz .LBB945_586
; %bb.583:                              ;   in Loop: Header=BB945_215 Depth=1
	v_and_b32_e32 v59, 0x7f, v40
	v_cmp_ne_u32_e32 vcc, s23, v59
	v_mov_b32_e32 v42, 0x7f80
	s_and_saveexec_b64 s[18:19], vcc
	s_cbranch_execz .LBB945_585
; %bb.584:                              ;   in Loop: Header=BB945_215 Depth=1
	v_and_b32_e32 v42, 7, v40
	v_ffbh_u32_e32 v60, v42
	v_min_u32_e32 v63, 32, v60
	v_subrev_u32_e32 v60, 28, v63
	v_lshlrev_b64 v[60:61], v60, v[40:41]
	v_lshrrev_b32_e32 v62, 3, v59
	v_sub_u32_e32 v40, 29, v63
	v_and_b32_e32 v60, 7, v60
	v_cmp_gt_u32_e32 vcc, 8, v59
	v_cndmask_b32_e32 v40, v62, v40, vcc
	v_cndmask_b32_e32 v42, v42, v60, vcc
	v_lshlrev_b32_e32 v59, 16, v38
	v_lshlrev_b32_e32 v42, 20, v42
	v_and_b32_e32 v59, 0x80000000, v59
	v_lshl_add_u32 v40, v40, 23, v56
	v_or3_b32 v40, v59, v40, v42
	v_lshrrev_b32_e32 v42, 16, v40
.LBB945_585:                            ;   in Loop: Header=BB945_215 Depth=1
	s_or_b64 exec, exec, s[18:19]
.LBB945_586:                            ;   in Loop: Header=BB945_215 Depth=1
	s_or_b64 exec, exec, s[16:17]
.LBB945_587:                            ;   in Loop: Header=BB945_215 Depth=1
	s_or_b64 exec, exec, s[14:15]
	v_lshrrev_b32_e32 v40, 16, v38
	v_cmp_ne_u16_sdwa s[16:17], v40, v55 src0_sel:BYTE_0 src1_sel:DWORD
	s_and_saveexec_b64 s[14:15], s[16:17]
	s_cbranch_execz .LBB945_593
; %bb.588:                              ;   in Loop: Header=BB945_215 Depth=1
	v_cmp_ne_u16_sdwa s[18:19], v40, s9 src0_sel:BYTE_0 src1_sel:DWORD
	v_mov_b32_e32 v58, 0xffff8000
	s_and_saveexec_b64 s[16:17], s[18:19]
	s_cbranch_execz .LBB945_592
; %bb.589:                              ;   in Loop: Header=BB945_215 Depth=1
	v_bfe_u32 v59, v38, 16, 7
	v_cmp_ne_u32_e32 vcc, s23, v59
	v_mov_b32_e32 v58, 0x7f80
	s_and_saveexec_b64 s[18:19], vcc
	s_cbranch_execz .LBB945_591
; %bb.590:                              ;   in Loop: Header=BB945_215 Depth=1
	v_and_b32_e32 v58, 7, v40
	v_ffbh_u32_e32 v60, v58
	v_min_u32_e32 v63, 32, v60
	v_subrev_u32_e32 v60, 28, v63
	v_lshlrev_b64 v[60:61], v60, v[40:41]
	v_lshrrev_b32_e32 v62, 3, v59
	v_sub_u32_e32 v61, 29, v63
	v_and_b32_e32 v60, 7, v60
	v_cmp_gt_u32_e32 vcc, 8, v59
	v_cndmask_b32_e32 v59, v62, v61, vcc
	v_cndmask_b32_e32 v58, v58, v60, vcc
	v_lshlrev_b32_e32 v40, 24, v40
	v_lshlrev_b32_e32 v58, 20, v58
	v_and_b32_e32 v40, 0x80000000, v40
	v_lshl_add_u32 v59, v59, 23, v56
	v_or3_b32 v40, v40, v59, v58
	v_lshrrev_b32_e32 v58, 16, v40
.LBB945_591:                            ;   in Loop: Header=BB945_215 Depth=1
	s_or_b64 exec, exec, s[18:19]
.LBB945_592:                            ;   in Loop: Header=BB945_215 Depth=1
	s_or_b64 exec, exec, s[16:17]
.LBB945_593:                            ;   in Loop: Header=BB945_215 Depth=1
	s_or_b64 exec, exec, s[14:15]
	v_cmp_lt_u32_e32 vcc, s24, v38
	v_mov_b32_e32 v59, 0
	s_and_saveexec_b64 s[14:15], vcc
	s_cbranch_execz .LBB945_214
; %bb.594:                              ;   in Loop: Header=BB945_215 Depth=1
	v_lshrrev_b32_e32 v40, 24, v38
	v_cmp_ne_u32_e32 vcc, s9, v40
	v_mov_b32_e32 v59, 0xffff8000
	s_and_saveexec_b64 s[16:17], vcc
	s_cbranch_execz .LBB945_213
; %bb.595:                              ;   in Loop: Header=BB945_215 Depth=1
	v_bfe_u32 v38, v38, 24, 7
	v_cmp_ne_u32_e32 vcc, s23, v38
	v_mov_b32_e32 v59, 0x7f80
	s_and_saveexec_b64 s[18:19], vcc
	s_cbranch_execz .LBB945_212
; %bb.596:                              ;   in Loop: Header=BB945_215 Depth=1
	v_and_b32_e32 v59, 7, v40
	v_ffbh_u32_e32 v60, v59
	v_min_u32_e32 v63, 32, v60
	v_subrev_u32_e32 v60, 28, v63
	v_lshlrev_b64 v[60:61], v60, v[40:41]
	v_lshrrev_b32_e32 v62, 3, v38
	v_sub_u32_e32 v61, 29, v63
	v_and_b32_e32 v60, 7, v60
	v_cmp_gt_u32_e32 vcc, 8, v38
	v_cndmask_b32_e32 v38, v62, v61, vcc
	v_cndmask_b32_e32 v59, v59, v60, vcc
	v_lshlrev_b32_e32 v40, 24, v40
	v_lshlrev_b32_e32 v59, 20, v59
	v_and_b32_e32 v40, 0x80000000, v40
	v_lshl_add_u32 v38, v38, 23, v56
	v_or3_b32 v38, v40, v38, v59
	v_lshrrev_b32_e32 v59, 16, v38
	s_branch .LBB945_212
.LBB945_597:
	s_barrier
	buffer_load_dword v2, off, s[0:3], 0 offset:320
	buffer_load_dword v5, off, s[0:3], 0 offset:332
	;; [unrolled: 1-line block ×4, first 2 shown]
	s_waitcnt vmcnt(0)
	ds_write2st64_b64 v53, v[2:3], v[4:5] offset1:1
	s_waitcnt lgkmcnt(0)
	s_barrier
	s_and_saveexec_b64 s[4:5], s[6:7]
	s_cbranch_execz .LBB945_599
; %bb.598:
	s_lshl_b32 s6, s52, 7
	s_mul_i32 s4, s20, s8
	s_mul_hi_u32 s5, s4, s6
	s_mul_i32 s4, s4, s6
	s_lshl_b64 s[4:5], s[4:5], 1
	s_add_u32 s7, s54, s4
	v_lshlrev_b32_e32 v3, 6, v41
	s_addc_u32 s8, s55, s5
	s_lshl_b32 s4, s28, 7
	s_mov_b32 s5, 0
	v_lshl_or_b32 v0, v0, 10, v3
	s_lshl_b64 s[4:5], s[4:5], 1
	v_and_b32_e32 v2, 16, v45
	v_and_b32_e32 v0, 0x1a00, v0
	s_add_u32 s7, s7, s4
	v_or3_b32 v0, v0, v43, v2
	s_addc_u32 s8, s8, s5
	v_mad_u64_u32 v[6:7], s[4:5], s6, v39, 0
	ds_read_b128 v[2:5], v0
	v_lshlrev_b64 v[6:7], 1, v[6:7]
	v_mov_b32_e32 v0, s8
	v_add_co_u32_e32 v6, vcc, s7, v6
	v_addc_co_u32_e32 v7, vcc, v0, v7, vcc
	v_add_co_u32_e32 v0, vcc, v6, v1
	v_addc_co_u32_e32 v1, vcc, 0, v7, vcc
	s_waitcnt lgkmcnt(0)
	global_store_dwordx4 v[0:1], v[2:5], off
.LBB945_599:
	s_endpgm
	.section	.rodata,"a",@progbits
	.p2align	6, 0x0
	.amdhsa_kernel _Z39paged_attention_ll4mi_QKV_mfma16_kernelI14__hip_bfloat16hLN4vllm18Fp8KVCacheDataTypeE1ES0_Li32ELi128ELi256ELb1ELi4EL8MFMAType0EEvPKT_PKT0_S9_ifPKiSB_SB_iPKfiiiPfSE_PS4_PT2_iSD_SD_
		.amdhsa_group_segment_fixed_size 8192
		.amdhsa_private_segment_fixed_size 352
		.amdhsa_kernarg_size 400
		.amdhsa_user_sgpr_count 8
		.amdhsa_user_sgpr_private_segment_buffer 1
		.amdhsa_user_sgpr_dispatch_ptr 0
		.amdhsa_user_sgpr_queue_ptr 0
		.amdhsa_user_sgpr_kernarg_segment_ptr 1
		.amdhsa_user_sgpr_dispatch_id 0
		.amdhsa_user_sgpr_flat_scratch_init 1
		.amdhsa_user_sgpr_kernarg_preload_length 0
		.amdhsa_user_sgpr_kernarg_preload_offset 0
		.amdhsa_user_sgpr_private_segment_size 0
		.amdhsa_uses_dynamic_stack 0
		.amdhsa_system_sgpr_private_segment_wavefront_offset 1
		.amdhsa_system_sgpr_workgroup_id_x 1
		.amdhsa_system_sgpr_workgroup_id_y 1
		.amdhsa_system_sgpr_workgroup_id_z 1
		.amdhsa_system_sgpr_workgroup_info 0
		.amdhsa_system_vgpr_workitem_id 0
		.amdhsa_next_free_vgpr 82
		.amdhsa_next_free_sgpr 56
		.amdhsa_accum_offset 84
		.amdhsa_reserve_vcc 1
		.amdhsa_reserve_flat_scratch 0
		.amdhsa_float_round_mode_32 0
		.amdhsa_float_round_mode_16_64 0
		.amdhsa_float_denorm_mode_32 3
		.amdhsa_float_denorm_mode_16_64 3
		.amdhsa_dx10_clamp 1
		.amdhsa_ieee_mode 1
		.amdhsa_fp16_overflow 0
		.amdhsa_tg_split 0
		.amdhsa_exception_fp_ieee_invalid_op 0
		.amdhsa_exception_fp_denorm_src 0
		.amdhsa_exception_fp_ieee_div_zero 0
		.amdhsa_exception_fp_ieee_overflow 0
		.amdhsa_exception_fp_ieee_underflow 0
		.amdhsa_exception_fp_ieee_inexact 0
		.amdhsa_exception_int_div_zero 0
	.end_amdhsa_kernel
	.section	.text._Z39paged_attention_ll4mi_QKV_mfma16_kernelI14__hip_bfloat16hLN4vllm18Fp8KVCacheDataTypeE1ES0_Li32ELi128ELi256ELb1ELi4EL8MFMAType0EEvPKT_PKT0_S9_ifPKiSB_SB_iPKfiiiPfSE_PS4_PT2_iSD_SD_,"axG",@progbits,_Z39paged_attention_ll4mi_QKV_mfma16_kernelI14__hip_bfloat16hLN4vllm18Fp8KVCacheDataTypeE1ES0_Li32ELi128ELi256ELb1ELi4EL8MFMAType0EEvPKT_PKT0_S9_ifPKiSB_SB_iPKfiiiPfSE_PS4_PT2_iSD_SD_,comdat
.Lfunc_end945:
	.size	_Z39paged_attention_ll4mi_QKV_mfma16_kernelI14__hip_bfloat16hLN4vllm18Fp8KVCacheDataTypeE1ES0_Li32ELi128ELi256ELb1ELi4EL8MFMAType0EEvPKT_PKT0_S9_ifPKiSB_SB_iPKfiiiPfSE_PS4_PT2_iSD_SD_, .Lfunc_end945-_Z39paged_attention_ll4mi_QKV_mfma16_kernelI14__hip_bfloat16hLN4vllm18Fp8KVCacheDataTypeE1ES0_Li32ELi128ELi256ELb1ELi4EL8MFMAType0EEvPKT_PKT0_S9_ifPKiSB_SB_iPKfiiiPfSE_PS4_PT2_iSD_SD_
                                        ; -- End function
	.section	.AMDGPU.csdata,"",@progbits
; Kernel info:
; codeLenInByte = 22432
; NumSgprs: 60
; NumVgprs: 82
; NumAgprs: 0
; TotalNumVgprs: 82
; ScratchSize: 352
; MemoryBound: 0
; FloatMode: 240
; IeeeMode: 1
; LDSByteSize: 8192 bytes/workgroup (compile time only)
; SGPRBlocks: 7
; VGPRBlocks: 10
; NumSGPRsForWavesPerEU: 60
; NumVGPRsForWavesPerEU: 82
; AccumOffset: 84
; Occupancy: 5
; WaveLimiterHint : 1
; COMPUTE_PGM_RSRC2:SCRATCH_EN: 1
; COMPUTE_PGM_RSRC2:USER_SGPR: 8
; COMPUTE_PGM_RSRC2:TRAP_HANDLER: 0
; COMPUTE_PGM_RSRC2:TGID_X_EN: 1
; COMPUTE_PGM_RSRC2:TGID_Y_EN: 1
; COMPUTE_PGM_RSRC2:TGID_Z_EN: 1
; COMPUTE_PGM_RSRC2:TIDIG_COMP_CNT: 0
; COMPUTE_PGM_RSRC3_GFX90A:ACCUM_OFFSET: 20
; COMPUTE_PGM_RSRC3_GFX90A:TG_SPLIT: 0
	.section	.text._Z39paged_attention_ll4mi_QKV_mfma16_kernelI14__hip_bfloat16hLN4vllm18Fp8KVCacheDataTypeE1ES0_Li32ELi128ELi256ELb0ELi5EL8MFMAType0EEvPKT_PKT0_S9_ifPKiSB_SB_iPKfiiiPfSE_PS4_PT2_iSD_SD_,"axG",@progbits,_Z39paged_attention_ll4mi_QKV_mfma16_kernelI14__hip_bfloat16hLN4vllm18Fp8KVCacheDataTypeE1ES0_Li32ELi128ELi256ELb0ELi5EL8MFMAType0EEvPKT_PKT0_S9_ifPKiSB_SB_iPKfiiiPfSE_PS4_PT2_iSD_SD_,comdat
	.protected	_Z39paged_attention_ll4mi_QKV_mfma16_kernelI14__hip_bfloat16hLN4vllm18Fp8KVCacheDataTypeE1ES0_Li32ELi128ELi256ELb0ELi5EL8MFMAType0EEvPKT_PKT0_S9_ifPKiSB_SB_iPKfiiiPfSE_PS4_PT2_iSD_SD_ ; -- Begin function _Z39paged_attention_ll4mi_QKV_mfma16_kernelI14__hip_bfloat16hLN4vllm18Fp8KVCacheDataTypeE1ES0_Li32ELi128ELi256ELb0ELi5EL8MFMAType0EEvPKT_PKT0_S9_ifPKiSB_SB_iPKfiiiPfSE_PS4_PT2_iSD_SD_
	.globl	_Z39paged_attention_ll4mi_QKV_mfma16_kernelI14__hip_bfloat16hLN4vllm18Fp8KVCacheDataTypeE1ES0_Li32ELi128ELi256ELb0ELi5EL8MFMAType0EEvPKT_PKT0_S9_ifPKiSB_SB_iPKfiiiPfSE_PS4_PT2_iSD_SD_
	.p2align	8
	.type	_Z39paged_attention_ll4mi_QKV_mfma16_kernelI14__hip_bfloat16hLN4vllm18Fp8KVCacheDataTypeE1ES0_Li32ELi128ELi256ELb0ELi5EL8MFMAType0EEvPKT_PKT0_S9_ifPKiSB_SB_iPKfiiiPfSE_PS4_PT2_iSD_SD_,@function
_Z39paged_attention_ll4mi_QKV_mfma16_kernelI14__hip_bfloat16hLN4vllm18Fp8KVCacheDataTypeE1ES0_Li32ELi128ELi256ELb0ELi5EL8MFMAType0EEvPKT_PKT0_S9_ifPKiSB_SB_iPKfiiiPfSE_PS4_PT2_iSD_SD_: ; @_Z39paged_attention_ll4mi_QKV_mfma16_kernelI14__hip_bfloat16hLN4vllm18Fp8KVCacheDataTypeE1ES0_Li32ELi128ELi256ELb0ELi5EL8MFMAType0EEvPKT_PKT0_S9_ifPKiSB_SB_iPKfiiiPfSE_PS4_PT2_iSD_SD_
; %bb.0:
	s_load_dwordx2 s[6:7], s[4:5], 0x30
	s_add_u32 s0, s0, s11
	s_addc_u32 s1, s1, 0
	s_mov_b32 s24, s9
	s_mov_b64 s[12:13], 0
	s_waitcnt lgkmcnt(0)
	s_cmp_lg_u64 s[6:7], 0
	s_cselect_b64 s[16:17], -1, 0
	s_and_b64 vcc, exec, s[16:17]
	s_cbranch_vccz .LBB946_7
; %bb.1:
	s_add_i32 s14, s8, 1
	s_mov_b32 s15, 0
	s_lshl_b64 s[18:19], s[14:15], 2
	s_add_u32 s18, s6, s18
	s_mov_b32 s9, s15
	s_addc_u32 s19, s7, s19
	s_lshl_b64 s[14:15], s[8:9], 2
	s_add_u32 s14, s6, s14
	s_addc_u32 s15, s7, s15
	s_load_dword s11, s[18:19], 0x0
	s_load_dword s20, s[14:15], 0x0
	s_waitcnt lgkmcnt(0)
	s_sub_i32 s11, s11, s20
	s_cmp_eq_u32 s11, 1
	s_cselect_b64 s[14:15], -1, 0
	s_andn2_b64 vcc, exec, s[12:13]
	s_cbranch_vccnz .LBB946_3
.LBB946_2:
	s_mov_b32 s9, 0
	s_mov_b64 s[14:15], -1
.LBB946_3:
	s_andn2_b64 vcc, exec, s[14:15]
	s_cbranch_vccnz .LBB946_598
; %bb.4:
	s_load_dwordx2 s[12:13], s[4:5], 0x28
	s_lshl_b64 s[18:19], s[8:9], 2
	s_waitcnt lgkmcnt(0)
	s_add_u32 s12, s12, s18
	s_addc_u32 s13, s13, s19
	s_load_dword s33, s[12:13], 0x0
	s_lshl_b32 s20, s24, 8
	s_waitcnt lgkmcnt(0)
	s_cmp_ge_i32 s20, s33
	s_cbranch_scc1 .LBB946_598
; %bb.5:
	s_add_i32 s14, s33, 31
	s_load_dwordx2 s[12:13], s[4:5], 0x20
	s_load_dword s11, s[4:5], 0x38
	s_ashr_i32 s15, s14, 31
	v_and_b32_e32 v1, 0xcf, v0
	s_lshr_b32 s15, s15, 27
	v_add_u32_e32 v1, s20, v1
	s_add_i32 s14, s14, s15
	v_ashrrev_i32_e32 v2, 31, v1
	s_ashr_i32 s22, s14, 5
	v_lshrrev_b32_e32 v10, 27, v2
	s_add_i32 s22, s22, -1
	v_add_u32_e32 v2, v1, v10
	s_waitcnt lgkmcnt(0)
	s_mul_i32 s14, s8, s11
	s_mov_b32 s15, 0
	v_ashrrev_i32_e32 v2, 5, v2
	v_mov_b32_e32 v11, s22
	v_cmp_gt_i32_e32 vcc, s33, v1
	s_lshl_b64 s[14:15], s[14:15], 2
	v_cndmask_b32_e32 v2, v11, v2, vcc
	s_add_u32 s11, s12, s14
	v_ashrrev_i32_e32 v3, 31, v2
	s_addc_u32 s21, s13, s15
	v_lshlrev_b64 v[2:3], 2, v[2:3]
	v_mov_b32_e32 v5, s21
	v_add_co_u32_e32 v4, vcc, s11, v2
	v_or_b32_e32 v2, 16, v1
	v_addc_co_u32_e32 v5, vcc, v5, v3, vcc
	v_add_u32_e32 v3, v2, v10
	v_ashrrev_i32_e32 v3, 5, v3
	v_cmp_gt_i32_e32 vcc, s33, v2
	v_cndmask_b32_e32 v2, v11, v3, vcc
	v_ashrrev_i32_e32 v3, 31, v2
	v_lshlrev_b64 v[2:3], 2, v[2:3]
	v_mov_b32_e32 v7, s21
	v_add_co_u32_e32 v6, vcc, s11, v2
	v_or_b32_e32 v2, 32, v1
	v_addc_co_u32_e32 v7, vcc, v7, v3, vcc
	v_add_u32_e32 v3, v2, v10
	v_ashrrev_i32_e32 v3, 5, v3
	v_cmp_gt_i32_e32 vcc, s33, v2
	v_cndmask_b32_e32 v2, v11, v3, vcc
	v_ashrrev_i32_e32 v3, 31, v2
	;; [unrolled: 10-line block ×3, first 2 shown]
	v_lshlrev_b64 v[2:3], 2, v[2:3]
	v_mov_b32_e32 v1, s21
	v_add_co_u32_e32 v10, vcc, s11, v2
	v_addc_co_u32_e32 v11, vcc, v1, v3, vcc
	global_load_dword v2, v[4:5], off
	global_load_dword v13, v[6:7], off
	global_load_dword v12, v[8:9], off
	global_load_dword v24, v[10:11], off
	s_load_dwordx4 s[12:15], s[4:5], 0x8
	s_andn2_b64 vcc, exec, s[16:17]
	s_cbranch_vccnz .LBB946_8
; %bb.6:
	s_add_u32 s6, s6, s18
	s_addc_u32 s7, s7, s19
	s_load_dword s16, s[6:7], 0x0
	s_branch .LBB946_9
.LBB946_7:
	s_mov_b64 s[14:15], 0
	s_branch .LBB946_2
.LBB946_8:
	s_mov_b32 s16, s8
.LBB946_9:
	s_load_dwordx2 s[48:49], s[4:5], 0x68
	s_load_dwordx8 s[40:47], s[4:5], 0x48
	v_lshrrev_b32_e32 v62, 6, v0
	v_bfe_u32 v1, v0, 4, 2
	v_and_b32_e32 v55, 15, v0
	v_lshl_or_b32 v3, v62, 2, v1
	v_lshlrev_b32_e32 v4, 3, v55
	s_mul_i32 s25, s10, 5
	v_cmp_gt_u32_e32 vcc, 5, v3
	v_lshlrev_b32_e32 v54, 1, v4
	v_lshlrev_b32_e32 v56, 4, v0
	s_and_saveexec_b64 s[6:7], vcc
	s_cbranch_execz .LBB946_11
; %bb.10:
	s_load_dwordx2 s[18:19], s[4:5], 0x0
	s_waitcnt lgkmcnt(0)
	s_ashr_i32 s17, s40, 31
	s_mul_hi_u32 s23, s16, s40
	s_mul_i32 s17, s16, s17
	s_add_i32 s17, s23, s17
	s_mul_i32 s16, s16, s40
	s_lshl_b64 s[16:17], s[16:17], 1
	v_add_lshl_u32 v4, v3, s25, 7
	s_add_u32 s16, s18, s16
	v_ashrrev_i32_e32 v5, 31, v4
	s_addc_u32 s17, s19, s17
	v_lshlrev_b64 v[4:5], 1, v[4:5]
	v_mov_b32_e32 v6, s17
	v_add_co_u32_e32 v4, vcc, s16, v4
	v_addc_co_u32_e32 v5, vcc, v6, v5, vcc
	v_add_co_u32_e32 v4, vcc, v4, v54
	v_addc_co_u32_e32 v5, vcc, 0, v5, vcc
	global_load_dwordx4 v[4:7], v[4:5], off
	v_lshlrev_b32_e32 v9, 8, v0
	v_lshlrev_b32_e32 v8, 8, v55
	v_and_b32_e32 v9, 0x600, v9
	s_movk_i32 s16, 0x800
	v_and_or_b32 v8, v8, s16, v9
	v_lshlrev_b32_e32 v3, 5, v3
	v_and_b32_e32 v9, 16, v56
	v_or3_b32 v3, v8, v3, v9
	s_waitcnt vmcnt(0)
	ds_write_b128 v3, v[4:7]
.LBB946_11:
	s_or_b64 exec, exec, s[6:7]
	s_waitcnt lgkmcnt(0)
	s_mul_i32 s10, s10, s42
	s_add_u32 s6, s12, s10
	s_addc_u32 s7, s13, 0
	v_pk_mov_b32 v[22:23], s[6:7], s[6:7] op_sel:[0,1]
	s_waitcnt vmcnt(3)
	v_mad_i64_i32 v[2:3], s[6:7], v2, s41, v[22:23]
	v_lshlrev_b32_e32 v18, 4, v55
	v_and_b32_e32 v6, 48, v0
	v_add_co_u32_e32 v2, vcc, v2, v18
	v_lshlrev_b32_e32 v25, 5, v6
	v_addc_co_u32_e32 v3, vcc, 0, v3, vcc
	s_ashr_i32 s6, s20, 31
	v_add_co_u32_e32 v10, vcc, v2, v25
	v_or_b32_e32 v16, s20, v6
	s_lshr_b32 s6, s6, 27
	v_addc_co_u32_e32 v11, vcc, 0, v3, vcc
	v_add_u32_e32 v6, s6, v16
	v_ashrrev_i32_e32 v6, 5, v6
	v_mov_b32_e32 v17, s22
	v_cmp_gt_i32_e32 vcc, s33, v16
	v_cndmask_b32_e32 v6, v17, v6, vcc
	v_ashrrev_i32_e32 v7, 31, v6
	v_lshlrev_b64 v[6:7], 2, v[6:7]
	v_mov_b32_e32 v8, s21
	v_add_co_u32_e32 v6, vcc, s11, v6
	v_addc_co_u32_e32 v7, vcc, v8, v7, vcc
	v_or_b32_e32 v8, 64, v16
	v_add_u32_e32 v9, s6, v8
	v_ashrrev_i32_e32 v9, 5, v9
	v_cmp_gt_i32_e32 vcc, s33, v8
	v_cndmask_b32_e32 v8, v17, v9, vcc
	v_ashrrev_i32_e32 v9, 31, v8
	v_lshlrev_b64 v[8:9], 2, v[8:9]
	v_mov_b32_e32 v14, s21
	v_add_co_u32_e32 v8, vcc, s11, v8
	v_addc_co_u32_e32 v9, vcc, v14, v9, vcc
	v_or_b32_e32 v14, 0x80, v16
	v_add_u32_e32 v15, s6, v14
	s_load_dwordx2 s[50:51], s[4:5], 0x94
	s_waitcnt lgkmcnt(0)
	s_barrier
	global_load_dwordx4 v[2:5], v[10:11], off
	v_ashrrev_i32_e32 v15, 5, v15
	v_cmp_gt_i32_e32 vcc, s33, v14
	v_cndmask_b32_e32 v14, v17, v15, vcc
	v_ashrrev_i32_e32 v15, 31, v14
	v_lshlrev_b64 v[14:15], 2, v[14:15]
	v_mov_b32_e32 v19, s21
	v_add_co_u32_e32 v14, vcc, s11, v14
	v_addc_co_u32_e32 v15, vcc, v19, v15, vcc
	global_load_dword v50, v[6:7], off
	global_load_dword v57, v[8:9], off
	;; [unrolled: 1-line block ×3, first 2 shown]
	v_or_b32_e32 v6, 0xc0, v16
	v_add_u32_e32 v7, s6, v6
	v_ashrrev_i32_e32 v7, 5, v7
	v_cmp_gt_i32_e32 vcc, s33, v6
	v_cndmask_b32_e32 v6, v17, v7, vcc
	v_ashrrev_i32_e32 v7, 31, v6
	v_lshlrev_b64 v[6:7], 2, v[6:7]
	v_mov_b32_e32 v8, s21
	v_add_co_u32_e32 v14, vcc, s11, v6
	v_addc_co_u32_e32 v15, vcc, v8, v7, vcc
	global_load_dword v61, v[14:15], off
	global_load_dwordx4 v[6:9], v[10:11], off offset:2048
	s_waitcnt vmcnt(8)
	v_mad_i64_i32 v[10:11], s[6:7], v13, s41, v[22:23]
	v_or_b32_e32 v28, 0x100, v18
	v_add_co_u32_e32 v10, vcc, v10, v28
	v_addc_co_u32_e32 v11, vcc, 0, v11, vcc
	v_add_co_u32_e32 v10, vcc, v10, v25
	v_addc_co_u32_e32 v11, vcc, 0, v11, vcc
	global_load_dwordx4 v[14:17], v[10:11], off
	global_load_dwordx4 v[38:41], v[10:11], off offset:2048
	s_waitcnt vmcnt(9)
	v_mad_i64_i32 v[10:11], s[6:7], v12, s41, v[22:23]
	s_waitcnt vmcnt(8)
	v_mad_i64_i32 v[22:23], s[6:7], v24, s41, v[22:23]
	s_add_u32 s6, s14, s10
	s_addc_u32 s7, s15, 0
	v_lshl_or_b32 v63, v62, 4, v55
	v_lshlrev_b32_e32 v52, 5, v63
	v_and_b32_e32 v64, 63, v0
	s_mov_b32 s12, 0
	s_movk_i32 s13, 0x80
	s_movk_i32 s14, 0x7f
	s_mov_b32 s15, 0xffffff
	s_mov_b32 s16, 0x5040100
	s_waitcnt vmcnt(7)
	buffer_store_dword v5, off, s[0:3], 0 offset:12
	v_add_co_u32_e32 v5, vcc, v10, v18
	v_addc_co_u32_e32 v10, vcc, 0, v11, vcc
	v_add_co_u32_e32 v26, vcc, v5, v25
	v_addc_co_u32_e32 v27, vcc, 0, v10, vcc
	;; [unrolled: 2-line block ×4, first 2 shown]
	v_and_b32_e32 v5, 16, v0
	global_load_dwordx4 v[10:13], v[26:27], off
	global_load_dwordx4 v[18:21], v[26:27], off offset:2048
	s_nop 0
	global_load_dwordx4 v[26:29], v[30:31], off
	global_load_dwordx4 v[22:25], v[30:31], off offset:2048
	v_mov_b32_e32 v30, s7
	v_add_co_u32_e32 v5, vcc, s6, v5
	v_addc_co_u32_e32 v51, vcc, 0, v30, vcc
	v_add_co_u32_e32 v42, vcc, v5, v52
	v_addc_co_u32_e32 v43, vcc, 0, v51, vcc
	s_waitcnt vmcnt(11)
	v_mad_i64_i32 v[30:31], s[6:7], v50, s41, v[42:43]
	s_waitcnt vmcnt(10)
	v_mad_i64_i32 v[34:35], s[6:7], v57, s41, v[42:43]
	;; [unrolled: 2-line block ×4, first 2 shown]
	global_load_dwordx4 v[30:33], v[30:31], off
	v_or_b32_e32 v52, 0x800, v52
	global_load_dwordx4 v[34:37], v[34:35], off
	s_nop 0
	global_load_dwordx4 v[46:49], v[44:45], off
	s_nop 0
	global_load_dwordx4 v[42:45], v[42:43], off
	v_add_co_u32_e32 v58, vcc, v5, v52
	v_addc_co_u32_e32 v59, vcc, 0, v51, vcc
	buffer_store_dword v4, off, s[0:3], 0 offset:8
	v_mad_i64_i32 v[4:5], s[6:7], v57, s41, v[58:59]
	buffer_store_dword v3, off, s[0:3], 0 offset:4
	buffer_store_dword v2, off, s[0:3], 0
	v_mad_i64_i32 v[2:3], s[6:7], v61, s41, v[58:59]
	global_load_dwordx4 v[66:69], v[4:5], off
	global_load_dwordx4 v[74:77], v[2:3], off
	v_mad_i64_i32 v[50:51], s[6:7], v50, s41, v[58:59]
	global_load_dwordx4 v[50:53], v[50:51], off
	v_mad_i64_i32 v[4:5], s[6:7], v60, s41, v[58:59]
	global_load_dwordx4 v[70:73], v[4:5], off
	s_waitcnt vmcnt(18)
	buffer_store_dword v9, off, s[0:3], 0 offset:28
	buffer_store_dword v8, off, s[0:3], 0 offset:24
	;; [unrolled: 1-line block ×4, first 2 shown]
	s_waitcnt vmcnt(21)
	buffer_store_dword v17, off, s[0:3], 0 offset:44
	buffer_store_dword v16, off, s[0:3], 0 offset:40
	;; [unrolled: 1-line block ×4, first 2 shown]
	v_mov_b32_e32 v2, 0x80
	s_load_dword s6, s[4:5], 0x1c
	s_load_dwordx4 s[40:43], s[4:5], 0x80
	v_add_u32_e32 v57, 16, v2
	s_waitcnt vmcnt(24)
	buffer_store_dword v41, off, s[0:3], 0 offset:60
	buffer_store_dword v40, off, s[0:3], 0 offset:56
	;; [unrolled: 1-line block ×4, first 2 shown]
	v_add_u32_e32 v61, 32, v2
	v_add_u32_e32 v39, 48, v2
	;; [unrolled: 1-line block ×6, first 2 shown]
	v_mul_lo_u16_e32 v2, 52, v55
	v_mov_b32_e32 v3, 5
	v_mul_lo_u16_sdwa v2, v2, v3 dst_sel:DWORD dst_unused:UNUSED_PAD src0_sel:BYTE_1 src1_sel:DWORD
	v_sub_u16_e32 v2, v55, v2
	v_lshlrev_b32_sdwa v2, v3, v2 dst_sel:DWORD dst_unused:UNUSED_PAD src0_sel:DWORD src1_sel:BYTE_0
	s_waitcnt vmcnt(26)
	buffer_store_dword v13, off, s[0:3], 0 offset:76
	buffer_store_dword v12, off, s[0:3], 0 offset:72
	buffer_store_dword v11, off, s[0:3], 0 offset:68
	buffer_store_dword v10, off, s[0:3], 0 offset:64
	v_lshl_add_u32 v14, v1, 9, v2
	ds_read_b128 v[2:5], v14
	ds_read_b128 v[6:9], v14 offset:16
	ds_read_b128 v[10:13], v14 offset:2048
	;; [unrolled: 1-line block ×3, first 2 shown]
	s_waitcnt vmcnt(29)
	buffer_store_dword v21, off, s[0:3], 0 offset:92
	buffer_store_dword v20, off, s[0:3], 0 offset:88
	buffer_store_dword v19, off, s[0:3], 0 offset:84
	buffer_store_dword v18, off, s[0:3], 0 offset:80
	s_waitcnt vmcnt(32)
	buffer_store_dword v29, off, s[0:3], 0 offset:108
	buffer_store_dword v28, off, s[0:3], 0 offset:104
	buffer_store_dword v27, off, s[0:3], 0 offset:100
	buffer_store_dword v26, off, s[0:3], 0 offset:96
	;; [unrolled: 5-line block ×8, first 2 shown]
	buffer_store_dword v69, off, s[0:3], 0 offset:188
	buffer_store_dword v68, off, s[0:3], 0 offset:184
	buffer_store_dword v67, off, s[0:3], 0 offset:180
	buffer_store_dword v66, off, s[0:3], 0 offset:176
	s_waitcnt vmcnt(52)
	buffer_store_dword v73, off, s[0:3], 0 offset:220
	buffer_store_dword v72, off, s[0:3], 0 offset:216
	;; [unrolled: 1-line block ×5, first 2 shown]
	s_waitcnt lgkmcnt(0)
	s_load_dword s4, s[40:41], 0x0
	v_mov_b32_e32 v18, s6
	v_mov_b32_e32 v27, 0
	;; [unrolled: 1-line block ×4, first 2 shown]
	s_waitcnt lgkmcnt(0)
	v_mul_f32_e32 v22, s4, v18
	v_mov_b32_e32 v24, v22
	v_mov_b32_e32 v25, v22
	v_bfrev_b32_e32 v33, 60
	buffer_store_dword v76, off, s[0:3], 0 offset:248
	buffer_store_dword v75, off, s[0:3], 0 offset:244
	buffer_store_dword v74, off, s[0:3], 0 offset:240
	s_branch .LBB946_15
.LBB946_12:                             ;   in Loop: Header=BB946_15 Depth=1
	s_or_b64 exec, exec, s[10:11]
.LBB946_13:                             ;   in Loop: Header=BB946_15 Depth=1
	s_or_b64 exec, exec, s[6:7]
.LBB946_14:                             ;   in Loop: Header=BB946_15 Depth=1
	s_or_b64 exec, exec, s[4:5]
	v_perm_b32 v43, v36, v32, s16
	v_perm_b32 v42, v23, v34, s16
	;; [unrolled: 1-line block ×4, first 2 shown]
	v_add_u32_e32 v26, s12, v29
	v_mfma_f32_16x16x16bf16_1k v[18:21], v[42:43], v[14:15], v[18:21]
	s_add_i32 s12, s12, 16
	v_mov_b32_e32 v23, v22
	s_cmp_eq_u32 s12, 64
	v_add_u32_e32 v27, 32, v27
	v_mfma_f32_16x16x16bf16_1k v[18:21], v[36:37], v[16:17], v[18:21]
	s_nop 7
	s_nop 2
	v_pk_mul_f32 v[18:19], v[24:25], v[18:19]
	v_pk_mul_f32 v[20:21], v[22:23], v[20:21]
	buffer_store_dword v19, v26, s[0:3], 0 offen offset:4
	buffer_store_dword v18, v26, s[0:3], 0 offen
	buffer_store_dword v21, v26, s[0:3], 0 offen offset:12
	buffer_store_dword v20, v26, s[0:3], 0 offen offset:8
	s_cbranch_scc1 .LBB946_205
.LBB946_15:                             ; =>This Inner Loop Header: Depth=1
	buffer_load_dword v20, v27, s[0:3], 0 offen
	buffer_load_dword v18, v27, s[0:3], 0 offen offset:4
	buffer_load_dword v28, v27, s[0:3], 0 offen offset:8
	;; [unrolled: 1-line block ×3, first 2 shown]
	v_mov_b32_e32 v19, 0
	s_waitcnt vmcnt(3)
	v_cmp_ne_u16_sdwa s[6:7], v20, v31 src0_sel:BYTE_0 src1_sel:DWORD
	s_and_saveexec_b64 s[4:5], s[6:7]
	s_cbranch_execz .LBB946_21
; %bb.16:                               ;   in Loop: Header=BB946_15 Depth=1
	v_cmp_ne_u16_sdwa s[10:11], v20, s13 src0_sel:BYTE_0 src1_sel:DWORD
	v_mov_b32_e32 v19, 0xffff8000
	s_and_saveexec_b64 s[6:7], s[10:11]
	s_cbranch_execz .LBB946_20
; %bb.17:                               ;   in Loop: Header=BB946_15 Depth=1
	v_and_b32_e32 v21, 0x7f, v20
	v_cmp_ne_u32_e32 vcc, s14, v21
	v_mov_b32_e32 v19, 0x7f80
	s_and_saveexec_b64 s[10:11], vcc
	s_cbranch_execz .LBB946_19
; %bb.18:                               ;   in Loop: Header=BB946_15 Depth=1
	v_and_b32_e32 v19, 7, v20
	v_ffbh_u32_e32 v30, v19
	v_min_u32_e32 v30, 32, v30
	v_subrev_u32_e32 v32, 28, v30
	v_lshlrev_b64 v[34:35], v32, v[20:21]
	v_lshrrev_b32_e32 v23, 3, v21
	v_sub_u32_e32 v30, 29, v30
	v_and_b32_e32 v32, 7, v34
	v_cmp_gt_u32_e32 vcc, 8, v21
	v_cndmask_b32_e32 v21, v23, v30, vcc
	v_cndmask_b32_e32 v19, v19, v32, vcc
	v_lshlrev_b32_e32 v23, 24, v20
	v_lshlrev_b32_e32 v19, 20, v19
	v_and_b32_e32 v23, 0x80000000, v23
	v_lshl_add_u32 v21, v21, 23, v33
	v_or3_b32 v19, v23, v21, v19
	v_lshrrev_b32_e32 v19, 16, v19
.LBB946_19:                             ;   in Loop: Header=BB946_15 Depth=1
	s_or_b64 exec, exec, s[10:11]
.LBB946_20:                             ;   in Loop: Header=BB946_15 Depth=1
	s_or_b64 exec, exec, s[6:7]
.LBB946_21:                             ;   in Loop: Header=BB946_15 Depth=1
	s_or_b64 exec, exec, s[4:5]
	v_lshrrev_b16_e32 v30, 8, v20
	v_cmp_ne_u16_e32 vcc, 0, v30
	v_mov_b32_e32 v23, 0
	v_mov_b32_e32 v21, 0
	s_and_saveexec_b64 s[4:5], vcc
	s_cbranch_execz .LBB946_27
; %bb.22:                               ;   in Loop: Header=BB946_15 Depth=1
	v_cmp_ne_u16_e32 vcc, s13, v30
	v_mov_b32_e32 v21, 0xffff8000
	s_and_saveexec_b64 s[6:7], vcc
	s_cbranch_execz .LBB946_26
; %bb.23:                               ;   in Loop: Header=BB946_15 Depth=1
	v_and_b32_e32 v32, 0x7f, v30
	v_cmp_ne_u32_e32 vcc, s14, v32
	v_mov_b32_e32 v21, 0x7f80
	s_and_saveexec_b64 s[10:11], vcc
	s_cbranch_execz .LBB946_25
; %bb.24:                               ;   in Loop: Header=BB946_15 Depth=1
	v_and_b32_e32 v21, 7, v30
	v_ffbh_u32_e32 v34, v21
	v_min_u32_e32 v37, 32, v34
	v_subrev_u32_e32 v34, 28, v37
	v_lshlrev_b64 v[34:35], v34, v[30:31]
	v_lshrrev_b32_e32 v36, 3, v32
	v_sub_u32_e32 v30, 29, v37
	v_and_b32_e32 v34, 7, v34
	v_cmp_gt_u32_e32 vcc, 8, v32
	v_cndmask_b32_e32 v30, v36, v30, vcc
	v_cndmask_b32_e32 v21, v21, v34, vcc
	v_lshlrev_b32_e32 v32, 16, v20
	v_lshlrev_b32_e32 v21, 20, v21
	v_and_b32_e32 v32, 0x80000000, v32
	v_lshl_add_u32 v30, v30, 23, v33
	v_or3_b32 v21, v32, v30, v21
	v_lshrrev_b32_e32 v21, 16, v21
.LBB946_25:                             ;   in Loop: Header=BB946_15 Depth=1
	s_or_b64 exec, exec, s[10:11]
.LBB946_26:                             ;   in Loop: Header=BB946_15 Depth=1
	s_or_b64 exec, exec, s[6:7]
.LBB946_27:                             ;   in Loop: Header=BB946_15 Depth=1
	s_or_b64 exec, exec, s[4:5]
	v_lshrrev_b32_e32 v30, 16, v20
	v_cmp_ne_u16_sdwa s[6:7], v30, v31 src0_sel:BYTE_0 src1_sel:DWORD
	s_and_saveexec_b64 s[4:5], s[6:7]
	s_cbranch_execz .LBB946_33
; %bb.28:                               ;   in Loop: Header=BB946_15 Depth=1
	v_cmp_ne_u16_sdwa s[10:11], v30, s13 src0_sel:BYTE_0 src1_sel:DWORD
	v_mov_b32_e32 v23, 0xffff8000
	s_and_saveexec_b64 s[6:7], s[10:11]
	s_cbranch_execz .LBB946_32
; %bb.29:                               ;   in Loop: Header=BB946_15 Depth=1
	v_bfe_u32 v32, v20, 16, 7
	v_cmp_ne_u32_e32 vcc, s14, v32
	v_mov_b32_e32 v23, 0x7f80
	s_and_saveexec_b64 s[10:11], vcc
	s_cbranch_execz .LBB946_31
; %bb.30:                               ;   in Loop: Header=BB946_15 Depth=1
	v_and_b32_e32 v23, 7, v30
	v_ffbh_u32_e32 v34, v23
	v_min_u32_e32 v37, 32, v34
	v_subrev_u32_e32 v34, 28, v37
	v_lshlrev_b64 v[34:35], v34, v[30:31]
	v_lshrrev_b32_e32 v36, 3, v32
	v_sub_u32_e32 v35, 29, v37
	v_and_b32_e32 v34, 7, v34
	v_cmp_gt_u32_e32 vcc, 8, v32
	v_cndmask_b32_e32 v32, v36, v35, vcc
	v_cndmask_b32_e32 v23, v23, v34, vcc
	v_lshlrev_b32_e32 v30, 24, v30
	v_lshlrev_b32_e32 v23, 20, v23
	v_and_b32_e32 v30, 0x80000000, v30
	v_lshl_add_u32 v32, v32, 23, v33
	v_or3_b32 v23, v30, v32, v23
	v_lshrrev_b32_e32 v23, 16, v23
.LBB946_31:                             ;   in Loop: Header=BB946_15 Depth=1
	s_or_b64 exec, exec, s[10:11]
.LBB946_32:                             ;   in Loop: Header=BB946_15 Depth=1
	s_or_b64 exec, exec, s[6:7]
.LBB946_33:                             ;   in Loop: Header=BB946_15 Depth=1
	s_or_b64 exec, exec, s[4:5]
	v_cmp_lt_u32_e32 vcc, s15, v20
	v_mov_b32_e32 v34, 0
	v_mov_b32_e32 v35, 0
	s_and_saveexec_b64 s[4:5], vcc
	s_cbranch_execz .LBB946_39
; %bb.34:                               ;   in Loop: Header=BB946_15 Depth=1
	v_lshrrev_b32_e32 v30, 24, v20
	v_cmp_ne_u32_e32 vcc, s13, v30
	v_mov_b32_e32 v35, 0xffff8000
	s_and_saveexec_b64 s[6:7], vcc
	s_cbranch_execz .LBB946_38
; %bb.35:                               ;   in Loop: Header=BB946_15 Depth=1
	v_bfe_u32 v20, v20, 24, 7
	v_cmp_ne_u32_e32 vcc, s14, v20
	v_mov_b32_e32 v35, 0x7f80
	s_and_saveexec_b64 s[10:11], vcc
	s_cbranch_execz .LBB946_37
; %bb.36:                               ;   in Loop: Header=BB946_15 Depth=1
	v_and_b32_e32 v32, 7, v30
	v_ffbh_u32_e32 v36, v32
	v_min_u32_e32 v38, 32, v36
	v_subrev_u32_e32 v36, 28, v38
	v_lshlrev_b64 v[36:37], v36, v[30:31]
	v_lshrrev_b32_e32 v35, 3, v20
	v_sub_u32_e32 v37, 29, v38
	v_and_b32_e32 v36, 7, v36
	v_cmp_gt_u32_e32 vcc, 8, v20
	v_cndmask_b32_e32 v20, v35, v37, vcc
	v_cndmask_b32_e32 v32, v32, v36, vcc
	v_lshlrev_b32_e32 v30, 24, v30
	v_lshlrev_b32_e32 v32, 20, v32
	v_and_b32_e32 v30, 0x80000000, v30
	v_lshl_add_u32 v20, v20, 23, v33
	v_or3_b32 v20, v30, v20, v32
	v_lshrrev_b32_e32 v35, 16, v20
.LBB946_37:                             ;   in Loop: Header=BB946_15 Depth=1
	s_or_b64 exec, exec, s[10:11]
.LBB946_38:                             ;   in Loop: Header=BB946_15 Depth=1
	s_or_b64 exec, exec, s[6:7]
.LBB946_39:                             ;   in Loop: Header=BB946_15 Depth=1
	s_or_b64 exec, exec, s[4:5]
	s_waitcnt vmcnt(2)
	v_cmp_ne_u16_sdwa s[6:7], v18, v31 src0_sel:BYTE_0 src1_sel:DWORD
	s_and_saveexec_b64 s[4:5], s[6:7]
	s_cbranch_execz .LBB946_45
; %bb.40:                               ;   in Loop: Header=BB946_15 Depth=1
	v_cmp_ne_u16_sdwa s[10:11], v18, s13 src0_sel:BYTE_0 src1_sel:DWORD
	v_mov_b32_e32 v34, 0xffff8000
	s_and_saveexec_b64 s[6:7], s[10:11]
	s_cbranch_execz .LBB946_44
; %bb.41:                               ;   in Loop: Header=BB946_15 Depth=1
	v_and_b32_e32 v20, 0x7f, v18
	v_cmp_ne_u32_e32 vcc, s14, v20
	v_mov_b32_e32 v34, 0x7f80
	s_and_saveexec_b64 s[10:11], vcc
	s_cbranch_execz .LBB946_43
; %bb.42:                               ;   in Loop: Header=BB946_15 Depth=1
	v_and_b32_e32 v30, 7, v18
	v_ffbh_u32_e32 v34, v30
	v_min_u32_e32 v34, 32, v34
	v_subrev_u32_e32 v36, 28, v34
	v_lshlrev_b64 v[36:37], v36, v[18:19]
	v_lshrrev_b32_e32 v32, 3, v20
	v_sub_u32_e32 v34, 29, v34
	v_and_b32_e32 v36, 7, v36
	v_cmp_gt_u32_e32 vcc, 8, v20
	v_cndmask_b32_e32 v20, v32, v34, vcc
	v_cndmask_b32_e32 v30, v30, v36, vcc
	v_lshlrev_b32_e32 v32, 24, v18
	v_lshlrev_b32_e32 v30, 20, v30
	v_and_b32_e32 v32, 0x80000000, v32
	v_lshl_add_u32 v20, v20, 23, v33
	v_or3_b32 v20, v32, v20, v30
	v_lshrrev_b32_e32 v34, 16, v20
.LBB946_43:                             ;   in Loop: Header=BB946_15 Depth=1
	s_or_b64 exec, exec, s[10:11]
.LBB946_44:                             ;   in Loop: Header=BB946_15 Depth=1
	s_or_b64 exec, exec, s[6:7]
.LBB946_45:                             ;   in Loop: Header=BB946_15 Depth=1
	s_or_b64 exec, exec, s[4:5]
	v_lshrrev_b16_e32 v20, 8, v18
	v_cmp_ne_u16_e32 vcc, 0, v20
	v_mov_b32_e32 v36, 0
	v_mov_b32_e32 v30, 0
	s_and_saveexec_b64 s[4:5], vcc
	s_cbranch_execz .LBB946_51
; %bb.46:                               ;   in Loop: Header=BB946_15 Depth=1
	v_cmp_ne_u16_e32 vcc, s13, v20
	v_mov_b32_e32 v30, 0xffff8000
	s_and_saveexec_b64 s[6:7], vcc
	s_cbranch_execz .LBB946_50
; %bb.47:                               ;   in Loop: Header=BB946_15 Depth=1
	v_and_b32_e32 v32, 0x7f, v20
	v_cmp_ne_u32_e32 vcc, s14, v32
	v_mov_b32_e32 v30, 0x7f80
	s_and_saveexec_b64 s[10:11], vcc
	s_cbranch_execz .LBB946_49
; %bb.48:                               ;   in Loop: Header=BB946_15 Depth=1
	v_and_b32_e32 v30, 7, v20
	v_ffbh_u32_e32 v38, v30
	v_min_u32_e32 v38, 32, v38
	v_subrev_u32_e32 v40, 28, v38
	v_lshlrev_b64 v[42:43], v40, v[20:21]
	v_lshrrev_b32_e32 v37, 3, v32
	v_sub_u32_e32 v20, 29, v38
	v_and_b32_e32 v38, 7, v42
	v_cmp_gt_u32_e32 vcc, 8, v32
	v_cndmask_b32_e32 v20, v37, v20, vcc
	v_cndmask_b32_e32 v30, v30, v38, vcc
	v_lshlrev_b32_e32 v32, 16, v18
	v_lshlrev_b32_e32 v30, 20, v30
	v_and_b32_e32 v32, 0x80000000, v32
	v_lshl_add_u32 v20, v20, 23, v33
	v_or3_b32 v20, v32, v20, v30
	v_lshrrev_b32_e32 v30, 16, v20
.LBB946_49:                             ;   in Loop: Header=BB946_15 Depth=1
	s_or_b64 exec, exec, s[10:11]
.LBB946_50:                             ;   in Loop: Header=BB946_15 Depth=1
	s_or_b64 exec, exec, s[6:7]
.LBB946_51:                             ;   in Loop: Header=BB946_15 Depth=1
	s_or_b64 exec, exec, s[4:5]
	v_lshrrev_b32_e32 v20, 16, v18
	v_cmp_ne_u16_sdwa s[6:7], v20, v31 src0_sel:BYTE_0 src1_sel:DWORD
	s_and_saveexec_b64 s[4:5], s[6:7]
	s_cbranch_execz .LBB946_57
; %bb.52:                               ;   in Loop: Header=BB946_15 Depth=1
	v_cmp_ne_u16_sdwa s[10:11], v20, s13 src0_sel:BYTE_0 src1_sel:DWORD
	v_mov_b32_e32 v36, 0xffff8000
	s_and_saveexec_b64 s[6:7], s[10:11]
	s_cbranch_execz .LBB946_56
; %bb.53:                               ;   in Loop: Header=BB946_15 Depth=1
	v_bfe_u32 v32, v18, 16, 7
	v_cmp_ne_u32_e32 vcc, s14, v32
	v_mov_b32_e32 v36, 0x7f80
	s_and_saveexec_b64 s[10:11], vcc
	s_cbranch_execz .LBB946_55
; %bb.54:                               ;   in Loop: Header=BB946_15 Depth=1
	v_and_b32_e32 v38, 7, v20
	v_ffbh_u32_e32 v36, v38
	v_min_u32_e32 v42, 32, v36
	v_subrev_u32_e32 v36, 28, v42
	v_lshlrev_b64 v[36:37], v36, v[20:21]
	v_lshrrev_b32_e32 v40, 3, v32
	v_sub_u32_e32 v37, 29, v42
	v_and_b32_e32 v36, 7, v36
	v_cmp_gt_u32_e32 vcc, 8, v32
	v_cndmask_b32_e32 v32, v40, v37, vcc
	v_cndmask_b32_e32 v36, v38, v36, vcc
	v_lshlrev_b32_e32 v20, 24, v20
	v_lshlrev_b32_e32 v36, 20, v36
	v_and_b32_e32 v20, 0x80000000, v20
	v_lshl_add_u32 v32, v32, 23, v33
	v_or3_b32 v20, v20, v32, v36
	v_lshrrev_b32_e32 v36, 16, v20
.LBB946_55:                             ;   in Loop: Header=BB946_15 Depth=1
	s_or_b64 exec, exec, s[10:11]
.LBB946_56:                             ;   in Loop: Header=BB946_15 Depth=1
	s_or_b64 exec, exec, s[6:7]
.LBB946_57:                             ;   in Loop: Header=BB946_15 Depth=1
	s_or_b64 exec, exec, s[4:5]
	v_cmp_lt_u32_e32 vcc, s15, v18
	v_mov_b32_e32 v32, 0
	v_mov_b32_e32 v37, 0
	s_and_saveexec_b64 s[4:5], vcc
	s_cbranch_execz .LBB946_63
; %bb.58:                               ;   in Loop: Header=BB946_15 Depth=1
	v_lshrrev_b32_e32 v20, 24, v18
	v_cmp_ne_u32_e32 vcc, s13, v20
	v_mov_b32_e32 v37, 0xffff8000
	s_and_saveexec_b64 s[6:7], vcc
	s_cbranch_execz .LBB946_62
; %bb.59:                               ;   in Loop: Header=BB946_15 Depth=1
	v_bfe_u32 v18, v18, 24, 7
	v_cmp_ne_u32_e32 vcc, s14, v18
	v_mov_b32_e32 v37, 0x7f80
	s_and_saveexec_b64 s[10:11], vcc
	s_cbranch_execz .LBB946_61
; %bb.60:                               ;   in Loop: Header=BB946_15 Depth=1
	v_and_b32_e32 v37, 7, v20
	v_ffbh_u32_e32 v40, v37
	v_min_u32_e32 v40, 32, v40
	v_subrev_u32_e32 v42, 28, v40
	v_lshlrev_b64 v[42:43], v42, v[20:21]
	v_lshrrev_b32_e32 v38, 3, v18
	v_sub_u32_e32 v40, 29, v40
	v_and_b32_e32 v42, 7, v42
	v_cmp_gt_u32_e32 vcc, 8, v18
	v_cndmask_b32_e32 v18, v38, v40, vcc
	v_cndmask_b32_e32 v37, v37, v42, vcc
	v_lshlrev_b32_e32 v20, 24, v20
	v_lshlrev_b32_e32 v37, 20, v37
	v_and_b32_e32 v20, 0x80000000, v20
	v_lshl_add_u32 v18, v18, 23, v33
	v_or3_b32 v18, v20, v18, v37
	v_lshrrev_b32_e32 v37, 16, v18
.LBB946_61:                             ;   in Loop: Header=BB946_15 Depth=1
	s_or_b64 exec, exec, s[10:11]
.LBB946_62:                             ;   in Loop: Header=BB946_15 Depth=1
	s_or_b64 exec, exec, s[6:7]
.LBB946_63:                             ;   in Loop: Header=BB946_15 Depth=1
	s_or_b64 exec, exec, s[4:5]
	v_perm_b32 v43, v35, v23, s16
	v_perm_b32 v42, v21, v19, s16
	;; [unrolled: 1-line block ×4, first 2 shown]
	s_waitcnt vmcnt(1)
	v_cmp_ne_u16_sdwa s[6:7], v28, v31 src0_sel:BYTE_0 src1_sel:DWORD
	v_mfma_f32_16x16x16bf16_1k v[18:21], v[42:43], v[2:3], 0
	v_mfma_f32_16x16x16bf16_1k v[18:21], v[34:35], v[4:5], v[18:21]
	s_and_saveexec_b64 s[4:5], s[6:7]
	s_cbranch_execz .LBB946_69
; %bb.64:                               ;   in Loop: Header=BB946_15 Depth=1
	v_cmp_ne_u16_sdwa s[10:11], v28, s13 src0_sel:BYTE_0 src1_sel:DWORD
	v_mov_b32_e32 v32, 0xffff8000
	s_and_saveexec_b64 s[6:7], s[10:11]
	s_cbranch_execz .LBB946_68
; %bb.65:                               ;   in Loop: Header=BB946_15 Depth=1
	v_and_b32_e32 v23, 0x7f, v28
	v_cmp_ne_u32_e32 vcc, s14, v23
	v_mov_b32_e32 v32, 0x7f80
	s_and_saveexec_b64 s[10:11], vcc
	s_cbranch_execz .LBB946_67
; %bb.66:                               ;   in Loop: Header=BB946_15 Depth=1
	v_and_b32_e32 v30, 7, v28
	v_ffbh_u32_e32 v34, v30
	v_min_u32_e32 v36, 32, v34
	v_subrev_u32_e32 v34, 28, v36
	v_lshlrev_b64 v[34:35], v34, v[28:29]
	v_lshrrev_b32_e32 v32, 3, v23
	v_sub_u32_e32 v35, 29, v36
	v_and_b32_e32 v34, 7, v34
	v_cmp_gt_u32_e32 vcc, 8, v23
	v_cndmask_b32_e32 v23, v32, v35, vcc
	v_cndmask_b32_e32 v30, v30, v34, vcc
	v_lshlrev_b32_e32 v32, 24, v28
	v_lshlrev_b32_e32 v30, 20, v30
	v_and_b32_e32 v32, 0x80000000, v32
	v_lshl_add_u32 v23, v23, 23, v33
	v_or3_b32 v23, v32, v23, v30
	v_lshrrev_b32_e32 v32, 16, v23
.LBB946_67:                             ;   in Loop: Header=BB946_15 Depth=1
	s_or_b64 exec, exec, s[10:11]
.LBB946_68:                             ;   in Loop: Header=BB946_15 Depth=1
	s_or_b64 exec, exec, s[6:7]
.LBB946_69:                             ;   in Loop: Header=BB946_15 Depth=1
	s_or_b64 exec, exec, s[4:5]
	v_lshrrev_b16_e32 v30, 8, v28
	v_cmp_ne_u16_e32 vcc, 0, v30
	v_mov_b32_e32 v35, 0
	v_mov_b32_e32 v34, 0
	s_and_saveexec_b64 s[4:5], vcc
	s_cbranch_execz .LBB946_75
; %bb.70:                               ;   in Loop: Header=BB946_15 Depth=1
	v_cmp_ne_u16_e32 vcc, s13, v30
	v_mov_b32_e32 v34, 0xffff8000
	s_and_saveexec_b64 s[6:7], vcc
	s_cbranch_execz .LBB946_74
; %bb.71:                               ;   in Loop: Header=BB946_15 Depth=1
	v_and_b32_e32 v23, 0x7f, v30
	v_cmp_ne_u32_e32 vcc, s14, v23
	v_mov_b32_e32 v34, 0x7f80
	s_and_saveexec_b64 s[10:11], vcc
	s_cbranch_execz .LBB946_73
; %bb.72:                               ;   in Loop: Header=BB946_15 Depth=1
	v_and_b32_e32 v34, 7, v30
	v_ffbh_u32_e32 v36, v34
	v_min_u32_e32 v40, 32, v36
	v_subrev_u32_e32 v36, 28, v40
	v_lshlrev_b64 v[36:37], v36, v[30:31]
	v_lshrrev_b32_e32 v38, 3, v23
	v_sub_u32_e32 v30, 29, v40
	v_and_b32_e32 v36, 7, v36
	v_cmp_gt_u32_e32 vcc, 8, v23
	v_cndmask_b32_e32 v23, v38, v30, vcc
	v_cndmask_b32_e32 v30, v34, v36, vcc
	v_lshlrev_b32_e32 v34, 16, v28
	v_lshlrev_b32_e32 v30, 20, v30
	v_and_b32_e32 v34, 0x80000000, v34
	v_lshl_add_u32 v23, v23, 23, v33
	v_or3_b32 v23, v34, v23, v30
	v_lshrrev_b32_e32 v34, 16, v23
.LBB946_73:                             ;   in Loop: Header=BB946_15 Depth=1
	s_or_b64 exec, exec, s[10:11]
.LBB946_74:                             ;   in Loop: Header=BB946_15 Depth=1
	s_or_b64 exec, exec, s[6:7]
.LBB946_75:                             ;   in Loop: Header=BB946_15 Depth=1
	s_or_b64 exec, exec, s[4:5]
	v_lshrrev_b32_e32 v30, 16, v28
	v_cmp_ne_u16_sdwa s[6:7], v30, v31 src0_sel:BYTE_0 src1_sel:DWORD
	s_and_saveexec_b64 s[4:5], s[6:7]
	s_cbranch_execz .LBB946_81
; %bb.76:                               ;   in Loop: Header=BB946_15 Depth=1
	v_cmp_ne_u16_sdwa s[10:11], v30, s13 src0_sel:BYTE_0 src1_sel:DWORD
	v_mov_b32_e32 v35, 0xffff8000
	s_and_saveexec_b64 s[6:7], s[10:11]
	s_cbranch_execz .LBB946_80
; %bb.77:                               ;   in Loop: Header=BB946_15 Depth=1
	v_bfe_u32 v23, v28, 16, 7
	v_cmp_ne_u32_e32 vcc, s14, v23
	v_mov_b32_e32 v35, 0x7f80
	s_and_saveexec_b64 s[10:11], vcc
	s_cbranch_execz .LBB946_79
; %bb.78:                               ;   in Loop: Header=BB946_15 Depth=1
	v_and_b32_e32 v35, 7, v30
	v_ffbh_u32_e32 v36, v35
	v_min_u32_e32 v40, 32, v36
	v_subrev_u32_e32 v36, 28, v40
	v_lshlrev_b64 v[36:37], v36, v[30:31]
	v_lshrrev_b32_e32 v38, 3, v23
	v_sub_u32_e32 v37, 29, v40
	v_and_b32_e32 v36, 7, v36
	v_cmp_gt_u32_e32 vcc, 8, v23
	v_cndmask_b32_e32 v23, v38, v37, vcc
	v_cndmask_b32_e32 v35, v35, v36, vcc
	v_lshlrev_b32_e32 v30, 24, v30
	v_lshlrev_b32_e32 v35, 20, v35
	v_and_b32_e32 v30, 0x80000000, v30
	v_lshl_add_u32 v23, v23, 23, v33
	v_or3_b32 v23, v30, v23, v35
	v_lshrrev_b32_e32 v35, 16, v23
.LBB946_79:                             ;   in Loop: Header=BB946_15 Depth=1
	s_or_b64 exec, exec, s[10:11]
.LBB946_80:                             ;   in Loop: Header=BB946_15 Depth=1
	s_or_b64 exec, exec, s[6:7]
.LBB946_81:                             ;   in Loop: Header=BB946_15 Depth=1
	s_or_b64 exec, exec, s[4:5]
	v_cmp_lt_u32_e32 vcc, s15, v28
	v_mov_b32_e32 v36, 0
	v_mov_b32_e32 v37, 0
	s_and_saveexec_b64 s[4:5], vcc
	s_cbranch_execz .LBB946_87
; %bb.82:                               ;   in Loop: Header=BB946_15 Depth=1
	v_lshrrev_b32_e32 v30, 24, v28
	v_cmp_ne_u32_e32 vcc, s13, v30
	v_mov_b32_e32 v37, 0xffff8000
	s_and_saveexec_b64 s[6:7], vcc
	s_cbranch_execz .LBB946_86
; %bb.83:                               ;   in Loop: Header=BB946_15 Depth=1
	v_bfe_u32 v23, v28, 24, 7
	v_cmp_ne_u32_e32 vcc, s14, v23
	v_mov_b32_e32 v37, 0x7f80
	s_and_saveexec_b64 s[10:11], vcc
	s_cbranch_execz .LBB946_85
; %bb.84:                               ;   in Loop: Header=BB946_15 Depth=1
	v_and_b32_e32 v28, 7, v30
	v_ffbh_u32_e32 v38, v28
	v_min_u32_e32 v38, 32, v38
	v_subrev_u32_e32 v40, 28, v38
	v_lshlrev_b64 v[42:43], v40, v[30:31]
	v_lshrrev_b32_e32 v37, 3, v23
	v_sub_u32_e32 v38, 29, v38
	v_and_b32_e32 v40, 7, v42
	v_cmp_gt_u32_e32 vcc, 8, v23
	v_cndmask_b32_e32 v23, v37, v38, vcc
	v_cndmask_b32_e32 v28, v28, v40, vcc
	v_lshlrev_b32_e32 v30, 24, v30
	v_lshlrev_b32_e32 v28, 20, v28
	v_and_b32_e32 v30, 0x80000000, v30
	v_lshl_add_u32 v23, v23, 23, v33
	v_or3_b32 v23, v30, v23, v28
	v_lshrrev_b32_e32 v37, 16, v23
.LBB946_85:                             ;   in Loop: Header=BB946_15 Depth=1
	s_or_b64 exec, exec, s[10:11]
.LBB946_86:                             ;   in Loop: Header=BB946_15 Depth=1
	s_or_b64 exec, exec, s[6:7]
.LBB946_87:                             ;   in Loop: Header=BB946_15 Depth=1
	s_or_b64 exec, exec, s[4:5]
	s_waitcnt vmcnt(0)
	v_cmp_ne_u16_sdwa s[6:7], v26, v31 src0_sel:BYTE_0 src1_sel:DWORD
	s_and_saveexec_b64 s[4:5], s[6:7]
	s_cbranch_execz .LBB946_93
; %bb.88:                               ;   in Loop: Header=BB946_15 Depth=1
	v_cmp_ne_u16_sdwa s[10:11], v26, s13 src0_sel:BYTE_0 src1_sel:DWORD
	v_mov_b32_e32 v36, 0xffff8000
	s_and_saveexec_b64 s[6:7], s[10:11]
	s_cbranch_execz .LBB946_92
; %bb.89:                               ;   in Loop: Header=BB946_15 Depth=1
	v_and_b32_e32 v23, 0x7f, v26
	v_cmp_ne_u32_e32 vcc, s14, v23
	v_mov_b32_e32 v36, 0x7f80
	s_and_saveexec_b64 s[10:11], vcc
	s_cbranch_execz .LBB946_91
; %bb.90:                               ;   in Loop: Header=BB946_15 Depth=1
	v_and_b32_e32 v28, 7, v26
	v_ffbh_u32_e32 v36, v28
	v_min_u32_e32 v36, 32, v36
	v_subrev_u32_e32 v38, 28, v36
	v_lshlrev_b64 v[42:43], v38, v[26:27]
	v_lshrrev_b32_e32 v30, 3, v23
	v_sub_u32_e32 v36, 29, v36
	v_and_b32_e32 v38, 7, v42
	v_cmp_gt_u32_e32 vcc, 8, v23
	v_cndmask_b32_e32 v23, v30, v36, vcc
	v_cndmask_b32_e32 v28, v28, v38, vcc
	v_lshlrev_b32_e32 v30, 24, v26
	v_lshlrev_b32_e32 v28, 20, v28
	v_and_b32_e32 v30, 0x80000000, v30
	v_lshl_add_u32 v23, v23, 23, v33
	v_or3_b32 v23, v30, v23, v28
	v_lshrrev_b32_e32 v36, 16, v23
.LBB946_91:                             ;   in Loop: Header=BB946_15 Depth=1
	s_or_b64 exec, exec, s[10:11]
.LBB946_92:                             ;   in Loop: Header=BB946_15 Depth=1
	s_or_b64 exec, exec, s[6:7]
.LBB946_93:                             ;   in Loop: Header=BB946_15 Depth=1
	s_or_b64 exec, exec, s[4:5]
	v_lshrrev_b16_e32 v28, 8, v26
	v_cmp_ne_u16_e32 vcc, 0, v28
	v_mov_b32_e32 v40, 0
	v_mov_b32_e32 v38, 0
	s_and_saveexec_b64 s[4:5], vcc
	s_cbranch_execz .LBB946_99
; %bb.94:                               ;   in Loop: Header=BB946_15 Depth=1
	v_cmp_ne_u16_e32 vcc, s13, v28
	v_mov_b32_e32 v38, 0xffff8000
	s_and_saveexec_b64 s[6:7], vcc
	s_cbranch_execz .LBB946_98
; %bb.95:                               ;   in Loop: Header=BB946_15 Depth=1
	v_and_b32_e32 v23, 0x7f, v28
	v_cmp_ne_u32_e32 vcc, s14, v23
	v_mov_b32_e32 v38, 0x7f80
	s_and_saveexec_b64 s[10:11], vcc
	s_cbranch_execz .LBB946_97
; %bb.96:                               ;   in Loop: Header=BB946_15 Depth=1
	v_and_b32_e32 v30, 7, v28
	v_ffbh_u32_e32 v42, v30
	v_min_u32_e32 v44, 32, v42
	v_subrev_u32_e32 v42, 28, v44
	v_lshlrev_b64 v[42:43], v42, v[28:29]
	v_lshrrev_b32_e32 v38, 3, v23
	v_sub_u32_e32 v28, 29, v44
	v_and_b32_e32 v42, 7, v42
	v_cmp_gt_u32_e32 vcc, 8, v23
	v_cndmask_b32_e32 v23, v38, v28, vcc
	v_cndmask_b32_e32 v28, v30, v42, vcc
	v_lshlrev_b32_e32 v30, 16, v26
	v_lshlrev_b32_e32 v28, 20, v28
	v_and_b32_e32 v30, 0x80000000, v30
	v_lshl_add_u32 v23, v23, 23, v33
	v_or3_b32 v23, v30, v23, v28
	v_lshrrev_b32_e32 v38, 16, v23
.LBB946_97:                             ;   in Loop: Header=BB946_15 Depth=1
	s_or_b64 exec, exec, s[10:11]
.LBB946_98:                             ;   in Loop: Header=BB946_15 Depth=1
	s_or_b64 exec, exec, s[6:7]
.LBB946_99:                             ;   in Loop: Header=BB946_15 Depth=1
	s_or_b64 exec, exec, s[4:5]
	v_lshrrev_b32_e32 v28, 16, v26
	v_cmp_ne_u16_sdwa s[6:7], v28, v31 src0_sel:BYTE_0 src1_sel:DWORD
	s_and_saveexec_b64 s[4:5], s[6:7]
	s_cbranch_execz .LBB946_105
; %bb.100:                              ;   in Loop: Header=BB946_15 Depth=1
	v_cmp_ne_u16_sdwa s[10:11], v28, s13 src0_sel:BYTE_0 src1_sel:DWORD
	v_mov_b32_e32 v40, 0xffff8000
	s_and_saveexec_b64 s[6:7], s[10:11]
	s_cbranch_execz .LBB946_104
; %bb.101:                              ;   in Loop: Header=BB946_15 Depth=1
	v_bfe_u32 v23, v26, 16, 7
	v_cmp_ne_u32_e32 vcc, s14, v23
	v_mov_b32_e32 v40, 0x7f80
	s_and_saveexec_b64 s[10:11], vcc
	s_cbranch_execz .LBB946_103
; %bb.102:                              ;   in Loop: Header=BB946_15 Depth=1
	v_and_b32_e32 v30, 7, v28
	v_ffbh_u32_e32 v42, v30
	v_min_u32_e32 v44, 32, v42
	v_subrev_u32_e32 v42, 28, v44
	v_lshlrev_b64 v[42:43], v42, v[28:29]
	v_lshrrev_b32_e32 v40, 3, v23
	v_sub_u32_e32 v43, 29, v44
	v_and_b32_e32 v42, 7, v42
	v_cmp_gt_u32_e32 vcc, 8, v23
	v_cndmask_b32_e32 v23, v40, v43, vcc
	v_cndmask_b32_e32 v30, v30, v42, vcc
	v_lshlrev_b32_e32 v28, 24, v28
	v_lshlrev_b32_e32 v30, 20, v30
	v_and_b32_e32 v28, 0x80000000, v28
	v_lshl_add_u32 v23, v23, 23, v33
	v_or3_b32 v23, v28, v23, v30
	v_lshrrev_b32_e32 v40, 16, v23
.LBB946_103:                            ;   in Loop: Header=BB946_15 Depth=1
	s_or_b64 exec, exec, s[10:11]
.LBB946_104:                            ;   in Loop: Header=BB946_15 Depth=1
	s_or_b64 exec, exec, s[6:7]
.LBB946_105:                            ;   in Loop: Header=BB946_15 Depth=1
	s_or_b64 exec, exec, s[4:5]
	v_cmp_lt_u32_e32 vcc, s15, v26
	v_mov_b32_e32 v23, 0
	v_mov_b32_e32 v42, 0
	s_and_saveexec_b64 s[4:5], vcc
	s_cbranch_execz .LBB946_111
; %bb.106:                              ;   in Loop: Header=BB946_15 Depth=1
	v_lshrrev_b32_e32 v28, 24, v26
	v_cmp_ne_u32_e32 vcc, s13, v28
	v_mov_b32_e32 v42, 0xffff8000
	s_and_saveexec_b64 s[6:7], vcc
	s_cbranch_execz .LBB946_110
; %bb.107:                              ;   in Loop: Header=BB946_15 Depth=1
	v_bfe_u32 v26, v26, 24, 7
	v_cmp_ne_u32_e32 vcc, s14, v26
	v_mov_b32_e32 v42, 0x7f80
	s_and_saveexec_b64 s[10:11], vcc
	s_cbranch_execz .LBB946_109
; %bb.108:                              ;   in Loop: Header=BB946_15 Depth=1
	v_and_b32_e32 v30, 7, v28
	v_ffbh_u32_e32 v42, v30
	v_min_u32_e32 v45, 32, v42
	v_subrev_u32_e32 v42, 28, v45
	v_lshlrev_b64 v[42:43], v42, v[28:29]
	v_lshrrev_b32_e32 v44, 3, v26
	v_sub_u32_e32 v43, 29, v45
	v_and_b32_e32 v42, 7, v42
	v_cmp_gt_u32_e32 vcc, 8, v26
	v_cndmask_b32_e32 v26, v44, v43, vcc
	v_cndmask_b32_e32 v30, v30, v42, vcc
	v_lshlrev_b32_e32 v28, 24, v28
	v_lshlrev_b32_e32 v30, 20, v30
	v_and_b32_e32 v28, 0x80000000, v28
	v_lshl_add_u32 v26, v26, 23, v33
	v_or3_b32 v26, v28, v26, v30
	v_lshrrev_b32_e32 v42, 16, v26
.LBB946_109:                            ;   in Loop: Header=BB946_15 Depth=1
	s_or_b64 exec, exec, s[10:11]
.LBB946_110:                            ;   in Loop: Header=BB946_15 Depth=1
	s_or_b64 exec, exec, s[6:7]
.LBB946_111:                            ;   in Loop: Header=BB946_15 Depth=1
	s_or_b64 exec, exec, s[4:5]
	v_perm_b32 v34, v34, v32, s16
	buffer_load_dword v32, v27, s[0:3], 0 offen offset:16
	buffer_load_dword v30, v27, s[0:3], 0 offen offset:20
	;; [unrolled: 1-line block ×4, first 2 shown]
	v_perm_b32 v35, v37, v35, s16
	s_waitcnt vmcnt(3)
	v_cmp_ne_u16_sdwa s[6:7], v32, v31 src0_sel:BYTE_0 src1_sel:DWORD
	v_mfma_f32_16x16x16bf16_1k v[18:21], v[34:35], v[6:7], v[18:21]
	v_perm_b32 v35, v42, v40, s16
	v_perm_b32 v34, v38, v36, s16
	s_nop 1
	v_mfma_f32_16x16x16bf16_1k v[18:21], v[34:35], v[8:9], v[18:21]
	s_and_saveexec_b64 s[4:5], s[6:7]
	s_cbranch_execz .LBB946_117
; %bb.112:                              ;   in Loop: Header=BB946_15 Depth=1
	v_cmp_ne_u16_sdwa s[10:11], v32, s13 src0_sel:BYTE_0 src1_sel:DWORD
	v_mov_b32_e32 v23, 0xffff8000
	s_and_saveexec_b64 s[6:7], s[10:11]
	s_cbranch_execz .LBB946_116
; %bb.113:                              ;   in Loop: Header=BB946_15 Depth=1
	v_and_b32_e32 v34, 0x7f, v32
	v_cmp_ne_u32_e32 vcc, s14, v34
	v_mov_b32_e32 v23, 0x7f80
	s_and_saveexec_b64 s[10:11], vcc
	s_cbranch_execz .LBB946_115
; %bb.114:                              ;   in Loop: Header=BB946_15 Depth=1
	v_and_b32_e32 v23, 7, v32
	v_ffbh_u32_e32 v36, v23
	v_min_u32_e32 v38, 32, v36
	v_subrev_u32_e32 v36, 28, v38
	v_lshlrev_b64 v[36:37], v36, v[32:33]
	v_lshrrev_b32_e32 v35, 3, v34
	v_sub_u32_e32 v37, 29, v38
	v_and_b32_e32 v36, 7, v36
	v_cmp_gt_u32_e32 vcc, 8, v34
	v_cndmask_b32_e32 v34, v35, v37, vcc
	v_cndmask_b32_e32 v23, v23, v36, vcc
	v_lshlrev_b32_e32 v35, 24, v32
	v_lshlrev_b32_e32 v23, 20, v23
	v_and_b32_e32 v35, 0x80000000, v35
	v_lshl_add_u32 v34, v34, 23, v33
	v_or3_b32 v23, v35, v34, v23
	v_lshrrev_b32_e32 v23, 16, v23
.LBB946_115:                            ;   in Loop: Header=BB946_15 Depth=1
	s_or_b64 exec, exec, s[10:11]
.LBB946_116:                            ;   in Loop: Header=BB946_15 Depth=1
	s_or_b64 exec, exec, s[6:7]
.LBB946_117:                            ;   in Loop: Header=BB946_15 Depth=1
	s_or_b64 exec, exec, s[4:5]
	v_lshrrev_b16_e32 v34, 8, v32
	v_cmp_ne_u16_e32 vcc, 0, v34
	v_mov_b32_e32 v36, 0
	v_mov_b32_e32 v35, 0
	s_and_saveexec_b64 s[4:5], vcc
	s_cbranch_execz .LBB946_123
; %bb.118:                              ;   in Loop: Header=BB946_15 Depth=1
	v_cmp_ne_u16_e32 vcc, s13, v34
	v_mov_b32_e32 v35, 0xffff8000
	s_and_saveexec_b64 s[6:7], vcc
	s_cbranch_execz .LBB946_122
; %bb.119:                              ;   in Loop: Header=BB946_15 Depth=1
	v_and_b32_e32 v37, 0x7f, v34
	v_cmp_ne_u32_e32 vcc, s14, v37
	v_mov_b32_e32 v35, 0x7f80
	s_and_saveexec_b64 s[10:11], vcc
	s_cbranch_execz .LBB946_121
; %bb.120:                              ;   in Loop: Header=BB946_15 Depth=1
	v_and_b32_e32 v38, 7, v34
	v_ffbh_u32_e32 v35, v38
	v_min_u32_e32 v42, 32, v35
	v_subrev_u32_e32 v35, 28, v42
	v_lshlrev_b64 v[34:35], v35, v[34:35]
	v_lshrrev_b32_e32 v40, 3, v37
	v_sub_u32_e32 v35, 29, v42
	v_and_b32_e32 v34, 7, v34
	v_cmp_gt_u32_e32 vcc, 8, v37
	v_cndmask_b32_e32 v35, v40, v35, vcc
	v_cndmask_b32_e32 v34, v38, v34, vcc
	v_lshlrev_b32_e32 v37, 16, v32
	v_lshlrev_b32_e32 v34, 20, v34
	v_and_b32_e32 v37, 0x80000000, v37
	v_lshl_add_u32 v35, v35, 23, v33
	v_or3_b32 v34, v37, v35, v34
	v_lshrrev_b32_e32 v35, 16, v34
.LBB946_121:                            ;   in Loop: Header=BB946_15 Depth=1
	s_or_b64 exec, exec, s[10:11]
.LBB946_122:                            ;   in Loop: Header=BB946_15 Depth=1
	s_or_b64 exec, exec, s[6:7]
.LBB946_123:                            ;   in Loop: Header=BB946_15 Depth=1
	s_or_b64 exec, exec, s[4:5]
	v_lshrrev_b32_e32 v34, 16, v32
	v_cmp_ne_u16_sdwa s[6:7], v34, v31 src0_sel:BYTE_0 src1_sel:DWORD
	s_and_saveexec_b64 s[4:5], s[6:7]
	s_cbranch_execz .LBB946_129
; %bb.124:                              ;   in Loop: Header=BB946_15 Depth=1
	v_cmp_ne_u16_sdwa s[10:11], v34, s13 src0_sel:BYTE_0 src1_sel:DWORD
	v_mov_b32_e32 v36, 0xffff8000
	s_and_saveexec_b64 s[6:7], s[10:11]
	s_cbranch_execz .LBB946_128
; %bb.125:                              ;   in Loop: Header=BB946_15 Depth=1
	v_bfe_u32 v37, v32, 16, 7
	v_cmp_ne_u32_e32 vcc, s14, v37
	v_mov_b32_e32 v36, 0x7f80
	s_and_saveexec_b64 s[10:11], vcc
	s_cbranch_execz .LBB946_127
; %bb.126:                              ;   in Loop: Header=BB946_15 Depth=1
	v_and_b32_e32 v36, 7, v34
	v_ffbh_u32_e32 v40, v36
	v_min_u32_e32 v40, 32, v40
	v_subrev_u32_e32 v42, 28, v40
	v_lshlrev_b64 v[42:43], v42, v[34:35]
	v_lshrrev_b32_e32 v38, 3, v37
	v_sub_u32_e32 v40, 29, v40
	v_and_b32_e32 v42, 7, v42
	v_cmp_gt_u32_e32 vcc, 8, v37
	v_cndmask_b32_e32 v37, v38, v40, vcc
	v_cndmask_b32_e32 v36, v36, v42, vcc
	v_lshlrev_b32_e32 v34, 24, v34
	v_lshlrev_b32_e32 v36, 20, v36
	v_and_b32_e32 v34, 0x80000000, v34
	v_lshl_add_u32 v37, v37, 23, v33
	v_or3_b32 v34, v34, v37, v36
	v_lshrrev_b32_e32 v36, 16, v34
.LBB946_127:                            ;   in Loop: Header=BB946_15 Depth=1
	s_or_b64 exec, exec, s[10:11]
.LBB946_128:                            ;   in Loop: Header=BB946_15 Depth=1
	s_or_b64 exec, exec, s[6:7]
.LBB946_129:                            ;   in Loop: Header=BB946_15 Depth=1
	s_or_b64 exec, exec, s[4:5]
	v_cmp_lt_u32_e32 vcc, s15, v32
	v_mov_b32_e32 v37, 0
	v_mov_b32_e32 v38, 0
	s_and_saveexec_b64 s[4:5], vcc
	s_cbranch_execz .LBB946_135
; %bb.130:                              ;   in Loop: Header=BB946_15 Depth=1
	v_lshrrev_b32_e32 v34, 24, v32
	v_cmp_ne_u32_e32 vcc, s13, v34
	v_mov_b32_e32 v38, 0xffff8000
	s_and_saveexec_b64 s[6:7], vcc
	s_cbranch_execz .LBB946_134
; %bb.131:                              ;   in Loop: Header=BB946_15 Depth=1
	v_bfe_u32 v32, v32, 24, 7
	v_cmp_ne_u32_e32 vcc, s14, v32
	v_mov_b32_e32 v38, 0x7f80
	s_and_saveexec_b64 s[10:11], vcc
	s_cbranch_execz .LBB946_133
; %bb.132:                              ;   in Loop: Header=BB946_15 Depth=1
	v_and_b32_e32 v38, 7, v34
	v_ffbh_u32_e32 v42, v38
	v_min_u32_e32 v44, 32, v42
	v_subrev_u32_e32 v42, 28, v44
	v_lshlrev_b64 v[42:43], v42, v[34:35]
	v_lshrrev_b32_e32 v40, 3, v32
	v_sub_u32_e32 v43, 29, v44
	v_and_b32_e32 v42, 7, v42
	v_cmp_gt_u32_e32 vcc, 8, v32
	v_cndmask_b32_e32 v32, v40, v43, vcc
	v_cndmask_b32_e32 v38, v38, v42, vcc
	v_lshlrev_b32_e32 v34, 24, v34
	v_lshlrev_b32_e32 v38, 20, v38
	v_and_b32_e32 v34, 0x80000000, v34
	v_lshl_add_u32 v32, v32, 23, v33
	v_or3_b32 v32, v34, v32, v38
	v_lshrrev_b32_e32 v38, 16, v32
.LBB946_133:                            ;   in Loop: Header=BB946_15 Depth=1
	s_or_b64 exec, exec, s[10:11]
.LBB946_134:                            ;   in Loop: Header=BB946_15 Depth=1
	s_or_b64 exec, exec, s[6:7]
.LBB946_135:                            ;   in Loop: Header=BB946_15 Depth=1
	s_or_b64 exec, exec, s[4:5]
	s_waitcnt vmcnt(2)
	v_cmp_ne_u16_sdwa s[6:7], v30, v31 src0_sel:BYTE_0 src1_sel:DWORD
	s_and_saveexec_b64 s[4:5], s[6:7]
	s_cbranch_execz .LBB946_141
; %bb.136:                              ;   in Loop: Header=BB946_15 Depth=1
	v_cmp_ne_u16_sdwa s[10:11], v30, s13 src0_sel:BYTE_0 src1_sel:DWORD
	v_mov_b32_e32 v37, 0xffff8000
	s_and_saveexec_b64 s[6:7], s[10:11]
	s_cbranch_execz .LBB946_140
; %bb.137:                              ;   in Loop: Header=BB946_15 Depth=1
	v_and_b32_e32 v32, 0x7f, v30
	v_cmp_ne_u32_e32 vcc, s14, v32
	v_mov_b32_e32 v37, 0x7f80
	s_and_saveexec_b64 s[10:11], vcc
	s_cbranch_execz .LBB946_139
; %bb.138:                              ;   in Loop: Header=BB946_15 Depth=1
	v_and_b32_e32 v34, 7, v30
	v_ffbh_u32_e32 v40, v34
	v_min_u32_e32 v40, 32, v40
	v_subrev_u32_e32 v42, 28, v40
	v_lshlrev_b64 v[42:43], v42, v[30:31]
	v_lshrrev_b32_e32 v37, 3, v32
	v_sub_u32_e32 v40, 29, v40
	v_and_b32_e32 v42, 7, v42
	v_cmp_gt_u32_e32 vcc, 8, v32
	v_cndmask_b32_e32 v32, v37, v40, vcc
	v_cndmask_b32_e32 v34, v34, v42, vcc
	v_lshlrev_b32_e32 v37, 24, v30
	v_lshlrev_b32_e32 v34, 20, v34
	v_and_b32_e32 v37, 0x80000000, v37
	v_lshl_add_u32 v32, v32, 23, v33
	v_or3_b32 v32, v37, v32, v34
	v_lshrrev_b32_e32 v37, 16, v32
.LBB946_139:                            ;   in Loop: Header=BB946_15 Depth=1
	s_or_b64 exec, exec, s[10:11]
.LBB946_140:                            ;   in Loop: Header=BB946_15 Depth=1
	s_or_b64 exec, exec, s[6:7]
.LBB946_141:                            ;   in Loop: Header=BB946_15 Depth=1
	s_or_b64 exec, exec, s[4:5]
	v_lshrrev_b16_e32 v32, 8, v30
	v_cmp_ne_u16_e32 vcc, 0, v32
	v_mov_b32_e32 v42, 0
	v_mov_b32_e32 v40, 0
	s_and_saveexec_b64 s[4:5], vcc
	s_cbranch_execz .LBB946_147
; %bb.142:                              ;   in Loop: Header=BB946_15 Depth=1
	v_cmp_ne_u16_e32 vcc, s13, v32
	v_mov_b32_e32 v40, 0xffff8000
	s_and_saveexec_b64 s[6:7], vcc
	s_cbranch_execz .LBB946_146
; %bb.143:                              ;   in Loop: Header=BB946_15 Depth=1
	v_and_b32_e32 v34, 0x7f, v32
	v_cmp_ne_u32_e32 vcc, s14, v34
	v_mov_b32_e32 v40, 0x7f80
	s_and_saveexec_b64 s[10:11], vcc
	s_cbranch_execz .LBB946_145
; %bb.144:                              ;   in Loop: Header=BB946_15 Depth=1
	v_and_b32_e32 v40, 7, v32
	v_ffbh_u32_e32 v44, v40
	v_min_u32_e32 v46, 32, v44
	v_subrev_u32_e32 v44, 28, v46
	v_lshlrev_b64 v[44:45], v44, v[32:33]
	v_lshrrev_b32_e32 v43, 3, v34
	v_sub_u32_e32 v32, 29, v46
	v_and_b32_e32 v44, 7, v44
	v_cmp_gt_u32_e32 vcc, 8, v34
	v_cndmask_b32_e32 v32, v43, v32, vcc
	v_cndmask_b32_e32 v34, v40, v44, vcc
	v_lshlrev_b32_e32 v40, 16, v30
	v_lshlrev_b32_e32 v34, 20, v34
	v_and_b32_e32 v40, 0x80000000, v40
	v_lshl_add_u32 v32, v32, 23, v33
	v_or3_b32 v32, v40, v32, v34
	v_lshrrev_b32_e32 v40, 16, v32
.LBB946_145:                            ;   in Loop: Header=BB946_15 Depth=1
	s_or_b64 exec, exec, s[10:11]
.LBB946_146:                            ;   in Loop: Header=BB946_15 Depth=1
	s_or_b64 exec, exec, s[6:7]
.LBB946_147:                            ;   in Loop: Header=BB946_15 Depth=1
	s_or_b64 exec, exec, s[4:5]
	v_lshrrev_b32_e32 v32, 16, v30
	v_cmp_ne_u16_sdwa s[6:7], v32, v31 src0_sel:BYTE_0 src1_sel:DWORD
	s_and_saveexec_b64 s[4:5], s[6:7]
	s_cbranch_execz .LBB946_153
; %bb.148:                              ;   in Loop: Header=BB946_15 Depth=1
	v_cmp_ne_u16_sdwa s[10:11], v32, s13 src0_sel:BYTE_0 src1_sel:DWORD
	v_mov_b32_e32 v42, 0xffff8000
	s_and_saveexec_b64 s[6:7], s[10:11]
	s_cbranch_execz .LBB946_152
; %bb.149:                              ;   in Loop: Header=BB946_15 Depth=1
	v_bfe_u32 v34, v30, 16, 7
	v_cmp_ne_u32_e32 vcc, s14, v34
	v_mov_b32_e32 v42, 0x7f80
	s_and_saveexec_b64 s[10:11], vcc
	s_cbranch_execz .LBB946_151
; %bb.150:                              ;   in Loop: Header=BB946_15 Depth=1
	v_and_b32_e32 v44, 7, v32
	v_ffbh_u32_e32 v42, v44
	v_min_u32_e32 v46, 32, v42
	v_subrev_u32_e32 v42, 28, v46
	v_lshlrev_b64 v[42:43], v42, v[32:33]
	v_lshrrev_b32_e32 v45, 3, v34
	v_sub_u32_e32 v43, 29, v46
	v_and_b32_e32 v42, 7, v42
	v_cmp_gt_u32_e32 vcc, 8, v34
	v_cndmask_b32_e32 v34, v45, v43, vcc
	v_cndmask_b32_e32 v42, v44, v42, vcc
	v_lshlrev_b32_e32 v32, 24, v32
	v_lshlrev_b32_e32 v42, 20, v42
	v_and_b32_e32 v32, 0x80000000, v32
	v_lshl_add_u32 v34, v34, 23, v33
	v_or3_b32 v32, v32, v34, v42
	v_lshrrev_b32_e32 v42, 16, v32
.LBB946_151:                            ;   in Loop: Header=BB946_15 Depth=1
	s_or_b64 exec, exec, s[10:11]
.LBB946_152:                            ;   in Loop: Header=BB946_15 Depth=1
	s_or_b64 exec, exec, s[6:7]
.LBB946_153:                            ;   in Loop: Header=BB946_15 Depth=1
	s_or_b64 exec, exec, s[4:5]
	v_cmp_lt_u32_e32 vcc, s15, v30
	v_mov_b32_e32 v34, 0
	v_mov_b32_e32 v43, 0
	s_and_saveexec_b64 s[4:5], vcc
	s_cbranch_execz .LBB946_159
; %bb.154:                              ;   in Loop: Header=BB946_15 Depth=1
	v_lshrrev_b32_e32 v32, 24, v30
	v_cmp_ne_u32_e32 vcc, s13, v32
	v_mov_b32_e32 v43, 0xffff8000
	s_and_saveexec_b64 s[6:7], vcc
	s_cbranch_execz .LBB946_158
; %bb.155:                              ;   in Loop: Header=BB946_15 Depth=1
	v_bfe_u32 v30, v30, 24, 7
	v_cmp_ne_u32_e32 vcc, s14, v30
	v_mov_b32_e32 v43, 0x7f80
	s_and_saveexec_b64 s[10:11], vcc
	s_cbranch_execz .LBB946_157
; %bb.156:                              ;   in Loop: Header=BB946_15 Depth=1
	v_and_b32_e32 v43, 7, v32
	v_ffbh_u32_e32 v44, v43
	v_min_u32_e32 v47, 32, v44
	v_subrev_u32_e32 v44, 28, v47
	v_lshlrev_b64 v[44:45], v44, v[32:33]
	v_lshrrev_b32_e32 v46, 3, v30
	v_sub_u32_e32 v45, 29, v47
	v_and_b32_e32 v44, 7, v44
	v_cmp_gt_u32_e32 vcc, 8, v30
	v_cndmask_b32_e32 v30, v46, v45, vcc
	v_cndmask_b32_e32 v43, v43, v44, vcc
	v_lshlrev_b32_e32 v32, 24, v32
	v_lshlrev_b32_e32 v43, 20, v43
	v_and_b32_e32 v32, 0x80000000, v32
	v_lshl_add_u32 v30, v30, 23, v33
	v_or3_b32 v30, v32, v30, v43
	v_lshrrev_b32_e32 v43, 16, v30
.LBB946_157:                            ;   in Loop: Header=BB946_15 Depth=1
	s_or_b64 exec, exec, s[10:11]
.LBB946_158:                            ;   in Loop: Header=BB946_15 Depth=1
	s_or_b64 exec, exec, s[6:7]
.LBB946_159:                            ;   in Loop: Header=BB946_15 Depth=1
	s_or_b64 exec, exec, s[4:5]
	v_perm_b32 v45, v38, v36, s16
	v_perm_b32 v44, v35, v23, s16
	;; [unrolled: 1-line block ×4, first 2 shown]
	s_waitcnt vmcnt(1)
	v_cmp_ne_u16_sdwa s[6:7], v28, v31 src0_sel:BYTE_0 src1_sel:DWORD
	v_mfma_f32_16x16x16bf16_1k v[18:21], v[44:45], v[10:11], v[18:21]
	v_mfma_f32_16x16x16bf16_1k v[18:21], v[42:43], v[12:13], v[18:21]
	s_and_saveexec_b64 s[4:5], s[6:7]
	s_cbranch_execz .LBB946_165
; %bb.160:                              ;   in Loop: Header=BB946_15 Depth=1
	v_cmp_ne_u16_sdwa s[10:11], v28, s13 src0_sel:BYTE_0 src1_sel:DWORD
	v_mov_b32_e32 v34, 0xffff8000
	s_and_saveexec_b64 s[6:7], s[10:11]
	s_cbranch_execz .LBB946_164
; %bb.161:                              ;   in Loop: Header=BB946_15 Depth=1
	v_and_b32_e32 v23, 0x7f, v28
	v_cmp_ne_u32_e32 vcc, s14, v23
	v_mov_b32_e32 v34, 0x7f80
	s_and_saveexec_b64 s[10:11], vcc
	s_cbranch_execz .LBB946_163
; %bb.162:                              ;   in Loop: Header=BB946_15 Depth=1
	v_and_b32_e32 v30, 7, v28
	v_ffbh_u32_e32 v34, v30
	v_min_u32_e32 v36, 32, v34
	v_subrev_u32_e32 v34, 28, v36
	v_lshlrev_b64 v[34:35], v34, v[28:29]
	v_lshrrev_b32_e32 v32, 3, v23
	v_sub_u32_e32 v35, 29, v36
	v_and_b32_e32 v34, 7, v34
	v_cmp_gt_u32_e32 vcc, 8, v23
	v_cndmask_b32_e32 v23, v32, v35, vcc
	v_cndmask_b32_e32 v30, v30, v34, vcc
	v_lshlrev_b32_e32 v32, 24, v28
	v_lshlrev_b32_e32 v30, 20, v30
	v_and_b32_e32 v32, 0x80000000, v32
	v_lshl_add_u32 v23, v23, 23, v33
	v_or3_b32 v23, v32, v23, v30
	v_lshrrev_b32_e32 v34, 16, v23
.LBB946_163:                            ;   in Loop: Header=BB946_15 Depth=1
	s_or_b64 exec, exec, s[10:11]
.LBB946_164:                            ;   in Loop: Header=BB946_15 Depth=1
	s_or_b64 exec, exec, s[6:7]
.LBB946_165:                            ;   in Loop: Header=BB946_15 Depth=1
	s_or_b64 exec, exec, s[4:5]
	v_lshrrev_b16_e32 v30, 8, v28
	v_cmp_ne_u16_e32 vcc, 0, v30
	v_mov_b32_e32 v32, 0
	v_mov_b32_e32 v23, 0
	s_and_saveexec_b64 s[4:5], vcc
	s_cbranch_execz .LBB946_171
; %bb.166:                              ;   in Loop: Header=BB946_15 Depth=1
	v_cmp_ne_u16_e32 vcc, s13, v30
	v_mov_b32_e32 v23, 0xffff8000
	s_and_saveexec_b64 s[6:7], vcc
	s_cbranch_execz .LBB946_170
; %bb.167:                              ;   in Loop: Header=BB946_15 Depth=1
	v_and_b32_e32 v35, 0x7f, v30
	v_cmp_ne_u32_e32 vcc, s14, v35
	v_mov_b32_e32 v23, 0x7f80
	s_and_saveexec_b64 s[10:11], vcc
	s_cbranch_execz .LBB946_169
; %bb.168:                              ;   in Loop: Header=BB946_15 Depth=1
	v_and_b32_e32 v23, 7, v30
	v_ffbh_u32_e32 v36, v23
	v_min_u32_e32 v40, 32, v36
	v_subrev_u32_e32 v36, 28, v40
	v_lshlrev_b64 v[36:37], v36, v[30:31]
	v_lshrrev_b32_e32 v38, 3, v35
	v_sub_u32_e32 v30, 29, v40
	v_and_b32_e32 v36, 7, v36
	v_cmp_gt_u32_e32 vcc, 8, v35
	v_cndmask_b32_e32 v30, v38, v30, vcc
	v_cndmask_b32_e32 v23, v23, v36, vcc
	v_lshlrev_b32_e32 v35, 16, v28
	v_lshlrev_b32_e32 v23, 20, v23
	v_and_b32_e32 v35, 0x80000000, v35
	v_lshl_add_u32 v30, v30, 23, v33
	v_or3_b32 v23, v35, v30, v23
	v_lshrrev_b32_e32 v23, 16, v23
.LBB946_169:                            ;   in Loop: Header=BB946_15 Depth=1
	s_or_b64 exec, exec, s[10:11]
.LBB946_170:                            ;   in Loop: Header=BB946_15 Depth=1
	s_or_b64 exec, exec, s[6:7]
.LBB946_171:                            ;   in Loop: Header=BB946_15 Depth=1
	s_or_b64 exec, exec, s[4:5]
	v_lshrrev_b32_e32 v30, 16, v28
	v_cmp_ne_u16_sdwa s[6:7], v30, v31 src0_sel:BYTE_0 src1_sel:DWORD
	s_and_saveexec_b64 s[4:5], s[6:7]
	s_cbranch_execz .LBB946_177
; %bb.172:                              ;   in Loop: Header=BB946_15 Depth=1
	v_cmp_ne_u16_sdwa s[10:11], v30, s13 src0_sel:BYTE_0 src1_sel:DWORD
	v_mov_b32_e32 v32, 0xffff8000
	s_and_saveexec_b64 s[6:7], s[10:11]
	s_cbranch_execz .LBB946_176
; %bb.173:                              ;   in Loop: Header=BB946_15 Depth=1
	v_bfe_u32 v35, v28, 16, 7
	v_cmp_ne_u32_e32 vcc, s14, v35
	v_mov_b32_e32 v32, 0x7f80
	s_and_saveexec_b64 s[10:11], vcc
	s_cbranch_execz .LBB946_175
; %bb.174:                              ;   in Loop: Header=BB946_15 Depth=1
	v_and_b32_e32 v32, 7, v30
	v_ffbh_u32_e32 v36, v32
	v_min_u32_e32 v40, 32, v36
	v_subrev_u32_e32 v36, 28, v40
	v_lshlrev_b64 v[36:37], v36, v[30:31]
	v_lshrrev_b32_e32 v38, 3, v35
	v_sub_u32_e32 v37, 29, v40
	v_and_b32_e32 v36, 7, v36
	v_cmp_gt_u32_e32 vcc, 8, v35
	v_cndmask_b32_e32 v35, v38, v37, vcc
	v_cndmask_b32_e32 v32, v32, v36, vcc
	v_lshlrev_b32_e32 v30, 24, v30
	v_lshlrev_b32_e32 v32, 20, v32
	v_and_b32_e32 v30, 0x80000000, v30
	v_lshl_add_u32 v35, v35, 23, v33
	v_or3_b32 v30, v30, v35, v32
	v_lshrrev_b32_e32 v32, 16, v30
.LBB946_175:                            ;   in Loop: Header=BB946_15 Depth=1
	s_or_b64 exec, exec, s[10:11]
.LBB946_176:                            ;   in Loop: Header=BB946_15 Depth=1
	s_or_b64 exec, exec, s[6:7]
.LBB946_177:                            ;   in Loop: Header=BB946_15 Depth=1
	s_or_b64 exec, exec, s[4:5]
	v_cmp_lt_u32_e32 vcc, s15, v28
	v_mov_b32_e32 v35, 0
	v_mov_b32_e32 v36, 0
	s_and_saveexec_b64 s[4:5], vcc
	s_cbranch_execz .LBB946_183
; %bb.178:                              ;   in Loop: Header=BB946_15 Depth=1
	v_lshrrev_b32_e32 v30, 24, v28
	v_cmp_ne_u32_e32 vcc, s13, v30
	v_mov_b32_e32 v36, 0xffff8000
	s_and_saveexec_b64 s[6:7], vcc
	s_cbranch_execz .LBB946_182
; %bb.179:                              ;   in Loop: Header=BB946_15 Depth=1
	v_bfe_u32 v28, v28, 24, 7
	v_cmp_ne_u32_e32 vcc, s14, v28
	v_mov_b32_e32 v36, 0x7f80
	s_and_saveexec_b64 s[10:11], vcc
	s_cbranch_execz .LBB946_181
; %bb.180:                              ;   in Loop: Header=BB946_15 Depth=1
	v_and_b32_e32 v38, 7, v30
	v_ffbh_u32_e32 v36, v38
	v_min_u32_e32 v42, 32, v36
	v_subrev_u32_e32 v36, 28, v42
	v_lshlrev_b64 v[36:37], v36, v[30:31]
	v_lshrrev_b32_e32 v40, 3, v28
	v_sub_u32_e32 v37, 29, v42
	v_and_b32_e32 v36, 7, v36
	v_cmp_gt_u32_e32 vcc, 8, v28
	v_cndmask_b32_e32 v28, v40, v37, vcc
	v_cndmask_b32_e32 v36, v38, v36, vcc
	v_lshlrev_b32_e32 v30, 24, v30
	v_lshlrev_b32_e32 v36, 20, v36
	v_and_b32_e32 v30, 0x80000000, v30
	v_lshl_add_u32 v28, v28, 23, v33
	v_or3_b32 v28, v30, v28, v36
	v_lshrrev_b32_e32 v36, 16, v28
.LBB946_181:                            ;   in Loop: Header=BB946_15 Depth=1
	s_or_b64 exec, exec, s[10:11]
.LBB946_182:                            ;   in Loop: Header=BB946_15 Depth=1
	s_or_b64 exec, exec, s[6:7]
.LBB946_183:                            ;   in Loop: Header=BB946_15 Depth=1
	s_or_b64 exec, exec, s[4:5]
	s_waitcnt vmcnt(0)
	v_cmp_ne_u16_sdwa s[6:7], v26, v31 src0_sel:BYTE_0 src1_sel:DWORD
	s_and_saveexec_b64 s[4:5], s[6:7]
	s_cbranch_execz .LBB946_189
; %bb.184:                              ;   in Loop: Header=BB946_15 Depth=1
	v_cmp_ne_u16_sdwa s[10:11], v26, s13 src0_sel:BYTE_0 src1_sel:DWORD
	v_mov_b32_e32 v35, 0xffff8000
	s_and_saveexec_b64 s[6:7], s[10:11]
	s_cbranch_execz .LBB946_188
; %bb.185:                              ;   in Loop: Header=BB946_15 Depth=1
	v_and_b32_e32 v28, 0x7f, v26
	v_cmp_ne_u32_e32 vcc, s14, v28
	v_mov_b32_e32 v35, 0x7f80
	s_and_saveexec_b64 s[10:11], vcc
	s_cbranch_execz .LBB946_187
; %bb.186:                              ;   in Loop: Header=BB946_15 Depth=1
	v_and_b32_e32 v30, 7, v26
	v_ffbh_u32_e32 v37, v30
	v_min_u32_e32 v37, 32, v37
	v_subrev_u32_e32 v38, 28, v37
	v_lshlrev_b64 v[42:43], v38, v[26:27]
	v_lshrrev_b32_e32 v35, 3, v28
	v_sub_u32_e32 v37, 29, v37
	v_and_b32_e32 v38, 7, v42
	v_cmp_gt_u32_e32 vcc, 8, v28
	v_cndmask_b32_e32 v28, v35, v37, vcc
	v_cndmask_b32_e32 v30, v30, v38, vcc
	v_lshlrev_b32_e32 v35, 24, v26
	v_lshlrev_b32_e32 v30, 20, v30
	v_and_b32_e32 v35, 0x80000000, v35
	v_lshl_add_u32 v28, v28, 23, v33
	v_or3_b32 v28, v35, v28, v30
	v_lshrrev_b32_e32 v35, 16, v28
.LBB946_187:                            ;   in Loop: Header=BB946_15 Depth=1
	s_or_b64 exec, exec, s[10:11]
.LBB946_188:                            ;   in Loop: Header=BB946_15 Depth=1
	s_or_b64 exec, exec, s[6:7]
.LBB946_189:                            ;   in Loop: Header=BB946_15 Depth=1
	s_or_b64 exec, exec, s[4:5]
	v_lshrrev_b16_e32 v28, 8, v26
	v_cmp_ne_u16_e32 vcc, 0, v28
	v_mov_b32_e32 v37, 0
	v_mov_b32_e32 v30, 0
	s_and_saveexec_b64 s[4:5], vcc
	s_cbranch_execz .LBB946_195
; %bb.190:                              ;   in Loop: Header=BB946_15 Depth=1
	v_cmp_ne_u16_e32 vcc, s13, v28
	v_mov_b32_e32 v30, 0xffff8000
	s_and_saveexec_b64 s[6:7], vcc
	s_cbranch_execz .LBB946_194
; %bb.191:                              ;   in Loop: Header=BB946_15 Depth=1
	v_and_b32_e32 v38, 0x7f, v28
	v_cmp_ne_u32_e32 vcc, s14, v38
	v_mov_b32_e32 v30, 0x7f80
	s_and_saveexec_b64 s[10:11], vcc
	s_cbranch_execz .LBB946_193
; %bb.192:                              ;   in Loop: Header=BB946_15 Depth=1
	v_and_b32_e32 v30, 7, v28
	v_ffbh_u32_e32 v42, v30
	v_min_u32_e32 v44, 32, v42
	v_subrev_u32_e32 v42, 28, v44
	v_lshlrev_b64 v[42:43], v42, v[28:29]
	v_lshrrev_b32_e32 v40, 3, v38
	v_sub_u32_e32 v28, 29, v44
	v_and_b32_e32 v42, 7, v42
	v_cmp_gt_u32_e32 vcc, 8, v38
	v_cndmask_b32_e32 v28, v40, v28, vcc
	v_cndmask_b32_e32 v30, v30, v42, vcc
	v_lshlrev_b32_e32 v38, 16, v26
	v_lshlrev_b32_e32 v30, 20, v30
	v_and_b32_e32 v38, 0x80000000, v38
	v_lshl_add_u32 v28, v28, 23, v33
	v_or3_b32 v28, v38, v28, v30
	v_lshrrev_b32_e32 v30, 16, v28
.LBB946_193:                            ;   in Loop: Header=BB946_15 Depth=1
	s_or_b64 exec, exec, s[10:11]
.LBB946_194:                            ;   in Loop: Header=BB946_15 Depth=1
	s_or_b64 exec, exec, s[6:7]
.LBB946_195:                            ;   in Loop: Header=BB946_15 Depth=1
	s_or_b64 exec, exec, s[4:5]
	v_lshrrev_b32_e32 v28, 16, v26
	v_cmp_ne_u16_sdwa s[6:7], v28, v31 src0_sel:BYTE_0 src1_sel:DWORD
	s_and_saveexec_b64 s[4:5], s[6:7]
	s_cbranch_execz .LBB946_201
; %bb.196:                              ;   in Loop: Header=BB946_15 Depth=1
	v_cmp_ne_u16_sdwa s[10:11], v28, s13 src0_sel:BYTE_0 src1_sel:DWORD
	v_mov_b32_e32 v37, 0xffff8000
	s_and_saveexec_b64 s[6:7], s[10:11]
	s_cbranch_execz .LBB946_200
; %bb.197:                              ;   in Loop: Header=BB946_15 Depth=1
	v_bfe_u32 v38, v26, 16, 7
	v_cmp_ne_u32_e32 vcc, s14, v38
	v_mov_b32_e32 v37, 0x7f80
	s_and_saveexec_b64 s[10:11], vcc
	s_cbranch_execz .LBB946_199
; %bb.198:                              ;   in Loop: Header=BB946_15 Depth=1
	v_and_b32_e32 v37, 7, v28
	v_ffbh_u32_e32 v42, v37
	v_min_u32_e32 v44, 32, v42
	v_subrev_u32_e32 v42, 28, v44
	v_lshlrev_b64 v[42:43], v42, v[28:29]
	v_lshrrev_b32_e32 v40, 3, v38
	v_sub_u32_e32 v43, 29, v44
	v_and_b32_e32 v42, 7, v42
	v_cmp_gt_u32_e32 vcc, 8, v38
	v_cndmask_b32_e32 v38, v40, v43, vcc
	v_cndmask_b32_e32 v37, v37, v42, vcc
	v_lshlrev_b32_e32 v28, 24, v28
	v_lshlrev_b32_e32 v37, 20, v37
	v_and_b32_e32 v28, 0x80000000, v28
	v_lshl_add_u32 v38, v38, 23, v33
	v_or3_b32 v28, v28, v38, v37
	v_lshrrev_b32_e32 v37, 16, v28
.LBB946_199:                            ;   in Loop: Header=BB946_15 Depth=1
	s_or_b64 exec, exec, s[10:11]
.LBB946_200:                            ;   in Loop: Header=BB946_15 Depth=1
	s_or_b64 exec, exec, s[6:7]
.LBB946_201:                            ;   in Loop: Header=BB946_15 Depth=1
	s_or_b64 exec, exec, s[4:5]
	v_cmp_lt_u32_e32 vcc, s15, v26
	v_mov_b32_e32 v38, 0
	s_and_saveexec_b64 s[4:5], vcc
	s_cbranch_execz .LBB946_14
; %bb.202:                              ;   in Loop: Header=BB946_15 Depth=1
	v_lshrrev_b32_e32 v28, 24, v26
	v_cmp_ne_u32_e32 vcc, s13, v28
	v_mov_b32_e32 v38, 0xffff8000
	s_and_saveexec_b64 s[6:7], vcc
	s_cbranch_execz .LBB946_13
; %bb.203:                              ;   in Loop: Header=BB946_15 Depth=1
	v_bfe_u32 v26, v26, 24, 7
	v_cmp_ne_u32_e32 vcc, s14, v26
	v_mov_b32_e32 v38, 0x7f80
	s_and_saveexec_b64 s[10:11], vcc
	s_cbranch_execz .LBB946_12
; %bb.204:                              ;   in Loop: Header=BB946_15 Depth=1
	v_and_b32_e32 v38, 7, v28
	v_ffbh_u32_e32 v42, v38
	v_min_u32_e32 v44, 32, v42
	v_subrev_u32_e32 v42, 28, v44
	v_lshlrev_b64 v[42:43], v42, v[28:29]
	v_lshrrev_b32_e32 v40, 3, v26
	v_sub_u32_e32 v43, 29, v44
	v_and_b32_e32 v42, 7, v42
	v_cmp_gt_u32_e32 vcc, 8, v26
	v_cndmask_b32_e32 v26, v40, v43, vcc
	v_cndmask_b32_e32 v38, v38, v42, vcc
	v_lshlrev_b32_e32 v28, 24, v28
	v_lshlrev_b32_e32 v38, 20, v38
	v_and_b32_e32 v28, 0x80000000, v28
	v_lshl_add_u32 v26, v26, 23, v33
	v_or3_b32 v26, v28, v26, v38
	v_lshrrev_b32_e32 v38, 16, v26
	s_branch .LBB946_12
.LBB946_205:
	buffer_load_dword v13, off, s[0:3], 0 offset:256
	buffer_load_dword v14, off, s[0:3], 0 offset:260
	;; [unrolled: 1-line block ×16, first 2 shown]
	v_and_b32_e32 v12, 0xc0, v0
	v_add_u32_e32 v12, s20, v12
	v_lshl_or_b32 v12, v1, 2, v12
	v_or_b32_e32 v23, 1, v12
	v_mov_b32_e32 v19, 0xff7fffff
	v_or_b32_e32 v24, 2, v12
	v_or_b32_e32 v25, 3, v12
	v_cmp_gt_i32_e64 s[26:27], s33, v12
	v_cmp_gt_i32_e64 s[28:29], s33, v23
	s_mov_b32 s52, 0xff7fffff
	v_or_b32_e32 v26, 16, v12
	v_or_b32_e32 v27, 17, v12
	;; [unrolled: 1-line block ×12, first 2 shown]
	v_cmp_gt_i32_e64 s[30:31], s33, v24
	v_cmp_gt_i32_e64 s[34:35], s33, v25
	v_mbcnt_lo_u32_b32 v20, -1, 0
	v_cmp_gt_i32_e64 s[36:37], s33, v26
	v_cmp_gt_i32_e64 s[38:39], s33, v27
	v_mbcnt_hi_u32_b32 v20, -1, v20
	v_cmp_gt_i32_e64 s[20:21], s33, v28
	v_cmp_gt_i32_e64 s[22:23], s33, v29
	v_and_b32_e32 v21, 64, v20
	v_cmp_gt_i32_e64 s[16:17], s33, v30
	v_cmp_gt_i32_e64 s[18:19], s33, v31
	v_xor_b32_e32 v22, 32, v20
	v_add_u32_e32 v21, 64, v21
	v_cmp_gt_i32_e64 s[12:13], s33, v32
	v_cmp_gt_i32_e64 s[14:15], s33, v33
	v_cmp_lt_i32_e32 vcc, v22, v21
	v_cmp_gt_i32_e64 s[6:7], s33, v34
	v_cmp_gt_i32_e64 s[10:11], s33, v35
	v_cndmask_b32_e32 v22, v20, v22, vcc
	v_cmp_gt_i32_e32 vcc, s33, v36
	v_cmp_gt_i32_e64 s[4:5], s33, v37
	v_lshlrev_b32_e32 v22, 2, v22
	s_waitcnt vmcnt(15)
	v_cndmask_b32_e64 v12, v19, v13, s[26:27]
	s_waitcnt vmcnt(14)
	v_cndmask_b32_e64 v23, v19, v14, s[28:29]
	;; [unrolled: 2-line block ×4, first 2 shown]
	v_max3_f32 v12, v12, s52, v23
	s_waitcnt vmcnt(11)
	v_cndmask_b32_e64 v26, v19, v17, s[36:37]
	s_waitcnt vmcnt(10)
	v_cndmask_b32_e64 v27, v19, v18, s[38:39]
	v_max3_f32 v12, v12, v24, v25
	s_waitcnt vmcnt(9)
	v_cndmask_b32_e64 v28, v19, v11, s[20:21]
	s_waitcnt vmcnt(8)
	v_cndmask_b32_e64 v29, v19, v10, s[22:23]
	v_max3_f32 v12, v12, v26, v27
	s_waitcnt vmcnt(7)
	v_cndmask_b32_e64 v30, v19, v9, s[16:17]
	s_waitcnt vmcnt(6)
	v_cndmask_b32_e64 v31, v19, v8, s[18:19]
	v_max3_f32 v12, v12, v28, v29
	s_waitcnt vmcnt(5)
	v_cndmask_b32_e64 v32, v19, v7, s[12:13]
	s_waitcnt vmcnt(4)
	v_cndmask_b32_e64 v33, v19, v6, s[14:15]
	v_max3_f32 v12, v12, v30, v31
	s_waitcnt vmcnt(3)
	v_cndmask_b32_e64 v34, v19, v5, s[6:7]
	s_waitcnt vmcnt(2)
	v_cndmask_b32_e64 v35, v19, v4, s[10:11]
	v_max3_f32 v12, v12, v32, v33
	s_waitcnt vmcnt(1)
	v_cndmask_b32_e32 v36, v19, v3, vcc
	s_waitcnt vmcnt(0)
	v_cndmask_b32_e64 v19, v19, v2, s[4:5]
	v_max3_f32 v12, v12, v34, v35
	v_max3_f32 v12, v12, v36, v19
	ds_bpermute_b32 v19, v22, v12
	v_xor_b32_e32 v23, 16, v20
	v_cmp_lt_i32_e64 s[40:41], v23, v21
	v_cndmask_b32_e64 v20, v20, v23, s[40:41]
	v_lshlrev_b32_e32 v20, 2, v20
	s_waitcnt lgkmcnt(0)
	v_max_f32_e32 v19, v19, v19
	v_max_f32_e32 v12, v12, v19
	ds_bpermute_b32 v19, v20, v12
	s_waitcnt lgkmcnt(0)
	v_max_f32_e32 v19, v19, v19
	v_max_f32_e32 v12, v12, v19
	v_sub_f32_e32 v13, v13, v12
	v_sub_f32_e32 v14, v14, v12
	;; [unrolled: 1-line block ×3, first 2 shown]
	v_mul_f32_e32 v13, 0x3fb8aa3b, v13
	v_mul_f32_e32 v14, 0x3fb8aa3b, v14
	;; [unrolled: 1-line block ×3, first 2 shown]
	v_exp_f32_e32 v13, v13
	v_exp_f32_e32 v14, v14
	;; [unrolled: 1-line block ×3, first 2 shown]
	v_sub_f32_e32 v16, v16, v12
	v_cndmask_b32_e64 v13, 0, v13, s[26:27]
	v_mul_f32_e32 v16, 0x3fb8aa3b, v16
	v_cndmask_b32_e64 v14, 0, v14, s[28:29]
	v_cndmask_b32_e64 v15, 0, v15, s[30:31]
	v_add_f32_e32 v19, 0, v13
	buffer_store_dword v13, off, s[0:3], 0 offset:256
	buffer_store_dword v14, off, s[0:3], 0 offset:260
	;; [unrolled: 1-line block ×3, first 2 shown]
	v_sub_f32_e32 v13, v17, v12
	v_exp_f32_e32 v16, v16
	v_add_f32_e32 v19, v19, v14
	v_mul_f32_e32 v13, 0x3fb8aa3b, v13
	v_sub_f32_e32 v14, v18, v12
	v_exp_f32_e32 v13, v13
	v_mul_f32_e32 v14, 0x3fb8aa3b, v14
	v_sub_f32_e32 v11, v11, v12
	v_exp_f32_e32 v14, v14
	;; [unrolled: 3-line block ×3, first 2 shown]
	v_mul_f32_e32 v10, 0x3fb8aa3b, v10
	v_sub_f32_e32 v9, v9, v12
	v_cndmask_b32_e64 v16, 0, v16, s[34:35]
	v_add_f32_e32 v19, v19, v15
	v_exp_f32_e32 v10, v10
	v_mul_f32_e32 v9, 0x3fb8aa3b, v9
	v_sub_f32_e32 v8, v8, v12
	v_add_f32_e32 v19, v19, v16
	v_cndmask_b32_e64 v13, 0, v13, s[36:37]
	v_exp_f32_e32 v9, v9
	v_mul_f32_e32 v8, 0x3fb8aa3b, v8
	v_sub_f32_e32 v7, v7, v12
	v_add_f32_e32 v15, v19, v13
	v_cndmask_b32_e64 v14, 0, v14, s[38:39]
	v_exp_f32_e32 v8, v8
	v_mul_f32_e32 v7, 0x3fb8aa3b, v7
	v_sub_f32_e32 v6, v6, v12
	v_add_f32_e32 v15, v15, v14
	v_cndmask_b32_e64 v11, 0, v11, s[20:21]
	v_exp_f32_e32 v7, v7
	v_mul_f32_e32 v6, 0x3fb8aa3b, v6
	v_sub_f32_e32 v5, v5, v12
	v_add_f32_e32 v15, v15, v11
	v_cndmask_b32_e64 v10, 0, v10, s[22:23]
	v_exp_f32_e32 v6, v6
	v_mul_f32_e32 v5, 0x3fb8aa3b, v5
	v_sub_f32_e32 v4, v4, v12
	v_add_f32_e32 v15, v15, v10
	v_cndmask_b32_e64 v9, 0, v9, s[16:17]
	v_exp_f32_e32 v5, v5
	v_mul_f32_e32 v4, 0x3fb8aa3b, v4
	v_sub_f32_e32 v3, v3, v12
	buffer_store_dword v16, off, s[0:3], 0 offset:268
	buffer_store_dword v13, off, s[0:3], 0 offset:272
	;; [unrolled: 1-line block ×5, first 2 shown]
	v_add_f32_e32 v10, v15, v9
	v_cndmask_b32_e64 v8, 0, v8, s[18:19]
	v_exp_f32_e32 v4, v4
	v_mul_f32_e32 v3, 0x3fb8aa3b, v3
	v_sub_f32_e32 v2, v2, v12
	v_add_f32_e32 v10, v10, v8
	v_cndmask_b32_e64 v7, 0, v7, s[12:13]
	v_exp_f32_e32 v3, v3
	v_mul_f32_e32 v2, 0x3fb8aa3b, v2
	v_add_f32_e32 v10, v10, v7
	v_cndmask_b32_e64 v6, 0, v6, s[14:15]
	v_exp_f32_e32 v2, v2
	v_add_f32_e32 v10, v10, v6
	v_cndmask_b32_e64 v5, 0, v5, s[6:7]
	buffer_store_dword v9, off, s[0:3], 0 offset:288
	buffer_store_dword v8, off, s[0:3], 0 offset:292
	;; [unrolled: 1-line block ×4, first 2 shown]
	v_add_f32_e32 v6, v10, v5
	v_cndmask_b32_e64 v4, 0, v4, s[10:11]
	v_add_f32_e32 v6, v6, v4
	v_cndmask_b32_e32 v3, 0, v3, vcc
	v_add_f32_e32 v6, v6, v3
	v_cndmask_b32_e64 v2, 0, v2, s[4:5]
	v_add_f32_e32 v6, v6, v2
	ds_bpermute_b32 v7, v22, v6
	buffer_store_dword v5, off, s[0:3], 0 offset:304
	buffer_store_dword v4, off, s[0:3], 0 offset:308
	;; [unrolled: 1-line block ×4, first 2 shown]
	v_cmp_gt_u32_e64 s[4:5], 16, v64
	s_waitcnt lgkmcnt(0)
	s_barrier
	v_add_f32_e32 v2, v6, v7
	ds_bpermute_b32 v3, v20, v2
	s_waitcnt lgkmcnt(0)
	s_and_saveexec_b64 s[6:7], s[4:5]
	s_cbranch_execz .LBB946_207
; %bb.206:
	v_add_f32_e32 v2, v2, v3
	v_lshlrev_b32_e32 v3, 2, v63
	ds_write2st64_b32 v3, v12, v2 offset1:1
.LBB946_207:
	s_or_b64 exec, exec, s[6:7]
	v_lshlrev_b32_e32 v2, 2, v55
	s_waitcnt lgkmcnt(0)
	s_barrier
	ds_read2_b32 v[14:15], v2 offset1:16
	ds_read2_b32 v[16:17], v2 offset0:32 offset1:48
	ds_read2_b32 v[6:7], v2 offset0:64 offset1:80
	;; [unrolled: 1-line block ×3, first 2 shown]
	s_waitcnt lgkmcnt(0)
	s_barrier
	buffer_load_dword v22, off, s[0:3], 0 offset:264
	buffer_load_dword v23, off, s[0:3], 0 offset:268
	;; [unrolled: 1-line block ×16, first 2 shown]
	v_max3_f32 v20, v14, s52, v15
	v_max3_f32 v20, v20, v16, v17
	v_sub_f32_e32 v14, v14, v20
	v_sub_f32_e32 v15, v15, v20
	v_mul_f32_e32 v14, 0x3fb8aa3b, v14
	v_sub_f32_e32 v16, v16, v20
	v_mul_f32_e32 v15, 0x3fb8aa3b, v15
	v_exp_f32_e32 v14, v14
	v_sub_f32_e32 v17, v17, v20
	v_mul_f32_e32 v16, 0x3fb8aa3b, v16
	v_exp_f32_e32 v15, v15
	v_mul_f32_e32 v17, 0x3fb8aa3b, v17
	v_exp_f32_e32 v16, v16
	v_exp_f32_e32 v17, v17
	v_fma_f32 v6, v14, v6, 0
	v_fmac_f32_e32 v6, v15, v7
	v_fmac_f32_e32 v6, v16, v12
	v_fmac_f32_e32 v6, v17, v13
	v_cmp_eq_u32_e32 vcc, 1, v62
	v_add_f32_e32 v12, 0x358637bd, v6
	v_cndmask_b32_e32 v14, v14, v15, vcc
	v_cmp_eq_u32_e32 vcc, 2, v62
	v_div_scale_f32 v13, s[6:7], v12, v12, 1.0
	v_cndmask_b32_e32 v7, v14, v16, vcc
	v_rcp_f32_e32 v14, v13
	v_cmp_eq_u32_e32 vcc, 3, v62
	v_cndmask_b32_e32 v7, v7, v17, vcc
	v_div_scale_f32 v15, vcc, 1.0, v12, 1.0
	v_fma_f32 v16, -v13, v14, 1.0
	v_fmac_f32_e32 v14, v16, v14
	v_mul_f32_e32 v16, v15, v14
	v_fma_f32 v17, -v13, v16, v15
	v_fmac_f32_e32 v16, v17, v14
	v_fma_f32 v13, -v13, v16, v15
	v_div_fmas_f32 v13, v13, v14, v16
	v_div_fixup_f32 v12, v13, v12, 1.0
	v_mul_f32_e32 v12, v7, v12
	s_movk_i32 s21, 0x7fff
	s_mov_b32 s22, 0x7060302
	s_mul_i32 s20, s51, 5
	v_cmp_gt_u32_e32 vcc, 5, v0
	s_waitcnt vmcnt(14)
	v_pk_mul_f32 v[14:15], v[12:13], v[22:23] op_sel_hi:[0,1]
	v_bfe_u32 v21, v15, 16, 1
	s_waitcnt vmcnt(12)
	v_pk_mul_f32 v[16:17], v[12:13], v[24:25] op_sel_hi:[0,1]
	v_bfe_u32 v7, v17, 16, 1
	v_bfe_u32 v13, v16, 16, 1
	;; [unrolled: 1-line block ×3, first 2 shown]
	v_add3_u32 v13, v16, v13, s21
	v_add3_u32 v7, v17, v7, s21
	buffer_store_dword v16, off, s[0:3], 0 offset:256
	buffer_store_dword v17, off, s[0:3], 0 offset:260
	;; [unrolled: 1-line block ×4, first 2 shown]
	v_add3_u32 v16, v14, v22, s21
	v_add3_u32 v15, v15, v21, s21
	v_perm_b32 v14, v7, v13, s22
	v_lshlrev_b32_e32 v13, 3, v1
	v_perm_b32 v15, v15, v16, s22
	v_lshlrev_b32_e32 v7, 5, v55
	v_lshlrev_b32_e32 v16, 11, v62
	s_waitcnt vmcnt(12)
	v_pk_mul_f32 v[8:9], v[12:13], v[8:9] op_sel_hi:[0,1]
	v_or3_b32 v43, v16, v7, v13
	v_pk_mul_f32 v[10:11], v[12:13], v[10:11] op_sel_hi:[0,1]
	v_bfe_u32 v13, v9, 16, 1
	v_bfe_u32 v16, v8, 16, 1
	buffer_store_dword v8, off, s[0:3], 0 offset:272
	buffer_store_dword v9, off, s[0:3], 0 offset:276
	;; [unrolled: 1-line block ×4, first 2 shown]
	v_add3_u32 v8, v8, v16, s21
	v_add3_u32 v9, v9, v13, s21
	v_perm_b32 v8, v9, v8, s22
	v_bfe_u32 v9, v11, 16, 1
	v_bfe_u32 v13, v10, 16, 1
	v_add3_u32 v10, v10, v13, s21
	v_add3_u32 v9, v11, v9, s21
	v_perm_b32 v9, v9, v10, s22
	s_waitcnt vmcnt(14)
	v_pk_mul_f32 v[10:11], v[12:13], v[18:19] op_sel_hi:[0,1]
	ds_write2st64_b64 v43, v[14:15], v[8:9] offset1:1
	s_waitcnt vmcnt(12)
	v_pk_mul_f32 v[8:9], v[12:13], v[26:27] op_sel_hi:[0,1]
	v_bfe_u32 v13, v11, 16, 1
	v_bfe_u32 v14, v10, 16, 1
	buffer_store_dword v10, off, s[0:3], 0 offset:288
	buffer_store_dword v11, off, s[0:3], 0 offset:292
	;; [unrolled: 1-line block ×4, first 2 shown]
	v_add3_u32 v10, v10, v14, s21
	v_add3_u32 v11, v11, v13, s21
	v_perm_b32 v10, v11, v10, s22
	v_bfe_u32 v11, v9, 16, 1
	v_bfe_u32 v13, v8, 16, 1
	v_add3_u32 v8, v8, v13, s21
	v_add3_u32 v9, v9, v11, s21
	s_waitcnt vmcnt(14)
	v_pk_mul_f32 v[2:3], v[12:13], v[2:3] op_sel_hi:[0,1]
	v_perm_b32 v11, v9, v8, s22
	v_bfe_u32 v8, v3, 16, 1
	v_bfe_u32 v9, v2, 16, 1
	s_waitcnt vmcnt(12)
	v_pk_mul_f32 v[4:5], v[12:13], v[4:5] op_sel_hi:[0,1]
	buffer_store_dword v2, off, s[0:3], 0 offset:304
	buffer_store_dword v3, off, s[0:3], 0 offset:308
	;; [unrolled: 1-line block ×4, first 2 shown]
	v_add3_u32 v2, v2, v9, s21
	v_add3_u32 v3, v3, v8, s21
	v_perm_b32 v2, v3, v2, s22
	v_bfe_u32 v3, v5, 16, 1
	v_bfe_u32 v8, v4, 16, 1
	v_add3_u32 v4, v4, v8, s21
	v_add3_u32 v3, v5, v3, s21
	v_perm_b32 v3, v3, v4, s22
	ds_write2st64_b64 v43, v[10:11], v[2:3] offset0:2 offset1:3
	s_and_saveexec_b64 s[6:7], vcc
	s_cbranch_execz .LBB946_209
; %bb.208:
	v_add_co_u32_e32 v4, vcc, s25, v55
	v_addc_co_u32_e64 v5, s[10:11], 0, 0, vcc
	v_mov_b32_e32 v2, s20
	v_mov_b32_e32 v3, 0
	v_mad_u64_u32 v[4:5], s[10:11], s8, v2, v[4:5]
	v_mov_b32_e32 v2, s24
	s_mul_i32 s9, s9, s20
	v_mad_u64_u32 v[2:3], s[10:11], v4, s50, v[2:3]
	v_add_u32_e32 v5, s9, v5
	v_mov_b32_e32 v4, v3
	v_mad_u64_u32 v[4:5], s[10:11], v5, s50, v[4:5]
	v_mov_b32_e32 v3, v4
	v_lshlrev_b64 v[2:3], 2, v[2:3]
	v_mov_b32_e32 v5, s47
	v_add_co_u32_e32 v4, vcc, s46, v2
	v_addc_co_u32_e32 v5, vcc, v5, v3, vcc
	global_store_dword v[4:5], v20, off
	v_mov_b32_e32 v4, s45
	v_add_co_u32_e32 v2, vcc, s44, v2
	v_addc_co_u32_e32 v3, vcc, v4, v3, vcc
	global_store_dword v[2:3], v6, off
.LBB946_209:
	s_or_b64 exec, exec, s[6:7]
	v_lshl_or_b32 v30, v1, 9, v7
	s_waitcnt lgkmcnt(0)
	s_barrier
	s_load_dword s6, s[42:43], 0x0
	ds_read_b128 v[2:5], v30
	ds_read_b128 v[6:9], v30 offset:16
	ds_read_b128 v[10:13], v30 offset:2048
	;; [unrolled: 1-line block ×7, first 2 shown]
	v_mov_b32_e32 v35, 0x80
	v_mov_b32_e32 v45, 0x140
	s_mov_b64 s[12:13], -1
	s_waitcnt lgkmcnt(0)
	s_mov_b32 s7, s6
	s_mov_b32 s10, s6
	s_mov_b32 s11, s6
	s_movk_i32 s9, 0x80
	s_movk_i32 s23, 0x7f
	s_mov_b32 s26, 0xffffff
	s_mov_b32 s27, 0x5040100
	v_mov_b32_e32 v47, 0
	v_bfrev_b32_e32 v48, 60
	s_branch .LBB946_213
.LBB946_210:                            ;   in Loop: Header=BB946_213 Depth=1
	s_or_b64 exec, exec, s[18:19]
.LBB946_211:                            ;   in Loop: Header=BB946_213 Depth=1
	s_or_b64 exec, exec, s[16:17]
.LBB946_212:                            ;   in Loop: Header=BB946_213 Depth=1
	s_or_b64 exec, exec, s[14:15]
	v_perm_b32 v61, v51, v49, s27
	v_perm_b32 v60, v44, v46, s27
	s_xor_b64 s[14:15], s[12:13], -1
	s_mov_b64 s[12:13], 0
	s_and_b64 vcc, exec, s[14:15]
	v_mfma_f32_16x16x16bf16_1k v[62:65], v[60:61], v[30:31], v[34:37]
	v_mov_b32_e32 v61, v39
	v_mov_b32_e32 v60, v41
	v_mov_b32_e32 v59, v58
	s_nop 3
	v_perm_b32 v37, v53, v52, s27
	v_perm_b32 v36, v42, v50, s27
	v_mov_b32_e32 v35, v57
	s_nop 0
	v_mfma_f32_16x16x16bf16_1k v[50:53], v[36:37], v[32:33], v[62:65]
	s_nop 7
	s_nop 2
	v_pk_mul_f32 v[50:51], v[50:51], s[6:7]
	v_pk_mul_f32 v[36:37], v[52:53], s[10:11]
	v_bfe_u32 v34, v51, 16, 1
	v_bfe_u32 v38, v50, 16, 1
	;; [unrolled: 1-line block ×4, first 2 shown]
	v_add3_u32 v38, v50, v38, s21
	v_add3_u32 v34, v51, v34, s21
	;; [unrolled: 1-line block ×4, first 2 shown]
	v_perm_b32 v34, v34, v38, s22
	v_perm_b32 v36, v37, v36, s22
	buffer_store_dword v34, v45, s[0:3], 0 offen
	buffer_store_dword v36, v45, s[0:3], 0 offen offset:4
	v_mov_b32_e32 v45, 0x148
	s_cbranch_vccnz .LBB946_595
.LBB946_213:                            ; =>This Inner Loop Header: Depth=1
	buffer_load_dword v36, v35, s[0:3], 0 offen
	buffer_load_dword v34, v35, s[0:3], 0 offen offset:4
	buffer_load_dword v40, v35, s[0:3], 0 offen offset:8
	;; [unrolled: 1-line block ×3, first 2 shown]
	v_mov_b32_e32 v35, 0
	s_waitcnt vmcnt(3)
	v_cmp_ne_u16_sdwa s[16:17], v36, v47 src0_sel:BYTE_0 src1_sel:DWORD
	s_and_saveexec_b64 s[14:15], s[16:17]
	s_cbranch_execz .LBB946_219
; %bb.214:                              ;   in Loop: Header=BB946_213 Depth=1
	v_cmp_ne_u16_sdwa s[18:19], v36, s9 src0_sel:BYTE_0 src1_sel:DWORD
	v_mov_b32_e32 v35, 0xffff8000
	s_and_saveexec_b64 s[16:17], s[18:19]
	s_cbranch_execz .LBB946_218
; %bb.215:                              ;   in Loop: Header=BB946_213 Depth=1
	v_and_b32_e32 v37, 0x7f, v36
	v_cmp_ne_u32_e32 vcc, s23, v37
	v_mov_b32_e32 v35, 0x7f80
	s_and_saveexec_b64 s[18:19], vcc
	s_cbranch_execz .LBB946_217
; %bb.216:                              ;   in Loop: Header=BB946_213 Depth=1
	v_and_b32_e32 v35, 7, v36
	v_ffbh_u32_e32 v44, v35
	v_min_u32_e32 v44, 32, v44
	v_subrev_u32_e32 v46, 28, v44
	v_lshlrev_b64 v[50:51], v46, v[36:37]
	v_lshrrev_b32_e32 v42, 3, v37
	v_sub_u32_e32 v44, 29, v44
	v_and_b32_e32 v46, 7, v50
	v_cmp_gt_u32_e32 vcc, 8, v37
	v_cndmask_b32_e32 v37, v42, v44, vcc
	v_cndmask_b32_e32 v35, v35, v46, vcc
	v_lshlrev_b32_e32 v42, 24, v36
	v_lshlrev_b32_e32 v35, 20, v35
	v_and_b32_e32 v42, 0x80000000, v42
	v_lshl_add_u32 v37, v37, 23, v48
	v_or3_b32 v35, v42, v37, v35
	v_lshrrev_b32_e32 v35, 16, v35
.LBB946_217:                            ;   in Loop: Header=BB946_213 Depth=1
	s_or_b64 exec, exec, s[18:19]
.LBB946_218:                            ;   in Loop: Header=BB946_213 Depth=1
	s_or_b64 exec, exec, s[16:17]
.LBB946_219:                            ;   in Loop: Header=BB946_213 Depth=1
	s_or_b64 exec, exec, s[14:15]
	v_lshrrev_b16_e32 v42, 8, v36
	v_cmp_ne_u16_e32 vcc, 0, v42
	v_mov_b32_e32 v46, 0
	v_mov_b32_e32 v37, 0
	s_and_saveexec_b64 s[14:15], vcc
	s_cbranch_execz .LBB946_225
; %bb.220:                              ;   in Loop: Header=BB946_213 Depth=1
	v_cmp_ne_u16_e32 vcc, s9, v42
	v_mov_b32_e32 v37, 0xffff8000
	s_and_saveexec_b64 s[16:17], vcc
	s_cbranch_execz .LBB946_224
; %bb.221:                              ;   in Loop: Header=BB946_213 Depth=1
	v_and_b32_e32 v44, 0x7f, v42
	v_cmp_ne_u32_e32 vcc, s23, v44
	v_mov_b32_e32 v37, 0x7f80
	s_and_saveexec_b64 s[18:19], vcc
	s_cbranch_execz .LBB946_223
; %bb.222:                              ;   in Loop: Header=BB946_213 Depth=1
	v_and_b32_e32 v37, 7, v42
	v_ffbh_u32_e32 v50, v37
	v_min_u32_e32 v52, 32, v50
	v_subrev_u32_e32 v50, 28, v52
	v_lshlrev_b64 v[50:51], v50, v[42:43]
	v_lshrrev_b32_e32 v49, 3, v44
	v_sub_u32_e32 v42, 29, v52
	v_and_b32_e32 v50, 7, v50
	v_cmp_gt_u32_e32 vcc, 8, v44
	v_cndmask_b32_e32 v42, v49, v42, vcc
	v_cndmask_b32_e32 v37, v37, v50, vcc
	v_lshlrev_b32_e32 v44, 16, v36
	v_lshlrev_b32_e32 v37, 20, v37
	v_and_b32_e32 v44, 0x80000000, v44
	v_lshl_add_u32 v42, v42, 23, v48
	v_or3_b32 v37, v44, v42, v37
	v_lshrrev_b32_e32 v37, 16, v37
.LBB946_223:                            ;   in Loop: Header=BB946_213 Depth=1
	s_or_b64 exec, exec, s[18:19]
.LBB946_224:                            ;   in Loop: Header=BB946_213 Depth=1
	s_or_b64 exec, exec, s[16:17]
.LBB946_225:                            ;   in Loop: Header=BB946_213 Depth=1
	s_or_b64 exec, exec, s[14:15]
	v_lshrrev_b32_e32 v42, 16, v36
	v_cmp_ne_u16_sdwa s[16:17], v42, v47 src0_sel:BYTE_0 src1_sel:DWORD
	s_and_saveexec_b64 s[14:15], s[16:17]
	s_cbranch_execz .LBB946_231
; %bb.226:                              ;   in Loop: Header=BB946_213 Depth=1
	v_cmp_ne_u16_sdwa s[18:19], v42, s9 src0_sel:BYTE_0 src1_sel:DWORD
	v_mov_b32_e32 v46, 0xffff8000
	s_and_saveexec_b64 s[16:17], s[18:19]
	s_cbranch_execz .LBB946_230
; %bb.227:                              ;   in Loop: Header=BB946_213 Depth=1
	v_bfe_u32 v44, v36, 16, 7
	v_cmp_ne_u32_e32 vcc, s23, v44
	v_mov_b32_e32 v46, 0x7f80
	s_and_saveexec_b64 s[18:19], vcc
	s_cbranch_execz .LBB946_229
; %bb.228:                              ;   in Loop: Header=BB946_213 Depth=1
	v_and_b32_e32 v46, 7, v42
	v_ffbh_u32_e32 v50, v46
	v_min_u32_e32 v52, 32, v50
	v_subrev_u32_e32 v50, 28, v52
	v_lshlrev_b64 v[50:51], v50, v[42:43]
	v_lshrrev_b32_e32 v49, 3, v44
	v_sub_u32_e32 v51, 29, v52
	v_and_b32_e32 v50, 7, v50
	v_cmp_gt_u32_e32 vcc, 8, v44
	v_cndmask_b32_e32 v44, v49, v51, vcc
	v_cndmask_b32_e32 v46, v46, v50, vcc
	v_lshlrev_b32_e32 v42, 24, v42
	v_lshlrev_b32_e32 v46, 20, v46
	v_and_b32_e32 v42, 0x80000000, v42
	v_lshl_add_u32 v44, v44, 23, v48
	v_or3_b32 v42, v42, v44, v46
	v_lshrrev_b32_e32 v46, 16, v42
.LBB946_229:                            ;   in Loop: Header=BB946_213 Depth=1
	s_or_b64 exec, exec, s[18:19]
.LBB946_230:                            ;   in Loop: Header=BB946_213 Depth=1
	s_or_b64 exec, exec, s[16:17]
.LBB946_231:                            ;   in Loop: Header=BB946_213 Depth=1
	s_or_b64 exec, exec, s[14:15]
	v_cmp_lt_u32_e32 vcc, s26, v36
	v_mov_b32_e32 v49, 0
	v_mov_b32_e32 v50, 0
	s_and_saveexec_b64 s[14:15], vcc
	s_cbranch_execz .LBB946_237
; %bb.232:                              ;   in Loop: Header=BB946_213 Depth=1
	v_lshrrev_b32_e32 v42, 24, v36
	v_cmp_ne_u32_e32 vcc, s9, v42
	v_mov_b32_e32 v50, 0xffff8000
	s_and_saveexec_b64 s[16:17], vcc
	s_cbranch_execz .LBB946_236
; %bb.233:                              ;   in Loop: Header=BB946_213 Depth=1
	v_bfe_u32 v36, v36, 24, 7
	v_cmp_ne_u32_e32 vcc, s23, v36
	v_mov_b32_e32 v50, 0x7f80
	s_and_saveexec_b64 s[18:19], vcc
	s_cbranch_execz .LBB946_235
; %bb.234:                              ;   in Loop: Header=BB946_213 Depth=1
	v_and_b32_e32 v44, 7, v42
	v_ffbh_u32_e32 v50, v44
	v_min_u32_e32 v53, 32, v50
	v_subrev_u32_e32 v50, 28, v53
	v_lshlrev_b64 v[50:51], v50, v[42:43]
	v_lshrrev_b32_e32 v52, 3, v36
	v_sub_u32_e32 v51, 29, v53
	v_and_b32_e32 v50, 7, v50
	v_cmp_gt_u32_e32 vcc, 8, v36
	v_cndmask_b32_e32 v36, v52, v51, vcc
	v_cndmask_b32_e32 v44, v44, v50, vcc
	v_lshlrev_b32_e32 v42, 24, v42
	v_lshlrev_b32_e32 v44, 20, v44
	v_and_b32_e32 v42, 0x80000000, v42
	v_lshl_add_u32 v36, v36, 23, v48
	v_or3_b32 v36, v42, v36, v44
	v_lshrrev_b32_e32 v50, 16, v36
.LBB946_235:                            ;   in Loop: Header=BB946_213 Depth=1
	s_or_b64 exec, exec, s[18:19]
.LBB946_236:                            ;   in Loop: Header=BB946_213 Depth=1
	s_or_b64 exec, exec, s[16:17]
.LBB946_237:                            ;   in Loop: Header=BB946_213 Depth=1
	s_or_b64 exec, exec, s[14:15]
	s_waitcnt vmcnt(2)
	v_cmp_ne_u16_sdwa s[16:17], v34, v47 src0_sel:BYTE_0 src1_sel:DWORD
	s_and_saveexec_b64 s[14:15], s[16:17]
	s_cbranch_execz .LBB946_243
; %bb.238:                              ;   in Loop: Header=BB946_213 Depth=1
	v_cmp_ne_u16_sdwa s[18:19], v34, s9 src0_sel:BYTE_0 src1_sel:DWORD
	v_mov_b32_e32 v49, 0xffff8000
	s_and_saveexec_b64 s[16:17], s[18:19]
	s_cbranch_execz .LBB946_242
; %bb.239:                              ;   in Loop: Header=BB946_213 Depth=1
	v_and_b32_e32 v36, 0x7f, v34
	v_cmp_ne_u32_e32 vcc, s23, v36
	v_mov_b32_e32 v49, 0x7f80
	s_and_saveexec_b64 s[18:19], vcc
	s_cbranch_execz .LBB946_241
; %bb.240:                              ;   in Loop: Header=BB946_213 Depth=1
	v_and_b32_e32 v42, 7, v34
	v_ffbh_u32_e32 v49, v42
	v_min_u32_e32 v49, 32, v49
	v_subrev_u32_e32 v51, 28, v49
	v_lshlrev_b64 v[52:53], v51, v[34:35]
	v_lshrrev_b32_e32 v44, 3, v36
	v_sub_u32_e32 v49, 29, v49
	v_and_b32_e32 v51, 7, v52
	v_cmp_gt_u32_e32 vcc, 8, v36
	v_cndmask_b32_e32 v36, v44, v49, vcc
	v_cndmask_b32_e32 v42, v42, v51, vcc
	v_lshlrev_b32_e32 v44, 24, v34
	v_lshlrev_b32_e32 v42, 20, v42
	v_and_b32_e32 v44, 0x80000000, v44
	v_lshl_add_u32 v36, v36, 23, v48
	v_or3_b32 v36, v44, v36, v42
	v_lshrrev_b32_e32 v49, 16, v36
.LBB946_241:                            ;   in Loop: Header=BB946_213 Depth=1
	s_or_b64 exec, exec, s[18:19]
.LBB946_242:                            ;   in Loop: Header=BB946_213 Depth=1
	s_or_b64 exec, exec, s[16:17]
.LBB946_243:                            ;   in Loop: Header=BB946_213 Depth=1
	s_or_b64 exec, exec, s[14:15]
	v_lshrrev_b16_e32 v36, 8, v34
	v_cmp_ne_u16_e32 vcc, 0, v36
	v_mov_b32_e32 v51, 0
	v_mov_b32_e32 v42, 0
	s_and_saveexec_b64 s[14:15], vcc
	s_cbranch_execz .LBB946_249
; %bb.244:                              ;   in Loop: Header=BB946_213 Depth=1
	v_cmp_ne_u16_e32 vcc, s9, v36
	v_mov_b32_e32 v42, 0xffff8000
	s_and_saveexec_b64 s[16:17], vcc
	s_cbranch_execz .LBB946_248
; %bb.245:                              ;   in Loop: Header=BB946_213 Depth=1
	v_and_b32_e32 v44, 0x7f, v36
	v_cmp_ne_u32_e32 vcc, s23, v44
	v_mov_b32_e32 v42, 0x7f80
	s_and_saveexec_b64 s[18:19], vcc
	s_cbranch_execz .LBB946_247
; %bb.246:                              ;   in Loop: Header=BB946_213 Depth=1
	v_and_b32_e32 v42, 7, v36
	v_ffbh_u32_e32 v52, v42
	v_min_u32_e32 v63, 32, v52
	v_subrev_u32_e32 v52, 28, v63
	v_lshlrev_b64 v[52:53], v52, v[36:37]
	v_lshrrev_b32_e32 v62, 3, v44
	v_sub_u32_e32 v36, 29, v63
	v_and_b32_e32 v52, 7, v52
	v_cmp_gt_u32_e32 vcc, 8, v44
	v_cndmask_b32_e32 v36, v62, v36, vcc
	v_cndmask_b32_e32 v42, v42, v52, vcc
	v_lshlrev_b32_e32 v44, 16, v34
	v_lshlrev_b32_e32 v42, 20, v42
	v_and_b32_e32 v44, 0x80000000, v44
	v_lshl_add_u32 v36, v36, 23, v48
	v_or3_b32 v36, v44, v36, v42
	v_lshrrev_b32_e32 v42, 16, v36
.LBB946_247:                            ;   in Loop: Header=BB946_213 Depth=1
	s_or_b64 exec, exec, s[18:19]
.LBB946_248:                            ;   in Loop: Header=BB946_213 Depth=1
	s_or_b64 exec, exec, s[16:17]
.LBB946_249:                            ;   in Loop: Header=BB946_213 Depth=1
	s_or_b64 exec, exec, s[14:15]
	v_lshrrev_b32_e32 v36, 16, v34
	v_cmp_ne_u16_sdwa s[16:17], v36, v47 src0_sel:BYTE_0 src1_sel:DWORD
	s_and_saveexec_b64 s[14:15], s[16:17]
	s_cbranch_execz .LBB946_255
; %bb.250:                              ;   in Loop: Header=BB946_213 Depth=1
	v_cmp_ne_u16_sdwa s[18:19], v36, s9 src0_sel:BYTE_0 src1_sel:DWORD
	v_mov_b32_e32 v51, 0xffff8000
	s_and_saveexec_b64 s[16:17], s[18:19]
	s_cbranch_execz .LBB946_254
; %bb.251:                              ;   in Loop: Header=BB946_213 Depth=1
	v_bfe_u32 v44, v34, 16, 7
	v_cmp_ne_u32_e32 vcc, s23, v44
	v_mov_b32_e32 v51, 0x7f80
	s_and_saveexec_b64 s[18:19], vcc
	s_cbranch_execz .LBB946_253
; %bb.252:                              ;   in Loop: Header=BB946_213 Depth=1
	v_and_b32_e32 v51, 7, v36
	v_ffbh_u32_e32 v52, v51
	v_min_u32_e32 v63, 32, v52
	v_subrev_u32_e32 v52, 28, v63
	v_lshlrev_b64 v[52:53], v52, v[36:37]
	v_lshrrev_b32_e32 v62, 3, v44
	v_sub_u32_e32 v53, 29, v63
	v_and_b32_e32 v52, 7, v52
	v_cmp_gt_u32_e32 vcc, 8, v44
	v_cndmask_b32_e32 v44, v62, v53, vcc
	v_cndmask_b32_e32 v51, v51, v52, vcc
	v_lshlrev_b32_e32 v36, 24, v36
	v_lshlrev_b32_e32 v51, 20, v51
	v_and_b32_e32 v36, 0x80000000, v36
	v_lshl_add_u32 v44, v44, 23, v48
	v_or3_b32 v36, v36, v44, v51
	v_lshrrev_b32_e32 v51, 16, v36
.LBB946_253:                            ;   in Loop: Header=BB946_213 Depth=1
	s_or_b64 exec, exec, s[18:19]
.LBB946_254:                            ;   in Loop: Header=BB946_213 Depth=1
	s_or_b64 exec, exec, s[16:17]
.LBB946_255:                            ;   in Loop: Header=BB946_213 Depth=1
	s_or_b64 exec, exec, s[14:15]
	v_cmp_lt_u32_e32 vcc, s26, v34
	v_mov_b32_e32 v44, 0
	v_mov_b32_e32 v52, 0
	s_and_saveexec_b64 s[14:15], vcc
	s_cbranch_execz .LBB946_261
; %bb.256:                              ;   in Loop: Header=BB946_213 Depth=1
	v_lshrrev_b32_e32 v36, 24, v34
	v_cmp_ne_u32_e32 vcc, s9, v36
	v_mov_b32_e32 v52, 0xffff8000
	s_and_saveexec_b64 s[16:17], vcc
	s_cbranch_execz .LBB946_260
; %bb.257:                              ;   in Loop: Header=BB946_213 Depth=1
	v_bfe_u32 v34, v34, 24, 7
	v_cmp_ne_u32_e32 vcc, s23, v34
	v_mov_b32_e32 v52, 0x7f80
	s_and_saveexec_b64 s[18:19], vcc
	s_cbranch_execz .LBB946_259
; %bb.258:                              ;   in Loop: Header=BB946_213 Depth=1
	v_and_b32_e32 v62, 7, v36
	v_ffbh_u32_e32 v52, v62
	v_min_u32_e32 v64, 32, v52
	v_subrev_u32_e32 v52, 28, v64
	v_lshlrev_b64 v[52:53], v52, v[36:37]
	v_lshrrev_b32_e32 v63, 3, v34
	v_sub_u32_e32 v53, 29, v64
	v_and_b32_e32 v52, 7, v52
	v_cmp_gt_u32_e32 vcc, 8, v34
	v_cndmask_b32_e32 v34, v63, v53, vcc
	v_cndmask_b32_e32 v52, v62, v52, vcc
	v_lshlrev_b32_e32 v36, 24, v36
	v_lshlrev_b32_e32 v52, 20, v52
	v_and_b32_e32 v36, 0x80000000, v36
	v_lshl_add_u32 v34, v34, 23, v48
	v_or3_b32 v34, v36, v34, v52
	v_lshrrev_b32_e32 v52, 16, v34
.LBB946_259:                            ;   in Loop: Header=BB946_213 Depth=1
	s_or_b64 exec, exec, s[18:19]
.LBB946_260:                            ;   in Loop: Header=BB946_213 Depth=1
	s_or_b64 exec, exec, s[16:17]
.LBB946_261:                            ;   in Loop: Header=BB946_213 Depth=1
	s_or_b64 exec, exec, s[14:15]
	v_perm_b32 v63, v50, v46, s27
	v_perm_b32 v62, v37, v35, s27
	;; [unrolled: 1-line block ×4, first 2 shown]
	s_waitcnt vmcnt(1)
	v_cmp_ne_u16_sdwa s[16:17], v40, v47 src0_sel:BYTE_0 src1_sel:DWORD
	v_mfma_f32_16x16x16bf16_1k v[34:37], v[62:63], v[2:3], 0
	v_mfma_f32_16x16x16bf16_1k v[34:37], v[50:51], v[4:5], v[34:37]
	s_and_saveexec_b64 s[14:15], s[16:17]
	s_cbranch_execz .LBB946_267
; %bb.262:                              ;   in Loop: Header=BB946_213 Depth=1
	v_cmp_ne_u16_sdwa s[18:19], v40, s9 src0_sel:BYTE_0 src1_sel:DWORD
	v_mov_b32_e32 v44, 0xffff8000
	s_and_saveexec_b64 s[16:17], s[18:19]
	s_cbranch_execz .LBB946_266
; %bb.263:                              ;   in Loop: Header=BB946_213 Depth=1
	v_and_b32_e32 v42, 0x7f, v40
	v_cmp_ne_u32_e32 vcc, s23, v42
	v_mov_b32_e32 v44, 0x7f80
	s_and_saveexec_b64 s[18:19], vcc
	s_cbranch_execz .LBB946_265
; %bb.264:                              ;   in Loop: Header=BB946_213 Depth=1
	v_and_b32_e32 v44, 7, v40
	v_ffbh_u32_e32 v49, v44
	v_min_u32_e32 v49, 32, v49
	v_subrev_u32_e32 v50, 28, v49
	v_lshlrev_b64 v[50:51], v50, v[40:41]
	v_lshrrev_b32_e32 v46, 3, v42
	v_sub_u32_e32 v49, 29, v49
	v_and_b32_e32 v50, 7, v50
	v_cmp_gt_u32_e32 vcc, 8, v42
	v_cndmask_b32_e32 v42, v46, v49, vcc
	v_cndmask_b32_e32 v44, v44, v50, vcc
	v_lshlrev_b32_e32 v46, 24, v40
	v_lshlrev_b32_e32 v44, 20, v44
	v_and_b32_e32 v46, 0x80000000, v46
	v_lshl_add_u32 v42, v42, 23, v48
	v_or3_b32 v42, v46, v42, v44
	v_lshrrev_b32_e32 v44, 16, v42
.LBB946_265:                            ;   in Loop: Header=BB946_213 Depth=1
	s_or_b64 exec, exec, s[18:19]
.LBB946_266:                            ;   in Loop: Header=BB946_213 Depth=1
	s_or_b64 exec, exec, s[16:17]
.LBB946_267:                            ;   in Loop: Header=BB946_213 Depth=1
	s_or_b64 exec, exec, s[14:15]
	v_lshrrev_b16_e32 v42, 8, v40
	v_cmp_ne_u16_e32 vcc, 0, v42
	v_mov_b32_e32 v50, 0
	v_mov_b32_e32 v46, 0
	s_and_saveexec_b64 s[14:15], vcc
	s_cbranch_execz .LBB946_273
; %bb.268:                              ;   in Loop: Header=BB946_213 Depth=1
	v_cmp_ne_u16_e32 vcc, s9, v42
	v_mov_b32_e32 v46, 0xffff8000
	s_and_saveexec_b64 s[16:17], vcc
	s_cbranch_execz .LBB946_272
; %bb.269:                              ;   in Loop: Header=BB946_213 Depth=1
	v_and_b32_e32 v49, 0x7f, v42
	v_cmp_ne_u32_e32 vcc, s23, v49
	v_mov_b32_e32 v46, 0x7f80
	s_and_saveexec_b64 s[18:19], vcc
	s_cbranch_execz .LBB946_271
; %bb.270:                              ;   in Loop: Header=BB946_213 Depth=1
	v_and_b32_e32 v46, 7, v42
	v_ffbh_u32_e32 v52, v46
	v_min_u32_e32 v62, 32, v52
	v_subrev_u32_e32 v52, 28, v62
	v_lshlrev_b64 v[52:53], v52, v[42:43]
	v_lshrrev_b32_e32 v51, 3, v49
	v_sub_u32_e32 v42, 29, v62
	v_and_b32_e32 v52, 7, v52
	v_cmp_gt_u32_e32 vcc, 8, v49
	v_cndmask_b32_e32 v42, v51, v42, vcc
	v_cndmask_b32_e32 v46, v46, v52, vcc
	v_lshlrev_b32_e32 v49, 16, v40
	v_lshlrev_b32_e32 v46, 20, v46
	v_and_b32_e32 v49, 0x80000000, v49
	v_lshl_add_u32 v42, v42, 23, v48
	v_or3_b32 v42, v49, v42, v46
	v_lshrrev_b32_e32 v46, 16, v42
.LBB946_271:                            ;   in Loop: Header=BB946_213 Depth=1
	s_or_b64 exec, exec, s[18:19]
.LBB946_272:                            ;   in Loop: Header=BB946_213 Depth=1
	s_or_b64 exec, exec, s[16:17]
.LBB946_273:                            ;   in Loop: Header=BB946_213 Depth=1
	s_or_b64 exec, exec, s[14:15]
	v_lshrrev_b32_e32 v42, 16, v40
	v_cmp_ne_u16_sdwa s[16:17], v42, v47 src0_sel:BYTE_0 src1_sel:DWORD
	s_and_saveexec_b64 s[14:15], s[16:17]
	s_cbranch_execz .LBB946_279
; %bb.274:                              ;   in Loop: Header=BB946_213 Depth=1
	v_cmp_ne_u16_sdwa s[18:19], v42, s9 src0_sel:BYTE_0 src1_sel:DWORD
	v_mov_b32_e32 v50, 0xffff8000
	s_and_saveexec_b64 s[16:17], s[18:19]
	s_cbranch_execz .LBB946_278
; %bb.275:                              ;   in Loop: Header=BB946_213 Depth=1
	v_bfe_u32 v49, v40, 16, 7
	v_cmp_ne_u32_e32 vcc, s23, v49
	v_mov_b32_e32 v50, 0x7f80
	s_and_saveexec_b64 s[18:19], vcc
	s_cbranch_execz .LBB946_277
; %bb.276:                              ;   in Loop: Header=BB946_213 Depth=1
	v_and_b32_e32 v52, 7, v42
	v_ffbh_u32_e32 v50, v52
	v_min_u32_e32 v62, 32, v50
	v_subrev_u32_e32 v50, 28, v62
	v_lshlrev_b64 v[50:51], v50, v[42:43]
	v_lshrrev_b32_e32 v53, 3, v49
	v_sub_u32_e32 v51, 29, v62
	v_and_b32_e32 v50, 7, v50
	v_cmp_gt_u32_e32 vcc, 8, v49
	v_cndmask_b32_e32 v49, v53, v51, vcc
	v_cndmask_b32_e32 v50, v52, v50, vcc
	v_lshlrev_b32_e32 v42, 24, v42
	v_lshlrev_b32_e32 v50, 20, v50
	v_and_b32_e32 v42, 0x80000000, v42
	v_lshl_add_u32 v49, v49, 23, v48
	v_or3_b32 v42, v42, v49, v50
	v_lshrrev_b32_e32 v50, 16, v42
.LBB946_277:                            ;   in Loop: Header=BB946_213 Depth=1
	s_or_b64 exec, exec, s[18:19]
.LBB946_278:                            ;   in Loop: Header=BB946_213 Depth=1
	s_or_b64 exec, exec, s[16:17]
.LBB946_279:                            ;   in Loop: Header=BB946_213 Depth=1
	s_or_b64 exec, exec, s[14:15]
	v_cmp_lt_u32_e32 vcc, s26, v40
	v_mov_b32_e32 v51, 0
	v_mov_b32_e32 v52, 0
	s_and_saveexec_b64 s[14:15], vcc
	s_cbranch_execz .LBB946_285
; %bb.280:                              ;   in Loop: Header=BB946_213 Depth=1
	v_lshrrev_b32_e32 v42, 24, v40
	v_cmp_ne_u32_e32 vcc, s9, v42
	v_mov_b32_e32 v52, 0xffff8000
	s_and_saveexec_b64 s[16:17], vcc
	s_cbranch_execz .LBB946_284
; %bb.281:                              ;   in Loop: Header=BB946_213 Depth=1
	v_bfe_u32 v40, v40, 24, 7
	v_cmp_ne_u32_e32 vcc, s23, v40
	v_mov_b32_e32 v52, 0x7f80
	s_and_saveexec_b64 s[18:19], vcc
	s_cbranch_execz .LBB946_283
; %bb.282:                              ;   in Loop: Header=BB946_213 Depth=1
	v_and_b32_e32 v49, 7, v42
	v_ffbh_u32_e32 v52, v49
	v_min_u32_e32 v63, 32, v52
	v_subrev_u32_e32 v52, 28, v63
	v_lshlrev_b64 v[52:53], v52, v[42:43]
	v_lshrrev_b32_e32 v62, 3, v40
	v_sub_u32_e32 v53, 29, v63
	v_and_b32_e32 v52, 7, v52
	v_cmp_gt_u32_e32 vcc, 8, v40
	v_cndmask_b32_e32 v40, v62, v53, vcc
	v_cndmask_b32_e32 v49, v49, v52, vcc
	v_lshlrev_b32_e32 v42, 24, v42
	v_lshlrev_b32_e32 v49, 20, v49
	v_and_b32_e32 v42, 0x80000000, v42
	v_lshl_add_u32 v40, v40, 23, v48
	v_or3_b32 v40, v42, v40, v49
	v_lshrrev_b32_e32 v52, 16, v40
.LBB946_283:                            ;   in Loop: Header=BB946_213 Depth=1
	s_or_b64 exec, exec, s[18:19]
.LBB946_284:                            ;   in Loop: Header=BB946_213 Depth=1
	s_or_b64 exec, exec, s[16:17]
.LBB946_285:                            ;   in Loop: Header=BB946_213 Depth=1
	s_or_b64 exec, exec, s[14:15]
	s_waitcnt vmcnt(0)
	v_cmp_ne_u16_sdwa s[16:17], v38, v47 src0_sel:BYTE_0 src1_sel:DWORD
	s_and_saveexec_b64 s[14:15], s[16:17]
	s_cbranch_execz .LBB946_291
; %bb.286:                              ;   in Loop: Header=BB946_213 Depth=1
	v_cmp_ne_u16_sdwa s[18:19], v38, s9 src0_sel:BYTE_0 src1_sel:DWORD
	v_mov_b32_e32 v51, 0xffff8000
	s_and_saveexec_b64 s[16:17], s[18:19]
	s_cbranch_execz .LBB946_290
; %bb.287:                              ;   in Loop: Header=BB946_213 Depth=1
	v_and_b32_e32 v40, 0x7f, v38
	v_cmp_ne_u32_e32 vcc, s23, v40
	v_mov_b32_e32 v51, 0x7f80
	s_and_saveexec_b64 s[18:19], vcc
	s_cbranch_execz .LBB946_289
; %bb.288:                              ;   in Loop: Header=BB946_213 Depth=1
	v_and_b32_e32 v42, 7, v38
	v_ffbh_u32_e32 v51, v42
	v_min_u32_e32 v51, 32, v51
	v_subrev_u32_e32 v53, 28, v51
	v_lshlrev_b64 v[62:63], v53, v[38:39]
	v_lshrrev_b32_e32 v49, 3, v40
	v_sub_u32_e32 v51, 29, v51
	v_and_b32_e32 v53, 7, v62
	v_cmp_gt_u32_e32 vcc, 8, v40
	v_cndmask_b32_e32 v40, v49, v51, vcc
	v_cndmask_b32_e32 v42, v42, v53, vcc
	v_lshlrev_b32_e32 v49, 24, v38
	v_lshlrev_b32_e32 v42, 20, v42
	v_and_b32_e32 v49, 0x80000000, v49
	v_lshl_add_u32 v40, v40, 23, v48
	v_or3_b32 v40, v49, v40, v42
	v_lshrrev_b32_e32 v51, 16, v40
.LBB946_289:                            ;   in Loop: Header=BB946_213 Depth=1
	s_or_b64 exec, exec, s[18:19]
.LBB946_290:                            ;   in Loop: Header=BB946_213 Depth=1
	s_or_b64 exec, exec, s[16:17]
.LBB946_291:                            ;   in Loop: Header=BB946_213 Depth=1
	s_or_b64 exec, exec, s[14:15]
	v_lshrrev_b16_e32 v40, 8, v38
	v_cmp_ne_u16_e32 vcc, 0, v40
	v_mov_b32_e32 v62, 0
	v_mov_b32_e32 v53, 0
	s_and_saveexec_b64 s[14:15], vcc
	s_cbranch_execz .LBB946_297
; %bb.292:                              ;   in Loop: Header=BB946_213 Depth=1
	v_cmp_ne_u16_e32 vcc, s9, v40
	v_mov_b32_e32 v53, 0xffff8000
	s_and_saveexec_b64 s[16:17], vcc
	s_cbranch_execz .LBB946_296
; %bb.293:                              ;   in Loop: Header=BB946_213 Depth=1
	v_and_b32_e32 v42, 0x7f, v40
	v_cmp_ne_u32_e32 vcc, s23, v42
	v_mov_b32_e32 v53, 0x7f80
	s_and_saveexec_b64 s[18:19], vcc
	s_cbranch_execz .LBB946_295
; %bb.294:                              ;   in Loop: Header=BB946_213 Depth=1
	v_and_b32_e32 v49, 7, v40
	v_ffbh_u32_e32 v63, v49
	v_min_u32_e32 v63, 32, v63
	v_subrev_u32_e32 v64, 28, v63
	v_lshlrev_b64 v[64:65], v64, v[40:41]
	v_lshrrev_b32_e32 v53, 3, v42
	v_sub_u32_e32 v40, 29, v63
	v_and_b32_e32 v63, 7, v64
	v_cmp_gt_u32_e32 vcc, 8, v42
	v_cndmask_b32_e32 v40, v53, v40, vcc
	v_cndmask_b32_e32 v42, v49, v63, vcc
	v_lshlrev_b32_e32 v49, 16, v38
	v_lshlrev_b32_e32 v42, 20, v42
	v_and_b32_e32 v49, 0x80000000, v49
	v_lshl_add_u32 v40, v40, 23, v48
	v_or3_b32 v40, v49, v40, v42
	v_lshrrev_b32_e32 v53, 16, v40
.LBB946_295:                            ;   in Loop: Header=BB946_213 Depth=1
	s_or_b64 exec, exec, s[18:19]
.LBB946_296:                            ;   in Loop: Header=BB946_213 Depth=1
	s_or_b64 exec, exec, s[16:17]
.LBB946_297:                            ;   in Loop: Header=BB946_213 Depth=1
	s_or_b64 exec, exec, s[14:15]
	v_lshrrev_b32_e32 v40, 16, v38
	v_cmp_ne_u16_sdwa s[16:17], v40, v47 src0_sel:BYTE_0 src1_sel:DWORD
	s_and_saveexec_b64 s[14:15], s[16:17]
	s_cbranch_execz .LBB946_303
; %bb.298:                              ;   in Loop: Header=BB946_213 Depth=1
	v_cmp_ne_u16_sdwa s[18:19], v40, s9 src0_sel:BYTE_0 src1_sel:DWORD
	v_mov_b32_e32 v62, 0xffff8000
	s_and_saveexec_b64 s[16:17], s[18:19]
	s_cbranch_execz .LBB946_302
; %bb.299:                              ;   in Loop: Header=BB946_213 Depth=1
	v_bfe_u32 v42, v38, 16, 7
	v_cmp_ne_u32_e32 vcc, s23, v42
	v_mov_b32_e32 v62, 0x7f80
	s_and_saveexec_b64 s[18:19], vcc
	s_cbranch_execz .LBB946_301
; %bb.300:                              ;   in Loop: Header=BB946_213 Depth=1
	v_and_b32_e32 v49, 7, v40
	v_ffbh_u32_e32 v62, v49
	v_min_u32_e32 v65, 32, v62
	v_subrev_u32_e32 v62, 28, v65
	v_lshlrev_b64 v[62:63], v62, v[40:41]
	v_lshrrev_b32_e32 v64, 3, v42
	v_sub_u32_e32 v63, 29, v65
	v_and_b32_e32 v62, 7, v62
	v_cmp_gt_u32_e32 vcc, 8, v42
	v_cndmask_b32_e32 v42, v64, v63, vcc
	v_cndmask_b32_e32 v49, v49, v62, vcc
	v_lshlrev_b32_e32 v40, 24, v40
	v_lshlrev_b32_e32 v49, 20, v49
	v_and_b32_e32 v40, 0x80000000, v40
	v_lshl_add_u32 v42, v42, 23, v48
	v_or3_b32 v40, v40, v42, v49
	v_lshrrev_b32_e32 v62, 16, v40
.LBB946_301:                            ;   in Loop: Header=BB946_213 Depth=1
	s_or_b64 exec, exec, s[18:19]
.LBB946_302:                            ;   in Loop: Header=BB946_213 Depth=1
	s_or_b64 exec, exec, s[16:17]
.LBB946_303:                            ;   in Loop: Header=BB946_213 Depth=1
	s_or_b64 exec, exec, s[14:15]
	v_cmp_lt_u32_e32 vcc, s26, v38
	v_mov_b32_e32 v49, 0
	v_mov_b32_e32 v63, 0
	s_and_saveexec_b64 s[14:15], vcc
	s_cbranch_execz .LBB946_309
; %bb.304:                              ;   in Loop: Header=BB946_213 Depth=1
	v_lshrrev_b32_e32 v40, 24, v38
	v_cmp_ne_u32_e32 vcc, s9, v40
	v_mov_b32_e32 v63, 0xffff8000
	s_and_saveexec_b64 s[16:17], vcc
	s_cbranch_execz .LBB946_308
; %bb.305:                              ;   in Loop: Header=BB946_213 Depth=1
	v_bfe_u32 v38, v38, 24, 7
	v_cmp_ne_u32_e32 vcc, s23, v38
	v_mov_b32_e32 v63, 0x7f80
	s_and_saveexec_b64 s[18:19], vcc
	s_cbranch_execz .LBB946_307
; %bb.306:                              ;   in Loop: Header=BB946_213 Depth=1
	v_and_b32_e32 v42, 7, v40
	v_ffbh_u32_e32 v64, v42
	v_min_u32_e32 v66, 32, v64
	v_subrev_u32_e32 v64, 28, v66
	v_lshlrev_b64 v[64:65], v64, v[40:41]
	v_lshrrev_b32_e32 v63, 3, v38
	v_sub_u32_e32 v65, 29, v66
	v_and_b32_e32 v64, 7, v64
	v_cmp_gt_u32_e32 vcc, 8, v38
	v_cndmask_b32_e32 v38, v63, v65, vcc
	v_cndmask_b32_e32 v42, v42, v64, vcc
	v_lshlrev_b32_e32 v40, 24, v40
	v_lshlrev_b32_e32 v42, 20, v42
	v_and_b32_e32 v40, 0x80000000, v40
	v_lshl_add_u32 v38, v38, 23, v48
	v_or3_b32 v38, v40, v38, v42
	v_lshrrev_b32_e32 v63, 16, v38
.LBB946_307:                            ;   in Loop: Header=BB946_213 Depth=1
	s_or_b64 exec, exec, s[18:19]
.LBB946_308:                            ;   in Loop: Header=BB946_213 Depth=1
	s_or_b64 exec, exec, s[16:17]
.LBB946_309:                            ;   in Loop: Header=BB946_213 Depth=1
	s_or_b64 exec, exec, s[14:15]
	v_perm_b32 v64, v46, v44, s27
	buffer_load_dword v44, v61, s[0:3], 0 offen
	buffer_load_dword v42, v61, s[0:3], 0 offen offset:4
	buffer_load_dword v40, v61, s[0:3], 0 offen offset:8
	;; [unrolled: 1-line block ×3, first 2 shown]
	v_perm_b32 v65, v52, v50, s27
	v_perm_b32 v63, v63, v62, s27
	;; [unrolled: 1-line block ×3, first 2 shown]
	v_mfma_f32_16x16x16bf16_1k v[34:37], v[64:65], v[6:7], v[34:37]
	s_waitcnt vmcnt(3)
	v_cmp_ne_u16_sdwa s[16:17], v44, v47 src0_sel:BYTE_0 src1_sel:DWORD
	v_mfma_f32_16x16x16bf16_1k v[34:37], v[62:63], v[8:9], v[34:37]
	s_and_saveexec_b64 s[14:15], s[16:17]
	s_cbranch_execz .LBB946_315
; %bb.310:                              ;   in Loop: Header=BB946_213 Depth=1
	v_cmp_ne_u16_sdwa s[18:19], v44, s9 src0_sel:BYTE_0 src1_sel:DWORD
	v_mov_b32_e32 v49, 0xffff8000
	s_and_saveexec_b64 s[16:17], s[18:19]
	s_cbranch_execz .LBB946_314
; %bb.311:                              ;   in Loop: Header=BB946_213 Depth=1
	v_and_b32_e32 v46, 0x7f, v44
	v_cmp_ne_u32_e32 vcc, s23, v46
	v_mov_b32_e32 v49, 0x7f80
	s_and_saveexec_b64 s[18:19], vcc
	s_cbranch_execz .LBB946_313
; %bb.312:                              ;   in Loop: Header=BB946_213 Depth=1
	v_and_b32_e32 v49, 7, v44
	v_ffbh_u32_e32 v50, v49
	v_min_u32_e32 v53, 32, v50
	v_subrev_u32_e32 v50, 28, v53
	v_lshlrev_b64 v[50:51], v50, v[44:45]
	v_lshrrev_b32_e32 v52, 3, v46
	v_sub_u32_e32 v51, 29, v53
	v_and_b32_e32 v50, 7, v50
	v_cmp_gt_u32_e32 vcc, 8, v46
	v_cndmask_b32_e32 v46, v52, v51, vcc
	v_cndmask_b32_e32 v49, v49, v50, vcc
	v_lshlrev_b32_e32 v50, 24, v44
	v_lshlrev_b32_e32 v49, 20, v49
	v_and_b32_e32 v50, 0x80000000, v50
	v_lshl_add_u32 v46, v46, 23, v48
	v_or3_b32 v46, v50, v46, v49
	v_lshrrev_b32_e32 v49, 16, v46
.LBB946_313:                            ;   in Loop: Header=BB946_213 Depth=1
	s_or_b64 exec, exec, s[18:19]
.LBB946_314:                            ;   in Loop: Header=BB946_213 Depth=1
	s_or_b64 exec, exec, s[16:17]
.LBB946_315:                            ;   in Loop: Header=BB946_213 Depth=1
	s_or_b64 exec, exec, s[14:15]
	v_lshrrev_b16_e32 v46, 8, v44
	v_cmp_ne_u16_e32 vcc, 0, v46
	v_mov_b32_e32 v51, 0
	v_mov_b32_e32 v50, 0
	s_and_saveexec_b64 s[14:15], vcc
	s_cbranch_execz .LBB946_321
; %bb.316:                              ;   in Loop: Header=BB946_213 Depth=1
	v_cmp_ne_u16_e32 vcc, s9, v46
	v_mov_b32_e32 v50, 0xffff8000
	s_and_saveexec_b64 s[16:17], vcc
	s_cbranch_execz .LBB946_320
; %bb.317:                              ;   in Loop: Header=BB946_213 Depth=1
	v_and_b32_e32 v52, 0x7f, v46
	v_cmp_ne_u32_e32 vcc, s23, v52
	v_mov_b32_e32 v50, 0x7f80
	s_and_saveexec_b64 s[18:19], vcc
	s_cbranch_execz .LBB946_319
; %bb.318:                              ;   in Loop: Header=BB946_213 Depth=1
	v_and_b32_e32 v50, 7, v46
	v_ffbh_u32_e32 v61, v50
	v_min_u32_e32 v61, 32, v61
	v_subrev_u32_e32 v62, 28, v61
	v_lshlrev_b64 v[62:63], v62, v[46:47]
	v_lshrrev_b32_e32 v53, 3, v52
	v_sub_u32_e32 v46, 29, v61
	v_and_b32_e32 v61, 7, v62
	v_cmp_gt_u32_e32 vcc, 8, v52
	v_cndmask_b32_e32 v46, v53, v46, vcc
	v_cndmask_b32_e32 v50, v50, v61, vcc
	v_lshlrev_b32_e32 v52, 16, v44
	v_lshlrev_b32_e32 v50, 20, v50
	v_and_b32_e32 v52, 0x80000000, v52
	v_lshl_add_u32 v46, v46, 23, v48
	v_or3_b32 v46, v52, v46, v50
	v_lshrrev_b32_e32 v50, 16, v46
.LBB946_319:                            ;   in Loop: Header=BB946_213 Depth=1
	s_or_b64 exec, exec, s[18:19]
.LBB946_320:                            ;   in Loop: Header=BB946_213 Depth=1
	s_or_b64 exec, exec, s[16:17]
.LBB946_321:                            ;   in Loop: Header=BB946_213 Depth=1
	s_or_b64 exec, exec, s[14:15]
	v_lshrrev_b32_e32 v46, 16, v44
	v_cmp_ne_u16_sdwa s[16:17], v46, v47 src0_sel:BYTE_0 src1_sel:DWORD
	s_and_saveexec_b64 s[14:15], s[16:17]
	s_cbranch_execz .LBB946_327
; %bb.322:                              ;   in Loop: Header=BB946_213 Depth=1
	v_cmp_ne_u16_sdwa s[18:19], v46, s9 src0_sel:BYTE_0 src1_sel:DWORD
	v_mov_b32_e32 v51, 0xffff8000
	s_and_saveexec_b64 s[16:17], s[18:19]
	s_cbranch_execz .LBB946_326
; %bb.323:                              ;   in Loop: Header=BB946_213 Depth=1
	v_bfe_u32 v52, v44, 16, 7
	v_cmp_ne_u32_e32 vcc, s23, v52
	v_mov_b32_e32 v51, 0x7f80
	s_and_saveexec_b64 s[18:19], vcc
	s_cbranch_execz .LBB946_325
; %bb.324:                              ;   in Loop: Header=BB946_213 Depth=1
	v_and_b32_e32 v51, 7, v46
	v_ffbh_u32_e32 v61, v51
	v_min_u32_e32 v61, 32, v61
	v_subrev_u32_e32 v62, 28, v61
	v_lshlrev_b64 v[62:63], v62, v[46:47]
	v_lshrrev_b32_e32 v53, 3, v52
	v_sub_u32_e32 v61, 29, v61
	v_and_b32_e32 v62, 7, v62
	v_cmp_gt_u32_e32 vcc, 8, v52
	v_cndmask_b32_e32 v52, v53, v61, vcc
	v_cndmask_b32_e32 v51, v51, v62, vcc
	v_lshlrev_b32_e32 v46, 24, v46
	v_lshlrev_b32_e32 v51, 20, v51
	v_and_b32_e32 v46, 0x80000000, v46
	v_lshl_add_u32 v52, v52, 23, v48
	v_or3_b32 v46, v46, v52, v51
	v_lshrrev_b32_e32 v51, 16, v46
.LBB946_325:                            ;   in Loop: Header=BB946_213 Depth=1
	s_or_b64 exec, exec, s[18:19]
.LBB946_326:                            ;   in Loop: Header=BB946_213 Depth=1
	s_or_b64 exec, exec, s[16:17]
.LBB946_327:                            ;   in Loop: Header=BB946_213 Depth=1
	s_or_b64 exec, exec, s[14:15]
	v_cmp_lt_u32_e32 vcc, s26, v44
	v_mov_b32_e32 v52, 0
	v_mov_b32_e32 v53, 0
	s_and_saveexec_b64 s[14:15], vcc
	s_cbranch_execz .LBB946_333
; %bb.328:                              ;   in Loop: Header=BB946_213 Depth=1
	v_lshrrev_b32_e32 v46, 24, v44
	v_cmp_ne_u32_e32 vcc, s9, v46
	v_mov_b32_e32 v53, 0xffff8000
	s_and_saveexec_b64 s[16:17], vcc
	s_cbranch_execz .LBB946_332
; %bb.329:                              ;   in Loop: Header=BB946_213 Depth=1
	v_bfe_u32 v44, v44, 24, 7
	v_cmp_ne_u32_e32 vcc, s23, v44
	v_mov_b32_e32 v53, 0x7f80
	s_and_saveexec_b64 s[18:19], vcc
	s_cbranch_execz .LBB946_331
; %bb.330:                              ;   in Loop: Header=BB946_213 Depth=1
	v_and_b32_e32 v53, 7, v46
	v_ffbh_u32_e32 v62, v53
	v_min_u32_e32 v64, 32, v62
	v_subrev_u32_e32 v62, 28, v64
	v_lshlrev_b64 v[62:63], v62, v[46:47]
	v_lshrrev_b32_e32 v61, 3, v44
	v_sub_u32_e32 v63, 29, v64
	v_and_b32_e32 v62, 7, v62
	v_cmp_gt_u32_e32 vcc, 8, v44
	v_cndmask_b32_e32 v44, v61, v63, vcc
	v_cndmask_b32_e32 v53, v53, v62, vcc
	v_lshlrev_b32_e32 v46, 24, v46
	v_lshlrev_b32_e32 v53, 20, v53
	v_and_b32_e32 v46, 0x80000000, v46
	v_lshl_add_u32 v44, v44, 23, v48
	v_or3_b32 v44, v46, v44, v53
	v_lshrrev_b32_e32 v53, 16, v44
.LBB946_331:                            ;   in Loop: Header=BB946_213 Depth=1
	s_or_b64 exec, exec, s[18:19]
.LBB946_332:                            ;   in Loop: Header=BB946_213 Depth=1
	s_or_b64 exec, exec, s[16:17]
.LBB946_333:                            ;   in Loop: Header=BB946_213 Depth=1
	s_or_b64 exec, exec, s[14:15]
	s_waitcnt vmcnt(2)
	v_cmp_ne_u16_sdwa s[16:17], v42, v47 src0_sel:BYTE_0 src1_sel:DWORD
	s_and_saveexec_b64 s[14:15], s[16:17]
	s_cbranch_execz .LBB946_339
; %bb.334:                              ;   in Loop: Header=BB946_213 Depth=1
	v_cmp_ne_u16_sdwa s[18:19], v42, s9 src0_sel:BYTE_0 src1_sel:DWORD
	v_mov_b32_e32 v52, 0xffff8000
	s_and_saveexec_b64 s[16:17], s[18:19]
	s_cbranch_execz .LBB946_338
; %bb.335:                              ;   in Loop: Header=BB946_213 Depth=1
	v_and_b32_e32 v44, 0x7f, v42
	v_cmp_ne_u32_e32 vcc, s23, v44
	v_mov_b32_e32 v52, 0x7f80
	s_and_saveexec_b64 s[18:19], vcc
	s_cbranch_execz .LBB946_337
; %bb.336:                              ;   in Loop: Header=BB946_213 Depth=1
	v_and_b32_e32 v46, 7, v42
	v_ffbh_u32_e32 v61, v46
	v_min_u32_e32 v61, 32, v61
	v_subrev_u32_e32 v62, 28, v61
	v_lshlrev_b64 v[62:63], v62, v[42:43]
	v_lshrrev_b32_e32 v52, 3, v44
	v_sub_u32_e32 v61, 29, v61
	v_and_b32_e32 v62, 7, v62
	v_cmp_gt_u32_e32 vcc, 8, v44
	v_cndmask_b32_e32 v44, v52, v61, vcc
	v_cndmask_b32_e32 v46, v46, v62, vcc
	v_lshlrev_b32_e32 v52, 24, v42
	v_lshlrev_b32_e32 v46, 20, v46
	v_and_b32_e32 v52, 0x80000000, v52
	v_lshl_add_u32 v44, v44, 23, v48
	v_or3_b32 v44, v52, v44, v46
	v_lshrrev_b32_e32 v52, 16, v44
.LBB946_337:                            ;   in Loop: Header=BB946_213 Depth=1
	s_or_b64 exec, exec, s[18:19]
.LBB946_338:                            ;   in Loop: Header=BB946_213 Depth=1
	s_or_b64 exec, exec, s[16:17]
.LBB946_339:                            ;   in Loop: Header=BB946_213 Depth=1
	s_or_b64 exec, exec, s[14:15]
	v_lshrrev_b16_e32 v44, 8, v42
	v_cmp_ne_u16_e32 vcc, 0, v44
	v_mov_b32_e32 v62, 0
	v_mov_b32_e32 v61, 0
	s_and_saveexec_b64 s[14:15], vcc
	s_cbranch_execz .LBB946_345
; %bb.340:                              ;   in Loop: Header=BB946_213 Depth=1
	v_cmp_ne_u16_e32 vcc, s9, v44
	v_mov_b32_e32 v61, 0xffff8000
	s_and_saveexec_b64 s[16:17], vcc
	s_cbranch_execz .LBB946_344
; %bb.341:                              ;   in Loop: Header=BB946_213 Depth=1
	v_and_b32_e32 v46, 0x7f, v44
	v_cmp_ne_u32_e32 vcc, s23, v46
	v_mov_b32_e32 v61, 0x7f80
	s_and_saveexec_b64 s[18:19], vcc
	s_cbranch_execz .LBB946_343
; %bb.342:                              ;   in Loop: Header=BB946_213 Depth=1
	v_and_b32_e32 v61, 7, v44
	v_ffbh_u32_e32 v64, v61
	v_min_u32_e32 v66, 32, v64
	v_subrev_u32_e32 v64, 28, v66
	v_lshlrev_b64 v[64:65], v64, v[44:45]
	v_lshrrev_b32_e32 v63, 3, v46
	v_sub_u32_e32 v44, 29, v66
	v_and_b32_e32 v64, 7, v64
	v_cmp_gt_u32_e32 vcc, 8, v46
	v_cndmask_b32_e32 v44, v63, v44, vcc
	v_cndmask_b32_e32 v46, v61, v64, vcc
	v_lshlrev_b32_e32 v61, 16, v42
	v_lshlrev_b32_e32 v46, 20, v46
	v_and_b32_e32 v61, 0x80000000, v61
	v_lshl_add_u32 v44, v44, 23, v48
	v_or3_b32 v44, v61, v44, v46
	v_lshrrev_b32_e32 v61, 16, v44
.LBB946_343:                            ;   in Loop: Header=BB946_213 Depth=1
	s_or_b64 exec, exec, s[18:19]
.LBB946_344:                            ;   in Loop: Header=BB946_213 Depth=1
	s_or_b64 exec, exec, s[16:17]
.LBB946_345:                            ;   in Loop: Header=BB946_213 Depth=1
	s_or_b64 exec, exec, s[14:15]
	v_lshrrev_b32_e32 v44, 16, v42
	v_cmp_ne_u16_sdwa s[16:17], v44, v47 src0_sel:BYTE_0 src1_sel:DWORD
	s_and_saveexec_b64 s[14:15], s[16:17]
	s_cbranch_execz .LBB946_351
; %bb.346:                              ;   in Loop: Header=BB946_213 Depth=1
	v_cmp_ne_u16_sdwa s[18:19], v44, s9 src0_sel:BYTE_0 src1_sel:DWORD
	v_mov_b32_e32 v62, 0xffff8000
	s_and_saveexec_b64 s[16:17], s[18:19]
	s_cbranch_execz .LBB946_350
; %bb.347:                              ;   in Loop: Header=BB946_213 Depth=1
	v_bfe_u32 v46, v42, 16, 7
	v_cmp_ne_u32_e32 vcc, s23, v46
	v_mov_b32_e32 v62, 0x7f80
	s_and_saveexec_b64 s[18:19], vcc
	s_cbranch_execz .LBB946_349
; %bb.348:                              ;   in Loop: Header=BB946_213 Depth=1
	v_and_b32_e32 v64, 7, v44
	v_ffbh_u32_e32 v62, v64
	v_min_u32_e32 v66, 32, v62
	v_subrev_u32_e32 v62, 28, v66
	v_lshlrev_b64 v[62:63], v62, v[44:45]
	v_lshrrev_b32_e32 v65, 3, v46
	v_sub_u32_e32 v63, 29, v66
	v_and_b32_e32 v62, 7, v62
	v_cmp_gt_u32_e32 vcc, 8, v46
	v_cndmask_b32_e32 v46, v65, v63, vcc
	v_cndmask_b32_e32 v62, v64, v62, vcc
	v_lshlrev_b32_e32 v44, 24, v44
	v_lshlrev_b32_e32 v62, 20, v62
	v_and_b32_e32 v44, 0x80000000, v44
	v_lshl_add_u32 v46, v46, 23, v48
	v_or3_b32 v44, v44, v46, v62
	v_lshrrev_b32_e32 v62, 16, v44
.LBB946_349:                            ;   in Loop: Header=BB946_213 Depth=1
	s_or_b64 exec, exec, s[18:19]
.LBB946_350:                            ;   in Loop: Header=BB946_213 Depth=1
	s_or_b64 exec, exec, s[16:17]
.LBB946_351:                            ;   in Loop: Header=BB946_213 Depth=1
	s_or_b64 exec, exec, s[14:15]
	v_cmp_lt_u32_e32 vcc, s26, v42
	v_mov_b32_e32 v46, 0
	v_mov_b32_e32 v63, 0
	s_and_saveexec_b64 s[14:15], vcc
	s_cbranch_execz .LBB946_357
; %bb.352:                              ;   in Loop: Header=BB946_213 Depth=1
	v_lshrrev_b32_e32 v44, 24, v42
	v_cmp_ne_u32_e32 vcc, s9, v44
	v_mov_b32_e32 v63, 0xffff8000
	s_and_saveexec_b64 s[16:17], vcc
	s_cbranch_execz .LBB946_356
; %bb.353:                              ;   in Loop: Header=BB946_213 Depth=1
	v_bfe_u32 v42, v42, 24, 7
	v_cmp_ne_u32_e32 vcc, s23, v42
	v_mov_b32_e32 v63, 0x7f80
	s_and_saveexec_b64 s[18:19], vcc
	s_cbranch_execz .LBB946_355
; %bb.354:                              ;   in Loop: Header=BB946_213 Depth=1
	v_and_b32_e32 v63, 7, v44
	v_ffbh_u32_e32 v64, v63
	v_min_u32_e32 v67, 32, v64
	v_subrev_u32_e32 v64, 28, v67
	v_lshlrev_b64 v[64:65], v64, v[44:45]
	v_lshrrev_b32_e32 v66, 3, v42
	v_sub_u32_e32 v65, 29, v67
	v_and_b32_e32 v64, 7, v64
	v_cmp_gt_u32_e32 vcc, 8, v42
	v_cndmask_b32_e32 v42, v66, v65, vcc
	v_cndmask_b32_e32 v63, v63, v64, vcc
	v_lshlrev_b32_e32 v44, 24, v44
	v_lshlrev_b32_e32 v63, 20, v63
	v_and_b32_e32 v44, 0x80000000, v44
	v_lshl_add_u32 v42, v42, 23, v48
	v_or3_b32 v42, v44, v42, v63
	v_lshrrev_b32_e32 v63, 16, v42
.LBB946_355:                            ;   in Loop: Header=BB946_213 Depth=1
	s_or_b64 exec, exec, s[18:19]
.LBB946_356:                            ;   in Loop: Header=BB946_213 Depth=1
	s_or_b64 exec, exec, s[16:17]
.LBB946_357:                            ;   in Loop: Header=BB946_213 Depth=1
	s_or_b64 exec, exec, s[14:15]
	v_perm_b32 v51, v53, v51, s27
	v_perm_b32 v50, v50, v49, s27
	s_waitcnt vmcnt(1)
	v_cmp_ne_u16_sdwa s[16:17], v40, v47 src0_sel:BYTE_0 src1_sel:DWORD
	v_mfma_f32_16x16x16bf16_1k v[34:37], v[50:51], v[10:11], v[34:37]
	v_perm_b32 v51, v63, v62, s27
	v_perm_b32 v50, v61, v52, s27
	s_nop 1
	v_mfma_f32_16x16x16bf16_1k v[34:37], v[50:51], v[12:13], v[34:37]
	s_and_saveexec_b64 s[14:15], s[16:17]
	s_cbranch_execz .LBB946_363
; %bb.358:                              ;   in Loop: Header=BB946_213 Depth=1
	v_cmp_ne_u16_sdwa s[18:19], v40, s9 src0_sel:BYTE_0 src1_sel:DWORD
	v_mov_b32_e32 v46, 0xffff8000
	s_and_saveexec_b64 s[16:17], s[18:19]
	s_cbranch_execz .LBB946_362
; %bb.359:                              ;   in Loop: Header=BB946_213 Depth=1
	v_and_b32_e32 v42, 0x7f, v40
	v_cmp_ne_u32_e32 vcc, s23, v42
	v_mov_b32_e32 v46, 0x7f80
	s_and_saveexec_b64 s[18:19], vcc
	s_cbranch_execz .LBB946_361
; %bb.360:                              ;   in Loop: Header=BB946_213 Depth=1
	v_and_b32_e32 v44, 7, v40
	v_ffbh_u32_e32 v49, v44
	v_min_u32_e32 v49, 32, v49
	v_subrev_u32_e32 v50, 28, v49
	v_lshlrev_b64 v[50:51], v50, v[40:41]
	v_lshrrev_b32_e32 v46, 3, v42
	v_sub_u32_e32 v49, 29, v49
	v_and_b32_e32 v50, 7, v50
	v_cmp_gt_u32_e32 vcc, 8, v42
	v_cndmask_b32_e32 v42, v46, v49, vcc
	v_cndmask_b32_e32 v44, v44, v50, vcc
	v_lshlrev_b32_e32 v46, 24, v40
	v_lshlrev_b32_e32 v44, 20, v44
	v_and_b32_e32 v46, 0x80000000, v46
	v_lshl_add_u32 v42, v42, 23, v48
	v_or3_b32 v42, v46, v42, v44
	v_lshrrev_b32_e32 v46, 16, v42
.LBB946_361:                            ;   in Loop: Header=BB946_213 Depth=1
	s_or_b64 exec, exec, s[18:19]
.LBB946_362:                            ;   in Loop: Header=BB946_213 Depth=1
	s_or_b64 exec, exec, s[16:17]
.LBB946_363:                            ;   in Loop: Header=BB946_213 Depth=1
	s_or_b64 exec, exec, s[14:15]
	v_lshrrev_b16_e32 v42, 8, v40
	v_cmp_ne_u16_e32 vcc, 0, v42
	v_mov_b32_e32 v50, 0
	v_mov_b32_e32 v44, 0
	s_and_saveexec_b64 s[14:15], vcc
	s_cbranch_execz .LBB946_369
; %bb.364:                              ;   in Loop: Header=BB946_213 Depth=1
	v_cmp_ne_u16_e32 vcc, s9, v42
	v_mov_b32_e32 v44, 0xffff8000
	s_and_saveexec_b64 s[16:17], vcc
	s_cbranch_execz .LBB946_368
; %bb.365:                              ;   in Loop: Header=BB946_213 Depth=1
	v_and_b32_e32 v49, 0x7f, v42
	v_cmp_ne_u32_e32 vcc, s23, v49
	v_mov_b32_e32 v44, 0x7f80
	s_and_saveexec_b64 s[18:19], vcc
	s_cbranch_execz .LBB946_367
; %bb.366:                              ;   in Loop: Header=BB946_213 Depth=1
	v_and_b32_e32 v44, 7, v42
	v_ffbh_u32_e32 v52, v44
	v_min_u32_e32 v61, 32, v52
	v_subrev_u32_e32 v52, 28, v61
	v_lshlrev_b64 v[52:53], v52, v[42:43]
	v_lshrrev_b32_e32 v51, 3, v49
	v_sub_u32_e32 v42, 29, v61
	v_and_b32_e32 v52, 7, v52
	v_cmp_gt_u32_e32 vcc, 8, v49
	v_cndmask_b32_e32 v42, v51, v42, vcc
	v_cndmask_b32_e32 v44, v44, v52, vcc
	v_lshlrev_b32_e32 v49, 16, v40
	v_lshlrev_b32_e32 v44, 20, v44
	v_and_b32_e32 v49, 0x80000000, v49
	v_lshl_add_u32 v42, v42, 23, v48
	v_or3_b32 v42, v49, v42, v44
	v_lshrrev_b32_e32 v44, 16, v42
.LBB946_367:                            ;   in Loop: Header=BB946_213 Depth=1
	s_or_b64 exec, exec, s[18:19]
.LBB946_368:                            ;   in Loop: Header=BB946_213 Depth=1
	s_or_b64 exec, exec, s[16:17]
.LBB946_369:                            ;   in Loop: Header=BB946_213 Depth=1
	s_or_b64 exec, exec, s[14:15]
	v_lshrrev_b32_e32 v42, 16, v40
	v_cmp_ne_u16_sdwa s[16:17], v42, v47 src0_sel:BYTE_0 src1_sel:DWORD
	s_and_saveexec_b64 s[14:15], s[16:17]
	s_cbranch_execz .LBB946_375
; %bb.370:                              ;   in Loop: Header=BB946_213 Depth=1
	v_cmp_ne_u16_sdwa s[18:19], v42, s9 src0_sel:BYTE_0 src1_sel:DWORD
	v_mov_b32_e32 v50, 0xffff8000
	s_and_saveexec_b64 s[16:17], s[18:19]
	s_cbranch_execz .LBB946_374
; %bb.371:                              ;   in Loop: Header=BB946_213 Depth=1
	v_bfe_u32 v49, v40, 16, 7
	v_cmp_ne_u32_e32 vcc, s23, v49
	v_mov_b32_e32 v50, 0x7f80
	s_and_saveexec_b64 s[18:19], vcc
	s_cbranch_execz .LBB946_373
; %bb.372:                              ;   in Loop: Header=BB946_213 Depth=1
	v_and_b32_e32 v52, 7, v42
	v_ffbh_u32_e32 v50, v52
	v_min_u32_e32 v61, 32, v50
	v_subrev_u32_e32 v50, 28, v61
	v_lshlrev_b64 v[50:51], v50, v[42:43]
	v_lshrrev_b32_e32 v53, 3, v49
	v_sub_u32_e32 v51, 29, v61
	v_and_b32_e32 v50, 7, v50
	v_cmp_gt_u32_e32 vcc, 8, v49
	v_cndmask_b32_e32 v49, v53, v51, vcc
	v_cndmask_b32_e32 v50, v52, v50, vcc
	v_lshlrev_b32_e32 v42, 24, v42
	v_lshlrev_b32_e32 v50, 20, v50
	v_and_b32_e32 v42, 0x80000000, v42
	v_lshl_add_u32 v49, v49, 23, v48
	v_or3_b32 v42, v42, v49, v50
	v_lshrrev_b32_e32 v50, 16, v42
.LBB946_373:                            ;   in Loop: Header=BB946_213 Depth=1
	s_or_b64 exec, exec, s[18:19]
.LBB946_374:                            ;   in Loop: Header=BB946_213 Depth=1
	s_or_b64 exec, exec, s[16:17]
.LBB946_375:                            ;   in Loop: Header=BB946_213 Depth=1
	s_or_b64 exec, exec, s[14:15]
	v_cmp_lt_u32_e32 vcc, s26, v40
	v_mov_b32_e32 v51, 0
	v_mov_b32_e32 v52, 0
	s_and_saveexec_b64 s[14:15], vcc
	s_cbranch_execz .LBB946_381
; %bb.376:                              ;   in Loop: Header=BB946_213 Depth=1
	v_lshrrev_b32_e32 v42, 24, v40
	v_cmp_ne_u32_e32 vcc, s9, v42
	v_mov_b32_e32 v52, 0xffff8000
	s_and_saveexec_b64 s[16:17], vcc
	s_cbranch_execz .LBB946_380
; %bb.377:                              ;   in Loop: Header=BB946_213 Depth=1
	v_bfe_u32 v40, v40, 24, 7
	v_cmp_ne_u32_e32 vcc, s23, v40
	v_mov_b32_e32 v52, 0x7f80
	s_and_saveexec_b64 s[18:19], vcc
	s_cbranch_execz .LBB946_379
; %bb.378:                              ;   in Loop: Header=BB946_213 Depth=1
	v_and_b32_e32 v49, 7, v42
	v_ffbh_u32_e32 v52, v49
	v_min_u32_e32 v62, 32, v52
	v_subrev_u32_e32 v52, 28, v62
	v_lshlrev_b64 v[52:53], v52, v[42:43]
	v_lshrrev_b32_e32 v61, 3, v40
	v_sub_u32_e32 v53, 29, v62
	v_and_b32_e32 v52, 7, v52
	v_cmp_gt_u32_e32 vcc, 8, v40
	v_cndmask_b32_e32 v40, v61, v53, vcc
	v_cndmask_b32_e32 v49, v49, v52, vcc
	v_lshlrev_b32_e32 v42, 24, v42
	v_lshlrev_b32_e32 v49, 20, v49
	v_and_b32_e32 v42, 0x80000000, v42
	v_lshl_add_u32 v40, v40, 23, v48
	v_or3_b32 v40, v42, v40, v49
	v_lshrrev_b32_e32 v52, 16, v40
.LBB946_379:                            ;   in Loop: Header=BB946_213 Depth=1
	s_or_b64 exec, exec, s[18:19]
.LBB946_380:                            ;   in Loop: Header=BB946_213 Depth=1
	s_or_b64 exec, exec, s[16:17]
.LBB946_381:                            ;   in Loop: Header=BB946_213 Depth=1
	s_or_b64 exec, exec, s[14:15]
	s_waitcnt vmcnt(0)
	v_cmp_ne_u16_sdwa s[16:17], v38, v47 src0_sel:BYTE_0 src1_sel:DWORD
	s_and_saveexec_b64 s[14:15], s[16:17]
	s_cbranch_execz .LBB946_387
; %bb.382:                              ;   in Loop: Header=BB946_213 Depth=1
	v_cmp_ne_u16_sdwa s[18:19], v38, s9 src0_sel:BYTE_0 src1_sel:DWORD
	v_mov_b32_e32 v51, 0xffff8000
	s_and_saveexec_b64 s[16:17], s[18:19]
	s_cbranch_execz .LBB946_386
; %bb.383:                              ;   in Loop: Header=BB946_213 Depth=1
	v_and_b32_e32 v40, 0x7f, v38
	v_cmp_ne_u32_e32 vcc, s23, v40
	v_mov_b32_e32 v51, 0x7f80
	s_and_saveexec_b64 s[18:19], vcc
	s_cbranch_execz .LBB946_385
; %bb.384:                              ;   in Loop: Header=BB946_213 Depth=1
	v_and_b32_e32 v42, 7, v38
	v_ffbh_u32_e32 v51, v42
	v_min_u32_e32 v51, 32, v51
	v_subrev_u32_e32 v53, 28, v51
	v_lshlrev_b64 v[62:63], v53, v[38:39]
	v_lshrrev_b32_e32 v49, 3, v40
	v_sub_u32_e32 v51, 29, v51
	v_and_b32_e32 v53, 7, v62
	v_cmp_gt_u32_e32 vcc, 8, v40
	v_cndmask_b32_e32 v40, v49, v51, vcc
	v_cndmask_b32_e32 v42, v42, v53, vcc
	v_lshlrev_b32_e32 v49, 24, v38
	v_lshlrev_b32_e32 v42, 20, v42
	v_and_b32_e32 v49, 0x80000000, v49
	v_lshl_add_u32 v40, v40, 23, v48
	v_or3_b32 v40, v49, v40, v42
	v_lshrrev_b32_e32 v51, 16, v40
.LBB946_385:                            ;   in Loop: Header=BB946_213 Depth=1
	s_or_b64 exec, exec, s[18:19]
.LBB946_386:                            ;   in Loop: Header=BB946_213 Depth=1
	s_or_b64 exec, exec, s[16:17]
.LBB946_387:                            ;   in Loop: Header=BB946_213 Depth=1
	s_or_b64 exec, exec, s[14:15]
	v_lshrrev_b16_e32 v40, 8, v38
	v_cmp_ne_u16_e32 vcc, 0, v40
	v_mov_b32_e32 v61, 0
	v_mov_b32_e32 v53, 0
	s_and_saveexec_b64 s[14:15], vcc
	s_cbranch_execz .LBB946_393
; %bb.388:                              ;   in Loop: Header=BB946_213 Depth=1
	v_cmp_ne_u16_e32 vcc, s9, v40
	v_mov_b32_e32 v53, 0xffff8000
	s_and_saveexec_b64 s[16:17], vcc
	s_cbranch_execz .LBB946_392
; %bb.389:                              ;   in Loop: Header=BB946_213 Depth=1
	v_and_b32_e32 v42, 0x7f, v40
	v_cmp_ne_u32_e32 vcc, s23, v42
	v_mov_b32_e32 v53, 0x7f80
	s_and_saveexec_b64 s[18:19], vcc
	s_cbranch_execz .LBB946_391
; %bb.390:                              ;   in Loop: Header=BB946_213 Depth=1
	v_and_b32_e32 v49, 7, v40
	v_ffbh_u32_e32 v62, v49
	v_min_u32_e32 v64, 32, v62
	v_subrev_u32_e32 v62, 28, v64
	v_lshlrev_b64 v[62:63], v62, v[40:41]
	v_lshrrev_b32_e32 v53, 3, v42
	v_sub_u32_e32 v40, 29, v64
	v_and_b32_e32 v62, 7, v62
	v_cmp_gt_u32_e32 vcc, 8, v42
	v_cndmask_b32_e32 v40, v53, v40, vcc
	v_cndmask_b32_e32 v42, v49, v62, vcc
	v_lshlrev_b32_e32 v49, 16, v38
	v_lshlrev_b32_e32 v42, 20, v42
	v_and_b32_e32 v49, 0x80000000, v49
	v_lshl_add_u32 v40, v40, 23, v48
	v_or3_b32 v40, v49, v40, v42
	v_lshrrev_b32_e32 v53, 16, v40
.LBB946_391:                            ;   in Loop: Header=BB946_213 Depth=1
	s_or_b64 exec, exec, s[18:19]
.LBB946_392:                            ;   in Loop: Header=BB946_213 Depth=1
	s_or_b64 exec, exec, s[16:17]
.LBB946_393:                            ;   in Loop: Header=BB946_213 Depth=1
	s_or_b64 exec, exec, s[14:15]
	v_lshrrev_b32_e32 v40, 16, v38
	v_cmp_ne_u16_sdwa s[16:17], v40, v47 src0_sel:BYTE_0 src1_sel:DWORD
	s_and_saveexec_b64 s[14:15], s[16:17]
	s_cbranch_execz .LBB946_399
; %bb.394:                              ;   in Loop: Header=BB946_213 Depth=1
	v_cmp_ne_u16_sdwa s[18:19], v40, s9 src0_sel:BYTE_0 src1_sel:DWORD
	v_mov_b32_e32 v61, 0xffff8000
	s_and_saveexec_b64 s[16:17], s[18:19]
	s_cbranch_execz .LBB946_398
; %bb.395:                              ;   in Loop: Header=BB946_213 Depth=1
	v_bfe_u32 v42, v38, 16, 7
	v_cmp_ne_u32_e32 vcc, s23, v42
	v_mov_b32_e32 v61, 0x7f80
	s_and_saveexec_b64 s[18:19], vcc
	s_cbranch_execz .LBB946_397
; %bb.396:                              ;   in Loop: Header=BB946_213 Depth=1
	v_and_b32_e32 v49, 7, v40
	v_ffbh_u32_e32 v62, v49
	v_min_u32_e32 v64, 32, v62
	v_subrev_u32_e32 v62, 28, v64
	v_lshlrev_b64 v[62:63], v62, v[40:41]
	v_lshrrev_b32_e32 v61, 3, v42
	v_sub_u32_e32 v63, 29, v64
	v_and_b32_e32 v62, 7, v62
	v_cmp_gt_u32_e32 vcc, 8, v42
	v_cndmask_b32_e32 v42, v61, v63, vcc
	v_cndmask_b32_e32 v49, v49, v62, vcc
	v_lshlrev_b32_e32 v40, 24, v40
	v_lshlrev_b32_e32 v49, 20, v49
	v_and_b32_e32 v40, 0x80000000, v40
	v_lshl_add_u32 v42, v42, 23, v48
	v_or3_b32 v40, v40, v42, v49
	v_lshrrev_b32_e32 v61, 16, v40
.LBB946_397:                            ;   in Loop: Header=BB946_213 Depth=1
	s_or_b64 exec, exec, s[18:19]
.LBB946_398:                            ;   in Loop: Header=BB946_213 Depth=1
	s_or_b64 exec, exec, s[16:17]
.LBB946_399:                            ;   in Loop: Header=BB946_213 Depth=1
	s_or_b64 exec, exec, s[14:15]
	v_cmp_lt_u32_e32 vcc, s26, v38
	v_mov_b32_e32 v49, 0
	v_mov_b32_e32 v62, 0
	s_and_saveexec_b64 s[14:15], vcc
	s_cbranch_execz .LBB946_405
; %bb.400:                              ;   in Loop: Header=BB946_213 Depth=1
	v_lshrrev_b32_e32 v40, 24, v38
	v_cmp_ne_u32_e32 vcc, s9, v40
	v_mov_b32_e32 v62, 0xffff8000
	s_and_saveexec_b64 s[16:17], vcc
	s_cbranch_execz .LBB946_404
; %bb.401:                              ;   in Loop: Header=BB946_213 Depth=1
	v_bfe_u32 v38, v38, 24, 7
	v_cmp_ne_u32_e32 vcc, s23, v38
	v_mov_b32_e32 v62, 0x7f80
	s_and_saveexec_b64 s[18:19], vcc
	s_cbranch_execz .LBB946_403
; %bb.402:                              ;   in Loop: Header=BB946_213 Depth=1
	v_and_b32_e32 v42, 7, v40
	v_ffbh_u32_e32 v62, v42
	v_min_u32_e32 v65, 32, v62
	v_subrev_u32_e32 v62, 28, v65
	v_lshlrev_b64 v[62:63], v62, v[40:41]
	v_lshrrev_b32_e32 v64, 3, v38
	v_sub_u32_e32 v63, 29, v65
	v_and_b32_e32 v62, 7, v62
	v_cmp_gt_u32_e32 vcc, 8, v38
	v_cndmask_b32_e32 v38, v64, v63, vcc
	v_cndmask_b32_e32 v42, v42, v62, vcc
	v_lshlrev_b32_e32 v40, 24, v40
	v_lshlrev_b32_e32 v42, 20, v42
	v_and_b32_e32 v40, 0x80000000, v40
	v_lshl_add_u32 v38, v38, 23, v48
	v_or3_b32 v38, v40, v38, v42
	v_lshrrev_b32_e32 v62, 16, v38
.LBB946_403:                            ;   in Loop: Header=BB946_213 Depth=1
	s_or_b64 exec, exec, s[18:19]
.LBB946_404:                            ;   in Loop: Header=BB946_213 Depth=1
	s_or_b64 exec, exec, s[16:17]
.LBB946_405:                            ;   in Loop: Header=BB946_213 Depth=1
	s_or_b64 exec, exec, s[14:15]
	v_perm_b32 v64, v44, v46, s27
	buffer_load_dword v44, v60, s[0:3], 0 offen
	buffer_load_dword v42, v60, s[0:3], 0 offen offset:4
	buffer_load_dword v40, v60, s[0:3], 0 offen offset:8
	;; [unrolled: 1-line block ×3, first 2 shown]
	v_perm_b32 v65, v52, v50, s27
	v_perm_b32 v61, v62, v61, s27
	;; [unrolled: 1-line block ×3, first 2 shown]
	v_mfma_f32_16x16x16bf16_1k v[34:37], v[64:65], v[14:15], v[34:37]
	s_waitcnt vmcnt(3)
	v_cmp_ne_u16_sdwa s[16:17], v44, v47 src0_sel:BYTE_0 src1_sel:DWORD
	v_mfma_f32_16x16x16bf16_1k v[34:37], v[60:61], v[16:17], v[34:37]
	s_and_saveexec_b64 s[14:15], s[16:17]
	s_cbranch_execz .LBB946_411
; %bb.406:                              ;   in Loop: Header=BB946_213 Depth=1
	v_cmp_ne_u16_sdwa s[18:19], v44, s9 src0_sel:BYTE_0 src1_sel:DWORD
	v_mov_b32_e32 v49, 0xffff8000
	s_and_saveexec_b64 s[16:17], s[18:19]
	s_cbranch_execz .LBB946_410
; %bb.407:                              ;   in Loop: Header=BB946_213 Depth=1
	v_and_b32_e32 v46, 0x7f, v44
	v_cmp_ne_u32_e32 vcc, s23, v46
	v_mov_b32_e32 v49, 0x7f80
	s_and_saveexec_b64 s[18:19], vcc
	s_cbranch_execz .LBB946_409
; %bb.408:                              ;   in Loop: Header=BB946_213 Depth=1
	v_and_b32_e32 v49, 7, v44
	v_ffbh_u32_e32 v50, v49
	v_min_u32_e32 v53, 32, v50
	v_subrev_u32_e32 v50, 28, v53
	v_lshlrev_b64 v[50:51], v50, v[44:45]
	v_lshrrev_b32_e32 v52, 3, v46
	v_sub_u32_e32 v51, 29, v53
	v_and_b32_e32 v50, 7, v50
	v_cmp_gt_u32_e32 vcc, 8, v46
	v_cndmask_b32_e32 v46, v52, v51, vcc
	v_cndmask_b32_e32 v49, v49, v50, vcc
	v_lshlrev_b32_e32 v50, 24, v44
	v_lshlrev_b32_e32 v49, 20, v49
	v_and_b32_e32 v50, 0x80000000, v50
	v_lshl_add_u32 v46, v46, 23, v48
	v_or3_b32 v46, v50, v46, v49
	v_lshrrev_b32_e32 v49, 16, v46
.LBB946_409:                            ;   in Loop: Header=BB946_213 Depth=1
	s_or_b64 exec, exec, s[18:19]
.LBB946_410:                            ;   in Loop: Header=BB946_213 Depth=1
	s_or_b64 exec, exec, s[16:17]
.LBB946_411:                            ;   in Loop: Header=BB946_213 Depth=1
	s_or_b64 exec, exec, s[14:15]
	v_lshrrev_b16_e32 v46, 8, v44
	v_cmp_ne_u16_e32 vcc, 0, v46
	v_mov_b32_e32 v51, 0
	v_mov_b32_e32 v50, 0
	s_and_saveexec_b64 s[14:15], vcc
	s_cbranch_execz .LBB946_417
; %bb.412:                              ;   in Loop: Header=BB946_213 Depth=1
	v_cmp_ne_u16_e32 vcc, s9, v46
	v_mov_b32_e32 v50, 0xffff8000
	s_and_saveexec_b64 s[16:17], vcc
	s_cbranch_execz .LBB946_416
; %bb.413:                              ;   in Loop: Header=BB946_213 Depth=1
	v_and_b32_e32 v52, 0x7f, v46
	v_cmp_ne_u32_e32 vcc, s23, v52
	v_mov_b32_e32 v50, 0x7f80
	s_and_saveexec_b64 s[18:19], vcc
	s_cbranch_execz .LBB946_415
; %bb.414:                              ;   in Loop: Header=BB946_213 Depth=1
	v_and_b32_e32 v50, 7, v46
	v_ffbh_u32_e32 v60, v50
	v_min_u32_e32 v62, 32, v60
	v_subrev_u32_e32 v60, 28, v62
	v_lshlrev_b64 v[60:61], v60, v[46:47]
	v_lshrrev_b32_e32 v53, 3, v52
	v_sub_u32_e32 v46, 29, v62
	v_and_b32_e32 v60, 7, v60
	v_cmp_gt_u32_e32 vcc, 8, v52
	v_cndmask_b32_e32 v46, v53, v46, vcc
	v_cndmask_b32_e32 v50, v50, v60, vcc
	v_lshlrev_b32_e32 v52, 16, v44
	v_lshlrev_b32_e32 v50, 20, v50
	v_and_b32_e32 v52, 0x80000000, v52
	v_lshl_add_u32 v46, v46, 23, v48
	v_or3_b32 v46, v52, v46, v50
	v_lshrrev_b32_e32 v50, 16, v46
.LBB946_415:                            ;   in Loop: Header=BB946_213 Depth=1
	s_or_b64 exec, exec, s[18:19]
.LBB946_416:                            ;   in Loop: Header=BB946_213 Depth=1
	s_or_b64 exec, exec, s[16:17]
.LBB946_417:                            ;   in Loop: Header=BB946_213 Depth=1
	s_or_b64 exec, exec, s[14:15]
	v_lshrrev_b32_e32 v46, 16, v44
	v_cmp_ne_u16_sdwa s[16:17], v46, v47 src0_sel:BYTE_0 src1_sel:DWORD
	s_and_saveexec_b64 s[14:15], s[16:17]
	s_cbranch_execz .LBB946_423
; %bb.418:                              ;   in Loop: Header=BB946_213 Depth=1
	v_cmp_ne_u16_sdwa s[18:19], v46, s9 src0_sel:BYTE_0 src1_sel:DWORD
	v_mov_b32_e32 v51, 0xffff8000
	s_and_saveexec_b64 s[16:17], s[18:19]
	s_cbranch_execz .LBB946_422
; %bb.419:                              ;   in Loop: Header=BB946_213 Depth=1
	v_bfe_u32 v52, v44, 16, 7
	v_cmp_ne_u32_e32 vcc, s23, v52
	v_mov_b32_e32 v51, 0x7f80
	s_and_saveexec_b64 s[18:19], vcc
	s_cbranch_execz .LBB946_421
; %bb.420:                              ;   in Loop: Header=BB946_213 Depth=1
	v_and_b32_e32 v51, 7, v46
	v_ffbh_u32_e32 v60, v51
	v_min_u32_e32 v62, 32, v60
	v_subrev_u32_e32 v60, 28, v62
	v_lshlrev_b64 v[60:61], v60, v[46:47]
	v_lshrrev_b32_e32 v53, 3, v52
	v_sub_u32_e32 v61, 29, v62
	v_and_b32_e32 v60, 7, v60
	v_cmp_gt_u32_e32 vcc, 8, v52
	v_cndmask_b32_e32 v52, v53, v61, vcc
	v_cndmask_b32_e32 v51, v51, v60, vcc
	v_lshlrev_b32_e32 v46, 24, v46
	v_lshlrev_b32_e32 v51, 20, v51
	v_and_b32_e32 v46, 0x80000000, v46
	v_lshl_add_u32 v52, v52, 23, v48
	v_or3_b32 v46, v46, v52, v51
	v_lshrrev_b32_e32 v51, 16, v46
.LBB946_421:                            ;   in Loop: Header=BB946_213 Depth=1
	s_or_b64 exec, exec, s[18:19]
.LBB946_422:                            ;   in Loop: Header=BB946_213 Depth=1
	s_or_b64 exec, exec, s[16:17]
.LBB946_423:                            ;   in Loop: Header=BB946_213 Depth=1
	s_or_b64 exec, exec, s[14:15]
	v_cmp_lt_u32_e32 vcc, s26, v44
	v_mov_b32_e32 v52, 0
	v_mov_b32_e32 v53, 0
	s_and_saveexec_b64 s[14:15], vcc
	s_cbranch_execz .LBB946_429
; %bb.424:                              ;   in Loop: Header=BB946_213 Depth=1
	v_lshrrev_b32_e32 v46, 24, v44
	v_cmp_ne_u32_e32 vcc, s9, v46
	v_mov_b32_e32 v53, 0xffff8000
	s_and_saveexec_b64 s[16:17], vcc
	s_cbranch_execz .LBB946_428
; %bb.425:                              ;   in Loop: Header=BB946_213 Depth=1
	v_bfe_u32 v44, v44, 24, 7
	v_cmp_ne_u32_e32 vcc, s23, v44
	v_mov_b32_e32 v53, 0x7f80
	s_and_saveexec_b64 s[18:19], vcc
	s_cbranch_execz .LBB946_427
; %bb.426:                              ;   in Loop: Header=BB946_213 Depth=1
	v_and_b32_e32 v53, 7, v46
	v_ffbh_u32_e32 v60, v53
	v_min_u32_e32 v63, 32, v60
	v_subrev_u32_e32 v60, 28, v63
	v_lshlrev_b64 v[60:61], v60, v[46:47]
	v_lshrrev_b32_e32 v62, 3, v44
	v_sub_u32_e32 v61, 29, v63
	v_and_b32_e32 v60, 7, v60
	v_cmp_gt_u32_e32 vcc, 8, v44
	v_cndmask_b32_e32 v44, v62, v61, vcc
	v_cndmask_b32_e32 v53, v53, v60, vcc
	v_lshlrev_b32_e32 v46, 24, v46
	v_lshlrev_b32_e32 v53, 20, v53
	v_and_b32_e32 v46, 0x80000000, v46
	v_lshl_add_u32 v44, v44, 23, v48
	v_or3_b32 v44, v46, v44, v53
	v_lshrrev_b32_e32 v53, 16, v44
.LBB946_427:                            ;   in Loop: Header=BB946_213 Depth=1
	s_or_b64 exec, exec, s[18:19]
.LBB946_428:                            ;   in Loop: Header=BB946_213 Depth=1
	s_or_b64 exec, exec, s[16:17]
.LBB946_429:                            ;   in Loop: Header=BB946_213 Depth=1
	s_or_b64 exec, exec, s[14:15]
	s_waitcnt vmcnt(2)
	v_cmp_ne_u16_sdwa s[16:17], v42, v47 src0_sel:BYTE_0 src1_sel:DWORD
	s_and_saveexec_b64 s[14:15], s[16:17]
	s_cbranch_execz .LBB946_435
; %bb.430:                              ;   in Loop: Header=BB946_213 Depth=1
	v_cmp_ne_u16_sdwa s[18:19], v42, s9 src0_sel:BYTE_0 src1_sel:DWORD
	v_mov_b32_e32 v52, 0xffff8000
	s_and_saveexec_b64 s[16:17], s[18:19]
	s_cbranch_execz .LBB946_434
; %bb.431:                              ;   in Loop: Header=BB946_213 Depth=1
	v_and_b32_e32 v44, 0x7f, v42
	v_cmp_ne_u32_e32 vcc, s23, v44
	v_mov_b32_e32 v52, 0x7f80
	s_and_saveexec_b64 s[18:19], vcc
	s_cbranch_execz .LBB946_433
; %bb.432:                              ;   in Loop: Header=BB946_213 Depth=1
	v_and_b32_e32 v46, 7, v42
	v_ffbh_u32_e32 v60, v46
	v_min_u32_e32 v62, 32, v60
	v_subrev_u32_e32 v60, 28, v62
	v_lshlrev_b64 v[60:61], v60, v[42:43]
	v_lshrrev_b32_e32 v52, 3, v44
	v_sub_u32_e32 v61, 29, v62
	v_and_b32_e32 v60, 7, v60
	v_cmp_gt_u32_e32 vcc, 8, v44
	v_cndmask_b32_e32 v44, v52, v61, vcc
	v_cndmask_b32_e32 v46, v46, v60, vcc
	v_lshlrev_b32_e32 v52, 24, v42
	v_lshlrev_b32_e32 v46, 20, v46
	v_and_b32_e32 v52, 0x80000000, v52
	v_lshl_add_u32 v44, v44, 23, v48
	v_or3_b32 v44, v52, v44, v46
	v_lshrrev_b32_e32 v52, 16, v44
.LBB946_433:                            ;   in Loop: Header=BB946_213 Depth=1
	s_or_b64 exec, exec, s[18:19]
.LBB946_434:                            ;   in Loop: Header=BB946_213 Depth=1
	s_or_b64 exec, exec, s[16:17]
.LBB946_435:                            ;   in Loop: Header=BB946_213 Depth=1
	s_or_b64 exec, exec, s[14:15]
	v_lshrrev_b16_e32 v44, 8, v42
	v_cmp_ne_u16_e32 vcc, 0, v44
	v_mov_b32_e32 v61, 0
	v_mov_b32_e32 v60, 0
	s_and_saveexec_b64 s[14:15], vcc
	s_cbranch_execz .LBB946_441
; %bb.436:                              ;   in Loop: Header=BB946_213 Depth=1
	v_cmp_ne_u16_e32 vcc, s9, v44
	v_mov_b32_e32 v60, 0xffff8000
	s_and_saveexec_b64 s[16:17], vcc
	s_cbranch_execz .LBB946_440
; %bb.437:                              ;   in Loop: Header=BB946_213 Depth=1
	v_and_b32_e32 v46, 0x7f, v44
	v_cmp_ne_u32_e32 vcc, s23, v46
	v_mov_b32_e32 v60, 0x7f80
	s_and_saveexec_b64 s[18:19], vcc
	s_cbranch_execz .LBB946_439
; %bb.438:                              ;   in Loop: Header=BB946_213 Depth=1
	v_and_b32_e32 v60, 7, v44
	v_ffbh_u32_e32 v62, v60
	v_min_u32_e32 v65, 32, v62
	v_subrev_u32_e32 v62, 28, v65
	v_lshlrev_b64 v[62:63], v62, v[44:45]
	v_lshrrev_b32_e32 v64, 3, v46
	v_sub_u32_e32 v44, 29, v65
	v_and_b32_e32 v62, 7, v62
	v_cmp_gt_u32_e32 vcc, 8, v46
	v_cndmask_b32_e32 v44, v64, v44, vcc
	v_cndmask_b32_e32 v46, v60, v62, vcc
	v_lshlrev_b32_e32 v60, 16, v42
	v_lshlrev_b32_e32 v46, 20, v46
	v_and_b32_e32 v60, 0x80000000, v60
	v_lshl_add_u32 v44, v44, 23, v48
	v_or3_b32 v44, v60, v44, v46
	v_lshrrev_b32_e32 v60, 16, v44
.LBB946_439:                            ;   in Loop: Header=BB946_213 Depth=1
	s_or_b64 exec, exec, s[18:19]
.LBB946_440:                            ;   in Loop: Header=BB946_213 Depth=1
	s_or_b64 exec, exec, s[16:17]
.LBB946_441:                            ;   in Loop: Header=BB946_213 Depth=1
	s_or_b64 exec, exec, s[14:15]
	v_lshrrev_b32_e32 v44, 16, v42
	v_cmp_ne_u16_sdwa s[16:17], v44, v47 src0_sel:BYTE_0 src1_sel:DWORD
	s_and_saveexec_b64 s[14:15], s[16:17]
	s_cbranch_execz .LBB946_447
; %bb.442:                              ;   in Loop: Header=BB946_213 Depth=1
	v_cmp_ne_u16_sdwa s[18:19], v44, s9 src0_sel:BYTE_0 src1_sel:DWORD
	v_mov_b32_e32 v61, 0xffff8000
	s_and_saveexec_b64 s[16:17], s[18:19]
	s_cbranch_execz .LBB946_446
; %bb.443:                              ;   in Loop: Header=BB946_213 Depth=1
	v_bfe_u32 v46, v42, 16, 7
	v_cmp_ne_u32_e32 vcc, s23, v46
	v_mov_b32_e32 v61, 0x7f80
	s_and_saveexec_b64 s[18:19], vcc
	s_cbranch_execz .LBB946_445
; %bb.444:                              ;   in Loop: Header=BB946_213 Depth=1
	v_and_b32_e32 v61, 7, v44
	v_ffbh_u32_e32 v62, v61
	v_min_u32_e32 v65, 32, v62
	v_subrev_u32_e32 v62, 28, v65
	v_lshlrev_b64 v[62:63], v62, v[44:45]
	v_lshrrev_b32_e32 v64, 3, v46
	v_sub_u32_e32 v63, 29, v65
	v_and_b32_e32 v62, 7, v62
	v_cmp_gt_u32_e32 vcc, 8, v46
	v_cndmask_b32_e32 v46, v64, v63, vcc
	v_cndmask_b32_e32 v61, v61, v62, vcc
	v_lshlrev_b32_e32 v44, 24, v44
	v_lshlrev_b32_e32 v61, 20, v61
	v_and_b32_e32 v44, 0x80000000, v44
	v_lshl_add_u32 v46, v46, 23, v48
	v_or3_b32 v44, v44, v46, v61
	v_lshrrev_b32_e32 v61, 16, v44
.LBB946_445:                            ;   in Loop: Header=BB946_213 Depth=1
	s_or_b64 exec, exec, s[18:19]
.LBB946_446:                            ;   in Loop: Header=BB946_213 Depth=1
	s_or_b64 exec, exec, s[16:17]
.LBB946_447:                            ;   in Loop: Header=BB946_213 Depth=1
	s_or_b64 exec, exec, s[14:15]
	v_cmp_lt_u32_e32 vcc, s26, v42
	v_mov_b32_e32 v46, 0
	v_mov_b32_e32 v62, 0
	s_and_saveexec_b64 s[14:15], vcc
	s_cbranch_execz .LBB946_453
; %bb.448:                              ;   in Loop: Header=BB946_213 Depth=1
	v_lshrrev_b32_e32 v44, 24, v42
	v_cmp_ne_u32_e32 vcc, s9, v44
	v_mov_b32_e32 v62, 0xffff8000
	s_and_saveexec_b64 s[16:17], vcc
	s_cbranch_execz .LBB946_452
; %bb.449:                              ;   in Loop: Header=BB946_213 Depth=1
	v_bfe_u32 v42, v42, 24, 7
	v_cmp_ne_u32_e32 vcc, s23, v42
	v_mov_b32_e32 v62, 0x7f80
	s_and_saveexec_b64 s[18:19], vcc
	s_cbranch_execz .LBB946_451
; %bb.450:                              ;   in Loop: Header=BB946_213 Depth=1
	v_and_b32_e32 v64, 7, v44
	v_ffbh_u32_e32 v62, v64
	v_min_u32_e32 v66, 32, v62
	v_subrev_u32_e32 v62, 28, v66
	v_lshlrev_b64 v[62:63], v62, v[44:45]
	v_lshrrev_b32_e32 v65, 3, v42
	v_sub_u32_e32 v63, 29, v66
	v_and_b32_e32 v62, 7, v62
	v_cmp_gt_u32_e32 vcc, 8, v42
	v_cndmask_b32_e32 v42, v65, v63, vcc
	v_cndmask_b32_e32 v62, v64, v62, vcc
	v_lshlrev_b32_e32 v44, 24, v44
	v_lshlrev_b32_e32 v62, 20, v62
	v_and_b32_e32 v44, 0x80000000, v44
	v_lshl_add_u32 v42, v42, 23, v48
	v_or3_b32 v42, v44, v42, v62
	v_lshrrev_b32_e32 v62, 16, v42
.LBB946_451:                            ;   in Loop: Header=BB946_213 Depth=1
	s_or_b64 exec, exec, s[18:19]
.LBB946_452:                            ;   in Loop: Header=BB946_213 Depth=1
	s_or_b64 exec, exec, s[16:17]
.LBB946_453:                            ;   in Loop: Header=BB946_213 Depth=1
	s_or_b64 exec, exec, s[14:15]
	v_perm_b32 v51, v53, v51, s27
	v_perm_b32 v50, v50, v49, s27
	s_waitcnt vmcnt(1)
	v_cmp_ne_u16_sdwa s[16:17], v40, v47 src0_sel:BYTE_0 src1_sel:DWORD
	v_mfma_f32_16x16x16bf16_1k v[34:37], v[50:51], v[18:19], v[34:37]
	v_perm_b32 v51, v62, v61, s27
	v_perm_b32 v50, v60, v52, s27
	s_nop 1
	v_mfma_f32_16x16x16bf16_1k v[34:37], v[50:51], v[20:21], v[34:37]
	s_and_saveexec_b64 s[14:15], s[16:17]
	s_cbranch_execz .LBB946_459
; %bb.454:                              ;   in Loop: Header=BB946_213 Depth=1
	v_cmp_ne_u16_sdwa s[18:19], v40, s9 src0_sel:BYTE_0 src1_sel:DWORD
	v_mov_b32_e32 v46, 0xffff8000
	s_and_saveexec_b64 s[16:17], s[18:19]
	s_cbranch_execz .LBB946_458
; %bb.455:                              ;   in Loop: Header=BB946_213 Depth=1
	v_and_b32_e32 v42, 0x7f, v40
	v_cmp_ne_u32_e32 vcc, s23, v42
	v_mov_b32_e32 v46, 0x7f80
	s_and_saveexec_b64 s[18:19], vcc
	s_cbranch_execz .LBB946_457
; %bb.456:                              ;   in Loop: Header=BB946_213 Depth=1
	v_and_b32_e32 v44, 7, v40
	v_ffbh_u32_e32 v49, v44
	v_min_u32_e32 v49, 32, v49
	v_subrev_u32_e32 v50, 28, v49
	v_lshlrev_b64 v[50:51], v50, v[40:41]
	v_lshrrev_b32_e32 v46, 3, v42
	v_sub_u32_e32 v49, 29, v49
	v_and_b32_e32 v50, 7, v50
	v_cmp_gt_u32_e32 vcc, 8, v42
	v_cndmask_b32_e32 v42, v46, v49, vcc
	v_cndmask_b32_e32 v44, v44, v50, vcc
	v_lshlrev_b32_e32 v46, 24, v40
	v_lshlrev_b32_e32 v44, 20, v44
	v_and_b32_e32 v46, 0x80000000, v46
	v_lshl_add_u32 v42, v42, 23, v48
	v_or3_b32 v42, v46, v42, v44
	v_lshrrev_b32_e32 v46, 16, v42
.LBB946_457:                            ;   in Loop: Header=BB946_213 Depth=1
	s_or_b64 exec, exec, s[18:19]
.LBB946_458:                            ;   in Loop: Header=BB946_213 Depth=1
	s_or_b64 exec, exec, s[16:17]
.LBB946_459:                            ;   in Loop: Header=BB946_213 Depth=1
	s_or_b64 exec, exec, s[14:15]
	v_lshrrev_b16_e32 v42, 8, v40
	v_cmp_ne_u16_e32 vcc, 0, v42
	v_mov_b32_e32 v50, 0
	v_mov_b32_e32 v44, 0
	s_and_saveexec_b64 s[14:15], vcc
	s_cbranch_execz .LBB946_465
; %bb.460:                              ;   in Loop: Header=BB946_213 Depth=1
	v_cmp_ne_u16_e32 vcc, s9, v42
	v_mov_b32_e32 v44, 0xffff8000
	s_and_saveexec_b64 s[16:17], vcc
	s_cbranch_execz .LBB946_464
; %bb.461:                              ;   in Loop: Header=BB946_213 Depth=1
	v_and_b32_e32 v49, 0x7f, v42
	v_cmp_ne_u32_e32 vcc, s23, v49
	v_mov_b32_e32 v44, 0x7f80
	s_and_saveexec_b64 s[18:19], vcc
	s_cbranch_execz .LBB946_463
; %bb.462:                              ;   in Loop: Header=BB946_213 Depth=1
	v_and_b32_e32 v44, 7, v42
	v_ffbh_u32_e32 v52, v44
	v_min_u32_e32 v60, 32, v52
	v_subrev_u32_e32 v52, 28, v60
	v_lshlrev_b64 v[52:53], v52, v[42:43]
	v_lshrrev_b32_e32 v51, 3, v49
	v_sub_u32_e32 v42, 29, v60
	v_and_b32_e32 v52, 7, v52
	v_cmp_gt_u32_e32 vcc, 8, v49
	v_cndmask_b32_e32 v42, v51, v42, vcc
	v_cndmask_b32_e32 v44, v44, v52, vcc
	v_lshlrev_b32_e32 v49, 16, v40
	v_lshlrev_b32_e32 v44, 20, v44
	v_and_b32_e32 v49, 0x80000000, v49
	v_lshl_add_u32 v42, v42, 23, v48
	v_or3_b32 v42, v49, v42, v44
	v_lshrrev_b32_e32 v44, 16, v42
.LBB946_463:                            ;   in Loop: Header=BB946_213 Depth=1
	s_or_b64 exec, exec, s[18:19]
.LBB946_464:                            ;   in Loop: Header=BB946_213 Depth=1
	s_or_b64 exec, exec, s[16:17]
.LBB946_465:                            ;   in Loop: Header=BB946_213 Depth=1
	s_or_b64 exec, exec, s[14:15]
	v_lshrrev_b32_e32 v42, 16, v40
	v_cmp_ne_u16_sdwa s[16:17], v42, v47 src0_sel:BYTE_0 src1_sel:DWORD
	s_and_saveexec_b64 s[14:15], s[16:17]
	s_cbranch_execz .LBB946_471
; %bb.466:                              ;   in Loop: Header=BB946_213 Depth=1
	v_cmp_ne_u16_sdwa s[18:19], v42, s9 src0_sel:BYTE_0 src1_sel:DWORD
	v_mov_b32_e32 v50, 0xffff8000
	s_and_saveexec_b64 s[16:17], s[18:19]
	s_cbranch_execz .LBB946_470
; %bb.467:                              ;   in Loop: Header=BB946_213 Depth=1
	v_bfe_u32 v49, v40, 16, 7
	v_cmp_ne_u32_e32 vcc, s23, v49
	v_mov_b32_e32 v50, 0x7f80
	s_and_saveexec_b64 s[18:19], vcc
	s_cbranch_execz .LBB946_469
; %bb.468:                              ;   in Loop: Header=BB946_213 Depth=1
	v_and_b32_e32 v52, 7, v42
	v_ffbh_u32_e32 v50, v52
	v_min_u32_e32 v60, 32, v50
	v_subrev_u32_e32 v50, 28, v60
	v_lshlrev_b64 v[50:51], v50, v[42:43]
	v_lshrrev_b32_e32 v53, 3, v49
	v_sub_u32_e32 v51, 29, v60
	v_and_b32_e32 v50, 7, v50
	v_cmp_gt_u32_e32 vcc, 8, v49
	v_cndmask_b32_e32 v49, v53, v51, vcc
	v_cndmask_b32_e32 v50, v52, v50, vcc
	v_lshlrev_b32_e32 v42, 24, v42
	v_lshlrev_b32_e32 v50, 20, v50
	v_and_b32_e32 v42, 0x80000000, v42
	v_lshl_add_u32 v49, v49, 23, v48
	v_or3_b32 v42, v42, v49, v50
	v_lshrrev_b32_e32 v50, 16, v42
.LBB946_469:                            ;   in Loop: Header=BB946_213 Depth=1
	s_or_b64 exec, exec, s[18:19]
.LBB946_470:                            ;   in Loop: Header=BB946_213 Depth=1
	s_or_b64 exec, exec, s[16:17]
.LBB946_471:                            ;   in Loop: Header=BB946_213 Depth=1
	s_or_b64 exec, exec, s[14:15]
	v_cmp_lt_u32_e32 vcc, s26, v40
	v_mov_b32_e32 v51, 0
	v_mov_b32_e32 v52, 0
	s_and_saveexec_b64 s[14:15], vcc
	s_cbranch_execz .LBB946_477
; %bb.472:                              ;   in Loop: Header=BB946_213 Depth=1
	v_lshrrev_b32_e32 v42, 24, v40
	v_cmp_ne_u32_e32 vcc, s9, v42
	v_mov_b32_e32 v52, 0xffff8000
	s_and_saveexec_b64 s[16:17], vcc
	s_cbranch_execz .LBB946_476
; %bb.473:                              ;   in Loop: Header=BB946_213 Depth=1
	v_bfe_u32 v40, v40, 24, 7
	v_cmp_ne_u32_e32 vcc, s23, v40
	v_mov_b32_e32 v52, 0x7f80
	s_and_saveexec_b64 s[18:19], vcc
	s_cbranch_execz .LBB946_475
; %bb.474:                              ;   in Loop: Header=BB946_213 Depth=1
	v_and_b32_e32 v49, 7, v42
	v_ffbh_u32_e32 v52, v49
	v_min_u32_e32 v61, 32, v52
	v_subrev_u32_e32 v52, 28, v61
	v_lshlrev_b64 v[52:53], v52, v[42:43]
	v_lshrrev_b32_e32 v60, 3, v40
	v_sub_u32_e32 v53, 29, v61
	v_and_b32_e32 v52, 7, v52
	v_cmp_gt_u32_e32 vcc, 8, v40
	v_cndmask_b32_e32 v40, v60, v53, vcc
	v_cndmask_b32_e32 v49, v49, v52, vcc
	v_lshlrev_b32_e32 v42, 24, v42
	v_lshlrev_b32_e32 v49, 20, v49
	v_and_b32_e32 v42, 0x80000000, v42
	v_lshl_add_u32 v40, v40, 23, v48
	v_or3_b32 v40, v42, v40, v49
	v_lshrrev_b32_e32 v52, 16, v40
.LBB946_475:                            ;   in Loop: Header=BB946_213 Depth=1
	s_or_b64 exec, exec, s[18:19]
.LBB946_476:                            ;   in Loop: Header=BB946_213 Depth=1
	s_or_b64 exec, exec, s[16:17]
.LBB946_477:                            ;   in Loop: Header=BB946_213 Depth=1
	s_or_b64 exec, exec, s[14:15]
	s_waitcnt vmcnt(0)
	v_cmp_ne_u16_sdwa s[16:17], v38, v47 src0_sel:BYTE_0 src1_sel:DWORD
	s_and_saveexec_b64 s[14:15], s[16:17]
	s_cbranch_execz .LBB946_483
; %bb.478:                              ;   in Loop: Header=BB946_213 Depth=1
	v_cmp_ne_u16_sdwa s[18:19], v38, s9 src0_sel:BYTE_0 src1_sel:DWORD
	v_mov_b32_e32 v51, 0xffff8000
	s_and_saveexec_b64 s[16:17], s[18:19]
	s_cbranch_execz .LBB946_482
; %bb.479:                              ;   in Loop: Header=BB946_213 Depth=1
	v_and_b32_e32 v40, 0x7f, v38
	v_cmp_ne_u32_e32 vcc, s23, v40
	v_mov_b32_e32 v51, 0x7f80
	s_and_saveexec_b64 s[18:19], vcc
	s_cbranch_execz .LBB946_481
; %bb.480:                              ;   in Loop: Header=BB946_213 Depth=1
	v_and_b32_e32 v42, 7, v38
	v_ffbh_u32_e32 v51, v42
	v_min_u32_e32 v51, 32, v51
	v_subrev_u32_e32 v53, 28, v51
	v_lshlrev_b64 v[60:61], v53, v[38:39]
	v_lshrrev_b32_e32 v49, 3, v40
	v_sub_u32_e32 v51, 29, v51
	v_and_b32_e32 v53, 7, v60
	v_cmp_gt_u32_e32 vcc, 8, v40
	v_cndmask_b32_e32 v40, v49, v51, vcc
	v_cndmask_b32_e32 v42, v42, v53, vcc
	v_lshlrev_b32_e32 v49, 24, v38
	v_lshlrev_b32_e32 v42, 20, v42
	v_and_b32_e32 v49, 0x80000000, v49
	v_lshl_add_u32 v40, v40, 23, v48
	v_or3_b32 v40, v49, v40, v42
	v_lshrrev_b32_e32 v51, 16, v40
.LBB946_481:                            ;   in Loop: Header=BB946_213 Depth=1
	s_or_b64 exec, exec, s[18:19]
.LBB946_482:                            ;   in Loop: Header=BB946_213 Depth=1
	s_or_b64 exec, exec, s[16:17]
.LBB946_483:                            ;   in Loop: Header=BB946_213 Depth=1
	s_or_b64 exec, exec, s[14:15]
	v_lshrrev_b16_e32 v40, 8, v38
	v_cmp_ne_u16_e32 vcc, 0, v40
	v_mov_b32_e32 v60, 0
	v_mov_b32_e32 v53, 0
	s_and_saveexec_b64 s[14:15], vcc
	s_cbranch_execz .LBB946_489
; %bb.484:                              ;   in Loop: Header=BB946_213 Depth=1
	v_cmp_ne_u16_e32 vcc, s9, v40
	v_mov_b32_e32 v53, 0xffff8000
	s_and_saveexec_b64 s[16:17], vcc
	s_cbranch_execz .LBB946_488
; %bb.485:                              ;   in Loop: Header=BB946_213 Depth=1
	v_and_b32_e32 v42, 0x7f, v40
	v_cmp_ne_u32_e32 vcc, s23, v42
	v_mov_b32_e32 v53, 0x7f80
	s_and_saveexec_b64 s[18:19], vcc
	s_cbranch_execz .LBB946_487
; %bb.486:                              ;   in Loop: Header=BB946_213 Depth=1
	v_and_b32_e32 v49, 7, v40
	v_ffbh_u32_e32 v61, v49
	v_min_u32_e32 v61, 32, v61
	v_subrev_u32_e32 v62, 28, v61
	v_lshlrev_b64 v[62:63], v62, v[40:41]
	v_lshrrev_b32_e32 v53, 3, v42
	v_sub_u32_e32 v40, 29, v61
	v_and_b32_e32 v61, 7, v62
	v_cmp_gt_u32_e32 vcc, 8, v42
	v_cndmask_b32_e32 v40, v53, v40, vcc
	v_cndmask_b32_e32 v42, v49, v61, vcc
	v_lshlrev_b32_e32 v49, 16, v38
	v_lshlrev_b32_e32 v42, 20, v42
	v_and_b32_e32 v49, 0x80000000, v49
	v_lshl_add_u32 v40, v40, 23, v48
	v_or3_b32 v40, v49, v40, v42
	v_lshrrev_b32_e32 v53, 16, v40
.LBB946_487:                            ;   in Loop: Header=BB946_213 Depth=1
	s_or_b64 exec, exec, s[18:19]
.LBB946_488:                            ;   in Loop: Header=BB946_213 Depth=1
	s_or_b64 exec, exec, s[16:17]
.LBB946_489:                            ;   in Loop: Header=BB946_213 Depth=1
	s_or_b64 exec, exec, s[14:15]
	v_lshrrev_b32_e32 v40, 16, v38
	v_cmp_ne_u16_sdwa s[16:17], v40, v47 src0_sel:BYTE_0 src1_sel:DWORD
	s_and_saveexec_b64 s[14:15], s[16:17]
	s_cbranch_execz .LBB946_495
; %bb.490:                              ;   in Loop: Header=BB946_213 Depth=1
	v_cmp_ne_u16_sdwa s[18:19], v40, s9 src0_sel:BYTE_0 src1_sel:DWORD
	v_mov_b32_e32 v60, 0xffff8000
	s_and_saveexec_b64 s[16:17], s[18:19]
	s_cbranch_execz .LBB946_494
; %bb.491:                              ;   in Loop: Header=BB946_213 Depth=1
	v_bfe_u32 v42, v38, 16, 7
	v_cmp_ne_u32_e32 vcc, s23, v42
	v_mov_b32_e32 v60, 0x7f80
	s_and_saveexec_b64 s[18:19], vcc
	s_cbranch_execz .LBB946_493
; %bb.492:                              ;   in Loop: Header=BB946_213 Depth=1
	v_and_b32_e32 v49, 7, v40
	v_ffbh_u32_e32 v60, v49
	v_min_u32_e32 v63, 32, v60
	v_subrev_u32_e32 v60, 28, v63
	v_lshlrev_b64 v[60:61], v60, v[40:41]
	v_lshrrev_b32_e32 v62, 3, v42
	v_sub_u32_e32 v61, 29, v63
	v_and_b32_e32 v60, 7, v60
	v_cmp_gt_u32_e32 vcc, 8, v42
	v_cndmask_b32_e32 v42, v62, v61, vcc
	v_cndmask_b32_e32 v49, v49, v60, vcc
	v_lshlrev_b32_e32 v40, 24, v40
	v_lshlrev_b32_e32 v49, 20, v49
	v_and_b32_e32 v40, 0x80000000, v40
	v_lshl_add_u32 v42, v42, 23, v48
	v_or3_b32 v40, v40, v42, v49
	v_lshrrev_b32_e32 v60, 16, v40
.LBB946_493:                            ;   in Loop: Header=BB946_213 Depth=1
	s_or_b64 exec, exec, s[18:19]
.LBB946_494:                            ;   in Loop: Header=BB946_213 Depth=1
	s_or_b64 exec, exec, s[16:17]
.LBB946_495:                            ;   in Loop: Header=BB946_213 Depth=1
	s_or_b64 exec, exec, s[14:15]
	v_cmp_lt_u32_e32 vcc, s26, v38
	v_mov_b32_e32 v49, 0
	v_mov_b32_e32 v61, 0
	s_and_saveexec_b64 s[14:15], vcc
	s_cbranch_execz .LBB946_501
; %bb.496:                              ;   in Loop: Header=BB946_213 Depth=1
	v_lshrrev_b32_e32 v40, 24, v38
	v_cmp_ne_u32_e32 vcc, s9, v40
	v_mov_b32_e32 v61, 0xffff8000
	s_and_saveexec_b64 s[16:17], vcc
	s_cbranch_execz .LBB946_500
; %bb.497:                              ;   in Loop: Header=BB946_213 Depth=1
	v_bfe_u32 v38, v38, 24, 7
	v_cmp_ne_u32_e32 vcc, s23, v38
	v_mov_b32_e32 v61, 0x7f80
	s_and_saveexec_b64 s[18:19], vcc
	s_cbranch_execz .LBB946_499
; %bb.498:                              ;   in Loop: Header=BB946_213 Depth=1
	v_and_b32_e32 v42, 7, v40
	v_ffbh_u32_e32 v62, v42
	v_min_u32_e32 v64, 32, v62
	v_subrev_u32_e32 v62, 28, v64
	v_lshlrev_b64 v[62:63], v62, v[40:41]
	v_lshrrev_b32_e32 v61, 3, v38
	v_sub_u32_e32 v63, 29, v64
	v_and_b32_e32 v62, 7, v62
	v_cmp_gt_u32_e32 vcc, 8, v38
	v_cndmask_b32_e32 v38, v61, v63, vcc
	v_cndmask_b32_e32 v42, v42, v62, vcc
	v_lshlrev_b32_e32 v40, 24, v40
	v_lshlrev_b32_e32 v42, 20, v42
	v_and_b32_e32 v40, 0x80000000, v40
	v_lshl_add_u32 v38, v38, 23, v48
	v_or3_b32 v38, v40, v38, v42
	v_lshrrev_b32_e32 v61, 16, v38
.LBB946_499:                            ;   in Loop: Header=BB946_213 Depth=1
	s_or_b64 exec, exec, s[18:19]
.LBB946_500:                            ;   in Loop: Header=BB946_213 Depth=1
	s_or_b64 exec, exec, s[16:17]
.LBB946_501:                            ;   in Loop: Header=BB946_213 Depth=1
	s_or_b64 exec, exec, s[14:15]
	v_perm_b32 v62, v44, v46, s27
	buffer_load_dword v44, v59, s[0:3], 0 offen
	buffer_load_dword v42, v59, s[0:3], 0 offen offset:4
	buffer_load_dword v40, v59, s[0:3], 0 offen offset:8
	buffer_load_dword v38, v59, s[0:3], 0 offen offset:12
	v_perm_b32 v63, v52, v50, s27
	v_perm_b32 v61, v61, v60, s27
	;; [unrolled: 1-line block ×3, first 2 shown]
	v_mfma_f32_16x16x16bf16_1k v[34:37], v[62:63], v[22:23], v[34:37]
	s_waitcnt vmcnt(3)
	v_cmp_ne_u16_sdwa s[16:17], v44, v47 src0_sel:BYTE_0 src1_sel:DWORD
	v_mfma_f32_16x16x16bf16_1k v[34:37], v[60:61], v[24:25], v[34:37]
	s_and_saveexec_b64 s[14:15], s[16:17]
	s_cbranch_execz .LBB946_507
; %bb.502:                              ;   in Loop: Header=BB946_213 Depth=1
	v_cmp_ne_u16_sdwa s[18:19], v44, s9 src0_sel:BYTE_0 src1_sel:DWORD
	v_mov_b32_e32 v49, 0xffff8000
	s_and_saveexec_b64 s[16:17], s[18:19]
	s_cbranch_execz .LBB946_506
; %bb.503:                              ;   in Loop: Header=BB946_213 Depth=1
	v_and_b32_e32 v46, 0x7f, v44
	v_cmp_ne_u32_e32 vcc, s23, v46
	v_mov_b32_e32 v49, 0x7f80
	s_and_saveexec_b64 s[18:19], vcc
	s_cbranch_execz .LBB946_505
; %bb.504:                              ;   in Loop: Header=BB946_213 Depth=1
	v_and_b32_e32 v49, 7, v44
	v_ffbh_u32_e32 v50, v49
	v_min_u32_e32 v53, 32, v50
	v_subrev_u32_e32 v50, 28, v53
	v_lshlrev_b64 v[50:51], v50, v[44:45]
	v_lshrrev_b32_e32 v52, 3, v46
	v_sub_u32_e32 v51, 29, v53
	v_and_b32_e32 v50, 7, v50
	v_cmp_gt_u32_e32 vcc, 8, v46
	v_cndmask_b32_e32 v46, v52, v51, vcc
	v_cndmask_b32_e32 v49, v49, v50, vcc
	v_lshlrev_b32_e32 v50, 24, v44
	v_lshlrev_b32_e32 v49, 20, v49
	v_and_b32_e32 v50, 0x80000000, v50
	v_lshl_add_u32 v46, v46, 23, v48
	v_or3_b32 v46, v50, v46, v49
	v_lshrrev_b32_e32 v49, 16, v46
.LBB946_505:                            ;   in Loop: Header=BB946_213 Depth=1
	s_or_b64 exec, exec, s[18:19]
.LBB946_506:                            ;   in Loop: Header=BB946_213 Depth=1
	s_or_b64 exec, exec, s[16:17]
.LBB946_507:                            ;   in Loop: Header=BB946_213 Depth=1
	s_or_b64 exec, exec, s[14:15]
	v_lshrrev_b16_e32 v46, 8, v44
	v_cmp_ne_u16_e32 vcc, 0, v46
	v_mov_b32_e32 v51, 0
	v_mov_b32_e32 v50, 0
	s_and_saveexec_b64 s[14:15], vcc
	s_cbranch_execz .LBB946_513
; %bb.508:                              ;   in Loop: Header=BB946_213 Depth=1
	v_cmp_ne_u16_e32 vcc, s9, v46
	v_mov_b32_e32 v50, 0xffff8000
	s_and_saveexec_b64 s[16:17], vcc
	s_cbranch_execz .LBB946_512
; %bb.509:                              ;   in Loop: Header=BB946_213 Depth=1
	v_and_b32_e32 v52, 0x7f, v46
	v_cmp_ne_u32_e32 vcc, s23, v52
	v_mov_b32_e32 v50, 0x7f80
	s_and_saveexec_b64 s[18:19], vcc
	s_cbranch_execz .LBB946_511
; %bb.510:                              ;   in Loop: Header=BB946_213 Depth=1
	v_and_b32_e32 v50, 7, v46
	v_ffbh_u32_e32 v59, v50
	v_min_u32_e32 v59, 32, v59
	v_subrev_u32_e32 v60, 28, v59
	v_lshlrev_b64 v[60:61], v60, v[46:47]
	v_lshrrev_b32_e32 v53, 3, v52
	v_sub_u32_e32 v46, 29, v59
	v_and_b32_e32 v59, 7, v60
	v_cmp_gt_u32_e32 vcc, 8, v52
	v_cndmask_b32_e32 v46, v53, v46, vcc
	v_cndmask_b32_e32 v50, v50, v59, vcc
	v_lshlrev_b32_e32 v52, 16, v44
	v_lshlrev_b32_e32 v50, 20, v50
	v_and_b32_e32 v52, 0x80000000, v52
	v_lshl_add_u32 v46, v46, 23, v48
	v_or3_b32 v46, v52, v46, v50
	v_lshrrev_b32_e32 v50, 16, v46
.LBB946_511:                            ;   in Loop: Header=BB946_213 Depth=1
	s_or_b64 exec, exec, s[18:19]
.LBB946_512:                            ;   in Loop: Header=BB946_213 Depth=1
	s_or_b64 exec, exec, s[16:17]
.LBB946_513:                            ;   in Loop: Header=BB946_213 Depth=1
	s_or_b64 exec, exec, s[14:15]
	v_lshrrev_b32_e32 v46, 16, v44
	v_cmp_ne_u16_sdwa s[16:17], v46, v47 src0_sel:BYTE_0 src1_sel:DWORD
	s_and_saveexec_b64 s[14:15], s[16:17]
	s_cbranch_execz .LBB946_519
; %bb.514:                              ;   in Loop: Header=BB946_213 Depth=1
	v_cmp_ne_u16_sdwa s[18:19], v46, s9 src0_sel:BYTE_0 src1_sel:DWORD
	v_mov_b32_e32 v51, 0xffff8000
	s_and_saveexec_b64 s[16:17], s[18:19]
	s_cbranch_execz .LBB946_518
; %bb.515:                              ;   in Loop: Header=BB946_213 Depth=1
	v_bfe_u32 v52, v44, 16, 7
	v_cmp_ne_u32_e32 vcc, s23, v52
	v_mov_b32_e32 v51, 0x7f80
	s_and_saveexec_b64 s[18:19], vcc
	s_cbranch_execz .LBB946_517
; %bb.516:                              ;   in Loop: Header=BB946_213 Depth=1
	v_and_b32_e32 v51, 7, v46
	v_ffbh_u32_e32 v59, v51
	v_min_u32_e32 v59, 32, v59
	v_subrev_u32_e32 v60, 28, v59
	v_lshlrev_b64 v[60:61], v60, v[46:47]
	v_lshrrev_b32_e32 v53, 3, v52
	v_sub_u32_e32 v59, 29, v59
	v_and_b32_e32 v60, 7, v60
	v_cmp_gt_u32_e32 vcc, 8, v52
	v_cndmask_b32_e32 v52, v53, v59, vcc
	v_cndmask_b32_e32 v51, v51, v60, vcc
	v_lshlrev_b32_e32 v46, 24, v46
	v_lshlrev_b32_e32 v51, 20, v51
	v_and_b32_e32 v46, 0x80000000, v46
	v_lshl_add_u32 v52, v52, 23, v48
	v_or3_b32 v46, v46, v52, v51
	v_lshrrev_b32_e32 v51, 16, v46
.LBB946_517:                            ;   in Loop: Header=BB946_213 Depth=1
	s_or_b64 exec, exec, s[18:19]
.LBB946_518:                            ;   in Loop: Header=BB946_213 Depth=1
	s_or_b64 exec, exec, s[16:17]
.LBB946_519:                            ;   in Loop: Header=BB946_213 Depth=1
	s_or_b64 exec, exec, s[14:15]
	v_cmp_lt_u32_e32 vcc, s26, v44
	v_mov_b32_e32 v52, 0
	v_mov_b32_e32 v53, 0
	s_and_saveexec_b64 s[14:15], vcc
	s_cbranch_execz .LBB946_525
; %bb.520:                              ;   in Loop: Header=BB946_213 Depth=1
	v_lshrrev_b32_e32 v46, 24, v44
	v_cmp_ne_u32_e32 vcc, s9, v46
	v_mov_b32_e32 v53, 0xffff8000
	s_and_saveexec_b64 s[16:17], vcc
	s_cbranch_execz .LBB946_524
; %bb.521:                              ;   in Loop: Header=BB946_213 Depth=1
	v_bfe_u32 v44, v44, 24, 7
	v_cmp_ne_u32_e32 vcc, s23, v44
	v_mov_b32_e32 v53, 0x7f80
	s_and_saveexec_b64 s[18:19], vcc
	s_cbranch_execz .LBB946_523
; %bb.522:                              ;   in Loop: Header=BB946_213 Depth=1
	v_and_b32_e32 v53, 7, v46
	v_ffbh_u32_e32 v60, v53
	v_min_u32_e32 v62, 32, v60
	v_subrev_u32_e32 v60, 28, v62
	v_lshlrev_b64 v[60:61], v60, v[46:47]
	v_lshrrev_b32_e32 v59, 3, v44
	v_sub_u32_e32 v61, 29, v62
	v_and_b32_e32 v60, 7, v60
	v_cmp_gt_u32_e32 vcc, 8, v44
	v_cndmask_b32_e32 v44, v59, v61, vcc
	v_cndmask_b32_e32 v53, v53, v60, vcc
	v_lshlrev_b32_e32 v46, 24, v46
	v_lshlrev_b32_e32 v53, 20, v53
	v_and_b32_e32 v46, 0x80000000, v46
	v_lshl_add_u32 v44, v44, 23, v48
	v_or3_b32 v44, v46, v44, v53
	v_lshrrev_b32_e32 v53, 16, v44
.LBB946_523:                            ;   in Loop: Header=BB946_213 Depth=1
	s_or_b64 exec, exec, s[18:19]
.LBB946_524:                            ;   in Loop: Header=BB946_213 Depth=1
	s_or_b64 exec, exec, s[16:17]
.LBB946_525:                            ;   in Loop: Header=BB946_213 Depth=1
	s_or_b64 exec, exec, s[14:15]
	s_waitcnt vmcnt(2)
	v_cmp_ne_u16_sdwa s[16:17], v42, v47 src0_sel:BYTE_0 src1_sel:DWORD
	s_and_saveexec_b64 s[14:15], s[16:17]
	s_cbranch_execz .LBB946_531
; %bb.526:                              ;   in Loop: Header=BB946_213 Depth=1
	v_cmp_ne_u16_sdwa s[18:19], v42, s9 src0_sel:BYTE_0 src1_sel:DWORD
	v_mov_b32_e32 v52, 0xffff8000
	s_and_saveexec_b64 s[16:17], s[18:19]
	s_cbranch_execz .LBB946_530
; %bb.527:                              ;   in Loop: Header=BB946_213 Depth=1
	v_and_b32_e32 v44, 0x7f, v42
	v_cmp_ne_u32_e32 vcc, s23, v44
	v_mov_b32_e32 v52, 0x7f80
	s_and_saveexec_b64 s[18:19], vcc
	s_cbranch_execz .LBB946_529
; %bb.528:                              ;   in Loop: Header=BB946_213 Depth=1
	v_and_b32_e32 v46, 7, v42
	v_ffbh_u32_e32 v59, v46
	v_min_u32_e32 v59, 32, v59
	v_subrev_u32_e32 v60, 28, v59
	v_lshlrev_b64 v[60:61], v60, v[42:43]
	v_lshrrev_b32_e32 v52, 3, v44
	v_sub_u32_e32 v59, 29, v59
	v_and_b32_e32 v60, 7, v60
	v_cmp_gt_u32_e32 vcc, 8, v44
	v_cndmask_b32_e32 v44, v52, v59, vcc
	v_cndmask_b32_e32 v46, v46, v60, vcc
	v_lshlrev_b32_e32 v52, 24, v42
	v_lshlrev_b32_e32 v46, 20, v46
	v_and_b32_e32 v52, 0x80000000, v52
	v_lshl_add_u32 v44, v44, 23, v48
	v_or3_b32 v44, v52, v44, v46
	v_lshrrev_b32_e32 v52, 16, v44
.LBB946_529:                            ;   in Loop: Header=BB946_213 Depth=1
	s_or_b64 exec, exec, s[18:19]
.LBB946_530:                            ;   in Loop: Header=BB946_213 Depth=1
	s_or_b64 exec, exec, s[16:17]
.LBB946_531:                            ;   in Loop: Header=BB946_213 Depth=1
	s_or_b64 exec, exec, s[14:15]
	v_lshrrev_b16_e32 v44, 8, v42
	v_cmp_ne_u16_e32 vcc, 0, v44
	v_mov_b32_e32 v60, 0
	v_mov_b32_e32 v59, 0
	s_and_saveexec_b64 s[14:15], vcc
	s_cbranch_execz .LBB946_537
; %bb.532:                              ;   in Loop: Header=BB946_213 Depth=1
	v_cmp_ne_u16_e32 vcc, s9, v44
	v_mov_b32_e32 v59, 0xffff8000
	s_and_saveexec_b64 s[16:17], vcc
	s_cbranch_execz .LBB946_536
; %bb.533:                              ;   in Loop: Header=BB946_213 Depth=1
	v_and_b32_e32 v46, 0x7f, v44
	v_cmp_ne_u32_e32 vcc, s23, v46
	v_mov_b32_e32 v59, 0x7f80
	s_and_saveexec_b64 s[18:19], vcc
	s_cbranch_execz .LBB946_535
; %bb.534:                              ;   in Loop: Header=BB946_213 Depth=1
	v_and_b32_e32 v59, 7, v44
	v_ffbh_u32_e32 v62, v59
	v_min_u32_e32 v64, 32, v62
	v_subrev_u32_e32 v62, 28, v64
	v_lshlrev_b64 v[62:63], v62, v[44:45]
	v_lshrrev_b32_e32 v61, 3, v46
	v_sub_u32_e32 v44, 29, v64
	v_and_b32_e32 v62, 7, v62
	v_cmp_gt_u32_e32 vcc, 8, v46
	v_cndmask_b32_e32 v44, v61, v44, vcc
	v_cndmask_b32_e32 v46, v59, v62, vcc
	v_lshlrev_b32_e32 v59, 16, v42
	v_lshlrev_b32_e32 v46, 20, v46
	v_and_b32_e32 v59, 0x80000000, v59
	v_lshl_add_u32 v44, v44, 23, v48
	v_or3_b32 v44, v59, v44, v46
	v_lshrrev_b32_e32 v59, 16, v44
.LBB946_535:                            ;   in Loop: Header=BB946_213 Depth=1
	s_or_b64 exec, exec, s[18:19]
.LBB946_536:                            ;   in Loop: Header=BB946_213 Depth=1
	s_or_b64 exec, exec, s[16:17]
.LBB946_537:                            ;   in Loop: Header=BB946_213 Depth=1
	s_or_b64 exec, exec, s[14:15]
	v_lshrrev_b32_e32 v44, 16, v42
	v_cmp_ne_u16_sdwa s[16:17], v44, v47 src0_sel:BYTE_0 src1_sel:DWORD
	s_and_saveexec_b64 s[14:15], s[16:17]
	s_cbranch_execz .LBB946_543
; %bb.538:                              ;   in Loop: Header=BB946_213 Depth=1
	v_cmp_ne_u16_sdwa s[18:19], v44, s9 src0_sel:BYTE_0 src1_sel:DWORD
	v_mov_b32_e32 v60, 0xffff8000
	s_and_saveexec_b64 s[16:17], s[18:19]
	s_cbranch_execz .LBB946_542
; %bb.539:                              ;   in Loop: Header=BB946_213 Depth=1
	v_bfe_u32 v46, v42, 16, 7
	v_cmp_ne_u32_e32 vcc, s23, v46
	v_mov_b32_e32 v60, 0x7f80
	s_and_saveexec_b64 s[18:19], vcc
	s_cbranch_execz .LBB946_541
; %bb.540:                              ;   in Loop: Header=BB946_213 Depth=1
	v_and_b32_e32 v62, 7, v44
	v_ffbh_u32_e32 v60, v62
	v_min_u32_e32 v64, 32, v60
	v_subrev_u32_e32 v60, 28, v64
	v_lshlrev_b64 v[60:61], v60, v[44:45]
	v_lshrrev_b32_e32 v63, 3, v46
	v_sub_u32_e32 v61, 29, v64
	v_and_b32_e32 v60, 7, v60
	v_cmp_gt_u32_e32 vcc, 8, v46
	v_cndmask_b32_e32 v46, v63, v61, vcc
	v_cndmask_b32_e32 v60, v62, v60, vcc
	v_lshlrev_b32_e32 v44, 24, v44
	v_lshlrev_b32_e32 v60, 20, v60
	v_and_b32_e32 v44, 0x80000000, v44
	v_lshl_add_u32 v46, v46, 23, v48
	v_or3_b32 v44, v44, v46, v60
	v_lshrrev_b32_e32 v60, 16, v44
.LBB946_541:                            ;   in Loop: Header=BB946_213 Depth=1
	s_or_b64 exec, exec, s[18:19]
.LBB946_542:                            ;   in Loop: Header=BB946_213 Depth=1
	s_or_b64 exec, exec, s[16:17]
.LBB946_543:                            ;   in Loop: Header=BB946_213 Depth=1
	s_or_b64 exec, exec, s[14:15]
	v_cmp_lt_u32_e32 vcc, s26, v42
	v_mov_b32_e32 v46, 0
	v_mov_b32_e32 v61, 0
	s_and_saveexec_b64 s[14:15], vcc
	s_cbranch_execz .LBB946_549
; %bb.544:                              ;   in Loop: Header=BB946_213 Depth=1
	v_lshrrev_b32_e32 v44, 24, v42
	v_cmp_ne_u32_e32 vcc, s9, v44
	v_mov_b32_e32 v61, 0xffff8000
	s_and_saveexec_b64 s[16:17], vcc
	s_cbranch_execz .LBB946_548
; %bb.545:                              ;   in Loop: Header=BB946_213 Depth=1
	v_bfe_u32 v42, v42, 24, 7
	v_cmp_ne_u32_e32 vcc, s23, v42
	v_mov_b32_e32 v61, 0x7f80
	s_and_saveexec_b64 s[18:19], vcc
	s_cbranch_execz .LBB946_547
; %bb.546:                              ;   in Loop: Header=BB946_213 Depth=1
	v_and_b32_e32 v61, 7, v44
	v_ffbh_u32_e32 v62, v61
	v_min_u32_e32 v65, 32, v62
	v_subrev_u32_e32 v62, 28, v65
	v_lshlrev_b64 v[62:63], v62, v[44:45]
	v_lshrrev_b32_e32 v64, 3, v42
	v_sub_u32_e32 v63, 29, v65
	v_and_b32_e32 v62, 7, v62
	v_cmp_gt_u32_e32 vcc, 8, v42
	v_cndmask_b32_e32 v42, v64, v63, vcc
	v_cndmask_b32_e32 v61, v61, v62, vcc
	v_lshlrev_b32_e32 v44, 24, v44
	v_lshlrev_b32_e32 v61, 20, v61
	v_and_b32_e32 v44, 0x80000000, v44
	v_lshl_add_u32 v42, v42, 23, v48
	v_or3_b32 v42, v44, v42, v61
	v_lshrrev_b32_e32 v61, 16, v42
.LBB946_547:                            ;   in Loop: Header=BB946_213 Depth=1
	s_or_b64 exec, exec, s[18:19]
.LBB946_548:                            ;   in Loop: Header=BB946_213 Depth=1
	s_or_b64 exec, exec, s[16:17]
.LBB946_549:                            ;   in Loop: Header=BB946_213 Depth=1
	s_or_b64 exec, exec, s[14:15]
	v_perm_b32 v51, v53, v51, s27
	v_perm_b32 v50, v50, v49, s27
	s_waitcnt vmcnt(1)
	v_cmp_ne_u16_sdwa s[16:17], v40, v47 src0_sel:BYTE_0 src1_sel:DWORD
	v_mfma_f32_16x16x16bf16_1k v[34:37], v[50:51], v[26:27], v[34:37]
	v_perm_b32 v51, v61, v60, s27
	v_perm_b32 v50, v59, v52, s27
	s_nop 1
	v_mfma_f32_16x16x16bf16_1k v[34:37], v[50:51], v[28:29], v[34:37]
	s_and_saveexec_b64 s[14:15], s[16:17]
	s_cbranch_execz .LBB946_555
; %bb.550:                              ;   in Loop: Header=BB946_213 Depth=1
	v_cmp_ne_u16_sdwa s[18:19], v40, s9 src0_sel:BYTE_0 src1_sel:DWORD
	v_mov_b32_e32 v46, 0xffff8000
	s_and_saveexec_b64 s[16:17], s[18:19]
	s_cbranch_execz .LBB946_554
; %bb.551:                              ;   in Loop: Header=BB946_213 Depth=1
	v_and_b32_e32 v42, 0x7f, v40
	v_cmp_ne_u32_e32 vcc, s23, v42
	v_mov_b32_e32 v46, 0x7f80
	s_and_saveexec_b64 s[18:19], vcc
	s_cbranch_execz .LBB946_553
; %bb.552:                              ;   in Loop: Header=BB946_213 Depth=1
	v_and_b32_e32 v44, 7, v40
	v_ffbh_u32_e32 v49, v44
	v_min_u32_e32 v49, 32, v49
	v_subrev_u32_e32 v50, 28, v49
	v_lshlrev_b64 v[50:51], v50, v[40:41]
	v_lshrrev_b32_e32 v46, 3, v42
	v_sub_u32_e32 v49, 29, v49
	v_and_b32_e32 v50, 7, v50
	v_cmp_gt_u32_e32 vcc, 8, v42
	v_cndmask_b32_e32 v42, v46, v49, vcc
	v_cndmask_b32_e32 v44, v44, v50, vcc
	v_lshlrev_b32_e32 v46, 24, v40
	v_lshlrev_b32_e32 v44, 20, v44
	v_and_b32_e32 v46, 0x80000000, v46
	v_lshl_add_u32 v42, v42, 23, v48
	v_or3_b32 v42, v46, v42, v44
	v_lshrrev_b32_e32 v46, 16, v42
.LBB946_553:                            ;   in Loop: Header=BB946_213 Depth=1
	s_or_b64 exec, exec, s[18:19]
.LBB946_554:                            ;   in Loop: Header=BB946_213 Depth=1
	s_or_b64 exec, exec, s[16:17]
.LBB946_555:                            ;   in Loop: Header=BB946_213 Depth=1
	s_or_b64 exec, exec, s[14:15]
	v_lshrrev_b16_e32 v42, 8, v40
	v_cmp_ne_u16_e32 vcc, 0, v42
	v_mov_b32_e32 v49, 0
	v_mov_b32_e32 v44, 0
	s_and_saveexec_b64 s[14:15], vcc
	s_cbranch_execz .LBB946_561
; %bb.556:                              ;   in Loop: Header=BB946_213 Depth=1
	v_cmp_ne_u16_e32 vcc, s9, v42
	v_mov_b32_e32 v44, 0xffff8000
	s_and_saveexec_b64 s[16:17], vcc
	s_cbranch_execz .LBB946_560
; %bb.557:                              ;   in Loop: Header=BB946_213 Depth=1
	v_and_b32_e32 v50, 0x7f, v42
	v_cmp_ne_u32_e32 vcc, s23, v50
	v_mov_b32_e32 v44, 0x7f80
	s_and_saveexec_b64 s[18:19], vcc
	s_cbranch_execz .LBB946_559
; %bb.558:                              ;   in Loop: Header=BB946_213 Depth=1
	v_and_b32_e32 v44, 7, v42
	v_ffbh_u32_e32 v52, v44
	v_min_u32_e32 v59, 32, v52
	v_subrev_u32_e32 v52, 28, v59
	v_lshlrev_b64 v[52:53], v52, v[42:43]
	v_lshrrev_b32_e32 v51, 3, v50
	v_sub_u32_e32 v42, 29, v59
	v_and_b32_e32 v52, 7, v52
	v_cmp_gt_u32_e32 vcc, 8, v50
	v_cndmask_b32_e32 v42, v51, v42, vcc
	v_cndmask_b32_e32 v44, v44, v52, vcc
	v_lshlrev_b32_e32 v50, 16, v40
	v_lshlrev_b32_e32 v44, 20, v44
	v_and_b32_e32 v50, 0x80000000, v50
	v_lshl_add_u32 v42, v42, 23, v48
	v_or3_b32 v42, v50, v42, v44
	v_lshrrev_b32_e32 v44, 16, v42
.LBB946_559:                            ;   in Loop: Header=BB946_213 Depth=1
	s_or_b64 exec, exec, s[18:19]
.LBB946_560:                            ;   in Loop: Header=BB946_213 Depth=1
	s_or_b64 exec, exec, s[16:17]
.LBB946_561:                            ;   in Loop: Header=BB946_213 Depth=1
	s_or_b64 exec, exec, s[14:15]
	v_lshrrev_b32_e32 v42, 16, v40
	v_cmp_ne_u16_sdwa s[16:17], v42, v47 src0_sel:BYTE_0 src1_sel:DWORD
	s_and_saveexec_b64 s[14:15], s[16:17]
	s_cbranch_execz .LBB946_567
; %bb.562:                              ;   in Loop: Header=BB946_213 Depth=1
	v_cmp_ne_u16_sdwa s[18:19], v42, s9 src0_sel:BYTE_0 src1_sel:DWORD
	v_mov_b32_e32 v49, 0xffff8000
	s_and_saveexec_b64 s[16:17], s[18:19]
	s_cbranch_execz .LBB946_566
; %bb.563:                              ;   in Loop: Header=BB946_213 Depth=1
	v_bfe_u32 v50, v40, 16, 7
	v_cmp_ne_u32_e32 vcc, s23, v50
	v_mov_b32_e32 v49, 0x7f80
	s_and_saveexec_b64 s[18:19], vcc
	s_cbranch_execz .LBB946_565
; %bb.564:                              ;   in Loop: Header=BB946_213 Depth=1
	v_and_b32_e32 v49, 7, v42
	v_ffbh_u32_e32 v52, v49
	v_min_u32_e32 v59, 32, v52
	v_subrev_u32_e32 v52, 28, v59
	v_lshlrev_b64 v[52:53], v52, v[42:43]
	v_lshrrev_b32_e32 v51, 3, v50
	v_sub_u32_e32 v53, 29, v59
	v_and_b32_e32 v52, 7, v52
	v_cmp_gt_u32_e32 vcc, 8, v50
	v_cndmask_b32_e32 v50, v51, v53, vcc
	v_cndmask_b32_e32 v49, v49, v52, vcc
	v_lshlrev_b32_e32 v42, 24, v42
	v_lshlrev_b32_e32 v49, 20, v49
	v_and_b32_e32 v42, 0x80000000, v42
	v_lshl_add_u32 v50, v50, 23, v48
	v_or3_b32 v42, v42, v50, v49
	v_lshrrev_b32_e32 v49, 16, v42
.LBB946_565:                            ;   in Loop: Header=BB946_213 Depth=1
	s_or_b64 exec, exec, s[18:19]
.LBB946_566:                            ;   in Loop: Header=BB946_213 Depth=1
	s_or_b64 exec, exec, s[16:17]
.LBB946_567:                            ;   in Loop: Header=BB946_213 Depth=1
	s_or_b64 exec, exec, s[14:15]
	v_cmp_lt_u32_e32 vcc, s26, v40
	v_mov_b32_e32 v50, 0
	v_mov_b32_e32 v51, 0
	s_and_saveexec_b64 s[14:15], vcc
	s_cbranch_execz .LBB946_573
; %bb.568:                              ;   in Loop: Header=BB946_213 Depth=1
	v_lshrrev_b32_e32 v42, 24, v40
	v_cmp_ne_u32_e32 vcc, s9, v42
	v_mov_b32_e32 v51, 0xffff8000
	s_and_saveexec_b64 s[16:17], vcc
	s_cbranch_execz .LBB946_572
; %bb.569:                              ;   in Loop: Header=BB946_213 Depth=1
	v_bfe_u32 v40, v40, 24, 7
	v_cmp_ne_u32_e32 vcc, s23, v40
	v_mov_b32_e32 v51, 0x7f80
	s_and_saveexec_b64 s[18:19], vcc
	s_cbranch_execz .LBB946_571
; %bb.570:                              ;   in Loop: Header=BB946_213 Depth=1
	v_and_b32_e32 v51, 7, v42
	v_ffbh_u32_e32 v52, v51
	v_min_u32_e32 v60, 32, v52
	v_subrev_u32_e32 v52, 28, v60
	v_lshlrev_b64 v[52:53], v52, v[42:43]
	v_lshrrev_b32_e32 v59, 3, v40
	v_sub_u32_e32 v53, 29, v60
	v_and_b32_e32 v52, 7, v52
	v_cmp_gt_u32_e32 vcc, 8, v40
	v_cndmask_b32_e32 v40, v59, v53, vcc
	v_cndmask_b32_e32 v51, v51, v52, vcc
	v_lshlrev_b32_e32 v42, 24, v42
	v_lshlrev_b32_e32 v51, 20, v51
	v_and_b32_e32 v42, 0x80000000, v42
	v_lshl_add_u32 v40, v40, 23, v48
	v_or3_b32 v40, v42, v40, v51
	v_lshrrev_b32_e32 v51, 16, v40
.LBB946_571:                            ;   in Loop: Header=BB946_213 Depth=1
	s_or_b64 exec, exec, s[18:19]
.LBB946_572:                            ;   in Loop: Header=BB946_213 Depth=1
	s_or_b64 exec, exec, s[16:17]
.LBB946_573:                            ;   in Loop: Header=BB946_213 Depth=1
	s_or_b64 exec, exec, s[14:15]
	s_waitcnt vmcnt(0)
	v_cmp_ne_u16_sdwa s[16:17], v38, v47 src0_sel:BYTE_0 src1_sel:DWORD
	s_and_saveexec_b64 s[14:15], s[16:17]
	s_cbranch_execz .LBB946_579
; %bb.574:                              ;   in Loop: Header=BB946_213 Depth=1
	v_cmp_ne_u16_sdwa s[18:19], v38, s9 src0_sel:BYTE_0 src1_sel:DWORD
	v_mov_b32_e32 v50, 0xffff8000
	s_and_saveexec_b64 s[16:17], s[18:19]
	s_cbranch_execz .LBB946_578
; %bb.575:                              ;   in Loop: Header=BB946_213 Depth=1
	v_and_b32_e32 v40, 0x7f, v38
	v_cmp_ne_u32_e32 vcc, s23, v40
	v_mov_b32_e32 v50, 0x7f80
	s_and_saveexec_b64 s[18:19], vcc
	s_cbranch_execz .LBB946_577
; %bb.576:                              ;   in Loop: Header=BB946_213 Depth=1
	v_and_b32_e32 v42, 7, v38
	v_ffbh_u32_e32 v52, v42
	v_min_u32_e32 v59, 32, v52
	v_subrev_u32_e32 v52, 28, v59
	v_lshlrev_b64 v[52:53], v52, v[38:39]
	v_lshrrev_b32_e32 v50, 3, v40
	v_sub_u32_e32 v53, 29, v59
	v_and_b32_e32 v52, 7, v52
	v_cmp_gt_u32_e32 vcc, 8, v40
	v_cndmask_b32_e32 v40, v50, v53, vcc
	v_cndmask_b32_e32 v42, v42, v52, vcc
	v_lshlrev_b32_e32 v50, 24, v38
	v_lshlrev_b32_e32 v42, 20, v42
	v_and_b32_e32 v50, 0x80000000, v50
	v_lshl_add_u32 v40, v40, 23, v48
	v_or3_b32 v40, v50, v40, v42
	v_lshrrev_b32_e32 v50, 16, v40
.LBB946_577:                            ;   in Loop: Header=BB946_213 Depth=1
	s_or_b64 exec, exec, s[18:19]
.LBB946_578:                            ;   in Loop: Header=BB946_213 Depth=1
	s_or_b64 exec, exec, s[16:17]
.LBB946_579:                            ;   in Loop: Header=BB946_213 Depth=1
	s_or_b64 exec, exec, s[14:15]
	v_lshrrev_b16_e32 v40, 8, v38
	v_cmp_ne_u16_e32 vcc, 0, v40
	v_mov_b32_e32 v52, 0
	v_mov_b32_e32 v42, 0
	s_and_saveexec_b64 s[14:15], vcc
	s_cbranch_execz .LBB946_585
; %bb.580:                              ;   in Loop: Header=BB946_213 Depth=1
	v_cmp_ne_u16_e32 vcc, s9, v40
	v_mov_b32_e32 v42, 0xffff8000
	s_and_saveexec_b64 s[16:17], vcc
	s_cbranch_execz .LBB946_584
; %bb.581:                              ;   in Loop: Header=BB946_213 Depth=1
	v_and_b32_e32 v53, 0x7f, v40
	v_cmp_ne_u32_e32 vcc, s23, v53
	v_mov_b32_e32 v42, 0x7f80
	s_and_saveexec_b64 s[18:19], vcc
	s_cbranch_execz .LBB946_583
; %bb.582:                              ;   in Loop: Header=BB946_213 Depth=1
	v_and_b32_e32 v42, 7, v40
	v_ffbh_u32_e32 v60, v42
	v_min_u32_e32 v62, 32, v60
	v_subrev_u32_e32 v60, 28, v62
	v_lshlrev_b64 v[60:61], v60, v[40:41]
	v_lshrrev_b32_e32 v59, 3, v53
	v_sub_u32_e32 v40, 29, v62
	v_and_b32_e32 v60, 7, v60
	v_cmp_gt_u32_e32 vcc, 8, v53
	v_cndmask_b32_e32 v40, v59, v40, vcc
	v_cndmask_b32_e32 v42, v42, v60, vcc
	v_lshlrev_b32_e32 v53, 16, v38
	v_lshlrev_b32_e32 v42, 20, v42
	v_and_b32_e32 v53, 0x80000000, v53
	v_lshl_add_u32 v40, v40, 23, v48
	v_or3_b32 v40, v53, v40, v42
	v_lshrrev_b32_e32 v42, 16, v40
.LBB946_583:                            ;   in Loop: Header=BB946_213 Depth=1
	s_or_b64 exec, exec, s[18:19]
.LBB946_584:                            ;   in Loop: Header=BB946_213 Depth=1
	s_or_b64 exec, exec, s[16:17]
.LBB946_585:                            ;   in Loop: Header=BB946_213 Depth=1
	s_or_b64 exec, exec, s[14:15]
	v_lshrrev_b32_e32 v40, 16, v38
	v_cmp_ne_u16_sdwa s[16:17], v40, v47 src0_sel:BYTE_0 src1_sel:DWORD
	s_and_saveexec_b64 s[14:15], s[16:17]
	s_cbranch_execz .LBB946_591
; %bb.586:                              ;   in Loop: Header=BB946_213 Depth=1
	v_cmp_ne_u16_sdwa s[18:19], v40, s9 src0_sel:BYTE_0 src1_sel:DWORD
	v_mov_b32_e32 v52, 0xffff8000
	s_and_saveexec_b64 s[16:17], s[18:19]
	s_cbranch_execz .LBB946_590
; %bb.587:                              ;   in Loop: Header=BB946_213 Depth=1
	v_bfe_u32 v53, v38, 16, 7
	v_cmp_ne_u32_e32 vcc, s23, v53
	v_mov_b32_e32 v52, 0x7f80
	s_and_saveexec_b64 s[18:19], vcc
	s_cbranch_execz .LBB946_589
; %bb.588:                              ;   in Loop: Header=BB946_213 Depth=1
	v_and_b32_e32 v52, 7, v40
	v_ffbh_u32_e32 v60, v52
	v_min_u32_e32 v62, 32, v60
	v_subrev_u32_e32 v60, 28, v62
	v_lshlrev_b64 v[60:61], v60, v[40:41]
	v_lshrrev_b32_e32 v59, 3, v53
	v_sub_u32_e32 v61, 29, v62
	v_and_b32_e32 v60, 7, v60
	v_cmp_gt_u32_e32 vcc, 8, v53
	v_cndmask_b32_e32 v53, v59, v61, vcc
	v_cndmask_b32_e32 v52, v52, v60, vcc
	v_lshlrev_b32_e32 v40, 24, v40
	v_lshlrev_b32_e32 v52, 20, v52
	v_and_b32_e32 v40, 0x80000000, v40
	v_lshl_add_u32 v53, v53, 23, v48
	v_or3_b32 v40, v40, v53, v52
	v_lshrrev_b32_e32 v52, 16, v40
.LBB946_589:                            ;   in Loop: Header=BB946_213 Depth=1
	s_or_b64 exec, exec, s[18:19]
.LBB946_590:                            ;   in Loop: Header=BB946_213 Depth=1
	s_or_b64 exec, exec, s[16:17]
.LBB946_591:                            ;   in Loop: Header=BB946_213 Depth=1
	s_or_b64 exec, exec, s[14:15]
	v_cmp_lt_u32_e32 vcc, s26, v38
	v_mov_b32_e32 v53, 0
	s_and_saveexec_b64 s[14:15], vcc
	s_cbranch_execz .LBB946_212
; %bb.592:                              ;   in Loop: Header=BB946_213 Depth=1
	v_lshrrev_b32_e32 v40, 24, v38
	v_cmp_ne_u32_e32 vcc, s9, v40
	v_mov_b32_e32 v53, 0xffff8000
	s_and_saveexec_b64 s[16:17], vcc
	s_cbranch_execz .LBB946_211
; %bb.593:                              ;   in Loop: Header=BB946_213 Depth=1
	v_bfe_u32 v38, v38, 24, 7
	v_cmp_ne_u32_e32 vcc, s23, v38
	v_mov_b32_e32 v53, 0x7f80
	s_and_saveexec_b64 s[18:19], vcc
	s_cbranch_execz .LBB946_210
; %bb.594:                              ;   in Loop: Header=BB946_213 Depth=1
	v_and_b32_e32 v53, 7, v40
	v_ffbh_u32_e32 v60, v53
	v_min_u32_e32 v62, 32, v60
	v_subrev_u32_e32 v60, 28, v62
	v_lshlrev_b64 v[60:61], v60, v[40:41]
	v_lshrrev_b32_e32 v59, 3, v38
	v_sub_u32_e32 v61, 29, v62
	v_and_b32_e32 v60, 7, v60
	v_cmp_gt_u32_e32 vcc, 8, v38
	v_cndmask_b32_e32 v38, v59, v61, vcc
	v_cndmask_b32_e32 v53, v53, v60, vcc
	v_lshlrev_b32_e32 v40, 24, v40
	v_lshlrev_b32_e32 v53, 20, v53
	v_and_b32_e32 v40, 0x80000000, v40
	v_lshl_add_u32 v38, v38, 23, v48
	v_or3_b32 v38, v40, v38, v53
	v_lshrrev_b32_e32 v53, 16, v38
	s_branch .LBB946_210
.LBB946_595:
	s_barrier
	buffer_load_dword v2, off, s[0:3], 0 offset:320
	buffer_load_dword v5, off, s[0:3], 0 offset:332
	;; [unrolled: 1-line block ×4, first 2 shown]
	v_cmp_gt_u32_e32 vcc, 64, v0
	s_waitcnt vmcnt(0)
	ds_write2st64_b64 v43, v[2:3], v[4:5] offset1:1
	s_waitcnt lgkmcnt(0)
	s_barrier
	s_and_saveexec_b64 s[6:7], vcc
	s_cbranch_execz .LBB946_598
; %bb.596:
	s_lshl_b32 s6, s50, 7
	s_mul_i32 s7, s20, s8
	s_mul_hi_u32 s11, s7, s6
	s_mul_i32 s10, s7, s6
	s_lshl_b64 s[10:11], s[10:11], 1
	v_lshlrev_b32_e32 v4, 6, v55
	s_add_u32 s7, s48, s10
	v_lshl_or_b32 v0, v0, 10, v4
	s_mov_b32 s9, 0
	s_addc_u32 s10, s49, s11
	s_lshl_b32 s8, s24, 7
	v_lshlrev_b32_e32 v2, 5, v1
	v_and_b32_e32 v3, 16, v56
	v_and_b32_e32 v0, 0x1a00, v0
	s_lshl_b64 s[8:9], s[8:9], 1
	v_or3_b32 v0, v0, v2, v3
	s_add_u32 s7, s7, s8
	s_addc_u32 s8, s10, s9
	ds_read_b128 v[4:7], v0
	v_add_u32_e32 v8, s25, v1
	v_mov_b32_e32 v3, s8
	v_add_co_u32_e32 v2, vcc, s7, v54
	v_mad_u64_u32 v[8:9], s[8:9], v8, s6, 0
	v_addc_co_u32_e32 v3, vcc, 0, v3, vcc
	v_lshlrev_b64 v[8:9], 1, v[8:9]
	v_add_co_u32_e32 v8, vcc, v2, v8
	v_addc_co_u32_e32 v9, vcc, v3, v9, vcc
	s_waitcnt lgkmcnt(0)
	global_store_dwordx4 v[8:9], v[4:7], off
	s_and_b64 exec, exec, s[4:5]
	s_cbranch_execz .LBB946_598
; %bb.597:
	ds_read_b128 v[4:7], v0 offset:128
	v_add3_u32 v0, s25, v1, 4
	v_mad_u64_u32 v[0:1], s[4:5], v0, s6, 0
	v_lshlrev_b64 v[0:1], 1, v[0:1]
	v_add_co_u32_e32 v0, vcc, v2, v0
	v_addc_co_u32_e32 v1, vcc, v3, v1, vcc
	s_waitcnt lgkmcnt(0)
	global_store_dwordx4 v[0:1], v[4:7], off
.LBB946_598:
	s_endpgm
	.section	.rodata,"a",@progbits
	.p2align	6, 0x0
	.amdhsa_kernel _Z39paged_attention_ll4mi_QKV_mfma16_kernelI14__hip_bfloat16hLN4vllm18Fp8KVCacheDataTypeE1ES0_Li32ELi128ELi256ELb0ELi5EL8MFMAType0EEvPKT_PKT0_S9_ifPKiSB_SB_iPKfiiiPfSE_PS4_PT2_iSD_SD_
		.amdhsa_group_segment_fixed_size 8192
		.amdhsa_private_segment_fixed_size 352
		.amdhsa_kernarg_size 400
		.amdhsa_user_sgpr_count 8
		.amdhsa_user_sgpr_private_segment_buffer 1
		.amdhsa_user_sgpr_dispatch_ptr 0
		.amdhsa_user_sgpr_queue_ptr 0
		.amdhsa_user_sgpr_kernarg_segment_ptr 1
		.amdhsa_user_sgpr_dispatch_id 0
		.amdhsa_user_sgpr_flat_scratch_init 1
		.amdhsa_user_sgpr_kernarg_preload_length 0
		.amdhsa_user_sgpr_kernarg_preload_offset 0
		.amdhsa_user_sgpr_private_segment_size 0
		.amdhsa_uses_dynamic_stack 0
		.amdhsa_system_sgpr_private_segment_wavefront_offset 1
		.amdhsa_system_sgpr_workgroup_id_x 1
		.amdhsa_system_sgpr_workgroup_id_y 1
		.amdhsa_system_sgpr_workgroup_id_z 1
		.amdhsa_system_sgpr_workgroup_info 0
		.amdhsa_system_vgpr_workitem_id 0
		.amdhsa_next_free_vgpr 78
		.amdhsa_next_free_sgpr 53
		.amdhsa_accum_offset 80
		.amdhsa_reserve_vcc 1
		.amdhsa_reserve_flat_scratch 0
		.amdhsa_float_round_mode_32 0
		.amdhsa_float_round_mode_16_64 0
		.amdhsa_float_denorm_mode_32 3
		.amdhsa_float_denorm_mode_16_64 3
		.amdhsa_dx10_clamp 1
		.amdhsa_ieee_mode 1
		.amdhsa_fp16_overflow 0
		.amdhsa_tg_split 0
		.amdhsa_exception_fp_ieee_invalid_op 0
		.amdhsa_exception_fp_denorm_src 0
		.amdhsa_exception_fp_ieee_div_zero 0
		.amdhsa_exception_fp_ieee_overflow 0
		.amdhsa_exception_fp_ieee_underflow 0
		.amdhsa_exception_fp_ieee_inexact 0
		.amdhsa_exception_int_div_zero 0
	.end_amdhsa_kernel
	.section	.text._Z39paged_attention_ll4mi_QKV_mfma16_kernelI14__hip_bfloat16hLN4vllm18Fp8KVCacheDataTypeE1ES0_Li32ELi128ELi256ELb0ELi5EL8MFMAType0EEvPKT_PKT0_S9_ifPKiSB_SB_iPKfiiiPfSE_PS4_PT2_iSD_SD_,"axG",@progbits,_Z39paged_attention_ll4mi_QKV_mfma16_kernelI14__hip_bfloat16hLN4vllm18Fp8KVCacheDataTypeE1ES0_Li32ELi128ELi256ELb0ELi5EL8MFMAType0EEvPKT_PKT0_S9_ifPKiSB_SB_iPKfiiiPfSE_PS4_PT2_iSD_SD_,comdat
.Lfunc_end946:
	.size	_Z39paged_attention_ll4mi_QKV_mfma16_kernelI14__hip_bfloat16hLN4vllm18Fp8KVCacheDataTypeE1ES0_Li32ELi128ELi256ELb0ELi5EL8MFMAType0EEvPKT_PKT0_S9_ifPKiSB_SB_iPKfiiiPfSE_PS4_PT2_iSD_SD_, .Lfunc_end946-_Z39paged_attention_ll4mi_QKV_mfma16_kernelI14__hip_bfloat16hLN4vllm18Fp8KVCacheDataTypeE1ES0_Li32ELi128ELi256ELb0ELi5EL8MFMAType0EEvPKT_PKT0_S9_ifPKiSB_SB_iPKfiiiPfSE_PS4_PT2_iSD_SD_
                                        ; -- End function
	.section	.AMDGPU.csdata,"",@progbits
; Kernel info:
; codeLenInByte = 22268
; NumSgprs: 57
; NumVgprs: 78
; NumAgprs: 0
; TotalNumVgprs: 78
; ScratchSize: 352
; MemoryBound: 0
; FloatMode: 240
; IeeeMode: 1
; LDSByteSize: 8192 bytes/workgroup (compile time only)
; SGPRBlocks: 7
; VGPRBlocks: 9
; NumSGPRsForWavesPerEU: 57
; NumVGPRsForWavesPerEU: 78
; AccumOffset: 80
; Occupancy: 6
; WaveLimiterHint : 1
; COMPUTE_PGM_RSRC2:SCRATCH_EN: 1
; COMPUTE_PGM_RSRC2:USER_SGPR: 8
; COMPUTE_PGM_RSRC2:TRAP_HANDLER: 0
; COMPUTE_PGM_RSRC2:TGID_X_EN: 1
; COMPUTE_PGM_RSRC2:TGID_Y_EN: 1
; COMPUTE_PGM_RSRC2:TGID_Z_EN: 1
; COMPUTE_PGM_RSRC2:TIDIG_COMP_CNT: 0
; COMPUTE_PGM_RSRC3_GFX90A:ACCUM_OFFSET: 19
; COMPUTE_PGM_RSRC3_GFX90A:TG_SPLIT: 0
	.section	.text._Z39paged_attention_ll4mi_QKV_mfma16_kernelI14__hip_bfloat16hLN4vllm18Fp8KVCacheDataTypeE1ES0_Li32ELi128ELi256ELb0ELi6EL8MFMAType0EEvPKT_PKT0_S9_ifPKiSB_SB_iPKfiiiPfSE_PS4_PT2_iSD_SD_,"axG",@progbits,_Z39paged_attention_ll4mi_QKV_mfma16_kernelI14__hip_bfloat16hLN4vllm18Fp8KVCacheDataTypeE1ES0_Li32ELi128ELi256ELb0ELi6EL8MFMAType0EEvPKT_PKT0_S9_ifPKiSB_SB_iPKfiiiPfSE_PS4_PT2_iSD_SD_,comdat
	.protected	_Z39paged_attention_ll4mi_QKV_mfma16_kernelI14__hip_bfloat16hLN4vllm18Fp8KVCacheDataTypeE1ES0_Li32ELi128ELi256ELb0ELi6EL8MFMAType0EEvPKT_PKT0_S9_ifPKiSB_SB_iPKfiiiPfSE_PS4_PT2_iSD_SD_ ; -- Begin function _Z39paged_attention_ll4mi_QKV_mfma16_kernelI14__hip_bfloat16hLN4vllm18Fp8KVCacheDataTypeE1ES0_Li32ELi128ELi256ELb0ELi6EL8MFMAType0EEvPKT_PKT0_S9_ifPKiSB_SB_iPKfiiiPfSE_PS4_PT2_iSD_SD_
	.globl	_Z39paged_attention_ll4mi_QKV_mfma16_kernelI14__hip_bfloat16hLN4vllm18Fp8KVCacheDataTypeE1ES0_Li32ELi128ELi256ELb0ELi6EL8MFMAType0EEvPKT_PKT0_S9_ifPKiSB_SB_iPKfiiiPfSE_PS4_PT2_iSD_SD_
	.p2align	8
	.type	_Z39paged_attention_ll4mi_QKV_mfma16_kernelI14__hip_bfloat16hLN4vllm18Fp8KVCacheDataTypeE1ES0_Li32ELi128ELi256ELb0ELi6EL8MFMAType0EEvPKT_PKT0_S9_ifPKiSB_SB_iPKfiiiPfSE_PS4_PT2_iSD_SD_,@function
_Z39paged_attention_ll4mi_QKV_mfma16_kernelI14__hip_bfloat16hLN4vllm18Fp8KVCacheDataTypeE1ES0_Li32ELi128ELi256ELb0ELi6EL8MFMAType0EEvPKT_PKT0_S9_ifPKiSB_SB_iPKfiiiPfSE_PS4_PT2_iSD_SD_: ; @_Z39paged_attention_ll4mi_QKV_mfma16_kernelI14__hip_bfloat16hLN4vllm18Fp8KVCacheDataTypeE1ES0_Li32ELi128ELi256ELb0ELi6EL8MFMAType0EEvPKT_PKT0_S9_ifPKiSB_SB_iPKfiiiPfSE_PS4_PT2_iSD_SD_
; %bb.0:
	s_load_dwordx2 s[6:7], s[4:5], 0x30
	s_add_u32 s0, s0, s11
	s_addc_u32 s1, s1, 0
	s_mov_b32 s24, s9
	s_mov_b64 s[12:13], 0
	s_waitcnt lgkmcnt(0)
	s_cmp_lg_u64 s[6:7], 0
	s_cselect_b64 s[16:17], -1, 0
	s_and_b64 vcc, exec, s[16:17]
	s_cbranch_vccz .LBB947_7
; %bb.1:
	s_add_i32 s14, s8, 1
	s_mov_b32 s15, 0
	s_lshl_b64 s[18:19], s[14:15], 2
	s_add_u32 s18, s6, s18
	s_mov_b32 s9, s15
	s_addc_u32 s19, s7, s19
	s_lshl_b64 s[14:15], s[8:9], 2
	s_add_u32 s14, s6, s14
	s_addc_u32 s15, s7, s15
	s_load_dword s11, s[18:19], 0x0
	s_load_dword s20, s[14:15], 0x0
	s_waitcnt lgkmcnt(0)
	s_sub_i32 s11, s11, s20
	s_cmp_eq_u32 s11, 1
	s_cselect_b64 s[14:15], -1, 0
	s_andn2_b64 vcc, exec, s[12:13]
	s_cbranch_vccnz .LBB947_3
.LBB947_2:
	s_mov_b32 s9, 0
	s_mov_b64 s[14:15], -1
.LBB947_3:
	s_andn2_b64 vcc, exec, s[14:15]
	s_cbranch_vccnz .LBB947_598
; %bb.4:
	s_load_dwordx2 s[12:13], s[4:5], 0x28
	s_lshl_b64 s[18:19], s[8:9], 2
	s_waitcnt lgkmcnt(0)
	s_add_u32 s12, s12, s18
	s_addc_u32 s13, s13, s19
	s_load_dword s33, s[12:13], 0x0
	s_lshl_b32 s20, s24, 8
	s_waitcnt lgkmcnt(0)
	s_cmp_ge_i32 s20, s33
	s_cbranch_scc1 .LBB947_598
; %bb.5:
	s_add_i32 s14, s33, 31
	s_load_dwordx2 s[12:13], s[4:5], 0x20
	s_load_dword s11, s[4:5], 0x38
	s_ashr_i32 s15, s14, 31
	v_and_b32_e32 v1, 0xcf, v0
	s_lshr_b32 s15, s15, 27
	v_add_u32_e32 v1, s20, v1
	s_add_i32 s14, s14, s15
	v_ashrrev_i32_e32 v2, 31, v1
	s_ashr_i32 s22, s14, 5
	v_lshrrev_b32_e32 v10, 27, v2
	s_add_i32 s22, s22, -1
	v_add_u32_e32 v2, v1, v10
	s_waitcnt lgkmcnt(0)
	s_mul_i32 s14, s8, s11
	s_mov_b32 s15, 0
	v_ashrrev_i32_e32 v2, 5, v2
	v_mov_b32_e32 v11, s22
	v_cmp_gt_i32_e32 vcc, s33, v1
	s_lshl_b64 s[14:15], s[14:15], 2
	v_cndmask_b32_e32 v2, v11, v2, vcc
	s_add_u32 s11, s12, s14
	v_ashrrev_i32_e32 v3, 31, v2
	s_addc_u32 s21, s13, s15
	v_lshlrev_b64 v[2:3], 2, v[2:3]
	v_mov_b32_e32 v5, s21
	v_add_co_u32_e32 v4, vcc, s11, v2
	v_or_b32_e32 v2, 16, v1
	v_addc_co_u32_e32 v5, vcc, v5, v3, vcc
	v_add_u32_e32 v3, v2, v10
	v_ashrrev_i32_e32 v3, 5, v3
	v_cmp_gt_i32_e32 vcc, s33, v2
	v_cndmask_b32_e32 v2, v11, v3, vcc
	v_ashrrev_i32_e32 v3, 31, v2
	v_lshlrev_b64 v[2:3], 2, v[2:3]
	v_mov_b32_e32 v7, s21
	v_add_co_u32_e32 v6, vcc, s11, v2
	v_or_b32_e32 v2, 32, v1
	v_addc_co_u32_e32 v7, vcc, v7, v3, vcc
	v_add_u32_e32 v3, v2, v10
	v_ashrrev_i32_e32 v3, 5, v3
	v_cmp_gt_i32_e32 vcc, s33, v2
	v_cndmask_b32_e32 v2, v11, v3, vcc
	v_ashrrev_i32_e32 v3, 31, v2
	;; [unrolled: 10-line block ×3, first 2 shown]
	v_lshlrev_b64 v[2:3], 2, v[2:3]
	v_mov_b32_e32 v1, s21
	v_add_co_u32_e32 v10, vcc, s11, v2
	v_addc_co_u32_e32 v11, vcc, v1, v3, vcc
	global_load_dword v2, v[4:5], off
	global_load_dword v13, v[6:7], off
	;; [unrolled: 1-line block ×4, first 2 shown]
	s_load_dwordx4 s[12:15], s[4:5], 0x8
	s_andn2_b64 vcc, exec, s[16:17]
	s_cbranch_vccnz .LBB947_8
; %bb.6:
	s_add_u32 s6, s6, s18
	s_addc_u32 s7, s7, s19
	s_load_dword s16, s[6:7], 0x0
	s_branch .LBB947_9
.LBB947_7:
	s_mov_b64 s[14:15], 0
	s_branch .LBB947_2
.LBB947_8:
	s_mov_b32 s16, s8
.LBB947_9:
	s_load_dwordx2 s[48:49], s[4:5], 0x68
	s_load_dwordx8 s[40:47], s[4:5], 0x48
	v_lshrrev_b32_e32 v62, 6, v0
	v_bfe_u32 v1, v0, 4, 2
	v_and_b32_e32 v55, 15, v0
	v_lshl_or_b32 v3, v62, 2, v1
	v_lshlrev_b32_e32 v4, 3, v55
	s_mul_i32 s25, s10, 6
	v_cmp_gt_u32_e32 vcc, 6, v3
	v_lshlrev_b32_e32 v54, 1, v4
	v_lshlrev_b32_e32 v56, 4, v0
	s_and_saveexec_b64 s[6:7], vcc
	s_cbranch_execz .LBB947_11
; %bb.10:
	s_load_dwordx2 s[18:19], s[4:5], 0x0
	s_waitcnt lgkmcnt(0)
	s_ashr_i32 s17, s40, 31
	s_mul_hi_u32 s23, s16, s40
	s_mul_i32 s17, s16, s17
	s_add_i32 s17, s23, s17
	s_mul_i32 s16, s16, s40
	s_lshl_b64 s[16:17], s[16:17], 1
	v_add_lshl_u32 v4, v3, s25, 7
	s_add_u32 s16, s18, s16
	v_ashrrev_i32_e32 v5, 31, v4
	s_addc_u32 s17, s19, s17
	v_lshlrev_b64 v[4:5], 1, v[4:5]
	v_mov_b32_e32 v6, s17
	v_add_co_u32_e32 v4, vcc, s16, v4
	v_addc_co_u32_e32 v5, vcc, v6, v5, vcc
	v_add_co_u32_e32 v4, vcc, v4, v54
	v_addc_co_u32_e32 v5, vcc, 0, v5, vcc
	global_load_dwordx4 v[4:7], v[4:5], off
	v_lshlrev_b32_e32 v9, 8, v0
	v_lshlrev_b32_e32 v8, 8, v55
	v_and_b32_e32 v9, 0x600, v9
	s_movk_i32 s16, 0x800
	v_and_or_b32 v8, v8, s16, v9
	v_lshlrev_b32_e32 v3, 5, v3
	v_and_b32_e32 v9, 16, v56
	v_or3_b32 v3, v8, v3, v9
	s_waitcnt vmcnt(0)
	ds_write_b128 v3, v[4:7]
.LBB947_11:
	s_or_b64 exec, exec, s[6:7]
	s_waitcnt lgkmcnt(0)
	s_mul_i32 s10, s10, s42
	s_add_u32 s6, s12, s10
	s_addc_u32 s7, s13, 0
	v_pk_mov_b32 v[22:23], s[6:7], s[6:7] op_sel:[0,1]
	s_waitcnt vmcnt(3)
	v_mad_i64_i32 v[2:3], s[6:7], v2, s41, v[22:23]
	v_lshlrev_b32_e32 v18, 4, v55
	v_and_b32_e32 v6, 48, v0
	v_add_co_u32_e32 v2, vcc, v2, v18
	v_lshlrev_b32_e32 v25, 5, v6
	v_addc_co_u32_e32 v3, vcc, 0, v3, vcc
	s_ashr_i32 s6, s20, 31
	v_add_co_u32_e32 v10, vcc, v2, v25
	v_or_b32_e32 v16, s20, v6
	s_lshr_b32 s6, s6, 27
	v_addc_co_u32_e32 v11, vcc, 0, v3, vcc
	v_add_u32_e32 v6, s6, v16
	v_ashrrev_i32_e32 v6, 5, v6
	v_mov_b32_e32 v17, s22
	v_cmp_gt_i32_e32 vcc, s33, v16
	v_cndmask_b32_e32 v6, v17, v6, vcc
	v_ashrrev_i32_e32 v7, 31, v6
	v_lshlrev_b64 v[6:7], 2, v[6:7]
	v_mov_b32_e32 v8, s21
	v_add_co_u32_e32 v6, vcc, s11, v6
	v_addc_co_u32_e32 v7, vcc, v8, v7, vcc
	v_or_b32_e32 v8, 64, v16
	v_add_u32_e32 v9, s6, v8
	v_ashrrev_i32_e32 v9, 5, v9
	v_cmp_gt_i32_e32 vcc, s33, v8
	v_cndmask_b32_e32 v8, v17, v9, vcc
	v_ashrrev_i32_e32 v9, 31, v8
	s_load_dwordx2 s[50:51], s[4:5], 0x94
	s_waitcnt lgkmcnt(0)
	s_barrier
	global_load_dwordx4 v[2:5], v[10:11], off
	v_lshlrev_b64 v[8:9], 2, v[8:9]
	v_mov_b32_e32 v14, s21
	v_add_co_u32_e32 v8, vcc, s11, v8
	v_addc_co_u32_e32 v9, vcc, v14, v9, vcc
	v_or_b32_e32 v14, 0x80, v16
	v_add_u32_e32 v15, s6, v14
	v_ashrrev_i32_e32 v15, 5, v15
	v_cmp_gt_i32_e32 vcc, s33, v14
	v_cndmask_b32_e32 v14, v17, v15, vcc
	v_ashrrev_i32_e32 v15, 31, v14
	v_lshlrev_b64 v[14:15], 2, v[14:15]
	v_mov_b32_e32 v19, s21
	v_add_co_u32_e32 v14, vcc, s11, v14
	v_addc_co_u32_e32 v15, vcc, v19, v15, vcc
	global_load_dword v50, v[6:7], off
	global_load_dword v57, v[8:9], off
	;; [unrolled: 1-line block ×3, first 2 shown]
	v_or_b32_e32 v6, 0xc0, v16
	v_add_u32_e32 v7, s6, v6
	v_ashrrev_i32_e32 v7, 5, v7
	v_cmp_gt_i32_e32 vcc, s33, v6
	v_cndmask_b32_e32 v6, v17, v7, vcc
	v_ashrrev_i32_e32 v7, 31, v6
	v_lshlrev_b64 v[6:7], 2, v[6:7]
	v_mov_b32_e32 v8, s21
	v_add_co_u32_e32 v14, vcc, s11, v6
	v_addc_co_u32_e32 v15, vcc, v8, v7, vcc
	global_load_dword v61, v[14:15], off
	global_load_dwordx4 v[6:9], v[10:11], off offset:2048
	s_waitcnt vmcnt(8)
	v_mad_i64_i32 v[10:11], s[6:7], v13, s41, v[22:23]
	v_or_b32_e32 v26, 0x100, v18
	v_add_co_u32_e32 v10, vcc, v10, v26
	v_addc_co_u32_e32 v11, vcc, 0, v11, vcc
	v_add_co_u32_e32 v10, vcc, v10, v25
	v_addc_co_u32_e32 v11, vcc, 0, v11, vcc
	global_load_dwordx4 v[14:17], v[10:11], off
	v_lshl_or_b32 v63, v62, 4, v55
	v_lshlrev_b32_e32 v53, 5, v63
	s_waitcnt vmcnt(6)
	buffer_store_dword v5, off, s[0:3], 0 offset:12
	buffer_store_dword v4, off, s[0:3], 0 offset:8
	v_mad_i64_i32 v[4:5], s[6:7], v12, s41, v[22:23]
	v_add_co_u32_e32 v4, vcc, v4, v18
	v_addc_co_u32_e32 v5, vcc, 0, v5, vcc
	v_add_co_u32_e32 v4, vcc, v4, v25
	v_addc_co_u32_e32 v5, vcc, 0, v5, vcc
	global_load_dwordx4 v[38:41], v[10:11], off offset:2048
	s_nop 0
	global_load_dwordx4 v[10:13], v[4:5], off
	global_load_dwordx4 v[18:21], v[4:5], off offset:2048
	v_mad_i64_i32 v[4:5], s[6:7], v24, s41, v[22:23]
	v_add_co_u32_e32 v4, vcc, v4, v26
	v_addc_co_u32_e32 v5, vcc, 0, v5, vcc
	v_add_co_u32_e32 v4, vcc, v4, v25
	v_addc_co_u32_e32 v5, vcc, 0, v5, vcc
	s_add_u32 s6, s14, s10
	global_load_dwordx4 v[26:29], v[4:5], off
	global_load_dwordx4 v[22:25], v[4:5], off offset:2048
	s_addc_u32 s7, s15, 0
	v_and_b32_e32 v4, 16, v0
	v_mov_b32_e32 v5, s7
	v_add_co_u32_e32 v51, vcc, s6, v4
	v_addc_co_u32_e32 v52, vcc, 0, v5, vcc
	v_add_co_u32_e32 v4, vcc, v51, v53
	v_addc_co_u32_e32 v5, vcc, 0, v52, vcc
	s_waitcnt vmcnt(12)
	v_mad_i64_i32 v[30:31], s[6:7], v50, s41, v[4:5]
	s_waitcnt vmcnt(11)
	v_mad_i64_i32 v[34:35], s[6:7], v57, s41, v[4:5]
	;; [unrolled: 2-line block ×3, first 2 shown]
	global_load_dwordx4 v[30:33], v[30:31], off
	s_waitcnt vmcnt(10)
	v_mad_i64_i32 v[4:5], s[6:7], v61, s41, v[4:5]
	global_load_dwordx4 v[34:37], v[34:35], off
	s_nop 0
	global_load_dwordx4 v[46:49], v[42:43], off
	s_nop 0
	global_load_dwordx4 v[42:45], v[4:5], off
	v_or_b32_e32 v4, 0x800, v53
	v_add_co_u32_e32 v4, vcc, v51, v4
	v_addc_co_u32_e32 v5, vcc, 0, v52, vcc
	v_mad_i64_i32 v[50:51], s[6:7], v50, s41, v[4:5]
	buffer_store_dword v3, off, s[0:3], 0 offset:4
	buffer_store_dword v2, off, s[0:3], 0
	v_mad_i64_i32 v[2:3], s[6:7], v60, s41, v[4:5]
	global_load_dwordx4 v[50:53], v[50:51], off
	v_mad_i64_i32 v[58:59], s[6:7], v57, s41, v[4:5]
	global_load_dwordx4 v[70:73], v[2:3], off
	v_mad_i64_i32 v[2:3], s[6:7], v61, s41, v[4:5]
	global_load_dwordx4 v[66:69], v[58:59], off
	global_load_dwordx4 v[74:77], v[2:3], off
	v_mov_b32_e32 v2, 0x80
	s_waitcnt vmcnt(18)
	buffer_store_dword v9, off, s[0:3], 0 offset:28
	buffer_store_dword v8, off, s[0:3], 0 offset:24
	;; [unrolled: 1-line block ×4, first 2 shown]
	s_waitcnt vmcnt(21)
	buffer_store_dword v17, off, s[0:3], 0 offset:44
	buffer_store_dword v16, off, s[0:3], 0 offset:40
	;; [unrolled: 1-line block ×4, first 2 shown]
	s_load_dword s6, s[4:5], 0x1c
	s_load_dwordx4 s[40:43], s[4:5], 0x80
	v_add_u32_e32 v57, 16, v2
	s_waitcnt vmcnt(22)
	buffer_store_dword v41, off, s[0:3], 0 offset:60
	buffer_store_dword v40, off, s[0:3], 0 offset:56
	;; [unrolled: 1-line block ×4, first 2 shown]
	v_add_u32_e32 v61, 32, v2
	v_add_u32_e32 v39, 48, v2
	;; [unrolled: 1-line block ×6, first 2 shown]
	v_mul_lo_u16_e32 v2, 43, v55
	v_mov_b32_e32 v3, 6
	v_mul_lo_u16_sdwa v2, v2, v3 dst_sel:DWORD dst_unused:UNUSED_PAD src0_sel:BYTE_1 src1_sel:DWORD
	v_sub_u16_e32 v2, v55, v2
	v_mov_b32_e32 v3, 5
	v_lshlrev_b32_sdwa v2, v3, v2 dst_sel:DWORD dst_unused:UNUSED_PAD src0_sel:DWORD src1_sel:BYTE_0
	s_waitcnt vmcnt(25)
	buffer_store_dword v13, off, s[0:3], 0 offset:76
	buffer_store_dword v12, off, s[0:3], 0 offset:72
	;; [unrolled: 1-line block ×4, first 2 shown]
	v_lshl_add_u32 v14, v1, 9, v2
	ds_read_b128 v[2:5], v14
	ds_read_b128 v[6:9], v14 offset:16
	ds_read_b128 v[10:13], v14 offset:2048
	;; [unrolled: 1-line block ×3, first 2 shown]
	s_waitcnt vmcnt(28)
	buffer_store_dword v21, off, s[0:3], 0 offset:92
	buffer_store_dword v20, off, s[0:3], 0 offset:88
	buffer_store_dword v19, off, s[0:3], 0 offset:84
	buffer_store_dword v18, off, s[0:3], 0 offset:80
	s_waitcnt vmcnt(31)
	buffer_store_dword v29, off, s[0:3], 0 offset:108
	buffer_store_dword v28, off, s[0:3], 0 offset:104
	buffer_store_dword v27, off, s[0:3], 0 offset:100
	buffer_store_dword v26, off, s[0:3], 0 offset:96
	;; [unrolled: 5-line block ×9, first 2 shown]
	buffer_store_dword v73, off, s[0:3], 0 offset:220
	buffer_store_dword v72, off, s[0:3], 0 offset:216
	;; [unrolled: 1-line block ×4, first 2 shown]
	s_waitcnt vmcnt(56)
	buffer_store_dword v77, off, s[0:3], 0 offset:252
	s_waitcnt lgkmcnt(0)
	s_load_dword s4, s[40:41], 0x0
	v_mov_b32_e32 v18, s6
	v_and_b32_e32 v64, 63, v0
	s_mov_b32 s12, 0
	s_movk_i32 s13, 0x80
	s_waitcnt lgkmcnt(0)
	v_mul_f32_e32 v22, s4, v18
	v_mov_b32_e32 v24, v22
	v_mov_b32_e32 v25, v22
	;; [unrolled: 1-line block ×3, first 2 shown]
	s_movk_i32 s14, 0x7f
	s_mov_b32 s15, 0xffffff
	s_mov_b32 s16, 0x5040100
	v_mov_b32_e32 v29, 0x100
	v_mov_b32_e32 v31, 0
	v_bfrev_b32_e32 v33, 60
	buffer_store_dword v76, off, s[0:3], 0 offset:248
	buffer_store_dword v75, off, s[0:3], 0 offset:244
	buffer_store_dword v74, off, s[0:3], 0 offset:240
	s_branch .LBB947_15
.LBB947_12:                             ;   in Loop: Header=BB947_15 Depth=1
	s_or_b64 exec, exec, s[10:11]
.LBB947_13:                             ;   in Loop: Header=BB947_15 Depth=1
	s_or_b64 exec, exec, s[6:7]
.LBB947_14:                             ;   in Loop: Header=BB947_15 Depth=1
	s_or_b64 exec, exec, s[4:5]
	v_perm_b32 v43, v36, v32, s16
	v_perm_b32 v42, v23, v34, s16
	;; [unrolled: 1-line block ×4, first 2 shown]
	v_add_u32_e32 v26, s12, v29
	v_mfma_f32_16x16x16bf16_1k v[18:21], v[42:43], v[14:15], v[18:21]
	s_add_i32 s12, s12, 16
	v_mov_b32_e32 v23, v22
	s_cmp_eq_u32 s12, 64
	v_add_u32_e32 v27, 32, v27
	v_mfma_f32_16x16x16bf16_1k v[18:21], v[36:37], v[16:17], v[18:21]
	s_nop 7
	s_nop 2
	v_pk_mul_f32 v[18:19], v[24:25], v[18:19]
	v_pk_mul_f32 v[20:21], v[22:23], v[20:21]
	buffer_store_dword v19, v26, s[0:3], 0 offen offset:4
	buffer_store_dword v18, v26, s[0:3], 0 offen
	buffer_store_dword v21, v26, s[0:3], 0 offen offset:12
	buffer_store_dword v20, v26, s[0:3], 0 offen offset:8
	s_cbranch_scc1 .LBB947_205
.LBB947_15:                             ; =>This Inner Loop Header: Depth=1
	buffer_load_dword v20, v27, s[0:3], 0 offen
	buffer_load_dword v18, v27, s[0:3], 0 offen offset:4
	buffer_load_dword v28, v27, s[0:3], 0 offen offset:8
	;; [unrolled: 1-line block ×3, first 2 shown]
	v_mov_b32_e32 v19, 0
	s_waitcnt vmcnt(3)
	v_cmp_ne_u16_sdwa s[6:7], v20, v31 src0_sel:BYTE_0 src1_sel:DWORD
	s_and_saveexec_b64 s[4:5], s[6:7]
	s_cbranch_execz .LBB947_21
; %bb.16:                               ;   in Loop: Header=BB947_15 Depth=1
	v_cmp_ne_u16_sdwa s[10:11], v20, s13 src0_sel:BYTE_0 src1_sel:DWORD
	v_mov_b32_e32 v19, 0xffff8000
	s_and_saveexec_b64 s[6:7], s[10:11]
	s_cbranch_execz .LBB947_20
; %bb.17:                               ;   in Loop: Header=BB947_15 Depth=1
	v_and_b32_e32 v21, 0x7f, v20
	v_cmp_ne_u32_e32 vcc, s14, v21
	v_mov_b32_e32 v19, 0x7f80
	s_and_saveexec_b64 s[10:11], vcc
	s_cbranch_execz .LBB947_19
; %bb.18:                               ;   in Loop: Header=BB947_15 Depth=1
	v_and_b32_e32 v19, 7, v20
	v_ffbh_u32_e32 v30, v19
	v_min_u32_e32 v30, 32, v30
	v_subrev_u32_e32 v32, 28, v30
	v_lshlrev_b64 v[34:35], v32, v[20:21]
	v_lshrrev_b32_e32 v23, 3, v21
	v_sub_u32_e32 v30, 29, v30
	v_and_b32_e32 v32, 7, v34
	v_cmp_gt_u32_e32 vcc, 8, v21
	v_cndmask_b32_e32 v21, v23, v30, vcc
	v_cndmask_b32_e32 v19, v19, v32, vcc
	v_lshlrev_b32_e32 v23, 24, v20
	v_lshlrev_b32_e32 v19, 20, v19
	v_and_b32_e32 v23, 0x80000000, v23
	v_lshl_add_u32 v21, v21, 23, v33
	v_or3_b32 v19, v23, v21, v19
	v_lshrrev_b32_e32 v19, 16, v19
.LBB947_19:                             ;   in Loop: Header=BB947_15 Depth=1
	s_or_b64 exec, exec, s[10:11]
.LBB947_20:                             ;   in Loop: Header=BB947_15 Depth=1
	s_or_b64 exec, exec, s[6:7]
.LBB947_21:                             ;   in Loop: Header=BB947_15 Depth=1
	s_or_b64 exec, exec, s[4:5]
	v_lshrrev_b16_e32 v30, 8, v20
	v_cmp_ne_u16_e32 vcc, 0, v30
	v_mov_b32_e32 v23, 0
	v_mov_b32_e32 v21, 0
	s_and_saveexec_b64 s[4:5], vcc
	s_cbranch_execz .LBB947_27
; %bb.22:                               ;   in Loop: Header=BB947_15 Depth=1
	v_cmp_ne_u16_e32 vcc, s13, v30
	v_mov_b32_e32 v21, 0xffff8000
	s_and_saveexec_b64 s[6:7], vcc
	s_cbranch_execz .LBB947_26
; %bb.23:                               ;   in Loop: Header=BB947_15 Depth=1
	v_and_b32_e32 v32, 0x7f, v30
	v_cmp_ne_u32_e32 vcc, s14, v32
	v_mov_b32_e32 v21, 0x7f80
	s_and_saveexec_b64 s[10:11], vcc
	s_cbranch_execz .LBB947_25
; %bb.24:                               ;   in Loop: Header=BB947_15 Depth=1
	v_and_b32_e32 v21, 7, v30
	v_ffbh_u32_e32 v34, v21
	v_min_u32_e32 v37, 32, v34
	v_subrev_u32_e32 v34, 28, v37
	v_lshlrev_b64 v[34:35], v34, v[30:31]
	v_lshrrev_b32_e32 v36, 3, v32
	v_sub_u32_e32 v30, 29, v37
	v_and_b32_e32 v34, 7, v34
	v_cmp_gt_u32_e32 vcc, 8, v32
	v_cndmask_b32_e32 v30, v36, v30, vcc
	v_cndmask_b32_e32 v21, v21, v34, vcc
	v_lshlrev_b32_e32 v32, 16, v20
	v_lshlrev_b32_e32 v21, 20, v21
	v_and_b32_e32 v32, 0x80000000, v32
	v_lshl_add_u32 v30, v30, 23, v33
	v_or3_b32 v21, v32, v30, v21
	v_lshrrev_b32_e32 v21, 16, v21
.LBB947_25:                             ;   in Loop: Header=BB947_15 Depth=1
	s_or_b64 exec, exec, s[10:11]
.LBB947_26:                             ;   in Loop: Header=BB947_15 Depth=1
	s_or_b64 exec, exec, s[6:7]
.LBB947_27:                             ;   in Loop: Header=BB947_15 Depth=1
	s_or_b64 exec, exec, s[4:5]
	v_lshrrev_b32_e32 v30, 16, v20
	v_cmp_ne_u16_sdwa s[6:7], v30, v31 src0_sel:BYTE_0 src1_sel:DWORD
	s_and_saveexec_b64 s[4:5], s[6:7]
	s_cbranch_execz .LBB947_33
; %bb.28:                               ;   in Loop: Header=BB947_15 Depth=1
	v_cmp_ne_u16_sdwa s[10:11], v30, s13 src0_sel:BYTE_0 src1_sel:DWORD
	v_mov_b32_e32 v23, 0xffff8000
	s_and_saveexec_b64 s[6:7], s[10:11]
	s_cbranch_execz .LBB947_32
; %bb.29:                               ;   in Loop: Header=BB947_15 Depth=1
	v_bfe_u32 v32, v20, 16, 7
	v_cmp_ne_u32_e32 vcc, s14, v32
	v_mov_b32_e32 v23, 0x7f80
	s_and_saveexec_b64 s[10:11], vcc
	s_cbranch_execz .LBB947_31
; %bb.30:                               ;   in Loop: Header=BB947_15 Depth=1
	v_and_b32_e32 v23, 7, v30
	v_ffbh_u32_e32 v34, v23
	v_min_u32_e32 v37, 32, v34
	v_subrev_u32_e32 v34, 28, v37
	v_lshlrev_b64 v[34:35], v34, v[30:31]
	v_lshrrev_b32_e32 v36, 3, v32
	v_sub_u32_e32 v35, 29, v37
	v_and_b32_e32 v34, 7, v34
	v_cmp_gt_u32_e32 vcc, 8, v32
	v_cndmask_b32_e32 v32, v36, v35, vcc
	v_cndmask_b32_e32 v23, v23, v34, vcc
	v_lshlrev_b32_e32 v30, 24, v30
	v_lshlrev_b32_e32 v23, 20, v23
	v_and_b32_e32 v30, 0x80000000, v30
	v_lshl_add_u32 v32, v32, 23, v33
	v_or3_b32 v23, v30, v32, v23
	v_lshrrev_b32_e32 v23, 16, v23
.LBB947_31:                             ;   in Loop: Header=BB947_15 Depth=1
	s_or_b64 exec, exec, s[10:11]
.LBB947_32:                             ;   in Loop: Header=BB947_15 Depth=1
	s_or_b64 exec, exec, s[6:7]
.LBB947_33:                             ;   in Loop: Header=BB947_15 Depth=1
	s_or_b64 exec, exec, s[4:5]
	v_cmp_lt_u32_e32 vcc, s15, v20
	v_mov_b32_e32 v34, 0
	v_mov_b32_e32 v35, 0
	s_and_saveexec_b64 s[4:5], vcc
	s_cbranch_execz .LBB947_39
; %bb.34:                               ;   in Loop: Header=BB947_15 Depth=1
	v_lshrrev_b32_e32 v30, 24, v20
	v_cmp_ne_u32_e32 vcc, s13, v30
	v_mov_b32_e32 v35, 0xffff8000
	s_and_saveexec_b64 s[6:7], vcc
	s_cbranch_execz .LBB947_38
; %bb.35:                               ;   in Loop: Header=BB947_15 Depth=1
	v_bfe_u32 v20, v20, 24, 7
	v_cmp_ne_u32_e32 vcc, s14, v20
	v_mov_b32_e32 v35, 0x7f80
	s_and_saveexec_b64 s[10:11], vcc
	s_cbranch_execz .LBB947_37
; %bb.36:                               ;   in Loop: Header=BB947_15 Depth=1
	v_and_b32_e32 v32, 7, v30
	v_ffbh_u32_e32 v36, v32
	v_min_u32_e32 v38, 32, v36
	v_subrev_u32_e32 v36, 28, v38
	v_lshlrev_b64 v[36:37], v36, v[30:31]
	v_lshrrev_b32_e32 v35, 3, v20
	v_sub_u32_e32 v37, 29, v38
	v_and_b32_e32 v36, 7, v36
	v_cmp_gt_u32_e32 vcc, 8, v20
	v_cndmask_b32_e32 v20, v35, v37, vcc
	v_cndmask_b32_e32 v32, v32, v36, vcc
	v_lshlrev_b32_e32 v30, 24, v30
	v_lshlrev_b32_e32 v32, 20, v32
	v_and_b32_e32 v30, 0x80000000, v30
	v_lshl_add_u32 v20, v20, 23, v33
	v_or3_b32 v20, v30, v20, v32
	v_lshrrev_b32_e32 v35, 16, v20
.LBB947_37:                             ;   in Loop: Header=BB947_15 Depth=1
	s_or_b64 exec, exec, s[10:11]
.LBB947_38:                             ;   in Loop: Header=BB947_15 Depth=1
	s_or_b64 exec, exec, s[6:7]
.LBB947_39:                             ;   in Loop: Header=BB947_15 Depth=1
	s_or_b64 exec, exec, s[4:5]
	s_waitcnt vmcnt(2)
	v_cmp_ne_u16_sdwa s[6:7], v18, v31 src0_sel:BYTE_0 src1_sel:DWORD
	s_and_saveexec_b64 s[4:5], s[6:7]
	s_cbranch_execz .LBB947_45
; %bb.40:                               ;   in Loop: Header=BB947_15 Depth=1
	v_cmp_ne_u16_sdwa s[10:11], v18, s13 src0_sel:BYTE_0 src1_sel:DWORD
	v_mov_b32_e32 v34, 0xffff8000
	s_and_saveexec_b64 s[6:7], s[10:11]
	s_cbranch_execz .LBB947_44
; %bb.41:                               ;   in Loop: Header=BB947_15 Depth=1
	v_and_b32_e32 v20, 0x7f, v18
	v_cmp_ne_u32_e32 vcc, s14, v20
	v_mov_b32_e32 v34, 0x7f80
	s_and_saveexec_b64 s[10:11], vcc
	s_cbranch_execz .LBB947_43
; %bb.42:                               ;   in Loop: Header=BB947_15 Depth=1
	v_and_b32_e32 v30, 7, v18
	v_ffbh_u32_e32 v34, v30
	v_min_u32_e32 v34, 32, v34
	v_subrev_u32_e32 v36, 28, v34
	v_lshlrev_b64 v[36:37], v36, v[18:19]
	v_lshrrev_b32_e32 v32, 3, v20
	v_sub_u32_e32 v34, 29, v34
	v_and_b32_e32 v36, 7, v36
	v_cmp_gt_u32_e32 vcc, 8, v20
	v_cndmask_b32_e32 v20, v32, v34, vcc
	v_cndmask_b32_e32 v30, v30, v36, vcc
	v_lshlrev_b32_e32 v32, 24, v18
	v_lshlrev_b32_e32 v30, 20, v30
	v_and_b32_e32 v32, 0x80000000, v32
	v_lshl_add_u32 v20, v20, 23, v33
	v_or3_b32 v20, v32, v20, v30
	v_lshrrev_b32_e32 v34, 16, v20
.LBB947_43:                             ;   in Loop: Header=BB947_15 Depth=1
	s_or_b64 exec, exec, s[10:11]
.LBB947_44:                             ;   in Loop: Header=BB947_15 Depth=1
	s_or_b64 exec, exec, s[6:7]
.LBB947_45:                             ;   in Loop: Header=BB947_15 Depth=1
	s_or_b64 exec, exec, s[4:5]
	v_lshrrev_b16_e32 v20, 8, v18
	v_cmp_ne_u16_e32 vcc, 0, v20
	v_mov_b32_e32 v36, 0
	v_mov_b32_e32 v30, 0
	s_and_saveexec_b64 s[4:5], vcc
	s_cbranch_execz .LBB947_51
; %bb.46:                               ;   in Loop: Header=BB947_15 Depth=1
	v_cmp_ne_u16_e32 vcc, s13, v20
	v_mov_b32_e32 v30, 0xffff8000
	s_and_saveexec_b64 s[6:7], vcc
	s_cbranch_execz .LBB947_50
; %bb.47:                               ;   in Loop: Header=BB947_15 Depth=1
	v_and_b32_e32 v32, 0x7f, v20
	v_cmp_ne_u32_e32 vcc, s14, v32
	v_mov_b32_e32 v30, 0x7f80
	s_and_saveexec_b64 s[10:11], vcc
	s_cbranch_execz .LBB947_49
; %bb.48:                               ;   in Loop: Header=BB947_15 Depth=1
	v_and_b32_e32 v30, 7, v20
	v_ffbh_u32_e32 v38, v30
	v_min_u32_e32 v38, 32, v38
	v_subrev_u32_e32 v40, 28, v38
	v_lshlrev_b64 v[42:43], v40, v[20:21]
	v_lshrrev_b32_e32 v37, 3, v32
	v_sub_u32_e32 v20, 29, v38
	v_and_b32_e32 v38, 7, v42
	v_cmp_gt_u32_e32 vcc, 8, v32
	v_cndmask_b32_e32 v20, v37, v20, vcc
	v_cndmask_b32_e32 v30, v30, v38, vcc
	v_lshlrev_b32_e32 v32, 16, v18
	v_lshlrev_b32_e32 v30, 20, v30
	v_and_b32_e32 v32, 0x80000000, v32
	v_lshl_add_u32 v20, v20, 23, v33
	v_or3_b32 v20, v32, v20, v30
	v_lshrrev_b32_e32 v30, 16, v20
.LBB947_49:                             ;   in Loop: Header=BB947_15 Depth=1
	s_or_b64 exec, exec, s[10:11]
.LBB947_50:                             ;   in Loop: Header=BB947_15 Depth=1
	s_or_b64 exec, exec, s[6:7]
.LBB947_51:                             ;   in Loop: Header=BB947_15 Depth=1
	s_or_b64 exec, exec, s[4:5]
	v_lshrrev_b32_e32 v20, 16, v18
	v_cmp_ne_u16_sdwa s[6:7], v20, v31 src0_sel:BYTE_0 src1_sel:DWORD
	s_and_saveexec_b64 s[4:5], s[6:7]
	s_cbranch_execz .LBB947_57
; %bb.52:                               ;   in Loop: Header=BB947_15 Depth=1
	v_cmp_ne_u16_sdwa s[10:11], v20, s13 src0_sel:BYTE_0 src1_sel:DWORD
	v_mov_b32_e32 v36, 0xffff8000
	s_and_saveexec_b64 s[6:7], s[10:11]
	s_cbranch_execz .LBB947_56
; %bb.53:                               ;   in Loop: Header=BB947_15 Depth=1
	v_bfe_u32 v32, v18, 16, 7
	v_cmp_ne_u32_e32 vcc, s14, v32
	v_mov_b32_e32 v36, 0x7f80
	s_and_saveexec_b64 s[10:11], vcc
	s_cbranch_execz .LBB947_55
; %bb.54:                               ;   in Loop: Header=BB947_15 Depth=1
	v_and_b32_e32 v38, 7, v20
	v_ffbh_u32_e32 v36, v38
	v_min_u32_e32 v42, 32, v36
	v_subrev_u32_e32 v36, 28, v42
	v_lshlrev_b64 v[36:37], v36, v[20:21]
	v_lshrrev_b32_e32 v40, 3, v32
	v_sub_u32_e32 v37, 29, v42
	v_and_b32_e32 v36, 7, v36
	v_cmp_gt_u32_e32 vcc, 8, v32
	v_cndmask_b32_e32 v32, v40, v37, vcc
	v_cndmask_b32_e32 v36, v38, v36, vcc
	v_lshlrev_b32_e32 v20, 24, v20
	v_lshlrev_b32_e32 v36, 20, v36
	v_and_b32_e32 v20, 0x80000000, v20
	v_lshl_add_u32 v32, v32, 23, v33
	v_or3_b32 v20, v20, v32, v36
	v_lshrrev_b32_e32 v36, 16, v20
.LBB947_55:                             ;   in Loop: Header=BB947_15 Depth=1
	s_or_b64 exec, exec, s[10:11]
.LBB947_56:                             ;   in Loop: Header=BB947_15 Depth=1
	s_or_b64 exec, exec, s[6:7]
.LBB947_57:                             ;   in Loop: Header=BB947_15 Depth=1
	s_or_b64 exec, exec, s[4:5]
	v_cmp_lt_u32_e32 vcc, s15, v18
	v_mov_b32_e32 v32, 0
	v_mov_b32_e32 v37, 0
	s_and_saveexec_b64 s[4:5], vcc
	s_cbranch_execz .LBB947_63
; %bb.58:                               ;   in Loop: Header=BB947_15 Depth=1
	v_lshrrev_b32_e32 v20, 24, v18
	v_cmp_ne_u32_e32 vcc, s13, v20
	v_mov_b32_e32 v37, 0xffff8000
	s_and_saveexec_b64 s[6:7], vcc
	s_cbranch_execz .LBB947_62
; %bb.59:                               ;   in Loop: Header=BB947_15 Depth=1
	v_bfe_u32 v18, v18, 24, 7
	v_cmp_ne_u32_e32 vcc, s14, v18
	v_mov_b32_e32 v37, 0x7f80
	s_and_saveexec_b64 s[10:11], vcc
	s_cbranch_execz .LBB947_61
; %bb.60:                               ;   in Loop: Header=BB947_15 Depth=1
	v_and_b32_e32 v37, 7, v20
	v_ffbh_u32_e32 v40, v37
	v_min_u32_e32 v40, 32, v40
	v_subrev_u32_e32 v42, 28, v40
	v_lshlrev_b64 v[42:43], v42, v[20:21]
	v_lshrrev_b32_e32 v38, 3, v18
	v_sub_u32_e32 v40, 29, v40
	v_and_b32_e32 v42, 7, v42
	v_cmp_gt_u32_e32 vcc, 8, v18
	v_cndmask_b32_e32 v18, v38, v40, vcc
	v_cndmask_b32_e32 v37, v37, v42, vcc
	v_lshlrev_b32_e32 v20, 24, v20
	v_lshlrev_b32_e32 v37, 20, v37
	v_and_b32_e32 v20, 0x80000000, v20
	v_lshl_add_u32 v18, v18, 23, v33
	v_or3_b32 v18, v20, v18, v37
	v_lshrrev_b32_e32 v37, 16, v18
.LBB947_61:                             ;   in Loop: Header=BB947_15 Depth=1
	s_or_b64 exec, exec, s[10:11]
.LBB947_62:                             ;   in Loop: Header=BB947_15 Depth=1
	s_or_b64 exec, exec, s[6:7]
.LBB947_63:                             ;   in Loop: Header=BB947_15 Depth=1
	s_or_b64 exec, exec, s[4:5]
	v_perm_b32 v43, v35, v23, s16
	v_perm_b32 v42, v21, v19, s16
	;; [unrolled: 1-line block ×4, first 2 shown]
	s_waitcnt vmcnt(1)
	v_cmp_ne_u16_sdwa s[6:7], v28, v31 src0_sel:BYTE_0 src1_sel:DWORD
	v_mfma_f32_16x16x16bf16_1k v[18:21], v[42:43], v[2:3], 0
	v_mfma_f32_16x16x16bf16_1k v[18:21], v[34:35], v[4:5], v[18:21]
	s_and_saveexec_b64 s[4:5], s[6:7]
	s_cbranch_execz .LBB947_69
; %bb.64:                               ;   in Loop: Header=BB947_15 Depth=1
	v_cmp_ne_u16_sdwa s[10:11], v28, s13 src0_sel:BYTE_0 src1_sel:DWORD
	v_mov_b32_e32 v32, 0xffff8000
	s_and_saveexec_b64 s[6:7], s[10:11]
	s_cbranch_execz .LBB947_68
; %bb.65:                               ;   in Loop: Header=BB947_15 Depth=1
	v_and_b32_e32 v23, 0x7f, v28
	v_cmp_ne_u32_e32 vcc, s14, v23
	v_mov_b32_e32 v32, 0x7f80
	s_and_saveexec_b64 s[10:11], vcc
	s_cbranch_execz .LBB947_67
; %bb.66:                               ;   in Loop: Header=BB947_15 Depth=1
	v_and_b32_e32 v30, 7, v28
	v_ffbh_u32_e32 v34, v30
	v_min_u32_e32 v36, 32, v34
	v_subrev_u32_e32 v34, 28, v36
	v_lshlrev_b64 v[34:35], v34, v[28:29]
	v_lshrrev_b32_e32 v32, 3, v23
	v_sub_u32_e32 v35, 29, v36
	v_and_b32_e32 v34, 7, v34
	v_cmp_gt_u32_e32 vcc, 8, v23
	v_cndmask_b32_e32 v23, v32, v35, vcc
	v_cndmask_b32_e32 v30, v30, v34, vcc
	v_lshlrev_b32_e32 v32, 24, v28
	v_lshlrev_b32_e32 v30, 20, v30
	v_and_b32_e32 v32, 0x80000000, v32
	v_lshl_add_u32 v23, v23, 23, v33
	v_or3_b32 v23, v32, v23, v30
	v_lshrrev_b32_e32 v32, 16, v23
.LBB947_67:                             ;   in Loop: Header=BB947_15 Depth=1
	s_or_b64 exec, exec, s[10:11]
.LBB947_68:                             ;   in Loop: Header=BB947_15 Depth=1
	s_or_b64 exec, exec, s[6:7]
.LBB947_69:                             ;   in Loop: Header=BB947_15 Depth=1
	s_or_b64 exec, exec, s[4:5]
	v_lshrrev_b16_e32 v30, 8, v28
	v_cmp_ne_u16_e32 vcc, 0, v30
	v_mov_b32_e32 v35, 0
	v_mov_b32_e32 v34, 0
	s_and_saveexec_b64 s[4:5], vcc
	s_cbranch_execz .LBB947_75
; %bb.70:                               ;   in Loop: Header=BB947_15 Depth=1
	v_cmp_ne_u16_e32 vcc, s13, v30
	v_mov_b32_e32 v34, 0xffff8000
	s_and_saveexec_b64 s[6:7], vcc
	s_cbranch_execz .LBB947_74
; %bb.71:                               ;   in Loop: Header=BB947_15 Depth=1
	v_and_b32_e32 v23, 0x7f, v30
	v_cmp_ne_u32_e32 vcc, s14, v23
	v_mov_b32_e32 v34, 0x7f80
	s_and_saveexec_b64 s[10:11], vcc
	s_cbranch_execz .LBB947_73
; %bb.72:                               ;   in Loop: Header=BB947_15 Depth=1
	v_and_b32_e32 v34, 7, v30
	v_ffbh_u32_e32 v36, v34
	v_min_u32_e32 v40, 32, v36
	v_subrev_u32_e32 v36, 28, v40
	v_lshlrev_b64 v[36:37], v36, v[30:31]
	v_lshrrev_b32_e32 v38, 3, v23
	v_sub_u32_e32 v30, 29, v40
	v_and_b32_e32 v36, 7, v36
	v_cmp_gt_u32_e32 vcc, 8, v23
	v_cndmask_b32_e32 v23, v38, v30, vcc
	v_cndmask_b32_e32 v30, v34, v36, vcc
	v_lshlrev_b32_e32 v34, 16, v28
	v_lshlrev_b32_e32 v30, 20, v30
	v_and_b32_e32 v34, 0x80000000, v34
	v_lshl_add_u32 v23, v23, 23, v33
	v_or3_b32 v23, v34, v23, v30
	v_lshrrev_b32_e32 v34, 16, v23
.LBB947_73:                             ;   in Loop: Header=BB947_15 Depth=1
	s_or_b64 exec, exec, s[10:11]
.LBB947_74:                             ;   in Loop: Header=BB947_15 Depth=1
	s_or_b64 exec, exec, s[6:7]
.LBB947_75:                             ;   in Loop: Header=BB947_15 Depth=1
	s_or_b64 exec, exec, s[4:5]
	v_lshrrev_b32_e32 v30, 16, v28
	v_cmp_ne_u16_sdwa s[6:7], v30, v31 src0_sel:BYTE_0 src1_sel:DWORD
	s_and_saveexec_b64 s[4:5], s[6:7]
	s_cbranch_execz .LBB947_81
; %bb.76:                               ;   in Loop: Header=BB947_15 Depth=1
	v_cmp_ne_u16_sdwa s[10:11], v30, s13 src0_sel:BYTE_0 src1_sel:DWORD
	v_mov_b32_e32 v35, 0xffff8000
	s_and_saveexec_b64 s[6:7], s[10:11]
	s_cbranch_execz .LBB947_80
; %bb.77:                               ;   in Loop: Header=BB947_15 Depth=1
	v_bfe_u32 v23, v28, 16, 7
	v_cmp_ne_u32_e32 vcc, s14, v23
	v_mov_b32_e32 v35, 0x7f80
	s_and_saveexec_b64 s[10:11], vcc
	s_cbranch_execz .LBB947_79
; %bb.78:                               ;   in Loop: Header=BB947_15 Depth=1
	v_and_b32_e32 v35, 7, v30
	v_ffbh_u32_e32 v36, v35
	v_min_u32_e32 v40, 32, v36
	v_subrev_u32_e32 v36, 28, v40
	v_lshlrev_b64 v[36:37], v36, v[30:31]
	v_lshrrev_b32_e32 v38, 3, v23
	v_sub_u32_e32 v37, 29, v40
	v_and_b32_e32 v36, 7, v36
	v_cmp_gt_u32_e32 vcc, 8, v23
	v_cndmask_b32_e32 v23, v38, v37, vcc
	v_cndmask_b32_e32 v35, v35, v36, vcc
	v_lshlrev_b32_e32 v30, 24, v30
	v_lshlrev_b32_e32 v35, 20, v35
	v_and_b32_e32 v30, 0x80000000, v30
	v_lshl_add_u32 v23, v23, 23, v33
	v_or3_b32 v23, v30, v23, v35
	v_lshrrev_b32_e32 v35, 16, v23
.LBB947_79:                             ;   in Loop: Header=BB947_15 Depth=1
	s_or_b64 exec, exec, s[10:11]
.LBB947_80:                             ;   in Loop: Header=BB947_15 Depth=1
	s_or_b64 exec, exec, s[6:7]
.LBB947_81:                             ;   in Loop: Header=BB947_15 Depth=1
	s_or_b64 exec, exec, s[4:5]
	v_cmp_lt_u32_e32 vcc, s15, v28
	v_mov_b32_e32 v36, 0
	v_mov_b32_e32 v37, 0
	s_and_saveexec_b64 s[4:5], vcc
	s_cbranch_execz .LBB947_87
; %bb.82:                               ;   in Loop: Header=BB947_15 Depth=1
	v_lshrrev_b32_e32 v30, 24, v28
	v_cmp_ne_u32_e32 vcc, s13, v30
	v_mov_b32_e32 v37, 0xffff8000
	s_and_saveexec_b64 s[6:7], vcc
	s_cbranch_execz .LBB947_86
; %bb.83:                               ;   in Loop: Header=BB947_15 Depth=1
	v_bfe_u32 v23, v28, 24, 7
	v_cmp_ne_u32_e32 vcc, s14, v23
	v_mov_b32_e32 v37, 0x7f80
	s_and_saveexec_b64 s[10:11], vcc
	s_cbranch_execz .LBB947_85
; %bb.84:                               ;   in Loop: Header=BB947_15 Depth=1
	v_and_b32_e32 v28, 7, v30
	v_ffbh_u32_e32 v38, v28
	v_min_u32_e32 v38, 32, v38
	v_subrev_u32_e32 v40, 28, v38
	v_lshlrev_b64 v[42:43], v40, v[30:31]
	v_lshrrev_b32_e32 v37, 3, v23
	v_sub_u32_e32 v38, 29, v38
	v_and_b32_e32 v40, 7, v42
	v_cmp_gt_u32_e32 vcc, 8, v23
	v_cndmask_b32_e32 v23, v37, v38, vcc
	v_cndmask_b32_e32 v28, v28, v40, vcc
	v_lshlrev_b32_e32 v30, 24, v30
	v_lshlrev_b32_e32 v28, 20, v28
	v_and_b32_e32 v30, 0x80000000, v30
	v_lshl_add_u32 v23, v23, 23, v33
	v_or3_b32 v23, v30, v23, v28
	v_lshrrev_b32_e32 v37, 16, v23
.LBB947_85:                             ;   in Loop: Header=BB947_15 Depth=1
	s_or_b64 exec, exec, s[10:11]
.LBB947_86:                             ;   in Loop: Header=BB947_15 Depth=1
	s_or_b64 exec, exec, s[6:7]
.LBB947_87:                             ;   in Loop: Header=BB947_15 Depth=1
	s_or_b64 exec, exec, s[4:5]
	s_waitcnt vmcnt(0)
	v_cmp_ne_u16_sdwa s[6:7], v26, v31 src0_sel:BYTE_0 src1_sel:DWORD
	s_and_saveexec_b64 s[4:5], s[6:7]
	s_cbranch_execz .LBB947_93
; %bb.88:                               ;   in Loop: Header=BB947_15 Depth=1
	v_cmp_ne_u16_sdwa s[10:11], v26, s13 src0_sel:BYTE_0 src1_sel:DWORD
	v_mov_b32_e32 v36, 0xffff8000
	s_and_saveexec_b64 s[6:7], s[10:11]
	s_cbranch_execz .LBB947_92
; %bb.89:                               ;   in Loop: Header=BB947_15 Depth=1
	v_and_b32_e32 v23, 0x7f, v26
	v_cmp_ne_u32_e32 vcc, s14, v23
	v_mov_b32_e32 v36, 0x7f80
	s_and_saveexec_b64 s[10:11], vcc
	s_cbranch_execz .LBB947_91
; %bb.90:                               ;   in Loop: Header=BB947_15 Depth=1
	v_and_b32_e32 v28, 7, v26
	v_ffbh_u32_e32 v36, v28
	v_min_u32_e32 v36, 32, v36
	v_subrev_u32_e32 v38, 28, v36
	v_lshlrev_b64 v[42:43], v38, v[26:27]
	v_lshrrev_b32_e32 v30, 3, v23
	v_sub_u32_e32 v36, 29, v36
	v_and_b32_e32 v38, 7, v42
	v_cmp_gt_u32_e32 vcc, 8, v23
	v_cndmask_b32_e32 v23, v30, v36, vcc
	v_cndmask_b32_e32 v28, v28, v38, vcc
	v_lshlrev_b32_e32 v30, 24, v26
	v_lshlrev_b32_e32 v28, 20, v28
	v_and_b32_e32 v30, 0x80000000, v30
	v_lshl_add_u32 v23, v23, 23, v33
	v_or3_b32 v23, v30, v23, v28
	v_lshrrev_b32_e32 v36, 16, v23
.LBB947_91:                             ;   in Loop: Header=BB947_15 Depth=1
	s_or_b64 exec, exec, s[10:11]
.LBB947_92:                             ;   in Loop: Header=BB947_15 Depth=1
	s_or_b64 exec, exec, s[6:7]
.LBB947_93:                             ;   in Loop: Header=BB947_15 Depth=1
	s_or_b64 exec, exec, s[4:5]
	v_lshrrev_b16_e32 v28, 8, v26
	v_cmp_ne_u16_e32 vcc, 0, v28
	v_mov_b32_e32 v40, 0
	v_mov_b32_e32 v38, 0
	s_and_saveexec_b64 s[4:5], vcc
	s_cbranch_execz .LBB947_99
; %bb.94:                               ;   in Loop: Header=BB947_15 Depth=1
	v_cmp_ne_u16_e32 vcc, s13, v28
	v_mov_b32_e32 v38, 0xffff8000
	s_and_saveexec_b64 s[6:7], vcc
	s_cbranch_execz .LBB947_98
; %bb.95:                               ;   in Loop: Header=BB947_15 Depth=1
	v_and_b32_e32 v23, 0x7f, v28
	v_cmp_ne_u32_e32 vcc, s14, v23
	v_mov_b32_e32 v38, 0x7f80
	s_and_saveexec_b64 s[10:11], vcc
	s_cbranch_execz .LBB947_97
; %bb.96:                               ;   in Loop: Header=BB947_15 Depth=1
	v_and_b32_e32 v30, 7, v28
	v_ffbh_u32_e32 v42, v30
	v_min_u32_e32 v44, 32, v42
	v_subrev_u32_e32 v42, 28, v44
	v_lshlrev_b64 v[42:43], v42, v[28:29]
	v_lshrrev_b32_e32 v38, 3, v23
	v_sub_u32_e32 v28, 29, v44
	v_and_b32_e32 v42, 7, v42
	v_cmp_gt_u32_e32 vcc, 8, v23
	v_cndmask_b32_e32 v23, v38, v28, vcc
	v_cndmask_b32_e32 v28, v30, v42, vcc
	v_lshlrev_b32_e32 v30, 16, v26
	v_lshlrev_b32_e32 v28, 20, v28
	v_and_b32_e32 v30, 0x80000000, v30
	v_lshl_add_u32 v23, v23, 23, v33
	v_or3_b32 v23, v30, v23, v28
	v_lshrrev_b32_e32 v38, 16, v23
.LBB947_97:                             ;   in Loop: Header=BB947_15 Depth=1
	s_or_b64 exec, exec, s[10:11]
.LBB947_98:                             ;   in Loop: Header=BB947_15 Depth=1
	s_or_b64 exec, exec, s[6:7]
.LBB947_99:                             ;   in Loop: Header=BB947_15 Depth=1
	s_or_b64 exec, exec, s[4:5]
	v_lshrrev_b32_e32 v28, 16, v26
	v_cmp_ne_u16_sdwa s[6:7], v28, v31 src0_sel:BYTE_0 src1_sel:DWORD
	s_and_saveexec_b64 s[4:5], s[6:7]
	s_cbranch_execz .LBB947_105
; %bb.100:                              ;   in Loop: Header=BB947_15 Depth=1
	v_cmp_ne_u16_sdwa s[10:11], v28, s13 src0_sel:BYTE_0 src1_sel:DWORD
	v_mov_b32_e32 v40, 0xffff8000
	s_and_saveexec_b64 s[6:7], s[10:11]
	s_cbranch_execz .LBB947_104
; %bb.101:                              ;   in Loop: Header=BB947_15 Depth=1
	v_bfe_u32 v23, v26, 16, 7
	v_cmp_ne_u32_e32 vcc, s14, v23
	v_mov_b32_e32 v40, 0x7f80
	s_and_saveexec_b64 s[10:11], vcc
	s_cbranch_execz .LBB947_103
; %bb.102:                              ;   in Loop: Header=BB947_15 Depth=1
	v_and_b32_e32 v30, 7, v28
	v_ffbh_u32_e32 v42, v30
	v_min_u32_e32 v44, 32, v42
	v_subrev_u32_e32 v42, 28, v44
	v_lshlrev_b64 v[42:43], v42, v[28:29]
	v_lshrrev_b32_e32 v40, 3, v23
	v_sub_u32_e32 v43, 29, v44
	v_and_b32_e32 v42, 7, v42
	v_cmp_gt_u32_e32 vcc, 8, v23
	v_cndmask_b32_e32 v23, v40, v43, vcc
	v_cndmask_b32_e32 v30, v30, v42, vcc
	v_lshlrev_b32_e32 v28, 24, v28
	v_lshlrev_b32_e32 v30, 20, v30
	v_and_b32_e32 v28, 0x80000000, v28
	v_lshl_add_u32 v23, v23, 23, v33
	v_or3_b32 v23, v28, v23, v30
	v_lshrrev_b32_e32 v40, 16, v23
.LBB947_103:                            ;   in Loop: Header=BB947_15 Depth=1
	s_or_b64 exec, exec, s[10:11]
.LBB947_104:                            ;   in Loop: Header=BB947_15 Depth=1
	s_or_b64 exec, exec, s[6:7]
.LBB947_105:                            ;   in Loop: Header=BB947_15 Depth=1
	s_or_b64 exec, exec, s[4:5]
	v_cmp_lt_u32_e32 vcc, s15, v26
	v_mov_b32_e32 v23, 0
	v_mov_b32_e32 v42, 0
	s_and_saveexec_b64 s[4:5], vcc
	s_cbranch_execz .LBB947_111
; %bb.106:                              ;   in Loop: Header=BB947_15 Depth=1
	v_lshrrev_b32_e32 v28, 24, v26
	v_cmp_ne_u32_e32 vcc, s13, v28
	v_mov_b32_e32 v42, 0xffff8000
	s_and_saveexec_b64 s[6:7], vcc
	s_cbranch_execz .LBB947_110
; %bb.107:                              ;   in Loop: Header=BB947_15 Depth=1
	v_bfe_u32 v26, v26, 24, 7
	v_cmp_ne_u32_e32 vcc, s14, v26
	v_mov_b32_e32 v42, 0x7f80
	s_and_saveexec_b64 s[10:11], vcc
	s_cbranch_execz .LBB947_109
; %bb.108:                              ;   in Loop: Header=BB947_15 Depth=1
	v_and_b32_e32 v30, 7, v28
	v_ffbh_u32_e32 v42, v30
	v_min_u32_e32 v45, 32, v42
	v_subrev_u32_e32 v42, 28, v45
	v_lshlrev_b64 v[42:43], v42, v[28:29]
	v_lshrrev_b32_e32 v44, 3, v26
	v_sub_u32_e32 v43, 29, v45
	v_and_b32_e32 v42, 7, v42
	v_cmp_gt_u32_e32 vcc, 8, v26
	v_cndmask_b32_e32 v26, v44, v43, vcc
	v_cndmask_b32_e32 v30, v30, v42, vcc
	v_lshlrev_b32_e32 v28, 24, v28
	v_lshlrev_b32_e32 v30, 20, v30
	v_and_b32_e32 v28, 0x80000000, v28
	v_lshl_add_u32 v26, v26, 23, v33
	v_or3_b32 v26, v28, v26, v30
	v_lshrrev_b32_e32 v42, 16, v26
.LBB947_109:                            ;   in Loop: Header=BB947_15 Depth=1
	s_or_b64 exec, exec, s[10:11]
.LBB947_110:                            ;   in Loop: Header=BB947_15 Depth=1
	s_or_b64 exec, exec, s[6:7]
.LBB947_111:                            ;   in Loop: Header=BB947_15 Depth=1
	s_or_b64 exec, exec, s[4:5]
	v_perm_b32 v34, v34, v32, s16
	buffer_load_dword v32, v27, s[0:3], 0 offen offset:16
	buffer_load_dword v30, v27, s[0:3], 0 offen offset:20
	buffer_load_dword v28, v27, s[0:3], 0 offen offset:24
	buffer_load_dword v26, v27, s[0:3], 0 offen offset:28
	v_perm_b32 v35, v37, v35, s16
	s_waitcnt vmcnt(3)
	v_cmp_ne_u16_sdwa s[6:7], v32, v31 src0_sel:BYTE_0 src1_sel:DWORD
	v_mfma_f32_16x16x16bf16_1k v[18:21], v[34:35], v[6:7], v[18:21]
	v_perm_b32 v35, v42, v40, s16
	v_perm_b32 v34, v38, v36, s16
	s_nop 1
	v_mfma_f32_16x16x16bf16_1k v[18:21], v[34:35], v[8:9], v[18:21]
	s_and_saveexec_b64 s[4:5], s[6:7]
	s_cbranch_execz .LBB947_117
; %bb.112:                              ;   in Loop: Header=BB947_15 Depth=1
	v_cmp_ne_u16_sdwa s[10:11], v32, s13 src0_sel:BYTE_0 src1_sel:DWORD
	v_mov_b32_e32 v23, 0xffff8000
	s_and_saveexec_b64 s[6:7], s[10:11]
	s_cbranch_execz .LBB947_116
; %bb.113:                              ;   in Loop: Header=BB947_15 Depth=1
	v_and_b32_e32 v34, 0x7f, v32
	v_cmp_ne_u32_e32 vcc, s14, v34
	v_mov_b32_e32 v23, 0x7f80
	s_and_saveexec_b64 s[10:11], vcc
	s_cbranch_execz .LBB947_115
; %bb.114:                              ;   in Loop: Header=BB947_15 Depth=1
	v_and_b32_e32 v23, 7, v32
	v_ffbh_u32_e32 v36, v23
	v_min_u32_e32 v38, 32, v36
	v_subrev_u32_e32 v36, 28, v38
	v_lshlrev_b64 v[36:37], v36, v[32:33]
	v_lshrrev_b32_e32 v35, 3, v34
	v_sub_u32_e32 v37, 29, v38
	v_and_b32_e32 v36, 7, v36
	v_cmp_gt_u32_e32 vcc, 8, v34
	v_cndmask_b32_e32 v34, v35, v37, vcc
	v_cndmask_b32_e32 v23, v23, v36, vcc
	v_lshlrev_b32_e32 v35, 24, v32
	v_lshlrev_b32_e32 v23, 20, v23
	v_and_b32_e32 v35, 0x80000000, v35
	v_lshl_add_u32 v34, v34, 23, v33
	v_or3_b32 v23, v35, v34, v23
	v_lshrrev_b32_e32 v23, 16, v23
.LBB947_115:                            ;   in Loop: Header=BB947_15 Depth=1
	s_or_b64 exec, exec, s[10:11]
.LBB947_116:                            ;   in Loop: Header=BB947_15 Depth=1
	s_or_b64 exec, exec, s[6:7]
.LBB947_117:                            ;   in Loop: Header=BB947_15 Depth=1
	s_or_b64 exec, exec, s[4:5]
	v_lshrrev_b16_e32 v34, 8, v32
	v_cmp_ne_u16_e32 vcc, 0, v34
	v_mov_b32_e32 v36, 0
	v_mov_b32_e32 v35, 0
	s_and_saveexec_b64 s[4:5], vcc
	s_cbranch_execz .LBB947_123
; %bb.118:                              ;   in Loop: Header=BB947_15 Depth=1
	v_cmp_ne_u16_e32 vcc, s13, v34
	v_mov_b32_e32 v35, 0xffff8000
	s_and_saveexec_b64 s[6:7], vcc
	s_cbranch_execz .LBB947_122
; %bb.119:                              ;   in Loop: Header=BB947_15 Depth=1
	v_and_b32_e32 v37, 0x7f, v34
	v_cmp_ne_u32_e32 vcc, s14, v37
	v_mov_b32_e32 v35, 0x7f80
	s_and_saveexec_b64 s[10:11], vcc
	s_cbranch_execz .LBB947_121
; %bb.120:                              ;   in Loop: Header=BB947_15 Depth=1
	v_and_b32_e32 v38, 7, v34
	v_ffbh_u32_e32 v35, v38
	v_min_u32_e32 v42, 32, v35
	v_subrev_u32_e32 v35, 28, v42
	v_lshlrev_b64 v[34:35], v35, v[34:35]
	v_lshrrev_b32_e32 v40, 3, v37
	v_sub_u32_e32 v35, 29, v42
	v_and_b32_e32 v34, 7, v34
	v_cmp_gt_u32_e32 vcc, 8, v37
	v_cndmask_b32_e32 v35, v40, v35, vcc
	v_cndmask_b32_e32 v34, v38, v34, vcc
	v_lshlrev_b32_e32 v37, 16, v32
	v_lshlrev_b32_e32 v34, 20, v34
	v_and_b32_e32 v37, 0x80000000, v37
	v_lshl_add_u32 v35, v35, 23, v33
	v_or3_b32 v34, v37, v35, v34
	v_lshrrev_b32_e32 v35, 16, v34
.LBB947_121:                            ;   in Loop: Header=BB947_15 Depth=1
	s_or_b64 exec, exec, s[10:11]
.LBB947_122:                            ;   in Loop: Header=BB947_15 Depth=1
	s_or_b64 exec, exec, s[6:7]
.LBB947_123:                            ;   in Loop: Header=BB947_15 Depth=1
	s_or_b64 exec, exec, s[4:5]
	v_lshrrev_b32_e32 v34, 16, v32
	v_cmp_ne_u16_sdwa s[6:7], v34, v31 src0_sel:BYTE_0 src1_sel:DWORD
	s_and_saveexec_b64 s[4:5], s[6:7]
	s_cbranch_execz .LBB947_129
; %bb.124:                              ;   in Loop: Header=BB947_15 Depth=1
	v_cmp_ne_u16_sdwa s[10:11], v34, s13 src0_sel:BYTE_0 src1_sel:DWORD
	v_mov_b32_e32 v36, 0xffff8000
	s_and_saveexec_b64 s[6:7], s[10:11]
	s_cbranch_execz .LBB947_128
; %bb.125:                              ;   in Loop: Header=BB947_15 Depth=1
	v_bfe_u32 v37, v32, 16, 7
	v_cmp_ne_u32_e32 vcc, s14, v37
	v_mov_b32_e32 v36, 0x7f80
	s_and_saveexec_b64 s[10:11], vcc
	s_cbranch_execz .LBB947_127
; %bb.126:                              ;   in Loop: Header=BB947_15 Depth=1
	v_and_b32_e32 v36, 7, v34
	v_ffbh_u32_e32 v40, v36
	v_min_u32_e32 v40, 32, v40
	v_subrev_u32_e32 v42, 28, v40
	v_lshlrev_b64 v[42:43], v42, v[34:35]
	v_lshrrev_b32_e32 v38, 3, v37
	v_sub_u32_e32 v40, 29, v40
	v_and_b32_e32 v42, 7, v42
	v_cmp_gt_u32_e32 vcc, 8, v37
	v_cndmask_b32_e32 v37, v38, v40, vcc
	v_cndmask_b32_e32 v36, v36, v42, vcc
	v_lshlrev_b32_e32 v34, 24, v34
	v_lshlrev_b32_e32 v36, 20, v36
	v_and_b32_e32 v34, 0x80000000, v34
	v_lshl_add_u32 v37, v37, 23, v33
	v_or3_b32 v34, v34, v37, v36
	v_lshrrev_b32_e32 v36, 16, v34
.LBB947_127:                            ;   in Loop: Header=BB947_15 Depth=1
	s_or_b64 exec, exec, s[10:11]
.LBB947_128:                            ;   in Loop: Header=BB947_15 Depth=1
	s_or_b64 exec, exec, s[6:7]
.LBB947_129:                            ;   in Loop: Header=BB947_15 Depth=1
	s_or_b64 exec, exec, s[4:5]
	v_cmp_lt_u32_e32 vcc, s15, v32
	v_mov_b32_e32 v37, 0
	v_mov_b32_e32 v38, 0
	s_and_saveexec_b64 s[4:5], vcc
	s_cbranch_execz .LBB947_135
; %bb.130:                              ;   in Loop: Header=BB947_15 Depth=1
	v_lshrrev_b32_e32 v34, 24, v32
	v_cmp_ne_u32_e32 vcc, s13, v34
	v_mov_b32_e32 v38, 0xffff8000
	s_and_saveexec_b64 s[6:7], vcc
	s_cbranch_execz .LBB947_134
; %bb.131:                              ;   in Loop: Header=BB947_15 Depth=1
	v_bfe_u32 v32, v32, 24, 7
	v_cmp_ne_u32_e32 vcc, s14, v32
	v_mov_b32_e32 v38, 0x7f80
	s_and_saveexec_b64 s[10:11], vcc
	s_cbranch_execz .LBB947_133
; %bb.132:                              ;   in Loop: Header=BB947_15 Depth=1
	v_and_b32_e32 v38, 7, v34
	v_ffbh_u32_e32 v42, v38
	v_min_u32_e32 v44, 32, v42
	v_subrev_u32_e32 v42, 28, v44
	v_lshlrev_b64 v[42:43], v42, v[34:35]
	v_lshrrev_b32_e32 v40, 3, v32
	v_sub_u32_e32 v43, 29, v44
	v_and_b32_e32 v42, 7, v42
	v_cmp_gt_u32_e32 vcc, 8, v32
	v_cndmask_b32_e32 v32, v40, v43, vcc
	v_cndmask_b32_e32 v38, v38, v42, vcc
	v_lshlrev_b32_e32 v34, 24, v34
	v_lshlrev_b32_e32 v38, 20, v38
	v_and_b32_e32 v34, 0x80000000, v34
	v_lshl_add_u32 v32, v32, 23, v33
	v_or3_b32 v32, v34, v32, v38
	v_lshrrev_b32_e32 v38, 16, v32
.LBB947_133:                            ;   in Loop: Header=BB947_15 Depth=1
	s_or_b64 exec, exec, s[10:11]
.LBB947_134:                            ;   in Loop: Header=BB947_15 Depth=1
	s_or_b64 exec, exec, s[6:7]
.LBB947_135:                            ;   in Loop: Header=BB947_15 Depth=1
	s_or_b64 exec, exec, s[4:5]
	s_waitcnt vmcnt(2)
	v_cmp_ne_u16_sdwa s[6:7], v30, v31 src0_sel:BYTE_0 src1_sel:DWORD
	s_and_saveexec_b64 s[4:5], s[6:7]
	s_cbranch_execz .LBB947_141
; %bb.136:                              ;   in Loop: Header=BB947_15 Depth=1
	v_cmp_ne_u16_sdwa s[10:11], v30, s13 src0_sel:BYTE_0 src1_sel:DWORD
	v_mov_b32_e32 v37, 0xffff8000
	s_and_saveexec_b64 s[6:7], s[10:11]
	s_cbranch_execz .LBB947_140
; %bb.137:                              ;   in Loop: Header=BB947_15 Depth=1
	v_and_b32_e32 v32, 0x7f, v30
	v_cmp_ne_u32_e32 vcc, s14, v32
	v_mov_b32_e32 v37, 0x7f80
	s_and_saveexec_b64 s[10:11], vcc
	s_cbranch_execz .LBB947_139
; %bb.138:                              ;   in Loop: Header=BB947_15 Depth=1
	v_and_b32_e32 v34, 7, v30
	v_ffbh_u32_e32 v40, v34
	v_min_u32_e32 v40, 32, v40
	v_subrev_u32_e32 v42, 28, v40
	v_lshlrev_b64 v[42:43], v42, v[30:31]
	v_lshrrev_b32_e32 v37, 3, v32
	v_sub_u32_e32 v40, 29, v40
	v_and_b32_e32 v42, 7, v42
	v_cmp_gt_u32_e32 vcc, 8, v32
	v_cndmask_b32_e32 v32, v37, v40, vcc
	v_cndmask_b32_e32 v34, v34, v42, vcc
	v_lshlrev_b32_e32 v37, 24, v30
	v_lshlrev_b32_e32 v34, 20, v34
	v_and_b32_e32 v37, 0x80000000, v37
	v_lshl_add_u32 v32, v32, 23, v33
	v_or3_b32 v32, v37, v32, v34
	v_lshrrev_b32_e32 v37, 16, v32
.LBB947_139:                            ;   in Loop: Header=BB947_15 Depth=1
	s_or_b64 exec, exec, s[10:11]
.LBB947_140:                            ;   in Loop: Header=BB947_15 Depth=1
	s_or_b64 exec, exec, s[6:7]
.LBB947_141:                            ;   in Loop: Header=BB947_15 Depth=1
	s_or_b64 exec, exec, s[4:5]
	v_lshrrev_b16_e32 v32, 8, v30
	v_cmp_ne_u16_e32 vcc, 0, v32
	v_mov_b32_e32 v42, 0
	v_mov_b32_e32 v40, 0
	s_and_saveexec_b64 s[4:5], vcc
	s_cbranch_execz .LBB947_147
; %bb.142:                              ;   in Loop: Header=BB947_15 Depth=1
	v_cmp_ne_u16_e32 vcc, s13, v32
	v_mov_b32_e32 v40, 0xffff8000
	s_and_saveexec_b64 s[6:7], vcc
	s_cbranch_execz .LBB947_146
; %bb.143:                              ;   in Loop: Header=BB947_15 Depth=1
	v_and_b32_e32 v34, 0x7f, v32
	v_cmp_ne_u32_e32 vcc, s14, v34
	v_mov_b32_e32 v40, 0x7f80
	s_and_saveexec_b64 s[10:11], vcc
	s_cbranch_execz .LBB947_145
; %bb.144:                              ;   in Loop: Header=BB947_15 Depth=1
	v_and_b32_e32 v40, 7, v32
	v_ffbh_u32_e32 v44, v40
	v_min_u32_e32 v46, 32, v44
	v_subrev_u32_e32 v44, 28, v46
	v_lshlrev_b64 v[44:45], v44, v[32:33]
	v_lshrrev_b32_e32 v43, 3, v34
	v_sub_u32_e32 v32, 29, v46
	v_and_b32_e32 v44, 7, v44
	v_cmp_gt_u32_e32 vcc, 8, v34
	v_cndmask_b32_e32 v32, v43, v32, vcc
	v_cndmask_b32_e32 v34, v40, v44, vcc
	v_lshlrev_b32_e32 v40, 16, v30
	v_lshlrev_b32_e32 v34, 20, v34
	v_and_b32_e32 v40, 0x80000000, v40
	v_lshl_add_u32 v32, v32, 23, v33
	v_or3_b32 v32, v40, v32, v34
	v_lshrrev_b32_e32 v40, 16, v32
.LBB947_145:                            ;   in Loop: Header=BB947_15 Depth=1
	s_or_b64 exec, exec, s[10:11]
.LBB947_146:                            ;   in Loop: Header=BB947_15 Depth=1
	s_or_b64 exec, exec, s[6:7]
.LBB947_147:                            ;   in Loop: Header=BB947_15 Depth=1
	s_or_b64 exec, exec, s[4:5]
	v_lshrrev_b32_e32 v32, 16, v30
	v_cmp_ne_u16_sdwa s[6:7], v32, v31 src0_sel:BYTE_0 src1_sel:DWORD
	s_and_saveexec_b64 s[4:5], s[6:7]
	s_cbranch_execz .LBB947_153
; %bb.148:                              ;   in Loop: Header=BB947_15 Depth=1
	v_cmp_ne_u16_sdwa s[10:11], v32, s13 src0_sel:BYTE_0 src1_sel:DWORD
	v_mov_b32_e32 v42, 0xffff8000
	s_and_saveexec_b64 s[6:7], s[10:11]
	s_cbranch_execz .LBB947_152
; %bb.149:                              ;   in Loop: Header=BB947_15 Depth=1
	v_bfe_u32 v34, v30, 16, 7
	v_cmp_ne_u32_e32 vcc, s14, v34
	v_mov_b32_e32 v42, 0x7f80
	s_and_saveexec_b64 s[10:11], vcc
	s_cbranch_execz .LBB947_151
; %bb.150:                              ;   in Loop: Header=BB947_15 Depth=1
	v_and_b32_e32 v44, 7, v32
	v_ffbh_u32_e32 v42, v44
	v_min_u32_e32 v46, 32, v42
	v_subrev_u32_e32 v42, 28, v46
	v_lshlrev_b64 v[42:43], v42, v[32:33]
	v_lshrrev_b32_e32 v45, 3, v34
	v_sub_u32_e32 v43, 29, v46
	v_and_b32_e32 v42, 7, v42
	v_cmp_gt_u32_e32 vcc, 8, v34
	v_cndmask_b32_e32 v34, v45, v43, vcc
	v_cndmask_b32_e32 v42, v44, v42, vcc
	v_lshlrev_b32_e32 v32, 24, v32
	v_lshlrev_b32_e32 v42, 20, v42
	v_and_b32_e32 v32, 0x80000000, v32
	v_lshl_add_u32 v34, v34, 23, v33
	v_or3_b32 v32, v32, v34, v42
	v_lshrrev_b32_e32 v42, 16, v32
.LBB947_151:                            ;   in Loop: Header=BB947_15 Depth=1
	s_or_b64 exec, exec, s[10:11]
.LBB947_152:                            ;   in Loop: Header=BB947_15 Depth=1
	s_or_b64 exec, exec, s[6:7]
.LBB947_153:                            ;   in Loop: Header=BB947_15 Depth=1
	s_or_b64 exec, exec, s[4:5]
	v_cmp_lt_u32_e32 vcc, s15, v30
	v_mov_b32_e32 v34, 0
	v_mov_b32_e32 v43, 0
	s_and_saveexec_b64 s[4:5], vcc
	s_cbranch_execz .LBB947_159
; %bb.154:                              ;   in Loop: Header=BB947_15 Depth=1
	v_lshrrev_b32_e32 v32, 24, v30
	v_cmp_ne_u32_e32 vcc, s13, v32
	v_mov_b32_e32 v43, 0xffff8000
	s_and_saveexec_b64 s[6:7], vcc
	s_cbranch_execz .LBB947_158
; %bb.155:                              ;   in Loop: Header=BB947_15 Depth=1
	v_bfe_u32 v30, v30, 24, 7
	v_cmp_ne_u32_e32 vcc, s14, v30
	v_mov_b32_e32 v43, 0x7f80
	s_and_saveexec_b64 s[10:11], vcc
	s_cbranch_execz .LBB947_157
; %bb.156:                              ;   in Loop: Header=BB947_15 Depth=1
	v_and_b32_e32 v43, 7, v32
	v_ffbh_u32_e32 v44, v43
	v_min_u32_e32 v47, 32, v44
	v_subrev_u32_e32 v44, 28, v47
	v_lshlrev_b64 v[44:45], v44, v[32:33]
	v_lshrrev_b32_e32 v46, 3, v30
	v_sub_u32_e32 v45, 29, v47
	v_and_b32_e32 v44, 7, v44
	v_cmp_gt_u32_e32 vcc, 8, v30
	v_cndmask_b32_e32 v30, v46, v45, vcc
	v_cndmask_b32_e32 v43, v43, v44, vcc
	v_lshlrev_b32_e32 v32, 24, v32
	v_lshlrev_b32_e32 v43, 20, v43
	v_and_b32_e32 v32, 0x80000000, v32
	v_lshl_add_u32 v30, v30, 23, v33
	v_or3_b32 v30, v32, v30, v43
	v_lshrrev_b32_e32 v43, 16, v30
.LBB947_157:                            ;   in Loop: Header=BB947_15 Depth=1
	s_or_b64 exec, exec, s[10:11]
.LBB947_158:                            ;   in Loop: Header=BB947_15 Depth=1
	s_or_b64 exec, exec, s[6:7]
.LBB947_159:                            ;   in Loop: Header=BB947_15 Depth=1
	s_or_b64 exec, exec, s[4:5]
	v_perm_b32 v45, v38, v36, s16
	v_perm_b32 v44, v35, v23, s16
	;; [unrolled: 1-line block ×4, first 2 shown]
	s_waitcnt vmcnt(1)
	v_cmp_ne_u16_sdwa s[6:7], v28, v31 src0_sel:BYTE_0 src1_sel:DWORD
	v_mfma_f32_16x16x16bf16_1k v[18:21], v[44:45], v[10:11], v[18:21]
	v_mfma_f32_16x16x16bf16_1k v[18:21], v[42:43], v[12:13], v[18:21]
	s_and_saveexec_b64 s[4:5], s[6:7]
	s_cbranch_execz .LBB947_165
; %bb.160:                              ;   in Loop: Header=BB947_15 Depth=1
	v_cmp_ne_u16_sdwa s[10:11], v28, s13 src0_sel:BYTE_0 src1_sel:DWORD
	v_mov_b32_e32 v34, 0xffff8000
	s_and_saveexec_b64 s[6:7], s[10:11]
	s_cbranch_execz .LBB947_164
; %bb.161:                              ;   in Loop: Header=BB947_15 Depth=1
	v_and_b32_e32 v23, 0x7f, v28
	v_cmp_ne_u32_e32 vcc, s14, v23
	v_mov_b32_e32 v34, 0x7f80
	s_and_saveexec_b64 s[10:11], vcc
	s_cbranch_execz .LBB947_163
; %bb.162:                              ;   in Loop: Header=BB947_15 Depth=1
	v_and_b32_e32 v30, 7, v28
	v_ffbh_u32_e32 v34, v30
	v_min_u32_e32 v36, 32, v34
	v_subrev_u32_e32 v34, 28, v36
	v_lshlrev_b64 v[34:35], v34, v[28:29]
	v_lshrrev_b32_e32 v32, 3, v23
	v_sub_u32_e32 v35, 29, v36
	v_and_b32_e32 v34, 7, v34
	v_cmp_gt_u32_e32 vcc, 8, v23
	v_cndmask_b32_e32 v23, v32, v35, vcc
	v_cndmask_b32_e32 v30, v30, v34, vcc
	v_lshlrev_b32_e32 v32, 24, v28
	v_lshlrev_b32_e32 v30, 20, v30
	v_and_b32_e32 v32, 0x80000000, v32
	v_lshl_add_u32 v23, v23, 23, v33
	v_or3_b32 v23, v32, v23, v30
	v_lshrrev_b32_e32 v34, 16, v23
.LBB947_163:                            ;   in Loop: Header=BB947_15 Depth=1
	s_or_b64 exec, exec, s[10:11]
.LBB947_164:                            ;   in Loop: Header=BB947_15 Depth=1
	s_or_b64 exec, exec, s[6:7]
.LBB947_165:                            ;   in Loop: Header=BB947_15 Depth=1
	s_or_b64 exec, exec, s[4:5]
	v_lshrrev_b16_e32 v30, 8, v28
	v_cmp_ne_u16_e32 vcc, 0, v30
	v_mov_b32_e32 v32, 0
	v_mov_b32_e32 v23, 0
	s_and_saveexec_b64 s[4:5], vcc
	s_cbranch_execz .LBB947_171
; %bb.166:                              ;   in Loop: Header=BB947_15 Depth=1
	v_cmp_ne_u16_e32 vcc, s13, v30
	v_mov_b32_e32 v23, 0xffff8000
	s_and_saveexec_b64 s[6:7], vcc
	s_cbranch_execz .LBB947_170
; %bb.167:                              ;   in Loop: Header=BB947_15 Depth=1
	v_and_b32_e32 v35, 0x7f, v30
	v_cmp_ne_u32_e32 vcc, s14, v35
	v_mov_b32_e32 v23, 0x7f80
	s_and_saveexec_b64 s[10:11], vcc
	s_cbranch_execz .LBB947_169
; %bb.168:                              ;   in Loop: Header=BB947_15 Depth=1
	v_and_b32_e32 v23, 7, v30
	v_ffbh_u32_e32 v36, v23
	v_min_u32_e32 v40, 32, v36
	v_subrev_u32_e32 v36, 28, v40
	v_lshlrev_b64 v[36:37], v36, v[30:31]
	v_lshrrev_b32_e32 v38, 3, v35
	v_sub_u32_e32 v30, 29, v40
	v_and_b32_e32 v36, 7, v36
	v_cmp_gt_u32_e32 vcc, 8, v35
	v_cndmask_b32_e32 v30, v38, v30, vcc
	v_cndmask_b32_e32 v23, v23, v36, vcc
	v_lshlrev_b32_e32 v35, 16, v28
	v_lshlrev_b32_e32 v23, 20, v23
	v_and_b32_e32 v35, 0x80000000, v35
	v_lshl_add_u32 v30, v30, 23, v33
	v_or3_b32 v23, v35, v30, v23
	v_lshrrev_b32_e32 v23, 16, v23
.LBB947_169:                            ;   in Loop: Header=BB947_15 Depth=1
	s_or_b64 exec, exec, s[10:11]
.LBB947_170:                            ;   in Loop: Header=BB947_15 Depth=1
	s_or_b64 exec, exec, s[6:7]
.LBB947_171:                            ;   in Loop: Header=BB947_15 Depth=1
	s_or_b64 exec, exec, s[4:5]
	v_lshrrev_b32_e32 v30, 16, v28
	v_cmp_ne_u16_sdwa s[6:7], v30, v31 src0_sel:BYTE_0 src1_sel:DWORD
	s_and_saveexec_b64 s[4:5], s[6:7]
	s_cbranch_execz .LBB947_177
; %bb.172:                              ;   in Loop: Header=BB947_15 Depth=1
	v_cmp_ne_u16_sdwa s[10:11], v30, s13 src0_sel:BYTE_0 src1_sel:DWORD
	v_mov_b32_e32 v32, 0xffff8000
	s_and_saveexec_b64 s[6:7], s[10:11]
	s_cbranch_execz .LBB947_176
; %bb.173:                              ;   in Loop: Header=BB947_15 Depth=1
	v_bfe_u32 v35, v28, 16, 7
	v_cmp_ne_u32_e32 vcc, s14, v35
	v_mov_b32_e32 v32, 0x7f80
	s_and_saveexec_b64 s[10:11], vcc
	s_cbranch_execz .LBB947_175
; %bb.174:                              ;   in Loop: Header=BB947_15 Depth=1
	v_and_b32_e32 v32, 7, v30
	v_ffbh_u32_e32 v36, v32
	v_min_u32_e32 v40, 32, v36
	v_subrev_u32_e32 v36, 28, v40
	v_lshlrev_b64 v[36:37], v36, v[30:31]
	v_lshrrev_b32_e32 v38, 3, v35
	v_sub_u32_e32 v37, 29, v40
	v_and_b32_e32 v36, 7, v36
	v_cmp_gt_u32_e32 vcc, 8, v35
	v_cndmask_b32_e32 v35, v38, v37, vcc
	v_cndmask_b32_e32 v32, v32, v36, vcc
	v_lshlrev_b32_e32 v30, 24, v30
	v_lshlrev_b32_e32 v32, 20, v32
	v_and_b32_e32 v30, 0x80000000, v30
	v_lshl_add_u32 v35, v35, 23, v33
	v_or3_b32 v30, v30, v35, v32
	v_lshrrev_b32_e32 v32, 16, v30
.LBB947_175:                            ;   in Loop: Header=BB947_15 Depth=1
	s_or_b64 exec, exec, s[10:11]
.LBB947_176:                            ;   in Loop: Header=BB947_15 Depth=1
	s_or_b64 exec, exec, s[6:7]
.LBB947_177:                            ;   in Loop: Header=BB947_15 Depth=1
	s_or_b64 exec, exec, s[4:5]
	v_cmp_lt_u32_e32 vcc, s15, v28
	v_mov_b32_e32 v35, 0
	v_mov_b32_e32 v36, 0
	s_and_saveexec_b64 s[4:5], vcc
	s_cbranch_execz .LBB947_183
; %bb.178:                              ;   in Loop: Header=BB947_15 Depth=1
	v_lshrrev_b32_e32 v30, 24, v28
	v_cmp_ne_u32_e32 vcc, s13, v30
	v_mov_b32_e32 v36, 0xffff8000
	s_and_saveexec_b64 s[6:7], vcc
	s_cbranch_execz .LBB947_182
; %bb.179:                              ;   in Loop: Header=BB947_15 Depth=1
	v_bfe_u32 v28, v28, 24, 7
	v_cmp_ne_u32_e32 vcc, s14, v28
	v_mov_b32_e32 v36, 0x7f80
	s_and_saveexec_b64 s[10:11], vcc
	s_cbranch_execz .LBB947_181
; %bb.180:                              ;   in Loop: Header=BB947_15 Depth=1
	v_and_b32_e32 v38, 7, v30
	v_ffbh_u32_e32 v36, v38
	v_min_u32_e32 v42, 32, v36
	v_subrev_u32_e32 v36, 28, v42
	v_lshlrev_b64 v[36:37], v36, v[30:31]
	v_lshrrev_b32_e32 v40, 3, v28
	v_sub_u32_e32 v37, 29, v42
	v_and_b32_e32 v36, 7, v36
	v_cmp_gt_u32_e32 vcc, 8, v28
	v_cndmask_b32_e32 v28, v40, v37, vcc
	v_cndmask_b32_e32 v36, v38, v36, vcc
	v_lshlrev_b32_e32 v30, 24, v30
	v_lshlrev_b32_e32 v36, 20, v36
	v_and_b32_e32 v30, 0x80000000, v30
	v_lshl_add_u32 v28, v28, 23, v33
	v_or3_b32 v28, v30, v28, v36
	v_lshrrev_b32_e32 v36, 16, v28
.LBB947_181:                            ;   in Loop: Header=BB947_15 Depth=1
	s_or_b64 exec, exec, s[10:11]
.LBB947_182:                            ;   in Loop: Header=BB947_15 Depth=1
	s_or_b64 exec, exec, s[6:7]
.LBB947_183:                            ;   in Loop: Header=BB947_15 Depth=1
	s_or_b64 exec, exec, s[4:5]
	s_waitcnt vmcnt(0)
	v_cmp_ne_u16_sdwa s[6:7], v26, v31 src0_sel:BYTE_0 src1_sel:DWORD
	s_and_saveexec_b64 s[4:5], s[6:7]
	s_cbranch_execz .LBB947_189
; %bb.184:                              ;   in Loop: Header=BB947_15 Depth=1
	v_cmp_ne_u16_sdwa s[10:11], v26, s13 src0_sel:BYTE_0 src1_sel:DWORD
	v_mov_b32_e32 v35, 0xffff8000
	s_and_saveexec_b64 s[6:7], s[10:11]
	s_cbranch_execz .LBB947_188
; %bb.185:                              ;   in Loop: Header=BB947_15 Depth=1
	v_and_b32_e32 v28, 0x7f, v26
	v_cmp_ne_u32_e32 vcc, s14, v28
	v_mov_b32_e32 v35, 0x7f80
	s_and_saveexec_b64 s[10:11], vcc
	s_cbranch_execz .LBB947_187
; %bb.186:                              ;   in Loop: Header=BB947_15 Depth=1
	v_and_b32_e32 v30, 7, v26
	v_ffbh_u32_e32 v37, v30
	v_min_u32_e32 v37, 32, v37
	v_subrev_u32_e32 v38, 28, v37
	v_lshlrev_b64 v[42:43], v38, v[26:27]
	v_lshrrev_b32_e32 v35, 3, v28
	v_sub_u32_e32 v37, 29, v37
	v_and_b32_e32 v38, 7, v42
	v_cmp_gt_u32_e32 vcc, 8, v28
	v_cndmask_b32_e32 v28, v35, v37, vcc
	v_cndmask_b32_e32 v30, v30, v38, vcc
	v_lshlrev_b32_e32 v35, 24, v26
	v_lshlrev_b32_e32 v30, 20, v30
	v_and_b32_e32 v35, 0x80000000, v35
	v_lshl_add_u32 v28, v28, 23, v33
	v_or3_b32 v28, v35, v28, v30
	v_lshrrev_b32_e32 v35, 16, v28
.LBB947_187:                            ;   in Loop: Header=BB947_15 Depth=1
	s_or_b64 exec, exec, s[10:11]
.LBB947_188:                            ;   in Loop: Header=BB947_15 Depth=1
	s_or_b64 exec, exec, s[6:7]
.LBB947_189:                            ;   in Loop: Header=BB947_15 Depth=1
	s_or_b64 exec, exec, s[4:5]
	v_lshrrev_b16_e32 v28, 8, v26
	v_cmp_ne_u16_e32 vcc, 0, v28
	v_mov_b32_e32 v37, 0
	v_mov_b32_e32 v30, 0
	s_and_saveexec_b64 s[4:5], vcc
	s_cbranch_execz .LBB947_195
; %bb.190:                              ;   in Loop: Header=BB947_15 Depth=1
	v_cmp_ne_u16_e32 vcc, s13, v28
	v_mov_b32_e32 v30, 0xffff8000
	s_and_saveexec_b64 s[6:7], vcc
	s_cbranch_execz .LBB947_194
; %bb.191:                              ;   in Loop: Header=BB947_15 Depth=1
	v_and_b32_e32 v38, 0x7f, v28
	v_cmp_ne_u32_e32 vcc, s14, v38
	v_mov_b32_e32 v30, 0x7f80
	s_and_saveexec_b64 s[10:11], vcc
	s_cbranch_execz .LBB947_193
; %bb.192:                              ;   in Loop: Header=BB947_15 Depth=1
	v_and_b32_e32 v30, 7, v28
	v_ffbh_u32_e32 v42, v30
	v_min_u32_e32 v44, 32, v42
	v_subrev_u32_e32 v42, 28, v44
	v_lshlrev_b64 v[42:43], v42, v[28:29]
	v_lshrrev_b32_e32 v40, 3, v38
	v_sub_u32_e32 v28, 29, v44
	v_and_b32_e32 v42, 7, v42
	v_cmp_gt_u32_e32 vcc, 8, v38
	v_cndmask_b32_e32 v28, v40, v28, vcc
	v_cndmask_b32_e32 v30, v30, v42, vcc
	v_lshlrev_b32_e32 v38, 16, v26
	v_lshlrev_b32_e32 v30, 20, v30
	v_and_b32_e32 v38, 0x80000000, v38
	v_lshl_add_u32 v28, v28, 23, v33
	v_or3_b32 v28, v38, v28, v30
	v_lshrrev_b32_e32 v30, 16, v28
.LBB947_193:                            ;   in Loop: Header=BB947_15 Depth=1
	s_or_b64 exec, exec, s[10:11]
.LBB947_194:                            ;   in Loop: Header=BB947_15 Depth=1
	s_or_b64 exec, exec, s[6:7]
.LBB947_195:                            ;   in Loop: Header=BB947_15 Depth=1
	s_or_b64 exec, exec, s[4:5]
	v_lshrrev_b32_e32 v28, 16, v26
	v_cmp_ne_u16_sdwa s[6:7], v28, v31 src0_sel:BYTE_0 src1_sel:DWORD
	s_and_saveexec_b64 s[4:5], s[6:7]
	s_cbranch_execz .LBB947_201
; %bb.196:                              ;   in Loop: Header=BB947_15 Depth=1
	v_cmp_ne_u16_sdwa s[10:11], v28, s13 src0_sel:BYTE_0 src1_sel:DWORD
	v_mov_b32_e32 v37, 0xffff8000
	s_and_saveexec_b64 s[6:7], s[10:11]
	s_cbranch_execz .LBB947_200
; %bb.197:                              ;   in Loop: Header=BB947_15 Depth=1
	v_bfe_u32 v38, v26, 16, 7
	v_cmp_ne_u32_e32 vcc, s14, v38
	v_mov_b32_e32 v37, 0x7f80
	s_and_saveexec_b64 s[10:11], vcc
	s_cbranch_execz .LBB947_199
; %bb.198:                              ;   in Loop: Header=BB947_15 Depth=1
	v_and_b32_e32 v37, 7, v28
	v_ffbh_u32_e32 v42, v37
	v_min_u32_e32 v44, 32, v42
	v_subrev_u32_e32 v42, 28, v44
	v_lshlrev_b64 v[42:43], v42, v[28:29]
	v_lshrrev_b32_e32 v40, 3, v38
	v_sub_u32_e32 v43, 29, v44
	v_and_b32_e32 v42, 7, v42
	v_cmp_gt_u32_e32 vcc, 8, v38
	v_cndmask_b32_e32 v38, v40, v43, vcc
	v_cndmask_b32_e32 v37, v37, v42, vcc
	v_lshlrev_b32_e32 v28, 24, v28
	v_lshlrev_b32_e32 v37, 20, v37
	v_and_b32_e32 v28, 0x80000000, v28
	v_lshl_add_u32 v38, v38, 23, v33
	v_or3_b32 v28, v28, v38, v37
	v_lshrrev_b32_e32 v37, 16, v28
.LBB947_199:                            ;   in Loop: Header=BB947_15 Depth=1
	s_or_b64 exec, exec, s[10:11]
.LBB947_200:                            ;   in Loop: Header=BB947_15 Depth=1
	s_or_b64 exec, exec, s[6:7]
.LBB947_201:                            ;   in Loop: Header=BB947_15 Depth=1
	s_or_b64 exec, exec, s[4:5]
	v_cmp_lt_u32_e32 vcc, s15, v26
	v_mov_b32_e32 v38, 0
	s_and_saveexec_b64 s[4:5], vcc
	s_cbranch_execz .LBB947_14
; %bb.202:                              ;   in Loop: Header=BB947_15 Depth=1
	v_lshrrev_b32_e32 v28, 24, v26
	v_cmp_ne_u32_e32 vcc, s13, v28
	v_mov_b32_e32 v38, 0xffff8000
	s_and_saveexec_b64 s[6:7], vcc
	s_cbranch_execz .LBB947_13
; %bb.203:                              ;   in Loop: Header=BB947_15 Depth=1
	v_bfe_u32 v26, v26, 24, 7
	v_cmp_ne_u32_e32 vcc, s14, v26
	v_mov_b32_e32 v38, 0x7f80
	s_and_saveexec_b64 s[10:11], vcc
	s_cbranch_execz .LBB947_12
; %bb.204:                              ;   in Loop: Header=BB947_15 Depth=1
	v_and_b32_e32 v38, 7, v28
	v_ffbh_u32_e32 v42, v38
	v_min_u32_e32 v44, 32, v42
	v_subrev_u32_e32 v42, 28, v44
	v_lshlrev_b64 v[42:43], v42, v[28:29]
	v_lshrrev_b32_e32 v40, 3, v26
	v_sub_u32_e32 v43, 29, v44
	v_and_b32_e32 v42, 7, v42
	v_cmp_gt_u32_e32 vcc, 8, v26
	v_cndmask_b32_e32 v26, v40, v43, vcc
	v_cndmask_b32_e32 v38, v38, v42, vcc
	v_lshlrev_b32_e32 v28, 24, v28
	v_lshlrev_b32_e32 v38, 20, v38
	v_and_b32_e32 v28, 0x80000000, v28
	v_lshl_add_u32 v26, v26, 23, v33
	v_or3_b32 v26, v28, v26, v38
	v_lshrrev_b32_e32 v38, 16, v26
	s_branch .LBB947_12
.LBB947_205:
	buffer_load_dword v13, off, s[0:3], 0 offset:256
	buffer_load_dword v14, off, s[0:3], 0 offset:260
	;; [unrolled: 1-line block ×16, first 2 shown]
	v_and_b32_e32 v12, 0xc0, v0
	v_add_u32_e32 v12, s20, v12
	v_lshl_or_b32 v12, v1, 2, v12
	v_or_b32_e32 v23, 1, v12
	v_mov_b32_e32 v19, 0xff7fffff
	v_or_b32_e32 v24, 2, v12
	v_or_b32_e32 v25, 3, v12
	v_cmp_gt_i32_e64 s[26:27], s33, v12
	v_cmp_gt_i32_e64 s[28:29], s33, v23
	s_mov_b32 s52, 0xff7fffff
	v_or_b32_e32 v26, 16, v12
	v_or_b32_e32 v27, 17, v12
	v_or_b32_e32 v28, 18, v12
	v_or_b32_e32 v29, 19, v12
	v_or_b32_e32 v30, 32, v12
	v_or_b32_e32 v31, 33, v12
	v_or_b32_e32 v32, 34, v12
	v_or_b32_e32 v33, 35, v12
	v_or_b32_e32 v34, 48, v12
	v_or_b32_e32 v35, 49, v12
	v_or_b32_e32 v36, 50, v12
	v_or_b32_e32 v37, 51, v12
	v_cmp_gt_i32_e64 s[30:31], s33, v24
	v_cmp_gt_i32_e64 s[34:35], s33, v25
	v_mbcnt_lo_u32_b32 v20, -1, 0
	v_cmp_gt_i32_e64 s[36:37], s33, v26
	v_cmp_gt_i32_e64 s[38:39], s33, v27
	v_mbcnt_hi_u32_b32 v20, -1, v20
	v_cmp_gt_i32_e64 s[20:21], s33, v28
	v_cmp_gt_i32_e64 s[22:23], s33, v29
	v_and_b32_e32 v21, 64, v20
	v_cmp_gt_i32_e64 s[16:17], s33, v30
	v_cmp_gt_i32_e64 s[18:19], s33, v31
	v_xor_b32_e32 v22, 32, v20
	v_add_u32_e32 v21, 64, v21
	v_cmp_gt_i32_e64 s[12:13], s33, v32
	v_cmp_gt_i32_e64 s[14:15], s33, v33
	v_cmp_lt_i32_e32 vcc, v22, v21
	v_cmp_gt_i32_e64 s[6:7], s33, v34
	v_cmp_gt_i32_e64 s[10:11], s33, v35
	v_cndmask_b32_e32 v22, v20, v22, vcc
	v_cmp_gt_i32_e32 vcc, s33, v36
	v_cmp_gt_i32_e64 s[4:5], s33, v37
	v_lshlrev_b32_e32 v22, 2, v22
	s_waitcnt vmcnt(15)
	v_cndmask_b32_e64 v12, v19, v13, s[26:27]
	s_waitcnt vmcnt(14)
	v_cndmask_b32_e64 v23, v19, v14, s[28:29]
	;; [unrolled: 2-line block ×4, first 2 shown]
	v_max3_f32 v12, v12, s52, v23
	s_waitcnt vmcnt(11)
	v_cndmask_b32_e64 v26, v19, v17, s[36:37]
	s_waitcnt vmcnt(10)
	v_cndmask_b32_e64 v27, v19, v18, s[38:39]
	v_max3_f32 v12, v12, v24, v25
	s_waitcnt vmcnt(9)
	v_cndmask_b32_e64 v28, v19, v11, s[20:21]
	s_waitcnt vmcnt(8)
	v_cndmask_b32_e64 v29, v19, v10, s[22:23]
	;; [unrolled: 5-line block ×5, first 2 shown]
	v_max3_f32 v12, v12, v32, v33
	s_waitcnt vmcnt(1)
	v_cndmask_b32_e32 v36, v19, v3, vcc
	s_waitcnt vmcnt(0)
	v_cndmask_b32_e64 v19, v19, v2, s[4:5]
	v_max3_f32 v12, v12, v34, v35
	v_max3_f32 v12, v12, v36, v19
	ds_bpermute_b32 v19, v22, v12
	v_xor_b32_e32 v23, 16, v20
	v_cmp_lt_i32_e64 s[40:41], v23, v21
	v_cndmask_b32_e64 v20, v20, v23, s[40:41]
	v_lshlrev_b32_e32 v20, 2, v20
	s_waitcnt lgkmcnt(0)
	v_max_f32_e32 v19, v19, v19
	v_max_f32_e32 v12, v12, v19
	ds_bpermute_b32 v19, v20, v12
	s_waitcnt lgkmcnt(0)
	v_max_f32_e32 v19, v19, v19
	v_max_f32_e32 v12, v12, v19
	v_sub_f32_e32 v13, v13, v12
	v_sub_f32_e32 v14, v14, v12
	;; [unrolled: 1-line block ×3, first 2 shown]
	v_mul_f32_e32 v13, 0x3fb8aa3b, v13
	v_mul_f32_e32 v14, 0x3fb8aa3b, v14
	;; [unrolled: 1-line block ×3, first 2 shown]
	v_exp_f32_e32 v13, v13
	v_exp_f32_e32 v14, v14
	;; [unrolled: 1-line block ×3, first 2 shown]
	v_sub_f32_e32 v16, v16, v12
	v_cndmask_b32_e64 v13, 0, v13, s[26:27]
	v_mul_f32_e32 v16, 0x3fb8aa3b, v16
	v_cndmask_b32_e64 v14, 0, v14, s[28:29]
	v_cndmask_b32_e64 v15, 0, v15, s[30:31]
	v_add_f32_e32 v19, 0, v13
	buffer_store_dword v13, off, s[0:3], 0 offset:256
	buffer_store_dword v14, off, s[0:3], 0 offset:260
	;; [unrolled: 1-line block ×3, first 2 shown]
	v_sub_f32_e32 v13, v17, v12
	v_exp_f32_e32 v16, v16
	v_add_f32_e32 v19, v19, v14
	v_mul_f32_e32 v13, 0x3fb8aa3b, v13
	v_sub_f32_e32 v14, v18, v12
	v_exp_f32_e32 v13, v13
	v_mul_f32_e32 v14, 0x3fb8aa3b, v14
	v_sub_f32_e32 v11, v11, v12
	v_exp_f32_e32 v14, v14
	;; [unrolled: 3-line block ×3, first 2 shown]
	v_mul_f32_e32 v10, 0x3fb8aa3b, v10
	v_sub_f32_e32 v9, v9, v12
	v_cndmask_b32_e64 v16, 0, v16, s[34:35]
	v_add_f32_e32 v19, v19, v15
	v_exp_f32_e32 v10, v10
	v_mul_f32_e32 v9, 0x3fb8aa3b, v9
	v_sub_f32_e32 v8, v8, v12
	v_add_f32_e32 v19, v19, v16
	v_cndmask_b32_e64 v13, 0, v13, s[36:37]
	v_exp_f32_e32 v9, v9
	v_mul_f32_e32 v8, 0x3fb8aa3b, v8
	v_sub_f32_e32 v7, v7, v12
	v_add_f32_e32 v15, v19, v13
	v_cndmask_b32_e64 v14, 0, v14, s[38:39]
	;; [unrolled: 5-line block ×5, first 2 shown]
	v_exp_f32_e32 v5, v5
	v_mul_f32_e32 v4, 0x3fb8aa3b, v4
	v_sub_f32_e32 v3, v3, v12
	buffer_store_dword v16, off, s[0:3], 0 offset:268
	buffer_store_dword v13, off, s[0:3], 0 offset:272
	;; [unrolled: 1-line block ×5, first 2 shown]
	v_add_f32_e32 v10, v15, v9
	v_cndmask_b32_e64 v8, 0, v8, s[18:19]
	v_exp_f32_e32 v4, v4
	v_mul_f32_e32 v3, 0x3fb8aa3b, v3
	v_sub_f32_e32 v2, v2, v12
	v_add_f32_e32 v10, v10, v8
	v_cndmask_b32_e64 v7, 0, v7, s[12:13]
	v_exp_f32_e32 v3, v3
	v_mul_f32_e32 v2, 0x3fb8aa3b, v2
	v_add_f32_e32 v10, v10, v7
	v_cndmask_b32_e64 v6, 0, v6, s[14:15]
	v_exp_f32_e32 v2, v2
	v_add_f32_e32 v10, v10, v6
	v_cndmask_b32_e64 v5, 0, v5, s[6:7]
	buffer_store_dword v9, off, s[0:3], 0 offset:288
	buffer_store_dword v8, off, s[0:3], 0 offset:292
	;; [unrolled: 1-line block ×4, first 2 shown]
	v_add_f32_e32 v6, v10, v5
	v_cndmask_b32_e64 v4, 0, v4, s[10:11]
	v_add_f32_e32 v6, v6, v4
	v_cndmask_b32_e32 v3, 0, v3, vcc
	v_add_f32_e32 v6, v6, v3
	v_cndmask_b32_e64 v2, 0, v2, s[4:5]
	v_add_f32_e32 v6, v6, v2
	ds_bpermute_b32 v7, v22, v6
	buffer_store_dword v5, off, s[0:3], 0 offset:304
	buffer_store_dword v4, off, s[0:3], 0 offset:308
	;; [unrolled: 1-line block ×4, first 2 shown]
	v_cmp_gt_u32_e32 vcc, 16, v64
	s_waitcnt lgkmcnt(0)
	s_barrier
	v_add_f32_e32 v2, v6, v7
	ds_bpermute_b32 v3, v20, v2
	s_waitcnt lgkmcnt(0)
	s_and_saveexec_b64 s[4:5], vcc
	s_cbranch_execz .LBB947_207
; %bb.206:
	v_add_f32_e32 v2, v2, v3
	v_lshlrev_b32_e32 v3, 2, v63
	ds_write2st64_b32 v3, v12, v2 offset1:1
.LBB947_207:
	s_or_b64 exec, exec, s[4:5]
	v_lshlrev_b32_e32 v2, 2, v55
	s_waitcnt lgkmcnt(0)
	s_barrier
	ds_read2_b32 v[14:15], v2 offset1:16
	ds_read2_b32 v[16:17], v2 offset0:32 offset1:48
	ds_read2_b32 v[6:7], v2 offset0:64 offset1:80
	;; [unrolled: 1-line block ×3, first 2 shown]
	s_waitcnt lgkmcnt(0)
	s_barrier
	buffer_load_dword v22, off, s[0:3], 0 offset:264
	buffer_load_dword v23, off, s[0:3], 0 offset:268
	;; [unrolled: 1-line block ×16, first 2 shown]
	v_max3_f32 v20, v14, s52, v15
	v_max3_f32 v20, v20, v16, v17
	v_sub_f32_e32 v14, v14, v20
	v_sub_f32_e32 v15, v15, v20
	v_mul_f32_e32 v14, 0x3fb8aa3b, v14
	v_sub_f32_e32 v16, v16, v20
	v_mul_f32_e32 v15, 0x3fb8aa3b, v15
	v_exp_f32_e32 v14, v14
	v_sub_f32_e32 v17, v17, v20
	v_mul_f32_e32 v16, 0x3fb8aa3b, v16
	v_exp_f32_e32 v15, v15
	v_mul_f32_e32 v17, 0x3fb8aa3b, v17
	v_exp_f32_e32 v16, v16
	v_exp_f32_e32 v17, v17
	v_fma_f32 v6, v14, v6, 0
	v_fmac_f32_e32 v6, v15, v7
	v_fmac_f32_e32 v6, v16, v12
	v_fmac_f32_e32 v6, v17, v13
	v_cmp_eq_u32_e32 vcc, 1, v62
	v_add_f32_e32 v12, 0x358637bd, v6
	v_cndmask_b32_e32 v14, v14, v15, vcc
	v_cmp_eq_u32_e32 vcc, 2, v62
	v_div_scale_f32 v13, s[4:5], v12, v12, 1.0
	v_cndmask_b32_e32 v7, v14, v16, vcc
	v_rcp_f32_e32 v14, v13
	v_cmp_eq_u32_e32 vcc, 3, v62
	v_cndmask_b32_e32 v7, v7, v17, vcc
	v_div_scale_f32 v15, vcc, 1.0, v12, 1.0
	v_fma_f32 v16, -v13, v14, 1.0
	v_fmac_f32_e32 v14, v16, v14
	v_mul_f32_e32 v16, v15, v14
	v_fma_f32 v17, -v13, v16, v15
	v_fmac_f32_e32 v16, v17, v14
	v_fma_f32 v13, -v13, v16, v15
	v_div_fmas_f32 v13, v13, v14, v16
	v_div_fixup_f32 v12, v13, v12, 1.0
	v_mul_f32_e32 v12, v7, v12
	s_movk_i32 s19, 0x7fff
	s_mov_b32 s20, 0x7060302
	s_mul_i32 s18, s51, 6
	v_cmp_gt_u32_e32 vcc, 6, v0
	s_waitcnt vmcnt(14)
	v_pk_mul_f32 v[14:15], v[12:13], v[22:23] op_sel_hi:[0,1]
	v_bfe_u32 v21, v15, 16, 1
	s_waitcnt vmcnt(12)
	v_pk_mul_f32 v[16:17], v[12:13], v[24:25] op_sel_hi:[0,1]
	v_bfe_u32 v7, v17, 16, 1
	v_bfe_u32 v13, v16, 16, 1
	;; [unrolled: 1-line block ×3, first 2 shown]
	v_add3_u32 v13, v16, v13, s19
	v_add3_u32 v7, v17, v7, s19
	buffer_store_dword v16, off, s[0:3], 0 offset:256
	buffer_store_dword v17, off, s[0:3], 0 offset:260
	;; [unrolled: 1-line block ×4, first 2 shown]
	v_add3_u32 v16, v14, v22, s19
	v_add3_u32 v15, v15, v21, s19
	v_perm_b32 v14, v7, v13, s20
	v_lshlrev_b32_e32 v13, 3, v1
	v_perm_b32 v15, v15, v16, s20
	v_lshlrev_b32_e32 v7, 5, v55
	v_lshlrev_b32_e32 v16, 11, v62
	s_waitcnt vmcnt(12)
	v_pk_mul_f32 v[8:9], v[12:13], v[8:9] op_sel_hi:[0,1]
	v_or3_b32 v43, v16, v7, v13
	v_pk_mul_f32 v[10:11], v[12:13], v[10:11] op_sel_hi:[0,1]
	v_bfe_u32 v13, v9, 16, 1
	v_bfe_u32 v16, v8, 16, 1
	buffer_store_dword v8, off, s[0:3], 0 offset:272
	buffer_store_dword v9, off, s[0:3], 0 offset:276
	;; [unrolled: 1-line block ×4, first 2 shown]
	v_add3_u32 v8, v8, v16, s19
	v_add3_u32 v9, v9, v13, s19
	v_perm_b32 v8, v9, v8, s20
	v_bfe_u32 v9, v11, 16, 1
	v_bfe_u32 v13, v10, 16, 1
	v_add3_u32 v10, v10, v13, s19
	v_add3_u32 v9, v11, v9, s19
	v_perm_b32 v9, v9, v10, s20
	s_waitcnt vmcnt(14)
	v_pk_mul_f32 v[10:11], v[12:13], v[18:19] op_sel_hi:[0,1]
	ds_write2st64_b64 v43, v[14:15], v[8:9] offset1:1
	s_waitcnt vmcnt(12)
	v_pk_mul_f32 v[8:9], v[12:13], v[26:27] op_sel_hi:[0,1]
	v_bfe_u32 v13, v11, 16, 1
	v_bfe_u32 v14, v10, 16, 1
	buffer_store_dword v10, off, s[0:3], 0 offset:288
	buffer_store_dword v11, off, s[0:3], 0 offset:292
	;; [unrolled: 1-line block ×4, first 2 shown]
	v_add3_u32 v10, v10, v14, s19
	v_add3_u32 v11, v11, v13, s19
	v_perm_b32 v10, v11, v10, s20
	v_bfe_u32 v11, v9, 16, 1
	v_bfe_u32 v13, v8, 16, 1
	v_add3_u32 v8, v8, v13, s19
	v_add3_u32 v9, v9, v11, s19
	s_waitcnt vmcnt(14)
	v_pk_mul_f32 v[2:3], v[12:13], v[2:3] op_sel_hi:[0,1]
	v_perm_b32 v11, v9, v8, s20
	v_bfe_u32 v8, v3, 16, 1
	v_bfe_u32 v9, v2, 16, 1
	s_waitcnt vmcnt(12)
	v_pk_mul_f32 v[4:5], v[12:13], v[4:5] op_sel_hi:[0,1]
	buffer_store_dword v2, off, s[0:3], 0 offset:304
	buffer_store_dword v3, off, s[0:3], 0 offset:308
	;; [unrolled: 1-line block ×4, first 2 shown]
	v_add3_u32 v2, v2, v9, s19
	v_add3_u32 v3, v3, v8, s19
	v_perm_b32 v2, v3, v2, s20
	v_bfe_u32 v3, v5, 16, 1
	v_bfe_u32 v8, v4, 16, 1
	v_add3_u32 v4, v4, v8, s19
	v_add3_u32 v3, v5, v3, s19
	v_perm_b32 v3, v3, v4, s20
	ds_write2st64_b64 v43, v[10:11], v[2:3] offset0:2 offset1:3
	s_and_saveexec_b64 s[4:5], vcc
	s_cbranch_execz .LBB947_209
; %bb.208:
	v_add_co_u32_e32 v4, vcc, s25, v55
	v_addc_co_u32_e64 v5, s[6:7], 0, 0, vcc
	v_mov_b32_e32 v2, s18
	v_mad_u64_u32 v[4:5], s[6:7], s8, v2, v[4:5]
	v_mov_b32_e32 v3, 0
	s_mul_i32 s6, s9, s18
	v_mov_b32_e32 v2, s24
	v_add_u32_e32 v5, s6, v5
	v_mad_u64_u32 v[2:3], s[6:7], v4, s50, v[2:3]
	v_mov_b32_e32 v4, v3
	v_mad_u64_u32 v[4:5], s[6:7], v5, s50, v[4:5]
	v_mov_b32_e32 v3, v4
	v_lshlrev_b64 v[2:3], 2, v[2:3]
	v_mov_b32_e32 v5, s47
	v_add_co_u32_e32 v4, vcc, s46, v2
	v_addc_co_u32_e32 v5, vcc, v5, v3, vcc
	global_store_dword v[4:5], v20, off
	v_mov_b32_e32 v4, s45
	v_add_co_u32_e32 v2, vcc, s44, v2
	v_addc_co_u32_e32 v3, vcc, v4, v3, vcc
	global_store_dword v[2:3], v6, off
.LBB947_209:
	s_or_b64 exec, exec, s[4:5]
	v_lshl_or_b32 v30, v1, 9, v7
	s_waitcnt lgkmcnt(0)
	s_barrier
	s_load_dword s4, s[42:43], 0x0
	ds_read_b128 v[2:5], v30
	ds_read_b128 v[6:9], v30 offset:16
	ds_read_b128 v[10:13], v30 offset:2048
	;; [unrolled: 1-line block ×7, first 2 shown]
	v_mov_b32_e32 v35, 0x80
	v_mov_b32_e32 v45, 0x140
	s_mov_b64 s[10:11], -1
	s_waitcnt lgkmcnt(0)
	s_mov_b32 s5, s4
	s_mov_b32 s6, s4
	s_mov_b32 s7, s4
	s_movk_i32 s9, 0x80
	s_movk_i32 s21, 0x7f
	s_mov_b32 s22, 0xffffff
	s_mov_b32 s23, 0x5040100
	v_mov_b32_e32 v47, 0
	v_bfrev_b32_e32 v48, 60
	s_branch .LBB947_213
.LBB947_210:                            ;   in Loop: Header=BB947_213 Depth=1
	s_or_b64 exec, exec, s[16:17]
.LBB947_211:                            ;   in Loop: Header=BB947_213 Depth=1
	s_or_b64 exec, exec, s[14:15]
.LBB947_212:                            ;   in Loop: Header=BB947_213 Depth=1
	s_or_b64 exec, exec, s[12:13]
	v_perm_b32 v61, v51, v49, s23
	v_perm_b32 v60, v44, v46, s23
	s_xor_b64 s[12:13], s[10:11], -1
	s_mov_b64 s[10:11], 0
	s_and_b64 vcc, exec, s[12:13]
	v_mfma_f32_16x16x16bf16_1k v[62:65], v[60:61], v[30:31], v[34:37]
	v_mov_b32_e32 v61, v39
	v_mov_b32_e32 v60, v41
	v_mov_b32_e32 v59, v58
	s_nop 3
	v_perm_b32 v37, v53, v52, s23
	v_perm_b32 v36, v42, v50, s23
	v_mov_b32_e32 v35, v57
	s_nop 0
	v_mfma_f32_16x16x16bf16_1k v[50:53], v[36:37], v[32:33], v[62:65]
	s_nop 7
	s_nop 2
	v_pk_mul_f32 v[50:51], v[50:51], s[4:5]
	v_pk_mul_f32 v[36:37], v[52:53], s[6:7]
	v_bfe_u32 v34, v51, 16, 1
	v_bfe_u32 v38, v50, 16, 1
	;; [unrolled: 1-line block ×4, first 2 shown]
	v_add3_u32 v38, v50, v38, s19
	v_add3_u32 v34, v51, v34, s19
	;; [unrolled: 1-line block ×4, first 2 shown]
	v_perm_b32 v34, v34, v38, s20
	v_perm_b32 v36, v37, v36, s20
	buffer_store_dword v34, v45, s[0:3], 0 offen
	buffer_store_dword v36, v45, s[0:3], 0 offen offset:4
	v_mov_b32_e32 v45, 0x148
	s_cbranch_vccnz .LBB947_595
.LBB947_213:                            ; =>This Inner Loop Header: Depth=1
	buffer_load_dword v36, v35, s[0:3], 0 offen
	buffer_load_dword v34, v35, s[0:3], 0 offen offset:4
	buffer_load_dword v40, v35, s[0:3], 0 offen offset:8
	;; [unrolled: 1-line block ×3, first 2 shown]
	v_mov_b32_e32 v35, 0
	s_waitcnt vmcnt(3)
	v_cmp_ne_u16_sdwa s[14:15], v36, v47 src0_sel:BYTE_0 src1_sel:DWORD
	s_and_saveexec_b64 s[12:13], s[14:15]
	s_cbranch_execz .LBB947_219
; %bb.214:                              ;   in Loop: Header=BB947_213 Depth=1
	v_cmp_ne_u16_sdwa s[16:17], v36, s9 src0_sel:BYTE_0 src1_sel:DWORD
	v_mov_b32_e32 v35, 0xffff8000
	s_and_saveexec_b64 s[14:15], s[16:17]
	s_cbranch_execz .LBB947_218
; %bb.215:                              ;   in Loop: Header=BB947_213 Depth=1
	v_and_b32_e32 v37, 0x7f, v36
	v_cmp_ne_u32_e32 vcc, s21, v37
	v_mov_b32_e32 v35, 0x7f80
	s_and_saveexec_b64 s[16:17], vcc
	s_cbranch_execz .LBB947_217
; %bb.216:                              ;   in Loop: Header=BB947_213 Depth=1
	v_and_b32_e32 v35, 7, v36
	v_ffbh_u32_e32 v44, v35
	v_min_u32_e32 v44, 32, v44
	v_subrev_u32_e32 v46, 28, v44
	v_lshlrev_b64 v[50:51], v46, v[36:37]
	v_lshrrev_b32_e32 v42, 3, v37
	v_sub_u32_e32 v44, 29, v44
	v_and_b32_e32 v46, 7, v50
	v_cmp_gt_u32_e32 vcc, 8, v37
	v_cndmask_b32_e32 v37, v42, v44, vcc
	v_cndmask_b32_e32 v35, v35, v46, vcc
	v_lshlrev_b32_e32 v42, 24, v36
	v_lshlrev_b32_e32 v35, 20, v35
	v_and_b32_e32 v42, 0x80000000, v42
	v_lshl_add_u32 v37, v37, 23, v48
	v_or3_b32 v35, v42, v37, v35
	v_lshrrev_b32_e32 v35, 16, v35
.LBB947_217:                            ;   in Loop: Header=BB947_213 Depth=1
	s_or_b64 exec, exec, s[16:17]
.LBB947_218:                            ;   in Loop: Header=BB947_213 Depth=1
	s_or_b64 exec, exec, s[14:15]
.LBB947_219:                            ;   in Loop: Header=BB947_213 Depth=1
	s_or_b64 exec, exec, s[12:13]
	v_lshrrev_b16_e32 v42, 8, v36
	v_cmp_ne_u16_e32 vcc, 0, v42
	v_mov_b32_e32 v46, 0
	v_mov_b32_e32 v37, 0
	s_and_saveexec_b64 s[12:13], vcc
	s_cbranch_execz .LBB947_225
; %bb.220:                              ;   in Loop: Header=BB947_213 Depth=1
	v_cmp_ne_u16_e32 vcc, s9, v42
	v_mov_b32_e32 v37, 0xffff8000
	s_and_saveexec_b64 s[14:15], vcc
	s_cbranch_execz .LBB947_224
; %bb.221:                              ;   in Loop: Header=BB947_213 Depth=1
	v_and_b32_e32 v44, 0x7f, v42
	v_cmp_ne_u32_e32 vcc, s21, v44
	v_mov_b32_e32 v37, 0x7f80
	s_and_saveexec_b64 s[16:17], vcc
	s_cbranch_execz .LBB947_223
; %bb.222:                              ;   in Loop: Header=BB947_213 Depth=1
	v_and_b32_e32 v37, 7, v42
	v_ffbh_u32_e32 v50, v37
	v_min_u32_e32 v52, 32, v50
	v_subrev_u32_e32 v50, 28, v52
	v_lshlrev_b64 v[50:51], v50, v[42:43]
	v_lshrrev_b32_e32 v49, 3, v44
	v_sub_u32_e32 v42, 29, v52
	v_and_b32_e32 v50, 7, v50
	v_cmp_gt_u32_e32 vcc, 8, v44
	v_cndmask_b32_e32 v42, v49, v42, vcc
	v_cndmask_b32_e32 v37, v37, v50, vcc
	v_lshlrev_b32_e32 v44, 16, v36
	v_lshlrev_b32_e32 v37, 20, v37
	v_and_b32_e32 v44, 0x80000000, v44
	v_lshl_add_u32 v42, v42, 23, v48
	v_or3_b32 v37, v44, v42, v37
	v_lshrrev_b32_e32 v37, 16, v37
.LBB947_223:                            ;   in Loop: Header=BB947_213 Depth=1
	s_or_b64 exec, exec, s[16:17]
.LBB947_224:                            ;   in Loop: Header=BB947_213 Depth=1
	s_or_b64 exec, exec, s[14:15]
.LBB947_225:                            ;   in Loop: Header=BB947_213 Depth=1
	s_or_b64 exec, exec, s[12:13]
	v_lshrrev_b32_e32 v42, 16, v36
	v_cmp_ne_u16_sdwa s[14:15], v42, v47 src0_sel:BYTE_0 src1_sel:DWORD
	s_and_saveexec_b64 s[12:13], s[14:15]
	s_cbranch_execz .LBB947_231
; %bb.226:                              ;   in Loop: Header=BB947_213 Depth=1
	v_cmp_ne_u16_sdwa s[16:17], v42, s9 src0_sel:BYTE_0 src1_sel:DWORD
	v_mov_b32_e32 v46, 0xffff8000
	s_and_saveexec_b64 s[14:15], s[16:17]
	s_cbranch_execz .LBB947_230
; %bb.227:                              ;   in Loop: Header=BB947_213 Depth=1
	v_bfe_u32 v44, v36, 16, 7
	v_cmp_ne_u32_e32 vcc, s21, v44
	v_mov_b32_e32 v46, 0x7f80
	s_and_saveexec_b64 s[16:17], vcc
	s_cbranch_execz .LBB947_229
; %bb.228:                              ;   in Loop: Header=BB947_213 Depth=1
	v_and_b32_e32 v46, 7, v42
	v_ffbh_u32_e32 v50, v46
	v_min_u32_e32 v52, 32, v50
	v_subrev_u32_e32 v50, 28, v52
	v_lshlrev_b64 v[50:51], v50, v[42:43]
	v_lshrrev_b32_e32 v49, 3, v44
	v_sub_u32_e32 v51, 29, v52
	v_and_b32_e32 v50, 7, v50
	v_cmp_gt_u32_e32 vcc, 8, v44
	v_cndmask_b32_e32 v44, v49, v51, vcc
	v_cndmask_b32_e32 v46, v46, v50, vcc
	v_lshlrev_b32_e32 v42, 24, v42
	v_lshlrev_b32_e32 v46, 20, v46
	v_and_b32_e32 v42, 0x80000000, v42
	v_lshl_add_u32 v44, v44, 23, v48
	v_or3_b32 v42, v42, v44, v46
	v_lshrrev_b32_e32 v46, 16, v42
.LBB947_229:                            ;   in Loop: Header=BB947_213 Depth=1
	s_or_b64 exec, exec, s[16:17]
.LBB947_230:                            ;   in Loop: Header=BB947_213 Depth=1
	s_or_b64 exec, exec, s[14:15]
.LBB947_231:                            ;   in Loop: Header=BB947_213 Depth=1
	s_or_b64 exec, exec, s[12:13]
	v_cmp_lt_u32_e32 vcc, s22, v36
	v_mov_b32_e32 v49, 0
	v_mov_b32_e32 v50, 0
	s_and_saveexec_b64 s[12:13], vcc
	s_cbranch_execz .LBB947_237
; %bb.232:                              ;   in Loop: Header=BB947_213 Depth=1
	v_lshrrev_b32_e32 v42, 24, v36
	v_cmp_ne_u32_e32 vcc, s9, v42
	v_mov_b32_e32 v50, 0xffff8000
	s_and_saveexec_b64 s[14:15], vcc
	s_cbranch_execz .LBB947_236
; %bb.233:                              ;   in Loop: Header=BB947_213 Depth=1
	v_bfe_u32 v36, v36, 24, 7
	v_cmp_ne_u32_e32 vcc, s21, v36
	v_mov_b32_e32 v50, 0x7f80
	s_and_saveexec_b64 s[16:17], vcc
	s_cbranch_execz .LBB947_235
; %bb.234:                              ;   in Loop: Header=BB947_213 Depth=1
	v_and_b32_e32 v44, 7, v42
	v_ffbh_u32_e32 v50, v44
	v_min_u32_e32 v53, 32, v50
	v_subrev_u32_e32 v50, 28, v53
	v_lshlrev_b64 v[50:51], v50, v[42:43]
	v_lshrrev_b32_e32 v52, 3, v36
	v_sub_u32_e32 v51, 29, v53
	v_and_b32_e32 v50, 7, v50
	v_cmp_gt_u32_e32 vcc, 8, v36
	v_cndmask_b32_e32 v36, v52, v51, vcc
	v_cndmask_b32_e32 v44, v44, v50, vcc
	v_lshlrev_b32_e32 v42, 24, v42
	v_lshlrev_b32_e32 v44, 20, v44
	v_and_b32_e32 v42, 0x80000000, v42
	v_lshl_add_u32 v36, v36, 23, v48
	v_or3_b32 v36, v42, v36, v44
	v_lshrrev_b32_e32 v50, 16, v36
.LBB947_235:                            ;   in Loop: Header=BB947_213 Depth=1
	s_or_b64 exec, exec, s[16:17]
.LBB947_236:                            ;   in Loop: Header=BB947_213 Depth=1
	s_or_b64 exec, exec, s[14:15]
.LBB947_237:                            ;   in Loop: Header=BB947_213 Depth=1
	s_or_b64 exec, exec, s[12:13]
	s_waitcnt vmcnt(2)
	v_cmp_ne_u16_sdwa s[14:15], v34, v47 src0_sel:BYTE_0 src1_sel:DWORD
	s_and_saveexec_b64 s[12:13], s[14:15]
	s_cbranch_execz .LBB947_243
; %bb.238:                              ;   in Loop: Header=BB947_213 Depth=1
	v_cmp_ne_u16_sdwa s[16:17], v34, s9 src0_sel:BYTE_0 src1_sel:DWORD
	v_mov_b32_e32 v49, 0xffff8000
	s_and_saveexec_b64 s[14:15], s[16:17]
	s_cbranch_execz .LBB947_242
; %bb.239:                              ;   in Loop: Header=BB947_213 Depth=1
	v_and_b32_e32 v36, 0x7f, v34
	v_cmp_ne_u32_e32 vcc, s21, v36
	v_mov_b32_e32 v49, 0x7f80
	s_and_saveexec_b64 s[16:17], vcc
	s_cbranch_execz .LBB947_241
; %bb.240:                              ;   in Loop: Header=BB947_213 Depth=1
	v_and_b32_e32 v42, 7, v34
	v_ffbh_u32_e32 v49, v42
	v_min_u32_e32 v49, 32, v49
	v_subrev_u32_e32 v51, 28, v49
	v_lshlrev_b64 v[52:53], v51, v[34:35]
	v_lshrrev_b32_e32 v44, 3, v36
	v_sub_u32_e32 v49, 29, v49
	v_and_b32_e32 v51, 7, v52
	v_cmp_gt_u32_e32 vcc, 8, v36
	v_cndmask_b32_e32 v36, v44, v49, vcc
	v_cndmask_b32_e32 v42, v42, v51, vcc
	v_lshlrev_b32_e32 v44, 24, v34
	v_lshlrev_b32_e32 v42, 20, v42
	v_and_b32_e32 v44, 0x80000000, v44
	v_lshl_add_u32 v36, v36, 23, v48
	v_or3_b32 v36, v44, v36, v42
	v_lshrrev_b32_e32 v49, 16, v36
.LBB947_241:                            ;   in Loop: Header=BB947_213 Depth=1
	s_or_b64 exec, exec, s[16:17]
.LBB947_242:                            ;   in Loop: Header=BB947_213 Depth=1
	s_or_b64 exec, exec, s[14:15]
.LBB947_243:                            ;   in Loop: Header=BB947_213 Depth=1
	s_or_b64 exec, exec, s[12:13]
	v_lshrrev_b16_e32 v36, 8, v34
	v_cmp_ne_u16_e32 vcc, 0, v36
	v_mov_b32_e32 v51, 0
	v_mov_b32_e32 v42, 0
	s_and_saveexec_b64 s[12:13], vcc
	s_cbranch_execz .LBB947_249
; %bb.244:                              ;   in Loop: Header=BB947_213 Depth=1
	v_cmp_ne_u16_e32 vcc, s9, v36
	v_mov_b32_e32 v42, 0xffff8000
	s_and_saveexec_b64 s[14:15], vcc
	s_cbranch_execz .LBB947_248
; %bb.245:                              ;   in Loop: Header=BB947_213 Depth=1
	v_and_b32_e32 v44, 0x7f, v36
	v_cmp_ne_u32_e32 vcc, s21, v44
	v_mov_b32_e32 v42, 0x7f80
	s_and_saveexec_b64 s[16:17], vcc
	s_cbranch_execz .LBB947_247
; %bb.246:                              ;   in Loop: Header=BB947_213 Depth=1
	v_and_b32_e32 v42, 7, v36
	v_ffbh_u32_e32 v52, v42
	v_min_u32_e32 v63, 32, v52
	v_subrev_u32_e32 v52, 28, v63
	v_lshlrev_b64 v[52:53], v52, v[36:37]
	v_lshrrev_b32_e32 v62, 3, v44
	v_sub_u32_e32 v36, 29, v63
	v_and_b32_e32 v52, 7, v52
	v_cmp_gt_u32_e32 vcc, 8, v44
	v_cndmask_b32_e32 v36, v62, v36, vcc
	v_cndmask_b32_e32 v42, v42, v52, vcc
	v_lshlrev_b32_e32 v44, 16, v34
	v_lshlrev_b32_e32 v42, 20, v42
	v_and_b32_e32 v44, 0x80000000, v44
	v_lshl_add_u32 v36, v36, 23, v48
	v_or3_b32 v36, v44, v36, v42
	v_lshrrev_b32_e32 v42, 16, v36
.LBB947_247:                            ;   in Loop: Header=BB947_213 Depth=1
	s_or_b64 exec, exec, s[16:17]
.LBB947_248:                            ;   in Loop: Header=BB947_213 Depth=1
	s_or_b64 exec, exec, s[14:15]
.LBB947_249:                            ;   in Loop: Header=BB947_213 Depth=1
	s_or_b64 exec, exec, s[12:13]
	v_lshrrev_b32_e32 v36, 16, v34
	v_cmp_ne_u16_sdwa s[14:15], v36, v47 src0_sel:BYTE_0 src1_sel:DWORD
	s_and_saveexec_b64 s[12:13], s[14:15]
	s_cbranch_execz .LBB947_255
; %bb.250:                              ;   in Loop: Header=BB947_213 Depth=1
	v_cmp_ne_u16_sdwa s[16:17], v36, s9 src0_sel:BYTE_0 src1_sel:DWORD
	v_mov_b32_e32 v51, 0xffff8000
	s_and_saveexec_b64 s[14:15], s[16:17]
	s_cbranch_execz .LBB947_254
; %bb.251:                              ;   in Loop: Header=BB947_213 Depth=1
	v_bfe_u32 v44, v34, 16, 7
	v_cmp_ne_u32_e32 vcc, s21, v44
	v_mov_b32_e32 v51, 0x7f80
	s_and_saveexec_b64 s[16:17], vcc
	s_cbranch_execz .LBB947_253
; %bb.252:                              ;   in Loop: Header=BB947_213 Depth=1
	v_and_b32_e32 v51, 7, v36
	v_ffbh_u32_e32 v52, v51
	v_min_u32_e32 v63, 32, v52
	v_subrev_u32_e32 v52, 28, v63
	v_lshlrev_b64 v[52:53], v52, v[36:37]
	v_lshrrev_b32_e32 v62, 3, v44
	v_sub_u32_e32 v53, 29, v63
	v_and_b32_e32 v52, 7, v52
	v_cmp_gt_u32_e32 vcc, 8, v44
	v_cndmask_b32_e32 v44, v62, v53, vcc
	v_cndmask_b32_e32 v51, v51, v52, vcc
	v_lshlrev_b32_e32 v36, 24, v36
	v_lshlrev_b32_e32 v51, 20, v51
	v_and_b32_e32 v36, 0x80000000, v36
	v_lshl_add_u32 v44, v44, 23, v48
	v_or3_b32 v36, v36, v44, v51
	v_lshrrev_b32_e32 v51, 16, v36
.LBB947_253:                            ;   in Loop: Header=BB947_213 Depth=1
	s_or_b64 exec, exec, s[16:17]
.LBB947_254:                            ;   in Loop: Header=BB947_213 Depth=1
	s_or_b64 exec, exec, s[14:15]
.LBB947_255:                            ;   in Loop: Header=BB947_213 Depth=1
	s_or_b64 exec, exec, s[12:13]
	v_cmp_lt_u32_e32 vcc, s22, v34
	v_mov_b32_e32 v44, 0
	v_mov_b32_e32 v52, 0
	s_and_saveexec_b64 s[12:13], vcc
	s_cbranch_execz .LBB947_261
; %bb.256:                              ;   in Loop: Header=BB947_213 Depth=1
	v_lshrrev_b32_e32 v36, 24, v34
	v_cmp_ne_u32_e32 vcc, s9, v36
	v_mov_b32_e32 v52, 0xffff8000
	s_and_saveexec_b64 s[14:15], vcc
	s_cbranch_execz .LBB947_260
; %bb.257:                              ;   in Loop: Header=BB947_213 Depth=1
	v_bfe_u32 v34, v34, 24, 7
	v_cmp_ne_u32_e32 vcc, s21, v34
	v_mov_b32_e32 v52, 0x7f80
	s_and_saveexec_b64 s[16:17], vcc
	s_cbranch_execz .LBB947_259
; %bb.258:                              ;   in Loop: Header=BB947_213 Depth=1
	v_and_b32_e32 v62, 7, v36
	v_ffbh_u32_e32 v52, v62
	v_min_u32_e32 v64, 32, v52
	v_subrev_u32_e32 v52, 28, v64
	v_lshlrev_b64 v[52:53], v52, v[36:37]
	v_lshrrev_b32_e32 v63, 3, v34
	v_sub_u32_e32 v53, 29, v64
	v_and_b32_e32 v52, 7, v52
	v_cmp_gt_u32_e32 vcc, 8, v34
	v_cndmask_b32_e32 v34, v63, v53, vcc
	v_cndmask_b32_e32 v52, v62, v52, vcc
	v_lshlrev_b32_e32 v36, 24, v36
	v_lshlrev_b32_e32 v52, 20, v52
	v_and_b32_e32 v36, 0x80000000, v36
	v_lshl_add_u32 v34, v34, 23, v48
	v_or3_b32 v34, v36, v34, v52
	v_lshrrev_b32_e32 v52, 16, v34
.LBB947_259:                            ;   in Loop: Header=BB947_213 Depth=1
	s_or_b64 exec, exec, s[16:17]
.LBB947_260:                            ;   in Loop: Header=BB947_213 Depth=1
	s_or_b64 exec, exec, s[14:15]
.LBB947_261:                            ;   in Loop: Header=BB947_213 Depth=1
	s_or_b64 exec, exec, s[12:13]
	v_perm_b32 v63, v50, v46, s23
	v_perm_b32 v62, v37, v35, s23
	;; [unrolled: 1-line block ×4, first 2 shown]
	s_waitcnt vmcnt(1)
	v_cmp_ne_u16_sdwa s[14:15], v40, v47 src0_sel:BYTE_0 src1_sel:DWORD
	v_mfma_f32_16x16x16bf16_1k v[34:37], v[62:63], v[2:3], 0
	v_mfma_f32_16x16x16bf16_1k v[34:37], v[50:51], v[4:5], v[34:37]
	s_and_saveexec_b64 s[12:13], s[14:15]
	s_cbranch_execz .LBB947_267
; %bb.262:                              ;   in Loop: Header=BB947_213 Depth=1
	v_cmp_ne_u16_sdwa s[16:17], v40, s9 src0_sel:BYTE_0 src1_sel:DWORD
	v_mov_b32_e32 v44, 0xffff8000
	s_and_saveexec_b64 s[14:15], s[16:17]
	s_cbranch_execz .LBB947_266
; %bb.263:                              ;   in Loop: Header=BB947_213 Depth=1
	v_and_b32_e32 v42, 0x7f, v40
	v_cmp_ne_u32_e32 vcc, s21, v42
	v_mov_b32_e32 v44, 0x7f80
	s_and_saveexec_b64 s[16:17], vcc
	s_cbranch_execz .LBB947_265
; %bb.264:                              ;   in Loop: Header=BB947_213 Depth=1
	v_and_b32_e32 v44, 7, v40
	v_ffbh_u32_e32 v49, v44
	v_min_u32_e32 v49, 32, v49
	v_subrev_u32_e32 v50, 28, v49
	v_lshlrev_b64 v[50:51], v50, v[40:41]
	v_lshrrev_b32_e32 v46, 3, v42
	v_sub_u32_e32 v49, 29, v49
	v_and_b32_e32 v50, 7, v50
	v_cmp_gt_u32_e32 vcc, 8, v42
	v_cndmask_b32_e32 v42, v46, v49, vcc
	v_cndmask_b32_e32 v44, v44, v50, vcc
	v_lshlrev_b32_e32 v46, 24, v40
	v_lshlrev_b32_e32 v44, 20, v44
	v_and_b32_e32 v46, 0x80000000, v46
	v_lshl_add_u32 v42, v42, 23, v48
	v_or3_b32 v42, v46, v42, v44
	v_lshrrev_b32_e32 v44, 16, v42
.LBB947_265:                            ;   in Loop: Header=BB947_213 Depth=1
	s_or_b64 exec, exec, s[16:17]
.LBB947_266:                            ;   in Loop: Header=BB947_213 Depth=1
	s_or_b64 exec, exec, s[14:15]
.LBB947_267:                            ;   in Loop: Header=BB947_213 Depth=1
	s_or_b64 exec, exec, s[12:13]
	v_lshrrev_b16_e32 v42, 8, v40
	v_cmp_ne_u16_e32 vcc, 0, v42
	v_mov_b32_e32 v50, 0
	v_mov_b32_e32 v46, 0
	s_and_saveexec_b64 s[12:13], vcc
	s_cbranch_execz .LBB947_273
; %bb.268:                              ;   in Loop: Header=BB947_213 Depth=1
	v_cmp_ne_u16_e32 vcc, s9, v42
	v_mov_b32_e32 v46, 0xffff8000
	s_and_saveexec_b64 s[14:15], vcc
	s_cbranch_execz .LBB947_272
; %bb.269:                              ;   in Loop: Header=BB947_213 Depth=1
	v_and_b32_e32 v49, 0x7f, v42
	v_cmp_ne_u32_e32 vcc, s21, v49
	v_mov_b32_e32 v46, 0x7f80
	s_and_saveexec_b64 s[16:17], vcc
	s_cbranch_execz .LBB947_271
; %bb.270:                              ;   in Loop: Header=BB947_213 Depth=1
	v_and_b32_e32 v46, 7, v42
	v_ffbh_u32_e32 v52, v46
	v_min_u32_e32 v62, 32, v52
	v_subrev_u32_e32 v52, 28, v62
	v_lshlrev_b64 v[52:53], v52, v[42:43]
	v_lshrrev_b32_e32 v51, 3, v49
	v_sub_u32_e32 v42, 29, v62
	v_and_b32_e32 v52, 7, v52
	v_cmp_gt_u32_e32 vcc, 8, v49
	v_cndmask_b32_e32 v42, v51, v42, vcc
	v_cndmask_b32_e32 v46, v46, v52, vcc
	v_lshlrev_b32_e32 v49, 16, v40
	v_lshlrev_b32_e32 v46, 20, v46
	v_and_b32_e32 v49, 0x80000000, v49
	v_lshl_add_u32 v42, v42, 23, v48
	v_or3_b32 v42, v49, v42, v46
	v_lshrrev_b32_e32 v46, 16, v42
.LBB947_271:                            ;   in Loop: Header=BB947_213 Depth=1
	s_or_b64 exec, exec, s[16:17]
.LBB947_272:                            ;   in Loop: Header=BB947_213 Depth=1
	s_or_b64 exec, exec, s[14:15]
.LBB947_273:                            ;   in Loop: Header=BB947_213 Depth=1
	s_or_b64 exec, exec, s[12:13]
	v_lshrrev_b32_e32 v42, 16, v40
	v_cmp_ne_u16_sdwa s[14:15], v42, v47 src0_sel:BYTE_0 src1_sel:DWORD
	s_and_saveexec_b64 s[12:13], s[14:15]
	s_cbranch_execz .LBB947_279
; %bb.274:                              ;   in Loop: Header=BB947_213 Depth=1
	v_cmp_ne_u16_sdwa s[16:17], v42, s9 src0_sel:BYTE_0 src1_sel:DWORD
	v_mov_b32_e32 v50, 0xffff8000
	s_and_saveexec_b64 s[14:15], s[16:17]
	s_cbranch_execz .LBB947_278
; %bb.275:                              ;   in Loop: Header=BB947_213 Depth=1
	v_bfe_u32 v49, v40, 16, 7
	v_cmp_ne_u32_e32 vcc, s21, v49
	v_mov_b32_e32 v50, 0x7f80
	s_and_saveexec_b64 s[16:17], vcc
	s_cbranch_execz .LBB947_277
; %bb.276:                              ;   in Loop: Header=BB947_213 Depth=1
	v_and_b32_e32 v52, 7, v42
	v_ffbh_u32_e32 v50, v52
	v_min_u32_e32 v62, 32, v50
	v_subrev_u32_e32 v50, 28, v62
	v_lshlrev_b64 v[50:51], v50, v[42:43]
	v_lshrrev_b32_e32 v53, 3, v49
	v_sub_u32_e32 v51, 29, v62
	v_and_b32_e32 v50, 7, v50
	v_cmp_gt_u32_e32 vcc, 8, v49
	v_cndmask_b32_e32 v49, v53, v51, vcc
	v_cndmask_b32_e32 v50, v52, v50, vcc
	v_lshlrev_b32_e32 v42, 24, v42
	v_lshlrev_b32_e32 v50, 20, v50
	v_and_b32_e32 v42, 0x80000000, v42
	v_lshl_add_u32 v49, v49, 23, v48
	v_or3_b32 v42, v42, v49, v50
	v_lshrrev_b32_e32 v50, 16, v42
.LBB947_277:                            ;   in Loop: Header=BB947_213 Depth=1
	s_or_b64 exec, exec, s[16:17]
.LBB947_278:                            ;   in Loop: Header=BB947_213 Depth=1
	s_or_b64 exec, exec, s[14:15]
.LBB947_279:                            ;   in Loop: Header=BB947_213 Depth=1
	s_or_b64 exec, exec, s[12:13]
	v_cmp_lt_u32_e32 vcc, s22, v40
	v_mov_b32_e32 v51, 0
	v_mov_b32_e32 v52, 0
	s_and_saveexec_b64 s[12:13], vcc
	s_cbranch_execz .LBB947_285
; %bb.280:                              ;   in Loop: Header=BB947_213 Depth=1
	v_lshrrev_b32_e32 v42, 24, v40
	v_cmp_ne_u32_e32 vcc, s9, v42
	v_mov_b32_e32 v52, 0xffff8000
	s_and_saveexec_b64 s[14:15], vcc
	s_cbranch_execz .LBB947_284
; %bb.281:                              ;   in Loop: Header=BB947_213 Depth=1
	v_bfe_u32 v40, v40, 24, 7
	v_cmp_ne_u32_e32 vcc, s21, v40
	v_mov_b32_e32 v52, 0x7f80
	s_and_saveexec_b64 s[16:17], vcc
	s_cbranch_execz .LBB947_283
; %bb.282:                              ;   in Loop: Header=BB947_213 Depth=1
	v_and_b32_e32 v49, 7, v42
	v_ffbh_u32_e32 v52, v49
	v_min_u32_e32 v63, 32, v52
	v_subrev_u32_e32 v52, 28, v63
	v_lshlrev_b64 v[52:53], v52, v[42:43]
	v_lshrrev_b32_e32 v62, 3, v40
	v_sub_u32_e32 v53, 29, v63
	v_and_b32_e32 v52, 7, v52
	v_cmp_gt_u32_e32 vcc, 8, v40
	v_cndmask_b32_e32 v40, v62, v53, vcc
	v_cndmask_b32_e32 v49, v49, v52, vcc
	v_lshlrev_b32_e32 v42, 24, v42
	v_lshlrev_b32_e32 v49, 20, v49
	v_and_b32_e32 v42, 0x80000000, v42
	v_lshl_add_u32 v40, v40, 23, v48
	v_or3_b32 v40, v42, v40, v49
	v_lshrrev_b32_e32 v52, 16, v40
.LBB947_283:                            ;   in Loop: Header=BB947_213 Depth=1
	s_or_b64 exec, exec, s[16:17]
.LBB947_284:                            ;   in Loop: Header=BB947_213 Depth=1
	s_or_b64 exec, exec, s[14:15]
.LBB947_285:                            ;   in Loop: Header=BB947_213 Depth=1
	s_or_b64 exec, exec, s[12:13]
	s_waitcnt vmcnt(0)
	v_cmp_ne_u16_sdwa s[14:15], v38, v47 src0_sel:BYTE_0 src1_sel:DWORD
	s_and_saveexec_b64 s[12:13], s[14:15]
	s_cbranch_execz .LBB947_291
; %bb.286:                              ;   in Loop: Header=BB947_213 Depth=1
	v_cmp_ne_u16_sdwa s[16:17], v38, s9 src0_sel:BYTE_0 src1_sel:DWORD
	v_mov_b32_e32 v51, 0xffff8000
	s_and_saveexec_b64 s[14:15], s[16:17]
	s_cbranch_execz .LBB947_290
; %bb.287:                              ;   in Loop: Header=BB947_213 Depth=1
	v_and_b32_e32 v40, 0x7f, v38
	v_cmp_ne_u32_e32 vcc, s21, v40
	v_mov_b32_e32 v51, 0x7f80
	s_and_saveexec_b64 s[16:17], vcc
	s_cbranch_execz .LBB947_289
; %bb.288:                              ;   in Loop: Header=BB947_213 Depth=1
	v_and_b32_e32 v42, 7, v38
	v_ffbh_u32_e32 v51, v42
	v_min_u32_e32 v51, 32, v51
	v_subrev_u32_e32 v53, 28, v51
	v_lshlrev_b64 v[62:63], v53, v[38:39]
	v_lshrrev_b32_e32 v49, 3, v40
	v_sub_u32_e32 v51, 29, v51
	v_and_b32_e32 v53, 7, v62
	v_cmp_gt_u32_e32 vcc, 8, v40
	v_cndmask_b32_e32 v40, v49, v51, vcc
	v_cndmask_b32_e32 v42, v42, v53, vcc
	v_lshlrev_b32_e32 v49, 24, v38
	v_lshlrev_b32_e32 v42, 20, v42
	v_and_b32_e32 v49, 0x80000000, v49
	v_lshl_add_u32 v40, v40, 23, v48
	v_or3_b32 v40, v49, v40, v42
	v_lshrrev_b32_e32 v51, 16, v40
.LBB947_289:                            ;   in Loop: Header=BB947_213 Depth=1
	s_or_b64 exec, exec, s[16:17]
.LBB947_290:                            ;   in Loop: Header=BB947_213 Depth=1
	s_or_b64 exec, exec, s[14:15]
.LBB947_291:                            ;   in Loop: Header=BB947_213 Depth=1
	s_or_b64 exec, exec, s[12:13]
	v_lshrrev_b16_e32 v40, 8, v38
	v_cmp_ne_u16_e32 vcc, 0, v40
	v_mov_b32_e32 v62, 0
	v_mov_b32_e32 v53, 0
	s_and_saveexec_b64 s[12:13], vcc
	s_cbranch_execz .LBB947_297
; %bb.292:                              ;   in Loop: Header=BB947_213 Depth=1
	v_cmp_ne_u16_e32 vcc, s9, v40
	v_mov_b32_e32 v53, 0xffff8000
	s_and_saveexec_b64 s[14:15], vcc
	s_cbranch_execz .LBB947_296
; %bb.293:                              ;   in Loop: Header=BB947_213 Depth=1
	v_and_b32_e32 v42, 0x7f, v40
	v_cmp_ne_u32_e32 vcc, s21, v42
	v_mov_b32_e32 v53, 0x7f80
	s_and_saveexec_b64 s[16:17], vcc
	s_cbranch_execz .LBB947_295
; %bb.294:                              ;   in Loop: Header=BB947_213 Depth=1
	v_and_b32_e32 v49, 7, v40
	v_ffbh_u32_e32 v63, v49
	v_min_u32_e32 v63, 32, v63
	v_subrev_u32_e32 v64, 28, v63
	v_lshlrev_b64 v[64:65], v64, v[40:41]
	v_lshrrev_b32_e32 v53, 3, v42
	v_sub_u32_e32 v40, 29, v63
	v_and_b32_e32 v63, 7, v64
	v_cmp_gt_u32_e32 vcc, 8, v42
	v_cndmask_b32_e32 v40, v53, v40, vcc
	v_cndmask_b32_e32 v42, v49, v63, vcc
	v_lshlrev_b32_e32 v49, 16, v38
	v_lshlrev_b32_e32 v42, 20, v42
	v_and_b32_e32 v49, 0x80000000, v49
	v_lshl_add_u32 v40, v40, 23, v48
	v_or3_b32 v40, v49, v40, v42
	v_lshrrev_b32_e32 v53, 16, v40
.LBB947_295:                            ;   in Loop: Header=BB947_213 Depth=1
	s_or_b64 exec, exec, s[16:17]
.LBB947_296:                            ;   in Loop: Header=BB947_213 Depth=1
	s_or_b64 exec, exec, s[14:15]
.LBB947_297:                            ;   in Loop: Header=BB947_213 Depth=1
	s_or_b64 exec, exec, s[12:13]
	v_lshrrev_b32_e32 v40, 16, v38
	v_cmp_ne_u16_sdwa s[14:15], v40, v47 src0_sel:BYTE_0 src1_sel:DWORD
	s_and_saveexec_b64 s[12:13], s[14:15]
	s_cbranch_execz .LBB947_303
; %bb.298:                              ;   in Loop: Header=BB947_213 Depth=1
	v_cmp_ne_u16_sdwa s[16:17], v40, s9 src0_sel:BYTE_0 src1_sel:DWORD
	v_mov_b32_e32 v62, 0xffff8000
	s_and_saveexec_b64 s[14:15], s[16:17]
	s_cbranch_execz .LBB947_302
; %bb.299:                              ;   in Loop: Header=BB947_213 Depth=1
	v_bfe_u32 v42, v38, 16, 7
	v_cmp_ne_u32_e32 vcc, s21, v42
	v_mov_b32_e32 v62, 0x7f80
	s_and_saveexec_b64 s[16:17], vcc
	s_cbranch_execz .LBB947_301
; %bb.300:                              ;   in Loop: Header=BB947_213 Depth=1
	v_and_b32_e32 v49, 7, v40
	v_ffbh_u32_e32 v62, v49
	v_min_u32_e32 v65, 32, v62
	v_subrev_u32_e32 v62, 28, v65
	v_lshlrev_b64 v[62:63], v62, v[40:41]
	v_lshrrev_b32_e32 v64, 3, v42
	v_sub_u32_e32 v63, 29, v65
	v_and_b32_e32 v62, 7, v62
	v_cmp_gt_u32_e32 vcc, 8, v42
	v_cndmask_b32_e32 v42, v64, v63, vcc
	v_cndmask_b32_e32 v49, v49, v62, vcc
	v_lshlrev_b32_e32 v40, 24, v40
	v_lshlrev_b32_e32 v49, 20, v49
	v_and_b32_e32 v40, 0x80000000, v40
	v_lshl_add_u32 v42, v42, 23, v48
	v_or3_b32 v40, v40, v42, v49
	v_lshrrev_b32_e32 v62, 16, v40
.LBB947_301:                            ;   in Loop: Header=BB947_213 Depth=1
	s_or_b64 exec, exec, s[16:17]
.LBB947_302:                            ;   in Loop: Header=BB947_213 Depth=1
	s_or_b64 exec, exec, s[14:15]
.LBB947_303:                            ;   in Loop: Header=BB947_213 Depth=1
	s_or_b64 exec, exec, s[12:13]
	v_cmp_lt_u32_e32 vcc, s22, v38
	v_mov_b32_e32 v49, 0
	v_mov_b32_e32 v63, 0
	s_and_saveexec_b64 s[12:13], vcc
	s_cbranch_execz .LBB947_309
; %bb.304:                              ;   in Loop: Header=BB947_213 Depth=1
	v_lshrrev_b32_e32 v40, 24, v38
	v_cmp_ne_u32_e32 vcc, s9, v40
	v_mov_b32_e32 v63, 0xffff8000
	s_and_saveexec_b64 s[14:15], vcc
	s_cbranch_execz .LBB947_308
; %bb.305:                              ;   in Loop: Header=BB947_213 Depth=1
	v_bfe_u32 v38, v38, 24, 7
	v_cmp_ne_u32_e32 vcc, s21, v38
	v_mov_b32_e32 v63, 0x7f80
	s_and_saveexec_b64 s[16:17], vcc
	s_cbranch_execz .LBB947_307
; %bb.306:                              ;   in Loop: Header=BB947_213 Depth=1
	v_and_b32_e32 v42, 7, v40
	v_ffbh_u32_e32 v64, v42
	v_min_u32_e32 v66, 32, v64
	v_subrev_u32_e32 v64, 28, v66
	v_lshlrev_b64 v[64:65], v64, v[40:41]
	v_lshrrev_b32_e32 v63, 3, v38
	v_sub_u32_e32 v65, 29, v66
	v_and_b32_e32 v64, 7, v64
	v_cmp_gt_u32_e32 vcc, 8, v38
	v_cndmask_b32_e32 v38, v63, v65, vcc
	v_cndmask_b32_e32 v42, v42, v64, vcc
	v_lshlrev_b32_e32 v40, 24, v40
	v_lshlrev_b32_e32 v42, 20, v42
	v_and_b32_e32 v40, 0x80000000, v40
	v_lshl_add_u32 v38, v38, 23, v48
	v_or3_b32 v38, v40, v38, v42
	v_lshrrev_b32_e32 v63, 16, v38
.LBB947_307:                            ;   in Loop: Header=BB947_213 Depth=1
	s_or_b64 exec, exec, s[16:17]
.LBB947_308:                            ;   in Loop: Header=BB947_213 Depth=1
	s_or_b64 exec, exec, s[14:15]
.LBB947_309:                            ;   in Loop: Header=BB947_213 Depth=1
	s_or_b64 exec, exec, s[12:13]
	v_perm_b32 v64, v46, v44, s23
	buffer_load_dword v44, v61, s[0:3], 0 offen
	buffer_load_dword v42, v61, s[0:3], 0 offen offset:4
	buffer_load_dword v40, v61, s[0:3], 0 offen offset:8
	;; [unrolled: 1-line block ×3, first 2 shown]
	v_perm_b32 v65, v52, v50, s23
	v_perm_b32 v63, v63, v62, s23
	;; [unrolled: 1-line block ×3, first 2 shown]
	v_mfma_f32_16x16x16bf16_1k v[34:37], v[64:65], v[6:7], v[34:37]
	s_waitcnt vmcnt(3)
	v_cmp_ne_u16_sdwa s[14:15], v44, v47 src0_sel:BYTE_0 src1_sel:DWORD
	v_mfma_f32_16x16x16bf16_1k v[34:37], v[62:63], v[8:9], v[34:37]
	s_and_saveexec_b64 s[12:13], s[14:15]
	s_cbranch_execz .LBB947_315
; %bb.310:                              ;   in Loop: Header=BB947_213 Depth=1
	v_cmp_ne_u16_sdwa s[16:17], v44, s9 src0_sel:BYTE_0 src1_sel:DWORD
	v_mov_b32_e32 v49, 0xffff8000
	s_and_saveexec_b64 s[14:15], s[16:17]
	s_cbranch_execz .LBB947_314
; %bb.311:                              ;   in Loop: Header=BB947_213 Depth=1
	v_and_b32_e32 v46, 0x7f, v44
	v_cmp_ne_u32_e32 vcc, s21, v46
	v_mov_b32_e32 v49, 0x7f80
	s_and_saveexec_b64 s[16:17], vcc
	s_cbranch_execz .LBB947_313
; %bb.312:                              ;   in Loop: Header=BB947_213 Depth=1
	v_and_b32_e32 v49, 7, v44
	v_ffbh_u32_e32 v50, v49
	v_min_u32_e32 v53, 32, v50
	v_subrev_u32_e32 v50, 28, v53
	v_lshlrev_b64 v[50:51], v50, v[44:45]
	v_lshrrev_b32_e32 v52, 3, v46
	v_sub_u32_e32 v51, 29, v53
	v_and_b32_e32 v50, 7, v50
	v_cmp_gt_u32_e32 vcc, 8, v46
	v_cndmask_b32_e32 v46, v52, v51, vcc
	v_cndmask_b32_e32 v49, v49, v50, vcc
	v_lshlrev_b32_e32 v50, 24, v44
	v_lshlrev_b32_e32 v49, 20, v49
	v_and_b32_e32 v50, 0x80000000, v50
	v_lshl_add_u32 v46, v46, 23, v48
	v_or3_b32 v46, v50, v46, v49
	v_lshrrev_b32_e32 v49, 16, v46
.LBB947_313:                            ;   in Loop: Header=BB947_213 Depth=1
	s_or_b64 exec, exec, s[16:17]
.LBB947_314:                            ;   in Loop: Header=BB947_213 Depth=1
	s_or_b64 exec, exec, s[14:15]
.LBB947_315:                            ;   in Loop: Header=BB947_213 Depth=1
	s_or_b64 exec, exec, s[12:13]
	v_lshrrev_b16_e32 v46, 8, v44
	v_cmp_ne_u16_e32 vcc, 0, v46
	v_mov_b32_e32 v51, 0
	v_mov_b32_e32 v50, 0
	s_and_saveexec_b64 s[12:13], vcc
	s_cbranch_execz .LBB947_321
; %bb.316:                              ;   in Loop: Header=BB947_213 Depth=1
	v_cmp_ne_u16_e32 vcc, s9, v46
	v_mov_b32_e32 v50, 0xffff8000
	s_and_saveexec_b64 s[14:15], vcc
	s_cbranch_execz .LBB947_320
; %bb.317:                              ;   in Loop: Header=BB947_213 Depth=1
	v_and_b32_e32 v52, 0x7f, v46
	v_cmp_ne_u32_e32 vcc, s21, v52
	v_mov_b32_e32 v50, 0x7f80
	s_and_saveexec_b64 s[16:17], vcc
	s_cbranch_execz .LBB947_319
; %bb.318:                              ;   in Loop: Header=BB947_213 Depth=1
	v_and_b32_e32 v50, 7, v46
	v_ffbh_u32_e32 v61, v50
	v_min_u32_e32 v61, 32, v61
	v_subrev_u32_e32 v62, 28, v61
	v_lshlrev_b64 v[62:63], v62, v[46:47]
	v_lshrrev_b32_e32 v53, 3, v52
	v_sub_u32_e32 v46, 29, v61
	v_and_b32_e32 v61, 7, v62
	v_cmp_gt_u32_e32 vcc, 8, v52
	v_cndmask_b32_e32 v46, v53, v46, vcc
	v_cndmask_b32_e32 v50, v50, v61, vcc
	v_lshlrev_b32_e32 v52, 16, v44
	v_lshlrev_b32_e32 v50, 20, v50
	v_and_b32_e32 v52, 0x80000000, v52
	v_lshl_add_u32 v46, v46, 23, v48
	v_or3_b32 v46, v52, v46, v50
	v_lshrrev_b32_e32 v50, 16, v46
.LBB947_319:                            ;   in Loop: Header=BB947_213 Depth=1
	s_or_b64 exec, exec, s[16:17]
.LBB947_320:                            ;   in Loop: Header=BB947_213 Depth=1
	s_or_b64 exec, exec, s[14:15]
.LBB947_321:                            ;   in Loop: Header=BB947_213 Depth=1
	s_or_b64 exec, exec, s[12:13]
	v_lshrrev_b32_e32 v46, 16, v44
	v_cmp_ne_u16_sdwa s[14:15], v46, v47 src0_sel:BYTE_0 src1_sel:DWORD
	s_and_saveexec_b64 s[12:13], s[14:15]
	s_cbranch_execz .LBB947_327
; %bb.322:                              ;   in Loop: Header=BB947_213 Depth=1
	v_cmp_ne_u16_sdwa s[16:17], v46, s9 src0_sel:BYTE_0 src1_sel:DWORD
	v_mov_b32_e32 v51, 0xffff8000
	s_and_saveexec_b64 s[14:15], s[16:17]
	s_cbranch_execz .LBB947_326
; %bb.323:                              ;   in Loop: Header=BB947_213 Depth=1
	v_bfe_u32 v52, v44, 16, 7
	v_cmp_ne_u32_e32 vcc, s21, v52
	v_mov_b32_e32 v51, 0x7f80
	s_and_saveexec_b64 s[16:17], vcc
	s_cbranch_execz .LBB947_325
; %bb.324:                              ;   in Loop: Header=BB947_213 Depth=1
	v_and_b32_e32 v51, 7, v46
	v_ffbh_u32_e32 v61, v51
	v_min_u32_e32 v61, 32, v61
	v_subrev_u32_e32 v62, 28, v61
	v_lshlrev_b64 v[62:63], v62, v[46:47]
	v_lshrrev_b32_e32 v53, 3, v52
	v_sub_u32_e32 v61, 29, v61
	v_and_b32_e32 v62, 7, v62
	v_cmp_gt_u32_e32 vcc, 8, v52
	v_cndmask_b32_e32 v52, v53, v61, vcc
	v_cndmask_b32_e32 v51, v51, v62, vcc
	v_lshlrev_b32_e32 v46, 24, v46
	v_lshlrev_b32_e32 v51, 20, v51
	v_and_b32_e32 v46, 0x80000000, v46
	v_lshl_add_u32 v52, v52, 23, v48
	v_or3_b32 v46, v46, v52, v51
	v_lshrrev_b32_e32 v51, 16, v46
.LBB947_325:                            ;   in Loop: Header=BB947_213 Depth=1
	s_or_b64 exec, exec, s[16:17]
.LBB947_326:                            ;   in Loop: Header=BB947_213 Depth=1
	s_or_b64 exec, exec, s[14:15]
.LBB947_327:                            ;   in Loop: Header=BB947_213 Depth=1
	s_or_b64 exec, exec, s[12:13]
	v_cmp_lt_u32_e32 vcc, s22, v44
	v_mov_b32_e32 v52, 0
	v_mov_b32_e32 v53, 0
	s_and_saveexec_b64 s[12:13], vcc
	s_cbranch_execz .LBB947_333
; %bb.328:                              ;   in Loop: Header=BB947_213 Depth=1
	v_lshrrev_b32_e32 v46, 24, v44
	v_cmp_ne_u32_e32 vcc, s9, v46
	v_mov_b32_e32 v53, 0xffff8000
	s_and_saveexec_b64 s[14:15], vcc
	s_cbranch_execz .LBB947_332
; %bb.329:                              ;   in Loop: Header=BB947_213 Depth=1
	v_bfe_u32 v44, v44, 24, 7
	v_cmp_ne_u32_e32 vcc, s21, v44
	v_mov_b32_e32 v53, 0x7f80
	s_and_saveexec_b64 s[16:17], vcc
	s_cbranch_execz .LBB947_331
; %bb.330:                              ;   in Loop: Header=BB947_213 Depth=1
	v_and_b32_e32 v53, 7, v46
	v_ffbh_u32_e32 v62, v53
	v_min_u32_e32 v64, 32, v62
	v_subrev_u32_e32 v62, 28, v64
	v_lshlrev_b64 v[62:63], v62, v[46:47]
	v_lshrrev_b32_e32 v61, 3, v44
	v_sub_u32_e32 v63, 29, v64
	v_and_b32_e32 v62, 7, v62
	v_cmp_gt_u32_e32 vcc, 8, v44
	v_cndmask_b32_e32 v44, v61, v63, vcc
	v_cndmask_b32_e32 v53, v53, v62, vcc
	v_lshlrev_b32_e32 v46, 24, v46
	v_lshlrev_b32_e32 v53, 20, v53
	v_and_b32_e32 v46, 0x80000000, v46
	v_lshl_add_u32 v44, v44, 23, v48
	v_or3_b32 v44, v46, v44, v53
	v_lshrrev_b32_e32 v53, 16, v44
.LBB947_331:                            ;   in Loop: Header=BB947_213 Depth=1
	s_or_b64 exec, exec, s[16:17]
.LBB947_332:                            ;   in Loop: Header=BB947_213 Depth=1
	s_or_b64 exec, exec, s[14:15]
.LBB947_333:                            ;   in Loop: Header=BB947_213 Depth=1
	s_or_b64 exec, exec, s[12:13]
	s_waitcnt vmcnt(2)
	v_cmp_ne_u16_sdwa s[14:15], v42, v47 src0_sel:BYTE_0 src1_sel:DWORD
	s_and_saveexec_b64 s[12:13], s[14:15]
	s_cbranch_execz .LBB947_339
; %bb.334:                              ;   in Loop: Header=BB947_213 Depth=1
	v_cmp_ne_u16_sdwa s[16:17], v42, s9 src0_sel:BYTE_0 src1_sel:DWORD
	v_mov_b32_e32 v52, 0xffff8000
	s_and_saveexec_b64 s[14:15], s[16:17]
	s_cbranch_execz .LBB947_338
; %bb.335:                              ;   in Loop: Header=BB947_213 Depth=1
	v_and_b32_e32 v44, 0x7f, v42
	v_cmp_ne_u32_e32 vcc, s21, v44
	v_mov_b32_e32 v52, 0x7f80
	s_and_saveexec_b64 s[16:17], vcc
	s_cbranch_execz .LBB947_337
; %bb.336:                              ;   in Loop: Header=BB947_213 Depth=1
	v_and_b32_e32 v46, 7, v42
	v_ffbh_u32_e32 v61, v46
	v_min_u32_e32 v61, 32, v61
	v_subrev_u32_e32 v62, 28, v61
	v_lshlrev_b64 v[62:63], v62, v[42:43]
	v_lshrrev_b32_e32 v52, 3, v44
	v_sub_u32_e32 v61, 29, v61
	v_and_b32_e32 v62, 7, v62
	v_cmp_gt_u32_e32 vcc, 8, v44
	v_cndmask_b32_e32 v44, v52, v61, vcc
	v_cndmask_b32_e32 v46, v46, v62, vcc
	v_lshlrev_b32_e32 v52, 24, v42
	v_lshlrev_b32_e32 v46, 20, v46
	v_and_b32_e32 v52, 0x80000000, v52
	v_lshl_add_u32 v44, v44, 23, v48
	v_or3_b32 v44, v52, v44, v46
	v_lshrrev_b32_e32 v52, 16, v44
.LBB947_337:                            ;   in Loop: Header=BB947_213 Depth=1
	s_or_b64 exec, exec, s[16:17]
.LBB947_338:                            ;   in Loop: Header=BB947_213 Depth=1
	s_or_b64 exec, exec, s[14:15]
.LBB947_339:                            ;   in Loop: Header=BB947_213 Depth=1
	s_or_b64 exec, exec, s[12:13]
	v_lshrrev_b16_e32 v44, 8, v42
	v_cmp_ne_u16_e32 vcc, 0, v44
	v_mov_b32_e32 v62, 0
	v_mov_b32_e32 v61, 0
	s_and_saveexec_b64 s[12:13], vcc
	s_cbranch_execz .LBB947_345
; %bb.340:                              ;   in Loop: Header=BB947_213 Depth=1
	v_cmp_ne_u16_e32 vcc, s9, v44
	v_mov_b32_e32 v61, 0xffff8000
	s_and_saveexec_b64 s[14:15], vcc
	s_cbranch_execz .LBB947_344
; %bb.341:                              ;   in Loop: Header=BB947_213 Depth=1
	v_and_b32_e32 v46, 0x7f, v44
	v_cmp_ne_u32_e32 vcc, s21, v46
	v_mov_b32_e32 v61, 0x7f80
	s_and_saveexec_b64 s[16:17], vcc
	s_cbranch_execz .LBB947_343
; %bb.342:                              ;   in Loop: Header=BB947_213 Depth=1
	v_and_b32_e32 v61, 7, v44
	v_ffbh_u32_e32 v64, v61
	v_min_u32_e32 v66, 32, v64
	v_subrev_u32_e32 v64, 28, v66
	v_lshlrev_b64 v[64:65], v64, v[44:45]
	v_lshrrev_b32_e32 v63, 3, v46
	v_sub_u32_e32 v44, 29, v66
	v_and_b32_e32 v64, 7, v64
	v_cmp_gt_u32_e32 vcc, 8, v46
	v_cndmask_b32_e32 v44, v63, v44, vcc
	v_cndmask_b32_e32 v46, v61, v64, vcc
	v_lshlrev_b32_e32 v61, 16, v42
	v_lshlrev_b32_e32 v46, 20, v46
	v_and_b32_e32 v61, 0x80000000, v61
	v_lshl_add_u32 v44, v44, 23, v48
	v_or3_b32 v44, v61, v44, v46
	v_lshrrev_b32_e32 v61, 16, v44
.LBB947_343:                            ;   in Loop: Header=BB947_213 Depth=1
	s_or_b64 exec, exec, s[16:17]
.LBB947_344:                            ;   in Loop: Header=BB947_213 Depth=1
	s_or_b64 exec, exec, s[14:15]
.LBB947_345:                            ;   in Loop: Header=BB947_213 Depth=1
	s_or_b64 exec, exec, s[12:13]
	v_lshrrev_b32_e32 v44, 16, v42
	v_cmp_ne_u16_sdwa s[14:15], v44, v47 src0_sel:BYTE_0 src1_sel:DWORD
	s_and_saveexec_b64 s[12:13], s[14:15]
	s_cbranch_execz .LBB947_351
; %bb.346:                              ;   in Loop: Header=BB947_213 Depth=1
	v_cmp_ne_u16_sdwa s[16:17], v44, s9 src0_sel:BYTE_0 src1_sel:DWORD
	v_mov_b32_e32 v62, 0xffff8000
	s_and_saveexec_b64 s[14:15], s[16:17]
	s_cbranch_execz .LBB947_350
; %bb.347:                              ;   in Loop: Header=BB947_213 Depth=1
	v_bfe_u32 v46, v42, 16, 7
	v_cmp_ne_u32_e32 vcc, s21, v46
	v_mov_b32_e32 v62, 0x7f80
	s_and_saveexec_b64 s[16:17], vcc
	s_cbranch_execz .LBB947_349
; %bb.348:                              ;   in Loop: Header=BB947_213 Depth=1
	v_and_b32_e32 v64, 7, v44
	v_ffbh_u32_e32 v62, v64
	v_min_u32_e32 v66, 32, v62
	v_subrev_u32_e32 v62, 28, v66
	v_lshlrev_b64 v[62:63], v62, v[44:45]
	v_lshrrev_b32_e32 v65, 3, v46
	v_sub_u32_e32 v63, 29, v66
	v_and_b32_e32 v62, 7, v62
	v_cmp_gt_u32_e32 vcc, 8, v46
	v_cndmask_b32_e32 v46, v65, v63, vcc
	v_cndmask_b32_e32 v62, v64, v62, vcc
	v_lshlrev_b32_e32 v44, 24, v44
	v_lshlrev_b32_e32 v62, 20, v62
	v_and_b32_e32 v44, 0x80000000, v44
	v_lshl_add_u32 v46, v46, 23, v48
	v_or3_b32 v44, v44, v46, v62
	v_lshrrev_b32_e32 v62, 16, v44
.LBB947_349:                            ;   in Loop: Header=BB947_213 Depth=1
	s_or_b64 exec, exec, s[16:17]
.LBB947_350:                            ;   in Loop: Header=BB947_213 Depth=1
	s_or_b64 exec, exec, s[14:15]
.LBB947_351:                            ;   in Loop: Header=BB947_213 Depth=1
	s_or_b64 exec, exec, s[12:13]
	v_cmp_lt_u32_e32 vcc, s22, v42
	v_mov_b32_e32 v46, 0
	v_mov_b32_e32 v63, 0
	s_and_saveexec_b64 s[12:13], vcc
	s_cbranch_execz .LBB947_357
; %bb.352:                              ;   in Loop: Header=BB947_213 Depth=1
	v_lshrrev_b32_e32 v44, 24, v42
	v_cmp_ne_u32_e32 vcc, s9, v44
	v_mov_b32_e32 v63, 0xffff8000
	s_and_saveexec_b64 s[14:15], vcc
	s_cbranch_execz .LBB947_356
; %bb.353:                              ;   in Loop: Header=BB947_213 Depth=1
	v_bfe_u32 v42, v42, 24, 7
	v_cmp_ne_u32_e32 vcc, s21, v42
	v_mov_b32_e32 v63, 0x7f80
	s_and_saveexec_b64 s[16:17], vcc
	s_cbranch_execz .LBB947_355
; %bb.354:                              ;   in Loop: Header=BB947_213 Depth=1
	v_and_b32_e32 v63, 7, v44
	v_ffbh_u32_e32 v64, v63
	v_min_u32_e32 v67, 32, v64
	v_subrev_u32_e32 v64, 28, v67
	v_lshlrev_b64 v[64:65], v64, v[44:45]
	v_lshrrev_b32_e32 v66, 3, v42
	v_sub_u32_e32 v65, 29, v67
	v_and_b32_e32 v64, 7, v64
	v_cmp_gt_u32_e32 vcc, 8, v42
	v_cndmask_b32_e32 v42, v66, v65, vcc
	v_cndmask_b32_e32 v63, v63, v64, vcc
	v_lshlrev_b32_e32 v44, 24, v44
	v_lshlrev_b32_e32 v63, 20, v63
	v_and_b32_e32 v44, 0x80000000, v44
	v_lshl_add_u32 v42, v42, 23, v48
	v_or3_b32 v42, v44, v42, v63
	v_lshrrev_b32_e32 v63, 16, v42
.LBB947_355:                            ;   in Loop: Header=BB947_213 Depth=1
	s_or_b64 exec, exec, s[16:17]
.LBB947_356:                            ;   in Loop: Header=BB947_213 Depth=1
	s_or_b64 exec, exec, s[14:15]
.LBB947_357:                            ;   in Loop: Header=BB947_213 Depth=1
	s_or_b64 exec, exec, s[12:13]
	v_perm_b32 v51, v53, v51, s23
	v_perm_b32 v50, v50, v49, s23
	s_waitcnt vmcnt(1)
	v_cmp_ne_u16_sdwa s[14:15], v40, v47 src0_sel:BYTE_0 src1_sel:DWORD
	v_mfma_f32_16x16x16bf16_1k v[34:37], v[50:51], v[10:11], v[34:37]
	v_perm_b32 v51, v63, v62, s23
	v_perm_b32 v50, v61, v52, s23
	s_nop 1
	v_mfma_f32_16x16x16bf16_1k v[34:37], v[50:51], v[12:13], v[34:37]
	s_and_saveexec_b64 s[12:13], s[14:15]
	s_cbranch_execz .LBB947_363
; %bb.358:                              ;   in Loop: Header=BB947_213 Depth=1
	v_cmp_ne_u16_sdwa s[16:17], v40, s9 src0_sel:BYTE_0 src1_sel:DWORD
	v_mov_b32_e32 v46, 0xffff8000
	s_and_saveexec_b64 s[14:15], s[16:17]
	s_cbranch_execz .LBB947_362
; %bb.359:                              ;   in Loop: Header=BB947_213 Depth=1
	v_and_b32_e32 v42, 0x7f, v40
	v_cmp_ne_u32_e32 vcc, s21, v42
	v_mov_b32_e32 v46, 0x7f80
	s_and_saveexec_b64 s[16:17], vcc
	s_cbranch_execz .LBB947_361
; %bb.360:                              ;   in Loop: Header=BB947_213 Depth=1
	v_and_b32_e32 v44, 7, v40
	v_ffbh_u32_e32 v49, v44
	v_min_u32_e32 v49, 32, v49
	v_subrev_u32_e32 v50, 28, v49
	v_lshlrev_b64 v[50:51], v50, v[40:41]
	v_lshrrev_b32_e32 v46, 3, v42
	v_sub_u32_e32 v49, 29, v49
	v_and_b32_e32 v50, 7, v50
	v_cmp_gt_u32_e32 vcc, 8, v42
	v_cndmask_b32_e32 v42, v46, v49, vcc
	v_cndmask_b32_e32 v44, v44, v50, vcc
	v_lshlrev_b32_e32 v46, 24, v40
	v_lshlrev_b32_e32 v44, 20, v44
	v_and_b32_e32 v46, 0x80000000, v46
	v_lshl_add_u32 v42, v42, 23, v48
	v_or3_b32 v42, v46, v42, v44
	v_lshrrev_b32_e32 v46, 16, v42
.LBB947_361:                            ;   in Loop: Header=BB947_213 Depth=1
	s_or_b64 exec, exec, s[16:17]
.LBB947_362:                            ;   in Loop: Header=BB947_213 Depth=1
	s_or_b64 exec, exec, s[14:15]
.LBB947_363:                            ;   in Loop: Header=BB947_213 Depth=1
	s_or_b64 exec, exec, s[12:13]
	v_lshrrev_b16_e32 v42, 8, v40
	v_cmp_ne_u16_e32 vcc, 0, v42
	v_mov_b32_e32 v50, 0
	v_mov_b32_e32 v44, 0
	s_and_saveexec_b64 s[12:13], vcc
	s_cbranch_execz .LBB947_369
; %bb.364:                              ;   in Loop: Header=BB947_213 Depth=1
	v_cmp_ne_u16_e32 vcc, s9, v42
	v_mov_b32_e32 v44, 0xffff8000
	s_and_saveexec_b64 s[14:15], vcc
	s_cbranch_execz .LBB947_368
; %bb.365:                              ;   in Loop: Header=BB947_213 Depth=1
	v_and_b32_e32 v49, 0x7f, v42
	v_cmp_ne_u32_e32 vcc, s21, v49
	v_mov_b32_e32 v44, 0x7f80
	s_and_saveexec_b64 s[16:17], vcc
	s_cbranch_execz .LBB947_367
; %bb.366:                              ;   in Loop: Header=BB947_213 Depth=1
	v_and_b32_e32 v44, 7, v42
	v_ffbh_u32_e32 v52, v44
	v_min_u32_e32 v61, 32, v52
	v_subrev_u32_e32 v52, 28, v61
	v_lshlrev_b64 v[52:53], v52, v[42:43]
	v_lshrrev_b32_e32 v51, 3, v49
	v_sub_u32_e32 v42, 29, v61
	v_and_b32_e32 v52, 7, v52
	v_cmp_gt_u32_e32 vcc, 8, v49
	v_cndmask_b32_e32 v42, v51, v42, vcc
	v_cndmask_b32_e32 v44, v44, v52, vcc
	v_lshlrev_b32_e32 v49, 16, v40
	v_lshlrev_b32_e32 v44, 20, v44
	v_and_b32_e32 v49, 0x80000000, v49
	v_lshl_add_u32 v42, v42, 23, v48
	v_or3_b32 v42, v49, v42, v44
	v_lshrrev_b32_e32 v44, 16, v42
.LBB947_367:                            ;   in Loop: Header=BB947_213 Depth=1
	s_or_b64 exec, exec, s[16:17]
.LBB947_368:                            ;   in Loop: Header=BB947_213 Depth=1
	s_or_b64 exec, exec, s[14:15]
.LBB947_369:                            ;   in Loop: Header=BB947_213 Depth=1
	s_or_b64 exec, exec, s[12:13]
	v_lshrrev_b32_e32 v42, 16, v40
	v_cmp_ne_u16_sdwa s[14:15], v42, v47 src0_sel:BYTE_0 src1_sel:DWORD
	s_and_saveexec_b64 s[12:13], s[14:15]
	s_cbranch_execz .LBB947_375
; %bb.370:                              ;   in Loop: Header=BB947_213 Depth=1
	v_cmp_ne_u16_sdwa s[16:17], v42, s9 src0_sel:BYTE_0 src1_sel:DWORD
	v_mov_b32_e32 v50, 0xffff8000
	s_and_saveexec_b64 s[14:15], s[16:17]
	s_cbranch_execz .LBB947_374
; %bb.371:                              ;   in Loop: Header=BB947_213 Depth=1
	v_bfe_u32 v49, v40, 16, 7
	v_cmp_ne_u32_e32 vcc, s21, v49
	v_mov_b32_e32 v50, 0x7f80
	s_and_saveexec_b64 s[16:17], vcc
	s_cbranch_execz .LBB947_373
; %bb.372:                              ;   in Loop: Header=BB947_213 Depth=1
	v_and_b32_e32 v52, 7, v42
	v_ffbh_u32_e32 v50, v52
	v_min_u32_e32 v61, 32, v50
	v_subrev_u32_e32 v50, 28, v61
	v_lshlrev_b64 v[50:51], v50, v[42:43]
	v_lshrrev_b32_e32 v53, 3, v49
	v_sub_u32_e32 v51, 29, v61
	v_and_b32_e32 v50, 7, v50
	v_cmp_gt_u32_e32 vcc, 8, v49
	v_cndmask_b32_e32 v49, v53, v51, vcc
	v_cndmask_b32_e32 v50, v52, v50, vcc
	v_lshlrev_b32_e32 v42, 24, v42
	v_lshlrev_b32_e32 v50, 20, v50
	v_and_b32_e32 v42, 0x80000000, v42
	v_lshl_add_u32 v49, v49, 23, v48
	v_or3_b32 v42, v42, v49, v50
	v_lshrrev_b32_e32 v50, 16, v42
.LBB947_373:                            ;   in Loop: Header=BB947_213 Depth=1
	s_or_b64 exec, exec, s[16:17]
.LBB947_374:                            ;   in Loop: Header=BB947_213 Depth=1
	s_or_b64 exec, exec, s[14:15]
.LBB947_375:                            ;   in Loop: Header=BB947_213 Depth=1
	s_or_b64 exec, exec, s[12:13]
	v_cmp_lt_u32_e32 vcc, s22, v40
	v_mov_b32_e32 v51, 0
	v_mov_b32_e32 v52, 0
	s_and_saveexec_b64 s[12:13], vcc
	s_cbranch_execz .LBB947_381
; %bb.376:                              ;   in Loop: Header=BB947_213 Depth=1
	v_lshrrev_b32_e32 v42, 24, v40
	v_cmp_ne_u32_e32 vcc, s9, v42
	v_mov_b32_e32 v52, 0xffff8000
	s_and_saveexec_b64 s[14:15], vcc
	s_cbranch_execz .LBB947_380
; %bb.377:                              ;   in Loop: Header=BB947_213 Depth=1
	v_bfe_u32 v40, v40, 24, 7
	v_cmp_ne_u32_e32 vcc, s21, v40
	v_mov_b32_e32 v52, 0x7f80
	s_and_saveexec_b64 s[16:17], vcc
	s_cbranch_execz .LBB947_379
; %bb.378:                              ;   in Loop: Header=BB947_213 Depth=1
	v_and_b32_e32 v49, 7, v42
	v_ffbh_u32_e32 v52, v49
	v_min_u32_e32 v62, 32, v52
	v_subrev_u32_e32 v52, 28, v62
	v_lshlrev_b64 v[52:53], v52, v[42:43]
	v_lshrrev_b32_e32 v61, 3, v40
	v_sub_u32_e32 v53, 29, v62
	v_and_b32_e32 v52, 7, v52
	v_cmp_gt_u32_e32 vcc, 8, v40
	v_cndmask_b32_e32 v40, v61, v53, vcc
	v_cndmask_b32_e32 v49, v49, v52, vcc
	v_lshlrev_b32_e32 v42, 24, v42
	v_lshlrev_b32_e32 v49, 20, v49
	v_and_b32_e32 v42, 0x80000000, v42
	v_lshl_add_u32 v40, v40, 23, v48
	v_or3_b32 v40, v42, v40, v49
	v_lshrrev_b32_e32 v52, 16, v40
.LBB947_379:                            ;   in Loop: Header=BB947_213 Depth=1
	s_or_b64 exec, exec, s[16:17]
.LBB947_380:                            ;   in Loop: Header=BB947_213 Depth=1
	s_or_b64 exec, exec, s[14:15]
.LBB947_381:                            ;   in Loop: Header=BB947_213 Depth=1
	s_or_b64 exec, exec, s[12:13]
	s_waitcnt vmcnt(0)
	v_cmp_ne_u16_sdwa s[14:15], v38, v47 src0_sel:BYTE_0 src1_sel:DWORD
	s_and_saveexec_b64 s[12:13], s[14:15]
	s_cbranch_execz .LBB947_387
; %bb.382:                              ;   in Loop: Header=BB947_213 Depth=1
	v_cmp_ne_u16_sdwa s[16:17], v38, s9 src0_sel:BYTE_0 src1_sel:DWORD
	v_mov_b32_e32 v51, 0xffff8000
	s_and_saveexec_b64 s[14:15], s[16:17]
	s_cbranch_execz .LBB947_386
; %bb.383:                              ;   in Loop: Header=BB947_213 Depth=1
	v_and_b32_e32 v40, 0x7f, v38
	v_cmp_ne_u32_e32 vcc, s21, v40
	v_mov_b32_e32 v51, 0x7f80
	s_and_saveexec_b64 s[16:17], vcc
	s_cbranch_execz .LBB947_385
; %bb.384:                              ;   in Loop: Header=BB947_213 Depth=1
	v_and_b32_e32 v42, 7, v38
	v_ffbh_u32_e32 v51, v42
	v_min_u32_e32 v51, 32, v51
	v_subrev_u32_e32 v53, 28, v51
	v_lshlrev_b64 v[62:63], v53, v[38:39]
	v_lshrrev_b32_e32 v49, 3, v40
	v_sub_u32_e32 v51, 29, v51
	v_and_b32_e32 v53, 7, v62
	v_cmp_gt_u32_e32 vcc, 8, v40
	v_cndmask_b32_e32 v40, v49, v51, vcc
	v_cndmask_b32_e32 v42, v42, v53, vcc
	v_lshlrev_b32_e32 v49, 24, v38
	v_lshlrev_b32_e32 v42, 20, v42
	v_and_b32_e32 v49, 0x80000000, v49
	v_lshl_add_u32 v40, v40, 23, v48
	v_or3_b32 v40, v49, v40, v42
	v_lshrrev_b32_e32 v51, 16, v40
.LBB947_385:                            ;   in Loop: Header=BB947_213 Depth=1
	s_or_b64 exec, exec, s[16:17]
.LBB947_386:                            ;   in Loop: Header=BB947_213 Depth=1
	s_or_b64 exec, exec, s[14:15]
.LBB947_387:                            ;   in Loop: Header=BB947_213 Depth=1
	s_or_b64 exec, exec, s[12:13]
	v_lshrrev_b16_e32 v40, 8, v38
	v_cmp_ne_u16_e32 vcc, 0, v40
	v_mov_b32_e32 v61, 0
	v_mov_b32_e32 v53, 0
	s_and_saveexec_b64 s[12:13], vcc
	s_cbranch_execz .LBB947_393
; %bb.388:                              ;   in Loop: Header=BB947_213 Depth=1
	v_cmp_ne_u16_e32 vcc, s9, v40
	v_mov_b32_e32 v53, 0xffff8000
	s_and_saveexec_b64 s[14:15], vcc
	s_cbranch_execz .LBB947_392
; %bb.389:                              ;   in Loop: Header=BB947_213 Depth=1
	v_and_b32_e32 v42, 0x7f, v40
	v_cmp_ne_u32_e32 vcc, s21, v42
	v_mov_b32_e32 v53, 0x7f80
	s_and_saveexec_b64 s[16:17], vcc
	s_cbranch_execz .LBB947_391
; %bb.390:                              ;   in Loop: Header=BB947_213 Depth=1
	v_and_b32_e32 v49, 7, v40
	v_ffbh_u32_e32 v62, v49
	v_min_u32_e32 v64, 32, v62
	v_subrev_u32_e32 v62, 28, v64
	v_lshlrev_b64 v[62:63], v62, v[40:41]
	v_lshrrev_b32_e32 v53, 3, v42
	v_sub_u32_e32 v40, 29, v64
	v_and_b32_e32 v62, 7, v62
	v_cmp_gt_u32_e32 vcc, 8, v42
	v_cndmask_b32_e32 v40, v53, v40, vcc
	v_cndmask_b32_e32 v42, v49, v62, vcc
	v_lshlrev_b32_e32 v49, 16, v38
	v_lshlrev_b32_e32 v42, 20, v42
	v_and_b32_e32 v49, 0x80000000, v49
	v_lshl_add_u32 v40, v40, 23, v48
	v_or3_b32 v40, v49, v40, v42
	v_lshrrev_b32_e32 v53, 16, v40
.LBB947_391:                            ;   in Loop: Header=BB947_213 Depth=1
	s_or_b64 exec, exec, s[16:17]
.LBB947_392:                            ;   in Loop: Header=BB947_213 Depth=1
	s_or_b64 exec, exec, s[14:15]
.LBB947_393:                            ;   in Loop: Header=BB947_213 Depth=1
	s_or_b64 exec, exec, s[12:13]
	v_lshrrev_b32_e32 v40, 16, v38
	v_cmp_ne_u16_sdwa s[14:15], v40, v47 src0_sel:BYTE_0 src1_sel:DWORD
	s_and_saveexec_b64 s[12:13], s[14:15]
	s_cbranch_execz .LBB947_399
; %bb.394:                              ;   in Loop: Header=BB947_213 Depth=1
	v_cmp_ne_u16_sdwa s[16:17], v40, s9 src0_sel:BYTE_0 src1_sel:DWORD
	v_mov_b32_e32 v61, 0xffff8000
	s_and_saveexec_b64 s[14:15], s[16:17]
	s_cbranch_execz .LBB947_398
; %bb.395:                              ;   in Loop: Header=BB947_213 Depth=1
	v_bfe_u32 v42, v38, 16, 7
	v_cmp_ne_u32_e32 vcc, s21, v42
	v_mov_b32_e32 v61, 0x7f80
	s_and_saveexec_b64 s[16:17], vcc
	s_cbranch_execz .LBB947_397
; %bb.396:                              ;   in Loop: Header=BB947_213 Depth=1
	v_and_b32_e32 v49, 7, v40
	v_ffbh_u32_e32 v62, v49
	v_min_u32_e32 v64, 32, v62
	v_subrev_u32_e32 v62, 28, v64
	v_lshlrev_b64 v[62:63], v62, v[40:41]
	v_lshrrev_b32_e32 v61, 3, v42
	v_sub_u32_e32 v63, 29, v64
	v_and_b32_e32 v62, 7, v62
	v_cmp_gt_u32_e32 vcc, 8, v42
	v_cndmask_b32_e32 v42, v61, v63, vcc
	v_cndmask_b32_e32 v49, v49, v62, vcc
	v_lshlrev_b32_e32 v40, 24, v40
	v_lshlrev_b32_e32 v49, 20, v49
	v_and_b32_e32 v40, 0x80000000, v40
	v_lshl_add_u32 v42, v42, 23, v48
	v_or3_b32 v40, v40, v42, v49
	v_lshrrev_b32_e32 v61, 16, v40
.LBB947_397:                            ;   in Loop: Header=BB947_213 Depth=1
	s_or_b64 exec, exec, s[16:17]
.LBB947_398:                            ;   in Loop: Header=BB947_213 Depth=1
	s_or_b64 exec, exec, s[14:15]
.LBB947_399:                            ;   in Loop: Header=BB947_213 Depth=1
	s_or_b64 exec, exec, s[12:13]
	v_cmp_lt_u32_e32 vcc, s22, v38
	v_mov_b32_e32 v49, 0
	v_mov_b32_e32 v62, 0
	s_and_saveexec_b64 s[12:13], vcc
	s_cbranch_execz .LBB947_405
; %bb.400:                              ;   in Loop: Header=BB947_213 Depth=1
	v_lshrrev_b32_e32 v40, 24, v38
	v_cmp_ne_u32_e32 vcc, s9, v40
	v_mov_b32_e32 v62, 0xffff8000
	s_and_saveexec_b64 s[14:15], vcc
	s_cbranch_execz .LBB947_404
; %bb.401:                              ;   in Loop: Header=BB947_213 Depth=1
	v_bfe_u32 v38, v38, 24, 7
	v_cmp_ne_u32_e32 vcc, s21, v38
	v_mov_b32_e32 v62, 0x7f80
	s_and_saveexec_b64 s[16:17], vcc
	s_cbranch_execz .LBB947_403
; %bb.402:                              ;   in Loop: Header=BB947_213 Depth=1
	v_and_b32_e32 v42, 7, v40
	v_ffbh_u32_e32 v62, v42
	v_min_u32_e32 v65, 32, v62
	v_subrev_u32_e32 v62, 28, v65
	v_lshlrev_b64 v[62:63], v62, v[40:41]
	v_lshrrev_b32_e32 v64, 3, v38
	v_sub_u32_e32 v63, 29, v65
	v_and_b32_e32 v62, 7, v62
	v_cmp_gt_u32_e32 vcc, 8, v38
	v_cndmask_b32_e32 v38, v64, v63, vcc
	v_cndmask_b32_e32 v42, v42, v62, vcc
	v_lshlrev_b32_e32 v40, 24, v40
	v_lshlrev_b32_e32 v42, 20, v42
	v_and_b32_e32 v40, 0x80000000, v40
	v_lshl_add_u32 v38, v38, 23, v48
	v_or3_b32 v38, v40, v38, v42
	v_lshrrev_b32_e32 v62, 16, v38
.LBB947_403:                            ;   in Loop: Header=BB947_213 Depth=1
	s_or_b64 exec, exec, s[16:17]
.LBB947_404:                            ;   in Loop: Header=BB947_213 Depth=1
	s_or_b64 exec, exec, s[14:15]
.LBB947_405:                            ;   in Loop: Header=BB947_213 Depth=1
	s_or_b64 exec, exec, s[12:13]
	v_perm_b32 v64, v44, v46, s23
	buffer_load_dword v44, v60, s[0:3], 0 offen
	buffer_load_dword v42, v60, s[0:3], 0 offen offset:4
	buffer_load_dword v40, v60, s[0:3], 0 offen offset:8
	;; [unrolled: 1-line block ×3, first 2 shown]
	v_perm_b32 v65, v52, v50, s23
	v_perm_b32 v61, v62, v61, s23
	;; [unrolled: 1-line block ×3, first 2 shown]
	v_mfma_f32_16x16x16bf16_1k v[34:37], v[64:65], v[14:15], v[34:37]
	s_waitcnt vmcnt(3)
	v_cmp_ne_u16_sdwa s[14:15], v44, v47 src0_sel:BYTE_0 src1_sel:DWORD
	v_mfma_f32_16x16x16bf16_1k v[34:37], v[60:61], v[16:17], v[34:37]
	s_and_saveexec_b64 s[12:13], s[14:15]
	s_cbranch_execz .LBB947_411
; %bb.406:                              ;   in Loop: Header=BB947_213 Depth=1
	v_cmp_ne_u16_sdwa s[16:17], v44, s9 src0_sel:BYTE_0 src1_sel:DWORD
	v_mov_b32_e32 v49, 0xffff8000
	s_and_saveexec_b64 s[14:15], s[16:17]
	s_cbranch_execz .LBB947_410
; %bb.407:                              ;   in Loop: Header=BB947_213 Depth=1
	v_and_b32_e32 v46, 0x7f, v44
	v_cmp_ne_u32_e32 vcc, s21, v46
	v_mov_b32_e32 v49, 0x7f80
	s_and_saveexec_b64 s[16:17], vcc
	s_cbranch_execz .LBB947_409
; %bb.408:                              ;   in Loop: Header=BB947_213 Depth=1
	v_and_b32_e32 v49, 7, v44
	v_ffbh_u32_e32 v50, v49
	v_min_u32_e32 v53, 32, v50
	v_subrev_u32_e32 v50, 28, v53
	v_lshlrev_b64 v[50:51], v50, v[44:45]
	v_lshrrev_b32_e32 v52, 3, v46
	v_sub_u32_e32 v51, 29, v53
	v_and_b32_e32 v50, 7, v50
	v_cmp_gt_u32_e32 vcc, 8, v46
	v_cndmask_b32_e32 v46, v52, v51, vcc
	v_cndmask_b32_e32 v49, v49, v50, vcc
	v_lshlrev_b32_e32 v50, 24, v44
	v_lshlrev_b32_e32 v49, 20, v49
	v_and_b32_e32 v50, 0x80000000, v50
	v_lshl_add_u32 v46, v46, 23, v48
	v_or3_b32 v46, v50, v46, v49
	v_lshrrev_b32_e32 v49, 16, v46
.LBB947_409:                            ;   in Loop: Header=BB947_213 Depth=1
	s_or_b64 exec, exec, s[16:17]
.LBB947_410:                            ;   in Loop: Header=BB947_213 Depth=1
	s_or_b64 exec, exec, s[14:15]
.LBB947_411:                            ;   in Loop: Header=BB947_213 Depth=1
	s_or_b64 exec, exec, s[12:13]
	v_lshrrev_b16_e32 v46, 8, v44
	v_cmp_ne_u16_e32 vcc, 0, v46
	v_mov_b32_e32 v51, 0
	v_mov_b32_e32 v50, 0
	s_and_saveexec_b64 s[12:13], vcc
	s_cbranch_execz .LBB947_417
; %bb.412:                              ;   in Loop: Header=BB947_213 Depth=1
	v_cmp_ne_u16_e32 vcc, s9, v46
	v_mov_b32_e32 v50, 0xffff8000
	s_and_saveexec_b64 s[14:15], vcc
	s_cbranch_execz .LBB947_416
; %bb.413:                              ;   in Loop: Header=BB947_213 Depth=1
	v_and_b32_e32 v52, 0x7f, v46
	v_cmp_ne_u32_e32 vcc, s21, v52
	v_mov_b32_e32 v50, 0x7f80
	s_and_saveexec_b64 s[16:17], vcc
	s_cbranch_execz .LBB947_415
; %bb.414:                              ;   in Loop: Header=BB947_213 Depth=1
	v_and_b32_e32 v50, 7, v46
	v_ffbh_u32_e32 v60, v50
	v_min_u32_e32 v62, 32, v60
	v_subrev_u32_e32 v60, 28, v62
	v_lshlrev_b64 v[60:61], v60, v[46:47]
	v_lshrrev_b32_e32 v53, 3, v52
	v_sub_u32_e32 v46, 29, v62
	v_and_b32_e32 v60, 7, v60
	v_cmp_gt_u32_e32 vcc, 8, v52
	v_cndmask_b32_e32 v46, v53, v46, vcc
	v_cndmask_b32_e32 v50, v50, v60, vcc
	v_lshlrev_b32_e32 v52, 16, v44
	v_lshlrev_b32_e32 v50, 20, v50
	v_and_b32_e32 v52, 0x80000000, v52
	v_lshl_add_u32 v46, v46, 23, v48
	v_or3_b32 v46, v52, v46, v50
	v_lshrrev_b32_e32 v50, 16, v46
.LBB947_415:                            ;   in Loop: Header=BB947_213 Depth=1
	s_or_b64 exec, exec, s[16:17]
.LBB947_416:                            ;   in Loop: Header=BB947_213 Depth=1
	s_or_b64 exec, exec, s[14:15]
.LBB947_417:                            ;   in Loop: Header=BB947_213 Depth=1
	s_or_b64 exec, exec, s[12:13]
	v_lshrrev_b32_e32 v46, 16, v44
	v_cmp_ne_u16_sdwa s[14:15], v46, v47 src0_sel:BYTE_0 src1_sel:DWORD
	s_and_saveexec_b64 s[12:13], s[14:15]
	s_cbranch_execz .LBB947_423
; %bb.418:                              ;   in Loop: Header=BB947_213 Depth=1
	v_cmp_ne_u16_sdwa s[16:17], v46, s9 src0_sel:BYTE_0 src1_sel:DWORD
	v_mov_b32_e32 v51, 0xffff8000
	s_and_saveexec_b64 s[14:15], s[16:17]
	s_cbranch_execz .LBB947_422
; %bb.419:                              ;   in Loop: Header=BB947_213 Depth=1
	v_bfe_u32 v52, v44, 16, 7
	v_cmp_ne_u32_e32 vcc, s21, v52
	v_mov_b32_e32 v51, 0x7f80
	s_and_saveexec_b64 s[16:17], vcc
	s_cbranch_execz .LBB947_421
; %bb.420:                              ;   in Loop: Header=BB947_213 Depth=1
	v_and_b32_e32 v51, 7, v46
	v_ffbh_u32_e32 v60, v51
	v_min_u32_e32 v62, 32, v60
	v_subrev_u32_e32 v60, 28, v62
	v_lshlrev_b64 v[60:61], v60, v[46:47]
	v_lshrrev_b32_e32 v53, 3, v52
	v_sub_u32_e32 v61, 29, v62
	v_and_b32_e32 v60, 7, v60
	v_cmp_gt_u32_e32 vcc, 8, v52
	v_cndmask_b32_e32 v52, v53, v61, vcc
	v_cndmask_b32_e32 v51, v51, v60, vcc
	v_lshlrev_b32_e32 v46, 24, v46
	v_lshlrev_b32_e32 v51, 20, v51
	v_and_b32_e32 v46, 0x80000000, v46
	v_lshl_add_u32 v52, v52, 23, v48
	v_or3_b32 v46, v46, v52, v51
	v_lshrrev_b32_e32 v51, 16, v46
.LBB947_421:                            ;   in Loop: Header=BB947_213 Depth=1
	s_or_b64 exec, exec, s[16:17]
.LBB947_422:                            ;   in Loop: Header=BB947_213 Depth=1
	s_or_b64 exec, exec, s[14:15]
.LBB947_423:                            ;   in Loop: Header=BB947_213 Depth=1
	s_or_b64 exec, exec, s[12:13]
	v_cmp_lt_u32_e32 vcc, s22, v44
	v_mov_b32_e32 v52, 0
	v_mov_b32_e32 v53, 0
	s_and_saveexec_b64 s[12:13], vcc
	s_cbranch_execz .LBB947_429
; %bb.424:                              ;   in Loop: Header=BB947_213 Depth=1
	v_lshrrev_b32_e32 v46, 24, v44
	v_cmp_ne_u32_e32 vcc, s9, v46
	v_mov_b32_e32 v53, 0xffff8000
	s_and_saveexec_b64 s[14:15], vcc
	s_cbranch_execz .LBB947_428
; %bb.425:                              ;   in Loop: Header=BB947_213 Depth=1
	v_bfe_u32 v44, v44, 24, 7
	v_cmp_ne_u32_e32 vcc, s21, v44
	v_mov_b32_e32 v53, 0x7f80
	s_and_saveexec_b64 s[16:17], vcc
	s_cbranch_execz .LBB947_427
; %bb.426:                              ;   in Loop: Header=BB947_213 Depth=1
	v_and_b32_e32 v53, 7, v46
	v_ffbh_u32_e32 v60, v53
	v_min_u32_e32 v63, 32, v60
	v_subrev_u32_e32 v60, 28, v63
	v_lshlrev_b64 v[60:61], v60, v[46:47]
	v_lshrrev_b32_e32 v62, 3, v44
	v_sub_u32_e32 v61, 29, v63
	v_and_b32_e32 v60, 7, v60
	v_cmp_gt_u32_e32 vcc, 8, v44
	v_cndmask_b32_e32 v44, v62, v61, vcc
	v_cndmask_b32_e32 v53, v53, v60, vcc
	v_lshlrev_b32_e32 v46, 24, v46
	v_lshlrev_b32_e32 v53, 20, v53
	v_and_b32_e32 v46, 0x80000000, v46
	v_lshl_add_u32 v44, v44, 23, v48
	v_or3_b32 v44, v46, v44, v53
	v_lshrrev_b32_e32 v53, 16, v44
.LBB947_427:                            ;   in Loop: Header=BB947_213 Depth=1
	s_or_b64 exec, exec, s[16:17]
.LBB947_428:                            ;   in Loop: Header=BB947_213 Depth=1
	s_or_b64 exec, exec, s[14:15]
.LBB947_429:                            ;   in Loop: Header=BB947_213 Depth=1
	s_or_b64 exec, exec, s[12:13]
	s_waitcnt vmcnt(2)
	v_cmp_ne_u16_sdwa s[14:15], v42, v47 src0_sel:BYTE_0 src1_sel:DWORD
	s_and_saveexec_b64 s[12:13], s[14:15]
	s_cbranch_execz .LBB947_435
; %bb.430:                              ;   in Loop: Header=BB947_213 Depth=1
	v_cmp_ne_u16_sdwa s[16:17], v42, s9 src0_sel:BYTE_0 src1_sel:DWORD
	v_mov_b32_e32 v52, 0xffff8000
	s_and_saveexec_b64 s[14:15], s[16:17]
	s_cbranch_execz .LBB947_434
; %bb.431:                              ;   in Loop: Header=BB947_213 Depth=1
	v_and_b32_e32 v44, 0x7f, v42
	v_cmp_ne_u32_e32 vcc, s21, v44
	v_mov_b32_e32 v52, 0x7f80
	s_and_saveexec_b64 s[16:17], vcc
	s_cbranch_execz .LBB947_433
; %bb.432:                              ;   in Loop: Header=BB947_213 Depth=1
	v_and_b32_e32 v46, 7, v42
	v_ffbh_u32_e32 v60, v46
	v_min_u32_e32 v62, 32, v60
	v_subrev_u32_e32 v60, 28, v62
	v_lshlrev_b64 v[60:61], v60, v[42:43]
	v_lshrrev_b32_e32 v52, 3, v44
	v_sub_u32_e32 v61, 29, v62
	v_and_b32_e32 v60, 7, v60
	v_cmp_gt_u32_e32 vcc, 8, v44
	v_cndmask_b32_e32 v44, v52, v61, vcc
	v_cndmask_b32_e32 v46, v46, v60, vcc
	v_lshlrev_b32_e32 v52, 24, v42
	v_lshlrev_b32_e32 v46, 20, v46
	v_and_b32_e32 v52, 0x80000000, v52
	v_lshl_add_u32 v44, v44, 23, v48
	v_or3_b32 v44, v52, v44, v46
	v_lshrrev_b32_e32 v52, 16, v44
.LBB947_433:                            ;   in Loop: Header=BB947_213 Depth=1
	s_or_b64 exec, exec, s[16:17]
.LBB947_434:                            ;   in Loop: Header=BB947_213 Depth=1
	s_or_b64 exec, exec, s[14:15]
.LBB947_435:                            ;   in Loop: Header=BB947_213 Depth=1
	s_or_b64 exec, exec, s[12:13]
	v_lshrrev_b16_e32 v44, 8, v42
	v_cmp_ne_u16_e32 vcc, 0, v44
	v_mov_b32_e32 v61, 0
	v_mov_b32_e32 v60, 0
	s_and_saveexec_b64 s[12:13], vcc
	s_cbranch_execz .LBB947_441
; %bb.436:                              ;   in Loop: Header=BB947_213 Depth=1
	v_cmp_ne_u16_e32 vcc, s9, v44
	v_mov_b32_e32 v60, 0xffff8000
	s_and_saveexec_b64 s[14:15], vcc
	s_cbranch_execz .LBB947_440
; %bb.437:                              ;   in Loop: Header=BB947_213 Depth=1
	v_and_b32_e32 v46, 0x7f, v44
	v_cmp_ne_u32_e32 vcc, s21, v46
	v_mov_b32_e32 v60, 0x7f80
	s_and_saveexec_b64 s[16:17], vcc
	s_cbranch_execz .LBB947_439
; %bb.438:                              ;   in Loop: Header=BB947_213 Depth=1
	v_and_b32_e32 v60, 7, v44
	v_ffbh_u32_e32 v62, v60
	v_min_u32_e32 v65, 32, v62
	v_subrev_u32_e32 v62, 28, v65
	v_lshlrev_b64 v[62:63], v62, v[44:45]
	v_lshrrev_b32_e32 v64, 3, v46
	v_sub_u32_e32 v44, 29, v65
	v_and_b32_e32 v62, 7, v62
	v_cmp_gt_u32_e32 vcc, 8, v46
	v_cndmask_b32_e32 v44, v64, v44, vcc
	v_cndmask_b32_e32 v46, v60, v62, vcc
	v_lshlrev_b32_e32 v60, 16, v42
	v_lshlrev_b32_e32 v46, 20, v46
	v_and_b32_e32 v60, 0x80000000, v60
	v_lshl_add_u32 v44, v44, 23, v48
	v_or3_b32 v44, v60, v44, v46
	v_lshrrev_b32_e32 v60, 16, v44
.LBB947_439:                            ;   in Loop: Header=BB947_213 Depth=1
	s_or_b64 exec, exec, s[16:17]
.LBB947_440:                            ;   in Loop: Header=BB947_213 Depth=1
	s_or_b64 exec, exec, s[14:15]
.LBB947_441:                            ;   in Loop: Header=BB947_213 Depth=1
	s_or_b64 exec, exec, s[12:13]
	v_lshrrev_b32_e32 v44, 16, v42
	v_cmp_ne_u16_sdwa s[14:15], v44, v47 src0_sel:BYTE_0 src1_sel:DWORD
	s_and_saveexec_b64 s[12:13], s[14:15]
	s_cbranch_execz .LBB947_447
; %bb.442:                              ;   in Loop: Header=BB947_213 Depth=1
	v_cmp_ne_u16_sdwa s[16:17], v44, s9 src0_sel:BYTE_0 src1_sel:DWORD
	v_mov_b32_e32 v61, 0xffff8000
	s_and_saveexec_b64 s[14:15], s[16:17]
	s_cbranch_execz .LBB947_446
; %bb.443:                              ;   in Loop: Header=BB947_213 Depth=1
	v_bfe_u32 v46, v42, 16, 7
	v_cmp_ne_u32_e32 vcc, s21, v46
	v_mov_b32_e32 v61, 0x7f80
	s_and_saveexec_b64 s[16:17], vcc
	s_cbranch_execz .LBB947_445
; %bb.444:                              ;   in Loop: Header=BB947_213 Depth=1
	v_and_b32_e32 v61, 7, v44
	v_ffbh_u32_e32 v62, v61
	v_min_u32_e32 v65, 32, v62
	v_subrev_u32_e32 v62, 28, v65
	v_lshlrev_b64 v[62:63], v62, v[44:45]
	v_lshrrev_b32_e32 v64, 3, v46
	v_sub_u32_e32 v63, 29, v65
	v_and_b32_e32 v62, 7, v62
	v_cmp_gt_u32_e32 vcc, 8, v46
	v_cndmask_b32_e32 v46, v64, v63, vcc
	v_cndmask_b32_e32 v61, v61, v62, vcc
	v_lshlrev_b32_e32 v44, 24, v44
	v_lshlrev_b32_e32 v61, 20, v61
	v_and_b32_e32 v44, 0x80000000, v44
	v_lshl_add_u32 v46, v46, 23, v48
	v_or3_b32 v44, v44, v46, v61
	v_lshrrev_b32_e32 v61, 16, v44
.LBB947_445:                            ;   in Loop: Header=BB947_213 Depth=1
	s_or_b64 exec, exec, s[16:17]
.LBB947_446:                            ;   in Loop: Header=BB947_213 Depth=1
	s_or_b64 exec, exec, s[14:15]
.LBB947_447:                            ;   in Loop: Header=BB947_213 Depth=1
	s_or_b64 exec, exec, s[12:13]
	v_cmp_lt_u32_e32 vcc, s22, v42
	v_mov_b32_e32 v46, 0
	v_mov_b32_e32 v62, 0
	s_and_saveexec_b64 s[12:13], vcc
	s_cbranch_execz .LBB947_453
; %bb.448:                              ;   in Loop: Header=BB947_213 Depth=1
	v_lshrrev_b32_e32 v44, 24, v42
	v_cmp_ne_u32_e32 vcc, s9, v44
	v_mov_b32_e32 v62, 0xffff8000
	s_and_saveexec_b64 s[14:15], vcc
	s_cbranch_execz .LBB947_452
; %bb.449:                              ;   in Loop: Header=BB947_213 Depth=1
	v_bfe_u32 v42, v42, 24, 7
	v_cmp_ne_u32_e32 vcc, s21, v42
	v_mov_b32_e32 v62, 0x7f80
	s_and_saveexec_b64 s[16:17], vcc
	s_cbranch_execz .LBB947_451
; %bb.450:                              ;   in Loop: Header=BB947_213 Depth=1
	v_and_b32_e32 v64, 7, v44
	v_ffbh_u32_e32 v62, v64
	v_min_u32_e32 v66, 32, v62
	v_subrev_u32_e32 v62, 28, v66
	v_lshlrev_b64 v[62:63], v62, v[44:45]
	v_lshrrev_b32_e32 v65, 3, v42
	v_sub_u32_e32 v63, 29, v66
	v_and_b32_e32 v62, 7, v62
	v_cmp_gt_u32_e32 vcc, 8, v42
	v_cndmask_b32_e32 v42, v65, v63, vcc
	v_cndmask_b32_e32 v62, v64, v62, vcc
	v_lshlrev_b32_e32 v44, 24, v44
	v_lshlrev_b32_e32 v62, 20, v62
	v_and_b32_e32 v44, 0x80000000, v44
	v_lshl_add_u32 v42, v42, 23, v48
	v_or3_b32 v42, v44, v42, v62
	v_lshrrev_b32_e32 v62, 16, v42
.LBB947_451:                            ;   in Loop: Header=BB947_213 Depth=1
	s_or_b64 exec, exec, s[16:17]
.LBB947_452:                            ;   in Loop: Header=BB947_213 Depth=1
	s_or_b64 exec, exec, s[14:15]
.LBB947_453:                            ;   in Loop: Header=BB947_213 Depth=1
	s_or_b64 exec, exec, s[12:13]
	v_perm_b32 v51, v53, v51, s23
	v_perm_b32 v50, v50, v49, s23
	s_waitcnt vmcnt(1)
	v_cmp_ne_u16_sdwa s[14:15], v40, v47 src0_sel:BYTE_0 src1_sel:DWORD
	v_mfma_f32_16x16x16bf16_1k v[34:37], v[50:51], v[18:19], v[34:37]
	v_perm_b32 v51, v62, v61, s23
	v_perm_b32 v50, v60, v52, s23
	s_nop 1
	v_mfma_f32_16x16x16bf16_1k v[34:37], v[50:51], v[20:21], v[34:37]
	s_and_saveexec_b64 s[12:13], s[14:15]
	s_cbranch_execz .LBB947_459
; %bb.454:                              ;   in Loop: Header=BB947_213 Depth=1
	v_cmp_ne_u16_sdwa s[16:17], v40, s9 src0_sel:BYTE_0 src1_sel:DWORD
	v_mov_b32_e32 v46, 0xffff8000
	s_and_saveexec_b64 s[14:15], s[16:17]
	s_cbranch_execz .LBB947_458
; %bb.455:                              ;   in Loop: Header=BB947_213 Depth=1
	v_and_b32_e32 v42, 0x7f, v40
	v_cmp_ne_u32_e32 vcc, s21, v42
	v_mov_b32_e32 v46, 0x7f80
	s_and_saveexec_b64 s[16:17], vcc
	s_cbranch_execz .LBB947_457
; %bb.456:                              ;   in Loop: Header=BB947_213 Depth=1
	v_and_b32_e32 v44, 7, v40
	v_ffbh_u32_e32 v49, v44
	v_min_u32_e32 v49, 32, v49
	v_subrev_u32_e32 v50, 28, v49
	v_lshlrev_b64 v[50:51], v50, v[40:41]
	v_lshrrev_b32_e32 v46, 3, v42
	v_sub_u32_e32 v49, 29, v49
	v_and_b32_e32 v50, 7, v50
	v_cmp_gt_u32_e32 vcc, 8, v42
	v_cndmask_b32_e32 v42, v46, v49, vcc
	v_cndmask_b32_e32 v44, v44, v50, vcc
	v_lshlrev_b32_e32 v46, 24, v40
	v_lshlrev_b32_e32 v44, 20, v44
	v_and_b32_e32 v46, 0x80000000, v46
	v_lshl_add_u32 v42, v42, 23, v48
	v_or3_b32 v42, v46, v42, v44
	v_lshrrev_b32_e32 v46, 16, v42
.LBB947_457:                            ;   in Loop: Header=BB947_213 Depth=1
	s_or_b64 exec, exec, s[16:17]
.LBB947_458:                            ;   in Loop: Header=BB947_213 Depth=1
	s_or_b64 exec, exec, s[14:15]
.LBB947_459:                            ;   in Loop: Header=BB947_213 Depth=1
	s_or_b64 exec, exec, s[12:13]
	v_lshrrev_b16_e32 v42, 8, v40
	v_cmp_ne_u16_e32 vcc, 0, v42
	v_mov_b32_e32 v50, 0
	v_mov_b32_e32 v44, 0
	s_and_saveexec_b64 s[12:13], vcc
	s_cbranch_execz .LBB947_465
; %bb.460:                              ;   in Loop: Header=BB947_213 Depth=1
	v_cmp_ne_u16_e32 vcc, s9, v42
	v_mov_b32_e32 v44, 0xffff8000
	s_and_saveexec_b64 s[14:15], vcc
	s_cbranch_execz .LBB947_464
; %bb.461:                              ;   in Loop: Header=BB947_213 Depth=1
	v_and_b32_e32 v49, 0x7f, v42
	v_cmp_ne_u32_e32 vcc, s21, v49
	v_mov_b32_e32 v44, 0x7f80
	s_and_saveexec_b64 s[16:17], vcc
	s_cbranch_execz .LBB947_463
; %bb.462:                              ;   in Loop: Header=BB947_213 Depth=1
	v_and_b32_e32 v44, 7, v42
	v_ffbh_u32_e32 v52, v44
	v_min_u32_e32 v60, 32, v52
	v_subrev_u32_e32 v52, 28, v60
	v_lshlrev_b64 v[52:53], v52, v[42:43]
	v_lshrrev_b32_e32 v51, 3, v49
	v_sub_u32_e32 v42, 29, v60
	v_and_b32_e32 v52, 7, v52
	v_cmp_gt_u32_e32 vcc, 8, v49
	v_cndmask_b32_e32 v42, v51, v42, vcc
	v_cndmask_b32_e32 v44, v44, v52, vcc
	v_lshlrev_b32_e32 v49, 16, v40
	v_lshlrev_b32_e32 v44, 20, v44
	v_and_b32_e32 v49, 0x80000000, v49
	v_lshl_add_u32 v42, v42, 23, v48
	v_or3_b32 v42, v49, v42, v44
	v_lshrrev_b32_e32 v44, 16, v42
.LBB947_463:                            ;   in Loop: Header=BB947_213 Depth=1
	s_or_b64 exec, exec, s[16:17]
.LBB947_464:                            ;   in Loop: Header=BB947_213 Depth=1
	s_or_b64 exec, exec, s[14:15]
.LBB947_465:                            ;   in Loop: Header=BB947_213 Depth=1
	s_or_b64 exec, exec, s[12:13]
	v_lshrrev_b32_e32 v42, 16, v40
	v_cmp_ne_u16_sdwa s[14:15], v42, v47 src0_sel:BYTE_0 src1_sel:DWORD
	s_and_saveexec_b64 s[12:13], s[14:15]
	s_cbranch_execz .LBB947_471
; %bb.466:                              ;   in Loop: Header=BB947_213 Depth=1
	v_cmp_ne_u16_sdwa s[16:17], v42, s9 src0_sel:BYTE_0 src1_sel:DWORD
	v_mov_b32_e32 v50, 0xffff8000
	s_and_saveexec_b64 s[14:15], s[16:17]
	s_cbranch_execz .LBB947_470
; %bb.467:                              ;   in Loop: Header=BB947_213 Depth=1
	v_bfe_u32 v49, v40, 16, 7
	v_cmp_ne_u32_e32 vcc, s21, v49
	v_mov_b32_e32 v50, 0x7f80
	s_and_saveexec_b64 s[16:17], vcc
	s_cbranch_execz .LBB947_469
; %bb.468:                              ;   in Loop: Header=BB947_213 Depth=1
	v_and_b32_e32 v52, 7, v42
	v_ffbh_u32_e32 v50, v52
	v_min_u32_e32 v60, 32, v50
	v_subrev_u32_e32 v50, 28, v60
	v_lshlrev_b64 v[50:51], v50, v[42:43]
	v_lshrrev_b32_e32 v53, 3, v49
	v_sub_u32_e32 v51, 29, v60
	v_and_b32_e32 v50, 7, v50
	v_cmp_gt_u32_e32 vcc, 8, v49
	v_cndmask_b32_e32 v49, v53, v51, vcc
	v_cndmask_b32_e32 v50, v52, v50, vcc
	v_lshlrev_b32_e32 v42, 24, v42
	v_lshlrev_b32_e32 v50, 20, v50
	v_and_b32_e32 v42, 0x80000000, v42
	v_lshl_add_u32 v49, v49, 23, v48
	v_or3_b32 v42, v42, v49, v50
	v_lshrrev_b32_e32 v50, 16, v42
.LBB947_469:                            ;   in Loop: Header=BB947_213 Depth=1
	s_or_b64 exec, exec, s[16:17]
.LBB947_470:                            ;   in Loop: Header=BB947_213 Depth=1
	s_or_b64 exec, exec, s[14:15]
.LBB947_471:                            ;   in Loop: Header=BB947_213 Depth=1
	s_or_b64 exec, exec, s[12:13]
	v_cmp_lt_u32_e32 vcc, s22, v40
	v_mov_b32_e32 v51, 0
	v_mov_b32_e32 v52, 0
	s_and_saveexec_b64 s[12:13], vcc
	s_cbranch_execz .LBB947_477
; %bb.472:                              ;   in Loop: Header=BB947_213 Depth=1
	v_lshrrev_b32_e32 v42, 24, v40
	v_cmp_ne_u32_e32 vcc, s9, v42
	v_mov_b32_e32 v52, 0xffff8000
	s_and_saveexec_b64 s[14:15], vcc
	s_cbranch_execz .LBB947_476
; %bb.473:                              ;   in Loop: Header=BB947_213 Depth=1
	v_bfe_u32 v40, v40, 24, 7
	v_cmp_ne_u32_e32 vcc, s21, v40
	v_mov_b32_e32 v52, 0x7f80
	s_and_saveexec_b64 s[16:17], vcc
	s_cbranch_execz .LBB947_475
; %bb.474:                              ;   in Loop: Header=BB947_213 Depth=1
	v_and_b32_e32 v49, 7, v42
	v_ffbh_u32_e32 v52, v49
	v_min_u32_e32 v61, 32, v52
	v_subrev_u32_e32 v52, 28, v61
	v_lshlrev_b64 v[52:53], v52, v[42:43]
	v_lshrrev_b32_e32 v60, 3, v40
	v_sub_u32_e32 v53, 29, v61
	v_and_b32_e32 v52, 7, v52
	v_cmp_gt_u32_e32 vcc, 8, v40
	v_cndmask_b32_e32 v40, v60, v53, vcc
	v_cndmask_b32_e32 v49, v49, v52, vcc
	v_lshlrev_b32_e32 v42, 24, v42
	v_lshlrev_b32_e32 v49, 20, v49
	v_and_b32_e32 v42, 0x80000000, v42
	v_lshl_add_u32 v40, v40, 23, v48
	v_or3_b32 v40, v42, v40, v49
	v_lshrrev_b32_e32 v52, 16, v40
.LBB947_475:                            ;   in Loop: Header=BB947_213 Depth=1
	s_or_b64 exec, exec, s[16:17]
.LBB947_476:                            ;   in Loop: Header=BB947_213 Depth=1
	s_or_b64 exec, exec, s[14:15]
.LBB947_477:                            ;   in Loop: Header=BB947_213 Depth=1
	s_or_b64 exec, exec, s[12:13]
	s_waitcnt vmcnt(0)
	v_cmp_ne_u16_sdwa s[14:15], v38, v47 src0_sel:BYTE_0 src1_sel:DWORD
	s_and_saveexec_b64 s[12:13], s[14:15]
	s_cbranch_execz .LBB947_483
; %bb.478:                              ;   in Loop: Header=BB947_213 Depth=1
	v_cmp_ne_u16_sdwa s[16:17], v38, s9 src0_sel:BYTE_0 src1_sel:DWORD
	v_mov_b32_e32 v51, 0xffff8000
	s_and_saveexec_b64 s[14:15], s[16:17]
	s_cbranch_execz .LBB947_482
; %bb.479:                              ;   in Loop: Header=BB947_213 Depth=1
	v_and_b32_e32 v40, 0x7f, v38
	v_cmp_ne_u32_e32 vcc, s21, v40
	v_mov_b32_e32 v51, 0x7f80
	s_and_saveexec_b64 s[16:17], vcc
	s_cbranch_execz .LBB947_481
; %bb.480:                              ;   in Loop: Header=BB947_213 Depth=1
	v_and_b32_e32 v42, 7, v38
	v_ffbh_u32_e32 v51, v42
	v_min_u32_e32 v51, 32, v51
	v_subrev_u32_e32 v53, 28, v51
	v_lshlrev_b64 v[60:61], v53, v[38:39]
	v_lshrrev_b32_e32 v49, 3, v40
	v_sub_u32_e32 v51, 29, v51
	v_and_b32_e32 v53, 7, v60
	v_cmp_gt_u32_e32 vcc, 8, v40
	v_cndmask_b32_e32 v40, v49, v51, vcc
	v_cndmask_b32_e32 v42, v42, v53, vcc
	v_lshlrev_b32_e32 v49, 24, v38
	v_lshlrev_b32_e32 v42, 20, v42
	v_and_b32_e32 v49, 0x80000000, v49
	v_lshl_add_u32 v40, v40, 23, v48
	v_or3_b32 v40, v49, v40, v42
	v_lshrrev_b32_e32 v51, 16, v40
.LBB947_481:                            ;   in Loop: Header=BB947_213 Depth=1
	s_or_b64 exec, exec, s[16:17]
.LBB947_482:                            ;   in Loop: Header=BB947_213 Depth=1
	s_or_b64 exec, exec, s[14:15]
.LBB947_483:                            ;   in Loop: Header=BB947_213 Depth=1
	s_or_b64 exec, exec, s[12:13]
	v_lshrrev_b16_e32 v40, 8, v38
	v_cmp_ne_u16_e32 vcc, 0, v40
	v_mov_b32_e32 v60, 0
	v_mov_b32_e32 v53, 0
	s_and_saveexec_b64 s[12:13], vcc
	s_cbranch_execz .LBB947_489
; %bb.484:                              ;   in Loop: Header=BB947_213 Depth=1
	v_cmp_ne_u16_e32 vcc, s9, v40
	v_mov_b32_e32 v53, 0xffff8000
	s_and_saveexec_b64 s[14:15], vcc
	s_cbranch_execz .LBB947_488
; %bb.485:                              ;   in Loop: Header=BB947_213 Depth=1
	v_and_b32_e32 v42, 0x7f, v40
	v_cmp_ne_u32_e32 vcc, s21, v42
	v_mov_b32_e32 v53, 0x7f80
	s_and_saveexec_b64 s[16:17], vcc
	s_cbranch_execz .LBB947_487
; %bb.486:                              ;   in Loop: Header=BB947_213 Depth=1
	v_and_b32_e32 v49, 7, v40
	v_ffbh_u32_e32 v61, v49
	v_min_u32_e32 v61, 32, v61
	v_subrev_u32_e32 v62, 28, v61
	v_lshlrev_b64 v[62:63], v62, v[40:41]
	v_lshrrev_b32_e32 v53, 3, v42
	v_sub_u32_e32 v40, 29, v61
	v_and_b32_e32 v61, 7, v62
	v_cmp_gt_u32_e32 vcc, 8, v42
	v_cndmask_b32_e32 v40, v53, v40, vcc
	v_cndmask_b32_e32 v42, v49, v61, vcc
	v_lshlrev_b32_e32 v49, 16, v38
	v_lshlrev_b32_e32 v42, 20, v42
	v_and_b32_e32 v49, 0x80000000, v49
	v_lshl_add_u32 v40, v40, 23, v48
	v_or3_b32 v40, v49, v40, v42
	v_lshrrev_b32_e32 v53, 16, v40
.LBB947_487:                            ;   in Loop: Header=BB947_213 Depth=1
	s_or_b64 exec, exec, s[16:17]
.LBB947_488:                            ;   in Loop: Header=BB947_213 Depth=1
	s_or_b64 exec, exec, s[14:15]
.LBB947_489:                            ;   in Loop: Header=BB947_213 Depth=1
	s_or_b64 exec, exec, s[12:13]
	v_lshrrev_b32_e32 v40, 16, v38
	v_cmp_ne_u16_sdwa s[14:15], v40, v47 src0_sel:BYTE_0 src1_sel:DWORD
	s_and_saveexec_b64 s[12:13], s[14:15]
	s_cbranch_execz .LBB947_495
; %bb.490:                              ;   in Loop: Header=BB947_213 Depth=1
	v_cmp_ne_u16_sdwa s[16:17], v40, s9 src0_sel:BYTE_0 src1_sel:DWORD
	v_mov_b32_e32 v60, 0xffff8000
	s_and_saveexec_b64 s[14:15], s[16:17]
	s_cbranch_execz .LBB947_494
; %bb.491:                              ;   in Loop: Header=BB947_213 Depth=1
	v_bfe_u32 v42, v38, 16, 7
	v_cmp_ne_u32_e32 vcc, s21, v42
	v_mov_b32_e32 v60, 0x7f80
	s_and_saveexec_b64 s[16:17], vcc
	s_cbranch_execz .LBB947_493
; %bb.492:                              ;   in Loop: Header=BB947_213 Depth=1
	v_and_b32_e32 v49, 7, v40
	v_ffbh_u32_e32 v60, v49
	v_min_u32_e32 v63, 32, v60
	v_subrev_u32_e32 v60, 28, v63
	v_lshlrev_b64 v[60:61], v60, v[40:41]
	v_lshrrev_b32_e32 v62, 3, v42
	v_sub_u32_e32 v61, 29, v63
	v_and_b32_e32 v60, 7, v60
	v_cmp_gt_u32_e32 vcc, 8, v42
	v_cndmask_b32_e32 v42, v62, v61, vcc
	v_cndmask_b32_e32 v49, v49, v60, vcc
	v_lshlrev_b32_e32 v40, 24, v40
	v_lshlrev_b32_e32 v49, 20, v49
	v_and_b32_e32 v40, 0x80000000, v40
	v_lshl_add_u32 v42, v42, 23, v48
	v_or3_b32 v40, v40, v42, v49
	v_lshrrev_b32_e32 v60, 16, v40
.LBB947_493:                            ;   in Loop: Header=BB947_213 Depth=1
	s_or_b64 exec, exec, s[16:17]
.LBB947_494:                            ;   in Loop: Header=BB947_213 Depth=1
	s_or_b64 exec, exec, s[14:15]
.LBB947_495:                            ;   in Loop: Header=BB947_213 Depth=1
	s_or_b64 exec, exec, s[12:13]
	v_cmp_lt_u32_e32 vcc, s22, v38
	v_mov_b32_e32 v49, 0
	v_mov_b32_e32 v61, 0
	s_and_saveexec_b64 s[12:13], vcc
	s_cbranch_execz .LBB947_501
; %bb.496:                              ;   in Loop: Header=BB947_213 Depth=1
	v_lshrrev_b32_e32 v40, 24, v38
	v_cmp_ne_u32_e32 vcc, s9, v40
	v_mov_b32_e32 v61, 0xffff8000
	s_and_saveexec_b64 s[14:15], vcc
	s_cbranch_execz .LBB947_500
; %bb.497:                              ;   in Loop: Header=BB947_213 Depth=1
	v_bfe_u32 v38, v38, 24, 7
	v_cmp_ne_u32_e32 vcc, s21, v38
	v_mov_b32_e32 v61, 0x7f80
	s_and_saveexec_b64 s[16:17], vcc
	s_cbranch_execz .LBB947_499
; %bb.498:                              ;   in Loop: Header=BB947_213 Depth=1
	v_and_b32_e32 v42, 7, v40
	v_ffbh_u32_e32 v62, v42
	v_min_u32_e32 v64, 32, v62
	v_subrev_u32_e32 v62, 28, v64
	v_lshlrev_b64 v[62:63], v62, v[40:41]
	v_lshrrev_b32_e32 v61, 3, v38
	v_sub_u32_e32 v63, 29, v64
	v_and_b32_e32 v62, 7, v62
	v_cmp_gt_u32_e32 vcc, 8, v38
	v_cndmask_b32_e32 v38, v61, v63, vcc
	v_cndmask_b32_e32 v42, v42, v62, vcc
	v_lshlrev_b32_e32 v40, 24, v40
	v_lshlrev_b32_e32 v42, 20, v42
	v_and_b32_e32 v40, 0x80000000, v40
	v_lshl_add_u32 v38, v38, 23, v48
	v_or3_b32 v38, v40, v38, v42
	v_lshrrev_b32_e32 v61, 16, v38
.LBB947_499:                            ;   in Loop: Header=BB947_213 Depth=1
	s_or_b64 exec, exec, s[16:17]
.LBB947_500:                            ;   in Loop: Header=BB947_213 Depth=1
	s_or_b64 exec, exec, s[14:15]
.LBB947_501:                            ;   in Loop: Header=BB947_213 Depth=1
	s_or_b64 exec, exec, s[12:13]
	v_perm_b32 v62, v44, v46, s23
	buffer_load_dword v44, v59, s[0:3], 0 offen
	buffer_load_dword v42, v59, s[0:3], 0 offen offset:4
	buffer_load_dword v40, v59, s[0:3], 0 offen offset:8
	;; [unrolled: 1-line block ×3, first 2 shown]
	v_perm_b32 v63, v52, v50, s23
	v_perm_b32 v61, v61, v60, s23
	;; [unrolled: 1-line block ×3, first 2 shown]
	v_mfma_f32_16x16x16bf16_1k v[34:37], v[62:63], v[22:23], v[34:37]
	s_waitcnt vmcnt(3)
	v_cmp_ne_u16_sdwa s[14:15], v44, v47 src0_sel:BYTE_0 src1_sel:DWORD
	v_mfma_f32_16x16x16bf16_1k v[34:37], v[60:61], v[24:25], v[34:37]
	s_and_saveexec_b64 s[12:13], s[14:15]
	s_cbranch_execz .LBB947_507
; %bb.502:                              ;   in Loop: Header=BB947_213 Depth=1
	v_cmp_ne_u16_sdwa s[16:17], v44, s9 src0_sel:BYTE_0 src1_sel:DWORD
	v_mov_b32_e32 v49, 0xffff8000
	s_and_saveexec_b64 s[14:15], s[16:17]
	s_cbranch_execz .LBB947_506
; %bb.503:                              ;   in Loop: Header=BB947_213 Depth=1
	v_and_b32_e32 v46, 0x7f, v44
	v_cmp_ne_u32_e32 vcc, s21, v46
	v_mov_b32_e32 v49, 0x7f80
	s_and_saveexec_b64 s[16:17], vcc
	s_cbranch_execz .LBB947_505
; %bb.504:                              ;   in Loop: Header=BB947_213 Depth=1
	v_and_b32_e32 v49, 7, v44
	v_ffbh_u32_e32 v50, v49
	v_min_u32_e32 v53, 32, v50
	v_subrev_u32_e32 v50, 28, v53
	v_lshlrev_b64 v[50:51], v50, v[44:45]
	v_lshrrev_b32_e32 v52, 3, v46
	v_sub_u32_e32 v51, 29, v53
	v_and_b32_e32 v50, 7, v50
	v_cmp_gt_u32_e32 vcc, 8, v46
	v_cndmask_b32_e32 v46, v52, v51, vcc
	v_cndmask_b32_e32 v49, v49, v50, vcc
	v_lshlrev_b32_e32 v50, 24, v44
	v_lshlrev_b32_e32 v49, 20, v49
	v_and_b32_e32 v50, 0x80000000, v50
	v_lshl_add_u32 v46, v46, 23, v48
	v_or3_b32 v46, v50, v46, v49
	v_lshrrev_b32_e32 v49, 16, v46
.LBB947_505:                            ;   in Loop: Header=BB947_213 Depth=1
	s_or_b64 exec, exec, s[16:17]
.LBB947_506:                            ;   in Loop: Header=BB947_213 Depth=1
	s_or_b64 exec, exec, s[14:15]
.LBB947_507:                            ;   in Loop: Header=BB947_213 Depth=1
	s_or_b64 exec, exec, s[12:13]
	v_lshrrev_b16_e32 v46, 8, v44
	v_cmp_ne_u16_e32 vcc, 0, v46
	v_mov_b32_e32 v51, 0
	v_mov_b32_e32 v50, 0
	s_and_saveexec_b64 s[12:13], vcc
	s_cbranch_execz .LBB947_513
; %bb.508:                              ;   in Loop: Header=BB947_213 Depth=1
	v_cmp_ne_u16_e32 vcc, s9, v46
	v_mov_b32_e32 v50, 0xffff8000
	s_and_saveexec_b64 s[14:15], vcc
	s_cbranch_execz .LBB947_512
; %bb.509:                              ;   in Loop: Header=BB947_213 Depth=1
	v_and_b32_e32 v52, 0x7f, v46
	v_cmp_ne_u32_e32 vcc, s21, v52
	v_mov_b32_e32 v50, 0x7f80
	s_and_saveexec_b64 s[16:17], vcc
	s_cbranch_execz .LBB947_511
; %bb.510:                              ;   in Loop: Header=BB947_213 Depth=1
	v_and_b32_e32 v50, 7, v46
	v_ffbh_u32_e32 v59, v50
	v_min_u32_e32 v59, 32, v59
	v_subrev_u32_e32 v60, 28, v59
	v_lshlrev_b64 v[60:61], v60, v[46:47]
	v_lshrrev_b32_e32 v53, 3, v52
	v_sub_u32_e32 v46, 29, v59
	v_and_b32_e32 v59, 7, v60
	v_cmp_gt_u32_e32 vcc, 8, v52
	v_cndmask_b32_e32 v46, v53, v46, vcc
	v_cndmask_b32_e32 v50, v50, v59, vcc
	v_lshlrev_b32_e32 v52, 16, v44
	v_lshlrev_b32_e32 v50, 20, v50
	v_and_b32_e32 v52, 0x80000000, v52
	v_lshl_add_u32 v46, v46, 23, v48
	v_or3_b32 v46, v52, v46, v50
	v_lshrrev_b32_e32 v50, 16, v46
.LBB947_511:                            ;   in Loop: Header=BB947_213 Depth=1
	s_or_b64 exec, exec, s[16:17]
.LBB947_512:                            ;   in Loop: Header=BB947_213 Depth=1
	s_or_b64 exec, exec, s[14:15]
.LBB947_513:                            ;   in Loop: Header=BB947_213 Depth=1
	s_or_b64 exec, exec, s[12:13]
	v_lshrrev_b32_e32 v46, 16, v44
	v_cmp_ne_u16_sdwa s[14:15], v46, v47 src0_sel:BYTE_0 src1_sel:DWORD
	s_and_saveexec_b64 s[12:13], s[14:15]
	s_cbranch_execz .LBB947_519
; %bb.514:                              ;   in Loop: Header=BB947_213 Depth=1
	v_cmp_ne_u16_sdwa s[16:17], v46, s9 src0_sel:BYTE_0 src1_sel:DWORD
	v_mov_b32_e32 v51, 0xffff8000
	s_and_saveexec_b64 s[14:15], s[16:17]
	s_cbranch_execz .LBB947_518
; %bb.515:                              ;   in Loop: Header=BB947_213 Depth=1
	v_bfe_u32 v52, v44, 16, 7
	v_cmp_ne_u32_e32 vcc, s21, v52
	v_mov_b32_e32 v51, 0x7f80
	s_and_saveexec_b64 s[16:17], vcc
	s_cbranch_execz .LBB947_517
; %bb.516:                              ;   in Loop: Header=BB947_213 Depth=1
	v_and_b32_e32 v51, 7, v46
	v_ffbh_u32_e32 v59, v51
	v_min_u32_e32 v59, 32, v59
	v_subrev_u32_e32 v60, 28, v59
	v_lshlrev_b64 v[60:61], v60, v[46:47]
	v_lshrrev_b32_e32 v53, 3, v52
	v_sub_u32_e32 v59, 29, v59
	v_and_b32_e32 v60, 7, v60
	v_cmp_gt_u32_e32 vcc, 8, v52
	v_cndmask_b32_e32 v52, v53, v59, vcc
	v_cndmask_b32_e32 v51, v51, v60, vcc
	v_lshlrev_b32_e32 v46, 24, v46
	v_lshlrev_b32_e32 v51, 20, v51
	v_and_b32_e32 v46, 0x80000000, v46
	v_lshl_add_u32 v52, v52, 23, v48
	v_or3_b32 v46, v46, v52, v51
	v_lshrrev_b32_e32 v51, 16, v46
.LBB947_517:                            ;   in Loop: Header=BB947_213 Depth=1
	s_or_b64 exec, exec, s[16:17]
.LBB947_518:                            ;   in Loop: Header=BB947_213 Depth=1
	s_or_b64 exec, exec, s[14:15]
.LBB947_519:                            ;   in Loop: Header=BB947_213 Depth=1
	s_or_b64 exec, exec, s[12:13]
	v_cmp_lt_u32_e32 vcc, s22, v44
	v_mov_b32_e32 v52, 0
	v_mov_b32_e32 v53, 0
	s_and_saveexec_b64 s[12:13], vcc
	s_cbranch_execz .LBB947_525
; %bb.520:                              ;   in Loop: Header=BB947_213 Depth=1
	v_lshrrev_b32_e32 v46, 24, v44
	v_cmp_ne_u32_e32 vcc, s9, v46
	v_mov_b32_e32 v53, 0xffff8000
	s_and_saveexec_b64 s[14:15], vcc
	s_cbranch_execz .LBB947_524
; %bb.521:                              ;   in Loop: Header=BB947_213 Depth=1
	v_bfe_u32 v44, v44, 24, 7
	v_cmp_ne_u32_e32 vcc, s21, v44
	v_mov_b32_e32 v53, 0x7f80
	s_and_saveexec_b64 s[16:17], vcc
	s_cbranch_execz .LBB947_523
; %bb.522:                              ;   in Loop: Header=BB947_213 Depth=1
	v_and_b32_e32 v53, 7, v46
	v_ffbh_u32_e32 v60, v53
	v_min_u32_e32 v62, 32, v60
	v_subrev_u32_e32 v60, 28, v62
	v_lshlrev_b64 v[60:61], v60, v[46:47]
	v_lshrrev_b32_e32 v59, 3, v44
	v_sub_u32_e32 v61, 29, v62
	v_and_b32_e32 v60, 7, v60
	v_cmp_gt_u32_e32 vcc, 8, v44
	v_cndmask_b32_e32 v44, v59, v61, vcc
	v_cndmask_b32_e32 v53, v53, v60, vcc
	v_lshlrev_b32_e32 v46, 24, v46
	v_lshlrev_b32_e32 v53, 20, v53
	v_and_b32_e32 v46, 0x80000000, v46
	v_lshl_add_u32 v44, v44, 23, v48
	v_or3_b32 v44, v46, v44, v53
	v_lshrrev_b32_e32 v53, 16, v44
.LBB947_523:                            ;   in Loop: Header=BB947_213 Depth=1
	s_or_b64 exec, exec, s[16:17]
.LBB947_524:                            ;   in Loop: Header=BB947_213 Depth=1
	s_or_b64 exec, exec, s[14:15]
.LBB947_525:                            ;   in Loop: Header=BB947_213 Depth=1
	s_or_b64 exec, exec, s[12:13]
	s_waitcnt vmcnt(2)
	v_cmp_ne_u16_sdwa s[14:15], v42, v47 src0_sel:BYTE_0 src1_sel:DWORD
	s_and_saveexec_b64 s[12:13], s[14:15]
	s_cbranch_execz .LBB947_531
; %bb.526:                              ;   in Loop: Header=BB947_213 Depth=1
	v_cmp_ne_u16_sdwa s[16:17], v42, s9 src0_sel:BYTE_0 src1_sel:DWORD
	v_mov_b32_e32 v52, 0xffff8000
	s_and_saveexec_b64 s[14:15], s[16:17]
	s_cbranch_execz .LBB947_530
; %bb.527:                              ;   in Loop: Header=BB947_213 Depth=1
	v_and_b32_e32 v44, 0x7f, v42
	v_cmp_ne_u32_e32 vcc, s21, v44
	v_mov_b32_e32 v52, 0x7f80
	s_and_saveexec_b64 s[16:17], vcc
	s_cbranch_execz .LBB947_529
; %bb.528:                              ;   in Loop: Header=BB947_213 Depth=1
	v_and_b32_e32 v46, 7, v42
	v_ffbh_u32_e32 v59, v46
	v_min_u32_e32 v59, 32, v59
	v_subrev_u32_e32 v60, 28, v59
	v_lshlrev_b64 v[60:61], v60, v[42:43]
	v_lshrrev_b32_e32 v52, 3, v44
	v_sub_u32_e32 v59, 29, v59
	v_and_b32_e32 v60, 7, v60
	v_cmp_gt_u32_e32 vcc, 8, v44
	v_cndmask_b32_e32 v44, v52, v59, vcc
	v_cndmask_b32_e32 v46, v46, v60, vcc
	v_lshlrev_b32_e32 v52, 24, v42
	v_lshlrev_b32_e32 v46, 20, v46
	v_and_b32_e32 v52, 0x80000000, v52
	v_lshl_add_u32 v44, v44, 23, v48
	v_or3_b32 v44, v52, v44, v46
	v_lshrrev_b32_e32 v52, 16, v44
.LBB947_529:                            ;   in Loop: Header=BB947_213 Depth=1
	s_or_b64 exec, exec, s[16:17]
.LBB947_530:                            ;   in Loop: Header=BB947_213 Depth=1
	s_or_b64 exec, exec, s[14:15]
.LBB947_531:                            ;   in Loop: Header=BB947_213 Depth=1
	s_or_b64 exec, exec, s[12:13]
	v_lshrrev_b16_e32 v44, 8, v42
	v_cmp_ne_u16_e32 vcc, 0, v44
	v_mov_b32_e32 v60, 0
	v_mov_b32_e32 v59, 0
	s_and_saveexec_b64 s[12:13], vcc
	s_cbranch_execz .LBB947_537
; %bb.532:                              ;   in Loop: Header=BB947_213 Depth=1
	v_cmp_ne_u16_e32 vcc, s9, v44
	v_mov_b32_e32 v59, 0xffff8000
	s_and_saveexec_b64 s[14:15], vcc
	s_cbranch_execz .LBB947_536
; %bb.533:                              ;   in Loop: Header=BB947_213 Depth=1
	v_and_b32_e32 v46, 0x7f, v44
	v_cmp_ne_u32_e32 vcc, s21, v46
	v_mov_b32_e32 v59, 0x7f80
	s_and_saveexec_b64 s[16:17], vcc
	s_cbranch_execz .LBB947_535
; %bb.534:                              ;   in Loop: Header=BB947_213 Depth=1
	v_and_b32_e32 v59, 7, v44
	v_ffbh_u32_e32 v62, v59
	v_min_u32_e32 v64, 32, v62
	v_subrev_u32_e32 v62, 28, v64
	v_lshlrev_b64 v[62:63], v62, v[44:45]
	v_lshrrev_b32_e32 v61, 3, v46
	v_sub_u32_e32 v44, 29, v64
	v_and_b32_e32 v62, 7, v62
	v_cmp_gt_u32_e32 vcc, 8, v46
	v_cndmask_b32_e32 v44, v61, v44, vcc
	v_cndmask_b32_e32 v46, v59, v62, vcc
	v_lshlrev_b32_e32 v59, 16, v42
	v_lshlrev_b32_e32 v46, 20, v46
	v_and_b32_e32 v59, 0x80000000, v59
	v_lshl_add_u32 v44, v44, 23, v48
	v_or3_b32 v44, v59, v44, v46
	v_lshrrev_b32_e32 v59, 16, v44
.LBB947_535:                            ;   in Loop: Header=BB947_213 Depth=1
	s_or_b64 exec, exec, s[16:17]
.LBB947_536:                            ;   in Loop: Header=BB947_213 Depth=1
	s_or_b64 exec, exec, s[14:15]
.LBB947_537:                            ;   in Loop: Header=BB947_213 Depth=1
	s_or_b64 exec, exec, s[12:13]
	v_lshrrev_b32_e32 v44, 16, v42
	v_cmp_ne_u16_sdwa s[14:15], v44, v47 src0_sel:BYTE_0 src1_sel:DWORD
	s_and_saveexec_b64 s[12:13], s[14:15]
	s_cbranch_execz .LBB947_543
; %bb.538:                              ;   in Loop: Header=BB947_213 Depth=1
	v_cmp_ne_u16_sdwa s[16:17], v44, s9 src0_sel:BYTE_0 src1_sel:DWORD
	v_mov_b32_e32 v60, 0xffff8000
	s_and_saveexec_b64 s[14:15], s[16:17]
	s_cbranch_execz .LBB947_542
; %bb.539:                              ;   in Loop: Header=BB947_213 Depth=1
	v_bfe_u32 v46, v42, 16, 7
	v_cmp_ne_u32_e32 vcc, s21, v46
	v_mov_b32_e32 v60, 0x7f80
	s_and_saveexec_b64 s[16:17], vcc
	s_cbranch_execz .LBB947_541
; %bb.540:                              ;   in Loop: Header=BB947_213 Depth=1
	v_and_b32_e32 v62, 7, v44
	v_ffbh_u32_e32 v60, v62
	v_min_u32_e32 v64, 32, v60
	v_subrev_u32_e32 v60, 28, v64
	v_lshlrev_b64 v[60:61], v60, v[44:45]
	v_lshrrev_b32_e32 v63, 3, v46
	v_sub_u32_e32 v61, 29, v64
	v_and_b32_e32 v60, 7, v60
	v_cmp_gt_u32_e32 vcc, 8, v46
	v_cndmask_b32_e32 v46, v63, v61, vcc
	v_cndmask_b32_e32 v60, v62, v60, vcc
	v_lshlrev_b32_e32 v44, 24, v44
	v_lshlrev_b32_e32 v60, 20, v60
	v_and_b32_e32 v44, 0x80000000, v44
	v_lshl_add_u32 v46, v46, 23, v48
	v_or3_b32 v44, v44, v46, v60
	v_lshrrev_b32_e32 v60, 16, v44
.LBB947_541:                            ;   in Loop: Header=BB947_213 Depth=1
	s_or_b64 exec, exec, s[16:17]
.LBB947_542:                            ;   in Loop: Header=BB947_213 Depth=1
	s_or_b64 exec, exec, s[14:15]
.LBB947_543:                            ;   in Loop: Header=BB947_213 Depth=1
	s_or_b64 exec, exec, s[12:13]
	v_cmp_lt_u32_e32 vcc, s22, v42
	v_mov_b32_e32 v46, 0
	v_mov_b32_e32 v61, 0
	s_and_saveexec_b64 s[12:13], vcc
	s_cbranch_execz .LBB947_549
; %bb.544:                              ;   in Loop: Header=BB947_213 Depth=1
	v_lshrrev_b32_e32 v44, 24, v42
	v_cmp_ne_u32_e32 vcc, s9, v44
	v_mov_b32_e32 v61, 0xffff8000
	s_and_saveexec_b64 s[14:15], vcc
	s_cbranch_execz .LBB947_548
; %bb.545:                              ;   in Loop: Header=BB947_213 Depth=1
	v_bfe_u32 v42, v42, 24, 7
	v_cmp_ne_u32_e32 vcc, s21, v42
	v_mov_b32_e32 v61, 0x7f80
	s_and_saveexec_b64 s[16:17], vcc
	s_cbranch_execz .LBB947_547
; %bb.546:                              ;   in Loop: Header=BB947_213 Depth=1
	v_and_b32_e32 v61, 7, v44
	v_ffbh_u32_e32 v62, v61
	v_min_u32_e32 v65, 32, v62
	v_subrev_u32_e32 v62, 28, v65
	v_lshlrev_b64 v[62:63], v62, v[44:45]
	v_lshrrev_b32_e32 v64, 3, v42
	v_sub_u32_e32 v63, 29, v65
	v_and_b32_e32 v62, 7, v62
	v_cmp_gt_u32_e32 vcc, 8, v42
	v_cndmask_b32_e32 v42, v64, v63, vcc
	v_cndmask_b32_e32 v61, v61, v62, vcc
	v_lshlrev_b32_e32 v44, 24, v44
	v_lshlrev_b32_e32 v61, 20, v61
	v_and_b32_e32 v44, 0x80000000, v44
	v_lshl_add_u32 v42, v42, 23, v48
	v_or3_b32 v42, v44, v42, v61
	v_lshrrev_b32_e32 v61, 16, v42
.LBB947_547:                            ;   in Loop: Header=BB947_213 Depth=1
	s_or_b64 exec, exec, s[16:17]
.LBB947_548:                            ;   in Loop: Header=BB947_213 Depth=1
	s_or_b64 exec, exec, s[14:15]
.LBB947_549:                            ;   in Loop: Header=BB947_213 Depth=1
	s_or_b64 exec, exec, s[12:13]
	v_perm_b32 v51, v53, v51, s23
	v_perm_b32 v50, v50, v49, s23
	s_waitcnt vmcnt(1)
	v_cmp_ne_u16_sdwa s[14:15], v40, v47 src0_sel:BYTE_0 src1_sel:DWORD
	v_mfma_f32_16x16x16bf16_1k v[34:37], v[50:51], v[26:27], v[34:37]
	v_perm_b32 v51, v61, v60, s23
	v_perm_b32 v50, v59, v52, s23
	s_nop 1
	v_mfma_f32_16x16x16bf16_1k v[34:37], v[50:51], v[28:29], v[34:37]
	s_and_saveexec_b64 s[12:13], s[14:15]
	s_cbranch_execz .LBB947_555
; %bb.550:                              ;   in Loop: Header=BB947_213 Depth=1
	v_cmp_ne_u16_sdwa s[16:17], v40, s9 src0_sel:BYTE_0 src1_sel:DWORD
	v_mov_b32_e32 v46, 0xffff8000
	s_and_saveexec_b64 s[14:15], s[16:17]
	s_cbranch_execz .LBB947_554
; %bb.551:                              ;   in Loop: Header=BB947_213 Depth=1
	v_and_b32_e32 v42, 0x7f, v40
	v_cmp_ne_u32_e32 vcc, s21, v42
	v_mov_b32_e32 v46, 0x7f80
	s_and_saveexec_b64 s[16:17], vcc
	s_cbranch_execz .LBB947_553
; %bb.552:                              ;   in Loop: Header=BB947_213 Depth=1
	v_and_b32_e32 v44, 7, v40
	v_ffbh_u32_e32 v49, v44
	v_min_u32_e32 v49, 32, v49
	v_subrev_u32_e32 v50, 28, v49
	v_lshlrev_b64 v[50:51], v50, v[40:41]
	v_lshrrev_b32_e32 v46, 3, v42
	v_sub_u32_e32 v49, 29, v49
	v_and_b32_e32 v50, 7, v50
	v_cmp_gt_u32_e32 vcc, 8, v42
	v_cndmask_b32_e32 v42, v46, v49, vcc
	v_cndmask_b32_e32 v44, v44, v50, vcc
	v_lshlrev_b32_e32 v46, 24, v40
	v_lshlrev_b32_e32 v44, 20, v44
	v_and_b32_e32 v46, 0x80000000, v46
	v_lshl_add_u32 v42, v42, 23, v48
	v_or3_b32 v42, v46, v42, v44
	v_lshrrev_b32_e32 v46, 16, v42
.LBB947_553:                            ;   in Loop: Header=BB947_213 Depth=1
	s_or_b64 exec, exec, s[16:17]
.LBB947_554:                            ;   in Loop: Header=BB947_213 Depth=1
	s_or_b64 exec, exec, s[14:15]
.LBB947_555:                            ;   in Loop: Header=BB947_213 Depth=1
	s_or_b64 exec, exec, s[12:13]
	v_lshrrev_b16_e32 v42, 8, v40
	v_cmp_ne_u16_e32 vcc, 0, v42
	v_mov_b32_e32 v49, 0
	v_mov_b32_e32 v44, 0
	s_and_saveexec_b64 s[12:13], vcc
	s_cbranch_execz .LBB947_561
; %bb.556:                              ;   in Loop: Header=BB947_213 Depth=1
	v_cmp_ne_u16_e32 vcc, s9, v42
	v_mov_b32_e32 v44, 0xffff8000
	s_and_saveexec_b64 s[14:15], vcc
	s_cbranch_execz .LBB947_560
; %bb.557:                              ;   in Loop: Header=BB947_213 Depth=1
	v_and_b32_e32 v50, 0x7f, v42
	v_cmp_ne_u32_e32 vcc, s21, v50
	v_mov_b32_e32 v44, 0x7f80
	s_and_saveexec_b64 s[16:17], vcc
	s_cbranch_execz .LBB947_559
; %bb.558:                              ;   in Loop: Header=BB947_213 Depth=1
	v_and_b32_e32 v44, 7, v42
	v_ffbh_u32_e32 v52, v44
	v_min_u32_e32 v59, 32, v52
	v_subrev_u32_e32 v52, 28, v59
	v_lshlrev_b64 v[52:53], v52, v[42:43]
	v_lshrrev_b32_e32 v51, 3, v50
	v_sub_u32_e32 v42, 29, v59
	v_and_b32_e32 v52, 7, v52
	v_cmp_gt_u32_e32 vcc, 8, v50
	v_cndmask_b32_e32 v42, v51, v42, vcc
	v_cndmask_b32_e32 v44, v44, v52, vcc
	v_lshlrev_b32_e32 v50, 16, v40
	v_lshlrev_b32_e32 v44, 20, v44
	v_and_b32_e32 v50, 0x80000000, v50
	v_lshl_add_u32 v42, v42, 23, v48
	v_or3_b32 v42, v50, v42, v44
	v_lshrrev_b32_e32 v44, 16, v42
.LBB947_559:                            ;   in Loop: Header=BB947_213 Depth=1
	s_or_b64 exec, exec, s[16:17]
.LBB947_560:                            ;   in Loop: Header=BB947_213 Depth=1
	s_or_b64 exec, exec, s[14:15]
.LBB947_561:                            ;   in Loop: Header=BB947_213 Depth=1
	s_or_b64 exec, exec, s[12:13]
	v_lshrrev_b32_e32 v42, 16, v40
	v_cmp_ne_u16_sdwa s[14:15], v42, v47 src0_sel:BYTE_0 src1_sel:DWORD
	s_and_saveexec_b64 s[12:13], s[14:15]
	s_cbranch_execz .LBB947_567
; %bb.562:                              ;   in Loop: Header=BB947_213 Depth=1
	v_cmp_ne_u16_sdwa s[16:17], v42, s9 src0_sel:BYTE_0 src1_sel:DWORD
	v_mov_b32_e32 v49, 0xffff8000
	s_and_saveexec_b64 s[14:15], s[16:17]
	s_cbranch_execz .LBB947_566
; %bb.563:                              ;   in Loop: Header=BB947_213 Depth=1
	v_bfe_u32 v50, v40, 16, 7
	v_cmp_ne_u32_e32 vcc, s21, v50
	v_mov_b32_e32 v49, 0x7f80
	s_and_saveexec_b64 s[16:17], vcc
	s_cbranch_execz .LBB947_565
; %bb.564:                              ;   in Loop: Header=BB947_213 Depth=1
	v_and_b32_e32 v49, 7, v42
	v_ffbh_u32_e32 v52, v49
	v_min_u32_e32 v59, 32, v52
	v_subrev_u32_e32 v52, 28, v59
	v_lshlrev_b64 v[52:53], v52, v[42:43]
	v_lshrrev_b32_e32 v51, 3, v50
	v_sub_u32_e32 v53, 29, v59
	v_and_b32_e32 v52, 7, v52
	v_cmp_gt_u32_e32 vcc, 8, v50
	v_cndmask_b32_e32 v50, v51, v53, vcc
	v_cndmask_b32_e32 v49, v49, v52, vcc
	v_lshlrev_b32_e32 v42, 24, v42
	v_lshlrev_b32_e32 v49, 20, v49
	v_and_b32_e32 v42, 0x80000000, v42
	v_lshl_add_u32 v50, v50, 23, v48
	v_or3_b32 v42, v42, v50, v49
	v_lshrrev_b32_e32 v49, 16, v42
.LBB947_565:                            ;   in Loop: Header=BB947_213 Depth=1
	s_or_b64 exec, exec, s[16:17]
.LBB947_566:                            ;   in Loop: Header=BB947_213 Depth=1
	s_or_b64 exec, exec, s[14:15]
.LBB947_567:                            ;   in Loop: Header=BB947_213 Depth=1
	s_or_b64 exec, exec, s[12:13]
	v_cmp_lt_u32_e32 vcc, s22, v40
	v_mov_b32_e32 v50, 0
	v_mov_b32_e32 v51, 0
	s_and_saveexec_b64 s[12:13], vcc
	s_cbranch_execz .LBB947_573
; %bb.568:                              ;   in Loop: Header=BB947_213 Depth=1
	v_lshrrev_b32_e32 v42, 24, v40
	v_cmp_ne_u32_e32 vcc, s9, v42
	v_mov_b32_e32 v51, 0xffff8000
	s_and_saveexec_b64 s[14:15], vcc
	s_cbranch_execz .LBB947_572
; %bb.569:                              ;   in Loop: Header=BB947_213 Depth=1
	v_bfe_u32 v40, v40, 24, 7
	v_cmp_ne_u32_e32 vcc, s21, v40
	v_mov_b32_e32 v51, 0x7f80
	s_and_saveexec_b64 s[16:17], vcc
	s_cbranch_execz .LBB947_571
; %bb.570:                              ;   in Loop: Header=BB947_213 Depth=1
	v_and_b32_e32 v51, 7, v42
	v_ffbh_u32_e32 v52, v51
	v_min_u32_e32 v60, 32, v52
	v_subrev_u32_e32 v52, 28, v60
	v_lshlrev_b64 v[52:53], v52, v[42:43]
	v_lshrrev_b32_e32 v59, 3, v40
	v_sub_u32_e32 v53, 29, v60
	v_and_b32_e32 v52, 7, v52
	v_cmp_gt_u32_e32 vcc, 8, v40
	v_cndmask_b32_e32 v40, v59, v53, vcc
	v_cndmask_b32_e32 v51, v51, v52, vcc
	v_lshlrev_b32_e32 v42, 24, v42
	v_lshlrev_b32_e32 v51, 20, v51
	v_and_b32_e32 v42, 0x80000000, v42
	v_lshl_add_u32 v40, v40, 23, v48
	v_or3_b32 v40, v42, v40, v51
	v_lshrrev_b32_e32 v51, 16, v40
.LBB947_571:                            ;   in Loop: Header=BB947_213 Depth=1
	s_or_b64 exec, exec, s[16:17]
.LBB947_572:                            ;   in Loop: Header=BB947_213 Depth=1
	s_or_b64 exec, exec, s[14:15]
.LBB947_573:                            ;   in Loop: Header=BB947_213 Depth=1
	s_or_b64 exec, exec, s[12:13]
	s_waitcnt vmcnt(0)
	v_cmp_ne_u16_sdwa s[14:15], v38, v47 src0_sel:BYTE_0 src1_sel:DWORD
	s_and_saveexec_b64 s[12:13], s[14:15]
	s_cbranch_execz .LBB947_579
; %bb.574:                              ;   in Loop: Header=BB947_213 Depth=1
	v_cmp_ne_u16_sdwa s[16:17], v38, s9 src0_sel:BYTE_0 src1_sel:DWORD
	v_mov_b32_e32 v50, 0xffff8000
	s_and_saveexec_b64 s[14:15], s[16:17]
	s_cbranch_execz .LBB947_578
; %bb.575:                              ;   in Loop: Header=BB947_213 Depth=1
	v_and_b32_e32 v40, 0x7f, v38
	v_cmp_ne_u32_e32 vcc, s21, v40
	v_mov_b32_e32 v50, 0x7f80
	s_and_saveexec_b64 s[16:17], vcc
	s_cbranch_execz .LBB947_577
; %bb.576:                              ;   in Loop: Header=BB947_213 Depth=1
	v_and_b32_e32 v42, 7, v38
	v_ffbh_u32_e32 v52, v42
	v_min_u32_e32 v59, 32, v52
	v_subrev_u32_e32 v52, 28, v59
	v_lshlrev_b64 v[52:53], v52, v[38:39]
	v_lshrrev_b32_e32 v50, 3, v40
	v_sub_u32_e32 v53, 29, v59
	v_and_b32_e32 v52, 7, v52
	v_cmp_gt_u32_e32 vcc, 8, v40
	v_cndmask_b32_e32 v40, v50, v53, vcc
	v_cndmask_b32_e32 v42, v42, v52, vcc
	v_lshlrev_b32_e32 v50, 24, v38
	v_lshlrev_b32_e32 v42, 20, v42
	v_and_b32_e32 v50, 0x80000000, v50
	v_lshl_add_u32 v40, v40, 23, v48
	v_or3_b32 v40, v50, v40, v42
	v_lshrrev_b32_e32 v50, 16, v40
.LBB947_577:                            ;   in Loop: Header=BB947_213 Depth=1
	s_or_b64 exec, exec, s[16:17]
.LBB947_578:                            ;   in Loop: Header=BB947_213 Depth=1
	s_or_b64 exec, exec, s[14:15]
.LBB947_579:                            ;   in Loop: Header=BB947_213 Depth=1
	s_or_b64 exec, exec, s[12:13]
	v_lshrrev_b16_e32 v40, 8, v38
	v_cmp_ne_u16_e32 vcc, 0, v40
	v_mov_b32_e32 v52, 0
	v_mov_b32_e32 v42, 0
	s_and_saveexec_b64 s[12:13], vcc
	s_cbranch_execz .LBB947_585
; %bb.580:                              ;   in Loop: Header=BB947_213 Depth=1
	v_cmp_ne_u16_e32 vcc, s9, v40
	v_mov_b32_e32 v42, 0xffff8000
	s_and_saveexec_b64 s[14:15], vcc
	s_cbranch_execz .LBB947_584
; %bb.581:                              ;   in Loop: Header=BB947_213 Depth=1
	v_and_b32_e32 v53, 0x7f, v40
	v_cmp_ne_u32_e32 vcc, s21, v53
	v_mov_b32_e32 v42, 0x7f80
	s_and_saveexec_b64 s[16:17], vcc
	s_cbranch_execz .LBB947_583
; %bb.582:                              ;   in Loop: Header=BB947_213 Depth=1
	v_and_b32_e32 v42, 7, v40
	v_ffbh_u32_e32 v60, v42
	v_min_u32_e32 v62, 32, v60
	v_subrev_u32_e32 v60, 28, v62
	v_lshlrev_b64 v[60:61], v60, v[40:41]
	v_lshrrev_b32_e32 v59, 3, v53
	v_sub_u32_e32 v40, 29, v62
	v_and_b32_e32 v60, 7, v60
	v_cmp_gt_u32_e32 vcc, 8, v53
	v_cndmask_b32_e32 v40, v59, v40, vcc
	v_cndmask_b32_e32 v42, v42, v60, vcc
	v_lshlrev_b32_e32 v53, 16, v38
	v_lshlrev_b32_e32 v42, 20, v42
	v_and_b32_e32 v53, 0x80000000, v53
	v_lshl_add_u32 v40, v40, 23, v48
	v_or3_b32 v40, v53, v40, v42
	v_lshrrev_b32_e32 v42, 16, v40
.LBB947_583:                            ;   in Loop: Header=BB947_213 Depth=1
	s_or_b64 exec, exec, s[16:17]
.LBB947_584:                            ;   in Loop: Header=BB947_213 Depth=1
	s_or_b64 exec, exec, s[14:15]
.LBB947_585:                            ;   in Loop: Header=BB947_213 Depth=1
	s_or_b64 exec, exec, s[12:13]
	v_lshrrev_b32_e32 v40, 16, v38
	v_cmp_ne_u16_sdwa s[14:15], v40, v47 src0_sel:BYTE_0 src1_sel:DWORD
	s_and_saveexec_b64 s[12:13], s[14:15]
	s_cbranch_execz .LBB947_591
; %bb.586:                              ;   in Loop: Header=BB947_213 Depth=1
	v_cmp_ne_u16_sdwa s[16:17], v40, s9 src0_sel:BYTE_0 src1_sel:DWORD
	v_mov_b32_e32 v52, 0xffff8000
	s_and_saveexec_b64 s[14:15], s[16:17]
	s_cbranch_execz .LBB947_590
; %bb.587:                              ;   in Loop: Header=BB947_213 Depth=1
	v_bfe_u32 v53, v38, 16, 7
	v_cmp_ne_u32_e32 vcc, s21, v53
	v_mov_b32_e32 v52, 0x7f80
	s_and_saveexec_b64 s[16:17], vcc
	s_cbranch_execz .LBB947_589
; %bb.588:                              ;   in Loop: Header=BB947_213 Depth=1
	v_and_b32_e32 v52, 7, v40
	v_ffbh_u32_e32 v60, v52
	v_min_u32_e32 v62, 32, v60
	v_subrev_u32_e32 v60, 28, v62
	v_lshlrev_b64 v[60:61], v60, v[40:41]
	v_lshrrev_b32_e32 v59, 3, v53
	v_sub_u32_e32 v61, 29, v62
	v_and_b32_e32 v60, 7, v60
	v_cmp_gt_u32_e32 vcc, 8, v53
	v_cndmask_b32_e32 v53, v59, v61, vcc
	v_cndmask_b32_e32 v52, v52, v60, vcc
	v_lshlrev_b32_e32 v40, 24, v40
	v_lshlrev_b32_e32 v52, 20, v52
	v_and_b32_e32 v40, 0x80000000, v40
	v_lshl_add_u32 v53, v53, 23, v48
	v_or3_b32 v40, v40, v53, v52
	v_lshrrev_b32_e32 v52, 16, v40
.LBB947_589:                            ;   in Loop: Header=BB947_213 Depth=1
	s_or_b64 exec, exec, s[16:17]
.LBB947_590:                            ;   in Loop: Header=BB947_213 Depth=1
	s_or_b64 exec, exec, s[14:15]
.LBB947_591:                            ;   in Loop: Header=BB947_213 Depth=1
	s_or_b64 exec, exec, s[12:13]
	v_cmp_lt_u32_e32 vcc, s22, v38
	v_mov_b32_e32 v53, 0
	s_and_saveexec_b64 s[12:13], vcc
	s_cbranch_execz .LBB947_212
; %bb.592:                              ;   in Loop: Header=BB947_213 Depth=1
	v_lshrrev_b32_e32 v40, 24, v38
	v_cmp_ne_u32_e32 vcc, s9, v40
	v_mov_b32_e32 v53, 0xffff8000
	s_and_saveexec_b64 s[14:15], vcc
	s_cbranch_execz .LBB947_211
; %bb.593:                              ;   in Loop: Header=BB947_213 Depth=1
	v_bfe_u32 v38, v38, 24, 7
	v_cmp_ne_u32_e32 vcc, s21, v38
	v_mov_b32_e32 v53, 0x7f80
	s_and_saveexec_b64 s[16:17], vcc
	s_cbranch_execz .LBB947_210
; %bb.594:                              ;   in Loop: Header=BB947_213 Depth=1
	v_and_b32_e32 v53, 7, v40
	v_ffbh_u32_e32 v60, v53
	v_min_u32_e32 v62, 32, v60
	v_subrev_u32_e32 v60, 28, v62
	v_lshlrev_b64 v[60:61], v60, v[40:41]
	v_lshrrev_b32_e32 v59, 3, v38
	v_sub_u32_e32 v61, 29, v62
	v_and_b32_e32 v60, 7, v60
	v_cmp_gt_u32_e32 vcc, 8, v38
	v_cndmask_b32_e32 v38, v59, v61, vcc
	v_cndmask_b32_e32 v53, v53, v60, vcc
	v_lshlrev_b32_e32 v40, 24, v40
	v_lshlrev_b32_e32 v53, 20, v53
	v_and_b32_e32 v40, 0x80000000, v40
	v_lshl_add_u32 v38, v38, 23, v48
	v_or3_b32 v38, v40, v38, v53
	v_lshrrev_b32_e32 v53, 16, v38
	s_branch .LBB947_210
.LBB947_595:
	s_barrier
	buffer_load_dword v2, off, s[0:3], 0 offset:320
	buffer_load_dword v5, off, s[0:3], 0 offset:332
	;; [unrolled: 1-line block ×4, first 2 shown]
	v_cmp_gt_u32_e32 vcc, 64, v0
	s_waitcnt vmcnt(0)
	ds_write2st64_b64 v43, v[2:3], v[4:5] offset1:1
	s_waitcnt lgkmcnt(0)
	s_barrier
	s_and_saveexec_b64 s[4:5], vcc
	s_cbranch_execz .LBB947_598
; %bb.596:
	s_lshl_b32 s4, s50, 7
	s_mul_i32 s5, s18, s8
	s_mul_hi_u32 s9, s5, s4
	s_mul_i32 s8, s5, s4
	s_lshl_b64 s[8:9], s[8:9], 1
	s_add_u32 s5, s48, s8
	v_lshlrev_b32_e32 v5, 6, v55
	s_mov_b32 s7, 0
	s_addc_u32 s8, s49, s9
	s_lshl_b32 s6, s24, 7
	v_lshl_or_b32 v0, v0, 10, v5
	s_lshl_b64 s[6:7], s[6:7], 1
	v_lshlrev_b32_e32 v3, 5, v1
	v_and_b32_e32 v4, 16, v56
	v_and_b32_e32 v0, 0x1a00, v0
	s_add_u32 s5, s5, s6
	v_or_b32_e32 v2, 4, v1
	v_or3_b32 v0, v0, v3, v4
	s_addc_u32 s6, s8, s7
	v_add_u32_e32 v1, s25, v1
	v_mov_b32_e32 v4, s6
	v_add_co_u32_e32 v3, vcc, s5, v54
	ds_read_b128 v[6:9], v0
	v_mad_u64_u32 v[10:11], s[6:7], v1, s4, 0
	v_addc_co_u32_e32 v4, vcc, 0, v4, vcc
	v_lshlrev_b64 v[10:11], 1, v[10:11]
	v_add_co_u32_e32 v10, vcc, v3, v10
	v_addc_co_u32_e32 v11, vcc, v4, v11, vcc
	v_cmp_gt_u32_e32 vcc, 6, v2
	s_waitcnt lgkmcnt(0)
	global_store_dwordx4 v[10:11], v[6:9], off
	s_and_b64 exec, exec, vcc
	s_cbranch_execz .LBB947_598
; %bb.597:
	ds_read_b128 v[6:9], v0 offset:128
	v_add_u32_e32 v0, s25, v2
	v_mad_u64_u32 v[0:1], s[4:5], v0, s4, 0
	v_lshlrev_b64 v[0:1], 1, v[0:1]
	v_add_co_u32_e32 v0, vcc, v3, v0
	v_addc_co_u32_e32 v1, vcc, v4, v1, vcc
	s_waitcnt lgkmcnt(0)
	global_store_dwordx4 v[0:1], v[6:9], off
.LBB947_598:
	s_endpgm
	.section	.rodata,"a",@progbits
	.p2align	6, 0x0
	.amdhsa_kernel _Z39paged_attention_ll4mi_QKV_mfma16_kernelI14__hip_bfloat16hLN4vllm18Fp8KVCacheDataTypeE1ES0_Li32ELi128ELi256ELb0ELi6EL8MFMAType0EEvPKT_PKT0_S9_ifPKiSB_SB_iPKfiiiPfSE_PS4_PT2_iSD_SD_
		.amdhsa_group_segment_fixed_size 8192
		.amdhsa_private_segment_fixed_size 352
		.amdhsa_kernarg_size 400
		.amdhsa_user_sgpr_count 8
		.amdhsa_user_sgpr_private_segment_buffer 1
		.amdhsa_user_sgpr_dispatch_ptr 0
		.amdhsa_user_sgpr_queue_ptr 0
		.amdhsa_user_sgpr_kernarg_segment_ptr 1
		.amdhsa_user_sgpr_dispatch_id 0
		.amdhsa_user_sgpr_flat_scratch_init 1
		.amdhsa_user_sgpr_kernarg_preload_length 0
		.amdhsa_user_sgpr_kernarg_preload_offset 0
		.amdhsa_user_sgpr_private_segment_size 0
		.amdhsa_uses_dynamic_stack 0
		.amdhsa_system_sgpr_private_segment_wavefront_offset 1
		.amdhsa_system_sgpr_workgroup_id_x 1
		.amdhsa_system_sgpr_workgroup_id_y 1
		.amdhsa_system_sgpr_workgroup_id_z 1
		.amdhsa_system_sgpr_workgroup_info 0
		.amdhsa_system_vgpr_workitem_id 0
		.amdhsa_next_free_vgpr 78
		.amdhsa_next_free_sgpr 53
		.amdhsa_accum_offset 80
		.amdhsa_reserve_vcc 1
		.amdhsa_reserve_flat_scratch 0
		.amdhsa_float_round_mode_32 0
		.amdhsa_float_round_mode_16_64 0
		.amdhsa_float_denorm_mode_32 3
		.amdhsa_float_denorm_mode_16_64 3
		.amdhsa_dx10_clamp 1
		.amdhsa_ieee_mode 1
		.amdhsa_fp16_overflow 0
		.amdhsa_tg_split 0
		.amdhsa_exception_fp_ieee_invalid_op 0
		.amdhsa_exception_fp_denorm_src 0
		.amdhsa_exception_fp_ieee_div_zero 0
		.amdhsa_exception_fp_ieee_overflow 0
		.amdhsa_exception_fp_ieee_underflow 0
		.amdhsa_exception_fp_ieee_inexact 0
		.amdhsa_exception_int_div_zero 0
	.end_amdhsa_kernel
	.section	.text._Z39paged_attention_ll4mi_QKV_mfma16_kernelI14__hip_bfloat16hLN4vllm18Fp8KVCacheDataTypeE1ES0_Li32ELi128ELi256ELb0ELi6EL8MFMAType0EEvPKT_PKT0_S9_ifPKiSB_SB_iPKfiiiPfSE_PS4_PT2_iSD_SD_,"axG",@progbits,_Z39paged_attention_ll4mi_QKV_mfma16_kernelI14__hip_bfloat16hLN4vllm18Fp8KVCacheDataTypeE1ES0_Li32ELi128ELi256ELb0ELi6EL8MFMAType0EEvPKT_PKT0_S9_ifPKiSB_SB_iPKfiiiPfSE_PS4_PT2_iSD_SD_,comdat
.Lfunc_end947:
	.size	_Z39paged_attention_ll4mi_QKV_mfma16_kernelI14__hip_bfloat16hLN4vllm18Fp8KVCacheDataTypeE1ES0_Li32ELi128ELi256ELb0ELi6EL8MFMAType0EEvPKT_PKT0_S9_ifPKiSB_SB_iPKfiiiPfSE_PS4_PT2_iSD_SD_, .Lfunc_end947-_Z39paged_attention_ll4mi_QKV_mfma16_kernelI14__hip_bfloat16hLN4vllm18Fp8KVCacheDataTypeE1ES0_Li32ELi128ELi256ELb0ELi6EL8MFMAType0EEvPKT_PKT0_S9_ifPKiSB_SB_iPKfiiiPfSE_PS4_PT2_iSD_SD_
                                        ; -- End function
	.section	.AMDGPU.csdata,"",@progbits
; Kernel info:
; codeLenInByte = 22268
; NumSgprs: 57
; NumVgprs: 78
; NumAgprs: 0
; TotalNumVgprs: 78
; ScratchSize: 352
; MemoryBound: 0
; FloatMode: 240
; IeeeMode: 1
; LDSByteSize: 8192 bytes/workgroup (compile time only)
; SGPRBlocks: 7
; VGPRBlocks: 9
; NumSGPRsForWavesPerEU: 57
; NumVGPRsForWavesPerEU: 78
; AccumOffset: 80
; Occupancy: 6
; WaveLimiterHint : 1
; COMPUTE_PGM_RSRC2:SCRATCH_EN: 1
; COMPUTE_PGM_RSRC2:USER_SGPR: 8
; COMPUTE_PGM_RSRC2:TRAP_HANDLER: 0
; COMPUTE_PGM_RSRC2:TGID_X_EN: 1
; COMPUTE_PGM_RSRC2:TGID_Y_EN: 1
; COMPUTE_PGM_RSRC2:TGID_Z_EN: 1
; COMPUTE_PGM_RSRC2:TIDIG_COMP_CNT: 0
; COMPUTE_PGM_RSRC3_GFX90A:ACCUM_OFFSET: 19
; COMPUTE_PGM_RSRC3_GFX90A:TG_SPLIT: 0
	.section	.text._Z39paged_attention_ll4mi_QKV_mfma16_kernelI14__hip_bfloat16hLN4vllm18Fp8KVCacheDataTypeE1ES0_Li32ELi128ELi256ELb0ELi7EL8MFMAType0EEvPKT_PKT0_S9_ifPKiSB_SB_iPKfiiiPfSE_PS4_PT2_iSD_SD_,"axG",@progbits,_Z39paged_attention_ll4mi_QKV_mfma16_kernelI14__hip_bfloat16hLN4vllm18Fp8KVCacheDataTypeE1ES0_Li32ELi128ELi256ELb0ELi7EL8MFMAType0EEvPKT_PKT0_S9_ifPKiSB_SB_iPKfiiiPfSE_PS4_PT2_iSD_SD_,comdat
	.protected	_Z39paged_attention_ll4mi_QKV_mfma16_kernelI14__hip_bfloat16hLN4vllm18Fp8KVCacheDataTypeE1ES0_Li32ELi128ELi256ELb0ELi7EL8MFMAType0EEvPKT_PKT0_S9_ifPKiSB_SB_iPKfiiiPfSE_PS4_PT2_iSD_SD_ ; -- Begin function _Z39paged_attention_ll4mi_QKV_mfma16_kernelI14__hip_bfloat16hLN4vllm18Fp8KVCacheDataTypeE1ES0_Li32ELi128ELi256ELb0ELi7EL8MFMAType0EEvPKT_PKT0_S9_ifPKiSB_SB_iPKfiiiPfSE_PS4_PT2_iSD_SD_
	.globl	_Z39paged_attention_ll4mi_QKV_mfma16_kernelI14__hip_bfloat16hLN4vllm18Fp8KVCacheDataTypeE1ES0_Li32ELi128ELi256ELb0ELi7EL8MFMAType0EEvPKT_PKT0_S9_ifPKiSB_SB_iPKfiiiPfSE_PS4_PT2_iSD_SD_
	.p2align	8
	.type	_Z39paged_attention_ll4mi_QKV_mfma16_kernelI14__hip_bfloat16hLN4vllm18Fp8KVCacheDataTypeE1ES0_Li32ELi128ELi256ELb0ELi7EL8MFMAType0EEvPKT_PKT0_S9_ifPKiSB_SB_iPKfiiiPfSE_PS4_PT2_iSD_SD_,@function
_Z39paged_attention_ll4mi_QKV_mfma16_kernelI14__hip_bfloat16hLN4vllm18Fp8KVCacheDataTypeE1ES0_Li32ELi128ELi256ELb0ELi7EL8MFMAType0EEvPKT_PKT0_S9_ifPKiSB_SB_iPKfiiiPfSE_PS4_PT2_iSD_SD_: ; @_Z39paged_attention_ll4mi_QKV_mfma16_kernelI14__hip_bfloat16hLN4vllm18Fp8KVCacheDataTypeE1ES0_Li32ELi128ELi256ELb0ELi7EL8MFMAType0EEvPKT_PKT0_S9_ifPKiSB_SB_iPKfiiiPfSE_PS4_PT2_iSD_SD_
; %bb.0:
	s_load_dwordx2 s[6:7], s[4:5], 0x30
	s_add_u32 s0, s0, s11
	s_addc_u32 s1, s1, 0
	s_mov_b32 s24, s9
	s_mov_b64 s[12:13], 0
	s_waitcnt lgkmcnt(0)
	s_cmp_lg_u64 s[6:7], 0
	s_cselect_b64 s[16:17], -1, 0
	s_and_b64 vcc, exec, s[16:17]
	s_cbranch_vccz .LBB948_7
; %bb.1:
	s_add_i32 s14, s8, 1
	s_mov_b32 s15, 0
	s_lshl_b64 s[18:19], s[14:15], 2
	s_add_u32 s18, s6, s18
	s_mov_b32 s9, s15
	s_addc_u32 s19, s7, s19
	s_lshl_b64 s[14:15], s[8:9], 2
	s_add_u32 s14, s6, s14
	s_addc_u32 s15, s7, s15
	s_load_dword s11, s[18:19], 0x0
	s_load_dword s20, s[14:15], 0x0
	s_waitcnt lgkmcnt(0)
	s_sub_i32 s11, s11, s20
	s_cmp_eq_u32 s11, 1
	s_cselect_b64 s[14:15], -1, 0
	s_andn2_b64 vcc, exec, s[12:13]
	s_cbranch_vccnz .LBB948_3
.LBB948_2:
	s_mov_b32 s9, 0
	s_mov_b64 s[14:15], -1
.LBB948_3:
	s_andn2_b64 vcc, exec, s[14:15]
	s_cbranch_vccnz .LBB948_598
; %bb.4:
	s_load_dwordx2 s[12:13], s[4:5], 0x28
	s_lshl_b64 s[18:19], s[8:9], 2
	s_waitcnt lgkmcnt(0)
	s_add_u32 s12, s12, s18
	s_addc_u32 s13, s13, s19
	s_load_dword s33, s[12:13], 0x0
	s_lshl_b32 s20, s24, 8
	s_waitcnt lgkmcnt(0)
	s_cmp_ge_i32 s20, s33
	s_cbranch_scc1 .LBB948_598
; %bb.5:
	s_add_i32 s14, s33, 31
	s_load_dwordx2 s[12:13], s[4:5], 0x20
	s_load_dword s11, s[4:5], 0x38
	s_ashr_i32 s15, s14, 31
	v_and_b32_e32 v1, 0xcf, v0
	s_lshr_b32 s15, s15, 27
	v_add_u32_e32 v1, s20, v1
	s_add_i32 s14, s14, s15
	v_ashrrev_i32_e32 v2, 31, v1
	s_ashr_i32 s22, s14, 5
	v_lshrrev_b32_e32 v10, 27, v2
	s_add_i32 s22, s22, -1
	v_add_u32_e32 v2, v1, v10
	s_waitcnt lgkmcnt(0)
	s_mul_i32 s14, s8, s11
	s_mov_b32 s15, 0
	v_ashrrev_i32_e32 v2, 5, v2
	v_mov_b32_e32 v11, s22
	v_cmp_gt_i32_e32 vcc, s33, v1
	s_lshl_b64 s[14:15], s[14:15], 2
	v_cndmask_b32_e32 v2, v11, v2, vcc
	s_add_u32 s11, s12, s14
	v_ashrrev_i32_e32 v3, 31, v2
	s_addc_u32 s21, s13, s15
	v_lshlrev_b64 v[2:3], 2, v[2:3]
	v_mov_b32_e32 v5, s21
	v_add_co_u32_e32 v4, vcc, s11, v2
	v_or_b32_e32 v2, 16, v1
	v_addc_co_u32_e32 v5, vcc, v5, v3, vcc
	v_add_u32_e32 v3, v2, v10
	v_ashrrev_i32_e32 v3, 5, v3
	v_cmp_gt_i32_e32 vcc, s33, v2
	v_cndmask_b32_e32 v2, v11, v3, vcc
	v_ashrrev_i32_e32 v3, 31, v2
	v_lshlrev_b64 v[2:3], 2, v[2:3]
	v_mov_b32_e32 v7, s21
	v_add_co_u32_e32 v6, vcc, s11, v2
	v_or_b32_e32 v2, 32, v1
	v_addc_co_u32_e32 v7, vcc, v7, v3, vcc
	v_add_u32_e32 v3, v2, v10
	v_ashrrev_i32_e32 v3, 5, v3
	v_cmp_gt_i32_e32 vcc, s33, v2
	v_cndmask_b32_e32 v2, v11, v3, vcc
	v_ashrrev_i32_e32 v3, 31, v2
	;; [unrolled: 10-line block ×3, first 2 shown]
	v_lshlrev_b64 v[2:3], 2, v[2:3]
	v_mov_b32_e32 v1, s21
	v_add_co_u32_e32 v10, vcc, s11, v2
	v_addc_co_u32_e32 v11, vcc, v1, v3, vcc
	global_load_dword v2, v[4:5], off
	global_load_dword v13, v[6:7], off
	;; [unrolled: 1-line block ×4, first 2 shown]
	s_load_dwordx4 s[12:15], s[4:5], 0x8
	s_andn2_b64 vcc, exec, s[16:17]
	s_cbranch_vccnz .LBB948_8
; %bb.6:
	s_add_u32 s6, s6, s18
	s_addc_u32 s7, s7, s19
	s_load_dword s16, s[6:7], 0x0
	s_branch .LBB948_9
.LBB948_7:
	s_mov_b64 s[14:15], 0
	s_branch .LBB948_2
.LBB948_8:
	s_mov_b32 s16, s8
.LBB948_9:
	s_load_dwordx2 s[48:49], s[4:5], 0x68
	s_load_dwordx8 s[40:47], s[4:5], 0x48
	v_lshrrev_b32_e32 v62, 6, v0
	v_bfe_u32 v1, v0, 4, 2
	v_and_b32_e32 v55, 15, v0
	v_lshl_or_b32 v3, v62, 2, v1
	v_lshlrev_b32_e32 v4, 3, v55
	s_mul_i32 s25, s10, 7
	v_cmp_gt_u32_e32 vcc, 7, v3
	v_lshlrev_b32_e32 v54, 1, v4
	v_lshlrev_b32_e32 v56, 4, v0
	s_and_saveexec_b64 s[6:7], vcc
	s_cbranch_execz .LBB948_11
; %bb.10:
	s_load_dwordx2 s[18:19], s[4:5], 0x0
	s_waitcnt lgkmcnt(0)
	s_ashr_i32 s17, s40, 31
	s_mul_hi_u32 s23, s16, s40
	s_mul_i32 s17, s16, s17
	s_add_i32 s17, s23, s17
	s_mul_i32 s16, s16, s40
	s_lshl_b64 s[16:17], s[16:17], 1
	v_add_lshl_u32 v4, v3, s25, 7
	s_add_u32 s16, s18, s16
	v_ashrrev_i32_e32 v5, 31, v4
	s_addc_u32 s17, s19, s17
	v_lshlrev_b64 v[4:5], 1, v[4:5]
	v_mov_b32_e32 v6, s17
	v_add_co_u32_e32 v4, vcc, s16, v4
	v_addc_co_u32_e32 v5, vcc, v6, v5, vcc
	v_add_co_u32_e32 v4, vcc, v4, v54
	v_addc_co_u32_e32 v5, vcc, 0, v5, vcc
	global_load_dwordx4 v[4:7], v[4:5], off
	v_lshlrev_b32_e32 v9, 8, v0
	v_lshlrev_b32_e32 v8, 8, v55
	v_and_b32_e32 v9, 0x600, v9
	s_movk_i32 s16, 0x800
	v_and_or_b32 v8, v8, s16, v9
	v_lshlrev_b32_e32 v3, 5, v3
	v_and_b32_e32 v9, 16, v56
	v_or3_b32 v3, v8, v3, v9
	s_waitcnt vmcnt(0)
	ds_write_b128 v3, v[4:7]
.LBB948_11:
	s_or_b64 exec, exec, s[6:7]
	s_waitcnt lgkmcnt(0)
	s_mul_i32 s10, s10, s42
	s_add_u32 s6, s12, s10
	s_addc_u32 s7, s13, 0
	v_pk_mov_b32 v[22:23], s[6:7], s[6:7] op_sel:[0,1]
	s_waitcnt vmcnt(3)
	v_mad_i64_i32 v[2:3], s[6:7], v2, s41, v[22:23]
	v_lshlrev_b32_e32 v18, 4, v55
	v_and_b32_e32 v6, 48, v0
	v_add_co_u32_e32 v2, vcc, v2, v18
	v_lshlrev_b32_e32 v25, 5, v6
	v_addc_co_u32_e32 v3, vcc, 0, v3, vcc
	s_ashr_i32 s6, s20, 31
	v_add_co_u32_e32 v10, vcc, v2, v25
	v_or_b32_e32 v16, s20, v6
	s_lshr_b32 s6, s6, 27
	v_addc_co_u32_e32 v11, vcc, 0, v3, vcc
	v_add_u32_e32 v6, s6, v16
	v_ashrrev_i32_e32 v6, 5, v6
	v_mov_b32_e32 v17, s22
	v_cmp_gt_i32_e32 vcc, s33, v16
	v_cndmask_b32_e32 v6, v17, v6, vcc
	v_ashrrev_i32_e32 v7, 31, v6
	v_lshlrev_b64 v[6:7], 2, v[6:7]
	v_mov_b32_e32 v8, s21
	v_add_co_u32_e32 v6, vcc, s11, v6
	v_addc_co_u32_e32 v7, vcc, v8, v7, vcc
	v_or_b32_e32 v8, 64, v16
	v_add_u32_e32 v9, s6, v8
	v_ashrrev_i32_e32 v9, 5, v9
	v_cmp_gt_i32_e32 vcc, s33, v8
	v_cndmask_b32_e32 v8, v17, v9, vcc
	v_ashrrev_i32_e32 v9, 31, v8
	s_load_dwordx2 s[50:51], s[4:5], 0x94
	s_waitcnt lgkmcnt(0)
	s_barrier
	global_load_dwordx4 v[2:5], v[10:11], off
	v_lshlrev_b64 v[8:9], 2, v[8:9]
	v_mov_b32_e32 v14, s21
	v_add_co_u32_e32 v8, vcc, s11, v8
	v_addc_co_u32_e32 v9, vcc, v14, v9, vcc
	v_or_b32_e32 v14, 0x80, v16
	v_add_u32_e32 v15, s6, v14
	v_ashrrev_i32_e32 v15, 5, v15
	v_cmp_gt_i32_e32 vcc, s33, v14
	v_cndmask_b32_e32 v14, v17, v15, vcc
	v_ashrrev_i32_e32 v15, 31, v14
	v_lshlrev_b64 v[14:15], 2, v[14:15]
	v_mov_b32_e32 v19, s21
	v_add_co_u32_e32 v14, vcc, s11, v14
	v_addc_co_u32_e32 v15, vcc, v19, v15, vcc
	global_load_dword v50, v[6:7], off
	global_load_dword v57, v[8:9], off
	;; [unrolled: 1-line block ×3, first 2 shown]
	v_or_b32_e32 v6, 0xc0, v16
	v_add_u32_e32 v7, s6, v6
	v_ashrrev_i32_e32 v7, 5, v7
	v_cmp_gt_i32_e32 vcc, s33, v6
	v_cndmask_b32_e32 v6, v17, v7, vcc
	v_ashrrev_i32_e32 v7, 31, v6
	v_lshlrev_b64 v[6:7], 2, v[6:7]
	v_mov_b32_e32 v8, s21
	v_add_co_u32_e32 v14, vcc, s11, v6
	v_addc_co_u32_e32 v15, vcc, v8, v7, vcc
	global_load_dword v61, v[14:15], off
	global_load_dwordx4 v[6:9], v[10:11], off offset:2048
	s_waitcnt vmcnt(8)
	v_mad_i64_i32 v[10:11], s[6:7], v13, s41, v[22:23]
	v_or_b32_e32 v26, 0x100, v18
	v_add_co_u32_e32 v10, vcc, v10, v26
	v_addc_co_u32_e32 v11, vcc, 0, v11, vcc
	v_add_co_u32_e32 v10, vcc, v10, v25
	v_addc_co_u32_e32 v11, vcc, 0, v11, vcc
	global_load_dwordx4 v[14:17], v[10:11], off
	v_lshl_or_b32 v63, v62, 4, v55
	v_lshlrev_b32_e32 v53, 5, v63
	s_waitcnt vmcnt(6)
	buffer_store_dword v5, off, s[0:3], 0 offset:12
	buffer_store_dword v4, off, s[0:3], 0 offset:8
	v_mad_i64_i32 v[4:5], s[6:7], v12, s41, v[22:23]
	v_add_co_u32_e32 v4, vcc, v4, v18
	v_addc_co_u32_e32 v5, vcc, 0, v5, vcc
	v_add_co_u32_e32 v4, vcc, v4, v25
	v_addc_co_u32_e32 v5, vcc, 0, v5, vcc
	global_load_dwordx4 v[38:41], v[10:11], off offset:2048
	s_nop 0
	global_load_dwordx4 v[10:13], v[4:5], off
	global_load_dwordx4 v[18:21], v[4:5], off offset:2048
	v_mad_i64_i32 v[4:5], s[6:7], v24, s41, v[22:23]
	v_add_co_u32_e32 v4, vcc, v4, v26
	v_addc_co_u32_e32 v5, vcc, 0, v5, vcc
	v_add_co_u32_e32 v4, vcc, v4, v25
	v_addc_co_u32_e32 v5, vcc, 0, v5, vcc
	s_add_u32 s6, s14, s10
	global_load_dwordx4 v[26:29], v[4:5], off
	global_load_dwordx4 v[22:25], v[4:5], off offset:2048
	s_addc_u32 s7, s15, 0
	v_and_b32_e32 v4, 16, v0
	v_mov_b32_e32 v5, s7
	v_add_co_u32_e32 v51, vcc, s6, v4
	v_addc_co_u32_e32 v52, vcc, 0, v5, vcc
	v_add_co_u32_e32 v4, vcc, v51, v53
	v_addc_co_u32_e32 v5, vcc, 0, v52, vcc
	s_waitcnt vmcnt(12)
	v_mad_i64_i32 v[30:31], s[6:7], v50, s41, v[4:5]
	s_waitcnt vmcnt(11)
	v_mad_i64_i32 v[34:35], s[6:7], v57, s41, v[4:5]
	;; [unrolled: 2-line block ×3, first 2 shown]
	global_load_dwordx4 v[30:33], v[30:31], off
	s_waitcnt vmcnt(10)
	v_mad_i64_i32 v[4:5], s[6:7], v61, s41, v[4:5]
	global_load_dwordx4 v[34:37], v[34:35], off
	s_nop 0
	global_load_dwordx4 v[46:49], v[42:43], off
	s_nop 0
	global_load_dwordx4 v[42:45], v[4:5], off
	v_or_b32_e32 v4, 0x800, v53
	v_add_co_u32_e32 v4, vcc, v51, v4
	v_addc_co_u32_e32 v5, vcc, 0, v52, vcc
	v_mad_i64_i32 v[50:51], s[6:7], v50, s41, v[4:5]
	buffer_store_dword v3, off, s[0:3], 0 offset:4
	buffer_store_dword v2, off, s[0:3], 0
	v_mad_i64_i32 v[2:3], s[6:7], v60, s41, v[4:5]
	global_load_dwordx4 v[50:53], v[50:51], off
	v_mad_i64_i32 v[58:59], s[6:7], v57, s41, v[4:5]
	global_load_dwordx4 v[70:73], v[2:3], off
	;; [unrolled: 2-line block ×3, first 2 shown]
	global_load_dwordx4 v[74:77], v[2:3], off
	v_mov_b32_e32 v2, 0x80
	s_waitcnt vmcnt(18)
	buffer_store_dword v9, off, s[0:3], 0 offset:28
	buffer_store_dword v8, off, s[0:3], 0 offset:24
	;; [unrolled: 1-line block ×4, first 2 shown]
	s_waitcnt vmcnt(21)
	buffer_store_dword v17, off, s[0:3], 0 offset:44
	buffer_store_dword v16, off, s[0:3], 0 offset:40
	;; [unrolled: 1-line block ×4, first 2 shown]
	s_load_dword s6, s[4:5], 0x1c
	s_load_dwordx4 s[40:43], s[4:5], 0x80
	v_add_u32_e32 v57, 16, v2
	s_waitcnt vmcnt(22)
	buffer_store_dword v41, off, s[0:3], 0 offset:60
	buffer_store_dword v40, off, s[0:3], 0 offset:56
	;; [unrolled: 1-line block ×4, first 2 shown]
	v_add_u32_e32 v61, 32, v2
	v_add_u32_e32 v39, 48, v2
	;; [unrolled: 1-line block ×6, first 2 shown]
	v_mul_lo_u16_e32 v2, 37, v55
	v_mov_b32_e32 v3, 7
	v_mul_lo_u16_sdwa v2, v2, v3 dst_sel:DWORD dst_unused:UNUSED_PAD src0_sel:BYTE_1 src1_sel:DWORD
	v_sub_u16_e32 v2, v55, v2
	v_mov_b32_e32 v3, 5
	v_lshlrev_b32_sdwa v2, v3, v2 dst_sel:DWORD dst_unused:UNUSED_PAD src0_sel:DWORD src1_sel:BYTE_0
	s_waitcnt vmcnt(25)
	buffer_store_dword v13, off, s[0:3], 0 offset:76
	buffer_store_dword v12, off, s[0:3], 0 offset:72
	;; [unrolled: 1-line block ×4, first 2 shown]
	v_lshl_add_u32 v14, v1, 9, v2
	ds_read_b128 v[2:5], v14
	ds_read_b128 v[6:9], v14 offset:16
	ds_read_b128 v[10:13], v14 offset:2048
	ds_read_b128 v[14:17], v14 offset:2064
	s_waitcnt vmcnt(28)
	buffer_store_dword v21, off, s[0:3], 0 offset:92
	buffer_store_dword v20, off, s[0:3], 0 offset:88
	buffer_store_dword v19, off, s[0:3], 0 offset:84
	buffer_store_dword v18, off, s[0:3], 0 offset:80
	s_waitcnt vmcnt(31)
	buffer_store_dword v29, off, s[0:3], 0 offset:108
	buffer_store_dword v28, off, s[0:3], 0 offset:104
	buffer_store_dword v27, off, s[0:3], 0 offset:100
	buffer_store_dword v26, off, s[0:3], 0 offset:96
	;; [unrolled: 5-line block ×9, first 2 shown]
	buffer_store_dword v73, off, s[0:3], 0 offset:220
	buffer_store_dword v72, off, s[0:3], 0 offset:216
	;; [unrolled: 1-line block ×4, first 2 shown]
	s_waitcnt vmcnt(56)
	buffer_store_dword v77, off, s[0:3], 0 offset:252
	s_waitcnt lgkmcnt(0)
	s_load_dword s4, s[40:41], 0x0
	v_mov_b32_e32 v18, s6
	v_and_b32_e32 v64, 63, v0
	s_mov_b32 s12, 0
	s_movk_i32 s13, 0x80
	s_waitcnt lgkmcnt(0)
	v_mul_f32_e32 v22, s4, v18
	v_mov_b32_e32 v24, v22
	v_mov_b32_e32 v25, v22
	;; [unrolled: 1-line block ×3, first 2 shown]
	s_movk_i32 s14, 0x7f
	s_mov_b32 s15, 0xffffff
	s_mov_b32 s16, 0x5040100
	v_mov_b32_e32 v29, 0x100
	v_mov_b32_e32 v31, 0
	v_bfrev_b32_e32 v33, 60
	buffer_store_dword v76, off, s[0:3], 0 offset:248
	buffer_store_dword v75, off, s[0:3], 0 offset:244
	;; [unrolled: 1-line block ×3, first 2 shown]
	s_branch .LBB948_15
.LBB948_12:                             ;   in Loop: Header=BB948_15 Depth=1
	s_or_b64 exec, exec, s[10:11]
.LBB948_13:                             ;   in Loop: Header=BB948_15 Depth=1
	s_or_b64 exec, exec, s[6:7]
.LBB948_14:                             ;   in Loop: Header=BB948_15 Depth=1
	s_or_b64 exec, exec, s[4:5]
	v_perm_b32 v43, v36, v32, s16
	v_perm_b32 v42, v23, v34, s16
	;; [unrolled: 1-line block ×4, first 2 shown]
	v_add_u32_e32 v26, s12, v29
	v_mfma_f32_16x16x16bf16_1k v[18:21], v[42:43], v[14:15], v[18:21]
	s_add_i32 s12, s12, 16
	v_mov_b32_e32 v23, v22
	s_cmp_eq_u32 s12, 64
	v_add_u32_e32 v27, 32, v27
	v_mfma_f32_16x16x16bf16_1k v[18:21], v[36:37], v[16:17], v[18:21]
	s_nop 7
	s_nop 2
	v_pk_mul_f32 v[18:19], v[24:25], v[18:19]
	v_pk_mul_f32 v[20:21], v[22:23], v[20:21]
	buffer_store_dword v19, v26, s[0:3], 0 offen offset:4
	buffer_store_dword v18, v26, s[0:3], 0 offen
	buffer_store_dword v21, v26, s[0:3], 0 offen offset:12
	buffer_store_dword v20, v26, s[0:3], 0 offen offset:8
	s_cbranch_scc1 .LBB948_205
.LBB948_15:                             ; =>This Inner Loop Header: Depth=1
	buffer_load_dword v20, v27, s[0:3], 0 offen
	buffer_load_dword v18, v27, s[0:3], 0 offen offset:4
	buffer_load_dword v28, v27, s[0:3], 0 offen offset:8
	;; [unrolled: 1-line block ×3, first 2 shown]
	v_mov_b32_e32 v19, 0
	s_waitcnt vmcnt(3)
	v_cmp_ne_u16_sdwa s[6:7], v20, v31 src0_sel:BYTE_0 src1_sel:DWORD
	s_and_saveexec_b64 s[4:5], s[6:7]
	s_cbranch_execz .LBB948_21
; %bb.16:                               ;   in Loop: Header=BB948_15 Depth=1
	v_cmp_ne_u16_sdwa s[10:11], v20, s13 src0_sel:BYTE_0 src1_sel:DWORD
	v_mov_b32_e32 v19, 0xffff8000
	s_and_saveexec_b64 s[6:7], s[10:11]
	s_cbranch_execz .LBB948_20
; %bb.17:                               ;   in Loop: Header=BB948_15 Depth=1
	v_and_b32_e32 v21, 0x7f, v20
	v_cmp_ne_u32_e32 vcc, s14, v21
	v_mov_b32_e32 v19, 0x7f80
	s_and_saveexec_b64 s[10:11], vcc
	s_cbranch_execz .LBB948_19
; %bb.18:                               ;   in Loop: Header=BB948_15 Depth=1
	v_and_b32_e32 v19, 7, v20
	v_ffbh_u32_e32 v30, v19
	v_min_u32_e32 v30, 32, v30
	v_subrev_u32_e32 v32, 28, v30
	v_lshlrev_b64 v[34:35], v32, v[20:21]
	v_lshrrev_b32_e32 v23, 3, v21
	v_sub_u32_e32 v30, 29, v30
	v_and_b32_e32 v32, 7, v34
	v_cmp_gt_u32_e32 vcc, 8, v21
	v_cndmask_b32_e32 v21, v23, v30, vcc
	v_cndmask_b32_e32 v19, v19, v32, vcc
	v_lshlrev_b32_e32 v23, 24, v20
	v_lshlrev_b32_e32 v19, 20, v19
	v_and_b32_e32 v23, 0x80000000, v23
	v_lshl_add_u32 v21, v21, 23, v33
	v_or3_b32 v19, v23, v21, v19
	v_lshrrev_b32_e32 v19, 16, v19
.LBB948_19:                             ;   in Loop: Header=BB948_15 Depth=1
	s_or_b64 exec, exec, s[10:11]
.LBB948_20:                             ;   in Loop: Header=BB948_15 Depth=1
	s_or_b64 exec, exec, s[6:7]
.LBB948_21:                             ;   in Loop: Header=BB948_15 Depth=1
	s_or_b64 exec, exec, s[4:5]
	v_lshrrev_b16_e32 v30, 8, v20
	v_cmp_ne_u16_e32 vcc, 0, v30
	v_mov_b32_e32 v23, 0
	v_mov_b32_e32 v21, 0
	s_and_saveexec_b64 s[4:5], vcc
	s_cbranch_execz .LBB948_27
; %bb.22:                               ;   in Loop: Header=BB948_15 Depth=1
	v_cmp_ne_u16_e32 vcc, s13, v30
	v_mov_b32_e32 v21, 0xffff8000
	s_and_saveexec_b64 s[6:7], vcc
	s_cbranch_execz .LBB948_26
; %bb.23:                               ;   in Loop: Header=BB948_15 Depth=1
	v_and_b32_e32 v32, 0x7f, v30
	v_cmp_ne_u32_e32 vcc, s14, v32
	v_mov_b32_e32 v21, 0x7f80
	s_and_saveexec_b64 s[10:11], vcc
	s_cbranch_execz .LBB948_25
; %bb.24:                               ;   in Loop: Header=BB948_15 Depth=1
	v_and_b32_e32 v21, 7, v30
	v_ffbh_u32_e32 v34, v21
	v_min_u32_e32 v37, 32, v34
	v_subrev_u32_e32 v34, 28, v37
	v_lshlrev_b64 v[34:35], v34, v[30:31]
	v_lshrrev_b32_e32 v36, 3, v32
	v_sub_u32_e32 v30, 29, v37
	v_and_b32_e32 v34, 7, v34
	v_cmp_gt_u32_e32 vcc, 8, v32
	v_cndmask_b32_e32 v30, v36, v30, vcc
	v_cndmask_b32_e32 v21, v21, v34, vcc
	v_lshlrev_b32_e32 v32, 16, v20
	v_lshlrev_b32_e32 v21, 20, v21
	v_and_b32_e32 v32, 0x80000000, v32
	v_lshl_add_u32 v30, v30, 23, v33
	v_or3_b32 v21, v32, v30, v21
	v_lshrrev_b32_e32 v21, 16, v21
.LBB948_25:                             ;   in Loop: Header=BB948_15 Depth=1
	s_or_b64 exec, exec, s[10:11]
.LBB948_26:                             ;   in Loop: Header=BB948_15 Depth=1
	s_or_b64 exec, exec, s[6:7]
.LBB948_27:                             ;   in Loop: Header=BB948_15 Depth=1
	s_or_b64 exec, exec, s[4:5]
	v_lshrrev_b32_e32 v30, 16, v20
	v_cmp_ne_u16_sdwa s[6:7], v30, v31 src0_sel:BYTE_0 src1_sel:DWORD
	s_and_saveexec_b64 s[4:5], s[6:7]
	s_cbranch_execz .LBB948_33
; %bb.28:                               ;   in Loop: Header=BB948_15 Depth=1
	v_cmp_ne_u16_sdwa s[10:11], v30, s13 src0_sel:BYTE_0 src1_sel:DWORD
	v_mov_b32_e32 v23, 0xffff8000
	s_and_saveexec_b64 s[6:7], s[10:11]
	s_cbranch_execz .LBB948_32
; %bb.29:                               ;   in Loop: Header=BB948_15 Depth=1
	v_bfe_u32 v32, v20, 16, 7
	v_cmp_ne_u32_e32 vcc, s14, v32
	v_mov_b32_e32 v23, 0x7f80
	s_and_saveexec_b64 s[10:11], vcc
	s_cbranch_execz .LBB948_31
; %bb.30:                               ;   in Loop: Header=BB948_15 Depth=1
	v_and_b32_e32 v23, 7, v30
	v_ffbh_u32_e32 v34, v23
	v_min_u32_e32 v37, 32, v34
	v_subrev_u32_e32 v34, 28, v37
	v_lshlrev_b64 v[34:35], v34, v[30:31]
	v_lshrrev_b32_e32 v36, 3, v32
	v_sub_u32_e32 v35, 29, v37
	v_and_b32_e32 v34, 7, v34
	v_cmp_gt_u32_e32 vcc, 8, v32
	v_cndmask_b32_e32 v32, v36, v35, vcc
	v_cndmask_b32_e32 v23, v23, v34, vcc
	v_lshlrev_b32_e32 v30, 24, v30
	v_lshlrev_b32_e32 v23, 20, v23
	v_and_b32_e32 v30, 0x80000000, v30
	v_lshl_add_u32 v32, v32, 23, v33
	v_or3_b32 v23, v30, v32, v23
	v_lshrrev_b32_e32 v23, 16, v23
.LBB948_31:                             ;   in Loop: Header=BB948_15 Depth=1
	s_or_b64 exec, exec, s[10:11]
.LBB948_32:                             ;   in Loop: Header=BB948_15 Depth=1
	s_or_b64 exec, exec, s[6:7]
.LBB948_33:                             ;   in Loop: Header=BB948_15 Depth=1
	s_or_b64 exec, exec, s[4:5]
	v_cmp_lt_u32_e32 vcc, s15, v20
	v_mov_b32_e32 v34, 0
	v_mov_b32_e32 v35, 0
	s_and_saveexec_b64 s[4:5], vcc
	s_cbranch_execz .LBB948_39
; %bb.34:                               ;   in Loop: Header=BB948_15 Depth=1
	v_lshrrev_b32_e32 v30, 24, v20
	v_cmp_ne_u32_e32 vcc, s13, v30
	v_mov_b32_e32 v35, 0xffff8000
	s_and_saveexec_b64 s[6:7], vcc
	s_cbranch_execz .LBB948_38
; %bb.35:                               ;   in Loop: Header=BB948_15 Depth=1
	v_bfe_u32 v20, v20, 24, 7
	v_cmp_ne_u32_e32 vcc, s14, v20
	v_mov_b32_e32 v35, 0x7f80
	s_and_saveexec_b64 s[10:11], vcc
	s_cbranch_execz .LBB948_37
; %bb.36:                               ;   in Loop: Header=BB948_15 Depth=1
	v_and_b32_e32 v32, 7, v30
	v_ffbh_u32_e32 v36, v32
	v_min_u32_e32 v38, 32, v36
	v_subrev_u32_e32 v36, 28, v38
	v_lshlrev_b64 v[36:37], v36, v[30:31]
	v_lshrrev_b32_e32 v35, 3, v20
	v_sub_u32_e32 v37, 29, v38
	v_and_b32_e32 v36, 7, v36
	v_cmp_gt_u32_e32 vcc, 8, v20
	v_cndmask_b32_e32 v20, v35, v37, vcc
	v_cndmask_b32_e32 v32, v32, v36, vcc
	v_lshlrev_b32_e32 v30, 24, v30
	v_lshlrev_b32_e32 v32, 20, v32
	v_and_b32_e32 v30, 0x80000000, v30
	v_lshl_add_u32 v20, v20, 23, v33
	v_or3_b32 v20, v30, v20, v32
	v_lshrrev_b32_e32 v35, 16, v20
.LBB948_37:                             ;   in Loop: Header=BB948_15 Depth=1
	s_or_b64 exec, exec, s[10:11]
.LBB948_38:                             ;   in Loop: Header=BB948_15 Depth=1
	s_or_b64 exec, exec, s[6:7]
.LBB948_39:                             ;   in Loop: Header=BB948_15 Depth=1
	s_or_b64 exec, exec, s[4:5]
	s_waitcnt vmcnt(2)
	v_cmp_ne_u16_sdwa s[6:7], v18, v31 src0_sel:BYTE_0 src1_sel:DWORD
	s_and_saveexec_b64 s[4:5], s[6:7]
	s_cbranch_execz .LBB948_45
; %bb.40:                               ;   in Loop: Header=BB948_15 Depth=1
	v_cmp_ne_u16_sdwa s[10:11], v18, s13 src0_sel:BYTE_0 src1_sel:DWORD
	v_mov_b32_e32 v34, 0xffff8000
	s_and_saveexec_b64 s[6:7], s[10:11]
	s_cbranch_execz .LBB948_44
; %bb.41:                               ;   in Loop: Header=BB948_15 Depth=1
	v_and_b32_e32 v20, 0x7f, v18
	v_cmp_ne_u32_e32 vcc, s14, v20
	v_mov_b32_e32 v34, 0x7f80
	s_and_saveexec_b64 s[10:11], vcc
	s_cbranch_execz .LBB948_43
; %bb.42:                               ;   in Loop: Header=BB948_15 Depth=1
	v_and_b32_e32 v30, 7, v18
	v_ffbh_u32_e32 v34, v30
	v_min_u32_e32 v34, 32, v34
	v_subrev_u32_e32 v36, 28, v34
	v_lshlrev_b64 v[36:37], v36, v[18:19]
	v_lshrrev_b32_e32 v32, 3, v20
	v_sub_u32_e32 v34, 29, v34
	v_and_b32_e32 v36, 7, v36
	v_cmp_gt_u32_e32 vcc, 8, v20
	v_cndmask_b32_e32 v20, v32, v34, vcc
	v_cndmask_b32_e32 v30, v30, v36, vcc
	v_lshlrev_b32_e32 v32, 24, v18
	v_lshlrev_b32_e32 v30, 20, v30
	v_and_b32_e32 v32, 0x80000000, v32
	v_lshl_add_u32 v20, v20, 23, v33
	v_or3_b32 v20, v32, v20, v30
	v_lshrrev_b32_e32 v34, 16, v20
.LBB948_43:                             ;   in Loop: Header=BB948_15 Depth=1
	s_or_b64 exec, exec, s[10:11]
.LBB948_44:                             ;   in Loop: Header=BB948_15 Depth=1
	s_or_b64 exec, exec, s[6:7]
.LBB948_45:                             ;   in Loop: Header=BB948_15 Depth=1
	s_or_b64 exec, exec, s[4:5]
	v_lshrrev_b16_e32 v20, 8, v18
	v_cmp_ne_u16_e32 vcc, 0, v20
	v_mov_b32_e32 v36, 0
	v_mov_b32_e32 v30, 0
	s_and_saveexec_b64 s[4:5], vcc
	s_cbranch_execz .LBB948_51
; %bb.46:                               ;   in Loop: Header=BB948_15 Depth=1
	v_cmp_ne_u16_e32 vcc, s13, v20
	v_mov_b32_e32 v30, 0xffff8000
	s_and_saveexec_b64 s[6:7], vcc
	s_cbranch_execz .LBB948_50
; %bb.47:                               ;   in Loop: Header=BB948_15 Depth=1
	v_and_b32_e32 v32, 0x7f, v20
	v_cmp_ne_u32_e32 vcc, s14, v32
	v_mov_b32_e32 v30, 0x7f80
	s_and_saveexec_b64 s[10:11], vcc
	s_cbranch_execz .LBB948_49
; %bb.48:                               ;   in Loop: Header=BB948_15 Depth=1
	v_and_b32_e32 v30, 7, v20
	v_ffbh_u32_e32 v38, v30
	v_min_u32_e32 v38, 32, v38
	v_subrev_u32_e32 v40, 28, v38
	v_lshlrev_b64 v[42:43], v40, v[20:21]
	v_lshrrev_b32_e32 v37, 3, v32
	v_sub_u32_e32 v20, 29, v38
	v_and_b32_e32 v38, 7, v42
	v_cmp_gt_u32_e32 vcc, 8, v32
	v_cndmask_b32_e32 v20, v37, v20, vcc
	v_cndmask_b32_e32 v30, v30, v38, vcc
	v_lshlrev_b32_e32 v32, 16, v18
	v_lshlrev_b32_e32 v30, 20, v30
	v_and_b32_e32 v32, 0x80000000, v32
	v_lshl_add_u32 v20, v20, 23, v33
	v_or3_b32 v20, v32, v20, v30
	v_lshrrev_b32_e32 v30, 16, v20
.LBB948_49:                             ;   in Loop: Header=BB948_15 Depth=1
	s_or_b64 exec, exec, s[10:11]
.LBB948_50:                             ;   in Loop: Header=BB948_15 Depth=1
	s_or_b64 exec, exec, s[6:7]
.LBB948_51:                             ;   in Loop: Header=BB948_15 Depth=1
	s_or_b64 exec, exec, s[4:5]
	v_lshrrev_b32_e32 v20, 16, v18
	v_cmp_ne_u16_sdwa s[6:7], v20, v31 src0_sel:BYTE_0 src1_sel:DWORD
	s_and_saveexec_b64 s[4:5], s[6:7]
	s_cbranch_execz .LBB948_57
; %bb.52:                               ;   in Loop: Header=BB948_15 Depth=1
	v_cmp_ne_u16_sdwa s[10:11], v20, s13 src0_sel:BYTE_0 src1_sel:DWORD
	v_mov_b32_e32 v36, 0xffff8000
	s_and_saveexec_b64 s[6:7], s[10:11]
	s_cbranch_execz .LBB948_56
; %bb.53:                               ;   in Loop: Header=BB948_15 Depth=1
	v_bfe_u32 v32, v18, 16, 7
	v_cmp_ne_u32_e32 vcc, s14, v32
	v_mov_b32_e32 v36, 0x7f80
	s_and_saveexec_b64 s[10:11], vcc
	s_cbranch_execz .LBB948_55
; %bb.54:                               ;   in Loop: Header=BB948_15 Depth=1
	v_and_b32_e32 v38, 7, v20
	v_ffbh_u32_e32 v36, v38
	v_min_u32_e32 v42, 32, v36
	v_subrev_u32_e32 v36, 28, v42
	v_lshlrev_b64 v[36:37], v36, v[20:21]
	v_lshrrev_b32_e32 v40, 3, v32
	v_sub_u32_e32 v37, 29, v42
	v_and_b32_e32 v36, 7, v36
	v_cmp_gt_u32_e32 vcc, 8, v32
	v_cndmask_b32_e32 v32, v40, v37, vcc
	v_cndmask_b32_e32 v36, v38, v36, vcc
	v_lshlrev_b32_e32 v20, 24, v20
	v_lshlrev_b32_e32 v36, 20, v36
	v_and_b32_e32 v20, 0x80000000, v20
	v_lshl_add_u32 v32, v32, 23, v33
	v_or3_b32 v20, v20, v32, v36
	v_lshrrev_b32_e32 v36, 16, v20
.LBB948_55:                             ;   in Loop: Header=BB948_15 Depth=1
	s_or_b64 exec, exec, s[10:11]
.LBB948_56:                             ;   in Loop: Header=BB948_15 Depth=1
	s_or_b64 exec, exec, s[6:7]
.LBB948_57:                             ;   in Loop: Header=BB948_15 Depth=1
	s_or_b64 exec, exec, s[4:5]
	v_cmp_lt_u32_e32 vcc, s15, v18
	v_mov_b32_e32 v32, 0
	v_mov_b32_e32 v37, 0
	s_and_saveexec_b64 s[4:5], vcc
	s_cbranch_execz .LBB948_63
; %bb.58:                               ;   in Loop: Header=BB948_15 Depth=1
	v_lshrrev_b32_e32 v20, 24, v18
	v_cmp_ne_u32_e32 vcc, s13, v20
	v_mov_b32_e32 v37, 0xffff8000
	s_and_saveexec_b64 s[6:7], vcc
	s_cbranch_execz .LBB948_62
; %bb.59:                               ;   in Loop: Header=BB948_15 Depth=1
	v_bfe_u32 v18, v18, 24, 7
	v_cmp_ne_u32_e32 vcc, s14, v18
	v_mov_b32_e32 v37, 0x7f80
	s_and_saveexec_b64 s[10:11], vcc
	s_cbranch_execz .LBB948_61
; %bb.60:                               ;   in Loop: Header=BB948_15 Depth=1
	v_and_b32_e32 v37, 7, v20
	v_ffbh_u32_e32 v40, v37
	v_min_u32_e32 v40, 32, v40
	v_subrev_u32_e32 v42, 28, v40
	v_lshlrev_b64 v[42:43], v42, v[20:21]
	v_lshrrev_b32_e32 v38, 3, v18
	v_sub_u32_e32 v40, 29, v40
	v_and_b32_e32 v42, 7, v42
	v_cmp_gt_u32_e32 vcc, 8, v18
	v_cndmask_b32_e32 v18, v38, v40, vcc
	v_cndmask_b32_e32 v37, v37, v42, vcc
	v_lshlrev_b32_e32 v20, 24, v20
	v_lshlrev_b32_e32 v37, 20, v37
	v_and_b32_e32 v20, 0x80000000, v20
	v_lshl_add_u32 v18, v18, 23, v33
	v_or3_b32 v18, v20, v18, v37
	v_lshrrev_b32_e32 v37, 16, v18
.LBB948_61:                             ;   in Loop: Header=BB948_15 Depth=1
	s_or_b64 exec, exec, s[10:11]
.LBB948_62:                             ;   in Loop: Header=BB948_15 Depth=1
	s_or_b64 exec, exec, s[6:7]
.LBB948_63:                             ;   in Loop: Header=BB948_15 Depth=1
	s_or_b64 exec, exec, s[4:5]
	v_perm_b32 v43, v35, v23, s16
	v_perm_b32 v42, v21, v19, s16
	;; [unrolled: 1-line block ×4, first 2 shown]
	s_waitcnt vmcnt(1)
	v_cmp_ne_u16_sdwa s[6:7], v28, v31 src0_sel:BYTE_0 src1_sel:DWORD
	v_mfma_f32_16x16x16bf16_1k v[18:21], v[42:43], v[2:3], 0
	v_mfma_f32_16x16x16bf16_1k v[18:21], v[34:35], v[4:5], v[18:21]
	s_and_saveexec_b64 s[4:5], s[6:7]
	s_cbranch_execz .LBB948_69
; %bb.64:                               ;   in Loop: Header=BB948_15 Depth=1
	v_cmp_ne_u16_sdwa s[10:11], v28, s13 src0_sel:BYTE_0 src1_sel:DWORD
	v_mov_b32_e32 v32, 0xffff8000
	s_and_saveexec_b64 s[6:7], s[10:11]
	s_cbranch_execz .LBB948_68
; %bb.65:                               ;   in Loop: Header=BB948_15 Depth=1
	v_and_b32_e32 v23, 0x7f, v28
	v_cmp_ne_u32_e32 vcc, s14, v23
	v_mov_b32_e32 v32, 0x7f80
	s_and_saveexec_b64 s[10:11], vcc
	s_cbranch_execz .LBB948_67
; %bb.66:                               ;   in Loop: Header=BB948_15 Depth=1
	v_and_b32_e32 v30, 7, v28
	v_ffbh_u32_e32 v34, v30
	v_min_u32_e32 v36, 32, v34
	v_subrev_u32_e32 v34, 28, v36
	v_lshlrev_b64 v[34:35], v34, v[28:29]
	v_lshrrev_b32_e32 v32, 3, v23
	v_sub_u32_e32 v35, 29, v36
	v_and_b32_e32 v34, 7, v34
	v_cmp_gt_u32_e32 vcc, 8, v23
	v_cndmask_b32_e32 v23, v32, v35, vcc
	v_cndmask_b32_e32 v30, v30, v34, vcc
	v_lshlrev_b32_e32 v32, 24, v28
	v_lshlrev_b32_e32 v30, 20, v30
	v_and_b32_e32 v32, 0x80000000, v32
	v_lshl_add_u32 v23, v23, 23, v33
	v_or3_b32 v23, v32, v23, v30
	v_lshrrev_b32_e32 v32, 16, v23
.LBB948_67:                             ;   in Loop: Header=BB948_15 Depth=1
	s_or_b64 exec, exec, s[10:11]
.LBB948_68:                             ;   in Loop: Header=BB948_15 Depth=1
	s_or_b64 exec, exec, s[6:7]
.LBB948_69:                             ;   in Loop: Header=BB948_15 Depth=1
	s_or_b64 exec, exec, s[4:5]
	v_lshrrev_b16_e32 v30, 8, v28
	v_cmp_ne_u16_e32 vcc, 0, v30
	v_mov_b32_e32 v35, 0
	v_mov_b32_e32 v34, 0
	s_and_saveexec_b64 s[4:5], vcc
	s_cbranch_execz .LBB948_75
; %bb.70:                               ;   in Loop: Header=BB948_15 Depth=1
	v_cmp_ne_u16_e32 vcc, s13, v30
	v_mov_b32_e32 v34, 0xffff8000
	s_and_saveexec_b64 s[6:7], vcc
	s_cbranch_execz .LBB948_74
; %bb.71:                               ;   in Loop: Header=BB948_15 Depth=1
	v_and_b32_e32 v23, 0x7f, v30
	v_cmp_ne_u32_e32 vcc, s14, v23
	v_mov_b32_e32 v34, 0x7f80
	s_and_saveexec_b64 s[10:11], vcc
	s_cbranch_execz .LBB948_73
; %bb.72:                               ;   in Loop: Header=BB948_15 Depth=1
	v_and_b32_e32 v34, 7, v30
	v_ffbh_u32_e32 v36, v34
	v_min_u32_e32 v40, 32, v36
	v_subrev_u32_e32 v36, 28, v40
	v_lshlrev_b64 v[36:37], v36, v[30:31]
	v_lshrrev_b32_e32 v38, 3, v23
	v_sub_u32_e32 v30, 29, v40
	v_and_b32_e32 v36, 7, v36
	v_cmp_gt_u32_e32 vcc, 8, v23
	v_cndmask_b32_e32 v23, v38, v30, vcc
	v_cndmask_b32_e32 v30, v34, v36, vcc
	v_lshlrev_b32_e32 v34, 16, v28
	v_lshlrev_b32_e32 v30, 20, v30
	v_and_b32_e32 v34, 0x80000000, v34
	v_lshl_add_u32 v23, v23, 23, v33
	v_or3_b32 v23, v34, v23, v30
	v_lshrrev_b32_e32 v34, 16, v23
.LBB948_73:                             ;   in Loop: Header=BB948_15 Depth=1
	s_or_b64 exec, exec, s[10:11]
.LBB948_74:                             ;   in Loop: Header=BB948_15 Depth=1
	s_or_b64 exec, exec, s[6:7]
.LBB948_75:                             ;   in Loop: Header=BB948_15 Depth=1
	s_or_b64 exec, exec, s[4:5]
	v_lshrrev_b32_e32 v30, 16, v28
	v_cmp_ne_u16_sdwa s[6:7], v30, v31 src0_sel:BYTE_0 src1_sel:DWORD
	s_and_saveexec_b64 s[4:5], s[6:7]
	s_cbranch_execz .LBB948_81
; %bb.76:                               ;   in Loop: Header=BB948_15 Depth=1
	v_cmp_ne_u16_sdwa s[10:11], v30, s13 src0_sel:BYTE_0 src1_sel:DWORD
	v_mov_b32_e32 v35, 0xffff8000
	s_and_saveexec_b64 s[6:7], s[10:11]
	s_cbranch_execz .LBB948_80
; %bb.77:                               ;   in Loop: Header=BB948_15 Depth=1
	v_bfe_u32 v23, v28, 16, 7
	v_cmp_ne_u32_e32 vcc, s14, v23
	v_mov_b32_e32 v35, 0x7f80
	s_and_saveexec_b64 s[10:11], vcc
	s_cbranch_execz .LBB948_79
; %bb.78:                               ;   in Loop: Header=BB948_15 Depth=1
	v_and_b32_e32 v35, 7, v30
	v_ffbh_u32_e32 v36, v35
	v_min_u32_e32 v40, 32, v36
	v_subrev_u32_e32 v36, 28, v40
	v_lshlrev_b64 v[36:37], v36, v[30:31]
	v_lshrrev_b32_e32 v38, 3, v23
	v_sub_u32_e32 v37, 29, v40
	v_and_b32_e32 v36, 7, v36
	v_cmp_gt_u32_e32 vcc, 8, v23
	v_cndmask_b32_e32 v23, v38, v37, vcc
	v_cndmask_b32_e32 v35, v35, v36, vcc
	v_lshlrev_b32_e32 v30, 24, v30
	v_lshlrev_b32_e32 v35, 20, v35
	v_and_b32_e32 v30, 0x80000000, v30
	v_lshl_add_u32 v23, v23, 23, v33
	v_or3_b32 v23, v30, v23, v35
	v_lshrrev_b32_e32 v35, 16, v23
.LBB948_79:                             ;   in Loop: Header=BB948_15 Depth=1
	s_or_b64 exec, exec, s[10:11]
.LBB948_80:                             ;   in Loop: Header=BB948_15 Depth=1
	s_or_b64 exec, exec, s[6:7]
.LBB948_81:                             ;   in Loop: Header=BB948_15 Depth=1
	s_or_b64 exec, exec, s[4:5]
	v_cmp_lt_u32_e32 vcc, s15, v28
	v_mov_b32_e32 v36, 0
	v_mov_b32_e32 v37, 0
	s_and_saveexec_b64 s[4:5], vcc
	s_cbranch_execz .LBB948_87
; %bb.82:                               ;   in Loop: Header=BB948_15 Depth=1
	v_lshrrev_b32_e32 v30, 24, v28
	v_cmp_ne_u32_e32 vcc, s13, v30
	v_mov_b32_e32 v37, 0xffff8000
	s_and_saveexec_b64 s[6:7], vcc
	s_cbranch_execz .LBB948_86
; %bb.83:                               ;   in Loop: Header=BB948_15 Depth=1
	v_bfe_u32 v23, v28, 24, 7
	v_cmp_ne_u32_e32 vcc, s14, v23
	v_mov_b32_e32 v37, 0x7f80
	s_and_saveexec_b64 s[10:11], vcc
	s_cbranch_execz .LBB948_85
; %bb.84:                               ;   in Loop: Header=BB948_15 Depth=1
	v_and_b32_e32 v28, 7, v30
	v_ffbh_u32_e32 v38, v28
	v_min_u32_e32 v38, 32, v38
	v_subrev_u32_e32 v40, 28, v38
	v_lshlrev_b64 v[42:43], v40, v[30:31]
	v_lshrrev_b32_e32 v37, 3, v23
	v_sub_u32_e32 v38, 29, v38
	v_and_b32_e32 v40, 7, v42
	v_cmp_gt_u32_e32 vcc, 8, v23
	v_cndmask_b32_e32 v23, v37, v38, vcc
	v_cndmask_b32_e32 v28, v28, v40, vcc
	v_lshlrev_b32_e32 v30, 24, v30
	v_lshlrev_b32_e32 v28, 20, v28
	v_and_b32_e32 v30, 0x80000000, v30
	v_lshl_add_u32 v23, v23, 23, v33
	v_or3_b32 v23, v30, v23, v28
	v_lshrrev_b32_e32 v37, 16, v23
.LBB948_85:                             ;   in Loop: Header=BB948_15 Depth=1
	s_or_b64 exec, exec, s[10:11]
.LBB948_86:                             ;   in Loop: Header=BB948_15 Depth=1
	s_or_b64 exec, exec, s[6:7]
.LBB948_87:                             ;   in Loop: Header=BB948_15 Depth=1
	s_or_b64 exec, exec, s[4:5]
	s_waitcnt vmcnt(0)
	v_cmp_ne_u16_sdwa s[6:7], v26, v31 src0_sel:BYTE_0 src1_sel:DWORD
	s_and_saveexec_b64 s[4:5], s[6:7]
	s_cbranch_execz .LBB948_93
; %bb.88:                               ;   in Loop: Header=BB948_15 Depth=1
	v_cmp_ne_u16_sdwa s[10:11], v26, s13 src0_sel:BYTE_0 src1_sel:DWORD
	v_mov_b32_e32 v36, 0xffff8000
	s_and_saveexec_b64 s[6:7], s[10:11]
	s_cbranch_execz .LBB948_92
; %bb.89:                               ;   in Loop: Header=BB948_15 Depth=1
	v_and_b32_e32 v23, 0x7f, v26
	v_cmp_ne_u32_e32 vcc, s14, v23
	v_mov_b32_e32 v36, 0x7f80
	s_and_saveexec_b64 s[10:11], vcc
	s_cbranch_execz .LBB948_91
; %bb.90:                               ;   in Loop: Header=BB948_15 Depth=1
	v_and_b32_e32 v28, 7, v26
	v_ffbh_u32_e32 v36, v28
	v_min_u32_e32 v36, 32, v36
	v_subrev_u32_e32 v38, 28, v36
	v_lshlrev_b64 v[42:43], v38, v[26:27]
	v_lshrrev_b32_e32 v30, 3, v23
	v_sub_u32_e32 v36, 29, v36
	v_and_b32_e32 v38, 7, v42
	v_cmp_gt_u32_e32 vcc, 8, v23
	v_cndmask_b32_e32 v23, v30, v36, vcc
	v_cndmask_b32_e32 v28, v28, v38, vcc
	v_lshlrev_b32_e32 v30, 24, v26
	v_lshlrev_b32_e32 v28, 20, v28
	v_and_b32_e32 v30, 0x80000000, v30
	v_lshl_add_u32 v23, v23, 23, v33
	v_or3_b32 v23, v30, v23, v28
	v_lshrrev_b32_e32 v36, 16, v23
.LBB948_91:                             ;   in Loop: Header=BB948_15 Depth=1
	s_or_b64 exec, exec, s[10:11]
.LBB948_92:                             ;   in Loop: Header=BB948_15 Depth=1
	s_or_b64 exec, exec, s[6:7]
.LBB948_93:                             ;   in Loop: Header=BB948_15 Depth=1
	s_or_b64 exec, exec, s[4:5]
	v_lshrrev_b16_e32 v28, 8, v26
	v_cmp_ne_u16_e32 vcc, 0, v28
	v_mov_b32_e32 v40, 0
	v_mov_b32_e32 v38, 0
	s_and_saveexec_b64 s[4:5], vcc
	s_cbranch_execz .LBB948_99
; %bb.94:                               ;   in Loop: Header=BB948_15 Depth=1
	v_cmp_ne_u16_e32 vcc, s13, v28
	v_mov_b32_e32 v38, 0xffff8000
	s_and_saveexec_b64 s[6:7], vcc
	s_cbranch_execz .LBB948_98
; %bb.95:                               ;   in Loop: Header=BB948_15 Depth=1
	v_and_b32_e32 v23, 0x7f, v28
	v_cmp_ne_u32_e32 vcc, s14, v23
	v_mov_b32_e32 v38, 0x7f80
	s_and_saveexec_b64 s[10:11], vcc
	s_cbranch_execz .LBB948_97
; %bb.96:                               ;   in Loop: Header=BB948_15 Depth=1
	v_and_b32_e32 v30, 7, v28
	v_ffbh_u32_e32 v42, v30
	v_min_u32_e32 v44, 32, v42
	v_subrev_u32_e32 v42, 28, v44
	v_lshlrev_b64 v[42:43], v42, v[28:29]
	v_lshrrev_b32_e32 v38, 3, v23
	v_sub_u32_e32 v28, 29, v44
	v_and_b32_e32 v42, 7, v42
	v_cmp_gt_u32_e32 vcc, 8, v23
	v_cndmask_b32_e32 v23, v38, v28, vcc
	v_cndmask_b32_e32 v28, v30, v42, vcc
	v_lshlrev_b32_e32 v30, 16, v26
	v_lshlrev_b32_e32 v28, 20, v28
	v_and_b32_e32 v30, 0x80000000, v30
	v_lshl_add_u32 v23, v23, 23, v33
	v_or3_b32 v23, v30, v23, v28
	v_lshrrev_b32_e32 v38, 16, v23
.LBB948_97:                             ;   in Loop: Header=BB948_15 Depth=1
	s_or_b64 exec, exec, s[10:11]
.LBB948_98:                             ;   in Loop: Header=BB948_15 Depth=1
	s_or_b64 exec, exec, s[6:7]
.LBB948_99:                             ;   in Loop: Header=BB948_15 Depth=1
	s_or_b64 exec, exec, s[4:5]
	v_lshrrev_b32_e32 v28, 16, v26
	v_cmp_ne_u16_sdwa s[6:7], v28, v31 src0_sel:BYTE_0 src1_sel:DWORD
	s_and_saveexec_b64 s[4:5], s[6:7]
	s_cbranch_execz .LBB948_105
; %bb.100:                              ;   in Loop: Header=BB948_15 Depth=1
	v_cmp_ne_u16_sdwa s[10:11], v28, s13 src0_sel:BYTE_0 src1_sel:DWORD
	v_mov_b32_e32 v40, 0xffff8000
	s_and_saveexec_b64 s[6:7], s[10:11]
	s_cbranch_execz .LBB948_104
; %bb.101:                              ;   in Loop: Header=BB948_15 Depth=1
	v_bfe_u32 v23, v26, 16, 7
	v_cmp_ne_u32_e32 vcc, s14, v23
	v_mov_b32_e32 v40, 0x7f80
	s_and_saveexec_b64 s[10:11], vcc
	s_cbranch_execz .LBB948_103
; %bb.102:                              ;   in Loop: Header=BB948_15 Depth=1
	v_and_b32_e32 v30, 7, v28
	v_ffbh_u32_e32 v42, v30
	v_min_u32_e32 v44, 32, v42
	v_subrev_u32_e32 v42, 28, v44
	v_lshlrev_b64 v[42:43], v42, v[28:29]
	v_lshrrev_b32_e32 v40, 3, v23
	v_sub_u32_e32 v43, 29, v44
	v_and_b32_e32 v42, 7, v42
	v_cmp_gt_u32_e32 vcc, 8, v23
	v_cndmask_b32_e32 v23, v40, v43, vcc
	v_cndmask_b32_e32 v30, v30, v42, vcc
	v_lshlrev_b32_e32 v28, 24, v28
	v_lshlrev_b32_e32 v30, 20, v30
	v_and_b32_e32 v28, 0x80000000, v28
	v_lshl_add_u32 v23, v23, 23, v33
	v_or3_b32 v23, v28, v23, v30
	v_lshrrev_b32_e32 v40, 16, v23
.LBB948_103:                            ;   in Loop: Header=BB948_15 Depth=1
	s_or_b64 exec, exec, s[10:11]
.LBB948_104:                            ;   in Loop: Header=BB948_15 Depth=1
	s_or_b64 exec, exec, s[6:7]
.LBB948_105:                            ;   in Loop: Header=BB948_15 Depth=1
	s_or_b64 exec, exec, s[4:5]
	v_cmp_lt_u32_e32 vcc, s15, v26
	v_mov_b32_e32 v23, 0
	v_mov_b32_e32 v42, 0
	s_and_saveexec_b64 s[4:5], vcc
	s_cbranch_execz .LBB948_111
; %bb.106:                              ;   in Loop: Header=BB948_15 Depth=1
	v_lshrrev_b32_e32 v28, 24, v26
	v_cmp_ne_u32_e32 vcc, s13, v28
	v_mov_b32_e32 v42, 0xffff8000
	s_and_saveexec_b64 s[6:7], vcc
	s_cbranch_execz .LBB948_110
; %bb.107:                              ;   in Loop: Header=BB948_15 Depth=1
	v_bfe_u32 v26, v26, 24, 7
	v_cmp_ne_u32_e32 vcc, s14, v26
	v_mov_b32_e32 v42, 0x7f80
	s_and_saveexec_b64 s[10:11], vcc
	s_cbranch_execz .LBB948_109
; %bb.108:                              ;   in Loop: Header=BB948_15 Depth=1
	v_and_b32_e32 v30, 7, v28
	v_ffbh_u32_e32 v42, v30
	v_min_u32_e32 v45, 32, v42
	v_subrev_u32_e32 v42, 28, v45
	v_lshlrev_b64 v[42:43], v42, v[28:29]
	v_lshrrev_b32_e32 v44, 3, v26
	v_sub_u32_e32 v43, 29, v45
	v_and_b32_e32 v42, 7, v42
	v_cmp_gt_u32_e32 vcc, 8, v26
	v_cndmask_b32_e32 v26, v44, v43, vcc
	v_cndmask_b32_e32 v30, v30, v42, vcc
	v_lshlrev_b32_e32 v28, 24, v28
	v_lshlrev_b32_e32 v30, 20, v30
	v_and_b32_e32 v28, 0x80000000, v28
	v_lshl_add_u32 v26, v26, 23, v33
	v_or3_b32 v26, v28, v26, v30
	v_lshrrev_b32_e32 v42, 16, v26
.LBB948_109:                            ;   in Loop: Header=BB948_15 Depth=1
	s_or_b64 exec, exec, s[10:11]
.LBB948_110:                            ;   in Loop: Header=BB948_15 Depth=1
	s_or_b64 exec, exec, s[6:7]
.LBB948_111:                            ;   in Loop: Header=BB948_15 Depth=1
	s_or_b64 exec, exec, s[4:5]
	v_perm_b32 v34, v34, v32, s16
	buffer_load_dword v32, v27, s[0:3], 0 offen offset:16
	buffer_load_dword v30, v27, s[0:3], 0 offen offset:20
	;; [unrolled: 1-line block ×4, first 2 shown]
	v_perm_b32 v35, v37, v35, s16
	s_waitcnt vmcnt(3)
	v_cmp_ne_u16_sdwa s[6:7], v32, v31 src0_sel:BYTE_0 src1_sel:DWORD
	v_mfma_f32_16x16x16bf16_1k v[18:21], v[34:35], v[6:7], v[18:21]
	v_perm_b32 v35, v42, v40, s16
	v_perm_b32 v34, v38, v36, s16
	s_nop 1
	v_mfma_f32_16x16x16bf16_1k v[18:21], v[34:35], v[8:9], v[18:21]
	s_and_saveexec_b64 s[4:5], s[6:7]
	s_cbranch_execz .LBB948_117
; %bb.112:                              ;   in Loop: Header=BB948_15 Depth=1
	v_cmp_ne_u16_sdwa s[10:11], v32, s13 src0_sel:BYTE_0 src1_sel:DWORD
	v_mov_b32_e32 v23, 0xffff8000
	s_and_saveexec_b64 s[6:7], s[10:11]
	s_cbranch_execz .LBB948_116
; %bb.113:                              ;   in Loop: Header=BB948_15 Depth=1
	v_and_b32_e32 v34, 0x7f, v32
	v_cmp_ne_u32_e32 vcc, s14, v34
	v_mov_b32_e32 v23, 0x7f80
	s_and_saveexec_b64 s[10:11], vcc
	s_cbranch_execz .LBB948_115
; %bb.114:                              ;   in Loop: Header=BB948_15 Depth=1
	v_and_b32_e32 v23, 7, v32
	v_ffbh_u32_e32 v36, v23
	v_min_u32_e32 v38, 32, v36
	v_subrev_u32_e32 v36, 28, v38
	v_lshlrev_b64 v[36:37], v36, v[32:33]
	v_lshrrev_b32_e32 v35, 3, v34
	v_sub_u32_e32 v37, 29, v38
	v_and_b32_e32 v36, 7, v36
	v_cmp_gt_u32_e32 vcc, 8, v34
	v_cndmask_b32_e32 v34, v35, v37, vcc
	v_cndmask_b32_e32 v23, v23, v36, vcc
	v_lshlrev_b32_e32 v35, 24, v32
	v_lshlrev_b32_e32 v23, 20, v23
	v_and_b32_e32 v35, 0x80000000, v35
	v_lshl_add_u32 v34, v34, 23, v33
	v_or3_b32 v23, v35, v34, v23
	v_lshrrev_b32_e32 v23, 16, v23
.LBB948_115:                            ;   in Loop: Header=BB948_15 Depth=1
	s_or_b64 exec, exec, s[10:11]
.LBB948_116:                            ;   in Loop: Header=BB948_15 Depth=1
	s_or_b64 exec, exec, s[6:7]
.LBB948_117:                            ;   in Loop: Header=BB948_15 Depth=1
	s_or_b64 exec, exec, s[4:5]
	v_lshrrev_b16_e32 v34, 8, v32
	v_cmp_ne_u16_e32 vcc, 0, v34
	v_mov_b32_e32 v36, 0
	v_mov_b32_e32 v35, 0
	s_and_saveexec_b64 s[4:5], vcc
	s_cbranch_execz .LBB948_123
; %bb.118:                              ;   in Loop: Header=BB948_15 Depth=1
	v_cmp_ne_u16_e32 vcc, s13, v34
	v_mov_b32_e32 v35, 0xffff8000
	s_and_saveexec_b64 s[6:7], vcc
	s_cbranch_execz .LBB948_122
; %bb.119:                              ;   in Loop: Header=BB948_15 Depth=1
	v_and_b32_e32 v37, 0x7f, v34
	v_cmp_ne_u32_e32 vcc, s14, v37
	v_mov_b32_e32 v35, 0x7f80
	s_and_saveexec_b64 s[10:11], vcc
	s_cbranch_execz .LBB948_121
; %bb.120:                              ;   in Loop: Header=BB948_15 Depth=1
	v_and_b32_e32 v38, 7, v34
	v_ffbh_u32_e32 v35, v38
	v_min_u32_e32 v42, 32, v35
	v_subrev_u32_e32 v35, 28, v42
	v_lshlrev_b64 v[34:35], v35, v[34:35]
	v_lshrrev_b32_e32 v40, 3, v37
	v_sub_u32_e32 v35, 29, v42
	v_and_b32_e32 v34, 7, v34
	v_cmp_gt_u32_e32 vcc, 8, v37
	v_cndmask_b32_e32 v35, v40, v35, vcc
	v_cndmask_b32_e32 v34, v38, v34, vcc
	v_lshlrev_b32_e32 v37, 16, v32
	v_lshlrev_b32_e32 v34, 20, v34
	v_and_b32_e32 v37, 0x80000000, v37
	v_lshl_add_u32 v35, v35, 23, v33
	v_or3_b32 v34, v37, v35, v34
	v_lshrrev_b32_e32 v35, 16, v34
.LBB948_121:                            ;   in Loop: Header=BB948_15 Depth=1
	s_or_b64 exec, exec, s[10:11]
.LBB948_122:                            ;   in Loop: Header=BB948_15 Depth=1
	s_or_b64 exec, exec, s[6:7]
.LBB948_123:                            ;   in Loop: Header=BB948_15 Depth=1
	s_or_b64 exec, exec, s[4:5]
	v_lshrrev_b32_e32 v34, 16, v32
	v_cmp_ne_u16_sdwa s[6:7], v34, v31 src0_sel:BYTE_0 src1_sel:DWORD
	s_and_saveexec_b64 s[4:5], s[6:7]
	s_cbranch_execz .LBB948_129
; %bb.124:                              ;   in Loop: Header=BB948_15 Depth=1
	v_cmp_ne_u16_sdwa s[10:11], v34, s13 src0_sel:BYTE_0 src1_sel:DWORD
	v_mov_b32_e32 v36, 0xffff8000
	s_and_saveexec_b64 s[6:7], s[10:11]
	s_cbranch_execz .LBB948_128
; %bb.125:                              ;   in Loop: Header=BB948_15 Depth=1
	v_bfe_u32 v37, v32, 16, 7
	v_cmp_ne_u32_e32 vcc, s14, v37
	v_mov_b32_e32 v36, 0x7f80
	s_and_saveexec_b64 s[10:11], vcc
	s_cbranch_execz .LBB948_127
; %bb.126:                              ;   in Loop: Header=BB948_15 Depth=1
	v_and_b32_e32 v36, 7, v34
	v_ffbh_u32_e32 v40, v36
	v_min_u32_e32 v40, 32, v40
	v_subrev_u32_e32 v42, 28, v40
	v_lshlrev_b64 v[42:43], v42, v[34:35]
	v_lshrrev_b32_e32 v38, 3, v37
	v_sub_u32_e32 v40, 29, v40
	v_and_b32_e32 v42, 7, v42
	v_cmp_gt_u32_e32 vcc, 8, v37
	v_cndmask_b32_e32 v37, v38, v40, vcc
	v_cndmask_b32_e32 v36, v36, v42, vcc
	v_lshlrev_b32_e32 v34, 24, v34
	v_lshlrev_b32_e32 v36, 20, v36
	v_and_b32_e32 v34, 0x80000000, v34
	v_lshl_add_u32 v37, v37, 23, v33
	v_or3_b32 v34, v34, v37, v36
	v_lshrrev_b32_e32 v36, 16, v34
.LBB948_127:                            ;   in Loop: Header=BB948_15 Depth=1
	s_or_b64 exec, exec, s[10:11]
.LBB948_128:                            ;   in Loop: Header=BB948_15 Depth=1
	s_or_b64 exec, exec, s[6:7]
.LBB948_129:                            ;   in Loop: Header=BB948_15 Depth=1
	s_or_b64 exec, exec, s[4:5]
	v_cmp_lt_u32_e32 vcc, s15, v32
	v_mov_b32_e32 v37, 0
	v_mov_b32_e32 v38, 0
	s_and_saveexec_b64 s[4:5], vcc
	s_cbranch_execz .LBB948_135
; %bb.130:                              ;   in Loop: Header=BB948_15 Depth=1
	v_lshrrev_b32_e32 v34, 24, v32
	v_cmp_ne_u32_e32 vcc, s13, v34
	v_mov_b32_e32 v38, 0xffff8000
	s_and_saveexec_b64 s[6:7], vcc
	s_cbranch_execz .LBB948_134
; %bb.131:                              ;   in Loop: Header=BB948_15 Depth=1
	v_bfe_u32 v32, v32, 24, 7
	v_cmp_ne_u32_e32 vcc, s14, v32
	v_mov_b32_e32 v38, 0x7f80
	s_and_saveexec_b64 s[10:11], vcc
	s_cbranch_execz .LBB948_133
; %bb.132:                              ;   in Loop: Header=BB948_15 Depth=1
	v_and_b32_e32 v38, 7, v34
	v_ffbh_u32_e32 v42, v38
	v_min_u32_e32 v44, 32, v42
	v_subrev_u32_e32 v42, 28, v44
	v_lshlrev_b64 v[42:43], v42, v[34:35]
	v_lshrrev_b32_e32 v40, 3, v32
	v_sub_u32_e32 v43, 29, v44
	v_and_b32_e32 v42, 7, v42
	v_cmp_gt_u32_e32 vcc, 8, v32
	v_cndmask_b32_e32 v32, v40, v43, vcc
	v_cndmask_b32_e32 v38, v38, v42, vcc
	v_lshlrev_b32_e32 v34, 24, v34
	v_lshlrev_b32_e32 v38, 20, v38
	v_and_b32_e32 v34, 0x80000000, v34
	v_lshl_add_u32 v32, v32, 23, v33
	v_or3_b32 v32, v34, v32, v38
	v_lshrrev_b32_e32 v38, 16, v32
.LBB948_133:                            ;   in Loop: Header=BB948_15 Depth=1
	s_or_b64 exec, exec, s[10:11]
.LBB948_134:                            ;   in Loop: Header=BB948_15 Depth=1
	s_or_b64 exec, exec, s[6:7]
.LBB948_135:                            ;   in Loop: Header=BB948_15 Depth=1
	s_or_b64 exec, exec, s[4:5]
	s_waitcnt vmcnt(2)
	v_cmp_ne_u16_sdwa s[6:7], v30, v31 src0_sel:BYTE_0 src1_sel:DWORD
	s_and_saveexec_b64 s[4:5], s[6:7]
	s_cbranch_execz .LBB948_141
; %bb.136:                              ;   in Loop: Header=BB948_15 Depth=1
	v_cmp_ne_u16_sdwa s[10:11], v30, s13 src0_sel:BYTE_0 src1_sel:DWORD
	v_mov_b32_e32 v37, 0xffff8000
	s_and_saveexec_b64 s[6:7], s[10:11]
	s_cbranch_execz .LBB948_140
; %bb.137:                              ;   in Loop: Header=BB948_15 Depth=1
	v_and_b32_e32 v32, 0x7f, v30
	v_cmp_ne_u32_e32 vcc, s14, v32
	v_mov_b32_e32 v37, 0x7f80
	s_and_saveexec_b64 s[10:11], vcc
	s_cbranch_execz .LBB948_139
; %bb.138:                              ;   in Loop: Header=BB948_15 Depth=1
	v_and_b32_e32 v34, 7, v30
	v_ffbh_u32_e32 v40, v34
	v_min_u32_e32 v40, 32, v40
	v_subrev_u32_e32 v42, 28, v40
	v_lshlrev_b64 v[42:43], v42, v[30:31]
	v_lshrrev_b32_e32 v37, 3, v32
	v_sub_u32_e32 v40, 29, v40
	v_and_b32_e32 v42, 7, v42
	v_cmp_gt_u32_e32 vcc, 8, v32
	v_cndmask_b32_e32 v32, v37, v40, vcc
	v_cndmask_b32_e32 v34, v34, v42, vcc
	v_lshlrev_b32_e32 v37, 24, v30
	v_lshlrev_b32_e32 v34, 20, v34
	v_and_b32_e32 v37, 0x80000000, v37
	v_lshl_add_u32 v32, v32, 23, v33
	v_or3_b32 v32, v37, v32, v34
	v_lshrrev_b32_e32 v37, 16, v32
.LBB948_139:                            ;   in Loop: Header=BB948_15 Depth=1
	s_or_b64 exec, exec, s[10:11]
.LBB948_140:                            ;   in Loop: Header=BB948_15 Depth=1
	s_or_b64 exec, exec, s[6:7]
.LBB948_141:                            ;   in Loop: Header=BB948_15 Depth=1
	s_or_b64 exec, exec, s[4:5]
	v_lshrrev_b16_e32 v32, 8, v30
	v_cmp_ne_u16_e32 vcc, 0, v32
	v_mov_b32_e32 v42, 0
	v_mov_b32_e32 v40, 0
	s_and_saveexec_b64 s[4:5], vcc
	s_cbranch_execz .LBB948_147
; %bb.142:                              ;   in Loop: Header=BB948_15 Depth=1
	v_cmp_ne_u16_e32 vcc, s13, v32
	v_mov_b32_e32 v40, 0xffff8000
	s_and_saveexec_b64 s[6:7], vcc
	s_cbranch_execz .LBB948_146
; %bb.143:                              ;   in Loop: Header=BB948_15 Depth=1
	v_and_b32_e32 v34, 0x7f, v32
	v_cmp_ne_u32_e32 vcc, s14, v34
	v_mov_b32_e32 v40, 0x7f80
	s_and_saveexec_b64 s[10:11], vcc
	s_cbranch_execz .LBB948_145
; %bb.144:                              ;   in Loop: Header=BB948_15 Depth=1
	v_and_b32_e32 v40, 7, v32
	v_ffbh_u32_e32 v44, v40
	v_min_u32_e32 v46, 32, v44
	v_subrev_u32_e32 v44, 28, v46
	v_lshlrev_b64 v[44:45], v44, v[32:33]
	v_lshrrev_b32_e32 v43, 3, v34
	v_sub_u32_e32 v32, 29, v46
	v_and_b32_e32 v44, 7, v44
	v_cmp_gt_u32_e32 vcc, 8, v34
	v_cndmask_b32_e32 v32, v43, v32, vcc
	v_cndmask_b32_e32 v34, v40, v44, vcc
	v_lshlrev_b32_e32 v40, 16, v30
	v_lshlrev_b32_e32 v34, 20, v34
	v_and_b32_e32 v40, 0x80000000, v40
	v_lshl_add_u32 v32, v32, 23, v33
	v_or3_b32 v32, v40, v32, v34
	v_lshrrev_b32_e32 v40, 16, v32
.LBB948_145:                            ;   in Loop: Header=BB948_15 Depth=1
	s_or_b64 exec, exec, s[10:11]
.LBB948_146:                            ;   in Loop: Header=BB948_15 Depth=1
	s_or_b64 exec, exec, s[6:7]
.LBB948_147:                            ;   in Loop: Header=BB948_15 Depth=1
	s_or_b64 exec, exec, s[4:5]
	v_lshrrev_b32_e32 v32, 16, v30
	v_cmp_ne_u16_sdwa s[6:7], v32, v31 src0_sel:BYTE_0 src1_sel:DWORD
	s_and_saveexec_b64 s[4:5], s[6:7]
	s_cbranch_execz .LBB948_153
; %bb.148:                              ;   in Loop: Header=BB948_15 Depth=1
	v_cmp_ne_u16_sdwa s[10:11], v32, s13 src0_sel:BYTE_0 src1_sel:DWORD
	v_mov_b32_e32 v42, 0xffff8000
	s_and_saveexec_b64 s[6:7], s[10:11]
	s_cbranch_execz .LBB948_152
; %bb.149:                              ;   in Loop: Header=BB948_15 Depth=1
	v_bfe_u32 v34, v30, 16, 7
	v_cmp_ne_u32_e32 vcc, s14, v34
	v_mov_b32_e32 v42, 0x7f80
	s_and_saveexec_b64 s[10:11], vcc
	s_cbranch_execz .LBB948_151
; %bb.150:                              ;   in Loop: Header=BB948_15 Depth=1
	v_and_b32_e32 v44, 7, v32
	v_ffbh_u32_e32 v42, v44
	v_min_u32_e32 v46, 32, v42
	v_subrev_u32_e32 v42, 28, v46
	v_lshlrev_b64 v[42:43], v42, v[32:33]
	v_lshrrev_b32_e32 v45, 3, v34
	v_sub_u32_e32 v43, 29, v46
	v_and_b32_e32 v42, 7, v42
	v_cmp_gt_u32_e32 vcc, 8, v34
	v_cndmask_b32_e32 v34, v45, v43, vcc
	v_cndmask_b32_e32 v42, v44, v42, vcc
	v_lshlrev_b32_e32 v32, 24, v32
	v_lshlrev_b32_e32 v42, 20, v42
	v_and_b32_e32 v32, 0x80000000, v32
	v_lshl_add_u32 v34, v34, 23, v33
	v_or3_b32 v32, v32, v34, v42
	v_lshrrev_b32_e32 v42, 16, v32
.LBB948_151:                            ;   in Loop: Header=BB948_15 Depth=1
	s_or_b64 exec, exec, s[10:11]
.LBB948_152:                            ;   in Loop: Header=BB948_15 Depth=1
	s_or_b64 exec, exec, s[6:7]
.LBB948_153:                            ;   in Loop: Header=BB948_15 Depth=1
	s_or_b64 exec, exec, s[4:5]
	v_cmp_lt_u32_e32 vcc, s15, v30
	v_mov_b32_e32 v34, 0
	v_mov_b32_e32 v43, 0
	s_and_saveexec_b64 s[4:5], vcc
	s_cbranch_execz .LBB948_159
; %bb.154:                              ;   in Loop: Header=BB948_15 Depth=1
	v_lshrrev_b32_e32 v32, 24, v30
	v_cmp_ne_u32_e32 vcc, s13, v32
	v_mov_b32_e32 v43, 0xffff8000
	s_and_saveexec_b64 s[6:7], vcc
	s_cbranch_execz .LBB948_158
; %bb.155:                              ;   in Loop: Header=BB948_15 Depth=1
	v_bfe_u32 v30, v30, 24, 7
	v_cmp_ne_u32_e32 vcc, s14, v30
	v_mov_b32_e32 v43, 0x7f80
	s_and_saveexec_b64 s[10:11], vcc
	s_cbranch_execz .LBB948_157
; %bb.156:                              ;   in Loop: Header=BB948_15 Depth=1
	v_and_b32_e32 v43, 7, v32
	v_ffbh_u32_e32 v44, v43
	v_min_u32_e32 v47, 32, v44
	v_subrev_u32_e32 v44, 28, v47
	v_lshlrev_b64 v[44:45], v44, v[32:33]
	v_lshrrev_b32_e32 v46, 3, v30
	v_sub_u32_e32 v45, 29, v47
	v_and_b32_e32 v44, 7, v44
	v_cmp_gt_u32_e32 vcc, 8, v30
	v_cndmask_b32_e32 v30, v46, v45, vcc
	v_cndmask_b32_e32 v43, v43, v44, vcc
	v_lshlrev_b32_e32 v32, 24, v32
	v_lshlrev_b32_e32 v43, 20, v43
	v_and_b32_e32 v32, 0x80000000, v32
	v_lshl_add_u32 v30, v30, 23, v33
	v_or3_b32 v30, v32, v30, v43
	v_lshrrev_b32_e32 v43, 16, v30
.LBB948_157:                            ;   in Loop: Header=BB948_15 Depth=1
	s_or_b64 exec, exec, s[10:11]
.LBB948_158:                            ;   in Loop: Header=BB948_15 Depth=1
	s_or_b64 exec, exec, s[6:7]
.LBB948_159:                            ;   in Loop: Header=BB948_15 Depth=1
	s_or_b64 exec, exec, s[4:5]
	v_perm_b32 v45, v38, v36, s16
	v_perm_b32 v44, v35, v23, s16
	;; [unrolled: 1-line block ×4, first 2 shown]
	s_waitcnt vmcnt(1)
	v_cmp_ne_u16_sdwa s[6:7], v28, v31 src0_sel:BYTE_0 src1_sel:DWORD
	v_mfma_f32_16x16x16bf16_1k v[18:21], v[44:45], v[10:11], v[18:21]
	v_mfma_f32_16x16x16bf16_1k v[18:21], v[42:43], v[12:13], v[18:21]
	s_and_saveexec_b64 s[4:5], s[6:7]
	s_cbranch_execz .LBB948_165
; %bb.160:                              ;   in Loop: Header=BB948_15 Depth=1
	v_cmp_ne_u16_sdwa s[10:11], v28, s13 src0_sel:BYTE_0 src1_sel:DWORD
	v_mov_b32_e32 v34, 0xffff8000
	s_and_saveexec_b64 s[6:7], s[10:11]
	s_cbranch_execz .LBB948_164
; %bb.161:                              ;   in Loop: Header=BB948_15 Depth=1
	v_and_b32_e32 v23, 0x7f, v28
	v_cmp_ne_u32_e32 vcc, s14, v23
	v_mov_b32_e32 v34, 0x7f80
	s_and_saveexec_b64 s[10:11], vcc
	s_cbranch_execz .LBB948_163
; %bb.162:                              ;   in Loop: Header=BB948_15 Depth=1
	v_and_b32_e32 v30, 7, v28
	v_ffbh_u32_e32 v34, v30
	v_min_u32_e32 v36, 32, v34
	v_subrev_u32_e32 v34, 28, v36
	v_lshlrev_b64 v[34:35], v34, v[28:29]
	v_lshrrev_b32_e32 v32, 3, v23
	v_sub_u32_e32 v35, 29, v36
	v_and_b32_e32 v34, 7, v34
	v_cmp_gt_u32_e32 vcc, 8, v23
	v_cndmask_b32_e32 v23, v32, v35, vcc
	v_cndmask_b32_e32 v30, v30, v34, vcc
	v_lshlrev_b32_e32 v32, 24, v28
	v_lshlrev_b32_e32 v30, 20, v30
	v_and_b32_e32 v32, 0x80000000, v32
	v_lshl_add_u32 v23, v23, 23, v33
	v_or3_b32 v23, v32, v23, v30
	v_lshrrev_b32_e32 v34, 16, v23
.LBB948_163:                            ;   in Loop: Header=BB948_15 Depth=1
	s_or_b64 exec, exec, s[10:11]
.LBB948_164:                            ;   in Loop: Header=BB948_15 Depth=1
	s_or_b64 exec, exec, s[6:7]
.LBB948_165:                            ;   in Loop: Header=BB948_15 Depth=1
	s_or_b64 exec, exec, s[4:5]
	v_lshrrev_b16_e32 v30, 8, v28
	v_cmp_ne_u16_e32 vcc, 0, v30
	v_mov_b32_e32 v32, 0
	v_mov_b32_e32 v23, 0
	s_and_saveexec_b64 s[4:5], vcc
	s_cbranch_execz .LBB948_171
; %bb.166:                              ;   in Loop: Header=BB948_15 Depth=1
	v_cmp_ne_u16_e32 vcc, s13, v30
	v_mov_b32_e32 v23, 0xffff8000
	s_and_saveexec_b64 s[6:7], vcc
	s_cbranch_execz .LBB948_170
; %bb.167:                              ;   in Loop: Header=BB948_15 Depth=1
	v_and_b32_e32 v35, 0x7f, v30
	v_cmp_ne_u32_e32 vcc, s14, v35
	v_mov_b32_e32 v23, 0x7f80
	s_and_saveexec_b64 s[10:11], vcc
	s_cbranch_execz .LBB948_169
; %bb.168:                              ;   in Loop: Header=BB948_15 Depth=1
	v_and_b32_e32 v23, 7, v30
	v_ffbh_u32_e32 v36, v23
	v_min_u32_e32 v40, 32, v36
	v_subrev_u32_e32 v36, 28, v40
	v_lshlrev_b64 v[36:37], v36, v[30:31]
	v_lshrrev_b32_e32 v38, 3, v35
	v_sub_u32_e32 v30, 29, v40
	v_and_b32_e32 v36, 7, v36
	v_cmp_gt_u32_e32 vcc, 8, v35
	v_cndmask_b32_e32 v30, v38, v30, vcc
	v_cndmask_b32_e32 v23, v23, v36, vcc
	v_lshlrev_b32_e32 v35, 16, v28
	v_lshlrev_b32_e32 v23, 20, v23
	v_and_b32_e32 v35, 0x80000000, v35
	v_lshl_add_u32 v30, v30, 23, v33
	v_or3_b32 v23, v35, v30, v23
	v_lshrrev_b32_e32 v23, 16, v23
.LBB948_169:                            ;   in Loop: Header=BB948_15 Depth=1
	s_or_b64 exec, exec, s[10:11]
.LBB948_170:                            ;   in Loop: Header=BB948_15 Depth=1
	s_or_b64 exec, exec, s[6:7]
.LBB948_171:                            ;   in Loop: Header=BB948_15 Depth=1
	s_or_b64 exec, exec, s[4:5]
	v_lshrrev_b32_e32 v30, 16, v28
	v_cmp_ne_u16_sdwa s[6:7], v30, v31 src0_sel:BYTE_0 src1_sel:DWORD
	s_and_saveexec_b64 s[4:5], s[6:7]
	s_cbranch_execz .LBB948_177
; %bb.172:                              ;   in Loop: Header=BB948_15 Depth=1
	v_cmp_ne_u16_sdwa s[10:11], v30, s13 src0_sel:BYTE_0 src1_sel:DWORD
	v_mov_b32_e32 v32, 0xffff8000
	s_and_saveexec_b64 s[6:7], s[10:11]
	s_cbranch_execz .LBB948_176
; %bb.173:                              ;   in Loop: Header=BB948_15 Depth=1
	v_bfe_u32 v35, v28, 16, 7
	v_cmp_ne_u32_e32 vcc, s14, v35
	v_mov_b32_e32 v32, 0x7f80
	s_and_saveexec_b64 s[10:11], vcc
	s_cbranch_execz .LBB948_175
; %bb.174:                              ;   in Loop: Header=BB948_15 Depth=1
	v_and_b32_e32 v32, 7, v30
	v_ffbh_u32_e32 v36, v32
	v_min_u32_e32 v40, 32, v36
	v_subrev_u32_e32 v36, 28, v40
	v_lshlrev_b64 v[36:37], v36, v[30:31]
	v_lshrrev_b32_e32 v38, 3, v35
	v_sub_u32_e32 v37, 29, v40
	v_and_b32_e32 v36, 7, v36
	v_cmp_gt_u32_e32 vcc, 8, v35
	v_cndmask_b32_e32 v35, v38, v37, vcc
	v_cndmask_b32_e32 v32, v32, v36, vcc
	v_lshlrev_b32_e32 v30, 24, v30
	v_lshlrev_b32_e32 v32, 20, v32
	v_and_b32_e32 v30, 0x80000000, v30
	v_lshl_add_u32 v35, v35, 23, v33
	v_or3_b32 v30, v30, v35, v32
	v_lshrrev_b32_e32 v32, 16, v30
.LBB948_175:                            ;   in Loop: Header=BB948_15 Depth=1
	s_or_b64 exec, exec, s[10:11]
.LBB948_176:                            ;   in Loop: Header=BB948_15 Depth=1
	s_or_b64 exec, exec, s[6:7]
.LBB948_177:                            ;   in Loop: Header=BB948_15 Depth=1
	s_or_b64 exec, exec, s[4:5]
	v_cmp_lt_u32_e32 vcc, s15, v28
	v_mov_b32_e32 v35, 0
	v_mov_b32_e32 v36, 0
	s_and_saveexec_b64 s[4:5], vcc
	s_cbranch_execz .LBB948_183
; %bb.178:                              ;   in Loop: Header=BB948_15 Depth=1
	v_lshrrev_b32_e32 v30, 24, v28
	v_cmp_ne_u32_e32 vcc, s13, v30
	v_mov_b32_e32 v36, 0xffff8000
	s_and_saveexec_b64 s[6:7], vcc
	s_cbranch_execz .LBB948_182
; %bb.179:                              ;   in Loop: Header=BB948_15 Depth=1
	v_bfe_u32 v28, v28, 24, 7
	v_cmp_ne_u32_e32 vcc, s14, v28
	v_mov_b32_e32 v36, 0x7f80
	s_and_saveexec_b64 s[10:11], vcc
	s_cbranch_execz .LBB948_181
; %bb.180:                              ;   in Loop: Header=BB948_15 Depth=1
	v_and_b32_e32 v38, 7, v30
	v_ffbh_u32_e32 v36, v38
	v_min_u32_e32 v42, 32, v36
	v_subrev_u32_e32 v36, 28, v42
	v_lshlrev_b64 v[36:37], v36, v[30:31]
	v_lshrrev_b32_e32 v40, 3, v28
	v_sub_u32_e32 v37, 29, v42
	v_and_b32_e32 v36, 7, v36
	v_cmp_gt_u32_e32 vcc, 8, v28
	v_cndmask_b32_e32 v28, v40, v37, vcc
	v_cndmask_b32_e32 v36, v38, v36, vcc
	v_lshlrev_b32_e32 v30, 24, v30
	v_lshlrev_b32_e32 v36, 20, v36
	v_and_b32_e32 v30, 0x80000000, v30
	v_lshl_add_u32 v28, v28, 23, v33
	v_or3_b32 v28, v30, v28, v36
	v_lshrrev_b32_e32 v36, 16, v28
.LBB948_181:                            ;   in Loop: Header=BB948_15 Depth=1
	s_or_b64 exec, exec, s[10:11]
.LBB948_182:                            ;   in Loop: Header=BB948_15 Depth=1
	s_or_b64 exec, exec, s[6:7]
.LBB948_183:                            ;   in Loop: Header=BB948_15 Depth=1
	s_or_b64 exec, exec, s[4:5]
	s_waitcnt vmcnt(0)
	v_cmp_ne_u16_sdwa s[6:7], v26, v31 src0_sel:BYTE_0 src1_sel:DWORD
	s_and_saveexec_b64 s[4:5], s[6:7]
	s_cbranch_execz .LBB948_189
; %bb.184:                              ;   in Loop: Header=BB948_15 Depth=1
	v_cmp_ne_u16_sdwa s[10:11], v26, s13 src0_sel:BYTE_0 src1_sel:DWORD
	v_mov_b32_e32 v35, 0xffff8000
	s_and_saveexec_b64 s[6:7], s[10:11]
	s_cbranch_execz .LBB948_188
; %bb.185:                              ;   in Loop: Header=BB948_15 Depth=1
	v_and_b32_e32 v28, 0x7f, v26
	v_cmp_ne_u32_e32 vcc, s14, v28
	v_mov_b32_e32 v35, 0x7f80
	s_and_saveexec_b64 s[10:11], vcc
	s_cbranch_execz .LBB948_187
; %bb.186:                              ;   in Loop: Header=BB948_15 Depth=1
	v_and_b32_e32 v30, 7, v26
	v_ffbh_u32_e32 v37, v30
	v_min_u32_e32 v37, 32, v37
	v_subrev_u32_e32 v38, 28, v37
	v_lshlrev_b64 v[42:43], v38, v[26:27]
	v_lshrrev_b32_e32 v35, 3, v28
	v_sub_u32_e32 v37, 29, v37
	v_and_b32_e32 v38, 7, v42
	v_cmp_gt_u32_e32 vcc, 8, v28
	v_cndmask_b32_e32 v28, v35, v37, vcc
	v_cndmask_b32_e32 v30, v30, v38, vcc
	v_lshlrev_b32_e32 v35, 24, v26
	v_lshlrev_b32_e32 v30, 20, v30
	v_and_b32_e32 v35, 0x80000000, v35
	v_lshl_add_u32 v28, v28, 23, v33
	v_or3_b32 v28, v35, v28, v30
	v_lshrrev_b32_e32 v35, 16, v28
.LBB948_187:                            ;   in Loop: Header=BB948_15 Depth=1
	s_or_b64 exec, exec, s[10:11]
.LBB948_188:                            ;   in Loop: Header=BB948_15 Depth=1
	s_or_b64 exec, exec, s[6:7]
.LBB948_189:                            ;   in Loop: Header=BB948_15 Depth=1
	s_or_b64 exec, exec, s[4:5]
	v_lshrrev_b16_e32 v28, 8, v26
	v_cmp_ne_u16_e32 vcc, 0, v28
	v_mov_b32_e32 v37, 0
	v_mov_b32_e32 v30, 0
	s_and_saveexec_b64 s[4:5], vcc
	s_cbranch_execz .LBB948_195
; %bb.190:                              ;   in Loop: Header=BB948_15 Depth=1
	v_cmp_ne_u16_e32 vcc, s13, v28
	v_mov_b32_e32 v30, 0xffff8000
	s_and_saveexec_b64 s[6:7], vcc
	s_cbranch_execz .LBB948_194
; %bb.191:                              ;   in Loop: Header=BB948_15 Depth=1
	v_and_b32_e32 v38, 0x7f, v28
	v_cmp_ne_u32_e32 vcc, s14, v38
	v_mov_b32_e32 v30, 0x7f80
	s_and_saveexec_b64 s[10:11], vcc
	s_cbranch_execz .LBB948_193
; %bb.192:                              ;   in Loop: Header=BB948_15 Depth=1
	v_and_b32_e32 v30, 7, v28
	v_ffbh_u32_e32 v42, v30
	v_min_u32_e32 v44, 32, v42
	v_subrev_u32_e32 v42, 28, v44
	v_lshlrev_b64 v[42:43], v42, v[28:29]
	v_lshrrev_b32_e32 v40, 3, v38
	v_sub_u32_e32 v28, 29, v44
	v_and_b32_e32 v42, 7, v42
	v_cmp_gt_u32_e32 vcc, 8, v38
	v_cndmask_b32_e32 v28, v40, v28, vcc
	v_cndmask_b32_e32 v30, v30, v42, vcc
	v_lshlrev_b32_e32 v38, 16, v26
	v_lshlrev_b32_e32 v30, 20, v30
	v_and_b32_e32 v38, 0x80000000, v38
	v_lshl_add_u32 v28, v28, 23, v33
	v_or3_b32 v28, v38, v28, v30
	v_lshrrev_b32_e32 v30, 16, v28
.LBB948_193:                            ;   in Loop: Header=BB948_15 Depth=1
	s_or_b64 exec, exec, s[10:11]
.LBB948_194:                            ;   in Loop: Header=BB948_15 Depth=1
	s_or_b64 exec, exec, s[6:7]
.LBB948_195:                            ;   in Loop: Header=BB948_15 Depth=1
	s_or_b64 exec, exec, s[4:5]
	v_lshrrev_b32_e32 v28, 16, v26
	v_cmp_ne_u16_sdwa s[6:7], v28, v31 src0_sel:BYTE_0 src1_sel:DWORD
	s_and_saveexec_b64 s[4:5], s[6:7]
	s_cbranch_execz .LBB948_201
; %bb.196:                              ;   in Loop: Header=BB948_15 Depth=1
	v_cmp_ne_u16_sdwa s[10:11], v28, s13 src0_sel:BYTE_0 src1_sel:DWORD
	v_mov_b32_e32 v37, 0xffff8000
	s_and_saveexec_b64 s[6:7], s[10:11]
	s_cbranch_execz .LBB948_200
; %bb.197:                              ;   in Loop: Header=BB948_15 Depth=1
	v_bfe_u32 v38, v26, 16, 7
	v_cmp_ne_u32_e32 vcc, s14, v38
	v_mov_b32_e32 v37, 0x7f80
	s_and_saveexec_b64 s[10:11], vcc
	s_cbranch_execz .LBB948_199
; %bb.198:                              ;   in Loop: Header=BB948_15 Depth=1
	v_and_b32_e32 v37, 7, v28
	v_ffbh_u32_e32 v42, v37
	v_min_u32_e32 v44, 32, v42
	v_subrev_u32_e32 v42, 28, v44
	v_lshlrev_b64 v[42:43], v42, v[28:29]
	v_lshrrev_b32_e32 v40, 3, v38
	v_sub_u32_e32 v43, 29, v44
	v_and_b32_e32 v42, 7, v42
	v_cmp_gt_u32_e32 vcc, 8, v38
	v_cndmask_b32_e32 v38, v40, v43, vcc
	v_cndmask_b32_e32 v37, v37, v42, vcc
	v_lshlrev_b32_e32 v28, 24, v28
	v_lshlrev_b32_e32 v37, 20, v37
	v_and_b32_e32 v28, 0x80000000, v28
	v_lshl_add_u32 v38, v38, 23, v33
	v_or3_b32 v28, v28, v38, v37
	v_lshrrev_b32_e32 v37, 16, v28
.LBB948_199:                            ;   in Loop: Header=BB948_15 Depth=1
	s_or_b64 exec, exec, s[10:11]
.LBB948_200:                            ;   in Loop: Header=BB948_15 Depth=1
	s_or_b64 exec, exec, s[6:7]
.LBB948_201:                            ;   in Loop: Header=BB948_15 Depth=1
	s_or_b64 exec, exec, s[4:5]
	v_cmp_lt_u32_e32 vcc, s15, v26
	v_mov_b32_e32 v38, 0
	s_and_saveexec_b64 s[4:5], vcc
	s_cbranch_execz .LBB948_14
; %bb.202:                              ;   in Loop: Header=BB948_15 Depth=1
	v_lshrrev_b32_e32 v28, 24, v26
	v_cmp_ne_u32_e32 vcc, s13, v28
	v_mov_b32_e32 v38, 0xffff8000
	s_and_saveexec_b64 s[6:7], vcc
	s_cbranch_execz .LBB948_13
; %bb.203:                              ;   in Loop: Header=BB948_15 Depth=1
	v_bfe_u32 v26, v26, 24, 7
	v_cmp_ne_u32_e32 vcc, s14, v26
	v_mov_b32_e32 v38, 0x7f80
	s_and_saveexec_b64 s[10:11], vcc
	s_cbranch_execz .LBB948_12
; %bb.204:                              ;   in Loop: Header=BB948_15 Depth=1
	v_and_b32_e32 v38, 7, v28
	v_ffbh_u32_e32 v42, v38
	v_min_u32_e32 v44, 32, v42
	v_subrev_u32_e32 v42, 28, v44
	v_lshlrev_b64 v[42:43], v42, v[28:29]
	v_lshrrev_b32_e32 v40, 3, v26
	v_sub_u32_e32 v43, 29, v44
	v_and_b32_e32 v42, 7, v42
	v_cmp_gt_u32_e32 vcc, 8, v26
	v_cndmask_b32_e32 v26, v40, v43, vcc
	v_cndmask_b32_e32 v38, v38, v42, vcc
	v_lshlrev_b32_e32 v28, 24, v28
	v_lshlrev_b32_e32 v38, 20, v38
	v_and_b32_e32 v28, 0x80000000, v28
	v_lshl_add_u32 v26, v26, 23, v33
	v_or3_b32 v26, v28, v26, v38
	v_lshrrev_b32_e32 v38, 16, v26
	s_branch .LBB948_12
.LBB948_205:
	buffer_load_dword v13, off, s[0:3], 0 offset:256
	buffer_load_dword v14, off, s[0:3], 0 offset:260
	;; [unrolled: 1-line block ×16, first 2 shown]
	v_and_b32_e32 v12, 0xc0, v0
	v_add_u32_e32 v12, s20, v12
	v_lshl_or_b32 v12, v1, 2, v12
	v_or_b32_e32 v23, 1, v12
	v_mov_b32_e32 v19, 0xff7fffff
	v_or_b32_e32 v24, 2, v12
	v_or_b32_e32 v25, 3, v12
	v_cmp_gt_i32_e64 s[26:27], s33, v12
	v_cmp_gt_i32_e64 s[28:29], s33, v23
	s_mov_b32 s52, 0xff7fffff
	v_or_b32_e32 v26, 16, v12
	v_or_b32_e32 v27, 17, v12
	;; [unrolled: 1-line block ×12, first 2 shown]
	v_cmp_gt_i32_e64 s[30:31], s33, v24
	v_cmp_gt_i32_e64 s[34:35], s33, v25
	v_mbcnt_lo_u32_b32 v20, -1, 0
	v_cmp_gt_i32_e64 s[36:37], s33, v26
	v_cmp_gt_i32_e64 s[38:39], s33, v27
	v_mbcnt_hi_u32_b32 v20, -1, v20
	v_cmp_gt_i32_e64 s[20:21], s33, v28
	v_cmp_gt_i32_e64 s[22:23], s33, v29
	v_and_b32_e32 v21, 64, v20
	v_cmp_gt_i32_e64 s[16:17], s33, v30
	v_cmp_gt_i32_e64 s[18:19], s33, v31
	v_xor_b32_e32 v22, 32, v20
	v_add_u32_e32 v21, 64, v21
	v_cmp_gt_i32_e64 s[12:13], s33, v32
	v_cmp_gt_i32_e64 s[14:15], s33, v33
	v_cmp_lt_i32_e32 vcc, v22, v21
	v_cmp_gt_i32_e64 s[6:7], s33, v34
	v_cmp_gt_i32_e64 s[10:11], s33, v35
	v_cndmask_b32_e32 v22, v20, v22, vcc
	v_cmp_gt_i32_e32 vcc, s33, v36
	v_cmp_gt_i32_e64 s[4:5], s33, v37
	v_lshlrev_b32_e32 v22, 2, v22
	s_waitcnt vmcnt(15)
	v_cndmask_b32_e64 v12, v19, v13, s[26:27]
	s_waitcnt vmcnt(14)
	v_cndmask_b32_e64 v23, v19, v14, s[28:29]
	;; [unrolled: 2-line block ×4, first 2 shown]
	v_max3_f32 v12, v12, s52, v23
	s_waitcnt vmcnt(11)
	v_cndmask_b32_e64 v26, v19, v17, s[36:37]
	s_waitcnt vmcnt(10)
	v_cndmask_b32_e64 v27, v19, v18, s[38:39]
	v_max3_f32 v12, v12, v24, v25
	s_waitcnt vmcnt(9)
	v_cndmask_b32_e64 v28, v19, v11, s[20:21]
	s_waitcnt vmcnt(8)
	v_cndmask_b32_e64 v29, v19, v10, s[22:23]
	;; [unrolled: 5-line block ×5, first 2 shown]
	v_max3_f32 v12, v12, v32, v33
	s_waitcnt vmcnt(1)
	v_cndmask_b32_e32 v36, v19, v3, vcc
	s_waitcnt vmcnt(0)
	v_cndmask_b32_e64 v19, v19, v2, s[4:5]
	v_max3_f32 v12, v12, v34, v35
	v_max3_f32 v12, v12, v36, v19
	ds_bpermute_b32 v19, v22, v12
	v_xor_b32_e32 v23, 16, v20
	v_cmp_lt_i32_e64 s[40:41], v23, v21
	v_cndmask_b32_e64 v20, v20, v23, s[40:41]
	v_lshlrev_b32_e32 v20, 2, v20
	s_waitcnt lgkmcnt(0)
	v_max_f32_e32 v19, v19, v19
	v_max_f32_e32 v12, v12, v19
	ds_bpermute_b32 v19, v20, v12
	s_waitcnt lgkmcnt(0)
	v_max_f32_e32 v19, v19, v19
	v_max_f32_e32 v12, v12, v19
	v_sub_f32_e32 v13, v13, v12
	v_sub_f32_e32 v14, v14, v12
	v_sub_f32_e32 v15, v15, v12
	v_mul_f32_e32 v13, 0x3fb8aa3b, v13
	v_mul_f32_e32 v14, 0x3fb8aa3b, v14
	;; [unrolled: 1-line block ×3, first 2 shown]
	v_exp_f32_e32 v13, v13
	v_exp_f32_e32 v14, v14
	;; [unrolled: 1-line block ×3, first 2 shown]
	v_sub_f32_e32 v16, v16, v12
	v_cndmask_b32_e64 v13, 0, v13, s[26:27]
	v_mul_f32_e32 v16, 0x3fb8aa3b, v16
	v_cndmask_b32_e64 v14, 0, v14, s[28:29]
	v_cndmask_b32_e64 v15, 0, v15, s[30:31]
	v_add_f32_e32 v19, 0, v13
	buffer_store_dword v13, off, s[0:3], 0 offset:256
	buffer_store_dword v14, off, s[0:3], 0 offset:260
	;; [unrolled: 1-line block ×3, first 2 shown]
	v_sub_f32_e32 v13, v17, v12
	v_exp_f32_e32 v16, v16
	v_add_f32_e32 v19, v19, v14
	v_mul_f32_e32 v13, 0x3fb8aa3b, v13
	v_sub_f32_e32 v14, v18, v12
	v_exp_f32_e32 v13, v13
	v_mul_f32_e32 v14, 0x3fb8aa3b, v14
	v_sub_f32_e32 v11, v11, v12
	v_exp_f32_e32 v14, v14
	;; [unrolled: 3-line block ×3, first 2 shown]
	v_mul_f32_e32 v10, 0x3fb8aa3b, v10
	v_sub_f32_e32 v9, v9, v12
	v_cndmask_b32_e64 v16, 0, v16, s[34:35]
	v_add_f32_e32 v19, v19, v15
	v_exp_f32_e32 v10, v10
	v_mul_f32_e32 v9, 0x3fb8aa3b, v9
	v_sub_f32_e32 v8, v8, v12
	v_add_f32_e32 v19, v19, v16
	v_cndmask_b32_e64 v13, 0, v13, s[36:37]
	v_exp_f32_e32 v9, v9
	v_mul_f32_e32 v8, 0x3fb8aa3b, v8
	v_sub_f32_e32 v7, v7, v12
	v_add_f32_e32 v15, v19, v13
	v_cndmask_b32_e64 v14, 0, v14, s[38:39]
	;; [unrolled: 5-line block ×5, first 2 shown]
	v_exp_f32_e32 v5, v5
	v_mul_f32_e32 v4, 0x3fb8aa3b, v4
	v_sub_f32_e32 v3, v3, v12
	buffer_store_dword v16, off, s[0:3], 0 offset:268
	buffer_store_dword v13, off, s[0:3], 0 offset:272
	;; [unrolled: 1-line block ×5, first 2 shown]
	v_add_f32_e32 v10, v15, v9
	v_cndmask_b32_e64 v8, 0, v8, s[18:19]
	v_exp_f32_e32 v4, v4
	v_mul_f32_e32 v3, 0x3fb8aa3b, v3
	v_sub_f32_e32 v2, v2, v12
	v_add_f32_e32 v10, v10, v8
	v_cndmask_b32_e64 v7, 0, v7, s[12:13]
	v_exp_f32_e32 v3, v3
	v_mul_f32_e32 v2, 0x3fb8aa3b, v2
	v_add_f32_e32 v10, v10, v7
	v_cndmask_b32_e64 v6, 0, v6, s[14:15]
	v_exp_f32_e32 v2, v2
	v_add_f32_e32 v10, v10, v6
	v_cndmask_b32_e64 v5, 0, v5, s[6:7]
	buffer_store_dword v9, off, s[0:3], 0 offset:288
	buffer_store_dword v8, off, s[0:3], 0 offset:292
	;; [unrolled: 1-line block ×4, first 2 shown]
	v_add_f32_e32 v6, v10, v5
	v_cndmask_b32_e64 v4, 0, v4, s[10:11]
	v_add_f32_e32 v6, v6, v4
	v_cndmask_b32_e32 v3, 0, v3, vcc
	v_add_f32_e32 v6, v6, v3
	v_cndmask_b32_e64 v2, 0, v2, s[4:5]
	v_add_f32_e32 v6, v6, v2
	ds_bpermute_b32 v7, v22, v6
	buffer_store_dword v5, off, s[0:3], 0 offset:304
	buffer_store_dword v4, off, s[0:3], 0 offset:308
	;; [unrolled: 1-line block ×4, first 2 shown]
	v_cmp_gt_u32_e32 vcc, 16, v64
	s_waitcnt lgkmcnt(0)
	s_barrier
	v_add_f32_e32 v2, v6, v7
	ds_bpermute_b32 v3, v20, v2
	s_waitcnt lgkmcnt(0)
	s_and_saveexec_b64 s[4:5], vcc
	s_cbranch_execz .LBB948_207
; %bb.206:
	v_add_f32_e32 v2, v2, v3
	v_lshlrev_b32_e32 v3, 2, v63
	ds_write2st64_b32 v3, v12, v2 offset1:1
.LBB948_207:
	s_or_b64 exec, exec, s[4:5]
	v_lshlrev_b32_e32 v2, 2, v55
	s_waitcnt lgkmcnt(0)
	s_barrier
	ds_read2_b32 v[14:15], v2 offset1:16
	ds_read2_b32 v[16:17], v2 offset0:32 offset1:48
	ds_read2_b32 v[6:7], v2 offset0:64 offset1:80
	;; [unrolled: 1-line block ×3, first 2 shown]
	s_waitcnt lgkmcnt(0)
	s_barrier
	buffer_load_dword v22, off, s[0:3], 0 offset:264
	buffer_load_dword v23, off, s[0:3], 0 offset:268
	;; [unrolled: 1-line block ×16, first 2 shown]
	v_max3_f32 v20, v14, s52, v15
	v_max3_f32 v20, v20, v16, v17
	v_sub_f32_e32 v14, v14, v20
	v_sub_f32_e32 v15, v15, v20
	v_mul_f32_e32 v14, 0x3fb8aa3b, v14
	v_sub_f32_e32 v16, v16, v20
	v_mul_f32_e32 v15, 0x3fb8aa3b, v15
	v_exp_f32_e32 v14, v14
	v_sub_f32_e32 v17, v17, v20
	v_mul_f32_e32 v16, 0x3fb8aa3b, v16
	v_exp_f32_e32 v15, v15
	v_mul_f32_e32 v17, 0x3fb8aa3b, v17
	v_exp_f32_e32 v16, v16
	v_exp_f32_e32 v17, v17
	v_fma_f32 v6, v14, v6, 0
	v_fmac_f32_e32 v6, v15, v7
	v_fmac_f32_e32 v6, v16, v12
	;; [unrolled: 1-line block ×3, first 2 shown]
	v_cmp_eq_u32_e32 vcc, 1, v62
	v_add_f32_e32 v12, 0x358637bd, v6
	v_cndmask_b32_e32 v14, v14, v15, vcc
	v_cmp_eq_u32_e32 vcc, 2, v62
	v_div_scale_f32 v13, s[4:5], v12, v12, 1.0
	v_cndmask_b32_e32 v7, v14, v16, vcc
	v_rcp_f32_e32 v14, v13
	v_cmp_eq_u32_e32 vcc, 3, v62
	v_cndmask_b32_e32 v7, v7, v17, vcc
	v_div_scale_f32 v15, vcc, 1.0, v12, 1.0
	v_fma_f32 v16, -v13, v14, 1.0
	v_fmac_f32_e32 v14, v16, v14
	v_mul_f32_e32 v16, v15, v14
	v_fma_f32 v17, -v13, v16, v15
	v_fmac_f32_e32 v16, v17, v14
	v_fma_f32 v13, -v13, v16, v15
	v_div_fmas_f32 v13, v13, v14, v16
	v_div_fixup_f32 v12, v13, v12, 1.0
	v_mul_f32_e32 v12, v7, v12
	s_movk_i32 s19, 0x7fff
	s_mov_b32 s20, 0x7060302
	s_mul_i32 s18, s51, 7
	v_cmp_gt_u32_e32 vcc, 7, v0
	s_waitcnt vmcnt(14)
	v_pk_mul_f32 v[14:15], v[12:13], v[22:23] op_sel_hi:[0,1]
	v_bfe_u32 v21, v15, 16, 1
	s_waitcnt vmcnt(12)
	v_pk_mul_f32 v[16:17], v[12:13], v[24:25] op_sel_hi:[0,1]
	v_bfe_u32 v7, v17, 16, 1
	v_bfe_u32 v13, v16, 16, 1
	v_bfe_u32 v22, v14, 16, 1
	v_add3_u32 v13, v16, v13, s19
	v_add3_u32 v7, v17, v7, s19
	buffer_store_dword v16, off, s[0:3], 0 offset:256
	buffer_store_dword v17, off, s[0:3], 0 offset:260
	;; [unrolled: 1-line block ×4, first 2 shown]
	v_add3_u32 v16, v14, v22, s19
	v_add3_u32 v15, v15, v21, s19
	v_perm_b32 v14, v7, v13, s20
	v_lshlrev_b32_e32 v13, 3, v1
	v_perm_b32 v15, v15, v16, s20
	v_lshlrev_b32_e32 v7, 5, v55
	v_lshlrev_b32_e32 v16, 11, v62
	s_waitcnt vmcnt(12)
	v_pk_mul_f32 v[8:9], v[12:13], v[8:9] op_sel_hi:[0,1]
	v_or3_b32 v43, v16, v7, v13
	v_pk_mul_f32 v[10:11], v[12:13], v[10:11] op_sel_hi:[0,1]
	v_bfe_u32 v13, v9, 16, 1
	v_bfe_u32 v16, v8, 16, 1
	buffer_store_dword v8, off, s[0:3], 0 offset:272
	buffer_store_dword v9, off, s[0:3], 0 offset:276
	;; [unrolled: 1-line block ×4, first 2 shown]
	v_add3_u32 v8, v8, v16, s19
	v_add3_u32 v9, v9, v13, s19
	v_perm_b32 v8, v9, v8, s20
	v_bfe_u32 v9, v11, 16, 1
	v_bfe_u32 v13, v10, 16, 1
	v_add3_u32 v10, v10, v13, s19
	v_add3_u32 v9, v11, v9, s19
	v_perm_b32 v9, v9, v10, s20
	s_waitcnt vmcnt(14)
	v_pk_mul_f32 v[10:11], v[12:13], v[18:19] op_sel_hi:[0,1]
	ds_write2st64_b64 v43, v[14:15], v[8:9] offset1:1
	s_waitcnt vmcnt(12)
	v_pk_mul_f32 v[8:9], v[12:13], v[26:27] op_sel_hi:[0,1]
	v_bfe_u32 v13, v11, 16, 1
	v_bfe_u32 v14, v10, 16, 1
	buffer_store_dword v10, off, s[0:3], 0 offset:288
	buffer_store_dword v11, off, s[0:3], 0 offset:292
	;; [unrolled: 1-line block ×4, first 2 shown]
	v_add3_u32 v10, v10, v14, s19
	v_add3_u32 v11, v11, v13, s19
	v_perm_b32 v10, v11, v10, s20
	v_bfe_u32 v11, v9, 16, 1
	v_bfe_u32 v13, v8, 16, 1
	v_add3_u32 v8, v8, v13, s19
	v_add3_u32 v9, v9, v11, s19
	s_waitcnt vmcnt(14)
	v_pk_mul_f32 v[2:3], v[12:13], v[2:3] op_sel_hi:[0,1]
	v_perm_b32 v11, v9, v8, s20
	v_bfe_u32 v8, v3, 16, 1
	v_bfe_u32 v9, v2, 16, 1
	s_waitcnt vmcnt(12)
	v_pk_mul_f32 v[4:5], v[12:13], v[4:5] op_sel_hi:[0,1]
	buffer_store_dword v2, off, s[0:3], 0 offset:304
	buffer_store_dword v3, off, s[0:3], 0 offset:308
	buffer_store_dword v4, off, s[0:3], 0 offset:312
	buffer_store_dword v5, off, s[0:3], 0 offset:316
	v_add3_u32 v2, v2, v9, s19
	v_add3_u32 v3, v3, v8, s19
	v_perm_b32 v2, v3, v2, s20
	v_bfe_u32 v3, v5, 16, 1
	v_bfe_u32 v8, v4, 16, 1
	v_add3_u32 v4, v4, v8, s19
	v_add3_u32 v3, v5, v3, s19
	v_perm_b32 v3, v3, v4, s20
	ds_write2st64_b64 v43, v[10:11], v[2:3] offset0:2 offset1:3
	s_and_saveexec_b64 s[4:5], vcc
	s_cbranch_execz .LBB948_209
; %bb.208:
	v_add_co_u32_e32 v4, vcc, s25, v55
	v_addc_co_u32_e64 v5, s[6:7], 0, 0, vcc
	v_mov_b32_e32 v2, s18
	v_mad_u64_u32 v[4:5], s[6:7], s8, v2, v[4:5]
	v_mov_b32_e32 v3, 0
	s_mul_i32 s6, s9, s18
	v_mov_b32_e32 v2, s24
	v_add_u32_e32 v5, s6, v5
	v_mad_u64_u32 v[2:3], s[6:7], v4, s50, v[2:3]
	v_mov_b32_e32 v4, v3
	v_mad_u64_u32 v[4:5], s[6:7], v5, s50, v[4:5]
	v_mov_b32_e32 v3, v4
	v_lshlrev_b64 v[2:3], 2, v[2:3]
	v_mov_b32_e32 v5, s47
	v_add_co_u32_e32 v4, vcc, s46, v2
	v_addc_co_u32_e32 v5, vcc, v5, v3, vcc
	global_store_dword v[4:5], v20, off
	v_mov_b32_e32 v4, s45
	v_add_co_u32_e32 v2, vcc, s44, v2
	v_addc_co_u32_e32 v3, vcc, v4, v3, vcc
	global_store_dword v[2:3], v6, off
.LBB948_209:
	s_or_b64 exec, exec, s[4:5]
	v_lshl_or_b32 v30, v1, 9, v7
	s_waitcnt lgkmcnt(0)
	s_barrier
	s_load_dword s4, s[42:43], 0x0
	ds_read_b128 v[2:5], v30
	ds_read_b128 v[6:9], v30 offset:16
	ds_read_b128 v[10:13], v30 offset:2048
	;; [unrolled: 1-line block ×7, first 2 shown]
	v_mov_b32_e32 v35, 0x80
	v_mov_b32_e32 v45, 0x140
	s_mov_b64 s[10:11], -1
	s_waitcnt lgkmcnt(0)
	s_mov_b32 s5, s4
	s_mov_b32 s6, s4
	;; [unrolled: 1-line block ×3, first 2 shown]
	s_movk_i32 s9, 0x80
	s_movk_i32 s21, 0x7f
	s_mov_b32 s22, 0xffffff
	s_mov_b32 s23, 0x5040100
	v_mov_b32_e32 v47, 0
	v_bfrev_b32_e32 v48, 60
	s_branch .LBB948_213
.LBB948_210:                            ;   in Loop: Header=BB948_213 Depth=1
	s_or_b64 exec, exec, s[16:17]
.LBB948_211:                            ;   in Loop: Header=BB948_213 Depth=1
	s_or_b64 exec, exec, s[14:15]
.LBB948_212:                            ;   in Loop: Header=BB948_213 Depth=1
	s_or_b64 exec, exec, s[12:13]
	v_perm_b32 v61, v51, v49, s23
	v_perm_b32 v60, v44, v46, s23
	s_xor_b64 s[12:13], s[10:11], -1
	s_mov_b64 s[10:11], 0
	s_and_b64 vcc, exec, s[12:13]
	v_mfma_f32_16x16x16bf16_1k v[62:65], v[60:61], v[30:31], v[34:37]
	v_mov_b32_e32 v61, v39
	v_mov_b32_e32 v60, v41
	;; [unrolled: 1-line block ×3, first 2 shown]
	s_nop 3
	v_perm_b32 v37, v53, v52, s23
	v_perm_b32 v36, v42, v50, s23
	v_mov_b32_e32 v35, v57
	s_nop 0
	v_mfma_f32_16x16x16bf16_1k v[50:53], v[36:37], v[32:33], v[62:65]
	s_nop 7
	s_nop 2
	v_pk_mul_f32 v[50:51], v[50:51], s[4:5]
	v_pk_mul_f32 v[36:37], v[52:53], s[6:7]
	v_bfe_u32 v34, v51, 16, 1
	v_bfe_u32 v38, v50, 16, 1
	;; [unrolled: 1-line block ×4, first 2 shown]
	v_add3_u32 v38, v50, v38, s19
	v_add3_u32 v34, v51, v34, s19
	;; [unrolled: 1-line block ×4, first 2 shown]
	v_perm_b32 v34, v34, v38, s20
	v_perm_b32 v36, v37, v36, s20
	buffer_store_dword v34, v45, s[0:3], 0 offen
	buffer_store_dword v36, v45, s[0:3], 0 offen offset:4
	v_mov_b32_e32 v45, 0x148
	s_cbranch_vccnz .LBB948_595
.LBB948_213:                            ; =>This Inner Loop Header: Depth=1
	buffer_load_dword v36, v35, s[0:3], 0 offen
	buffer_load_dword v34, v35, s[0:3], 0 offen offset:4
	buffer_load_dword v40, v35, s[0:3], 0 offen offset:8
	;; [unrolled: 1-line block ×3, first 2 shown]
	v_mov_b32_e32 v35, 0
	s_waitcnt vmcnt(3)
	v_cmp_ne_u16_sdwa s[14:15], v36, v47 src0_sel:BYTE_0 src1_sel:DWORD
	s_and_saveexec_b64 s[12:13], s[14:15]
	s_cbranch_execz .LBB948_219
; %bb.214:                              ;   in Loop: Header=BB948_213 Depth=1
	v_cmp_ne_u16_sdwa s[16:17], v36, s9 src0_sel:BYTE_0 src1_sel:DWORD
	v_mov_b32_e32 v35, 0xffff8000
	s_and_saveexec_b64 s[14:15], s[16:17]
	s_cbranch_execz .LBB948_218
; %bb.215:                              ;   in Loop: Header=BB948_213 Depth=1
	v_and_b32_e32 v37, 0x7f, v36
	v_cmp_ne_u32_e32 vcc, s21, v37
	v_mov_b32_e32 v35, 0x7f80
	s_and_saveexec_b64 s[16:17], vcc
	s_cbranch_execz .LBB948_217
; %bb.216:                              ;   in Loop: Header=BB948_213 Depth=1
	v_and_b32_e32 v35, 7, v36
	v_ffbh_u32_e32 v44, v35
	v_min_u32_e32 v44, 32, v44
	v_subrev_u32_e32 v46, 28, v44
	v_lshlrev_b64 v[50:51], v46, v[36:37]
	v_lshrrev_b32_e32 v42, 3, v37
	v_sub_u32_e32 v44, 29, v44
	v_and_b32_e32 v46, 7, v50
	v_cmp_gt_u32_e32 vcc, 8, v37
	v_cndmask_b32_e32 v37, v42, v44, vcc
	v_cndmask_b32_e32 v35, v35, v46, vcc
	v_lshlrev_b32_e32 v42, 24, v36
	v_lshlrev_b32_e32 v35, 20, v35
	v_and_b32_e32 v42, 0x80000000, v42
	v_lshl_add_u32 v37, v37, 23, v48
	v_or3_b32 v35, v42, v37, v35
	v_lshrrev_b32_e32 v35, 16, v35
.LBB948_217:                            ;   in Loop: Header=BB948_213 Depth=1
	s_or_b64 exec, exec, s[16:17]
.LBB948_218:                            ;   in Loop: Header=BB948_213 Depth=1
	s_or_b64 exec, exec, s[14:15]
.LBB948_219:                            ;   in Loop: Header=BB948_213 Depth=1
	s_or_b64 exec, exec, s[12:13]
	v_lshrrev_b16_e32 v42, 8, v36
	v_cmp_ne_u16_e32 vcc, 0, v42
	v_mov_b32_e32 v46, 0
	v_mov_b32_e32 v37, 0
	s_and_saveexec_b64 s[12:13], vcc
	s_cbranch_execz .LBB948_225
; %bb.220:                              ;   in Loop: Header=BB948_213 Depth=1
	v_cmp_ne_u16_e32 vcc, s9, v42
	v_mov_b32_e32 v37, 0xffff8000
	s_and_saveexec_b64 s[14:15], vcc
	s_cbranch_execz .LBB948_224
; %bb.221:                              ;   in Loop: Header=BB948_213 Depth=1
	v_and_b32_e32 v44, 0x7f, v42
	v_cmp_ne_u32_e32 vcc, s21, v44
	v_mov_b32_e32 v37, 0x7f80
	s_and_saveexec_b64 s[16:17], vcc
	s_cbranch_execz .LBB948_223
; %bb.222:                              ;   in Loop: Header=BB948_213 Depth=1
	v_and_b32_e32 v37, 7, v42
	v_ffbh_u32_e32 v50, v37
	v_min_u32_e32 v52, 32, v50
	v_subrev_u32_e32 v50, 28, v52
	v_lshlrev_b64 v[50:51], v50, v[42:43]
	v_lshrrev_b32_e32 v49, 3, v44
	v_sub_u32_e32 v42, 29, v52
	v_and_b32_e32 v50, 7, v50
	v_cmp_gt_u32_e32 vcc, 8, v44
	v_cndmask_b32_e32 v42, v49, v42, vcc
	v_cndmask_b32_e32 v37, v37, v50, vcc
	v_lshlrev_b32_e32 v44, 16, v36
	v_lshlrev_b32_e32 v37, 20, v37
	v_and_b32_e32 v44, 0x80000000, v44
	v_lshl_add_u32 v42, v42, 23, v48
	v_or3_b32 v37, v44, v42, v37
	v_lshrrev_b32_e32 v37, 16, v37
.LBB948_223:                            ;   in Loop: Header=BB948_213 Depth=1
	s_or_b64 exec, exec, s[16:17]
.LBB948_224:                            ;   in Loop: Header=BB948_213 Depth=1
	s_or_b64 exec, exec, s[14:15]
.LBB948_225:                            ;   in Loop: Header=BB948_213 Depth=1
	s_or_b64 exec, exec, s[12:13]
	v_lshrrev_b32_e32 v42, 16, v36
	v_cmp_ne_u16_sdwa s[14:15], v42, v47 src0_sel:BYTE_0 src1_sel:DWORD
	s_and_saveexec_b64 s[12:13], s[14:15]
	s_cbranch_execz .LBB948_231
; %bb.226:                              ;   in Loop: Header=BB948_213 Depth=1
	v_cmp_ne_u16_sdwa s[16:17], v42, s9 src0_sel:BYTE_0 src1_sel:DWORD
	v_mov_b32_e32 v46, 0xffff8000
	s_and_saveexec_b64 s[14:15], s[16:17]
	s_cbranch_execz .LBB948_230
; %bb.227:                              ;   in Loop: Header=BB948_213 Depth=1
	v_bfe_u32 v44, v36, 16, 7
	v_cmp_ne_u32_e32 vcc, s21, v44
	v_mov_b32_e32 v46, 0x7f80
	s_and_saveexec_b64 s[16:17], vcc
	s_cbranch_execz .LBB948_229
; %bb.228:                              ;   in Loop: Header=BB948_213 Depth=1
	v_and_b32_e32 v46, 7, v42
	v_ffbh_u32_e32 v50, v46
	v_min_u32_e32 v52, 32, v50
	v_subrev_u32_e32 v50, 28, v52
	v_lshlrev_b64 v[50:51], v50, v[42:43]
	v_lshrrev_b32_e32 v49, 3, v44
	v_sub_u32_e32 v51, 29, v52
	v_and_b32_e32 v50, 7, v50
	v_cmp_gt_u32_e32 vcc, 8, v44
	v_cndmask_b32_e32 v44, v49, v51, vcc
	v_cndmask_b32_e32 v46, v46, v50, vcc
	v_lshlrev_b32_e32 v42, 24, v42
	v_lshlrev_b32_e32 v46, 20, v46
	v_and_b32_e32 v42, 0x80000000, v42
	v_lshl_add_u32 v44, v44, 23, v48
	v_or3_b32 v42, v42, v44, v46
	v_lshrrev_b32_e32 v46, 16, v42
.LBB948_229:                            ;   in Loop: Header=BB948_213 Depth=1
	s_or_b64 exec, exec, s[16:17]
.LBB948_230:                            ;   in Loop: Header=BB948_213 Depth=1
	s_or_b64 exec, exec, s[14:15]
.LBB948_231:                            ;   in Loop: Header=BB948_213 Depth=1
	s_or_b64 exec, exec, s[12:13]
	v_cmp_lt_u32_e32 vcc, s22, v36
	v_mov_b32_e32 v49, 0
	v_mov_b32_e32 v50, 0
	s_and_saveexec_b64 s[12:13], vcc
	s_cbranch_execz .LBB948_237
; %bb.232:                              ;   in Loop: Header=BB948_213 Depth=1
	v_lshrrev_b32_e32 v42, 24, v36
	v_cmp_ne_u32_e32 vcc, s9, v42
	v_mov_b32_e32 v50, 0xffff8000
	s_and_saveexec_b64 s[14:15], vcc
	s_cbranch_execz .LBB948_236
; %bb.233:                              ;   in Loop: Header=BB948_213 Depth=1
	v_bfe_u32 v36, v36, 24, 7
	v_cmp_ne_u32_e32 vcc, s21, v36
	v_mov_b32_e32 v50, 0x7f80
	s_and_saveexec_b64 s[16:17], vcc
	s_cbranch_execz .LBB948_235
; %bb.234:                              ;   in Loop: Header=BB948_213 Depth=1
	v_and_b32_e32 v44, 7, v42
	v_ffbh_u32_e32 v50, v44
	v_min_u32_e32 v53, 32, v50
	v_subrev_u32_e32 v50, 28, v53
	v_lshlrev_b64 v[50:51], v50, v[42:43]
	v_lshrrev_b32_e32 v52, 3, v36
	v_sub_u32_e32 v51, 29, v53
	v_and_b32_e32 v50, 7, v50
	v_cmp_gt_u32_e32 vcc, 8, v36
	v_cndmask_b32_e32 v36, v52, v51, vcc
	v_cndmask_b32_e32 v44, v44, v50, vcc
	v_lshlrev_b32_e32 v42, 24, v42
	v_lshlrev_b32_e32 v44, 20, v44
	v_and_b32_e32 v42, 0x80000000, v42
	v_lshl_add_u32 v36, v36, 23, v48
	v_or3_b32 v36, v42, v36, v44
	v_lshrrev_b32_e32 v50, 16, v36
.LBB948_235:                            ;   in Loop: Header=BB948_213 Depth=1
	s_or_b64 exec, exec, s[16:17]
.LBB948_236:                            ;   in Loop: Header=BB948_213 Depth=1
	s_or_b64 exec, exec, s[14:15]
.LBB948_237:                            ;   in Loop: Header=BB948_213 Depth=1
	s_or_b64 exec, exec, s[12:13]
	s_waitcnt vmcnt(2)
	v_cmp_ne_u16_sdwa s[14:15], v34, v47 src0_sel:BYTE_0 src1_sel:DWORD
	s_and_saveexec_b64 s[12:13], s[14:15]
	s_cbranch_execz .LBB948_243
; %bb.238:                              ;   in Loop: Header=BB948_213 Depth=1
	v_cmp_ne_u16_sdwa s[16:17], v34, s9 src0_sel:BYTE_0 src1_sel:DWORD
	v_mov_b32_e32 v49, 0xffff8000
	s_and_saveexec_b64 s[14:15], s[16:17]
	s_cbranch_execz .LBB948_242
; %bb.239:                              ;   in Loop: Header=BB948_213 Depth=1
	v_and_b32_e32 v36, 0x7f, v34
	v_cmp_ne_u32_e32 vcc, s21, v36
	v_mov_b32_e32 v49, 0x7f80
	s_and_saveexec_b64 s[16:17], vcc
	s_cbranch_execz .LBB948_241
; %bb.240:                              ;   in Loop: Header=BB948_213 Depth=1
	v_and_b32_e32 v42, 7, v34
	v_ffbh_u32_e32 v49, v42
	v_min_u32_e32 v49, 32, v49
	v_subrev_u32_e32 v51, 28, v49
	v_lshlrev_b64 v[52:53], v51, v[34:35]
	v_lshrrev_b32_e32 v44, 3, v36
	v_sub_u32_e32 v49, 29, v49
	v_and_b32_e32 v51, 7, v52
	v_cmp_gt_u32_e32 vcc, 8, v36
	v_cndmask_b32_e32 v36, v44, v49, vcc
	v_cndmask_b32_e32 v42, v42, v51, vcc
	v_lshlrev_b32_e32 v44, 24, v34
	v_lshlrev_b32_e32 v42, 20, v42
	v_and_b32_e32 v44, 0x80000000, v44
	v_lshl_add_u32 v36, v36, 23, v48
	v_or3_b32 v36, v44, v36, v42
	v_lshrrev_b32_e32 v49, 16, v36
.LBB948_241:                            ;   in Loop: Header=BB948_213 Depth=1
	s_or_b64 exec, exec, s[16:17]
.LBB948_242:                            ;   in Loop: Header=BB948_213 Depth=1
	s_or_b64 exec, exec, s[14:15]
.LBB948_243:                            ;   in Loop: Header=BB948_213 Depth=1
	s_or_b64 exec, exec, s[12:13]
	v_lshrrev_b16_e32 v36, 8, v34
	v_cmp_ne_u16_e32 vcc, 0, v36
	v_mov_b32_e32 v51, 0
	v_mov_b32_e32 v42, 0
	s_and_saveexec_b64 s[12:13], vcc
	s_cbranch_execz .LBB948_249
; %bb.244:                              ;   in Loop: Header=BB948_213 Depth=1
	v_cmp_ne_u16_e32 vcc, s9, v36
	v_mov_b32_e32 v42, 0xffff8000
	s_and_saveexec_b64 s[14:15], vcc
	s_cbranch_execz .LBB948_248
; %bb.245:                              ;   in Loop: Header=BB948_213 Depth=1
	v_and_b32_e32 v44, 0x7f, v36
	v_cmp_ne_u32_e32 vcc, s21, v44
	v_mov_b32_e32 v42, 0x7f80
	s_and_saveexec_b64 s[16:17], vcc
	s_cbranch_execz .LBB948_247
; %bb.246:                              ;   in Loop: Header=BB948_213 Depth=1
	v_and_b32_e32 v42, 7, v36
	v_ffbh_u32_e32 v52, v42
	v_min_u32_e32 v63, 32, v52
	v_subrev_u32_e32 v52, 28, v63
	v_lshlrev_b64 v[52:53], v52, v[36:37]
	v_lshrrev_b32_e32 v62, 3, v44
	v_sub_u32_e32 v36, 29, v63
	v_and_b32_e32 v52, 7, v52
	v_cmp_gt_u32_e32 vcc, 8, v44
	v_cndmask_b32_e32 v36, v62, v36, vcc
	v_cndmask_b32_e32 v42, v42, v52, vcc
	v_lshlrev_b32_e32 v44, 16, v34
	v_lshlrev_b32_e32 v42, 20, v42
	v_and_b32_e32 v44, 0x80000000, v44
	v_lshl_add_u32 v36, v36, 23, v48
	v_or3_b32 v36, v44, v36, v42
	v_lshrrev_b32_e32 v42, 16, v36
.LBB948_247:                            ;   in Loop: Header=BB948_213 Depth=1
	s_or_b64 exec, exec, s[16:17]
.LBB948_248:                            ;   in Loop: Header=BB948_213 Depth=1
	s_or_b64 exec, exec, s[14:15]
.LBB948_249:                            ;   in Loop: Header=BB948_213 Depth=1
	s_or_b64 exec, exec, s[12:13]
	v_lshrrev_b32_e32 v36, 16, v34
	v_cmp_ne_u16_sdwa s[14:15], v36, v47 src0_sel:BYTE_0 src1_sel:DWORD
	s_and_saveexec_b64 s[12:13], s[14:15]
	s_cbranch_execz .LBB948_255
; %bb.250:                              ;   in Loop: Header=BB948_213 Depth=1
	v_cmp_ne_u16_sdwa s[16:17], v36, s9 src0_sel:BYTE_0 src1_sel:DWORD
	v_mov_b32_e32 v51, 0xffff8000
	s_and_saveexec_b64 s[14:15], s[16:17]
	s_cbranch_execz .LBB948_254
; %bb.251:                              ;   in Loop: Header=BB948_213 Depth=1
	v_bfe_u32 v44, v34, 16, 7
	v_cmp_ne_u32_e32 vcc, s21, v44
	v_mov_b32_e32 v51, 0x7f80
	s_and_saveexec_b64 s[16:17], vcc
	s_cbranch_execz .LBB948_253
; %bb.252:                              ;   in Loop: Header=BB948_213 Depth=1
	v_and_b32_e32 v51, 7, v36
	v_ffbh_u32_e32 v52, v51
	v_min_u32_e32 v63, 32, v52
	v_subrev_u32_e32 v52, 28, v63
	v_lshlrev_b64 v[52:53], v52, v[36:37]
	v_lshrrev_b32_e32 v62, 3, v44
	v_sub_u32_e32 v53, 29, v63
	v_and_b32_e32 v52, 7, v52
	v_cmp_gt_u32_e32 vcc, 8, v44
	v_cndmask_b32_e32 v44, v62, v53, vcc
	v_cndmask_b32_e32 v51, v51, v52, vcc
	v_lshlrev_b32_e32 v36, 24, v36
	v_lshlrev_b32_e32 v51, 20, v51
	v_and_b32_e32 v36, 0x80000000, v36
	v_lshl_add_u32 v44, v44, 23, v48
	v_or3_b32 v36, v36, v44, v51
	v_lshrrev_b32_e32 v51, 16, v36
.LBB948_253:                            ;   in Loop: Header=BB948_213 Depth=1
	s_or_b64 exec, exec, s[16:17]
.LBB948_254:                            ;   in Loop: Header=BB948_213 Depth=1
	s_or_b64 exec, exec, s[14:15]
.LBB948_255:                            ;   in Loop: Header=BB948_213 Depth=1
	s_or_b64 exec, exec, s[12:13]
	v_cmp_lt_u32_e32 vcc, s22, v34
	v_mov_b32_e32 v44, 0
	v_mov_b32_e32 v52, 0
	s_and_saveexec_b64 s[12:13], vcc
	s_cbranch_execz .LBB948_261
; %bb.256:                              ;   in Loop: Header=BB948_213 Depth=1
	v_lshrrev_b32_e32 v36, 24, v34
	v_cmp_ne_u32_e32 vcc, s9, v36
	v_mov_b32_e32 v52, 0xffff8000
	s_and_saveexec_b64 s[14:15], vcc
	s_cbranch_execz .LBB948_260
; %bb.257:                              ;   in Loop: Header=BB948_213 Depth=1
	v_bfe_u32 v34, v34, 24, 7
	v_cmp_ne_u32_e32 vcc, s21, v34
	v_mov_b32_e32 v52, 0x7f80
	s_and_saveexec_b64 s[16:17], vcc
	s_cbranch_execz .LBB948_259
; %bb.258:                              ;   in Loop: Header=BB948_213 Depth=1
	v_and_b32_e32 v62, 7, v36
	v_ffbh_u32_e32 v52, v62
	v_min_u32_e32 v64, 32, v52
	v_subrev_u32_e32 v52, 28, v64
	v_lshlrev_b64 v[52:53], v52, v[36:37]
	v_lshrrev_b32_e32 v63, 3, v34
	v_sub_u32_e32 v53, 29, v64
	v_and_b32_e32 v52, 7, v52
	v_cmp_gt_u32_e32 vcc, 8, v34
	v_cndmask_b32_e32 v34, v63, v53, vcc
	v_cndmask_b32_e32 v52, v62, v52, vcc
	v_lshlrev_b32_e32 v36, 24, v36
	v_lshlrev_b32_e32 v52, 20, v52
	v_and_b32_e32 v36, 0x80000000, v36
	v_lshl_add_u32 v34, v34, 23, v48
	v_or3_b32 v34, v36, v34, v52
	v_lshrrev_b32_e32 v52, 16, v34
.LBB948_259:                            ;   in Loop: Header=BB948_213 Depth=1
	s_or_b64 exec, exec, s[16:17]
.LBB948_260:                            ;   in Loop: Header=BB948_213 Depth=1
	s_or_b64 exec, exec, s[14:15]
.LBB948_261:                            ;   in Loop: Header=BB948_213 Depth=1
	s_or_b64 exec, exec, s[12:13]
	v_perm_b32 v63, v50, v46, s23
	v_perm_b32 v62, v37, v35, s23
	;; [unrolled: 1-line block ×4, first 2 shown]
	s_waitcnt vmcnt(1)
	v_cmp_ne_u16_sdwa s[14:15], v40, v47 src0_sel:BYTE_0 src1_sel:DWORD
	v_mfma_f32_16x16x16bf16_1k v[34:37], v[62:63], v[2:3], 0
	v_mfma_f32_16x16x16bf16_1k v[34:37], v[50:51], v[4:5], v[34:37]
	s_and_saveexec_b64 s[12:13], s[14:15]
	s_cbranch_execz .LBB948_267
; %bb.262:                              ;   in Loop: Header=BB948_213 Depth=1
	v_cmp_ne_u16_sdwa s[16:17], v40, s9 src0_sel:BYTE_0 src1_sel:DWORD
	v_mov_b32_e32 v44, 0xffff8000
	s_and_saveexec_b64 s[14:15], s[16:17]
	s_cbranch_execz .LBB948_266
; %bb.263:                              ;   in Loop: Header=BB948_213 Depth=1
	v_and_b32_e32 v42, 0x7f, v40
	v_cmp_ne_u32_e32 vcc, s21, v42
	v_mov_b32_e32 v44, 0x7f80
	s_and_saveexec_b64 s[16:17], vcc
	s_cbranch_execz .LBB948_265
; %bb.264:                              ;   in Loop: Header=BB948_213 Depth=1
	v_and_b32_e32 v44, 7, v40
	v_ffbh_u32_e32 v49, v44
	v_min_u32_e32 v49, 32, v49
	v_subrev_u32_e32 v50, 28, v49
	v_lshlrev_b64 v[50:51], v50, v[40:41]
	v_lshrrev_b32_e32 v46, 3, v42
	v_sub_u32_e32 v49, 29, v49
	v_and_b32_e32 v50, 7, v50
	v_cmp_gt_u32_e32 vcc, 8, v42
	v_cndmask_b32_e32 v42, v46, v49, vcc
	v_cndmask_b32_e32 v44, v44, v50, vcc
	v_lshlrev_b32_e32 v46, 24, v40
	v_lshlrev_b32_e32 v44, 20, v44
	v_and_b32_e32 v46, 0x80000000, v46
	v_lshl_add_u32 v42, v42, 23, v48
	v_or3_b32 v42, v46, v42, v44
	v_lshrrev_b32_e32 v44, 16, v42
.LBB948_265:                            ;   in Loop: Header=BB948_213 Depth=1
	s_or_b64 exec, exec, s[16:17]
.LBB948_266:                            ;   in Loop: Header=BB948_213 Depth=1
	s_or_b64 exec, exec, s[14:15]
.LBB948_267:                            ;   in Loop: Header=BB948_213 Depth=1
	s_or_b64 exec, exec, s[12:13]
	v_lshrrev_b16_e32 v42, 8, v40
	v_cmp_ne_u16_e32 vcc, 0, v42
	v_mov_b32_e32 v50, 0
	v_mov_b32_e32 v46, 0
	s_and_saveexec_b64 s[12:13], vcc
	s_cbranch_execz .LBB948_273
; %bb.268:                              ;   in Loop: Header=BB948_213 Depth=1
	v_cmp_ne_u16_e32 vcc, s9, v42
	v_mov_b32_e32 v46, 0xffff8000
	s_and_saveexec_b64 s[14:15], vcc
	s_cbranch_execz .LBB948_272
; %bb.269:                              ;   in Loop: Header=BB948_213 Depth=1
	v_and_b32_e32 v49, 0x7f, v42
	v_cmp_ne_u32_e32 vcc, s21, v49
	v_mov_b32_e32 v46, 0x7f80
	s_and_saveexec_b64 s[16:17], vcc
	s_cbranch_execz .LBB948_271
; %bb.270:                              ;   in Loop: Header=BB948_213 Depth=1
	v_and_b32_e32 v46, 7, v42
	v_ffbh_u32_e32 v52, v46
	v_min_u32_e32 v62, 32, v52
	v_subrev_u32_e32 v52, 28, v62
	v_lshlrev_b64 v[52:53], v52, v[42:43]
	v_lshrrev_b32_e32 v51, 3, v49
	v_sub_u32_e32 v42, 29, v62
	v_and_b32_e32 v52, 7, v52
	v_cmp_gt_u32_e32 vcc, 8, v49
	v_cndmask_b32_e32 v42, v51, v42, vcc
	v_cndmask_b32_e32 v46, v46, v52, vcc
	v_lshlrev_b32_e32 v49, 16, v40
	v_lshlrev_b32_e32 v46, 20, v46
	v_and_b32_e32 v49, 0x80000000, v49
	v_lshl_add_u32 v42, v42, 23, v48
	v_or3_b32 v42, v49, v42, v46
	v_lshrrev_b32_e32 v46, 16, v42
.LBB948_271:                            ;   in Loop: Header=BB948_213 Depth=1
	s_or_b64 exec, exec, s[16:17]
.LBB948_272:                            ;   in Loop: Header=BB948_213 Depth=1
	s_or_b64 exec, exec, s[14:15]
.LBB948_273:                            ;   in Loop: Header=BB948_213 Depth=1
	s_or_b64 exec, exec, s[12:13]
	v_lshrrev_b32_e32 v42, 16, v40
	v_cmp_ne_u16_sdwa s[14:15], v42, v47 src0_sel:BYTE_0 src1_sel:DWORD
	s_and_saveexec_b64 s[12:13], s[14:15]
	s_cbranch_execz .LBB948_279
; %bb.274:                              ;   in Loop: Header=BB948_213 Depth=1
	v_cmp_ne_u16_sdwa s[16:17], v42, s9 src0_sel:BYTE_0 src1_sel:DWORD
	v_mov_b32_e32 v50, 0xffff8000
	s_and_saveexec_b64 s[14:15], s[16:17]
	s_cbranch_execz .LBB948_278
; %bb.275:                              ;   in Loop: Header=BB948_213 Depth=1
	v_bfe_u32 v49, v40, 16, 7
	v_cmp_ne_u32_e32 vcc, s21, v49
	v_mov_b32_e32 v50, 0x7f80
	s_and_saveexec_b64 s[16:17], vcc
	s_cbranch_execz .LBB948_277
; %bb.276:                              ;   in Loop: Header=BB948_213 Depth=1
	v_and_b32_e32 v52, 7, v42
	v_ffbh_u32_e32 v50, v52
	v_min_u32_e32 v62, 32, v50
	v_subrev_u32_e32 v50, 28, v62
	v_lshlrev_b64 v[50:51], v50, v[42:43]
	v_lshrrev_b32_e32 v53, 3, v49
	v_sub_u32_e32 v51, 29, v62
	v_and_b32_e32 v50, 7, v50
	v_cmp_gt_u32_e32 vcc, 8, v49
	v_cndmask_b32_e32 v49, v53, v51, vcc
	v_cndmask_b32_e32 v50, v52, v50, vcc
	v_lshlrev_b32_e32 v42, 24, v42
	v_lshlrev_b32_e32 v50, 20, v50
	v_and_b32_e32 v42, 0x80000000, v42
	v_lshl_add_u32 v49, v49, 23, v48
	v_or3_b32 v42, v42, v49, v50
	v_lshrrev_b32_e32 v50, 16, v42
.LBB948_277:                            ;   in Loop: Header=BB948_213 Depth=1
	s_or_b64 exec, exec, s[16:17]
.LBB948_278:                            ;   in Loop: Header=BB948_213 Depth=1
	s_or_b64 exec, exec, s[14:15]
.LBB948_279:                            ;   in Loop: Header=BB948_213 Depth=1
	s_or_b64 exec, exec, s[12:13]
	v_cmp_lt_u32_e32 vcc, s22, v40
	v_mov_b32_e32 v51, 0
	v_mov_b32_e32 v52, 0
	s_and_saveexec_b64 s[12:13], vcc
	s_cbranch_execz .LBB948_285
; %bb.280:                              ;   in Loop: Header=BB948_213 Depth=1
	v_lshrrev_b32_e32 v42, 24, v40
	v_cmp_ne_u32_e32 vcc, s9, v42
	v_mov_b32_e32 v52, 0xffff8000
	s_and_saveexec_b64 s[14:15], vcc
	s_cbranch_execz .LBB948_284
; %bb.281:                              ;   in Loop: Header=BB948_213 Depth=1
	v_bfe_u32 v40, v40, 24, 7
	v_cmp_ne_u32_e32 vcc, s21, v40
	v_mov_b32_e32 v52, 0x7f80
	s_and_saveexec_b64 s[16:17], vcc
	s_cbranch_execz .LBB948_283
; %bb.282:                              ;   in Loop: Header=BB948_213 Depth=1
	v_and_b32_e32 v49, 7, v42
	v_ffbh_u32_e32 v52, v49
	v_min_u32_e32 v63, 32, v52
	v_subrev_u32_e32 v52, 28, v63
	v_lshlrev_b64 v[52:53], v52, v[42:43]
	v_lshrrev_b32_e32 v62, 3, v40
	v_sub_u32_e32 v53, 29, v63
	v_and_b32_e32 v52, 7, v52
	v_cmp_gt_u32_e32 vcc, 8, v40
	v_cndmask_b32_e32 v40, v62, v53, vcc
	v_cndmask_b32_e32 v49, v49, v52, vcc
	v_lshlrev_b32_e32 v42, 24, v42
	v_lshlrev_b32_e32 v49, 20, v49
	v_and_b32_e32 v42, 0x80000000, v42
	v_lshl_add_u32 v40, v40, 23, v48
	v_or3_b32 v40, v42, v40, v49
	v_lshrrev_b32_e32 v52, 16, v40
.LBB948_283:                            ;   in Loop: Header=BB948_213 Depth=1
	s_or_b64 exec, exec, s[16:17]
.LBB948_284:                            ;   in Loop: Header=BB948_213 Depth=1
	s_or_b64 exec, exec, s[14:15]
.LBB948_285:                            ;   in Loop: Header=BB948_213 Depth=1
	s_or_b64 exec, exec, s[12:13]
	s_waitcnt vmcnt(0)
	v_cmp_ne_u16_sdwa s[14:15], v38, v47 src0_sel:BYTE_0 src1_sel:DWORD
	s_and_saveexec_b64 s[12:13], s[14:15]
	s_cbranch_execz .LBB948_291
; %bb.286:                              ;   in Loop: Header=BB948_213 Depth=1
	v_cmp_ne_u16_sdwa s[16:17], v38, s9 src0_sel:BYTE_0 src1_sel:DWORD
	v_mov_b32_e32 v51, 0xffff8000
	s_and_saveexec_b64 s[14:15], s[16:17]
	s_cbranch_execz .LBB948_290
; %bb.287:                              ;   in Loop: Header=BB948_213 Depth=1
	v_and_b32_e32 v40, 0x7f, v38
	v_cmp_ne_u32_e32 vcc, s21, v40
	v_mov_b32_e32 v51, 0x7f80
	s_and_saveexec_b64 s[16:17], vcc
	s_cbranch_execz .LBB948_289
; %bb.288:                              ;   in Loop: Header=BB948_213 Depth=1
	v_and_b32_e32 v42, 7, v38
	v_ffbh_u32_e32 v51, v42
	v_min_u32_e32 v51, 32, v51
	v_subrev_u32_e32 v53, 28, v51
	v_lshlrev_b64 v[62:63], v53, v[38:39]
	v_lshrrev_b32_e32 v49, 3, v40
	v_sub_u32_e32 v51, 29, v51
	v_and_b32_e32 v53, 7, v62
	v_cmp_gt_u32_e32 vcc, 8, v40
	v_cndmask_b32_e32 v40, v49, v51, vcc
	v_cndmask_b32_e32 v42, v42, v53, vcc
	v_lshlrev_b32_e32 v49, 24, v38
	v_lshlrev_b32_e32 v42, 20, v42
	v_and_b32_e32 v49, 0x80000000, v49
	v_lshl_add_u32 v40, v40, 23, v48
	v_or3_b32 v40, v49, v40, v42
	v_lshrrev_b32_e32 v51, 16, v40
.LBB948_289:                            ;   in Loop: Header=BB948_213 Depth=1
	s_or_b64 exec, exec, s[16:17]
.LBB948_290:                            ;   in Loop: Header=BB948_213 Depth=1
	s_or_b64 exec, exec, s[14:15]
.LBB948_291:                            ;   in Loop: Header=BB948_213 Depth=1
	s_or_b64 exec, exec, s[12:13]
	v_lshrrev_b16_e32 v40, 8, v38
	v_cmp_ne_u16_e32 vcc, 0, v40
	v_mov_b32_e32 v62, 0
	v_mov_b32_e32 v53, 0
	s_and_saveexec_b64 s[12:13], vcc
	s_cbranch_execz .LBB948_297
; %bb.292:                              ;   in Loop: Header=BB948_213 Depth=1
	v_cmp_ne_u16_e32 vcc, s9, v40
	v_mov_b32_e32 v53, 0xffff8000
	s_and_saveexec_b64 s[14:15], vcc
	s_cbranch_execz .LBB948_296
; %bb.293:                              ;   in Loop: Header=BB948_213 Depth=1
	v_and_b32_e32 v42, 0x7f, v40
	v_cmp_ne_u32_e32 vcc, s21, v42
	v_mov_b32_e32 v53, 0x7f80
	s_and_saveexec_b64 s[16:17], vcc
	s_cbranch_execz .LBB948_295
; %bb.294:                              ;   in Loop: Header=BB948_213 Depth=1
	v_and_b32_e32 v49, 7, v40
	v_ffbh_u32_e32 v63, v49
	v_min_u32_e32 v63, 32, v63
	v_subrev_u32_e32 v64, 28, v63
	v_lshlrev_b64 v[64:65], v64, v[40:41]
	v_lshrrev_b32_e32 v53, 3, v42
	v_sub_u32_e32 v40, 29, v63
	v_and_b32_e32 v63, 7, v64
	v_cmp_gt_u32_e32 vcc, 8, v42
	v_cndmask_b32_e32 v40, v53, v40, vcc
	v_cndmask_b32_e32 v42, v49, v63, vcc
	v_lshlrev_b32_e32 v49, 16, v38
	v_lshlrev_b32_e32 v42, 20, v42
	v_and_b32_e32 v49, 0x80000000, v49
	v_lshl_add_u32 v40, v40, 23, v48
	v_or3_b32 v40, v49, v40, v42
	v_lshrrev_b32_e32 v53, 16, v40
.LBB948_295:                            ;   in Loop: Header=BB948_213 Depth=1
	s_or_b64 exec, exec, s[16:17]
.LBB948_296:                            ;   in Loop: Header=BB948_213 Depth=1
	s_or_b64 exec, exec, s[14:15]
.LBB948_297:                            ;   in Loop: Header=BB948_213 Depth=1
	s_or_b64 exec, exec, s[12:13]
	v_lshrrev_b32_e32 v40, 16, v38
	v_cmp_ne_u16_sdwa s[14:15], v40, v47 src0_sel:BYTE_0 src1_sel:DWORD
	s_and_saveexec_b64 s[12:13], s[14:15]
	s_cbranch_execz .LBB948_303
; %bb.298:                              ;   in Loop: Header=BB948_213 Depth=1
	v_cmp_ne_u16_sdwa s[16:17], v40, s9 src0_sel:BYTE_0 src1_sel:DWORD
	v_mov_b32_e32 v62, 0xffff8000
	s_and_saveexec_b64 s[14:15], s[16:17]
	s_cbranch_execz .LBB948_302
; %bb.299:                              ;   in Loop: Header=BB948_213 Depth=1
	v_bfe_u32 v42, v38, 16, 7
	v_cmp_ne_u32_e32 vcc, s21, v42
	v_mov_b32_e32 v62, 0x7f80
	s_and_saveexec_b64 s[16:17], vcc
	s_cbranch_execz .LBB948_301
; %bb.300:                              ;   in Loop: Header=BB948_213 Depth=1
	v_and_b32_e32 v49, 7, v40
	v_ffbh_u32_e32 v62, v49
	v_min_u32_e32 v65, 32, v62
	v_subrev_u32_e32 v62, 28, v65
	v_lshlrev_b64 v[62:63], v62, v[40:41]
	v_lshrrev_b32_e32 v64, 3, v42
	v_sub_u32_e32 v63, 29, v65
	v_and_b32_e32 v62, 7, v62
	v_cmp_gt_u32_e32 vcc, 8, v42
	v_cndmask_b32_e32 v42, v64, v63, vcc
	v_cndmask_b32_e32 v49, v49, v62, vcc
	v_lshlrev_b32_e32 v40, 24, v40
	v_lshlrev_b32_e32 v49, 20, v49
	v_and_b32_e32 v40, 0x80000000, v40
	v_lshl_add_u32 v42, v42, 23, v48
	v_or3_b32 v40, v40, v42, v49
	v_lshrrev_b32_e32 v62, 16, v40
.LBB948_301:                            ;   in Loop: Header=BB948_213 Depth=1
	s_or_b64 exec, exec, s[16:17]
.LBB948_302:                            ;   in Loop: Header=BB948_213 Depth=1
	s_or_b64 exec, exec, s[14:15]
.LBB948_303:                            ;   in Loop: Header=BB948_213 Depth=1
	s_or_b64 exec, exec, s[12:13]
	v_cmp_lt_u32_e32 vcc, s22, v38
	v_mov_b32_e32 v49, 0
	v_mov_b32_e32 v63, 0
	s_and_saveexec_b64 s[12:13], vcc
	s_cbranch_execz .LBB948_309
; %bb.304:                              ;   in Loop: Header=BB948_213 Depth=1
	v_lshrrev_b32_e32 v40, 24, v38
	v_cmp_ne_u32_e32 vcc, s9, v40
	v_mov_b32_e32 v63, 0xffff8000
	s_and_saveexec_b64 s[14:15], vcc
	s_cbranch_execz .LBB948_308
; %bb.305:                              ;   in Loop: Header=BB948_213 Depth=1
	v_bfe_u32 v38, v38, 24, 7
	v_cmp_ne_u32_e32 vcc, s21, v38
	v_mov_b32_e32 v63, 0x7f80
	s_and_saveexec_b64 s[16:17], vcc
	s_cbranch_execz .LBB948_307
; %bb.306:                              ;   in Loop: Header=BB948_213 Depth=1
	v_and_b32_e32 v42, 7, v40
	v_ffbh_u32_e32 v64, v42
	v_min_u32_e32 v66, 32, v64
	v_subrev_u32_e32 v64, 28, v66
	v_lshlrev_b64 v[64:65], v64, v[40:41]
	v_lshrrev_b32_e32 v63, 3, v38
	v_sub_u32_e32 v65, 29, v66
	v_and_b32_e32 v64, 7, v64
	v_cmp_gt_u32_e32 vcc, 8, v38
	v_cndmask_b32_e32 v38, v63, v65, vcc
	v_cndmask_b32_e32 v42, v42, v64, vcc
	v_lshlrev_b32_e32 v40, 24, v40
	v_lshlrev_b32_e32 v42, 20, v42
	v_and_b32_e32 v40, 0x80000000, v40
	v_lshl_add_u32 v38, v38, 23, v48
	v_or3_b32 v38, v40, v38, v42
	v_lshrrev_b32_e32 v63, 16, v38
.LBB948_307:                            ;   in Loop: Header=BB948_213 Depth=1
	s_or_b64 exec, exec, s[16:17]
.LBB948_308:                            ;   in Loop: Header=BB948_213 Depth=1
	s_or_b64 exec, exec, s[14:15]
.LBB948_309:                            ;   in Loop: Header=BB948_213 Depth=1
	s_or_b64 exec, exec, s[12:13]
	v_perm_b32 v64, v46, v44, s23
	buffer_load_dword v44, v61, s[0:3], 0 offen
	buffer_load_dword v42, v61, s[0:3], 0 offen offset:4
	buffer_load_dword v40, v61, s[0:3], 0 offen offset:8
	;; [unrolled: 1-line block ×3, first 2 shown]
	v_perm_b32 v65, v52, v50, s23
	v_perm_b32 v63, v63, v62, s23
	;; [unrolled: 1-line block ×3, first 2 shown]
	v_mfma_f32_16x16x16bf16_1k v[34:37], v[64:65], v[6:7], v[34:37]
	s_waitcnt vmcnt(3)
	v_cmp_ne_u16_sdwa s[14:15], v44, v47 src0_sel:BYTE_0 src1_sel:DWORD
	v_mfma_f32_16x16x16bf16_1k v[34:37], v[62:63], v[8:9], v[34:37]
	s_and_saveexec_b64 s[12:13], s[14:15]
	s_cbranch_execz .LBB948_315
; %bb.310:                              ;   in Loop: Header=BB948_213 Depth=1
	v_cmp_ne_u16_sdwa s[16:17], v44, s9 src0_sel:BYTE_0 src1_sel:DWORD
	v_mov_b32_e32 v49, 0xffff8000
	s_and_saveexec_b64 s[14:15], s[16:17]
	s_cbranch_execz .LBB948_314
; %bb.311:                              ;   in Loop: Header=BB948_213 Depth=1
	v_and_b32_e32 v46, 0x7f, v44
	v_cmp_ne_u32_e32 vcc, s21, v46
	v_mov_b32_e32 v49, 0x7f80
	s_and_saveexec_b64 s[16:17], vcc
	s_cbranch_execz .LBB948_313
; %bb.312:                              ;   in Loop: Header=BB948_213 Depth=1
	v_and_b32_e32 v49, 7, v44
	v_ffbh_u32_e32 v50, v49
	v_min_u32_e32 v53, 32, v50
	v_subrev_u32_e32 v50, 28, v53
	v_lshlrev_b64 v[50:51], v50, v[44:45]
	v_lshrrev_b32_e32 v52, 3, v46
	v_sub_u32_e32 v51, 29, v53
	v_and_b32_e32 v50, 7, v50
	v_cmp_gt_u32_e32 vcc, 8, v46
	v_cndmask_b32_e32 v46, v52, v51, vcc
	v_cndmask_b32_e32 v49, v49, v50, vcc
	v_lshlrev_b32_e32 v50, 24, v44
	v_lshlrev_b32_e32 v49, 20, v49
	v_and_b32_e32 v50, 0x80000000, v50
	v_lshl_add_u32 v46, v46, 23, v48
	v_or3_b32 v46, v50, v46, v49
	v_lshrrev_b32_e32 v49, 16, v46
.LBB948_313:                            ;   in Loop: Header=BB948_213 Depth=1
	s_or_b64 exec, exec, s[16:17]
.LBB948_314:                            ;   in Loop: Header=BB948_213 Depth=1
	s_or_b64 exec, exec, s[14:15]
.LBB948_315:                            ;   in Loop: Header=BB948_213 Depth=1
	s_or_b64 exec, exec, s[12:13]
	v_lshrrev_b16_e32 v46, 8, v44
	v_cmp_ne_u16_e32 vcc, 0, v46
	v_mov_b32_e32 v51, 0
	v_mov_b32_e32 v50, 0
	s_and_saveexec_b64 s[12:13], vcc
	s_cbranch_execz .LBB948_321
; %bb.316:                              ;   in Loop: Header=BB948_213 Depth=1
	v_cmp_ne_u16_e32 vcc, s9, v46
	v_mov_b32_e32 v50, 0xffff8000
	s_and_saveexec_b64 s[14:15], vcc
	s_cbranch_execz .LBB948_320
; %bb.317:                              ;   in Loop: Header=BB948_213 Depth=1
	v_and_b32_e32 v52, 0x7f, v46
	v_cmp_ne_u32_e32 vcc, s21, v52
	v_mov_b32_e32 v50, 0x7f80
	s_and_saveexec_b64 s[16:17], vcc
	s_cbranch_execz .LBB948_319
; %bb.318:                              ;   in Loop: Header=BB948_213 Depth=1
	v_and_b32_e32 v50, 7, v46
	v_ffbh_u32_e32 v61, v50
	v_min_u32_e32 v61, 32, v61
	v_subrev_u32_e32 v62, 28, v61
	v_lshlrev_b64 v[62:63], v62, v[46:47]
	v_lshrrev_b32_e32 v53, 3, v52
	v_sub_u32_e32 v46, 29, v61
	v_and_b32_e32 v61, 7, v62
	v_cmp_gt_u32_e32 vcc, 8, v52
	v_cndmask_b32_e32 v46, v53, v46, vcc
	v_cndmask_b32_e32 v50, v50, v61, vcc
	v_lshlrev_b32_e32 v52, 16, v44
	v_lshlrev_b32_e32 v50, 20, v50
	v_and_b32_e32 v52, 0x80000000, v52
	v_lshl_add_u32 v46, v46, 23, v48
	v_or3_b32 v46, v52, v46, v50
	v_lshrrev_b32_e32 v50, 16, v46
.LBB948_319:                            ;   in Loop: Header=BB948_213 Depth=1
	s_or_b64 exec, exec, s[16:17]
.LBB948_320:                            ;   in Loop: Header=BB948_213 Depth=1
	s_or_b64 exec, exec, s[14:15]
.LBB948_321:                            ;   in Loop: Header=BB948_213 Depth=1
	s_or_b64 exec, exec, s[12:13]
	v_lshrrev_b32_e32 v46, 16, v44
	v_cmp_ne_u16_sdwa s[14:15], v46, v47 src0_sel:BYTE_0 src1_sel:DWORD
	s_and_saveexec_b64 s[12:13], s[14:15]
	s_cbranch_execz .LBB948_327
; %bb.322:                              ;   in Loop: Header=BB948_213 Depth=1
	v_cmp_ne_u16_sdwa s[16:17], v46, s9 src0_sel:BYTE_0 src1_sel:DWORD
	v_mov_b32_e32 v51, 0xffff8000
	s_and_saveexec_b64 s[14:15], s[16:17]
	s_cbranch_execz .LBB948_326
; %bb.323:                              ;   in Loop: Header=BB948_213 Depth=1
	v_bfe_u32 v52, v44, 16, 7
	v_cmp_ne_u32_e32 vcc, s21, v52
	v_mov_b32_e32 v51, 0x7f80
	s_and_saveexec_b64 s[16:17], vcc
	s_cbranch_execz .LBB948_325
; %bb.324:                              ;   in Loop: Header=BB948_213 Depth=1
	v_and_b32_e32 v51, 7, v46
	v_ffbh_u32_e32 v61, v51
	v_min_u32_e32 v61, 32, v61
	v_subrev_u32_e32 v62, 28, v61
	v_lshlrev_b64 v[62:63], v62, v[46:47]
	v_lshrrev_b32_e32 v53, 3, v52
	v_sub_u32_e32 v61, 29, v61
	v_and_b32_e32 v62, 7, v62
	v_cmp_gt_u32_e32 vcc, 8, v52
	v_cndmask_b32_e32 v52, v53, v61, vcc
	v_cndmask_b32_e32 v51, v51, v62, vcc
	v_lshlrev_b32_e32 v46, 24, v46
	v_lshlrev_b32_e32 v51, 20, v51
	v_and_b32_e32 v46, 0x80000000, v46
	v_lshl_add_u32 v52, v52, 23, v48
	v_or3_b32 v46, v46, v52, v51
	v_lshrrev_b32_e32 v51, 16, v46
.LBB948_325:                            ;   in Loop: Header=BB948_213 Depth=1
	s_or_b64 exec, exec, s[16:17]
.LBB948_326:                            ;   in Loop: Header=BB948_213 Depth=1
	s_or_b64 exec, exec, s[14:15]
.LBB948_327:                            ;   in Loop: Header=BB948_213 Depth=1
	s_or_b64 exec, exec, s[12:13]
	v_cmp_lt_u32_e32 vcc, s22, v44
	v_mov_b32_e32 v52, 0
	v_mov_b32_e32 v53, 0
	s_and_saveexec_b64 s[12:13], vcc
	s_cbranch_execz .LBB948_333
; %bb.328:                              ;   in Loop: Header=BB948_213 Depth=1
	v_lshrrev_b32_e32 v46, 24, v44
	v_cmp_ne_u32_e32 vcc, s9, v46
	v_mov_b32_e32 v53, 0xffff8000
	s_and_saveexec_b64 s[14:15], vcc
	s_cbranch_execz .LBB948_332
; %bb.329:                              ;   in Loop: Header=BB948_213 Depth=1
	v_bfe_u32 v44, v44, 24, 7
	v_cmp_ne_u32_e32 vcc, s21, v44
	v_mov_b32_e32 v53, 0x7f80
	s_and_saveexec_b64 s[16:17], vcc
	s_cbranch_execz .LBB948_331
; %bb.330:                              ;   in Loop: Header=BB948_213 Depth=1
	v_and_b32_e32 v53, 7, v46
	v_ffbh_u32_e32 v62, v53
	v_min_u32_e32 v64, 32, v62
	v_subrev_u32_e32 v62, 28, v64
	v_lshlrev_b64 v[62:63], v62, v[46:47]
	v_lshrrev_b32_e32 v61, 3, v44
	v_sub_u32_e32 v63, 29, v64
	v_and_b32_e32 v62, 7, v62
	v_cmp_gt_u32_e32 vcc, 8, v44
	v_cndmask_b32_e32 v44, v61, v63, vcc
	v_cndmask_b32_e32 v53, v53, v62, vcc
	v_lshlrev_b32_e32 v46, 24, v46
	v_lshlrev_b32_e32 v53, 20, v53
	v_and_b32_e32 v46, 0x80000000, v46
	v_lshl_add_u32 v44, v44, 23, v48
	v_or3_b32 v44, v46, v44, v53
	v_lshrrev_b32_e32 v53, 16, v44
.LBB948_331:                            ;   in Loop: Header=BB948_213 Depth=1
	s_or_b64 exec, exec, s[16:17]
.LBB948_332:                            ;   in Loop: Header=BB948_213 Depth=1
	s_or_b64 exec, exec, s[14:15]
.LBB948_333:                            ;   in Loop: Header=BB948_213 Depth=1
	s_or_b64 exec, exec, s[12:13]
	s_waitcnt vmcnt(2)
	v_cmp_ne_u16_sdwa s[14:15], v42, v47 src0_sel:BYTE_0 src1_sel:DWORD
	s_and_saveexec_b64 s[12:13], s[14:15]
	s_cbranch_execz .LBB948_339
; %bb.334:                              ;   in Loop: Header=BB948_213 Depth=1
	v_cmp_ne_u16_sdwa s[16:17], v42, s9 src0_sel:BYTE_0 src1_sel:DWORD
	v_mov_b32_e32 v52, 0xffff8000
	s_and_saveexec_b64 s[14:15], s[16:17]
	s_cbranch_execz .LBB948_338
; %bb.335:                              ;   in Loop: Header=BB948_213 Depth=1
	v_and_b32_e32 v44, 0x7f, v42
	v_cmp_ne_u32_e32 vcc, s21, v44
	v_mov_b32_e32 v52, 0x7f80
	s_and_saveexec_b64 s[16:17], vcc
	s_cbranch_execz .LBB948_337
; %bb.336:                              ;   in Loop: Header=BB948_213 Depth=1
	v_and_b32_e32 v46, 7, v42
	v_ffbh_u32_e32 v61, v46
	v_min_u32_e32 v61, 32, v61
	v_subrev_u32_e32 v62, 28, v61
	v_lshlrev_b64 v[62:63], v62, v[42:43]
	v_lshrrev_b32_e32 v52, 3, v44
	v_sub_u32_e32 v61, 29, v61
	v_and_b32_e32 v62, 7, v62
	v_cmp_gt_u32_e32 vcc, 8, v44
	v_cndmask_b32_e32 v44, v52, v61, vcc
	v_cndmask_b32_e32 v46, v46, v62, vcc
	v_lshlrev_b32_e32 v52, 24, v42
	v_lshlrev_b32_e32 v46, 20, v46
	v_and_b32_e32 v52, 0x80000000, v52
	v_lshl_add_u32 v44, v44, 23, v48
	v_or3_b32 v44, v52, v44, v46
	v_lshrrev_b32_e32 v52, 16, v44
.LBB948_337:                            ;   in Loop: Header=BB948_213 Depth=1
	s_or_b64 exec, exec, s[16:17]
.LBB948_338:                            ;   in Loop: Header=BB948_213 Depth=1
	s_or_b64 exec, exec, s[14:15]
.LBB948_339:                            ;   in Loop: Header=BB948_213 Depth=1
	s_or_b64 exec, exec, s[12:13]
	v_lshrrev_b16_e32 v44, 8, v42
	v_cmp_ne_u16_e32 vcc, 0, v44
	v_mov_b32_e32 v62, 0
	v_mov_b32_e32 v61, 0
	s_and_saveexec_b64 s[12:13], vcc
	s_cbranch_execz .LBB948_345
; %bb.340:                              ;   in Loop: Header=BB948_213 Depth=1
	v_cmp_ne_u16_e32 vcc, s9, v44
	v_mov_b32_e32 v61, 0xffff8000
	s_and_saveexec_b64 s[14:15], vcc
	s_cbranch_execz .LBB948_344
; %bb.341:                              ;   in Loop: Header=BB948_213 Depth=1
	v_and_b32_e32 v46, 0x7f, v44
	v_cmp_ne_u32_e32 vcc, s21, v46
	v_mov_b32_e32 v61, 0x7f80
	s_and_saveexec_b64 s[16:17], vcc
	s_cbranch_execz .LBB948_343
; %bb.342:                              ;   in Loop: Header=BB948_213 Depth=1
	v_and_b32_e32 v61, 7, v44
	v_ffbh_u32_e32 v64, v61
	v_min_u32_e32 v66, 32, v64
	v_subrev_u32_e32 v64, 28, v66
	v_lshlrev_b64 v[64:65], v64, v[44:45]
	v_lshrrev_b32_e32 v63, 3, v46
	v_sub_u32_e32 v44, 29, v66
	v_and_b32_e32 v64, 7, v64
	v_cmp_gt_u32_e32 vcc, 8, v46
	v_cndmask_b32_e32 v44, v63, v44, vcc
	v_cndmask_b32_e32 v46, v61, v64, vcc
	v_lshlrev_b32_e32 v61, 16, v42
	v_lshlrev_b32_e32 v46, 20, v46
	v_and_b32_e32 v61, 0x80000000, v61
	v_lshl_add_u32 v44, v44, 23, v48
	v_or3_b32 v44, v61, v44, v46
	v_lshrrev_b32_e32 v61, 16, v44
.LBB948_343:                            ;   in Loop: Header=BB948_213 Depth=1
	s_or_b64 exec, exec, s[16:17]
.LBB948_344:                            ;   in Loop: Header=BB948_213 Depth=1
	s_or_b64 exec, exec, s[14:15]
.LBB948_345:                            ;   in Loop: Header=BB948_213 Depth=1
	s_or_b64 exec, exec, s[12:13]
	v_lshrrev_b32_e32 v44, 16, v42
	v_cmp_ne_u16_sdwa s[14:15], v44, v47 src0_sel:BYTE_0 src1_sel:DWORD
	s_and_saveexec_b64 s[12:13], s[14:15]
	s_cbranch_execz .LBB948_351
; %bb.346:                              ;   in Loop: Header=BB948_213 Depth=1
	v_cmp_ne_u16_sdwa s[16:17], v44, s9 src0_sel:BYTE_0 src1_sel:DWORD
	v_mov_b32_e32 v62, 0xffff8000
	s_and_saveexec_b64 s[14:15], s[16:17]
	s_cbranch_execz .LBB948_350
; %bb.347:                              ;   in Loop: Header=BB948_213 Depth=1
	v_bfe_u32 v46, v42, 16, 7
	v_cmp_ne_u32_e32 vcc, s21, v46
	v_mov_b32_e32 v62, 0x7f80
	s_and_saveexec_b64 s[16:17], vcc
	s_cbranch_execz .LBB948_349
; %bb.348:                              ;   in Loop: Header=BB948_213 Depth=1
	v_and_b32_e32 v64, 7, v44
	v_ffbh_u32_e32 v62, v64
	v_min_u32_e32 v66, 32, v62
	v_subrev_u32_e32 v62, 28, v66
	v_lshlrev_b64 v[62:63], v62, v[44:45]
	v_lshrrev_b32_e32 v65, 3, v46
	v_sub_u32_e32 v63, 29, v66
	v_and_b32_e32 v62, 7, v62
	v_cmp_gt_u32_e32 vcc, 8, v46
	v_cndmask_b32_e32 v46, v65, v63, vcc
	v_cndmask_b32_e32 v62, v64, v62, vcc
	v_lshlrev_b32_e32 v44, 24, v44
	v_lshlrev_b32_e32 v62, 20, v62
	v_and_b32_e32 v44, 0x80000000, v44
	v_lshl_add_u32 v46, v46, 23, v48
	v_or3_b32 v44, v44, v46, v62
	v_lshrrev_b32_e32 v62, 16, v44
.LBB948_349:                            ;   in Loop: Header=BB948_213 Depth=1
	s_or_b64 exec, exec, s[16:17]
.LBB948_350:                            ;   in Loop: Header=BB948_213 Depth=1
	s_or_b64 exec, exec, s[14:15]
.LBB948_351:                            ;   in Loop: Header=BB948_213 Depth=1
	s_or_b64 exec, exec, s[12:13]
	v_cmp_lt_u32_e32 vcc, s22, v42
	v_mov_b32_e32 v46, 0
	v_mov_b32_e32 v63, 0
	s_and_saveexec_b64 s[12:13], vcc
	s_cbranch_execz .LBB948_357
; %bb.352:                              ;   in Loop: Header=BB948_213 Depth=1
	v_lshrrev_b32_e32 v44, 24, v42
	v_cmp_ne_u32_e32 vcc, s9, v44
	v_mov_b32_e32 v63, 0xffff8000
	s_and_saveexec_b64 s[14:15], vcc
	s_cbranch_execz .LBB948_356
; %bb.353:                              ;   in Loop: Header=BB948_213 Depth=1
	v_bfe_u32 v42, v42, 24, 7
	v_cmp_ne_u32_e32 vcc, s21, v42
	v_mov_b32_e32 v63, 0x7f80
	s_and_saveexec_b64 s[16:17], vcc
	s_cbranch_execz .LBB948_355
; %bb.354:                              ;   in Loop: Header=BB948_213 Depth=1
	v_and_b32_e32 v63, 7, v44
	v_ffbh_u32_e32 v64, v63
	v_min_u32_e32 v67, 32, v64
	v_subrev_u32_e32 v64, 28, v67
	v_lshlrev_b64 v[64:65], v64, v[44:45]
	v_lshrrev_b32_e32 v66, 3, v42
	v_sub_u32_e32 v65, 29, v67
	v_and_b32_e32 v64, 7, v64
	v_cmp_gt_u32_e32 vcc, 8, v42
	v_cndmask_b32_e32 v42, v66, v65, vcc
	v_cndmask_b32_e32 v63, v63, v64, vcc
	v_lshlrev_b32_e32 v44, 24, v44
	v_lshlrev_b32_e32 v63, 20, v63
	v_and_b32_e32 v44, 0x80000000, v44
	v_lshl_add_u32 v42, v42, 23, v48
	v_or3_b32 v42, v44, v42, v63
	v_lshrrev_b32_e32 v63, 16, v42
.LBB948_355:                            ;   in Loop: Header=BB948_213 Depth=1
	s_or_b64 exec, exec, s[16:17]
.LBB948_356:                            ;   in Loop: Header=BB948_213 Depth=1
	s_or_b64 exec, exec, s[14:15]
.LBB948_357:                            ;   in Loop: Header=BB948_213 Depth=1
	s_or_b64 exec, exec, s[12:13]
	v_perm_b32 v51, v53, v51, s23
	v_perm_b32 v50, v50, v49, s23
	s_waitcnt vmcnt(1)
	v_cmp_ne_u16_sdwa s[14:15], v40, v47 src0_sel:BYTE_0 src1_sel:DWORD
	v_mfma_f32_16x16x16bf16_1k v[34:37], v[50:51], v[10:11], v[34:37]
	v_perm_b32 v51, v63, v62, s23
	v_perm_b32 v50, v61, v52, s23
	s_nop 1
	v_mfma_f32_16x16x16bf16_1k v[34:37], v[50:51], v[12:13], v[34:37]
	s_and_saveexec_b64 s[12:13], s[14:15]
	s_cbranch_execz .LBB948_363
; %bb.358:                              ;   in Loop: Header=BB948_213 Depth=1
	v_cmp_ne_u16_sdwa s[16:17], v40, s9 src0_sel:BYTE_0 src1_sel:DWORD
	v_mov_b32_e32 v46, 0xffff8000
	s_and_saveexec_b64 s[14:15], s[16:17]
	s_cbranch_execz .LBB948_362
; %bb.359:                              ;   in Loop: Header=BB948_213 Depth=1
	v_and_b32_e32 v42, 0x7f, v40
	v_cmp_ne_u32_e32 vcc, s21, v42
	v_mov_b32_e32 v46, 0x7f80
	s_and_saveexec_b64 s[16:17], vcc
	s_cbranch_execz .LBB948_361
; %bb.360:                              ;   in Loop: Header=BB948_213 Depth=1
	v_and_b32_e32 v44, 7, v40
	v_ffbh_u32_e32 v49, v44
	v_min_u32_e32 v49, 32, v49
	v_subrev_u32_e32 v50, 28, v49
	v_lshlrev_b64 v[50:51], v50, v[40:41]
	v_lshrrev_b32_e32 v46, 3, v42
	v_sub_u32_e32 v49, 29, v49
	v_and_b32_e32 v50, 7, v50
	v_cmp_gt_u32_e32 vcc, 8, v42
	v_cndmask_b32_e32 v42, v46, v49, vcc
	v_cndmask_b32_e32 v44, v44, v50, vcc
	v_lshlrev_b32_e32 v46, 24, v40
	v_lshlrev_b32_e32 v44, 20, v44
	v_and_b32_e32 v46, 0x80000000, v46
	v_lshl_add_u32 v42, v42, 23, v48
	v_or3_b32 v42, v46, v42, v44
	v_lshrrev_b32_e32 v46, 16, v42
.LBB948_361:                            ;   in Loop: Header=BB948_213 Depth=1
	s_or_b64 exec, exec, s[16:17]
.LBB948_362:                            ;   in Loop: Header=BB948_213 Depth=1
	s_or_b64 exec, exec, s[14:15]
.LBB948_363:                            ;   in Loop: Header=BB948_213 Depth=1
	s_or_b64 exec, exec, s[12:13]
	v_lshrrev_b16_e32 v42, 8, v40
	v_cmp_ne_u16_e32 vcc, 0, v42
	v_mov_b32_e32 v50, 0
	v_mov_b32_e32 v44, 0
	s_and_saveexec_b64 s[12:13], vcc
	s_cbranch_execz .LBB948_369
; %bb.364:                              ;   in Loop: Header=BB948_213 Depth=1
	v_cmp_ne_u16_e32 vcc, s9, v42
	v_mov_b32_e32 v44, 0xffff8000
	s_and_saveexec_b64 s[14:15], vcc
	s_cbranch_execz .LBB948_368
; %bb.365:                              ;   in Loop: Header=BB948_213 Depth=1
	v_and_b32_e32 v49, 0x7f, v42
	v_cmp_ne_u32_e32 vcc, s21, v49
	v_mov_b32_e32 v44, 0x7f80
	s_and_saveexec_b64 s[16:17], vcc
	s_cbranch_execz .LBB948_367
; %bb.366:                              ;   in Loop: Header=BB948_213 Depth=1
	v_and_b32_e32 v44, 7, v42
	v_ffbh_u32_e32 v52, v44
	v_min_u32_e32 v61, 32, v52
	v_subrev_u32_e32 v52, 28, v61
	v_lshlrev_b64 v[52:53], v52, v[42:43]
	v_lshrrev_b32_e32 v51, 3, v49
	v_sub_u32_e32 v42, 29, v61
	v_and_b32_e32 v52, 7, v52
	v_cmp_gt_u32_e32 vcc, 8, v49
	v_cndmask_b32_e32 v42, v51, v42, vcc
	v_cndmask_b32_e32 v44, v44, v52, vcc
	v_lshlrev_b32_e32 v49, 16, v40
	v_lshlrev_b32_e32 v44, 20, v44
	v_and_b32_e32 v49, 0x80000000, v49
	v_lshl_add_u32 v42, v42, 23, v48
	v_or3_b32 v42, v49, v42, v44
	v_lshrrev_b32_e32 v44, 16, v42
.LBB948_367:                            ;   in Loop: Header=BB948_213 Depth=1
	s_or_b64 exec, exec, s[16:17]
.LBB948_368:                            ;   in Loop: Header=BB948_213 Depth=1
	s_or_b64 exec, exec, s[14:15]
.LBB948_369:                            ;   in Loop: Header=BB948_213 Depth=1
	s_or_b64 exec, exec, s[12:13]
	v_lshrrev_b32_e32 v42, 16, v40
	v_cmp_ne_u16_sdwa s[14:15], v42, v47 src0_sel:BYTE_0 src1_sel:DWORD
	s_and_saveexec_b64 s[12:13], s[14:15]
	s_cbranch_execz .LBB948_375
; %bb.370:                              ;   in Loop: Header=BB948_213 Depth=1
	v_cmp_ne_u16_sdwa s[16:17], v42, s9 src0_sel:BYTE_0 src1_sel:DWORD
	v_mov_b32_e32 v50, 0xffff8000
	s_and_saveexec_b64 s[14:15], s[16:17]
	s_cbranch_execz .LBB948_374
; %bb.371:                              ;   in Loop: Header=BB948_213 Depth=1
	v_bfe_u32 v49, v40, 16, 7
	v_cmp_ne_u32_e32 vcc, s21, v49
	v_mov_b32_e32 v50, 0x7f80
	s_and_saveexec_b64 s[16:17], vcc
	s_cbranch_execz .LBB948_373
; %bb.372:                              ;   in Loop: Header=BB948_213 Depth=1
	v_and_b32_e32 v52, 7, v42
	v_ffbh_u32_e32 v50, v52
	v_min_u32_e32 v61, 32, v50
	v_subrev_u32_e32 v50, 28, v61
	v_lshlrev_b64 v[50:51], v50, v[42:43]
	v_lshrrev_b32_e32 v53, 3, v49
	v_sub_u32_e32 v51, 29, v61
	v_and_b32_e32 v50, 7, v50
	v_cmp_gt_u32_e32 vcc, 8, v49
	v_cndmask_b32_e32 v49, v53, v51, vcc
	v_cndmask_b32_e32 v50, v52, v50, vcc
	v_lshlrev_b32_e32 v42, 24, v42
	v_lshlrev_b32_e32 v50, 20, v50
	v_and_b32_e32 v42, 0x80000000, v42
	v_lshl_add_u32 v49, v49, 23, v48
	v_or3_b32 v42, v42, v49, v50
	v_lshrrev_b32_e32 v50, 16, v42
.LBB948_373:                            ;   in Loop: Header=BB948_213 Depth=1
	s_or_b64 exec, exec, s[16:17]
.LBB948_374:                            ;   in Loop: Header=BB948_213 Depth=1
	s_or_b64 exec, exec, s[14:15]
.LBB948_375:                            ;   in Loop: Header=BB948_213 Depth=1
	s_or_b64 exec, exec, s[12:13]
	v_cmp_lt_u32_e32 vcc, s22, v40
	v_mov_b32_e32 v51, 0
	v_mov_b32_e32 v52, 0
	s_and_saveexec_b64 s[12:13], vcc
	s_cbranch_execz .LBB948_381
; %bb.376:                              ;   in Loop: Header=BB948_213 Depth=1
	v_lshrrev_b32_e32 v42, 24, v40
	v_cmp_ne_u32_e32 vcc, s9, v42
	v_mov_b32_e32 v52, 0xffff8000
	s_and_saveexec_b64 s[14:15], vcc
	s_cbranch_execz .LBB948_380
; %bb.377:                              ;   in Loop: Header=BB948_213 Depth=1
	v_bfe_u32 v40, v40, 24, 7
	v_cmp_ne_u32_e32 vcc, s21, v40
	v_mov_b32_e32 v52, 0x7f80
	s_and_saveexec_b64 s[16:17], vcc
	s_cbranch_execz .LBB948_379
; %bb.378:                              ;   in Loop: Header=BB948_213 Depth=1
	v_and_b32_e32 v49, 7, v42
	v_ffbh_u32_e32 v52, v49
	v_min_u32_e32 v62, 32, v52
	v_subrev_u32_e32 v52, 28, v62
	v_lshlrev_b64 v[52:53], v52, v[42:43]
	v_lshrrev_b32_e32 v61, 3, v40
	v_sub_u32_e32 v53, 29, v62
	v_and_b32_e32 v52, 7, v52
	v_cmp_gt_u32_e32 vcc, 8, v40
	v_cndmask_b32_e32 v40, v61, v53, vcc
	v_cndmask_b32_e32 v49, v49, v52, vcc
	v_lshlrev_b32_e32 v42, 24, v42
	v_lshlrev_b32_e32 v49, 20, v49
	v_and_b32_e32 v42, 0x80000000, v42
	v_lshl_add_u32 v40, v40, 23, v48
	v_or3_b32 v40, v42, v40, v49
	v_lshrrev_b32_e32 v52, 16, v40
.LBB948_379:                            ;   in Loop: Header=BB948_213 Depth=1
	s_or_b64 exec, exec, s[16:17]
.LBB948_380:                            ;   in Loop: Header=BB948_213 Depth=1
	s_or_b64 exec, exec, s[14:15]
.LBB948_381:                            ;   in Loop: Header=BB948_213 Depth=1
	s_or_b64 exec, exec, s[12:13]
	s_waitcnt vmcnt(0)
	v_cmp_ne_u16_sdwa s[14:15], v38, v47 src0_sel:BYTE_0 src1_sel:DWORD
	s_and_saveexec_b64 s[12:13], s[14:15]
	s_cbranch_execz .LBB948_387
; %bb.382:                              ;   in Loop: Header=BB948_213 Depth=1
	v_cmp_ne_u16_sdwa s[16:17], v38, s9 src0_sel:BYTE_0 src1_sel:DWORD
	v_mov_b32_e32 v51, 0xffff8000
	s_and_saveexec_b64 s[14:15], s[16:17]
	s_cbranch_execz .LBB948_386
; %bb.383:                              ;   in Loop: Header=BB948_213 Depth=1
	v_and_b32_e32 v40, 0x7f, v38
	v_cmp_ne_u32_e32 vcc, s21, v40
	v_mov_b32_e32 v51, 0x7f80
	s_and_saveexec_b64 s[16:17], vcc
	s_cbranch_execz .LBB948_385
; %bb.384:                              ;   in Loop: Header=BB948_213 Depth=1
	v_and_b32_e32 v42, 7, v38
	v_ffbh_u32_e32 v51, v42
	v_min_u32_e32 v51, 32, v51
	v_subrev_u32_e32 v53, 28, v51
	v_lshlrev_b64 v[62:63], v53, v[38:39]
	v_lshrrev_b32_e32 v49, 3, v40
	v_sub_u32_e32 v51, 29, v51
	v_and_b32_e32 v53, 7, v62
	v_cmp_gt_u32_e32 vcc, 8, v40
	v_cndmask_b32_e32 v40, v49, v51, vcc
	v_cndmask_b32_e32 v42, v42, v53, vcc
	v_lshlrev_b32_e32 v49, 24, v38
	v_lshlrev_b32_e32 v42, 20, v42
	v_and_b32_e32 v49, 0x80000000, v49
	v_lshl_add_u32 v40, v40, 23, v48
	v_or3_b32 v40, v49, v40, v42
	v_lshrrev_b32_e32 v51, 16, v40
.LBB948_385:                            ;   in Loop: Header=BB948_213 Depth=1
	s_or_b64 exec, exec, s[16:17]
.LBB948_386:                            ;   in Loop: Header=BB948_213 Depth=1
	s_or_b64 exec, exec, s[14:15]
.LBB948_387:                            ;   in Loop: Header=BB948_213 Depth=1
	s_or_b64 exec, exec, s[12:13]
	v_lshrrev_b16_e32 v40, 8, v38
	v_cmp_ne_u16_e32 vcc, 0, v40
	v_mov_b32_e32 v61, 0
	v_mov_b32_e32 v53, 0
	s_and_saveexec_b64 s[12:13], vcc
	s_cbranch_execz .LBB948_393
; %bb.388:                              ;   in Loop: Header=BB948_213 Depth=1
	v_cmp_ne_u16_e32 vcc, s9, v40
	v_mov_b32_e32 v53, 0xffff8000
	s_and_saveexec_b64 s[14:15], vcc
	s_cbranch_execz .LBB948_392
; %bb.389:                              ;   in Loop: Header=BB948_213 Depth=1
	v_and_b32_e32 v42, 0x7f, v40
	v_cmp_ne_u32_e32 vcc, s21, v42
	v_mov_b32_e32 v53, 0x7f80
	s_and_saveexec_b64 s[16:17], vcc
	s_cbranch_execz .LBB948_391
; %bb.390:                              ;   in Loop: Header=BB948_213 Depth=1
	v_and_b32_e32 v49, 7, v40
	v_ffbh_u32_e32 v62, v49
	v_min_u32_e32 v64, 32, v62
	v_subrev_u32_e32 v62, 28, v64
	v_lshlrev_b64 v[62:63], v62, v[40:41]
	v_lshrrev_b32_e32 v53, 3, v42
	v_sub_u32_e32 v40, 29, v64
	v_and_b32_e32 v62, 7, v62
	v_cmp_gt_u32_e32 vcc, 8, v42
	v_cndmask_b32_e32 v40, v53, v40, vcc
	v_cndmask_b32_e32 v42, v49, v62, vcc
	v_lshlrev_b32_e32 v49, 16, v38
	v_lshlrev_b32_e32 v42, 20, v42
	v_and_b32_e32 v49, 0x80000000, v49
	v_lshl_add_u32 v40, v40, 23, v48
	v_or3_b32 v40, v49, v40, v42
	v_lshrrev_b32_e32 v53, 16, v40
.LBB948_391:                            ;   in Loop: Header=BB948_213 Depth=1
	s_or_b64 exec, exec, s[16:17]
.LBB948_392:                            ;   in Loop: Header=BB948_213 Depth=1
	s_or_b64 exec, exec, s[14:15]
.LBB948_393:                            ;   in Loop: Header=BB948_213 Depth=1
	s_or_b64 exec, exec, s[12:13]
	v_lshrrev_b32_e32 v40, 16, v38
	v_cmp_ne_u16_sdwa s[14:15], v40, v47 src0_sel:BYTE_0 src1_sel:DWORD
	s_and_saveexec_b64 s[12:13], s[14:15]
	s_cbranch_execz .LBB948_399
; %bb.394:                              ;   in Loop: Header=BB948_213 Depth=1
	v_cmp_ne_u16_sdwa s[16:17], v40, s9 src0_sel:BYTE_0 src1_sel:DWORD
	v_mov_b32_e32 v61, 0xffff8000
	s_and_saveexec_b64 s[14:15], s[16:17]
	s_cbranch_execz .LBB948_398
; %bb.395:                              ;   in Loop: Header=BB948_213 Depth=1
	v_bfe_u32 v42, v38, 16, 7
	v_cmp_ne_u32_e32 vcc, s21, v42
	v_mov_b32_e32 v61, 0x7f80
	s_and_saveexec_b64 s[16:17], vcc
	s_cbranch_execz .LBB948_397
; %bb.396:                              ;   in Loop: Header=BB948_213 Depth=1
	v_and_b32_e32 v49, 7, v40
	v_ffbh_u32_e32 v62, v49
	v_min_u32_e32 v64, 32, v62
	v_subrev_u32_e32 v62, 28, v64
	v_lshlrev_b64 v[62:63], v62, v[40:41]
	v_lshrrev_b32_e32 v61, 3, v42
	v_sub_u32_e32 v63, 29, v64
	v_and_b32_e32 v62, 7, v62
	v_cmp_gt_u32_e32 vcc, 8, v42
	v_cndmask_b32_e32 v42, v61, v63, vcc
	v_cndmask_b32_e32 v49, v49, v62, vcc
	v_lshlrev_b32_e32 v40, 24, v40
	v_lshlrev_b32_e32 v49, 20, v49
	v_and_b32_e32 v40, 0x80000000, v40
	v_lshl_add_u32 v42, v42, 23, v48
	v_or3_b32 v40, v40, v42, v49
	v_lshrrev_b32_e32 v61, 16, v40
.LBB948_397:                            ;   in Loop: Header=BB948_213 Depth=1
	s_or_b64 exec, exec, s[16:17]
.LBB948_398:                            ;   in Loop: Header=BB948_213 Depth=1
	s_or_b64 exec, exec, s[14:15]
.LBB948_399:                            ;   in Loop: Header=BB948_213 Depth=1
	s_or_b64 exec, exec, s[12:13]
	v_cmp_lt_u32_e32 vcc, s22, v38
	v_mov_b32_e32 v49, 0
	v_mov_b32_e32 v62, 0
	s_and_saveexec_b64 s[12:13], vcc
	s_cbranch_execz .LBB948_405
; %bb.400:                              ;   in Loop: Header=BB948_213 Depth=1
	v_lshrrev_b32_e32 v40, 24, v38
	v_cmp_ne_u32_e32 vcc, s9, v40
	v_mov_b32_e32 v62, 0xffff8000
	s_and_saveexec_b64 s[14:15], vcc
	s_cbranch_execz .LBB948_404
; %bb.401:                              ;   in Loop: Header=BB948_213 Depth=1
	v_bfe_u32 v38, v38, 24, 7
	v_cmp_ne_u32_e32 vcc, s21, v38
	v_mov_b32_e32 v62, 0x7f80
	s_and_saveexec_b64 s[16:17], vcc
	s_cbranch_execz .LBB948_403
; %bb.402:                              ;   in Loop: Header=BB948_213 Depth=1
	v_and_b32_e32 v42, 7, v40
	v_ffbh_u32_e32 v62, v42
	v_min_u32_e32 v65, 32, v62
	v_subrev_u32_e32 v62, 28, v65
	v_lshlrev_b64 v[62:63], v62, v[40:41]
	v_lshrrev_b32_e32 v64, 3, v38
	v_sub_u32_e32 v63, 29, v65
	v_and_b32_e32 v62, 7, v62
	v_cmp_gt_u32_e32 vcc, 8, v38
	v_cndmask_b32_e32 v38, v64, v63, vcc
	v_cndmask_b32_e32 v42, v42, v62, vcc
	v_lshlrev_b32_e32 v40, 24, v40
	v_lshlrev_b32_e32 v42, 20, v42
	v_and_b32_e32 v40, 0x80000000, v40
	v_lshl_add_u32 v38, v38, 23, v48
	v_or3_b32 v38, v40, v38, v42
	v_lshrrev_b32_e32 v62, 16, v38
.LBB948_403:                            ;   in Loop: Header=BB948_213 Depth=1
	s_or_b64 exec, exec, s[16:17]
.LBB948_404:                            ;   in Loop: Header=BB948_213 Depth=1
	s_or_b64 exec, exec, s[14:15]
.LBB948_405:                            ;   in Loop: Header=BB948_213 Depth=1
	s_or_b64 exec, exec, s[12:13]
	v_perm_b32 v64, v44, v46, s23
	buffer_load_dword v44, v60, s[0:3], 0 offen
	buffer_load_dword v42, v60, s[0:3], 0 offen offset:4
	buffer_load_dword v40, v60, s[0:3], 0 offen offset:8
	;; [unrolled: 1-line block ×3, first 2 shown]
	v_perm_b32 v65, v52, v50, s23
	v_perm_b32 v61, v62, v61, s23
	;; [unrolled: 1-line block ×3, first 2 shown]
	v_mfma_f32_16x16x16bf16_1k v[34:37], v[64:65], v[14:15], v[34:37]
	s_waitcnt vmcnt(3)
	v_cmp_ne_u16_sdwa s[14:15], v44, v47 src0_sel:BYTE_0 src1_sel:DWORD
	v_mfma_f32_16x16x16bf16_1k v[34:37], v[60:61], v[16:17], v[34:37]
	s_and_saveexec_b64 s[12:13], s[14:15]
	s_cbranch_execz .LBB948_411
; %bb.406:                              ;   in Loop: Header=BB948_213 Depth=1
	v_cmp_ne_u16_sdwa s[16:17], v44, s9 src0_sel:BYTE_0 src1_sel:DWORD
	v_mov_b32_e32 v49, 0xffff8000
	s_and_saveexec_b64 s[14:15], s[16:17]
	s_cbranch_execz .LBB948_410
; %bb.407:                              ;   in Loop: Header=BB948_213 Depth=1
	v_and_b32_e32 v46, 0x7f, v44
	v_cmp_ne_u32_e32 vcc, s21, v46
	v_mov_b32_e32 v49, 0x7f80
	s_and_saveexec_b64 s[16:17], vcc
	s_cbranch_execz .LBB948_409
; %bb.408:                              ;   in Loop: Header=BB948_213 Depth=1
	v_and_b32_e32 v49, 7, v44
	v_ffbh_u32_e32 v50, v49
	v_min_u32_e32 v53, 32, v50
	v_subrev_u32_e32 v50, 28, v53
	v_lshlrev_b64 v[50:51], v50, v[44:45]
	v_lshrrev_b32_e32 v52, 3, v46
	v_sub_u32_e32 v51, 29, v53
	v_and_b32_e32 v50, 7, v50
	v_cmp_gt_u32_e32 vcc, 8, v46
	v_cndmask_b32_e32 v46, v52, v51, vcc
	v_cndmask_b32_e32 v49, v49, v50, vcc
	v_lshlrev_b32_e32 v50, 24, v44
	v_lshlrev_b32_e32 v49, 20, v49
	v_and_b32_e32 v50, 0x80000000, v50
	v_lshl_add_u32 v46, v46, 23, v48
	v_or3_b32 v46, v50, v46, v49
	v_lshrrev_b32_e32 v49, 16, v46
.LBB948_409:                            ;   in Loop: Header=BB948_213 Depth=1
	s_or_b64 exec, exec, s[16:17]
.LBB948_410:                            ;   in Loop: Header=BB948_213 Depth=1
	s_or_b64 exec, exec, s[14:15]
.LBB948_411:                            ;   in Loop: Header=BB948_213 Depth=1
	s_or_b64 exec, exec, s[12:13]
	v_lshrrev_b16_e32 v46, 8, v44
	v_cmp_ne_u16_e32 vcc, 0, v46
	v_mov_b32_e32 v51, 0
	v_mov_b32_e32 v50, 0
	s_and_saveexec_b64 s[12:13], vcc
	s_cbranch_execz .LBB948_417
; %bb.412:                              ;   in Loop: Header=BB948_213 Depth=1
	v_cmp_ne_u16_e32 vcc, s9, v46
	v_mov_b32_e32 v50, 0xffff8000
	s_and_saveexec_b64 s[14:15], vcc
	s_cbranch_execz .LBB948_416
; %bb.413:                              ;   in Loop: Header=BB948_213 Depth=1
	v_and_b32_e32 v52, 0x7f, v46
	v_cmp_ne_u32_e32 vcc, s21, v52
	v_mov_b32_e32 v50, 0x7f80
	s_and_saveexec_b64 s[16:17], vcc
	s_cbranch_execz .LBB948_415
; %bb.414:                              ;   in Loop: Header=BB948_213 Depth=1
	v_and_b32_e32 v50, 7, v46
	v_ffbh_u32_e32 v60, v50
	v_min_u32_e32 v62, 32, v60
	v_subrev_u32_e32 v60, 28, v62
	v_lshlrev_b64 v[60:61], v60, v[46:47]
	v_lshrrev_b32_e32 v53, 3, v52
	v_sub_u32_e32 v46, 29, v62
	v_and_b32_e32 v60, 7, v60
	v_cmp_gt_u32_e32 vcc, 8, v52
	v_cndmask_b32_e32 v46, v53, v46, vcc
	v_cndmask_b32_e32 v50, v50, v60, vcc
	v_lshlrev_b32_e32 v52, 16, v44
	v_lshlrev_b32_e32 v50, 20, v50
	v_and_b32_e32 v52, 0x80000000, v52
	v_lshl_add_u32 v46, v46, 23, v48
	v_or3_b32 v46, v52, v46, v50
	v_lshrrev_b32_e32 v50, 16, v46
.LBB948_415:                            ;   in Loop: Header=BB948_213 Depth=1
	s_or_b64 exec, exec, s[16:17]
.LBB948_416:                            ;   in Loop: Header=BB948_213 Depth=1
	s_or_b64 exec, exec, s[14:15]
.LBB948_417:                            ;   in Loop: Header=BB948_213 Depth=1
	s_or_b64 exec, exec, s[12:13]
	v_lshrrev_b32_e32 v46, 16, v44
	v_cmp_ne_u16_sdwa s[14:15], v46, v47 src0_sel:BYTE_0 src1_sel:DWORD
	s_and_saveexec_b64 s[12:13], s[14:15]
	s_cbranch_execz .LBB948_423
; %bb.418:                              ;   in Loop: Header=BB948_213 Depth=1
	v_cmp_ne_u16_sdwa s[16:17], v46, s9 src0_sel:BYTE_0 src1_sel:DWORD
	v_mov_b32_e32 v51, 0xffff8000
	s_and_saveexec_b64 s[14:15], s[16:17]
	s_cbranch_execz .LBB948_422
; %bb.419:                              ;   in Loop: Header=BB948_213 Depth=1
	v_bfe_u32 v52, v44, 16, 7
	v_cmp_ne_u32_e32 vcc, s21, v52
	v_mov_b32_e32 v51, 0x7f80
	s_and_saveexec_b64 s[16:17], vcc
	s_cbranch_execz .LBB948_421
; %bb.420:                              ;   in Loop: Header=BB948_213 Depth=1
	v_and_b32_e32 v51, 7, v46
	v_ffbh_u32_e32 v60, v51
	v_min_u32_e32 v62, 32, v60
	v_subrev_u32_e32 v60, 28, v62
	v_lshlrev_b64 v[60:61], v60, v[46:47]
	v_lshrrev_b32_e32 v53, 3, v52
	v_sub_u32_e32 v61, 29, v62
	v_and_b32_e32 v60, 7, v60
	v_cmp_gt_u32_e32 vcc, 8, v52
	v_cndmask_b32_e32 v52, v53, v61, vcc
	v_cndmask_b32_e32 v51, v51, v60, vcc
	v_lshlrev_b32_e32 v46, 24, v46
	v_lshlrev_b32_e32 v51, 20, v51
	v_and_b32_e32 v46, 0x80000000, v46
	v_lshl_add_u32 v52, v52, 23, v48
	v_or3_b32 v46, v46, v52, v51
	v_lshrrev_b32_e32 v51, 16, v46
.LBB948_421:                            ;   in Loop: Header=BB948_213 Depth=1
	s_or_b64 exec, exec, s[16:17]
.LBB948_422:                            ;   in Loop: Header=BB948_213 Depth=1
	s_or_b64 exec, exec, s[14:15]
.LBB948_423:                            ;   in Loop: Header=BB948_213 Depth=1
	s_or_b64 exec, exec, s[12:13]
	v_cmp_lt_u32_e32 vcc, s22, v44
	v_mov_b32_e32 v52, 0
	v_mov_b32_e32 v53, 0
	s_and_saveexec_b64 s[12:13], vcc
	s_cbranch_execz .LBB948_429
; %bb.424:                              ;   in Loop: Header=BB948_213 Depth=1
	v_lshrrev_b32_e32 v46, 24, v44
	v_cmp_ne_u32_e32 vcc, s9, v46
	v_mov_b32_e32 v53, 0xffff8000
	s_and_saveexec_b64 s[14:15], vcc
	s_cbranch_execz .LBB948_428
; %bb.425:                              ;   in Loop: Header=BB948_213 Depth=1
	v_bfe_u32 v44, v44, 24, 7
	v_cmp_ne_u32_e32 vcc, s21, v44
	v_mov_b32_e32 v53, 0x7f80
	s_and_saveexec_b64 s[16:17], vcc
	s_cbranch_execz .LBB948_427
; %bb.426:                              ;   in Loop: Header=BB948_213 Depth=1
	v_and_b32_e32 v53, 7, v46
	v_ffbh_u32_e32 v60, v53
	v_min_u32_e32 v63, 32, v60
	v_subrev_u32_e32 v60, 28, v63
	v_lshlrev_b64 v[60:61], v60, v[46:47]
	v_lshrrev_b32_e32 v62, 3, v44
	v_sub_u32_e32 v61, 29, v63
	v_and_b32_e32 v60, 7, v60
	v_cmp_gt_u32_e32 vcc, 8, v44
	v_cndmask_b32_e32 v44, v62, v61, vcc
	v_cndmask_b32_e32 v53, v53, v60, vcc
	v_lshlrev_b32_e32 v46, 24, v46
	v_lshlrev_b32_e32 v53, 20, v53
	v_and_b32_e32 v46, 0x80000000, v46
	v_lshl_add_u32 v44, v44, 23, v48
	v_or3_b32 v44, v46, v44, v53
	v_lshrrev_b32_e32 v53, 16, v44
.LBB948_427:                            ;   in Loop: Header=BB948_213 Depth=1
	s_or_b64 exec, exec, s[16:17]
.LBB948_428:                            ;   in Loop: Header=BB948_213 Depth=1
	s_or_b64 exec, exec, s[14:15]
.LBB948_429:                            ;   in Loop: Header=BB948_213 Depth=1
	s_or_b64 exec, exec, s[12:13]
	s_waitcnt vmcnt(2)
	v_cmp_ne_u16_sdwa s[14:15], v42, v47 src0_sel:BYTE_0 src1_sel:DWORD
	s_and_saveexec_b64 s[12:13], s[14:15]
	s_cbranch_execz .LBB948_435
; %bb.430:                              ;   in Loop: Header=BB948_213 Depth=1
	v_cmp_ne_u16_sdwa s[16:17], v42, s9 src0_sel:BYTE_0 src1_sel:DWORD
	v_mov_b32_e32 v52, 0xffff8000
	s_and_saveexec_b64 s[14:15], s[16:17]
	s_cbranch_execz .LBB948_434
; %bb.431:                              ;   in Loop: Header=BB948_213 Depth=1
	v_and_b32_e32 v44, 0x7f, v42
	v_cmp_ne_u32_e32 vcc, s21, v44
	v_mov_b32_e32 v52, 0x7f80
	s_and_saveexec_b64 s[16:17], vcc
	s_cbranch_execz .LBB948_433
; %bb.432:                              ;   in Loop: Header=BB948_213 Depth=1
	v_and_b32_e32 v46, 7, v42
	v_ffbh_u32_e32 v60, v46
	v_min_u32_e32 v62, 32, v60
	v_subrev_u32_e32 v60, 28, v62
	v_lshlrev_b64 v[60:61], v60, v[42:43]
	v_lshrrev_b32_e32 v52, 3, v44
	v_sub_u32_e32 v61, 29, v62
	v_and_b32_e32 v60, 7, v60
	v_cmp_gt_u32_e32 vcc, 8, v44
	v_cndmask_b32_e32 v44, v52, v61, vcc
	v_cndmask_b32_e32 v46, v46, v60, vcc
	v_lshlrev_b32_e32 v52, 24, v42
	v_lshlrev_b32_e32 v46, 20, v46
	v_and_b32_e32 v52, 0x80000000, v52
	v_lshl_add_u32 v44, v44, 23, v48
	v_or3_b32 v44, v52, v44, v46
	v_lshrrev_b32_e32 v52, 16, v44
.LBB948_433:                            ;   in Loop: Header=BB948_213 Depth=1
	s_or_b64 exec, exec, s[16:17]
.LBB948_434:                            ;   in Loop: Header=BB948_213 Depth=1
	s_or_b64 exec, exec, s[14:15]
.LBB948_435:                            ;   in Loop: Header=BB948_213 Depth=1
	s_or_b64 exec, exec, s[12:13]
	v_lshrrev_b16_e32 v44, 8, v42
	v_cmp_ne_u16_e32 vcc, 0, v44
	v_mov_b32_e32 v61, 0
	v_mov_b32_e32 v60, 0
	s_and_saveexec_b64 s[12:13], vcc
	s_cbranch_execz .LBB948_441
; %bb.436:                              ;   in Loop: Header=BB948_213 Depth=1
	v_cmp_ne_u16_e32 vcc, s9, v44
	v_mov_b32_e32 v60, 0xffff8000
	s_and_saveexec_b64 s[14:15], vcc
	s_cbranch_execz .LBB948_440
; %bb.437:                              ;   in Loop: Header=BB948_213 Depth=1
	v_and_b32_e32 v46, 0x7f, v44
	v_cmp_ne_u32_e32 vcc, s21, v46
	v_mov_b32_e32 v60, 0x7f80
	s_and_saveexec_b64 s[16:17], vcc
	s_cbranch_execz .LBB948_439
; %bb.438:                              ;   in Loop: Header=BB948_213 Depth=1
	v_and_b32_e32 v60, 7, v44
	v_ffbh_u32_e32 v62, v60
	v_min_u32_e32 v65, 32, v62
	v_subrev_u32_e32 v62, 28, v65
	v_lshlrev_b64 v[62:63], v62, v[44:45]
	v_lshrrev_b32_e32 v64, 3, v46
	v_sub_u32_e32 v44, 29, v65
	v_and_b32_e32 v62, 7, v62
	v_cmp_gt_u32_e32 vcc, 8, v46
	v_cndmask_b32_e32 v44, v64, v44, vcc
	v_cndmask_b32_e32 v46, v60, v62, vcc
	v_lshlrev_b32_e32 v60, 16, v42
	v_lshlrev_b32_e32 v46, 20, v46
	v_and_b32_e32 v60, 0x80000000, v60
	v_lshl_add_u32 v44, v44, 23, v48
	v_or3_b32 v44, v60, v44, v46
	v_lshrrev_b32_e32 v60, 16, v44
.LBB948_439:                            ;   in Loop: Header=BB948_213 Depth=1
	s_or_b64 exec, exec, s[16:17]
.LBB948_440:                            ;   in Loop: Header=BB948_213 Depth=1
	s_or_b64 exec, exec, s[14:15]
.LBB948_441:                            ;   in Loop: Header=BB948_213 Depth=1
	s_or_b64 exec, exec, s[12:13]
	v_lshrrev_b32_e32 v44, 16, v42
	v_cmp_ne_u16_sdwa s[14:15], v44, v47 src0_sel:BYTE_0 src1_sel:DWORD
	s_and_saveexec_b64 s[12:13], s[14:15]
	s_cbranch_execz .LBB948_447
; %bb.442:                              ;   in Loop: Header=BB948_213 Depth=1
	v_cmp_ne_u16_sdwa s[16:17], v44, s9 src0_sel:BYTE_0 src1_sel:DWORD
	v_mov_b32_e32 v61, 0xffff8000
	s_and_saveexec_b64 s[14:15], s[16:17]
	s_cbranch_execz .LBB948_446
; %bb.443:                              ;   in Loop: Header=BB948_213 Depth=1
	v_bfe_u32 v46, v42, 16, 7
	v_cmp_ne_u32_e32 vcc, s21, v46
	v_mov_b32_e32 v61, 0x7f80
	s_and_saveexec_b64 s[16:17], vcc
	s_cbranch_execz .LBB948_445
; %bb.444:                              ;   in Loop: Header=BB948_213 Depth=1
	v_and_b32_e32 v61, 7, v44
	v_ffbh_u32_e32 v62, v61
	v_min_u32_e32 v65, 32, v62
	v_subrev_u32_e32 v62, 28, v65
	v_lshlrev_b64 v[62:63], v62, v[44:45]
	v_lshrrev_b32_e32 v64, 3, v46
	v_sub_u32_e32 v63, 29, v65
	v_and_b32_e32 v62, 7, v62
	v_cmp_gt_u32_e32 vcc, 8, v46
	v_cndmask_b32_e32 v46, v64, v63, vcc
	v_cndmask_b32_e32 v61, v61, v62, vcc
	v_lshlrev_b32_e32 v44, 24, v44
	v_lshlrev_b32_e32 v61, 20, v61
	v_and_b32_e32 v44, 0x80000000, v44
	v_lshl_add_u32 v46, v46, 23, v48
	v_or3_b32 v44, v44, v46, v61
	v_lshrrev_b32_e32 v61, 16, v44
.LBB948_445:                            ;   in Loop: Header=BB948_213 Depth=1
	s_or_b64 exec, exec, s[16:17]
.LBB948_446:                            ;   in Loop: Header=BB948_213 Depth=1
	s_or_b64 exec, exec, s[14:15]
.LBB948_447:                            ;   in Loop: Header=BB948_213 Depth=1
	s_or_b64 exec, exec, s[12:13]
	v_cmp_lt_u32_e32 vcc, s22, v42
	v_mov_b32_e32 v46, 0
	v_mov_b32_e32 v62, 0
	s_and_saveexec_b64 s[12:13], vcc
	s_cbranch_execz .LBB948_453
; %bb.448:                              ;   in Loop: Header=BB948_213 Depth=1
	v_lshrrev_b32_e32 v44, 24, v42
	v_cmp_ne_u32_e32 vcc, s9, v44
	v_mov_b32_e32 v62, 0xffff8000
	s_and_saveexec_b64 s[14:15], vcc
	s_cbranch_execz .LBB948_452
; %bb.449:                              ;   in Loop: Header=BB948_213 Depth=1
	v_bfe_u32 v42, v42, 24, 7
	v_cmp_ne_u32_e32 vcc, s21, v42
	v_mov_b32_e32 v62, 0x7f80
	s_and_saveexec_b64 s[16:17], vcc
	s_cbranch_execz .LBB948_451
; %bb.450:                              ;   in Loop: Header=BB948_213 Depth=1
	v_and_b32_e32 v64, 7, v44
	v_ffbh_u32_e32 v62, v64
	v_min_u32_e32 v66, 32, v62
	v_subrev_u32_e32 v62, 28, v66
	v_lshlrev_b64 v[62:63], v62, v[44:45]
	v_lshrrev_b32_e32 v65, 3, v42
	v_sub_u32_e32 v63, 29, v66
	v_and_b32_e32 v62, 7, v62
	v_cmp_gt_u32_e32 vcc, 8, v42
	v_cndmask_b32_e32 v42, v65, v63, vcc
	v_cndmask_b32_e32 v62, v64, v62, vcc
	v_lshlrev_b32_e32 v44, 24, v44
	v_lshlrev_b32_e32 v62, 20, v62
	v_and_b32_e32 v44, 0x80000000, v44
	v_lshl_add_u32 v42, v42, 23, v48
	v_or3_b32 v42, v44, v42, v62
	v_lshrrev_b32_e32 v62, 16, v42
.LBB948_451:                            ;   in Loop: Header=BB948_213 Depth=1
	s_or_b64 exec, exec, s[16:17]
.LBB948_452:                            ;   in Loop: Header=BB948_213 Depth=1
	s_or_b64 exec, exec, s[14:15]
.LBB948_453:                            ;   in Loop: Header=BB948_213 Depth=1
	s_or_b64 exec, exec, s[12:13]
	v_perm_b32 v51, v53, v51, s23
	v_perm_b32 v50, v50, v49, s23
	s_waitcnt vmcnt(1)
	v_cmp_ne_u16_sdwa s[14:15], v40, v47 src0_sel:BYTE_0 src1_sel:DWORD
	v_mfma_f32_16x16x16bf16_1k v[34:37], v[50:51], v[18:19], v[34:37]
	v_perm_b32 v51, v62, v61, s23
	v_perm_b32 v50, v60, v52, s23
	s_nop 1
	v_mfma_f32_16x16x16bf16_1k v[34:37], v[50:51], v[20:21], v[34:37]
	s_and_saveexec_b64 s[12:13], s[14:15]
	s_cbranch_execz .LBB948_459
; %bb.454:                              ;   in Loop: Header=BB948_213 Depth=1
	v_cmp_ne_u16_sdwa s[16:17], v40, s9 src0_sel:BYTE_0 src1_sel:DWORD
	v_mov_b32_e32 v46, 0xffff8000
	s_and_saveexec_b64 s[14:15], s[16:17]
	s_cbranch_execz .LBB948_458
; %bb.455:                              ;   in Loop: Header=BB948_213 Depth=1
	v_and_b32_e32 v42, 0x7f, v40
	v_cmp_ne_u32_e32 vcc, s21, v42
	v_mov_b32_e32 v46, 0x7f80
	s_and_saveexec_b64 s[16:17], vcc
	s_cbranch_execz .LBB948_457
; %bb.456:                              ;   in Loop: Header=BB948_213 Depth=1
	v_and_b32_e32 v44, 7, v40
	v_ffbh_u32_e32 v49, v44
	v_min_u32_e32 v49, 32, v49
	v_subrev_u32_e32 v50, 28, v49
	v_lshlrev_b64 v[50:51], v50, v[40:41]
	v_lshrrev_b32_e32 v46, 3, v42
	v_sub_u32_e32 v49, 29, v49
	v_and_b32_e32 v50, 7, v50
	v_cmp_gt_u32_e32 vcc, 8, v42
	v_cndmask_b32_e32 v42, v46, v49, vcc
	v_cndmask_b32_e32 v44, v44, v50, vcc
	v_lshlrev_b32_e32 v46, 24, v40
	v_lshlrev_b32_e32 v44, 20, v44
	v_and_b32_e32 v46, 0x80000000, v46
	v_lshl_add_u32 v42, v42, 23, v48
	v_or3_b32 v42, v46, v42, v44
	v_lshrrev_b32_e32 v46, 16, v42
.LBB948_457:                            ;   in Loop: Header=BB948_213 Depth=1
	s_or_b64 exec, exec, s[16:17]
.LBB948_458:                            ;   in Loop: Header=BB948_213 Depth=1
	s_or_b64 exec, exec, s[14:15]
.LBB948_459:                            ;   in Loop: Header=BB948_213 Depth=1
	s_or_b64 exec, exec, s[12:13]
	v_lshrrev_b16_e32 v42, 8, v40
	v_cmp_ne_u16_e32 vcc, 0, v42
	v_mov_b32_e32 v50, 0
	v_mov_b32_e32 v44, 0
	s_and_saveexec_b64 s[12:13], vcc
	s_cbranch_execz .LBB948_465
; %bb.460:                              ;   in Loop: Header=BB948_213 Depth=1
	v_cmp_ne_u16_e32 vcc, s9, v42
	v_mov_b32_e32 v44, 0xffff8000
	s_and_saveexec_b64 s[14:15], vcc
	s_cbranch_execz .LBB948_464
; %bb.461:                              ;   in Loop: Header=BB948_213 Depth=1
	v_and_b32_e32 v49, 0x7f, v42
	v_cmp_ne_u32_e32 vcc, s21, v49
	v_mov_b32_e32 v44, 0x7f80
	s_and_saveexec_b64 s[16:17], vcc
	s_cbranch_execz .LBB948_463
; %bb.462:                              ;   in Loop: Header=BB948_213 Depth=1
	v_and_b32_e32 v44, 7, v42
	v_ffbh_u32_e32 v52, v44
	v_min_u32_e32 v60, 32, v52
	v_subrev_u32_e32 v52, 28, v60
	v_lshlrev_b64 v[52:53], v52, v[42:43]
	v_lshrrev_b32_e32 v51, 3, v49
	v_sub_u32_e32 v42, 29, v60
	v_and_b32_e32 v52, 7, v52
	v_cmp_gt_u32_e32 vcc, 8, v49
	v_cndmask_b32_e32 v42, v51, v42, vcc
	v_cndmask_b32_e32 v44, v44, v52, vcc
	v_lshlrev_b32_e32 v49, 16, v40
	v_lshlrev_b32_e32 v44, 20, v44
	v_and_b32_e32 v49, 0x80000000, v49
	v_lshl_add_u32 v42, v42, 23, v48
	v_or3_b32 v42, v49, v42, v44
	v_lshrrev_b32_e32 v44, 16, v42
.LBB948_463:                            ;   in Loop: Header=BB948_213 Depth=1
	s_or_b64 exec, exec, s[16:17]
.LBB948_464:                            ;   in Loop: Header=BB948_213 Depth=1
	s_or_b64 exec, exec, s[14:15]
.LBB948_465:                            ;   in Loop: Header=BB948_213 Depth=1
	s_or_b64 exec, exec, s[12:13]
	v_lshrrev_b32_e32 v42, 16, v40
	v_cmp_ne_u16_sdwa s[14:15], v42, v47 src0_sel:BYTE_0 src1_sel:DWORD
	s_and_saveexec_b64 s[12:13], s[14:15]
	s_cbranch_execz .LBB948_471
; %bb.466:                              ;   in Loop: Header=BB948_213 Depth=1
	v_cmp_ne_u16_sdwa s[16:17], v42, s9 src0_sel:BYTE_0 src1_sel:DWORD
	v_mov_b32_e32 v50, 0xffff8000
	s_and_saveexec_b64 s[14:15], s[16:17]
	s_cbranch_execz .LBB948_470
; %bb.467:                              ;   in Loop: Header=BB948_213 Depth=1
	v_bfe_u32 v49, v40, 16, 7
	v_cmp_ne_u32_e32 vcc, s21, v49
	v_mov_b32_e32 v50, 0x7f80
	s_and_saveexec_b64 s[16:17], vcc
	s_cbranch_execz .LBB948_469
; %bb.468:                              ;   in Loop: Header=BB948_213 Depth=1
	v_and_b32_e32 v52, 7, v42
	v_ffbh_u32_e32 v50, v52
	v_min_u32_e32 v60, 32, v50
	v_subrev_u32_e32 v50, 28, v60
	v_lshlrev_b64 v[50:51], v50, v[42:43]
	v_lshrrev_b32_e32 v53, 3, v49
	v_sub_u32_e32 v51, 29, v60
	v_and_b32_e32 v50, 7, v50
	v_cmp_gt_u32_e32 vcc, 8, v49
	v_cndmask_b32_e32 v49, v53, v51, vcc
	v_cndmask_b32_e32 v50, v52, v50, vcc
	v_lshlrev_b32_e32 v42, 24, v42
	v_lshlrev_b32_e32 v50, 20, v50
	v_and_b32_e32 v42, 0x80000000, v42
	v_lshl_add_u32 v49, v49, 23, v48
	v_or3_b32 v42, v42, v49, v50
	v_lshrrev_b32_e32 v50, 16, v42
.LBB948_469:                            ;   in Loop: Header=BB948_213 Depth=1
	s_or_b64 exec, exec, s[16:17]
.LBB948_470:                            ;   in Loop: Header=BB948_213 Depth=1
	s_or_b64 exec, exec, s[14:15]
.LBB948_471:                            ;   in Loop: Header=BB948_213 Depth=1
	s_or_b64 exec, exec, s[12:13]
	v_cmp_lt_u32_e32 vcc, s22, v40
	v_mov_b32_e32 v51, 0
	v_mov_b32_e32 v52, 0
	s_and_saveexec_b64 s[12:13], vcc
	s_cbranch_execz .LBB948_477
; %bb.472:                              ;   in Loop: Header=BB948_213 Depth=1
	v_lshrrev_b32_e32 v42, 24, v40
	v_cmp_ne_u32_e32 vcc, s9, v42
	v_mov_b32_e32 v52, 0xffff8000
	s_and_saveexec_b64 s[14:15], vcc
	s_cbranch_execz .LBB948_476
; %bb.473:                              ;   in Loop: Header=BB948_213 Depth=1
	v_bfe_u32 v40, v40, 24, 7
	v_cmp_ne_u32_e32 vcc, s21, v40
	v_mov_b32_e32 v52, 0x7f80
	s_and_saveexec_b64 s[16:17], vcc
	s_cbranch_execz .LBB948_475
; %bb.474:                              ;   in Loop: Header=BB948_213 Depth=1
	v_and_b32_e32 v49, 7, v42
	v_ffbh_u32_e32 v52, v49
	v_min_u32_e32 v61, 32, v52
	v_subrev_u32_e32 v52, 28, v61
	v_lshlrev_b64 v[52:53], v52, v[42:43]
	v_lshrrev_b32_e32 v60, 3, v40
	v_sub_u32_e32 v53, 29, v61
	v_and_b32_e32 v52, 7, v52
	v_cmp_gt_u32_e32 vcc, 8, v40
	v_cndmask_b32_e32 v40, v60, v53, vcc
	v_cndmask_b32_e32 v49, v49, v52, vcc
	v_lshlrev_b32_e32 v42, 24, v42
	v_lshlrev_b32_e32 v49, 20, v49
	v_and_b32_e32 v42, 0x80000000, v42
	v_lshl_add_u32 v40, v40, 23, v48
	v_or3_b32 v40, v42, v40, v49
	v_lshrrev_b32_e32 v52, 16, v40
.LBB948_475:                            ;   in Loop: Header=BB948_213 Depth=1
	s_or_b64 exec, exec, s[16:17]
.LBB948_476:                            ;   in Loop: Header=BB948_213 Depth=1
	s_or_b64 exec, exec, s[14:15]
.LBB948_477:                            ;   in Loop: Header=BB948_213 Depth=1
	s_or_b64 exec, exec, s[12:13]
	s_waitcnt vmcnt(0)
	v_cmp_ne_u16_sdwa s[14:15], v38, v47 src0_sel:BYTE_0 src1_sel:DWORD
	s_and_saveexec_b64 s[12:13], s[14:15]
	s_cbranch_execz .LBB948_483
; %bb.478:                              ;   in Loop: Header=BB948_213 Depth=1
	v_cmp_ne_u16_sdwa s[16:17], v38, s9 src0_sel:BYTE_0 src1_sel:DWORD
	v_mov_b32_e32 v51, 0xffff8000
	s_and_saveexec_b64 s[14:15], s[16:17]
	s_cbranch_execz .LBB948_482
; %bb.479:                              ;   in Loop: Header=BB948_213 Depth=1
	v_and_b32_e32 v40, 0x7f, v38
	v_cmp_ne_u32_e32 vcc, s21, v40
	v_mov_b32_e32 v51, 0x7f80
	s_and_saveexec_b64 s[16:17], vcc
	s_cbranch_execz .LBB948_481
; %bb.480:                              ;   in Loop: Header=BB948_213 Depth=1
	v_and_b32_e32 v42, 7, v38
	v_ffbh_u32_e32 v51, v42
	v_min_u32_e32 v51, 32, v51
	v_subrev_u32_e32 v53, 28, v51
	v_lshlrev_b64 v[60:61], v53, v[38:39]
	v_lshrrev_b32_e32 v49, 3, v40
	v_sub_u32_e32 v51, 29, v51
	v_and_b32_e32 v53, 7, v60
	v_cmp_gt_u32_e32 vcc, 8, v40
	v_cndmask_b32_e32 v40, v49, v51, vcc
	v_cndmask_b32_e32 v42, v42, v53, vcc
	v_lshlrev_b32_e32 v49, 24, v38
	v_lshlrev_b32_e32 v42, 20, v42
	v_and_b32_e32 v49, 0x80000000, v49
	v_lshl_add_u32 v40, v40, 23, v48
	v_or3_b32 v40, v49, v40, v42
	v_lshrrev_b32_e32 v51, 16, v40
.LBB948_481:                            ;   in Loop: Header=BB948_213 Depth=1
	s_or_b64 exec, exec, s[16:17]
.LBB948_482:                            ;   in Loop: Header=BB948_213 Depth=1
	s_or_b64 exec, exec, s[14:15]
.LBB948_483:                            ;   in Loop: Header=BB948_213 Depth=1
	s_or_b64 exec, exec, s[12:13]
	v_lshrrev_b16_e32 v40, 8, v38
	v_cmp_ne_u16_e32 vcc, 0, v40
	v_mov_b32_e32 v60, 0
	v_mov_b32_e32 v53, 0
	s_and_saveexec_b64 s[12:13], vcc
	s_cbranch_execz .LBB948_489
; %bb.484:                              ;   in Loop: Header=BB948_213 Depth=1
	v_cmp_ne_u16_e32 vcc, s9, v40
	v_mov_b32_e32 v53, 0xffff8000
	s_and_saveexec_b64 s[14:15], vcc
	s_cbranch_execz .LBB948_488
; %bb.485:                              ;   in Loop: Header=BB948_213 Depth=1
	v_and_b32_e32 v42, 0x7f, v40
	v_cmp_ne_u32_e32 vcc, s21, v42
	v_mov_b32_e32 v53, 0x7f80
	s_and_saveexec_b64 s[16:17], vcc
	s_cbranch_execz .LBB948_487
; %bb.486:                              ;   in Loop: Header=BB948_213 Depth=1
	v_and_b32_e32 v49, 7, v40
	v_ffbh_u32_e32 v61, v49
	v_min_u32_e32 v61, 32, v61
	v_subrev_u32_e32 v62, 28, v61
	v_lshlrev_b64 v[62:63], v62, v[40:41]
	v_lshrrev_b32_e32 v53, 3, v42
	v_sub_u32_e32 v40, 29, v61
	v_and_b32_e32 v61, 7, v62
	v_cmp_gt_u32_e32 vcc, 8, v42
	v_cndmask_b32_e32 v40, v53, v40, vcc
	v_cndmask_b32_e32 v42, v49, v61, vcc
	v_lshlrev_b32_e32 v49, 16, v38
	v_lshlrev_b32_e32 v42, 20, v42
	v_and_b32_e32 v49, 0x80000000, v49
	v_lshl_add_u32 v40, v40, 23, v48
	v_or3_b32 v40, v49, v40, v42
	v_lshrrev_b32_e32 v53, 16, v40
.LBB948_487:                            ;   in Loop: Header=BB948_213 Depth=1
	s_or_b64 exec, exec, s[16:17]
.LBB948_488:                            ;   in Loop: Header=BB948_213 Depth=1
	s_or_b64 exec, exec, s[14:15]
.LBB948_489:                            ;   in Loop: Header=BB948_213 Depth=1
	s_or_b64 exec, exec, s[12:13]
	v_lshrrev_b32_e32 v40, 16, v38
	v_cmp_ne_u16_sdwa s[14:15], v40, v47 src0_sel:BYTE_0 src1_sel:DWORD
	s_and_saveexec_b64 s[12:13], s[14:15]
	s_cbranch_execz .LBB948_495
; %bb.490:                              ;   in Loop: Header=BB948_213 Depth=1
	v_cmp_ne_u16_sdwa s[16:17], v40, s9 src0_sel:BYTE_0 src1_sel:DWORD
	v_mov_b32_e32 v60, 0xffff8000
	s_and_saveexec_b64 s[14:15], s[16:17]
	s_cbranch_execz .LBB948_494
; %bb.491:                              ;   in Loop: Header=BB948_213 Depth=1
	v_bfe_u32 v42, v38, 16, 7
	v_cmp_ne_u32_e32 vcc, s21, v42
	v_mov_b32_e32 v60, 0x7f80
	s_and_saveexec_b64 s[16:17], vcc
	s_cbranch_execz .LBB948_493
; %bb.492:                              ;   in Loop: Header=BB948_213 Depth=1
	v_and_b32_e32 v49, 7, v40
	v_ffbh_u32_e32 v60, v49
	v_min_u32_e32 v63, 32, v60
	v_subrev_u32_e32 v60, 28, v63
	v_lshlrev_b64 v[60:61], v60, v[40:41]
	v_lshrrev_b32_e32 v62, 3, v42
	v_sub_u32_e32 v61, 29, v63
	v_and_b32_e32 v60, 7, v60
	v_cmp_gt_u32_e32 vcc, 8, v42
	v_cndmask_b32_e32 v42, v62, v61, vcc
	v_cndmask_b32_e32 v49, v49, v60, vcc
	v_lshlrev_b32_e32 v40, 24, v40
	v_lshlrev_b32_e32 v49, 20, v49
	v_and_b32_e32 v40, 0x80000000, v40
	v_lshl_add_u32 v42, v42, 23, v48
	v_or3_b32 v40, v40, v42, v49
	v_lshrrev_b32_e32 v60, 16, v40
.LBB948_493:                            ;   in Loop: Header=BB948_213 Depth=1
	s_or_b64 exec, exec, s[16:17]
.LBB948_494:                            ;   in Loop: Header=BB948_213 Depth=1
	s_or_b64 exec, exec, s[14:15]
.LBB948_495:                            ;   in Loop: Header=BB948_213 Depth=1
	s_or_b64 exec, exec, s[12:13]
	v_cmp_lt_u32_e32 vcc, s22, v38
	v_mov_b32_e32 v49, 0
	v_mov_b32_e32 v61, 0
	s_and_saveexec_b64 s[12:13], vcc
	s_cbranch_execz .LBB948_501
; %bb.496:                              ;   in Loop: Header=BB948_213 Depth=1
	v_lshrrev_b32_e32 v40, 24, v38
	v_cmp_ne_u32_e32 vcc, s9, v40
	v_mov_b32_e32 v61, 0xffff8000
	s_and_saveexec_b64 s[14:15], vcc
	s_cbranch_execz .LBB948_500
; %bb.497:                              ;   in Loop: Header=BB948_213 Depth=1
	v_bfe_u32 v38, v38, 24, 7
	v_cmp_ne_u32_e32 vcc, s21, v38
	v_mov_b32_e32 v61, 0x7f80
	s_and_saveexec_b64 s[16:17], vcc
	s_cbranch_execz .LBB948_499
; %bb.498:                              ;   in Loop: Header=BB948_213 Depth=1
	v_and_b32_e32 v42, 7, v40
	v_ffbh_u32_e32 v62, v42
	v_min_u32_e32 v64, 32, v62
	v_subrev_u32_e32 v62, 28, v64
	v_lshlrev_b64 v[62:63], v62, v[40:41]
	v_lshrrev_b32_e32 v61, 3, v38
	v_sub_u32_e32 v63, 29, v64
	v_and_b32_e32 v62, 7, v62
	v_cmp_gt_u32_e32 vcc, 8, v38
	v_cndmask_b32_e32 v38, v61, v63, vcc
	v_cndmask_b32_e32 v42, v42, v62, vcc
	v_lshlrev_b32_e32 v40, 24, v40
	v_lshlrev_b32_e32 v42, 20, v42
	v_and_b32_e32 v40, 0x80000000, v40
	v_lshl_add_u32 v38, v38, 23, v48
	v_or3_b32 v38, v40, v38, v42
	v_lshrrev_b32_e32 v61, 16, v38
.LBB948_499:                            ;   in Loop: Header=BB948_213 Depth=1
	s_or_b64 exec, exec, s[16:17]
.LBB948_500:                            ;   in Loop: Header=BB948_213 Depth=1
	s_or_b64 exec, exec, s[14:15]
.LBB948_501:                            ;   in Loop: Header=BB948_213 Depth=1
	s_or_b64 exec, exec, s[12:13]
	v_perm_b32 v62, v44, v46, s23
	buffer_load_dword v44, v59, s[0:3], 0 offen
	buffer_load_dword v42, v59, s[0:3], 0 offen offset:4
	buffer_load_dword v40, v59, s[0:3], 0 offen offset:8
	;; [unrolled: 1-line block ×3, first 2 shown]
	v_perm_b32 v63, v52, v50, s23
	v_perm_b32 v61, v61, v60, s23
	;; [unrolled: 1-line block ×3, first 2 shown]
	v_mfma_f32_16x16x16bf16_1k v[34:37], v[62:63], v[22:23], v[34:37]
	s_waitcnt vmcnt(3)
	v_cmp_ne_u16_sdwa s[14:15], v44, v47 src0_sel:BYTE_0 src1_sel:DWORD
	v_mfma_f32_16x16x16bf16_1k v[34:37], v[60:61], v[24:25], v[34:37]
	s_and_saveexec_b64 s[12:13], s[14:15]
	s_cbranch_execz .LBB948_507
; %bb.502:                              ;   in Loop: Header=BB948_213 Depth=1
	v_cmp_ne_u16_sdwa s[16:17], v44, s9 src0_sel:BYTE_0 src1_sel:DWORD
	v_mov_b32_e32 v49, 0xffff8000
	s_and_saveexec_b64 s[14:15], s[16:17]
	s_cbranch_execz .LBB948_506
; %bb.503:                              ;   in Loop: Header=BB948_213 Depth=1
	v_and_b32_e32 v46, 0x7f, v44
	v_cmp_ne_u32_e32 vcc, s21, v46
	v_mov_b32_e32 v49, 0x7f80
	s_and_saveexec_b64 s[16:17], vcc
	s_cbranch_execz .LBB948_505
; %bb.504:                              ;   in Loop: Header=BB948_213 Depth=1
	v_and_b32_e32 v49, 7, v44
	v_ffbh_u32_e32 v50, v49
	v_min_u32_e32 v53, 32, v50
	v_subrev_u32_e32 v50, 28, v53
	v_lshlrev_b64 v[50:51], v50, v[44:45]
	v_lshrrev_b32_e32 v52, 3, v46
	v_sub_u32_e32 v51, 29, v53
	v_and_b32_e32 v50, 7, v50
	v_cmp_gt_u32_e32 vcc, 8, v46
	v_cndmask_b32_e32 v46, v52, v51, vcc
	v_cndmask_b32_e32 v49, v49, v50, vcc
	v_lshlrev_b32_e32 v50, 24, v44
	v_lshlrev_b32_e32 v49, 20, v49
	v_and_b32_e32 v50, 0x80000000, v50
	v_lshl_add_u32 v46, v46, 23, v48
	v_or3_b32 v46, v50, v46, v49
	v_lshrrev_b32_e32 v49, 16, v46
.LBB948_505:                            ;   in Loop: Header=BB948_213 Depth=1
	s_or_b64 exec, exec, s[16:17]
.LBB948_506:                            ;   in Loop: Header=BB948_213 Depth=1
	s_or_b64 exec, exec, s[14:15]
.LBB948_507:                            ;   in Loop: Header=BB948_213 Depth=1
	s_or_b64 exec, exec, s[12:13]
	v_lshrrev_b16_e32 v46, 8, v44
	v_cmp_ne_u16_e32 vcc, 0, v46
	v_mov_b32_e32 v51, 0
	v_mov_b32_e32 v50, 0
	s_and_saveexec_b64 s[12:13], vcc
	s_cbranch_execz .LBB948_513
; %bb.508:                              ;   in Loop: Header=BB948_213 Depth=1
	v_cmp_ne_u16_e32 vcc, s9, v46
	v_mov_b32_e32 v50, 0xffff8000
	s_and_saveexec_b64 s[14:15], vcc
	s_cbranch_execz .LBB948_512
; %bb.509:                              ;   in Loop: Header=BB948_213 Depth=1
	v_and_b32_e32 v52, 0x7f, v46
	v_cmp_ne_u32_e32 vcc, s21, v52
	v_mov_b32_e32 v50, 0x7f80
	s_and_saveexec_b64 s[16:17], vcc
	s_cbranch_execz .LBB948_511
; %bb.510:                              ;   in Loop: Header=BB948_213 Depth=1
	v_and_b32_e32 v50, 7, v46
	v_ffbh_u32_e32 v59, v50
	v_min_u32_e32 v59, 32, v59
	v_subrev_u32_e32 v60, 28, v59
	v_lshlrev_b64 v[60:61], v60, v[46:47]
	v_lshrrev_b32_e32 v53, 3, v52
	v_sub_u32_e32 v46, 29, v59
	v_and_b32_e32 v59, 7, v60
	v_cmp_gt_u32_e32 vcc, 8, v52
	v_cndmask_b32_e32 v46, v53, v46, vcc
	v_cndmask_b32_e32 v50, v50, v59, vcc
	v_lshlrev_b32_e32 v52, 16, v44
	v_lshlrev_b32_e32 v50, 20, v50
	v_and_b32_e32 v52, 0x80000000, v52
	v_lshl_add_u32 v46, v46, 23, v48
	v_or3_b32 v46, v52, v46, v50
	v_lshrrev_b32_e32 v50, 16, v46
.LBB948_511:                            ;   in Loop: Header=BB948_213 Depth=1
	s_or_b64 exec, exec, s[16:17]
.LBB948_512:                            ;   in Loop: Header=BB948_213 Depth=1
	s_or_b64 exec, exec, s[14:15]
.LBB948_513:                            ;   in Loop: Header=BB948_213 Depth=1
	s_or_b64 exec, exec, s[12:13]
	v_lshrrev_b32_e32 v46, 16, v44
	v_cmp_ne_u16_sdwa s[14:15], v46, v47 src0_sel:BYTE_0 src1_sel:DWORD
	s_and_saveexec_b64 s[12:13], s[14:15]
	s_cbranch_execz .LBB948_519
; %bb.514:                              ;   in Loop: Header=BB948_213 Depth=1
	v_cmp_ne_u16_sdwa s[16:17], v46, s9 src0_sel:BYTE_0 src1_sel:DWORD
	v_mov_b32_e32 v51, 0xffff8000
	s_and_saveexec_b64 s[14:15], s[16:17]
	s_cbranch_execz .LBB948_518
; %bb.515:                              ;   in Loop: Header=BB948_213 Depth=1
	v_bfe_u32 v52, v44, 16, 7
	v_cmp_ne_u32_e32 vcc, s21, v52
	v_mov_b32_e32 v51, 0x7f80
	s_and_saveexec_b64 s[16:17], vcc
	s_cbranch_execz .LBB948_517
; %bb.516:                              ;   in Loop: Header=BB948_213 Depth=1
	v_and_b32_e32 v51, 7, v46
	v_ffbh_u32_e32 v59, v51
	v_min_u32_e32 v59, 32, v59
	v_subrev_u32_e32 v60, 28, v59
	v_lshlrev_b64 v[60:61], v60, v[46:47]
	v_lshrrev_b32_e32 v53, 3, v52
	v_sub_u32_e32 v59, 29, v59
	v_and_b32_e32 v60, 7, v60
	v_cmp_gt_u32_e32 vcc, 8, v52
	v_cndmask_b32_e32 v52, v53, v59, vcc
	v_cndmask_b32_e32 v51, v51, v60, vcc
	v_lshlrev_b32_e32 v46, 24, v46
	v_lshlrev_b32_e32 v51, 20, v51
	v_and_b32_e32 v46, 0x80000000, v46
	v_lshl_add_u32 v52, v52, 23, v48
	v_or3_b32 v46, v46, v52, v51
	v_lshrrev_b32_e32 v51, 16, v46
.LBB948_517:                            ;   in Loop: Header=BB948_213 Depth=1
	s_or_b64 exec, exec, s[16:17]
.LBB948_518:                            ;   in Loop: Header=BB948_213 Depth=1
	s_or_b64 exec, exec, s[14:15]
.LBB948_519:                            ;   in Loop: Header=BB948_213 Depth=1
	s_or_b64 exec, exec, s[12:13]
	v_cmp_lt_u32_e32 vcc, s22, v44
	v_mov_b32_e32 v52, 0
	v_mov_b32_e32 v53, 0
	s_and_saveexec_b64 s[12:13], vcc
	s_cbranch_execz .LBB948_525
; %bb.520:                              ;   in Loop: Header=BB948_213 Depth=1
	v_lshrrev_b32_e32 v46, 24, v44
	v_cmp_ne_u32_e32 vcc, s9, v46
	v_mov_b32_e32 v53, 0xffff8000
	s_and_saveexec_b64 s[14:15], vcc
	s_cbranch_execz .LBB948_524
; %bb.521:                              ;   in Loop: Header=BB948_213 Depth=1
	v_bfe_u32 v44, v44, 24, 7
	v_cmp_ne_u32_e32 vcc, s21, v44
	v_mov_b32_e32 v53, 0x7f80
	s_and_saveexec_b64 s[16:17], vcc
	s_cbranch_execz .LBB948_523
; %bb.522:                              ;   in Loop: Header=BB948_213 Depth=1
	v_and_b32_e32 v53, 7, v46
	v_ffbh_u32_e32 v60, v53
	v_min_u32_e32 v62, 32, v60
	v_subrev_u32_e32 v60, 28, v62
	v_lshlrev_b64 v[60:61], v60, v[46:47]
	v_lshrrev_b32_e32 v59, 3, v44
	v_sub_u32_e32 v61, 29, v62
	v_and_b32_e32 v60, 7, v60
	v_cmp_gt_u32_e32 vcc, 8, v44
	v_cndmask_b32_e32 v44, v59, v61, vcc
	v_cndmask_b32_e32 v53, v53, v60, vcc
	v_lshlrev_b32_e32 v46, 24, v46
	v_lshlrev_b32_e32 v53, 20, v53
	v_and_b32_e32 v46, 0x80000000, v46
	v_lshl_add_u32 v44, v44, 23, v48
	v_or3_b32 v44, v46, v44, v53
	v_lshrrev_b32_e32 v53, 16, v44
.LBB948_523:                            ;   in Loop: Header=BB948_213 Depth=1
	s_or_b64 exec, exec, s[16:17]
.LBB948_524:                            ;   in Loop: Header=BB948_213 Depth=1
	s_or_b64 exec, exec, s[14:15]
.LBB948_525:                            ;   in Loop: Header=BB948_213 Depth=1
	s_or_b64 exec, exec, s[12:13]
	s_waitcnt vmcnt(2)
	v_cmp_ne_u16_sdwa s[14:15], v42, v47 src0_sel:BYTE_0 src1_sel:DWORD
	s_and_saveexec_b64 s[12:13], s[14:15]
	s_cbranch_execz .LBB948_531
; %bb.526:                              ;   in Loop: Header=BB948_213 Depth=1
	v_cmp_ne_u16_sdwa s[16:17], v42, s9 src0_sel:BYTE_0 src1_sel:DWORD
	v_mov_b32_e32 v52, 0xffff8000
	s_and_saveexec_b64 s[14:15], s[16:17]
	s_cbranch_execz .LBB948_530
; %bb.527:                              ;   in Loop: Header=BB948_213 Depth=1
	v_and_b32_e32 v44, 0x7f, v42
	v_cmp_ne_u32_e32 vcc, s21, v44
	v_mov_b32_e32 v52, 0x7f80
	s_and_saveexec_b64 s[16:17], vcc
	s_cbranch_execz .LBB948_529
; %bb.528:                              ;   in Loop: Header=BB948_213 Depth=1
	v_and_b32_e32 v46, 7, v42
	v_ffbh_u32_e32 v59, v46
	v_min_u32_e32 v59, 32, v59
	v_subrev_u32_e32 v60, 28, v59
	v_lshlrev_b64 v[60:61], v60, v[42:43]
	v_lshrrev_b32_e32 v52, 3, v44
	v_sub_u32_e32 v59, 29, v59
	v_and_b32_e32 v60, 7, v60
	v_cmp_gt_u32_e32 vcc, 8, v44
	v_cndmask_b32_e32 v44, v52, v59, vcc
	v_cndmask_b32_e32 v46, v46, v60, vcc
	v_lshlrev_b32_e32 v52, 24, v42
	v_lshlrev_b32_e32 v46, 20, v46
	v_and_b32_e32 v52, 0x80000000, v52
	v_lshl_add_u32 v44, v44, 23, v48
	v_or3_b32 v44, v52, v44, v46
	v_lshrrev_b32_e32 v52, 16, v44
.LBB948_529:                            ;   in Loop: Header=BB948_213 Depth=1
	s_or_b64 exec, exec, s[16:17]
.LBB948_530:                            ;   in Loop: Header=BB948_213 Depth=1
	s_or_b64 exec, exec, s[14:15]
.LBB948_531:                            ;   in Loop: Header=BB948_213 Depth=1
	s_or_b64 exec, exec, s[12:13]
	v_lshrrev_b16_e32 v44, 8, v42
	v_cmp_ne_u16_e32 vcc, 0, v44
	v_mov_b32_e32 v60, 0
	v_mov_b32_e32 v59, 0
	s_and_saveexec_b64 s[12:13], vcc
	s_cbranch_execz .LBB948_537
; %bb.532:                              ;   in Loop: Header=BB948_213 Depth=1
	v_cmp_ne_u16_e32 vcc, s9, v44
	v_mov_b32_e32 v59, 0xffff8000
	s_and_saveexec_b64 s[14:15], vcc
	s_cbranch_execz .LBB948_536
; %bb.533:                              ;   in Loop: Header=BB948_213 Depth=1
	v_and_b32_e32 v46, 0x7f, v44
	v_cmp_ne_u32_e32 vcc, s21, v46
	v_mov_b32_e32 v59, 0x7f80
	s_and_saveexec_b64 s[16:17], vcc
	s_cbranch_execz .LBB948_535
; %bb.534:                              ;   in Loop: Header=BB948_213 Depth=1
	v_and_b32_e32 v59, 7, v44
	v_ffbh_u32_e32 v62, v59
	v_min_u32_e32 v64, 32, v62
	v_subrev_u32_e32 v62, 28, v64
	v_lshlrev_b64 v[62:63], v62, v[44:45]
	v_lshrrev_b32_e32 v61, 3, v46
	v_sub_u32_e32 v44, 29, v64
	v_and_b32_e32 v62, 7, v62
	v_cmp_gt_u32_e32 vcc, 8, v46
	v_cndmask_b32_e32 v44, v61, v44, vcc
	v_cndmask_b32_e32 v46, v59, v62, vcc
	v_lshlrev_b32_e32 v59, 16, v42
	v_lshlrev_b32_e32 v46, 20, v46
	v_and_b32_e32 v59, 0x80000000, v59
	v_lshl_add_u32 v44, v44, 23, v48
	v_or3_b32 v44, v59, v44, v46
	v_lshrrev_b32_e32 v59, 16, v44
.LBB948_535:                            ;   in Loop: Header=BB948_213 Depth=1
	s_or_b64 exec, exec, s[16:17]
.LBB948_536:                            ;   in Loop: Header=BB948_213 Depth=1
	s_or_b64 exec, exec, s[14:15]
.LBB948_537:                            ;   in Loop: Header=BB948_213 Depth=1
	s_or_b64 exec, exec, s[12:13]
	v_lshrrev_b32_e32 v44, 16, v42
	v_cmp_ne_u16_sdwa s[14:15], v44, v47 src0_sel:BYTE_0 src1_sel:DWORD
	s_and_saveexec_b64 s[12:13], s[14:15]
	s_cbranch_execz .LBB948_543
; %bb.538:                              ;   in Loop: Header=BB948_213 Depth=1
	v_cmp_ne_u16_sdwa s[16:17], v44, s9 src0_sel:BYTE_0 src1_sel:DWORD
	v_mov_b32_e32 v60, 0xffff8000
	s_and_saveexec_b64 s[14:15], s[16:17]
	s_cbranch_execz .LBB948_542
; %bb.539:                              ;   in Loop: Header=BB948_213 Depth=1
	v_bfe_u32 v46, v42, 16, 7
	v_cmp_ne_u32_e32 vcc, s21, v46
	v_mov_b32_e32 v60, 0x7f80
	s_and_saveexec_b64 s[16:17], vcc
	s_cbranch_execz .LBB948_541
; %bb.540:                              ;   in Loop: Header=BB948_213 Depth=1
	v_and_b32_e32 v62, 7, v44
	v_ffbh_u32_e32 v60, v62
	v_min_u32_e32 v64, 32, v60
	v_subrev_u32_e32 v60, 28, v64
	v_lshlrev_b64 v[60:61], v60, v[44:45]
	v_lshrrev_b32_e32 v63, 3, v46
	v_sub_u32_e32 v61, 29, v64
	v_and_b32_e32 v60, 7, v60
	v_cmp_gt_u32_e32 vcc, 8, v46
	v_cndmask_b32_e32 v46, v63, v61, vcc
	v_cndmask_b32_e32 v60, v62, v60, vcc
	v_lshlrev_b32_e32 v44, 24, v44
	v_lshlrev_b32_e32 v60, 20, v60
	v_and_b32_e32 v44, 0x80000000, v44
	v_lshl_add_u32 v46, v46, 23, v48
	v_or3_b32 v44, v44, v46, v60
	v_lshrrev_b32_e32 v60, 16, v44
.LBB948_541:                            ;   in Loop: Header=BB948_213 Depth=1
	s_or_b64 exec, exec, s[16:17]
.LBB948_542:                            ;   in Loop: Header=BB948_213 Depth=1
	s_or_b64 exec, exec, s[14:15]
.LBB948_543:                            ;   in Loop: Header=BB948_213 Depth=1
	s_or_b64 exec, exec, s[12:13]
	v_cmp_lt_u32_e32 vcc, s22, v42
	v_mov_b32_e32 v46, 0
	v_mov_b32_e32 v61, 0
	s_and_saveexec_b64 s[12:13], vcc
	s_cbranch_execz .LBB948_549
; %bb.544:                              ;   in Loop: Header=BB948_213 Depth=1
	v_lshrrev_b32_e32 v44, 24, v42
	v_cmp_ne_u32_e32 vcc, s9, v44
	v_mov_b32_e32 v61, 0xffff8000
	s_and_saveexec_b64 s[14:15], vcc
	s_cbranch_execz .LBB948_548
; %bb.545:                              ;   in Loop: Header=BB948_213 Depth=1
	v_bfe_u32 v42, v42, 24, 7
	v_cmp_ne_u32_e32 vcc, s21, v42
	v_mov_b32_e32 v61, 0x7f80
	s_and_saveexec_b64 s[16:17], vcc
	s_cbranch_execz .LBB948_547
; %bb.546:                              ;   in Loop: Header=BB948_213 Depth=1
	v_and_b32_e32 v61, 7, v44
	v_ffbh_u32_e32 v62, v61
	v_min_u32_e32 v65, 32, v62
	v_subrev_u32_e32 v62, 28, v65
	v_lshlrev_b64 v[62:63], v62, v[44:45]
	v_lshrrev_b32_e32 v64, 3, v42
	v_sub_u32_e32 v63, 29, v65
	v_and_b32_e32 v62, 7, v62
	v_cmp_gt_u32_e32 vcc, 8, v42
	v_cndmask_b32_e32 v42, v64, v63, vcc
	v_cndmask_b32_e32 v61, v61, v62, vcc
	v_lshlrev_b32_e32 v44, 24, v44
	v_lshlrev_b32_e32 v61, 20, v61
	v_and_b32_e32 v44, 0x80000000, v44
	v_lshl_add_u32 v42, v42, 23, v48
	v_or3_b32 v42, v44, v42, v61
	v_lshrrev_b32_e32 v61, 16, v42
.LBB948_547:                            ;   in Loop: Header=BB948_213 Depth=1
	s_or_b64 exec, exec, s[16:17]
.LBB948_548:                            ;   in Loop: Header=BB948_213 Depth=1
	s_or_b64 exec, exec, s[14:15]
.LBB948_549:                            ;   in Loop: Header=BB948_213 Depth=1
	s_or_b64 exec, exec, s[12:13]
	v_perm_b32 v51, v53, v51, s23
	v_perm_b32 v50, v50, v49, s23
	s_waitcnt vmcnt(1)
	v_cmp_ne_u16_sdwa s[14:15], v40, v47 src0_sel:BYTE_0 src1_sel:DWORD
	v_mfma_f32_16x16x16bf16_1k v[34:37], v[50:51], v[26:27], v[34:37]
	v_perm_b32 v51, v61, v60, s23
	v_perm_b32 v50, v59, v52, s23
	s_nop 1
	v_mfma_f32_16x16x16bf16_1k v[34:37], v[50:51], v[28:29], v[34:37]
	s_and_saveexec_b64 s[12:13], s[14:15]
	s_cbranch_execz .LBB948_555
; %bb.550:                              ;   in Loop: Header=BB948_213 Depth=1
	v_cmp_ne_u16_sdwa s[16:17], v40, s9 src0_sel:BYTE_0 src1_sel:DWORD
	v_mov_b32_e32 v46, 0xffff8000
	s_and_saveexec_b64 s[14:15], s[16:17]
	s_cbranch_execz .LBB948_554
; %bb.551:                              ;   in Loop: Header=BB948_213 Depth=1
	v_and_b32_e32 v42, 0x7f, v40
	v_cmp_ne_u32_e32 vcc, s21, v42
	v_mov_b32_e32 v46, 0x7f80
	s_and_saveexec_b64 s[16:17], vcc
	s_cbranch_execz .LBB948_553
; %bb.552:                              ;   in Loop: Header=BB948_213 Depth=1
	v_and_b32_e32 v44, 7, v40
	v_ffbh_u32_e32 v49, v44
	v_min_u32_e32 v49, 32, v49
	v_subrev_u32_e32 v50, 28, v49
	v_lshlrev_b64 v[50:51], v50, v[40:41]
	v_lshrrev_b32_e32 v46, 3, v42
	v_sub_u32_e32 v49, 29, v49
	v_and_b32_e32 v50, 7, v50
	v_cmp_gt_u32_e32 vcc, 8, v42
	v_cndmask_b32_e32 v42, v46, v49, vcc
	v_cndmask_b32_e32 v44, v44, v50, vcc
	v_lshlrev_b32_e32 v46, 24, v40
	v_lshlrev_b32_e32 v44, 20, v44
	v_and_b32_e32 v46, 0x80000000, v46
	v_lshl_add_u32 v42, v42, 23, v48
	v_or3_b32 v42, v46, v42, v44
	v_lshrrev_b32_e32 v46, 16, v42
.LBB948_553:                            ;   in Loop: Header=BB948_213 Depth=1
	s_or_b64 exec, exec, s[16:17]
.LBB948_554:                            ;   in Loop: Header=BB948_213 Depth=1
	s_or_b64 exec, exec, s[14:15]
.LBB948_555:                            ;   in Loop: Header=BB948_213 Depth=1
	s_or_b64 exec, exec, s[12:13]
	v_lshrrev_b16_e32 v42, 8, v40
	v_cmp_ne_u16_e32 vcc, 0, v42
	v_mov_b32_e32 v49, 0
	v_mov_b32_e32 v44, 0
	s_and_saveexec_b64 s[12:13], vcc
	s_cbranch_execz .LBB948_561
; %bb.556:                              ;   in Loop: Header=BB948_213 Depth=1
	v_cmp_ne_u16_e32 vcc, s9, v42
	v_mov_b32_e32 v44, 0xffff8000
	s_and_saveexec_b64 s[14:15], vcc
	s_cbranch_execz .LBB948_560
; %bb.557:                              ;   in Loop: Header=BB948_213 Depth=1
	v_and_b32_e32 v50, 0x7f, v42
	v_cmp_ne_u32_e32 vcc, s21, v50
	v_mov_b32_e32 v44, 0x7f80
	s_and_saveexec_b64 s[16:17], vcc
	s_cbranch_execz .LBB948_559
; %bb.558:                              ;   in Loop: Header=BB948_213 Depth=1
	v_and_b32_e32 v44, 7, v42
	v_ffbh_u32_e32 v52, v44
	v_min_u32_e32 v59, 32, v52
	v_subrev_u32_e32 v52, 28, v59
	v_lshlrev_b64 v[52:53], v52, v[42:43]
	v_lshrrev_b32_e32 v51, 3, v50
	v_sub_u32_e32 v42, 29, v59
	v_and_b32_e32 v52, 7, v52
	v_cmp_gt_u32_e32 vcc, 8, v50
	v_cndmask_b32_e32 v42, v51, v42, vcc
	v_cndmask_b32_e32 v44, v44, v52, vcc
	v_lshlrev_b32_e32 v50, 16, v40
	v_lshlrev_b32_e32 v44, 20, v44
	v_and_b32_e32 v50, 0x80000000, v50
	v_lshl_add_u32 v42, v42, 23, v48
	v_or3_b32 v42, v50, v42, v44
	v_lshrrev_b32_e32 v44, 16, v42
.LBB948_559:                            ;   in Loop: Header=BB948_213 Depth=1
	s_or_b64 exec, exec, s[16:17]
.LBB948_560:                            ;   in Loop: Header=BB948_213 Depth=1
	s_or_b64 exec, exec, s[14:15]
.LBB948_561:                            ;   in Loop: Header=BB948_213 Depth=1
	s_or_b64 exec, exec, s[12:13]
	v_lshrrev_b32_e32 v42, 16, v40
	v_cmp_ne_u16_sdwa s[14:15], v42, v47 src0_sel:BYTE_0 src1_sel:DWORD
	s_and_saveexec_b64 s[12:13], s[14:15]
	s_cbranch_execz .LBB948_567
; %bb.562:                              ;   in Loop: Header=BB948_213 Depth=1
	v_cmp_ne_u16_sdwa s[16:17], v42, s9 src0_sel:BYTE_0 src1_sel:DWORD
	v_mov_b32_e32 v49, 0xffff8000
	s_and_saveexec_b64 s[14:15], s[16:17]
	s_cbranch_execz .LBB948_566
; %bb.563:                              ;   in Loop: Header=BB948_213 Depth=1
	v_bfe_u32 v50, v40, 16, 7
	v_cmp_ne_u32_e32 vcc, s21, v50
	v_mov_b32_e32 v49, 0x7f80
	s_and_saveexec_b64 s[16:17], vcc
	s_cbranch_execz .LBB948_565
; %bb.564:                              ;   in Loop: Header=BB948_213 Depth=1
	v_and_b32_e32 v49, 7, v42
	v_ffbh_u32_e32 v52, v49
	v_min_u32_e32 v59, 32, v52
	v_subrev_u32_e32 v52, 28, v59
	v_lshlrev_b64 v[52:53], v52, v[42:43]
	v_lshrrev_b32_e32 v51, 3, v50
	v_sub_u32_e32 v53, 29, v59
	v_and_b32_e32 v52, 7, v52
	v_cmp_gt_u32_e32 vcc, 8, v50
	v_cndmask_b32_e32 v50, v51, v53, vcc
	v_cndmask_b32_e32 v49, v49, v52, vcc
	v_lshlrev_b32_e32 v42, 24, v42
	v_lshlrev_b32_e32 v49, 20, v49
	v_and_b32_e32 v42, 0x80000000, v42
	v_lshl_add_u32 v50, v50, 23, v48
	v_or3_b32 v42, v42, v50, v49
	v_lshrrev_b32_e32 v49, 16, v42
.LBB948_565:                            ;   in Loop: Header=BB948_213 Depth=1
	s_or_b64 exec, exec, s[16:17]
.LBB948_566:                            ;   in Loop: Header=BB948_213 Depth=1
	s_or_b64 exec, exec, s[14:15]
.LBB948_567:                            ;   in Loop: Header=BB948_213 Depth=1
	s_or_b64 exec, exec, s[12:13]
	v_cmp_lt_u32_e32 vcc, s22, v40
	v_mov_b32_e32 v50, 0
	v_mov_b32_e32 v51, 0
	s_and_saveexec_b64 s[12:13], vcc
	s_cbranch_execz .LBB948_573
; %bb.568:                              ;   in Loop: Header=BB948_213 Depth=1
	v_lshrrev_b32_e32 v42, 24, v40
	v_cmp_ne_u32_e32 vcc, s9, v42
	v_mov_b32_e32 v51, 0xffff8000
	s_and_saveexec_b64 s[14:15], vcc
	s_cbranch_execz .LBB948_572
; %bb.569:                              ;   in Loop: Header=BB948_213 Depth=1
	v_bfe_u32 v40, v40, 24, 7
	v_cmp_ne_u32_e32 vcc, s21, v40
	v_mov_b32_e32 v51, 0x7f80
	s_and_saveexec_b64 s[16:17], vcc
	s_cbranch_execz .LBB948_571
; %bb.570:                              ;   in Loop: Header=BB948_213 Depth=1
	v_and_b32_e32 v51, 7, v42
	v_ffbh_u32_e32 v52, v51
	v_min_u32_e32 v60, 32, v52
	v_subrev_u32_e32 v52, 28, v60
	v_lshlrev_b64 v[52:53], v52, v[42:43]
	v_lshrrev_b32_e32 v59, 3, v40
	v_sub_u32_e32 v53, 29, v60
	v_and_b32_e32 v52, 7, v52
	v_cmp_gt_u32_e32 vcc, 8, v40
	v_cndmask_b32_e32 v40, v59, v53, vcc
	v_cndmask_b32_e32 v51, v51, v52, vcc
	v_lshlrev_b32_e32 v42, 24, v42
	v_lshlrev_b32_e32 v51, 20, v51
	v_and_b32_e32 v42, 0x80000000, v42
	v_lshl_add_u32 v40, v40, 23, v48
	v_or3_b32 v40, v42, v40, v51
	v_lshrrev_b32_e32 v51, 16, v40
.LBB948_571:                            ;   in Loop: Header=BB948_213 Depth=1
	s_or_b64 exec, exec, s[16:17]
.LBB948_572:                            ;   in Loop: Header=BB948_213 Depth=1
	s_or_b64 exec, exec, s[14:15]
.LBB948_573:                            ;   in Loop: Header=BB948_213 Depth=1
	s_or_b64 exec, exec, s[12:13]
	s_waitcnt vmcnt(0)
	v_cmp_ne_u16_sdwa s[14:15], v38, v47 src0_sel:BYTE_0 src1_sel:DWORD
	s_and_saveexec_b64 s[12:13], s[14:15]
	s_cbranch_execz .LBB948_579
; %bb.574:                              ;   in Loop: Header=BB948_213 Depth=1
	v_cmp_ne_u16_sdwa s[16:17], v38, s9 src0_sel:BYTE_0 src1_sel:DWORD
	v_mov_b32_e32 v50, 0xffff8000
	s_and_saveexec_b64 s[14:15], s[16:17]
	s_cbranch_execz .LBB948_578
; %bb.575:                              ;   in Loop: Header=BB948_213 Depth=1
	v_and_b32_e32 v40, 0x7f, v38
	v_cmp_ne_u32_e32 vcc, s21, v40
	v_mov_b32_e32 v50, 0x7f80
	s_and_saveexec_b64 s[16:17], vcc
	s_cbranch_execz .LBB948_577
; %bb.576:                              ;   in Loop: Header=BB948_213 Depth=1
	v_and_b32_e32 v42, 7, v38
	v_ffbh_u32_e32 v52, v42
	v_min_u32_e32 v59, 32, v52
	v_subrev_u32_e32 v52, 28, v59
	v_lshlrev_b64 v[52:53], v52, v[38:39]
	v_lshrrev_b32_e32 v50, 3, v40
	v_sub_u32_e32 v53, 29, v59
	v_and_b32_e32 v52, 7, v52
	v_cmp_gt_u32_e32 vcc, 8, v40
	v_cndmask_b32_e32 v40, v50, v53, vcc
	v_cndmask_b32_e32 v42, v42, v52, vcc
	v_lshlrev_b32_e32 v50, 24, v38
	v_lshlrev_b32_e32 v42, 20, v42
	v_and_b32_e32 v50, 0x80000000, v50
	v_lshl_add_u32 v40, v40, 23, v48
	v_or3_b32 v40, v50, v40, v42
	v_lshrrev_b32_e32 v50, 16, v40
.LBB948_577:                            ;   in Loop: Header=BB948_213 Depth=1
	s_or_b64 exec, exec, s[16:17]
.LBB948_578:                            ;   in Loop: Header=BB948_213 Depth=1
	s_or_b64 exec, exec, s[14:15]
.LBB948_579:                            ;   in Loop: Header=BB948_213 Depth=1
	s_or_b64 exec, exec, s[12:13]
	v_lshrrev_b16_e32 v40, 8, v38
	v_cmp_ne_u16_e32 vcc, 0, v40
	v_mov_b32_e32 v52, 0
	v_mov_b32_e32 v42, 0
	s_and_saveexec_b64 s[12:13], vcc
	s_cbranch_execz .LBB948_585
; %bb.580:                              ;   in Loop: Header=BB948_213 Depth=1
	v_cmp_ne_u16_e32 vcc, s9, v40
	v_mov_b32_e32 v42, 0xffff8000
	s_and_saveexec_b64 s[14:15], vcc
	s_cbranch_execz .LBB948_584
; %bb.581:                              ;   in Loop: Header=BB948_213 Depth=1
	v_and_b32_e32 v53, 0x7f, v40
	v_cmp_ne_u32_e32 vcc, s21, v53
	v_mov_b32_e32 v42, 0x7f80
	s_and_saveexec_b64 s[16:17], vcc
	s_cbranch_execz .LBB948_583
; %bb.582:                              ;   in Loop: Header=BB948_213 Depth=1
	v_and_b32_e32 v42, 7, v40
	v_ffbh_u32_e32 v60, v42
	v_min_u32_e32 v62, 32, v60
	v_subrev_u32_e32 v60, 28, v62
	v_lshlrev_b64 v[60:61], v60, v[40:41]
	v_lshrrev_b32_e32 v59, 3, v53
	v_sub_u32_e32 v40, 29, v62
	v_and_b32_e32 v60, 7, v60
	v_cmp_gt_u32_e32 vcc, 8, v53
	v_cndmask_b32_e32 v40, v59, v40, vcc
	v_cndmask_b32_e32 v42, v42, v60, vcc
	v_lshlrev_b32_e32 v53, 16, v38
	v_lshlrev_b32_e32 v42, 20, v42
	v_and_b32_e32 v53, 0x80000000, v53
	v_lshl_add_u32 v40, v40, 23, v48
	v_or3_b32 v40, v53, v40, v42
	v_lshrrev_b32_e32 v42, 16, v40
.LBB948_583:                            ;   in Loop: Header=BB948_213 Depth=1
	s_or_b64 exec, exec, s[16:17]
.LBB948_584:                            ;   in Loop: Header=BB948_213 Depth=1
	s_or_b64 exec, exec, s[14:15]
.LBB948_585:                            ;   in Loop: Header=BB948_213 Depth=1
	s_or_b64 exec, exec, s[12:13]
	v_lshrrev_b32_e32 v40, 16, v38
	v_cmp_ne_u16_sdwa s[14:15], v40, v47 src0_sel:BYTE_0 src1_sel:DWORD
	s_and_saveexec_b64 s[12:13], s[14:15]
	s_cbranch_execz .LBB948_591
; %bb.586:                              ;   in Loop: Header=BB948_213 Depth=1
	v_cmp_ne_u16_sdwa s[16:17], v40, s9 src0_sel:BYTE_0 src1_sel:DWORD
	v_mov_b32_e32 v52, 0xffff8000
	s_and_saveexec_b64 s[14:15], s[16:17]
	s_cbranch_execz .LBB948_590
; %bb.587:                              ;   in Loop: Header=BB948_213 Depth=1
	v_bfe_u32 v53, v38, 16, 7
	v_cmp_ne_u32_e32 vcc, s21, v53
	v_mov_b32_e32 v52, 0x7f80
	s_and_saveexec_b64 s[16:17], vcc
	s_cbranch_execz .LBB948_589
; %bb.588:                              ;   in Loop: Header=BB948_213 Depth=1
	v_and_b32_e32 v52, 7, v40
	v_ffbh_u32_e32 v60, v52
	v_min_u32_e32 v62, 32, v60
	v_subrev_u32_e32 v60, 28, v62
	v_lshlrev_b64 v[60:61], v60, v[40:41]
	v_lshrrev_b32_e32 v59, 3, v53
	v_sub_u32_e32 v61, 29, v62
	v_and_b32_e32 v60, 7, v60
	v_cmp_gt_u32_e32 vcc, 8, v53
	v_cndmask_b32_e32 v53, v59, v61, vcc
	v_cndmask_b32_e32 v52, v52, v60, vcc
	v_lshlrev_b32_e32 v40, 24, v40
	v_lshlrev_b32_e32 v52, 20, v52
	v_and_b32_e32 v40, 0x80000000, v40
	v_lshl_add_u32 v53, v53, 23, v48
	v_or3_b32 v40, v40, v53, v52
	v_lshrrev_b32_e32 v52, 16, v40
.LBB948_589:                            ;   in Loop: Header=BB948_213 Depth=1
	s_or_b64 exec, exec, s[16:17]
.LBB948_590:                            ;   in Loop: Header=BB948_213 Depth=1
	s_or_b64 exec, exec, s[14:15]
.LBB948_591:                            ;   in Loop: Header=BB948_213 Depth=1
	s_or_b64 exec, exec, s[12:13]
	v_cmp_lt_u32_e32 vcc, s22, v38
	v_mov_b32_e32 v53, 0
	s_and_saveexec_b64 s[12:13], vcc
	s_cbranch_execz .LBB948_212
; %bb.592:                              ;   in Loop: Header=BB948_213 Depth=1
	v_lshrrev_b32_e32 v40, 24, v38
	v_cmp_ne_u32_e32 vcc, s9, v40
	v_mov_b32_e32 v53, 0xffff8000
	s_and_saveexec_b64 s[14:15], vcc
	s_cbranch_execz .LBB948_211
; %bb.593:                              ;   in Loop: Header=BB948_213 Depth=1
	v_bfe_u32 v38, v38, 24, 7
	v_cmp_ne_u32_e32 vcc, s21, v38
	v_mov_b32_e32 v53, 0x7f80
	s_and_saveexec_b64 s[16:17], vcc
	s_cbranch_execz .LBB948_210
; %bb.594:                              ;   in Loop: Header=BB948_213 Depth=1
	v_and_b32_e32 v53, 7, v40
	v_ffbh_u32_e32 v60, v53
	v_min_u32_e32 v62, 32, v60
	v_subrev_u32_e32 v60, 28, v62
	v_lshlrev_b64 v[60:61], v60, v[40:41]
	v_lshrrev_b32_e32 v59, 3, v38
	v_sub_u32_e32 v61, 29, v62
	v_and_b32_e32 v60, 7, v60
	v_cmp_gt_u32_e32 vcc, 8, v38
	v_cndmask_b32_e32 v38, v59, v61, vcc
	v_cndmask_b32_e32 v53, v53, v60, vcc
	v_lshlrev_b32_e32 v40, 24, v40
	v_lshlrev_b32_e32 v53, 20, v53
	v_and_b32_e32 v40, 0x80000000, v40
	v_lshl_add_u32 v38, v38, 23, v48
	v_or3_b32 v38, v40, v38, v53
	v_lshrrev_b32_e32 v53, 16, v38
	s_branch .LBB948_210
.LBB948_595:
	s_barrier
	buffer_load_dword v2, off, s[0:3], 0 offset:320
	buffer_load_dword v5, off, s[0:3], 0 offset:332
	;; [unrolled: 1-line block ×4, first 2 shown]
	v_cmp_gt_u32_e32 vcc, 64, v0
	s_waitcnt vmcnt(0)
	ds_write2st64_b64 v43, v[2:3], v[4:5] offset1:1
	s_waitcnt lgkmcnt(0)
	s_barrier
	s_and_saveexec_b64 s[4:5], vcc
	s_cbranch_execz .LBB948_598
; %bb.596:
	s_lshl_b32 s4, s50, 7
	s_mul_i32 s5, s18, s8
	s_mul_hi_u32 s9, s5, s4
	s_mul_i32 s8, s5, s4
	s_lshl_b64 s[8:9], s[8:9], 1
	s_add_u32 s5, s48, s8
	v_lshlrev_b32_e32 v4, 6, v55
	s_mov_b32 s7, 0
	s_addc_u32 s8, s49, s9
	s_lshl_b32 s6, s24, 7
	v_lshl_or_b32 v0, v0, 10, v4
	s_lshl_b64 s[6:7], s[6:7], 1
	v_lshlrev_b32_e32 v2, 5, v1
	v_and_b32_e32 v3, 16, v56
	v_and_b32_e32 v0, 0x1a00, v0
	s_add_u32 s5, s5, s6
	v_or3_b32 v0, v0, v2, v3
	s_addc_u32 s6, s8, s7
	v_add_u32_e32 v8, s25, v1
	v_mov_b32_e32 v3, s6
	v_add_co_u32_e32 v2, vcc, s5, v54
	ds_read_b128 v[4:7], v0
	v_mad_u64_u32 v[8:9], s[6:7], v8, s4, 0
	v_addc_co_u32_e32 v3, vcc, 0, v3, vcc
	v_lshlrev_b64 v[8:9], 1, v[8:9]
	v_add_co_u32_e32 v8, vcc, v2, v8
	v_addc_co_u32_e32 v9, vcc, v3, v9, vcc
	v_cmp_ne_u32_e32 vcc, 3, v1
	s_waitcnt lgkmcnt(0)
	global_store_dwordx4 v[8:9], v[4:7], off
	s_and_b64 exec, exec, vcc
	s_cbranch_execz .LBB948_598
; %bb.597:
	ds_read_b128 v[4:7], v0 offset:128
	v_add3_u32 v0, s25, v1, 4
	v_mad_u64_u32 v[0:1], s[4:5], v0, s4, 0
	v_lshlrev_b64 v[0:1], 1, v[0:1]
	v_add_co_u32_e32 v0, vcc, v2, v0
	v_addc_co_u32_e32 v1, vcc, v3, v1, vcc
	s_waitcnt lgkmcnt(0)
	global_store_dwordx4 v[0:1], v[4:7], off
.LBB948_598:
	s_endpgm
	.section	.rodata,"a",@progbits
	.p2align	6, 0x0
	.amdhsa_kernel _Z39paged_attention_ll4mi_QKV_mfma16_kernelI14__hip_bfloat16hLN4vllm18Fp8KVCacheDataTypeE1ES0_Li32ELi128ELi256ELb0ELi7EL8MFMAType0EEvPKT_PKT0_S9_ifPKiSB_SB_iPKfiiiPfSE_PS4_PT2_iSD_SD_
		.amdhsa_group_segment_fixed_size 8192
		.amdhsa_private_segment_fixed_size 352
		.amdhsa_kernarg_size 400
		.amdhsa_user_sgpr_count 8
		.amdhsa_user_sgpr_private_segment_buffer 1
		.amdhsa_user_sgpr_dispatch_ptr 0
		.amdhsa_user_sgpr_queue_ptr 0
		.amdhsa_user_sgpr_kernarg_segment_ptr 1
		.amdhsa_user_sgpr_dispatch_id 0
		.amdhsa_user_sgpr_flat_scratch_init 1
		.amdhsa_user_sgpr_kernarg_preload_length 0
		.amdhsa_user_sgpr_kernarg_preload_offset 0
		.amdhsa_user_sgpr_private_segment_size 0
		.amdhsa_uses_dynamic_stack 0
		.amdhsa_system_sgpr_private_segment_wavefront_offset 1
		.amdhsa_system_sgpr_workgroup_id_x 1
		.amdhsa_system_sgpr_workgroup_id_y 1
		.amdhsa_system_sgpr_workgroup_id_z 1
		.amdhsa_system_sgpr_workgroup_info 0
		.amdhsa_system_vgpr_workitem_id 0
		.amdhsa_next_free_vgpr 78
		.amdhsa_next_free_sgpr 53
		.amdhsa_accum_offset 80
		.amdhsa_reserve_vcc 1
		.amdhsa_reserve_flat_scratch 0
		.amdhsa_float_round_mode_32 0
		.amdhsa_float_round_mode_16_64 0
		.amdhsa_float_denorm_mode_32 3
		.amdhsa_float_denorm_mode_16_64 3
		.amdhsa_dx10_clamp 1
		.amdhsa_ieee_mode 1
		.amdhsa_fp16_overflow 0
		.amdhsa_tg_split 0
		.amdhsa_exception_fp_ieee_invalid_op 0
		.amdhsa_exception_fp_denorm_src 0
		.amdhsa_exception_fp_ieee_div_zero 0
		.amdhsa_exception_fp_ieee_overflow 0
		.amdhsa_exception_fp_ieee_underflow 0
		.amdhsa_exception_fp_ieee_inexact 0
		.amdhsa_exception_int_div_zero 0
	.end_amdhsa_kernel
	.section	.text._Z39paged_attention_ll4mi_QKV_mfma16_kernelI14__hip_bfloat16hLN4vllm18Fp8KVCacheDataTypeE1ES0_Li32ELi128ELi256ELb0ELi7EL8MFMAType0EEvPKT_PKT0_S9_ifPKiSB_SB_iPKfiiiPfSE_PS4_PT2_iSD_SD_,"axG",@progbits,_Z39paged_attention_ll4mi_QKV_mfma16_kernelI14__hip_bfloat16hLN4vllm18Fp8KVCacheDataTypeE1ES0_Li32ELi128ELi256ELb0ELi7EL8MFMAType0EEvPKT_PKT0_S9_ifPKiSB_SB_iPKfiiiPfSE_PS4_PT2_iSD_SD_,comdat
.Lfunc_end948:
	.size	_Z39paged_attention_ll4mi_QKV_mfma16_kernelI14__hip_bfloat16hLN4vllm18Fp8KVCacheDataTypeE1ES0_Li32ELi128ELi256ELb0ELi7EL8MFMAType0EEvPKT_PKT0_S9_ifPKiSB_SB_iPKfiiiPfSE_PS4_PT2_iSD_SD_, .Lfunc_end948-_Z39paged_attention_ll4mi_QKV_mfma16_kernelI14__hip_bfloat16hLN4vllm18Fp8KVCacheDataTypeE1ES0_Li32ELi128ELi256ELb0ELi7EL8MFMAType0EEvPKT_PKT0_S9_ifPKiSB_SB_iPKfiiiPfSE_PS4_PT2_iSD_SD_
                                        ; -- End function
	.section	.AMDGPU.csdata,"",@progbits
; Kernel info:
; codeLenInByte = 22268
; NumSgprs: 57
; NumVgprs: 78
; NumAgprs: 0
; TotalNumVgprs: 78
; ScratchSize: 352
; MemoryBound: 0
; FloatMode: 240
; IeeeMode: 1
; LDSByteSize: 8192 bytes/workgroup (compile time only)
; SGPRBlocks: 7
; VGPRBlocks: 9
; NumSGPRsForWavesPerEU: 57
; NumVGPRsForWavesPerEU: 78
; AccumOffset: 80
; Occupancy: 6
; WaveLimiterHint : 1
; COMPUTE_PGM_RSRC2:SCRATCH_EN: 1
; COMPUTE_PGM_RSRC2:USER_SGPR: 8
; COMPUTE_PGM_RSRC2:TRAP_HANDLER: 0
; COMPUTE_PGM_RSRC2:TGID_X_EN: 1
; COMPUTE_PGM_RSRC2:TGID_Y_EN: 1
; COMPUTE_PGM_RSRC2:TGID_Z_EN: 1
; COMPUTE_PGM_RSRC2:TIDIG_COMP_CNT: 0
; COMPUTE_PGM_RSRC3_GFX90A:ACCUM_OFFSET: 19
; COMPUTE_PGM_RSRC3_GFX90A:TG_SPLIT: 0
	.section	.text._Z39paged_attention_ll4mi_QKV_mfma16_kernelI14__hip_bfloat16hLN4vllm18Fp8KVCacheDataTypeE1ES0_Li32ELi128ELi256ELb0ELi8EL8MFMAType0EEvPKT_PKT0_S9_ifPKiSB_SB_iPKfiiiPfSE_PS4_PT2_iSD_SD_,"axG",@progbits,_Z39paged_attention_ll4mi_QKV_mfma16_kernelI14__hip_bfloat16hLN4vllm18Fp8KVCacheDataTypeE1ES0_Li32ELi128ELi256ELb0ELi8EL8MFMAType0EEvPKT_PKT0_S9_ifPKiSB_SB_iPKfiiiPfSE_PS4_PT2_iSD_SD_,comdat
	.protected	_Z39paged_attention_ll4mi_QKV_mfma16_kernelI14__hip_bfloat16hLN4vllm18Fp8KVCacheDataTypeE1ES0_Li32ELi128ELi256ELb0ELi8EL8MFMAType0EEvPKT_PKT0_S9_ifPKiSB_SB_iPKfiiiPfSE_PS4_PT2_iSD_SD_ ; -- Begin function _Z39paged_attention_ll4mi_QKV_mfma16_kernelI14__hip_bfloat16hLN4vllm18Fp8KVCacheDataTypeE1ES0_Li32ELi128ELi256ELb0ELi8EL8MFMAType0EEvPKT_PKT0_S9_ifPKiSB_SB_iPKfiiiPfSE_PS4_PT2_iSD_SD_
	.globl	_Z39paged_attention_ll4mi_QKV_mfma16_kernelI14__hip_bfloat16hLN4vllm18Fp8KVCacheDataTypeE1ES0_Li32ELi128ELi256ELb0ELi8EL8MFMAType0EEvPKT_PKT0_S9_ifPKiSB_SB_iPKfiiiPfSE_PS4_PT2_iSD_SD_
	.p2align	8
	.type	_Z39paged_attention_ll4mi_QKV_mfma16_kernelI14__hip_bfloat16hLN4vllm18Fp8KVCacheDataTypeE1ES0_Li32ELi128ELi256ELb0ELi8EL8MFMAType0EEvPKT_PKT0_S9_ifPKiSB_SB_iPKfiiiPfSE_PS4_PT2_iSD_SD_,@function
_Z39paged_attention_ll4mi_QKV_mfma16_kernelI14__hip_bfloat16hLN4vllm18Fp8KVCacheDataTypeE1ES0_Li32ELi128ELi256ELb0ELi8EL8MFMAType0EEvPKT_PKT0_S9_ifPKiSB_SB_iPKfiiiPfSE_PS4_PT2_iSD_SD_: ; @_Z39paged_attention_ll4mi_QKV_mfma16_kernelI14__hip_bfloat16hLN4vllm18Fp8KVCacheDataTypeE1ES0_Li32ELi128ELi256ELb0ELi8EL8MFMAType0EEvPKT_PKT0_S9_ifPKiSB_SB_iPKfiiiPfSE_PS4_PT2_iSD_SD_
; %bb.0:
	s_load_dwordx2 s[6:7], s[4:5], 0x30
	s_add_u32 s0, s0, s11
	s_addc_u32 s1, s1, 0
	s_mov_b32 s24, s9
	s_mov_b64 s[12:13], 0
	s_waitcnt lgkmcnt(0)
	s_cmp_lg_u64 s[6:7], 0
	s_cselect_b64 s[16:17], -1, 0
	s_and_b64 vcc, exec, s[16:17]
	s_cbranch_vccz .LBB949_7
; %bb.1:
	s_add_i32 s14, s8, 1
	s_mov_b32 s15, 0
	s_lshl_b64 s[18:19], s[14:15], 2
	s_add_u32 s18, s6, s18
	s_mov_b32 s9, s15
	s_addc_u32 s19, s7, s19
	s_lshl_b64 s[14:15], s[8:9], 2
	s_add_u32 s14, s6, s14
	s_addc_u32 s15, s7, s15
	s_load_dword s11, s[18:19], 0x0
	s_load_dword s20, s[14:15], 0x0
	s_waitcnt lgkmcnt(0)
	s_sub_i32 s11, s11, s20
	s_cmp_eq_u32 s11, 1
	s_cselect_b64 s[14:15], -1, 0
	s_andn2_b64 vcc, exec, s[12:13]
	s_cbranch_vccnz .LBB949_3
.LBB949_2:
	s_mov_b32 s9, 0
	s_mov_b64 s[14:15], -1
.LBB949_3:
	s_andn2_b64 vcc, exec, s[14:15]
	s_cbranch_vccnz .LBB949_597
; %bb.4:
	s_load_dwordx2 s[12:13], s[4:5], 0x28
	s_lshl_b64 s[18:19], s[8:9], 2
	s_waitcnt lgkmcnt(0)
	s_add_u32 s12, s12, s18
	s_addc_u32 s13, s13, s19
	s_load_dword s33, s[12:13], 0x0
	s_lshl_b32 s20, s24, 8
	s_waitcnt lgkmcnt(0)
	s_cmp_ge_i32 s20, s33
	s_cbranch_scc1 .LBB949_597
; %bb.5:
	s_add_i32 s14, s33, 31
	s_load_dwordx2 s[12:13], s[4:5], 0x20
	s_load_dword s11, s[4:5], 0x38
	s_ashr_i32 s15, s14, 31
	v_and_b32_e32 v1, 0xcf, v0
	s_lshr_b32 s15, s15, 27
	v_add_u32_e32 v1, s20, v1
	s_add_i32 s14, s14, s15
	v_ashrrev_i32_e32 v2, 31, v1
	s_ashr_i32 s22, s14, 5
	v_lshrrev_b32_e32 v10, 27, v2
	s_add_i32 s22, s22, -1
	v_add_u32_e32 v2, v1, v10
	s_waitcnt lgkmcnt(0)
	s_mul_i32 s14, s8, s11
	s_mov_b32 s15, 0
	v_ashrrev_i32_e32 v2, 5, v2
	v_mov_b32_e32 v11, s22
	v_cmp_gt_i32_e32 vcc, s33, v1
	s_lshl_b64 s[14:15], s[14:15], 2
	v_cndmask_b32_e32 v2, v11, v2, vcc
	s_add_u32 s11, s12, s14
	v_ashrrev_i32_e32 v3, 31, v2
	s_addc_u32 s21, s13, s15
	v_lshlrev_b64 v[2:3], 2, v[2:3]
	v_mov_b32_e32 v5, s21
	v_add_co_u32_e32 v4, vcc, s11, v2
	v_or_b32_e32 v2, 16, v1
	v_addc_co_u32_e32 v5, vcc, v5, v3, vcc
	v_add_u32_e32 v3, v2, v10
	v_ashrrev_i32_e32 v3, 5, v3
	v_cmp_gt_i32_e32 vcc, s33, v2
	v_cndmask_b32_e32 v2, v11, v3, vcc
	v_ashrrev_i32_e32 v3, 31, v2
	v_lshlrev_b64 v[2:3], 2, v[2:3]
	v_mov_b32_e32 v7, s21
	v_add_co_u32_e32 v6, vcc, s11, v2
	v_or_b32_e32 v2, 32, v1
	v_addc_co_u32_e32 v7, vcc, v7, v3, vcc
	v_add_u32_e32 v3, v2, v10
	v_ashrrev_i32_e32 v3, 5, v3
	v_cmp_gt_i32_e32 vcc, s33, v2
	v_cndmask_b32_e32 v2, v11, v3, vcc
	v_ashrrev_i32_e32 v3, 31, v2
	;; [unrolled: 10-line block ×3, first 2 shown]
	v_lshlrev_b64 v[2:3], 2, v[2:3]
	v_mov_b32_e32 v1, s21
	v_add_co_u32_e32 v12, vcc, s11, v2
	v_addc_co_u32_e32 v13, vcc, v1, v3, vcc
	global_load_dword v2, v[4:5], off
	global_load_dword v10, v[6:7], off
	;; [unrolled: 1-line block ×4, first 2 shown]
	s_load_dwordx4 s[12:15], s[4:5], 0x8
	s_andn2_b64 vcc, exec, s[16:17]
	s_cbranch_vccnz .LBB949_8
; %bb.6:
	s_add_u32 s6, s6, s18
	s_addc_u32 s7, s7, s19
	s_load_dword s17, s[6:7], 0x0
	s_branch .LBB949_9
.LBB949_7:
	s_mov_b64 s[14:15], 0
	s_branch .LBB949_2
.LBB949_8:
	s_mov_b32 s17, s8
.LBB949_9:
	s_load_dwordx2 s[48:49], s[4:5], 0x68
	s_load_dwordx8 s[40:47], s[4:5], 0x48
	v_and_b32_e32 v51, 15, v0
	v_lshlrev_b32_e32 v3, 3, v51
	s_movk_i32 s16, 0x80
	v_lshrrev_b32_e32 v60, 6, v0
	v_bfe_u32 v1, v0, 4, 2
	s_lshl_b32 s25, s10, 3
	v_cmp_gt_u32_e32 vcc, s16, v0
	v_lshlrev_b32_e32 v50, 1, v3
	v_lshlrev_b32_e32 v52, 4, v0
	s_and_saveexec_b64 s[6:7], vcc
	s_cbranch_execz .LBB949_11
; %bb.10:
	s_load_dwordx2 s[18:19], s[4:5], 0x0
	s_waitcnt lgkmcnt(0)
	s_ashr_i32 s23, s40, 31
	s_mul_hi_u32 s26, s17, s40
	s_mul_i32 s23, s17, s23
	v_lshl_or_b32 v3, v60, 2, v1
	s_add_i32 s27, s26, s23
	s_mul_i32 s26, s17, s40
	s_lshl_b64 s[26:27], s[26:27], 1
	v_add_lshl_u32 v4, v3, s25, 7
	s_add_u32 s17, s18, s26
	v_ashrrev_i32_e32 v5, 31, v4
	s_addc_u32 s18, s19, s27
	v_lshlrev_b64 v[4:5], 1, v[4:5]
	v_mov_b32_e32 v6, s18
	v_add_co_u32_e32 v4, vcc, s17, v4
	v_addc_co_u32_e32 v5, vcc, v6, v5, vcc
	v_add_co_u32_e32 v4, vcc, v4, v50
	v_addc_co_u32_e32 v5, vcc, 0, v5, vcc
	global_load_dwordx4 v[4:7], v[4:5], off
	v_lshlrev_b32_e32 v9, 8, v0
	v_lshlrev_b32_e32 v8, 8, v51
	v_and_b32_e32 v9, 0x600, v9
	s_movk_i32 s17, 0x800
	v_and_or_b32 v8, v8, s17, v9
	v_lshlrev_b32_e32 v3, 5, v3
	v_and_b32_e32 v9, 16, v52
	v_or3_b32 v3, v8, v3, v9
	s_waitcnt vmcnt(0)
	ds_write_b128 v3, v[4:7]
.LBB949_11:
	s_or_b64 exec, exec, s[6:7]
	s_waitcnt lgkmcnt(0)
	s_mul_i32 s10, s10, s42
	s_add_u32 s6, s12, s10
	s_addc_u32 s7, s13, 0
	v_and_b32_e32 v3, 48, v0
	s_ashr_i32 s12, s20, 31
	v_or_b32_e32 v11, s20, v3
	s_lshr_b32 s12, s12, 27
	v_add_u32_e32 v4, s12, v11
	v_ashrrev_i32_e32 v4, 5, v4
	v_mov_b32_e32 v12, s22
	v_cmp_gt_i32_e32 vcc, s33, v11
	v_cndmask_b32_e32 v4, v12, v4, vcc
	v_ashrrev_i32_e32 v5, 31, v4
	v_lshlrev_b64 v[4:5], 2, v[4:5]
	v_mov_b32_e32 v6, s21
	v_add_co_u32_e32 v4, vcc, s11, v4
	v_addc_co_u32_e32 v5, vcc, v6, v5, vcc
	v_or_b32_e32 v6, 64, v11
	v_add_u32_e32 v7, s12, v6
	v_ashrrev_i32_e32 v7, 5, v7
	v_cmp_gt_i32_e32 vcc, s33, v6
	v_cndmask_b32_e32 v6, v12, v7, vcc
	v_ashrrev_i32_e32 v7, 31, v6
	v_lshlrev_b64 v[6:7], 2, v[6:7]
	v_mov_b32_e32 v8, s21
	v_add_co_u32_e32 v6, vcc, s11, v6
	v_addc_co_u32_e32 v7, vcc, v8, v7, vcc
	v_or_b32_e32 v8, 0x80, v11
	v_add_u32_e32 v9, s12, v8
	v_ashrrev_i32_e32 v9, 5, v9
	v_cmp_gt_i32_e32 vcc, s33, v8
	v_cndmask_b32_e32 v8, v12, v9, vcc
	v_ashrrev_i32_e32 v9, 31, v8
	v_lshlrev_b64 v[8:9], 2, v[8:9]
	v_mov_b32_e32 v13, s21
	v_add_co_u32_e32 v8, vcc, s11, v8
	s_load_dwordx2 s[50:51], s[4:5], 0x94
	s_waitcnt lgkmcnt(0)
	s_barrier
	v_addc_co_u32_e32 v9, vcc, v13, v9, vcc
	global_load_dword v53, v[4:5], off
	global_load_dword v58, v[6:7], off
	;; [unrolled: 1-line block ×3, first 2 shown]
	v_or_b32_e32 v4, 0xc0, v11
	v_add_u32_e32 v5, s12, v4
	v_ashrrev_i32_e32 v5, 5, v5
	v_cmp_gt_i32_e32 vcc, s33, v4
	v_cndmask_b32_e32 v4, v12, v5, vcc
	v_ashrrev_i32_e32 v5, 31, v4
	v_lshlrev_b64 v[4:5], 2, v[4:5]
	v_mov_b32_e32 v6, s21
	v_add_co_u32_e32 v4, vcc, s11, v4
	v_addc_co_u32_e32 v5, vcc, v6, v5, vcc
	global_load_dword v62, v[4:5], off
	v_pk_mov_b32 v[24:25], s[6:7], s[6:7] op_sel:[0,1]
	v_lshlrev_b32_e32 v28, 5, v3
	s_waitcnt vmcnt(7)
	v_mad_i64_i32 v[2:3], s[6:7], v2, s41, v[24:25]
	v_lshlrev_b32_e32 v23, 4, v51
	v_add_co_u32_e32 v2, vcc, v2, v23
	v_addc_co_u32_e32 v3, vcc, 0, v3, vcc
	v_add_co_u32_e32 v12, vcc, v2, v28
	v_addc_co_u32_e32 v13, vcc, 0, v3, vcc
	s_waitcnt vmcnt(6)
	v_mad_i64_i32 v[10:11], s[6:7], v10, s41, v[24:25]
	v_or_b32_e32 v29, 0x100, v23
	v_add_co_u32_e32 v10, vcc, v10, v29
	v_addc_co_u32_e32 v11, vcc, 0, v11, vcc
	v_add_co_u32_e32 v20, vcc, v10, v28
	v_addc_co_u32_e32 v21, vcc, 0, v11, vcc
	s_waitcnt vmcnt(5)
	v_mad_i64_i32 v[18:19], s[6:7], v18, s41, v[24:25]
	v_add_co_u32_e32 v18, vcc, v18, v23
	v_addc_co_u32_e32 v19, vcc, 0, v19, vcc
	v_add_co_u32_e32 v26, vcc, v18, v28
	v_addc_co_u32_e32 v27, vcc, 0, v19, vcc
	s_waitcnt vmcnt(4)
	v_mad_i64_i32 v[22:23], s[6:7], v22, s41, v[24:25]
	v_add_co_u32_e32 v22, vcc, v22, v29
	v_addc_co_u32_e32 v23, vcc, 0, v23, vcc
	v_add_co_u32_e32 v30, vcc, v22, v28
	v_addc_co_u32_e32 v31, vcc, 0, v23, vcc
	s_add_u32 s6, s14, s10
	global_load_dwordx4 v[6:9], v[12:13], off
	global_load_dwordx4 v[2:5], v[12:13], off offset:2048
	s_nop 0
	global_load_dwordx4 v[10:13], v[20:21], off
	global_load_dwordx4 v[14:17], v[20:21], off offset:2048
	global_load_dwordx4 v[34:37], v[26:27], off
	s_nop 0
	global_load_dwordx4 v[18:21], v[26:27], off offset:2048
	s_nop 0
	global_load_dwordx4 v[26:29], v[30:31], off
	global_load_dwordx4 v[22:25], v[30:31], off offset:2048
	s_addc_u32 s7, s15, 0
	v_and_b32_e32 v30, 16, v0
	v_mov_b32_e32 v31, s7
	v_add_co_u32_e32 v54, vcc, s6, v30
	v_lshl_or_b32 v61, v60, 4, v51
	v_addc_co_u32_e32 v55, vcc, 0, v31, vcc
	v_lshlrev_b32_e32 v56, 5, v61
	v_add_co_u32_e32 v42, vcc, v54, v56
	v_addc_co_u32_e32 v43, vcc, 0, v55, vcc
	v_or_b32_e32 v56, 0x800, v56
	v_add_co_u32_e32 v54, vcc, v54, v56
	s_waitcnt vmcnt(11)
	v_mad_i64_i32 v[30:31], s[6:7], v53, s41, v[42:43]
	s_waitcnt vmcnt(10)
	v_mad_i64_i32 v[38:39], s[6:7], v58, s41, v[42:43]
	;; [unrolled: 2-line block ×3, first 2 shown]
	global_load_dwordx4 v[30:33], v[30:31], off
	v_addc_co_u32_e32 v55, vcc, 0, v55, vcc
	global_load_dwordx4 v[38:41], v[38:39], off
	v_mad_i64_i32 v[56:57], s[6:7], v53, s41, v[54:55]
	s_mov_b32 s12, 0
	s_movk_i32 s13, 0x7f
	s_waitcnt vmcnt(10)
	v_mad_i64_i32 v[42:43], s[6:7], v62, s41, v[42:43]
	global_load_dwordx4 v[46:49], v[44:45], off
	s_nop 0
	global_load_dwordx4 v[42:45], v[42:43], off
	s_mov_b32 s14, 0xffffff
	global_load_dwordx4 v[64:67], v[56:57], off
	v_mad_i64_i32 v[56:57], s[6:7], v58, s41, v[54:55]
	global_load_dwordx4 v[68:71], v[56:57], off
	v_mad_i64_i32 v[56:57], s[6:7], v59, s41, v[54:55]
	v_mad_i64_i32 v[54:55], s[6:7], v62, s41, v[54:55]
	global_load_dwordx4 v[72:75], v[56:57], off
	global_load_dwordx4 v[76:79], v[54:55], off
	s_waitcnt vmcnt(15)
	buffer_store_dword v9, off, s[0:3], 0 offset:12
	buffer_store_dword v8, off, s[0:3], 0 offset:8
	;; [unrolled: 1-line block ×3, first 2 shown]
	buffer_store_dword v6, off, s[0:3], 0
	s_waitcnt vmcnt(18)
	buffer_store_dword v5, off, s[0:3], 0 offset:28
	buffer_store_dword v4, off, s[0:3], 0 offset:24
	;; [unrolled: 1-line block ×4, first 2 shown]
	s_waitcnt vmcnt(21)
	buffer_store_dword v13, off, s[0:3], 0 offset:44
	buffer_store_dword v12, off, s[0:3], 0 offset:40
	;; [unrolled: 1-line block ×4, first 2 shown]
	s_load_dword s6, s[4:5], 0x1c
	s_load_dwordx4 s[40:43], s[4:5], 0x80
	v_mov_b32_e32 v2, 0x80
	v_add_u32_e32 v53, 16, v2
	v_add_u32_e32 v59, 32, v2
	;; [unrolled: 1-line block ×7, first 2 shown]
	v_and_b32_e32 v2, 7, v0
	v_lshlrev_b32_e32 v2, 5, v2
	s_waitcnt vmcnt(24)
	buffer_store_dword v17, off, s[0:3], 0 offset:60
	buffer_store_dword v16, off, s[0:3], 0 offset:56
	;; [unrolled: 1-line block ×4, first 2 shown]
	s_waitcnt vmcnt(27)
	buffer_store_dword v37, off, s[0:3], 0 offset:76
	buffer_store_dword v36, off, s[0:3], 0 offset:72
	;; [unrolled: 1-line block ×4, first 2 shown]
	v_lshl_or_b32 v14, v1, 9, v2
	ds_read_b128 v[2:5], v14
	ds_read_b128 v[6:9], v14 offset:16
	ds_read_b128 v[10:13], v14 offset:2048
	;; [unrolled: 1-line block ×3, first 2 shown]
	s_waitcnt vmcnt(30)
	buffer_store_dword v21, off, s[0:3], 0 offset:92
	buffer_store_dword v20, off, s[0:3], 0 offset:88
	buffer_store_dword v19, off, s[0:3], 0 offset:84
	buffer_store_dword v18, off, s[0:3], 0 offset:80
	s_waitcnt vmcnt(33)
	buffer_store_dword v29, off, s[0:3], 0 offset:108
	buffer_store_dword v28, off, s[0:3], 0 offset:104
	buffer_store_dword v27, off, s[0:3], 0 offset:100
	buffer_store_dword v26, off, s[0:3], 0 offset:96
	;; [unrolled: 5-line block ×10, first 2 shown]
	s_waitcnt vmcnt(60)
	buffer_store_dword v79, off, s[0:3], 0 offset:252
	s_waitcnt lgkmcnt(0)
	s_load_dword s4, s[40:41], 0x0
	v_mov_b32_e32 v18, s6
	v_and_b32_e32 v62, 63, v0
	v_mov_b32_e32 v27, 0
	s_mov_b32 s15, 0x5040100
	s_waitcnt lgkmcnt(0)
	v_mul_f32_e32 v22, s4, v18
	v_mov_b32_e32 v24, v22
	v_mov_b32_e32 v25, v22
	;; [unrolled: 1-line block ×4, first 2 shown]
	v_bfrev_b32_e32 v33, 60
	buffer_store_dword v78, off, s[0:3], 0 offset:248
	buffer_store_dword v77, off, s[0:3], 0 offset:244
	;; [unrolled: 1-line block ×3, first 2 shown]
	s_branch .LBB949_15
.LBB949_12:                             ;   in Loop: Header=BB949_15 Depth=1
	s_or_b64 exec, exec, s[10:11]
.LBB949_13:                             ;   in Loop: Header=BB949_15 Depth=1
	s_or_b64 exec, exec, s[6:7]
.LBB949_14:                             ;   in Loop: Header=BB949_15 Depth=1
	s_or_b64 exec, exec, s[4:5]
	v_perm_b32 v41, v36, v32, s15
	v_perm_b32 v40, v23, v34, s15
	;; [unrolled: 1-line block ×4, first 2 shown]
	v_add_u32_e32 v26, s12, v29
	v_mfma_f32_16x16x16bf16_1k v[18:21], v[40:41], v[14:15], v[18:21]
	s_add_i32 s12, s12, 16
	v_mov_b32_e32 v23, v22
	s_cmp_eq_u32 s12, 64
	v_add_u32_e32 v27, 32, v27
	v_mfma_f32_16x16x16bf16_1k v[18:21], v[36:37], v[16:17], v[18:21]
	s_nop 7
	s_nop 2
	v_pk_mul_f32 v[18:19], v[24:25], v[18:19]
	v_pk_mul_f32 v[20:21], v[22:23], v[20:21]
	buffer_store_dword v19, v26, s[0:3], 0 offen offset:4
	buffer_store_dword v18, v26, s[0:3], 0 offen
	buffer_store_dword v21, v26, s[0:3], 0 offen offset:12
	buffer_store_dword v20, v26, s[0:3], 0 offen offset:8
	s_cbranch_scc1 .LBB949_205
.LBB949_15:                             ; =>This Inner Loop Header: Depth=1
	buffer_load_dword v20, v27, s[0:3], 0 offen
	buffer_load_dword v18, v27, s[0:3], 0 offen offset:4
	buffer_load_dword v28, v27, s[0:3], 0 offen offset:8
	;; [unrolled: 1-line block ×3, first 2 shown]
	v_mov_b32_e32 v19, 0
	s_waitcnt vmcnt(3)
	v_cmp_ne_u16_sdwa s[6:7], v20, v31 src0_sel:BYTE_0 src1_sel:DWORD
	s_and_saveexec_b64 s[4:5], s[6:7]
	s_cbranch_execz .LBB949_21
; %bb.16:                               ;   in Loop: Header=BB949_15 Depth=1
	v_cmp_ne_u16_sdwa s[10:11], v20, s16 src0_sel:BYTE_0 src1_sel:DWORD
	v_mov_b32_e32 v19, 0xffff8000
	s_and_saveexec_b64 s[6:7], s[10:11]
	s_cbranch_execz .LBB949_20
; %bb.17:                               ;   in Loop: Header=BB949_15 Depth=1
	v_and_b32_e32 v21, 0x7f, v20
	v_cmp_ne_u32_e32 vcc, s13, v21
	v_mov_b32_e32 v19, 0x7f80
	s_and_saveexec_b64 s[10:11], vcc
	s_cbranch_execz .LBB949_19
; %bb.18:                               ;   in Loop: Header=BB949_15 Depth=1
	v_and_b32_e32 v19, 7, v20
	v_ffbh_u32_e32 v30, v19
	v_min_u32_e32 v30, 32, v30
	v_subrev_u32_e32 v32, 28, v30
	v_lshlrev_b64 v[34:35], v32, v[20:21]
	v_lshrrev_b32_e32 v23, 3, v21
	v_sub_u32_e32 v30, 29, v30
	v_and_b32_e32 v32, 7, v34
	v_cmp_gt_u32_e32 vcc, 8, v21
	v_cndmask_b32_e32 v21, v23, v30, vcc
	v_cndmask_b32_e32 v19, v19, v32, vcc
	v_lshlrev_b32_e32 v23, 24, v20
	v_lshlrev_b32_e32 v19, 20, v19
	v_and_b32_e32 v23, 0x80000000, v23
	v_lshl_add_u32 v21, v21, 23, v33
	v_or3_b32 v19, v23, v21, v19
	v_lshrrev_b32_e32 v19, 16, v19
.LBB949_19:                             ;   in Loop: Header=BB949_15 Depth=1
	s_or_b64 exec, exec, s[10:11]
.LBB949_20:                             ;   in Loop: Header=BB949_15 Depth=1
	s_or_b64 exec, exec, s[6:7]
.LBB949_21:                             ;   in Loop: Header=BB949_15 Depth=1
	s_or_b64 exec, exec, s[4:5]
	v_lshrrev_b16_e32 v30, 8, v20
	v_cmp_ne_u16_e32 vcc, 0, v30
	v_mov_b32_e32 v23, 0
	v_mov_b32_e32 v21, 0
	s_and_saveexec_b64 s[4:5], vcc
	s_cbranch_execz .LBB949_27
; %bb.22:                               ;   in Loop: Header=BB949_15 Depth=1
	v_cmp_ne_u16_e32 vcc, s16, v30
	v_mov_b32_e32 v21, 0xffff8000
	s_and_saveexec_b64 s[6:7], vcc
	s_cbranch_execz .LBB949_26
; %bb.23:                               ;   in Loop: Header=BB949_15 Depth=1
	v_and_b32_e32 v32, 0x7f, v30
	v_cmp_ne_u32_e32 vcc, s13, v32
	v_mov_b32_e32 v21, 0x7f80
	s_and_saveexec_b64 s[10:11], vcc
	s_cbranch_execz .LBB949_25
; %bb.24:                               ;   in Loop: Header=BB949_15 Depth=1
	v_and_b32_e32 v21, 7, v30
	v_ffbh_u32_e32 v34, v21
	v_min_u32_e32 v37, 32, v34
	v_subrev_u32_e32 v34, 28, v37
	v_lshlrev_b64 v[34:35], v34, v[30:31]
	v_lshrrev_b32_e32 v36, 3, v32
	v_sub_u32_e32 v30, 29, v37
	v_and_b32_e32 v34, 7, v34
	v_cmp_gt_u32_e32 vcc, 8, v32
	v_cndmask_b32_e32 v30, v36, v30, vcc
	v_cndmask_b32_e32 v21, v21, v34, vcc
	v_lshlrev_b32_e32 v32, 16, v20
	v_lshlrev_b32_e32 v21, 20, v21
	v_and_b32_e32 v32, 0x80000000, v32
	v_lshl_add_u32 v30, v30, 23, v33
	v_or3_b32 v21, v32, v30, v21
	v_lshrrev_b32_e32 v21, 16, v21
.LBB949_25:                             ;   in Loop: Header=BB949_15 Depth=1
	s_or_b64 exec, exec, s[10:11]
.LBB949_26:                             ;   in Loop: Header=BB949_15 Depth=1
	s_or_b64 exec, exec, s[6:7]
.LBB949_27:                             ;   in Loop: Header=BB949_15 Depth=1
	s_or_b64 exec, exec, s[4:5]
	v_lshrrev_b32_e32 v30, 16, v20
	v_cmp_ne_u16_sdwa s[6:7], v30, v31 src0_sel:BYTE_0 src1_sel:DWORD
	s_and_saveexec_b64 s[4:5], s[6:7]
	s_cbranch_execz .LBB949_33
; %bb.28:                               ;   in Loop: Header=BB949_15 Depth=1
	v_cmp_ne_u16_sdwa s[10:11], v30, s16 src0_sel:BYTE_0 src1_sel:DWORD
	v_mov_b32_e32 v23, 0xffff8000
	s_and_saveexec_b64 s[6:7], s[10:11]
	s_cbranch_execz .LBB949_32
; %bb.29:                               ;   in Loop: Header=BB949_15 Depth=1
	v_bfe_u32 v32, v20, 16, 7
	v_cmp_ne_u32_e32 vcc, s13, v32
	v_mov_b32_e32 v23, 0x7f80
	s_and_saveexec_b64 s[10:11], vcc
	s_cbranch_execz .LBB949_31
; %bb.30:                               ;   in Loop: Header=BB949_15 Depth=1
	v_and_b32_e32 v23, 7, v30
	v_ffbh_u32_e32 v34, v23
	v_min_u32_e32 v37, 32, v34
	v_subrev_u32_e32 v34, 28, v37
	v_lshlrev_b64 v[34:35], v34, v[30:31]
	v_lshrrev_b32_e32 v36, 3, v32
	v_sub_u32_e32 v35, 29, v37
	v_and_b32_e32 v34, 7, v34
	v_cmp_gt_u32_e32 vcc, 8, v32
	v_cndmask_b32_e32 v32, v36, v35, vcc
	v_cndmask_b32_e32 v23, v23, v34, vcc
	v_lshlrev_b32_e32 v30, 24, v30
	v_lshlrev_b32_e32 v23, 20, v23
	v_and_b32_e32 v30, 0x80000000, v30
	v_lshl_add_u32 v32, v32, 23, v33
	v_or3_b32 v23, v30, v32, v23
	v_lshrrev_b32_e32 v23, 16, v23
.LBB949_31:                             ;   in Loop: Header=BB949_15 Depth=1
	s_or_b64 exec, exec, s[10:11]
.LBB949_32:                             ;   in Loop: Header=BB949_15 Depth=1
	s_or_b64 exec, exec, s[6:7]
.LBB949_33:                             ;   in Loop: Header=BB949_15 Depth=1
	s_or_b64 exec, exec, s[4:5]
	v_cmp_lt_u32_e32 vcc, s14, v20
	v_mov_b32_e32 v34, 0
	v_mov_b32_e32 v35, 0
	s_and_saveexec_b64 s[4:5], vcc
	s_cbranch_execz .LBB949_39
; %bb.34:                               ;   in Loop: Header=BB949_15 Depth=1
	v_lshrrev_b32_e32 v30, 24, v20
	v_cmp_ne_u32_e32 vcc, s16, v30
	v_mov_b32_e32 v35, 0xffff8000
	s_and_saveexec_b64 s[6:7], vcc
	s_cbranch_execz .LBB949_38
; %bb.35:                               ;   in Loop: Header=BB949_15 Depth=1
	v_bfe_u32 v20, v20, 24, 7
	v_cmp_ne_u32_e32 vcc, s13, v20
	v_mov_b32_e32 v35, 0x7f80
	s_and_saveexec_b64 s[10:11], vcc
	s_cbranch_execz .LBB949_37
; %bb.36:                               ;   in Loop: Header=BB949_15 Depth=1
	v_and_b32_e32 v32, 7, v30
	v_ffbh_u32_e32 v36, v32
	v_min_u32_e32 v38, 32, v36
	v_subrev_u32_e32 v36, 28, v38
	v_lshlrev_b64 v[36:37], v36, v[30:31]
	v_lshrrev_b32_e32 v35, 3, v20
	v_sub_u32_e32 v37, 29, v38
	v_and_b32_e32 v36, 7, v36
	v_cmp_gt_u32_e32 vcc, 8, v20
	v_cndmask_b32_e32 v20, v35, v37, vcc
	v_cndmask_b32_e32 v32, v32, v36, vcc
	v_lshlrev_b32_e32 v30, 24, v30
	v_lshlrev_b32_e32 v32, 20, v32
	v_and_b32_e32 v30, 0x80000000, v30
	v_lshl_add_u32 v20, v20, 23, v33
	v_or3_b32 v20, v30, v20, v32
	v_lshrrev_b32_e32 v35, 16, v20
.LBB949_37:                             ;   in Loop: Header=BB949_15 Depth=1
	s_or_b64 exec, exec, s[10:11]
.LBB949_38:                             ;   in Loop: Header=BB949_15 Depth=1
	s_or_b64 exec, exec, s[6:7]
.LBB949_39:                             ;   in Loop: Header=BB949_15 Depth=1
	s_or_b64 exec, exec, s[4:5]
	s_waitcnt vmcnt(2)
	v_cmp_ne_u16_sdwa s[6:7], v18, v31 src0_sel:BYTE_0 src1_sel:DWORD
	s_and_saveexec_b64 s[4:5], s[6:7]
	s_cbranch_execz .LBB949_45
; %bb.40:                               ;   in Loop: Header=BB949_15 Depth=1
	v_cmp_ne_u16_sdwa s[10:11], v18, s16 src0_sel:BYTE_0 src1_sel:DWORD
	v_mov_b32_e32 v34, 0xffff8000
	s_and_saveexec_b64 s[6:7], s[10:11]
	s_cbranch_execz .LBB949_44
; %bb.41:                               ;   in Loop: Header=BB949_15 Depth=1
	v_and_b32_e32 v20, 0x7f, v18
	v_cmp_ne_u32_e32 vcc, s13, v20
	v_mov_b32_e32 v34, 0x7f80
	s_and_saveexec_b64 s[10:11], vcc
	s_cbranch_execz .LBB949_43
; %bb.42:                               ;   in Loop: Header=BB949_15 Depth=1
	v_and_b32_e32 v30, 7, v18
	v_ffbh_u32_e32 v34, v30
	v_min_u32_e32 v34, 32, v34
	v_subrev_u32_e32 v36, 28, v34
	v_lshlrev_b64 v[36:37], v36, v[18:19]
	v_lshrrev_b32_e32 v32, 3, v20
	v_sub_u32_e32 v34, 29, v34
	v_and_b32_e32 v36, 7, v36
	v_cmp_gt_u32_e32 vcc, 8, v20
	v_cndmask_b32_e32 v20, v32, v34, vcc
	v_cndmask_b32_e32 v30, v30, v36, vcc
	v_lshlrev_b32_e32 v32, 24, v18
	v_lshlrev_b32_e32 v30, 20, v30
	v_and_b32_e32 v32, 0x80000000, v32
	v_lshl_add_u32 v20, v20, 23, v33
	v_or3_b32 v20, v32, v20, v30
	v_lshrrev_b32_e32 v34, 16, v20
.LBB949_43:                             ;   in Loop: Header=BB949_15 Depth=1
	s_or_b64 exec, exec, s[10:11]
.LBB949_44:                             ;   in Loop: Header=BB949_15 Depth=1
	s_or_b64 exec, exec, s[6:7]
.LBB949_45:                             ;   in Loop: Header=BB949_15 Depth=1
	s_or_b64 exec, exec, s[4:5]
	v_lshrrev_b16_e32 v20, 8, v18
	v_cmp_ne_u16_e32 vcc, 0, v20
	v_mov_b32_e32 v36, 0
	v_mov_b32_e32 v30, 0
	s_and_saveexec_b64 s[4:5], vcc
	s_cbranch_execz .LBB949_51
; %bb.46:                               ;   in Loop: Header=BB949_15 Depth=1
	v_cmp_ne_u16_e32 vcc, s16, v20
	v_mov_b32_e32 v30, 0xffff8000
	s_and_saveexec_b64 s[6:7], vcc
	s_cbranch_execz .LBB949_50
; %bb.47:                               ;   in Loop: Header=BB949_15 Depth=1
	v_and_b32_e32 v32, 0x7f, v20
	v_cmp_ne_u32_e32 vcc, s13, v32
	v_mov_b32_e32 v30, 0x7f80
	s_and_saveexec_b64 s[10:11], vcc
	s_cbranch_execz .LBB949_49
; %bb.48:                               ;   in Loop: Header=BB949_15 Depth=1
	v_and_b32_e32 v30, 7, v20
	v_ffbh_u32_e32 v38, v30
	v_min_u32_e32 v40, 32, v38
	v_subrev_u32_e32 v38, 28, v40
	v_lshlrev_b64 v[38:39], v38, v[20:21]
	v_lshrrev_b32_e32 v37, 3, v32
	v_sub_u32_e32 v20, 29, v40
	v_and_b32_e32 v38, 7, v38
	v_cmp_gt_u32_e32 vcc, 8, v32
	v_cndmask_b32_e32 v20, v37, v20, vcc
	v_cndmask_b32_e32 v30, v30, v38, vcc
	v_lshlrev_b32_e32 v32, 16, v18
	v_lshlrev_b32_e32 v30, 20, v30
	v_and_b32_e32 v32, 0x80000000, v32
	v_lshl_add_u32 v20, v20, 23, v33
	v_or3_b32 v20, v32, v20, v30
	v_lshrrev_b32_e32 v30, 16, v20
.LBB949_49:                             ;   in Loop: Header=BB949_15 Depth=1
	s_or_b64 exec, exec, s[10:11]
.LBB949_50:                             ;   in Loop: Header=BB949_15 Depth=1
	s_or_b64 exec, exec, s[6:7]
.LBB949_51:                             ;   in Loop: Header=BB949_15 Depth=1
	s_or_b64 exec, exec, s[4:5]
	v_lshrrev_b32_e32 v20, 16, v18
	v_cmp_ne_u16_sdwa s[6:7], v20, v31 src0_sel:BYTE_0 src1_sel:DWORD
	s_and_saveexec_b64 s[4:5], s[6:7]
	s_cbranch_execz .LBB949_57
; %bb.52:                               ;   in Loop: Header=BB949_15 Depth=1
	v_cmp_ne_u16_sdwa s[10:11], v20, s16 src0_sel:BYTE_0 src1_sel:DWORD
	v_mov_b32_e32 v36, 0xffff8000
	s_and_saveexec_b64 s[6:7], s[10:11]
	s_cbranch_execz .LBB949_56
; %bb.53:                               ;   in Loop: Header=BB949_15 Depth=1
	v_bfe_u32 v32, v18, 16, 7
	v_cmp_ne_u32_e32 vcc, s13, v32
	v_mov_b32_e32 v36, 0x7f80
	s_and_saveexec_b64 s[10:11], vcc
	s_cbranch_execz .LBB949_55
; %bb.54:                               ;   in Loop: Header=BB949_15 Depth=1
	v_and_b32_e32 v38, 7, v20
	v_ffbh_u32_e32 v36, v38
	v_min_u32_e32 v40, 32, v36
	v_subrev_u32_e32 v36, 28, v40
	v_lshlrev_b64 v[36:37], v36, v[20:21]
	v_lshrrev_b32_e32 v39, 3, v32
	v_sub_u32_e32 v37, 29, v40
	v_and_b32_e32 v36, 7, v36
	v_cmp_gt_u32_e32 vcc, 8, v32
	v_cndmask_b32_e32 v32, v39, v37, vcc
	v_cndmask_b32_e32 v36, v38, v36, vcc
	v_lshlrev_b32_e32 v20, 24, v20
	v_lshlrev_b32_e32 v36, 20, v36
	v_and_b32_e32 v20, 0x80000000, v20
	v_lshl_add_u32 v32, v32, 23, v33
	v_or3_b32 v20, v20, v32, v36
	v_lshrrev_b32_e32 v36, 16, v20
.LBB949_55:                             ;   in Loop: Header=BB949_15 Depth=1
	s_or_b64 exec, exec, s[10:11]
.LBB949_56:                             ;   in Loop: Header=BB949_15 Depth=1
	s_or_b64 exec, exec, s[6:7]
.LBB949_57:                             ;   in Loop: Header=BB949_15 Depth=1
	s_or_b64 exec, exec, s[4:5]
	v_cmp_lt_u32_e32 vcc, s14, v18
	v_mov_b32_e32 v32, 0
	v_mov_b32_e32 v37, 0
	s_and_saveexec_b64 s[4:5], vcc
	s_cbranch_execz .LBB949_63
; %bb.58:                               ;   in Loop: Header=BB949_15 Depth=1
	v_lshrrev_b32_e32 v20, 24, v18
	v_cmp_ne_u32_e32 vcc, s16, v20
	v_mov_b32_e32 v37, 0xffff8000
	s_and_saveexec_b64 s[6:7], vcc
	s_cbranch_execz .LBB949_62
; %bb.59:                               ;   in Loop: Header=BB949_15 Depth=1
	v_bfe_u32 v18, v18, 24, 7
	v_cmp_ne_u32_e32 vcc, s13, v18
	v_mov_b32_e32 v37, 0x7f80
	s_and_saveexec_b64 s[10:11], vcc
	s_cbranch_execz .LBB949_61
; %bb.60:                               ;   in Loop: Header=BB949_15 Depth=1
	v_and_b32_e32 v37, 7, v20
	v_ffbh_u32_e32 v38, v37
	v_min_u32_e32 v41, 32, v38
	v_subrev_u32_e32 v38, 28, v41
	v_lshlrev_b64 v[38:39], v38, v[20:21]
	v_lshrrev_b32_e32 v40, 3, v18
	v_sub_u32_e32 v39, 29, v41
	v_and_b32_e32 v38, 7, v38
	v_cmp_gt_u32_e32 vcc, 8, v18
	v_cndmask_b32_e32 v18, v40, v39, vcc
	v_cndmask_b32_e32 v37, v37, v38, vcc
	v_lshlrev_b32_e32 v20, 24, v20
	v_lshlrev_b32_e32 v37, 20, v37
	v_and_b32_e32 v20, 0x80000000, v20
	v_lshl_add_u32 v18, v18, 23, v33
	v_or3_b32 v18, v20, v18, v37
	v_lshrrev_b32_e32 v37, 16, v18
.LBB949_61:                             ;   in Loop: Header=BB949_15 Depth=1
	s_or_b64 exec, exec, s[10:11]
.LBB949_62:                             ;   in Loop: Header=BB949_15 Depth=1
	s_or_b64 exec, exec, s[6:7]
.LBB949_63:                             ;   in Loop: Header=BB949_15 Depth=1
	s_or_b64 exec, exec, s[4:5]
	v_perm_b32 v39, v35, v23, s15
	v_perm_b32 v38, v21, v19, s15
	;; [unrolled: 1-line block ×4, first 2 shown]
	s_waitcnt vmcnt(1)
	v_cmp_ne_u16_sdwa s[6:7], v28, v31 src0_sel:BYTE_0 src1_sel:DWORD
	v_mfma_f32_16x16x16bf16_1k v[18:21], v[38:39], v[2:3], 0
	v_mfma_f32_16x16x16bf16_1k v[18:21], v[34:35], v[4:5], v[18:21]
	s_and_saveexec_b64 s[4:5], s[6:7]
	s_cbranch_execz .LBB949_69
; %bb.64:                               ;   in Loop: Header=BB949_15 Depth=1
	v_cmp_ne_u16_sdwa s[10:11], v28, s16 src0_sel:BYTE_0 src1_sel:DWORD
	v_mov_b32_e32 v32, 0xffff8000
	s_and_saveexec_b64 s[6:7], s[10:11]
	s_cbranch_execz .LBB949_68
; %bb.65:                               ;   in Loop: Header=BB949_15 Depth=1
	v_and_b32_e32 v23, 0x7f, v28
	v_cmp_ne_u32_e32 vcc, s13, v23
	v_mov_b32_e32 v32, 0x7f80
	s_and_saveexec_b64 s[10:11], vcc
	s_cbranch_execz .LBB949_67
; %bb.66:                               ;   in Loop: Header=BB949_15 Depth=1
	v_and_b32_e32 v30, 7, v28
	v_ffbh_u32_e32 v34, v30
	v_min_u32_e32 v36, 32, v34
	v_subrev_u32_e32 v34, 28, v36
	v_lshlrev_b64 v[34:35], v34, v[28:29]
	v_lshrrev_b32_e32 v32, 3, v23
	v_sub_u32_e32 v35, 29, v36
	v_and_b32_e32 v34, 7, v34
	v_cmp_gt_u32_e32 vcc, 8, v23
	v_cndmask_b32_e32 v23, v32, v35, vcc
	v_cndmask_b32_e32 v30, v30, v34, vcc
	v_lshlrev_b32_e32 v32, 24, v28
	v_lshlrev_b32_e32 v30, 20, v30
	v_and_b32_e32 v32, 0x80000000, v32
	v_lshl_add_u32 v23, v23, 23, v33
	v_or3_b32 v23, v32, v23, v30
	v_lshrrev_b32_e32 v32, 16, v23
.LBB949_67:                             ;   in Loop: Header=BB949_15 Depth=1
	s_or_b64 exec, exec, s[10:11]
.LBB949_68:                             ;   in Loop: Header=BB949_15 Depth=1
	s_or_b64 exec, exec, s[6:7]
.LBB949_69:                             ;   in Loop: Header=BB949_15 Depth=1
	s_or_b64 exec, exec, s[4:5]
	v_lshrrev_b16_e32 v30, 8, v28
	v_cmp_ne_u16_e32 vcc, 0, v30
	v_mov_b32_e32 v35, 0
	v_mov_b32_e32 v34, 0
	s_and_saveexec_b64 s[4:5], vcc
	s_cbranch_execz .LBB949_75
; %bb.70:                               ;   in Loop: Header=BB949_15 Depth=1
	v_cmp_ne_u16_e32 vcc, s16, v30
	v_mov_b32_e32 v34, 0xffff8000
	s_and_saveexec_b64 s[6:7], vcc
	s_cbranch_execz .LBB949_74
; %bb.71:                               ;   in Loop: Header=BB949_15 Depth=1
	v_and_b32_e32 v23, 0x7f, v30
	v_cmp_ne_u32_e32 vcc, s13, v23
	v_mov_b32_e32 v34, 0x7f80
	s_and_saveexec_b64 s[10:11], vcc
	s_cbranch_execz .LBB949_73
; %bb.72:                               ;   in Loop: Header=BB949_15 Depth=1
	v_and_b32_e32 v34, 7, v30
	v_ffbh_u32_e32 v36, v34
	v_min_u32_e32 v39, 32, v36
	v_subrev_u32_e32 v36, 28, v39
	v_lshlrev_b64 v[36:37], v36, v[30:31]
	v_lshrrev_b32_e32 v38, 3, v23
	v_sub_u32_e32 v30, 29, v39
	v_and_b32_e32 v36, 7, v36
	v_cmp_gt_u32_e32 vcc, 8, v23
	v_cndmask_b32_e32 v23, v38, v30, vcc
	v_cndmask_b32_e32 v30, v34, v36, vcc
	v_lshlrev_b32_e32 v34, 16, v28
	v_lshlrev_b32_e32 v30, 20, v30
	v_and_b32_e32 v34, 0x80000000, v34
	v_lshl_add_u32 v23, v23, 23, v33
	v_or3_b32 v23, v34, v23, v30
	v_lshrrev_b32_e32 v34, 16, v23
.LBB949_73:                             ;   in Loop: Header=BB949_15 Depth=1
	s_or_b64 exec, exec, s[10:11]
.LBB949_74:                             ;   in Loop: Header=BB949_15 Depth=1
	s_or_b64 exec, exec, s[6:7]
.LBB949_75:                             ;   in Loop: Header=BB949_15 Depth=1
	s_or_b64 exec, exec, s[4:5]
	v_lshrrev_b32_e32 v30, 16, v28
	v_cmp_ne_u16_sdwa s[6:7], v30, v31 src0_sel:BYTE_0 src1_sel:DWORD
	s_and_saveexec_b64 s[4:5], s[6:7]
	s_cbranch_execz .LBB949_81
; %bb.76:                               ;   in Loop: Header=BB949_15 Depth=1
	v_cmp_ne_u16_sdwa s[10:11], v30, s16 src0_sel:BYTE_0 src1_sel:DWORD
	v_mov_b32_e32 v35, 0xffff8000
	s_and_saveexec_b64 s[6:7], s[10:11]
	s_cbranch_execz .LBB949_80
; %bb.77:                               ;   in Loop: Header=BB949_15 Depth=1
	v_bfe_u32 v23, v28, 16, 7
	v_cmp_ne_u32_e32 vcc, s13, v23
	v_mov_b32_e32 v35, 0x7f80
	s_and_saveexec_b64 s[10:11], vcc
	s_cbranch_execz .LBB949_79
; %bb.78:                               ;   in Loop: Header=BB949_15 Depth=1
	v_and_b32_e32 v35, 7, v30
	v_ffbh_u32_e32 v36, v35
	v_min_u32_e32 v39, 32, v36
	v_subrev_u32_e32 v36, 28, v39
	v_lshlrev_b64 v[36:37], v36, v[30:31]
	v_lshrrev_b32_e32 v38, 3, v23
	v_sub_u32_e32 v37, 29, v39
	v_and_b32_e32 v36, 7, v36
	v_cmp_gt_u32_e32 vcc, 8, v23
	v_cndmask_b32_e32 v23, v38, v37, vcc
	v_cndmask_b32_e32 v35, v35, v36, vcc
	v_lshlrev_b32_e32 v30, 24, v30
	v_lshlrev_b32_e32 v35, 20, v35
	v_and_b32_e32 v30, 0x80000000, v30
	v_lshl_add_u32 v23, v23, 23, v33
	v_or3_b32 v23, v30, v23, v35
	v_lshrrev_b32_e32 v35, 16, v23
.LBB949_79:                             ;   in Loop: Header=BB949_15 Depth=1
	s_or_b64 exec, exec, s[10:11]
.LBB949_80:                             ;   in Loop: Header=BB949_15 Depth=1
	s_or_b64 exec, exec, s[6:7]
.LBB949_81:                             ;   in Loop: Header=BB949_15 Depth=1
	s_or_b64 exec, exec, s[4:5]
	v_cmp_lt_u32_e32 vcc, s14, v28
	v_mov_b32_e32 v36, 0
	v_mov_b32_e32 v37, 0
	s_and_saveexec_b64 s[4:5], vcc
	s_cbranch_execz .LBB949_87
; %bb.82:                               ;   in Loop: Header=BB949_15 Depth=1
	v_lshrrev_b32_e32 v30, 24, v28
	v_cmp_ne_u32_e32 vcc, s16, v30
	v_mov_b32_e32 v37, 0xffff8000
	s_and_saveexec_b64 s[6:7], vcc
	s_cbranch_execz .LBB949_86
; %bb.83:                               ;   in Loop: Header=BB949_15 Depth=1
	v_bfe_u32 v23, v28, 24, 7
	v_cmp_ne_u32_e32 vcc, s13, v23
	v_mov_b32_e32 v37, 0x7f80
	s_and_saveexec_b64 s[10:11], vcc
	s_cbranch_execz .LBB949_85
; %bb.84:                               ;   in Loop: Header=BB949_15 Depth=1
	v_and_b32_e32 v28, 7, v30
	v_ffbh_u32_e32 v38, v28
	v_min_u32_e32 v40, 32, v38
	v_subrev_u32_e32 v38, 28, v40
	v_lshlrev_b64 v[38:39], v38, v[30:31]
	v_lshrrev_b32_e32 v37, 3, v23
	v_sub_u32_e32 v39, 29, v40
	v_and_b32_e32 v38, 7, v38
	v_cmp_gt_u32_e32 vcc, 8, v23
	v_cndmask_b32_e32 v23, v37, v39, vcc
	v_cndmask_b32_e32 v28, v28, v38, vcc
	v_lshlrev_b32_e32 v30, 24, v30
	v_lshlrev_b32_e32 v28, 20, v28
	v_and_b32_e32 v30, 0x80000000, v30
	v_lshl_add_u32 v23, v23, 23, v33
	v_or3_b32 v23, v30, v23, v28
	v_lshrrev_b32_e32 v37, 16, v23
.LBB949_85:                             ;   in Loop: Header=BB949_15 Depth=1
	s_or_b64 exec, exec, s[10:11]
.LBB949_86:                             ;   in Loop: Header=BB949_15 Depth=1
	s_or_b64 exec, exec, s[6:7]
.LBB949_87:                             ;   in Loop: Header=BB949_15 Depth=1
	s_or_b64 exec, exec, s[4:5]
	s_waitcnt vmcnt(0)
	v_cmp_ne_u16_sdwa s[6:7], v26, v31 src0_sel:BYTE_0 src1_sel:DWORD
	s_and_saveexec_b64 s[4:5], s[6:7]
	s_cbranch_execz .LBB949_93
; %bb.88:                               ;   in Loop: Header=BB949_15 Depth=1
	v_cmp_ne_u16_sdwa s[10:11], v26, s16 src0_sel:BYTE_0 src1_sel:DWORD
	v_mov_b32_e32 v36, 0xffff8000
	s_and_saveexec_b64 s[6:7], s[10:11]
	s_cbranch_execz .LBB949_92
; %bb.89:                               ;   in Loop: Header=BB949_15 Depth=1
	v_and_b32_e32 v23, 0x7f, v26
	v_cmp_ne_u32_e32 vcc, s13, v23
	v_mov_b32_e32 v36, 0x7f80
	s_and_saveexec_b64 s[10:11], vcc
	s_cbranch_execz .LBB949_91
; %bb.90:                               ;   in Loop: Header=BB949_15 Depth=1
	v_and_b32_e32 v28, 7, v26
	v_ffbh_u32_e32 v36, v28
	v_min_u32_e32 v36, 32, v36
	v_subrev_u32_e32 v38, 28, v36
	v_lshlrev_b64 v[38:39], v38, v[26:27]
	v_lshrrev_b32_e32 v30, 3, v23
	v_sub_u32_e32 v36, 29, v36
	v_and_b32_e32 v38, 7, v38
	v_cmp_gt_u32_e32 vcc, 8, v23
	v_cndmask_b32_e32 v23, v30, v36, vcc
	v_cndmask_b32_e32 v28, v28, v38, vcc
	v_lshlrev_b32_e32 v30, 24, v26
	v_lshlrev_b32_e32 v28, 20, v28
	v_and_b32_e32 v30, 0x80000000, v30
	v_lshl_add_u32 v23, v23, 23, v33
	v_or3_b32 v23, v30, v23, v28
	v_lshrrev_b32_e32 v36, 16, v23
.LBB949_91:                             ;   in Loop: Header=BB949_15 Depth=1
	s_or_b64 exec, exec, s[10:11]
.LBB949_92:                             ;   in Loop: Header=BB949_15 Depth=1
	s_or_b64 exec, exec, s[6:7]
.LBB949_93:                             ;   in Loop: Header=BB949_15 Depth=1
	s_or_b64 exec, exec, s[4:5]
	v_lshrrev_b16_e32 v28, 8, v26
	v_cmp_ne_u16_e32 vcc, 0, v28
	v_mov_b32_e32 v39, 0
	v_mov_b32_e32 v38, 0
	s_and_saveexec_b64 s[4:5], vcc
	s_cbranch_execz .LBB949_99
; %bb.94:                               ;   in Loop: Header=BB949_15 Depth=1
	v_cmp_ne_u16_e32 vcc, s16, v28
	v_mov_b32_e32 v38, 0xffff8000
	s_and_saveexec_b64 s[6:7], vcc
	s_cbranch_execz .LBB949_98
; %bb.95:                               ;   in Loop: Header=BB949_15 Depth=1
	v_and_b32_e32 v23, 0x7f, v28
	v_cmp_ne_u32_e32 vcc, s13, v23
	v_mov_b32_e32 v38, 0x7f80
	s_and_saveexec_b64 s[10:11], vcc
	s_cbranch_execz .LBB949_97
; %bb.96:                               ;   in Loop: Header=BB949_15 Depth=1
	v_and_b32_e32 v30, 7, v28
	v_ffbh_u32_e32 v40, v30
	v_min_u32_e32 v42, 32, v40
	v_subrev_u32_e32 v40, 28, v42
	v_lshlrev_b64 v[40:41], v40, v[28:29]
	v_lshrrev_b32_e32 v38, 3, v23
	v_sub_u32_e32 v28, 29, v42
	v_and_b32_e32 v40, 7, v40
	v_cmp_gt_u32_e32 vcc, 8, v23
	v_cndmask_b32_e32 v23, v38, v28, vcc
	v_cndmask_b32_e32 v28, v30, v40, vcc
	v_lshlrev_b32_e32 v30, 16, v26
	v_lshlrev_b32_e32 v28, 20, v28
	v_and_b32_e32 v30, 0x80000000, v30
	v_lshl_add_u32 v23, v23, 23, v33
	v_or3_b32 v23, v30, v23, v28
	v_lshrrev_b32_e32 v38, 16, v23
.LBB949_97:                             ;   in Loop: Header=BB949_15 Depth=1
	s_or_b64 exec, exec, s[10:11]
.LBB949_98:                             ;   in Loop: Header=BB949_15 Depth=1
	s_or_b64 exec, exec, s[6:7]
.LBB949_99:                             ;   in Loop: Header=BB949_15 Depth=1
	s_or_b64 exec, exec, s[4:5]
	v_lshrrev_b32_e32 v28, 16, v26
	v_cmp_ne_u16_sdwa s[6:7], v28, v31 src0_sel:BYTE_0 src1_sel:DWORD
	s_and_saveexec_b64 s[4:5], s[6:7]
	s_cbranch_execz .LBB949_105
; %bb.100:                              ;   in Loop: Header=BB949_15 Depth=1
	v_cmp_ne_u16_sdwa s[10:11], v28, s16 src0_sel:BYTE_0 src1_sel:DWORD
	v_mov_b32_e32 v39, 0xffff8000
	s_and_saveexec_b64 s[6:7], s[10:11]
	s_cbranch_execz .LBB949_104
; %bb.101:                              ;   in Loop: Header=BB949_15 Depth=1
	v_bfe_u32 v23, v26, 16, 7
	v_cmp_ne_u32_e32 vcc, s13, v23
	v_mov_b32_e32 v39, 0x7f80
	s_and_saveexec_b64 s[10:11], vcc
	s_cbranch_execz .LBB949_103
; %bb.102:                              ;   in Loop: Header=BB949_15 Depth=1
	v_and_b32_e32 v30, 7, v28
	v_ffbh_u32_e32 v40, v30
	v_min_u32_e32 v42, 32, v40
	v_subrev_u32_e32 v40, 28, v42
	v_lshlrev_b64 v[40:41], v40, v[28:29]
	v_lshrrev_b32_e32 v39, 3, v23
	v_sub_u32_e32 v41, 29, v42
	v_and_b32_e32 v40, 7, v40
	v_cmp_gt_u32_e32 vcc, 8, v23
	v_cndmask_b32_e32 v23, v39, v41, vcc
	v_cndmask_b32_e32 v30, v30, v40, vcc
	v_lshlrev_b32_e32 v28, 24, v28
	v_lshlrev_b32_e32 v30, 20, v30
	v_and_b32_e32 v28, 0x80000000, v28
	v_lshl_add_u32 v23, v23, 23, v33
	v_or3_b32 v23, v28, v23, v30
	v_lshrrev_b32_e32 v39, 16, v23
.LBB949_103:                            ;   in Loop: Header=BB949_15 Depth=1
	s_or_b64 exec, exec, s[10:11]
.LBB949_104:                            ;   in Loop: Header=BB949_15 Depth=1
	s_or_b64 exec, exec, s[6:7]
.LBB949_105:                            ;   in Loop: Header=BB949_15 Depth=1
	s_or_b64 exec, exec, s[4:5]
	v_cmp_lt_u32_e32 vcc, s14, v26
	v_mov_b32_e32 v23, 0
	v_mov_b32_e32 v40, 0
	s_and_saveexec_b64 s[4:5], vcc
	s_cbranch_execz .LBB949_111
; %bb.106:                              ;   in Loop: Header=BB949_15 Depth=1
	v_lshrrev_b32_e32 v28, 24, v26
	v_cmp_ne_u32_e32 vcc, s16, v28
	v_mov_b32_e32 v40, 0xffff8000
	s_and_saveexec_b64 s[6:7], vcc
	s_cbranch_execz .LBB949_110
; %bb.107:                              ;   in Loop: Header=BB949_15 Depth=1
	v_bfe_u32 v26, v26, 24, 7
	v_cmp_ne_u32_e32 vcc, s13, v26
	v_mov_b32_e32 v40, 0x7f80
	s_and_saveexec_b64 s[10:11], vcc
	s_cbranch_execz .LBB949_109
; %bb.108:                              ;   in Loop: Header=BB949_15 Depth=1
	v_and_b32_e32 v30, 7, v28
	v_ffbh_u32_e32 v40, v30
	v_min_u32_e32 v43, 32, v40
	v_subrev_u32_e32 v40, 28, v43
	v_lshlrev_b64 v[40:41], v40, v[28:29]
	v_lshrrev_b32_e32 v42, 3, v26
	v_sub_u32_e32 v41, 29, v43
	v_and_b32_e32 v40, 7, v40
	v_cmp_gt_u32_e32 vcc, 8, v26
	v_cndmask_b32_e32 v26, v42, v41, vcc
	v_cndmask_b32_e32 v30, v30, v40, vcc
	v_lshlrev_b32_e32 v28, 24, v28
	v_lshlrev_b32_e32 v30, 20, v30
	v_and_b32_e32 v28, 0x80000000, v28
	v_lshl_add_u32 v26, v26, 23, v33
	v_or3_b32 v26, v28, v26, v30
	v_lshrrev_b32_e32 v40, 16, v26
.LBB949_109:                            ;   in Loop: Header=BB949_15 Depth=1
	s_or_b64 exec, exec, s[10:11]
.LBB949_110:                            ;   in Loop: Header=BB949_15 Depth=1
	s_or_b64 exec, exec, s[6:7]
.LBB949_111:                            ;   in Loop: Header=BB949_15 Depth=1
	s_or_b64 exec, exec, s[4:5]
	v_perm_b32 v34, v34, v32, s15
	buffer_load_dword v32, v27, s[0:3], 0 offen offset:16
	buffer_load_dword v30, v27, s[0:3], 0 offen offset:20
	;; [unrolled: 1-line block ×4, first 2 shown]
	v_perm_b32 v35, v37, v35, s15
	s_waitcnt vmcnt(3)
	v_cmp_ne_u16_sdwa s[6:7], v32, v31 src0_sel:BYTE_0 src1_sel:DWORD
	v_mfma_f32_16x16x16bf16_1k v[18:21], v[34:35], v[6:7], v[18:21]
	v_perm_b32 v35, v40, v39, s15
	v_perm_b32 v34, v38, v36, s15
	s_nop 1
	v_mfma_f32_16x16x16bf16_1k v[18:21], v[34:35], v[8:9], v[18:21]
	s_and_saveexec_b64 s[4:5], s[6:7]
	s_cbranch_execz .LBB949_117
; %bb.112:                              ;   in Loop: Header=BB949_15 Depth=1
	v_cmp_ne_u16_sdwa s[10:11], v32, s16 src0_sel:BYTE_0 src1_sel:DWORD
	v_mov_b32_e32 v23, 0xffff8000
	s_and_saveexec_b64 s[6:7], s[10:11]
	s_cbranch_execz .LBB949_116
; %bb.113:                              ;   in Loop: Header=BB949_15 Depth=1
	v_and_b32_e32 v34, 0x7f, v32
	v_cmp_ne_u32_e32 vcc, s13, v34
	v_mov_b32_e32 v23, 0x7f80
	s_and_saveexec_b64 s[10:11], vcc
	s_cbranch_execz .LBB949_115
; %bb.114:                              ;   in Loop: Header=BB949_15 Depth=1
	v_and_b32_e32 v23, 7, v32
	v_ffbh_u32_e32 v36, v23
	v_min_u32_e32 v38, 32, v36
	v_subrev_u32_e32 v36, 28, v38
	v_lshlrev_b64 v[36:37], v36, v[32:33]
	v_lshrrev_b32_e32 v35, 3, v34
	v_sub_u32_e32 v37, 29, v38
	v_and_b32_e32 v36, 7, v36
	v_cmp_gt_u32_e32 vcc, 8, v34
	v_cndmask_b32_e32 v34, v35, v37, vcc
	v_cndmask_b32_e32 v23, v23, v36, vcc
	v_lshlrev_b32_e32 v35, 24, v32
	v_lshlrev_b32_e32 v23, 20, v23
	v_and_b32_e32 v35, 0x80000000, v35
	v_lshl_add_u32 v34, v34, 23, v33
	v_or3_b32 v23, v35, v34, v23
	v_lshrrev_b32_e32 v23, 16, v23
.LBB949_115:                            ;   in Loop: Header=BB949_15 Depth=1
	s_or_b64 exec, exec, s[10:11]
.LBB949_116:                            ;   in Loop: Header=BB949_15 Depth=1
	s_or_b64 exec, exec, s[6:7]
.LBB949_117:                            ;   in Loop: Header=BB949_15 Depth=1
	s_or_b64 exec, exec, s[4:5]
	v_lshrrev_b16_e32 v34, 8, v32
	v_cmp_ne_u16_e32 vcc, 0, v34
	v_mov_b32_e32 v36, 0
	v_mov_b32_e32 v35, 0
	s_and_saveexec_b64 s[4:5], vcc
	s_cbranch_execz .LBB949_123
; %bb.118:                              ;   in Loop: Header=BB949_15 Depth=1
	v_cmp_ne_u16_e32 vcc, s16, v34
	v_mov_b32_e32 v35, 0xffff8000
	s_and_saveexec_b64 s[6:7], vcc
	s_cbranch_execz .LBB949_122
; %bb.119:                              ;   in Loop: Header=BB949_15 Depth=1
	v_and_b32_e32 v37, 0x7f, v34
	v_cmp_ne_u32_e32 vcc, s13, v37
	v_mov_b32_e32 v35, 0x7f80
	s_and_saveexec_b64 s[10:11], vcc
	s_cbranch_execz .LBB949_121
; %bb.120:                              ;   in Loop: Header=BB949_15 Depth=1
	v_and_b32_e32 v38, 7, v34
	v_ffbh_u32_e32 v35, v38
	v_min_u32_e32 v40, 32, v35
	v_subrev_u32_e32 v35, 28, v40
	v_lshlrev_b64 v[34:35], v35, v[34:35]
	v_lshrrev_b32_e32 v39, 3, v37
	v_sub_u32_e32 v35, 29, v40
	v_and_b32_e32 v34, 7, v34
	v_cmp_gt_u32_e32 vcc, 8, v37
	v_cndmask_b32_e32 v35, v39, v35, vcc
	v_cndmask_b32_e32 v34, v38, v34, vcc
	v_lshlrev_b32_e32 v37, 16, v32
	v_lshlrev_b32_e32 v34, 20, v34
	v_and_b32_e32 v37, 0x80000000, v37
	v_lshl_add_u32 v35, v35, 23, v33
	v_or3_b32 v34, v37, v35, v34
	v_lshrrev_b32_e32 v35, 16, v34
.LBB949_121:                            ;   in Loop: Header=BB949_15 Depth=1
	s_or_b64 exec, exec, s[10:11]
.LBB949_122:                            ;   in Loop: Header=BB949_15 Depth=1
	s_or_b64 exec, exec, s[6:7]
.LBB949_123:                            ;   in Loop: Header=BB949_15 Depth=1
	s_or_b64 exec, exec, s[4:5]
	v_lshrrev_b32_e32 v34, 16, v32
	v_cmp_ne_u16_sdwa s[6:7], v34, v31 src0_sel:BYTE_0 src1_sel:DWORD
	s_and_saveexec_b64 s[4:5], s[6:7]
	s_cbranch_execz .LBB949_129
; %bb.124:                              ;   in Loop: Header=BB949_15 Depth=1
	v_cmp_ne_u16_sdwa s[10:11], v34, s16 src0_sel:BYTE_0 src1_sel:DWORD
	v_mov_b32_e32 v36, 0xffff8000
	s_and_saveexec_b64 s[6:7], s[10:11]
	s_cbranch_execz .LBB949_128
; %bb.125:                              ;   in Loop: Header=BB949_15 Depth=1
	v_bfe_u32 v37, v32, 16, 7
	v_cmp_ne_u32_e32 vcc, s13, v37
	v_mov_b32_e32 v36, 0x7f80
	s_and_saveexec_b64 s[10:11], vcc
	s_cbranch_execz .LBB949_127
; %bb.126:                              ;   in Loop: Header=BB949_15 Depth=1
	v_and_b32_e32 v36, 7, v34
	v_ffbh_u32_e32 v38, v36
	v_min_u32_e32 v41, 32, v38
	v_subrev_u32_e32 v38, 28, v41
	v_lshlrev_b64 v[38:39], v38, v[34:35]
	v_lshrrev_b32_e32 v40, 3, v37
	v_sub_u32_e32 v39, 29, v41
	v_and_b32_e32 v38, 7, v38
	v_cmp_gt_u32_e32 vcc, 8, v37
	v_cndmask_b32_e32 v37, v40, v39, vcc
	v_cndmask_b32_e32 v36, v36, v38, vcc
	v_lshlrev_b32_e32 v34, 24, v34
	v_lshlrev_b32_e32 v36, 20, v36
	v_and_b32_e32 v34, 0x80000000, v34
	v_lshl_add_u32 v37, v37, 23, v33
	v_or3_b32 v34, v34, v37, v36
	v_lshrrev_b32_e32 v36, 16, v34
.LBB949_127:                            ;   in Loop: Header=BB949_15 Depth=1
	s_or_b64 exec, exec, s[10:11]
.LBB949_128:                            ;   in Loop: Header=BB949_15 Depth=1
	s_or_b64 exec, exec, s[6:7]
.LBB949_129:                            ;   in Loop: Header=BB949_15 Depth=1
	s_or_b64 exec, exec, s[4:5]
	v_cmp_lt_u32_e32 vcc, s14, v32
	v_mov_b32_e32 v37, 0
	v_mov_b32_e32 v38, 0
	s_and_saveexec_b64 s[4:5], vcc
	s_cbranch_execz .LBB949_135
; %bb.130:                              ;   in Loop: Header=BB949_15 Depth=1
	v_lshrrev_b32_e32 v34, 24, v32
	v_cmp_ne_u32_e32 vcc, s16, v34
	v_mov_b32_e32 v38, 0xffff8000
	s_and_saveexec_b64 s[6:7], vcc
	s_cbranch_execz .LBB949_134
; %bb.131:                              ;   in Loop: Header=BB949_15 Depth=1
	v_bfe_u32 v32, v32, 24, 7
	v_cmp_ne_u32_e32 vcc, s13, v32
	v_mov_b32_e32 v38, 0x7f80
	s_and_saveexec_b64 s[10:11], vcc
	s_cbranch_execz .LBB949_133
; %bb.132:                              ;   in Loop: Header=BB949_15 Depth=1
	v_and_b32_e32 v40, 7, v34
	v_ffbh_u32_e32 v38, v40
	v_min_u32_e32 v42, 32, v38
	v_subrev_u32_e32 v38, 28, v42
	v_lshlrev_b64 v[38:39], v38, v[34:35]
	v_lshrrev_b32_e32 v41, 3, v32
	v_sub_u32_e32 v39, 29, v42
	v_and_b32_e32 v38, 7, v38
	v_cmp_gt_u32_e32 vcc, 8, v32
	v_cndmask_b32_e32 v32, v41, v39, vcc
	v_cndmask_b32_e32 v38, v40, v38, vcc
	v_lshlrev_b32_e32 v34, 24, v34
	v_lshlrev_b32_e32 v38, 20, v38
	v_and_b32_e32 v34, 0x80000000, v34
	v_lshl_add_u32 v32, v32, 23, v33
	v_or3_b32 v32, v34, v32, v38
	v_lshrrev_b32_e32 v38, 16, v32
.LBB949_133:                            ;   in Loop: Header=BB949_15 Depth=1
	s_or_b64 exec, exec, s[10:11]
.LBB949_134:                            ;   in Loop: Header=BB949_15 Depth=1
	s_or_b64 exec, exec, s[6:7]
.LBB949_135:                            ;   in Loop: Header=BB949_15 Depth=1
	s_or_b64 exec, exec, s[4:5]
	s_waitcnt vmcnt(2)
	v_cmp_ne_u16_sdwa s[6:7], v30, v31 src0_sel:BYTE_0 src1_sel:DWORD
	s_and_saveexec_b64 s[4:5], s[6:7]
	s_cbranch_execz .LBB949_141
; %bb.136:                              ;   in Loop: Header=BB949_15 Depth=1
	v_cmp_ne_u16_sdwa s[10:11], v30, s16 src0_sel:BYTE_0 src1_sel:DWORD
	v_mov_b32_e32 v37, 0xffff8000
	s_and_saveexec_b64 s[6:7], s[10:11]
	s_cbranch_execz .LBB949_140
; %bb.137:                              ;   in Loop: Header=BB949_15 Depth=1
	v_and_b32_e32 v32, 0x7f, v30
	v_cmp_ne_u32_e32 vcc, s13, v32
	v_mov_b32_e32 v37, 0x7f80
	s_and_saveexec_b64 s[10:11], vcc
	s_cbranch_execz .LBB949_139
; %bb.138:                              ;   in Loop: Header=BB949_15 Depth=1
	v_and_b32_e32 v34, 7, v30
	v_ffbh_u32_e32 v39, v34
	v_min_u32_e32 v39, 32, v39
	v_subrev_u32_e32 v40, 28, v39
	v_lshlrev_b64 v[40:41], v40, v[30:31]
	v_lshrrev_b32_e32 v37, 3, v32
	v_sub_u32_e32 v39, 29, v39
	v_and_b32_e32 v40, 7, v40
	v_cmp_gt_u32_e32 vcc, 8, v32
	v_cndmask_b32_e32 v32, v37, v39, vcc
	v_cndmask_b32_e32 v34, v34, v40, vcc
	v_lshlrev_b32_e32 v37, 24, v30
	v_lshlrev_b32_e32 v34, 20, v34
	v_and_b32_e32 v37, 0x80000000, v37
	v_lshl_add_u32 v32, v32, 23, v33
	v_or3_b32 v32, v37, v32, v34
	v_lshrrev_b32_e32 v37, 16, v32
.LBB949_139:                            ;   in Loop: Header=BB949_15 Depth=1
	s_or_b64 exec, exec, s[10:11]
.LBB949_140:                            ;   in Loop: Header=BB949_15 Depth=1
	s_or_b64 exec, exec, s[6:7]
.LBB949_141:                            ;   in Loop: Header=BB949_15 Depth=1
	s_or_b64 exec, exec, s[4:5]
	v_lshrrev_b16_e32 v32, 8, v30
	v_cmp_ne_u16_e32 vcc, 0, v32
	v_mov_b32_e32 v40, 0
	v_mov_b32_e32 v39, 0
	s_and_saveexec_b64 s[4:5], vcc
	s_cbranch_execz .LBB949_147
; %bb.142:                              ;   in Loop: Header=BB949_15 Depth=1
	v_cmp_ne_u16_e32 vcc, s16, v32
	v_mov_b32_e32 v39, 0xffff8000
	s_and_saveexec_b64 s[6:7], vcc
	s_cbranch_execz .LBB949_146
; %bb.143:                              ;   in Loop: Header=BB949_15 Depth=1
	v_and_b32_e32 v34, 0x7f, v32
	v_cmp_ne_u32_e32 vcc, s13, v34
	v_mov_b32_e32 v39, 0x7f80
	s_and_saveexec_b64 s[10:11], vcc
	s_cbranch_execz .LBB949_145
; %bb.144:                              ;   in Loop: Header=BB949_15 Depth=1
	v_and_b32_e32 v39, 7, v32
	v_ffbh_u32_e32 v42, v39
	v_min_u32_e32 v44, 32, v42
	v_subrev_u32_e32 v42, 28, v44
	v_lshlrev_b64 v[42:43], v42, v[32:33]
	v_lshrrev_b32_e32 v41, 3, v34
	v_sub_u32_e32 v32, 29, v44
	v_and_b32_e32 v42, 7, v42
	v_cmp_gt_u32_e32 vcc, 8, v34
	v_cndmask_b32_e32 v32, v41, v32, vcc
	v_cndmask_b32_e32 v34, v39, v42, vcc
	v_lshlrev_b32_e32 v39, 16, v30
	v_lshlrev_b32_e32 v34, 20, v34
	v_and_b32_e32 v39, 0x80000000, v39
	v_lshl_add_u32 v32, v32, 23, v33
	v_or3_b32 v32, v39, v32, v34
	v_lshrrev_b32_e32 v39, 16, v32
.LBB949_145:                            ;   in Loop: Header=BB949_15 Depth=1
	s_or_b64 exec, exec, s[10:11]
.LBB949_146:                            ;   in Loop: Header=BB949_15 Depth=1
	s_or_b64 exec, exec, s[6:7]
.LBB949_147:                            ;   in Loop: Header=BB949_15 Depth=1
	s_or_b64 exec, exec, s[4:5]
	v_lshrrev_b32_e32 v32, 16, v30
	v_cmp_ne_u16_sdwa s[6:7], v32, v31 src0_sel:BYTE_0 src1_sel:DWORD
	s_and_saveexec_b64 s[4:5], s[6:7]
	s_cbranch_execz .LBB949_153
; %bb.148:                              ;   in Loop: Header=BB949_15 Depth=1
	v_cmp_ne_u16_sdwa s[10:11], v32, s16 src0_sel:BYTE_0 src1_sel:DWORD
	v_mov_b32_e32 v40, 0xffff8000
	s_and_saveexec_b64 s[6:7], s[10:11]
	s_cbranch_execz .LBB949_152
; %bb.149:                              ;   in Loop: Header=BB949_15 Depth=1
	v_bfe_u32 v34, v30, 16, 7
	v_cmp_ne_u32_e32 vcc, s13, v34
	v_mov_b32_e32 v40, 0x7f80
	s_and_saveexec_b64 s[10:11], vcc
	s_cbranch_execz .LBB949_151
; %bb.150:                              ;   in Loop: Header=BB949_15 Depth=1
	v_and_b32_e32 v42, 7, v32
	v_ffbh_u32_e32 v40, v42
	v_min_u32_e32 v44, 32, v40
	v_subrev_u32_e32 v40, 28, v44
	v_lshlrev_b64 v[40:41], v40, v[32:33]
	v_lshrrev_b32_e32 v43, 3, v34
	v_sub_u32_e32 v41, 29, v44
	v_and_b32_e32 v40, 7, v40
	v_cmp_gt_u32_e32 vcc, 8, v34
	v_cndmask_b32_e32 v34, v43, v41, vcc
	v_cndmask_b32_e32 v40, v42, v40, vcc
	v_lshlrev_b32_e32 v32, 24, v32
	v_lshlrev_b32_e32 v40, 20, v40
	v_and_b32_e32 v32, 0x80000000, v32
	v_lshl_add_u32 v34, v34, 23, v33
	v_or3_b32 v32, v32, v34, v40
	v_lshrrev_b32_e32 v40, 16, v32
.LBB949_151:                            ;   in Loop: Header=BB949_15 Depth=1
	s_or_b64 exec, exec, s[10:11]
.LBB949_152:                            ;   in Loop: Header=BB949_15 Depth=1
	s_or_b64 exec, exec, s[6:7]
.LBB949_153:                            ;   in Loop: Header=BB949_15 Depth=1
	s_or_b64 exec, exec, s[4:5]
	v_cmp_lt_u32_e32 vcc, s14, v30
	v_mov_b32_e32 v34, 0
	v_mov_b32_e32 v41, 0
	s_and_saveexec_b64 s[4:5], vcc
	s_cbranch_execz .LBB949_159
; %bb.154:                              ;   in Loop: Header=BB949_15 Depth=1
	v_lshrrev_b32_e32 v32, 24, v30
	v_cmp_ne_u32_e32 vcc, s16, v32
	v_mov_b32_e32 v41, 0xffff8000
	s_and_saveexec_b64 s[6:7], vcc
	s_cbranch_execz .LBB949_158
; %bb.155:                              ;   in Loop: Header=BB949_15 Depth=1
	v_bfe_u32 v30, v30, 24, 7
	v_cmp_ne_u32_e32 vcc, s13, v30
	v_mov_b32_e32 v41, 0x7f80
	s_and_saveexec_b64 s[10:11], vcc
	s_cbranch_execz .LBB949_157
; %bb.156:                              ;   in Loop: Header=BB949_15 Depth=1
	v_and_b32_e32 v41, 7, v32
	v_ffbh_u32_e32 v42, v41
	v_min_u32_e32 v45, 32, v42
	v_subrev_u32_e32 v42, 28, v45
	v_lshlrev_b64 v[42:43], v42, v[32:33]
	v_lshrrev_b32_e32 v44, 3, v30
	v_sub_u32_e32 v43, 29, v45
	v_and_b32_e32 v42, 7, v42
	v_cmp_gt_u32_e32 vcc, 8, v30
	v_cndmask_b32_e32 v30, v44, v43, vcc
	v_cndmask_b32_e32 v41, v41, v42, vcc
	v_lshlrev_b32_e32 v32, 24, v32
	v_lshlrev_b32_e32 v41, 20, v41
	v_and_b32_e32 v32, 0x80000000, v32
	v_lshl_add_u32 v30, v30, 23, v33
	v_or3_b32 v30, v32, v30, v41
	v_lshrrev_b32_e32 v41, 16, v30
.LBB949_157:                            ;   in Loop: Header=BB949_15 Depth=1
	s_or_b64 exec, exec, s[10:11]
.LBB949_158:                            ;   in Loop: Header=BB949_15 Depth=1
	s_or_b64 exec, exec, s[6:7]
.LBB949_159:                            ;   in Loop: Header=BB949_15 Depth=1
	s_or_b64 exec, exec, s[4:5]
	v_perm_b32 v43, v38, v36, s15
	v_perm_b32 v42, v35, v23, s15
	v_perm_b32 v41, v41, v40, s15
	v_perm_b32 v40, v39, v37, s15
	s_waitcnt vmcnt(1)
	v_cmp_ne_u16_sdwa s[6:7], v28, v31 src0_sel:BYTE_0 src1_sel:DWORD
	v_mfma_f32_16x16x16bf16_1k v[18:21], v[42:43], v[10:11], v[18:21]
	v_mfma_f32_16x16x16bf16_1k v[18:21], v[40:41], v[12:13], v[18:21]
	s_and_saveexec_b64 s[4:5], s[6:7]
	s_cbranch_execz .LBB949_165
; %bb.160:                              ;   in Loop: Header=BB949_15 Depth=1
	v_cmp_ne_u16_sdwa s[10:11], v28, s16 src0_sel:BYTE_0 src1_sel:DWORD
	v_mov_b32_e32 v34, 0xffff8000
	s_and_saveexec_b64 s[6:7], s[10:11]
	s_cbranch_execz .LBB949_164
; %bb.161:                              ;   in Loop: Header=BB949_15 Depth=1
	v_and_b32_e32 v23, 0x7f, v28
	v_cmp_ne_u32_e32 vcc, s13, v23
	v_mov_b32_e32 v34, 0x7f80
	s_and_saveexec_b64 s[10:11], vcc
	s_cbranch_execz .LBB949_163
; %bb.162:                              ;   in Loop: Header=BB949_15 Depth=1
	v_and_b32_e32 v30, 7, v28
	v_ffbh_u32_e32 v34, v30
	v_min_u32_e32 v36, 32, v34
	v_subrev_u32_e32 v34, 28, v36
	v_lshlrev_b64 v[34:35], v34, v[28:29]
	v_lshrrev_b32_e32 v32, 3, v23
	v_sub_u32_e32 v35, 29, v36
	v_and_b32_e32 v34, 7, v34
	v_cmp_gt_u32_e32 vcc, 8, v23
	v_cndmask_b32_e32 v23, v32, v35, vcc
	v_cndmask_b32_e32 v30, v30, v34, vcc
	v_lshlrev_b32_e32 v32, 24, v28
	v_lshlrev_b32_e32 v30, 20, v30
	v_and_b32_e32 v32, 0x80000000, v32
	v_lshl_add_u32 v23, v23, 23, v33
	v_or3_b32 v23, v32, v23, v30
	v_lshrrev_b32_e32 v34, 16, v23
.LBB949_163:                            ;   in Loop: Header=BB949_15 Depth=1
	s_or_b64 exec, exec, s[10:11]
.LBB949_164:                            ;   in Loop: Header=BB949_15 Depth=1
	s_or_b64 exec, exec, s[6:7]
.LBB949_165:                            ;   in Loop: Header=BB949_15 Depth=1
	s_or_b64 exec, exec, s[4:5]
	v_lshrrev_b16_e32 v30, 8, v28
	v_cmp_ne_u16_e32 vcc, 0, v30
	v_mov_b32_e32 v32, 0
	v_mov_b32_e32 v23, 0
	s_and_saveexec_b64 s[4:5], vcc
	s_cbranch_execz .LBB949_171
; %bb.166:                              ;   in Loop: Header=BB949_15 Depth=1
	v_cmp_ne_u16_e32 vcc, s16, v30
	v_mov_b32_e32 v23, 0xffff8000
	s_and_saveexec_b64 s[6:7], vcc
	s_cbranch_execz .LBB949_170
; %bb.167:                              ;   in Loop: Header=BB949_15 Depth=1
	v_and_b32_e32 v35, 0x7f, v30
	v_cmp_ne_u32_e32 vcc, s13, v35
	v_mov_b32_e32 v23, 0x7f80
	s_and_saveexec_b64 s[10:11], vcc
	s_cbranch_execz .LBB949_169
; %bb.168:                              ;   in Loop: Header=BB949_15 Depth=1
	v_and_b32_e32 v23, 7, v30
	v_ffbh_u32_e32 v36, v23
	v_min_u32_e32 v39, 32, v36
	v_subrev_u32_e32 v36, 28, v39
	v_lshlrev_b64 v[36:37], v36, v[30:31]
	v_lshrrev_b32_e32 v38, 3, v35
	v_sub_u32_e32 v30, 29, v39
	v_and_b32_e32 v36, 7, v36
	v_cmp_gt_u32_e32 vcc, 8, v35
	v_cndmask_b32_e32 v30, v38, v30, vcc
	v_cndmask_b32_e32 v23, v23, v36, vcc
	v_lshlrev_b32_e32 v35, 16, v28
	v_lshlrev_b32_e32 v23, 20, v23
	v_and_b32_e32 v35, 0x80000000, v35
	v_lshl_add_u32 v30, v30, 23, v33
	v_or3_b32 v23, v35, v30, v23
	v_lshrrev_b32_e32 v23, 16, v23
.LBB949_169:                            ;   in Loop: Header=BB949_15 Depth=1
	s_or_b64 exec, exec, s[10:11]
.LBB949_170:                            ;   in Loop: Header=BB949_15 Depth=1
	s_or_b64 exec, exec, s[6:7]
.LBB949_171:                            ;   in Loop: Header=BB949_15 Depth=1
	s_or_b64 exec, exec, s[4:5]
	v_lshrrev_b32_e32 v30, 16, v28
	v_cmp_ne_u16_sdwa s[6:7], v30, v31 src0_sel:BYTE_0 src1_sel:DWORD
	s_and_saveexec_b64 s[4:5], s[6:7]
	s_cbranch_execz .LBB949_177
; %bb.172:                              ;   in Loop: Header=BB949_15 Depth=1
	v_cmp_ne_u16_sdwa s[10:11], v30, s16 src0_sel:BYTE_0 src1_sel:DWORD
	v_mov_b32_e32 v32, 0xffff8000
	s_and_saveexec_b64 s[6:7], s[10:11]
	s_cbranch_execz .LBB949_176
; %bb.173:                              ;   in Loop: Header=BB949_15 Depth=1
	v_bfe_u32 v35, v28, 16, 7
	v_cmp_ne_u32_e32 vcc, s13, v35
	v_mov_b32_e32 v32, 0x7f80
	s_and_saveexec_b64 s[10:11], vcc
	s_cbranch_execz .LBB949_175
; %bb.174:                              ;   in Loop: Header=BB949_15 Depth=1
	v_and_b32_e32 v32, 7, v30
	v_ffbh_u32_e32 v36, v32
	v_min_u32_e32 v39, 32, v36
	v_subrev_u32_e32 v36, 28, v39
	v_lshlrev_b64 v[36:37], v36, v[30:31]
	v_lshrrev_b32_e32 v38, 3, v35
	v_sub_u32_e32 v37, 29, v39
	v_and_b32_e32 v36, 7, v36
	v_cmp_gt_u32_e32 vcc, 8, v35
	v_cndmask_b32_e32 v35, v38, v37, vcc
	v_cndmask_b32_e32 v32, v32, v36, vcc
	v_lshlrev_b32_e32 v30, 24, v30
	v_lshlrev_b32_e32 v32, 20, v32
	v_and_b32_e32 v30, 0x80000000, v30
	v_lshl_add_u32 v35, v35, 23, v33
	v_or3_b32 v30, v30, v35, v32
	v_lshrrev_b32_e32 v32, 16, v30
.LBB949_175:                            ;   in Loop: Header=BB949_15 Depth=1
	s_or_b64 exec, exec, s[10:11]
.LBB949_176:                            ;   in Loop: Header=BB949_15 Depth=1
	s_or_b64 exec, exec, s[6:7]
.LBB949_177:                            ;   in Loop: Header=BB949_15 Depth=1
	s_or_b64 exec, exec, s[4:5]
	v_cmp_lt_u32_e32 vcc, s14, v28
	v_mov_b32_e32 v35, 0
	v_mov_b32_e32 v36, 0
	s_and_saveexec_b64 s[4:5], vcc
	s_cbranch_execz .LBB949_183
; %bb.178:                              ;   in Loop: Header=BB949_15 Depth=1
	v_lshrrev_b32_e32 v30, 24, v28
	v_cmp_ne_u32_e32 vcc, s16, v30
	v_mov_b32_e32 v36, 0xffff8000
	s_and_saveexec_b64 s[6:7], vcc
	s_cbranch_execz .LBB949_182
; %bb.179:                              ;   in Loop: Header=BB949_15 Depth=1
	v_bfe_u32 v28, v28, 24, 7
	v_cmp_ne_u32_e32 vcc, s13, v28
	v_mov_b32_e32 v36, 0x7f80
	s_and_saveexec_b64 s[10:11], vcc
	s_cbranch_execz .LBB949_181
; %bb.180:                              ;   in Loop: Header=BB949_15 Depth=1
	v_and_b32_e32 v38, 7, v30
	v_ffbh_u32_e32 v36, v38
	v_min_u32_e32 v40, 32, v36
	v_subrev_u32_e32 v36, 28, v40
	v_lshlrev_b64 v[36:37], v36, v[30:31]
	v_lshrrev_b32_e32 v39, 3, v28
	v_sub_u32_e32 v37, 29, v40
	v_and_b32_e32 v36, 7, v36
	v_cmp_gt_u32_e32 vcc, 8, v28
	v_cndmask_b32_e32 v28, v39, v37, vcc
	v_cndmask_b32_e32 v36, v38, v36, vcc
	v_lshlrev_b32_e32 v30, 24, v30
	v_lshlrev_b32_e32 v36, 20, v36
	v_and_b32_e32 v30, 0x80000000, v30
	v_lshl_add_u32 v28, v28, 23, v33
	v_or3_b32 v28, v30, v28, v36
	v_lshrrev_b32_e32 v36, 16, v28
.LBB949_181:                            ;   in Loop: Header=BB949_15 Depth=1
	s_or_b64 exec, exec, s[10:11]
.LBB949_182:                            ;   in Loop: Header=BB949_15 Depth=1
	s_or_b64 exec, exec, s[6:7]
.LBB949_183:                            ;   in Loop: Header=BB949_15 Depth=1
	s_or_b64 exec, exec, s[4:5]
	s_waitcnt vmcnt(0)
	v_cmp_ne_u16_sdwa s[6:7], v26, v31 src0_sel:BYTE_0 src1_sel:DWORD
	s_and_saveexec_b64 s[4:5], s[6:7]
	s_cbranch_execz .LBB949_189
; %bb.184:                              ;   in Loop: Header=BB949_15 Depth=1
	v_cmp_ne_u16_sdwa s[10:11], v26, s16 src0_sel:BYTE_0 src1_sel:DWORD
	v_mov_b32_e32 v35, 0xffff8000
	s_and_saveexec_b64 s[6:7], s[10:11]
	s_cbranch_execz .LBB949_188
; %bb.185:                              ;   in Loop: Header=BB949_15 Depth=1
	v_and_b32_e32 v28, 0x7f, v26
	v_cmp_ne_u32_e32 vcc, s13, v28
	v_mov_b32_e32 v35, 0x7f80
	s_and_saveexec_b64 s[10:11], vcc
	s_cbranch_execz .LBB949_187
; %bb.186:                              ;   in Loop: Header=BB949_15 Depth=1
	v_and_b32_e32 v30, 7, v26
	v_ffbh_u32_e32 v37, v30
	v_min_u32_e32 v37, 32, v37
	v_subrev_u32_e32 v38, 28, v37
	v_lshlrev_b64 v[38:39], v38, v[26:27]
	v_lshrrev_b32_e32 v35, 3, v28
	v_sub_u32_e32 v37, 29, v37
	v_and_b32_e32 v38, 7, v38
	v_cmp_gt_u32_e32 vcc, 8, v28
	v_cndmask_b32_e32 v28, v35, v37, vcc
	v_cndmask_b32_e32 v30, v30, v38, vcc
	v_lshlrev_b32_e32 v35, 24, v26
	v_lshlrev_b32_e32 v30, 20, v30
	v_and_b32_e32 v35, 0x80000000, v35
	v_lshl_add_u32 v28, v28, 23, v33
	v_or3_b32 v28, v35, v28, v30
	v_lshrrev_b32_e32 v35, 16, v28
.LBB949_187:                            ;   in Loop: Header=BB949_15 Depth=1
	s_or_b64 exec, exec, s[10:11]
.LBB949_188:                            ;   in Loop: Header=BB949_15 Depth=1
	s_or_b64 exec, exec, s[6:7]
.LBB949_189:                            ;   in Loop: Header=BB949_15 Depth=1
	s_or_b64 exec, exec, s[4:5]
	v_lshrrev_b16_e32 v28, 8, v26
	v_cmp_ne_u16_e32 vcc, 0, v28
	v_mov_b32_e32 v37, 0
	v_mov_b32_e32 v30, 0
	s_and_saveexec_b64 s[4:5], vcc
	s_cbranch_execz .LBB949_195
; %bb.190:                              ;   in Loop: Header=BB949_15 Depth=1
	v_cmp_ne_u16_e32 vcc, s16, v28
	v_mov_b32_e32 v30, 0xffff8000
	s_and_saveexec_b64 s[6:7], vcc
	s_cbranch_execz .LBB949_194
; %bb.191:                              ;   in Loop: Header=BB949_15 Depth=1
	v_and_b32_e32 v38, 0x7f, v28
	v_cmp_ne_u32_e32 vcc, s13, v38
	v_mov_b32_e32 v30, 0x7f80
	s_and_saveexec_b64 s[10:11], vcc
	s_cbranch_execz .LBB949_193
; %bb.192:                              ;   in Loop: Header=BB949_15 Depth=1
	v_and_b32_e32 v30, 7, v28
	v_ffbh_u32_e32 v40, v30
	v_min_u32_e32 v42, 32, v40
	v_subrev_u32_e32 v40, 28, v42
	v_lshlrev_b64 v[40:41], v40, v[28:29]
	v_lshrrev_b32_e32 v39, 3, v38
	v_sub_u32_e32 v28, 29, v42
	v_and_b32_e32 v40, 7, v40
	v_cmp_gt_u32_e32 vcc, 8, v38
	v_cndmask_b32_e32 v28, v39, v28, vcc
	v_cndmask_b32_e32 v30, v30, v40, vcc
	v_lshlrev_b32_e32 v38, 16, v26
	v_lshlrev_b32_e32 v30, 20, v30
	v_and_b32_e32 v38, 0x80000000, v38
	v_lshl_add_u32 v28, v28, 23, v33
	v_or3_b32 v28, v38, v28, v30
	v_lshrrev_b32_e32 v30, 16, v28
.LBB949_193:                            ;   in Loop: Header=BB949_15 Depth=1
	s_or_b64 exec, exec, s[10:11]
.LBB949_194:                            ;   in Loop: Header=BB949_15 Depth=1
	s_or_b64 exec, exec, s[6:7]
.LBB949_195:                            ;   in Loop: Header=BB949_15 Depth=1
	s_or_b64 exec, exec, s[4:5]
	v_lshrrev_b32_e32 v28, 16, v26
	v_cmp_ne_u16_sdwa s[6:7], v28, v31 src0_sel:BYTE_0 src1_sel:DWORD
	s_and_saveexec_b64 s[4:5], s[6:7]
	s_cbranch_execz .LBB949_201
; %bb.196:                              ;   in Loop: Header=BB949_15 Depth=1
	v_cmp_ne_u16_sdwa s[10:11], v28, s16 src0_sel:BYTE_0 src1_sel:DWORD
	v_mov_b32_e32 v37, 0xffff8000
	s_and_saveexec_b64 s[6:7], s[10:11]
	s_cbranch_execz .LBB949_200
; %bb.197:                              ;   in Loop: Header=BB949_15 Depth=1
	v_bfe_u32 v38, v26, 16, 7
	v_cmp_ne_u32_e32 vcc, s13, v38
	v_mov_b32_e32 v37, 0x7f80
	s_and_saveexec_b64 s[10:11], vcc
	s_cbranch_execz .LBB949_199
; %bb.198:                              ;   in Loop: Header=BB949_15 Depth=1
	v_and_b32_e32 v37, 7, v28
	v_ffbh_u32_e32 v40, v37
	v_min_u32_e32 v42, 32, v40
	v_subrev_u32_e32 v40, 28, v42
	v_lshlrev_b64 v[40:41], v40, v[28:29]
	v_lshrrev_b32_e32 v39, 3, v38
	v_sub_u32_e32 v41, 29, v42
	v_and_b32_e32 v40, 7, v40
	v_cmp_gt_u32_e32 vcc, 8, v38
	v_cndmask_b32_e32 v38, v39, v41, vcc
	v_cndmask_b32_e32 v37, v37, v40, vcc
	v_lshlrev_b32_e32 v28, 24, v28
	v_lshlrev_b32_e32 v37, 20, v37
	v_and_b32_e32 v28, 0x80000000, v28
	v_lshl_add_u32 v38, v38, 23, v33
	v_or3_b32 v28, v28, v38, v37
	v_lshrrev_b32_e32 v37, 16, v28
.LBB949_199:                            ;   in Loop: Header=BB949_15 Depth=1
	s_or_b64 exec, exec, s[10:11]
.LBB949_200:                            ;   in Loop: Header=BB949_15 Depth=1
	s_or_b64 exec, exec, s[6:7]
.LBB949_201:                            ;   in Loop: Header=BB949_15 Depth=1
	s_or_b64 exec, exec, s[4:5]
	v_cmp_lt_u32_e32 vcc, s14, v26
	v_mov_b32_e32 v38, 0
	s_and_saveexec_b64 s[4:5], vcc
	s_cbranch_execz .LBB949_14
; %bb.202:                              ;   in Loop: Header=BB949_15 Depth=1
	v_lshrrev_b32_e32 v28, 24, v26
	v_cmp_ne_u32_e32 vcc, s16, v28
	v_mov_b32_e32 v38, 0xffff8000
	s_and_saveexec_b64 s[6:7], vcc
	s_cbranch_execz .LBB949_13
; %bb.203:                              ;   in Loop: Header=BB949_15 Depth=1
	v_bfe_u32 v26, v26, 24, 7
	v_cmp_ne_u32_e32 vcc, s13, v26
	v_mov_b32_e32 v38, 0x7f80
	s_and_saveexec_b64 s[10:11], vcc
	s_cbranch_execz .LBB949_12
; %bb.204:                              ;   in Loop: Header=BB949_15 Depth=1
	v_and_b32_e32 v40, 7, v28
	v_ffbh_u32_e32 v38, v40
	v_min_u32_e32 v42, 32, v38
	v_subrev_u32_e32 v38, 28, v42
	v_lshlrev_b64 v[38:39], v38, v[28:29]
	v_lshrrev_b32_e32 v41, 3, v26
	v_sub_u32_e32 v39, 29, v42
	v_and_b32_e32 v38, 7, v38
	v_cmp_gt_u32_e32 vcc, 8, v26
	v_cndmask_b32_e32 v26, v41, v39, vcc
	v_cndmask_b32_e32 v38, v40, v38, vcc
	v_lshlrev_b32_e32 v28, 24, v28
	v_lshlrev_b32_e32 v38, 20, v38
	v_and_b32_e32 v28, 0x80000000, v28
	v_lshl_add_u32 v26, v26, 23, v33
	v_or3_b32 v26, v28, v26, v38
	v_lshrrev_b32_e32 v38, 16, v26
	s_branch .LBB949_12
.LBB949_205:
	buffer_load_dword v13, off, s[0:3], 0 offset:256
	buffer_load_dword v14, off, s[0:3], 0 offset:260
	buffer_load_dword v15, off, s[0:3], 0 offset:264
	buffer_load_dword v16, off, s[0:3], 0 offset:268
	buffer_load_dword v17, off, s[0:3], 0 offset:272
	buffer_load_dword v18, off, s[0:3], 0 offset:276
	buffer_load_dword v11, off, s[0:3], 0 offset:280
	buffer_load_dword v10, off, s[0:3], 0 offset:284
	buffer_load_dword v9, off, s[0:3], 0 offset:288
	buffer_load_dword v8, off, s[0:3], 0 offset:292
	buffer_load_dword v7, off, s[0:3], 0 offset:296
	buffer_load_dword v6, off, s[0:3], 0 offset:300
	buffer_load_dword v5, off, s[0:3], 0 offset:304
	buffer_load_dword v4, off, s[0:3], 0 offset:308
	buffer_load_dword v3, off, s[0:3], 0 offset:312
	buffer_load_dword v2, off, s[0:3], 0 offset:316
	v_and_b32_e32 v12, 0xc0, v0
	v_add_u32_e32 v12, s20, v12
	v_lshl_or_b32 v12, v1, 2, v12
	v_or_b32_e32 v23, 1, v12
	v_mov_b32_e32 v19, 0xff7fffff
	v_or_b32_e32 v24, 2, v12
	v_or_b32_e32 v25, 3, v12
	v_cmp_gt_i32_e64 s[26:27], s33, v12
	v_cmp_gt_i32_e64 s[28:29], s33, v23
	s_mov_b32 s52, 0xff7fffff
	v_or_b32_e32 v26, 16, v12
	v_or_b32_e32 v27, 17, v12
	;; [unrolled: 1-line block ×12, first 2 shown]
	v_cmp_gt_i32_e64 s[30:31], s33, v24
	v_cmp_gt_i32_e64 s[34:35], s33, v25
	v_mbcnt_lo_u32_b32 v20, -1, 0
	v_cmp_gt_i32_e64 s[36:37], s33, v26
	v_cmp_gt_i32_e64 s[38:39], s33, v27
	v_mbcnt_hi_u32_b32 v20, -1, v20
	v_cmp_gt_i32_e64 s[20:21], s33, v28
	v_cmp_gt_i32_e64 s[22:23], s33, v29
	v_and_b32_e32 v21, 64, v20
	v_cmp_gt_i32_e64 s[16:17], s33, v30
	v_cmp_gt_i32_e64 s[18:19], s33, v31
	v_xor_b32_e32 v22, 32, v20
	v_add_u32_e32 v21, 64, v21
	v_cmp_gt_i32_e64 s[12:13], s33, v32
	v_cmp_gt_i32_e64 s[14:15], s33, v33
	v_cmp_lt_i32_e32 vcc, v22, v21
	v_cmp_gt_i32_e64 s[6:7], s33, v34
	v_cmp_gt_i32_e64 s[10:11], s33, v35
	v_cndmask_b32_e32 v22, v20, v22, vcc
	v_cmp_gt_i32_e32 vcc, s33, v36
	v_cmp_gt_i32_e64 s[4:5], s33, v37
	v_lshlrev_b32_e32 v22, 2, v22
	s_waitcnt vmcnt(15)
	v_cndmask_b32_e64 v12, v19, v13, s[26:27]
	s_waitcnt vmcnt(14)
	v_cndmask_b32_e64 v23, v19, v14, s[28:29]
	;; [unrolled: 2-line block ×4, first 2 shown]
	v_max3_f32 v12, v12, s52, v23
	s_waitcnt vmcnt(11)
	v_cndmask_b32_e64 v26, v19, v17, s[36:37]
	s_waitcnt vmcnt(10)
	v_cndmask_b32_e64 v27, v19, v18, s[38:39]
	v_max3_f32 v12, v12, v24, v25
	s_waitcnt vmcnt(9)
	v_cndmask_b32_e64 v28, v19, v11, s[20:21]
	s_waitcnt vmcnt(8)
	v_cndmask_b32_e64 v29, v19, v10, s[22:23]
	;; [unrolled: 5-line block ×5, first 2 shown]
	v_max3_f32 v12, v12, v32, v33
	s_waitcnt vmcnt(1)
	v_cndmask_b32_e32 v36, v19, v3, vcc
	s_waitcnt vmcnt(0)
	v_cndmask_b32_e64 v19, v19, v2, s[4:5]
	v_max3_f32 v12, v12, v34, v35
	v_max3_f32 v12, v12, v36, v19
	ds_bpermute_b32 v19, v22, v12
	v_xor_b32_e32 v23, 16, v20
	v_cmp_lt_i32_e64 s[40:41], v23, v21
	v_cndmask_b32_e64 v20, v20, v23, s[40:41]
	v_lshlrev_b32_e32 v20, 2, v20
	s_waitcnt lgkmcnt(0)
	v_max_f32_e32 v19, v19, v19
	v_max_f32_e32 v12, v12, v19
	ds_bpermute_b32 v19, v20, v12
	s_waitcnt lgkmcnt(0)
	v_max_f32_e32 v19, v19, v19
	v_max_f32_e32 v12, v12, v19
	v_sub_f32_e32 v13, v13, v12
	v_sub_f32_e32 v14, v14, v12
	;; [unrolled: 1-line block ×3, first 2 shown]
	v_mul_f32_e32 v13, 0x3fb8aa3b, v13
	v_mul_f32_e32 v14, 0x3fb8aa3b, v14
	;; [unrolled: 1-line block ×3, first 2 shown]
	v_exp_f32_e32 v13, v13
	v_exp_f32_e32 v14, v14
	;; [unrolled: 1-line block ×3, first 2 shown]
	v_sub_f32_e32 v16, v16, v12
	v_cndmask_b32_e64 v13, 0, v13, s[26:27]
	v_mul_f32_e32 v16, 0x3fb8aa3b, v16
	v_cndmask_b32_e64 v14, 0, v14, s[28:29]
	v_cndmask_b32_e64 v15, 0, v15, s[30:31]
	v_add_f32_e32 v19, 0, v13
	buffer_store_dword v13, off, s[0:3], 0 offset:256
	buffer_store_dword v14, off, s[0:3], 0 offset:260
	;; [unrolled: 1-line block ×3, first 2 shown]
	v_sub_f32_e32 v13, v17, v12
	v_exp_f32_e32 v16, v16
	v_add_f32_e32 v19, v19, v14
	v_mul_f32_e32 v13, 0x3fb8aa3b, v13
	v_sub_f32_e32 v14, v18, v12
	v_exp_f32_e32 v13, v13
	v_mul_f32_e32 v14, 0x3fb8aa3b, v14
	v_sub_f32_e32 v11, v11, v12
	v_exp_f32_e32 v14, v14
	;; [unrolled: 3-line block ×3, first 2 shown]
	v_mul_f32_e32 v10, 0x3fb8aa3b, v10
	v_sub_f32_e32 v9, v9, v12
	v_cndmask_b32_e64 v16, 0, v16, s[34:35]
	v_add_f32_e32 v19, v19, v15
	v_exp_f32_e32 v10, v10
	v_mul_f32_e32 v9, 0x3fb8aa3b, v9
	v_sub_f32_e32 v8, v8, v12
	v_add_f32_e32 v19, v19, v16
	v_cndmask_b32_e64 v13, 0, v13, s[36:37]
	v_exp_f32_e32 v9, v9
	v_mul_f32_e32 v8, 0x3fb8aa3b, v8
	v_sub_f32_e32 v7, v7, v12
	v_add_f32_e32 v15, v19, v13
	v_cndmask_b32_e64 v14, 0, v14, s[38:39]
	;; [unrolled: 5-line block ×5, first 2 shown]
	v_exp_f32_e32 v5, v5
	v_mul_f32_e32 v4, 0x3fb8aa3b, v4
	v_sub_f32_e32 v3, v3, v12
	buffer_store_dword v16, off, s[0:3], 0 offset:268
	buffer_store_dword v13, off, s[0:3], 0 offset:272
	;; [unrolled: 1-line block ×5, first 2 shown]
	v_add_f32_e32 v10, v15, v9
	v_cndmask_b32_e64 v8, 0, v8, s[18:19]
	v_exp_f32_e32 v4, v4
	v_mul_f32_e32 v3, 0x3fb8aa3b, v3
	v_sub_f32_e32 v2, v2, v12
	v_add_f32_e32 v10, v10, v8
	v_cndmask_b32_e64 v7, 0, v7, s[12:13]
	v_exp_f32_e32 v3, v3
	v_mul_f32_e32 v2, 0x3fb8aa3b, v2
	v_add_f32_e32 v10, v10, v7
	v_cndmask_b32_e64 v6, 0, v6, s[14:15]
	v_exp_f32_e32 v2, v2
	v_add_f32_e32 v10, v10, v6
	v_cndmask_b32_e64 v5, 0, v5, s[6:7]
	buffer_store_dword v9, off, s[0:3], 0 offset:288
	buffer_store_dword v8, off, s[0:3], 0 offset:292
	;; [unrolled: 1-line block ×4, first 2 shown]
	v_add_f32_e32 v6, v10, v5
	v_cndmask_b32_e64 v4, 0, v4, s[10:11]
	v_add_f32_e32 v6, v6, v4
	v_cndmask_b32_e32 v3, 0, v3, vcc
	v_add_f32_e32 v6, v6, v3
	v_cndmask_b32_e64 v2, 0, v2, s[4:5]
	v_add_f32_e32 v6, v6, v2
	ds_bpermute_b32 v7, v22, v6
	buffer_store_dword v5, off, s[0:3], 0 offset:304
	buffer_store_dword v4, off, s[0:3], 0 offset:308
	;; [unrolled: 1-line block ×4, first 2 shown]
	v_cmp_gt_u32_e32 vcc, 16, v62
	s_waitcnt lgkmcnt(0)
	s_barrier
	v_add_f32_e32 v2, v6, v7
	ds_bpermute_b32 v3, v20, v2
	s_waitcnt lgkmcnt(0)
	s_and_saveexec_b64 s[4:5], vcc
	s_cbranch_execz .LBB949_207
; %bb.206:
	v_add_f32_e32 v2, v2, v3
	v_lshlrev_b32_e32 v3, 2, v61
	ds_write2st64_b32 v3, v12, v2 offset1:1
.LBB949_207:
	s_or_b64 exec, exec, s[4:5]
	v_lshlrev_b32_e32 v2, 2, v51
	s_waitcnt lgkmcnt(0)
	s_barrier
	ds_read2_b32 v[14:15], v2 offset1:16
	ds_read2_b32 v[16:17], v2 offset0:32 offset1:48
	ds_read2_b32 v[6:7], v2 offset0:64 offset1:80
	;; [unrolled: 1-line block ×3, first 2 shown]
	s_waitcnt lgkmcnt(0)
	s_barrier
	buffer_load_dword v22, off, s[0:3], 0 offset:264
	buffer_load_dword v23, off, s[0:3], 0 offset:268
	buffer_load_dword v24, off, s[0:3], 0 offset:256
	buffer_load_dword v25, off, s[0:3], 0 offset:260
	buffer_load_dword v10, off, s[0:3], 0 offset:280
	buffer_load_dword v11, off, s[0:3], 0 offset:284
	buffer_load_dword v8, off, s[0:3], 0 offset:272
	buffer_load_dword v9, off, s[0:3], 0 offset:276
	buffer_load_dword v18, off, s[0:3], 0 offset:288
	buffer_load_dword v19, off, s[0:3], 0 offset:292
	buffer_load_dword v26, off, s[0:3], 0 offset:296
	buffer_load_dword v27, off, s[0:3], 0 offset:300
	buffer_load_dword v2, off, s[0:3], 0 offset:304
	buffer_load_dword v3, off, s[0:3], 0 offset:308
	buffer_load_dword v4, off, s[0:3], 0 offset:312
	buffer_load_dword v5, off, s[0:3], 0 offset:316
	v_max3_f32 v20, v14, s52, v15
	v_max3_f32 v20, v20, v16, v17
	v_sub_f32_e32 v14, v14, v20
	v_sub_f32_e32 v15, v15, v20
	v_mul_f32_e32 v14, 0x3fb8aa3b, v14
	v_sub_f32_e32 v16, v16, v20
	v_mul_f32_e32 v15, 0x3fb8aa3b, v15
	v_exp_f32_e32 v14, v14
	v_sub_f32_e32 v17, v17, v20
	v_mul_f32_e32 v16, 0x3fb8aa3b, v16
	v_exp_f32_e32 v15, v15
	v_mul_f32_e32 v17, 0x3fb8aa3b, v17
	v_exp_f32_e32 v16, v16
	v_exp_f32_e32 v17, v17
	v_fma_f32 v6, v14, v6, 0
	v_fmac_f32_e32 v6, v15, v7
	v_fmac_f32_e32 v6, v16, v12
	;; [unrolled: 1-line block ×3, first 2 shown]
	v_cmp_eq_u32_e32 vcc, 1, v60
	v_add_f32_e32 v12, 0x358637bd, v6
	v_cndmask_b32_e32 v14, v14, v15, vcc
	v_cmp_eq_u32_e32 vcc, 2, v60
	v_div_scale_f32 v13, s[4:5], v12, v12, 1.0
	v_cndmask_b32_e32 v7, v14, v16, vcc
	v_rcp_f32_e32 v14, v13
	v_cmp_eq_u32_e32 vcc, 3, v60
	v_cndmask_b32_e32 v7, v7, v17, vcc
	v_div_scale_f32 v15, vcc, 1.0, v12, 1.0
	v_fma_f32 v16, -v13, v14, 1.0
	v_fmac_f32_e32 v14, v16, v14
	v_mul_f32_e32 v16, v15, v14
	v_fma_f32 v17, -v13, v16, v15
	v_fmac_f32_e32 v16, v17, v14
	v_fma_f32 v13, -v13, v16, v15
	v_div_fmas_f32 v13, v13, v14, v16
	v_div_fixup_f32 v12, v13, v12, 1.0
	v_mul_f32_e32 v12, v7, v12
	s_movk_i32 s19, 0x7fff
	s_mov_b32 s20, 0x7060302
	s_lshl_b32 s18, s51, 3
	v_cmp_gt_u32_e32 vcc, 8, v0
	s_waitcnt vmcnt(14)
	v_pk_mul_f32 v[14:15], v[12:13], v[22:23] op_sel_hi:[0,1]
	v_bfe_u32 v21, v15, 16, 1
	s_waitcnt vmcnt(12)
	v_pk_mul_f32 v[16:17], v[12:13], v[24:25] op_sel_hi:[0,1]
	v_bfe_u32 v7, v17, 16, 1
	v_bfe_u32 v13, v16, 16, 1
	;; [unrolled: 1-line block ×3, first 2 shown]
	v_add3_u32 v13, v16, v13, s19
	v_add3_u32 v7, v17, v7, s19
	buffer_store_dword v16, off, s[0:3], 0 offset:256
	buffer_store_dword v17, off, s[0:3], 0 offset:260
	;; [unrolled: 1-line block ×4, first 2 shown]
	v_add3_u32 v16, v14, v22, s19
	v_add3_u32 v15, v15, v21, s19
	v_perm_b32 v14, v7, v13, s20
	v_lshlrev_b32_e32 v13, 3, v1
	v_perm_b32 v15, v15, v16, s20
	v_lshlrev_b32_e32 v7, 5, v51
	v_lshlrev_b32_e32 v16, 11, v60
	s_waitcnt vmcnt(12)
	v_pk_mul_f32 v[8:9], v[12:13], v[8:9] op_sel_hi:[0,1]
	v_or3_b32 v39, v16, v7, v13
	v_pk_mul_f32 v[10:11], v[12:13], v[10:11] op_sel_hi:[0,1]
	v_bfe_u32 v13, v9, 16, 1
	v_bfe_u32 v16, v8, 16, 1
	buffer_store_dword v8, off, s[0:3], 0 offset:272
	buffer_store_dword v9, off, s[0:3], 0 offset:276
	;; [unrolled: 1-line block ×4, first 2 shown]
	v_add3_u32 v8, v8, v16, s19
	v_add3_u32 v9, v9, v13, s19
	v_perm_b32 v8, v9, v8, s20
	v_bfe_u32 v9, v11, 16, 1
	v_bfe_u32 v13, v10, 16, 1
	v_add3_u32 v10, v10, v13, s19
	v_add3_u32 v9, v11, v9, s19
	v_perm_b32 v9, v9, v10, s20
	s_waitcnt vmcnt(14)
	v_pk_mul_f32 v[10:11], v[12:13], v[18:19] op_sel_hi:[0,1]
	ds_write2st64_b64 v39, v[14:15], v[8:9] offset1:1
	s_waitcnt vmcnt(12)
	v_pk_mul_f32 v[8:9], v[12:13], v[26:27] op_sel_hi:[0,1]
	v_bfe_u32 v13, v11, 16, 1
	v_bfe_u32 v14, v10, 16, 1
	buffer_store_dword v10, off, s[0:3], 0 offset:288
	buffer_store_dword v11, off, s[0:3], 0 offset:292
	;; [unrolled: 1-line block ×4, first 2 shown]
	v_add3_u32 v10, v10, v14, s19
	v_add3_u32 v11, v11, v13, s19
	v_perm_b32 v10, v11, v10, s20
	v_bfe_u32 v11, v9, 16, 1
	v_bfe_u32 v13, v8, 16, 1
	v_add3_u32 v8, v8, v13, s19
	v_add3_u32 v9, v9, v11, s19
	s_waitcnt vmcnt(14)
	v_pk_mul_f32 v[2:3], v[12:13], v[2:3] op_sel_hi:[0,1]
	v_perm_b32 v11, v9, v8, s20
	v_bfe_u32 v8, v3, 16, 1
	v_bfe_u32 v9, v2, 16, 1
	s_waitcnt vmcnt(12)
	v_pk_mul_f32 v[4:5], v[12:13], v[4:5] op_sel_hi:[0,1]
	buffer_store_dword v2, off, s[0:3], 0 offset:304
	buffer_store_dword v3, off, s[0:3], 0 offset:308
	buffer_store_dword v4, off, s[0:3], 0 offset:312
	buffer_store_dword v5, off, s[0:3], 0 offset:316
	v_add3_u32 v2, v2, v9, s19
	v_add3_u32 v3, v3, v8, s19
	v_perm_b32 v2, v3, v2, s20
	v_bfe_u32 v3, v5, 16, 1
	v_bfe_u32 v8, v4, 16, 1
	v_add3_u32 v4, v4, v8, s19
	v_add3_u32 v3, v5, v3, s19
	v_perm_b32 v3, v3, v4, s20
	ds_write2st64_b64 v39, v[10:11], v[2:3] offset0:2 offset1:3
	s_and_saveexec_b64 s[4:5], vcc
	s_cbranch_execz .LBB949_209
; %bb.208:
	v_or_b32_e32 v2, s25, v0
	v_mov_b32_e32 v3, 0
	v_mov_b32_e32 v4, s18
	v_mad_u64_u32 v[4:5], s[6:7], s8, v4, v[2:3]
	v_mov_b32_e32 v2, s24
	s_mul_i32 s9, s9, s18
	v_mad_u64_u32 v[2:3], s[6:7], v4, s50, v[2:3]
	v_add_u32_e32 v5, s9, v5
	v_mov_b32_e32 v4, v3
	v_mad_u64_u32 v[4:5], s[6:7], v5, s50, v[4:5]
	v_mov_b32_e32 v3, v4
	v_lshlrev_b64 v[2:3], 2, v[2:3]
	v_mov_b32_e32 v5, s47
	v_add_co_u32_e32 v4, vcc, s46, v2
	v_addc_co_u32_e32 v5, vcc, v5, v3, vcc
	global_store_dword v[4:5], v20, off
	v_mov_b32_e32 v4, s45
	v_add_co_u32_e32 v2, vcc, s44, v2
	v_addc_co_u32_e32 v3, vcc, v4, v3, vcc
	global_store_dword v[2:3], v6, off
.LBB949_209:
	s_or_b64 exec, exec, s[4:5]
	v_lshl_or_b32 v30, v1, 9, v7
	s_waitcnt lgkmcnt(0)
	s_barrier
	s_load_dword s4, s[42:43], 0x0
	ds_read_b128 v[2:5], v30
	ds_read_b128 v[6:9], v30 offset:16
	ds_read_b128 v[10:13], v30 offset:2048
	;; [unrolled: 1-line block ×7, first 2 shown]
	v_mov_b32_e32 v35, 0x80
	v_mov_b32_e32 v41, 0x140
	s_mov_b64 s[10:11], -1
	s_waitcnt lgkmcnt(0)
	s_mov_b32 s5, s4
	s_mov_b32 s6, s4
	;; [unrolled: 1-line block ×3, first 2 shown]
	s_movk_i32 s9, 0x80
	s_movk_i32 s21, 0x7f
	s_mov_b32 s22, 0xffffff
	s_mov_b32 s23, 0x5040100
	v_mov_b32_e32 v43, 0
	v_bfrev_b32_e32 v45, 60
	s_branch .LBB949_213
.LBB949_210:                            ;   in Loop: Header=BB949_213 Depth=1
	s_or_b64 exec, exec, s[16:17]
.LBB949_211:                            ;   in Loop: Header=BB949_213 Depth=1
	s_or_b64 exec, exec, s[14:15]
.LBB949_212:                            ;   in Loop: Header=BB949_213 Depth=1
	s_or_b64 exec, exec, s[12:13]
	v_perm_b32 v47, v49, v47, s23
	v_perm_b32 v46, v44, v46, s23
	s_xor_b64 s[12:13], s[10:11], -1
	s_mov_b64 s[10:11], 0
	v_mov_b32_e32 v59, v54
	v_mfma_f32_16x16x16bf16_1k v[60:63], v[46:47], v[30:31], v[34:37]
	s_and_b64 vcc, exec, s[12:13]
	s_nop 5
	v_perm_b32 v37, v58, v57, s23
	v_perm_b32 v36, v42, v48, s23
	v_mov_b32_e32 v35, v53
	v_mov_b32_e32 v58, v55
	v_mfma_f32_16x16x16bf16_1k v[46:49], v[36:37], v[32:33], v[60:63]
	v_mov_b32_e32 v57, v56
	s_nop 7
	s_nop 1
	v_pk_mul_f32 v[46:47], v[46:47], s[4:5]
	v_pk_mul_f32 v[36:37], v[48:49], s[6:7]
	v_bfe_u32 v34, v47, 16, 1
	v_bfe_u32 v38, v46, 16, 1
	;; [unrolled: 1-line block ×4, first 2 shown]
	v_add3_u32 v38, v46, v38, s19
	v_add3_u32 v34, v47, v34, s19
	;; [unrolled: 1-line block ×4, first 2 shown]
	v_perm_b32 v34, v34, v38, s20
	v_perm_b32 v36, v37, v36, s20
	buffer_store_dword v34, v41, s[0:3], 0 offen
	buffer_store_dword v36, v41, s[0:3], 0 offen offset:4
	v_mov_b32_e32 v41, 0x148
	s_cbranch_vccnz .LBB949_595
.LBB949_213:                            ; =>This Inner Loop Header: Depth=1
	buffer_load_dword v36, v35, s[0:3], 0 offen
	buffer_load_dword v34, v35, s[0:3], 0 offen offset:4
	buffer_load_dword v40, v35, s[0:3], 0 offen offset:8
	;; [unrolled: 1-line block ×3, first 2 shown]
	v_mov_b32_e32 v35, 0
	s_waitcnt vmcnt(3)
	v_cmp_ne_u16_sdwa s[14:15], v36, v43 src0_sel:BYTE_0 src1_sel:DWORD
	s_and_saveexec_b64 s[12:13], s[14:15]
	s_cbranch_execz .LBB949_219
; %bb.214:                              ;   in Loop: Header=BB949_213 Depth=1
	v_cmp_ne_u16_sdwa s[16:17], v36, s9 src0_sel:BYTE_0 src1_sel:DWORD
	v_mov_b32_e32 v35, 0xffff8000
	s_and_saveexec_b64 s[14:15], s[16:17]
	s_cbranch_execz .LBB949_218
; %bb.215:                              ;   in Loop: Header=BB949_213 Depth=1
	v_and_b32_e32 v37, 0x7f, v36
	v_cmp_ne_u32_e32 vcc, s21, v37
	v_mov_b32_e32 v35, 0x7f80
	s_and_saveexec_b64 s[16:17], vcc
	s_cbranch_execz .LBB949_217
; %bb.216:                              ;   in Loop: Header=BB949_213 Depth=1
	v_and_b32_e32 v35, 7, v36
	v_ffbh_u32_e32 v44, v35
	v_min_u32_e32 v44, 32, v44
	v_subrev_u32_e32 v46, 28, v44
	v_lshlrev_b64 v[46:47], v46, v[36:37]
	v_lshrrev_b32_e32 v42, 3, v37
	v_sub_u32_e32 v44, 29, v44
	v_and_b32_e32 v46, 7, v46
	v_cmp_gt_u32_e32 vcc, 8, v37
	v_cndmask_b32_e32 v37, v42, v44, vcc
	v_cndmask_b32_e32 v35, v35, v46, vcc
	v_lshlrev_b32_e32 v42, 24, v36
	v_lshlrev_b32_e32 v35, 20, v35
	v_and_b32_e32 v42, 0x80000000, v42
	v_lshl_add_u32 v37, v37, 23, v45
	v_or3_b32 v35, v42, v37, v35
	v_lshrrev_b32_e32 v35, 16, v35
.LBB949_217:                            ;   in Loop: Header=BB949_213 Depth=1
	s_or_b64 exec, exec, s[16:17]
.LBB949_218:                            ;   in Loop: Header=BB949_213 Depth=1
	s_or_b64 exec, exec, s[14:15]
.LBB949_219:                            ;   in Loop: Header=BB949_213 Depth=1
	s_or_b64 exec, exec, s[12:13]
	v_lshrrev_b16_e32 v42, 8, v36
	v_cmp_ne_u16_e32 vcc, 0, v42
	v_mov_b32_e32 v46, 0
	v_mov_b32_e32 v37, 0
	s_and_saveexec_b64 s[12:13], vcc
	s_cbranch_execz .LBB949_225
; %bb.220:                              ;   in Loop: Header=BB949_213 Depth=1
	v_cmp_ne_u16_e32 vcc, s9, v42
	v_mov_b32_e32 v37, 0xffff8000
	s_and_saveexec_b64 s[14:15], vcc
	s_cbranch_execz .LBB949_224
; %bb.221:                              ;   in Loop: Header=BB949_213 Depth=1
	v_and_b32_e32 v44, 0x7f, v42
	v_cmp_ne_u32_e32 vcc, s21, v44
	v_mov_b32_e32 v37, 0x7f80
	s_and_saveexec_b64 s[16:17], vcc
	s_cbranch_execz .LBB949_223
; %bb.222:                              ;   in Loop: Header=BB949_213 Depth=1
	v_and_b32_e32 v37, 7, v42
	v_ffbh_u32_e32 v48, v37
	v_min_u32_e32 v60, 32, v48
	v_subrev_u32_e32 v48, 28, v60
	v_lshlrev_b64 v[48:49], v48, v[42:43]
	v_lshrrev_b32_e32 v47, 3, v44
	v_sub_u32_e32 v42, 29, v60
	v_and_b32_e32 v48, 7, v48
	v_cmp_gt_u32_e32 vcc, 8, v44
	v_cndmask_b32_e32 v42, v47, v42, vcc
	v_cndmask_b32_e32 v37, v37, v48, vcc
	v_lshlrev_b32_e32 v44, 16, v36
	v_lshlrev_b32_e32 v37, 20, v37
	v_and_b32_e32 v44, 0x80000000, v44
	v_lshl_add_u32 v42, v42, 23, v45
	v_or3_b32 v37, v44, v42, v37
	v_lshrrev_b32_e32 v37, 16, v37
.LBB949_223:                            ;   in Loop: Header=BB949_213 Depth=1
	s_or_b64 exec, exec, s[16:17]
.LBB949_224:                            ;   in Loop: Header=BB949_213 Depth=1
	s_or_b64 exec, exec, s[14:15]
.LBB949_225:                            ;   in Loop: Header=BB949_213 Depth=1
	s_or_b64 exec, exec, s[12:13]
	v_lshrrev_b32_e32 v42, 16, v36
	v_cmp_ne_u16_sdwa s[14:15], v42, v43 src0_sel:BYTE_0 src1_sel:DWORD
	s_and_saveexec_b64 s[12:13], s[14:15]
	s_cbranch_execz .LBB949_231
; %bb.226:                              ;   in Loop: Header=BB949_213 Depth=1
	v_cmp_ne_u16_sdwa s[16:17], v42, s9 src0_sel:BYTE_0 src1_sel:DWORD
	v_mov_b32_e32 v46, 0xffff8000
	s_and_saveexec_b64 s[14:15], s[16:17]
	s_cbranch_execz .LBB949_230
; %bb.227:                              ;   in Loop: Header=BB949_213 Depth=1
	v_bfe_u32 v44, v36, 16, 7
	v_cmp_ne_u32_e32 vcc, s21, v44
	v_mov_b32_e32 v46, 0x7f80
	s_and_saveexec_b64 s[16:17], vcc
	s_cbranch_execz .LBB949_229
; %bb.228:                              ;   in Loop: Header=BB949_213 Depth=1
	v_and_b32_e32 v48, 7, v42
	v_ffbh_u32_e32 v46, v48
	v_min_u32_e32 v60, 32, v46
	v_subrev_u32_e32 v46, 28, v60
	v_lshlrev_b64 v[46:47], v46, v[42:43]
	v_lshrrev_b32_e32 v49, 3, v44
	v_sub_u32_e32 v47, 29, v60
	v_and_b32_e32 v46, 7, v46
	v_cmp_gt_u32_e32 vcc, 8, v44
	v_cndmask_b32_e32 v44, v49, v47, vcc
	v_cndmask_b32_e32 v46, v48, v46, vcc
	v_lshlrev_b32_e32 v42, 24, v42
	v_lshlrev_b32_e32 v46, 20, v46
	v_and_b32_e32 v42, 0x80000000, v42
	v_lshl_add_u32 v44, v44, 23, v45
	v_or3_b32 v42, v42, v44, v46
	v_lshrrev_b32_e32 v46, 16, v42
.LBB949_229:                            ;   in Loop: Header=BB949_213 Depth=1
	s_or_b64 exec, exec, s[16:17]
.LBB949_230:                            ;   in Loop: Header=BB949_213 Depth=1
	s_or_b64 exec, exec, s[14:15]
.LBB949_231:                            ;   in Loop: Header=BB949_213 Depth=1
	s_or_b64 exec, exec, s[12:13]
	v_cmp_lt_u32_e32 vcc, s22, v36
	v_mov_b32_e32 v47, 0
	v_mov_b32_e32 v48, 0
	s_and_saveexec_b64 s[12:13], vcc
	s_cbranch_execz .LBB949_237
; %bb.232:                              ;   in Loop: Header=BB949_213 Depth=1
	v_lshrrev_b32_e32 v42, 24, v36
	v_cmp_ne_u32_e32 vcc, s9, v42
	v_mov_b32_e32 v48, 0xffff8000
	s_and_saveexec_b64 s[14:15], vcc
	s_cbranch_execz .LBB949_236
; %bb.233:                              ;   in Loop: Header=BB949_213 Depth=1
	v_bfe_u32 v36, v36, 24, 7
	v_cmp_ne_u32_e32 vcc, s21, v36
	v_mov_b32_e32 v48, 0x7f80
	s_and_saveexec_b64 s[16:17], vcc
	s_cbranch_execz .LBB949_235
; %bb.234:                              ;   in Loop: Header=BB949_213 Depth=1
	v_and_b32_e32 v44, 7, v42
	v_ffbh_u32_e32 v48, v44
	v_min_u32_e32 v61, 32, v48
	v_subrev_u32_e32 v48, 28, v61
	v_lshlrev_b64 v[48:49], v48, v[42:43]
	v_lshrrev_b32_e32 v60, 3, v36
	v_sub_u32_e32 v49, 29, v61
	v_and_b32_e32 v48, 7, v48
	v_cmp_gt_u32_e32 vcc, 8, v36
	v_cndmask_b32_e32 v36, v60, v49, vcc
	v_cndmask_b32_e32 v44, v44, v48, vcc
	v_lshlrev_b32_e32 v42, 24, v42
	v_lshlrev_b32_e32 v44, 20, v44
	v_and_b32_e32 v42, 0x80000000, v42
	v_lshl_add_u32 v36, v36, 23, v45
	v_or3_b32 v36, v42, v36, v44
	v_lshrrev_b32_e32 v48, 16, v36
.LBB949_235:                            ;   in Loop: Header=BB949_213 Depth=1
	s_or_b64 exec, exec, s[16:17]
.LBB949_236:                            ;   in Loop: Header=BB949_213 Depth=1
	s_or_b64 exec, exec, s[14:15]
.LBB949_237:                            ;   in Loop: Header=BB949_213 Depth=1
	s_or_b64 exec, exec, s[12:13]
	s_waitcnt vmcnt(2)
	v_cmp_ne_u16_sdwa s[14:15], v34, v43 src0_sel:BYTE_0 src1_sel:DWORD
	s_and_saveexec_b64 s[12:13], s[14:15]
	s_cbranch_execz .LBB949_243
; %bb.238:                              ;   in Loop: Header=BB949_213 Depth=1
	v_cmp_ne_u16_sdwa s[16:17], v34, s9 src0_sel:BYTE_0 src1_sel:DWORD
	v_mov_b32_e32 v47, 0xffff8000
	s_and_saveexec_b64 s[14:15], s[16:17]
	s_cbranch_execz .LBB949_242
; %bb.239:                              ;   in Loop: Header=BB949_213 Depth=1
	v_and_b32_e32 v36, 0x7f, v34
	v_cmp_ne_u32_e32 vcc, s21, v36
	v_mov_b32_e32 v47, 0x7f80
	s_and_saveexec_b64 s[16:17], vcc
	s_cbranch_execz .LBB949_241
; %bb.240:                              ;   in Loop: Header=BB949_213 Depth=1
	v_and_b32_e32 v42, 7, v34
	v_ffbh_u32_e32 v47, v42
	v_min_u32_e32 v47, 32, v47
	v_subrev_u32_e32 v49, 28, v47
	v_lshlrev_b64 v[60:61], v49, v[34:35]
	v_lshrrev_b32_e32 v44, 3, v36
	v_sub_u32_e32 v47, 29, v47
	v_and_b32_e32 v49, 7, v60
	v_cmp_gt_u32_e32 vcc, 8, v36
	v_cndmask_b32_e32 v36, v44, v47, vcc
	v_cndmask_b32_e32 v42, v42, v49, vcc
	v_lshlrev_b32_e32 v44, 24, v34
	v_lshlrev_b32_e32 v42, 20, v42
	v_and_b32_e32 v44, 0x80000000, v44
	v_lshl_add_u32 v36, v36, 23, v45
	v_or3_b32 v36, v44, v36, v42
	v_lshrrev_b32_e32 v47, 16, v36
.LBB949_241:                            ;   in Loop: Header=BB949_213 Depth=1
	s_or_b64 exec, exec, s[16:17]
.LBB949_242:                            ;   in Loop: Header=BB949_213 Depth=1
	s_or_b64 exec, exec, s[14:15]
.LBB949_243:                            ;   in Loop: Header=BB949_213 Depth=1
	s_or_b64 exec, exec, s[12:13]
	v_lshrrev_b16_e32 v36, 8, v34
	v_cmp_ne_u16_e32 vcc, 0, v36
	v_mov_b32_e32 v49, 0
	v_mov_b32_e32 v42, 0
	s_and_saveexec_b64 s[12:13], vcc
	s_cbranch_execz .LBB949_249
; %bb.244:                              ;   in Loop: Header=BB949_213 Depth=1
	v_cmp_ne_u16_e32 vcc, s9, v36
	v_mov_b32_e32 v42, 0xffff8000
	s_and_saveexec_b64 s[14:15], vcc
	s_cbranch_execz .LBB949_248
; %bb.245:                              ;   in Loop: Header=BB949_213 Depth=1
	v_and_b32_e32 v44, 0x7f, v36
	v_cmp_ne_u32_e32 vcc, s21, v44
	v_mov_b32_e32 v42, 0x7f80
	s_and_saveexec_b64 s[16:17], vcc
	s_cbranch_execz .LBB949_247
; %bb.246:                              ;   in Loop: Header=BB949_213 Depth=1
	v_and_b32_e32 v42, 7, v36
	v_ffbh_u32_e32 v60, v42
	v_min_u32_e32 v63, 32, v60
	v_subrev_u32_e32 v60, 28, v63
	v_lshlrev_b64 v[60:61], v60, v[36:37]
	v_lshrrev_b32_e32 v62, 3, v44
	v_sub_u32_e32 v36, 29, v63
	v_and_b32_e32 v60, 7, v60
	v_cmp_gt_u32_e32 vcc, 8, v44
	v_cndmask_b32_e32 v36, v62, v36, vcc
	v_cndmask_b32_e32 v42, v42, v60, vcc
	v_lshlrev_b32_e32 v44, 16, v34
	v_lshlrev_b32_e32 v42, 20, v42
	v_and_b32_e32 v44, 0x80000000, v44
	v_lshl_add_u32 v36, v36, 23, v45
	v_or3_b32 v36, v44, v36, v42
	v_lshrrev_b32_e32 v42, 16, v36
.LBB949_247:                            ;   in Loop: Header=BB949_213 Depth=1
	s_or_b64 exec, exec, s[16:17]
.LBB949_248:                            ;   in Loop: Header=BB949_213 Depth=1
	s_or_b64 exec, exec, s[14:15]
.LBB949_249:                            ;   in Loop: Header=BB949_213 Depth=1
	s_or_b64 exec, exec, s[12:13]
	v_lshrrev_b32_e32 v36, 16, v34
	v_cmp_ne_u16_sdwa s[14:15], v36, v43 src0_sel:BYTE_0 src1_sel:DWORD
	s_and_saveexec_b64 s[12:13], s[14:15]
	s_cbranch_execz .LBB949_255
; %bb.250:                              ;   in Loop: Header=BB949_213 Depth=1
	v_cmp_ne_u16_sdwa s[16:17], v36, s9 src0_sel:BYTE_0 src1_sel:DWORD
	v_mov_b32_e32 v49, 0xffff8000
	s_and_saveexec_b64 s[14:15], s[16:17]
	s_cbranch_execz .LBB949_254
; %bb.251:                              ;   in Loop: Header=BB949_213 Depth=1
	v_bfe_u32 v44, v34, 16, 7
	v_cmp_ne_u32_e32 vcc, s21, v44
	v_mov_b32_e32 v49, 0x7f80
	s_and_saveexec_b64 s[16:17], vcc
	s_cbranch_execz .LBB949_253
; %bb.252:                              ;   in Loop: Header=BB949_213 Depth=1
	v_and_b32_e32 v49, 7, v36
	v_ffbh_u32_e32 v60, v49
	v_min_u32_e32 v63, 32, v60
	v_subrev_u32_e32 v60, 28, v63
	v_lshlrev_b64 v[60:61], v60, v[36:37]
	v_lshrrev_b32_e32 v62, 3, v44
	v_sub_u32_e32 v61, 29, v63
	v_and_b32_e32 v60, 7, v60
	v_cmp_gt_u32_e32 vcc, 8, v44
	v_cndmask_b32_e32 v44, v62, v61, vcc
	v_cndmask_b32_e32 v49, v49, v60, vcc
	v_lshlrev_b32_e32 v36, 24, v36
	v_lshlrev_b32_e32 v49, 20, v49
	v_and_b32_e32 v36, 0x80000000, v36
	v_lshl_add_u32 v44, v44, 23, v45
	v_or3_b32 v36, v36, v44, v49
	v_lshrrev_b32_e32 v49, 16, v36
.LBB949_253:                            ;   in Loop: Header=BB949_213 Depth=1
	s_or_b64 exec, exec, s[16:17]
.LBB949_254:                            ;   in Loop: Header=BB949_213 Depth=1
	s_or_b64 exec, exec, s[14:15]
.LBB949_255:                            ;   in Loop: Header=BB949_213 Depth=1
	s_or_b64 exec, exec, s[12:13]
	v_cmp_lt_u32_e32 vcc, s22, v34
	v_mov_b32_e32 v44, 0
	v_mov_b32_e32 v60, 0
	s_and_saveexec_b64 s[12:13], vcc
	s_cbranch_execz .LBB949_261
; %bb.256:                              ;   in Loop: Header=BB949_213 Depth=1
	v_lshrrev_b32_e32 v36, 24, v34
	v_cmp_ne_u32_e32 vcc, s9, v36
	v_mov_b32_e32 v60, 0xffff8000
	s_and_saveexec_b64 s[14:15], vcc
	s_cbranch_execz .LBB949_260
; %bb.257:                              ;   in Loop: Header=BB949_213 Depth=1
	v_bfe_u32 v34, v34, 24, 7
	v_cmp_ne_u32_e32 vcc, s21, v34
	v_mov_b32_e32 v60, 0x7f80
	s_and_saveexec_b64 s[16:17], vcc
	s_cbranch_execz .LBB949_259
; %bb.258:                              ;   in Loop: Header=BB949_213 Depth=1
	v_and_b32_e32 v62, 7, v36
	v_ffbh_u32_e32 v60, v62
	v_min_u32_e32 v64, 32, v60
	v_subrev_u32_e32 v60, 28, v64
	v_lshlrev_b64 v[60:61], v60, v[36:37]
	v_lshrrev_b32_e32 v63, 3, v34
	v_sub_u32_e32 v61, 29, v64
	v_and_b32_e32 v60, 7, v60
	v_cmp_gt_u32_e32 vcc, 8, v34
	v_cndmask_b32_e32 v34, v63, v61, vcc
	v_cndmask_b32_e32 v60, v62, v60, vcc
	v_lshlrev_b32_e32 v36, 24, v36
	v_lshlrev_b32_e32 v60, 20, v60
	v_and_b32_e32 v36, 0x80000000, v36
	v_lshl_add_u32 v34, v34, 23, v45
	v_or3_b32 v34, v36, v34, v60
	v_lshrrev_b32_e32 v60, 16, v34
.LBB949_259:                            ;   in Loop: Header=BB949_213 Depth=1
	s_or_b64 exec, exec, s[16:17]
.LBB949_260:                            ;   in Loop: Header=BB949_213 Depth=1
	s_or_b64 exec, exec, s[14:15]
.LBB949_261:                            ;   in Loop: Header=BB949_213 Depth=1
	s_or_b64 exec, exec, s[12:13]
	v_perm_b32 v63, v48, v46, s23
	v_perm_b32 v62, v37, v35, s23
	;; [unrolled: 1-line block ×4, first 2 shown]
	s_waitcnt vmcnt(1)
	v_cmp_ne_u16_sdwa s[14:15], v40, v43 src0_sel:BYTE_0 src1_sel:DWORD
	v_mfma_f32_16x16x16bf16_1k v[34:37], v[62:63], v[2:3], 0
	v_mfma_f32_16x16x16bf16_1k v[34:37], v[48:49], v[4:5], v[34:37]
	s_and_saveexec_b64 s[12:13], s[14:15]
	s_cbranch_execz .LBB949_267
; %bb.262:                              ;   in Loop: Header=BB949_213 Depth=1
	v_cmp_ne_u16_sdwa s[16:17], v40, s9 src0_sel:BYTE_0 src1_sel:DWORD
	v_mov_b32_e32 v44, 0xffff8000
	s_and_saveexec_b64 s[14:15], s[16:17]
	s_cbranch_execz .LBB949_266
; %bb.263:                              ;   in Loop: Header=BB949_213 Depth=1
	v_and_b32_e32 v42, 0x7f, v40
	v_cmp_ne_u32_e32 vcc, s21, v42
	v_mov_b32_e32 v44, 0x7f80
	s_and_saveexec_b64 s[16:17], vcc
	s_cbranch_execz .LBB949_265
; %bb.264:                              ;   in Loop: Header=BB949_213 Depth=1
	v_and_b32_e32 v44, 7, v40
	v_ffbh_u32_e32 v46, v44
	v_min_u32_e32 v49, 32, v46
	v_subrev_u32_e32 v46, 28, v49
	v_lshlrev_b64 v[46:47], v46, v[40:41]
	v_lshrrev_b32_e32 v48, 3, v42
	v_sub_u32_e32 v47, 29, v49
	v_and_b32_e32 v46, 7, v46
	v_cmp_gt_u32_e32 vcc, 8, v42
	v_cndmask_b32_e32 v42, v48, v47, vcc
	v_cndmask_b32_e32 v44, v44, v46, vcc
	v_lshlrev_b32_e32 v46, 24, v40
	v_lshlrev_b32_e32 v44, 20, v44
	v_and_b32_e32 v46, 0x80000000, v46
	v_lshl_add_u32 v42, v42, 23, v45
	v_or3_b32 v42, v46, v42, v44
	v_lshrrev_b32_e32 v44, 16, v42
.LBB949_265:                            ;   in Loop: Header=BB949_213 Depth=1
	s_or_b64 exec, exec, s[16:17]
.LBB949_266:                            ;   in Loop: Header=BB949_213 Depth=1
	s_or_b64 exec, exec, s[14:15]
.LBB949_267:                            ;   in Loop: Header=BB949_213 Depth=1
	s_or_b64 exec, exec, s[12:13]
	v_lshrrev_b16_e32 v42, 8, v40
	v_cmp_ne_u16_e32 vcc, 0, v42
	v_mov_b32_e32 v48, 0
	v_mov_b32_e32 v46, 0
	s_and_saveexec_b64 s[12:13], vcc
	s_cbranch_execz .LBB949_273
; %bb.268:                              ;   in Loop: Header=BB949_213 Depth=1
	v_cmp_ne_u16_e32 vcc, s9, v42
	v_mov_b32_e32 v46, 0xffff8000
	s_and_saveexec_b64 s[14:15], vcc
	s_cbranch_execz .LBB949_272
; %bb.269:                              ;   in Loop: Header=BB949_213 Depth=1
	v_and_b32_e32 v47, 0x7f, v42
	v_cmp_ne_u32_e32 vcc, s21, v47
	v_mov_b32_e32 v46, 0x7f80
	s_and_saveexec_b64 s[16:17], vcc
	s_cbranch_execz .LBB949_271
; %bb.270:                              ;   in Loop: Header=BB949_213 Depth=1
	v_and_b32_e32 v46, 7, v42
	v_ffbh_u32_e32 v60, v46
	v_min_u32_e32 v62, 32, v60
	v_subrev_u32_e32 v60, 28, v62
	v_lshlrev_b64 v[60:61], v60, v[42:43]
	v_lshrrev_b32_e32 v49, 3, v47
	v_sub_u32_e32 v42, 29, v62
	v_and_b32_e32 v60, 7, v60
	v_cmp_gt_u32_e32 vcc, 8, v47
	v_cndmask_b32_e32 v42, v49, v42, vcc
	v_cndmask_b32_e32 v46, v46, v60, vcc
	v_lshlrev_b32_e32 v47, 16, v40
	v_lshlrev_b32_e32 v46, 20, v46
	v_and_b32_e32 v47, 0x80000000, v47
	v_lshl_add_u32 v42, v42, 23, v45
	v_or3_b32 v42, v47, v42, v46
	v_lshrrev_b32_e32 v46, 16, v42
.LBB949_271:                            ;   in Loop: Header=BB949_213 Depth=1
	s_or_b64 exec, exec, s[16:17]
.LBB949_272:                            ;   in Loop: Header=BB949_213 Depth=1
	s_or_b64 exec, exec, s[14:15]
.LBB949_273:                            ;   in Loop: Header=BB949_213 Depth=1
	s_or_b64 exec, exec, s[12:13]
	v_lshrrev_b32_e32 v42, 16, v40
	v_cmp_ne_u16_sdwa s[14:15], v42, v43 src0_sel:BYTE_0 src1_sel:DWORD
	s_and_saveexec_b64 s[12:13], s[14:15]
	s_cbranch_execz .LBB949_279
; %bb.274:                              ;   in Loop: Header=BB949_213 Depth=1
	v_cmp_ne_u16_sdwa s[16:17], v42, s9 src0_sel:BYTE_0 src1_sel:DWORD
	v_mov_b32_e32 v48, 0xffff8000
	s_and_saveexec_b64 s[14:15], s[16:17]
	s_cbranch_execz .LBB949_278
; %bb.275:                              ;   in Loop: Header=BB949_213 Depth=1
	v_bfe_u32 v47, v40, 16, 7
	v_cmp_ne_u32_e32 vcc, s21, v47
	v_mov_b32_e32 v48, 0x7f80
	s_and_saveexec_b64 s[16:17], vcc
	s_cbranch_execz .LBB949_277
; %bb.276:                              ;   in Loop: Header=BB949_213 Depth=1
	v_and_b32_e32 v60, 7, v42
	v_ffbh_u32_e32 v48, v60
	v_min_u32_e32 v62, 32, v48
	v_subrev_u32_e32 v48, 28, v62
	v_lshlrev_b64 v[48:49], v48, v[42:43]
	v_lshrrev_b32_e32 v61, 3, v47
	v_sub_u32_e32 v49, 29, v62
	v_and_b32_e32 v48, 7, v48
	v_cmp_gt_u32_e32 vcc, 8, v47
	v_cndmask_b32_e32 v47, v61, v49, vcc
	v_cndmask_b32_e32 v48, v60, v48, vcc
	v_lshlrev_b32_e32 v42, 24, v42
	v_lshlrev_b32_e32 v48, 20, v48
	v_and_b32_e32 v42, 0x80000000, v42
	v_lshl_add_u32 v47, v47, 23, v45
	v_or3_b32 v42, v42, v47, v48
	v_lshrrev_b32_e32 v48, 16, v42
.LBB949_277:                            ;   in Loop: Header=BB949_213 Depth=1
	s_or_b64 exec, exec, s[16:17]
.LBB949_278:                            ;   in Loop: Header=BB949_213 Depth=1
	s_or_b64 exec, exec, s[14:15]
.LBB949_279:                            ;   in Loop: Header=BB949_213 Depth=1
	s_or_b64 exec, exec, s[12:13]
	v_cmp_lt_u32_e32 vcc, s22, v40
	v_mov_b32_e32 v49, 0
	v_mov_b32_e32 v60, 0
	s_and_saveexec_b64 s[12:13], vcc
	s_cbranch_execz .LBB949_285
; %bb.280:                              ;   in Loop: Header=BB949_213 Depth=1
	v_lshrrev_b32_e32 v42, 24, v40
	v_cmp_ne_u32_e32 vcc, s9, v42
	v_mov_b32_e32 v60, 0xffff8000
	s_and_saveexec_b64 s[14:15], vcc
	s_cbranch_execz .LBB949_284
; %bb.281:                              ;   in Loop: Header=BB949_213 Depth=1
	v_bfe_u32 v40, v40, 24, 7
	v_cmp_ne_u32_e32 vcc, s21, v40
	v_mov_b32_e32 v60, 0x7f80
	s_and_saveexec_b64 s[16:17], vcc
	s_cbranch_execz .LBB949_283
; %bb.282:                              ;   in Loop: Header=BB949_213 Depth=1
	v_and_b32_e32 v47, 7, v42
	v_ffbh_u32_e32 v60, v47
	v_min_u32_e32 v63, 32, v60
	v_subrev_u32_e32 v60, 28, v63
	v_lshlrev_b64 v[60:61], v60, v[42:43]
	v_lshrrev_b32_e32 v62, 3, v40
	v_sub_u32_e32 v61, 29, v63
	v_and_b32_e32 v60, 7, v60
	v_cmp_gt_u32_e32 vcc, 8, v40
	v_cndmask_b32_e32 v40, v62, v61, vcc
	v_cndmask_b32_e32 v47, v47, v60, vcc
	v_lshlrev_b32_e32 v42, 24, v42
	v_lshlrev_b32_e32 v47, 20, v47
	v_and_b32_e32 v42, 0x80000000, v42
	v_lshl_add_u32 v40, v40, 23, v45
	v_or3_b32 v40, v42, v40, v47
	v_lshrrev_b32_e32 v60, 16, v40
.LBB949_283:                            ;   in Loop: Header=BB949_213 Depth=1
	s_or_b64 exec, exec, s[16:17]
.LBB949_284:                            ;   in Loop: Header=BB949_213 Depth=1
	s_or_b64 exec, exec, s[14:15]
.LBB949_285:                            ;   in Loop: Header=BB949_213 Depth=1
	s_or_b64 exec, exec, s[12:13]
	s_waitcnt vmcnt(0)
	v_cmp_ne_u16_sdwa s[14:15], v38, v43 src0_sel:BYTE_0 src1_sel:DWORD
	s_and_saveexec_b64 s[12:13], s[14:15]
	s_cbranch_execz .LBB949_291
; %bb.286:                              ;   in Loop: Header=BB949_213 Depth=1
	v_cmp_ne_u16_sdwa s[16:17], v38, s9 src0_sel:BYTE_0 src1_sel:DWORD
	v_mov_b32_e32 v49, 0xffff8000
	s_and_saveexec_b64 s[14:15], s[16:17]
	s_cbranch_execz .LBB949_290
; %bb.287:                              ;   in Loop: Header=BB949_213 Depth=1
	v_and_b32_e32 v40, 0x7f, v38
	v_cmp_ne_u32_e32 vcc, s21, v40
	v_mov_b32_e32 v49, 0x7f80
	s_and_saveexec_b64 s[16:17], vcc
	s_cbranch_execz .LBB949_289
; %bb.288:                              ;   in Loop: Header=BB949_213 Depth=1
	v_and_b32_e32 v42, 7, v38
	v_ffbh_u32_e32 v49, v42
	v_min_u32_e32 v49, 32, v49
	v_subrev_u32_e32 v61, 28, v49
	v_lshlrev_b64 v[62:63], v61, v[38:39]
	v_lshrrev_b32_e32 v47, 3, v40
	v_sub_u32_e32 v49, 29, v49
	v_and_b32_e32 v61, 7, v62
	v_cmp_gt_u32_e32 vcc, 8, v40
	v_cndmask_b32_e32 v40, v47, v49, vcc
	v_cndmask_b32_e32 v42, v42, v61, vcc
	v_lshlrev_b32_e32 v47, 24, v38
	v_lshlrev_b32_e32 v42, 20, v42
	v_and_b32_e32 v47, 0x80000000, v47
	v_lshl_add_u32 v40, v40, 23, v45
	v_or3_b32 v40, v47, v40, v42
	v_lshrrev_b32_e32 v49, 16, v40
.LBB949_289:                            ;   in Loop: Header=BB949_213 Depth=1
	s_or_b64 exec, exec, s[16:17]
.LBB949_290:                            ;   in Loop: Header=BB949_213 Depth=1
	s_or_b64 exec, exec, s[14:15]
.LBB949_291:                            ;   in Loop: Header=BB949_213 Depth=1
	s_or_b64 exec, exec, s[12:13]
	v_lshrrev_b16_e32 v40, 8, v38
	v_cmp_ne_u16_e32 vcc, 0, v40
	v_mov_b32_e32 v62, 0
	v_mov_b32_e32 v61, 0
	s_and_saveexec_b64 s[12:13], vcc
	s_cbranch_execz .LBB949_297
; %bb.292:                              ;   in Loop: Header=BB949_213 Depth=1
	v_cmp_ne_u16_e32 vcc, s9, v40
	v_mov_b32_e32 v61, 0xffff8000
	s_and_saveexec_b64 s[14:15], vcc
	s_cbranch_execz .LBB949_296
; %bb.293:                              ;   in Loop: Header=BB949_213 Depth=1
	v_and_b32_e32 v42, 0x7f, v40
	v_cmp_ne_u32_e32 vcc, s21, v42
	v_mov_b32_e32 v61, 0x7f80
	s_and_saveexec_b64 s[16:17], vcc
	s_cbranch_execz .LBB949_295
; %bb.294:                              ;   in Loop: Header=BB949_213 Depth=1
	v_and_b32_e32 v47, 7, v40
	v_ffbh_u32_e32 v63, v47
	v_min_u32_e32 v63, 32, v63
	v_subrev_u32_e32 v64, 28, v63
	v_lshlrev_b64 v[64:65], v64, v[40:41]
	v_lshrrev_b32_e32 v61, 3, v42
	v_sub_u32_e32 v40, 29, v63
	v_and_b32_e32 v63, 7, v64
	v_cmp_gt_u32_e32 vcc, 8, v42
	v_cndmask_b32_e32 v40, v61, v40, vcc
	v_cndmask_b32_e32 v42, v47, v63, vcc
	v_lshlrev_b32_e32 v47, 16, v38
	v_lshlrev_b32_e32 v42, 20, v42
	v_and_b32_e32 v47, 0x80000000, v47
	v_lshl_add_u32 v40, v40, 23, v45
	v_or3_b32 v40, v47, v40, v42
	v_lshrrev_b32_e32 v61, 16, v40
.LBB949_295:                            ;   in Loop: Header=BB949_213 Depth=1
	s_or_b64 exec, exec, s[16:17]
.LBB949_296:                            ;   in Loop: Header=BB949_213 Depth=1
	s_or_b64 exec, exec, s[14:15]
.LBB949_297:                            ;   in Loop: Header=BB949_213 Depth=1
	s_or_b64 exec, exec, s[12:13]
	v_lshrrev_b32_e32 v40, 16, v38
	v_cmp_ne_u16_sdwa s[14:15], v40, v43 src0_sel:BYTE_0 src1_sel:DWORD
	s_and_saveexec_b64 s[12:13], s[14:15]
	s_cbranch_execz .LBB949_303
; %bb.298:                              ;   in Loop: Header=BB949_213 Depth=1
	v_cmp_ne_u16_sdwa s[16:17], v40, s9 src0_sel:BYTE_0 src1_sel:DWORD
	v_mov_b32_e32 v62, 0xffff8000
	s_and_saveexec_b64 s[14:15], s[16:17]
	s_cbranch_execz .LBB949_302
; %bb.299:                              ;   in Loop: Header=BB949_213 Depth=1
	v_bfe_u32 v42, v38, 16, 7
	v_cmp_ne_u32_e32 vcc, s21, v42
	v_mov_b32_e32 v62, 0x7f80
	s_and_saveexec_b64 s[16:17], vcc
	s_cbranch_execz .LBB949_301
; %bb.300:                              ;   in Loop: Header=BB949_213 Depth=1
	v_and_b32_e32 v47, 7, v40
	v_ffbh_u32_e32 v62, v47
	v_min_u32_e32 v65, 32, v62
	v_subrev_u32_e32 v62, 28, v65
	v_lshlrev_b64 v[62:63], v62, v[40:41]
	v_lshrrev_b32_e32 v64, 3, v42
	v_sub_u32_e32 v63, 29, v65
	v_and_b32_e32 v62, 7, v62
	v_cmp_gt_u32_e32 vcc, 8, v42
	v_cndmask_b32_e32 v42, v64, v63, vcc
	v_cndmask_b32_e32 v47, v47, v62, vcc
	v_lshlrev_b32_e32 v40, 24, v40
	v_lshlrev_b32_e32 v47, 20, v47
	v_and_b32_e32 v40, 0x80000000, v40
	v_lshl_add_u32 v42, v42, 23, v45
	v_or3_b32 v40, v40, v42, v47
	v_lshrrev_b32_e32 v62, 16, v40
.LBB949_301:                            ;   in Loop: Header=BB949_213 Depth=1
	s_or_b64 exec, exec, s[16:17]
.LBB949_302:                            ;   in Loop: Header=BB949_213 Depth=1
	s_or_b64 exec, exec, s[14:15]
.LBB949_303:                            ;   in Loop: Header=BB949_213 Depth=1
	s_or_b64 exec, exec, s[12:13]
	v_cmp_lt_u32_e32 vcc, s22, v38
	v_mov_b32_e32 v47, 0
	v_mov_b32_e32 v63, 0
	s_and_saveexec_b64 s[12:13], vcc
	s_cbranch_execz .LBB949_309
; %bb.304:                              ;   in Loop: Header=BB949_213 Depth=1
	v_lshrrev_b32_e32 v40, 24, v38
	v_cmp_ne_u32_e32 vcc, s9, v40
	v_mov_b32_e32 v63, 0xffff8000
	s_and_saveexec_b64 s[14:15], vcc
	s_cbranch_execz .LBB949_308
; %bb.305:                              ;   in Loop: Header=BB949_213 Depth=1
	v_bfe_u32 v38, v38, 24, 7
	v_cmp_ne_u32_e32 vcc, s21, v38
	v_mov_b32_e32 v63, 0x7f80
	s_and_saveexec_b64 s[16:17], vcc
	s_cbranch_execz .LBB949_307
; %bb.306:                              ;   in Loop: Header=BB949_213 Depth=1
	v_and_b32_e32 v42, 7, v40
	v_ffbh_u32_e32 v64, v42
	v_min_u32_e32 v66, 32, v64
	v_subrev_u32_e32 v64, 28, v66
	v_lshlrev_b64 v[64:65], v64, v[40:41]
	v_lshrrev_b32_e32 v63, 3, v38
	v_sub_u32_e32 v65, 29, v66
	v_and_b32_e32 v64, 7, v64
	v_cmp_gt_u32_e32 vcc, 8, v38
	v_cndmask_b32_e32 v38, v63, v65, vcc
	v_cndmask_b32_e32 v42, v42, v64, vcc
	v_lshlrev_b32_e32 v40, 24, v40
	v_lshlrev_b32_e32 v42, 20, v42
	v_and_b32_e32 v40, 0x80000000, v40
	v_lshl_add_u32 v38, v38, 23, v45
	v_or3_b32 v38, v40, v38, v42
	v_lshrrev_b32_e32 v63, 16, v38
.LBB949_307:                            ;   in Loop: Header=BB949_213 Depth=1
	s_or_b64 exec, exec, s[16:17]
.LBB949_308:                            ;   in Loop: Header=BB949_213 Depth=1
	s_or_b64 exec, exec, s[14:15]
.LBB949_309:                            ;   in Loop: Header=BB949_213 Depth=1
	s_or_b64 exec, exec, s[12:13]
	v_perm_b32 v64, v46, v44, s23
	buffer_load_dword v44, v59, s[0:3], 0 offen
	buffer_load_dword v42, v59, s[0:3], 0 offen offset:4
	buffer_load_dword v40, v59, s[0:3], 0 offen offset:8
	;; [unrolled: 1-line block ×3, first 2 shown]
	v_perm_b32 v65, v60, v48, s23
	v_perm_b32 v63, v63, v62, s23
	;; [unrolled: 1-line block ×3, first 2 shown]
	v_mfma_f32_16x16x16bf16_1k v[34:37], v[64:65], v[6:7], v[34:37]
	s_waitcnt vmcnt(3)
	v_cmp_ne_u16_sdwa s[14:15], v44, v43 src0_sel:BYTE_0 src1_sel:DWORD
	v_mfma_f32_16x16x16bf16_1k v[34:37], v[62:63], v[8:9], v[34:37]
	s_and_saveexec_b64 s[12:13], s[14:15]
	s_cbranch_execz .LBB949_315
; %bb.310:                              ;   in Loop: Header=BB949_213 Depth=1
	v_cmp_ne_u16_sdwa s[16:17], v44, s9 src0_sel:BYTE_0 src1_sel:DWORD
	v_mov_b32_e32 v47, 0xffff8000
	s_and_saveexec_b64 s[14:15], s[16:17]
	s_cbranch_execz .LBB949_314
; %bb.311:                              ;   in Loop: Header=BB949_213 Depth=1
	v_and_b32_e32 v46, 0x7f, v44
	v_cmp_ne_u32_e32 vcc, s21, v46
	v_mov_b32_e32 v47, 0x7f80
	s_and_saveexec_b64 s[16:17], vcc
	s_cbranch_execz .LBB949_313
; %bb.312:                              ;   in Loop: Header=BB949_213 Depth=1
	v_and_b32_e32 v47, 7, v44
	v_ffbh_u32_e32 v48, v47
	v_min_u32_e32 v60, 32, v48
	v_subrev_u32_e32 v48, 28, v60
	v_lshlrev_b64 v[48:49], v48, v[44:45]
	v_lshrrev_b32_e32 v59, 3, v46
	v_sub_u32_e32 v49, 29, v60
	v_and_b32_e32 v48, 7, v48
	v_cmp_gt_u32_e32 vcc, 8, v46
	v_cndmask_b32_e32 v46, v59, v49, vcc
	v_cndmask_b32_e32 v47, v47, v48, vcc
	v_lshlrev_b32_e32 v48, 24, v44
	v_lshlrev_b32_e32 v47, 20, v47
	v_and_b32_e32 v48, 0x80000000, v48
	v_lshl_add_u32 v46, v46, 23, v45
	v_or3_b32 v46, v48, v46, v47
	v_lshrrev_b32_e32 v47, 16, v46
.LBB949_313:                            ;   in Loop: Header=BB949_213 Depth=1
	s_or_b64 exec, exec, s[16:17]
.LBB949_314:                            ;   in Loop: Header=BB949_213 Depth=1
	s_or_b64 exec, exec, s[14:15]
.LBB949_315:                            ;   in Loop: Header=BB949_213 Depth=1
	s_or_b64 exec, exec, s[12:13]
	v_lshrrev_b16_e32 v46, 8, v44
	v_cmp_ne_u16_e32 vcc, 0, v46
	v_mov_b32_e32 v49, 0
	v_mov_b32_e32 v48, 0
	s_and_saveexec_b64 s[12:13], vcc
	s_cbranch_execz .LBB949_321
; %bb.316:                              ;   in Loop: Header=BB949_213 Depth=1
	v_cmp_ne_u16_e32 vcc, s9, v46
	v_mov_b32_e32 v48, 0xffff8000
	s_and_saveexec_b64 s[14:15], vcc
	s_cbranch_execz .LBB949_320
; %bb.317:                              ;   in Loop: Header=BB949_213 Depth=1
	v_and_b32_e32 v59, 0x7f, v46
	v_cmp_ne_u32_e32 vcc, s21, v59
	v_mov_b32_e32 v48, 0x7f80
	s_and_saveexec_b64 s[16:17], vcc
	s_cbranch_execz .LBB949_319
; %bb.318:                              ;   in Loop: Header=BB949_213 Depth=1
	v_and_b32_e32 v48, 7, v46
	v_ffbh_u32_e32 v60, v48
	v_min_u32_e32 v63, 32, v60
	v_subrev_u32_e32 v60, 28, v63
	v_lshlrev_b64 v[60:61], v60, v[46:47]
	v_lshrrev_b32_e32 v62, 3, v59
	v_sub_u32_e32 v46, 29, v63
	v_and_b32_e32 v60, 7, v60
	v_cmp_gt_u32_e32 vcc, 8, v59
	v_cndmask_b32_e32 v46, v62, v46, vcc
	v_cndmask_b32_e32 v48, v48, v60, vcc
	v_lshlrev_b32_e32 v59, 16, v44
	v_lshlrev_b32_e32 v48, 20, v48
	v_and_b32_e32 v59, 0x80000000, v59
	v_lshl_add_u32 v46, v46, 23, v45
	v_or3_b32 v46, v59, v46, v48
	v_lshrrev_b32_e32 v48, 16, v46
.LBB949_319:                            ;   in Loop: Header=BB949_213 Depth=1
	s_or_b64 exec, exec, s[16:17]
.LBB949_320:                            ;   in Loop: Header=BB949_213 Depth=1
	s_or_b64 exec, exec, s[14:15]
.LBB949_321:                            ;   in Loop: Header=BB949_213 Depth=1
	s_or_b64 exec, exec, s[12:13]
	v_lshrrev_b32_e32 v46, 16, v44
	v_cmp_ne_u16_sdwa s[14:15], v46, v43 src0_sel:BYTE_0 src1_sel:DWORD
	s_and_saveexec_b64 s[12:13], s[14:15]
	s_cbranch_execz .LBB949_327
; %bb.322:                              ;   in Loop: Header=BB949_213 Depth=1
	v_cmp_ne_u16_sdwa s[16:17], v46, s9 src0_sel:BYTE_0 src1_sel:DWORD
	v_mov_b32_e32 v49, 0xffff8000
	s_and_saveexec_b64 s[14:15], s[16:17]
	s_cbranch_execz .LBB949_326
; %bb.323:                              ;   in Loop: Header=BB949_213 Depth=1
	v_bfe_u32 v59, v44, 16, 7
	v_cmp_ne_u32_e32 vcc, s21, v59
	v_mov_b32_e32 v49, 0x7f80
	s_and_saveexec_b64 s[16:17], vcc
	s_cbranch_execz .LBB949_325
; %bb.324:                              ;   in Loop: Header=BB949_213 Depth=1
	v_and_b32_e32 v49, 7, v46
	v_ffbh_u32_e32 v60, v49
	v_min_u32_e32 v63, 32, v60
	v_subrev_u32_e32 v60, 28, v63
	v_lshlrev_b64 v[60:61], v60, v[46:47]
	v_lshrrev_b32_e32 v62, 3, v59
	v_sub_u32_e32 v61, 29, v63
	v_and_b32_e32 v60, 7, v60
	v_cmp_gt_u32_e32 vcc, 8, v59
	v_cndmask_b32_e32 v59, v62, v61, vcc
	v_cndmask_b32_e32 v49, v49, v60, vcc
	v_lshlrev_b32_e32 v46, 24, v46
	v_lshlrev_b32_e32 v49, 20, v49
	v_and_b32_e32 v46, 0x80000000, v46
	v_lshl_add_u32 v59, v59, 23, v45
	v_or3_b32 v46, v46, v59, v49
	v_lshrrev_b32_e32 v49, 16, v46
.LBB949_325:                            ;   in Loop: Header=BB949_213 Depth=1
	s_or_b64 exec, exec, s[16:17]
.LBB949_326:                            ;   in Loop: Header=BB949_213 Depth=1
	s_or_b64 exec, exec, s[14:15]
.LBB949_327:                            ;   in Loop: Header=BB949_213 Depth=1
	s_or_b64 exec, exec, s[12:13]
	v_cmp_lt_u32_e32 vcc, s22, v44
	v_mov_b32_e32 v59, 0
	v_mov_b32_e32 v60, 0
	s_and_saveexec_b64 s[12:13], vcc
	s_cbranch_execz .LBB949_333
; %bb.328:                              ;   in Loop: Header=BB949_213 Depth=1
	v_lshrrev_b32_e32 v46, 24, v44
	v_cmp_ne_u32_e32 vcc, s9, v46
	v_mov_b32_e32 v60, 0xffff8000
	s_and_saveexec_b64 s[14:15], vcc
	s_cbranch_execz .LBB949_332
; %bb.329:                              ;   in Loop: Header=BB949_213 Depth=1
	v_bfe_u32 v44, v44, 24, 7
	v_cmp_ne_u32_e32 vcc, s21, v44
	v_mov_b32_e32 v60, 0x7f80
	s_and_saveexec_b64 s[16:17], vcc
	s_cbranch_execz .LBB949_331
; %bb.330:                              ;   in Loop: Header=BB949_213 Depth=1
	v_and_b32_e32 v62, 7, v46
	v_ffbh_u32_e32 v60, v62
	v_min_u32_e32 v64, 32, v60
	v_subrev_u32_e32 v60, 28, v64
	v_lshlrev_b64 v[60:61], v60, v[46:47]
	v_lshrrev_b32_e32 v63, 3, v44
	v_sub_u32_e32 v61, 29, v64
	v_and_b32_e32 v60, 7, v60
	v_cmp_gt_u32_e32 vcc, 8, v44
	v_cndmask_b32_e32 v44, v63, v61, vcc
	v_cndmask_b32_e32 v60, v62, v60, vcc
	v_lshlrev_b32_e32 v46, 24, v46
	v_lshlrev_b32_e32 v60, 20, v60
	v_and_b32_e32 v46, 0x80000000, v46
	v_lshl_add_u32 v44, v44, 23, v45
	v_or3_b32 v44, v46, v44, v60
	v_lshrrev_b32_e32 v60, 16, v44
.LBB949_331:                            ;   in Loop: Header=BB949_213 Depth=1
	s_or_b64 exec, exec, s[16:17]
.LBB949_332:                            ;   in Loop: Header=BB949_213 Depth=1
	s_or_b64 exec, exec, s[14:15]
.LBB949_333:                            ;   in Loop: Header=BB949_213 Depth=1
	s_or_b64 exec, exec, s[12:13]
	s_waitcnt vmcnt(2)
	v_cmp_ne_u16_sdwa s[14:15], v42, v43 src0_sel:BYTE_0 src1_sel:DWORD
	s_and_saveexec_b64 s[12:13], s[14:15]
	s_cbranch_execz .LBB949_339
; %bb.334:                              ;   in Loop: Header=BB949_213 Depth=1
	v_cmp_ne_u16_sdwa s[16:17], v42, s9 src0_sel:BYTE_0 src1_sel:DWORD
	v_mov_b32_e32 v59, 0xffff8000
	s_and_saveexec_b64 s[14:15], s[16:17]
	s_cbranch_execz .LBB949_338
; %bb.335:                              ;   in Loop: Header=BB949_213 Depth=1
	v_and_b32_e32 v44, 0x7f, v42
	v_cmp_ne_u32_e32 vcc, s21, v44
	v_mov_b32_e32 v59, 0x7f80
	s_and_saveexec_b64 s[16:17], vcc
	s_cbranch_execz .LBB949_337
; %bb.336:                              ;   in Loop: Header=BB949_213 Depth=1
	v_and_b32_e32 v46, 7, v42
	v_ffbh_u32_e32 v61, v46
	v_min_u32_e32 v61, 32, v61
	v_subrev_u32_e32 v62, 28, v61
	v_lshlrev_b64 v[62:63], v62, v[42:43]
	v_lshrrev_b32_e32 v59, 3, v44
	v_sub_u32_e32 v61, 29, v61
	v_and_b32_e32 v62, 7, v62
	v_cmp_gt_u32_e32 vcc, 8, v44
	v_cndmask_b32_e32 v44, v59, v61, vcc
	v_cndmask_b32_e32 v46, v46, v62, vcc
	v_lshlrev_b32_e32 v59, 24, v42
	v_lshlrev_b32_e32 v46, 20, v46
	v_and_b32_e32 v59, 0x80000000, v59
	v_lshl_add_u32 v44, v44, 23, v45
	v_or3_b32 v44, v59, v44, v46
	v_lshrrev_b32_e32 v59, 16, v44
.LBB949_337:                            ;   in Loop: Header=BB949_213 Depth=1
	s_or_b64 exec, exec, s[16:17]
.LBB949_338:                            ;   in Loop: Header=BB949_213 Depth=1
	s_or_b64 exec, exec, s[14:15]
.LBB949_339:                            ;   in Loop: Header=BB949_213 Depth=1
	s_or_b64 exec, exec, s[12:13]
	v_lshrrev_b16_e32 v44, 8, v42
	v_cmp_ne_u16_e32 vcc, 0, v44
	v_mov_b32_e32 v62, 0
	v_mov_b32_e32 v61, 0
	s_and_saveexec_b64 s[12:13], vcc
	s_cbranch_execz .LBB949_345
; %bb.340:                              ;   in Loop: Header=BB949_213 Depth=1
	v_cmp_ne_u16_e32 vcc, s9, v44
	v_mov_b32_e32 v61, 0xffff8000
	s_and_saveexec_b64 s[14:15], vcc
	s_cbranch_execz .LBB949_344
; %bb.341:                              ;   in Loop: Header=BB949_213 Depth=1
	v_and_b32_e32 v46, 0x7f, v44
	v_cmp_ne_u32_e32 vcc, s21, v46
	v_mov_b32_e32 v61, 0x7f80
	s_and_saveexec_b64 s[16:17], vcc
	s_cbranch_execz .LBB949_343
; %bb.342:                              ;   in Loop: Header=BB949_213 Depth=1
	v_and_b32_e32 v61, 7, v44
	v_ffbh_u32_e32 v64, v61
	v_min_u32_e32 v66, 32, v64
	v_subrev_u32_e32 v64, 28, v66
	v_lshlrev_b64 v[64:65], v64, v[44:45]
	v_lshrrev_b32_e32 v63, 3, v46
	v_sub_u32_e32 v44, 29, v66
	v_and_b32_e32 v64, 7, v64
	v_cmp_gt_u32_e32 vcc, 8, v46
	v_cndmask_b32_e32 v44, v63, v44, vcc
	v_cndmask_b32_e32 v46, v61, v64, vcc
	v_lshlrev_b32_e32 v61, 16, v42
	v_lshlrev_b32_e32 v46, 20, v46
	v_and_b32_e32 v61, 0x80000000, v61
	v_lshl_add_u32 v44, v44, 23, v45
	v_or3_b32 v44, v61, v44, v46
	v_lshrrev_b32_e32 v61, 16, v44
.LBB949_343:                            ;   in Loop: Header=BB949_213 Depth=1
	s_or_b64 exec, exec, s[16:17]
.LBB949_344:                            ;   in Loop: Header=BB949_213 Depth=1
	s_or_b64 exec, exec, s[14:15]
.LBB949_345:                            ;   in Loop: Header=BB949_213 Depth=1
	s_or_b64 exec, exec, s[12:13]
	v_lshrrev_b32_e32 v44, 16, v42
	v_cmp_ne_u16_sdwa s[14:15], v44, v43 src0_sel:BYTE_0 src1_sel:DWORD
	s_and_saveexec_b64 s[12:13], s[14:15]
	s_cbranch_execz .LBB949_351
; %bb.346:                              ;   in Loop: Header=BB949_213 Depth=1
	v_cmp_ne_u16_sdwa s[16:17], v44, s9 src0_sel:BYTE_0 src1_sel:DWORD
	v_mov_b32_e32 v62, 0xffff8000
	s_and_saveexec_b64 s[14:15], s[16:17]
	s_cbranch_execz .LBB949_350
; %bb.347:                              ;   in Loop: Header=BB949_213 Depth=1
	v_bfe_u32 v46, v42, 16, 7
	v_cmp_ne_u32_e32 vcc, s21, v46
	v_mov_b32_e32 v62, 0x7f80
	s_and_saveexec_b64 s[16:17], vcc
	s_cbranch_execz .LBB949_349
; %bb.348:                              ;   in Loop: Header=BB949_213 Depth=1
	v_and_b32_e32 v64, 7, v44
	v_ffbh_u32_e32 v62, v64
	v_min_u32_e32 v66, 32, v62
	v_subrev_u32_e32 v62, 28, v66
	v_lshlrev_b64 v[62:63], v62, v[44:45]
	v_lshrrev_b32_e32 v65, 3, v46
	v_sub_u32_e32 v63, 29, v66
	v_and_b32_e32 v62, 7, v62
	v_cmp_gt_u32_e32 vcc, 8, v46
	v_cndmask_b32_e32 v46, v65, v63, vcc
	v_cndmask_b32_e32 v62, v64, v62, vcc
	v_lshlrev_b32_e32 v44, 24, v44
	v_lshlrev_b32_e32 v62, 20, v62
	v_and_b32_e32 v44, 0x80000000, v44
	v_lshl_add_u32 v46, v46, 23, v45
	v_or3_b32 v44, v44, v46, v62
	v_lshrrev_b32_e32 v62, 16, v44
.LBB949_349:                            ;   in Loop: Header=BB949_213 Depth=1
	s_or_b64 exec, exec, s[16:17]
.LBB949_350:                            ;   in Loop: Header=BB949_213 Depth=1
	s_or_b64 exec, exec, s[14:15]
.LBB949_351:                            ;   in Loop: Header=BB949_213 Depth=1
	s_or_b64 exec, exec, s[12:13]
	v_cmp_lt_u32_e32 vcc, s22, v42
	v_mov_b32_e32 v46, 0
	v_mov_b32_e32 v63, 0
	s_and_saveexec_b64 s[12:13], vcc
	s_cbranch_execz .LBB949_357
; %bb.352:                              ;   in Loop: Header=BB949_213 Depth=1
	v_lshrrev_b32_e32 v44, 24, v42
	v_cmp_ne_u32_e32 vcc, s9, v44
	v_mov_b32_e32 v63, 0xffff8000
	s_and_saveexec_b64 s[14:15], vcc
	s_cbranch_execz .LBB949_356
; %bb.353:                              ;   in Loop: Header=BB949_213 Depth=1
	v_bfe_u32 v42, v42, 24, 7
	v_cmp_ne_u32_e32 vcc, s21, v42
	v_mov_b32_e32 v63, 0x7f80
	s_and_saveexec_b64 s[16:17], vcc
	s_cbranch_execz .LBB949_355
; %bb.354:                              ;   in Loop: Header=BB949_213 Depth=1
	v_and_b32_e32 v63, 7, v44
	v_ffbh_u32_e32 v64, v63
	v_min_u32_e32 v67, 32, v64
	v_subrev_u32_e32 v64, 28, v67
	v_lshlrev_b64 v[64:65], v64, v[44:45]
	v_lshrrev_b32_e32 v66, 3, v42
	v_sub_u32_e32 v65, 29, v67
	v_and_b32_e32 v64, 7, v64
	v_cmp_gt_u32_e32 vcc, 8, v42
	v_cndmask_b32_e32 v42, v66, v65, vcc
	v_cndmask_b32_e32 v63, v63, v64, vcc
	v_lshlrev_b32_e32 v44, 24, v44
	v_lshlrev_b32_e32 v63, 20, v63
	v_and_b32_e32 v44, 0x80000000, v44
	v_lshl_add_u32 v42, v42, 23, v45
	v_or3_b32 v42, v44, v42, v63
	v_lshrrev_b32_e32 v63, 16, v42
.LBB949_355:                            ;   in Loop: Header=BB949_213 Depth=1
	s_or_b64 exec, exec, s[16:17]
.LBB949_356:                            ;   in Loop: Header=BB949_213 Depth=1
	s_or_b64 exec, exec, s[14:15]
.LBB949_357:                            ;   in Loop: Header=BB949_213 Depth=1
	s_or_b64 exec, exec, s[12:13]
	v_perm_b32 v49, v60, v49, s23
	v_perm_b32 v48, v48, v47, s23
	s_waitcnt vmcnt(1)
	v_cmp_ne_u16_sdwa s[14:15], v40, v43 src0_sel:BYTE_0 src1_sel:DWORD
	v_mfma_f32_16x16x16bf16_1k v[34:37], v[48:49], v[10:11], v[34:37]
	v_perm_b32 v49, v63, v62, s23
	v_perm_b32 v48, v61, v59, s23
	s_nop 1
	v_mfma_f32_16x16x16bf16_1k v[34:37], v[48:49], v[12:13], v[34:37]
	s_and_saveexec_b64 s[12:13], s[14:15]
	s_cbranch_execz .LBB949_363
; %bb.358:                              ;   in Loop: Header=BB949_213 Depth=1
	v_cmp_ne_u16_sdwa s[16:17], v40, s9 src0_sel:BYTE_0 src1_sel:DWORD
	v_mov_b32_e32 v46, 0xffff8000
	s_and_saveexec_b64 s[14:15], s[16:17]
	s_cbranch_execz .LBB949_362
; %bb.359:                              ;   in Loop: Header=BB949_213 Depth=1
	v_and_b32_e32 v42, 0x7f, v40
	v_cmp_ne_u32_e32 vcc, s21, v42
	v_mov_b32_e32 v46, 0x7f80
	s_and_saveexec_b64 s[16:17], vcc
	s_cbranch_execz .LBB949_361
; %bb.360:                              ;   in Loop: Header=BB949_213 Depth=1
	v_and_b32_e32 v44, 7, v40
	v_ffbh_u32_e32 v46, v44
	v_min_u32_e32 v49, 32, v46
	v_subrev_u32_e32 v46, 28, v49
	v_lshlrev_b64 v[46:47], v46, v[40:41]
	v_lshrrev_b32_e32 v48, 3, v42
	v_sub_u32_e32 v47, 29, v49
	v_and_b32_e32 v46, 7, v46
	v_cmp_gt_u32_e32 vcc, 8, v42
	v_cndmask_b32_e32 v42, v48, v47, vcc
	v_cndmask_b32_e32 v44, v44, v46, vcc
	v_lshlrev_b32_e32 v46, 24, v40
	v_lshlrev_b32_e32 v44, 20, v44
	v_and_b32_e32 v46, 0x80000000, v46
	v_lshl_add_u32 v42, v42, 23, v45
	v_or3_b32 v42, v46, v42, v44
	v_lshrrev_b32_e32 v46, 16, v42
.LBB949_361:                            ;   in Loop: Header=BB949_213 Depth=1
	s_or_b64 exec, exec, s[16:17]
.LBB949_362:                            ;   in Loop: Header=BB949_213 Depth=1
	s_or_b64 exec, exec, s[14:15]
.LBB949_363:                            ;   in Loop: Header=BB949_213 Depth=1
	s_or_b64 exec, exec, s[12:13]
	v_lshrrev_b16_e32 v42, 8, v40
	v_cmp_ne_u16_e32 vcc, 0, v42
	v_mov_b32_e32 v48, 0
	v_mov_b32_e32 v44, 0
	s_and_saveexec_b64 s[12:13], vcc
	s_cbranch_execz .LBB949_369
; %bb.364:                              ;   in Loop: Header=BB949_213 Depth=1
	v_cmp_ne_u16_e32 vcc, s9, v42
	v_mov_b32_e32 v44, 0xffff8000
	s_and_saveexec_b64 s[14:15], vcc
	s_cbranch_execz .LBB949_368
; %bb.365:                              ;   in Loop: Header=BB949_213 Depth=1
	v_and_b32_e32 v47, 0x7f, v42
	v_cmp_ne_u32_e32 vcc, s21, v47
	v_mov_b32_e32 v44, 0x7f80
	s_and_saveexec_b64 s[16:17], vcc
	s_cbranch_execz .LBB949_367
; %bb.366:                              ;   in Loop: Header=BB949_213 Depth=1
	v_and_b32_e32 v44, 7, v42
	v_ffbh_u32_e32 v59, v44
	v_min_u32_e32 v59, 32, v59
	v_subrev_u32_e32 v60, 28, v59
	v_lshlrev_b64 v[60:61], v60, v[42:43]
	v_lshrrev_b32_e32 v49, 3, v47
	v_sub_u32_e32 v42, 29, v59
	v_and_b32_e32 v59, 7, v60
	v_cmp_gt_u32_e32 vcc, 8, v47
	v_cndmask_b32_e32 v42, v49, v42, vcc
	v_cndmask_b32_e32 v44, v44, v59, vcc
	v_lshlrev_b32_e32 v47, 16, v40
	v_lshlrev_b32_e32 v44, 20, v44
	v_and_b32_e32 v47, 0x80000000, v47
	v_lshl_add_u32 v42, v42, 23, v45
	v_or3_b32 v42, v47, v42, v44
	v_lshrrev_b32_e32 v44, 16, v42
.LBB949_367:                            ;   in Loop: Header=BB949_213 Depth=1
	s_or_b64 exec, exec, s[16:17]
.LBB949_368:                            ;   in Loop: Header=BB949_213 Depth=1
	s_or_b64 exec, exec, s[14:15]
.LBB949_369:                            ;   in Loop: Header=BB949_213 Depth=1
	s_or_b64 exec, exec, s[12:13]
	v_lshrrev_b32_e32 v42, 16, v40
	v_cmp_ne_u16_sdwa s[14:15], v42, v43 src0_sel:BYTE_0 src1_sel:DWORD
	s_and_saveexec_b64 s[12:13], s[14:15]
	s_cbranch_execz .LBB949_375
; %bb.370:                              ;   in Loop: Header=BB949_213 Depth=1
	v_cmp_ne_u16_sdwa s[16:17], v42, s9 src0_sel:BYTE_0 src1_sel:DWORD
	v_mov_b32_e32 v48, 0xffff8000
	s_and_saveexec_b64 s[14:15], s[16:17]
	s_cbranch_execz .LBB949_374
; %bb.371:                              ;   in Loop: Header=BB949_213 Depth=1
	v_bfe_u32 v47, v40, 16, 7
	v_cmp_ne_u32_e32 vcc, s21, v47
	v_mov_b32_e32 v48, 0x7f80
	s_and_saveexec_b64 s[16:17], vcc
	s_cbranch_execz .LBB949_373
; %bb.372:                              ;   in Loop: Header=BB949_213 Depth=1
	v_and_b32_e32 v59, 7, v42
	v_ffbh_u32_e32 v48, v59
	v_min_u32_e32 v61, 32, v48
	v_subrev_u32_e32 v48, 28, v61
	v_lshlrev_b64 v[48:49], v48, v[42:43]
	v_lshrrev_b32_e32 v60, 3, v47
	v_sub_u32_e32 v49, 29, v61
	v_and_b32_e32 v48, 7, v48
	v_cmp_gt_u32_e32 vcc, 8, v47
	v_cndmask_b32_e32 v47, v60, v49, vcc
	v_cndmask_b32_e32 v48, v59, v48, vcc
	v_lshlrev_b32_e32 v42, 24, v42
	v_lshlrev_b32_e32 v48, 20, v48
	v_and_b32_e32 v42, 0x80000000, v42
	v_lshl_add_u32 v47, v47, 23, v45
	v_or3_b32 v42, v42, v47, v48
	v_lshrrev_b32_e32 v48, 16, v42
.LBB949_373:                            ;   in Loop: Header=BB949_213 Depth=1
	s_or_b64 exec, exec, s[16:17]
.LBB949_374:                            ;   in Loop: Header=BB949_213 Depth=1
	s_or_b64 exec, exec, s[14:15]
.LBB949_375:                            ;   in Loop: Header=BB949_213 Depth=1
	s_or_b64 exec, exec, s[12:13]
	v_cmp_lt_u32_e32 vcc, s22, v40
	v_mov_b32_e32 v49, 0
	v_mov_b32_e32 v59, 0
	s_and_saveexec_b64 s[12:13], vcc
	s_cbranch_execz .LBB949_381
; %bb.376:                              ;   in Loop: Header=BB949_213 Depth=1
	v_lshrrev_b32_e32 v42, 24, v40
	v_cmp_ne_u32_e32 vcc, s9, v42
	v_mov_b32_e32 v59, 0xffff8000
	s_and_saveexec_b64 s[14:15], vcc
	s_cbranch_execz .LBB949_380
; %bb.377:                              ;   in Loop: Header=BB949_213 Depth=1
	v_bfe_u32 v40, v40, 24, 7
	v_cmp_ne_u32_e32 vcc, s21, v40
	v_mov_b32_e32 v59, 0x7f80
	s_and_saveexec_b64 s[16:17], vcc
	s_cbranch_execz .LBB949_379
; %bb.378:                              ;   in Loop: Header=BB949_213 Depth=1
	v_and_b32_e32 v47, 7, v42
	v_ffbh_u32_e32 v60, v47
	v_min_u32_e32 v62, 32, v60
	v_subrev_u32_e32 v60, 28, v62
	v_lshlrev_b64 v[60:61], v60, v[42:43]
	v_lshrrev_b32_e32 v59, 3, v40
	v_sub_u32_e32 v61, 29, v62
	v_and_b32_e32 v60, 7, v60
	v_cmp_gt_u32_e32 vcc, 8, v40
	v_cndmask_b32_e32 v40, v59, v61, vcc
	v_cndmask_b32_e32 v47, v47, v60, vcc
	v_lshlrev_b32_e32 v42, 24, v42
	v_lshlrev_b32_e32 v47, 20, v47
	v_and_b32_e32 v42, 0x80000000, v42
	v_lshl_add_u32 v40, v40, 23, v45
	v_or3_b32 v40, v42, v40, v47
	v_lshrrev_b32_e32 v59, 16, v40
.LBB949_379:                            ;   in Loop: Header=BB949_213 Depth=1
	s_or_b64 exec, exec, s[16:17]
.LBB949_380:                            ;   in Loop: Header=BB949_213 Depth=1
	s_or_b64 exec, exec, s[14:15]
.LBB949_381:                            ;   in Loop: Header=BB949_213 Depth=1
	s_or_b64 exec, exec, s[12:13]
	s_waitcnt vmcnt(0)
	v_cmp_ne_u16_sdwa s[14:15], v38, v43 src0_sel:BYTE_0 src1_sel:DWORD
	s_and_saveexec_b64 s[12:13], s[14:15]
	s_cbranch_execz .LBB949_387
; %bb.382:                              ;   in Loop: Header=BB949_213 Depth=1
	v_cmp_ne_u16_sdwa s[16:17], v38, s9 src0_sel:BYTE_0 src1_sel:DWORD
	v_mov_b32_e32 v49, 0xffff8000
	s_and_saveexec_b64 s[14:15], s[16:17]
	s_cbranch_execz .LBB949_386
; %bb.383:                              ;   in Loop: Header=BB949_213 Depth=1
	v_and_b32_e32 v40, 0x7f, v38
	v_cmp_ne_u32_e32 vcc, s21, v40
	v_mov_b32_e32 v49, 0x7f80
	s_and_saveexec_b64 s[16:17], vcc
	s_cbranch_execz .LBB949_385
; %bb.384:                              ;   in Loop: Header=BB949_213 Depth=1
	v_and_b32_e32 v42, 7, v38
	v_ffbh_u32_e32 v49, v42
	v_min_u32_e32 v49, 32, v49
	v_subrev_u32_e32 v60, 28, v49
	v_lshlrev_b64 v[60:61], v60, v[38:39]
	v_lshrrev_b32_e32 v47, 3, v40
	v_sub_u32_e32 v49, 29, v49
	v_and_b32_e32 v60, 7, v60
	v_cmp_gt_u32_e32 vcc, 8, v40
	v_cndmask_b32_e32 v40, v47, v49, vcc
	v_cndmask_b32_e32 v42, v42, v60, vcc
	v_lshlrev_b32_e32 v47, 24, v38
	v_lshlrev_b32_e32 v42, 20, v42
	v_and_b32_e32 v47, 0x80000000, v47
	v_lshl_add_u32 v40, v40, 23, v45
	v_or3_b32 v40, v47, v40, v42
	v_lshrrev_b32_e32 v49, 16, v40
.LBB949_385:                            ;   in Loop: Header=BB949_213 Depth=1
	s_or_b64 exec, exec, s[16:17]
.LBB949_386:                            ;   in Loop: Header=BB949_213 Depth=1
	s_or_b64 exec, exec, s[14:15]
.LBB949_387:                            ;   in Loop: Header=BB949_213 Depth=1
	s_or_b64 exec, exec, s[12:13]
	v_lshrrev_b16_e32 v40, 8, v38
	v_cmp_ne_u16_e32 vcc, 0, v40
	v_mov_b32_e32 v61, 0
	v_mov_b32_e32 v60, 0
	s_and_saveexec_b64 s[12:13], vcc
	s_cbranch_execz .LBB949_393
; %bb.388:                              ;   in Loop: Header=BB949_213 Depth=1
	v_cmp_ne_u16_e32 vcc, s9, v40
	v_mov_b32_e32 v60, 0xffff8000
	s_and_saveexec_b64 s[14:15], vcc
	s_cbranch_execz .LBB949_392
; %bb.389:                              ;   in Loop: Header=BB949_213 Depth=1
	v_and_b32_e32 v42, 0x7f, v40
	v_cmp_ne_u32_e32 vcc, s21, v42
	v_mov_b32_e32 v60, 0x7f80
	s_and_saveexec_b64 s[16:17], vcc
	s_cbranch_execz .LBB949_391
; %bb.390:                              ;   in Loop: Header=BB949_213 Depth=1
	v_and_b32_e32 v47, 7, v40
	v_ffbh_u32_e32 v62, v47
	v_min_u32_e32 v64, 32, v62
	v_subrev_u32_e32 v62, 28, v64
	v_lshlrev_b64 v[62:63], v62, v[40:41]
	v_lshrrev_b32_e32 v60, 3, v42
	v_sub_u32_e32 v40, 29, v64
	v_and_b32_e32 v62, 7, v62
	v_cmp_gt_u32_e32 vcc, 8, v42
	v_cndmask_b32_e32 v40, v60, v40, vcc
	v_cndmask_b32_e32 v42, v47, v62, vcc
	v_lshlrev_b32_e32 v47, 16, v38
	v_lshlrev_b32_e32 v42, 20, v42
	v_and_b32_e32 v47, 0x80000000, v47
	v_lshl_add_u32 v40, v40, 23, v45
	v_or3_b32 v40, v47, v40, v42
	v_lshrrev_b32_e32 v60, 16, v40
.LBB949_391:                            ;   in Loop: Header=BB949_213 Depth=1
	s_or_b64 exec, exec, s[16:17]
.LBB949_392:                            ;   in Loop: Header=BB949_213 Depth=1
	s_or_b64 exec, exec, s[14:15]
.LBB949_393:                            ;   in Loop: Header=BB949_213 Depth=1
	s_or_b64 exec, exec, s[12:13]
	v_lshrrev_b32_e32 v40, 16, v38
	v_cmp_ne_u16_sdwa s[14:15], v40, v43 src0_sel:BYTE_0 src1_sel:DWORD
	s_and_saveexec_b64 s[12:13], s[14:15]
	s_cbranch_execz .LBB949_399
; %bb.394:                              ;   in Loop: Header=BB949_213 Depth=1
	v_cmp_ne_u16_sdwa s[16:17], v40, s9 src0_sel:BYTE_0 src1_sel:DWORD
	v_mov_b32_e32 v61, 0xffff8000
	s_and_saveexec_b64 s[14:15], s[16:17]
	s_cbranch_execz .LBB949_398
; %bb.395:                              ;   in Loop: Header=BB949_213 Depth=1
	v_bfe_u32 v42, v38, 16, 7
	v_cmp_ne_u32_e32 vcc, s21, v42
	v_mov_b32_e32 v61, 0x7f80
	s_and_saveexec_b64 s[16:17], vcc
	s_cbranch_execz .LBB949_397
; %bb.396:                              ;   in Loop: Header=BB949_213 Depth=1
	v_and_b32_e32 v47, 7, v40
	v_ffbh_u32_e32 v62, v47
	v_min_u32_e32 v64, 32, v62
	v_subrev_u32_e32 v62, 28, v64
	v_lshlrev_b64 v[62:63], v62, v[40:41]
	v_lshrrev_b32_e32 v61, 3, v42
	v_sub_u32_e32 v63, 29, v64
	v_and_b32_e32 v62, 7, v62
	v_cmp_gt_u32_e32 vcc, 8, v42
	v_cndmask_b32_e32 v42, v61, v63, vcc
	v_cndmask_b32_e32 v47, v47, v62, vcc
	v_lshlrev_b32_e32 v40, 24, v40
	v_lshlrev_b32_e32 v47, 20, v47
	v_and_b32_e32 v40, 0x80000000, v40
	v_lshl_add_u32 v42, v42, 23, v45
	v_or3_b32 v40, v40, v42, v47
	v_lshrrev_b32_e32 v61, 16, v40
.LBB949_397:                            ;   in Loop: Header=BB949_213 Depth=1
	s_or_b64 exec, exec, s[16:17]
.LBB949_398:                            ;   in Loop: Header=BB949_213 Depth=1
	s_or_b64 exec, exec, s[14:15]
.LBB949_399:                            ;   in Loop: Header=BB949_213 Depth=1
	s_or_b64 exec, exec, s[12:13]
	v_cmp_lt_u32_e32 vcc, s22, v38
	v_mov_b32_e32 v47, 0
	v_mov_b32_e32 v62, 0
	s_and_saveexec_b64 s[12:13], vcc
	s_cbranch_execz .LBB949_405
; %bb.400:                              ;   in Loop: Header=BB949_213 Depth=1
	v_lshrrev_b32_e32 v40, 24, v38
	v_cmp_ne_u32_e32 vcc, s9, v40
	v_mov_b32_e32 v62, 0xffff8000
	s_and_saveexec_b64 s[14:15], vcc
	s_cbranch_execz .LBB949_404
; %bb.401:                              ;   in Loop: Header=BB949_213 Depth=1
	v_bfe_u32 v38, v38, 24, 7
	v_cmp_ne_u32_e32 vcc, s21, v38
	v_mov_b32_e32 v62, 0x7f80
	s_and_saveexec_b64 s[16:17], vcc
	s_cbranch_execz .LBB949_403
; %bb.402:                              ;   in Loop: Header=BB949_213 Depth=1
	v_and_b32_e32 v42, 7, v40
	v_ffbh_u32_e32 v62, v42
	v_min_u32_e32 v65, 32, v62
	v_subrev_u32_e32 v62, 28, v65
	v_lshlrev_b64 v[62:63], v62, v[40:41]
	v_lshrrev_b32_e32 v64, 3, v38
	v_sub_u32_e32 v63, 29, v65
	v_and_b32_e32 v62, 7, v62
	v_cmp_gt_u32_e32 vcc, 8, v38
	v_cndmask_b32_e32 v38, v64, v63, vcc
	v_cndmask_b32_e32 v42, v42, v62, vcc
	v_lshlrev_b32_e32 v40, 24, v40
	v_lshlrev_b32_e32 v42, 20, v42
	v_and_b32_e32 v40, 0x80000000, v40
	v_lshl_add_u32 v38, v38, 23, v45
	v_or3_b32 v38, v40, v38, v42
	v_lshrrev_b32_e32 v62, 16, v38
.LBB949_403:                            ;   in Loop: Header=BB949_213 Depth=1
	s_or_b64 exec, exec, s[16:17]
.LBB949_404:                            ;   in Loop: Header=BB949_213 Depth=1
	s_or_b64 exec, exec, s[14:15]
.LBB949_405:                            ;   in Loop: Header=BB949_213 Depth=1
	s_or_b64 exec, exec, s[12:13]
	v_perm_b32 v64, v44, v46, s23
	buffer_load_dword v44, v58, s[0:3], 0 offen
	buffer_load_dword v42, v58, s[0:3], 0 offen offset:4
	buffer_load_dword v40, v58, s[0:3], 0 offen offset:8
	;; [unrolled: 1-line block ×3, first 2 shown]
	v_perm_b32 v65, v59, v48, s23
	v_perm_b32 v59, v62, v61, s23
	;; [unrolled: 1-line block ×3, first 2 shown]
	v_mfma_f32_16x16x16bf16_1k v[34:37], v[64:65], v[14:15], v[34:37]
	s_waitcnt vmcnt(3)
	v_cmp_ne_u16_sdwa s[14:15], v44, v43 src0_sel:BYTE_0 src1_sel:DWORD
	v_mfma_f32_16x16x16bf16_1k v[34:37], v[58:59], v[16:17], v[34:37]
	s_and_saveexec_b64 s[12:13], s[14:15]
	s_cbranch_execz .LBB949_411
; %bb.406:                              ;   in Loop: Header=BB949_213 Depth=1
	v_cmp_ne_u16_sdwa s[16:17], v44, s9 src0_sel:BYTE_0 src1_sel:DWORD
	v_mov_b32_e32 v47, 0xffff8000
	s_and_saveexec_b64 s[14:15], s[16:17]
	s_cbranch_execz .LBB949_410
; %bb.407:                              ;   in Loop: Header=BB949_213 Depth=1
	v_and_b32_e32 v46, 0x7f, v44
	v_cmp_ne_u32_e32 vcc, s21, v46
	v_mov_b32_e32 v47, 0x7f80
	s_and_saveexec_b64 s[16:17], vcc
	s_cbranch_execz .LBB949_409
; %bb.408:                              ;   in Loop: Header=BB949_213 Depth=1
	v_and_b32_e32 v47, 7, v44
	v_ffbh_u32_e32 v48, v47
	v_min_u32_e32 v59, 32, v48
	v_subrev_u32_e32 v48, 28, v59
	v_lshlrev_b64 v[48:49], v48, v[44:45]
	v_lshrrev_b32_e32 v58, 3, v46
	v_sub_u32_e32 v49, 29, v59
	v_and_b32_e32 v48, 7, v48
	v_cmp_gt_u32_e32 vcc, 8, v46
	v_cndmask_b32_e32 v46, v58, v49, vcc
	v_cndmask_b32_e32 v47, v47, v48, vcc
	v_lshlrev_b32_e32 v48, 24, v44
	v_lshlrev_b32_e32 v47, 20, v47
	v_and_b32_e32 v48, 0x80000000, v48
	v_lshl_add_u32 v46, v46, 23, v45
	v_or3_b32 v46, v48, v46, v47
	v_lshrrev_b32_e32 v47, 16, v46
.LBB949_409:                            ;   in Loop: Header=BB949_213 Depth=1
	s_or_b64 exec, exec, s[16:17]
.LBB949_410:                            ;   in Loop: Header=BB949_213 Depth=1
	s_or_b64 exec, exec, s[14:15]
.LBB949_411:                            ;   in Loop: Header=BB949_213 Depth=1
	s_or_b64 exec, exec, s[12:13]
	v_lshrrev_b16_e32 v46, 8, v44
	v_cmp_ne_u16_e32 vcc, 0, v46
	v_mov_b32_e32 v49, 0
	v_mov_b32_e32 v48, 0
	s_and_saveexec_b64 s[12:13], vcc
	s_cbranch_execz .LBB949_417
; %bb.412:                              ;   in Loop: Header=BB949_213 Depth=1
	v_cmp_ne_u16_e32 vcc, s9, v46
	v_mov_b32_e32 v48, 0xffff8000
	s_and_saveexec_b64 s[14:15], vcc
	s_cbranch_execz .LBB949_416
; %bb.413:                              ;   in Loop: Header=BB949_213 Depth=1
	v_and_b32_e32 v58, 0x7f, v46
	v_cmp_ne_u32_e32 vcc, s21, v58
	v_mov_b32_e32 v48, 0x7f80
	s_and_saveexec_b64 s[16:17], vcc
	s_cbranch_execz .LBB949_415
; %bb.414:                              ;   in Loop: Header=BB949_213 Depth=1
	v_and_b32_e32 v48, 7, v46
	v_ffbh_u32_e32 v60, v48
	v_min_u32_e32 v62, 32, v60
	v_subrev_u32_e32 v60, 28, v62
	v_lshlrev_b64 v[60:61], v60, v[46:47]
	v_lshrrev_b32_e32 v59, 3, v58
	v_sub_u32_e32 v46, 29, v62
	v_and_b32_e32 v60, 7, v60
	v_cmp_gt_u32_e32 vcc, 8, v58
	v_cndmask_b32_e32 v46, v59, v46, vcc
	v_cndmask_b32_e32 v48, v48, v60, vcc
	v_lshlrev_b32_e32 v58, 16, v44
	v_lshlrev_b32_e32 v48, 20, v48
	v_and_b32_e32 v58, 0x80000000, v58
	v_lshl_add_u32 v46, v46, 23, v45
	v_or3_b32 v46, v58, v46, v48
	v_lshrrev_b32_e32 v48, 16, v46
.LBB949_415:                            ;   in Loop: Header=BB949_213 Depth=1
	s_or_b64 exec, exec, s[16:17]
.LBB949_416:                            ;   in Loop: Header=BB949_213 Depth=1
	s_or_b64 exec, exec, s[14:15]
.LBB949_417:                            ;   in Loop: Header=BB949_213 Depth=1
	s_or_b64 exec, exec, s[12:13]
	v_lshrrev_b32_e32 v46, 16, v44
	v_cmp_ne_u16_sdwa s[14:15], v46, v43 src0_sel:BYTE_0 src1_sel:DWORD
	s_and_saveexec_b64 s[12:13], s[14:15]
	s_cbranch_execz .LBB949_423
; %bb.418:                              ;   in Loop: Header=BB949_213 Depth=1
	v_cmp_ne_u16_sdwa s[16:17], v46, s9 src0_sel:BYTE_0 src1_sel:DWORD
	v_mov_b32_e32 v49, 0xffff8000
	s_and_saveexec_b64 s[14:15], s[16:17]
	s_cbranch_execz .LBB949_422
; %bb.419:                              ;   in Loop: Header=BB949_213 Depth=1
	v_bfe_u32 v58, v44, 16, 7
	v_cmp_ne_u32_e32 vcc, s21, v58
	v_mov_b32_e32 v49, 0x7f80
	s_and_saveexec_b64 s[16:17], vcc
	s_cbranch_execz .LBB949_421
; %bb.420:                              ;   in Loop: Header=BB949_213 Depth=1
	v_and_b32_e32 v49, 7, v46
	v_ffbh_u32_e32 v60, v49
	v_min_u32_e32 v62, 32, v60
	v_subrev_u32_e32 v60, 28, v62
	v_lshlrev_b64 v[60:61], v60, v[46:47]
	v_lshrrev_b32_e32 v59, 3, v58
	v_sub_u32_e32 v61, 29, v62
	v_and_b32_e32 v60, 7, v60
	v_cmp_gt_u32_e32 vcc, 8, v58
	v_cndmask_b32_e32 v58, v59, v61, vcc
	v_cndmask_b32_e32 v49, v49, v60, vcc
	v_lshlrev_b32_e32 v46, 24, v46
	v_lshlrev_b32_e32 v49, 20, v49
	v_and_b32_e32 v46, 0x80000000, v46
	v_lshl_add_u32 v58, v58, 23, v45
	v_or3_b32 v46, v46, v58, v49
	v_lshrrev_b32_e32 v49, 16, v46
.LBB949_421:                            ;   in Loop: Header=BB949_213 Depth=1
	s_or_b64 exec, exec, s[16:17]
.LBB949_422:                            ;   in Loop: Header=BB949_213 Depth=1
	s_or_b64 exec, exec, s[14:15]
.LBB949_423:                            ;   in Loop: Header=BB949_213 Depth=1
	s_or_b64 exec, exec, s[12:13]
	v_cmp_lt_u32_e32 vcc, s22, v44
	v_mov_b32_e32 v58, 0
	v_mov_b32_e32 v59, 0
	s_and_saveexec_b64 s[12:13], vcc
	s_cbranch_execz .LBB949_429
; %bb.424:                              ;   in Loop: Header=BB949_213 Depth=1
	v_lshrrev_b32_e32 v46, 24, v44
	v_cmp_ne_u32_e32 vcc, s9, v46
	v_mov_b32_e32 v59, 0xffff8000
	s_and_saveexec_b64 s[14:15], vcc
	s_cbranch_execz .LBB949_428
; %bb.425:                              ;   in Loop: Header=BB949_213 Depth=1
	v_bfe_u32 v44, v44, 24, 7
	v_cmp_ne_u32_e32 vcc, s21, v44
	v_mov_b32_e32 v59, 0x7f80
	s_and_saveexec_b64 s[16:17], vcc
	s_cbranch_execz .LBB949_427
; %bb.426:                              ;   in Loop: Header=BB949_213 Depth=1
	v_and_b32_e32 v59, 7, v46
	v_ffbh_u32_e32 v60, v59
	v_min_u32_e32 v63, 32, v60
	v_subrev_u32_e32 v60, 28, v63
	v_lshlrev_b64 v[60:61], v60, v[46:47]
	v_lshrrev_b32_e32 v62, 3, v44
	v_sub_u32_e32 v61, 29, v63
	v_and_b32_e32 v60, 7, v60
	v_cmp_gt_u32_e32 vcc, 8, v44
	v_cndmask_b32_e32 v44, v62, v61, vcc
	v_cndmask_b32_e32 v59, v59, v60, vcc
	v_lshlrev_b32_e32 v46, 24, v46
	v_lshlrev_b32_e32 v59, 20, v59
	v_and_b32_e32 v46, 0x80000000, v46
	v_lshl_add_u32 v44, v44, 23, v45
	v_or3_b32 v44, v46, v44, v59
	v_lshrrev_b32_e32 v59, 16, v44
.LBB949_427:                            ;   in Loop: Header=BB949_213 Depth=1
	s_or_b64 exec, exec, s[16:17]
.LBB949_428:                            ;   in Loop: Header=BB949_213 Depth=1
	s_or_b64 exec, exec, s[14:15]
.LBB949_429:                            ;   in Loop: Header=BB949_213 Depth=1
	s_or_b64 exec, exec, s[12:13]
	s_waitcnt vmcnt(2)
	v_cmp_ne_u16_sdwa s[14:15], v42, v43 src0_sel:BYTE_0 src1_sel:DWORD
	s_and_saveexec_b64 s[12:13], s[14:15]
	s_cbranch_execz .LBB949_435
; %bb.430:                              ;   in Loop: Header=BB949_213 Depth=1
	v_cmp_ne_u16_sdwa s[16:17], v42, s9 src0_sel:BYTE_0 src1_sel:DWORD
	v_mov_b32_e32 v58, 0xffff8000
	s_and_saveexec_b64 s[14:15], s[16:17]
	s_cbranch_execz .LBB949_434
; %bb.431:                              ;   in Loop: Header=BB949_213 Depth=1
	v_and_b32_e32 v44, 0x7f, v42
	v_cmp_ne_u32_e32 vcc, s21, v44
	v_mov_b32_e32 v58, 0x7f80
	s_and_saveexec_b64 s[16:17], vcc
	s_cbranch_execz .LBB949_433
; %bb.432:                              ;   in Loop: Header=BB949_213 Depth=1
	v_and_b32_e32 v46, 7, v42
	v_ffbh_u32_e32 v60, v46
	v_min_u32_e32 v62, 32, v60
	v_subrev_u32_e32 v60, 28, v62
	v_lshlrev_b64 v[60:61], v60, v[42:43]
	v_lshrrev_b32_e32 v58, 3, v44
	v_sub_u32_e32 v61, 29, v62
	v_and_b32_e32 v60, 7, v60
	v_cmp_gt_u32_e32 vcc, 8, v44
	v_cndmask_b32_e32 v44, v58, v61, vcc
	v_cndmask_b32_e32 v46, v46, v60, vcc
	v_lshlrev_b32_e32 v58, 24, v42
	v_lshlrev_b32_e32 v46, 20, v46
	v_and_b32_e32 v58, 0x80000000, v58
	v_lshl_add_u32 v44, v44, 23, v45
	v_or3_b32 v44, v58, v44, v46
	v_lshrrev_b32_e32 v58, 16, v44
.LBB949_433:                            ;   in Loop: Header=BB949_213 Depth=1
	s_or_b64 exec, exec, s[16:17]
.LBB949_434:                            ;   in Loop: Header=BB949_213 Depth=1
	s_or_b64 exec, exec, s[14:15]
.LBB949_435:                            ;   in Loop: Header=BB949_213 Depth=1
	s_or_b64 exec, exec, s[12:13]
	v_lshrrev_b16_e32 v44, 8, v42
	v_cmp_ne_u16_e32 vcc, 0, v44
	v_mov_b32_e32 v61, 0
	v_mov_b32_e32 v60, 0
	s_and_saveexec_b64 s[12:13], vcc
	s_cbranch_execz .LBB949_441
; %bb.436:                              ;   in Loop: Header=BB949_213 Depth=1
	v_cmp_ne_u16_e32 vcc, s9, v44
	v_mov_b32_e32 v60, 0xffff8000
	s_and_saveexec_b64 s[14:15], vcc
	s_cbranch_execz .LBB949_440
; %bb.437:                              ;   in Loop: Header=BB949_213 Depth=1
	v_and_b32_e32 v46, 0x7f, v44
	v_cmp_ne_u32_e32 vcc, s21, v46
	v_mov_b32_e32 v60, 0x7f80
	s_and_saveexec_b64 s[16:17], vcc
	s_cbranch_execz .LBB949_439
; %bb.438:                              ;   in Loop: Header=BB949_213 Depth=1
	v_and_b32_e32 v60, 7, v44
	v_ffbh_u32_e32 v62, v60
	v_min_u32_e32 v65, 32, v62
	v_subrev_u32_e32 v62, 28, v65
	v_lshlrev_b64 v[62:63], v62, v[44:45]
	v_lshrrev_b32_e32 v64, 3, v46
	v_sub_u32_e32 v44, 29, v65
	v_and_b32_e32 v62, 7, v62
	v_cmp_gt_u32_e32 vcc, 8, v46
	v_cndmask_b32_e32 v44, v64, v44, vcc
	v_cndmask_b32_e32 v46, v60, v62, vcc
	v_lshlrev_b32_e32 v60, 16, v42
	v_lshlrev_b32_e32 v46, 20, v46
	v_and_b32_e32 v60, 0x80000000, v60
	v_lshl_add_u32 v44, v44, 23, v45
	v_or3_b32 v44, v60, v44, v46
	v_lshrrev_b32_e32 v60, 16, v44
.LBB949_439:                            ;   in Loop: Header=BB949_213 Depth=1
	s_or_b64 exec, exec, s[16:17]
.LBB949_440:                            ;   in Loop: Header=BB949_213 Depth=1
	s_or_b64 exec, exec, s[14:15]
.LBB949_441:                            ;   in Loop: Header=BB949_213 Depth=1
	s_or_b64 exec, exec, s[12:13]
	v_lshrrev_b32_e32 v44, 16, v42
	v_cmp_ne_u16_sdwa s[14:15], v44, v43 src0_sel:BYTE_0 src1_sel:DWORD
	s_and_saveexec_b64 s[12:13], s[14:15]
	s_cbranch_execz .LBB949_447
; %bb.442:                              ;   in Loop: Header=BB949_213 Depth=1
	v_cmp_ne_u16_sdwa s[16:17], v44, s9 src0_sel:BYTE_0 src1_sel:DWORD
	v_mov_b32_e32 v61, 0xffff8000
	s_and_saveexec_b64 s[14:15], s[16:17]
	s_cbranch_execz .LBB949_446
; %bb.443:                              ;   in Loop: Header=BB949_213 Depth=1
	v_bfe_u32 v46, v42, 16, 7
	v_cmp_ne_u32_e32 vcc, s21, v46
	v_mov_b32_e32 v61, 0x7f80
	s_and_saveexec_b64 s[16:17], vcc
	s_cbranch_execz .LBB949_445
; %bb.444:                              ;   in Loop: Header=BB949_213 Depth=1
	v_and_b32_e32 v61, 7, v44
	v_ffbh_u32_e32 v62, v61
	v_min_u32_e32 v65, 32, v62
	v_subrev_u32_e32 v62, 28, v65
	v_lshlrev_b64 v[62:63], v62, v[44:45]
	v_lshrrev_b32_e32 v64, 3, v46
	v_sub_u32_e32 v63, 29, v65
	v_and_b32_e32 v62, 7, v62
	v_cmp_gt_u32_e32 vcc, 8, v46
	v_cndmask_b32_e32 v46, v64, v63, vcc
	v_cndmask_b32_e32 v61, v61, v62, vcc
	v_lshlrev_b32_e32 v44, 24, v44
	v_lshlrev_b32_e32 v61, 20, v61
	v_and_b32_e32 v44, 0x80000000, v44
	v_lshl_add_u32 v46, v46, 23, v45
	v_or3_b32 v44, v44, v46, v61
	v_lshrrev_b32_e32 v61, 16, v44
.LBB949_445:                            ;   in Loop: Header=BB949_213 Depth=1
	s_or_b64 exec, exec, s[16:17]
.LBB949_446:                            ;   in Loop: Header=BB949_213 Depth=1
	s_or_b64 exec, exec, s[14:15]
.LBB949_447:                            ;   in Loop: Header=BB949_213 Depth=1
	s_or_b64 exec, exec, s[12:13]
	v_cmp_lt_u32_e32 vcc, s22, v42
	v_mov_b32_e32 v46, 0
	v_mov_b32_e32 v62, 0
	s_and_saveexec_b64 s[12:13], vcc
	s_cbranch_execz .LBB949_453
; %bb.448:                              ;   in Loop: Header=BB949_213 Depth=1
	v_lshrrev_b32_e32 v44, 24, v42
	v_cmp_ne_u32_e32 vcc, s9, v44
	v_mov_b32_e32 v62, 0xffff8000
	s_and_saveexec_b64 s[14:15], vcc
	s_cbranch_execz .LBB949_452
; %bb.449:                              ;   in Loop: Header=BB949_213 Depth=1
	v_bfe_u32 v42, v42, 24, 7
	v_cmp_ne_u32_e32 vcc, s21, v42
	v_mov_b32_e32 v62, 0x7f80
	s_and_saveexec_b64 s[16:17], vcc
	s_cbranch_execz .LBB949_451
; %bb.450:                              ;   in Loop: Header=BB949_213 Depth=1
	v_and_b32_e32 v64, 7, v44
	v_ffbh_u32_e32 v62, v64
	v_min_u32_e32 v66, 32, v62
	v_subrev_u32_e32 v62, 28, v66
	v_lshlrev_b64 v[62:63], v62, v[44:45]
	v_lshrrev_b32_e32 v65, 3, v42
	v_sub_u32_e32 v63, 29, v66
	v_and_b32_e32 v62, 7, v62
	v_cmp_gt_u32_e32 vcc, 8, v42
	v_cndmask_b32_e32 v42, v65, v63, vcc
	v_cndmask_b32_e32 v62, v64, v62, vcc
	v_lshlrev_b32_e32 v44, 24, v44
	v_lshlrev_b32_e32 v62, 20, v62
	v_and_b32_e32 v44, 0x80000000, v44
	v_lshl_add_u32 v42, v42, 23, v45
	v_or3_b32 v42, v44, v42, v62
	v_lshrrev_b32_e32 v62, 16, v42
.LBB949_451:                            ;   in Loop: Header=BB949_213 Depth=1
	s_or_b64 exec, exec, s[16:17]
.LBB949_452:                            ;   in Loop: Header=BB949_213 Depth=1
	s_or_b64 exec, exec, s[14:15]
.LBB949_453:                            ;   in Loop: Header=BB949_213 Depth=1
	s_or_b64 exec, exec, s[12:13]
	v_perm_b32 v49, v59, v49, s23
	v_perm_b32 v48, v48, v47, s23
	s_waitcnt vmcnt(1)
	v_cmp_ne_u16_sdwa s[14:15], v40, v43 src0_sel:BYTE_0 src1_sel:DWORD
	v_mfma_f32_16x16x16bf16_1k v[34:37], v[48:49], v[18:19], v[34:37]
	v_perm_b32 v49, v62, v61, s23
	v_perm_b32 v48, v60, v58, s23
	s_nop 1
	v_mfma_f32_16x16x16bf16_1k v[34:37], v[48:49], v[20:21], v[34:37]
	s_and_saveexec_b64 s[12:13], s[14:15]
	s_cbranch_execz .LBB949_459
; %bb.454:                              ;   in Loop: Header=BB949_213 Depth=1
	v_cmp_ne_u16_sdwa s[16:17], v40, s9 src0_sel:BYTE_0 src1_sel:DWORD
	v_mov_b32_e32 v46, 0xffff8000
	s_and_saveexec_b64 s[14:15], s[16:17]
	s_cbranch_execz .LBB949_458
; %bb.455:                              ;   in Loop: Header=BB949_213 Depth=1
	v_and_b32_e32 v42, 0x7f, v40
	v_cmp_ne_u32_e32 vcc, s21, v42
	v_mov_b32_e32 v46, 0x7f80
	s_and_saveexec_b64 s[16:17], vcc
	s_cbranch_execz .LBB949_457
; %bb.456:                              ;   in Loop: Header=BB949_213 Depth=1
	v_and_b32_e32 v44, 7, v40
	v_ffbh_u32_e32 v46, v44
	v_min_u32_e32 v49, 32, v46
	v_subrev_u32_e32 v46, 28, v49
	v_lshlrev_b64 v[46:47], v46, v[40:41]
	v_lshrrev_b32_e32 v48, 3, v42
	v_sub_u32_e32 v47, 29, v49
	v_and_b32_e32 v46, 7, v46
	v_cmp_gt_u32_e32 vcc, 8, v42
	v_cndmask_b32_e32 v42, v48, v47, vcc
	v_cndmask_b32_e32 v44, v44, v46, vcc
	v_lshlrev_b32_e32 v46, 24, v40
	v_lshlrev_b32_e32 v44, 20, v44
	v_and_b32_e32 v46, 0x80000000, v46
	v_lshl_add_u32 v42, v42, 23, v45
	v_or3_b32 v42, v46, v42, v44
	v_lshrrev_b32_e32 v46, 16, v42
.LBB949_457:                            ;   in Loop: Header=BB949_213 Depth=1
	s_or_b64 exec, exec, s[16:17]
.LBB949_458:                            ;   in Loop: Header=BB949_213 Depth=1
	s_or_b64 exec, exec, s[14:15]
.LBB949_459:                            ;   in Loop: Header=BB949_213 Depth=1
	s_or_b64 exec, exec, s[12:13]
	v_lshrrev_b16_e32 v42, 8, v40
	v_cmp_ne_u16_e32 vcc, 0, v42
	v_mov_b32_e32 v48, 0
	v_mov_b32_e32 v44, 0
	s_and_saveexec_b64 s[12:13], vcc
	s_cbranch_execz .LBB949_465
; %bb.460:                              ;   in Loop: Header=BB949_213 Depth=1
	v_cmp_ne_u16_e32 vcc, s9, v42
	v_mov_b32_e32 v44, 0xffff8000
	s_and_saveexec_b64 s[14:15], vcc
	s_cbranch_execz .LBB949_464
; %bb.461:                              ;   in Loop: Header=BB949_213 Depth=1
	v_and_b32_e32 v47, 0x7f, v42
	v_cmp_ne_u32_e32 vcc, s21, v47
	v_mov_b32_e32 v44, 0x7f80
	s_and_saveexec_b64 s[16:17], vcc
	s_cbranch_execz .LBB949_463
; %bb.462:                              ;   in Loop: Header=BB949_213 Depth=1
	v_and_b32_e32 v44, 7, v42
	v_ffbh_u32_e32 v58, v44
	v_min_u32_e32 v60, 32, v58
	v_subrev_u32_e32 v58, 28, v60
	v_lshlrev_b64 v[58:59], v58, v[42:43]
	v_lshrrev_b32_e32 v49, 3, v47
	v_sub_u32_e32 v42, 29, v60
	v_and_b32_e32 v58, 7, v58
	v_cmp_gt_u32_e32 vcc, 8, v47
	v_cndmask_b32_e32 v42, v49, v42, vcc
	v_cndmask_b32_e32 v44, v44, v58, vcc
	v_lshlrev_b32_e32 v47, 16, v40
	v_lshlrev_b32_e32 v44, 20, v44
	v_and_b32_e32 v47, 0x80000000, v47
	v_lshl_add_u32 v42, v42, 23, v45
	v_or3_b32 v42, v47, v42, v44
	v_lshrrev_b32_e32 v44, 16, v42
.LBB949_463:                            ;   in Loop: Header=BB949_213 Depth=1
	s_or_b64 exec, exec, s[16:17]
.LBB949_464:                            ;   in Loop: Header=BB949_213 Depth=1
	s_or_b64 exec, exec, s[14:15]
.LBB949_465:                            ;   in Loop: Header=BB949_213 Depth=1
	s_or_b64 exec, exec, s[12:13]
	v_lshrrev_b32_e32 v42, 16, v40
	v_cmp_ne_u16_sdwa s[14:15], v42, v43 src0_sel:BYTE_0 src1_sel:DWORD
	s_and_saveexec_b64 s[12:13], s[14:15]
	s_cbranch_execz .LBB949_471
; %bb.466:                              ;   in Loop: Header=BB949_213 Depth=1
	v_cmp_ne_u16_sdwa s[16:17], v42, s9 src0_sel:BYTE_0 src1_sel:DWORD
	v_mov_b32_e32 v48, 0xffff8000
	s_and_saveexec_b64 s[14:15], s[16:17]
	s_cbranch_execz .LBB949_470
; %bb.467:                              ;   in Loop: Header=BB949_213 Depth=1
	v_bfe_u32 v47, v40, 16, 7
	v_cmp_ne_u32_e32 vcc, s21, v47
	v_mov_b32_e32 v48, 0x7f80
	s_and_saveexec_b64 s[16:17], vcc
	s_cbranch_execz .LBB949_469
; %bb.468:                              ;   in Loop: Header=BB949_213 Depth=1
	v_and_b32_e32 v58, 7, v42
	v_ffbh_u32_e32 v48, v58
	v_min_u32_e32 v60, 32, v48
	v_subrev_u32_e32 v48, 28, v60
	v_lshlrev_b64 v[48:49], v48, v[42:43]
	v_lshrrev_b32_e32 v59, 3, v47
	v_sub_u32_e32 v49, 29, v60
	v_and_b32_e32 v48, 7, v48
	v_cmp_gt_u32_e32 vcc, 8, v47
	v_cndmask_b32_e32 v47, v59, v49, vcc
	v_cndmask_b32_e32 v48, v58, v48, vcc
	v_lshlrev_b32_e32 v42, 24, v42
	v_lshlrev_b32_e32 v48, 20, v48
	v_and_b32_e32 v42, 0x80000000, v42
	v_lshl_add_u32 v47, v47, 23, v45
	v_or3_b32 v42, v42, v47, v48
	v_lshrrev_b32_e32 v48, 16, v42
.LBB949_469:                            ;   in Loop: Header=BB949_213 Depth=1
	s_or_b64 exec, exec, s[16:17]
.LBB949_470:                            ;   in Loop: Header=BB949_213 Depth=1
	s_or_b64 exec, exec, s[14:15]
.LBB949_471:                            ;   in Loop: Header=BB949_213 Depth=1
	s_or_b64 exec, exec, s[12:13]
	v_cmp_lt_u32_e32 vcc, s22, v40
	v_mov_b32_e32 v49, 0
	v_mov_b32_e32 v58, 0
	s_and_saveexec_b64 s[12:13], vcc
	s_cbranch_execz .LBB949_477
; %bb.472:                              ;   in Loop: Header=BB949_213 Depth=1
	v_lshrrev_b32_e32 v42, 24, v40
	v_cmp_ne_u32_e32 vcc, s9, v42
	v_mov_b32_e32 v58, 0xffff8000
	s_and_saveexec_b64 s[14:15], vcc
	s_cbranch_execz .LBB949_476
; %bb.473:                              ;   in Loop: Header=BB949_213 Depth=1
	v_bfe_u32 v40, v40, 24, 7
	v_cmp_ne_u32_e32 vcc, s21, v40
	v_mov_b32_e32 v58, 0x7f80
	s_and_saveexec_b64 s[16:17], vcc
	s_cbranch_execz .LBB949_475
; %bb.474:                              ;   in Loop: Header=BB949_213 Depth=1
	v_and_b32_e32 v47, 7, v42
	v_ffbh_u32_e32 v58, v47
	v_min_u32_e32 v61, 32, v58
	v_subrev_u32_e32 v58, 28, v61
	v_lshlrev_b64 v[58:59], v58, v[42:43]
	v_lshrrev_b32_e32 v60, 3, v40
	v_sub_u32_e32 v59, 29, v61
	v_and_b32_e32 v58, 7, v58
	v_cmp_gt_u32_e32 vcc, 8, v40
	v_cndmask_b32_e32 v40, v60, v59, vcc
	v_cndmask_b32_e32 v47, v47, v58, vcc
	v_lshlrev_b32_e32 v42, 24, v42
	v_lshlrev_b32_e32 v47, 20, v47
	v_and_b32_e32 v42, 0x80000000, v42
	v_lshl_add_u32 v40, v40, 23, v45
	v_or3_b32 v40, v42, v40, v47
	v_lshrrev_b32_e32 v58, 16, v40
.LBB949_475:                            ;   in Loop: Header=BB949_213 Depth=1
	s_or_b64 exec, exec, s[16:17]
.LBB949_476:                            ;   in Loop: Header=BB949_213 Depth=1
	s_or_b64 exec, exec, s[14:15]
.LBB949_477:                            ;   in Loop: Header=BB949_213 Depth=1
	s_or_b64 exec, exec, s[12:13]
	s_waitcnt vmcnt(0)
	v_cmp_ne_u16_sdwa s[14:15], v38, v43 src0_sel:BYTE_0 src1_sel:DWORD
	s_and_saveexec_b64 s[12:13], s[14:15]
	s_cbranch_execz .LBB949_483
; %bb.478:                              ;   in Loop: Header=BB949_213 Depth=1
	v_cmp_ne_u16_sdwa s[16:17], v38, s9 src0_sel:BYTE_0 src1_sel:DWORD
	v_mov_b32_e32 v49, 0xffff8000
	s_and_saveexec_b64 s[14:15], s[16:17]
	s_cbranch_execz .LBB949_482
; %bb.479:                              ;   in Loop: Header=BB949_213 Depth=1
	v_and_b32_e32 v40, 0x7f, v38
	v_cmp_ne_u32_e32 vcc, s21, v40
	v_mov_b32_e32 v49, 0x7f80
	s_and_saveexec_b64 s[16:17], vcc
	s_cbranch_execz .LBB949_481
; %bb.480:                              ;   in Loop: Header=BB949_213 Depth=1
	v_and_b32_e32 v42, 7, v38
	v_ffbh_u32_e32 v49, v42
	v_min_u32_e32 v49, 32, v49
	v_subrev_u32_e32 v59, 28, v49
	v_lshlrev_b64 v[60:61], v59, v[38:39]
	v_lshrrev_b32_e32 v47, 3, v40
	v_sub_u32_e32 v49, 29, v49
	v_and_b32_e32 v59, 7, v60
	v_cmp_gt_u32_e32 vcc, 8, v40
	v_cndmask_b32_e32 v40, v47, v49, vcc
	v_cndmask_b32_e32 v42, v42, v59, vcc
	v_lshlrev_b32_e32 v47, 24, v38
	v_lshlrev_b32_e32 v42, 20, v42
	v_and_b32_e32 v47, 0x80000000, v47
	v_lshl_add_u32 v40, v40, 23, v45
	v_or3_b32 v40, v47, v40, v42
	v_lshrrev_b32_e32 v49, 16, v40
.LBB949_481:                            ;   in Loop: Header=BB949_213 Depth=1
	s_or_b64 exec, exec, s[16:17]
.LBB949_482:                            ;   in Loop: Header=BB949_213 Depth=1
	s_or_b64 exec, exec, s[14:15]
.LBB949_483:                            ;   in Loop: Header=BB949_213 Depth=1
	s_or_b64 exec, exec, s[12:13]
	v_lshrrev_b16_e32 v40, 8, v38
	v_cmp_ne_u16_e32 vcc, 0, v40
	v_mov_b32_e32 v60, 0
	v_mov_b32_e32 v59, 0
	s_and_saveexec_b64 s[12:13], vcc
	s_cbranch_execz .LBB949_489
; %bb.484:                              ;   in Loop: Header=BB949_213 Depth=1
	v_cmp_ne_u16_e32 vcc, s9, v40
	v_mov_b32_e32 v59, 0xffff8000
	s_and_saveexec_b64 s[14:15], vcc
	s_cbranch_execz .LBB949_488
; %bb.485:                              ;   in Loop: Header=BB949_213 Depth=1
	v_and_b32_e32 v42, 0x7f, v40
	v_cmp_ne_u32_e32 vcc, s21, v42
	v_mov_b32_e32 v59, 0x7f80
	s_and_saveexec_b64 s[16:17], vcc
	s_cbranch_execz .LBB949_487
; %bb.486:                              ;   in Loop: Header=BB949_213 Depth=1
	v_and_b32_e32 v47, 7, v40
	v_ffbh_u32_e32 v61, v47
	v_min_u32_e32 v61, 32, v61
	v_subrev_u32_e32 v62, 28, v61
	v_lshlrev_b64 v[62:63], v62, v[40:41]
	v_lshrrev_b32_e32 v59, 3, v42
	v_sub_u32_e32 v40, 29, v61
	v_and_b32_e32 v61, 7, v62
	v_cmp_gt_u32_e32 vcc, 8, v42
	v_cndmask_b32_e32 v40, v59, v40, vcc
	v_cndmask_b32_e32 v42, v47, v61, vcc
	v_lshlrev_b32_e32 v47, 16, v38
	v_lshlrev_b32_e32 v42, 20, v42
	v_and_b32_e32 v47, 0x80000000, v47
	v_lshl_add_u32 v40, v40, 23, v45
	v_or3_b32 v40, v47, v40, v42
	v_lshrrev_b32_e32 v59, 16, v40
.LBB949_487:                            ;   in Loop: Header=BB949_213 Depth=1
	s_or_b64 exec, exec, s[16:17]
.LBB949_488:                            ;   in Loop: Header=BB949_213 Depth=1
	s_or_b64 exec, exec, s[14:15]
.LBB949_489:                            ;   in Loop: Header=BB949_213 Depth=1
	s_or_b64 exec, exec, s[12:13]
	v_lshrrev_b32_e32 v40, 16, v38
	v_cmp_ne_u16_sdwa s[14:15], v40, v43 src0_sel:BYTE_0 src1_sel:DWORD
	s_and_saveexec_b64 s[12:13], s[14:15]
	s_cbranch_execz .LBB949_495
; %bb.490:                              ;   in Loop: Header=BB949_213 Depth=1
	v_cmp_ne_u16_sdwa s[16:17], v40, s9 src0_sel:BYTE_0 src1_sel:DWORD
	v_mov_b32_e32 v60, 0xffff8000
	s_and_saveexec_b64 s[14:15], s[16:17]
	s_cbranch_execz .LBB949_494
; %bb.491:                              ;   in Loop: Header=BB949_213 Depth=1
	v_bfe_u32 v42, v38, 16, 7
	v_cmp_ne_u32_e32 vcc, s21, v42
	v_mov_b32_e32 v60, 0x7f80
	s_and_saveexec_b64 s[16:17], vcc
	s_cbranch_execz .LBB949_493
; %bb.492:                              ;   in Loop: Header=BB949_213 Depth=1
	v_and_b32_e32 v47, 7, v40
	v_ffbh_u32_e32 v60, v47
	v_min_u32_e32 v63, 32, v60
	v_subrev_u32_e32 v60, 28, v63
	v_lshlrev_b64 v[60:61], v60, v[40:41]
	v_lshrrev_b32_e32 v62, 3, v42
	v_sub_u32_e32 v61, 29, v63
	v_and_b32_e32 v60, 7, v60
	v_cmp_gt_u32_e32 vcc, 8, v42
	v_cndmask_b32_e32 v42, v62, v61, vcc
	v_cndmask_b32_e32 v47, v47, v60, vcc
	v_lshlrev_b32_e32 v40, 24, v40
	v_lshlrev_b32_e32 v47, 20, v47
	v_and_b32_e32 v40, 0x80000000, v40
	v_lshl_add_u32 v42, v42, 23, v45
	v_or3_b32 v40, v40, v42, v47
	v_lshrrev_b32_e32 v60, 16, v40
.LBB949_493:                            ;   in Loop: Header=BB949_213 Depth=1
	s_or_b64 exec, exec, s[16:17]
.LBB949_494:                            ;   in Loop: Header=BB949_213 Depth=1
	s_or_b64 exec, exec, s[14:15]
.LBB949_495:                            ;   in Loop: Header=BB949_213 Depth=1
	s_or_b64 exec, exec, s[12:13]
	v_cmp_lt_u32_e32 vcc, s22, v38
	v_mov_b32_e32 v47, 0
	v_mov_b32_e32 v61, 0
	s_and_saveexec_b64 s[12:13], vcc
	s_cbranch_execz .LBB949_501
; %bb.496:                              ;   in Loop: Header=BB949_213 Depth=1
	v_lshrrev_b32_e32 v40, 24, v38
	v_cmp_ne_u32_e32 vcc, s9, v40
	v_mov_b32_e32 v61, 0xffff8000
	s_and_saveexec_b64 s[14:15], vcc
	s_cbranch_execz .LBB949_500
; %bb.497:                              ;   in Loop: Header=BB949_213 Depth=1
	v_bfe_u32 v38, v38, 24, 7
	v_cmp_ne_u32_e32 vcc, s21, v38
	v_mov_b32_e32 v61, 0x7f80
	s_and_saveexec_b64 s[16:17], vcc
	s_cbranch_execz .LBB949_499
; %bb.498:                              ;   in Loop: Header=BB949_213 Depth=1
	v_and_b32_e32 v42, 7, v40
	v_ffbh_u32_e32 v62, v42
	v_min_u32_e32 v64, 32, v62
	v_subrev_u32_e32 v62, 28, v64
	v_lshlrev_b64 v[62:63], v62, v[40:41]
	v_lshrrev_b32_e32 v61, 3, v38
	v_sub_u32_e32 v63, 29, v64
	v_and_b32_e32 v62, 7, v62
	v_cmp_gt_u32_e32 vcc, 8, v38
	v_cndmask_b32_e32 v38, v61, v63, vcc
	v_cndmask_b32_e32 v42, v42, v62, vcc
	v_lshlrev_b32_e32 v40, 24, v40
	v_lshlrev_b32_e32 v42, 20, v42
	v_and_b32_e32 v40, 0x80000000, v40
	v_lshl_add_u32 v38, v38, 23, v45
	v_or3_b32 v38, v40, v38, v42
	v_lshrrev_b32_e32 v61, 16, v38
.LBB949_499:                            ;   in Loop: Header=BB949_213 Depth=1
	s_or_b64 exec, exec, s[16:17]
.LBB949_500:                            ;   in Loop: Header=BB949_213 Depth=1
	s_or_b64 exec, exec, s[14:15]
.LBB949_501:                            ;   in Loop: Header=BB949_213 Depth=1
	s_or_b64 exec, exec, s[12:13]
	v_perm_b32 v62, v44, v46, s23
	buffer_load_dword v44, v57, s[0:3], 0 offen
	buffer_load_dword v42, v57, s[0:3], 0 offen offset:4
	buffer_load_dword v40, v57, s[0:3], 0 offen offset:8
	;; [unrolled: 1-line block ×3, first 2 shown]
	v_perm_b32 v63, v58, v48, s23
	v_perm_b32 v61, v61, v60, s23
	;; [unrolled: 1-line block ×3, first 2 shown]
	v_mfma_f32_16x16x16bf16_1k v[34:37], v[62:63], v[22:23], v[34:37]
	s_waitcnt vmcnt(3)
	v_cmp_ne_u16_sdwa s[14:15], v44, v43 src0_sel:BYTE_0 src1_sel:DWORD
	v_mfma_f32_16x16x16bf16_1k v[34:37], v[60:61], v[24:25], v[34:37]
	s_and_saveexec_b64 s[12:13], s[14:15]
	s_cbranch_execz .LBB949_507
; %bb.502:                              ;   in Loop: Header=BB949_213 Depth=1
	v_cmp_ne_u16_sdwa s[16:17], v44, s9 src0_sel:BYTE_0 src1_sel:DWORD
	v_mov_b32_e32 v47, 0xffff8000
	s_and_saveexec_b64 s[14:15], s[16:17]
	s_cbranch_execz .LBB949_506
; %bb.503:                              ;   in Loop: Header=BB949_213 Depth=1
	v_and_b32_e32 v46, 0x7f, v44
	v_cmp_ne_u32_e32 vcc, s21, v46
	v_mov_b32_e32 v47, 0x7f80
	s_and_saveexec_b64 s[16:17], vcc
	s_cbranch_execz .LBB949_505
; %bb.504:                              ;   in Loop: Header=BB949_213 Depth=1
	v_and_b32_e32 v47, 7, v44
	v_ffbh_u32_e32 v48, v47
	v_min_u32_e32 v58, 32, v48
	v_subrev_u32_e32 v48, 28, v58
	v_lshlrev_b64 v[48:49], v48, v[44:45]
	v_lshrrev_b32_e32 v57, 3, v46
	v_sub_u32_e32 v49, 29, v58
	v_and_b32_e32 v48, 7, v48
	v_cmp_gt_u32_e32 vcc, 8, v46
	v_cndmask_b32_e32 v46, v57, v49, vcc
	v_cndmask_b32_e32 v47, v47, v48, vcc
	v_lshlrev_b32_e32 v48, 24, v44
	v_lshlrev_b32_e32 v47, 20, v47
	v_and_b32_e32 v48, 0x80000000, v48
	v_lshl_add_u32 v46, v46, 23, v45
	v_or3_b32 v46, v48, v46, v47
	v_lshrrev_b32_e32 v47, 16, v46
.LBB949_505:                            ;   in Loop: Header=BB949_213 Depth=1
	s_or_b64 exec, exec, s[16:17]
.LBB949_506:                            ;   in Loop: Header=BB949_213 Depth=1
	s_or_b64 exec, exec, s[14:15]
.LBB949_507:                            ;   in Loop: Header=BB949_213 Depth=1
	s_or_b64 exec, exec, s[12:13]
	v_lshrrev_b16_e32 v46, 8, v44
	v_cmp_ne_u16_e32 vcc, 0, v46
	v_mov_b32_e32 v49, 0
	v_mov_b32_e32 v48, 0
	s_and_saveexec_b64 s[12:13], vcc
	s_cbranch_execz .LBB949_513
; %bb.508:                              ;   in Loop: Header=BB949_213 Depth=1
	v_cmp_ne_u16_e32 vcc, s9, v46
	v_mov_b32_e32 v48, 0xffff8000
	s_and_saveexec_b64 s[14:15], vcc
	s_cbranch_execz .LBB949_512
; %bb.509:                              ;   in Loop: Header=BB949_213 Depth=1
	v_and_b32_e32 v57, 0x7f, v46
	v_cmp_ne_u32_e32 vcc, s21, v57
	v_mov_b32_e32 v48, 0x7f80
	s_and_saveexec_b64 s[16:17], vcc
	s_cbranch_execz .LBB949_511
; %bb.510:                              ;   in Loop: Header=BB949_213 Depth=1
	v_and_b32_e32 v48, 7, v46
	v_ffbh_u32_e32 v58, v48
	v_min_u32_e32 v61, 32, v58
	v_subrev_u32_e32 v58, 28, v61
	v_lshlrev_b64 v[58:59], v58, v[46:47]
	v_lshrrev_b32_e32 v60, 3, v57
	v_sub_u32_e32 v46, 29, v61
	v_and_b32_e32 v58, 7, v58
	v_cmp_gt_u32_e32 vcc, 8, v57
	v_cndmask_b32_e32 v46, v60, v46, vcc
	v_cndmask_b32_e32 v48, v48, v58, vcc
	v_lshlrev_b32_e32 v57, 16, v44
	v_lshlrev_b32_e32 v48, 20, v48
	v_and_b32_e32 v57, 0x80000000, v57
	v_lshl_add_u32 v46, v46, 23, v45
	v_or3_b32 v46, v57, v46, v48
	v_lshrrev_b32_e32 v48, 16, v46
.LBB949_511:                            ;   in Loop: Header=BB949_213 Depth=1
	s_or_b64 exec, exec, s[16:17]
.LBB949_512:                            ;   in Loop: Header=BB949_213 Depth=1
	s_or_b64 exec, exec, s[14:15]
.LBB949_513:                            ;   in Loop: Header=BB949_213 Depth=1
	s_or_b64 exec, exec, s[12:13]
	v_lshrrev_b32_e32 v46, 16, v44
	v_cmp_ne_u16_sdwa s[14:15], v46, v43 src0_sel:BYTE_0 src1_sel:DWORD
	s_and_saveexec_b64 s[12:13], s[14:15]
	s_cbranch_execz .LBB949_519
; %bb.514:                              ;   in Loop: Header=BB949_213 Depth=1
	v_cmp_ne_u16_sdwa s[16:17], v46, s9 src0_sel:BYTE_0 src1_sel:DWORD
	v_mov_b32_e32 v49, 0xffff8000
	s_and_saveexec_b64 s[14:15], s[16:17]
	s_cbranch_execz .LBB949_518
; %bb.515:                              ;   in Loop: Header=BB949_213 Depth=1
	v_bfe_u32 v57, v44, 16, 7
	v_cmp_ne_u32_e32 vcc, s21, v57
	v_mov_b32_e32 v49, 0x7f80
	s_and_saveexec_b64 s[16:17], vcc
	s_cbranch_execz .LBB949_517
; %bb.516:                              ;   in Loop: Header=BB949_213 Depth=1
	v_and_b32_e32 v49, 7, v46
	v_ffbh_u32_e32 v58, v49
	v_min_u32_e32 v61, 32, v58
	v_subrev_u32_e32 v58, 28, v61
	v_lshlrev_b64 v[58:59], v58, v[46:47]
	v_lshrrev_b32_e32 v60, 3, v57
	v_sub_u32_e32 v59, 29, v61
	v_and_b32_e32 v58, 7, v58
	v_cmp_gt_u32_e32 vcc, 8, v57
	v_cndmask_b32_e32 v57, v60, v59, vcc
	v_cndmask_b32_e32 v49, v49, v58, vcc
	v_lshlrev_b32_e32 v46, 24, v46
	v_lshlrev_b32_e32 v49, 20, v49
	v_and_b32_e32 v46, 0x80000000, v46
	v_lshl_add_u32 v57, v57, 23, v45
	v_or3_b32 v46, v46, v57, v49
	v_lshrrev_b32_e32 v49, 16, v46
.LBB949_517:                            ;   in Loop: Header=BB949_213 Depth=1
	s_or_b64 exec, exec, s[16:17]
.LBB949_518:                            ;   in Loop: Header=BB949_213 Depth=1
	s_or_b64 exec, exec, s[14:15]
.LBB949_519:                            ;   in Loop: Header=BB949_213 Depth=1
	s_or_b64 exec, exec, s[12:13]
	v_cmp_lt_u32_e32 vcc, s22, v44
	v_mov_b32_e32 v57, 0
	v_mov_b32_e32 v58, 0
	s_and_saveexec_b64 s[12:13], vcc
	s_cbranch_execz .LBB949_525
; %bb.520:                              ;   in Loop: Header=BB949_213 Depth=1
	v_lshrrev_b32_e32 v46, 24, v44
	v_cmp_ne_u32_e32 vcc, s9, v46
	v_mov_b32_e32 v58, 0xffff8000
	s_and_saveexec_b64 s[14:15], vcc
	s_cbranch_execz .LBB949_524
; %bb.521:                              ;   in Loop: Header=BB949_213 Depth=1
	v_bfe_u32 v44, v44, 24, 7
	v_cmp_ne_u32_e32 vcc, s21, v44
	v_mov_b32_e32 v58, 0x7f80
	s_and_saveexec_b64 s[16:17], vcc
	s_cbranch_execz .LBB949_523
; %bb.522:                              ;   in Loop: Header=BB949_213 Depth=1
	v_and_b32_e32 v60, 7, v46
	v_ffbh_u32_e32 v58, v60
	v_min_u32_e32 v62, 32, v58
	v_subrev_u32_e32 v58, 28, v62
	v_lshlrev_b64 v[58:59], v58, v[46:47]
	v_lshrrev_b32_e32 v61, 3, v44
	v_sub_u32_e32 v59, 29, v62
	v_and_b32_e32 v58, 7, v58
	v_cmp_gt_u32_e32 vcc, 8, v44
	v_cndmask_b32_e32 v44, v61, v59, vcc
	v_cndmask_b32_e32 v58, v60, v58, vcc
	v_lshlrev_b32_e32 v46, 24, v46
	v_lshlrev_b32_e32 v58, 20, v58
	v_and_b32_e32 v46, 0x80000000, v46
	v_lshl_add_u32 v44, v44, 23, v45
	v_or3_b32 v44, v46, v44, v58
	v_lshrrev_b32_e32 v58, 16, v44
.LBB949_523:                            ;   in Loop: Header=BB949_213 Depth=1
	s_or_b64 exec, exec, s[16:17]
.LBB949_524:                            ;   in Loop: Header=BB949_213 Depth=1
	s_or_b64 exec, exec, s[14:15]
.LBB949_525:                            ;   in Loop: Header=BB949_213 Depth=1
	s_or_b64 exec, exec, s[12:13]
	s_waitcnt vmcnt(2)
	v_cmp_ne_u16_sdwa s[14:15], v42, v43 src0_sel:BYTE_0 src1_sel:DWORD
	s_and_saveexec_b64 s[12:13], s[14:15]
	s_cbranch_execz .LBB949_531
; %bb.526:                              ;   in Loop: Header=BB949_213 Depth=1
	v_cmp_ne_u16_sdwa s[16:17], v42, s9 src0_sel:BYTE_0 src1_sel:DWORD
	v_mov_b32_e32 v57, 0xffff8000
	s_and_saveexec_b64 s[14:15], s[16:17]
	s_cbranch_execz .LBB949_530
; %bb.527:                              ;   in Loop: Header=BB949_213 Depth=1
	v_and_b32_e32 v44, 0x7f, v42
	v_cmp_ne_u32_e32 vcc, s21, v44
	v_mov_b32_e32 v57, 0x7f80
	s_and_saveexec_b64 s[16:17], vcc
	s_cbranch_execz .LBB949_529
; %bb.528:                              ;   in Loop: Header=BB949_213 Depth=1
	v_and_b32_e32 v46, 7, v42
	v_ffbh_u32_e32 v59, v46
	v_min_u32_e32 v59, 32, v59
	v_subrev_u32_e32 v60, 28, v59
	v_lshlrev_b64 v[60:61], v60, v[42:43]
	v_lshrrev_b32_e32 v57, 3, v44
	v_sub_u32_e32 v59, 29, v59
	v_and_b32_e32 v60, 7, v60
	v_cmp_gt_u32_e32 vcc, 8, v44
	v_cndmask_b32_e32 v44, v57, v59, vcc
	v_cndmask_b32_e32 v46, v46, v60, vcc
	v_lshlrev_b32_e32 v57, 24, v42
	v_lshlrev_b32_e32 v46, 20, v46
	v_and_b32_e32 v57, 0x80000000, v57
	v_lshl_add_u32 v44, v44, 23, v45
	v_or3_b32 v44, v57, v44, v46
	v_lshrrev_b32_e32 v57, 16, v44
.LBB949_529:                            ;   in Loop: Header=BB949_213 Depth=1
	s_or_b64 exec, exec, s[16:17]
.LBB949_530:                            ;   in Loop: Header=BB949_213 Depth=1
	s_or_b64 exec, exec, s[14:15]
.LBB949_531:                            ;   in Loop: Header=BB949_213 Depth=1
	s_or_b64 exec, exec, s[12:13]
	v_lshrrev_b16_e32 v44, 8, v42
	v_cmp_ne_u16_e32 vcc, 0, v44
	v_mov_b32_e32 v60, 0
	v_mov_b32_e32 v59, 0
	s_and_saveexec_b64 s[12:13], vcc
	s_cbranch_execz .LBB949_537
; %bb.532:                              ;   in Loop: Header=BB949_213 Depth=1
	v_cmp_ne_u16_e32 vcc, s9, v44
	v_mov_b32_e32 v59, 0xffff8000
	s_and_saveexec_b64 s[14:15], vcc
	s_cbranch_execz .LBB949_536
; %bb.533:                              ;   in Loop: Header=BB949_213 Depth=1
	v_and_b32_e32 v46, 0x7f, v44
	v_cmp_ne_u32_e32 vcc, s21, v46
	v_mov_b32_e32 v59, 0x7f80
	s_and_saveexec_b64 s[16:17], vcc
	s_cbranch_execz .LBB949_535
; %bb.534:                              ;   in Loop: Header=BB949_213 Depth=1
	v_and_b32_e32 v59, 7, v44
	v_ffbh_u32_e32 v62, v59
	v_min_u32_e32 v64, 32, v62
	v_subrev_u32_e32 v62, 28, v64
	v_lshlrev_b64 v[62:63], v62, v[44:45]
	v_lshrrev_b32_e32 v61, 3, v46
	v_sub_u32_e32 v44, 29, v64
	v_and_b32_e32 v62, 7, v62
	v_cmp_gt_u32_e32 vcc, 8, v46
	v_cndmask_b32_e32 v44, v61, v44, vcc
	v_cndmask_b32_e32 v46, v59, v62, vcc
	v_lshlrev_b32_e32 v59, 16, v42
	v_lshlrev_b32_e32 v46, 20, v46
	v_and_b32_e32 v59, 0x80000000, v59
	v_lshl_add_u32 v44, v44, 23, v45
	v_or3_b32 v44, v59, v44, v46
	v_lshrrev_b32_e32 v59, 16, v44
.LBB949_535:                            ;   in Loop: Header=BB949_213 Depth=1
	s_or_b64 exec, exec, s[16:17]
.LBB949_536:                            ;   in Loop: Header=BB949_213 Depth=1
	s_or_b64 exec, exec, s[14:15]
.LBB949_537:                            ;   in Loop: Header=BB949_213 Depth=1
	s_or_b64 exec, exec, s[12:13]
	v_lshrrev_b32_e32 v44, 16, v42
	v_cmp_ne_u16_sdwa s[14:15], v44, v43 src0_sel:BYTE_0 src1_sel:DWORD
	s_and_saveexec_b64 s[12:13], s[14:15]
	s_cbranch_execz .LBB949_543
; %bb.538:                              ;   in Loop: Header=BB949_213 Depth=1
	v_cmp_ne_u16_sdwa s[16:17], v44, s9 src0_sel:BYTE_0 src1_sel:DWORD
	v_mov_b32_e32 v60, 0xffff8000
	s_and_saveexec_b64 s[14:15], s[16:17]
	s_cbranch_execz .LBB949_542
; %bb.539:                              ;   in Loop: Header=BB949_213 Depth=1
	v_bfe_u32 v46, v42, 16, 7
	v_cmp_ne_u32_e32 vcc, s21, v46
	v_mov_b32_e32 v60, 0x7f80
	s_and_saveexec_b64 s[16:17], vcc
	s_cbranch_execz .LBB949_541
; %bb.540:                              ;   in Loop: Header=BB949_213 Depth=1
	v_and_b32_e32 v62, 7, v44
	v_ffbh_u32_e32 v60, v62
	v_min_u32_e32 v64, 32, v60
	v_subrev_u32_e32 v60, 28, v64
	v_lshlrev_b64 v[60:61], v60, v[44:45]
	v_lshrrev_b32_e32 v63, 3, v46
	v_sub_u32_e32 v61, 29, v64
	v_and_b32_e32 v60, 7, v60
	v_cmp_gt_u32_e32 vcc, 8, v46
	v_cndmask_b32_e32 v46, v63, v61, vcc
	v_cndmask_b32_e32 v60, v62, v60, vcc
	v_lshlrev_b32_e32 v44, 24, v44
	v_lshlrev_b32_e32 v60, 20, v60
	v_and_b32_e32 v44, 0x80000000, v44
	v_lshl_add_u32 v46, v46, 23, v45
	v_or3_b32 v44, v44, v46, v60
	v_lshrrev_b32_e32 v60, 16, v44
.LBB949_541:                            ;   in Loop: Header=BB949_213 Depth=1
	s_or_b64 exec, exec, s[16:17]
.LBB949_542:                            ;   in Loop: Header=BB949_213 Depth=1
	s_or_b64 exec, exec, s[14:15]
.LBB949_543:                            ;   in Loop: Header=BB949_213 Depth=1
	s_or_b64 exec, exec, s[12:13]
	v_cmp_lt_u32_e32 vcc, s22, v42
	v_mov_b32_e32 v46, 0
	v_mov_b32_e32 v61, 0
	s_and_saveexec_b64 s[12:13], vcc
	s_cbranch_execz .LBB949_549
; %bb.544:                              ;   in Loop: Header=BB949_213 Depth=1
	v_lshrrev_b32_e32 v44, 24, v42
	v_cmp_ne_u32_e32 vcc, s9, v44
	v_mov_b32_e32 v61, 0xffff8000
	s_and_saveexec_b64 s[14:15], vcc
	s_cbranch_execz .LBB949_548
; %bb.545:                              ;   in Loop: Header=BB949_213 Depth=1
	v_bfe_u32 v42, v42, 24, 7
	v_cmp_ne_u32_e32 vcc, s21, v42
	v_mov_b32_e32 v61, 0x7f80
	s_and_saveexec_b64 s[16:17], vcc
	s_cbranch_execz .LBB949_547
; %bb.546:                              ;   in Loop: Header=BB949_213 Depth=1
	v_and_b32_e32 v61, 7, v44
	v_ffbh_u32_e32 v62, v61
	v_min_u32_e32 v65, 32, v62
	v_subrev_u32_e32 v62, 28, v65
	v_lshlrev_b64 v[62:63], v62, v[44:45]
	v_lshrrev_b32_e32 v64, 3, v42
	v_sub_u32_e32 v63, 29, v65
	v_and_b32_e32 v62, 7, v62
	v_cmp_gt_u32_e32 vcc, 8, v42
	v_cndmask_b32_e32 v42, v64, v63, vcc
	v_cndmask_b32_e32 v61, v61, v62, vcc
	v_lshlrev_b32_e32 v44, 24, v44
	v_lshlrev_b32_e32 v61, 20, v61
	v_and_b32_e32 v44, 0x80000000, v44
	v_lshl_add_u32 v42, v42, 23, v45
	v_or3_b32 v42, v44, v42, v61
	v_lshrrev_b32_e32 v61, 16, v42
.LBB949_547:                            ;   in Loop: Header=BB949_213 Depth=1
	s_or_b64 exec, exec, s[16:17]
.LBB949_548:                            ;   in Loop: Header=BB949_213 Depth=1
	s_or_b64 exec, exec, s[14:15]
.LBB949_549:                            ;   in Loop: Header=BB949_213 Depth=1
	s_or_b64 exec, exec, s[12:13]
	v_perm_b32 v49, v58, v49, s23
	v_perm_b32 v48, v48, v47, s23
	s_waitcnt vmcnt(1)
	v_cmp_ne_u16_sdwa s[14:15], v40, v43 src0_sel:BYTE_0 src1_sel:DWORD
	v_mfma_f32_16x16x16bf16_1k v[34:37], v[48:49], v[26:27], v[34:37]
	v_perm_b32 v49, v61, v60, s23
	v_perm_b32 v48, v59, v57, s23
	s_nop 1
	v_mfma_f32_16x16x16bf16_1k v[34:37], v[48:49], v[28:29], v[34:37]
	s_and_saveexec_b64 s[12:13], s[14:15]
	s_cbranch_execz .LBB949_555
; %bb.550:                              ;   in Loop: Header=BB949_213 Depth=1
	v_cmp_ne_u16_sdwa s[16:17], v40, s9 src0_sel:BYTE_0 src1_sel:DWORD
	v_mov_b32_e32 v46, 0xffff8000
	s_and_saveexec_b64 s[14:15], s[16:17]
	s_cbranch_execz .LBB949_554
; %bb.551:                              ;   in Loop: Header=BB949_213 Depth=1
	v_and_b32_e32 v42, 0x7f, v40
	v_cmp_ne_u32_e32 vcc, s21, v42
	v_mov_b32_e32 v46, 0x7f80
	s_and_saveexec_b64 s[16:17], vcc
	s_cbranch_execz .LBB949_553
; %bb.552:                              ;   in Loop: Header=BB949_213 Depth=1
	v_and_b32_e32 v44, 7, v40
	v_ffbh_u32_e32 v46, v44
	v_min_u32_e32 v49, 32, v46
	v_subrev_u32_e32 v46, 28, v49
	v_lshlrev_b64 v[46:47], v46, v[40:41]
	v_lshrrev_b32_e32 v48, 3, v42
	v_sub_u32_e32 v47, 29, v49
	v_and_b32_e32 v46, 7, v46
	v_cmp_gt_u32_e32 vcc, 8, v42
	v_cndmask_b32_e32 v42, v48, v47, vcc
	v_cndmask_b32_e32 v44, v44, v46, vcc
	v_lshlrev_b32_e32 v46, 24, v40
	v_lshlrev_b32_e32 v44, 20, v44
	v_and_b32_e32 v46, 0x80000000, v46
	v_lshl_add_u32 v42, v42, 23, v45
	v_or3_b32 v42, v46, v42, v44
	v_lshrrev_b32_e32 v46, 16, v42
.LBB949_553:                            ;   in Loop: Header=BB949_213 Depth=1
	s_or_b64 exec, exec, s[16:17]
.LBB949_554:                            ;   in Loop: Header=BB949_213 Depth=1
	s_or_b64 exec, exec, s[14:15]
.LBB949_555:                            ;   in Loop: Header=BB949_213 Depth=1
	s_or_b64 exec, exec, s[12:13]
	v_lshrrev_b16_e32 v42, 8, v40
	v_cmp_ne_u16_e32 vcc, 0, v42
	v_mov_b32_e32 v47, 0
	v_mov_b32_e32 v44, 0
	s_and_saveexec_b64 s[12:13], vcc
	s_cbranch_execz .LBB949_561
; %bb.556:                              ;   in Loop: Header=BB949_213 Depth=1
	v_cmp_ne_u16_e32 vcc, s9, v42
	v_mov_b32_e32 v44, 0xffff8000
	s_and_saveexec_b64 s[14:15], vcc
	s_cbranch_execz .LBB949_560
; %bb.557:                              ;   in Loop: Header=BB949_213 Depth=1
	v_and_b32_e32 v48, 0x7f, v42
	v_cmp_ne_u32_e32 vcc, s21, v48
	v_mov_b32_e32 v44, 0x7f80
	s_and_saveexec_b64 s[16:17], vcc
	s_cbranch_execz .LBB949_559
; %bb.558:                              ;   in Loop: Header=BB949_213 Depth=1
	v_and_b32_e32 v44, 7, v42
	v_ffbh_u32_e32 v57, v44
	v_min_u32_e32 v57, 32, v57
	v_subrev_u32_e32 v58, 28, v57
	v_lshlrev_b64 v[58:59], v58, v[42:43]
	v_lshrrev_b32_e32 v49, 3, v48
	v_sub_u32_e32 v42, 29, v57
	v_and_b32_e32 v57, 7, v58
	v_cmp_gt_u32_e32 vcc, 8, v48
	v_cndmask_b32_e32 v42, v49, v42, vcc
	v_cndmask_b32_e32 v44, v44, v57, vcc
	v_lshlrev_b32_e32 v48, 16, v40
	v_lshlrev_b32_e32 v44, 20, v44
	v_and_b32_e32 v48, 0x80000000, v48
	v_lshl_add_u32 v42, v42, 23, v45
	v_or3_b32 v42, v48, v42, v44
	v_lshrrev_b32_e32 v44, 16, v42
.LBB949_559:                            ;   in Loop: Header=BB949_213 Depth=1
	s_or_b64 exec, exec, s[16:17]
.LBB949_560:                            ;   in Loop: Header=BB949_213 Depth=1
	s_or_b64 exec, exec, s[14:15]
.LBB949_561:                            ;   in Loop: Header=BB949_213 Depth=1
	s_or_b64 exec, exec, s[12:13]
	v_lshrrev_b32_e32 v42, 16, v40
	v_cmp_ne_u16_sdwa s[14:15], v42, v43 src0_sel:BYTE_0 src1_sel:DWORD
	s_and_saveexec_b64 s[12:13], s[14:15]
	s_cbranch_execz .LBB949_567
; %bb.562:                              ;   in Loop: Header=BB949_213 Depth=1
	v_cmp_ne_u16_sdwa s[16:17], v42, s9 src0_sel:BYTE_0 src1_sel:DWORD
	v_mov_b32_e32 v47, 0xffff8000
	s_and_saveexec_b64 s[14:15], s[16:17]
	s_cbranch_execz .LBB949_566
; %bb.563:                              ;   in Loop: Header=BB949_213 Depth=1
	v_bfe_u32 v48, v40, 16, 7
	v_cmp_ne_u32_e32 vcc, s21, v48
	v_mov_b32_e32 v47, 0x7f80
	s_and_saveexec_b64 s[16:17], vcc
	s_cbranch_execz .LBB949_565
; %bb.564:                              ;   in Loop: Header=BB949_213 Depth=1
	v_and_b32_e32 v47, 7, v42
	v_ffbh_u32_e32 v57, v47
	v_min_u32_e32 v57, 32, v57
	v_subrev_u32_e32 v58, 28, v57
	v_lshlrev_b64 v[58:59], v58, v[42:43]
	v_lshrrev_b32_e32 v49, 3, v48
	v_sub_u32_e32 v57, 29, v57
	v_and_b32_e32 v58, 7, v58
	v_cmp_gt_u32_e32 vcc, 8, v48
	v_cndmask_b32_e32 v48, v49, v57, vcc
	v_cndmask_b32_e32 v47, v47, v58, vcc
	v_lshlrev_b32_e32 v42, 24, v42
	v_lshlrev_b32_e32 v47, 20, v47
	v_and_b32_e32 v42, 0x80000000, v42
	v_lshl_add_u32 v48, v48, 23, v45
	v_or3_b32 v42, v42, v48, v47
	v_lshrrev_b32_e32 v47, 16, v42
.LBB949_565:                            ;   in Loop: Header=BB949_213 Depth=1
	s_or_b64 exec, exec, s[16:17]
.LBB949_566:                            ;   in Loop: Header=BB949_213 Depth=1
	s_or_b64 exec, exec, s[14:15]
.LBB949_567:                            ;   in Loop: Header=BB949_213 Depth=1
	s_or_b64 exec, exec, s[12:13]
	v_cmp_lt_u32_e32 vcc, s22, v40
	v_mov_b32_e32 v48, 0
	v_mov_b32_e32 v49, 0
	s_and_saveexec_b64 s[12:13], vcc
	s_cbranch_execz .LBB949_573
; %bb.568:                              ;   in Loop: Header=BB949_213 Depth=1
	v_lshrrev_b32_e32 v42, 24, v40
	v_cmp_ne_u32_e32 vcc, s9, v42
	v_mov_b32_e32 v49, 0xffff8000
	s_and_saveexec_b64 s[14:15], vcc
	s_cbranch_execz .LBB949_572
; %bb.569:                              ;   in Loop: Header=BB949_213 Depth=1
	v_bfe_u32 v40, v40, 24, 7
	v_cmp_ne_u32_e32 vcc, s21, v40
	v_mov_b32_e32 v49, 0x7f80
	s_and_saveexec_b64 s[16:17], vcc
	s_cbranch_execz .LBB949_571
; %bb.570:                              ;   in Loop: Header=BB949_213 Depth=1
	v_and_b32_e32 v49, 7, v42
	v_ffbh_u32_e32 v58, v49
	v_min_u32_e32 v60, 32, v58
	v_subrev_u32_e32 v58, 28, v60
	v_lshlrev_b64 v[58:59], v58, v[42:43]
	v_lshrrev_b32_e32 v57, 3, v40
	v_sub_u32_e32 v59, 29, v60
	v_and_b32_e32 v58, 7, v58
	v_cmp_gt_u32_e32 vcc, 8, v40
	v_cndmask_b32_e32 v40, v57, v59, vcc
	v_cndmask_b32_e32 v49, v49, v58, vcc
	v_lshlrev_b32_e32 v42, 24, v42
	v_lshlrev_b32_e32 v49, 20, v49
	v_and_b32_e32 v42, 0x80000000, v42
	v_lshl_add_u32 v40, v40, 23, v45
	v_or3_b32 v40, v42, v40, v49
	v_lshrrev_b32_e32 v49, 16, v40
.LBB949_571:                            ;   in Loop: Header=BB949_213 Depth=1
	s_or_b64 exec, exec, s[16:17]
.LBB949_572:                            ;   in Loop: Header=BB949_213 Depth=1
	s_or_b64 exec, exec, s[14:15]
.LBB949_573:                            ;   in Loop: Header=BB949_213 Depth=1
	s_or_b64 exec, exec, s[12:13]
	s_waitcnt vmcnt(0)
	v_cmp_ne_u16_sdwa s[14:15], v38, v43 src0_sel:BYTE_0 src1_sel:DWORD
	s_and_saveexec_b64 s[12:13], s[14:15]
	s_cbranch_execz .LBB949_579
; %bb.574:                              ;   in Loop: Header=BB949_213 Depth=1
	v_cmp_ne_u16_sdwa s[16:17], v38, s9 src0_sel:BYTE_0 src1_sel:DWORD
	v_mov_b32_e32 v48, 0xffff8000
	s_and_saveexec_b64 s[14:15], s[16:17]
	s_cbranch_execz .LBB949_578
; %bb.575:                              ;   in Loop: Header=BB949_213 Depth=1
	v_and_b32_e32 v40, 0x7f, v38
	v_cmp_ne_u32_e32 vcc, s21, v40
	v_mov_b32_e32 v48, 0x7f80
	s_and_saveexec_b64 s[16:17], vcc
	s_cbranch_execz .LBB949_577
; %bb.576:                              ;   in Loop: Header=BB949_213 Depth=1
	v_and_b32_e32 v42, 7, v38
	v_ffbh_u32_e32 v57, v42
	v_min_u32_e32 v57, 32, v57
	v_subrev_u32_e32 v58, 28, v57
	v_lshlrev_b64 v[58:59], v58, v[38:39]
	v_lshrrev_b32_e32 v48, 3, v40
	v_sub_u32_e32 v57, 29, v57
	v_and_b32_e32 v58, 7, v58
	v_cmp_gt_u32_e32 vcc, 8, v40
	v_cndmask_b32_e32 v40, v48, v57, vcc
	v_cndmask_b32_e32 v42, v42, v58, vcc
	v_lshlrev_b32_e32 v48, 24, v38
	v_lshlrev_b32_e32 v42, 20, v42
	v_and_b32_e32 v48, 0x80000000, v48
	v_lshl_add_u32 v40, v40, 23, v45
	v_or3_b32 v40, v48, v40, v42
	v_lshrrev_b32_e32 v48, 16, v40
.LBB949_577:                            ;   in Loop: Header=BB949_213 Depth=1
	s_or_b64 exec, exec, s[16:17]
.LBB949_578:                            ;   in Loop: Header=BB949_213 Depth=1
	s_or_b64 exec, exec, s[14:15]
.LBB949_579:                            ;   in Loop: Header=BB949_213 Depth=1
	s_or_b64 exec, exec, s[12:13]
	v_lshrrev_b16_e32 v40, 8, v38
	v_cmp_ne_u16_e32 vcc, 0, v40
	v_mov_b32_e32 v57, 0
	v_mov_b32_e32 v42, 0
	s_and_saveexec_b64 s[12:13], vcc
	s_cbranch_execz .LBB949_585
; %bb.580:                              ;   in Loop: Header=BB949_213 Depth=1
	v_cmp_ne_u16_e32 vcc, s9, v40
	v_mov_b32_e32 v42, 0xffff8000
	s_and_saveexec_b64 s[14:15], vcc
	s_cbranch_execz .LBB949_584
; %bb.581:                              ;   in Loop: Header=BB949_213 Depth=1
	v_and_b32_e32 v58, 0x7f, v40
	v_cmp_ne_u32_e32 vcc, s21, v58
	v_mov_b32_e32 v42, 0x7f80
	s_and_saveexec_b64 s[16:17], vcc
	s_cbranch_execz .LBB949_583
; %bb.582:                              ;   in Loop: Header=BB949_213 Depth=1
	v_and_b32_e32 v42, 7, v40
	v_ffbh_u32_e32 v60, v42
	v_min_u32_e32 v62, 32, v60
	v_subrev_u32_e32 v60, 28, v62
	v_lshlrev_b64 v[60:61], v60, v[40:41]
	v_lshrrev_b32_e32 v59, 3, v58
	v_sub_u32_e32 v40, 29, v62
	v_and_b32_e32 v60, 7, v60
	v_cmp_gt_u32_e32 vcc, 8, v58
	v_cndmask_b32_e32 v40, v59, v40, vcc
	v_cndmask_b32_e32 v42, v42, v60, vcc
	v_lshlrev_b32_e32 v58, 16, v38
	v_lshlrev_b32_e32 v42, 20, v42
	v_and_b32_e32 v58, 0x80000000, v58
	v_lshl_add_u32 v40, v40, 23, v45
	v_or3_b32 v40, v58, v40, v42
	v_lshrrev_b32_e32 v42, 16, v40
.LBB949_583:                            ;   in Loop: Header=BB949_213 Depth=1
	s_or_b64 exec, exec, s[16:17]
.LBB949_584:                            ;   in Loop: Header=BB949_213 Depth=1
	s_or_b64 exec, exec, s[14:15]
.LBB949_585:                            ;   in Loop: Header=BB949_213 Depth=1
	s_or_b64 exec, exec, s[12:13]
	v_lshrrev_b32_e32 v40, 16, v38
	v_cmp_ne_u16_sdwa s[14:15], v40, v43 src0_sel:BYTE_0 src1_sel:DWORD
	s_and_saveexec_b64 s[12:13], s[14:15]
	s_cbranch_execz .LBB949_591
; %bb.586:                              ;   in Loop: Header=BB949_213 Depth=1
	v_cmp_ne_u16_sdwa s[16:17], v40, s9 src0_sel:BYTE_0 src1_sel:DWORD
	v_mov_b32_e32 v57, 0xffff8000
	s_and_saveexec_b64 s[14:15], s[16:17]
	s_cbranch_execz .LBB949_590
; %bb.587:                              ;   in Loop: Header=BB949_213 Depth=1
	v_bfe_u32 v58, v38, 16, 7
	v_cmp_ne_u32_e32 vcc, s21, v58
	v_mov_b32_e32 v57, 0x7f80
	s_and_saveexec_b64 s[16:17], vcc
	s_cbranch_execz .LBB949_589
; %bb.588:                              ;   in Loop: Header=BB949_213 Depth=1
	v_and_b32_e32 v57, 7, v40
	v_ffbh_u32_e32 v60, v57
	v_min_u32_e32 v62, 32, v60
	v_subrev_u32_e32 v60, 28, v62
	v_lshlrev_b64 v[60:61], v60, v[40:41]
	v_lshrrev_b32_e32 v59, 3, v58
	v_sub_u32_e32 v61, 29, v62
	v_and_b32_e32 v60, 7, v60
	v_cmp_gt_u32_e32 vcc, 8, v58
	v_cndmask_b32_e32 v58, v59, v61, vcc
	v_cndmask_b32_e32 v57, v57, v60, vcc
	v_lshlrev_b32_e32 v40, 24, v40
	v_lshlrev_b32_e32 v57, 20, v57
	v_and_b32_e32 v40, 0x80000000, v40
	v_lshl_add_u32 v58, v58, 23, v45
	v_or3_b32 v40, v40, v58, v57
	v_lshrrev_b32_e32 v57, 16, v40
.LBB949_589:                            ;   in Loop: Header=BB949_213 Depth=1
	s_or_b64 exec, exec, s[16:17]
.LBB949_590:                            ;   in Loop: Header=BB949_213 Depth=1
	s_or_b64 exec, exec, s[14:15]
.LBB949_591:                            ;   in Loop: Header=BB949_213 Depth=1
	s_or_b64 exec, exec, s[12:13]
	v_cmp_lt_u32_e32 vcc, s22, v38
	v_mov_b32_e32 v58, 0
	s_and_saveexec_b64 s[12:13], vcc
	s_cbranch_execz .LBB949_212
; %bb.592:                              ;   in Loop: Header=BB949_213 Depth=1
	v_lshrrev_b32_e32 v40, 24, v38
	v_cmp_ne_u32_e32 vcc, s9, v40
	v_mov_b32_e32 v58, 0xffff8000
	s_and_saveexec_b64 s[14:15], vcc
	s_cbranch_execz .LBB949_211
; %bb.593:                              ;   in Loop: Header=BB949_213 Depth=1
	v_bfe_u32 v38, v38, 24, 7
	v_cmp_ne_u32_e32 vcc, s21, v38
	v_mov_b32_e32 v58, 0x7f80
	s_and_saveexec_b64 s[16:17], vcc
	s_cbranch_execz .LBB949_210
; %bb.594:                              ;   in Loop: Header=BB949_213 Depth=1
	v_and_b32_e32 v60, 7, v40
	v_ffbh_u32_e32 v58, v60
	v_min_u32_e32 v62, 32, v58
	v_subrev_u32_e32 v58, 28, v62
	v_lshlrev_b64 v[58:59], v58, v[40:41]
	v_lshrrev_b32_e32 v61, 3, v38
	v_sub_u32_e32 v59, 29, v62
	v_and_b32_e32 v58, 7, v58
	v_cmp_gt_u32_e32 vcc, 8, v38
	v_cndmask_b32_e32 v38, v61, v59, vcc
	v_cndmask_b32_e32 v58, v60, v58, vcc
	v_lshlrev_b32_e32 v40, 24, v40
	v_lshlrev_b32_e32 v58, 20, v58
	v_and_b32_e32 v40, 0x80000000, v40
	v_lshl_add_u32 v38, v38, 23, v45
	v_or3_b32 v38, v40, v38, v58
	v_lshrrev_b32_e32 v58, 16, v38
	s_branch .LBB949_210
.LBB949_595:
	s_barrier
	buffer_load_dword v2, off, s[0:3], 0 offset:320
	buffer_load_dword v5, off, s[0:3], 0 offset:332
	;; [unrolled: 1-line block ×4, first 2 shown]
	v_cmp_gt_u32_e32 vcc, 64, v0
	s_waitcnt vmcnt(0)
	ds_write2st64_b64 v39, v[2:3], v[4:5] offset1:1
	s_waitcnt lgkmcnt(0)
	s_barrier
	s_and_saveexec_b64 s[4:5], vcc
	s_cbranch_execz .LBB949_597
; %bb.596:
	s_lshl_b32 s6, s50, 7
	s_mul_i32 s4, s18, s8
	s_mul_hi_u32 s5, s4, s6
	s_mul_i32 s4, s4, s6
	s_lshl_b64 s[4:5], s[4:5], 1
	s_add_u32 s7, s48, s4
	v_lshlrev_b32_e32 v4, 6, v51
	s_addc_u32 s8, s49, s5
	s_lshl_b32 s4, s24, 7
	s_mov_b32 s5, 0
	v_lshl_or_b32 v0, v0, 10, v4
	s_lshl_b64 s[4:5], s[4:5], 1
	v_lshlrev_b32_e32 v2, 5, v1
	v_and_b32_e32 v3, 16, v52
	v_and_b32_e32 v0, 0x1a00, v0
	s_add_u32 s4, s7, s4
	v_or3_b32 v0, v0, v2, v3
	s_addc_u32 s5, s8, s5
	ds_read_b128 v[2:5], v0
	ds_read_b128 v[6:9], v0 offset:128
	v_mov_b32_e32 v0, s5
	v_add_co_u32_e32 v10, vcc, s4, v50
	v_or_b32_e32 v12, s25, v1
	v_addc_co_u32_e32 v11, vcc, 0, v0, vcc
	v_mad_u64_u32 v[0:1], s[4:5], v12, s6, 0
	v_lshlrev_b64 v[0:1], 1, v[0:1]
	v_add_co_u32_e32 v0, vcc, v10, v0
	v_addc_co_u32_e32 v1, vcc, v11, v1, vcc
	s_waitcnt lgkmcnt(1)
	global_store_dwordx4 v[0:1], v[2:5], off
	v_or_b32_e32 v0, 4, v12
	v_mad_u64_u32 v[0:1], s[4:5], v0, s6, 0
	v_lshlrev_b64 v[0:1], 1, v[0:1]
	v_add_co_u32_e32 v0, vcc, v10, v0
	v_addc_co_u32_e32 v1, vcc, v11, v1, vcc
	s_waitcnt lgkmcnt(0)
	global_store_dwordx4 v[0:1], v[6:9], off
.LBB949_597:
	s_endpgm
	.section	.rodata,"a",@progbits
	.p2align	6, 0x0
	.amdhsa_kernel _Z39paged_attention_ll4mi_QKV_mfma16_kernelI14__hip_bfloat16hLN4vllm18Fp8KVCacheDataTypeE1ES0_Li32ELi128ELi256ELb0ELi8EL8MFMAType0EEvPKT_PKT0_S9_ifPKiSB_SB_iPKfiiiPfSE_PS4_PT2_iSD_SD_
		.amdhsa_group_segment_fixed_size 8192
		.amdhsa_private_segment_fixed_size 352
		.amdhsa_kernarg_size 400
		.amdhsa_user_sgpr_count 8
		.amdhsa_user_sgpr_private_segment_buffer 1
		.amdhsa_user_sgpr_dispatch_ptr 0
		.amdhsa_user_sgpr_queue_ptr 0
		.amdhsa_user_sgpr_kernarg_segment_ptr 1
		.amdhsa_user_sgpr_dispatch_id 0
		.amdhsa_user_sgpr_flat_scratch_init 1
		.amdhsa_user_sgpr_kernarg_preload_length 0
		.amdhsa_user_sgpr_kernarg_preload_offset 0
		.amdhsa_user_sgpr_private_segment_size 0
		.amdhsa_uses_dynamic_stack 0
		.amdhsa_system_sgpr_private_segment_wavefront_offset 1
		.amdhsa_system_sgpr_workgroup_id_x 1
		.amdhsa_system_sgpr_workgroup_id_y 1
		.amdhsa_system_sgpr_workgroup_id_z 1
		.amdhsa_system_sgpr_workgroup_info 0
		.amdhsa_system_vgpr_workitem_id 0
		.amdhsa_next_free_vgpr 80
		.amdhsa_next_free_sgpr 53
		.amdhsa_accum_offset 80
		.amdhsa_reserve_vcc 1
		.amdhsa_reserve_flat_scratch 0
		.amdhsa_float_round_mode_32 0
		.amdhsa_float_round_mode_16_64 0
		.amdhsa_float_denorm_mode_32 3
		.amdhsa_float_denorm_mode_16_64 3
		.amdhsa_dx10_clamp 1
		.amdhsa_ieee_mode 1
		.amdhsa_fp16_overflow 0
		.amdhsa_tg_split 0
		.amdhsa_exception_fp_ieee_invalid_op 0
		.amdhsa_exception_fp_denorm_src 0
		.amdhsa_exception_fp_ieee_div_zero 0
		.amdhsa_exception_fp_ieee_overflow 0
		.amdhsa_exception_fp_ieee_underflow 0
		.amdhsa_exception_fp_ieee_inexact 0
		.amdhsa_exception_int_div_zero 0
	.end_amdhsa_kernel
	.section	.text._Z39paged_attention_ll4mi_QKV_mfma16_kernelI14__hip_bfloat16hLN4vllm18Fp8KVCacheDataTypeE1ES0_Li32ELi128ELi256ELb0ELi8EL8MFMAType0EEvPKT_PKT0_S9_ifPKiSB_SB_iPKfiiiPfSE_PS4_PT2_iSD_SD_,"axG",@progbits,_Z39paged_attention_ll4mi_QKV_mfma16_kernelI14__hip_bfloat16hLN4vllm18Fp8KVCacheDataTypeE1ES0_Li32ELi128ELi256ELb0ELi8EL8MFMAType0EEvPKT_PKT0_S9_ifPKiSB_SB_iPKfiiiPfSE_PS4_PT2_iSD_SD_,comdat
.Lfunc_end949:
	.size	_Z39paged_attention_ll4mi_QKV_mfma16_kernelI14__hip_bfloat16hLN4vllm18Fp8KVCacheDataTypeE1ES0_Li32ELi128ELi256ELb0ELi8EL8MFMAType0EEvPKT_PKT0_S9_ifPKiSB_SB_iPKfiiiPfSE_PS4_PT2_iSD_SD_, .Lfunc_end949-_Z39paged_attention_ll4mi_QKV_mfma16_kernelI14__hip_bfloat16hLN4vllm18Fp8KVCacheDataTypeE1ES0_Li32ELi128ELi256ELb0ELi8EL8MFMAType0EEvPKT_PKT0_S9_ifPKiSB_SB_iPKfiiiPfSE_PS4_PT2_iSD_SD_
                                        ; -- End function
	.section	.AMDGPU.csdata,"",@progbits
; Kernel info:
; codeLenInByte = 22232
; NumSgprs: 57
; NumVgprs: 80
; NumAgprs: 0
; TotalNumVgprs: 80
; ScratchSize: 352
; MemoryBound: 0
; FloatMode: 240
; IeeeMode: 1
; LDSByteSize: 8192 bytes/workgroup (compile time only)
; SGPRBlocks: 7
; VGPRBlocks: 9
; NumSGPRsForWavesPerEU: 57
; NumVGPRsForWavesPerEU: 80
; AccumOffset: 80
; Occupancy: 6
; WaveLimiterHint : 1
; COMPUTE_PGM_RSRC2:SCRATCH_EN: 1
; COMPUTE_PGM_RSRC2:USER_SGPR: 8
; COMPUTE_PGM_RSRC2:TRAP_HANDLER: 0
; COMPUTE_PGM_RSRC2:TGID_X_EN: 1
; COMPUTE_PGM_RSRC2:TGID_Y_EN: 1
; COMPUTE_PGM_RSRC2:TGID_Z_EN: 1
; COMPUTE_PGM_RSRC2:TIDIG_COMP_CNT: 0
; COMPUTE_PGM_RSRC3_GFX90A:ACCUM_OFFSET: 19
; COMPUTE_PGM_RSRC3_GFX90A:TG_SPLIT: 0
	.section	.text._Z39paged_attention_ll4mi_QKV_mfma16_kernelI14__hip_bfloat16hLN4vllm18Fp8KVCacheDataTypeE1ES0_Li32ELi128ELi256ELb0ELi9EL8MFMAType0EEvPKT_PKT0_S9_ifPKiSB_SB_iPKfiiiPfSE_PS4_PT2_iSD_SD_,"axG",@progbits,_Z39paged_attention_ll4mi_QKV_mfma16_kernelI14__hip_bfloat16hLN4vllm18Fp8KVCacheDataTypeE1ES0_Li32ELi128ELi256ELb0ELi9EL8MFMAType0EEvPKT_PKT0_S9_ifPKiSB_SB_iPKfiiiPfSE_PS4_PT2_iSD_SD_,comdat
	.protected	_Z39paged_attention_ll4mi_QKV_mfma16_kernelI14__hip_bfloat16hLN4vllm18Fp8KVCacheDataTypeE1ES0_Li32ELi128ELi256ELb0ELi9EL8MFMAType0EEvPKT_PKT0_S9_ifPKiSB_SB_iPKfiiiPfSE_PS4_PT2_iSD_SD_ ; -- Begin function _Z39paged_attention_ll4mi_QKV_mfma16_kernelI14__hip_bfloat16hLN4vllm18Fp8KVCacheDataTypeE1ES0_Li32ELi128ELi256ELb0ELi9EL8MFMAType0EEvPKT_PKT0_S9_ifPKiSB_SB_iPKfiiiPfSE_PS4_PT2_iSD_SD_
	.globl	_Z39paged_attention_ll4mi_QKV_mfma16_kernelI14__hip_bfloat16hLN4vllm18Fp8KVCacheDataTypeE1ES0_Li32ELi128ELi256ELb0ELi9EL8MFMAType0EEvPKT_PKT0_S9_ifPKiSB_SB_iPKfiiiPfSE_PS4_PT2_iSD_SD_
	.p2align	8
	.type	_Z39paged_attention_ll4mi_QKV_mfma16_kernelI14__hip_bfloat16hLN4vllm18Fp8KVCacheDataTypeE1ES0_Li32ELi128ELi256ELb0ELi9EL8MFMAType0EEvPKT_PKT0_S9_ifPKiSB_SB_iPKfiiiPfSE_PS4_PT2_iSD_SD_,@function
_Z39paged_attention_ll4mi_QKV_mfma16_kernelI14__hip_bfloat16hLN4vllm18Fp8KVCacheDataTypeE1ES0_Li32ELi128ELi256ELb0ELi9EL8MFMAType0EEvPKT_PKT0_S9_ifPKiSB_SB_iPKfiiiPfSE_PS4_PT2_iSD_SD_: ; @_Z39paged_attention_ll4mi_QKV_mfma16_kernelI14__hip_bfloat16hLN4vllm18Fp8KVCacheDataTypeE1ES0_Li32ELi128ELi256ELb0ELi9EL8MFMAType0EEvPKT_PKT0_S9_ifPKiSB_SB_iPKfiiiPfSE_PS4_PT2_iSD_SD_
; %bb.0:
	s_load_dwordx2 s[6:7], s[4:5], 0x30
	s_add_u32 s0, s0, s11
	s_addc_u32 s1, s1, 0
	s_mov_b32 s24, s9
	s_mov_b64 s[12:13], 0
	s_waitcnt lgkmcnt(0)
	s_cmp_lg_u64 s[6:7], 0
	s_cselect_b64 s[16:17], -1, 0
	s_and_b64 vcc, exec, s[16:17]
	s_cbranch_vccz .LBB950_7
; %bb.1:
	s_add_i32 s14, s8, 1
	s_mov_b32 s15, 0
	s_lshl_b64 s[18:19], s[14:15], 2
	s_add_u32 s18, s6, s18
	s_mov_b32 s9, s15
	s_addc_u32 s19, s7, s19
	s_lshl_b64 s[14:15], s[8:9], 2
	s_add_u32 s14, s6, s14
	s_addc_u32 s15, s7, s15
	s_load_dword s11, s[18:19], 0x0
	s_load_dword s20, s[14:15], 0x0
	s_waitcnt lgkmcnt(0)
	s_sub_i32 s11, s11, s20
	s_cmp_eq_u32 s11, 1
	s_cselect_b64 s[14:15], -1, 0
	s_andn2_b64 vcc, exec, s[12:13]
	s_cbranch_vccnz .LBB950_3
.LBB950_2:
	s_mov_b32 s9, 0
	s_mov_b64 s[14:15], -1
.LBB950_3:
	s_andn2_b64 vcc, exec, s[14:15]
	s_cbranch_vccnz .LBB950_598
; %bb.4:
	s_load_dwordx2 s[12:13], s[4:5], 0x28
	s_lshl_b64 s[18:19], s[8:9], 2
	s_waitcnt lgkmcnt(0)
	s_add_u32 s12, s12, s18
	s_addc_u32 s13, s13, s19
	s_load_dword s33, s[12:13], 0x0
	s_lshl_b32 s20, s24, 8
	s_waitcnt lgkmcnt(0)
	s_cmp_ge_i32 s20, s33
	s_cbranch_scc1 .LBB950_598
; %bb.5:
	s_add_i32 s14, s33, 31
	s_load_dwordx2 s[12:13], s[4:5], 0x20
	s_load_dword s11, s[4:5], 0x38
	s_ashr_i32 s15, s14, 31
	v_and_b32_e32 v1, 0xcf, v0
	s_lshr_b32 s15, s15, 27
	v_add_u32_e32 v1, s20, v1
	s_add_i32 s14, s14, s15
	v_ashrrev_i32_e32 v2, 31, v1
	s_ashr_i32 s22, s14, 5
	v_lshrrev_b32_e32 v10, 27, v2
	s_add_i32 s22, s22, -1
	v_add_u32_e32 v2, v1, v10
	s_waitcnt lgkmcnt(0)
	s_mul_i32 s14, s8, s11
	s_mov_b32 s15, 0
	v_ashrrev_i32_e32 v2, 5, v2
	v_mov_b32_e32 v11, s22
	v_cmp_gt_i32_e32 vcc, s33, v1
	s_lshl_b64 s[14:15], s[14:15], 2
	v_cndmask_b32_e32 v2, v11, v2, vcc
	s_add_u32 s11, s12, s14
	v_ashrrev_i32_e32 v3, 31, v2
	s_addc_u32 s21, s13, s15
	v_lshlrev_b64 v[2:3], 2, v[2:3]
	v_mov_b32_e32 v5, s21
	v_add_co_u32_e32 v4, vcc, s11, v2
	v_or_b32_e32 v2, 16, v1
	v_addc_co_u32_e32 v5, vcc, v5, v3, vcc
	v_add_u32_e32 v3, v2, v10
	v_ashrrev_i32_e32 v3, 5, v3
	v_cmp_gt_i32_e32 vcc, s33, v2
	v_cndmask_b32_e32 v2, v11, v3, vcc
	v_ashrrev_i32_e32 v3, 31, v2
	v_lshlrev_b64 v[2:3], 2, v[2:3]
	v_mov_b32_e32 v7, s21
	v_add_co_u32_e32 v6, vcc, s11, v2
	v_or_b32_e32 v2, 32, v1
	v_addc_co_u32_e32 v7, vcc, v7, v3, vcc
	v_add_u32_e32 v3, v2, v10
	v_ashrrev_i32_e32 v3, 5, v3
	v_cmp_gt_i32_e32 vcc, s33, v2
	v_cndmask_b32_e32 v2, v11, v3, vcc
	v_ashrrev_i32_e32 v3, 31, v2
	;; [unrolled: 10-line block ×3, first 2 shown]
	v_lshlrev_b64 v[2:3], 2, v[2:3]
	v_mov_b32_e32 v1, s21
	v_add_co_u32_e32 v12, vcc, s11, v2
	v_addc_co_u32_e32 v13, vcc, v1, v3, vcc
	global_load_dword v2, v[4:5], off
	global_load_dword v10, v[6:7], off
	;; [unrolled: 1-line block ×4, first 2 shown]
	s_load_dwordx4 s[12:15], s[4:5], 0x8
	s_andn2_b64 vcc, exec, s[16:17]
	s_cbranch_vccnz .LBB950_8
; %bb.6:
	s_add_u32 s6, s6, s18
	s_addc_u32 s7, s7, s19
	s_load_dword s16, s[6:7], 0x0
	s_branch .LBB950_9
.LBB950_7:
	s_mov_b64 s[14:15], 0
	s_branch .LBB950_2
.LBB950_8:
	s_mov_b32 s16, s8
.LBB950_9:
	s_load_dwordx2 s[48:49], s[4:5], 0x68
	s_load_dwordx8 s[40:47], s[4:5], 0x48
	v_lshrrev_b32_e32 v62, 6, v0
	v_bfe_u32 v1, v0, 4, 2
	v_and_b32_e32 v55, 15, v0
	v_lshl_or_b32 v3, v62, 2, v1
	v_lshlrev_b32_e32 v4, 3, v55
	s_mul_i32 s25, s10, 9
	v_cmp_gt_u32_e32 vcc, 9, v3
	v_lshlrev_b32_e32 v54, 1, v4
	v_lshlrev_b32_e32 v56, 4, v0
	s_and_saveexec_b64 s[6:7], vcc
	s_cbranch_execz .LBB950_11
; %bb.10:
	s_load_dwordx2 s[18:19], s[4:5], 0x0
	s_waitcnt lgkmcnt(0)
	s_ashr_i32 s17, s40, 31
	s_mul_hi_u32 s23, s16, s40
	s_mul_i32 s17, s16, s17
	s_add_i32 s17, s23, s17
	s_mul_i32 s16, s16, s40
	s_lshl_b64 s[16:17], s[16:17], 1
	v_add_lshl_u32 v4, v3, s25, 7
	s_add_u32 s16, s18, s16
	v_ashrrev_i32_e32 v5, 31, v4
	s_addc_u32 s17, s19, s17
	v_lshlrev_b64 v[4:5], 1, v[4:5]
	v_mov_b32_e32 v6, s17
	v_add_co_u32_e32 v4, vcc, s16, v4
	v_addc_co_u32_e32 v5, vcc, v6, v5, vcc
	v_add_co_u32_e32 v4, vcc, v4, v54
	v_addc_co_u32_e32 v5, vcc, 0, v5, vcc
	global_load_dwordx4 v[4:7], v[4:5], off
	v_lshlrev_b32_e32 v9, 8, v0
	v_lshlrev_b32_e32 v8, 8, v55
	v_and_b32_e32 v9, 0x600, v9
	s_movk_i32 s16, 0x800
	v_and_or_b32 v8, v8, s16, v9
	v_lshlrev_b32_e32 v3, 5, v3
	v_and_b32_e32 v9, 16, v56
	v_or3_b32 v3, v8, v3, v9
	s_waitcnt vmcnt(0)
	ds_write_b128 v3, v[4:7]
.LBB950_11:
	s_or_b64 exec, exec, s[6:7]
	s_waitcnt lgkmcnt(0)
	s_mul_i32 s10, s10, s42
	s_add_u32 s6, s12, s10
	s_addc_u32 s7, s13, 0
	v_and_b32_e32 v3, 48, v0
	v_pk_mov_b32 v[22:23], s[6:7], s[6:7] op_sel:[0,1]
	s_ashr_i32 s6, s20, 31
	v_lshlrev_b32_e32 v25, 5, v3
	v_or_b32_e32 v3, s20, v3
	s_lshr_b32 s6, s6, 27
	v_add_u32_e32 v4, s6, v3
	v_ashrrev_i32_e32 v4, 5, v4
	v_mov_b32_e32 v11, s22
	v_cmp_gt_i32_e32 vcc, s33, v3
	v_cndmask_b32_e32 v4, v11, v4, vcc
	v_ashrrev_i32_e32 v5, 31, v4
	v_lshlrev_b64 v[4:5], 2, v[4:5]
	v_mov_b32_e32 v6, s21
	v_add_co_u32_e32 v4, vcc, s11, v4
	v_addc_co_u32_e32 v5, vcc, v6, v5, vcc
	v_or_b32_e32 v6, 64, v3
	v_add_u32_e32 v7, s6, v6
	v_ashrrev_i32_e32 v7, 5, v7
	v_cmp_gt_i32_e32 vcc, s33, v6
	v_cndmask_b32_e32 v6, v11, v7, vcc
	v_ashrrev_i32_e32 v7, 31, v6
	v_lshlrev_b64 v[6:7], 2, v[6:7]
	v_mov_b32_e32 v8, s21
	v_add_co_u32_e32 v6, vcc, s11, v6
	v_addc_co_u32_e32 v7, vcc, v8, v7, vcc
	v_or_b32_e32 v8, 0x80, v3
	v_add_u32_e32 v9, s6, v8
	v_ashrrev_i32_e32 v9, 5, v9
	v_cmp_gt_i32_e32 vcc, s33, v8
	v_cndmask_b32_e32 v8, v11, v9, vcc
	v_ashrrev_i32_e32 v9, 31, v8
	v_lshlrev_b64 v[8:9], 2, v[8:9]
	v_mov_b32_e32 v12, s21
	v_add_co_u32_e32 v8, vcc, s11, v8
	v_or_b32_e32 v3, 0xc0, v3
	s_load_dwordx2 s[50:51], s[4:5], 0x94
	s_waitcnt lgkmcnt(0)
	s_barrier
	v_addc_co_u32_e32 v9, vcc, v12, v9, vcc
	global_load_dword v50, v[4:5], off
	global_load_dword v57, v[6:7], off
	v_add_u32_e32 v4, s6, v3
	v_ashrrev_i32_e32 v4, 5, v4
	v_cmp_gt_i32_e32 vcc, s33, v3
	v_cndmask_b32_e32 v4, v11, v4, vcc
	v_ashrrev_i32_e32 v5, 31, v4
	v_lshlrev_b64 v[4:5], 2, v[4:5]
	v_mov_b32_e32 v3, s21
	v_add_co_u32_e32 v4, vcc, s11, v4
	v_addc_co_u32_e32 v5, vcc, v3, v5, vcc
	global_load_dword v64, v[8:9], off
	global_load_dword v65, v[4:5], off
	s_waitcnt vmcnt(7)
	v_mad_i64_i32 v[2:3], s[6:7], v2, s41, v[22:23]
	v_lshlrev_b32_e32 v26, 4, v55
	v_add_co_u32_e32 v2, vcc, v2, v26
	v_addc_co_u32_e32 v3, vcc, 0, v3, vcc
	v_add_co_u32_e32 v12, vcc, v2, v25
	v_addc_co_u32_e32 v13, vcc, 0, v3, vcc
	global_load_dwordx4 v[6:9], v[12:13], off
	global_load_dwordx4 v[2:5], v[12:13], off offset:2048
	s_waitcnt vmcnt(8)
	v_mad_i64_i32 v[10:11], s[6:7], v10, s41, v[22:23]
	v_or_b32_e32 v28, 0x100, v26
	v_add_co_u32_e32 v10, vcc, v10, v28
	v_addc_co_u32_e32 v11, vcc, 0, v11, vcc
	v_add_co_u32_e32 v20, vcc, v10, v25
	v_addc_co_u32_e32 v21, vcc, 0, v11, vcc
	s_waitcnt vmcnt(7)
	v_mad_i64_i32 v[18:19], s[6:7], v18, s41, v[22:23]
	v_add_co_u32_e32 v18, vcc, v18, v26
	v_addc_co_u32_e32 v19, vcc, 0, v19, vcc
	v_add_co_u32_e32 v26, vcc, v18, v25
	v_addc_co_u32_e32 v27, vcc, 0, v19, vcc
	s_waitcnt vmcnt(6)
	v_mad_i64_i32 v[22:23], s[6:7], v24, s41, v[22:23]
	v_add_co_u32_e32 v22, vcc, v22, v28
	v_addc_co_u32_e32 v23, vcc, 0, v23, vcc
	v_add_co_u32_e32 v30, vcc, v22, v25
	v_addc_co_u32_e32 v31, vcc, 0, v23, vcc
	s_add_u32 s6, s14, s10
	global_load_dwordx4 v[10:13], v[20:21], off
	global_load_dwordx4 v[14:17], v[20:21], off offset:2048
	global_load_dwordx4 v[38:41], v[26:27], off
	s_nop 0
	global_load_dwordx4 v[18:21], v[26:27], off offset:2048
	s_nop 0
	global_load_dwordx4 v[26:29], v[30:31], off
	global_load_dwordx4 v[22:25], v[30:31], off offset:2048
	s_addc_u32 s7, s15, 0
	v_and_b32_e32 v30, 16, v0
	v_mov_b32_e32 v31, s7
	v_add_co_u32_e32 v51, vcc, s6, v30
	v_lshl_or_b32 v63, v62, 4, v55
	v_addc_co_u32_e32 v52, vcc, 0, v31, vcc
	v_lshlrev_b32_e32 v53, 5, v63
	v_add_co_u32_e32 v42, vcc, v51, v53
	v_addc_co_u32_e32 v43, vcc, 0, v52, vcc
	v_or_b32_e32 v53, 0x800, v53
	v_add_co_u32_e32 v58, vcc, v51, v53
	v_addc_co_u32_e32 v59, vcc, 0, v52, vcc
	v_cmp_gt_u32_e32 vcc, 9, v55
	s_waitcnt vmcnt(11)
	v_mad_i64_i32 v[30:31], s[6:7], v50, s41, v[42:43]
	s_waitcnt vmcnt(10)
	v_mad_i64_i32 v[34:35], s[6:7], v57, s41, v[42:43]
	global_load_dwordx4 v[30:33], v[30:31], off
	v_mad_i64_i32 v[50:51], s[6:7], v50, s41, v[58:59]
	global_load_dwordx4 v[34:37], v[34:35], off
	v_mad_i64_i32 v[60:61], s[6:7], v57, s41, v[58:59]
	s_mov_b32 s12, 0
	s_movk_i32 s13, 0x80
	s_waitcnt vmcnt(11)
	v_mad_i64_i32 v[44:45], s[6:7], v64, s41, v[42:43]
	s_waitcnt vmcnt(10)
	v_mad_i64_i32 v[42:43], s[6:7], v65, s41, v[42:43]
	global_load_dwordx4 v[46:49], v[44:45], off
	s_nop 0
	global_load_dwordx4 v[42:45], v[42:43], off
	s_movk_i32 s14, 0x7f
	global_load_dwordx4 v[50:53], v[50:51], off
	s_mov_b32 s15, 0xffffff
	global_load_dwordx4 v[66:69], v[60:61], off
	s_mov_b32 s16, 0x5040100
	s_waitcnt vmcnt(13)
	buffer_store_dword v9, off, s[0:3], 0 offset:12
	buffer_store_dword v8, off, s[0:3], 0 offset:8
	v_mad_i64_i32 v[8:9], s[6:7], v64, s41, v[58:59]
	global_load_dwordx4 v[70:73], v[8:9], off
	v_mad_i64_i32 v[8:9], s[6:7], v65, s41, v[58:59]
	global_load_dwordx4 v[74:77], v[8:9], off
	v_and_b32_e32 v64, 63, v0
	buffer_store_dword v7, off, s[0:3], 0 offset:4
	buffer_store_dword v6, off, s[0:3], 0
	s_waitcnt vmcnt(18)
	buffer_store_dword v5, off, s[0:3], 0 offset:28
	buffer_store_dword v4, off, s[0:3], 0 offset:24
	;; [unrolled: 1-line block ×4, first 2 shown]
	s_waitcnt vmcnt(21)
	buffer_store_dword v13, off, s[0:3], 0 offset:44
	buffer_store_dword v12, off, s[0:3], 0 offset:40
	buffer_store_dword v11, off, s[0:3], 0 offset:36
	buffer_store_dword v10, off, s[0:3], 0 offset:32
	v_mov_b32_e32 v2, 0x80
	s_load_dword s6, s[4:5], 0x1c
	s_load_dwordx4 s[40:43], s[4:5], 0x80
	v_add_u32_e32 v57, 16, v2
	s_waitcnt vmcnt(24)
	buffer_store_dword v17, off, s[0:3], 0 offset:60
	buffer_store_dword v16, off, s[0:3], 0 offset:56
	;; [unrolled: 1-line block ×4, first 2 shown]
	v_add_u32_e32 v61, 32, v2
	v_add_u32_e32 v58, 48, v2
	;; [unrolled: 1-line block ×4, first 2 shown]
	s_waitcnt vmcnt(27)
	buffer_store_dword v41, off, s[0:3], 0 offset:76
	buffer_store_dword v40, off, s[0:3], 0 offset:72
	;; [unrolled: 1-line block ×4, first 2 shown]
	v_add_u32_e32 v41, 0x60, v2
	v_add_u32_e32 v39, 0x70, v2
	v_add_u32_e32 v2, -9, v55
	v_cndmask_b32_e32 v2, v2, v55, vcc
	v_lshlrev_b32_e32 v2, 5, v2
	v_lshl_add_u32 v14, v1, 9, v2
	ds_read_b128 v[2:5], v14
	ds_read_b128 v[6:9], v14 offset:16
	ds_read_b128 v[10:13], v14 offset:2048
	;; [unrolled: 1-line block ×3, first 2 shown]
	s_waitcnt vmcnt(30)
	buffer_store_dword v21, off, s[0:3], 0 offset:92
	buffer_store_dword v20, off, s[0:3], 0 offset:88
	buffer_store_dword v19, off, s[0:3], 0 offset:84
	buffer_store_dword v18, off, s[0:3], 0 offset:80
	s_waitcnt vmcnt(33)
	buffer_store_dword v29, off, s[0:3], 0 offset:108
	buffer_store_dword v28, off, s[0:3], 0 offset:104
	buffer_store_dword v27, off, s[0:3], 0 offset:100
	buffer_store_dword v26, off, s[0:3], 0 offset:96
	;; [unrolled: 5-line block ×10, first 2 shown]
	s_waitcnt vmcnt(58)
	buffer_store_dword v77, off, s[0:3], 0 offset:252
	s_waitcnt lgkmcnt(0)
	s_load_dword s4, s[40:41], 0x0
	v_mov_b32_e32 v18, s6
	v_mov_b32_e32 v27, 0
	;; [unrolled: 1-line block ×4, first 2 shown]
	s_waitcnt lgkmcnt(0)
	v_mul_f32_e32 v22, s4, v18
	v_mov_b32_e32 v24, v22
	v_mov_b32_e32 v25, v22
	v_bfrev_b32_e32 v33, 60
	buffer_store_dword v76, off, s[0:3], 0 offset:248
	buffer_store_dword v75, off, s[0:3], 0 offset:244
	;; [unrolled: 1-line block ×3, first 2 shown]
	s_branch .LBB950_15
.LBB950_12:                             ;   in Loop: Header=BB950_15 Depth=1
	s_or_b64 exec, exec, s[10:11]
.LBB950_13:                             ;   in Loop: Header=BB950_15 Depth=1
	s_or_b64 exec, exec, s[6:7]
.LBB950_14:                             ;   in Loop: Header=BB950_15 Depth=1
	s_or_b64 exec, exec, s[4:5]
	v_perm_b32 v43, v36, v32, s16
	v_perm_b32 v42, v23, v34, s16
	;; [unrolled: 1-line block ×4, first 2 shown]
	v_add_u32_e32 v26, s12, v29
	v_mfma_f32_16x16x16bf16_1k v[18:21], v[42:43], v[14:15], v[18:21]
	s_add_i32 s12, s12, 16
	v_mov_b32_e32 v23, v22
	s_cmp_eq_u32 s12, 64
	v_add_u32_e32 v27, 32, v27
	v_mfma_f32_16x16x16bf16_1k v[18:21], v[36:37], v[16:17], v[18:21]
	s_nop 7
	s_nop 2
	v_pk_mul_f32 v[18:19], v[24:25], v[18:19]
	v_pk_mul_f32 v[20:21], v[22:23], v[20:21]
	buffer_store_dword v19, v26, s[0:3], 0 offen offset:4
	buffer_store_dword v18, v26, s[0:3], 0 offen
	buffer_store_dword v21, v26, s[0:3], 0 offen offset:12
	buffer_store_dword v20, v26, s[0:3], 0 offen offset:8
	s_cbranch_scc1 .LBB950_205
.LBB950_15:                             ; =>This Inner Loop Header: Depth=1
	buffer_load_dword v20, v27, s[0:3], 0 offen
	buffer_load_dword v18, v27, s[0:3], 0 offen offset:4
	buffer_load_dword v28, v27, s[0:3], 0 offen offset:8
	;; [unrolled: 1-line block ×3, first 2 shown]
	v_mov_b32_e32 v19, 0
	s_waitcnt vmcnt(3)
	v_cmp_ne_u16_sdwa s[6:7], v20, v31 src0_sel:BYTE_0 src1_sel:DWORD
	s_and_saveexec_b64 s[4:5], s[6:7]
	s_cbranch_execz .LBB950_21
; %bb.16:                               ;   in Loop: Header=BB950_15 Depth=1
	v_cmp_ne_u16_sdwa s[10:11], v20, s13 src0_sel:BYTE_0 src1_sel:DWORD
	v_mov_b32_e32 v19, 0xffff8000
	s_and_saveexec_b64 s[6:7], s[10:11]
	s_cbranch_execz .LBB950_20
; %bb.17:                               ;   in Loop: Header=BB950_15 Depth=1
	v_and_b32_e32 v21, 0x7f, v20
	v_cmp_ne_u32_e32 vcc, s14, v21
	v_mov_b32_e32 v19, 0x7f80
	s_and_saveexec_b64 s[10:11], vcc
	s_cbranch_execz .LBB950_19
; %bb.18:                               ;   in Loop: Header=BB950_15 Depth=1
	v_and_b32_e32 v19, 7, v20
	v_ffbh_u32_e32 v30, v19
	v_min_u32_e32 v30, 32, v30
	v_subrev_u32_e32 v32, 28, v30
	v_lshlrev_b64 v[34:35], v32, v[20:21]
	v_lshrrev_b32_e32 v23, 3, v21
	v_sub_u32_e32 v30, 29, v30
	v_and_b32_e32 v32, 7, v34
	v_cmp_gt_u32_e32 vcc, 8, v21
	v_cndmask_b32_e32 v21, v23, v30, vcc
	v_cndmask_b32_e32 v19, v19, v32, vcc
	v_lshlrev_b32_e32 v23, 24, v20
	v_lshlrev_b32_e32 v19, 20, v19
	v_and_b32_e32 v23, 0x80000000, v23
	v_lshl_add_u32 v21, v21, 23, v33
	v_or3_b32 v19, v23, v21, v19
	v_lshrrev_b32_e32 v19, 16, v19
.LBB950_19:                             ;   in Loop: Header=BB950_15 Depth=1
	s_or_b64 exec, exec, s[10:11]
.LBB950_20:                             ;   in Loop: Header=BB950_15 Depth=1
	s_or_b64 exec, exec, s[6:7]
.LBB950_21:                             ;   in Loop: Header=BB950_15 Depth=1
	s_or_b64 exec, exec, s[4:5]
	v_lshrrev_b16_e32 v30, 8, v20
	v_cmp_ne_u16_e32 vcc, 0, v30
	v_mov_b32_e32 v23, 0
	v_mov_b32_e32 v21, 0
	s_and_saveexec_b64 s[4:5], vcc
	s_cbranch_execz .LBB950_27
; %bb.22:                               ;   in Loop: Header=BB950_15 Depth=1
	v_cmp_ne_u16_e32 vcc, s13, v30
	v_mov_b32_e32 v21, 0xffff8000
	s_and_saveexec_b64 s[6:7], vcc
	s_cbranch_execz .LBB950_26
; %bb.23:                               ;   in Loop: Header=BB950_15 Depth=1
	v_and_b32_e32 v32, 0x7f, v30
	v_cmp_ne_u32_e32 vcc, s14, v32
	v_mov_b32_e32 v21, 0x7f80
	s_and_saveexec_b64 s[10:11], vcc
	s_cbranch_execz .LBB950_25
; %bb.24:                               ;   in Loop: Header=BB950_15 Depth=1
	v_and_b32_e32 v21, 7, v30
	v_ffbh_u32_e32 v34, v21
	v_min_u32_e32 v37, 32, v34
	v_subrev_u32_e32 v34, 28, v37
	v_lshlrev_b64 v[34:35], v34, v[30:31]
	v_lshrrev_b32_e32 v36, 3, v32
	v_sub_u32_e32 v30, 29, v37
	v_and_b32_e32 v34, 7, v34
	v_cmp_gt_u32_e32 vcc, 8, v32
	v_cndmask_b32_e32 v30, v36, v30, vcc
	v_cndmask_b32_e32 v21, v21, v34, vcc
	v_lshlrev_b32_e32 v32, 16, v20
	v_lshlrev_b32_e32 v21, 20, v21
	v_and_b32_e32 v32, 0x80000000, v32
	v_lshl_add_u32 v30, v30, 23, v33
	v_or3_b32 v21, v32, v30, v21
	v_lshrrev_b32_e32 v21, 16, v21
.LBB950_25:                             ;   in Loop: Header=BB950_15 Depth=1
	s_or_b64 exec, exec, s[10:11]
.LBB950_26:                             ;   in Loop: Header=BB950_15 Depth=1
	s_or_b64 exec, exec, s[6:7]
.LBB950_27:                             ;   in Loop: Header=BB950_15 Depth=1
	s_or_b64 exec, exec, s[4:5]
	v_lshrrev_b32_e32 v30, 16, v20
	v_cmp_ne_u16_sdwa s[6:7], v30, v31 src0_sel:BYTE_0 src1_sel:DWORD
	s_and_saveexec_b64 s[4:5], s[6:7]
	s_cbranch_execz .LBB950_33
; %bb.28:                               ;   in Loop: Header=BB950_15 Depth=1
	v_cmp_ne_u16_sdwa s[10:11], v30, s13 src0_sel:BYTE_0 src1_sel:DWORD
	v_mov_b32_e32 v23, 0xffff8000
	s_and_saveexec_b64 s[6:7], s[10:11]
	s_cbranch_execz .LBB950_32
; %bb.29:                               ;   in Loop: Header=BB950_15 Depth=1
	v_bfe_u32 v32, v20, 16, 7
	v_cmp_ne_u32_e32 vcc, s14, v32
	v_mov_b32_e32 v23, 0x7f80
	s_and_saveexec_b64 s[10:11], vcc
	s_cbranch_execz .LBB950_31
; %bb.30:                               ;   in Loop: Header=BB950_15 Depth=1
	v_and_b32_e32 v23, 7, v30
	v_ffbh_u32_e32 v34, v23
	v_min_u32_e32 v37, 32, v34
	v_subrev_u32_e32 v34, 28, v37
	v_lshlrev_b64 v[34:35], v34, v[30:31]
	v_lshrrev_b32_e32 v36, 3, v32
	v_sub_u32_e32 v35, 29, v37
	v_and_b32_e32 v34, 7, v34
	v_cmp_gt_u32_e32 vcc, 8, v32
	v_cndmask_b32_e32 v32, v36, v35, vcc
	v_cndmask_b32_e32 v23, v23, v34, vcc
	v_lshlrev_b32_e32 v30, 24, v30
	v_lshlrev_b32_e32 v23, 20, v23
	v_and_b32_e32 v30, 0x80000000, v30
	v_lshl_add_u32 v32, v32, 23, v33
	v_or3_b32 v23, v30, v32, v23
	v_lshrrev_b32_e32 v23, 16, v23
.LBB950_31:                             ;   in Loop: Header=BB950_15 Depth=1
	s_or_b64 exec, exec, s[10:11]
.LBB950_32:                             ;   in Loop: Header=BB950_15 Depth=1
	s_or_b64 exec, exec, s[6:7]
.LBB950_33:                             ;   in Loop: Header=BB950_15 Depth=1
	s_or_b64 exec, exec, s[4:5]
	v_cmp_lt_u32_e32 vcc, s15, v20
	v_mov_b32_e32 v34, 0
	v_mov_b32_e32 v35, 0
	s_and_saveexec_b64 s[4:5], vcc
	s_cbranch_execz .LBB950_39
; %bb.34:                               ;   in Loop: Header=BB950_15 Depth=1
	v_lshrrev_b32_e32 v30, 24, v20
	v_cmp_ne_u32_e32 vcc, s13, v30
	v_mov_b32_e32 v35, 0xffff8000
	s_and_saveexec_b64 s[6:7], vcc
	s_cbranch_execz .LBB950_38
; %bb.35:                               ;   in Loop: Header=BB950_15 Depth=1
	v_bfe_u32 v20, v20, 24, 7
	v_cmp_ne_u32_e32 vcc, s14, v20
	v_mov_b32_e32 v35, 0x7f80
	s_and_saveexec_b64 s[10:11], vcc
	s_cbranch_execz .LBB950_37
; %bb.36:                               ;   in Loop: Header=BB950_15 Depth=1
	v_and_b32_e32 v32, 7, v30
	v_ffbh_u32_e32 v36, v32
	v_min_u32_e32 v38, 32, v36
	v_subrev_u32_e32 v36, 28, v38
	v_lshlrev_b64 v[36:37], v36, v[30:31]
	v_lshrrev_b32_e32 v35, 3, v20
	v_sub_u32_e32 v37, 29, v38
	v_and_b32_e32 v36, 7, v36
	v_cmp_gt_u32_e32 vcc, 8, v20
	v_cndmask_b32_e32 v20, v35, v37, vcc
	v_cndmask_b32_e32 v32, v32, v36, vcc
	v_lshlrev_b32_e32 v30, 24, v30
	v_lshlrev_b32_e32 v32, 20, v32
	v_and_b32_e32 v30, 0x80000000, v30
	v_lshl_add_u32 v20, v20, 23, v33
	v_or3_b32 v20, v30, v20, v32
	v_lshrrev_b32_e32 v35, 16, v20
.LBB950_37:                             ;   in Loop: Header=BB950_15 Depth=1
	s_or_b64 exec, exec, s[10:11]
.LBB950_38:                             ;   in Loop: Header=BB950_15 Depth=1
	s_or_b64 exec, exec, s[6:7]
.LBB950_39:                             ;   in Loop: Header=BB950_15 Depth=1
	s_or_b64 exec, exec, s[4:5]
	s_waitcnt vmcnt(2)
	v_cmp_ne_u16_sdwa s[6:7], v18, v31 src0_sel:BYTE_0 src1_sel:DWORD
	s_and_saveexec_b64 s[4:5], s[6:7]
	s_cbranch_execz .LBB950_45
; %bb.40:                               ;   in Loop: Header=BB950_15 Depth=1
	v_cmp_ne_u16_sdwa s[10:11], v18, s13 src0_sel:BYTE_0 src1_sel:DWORD
	v_mov_b32_e32 v34, 0xffff8000
	s_and_saveexec_b64 s[6:7], s[10:11]
	s_cbranch_execz .LBB950_44
; %bb.41:                               ;   in Loop: Header=BB950_15 Depth=1
	v_and_b32_e32 v20, 0x7f, v18
	v_cmp_ne_u32_e32 vcc, s14, v20
	v_mov_b32_e32 v34, 0x7f80
	s_and_saveexec_b64 s[10:11], vcc
	s_cbranch_execz .LBB950_43
; %bb.42:                               ;   in Loop: Header=BB950_15 Depth=1
	v_and_b32_e32 v30, 7, v18
	v_ffbh_u32_e32 v34, v30
	v_min_u32_e32 v34, 32, v34
	v_subrev_u32_e32 v36, 28, v34
	v_lshlrev_b64 v[36:37], v36, v[18:19]
	v_lshrrev_b32_e32 v32, 3, v20
	v_sub_u32_e32 v34, 29, v34
	v_and_b32_e32 v36, 7, v36
	v_cmp_gt_u32_e32 vcc, 8, v20
	v_cndmask_b32_e32 v20, v32, v34, vcc
	v_cndmask_b32_e32 v30, v30, v36, vcc
	v_lshlrev_b32_e32 v32, 24, v18
	v_lshlrev_b32_e32 v30, 20, v30
	v_and_b32_e32 v32, 0x80000000, v32
	v_lshl_add_u32 v20, v20, 23, v33
	v_or3_b32 v20, v32, v20, v30
	v_lshrrev_b32_e32 v34, 16, v20
.LBB950_43:                             ;   in Loop: Header=BB950_15 Depth=1
	s_or_b64 exec, exec, s[10:11]
.LBB950_44:                             ;   in Loop: Header=BB950_15 Depth=1
	s_or_b64 exec, exec, s[6:7]
.LBB950_45:                             ;   in Loop: Header=BB950_15 Depth=1
	s_or_b64 exec, exec, s[4:5]
	v_lshrrev_b16_e32 v20, 8, v18
	v_cmp_ne_u16_e32 vcc, 0, v20
	v_mov_b32_e32 v36, 0
	v_mov_b32_e32 v30, 0
	s_and_saveexec_b64 s[4:5], vcc
	s_cbranch_execz .LBB950_51
; %bb.46:                               ;   in Loop: Header=BB950_15 Depth=1
	v_cmp_ne_u16_e32 vcc, s13, v20
	v_mov_b32_e32 v30, 0xffff8000
	s_and_saveexec_b64 s[6:7], vcc
	s_cbranch_execz .LBB950_50
; %bb.47:                               ;   in Loop: Header=BB950_15 Depth=1
	v_and_b32_e32 v32, 0x7f, v20
	v_cmp_ne_u32_e32 vcc, s14, v32
	v_mov_b32_e32 v30, 0x7f80
	s_and_saveexec_b64 s[10:11], vcc
	s_cbranch_execz .LBB950_49
; %bb.48:                               ;   in Loop: Header=BB950_15 Depth=1
	v_and_b32_e32 v30, 7, v20
	v_ffbh_u32_e32 v38, v30
	v_min_u32_e32 v38, 32, v38
	v_subrev_u32_e32 v40, 28, v38
	v_lshlrev_b64 v[42:43], v40, v[20:21]
	v_lshrrev_b32_e32 v37, 3, v32
	v_sub_u32_e32 v20, 29, v38
	v_and_b32_e32 v38, 7, v42
	v_cmp_gt_u32_e32 vcc, 8, v32
	v_cndmask_b32_e32 v20, v37, v20, vcc
	v_cndmask_b32_e32 v30, v30, v38, vcc
	v_lshlrev_b32_e32 v32, 16, v18
	v_lshlrev_b32_e32 v30, 20, v30
	v_and_b32_e32 v32, 0x80000000, v32
	v_lshl_add_u32 v20, v20, 23, v33
	v_or3_b32 v20, v32, v20, v30
	v_lshrrev_b32_e32 v30, 16, v20
.LBB950_49:                             ;   in Loop: Header=BB950_15 Depth=1
	s_or_b64 exec, exec, s[10:11]
.LBB950_50:                             ;   in Loop: Header=BB950_15 Depth=1
	s_or_b64 exec, exec, s[6:7]
.LBB950_51:                             ;   in Loop: Header=BB950_15 Depth=1
	s_or_b64 exec, exec, s[4:5]
	v_lshrrev_b32_e32 v20, 16, v18
	v_cmp_ne_u16_sdwa s[6:7], v20, v31 src0_sel:BYTE_0 src1_sel:DWORD
	s_and_saveexec_b64 s[4:5], s[6:7]
	s_cbranch_execz .LBB950_57
; %bb.52:                               ;   in Loop: Header=BB950_15 Depth=1
	v_cmp_ne_u16_sdwa s[10:11], v20, s13 src0_sel:BYTE_0 src1_sel:DWORD
	v_mov_b32_e32 v36, 0xffff8000
	s_and_saveexec_b64 s[6:7], s[10:11]
	s_cbranch_execz .LBB950_56
; %bb.53:                               ;   in Loop: Header=BB950_15 Depth=1
	v_bfe_u32 v32, v18, 16, 7
	v_cmp_ne_u32_e32 vcc, s14, v32
	v_mov_b32_e32 v36, 0x7f80
	s_and_saveexec_b64 s[10:11], vcc
	s_cbranch_execz .LBB950_55
; %bb.54:                               ;   in Loop: Header=BB950_15 Depth=1
	v_and_b32_e32 v38, 7, v20
	v_ffbh_u32_e32 v36, v38
	v_min_u32_e32 v42, 32, v36
	v_subrev_u32_e32 v36, 28, v42
	v_lshlrev_b64 v[36:37], v36, v[20:21]
	v_lshrrev_b32_e32 v40, 3, v32
	v_sub_u32_e32 v37, 29, v42
	v_and_b32_e32 v36, 7, v36
	v_cmp_gt_u32_e32 vcc, 8, v32
	v_cndmask_b32_e32 v32, v40, v37, vcc
	v_cndmask_b32_e32 v36, v38, v36, vcc
	v_lshlrev_b32_e32 v20, 24, v20
	v_lshlrev_b32_e32 v36, 20, v36
	v_and_b32_e32 v20, 0x80000000, v20
	v_lshl_add_u32 v32, v32, 23, v33
	v_or3_b32 v20, v20, v32, v36
	v_lshrrev_b32_e32 v36, 16, v20
.LBB950_55:                             ;   in Loop: Header=BB950_15 Depth=1
	s_or_b64 exec, exec, s[10:11]
.LBB950_56:                             ;   in Loop: Header=BB950_15 Depth=1
	s_or_b64 exec, exec, s[6:7]
.LBB950_57:                             ;   in Loop: Header=BB950_15 Depth=1
	s_or_b64 exec, exec, s[4:5]
	v_cmp_lt_u32_e32 vcc, s15, v18
	v_mov_b32_e32 v32, 0
	v_mov_b32_e32 v37, 0
	s_and_saveexec_b64 s[4:5], vcc
	s_cbranch_execz .LBB950_63
; %bb.58:                               ;   in Loop: Header=BB950_15 Depth=1
	v_lshrrev_b32_e32 v20, 24, v18
	v_cmp_ne_u32_e32 vcc, s13, v20
	v_mov_b32_e32 v37, 0xffff8000
	s_and_saveexec_b64 s[6:7], vcc
	s_cbranch_execz .LBB950_62
; %bb.59:                               ;   in Loop: Header=BB950_15 Depth=1
	v_bfe_u32 v18, v18, 24, 7
	v_cmp_ne_u32_e32 vcc, s14, v18
	v_mov_b32_e32 v37, 0x7f80
	s_and_saveexec_b64 s[10:11], vcc
	s_cbranch_execz .LBB950_61
; %bb.60:                               ;   in Loop: Header=BB950_15 Depth=1
	v_and_b32_e32 v37, 7, v20
	v_ffbh_u32_e32 v40, v37
	v_min_u32_e32 v40, 32, v40
	v_subrev_u32_e32 v42, 28, v40
	v_lshlrev_b64 v[42:43], v42, v[20:21]
	v_lshrrev_b32_e32 v38, 3, v18
	v_sub_u32_e32 v40, 29, v40
	v_and_b32_e32 v42, 7, v42
	v_cmp_gt_u32_e32 vcc, 8, v18
	v_cndmask_b32_e32 v18, v38, v40, vcc
	v_cndmask_b32_e32 v37, v37, v42, vcc
	v_lshlrev_b32_e32 v20, 24, v20
	v_lshlrev_b32_e32 v37, 20, v37
	v_and_b32_e32 v20, 0x80000000, v20
	v_lshl_add_u32 v18, v18, 23, v33
	v_or3_b32 v18, v20, v18, v37
	v_lshrrev_b32_e32 v37, 16, v18
.LBB950_61:                             ;   in Loop: Header=BB950_15 Depth=1
	s_or_b64 exec, exec, s[10:11]
.LBB950_62:                             ;   in Loop: Header=BB950_15 Depth=1
	s_or_b64 exec, exec, s[6:7]
.LBB950_63:                             ;   in Loop: Header=BB950_15 Depth=1
	s_or_b64 exec, exec, s[4:5]
	v_perm_b32 v43, v35, v23, s16
	v_perm_b32 v42, v21, v19, s16
	;; [unrolled: 1-line block ×4, first 2 shown]
	s_waitcnt vmcnt(1)
	v_cmp_ne_u16_sdwa s[6:7], v28, v31 src0_sel:BYTE_0 src1_sel:DWORD
	v_mfma_f32_16x16x16bf16_1k v[18:21], v[42:43], v[2:3], 0
	v_mfma_f32_16x16x16bf16_1k v[18:21], v[34:35], v[4:5], v[18:21]
	s_and_saveexec_b64 s[4:5], s[6:7]
	s_cbranch_execz .LBB950_69
; %bb.64:                               ;   in Loop: Header=BB950_15 Depth=1
	v_cmp_ne_u16_sdwa s[10:11], v28, s13 src0_sel:BYTE_0 src1_sel:DWORD
	v_mov_b32_e32 v32, 0xffff8000
	s_and_saveexec_b64 s[6:7], s[10:11]
	s_cbranch_execz .LBB950_68
; %bb.65:                               ;   in Loop: Header=BB950_15 Depth=1
	v_and_b32_e32 v23, 0x7f, v28
	v_cmp_ne_u32_e32 vcc, s14, v23
	v_mov_b32_e32 v32, 0x7f80
	s_and_saveexec_b64 s[10:11], vcc
	s_cbranch_execz .LBB950_67
; %bb.66:                               ;   in Loop: Header=BB950_15 Depth=1
	v_and_b32_e32 v30, 7, v28
	v_ffbh_u32_e32 v34, v30
	v_min_u32_e32 v36, 32, v34
	v_subrev_u32_e32 v34, 28, v36
	v_lshlrev_b64 v[34:35], v34, v[28:29]
	v_lshrrev_b32_e32 v32, 3, v23
	v_sub_u32_e32 v35, 29, v36
	v_and_b32_e32 v34, 7, v34
	v_cmp_gt_u32_e32 vcc, 8, v23
	v_cndmask_b32_e32 v23, v32, v35, vcc
	v_cndmask_b32_e32 v30, v30, v34, vcc
	v_lshlrev_b32_e32 v32, 24, v28
	v_lshlrev_b32_e32 v30, 20, v30
	v_and_b32_e32 v32, 0x80000000, v32
	v_lshl_add_u32 v23, v23, 23, v33
	v_or3_b32 v23, v32, v23, v30
	v_lshrrev_b32_e32 v32, 16, v23
.LBB950_67:                             ;   in Loop: Header=BB950_15 Depth=1
	s_or_b64 exec, exec, s[10:11]
.LBB950_68:                             ;   in Loop: Header=BB950_15 Depth=1
	s_or_b64 exec, exec, s[6:7]
.LBB950_69:                             ;   in Loop: Header=BB950_15 Depth=1
	s_or_b64 exec, exec, s[4:5]
	v_lshrrev_b16_e32 v30, 8, v28
	v_cmp_ne_u16_e32 vcc, 0, v30
	v_mov_b32_e32 v35, 0
	v_mov_b32_e32 v34, 0
	s_and_saveexec_b64 s[4:5], vcc
	s_cbranch_execz .LBB950_75
; %bb.70:                               ;   in Loop: Header=BB950_15 Depth=1
	v_cmp_ne_u16_e32 vcc, s13, v30
	v_mov_b32_e32 v34, 0xffff8000
	s_and_saveexec_b64 s[6:7], vcc
	s_cbranch_execz .LBB950_74
; %bb.71:                               ;   in Loop: Header=BB950_15 Depth=1
	v_and_b32_e32 v23, 0x7f, v30
	v_cmp_ne_u32_e32 vcc, s14, v23
	v_mov_b32_e32 v34, 0x7f80
	s_and_saveexec_b64 s[10:11], vcc
	s_cbranch_execz .LBB950_73
; %bb.72:                               ;   in Loop: Header=BB950_15 Depth=1
	v_and_b32_e32 v34, 7, v30
	v_ffbh_u32_e32 v36, v34
	v_min_u32_e32 v40, 32, v36
	v_subrev_u32_e32 v36, 28, v40
	v_lshlrev_b64 v[36:37], v36, v[30:31]
	v_lshrrev_b32_e32 v38, 3, v23
	v_sub_u32_e32 v30, 29, v40
	v_and_b32_e32 v36, 7, v36
	v_cmp_gt_u32_e32 vcc, 8, v23
	v_cndmask_b32_e32 v23, v38, v30, vcc
	v_cndmask_b32_e32 v30, v34, v36, vcc
	v_lshlrev_b32_e32 v34, 16, v28
	v_lshlrev_b32_e32 v30, 20, v30
	v_and_b32_e32 v34, 0x80000000, v34
	v_lshl_add_u32 v23, v23, 23, v33
	v_or3_b32 v23, v34, v23, v30
	v_lshrrev_b32_e32 v34, 16, v23
.LBB950_73:                             ;   in Loop: Header=BB950_15 Depth=1
	s_or_b64 exec, exec, s[10:11]
.LBB950_74:                             ;   in Loop: Header=BB950_15 Depth=1
	s_or_b64 exec, exec, s[6:7]
.LBB950_75:                             ;   in Loop: Header=BB950_15 Depth=1
	s_or_b64 exec, exec, s[4:5]
	v_lshrrev_b32_e32 v30, 16, v28
	v_cmp_ne_u16_sdwa s[6:7], v30, v31 src0_sel:BYTE_0 src1_sel:DWORD
	s_and_saveexec_b64 s[4:5], s[6:7]
	s_cbranch_execz .LBB950_81
; %bb.76:                               ;   in Loop: Header=BB950_15 Depth=1
	v_cmp_ne_u16_sdwa s[10:11], v30, s13 src0_sel:BYTE_0 src1_sel:DWORD
	v_mov_b32_e32 v35, 0xffff8000
	s_and_saveexec_b64 s[6:7], s[10:11]
	s_cbranch_execz .LBB950_80
; %bb.77:                               ;   in Loop: Header=BB950_15 Depth=1
	v_bfe_u32 v23, v28, 16, 7
	v_cmp_ne_u32_e32 vcc, s14, v23
	v_mov_b32_e32 v35, 0x7f80
	s_and_saveexec_b64 s[10:11], vcc
	s_cbranch_execz .LBB950_79
; %bb.78:                               ;   in Loop: Header=BB950_15 Depth=1
	v_and_b32_e32 v35, 7, v30
	v_ffbh_u32_e32 v36, v35
	v_min_u32_e32 v40, 32, v36
	v_subrev_u32_e32 v36, 28, v40
	v_lshlrev_b64 v[36:37], v36, v[30:31]
	v_lshrrev_b32_e32 v38, 3, v23
	v_sub_u32_e32 v37, 29, v40
	v_and_b32_e32 v36, 7, v36
	v_cmp_gt_u32_e32 vcc, 8, v23
	v_cndmask_b32_e32 v23, v38, v37, vcc
	v_cndmask_b32_e32 v35, v35, v36, vcc
	v_lshlrev_b32_e32 v30, 24, v30
	v_lshlrev_b32_e32 v35, 20, v35
	v_and_b32_e32 v30, 0x80000000, v30
	v_lshl_add_u32 v23, v23, 23, v33
	v_or3_b32 v23, v30, v23, v35
	v_lshrrev_b32_e32 v35, 16, v23
.LBB950_79:                             ;   in Loop: Header=BB950_15 Depth=1
	s_or_b64 exec, exec, s[10:11]
.LBB950_80:                             ;   in Loop: Header=BB950_15 Depth=1
	s_or_b64 exec, exec, s[6:7]
.LBB950_81:                             ;   in Loop: Header=BB950_15 Depth=1
	s_or_b64 exec, exec, s[4:5]
	v_cmp_lt_u32_e32 vcc, s15, v28
	v_mov_b32_e32 v36, 0
	v_mov_b32_e32 v37, 0
	s_and_saveexec_b64 s[4:5], vcc
	s_cbranch_execz .LBB950_87
; %bb.82:                               ;   in Loop: Header=BB950_15 Depth=1
	v_lshrrev_b32_e32 v30, 24, v28
	v_cmp_ne_u32_e32 vcc, s13, v30
	v_mov_b32_e32 v37, 0xffff8000
	s_and_saveexec_b64 s[6:7], vcc
	s_cbranch_execz .LBB950_86
; %bb.83:                               ;   in Loop: Header=BB950_15 Depth=1
	v_bfe_u32 v23, v28, 24, 7
	v_cmp_ne_u32_e32 vcc, s14, v23
	v_mov_b32_e32 v37, 0x7f80
	s_and_saveexec_b64 s[10:11], vcc
	s_cbranch_execz .LBB950_85
; %bb.84:                               ;   in Loop: Header=BB950_15 Depth=1
	v_and_b32_e32 v28, 7, v30
	v_ffbh_u32_e32 v38, v28
	v_min_u32_e32 v38, 32, v38
	v_subrev_u32_e32 v40, 28, v38
	v_lshlrev_b64 v[42:43], v40, v[30:31]
	v_lshrrev_b32_e32 v37, 3, v23
	v_sub_u32_e32 v38, 29, v38
	v_and_b32_e32 v40, 7, v42
	v_cmp_gt_u32_e32 vcc, 8, v23
	v_cndmask_b32_e32 v23, v37, v38, vcc
	v_cndmask_b32_e32 v28, v28, v40, vcc
	v_lshlrev_b32_e32 v30, 24, v30
	v_lshlrev_b32_e32 v28, 20, v28
	v_and_b32_e32 v30, 0x80000000, v30
	v_lshl_add_u32 v23, v23, 23, v33
	v_or3_b32 v23, v30, v23, v28
	v_lshrrev_b32_e32 v37, 16, v23
.LBB950_85:                             ;   in Loop: Header=BB950_15 Depth=1
	s_or_b64 exec, exec, s[10:11]
.LBB950_86:                             ;   in Loop: Header=BB950_15 Depth=1
	s_or_b64 exec, exec, s[6:7]
.LBB950_87:                             ;   in Loop: Header=BB950_15 Depth=1
	s_or_b64 exec, exec, s[4:5]
	s_waitcnt vmcnt(0)
	v_cmp_ne_u16_sdwa s[6:7], v26, v31 src0_sel:BYTE_0 src1_sel:DWORD
	s_and_saveexec_b64 s[4:5], s[6:7]
	s_cbranch_execz .LBB950_93
; %bb.88:                               ;   in Loop: Header=BB950_15 Depth=1
	v_cmp_ne_u16_sdwa s[10:11], v26, s13 src0_sel:BYTE_0 src1_sel:DWORD
	v_mov_b32_e32 v36, 0xffff8000
	s_and_saveexec_b64 s[6:7], s[10:11]
	s_cbranch_execz .LBB950_92
; %bb.89:                               ;   in Loop: Header=BB950_15 Depth=1
	v_and_b32_e32 v23, 0x7f, v26
	v_cmp_ne_u32_e32 vcc, s14, v23
	v_mov_b32_e32 v36, 0x7f80
	s_and_saveexec_b64 s[10:11], vcc
	s_cbranch_execz .LBB950_91
; %bb.90:                               ;   in Loop: Header=BB950_15 Depth=1
	v_and_b32_e32 v28, 7, v26
	v_ffbh_u32_e32 v36, v28
	v_min_u32_e32 v36, 32, v36
	v_subrev_u32_e32 v38, 28, v36
	v_lshlrev_b64 v[42:43], v38, v[26:27]
	v_lshrrev_b32_e32 v30, 3, v23
	v_sub_u32_e32 v36, 29, v36
	v_and_b32_e32 v38, 7, v42
	v_cmp_gt_u32_e32 vcc, 8, v23
	v_cndmask_b32_e32 v23, v30, v36, vcc
	v_cndmask_b32_e32 v28, v28, v38, vcc
	v_lshlrev_b32_e32 v30, 24, v26
	v_lshlrev_b32_e32 v28, 20, v28
	v_and_b32_e32 v30, 0x80000000, v30
	v_lshl_add_u32 v23, v23, 23, v33
	v_or3_b32 v23, v30, v23, v28
	v_lshrrev_b32_e32 v36, 16, v23
.LBB950_91:                             ;   in Loop: Header=BB950_15 Depth=1
	s_or_b64 exec, exec, s[10:11]
.LBB950_92:                             ;   in Loop: Header=BB950_15 Depth=1
	s_or_b64 exec, exec, s[6:7]
.LBB950_93:                             ;   in Loop: Header=BB950_15 Depth=1
	s_or_b64 exec, exec, s[4:5]
	v_lshrrev_b16_e32 v28, 8, v26
	v_cmp_ne_u16_e32 vcc, 0, v28
	v_mov_b32_e32 v40, 0
	v_mov_b32_e32 v38, 0
	s_and_saveexec_b64 s[4:5], vcc
	s_cbranch_execz .LBB950_99
; %bb.94:                               ;   in Loop: Header=BB950_15 Depth=1
	v_cmp_ne_u16_e32 vcc, s13, v28
	v_mov_b32_e32 v38, 0xffff8000
	s_and_saveexec_b64 s[6:7], vcc
	s_cbranch_execz .LBB950_98
; %bb.95:                               ;   in Loop: Header=BB950_15 Depth=1
	v_and_b32_e32 v23, 0x7f, v28
	v_cmp_ne_u32_e32 vcc, s14, v23
	v_mov_b32_e32 v38, 0x7f80
	s_and_saveexec_b64 s[10:11], vcc
	s_cbranch_execz .LBB950_97
; %bb.96:                               ;   in Loop: Header=BB950_15 Depth=1
	v_and_b32_e32 v30, 7, v28
	v_ffbh_u32_e32 v42, v30
	v_min_u32_e32 v44, 32, v42
	v_subrev_u32_e32 v42, 28, v44
	v_lshlrev_b64 v[42:43], v42, v[28:29]
	v_lshrrev_b32_e32 v38, 3, v23
	v_sub_u32_e32 v28, 29, v44
	v_and_b32_e32 v42, 7, v42
	v_cmp_gt_u32_e32 vcc, 8, v23
	v_cndmask_b32_e32 v23, v38, v28, vcc
	v_cndmask_b32_e32 v28, v30, v42, vcc
	v_lshlrev_b32_e32 v30, 16, v26
	v_lshlrev_b32_e32 v28, 20, v28
	v_and_b32_e32 v30, 0x80000000, v30
	v_lshl_add_u32 v23, v23, 23, v33
	v_or3_b32 v23, v30, v23, v28
	v_lshrrev_b32_e32 v38, 16, v23
.LBB950_97:                             ;   in Loop: Header=BB950_15 Depth=1
	s_or_b64 exec, exec, s[10:11]
.LBB950_98:                             ;   in Loop: Header=BB950_15 Depth=1
	s_or_b64 exec, exec, s[6:7]
.LBB950_99:                             ;   in Loop: Header=BB950_15 Depth=1
	s_or_b64 exec, exec, s[4:5]
	v_lshrrev_b32_e32 v28, 16, v26
	v_cmp_ne_u16_sdwa s[6:7], v28, v31 src0_sel:BYTE_0 src1_sel:DWORD
	s_and_saveexec_b64 s[4:5], s[6:7]
	s_cbranch_execz .LBB950_105
; %bb.100:                              ;   in Loop: Header=BB950_15 Depth=1
	v_cmp_ne_u16_sdwa s[10:11], v28, s13 src0_sel:BYTE_0 src1_sel:DWORD
	v_mov_b32_e32 v40, 0xffff8000
	s_and_saveexec_b64 s[6:7], s[10:11]
	s_cbranch_execz .LBB950_104
; %bb.101:                              ;   in Loop: Header=BB950_15 Depth=1
	v_bfe_u32 v23, v26, 16, 7
	v_cmp_ne_u32_e32 vcc, s14, v23
	v_mov_b32_e32 v40, 0x7f80
	s_and_saveexec_b64 s[10:11], vcc
	s_cbranch_execz .LBB950_103
; %bb.102:                              ;   in Loop: Header=BB950_15 Depth=1
	v_and_b32_e32 v30, 7, v28
	v_ffbh_u32_e32 v42, v30
	v_min_u32_e32 v44, 32, v42
	v_subrev_u32_e32 v42, 28, v44
	v_lshlrev_b64 v[42:43], v42, v[28:29]
	v_lshrrev_b32_e32 v40, 3, v23
	v_sub_u32_e32 v43, 29, v44
	v_and_b32_e32 v42, 7, v42
	v_cmp_gt_u32_e32 vcc, 8, v23
	v_cndmask_b32_e32 v23, v40, v43, vcc
	v_cndmask_b32_e32 v30, v30, v42, vcc
	v_lshlrev_b32_e32 v28, 24, v28
	v_lshlrev_b32_e32 v30, 20, v30
	v_and_b32_e32 v28, 0x80000000, v28
	v_lshl_add_u32 v23, v23, 23, v33
	v_or3_b32 v23, v28, v23, v30
	v_lshrrev_b32_e32 v40, 16, v23
.LBB950_103:                            ;   in Loop: Header=BB950_15 Depth=1
	s_or_b64 exec, exec, s[10:11]
.LBB950_104:                            ;   in Loop: Header=BB950_15 Depth=1
	s_or_b64 exec, exec, s[6:7]
.LBB950_105:                            ;   in Loop: Header=BB950_15 Depth=1
	s_or_b64 exec, exec, s[4:5]
	v_cmp_lt_u32_e32 vcc, s15, v26
	v_mov_b32_e32 v23, 0
	v_mov_b32_e32 v42, 0
	s_and_saveexec_b64 s[4:5], vcc
	s_cbranch_execz .LBB950_111
; %bb.106:                              ;   in Loop: Header=BB950_15 Depth=1
	v_lshrrev_b32_e32 v28, 24, v26
	v_cmp_ne_u32_e32 vcc, s13, v28
	v_mov_b32_e32 v42, 0xffff8000
	s_and_saveexec_b64 s[6:7], vcc
	s_cbranch_execz .LBB950_110
; %bb.107:                              ;   in Loop: Header=BB950_15 Depth=1
	v_bfe_u32 v26, v26, 24, 7
	v_cmp_ne_u32_e32 vcc, s14, v26
	v_mov_b32_e32 v42, 0x7f80
	s_and_saveexec_b64 s[10:11], vcc
	s_cbranch_execz .LBB950_109
; %bb.108:                              ;   in Loop: Header=BB950_15 Depth=1
	v_and_b32_e32 v30, 7, v28
	v_ffbh_u32_e32 v42, v30
	v_min_u32_e32 v45, 32, v42
	v_subrev_u32_e32 v42, 28, v45
	v_lshlrev_b64 v[42:43], v42, v[28:29]
	v_lshrrev_b32_e32 v44, 3, v26
	v_sub_u32_e32 v43, 29, v45
	v_and_b32_e32 v42, 7, v42
	v_cmp_gt_u32_e32 vcc, 8, v26
	v_cndmask_b32_e32 v26, v44, v43, vcc
	v_cndmask_b32_e32 v30, v30, v42, vcc
	v_lshlrev_b32_e32 v28, 24, v28
	v_lshlrev_b32_e32 v30, 20, v30
	v_and_b32_e32 v28, 0x80000000, v28
	v_lshl_add_u32 v26, v26, 23, v33
	v_or3_b32 v26, v28, v26, v30
	v_lshrrev_b32_e32 v42, 16, v26
.LBB950_109:                            ;   in Loop: Header=BB950_15 Depth=1
	s_or_b64 exec, exec, s[10:11]
.LBB950_110:                            ;   in Loop: Header=BB950_15 Depth=1
	s_or_b64 exec, exec, s[6:7]
.LBB950_111:                            ;   in Loop: Header=BB950_15 Depth=1
	s_or_b64 exec, exec, s[4:5]
	v_perm_b32 v34, v34, v32, s16
	buffer_load_dword v32, v27, s[0:3], 0 offen offset:16
	buffer_load_dword v30, v27, s[0:3], 0 offen offset:20
	;; [unrolled: 1-line block ×4, first 2 shown]
	v_perm_b32 v35, v37, v35, s16
	s_waitcnt vmcnt(3)
	v_cmp_ne_u16_sdwa s[6:7], v32, v31 src0_sel:BYTE_0 src1_sel:DWORD
	v_mfma_f32_16x16x16bf16_1k v[18:21], v[34:35], v[6:7], v[18:21]
	v_perm_b32 v35, v42, v40, s16
	v_perm_b32 v34, v38, v36, s16
	s_nop 1
	v_mfma_f32_16x16x16bf16_1k v[18:21], v[34:35], v[8:9], v[18:21]
	s_and_saveexec_b64 s[4:5], s[6:7]
	s_cbranch_execz .LBB950_117
; %bb.112:                              ;   in Loop: Header=BB950_15 Depth=1
	v_cmp_ne_u16_sdwa s[10:11], v32, s13 src0_sel:BYTE_0 src1_sel:DWORD
	v_mov_b32_e32 v23, 0xffff8000
	s_and_saveexec_b64 s[6:7], s[10:11]
	s_cbranch_execz .LBB950_116
; %bb.113:                              ;   in Loop: Header=BB950_15 Depth=1
	v_and_b32_e32 v34, 0x7f, v32
	v_cmp_ne_u32_e32 vcc, s14, v34
	v_mov_b32_e32 v23, 0x7f80
	s_and_saveexec_b64 s[10:11], vcc
	s_cbranch_execz .LBB950_115
; %bb.114:                              ;   in Loop: Header=BB950_15 Depth=1
	v_and_b32_e32 v23, 7, v32
	v_ffbh_u32_e32 v36, v23
	v_min_u32_e32 v38, 32, v36
	v_subrev_u32_e32 v36, 28, v38
	v_lshlrev_b64 v[36:37], v36, v[32:33]
	v_lshrrev_b32_e32 v35, 3, v34
	v_sub_u32_e32 v37, 29, v38
	v_and_b32_e32 v36, 7, v36
	v_cmp_gt_u32_e32 vcc, 8, v34
	v_cndmask_b32_e32 v34, v35, v37, vcc
	v_cndmask_b32_e32 v23, v23, v36, vcc
	v_lshlrev_b32_e32 v35, 24, v32
	v_lshlrev_b32_e32 v23, 20, v23
	v_and_b32_e32 v35, 0x80000000, v35
	v_lshl_add_u32 v34, v34, 23, v33
	v_or3_b32 v23, v35, v34, v23
	v_lshrrev_b32_e32 v23, 16, v23
.LBB950_115:                            ;   in Loop: Header=BB950_15 Depth=1
	s_or_b64 exec, exec, s[10:11]
.LBB950_116:                            ;   in Loop: Header=BB950_15 Depth=1
	s_or_b64 exec, exec, s[6:7]
.LBB950_117:                            ;   in Loop: Header=BB950_15 Depth=1
	s_or_b64 exec, exec, s[4:5]
	v_lshrrev_b16_e32 v34, 8, v32
	v_cmp_ne_u16_e32 vcc, 0, v34
	v_mov_b32_e32 v36, 0
	v_mov_b32_e32 v35, 0
	s_and_saveexec_b64 s[4:5], vcc
	s_cbranch_execz .LBB950_123
; %bb.118:                              ;   in Loop: Header=BB950_15 Depth=1
	v_cmp_ne_u16_e32 vcc, s13, v34
	v_mov_b32_e32 v35, 0xffff8000
	s_and_saveexec_b64 s[6:7], vcc
	s_cbranch_execz .LBB950_122
; %bb.119:                              ;   in Loop: Header=BB950_15 Depth=1
	v_and_b32_e32 v37, 0x7f, v34
	v_cmp_ne_u32_e32 vcc, s14, v37
	v_mov_b32_e32 v35, 0x7f80
	s_and_saveexec_b64 s[10:11], vcc
	s_cbranch_execz .LBB950_121
; %bb.120:                              ;   in Loop: Header=BB950_15 Depth=1
	v_and_b32_e32 v38, 7, v34
	v_ffbh_u32_e32 v35, v38
	v_min_u32_e32 v42, 32, v35
	v_subrev_u32_e32 v35, 28, v42
	v_lshlrev_b64 v[34:35], v35, v[34:35]
	v_lshrrev_b32_e32 v40, 3, v37
	v_sub_u32_e32 v35, 29, v42
	v_and_b32_e32 v34, 7, v34
	v_cmp_gt_u32_e32 vcc, 8, v37
	v_cndmask_b32_e32 v35, v40, v35, vcc
	v_cndmask_b32_e32 v34, v38, v34, vcc
	v_lshlrev_b32_e32 v37, 16, v32
	v_lshlrev_b32_e32 v34, 20, v34
	v_and_b32_e32 v37, 0x80000000, v37
	v_lshl_add_u32 v35, v35, 23, v33
	v_or3_b32 v34, v37, v35, v34
	v_lshrrev_b32_e32 v35, 16, v34
.LBB950_121:                            ;   in Loop: Header=BB950_15 Depth=1
	s_or_b64 exec, exec, s[10:11]
.LBB950_122:                            ;   in Loop: Header=BB950_15 Depth=1
	s_or_b64 exec, exec, s[6:7]
.LBB950_123:                            ;   in Loop: Header=BB950_15 Depth=1
	s_or_b64 exec, exec, s[4:5]
	v_lshrrev_b32_e32 v34, 16, v32
	v_cmp_ne_u16_sdwa s[6:7], v34, v31 src0_sel:BYTE_0 src1_sel:DWORD
	s_and_saveexec_b64 s[4:5], s[6:7]
	s_cbranch_execz .LBB950_129
; %bb.124:                              ;   in Loop: Header=BB950_15 Depth=1
	v_cmp_ne_u16_sdwa s[10:11], v34, s13 src0_sel:BYTE_0 src1_sel:DWORD
	v_mov_b32_e32 v36, 0xffff8000
	s_and_saveexec_b64 s[6:7], s[10:11]
	s_cbranch_execz .LBB950_128
; %bb.125:                              ;   in Loop: Header=BB950_15 Depth=1
	v_bfe_u32 v37, v32, 16, 7
	v_cmp_ne_u32_e32 vcc, s14, v37
	v_mov_b32_e32 v36, 0x7f80
	s_and_saveexec_b64 s[10:11], vcc
	s_cbranch_execz .LBB950_127
; %bb.126:                              ;   in Loop: Header=BB950_15 Depth=1
	v_and_b32_e32 v36, 7, v34
	v_ffbh_u32_e32 v40, v36
	v_min_u32_e32 v40, 32, v40
	v_subrev_u32_e32 v42, 28, v40
	v_lshlrev_b64 v[42:43], v42, v[34:35]
	v_lshrrev_b32_e32 v38, 3, v37
	v_sub_u32_e32 v40, 29, v40
	v_and_b32_e32 v42, 7, v42
	v_cmp_gt_u32_e32 vcc, 8, v37
	v_cndmask_b32_e32 v37, v38, v40, vcc
	v_cndmask_b32_e32 v36, v36, v42, vcc
	v_lshlrev_b32_e32 v34, 24, v34
	v_lshlrev_b32_e32 v36, 20, v36
	v_and_b32_e32 v34, 0x80000000, v34
	v_lshl_add_u32 v37, v37, 23, v33
	v_or3_b32 v34, v34, v37, v36
	v_lshrrev_b32_e32 v36, 16, v34
.LBB950_127:                            ;   in Loop: Header=BB950_15 Depth=1
	s_or_b64 exec, exec, s[10:11]
.LBB950_128:                            ;   in Loop: Header=BB950_15 Depth=1
	s_or_b64 exec, exec, s[6:7]
.LBB950_129:                            ;   in Loop: Header=BB950_15 Depth=1
	s_or_b64 exec, exec, s[4:5]
	v_cmp_lt_u32_e32 vcc, s15, v32
	v_mov_b32_e32 v37, 0
	v_mov_b32_e32 v38, 0
	s_and_saveexec_b64 s[4:5], vcc
	s_cbranch_execz .LBB950_135
; %bb.130:                              ;   in Loop: Header=BB950_15 Depth=1
	v_lshrrev_b32_e32 v34, 24, v32
	v_cmp_ne_u32_e32 vcc, s13, v34
	v_mov_b32_e32 v38, 0xffff8000
	s_and_saveexec_b64 s[6:7], vcc
	s_cbranch_execz .LBB950_134
; %bb.131:                              ;   in Loop: Header=BB950_15 Depth=1
	v_bfe_u32 v32, v32, 24, 7
	v_cmp_ne_u32_e32 vcc, s14, v32
	v_mov_b32_e32 v38, 0x7f80
	s_and_saveexec_b64 s[10:11], vcc
	s_cbranch_execz .LBB950_133
; %bb.132:                              ;   in Loop: Header=BB950_15 Depth=1
	v_and_b32_e32 v38, 7, v34
	v_ffbh_u32_e32 v42, v38
	v_min_u32_e32 v44, 32, v42
	v_subrev_u32_e32 v42, 28, v44
	v_lshlrev_b64 v[42:43], v42, v[34:35]
	v_lshrrev_b32_e32 v40, 3, v32
	v_sub_u32_e32 v43, 29, v44
	v_and_b32_e32 v42, 7, v42
	v_cmp_gt_u32_e32 vcc, 8, v32
	v_cndmask_b32_e32 v32, v40, v43, vcc
	v_cndmask_b32_e32 v38, v38, v42, vcc
	v_lshlrev_b32_e32 v34, 24, v34
	v_lshlrev_b32_e32 v38, 20, v38
	v_and_b32_e32 v34, 0x80000000, v34
	v_lshl_add_u32 v32, v32, 23, v33
	v_or3_b32 v32, v34, v32, v38
	v_lshrrev_b32_e32 v38, 16, v32
.LBB950_133:                            ;   in Loop: Header=BB950_15 Depth=1
	s_or_b64 exec, exec, s[10:11]
.LBB950_134:                            ;   in Loop: Header=BB950_15 Depth=1
	s_or_b64 exec, exec, s[6:7]
.LBB950_135:                            ;   in Loop: Header=BB950_15 Depth=1
	s_or_b64 exec, exec, s[4:5]
	s_waitcnt vmcnt(2)
	v_cmp_ne_u16_sdwa s[6:7], v30, v31 src0_sel:BYTE_0 src1_sel:DWORD
	s_and_saveexec_b64 s[4:5], s[6:7]
	s_cbranch_execz .LBB950_141
; %bb.136:                              ;   in Loop: Header=BB950_15 Depth=1
	v_cmp_ne_u16_sdwa s[10:11], v30, s13 src0_sel:BYTE_0 src1_sel:DWORD
	v_mov_b32_e32 v37, 0xffff8000
	s_and_saveexec_b64 s[6:7], s[10:11]
	s_cbranch_execz .LBB950_140
; %bb.137:                              ;   in Loop: Header=BB950_15 Depth=1
	v_and_b32_e32 v32, 0x7f, v30
	v_cmp_ne_u32_e32 vcc, s14, v32
	v_mov_b32_e32 v37, 0x7f80
	s_and_saveexec_b64 s[10:11], vcc
	s_cbranch_execz .LBB950_139
; %bb.138:                              ;   in Loop: Header=BB950_15 Depth=1
	v_and_b32_e32 v34, 7, v30
	v_ffbh_u32_e32 v40, v34
	v_min_u32_e32 v40, 32, v40
	v_subrev_u32_e32 v42, 28, v40
	v_lshlrev_b64 v[42:43], v42, v[30:31]
	v_lshrrev_b32_e32 v37, 3, v32
	v_sub_u32_e32 v40, 29, v40
	v_and_b32_e32 v42, 7, v42
	v_cmp_gt_u32_e32 vcc, 8, v32
	v_cndmask_b32_e32 v32, v37, v40, vcc
	v_cndmask_b32_e32 v34, v34, v42, vcc
	v_lshlrev_b32_e32 v37, 24, v30
	v_lshlrev_b32_e32 v34, 20, v34
	v_and_b32_e32 v37, 0x80000000, v37
	v_lshl_add_u32 v32, v32, 23, v33
	v_or3_b32 v32, v37, v32, v34
	v_lshrrev_b32_e32 v37, 16, v32
.LBB950_139:                            ;   in Loop: Header=BB950_15 Depth=1
	s_or_b64 exec, exec, s[10:11]
.LBB950_140:                            ;   in Loop: Header=BB950_15 Depth=1
	s_or_b64 exec, exec, s[6:7]
.LBB950_141:                            ;   in Loop: Header=BB950_15 Depth=1
	s_or_b64 exec, exec, s[4:5]
	v_lshrrev_b16_e32 v32, 8, v30
	v_cmp_ne_u16_e32 vcc, 0, v32
	v_mov_b32_e32 v42, 0
	v_mov_b32_e32 v40, 0
	s_and_saveexec_b64 s[4:5], vcc
	s_cbranch_execz .LBB950_147
; %bb.142:                              ;   in Loop: Header=BB950_15 Depth=1
	v_cmp_ne_u16_e32 vcc, s13, v32
	v_mov_b32_e32 v40, 0xffff8000
	s_and_saveexec_b64 s[6:7], vcc
	s_cbranch_execz .LBB950_146
; %bb.143:                              ;   in Loop: Header=BB950_15 Depth=1
	v_and_b32_e32 v34, 0x7f, v32
	v_cmp_ne_u32_e32 vcc, s14, v34
	v_mov_b32_e32 v40, 0x7f80
	s_and_saveexec_b64 s[10:11], vcc
	s_cbranch_execz .LBB950_145
; %bb.144:                              ;   in Loop: Header=BB950_15 Depth=1
	v_and_b32_e32 v40, 7, v32
	v_ffbh_u32_e32 v44, v40
	v_min_u32_e32 v46, 32, v44
	v_subrev_u32_e32 v44, 28, v46
	v_lshlrev_b64 v[44:45], v44, v[32:33]
	v_lshrrev_b32_e32 v43, 3, v34
	v_sub_u32_e32 v32, 29, v46
	v_and_b32_e32 v44, 7, v44
	v_cmp_gt_u32_e32 vcc, 8, v34
	v_cndmask_b32_e32 v32, v43, v32, vcc
	v_cndmask_b32_e32 v34, v40, v44, vcc
	v_lshlrev_b32_e32 v40, 16, v30
	v_lshlrev_b32_e32 v34, 20, v34
	v_and_b32_e32 v40, 0x80000000, v40
	v_lshl_add_u32 v32, v32, 23, v33
	v_or3_b32 v32, v40, v32, v34
	v_lshrrev_b32_e32 v40, 16, v32
.LBB950_145:                            ;   in Loop: Header=BB950_15 Depth=1
	s_or_b64 exec, exec, s[10:11]
.LBB950_146:                            ;   in Loop: Header=BB950_15 Depth=1
	s_or_b64 exec, exec, s[6:7]
.LBB950_147:                            ;   in Loop: Header=BB950_15 Depth=1
	s_or_b64 exec, exec, s[4:5]
	v_lshrrev_b32_e32 v32, 16, v30
	v_cmp_ne_u16_sdwa s[6:7], v32, v31 src0_sel:BYTE_0 src1_sel:DWORD
	s_and_saveexec_b64 s[4:5], s[6:7]
	s_cbranch_execz .LBB950_153
; %bb.148:                              ;   in Loop: Header=BB950_15 Depth=1
	v_cmp_ne_u16_sdwa s[10:11], v32, s13 src0_sel:BYTE_0 src1_sel:DWORD
	v_mov_b32_e32 v42, 0xffff8000
	s_and_saveexec_b64 s[6:7], s[10:11]
	s_cbranch_execz .LBB950_152
; %bb.149:                              ;   in Loop: Header=BB950_15 Depth=1
	v_bfe_u32 v34, v30, 16, 7
	v_cmp_ne_u32_e32 vcc, s14, v34
	v_mov_b32_e32 v42, 0x7f80
	s_and_saveexec_b64 s[10:11], vcc
	s_cbranch_execz .LBB950_151
; %bb.150:                              ;   in Loop: Header=BB950_15 Depth=1
	v_and_b32_e32 v44, 7, v32
	v_ffbh_u32_e32 v42, v44
	v_min_u32_e32 v46, 32, v42
	v_subrev_u32_e32 v42, 28, v46
	v_lshlrev_b64 v[42:43], v42, v[32:33]
	v_lshrrev_b32_e32 v45, 3, v34
	v_sub_u32_e32 v43, 29, v46
	v_and_b32_e32 v42, 7, v42
	v_cmp_gt_u32_e32 vcc, 8, v34
	v_cndmask_b32_e32 v34, v45, v43, vcc
	v_cndmask_b32_e32 v42, v44, v42, vcc
	v_lshlrev_b32_e32 v32, 24, v32
	v_lshlrev_b32_e32 v42, 20, v42
	v_and_b32_e32 v32, 0x80000000, v32
	v_lshl_add_u32 v34, v34, 23, v33
	v_or3_b32 v32, v32, v34, v42
	v_lshrrev_b32_e32 v42, 16, v32
.LBB950_151:                            ;   in Loop: Header=BB950_15 Depth=1
	s_or_b64 exec, exec, s[10:11]
.LBB950_152:                            ;   in Loop: Header=BB950_15 Depth=1
	s_or_b64 exec, exec, s[6:7]
.LBB950_153:                            ;   in Loop: Header=BB950_15 Depth=1
	s_or_b64 exec, exec, s[4:5]
	v_cmp_lt_u32_e32 vcc, s15, v30
	v_mov_b32_e32 v34, 0
	v_mov_b32_e32 v43, 0
	s_and_saveexec_b64 s[4:5], vcc
	s_cbranch_execz .LBB950_159
; %bb.154:                              ;   in Loop: Header=BB950_15 Depth=1
	v_lshrrev_b32_e32 v32, 24, v30
	v_cmp_ne_u32_e32 vcc, s13, v32
	v_mov_b32_e32 v43, 0xffff8000
	s_and_saveexec_b64 s[6:7], vcc
	s_cbranch_execz .LBB950_158
; %bb.155:                              ;   in Loop: Header=BB950_15 Depth=1
	v_bfe_u32 v30, v30, 24, 7
	v_cmp_ne_u32_e32 vcc, s14, v30
	v_mov_b32_e32 v43, 0x7f80
	s_and_saveexec_b64 s[10:11], vcc
	s_cbranch_execz .LBB950_157
; %bb.156:                              ;   in Loop: Header=BB950_15 Depth=1
	v_and_b32_e32 v43, 7, v32
	v_ffbh_u32_e32 v44, v43
	v_min_u32_e32 v47, 32, v44
	v_subrev_u32_e32 v44, 28, v47
	v_lshlrev_b64 v[44:45], v44, v[32:33]
	v_lshrrev_b32_e32 v46, 3, v30
	v_sub_u32_e32 v45, 29, v47
	v_and_b32_e32 v44, 7, v44
	v_cmp_gt_u32_e32 vcc, 8, v30
	v_cndmask_b32_e32 v30, v46, v45, vcc
	v_cndmask_b32_e32 v43, v43, v44, vcc
	v_lshlrev_b32_e32 v32, 24, v32
	v_lshlrev_b32_e32 v43, 20, v43
	v_and_b32_e32 v32, 0x80000000, v32
	v_lshl_add_u32 v30, v30, 23, v33
	v_or3_b32 v30, v32, v30, v43
	v_lshrrev_b32_e32 v43, 16, v30
.LBB950_157:                            ;   in Loop: Header=BB950_15 Depth=1
	s_or_b64 exec, exec, s[10:11]
.LBB950_158:                            ;   in Loop: Header=BB950_15 Depth=1
	s_or_b64 exec, exec, s[6:7]
.LBB950_159:                            ;   in Loop: Header=BB950_15 Depth=1
	s_or_b64 exec, exec, s[4:5]
	v_perm_b32 v45, v38, v36, s16
	v_perm_b32 v44, v35, v23, s16
	;; [unrolled: 1-line block ×4, first 2 shown]
	s_waitcnt vmcnt(1)
	v_cmp_ne_u16_sdwa s[6:7], v28, v31 src0_sel:BYTE_0 src1_sel:DWORD
	v_mfma_f32_16x16x16bf16_1k v[18:21], v[44:45], v[10:11], v[18:21]
	v_mfma_f32_16x16x16bf16_1k v[18:21], v[42:43], v[12:13], v[18:21]
	s_and_saveexec_b64 s[4:5], s[6:7]
	s_cbranch_execz .LBB950_165
; %bb.160:                              ;   in Loop: Header=BB950_15 Depth=1
	v_cmp_ne_u16_sdwa s[10:11], v28, s13 src0_sel:BYTE_0 src1_sel:DWORD
	v_mov_b32_e32 v34, 0xffff8000
	s_and_saveexec_b64 s[6:7], s[10:11]
	s_cbranch_execz .LBB950_164
; %bb.161:                              ;   in Loop: Header=BB950_15 Depth=1
	v_and_b32_e32 v23, 0x7f, v28
	v_cmp_ne_u32_e32 vcc, s14, v23
	v_mov_b32_e32 v34, 0x7f80
	s_and_saveexec_b64 s[10:11], vcc
	s_cbranch_execz .LBB950_163
; %bb.162:                              ;   in Loop: Header=BB950_15 Depth=1
	v_and_b32_e32 v30, 7, v28
	v_ffbh_u32_e32 v34, v30
	v_min_u32_e32 v36, 32, v34
	v_subrev_u32_e32 v34, 28, v36
	v_lshlrev_b64 v[34:35], v34, v[28:29]
	v_lshrrev_b32_e32 v32, 3, v23
	v_sub_u32_e32 v35, 29, v36
	v_and_b32_e32 v34, 7, v34
	v_cmp_gt_u32_e32 vcc, 8, v23
	v_cndmask_b32_e32 v23, v32, v35, vcc
	v_cndmask_b32_e32 v30, v30, v34, vcc
	v_lshlrev_b32_e32 v32, 24, v28
	v_lshlrev_b32_e32 v30, 20, v30
	v_and_b32_e32 v32, 0x80000000, v32
	v_lshl_add_u32 v23, v23, 23, v33
	v_or3_b32 v23, v32, v23, v30
	v_lshrrev_b32_e32 v34, 16, v23
.LBB950_163:                            ;   in Loop: Header=BB950_15 Depth=1
	s_or_b64 exec, exec, s[10:11]
.LBB950_164:                            ;   in Loop: Header=BB950_15 Depth=1
	s_or_b64 exec, exec, s[6:7]
.LBB950_165:                            ;   in Loop: Header=BB950_15 Depth=1
	s_or_b64 exec, exec, s[4:5]
	v_lshrrev_b16_e32 v30, 8, v28
	v_cmp_ne_u16_e32 vcc, 0, v30
	v_mov_b32_e32 v32, 0
	v_mov_b32_e32 v23, 0
	s_and_saveexec_b64 s[4:5], vcc
	s_cbranch_execz .LBB950_171
; %bb.166:                              ;   in Loop: Header=BB950_15 Depth=1
	v_cmp_ne_u16_e32 vcc, s13, v30
	v_mov_b32_e32 v23, 0xffff8000
	s_and_saveexec_b64 s[6:7], vcc
	s_cbranch_execz .LBB950_170
; %bb.167:                              ;   in Loop: Header=BB950_15 Depth=1
	v_and_b32_e32 v35, 0x7f, v30
	v_cmp_ne_u32_e32 vcc, s14, v35
	v_mov_b32_e32 v23, 0x7f80
	s_and_saveexec_b64 s[10:11], vcc
	s_cbranch_execz .LBB950_169
; %bb.168:                              ;   in Loop: Header=BB950_15 Depth=1
	v_and_b32_e32 v23, 7, v30
	v_ffbh_u32_e32 v36, v23
	v_min_u32_e32 v40, 32, v36
	v_subrev_u32_e32 v36, 28, v40
	v_lshlrev_b64 v[36:37], v36, v[30:31]
	v_lshrrev_b32_e32 v38, 3, v35
	v_sub_u32_e32 v30, 29, v40
	v_and_b32_e32 v36, 7, v36
	v_cmp_gt_u32_e32 vcc, 8, v35
	v_cndmask_b32_e32 v30, v38, v30, vcc
	v_cndmask_b32_e32 v23, v23, v36, vcc
	v_lshlrev_b32_e32 v35, 16, v28
	v_lshlrev_b32_e32 v23, 20, v23
	v_and_b32_e32 v35, 0x80000000, v35
	v_lshl_add_u32 v30, v30, 23, v33
	v_or3_b32 v23, v35, v30, v23
	v_lshrrev_b32_e32 v23, 16, v23
.LBB950_169:                            ;   in Loop: Header=BB950_15 Depth=1
	s_or_b64 exec, exec, s[10:11]
.LBB950_170:                            ;   in Loop: Header=BB950_15 Depth=1
	s_or_b64 exec, exec, s[6:7]
.LBB950_171:                            ;   in Loop: Header=BB950_15 Depth=1
	s_or_b64 exec, exec, s[4:5]
	v_lshrrev_b32_e32 v30, 16, v28
	v_cmp_ne_u16_sdwa s[6:7], v30, v31 src0_sel:BYTE_0 src1_sel:DWORD
	s_and_saveexec_b64 s[4:5], s[6:7]
	s_cbranch_execz .LBB950_177
; %bb.172:                              ;   in Loop: Header=BB950_15 Depth=1
	v_cmp_ne_u16_sdwa s[10:11], v30, s13 src0_sel:BYTE_0 src1_sel:DWORD
	v_mov_b32_e32 v32, 0xffff8000
	s_and_saveexec_b64 s[6:7], s[10:11]
	s_cbranch_execz .LBB950_176
; %bb.173:                              ;   in Loop: Header=BB950_15 Depth=1
	v_bfe_u32 v35, v28, 16, 7
	v_cmp_ne_u32_e32 vcc, s14, v35
	v_mov_b32_e32 v32, 0x7f80
	s_and_saveexec_b64 s[10:11], vcc
	s_cbranch_execz .LBB950_175
; %bb.174:                              ;   in Loop: Header=BB950_15 Depth=1
	v_and_b32_e32 v32, 7, v30
	v_ffbh_u32_e32 v36, v32
	v_min_u32_e32 v40, 32, v36
	v_subrev_u32_e32 v36, 28, v40
	v_lshlrev_b64 v[36:37], v36, v[30:31]
	v_lshrrev_b32_e32 v38, 3, v35
	v_sub_u32_e32 v37, 29, v40
	v_and_b32_e32 v36, 7, v36
	v_cmp_gt_u32_e32 vcc, 8, v35
	v_cndmask_b32_e32 v35, v38, v37, vcc
	v_cndmask_b32_e32 v32, v32, v36, vcc
	v_lshlrev_b32_e32 v30, 24, v30
	v_lshlrev_b32_e32 v32, 20, v32
	v_and_b32_e32 v30, 0x80000000, v30
	v_lshl_add_u32 v35, v35, 23, v33
	v_or3_b32 v30, v30, v35, v32
	v_lshrrev_b32_e32 v32, 16, v30
.LBB950_175:                            ;   in Loop: Header=BB950_15 Depth=1
	s_or_b64 exec, exec, s[10:11]
.LBB950_176:                            ;   in Loop: Header=BB950_15 Depth=1
	s_or_b64 exec, exec, s[6:7]
.LBB950_177:                            ;   in Loop: Header=BB950_15 Depth=1
	s_or_b64 exec, exec, s[4:5]
	v_cmp_lt_u32_e32 vcc, s15, v28
	v_mov_b32_e32 v35, 0
	v_mov_b32_e32 v36, 0
	s_and_saveexec_b64 s[4:5], vcc
	s_cbranch_execz .LBB950_183
; %bb.178:                              ;   in Loop: Header=BB950_15 Depth=1
	v_lshrrev_b32_e32 v30, 24, v28
	v_cmp_ne_u32_e32 vcc, s13, v30
	v_mov_b32_e32 v36, 0xffff8000
	s_and_saveexec_b64 s[6:7], vcc
	s_cbranch_execz .LBB950_182
; %bb.179:                              ;   in Loop: Header=BB950_15 Depth=1
	v_bfe_u32 v28, v28, 24, 7
	v_cmp_ne_u32_e32 vcc, s14, v28
	v_mov_b32_e32 v36, 0x7f80
	s_and_saveexec_b64 s[10:11], vcc
	s_cbranch_execz .LBB950_181
; %bb.180:                              ;   in Loop: Header=BB950_15 Depth=1
	v_and_b32_e32 v38, 7, v30
	v_ffbh_u32_e32 v36, v38
	v_min_u32_e32 v42, 32, v36
	v_subrev_u32_e32 v36, 28, v42
	v_lshlrev_b64 v[36:37], v36, v[30:31]
	v_lshrrev_b32_e32 v40, 3, v28
	v_sub_u32_e32 v37, 29, v42
	v_and_b32_e32 v36, 7, v36
	v_cmp_gt_u32_e32 vcc, 8, v28
	v_cndmask_b32_e32 v28, v40, v37, vcc
	v_cndmask_b32_e32 v36, v38, v36, vcc
	v_lshlrev_b32_e32 v30, 24, v30
	v_lshlrev_b32_e32 v36, 20, v36
	v_and_b32_e32 v30, 0x80000000, v30
	v_lshl_add_u32 v28, v28, 23, v33
	v_or3_b32 v28, v30, v28, v36
	v_lshrrev_b32_e32 v36, 16, v28
.LBB950_181:                            ;   in Loop: Header=BB950_15 Depth=1
	s_or_b64 exec, exec, s[10:11]
.LBB950_182:                            ;   in Loop: Header=BB950_15 Depth=1
	s_or_b64 exec, exec, s[6:7]
.LBB950_183:                            ;   in Loop: Header=BB950_15 Depth=1
	s_or_b64 exec, exec, s[4:5]
	s_waitcnt vmcnt(0)
	v_cmp_ne_u16_sdwa s[6:7], v26, v31 src0_sel:BYTE_0 src1_sel:DWORD
	s_and_saveexec_b64 s[4:5], s[6:7]
	s_cbranch_execz .LBB950_189
; %bb.184:                              ;   in Loop: Header=BB950_15 Depth=1
	v_cmp_ne_u16_sdwa s[10:11], v26, s13 src0_sel:BYTE_0 src1_sel:DWORD
	v_mov_b32_e32 v35, 0xffff8000
	s_and_saveexec_b64 s[6:7], s[10:11]
	s_cbranch_execz .LBB950_188
; %bb.185:                              ;   in Loop: Header=BB950_15 Depth=1
	v_and_b32_e32 v28, 0x7f, v26
	v_cmp_ne_u32_e32 vcc, s14, v28
	v_mov_b32_e32 v35, 0x7f80
	s_and_saveexec_b64 s[10:11], vcc
	s_cbranch_execz .LBB950_187
; %bb.186:                              ;   in Loop: Header=BB950_15 Depth=1
	v_and_b32_e32 v30, 7, v26
	v_ffbh_u32_e32 v37, v30
	v_min_u32_e32 v37, 32, v37
	v_subrev_u32_e32 v38, 28, v37
	v_lshlrev_b64 v[42:43], v38, v[26:27]
	v_lshrrev_b32_e32 v35, 3, v28
	v_sub_u32_e32 v37, 29, v37
	v_and_b32_e32 v38, 7, v42
	v_cmp_gt_u32_e32 vcc, 8, v28
	v_cndmask_b32_e32 v28, v35, v37, vcc
	v_cndmask_b32_e32 v30, v30, v38, vcc
	v_lshlrev_b32_e32 v35, 24, v26
	v_lshlrev_b32_e32 v30, 20, v30
	v_and_b32_e32 v35, 0x80000000, v35
	v_lshl_add_u32 v28, v28, 23, v33
	v_or3_b32 v28, v35, v28, v30
	v_lshrrev_b32_e32 v35, 16, v28
.LBB950_187:                            ;   in Loop: Header=BB950_15 Depth=1
	s_or_b64 exec, exec, s[10:11]
.LBB950_188:                            ;   in Loop: Header=BB950_15 Depth=1
	s_or_b64 exec, exec, s[6:7]
.LBB950_189:                            ;   in Loop: Header=BB950_15 Depth=1
	s_or_b64 exec, exec, s[4:5]
	v_lshrrev_b16_e32 v28, 8, v26
	v_cmp_ne_u16_e32 vcc, 0, v28
	v_mov_b32_e32 v37, 0
	v_mov_b32_e32 v30, 0
	s_and_saveexec_b64 s[4:5], vcc
	s_cbranch_execz .LBB950_195
; %bb.190:                              ;   in Loop: Header=BB950_15 Depth=1
	v_cmp_ne_u16_e32 vcc, s13, v28
	v_mov_b32_e32 v30, 0xffff8000
	s_and_saveexec_b64 s[6:7], vcc
	s_cbranch_execz .LBB950_194
; %bb.191:                              ;   in Loop: Header=BB950_15 Depth=1
	v_and_b32_e32 v38, 0x7f, v28
	v_cmp_ne_u32_e32 vcc, s14, v38
	v_mov_b32_e32 v30, 0x7f80
	s_and_saveexec_b64 s[10:11], vcc
	s_cbranch_execz .LBB950_193
; %bb.192:                              ;   in Loop: Header=BB950_15 Depth=1
	v_and_b32_e32 v30, 7, v28
	v_ffbh_u32_e32 v42, v30
	v_min_u32_e32 v44, 32, v42
	v_subrev_u32_e32 v42, 28, v44
	v_lshlrev_b64 v[42:43], v42, v[28:29]
	v_lshrrev_b32_e32 v40, 3, v38
	v_sub_u32_e32 v28, 29, v44
	v_and_b32_e32 v42, 7, v42
	v_cmp_gt_u32_e32 vcc, 8, v38
	v_cndmask_b32_e32 v28, v40, v28, vcc
	v_cndmask_b32_e32 v30, v30, v42, vcc
	v_lshlrev_b32_e32 v38, 16, v26
	v_lshlrev_b32_e32 v30, 20, v30
	v_and_b32_e32 v38, 0x80000000, v38
	v_lshl_add_u32 v28, v28, 23, v33
	v_or3_b32 v28, v38, v28, v30
	v_lshrrev_b32_e32 v30, 16, v28
.LBB950_193:                            ;   in Loop: Header=BB950_15 Depth=1
	s_or_b64 exec, exec, s[10:11]
.LBB950_194:                            ;   in Loop: Header=BB950_15 Depth=1
	s_or_b64 exec, exec, s[6:7]
.LBB950_195:                            ;   in Loop: Header=BB950_15 Depth=1
	s_or_b64 exec, exec, s[4:5]
	v_lshrrev_b32_e32 v28, 16, v26
	v_cmp_ne_u16_sdwa s[6:7], v28, v31 src0_sel:BYTE_0 src1_sel:DWORD
	s_and_saveexec_b64 s[4:5], s[6:7]
	s_cbranch_execz .LBB950_201
; %bb.196:                              ;   in Loop: Header=BB950_15 Depth=1
	v_cmp_ne_u16_sdwa s[10:11], v28, s13 src0_sel:BYTE_0 src1_sel:DWORD
	v_mov_b32_e32 v37, 0xffff8000
	s_and_saveexec_b64 s[6:7], s[10:11]
	s_cbranch_execz .LBB950_200
; %bb.197:                              ;   in Loop: Header=BB950_15 Depth=1
	v_bfe_u32 v38, v26, 16, 7
	v_cmp_ne_u32_e32 vcc, s14, v38
	v_mov_b32_e32 v37, 0x7f80
	s_and_saveexec_b64 s[10:11], vcc
	s_cbranch_execz .LBB950_199
; %bb.198:                              ;   in Loop: Header=BB950_15 Depth=1
	v_and_b32_e32 v37, 7, v28
	v_ffbh_u32_e32 v42, v37
	v_min_u32_e32 v44, 32, v42
	v_subrev_u32_e32 v42, 28, v44
	v_lshlrev_b64 v[42:43], v42, v[28:29]
	v_lshrrev_b32_e32 v40, 3, v38
	v_sub_u32_e32 v43, 29, v44
	v_and_b32_e32 v42, 7, v42
	v_cmp_gt_u32_e32 vcc, 8, v38
	v_cndmask_b32_e32 v38, v40, v43, vcc
	v_cndmask_b32_e32 v37, v37, v42, vcc
	v_lshlrev_b32_e32 v28, 24, v28
	v_lshlrev_b32_e32 v37, 20, v37
	v_and_b32_e32 v28, 0x80000000, v28
	v_lshl_add_u32 v38, v38, 23, v33
	v_or3_b32 v28, v28, v38, v37
	v_lshrrev_b32_e32 v37, 16, v28
.LBB950_199:                            ;   in Loop: Header=BB950_15 Depth=1
	s_or_b64 exec, exec, s[10:11]
.LBB950_200:                            ;   in Loop: Header=BB950_15 Depth=1
	s_or_b64 exec, exec, s[6:7]
.LBB950_201:                            ;   in Loop: Header=BB950_15 Depth=1
	s_or_b64 exec, exec, s[4:5]
	v_cmp_lt_u32_e32 vcc, s15, v26
	v_mov_b32_e32 v38, 0
	s_and_saveexec_b64 s[4:5], vcc
	s_cbranch_execz .LBB950_14
; %bb.202:                              ;   in Loop: Header=BB950_15 Depth=1
	v_lshrrev_b32_e32 v28, 24, v26
	v_cmp_ne_u32_e32 vcc, s13, v28
	v_mov_b32_e32 v38, 0xffff8000
	s_and_saveexec_b64 s[6:7], vcc
	s_cbranch_execz .LBB950_13
; %bb.203:                              ;   in Loop: Header=BB950_15 Depth=1
	v_bfe_u32 v26, v26, 24, 7
	v_cmp_ne_u32_e32 vcc, s14, v26
	v_mov_b32_e32 v38, 0x7f80
	s_and_saveexec_b64 s[10:11], vcc
	s_cbranch_execz .LBB950_12
; %bb.204:                              ;   in Loop: Header=BB950_15 Depth=1
	v_and_b32_e32 v38, 7, v28
	v_ffbh_u32_e32 v42, v38
	v_min_u32_e32 v44, 32, v42
	v_subrev_u32_e32 v42, 28, v44
	v_lshlrev_b64 v[42:43], v42, v[28:29]
	v_lshrrev_b32_e32 v40, 3, v26
	v_sub_u32_e32 v43, 29, v44
	v_and_b32_e32 v42, 7, v42
	v_cmp_gt_u32_e32 vcc, 8, v26
	v_cndmask_b32_e32 v26, v40, v43, vcc
	v_cndmask_b32_e32 v38, v38, v42, vcc
	v_lshlrev_b32_e32 v28, 24, v28
	v_lshlrev_b32_e32 v38, 20, v38
	v_and_b32_e32 v28, 0x80000000, v28
	v_lshl_add_u32 v26, v26, 23, v33
	v_or3_b32 v26, v28, v26, v38
	v_lshrrev_b32_e32 v38, 16, v26
	s_branch .LBB950_12
.LBB950_205:
	buffer_load_dword v13, off, s[0:3], 0 offset:256
	buffer_load_dword v14, off, s[0:3], 0 offset:260
	;; [unrolled: 1-line block ×16, first 2 shown]
	v_and_b32_e32 v12, 0xc0, v0
	v_add_u32_e32 v12, s20, v12
	v_lshl_or_b32 v12, v1, 2, v12
	v_or_b32_e32 v23, 1, v12
	v_mov_b32_e32 v19, 0xff7fffff
	v_or_b32_e32 v24, 2, v12
	v_or_b32_e32 v25, 3, v12
	v_cmp_gt_i32_e64 s[26:27], s33, v12
	v_cmp_gt_i32_e64 s[28:29], s33, v23
	s_mov_b32 s52, 0xff7fffff
	v_or_b32_e32 v26, 16, v12
	v_or_b32_e32 v27, 17, v12
	;; [unrolled: 1-line block ×12, first 2 shown]
	v_cmp_gt_i32_e64 s[30:31], s33, v24
	v_cmp_gt_i32_e64 s[34:35], s33, v25
	v_mbcnt_lo_u32_b32 v20, -1, 0
	v_cmp_gt_i32_e64 s[36:37], s33, v26
	v_cmp_gt_i32_e64 s[38:39], s33, v27
	v_mbcnt_hi_u32_b32 v20, -1, v20
	v_cmp_gt_i32_e64 s[20:21], s33, v28
	v_cmp_gt_i32_e64 s[22:23], s33, v29
	v_and_b32_e32 v21, 64, v20
	v_cmp_gt_i32_e64 s[16:17], s33, v30
	v_cmp_gt_i32_e64 s[18:19], s33, v31
	v_xor_b32_e32 v22, 32, v20
	v_add_u32_e32 v21, 64, v21
	v_cmp_gt_i32_e64 s[12:13], s33, v32
	v_cmp_gt_i32_e64 s[14:15], s33, v33
	v_cmp_lt_i32_e32 vcc, v22, v21
	v_cmp_gt_i32_e64 s[6:7], s33, v34
	v_cmp_gt_i32_e64 s[10:11], s33, v35
	v_cndmask_b32_e32 v22, v20, v22, vcc
	v_cmp_gt_i32_e32 vcc, s33, v36
	v_cmp_gt_i32_e64 s[4:5], s33, v37
	v_lshlrev_b32_e32 v22, 2, v22
	s_waitcnt vmcnt(15)
	v_cndmask_b32_e64 v12, v19, v13, s[26:27]
	s_waitcnt vmcnt(14)
	v_cndmask_b32_e64 v23, v19, v14, s[28:29]
	s_waitcnt vmcnt(13)
	v_cndmask_b32_e64 v24, v19, v15, s[30:31]
	s_waitcnt vmcnt(12)
	v_cndmask_b32_e64 v25, v19, v16, s[34:35]
	v_max3_f32 v12, v12, s52, v23
	s_waitcnt vmcnt(11)
	v_cndmask_b32_e64 v26, v19, v17, s[36:37]
	s_waitcnt vmcnt(10)
	v_cndmask_b32_e64 v27, v19, v18, s[38:39]
	v_max3_f32 v12, v12, v24, v25
	s_waitcnt vmcnt(9)
	v_cndmask_b32_e64 v28, v19, v11, s[20:21]
	s_waitcnt vmcnt(8)
	v_cndmask_b32_e64 v29, v19, v10, s[22:23]
	;; [unrolled: 5-line block ×5, first 2 shown]
	v_max3_f32 v12, v12, v32, v33
	s_waitcnt vmcnt(1)
	v_cndmask_b32_e32 v36, v19, v3, vcc
	s_waitcnt vmcnt(0)
	v_cndmask_b32_e64 v19, v19, v2, s[4:5]
	v_max3_f32 v12, v12, v34, v35
	v_max3_f32 v12, v12, v36, v19
	ds_bpermute_b32 v19, v22, v12
	v_xor_b32_e32 v23, 16, v20
	v_cmp_lt_i32_e64 s[40:41], v23, v21
	v_cndmask_b32_e64 v20, v20, v23, s[40:41]
	v_lshlrev_b32_e32 v20, 2, v20
	s_waitcnt lgkmcnt(0)
	v_max_f32_e32 v19, v19, v19
	v_max_f32_e32 v12, v12, v19
	ds_bpermute_b32 v19, v20, v12
	s_waitcnt lgkmcnt(0)
	v_max_f32_e32 v19, v19, v19
	v_max_f32_e32 v12, v12, v19
	v_sub_f32_e32 v13, v13, v12
	v_sub_f32_e32 v14, v14, v12
	;; [unrolled: 1-line block ×3, first 2 shown]
	v_mul_f32_e32 v13, 0x3fb8aa3b, v13
	v_mul_f32_e32 v14, 0x3fb8aa3b, v14
	;; [unrolled: 1-line block ×3, first 2 shown]
	v_exp_f32_e32 v13, v13
	v_exp_f32_e32 v14, v14
	;; [unrolled: 1-line block ×3, first 2 shown]
	v_sub_f32_e32 v16, v16, v12
	v_cndmask_b32_e64 v13, 0, v13, s[26:27]
	v_mul_f32_e32 v16, 0x3fb8aa3b, v16
	v_cndmask_b32_e64 v14, 0, v14, s[28:29]
	v_cndmask_b32_e64 v15, 0, v15, s[30:31]
	v_add_f32_e32 v19, 0, v13
	buffer_store_dword v13, off, s[0:3], 0 offset:256
	buffer_store_dword v14, off, s[0:3], 0 offset:260
	;; [unrolled: 1-line block ×3, first 2 shown]
	v_sub_f32_e32 v13, v17, v12
	v_exp_f32_e32 v16, v16
	v_add_f32_e32 v19, v19, v14
	v_mul_f32_e32 v13, 0x3fb8aa3b, v13
	v_sub_f32_e32 v14, v18, v12
	v_exp_f32_e32 v13, v13
	v_mul_f32_e32 v14, 0x3fb8aa3b, v14
	v_sub_f32_e32 v11, v11, v12
	v_exp_f32_e32 v14, v14
	;; [unrolled: 3-line block ×3, first 2 shown]
	v_mul_f32_e32 v10, 0x3fb8aa3b, v10
	v_sub_f32_e32 v9, v9, v12
	v_cndmask_b32_e64 v16, 0, v16, s[34:35]
	v_add_f32_e32 v19, v19, v15
	v_exp_f32_e32 v10, v10
	v_mul_f32_e32 v9, 0x3fb8aa3b, v9
	v_sub_f32_e32 v8, v8, v12
	v_add_f32_e32 v19, v19, v16
	v_cndmask_b32_e64 v13, 0, v13, s[36:37]
	v_exp_f32_e32 v9, v9
	v_mul_f32_e32 v8, 0x3fb8aa3b, v8
	v_sub_f32_e32 v7, v7, v12
	v_add_f32_e32 v15, v19, v13
	v_cndmask_b32_e64 v14, 0, v14, s[38:39]
	;; [unrolled: 5-line block ×5, first 2 shown]
	v_exp_f32_e32 v5, v5
	v_mul_f32_e32 v4, 0x3fb8aa3b, v4
	v_sub_f32_e32 v3, v3, v12
	buffer_store_dword v16, off, s[0:3], 0 offset:268
	buffer_store_dword v13, off, s[0:3], 0 offset:272
	;; [unrolled: 1-line block ×5, first 2 shown]
	v_add_f32_e32 v10, v15, v9
	v_cndmask_b32_e64 v8, 0, v8, s[18:19]
	v_exp_f32_e32 v4, v4
	v_mul_f32_e32 v3, 0x3fb8aa3b, v3
	v_sub_f32_e32 v2, v2, v12
	v_add_f32_e32 v10, v10, v8
	v_cndmask_b32_e64 v7, 0, v7, s[12:13]
	v_exp_f32_e32 v3, v3
	v_mul_f32_e32 v2, 0x3fb8aa3b, v2
	v_add_f32_e32 v10, v10, v7
	v_cndmask_b32_e64 v6, 0, v6, s[14:15]
	v_exp_f32_e32 v2, v2
	v_add_f32_e32 v10, v10, v6
	v_cndmask_b32_e64 v5, 0, v5, s[6:7]
	buffer_store_dword v9, off, s[0:3], 0 offset:288
	buffer_store_dword v8, off, s[0:3], 0 offset:292
	;; [unrolled: 1-line block ×4, first 2 shown]
	v_add_f32_e32 v6, v10, v5
	v_cndmask_b32_e64 v4, 0, v4, s[10:11]
	v_add_f32_e32 v6, v6, v4
	v_cndmask_b32_e32 v3, 0, v3, vcc
	v_add_f32_e32 v6, v6, v3
	v_cndmask_b32_e64 v2, 0, v2, s[4:5]
	v_add_f32_e32 v6, v6, v2
	ds_bpermute_b32 v7, v22, v6
	buffer_store_dword v5, off, s[0:3], 0 offset:304
	buffer_store_dword v4, off, s[0:3], 0 offset:308
	;; [unrolled: 1-line block ×4, first 2 shown]
	v_cmp_gt_u32_e64 s[4:5], 16, v64
	s_waitcnt lgkmcnt(0)
	s_barrier
	v_add_f32_e32 v2, v6, v7
	ds_bpermute_b32 v3, v20, v2
	s_waitcnt lgkmcnt(0)
	s_and_saveexec_b64 s[6:7], s[4:5]
	s_cbranch_execz .LBB950_207
; %bb.206:
	v_add_f32_e32 v2, v2, v3
	v_lshlrev_b32_e32 v3, 2, v63
	ds_write2st64_b32 v3, v12, v2 offset1:1
.LBB950_207:
	s_or_b64 exec, exec, s[6:7]
	v_lshlrev_b32_e32 v2, 2, v55
	s_waitcnt lgkmcnt(0)
	s_barrier
	ds_read2_b32 v[14:15], v2 offset1:16
	ds_read2_b32 v[16:17], v2 offset0:32 offset1:48
	ds_read2_b32 v[6:7], v2 offset0:64 offset1:80
	ds_read2_b32 v[12:13], v2 offset0:96 offset1:112
	s_waitcnt lgkmcnt(0)
	s_barrier
	buffer_load_dword v22, off, s[0:3], 0 offset:264
	buffer_load_dword v23, off, s[0:3], 0 offset:268
	;; [unrolled: 1-line block ×16, first 2 shown]
	v_max3_f32 v20, v14, s52, v15
	v_max3_f32 v20, v20, v16, v17
	v_sub_f32_e32 v14, v14, v20
	v_sub_f32_e32 v15, v15, v20
	v_mul_f32_e32 v14, 0x3fb8aa3b, v14
	v_sub_f32_e32 v16, v16, v20
	v_mul_f32_e32 v15, 0x3fb8aa3b, v15
	v_exp_f32_e32 v14, v14
	v_sub_f32_e32 v17, v17, v20
	v_mul_f32_e32 v16, 0x3fb8aa3b, v16
	v_exp_f32_e32 v15, v15
	v_mul_f32_e32 v17, 0x3fb8aa3b, v17
	v_exp_f32_e32 v16, v16
	v_exp_f32_e32 v17, v17
	v_fma_f32 v6, v14, v6, 0
	v_fmac_f32_e32 v6, v15, v7
	v_fmac_f32_e32 v6, v16, v12
	;; [unrolled: 1-line block ×3, first 2 shown]
	v_cmp_eq_u32_e32 vcc, 1, v62
	v_add_f32_e32 v12, 0x358637bd, v6
	v_cndmask_b32_e32 v14, v14, v15, vcc
	v_cmp_eq_u32_e32 vcc, 2, v62
	v_div_scale_f32 v13, s[6:7], v12, v12, 1.0
	v_cndmask_b32_e32 v7, v14, v16, vcc
	v_rcp_f32_e32 v14, v13
	v_cmp_eq_u32_e32 vcc, 3, v62
	v_cndmask_b32_e32 v7, v7, v17, vcc
	v_div_scale_f32 v15, vcc, 1.0, v12, 1.0
	v_fma_f32 v16, -v13, v14, 1.0
	v_fmac_f32_e32 v14, v16, v14
	v_mul_f32_e32 v16, v15, v14
	v_fma_f32 v17, -v13, v16, v15
	v_fmac_f32_e32 v16, v17, v14
	v_fma_f32 v13, -v13, v16, v15
	v_div_fmas_f32 v13, v13, v14, v16
	v_div_fixup_f32 v12, v13, v12, 1.0
	v_mul_f32_e32 v12, v7, v12
	s_movk_i32 s21, 0x7fff
	s_mov_b32 s22, 0x7060302
	s_mul_i32 s20, s51, 9
	v_cmp_gt_u32_e32 vcc, 9, v0
	s_waitcnt vmcnt(14)
	v_pk_mul_f32 v[14:15], v[12:13], v[22:23] op_sel_hi:[0,1]
	v_bfe_u32 v21, v15, 16, 1
	s_waitcnt vmcnt(12)
	v_pk_mul_f32 v[16:17], v[12:13], v[24:25] op_sel_hi:[0,1]
	v_bfe_u32 v7, v17, 16, 1
	v_bfe_u32 v13, v16, 16, 1
	;; [unrolled: 1-line block ×3, first 2 shown]
	v_add3_u32 v13, v16, v13, s21
	v_add3_u32 v7, v17, v7, s21
	buffer_store_dword v16, off, s[0:3], 0 offset:256
	buffer_store_dword v17, off, s[0:3], 0 offset:260
	;; [unrolled: 1-line block ×4, first 2 shown]
	v_add3_u32 v16, v14, v22, s21
	v_add3_u32 v15, v15, v21, s21
	v_perm_b32 v14, v7, v13, s22
	v_lshlrev_b32_e32 v13, 3, v1
	v_perm_b32 v15, v15, v16, s22
	v_lshlrev_b32_e32 v7, 5, v55
	v_lshlrev_b32_e32 v16, 11, v62
	s_waitcnt vmcnt(12)
	v_pk_mul_f32 v[8:9], v[12:13], v[8:9] op_sel_hi:[0,1]
	v_or3_b32 v43, v16, v7, v13
	v_pk_mul_f32 v[10:11], v[12:13], v[10:11] op_sel_hi:[0,1]
	v_bfe_u32 v13, v9, 16, 1
	v_bfe_u32 v16, v8, 16, 1
	buffer_store_dword v8, off, s[0:3], 0 offset:272
	buffer_store_dword v9, off, s[0:3], 0 offset:276
	;; [unrolled: 1-line block ×4, first 2 shown]
	v_add3_u32 v8, v8, v16, s21
	v_add3_u32 v9, v9, v13, s21
	v_perm_b32 v8, v9, v8, s22
	v_bfe_u32 v9, v11, 16, 1
	v_bfe_u32 v13, v10, 16, 1
	v_add3_u32 v10, v10, v13, s21
	v_add3_u32 v9, v11, v9, s21
	v_perm_b32 v9, v9, v10, s22
	s_waitcnt vmcnt(14)
	v_pk_mul_f32 v[10:11], v[12:13], v[18:19] op_sel_hi:[0,1]
	ds_write2st64_b64 v43, v[14:15], v[8:9] offset1:1
	s_waitcnt vmcnt(12)
	v_pk_mul_f32 v[8:9], v[12:13], v[26:27] op_sel_hi:[0,1]
	v_bfe_u32 v13, v11, 16, 1
	v_bfe_u32 v14, v10, 16, 1
	buffer_store_dword v10, off, s[0:3], 0 offset:288
	buffer_store_dword v11, off, s[0:3], 0 offset:292
	;; [unrolled: 1-line block ×4, first 2 shown]
	v_add3_u32 v10, v10, v14, s21
	v_add3_u32 v11, v11, v13, s21
	v_perm_b32 v10, v11, v10, s22
	v_bfe_u32 v11, v9, 16, 1
	v_bfe_u32 v13, v8, 16, 1
	v_add3_u32 v8, v8, v13, s21
	v_add3_u32 v9, v9, v11, s21
	s_waitcnt vmcnt(14)
	v_pk_mul_f32 v[2:3], v[12:13], v[2:3] op_sel_hi:[0,1]
	v_perm_b32 v11, v9, v8, s22
	v_bfe_u32 v8, v3, 16, 1
	v_bfe_u32 v9, v2, 16, 1
	s_waitcnt vmcnt(12)
	v_pk_mul_f32 v[4:5], v[12:13], v[4:5] op_sel_hi:[0,1]
	buffer_store_dword v2, off, s[0:3], 0 offset:304
	buffer_store_dword v3, off, s[0:3], 0 offset:308
	;; [unrolled: 1-line block ×4, first 2 shown]
	v_add3_u32 v2, v2, v9, s21
	v_add3_u32 v3, v3, v8, s21
	v_perm_b32 v2, v3, v2, s22
	v_bfe_u32 v3, v5, 16, 1
	v_bfe_u32 v8, v4, 16, 1
	v_add3_u32 v4, v4, v8, s21
	v_add3_u32 v3, v5, v3, s21
	v_perm_b32 v3, v3, v4, s22
	ds_write2st64_b64 v43, v[10:11], v[2:3] offset0:2 offset1:3
	s_and_saveexec_b64 s[6:7], vcc
	s_cbranch_execz .LBB950_209
; %bb.208:
	v_add_co_u32_e32 v4, vcc, s25, v55
	v_addc_co_u32_e64 v5, s[10:11], 0, 0, vcc
	v_mov_b32_e32 v2, s20
	v_mov_b32_e32 v3, 0
	v_mad_u64_u32 v[4:5], s[10:11], s8, v2, v[4:5]
	v_mov_b32_e32 v2, s24
	s_mul_i32 s9, s9, s20
	v_mad_u64_u32 v[2:3], s[10:11], v4, s50, v[2:3]
	v_add_u32_e32 v5, s9, v5
	v_mov_b32_e32 v4, v3
	v_mad_u64_u32 v[4:5], s[10:11], v5, s50, v[4:5]
	v_mov_b32_e32 v3, v4
	v_lshlrev_b64 v[2:3], 2, v[2:3]
	v_mov_b32_e32 v5, s47
	v_add_co_u32_e32 v4, vcc, s46, v2
	v_addc_co_u32_e32 v5, vcc, v5, v3, vcc
	global_store_dword v[4:5], v20, off
	v_mov_b32_e32 v4, s45
	v_add_co_u32_e32 v2, vcc, s44, v2
	v_addc_co_u32_e32 v3, vcc, v4, v3, vcc
	global_store_dword v[2:3], v6, off
.LBB950_209:
	s_or_b64 exec, exec, s[6:7]
	v_lshl_or_b32 v30, v1, 9, v7
	s_waitcnt lgkmcnt(0)
	s_barrier
	s_load_dword s6, s[42:43], 0x0
	ds_read_b128 v[2:5], v30
	ds_read_b128 v[6:9], v30 offset:16
	ds_read_b128 v[10:13], v30 offset:2048
	;; [unrolled: 1-line block ×7, first 2 shown]
	v_mov_b32_e32 v35, 0x80
	v_mov_b32_e32 v45, 0x140
	s_mov_b64 s[12:13], -1
	s_waitcnt lgkmcnt(0)
	s_mov_b32 s7, s6
	s_mov_b32 s10, s6
	;; [unrolled: 1-line block ×3, first 2 shown]
	s_movk_i32 s9, 0x80
	s_movk_i32 s23, 0x7f
	s_mov_b32 s26, 0xffffff
	s_mov_b32 s27, 0x5040100
	v_mov_b32_e32 v47, 0
	v_bfrev_b32_e32 v48, 60
	s_branch .LBB950_213
.LBB950_210:                            ;   in Loop: Header=BB950_213 Depth=1
	s_or_b64 exec, exec, s[18:19]
.LBB950_211:                            ;   in Loop: Header=BB950_213 Depth=1
	s_or_b64 exec, exec, s[16:17]
.LBB950_212:                            ;   in Loop: Header=BB950_213 Depth=1
	s_or_b64 exec, exec, s[14:15]
	v_perm_b32 v61, v50, v46, s27
	v_perm_b32 v60, v44, v41, s27
	s_xor_b64 s[14:15], s[12:13], -1
	s_mov_b64 s[12:13], 0
	s_and_b64 vcc, exec, s[14:15]
	v_mfma_f32_16x16x16bf16_1k v[62:65], v[60:61], v[30:31], v[34:37]
	v_mov_b32_e32 v61, v58
	v_mov_b32_e32 v60, v59
	s_nop 4
	v_perm_b32 v37, v52, v51, s27
	v_perm_b32 v36, v42, v49, s27
	v_mov_b32_e32 v35, v57
	s_nop 0
	v_mfma_f32_16x16x16bf16_1k v[50:53], v[36:37], v[32:33], v[62:65]
	s_nop 7
	s_nop 2
	v_pk_mul_f32 v[40:41], v[50:51], s[6:7]
	v_pk_mul_f32 v[36:37], v[52:53], s[10:11]
	v_bfe_u32 v34, v41, 16, 1
	v_bfe_u32 v38, v40, 16, 1
	v_bfe_u32 v42, v37, 16, 1
	v_bfe_u32 v44, v36, 16, 1
	v_add3_u32 v38, v40, v38, s21
	v_add3_u32 v34, v41, v34, s21
	;; [unrolled: 1-line block ×4, first 2 shown]
	v_perm_b32 v34, v34, v38, s22
	v_perm_b32 v36, v37, v36, s22
	buffer_store_dword v34, v45, s[0:3], 0 offen
	buffer_store_dword v36, v45, s[0:3], 0 offen offset:4
	v_mov_b32_e32 v45, 0x148
	v_mov_b32_e32 v41, v39
	s_cbranch_vccnz .LBB950_595
.LBB950_213:                            ; =>This Inner Loop Header: Depth=1
	buffer_load_dword v36, v35, s[0:3], 0 offen
	buffer_load_dword v34, v35, s[0:3], 0 offen offset:4
	buffer_load_dword v40, v35, s[0:3], 0 offen offset:8
	;; [unrolled: 1-line block ×3, first 2 shown]
	v_mov_b32_e32 v35, 0
	s_waitcnt vmcnt(3)
	v_cmp_ne_u16_sdwa s[16:17], v36, v47 src0_sel:BYTE_0 src1_sel:DWORD
	s_and_saveexec_b64 s[14:15], s[16:17]
	s_cbranch_execz .LBB950_219
; %bb.214:                              ;   in Loop: Header=BB950_213 Depth=1
	v_cmp_ne_u16_sdwa s[18:19], v36, s9 src0_sel:BYTE_0 src1_sel:DWORD
	v_mov_b32_e32 v35, 0xffff8000
	s_and_saveexec_b64 s[16:17], s[18:19]
	s_cbranch_execz .LBB950_218
; %bb.215:                              ;   in Loop: Header=BB950_213 Depth=1
	v_and_b32_e32 v37, 0x7f, v36
	v_cmp_ne_u32_e32 vcc, s23, v37
	v_mov_b32_e32 v35, 0x7f80
	s_and_saveexec_b64 s[18:19], vcc
	s_cbranch_execz .LBB950_217
; %bb.216:                              ;   in Loop: Header=BB950_213 Depth=1
	v_and_b32_e32 v35, 7, v36
	v_ffbh_u32_e32 v44, v35
	v_min_u32_e32 v44, 32, v44
	v_subrev_u32_e32 v46, 28, v44
	v_lshlrev_b64 v[50:51], v46, v[36:37]
	v_lshrrev_b32_e32 v42, 3, v37
	v_sub_u32_e32 v44, 29, v44
	v_and_b32_e32 v46, 7, v50
	v_cmp_gt_u32_e32 vcc, 8, v37
	v_cndmask_b32_e32 v37, v42, v44, vcc
	v_cndmask_b32_e32 v35, v35, v46, vcc
	v_lshlrev_b32_e32 v42, 24, v36
	v_lshlrev_b32_e32 v35, 20, v35
	v_and_b32_e32 v42, 0x80000000, v42
	v_lshl_add_u32 v37, v37, 23, v48
	v_or3_b32 v35, v42, v37, v35
	v_lshrrev_b32_e32 v35, 16, v35
.LBB950_217:                            ;   in Loop: Header=BB950_213 Depth=1
	s_or_b64 exec, exec, s[18:19]
.LBB950_218:                            ;   in Loop: Header=BB950_213 Depth=1
	s_or_b64 exec, exec, s[16:17]
.LBB950_219:                            ;   in Loop: Header=BB950_213 Depth=1
	s_or_b64 exec, exec, s[14:15]
	v_lshrrev_b16_e32 v42, 8, v36
	v_cmp_ne_u16_e32 vcc, 0, v42
	v_mov_b32_e32 v46, 0
	v_mov_b32_e32 v37, 0
	s_and_saveexec_b64 s[14:15], vcc
	s_cbranch_execz .LBB950_225
; %bb.220:                              ;   in Loop: Header=BB950_213 Depth=1
	v_cmp_ne_u16_e32 vcc, s9, v42
	v_mov_b32_e32 v37, 0xffff8000
	s_and_saveexec_b64 s[16:17], vcc
	s_cbranch_execz .LBB950_224
; %bb.221:                              ;   in Loop: Header=BB950_213 Depth=1
	v_and_b32_e32 v44, 0x7f, v42
	v_cmp_ne_u32_e32 vcc, s23, v44
	v_mov_b32_e32 v37, 0x7f80
	s_and_saveexec_b64 s[18:19], vcc
	s_cbranch_execz .LBB950_223
; %bb.222:                              ;   in Loop: Header=BB950_213 Depth=1
	v_and_b32_e32 v37, 7, v42
	v_ffbh_u32_e32 v50, v37
	v_min_u32_e32 v52, 32, v50
	v_subrev_u32_e32 v50, 28, v52
	v_lshlrev_b64 v[50:51], v50, v[42:43]
	v_lshrrev_b32_e32 v49, 3, v44
	v_sub_u32_e32 v42, 29, v52
	v_and_b32_e32 v50, 7, v50
	v_cmp_gt_u32_e32 vcc, 8, v44
	v_cndmask_b32_e32 v42, v49, v42, vcc
	v_cndmask_b32_e32 v37, v37, v50, vcc
	v_lshlrev_b32_e32 v44, 16, v36
	v_lshlrev_b32_e32 v37, 20, v37
	v_and_b32_e32 v44, 0x80000000, v44
	v_lshl_add_u32 v42, v42, 23, v48
	v_or3_b32 v37, v44, v42, v37
	v_lshrrev_b32_e32 v37, 16, v37
.LBB950_223:                            ;   in Loop: Header=BB950_213 Depth=1
	s_or_b64 exec, exec, s[18:19]
.LBB950_224:                            ;   in Loop: Header=BB950_213 Depth=1
	s_or_b64 exec, exec, s[16:17]
.LBB950_225:                            ;   in Loop: Header=BB950_213 Depth=1
	s_or_b64 exec, exec, s[14:15]
	v_lshrrev_b32_e32 v42, 16, v36
	v_cmp_ne_u16_sdwa s[16:17], v42, v47 src0_sel:BYTE_0 src1_sel:DWORD
	s_and_saveexec_b64 s[14:15], s[16:17]
	s_cbranch_execz .LBB950_231
; %bb.226:                              ;   in Loop: Header=BB950_213 Depth=1
	v_cmp_ne_u16_sdwa s[18:19], v42, s9 src0_sel:BYTE_0 src1_sel:DWORD
	v_mov_b32_e32 v46, 0xffff8000
	s_and_saveexec_b64 s[16:17], s[18:19]
	s_cbranch_execz .LBB950_230
; %bb.227:                              ;   in Loop: Header=BB950_213 Depth=1
	v_bfe_u32 v44, v36, 16, 7
	v_cmp_ne_u32_e32 vcc, s23, v44
	v_mov_b32_e32 v46, 0x7f80
	s_and_saveexec_b64 s[18:19], vcc
	s_cbranch_execz .LBB950_229
; %bb.228:                              ;   in Loop: Header=BB950_213 Depth=1
	v_and_b32_e32 v46, 7, v42
	v_ffbh_u32_e32 v50, v46
	v_min_u32_e32 v52, 32, v50
	v_subrev_u32_e32 v50, 28, v52
	v_lshlrev_b64 v[50:51], v50, v[42:43]
	v_lshrrev_b32_e32 v49, 3, v44
	v_sub_u32_e32 v51, 29, v52
	v_and_b32_e32 v50, 7, v50
	v_cmp_gt_u32_e32 vcc, 8, v44
	v_cndmask_b32_e32 v44, v49, v51, vcc
	v_cndmask_b32_e32 v46, v46, v50, vcc
	v_lshlrev_b32_e32 v42, 24, v42
	v_lshlrev_b32_e32 v46, 20, v46
	v_and_b32_e32 v42, 0x80000000, v42
	v_lshl_add_u32 v44, v44, 23, v48
	v_or3_b32 v42, v42, v44, v46
	v_lshrrev_b32_e32 v46, 16, v42
.LBB950_229:                            ;   in Loop: Header=BB950_213 Depth=1
	s_or_b64 exec, exec, s[18:19]
.LBB950_230:                            ;   in Loop: Header=BB950_213 Depth=1
	s_or_b64 exec, exec, s[16:17]
.LBB950_231:                            ;   in Loop: Header=BB950_213 Depth=1
	s_or_b64 exec, exec, s[14:15]
	v_cmp_lt_u32_e32 vcc, s26, v36
	v_mov_b32_e32 v49, 0
	v_mov_b32_e32 v50, 0
	s_and_saveexec_b64 s[14:15], vcc
	s_cbranch_execz .LBB950_237
; %bb.232:                              ;   in Loop: Header=BB950_213 Depth=1
	v_lshrrev_b32_e32 v42, 24, v36
	v_cmp_ne_u32_e32 vcc, s9, v42
	v_mov_b32_e32 v50, 0xffff8000
	s_and_saveexec_b64 s[16:17], vcc
	s_cbranch_execz .LBB950_236
; %bb.233:                              ;   in Loop: Header=BB950_213 Depth=1
	v_bfe_u32 v36, v36, 24, 7
	v_cmp_ne_u32_e32 vcc, s23, v36
	v_mov_b32_e32 v50, 0x7f80
	s_and_saveexec_b64 s[18:19], vcc
	s_cbranch_execz .LBB950_235
; %bb.234:                              ;   in Loop: Header=BB950_213 Depth=1
	v_and_b32_e32 v44, 7, v42
	v_ffbh_u32_e32 v50, v44
	v_min_u32_e32 v53, 32, v50
	v_subrev_u32_e32 v50, 28, v53
	v_lshlrev_b64 v[50:51], v50, v[42:43]
	v_lshrrev_b32_e32 v52, 3, v36
	v_sub_u32_e32 v51, 29, v53
	v_and_b32_e32 v50, 7, v50
	v_cmp_gt_u32_e32 vcc, 8, v36
	v_cndmask_b32_e32 v36, v52, v51, vcc
	v_cndmask_b32_e32 v44, v44, v50, vcc
	v_lshlrev_b32_e32 v42, 24, v42
	v_lshlrev_b32_e32 v44, 20, v44
	v_and_b32_e32 v42, 0x80000000, v42
	v_lshl_add_u32 v36, v36, 23, v48
	v_or3_b32 v36, v42, v36, v44
	v_lshrrev_b32_e32 v50, 16, v36
.LBB950_235:                            ;   in Loop: Header=BB950_213 Depth=1
	s_or_b64 exec, exec, s[18:19]
.LBB950_236:                            ;   in Loop: Header=BB950_213 Depth=1
	s_or_b64 exec, exec, s[16:17]
.LBB950_237:                            ;   in Loop: Header=BB950_213 Depth=1
	s_or_b64 exec, exec, s[14:15]
	s_waitcnt vmcnt(2)
	v_cmp_ne_u16_sdwa s[16:17], v34, v47 src0_sel:BYTE_0 src1_sel:DWORD
	s_and_saveexec_b64 s[14:15], s[16:17]
	s_cbranch_execz .LBB950_243
; %bb.238:                              ;   in Loop: Header=BB950_213 Depth=1
	v_cmp_ne_u16_sdwa s[18:19], v34, s9 src0_sel:BYTE_0 src1_sel:DWORD
	v_mov_b32_e32 v49, 0xffff8000
	s_and_saveexec_b64 s[16:17], s[18:19]
	s_cbranch_execz .LBB950_242
; %bb.239:                              ;   in Loop: Header=BB950_213 Depth=1
	v_and_b32_e32 v36, 0x7f, v34
	v_cmp_ne_u32_e32 vcc, s23, v36
	v_mov_b32_e32 v49, 0x7f80
	s_and_saveexec_b64 s[18:19], vcc
	s_cbranch_execz .LBB950_241
; %bb.240:                              ;   in Loop: Header=BB950_213 Depth=1
	v_and_b32_e32 v42, 7, v34
	v_ffbh_u32_e32 v49, v42
	v_min_u32_e32 v49, 32, v49
	v_subrev_u32_e32 v51, 28, v49
	v_lshlrev_b64 v[52:53], v51, v[34:35]
	v_lshrrev_b32_e32 v44, 3, v36
	v_sub_u32_e32 v49, 29, v49
	v_and_b32_e32 v51, 7, v52
	v_cmp_gt_u32_e32 vcc, 8, v36
	v_cndmask_b32_e32 v36, v44, v49, vcc
	v_cndmask_b32_e32 v42, v42, v51, vcc
	v_lshlrev_b32_e32 v44, 24, v34
	v_lshlrev_b32_e32 v42, 20, v42
	v_and_b32_e32 v44, 0x80000000, v44
	v_lshl_add_u32 v36, v36, 23, v48
	v_or3_b32 v36, v44, v36, v42
	v_lshrrev_b32_e32 v49, 16, v36
.LBB950_241:                            ;   in Loop: Header=BB950_213 Depth=1
	s_or_b64 exec, exec, s[18:19]
.LBB950_242:                            ;   in Loop: Header=BB950_213 Depth=1
	s_or_b64 exec, exec, s[16:17]
.LBB950_243:                            ;   in Loop: Header=BB950_213 Depth=1
	s_or_b64 exec, exec, s[14:15]
	v_lshrrev_b16_e32 v36, 8, v34
	v_cmp_ne_u16_e32 vcc, 0, v36
	v_mov_b32_e32 v51, 0
	v_mov_b32_e32 v42, 0
	s_and_saveexec_b64 s[14:15], vcc
	s_cbranch_execz .LBB950_249
; %bb.244:                              ;   in Loop: Header=BB950_213 Depth=1
	v_cmp_ne_u16_e32 vcc, s9, v36
	v_mov_b32_e32 v42, 0xffff8000
	s_and_saveexec_b64 s[16:17], vcc
	s_cbranch_execz .LBB950_248
; %bb.245:                              ;   in Loop: Header=BB950_213 Depth=1
	v_and_b32_e32 v44, 0x7f, v36
	v_cmp_ne_u32_e32 vcc, s23, v44
	v_mov_b32_e32 v42, 0x7f80
	s_and_saveexec_b64 s[18:19], vcc
	s_cbranch_execz .LBB950_247
; %bb.246:                              ;   in Loop: Header=BB950_213 Depth=1
	v_and_b32_e32 v42, 7, v36
	v_ffbh_u32_e32 v52, v42
	v_min_u32_e32 v63, 32, v52
	v_subrev_u32_e32 v52, 28, v63
	v_lshlrev_b64 v[52:53], v52, v[36:37]
	v_lshrrev_b32_e32 v62, 3, v44
	v_sub_u32_e32 v36, 29, v63
	v_and_b32_e32 v52, 7, v52
	v_cmp_gt_u32_e32 vcc, 8, v44
	v_cndmask_b32_e32 v36, v62, v36, vcc
	v_cndmask_b32_e32 v42, v42, v52, vcc
	v_lshlrev_b32_e32 v44, 16, v34
	v_lshlrev_b32_e32 v42, 20, v42
	v_and_b32_e32 v44, 0x80000000, v44
	v_lshl_add_u32 v36, v36, 23, v48
	v_or3_b32 v36, v44, v36, v42
	v_lshrrev_b32_e32 v42, 16, v36
.LBB950_247:                            ;   in Loop: Header=BB950_213 Depth=1
	s_or_b64 exec, exec, s[18:19]
.LBB950_248:                            ;   in Loop: Header=BB950_213 Depth=1
	s_or_b64 exec, exec, s[16:17]
.LBB950_249:                            ;   in Loop: Header=BB950_213 Depth=1
	s_or_b64 exec, exec, s[14:15]
	v_lshrrev_b32_e32 v36, 16, v34
	v_cmp_ne_u16_sdwa s[16:17], v36, v47 src0_sel:BYTE_0 src1_sel:DWORD
	s_and_saveexec_b64 s[14:15], s[16:17]
	s_cbranch_execz .LBB950_255
; %bb.250:                              ;   in Loop: Header=BB950_213 Depth=1
	v_cmp_ne_u16_sdwa s[18:19], v36, s9 src0_sel:BYTE_0 src1_sel:DWORD
	v_mov_b32_e32 v51, 0xffff8000
	s_and_saveexec_b64 s[16:17], s[18:19]
	s_cbranch_execz .LBB950_254
; %bb.251:                              ;   in Loop: Header=BB950_213 Depth=1
	v_bfe_u32 v44, v34, 16, 7
	v_cmp_ne_u32_e32 vcc, s23, v44
	v_mov_b32_e32 v51, 0x7f80
	s_and_saveexec_b64 s[18:19], vcc
	s_cbranch_execz .LBB950_253
; %bb.252:                              ;   in Loop: Header=BB950_213 Depth=1
	v_and_b32_e32 v51, 7, v36
	v_ffbh_u32_e32 v52, v51
	v_min_u32_e32 v63, 32, v52
	v_subrev_u32_e32 v52, 28, v63
	v_lshlrev_b64 v[52:53], v52, v[36:37]
	v_lshrrev_b32_e32 v62, 3, v44
	v_sub_u32_e32 v53, 29, v63
	v_and_b32_e32 v52, 7, v52
	v_cmp_gt_u32_e32 vcc, 8, v44
	v_cndmask_b32_e32 v44, v62, v53, vcc
	v_cndmask_b32_e32 v51, v51, v52, vcc
	v_lshlrev_b32_e32 v36, 24, v36
	v_lshlrev_b32_e32 v51, 20, v51
	v_and_b32_e32 v36, 0x80000000, v36
	v_lshl_add_u32 v44, v44, 23, v48
	v_or3_b32 v36, v36, v44, v51
	v_lshrrev_b32_e32 v51, 16, v36
.LBB950_253:                            ;   in Loop: Header=BB950_213 Depth=1
	s_or_b64 exec, exec, s[18:19]
.LBB950_254:                            ;   in Loop: Header=BB950_213 Depth=1
	s_or_b64 exec, exec, s[16:17]
.LBB950_255:                            ;   in Loop: Header=BB950_213 Depth=1
	s_or_b64 exec, exec, s[14:15]
	v_cmp_lt_u32_e32 vcc, s26, v34
	v_mov_b32_e32 v44, 0
	v_mov_b32_e32 v52, 0
	s_and_saveexec_b64 s[14:15], vcc
	s_cbranch_execz .LBB950_261
; %bb.256:                              ;   in Loop: Header=BB950_213 Depth=1
	v_lshrrev_b32_e32 v36, 24, v34
	v_cmp_ne_u32_e32 vcc, s9, v36
	v_mov_b32_e32 v52, 0xffff8000
	s_and_saveexec_b64 s[16:17], vcc
	s_cbranch_execz .LBB950_260
; %bb.257:                              ;   in Loop: Header=BB950_213 Depth=1
	v_bfe_u32 v34, v34, 24, 7
	v_cmp_ne_u32_e32 vcc, s23, v34
	v_mov_b32_e32 v52, 0x7f80
	s_and_saveexec_b64 s[18:19], vcc
	s_cbranch_execz .LBB950_259
; %bb.258:                              ;   in Loop: Header=BB950_213 Depth=1
	v_and_b32_e32 v62, 7, v36
	v_ffbh_u32_e32 v52, v62
	v_min_u32_e32 v64, 32, v52
	v_subrev_u32_e32 v52, 28, v64
	v_lshlrev_b64 v[52:53], v52, v[36:37]
	v_lshrrev_b32_e32 v63, 3, v34
	v_sub_u32_e32 v53, 29, v64
	v_and_b32_e32 v52, 7, v52
	v_cmp_gt_u32_e32 vcc, 8, v34
	v_cndmask_b32_e32 v34, v63, v53, vcc
	v_cndmask_b32_e32 v52, v62, v52, vcc
	v_lshlrev_b32_e32 v36, 24, v36
	v_lshlrev_b32_e32 v52, 20, v52
	v_and_b32_e32 v36, 0x80000000, v36
	v_lshl_add_u32 v34, v34, 23, v48
	v_or3_b32 v34, v36, v34, v52
	v_lshrrev_b32_e32 v52, 16, v34
.LBB950_259:                            ;   in Loop: Header=BB950_213 Depth=1
	s_or_b64 exec, exec, s[18:19]
.LBB950_260:                            ;   in Loop: Header=BB950_213 Depth=1
	s_or_b64 exec, exec, s[16:17]
.LBB950_261:                            ;   in Loop: Header=BB950_213 Depth=1
	s_or_b64 exec, exec, s[14:15]
	v_perm_b32 v63, v50, v46, s27
	v_perm_b32 v62, v37, v35, s27
	;; [unrolled: 1-line block ×4, first 2 shown]
	s_waitcnt vmcnt(1)
	v_cmp_ne_u16_sdwa s[16:17], v40, v47 src0_sel:BYTE_0 src1_sel:DWORD
	v_mfma_f32_16x16x16bf16_1k v[34:37], v[62:63], v[2:3], 0
	v_mfma_f32_16x16x16bf16_1k v[34:37], v[50:51], v[4:5], v[34:37]
	s_and_saveexec_b64 s[14:15], s[16:17]
	s_cbranch_execz .LBB950_267
; %bb.262:                              ;   in Loop: Header=BB950_213 Depth=1
	v_cmp_ne_u16_sdwa s[18:19], v40, s9 src0_sel:BYTE_0 src1_sel:DWORD
	v_mov_b32_e32 v44, 0xffff8000
	s_and_saveexec_b64 s[16:17], s[18:19]
	s_cbranch_execz .LBB950_266
; %bb.263:                              ;   in Loop: Header=BB950_213 Depth=1
	v_and_b32_e32 v42, 0x7f, v40
	v_cmp_ne_u32_e32 vcc, s23, v42
	v_mov_b32_e32 v44, 0x7f80
	s_and_saveexec_b64 s[18:19], vcc
	s_cbranch_execz .LBB950_265
; %bb.264:                              ;   in Loop: Header=BB950_213 Depth=1
	v_and_b32_e32 v44, 7, v40
	v_ffbh_u32_e32 v49, v44
	v_min_u32_e32 v49, 32, v49
	v_subrev_u32_e32 v50, 28, v49
	v_lshlrev_b64 v[50:51], v50, v[40:41]
	v_lshrrev_b32_e32 v46, 3, v42
	v_sub_u32_e32 v49, 29, v49
	v_and_b32_e32 v50, 7, v50
	v_cmp_gt_u32_e32 vcc, 8, v42
	v_cndmask_b32_e32 v42, v46, v49, vcc
	v_cndmask_b32_e32 v44, v44, v50, vcc
	v_lshlrev_b32_e32 v46, 24, v40
	v_lshlrev_b32_e32 v44, 20, v44
	v_and_b32_e32 v46, 0x80000000, v46
	v_lshl_add_u32 v42, v42, 23, v48
	v_or3_b32 v42, v46, v42, v44
	v_lshrrev_b32_e32 v44, 16, v42
.LBB950_265:                            ;   in Loop: Header=BB950_213 Depth=1
	s_or_b64 exec, exec, s[18:19]
.LBB950_266:                            ;   in Loop: Header=BB950_213 Depth=1
	s_or_b64 exec, exec, s[16:17]
.LBB950_267:                            ;   in Loop: Header=BB950_213 Depth=1
	s_or_b64 exec, exec, s[14:15]
	v_lshrrev_b16_e32 v42, 8, v40
	v_cmp_ne_u16_e32 vcc, 0, v42
	v_mov_b32_e32 v50, 0
	v_mov_b32_e32 v46, 0
	s_and_saveexec_b64 s[14:15], vcc
	s_cbranch_execz .LBB950_273
; %bb.268:                              ;   in Loop: Header=BB950_213 Depth=1
	v_cmp_ne_u16_e32 vcc, s9, v42
	v_mov_b32_e32 v46, 0xffff8000
	s_and_saveexec_b64 s[16:17], vcc
	s_cbranch_execz .LBB950_272
; %bb.269:                              ;   in Loop: Header=BB950_213 Depth=1
	v_and_b32_e32 v49, 0x7f, v42
	v_cmp_ne_u32_e32 vcc, s23, v49
	v_mov_b32_e32 v46, 0x7f80
	s_and_saveexec_b64 s[18:19], vcc
	s_cbranch_execz .LBB950_271
; %bb.270:                              ;   in Loop: Header=BB950_213 Depth=1
	v_and_b32_e32 v46, 7, v42
	v_ffbh_u32_e32 v52, v46
	v_min_u32_e32 v62, 32, v52
	v_subrev_u32_e32 v52, 28, v62
	v_lshlrev_b64 v[52:53], v52, v[42:43]
	v_lshrrev_b32_e32 v51, 3, v49
	v_sub_u32_e32 v42, 29, v62
	v_and_b32_e32 v52, 7, v52
	v_cmp_gt_u32_e32 vcc, 8, v49
	v_cndmask_b32_e32 v42, v51, v42, vcc
	v_cndmask_b32_e32 v46, v46, v52, vcc
	v_lshlrev_b32_e32 v49, 16, v40
	v_lshlrev_b32_e32 v46, 20, v46
	v_and_b32_e32 v49, 0x80000000, v49
	v_lshl_add_u32 v42, v42, 23, v48
	v_or3_b32 v42, v49, v42, v46
	v_lshrrev_b32_e32 v46, 16, v42
.LBB950_271:                            ;   in Loop: Header=BB950_213 Depth=1
	s_or_b64 exec, exec, s[18:19]
.LBB950_272:                            ;   in Loop: Header=BB950_213 Depth=1
	s_or_b64 exec, exec, s[16:17]
.LBB950_273:                            ;   in Loop: Header=BB950_213 Depth=1
	s_or_b64 exec, exec, s[14:15]
	v_lshrrev_b32_e32 v42, 16, v40
	v_cmp_ne_u16_sdwa s[16:17], v42, v47 src0_sel:BYTE_0 src1_sel:DWORD
	s_and_saveexec_b64 s[14:15], s[16:17]
	s_cbranch_execz .LBB950_279
; %bb.274:                              ;   in Loop: Header=BB950_213 Depth=1
	v_cmp_ne_u16_sdwa s[18:19], v42, s9 src0_sel:BYTE_0 src1_sel:DWORD
	v_mov_b32_e32 v50, 0xffff8000
	s_and_saveexec_b64 s[16:17], s[18:19]
	s_cbranch_execz .LBB950_278
; %bb.275:                              ;   in Loop: Header=BB950_213 Depth=1
	v_bfe_u32 v49, v40, 16, 7
	v_cmp_ne_u32_e32 vcc, s23, v49
	v_mov_b32_e32 v50, 0x7f80
	s_and_saveexec_b64 s[18:19], vcc
	s_cbranch_execz .LBB950_277
; %bb.276:                              ;   in Loop: Header=BB950_213 Depth=1
	v_and_b32_e32 v52, 7, v42
	v_ffbh_u32_e32 v50, v52
	v_min_u32_e32 v62, 32, v50
	v_subrev_u32_e32 v50, 28, v62
	v_lshlrev_b64 v[50:51], v50, v[42:43]
	v_lshrrev_b32_e32 v53, 3, v49
	v_sub_u32_e32 v51, 29, v62
	v_and_b32_e32 v50, 7, v50
	v_cmp_gt_u32_e32 vcc, 8, v49
	v_cndmask_b32_e32 v49, v53, v51, vcc
	v_cndmask_b32_e32 v50, v52, v50, vcc
	v_lshlrev_b32_e32 v42, 24, v42
	v_lshlrev_b32_e32 v50, 20, v50
	v_and_b32_e32 v42, 0x80000000, v42
	v_lshl_add_u32 v49, v49, 23, v48
	v_or3_b32 v42, v42, v49, v50
	v_lshrrev_b32_e32 v50, 16, v42
.LBB950_277:                            ;   in Loop: Header=BB950_213 Depth=1
	s_or_b64 exec, exec, s[18:19]
.LBB950_278:                            ;   in Loop: Header=BB950_213 Depth=1
	s_or_b64 exec, exec, s[16:17]
.LBB950_279:                            ;   in Loop: Header=BB950_213 Depth=1
	s_or_b64 exec, exec, s[14:15]
	v_cmp_lt_u32_e32 vcc, s26, v40
	v_mov_b32_e32 v51, 0
	v_mov_b32_e32 v52, 0
	s_and_saveexec_b64 s[14:15], vcc
	s_cbranch_execz .LBB950_285
; %bb.280:                              ;   in Loop: Header=BB950_213 Depth=1
	v_lshrrev_b32_e32 v42, 24, v40
	v_cmp_ne_u32_e32 vcc, s9, v42
	v_mov_b32_e32 v52, 0xffff8000
	s_and_saveexec_b64 s[16:17], vcc
	s_cbranch_execz .LBB950_284
; %bb.281:                              ;   in Loop: Header=BB950_213 Depth=1
	v_bfe_u32 v40, v40, 24, 7
	v_cmp_ne_u32_e32 vcc, s23, v40
	v_mov_b32_e32 v52, 0x7f80
	s_and_saveexec_b64 s[18:19], vcc
	s_cbranch_execz .LBB950_283
; %bb.282:                              ;   in Loop: Header=BB950_213 Depth=1
	v_and_b32_e32 v49, 7, v42
	v_ffbh_u32_e32 v52, v49
	v_min_u32_e32 v63, 32, v52
	v_subrev_u32_e32 v52, 28, v63
	v_lshlrev_b64 v[52:53], v52, v[42:43]
	v_lshrrev_b32_e32 v62, 3, v40
	v_sub_u32_e32 v53, 29, v63
	v_and_b32_e32 v52, 7, v52
	v_cmp_gt_u32_e32 vcc, 8, v40
	v_cndmask_b32_e32 v40, v62, v53, vcc
	v_cndmask_b32_e32 v49, v49, v52, vcc
	v_lshlrev_b32_e32 v42, 24, v42
	v_lshlrev_b32_e32 v49, 20, v49
	v_and_b32_e32 v42, 0x80000000, v42
	v_lshl_add_u32 v40, v40, 23, v48
	v_or3_b32 v40, v42, v40, v49
	v_lshrrev_b32_e32 v52, 16, v40
.LBB950_283:                            ;   in Loop: Header=BB950_213 Depth=1
	s_or_b64 exec, exec, s[18:19]
.LBB950_284:                            ;   in Loop: Header=BB950_213 Depth=1
	s_or_b64 exec, exec, s[16:17]
.LBB950_285:                            ;   in Loop: Header=BB950_213 Depth=1
	s_or_b64 exec, exec, s[14:15]
	s_waitcnt vmcnt(0)
	v_cmp_ne_u16_sdwa s[16:17], v38, v47 src0_sel:BYTE_0 src1_sel:DWORD
	s_and_saveexec_b64 s[14:15], s[16:17]
	s_cbranch_execz .LBB950_291
; %bb.286:                              ;   in Loop: Header=BB950_213 Depth=1
	v_cmp_ne_u16_sdwa s[18:19], v38, s9 src0_sel:BYTE_0 src1_sel:DWORD
	v_mov_b32_e32 v51, 0xffff8000
	s_and_saveexec_b64 s[16:17], s[18:19]
	s_cbranch_execz .LBB950_290
; %bb.287:                              ;   in Loop: Header=BB950_213 Depth=1
	v_and_b32_e32 v40, 0x7f, v38
	v_cmp_ne_u32_e32 vcc, s23, v40
	v_mov_b32_e32 v51, 0x7f80
	s_and_saveexec_b64 s[18:19], vcc
	s_cbranch_execz .LBB950_289
; %bb.288:                              ;   in Loop: Header=BB950_213 Depth=1
	v_and_b32_e32 v42, 7, v38
	v_ffbh_u32_e32 v51, v42
	v_min_u32_e32 v51, 32, v51
	v_subrev_u32_e32 v53, 28, v51
	v_lshlrev_b64 v[62:63], v53, v[38:39]
	v_lshrrev_b32_e32 v49, 3, v40
	v_sub_u32_e32 v51, 29, v51
	v_and_b32_e32 v53, 7, v62
	v_cmp_gt_u32_e32 vcc, 8, v40
	v_cndmask_b32_e32 v40, v49, v51, vcc
	v_cndmask_b32_e32 v42, v42, v53, vcc
	v_lshlrev_b32_e32 v49, 24, v38
	v_lshlrev_b32_e32 v42, 20, v42
	v_and_b32_e32 v49, 0x80000000, v49
	v_lshl_add_u32 v40, v40, 23, v48
	v_or3_b32 v40, v49, v40, v42
	v_lshrrev_b32_e32 v51, 16, v40
.LBB950_289:                            ;   in Loop: Header=BB950_213 Depth=1
	s_or_b64 exec, exec, s[18:19]
.LBB950_290:                            ;   in Loop: Header=BB950_213 Depth=1
	s_or_b64 exec, exec, s[16:17]
.LBB950_291:                            ;   in Loop: Header=BB950_213 Depth=1
	s_or_b64 exec, exec, s[14:15]
	v_lshrrev_b16_e32 v40, 8, v38
	v_cmp_ne_u16_e32 vcc, 0, v40
	v_mov_b32_e32 v62, 0
	v_mov_b32_e32 v53, 0
	s_and_saveexec_b64 s[14:15], vcc
	s_cbranch_execz .LBB950_297
; %bb.292:                              ;   in Loop: Header=BB950_213 Depth=1
	v_cmp_ne_u16_e32 vcc, s9, v40
	v_mov_b32_e32 v53, 0xffff8000
	s_and_saveexec_b64 s[16:17], vcc
	s_cbranch_execz .LBB950_296
; %bb.293:                              ;   in Loop: Header=BB950_213 Depth=1
	v_and_b32_e32 v42, 0x7f, v40
	v_cmp_ne_u32_e32 vcc, s23, v42
	v_mov_b32_e32 v53, 0x7f80
	s_and_saveexec_b64 s[18:19], vcc
	s_cbranch_execz .LBB950_295
; %bb.294:                              ;   in Loop: Header=BB950_213 Depth=1
	v_and_b32_e32 v49, 7, v40
	v_ffbh_u32_e32 v63, v49
	v_min_u32_e32 v63, 32, v63
	v_subrev_u32_e32 v64, 28, v63
	v_lshlrev_b64 v[64:65], v64, v[40:41]
	v_lshrrev_b32_e32 v53, 3, v42
	v_sub_u32_e32 v40, 29, v63
	v_and_b32_e32 v63, 7, v64
	v_cmp_gt_u32_e32 vcc, 8, v42
	v_cndmask_b32_e32 v40, v53, v40, vcc
	v_cndmask_b32_e32 v42, v49, v63, vcc
	v_lshlrev_b32_e32 v49, 16, v38
	v_lshlrev_b32_e32 v42, 20, v42
	v_and_b32_e32 v49, 0x80000000, v49
	v_lshl_add_u32 v40, v40, 23, v48
	v_or3_b32 v40, v49, v40, v42
	v_lshrrev_b32_e32 v53, 16, v40
.LBB950_295:                            ;   in Loop: Header=BB950_213 Depth=1
	s_or_b64 exec, exec, s[18:19]
.LBB950_296:                            ;   in Loop: Header=BB950_213 Depth=1
	s_or_b64 exec, exec, s[16:17]
.LBB950_297:                            ;   in Loop: Header=BB950_213 Depth=1
	s_or_b64 exec, exec, s[14:15]
	v_lshrrev_b32_e32 v40, 16, v38
	v_cmp_ne_u16_sdwa s[16:17], v40, v47 src0_sel:BYTE_0 src1_sel:DWORD
	s_and_saveexec_b64 s[14:15], s[16:17]
	s_cbranch_execz .LBB950_303
; %bb.298:                              ;   in Loop: Header=BB950_213 Depth=1
	v_cmp_ne_u16_sdwa s[18:19], v40, s9 src0_sel:BYTE_0 src1_sel:DWORD
	v_mov_b32_e32 v62, 0xffff8000
	s_and_saveexec_b64 s[16:17], s[18:19]
	s_cbranch_execz .LBB950_302
; %bb.299:                              ;   in Loop: Header=BB950_213 Depth=1
	v_bfe_u32 v42, v38, 16, 7
	v_cmp_ne_u32_e32 vcc, s23, v42
	v_mov_b32_e32 v62, 0x7f80
	s_and_saveexec_b64 s[18:19], vcc
	s_cbranch_execz .LBB950_301
; %bb.300:                              ;   in Loop: Header=BB950_213 Depth=1
	v_and_b32_e32 v49, 7, v40
	v_ffbh_u32_e32 v62, v49
	v_min_u32_e32 v65, 32, v62
	v_subrev_u32_e32 v62, 28, v65
	v_lshlrev_b64 v[62:63], v62, v[40:41]
	v_lshrrev_b32_e32 v64, 3, v42
	v_sub_u32_e32 v63, 29, v65
	v_and_b32_e32 v62, 7, v62
	v_cmp_gt_u32_e32 vcc, 8, v42
	v_cndmask_b32_e32 v42, v64, v63, vcc
	v_cndmask_b32_e32 v49, v49, v62, vcc
	v_lshlrev_b32_e32 v40, 24, v40
	v_lshlrev_b32_e32 v49, 20, v49
	v_and_b32_e32 v40, 0x80000000, v40
	v_lshl_add_u32 v42, v42, 23, v48
	v_or3_b32 v40, v40, v42, v49
	v_lshrrev_b32_e32 v62, 16, v40
.LBB950_301:                            ;   in Loop: Header=BB950_213 Depth=1
	s_or_b64 exec, exec, s[18:19]
.LBB950_302:                            ;   in Loop: Header=BB950_213 Depth=1
	s_or_b64 exec, exec, s[16:17]
.LBB950_303:                            ;   in Loop: Header=BB950_213 Depth=1
	s_or_b64 exec, exec, s[14:15]
	v_cmp_lt_u32_e32 vcc, s26, v38
	v_mov_b32_e32 v49, 0
	v_mov_b32_e32 v63, 0
	s_and_saveexec_b64 s[14:15], vcc
	s_cbranch_execz .LBB950_309
; %bb.304:                              ;   in Loop: Header=BB950_213 Depth=1
	v_lshrrev_b32_e32 v40, 24, v38
	v_cmp_ne_u32_e32 vcc, s9, v40
	v_mov_b32_e32 v63, 0xffff8000
	s_and_saveexec_b64 s[16:17], vcc
	s_cbranch_execz .LBB950_308
; %bb.305:                              ;   in Loop: Header=BB950_213 Depth=1
	v_bfe_u32 v38, v38, 24, 7
	v_cmp_ne_u32_e32 vcc, s23, v38
	v_mov_b32_e32 v63, 0x7f80
	s_and_saveexec_b64 s[18:19], vcc
	s_cbranch_execz .LBB950_307
; %bb.306:                              ;   in Loop: Header=BB950_213 Depth=1
	v_and_b32_e32 v42, 7, v40
	v_ffbh_u32_e32 v64, v42
	v_min_u32_e32 v66, 32, v64
	v_subrev_u32_e32 v64, 28, v66
	v_lshlrev_b64 v[64:65], v64, v[40:41]
	v_lshrrev_b32_e32 v63, 3, v38
	v_sub_u32_e32 v65, 29, v66
	v_and_b32_e32 v64, 7, v64
	v_cmp_gt_u32_e32 vcc, 8, v38
	v_cndmask_b32_e32 v38, v63, v65, vcc
	v_cndmask_b32_e32 v42, v42, v64, vcc
	v_lshlrev_b32_e32 v40, 24, v40
	v_lshlrev_b32_e32 v42, 20, v42
	v_and_b32_e32 v40, 0x80000000, v40
	v_lshl_add_u32 v38, v38, 23, v48
	v_or3_b32 v38, v40, v38, v42
	v_lshrrev_b32_e32 v63, 16, v38
.LBB950_307:                            ;   in Loop: Header=BB950_213 Depth=1
	s_or_b64 exec, exec, s[18:19]
.LBB950_308:                            ;   in Loop: Header=BB950_213 Depth=1
	s_or_b64 exec, exec, s[16:17]
.LBB950_309:                            ;   in Loop: Header=BB950_213 Depth=1
	s_or_b64 exec, exec, s[14:15]
	v_perm_b32 v64, v46, v44, s27
	buffer_load_dword v44, v61, s[0:3], 0 offen
	buffer_load_dword v42, v61, s[0:3], 0 offen offset:4
	buffer_load_dword v40, v61, s[0:3], 0 offen offset:8
	;; [unrolled: 1-line block ×3, first 2 shown]
	v_perm_b32 v65, v52, v50, s27
	v_perm_b32 v63, v63, v62, s27
	;; [unrolled: 1-line block ×3, first 2 shown]
	v_mfma_f32_16x16x16bf16_1k v[34:37], v[64:65], v[6:7], v[34:37]
	s_waitcnt vmcnt(3)
	v_cmp_ne_u16_sdwa s[16:17], v44, v47 src0_sel:BYTE_0 src1_sel:DWORD
	v_mfma_f32_16x16x16bf16_1k v[34:37], v[62:63], v[8:9], v[34:37]
	s_and_saveexec_b64 s[14:15], s[16:17]
	s_cbranch_execz .LBB950_315
; %bb.310:                              ;   in Loop: Header=BB950_213 Depth=1
	v_cmp_ne_u16_sdwa s[18:19], v44, s9 src0_sel:BYTE_0 src1_sel:DWORD
	v_mov_b32_e32 v49, 0xffff8000
	s_and_saveexec_b64 s[16:17], s[18:19]
	s_cbranch_execz .LBB950_314
; %bb.311:                              ;   in Loop: Header=BB950_213 Depth=1
	v_and_b32_e32 v46, 0x7f, v44
	v_cmp_ne_u32_e32 vcc, s23, v46
	v_mov_b32_e32 v49, 0x7f80
	s_and_saveexec_b64 s[18:19], vcc
	s_cbranch_execz .LBB950_313
; %bb.312:                              ;   in Loop: Header=BB950_213 Depth=1
	v_and_b32_e32 v49, 7, v44
	v_ffbh_u32_e32 v50, v49
	v_min_u32_e32 v53, 32, v50
	v_subrev_u32_e32 v50, 28, v53
	v_lshlrev_b64 v[50:51], v50, v[44:45]
	v_lshrrev_b32_e32 v52, 3, v46
	v_sub_u32_e32 v51, 29, v53
	v_and_b32_e32 v50, 7, v50
	v_cmp_gt_u32_e32 vcc, 8, v46
	v_cndmask_b32_e32 v46, v52, v51, vcc
	v_cndmask_b32_e32 v49, v49, v50, vcc
	v_lshlrev_b32_e32 v50, 24, v44
	v_lshlrev_b32_e32 v49, 20, v49
	v_and_b32_e32 v50, 0x80000000, v50
	v_lshl_add_u32 v46, v46, 23, v48
	v_or3_b32 v46, v50, v46, v49
	v_lshrrev_b32_e32 v49, 16, v46
.LBB950_313:                            ;   in Loop: Header=BB950_213 Depth=1
	s_or_b64 exec, exec, s[18:19]
.LBB950_314:                            ;   in Loop: Header=BB950_213 Depth=1
	s_or_b64 exec, exec, s[16:17]
.LBB950_315:                            ;   in Loop: Header=BB950_213 Depth=1
	s_or_b64 exec, exec, s[14:15]
	v_lshrrev_b16_e32 v46, 8, v44
	v_cmp_ne_u16_e32 vcc, 0, v46
	v_mov_b32_e32 v51, 0
	v_mov_b32_e32 v50, 0
	s_and_saveexec_b64 s[14:15], vcc
	s_cbranch_execz .LBB950_321
; %bb.316:                              ;   in Loop: Header=BB950_213 Depth=1
	v_cmp_ne_u16_e32 vcc, s9, v46
	v_mov_b32_e32 v50, 0xffff8000
	s_and_saveexec_b64 s[16:17], vcc
	s_cbranch_execz .LBB950_320
; %bb.317:                              ;   in Loop: Header=BB950_213 Depth=1
	v_and_b32_e32 v52, 0x7f, v46
	v_cmp_ne_u32_e32 vcc, s23, v52
	v_mov_b32_e32 v50, 0x7f80
	s_and_saveexec_b64 s[18:19], vcc
	s_cbranch_execz .LBB950_319
; %bb.318:                              ;   in Loop: Header=BB950_213 Depth=1
	v_and_b32_e32 v50, 7, v46
	v_ffbh_u32_e32 v61, v50
	v_min_u32_e32 v61, 32, v61
	v_subrev_u32_e32 v62, 28, v61
	v_lshlrev_b64 v[62:63], v62, v[46:47]
	v_lshrrev_b32_e32 v53, 3, v52
	v_sub_u32_e32 v46, 29, v61
	v_and_b32_e32 v61, 7, v62
	v_cmp_gt_u32_e32 vcc, 8, v52
	v_cndmask_b32_e32 v46, v53, v46, vcc
	v_cndmask_b32_e32 v50, v50, v61, vcc
	v_lshlrev_b32_e32 v52, 16, v44
	v_lshlrev_b32_e32 v50, 20, v50
	v_and_b32_e32 v52, 0x80000000, v52
	v_lshl_add_u32 v46, v46, 23, v48
	v_or3_b32 v46, v52, v46, v50
	v_lshrrev_b32_e32 v50, 16, v46
.LBB950_319:                            ;   in Loop: Header=BB950_213 Depth=1
	s_or_b64 exec, exec, s[18:19]
.LBB950_320:                            ;   in Loop: Header=BB950_213 Depth=1
	s_or_b64 exec, exec, s[16:17]
.LBB950_321:                            ;   in Loop: Header=BB950_213 Depth=1
	s_or_b64 exec, exec, s[14:15]
	v_lshrrev_b32_e32 v46, 16, v44
	v_cmp_ne_u16_sdwa s[16:17], v46, v47 src0_sel:BYTE_0 src1_sel:DWORD
	s_and_saveexec_b64 s[14:15], s[16:17]
	s_cbranch_execz .LBB950_327
; %bb.322:                              ;   in Loop: Header=BB950_213 Depth=1
	v_cmp_ne_u16_sdwa s[18:19], v46, s9 src0_sel:BYTE_0 src1_sel:DWORD
	v_mov_b32_e32 v51, 0xffff8000
	s_and_saveexec_b64 s[16:17], s[18:19]
	s_cbranch_execz .LBB950_326
; %bb.323:                              ;   in Loop: Header=BB950_213 Depth=1
	v_bfe_u32 v52, v44, 16, 7
	v_cmp_ne_u32_e32 vcc, s23, v52
	v_mov_b32_e32 v51, 0x7f80
	s_and_saveexec_b64 s[18:19], vcc
	s_cbranch_execz .LBB950_325
; %bb.324:                              ;   in Loop: Header=BB950_213 Depth=1
	v_and_b32_e32 v51, 7, v46
	v_ffbh_u32_e32 v61, v51
	v_min_u32_e32 v61, 32, v61
	v_subrev_u32_e32 v62, 28, v61
	v_lshlrev_b64 v[62:63], v62, v[46:47]
	v_lshrrev_b32_e32 v53, 3, v52
	v_sub_u32_e32 v61, 29, v61
	v_and_b32_e32 v62, 7, v62
	v_cmp_gt_u32_e32 vcc, 8, v52
	v_cndmask_b32_e32 v52, v53, v61, vcc
	v_cndmask_b32_e32 v51, v51, v62, vcc
	v_lshlrev_b32_e32 v46, 24, v46
	v_lshlrev_b32_e32 v51, 20, v51
	v_and_b32_e32 v46, 0x80000000, v46
	v_lshl_add_u32 v52, v52, 23, v48
	v_or3_b32 v46, v46, v52, v51
	v_lshrrev_b32_e32 v51, 16, v46
.LBB950_325:                            ;   in Loop: Header=BB950_213 Depth=1
	s_or_b64 exec, exec, s[18:19]
.LBB950_326:                            ;   in Loop: Header=BB950_213 Depth=1
	s_or_b64 exec, exec, s[16:17]
.LBB950_327:                            ;   in Loop: Header=BB950_213 Depth=1
	s_or_b64 exec, exec, s[14:15]
	v_cmp_lt_u32_e32 vcc, s26, v44
	v_mov_b32_e32 v52, 0
	v_mov_b32_e32 v53, 0
	s_and_saveexec_b64 s[14:15], vcc
	s_cbranch_execz .LBB950_333
; %bb.328:                              ;   in Loop: Header=BB950_213 Depth=1
	v_lshrrev_b32_e32 v46, 24, v44
	v_cmp_ne_u32_e32 vcc, s9, v46
	v_mov_b32_e32 v53, 0xffff8000
	s_and_saveexec_b64 s[16:17], vcc
	s_cbranch_execz .LBB950_332
; %bb.329:                              ;   in Loop: Header=BB950_213 Depth=1
	v_bfe_u32 v44, v44, 24, 7
	v_cmp_ne_u32_e32 vcc, s23, v44
	v_mov_b32_e32 v53, 0x7f80
	s_and_saveexec_b64 s[18:19], vcc
	s_cbranch_execz .LBB950_331
; %bb.330:                              ;   in Loop: Header=BB950_213 Depth=1
	v_and_b32_e32 v53, 7, v46
	v_ffbh_u32_e32 v62, v53
	v_min_u32_e32 v64, 32, v62
	v_subrev_u32_e32 v62, 28, v64
	v_lshlrev_b64 v[62:63], v62, v[46:47]
	v_lshrrev_b32_e32 v61, 3, v44
	v_sub_u32_e32 v63, 29, v64
	v_and_b32_e32 v62, 7, v62
	v_cmp_gt_u32_e32 vcc, 8, v44
	v_cndmask_b32_e32 v44, v61, v63, vcc
	v_cndmask_b32_e32 v53, v53, v62, vcc
	v_lshlrev_b32_e32 v46, 24, v46
	v_lshlrev_b32_e32 v53, 20, v53
	v_and_b32_e32 v46, 0x80000000, v46
	v_lshl_add_u32 v44, v44, 23, v48
	v_or3_b32 v44, v46, v44, v53
	v_lshrrev_b32_e32 v53, 16, v44
.LBB950_331:                            ;   in Loop: Header=BB950_213 Depth=1
	s_or_b64 exec, exec, s[18:19]
.LBB950_332:                            ;   in Loop: Header=BB950_213 Depth=1
	s_or_b64 exec, exec, s[16:17]
.LBB950_333:                            ;   in Loop: Header=BB950_213 Depth=1
	s_or_b64 exec, exec, s[14:15]
	s_waitcnt vmcnt(2)
	v_cmp_ne_u16_sdwa s[16:17], v42, v47 src0_sel:BYTE_0 src1_sel:DWORD
	s_and_saveexec_b64 s[14:15], s[16:17]
	s_cbranch_execz .LBB950_339
; %bb.334:                              ;   in Loop: Header=BB950_213 Depth=1
	v_cmp_ne_u16_sdwa s[18:19], v42, s9 src0_sel:BYTE_0 src1_sel:DWORD
	v_mov_b32_e32 v52, 0xffff8000
	s_and_saveexec_b64 s[16:17], s[18:19]
	s_cbranch_execz .LBB950_338
; %bb.335:                              ;   in Loop: Header=BB950_213 Depth=1
	v_and_b32_e32 v44, 0x7f, v42
	v_cmp_ne_u32_e32 vcc, s23, v44
	v_mov_b32_e32 v52, 0x7f80
	s_and_saveexec_b64 s[18:19], vcc
	s_cbranch_execz .LBB950_337
; %bb.336:                              ;   in Loop: Header=BB950_213 Depth=1
	v_and_b32_e32 v46, 7, v42
	v_ffbh_u32_e32 v61, v46
	v_min_u32_e32 v61, 32, v61
	v_subrev_u32_e32 v62, 28, v61
	v_lshlrev_b64 v[62:63], v62, v[42:43]
	v_lshrrev_b32_e32 v52, 3, v44
	v_sub_u32_e32 v61, 29, v61
	v_and_b32_e32 v62, 7, v62
	v_cmp_gt_u32_e32 vcc, 8, v44
	v_cndmask_b32_e32 v44, v52, v61, vcc
	v_cndmask_b32_e32 v46, v46, v62, vcc
	v_lshlrev_b32_e32 v52, 24, v42
	v_lshlrev_b32_e32 v46, 20, v46
	v_and_b32_e32 v52, 0x80000000, v52
	v_lshl_add_u32 v44, v44, 23, v48
	v_or3_b32 v44, v52, v44, v46
	v_lshrrev_b32_e32 v52, 16, v44
.LBB950_337:                            ;   in Loop: Header=BB950_213 Depth=1
	s_or_b64 exec, exec, s[18:19]
.LBB950_338:                            ;   in Loop: Header=BB950_213 Depth=1
	s_or_b64 exec, exec, s[16:17]
.LBB950_339:                            ;   in Loop: Header=BB950_213 Depth=1
	s_or_b64 exec, exec, s[14:15]
	v_lshrrev_b16_e32 v44, 8, v42
	v_cmp_ne_u16_e32 vcc, 0, v44
	v_mov_b32_e32 v62, 0
	v_mov_b32_e32 v61, 0
	s_and_saveexec_b64 s[14:15], vcc
	s_cbranch_execz .LBB950_345
; %bb.340:                              ;   in Loop: Header=BB950_213 Depth=1
	v_cmp_ne_u16_e32 vcc, s9, v44
	v_mov_b32_e32 v61, 0xffff8000
	s_and_saveexec_b64 s[16:17], vcc
	s_cbranch_execz .LBB950_344
; %bb.341:                              ;   in Loop: Header=BB950_213 Depth=1
	v_and_b32_e32 v46, 0x7f, v44
	v_cmp_ne_u32_e32 vcc, s23, v46
	v_mov_b32_e32 v61, 0x7f80
	s_and_saveexec_b64 s[18:19], vcc
	s_cbranch_execz .LBB950_343
; %bb.342:                              ;   in Loop: Header=BB950_213 Depth=1
	v_and_b32_e32 v61, 7, v44
	v_ffbh_u32_e32 v64, v61
	v_min_u32_e32 v66, 32, v64
	v_subrev_u32_e32 v64, 28, v66
	v_lshlrev_b64 v[64:65], v64, v[44:45]
	v_lshrrev_b32_e32 v63, 3, v46
	v_sub_u32_e32 v44, 29, v66
	v_and_b32_e32 v64, 7, v64
	v_cmp_gt_u32_e32 vcc, 8, v46
	v_cndmask_b32_e32 v44, v63, v44, vcc
	v_cndmask_b32_e32 v46, v61, v64, vcc
	v_lshlrev_b32_e32 v61, 16, v42
	v_lshlrev_b32_e32 v46, 20, v46
	v_and_b32_e32 v61, 0x80000000, v61
	v_lshl_add_u32 v44, v44, 23, v48
	v_or3_b32 v44, v61, v44, v46
	v_lshrrev_b32_e32 v61, 16, v44
.LBB950_343:                            ;   in Loop: Header=BB950_213 Depth=1
	s_or_b64 exec, exec, s[18:19]
.LBB950_344:                            ;   in Loop: Header=BB950_213 Depth=1
	s_or_b64 exec, exec, s[16:17]
.LBB950_345:                            ;   in Loop: Header=BB950_213 Depth=1
	s_or_b64 exec, exec, s[14:15]
	v_lshrrev_b32_e32 v44, 16, v42
	v_cmp_ne_u16_sdwa s[16:17], v44, v47 src0_sel:BYTE_0 src1_sel:DWORD
	s_and_saveexec_b64 s[14:15], s[16:17]
	s_cbranch_execz .LBB950_351
; %bb.346:                              ;   in Loop: Header=BB950_213 Depth=1
	v_cmp_ne_u16_sdwa s[18:19], v44, s9 src0_sel:BYTE_0 src1_sel:DWORD
	v_mov_b32_e32 v62, 0xffff8000
	s_and_saveexec_b64 s[16:17], s[18:19]
	s_cbranch_execz .LBB950_350
; %bb.347:                              ;   in Loop: Header=BB950_213 Depth=1
	v_bfe_u32 v46, v42, 16, 7
	v_cmp_ne_u32_e32 vcc, s23, v46
	v_mov_b32_e32 v62, 0x7f80
	s_and_saveexec_b64 s[18:19], vcc
	s_cbranch_execz .LBB950_349
; %bb.348:                              ;   in Loop: Header=BB950_213 Depth=1
	v_and_b32_e32 v64, 7, v44
	v_ffbh_u32_e32 v62, v64
	v_min_u32_e32 v66, 32, v62
	v_subrev_u32_e32 v62, 28, v66
	v_lshlrev_b64 v[62:63], v62, v[44:45]
	v_lshrrev_b32_e32 v65, 3, v46
	v_sub_u32_e32 v63, 29, v66
	v_and_b32_e32 v62, 7, v62
	v_cmp_gt_u32_e32 vcc, 8, v46
	v_cndmask_b32_e32 v46, v65, v63, vcc
	v_cndmask_b32_e32 v62, v64, v62, vcc
	v_lshlrev_b32_e32 v44, 24, v44
	v_lshlrev_b32_e32 v62, 20, v62
	v_and_b32_e32 v44, 0x80000000, v44
	v_lshl_add_u32 v46, v46, 23, v48
	v_or3_b32 v44, v44, v46, v62
	v_lshrrev_b32_e32 v62, 16, v44
.LBB950_349:                            ;   in Loop: Header=BB950_213 Depth=1
	s_or_b64 exec, exec, s[18:19]
.LBB950_350:                            ;   in Loop: Header=BB950_213 Depth=1
	s_or_b64 exec, exec, s[16:17]
.LBB950_351:                            ;   in Loop: Header=BB950_213 Depth=1
	s_or_b64 exec, exec, s[14:15]
	v_cmp_lt_u32_e32 vcc, s26, v42
	v_mov_b32_e32 v46, 0
	v_mov_b32_e32 v63, 0
	s_and_saveexec_b64 s[14:15], vcc
	s_cbranch_execz .LBB950_357
; %bb.352:                              ;   in Loop: Header=BB950_213 Depth=1
	v_lshrrev_b32_e32 v44, 24, v42
	v_cmp_ne_u32_e32 vcc, s9, v44
	v_mov_b32_e32 v63, 0xffff8000
	s_and_saveexec_b64 s[16:17], vcc
	s_cbranch_execz .LBB950_356
; %bb.353:                              ;   in Loop: Header=BB950_213 Depth=1
	v_bfe_u32 v42, v42, 24, 7
	v_cmp_ne_u32_e32 vcc, s23, v42
	v_mov_b32_e32 v63, 0x7f80
	s_and_saveexec_b64 s[18:19], vcc
	s_cbranch_execz .LBB950_355
; %bb.354:                              ;   in Loop: Header=BB950_213 Depth=1
	v_and_b32_e32 v63, 7, v44
	v_ffbh_u32_e32 v64, v63
	v_min_u32_e32 v67, 32, v64
	v_subrev_u32_e32 v64, 28, v67
	v_lshlrev_b64 v[64:65], v64, v[44:45]
	v_lshrrev_b32_e32 v66, 3, v42
	v_sub_u32_e32 v65, 29, v67
	v_and_b32_e32 v64, 7, v64
	v_cmp_gt_u32_e32 vcc, 8, v42
	v_cndmask_b32_e32 v42, v66, v65, vcc
	v_cndmask_b32_e32 v63, v63, v64, vcc
	v_lshlrev_b32_e32 v44, 24, v44
	v_lshlrev_b32_e32 v63, 20, v63
	v_and_b32_e32 v44, 0x80000000, v44
	v_lshl_add_u32 v42, v42, 23, v48
	v_or3_b32 v42, v44, v42, v63
	v_lshrrev_b32_e32 v63, 16, v42
.LBB950_355:                            ;   in Loop: Header=BB950_213 Depth=1
	s_or_b64 exec, exec, s[18:19]
.LBB950_356:                            ;   in Loop: Header=BB950_213 Depth=1
	s_or_b64 exec, exec, s[16:17]
.LBB950_357:                            ;   in Loop: Header=BB950_213 Depth=1
	s_or_b64 exec, exec, s[14:15]
	v_perm_b32 v51, v53, v51, s27
	v_perm_b32 v50, v50, v49, s27
	s_waitcnt vmcnt(1)
	v_cmp_ne_u16_sdwa s[16:17], v40, v47 src0_sel:BYTE_0 src1_sel:DWORD
	v_mfma_f32_16x16x16bf16_1k v[34:37], v[50:51], v[10:11], v[34:37]
	v_perm_b32 v51, v63, v62, s27
	v_perm_b32 v50, v61, v52, s27
	s_nop 1
	v_mfma_f32_16x16x16bf16_1k v[34:37], v[50:51], v[12:13], v[34:37]
	s_and_saveexec_b64 s[14:15], s[16:17]
	s_cbranch_execz .LBB950_363
; %bb.358:                              ;   in Loop: Header=BB950_213 Depth=1
	v_cmp_ne_u16_sdwa s[18:19], v40, s9 src0_sel:BYTE_0 src1_sel:DWORD
	v_mov_b32_e32 v46, 0xffff8000
	s_and_saveexec_b64 s[16:17], s[18:19]
	s_cbranch_execz .LBB950_362
; %bb.359:                              ;   in Loop: Header=BB950_213 Depth=1
	v_and_b32_e32 v42, 0x7f, v40
	v_cmp_ne_u32_e32 vcc, s23, v42
	v_mov_b32_e32 v46, 0x7f80
	s_and_saveexec_b64 s[18:19], vcc
	s_cbranch_execz .LBB950_361
; %bb.360:                              ;   in Loop: Header=BB950_213 Depth=1
	v_and_b32_e32 v44, 7, v40
	v_ffbh_u32_e32 v49, v44
	v_min_u32_e32 v49, 32, v49
	v_subrev_u32_e32 v50, 28, v49
	v_lshlrev_b64 v[50:51], v50, v[40:41]
	v_lshrrev_b32_e32 v46, 3, v42
	v_sub_u32_e32 v49, 29, v49
	v_and_b32_e32 v50, 7, v50
	v_cmp_gt_u32_e32 vcc, 8, v42
	v_cndmask_b32_e32 v42, v46, v49, vcc
	v_cndmask_b32_e32 v44, v44, v50, vcc
	v_lshlrev_b32_e32 v46, 24, v40
	v_lshlrev_b32_e32 v44, 20, v44
	v_and_b32_e32 v46, 0x80000000, v46
	v_lshl_add_u32 v42, v42, 23, v48
	v_or3_b32 v42, v46, v42, v44
	v_lshrrev_b32_e32 v46, 16, v42
.LBB950_361:                            ;   in Loop: Header=BB950_213 Depth=1
	s_or_b64 exec, exec, s[18:19]
.LBB950_362:                            ;   in Loop: Header=BB950_213 Depth=1
	s_or_b64 exec, exec, s[16:17]
.LBB950_363:                            ;   in Loop: Header=BB950_213 Depth=1
	s_or_b64 exec, exec, s[14:15]
	v_lshrrev_b16_e32 v42, 8, v40
	v_cmp_ne_u16_e32 vcc, 0, v42
	v_mov_b32_e32 v50, 0
	v_mov_b32_e32 v44, 0
	s_and_saveexec_b64 s[14:15], vcc
	s_cbranch_execz .LBB950_369
; %bb.364:                              ;   in Loop: Header=BB950_213 Depth=1
	v_cmp_ne_u16_e32 vcc, s9, v42
	v_mov_b32_e32 v44, 0xffff8000
	s_and_saveexec_b64 s[16:17], vcc
	s_cbranch_execz .LBB950_368
; %bb.365:                              ;   in Loop: Header=BB950_213 Depth=1
	v_and_b32_e32 v49, 0x7f, v42
	v_cmp_ne_u32_e32 vcc, s23, v49
	v_mov_b32_e32 v44, 0x7f80
	s_and_saveexec_b64 s[18:19], vcc
	s_cbranch_execz .LBB950_367
; %bb.366:                              ;   in Loop: Header=BB950_213 Depth=1
	v_and_b32_e32 v44, 7, v42
	v_ffbh_u32_e32 v52, v44
	v_min_u32_e32 v61, 32, v52
	v_subrev_u32_e32 v52, 28, v61
	v_lshlrev_b64 v[52:53], v52, v[42:43]
	v_lshrrev_b32_e32 v51, 3, v49
	v_sub_u32_e32 v42, 29, v61
	v_and_b32_e32 v52, 7, v52
	v_cmp_gt_u32_e32 vcc, 8, v49
	v_cndmask_b32_e32 v42, v51, v42, vcc
	v_cndmask_b32_e32 v44, v44, v52, vcc
	v_lshlrev_b32_e32 v49, 16, v40
	v_lshlrev_b32_e32 v44, 20, v44
	v_and_b32_e32 v49, 0x80000000, v49
	v_lshl_add_u32 v42, v42, 23, v48
	v_or3_b32 v42, v49, v42, v44
	v_lshrrev_b32_e32 v44, 16, v42
.LBB950_367:                            ;   in Loop: Header=BB950_213 Depth=1
	s_or_b64 exec, exec, s[18:19]
.LBB950_368:                            ;   in Loop: Header=BB950_213 Depth=1
	s_or_b64 exec, exec, s[16:17]
.LBB950_369:                            ;   in Loop: Header=BB950_213 Depth=1
	s_or_b64 exec, exec, s[14:15]
	v_lshrrev_b32_e32 v42, 16, v40
	v_cmp_ne_u16_sdwa s[16:17], v42, v47 src0_sel:BYTE_0 src1_sel:DWORD
	s_and_saveexec_b64 s[14:15], s[16:17]
	s_cbranch_execz .LBB950_375
; %bb.370:                              ;   in Loop: Header=BB950_213 Depth=1
	v_cmp_ne_u16_sdwa s[18:19], v42, s9 src0_sel:BYTE_0 src1_sel:DWORD
	v_mov_b32_e32 v50, 0xffff8000
	s_and_saveexec_b64 s[16:17], s[18:19]
	s_cbranch_execz .LBB950_374
; %bb.371:                              ;   in Loop: Header=BB950_213 Depth=1
	v_bfe_u32 v49, v40, 16, 7
	v_cmp_ne_u32_e32 vcc, s23, v49
	v_mov_b32_e32 v50, 0x7f80
	s_and_saveexec_b64 s[18:19], vcc
	s_cbranch_execz .LBB950_373
; %bb.372:                              ;   in Loop: Header=BB950_213 Depth=1
	v_and_b32_e32 v52, 7, v42
	v_ffbh_u32_e32 v50, v52
	v_min_u32_e32 v61, 32, v50
	v_subrev_u32_e32 v50, 28, v61
	v_lshlrev_b64 v[50:51], v50, v[42:43]
	v_lshrrev_b32_e32 v53, 3, v49
	v_sub_u32_e32 v51, 29, v61
	v_and_b32_e32 v50, 7, v50
	v_cmp_gt_u32_e32 vcc, 8, v49
	v_cndmask_b32_e32 v49, v53, v51, vcc
	v_cndmask_b32_e32 v50, v52, v50, vcc
	v_lshlrev_b32_e32 v42, 24, v42
	v_lshlrev_b32_e32 v50, 20, v50
	v_and_b32_e32 v42, 0x80000000, v42
	v_lshl_add_u32 v49, v49, 23, v48
	v_or3_b32 v42, v42, v49, v50
	v_lshrrev_b32_e32 v50, 16, v42
.LBB950_373:                            ;   in Loop: Header=BB950_213 Depth=1
	s_or_b64 exec, exec, s[18:19]
.LBB950_374:                            ;   in Loop: Header=BB950_213 Depth=1
	s_or_b64 exec, exec, s[16:17]
.LBB950_375:                            ;   in Loop: Header=BB950_213 Depth=1
	s_or_b64 exec, exec, s[14:15]
	v_cmp_lt_u32_e32 vcc, s26, v40
	v_mov_b32_e32 v51, 0
	v_mov_b32_e32 v52, 0
	s_and_saveexec_b64 s[14:15], vcc
	s_cbranch_execz .LBB950_381
; %bb.376:                              ;   in Loop: Header=BB950_213 Depth=1
	v_lshrrev_b32_e32 v42, 24, v40
	v_cmp_ne_u32_e32 vcc, s9, v42
	v_mov_b32_e32 v52, 0xffff8000
	s_and_saveexec_b64 s[16:17], vcc
	s_cbranch_execz .LBB950_380
; %bb.377:                              ;   in Loop: Header=BB950_213 Depth=1
	v_bfe_u32 v40, v40, 24, 7
	v_cmp_ne_u32_e32 vcc, s23, v40
	v_mov_b32_e32 v52, 0x7f80
	s_and_saveexec_b64 s[18:19], vcc
	s_cbranch_execz .LBB950_379
; %bb.378:                              ;   in Loop: Header=BB950_213 Depth=1
	v_and_b32_e32 v49, 7, v42
	v_ffbh_u32_e32 v52, v49
	v_min_u32_e32 v62, 32, v52
	v_subrev_u32_e32 v52, 28, v62
	v_lshlrev_b64 v[52:53], v52, v[42:43]
	v_lshrrev_b32_e32 v61, 3, v40
	v_sub_u32_e32 v53, 29, v62
	v_and_b32_e32 v52, 7, v52
	v_cmp_gt_u32_e32 vcc, 8, v40
	v_cndmask_b32_e32 v40, v61, v53, vcc
	v_cndmask_b32_e32 v49, v49, v52, vcc
	v_lshlrev_b32_e32 v42, 24, v42
	v_lshlrev_b32_e32 v49, 20, v49
	v_and_b32_e32 v42, 0x80000000, v42
	v_lshl_add_u32 v40, v40, 23, v48
	v_or3_b32 v40, v42, v40, v49
	v_lshrrev_b32_e32 v52, 16, v40
.LBB950_379:                            ;   in Loop: Header=BB950_213 Depth=1
	s_or_b64 exec, exec, s[18:19]
.LBB950_380:                            ;   in Loop: Header=BB950_213 Depth=1
	s_or_b64 exec, exec, s[16:17]
.LBB950_381:                            ;   in Loop: Header=BB950_213 Depth=1
	s_or_b64 exec, exec, s[14:15]
	s_waitcnt vmcnt(0)
	v_cmp_ne_u16_sdwa s[16:17], v38, v47 src0_sel:BYTE_0 src1_sel:DWORD
	s_and_saveexec_b64 s[14:15], s[16:17]
	s_cbranch_execz .LBB950_387
; %bb.382:                              ;   in Loop: Header=BB950_213 Depth=1
	v_cmp_ne_u16_sdwa s[18:19], v38, s9 src0_sel:BYTE_0 src1_sel:DWORD
	v_mov_b32_e32 v51, 0xffff8000
	s_and_saveexec_b64 s[16:17], s[18:19]
	s_cbranch_execz .LBB950_386
; %bb.383:                              ;   in Loop: Header=BB950_213 Depth=1
	v_and_b32_e32 v40, 0x7f, v38
	v_cmp_ne_u32_e32 vcc, s23, v40
	v_mov_b32_e32 v51, 0x7f80
	s_and_saveexec_b64 s[18:19], vcc
	s_cbranch_execz .LBB950_385
; %bb.384:                              ;   in Loop: Header=BB950_213 Depth=1
	v_and_b32_e32 v42, 7, v38
	v_ffbh_u32_e32 v51, v42
	v_min_u32_e32 v51, 32, v51
	v_subrev_u32_e32 v53, 28, v51
	v_lshlrev_b64 v[62:63], v53, v[38:39]
	v_lshrrev_b32_e32 v49, 3, v40
	v_sub_u32_e32 v51, 29, v51
	v_and_b32_e32 v53, 7, v62
	v_cmp_gt_u32_e32 vcc, 8, v40
	v_cndmask_b32_e32 v40, v49, v51, vcc
	v_cndmask_b32_e32 v42, v42, v53, vcc
	v_lshlrev_b32_e32 v49, 24, v38
	v_lshlrev_b32_e32 v42, 20, v42
	v_and_b32_e32 v49, 0x80000000, v49
	v_lshl_add_u32 v40, v40, 23, v48
	v_or3_b32 v40, v49, v40, v42
	v_lshrrev_b32_e32 v51, 16, v40
.LBB950_385:                            ;   in Loop: Header=BB950_213 Depth=1
	s_or_b64 exec, exec, s[18:19]
.LBB950_386:                            ;   in Loop: Header=BB950_213 Depth=1
	s_or_b64 exec, exec, s[16:17]
.LBB950_387:                            ;   in Loop: Header=BB950_213 Depth=1
	s_or_b64 exec, exec, s[14:15]
	v_lshrrev_b16_e32 v40, 8, v38
	v_cmp_ne_u16_e32 vcc, 0, v40
	v_mov_b32_e32 v61, 0
	v_mov_b32_e32 v53, 0
	s_and_saveexec_b64 s[14:15], vcc
	s_cbranch_execz .LBB950_393
; %bb.388:                              ;   in Loop: Header=BB950_213 Depth=1
	v_cmp_ne_u16_e32 vcc, s9, v40
	v_mov_b32_e32 v53, 0xffff8000
	s_and_saveexec_b64 s[16:17], vcc
	s_cbranch_execz .LBB950_392
; %bb.389:                              ;   in Loop: Header=BB950_213 Depth=1
	v_and_b32_e32 v42, 0x7f, v40
	v_cmp_ne_u32_e32 vcc, s23, v42
	v_mov_b32_e32 v53, 0x7f80
	s_and_saveexec_b64 s[18:19], vcc
	s_cbranch_execz .LBB950_391
; %bb.390:                              ;   in Loop: Header=BB950_213 Depth=1
	v_and_b32_e32 v49, 7, v40
	v_ffbh_u32_e32 v62, v49
	v_min_u32_e32 v64, 32, v62
	v_subrev_u32_e32 v62, 28, v64
	v_lshlrev_b64 v[62:63], v62, v[40:41]
	v_lshrrev_b32_e32 v53, 3, v42
	v_sub_u32_e32 v40, 29, v64
	v_and_b32_e32 v62, 7, v62
	v_cmp_gt_u32_e32 vcc, 8, v42
	v_cndmask_b32_e32 v40, v53, v40, vcc
	v_cndmask_b32_e32 v42, v49, v62, vcc
	v_lshlrev_b32_e32 v49, 16, v38
	v_lshlrev_b32_e32 v42, 20, v42
	v_and_b32_e32 v49, 0x80000000, v49
	v_lshl_add_u32 v40, v40, 23, v48
	v_or3_b32 v40, v49, v40, v42
	v_lshrrev_b32_e32 v53, 16, v40
.LBB950_391:                            ;   in Loop: Header=BB950_213 Depth=1
	s_or_b64 exec, exec, s[18:19]
.LBB950_392:                            ;   in Loop: Header=BB950_213 Depth=1
	s_or_b64 exec, exec, s[16:17]
.LBB950_393:                            ;   in Loop: Header=BB950_213 Depth=1
	s_or_b64 exec, exec, s[14:15]
	v_lshrrev_b32_e32 v40, 16, v38
	v_cmp_ne_u16_sdwa s[16:17], v40, v47 src0_sel:BYTE_0 src1_sel:DWORD
	s_and_saveexec_b64 s[14:15], s[16:17]
	s_cbranch_execz .LBB950_399
; %bb.394:                              ;   in Loop: Header=BB950_213 Depth=1
	v_cmp_ne_u16_sdwa s[18:19], v40, s9 src0_sel:BYTE_0 src1_sel:DWORD
	v_mov_b32_e32 v61, 0xffff8000
	s_and_saveexec_b64 s[16:17], s[18:19]
	s_cbranch_execz .LBB950_398
; %bb.395:                              ;   in Loop: Header=BB950_213 Depth=1
	v_bfe_u32 v42, v38, 16, 7
	v_cmp_ne_u32_e32 vcc, s23, v42
	v_mov_b32_e32 v61, 0x7f80
	s_and_saveexec_b64 s[18:19], vcc
	s_cbranch_execz .LBB950_397
; %bb.396:                              ;   in Loop: Header=BB950_213 Depth=1
	v_and_b32_e32 v49, 7, v40
	v_ffbh_u32_e32 v62, v49
	v_min_u32_e32 v64, 32, v62
	v_subrev_u32_e32 v62, 28, v64
	v_lshlrev_b64 v[62:63], v62, v[40:41]
	v_lshrrev_b32_e32 v61, 3, v42
	v_sub_u32_e32 v63, 29, v64
	v_and_b32_e32 v62, 7, v62
	v_cmp_gt_u32_e32 vcc, 8, v42
	v_cndmask_b32_e32 v42, v61, v63, vcc
	v_cndmask_b32_e32 v49, v49, v62, vcc
	v_lshlrev_b32_e32 v40, 24, v40
	v_lshlrev_b32_e32 v49, 20, v49
	v_and_b32_e32 v40, 0x80000000, v40
	v_lshl_add_u32 v42, v42, 23, v48
	v_or3_b32 v40, v40, v42, v49
	v_lshrrev_b32_e32 v61, 16, v40
.LBB950_397:                            ;   in Loop: Header=BB950_213 Depth=1
	s_or_b64 exec, exec, s[18:19]
.LBB950_398:                            ;   in Loop: Header=BB950_213 Depth=1
	s_or_b64 exec, exec, s[16:17]
.LBB950_399:                            ;   in Loop: Header=BB950_213 Depth=1
	s_or_b64 exec, exec, s[14:15]
	v_cmp_lt_u32_e32 vcc, s26, v38
	v_mov_b32_e32 v49, 0
	v_mov_b32_e32 v62, 0
	s_and_saveexec_b64 s[14:15], vcc
	s_cbranch_execz .LBB950_405
; %bb.400:                              ;   in Loop: Header=BB950_213 Depth=1
	v_lshrrev_b32_e32 v40, 24, v38
	v_cmp_ne_u32_e32 vcc, s9, v40
	v_mov_b32_e32 v62, 0xffff8000
	s_and_saveexec_b64 s[16:17], vcc
	s_cbranch_execz .LBB950_404
; %bb.401:                              ;   in Loop: Header=BB950_213 Depth=1
	v_bfe_u32 v38, v38, 24, 7
	v_cmp_ne_u32_e32 vcc, s23, v38
	v_mov_b32_e32 v62, 0x7f80
	s_and_saveexec_b64 s[18:19], vcc
	s_cbranch_execz .LBB950_403
; %bb.402:                              ;   in Loop: Header=BB950_213 Depth=1
	v_and_b32_e32 v42, 7, v40
	v_ffbh_u32_e32 v62, v42
	v_min_u32_e32 v65, 32, v62
	v_subrev_u32_e32 v62, 28, v65
	v_lshlrev_b64 v[62:63], v62, v[40:41]
	v_lshrrev_b32_e32 v64, 3, v38
	v_sub_u32_e32 v63, 29, v65
	v_and_b32_e32 v62, 7, v62
	v_cmp_gt_u32_e32 vcc, 8, v38
	v_cndmask_b32_e32 v38, v64, v63, vcc
	v_cndmask_b32_e32 v42, v42, v62, vcc
	v_lshlrev_b32_e32 v40, 24, v40
	v_lshlrev_b32_e32 v42, 20, v42
	v_and_b32_e32 v40, 0x80000000, v40
	v_lshl_add_u32 v38, v38, 23, v48
	v_or3_b32 v38, v40, v38, v42
	v_lshrrev_b32_e32 v62, 16, v38
.LBB950_403:                            ;   in Loop: Header=BB950_213 Depth=1
	s_or_b64 exec, exec, s[18:19]
.LBB950_404:                            ;   in Loop: Header=BB950_213 Depth=1
	s_or_b64 exec, exec, s[16:17]
.LBB950_405:                            ;   in Loop: Header=BB950_213 Depth=1
	s_or_b64 exec, exec, s[14:15]
	v_perm_b32 v64, v44, v46, s27
	buffer_load_dword v44, v60, s[0:3], 0 offen
	buffer_load_dword v42, v60, s[0:3], 0 offen offset:4
	buffer_load_dword v40, v60, s[0:3], 0 offen offset:8
	;; [unrolled: 1-line block ×3, first 2 shown]
	v_perm_b32 v65, v52, v50, s27
	v_perm_b32 v61, v62, v61, s27
	;; [unrolled: 1-line block ×3, first 2 shown]
	v_mfma_f32_16x16x16bf16_1k v[34:37], v[64:65], v[14:15], v[34:37]
	s_waitcnt vmcnt(3)
	v_cmp_ne_u16_sdwa s[16:17], v44, v47 src0_sel:BYTE_0 src1_sel:DWORD
	v_mfma_f32_16x16x16bf16_1k v[34:37], v[60:61], v[16:17], v[34:37]
	s_and_saveexec_b64 s[14:15], s[16:17]
	s_cbranch_execz .LBB950_411
; %bb.406:                              ;   in Loop: Header=BB950_213 Depth=1
	v_cmp_ne_u16_sdwa s[18:19], v44, s9 src0_sel:BYTE_0 src1_sel:DWORD
	v_mov_b32_e32 v49, 0xffff8000
	s_and_saveexec_b64 s[16:17], s[18:19]
	s_cbranch_execz .LBB950_410
; %bb.407:                              ;   in Loop: Header=BB950_213 Depth=1
	v_and_b32_e32 v46, 0x7f, v44
	v_cmp_ne_u32_e32 vcc, s23, v46
	v_mov_b32_e32 v49, 0x7f80
	s_and_saveexec_b64 s[18:19], vcc
	s_cbranch_execz .LBB950_409
; %bb.408:                              ;   in Loop: Header=BB950_213 Depth=1
	v_and_b32_e32 v49, 7, v44
	v_ffbh_u32_e32 v50, v49
	v_min_u32_e32 v53, 32, v50
	v_subrev_u32_e32 v50, 28, v53
	v_lshlrev_b64 v[50:51], v50, v[44:45]
	v_lshrrev_b32_e32 v52, 3, v46
	v_sub_u32_e32 v51, 29, v53
	v_and_b32_e32 v50, 7, v50
	v_cmp_gt_u32_e32 vcc, 8, v46
	v_cndmask_b32_e32 v46, v52, v51, vcc
	v_cndmask_b32_e32 v49, v49, v50, vcc
	v_lshlrev_b32_e32 v50, 24, v44
	v_lshlrev_b32_e32 v49, 20, v49
	v_and_b32_e32 v50, 0x80000000, v50
	v_lshl_add_u32 v46, v46, 23, v48
	v_or3_b32 v46, v50, v46, v49
	v_lshrrev_b32_e32 v49, 16, v46
.LBB950_409:                            ;   in Loop: Header=BB950_213 Depth=1
	s_or_b64 exec, exec, s[18:19]
.LBB950_410:                            ;   in Loop: Header=BB950_213 Depth=1
	s_or_b64 exec, exec, s[16:17]
.LBB950_411:                            ;   in Loop: Header=BB950_213 Depth=1
	s_or_b64 exec, exec, s[14:15]
	v_lshrrev_b16_e32 v46, 8, v44
	v_cmp_ne_u16_e32 vcc, 0, v46
	v_mov_b32_e32 v51, 0
	v_mov_b32_e32 v50, 0
	s_and_saveexec_b64 s[14:15], vcc
	s_cbranch_execz .LBB950_417
; %bb.412:                              ;   in Loop: Header=BB950_213 Depth=1
	v_cmp_ne_u16_e32 vcc, s9, v46
	v_mov_b32_e32 v50, 0xffff8000
	s_and_saveexec_b64 s[16:17], vcc
	s_cbranch_execz .LBB950_416
; %bb.413:                              ;   in Loop: Header=BB950_213 Depth=1
	v_and_b32_e32 v52, 0x7f, v46
	v_cmp_ne_u32_e32 vcc, s23, v52
	v_mov_b32_e32 v50, 0x7f80
	s_and_saveexec_b64 s[18:19], vcc
	s_cbranch_execz .LBB950_415
; %bb.414:                              ;   in Loop: Header=BB950_213 Depth=1
	v_and_b32_e32 v50, 7, v46
	v_ffbh_u32_e32 v60, v50
	v_min_u32_e32 v62, 32, v60
	v_subrev_u32_e32 v60, 28, v62
	v_lshlrev_b64 v[60:61], v60, v[46:47]
	v_lshrrev_b32_e32 v53, 3, v52
	v_sub_u32_e32 v46, 29, v62
	v_and_b32_e32 v60, 7, v60
	v_cmp_gt_u32_e32 vcc, 8, v52
	v_cndmask_b32_e32 v46, v53, v46, vcc
	v_cndmask_b32_e32 v50, v50, v60, vcc
	v_lshlrev_b32_e32 v52, 16, v44
	v_lshlrev_b32_e32 v50, 20, v50
	v_and_b32_e32 v52, 0x80000000, v52
	v_lshl_add_u32 v46, v46, 23, v48
	v_or3_b32 v46, v52, v46, v50
	v_lshrrev_b32_e32 v50, 16, v46
.LBB950_415:                            ;   in Loop: Header=BB950_213 Depth=1
	s_or_b64 exec, exec, s[18:19]
.LBB950_416:                            ;   in Loop: Header=BB950_213 Depth=1
	s_or_b64 exec, exec, s[16:17]
.LBB950_417:                            ;   in Loop: Header=BB950_213 Depth=1
	s_or_b64 exec, exec, s[14:15]
	v_lshrrev_b32_e32 v46, 16, v44
	v_cmp_ne_u16_sdwa s[16:17], v46, v47 src0_sel:BYTE_0 src1_sel:DWORD
	s_and_saveexec_b64 s[14:15], s[16:17]
	s_cbranch_execz .LBB950_423
; %bb.418:                              ;   in Loop: Header=BB950_213 Depth=1
	v_cmp_ne_u16_sdwa s[18:19], v46, s9 src0_sel:BYTE_0 src1_sel:DWORD
	v_mov_b32_e32 v51, 0xffff8000
	s_and_saveexec_b64 s[16:17], s[18:19]
	s_cbranch_execz .LBB950_422
; %bb.419:                              ;   in Loop: Header=BB950_213 Depth=1
	v_bfe_u32 v52, v44, 16, 7
	v_cmp_ne_u32_e32 vcc, s23, v52
	v_mov_b32_e32 v51, 0x7f80
	s_and_saveexec_b64 s[18:19], vcc
	s_cbranch_execz .LBB950_421
; %bb.420:                              ;   in Loop: Header=BB950_213 Depth=1
	v_and_b32_e32 v51, 7, v46
	v_ffbh_u32_e32 v60, v51
	v_min_u32_e32 v62, 32, v60
	v_subrev_u32_e32 v60, 28, v62
	v_lshlrev_b64 v[60:61], v60, v[46:47]
	v_lshrrev_b32_e32 v53, 3, v52
	v_sub_u32_e32 v61, 29, v62
	v_and_b32_e32 v60, 7, v60
	v_cmp_gt_u32_e32 vcc, 8, v52
	v_cndmask_b32_e32 v52, v53, v61, vcc
	v_cndmask_b32_e32 v51, v51, v60, vcc
	v_lshlrev_b32_e32 v46, 24, v46
	v_lshlrev_b32_e32 v51, 20, v51
	v_and_b32_e32 v46, 0x80000000, v46
	v_lshl_add_u32 v52, v52, 23, v48
	v_or3_b32 v46, v46, v52, v51
	v_lshrrev_b32_e32 v51, 16, v46
.LBB950_421:                            ;   in Loop: Header=BB950_213 Depth=1
	s_or_b64 exec, exec, s[18:19]
.LBB950_422:                            ;   in Loop: Header=BB950_213 Depth=1
	s_or_b64 exec, exec, s[16:17]
.LBB950_423:                            ;   in Loop: Header=BB950_213 Depth=1
	s_or_b64 exec, exec, s[14:15]
	v_cmp_lt_u32_e32 vcc, s26, v44
	v_mov_b32_e32 v52, 0
	v_mov_b32_e32 v53, 0
	s_and_saveexec_b64 s[14:15], vcc
	s_cbranch_execz .LBB950_429
; %bb.424:                              ;   in Loop: Header=BB950_213 Depth=1
	v_lshrrev_b32_e32 v46, 24, v44
	v_cmp_ne_u32_e32 vcc, s9, v46
	v_mov_b32_e32 v53, 0xffff8000
	s_and_saveexec_b64 s[16:17], vcc
	s_cbranch_execz .LBB950_428
; %bb.425:                              ;   in Loop: Header=BB950_213 Depth=1
	v_bfe_u32 v44, v44, 24, 7
	v_cmp_ne_u32_e32 vcc, s23, v44
	v_mov_b32_e32 v53, 0x7f80
	s_and_saveexec_b64 s[18:19], vcc
	s_cbranch_execz .LBB950_427
; %bb.426:                              ;   in Loop: Header=BB950_213 Depth=1
	v_and_b32_e32 v53, 7, v46
	v_ffbh_u32_e32 v60, v53
	v_min_u32_e32 v63, 32, v60
	v_subrev_u32_e32 v60, 28, v63
	v_lshlrev_b64 v[60:61], v60, v[46:47]
	v_lshrrev_b32_e32 v62, 3, v44
	v_sub_u32_e32 v61, 29, v63
	v_and_b32_e32 v60, 7, v60
	v_cmp_gt_u32_e32 vcc, 8, v44
	v_cndmask_b32_e32 v44, v62, v61, vcc
	v_cndmask_b32_e32 v53, v53, v60, vcc
	v_lshlrev_b32_e32 v46, 24, v46
	v_lshlrev_b32_e32 v53, 20, v53
	v_and_b32_e32 v46, 0x80000000, v46
	v_lshl_add_u32 v44, v44, 23, v48
	v_or3_b32 v44, v46, v44, v53
	v_lshrrev_b32_e32 v53, 16, v44
.LBB950_427:                            ;   in Loop: Header=BB950_213 Depth=1
	s_or_b64 exec, exec, s[18:19]
.LBB950_428:                            ;   in Loop: Header=BB950_213 Depth=1
	s_or_b64 exec, exec, s[16:17]
.LBB950_429:                            ;   in Loop: Header=BB950_213 Depth=1
	s_or_b64 exec, exec, s[14:15]
	s_waitcnt vmcnt(2)
	v_cmp_ne_u16_sdwa s[16:17], v42, v47 src0_sel:BYTE_0 src1_sel:DWORD
	s_and_saveexec_b64 s[14:15], s[16:17]
	s_cbranch_execz .LBB950_435
; %bb.430:                              ;   in Loop: Header=BB950_213 Depth=1
	v_cmp_ne_u16_sdwa s[18:19], v42, s9 src0_sel:BYTE_0 src1_sel:DWORD
	v_mov_b32_e32 v52, 0xffff8000
	s_and_saveexec_b64 s[16:17], s[18:19]
	s_cbranch_execz .LBB950_434
; %bb.431:                              ;   in Loop: Header=BB950_213 Depth=1
	v_and_b32_e32 v44, 0x7f, v42
	v_cmp_ne_u32_e32 vcc, s23, v44
	v_mov_b32_e32 v52, 0x7f80
	s_and_saveexec_b64 s[18:19], vcc
	s_cbranch_execz .LBB950_433
; %bb.432:                              ;   in Loop: Header=BB950_213 Depth=1
	v_and_b32_e32 v46, 7, v42
	v_ffbh_u32_e32 v60, v46
	v_min_u32_e32 v62, 32, v60
	v_subrev_u32_e32 v60, 28, v62
	v_lshlrev_b64 v[60:61], v60, v[42:43]
	v_lshrrev_b32_e32 v52, 3, v44
	v_sub_u32_e32 v61, 29, v62
	v_and_b32_e32 v60, 7, v60
	v_cmp_gt_u32_e32 vcc, 8, v44
	v_cndmask_b32_e32 v44, v52, v61, vcc
	v_cndmask_b32_e32 v46, v46, v60, vcc
	v_lshlrev_b32_e32 v52, 24, v42
	v_lshlrev_b32_e32 v46, 20, v46
	v_and_b32_e32 v52, 0x80000000, v52
	v_lshl_add_u32 v44, v44, 23, v48
	v_or3_b32 v44, v52, v44, v46
	v_lshrrev_b32_e32 v52, 16, v44
.LBB950_433:                            ;   in Loop: Header=BB950_213 Depth=1
	s_or_b64 exec, exec, s[18:19]
.LBB950_434:                            ;   in Loop: Header=BB950_213 Depth=1
	s_or_b64 exec, exec, s[16:17]
.LBB950_435:                            ;   in Loop: Header=BB950_213 Depth=1
	s_or_b64 exec, exec, s[14:15]
	v_lshrrev_b16_e32 v44, 8, v42
	v_cmp_ne_u16_e32 vcc, 0, v44
	v_mov_b32_e32 v61, 0
	v_mov_b32_e32 v60, 0
	s_and_saveexec_b64 s[14:15], vcc
	s_cbranch_execz .LBB950_441
; %bb.436:                              ;   in Loop: Header=BB950_213 Depth=1
	v_cmp_ne_u16_e32 vcc, s9, v44
	v_mov_b32_e32 v60, 0xffff8000
	s_and_saveexec_b64 s[16:17], vcc
	s_cbranch_execz .LBB950_440
; %bb.437:                              ;   in Loop: Header=BB950_213 Depth=1
	v_and_b32_e32 v46, 0x7f, v44
	v_cmp_ne_u32_e32 vcc, s23, v46
	v_mov_b32_e32 v60, 0x7f80
	s_and_saveexec_b64 s[18:19], vcc
	s_cbranch_execz .LBB950_439
; %bb.438:                              ;   in Loop: Header=BB950_213 Depth=1
	v_and_b32_e32 v60, 7, v44
	v_ffbh_u32_e32 v62, v60
	v_min_u32_e32 v65, 32, v62
	v_subrev_u32_e32 v62, 28, v65
	v_lshlrev_b64 v[62:63], v62, v[44:45]
	v_lshrrev_b32_e32 v64, 3, v46
	v_sub_u32_e32 v44, 29, v65
	v_and_b32_e32 v62, 7, v62
	v_cmp_gt_u32_e32 vcc, 8, v46
	v_cndmask_b32_e32 v44, v64, v44, vcc
	v_cndmask_b32_e32 v46, v60, v62, vcc
	v_lshlrev_b32_e32 v60, 16, v42
	v_lshlrev_b32_e32 v46, 20, v46
	v_and_b32_e32 v60, 0x80000000, v60
	v_lshl_add_u32 v44, v44, 23, v48
	v_or3_b32 v44, v60, v44, v46
	v_lshrrev_b32_e32 v60, 16, v44
.LBB950_439:                            ;   in Loop: Header=BB950_213 Depth=1
	s_or_b64 exec, exec, s[18:19]
.LBB950_440:                            ;   in Loop: Header=BB950_213 Depth=1
	s_or_b64 exec, exec, s[16:17]
.LBB950_441:                            ;   in Loop: Header=BB950_213 Depth=1
	s_or_b64 exec, exec, s[14:15]
	v_lshrrev_b32_e32 v44, 16, v42
	v_cmp_ne_u16_sdwa s[16:17], v44, v47 src0_sel:BYTE_0 src1_sel:DWORD
	s_and_saveexec_b64 s[14:15], s[16:17]
	s_cbranch_execz .LBB950_447
; %bb.442:                              ;   in Loop: Header=BB950_213 Depth=1
	v_cmp_ne_u16_sdwa s[18:19], v44, s9 src0_sel:BYTE_0 src1_sel:DWORD
	v_mov_b32_e32 v61, 0xffff8000
	s_and_saveexec_b64 s[16:17], s[18:19]
	s_cbranch_execz .LBB950_446
; %bb.443:                              ;   in Loop: Header=BB950_213 Depth=1
	v_bfe_u32 v46, v42, 16, 7
	v_cmp_ne_u32_e32 vcc, s23, v46
	v_mov_b32_e32 v61, 0x7f80
	s_and_saveexec_b64 s[18:19], vcc
	s_cbranch_execz .LBB950_445
; %bb.444:                              ;   in Loop: Header=BB950_213 Depth=1
	v_and_b32_e32 v61, 7, v44
	v_ffbh_u32_e32 v62, v61
	v_min_u32_e32 v65, 32, v62
	v_subrev_u32_e32 v62, 28, v65
	v_lshlrev_b64 v[62:63], v62, v[44:45]
	v_lshrrev_b32_e32 v64, 3, v46
	v_sub_u32_e32 v63, 29, v65
	v_and_b32_e32 v62, 7, v62
	v_cmp_gt_u32_e32 vcc, 8, v46
	v_cndmask_b32_e32 v46, v64, v63, vcc
	v_cndmask_b32_e32 v61, v61, v62, vcc
	v_lshlrev_b32_e32 v44, 24, v44
	v_lshlrev_b32_e32 v61, 20, v61
	v_and_b32_e32 v44, 0x80000000, v44
	v_lshl_add_u32 v46, v46, 23, v48
	v_or3_b32 v44, v44, v46, v61
	v_lshrrev_b32_e32 v61, 16, v44
.LBB950_445:                            ;   in Loop: Header=BB950_213 Depth=1
	s_or_b64 exec, exec, s[18:19]
.LBB950_446:                            ;   in Loop: Header=BB950_213 Depth=1
	s_or_b64 exec, exec, s[16:17]
.LBB950_447:                            ;   in Loop: Header=BB950_213 Depth=1
	s_or_b64 exec, exec, s[14:15]
	v_cmp_lt_u32_e32 vcc, s26, v42
	v_mov_b32_e32 v46, 0
	v_mov_b32_e32 v62, 0
	s_and_saveexec_b64 s[14:15], vcc
	s_cbranch_execz .LBB950_453
; %bb.448:                              ;   in Loop: Header=BB950_213 Depth=1
	v_lshrrev_b32_e32 v44, 24, v42
	v_cmp_ne_u32_e32 vcc, s9, v44
	v_mov_b32_e32 v62, 0xffff8000
	s_and_saveexec_b64 s[16:17], vcc
	s_cbranch_execz .LBB950_452
; %bb.449:                              ;   in Loop: Header=BB950_213 Depth=1
	v_bfe_u32 v42, v42, 24, 7
	v_cmp_ne_u32_e32 vcc, s23, v42
	v_mov_b32_e32 v62, 0x7f80
	s_and_saveexec_b64 s[18:19], vcc
	s_cbranch_execz .LBB950_451
; %bb.450:                              ;   in Loop: Header=BB950_213 Depth=1
	v_and_b32_e32 v64, 7, v44
	v_ffbh_u32_e32 v62, v64
	v_min_u32_e32 v66, 32, v62
	v_subrev_u32_e32 v62, 28, v66
	v_lshlrev_b64 v[62:63], v62, v[44:45]
	v_lshrrev_b32_e32 v65, 3, v42
	v_sub_u32_e32 v63, 29, v66
	v_and_b32_e32 v62, 7, v62
	v_cmp_gt_u32_e32 vcc, 8, v42
	v_cndmask_b32_e32 v42, v65, v63, vcc
	v_cndmask_b32_e32 v62, v64, v62, vcc
	v_lshlrev_b32_e32 v44, 24, v44
	v_lshlrev_b32_e32 v62, 20, v62
	v_and_b32_e32 v44, 0x80000000, v44
	v_lshl_add_u32 v42, v42, 23, v48
	v_or3_b32 v42, v44, v42, v62
	v_lshrrev_b32_e32 v62, 16, v42
.LBB950_451:                            ;   in Loop: Header=BB950_213 Depth=1
	s_or_b64 exec, exec, s[18:19]
.LBB950_452:                            ;   in Loop: Header=BB950_213 Depth=1
	s_or_b64 exec, exec, s[16:17]
.LBB950_453:                            ;   in Loop: Header=BB950_213 Depth=1
	s_or_b64 exec, exec, s[14:15]
	v_perm_b32 v51, v53, v51, s27
	v_perm_b32 v50, v50, v49, s27
	s_waitcnt vmcnt(1)
	v_cmp_ne_u16_sdwa s[16:17], v40, v47 src0_sel:BYTE_0 src1_sel:DWORD
	v_mfma_f32_16x16x16bf16_1k v[34:37], v[50:51], v[18:19], v[34:37]
	v_perm_b32 v51, v62, v61, s27
	v_perm_b32 v50, v60, v52, s27
	s_nop 1
	v_mfma_f32_16x16x16bf16_1k v[34:37], v[50:51], v[20:21], v[34:37]
	s_and_saveexec_b64 s[14:15], s[16:17]
	s_cbranch_execz .LBB950_459
; %bb.454:                              ;   in Loop: Header=BB950_213 Depth=1
	v_cmp_ne_u16_sdwa s[18:19], v40, s9 src0_sel:BYTE_0 src1_sel:DWORD
	v_mov_b32_e32 v46, 0xffff8000
	s_and_saveexec_b64 s[16:17], s[18:19]
	s_cbranch_execz .LBB950_458
; %bb.455:                              ;   in Loop: Header=BB950_213 Depth=1
	v_and_b32_e32 v42, 0x7f, v40
	v_cmp_ne_u32_e32 vcc, s23, v42
	v_mov_b32_e32 v46, 0x7f80
	s_and_saveexec_b64 s[18:19], vcc
	s_cbranch_execz .LBB950_457
; %bb.456:                              ;   in Loop: Header=BB950_213 Depth=1
	v_and_b32_e32 v44, 7, v40
	v_ffbh_u32_e32 v49, v44
	v_min_u32_e32 v49, 32, v49
	v_subrev_u32_e32 v50, 28, v49
	v_lshlrev_b64 v[50:51], v50, v[40:41]
	v_lshrrev_b32_e32 v46, 3, v42
	v_sub_u32_e32 v49, 29, v49
	v_and_b32_e32 v50, 7, v50
	v_cmp_gt_u32_e32 vcc, 8, v42
	v_cndmask_b32_e32 v42, v46, v49, vcc
	v_cndmask_b32_e32 v44, v44, v50, vcc
	v_lshlrev_b32_e32 v46, 24, v40
	v_lshlrev_b32_e32 v44, 20, v44
	v_and_b32_e32 v46, 0x80000000, v46
	v_lshl_add_u32 v42, v42, 23, v48
	v_or3_b32 v42, v46, v42, v44
	v_lshrrev_b32_e32 v46, 16, v42
.LBB950_457:                            ;   in Loop: Header=BB950_213 Depth=1
	s_or_b64 exec, exec, s[18:19]
.LBB950_458:                            ;   in Loop: Header=BB950_213 Depth=1
	s_or_b64 exec, exec, s[16:17]
.LBB950_459:                            ;   in Loop: Header=BB950_213 Depth=1
	s_or_b64 exec, exec, s[14:15]
	v_lshrrev_b16_e32 v42, 8, v40
	v_cmp_ne_u16_e32 vcc, 0, v42
	v_mov_b32_e32 v50, 0
	v_mov_b32_e32 v44, 0
	s_and_saveexec_b64 s[14:15], vcc
	s_cbranch_execz .LBB950_465
; %bb.460:                              ;   in Loop: Header=BB950_213 Depth=1
	v_cmp_ne_u16_e32 vcc, s9, v42
	v_mov_b32_e32 v44, 0xffff8000
	s_and_saveexec_b64 s[16:17], vcc
	s_cbranch_execz .LBB950_464
; %bb.461:                              ;   in Loop: Header=BB950_213 Depth=1
	v_and_b32_e32 v49, 0x7f, v42
	v_cmp_ne_u32_e32 vcc, s23, v49
	v_mov_b32_e32 v44, 0x7f80
	s_and_saveexec_b64 s[18:19], vcc
	s_cbranch_execz .LBB950_463
; %bb.462:                              ;   in Loop: Header=BB950_213 Depth=1
	v_and_b32_e32 v44, 7, v42
	v_ffbh_u32_e32 v52, v44
	v_min_u32_e32 v60, 32, v52
	v_subrev_u32_e32 v52, 28, v60
	v_lshlrev_b64 v[52:53], v52, v[42:43]
	v_lshrrev_b32_e32 v51, 3, v49
	v_sub_u32_e32 v42, 29, v60
	v_and_b32_e32 v52, 7, v52
	v_cmp_gt_u32_e32 vcc, 8, v49
	v_cndmask_b32_e32 v42, v51, v42, vcc
	v_cndmask_b32_e32 v44, v44, v52, vcc
	v_lshlrev_b32_e32 v49, 16, v40
	v_lshlrev_b32_e32 v44, 20, v44
	v_and_b32_e32 v49, 0x80000000, v49
	v_lshl_add_u32 v42, v42, 23, v48
	v_or3_b32 v42, v49, v42, v44
	v_lshrrev_b32_e32 v44, 16, v42
.LBB950_463:                            ;   in Loop: Header=BB950_213 Depth=1
	s_or_b64 exec, exec, s[18:19]
.LBB950_464:                            ;   in Loop: Header=BB950_213 Depth=1
	s_or_b64 exec, exec, s[16:17]
.LBB950_465:                            ;   in Loop: Header=BB950_213 Depth=1
	s_or_b64 exec, exec, s[14:15]
	v_lshrrev_b32_e32 v42, 16, v40
	v_cmp_ne_u16_sdwa s[16:17], v42, v47 src0_sel:BYTE_0 src1_sel:DWORD
	s_and_saveexec_b64 s[14:15], s[16:17]
	s_cbranch_execz .LBB950_471
; %bb.466:                              ;   in Loop: Header=BB950_213 Depth=1
	v_cmp_ne_u16_sdwa s[18:19], v42, s9 src0_sel:BYTE_0 src1_sel:DWORD
	v_mov_b32_e32 v50, 0xffff8000
	s_and_saveexec_b64 s[16:17], s[18:19]
	s_cbranch_execz .LBB950_470
; %bb.467:                              ;   in Loop: Header=BB950_213 Depth=1
	v_bfe_u32 v49, v40, 16, 7
	v_cmp_ne_u32_e32 vcc, s23, v49
	v_mov_b32_e32 v50, 0x7f80
	s_and_saveexec_b64 s[18:19], vcc
	s_cbranch_execz .LBB950_469
; %bb.468:                              ;   in Loop: Header=BB950_213 Depth=1
	v_and_b32_e32 v52, 7, v42
	v_ffbh_u32_e32 v50, v52
	v_min_u32_e32 v60, 32, v50
	v_subrev_u32_e32 v50, 28, v60
	v_lshlrev_b64 v[50:51], v50, v[42:43]
	v_lshrrev_b32_e32 v53, 3, v49
	v_sub_u32_e32 v51, 29, v60
	v_and_b32_e32 v50, 7, v50
	v_cmp_gt_u32_e32 vcc, 8, v49
	v_cndmask_b32_e32 v49, v53, v51, vcc
	v_cndmask_b32_e32 v50, v52, v50, vcc
	v_lshlrev_b32_e32 v42, 24, v42
	v_lshlrev_b32_e32 v50, 20, v50
	v_and_b32_e32 v42, 0x80000000, v42
	v_lshl_add_u32 v49, v49, 23, v48
	v_or3_b32 v42, v42, v49, v50
	v_lshrrev_b32_e32 v50, 16, v42
.LBB950_469:                            ;   in Loop: Header=BB950_213 Depth=1
	s_or_b64 exec, exec, s[18:19]
.LBB950_470:                            ;   in Loop: Header=BB950_213 Depth=1
	s_or_b64 exec, exec, s[16:17]
.LBB950_471:                            ;   in Loop: Header=BB950_213 Depth=1
	s_or_b64 exec, exec, s[14:15]
	v_cmp_lt_u32_e32 vcc, s26, v40
	v_mov_b32_e32 v51, 0
	v_mov_b32_e32 v52, 0
	s_and_saveexec_b64 s[14:15], vcc
	s_cbranch_execz .LBB950_477
; %bb.472:                              ;   in Loop: Header=BB950_213 Depth=1
	v_lshrrev_b32_e32 v42, 24, v40
	v_cmp_ne_u32_e32 vcc, s9, v42
	v_mov_b32_e32 v52, 0xffff8000
	s_and_saveexec_b64 s[16:17], vcc
	s_cbranch_execz .LBB950_476
; %bb.473:                              ;   in Loop: Header=BB950_213 Depth=1
	v_bfe_u32 v40, v40, 24, 7
	v_cmp_ne_u32_e32 vcc, s23, v40
	v_mov_b32_e32 v52, 0x7f80
	s_and_saveexec_b64 s[18:19], vcc
	s_cbranch_execz .LBB950_475
; %bb.474:                              ;   in Loop: Header=BB950_213 Depth=1
	v_and_b32_e32 v49, 7, v42
	v_ffbh_u32_e32 v52, v49
	v_min_u32_e32 v61, 32, v52
	v_subrev_u32_e32 v52, 28, v61
	v_lshlrev_b64 v[52:53], v52, v[42:43]
	v_lshrrev_b32_e32 v60, 3, v40
	v_sub_u32_e32 v53, 29, v61
	v_and_b32_e32 v52, 7, v52
	v_cmp_gt_u32_e32 vcc, 8, v40
	v_cndmask_b32_e32 v40, v60, v53, vcc
	v_cndmask_b32_e32 v49, v49, v52, vcc
	v_lshlrev_b32_e32 v42, 24, v42
	v_lshlrev_b32_e32 v49, 20, v49
	v_and_b32_e32 v42, 0x80000000, v42
	v_lshl_add_u32 v40, v40, 23, v48
	v_or3_b32 v40, v42, v40, v49
	v_lshrrev_b32_e32 v52, 16, v40
.LBB950_475:                            ;   in Loop: Header=BB950_213 Depth=1
	s_or_b64 exec, exec, s[18:19]
.LBB950_476:                            ;   in Loop: Header=BB950_213 Depth=1
	s_or_b64 exec, exec, s[16:17]
.LBB950_477:                            ;   in Loop: Header=BB950_213 Depth=1
	s_or_b64 exec, exec, s[14:15]
	s_waitcnt vmcnt(0)
	v_cmp_ne_u16_sdwa s[16:17], v38, v47 src0_sel:BYTE_0 src1_sel:DWORD
	s_and_saveexec_b64 s[14:15], s[16:17]
	s_cbranch_execz .LBB950_483
; %bb.478:                              ;   in Loop: Header=BB950_213 Depth=1
	v_cmp_ne_u16_sdwa s[18:19], v38, s9 src0_sel:BYTE_0 src1_sel:DWORD
	v_mov_b32_e32 v51, 0xffff8000
	s_and_saveexec_b64 s[16:17], s[18:19]
	s_cbranch_execz .LBB950_482
; %bb.479:                              ;   in Loop: Header=BB950_213 Depth=1
	v_and_b32_e32 v40, 0x7f, v38
	v_cmp_ne_u32_e32 vcc, s23, v40
	v_mov_b32_e32 v51, 0x7f80
	s_and_saveexec_b64 s[18:19], vcc
	s_cbranch_execz .LBB950_481
; %bb.480:                              ;   in Loop: Header=BB950_213 Depth=1
	v_and_b32_e32 v42, 7, v38
	v_ffbh_u32_e32 v51, v42
	v_min_u32_e32 v51, 32, v51
	v_subrev_u32_e32 v53, 28, v51
	v_lshlrev_b64 v[60:61], v53, v[38:39]
	v_lshrrev_b32_e32 v49, 3, v40
	v_sub_u32_e32 v51, 29, v51
	v_and_b32_e32 v53, 7, v60
	v_cmp_gt_u32_e32 vcc, 8, v40
	v_cndmask_b32_e32 v40, v49, v51, vcc
	v_cndmask_b32_e32 v42, v42, v53, vcc
	v_lshlrev_b32_e32 v49, 24, v38
	v_lshlrev_b32_e32 v42, 20, v42
	v_and_b32_e32 v49, 0x80000000, v49
	v_lshl_add_u32 v40, v40, 23, v48
	v_or3_b32 v40, v49, v40, v42
	v_lshrrev_b32_e32 v51, 16, v40
.LBB950_481:                            ;   in Loop: Header=BB950_213 Depth=1
	s_or_b64 exec, exec, s[18:19]
.LBB950_482:                            ;   in Loop: Header=BB950_213 Depth=1
	s_or_b64 exec, exec, s[16:17]
.LBB950_483:                            ;   in Loop: Header=BB950_213 Depth=1
	s_or_b64 exec, exec, s[14:15]
	v_lshrrev_b16_e32 v40, 8, v38
	v_cmp_ne_u16_e32 vcc, 0, v40
	v_mov_b32_e32 v60, 0
	v_mov_b32_e32 v53, 0
	s_and_saveexec_b64 s[14:15], vcc
	s_cbranch_execz .LBB950_489
; %bb.484:                              ;   in Loop: Header=BB950_213 Depth=1
	v_cmp_ne_u16_e32 vcc, s9, v40
	v_mov_b32_e32 v53, 0xffff8000
	s_and_saveexec_b64 s[16:17], vcc
	s_cbranch_execz .LBB950_488
; %bb.485:                              ;   in Loop: Header=BB950_213 Depth=1
	v_and_b32_e32 v42, 0x7f, v40
	v_cmp_ne_u32_e32 vcc, s23, v42
	v_mov_b32_e32 v53, 0x7f80
	s_and_saveexec_b64 s[18:19], vcc
	s_cbranch_execz .LBB950_487
; %bb.486:                              ;   in Loop: Header=BB950_213 Depth=1
	v_and_b32_e32 v49, 7, v40
	v_ffbh_u32_e32 v61, v49
	v_min_u32_e32 v61, 32, v61
	v_subrev_u32_e32 v62, 28, v61
	v_lshlrev_b64 v[62:63], v62, v[40:41]
	v_lshrrev_b32_e32 v53, 3, v42
	v_sub_u32_e32 v40, 29, v61
	v_and_b32_e32 v61, 7, v62
	v_cmp_gt_u32_e32 vcc, 8, v42
	v_cndmask_b32_e32 v40, v53, v40, vcc
	v_cndmask_b32_e32 v42, v49, v61, vcc
	v_lshlrev_b32_e32 v49, 16, v38
	v_lshlrev_b32_e32 v42, 20, v42
	v_and_b32_e32 v49, 0x80000000, v49
	v_lshl_add_u32 v40, v40, 23, v48
	v_or3_b32 v40, v49, v40, v42
	v_lshrrev_b32_e32 v53, 16, v40
.LBB950_487:                            ;   in Loop: Header=BB950_213 Depth=1
	s_or_b64 exec, exec, s[18:19]
.LBB950_488:                            ;   in Loop: Header=BB950_213 Depth=1
	s_or_b64 exec, exec, s[16:17]
.LBB950_489:                            ;   in Loop: Header=BB950_213 Depth=1
	s_or_b64 exec, exec, s[14:15]
	v_lshrrev_b32_e32 v40, 16, v38
	v_cmp_ne_u16_sdwa s[16:17], v40, v47 src0_sel:BYTE_0 src1_sel:DWORD
	s_and_saveexec_b64 s[14:15], s[16:17]
	s_cbranch_execz .LBB950_495
; %bb.490:                              ;   in Loop: Header=BB950_213 Depth=1
	v_cmp_ne_u16_sdwa s[18:19], v40, s9 src0_sel:BYTE_0 src1_sel:DWORD
	v_mov_b32_e32 v60, 0xffff8000
	s_and_saveexec_b64 s[16:17], s[18:19]
	s_cbranch_execz .LBB950_494
; %bb.491:                              ;   in Loop: Header=BB950_213 Depth=1
	v_bfe_u32 v42, v38, 16, 7
	v_cmp_ne_u32_e32 vcc, s23, v42
	v_mov_b32_e32 v60, 0x7f80
	s_and_saveexec_b64 s[18:19], vcc
	s_cbranch_execz .LBB950_493
; %bb.492:                              ;   in Loop: Header=BB950_213 Depth=1
	v_and_b32_e32 v49, 7, v40
	v_ffbh_u32_e32 v60, v49
	v_min_u32_e32 v63, 32, v60
	v_subrev_u32_e32 v60, 28, v63
	v_lshlrev_b64 v[60:61], v60, v[40:41]
	v_lshrrev_b32_e32 v62, 3, v42
	v_sub_u32_e32 v61, 29, v63
	v_and_b32_e32 v60, 7, v60
	v_cmp_gt_u32_e32 vcc, 8, v42
	v_cndmask_b32_e32 v42, v62, v61, vcc
	v_cndmask_b32_e32 v49, v49, v60, vcc
	v_lshlrev_b32_e32 v40, 24, v40
	v_lshlrev_b32_e32 v49, 20, v49
	v_and_b32_e32 v40, 0x80000000, v40
	v_lshl_add_u32 v42, v42, 23, v48
	v_or3_b32 v40, v40, v42, v49
	v_lshrrev_b32_e32 v60, 16, v40
.LBB950_493:                            ;   in Loop: Header=BB950_213 Depth=1
	s_or_b64 exec, exec, s[18:19]
.LBB950_494:                            ;   in Loop: Header=BB950_213 Depth=1
	s_or_b64 exec, exec, s[16:17]
.LBB950_495:                            ;   in Loop: Header=BB950_213 Depth=1
	s_or_b64 exec, exec, s[14:15]
	v_cmp_lt_u32_e32 vcc, s26, v38
	v_mov_b32_e32 v49, 0
	v_mov_b32_e32 v61, 0
	s_and_saveexec_b64 s[14:15], vcc
	s_cbranch_execz .LBB950_501
; %bb.496:                              ;   in Loop: Header=BB950_213 Depth=1
	v_lshrrev_b32_e32 v40, 24, v38
	v_cmp_ne_u32_e32 vcc, s9, v40
	v_mov_b32_e32 v61, 0xffff8000
	s_and_saveexec_b64 s[16:17], vcc
	s_cbranch_execz .LBB950_500
; %bb.497:                              ;   in Loop: Header=BB950_213 Depth=1
	v_bfe_u32 v38, v38, 24, 7
	v_cmp_ne_u32_e32 vcc, s23, v38
	v_mov_b32_e32 v61, 0x7f80
	s_and_saveexec_b64 s[18:19], vcc
	s_cbranch_execz .LBB950_499
; %bb.498:                              ;   in Loop: Header=BB950_213 Depth=1
	v_and_b32_e32 v42, 7, v40
	v_ffbh_u32_e32 v62, v42
	v_min_u32_e32 v64, 32, v62
	v_subrev_u32_e32 v62, 28, v64
	v_lshlrev_b64 v[62:63], v62, v[40:41]
	v_lshrrev_b32_e32 v61, 3, v38
	v_sub_u32_e32 v63, 29, v64
	v_and_b32_e32 v62, 7, v62
	v_cmp_gt_u32_e32 vcc, 8, v38
	v_cndmask_b32_e32 v38, v61, v63, vcc
	v_cndmask_b32_e32 v42, v42, v62, vcc
	v_lshlrev_b32_e32 v40, 24, v40
	v_lshlrev_b32_e32 v42, 20, v42
	v_and_b32_e32 v40, 0x80000000, v40
	v_lshl_add_u32 v38, v38, 23, v48
	v_or3_b32 v38, v40, v38, v42
	v_lshrrev_b32_e32 v61, 16, v38
.LBB950_499:                            ;   in Loop: Header=BB950_213 Depth=1
	s_or_b64 exec, exec, s[18:19]
.LBB950_500:                            ;   in Loop: Header=BB950_213 Depth=1
	s_or_b64 exec, exec, s[16:17]
.LBB950_501:                            ;   in Loop: Header=BB950_213 Depth=1
	s_or_b64 exec, exec, s[14:15]
	v_perm_b32 v62, v44, v46, s27
	buffer_load_dword v44, v41, s[0:3], 0 offen
	buffer_load_dword v42, v41, s[0:3], 0 offen offset:4
	buffer_load_dword v40, v41, s[0:3], 0 offen offset:8
	;; [unrolled: 1-line block ×3, first 2 shown]
	v_perm_b32 v63, v52, v50, s27
	v_perm_b32 v61, v61, v60, s27
	;; [unrolled: 1-line block ×3, first 2 shown]
	v_mfma_f32_16x16x16bf16_1k v[34:37], v[62:63], v[22:23], v[34:37]
	s_waitcnt vmcnt(3)
	v_cmp_ne_u16_sdwa s[16:17], v44, v47 src0_sel:BYTE_0 src1_sel:DWORD
	v_mfma_f32_16x16x16bf16_1k v[34:37], v[60:61], v[24:25], v[34:37]
	s_and_saveexec_b64 s[14:15], s[16:17]
	s_cbranch_execz .LBB950_507
; %bb.502:                              ;   in Loop: Header=BB950_213 Depth=1
	v_cmp_ne_u16_sdwa s[18:19], v44, s9 src0_sel:BYTE_0 src1_sel:DWORD
	v_mov_b32_e32 v49, 0xffff8000
	s_and_saveexec_b64 s[16:17], s[18:19]
	s_cbranch_execz .LBB950_506
; %bb.503:                              ;   in Loop: Header=BB950_213 Depth=1
	v_and_b32_e32 v41, 0x7f, v44
	v_cmp_ne_u32_e32 vcc, s23, v41
	v_mov_b32_e32 v49, 0x7f80
	s_and_saveexec_b64 s[18:19], vcc
	s_cbranch_execz .LBB950_505
; %bb.504:                              ;   in Loop: Header=BB950_213 Depth=1
	v_and_b32_e32 v46, 7, v44
	v_ffbh_u32_e32 v50, v46
	v_min_u32_e32 v52, 32, v50
	v_subrev_u32_e32 v50, 28, v52
	v_lshlrev_b64 v[50:51], v50, v[44:45]
	v_lshrrev_b32_e32 v49, 3, v41
	v_sub_u32_e32 v51, 29, v52
	v_and_b32_e32 v50, 7, v50
	v_cmp_gt_u32_e32 vcc, 8, v41
	v_cndmask_b32_e32 v41, v49, v51, vcc
	v_cndmask_b32_e32 v46, v46, v50, vcc
	v_lshlrev_b32_e32 v49, 24, v44
	v_lshlrev_b32_e32 v46, 20, v46
	v_and_b32_e32 v49, 0x80000000, v49
	v_lshl_add_u32 v41, v41, 23, v48
	v_or3_b32 v41, v49, v41, v46
	v_lshrrev_b32_e32 v49, 16, v41
.LBB950_505:                            ;   in Loop: Header=BB950_213 Depth=1
	s_or_b64 exec, exec, s[18:19]
.LBB950_506:                            ;   in Loop: Header=BB950_213 Depth=1
	s_or_b64 exec, exec, s[16:17]
.LBB950_507:                            ;   in Loop: Header=BB950_213 Depth=1
	s_or_b64 exec, exec, s[14:15]
	v_lshrrev_b16_e32 v46, 8, v44
	v_cmp_ne_u16_e32 vcc, 0, v46
	v_mov_b32_e32 v51, 0
	v_mov_b32_e32 v50, 0
	s_and_saveexec_b64 s[14:15], vcc
	s_cbranch_execz .LBB950_513
; %bb.508:                              ;   in Loop: Header=BB950_213 Depth=1
	v_cmp_ne_u16_e32 vcc, s9, v46
	v_mov_b32_e32 v50, 0xffff8000
	s_and_saveexec_b64 s[16:17], vcc
	s_cbranch_execz .LBB950_512
; %bb.509:                              ;   in Loop: Header=BB950_213 Depth=1
	v_and_b32_e32 v41, 0x7f, v46
	v_cmp_ne_u32_e32 vcc, s23, v41
	v_mov_b32_e32 v50, 0x7f80
	s_and_saveexec_b64 s[18:19], vcc
	s_cbranch_execz .LBB950_511
; %bb.510:                              ;   in Loop: Header=BB950_213 Depth=1
	v_and_b32_e32 v50, 7, v46
	v_ffbh_u32_e32 v52, v50
	v_min_u32_e32 v61, 32, v52
	v_subrev_u32_e32 v52, 28, v61
	v_lshlrev_b64 v[52:53], v52, v[46:47]
	v_lshrrev_b32_e32 v60, 3, v41
	v_sub_u32_e32 v46, 29, v61
	v_and_b32_e32 v52, 7, v52
	v_cmp_gt_u32_e32 vcc, 8, v41
	v_cndmask_b32_e32 v41, v60, v46, vcc
	v_cndmask_b32_e32 v46, v50, v52, vcc
	v_lshlrev_b32_e32 v50, 16, v44
	v_lshlrev_b32_e32 v46, 20, v46
	v_and_b32_e32 v50, 0x80000000, v50
	v_lshl_add_u32 v41, v41, 23, v48
	v_or3_b32 v41, v50, v41, v46
	v_lshrrev_b32_e32 v50, 16, v41
.LBB950_511:                            ;   in Loop: Header=BB950_213 Depth=1
	s_or_b64 exec, exec, s[18:19]
.LBB950_512:                            ;   in Loop: Header=BB950_213 Depth=1
	s_or_b64 exec, exec, s[16:17]
.LBB950_513:                            ;   in Loop: Header=BB950_213 Depth=1
	s_or_b64 exec, exec, s[14:15]
	v_lshrrev_b32_e32 v46, 16, v44
	v_cmp_ne_u16_sdwa s[16:17], v46, v47 src0_sel:BYTE_0 src1_sel:DWORD
	s_and_saveexec_b64 s[14:15], s[16:17]
	s_cbranch_execz .LBB950_519
; %bb.514:                              ;   in Loop: Header=BB950_213 Depth=1
	v_cmp_ne_u16_sdwa s[18:19], v46, s9 src0_sel:BYTE_0 src1_sel:DWORD
	v_mov_b32_e32 v51, 0xffff8000
	s_and_saveexec_b64 s[16:17], s[18:19]
	s_cbranch_execz .LBB950_518
; %bb.515:                              ;   in Loop: Header=BB950_213 Depth=1
	v_bfe_u32 v41, v44, 16, 7
	v_cmp_ne_u32_e32 vcc, s23, v41
	v_mov_b32_e32 v51, 0x7f80
	s_and_saveexec_b64 s[18:19], vcc
	s_cbranch_execz .LBB950_517
; %bb.516:                              ;   in Loop: Header=BB950_213 Depth=1
	v_and_b32_e32 v51, 7, v46
	v_ffbh_u32_e32 v52, v51
	v_min_u32_e32 v61, 32, v52
	v_subrev_u32_e32 v52, 28, v61
	v_lshlrev_b64 v[52:53], v52, v[46:47]
	v_lshrrev_b32_e32 v60, 3, v41
	v_sub_u32_e32 v53, 29, v61
	v_and_b32_e32 v52, 7, v52
	v_cmp_gt_u32_e32 vcc, 8, v41
	v_cndmask_b32_e32 v41, v60, v53, vcc
	v_cndmask_b32_e32 v51, v51, v52, vcc
	v_lshlrev_b32_e32 v46, 24, v46
	v_lshlrev_b32_e32 v51, 20, v51
	v_and_b32_e32 v46, 0x80000000, v46
	v_lshl_add_u32 v41, v41, 23, v48
	v_or3_b32 v41, v46, v41, v51
	v_lshrrev_b32_e32 v51, 16, v41
.LBB950_517:                            ;   in Loop: Header=BB950_213 Depth=1
	s_or_b64 exec, exec, s[18:19]
.LBB950_518:                            ;   in Loop: Header=BB950_213 Depth=1
	s_or_b64 exec, exec, s[16:17]
.LBB950_519:                            ;   in Loop: Header=BB950_213 Depth=1
	s_or_b64 exec, exec, s[14:15]
	v_cmp_lt_u32_e32 vcc, s26, v44
	v_mov_b32_e32 v52, 0
	v_mov_b32_e32 v53, 0
	s_and_saveexec_b64 s[14:15], vcc
	s_cbranch_execz .LBB950_525
; %bb.520:                              ;   in Loop: Header=BB950_213 Depth=1
	v_lshrrev_b32_e32 v46, 24, v44
	v_cmp_ne_u32_e32 vcc, s9, v46
	v_mov_b32_e32 v53, 0xffff8000
	s_and_saveexec_b64 s[16:17], vcc
	s_cbranch_execz .LBB950_524
; %bb.521:                              ;   in Loop: Header=BB950_213 Depth=1
	v_bfe_u32 v41, v44, 24, 7
	v_cmp_ne_u32_e32 vcc, s23, v41
	v_mov_b32_e32 v53, 0x7f80
	s_and_saveexec_b64 s[18:19], vcc
	s_cbranch_execz .LBB950_523
; %bb.522:                              ;   in Loop: Header=BB950_213 Depth=1
	v_and_b32_e32 v44, 7, v46
	v_ffbh_u32_e32 v60, v44
	v_min_u32_e32 v62, 32, v60
	v_subrev_u32_e32 v60, 28, v62
	v_lshlrev_b64 v[60:61], v60, v[46:47]
	v_lshrrev_b32_e32 v53, 3, v41
	v_sub_u32_e32 v61, 29, v62
	v_and_b32_e32 v60, 7, v60
	v_cmp_gt_u32_e32 vcc, 8, v41
	v_cndmask_b32_e32 v41, v53, v61, vcc
	v_cndmask_b32_e32 v44, v44, v60, vcc
	v_lshlrev_b32_e32 v46, 24, v46
	v_lshlrev_b32_e32 v44, 20, v44
	v_and_b32_e32 v46, 0x80000000, v46
	v_lshl_add_u32 v41, v41, 23, v48
	v_or3_b32 v41, v46, v41, v44
	v_lshrrev_b32_e32 v53, 16, v41
.LBB950_523:                            ;   in Loop: Header=BB950_213 Depth=1
	s_or_b64 exec, exec, s[18:19]
.LBB950_524:                            ;   in Loop: Header=BB950_213 Depth=1
	s_or_b64 exec, exec, s[16:17]
.LBB950_525:                            ;   in Loop: Header=BB950_213 Depth=1
	s_or_b64 exec, exec, s[14:15]
	s_waitcnt vmcnt(2)
	v_cmp_ne_u16_sdwa s[16:17], v42, v47 src0_sel:BYTE_0 src1_sel:DWORD
	s_and_saveexec_b64 s[14:15], s[16:17]
	s_cbranch_execz .LBB950_531
; %bb.526:                              ;   in Loop: Header=BB950_213 Depth=1
	v_cmp_ne_u16_sdwa s[18:19], v42, s9 src0_sel:BYTE_0 src1_sel:DWORD
	v_mov_b32_e32 v52, 0xffff8000
	s_and_saveexec_b64 s[16:17], s[18:19]
	s_cbranch_execz .LBB950_530
; %bb.527:                              ;   in Loop: Header=BB950_213 Depth=1
	v_and_b32_e32 v41, 0x7f, v42
	v_cmp_ne_u32_e32 vcc, s23, v41
	v_mov_b32_e32 v52, 0x7f80
	s_and_saveexec_b64 s[18:19], vcc
	s_cbranch_execz .LBB950_529
; %bb.528:                              ;   in Loop: Header=BB950_213 Depth=1
	v_and_b32_e32 v44, 7, v42
	v_ffbh_u32_e32 v52, v44
	v_min_u32_e32 v52, 32, v52
	v_subrev_u32_e32 v60, 28, v52
	v_lshlrev_b64 v[60:61], v60, v[42:43]
	v_lshrrev_b32_e32 v46, 3, v41
	v_sub_u32_e32 v52, 29, v52
	v_and_b32_e32 v60, 7, v60
	v_cmp_gt_u32_e32 vcc, 8, v41
	v_cndmask_b32_e32 v41, v46, v52, vcc
	v_cndmask_b32_e32 v44, v44, v60, vcc
	v_lshlrev_b32_e32 v46, 24, v42
	v_lshlrev_b32_e32 v44, 20, v44
	v_and_b32_e32 v46, 0x80000000, v46
	v_lshl_add_u32 v41, v41, 23, v48
	v_or3_b32 v41, v46, v41, v44
	v_lshrrev_b32_e32 v52, 16, v41
.LBB950_529:                            ;   in Loop: Header=BB950_213 Depth=1
	s_or_b64 exec, exec, s[18:19]
.LBB950_530:                            ;   in Loop: Header=BB950_213 Depth=1
	s_or_b64 exec, exec, s[16:17]
.LBB950_531:                            ;   in Loop: Header=BB950_213 Depth=1
	s_or_b64 exec, exec, s[14:15]
	v_lshrrev_b16_e32 v44, 8, v42
	v_cmp_ne_u16_e32 vcc, 0, v44
	v_mov_b32_e32 v60, 0
	v_mov_b32_e32 v46, 0
	s_and_saveexec_b64 s[14:15], vcc
	s_cbranch_execz .LBB950_537
; %bb.532:                              ;   in Loop: Header=BB950_213 Depth=1
	v_cmp_ne_u16_e32 vcc, s9, v44
	v_mov_b32_e32 v46, 0xffff8000
	s_and_saveexec_b64 s[16:17], vcc
	s_cbranch_execz .LBB950_536
; %bb.533:                              ;   in Loop: Header=BB950_213 Depth=1
	v_and_b32_e32 v41, 0x7f, v44
	v_cmp_ne_u32_e32 vcc, s23, v41
	v_mov_b32_e32 v46, 0x7f80
	s_and_saveexec_b64 s[18:19], vcc
	s_cbranch_execz .LBB950_535
; %bb.534:                              ;   in Loop: Header=BB950_213 Depth=1
	v_and_b32_e32 v46, 7, v44
	v_ffbh_u32_e32 v62, v46
	v_min_u32_e32 v64, 32, v62
	v_subrev_u32_e32 v62, 28, v64
	v_lshlrev_b64 v[62:63], v62, v[44:45]
	v_lshrrev_b32_e32 v61, 3, v41
	v_sub_u32_e32 v44, 29, v64
	v_and_b32_e32 v62, 7, v62
	v_cmp_gt_u32_e32 vcc, 8, v41
	v_cndmask_b32_e32 v41, v61, v44, vcc
	v_cndmask_b32_e32 v44, v46, v62, vcc
	v_lshlrev_b32_e32 v46, 16, v42
	v_lshlrev_b32_e32 v44, 20, v44
	v_and_b32_e32 v46, 0x80000000, v46
	v_lshl_add_u32 v41, v41, 23, v48
	v_or3_b32 v41, v46, v41, v44
	v_lshrrev_b32_e32 v46, 16, v41
.LBB950_535:                            ;   in Loop: Header=BB950_213 Depth=1
	s_or_b64 exec, exec, s[18:19]
.LBB950_536:                            ;   in Loop: Header=BB950_213 Depth=1
	s_or_b64 exec, exec, s[16:17]
.LBB950_537:                            ;   in Loop: Header=BB950_213 Depth=1
	s_or_b64 exec, exec, s[14:15]
	v_lshrrev_b32_e32 v44, 16, v42
	v_cmp_ne_u16_sdwa s[16:17], v44, v47 src0_sel:BYTE_0 src1_sel:DWORD
	s_and_saveexec_b64 s[14:15], s[16:17]
	s_cbranch_execz .LBB950_543
; %bb.538:                              ;   in Loop: Header=BB950_213 Depth=1
	v_cmp_ne_u16_sdwa s[18:19], v44, s9 src0_sel:BYTE_0 src1_sel:DWORD
	v_mov_b32_e32 v60, 0xffff8000
	s_and_saveexec_b64 s[16:17], s[18:19]
	s_cbranch_execz .LBB950_542
; %bb.539:                              ;   in Loop: Header=BB950_213 Depth=1
	v_bfe_u32 v41, v42, 16, 7
	v_cmp_ne_u32_e32 vcc, s23, v41
	v_mov_b32_e32 v60, 0x7f80
	s_and_saveexec_b64 s[18:19], vcc
	s_cbranch_execz .LBB950_541
; %bb.540:                              ;   in Loop: Header=BB950_213 Depth=1
	v_and_b32_e32 v62, 7, v44
	v_ffbh_u32_e32 v60, v62
	v_min_u32_e32 v64, 32, v60
	v_subrev_u32_e32 v60, 28, v64
	v_lshlrev_b64 v[60:61], v60, v[44:45]
	v_lshrrev_b32_e32 v63, 3, v41
	v_sub_u32_e32 v61, 29, v64
	v_and_b32_e32 v60, 7, v60
	v_cmp_gt_u32_e32 vcc, 8, v41
	v_cndmask_b32_e32 v41, v63, v61, vcc
	v_cndmask_b32_e32 v60, v62, v60, vcc
	v_lshlrev_b32_e32 v44, 24, v44
	v_lshlrev_b32_e32 v60, 20, v60
	v_and_b32_e32 v44, 0x80000000, v44
	v_lshl_add_u32 v41, v41, 23, v48
	v_or3_b32 v41, v44, v41, v60
	v_lshrrev_b32_e32 v60, 16, v41
.LBB950_541:                            ;   in Loop: Header=BB950_213 Depth=1
	s_or_b64 exec, exec, s[18:19]
.LBB950_542:                            ;   in Loop: Header=BB950_213 Depth=1
	s_or_b64 exec, exec, s[16:17]
.LBB950_543:                            ;   in Loop: Header=BB950_213 Depth=1
	s_or_b64 exec, exec, s[14:15]
	v_cmp_lt_u32_e32 vcc, s26, v42
	v_mov_b32_e32 v41, 0
	v_mov_b32_e32 v61, 0
	s_and_saveexec_b64 s[14:15], vcc
	s_cbranch_execz .LBB950_549
; %bb.544:                              ;   in Loop: Header=BB950_213 Depth=1
	v_lshrrev_b32_e32 v44, 24, v42
	v_cmp_ne_u32_e32 vcc, s9, v44
	v_mov_b32_e32 v61, 0xffff8000
	s_and_saveexec_b64 s[16:17], vcc
	s_cbranch_execz .LBB950_548
; %bb.545:                              ;   in Loop: Header=BB950_213 Depth=1
	v_bfe_u32 v42, v42, 24, 7
	v_cmp_ne_u32_e32 vcc, s23, v42
	v_mov_b32_e32 v61, 0x7f80
	s_and_saveexec_b64 s[18:19], vcc
	s_cbranch_execz .LBB950_547
; %bb.546:                              ;   in Loop: Header=BB950_213 Depth=1
	v_and_b32_e32 v61, 7, v44
	v_ffbh_u32_e32 v62, v61
	v_min_u32_e32 v65, 32, v62
	v_subrev_u32_e32 v62, 28, v65
	v_lshlrev_b64 v[62:63], v62, v[44:45]
	v_lshrrev_b32_e32 v64, 3, v42
	v_sub_u32_e32 v63, 29, v65
	v_and_b32_e32 v62, 7, v62
	v_cmp_gt_u32_e32 vcc, 8, v42
	v_cndmask_b32_e32 v42, v64, v63, vcc
	v_cndmask_b32_e32 v61, v61, v62, vcc
	v_lshlrev_b32_e32 v44, 24, v44
	v_lshlrev_b32_e32 v61, 20, v61
	v_and_b32_e32 v44, 0x80000000, v44
	v_lshl_add_u32 v42, v42, 23, v48
	v_or3_b32 v42, v44, v42, v61
	v_lshrrev_b32_e32 v61, 16, v42
.LBB950_547:                            ;   in Loop: Header=BB950_213 Depth=1
	s_or_b64 exec, exec, s[18:19]
.LBB950_548:                            ;   in Loop: Header=BB950_213 Depth=1
	s_or_b64 exec, exec, s[16:17]
.LBB950_549:                            ;   in Loop: Header=BB950_213 Depth=1
	s_or_b64 exec, exec, s[14:15]
	v_perm_b32 v51, v53, v51, s27
	v_perm_b32 v50, v50, v49, s27
	s_waitcnt vmcnt(1)
	v_cmp_ne_u16_sdwa s[16:17], v40, v47 src0_sel:BYTE_0 src1_sel:DWORD
	v_mfma_f32_16x16x16bf16_1k v[34:37], v[50:51], v[26:27], v[34:37]
	v_perm_b32 v51, v61, v60, s27
	v_perm_b32 v50, v46, v52, s27
	s_nop 1
	v_mfma_f32_16x16x16bf16_1k v[34:37], v[50:51], v[28:29], v[34:37]
	s_and_saveexec_b64 s[14:15], s[16:17]
	s_cbranch_execz .LBB950_555
; %bb.550:                              ;   in Loop: Header=BB950_213 Depth=1
	v_cmp_ne_u16_sdwa s[18:19], v40, s9 src0_sel:BYTE_0 src1_sel:DWORD
	v_mov_b32_e32 v41, 0xffff8000
	s_and_saveexec_b64 s[16:17], s[18:19]
	s_cbranch_execz .LBB950_554
; %bb.551:                              ;   in Loop: Header=BB950_213 Depth=1
	v_and_b32_e32 v42, 0x7f, v40
	v_cmp_ne_u32_e32 vcc, s23, v42
	v_mov_b32_e32 v41, 0x7f80
	s_and_saveexec_b64 s[18:19], vcc
	s_cbranch_execz .LBB950_553
; %bb.552:                              ;   in Loop: Header=BB950_213 Depth=1
	v_and_b32_e32 v41, 7, v40
	v_ffbh_u32_e32 v46, v41
	v_min_u32_e32 v46, 32, v46
	v_subrev_u32_e32 v49, 28, v46
	v_lshlrev_b64 v[50:51], v49, v[40:41]
	v_lshrrev_b32_e32 v44, 3, v42
	v_sub_u32_e32 v46, 29, v46
	v_and_b32_e32 v49, 7, v50
	v_cmp_gt_u32_e32 vcc, 8, v42
	v_cndmask_b32_e32 v42, v44, v46, vcc
	v_cndmask_b32_e32 v41, v41, v49, vcc
	v_lshlrev_b32_e32 v44, 24, v40
	v_lshlrev_b32_e32 v41, 20, v41
	v_and_b32_e32 v44, 0x80000000, v44
	v_lshl_add_u32 v42, v42, 23, v48
	v_or3_b32 v41, v44, v42, v41
	v_lshrrev_b32_e32 v41, 16, v41
.LBB950_553:                            ;   in Loop: Header=BB950_213 Depth=1
	s_or_b64 exec, exec, s[18:19]
.LBB950_554:                            ;   in Loop: Header=BB950_213 Depth=1
	s_or_b64 exec, exec, s[16:17]
.LBB950_555:                            ;   in Loop: Header=BB950_213 Depth=1
	s_or_b64 exec, exec, s[14:15]
	v_lshrrev_b16_e32 v42, 8, v40
	v_cmp_ne_u16_e32 vcc, 0, v42
	v_mov_b32_e32 v46, 0
	v_mov_b32_e32 v44, 0
	s_and_saveexec_b64 s[14:15], vcc
	s_cbranch_execz .LBB950_561
; %bb.556:                              ;   in Loop: Header=BB950_213 Depth=1
	v_cmp_ne_u16_e32 vcc, s9, v42
	v_mov_b32_e32 v44, 0xffff8000
	s_and_saveexec_b64 s[16:17], vcc
	s_cbranch_execz .LBB950_560
; %bb.557:                              ;   in Loop: Header=BB950_213 Depth=1
	v_and_b32_e32 v49, 0x7f, v42
	v_cmp_ne_u32_e32 vcc, s23, v49
	v_mov_b32_e32 v44, 0x7f80
	s_and_saveexec_b64 s[18:19], vcc
	s_cbranch_execz .LBB950_559
; %bb.558:                              ;   in Loop: Header=BB950_213 Depth=1
	v_and_b32_e32 v44, 7, v42
	v_ffbh_u32_e32 v50, v44
	v_min_u32_e32 v53, 32, v50
	v_subrev_u32_e32 v50, 28, v53
	v_lshlrev_b64 v[50:51], v50, v[42:43]
	v_lshrrev_b32_e32 v52, 3, v49
	v_sub_u32_e32 v42, 29, v53
	v_and_b32_e32 v50, 7, v50
	v_cmp_gt_u32_e32 vcc, 8, v49
	v_cndmask_b32_e32 v42, v52, v42, vcc
	v_cndmask_b32_e32 v44, v44, v50, vcc
	v_lshlrev_b32_e32 v49, 16, v40
	v_lshlrev_b32_e32 v44, 20, v44
	v_and_b32_e32 v49, 0x80000000, v49
	v_lshl_add_u32 v42, v42, 23, v48
	v_or3_b32 v42, v49, v42, v44
	v_lshrrev_b32_e32 v44, 16, v42
.LBB950_559:                            ;   in Loop: Header=BB950_213 Depth=1
	s_or_b64 exec, exec, s[18:19]
.LBB950_560:                            ;   in Loop: Header=BB950_213 Depth=1
	s_or_b64 exec, exec, s[16:17]
.LBB950_561:                            ;   in Loop: Header=BB950_213 Depth=1
	s_or_b64 exec, exec, s[14:15]
	v_lshrrev_b32_e32 v42, 16, v40
	v_cmp_ne_u16_sdwa s[16:17], v42, v47 src0_sel:BYTE_0 src1_sel:DWORD
	s_and_saveexec_b64 s[14:15], s[16:17]
	s_cbranch_execz .LBB950_567
; %bb.562:                              ;   in Loop: Header=BB950_213 Depth=1
	v_cmp_ne_u16_sdwa s[18:19], v42, s9 src0_sel:BYTE_0 src1_sel:DWORD
	v_mov_b32_e32 v46, 0xffff8000
	s_and_saveexec_b64 s[16:17], s[18:19]
	s_cbranch_execz .LBB950_566
; %bb.563:                              ;   in Loop: Header=BB950_213 Depth=1
	v_bfe_u32 v49, v40, 16, 7
	v_cmp_ne_u32_e32 vcc, s23, v49
	v_mov_b32_e32 v46, 0x7f80
	s_and_saveexec_b64 s[18:19], vcc
	s_cbranch_execz .LBB950_565
; %bb.564:                              ;   in Loop: Header=BB950_213 Depth=1
	v_and_b32_e32 v46, 7, v42
	v_ffbh_u32_e32 v50, v46
	v_min_u32_e32 v53, 32, v50
	v_subrev_u32_e32 v50, 28, v53
	v_lshlrev_b64 v[50:51], v50, v[42:43]
	v_lshrrev_b32_e32 v52, 3, v49
	v_sub_u32_e32 v51, 29, v53
	v_and_b32_e32 v50, 7, v50
	v_cmp_gt_u32_e32 vcc, 8, v49
	v_cndmask_b32_e32 v49, v52, v51, vcc
	v_cndmask_b32_e32 v46, v46, v50, vcc
	v_lshlrev_b32_e32 v42, 24, v42
	v_lshlrev_b32_e32 v46, 20, v46
	v_and_b32_e32 v42, 0x80000000, v42
	v_lshl_add_u32 v49, v49, 23, v48
	v_or3_b32 v42, v42, v49, v46
	v_lshrrev_b32_e32 v46, 16, v42
.LBB950_565:                            ;   in Loop: Header=BB950_213 Depth=1
	s_or_b64 exec, exec, s[18:19]
.LBB950_566:                            ;   in Loop: Header=BB950_213 Depth=1
	s_or_b64 exec, exec, s[16:17]
.LBB950_567:                            ;   in Loop: Header=BB950_213 Depth=1
	s_or_b64 exec, exec, s[14:15]
	v_cmp_lt_u32_e32 vcc, s26, v40
	v_mov_b32_e32 v49, 0
	v_mov_b32_e32 v50, 0
	s_and_saveexec_b64 s[14:15], vcc
	s_cbranch_execz .LBB950_573
; %bb.568:                              ;   in Loop: Header=BB950_213 Depth=1
	v_lshrrev_b32_e32 v42, 24, v40
	v_cmp_ne_u32_e32 vcc, s9, v42
	v_mov_b32_e32 v50, 0xffff8000
	s_and_saveexec_b64 s[16:17], vcc
	s_cbranch_execz .LBB950_572
; %bb.569:                              ;   in Loop: Header=BB950_213 Depth=1
	v_bfe_u32 v40, v40, 24, 7
	v_cmp_ne_u32_e32 vcc, s23, v40
	v_mov_b32_e32 v50, 0x7f80
	s_and_saveexec_b64 s[18:19], vcc
	s_cbranch_execz .LBB950_571
; %bb.570:                              ;   in Loop: Header=BB950_213 Depth=1
	v_and_b32_e32 v52, 7, v42
	v_ffbh_u32_e32 v50, v52
	v_min_u32_e32 v60, 32, v50
	v_subrev_u32_e32 v50, 28, v60
	v_lshlrev_b64 v[50:51], v50, v[42:43]
	v_lshrrev_b32_e32 v53, 3, v40
	v_sub_u32_e32 v51, 29, v60
	v_and_b32_e32 v50, 7, v50
	v_cmp_gt_u32_e32 vcc, 8, v40
	v_cndmask_b32_e32 v40, v53, v51, vcc
	v_cndmask_b32_e32 v50, v52, v50, vcc
	v_lshlrev_b32_e32 v42, 24, v42
	v_lshlrev_b32_e32 v50, 20, v50
	v_and_b32_e32 v42, 0x80000000, v42
	v_lshl_add_u32 v40, v40, 23, v48
	v_or3_b32 v40, v42, v40, v50
	v_lshrrev_b32_e32 v50, 16, v40
.LBB950_571:                            ;   in Loop: Header=BB950_213 Depth=1
	s_or_b64 exec, exec, s[18:19]
.LBB950_572:                            ;   in Loop: Header=BB950_213 Depth=1
	s_or_b64 exec, exec, s[16:17]
.LBB950_573:                            ;   in Loop: Header=BB950_213 Depth=1
	s_or_b64 exec, exec, s[14:15]
	s_waitcnt vmcnt(0)
	v_cmp_ne_u16_sdwa s[16:17], v38, v47 src0_sel:BYTE_0 src1_sel:DWORD
	s_and_saveexec_b64 s[14:15], s[16:17]
	s_cbranch_execz .LBB950_579
; %bb.574:                              ;   in Loop: Header=BB950_213 Depth=1
	v_cmp_ne_u16_sdwa s[18:19], v38, s9 src0_sel:BYTE_0 src1_sel:DWORD
	v_mov_b32_e32 v49, 0xffff8000
	s_and_saveexec_b64 s[16:17], s[18:19]
	s_cbranch_execz .LBB950_578
; %bb.575:                              ;   in Loop: Header=BB950_213 Depth=1
	v_and_b32_e32 v40, 0x7f, v38
	v_cmp_ne_u32_e32 vcc, s23, v40
	v_mov_b32_e32 v49, 0x7f80
	s_and_saveexec_b64 s[18:19], vcc
	s_cbranch_execz .LBB950_577
; %bb.576:                              ;   in Loop: Header=BB950_213 Depth=1
	v_and_b32_e32 v42, 7, v38
	v_ffbh_u32_e32 v51, v42
	v_min_u32_e32 v51, 32, v51
	v_subrev_u32_e32 v52, 28, v51
	v_lshlrev_b64 v[52:53], v52, v[38:39]
	v_lshrrev_b32_e32 v49, 3, v40
	v_sub_u32_e32 v51, 29, v51
	v_and_b32_e32 v52, 7, v52
	v_cmp_gt_u32_e32 vcc, 8, v40
	v_cndmask_b32_e32 v40, v49, v51, vcc
	v_cndmask_b32_e32 v42, v42, v52, vcc
	v_lshlrev_b32_e32 v49, 24, v38
	v_lshlrev_b32_e32 v42, 20, v42
	v_and_b32_e32 v49, 0x80000000, v49
	v_lshl_add_u32 v40, v40, 23, v48
	v_or3_b32 v40, v49, v40, v42
	v_lshrrev_b32_e32 v49, 16, v40
.LBB950_577:                            ;   in Loop: Header=BB950_213 Depth=1
	s_or_b64 exec, exec, s[18:19]
.LBB950_578:                            ;   in Loop: Header=BB950_213 Depth=1
	s_or_b64 exec, exec, s[16:17]
.LBB950_579:                            ;   in Loop: Header=BB950_213 Depth=1
	s_or_b64 exec, exec, s[14:15]
	v_lshrrev_b16_e32 v40, 8, v38
	v_cmp_ne_u16_e32 vcc, 0, v40
	v_mov_b32_e32 v51, 0
	v_mov_b32_e32 v42, 0
	s_and_saveexec_b64 s[14:15], vcc
	s_cbranch_execz .LBB950_585
; %bb.580:                              ;   in Loop: Header=BB950_213 Depth=1
	v_cmp_ne_u16_e32 vcc, s9, v40
	v_mov_b32_e32 v42, 0xffff8000
	s_and_saveexec_b64 s[16:17], vcc
	s_cbranch_execz .LBB950_584
; %bb.581:                              ;   in Loop: Header=BB950_213 Depth=1
	v_and_b32_e32 v52, 0x7f, v40
	v_cmp_ne_u32_e32 vcc, s23, v52
	v_mov_b32_e32 v42, 0x7f80
	s_and_saveexec_b64 s[18:19], vcc
	s_cbranch_execz .LBB950_583
; %bb.582:                              ;   in Loop: Header=BB950_213 Depth=1
	v_and_b32_e32 v42, 7, v40
	v_ffbh_u32_e32 v60, v42
	v_min_u32_e32 v62, 32, v60
	v_subrev_u32_e32 v60, 28, v62
	v_lshlrev_b64 v[60:61], v60, v[40:41]
	v_lshrrev_b32_e32 v53, 3, v52
	v_sub_u32_e32 v40, 29, v62
	v_and_b32_e32 v60, 7, v60
	v_cmp_gt_u32_e32 vcc, 8, v52
	v_cndmask_b32_e32 v40, v53, v40, vcc
	v_cndmask_b32_e32 v42, v42, v60, vcc
	v_lshlrev_b32_e32 v52, 16, v38
	v_lshlrev_b32_e32 v42, 20, v42
	v_and_b32_e32 v52, 0x80000000, v52
	v_lshl_add_u32 v40, v40, 23, v48
	v_or3_b32 v40, v52, v40, v42
	v_lshrrev_b32_e32 v42, 16, v40
.LBB950_583:                            ;   in Loop: Header=BB950_213 Depth=1
	s_or_b64 exec, exec, s[18:19]
.LBB950_584:                            ;   in Loop: Header=BB950_213 Depth=1
	s_or_b64 exec, exec, s[16:17]
.LBB950_585:                            ;   in Loop: Header=BB950_213 Depth=1
	s_or_b64 exec, exec, s[14:15]
	v_lshrrev_b32_e32 v40, 16, v38
	v_cmp_ne_u16_sdwa s[16:17], v40, v47 src0_sel:BYTE_0 src1_sel:DWORD
	s_and_saveexec_b64 s[14:15], s[16:17]
	s_cbranch_execz .LBB950_591
; %bb.586:                              ;   in Loop: Header=BB950_213 Depth=1
	v_cmp_ne_u16_sdwa s[18:19], v40, s9 src0_sel:BYTE_0 src1_sel:DWORD
	v_mov_b32_e32 v51, 0xffff8000
	s_and_saveexec_b64 s[16:17], s[18:19]
	s_cbranch_execz .LBB950_590
; %bb.587:                              ;   in Loop: Header=BB950_213 Depth=1
	v_bfe_u32 v52, v38, 16, 7
	v_cmp_ne_u32_e32 vcc, s23, v52
	v_mov_b32_e32 v51, 0x7f80
	s_and_saveexec_b64 s[18:19], vcc
	s_cbranch_execz .LBB950_589
; %bb.588:                              ;   in Loop: Header=BB950_213 Depth=1
	v_and_b32_e32 v51, 7, v40
	v_ffbh_u32_e32 v60, v51
	v_min_u32_e32 v62, 32, v60
	v_subrev_u32_e32 v60, 28, v62
	v_lshlrev_b64 v[60:61], v60, v[40:41]
	v_lshrrev_b32_e32 v53, 3, v52
	v_sub_u32_e32 v61, 29, v62
	v_and_b32_e32 v60, 7, v60
	v_cmp_gt_u32_e32 vcc, 8, v52
	v_cndmask_b32_e32 v52, v53, v61, vcc
	v_cndmask_b32_e32 v51, v51, v60, vcc
	v_lshlrev_b32_e32 v40, 24, v40
	v_lshlrev_b32_e32 v51, 20, v51
	v_and_b32_e32 v40, 0x80000000, v40
	v_lshl_add_u32 v52, v52, 23, v48
	v_or3_b32 v40, v40, v52, v51
	v_lshrrev_b32_e32 v51, 16, v40
.LBB950_589:                            ;   in Loop: Header=BB950_213 Depth=1
	s_or_b64 exec, exec, s[18:19]
.LBB950_590:                            ;   in Loop: Header=BB950_213 Depth=1
	s_or_b64 exec, exec, s[16:17]
.LBB950_591:                            ;   in Loop: Header=BB950_213 Depth=1
	s_or_b64 exec, exec, s[14:15]
	v_cmp_lt_u32_e32 vcc, s26, v38
	v_mov_b32_e32 v52, 0
	s_and_saveexec_b64 s[14:15], vcc
	s_cbranch_execz .LBB950_212
; %bb.592:                              ;   in Loop: Header=BB950_213 Depth=1
	v_lshrrev_b32_e32 v40, 24, v38
	v_cmp_ne_u32_e32 vcc, s9, v40
	v_mov_b32_e32 v52, 0xffff8000
	s_and_saveexec_b64 s[16:17], vcc
	s_cbranch_execz .LBB950_211
; %bb.593:                              ;   in Loop: Header=BB950_213 Depth=1
	v_bfe_u32 v38, v38, 24, 7
	v_cmp_ne_u32_e32 vcc, s23, v38
	v_mov_b32_e32 v52, 0x7f80
	s_and_saveexec_b64 s[18:19], vcc
	s_cbranch_execz .LBB950_210
; %bb.594:                              ;   in Loop: Header=BB950_213 Depth=1
	v_and_b32_e32 v60, 7, v40
	v_ffbh_u32_e32 v52, v60
	v_min_u32_e32 v62, 32, v52
	v_subrev_u32_e32 v52, 28, v62
	v_lshlrev_b64 v[52:53], v52, v[40:41]
	v_lshrrev_b32_e32 v61, 3, v38
	v_sub_u32_e32 v53, 29, v62
	v_and_b32_e32 v52, 7, v52
	v_cmp_gt_u32_e32 vcc, 8, v38
	v_cndmask_b32_e32 v38, v61, v53, vcc
	v_cndmask_b32_e32 v52, v60, v52, vcc
	v_lshlrev_b32_e32 v40, 24, v40
	v_lshlrev_b32_e32 v52, 20, v52
	v_and_b32_e32 v40, 0x80000000, v40
	v_lshl_add_u32 v38, v38, 23, v48
	v_or3_b32 v38, v40, v38, v52
	v_lshrrev_b32_e32 v52, 16, v38
	s_branch .LBB950_210
.LBB950_595:
	s_barrier
	buffer_load_dword v2, off, s[0:3], 0 offset:320
	buffer_load_dword v5, off, s[0:3], 0 offset:332
	;; [unrolled: 1-line block ×4, first 2 shown]
	v_cmp_gt_u32_e32 vcc, 64, v0
	s_waitcnt vmcnt(0)
	ds_write2st64_b64 v43, v[2:3], v[4:5] offset1:1
	s_waitcnt lgkmcnt(0)
	s_barrier
	s_and_saveexec_b64 s[6:7], vcc
	s_cbranch_execz .LBB950_598
; %bb.596:
	s_lshl_b32 s6, s50, 7
	s_mul_i32 s7, s20, s8
	s_mul_hi_u32 s11, s7, s6
	s_mul_i32 s10, s7, s6
	s_lshl_b64 s[10:11], s[10:11], 1
	v_lshlrev_b32_e32 v4, 6, v55
	s_add_u32 s7, s48, s10
	v_lshl_or_b32 v0, v0, 10, v4
	s_mov_b32 s9, 0
	s_addc_u32 s10, s49, s11
	s_lshl_b32 s8, s24, 7
	v_lshlrev_b32_e32 v2, 5, v1
	v_and_b32_e32 v3, 16, v56
	v_and_b32_e32 v0, 0x1a00, v0
	s_lshl_b64 s[8:9], s[8:9], 1
	v_or3_b32 v0, v0, v2, v3
	s_add_u32 s7, s7, s8
	s_addc_u32 s8, s10, s9
	ds_read_b128 v[4:7], v0 offset:128
	ds_read_b128 v[8:11], v0
	v_add_u32_e32 v14, s25, v1
	v_mov_b32_e32 v3, s8
	v_add_co_u32_e32 v2, vcc, s7, v54
	v_mad_u64_u32 v[12:13], s[8:9], v14, s6, 0
	v_addc_co_u32_e32 v3, vcc, 0, v3, vcc
	v_lshlrev_b64 v[12:13], 1, v[12:13]
	v_add_co_u32_e32 v12, vcc, v2, v12
	v_addc_co_u32_e32 v13, vcc, v3, v13, vcc
	s_waitcnt lgkmcnt(0)
	global_store_dwordx4 v[12:13], v[8:11], off
	s_nop 0
	v_add_u32_e32 v8, 4, v14
	v_mad_u64_u32 v[8:9], s[8:9], v8, s6, 0
	v_lshlrev_b64 v[8:9], 1, v[8:9]
	v_add_co_u32_e32 v8, vcc, v2, v8
	v_addc_co_u32_e32 v9, vcc, v3, v9, vcc
	global_store_dwordx4 v[8:9], v[4:7], off
	s_and_b64 exec, exec, s[4:5]
	s_cbranch_execz .LBB950_598
; %bb.597:
	ds_read_b128 v[4:7], v0 offset:256
	v_add3_u32 v0, s25, v1, 8
	v_mad_u64_u32 v[0:1], s[4:5], v0, s6, 0
	v_lshlrev_b64 v[0:1], 1, v[0:1]
	v_add_co_u32_e32 v0, vcc, v2, v0
	v_addc_co_u32_e32 v1, vcc, v3, v1, vcc
	s_waitcnt lgkmcnt(0)
	global_store_dwordx4 v[0:1], v[4:7], off
.LBB950_598:
	s_endpgm
	.section	.rodata,"a",@progbits
	.p2align	6, 0x0
	.amdhsa_kernel _Z39paged_attention_ll4mi_QKV_mfma16_kernelI14__hip_bfloat16hLN4vllm18Fp8KVCacheDataTypeE1ES0_Li32ELi128ELi256ELb0ELi9EL8MFMAType0EEvPKT_PKT0_S9_ifPKiSB_SB_iPKfiiiPfSE_PS4_PT2_iSD_SD_
		.amdhsa_group_segment_fixed_size 8192
		.amdhsa_private_segment_fixed_size 352
		.amdhsa_kernarg_size 400
		.amdhsa_user_sgpr_count 8
		.amdhsa_user_sgpr_private_segment_buffer 1
		.amdhsa_user_sgpr_dispatch_ptr 0
		.amdhsa_user_sgpr_queue_ptr 0
		.amdhsa_user_sgpr_kernarg_segment_ptr 1
		.amdhsa_user_sgpr_dispatch_id 0
		.amdhsa_user_sgpr_flat_scratch_init 1
		.amdhsa_user_sgpr_kernarg_preload_length 0
		.amdhsa_user_sgpr_kernarg_preload_offset 0
		.amdhsa_user_sgpr_private_segment_size 0
		.amdhsa_uses_dynamic_stack 0
		.amdhsa_system_sgpr_private_segment_wavefront_offset 1
		.amdhsa_system_sgpr_workgroup_id_x 1
		.amdhsa_system_sgpr_workgroup_id_y 1
		.amdhsa_system_sgpr_workgroup_id_z 1
		.amdhsa_system_sgpr_workgroup_info 0
		.amdhsa_system_vgpr_workitem_id 0
		.amdhsa_next_free_vgpr 78
		.amdhsa_next_free_sgpr 53
		.amdhsa_accum_offset 80
		.amdhsa_reserve_vcc 1
		.amdhsa_reserve_flat_scratch 0
		.amdhsa_float_round_mode_32 0
		.amdhsa_float_round_mode_16_64 0
		.amdhsa_float_denorm_mode_32 3
		.amdhsa_float_denorm_mode_16_64 3
		.amdhsa_dx10_clamp 1
		.amdhsa_ieee_mode 1
		.amdhsa_fp16_overflow 0
		.amdhsa_tg_split 0
		.amdhsa_exception_fp_ieee_invalid_op 0
		.amdhsa_exception_fp_denorm_src 0
		.amdhsa_exception_fp_ieee_div_zero 0
		.amdhsa_exception_fp_ieee_overflow 0
		.amdhsa_exception_fp_ieee_underflow 0
		.amdhsa_exception_fp_ieee_inexact 0
		.amdhsa_exception_int_div_zero 0
	.end_amdhsa_kernel
	.section	.text._Z39paged_attention_ll4mi_QKV_mfma16_kernelI14__hip_bfloat16hLN4vllm18Fp8KVCacheDataTypeE1ES0_Li32ELi128ELi256ELb0ELi9EL8MFMAType0EEvPKT_PKT0_S9_ifPKiSB_SB_iPKfiiiPfSE_PS4_PT2_iSD_SD_,"axG",@progbits,_Z39paged_attention_ll4mi_QKV_mfma16_kernelI14__hip_bfloat16hLN4vllm18Fp8KVCacheDataTypeE1ES0_Li32ELi128ELi256ELb0ELi9EL8MFMAType0EEvPKT_PKT0_S9_ifPKiSB_SB_iPKfiiiPfSE_PS4_PT2_iSD_SD_,comdat
.Lfunc_end950:
	.size	_Z39paged_attention_ll4mi_QKV_mfma16_kernelI14__hip_bfloat16hLN4vllm18Fp8KVCacheDataTypeE1ES0_Li32ELi128ELi256ELb0ELi9EL8MFMAType0EEvPKT_PKT0_S9_ifPKiSB_SB_iPKfiiiPfSE_PS4_PT2_iSD_SD_, .Lfunc_end950-_Z39paged_attention_ll4mi_QKV_mfma16_kernelI14__hip_bfloat16hLN4vllm18Fp8KVCacheDataTypeE1ES0_Li32ELi128ELi256ELb0ELi9EL8MFMAType0EEvPKT_PKT0_S9_ifPKiSB_SB_iPKfiiiPfSE_PS4_PT2_iSD_SD_
                                        ; -- End function
	.section	.AMDGPU.csdata,"",@progbits
; Kernel info:
; codeLenInByte = 22312
; NumSgprs: 57
; NumVgprs: 78
; NumAgprs: 0
; TotalNumVgprs: 78
; ScratchSize: 352
; MemoryBound: 0
; FloatMode: 240
; IeeeMode: 1
; LDSByteSize: 8192 bytes/workgroup (compile time only)
; SGPRBlocks: 7
; VGPRBlocks: 9
; NumSGPRsForWavesPerEU: 57
; NumVGPRsForWavesPerEU: 78
; AccumOffset: 80
; Occupancy: 6
; WaveLimiterHint : 1
; COMPUTE_PGM_RSRC2:SCRATCH_EN: 1
; COMPUTE_PGM_RSRC2:USER_SGPR: 8
; COMPUTE_PGM_RSRC2:TRAP_HANDLER: 0
; COMPUTE_PGM_RSRC2:TGID_X_EN: 1
; COMPUTE_PGM_RSRC2:TGID_Y_EN: 1
; COMPUTE_PGM_RSRC2:TGID_Z_EN: 1
; COMPUTE_PGM_RSRC2:TIDIG_COMP_CNT: 0
; COMPUTE_PGM_RSRC3_GFX90A:ACCUM_OFFSET: 19
; COMPUTE_PGM_RSRC3_GFX90A:TG_SPLIT: 0
	.section	.text._Z39paged_attention_ll4mi_QKV_mfma16_kernelI14__hip_bfloat16hLN4vllm18Fp8KVCacheDataTypeE1ES0_Li32ELi128ELi256ELb0ELi10EL8MFMAType0EEvPKT_PKT0_S9_ifPKiSB_SB_iPKfiiiPfSE_PS4_PT2_iSD_SD_,"axG",@progbits,_Z39paged_attention_ll4mi_QKV_mfma16_kernelI14__hip_bfloat16hLN4vllm18Fp8KVCacheDataTypeE1ES0_Li32ELi128ELi256ELb0ELi10EL8MFMAType0EEvPKT_PKT0_S9_ifPKiSB_SB_iPKfiiiPfSE_PS4_PT2_iSD_SD_,comdat
	.protected	_Z39paged_attention_ll4mi_QKV_mfma16_kernelI14__hip_bfloat16hLN4vllm18Fp8KVCacheDataTypeE1ES0_Li32ELi128ELi256ELb0ELi10EL8MFMAType0EEvPKT_PKT0_S9_ifPKiSB_SB_iPKfiiiPfSE_PS4_PT2_iSD_SD_ ; -- Begin function _Z39paged_attention_ll4mi_QKV_mfma16_kernelI14__hip_bfloat16hLN4vllm18Fp8KVCacheDataTypeE1ES0_Li32ELi128ELi256ELb0ELi10EL8MFMAType0EEvPKT_PKT0_S9_ifPKiSB_SB_iPKfiiiPfSE_PS4_PT2_iSD_SD_
	.globl	_Z39paged_attention_ll4mi_QKV_mfma16_kernelI14__hip_bfloat16hLN4vllm18Fp8KVCacheDataTypeE1ES0_Li32ELi128ELi256ELb0ELi10EL8MFMAType0EEvPKT_PKT0_S9_ifPKiSB_SB_iPKfiiiPfSE_PS4_PT2_iSD_SD_
	.p2align	8
	.type	_Z39paged_attention_ll4mi_QKV_mfma16_kernelI14__hip_bfloat16hLN4vllm18Fp8KVCacheDataTypeE1ES0_Li32ELi128ELi256ELb0ELi10EL8MFMAType0EEvPKT_PKT0_S9_ifPKiSB_SB_iPKfiiiPfSE_PS4_PT2_iSD_SD_,@function
_Z39paged_attention_ll4mi_QKV_mfma16_kernelI14__hip_bfloat16hLN4vllm18Fp8KVCacheDataTypeE1ES0_Li32ELi128ELi256ELb0ELi10EL8MFMAType0EEvPKT_PKT0_S9_ifPKiSB_SB_iPKfiiiPfSE_PS4_PT2_iSD_SD_: ; @_Z39paged_attention_ll4mi_QKV_mfma16_kernelI14__hip_bfloat16hLN4vllm18Fp8KVCacheDataTypeE1ES0_Li32ELi128ELi256ELb0ELi10EL8MFMAType0EEvPKT_PKT0_S9_ifPKiSB_SB_iPKfiiiPfSE_PS4_PT2_iSD_SD_
; %bb.0:
	s_load_dwordx2 s[6:7], s[4:5], 0x30
	s_add_u32 s0, s0, s11
	s_addc_u32 s1, s1, 0
	s_mov_b32 s24, s9
	s_mov_b64 s[12:13], 0
	s_waitcnt lgkmcnt(0)
	s_cmp_lg_u64 s[6:7], 0
	s_cselect_b64 s[16:17], -1, 0
	s_and_b64 vcc, exec, s[16:17]
	s_cbranch_vccz .LBB951_7
; %bb.1:
	s_add_i32 s14, s8, 1
	s_mov_b32 s15, 0
	s_lshl_b64 s[18:19], s[14:15], 2
	s_add_u32 s18, s6, s18
	s_mov_b32 s9, s15
	s_addc_u32 s19, s7, s19
	s_lshl_b64 s[14:15], s[8:9], 2
	s_add_u32 s14, s6, s14
	s_addc_u32 s15, s7, s15
	s_load_dword s11, s[18:19], 0x0
	s_load_dword s20, s[14:15], 0x0
	s_waitcnt lgkmcnt(0)
	s_sub_i32 s11, s11, s20
	s_cmp_eq_u32 s11, 1
	s_cselect_b64 s[14:15], -1, 0
	s_andn2_b64 vcc, exec, s[12:13]
	s_cbranch_vccnz .LBB951_3
.LBB951_2:
	s_mov_b32 s9, 0
	s_mov_b64 s[14:15], -1
.LBB951_3:
	s_andn2_b64 vcc, exec, s[14:15]
	s_cbranch_vccnz .LBB951_598
; %bb.4:
	s_load_dwordx2 s[12:13], s[4:5], 0x28
	s_lshl_b64 s[18:19], s[8:9], 2
	s_waitcnt lgkmcnt(0)
	s_add_u32 s12, s12, s18
	s_addc_u32 s13, s13, s19
	s_load_dword s33, s[12:13], 0x0
	s_lshl_b32 s20, s24, 8
	s_waitcnt lgkmcnt(0)
	s_cmp_ge_i32 s20, s33
	s_cbranch_scc1 .LBB951_598
; %bb.5:
	s_add_i32 s14, s33, 31
	s_load_dwordx2 s[12:13], s[4:5], 0x20
	s_load_dword s11, s[4:5], 0x38
	s_ashr_i32 s15, s14, 31
	v_and_b32_e32 v1, 0xcf, v0
	s_lshr_b32 s15, s15, 27
	v_add_u32_e32 v1, s20, v1
	s_add_i32 s14, s14, s15
	v_ashrrev_i32_e32 v2, 31, v1
	s_ashr_i32 s22, s14, 5
	v_lshrrev_b32_e32 v10, 27, v2
	s_add_i32 s22, s22, -1
	v_add_u32_e32 v2, v1, v10
	s_waitcnt lgkmcnt(0)
	s_mul_i32 s14, s8, s11
	s_mov_b32 s15, 0
	v_ashrrev_i32_e32 v2, 5, v2
	v_mov_b32_e32 v11, s22
	v_cmp_gt_i32_e32 vcc, s33, v1
	s_lshl_b64 s[14:15], s[14:15], 2
	v_cndmask_b32_e32 v2, v11, v2, vcc
	s_add_u32 s11, s12, s14
	v_ashrrev_i32_e32 v3, 31, v2
	s_addc_u32 s21, s13, s15
	v_lshlrev_b64 v[2:3], 2, v[2:3]
	v_mov_b32_e32 v5, s21
	v_add_co_u32_e32 v4, vcc, s11, v2
	v_or_b32_e32 v2, 16, v1
	v_addc_co_u32_e32 v5, vcc, v5, v3, vcc
	v_add_u32_e32 v3, v2, v10
	v_ashrrev_i32_e32 v3, 5, v3
	v_cmp_gt_i32_e32 vcc, s33, v2
	v_cndmask_b32_e32 v2, v11, v3, vcc
	v_ashrrev_i32_e32 v3, 31, v2
	v_lshlrev_b64 v[2:3], 2, v[2:3]
	v_mov_b32_e32 v7, s21
	v_add_co_u32_e32 v6, vcc, s11, v2
	v_or_b32_e32 v2, 32, v1
	v_addc_co_u32_e32 v7, vcc, v7, v3, vcc
	v_add_u32_e32 v3, v2, v10
	v_ashrrev_i32_e32 v3, 5, v3
	v_cmp_gt_i32_e32 vcc, s33, v2
	v_cndmask_b32_e32 v2, v11, v3, vcc
	v_ashrrev_i32_e32 v3, 31, v2
	;; [unrolled: 10-line block ×3, first 2 shown]
	v_lshlrev_b64 v[2:3], 2, v[2:3]
	v_mov_b32_e32 v1, s21
	v_add_co_u32_e32 v12, vcc, s11, v2
	v_addc_co_u32_e32 v13, vcc, v1, v3, vcc
	global_load_dword v2, v[4:5], off
	global_load_dword v10, v[6:7], off
	;; [unrolled: 1-line block ×4, first 2 shown]
	s_load_dwordx4 s[12:15], s[4:5], 0x8
	s_andn2_b64 vcc, exec, s[16:17]
	s_cbranch_vccnz .LBB951_8
; %bb.6:
	s_add_u32 s6, s6, s18
	s_addc_u32 s7, s7, s19
	s_load_dword s16, s[6:7], 0x0
	s_branch .LBB951_9
.LBB951_7:
	s_mov_b64 s[14:15], 0
	s_branch .LBB951_2
.LBB951_8:
	s_mov_b32 s16, s8
.LBB951_9:
	s_load_dwordx2 s[48:49], s[4:5], 0x68
	s_load_dwordx8 s[40:47], s[4:5], 0x48
	v_lshrrev_b32_e32 v62, 6, v0
	v_bfe_u32 v1, v0, 4, 2
	v_and_b32_e32 v55, 15, v0
	v_lshl_or_b32 v3, v62, 2, v1
	v_lshlrev_b32_e32 v4, 3, v55
	s_mul_i32 s25, s10, 10
	v_cmp_gt_u32_e32 vcc, 10, v3
	v_lshlrev_b32_e32 v54, 1, v4
	v_lshlrev_b32_e32 v56, 4, v0
	s_and_saveexec_b64 s[6:7], vcc
	s_cbranch_execz .LBB951_11
; %bb.10:
	s_load_dwordx2 s[18:19], s[4:5], 0x0
	s_waitcnt lgkmcnt(0)
	s_ashr_i32 s17, s40, 31
	s_mul_hi_u32 s23, s16, s40
	s_mul_i32 s17, s16, s17
	s_add_i32 s17, s23, s17
	s_mul_i32 s16, s16, s40
	s_lshl_b64 s[16:17], s[16:17], 1
	v_add_lshl_u32 v4, v3, s25, 7
	s_add_u32 s16, s18, s16
	v_ashrrev_i32_e32 v5, 31, v4
	s_addc_u32 s17, s19, s17
	v_lshlrev_b64 v[4:5], 1, v[4:5]
	v_mov_b32_e32 v6, s17
	v_add_co_u32_e32 v4, vcc, s16, v4
	v_addc_co_u32_e32 v5, vcc, v6, v5, vcc
	v_add_co_u32_e32 v4, vcc, v4, v54
	v_addc_co_u32_e32 v5, vcc, 0, v5, vcc
	global_load_dwordx4 v[4:7], v[4:5], off
	v_lshlrev_b32_e32 v9, 8, v0
	v_lshlrev_b32_e32 v8, 8, v55
	v_and_b32_e32 v9, 0x600, v9
	s_movk_i32 s16, 0x800
	v_and_or_b32 v8, v8, s16, v9
	v_lshlrev_b32_e32 v3, 5, v3
	v_and_b32_e32 v9, 16, v56
	v_or3_b32 v3, v8, v3, v9
	s_waitcnt vmcnt(0)
	ds_write_b128 v3, v[4:7]
.LBB951_11:
	s_or_b64 exec, exec, s[6:7]
	s_waitcnt lgkmcnt(0)
	s_mul_i32 s10, s10, s42
	s_add_u32 s6, s12, s10
	s_addc_u32 s7, s13, 0
	v_and_b32_e32 v3, 48, v0
	v_pk_mov_b32 v[22:23], s[6:7], s[6:7] op_sel:[0,1]
	s_ashr_i32 s6, s20, 31
	v_lshlrev_b32_e32 v25, 5, v3
	v_or_b32_e32 v3, s20, v3
	s_lshr_b32 s6, s6, 27
	v_add_u32_e32 v4, s6, v3
	v_ashrrev_i32_e32 v4, 5, v4
	v_mov_b32_e32 v11, s22
	v_cmp_gt_i32_e32 vcc, s33, v3
	v_cndmask_b32_e32 v4, v11, v4, vcc
	v_ashrrev_i32_e32 v5, 31, v4
	v_lshlrev_b64 v[4:5], 2, v[4:5]
	v_mov_b32_e32 v6, s21
	v_add_co_u32_e32 v4, vcc, s11, v4
	v_addc_co_u32_e32 v5, vcc, v6, v5, vcc
	v_or_b32_e32 v6, 64, v3
	v_add_u32_e32 v7, s6, v6
	v_ashrrev_i32_e32 v7, 5, v7
	v_cmp_gt_i32_e32 vcc, s33, v6
	v_cndmask_b32_e32 v6, v11, v7, vcc
	v_ashrrev_i32_e32 v7, 31, v6
	v_lshlrev_b64 v[6:7], 2, v[6:7]
	v_mov_b32_e32 v8, s21
	v_add_co_u32_e32 v6, vcc, s11, v6
	v_addc_co_u32_e32 v7, vcc, v8, v7, vcc
	v_or_b32_e32 v8, 0x80, v3
	v_add_u32_e32 v9, s6, v8
	v_ashrrev_i32_e32 v9, 5, v9
	v_cmp_gt_i32_e32 vcc, s33, v8
	v_cndmask_b32_e32 v8, v11, v9, vcc
	v_ashrrev_i32_e32 v9, 31, v8
	v_lshlrev_b64 v[8:9], 2, v[8:9]
	v_mov_b32_e32 v12, s21
	v_add_co_u32_e32 v8, vcc, s11, v8
	v_or_b32_e32 v3, 0xc0, v3
	s_load_dwordx2 s[50:51], s[4:5], 0x94
	s_waitcnt lgkmcnt(0)
	s_barrier
	v_addc_co_u32_e32 v9, vcc, v12, v9, vcc
	global_load_dword v50, v[4:5], off
	global_load_dword v57, v[6:7], off
	v_add_u32_e32 v4, s6, v3
	v_ashrrev_i32_e32 v4, 5, v4
	v_cmp_gt_i32_e32 vcc, s33, v3
	v_cndmask_b32_e32 v4, v11, v4, vcc
	v_ashrrev_i32_e32 v5, 31, v4
	v_lshlrev_b64 v[4:5], 2, v[4:5]
	v_mov_b32_e32 v3, s21
	v_add_co_u32_e32 v4, vcc, s11, v4
	v_addc_co_u32_e32 v5, vcc, v3, v5, vcc
	global_load_dword v64, v[8:9], off
	global_load_dword v65, v[4:5], off
	s_waitcnt vmcnt(7)
	v_mad_i64_i32 v[2:3], s[6:7], v2, s41, v[22:23]
	v_lshlrev_b32_e32 v26, 4, v55
	v_add_co_u32_e32 v2, vcc, v2, v26
	v_addc_co_u32_e32 v3, vcc, 0, v3, vcc
	v_add_co_u32_e32 v12, vcc, v2, v25
	v_addc_co_u32_e32 v13, vcc, 0, v3, vcc
	global_load_dwordx4 v[6:9], v[12:13], off
	global_load_dwordx4 v[2:5], v[12:13], off offset:2048
	s_waitcnt vmcnt(8)
	v_mad_i64_i32 v[10:11], s[6:7], v10, s41, v[22:23]
	v_or_b32_e32 v28, 0x100, v26
	v_add_co_u32_e32 v10, vcc, v10, v28
	v_addc_co_u32_e32 v11, vcc, 0, v11, vcc
	v_add_co_u32_e32 v20, vcc, v10, v25
	v_addc_co_u32_e32 v21, vcc, 0, v11, vcc
	s_waitcnt vmcnt(7)
	v_mad_i64_i32 v[18:19], s[6:7], v18, s41, v[22:23]
	v_add_co_u32_e32 v18, vcc, v18, v26
	v_addc_co_u32_e32 v19, vcc, 0, v19, vcc
	v_add_co_u32_e32 v26, vcc, v18, v25
	v_addc_co_u32_e32 v27, vcc, 0, v19, vcc
	s_waitcnt vmcnt(6)
	v_mad_i64_i32 v[22:23], s[6:7], v24, s41, v[22:23]
	v_add_co_u32_e32 v22, vcc, v22, v28
	v_addc_co_u32_e32 v23, vcc, 0, v23, vcc
	v_add_co_u32_e32 v30, vcc, v22, v25
	v_addc_co_u32_e32 v31, vcc, 0, v23, vcc
	s_add_u32 s6, s14, s10
	global_load_dwordx4 v[10:13], v[20:21], off
	global_load_dwordx4 v[14:17], v[20:21], off offset:2048
	global_load_dwordx4 v[38:41], v[26:27], off
	s_nop 0
	global_load_dwordx4 v[18:21], v[26:27], off offset:2048
	s_nop 0
	global_load_dwordx4 v[26:29], v[30:31], off
	global_load_dwordx4 v[22:25], v[30:31], off offset:2048
	s_addc_u32 s7, s15, 0
	v_and_b32_e32 v30, 16, v0
	v_mov_b32_e32 v31, s7
	v_add_co_u32_e32 v51, vcc, s6, v30
	v_lshl_or_b32 v63, v62, 4, v55
	v_addc_co_u32_e32 v52, vcc, 0, v31, vcc
	v_lshlrev_b32_e32 v53, 5, v63
	v_add_co_u32_e32 v42, vcc, v51, v53
	v_addc_co_u32_e32 v43, vcc, 0, v52, vcc
	v_or_b32_e32 v53, 0x800, v53
	v_add_co_u32_e32 v58, vcc, v51, v53
	v_addc_co_u32_e32 v59, vcc, 0, v52, vcc
	v_cmp_gt_u32_e32 vcc, 10, v55
	s_waitcnt vmcnt(11)
	v_mad_i64_i32 v[30:31], s[6:7], v50, s41, v[42:43]
	s_waitcnt vmcnt(10)
	v_mad_i64_i32 v[34:35], s[6:7], v57, s41, v[42:43]
	global_load_dwordx4 v[30:33], v[30:31], off
	v_mad_i64_i32 v[50:51], s[6:7], v50, s41, v[58:59]
	global_load_dwordx4 v[34:37], v[34:35], off
	v_mad_i64_i32 v[60:61], s[6:7], v57, s41, v[58:59]
	s_mov_b32 s12, 0
	s_movk_i32 s13, 0x80
	s_waitcnt vmcnt(11)
	v_mad_i64_i32 v[44:45], s[6:7], v64, s41, v[42:43]
	s_waitcnt vmcnt(10)
	v_mad_i64_i32 v[42:43], s[6:7], v65, s41, v[42:43]
	global_load_dwordx4 v[46:49], v[44:45], off
	s_nop 0
	global_load_dwordx4 v[42:45], v[42:43], off
	s_movk_i32 s14, 0x7f
	global_load_dwordx4 v[50:53], v[50:51], off
	s_mov_b32 s15, 0xffffff
	global_load_dwordx4 v[66:69], v[60:61], off
	s_mov_b32 s16, 0x5040100
	s_waitcnt vmcnt(13)
	buffer_store_dword v9, off, s[0:3], 0 offset:12
	buffer_store_dword v8, off, s[0:3], 0 offset:8
	v_mad_i64_i32 v[8:9], s[6:7], v64, s41, v[58:59]
	global_load_dwordx4 v[70:73], v[8:9], off
	v_mad_i64_i32 v[8:9], s[6:7], v65, s41, v[58:59]
	global_load_dwordx4 v[74:77], v[8:9], off
	v_and_b32_e32 v64, 63, v0
	buffer_store_dword v7, off, s[0:3], 0 offset:4
	buffer_store_dword v6, off, s[0:3], 0
	s_waitcnt vmcnt(18)
	buffer_store_dword v5, off, s[0:3], 0 offset:28
	buffer_store_dword v4, off, s[0:3], 0 offset:24
	;; [unrolled: 1-line block ×4, first 2 shown]
	s_waitcnt vmcnt(21)
	buffer_store_dword v13, off, s[0:3], 0 offset:44
	buffer_store_dword v12, off, s[0:3], 0 offset:40
	;; [unrolled: 1-line block ×4, first 2 shown]
	v_mov_b32_e32 v2, 0x80
	s_load_dword s6, s[4:5], 0x1c
	s_load_dwordx4 s[40:43], s[4:5], 0x80
	v_add_u32_e32 v57, 16, v2
	s_waitcnt vmcnt(24)
	buffer_store_dword v17, off, s[0:3], 0 offset:60
	buffer_store_dword v16, off, s[0:3], 0 offset:56
	;; [unrolled: 1-line block ×4, first 2 shown]
	v_add_u32_e32 v61, 32, v2
	v_add_u32_e32 v58, 48, v2
	;; [unrolled: 1-line block ×4, first 2 shown]
	s_waitcnt vmcnt(27)
	buffer_store_dword v41, off, s[0:3], 0 offset:76
	buffer_store_dword v40, off, s[0:3], 0 offset:72
	buffer_store_dword v39, off, s[0:3], 0 offset:68
	buffer_store_dword v38, off, s[0:3], 0 offset:64
	v_add_u32_e32 v41, 0x60, v2
	v_add_u32_e32 v39, 0x70, v2
	v_add_u32_e32 v2, -10, v55
	v_cndmask_b32_e32 v2, v2, v55, vcc
	v_lshlrev_b32_e32 v2, 5, v2
	v_lshl_add_u32 v14, v1, 9, v2
	ds_read_b128 v[2:5], v14
	ds_read_b128 v[6:9], v14 offset:16
	ds_read_b128 v[10:13], v14 offset:2048
	;; [unrolled: 1-line block ×3, first 2 shown]
	s_waitcnt vmcnt(30)
	buffer_store_dword v21, off, s[0:3], 0 offset:92
	buffer_store_dword v20, off, s[0:3], 0 offset:88
	buffer_store_dword v19, off, s[0:3], 0 offset:84
	buffer_store_dword v18, off, s[0:3], 0 offset:80
	s_waitcnt vmcnt(33)
	buffer_store_dword v29, off, s[0:3], 0 offset:108
	buffer_store_dword v28, off, s[0:3], 0 offset:104
	buffer_store_dword v27, off, s[0:3], 0 offset:100
	buffer_store_dword v26, off, s[0:3], 0 offset:96
	;; [unrolled: 5-line block ×10, first 2 shown]
	s_waitcnt vmcnt(58)
	buffer_store_dword v77, off, s[0:3], 0 offset:252
	s_waitcnt lgkmcnt(0)
	s_load_dword s4, s[40:41], 0x0
	v_mov_b32_e32 v18, s6
	v_mov_b32_e32 v27, 0
	;; [unrolled: 1-line block ×4, first 2 shown]
	s_waitcnt lgkmcnt(0)
	v_mul_f32_e32 v22, s4, v18
	v_mov_b32_e32 v24, v22
	v_mov_b32_e32 v25, v22
	v_bfrev_b32_e32 v33, 60
	buffer_store_dword v76, off, s[0:3], 0 offset:248
	buffer_store_dword v75, off, s[0:3], 0 offset:244
	;; [unrolled: 1-line block ×3, first 2 shown]
	s_branch .LBB951_15
.LBB951_12:                             ;   in Loop: Header=BB951_15 Depth=1
	s_or_b64 exec, exec, s[10:11]
.LBB951_13:                             ;   in Loop: Header=BB951_15 Depth=1
	s_or_b64 exec, exec, s[6:7]
.LBB951_14:                             ;   in Loop: Header=BB951_15 Depth=1
	s_or_b64 exec, exec, s[4:5]
	v_perm_b32 v43, v36, v32, s16
	v_perm_b32 v42, v23, v34, s16
	;; [unrolled: 1-line block ×4, first 2 shown]
	v_add_u32_e32 v26, s12, v29
	v_mfma_f32_16x16x16bf16_1k v[18:21], v[42:43], v[14:15], v[18:21]
	s_add_i32 s12, s12, 16
	v_mov_b32_e32 v23, v22
	s_cmp_eq_u32 s12, 64
	v_add_u32_e32 v27, 32, v27
	v_mfma_f32_16x16x16bf16_1k v[18:21], v[36:37], v[16:17], v[18:21]
	s_nop 7
	s_nop 2
	v_pk_mul_f32 v[18:19], v[24:25], v[18:19]
	v_pk_mul_f32 v[20:21], v[22:23], v[20:21]
	buffer_store_dword v19, v26, s[0:3], 0 offen offset:4
	buffer_store_dword v18, v26, s[0:3], 0 offen
	buffer_store_dword v21, v26, s[0:3], 0 offen offset:12
	buffer_store_dword v20, v26, s[0:3], 0 offen offset:8
	s_cbranch_scc1 .LBB951_205
.LBB951_15:                             ; =>This Inner Loop Header: Depth=1
	buffer_load_dword v20, v27, s[0:3], 0 offen
	buffer_load_dword v18, v27, s[0:3], 0 offen offset:4
	buffer_load_dword v28, v27, s[0:3], 0 offen offset:8
	;; [unrolled: 1-line block ×3, first 2 shown]
	v_mov_b32_e32 v19, 0
	s_waitcnt vmcnt(3)
	v_cmp_ne_u16_sdwa s[6:7], v20, v31 src0_sel:BYTE_0 src1_sel:DWORD
	s_and_saveexec_b64 s[4:5], s[6:7]
	s_cbranch_execz .LBB951_21
; %bb.16:                               ;   in Loop: Header=BB951_15 Depth=1
	v_cmp_ne_u16_sdwa s[10:11], v20, s13 src0_sel:BYTE_0 src1_sel:DWORD
	v_mov_b32_e32 v19, 0xffff8000
	s_and_saveexec_b64 s[6:7], s[10:11]
	s_cbranch_execz .LBB951_20
; %bb.17:                               ;   in Loop: Header=BB951_15 Depth=1
	v_and_b32_e32 v21, 0x7f, v20
	v_cmp_ne_u32_e32 vcc, s14, v21
	v_mov_b32_e32 v19, 0x7f80
	s_and_saveexec_b64 s[10:11], vcc
	s_cbranch_execz .LBB951_19
; %bb.18:                               ;   in Loop: Header=BB951_15 Depth=1
	v_and_b32_e32 v19, 7, v20
	v_ffbh_u32_e32 v30, v19
	v_min_u32_e32 v30, 32, v30
	v_subrev_u32_e32 v32, 28, v30
	v_lshlrev_b64 v[34:35], v32, v[20:21]
	v_lshrrev_b32_e32 v23, 3, v21
	v_sub_u32_e32 v30, 29, v30
	v_and_b32_e32 v32, 7, v34
	v_cmp_gt_u32_e32 vcc, 8, v21
	v_cndmask_b32_e32 v21, v23, v30, vcc
	v_cndmask_b32_e32 v19, v19, v32, vcc
	v_lshlrev_b32_e32 v23, 24, v20
	v_lshlrev_b32_e32 v19, 20, v19
	v_and_b32_e32 v23, 0x80000000, v23
	v_lshl_add_u32 v21, v21, 23, v33
	v_or3_b32 v19, v23, v21, v19
	v_lshrrev_b32_e32 v19, 16, v19
.LBB951_19:                             ;   in Loop: Header=BB951_15 Depth=1
	s_or_b64 exec, exec, s[10:11]
.LBB951_20:                             ;   in Loop: Header=BB951_15 Depth=1
	s_or_b64 exec, exec, s[6:7]
.LBB951_21:                             ;   in Loop: Header=BB951_15 Depth=1
	s_or_b64 exec, exec, s[4:5]
	v_lshrrev_b16_e32 v30, 8, v20
	v_cmp_ne_u16_e32 vcc, 0, v30
	v_mov_b32_e32 v23, 0
	v_mov_b32_e32 v21, 0
	s_and_saveexec_b64 s[4:5], vcc
	s_cbranch_execz .LBB951_27
; %bb.22:                               ;   in Loop: Header=BB951_15 Depth=1
	v_cmp_ne_u16_e32 vcc, s13, v30
	v_mov_b32_e32 v21, 0xffff8000
	s_and_saveexec_b64 s[6:7], vcc
	s_cbranch_execz .LBB951_26
; %bb.23:                               ;   in Loop: Header=BB951_15 Depth=1
	v_and_b32_e32 v32, 0x7f, v30
	v_cmp_ne_u32_e32 vcc, s14, v32
	v_mov_b32_e32 v21, 0x7f80
	s_and_saveexec_b64 s[10:11], vcc
	s_cbranch_execz .LBB951_25
; %bb.24:                               ;   in Loop: Header=BB951_15 Depth=1
	v_and_b32_e32 v21, 7, v30
	v_ffbh_u32_e32 v34, v21
	v_min_u32_e32 v37, 32, v34
	v_subrev_u32_e32 v34, 28, v37
	v_lshlrev_b64 v[34:35], v34, v[30:31]
	v_lshrrev_b32_e32 v36, 3, v32
	v_sub_u32_e32 v30, 29, v37
	v_and_b32_e32 v34, 7, v34
	v_cmp_gt_u32_e32 vcc, 8, v32
	v_cndmask_b32_e32 v30, v36, v30, vcc
	v_cndmask_b32_e32 v21, v21, v34, vcc
	v_lshlrev_b32_e32 v32, 16, v20
	v_lshlrev_b32_e32 v21, 20, v21
	v_and_b32_e32 v32, 0x80000000, v32
	v_lshl_add_u32 v30, v30, 23, v33
	v_or3_b32 v21, v32, v30, v21
	v_lshrrev_b32_e32 v21, 16, v21
.LBB951_25:                             ;   in Loop: Header=BB951_15 Depth=1
	s_or_b64 exec, exec, s[10:11]
.LBB951_26:                             ;   in Loop: Header=BB951_15 Depth=1
	s_or_b64 exec, exec, s[6:7]
.LBB951_27:                             ;   in Loop: Header=BB951_15 Depth=1
	s_or_b64 exec, exec, s[4:5]
	v_lshrrev_b32_e32 v30, 16, v20
	v_cmp_ne_u16_sdwa s[6:7], v30, v31 src0_sel:BYTE_0 src1_sel:DWORD
	s_and_saveexec_b64 s[4:5], s[6:7]
	s_cbranch_execz .LBB951_33
; %bb.28:                               ;   in Loop: Header=BB951_15 Depth=1
	v_cmp_ne_u16_sdwa s[10:11], v30, s13 src0_sel:BYTE_0 src1_sel:DWORD
	v_mov_b32_e32 v23, 0xffff8000
	s_and_saveexec_b64 s[6:7], s[10:11]
	s_cbranch_execz .LBB951_32
; %bb.29:                               ;   in Loop: Header=BB951_15 Depth=1
	v_bfe_u32 v32, v20, 16, 7
	v_cmp_ne_u32_e32 vcc, s14, v32
	v_mov_b32_e32 v23, 0x7f80
	s_and_saveexec_b64 s[10:11], vcc
	s_cbranch_execz .LBB951_31
; %bb.30:                               ;   in Loop: Header=BB951_15 Depth=1
	v_and_b32_e32 v23, 7, v30
	v_ffbh_u32_e32 v34, v23
	v_min_u32_e32 v37, 32, v34
	v_subrev_u32_e32 v34, 28, v37
	v_lshlrev_b64 v[34:35], v34, v[30:31]
	v_lshrrev_b32_e32 v36, 3, v32
	v_sub_u32_e32 v35, 29, v37
	v_and_b32_e32 v34, 7, v34
	v_cmp_gt_u32_e32 vcc, 8, v32
	v_cndmask_b32_e32 v32, v36, v35, vcc
	v_cndmask_b32_e32 v23, v23, v34, vcc
	v_lshlrev_b32_e32 v30, 24, v30
	v_lshlrev_b32_e32 v23, 20, v23
	v_and_b32_e32 v30, 0x80000000, v30
	v_lshl_add_u32 v32, v32, 23, v33
	v_or3_b32 v23, v30, v32, v23
	v_lshrrev_b32_e32 v23, 16, v23
.LBB951_31:                             ;   in Loop: Header=BB951_15 Depth=1
	s_or_b64 exec, exec, s[10:11]
.LBB951_32:                             ;   in Loop: Header=BB951_15 Depth=1
	s_or_b64 exec, exec, s[6:7]
.LBB951_33:                             ;   in Loop: Header=BB951_15 Depth=1
	s_or_b64 exec, exec, s[4:5]
	v_cmp_lt_u32_e32 vcc, s15, v20
	v_mov_b32_e32 v34, 0
	v_mov_b32_e32 v35, 0
	s_and_saveexec_b64 s[4:5], vcc
	s_cbranch_execz .LBB951_39
; %bb.34:                               ;   in Loop: Header=BB951_15 Depth=1
	v_lshrrev_b32_e32 v30, 24, v20
	v_cmp_ne_u32_e32 vcc, s13, v30
	v_mov_b32_e32 v35, 0xffff8000
	s_and_saveexec_b64 s[6:7], vcc
	s_cbranch_execz .LBB951_38
; %bb.35:                               ;   in Loop: Header=BB951_15 Depth=1
	v_bfe_u32 v20, v20, 24, 7
	v_cmp_ne_u32_e32 vcc, s14, v20
	v_mov_b32_e32 v35, 0x7f80
	s_and_saveexec_b64 s[10:11], vcc
	s_cbranch_execz .LBB951_37
; %bb.36:                               ;   in Loop: Header=BB951_15 Depth=1
	v_and_b32_e32 v32, 7, v30
	v_ffbh_u32_e32 v36, v32
	v_min_u32_e32 v38, 32, v36
	v_subrev_u32_e32 v36, 28, v38
	v_lshlrev_b64 v[36:37], v36, v[30:31]
	v_lshrrev_b32_e32 v35, 3, v20
	v_sub_u32_e32 v37, 29, v38
	v_and_b32_e32 v36, 7, v36
	v_cmp_gt_u32_e32 vcc, 8, v20
	v_cndmask_b32_e32 v20, v35, v37, vcc
	v_cndmask_b32_e32 v32, v32, v36, vcc
	v_lshlrev_b32_e32 v30, 24, v30
	v_lshlrev_b32_e32 v32, 20, v32
	v_and_b32_e32 v30, 0x80000000, v30
	v_lshl_add_u32 v20, v20, 23, v33
	v_or3_b32 v20, v30, v20, v32
	v_lshrrev_b32_e32 v35, 16, v20
.LBB951_37:                             ;   in Loop: Header=BB951_15 Depth=1
	s_or_b64 exec, exec, s[10:11]
.LBB951_38:                             ;   in Loop: Header=BB951_15 Depth=1
	s_or_b64 exec, exec, s[6:7]
.LBB951_39:                             ;   in Loop: Header=BB951_15 Depth=1
	s_or_b64 exec, exec, s[4:5]
	s_waitcnt vmcnt(2)
	v_cmp_ne_u16_sdwa s[6:7], v18, v31 src0_sel:BYTE_0 src1_sel:DWORD
	s_and_saveexec_b64 s[4:5], s[6:7]
	s_cbranch_execz .LBB951_45
; %bb.40:                               ;   in Loop: Header=BB951_15 Depth=1
	v_cmp_ne_u16_sdwa s[10:11], v18, s13 src0_sel:BYTE_0 src1_sel:DWORD
	v_mov_b32_e32 v34, 0xffff8000
	s_and_saveexec_b64 s[6:7], s[10:11]
	s_cbranch_execz .LBB951_44
; %bb.41:                               ;   in Loop: Header=BB951_15 Depth=1
	v_and_b32_e32 v20, 0x7f, v18
	v_cmp_ne_u32_e32 vcc, s14, v20
	v_mov_b32_e32 v34, 0x7f80
	s_and_saveexec_b64 s[10:11], vcc
	s_cbranch_execz .LBB951_43
; %bb.42:                               ;   in Loop: Header=BB951_15 Depth=1
	v_and_b32_e32 v30, 7, v18
	v_ffbh_u32_e32 v34, v30
	v_min_u32_e32 v34, 32, v34
	v_subrev_u32_e32 v36, 28, v34
	v_lshlrev_b64 v[36:37], v36, v[18:19]
	v_lshrrev_b32_e32 v32, 3, v20
	v_sub_u32_e32 v34, 29, v34
	v_and_b32_e32 v36, 7, v36
	v_cmp_gt_u32_e32 vcc, 8, v20
	v_cndmask_b32_e32 v20, v32, v34, vcc
	v_cndmask_b32_e32 v30, v30, v36, vcc
	v_lshlrev_b32_e32 v32, 24, v18
	v_lshlrev_b32_e32 v30, 20, v30
	v_and_b32_e32 v32, 0x80000000, v32
	v_lshl_add_u32 v20, v20, 23, v33
	v_or3_b32 v20, v32, v20, v30
	v_lshrrev_b32_e32 v34, 16, v20
.LBB951_43:                             ;   in Loop: Header=BB951_15 Depth=1
	s_or_b64 exec, exec, s[10:11]
.LBB951_44:                             ;   in Loop: Header=BB951_15 Depth=1
	s_or_b64 exec, exec, s[6:7]
.LBB951_45:                             ;   in Loop: Header=BB951_15 Depth=1
	s_or_b64 exec, exec, s[4:5]
	v_lshrrev_b16_e32 v20, 8, v18
	v_cmp_ne_u16_e32 vcc, 0, v20
	v_mov_b32_e32 v36, 0
	v_mov_b32_e32 v30, 0
	s_and_saveexec_b64 s[4:5], vcc
	s_cbranch_execz .LBB951_51
; %bb.46:                               ;   in Loop: Header=BB951_15 Depth=1
	v_cmp_ne_u16_e32 vcc, s13, v20
	v_mov_b32_e32 v30, 0xffff8000
	s_and_saveexec_b64 s[6:7], vcc
	s_cbranch_execz .LBB951_50
; %bb.47:                               ;   in Loop: Header=BB951_15 Depth=1
	v_and_b32_e32 v32, 0x7f, v20
	v_cmp_ne_u32_e32 vcc, s14, v32
	v_mov_b32_e32 v30, 0x7f80
	s_and_saveexec_b64 s[10:11], vcc
	s_cbranch_execz .LBB951_49
; %bb.48:                               ;   in Loop: Header=BB951_15 Depth=1
	v_and_b32_e32 v30, 7, v20
	v_ffbh_u32_e32 v38, v30
	v_min_u32_e32 v38, 32, v38
	v_subrev_u32_e32 v40, 28, v38
	v_lshlrev_b64 v[42:43], v40, v[20:21]
	v_lshrrev_b32_e32 v37, 3, v32
	v_sub_u32_e32 v20, 29, v38
	v_and_b32_e32 v38, 7, v42
	v_cmp_gt_u32_e32 vcc, 8, v32
	v_cndmask_b32_e32 v20, v37, v20, vcc
	v_cndmask_b32_e32 v30, v30, v38, vcc
	v_lshlrev_b32_e32 v32, 16, v18
	v_lshlrev_b32_e32 v30, 20, v30
	v_and_b32_e32 v32, 0x80000000, v32
	v_lshl_add_u32 v20, v20, 23, v33
	v_or3_b32 v20, v32, v20, v30
	v_lshrrev_b32_e32 v30, 16, v20
.LBB951_49:                             ;   in Loop: Header=BB951_15 Depth=1
	s_or_b64 exec, exec, s[10:11]
.LBB951_50:                             ;   in Loop: Header=BB951_15 Depth=1
	s_or_b64 exec, exec, s[6:7]
.LBB951_51:                             ;   in Loop: Header=BB951_15 Depth=1
	s_or_b64 exec, exec, s[4:5]
	v_lshrrev_b32_e32 v20, 16, v18
	v_cmp_ne_u16_sdwa s[6:7], v20, v31 src0_sel:BYTE_0 src1_sel:DWORD
	s_and_saveexec_b64 s[4:5], s[6:7]
	s_cbranch_execz .LBB951_57
; %bb.52:                               ;   in Loop: Header=BB951_15 Depth=1
	v_cmp_ne_u16_sdwa s[10:11], v20, s13 src0_sel:BYTE_0 src1_sel:DWORD
	v_mov_b32_e32 v36, 0xffff8000
	s_and_saveexec_b64 s[6:7], s[10:11]
	s_cbranch_execz .LBB951_56
; %bb.53:                               ;   in Loop: Header=BB951_15 Depth=1
	v_bfe_u32 v32, v18, 16, 7
	v_cmp_ne_u32_e32 vcc, s14, v32
	v_mov_b32_e32 v36, 0x7f80
	s_and_saveexec_b64 s[10:11], vcc
	s_cbranch_execz .LBB951_55
; %bb.54:                               ;   in Loop: Header=BB951_15 Depth=1
	v_and_b32_e32 v38, 7, v20
	v_ffbh_u32_e32 v36, v38
	v_min_u32_e32 v42, 32, v36
	v_subrev_u32_e32 v36, 28, v42
	v_lshlrev_b64 v[36:37], v36, v[20:21]
	v_lshrrev_b32_e32 v40, 3, v32
	v_sub_u32_e32 v37, 29, v42
	v_and_b32_e32 v36, 7, v36
	v_cmp_gt_u32_e32 vcc, 8, v32
	v_cndmask_b32_e32 v32, v40, v37, vcc
	v_cndmask_b32_e32 v36, v38, v36, vcc
	v_lshlrev_b32_e32 v20, 24, v20
	v_lshlrev_b32_e32 v36, 20, v36
	v_and_b32_e32 v20, 0x80000000, v20
	v_lshl_add_u32 v32, v32, 23, v33
	v_or3_b32 v20, v20, v32, v36
	v_lshrrev_b32_e32 v36, 16, v20
.LBB951_55:                             ;   in Loop: Header=BB951_15 Depth=1
	s_or_b64 exec, exec, s[10:11]
.LBB951_56:                             ;   in Loop: Header=BB951_15 Depth=1
	s_or_b64 exec, exec, s[6:7]
.LBB951_57:                             ;   in Loop: Header=BB951_15 Depth=1
	s_or_b64 exec, exec, s[4:5]
	v_cmp_lt_u32_e32 vcc, s15, v18
	v_mov_b32_e32 v32, 0
	v_mov_b32_e32 v37, 0
	s_and_saveexec_b64 s[4:5], vcc
	s_cbranch_execz .LBB951_63
; %bb.58:                               ;   in Loop: Header=BB951_15 Depth=1
	v_lshrrev_b32_e32 v20, 24, v18
	v_cmp_ne_u32_e32 vcc, s13, v20
	v_mov_b32_e32 v37, 0xffff8000
	s_and_saveexec_b64 s[6:7], vcc
	s_cbranch_execz .LBB951_62
; %bb.59:                               ;   in Loop: Header=BB951_15 Depth=1
	v_bfe_u32 v18, v18, 24, 7
	v_cmp_ne_u32_e32 vcc, s14, v18
	v_mov_b32_e32 v37, 0x7f80
	s_and_saveexec_b64 s[10:11], vcc
	s_cbranch_execz .LBB951_61
; %bb.60:                               ;   in Loop: Header=BB951_15 Depth=1
	v_and_b32_e32 v37, 7, v20
	v_ffbh_u32_e32 v40, v37
	v_min_u32_e32 v40, 32, v40
	v_subrev_u32_e32 v42, 28, v40
	v_lshlrev_b64 v[42:43], v42, v[20:21]
	v_lshrrev_b32_e32 v38, 3, v18
	v_sub_u32_e32 v40, 29, v40
	v_and_b32_e32 v42, 7, v42
	v_cmp_gt_u32_e32 vcc, 8, v18
	v_cndmask_b32_e32 v18, v38, v40, vcc
	v_cndmask_b32_e32 v37, v37, v42, vcc
	v_lshlrev_b32_e32 v20, 24, v20
	v_lshlrev_b32_e32 v37, 20, v37
	v_and_b32_e32 v20, 0x80000000, v20
	v_lshl_add_u32 v18, v18, 23, v33
	v_or3_b32 v18, v20, v18, v37
	v_lshrrev_b32_e32 v37, 16, v18
.LBB951_61:                             ;   in Loop: Header=BB951_15 Depth=1
	s_or_b64 exec, exec, s[10:11]
.LBB951_62:                             ;   in Loop: Header=BB951_15 Depth=1
	s_or_b64 exec, exec, s[6:7]
.LBB951_63:                             ;   in Loop: Header=BB951_15 Depth=1
	s_or_b64 exec, exec, s[4:5]
	v_perm_b32 v43, v35, v23, s16
	v_perm_b32 v42, v21, v19, s16
	;; [unrolled: 1-line block ×4, first 2 shown]
	s_waitcnt vmcnt(1)
	v_cmp_ne_u16_sdwa s[6:7], v28, v31 src0_sel:BYTE_0 src1_sel:DWORD
	v_mfma_f32_16x16x16bf16_1k v[18:21], v[42:43], v[2:3], 0
	v_mfma_f32_16x16x16bf16_1k v[18:21], v[34:35], v[4:5], v[18:21]
	s_and_saveexec_b64 s[4:5], s[6:7]
	s_cbranch_execz .LBB951_69
; %bb.64:                               ;   in Loop: Header=BB951_15 Depth=1
	v_cmp_ne_u16_sdwa s[10:11], v28, s13 src0_sel:BYTE_0 src1_sel:DWORD
	v_mov_b32_e32 v32, 0xffff8000
	s_and_saveexec_b64 s[6:7], s[10:11]
	s_cbranch_execz .LBB951_68
; %bb.65:                               ;   in Loop: Header=BB951_15 Depth=1
	v_and_b32_e32 v23, 0x7f, v28
	v_cmp_ne_u32_e32 vcc, s14, v23
	v_mov_b32_e32 v32, 0x7f80
	s_and_saveexec_b64 s[10:11], vcc
	s_cbranch_execz .LBB951_67
; %bb.66:                               ;   in Loop: Header=BB951_15 Depth=1
	v_and_b32_e32 v30, 7, v28
	v_ffbh_u32_e32 v34, v30
	v_min_u32_e32 v36, 32, v34
	v_subrev_u32_e32 v34, 28, v36
	v_lshlrev_b64 v[34:35], v34, v[28:29]
	v_lshrrev_b32_e32 v32, 3, v23
	v_sub_u32_e32 v35, 29, v36
	v_and_b32_e32 v34, 7, v34
	v_cmp_gt_u32_e32 vcc, 8, v23
	v_cndmask_b32_e32 v23, v32, v35, vcc
	v_cndmask_b32_e32 v30, v30, v34, vcc
	v_lshlrev_b32_e32 v32, 24, v28
	v_lshlrev_b32_e32 v30, 20, v30
	v_and_b32_e32 v32, 0x80000000, v32
	v_lshl_add_u32 v23, v23, 23, v33
	v_or3_b32 v23, v32, v23, v30
	v_lshrrev_b32_e32 v32, 16, v23
.LBB951_67:                             ;   in Loop: Header=BB951_15 Depth=1
	s_or_b64 exec, exec, s[10:11]
.LBB951_68:                             ;   in Loop: Header=BB951_15 Depth=1
	s_or_b64 exec, exec, s[6:7]
.LBB951_69:                             ;   in Loop: Header=BB951_15 Depth=1
	s_or_b64 exec, exec, s[4:5]
	v_lshrrev_b16_e32 v30, 8, v28
	v_cmp_ne_u16_e32 vcc, 0, v30
	v_mov_b32_e32 v35, 0
	v_mov_b32_e32 v34, 0
	s_and_saveexec_b64 s[4:5], vcc
	s_cbranch_execz .LBB951_75
; %bb.70:                               ;   in Loop: Header=BB951_15 Depth=1
	v_cmp_ne_u16_e32 vcc, s13, v30
	v_mov_b32_e32 v34, 0xffff8000
	s_and_saveexec_b64 s[6:7], vcc
	s_cbranch_execz .LBB951_74
; %bb.71:                               ;   in Loop: Header=BB951_15 Depth=1
	v_and_b32_e32 v23, 0x7f, v30
	v_cmp_ne_u32_e32 vcc, s14, v23
	v_mov_b32_e32 v34, 0x7f80
	s_and_saveexec_b64 s[10:11], vcc
	s_cbranch_execz .LBB951_73
; %bb.72:                               ;   in Loop: Header=BB951_15 Depth=1
	v_and_b32_e32 v34, 7, v30
	v_ffbh_u32_e32 v36, v34
	v_min_u32_e32 v40, 32, v36
	v_subrev_u32_e32 v36, 28, v40
	v_lshlrev_b64 v[36:37], v36, v[30:31]
	v_lshrrev_b32_e32 v38, 3, v23
	v_sub_u32_e32 v30, 29, v40
	v_and_b32_e32 v36, 7, v36
	v_cmp_gt_u32_e32 vcc, 8, v23
	v_cndmask_b32_e32 v23, v38, v30, vcc
	v_cndmask_b32_e32 v30, v34, v36, vcc
	v_lshlrev_b32_e32 v34, 16, v28
	v_lshlrev_b32_e32 v30, 20, v30
	v_and_b32_e32 v34, 0x80000000, v34
	v_lshl_add_u32 v23, v23, 23, v33
	v_or3_b32 v23, v34, v23, v30
	v_lshrrev_b32_e32 v34, 16, v23
.LBB951_73:                             ;   in Loop: Header=BB951_15 Depth=1
	s_or_b64 exec, exec, s[10:11]
.LBB951_74:                             ;   in Loop: Header=BB951_15 Depth=1
	s_or_b64 exec, exec, s[6:7]
.LBB951_75:                             ;   in Loop: Header=BB951_15 Depth=1
	s_or_b64 exec, exec, s[4:5]
	v_lshrrev_b32_e32 v30, 16, v28
	v_cmp_ne_u16_sdwa s[6:7], v30, v31 src0_sel:BYTE_0 src1_sel:DWORD
	s_and_saveexec_b64 s[4:5], s[6:7]
	s_cbranch_execz .LBB951_81
; %bb.76:                               ;   in Loop: Header=BB951_15 Depth=1
	v_cmp_ne_u16_sdwa s[10:11], v30, s13 src0_sel:BYTE_0 src1_sel:DWORD
	v_mov_b32_e32 v35, 0xffff8000
	s_and_saveexec_b64 s[6:7], s[10:11]
	s_cbranch_execz .LBB951_80
; %bb.77:                               ;   in Loop: Header=BB951_15 Depth=1
	v_bfe_u32 v23, v28, 16, 7
	v_cmp_ne_u32_e32 vcc, s14, v23
	v_mov_b32_e32 v35, 0x7f80
	s_and_saveexec_b64 s[10:11], vcc
	s_cbranch_execz .LBB951_79
; %bb.78:                               ;   in Loop: Header=BB951_15 Depth=1
	v_and_b32_e32 v35, 7, v30
	v_ffbh_u32_e32 v36, v35
	v_min_u32_e32 v40, 32, v36
	v_subrev_u32_e32 v36, 28, v40
	v_lshlrev_b64 v[36:37], v36, v[30:31]
	v_lshrrev_b32_e32 v38, 3, v23
	v_sub_u32_e32 v37, 29, v40
	v_and_b32_e32 v36, 7, v36
	v_cmp_gt_u32_e32 vcc, 8, v23
	v_cndmask_b32_e32 v23, v38, v37, vcc
	v_cndmask_b32_e32 v35, v35, v36, vcc
	v_lshlrev_b32_e32 v30, 24, v30
	v_lshlrev_b32_e32 v35, 20, v35
	v_and_b32_e32 v30, 0x80000000, v30
	v_lshl_add_u32 v23, v23, 23, v33
	v_or3_b32 v23, v30, v23, v35
	v_lshrrev_b32_e32 v35, 16, v23
.LBB951_79:                             ;   in Loop: Header=BB951_15 Depth=1
	s_or_b64 exec, exec, s[10:11]
.LBB951_80:                             ;   in Loop: Header=BB951_15 Depth=1
	s_or_b64 exec, exec, s[6:7]
.LBB951_81:                             ;   in Loop: Header=BB951_15 Depth=1
	s_or_b64 exec, exec, s[4:5]
	v_cmp_lt_u32_e32 vcc, s15, v28
	v_mov_b32_e32 v36, 0
	v_mov_b32_e32 v37, 0
	s_and_saveexec_b64 s[4:5], vcc
	s_cbranch_execz .LBB951_87
; %bb.82:                               ;   in Loop: Header=BB951_15 Depth=1
	v_lshrrev_b32_e32 v30, 24, v28
	v_cmp_ne_u32_e32 vcc, s13, v30
	v_mov_b32_e32 v37, 0xffff8000
	s_and_saveexec_b64 s[6:7], vcc
	s_cbranch_execz .LBB951_86
; %bb.83:                               ;   in Loop: Header=BB951_15 Depth=1
	v_bfe_u32 v23, v28, 24, 7
	v_cmp_ne_u32_e32 vcc, s14, v23
	v_mov_b32_e32 v37, 0x7f80
	s_and_saveexec_b64 s[10:11], vcc
	s_cbranch_execz .LBB951_85
; %bb.84:                               ;   in Loop: Header=BB951_15 Depth=1
	v_and_b32_e32 v28, 7, v30
	v_ffbh_u32_e32 v38, v28
	v_min_u32_e32 v38, 32, v38
	v_subrev_u32_e32 v40, 28, v38
	v_lshlrev_b64 v[42:43], v40, v[30:31]
	v_lshrrev_b32_e32 v37, 3, v23
	v_sub_u32_e32 v38, 29, v38
	v_and_b32_e32 v40, 7, v42
	v_cmp_gt_u32_e32 vcc, 8, v23
	v_cndmask_b32_e32 v23, v37, v38, vcc
	v_cndmask_b32_e32 v28, v28, v40, vcc
	v_lshlrev_b32_e32 v30, 24, v30
	v_lshlrev_b32_e32 v28, 20, v28
	v_and_b32_e32 v30, 0x80000000, v30
	v_lshl_add_u32 v23, v23, 23, v33
	v_or3_b32 v23, v30, v23, v28
	v_lshrrev_b32_e32 v37, 16, v23
.LBB951_85:                             ;   in Loop: Header=BB951_15 Depth=1
	s_or_b64 exec, exec, s[10:11]
.LBB951_86:                             ;   in Loop: Header=BB951_15 Depth=1
	s_or_b64 exec, exec, s[6:7]
.LBB951_87:                             ;   in Loop: Header=BB951_15 Depth=1
	s_or_b64 exec, exec, s[4:5]
	s_waitcnt vmcnt(0)
	v_cmp_ne_u16_sdwa s[6:7], v26, v31 src0_sel:BYTE_0 src1_sel:DWORD
	s_and_saveexec_b64 s[4:5], s[6:7]
	s_cbranch_execz .LBB951_93
; %bb.88:                               ;   in Loop: Header=BB951_15 Depth=1
	v_cmp_ne_u16_sdwa s[10:11], v26, s13 src0_sel:BYTE_0 src1_sel:DWORD
	v_mov_b32_e32 v36, 0xffff8000
	s_and_saveexec_b64 s[6:7], s[10:11]
	s_cbranch_execz .LBB951_92
; %bb.89:                               ;   in Loop: Header=BB951_15 Depth=1
	v_and_b32_e32 v23, 0x7f, v26
	v_cmp_ne_u32_e32 vcc, s14, v23
	v_mov_b32_e32 v36, 0x7f80
	s_and_saveexec_b64 s[10:11], vcc
	s_cbranch_execz .LBB951_91
; %bb.90:                               ;   in Loop: Header=BB951_15 Depth=1
	v_and_b32_e32 v28, 7, v26
	v_ffbh_u32_e32 v36, v28
	v_min_u32_e32 v36, 32, v36
	v_subrev_u32_e32 v38, 28, v36
	v_lshlrev_b64 v[42:43], v38, v[26:27]
	v_lshrrev_b32_e32 v30, 3, v23
	v_sub_u32_e32 v36, 29, v36
	v_and_b32_e32 v38, 7, v42
	v_cmp_gt_u32_e32 vcc, 8, v23
	v_cndmask_b32_e32 v23, v30, v36, vcc
	v_cndmask_b32_e32 v28, v28, v38, vcc
	v_lshlrev_b32_e32 v30, 24, v26
	v_lshlrev_b32_e32 v28, 20, v28
	v_and_b32_e32 v30, 0x80000000, v30
	v_lshl_add_u32 v23, v23, 23, v33
	v_or3_b32 v23, v30, v23, v28
	v_lshrrev_b32_e32 v36, 16, v23
.LBB951_91:                             ;   in Loop: Header=BB951_15 Depth=1
	s_or_b64 exec, exec, s[10:11]
.LBB951_92:                             ;   in Loop: Header=BB951_15 Depth=1
	s_or_b64 exec, exec, s[6:7]
.LBB951_93:                             ;   in Loop: Header=BB951_15 Depth=1
	s_or_b64 exec, exec, s[4:5]
	v_lshrrev_b16_e32 v28, 8, v26
	v_cmp_ne_u16_e32 vcc, 0, v28
	v_mov_b32_e32 v40, 0
	v_mov_b32_e32 v38, 0
	s_and_saveexec_b64 s[4:5], vcc
	s_cbranch_execz .LBB951_99
; %bb.94:                               ;   in Loop: Header=BB951_15 Depth=1
	v_cmp_ne_u16_e32 vcc, s13, v28
	v_mov_b32_e32 v38, 0xffff8000
	s_and_saveexec_b64 s[6:7], vcc
	s_cbranch_execz .LBB951_98
; %bb.95:                               ;   in Loop: Header=BB951_15 Depth=1
	v_and_b32_e32 v23, 0x7f, v28
	v_cmp_ne_u32_e32 vcc, s14, v23
	v_mov_b32_e32 v38, 0x7f80
	s_and_saveexec_b64 s[10:11], vcc
	s_cbranch_execz .LBB951_97
; %bb.96:                               ;   in Loop: Header=BB951_15 Depth=1
	v_and_b32_e32 v30, 7, v28
	v_ffbh_u32_e32 v42, v30
	v_min_u32_e32 v44, 32, v42
	v_subrev_u32_e32 v42, 28, v44
	v_lshlrev_b64 v[42:43], v42, v[28:29]
	v_lshrrev_b32_e32 v38, 3, v23
	v_sub_u32_e32 v28, 29, v44
	v_and_b32_e32 v42, 7, v42
	v_cmp_gt_u32_e32 vcc, 8, v23
	v_cndmask_b32_e32 v23, v38, v28, vcc
	v_cndmask_b32_e32 v28, v30, v42, vcc
	v_lshlrev_b32_e32 v30, 16, v26
	v_lshlrev_b32_e32 v28, 20, v28
	v_and_b32_e32 v30, 0x80000000, v30
	v_lshl_add_u32 v23, v23, 23, v33
	v_or3_b32 v23, v30, v23, v28
	v_lshrrev_b32_e32 v38, 16, v23
.LBB951_97:                             ;   in Loop: Header=BB951_15 Depth=1
	s_or_b64 exec, exec, s[10:11]
.LBB951_98:                             ;   in Loop: Header=BB951_15 Depth=1
	s_or_b64 exec, exec, s[6:7]
.LBB951_99:                             ;   in Loop: Header=BB951_15 Depth=1
	s_or_b64 exec, exec, s[4:5]
	v_lshrrev_b32_e32 v28, 16, v26
	v_cmp_ne_u16_sdwa s[6:7], v28, v31 src0_sel:BYTE_0 src1_sel:DWORD
	s_and_saveexec_b64 s[4:5], s[6:7]
	s_cbranch_execz .LBB951_105
; %bb.100:                              ;   in Loop: Header=BB951_15 Depth=1
	v_cmp_ne_u16_sdwa s[10:11], v28, s13 src0_sel:BYTE_0 src1_sel:DWORD
	v_mov_b32_e32 v40, 0xffff8000
	s_and_saveexec_b64 s[6:7], s[10:11]
	s_cbranch_execz .LBB951_104
; %bb.101:                              ;   in Loop: Header=BB951_15 Depth=1
	v_bfe_u32 v23, v26, 16, 7
	v_cmp_ne_u32_e32 vcc, s14, v23
	v_mov_b32_e32 v40, 0x7f80
	s_and_saveexec_b64 s[10:11], vcc
	s_cbranch_execz .LBB951_103
; %bb.102:                              ;   in Loop: Header=BB951_15 Depth=1
	v_and_b32_e32 v30, 7, v28
	v_ffbh_u32_e32 v42, v30
	v_min_u32_e32 v44, 32, v42
	v_subrev_u32_e32 v42, 28, v44
	v_lshlrev_b64 v[42:43], v42, v[28:29]
	v_lshrrev_b32_e32 v40, 3, v23
	v_sub_u32_e32 v43, 29, v44
	v_and_b32_e32 v42, 7, v42
	v_cmp_gt_u32_e32 vcc, 8, v23
	v_cndmask_b32_e32 v23, v40, v43, vcc
	v_cndmask_b32_e32 v30, v30, v42, vcc
	v_lshlrev_b32_e32 v28, 24, v28
	v_lshlrev_b32_e32 v30, 20, v30
	v_and_b32_e32 v28, 0x80000000, v28
	v_lshl_add_u32 v23, v23, 23, v33
	v_or3_b32 v23, v28, v23, v30
	v_lshrrev_b32_e32 v40, 16, v23
.LBB951_103:                            ;   in Loop: Header=BB951_15 Depth=1
	s_or_b64 exec, exec, s[10:11]
.LBB951_104:                            ;   in Loop: Header=BB951_15 Depth=1
	s_or_b64 exec, exec, s[6:7]
.LBB951_105:                            ;   in Loop: Header=BB951_15 Depth=1
	s_or_b64 exec, exec, s[4:5]
	v_cmp_lt_u32_e32 vcc, s15, v26
	v_mov_b32_e32 v23, 0
	v_mov_b32_e32 v42, 0
	s_and_saveexec_b64 s[4:5], vcc
	s_cbranch_execz .LBB951_111
; %bb.106:                              ;   in Loop: Header=BB951_15 Depth=1
	v_lshrrev_b32_e32 v28, 24, v26
	v_cmp_ne_u32_e32 vcc, s13, v28
	v_mov_b32_e32 v42, 0xffff8000
	s_and_saveexec_b64 s[6:7], vcc
	s_cbranch_execz .LBB951_110
; %bb.107:                              ;   in Loop: Header=BB951_15 Depth=1
	v_bfe_u32 v26, v26, 24, 7
	v_cmp_ne_u32_e32 vcc, s14, v26
	v_mov_b32_e32 v42, 0x7f80
	s_and_saveexec_b64 s[10:11], vcc
	s_cbranch_execz .LBB951_109
; %bb.108:                              ;   in Loop: Header=BB951_15 Depth=1
	v_and_b32_e32 v30, 7, v28
	v_ffbh_u32_e32 v42, v30
	v_min_u32_e32 v45, 32, v42
	v_subrev_u32_e32 v42, 28, v45
	v_lshlrev_b64 v[42:43], v42, v[28:29]
	v_lshrrev_b32_e32 v44, 3, v26
	v_sub_u32_e32 v43, 29, v45
	v_and_b32_e32 v42, 7, v42
	v_cmp_gt_u32_e32 vcc, 8, v26
	v_cndmask_b32_e32 v26, v44, v43, vcc
	v_cndmask_b32_e32 v30, v30, v42, vcc
	v_lshlrev_b32_e32 v28, 24, v28
	v_lshlrev_b32_e32 v30, 20, v30
	v_and_b32_e32 v28, 0x80000000, v28
	v_lshl_add_u32 v26, v26, 23, v33
	v_or3_b32 v26, v28, v26, v30
	v_lshrrev_b32_e32 v42, 16, v26
.LBB951_109:                            ;   in Loop: Header=BB951_15 Depth=1
	s_or_b64 exec, exec, s[10:11]
.LBB951_110:                            ;   in Loop: Header=BB951_15 Depth=1
	s_or_b64 exec, exec, s[6:7]
.LBB951_111:                            ;   in Loop: Header=BB951_15 Depth=1
	s_or_b64 exec, exec, s[4:5]
	v_perm_b32 v34, v34, v32, s16
	buffer_load_dword v32, v27, s[0:3], 0 offen offset:16
	buffer_load_dword v30, v27, s[0:3], 0 offen offset:20
	;; [unrolled: 1-line block ×4, first 2 shown]
	v_perm_b32 v35, v37, v35, s16
	s_waitcnt vmcnt(3)
	v_cmp_ne_u16_sdwa s[6:7], v32, v31 src0_sel:BYTE_0 src1_sel:DWORD
	v_mfma_f32_16x16x16bf16_1k v[18:21], v[34:35], v[6:7], v[18:21]
	v_perm_b32 v35, v42, v40, s16
	v_perm_b32 v34, v38, v36, s16
	s_nop 1
	v_mfma_f32_16x16x16bf16_1k v[18:21], v[34:35], v[8:9], v[18:21]
	s_and_saveexec_b64 s[4:5], s[6:7]
	s_cbranch_execz .LBB951_117
; %bb.112:                              ;   in Loop: Header=BB951_15 Depth=1
	v_cmp_ne_u16_sdwa s[10:11], v32, s13 src0_sel:BYTE_0 src1_sel:DWORD
	v_mov_b32_e32 v23, 0xffff8000
	s_and_saveexec_b64 s[6:7], s[10:11]
	s_cbranch_execz .LBB951_116
; %bb.113:                              ;   in Loop: Header=BB951_15 Depth=1
	v_and_b32_e32 v34, 0x7f, v32
	v_cmp_ne_u32_e32 vcc, s14, v34
	v_mov_b32_e32 v23, 0x7f80
	s_and_saveexec_b64 s[10:11], vcc
	s_cbranch_execz .LBB951_115
; %bb.114:                              ;   in Loop: Header=BB951_15 Depth=1
	v_and_b32_e32 v23, 7, v32
	v_ffbh_u32_e32 v36, v23
	v_min_u32_e32 v38, 32, v36
	v_subrev_u32_e32 v36, 28, v38
	v_lshlrev_b64 v[36:37], v36, v[32:33]
	v_lshrrev_b32_e32 v35, 3, v34
	v_sub_u32_e32 v37, 29, v38
	v_and_b32_e32 v36, 7, v36
	v_cmp_gt_u32_e32 vcc, 8, v34
	v_cndmask_b32_e32 v34, v35, v37, vcc
	v_cndmask_b32_e32 v23, v23, v36, vcc
	v_lshlrev_b32_e32 v35, 24, v32
	v_lshlrev_b32_e32 v23, 20, v23
	v_and_b32_e32 v35, 0x80000000, v35
	v_lshl_add_u32 v34, v34, 23, v33
	v_or3_b32 v23, v35, v34, v23
	v_lshrrev_b32_e32 v23, 16, v23
.LBB951_115:                            ;   in Loop: Header=BB951_15 Depth=1
	s_or_b64 exec, exec, s[10:11]
.LBB951_116:                            ;   in Loop: Header=BB951_15 Depth=1
	s_or_b64 exec, exec, s[6:7]
.LBB951_117:                            ;   in Loop: Header=BB951_15 Depth=1
	s_or_b64 exec, exec, s[4:5]
	v_lshrrev_b16_e32 v34, 8, v32
	v_cmp_ne_u16_e32 vcc, 0, v34
	v_mov_b32_e32 v36, 0
	v_mov_b32_e32 v35, 0
	s_and_saveexec_b64 s[4:5], vcc
	s_cbranch_execz .LBB951_123
; %bb.118:                              ;   in Loop: Header=BB951_15 Depth=1
	v_cmp_ne_u16_e32 vcc, s13, v34
	v_mov_b32_e32 v35, 0xffff8000
	s_and_saveexec_b64 s[6:7], vcc
	s_cbranch_execz .LBB951_122
; %bb.119:                              ;   in Loop: Header=BB951_15 Depth=1
	v_and_b32_e32 v37, 0x7f, v34
	v_cmp_ne_u32_e32 vcc, s14, v37
	v_mov_b32_e32 v35, 0x7f80
	s_and_saveexec_b64 s[10:11], vcc
	s_cbranch_execz .LBB951_121
; %bb.120:                              ;   in Loop: Header=BB951_15 Depth=1
	v_and_b32_e32 v38, 7, v34
	v_ffbh_u32_e32 v35, v38
	v_min_u32_e32 v42, 32, v35
	v_subrev_u32_e32 v35, 28, v42
	v_lshlrev_b64 v[34:35], v35, v[34:35]
	v_lshrrev_b32_e32 v40, 3, v37
	v_sub_u32_e32 v35, 29, v42
	v_and_b32_e32 v34, 7, v34
	v_cmp_gt_u32_e32 vcc, 8, v37
	v_cndmask_b32_e32 v35, v40, v35, vcc
	v_cndmask_b32_e32 v34, v38, v34, vcc
	v_lshlrev_b32_e32 v37, 16, v32
	v_lshlrev_b32_e32 v34, 20, v34
	v_and_b32_e32 v37, 0x80000000, v37
	v_lshl_add_u32 v35, v35, 23, v33
	v_or3_b32 v34, v37, v35, v34
	v_lshrrev_b32_e32 v35, 16, v34
.LBB951_121:                            ;   in Loop: Header=BB951_15 Depth=1
	s_or_b64 exec, exec, s[10:11]
.LBB951_122:                            ;   in Loop: Header=BB951_15 Depth=1
	s_or_b64 exec, exec, s[6:7]
.LBB951_123:                            ;   in Loop: Header=BB951_15 Depth=1
	s_or_b64 exec, exec, s[4:5]
	v_lshrrev_b32_e32 v34, 16, v32
	v_cmp_ne_u16_sdwa s[6:7], v34, v31 src0_sel:BYTE_0 src1_sel:DWORD
	s_and_saveexec_b64 s[4:5], s[6:7]
	s_cbranch_execz .LBB951_129
; %bb.124:                              ;   in Loop: Header=BB951_15 Depth=1
	v_cmp_ne_u16_sdwa s[10:11], v34, s13 src0_sel:BYTE_0 src1_sel:DWORD
	v_mov_b32_e32 v36, 0xffff8000
	s_and_saveexec_b64 s[6:7], s[10:11]
	s_cbranch_execz .LBB951_128
; %bb.125:                              ;   in Loop: Header=BB951_15 Depth=1
	v_bfe_u32 v37, v32, 16, 7
	v_cmp_ne_u32_e32 vcc, s14, v37
	v_mov_b32_e32 v36, 0x7f80
	s_and_saveexec_b64 s[10:11], vcc
	s_cbranch_execz .LBB951_127
; %bb.126:                              ;   in Loop: Header=BB951_15 Depth=1
	v_and_b32_e32 v36, 7, v34
	v_ffbh_u32_e32 v40, v36
	v_min_u32_e32 v40, 32, v40
	v_subrev_u32_e32 v42, 28, v40
	v_lshlrev_b64 v[42:43], v42, v[34:35]
	v_lshrrev_b32_e32 v38, 3, v37
	v_sub_u32_e32 v40, 29, v40
	v_and_b32_e32 v42, 7, v42
	v_cmp_gt_u32_e32 vcc, 8, v37
	v_cndmask_b32_e32 v37, v38, v40, vcc
	v_cndmask_b32_e32 v36, v36, v42, vcc
	v_lshlrev_b32_e32 v34, 24, v34
	v_lshlrev_b32_e32 v36, 20, v36
	v_and_b32_e32 v34, 0x80000000, v34
	v_lshl_add_u32 v37, v37, 23, v33
	v_or3_b32 v34, v34, v37, v36
	v_lshrrev_b32_e32 v36, 16, v34
.LBB951_127:                            ;   in Loop: Header=BB951_15 Depth=1
	s_or_b64 exec, exec, s[10:11]
.LBB951_128:                            ;   in Loop: Header=BB951_15 Depth=1
	s_or_b64 exec, exec, s[6:7]
.LBB951_129:                            ;   in Loop: Header=BB951_15 Depth=1
	s_or_b64 exec, exec, s[4:5]
	v_cmp_lt_u32_e32 vcc, s15, v32
	v_mov_b32_e32 v37, 0
	v_mov_b32_e32 v38, 0
	s_and_saveexec_b64 s[4:5], vcc
	s_cbranch_execz .LBB951_135
; %bb.130:                              ;   in Loop: Header=BB951_15 Depth=1
	v_lshrrev_b32_e32 v34, 24, v32
	v_cmp_ne_u32_e32 vcc, s13, v34
	v_mov_b32_e32 v38, 0xffff8000
	s_and_saveexec_b64 s[6:7], vcc
	s_cbranch_execz .LBB951_134
; %bb.131:                              ;   in Loop: Header=BB951_15 Depth=1
	v_bfe_u32 v32, v32, 24, 7
	v_cmp_ne_u32_e32 vcc, s14, v32
	v_mov_b32_e32 v38, 0x7f80
	s_and_saveexec_b64 s[10:11], vcc
	s_cbranch_execz .LBB951_133
; %bb.132:                              ;   in Loop: Header=BB951_15 Depth=1
	v_and_b32_e32 v38, 7, v34
	v_ffbh_u32_e32 v42, v38
	v_min_u32_e32 v44, 32, v42
	v_subrev_u32_e32 v42, 28, v44
	v_lshlrev_b64 v[42:43], v42, v[34:35]
	v_lshrrev_b32_e32 v40, 3, v32
	v_sub_u32_e32 v43, 29, v44
	v_and_b32_e32 v42, 7, v42
	v_cmp_gt_u32_e32 vcc, 8, v32
	v_cndmask_b32_e32 v32, v40, v43, vcc
	v_cndmask_b32_e32 v38, v38, v42, vcc
	v_lshlrev_b32_e32 v34, 24, v34
	v_lshlrev_b32_e32 v38, 20, v38
	v_and_b32_e32 v34, 0x80000000, v34
	v_lshl_add_u32 v32, v32, 23, v33
	v_or3_b32 v32, v34, v32, v38
	v_lshrrev_b32_e32 v38, 16, v32
.LBB951_133:                            ;   in Loop: Header=BB951_15 Depth=1
	s_or_b64 exec, exec, s[10:11]
.LBB951_134:                            ;   in Loop: Header=BB951_15 Depth=1
	s_or_b64 exec, exec, s[6:7]
.LBB951_135:                            ;   in Loop: Header=BB951_15 Depth=1
	s_or_b64 exec, exec, s[4:5]
	s_waitcnt vmcnt(2)
	v_cmp_ne_u16_sdwa s[6:7], v30, v31 src0_sel:BYTE_0 src1_sel:DWORD
	s_and_saveexec_b64 s[4:5], s[6:7]
	s_cbranch_execz .LBB951_141
; %bb.136:                              ;   in Loop: Header=BB951_15 Depth=1
	v_cmp_ne_u16_sdwa s[10:11], v30, s13 src0_sel:BYTE_0 src1_sel:DWORD
	v_mov_b32_e32 v37, 0xffff8000
	s_and_saveexec_b64 s[6:7], s[10:11]
	s_cbranch_execz .LBB951_140
; %bb.137:                              ;   in Loop: Header=BB951_15 Depth=1
	v_and_b32_e32 v32, 0x7f, v30
	v_cmp_ne_u32_e32 vcc, s14, v32
	v_mov_b32_e32 v37, 0x7f80
	s_and_saveexec_b64 s[10:11], vcc
	s_cbranch_execz .LBB951_139
; %bb.138:                              ;   in Loop: Header=BB951_15 Depth=1
	v_and_b32_e32 v34, 7, v30
	v_ffbh_u32_e32 v40, v34
	v_min_u32_e32 v40, 32, v40
	v_subrev_u32_e32 v42, 28, v40
	v_lshlrev_b64 v[42:43], v42, v[30:31]
	v_lshrrev_b32_e32 v37, 3, v32
	v_sub_u32_e32 v40, 29, v40
	v_and_b32_e32 v42, 7, v42
	v_cmp_gt_u32_e32 vcc, 8, v32
	v_cndmask_b32_e32 v32, v37, v40, vcc
	v_cndmask_b32_e32 v34, v34, v42, vcc
	v_lshlrev_b32_e32 v37, 24, v30
	v_lshlrev_b32_e32 v34, 20, v34
	v_and_b32_e32 v37, 0x80000000, v37
	v_lshl_add_u32 v32, v32, 23, v33
	v_or3_b32 v32, v37, v32, v34
	v_lshrrev_b32_e32 v37, 16, v32
.LBB951_139:                            ;   in Loop: Header=BB951_15 Depth=1
	s_or_b64 exec, exec, s[10:11]
.LBB951_140:                            ;   in Loop: Header=BB951_15 Depth=1
	s_or_b64 exec, exec, s[6:7]
.LBB951_141:                            ;   in Loop: Header=BB951_15 Depth=1
	s_or_b64 exec, exec, s[4:5]
	v_lshrrev_b16_e32 v32, 8, v30
	v_cmp_ne_u16_e32 vcc, 0, v32
	v_mov_b32_e32 v42, 0
	v_mov_b32_e32 v40, 0
	s_and_saveexec_b64 s[4:5], vcc
	s_cbranch_execz .LBB951_147
; %bb.142:                              ;   in Loop: Header=BB951_15 Depth=1
	v_cmp_ne_u16_e32 vcc, s13, v32
	v_mov_b32_e32 v40, 0xffff8000
	s_and_saveexec_b64 s[6:7], vcc
	s_cbranch_execz .LBB951_146
; %bb.143:                              ;   in Loop: Header=BB951_15 Depth=1
	v_and_b32_e32 v34, 0x7f, v32
	v_cmp_ne_u32_e32 vcc, s14, v34
	v_mov_b32_e32 v40, 0x7f80
	s_and_saveexec_b64 s[10:11], vcc
	s_cbranch_execz .LBB951_145
; %bb.144:                              ;   in Loop: Header=BB951_15 Depth=1
	v_and_b32_e32 v40, 7, v32
	v_ffbh_u32_e32 v44, v40
	v_min_u32_e32 v46, 32, v44
	v_subrev_u32_e32 v44, 28, v46
	v_lshlrev_b64 v[44:45], v44, v[32:33]
	v_lshrrev_b32_e32 v43, 3, v34
	v_sub_u32_e32 v32, 29, v46
	v_and_b32_e32 v44, 7, v44
	v_cmp_gt_u32_e32 vcc, 8, v34
	v_cndmask_b32_e32 v32, v43, v32, vcc
	v_cndmask_b32_e32 v34, v40, v44, vcc
	v_lshlrev_b32_e32 v40, 16, v30
	v_lshlrev_b32_e32 v34, 20, v34
	v_and_b32_e32 v40, 0x80000000, v40
	v_lshl_add_u32 v32, v32, 23, v33
	v_or3_b32 v32, v40, v32, v34
	v_lshrrev_b32_e32 v40, 16, v32
.LBB951_145:                            ;   in Loop: Header=BB951_15 Depth=1
	s_or_b64 exec, exec, s[10:11]
.LBB951_146:                            ;   in Loop: Header=BB951_15 Depth=1
	s_or_b64 exec, exec, s[6:7]
.LBB951_147:                            ;   in Loop: Header=BB951_15 Depth=1
	s_or_b64 exec, exec, s[4:5]
	v_lshrrev_b32_e32 v32, 16, v30
	v_cmp_ne_u16_sdwa s[6:7], v32, v31 src0_sel:BYTE_0 src1_sel:DWORD
	s_and_saveexec_b64 s[4:5], s[6:7]
	s_cbranch_execz .LBB951_153
; %bb.148:                              ;   in Loop: Header=BB951_15 Depth=1
	v_cmp_ne_u16_sdwa s[10:11], v32, s13 src0_sel:BYTE_0 src1_sel:DWORD
	v_mov_b32_e32 v42, 0xffff8000
	s_and_saveexec_b64 s[6:7], s[10:11]
	s_cbranch_execz .LBB951_152
; %bb.149:                              ;   in Loop: Header=BB951_15 Depth=1
	v_bfe_u32 v34, v30, 16, 7
	v_cmp_ne_u32_e32 vcc, s14, v34
	v_mov_b32_e32 v42, 0x7f80
	s_and_saveexec_b64 s[10:11], vcc
	s_cbranch_execz .LBB951_151
; %bb.150:                              ;   in Loop: Header=BB951_15 Depth=1
	v_and_b32_e32 v44, 7, v32
	v_ffbh_u32_e32 v42, v44
	v_min_u32_e32 v46, 32, v42
	v_subrev_u32_e32 v42, 28, v46
	v_lshlrev_b64 v[42:43], v42, v[32:33]
	v_lshrrev_b32_e32 v45, 3, v34
	v_sub_u32_e32 v43, 29, v46
	v_and_b32_e32 v42, 7, v42
	v_cmp_gt_u32_e32 vcc, 8, v34
	v_cndmask_b32_e32 v34, v45, v43, vcc
	v_cndmask_b32_e32 v42, v44, v42, vcc
	v_lshlrev_b32_e32 v32, 24, v32
	v_lshlrev_b32_e32 v42, 20, v42
	v_and_b32_e32 v32, 0x80000000, v32
	v_lshl_add_u32 v34, v34, 23, v33
	v_or3_b32 v32, v32, v34, v42
	v_lshrrev_b32_e32 v42, 16, v32
.LBB951_151:                            ;   in Loop: Header=BB951_15 Depth=1
	s_or_b64 exec, exec, s[10:11]
.LBB951_152:                            ;   in Loop: Header=BB951_15 Depth=1
	s_or_b64 exec, exec, s[6:7]
.LBB951_153:                            ;   in Loop: Header=BB951_15 Depth=1
	s_or_b64 exec, exec, s[4:5]
	v_cmp_lt_u32_e32 vcc, s15, v30
	v_mov_b32_e32 v34, 0
	v_mov_b32_e32 v43, 0
	s_and_saveexec_b64 s[4:5], vcc
	s_cbranch_execz .LBB951_159
; %bb.154:                              ;   in Loop: Header=BB951_15 Depth=1
	v_lshrrev_b32_e32 v32, 24, v30
	v_cmp_ne_u32_e32 vcc, s13, v32
	v_mov_b32_e32 v43, 0xffff8000
	s_and_saveexec_b64 s[6:7], vcc
	s_cbranch_execz .LBB951_158
; %bb.155:                              ;   in Loop: Header=BB951_15 Depth=1
	v_bfe_u32 v30, v30, 24, 7
	v_cmp_ne_u32_e32 vcc, s14, v30
	v_mov_b32_e32 v43, 0x7f80
	s_and_saveexec_b64 s[10:11], vcc
	s_cbranch_execz .LBB951_157
; %bb.156:                              ;   in Loop: Header=BB951_15 Depth=1
	v_and_b32_e32 v43, 7, v32
	v_ffbh_u32_e32 v44, v43
	v_min_u32_e32 v47, 32, v44
	v_subrev_u32_e32 v44, 28, v47
	v_lshlrev_b64 v[44:45], v44, v[32:33]
	v_lshrrev_b32_e32 v46, 3, v30
	v_sub_u32_e32 v45, 29, v47
	v_and_b32_e32 v44, 7, v44
	v_cmp_gt_u32_e32 vcc, 8, v30
	v_cndmask_b32_e32 v30, v46, v45, vcc
	v_cndmask_b32_e32 v43, v43, v44, vcc
	v_lshlrev_b32_e32 v32, 24, v32
	v_lshlrev_b32_e32 v43, 20, v43
	v_and_b32_e32 v32, 0x80000000, v32
	v_lshl_add_u32 v30, v30, 23, v33
	v_or3_b32 v30, v32, v30, v43
	v_lshrrev_b32_e32 v43, 16, v30
.LBB951_157:                            ;   in Loop: Header=BB951_15 Depth=1
	s_or_b64 exec, exec, s[10:11]
.LBB951_158:                            ;   in Loop: Header=BB951_15 Depth=1
	s_or_b64 exec, exec, s[6:7]
.LBB951_159:                            ;   in Loop: Header=BB951_15 Depth=1
	s_or_b64 exec, exec, s[4:5]
	v_perm_b32 v45, v38, v36, s16
	v_perm_b32 v44, v35, v23, s16
	;; [unrolled: 1-line block ×4, first 2 shown]
	s_waitcnt vmcnt(1)
	v_cmp_ne_u16_sdwa s[6:7], v28, v31 src0_sel:BYTE_0 src1_sel:DWORD
	v_mfma_f32_16x16x16bf16_1k v[18:21], v[44:45], v[10:11], v[18:21]
	v_mfma_f32_16x16x16bf16_1k v[18:21], v[42:43], v[12:13], v[18:21]
	s_and_saveexec_b64 s[4:5], s[6:7]
	s_cbranch_execz .LBB951_165
; %bb.160:                              ;   in Loop: Header=BB951_15 Depth=1
	v_cmp_ne_u16_sdwa s[10:11], v28, s13 src0_sel:BYTE_0 src1_sel:DWORD
	v_mov_b32_e32 v34, 0xffff8000
	s_and_saveexec_b64 s[6:7], s[10:11]
	s_cbranch_execz .LBB951_164
; %bb.161:                              ;   in Loop: Header=BB951_15 Depth=1
	v_and_b32_e32 v23, 0x7f, v28
	v_cmp_ne_u32_e32 vcc, s14, v23
	v_mov_b32_e32 v34, 0x7f80
	s_and_saveexec_b64 s[10:11], vcc
	s_cbranch_execz .LBB951_163
; %bb.162:                              ;   in Loop: Header=BB951_15 Depth=1
	v_and_b32_e32 v30, 7, v28
	v_ffbh_u32_e32 v34, v30
	v_min_u32_e32 v36, 32, v34
	v_subrev_u32_e32 v34, 28, v36
	v_lshlrev_b64 v[34:35], v34, v[28:29]
	v_lshrrev_b32_e32 v32, 3, v23
	v_sub_u32_e32 v35, 29, v36
	v_and_b32_e32 v34, 7, v34
	v_cmp_gt_u32_e32 vcc, 8, v23
	v_cndmask_b32_e32 v23, v32, v35, vcc
	v_cndmask_b32_e32 v30, v30, v34, vcc
	v_lshlrev_b32_e32 v32, 24, v28
	v_lshlrev_b32_e32 v30, 20, v30
	v_and_b32_e32 v32, 0x80000000, v32
	v_lshl_add_u32 v23, v23, 23, v33
	v_or3_b32 v23, v32, v23, v30
	v_lshrrev_b32_e32 v34, 16, v23
.LBB951_163:                            ;   in Loop: Header=BB951_15 Depth=1
	s_or_b64 exec, exec, s[10:11]
.LBB951_164:                            ;   in Loop: Header=BB951_15 Depth=1
	s_or_b64 exec, exec, s[6:7]
.LBB951_165:                            ;   in Loop: Header=BB951_15 Depth=1
	s_or_b64 exec, exec, s[4:5]
	v_lshrrev_b16_e32 v30, 8, v28
	v_cmp_ne_u16_e32 vcc, 0, v30
	v_mov_b32_e32 v32, 0
	v_mov_b32_e32 v23, 0
	s_and_saveexec_b64 s[4:5], vcc
	s_cbranch_execz .LBB951_171
; %bb.166:                              ;   in Loop: Header=BB951_15 Depth=1
	v_cmp_ne_u16_e32 vcc, s13, v30
	v_mov_b32_e32 v23, 0xffff8000
	s_and_saveexec_b64 s[6:7], vcc
	s_cbranch_execz .LBB951_170
; %bb.167:                              ;   in Loop: Header=BB951_15 Depth=1
	v_and_b32_e32 v35, 0x7f, v30
	v_cmp_ne_u32_e32 vcc, s14, v35
	v_mov_b32_e32 v23, 0x7f80
	s_and_saveexec_b64 s[10:11], vcc
	s_cbranch_execz .LBB951_169
; %bb.168:                              ;   in Loop: Header=BB951_15 Depth=1
	v_and_b32_e32 v23, 7, v30
	v_ffbh_u32_e32 v36, v23
	v_min_u32_e32 v40, 32, v36
	v_subrev_u32_e32 v36, 28, v40
	v_lshlrev_b64 v[36:37], v36, v[30:31]
	v_lshrrev_b32_e32 v38, 3, v35
	v_sub_u32_e32 v30, 29, v40
	v_and_b32_e32 v36, 7, v36
	v_cmp_gt_u32_e32 vcc, 8, v35
	v_cndmask_b32_e32 v30, v38, v30, vcc
	v_cndmask_b32_e32 v23, v23, v36, vcc
	v_lshlrev_b32_e32 v35, 16, v28
	v_lshlrev_b32_e32 v23, 20, v23
	v_and_b32_e32 v35, 0x80000000, v35
	v_lshl_add_u32 v30, v30, 23, v33
	v_or3_b32 v23, v35, v30, v23
	v_lshrrev_b32_e32 v23, 16, v23
.LBB951_169:                            ;   in Loop: Header=BB951_15 Depth=1
	s_or_b64 exec, exec, s[10:11]
.LBB951_170:                            ;   in Loop: Header=BB951_15 Depth=1
	s_or_b64 exec, exec, s[6:7]
.LBB951_171:                            ;   in Loop: Header=BB951_15 Depth=1
	s_or_b64 exec, exec, s[4:5]
	v_lshrrev_b32_e32 v30, 16, v28
	v_cmp_ne_u16_sdwa s[6:7], v30, v31 src0_sel:BYTE_0 src1_sel:DWORD
	s_and_saveexec_b64 s[4:5], s[6:7]
	s_cbranch_execz .LBB951_177
; %bb.172:                              ;   in Loop: Header=BB951_15 Depth=1
	v_cmp_ne_u16_sdwa s[10:11], v30, s13 src0_sel:BYTE_0 src1_sel:DWORD
	v_mov_b32_e32 v32, 0xffff8000
	s_and_saveexec_b64 s[6:7], s[10:11]
	s_cbranch_execz .LBB951_176
; %bb.173:                              ;   in Loop: Header=BB951_15 Depth=1
	v_bfe_u32 v35, v28, 16, 7
	v_cmp_ne_u32_e32 vcc, s14, v35
	v_mov_b32_e32 v32, 0x7f80
	s_and_saveexec_b64 s[10:11], vcc
	s_cbranch_execz .LBB951_175
; %bb.174:                              ;   in Loop: Header=BB951_15 Depth=1
	v_and_b32_e32 v32, 7, v30
	v_ffbh_u32_e32 v36, v32
	v_min_u32_e32 v40, 32, v36
	v_subrev_u32_e32 v36, 28, v40
	v_lshlrev_b64 v[36:37], v36, v[30:31]
	v_lshrrev_b32_e32 v38, 3, v35
	v_sub_u32_e32 v37, 29, v40
	v_and_b32_e32 v36, 7, v36
	v_cmp_gt_u32_e32 vcc, 8, v35
	v_cndmask_b32_e32 v35, v38, v37, vcc
	v_cndmask_b32_e32 v32, v32, v36, vcc
	v_lshlrev_b32_e32 v30, 24, v30
	v_lshlrev_b32_e32 v32, 20, v32
	v_and_b32_e32 v30, 0x80000000, v30
	v_lshl_add_u32 v35, v35, 23, v33
	v_or3_b32 v30, v30, v35, v32
	v_lshrrev_b32_e32 v32, 16, v30
.LBB951_175:                            ;   in Loop: Header=BB951_15 Depth=1
	s_or_b64 exec, exec, s[10:11]
.LBB951_176:                            ;   in Loop: Header=BB951_15 Depth=1
	s_or_b64 exec, exec, s[6:7]
.LBB951_177:                            ;   in Loop: Header=BB951_15 Depth=1
	s_or_b64 exec, exec, s[4:5]
	v_cmp_lt_u32_e32 vcc, s15, v28
	v_mov_b32_e32 v35, 0
	v_mov_b32_e32 v36, 0
	s_and_saveexec_b64 s[4:5], vcc
	s_cbranch_execz .LBB951_183
; %bb.178:                              ;   in Loop: Header=BB951_15 Depth=1
	v_lshrrev_b32_e32 v30, 24, v28
	v_cmp_ne_u32_e32 vcc, s13, v30
	v_mov_b32_e32 v36, 0xffff8000
	s_and_saveexec_b64 s[6:7], vcc
	s_cbranch_execz .LBB951_182
; %bb.179:                              ;   in Loop: Header=BB951_15 Depth=1
	v_bfe_u32 v28, v28, 24, 7
	v_cmp_ne_u32_e32 vcc, s14, v28
	v_mov_b32_e32 v36, 0x7f80
	s_and_saveexec_b64 s[10:11], vcc
	s_cbranch_execz .LBB951_181
; %bb.180:                              ;   in Loop: Header=BB951_15 Depth=1
	v_and_b32_e32 v38, 7, v30
	v_ffbh_u32_e32 v36, v38
	v_min_u32_e32 v42, 32, v36
	v_subrev_u32_e32 v36, 28, v42
	v_lshlrev_b64 v[36:37], v36, v[30:31]
	v_lshrrev_b32_e32 v40, 3, v28
	v_sub_u32_e32 v37, 29, v42
	v_and_b32_e32 v36, 7, v36
	v_cmp_gt_u32_e32 vcc, 8, v28
	v_cndmask_b32_e32 v28, v40, v37, vcc
	v_cndmask_b32_e32 v36, v38, v36, vcc
	v_lshlrev_b32_e32 v30, 24, v30
	v_lshlrev_b32_e32 v36, 20, v36
	v_and_b32_e32 v30, 0x80000000, v30
	v_lshl_add_u32 v28, v28, 23, v33
	v_or3_b32 v28, v30, v28, v36
	v_lshrrev_b32_e32 v36, 16, v28
.LBB951_181:                            ;   in Loop: Header=BB951_15 Depth=1
	s_or_b64 exec, exec, s[10:11]
.LBB951_182:                            ;   in Loop: Header=BB951_15 Depth=1
	s_or_b64 exec, exec, s[6:7]
.LBB951_183:                            ;   in Loop: Header=BB951_15 Depth=1
	s_or_b64 exec, exec, s[4:5]
	s_waitcnt vmcnt(0)
	v_cmp_ne_u16_sdwa s[6:7], v26, v31 src0_sel:BYTE_0 src1_sel:DWORD
	s_and_saveexec_b64 s[4:5], s[6:7]
	s_cbranch_execz .LBB951_189
; %bb.184:                              ;   in Loop: Header=BB951_15 Depth=1
	v_cmp_ne_u16_sdwa s[10:11], v26, s13 src0_sel:BYTE_0 src1_sel:DWORD
	v_mov_b32_e32 v35, 0xffff8000
	s_and_saveexec_b64 s[6:7], s[10:11]
	s_cbranch_execz .LBB951_188
; %bb.185:                              ;   in Loop: Header=BB951_15 Depth=1
	v_and_b32_e32 v28, 0x7f, v26
	v_cmp_ne_u32_e32 vcc, s14, v28
	v_mov_b32_e32 v35, 0x7f80
	s_and_saveexec_b64 s[10:11], vcc
	s_cbranch_execz .LBB951_187
; %bb.186:                              ;   in Loop: Header=BB951_15 Depth=1
	v_and_b32_e32 v30, 7, v26
	v_ffbh_u32_e32 v37, v30
	v_min_u32_e32 v37, 32, v37
	v_subrev_u32_e32 v38, 28, v37
	v_lshlrev_b64 v[42:43], v38, v[26:27]
	v_lshrrev_b32_e32 v35, 3, v28
	v_sub_u32_e32 v37, 29, v37
	v_and_b32_e32 v38, 7, v42
	v_cmp_gt_u32_e32 vcc, 8, v28
	v_cndmask_b32_e32 v28, v35, v37, vcc
	v_cndmask_b32_e32 v30, v30, v38, vcc
	v_lshlrev_b32_e32 v35, 24, v26
	v_lshlrev_b32_e32 v30, 20, v30
	v_and_b32_e32 v35, 0x80000000, v35
	v_lshl_add_u32 v28, v28, 23, v33
	v_or3_b32 v28, v35, v28, v30
	v_lshrrev_b32_e32 v35, 16, v28
.LBB951_187:                            ;   in Loop: Header=BB951_15 Depth=1
	s_or_b64 exec, exec, s[10:11]
.LBB951_188:                            ;   in Loop: Header=BB951_15 Depth=1
	s_or_b64 exec, exec, s[6:7]
.LBB951_189:                            ;   in Loop: Header=BB951_15 Depth=1
	s_or_b64 exec, exec, s[4:5]
	v_lshrrev_b16_e32 v28, 8, v26
	v_cmp_ne_u16_e32 vcc, 0, v28
	v_mov_b32_e32 v37, 0
	v_mov_b32_e32 v30, 0
	s_and_saveexec_b64 s[4:5], vcc
	s_cbranch_execz .LBB951_195
; %bb.190:                              ;   in Loop: Header=BB951_15 Depth=1
	v_cmp_ne_u16_e32 vcc, s13, v28
	v_mov_b32_e32 v30, 0xffff8000
	s_and_saveexec_b64 s[6:7], vcc
	s_cbranch_execz .LBB951_194
; %bb.191:                              ;   in Loop: Header=BB951_15 Depth=1
	v_and_b32_e32 v38, 0x7f, v28
	v_cmp_ne_u32_e32 vcc, s14, v38
	v_mov_b32_e32 v30, 0x7f80
	s_and_saveexec_b64 s[10:11], vcc
	s_cbranch_execz .LBB951_193
; %bb.192:                              ;   in Loop: Header=BB951_15 Depth=1
	v_and_b32_e32 v30, 7, v28
	v_ffbh_u32_e32 v42, v30
	v_min_u32_e32 v44, 32, v42
	v_subrev_u32_e32 v42, 28, v44
	v_lshlrev_b64 v[42:43], v42, v[28:29]
	v_lshrrev_b32_e32 v40, 3, v38
	v_sub_u32_e32 v28, 29, v44
	v_and_b32_e32 v42, 7, v42
	v_cmp_gt_u32_e32 vcc, 8, v38
	v_cndmask_b32_e32 v28, v40, v28, vcc
	v_cndmask_b32_e32 v30, v30, v42, vcc
	v_lshlrev_b32_e32 v38, 16, v26
	v_lshlrev_b32_e32 v30, 20, v30
	v_and_b32_e32 v38, 0x80000000, v38
	v_lshl_add_u32 v28, v28, 23, v33
	v_or3_b32 v28, v38, v28, v30
	v_lshrrev_b32_e32 v30, 16, v28
.LBB951_193:                            ;   in Loop: Header=BB951_15 Depth=1
	s_or_b64 exec, exec, s[10:11]
.LBB951_194:                            ;   in Loop: Header=BB951_15 Depth=1
	s_or_b64 exec, exec, s[6:7]
.LBB951_195:                            ;   in Loop: Header=BB951_15 Depth=1
	s_or_b64 exec, exec, s[4:5]
	v_lshrrev_b32_e32 v28, 16, v26
	v_cmp_ne_u16_sdwa s[6:7], v28, v31 src0_sel:BYTE_0 src1_sel:DWORD
	s_and_saveexec_b64 s[4:5], s[6:7]
	s_cbranch_execz .LBB951_201
; %bb.196:                              ;   in Loop: Header=BB951_15 Depth=1
	v_cmp_ne_u16_sdwa s[10:11], v28, s13 src0_sel:BYTE_0 src1_sel:DWORD
	v_mov_b32_e32 v37, 0xffff8000
	s_and_saveexec_b64 s[6:7], s[10:11]
	s_cbranch_execz .LBB951_200
; %bb.197:                              ;   in Loop: Header=BB951_15 Depth=1
	v_bfe_u32 v38, v26, 16, 7
	v_cmp_ne_u32_e32 vcc, s14, v38
	v_mov_b32_e32 v37, 0x7f80
	s_and_saveexec_b64 s[10:11], vcc
	s_cbranch_execz .LBB951_199
; %bb.198:                              ;   in Loop: Header=BB951_15 Depth=1
	v_and_b32_e32 v37, 7, v28
	v_ffbh_u32_e32 v42, v37
	v_min_u32_e32 v44, 32, v42
	v_subrev_u32_e32 v42, 28, v44
	v_lshlrev_b64 v[42:43], v42, v[28:29]
	v_lshrrev_b32_e32 v40, 3, v38
	v_sub_u32_e32 v43, 29, v44
	v_and_b32_e32 v42, 7, v42
	v_cmp_gt_u32_e32 vcc, 8, v38
	v_cndmask_b32_e32 v38, v40, v43, vcc
	v_cndmask_b32_e32 v37, v37, v42, vcc
	v_lshlrev_b32_e32 v28, 24, v28
	v_lshlrev_b32_e32 v37, 20, v37
	v_and_b32_e32 v28, 0x80000000, v28
	v_lshl_add_u32 v38, v38, 23, v33
	v_or3_b32 v28, v28, v38, v37
	v_lshrrev_b32_e32 v37, 16, v28
.LBB951_199:                            ;   in Loop: Header=BB951_15 Depth=1
	s_or_b64 exec, exec, s[10:11]
.LBB951_200:                            ;   in Loop: Header=BB951_15 Depth=1
	s_or_b64 exec, exec, s[6:7]
.LBB951_201:                            ;   in Loop: Header=BB951_15 Depth=1
	s_or_b64 exec, exec, s[4:5]
	v_cmp_lt_u32_e32 vcc, s15, v26
	v_mov_b32_e32 v38, 0
	s_and_saveexec_b64 s[4:5], vcc
	s_cbranch_execz .LBB951_14
; %bb.202:                              ;   in Loop: Header=BB951_15 Depth=1
	v_lshrrev_b32_e32 v28, 24, v26
	v_cmp_ne_u32_e32 vcc, s13, v28
	v_mov_b32_e32 v38, 0xffff8000
	s_and_saveexec_b64 s[6:7], vcc
	s_cbranch_execz .LBB951_13
; %bb.203:                              ;   in Loop: Header=BB951_15 Depth=1
	v_bfe_u32 v26, v26, 24, 7
	v_cmp_ne_u32_e32 vcc, s14, v26
	v_mov_b32_e32 v38, 0x7f80
	s_and_saveexec_b64 s[10:11], vcc
	s_cbranch_execz .LBB951_12
; %bb.204:                              ;   in Loop: Header=BB951_15 Depth=1
	v_and_b32_e32 v38, 7, v28
	v_ffbh_u32_e32 v42, v38
	v_min_u32_e32 v44, 32, v42
	v_subrev_u32_e32 v42, 28, v44
	v_lshlrev_b64 v[42:43], v42, v[28:29]
	v_lshrrev_b32_e32 v40, 3, v26
	v_sub_u32_e32 v43, 29, v44
	v_and_b32_e32 v42, 7, v42
	v_cmp_gt_u32_e32 vcc, 8, v26
	v_cndmask_b32_e32 v26, v40, v43, vcc
	v_cndmask_b32_e32 v38, v38, v42, vcc
	v_lshlrev_b32_e32 v28, 24, v28
	v_lshlrev_b32_e32 v38, 20, v38
	v_and_b32_e32 v28, 0x80000000, v28
	v_lshl_add_u32 v26, v26, 23, v33
	v_or3_b32 v26, v28, v26, v38
	v_lshrrev_b32_e32 v38, 16, v26
	s_branch .LBB951_12
.LBB951_205:
	buffer_load_dword v13, off, s[0:3], 0 offset:256
	buffer_load_dword v14, off, s[0:3], 0 offset:260
	;; [unrolled: 1-line block ×16, first 2 shown]
	v_and_b32_e32 v12, 0xc0, v0
	v_add_u32_e32 v12, s20, v12
	v_lshl_or_b32 v12, v1, 2, v12
	v_or_b32_e32 v23, 1, v12
	v_mov_b32_e32 v19, 0xff7fffff
	v_or_b32_e32 v24, 2, v12
	v_or_b32_e32 v25, 3, v12
	v_cmp_gt_i32_e64 s[26:27], s33, v12
	v_cmp_gt_i32_e64 s[28:29], s33, v23
	s_mov_b32 s52, 0xff7fffff
	v_or_b32_e32 v26, 16, v12
	v_or_b32_e32 v27, 17, v12
	;; [unrolled: 1-line block ×12, first 2 shown]
	v_cmp_gt_i32_e64 s[30:31], s33, v24
	v_cmp_gt_i32_e64 s[34:35], s33, v25
	v_mbcnt_lo_u32_b32 v20, -1, 0
	v_cmp_gt_i32_e64 s[36:37], s33, v26
	v_cmp_gt_i32_e64 s[38:39], s33, v27
	v_mbcnt_hi_u32_b32 v20, -1, v20
	v_cmp_gt_i32_e64 s[20:21], s33, v28
	v_cmp_gt_i32_e64 s[22:23], s33, v29
	v_and_b32_e32 v21, 64, v20
	v_cmp_gt_i32_e64 s[16:17], s33, v30
	v_cmp_gt_i32_e64 s[18:19], s33, v31
	v_xor_b32_e32 v22, 32, v20
	v_add_u32_e32 v21, 64, v21
	v_cmp_gt_i32_e64 s[12:13], s33, v32
	v_cmp_gt_i32_e64 s[14:15], s33, v33
	v_cmp_lt_i32_e32 vcc, v22, v21
	v_cmp_gt_i32_e64 s[6:7], s33, v34
	v_cmp_gt_i32_e64 s[10:11], s33, v35
	v_cndmask_b32_e32 v22, v20, v22, vcc
	v_cmp_gt_i32_e32 vcc, s33, v36
	v_cmp_gt_i32_e64 s[4:5], s33, v37
	v_lshlrev_b32_e32 v22, 2, v22
	s_waitcnt vmcnt(15)
	v_cndmask_b32_e64 v12, v19, v13, s[26:27]
	s_waitcnt vmcnt(14)
	v_cndmask_b32_e64 v23, v19, v14, s[28:29]
	;; [unrolled: 2-line block ×4, first 2 shown]
	v_max3_f32 v12, v12, s52, v23
	s_waitcnt vmcnt(11)
	v_cndmask_b32_e64 v26, v19, v17, s[36:37]
	s_waitcnt vmcnt(10)
	v_cndmask_b32_e64 v27, v19, v18, s[38:39]
	v_max3_f32 v12, v12, v24, v25
	s_waitcnt vmcnt(9)
	v_cndmask_b32_e64 v28, v19, v11, s[20:21]
	s_waitcnt vmcnt(8)
	v_cndmask_b32_e64 v29, v19, v10, s[22:23]
	;; [unrolled: 5-line block ×5, first 2 shown]
	v_max3_f32 v12, v12, v32, v33
	s_waitcnt vmcnt(1)
	v_cndmask_b32_e32 v36, v19, v3, vcc
	s_waitcnt vmcnt(0)
	v_cndmask_b32_e64 v19, v19, v2, s[4:5]
	v_max3_f32 v12, v12, v34, v35
	v_max3_f32 v12, v12, v36, v19
	ds_bpermute_b32 v19, v22, v12
	v_xor_b32_e32 v23, 16, v20
	v_cmp_lt_i32_e64 s[40:41], v23, v21
	v_cndmask_b32_e64 v20, v20, v23, s[40:41]
	v_lshlrev_b32_e32 v20, 2, v20
	s_waitcnt lgkmcnt(0)
	v_max_f32_e32 v19, v19, v19
	v_max_f32_e32 v12, v12, v19
	ds_bpermute_b32 v19, v20, v12
	s_waitcnt lgkmcnt(0)
	v_max_f32_e32 v19, v19, v19
	v_max_f32_e32 v12, v12, v19
	v_sub_f32_e32 v13, v13, v12
	v_sub_f32_e32 v14, v14, v12
	;; [unrolled: 1-line block ×3, first 2 shown]
	v_mul_f32_e32 v13, 0x3fb8aa3b, v13
	v_mul_f32_e32 v14, 0x3fb8aa3b, v14
	;; [unrolled: 1-line block ×3, first 2 shown]
	v_exp_f32_e32 v13, v13
	v_exp_f32_e32 v14, v14
	;; [unrolled: 1-line block ×3, first 2 shown]
	v_sub_f32_e32 v16, v16, v12
	v_cndmask_b32_e64 v13, 0, v13, s[26:27]
	v_mul_f32_e32 v16, 0x3fb8aa3b, v16
	v_cndmask_b32_e64 v14, 0, v14, s[28:29]
	v_cndmask_b32_e64 v15, 0, v15, s[30:31]
	v_add_f32_e32 v19, 0, v13
	buffer_store_dword v13, off, s[0:3], 0 offset:256
	buffer_store_dword v14, off, s[0:3], 0 offset:260
	;; [unrolled: 1-line block ×3, first 2 shown]
	v_sub_f32_e32 v13, v17, v12
	v_exp_f32_e32 v16, v16
	v_add_f32_e32 v19, v19, v14
	v_mul_f32_e32 v13, 0x3fb8aa3b, v13
	v_sub_f32_e32 v14, v18, v12
	v_exp_f32_e32 v13, v13
	v_mul_f32_e32 v14, 0x3fb8aa3b, v14
	v_sub_f32_e32 v11, v11, v12
	v_exp_f32_e32 v14, v14
	;; [unrolled: 3-line block ×3, first 2 shown]
	v_mul_f32_e32 v10, 0x3fb8aa3b, v10
	v_sub_f32_e32 v9, v9, v12
	v_cndmask_b32_e64 v16, 0, v16, s[34:35]
	v_add_f32_e32 v19, v19, v15
	v_exp_f32_e32 v10, v10
	v_mul_f32_e32 v9, 0x3fb8aa3b, v9
	v_sub_f32_e32 v8, v8, v12
	v_add_f32_e32 v19, v19, v16
	v_cndmask_b32_e64 v13, 0, v13, s[36:37]
	v_exp_f32_e32 v9, v9
	v_mul_f32_e32 v8, 0x3fb8aa3b, v8
	v_sub_f32_e32 v7, v7, v12
	v_add_f32_e32 v15, v19, v13
	v_cndmask_b32_e64 v14, 0, v14, s[38:39]
	v_exp_f32_e32 v8, v8
	v_mul_f32_e32 v7, 0x3fb8aa3b, v7
	v_sub_f32_e32 v6, v6, v12
	v_add_f32_e32 v15, v15, v14
	v_cndmask_b32_e64 v11, 0, v11, s[20:21]
	v_exp_f32_e32 v7, v7
	v_mul_f32_e32 v6, 0x3fb8aa3b, v6
	v_sub_f32_e32 v5, v5, v12
	v_add_f32_e32 v15, v15, v11
	v_cndmask_b32_e64 v10, 0, v10, s[22:23]
	v_exp_f32_e32 v6, v6
	v_mul_f32_e32 v5, 0x3fb8aa3b, v5
	v_sub_f32_e32 v4, v4, v12
	v_add_f32_e32 v15, v15, v10
	v_cndmask_b32_e64 v9, 0, v9, s[16:17]
	v_exp_f32_e32 v5, v5
	v_mul_f32_e32 v4, 0x3fb8aa3b, v4
	v_sub_f32_e32 v3, v3, v12
	buffer_store_dword v16, off, s[0:3], 0 offset:268
	buffer_store_dword v13, off, s[0:3], 0 offset:272
	;; [unrolled: 1-line block ×5, first 2 shown]
	v_add_f32_e32 v10, v15, v9
	v_cndmask_b32_e64 v8, 0, v8, s[18:19]
	v_exp_f32_e32 v4, v4
	v_mul_f32_e32 v3, 0x3fb8aa3b, v3
	v_sub_f32_e32 v2, v2, v12
	v_add_f32_e32 v10, v10, v8
	v_cndmask_b32_e64 v7, 0, v7, s[12:13]
	v_exp_f32_e32 v3, v3
	v_mul_f32_e32 v2, 0x3fb8aa3b, v2
	v_add_f32_e32 v10, v10, v7
	v_cndmask_b32_e64 v6, 0, v6, s[14:15]
	v_exp_f32_e32 v2, v2
	v_add_f32_e32 v10, v10, v6
	v_cndmask_b32_e64 v5, 0, v5, s[6:7]
	buffer_store_dword v9, off, s[0:3], 0 offset:288
	buffer_store_dword v8, off, s[0:3], 0 offset:292
	;; [unrolled: 1-line block ×4, first 2 shown]
	v_add_f32_e32 v6, v10, v5
	v_cndmask_b32_e64 v4, 0, v4, s[10:11]
	v_add_f32_e32 v6, v6, v4
	v_cndmask_b32_e32 v3, 0, v3, vcc
	v_add_f32_e32 v6, v6, v3
	v_cndmask_b32_e64 v2, 0, v2, s[4:5]
	v_add_f32_e32 v6, v6, v2
	ds_bpermute_b32 v7, v22, v6
	buffer_store_dword v5, off, s[0:3], 0 offset:304
	buffer_store_dword v4, off, s[0:3], 0 offset:308
	;; [unrolled: 1-line block ×4, first 2 shown]
	v_cmp_gt_u32_e32 vcc, 16, v64
	s_waitcnt lgkmcnt(0)
	s_barrier
	v_add_f32_e32 v2, v6, v7
	ds_bpermute_b32 v3, v20, v2
	s_waitcnt lgkmcnt(0)
	s_and_saveexec_b64 s[4:5], vcc
	s_cbranch_execz .LBB951_207
; %bb.206:
	v_add_f32_e32 v2, v2, v3
	v_lshlrev_b32_e32 v3, 2, v63
	ds_write2st64_b32 v3, v12, v2 offset1:1
.LBB951_207:
	s_or_b64 exec, exec, s[4:5]
	v_lshlrev_b32_e32 v2, 2, v55
	s_waitcnt lgkmcnt(0)
	s_barrier
	ds_read2_b32 v[14:15], v2 offset1:16
	ds_read2_b32 v[16:17], v2 offset0:32 offset1:48
	ds_read2_b32 v[6:7], v2 offset0:64 offset1:80
	;; [unrolled: 1-line block ×3, first 2 shown]
	s_waitcnt lgkmcnt(0)
	s_barrier
	buffer_load_dword v22, off, s[0:3], 0 offset:264
	buffer_load_dword v23, off, s[0:3], 0 offset:268
	;; [unrolled: 1-line block ×16, first 2 shown]
	v_max3_f32 v20, v14, s52, v15
	v_max3_f32 v20, v20, v16, v17
	v_sub_f32_e32 v14, v14, v20
	v_sub_f32_e32 v15, v15, v20
	v_mul_f32_e32 v14, 0x3fb8aa3b, v14
	v_sub_f32_e32 v16, v16, v20
	v_mul_f32_e32 v15, 0x3fb8aa3b, v15
	v_exp_f32_e32 v14, v14
	v_sub_f32_e32 v17, v17, v20
	v_mul_f32_e32 v16, 0x3fb8aa3b, v16
	v_exp_f32_e32 v15, v15
	v_mul_f32_e32 v17, 0x3fb8aa3b, v17
	v_exp_f32_e32 v16, v16
	v_exp_f32_e32 v17, v17
	v_fma_f32 v6, v14, v6, 0
	v_fmac_f32_e32 v6, v15, v7
	v_fmac_f32_e32 v6, v16, v12
	;; [unrolled: 1-line block ×3, first 2 shown]
	v_cmp_eq_u32_e32 vcc, 1, v62
	v_add_f32_e32 v12, 0x358637bd, v6
	v_cndmask_b32_e32 v14, v14, v15, vcc
	v_cmp_eq_u32_e32 vcc, 2, v62
	v_div_scale_f32 v13, s[4:5], v12, v12, 1.0
	v_cndmask_b32_e32 v7, v14, v16, vcc
	v_rcp_f32_e32 v14, v13
	v_cmp_eq_u32_e32 vcc, 3, v62
	v_cndmask_b32_e32 v7, v7, v17, vcc
	v_div_scale_f32 v15, vcc, 1.0, v12, 1.0
	v_fma_f32 v16, -v13, v14, 1.0
	v_fmac_f32_e32 v14, v16, v14
	v_mul_f32_e32 v16, v15, v14
	v_fma_f32 v17, -v13, v16, v15
	v_fmac_f32_e32 v16, v17, v14
	v_fma_f32 v13, -v13, v16, v15
	v_div_fmas_f32 v13, v13, v14, v16
	v_div_fixup_f32 v12, v13, v12, 1.0
	v_mul_f32_e32 v12, v7, v12
	s_movk_i32 s19, 0x7fff
	s_mov_b32 s20, 0x7060302
	s_mul_i32 s18, s51, 10
	v_cmp_gt_u32_e32 vcc, 10, v0
	s_waitcnt vmcnt(14)
	v_pk_mul_f32 v[14:15], v[12:13], v[22:23] op_sel_hi:[0,1]
	v_bfe_u32 v21, v15, 16, 1
	s_waitcnt vmcnt(12)
	v_pk_mul_f32 v[16:17], v[12:13], v[24:25] op_sel_hi:[0,1]
	v_bfe_u32 v7, v17, 16, 1
	v_bfe_u32 v13, v16, 16, 1
	;; [unrolled: 1-line block ×3, first 2 shown]
	v_add3_u32 v13, v16, v13, s19
	v_add3_u32 v7, v17, v7, s19
	buffer_store_dword v16, off, s[0:3], 0 offset:256
	buffer_store_dword v17, off, s[0:3], 0 offset:260
	;; [unrolled: 1-line block ×4, first 2 shown]
	v_add3_u32 v16, v14, v22, s19
	v_add3_u32 v15, v15, v21, s19
	v_perm_b32 v14, v7, v13, s20
	v_lshlrev_b32_e32 v13, 3, v1
	v_perm_b32 v15, v15, v16, s20
	v_lshlrev_b32_e32 v7, 5, v55
	v_lshlrev_b32_e32 v16, 11, v62
	s_waitcnt vmcnt(12)
	v_pk_mul_f32 v[8:9], v[12:13], v[8:9] op_sel_hi:[0,1]
	v_or3_b32 v43, v16, v7, v13
	v_pk_mul_f32 v[10:11], v[12:13], v[10:11] op_sel_hi:[0,1]
	v_bfe_u32 v13, v9, 16, 1
	v_bfe_u32 v16, v8, 16, 1
	buffer_store_dword v8, off, s[0:3], 0 offset:272
	buffer_store_dword v9, off, s[0:3], 0 offset:276
	;; [unrolled: 1-line block ×4, first 2 shown]
	v_add3_u32 v8, v8, v16, s19
	v_add3_u32 v9, v9, v13, s19
	v_perm_b32 v8, v9, v8, s20
	v_bfe_u32 v9, v11, 16, 1
	v_bfe_u32 v13, v10, 16, 1
	v_add3_u32 v10, v10, v13, s19
	v_add3_u32 v9, v11, v9, s19
	v_perm_b32 v9, v9, v10, s20
	s_waitcnt vmcnt(14)
	v_pk_mul_f32 v[10:11], v[12:13], v[18:19] op_sel_hi:[0,1]
	ds_write2st64_b64 v43, v[14:15], v[8:9] offset1:1
	s_waitcnt vmcnt(12)
	v_pk_mul_f32 v[8:9], v[12:13], v[26:27] op_sel_hi:[0,1]
	v_bfe_u32 v13, v11, 16, 1
	v_bfe_u32 v14, v10, 16, 1
	buffer_store_dword v10, off, s[0:3], 0 offset:288
	buffer_store_dword v11, off, s[0:3], 0 offset:292
	;; [unrolled: 1-line block ×4, first 2 shown]
	v_add3_u32 v10, v10, v14, s19
	v_add3_u32 v11, v11, v13, s19
	v_perm_b32 v10, v11, v10, s20
	v_bfe_u32 v11, v9, 16, 1
	v_bfe_u32 v13, v8, 16, 1
	v_add3_u32 v8, v8, v13, s19
	v_add3_u32 v9, v9, v11, s19
	s_waitcnt vmcnt(14)
	v_pk_mul_f32 v[2:3], v[12:13], v[2:3] op_sel_hi:[0,1]
	v_perm_b32 v11, v9, v8, s20
	v_bfe_u32 v8, v3, 16, 1
	v_bfe_u32 v9, v2, 16, 1
	s_waitcnt vmcnt(12)
	v_pk_mul_f32 v[4:5], v[12:13], v[4:5] op_sel_hi:[0,1]
	buffer_store_dword v2, off, s[0:3], 0 offset:304
	buffer_store_dword v3, off, s[0:3], 0 offset:308
	;; [unrolled: 1-line block ×4, first 2 shown]
	v_add3_u32 v2, v2, v9, s19
	v_add3_u32 v3, v3, v8, s19
	v_perm_b32 v2, v3, v2, s20
	v_bfe_u32 v3, v5, 16, 1
	v_bfe_u32 v8, v4, 16, 1
	v_add3_u32 v4, v4, v8, s19
	v_add3_u32 v3, v5, v3, s19
	v_perm_b32 v3, v3, v4, s20
	ds_write2st64_b64 v43, v[10:11], v[2:3] offset0:2 offset1:3
	s_and_saveexec_b64 s[4:5], vcc
	s_cbranch_execz .LBB951_209
; %bb.208:
	v_add_co_u32_e32 v4, vcc, s25, v55
	v_addc_co_u32_e64 v5, s[6:7], 0, 0, vcc
	v_mov_b32_e32 v2, s18
	v_mad_u64_u32 v[4:5], s[6:7], s8, v2, v[4:5]
	v_mov_b32_e32 v3, 0
	s_mul_i32 s6, s9, s18
	v_mov_b32_e32 v2, s24
	v_add_u32_e32 v5, s6, v5
	v_mad_u64_u32 v[2:3], s[6:7], v4, s50, v[2:3]
	v_mov_b32_e32 v4, v3
	v_mad_u64_u32 v[4:5], s[6:7], v5, s50, v[4:5]
	v_mov_b32_e32 v3, v4
	v_lshlrev_b64 v[2:3], 2, v[2:3]
	v_mov_b32_e32 v5, s47
	v_add_co_u32_e32 v4, vcc, s46, v2
	v_addc_co_u32_e32 v5, vcc, v5, v3, vcc
	global_store_dword v[4:5], v20, off
	v_mov_b32_e32 v4, s45
	v_add_co_u32_e32 v2, vcc, s44, v2
	v_addc_co_u32_e32 v3, vcc, v4, v3, vcc
	global_store_dword v[2:3], v6, off
.LBB951_209:
	s_or_b64 exec, exec, s[4:5]
	v_lshl_or_b32 v30, v1, 9, v7
	s_waitcnt lgkmcnt(0)
	s_barrier
	s_load_dword s4, s[42:43], 0x0
	ds_read_b128 v[2:5], v30
	ds_read_b128 v[6:9], v30 offset:16
	ds_read_b128 v[10:13], v30 offset:2048
	ds_read_b128 v[14:17], v30 offset:2064
	ds_read_b128 v[18:21], v30 offset:4096
	ds_read_b128 v[22:25], v30 offset:4112
	ds_read_b128 v[26:29], v30 offset:6144
	ds_read_b128 v[30:33], v30 offset:6160
	v_mov_b32_e32 v35, 0x80
	v_mov_b32_e32 v45, 0x140
	s_mov_b64 s[10:11], -1
	s_waitcnt lgkmcnt(0)
	s_mov_b32 s5, s4
	s_mov_b32 s6, s4
	;; [unrolled: 1-line block ×3, first 2 shown]
	s_movk_i32 s9, 0x80
	s_movk_i32 s21, 0x7f
	s_mov_b32 s22, 0xffffff
	s_mov_b32 s23, 0x5040100
	v_mov_b32_e32 v47, 0
	v_bfrev_b32_e32 v48, 60
	s_branch .LBB951_213
.LBB951_210:                            ;   in Loop: Header=BB951_213 Depth=1
	s_or_b64 exec, exec, s[16:17]
.LBB951_211:                            ;   in Loop: Header=BB951_213 Depth=1
	s_or_b64 exec, exec, s[14:15]
.LBB951_212:                            ;   in Loop: Header=BB951_213 Depth=1
	s_or_b64 exec, exec, s[12:13]
	v_perm_b32 v61, v50, v46, s23
	v_perm_b32 v60, v44, v41, s23
	s_xor_b64 s[12:13], s[10:11], -1
	s_mov_b64 s[10:11], 0
	s_and_b64 vcc, exec, s[12:13]
	v_mfma_f32_16x16x16bf16_1k v[62:65], v[60:61], v[30:31], v[34:37]
	v_mov_b32_e32 v61, v58
	v_mov_b32_e32 v60, v59
	s_nop 4
	v_perm_b32 v37, v52, v51, s23
	v_perm_b32 v36, v42, v49, s23
	v_mov_b32_e32 v35, v57
	s_nop 0
	v_mfma_f32_16x16x16bf16_1k v[50:53], v[36:37], v[32:33], v[62:65]
	s_nop 7
	s_nop 2
	v_pk_mul_f32 v[40:41], v[50:51], s[4:5]
	v_pk_mul_f32 v[36:37], v[52:53], s[6:7]
	v_bfe_u32 v34, v41, 16, 1
	v_bfe_u32 v38, v40, 16, 1
	;; [unrolled: 1-line block ×4, first 2 shown]
	v_add3_u32 v38, v40, v38, s19
	v_add3_u32 v34, v41, v34, s19
	;; [unrolled: 1-line block ×4, first 2 shown]
	v_perm_b32 v34, v34, v38, s20
	v_perm_b32 v36, v37, v36, s20
	buffer_store_dword v34, v45, s[0:3], 0 offen
	buffer_store_dword v36, v45, s[0:3], 0 offen offset:4
	v_mov_b32_e32 v45, 0x148
	v_mov_b32_e32 v41, v39
	s_cbranch_vccnz .LBB951_595
.LBB951_213:                            ; =>This Inner Loop Header: Depth=1
	buffer_load_dword v36, v35, s[0:3], 0 offen
	buffer_load_dword v34, v35, s[0:3], 0 offen offset:4
	buffer_load_dword v40, v35, s[0:3], 0 offen offset:8
	;; [unrolled: 1-line block ×3, first 2 shown]
	v_mov_b32_e32 v35, 0
	s_waitcnt vmcnt(3)
	v_cmp_ne_u16_sdwa s[14:15], v36, v47 src0_sel:BYTE_0 src1_sel:DWORD
	s_and_saveexec_b64 s[12:13], s[14:15]
	s_cbranch_execz .LBB951_219
; %bb.214:                              ;   in Loop: Header=BB951_213 Depth=1
	v_cmp_ne_u16_sdwa s[16:17], v36, s9 src0_sel:BYTE_0 src1_sel:DWORD
	v_mov_b32_e32 v35, 0xffff8000
	s_and_saveexec_b64 s[14:15], s[16:17]
	s_cbranch_execz .LBB951_218
; %bb.215:                              ;   in Loop: Header=BB951_213 Depth=1
	v_and_b32_e32 v37, 0x7f, v36
	v_cmp_ne_u32_e32 vcc, s21, v37
	v_mov_b32_e32 v35, 0x7f80
	s_and_saveexec_b64 s[16:17], vcc
	s_cbranch_execz .LBB951_217
; %bb.216:                              ;   in Loop: Header=BB951_213 Depth=1
	v_and_b32_e32 v35, 7, v36
	v_ffbh_u32_e32 v44, v35
	v_min_u32_e32 v44, 32, v44
	v_subrev_u32_e32 v46, 28, v44
	v_lshlrev_b64 v[50:51], v46, v[36:37]
	v_lshrrev_b32_e32 v42, 3, v37
	v_sub_u32_e32 v44, 29, v44
	v_and_b32_e32 v46, 7, v50
	v_cmp_gt_u32_e32 vcc, 8, v37
	v_cndmask_b32_e32 v37, v42, v44, vcc
	v_cndmask_b32_e32 v35, v35, v46, vcc
	v_lshlrev_b32_e32 v42, 24, v36
	v_lshlrev_b32_e32 v35, 20, v35
	v_and_b32_e32 v42, 0x80000000, v42
	v_lshl_add_u32 v37, v37, 23, v48
	v_or3_b32 v35, v42, v37, v35
	v_lshrrev_b32_e32 v35, 16, v35
.LBB951_217:                            ;   in Loop: Header=BB951_213 Depth=1
	s_or_b64 exec, exec, s[16:17]
.LBB951_218:                            ;   in Loop: Header=BB951_213 Depth=1
	s_or_b64 exec, exec, s[14:15]
.LBB951_219:                            ;   in Loop: Header=BB951_213 Depth=1
	s_or_b64 exec, exec, s[12:13]
	v_lshrrev_b16_e32 v42, 8, v36
	v_cmp_ne_u16_e32 vcc, 0, v42
	v_mov_b32_e32 v46, 0
	v_mov_b32_e32 v37, 0
	s_and_saveexec_b64 s[12:13], vcc
	s_cbranch_execz .LBB951_225
; %bb.220:                              ;   in Loop: Header=BB951_213 Depth=1
	v_cmp_ne_u16_e32 vcc, s9, v42
	v_mov_b32_e32 v37, 0xffff8000
	s_and_saveexec_b64 s[14:15], vcc
	s_cbranch_execz .LBB951_224
; %bb.221:                              ;   in Loop: Header=BB951_213 Depth=1
	v_and_b32_e32 v44, 0x7f, v42
	v_cmp_ne_u32_e32 vcc, s21, v44
	v_mov_b32_e32 v37, 0x7f80
	s_and_saveexec_b64 s[16:17], vcc
	s_cbranch_execz .LBB951_223
; %bb.222:                              ;   in Loop: Header=BB951_213 Depth=1
	v_and_b32_e32 v37, 7, v42
	v_ffbh_u32_e32 v50, v37
	v_min_u32_e32 v52, 32, v50
	v_subrev_u32_e32 v50, 28, v52
	v_lshlrev_b64 v[50:51], v50, v[42:43]
	v_lshrrev_b32_e32 v49, 3, v44
	v_sub_u32_e32 v42, 29, v52
	v_and_b32_e32 v50, 7, v50
	v_cmp_gt_u32_e32 vcc, 8, v44
	v_cndmask_b32_e32 v42, v49, v42, vcc
	v_cndmask_b32_e32 v37, v37, v50, vcc
	v_lshlrev_b32_e32 v44, 16, v36
	v_lshlrev_b32_e32 v37, 20, v37
	v_and_b32_e32 v44, 0x80000000, v44
	v_lshl_add_u32 v42, v42, 23, v48
	v_or3_b32 v37, v44, v42, v37
	v_lshrrev_b32_e32 v37, 16, v37
.LBB951_223:                            ;   in Loop: Header=BB951_213 Depth=1
	s_or_b64 exec, exec, s[16:17]
.LBB951_224:                            ;   in Loop: Header=BB951_213 Depth=1
	s_or_b64 exec, exec, s[14:15]
.LBB951_225:                            ;   in Loop: Header=BB951_213 Depth=1
	s_or_b64 exec, exec, s[12:13]
	v_lshrrev_b32_e32 v42, 16, v36
	v_cmp_ne_u16_sdwa s[14:15], v42, v47 src0_sel:BYTE_0 src1_sel:DWORD
	s_and_saveexec_b64 s[12:13], s[14:15]
	s_cbranch_execz .LBB951_231
; %bb.226:                              ;   in Loop: Header=BB951_213 Depth=1
	v_cmp_ne_u16_sdwa s[16:17], v42, s9 src0_sel:BYTE_0 src1_sel:DWORD
	v_mov_b32_e32 v46, 0xffff8000
	s_and_saveexec_b64 s[14:15], s[16:17]
	s_cbranch_execz .LBB951_230
; %bb.227:                              ;   in Loop: Header=BB951_213 Depth=1
	v_bfe_u32 v44, v36, 16, 7
	v_cmp_ne_u32_e32 vcc, s21, v44
	v_mov_b32_e32 v46, 0x7f80
	s_and_saveexec_b64 s[16:17], vcc
	s_cbranch_execz .LBB951_229
; %bb.228:                              ;   in Loop: Header=BB951_213 Depth=1
	v_and_b32_e32 v46, 7, v42
	v_ffbh_u32_e32 v50, v46
	v_min_u32_e32 v52, 32, v50
	v_subrev_u32_e32 v50, 28, v52
	v_lshlrev_b64 v[50:51], v50, v[42:43]
	v_lshrrev_b32_e32 v49, 3, v44
	v_sub_u32_e32 v51, 29, v52
	v_and_b32_e32 v50, 7, v50
	v_cmp_gt_u32_e32 vcc, 8, v44
	v_cndmask_b32_e32 v44, v49, v51, vcc
	v_cndmask_b32_e32 v46, v46, v50, vcc
	v_lshlrev_b32_e32 v42, 24, v42
	v_lshlrev_b32_e32 v46, 20, v46
	v_and_b32_e32 v42, 0x80000000, v42
	v_lshl_add_u32 v44, v44, 23, v48
	v_or3_b32 v42, v42, v44, v46
	v_lshrrev_b32_e32 v46, 16, v42
.LBB951_229:                            ;   in Loop: Header=BB951_213 Depth=1
	s_or_b64 exec, exec, s[16:17]
.LBB951_230:                            ;   in Loop: Header=BB951_213 Depth=1
	s_or_b64 exec, exec, s[14:15]
.LBB951_231:                            ;   in Loop: Header=BB951_213 Depth=1
	s_or_b64 exec, exec, s[12:13]
	v_cmp_lt_u32_e32 vcc, s22, v36
	v_mov_b32_e32 v49, 0
	v_mov_b32_e32 v50, 0
	s_and_saveexec_b64 s[12:13], vcc
	s_cbranch_execz .LBB951_237
; %bb.232:                              ;   in Loop: Header=BB951_213 Depth=1
	v_lshrrev_b32_e32 v42, 24, v36
	v_cmp_ne_u32_e32 vcc, s9, v42
	v_mov_b32_e32 v50, 0xffff8000
	s_and_saveexec_b64 s[14:15], vcc
	s_cbranch_execz .LBB951_236
; %bb.233:                              ;   in Loop: Header=BB951_213 Depth=1
	v_bfe_u32 v36, v36, 24, 7
	v_cmp_ne_u32_e32 vcc, s21, v36
	v_mov_b32_e32 v50, 0x7f80
	s_and_saveexec_b64 s[16:17], vcc
	s_cbranch_execz .LBB951_235
; %bb.234:                              ;   in Loop: Header=BB951_213 Depth=1
	v_and_b32_e32 v44, 7, v42
	v_ffbh_u32_e32 v50, v44
	v_min_u32_e32 v53, 32, v50
	v_subrev_u32_e32 v50, 28, v53
	v_lshlrev_b64 v[50:51], v50, v[42:43]
	v_lshrrev_b32_e32 v52, 3, v36
	v_sub_u32_e32 v51, 29, v53
	v_and_b32_e32 v50, 7, v50
	v_cmp_gt_u32_e32 vcc, 8, v36
	v_cndmask_b32_e32 v36, v52, v51, vcc
	v_cndmask_b32_e32 v44, v44, v50, vcc
	v_lshlrev_b32_e32 v42, 24, v42
	v_lshlrev_b32_e32 v44, 20, v44
	v_and_b32_e32 v42, 0x80000000, v42
	v_lshl_add_u32 v36, v36, 23, v48
	v_or3_b32 v36, v42, v36, v44
	v_lshrrev_b32_e32 v50, 16, v36
.LBB951_235:                            ;   in Loop: Header=BB951_213 Depth=1
	s_or_b64 exec, exec, s[16:17]
.LBB951_236:                            ;   in Loop: Header=BB951_213 Depth=1
	s_or_b64 exec, exec, s[14:15]
.LBB951_237:                            ;   in Loop: Header=BB951_213 Depth=1
	s_or_b64 exec, exec, s[12:13]
	s_waitcnt vmcnt(2)
	v_cmp_ne_u16_sdwa s[14:15], v34, v47 src0_sel:BYTE_0 src1_sel:DWORD
	s_and_saveexec_b64 s[12:13], s[14:15]
	s_cbranch_execz .LBB951_243
; %bb.238:                              ;   in Loop: Header=BB951_213 Depth=1
	v_cmp_ne_u16_sdwa s[16:17], v34, s9 src0_sel:BYTE_0 src1_sel:DWORD
	v_mov_b32_e32 v49, 0xffff8000
	s_and_saveexec_b64 s[14:15], s[16:17]
	s_cbranch_execz .LBB951_242
; %bb.239:                              ;   in Loop: Header=BB951_213 Depth=1
	v_and_b32_e32 v36, 0x7f, v34
	v_cmp_ne_u32_e32 vcc, s21, v36
	v_mov_b32_e32 v49, 0x7f80
	s_and_saveexec_b64 s[16:17], vcc
	s_cbranch_execz .LBB951_241
; %bb.240:                              ;   in Loop: Header=BB951_213 Depth=1
	v_and_b32_e32 v42, 7, v34
	v_ffbh_u32_e32 v49, v42
	v_min_u32_e32 v49, 32, v49
	v_subrev_u32_e32 v51, 28, v49
	v_lshlrev_b64 v[52:53], v51, v[34:35]
	v_lshrrev_b32_e32 v44, 3, v36
	v_sub_u32_e32 v49, 29, v49
	v_and_b32_e32 v51, 7, v52
	v_cmp_gt_u32_e32 vcc, 8, v36
	v_cndmask_b32_e32 v36, v44, v49, vcc
	v_cndmask_b32_e32 v42, v42, v51, vcc
	v_lshlrev_b32_e32 v44, 24, v34
	v_lshlrev_b32_e32 v42, 20, v42
	v_and_b32_e32 v44, 0x80000000, v44
	v_lshl_add_u32 v36, v36, 23, v48
	v_or3_b32 v36, v44, v36, v42
	v_lshrrev_b32_e32 v49, 16, v36
.LBB951_241:                            ;   in Loop: Header=BB951_213 Depth=1
	s_or_b64 exec, exec, s[16:17]
.LBB951_242:                            ;   in Loop: Header=BB951_213 Depth=1
	s_or_b64 exec, exec, s[14:15]
.LBB951_243:                            ;   in Loop: Header=BB951_213 Depth=1
	s_or_b64 exec, exec, s[12:13]
	v_lshrrev_b16_e32 v36, 8, v34
	v_cmp_ne_u16_e32 vcc, 0, v36
	v_mov_b32_e32 v51, 0
	v_mov_b32_e32 v42, 0
	s_and_saveexec_b64 s[12:13], vcc
	s_cbranch_execz .LBB951_249
; %bb.244:                              ;   in Loop: Header=BB951_213 Depth=1
	v_cmp_ne_u16_e32 vcc, s9, v36
	v_mov_b32_e32 v42, 0xffff8000
	s_and_saveexec_b64 s[14:15], vcc
	s_cbranch_execz .LBB951_248
; %bb.245:                              ;   in Loop: Header=BB951_213 Depth=1
	v_and_b32_e32 v44, 0x7f, v36
	v_cmp_ne_u32_e32 vcc, s21, v44
	v_mov_b32_e32 v42, 0x7f80
	s_and_saveexec_b64 s[16:17], vcc
	s_cbranch_execz .LBB951_247
; %bb.246:                              ;   in Loop: Header=BB951_213 Depth=1
	v_and_b32_e32 v42, 7, v36
	v_ffbh_u32_e32 v52, v42
	v_min_u32_e32 v63, 32, v52
	v_subrev_u32_e32 v52, 28, v63
	v_lshlrev_b64 v[52:53], v52, v[36:37]
	v_lshrrev_b32_e32 v62, 3, v44
	v_sub_u32_e32 v36, 29, v63
	v_and_b32_e32 v52, 7, v52
	v_cmp_gt_u32_e32 vcc, 8, v44
	v_cndmask_b32_e32 v36, v62, v36, vcc
	v_cndmask_b32_e32 v42, v42, v52, vcc
	v_lshlrev_b32_e32 v44, 16, v34
	v_lshlrev_b32_e32 v42, 20, v42
	v_and_b32_e32 v44, 0x80000000, v44
	v_lshl_add_u32 v36, v36, 23, v48
	v_or3_b32 v36, v44, v36, v42
	v_lshrrev_b32_e32 v42, 16, v36
.LBB951_247:                            ;   in Loop: Header=BB951_213 Depth=1
	s_or_b64 exec, exec, s[16:17]
.LBB951_248:                            ;   in Loop: Header=BB951_213 Depth=1
	s_or_b64 exec, exec, s[14:15]
.LBB951_249:                            ;   in Loop: Header=BB951_213 Depth=1
	s_or_b64 exec, exec, s[12:13]
	v_lshrrev_b32_e32 v36, 16, v34
	v_cmp_ne_u16_sdwa s[14:15], v36, v47 src0_sel:BYTE_0 src1_sel:DWORD
	s_and_saveexec_b64 s[12:13], s[14:15]
	s_cbranch_execz .LBB951_255
; %bb.250:                              ;   in Loop: Header=BB951_213 Depth=1
	v_cmp_ne_u16_sdwa s[16:17], v36, s9 src0_sel:BYTE_0 src1_sel:DWORD
	v_mov_b32_e32 v51, 0xffff8000
	s_and_saveexec_b64 s[14:15], s[16:17]
	s_cbranch_execz .LBB951_254
; %bb.251:                              ;   in Loop: Header=BB951_213 Depth=1
	v_bfe_u32 v44, v34, 16, 7
	v_cmp_ne_u32_e32 vcc, s21, v44
	v_mov_b32_e32 v51, 0x7f80
	s_and_saveexec_b64 s[16:17], vcc
	s_cbranch_execz .LBB951_253
; %bb.252:                              ;   in Loop: Header=BB951_213 Depth=1
	v_and_b32_e32 v51, 7, v36
	v_ffbh_u32_e32 v52, v51
	v_min_u32_e32 v63, 32, v52
	v_subrev_u32_e32 v52, 28, v63
	v_lshlrev_b64 v[52:53], v52, v[36:37]
	v_lshrrev_b32_e32 v62, 3, v44
	v_sub_u32_e32 v53, 29, v63
	v_and_b32_e32 v52, 7, v52
	v_cmp_gt_u32_e32 vcc, 8, v44
	v_cndmask_b32_e32 v44, v62, v53, vcc
	v_cndmask_b32_e32 v51, v51, v52, vcc
	v_lshlrev_b32_e32 v36, 24, v36
	v_lshlrev_b32_e32 v51, 20, v51
	v_and_b32_e32 v36, 0x80000000, v36
	v_lshl_add_u32 v44, v44, 23, v48
	v_or3_b32 v36, v36, v44, v51
	v_lshrrev_b32_e32 v51, 16, v36
.LBB951_253:                            ;   in Loop: Header=BB951_213 Depth=1
	s_or_b64 exec, exec, s[16:17]
.LBB951_254:                            ;   in Loop: Header=BB951_213 Depth=1
	s_or_b64 exec, exec, s[14:15]
.LBB951_255:                            ;   in Loop: Header=BB951_213 Depth=1
	s_or_b64 exec, exec, s[12:13]
	v_cmp_lt_u32_e32 vcc, s22, v34
	v_mov_b32_e32 v44, 0
	v_mov_b32_e32 v52, 0
	s_and_saveexec_b64 s[12:13], vcc
	s_cbranch_execz .LBB951_261
; %bb.256:                              ;   in Loop: Header=BB951_213 Depth=1
	v_lshrrev_b32_e32 v36, 24, v34
	v_cmp_ne_u32_e32 vcc, s9, v36
	v_mov_b32_e32 v52, 0xffff8000
	s_and_saveexec_b64 s[14:15], vcc
	s_cbranch_execz .LBB951_260
; %bb.257:                              ;   in Loop: Header=BB951_213 Depth=1
	v_bfe_u32 v34, v34, 24, 7
	v_cmp_ne_u32_e32 vcc, s21, v34
	v_mov_b32_e32 v52, 0x7f80
	s_and_saveexec_b64 s[16:17], vcc
	s_cbranch_execz .LBB951_259
; %bb.258:                              ;   in Loop: Header=BB951_213 Depth=1
	v_and_b32_e32 v62, 7, v36
	v_ffbh_u32_e32 v52, v62
	v_min_u32_e32 v64, 32, v52
	v_subrev_u32_e32 v52, 28, v64
	v_lshlrev_b64 v[52:53], v52, v[36:37]
	v_lshrrev_b32_e32 v63, 3, v34
	v_sub_u32_e32 v53, 29, v64
	v_and_b32_e32 v52, 7, v52
	v_cmp_gt_u32_e32 vcc, 8, v34
	v_cndmask_b32_e32 v34, v63, v53, vcc
	v_cndmask_b32_e32 v52, v62, v52, vcc
	v_lshlrev_b32_e32 v36, 24, v36
	v_lshlrev_b32_e32 v52, 20, v52
	v_and_b32_e32 v36, 0x80000000, v36
	v_lshl_add_u32 v34, v34, 23, v48
	v_or3_b32 v34, v36, v34, v52
	v_lshrrev_b32_e32 v52, 16, v34
.LBB951_259:                            ;   in Loop: Header=BB951_213 Depth=1
	s_or_b64 exec, exec, s[16:17]
.LBB951_260:                            ;   in Loop: Header=BB951_213 Depth=1
	s_or_b64 exec, exec, s[14:15]
.LBB951_261:                            ;   in Loop: Header=BB951_213 Depth=1
	s_or_b64 exec, exec, s[12:13]
	v_perm_b32 v63, v50, v46, s23
	v_perm_b32 v62, v37, v35, s23
	;; [unrolled: 1-line block ×4, first 2 shown]
	s_waitcnt vmcnt(1)
	v_cmp_ne_u16_sdwa s[14:15], v40, v47 src0_sel:BYTE_0 src1_sel:DWORD
	v_mfma_f32_16x16x16bf16_1k v[34:37], v[62:63], v[2:3], 0
	v_mfma_f32_16x16x16bf16_1k v[34:37], v[50:51], v[4:5], v[34:37]
	s_and_saveexec_b64 s[12:13], s[14:15]
	s_cbranch_execz .LBB951_267
; %bb.262:                              ;   in Loop: Header=BB951_213 Depth=1
	v_cmp_ne_u16_sdwa s[16:17], v40, s9 src0_sel:BYTE_0 src1_sel:DWORD
	v_mov_b32_e32 v44, 0xffff8000
	s_and_saveexec_b64 s[14:15], s[16:17]
	s_cbranch_execz .LBB951_266
; %bb.263:                              ;   in Loop: Header=BB951_213 Depth=1
	v_and_b32_e32 v42, 0x7f, v40
	v_cmp_ne_u32_e32 vcc, s21, v42
	v_mov_b32_e32 v44, 0x7f80
	s_and_saveexec_b64 s[16:17], vcc
	s_cbranch_execz .LBB951_265
; %bb.264:                              ;   in Loop: Header=BB951_213 Depth=1
	v_and_b32_e32 v44, 7, v40
	v_ffbh_u32_e32 v49, v44
	v_min_u32_e32 v49, 32, v49
	v_subrev_u32_e32 v50, 28, v49
	v_lshlrev_b64 v[50:51], v50, v[40:41]
	v_lshrrev_b32_e32 v46, 3, v42
	v_sub_u32_e32 v49, 29, v49
	v_and_b32_e32 v50, 7, v50
	v_cmp_gt_u32_e32 vcc, 8, v42
	v_cndmask_b32_e32 v42, v46, v49, vcc
	v_cndmask_b32_e32 v44, v44, v50, vcc
	v_lshlrev_b32_e32 v46, 24, v40
	v_lshlrev_b32_e32 v44, 20, v44
	v_and_b32_e32 v46, 0x80000000, v46
	v_lshl_add_u32 v42, v42, 23, v48
	v_or3_b32 v42, v46, v42, v44
	v_lshrrev_b32_e32 v44, 16, v42
.LBB951_265:                            ;   in Loop: Header=BB951_213 Depth=1
	s_or_b64 exec, exec, s[16:17]
.LBB951_266:                            ;   in Loop: Header=BB951_213 Depth=1
	s_or_b64 exec, exec, s[14:15]
.LBB951_267:                            ;   in Loop: Header=BB951_213 Depth=1
	s_or_b64 exec, exec, s[12:13]
	v_lshrrev_b16_e32 v42, 8, v40
	v_cmp_ne_u16_e32 vcc, 0, v42
	v_mov_b32_e32 v50, 0
	v_mov_b32_e32 v46, 0
	s_and_saveexec_b64 s[12:13], vcc
	s_cbranch_execz .LBB951_273
; %bb.268:                              ;   in Loop: Header=BB951_213 Depth=1
	v_cmp_ne_u16_e32 vcc, s9, v42
	v_mov_b32_e32 v46, 0xffff8000
	s_and_saveexec_b64 s[14:15], vcc
	s_cbranch_execz .LBB951_272
; %bb.269:                              ;   in Loop: Header=BB951_213 Depth=1
	v_and_b32_e32 v49, 0x7f, v42
	v_cmp_ne_u32_e32 vcc, s21, v49
	v_mov_b32_e32 v46, 0x7f80
	s_and_saveexec_b64 s[16:17], vcc
	s_cbranch_execz .LBB951_271
; %bb.270:                              ;   in Loop: Header=BB951_213 Depth=1
	v_and_b32_e32 v46, 7, v42
	v_ffbh_u32_e32 v52, v46
	v_min_u32_e32 v62, 32, v52
	v_subrev_u32_e32 v52, 28, v62
	v_lshlrev_b64 v[52:53], v52, v[42:43]
	v_lshrrev_b32_e32 v51, 3, v49
	v_sub_u32_e32 v42, 29, v62
	v_and_b32_e32 v52, 7, v52
	v_cmp_gt_u32_e32 vcc, 8, v49
	v_cndmask_b32_e32 v42, v51, v42, vcc
	v_cndmask_b32_e32 v46, v46, v52, vcc
	v_lshlrev_b32_e32 v49, 16, v40
	v_lshlrev_b32_e32 v46, 20, v46
	v_and_b32_e32 v49, 0x80000000, v49
	v_lshl_add_u32 v42, v42, 23, v48
	v_or3_b32 v42, v49, v42, v46
	v_lshrrev_b32_e32 v46, 16, v42
.LBB951_271:                            ;   in Loop: Header=BB951_213 Depth=1
	s_or_b64 exec, exec, s[16:17]
.LBB951_272:                            ;   in Loop: Header=BB951_213 Depth=1
	s_or_b64 exec, exec, s[14:15]
.LBB951_273:                            ;   in Loop: Header=BB951_213 Depth=1
	s_or_b64 exec, exec, s[12:13]
	v_lshrrev_b32_e32 v42, 16, v40
	v_cmp_ne_u16_sdwa s[14:15], v42, v47 src0_sel:BYTE_0 src1_sel:DWORD
	s_and_saveexec_b64 s[12:13], s[14:15]
	s_cbranch_execz .LBB951_279
; %bb.274:                              ;   in Loop: Header=BB951_213 Depth=1
	v_cmp_ne_u16_sdwa s[16:17], v42, s9 src0_sel:BYTE_0 src1_sel:DWORD
	v_mov_b32_e32 v50, 0xffff8000
	s_and_saveexec_b64 s[14:15], s[16:17]
	s_cbranch_execz .LBB951_278
; %bb.275:                              ;   in Loop: Header=BB951_213 Depth=1
	v_bfe_u32 v49, v40, 16, 7
	v_cmp_ne_u32_e32 vcc, s21, v49
	v_mov_b32_e32 v50, 0x7f80
	s_and_saveexec_b64 s[16:17], vcc
	s_cbranch_execz .LBB951_277
; %bb.276:                              ;   in Loop: Header=BB951_213 Depth=1
	v_and_b32_e32 v52, 7, v42
	v_ffbh_u32_e32 v50, v52
	v_min_u32_e32 v62, 32, v50
	v_subrev_u32_e32 v50, 28, v62
	v_lshlrev_b64 v[50:51], v50, v[42:43]
	v_lshrrev_b32_e32 v53, 3, v49
	v_sub_u32_e32 v51, 29, v62
	v_and_b32_e32 v50, 7, v50
	v_cmp_gt_u32_e32 vcc, 8, v49
	v_cndmask_b32_e32 v49, v53, v51, vcc
	v_cndmask_b32_e32 v50, v52, v50, vcc
	v_lshlrev_b32_e32 v42, 24, v42
	v_lshlrev_b32_e32 v50, 20, v50
	v_and_b32_e32 v42, 0x80000000, v42
	v_lshl_add_u32 v49, v49, 23, v48
	v_or3_b32 v42, v42, v49, v50
	v_lshrrev_b32_e32 v50, 16, v42
.LBB951_277:                            ;   in Loop: Header=BB951_213 Depth=1
	s_or_b64 exec, exec, s[16:17]
.LBB951_278:                            ;   in Loop: Header=BB951_213 Depth=1
	s_or_b64 exec, exec, s[14:15]
.LBB951_279:                            ;   in Loop: Header=BB951_213 Depth=1
	s_or_b64 exec, exec, s[12:13]
	v_cmp_lt_u32_e32 vcc, s22, v40
	v_mov_b32_e32 v51, 0
	v_mov_b32_e32 v52, 0
	s_and_saveexec_b64 s[12:13], vcc
	s_cbranch_execz .LBB951_285
; %bb.280:                              ;   in Loop: Header=BB951_213 Depth=1
	v_lshrrev_b32_e32 v42, 24, v40
	v_cmp_ne_u32_e32 vcc, s9, v42
	v_mov_b32_e32 v52, 0xffff8000
	s_and_saveexec_b64 s[14:15], vcc
	s_cbranch_execz .LBB951_284
; %bb.281:                              ;   in Loop: Header=BB951_213 Depth=1
	v_bfe_u32 v40, v40, 24, 7
	v_cmp_ne_u32_e32 vcc, s21, v40
	v_mov_b32_e32 v52, 0x7f80
	s_and_saveexec_b64 s[16:17], vcc
	s_cbranch_execz .LBB951_283
; %bb.282:                              ;   in Loop: Header=BB951_213 Depth=1
	v_and_b32_e32 v49, 7, v42
	v_ffbh_u32_e32 v52, v49
	v_min_u32_e32 v63, 32, v52
	v_subrev_u32_e32 v52, 28, v63
	v_lshlrev_b64 v[52:53], v52, v[42:43]
	v_lshrrev_b32_e32 v62, 3, v40
	v_sub_u32_e32 v53, 29, v63
	v_and_b32_e32 v52, 7, v52
	v_cmp_gt_u32_e32 vcc, 8, v40
	v_cndmask_b32_e32 v40, v62, v53, vcc
	v_cndmask_b32_e32 v49, v49, v52, vcc
	v_lshlrev_b32_e32 v42, 24, v42
	v_lshlrev_b32_e32 v49, 20, v49
	v_and_b32_e32 v42, 0x80000000, v42
	v_lshl_add_u32 v40, v40, 23, v48
	v_or3_b32 v40, v42, v40, v49
	v_lshrrev_b32_e32 v52, 16, v40
.LBB951_283:                            ;   in Loop: Header=BB951_213 Depth=1
	s_or_b64 exec, exec, s[16:17]
.LBB951_284:                            ;   in Loop: Header=BB951_213 Depth=1
	s_or_b64 exec, exec, s[14:15]
.LBB951_285:                            ;   in Loop: Header=BB951_213 Depth=1
	s_or_b64 exec, exec, s[12:13]
	s_waitcnt vmcnt(0)
	v_cmp_ne_u16_sdwa s[14:15], v38, v47 src0_sel:BYTE_0 src1_sel:DWORD
	s_and_saveexec_b64 s[12:13], s[14:15]
	s_cbranch_execz .LBB951_291
; %bb.286:                              ;   in Loop: Header=BB951_213 Depth=1
	v_cmp_ne_u16_sdwa s[16:17], v38, s9 src0_sel:BYTE_0 src1_sel:DWORD
	v_mov_b32_e32 v51, 0xffff8000
	s_and_saveexec_b64 s[14:15], s[16:17]
	s_cbranch_execz .LBB951_290
; %bb.287:                              ;   in Loop: Header=BB951_213 Depth=1
	v_and_b32_e32 v40, 0x7f, v38
	v_cmp_ne_u32_e32 vcc, s21, v40
	v_mov_b32_e32 v51, 0x7f80
	s_and_saveexec_b64 s[16:17], vcc
	s_cbranch_execz .LBB951_289
; %bb.288:                              ;   in Loop: Header=BB951_213 Depth=1
	v_and_b32_e32 v42, 7, v38
	v_ffbh_u32_e32 v51, v42
	v_min_u32_e32 v51, 32, v51
	v_subrev_u32_e32 v53, 28, v51
	v_lshlrev_b64 v[62:63], v53, v[38:39]
	v_lshrrev_b32_e32 v49, 3, v40
	v_sub_u32_e32 v51, 29, v51
	v_and_b32_e32 v53, 7, v62
	v_cmp_gt_u32_e32 vcc, 8, v40
	v_cndmask_b32_e32 v40, v49, v51, vcc
	v_cndmask_b32_e32 v42, v42, v53, vcc
	v_lshlrev_b32_e32 v49, 24, v38
	v_lshlrev_b32_e32 v42, 20, v42
	v_and_b32_e32 v49, 0x80000000, v49
	v_lshl_add_u32 v40, v40, 23, v48
	v_or3_b32 v40, v49, v40, v42
	v_lshrrev_b32_e32 v51, 16, v40
.LBB951_289:                            ;   in Loop: Header=BB951_213 Depth=1
	s_or_b64 exec, exec, s[16:17]
.LBB951_290:                            ;   in Loop: Header=BB951_213 Depth=1
	s_or_b64 exec, exec, s[14:15]
.LBB951_291:                            ;   in Loop: Header=BB951_213 Depth=1
	s_or_b64 exec, exec, s[12:13]
	v_lshrrev_b16_e32 v40, 8, v38
	v_cmp_ne_u16_e32 vcc, 0, v40
	v_mov_b32_e32 v62, 0
	v_mov_b32_e32 v53, 0
	s_and_saveexec_b64 s[12:13], vcc
	s_cbranch_execz .LBB951_297
; %bb.292:                              ;   in Loop: Header=BB951_213 Depth=1
	v_cmp_ne_u16_e32 vcc, s9, v40
	v_mov_b32_e32 v53, 0xffff8000
	s_and_saveexec_b64 s[14:15], vcc
	s_cbranch_execz .LBB951_296
; %bb.293:                              ;   in Loop: Header=BB951_213 Depth=1
	v_and_b32_e32 v42, 0x7f, v40
	v_cmp_ne_u32_e32 vcc, s21, v42
	v_mov_b32_e32 v53, 0x7f80
	s_and_saveexec_b64 s[16:17], vcc
	s_cbranch_execz .LBB951_295
; %bb.294:                              ;   in Loop: Header=BB951_213 Depth=1
	v_and_b32_e32 v49, 7, v40
	v_ffbh_u32_e32 v63, v49
	v_min_u32_e32 v63, 32, v63
	v_subrev_u32_e32 v64, 28, v63
	v_lshlrev_b64 v[64:65], v64, v[40:41]
	v_lshrrev_b32_e32 v53, 3, v42
	v_sub_u32_e32 v40, 29, v63
	v_and_b32_e32 v63, 7, v64
	v_cmp_gt_u32_e32 vcc, 8, v42
	v_cndmask_b32_e32 v40, v53, v40, vcc
	v_cndmask_b32_e32 v42, v49, v63, vcc
	v_lshlrev_b32_e32 v49, 16, v38
	v_lshlrev_b32_e32 v42, 20, v42
	v_and_b32_e32 v49, 0x80000000, v49
	v_lshl_add_u32 v40, v40, 23, v48
	v_or3_b32 v40, v49, v40, v42
	v_lshrrev_b32_e32 v53, 16, v40
.LBB951_295:                            ;   in Loop: Header=BB951_213 Depth=1
	s_or_b64 exec, exec, s[16:17]
.LBB951_296:                            ;   in Loop: Header=BB951_213 Depth=1
	s_or_b64 exec, exec, s[14:15]
.LBB951_297:                            ;   in Loop: Header=BB951_213 Depth=1
	s_or_b64 exec, exec, s[12:13]
	v_lshrrev_b32_e32 v40, 16, v38
	v_cmp_ne_u16_sdwa s[14:15], v40, v47 src0_sel:BYTE_0 src1_sel:DWORD
	s_and_saveexec_b64 s[12:13], s[14:15]
	s_cbranch_execz .LBB951_303
; %bb.298:                              ;   in Loop: Header=BB951_213 Depth=1
	v_cmp_ne_u16_sdwa s[16:17], v40, s9 src0_sel:BYTE_0 src1_sel:DWORD
	v_mov_b32_e32 v62, 0xffff8000
	s_and_saveexec_b64 s[14:15], s[16:17]
	s_cbranch_execz .LBB951_302
; %bb.299:                              ;   in Loop: Header=BB951_213 Depth=1
	v_bfe_u32 v42, v38, 16, 7
	v_cmp_ne_u32_e32 vcc, s21, v42
	v_mov_b32_e32 v62, 0x7f80
	s_and_saveexec_b64 s[16:17], vcc
	s_cbranch_execz .LBB951_301
; %bb.300:                              ;   in Loop: Header=BB951_213 Depth=1
	v_and_b32_e32 v49, 7, v40
	v_ffbh_u32_e32 v62, v49
	v_min_u32_e32 v65, 32, v62
	v_subrev_u32_e32 v62, 28, v65
	v_lshlrev_b64 v[62:63], v62, v[40:41]
	v_lshrrev_b32_e32 v64, 3, v42
	v_sub_u32_e32 v63, 29, v65
	v_and_b32_e32 v62, 7, v62
	v_cmp_gt_u32_e32 vcc, 8, v42
	v_cndmask_b32_e32 v42, v64, v63, vcc
	v_cndmask_b32_e32 v49, v49, v62, vcc
	v_lshlrev_b32_e32 v40, 24, v40
	v_lshlrev_b32_e32 v49, 20, v49
	v_and_b32_e32 v40, 0x80000000, v40
	v_lshl_add_u32 v42, v42, 23, v48
	v_or3_b32 v40, v40, v42, v49
	v_lshrrev_b32_e32 v62, 16, v40
.LBB951_301:                            ;   in Loop: Header=BB951_213 Depth=1
	s_or_b64 exec, exec, s[16:17]
.LBB951_302:                            ;   in Loop: Header=BB951_213 Depth=1
	s_or_b64 exec, exec, s[14:15]
.LBB951_303:                            ;   in Loop: Header=BB951_213 Depth=1
	s_or_b64 exec, exec, s[12:13]
	v_cmp_lt_u32_e32 vcc, s22, v38
	v_mov_b32_e32 v49, 0
	v_mov_b32_e32 v63, 0
	s_and_saveexec_b64 s[12:13], vcc
	s_cbranch_execz .LBB951_309
; %bb.304:                              ;   in Loop: Header=BB951_213 Depth=1
	v_lshrrev_b32_e32 v40, 24, v38
	v_cmp_ne_u32_e32 vcc, s9, v40
	v_mov_b32_e32 v63, 0xffff8000
	s_and_saveexec_b64 s[14:15], vcc
	s_cbranch_execz .LBB951_308
; %bb.305:                              ;   in Loop: Header=BB951_213 Depth=1
	v_bfe_u32 v38, v38, 24, 7
	v_cmp_ne_u32_e32 vcc, s21, v38
	v_mov_b32_e32 v63, 0x7f80
	s_and_saveexec_b64 s[16:17], vcc
	s_cbranch_execz .LBB951_307
; %bb.306:                              ;   in Loop: Header=BB951_213 Depth=1
	v_and_b32_e32 v42, 7, v40
	v_ffbh_u32_e32 v64, v42
	v_min_u32_e32 v66, 32, v64
	v_subrev_u32_e32 v64, 28, v66
	v_lshlrev_b64 v[64:65], v64, v[40:41]
	v_lshrrev_b32_e32 v63, 3, v38
	v_sub_u32_e32 v65, 29, v66
	v_and_b32_e32 v64, 7, v64
	v_cmp_gt_u32_e32 vcc, 8, v38
	v_cndmask_b32_e32 v38, v63, v65, vcc
	v_cndmask_b32_e32 v42, v42, v64, vcc
	v_lshlrev_b32_e32 v40, 24, v40
	v_lshlrev_b32_e32 v42, 20, v42
	v_and_b32_e32 v40, 0x80000000, v40
	v_lshl_add_u32 v38, v38, 23, v48
	v_or3_b32 v38, v40, v38, v42
	v_lshrrev_b32_e32 v63, 16, v38
.LBB951_307:                            ;   in Loop: Header=BB951_213 Depth=1
	s_or_b64 exec, exec, s[16:17]
.LBB951_308:                            ;   in Loop: Header=BB951_213 Depth=1
	s_or_b64 exec, exec, s[14:15]
.LBB951_309:                            ;   in Loop: Header=BB951_213 Depth=1
	s_or_b64 exec, exec, s[12:13]
	v_perm_b32 v64, v46, v44, s23
	buffer_load_dword v44, v61, s[0:3], 0 offen
	buffer_load_dword v42, v61, s[0:3], 0 offen offset:4
	buffer_load_dword v40, v61, s[0:3], 0 offen offset:8
	;; [unrolled: 1-line block ×3, first 2 shown]
	v_perm_b32 v65, v52, v50, s23
	v_perm_b32 v63, v63, v62, s23
	;; [unrolled: 1-line block ×3, first 2 shown]
	v_mfma_f32_16x16x16bf16_1k v[34:37], v[64:65], v[6:7], v[34:37]
	s_waitcnt vmcnt(3)
	v_cmp_ne_u16_sdwa s[14:15], v44, v47 src0_sel:BYTE_0 src1_sel:DWORD
	v_mfma_f32_16x16x16bf16_1k v[34:37], v[62:63], v[8:9], v[34:37]
	s_and_saveexec_b64 s[12:13], s[14:15]
	s_cbranch_execz .LBB951_315
; %bb.310:                              ;   in Loop: Header=BB951_213 Depth=1
	v_cmp_ne_u16_sdwa s[16:17], v44, s9 src0_sel:BYTE_0 src1_sel:DWORD
	v_mov_b32_e32 v49, 0xffff8000
	s_and_saveexec_b64 s[14:15], s[16:17]
	s_cbranch_execz .LBB951_314
; %bb.311:                              ;   in Loop: Header=BB951_213 Depth=1
	v_and_b32_e32 v46, 0x7f, v44
	v_cmp_ne_u32_e32 vcc, s21, v46
	v_mov_b32_e32 v49, 0x7f80
	s_and_saveexec_b64 s[16:17], vcc
	s_cbranch_execz .LBB951_313
; %bb.312:                              ;   in Loop: Header=BB951_213 Depth=1
	v_and_b32_e32 v49, 7, v44
	v_ffbh_u32_e32 v50, v49
	v_min_u32_e32 v53, 32, v50
	v_subrev_u32_e32 v50, 28, v53
	v_lshlrev_b64 v[50:51], v50, v[44:45]
	v_lshrrev_b32_e32 v52, 3, v46
	v_sub_u32_e32 v51, 29, v53
	v_and_b32_e32 v50, 7, v50
	v_cmp_gt_u32_e32 vcc, 8, v46
	v_cndmask_b32_e32 v46, v52, v51, vcc
	v_cndmask_b32_e32 v49, v49, v50, vcc
	v_lshlrev_b32_e32 v50, 24, v44
	v_lshlrev_b32_e32 v49, 20, v49
	v_and_b32_e32 v50, 0x80000000, v50
	v_lshl_add_u32 v46, v46, 23, v48
	v_or3_b32 v46, v50, v46, v49
	v_lshrrev_b32_e32 v49, 16, v46
.LBB951_313:                            ;   in Loop: Header=BB951_213 Depth=1
	s_or_b64 exec, exec, s[16:17]
.LBB951_314:                            ;   in Loop: Header=BB951_213 Depth=1
	s_or_b64 exec, exec, s[14:15]
.LBB951_315:                            ;   in Loop: Header=BB951_213 Depth=1
	s_or_b64 exec, exec, s[12:13]
	v_lshrrev_b16_e32 v46, 8, v44
	v_cmp_ne_u16_e32 vcc, 0, v46
	v_mov_b32_e32 v51, 0
	v_mov_b32_e32 v50, 0
	s_and_saveexec_b64 s[12:13], vcc
	s_cbranch_execz .LBB951_321
; %bb.316:                              ;   in Loop: Header=BB951_213 Depth=1
	v_cmp_ne_u16_e32 vcc, s9, v46
	v_mov_b32_e32 v50, 0xffff8000
	s_and_saveexec_b64 s[14:15], vcc
	s_cbranch_execz .LBB951_320
; %bb.317:                              ;   in Loop: Header=BB951_213 Depth=1
	v_and_b32_e32 v52, 0x7f, v46
	v_cmp_ne_u32_e32 vcc, s21, v52
	v_mov_b32_e32 v50, 0x7f80
	s_and_saveexec_b64 s[16:17], vcc
	s_cbranch_execz .LBB951_319
; %bb.318:                              ;   in Loop: Header=BB951_213 Depth=1
	v_and_b32_e32 v50, 7, v46
	v_ffbh_u32_e32 v61, v50
	v_min_u32_e32 v61, 32, v61
	v_subrev_u32_e32 v62, 28, v61
	v_lshlrev_b64 v[62:63], v62, v[46:47]
	v_lshrrev_b32_e32 v53, 3, v52
	v_sub_u32_e32 v46, 29, v61
	v_and_b32_e32 v61, 7, v62
	v_cmp_gt_u32_e32 vcc, 8, v52
	v_cndmask_b32_e32 v46, v53, v46, vcc
	v_cndmask_b32_e32 v50, v50, v61, vcc
	v_lshlrev_b32_e32 v52, 16, v44
	v_lshlrev_b32_e32 v50, 20, v50
	v_and_b32_e32 v52, 0x80000000, v52
	v_lshl_add_u32 v46, v46, 23, v48
	v_or3_b32 v46, v52, v46, v50
	v_lshrrev_b32_e32 v50, 16, v46
.LBB951_319:                            ;   in Loop: Header=BB951_213 Depth=1
	s_or_b64 exec, exec, s[16:17]
.LBB951_320:                            ;   in Loop: Header=BB951_213 Depth=1
	s_or_b64 exec, exec, s[14:15]
.LBB951_321:                            ;   in Loop: Header=BB951_213 Depth=1
	s_or_b64 exec, exec, s[12:13]
	v_lshrrev_b32_e32 v46, 16, v44
	v_cmp_ne_u16_sdwa s[14:15], v46, v47 src0_sel:BYTE_0 src1_sel:DWORD
	s_and_saveexec_b64 s[12:13], s[14:15]
	s_cbranch_execz .LBB951_327
; %bb.322:                              ;   in Loop: Header=BB951_213 Depth=1
	v_cmp_ne_u16_sdwa s[16:17], v46, s9 src0_sel:BYTE_0 src1_sel:DWORD
	v_mov_b32_e32 v51, 0xffff8000
	s_and_saveexec_b64 s[14:15], s[16:17]
	s_cbranch_execz .LBB951_326
; %bb.323:                              ;   in Loop: Header=BB951_213 Depth=1
	v_bfe_u32 v52, v44, 16, 7
	v_cmp_ne_u32_e32 vcc, s21, v52
	v_mov_b32_e32 v51, 0x7f80
	s_and_saveexec_b64 s[16:17], vcc
	s_cbranch_execz .LBB951_325
; %bb.324:                              ;   in Loop: Header=BB951_213 Depth=1
	v_and_b32_e32 v51, 7, v46
	v_ffbh_u32_e32 v61, v51
	v_min_u32_e32 v61, 32, v61
	v_subrev_u32_e32 v62, 28, v61
	v_lshlrev_b64 v[62:63], v62, v[46:47]
	v_lshrrev_b32_e32 v53, 3, v52
	v_sub_u32_e32 v61, 29, v61
	v_and_b32_e32 v62, 7, v62
	v_cmp_gt_u32_e32 vcc, 8, v52
	v_cndmask_b32_e32 v52, v53, v61, vcc
	v_cndmask_b32_e32 v51, v51, v62, vcc
	v_lshlrev_b32_e32 v46, 24, v46
	v_lshlrev_b32_e32 v51, 20, v51
	v_and_b32_e32 v46, 0x80000000, v46
	v_lshl_add_u32 v52, v52, 23, v48
	v_or3_b32 v46, v46, v52, v51
	v_lshrrev_b32_e32 v51, 16, v46
.LBB951_325:                            ;   in Loop: Header=BB951_213 Depth=1
	s_or_b64 exec, exec, s[16:17]
.LBB951_326:                            ;   in Loop: Header=BB951_213 Depth=1
	s_or_b64 exec, exec, s[14:15]
.LBB951_327:                            ;   in Loop: Header=BB951_213 Depth=1
	s_or_b64 exec, exec, s[12:13]
	v_cmp_lt_u32_e32 vcc, s22, v44
	v_mov_b32_e32 v52, 0
	v_mov_b32_e32 v53, 0
	s_and_saveexec_b64 s[12:13], vcc
	s_cbranch_execz .LBB951_333
; %bb.328:                              ;   in Loop: Header=BB951_213 Depth=1
	v_lshrrev_b32_e32 v46, 24, v44
	v_cmp_ne_u32_e32 vcc, s9, v46
	v_mov_b32_e32 v53, 0xffff8000
	s_and_saveexec_b64 s[14:15], vcc
	s_cbranch_execz .LBB951_332
; %bb.329:                              ;   in Loop: Header=BB951_213 Depth=1
	v_bfe_u32 v44, v44, 24, 7
	v_cmp_ne_u32_e32 vcc, s21, v44
	v_mov_b32_e32 v53, 0x7f80
	s_and_saveexec_b64 s[16:17], vcc
	s_cbranch_execz .LBB951_331
; %bb.330:                              ;   in Loop: Header=BB951_213 Depth=1
	v_and_b32_e32 v53, 7, v46
	v_ffbh_u32_e32 v62, v53
	v_min_u32_e32 v64, 32, v62
	v_subrev_u32_e32 v62, 28, v64
	v_lshlrev_b64 v[62:63], v62, v[46:47]
	v_lshrrev_b32_e32 v61, 3, v44
	v_sub_u32_e32 v63, 29, v64
	v_and_b32_e32 v62, 7, v62
	v_cmp_gt_u32_e32 vcc, 8, v44
	v_cndmask_b32_e32 v44, v61, v63, vcc
	v_cndmask_b32_e32 v53, v53, v62, vcc
	v_lshlrev_b32_e32 v46, 24, v46
	v_lshlrev_b32_e32 v53, 20, v53
	v_and_b32_e32 v46, 0x80000000, v46
	v_lshl_add_u32 v44, v44, 23, v48
	v_or3_b32 v44, v46, v44, v53
	v_lshrrev_b32_e32 v53, 16, v44
.LBB951_331:                            ;   in Loop: Header=BB951_213 Depth=1
	s_or_b64 exec, exec, s[16:17]
.LBB951_332:                            ;   in Loop: Header=BB951_213 Depth=1
	s_or_b64 exec, exec, s[14:15]
.LBB951_333:                            ;   in Loop: Header=BB951_213 Depth=1
	s_or_b64 exec, exec, s[12:13]
	s_waitcnt vmcnt(2)
	v_cmp_ne_u16_sdwa s[14:15], v42, v47 src0_sel:BYTE_0 src1_sel:DWORD
	s_and_saveexec_b64 s[12:13], s[14:15]
	s_cbranch_execz .LBB951_339
; %bb.334:                              ;   in Loop: Header=BB951_213 Depth=1
	v_cmp_ne_u16_sdwa s[16:17], v42, s9 src0_sel:BYTE_0 src1_sel:DWORD
	v_mov_b32_e32 v52, 0xffff8000
	s_and_saveexec_b64 s[14:15], s[16:17]
	s_cbranch_execz .LBB951_338
; %bb.335:                              ;   in Loop: Header=BB951_213 Depth=1
	v_and_b32_e32 v44, 0x7f, v42
	v_cmp_ne_u32_e32 vcc, s21, v44
	v_mov_b32_e32 v52, 0x7f80
	s_and_saveexec_b64 s[16:17], vcc
	s_cbranch_execz .LBB951_337
; %bb.336:                              ;   in Loop: Header=BB951_213 Depth=1
	v_and_b32_e32 v46, 7, v42
	v_ffbh_u32_e32 v61, v46
	v_min_u32_e32 v61, 32, v61
	v_subrev_u32_e32 v62, 28, v61
	v_lshlrev_b64 v[62:63], v62, v[42:43]
	v_lshrrev_b32_e32 v52, 3, v44
	v_sub_u32_e32 v61, 29, v61
	v_and_b32_e32 v62, 7, v62
	v_cmp_gt_u32_e32 vcc, 8, v44
	v_cndmask_b32_e32 v44, v52, v61, vcc
	v_cndmask_b32_e32 v46, v46, v62, vcc
	v_lshlrev_b32_e32 v52, 24, v42
	v_lshlrev_b32_e32 v46, 20, v46
	v_and_b32_e32 v52, 0x80000000, v52
	v_lshl_add_u32 v44, v44, 23, v48
	v_or3_b32 v44, v52, v44, v46
	v_lshrrev_b32_e32 v52, 16, v44
.LBB951_337:                            ;   in Loop: Header=BB951_213 Depth=1
	s_or_b64 exec, exec, s[16:17]
.LBB951_338:                            ;   in Loop: Header=BB951_213 Depth=1
	s_or_b64 exec, exec, s[14:15]
.LBB951_339:                            ;   in Loop: Header=BB951_213 Depth=1
	s_or_b64 exec, exec, s[12:13]
	v_lshrrev_b16_e32 v44, 8, v42
	v_cmp_ne_u16_e32 vcc, 0, v44
	v_mov_b32_e32 v62, 0
	v_mov_b32_e32 v61, 0
	s_and_saveexec_b64 s[12:13], vcc
	s_cbranch_execz .LBB951_345
; %bb.340:                              ;   in Loop: Header=BB951_213 Depth=1
	v_cmp_ne_u16_e32 vcc, s9, v44
	v_mov_b32_e32 v61, 0xffff8000
	s_and_saveexec_b64 s[14:15], vcc
	s_cbranch_execz .LBB951_344
; %bb.341:                              ;   in Loop: Header=BB951_213 Depth=1
	v_and_b32_e32 v46, 0x7f, v44
	v_cmp_ne_u32_e32 vcc, s21, v46
	v_mov_b32_e32 v61, 0x7f80
	s_and_saveexec_b64 s[16:17], vcc
	s_cbranch_execz .LBB951_343
; %bb.342:                              ;   in Loop: Header=BB951_213 Depth=1
	v_and_b32_e32 v61, 7, v44
	v_ffbh_u32_e32 v64, v61
	v_min_u32_e32 v66, 32, v64
	v_subrev_u32_e32 v64, 28, v66
	v_lshlrev_b64 v[64:65], v64, v[44:45]
	v_lshrrev_b32_e32 v63, 3, v46
	v_sub_u32_e32 v44, 29, v66
	v_and_b32_e32 v64, 7, v64
	v_cmp_gt_u32_e32 vcc, 8, v46
	v_cndmask_b32_e32 v44, v63, v44, vcc
	v_cndmask_b32_e32 v46, v61, v64, vcc
	v_lshlrev_b32_e32 v61, 16, v42
	v_lshlrev_b32_e32 v46, 20, v46
	v_and_b32_e32 v61, 0x80000000, v61
	v_lshl_add_u32 v44, v44, 23, v48
	v_or3_b32 v44, v61, v44, v46
	v_lshrrev_b32_e32 v61, 16, v44
.LBB951_343:                            ;   in Loop: Header=BB951_213 Depth=1
	s_or_b64 exec, exec, s[16:17]
.LBB951_344:                            ;   in Loop: Header=BB951_213 Depth=1
	s_or_b64 exec, exec, s[14:15]
.LBB951_345:                            ;   in Loop: Header=BB951_213 Depth=1
	s_or_b64 exec, exec, s[12:13]
	v_lshrrev_b32_e32 v44, 16, v42
	v_cmp_ne_u16_sdwa s[14:15], v44, v47 src0_sel:BYTE_0 src1_sel:DWORD
	s_and_saveexec_b64 s[12:13], s[14:15]
	s_cbranch_execz .LBB951_351
; %bb.346:                              ;   in Loop: Header=BB951_213 Depth=1
	v_cmp_ne_u16_sdwa s[16:17], v44, s9 src0_sel:BYTE_0 src1_sel:DWORD
	v_mov_b32_e32 v62, 0xffff8000
	s_and_saveexec_b64 s[14:15], s[16:17]
	s_cbranch_execz .LBB951_350
; %bb.347:                              ;   in Loop: Header=BB951_213 Depth=1
	v_bfe_u32 v46, v42, 16, 7
	v_cmp_ne_u32_e32 vcc, s21, v46
	v_mov_b32_e32 v62, 0x7f80
	s_and_saveexec_b64 s[16:17], vcc
	s_cbranch_execz .LBB951_349
; %bb.348:                              ;   in Loop: Header=BB951_213 Depth=1
	v_and_b32_e32 v64, 7, v44
	v_ffbh_u32_e32 v62, v64
	v_min_u32_e32 v66, 32, v62
	v_subrev_u32_e32 v62, 28, v66
	v_lshlrev_b64 v[62:63], v62, v[44:45]
	v_lshrrev_b32_e32 v65, 3, v46
	v_sub_u32_e32 v63, 29, v66
	v_and_b32_e32 v62, 7, v62
	v_cmp_gt_u32_e32 vcc, 8, v46
	v_cndmask_b32_e32 v46, v65, v63, vcc
	v_cndmask_b32_e32 v62, v64, v62, vcc
	v_lshlrev_b32_e32 v44, 24, v44
	v_lshlrev_b32_e32 v62, 20, v62
	v_and_b32_e32 v44, 0x80000000, v44
	v_lshl_add_u32 v46, v46, 23, v48
	v_or3_b32 v44, v44, v46, v62
	v_lshrrev_b32_e32 v62, 16, v44
.LBB951_349:                            ;   in Loop: Header=BB951_213 Depth=1
	s_or_b64 exec, exec, s[16:17]
.LBB951_350:                            ;   in Loop: Header=BB951_213 Depth=1
	s_or_b64 exec, exec, s[14:15]
.LBB951_351:                            ;   in Loop: Header=BB951_213 Depth=1
	s_or_b64 exec, exec, s[12:13]
	v_cmp_lt_u32_e32 vcc, s22, v42
	v_mov_b32_e32 v46, 0
	v_mov_b32_e32 v63, 0
	s_and_saveexec_b64 s[12:13], vcc
	s_cbranch_execz .LBB951_357
; %bb.352:                              ;   in Loop: Header=BB951_213 Depth=1
	v_lshrrev_b32_e32 v44, 24, v42
	v_cmp_ne_u32_e32 vcc, s9, v44
	v_mov_b32_e32 v63, 0xffff8000
	s_and_saveexec_b64 s[14:15], vcc
	s_cbranch_execz .LBB951_356
; %bb.353:                              ;   in Loop: Header=BB951_213 Depth=1
	v_bfe_u32 v42, v42, 24, 7
	v_cmp_ne_u32_e32 vcc, s21, v42
	v_mov_b32_e32 v63, 0x7f80
	s_and_saveexec_b64 s[16:17], vcc
	s_cbranch_execz .LBB951_355
; %bb.354:                              ;   in Loop: Header=BB951_213 Depth=1
	v_and_b32_e32 v63, 7, v44
	v_ffbh_u32_e32 v64, v63
	v_min_u32_e32 v67, 32, v64
	v_subrev_u32_e32 v64, 28, v67
	v_lshlrev_b64 v[64:65], v64, v[44:45]
	v_lshrrev_b32_e32 v66, 3, v42
	v_sub_u32_e32 v65, 29, v67
	v_and_b32_e32 v64, 7, v64
	v_cmp_gt_u32_e32 vcc, 8, v42
	v_cndmask_b32_e32 v42, v66, v65, vcc
	v_cndmask_b32_e32 v63, v63, v64, vcc
	v_lshlrev_b32_e32 v44, 24, v44
	v_lshlrev_b32_e32 v63, 20, v63
	v_and_b32_e32 v44, 0x80000000, v44
	v_lshl_add_u32 v42, v42, 23, v48
	v_or3_b32 v42, v44, v42, v63
	v_lshrrev_b32_e32 v63, 16, v42
.LBB951_355:                            ;   in Loop: Header=BB951_213 Depth=1
	s_or_b64 exec, exec, s[16:17]
.LBB951_356:                            ;   in Loop: Header=BB951_213 Depth=1
	s_or_b64 exec, exec, s[14:15]
.LBB951_357:                            ;   in Loop: Header=BB951_213 Depth=1
	s_or_b64 exec, exec, s[12:13]
	v_perm_b32 v51, v53, v51, s23
	v_perm_b32 v50, v50, v49, s23
	s_waitcnt vmcnt(1)
	v_cmp_ne_u16_sdwa s[14:15], v40, v47 src0_sel:BYTE_0 src1_sel:DWORD
	v_mfma_f32_16x16x16bf16_1k v[34:37], v[50:51], v[10:11], v[34:37]
	v_perm_b32 v51, v63, v62, s23
	v_perm_b32 v50, v61, v52, s23
	s_nop 1
	v_mfma_f32_16x16x16bf16_1k v[34:37], v[50:51], v[12:13], v[34:37]
	s_and_saveexec_b64 s[12:13], s[14:15]
	s_cbranch_execz .LBB951_363
; %bb.358:                              ;   in Loop: Header=BB951_213 Depth=1
	v_cmp_ne_u16_sdwa s[16:17], v40, s9 src0_sel:BYTE_0 src1_sel:DWORD
	v_mov_b32_e32 v46, 0xffff8000
	s_and_saveexec_b64 s[14:15], s[16:17]
	s_cbranch_execz .LBB951_362
; %bb.359:                              ;   in Loop: Header=BB951_213 Depth=1
	v_and_b32_e32 v42, 0x7f, v40
	v_cmp_ne_u32_e32 vcc, s21, v42
	v_mov_b32_e32 v46, 0x7f80
	s_and_saveexec_b64 s[16:17], vcc
	s_cbranch_execz .LBB951_361
; %bb.360:                              ;   in Loop: Header=BB951_213 Depth=1
	v_and_b32_e32 v44, 7, v40
	v_ffbh_u32_e32 v49, v44
	v_min_u32_e32 v49, 32, v49
	v_subrev_u32_e32 v50, 28, v49
	v_lshlrev_b64 v[50:51], v50, v[40:41]
	v_lshrrev_b32_e32 v46, 3, v42
	v_sub_u32_e32 v49, 29, v49
	v_and_b32_e32 v50, 7, v50
	v_cmp_gt_u32_e32 vcc, 8, v42
	v_cndmask_b32_e32 v42, v46, v49, vcc
	v_cndmask_b32_e32 v44, v44, v50, vcc
	v_lshlrev_b32_e32 v46, 24, v40
	v_lshlrev_b32_e32 v44, 20, v44
	v_and_b32_e32 v46, 0x80000000, v46
	v_lshl_add_u32 v42, v42, 23, v48
	v_or3_b32 v42, v46, v42, v44
	v_lshrrev_b32_e32 v46, 16, v42
.LBB951_361:                            ;   in Loop: Header=BB951_213 Depth=1
	s_or_b64 exec, exec, s[16:17]
.LBB951_362:                            ;   in Loop: Header=BB951_213 Depth=1
	s_or_b64 exec, exec, s[14:15]
.LBB951_363:                            ;   in Loop: Header=BB951_213 Depth=1
	s_or_b64 exec, exec, s[12:13]
	v_lshrrev_b16_e32 v42, 8, v40
	v_cmp_ne_u16_e32 vcc, 0, v42
	v_mov_b32_e32 v50, 0
	v_mov_b32_e32 v44, 0
	s_and_saveexec_b64 s[12:13], vcc
	s_cbranch_execz .LBB951_369
; %bb.364:                              ;   in Loop: Header=BB951_213 Depth=1
	v_cmp_ne_u16_e32 vcc, s9, v42
	v_mov_b32_e32 v44, 0xffff8000
	s_and_saveexec_b64 s[14:15], vcc
	s_cbranch_execz .LBB951_368
; %bb.365:                              ;   in Loop: Header=BB951_213 Depth=1
	v_and_b32_e32 v49, 0x7f, v42
	v_cmp_ne_u32_e32 vcc, s21, v49
	v_mov_b32_e32 v44, 0x7f80
	s_and_saveexec_b64 s[16:17], vcc
	s_cbranch_execz .LBB951_367
; %bb.366:                              ;   in Loop: Header=BB951_213 Depth=1
	v_and_b32_e32 v44, 7, v42
	v_ffbh_u32_e32 v52, v44
	v_min_u32_e32 v61, 32, v52
	v_subrev_u32_e32 v52, 28, v61
	v_lshlrev_b64 v[52:53], v52, v[42:43]
	v_lshrrev_b32_e32 v51, 3, v49
	v_sub_u32_e32 v42, 29, v61
	v_and_b32_e32 v52, 7, v52
	v_cmp_gt_u32_e32 vcc, 8, v49
	v_cndmask_b32_e32 v42, v51, v42, vcc
	v_cndmask_b32_e32 v44, v44, v52, vcc
	v_lshlrev_b32_e32 v49, 16, v40
	v_lshlrev_b32_e32 v44, 20, v44
	v_and_b32_e32 v49, 0x80000000, v49
	v_lshl_add_u32 v42, v42, 23, v48
	v_or3_b32 v42, v49, v42, v44
	v_lshrrev_b32_e32 v44, 16, v42
.LBB951_367:                            ;   in Loop: Header=BB951_213 Depth=1
	s_or_b64 exec, exec, s[16:17]
.LBB951_368:                            ;   in Loop: Header=BB951_213 Depth=1
	s_or_b64 exec, exec, s[14:15]
.LBB951_369:                            ;   in Loop: Header=BB951_213 Depth=1
	s_or_b64 exec, exec, s[12:13]
	v_lshrrev_b32_e32 v42, 16, v40
	v_cmp_ne_u16_sdwa s[14:15], v42, v47 src0_sel:BYTE_0 src1_sel:DWORD
	s_and_saveexec_b64 s[12:13], s[14:15]
	s_cbranch_execz .LBB951_375
; %bb.370:                              ;   in Loop: Header=BB951_213 Depth=1
	v_cmp_ne_u16_sdwa s[16:17], v42, s9 src0_sel:BYTE_0 src1_sel:DWORD
	v_mov_b32_e32 v50, 0xffff8000
	s_and_saveexec_b64 s[14:15], s[16:17]
	s_cbranch_execz .LBB951_374
; %bb.371:                              ;   in Loop: Header=BB951_213 Depth=1
	v_bfe_u32 v49, v40, 16, 7
	v_cmp_ne_u32_e32 vcc, s21, v49
	v_mov_b32_e32 v50, 0x7f80
	s_and_saveexec_b64 s[16:17], vcc
	s_cbranch_execz .LBB951_373
; %bb.372:                              ;   in Loop: Header=BB951_213 Depth=1
	v_and_b32_e32 v52, 7, v42
	v_ffbh_u32_e32 v50, v52
	v_min_u32_e32 v61, 32, v50
	v_subrev_u32_e32 v50, 28, v61
	v_lshlrev_b64 v[50:51], v50, v[42:43]
	v_lshrrev_b32_e32 v53, 3, v49
	v_sub_u32_e32 v51, 29, v61
	v_and_b32_e32 v50, 7, v50
	v_cmp_gt_u32_e32 vcc, 8, v49
	v_cndmask_b32_e32 v49, v53, v51, vcc
	v_cndmask_b32_e32 v50, v52, v50, vcc
	v_lshlrev_b32_e32 v42, 24, v42
	v_lshlrev_b32_e32 v50, 20, v50
	v_and_b32_e32 v42, 0x80000000, v42
	v_lshl_add_u32 v49, v49, 23, v48
	v_or3_b32 v42, v42, v49, v50
	v_lshrrev_b32_e32 v50, 16, v42
.LBB951_373:                            ;   in Loop: Header=BB951_213 Depth=1
	s_or_b64 exec, exec, s[16:17]
.LBB951_374:                            ;   in Loop: Header=BB951_213 Depth=1
	s_or_b64 exec, exec, s[14:15]
.LBB951_375:                            ;   in Loop: Header=BB951_213 Depth=1
	s_or_b64 exec, exec, s[12:13]
	v_cmp_lt_u32_e32 vcc, s22, v40
	v_mov_b32_e32 v51, 0
	v_mov_b32_e32 v52, 0
	s_and_saveexec_b64 s[12:13], vcc
	s_cbranch_execz .LBB951_381
; %bb.376:                              ;   in Loop: Header=BB951_213 Depth=1
	v_lshrrev_b32_e32 v42, 24, v40
	v_cmp_ne_u32_e32 vcc, s9, v42
	v_mov_b32_e32 v52, 0xffff8000
	s_and_saveexec_b64 s[14:15], vcc
	s_cbranch_execz .LBB951_380
; %bb.377:                              ;   in Loop: Header=BB951_213 Depth=1
	v_bfe_u32 v40, v40, 24, 7
	v_cmp_ne_u32_e32 vcc, s21, v40
	v_mov_b32_e32 v52, 0x7f80
	s_and_saveexec_b64 s[16:17], vcc
	s_cbranch_execz .LBB951_379
; %bb.378:                              ;   in Loop: Header=BB951_213 Depth=1
	v_and_b32_e32 v49, 7, v42
	v_ffbh_u32_e32 v52, v49
	v_min_u32_e32 v62, 32, v52
	v_subrev_u32_e32 v52, 28, v62
	v_lshlrev_b64 v[52:53], v52, v[42:43]
	v_lshrrev_b32_e32 v61, 3, v40
	v_sub_u32_e32 v53, 29, v62
	v_and_b32_e32 v52, 7, v52
	v_cmp_gt_u32_e32 vcc, 8, v40
	v_cndmask_b32_e32 v40, v61, v53, vcc
	v_cndmask_b32_e32 v49, v49, v52, vcc
	v_lshlrev_b32_e32 v42, 24, v42
	v_lshlrev_b32_e32 v49, 20, v49
	v_and_b32_e32 v42, 0x80000000, v42
	v_lshl_add_u32 v40, v40, 23, v48
	v_or3_b32 v40, v42, v40, v49
	v_lshrrev_b32_e32 v52, 16, v40
.LBB951_379:                            ;   in Loop: Header=BB951_213 Depth=1
	s_or_b64 exec, exec, s[16:17]
.LBB951_380:                            ;   in Loop: Header=BB951_213 Depth=1
	s_or_b64 exec, exec, s[14:15]
.LBB951_381:                            ;   in Loop: Header=BB951_213 Depth=1
	s_or_b64 exec, exec, s[12:13]
	s_waitcnt vmcnt(0)
	v_cmp_ne_u16_sdwa s[14:15], v38, v47 src0_sel:BYTE_0 src1_sel:DWORD
	s_and_saveexec_b64 s[12:13], s[14:15]
	s_cbranch_execz .LBB951_387
; %bb.382:                              ;   in Loop: Header=BB951_213 Depth=1
	v_cmp_ne_u16_sdwa s[16:17], v38, s9 src0_sel:BYTE_0 src1_sel:DWORD
	v_mov_b32_e32 v51, 0xffff8000
	s_and_saveexec_b64 s[14:15], s[16:17]
	s_cbranch_execz .LBB951_386
; %bb.383:                              ;   in Loop: Header=BB951_213 Depth=1
	v_and_b32_e32 v40, 0x7f, v38
	v_cmp_ne_u32_e32 vcc, s21, v40
	v_mov_b32_e32 v51, 0x7f80
	s_and_saveexec_b64 s[16:17], vcc
	s_cbranch_execz .LBB951_385
; %bb.384:                              ;   in Loop: Header=BB951_213 Depth=1
	v_and_b32_e32 v42, 7, v38
	v_ffbh_u32_e32 v51, v42
	v_min_u32_e32 v51, 32, v51
	v_subrev_u32_e32 v53, 28, v51
	v_lshlrev_b64 v[62:63], v53, v[38:39]
	v_lshrrev_b32_e32 v49, 3, v40
	v_sub_u32_e32 v51, 29, v51
	v_and_b32_e32 v53, 7, v62
	v_cmp_gt_u32_e32 vcc, 8, v40
	v_cndmask_b32_e32 v40, v49, v51, vcc
	v_cndmask_b32_e32 v42, v42, v53, vcc
	v_lshlrev_b32_e32 v49, 24, v38
	v_lshlrev_b32_e32 v42, 20, v42
	v_and_b32_e32 v49, 0x80000000, v49
	v_lshl_add_u32 v40, v40, 23, v48
	v_or3_b32 v40, v49, v40, v42
	v_lshrrev_b32_e32 v51, 16, v40
.LBB951_385:                            ;   in Loop: Header=BB951_213 Depth=1
	s_or_b64 exec, exec, s[16:17]
.LBB951_386:                            ;   in Loop: Header=BB951_213 Depth=1
	s_or_b64 exec, exec, s[14:15]
.LBB951_387:                            ;   in Loop: Header=BB951_213 Depth=1
	s_or_b64 exec, exec, s[12:13]
	v_lshrrev_b16_e32 v40, 8, v38
	v_cmp_ne_u16_e32 vcc, 0, v40
	v_mov_b32_e32 v61, 0
	v_mov_b32_e32 v53, 0
	s_and_saveexec_b64 s[12:13], vcc
	s_cbranch_execz .LBB951_393
; %bb.388:                              ;   in Loop: Header=BB951_213 Depth=1
	v_cmp_ne_u16_e32 vcc, s9, v40
	v_mov_b32_e32 v53, 0xffff8000
	s_and_saveexec_b64 s[14:15], vcc
	s_cbranch_execz .LBB951_392
; %bb.389:                              ;   in Loop: Header=BB951_213 Depth=1
	v_and_b32_e32 v42, 0x7f, v40
	v_cmp_ne_u32_e32 vcc, s21, v42
	v_mov_b32_e32 v53, 0x7f80
	s_and_saveexec_b64 s[16:17], vcc
	s_cbranch_execz .LBB951_391
; %bb.390:                              ;   in Loop: Header=BB951_213 Depth=1
	v_and_b32_e32 v49, 7, v40
	v_ffbh_u32_e32 v62, v49
	v_min_u32_e32 v64, 32, v62
	v_subrev_u32_e32 v62, 28, v64
	v_lshlrev_b64 v[62:63], v62, v[40:41]
	v_lshrrev_b32_e32 v53, 3, v42
	v_sub_u32_e32 v40, 29, v64
	v_and_b32_e32 v62, 7, v62
	v_cmp_gt_u32_e32 vcc, 8, v42
	v_cndmask_b32_e32 v40, v53, v40, vcc
	v_cndmask_b32_e32 v42, v49, v62, vcc
	v_lshlrev_b32_e32 v49, 16, v38
	v_lshlrev_b32_e32 v42, 20, v42
	v_and_b32_e32 v49, 0x80000000, v49
	v_lshl_add_u32 v40, v40, 23, v48
	v_or3_b32 v40, v49, v40, v42
	v_lshrrev_b32_e32 v53, 16, v40
.LBB951_391:                            ;   in Loop: Header=BB951_213 Depth=1
	s_or_b64 exec, exec, s[16:17]
.LBB951_392:                            ;   in Loop: Header=BB951_213 Depth=1
	s_or_b64 exec, exec, s[14:15]
.LBB951_393:                            ;   in Loop: Header=BB951_213 Depth=1
	s_or_b64 exec, exec, s[12:13]
	v_lshrrev_b32_e32 v40, 16, v38
	v_cmp_ne_u16_sdwa s[14:15], v40, v47 src0_sel:BYTE_0 src1_sel:DWORD
	s_and_saveexec_b64 s[12:13], s[14:15]
	s_cbranch_execz .LBB951_399
; %bb.394:                              ;   in Loop: Header=BB951_213 Depth=1
	v_cmp_ne_u16_sdwa s[16:17], v40, s9 src0_sel:BYTE_0 src1_sel:DWORD
	v_mov_b32_e32 v61, 0xffff8000
	s_and_saveexec_b64 s[14:15], s[16:17]
	s_cbranch_execz .LBB951_398
; %bb.395:                              ;   in Loop: Header=BB951_213 Depth=1
	v_bfe_u32 v42, v38, 16, 7
	v_cmp_ne_u32_e32 vcc, s21, v42
	v_mov_b32_e32 v61, 0x7f80
	s_and_saveexec_b64 s[16:17], vcc
	s_cbranch_execz .LBB951_397
; %bb.396:                              ;   in Loop: Header=BB951_213 Depth=1
	v_and_b32_e32 v49, 7, v40
	v_ffbh_u32_e32 v62, v49
	v_min_u32_e32 v64, 32, v62
	v_subrev_u32_e32 v62, 28, v64
	v_lshlrev_b64 v[62:63], v62, v[40:41]
	v_lshrrev_b32_e32 v61, 3, v42
	v_sub_u32_e32 v63, 29, v64
	v_and_b32_e32 v62, 7, v62
	v_cmp_gt_u32_e32 vcc, 8, v42
	v_cndmask_b32_e32 v42, v61, v63, vcc
	v_cndmask_b32_e32 v49, v49, v62, vcc
	v_lshlrev_b32_e32 v40, 24, v40
	v_lshlrev_b32_e32 v49, 20, v49
	v_and_b32_e32 v40, 0x80000000, v40
	v_lshl_add_u32 v42, v42, 23, v48
	v_or3_b32 v40, v40, v42, v49
	v_lshrrev_b32_e32 v61, 16, v40
.LBB951_397:                            ;   in Loop: Header=BB951_213 Depth=1
	s_or_b64 exec, exec, s[16:17]
.LBB951_398:                            ;   in Loop: Header=BB951_213 Depth=1
	s_or_b64 exec, exec, s[14:15]
.LBB951_399:                            ;   in Loop: Header=BB951_213 Depth=1
	s_or_b64 exec, exec, s[12:13]
	v_cmp_lt_u32_e32 vcc, s22, v38
	v_mov_b32_e32 v49, 0
	v_mov_b32_e32 v62, 0
	s_and_saveexec_b64 s[12:13], vcc
	s_cbranch_execz .LBB951_405
; %bb.400:                              ;   in Loop: Header=BB951_213 Depth=1
	v_lshrrev_b32_e32 v40, 24, v38
	v_cmp_ne_u32_e32 vcc, s9, v40
	v_mov_b32_e32 v62, 0xffff8000
	s_and_saveexec_b64 s[14:15], vcc
	s_cbranch_execz .LBB951_404
; %bb.401:                              ;   in Loop: Header=BB951_213 Depth=1
	v_bfe_u32 v38, v38, 24, 7
	v_cmp_ne_u32_e32 vcc, s21, v38
	v_mov_b32_e32 v62, 0x7f80
	s_and_saveexec_b64 s[16:17], vcc
	s_cbranch_execz .LBB951_403
; %bb.402:                              ;   in Loop: Header=BB951_213 Depth=1
	v_and_b32_e32 v42, 7, v40
	v_ffbh_u32_e32 v62, v42
	v_min_u32_e32 v65, 32, v62
	v_subrev_u32_e32 v62, 28, v65
	v_lshlrev_b64 v[62:63], v62, v[40:41]
	v_lshrrev_b32_e32 v64, 3, v38
	v_sub_u32_e32 v63, 29, v65
	v_and_b32_e32 v62, 7, v62
	v_cmp_gt_u32_e32 vcc, 8, v38
	v_cndmask_b32_e32 v38, v64, v63, vcc
	v_cndmask_b32_e32 v42, v42, v62, vcc
	v_lshlrev_b32_e32 v40, 24, v40
	v_lshlrev_b32_e32 v42, 20, v42
	v_and_b32_e32 v40, 0x80000000, v40
	v_lshl_add_u32 v38, v38, 23, v48
	v_or3_b32 v38, v40, v38, v42
	v_lshrrev_b32_e32 v62, 16, v38
.LBB951_403:                            ;   in Loop: Header=BB951_213 Depth=1
	s_or_b64 exec, exec, s[16:17]
.LBB951_404:                            ;   in Loop: Header=BB951_213 Depth=1
	s_or_b64 exec, exec, s[14:15]
.LBB951_405:                            ;   in Loop: Header=BB951_213 Depth=1
	s_or_b64 exec, exec, s[12:13]
	v_perm_b32 v64, v44, v46, s23
	buffer_load_dword v44, v60, s[0:3], 0 offen
	buffer_load_dword v42, v60, s[0:3], 0 offen offset:4
	buffer_load_dword v40, v60, s[0:3], 0 offen offset:8
	;; [unrolled: 1-line block ×3, first 2 shown]
	v_perm_b32 v65, v52, v50, s23
	v_perm_b32 v61, v62, v61, s23
	;; [unrolled: 1-line block ×3, first 2 shown]
	v_mfma_f32_16x16x16bf16_1k v[34:37], v[64:65], v[14:15], v[34:37]
	s_waitcnt vmcnt(3)
	v_cmp_ne_u16_sdwa s[14:15], v44, v47 src0_sel:BYTE_0 src1_sel:DWORD
	v_mfma_f32_16x16x16bf16_1k v[34:37], v[60:61], v[16:17], v[34:37]
	s_and_saveexec_b64 s[12:13], s[14:15]
	s_cbranch_execz .LBB951_411
; %bb.406:                              ;   in Loop: Header=BB951_213 Depth=1
	v_cmp_ne_u16_sdwa s[16:17], v44, s9 src0_sel:BYTE_0 src1_sel:DWORD
	v_mov_b32_e32 v49, 0xffff8000
	s_and_saveexec_b64 s[14:15], s[16:17]
	s_cbranch_execz .LBB951_410
; %bb.407:                              ;   in Loop: Header=BB951_213 Depth=1
	v_and_b32_e32 v46, 0x7f, v44
	v_cmp_ne_u32_e32 vcc, s21, v46
	v_mov_b32_e32 v49, 0x7f80
	s_and_saveexec_b64 s[16:17], vcc
	s_cbranch_execz .LBB951_409
; %bb.408:                              ;   in Loop: Header=BB951_213 Depth=1
	v_and_b32_e32 v49, 7, v44
	v_ffbh_u32_e32 v50, v49
	v_min_u32_e32 v53, 32, v50
	v_subrev_u32_e32 v50, 28, v53
	v_lshlrev_b64 v[50:51], v50, v[44:45]
	v_lshrrev_b32_e32 v52, 3, v46
	v_sub_u32_e32 v51, 29, v53
	v_and_b32_e32 v50, 7, v50
	v_cmp_gt_u32_e32 vcc, 8, v46
	v_cndmask_b32_e32 v46, v52, v51, vcc
	v_cndmask_b32_e32 v49, v49, v50, vcc
	v_lshlrev_b32_e32 v50, 24, v44
	v_lshlrev_b32_e32 v49, 20, v49
	v_and_b32_e32 v50, 0x80000000, v50
	v_lshl_add_u32 v46, v46, 23, v48
	v_or3_b32 v46, v50, v46, v49
	v_lshrrev_b32_e32 v49, 16, v46
.LBB951_409:                            ;   in Loop: Header=BB951_213 Depth=1
	s_or_b64 exec, exec, s[16:17]
.LBB951_410:                            ;   in Loop: Header=BB951_213 Depth=1
	s_or_b64 exec, exec, s[14:15]
.LBB951_411:                            ;   in Loop: Header=BB951_213 Depth=1
	s_or_b64 exec, exec, s[12:13]
	v_lshrrev_b16_e32 v46, 8, v44
	v_cmp_ne_u16_e32 vcc, 0, v46
	v_mov_b32_e32 v51, 0
	v_mov_b32_e32 v50, 0
	s_and_saveexec_b64 s[12:13], vcc
	s_cbranch_execz .LBB951_417
; %bb.412:                              ;   in Loop: Header=BB951_213 Depth=1
	v_cmp_ne_u16_e32 vcc, s9, v46
	v_mov_b32_e32 v50, 0xffff8000
	s_and_saveexec_b64 s[14:15], vcc
	s_cbranch_execz .LBB951_416
; %bb.413:                              ;   in Loop: Header=BB951_213 Depth=1
	v_and_b32_e32 v52, 0x7f, v46
	v_cmp_ne_u32_e32 vcc, s21, v52
	v_mov_b32_e32 v50, 0x7f80
	s_and_saveexec_b64 s[16:17], vcc
	s_cbranch_execz .LBB951_415
; %bb.414:                              ;   in Loop: Header=BB951_213 Depth=1
	v_and_b32_e32 v50, 7, v46
	v_ffbh_u32_e32 v60, v50
	v_min_u32_e32 v62, 32, v60
	v_subrev_u32_e32 v60, 28, v62
	v_lshlrev_b64 v[60:61], v60, v[46:47]
	v_lshrrev_b32_e32 v53, 3, v52
	v_sub_u32_e32 v46, 29, v62
	v_and_b32_e32 v60, 7, v60
	v_cmp_gt_u32_e32 vcc, 8, v52
	v_cndmask_b32_e32 v46, v53, v46, vcc
	v_cndmask_b32_e32 v50, v50, v60, vcc
	v_lshlrev_b32_e32 v52, 16, v44
	v_lshlrev_b32_e32 v50, 20, v50
	v_and_b32_e32 v52, 0x80000000, v52
	v_lshl_add_u32 v46, v46, 23, v48
	v_or3_b32 v46, v52, v46, v50
	v_lshrrev_b32_e32 v50, 16, v46
.LBB951_415:                            ;   in Loop: Header=BB951_213 Depth=1
	s_or_b64 exec, exec, s[16:17]
.LBB951_416:                            ;   in Loop: Header=BB951_213 Depth=1
	s_or_b64 exec, exec, s[14:15]
.LBB951_417:                            ;   in Loop: Header=BB951_213 Depth=1
	s_or_b64 exec, exec, s[12:13]
	v_lshrrev_b32_e32 v46, 16, v44
	v_cmp_ne_u16_sdwa s[14:15], v46, v47 src0_sel:BYTE_0 src1_sel:DWORD
	s_and_saveexec_b64 s[12:13], s[14:15]
	s_cbranch_execz .LBB951_423
; %bb.418:                              ;   in Loop: Header=BB951_213 Depth=1
	v_cmp_ne_u16_sdwa s[16:17], v46, s9 src0_sel:BYTE_0 src1_sel:DWORD
	v_mov_b32_e32 v51, 0xffff8000
	s_and_saveexec_b64 s[14:15], s[16:17]
	s_cbranch_execz .LBB951_422
; %bb.419:                              ;   in Loop: Header=BB951_213 Depth=1
	v_bfe_u32 v52, v44, 16, 7
	v_cmp_ne_u32_e32 vcc, s21, v52
	v_mov_b32_e32 v51, 0x7f80
	s_and_saveexec_b64 s[16:17], vcc
	s_cbranch_execz .LBB951_421
; %bb.420:                              ;   in Loop: Header=BB951_213 Depth=1
	v_and_b32_e32 v51, 7, v46
	v_ffbh_u32_e32 v60, v51
	v_min_u32_e32 v62, 32, v60
	v_subrev_u32_e32 v60, 28, v62
	v_lshlrev_b64 v[60:61], v60, v[46:47]
	v_lshrrev_b32_e32 v53, 3, v52
	v_sub_u32_e32 v61, 29, v62
	v_and_b32_e32 v60, 7, v60
	v_cmp_gt_u32_e32 vcc, 8, v52
	v_cndmask_b32_e32 v52, v53, v61, vcc
	v_cndmask_b32_e32 v51, v51, v60, vcc
	v_lshlrev_b32_e32 v46, 24, v46
	v_lshlrev_b32_e32 v51, 20, v51
	v_and_b32_e32 v46, 0x80000000, v46
	v_lshl_add_u32 v52, v52, 23, v48
	v_or3_b32 v46, v46, v52, v51
	v_lshrrev_b32_e32 v51, 16, v46
.LBB951_421:                            ;   in Loop: Header=BB951_213 Depth=1
	s_or_b64 exec, exec, s[16:17]
.LBB951_422:                            ;   in Loop: Header=BB951_213 Depth=1
	s_or_b64 exec, exec, s[14:15]
.LBB951_423:                            ;   in Loop: Header=BB951_213 Depth=1
	s_or_b64 exec, exec, s[12:13]
	v_cmp_lt_u32_e32 vcc, s22, v44
	v_mov_b32_e32 v52, 0
	v_mov_b32_e32 v53, 0
	s_and_saveexec_b64 s[12:13], vcc
	s_cbranch_execz .LBB951_429
; %bb.424:                              ;   in Loop: Header=BB951_213 Depth=1
	v_lshrrev_b32_e32 v46, 24, v44
	v_cmp_ne_u32_e32 vcc, s9, v46
	v_mov_b32_e32 v53, 0xffff8000
	s_and_saveexec_b64 s[14:15], vcc
	s_cbranch_execz .LBB951_428
; %bb.425:                              ;   in Loop: Header=BB951_213 Depth=1
	v_bfe_u32 v44, v44, 24, 7
	v_cmp_ne_u32_e32 vcc, s21, v44
	v_mov_b32_e32 v53, 0x7f80
	s_and_saveexec_b64 s[16:17], vcc
	s_cbranch_execz .LBB951_427
; %bb.426:                              ;   in Loop: Header=BB951_213 Depth=1
	v_and_b32_e32 v53, 7, v46
	v_ffbh_u32_e32 v60, v53
	v_min_u32_e32 v63, 32, v60
	v_subrev_u32_e32 v60, 28, v63
	v_lshlrev_b64 v[60:61], v60, v[46:47]
	v_lshrrev_b32_e32 v62, 3, v44
	v_sub_u32_e32 v61, 29, v63
	v_and_b32_e32 v60, 7, v60
	v_cmp_gt_u32_e32 vcc, 8, v44
	v_cndmask_b32_e32 v44, v62, v61, vcc
	v_cndmask_b32_e32 v53, v53, v60, vcc
	v_lshlrev_b32_e32 v46, 24, v46
	v_lshlrev_b32_e32 v53, 20, v53
	v_and_b32_e32 v46, 0x80000000, v46
	v_lshl_add_u32 v44, v44, 23, v48
	v_or3_b32 v44, v46, v44, v53
	v_lshrrev_b32_e32 v53, 16, v44
.LBB951_427:                            ;   in Loop: Header=BB951_213 Depth=1
	s_or_b64 exec, exec, s[16:17]
.LBB951_428:                            ;   in Loop: Header=BB951_213 Depth=1
	s_or_b64 exec, exec, s[14:15]
.LBB951_429:                            ;   in Loop: Header=BB951_213 Depth=1
	s_or_b64 exec, exec, s[12:13]
	s_waitcnt vmcnt(2)
	v_cmp_ne_u16_sdwa s[14:15], v42, v47 src0_sel:BYTE_0 src1_sel:DWORD
	s_and_saveexec_b64 s[12:13], s[14:15]
	s_cbranch_execz .LBB951_435
; %bb.430:                              ;   in Loop: Header=BB951_213 Depth=1
	v_cmp_ne_u16_sdwa s[16:17], v42, s9 src0_sel:BYTE_0 src1_sel:DWORD
	v_mov_b32_e32 v52, 0xffff8000
	s_and_saveexec_b64 s[14:15], s[16:17]
	s_cbranch_execz .LBB951_434
; %bb.431:                              ;   in Loop: Header=BB951_213 Depth=1
	v_and_b32_e32 v44, 0x7f, v42
	v_cmp_ne_u32_e32 vcc, s21, v44
	v_mov_b32_e32 v52, 0x7f80
	s_and_saveexec_b64 s[16:17], vcc
	s_cbranch_execz .LBB951_433
; %bb.432:                              ;   in Loop: Header=BB951_213 Depth=1
	v_and_b32_e32 v46, 7, v42
	v_ffbh_u32_e32 v60, v46
	v_min_u32_e32 v62, 32, v60
	v_subrev_u32_e32 v60, 28, v62
	v_lshlrev_b64 v[60:61], v60, v[42:43]
	v_lshrrev_b32_e32 v52, 3, v44
	v_sub_u32_e32 v61, 29, v62
	v_and_b32_e32 v60, 7, v60
	v_cmp_gt_u32_e32 vcc, 8, v44
	v_cndmask_b32_e32 v44, v52, v61, vcc
	v_cndmask_b32_e32 v46, v46, v60, vcc
	v_lshlrev_b32_e32 v52, 24, v42
	v_lshlrev_b32_e32 v46, 20, v46
	v_and_b32_e32 v52, 0x80000000, v52
	v_lshl_add_u32 v44, v44, 23, v48
	v_or3_b32 v44, v52, v44, v46
	v_lshrrev_b32_e32 v52, 16, v44
.LBB951_433:                            ;   in Loop: Header=BB951_213 Depth=1
	s_or_b64 exec, exec, s[16:17]
.LBB951_434:                            ;   in Loop: Header=BB951_213 Depth=1
	s_or_b64 exec, exec, s[14:15]
.LBB951_435:                            ;   in Loop: Header=BB951_213 Depth=1
	s_or_b64 exec, exec, s[12:13]
	v_lshrrev_b16_e32 v44, 8, v42
	v_cmp_ne_u16_e32 vcc, 0, v44
	v_mov_b32_e32 v61, 0
	v_mov_b32_e32 v60, 0
	s_and_saveexec_b64 s[12:13], vcc
	s_cbranch_execz .LBB951_441
; %bb.436:                              ;   in Loop: Header=BB951_213 Depth=1
	v_cmp_ne_u16_e32 vcc, s9, v44
	v_mov_b32_e32 v60, 0xffff8000
	s_and_saveexec_b64 s[14:15], vcc
	s_cbranch_execz .LBB951_440
; %bb.437:                              ;   in Loop: Header=BB951_213 Depth=1
	v_and_b32_e32 v46, 0x7f, v44
	v_cmp_ne_u32_e32 vcc, s21, v46
	v_mov_b32_e32 v60, 0x7f80
	s_and_saveexec_b64 s[16:17], vcc
	s_cbranch_execz .LBB951_439
; %bb.438:                              ;   in Loop: Header=BB951_213 Depth=1
	v_and_b32_e32 v60, 7, v44
	v_ffbh_u32_e32 v62, v60
	v_min_u32_e32 v65, 32, v62
	v_subrev_u32_e32 v62, 28, v65
	v_lshlrev_b64 v[62:63], v62, v[44:45]
	v_lshrrev_b32_e32 v64, 3, v46
	v_sub_u32_e32 v44, 29, v65
	v_and_b32_e32 v62, 7, v62
	v_cmp_gt_u32_e32 vcc, 8, v46
	v_cndmask_b32_e32 v44, v64, v44, vcc
	v_cndmask_b32_e32 v46, v60, v62, vcc
	v_lshlrev_b32_e32 v60, 16, v42
	v_lshlrev_b32_e32 v46, 20, v46
	v_and_b32_e32 v60, 0x80000000, v60
	v_lshl_add_u32 v44, v44, 23, v48
	v_or3_b32 v44, v60, v44, v46
	v_lshrrev_b32_e32 v60, 16, v44
.LBB951_439:                            ;   in Loop: Header=BB951_213 Depth=1
	s_or_b64 exec, exec, s[16:17]
.LBB951_440:                            ;   in Loop: Header=BB951_213 Depth=1
	s_or_b64 exec, exec, s[14:15]
.LBB951_441:                            ;   in Loop: Header=BB951_213 Depth=1
	s_or_b64 exec, exec, s[12:13]
	v_lshrrev_b32_e32 v44, 16, v42
	v_cmp_ne_u16_sdwa s[14:15], v44, v47 src0_sel:BYTE_0 src1_sel:DWORD
	s_and_saveexec_b64 s[12:13], s[14:15]
	s_cbranch_execz .LBB951_447
; %bb.442:                              ;   in Loop: Header=BB951_213 Depth=1
	v_cmp_ne_u16_sdwa s[16:17], v44, s9 src0_sel:BYTE_0 src1_sel:DWORD
	v_mov_b32_e32 v61, 0xffff8000
	s_and_saveexec_b64 s[14:15], s[16:17]
	s_cbranch_execz .LBB951_446
; %bb.443:                              ;   in Loop: Header=BB951_213 Depth=1
	v_bfe_u32 v46, v42, 16, 7
	v_cmp_ne_u32_e32 vcc, s21, v46
	v_mov_b32_e32 v61, 0x7f80
	s_and_saveexec_b64 s[16:17], vcc
	s_cbranch_execz .LBB951_445
; %bb.444:                              ;   in Loop: Header=BB951_213 Depth=1
	v_and_b32_e32 v61, 7, v44
	v_ffbh_u32_e32 v62, v61
	v_min_u32_e32 v65, 32, v62
	v_subrev_u32_e32 v62, 28, v65
	v_lshlrev_b64 v[62:63], v62, v[44:45]
	v_lshrrev_b32_e32 v64, 3, v46
	v_sub_u32_e32 v63, 29, v65
	v_and_b32_e32 v62, 7, v62
	v_cmp_gt_u32_e32 vcc, 8, v46
	v_cndmask_b32_e32 v46, v64, v63, vcc
	v_cndmask_b32_e32 v61, v61, v62, vcc
	v_lshlrev_b32_e32 v44, 24, v44
	v_lshlrev_b32_e32 v61, 20, v61
	v_and_b32_e32 v44, 0x80000000, v44
	v_lshl_add_u32 v46, v46, 23, v48
	v_or3_b32 v44, v44, v46, v61
	v_lshrrev_b32_e32 v61, 16, v44
.LBB951_445:                            ;   in Loop: Header=BB951_213 Depth=1
	s_or_b64 exec, exec, s[16:17]
.LBB951_446:                            ;   in Loop: Header=BB951_213 Depth=1
	s_or_b64 exec, exec, s[14:15]
.LBB951_447:                            ;   in Loop: Header=BB951_213 Depth=1
	s_or_b64 exec, exec, s[12:13]
	v_cmp_lt_u32_e32 vcc, s22, v42
	v_mov_b32_e32 v46, 0
	v_mov_b32_e32 v62, 0
	s_and_saveexec_b64 s[12:13], vcc
	s_cbranch_execz .LBB951_453
; %bb.448:                              ;   in Loop: Header=BB951_213 Depth=1
	v_lshrrev_b32_e32 v44, 24, v42
	v_cmp_ne_u32_e32 vcc, s9, v44
	v_mov_b32_e32 v62, 0xffff8000
	s_and_saveexec_b64 s[14:15], vcc
	s_cbranch_execz .LBB951_452
; %bb.449:                              ;   in Loop: Header=BB951_213 Depth=1
	v_bfe_u32 v42, v42, 24, 7
	v_cmp_ne_u32_e32 vcc, s21, v42
	v_mov_b32_e32 v62, 0x7f80
	s_and_saveexec_b64 s[16:17], vcc
	s_cbranch_execz .LBB951_451
; %bb.450:                              ;   in Loop: Header=BB951_213 Depth=1
	v_and_b32_e32 v64, 7, v44
	v_ffbh_u32_e32 v62, v64
	v_min_u32_e32 v66, 32, v62
	v_subrev_u32_e32 v62, 28, v66
	v_lshlrev_b64 v[62:63], v62, v[44:45]
	v_lshrrev_b32_e32 v65, 3, v42
	v_sub_u32_e32 v63, 29, v66
	v_and_b32_e32 v62, 7, v62
	v_cmp_gt_u32_e32 vcc, 8, v42
	v_cndmask_b32_e32 v42, v65, v63, vcc
	v_cndmask_b32_e32 v62, v64, v62, vcc
	v_lshlrev_b32_e32 v44, 24, v44
	v_lshlrev_b32_e32 v62, 20, v62
	v_and_b32_e32 v44, 0x80000000, v44
	v_lshl_add_u32 v42, v42, 23, v48
	v_or3_b32 v42, v44, v42, v62
	v_lshrrev_b32_e32 v62, 16, v42
.LBB951_451:                            ;   in Loop: Header=BB951_213 Depth=1
	s_or_b64 exec, exec, s[16:17]
.LBB951_452:                            ;   in Loop: Header=BB951_213 Depth=1
	s_or_b64 exec, exec, s[14:15]
.LBB951_453:                            ;   in Loop: Header=BB951_213 Depth=1
	s_or_b64 exec, exec, s[12:13]
	v_perm_b32 v51, v53, v51, s23
	v_perm_b32 v50, v50, v49, s23
	s_waitcnt vmcnt(1)
	v_cmp_ne_u16_sdwa s[14:15], v40, v47 src0_sel:BYTE_0 src1_sel:DWORD
	v_mfma_f32_16x16x16bf16_1k v[34:37], v[50:51], v[18:19], v[34:37]
	v_perm_b32 v51, v62, v61, s23
	v_perm_b32 v50, v60, v52, s23
	s_nop 1
	v_mfma_f32_16x16x16bf16_1k v[34:37], v[50:51], v[20:21], v[34:37]
	s_and_saveexec_b64 s[12:13], s[14:15]
	s_cbranch_execz .LBB951_459
; %bb.454:                              ;   in Loop: Header=BB951_213 Depth=1
	v_cmp_ne_u16_sdwa s[16:17], v40, s9 src0_sel:BYTE_0 src1_sel:DWORD
	v_mov_b32_e32 v46, 0xffff8000
	s_and_saveexec_b64 s[14:15], s[16:17]
	s_cbranch_execz .LBB951_458
; %bb.455:                              ;   in Loop: Header=BB951_213 Depth=1
	v_and_b32_e32 v42, 0x7f, v40
	v_cmp_ne_u32_e32 vcc, s21, v42
	v_mov_b32_e32 v46, 0x7f80
	s_and_saveexec_b64 s[16:17], vcc
	s_cbranch_execz .LBB951_457
; %bb.456:                              ;   in Loop: Header=BB951_213 Depth=1
	v_and_b32_e32 v44, 7, v40
	v_ffbh_u32_e32 v49, v44
	v_min_u32_e32 v49, 32, v49
	v_subrev_u32_e32 v50, 28, v49
	v_lshlrev_b64 v[50:51], v50, v[40:41]
	v_lshrrev_b32_e32 v46, 3, v42
	v_sub_u32_e32 v49, 29, v49
	v_and_b32_e32 v50, 7, v50
	v_cmp_gt_u32_e32 vcc, 8, v42
	v_cndmask_b32_e32 v42, v46, v49, vcc
	v_cndmask_b32_e32 v44, v44, v50, vcc
	v_lshlrev_b32_e32 v46, 24, v40
	v_lshlrev_b32_e32 v44, 20, v44
	v_and_b32_e32 v46, 0x80000000, v46
	v_lshl_add_u32 v42, v42, 23, v48
	v_or3_b32 v42, v46, v42, v44
	v_lshrrev_b32_e32 v46, 16, v42
.LBB951_457:                            ;   in Loop: Header=BB951_213 Depth=1
	s_or_b64 exec, exec, s[16:17]
.LBB951_458:                            ;   in Loop: Header=BB951_213 Depth=1
	s_or_b64 exec, exec, s[14:15]
.LBB951_459:                            ;   in Loop: Header=BB951_213 Depth=1
	s_or_b64 exec, exec, s[12:13]
	v_lshrrev_b16_e32 v42, 8, v40
	v_cmp_ne_u16_e32 vcc, 0, v42
	v_mov_b32_e32 v50, 0
	v_mov_b32_e32 v44, 0
	s_and_saveexec_b64 s[12:13], vcc
	s_cbranch_execz .LBB951_465
; %bb.460:                              ;   in Loop: Header=BB951_213 Depth=1
	v_cmp_ne_u16_e32 vcc, s9, v42
	v_mov_b32_e32 v44, 0xffff8000
	s_and_saveexec_b64 s[14:15], vcc
	s_cbranch_execz .LBB951_464
; %bb.461:                              ;   in Loop: Header=BB951_213 Depth=1
	v_and_b32_e32 v49, 0x7f, v42
	v_cmp_ne_u32_e32 vcc, s21, v49
	v_mov_b32_e32 v44, 0x7f80
	s_and_saveexec_b64 s[16:17], vcc
	s_cbranch_execz .LBB951_463
; %bb.462:                              ;   in Loop: Header=BB951_213 Depth=1
	v_and_b32_e32 v44, 7, v42
	v_ffbh_u32_e32 v52, v44
	v_min_u32_e32 v60, 32, v52
	v_subrev_u32_e32 v52, 28, v60
	v_lshlrev_b64 v[52:53], v52, v[42:43]
	v_lshrrev_b32_e32 v51, 3, v49
	v_sub_u32_e32 v42, 29, v60
	v_and_b32_e32 v52, 7, v52
	v_cmp_gt_u32_e32 vcc, 8, v49
	v_cndmask_b32_e32 v42, v51, v42, vcc
	v_cndmask_b32_e32 v44, v44, v52, vcc
	v_lshlrev_b32_e32 v49, 16, v40
	v_lshlrev_b32_e32 v44, 20, v44
	v_and_b32_e32 v49, 0x80000000, v49
	v_lshl_add_u32 v42, v42, 23, v48
	v_or3_b32 v42, v49, v42, v44
	v_lshrrev_b32_e32 v44, 16, v42
.LBB951_463:                            ;   in Loop: Header=BB951_213 Depth=1
	s_or_b64 exec, exec, s[16:17]
.LBB951_464:                            ;   in Loop: Header=BB951_213 Depth=1
	s_or_b64 exec, exec, s[14:15]
.LBB951_465:                            ;   in Loop: Header=BB951_213 Depth=1
	s_or_b64 exec, exec, s[12:13]
	v_lshrrev_b32_e32 v42, 16, v40
	v_cmp_ne_u16_sdwa s[14:15], v42, v47 src0_sel:BYTE_0 src1_sel:DWORD
	s_and_saveexec_b64 s[12:13], s[14:15]
	s_cbranch_execz .LBB951_471
; %bb.466:                              ;   in Loop: Header=BB951_213 Depth=1
	v_cmp_ne_u16_sdwa s[16:17], v42, s9 src0_sel:BYTE_0 src1_sel:DWORD
	v_mov_b32_e32 v50, 0xffff8000
	s_and_saveexec_b64 s[14:15], s[16:17]
	s_cbranch_execz .LBB951_470
; %bb.467:                              ;   in Loop: Header=BB951_213 Depth=1
	v_bfe_u32 v49, v40, 16, 7
	v_cmp_ne_u32_e32 vcc, s21, v49
	v_mov_b32_e32 v50, 0x7f80
	s_and_saveexec_b64 s[16:17], vcc
	s_cbranch_execz .LBB951_469
; %bb.468:                              ;   in Loop: Header=BB951_213 Depth=1
	v_and_b32_e32 v52, 7, v42
	v_ffbh_u32_e32 v50, v52
	v_min_u32_e32 v60, 32, v50
	v_subrev_u32_e32 v50, 28, v60
	v_lshlrev_b64 v[50:51], v50, v[42:43]
	v_lshrrev_b32_e32 v53, 3, v49
	v_sub_u32_e32 v51, 29, v60
	v_and_b32_e32 v50, 7, v50
	v_cmp_gt_u32_e32 vcc, 8, v49
	v_cndmask_b32_e32 v49, v53, v51, vcc
	v_cndmask_b32_e32 v50, v52, v50, vcc
	v_lshlrev_b32_e32 v42, 24, v42
	v_lshlrev_b32_e32 v50, 20, v50
	v_and_b32_e32 v42, 0x80000000, v42
	v_lshl_add_u32 v49, v49, 23, v48
	v_or3_b32 v42, v42, v49, v50
	v_lshrrev_b32_e32 v50, 16, v42
.LBB951_469:                            ;   in Loop: Header=BB951_213 Depth=1
	s_or_b64 exec, exec, s[16:17]
.LBB951_470:                            ;   in Loop: Header=BB951_213 Depth=1
	s_or_b64 exec, exec, s[14:15]
.LBB951_471:                            ;   in Loop: Header=BB951_213 Depth=1
	s_or_b64 exec, exec, s[12:13]
	v_cmp_lt_u32_e32 vcc, s22, v40
	v_mov_b32_e32 v51, 0
	v_mov_b32_e32 v52, 0
	s_and_saveexec_b64 s[12:13], vcc
	s_cbranch_execz .LBB951_477
; %bb.472:                              ;   in Loop: Header=BB951_213 Depth=1
	v_lshrrev_b32_e32 v42, 24, v40
	v_cmp_ne_u32_e32 vcc, s9, v42
	v_mov_b32_e32 v52, 0xffff8000
	s_and_saveexec_b64 s[14:15], vcc
	s_cbranch_execz .LBB951_476
; %bb.473:                              ;   in Loop: Header=BB951_213 Depth=1
	v_bfe_u32 v40, v40, 24, 7
	v_cmp_ne_u32_e32 vcc, s21, v40
	v_mov_b32_e32 v52, 0x7f80
	s_and_saveexec_b64 s[16:17], vcc
	s_cbranch_execz .LBB951_475
; %bb.474:                              ;   in Loop: Header=BB951_213 Depth=1
	v_and_b32_e32 v49, 7, v42
	v_ffbh_u32_e32 v52, v49
	v_min_u32_e32 v61, 32, v52
	v_subrev_u32_e32 v52, 28, v61
	v_lshlrev_b64 v[52:53], v52, v[42:43]
	v_lshrrev_b32_e32 v60, 3, v40
	v_sub_u32_e32 v53, 29, v61
	v_and_b32_e32 v52, 7, v52
	v_cmp_gt_u32_e32 vcc, 8, v40
	v_cndmask_b32_e32 v40, v60, v53, vcc
	v_cndmask_b32_e32 v49, v49, v52, vcc
	v_lshlrev_b32_e32 v42, 24, v42
	v_lshlrev_b32_e32 v49, 20, v49
	v_and_b32_e32 v42, 0x80000000, v42
	v_lshl_add_u32 v40, v40, 23, v48
	v_or3_b32 v40, v42, v40, v49
	v_lshrrev_b32_e32 v52, 16, v40
.LBB951_475:                            ;   in Loop: Header=BB951_213 Depth=1
	s_or_b64 exec, exec, s[16:17]
.LBB951_476:                            ;   in Loop: Header=BB951_213 Depth=1
	s_or_b64 exec, exec, s[14:15]
.LBB951_477:                            ;   in Loop: Header=BB951_213 Depth=1
	s_or_b64 exec, exec, s[12:13]
	s_waitcnt vmcnt(0)
	v_cmp_ne_u16_sdwa s[14:15], v38, v47 src0_sel:BYTE_0 src1_sel:DWORD
	s_and_saveexec_b64 s[12:13], s[14:15]
	s_cbranch_execz .LBB951_483
; %bb.478:                              ;   in Loop: Header=BB951_213 Depth=1
	v_cmp_ne_u16_sdwa s[16:17], v38, s9 src0_sel:BYTE_0 src1_sel:DWORD
	v_mov_b32_e32 v51, 0xffff8000
	s_and_saveexec_b64 s[14:15], s[16:17]
	s_cbranch_execz .LBB951_482
; %bb.479:                              ;   in Loop: Header=BB951_213 Depth=1
	v_and_b32_e32 v40, 0x7f, v38
	v_cmp_ne_u32_e32 vcc, s21, v40
	v_mov_b32_e32 v51, 0x7f80
	s_and_saveexec_b64 s[16:17], vcc
	s_cbranch_execz .LBB951_481
; %bb.480:                              ;   in Loop: Header=BB951_213 Depth=1
	v_and_b32_e32 v42, 7, v38
	v_ffbh_u32_e32 v51, v42
	v_min_u32_e32 v51, 32, v51
	v_subrev_u32_e32 v53, 28, v51
	v_lshlrev_b64 v[60:61], v53, v[38:39]
	v_lshrrev_b32_e32 v49, 3, v40
	v_sub_u32_e32 v51, 29, v51
	v_and_b32_e32 v53, 7, v60
	v_cmp_gt_u32_e32 vcc, 8, v40
	v_cndmask_b32_e32 v40, v49, v51, vcc
	v_cndmask_b32_e32 v42, v42, v53, vcc
	v_lshlrev_b32_e32 v49, 24, v38
	v_lshlrev_b32_e32 v42, 20, v42
	v_and_b32_e32 v49, 0x80000000, v49
	v_lshl_add_u32 v40, v40, 23, v48
	v_or3_b32 v40, v49, v40, v42
	v_lshrrev_b32_e32 v51, 16, v40
.LBB951_481:                            ;   in Loop: Header=BB951_213 Depth=1
	s_or_b64 exec, exec, s[16:17]
.LBB951_482:                            ;   in Loop: Header=BB951_213 Depth=1
	s_or_b64 exec, exec, s[14:15]
.LBB951_483:                            ;   in Loop: Header=BB951_213 Depth=1
	s_or_b64 exec, exec, s[12:13]
	v_lshrrev_b16_e32 v40, 8, v38
	v_cmp_ne_u16_e32 vcc, 0, v40
	v_mov_b32_e32 v60, 0
	v_mov_b32_e32 v53, 0
	s_and_saveexec_b64 s[12:13], vcc
	s_cbranch_execz .LBB951_489
; %bb.484:                              ;   in Loop: Header=BB951_213 Depth=1
	v_cmp_ne_u16_e32 vcc, s9, v40
	v_mov_b32_e32 v53, 0xffff8000
	s_and_saveexec_b64 s[14:15], vcc
	s_cbranch_execz .LBB951_488
; %bb.485:                              ;   in Loop: Header=BB951_213 Depth=1
	v_and_b32_e32 v42, 0x7f, v40
	v_cmp_ne_u32_e32 vcc, s21, v42
	v_mov_b32_e32 v53, 0x7f80
	s_and_saveexec_b64 s[16:17], vcc
	s_cbranch_execz .LBB951_487
; %bb.486:                              ;   in Loop: Header=BB951_213 Depth=1
	v_and_b32_e32 v49, 7, v40
	v_ffbh_u32_e32 v61, v49
	v_min_u32_e32 v61, 32, v61
	v_subrev_u32_e32 v62, 28, v61
	v_lshlrev_b64 v[62:63], v62, v[40:41]
	v_lshrrev_b32_e32 v53, 3, v42
	v_sub_u32_e32 v40, 29, v61
	v_and_b32_e32 v61, 7, v62
	v_cmp_gt_u32_e32 vcc, 8, v42
	v_cndmask_b32_e32 v40, v53, v40, vcc
	v_cndmask_b32_e32 v42, v49, v61, vcc
	v_lshlrev_b32_e32 v49, 16, v38
	v_lshlrev_b32_e32 v42, 20, v42
	v_and_b32_e32 v49, 0x80000000, v49
	v_lshl_add_u32 v40, v40, 23, v48
	v_or3_b32 v40, v49, v40, v42
	v_lshrrev_b32_e32 v53, 16, v40
.LBB951_487:                            ;   in Loop: Header=BB951_213 Depth=1
	s_or_b64 exec, exec, s[16:17]
.LBB951_488:                            ;   in Loop: Header=BB951_213 Depth=1
	s_or_b64 exec, exec, s[14:15]
.LBB951_489:                            ;   in Loop: Header=BB951_213 Depth=1
	s_or_b64 exec, exec, s[12:13]
	v_lshrrev_b32_e32 v40, 16, v38
	v_cmp_ne_u16_sdwa s[14:15], v40, v47 src0_sel:BYTE_0 src1_sel:DWORD
	s_and_saveexec_b64 s[12:13], s[14:15]
	s_cbranch_execz .LBB951_495
; %bb.490:                              ;   in Loop: Header=BB951_213 Depth=1
	v_cmp_ne_u16_sdwa s[16:17], v40, s9 src0_sel:BYTE_0 src1_sel:DWORD
	v_mov_b32_e32 v60, 0xffff8000
	s_and_saveexec_b64 s[14:15], s[16:17]
	s_cbranch_execz .LBB951_494
; %bb.491:                              ;   in Loop: Header=BB951_213 Depth=1
	v_bfe_u32 v42, v38, 16, 7
	v_cmp_ne_u32_e32 vcc, s21, v42
	v_mov_b32_e32 v60, 0x7f80
	s_and_saveexec_b64 s[16:17], vcc
	s_cbranch_execz .LBB951_493
; %bb.492:                              ;   in Loop: Header=BB951_213 Depth=1
	v_and_b32_e32 v49, 7, v40
	v_ffbh_u32_e32 v60, v49
	v_min_u32_e32 v63, 32, v60
	v_subrev_u32_e32 v60, 28, v63
	v_lshlrev_b64 v[60:61], v60, v[40:41]
	v_lshrrev_b32_e32 v62, 3, v42
	v_sub_u32_e32 v61, 29, v63
	v_and_b32_e32 v60, 7, v60
	v_cmp_gt_u32_e32 vcc, 8, v42
	v_cndmask_b32_e32 v42, v62, v61, vcc
	v_cndmask_b32_e32 v49, v49, v60, vcc
	v_lshlrev_b32_e32 v40, 24, v40
	v_lshlrev_b32_e32 v49, 20, v49
	v_and_b32_e32 v40, 0x80000000, v40
	v_lshl_add_u32 v42, v42, 23, v48
	v_or3_b32 v40, v40, v42, v49
	v_lshrrev_b32_e32 v60, 16, v40
.LBB951_493:                            ;   in Loop: Header=BB951_213 Depth=1
	s_or_b64 exec, exec, s[16:17]
.LBB951_494:                            ;   in Loop: Header=BB951_213 Depth=1
	s_or_b64 exec, exec, s[14:15]
.LBB951_495:                            ;   in Loop: Header=BB951_213 Depth=1
	s_or_b64 exec, exec, s[12:13]
	v_cmp_lt_u32_e32 vcc, s22, v38
	v_mov_b32_e32 v49, 0
	v_mov_b32_e32 v61, 0
	s_and_saveexec_b64 s[12:13], vcc
	s_cbranch_execz .LBB951_501
; %bb.496:                              ;   in Loop: Header=BB951_213 Depth=1
	v_lshrrev_b32_e32 v40, 24, v38
	v_cmp_ne_u32_e32 vcc, s9, v40
	v_mov_b32_e32 v61, 0xffff8000
	s_and_saveexec_b64 s[14:15], vcc
	s_cbranch_execz .LBB951_500
; %bb.497:                              ;   in Loop: Header=BB951_213 Depth=1
	v_bfe_u32 v38, v38, 24, 7
	v_cmp_ne_u32_e32 vcc, s21, v38
	v_mov_b32_e32 v61, 0x7f80
	s_and_saveexec_b64 s[16:17], vcc
	s_cbranch_execz .LBB951_499
; %bb.498:                              ;   in Loop: Header=BB951_213 Depth=1
	v_and_b32_e32 v42, 7, v40
	v_ffbh_u32_e32 v62, v42
	v_min_u32_e32 v64, 32, v62
	v_subrev_u32_e32 v62, 28, v64
	v_lshlrev_b64 v[62:63], v62, v[40:41]
	v_lshrrev_b32_e32 v61, 3, v38
	v_sub_u32_e32 v63, 29, v64
	v_and_b32_e32 v62, 7, v62
	v_cmp_gt_u32_e32 vcc, 8, v38
	v_cndmask_b32_e32 v38, v61, v63, vcc
	v_cndmask_b32_e32 v42, v42, v62, vcc
	v_lshlrev_b32_e32 v40, 24, v40
	v_lshlrev_b32_e32 v42, 20, v42
	v_and_b32_e32 v40, 0x80000000, v40
	v_lshl_add_u32 v38, v38, 23, v48
	v_or3_b32 v38, v40, v38, v42
	v_lshrrev_b32_e32 v61, 16, v38
.LBB951_499:                            ;   in Loop: Header=BB951_213 Depth=1
	s_or_b64 exec, exec, s[16:17]
.LBB951_500:                            ;   in Loop: Header=BB951_213 Depth=1
	s_or_b64 exec, exec, s[14:15]
.LBB951_501:                            ;   in Loop: Header=BB951_213 Depth=1
	s_or_b64 exec, exec, s[12:13]
	v_perm_b32 v62, v44, v46, s23
	buffer_load_dword v44, v41, s[0:3], 0 offen
	buffer_load_dword v42, v41, s[0:3], 0 offen offset:4
	buffer_load_dword v40, v41, s[0:3], 0 offen offset:8
	;; [unrolled: 1-line block ×3, first 2 shown]
	v_perm_b32 v63, v52, v50, s23
	v_perm_b32 v61, v61, v60, s23
	;; [unrolled: 1-line block ×3, first 2 shown]
	v_mfma_f32_16x16x16bf16_1k v[34:37], v[62:63], v[22:23], v[34:37]
	s_waitcnt vmcnt(3)
	v_cmp_ne_u16_sdwa s[14:15], v44, v47 src0_sel:BYTE_0 src1_sel:DWORD
	v_mfma_f32_16x16x16bf16_1k v[34:37], v[60:61], v[24:25], v[34:37]
	s_and_saveexec_b64 s[12:13], s[14:15]
	s_cbranch_execz .LBB951_507
; %bb.502:                              ;   in Loop: Header=BB951_213 Depth=1
	v_cmp_ne_u16_sdwa s[16:17], v44, s9 src0_sel:BYTE_0 src1_sel:DWORD
	v_mov_b32_e32 v49, 0xffff8000
	s_and_saveexec_b64 s[14:15], s[16:17]
	s_cbranch_execz .LBB951_506
; %bb.503:                              ;   in Loop: Header=BB951_213 Depth=1
	v_and_b32_e32 v41, 0x7f, v44
	v_cmp_ne_u32_e32 vcc, s21, v41
	v_mov_b32_e32 v49, 0x7f80
	s_and_saveexec_b64 s[16:17], vcc
	s_cbranch_execz .LBB951_505
; %bb.504:                              ;   in Loop: Header=BB951_213 Depth=1
	v_and_b32_e32 v46, 7, v44
	v_ffbh_u32_e32 v50, v46
	v_min_u32_e32 v52, 32, v50
	v_subrev_u32_e32 v50, 28, v52
	v_lshlrev_b64 v[50:51], v50, v[44:45]
	v_lshrrev_b32_e32 v49, 3, v41
	v_sub_u32_e32 v51, 29, v52
	v_and_b32_e32 v50, 7, v50
	v_cmp_gt_u32_e32 vcc, 8, v41
	v_cndmask_b32_e32 v41, v49, v51, vcc
	v_cndmask_b32_e32 v46, v46, v50, vcc
	v_lshlrev_b32_e32 v49, 24, v44
	v_lshlrev_b32_e32 v46, 20, v46
	v_and_b32_e32 v49, 0x80000000, v49
	v_lshl_add_u32 v41, v41, 23, v48
	v_or3_b32 v41, v49, v41, v46
	v_lshrrev_b32_e32 v49, 16, v41
.LBB951_505:                            ;   in Loop: Header=BB951_213 Depth=1
	s_or_b64 exec, exec, s[16:17]
.LBB951_506:                            ;   in Loop: Header=BB951_213 Depth=1
	s_or_b64 exec, exec, s[14:15]
.LBB951_507:                            ;   in Loop: Header=BB951_213 Depth=1
	s_or_b64 exec, exec, s[12:13]
	v_lshrrev_b16_e32 v46, 8, v44
	v_cmp_ne_u16_e32 vcc, 0, v46
	v_mov_b32_e32 v51, 0
	v_mov_b32_e32 v50, 0
	s_and_saveexec_b64 s[12:13], vcc
	s_cbranch_execz .LBB951_513
; %bb.508:                              ;   in Loop: Header=BB951_213 Depth=1
	v_cmp_ne_u16_e32 vcc, s9, v46
	v_mov_b32_e32 v50, 0xffff8000
	s_and_saveexec_b64 s[14:15], vcc
	s_cbranch_execz .LBB951_512
; %bb.509:                              ;   in Loop: Header=BB951_213 Depth=1
	v_and_b32_e32 v41, 0x7f, v46
	v_cmp_ne_u32_e32 vcc, s21, v41
	v_mov_b32_e32 v50, 0x7f80
	s_and_saveexec_b64 s[16:17], vcc
	s_cbranch_execz .LBB951_511
; %bb.510:                              ;   in Loop: Header=BB951_213 Depth=1
	v_and_b32_e32 v50, 7, v46
	v_ffbh_u32_e32 v52, v50
	v_min_u32_e32 v61, 32, v52
	v_subrev_u32_e32 v52, 28, v61
	v_lshlrev_b64 v[52:53], v52, v[46:47]
	v_lshrrev_b32_e32 v60, 3, v41
	v_sub_u32_e32 v46, 29, v61
	v_and_b32_e32 v52, 7, v52
	v_cmp_gt_u32_e32 vcc, 8, v41
	v_cndmask_b32_e32 v41, v60, v46, vcc
	v_cndmask_b32_e32 v46, v50, v52, vcc
	v_lshlrev_b32_e32 v50, 16, v44
	v_lshlrev_b32_e32 v46, 20, v46
	v_and_b32_e32 v50, 0x80000000, v50
	v_lshl_add_u32 v41, v41, 23, v48
	v_or3_b32 v41, v50, v41, v46
	v_lshrrev_b32_e32 v50, 16, v41
.LBB951_511:                            ;   in Loop: Header=BB951_213 Depth=1
	s_or_b64 exec, exec, s[16:17]
.LBB951_512:                            ;   in Loop: Header=BB951_213 Depth=1
	s_or_b64 exec, exec, s[14:15]
.LBB951_513:                            ;   in Loop: Header=BB951_213 Depth=1
	s_or_b64 exec, exec, s[12:13]
	v_lshrrev_b32_e32 v46, 16, v44
	v_cmp_ne_u16_sdwa s[14:15], v46, v47 src0_sel:BYTE_0 src1_sel:DWORD
	s_and_saveexec_b64 s[12:13], s[14:15]
	s_cbranch_execz .LBB951_519
; %bb.514:                              ;   in Loop: Header=BB951_213 Depth=1
	v_cmp_ne_u16_sdwa s[16:17], v46, s9 src0_sel:BYTE_0 src1_sel:DWORD
	v_mov_b32_e32 v51, 0xffff8000
	s_and_saveexec_b64 s[14:15], s[16:17]
	s_cbranch_execz .LBB951_518
; %bb.515:                              ;   in Loop: Header=BB951_213 Depth=1
	v_bfe_u32 v41, v44, 16, 7
	v_cmp_ne_u32_e32 vcc, s21, v41
	v_mov_b32_e32 v51, 0x7f80
	s_and_saveexec_b64 s[16:17], vcc
	s_cbranch_execz .LBB951_517
; %bb.516:                              ;   in Loop: Header=BB951_213 Depth=1
	v_and_b32_e32 v51, 7, v46
	v_ffbh_u32_e32 v52, v51
	v_min_u32_e32 v61, 32, v52
	v_subrev_u32_e32 v52, 28, v61
	v_lshlrev_b64 v[52:53], v52, v[46:47]
	v_lshrrev_b32_e32 v60, 3, v41
	v_sub_u32_e32 v53, 29, v61
	v_and_b32_e32 v52, 7, v52
	v_cmp_gt_u32_e32 vcc, 8, v41
	v_cndmask_b32_e32 v41, v60, v53, vcc
	v_cndmask_b32_e32 v51, v51, v52, vcc
	v_lshlrev_b32_e32 v46, 24, v46
	v_lshlrev_b32_e32 v51, 20, v51
	v_and_b32_e32 v46, 0x80000000, v46
	v_lshl_add_u32 v41, v41, 23, v48
	v_or3_b32 v41, v46, v41, v51
	v_lshrrev_b32_e32 v51, 16, v41
.LBB951_517:                            ;   in Loop: Header=BB951_213 Depth=1
	s_or_b64 exec, exec, s[16:17]
.LBB951_518:                            ;   in Loop: Header=BB951_213 Depth=1
	s_or_b64 exec, exec, s[14:15]
.LBB951_519:                            ;   in Loop: Header=BB951_213 Depth=1
	s_or_b64 exec, exec, s[12:13]
	v_cmp_lt_u32_e32 vcc, s22, v44
	v_mov_b32_e32 v52, 0
	v_mov_b32_e32 v53, 0
	s_and_saveexec_b64 s[12:13], vcc
	s_cbranch_execz .LBB951_525
; %bb.520:                              ;   in Loop: Header=BB951_213 Depth=1
	v_lshrrev_b32_e32 v46, 24, v44
	v_cmp_ne_u32_e32 vcc, s9, v46
	v_mov_b32_e32 v53, 0xffff8000
	s_and_saveexec_b64 s[14:15], vcc
	s_cbranch_execz .LBB951_524
; %bb.521:                              ;   in Loop: Header=BB951_213 Depth=1
	v_bfe_u32 v41, v44, 24, 7
	v_cmp_ne_u32_e32 vcc, s21, v41
	v_mov_b32_e32 v53, 0x7f80
	s_and_saveexec_b64 s[16:17], vcc
	s_cbranch_execz .LBB951_523
; %bb.522:                              ;   in Loop: Header=BB951_213 Depth=1
	v_and_b32_e32 v44, 7, v46
	v_ffbh_u32_e32 v60, v44
	v_min_u32_e32 v62, 32, v60
	v_subrev_u32_e32 v60, 28, v62
	v_lshlrev_b64 v[60:61], v60, v[46:47]
	v_lshrrev_b32_e32 v53, 3, v41
	v_sub_u32_e32 v61, 29, v62
	v_and_b32_e32 v60, 7, v60
	v_cmp_gt_u32_e32 vcc, 8, v41
	v_cndmask_b32_e32 v41, v53, v61, vcc
	v_cndmask_b32_e32 v44, v44, v60, vcc
	v_lshlrev_b32_e32 v46, 24, v46
	v_lshlrev_b32_e32 v44, 20, v44
	v_and_b32_e32 v46, 0x80000000, v46
	v_lshl_add_u32 v41, v41, 23, v48
	v_or3_b32 v41, v46, v41, v44
	v_lshrrev_b32_e32 v53, 16, v41
.LBB951_523:                            ;   in Loop: Header=BB951_213 Depth=1
	s_or_b64 exec, exec, s[16:17]
.LBB951_524:                            ;   in Loop: Header=BB951_213 Depth=1
	s_or_b64 exec, exec, s[14:15]
.LBB951_525:                            ;   in Loop: Header=BB951_213 Depth=1
	s_or_b64 exec, exec, s[12:13]
	s_waitcnt vmcnt(2)
	v_cmp_ne_u16_sdwa s[14:15], v42, v47 src0_sel:BYTE_0 src1_sel:DWORD
	s_and_saveexec_b64 s[12:13], s[14:15]
	s_cbranch_execz .LBB951_531
; %bb.526:                              ;   in Loop: Header=BB951_213 Depth=1
	v_cmp_ne_u16_sdwa s[16:17], v42, s9 src0_sel:BYTE_0 src1_sel:DWORD
	v_mov_b32_e32 v52, 0xffff8000
	s_and_saveexec_b64 s[14:15], s[16:17]
	s_cbranch_execz .LBB951_530
; %bb.527:                              ;   in Loop: Header=BB951_213 Depth=1
	v_and_b32_e32 v41, 0x7f, v42
	v_cmp_ne_u32_e32 vcc, s21, v41
	v_mov_b32_e32 v52, 0x7f80
	s_and_saveexec_b64 s[16:17], vcc
	s_cbranch_execz .LBB951_529
; %bb.528:                              ;   in Loop: Header=BB951_213 Depth=1
	v_and_b32_e32 v44, 7, v42
	v_ffbh_u32_e32 v52, v44
	v_min_u32_e32 v52, 32, v52
	v_subrev_u32_e32 v60, 28, v52
	v_lshlrev_b64 v[60:61], v60, v[42:43]
	v_lshrrev_b32_e32 v46, 3, v41
	v_sub_u32_e32 v52, 29, v52
	v_and_b32_e32 v60, 7, v60
	v_cmp_gt_u32_e32 vcc, 8, v41
	v_cndmask_b32_e32 v41, v46, v52, vcc
	v_cndmask_b32_e32 v44, v44, v60, vcc
	v_lshlrev_b32_e32 v46, 24, v42
	v_lshlrev_b32_e32 v44, 20, v44
	v_and_b32_e32 v46, 0x80000000, v46
	v_lshl_add_u32 v41, v41, 23, v48
	v_or3_b32 v41, v46, v41, v44
	v_lshrrev_b32_e32 v52, 16, v41
.LBB951_529:                            ;   in Loop: Header=BB951_213 Depth=1
	s_or_b64 exec, exec, s[16:17]
.LBB951_530:                            ;   in Loop: Header=BB951_213 Depth=1
	s_or_b64 exec, exec, s[14:15]
.LBB951_531:                            ;   in Loop: Header=BB951_213 Depth=1
	s_or_b64 exec, exec, s[12:13]
	v_lshrrev_b16_e32 v44, 8, v42
	v_cmp_ne_u16_e32 vcc, 0, v44
	v_mov_b32_e32 v60, 0
	v_mov_b32_e32 v46, 0
	s_and_saveexec_b64 s[12:13], vcc
	s_cbranch_execz .LBB951_537
; %bb.532:                              ;   in Loop: Header=BB951_213 Depth=1
	v_cmp_ne_u16_e32 vcc, s9, v44
	v_mov_b32_e32 v46, 0xffff8000
	s_and_saveexec_b64 s[14:15], vcc
	s_cbranch_execz .LBB951_536
; %bb.533:                              ;   in Loop: Header=BB951_213 Depth=1
	v_and_b32_e32 v41, 0x7f, v44
	v_cmp_ne_u32_e32 vcc, s21, v41
	v_mov_b32_e32 v46, 0x7f80
	s_and_saveexec_b64 s[16:17], vcc
	s_cbranch_execz .LBB951_535
; %bb.534:                              ;   in Loop: Header=BB951_213 Depth=1
	v_and_b32_e32 v46, 7, v44
	v_ffbh_u32_e32 v62, v46
	v_min_u32_e32 v64, 32, v62
	v_subrev_u32_e32 v62, 28, v64
	v_lshlrev_b64 v[62:63], v62, v[44:45]
	v_lshrrev_b32_e32 v61, 3, v41
	v_sub_u32_e32 v44, 29, v64
	v_and_b32_e32 v62, 7, v62
	v_cmp_gt_u32_e32 vcc, 8, v41
	v_cndmask_b32_e32 v41, v61, v44, vcc
	v_cndmask_b32_e32 v44, v46, v62, vcc
	v_lshlrev_b32_e32 v46, 16, v42
	v_lshlrev_b32_e32 v44, 20, v44
	v_and_b32_e32 v46, 0x80000000, v46
	v_lshl_add_u32 v41, v41, 23, v48
	v_or3_b32 v41, v46, v41, v44
	v_lshrrev_b32_e32 v46, 16, v41
.LBB951_535:                            ;   in Loop: Header=BB951_213 Depth=1
	s_or_b64 exec, exec, s[16:17]
.LBB951_536:                            ;   in Loop: Header=BB951_213 Depth=1
	s_or_b64 exec, exec, s[14:15]
.LBB951_537:                            ;   in Loop: Header=BB951_213 Depth=1
	s_or_b64 exec, exec, s[12:13]
	v_lshrrev_b32_e32 v44, 16, v42
	v_cmp_ne_u16_sdwa s[14:15], v44, v47 src0_sel:BYTE_0 src1_sel:DWORD
	s_and_saveexec_b64 s[12:13], s[14:15]
	s_cbranch_execz .LBB951_543
; %bb.538:                              ;   in Loop: Header=BB951_213 Depth=1
	v_cmp_ne_u16_sdwa s[16:17], v44, s9 src0_sel:BYTE_0 src1_sel:DWORD
	v_mov_b32_e32 v60, 0xffff8000
	s_and_saveexec_b64 s[14:15], s[16:17]
	s_cbranch_execz .LBB951_542
; %bb.539:                              ;   in Loop: Header=BB951_213 Depth=1
	v_bfe_u32 v41, v42, 16, 7
	v_cmp_ne_u32_e32 vcc, s21, v41
	v_mov_b32_e32 v60, 0x7f80
	s_and_saveexec_b64 s[16:17], vcc
	s_cbranch_execz .LBB951_541
; %bb.540:                              ;   in Loop: Header=BB951_213 Depth=1
	v_and_b32_e32 v62, 7, v44
	v_ffbh_u32_e32 v60, v62
	v_min_u32_e32 v64, 32, v60
	v_subrev_u32_e32 v60, 28, v64
	v_lshlrev_b64 v[60:61], v60, v[44:45]
	v_lshrrev_b32_e32 v63, 3, v41
	v_sub_u32_e32 v61, 29, v64
	v_and_b32_e32 v60, 7, v60
	v_cmp_gt_u32_e32 vcc, 8, v41
	v_cndmask_b32_e32 v41, v63, v61, vcc
	v_cndmask_b32_e32 v60, v62, v60, vcc
	v_lshlrev_b32_e32 v44, 24, v44
	v_lshlrev_b32_e32 v60, 20, v60
	v_and_b32_e32 v44, 0x80000000, v44
	v_lshl_add_u32 v41, v41, 23, v48
	v_or3_b32 v41, v44, v41, v60
	v_lshrrev_b32_e32 v60, 16, v41
.LBB951_541:                            ;   in Loop: Header=BB951_213 Depth=1
	s_or_b64 exec, exec, s[16:17]
.LBB951_542:                            ;   in Loop: Header=BB951_213 Depth=1
	s_or_b64 exec, exec, s[14:15]
.LBB951_543:                            ;   in Loop: Header=BB951_213 Depth=1
	s_or_b64 exec, exec, s[12:13]
	v_cmp_lt_u32_e32 vcc, s22, v42
	v_mov_b32_e32 v41, 0
	v_mov_b32_e32 v61, 0
	s_and_saveexec_b64 s[12:13], vcc
	s_cbranch_execz .LBB951_549
; %bb.544:                              ;   in Loop: Header=BB951_213 Depth=1
	v_lshrrev_b32_e32 v44, 24, v42
	v_cmp_ne_u32_e32 vcc, s9, v44
	v_mov_b32_e32 v61, 0xffff8000
	s_and_saveexec_b64 s[14:15], vcc
	s_cbranch_execz .LBB951_548
; %bb.545:                              ;   in Loop: Header=BB951_213 Depth=1
	v_bfe_u32 v42, v42, 24, 7
	v_cmp_ne_u32_e32 vcc, s21, v42
	v_mov_b32_e32 v61, 0x7f80
	s_and_saveexec_b64 s[16:17], vcc
	s_cbranch_execz .LBB951_547
; %bb.546:                              ;   in Loop: Header=BB951_213 Depth=1
	v_and_b32_e32 v61, 7, v44
	v_ffbh_u32_e32 v62, v61
	v_min_u32_e32 v65, 32, v62
	v_subrev_u32_e32 v62, 28, v65
	v_lshlrev_b64 v[62:63], v62, v[44:45]
	v_lshrrev_b32_e32 v64, 3, v42
	v_sub_u32_e32 v63, 29, v65
	v_and_b32_e32 v62, 7, v62
	v_cmp_gt_u32_e32 vcc, 8, v42
	v_cndmask_b32_e32 v42, v64, v63, vcc
	v_cndmask_b32_e32 v61, v61, v62, vcc
	v_lshlrev_b32_e32 v44, 24, v44
	v_lshlrev_b32_e32 v61, 20, v61
	v_and_b32_e32 v44, 0x80000000, v44
	v_lshl_add_u32 v42, v42, 23, v48
	v_or3_b32 v42, v44, v42, v61
	v_lshrrev_b32_e32 v61, 16, v42
.LBB951_547:                            ;   in Loop: Header=BB951_213 Depth=1
	s_or_b64 exec, exec, s[16:17]
.LBB951_548:                            ;   in Loop: Header=BB951_213 Depth=1
	s_or_b64 exec, exec, s[14:15]
.LBB951_549:                            ;   in Loop: Header=BB951_213 Depth=1
	s_or_b64 exec, exec, s[12:13]
	v_perm_b32 v51, v53, v51, s23
	v_perm_b32 v50, v50, v49, s23
	s_waitcnt vmcnt(1)
	v_cmp_ne_u16_sdwa s[14:15], v40, v47 src0_sel:BYTE_0 src1_sel:DWORD
	v_mfma_f32_16x16x16bf16_1k v[34:37], v[50:51], v[26:27], v[34:37]
	v_perm_b32 v51, v61, v60, s23
	v_perm_b32 v50, v46, v52, s23
	s_nop 1
	v_mfma_f32_16x16x16bf16_1k v[34:37], v[50:51], v[28:29], v[34:37]
	s_and_saveexec_b64 s[12:13], s[14:15]
	s_cbranch_execz .LBB951_555
; %bb.550:                              ;   in Loop: Header=BB951_213 Depth=1
	v_cmp_ne_u16_sdwa s[16:17], v40, s9 src0_sel:BYTE_0 src1_sel:DWORD
	v_mov_b32_e32 v41, 0xffff8000
	s_and_saveexec_b64 s[14:15], s[16:17]
	s_cbranch_execz .LBB951_554
; %bb.551:                              ;   in Loop: Header=BB951_213 Depth=1
	v_and_b32_e32 v42, 0x7f, v40
	v_cmp_ne_u32_e32 vcc, s21, v42
	v_mov_b32_e32 v41, 0x7f80
	s_and_saveexec_b64 s[16:17], vcc
	s_cbranch_execz .LBB951_553
; %bb.552:                              ;   in Loop: Header=BB951_213 Depth=1
	v_and_b32_e32 v41, 7, v40
	v_ffbh_u32_e32 v46, v41
	v_min_u32_e32 v46, 32, v46
	v_subrev_u32_e32 v49, 28, v46
	v_lshlrev_b64 v[50:51], v49, v[40:41]
	v_lshrrev_b32_e32 v44, 3, v42
	v_sub_u32_e32 v46, 29, v46
	v_and_b32_e32 v49, 7, v50
	v_cmp_gt_u32_e32 vcc, 8, v42
	v_cndmask_b32_e32 v42, v44, v46, vcc
	v_cndmask_b32_e32 v41, v41, v49, vcc
	v_lshlrev_b32_e32 v44, 24, v40
	v_lshlrev_b32_e32 v41, 20, v41
	v_and_b32_e32 v44, 0x80000000, v44
	v_lshl_add_u32 v42, v42, 23, v48
	v_or3_b32 v41, v44, v42, v41
	v_lshrrev_b32_e32 v41, 16, v41
.LBB951_553:                            ;   in Loop: Header=BB951_213 Depth=1
	s_or_b64 exec, exec, s[16:17]
.LBB951_554:                            ;   in Loop: Header=BB951_213 Depth=1
	s_or_b64 exec, exec, s[14:15]
.LBB951_555:                            ;   in Loop: Header=BB951_213 Depth=1
	s_or_b64 exec, exec, s[12:13]
	v_lshrrev_b16_e32 v42, 8, v40
	v_cmp_ne_u16_e32 vcc, 0, v42
	v_mov_b32_e32 v46, 0
	v_mov_b32_e32 v44, 0
	s_and_saveexec_b64 s[12:13], vcc
	s_cbranch_execz .LBB951_561
; %bb.556:                              ;   in Loop: Header=BB951_213 Depth=1
	v_cmp_ne_u16_e32 vcc, s9, v42
	v_mov_b32_e32 v44, 0xffff8000
	s_and_saveexec_b64 s[14:15], vcc
	s_cbranch_execz .LBB951_560
; %bb.557:                              ;   in Loop: Header=BB951_213 Depth=1
	v_and_b32_e32 v49, 0x7f, v42
	v_cmp_ne_u32_e32 vcc, s21, v49
	v_mov_b32_e32 v44, 0x7f80
	s_and_saveexec_b64 s[16:17], vcc
	s_cbranch_execz .LBB951_559
; %bb.558:                              ;   in Loop: Header=BB951_213 Depth=1
	v_and_b32_e32 v44, 7, v42
	v_ffbh_u32_e32 v50, v44
	v_min_u32_e32 v53, 32, v50
	v_subrev_u32_e32 v50, 28, v53
	v_lshlrev_b64 v[50:51], v50, v[42:43]
	v_lshrrev_b32_e32 v52, 3, v49
	v_sub_u32_e32 v42, 29, v53
	v_and_b32_e32 v50, 7, v50
	v_cmp_gt_u32_e32 vcc, 8, v49
	v_cndmask_b32_e32 v42, v52, v42, vcc
	v_cndmask_b32_e32 v44, v44, v50, vcc
	v_lshlrev_b32_e32 v49, 16, v40
	v_lshlrev_b32_e32 v44, 20, v44
	v_and_b32_e32 v49, 0x80000000, v49
	v_lshl_add_u32 v42, v42, 23, v48
	v_or3_b32 v42, v49, v42, v44
	v_lshrrev_b32_e32 v44, 16, v42
.LBB951_559:                            ;   in Loop: Header=BB951_213 Depth=1
	s_or_b64 exec, exec, s[16:17]
.LBB951_560:                            ;   in Loop: Header=BB951_213 Depth=1
	s_or_b64 exec, exec, s[14:15]
.LBB951_561:                            ;   in Loop: Header=BB951_213 Depth=1
	s_or_b64 exec, exec, s[12:13]
	v_lshrrev_b32_e32 v42, 16, v40
	v_cmp_ne_u16_sdwa s[14:15], v42, v47 src0_sel:BYTE_0 src1_sel:DWORD
	s_and_saveexec_b64 s[12:13], s[14:15]
	s_cbranch_execz .LBB951_567
; %bb.562:                              ;   in Loop: Header=BB951_213 Depth=1
	v_cmp_ne_u16_sdwa s[16:17], v42, s9 src0_sel:BYTE_0 src1_sel:DWORD
	v_mov_b32_e32 v46, 0xffff8000
	s_and_saveexec_b64 s[14:15], s[16:17]
	s_cbranch_execz .LBB951_566
; %bb.563:                              ;   in Loop: Header=BB951_213 Depth=1
	v_bfe_u32 v49, v40, 16, 7
	v_cmp_ne_u32_e32 vcc, s21, v49
	v_mov_b32_e32 v46, 0x7f80
	s_and_saveexec_b64 s[16:17], vcc
	s_cbranch_execz .LBB951_565
; %bb.564:                              ;   in Loop: Header=BB951_213 Depth=1
	v_and_b32_e32 v46, 7, v42
	v_ffbh_u32_e32 v50, v46
	v_min_u32_e32 v53, 32, v50
	v_subrev_u32_e32 v50, 28, v53
	v_lshlrev_b64 v[50:51], v50, v[42:43]
	v_lshrrev_b32_e32 v52, 3, v49
	v_sub_u32_e32 v51, 29, v53
	v_and_b32_e32 v50, 7, v50
	v_cmp_gt_u32_e32 vcc, 8, v49
	v_cndmask_b32_e32 v49, v52, v51, vcc
	v_cndmask_b32_e32 v46, v46, v50, vcc
	v_lshlrev_b32_e32 v42, 24, v42
	v_lshlrev_b32_e32 v46, 20, v46
	v_and_b32_e32 v42, 0x80000000, v42
	v_lshl_add_u32 v49, v49, 23, v48
	v_or3_b32 v42, v42, v49, v46
	v_lshrrev_b32_e32 v46, 16, v42
.LBB951_565:                            ;   in Loop: Header=BB951_213 Depth=1
	s_or_b64 exec, exec, s[16:17]
.LBB951_566:                            ;   in Loop: Header=BB951_213 Depth=1
	s_or_b64 exec, exec, s[14:15]
.LBB951_567:                            ;   in Loop: Header=BB951_213 Depth=1
	s_or_b64 exec, exec, s[12:13]
	v_cmp_lt_u32_e32 vcc, s22, v40
	v_mov_b32_e32 v49, 0
	v_mov_b32_e32 v50, 0
	s_and_saveexec_b64 s[12:13], vcc
	s_cbranch_execz .LBB951_573
; %bb.568:                              ;   in Loop: Header=BB951_213 Depth=1
	v_lshrrev_b32_e32 v42, 24, v40
	v_cmp_ne_u32_e32 vcc, s9, v42
	v_mov_b32_e32 v50, 0xffff8000
	s_and_saveexec_b64 s[14:15], vcc
	s_cbranch_execz .LBB951_572
; %bb.569:                              ;   in Loop: Header=BB951_213 Depth=1
	v_bfe_u32 v40, v40, 24, 7
	v_cmp_ne_u32_e32 vcc, s21, v40
	v_mov_b32_e32 v50, 0x7f80
	s_and_saveexec_b64 s[16:17], vcc
	s_cbranch_execz .LBB951_571
; %bb.570:                              ;   in Loop: Header=BB951_213 Depth=1
	v_and_b32_e32 v52, 7, v42
	v_ffbh_u32_e32 v50, v52
	v_min_u32_e32 v60, 32, v50
	v_subrev_u32_e32 v50, 28, v60
	v_lshlrev_b64 v[50:51], v50, v[42:43]
	v_lshrrev_b32_e32 v53, 3, v40
	v_sub_u32_e32 v51, 29, v60
	v_and_b32_e32 v50, 7, v50
	v_cmp_gt_u32_e32 vcc, 8, v40
	v_cndmask_b32_e32 v40, v53, v51, vcc
	v_cndmask_b32_e32 v50, v52, v50, vcc
	v_lshlrev_b32_e32 v42, 24, v42
	v_lshlrev_b32_e32 v50, 20, v50
	v_and_b32_e32 v42, 0x80000000, v42
	v_lshl_add_u32 v40, v40, 23, v48
	v_or3_b32 v40, v42, v40, v50
	v_lshrrev_b32_e32 v50, 16, v40
.LBB951_571:                            ;   in Loop: Header=BB951_213 Depth=1
	s_or_b64 exec, exec, s[16:17]
.LBB951_572:                            ;   in Loop: Header=BB951_213 Depth=1
	s_or_b64 exec, exec, s[14:15]
.LBB951_573:                            ;   in Loop: Header=BB951_213 Depth=1
	s_or_b64 exec, exec, s[12:13]
	s_waitcnt vmcnt(0)
	v_cmp_ne_u16_sdwa s[14:15], v38, v47 src0_sel:BYTE_0 src1_sel:DWORD
	s_and_saveexec_b64 s[12:13], s[14:15]
	s_cbranch_execz .LBB951_579
; %bb.574:                              ;   in Loop: Header=BB951_213 Depth=1
	v_cmp_ne_u16_sdwa s[16:17], v38, s9 src0_sel:BYTE_0 src1_sel:DWORD
	v_mov_b32_e32 v49, 0xffff8000
	s_and_saveexec_b64 s[14:15], s[16:17]
	s_cbranch_execz .LBB951_578
; %bb.575:                              ;   in Loop: Header=BB951_213 Depth=1
	v_and_b32_e32 v40, 0x7f, v38
	v_cmp_ne_u32_e32 vcc, s21, v40
	v_mov_b32_e32 v49, 0x7f80
	s_and_saveexec_b64 s[16:17], vcc
	s_cbranch_execz .LBB951_577
; %bb.576:                              ;   in Loop: Header=BB951_213 Depth=1
	v_and_b32_e32 v42, 7, v38
	v_ffbh_u32_e32 v51, v42
	v_min_u32_e32 v51, 32, v51
	v_subrev_u32_e32 v52, 28, v51
	v_lshlrev_b64 v[52:53], v52, v[38:39]
	v_lshrrev_b32_e32 v49, 3, v40
	v_sub_u32_e32 v51, 29, v51
	v_and_b32_e32 v52, 7, v52
	v_cmp_gt_u32_e32 vcc, 8, v40
	v_cndmask_b32_e32 v40, v49, v51, vcc
	v_cndmask_b32_e32 v42, v42, v52, vcc
	v_lshlrev_b32_e32 v49, 24, v38
	v_lshlrev_b32_e32 v42, 20, v42
	v_and_b32_e32 v49, 0x80000000, v49
	v_lshl_add_u32 v40, v40, 23, v48
	v_or3_b32 v40, v49, v40, v42
	v_lshrrev_b32_e32 v49, 16, v40
.LBB951_577:                            ;   in Loop: Header=BB951_213 Depth=1
	s_or_b64 exec, exec, s[16:17]
.LBB951_578:                            ;   in Loop: Header=BB951_213 Depth=1
	s_or_b64 exec, exec, s[14:15]
.LBB951_579:                            ;   in Loop: Header=BB951_213 Depth=1
	s_or_b64 exec, exec, s[12:13]
	v_lshrrev_b16_e32 v40, 8, v38
	v_cmp_ne_u16_e32 vcc, 0, v40
	v_mov_b32_e32 v51, 0
	v_mov_b32_e32 v42, 0
	s_and_saveexec_b64 s[12:13], vcc
	s_cbranch_execz .LBB951_585
; %bb.580:                              ;   in Loop: Header=BB951_213 Depth=1
	v_cmp_ne_u16_e32 vcc, s9, v40
	v_mov_b32_e32 v42, 0xffff8000
	s_and_saveexec_b64 s[14:15], vcc
	s_cbranch_execz .LBB951_584
; %bb.581:                              ;   in Loop: Header=BB951_213 Depth=1
	v_and_b32_e32 v52, 0x7f, v40
	v_cmp_ne_u32_e32 vcc, s21, v52
	v_mov_b32_e32 v42, 0x7f80
	s_and_saveexec_b64 s[16:17], vcc
	s_cbranch_execz .LBB951_583
; %bb.582:                              ;   in Loop: Header=BB951_213 Depth=1
	v_and_b32_e32 v42, 7, v40
	v_ffbh_u32_e32 v60, v42
	v_min_u32_e32 v62, 32, v60
	v_subrev_u32_e32 v60, 28, v62
	v_lshlrev_b64 v[60:61], v60, v[40:41]
	v_lshrrev_b32_e32 v53, 3, v52
	v_sub_u32_e32 v40, 29, v62
	v_and_b32_e32 v60, 7, v60
	v_cmp_gt_u32_e32 vcc, 8, v52
	v_cndmask_b32_e32 v40, v53, v40, vcc
	v_cndmask_b32_e32 v42, v42, v60, vcc
	v_lshlrev_b32_e32 v52, 16, v38
	v_lshlrev_b32_e32 v42, 20, v42
	v_and_b32_e32 v52, 0x80000000, v52
	v_lshl_add_u32 v40, v40, 23, v48
	v_or3_b32 v40, v52, v40, v42
	v_lshrrev_b32_e32 v42, 16, v40
.LBB951_583:                            ;   in Loop: Header=BB951_213 Depth=1
	s_or_b64 exec, exec, s[16:17]
.LBB951_584:                            ;   in Loop: Header=BB951_213 Depth=1
	s_or_b64 exec, exec, s[14:15]
.LBB951_585:                            ;   in Loop: Header=BB951_213 Depth=1
	s_or_b64 exec, exec, s[12:13]
	v_lshrrev_b32_e32 v40, 16, v38
	v_cmp_ne_u16_sdwa s[14:15], v40, v47 src0_sel:BYTE_0 src1_sel:DWORD
	s_and_saveexec_b64 s[12:13], s[14:15]
	s_cbranch_execz .LBB951_591
; %bb.586:                              ;   in Loop: Header=BB951_213 Depth=1
	v_cmp_ne_u16_sdwa s[16:17], v40, s9 src0_sel:BYTE_0 src1_sel:DWORD
	v_mov_b32_e32 v51, 0xffff8000
	s_and_saveexec_b64 s[14:15], s[16:17]
	s_cbranch_execz .LBB951_590
; %bb.587:                              ;   in Loop: Header=BB951_213 Depth=1
	v_bfe_u32 v52, v38, 16, 7
	v_cmp_ne_u32_e32 vcc, s21, v52
	v_mov_b32_e32 v51, 0x7f80
	s_and_saveexec_b64 s[16:17], vcc
	s_cbranch_execz .LBB951_589
; %bb.588:                              ;   in Loop: Header=BB951_213 Depth=1
	v_and_b32_e32 v51, 7, v40
	v_ffbh_u32_e32 v60, v51
	v_min_u32_e32 v62, 32, v60
	v_subrev_u32_e32 v60, 28, v62
	v_lshlrev_b64 v[60:61], v60, v[40:41]
	v_lshrrev_b32_e32 v53, 3, v52
	v_sub_u32_e32 v61, 29, v62
	v_and_b32_e32 v60, 7, v60
	v_cmp_gt_u32_e32 vcc, 8, v52
	v_cndmask_b32_e32 v52, v53, v61, vcc
	v_cndmask_b32_e32 v51, v51, v60, vcc
	v_lshlrev_b32_e32 v40, 24, v40
	v_lshlrev_b32_e32 v51, 20, v51
	v_and_b32_e32 v40, 0x80000000, v40
	v_lshl_add_u32 v52, v52, 23, v48
	v_or3_b32 v40, v40, v52, v51
	v_lshrrev_b32_e32 v51, 16, v40
.LBB951_589:                            ;   in Loop: Header=BB951_213 Depth=1
	s_or_b64 exec, exec, s[16:17]
.LBB951_590:                            ;   in Loop: Header=BB951_213 Depth=1
	s_or_b64 exec, exec, s[14:15]
.LBB951_591:                            ;   in Loop: Header=BB951_213 Depth=1
	s_or_b64 exec, exec, s[12:13]
	v_cmp_lt_u32_e32 vcc, s22, v38
	v_mov_b32_e32 v52, 0
	s_and_saveexec_b64 s[12:13], vcc
	s_cbranch_execz .LBB951_212
; %bb.592:                              ;   in Loop: Header=BB951_213 Depth=1
	v_lshrrev_b32_e32 v40, 24, v38
	v_cmp_ne_u32_e32 vcc, s9, v40
	v_mov_b32_e32 v52, 0xffff8000
	s_and_saveexec_b64 s[14:15], vcc
	s_cbranch_execz .LBB951_211
; %bb.593:                              ;   in Loop: Header=BB951_213 Depth=1
	v_bfe_u32 v38, v38, 24, 7
	v_cmp_ne_u32_e32 vcc, s21, v38
	v_mov_b32_e32 v52, 0x7f80
	s_and_saveexec_b64 s[16:17], vcc
	s_cbranch_execz .LBB951_210
; %bb.594:                              ;   in Loop: Header=BB951_213 Depth=1
	v_and_b32_e32 v60, 7, v40
	v_ffbh_u32_e32 v52, v60
	v_min_u32_e32 v62, 32, v52
	v_subrev_u32_e32 v52, 28, v62
	v_lshlrev_b64 v[52:53], v52, v[40:41]
	v_lshrrev_b32_e32 v61, 3, v38
	v_sub_u32_e32 v53, 29, v62
	v_and_b32_e32 v52, 7, v52
	v_cmp_gt_u32_e32 vcc, 8, v38
	v_cndmask_b32_e32 v38, v61, v53, vcc
	v_cndmask_b32_e32 v52, v60, v52, vcc
	v_lshlrev_b32_e32 v40, 24, v40
	v_lshlrev_b32_e32 v52, 20, v52
	v_and_b32_e32 v40, 0x80000000, v40
	v_lshl_add_u32 v38, v38, 23, v48
	v_or3_b32 v38, v40, v38, v52
	v_lshrrev_b32_e32 v52, 16, v38
	s_branch .LBB951_210
.LBB951_595:
	s_barrier
	buffer_load_dword v2, off, s[0:3], 0 offset:320
	buffer_load_dword v5, off, s[0:3], 0 offset:332
	;; [unrolled: 1-line block ×4, first 2 shown]
	v_cmp_gt_u32_e32 vcc, 64, v0
	s_waitcnt vmcnt(0)
	ds_write2st64_b64 v43, v[2:3], v[4:5] offset1:1
	s_waitcnt lgkmcnt(0)
	s_barrier
	s_and_saveexec_b64 s[4:5], vcc
	s_cbranch_execz .LBB951_598
; %bb.596:
	s_lshl_b32 s4, s50, 7
	s_mul_i32 s5, s18, s8
	s_mul_hi_u32 s9, s5, s4
	s_mul_i32 s8, s5, s4
	s_lshl_b64 s[8:9], s[8:9], 1
	v_lshlrev_b32_e32 v4, 6, v55
	s_add_u32 s5, s48, s8
	v_lshl_or_b32 v0, v0, 10, v4
	s_mov_b32 s7, 0
	s_addc_u32 s8, s49, s9
	s_lshl_b32 s6, s24, 7
	v_lshlrev_b32_e32 v2, 5, v1
	v_and_b32_e32 v3, 16, v56
	v_and_b32_e32 v0, 0x1a00, v0
	s_lshl_b64 s[6:7], s[6:7], 1
	v_or3_b32 v0, v0, v2, v3
	s_add_u32 s5, s5, s6
	v_or_b32_e32 v2, 8, v1
	s_addc_u32 s6, s8, s7
	ds_read_b128 v[6:9], v0 offset:128
	ds_read_b128 v[10:13], v0
	v_add_u32_e32 v1, s25, v1
	v_mov_b32_e32 v4, s6
	v_add_co_u32_e32 v3, vcc, s5, v54
	v_mad_u64_u32 v[14:15], s[6:7], v1, s4, 0
	v_addc_co_u32_e32 v4, vcc, 0, v4, vcc
	v_lshlrev_b64 v[14:15], 1, v[14:15]
	v_add_co_u32_e32 v14, vcc, v3, v14
	v_addc_co_u32_e32 v15, vcc, v4, v15, vcc
	v_add_u32_e32 v1, 4, v1
	s_waitcnt lgkmcnt(0)
	global_store_dwordx4 v[14:15], v[10:13], off
	s_nop 0
	v_mad_u64_u32 v[10:11], s[6:7], v1, s4, 0
	v_lshlrev_b64 v[10:11], 1, v[10:11]
	v_add_co_u32_e32 v10, vcc, v3, v10
	v_addc_co_u32_e32 v11, vcc, v4, v11, vcc
	v_cmp_gt_u32_e32 vcc, 10, v2
	global_store_dwordx4 v[10:11], v[6:9], off
	s_and_b64 exec, exec, vcc
	s_cbranch_execz .LBB951_598
; %bb.597:
	ds_read_b128 v[6:9], v0 offset:256
	v_add_u32_e32 v0, s25, v2
	v_mad_u64_u32 v[0:1], s[4:5], v0, s4, 0
	v_lshlrev_b64 v[0:1], 1, v[0:1]
	v_add_co_u32_e32 v0, vcc, v3, v0
	v_addc_co_u32_e32 v1, vcc, v4, v1, vcc
	s_waitcnt lgkmcnt(0)
	global_store_dwordx4 v[0:1], v[6:9], off
.LBB951_598:
	s_endpgm
	.section	.rodata,"a",@progbits
	.p2align	6, 0x0
	.amdhsa_kernel _Z39paged_attention_ll4mi_QKV_mfma16_kernelI14__hip_bfloat16hLN4vllm18Fp8KVCacheDataTypeE1ES0_Li32ELi128ELi256ELb0ELi10EL8MFMAType0EEvPKT_PKT0_S9_ifPKiSB_SB_iPKfiiiPfSE_PS4_PT2_iSD_SD_
		.amdhsa_group_segment_fixed_size 8192
		.amdhsa_private_segment_fixed_size 352
		.amdhsa_kernarg_size 400
		.amdhsa_user_sgpr_count 8
		.amdhsa_user_sgpr_private_segment_buffer 1
		.amdhsa_user_sgpr_dispatch_ptr 0
		.amdhsa_user_sgpr_queue_ptr 0
		.amdhsa_user_sgpr_kernarg_segment_ptr 1
		.amdhsa_user_sgpr_dispatch_id 0
		.amdhsa_user_sgpr_flat_scratch_init 1
		.amdhsa_user_sgpr_kernarg_preload_length 0
		.amdhsa_user_sgpr_kernarg_preload_offset 0
		.amdhsa_user_sgpr_private_segment_size 0
		.amdhsa_uses_dynamic_stack 0
		.amdhsa_system_sgpr_private_segment_wavefront_offset 1
		.amdhsa_system_sgpr_workgroup_id_x 1
		.amdhsa_system_sgpr_workgroup_id_y 1
		.amdhsa_system_sgpr_workgroup_id_z 1
		.amdhsa_system_sgpr_workgroup_info 0
		.amdhsa_system_vgpr_workitem_id 0
		.amdhsa_next_free_vgpr 78
		.amdhsa_next_free_sgpr 53
		.amdhsa_accum_offset 80
		.amdhsa_reserve_vcc 1
		.amdhsa_reserve_flat_scratch 0
		.amdhsa_float_round_mode_32 0
		.amdhsa_float_round_mode_16_64 0
		.amdhsa_float_denorm_mode_32 3
		.amdhsa_float_denorm_mode_16_64 3
		.amdhsa_dx10_clamp 1
		.amdhsa_ieee_mode 1
		.amdhsa_fp16_overflow 0
		.amdhsa_tg_split 0
		.amdhsa_exception_fp_ieee_invalid_op 0
		.amdhsa_exception_fp_denorm_src 0
		.amdhsa_exception_fp_ieee_div_zero 0
		.amdhsa_exception_fp_ieee_overflow 0
		.amdhsa_exception_fp_ieee_underflow 0
		.amdhsa_exception_fp_ieee_inexact 0
		.amdhsa_exception_int_div_zero 0
	.end_amdhsa_kernel
	.section	.text._Z39paged_attention_ll4mi_QKV_mfma16_kernelI14__hip_bfloat16hLN4vllm18Fp8KVCacheDataTypeE1ES0_Li32ELi128ELi256ELb0ELi10EL8MFMAType0EEvPKT_PKT0_S9_ifPKiSB_SB_iPKfiiiPfSE_PS4_PT2_iSD_SD_,"axG",@progbits,_Z39paged_attention_ll4mi_QKV_mfma16_kernelI14__hip_bfloat16hLN4vllm18Fp8KVCacheDataTypeE1ES0_Li32ELi128ELi256ELb0ELi10EL8MFMAType0EEvPKT_PKT0_S9_ifPKiSB_SB_iPKfiiiPfSE_PS4_PT2_iSD_SD_,comdat
.Lfunc_end951:
	.size	_Z39paged_attention_ll4mi_QKV_mfma16_kernelI14__hip_bfloat16hLN4vllm18Fp8KVCacheDataTypeE1ES0_Li32ELi128ELi256ELb0ELi10EL8MFMAType0EEvPKT_PKT0_S9_ifPKiSB_SB_iPKfiiiPfSE_PS4_PT2_iSD_SD_, .Lfunc_end951-_Z39paged_attention_ll4mi_QKV_mfma16_kernelI14__hip_bfloat16hLN4vllm18Fp8KVCacheDataTypeE1ES0_Li32ELi128ELi256ELb0ELi10EL8MFMAType0EEvPKT_PKT0_S9_ifPKiSB_SB_iPKfiiiPfSE_PS4_PT2_iSD_SD_
                                        ; -- End function
	.section	.AMDGPU.csdata,"",@progbits
; Kernel info:
; codeLenInByte = 22312
; NumSgprs: 57
; NumVgprs: 78
; NumAgprs: 0
; TotalNumVgprs: 78
; ScratchSize: 352
; MemoryBound: 0
; FloatMode: 240
; IeeeMode: 1
; LDSByteSize: 8192 bytes/workgroup (compile time only)
; SGPRBlocks: 7
; VGPRBlocks: 9
; NumSGPRsForWavesPerEU: 57
; NumVGPRsForWavesPerEU: 78
; AccumOffset: 80
; Occupancy: 6
; WaveLimiterHint : 1
; COMPUTE_PGM_RSRC2:SCRATCH_EN: 1
; COMPUTE_PGM_RSRC2:USER_SGPR: 8
; COMPUTE_PGM_RSRC2:TRAP_HANDLER: 0
; COMPUTE_PGM_RSRC2:TGID_X_EN: 1
; COMPUTE_PGM_RSRC2:TGID_Y_EN: 1
; COMPUTE_PGM_RSRC2:TGID_Z_EN: 1
; COMPUTE_PGM_RSRC2:TIDIG_COMP_CNT: 0
; COMPUTE_PGM_RSRC3_GFX90A:ACCUM_OFFSET: 19
; COMPUTE_PGM_RSRC3_GFX90A:TG_SPLIT: 0
	.section	.text._Z39paged_attention_ll4mi_QKV_mfma16_kernelI14__hip_bfloat16hLN4vllm18Fp8KVCacheDataTypeE1ES0_Li32ELi128ELi256ELb0ELi11EL8MFMAType0EEvPKT_PKT0_S9_ifPKiSB_SB_iPKfiiiPfSE_PS4_PT2_iSD_SD_,"axG",@progbits,_Z39paged_attention_ll4mi_QKV_mfma16_kernelI14__hip_bfloat16hLN4vllm18Fp8KVCacheDataTypeE1ES0_Li32ELi128ELi256ELb0ELi11EL8MFMAType0EEvPKT_PKT0_S9_ifPKiSB_SB_iPKfiiiPfSE_PS4_PT2_iSD_SD_,comdat
	.protected	_Z39paged_attention_ll4mi_QKV_mfma16_kernelI14__hip_bfloat16hLN4vllm18Fp8KVCacheDataTypeE1ES0_Li32ELi128ELi256ELb0ELi11EL8MFMAType0EEvPKT_PKT0_S9_ifPKiSB_SB_iPKfiiiPfSE_PS4_PT2_iSD_SD_ ; -- Begin function _Z39paged_attention_ll4mi_QKV_mfma16_kernelI14__hip_bfloat16hLN4vllm18Fp8KVCacheDataTypeE1ES0_Li32ELi128ELi256ELb0ELi11EL8MFMAType0EEvPKT_PKT0_S9_ifPKiSB_SB_iPKfiiiPfSE_PS4_PT2_iSD_SD_
	.globl	_Z39paged_attention_ll4mi_QKV_mfma16_kernelI14__hip_bfloat16hLN4vllm18Fp8KVCacheDataTypeE1ES0_Li32ELi128ELi256ELb0ELi11EL8MFMAType0EEvPKT_PKT0_S9_ifPKiSB_SB_iPKfiiiPfSE_PS4_PT2_iSD_SD_
	.p2align	8
	.type	_Z39paged_attention_ll4mi_QKV_mfma16_kernelI14__hip_bfloat16hLN4vllm18Fp8KVCacheDataTypeE1ES0_Li32ELi128ELi256ELb0ELi11EL8MFMAType0EEvPKT_PKT0_S9_ifPKiSB_SB_iPKfiiiPfSE_PS4_PT2_iSD_SD_,@function
_Z39paged_attention_ll4mi_QKV_mfma16_kernelI14__hip_bfloat16hLN4vllm18Fp8KVCacheDataTypeE1ES0_Li32ELi128ELi256ELb0ELi11EL8MFMAType0EEvPKT_PKT0_S9_ifPKiSB_SB_iPKfiiiPfSE_PS4_PT2_iSD_SD_: ; @_Z39paged_attention_ll4mi_QKV_mfma16_kernelI14__hip_bfloat16hLN4vllm18Fp8KVCacheDataTypeE1ES0_Li32ELi128ELi256ELb0ELi11EL8MFMAType0EEvPKT_PKT0_S9_ifPKiSB_SB_iPKfiiiPfSE_PS4_PT2_iSD_SD_
; %bb.0:
	s_load_dwordx2 s[6:7], s[4:5], 0x30
	s_add_u32 s0, s0, s11
	s_addc_u32 s1, s1, 0
	s_mov_b32 s24, s9
	s_mov_b64 s[12:13], 0
	s_waitcnt lgkmcnt(0)
	s_cmp_lg_u64 s[6:7], 0
	s_cselect_b64 s[16:17], -1, 0
	s_and_b64 vcc, exec, s[16:17]
	s_cbranch_vccz .LBB952_7
; %bb.1:
	s_add_i32 s14, s8, 1
	s_mov_b32 s15, 0
	s_lshl_b64 s[18:19], s[14:15], 2
	s_add_u32 s18, s6, s18
	s_mov_b32 s9, s15
	s_addc_u32 s19, s7, s19
	s_lshl_b64 s[14:15], s[8:9], 2
	s_add_u32 s14, s6, s14
	s_addc_u32 s15, s7, s15
	s_load_dword s11, s[18:19], 0x0
	s_load_dword s20, s[14:15], 0x0
	s_waitcnt lgkmcnt(0)
	s_sub_i32 s11, s11, s20
	s_cmp_eq_u32 s11, 1
	s_cselect_b64 s[14:15], -1, 0
	s_andn2_b64 vcc, exec, s[12:13]
	s_cbranch_vccnz .LBB952_3
.LBB952_2:
	s_mov_b32 s9, 0
	s_mov_b64 s[14:15], -1
.LBB952_3:
	s_andn2_b64 vcc, exec, s[14:15]
	s_cbranch_vccnz .LBB952_598
; %bb.4:
	s_load_dwordx2 s[12:13], s[4:5], 0x28
	s_lshl_b64 s[18:19], s[8:9], 2
	s_waitcnt lgkmcnt(0)
	s_add_u32 s12, s12, s18
	s_addc_u32 s13, s13, s19
	s_load_dword s33, s[12:13], 0x0
	s_lshl_b32 s20, s24, 8
	s_waitcnt lgkmcnt(0)
	s_cmp_ge_i32 s20, s33
	s_cbranch_scc1 .LBB952_598
; %bb.5:
	s_add_i32 s14, s33, 31
	s_load_dwordx2 s[12:13], s[4:5], 0x20
	s_load_dword s11, s[4:5], 0x38
	s_ashr_i32 s15, s14, 31
	v_and_b32_e32 v1, 0xcf, v0
	s_lshr_b32 s15, s15, 27
	v_add_u32_e32 v1, s20, v1
	s_add_i32 s14, s14, s15
	v_ashrrev_i32_e32 v2, 31, v1
	s_ashr_i32 s22, s14, 5
	v_lshrrev_b32_e32 v10, 27, v2
	s_add_i32 s22, s22, -1
	v_add_u32_e32 v2, v1, v10
	s_waitcnt lgkmcnt(0)
	s_mul_i32 s14, s8, s11
	s_mov_b32 s15, 0
	v_ashrrev_i32_e32 v2, 5, v2
	v_mov_b32_e32 v11, s22
	v_cmp_gt_i32_e32 vcc, s33, v1
	s_lshl_b64 s[14:15], s[14:15], 2
	v_cndmask_b32_e32 v2, v11, v2, vcc
	s_add_u32 s11, s12, s14
	v_ashrrev_i32_e32 v3, 31, v2
	s_addc_u32 s21, s13, s15
	v_lshlrev_b64 v[2:3], 2, v[2:3]
	v_mov_b32_e32 v5, s21
	v_add_co_u32_e32 v4, vcc, s11, v2
	v_or_b32_e32 v2, 16, v1
	v_addc_co_u32_e32 v5, vcc, v5, v3, vcc
	v_add_u32_e32 v3, v2, v10
	v_ashrrev_i32_e32 v3, 5, v3
	v_cmp_gt_i32_e32 vcc, s33, v2
	v_cndmask_b32_e32 v2, v11, v3, vcc
	v_ashrrev_i32_e32 v3, 31, v2
	v_lshlrev_b64 v[2:3], 2, v[2:3]
	v_mov_b32_e32 v7, s21
	v_add_co_u32_e32 v6, vcc, s11, v2
	v_or_b32_e32 v2, 32, v1
	v_addc_co_u32_e32 v7, vcc, v7, v3, vcc
	v_add_u32_e32 v3, v2, v10
	v_ashrrev_i32_e32 v3, 5, v3
	v_cmp_gt_i32_e32 vcc, s33, v2
	v_cndmask_b32_e32 v2, v11, v3, vcc
	v_ashrrev_i32_e32 v3, 31, v2
	;; [unrolled: 10-line block ×3, first 2 shown]
	v_lshlrev_b64 v[2:3], 2, v[2:3]
	v_mov_b32_e32 v1, s21
	v_add_co_u32_e32 v12, vcc, s11, v2
	v_addc_co_u32_e32 v13, vcc, v1, v3, vcc
	global_load_dword v2, v[4:5], off
	global_load_dword v10, v[6:7], off
	;; [unrolled: 1-line block ×4, first 2 shown]
	s_load_dwordx4 s[12:15], s[4:5], 0x8
	s_andn2_b64 vcc, exec, s[16:17]
	s_cbranch_vccnz .LBB952_8
; %bb.6:
	s_add_u32 s6, s6, s18
	s_addc_u32 s7, s7, s19
	s_load_dword s16, s[6:7], 0x0
	s_branch .LBB952_9
.LBB952_7:
	s_mov_b64 s[14:15], 0
	s_branch .LBB952_2
.LBB952_8:
	s_mov_b32 s16, s8
.LBB952_9:
	s_load_dwordx2 s[48:49], s[4:5], 0x68
	s_load_dwordx8 s[40:47], s[4:5], 0x48
	v_lshrrev_b32_e32 v62, 6, v0
	v_bfe_u32 v1, v0, 4, 2
	v_and_b32_e32 v55, 15, v0
	v_lshl_or_b32 v3, v62, 2, v1
	v_lshlrev_b32_e32 v4, 3, v55
	s_mul_i32 s25, s10, 11
	v_cmp_gt_u32_e32 vcc, 11, v3
	v_lshlrev_b32_e32 v54, 1, v4
	v_lshlrev_b32_e32 v56, 4, v0
	s_and_saveexec_b64 s[6:7], vcc
	s_cbranch_execz .LBB952_11
; %bb.10:
	s_load_dwordx2 s[18:19], s[4:5], 0x0
	s_waitcnt lgkmcnt(0)
	s_ashr_i32 s17, s40, 31
	s_mul_hi_u32 s23, s16, s40
	s_mul_i32 s17, s16, s17
	s_add_i32 s17, s23, s17
	s_mul_i32 s16, s16, s40
	s_lshl_b64 s[16:17], s[16:17], 1
	v_add_lshl_u32 v4, v3, s25, 7
	s_add_u32 s16, s18, s16
	v_ashrrev_i32_e32 v5, 31, v4
	s_addc_u32 s17, s19, s17
	v_lshlrev_b64 v[4:5], 1, v[4:5]
	v_mov_b32_e32 v6, s17
	v_add_co_u32_e32 v4, vcc, s16, v4
	v_addc_co_u32_e32 v5, vcc, v6, v5, vcc
	v_add_co_u32_e32 v4, vcc, v4, v54
	v_addc_co_u32_e32 v5, vcc, 0, v5, vcc
	global_load_dwordx4 v[4:7], v[4:5], off
	v_lshlrev_b32_e32 v9, 8, v0
	v_lshlrev_b32_e32 v8, 8, v55
	v_and_b32_e32 v9, 0x600, v9
	s_movk_i32 s16, 0x800
	v_and_or_b32 v8, v8, s16, v9
	v_lshlrev_b32_e32 v3, 5, v3
	v_and_b32_e32 v9, 16, v56
	v_or3_b32 v3, v8, v3, v9
	s_waitcnt vmcnt(0)
	ds_write_b128 v3, v[4:7]
.LBB952_11:
	s_or_b64 exec, exec, s[6:7]
	s_waitcnt lgkmcnt(0)
	s_mul_i32 s10, s10, s42
	s_add_u32 s6, s12, s10
	s_addc_u32 s7, s13, 0
	v_and_b32_e32 v3, 48, v0
	v_pk_mov_b32 v[22:23], s[6:7], s[6:7] op_sel:[0,1]
	s_ashr_i32 s6, s20, 31
	v_lshlrev_b32_e32 v25, 5, v3
	v_or_b32_e32 v3, s20, v3
	s_lshr_b32 s6, s6, 27
	v_add_u32_e32 v4, s6, v3
	v_ashrrev_i32_e32 v4, 5, v4
	v_mov_b32_e32 v11, s22
	v_cmp_gt_i32_e32 vcc, s33, v3
	v_cndmask_b32_e32 v4, v11, v4, vcc
	v_ashrrev_i32_e32 v5, 31, v4
	v_lshlrev_b64 v[4:5], 2, v[4:5]
	v_mov_b32_e32 v6, s21
	v_add_co_u32_e32 v4, vcc, s11, v4
	v_addc_co_u32_e32 v5, vcc, v6, v5, vcc
	v_or_b32_e32 v6, 64, v3
	v_add_u32_e32 v7, s6, v6
	v_ashrrev_i32_e32 v7, 5, v7
	v_cmp_gt_i32_e32 vcc, s33, v6
	v_cndmask_b32_e32 v6, v11, v7, vcc
	v_ashrrev_i32_e32 v7, 31, v6
	v_lshlrev_b64 v[6:7], 2, v[6:7]
	v_mov_b32_e32 v8, s21
	v_add_co_u32_e32 v6, vcc, s11, v6
	v_addc_co_u32_e32 v7, vcc, v8, v7, vcc
	v_or_b32_e32 v8, 0x80, v3
	v_add_u32_e32 v9, s6, v8
	v_ashrrev_i32_e32 v9, 5, v9
	v_cmp_gt_i32_e32 vcc, s33, v8
	v_cndmask_b32_e32 v8, v11, v9, vcc
	v_ashrrev_i32_e32 v9, 31, v8
	v_lshlrev_b64 v[8:9], 2, v[8:9]
	v_mov_b32_e32 v12, s21
	v_add_co_u32_e32 v8, vcc, s11, v8
	v_or_b32_e32 v3, 0xc0, v3
	s_load_dwordx2 s[50:51], s[4:5], 0x94
	s_waitcnt lgkmcnt(0)
	s_barrier
	v_addc_co_u32_e32 v9, vcc, v12, v9, vcc
	global_load_dword v50, v[4:5], off
	global_load_dword v57, v[6:7], off
	v_add_u32_e32 v4, s6, v3
	v_ashrrev_i32_e32 v4, 5, v4
	v_cmp_gt_i32_e32 vcc, s33, v3
	v_cndmask_b32_e32 v4, v11, v4, vcc
	v_ashrrev_i32_e32 v5, 31, v4
	v_lshlrev_b64 v[4:5], 2, v[4:5]
	v_mov_b32_e32 v3, s21
	v_add_co_u32_e32 v4, vcc, s11, v4
	v_addc_co_u32_e32 v5, vcc, v3, v5, vcc
	global_load_dword v64, v[8:9], off
	global_load_dword v65, v[4:5], off
	s_waitcnt vmcnt(7)
	v_mad_i64_i32 v[2:3], s[6:7], v2, s41, v[22:23]
	v_lshlrev_b32_e32 v26, 4, v55
	v_add_co_u32_e32 v2, vcc, v2, v26
	v_addc_co_u32_e32 v3, vcc, 0, v3, vcc
	v_add_co_u32_e32 v12, vcc, v2, v25
	v_addc_co_u32_e32 v13, vcc, 0, v3, vcc
	global_load_dwordx4 v[6:9], v[12:13], off
	global_load_dwordx4 v[2:5], v[12:13], off offset:2048
	s_waitcnt vmcnt(8)
	v_mad_i64_i32 v[10:11], s[6:7], v10, s41, v[22:23]
	v_or_b32_e32 v28, 0x100, v26
	v_add_co_u32_e32 v10, vcc, v10, v28
	v_addc_co_u32_e32 v11, vcc, 0, v11, vcc
	v_add_co_u32_e32 v20, vcc, v10, v25
	v_addc_co_u32_e32 v21, vcc, 0, v11, vcc
	s_waitcnt vmcnt(7)
	v_mad_i64_i32 v[18:19], s[6:7], v18, s41, v[22:23]
	v_add_co_u32_e32 v18, vcc, v18, v26
	v_addc_co_u32_e32 v19, vcc, 0, v19, vcc
	v_add_co_u32_e32 v26, vcc, v18, v25
	v_addc_co_u32_e32 v27, vcc, 0, v19, vcc
	s_waitcnt vmcnt(6)
	v_mad_i64_i32 v[22:23], s[6:7], v24, s41, v[22:23]
	v_add_co_u32_e32 v22, vcc, v22, v28
	v_addc_co_u32_e32 v23, vcc, 0, v23, vcc
	v_add_co_u32_e32 v30, vcc, v22, v25
	v_addc_co_u32_e32 v31, vcc, 0, v23, vcc
	s_add_u32 s6, s14, s10
	global_load_dwordx4 v[10:13], v[20:21], off
	global_load_dwordx4 v[14:17], v[20:21], off offset:2048
	global_load_dwordx4 v[38:41], v[26:27], off
	s_nop 0
	global_load_dwordx4 v[18:21], v[26:27], off offset:2048
	s_nop 0
	global_load_dwordx4 v[26:29], v[30:31], off
	global_load_dwordx4 v[22:25], v[30:31], off offset:2048
	s_addc_u32 s7, s15, 0
	v_and_b32_e32 v30, 16, v0
	v_mov_b32_e32 v31, s7
	v_add_co_u32_e32 v51, vcc, s6, v30
	v_lshl_or_b32 v63, v62, 4, v55
	v_addc_co_u32_e32 v52, vcc, 0, v31, vcc
	v_lshlrev_b32_e32 v53, 5, v63
	v_add_co_u32_e32 v42, vcc, v51, v53
	v_addc_co_u32_e32 v43, vcc, 0, v52, vcc
	v_or_b32_e32 v53, 0x800, v53
	v_add_co_u32_e32 v58, vcc, v51, v53
	v_addc_co_u32_e32 v59, vcc, 0, v52, vcc
	v_cmp_gt_u32_e32 vcc, 11, v55
	s_waitcnt vmcnt(11)
	v_mad_i64_i32 v[30:31], s[6:7], v50, s41, v[42:43]
	s_waitcnt vmcnt(10)
	v_mad_i64_i32 v[34:35], s[6:7], v57, s41, v[42:43]
	global_load_dwordx4 v[30:33], v[30:31], off
	v_mad_i64_i32 v[50:51], s[6:7], v50, s41, v[58:59]
	global_load_dwordx4 v[34:37], v[34:35], off
	v_mad_i64_i32 v[60:61], s[6:7], v57, s41, v[58:59]
	s_mov_b32 s12, 0
	s_movk_i32 s13, 0x80
	s_waitcnt vmcnt(11)
	v_mad_i64_i32 v[44:45], s[6:7], v64, s41, v[42:43]
	s_waitcnt vmcnt(10)
	v_mad_i64_i32 v[42:43], s[6:7], v65, s41, v[42:43]
	global_load_dwordx4 v[46:49], v[44:45], off
	s_nop 0
	global_load_dwordx4 v[42:45], v[42:43], off
	s_movk_i32 s14, 0x7f
	global_load_dwordx4 v[50:53], v[50:51], off
	s_mov_b32 s15, 0xffffff
	global_load_dwordx4 v[66:69], v[60:61], off
	s_mov_b32 s16, 0x5040100
	s_waitcnt vmcnt(13)
	buffer_store_dword v9, off, s[0:3], 0 offset:12
	buffer_store_dword v8, off, s[0:3], 0 offset:8
	v_mad_i64_i32 v[8:9], s[6:7], v64, s41, v[58:59]
	global_load_dwordx4 v[70:73], v[8:9], off
	v_mad_i64_i32 v[8:9], s[6:7], v65, s41, v[58:59]
	global_load_dwordx4 v[74:77], v[8:9], off
	v_and_b32_e32 v64, 63, v0
	buffer_store_dword v7, off, s[0:3], 0 offset:4
	buffer_store_dword v6, off, s[0:3], 0
	s_waitcnt vmcnt(18)
	buffer_store_dword v5, off, s[0:3], 0 offset:28
	buffer_store_dword v4, off, s[0:3], 0 offset:24
	;; [unrolled: 1-line block ×4, first 2 shown]
	s_waitcnt vmcnt(21)
	buffer_store_dword v13, off, s[0:3], 0 offset:44
	buffer_store_dword v12, off, s[0:3], 0 offset:40
	buffer_store_dword v11, off, s[0:3], 0 offset:36
	buffer_store_dword v10, off, s[0:3], 0 offset:32
	v_mov_b32_e32 v2, 0x80
	s_load_dword s6, s[4:5], 0x1c
	s_load_dwordx4 s[40:43], s[4:5], 0x80
	v_add_u32_e32 v57, 16, v2
	s_waitcnt vmcnt(24)
	buffer_store_dword v17, off, s[0:3], 0 offset:60
	buffer_store_dword v16, off, s[0:3], 0 offset:56
	;; [unrolled: 1-line block ×4, first 2 shown]
	v_add_u32_e32 v61, 32, v2
	v_add_u32_e32 v58, 48, v2
	;; [unrolled: 1-line block ×4, first 2 shown]
	s_waitcnt vmcnt(27)
	buffer_store_dword v41, off, s[0:3], 0 offset:76
	buffer_store_dword v40, off, s[0:3], 0 offset:72
	;; [unrolled: 1-line block ×4, first 2 shown]
	v_add_u32_e32 v41, 0x60, v2
	v_add_u32_e32 v39, 0x70, v2
	v_add_u32_e32 v2, -11, v55
	v_cndmask_b32_e32 v2, v2, v55, vcc
	v_lshlrev_b32_e32 v2, 5, v2
	v_lshl_add_u32 v14, v1, 9, v2
	ds_read_b128 v[2:5], v14
	ds_read_b128 v[6:9], v14 offset:16
	ds_read_b128 v[10:13], v14 offset:2048
	;; [unrolled: 1-line block ×3, first 2 shown]
	s_waitcnt vmcnt(30)
	buffer_store_dword v21, off, s[0:3], 0 offset:92
	buffer_store_dword v20, off, s[0:3], 0 offset:88
	buffer_store_dword v19, off, s[0:3], 0 offset:84
	buffer_store_dword v18, off, s[0:3], 0 offset:80
	s_waitcnt vmcnt(33)
	buffer_store_dword v29, off, s[0:3], 0 offset:108
	buffer_store_dword v28, off, s[0:3], 0 offset:104
	buffer_store_dword v27, off, s[0:3], 0 offset:100
	buffer_store_dword v26, off, s[0:3], 0 offset:96
	s_waitcnt vmcnt(36)
	buffer_store_dword v22, off, s[0:3], 0 offset:112
	buffer_store_dword v23, off, s[0:3], 0 offset:116
	buffer_store_dword v24, off, s[0:3], 0 offset:120
	buffer_store_dword v25, off, s[0:3], 0 offset:124
	s_waitcnt vmcnt(39)
	buffer_store_dword v33, off, s[0:3], 0 offset:140
	buffer_store_dword v32, off, s[0:3], 0 offset:136
	buffer_store_dword v31, off, s[0:3], 0 offset:132
	buffer_store_dword v30, off, s[0:3], 0 offset:128
	s_waitcnt vmcnt(42)
	buffer_store_dword v37, off, s[0:3], 0 offset:172
	buffer_store_dword v36, off, s[0:3], 0 offset:168
	buffer_store_dword v35, off, s[0:3], 0 offset:164
	buffer_store_dword v34, off, s[0:3], 0 offset:160
	s_waitcnt vmcnt(45)
	buffer_store_dword v49, off, s[0:3], 0 offset:204
	buffer_store_dword v48, off, s[0:3], 0 offset:200
	buffer_store_dword v47, off, s[0:3], 0 offset:196
	buffer_store_dword v46, off, s[0:3], 0 offset:192
	s_waitcnt vmcnt(48)
	buffer_store_dword v45, off, s[0:3], 0 offset:236
	buffer_store_dword v44, off, s[0:3], 0 offset:232
	buffer_store_dword v43, off, s[0:3], 0 offset:228
	buffer_store_dword v42, off, s[0:3], 0 offset:224
	s_waitcnt vmcnt(51)
	buffer_store_dword v53, off, s[0:3], 0 offset:156
	buffer_store_dword v52, off, s[0:3], 0 offset:152
	buffer_store_dword v51, off, s[0:3], 0 offset:148
	buffer_store_dword v50, off, s[0:3], 0 offset:144
	s_waitcnt vmcnt(54)
	buffer_store_dword v69, off, s[0:3], 0 offset:188
	buffer_store_dword v68, off, s[0:3], 0 offset:184
	buffer_store_dword v67, off, s[0:3], 0 offset:180
	buffer_store_dword v66, off, s[0:3], 0 offset:176
	s_waitcnt vmcnt(55)
	buffer_store_dword v73, off, s[0:3], 0 offset:220
	buffer_store_dword v72, off, s[0:3], 0 offset:216
	buffer_store_dword v71, off, s[0:3], 0 offset:212
	buffer_store_dword v70, off, s[0:3], 0 offset:208
	s_waitcnt vmcnt(58)
	buffer_store_dword v77, off, s[0:3], 0 offset:252
	s_waitcnt lgkmcnt(0)
	s_load_dword s4, s[40:41], 0x0
	v_mov_b32_e32 v18, s6
	v_mov_b32_e32 v27, 0
	;; [unrolled: 1-line block ×4, first 2 shown]
	s_waitcnt lgkmcnt(0)
	v_mul_f32_e32 v22, s4, v18
	v_mov_b32_e32 v24, v22
	v_mov_b32_e32 v25, v22
	v_bfrev_b32_e32 v33, 60
	buffer_store_dword v76, off, s[0:3], 0 offset:248
	buffer_store_dword v75, off, s[0:3], 0 offset:244
	;; [unrolled: 1-line block ×3, first 2 shown]
	s_branch .LBB952_15
.LBB952_12:                             ;   in Loop: Header=BB952_15 Depth=1
	s_or_b64 exec, exec, s[10:11]
.LBB952_13:                             ;   in Loop: Header=BB952_15 Depth=1
	s_or_b64 exec, exec, s[6:7]
.LBB952_14:                             ;   in Loop: Header=BB952_15 Depth=1
	s_or_b64 exec, exec, s[4:5]
	v_perm_b32 v43, v36, v32, s16
	v_perm_b32 v42, v23, v34, s16
	;; [unrolled: 1-line block ×4, first 2 shown]
	v_add_u32_e32 v26, s12, v29
	v_mfma_f32_16x16x16bf16_1k v[18:21], v[42:43], v[14:15], v[18:21]
	s_add_i32 s12, s12, 16
	v_mov_b32_e32 v23, v22
	s_cmp_eq_u32 s12, 64
	v_add_u32_e32 v27, 32, v27
	v_mfma_f32_16x16x16bf16_1k v[18:21], v[36:37], v[16:17], v[18:21]
	s_nop 7
	s_nop 2
	v_pk_mul_f32 v[18:19], v[24:25], v[18:19]
	v_pk_mul_f32 v[20:21], v[22:23], v[20:21]
	buffer_store_dword v19, v26, s[0:3], 0 offen offset:4
	buffer_store_dword v18, v26, s[0:3], 0 offen
	buffer_store_dword v21, v26, s[0:3], 0 offen offset:12
	buffer_store_dword v20, v26, s[0:3], 0 offen offset:8
	s_cbranch_scc1 .LBB952_205
.LBB952_15:                             ; =>This Inner Loop Header: Depth=1
	buffer_load_dword v20, v27, s[0:3], 0 offen
	buffer_load_dword v18, v27, s[0:3], 0 offen offset:4
	buffer_load_dword v28, v27, s[0:3], 0 offen offset:8
	;; [unrolled: 1-line block ×3, first 2 shown]
	v_mov_b32_e32 v19, 0
	s_waitcnt vmcnt(3)
	v_cmp_ne_u16_sdwa s[6:7], v20, v31 src0_sel:BYTE_0 src1_sel:DWORD
	s_and_saveexec_b64 s[4:5], s[6:7]
	s_cbranch_execz .LBB952_21
; %bb.16:                               ;   in Loop: Header=BB952_15 Depth=1
	v_cmp_ne_u16_sdwa s[10:11], v20, s13 src0_sel:BYTE_0 src1_sel:DWORD
	v_mov_b32_e32 v19, 0xffff8000
	s_and_saveexec_b64 s[6:7], s[10:11]
	s_cbranch_execz .LBB952_20
; %bb.17:                               ;   in Loop: Header=BB952_15 Depth=1
	v_and_b32_e32 v21, 0x7f, v20
	v_cmp_ne_u32_e32 vcc, s14, v21
	v_mov_b32_e32 v19, 0x7f80
	s_and_saveexec_b64 s[10:11], vcc
	s_cbranch_execz .LBB952_19
; %bb.18:                               ;   in Loop: Header=BB952_15 Depth=1
	v_and_b32_e32 v19, 7, v20
	v_ffbh_u32_e32 v30, v19
	v_min_u32_e32 v30, 32, v30
	v_subrev_u32_e32 v32, 28, v30
	v_lshlrev_b64 v[34:35], v32, v[20:21]
	v_lshrrev_b32_e32 v23, 3, v21
	v_sub_u32_e32 v30, 29, v30
	v_and_b32_e32 v32, 7, v34
	v_cmp_gt_u32_e32 vcc, 8, v21
	v_cndmask_b32_e32 v21, v23, v30, vcc
	v_cndmask_b32_e32 v19, v19, v32, vcc
	v_lshlrev_b32_e32 v23, 24, v20
	v_lshlrev_b32_e32 v19, 20, v19
	v_and_b32_e32 v23, 0x80000000, v23
	v_lshl_add_u32 v21, v21, 23, v33
	v_or3_b32 v19, v23, v21, v19
	v_lshrrev_b32_e32 v19, 16, v19
.LBB952_19:                             ;   in Loop: Header=BB952_15 Depth=1
	s_or_b64 exec, exec, s[10:11]
.LBB952_20:                             ;   in Loop: Header=BB952_15 Depth=1
	s_or_b64 exec, exec, s[6:7]
.LBB952_21:                             ;   in Loop: Header=BB952_15 Depth=1
	s_or_b64 exec, exec, s[4:5]
	v_lshrrev_b16_e32 v30, 8, v20
	v_cmp_ne_u16_e32 vcc, 0, v30
	v_mov_b32_e32 v23, 0
	v_mov_b32_e32 v21, 0
	s_and_saveexec_b64 s[4:5], vcc
	s_cbranch_execz .LBB952_27
; %bb.22:                               ;   in Loop: Header=BB952_15 Depth=1
	v_cmp_ne_u16_e32 vcc, s13, v30
	v_mov_b32_e32 v21, 0xffff8000
	s_and_saveexec_b64 s[6:7], vcc
	s_cbranch_execz .LBB952_26
; %bb.23:                               ;   in Loop: Header=BB952_15 Depth=1
	v_and_b32_e32 v32, 0x7f, v30
	v_cmp_ne_u32_e32 vcc, s14, v32
	v_mov_b32_e32 v21, 0x7f80
	s_and_saveexec_b64 s[10:11], vcc
	s_cbranch_execz .LBB952_25
; %bb.24:                               ;   in Loop: Header=BB952_15 Depth=1
	v_and_b32_e32 v21, 7, v30
	v_ffbh_u32_e32 v34, v21
	v_min_u32_e32 v37, 32, v34
	v_subrev_u32_e32 v34, 28, v37
	v_lshlrev_b64 v[34:35], v34, v[30:31]
	v_lshrrev_b32_e32 v36, 3, v32
	v_sub_u32_e32 v30, 29, v37
	v_and_b32_e32 v34, 7, v34
	v_cmp_gt_u32_e32 vcc, 8, v32
	v_cndmask_b32_e32 v30, v36, v30, vcc
	v_cndmask_b32_e32 v21, v21, v34, vcc
	v_lshlrev_b32_e32 v32, 16, v20
	v_lshlrev_b32_e32 v21, 20, v21
	v_and_b32_e32 v32, 0x80000000, v32
	v_lshl_add_u32 v30, v30, 23, v33
	v_or3_b32 v21, v32, v30, v21
	v_lshrrev_b32_e32 v21, 16, v21
.LBB952_25:                             ;   in Loop: Header=BB952_15 Depth=1
	s_or_b64 exec, exec, s[10:11]
.LBB952_26:                             ;   in Loop: Header=BB952_15 Depth=1
	s_or_b64 exec, exec, s[6:7]
.LBB952_27:                             ;   in Loop: Header=BB952_15 Depth=1
	s_or_b64 exec, exec, s[4:5]
	v_lshrrev_b32_e32 v30, 16, v20
	v_cmp_ne_u16_sdwa s[6:7], v30, v31 src0_sel:BYTE_0 src1_sel:DWORD
	s_and_saveexec_b64 s[4:5], s[6:7]
	s_cbranch_execz .LBB952_33
; %bb.28:                               ;   in Loop: Header=BB952_15 Depth=1
	v_cmp_ne_u16_sdwa s[10:11], v30, s13 src0_sel:BYTE_0 src1_sel:DWORD
	v_mov_b32_e32 v23, 0xffff8000
	s_and_saveexec_b64 s[6:7], s[10:11]
	s_cbranch_execz .LBB952_32
; %bb.29:                               ;   in Loop: Header=BB952_15 Depth=1
	v_bfe_u32 v32, v20, 16, 7
	v_cmp_ne_u32_e32 vcc, s14, v32
	v_mov_b32_e32 v23, 0x7f80
	s_and_saveexec_b64 s[10:11], vcc
	s_cbranch_execz .LBB952_31
; %bb.30:                               ;   in Loop: Header=BB952_15 Depth=1
	v_and_b32_e32 v23, 7, v30
	v_ffbh_u32_e32 v34, v23
	v_min_u32_e32 v37, 32, v34
	v_subrev_u32_e32 v34, 28, v37
	v_lshlrev_b64 v[34:35], v34, v[30:31]
	v_lshrrev_b32_e32 v36, 3, v32
	v_sub_u32_e32 v35, 29, v37
	v_and_b32_e32 v34, 7, v34
	v_cmp_gt_u32_e32 vcc, 8, v32
	v_cndmask_b32_e32 v32, v36, v35, vcc
	v_cndmask_b32_e32 v23, v23, v34, vcc
	v_lshlrev_b32_e32 v30, 24, v30
	v_lshlrev_b32_e32 v23, 20, v23
	v_and_b32_e32 v30, 0x80000000, v30
	v_lshl_add_u32 v32, v32, 23, v33
	v_or3_b32 v23, v30, v32, v23
	v_lshrrev_b32_e32 v23, 16, v23
.LBB952_31:                             ;   in Loop: Header=BB952_15 Depth=1
	s_or_b64 exec, exec, s[10:11]
.LBB952_32:                             ;   in Loop: Header=BB952_15 Depth=1
	s_or_b64 exec, exec, s[6:7]
.LBB952_33:                             ;   in Loop: Header=BB952_15 Depth=1
	s_or_b64 exec, exec, s[4:5]
	v_cmp_lt_u32_e32 vcc, s15, v20
	v_mov_b32_e32 v34, 0
	v_mov_b32_e32 v35, 0
	s_and_saveexec_b64 s[4:5], vcc
	s_cbranch_execz .LBB952_39
; %bb.34:                               ;   in Loop: Header=BB952_15 Depth=1
	v_lshrrev_b32_e32 v30, 24, v20
	v_cmp_ne_u32_e32 vcc, s13, v30
	v_mov_b32_e32 v35, 0xffff8000
	s_and_saveexec_b64 s[6:7], vcc
	s_cbranch_execz .LBB952_38
; %bb.35:                               ;   in Loop: Header=BB952_15 Depth=1
	v_bfe_u32 v20, v20, 24, 7
	v_cmp_ne_u32_e32 vcc, s14, v20
	v_mov_b32_e32 v35, 0x7f80
	s_and_saveexec_b64 s[10:11], vcc
	s_cbranch_execz .LBB952_37
; %bb.36:                               ;   in Loop: Header=BB952_15 Depth=1
	v_and_b32_e32 v32, 7, v30
	v_ffbh_u32_e32 v36, v32
	v_min_u32_e32 v38, 32, v36
	v_subrev_u32_e32 v36, 28, v38
	v_lshlrev_b64 v[36:37], v36, v[30:31]
	v_lshrrev_b32_e32 v35, 3, v20
	v_sub_u32_e32 v37, 29, v38
	v_and_b32_e32 v36, 7, v36
	v_cmp_gt_u32_e32 vcc, 8, v20
	v_cndmask_b32_e32 v20, v35, v37, vcc
	v_cndmask_b32_e32 v32, v32, v36, vcc
	v_lshlrev_b32_e32 v30, 24, v30
	v_lshlrev_b32_e32 v32, 20, v32
	v_and_b32_e32 v30, 0x80000000, v30
	v_lshl_add_u32 v20, v20, 23, v33
	v_or3_b32 v20, v30, v20, v32
	v_lshrrev_b32_e32 v35, 16, v20
.LBB952_37:                             ;   in Loop: Header=BB952_15 Depth=1
	s_or_b64 exec, exec, s[10:11]
.LBB952_38:                             ;   in Loop: Header=BB952_15 Depth=1
	s_or_b64 exec, exec, s[6:7]
.LBB952_39:                             ;   in Loop: Header=BB952_15 Depth=1
	s_or_b64 exec, exec, s[4:5]
	s_waitcnt vmcnt(2)
	v_cmp_ne_u16_sdwa s[6:7], v18, v31 src0_sel:BYTE_0 src1_sel:DWORD
	s_and_saveexec_b64 s[4:5], s[6:7]
	s_cbranch_execz .LBB952_45
; %bb.40:                               ;   in Loop: Header=BB952_15 Depth=1
	v_cmp_ne_u16_sdwa s[10:11], v18, s13 src0_sel:BYTE_0 src1_sel:DWORD
	v_mov_b32_e32 v34, 0xffff8000
	s_and_saveexec_b64 s[6:7], s[10:11]
	s_cbranch_execz .LBB952_44
; %bb.41:                               ;   in Loop: Header=BB952_15 Depth=1
	v_and_b32_e32 v20, 0x7f, v18
	v_cmp_ne_u32_e32 vcc, s14, v20
	v_mov_b32_e32 v34, 0x7f80
	s_and_saveexec_b64 s[10:11], vcc
	s_cbranch_execz .LBB952_43
; %bb.42:                               ;   in Loop: Header=BB952_15 Depth=1
	v_and_b32_e32 v30, 7, v18
	v_ffbh_u32_e32 v34, v30
	v_min_u32_e32 v34, 32, v34
	v_subrev_u32_e32 v36, 28, v34
	v_lshlrev_b64 v[36:37], v36, v[18:19]
	v_lshrrev_b32_e32 v32, 3, v20
	v_sub_u32_e32 v34, 29, v34
	v_and_b32_e32 v36, 7, v36
	v_cmp_gt_u32_e32 vcc, 8, v20
	v_cndmask_b32_e32 v20, v32, v34, vcc
	v_cndmask_b32_e32 v30, v30, v36, vcc
	v_lshlrev_b32_e32 v32, 24, v18
	v_lshlrev_b32_e32 v30, 20, v30
	v_and_b32_e32 v32, 0x80000000, v32
	v_lshl_add_u32 v20, v20, 23, v33
	v_or3_b32 v20, v32, v20, v30
	v_lshrrev_b32_e32 v34, 16, v20
.LBB952_43:                             ;   in Loop: Header=BB952_15 Depth=1
	s_or_b64 exec, exec, s[10:11]
.LBB952_44:                             ;   in Loop: Header=BB952_15 Depth=1
	s_or_b64 exec, exec, s[6:7]
.LBB952_45:                             ;   in Loop: Header=BB952_15 Depth=1
	s_or_b64 exec, exec, s[4:5]
	v_lshrrev_b16_e32 v20, 8, v18
	v_cmp_ne_u16_e32 vcc, 0, v20
	v_mov_b32_e32 v36, 0
	v_mov_b32_e32 v30, 0
	s_and_saveexec_b64 s[4:5], vcc
	s_cbranch_execz .LBB952_51
; %bb.46:                               ;   in Loop: Header=BB952_15 Depth=1
	v_cmp_ne_u16_e32 vcc, s13, v20
	v_mov_b32_e32 v30, 0xffff8000
	s_and_saveexec_b64 s[6:7], vcc
	s_cbranch_execz .LBB952_50
; %bb.47:                               ;   in Loop: Header=BB952_15 Depth=1
	v_and_b32_e32 v32, 0x7f, v20
	v_cmp_ne_u32_e32 vcc, s14, v32
	v_mov_b32_e32 v30, 0x7f80
	s_and_saveexec_b64 s[10:11], vcc
	s_cbranch_execz .LBB952_49
; %bb.48:                               ;   in Loop: Header=BB952_15 Depth=1
	v_and_b32_e32 v30, 7, v20
	v_ffbh_u32_e32 v38, v30
	v_min_u32_e32 v38, 32, v38
	v_subrev_u32_e32 v40, 28, v38
	v_lshlrev_b64 v[42:43], v40, v[20:21]
	v_lshrrev_b32_e32 v37, 3, v32
	v_sub_u32_e32 v20, 29, v38
	v_and_b32_e32 v38, 7, v42
	v_cmp_gt_u32_e32 vcc, 8, v32
	v_cndmask_b32_e32 v20, v37, v20, vcc
	v_cndmask_b32_e32 v30, v30, v38, vcc
	v_lshlrev_b32_e32 v32, 16, v18
	v_lshlrev_b32_e32 v30, 20, v30
	v_and_b32_e32 v32, 0x80000000, v32
	v_lshl_add_u32 v20, v20, 23, v33
	v_or3_b32 v20, v32, v20, v30
	v_lshrrev_b32_e32 v30, 16, v20
.LBB952_49:                             ;   in Loop: Header=BB952_15 Depth=1
	s_or_b64 exec, exec, s[10:11]
.LBB952_50:                             ;   in Loop: Header=BB952_15 Depth=1
	s_or_b64 exec, exec, s[6:7]
.LBB952_51:                             ;   in Loop: Header=BB952_15 Depth=1
	s_or_b64 exec, exec, s[4:5]
	v_lshrrev_b32_e32 v20, 16, v18
	v_cmp_ne_u16_sdwa s[6:7], v20, v31 src0_sel:BYTE_0 src1_sel:DWORD
	s_and_saveexec_b64 s[4:5], s[6:7]
	s_cbranch_execz .LBB952_57
; %bb.52:                               ;   in Loop: Header=BB952_15 Depth=1
	v_cmp_ne_u16_sdwa s[10:11], v20, s13 src0_sel:BYTE_0 src1_sel:DWORD
	v_mov_b32_e32 v36, 0xffff8000
	s_and_saveexec_b64 s[6:7], s[10:11]
	s_cbranch_execz .LBB952_56
; %bb.53:                               ;   in Loop: Header=BB952_15 Depth=1
	v_bfe_u32 v32, v18, 16, 7
	v_cmp_ne_u32_e32 vcc, s14, v32
	v_mov_b32_e32 v36, 0x7f80
	s_and_saveexec_b64 s[10:11], vcc
	s_cbranch_execz .LBB952_55
; %bb.54:                               ;   in Loop: Header=BB952_15 Depth=1
	v_and_b32_e32 v38, 7, v20
	v_ffbh_u32_e32 v36, v38
	v_min_u32_e32 v42, 32, v36
	v_subrev_u32_e32 v36, 28, v42
	v_lshlrev_b64 v[36:37], v36, v[20:21]
	v_lshrrev_b32_e32 v40, 3, v32
	v_sub_u32_e32 v37, 29, v42
	v_and_b32_e32 v36, 7, v36
	v_cmp_gt_u32_e32 vcc, 8, v32
	v_cndmask_b32_e32 v32, v40, v37, vcc
	v_cndmask_b32_e32 v36, v38, v36, vcc
	v_lshlrev_b32_e32 v20, 24, v20
	v_lshlrev_b32_e32 v36, 20, v36
	v_and_b32_e32 v20, 0x80000000, v20
	v_lshl_add_u32 v32, v32, 23, v33
	v_or3_b32 v20, v20, v32, v36
	v_lshrrev_b32_e32 v36, 16, v20
.LBB952_55:                             ;   in Loop: Header=BB952_15 Depth=1
	s_or_b64 exec, exec, s[10:11]
.LBB952_56:                             ;   in Loop: Header=BB952_15 Depth=1
	s_or_b64 exec, exec, s[6:7]
.LBB952_57:                             ;   in Loop: Header=BB952_15 Depth=1
	s_or_b64 exec, exec, s[4:5]
	v_cmp_lt_u32_e32 vcc, s15, v18
	v_mov_b32_e32 v32, 0
	v_mov_b32_e32 v37, 0
	s_and_saveexec_b64 s[4:5], vcc
	s_cbranch_execz .LBB952_63
; %bb.58:                               ;   in Loop: Header=BB952_15 Depth=1
	v_lshrrev_b32_e32 v20, 24, v18
	v_cmp_ne_u32_e32 vcc, s13, v20
	v_mov_b32_e32 v37, 0xffff8000
	s_and_saveexec_b64 s[6:7], vcc
	s_cbranch_execz .LBB952_62
; %bb.59:                               ;   in Loop: Header=BB952_15 Depth=1
	v_bfe_u32 v18, v18, 24, 7
	v_cmp_ne_u32_e32 vcc, s14, v18
	v_mov_b32_e32 v37, 0x7f80
	s_and_saveexec_b64 s[10:11], vcc
	s_cbranch_execz .LBB952_61
; %bb.60:                               ;   in Loop: Header=BB952_15 Depth=1
	v_and_b32_e32 v37, 7, v20
	v_ffbh_u32_e32 v40, v37
	v_min_u32_e32 v40, 32, v40
	v_subrev_u32_e32 v42, 28, v40
	v_lshlrev_b64 v[42:43], v42, v[20:21]
	v_lshrrev_b32_e32 v38, 3, v18
	v_sub_u32_e32 v40, 29, v40
	v_and_b32_e32 v42, 7, v42
	v_cmp_gt_u32_e32 vcc, 8, v18
	v_cndmask_b32_e32 v18, v38, v40, vcc
	v_cndmask_b32_e32 v37, v37, v42, vcc
	v_lshlrev_b32_e32 v20, 24, v20
	v_lshlrev_b32_e32 v37, 20, v37
	v_and_b32_e32 v20, 0x80000000, v20
	v_lshl_add_u32 v18, v18, 23, v33
	v_or3_b32 v18, v20, v18, v37
	v_lshrrev_b32_e32 v37, 16, v18
.LBB952_61:                             ;   in Loop: Header=BB952_15 Depth=1
	s_or_b64 exec, exec, s[10:11]
.LBB952_62:                             ;   in Loop: Header=BB952_15 Depth=1
	s_or_b64 exec, exec, s[6:7]
.LBB952_63:                             ;   in Loop: Header=BB952_15 Depth=1
	s_or_b64 exec, exec, s[4:5]
	v_perm_b32 v43, v35, v23, s16
	v_perm_b32 v42, v21, v19, s16
	;; [unrolled: 1-line block ×4, first 2 shown]
	s_waitcnt vmcnt(1)
	v_cmp_ne_u16_sdwa s[6:7], v28, v31 src0_sel:BYTE_0 src1_sel:DWORD
	v_mfma_f32_16x16x16bf16_1k v[18:21], v[42:43], v[2:3], 0
	v_mfma_f32_16x16x16bf16_1k v[18:21], v[34:35], v[4:5], v[18:21]
	s_and_saveexec_b64 s[4:5], s[6:7]
	s_cbranch_execz .LBB952_69
; %bb.64:                               ;   in Loop: Header=BB952_15 Depth=1
	v_cmp_ne_u16_sdwa s[10:11], v28, s13 src0_sel:BYTE_0 src1_sel:DWORD
	v_mov_b32_e32 v32, 0xffff8000
	s_and_saveexec_b64 s[6:7], s[10:11]
	s_cbranch_execz .LBB952_68
; %bb.65:                               ;   in Loop: Header=BB952_15 Depth=1
	v_and_b32_e32 v23, 0x7f, v28
	v_cmp_ne_u32_e32 vcc, s14, v23
	v_mov_b32_e32 v32, 0x7f80
	s_and_saveexec_b64 s[10:11], vcc
	s_cbranch_execz .LBB952_67
; %bb.66:                               ;   in Loop: Header=BB952_15 Depth=1
	v_and_b32_e32 v30, 7, v28
	v_ffbh_u32_e32 v34, v30
	v_min_u32_e32 v36, 32, v34
	v_subrev_u32_e32 v34, 28, v36
	v_lshlrev_b64 v[34:35], v34, v[28:29]
	v_lshrrev_b32_e32 v32, 3, v23
	v_sub_u32_e32 v35, 29, v36
	v_and_b32_e32 v34, 7, v34
	v_cmp_gt_u32_e32 vcc, 8, v23
	v_cndmask_b32_e32 v23, v32, v35, vcc
	v_cndmask_b32_e32 v30, v30, v34, vcc
	v_lshlrev_b32_e32 v32, 24, v28
	v_lshlrev_b32_e32 v30, 20, v30
	v_and_b32_e32 v32, 0x80000000, v32
	v_lshl_add_u32 v23, v23, 23, v33
	v_or3_b32 v23, v32, v23, v30
	v_lshrrev_b32_e32 v32, 16, v23
.LBB952_67:                             ;   in Loop: Header=BB952_15 Depth=1
	s_or_b64 exec, exec, s[10:11]
.LBB952_68:                             ;   in Loop: Header=BB952_15 Depth=1
	s_or_b64 exec, exec, s[6:7]
.LBB952_69:                             ;   in Loop: Header=BB952_15 Depth=1
	s_or_b64 exec, exec, s[4:5]
	v_lshrrev_b16_e32 v30, 8, v28
	v_cmp_ne_u16_e32 vcc, 0, v30
	v_mov_b32_e32 v35, 0
	v_mov_b32_e32 v34, 0
	s_and_saveexec_b64 s[4:5], vcc
	s_cbranch_execz .LBB952_75
; %bb.70:                               ;   in Loop: Header=BB952_15 Depth=1
	v_cmp_ne_u16_e32 vcc, s13, v30
	v_mov_b32_e32 v34, 0xffff8000
	s_and_saveexec_b64 s[6:7], vcc
	s_cbranch_execz .LBB952_74
; %bb.71:                               ;   in Loop: Header=BB952_15 Depth=1
	v_and_b32_e32 v23, 0x7f, v30
	v_cmp_ne_u32_e32 vcc, s14, v23
	v_mov_b32_e32 v34, 0x7f80
	s_and_saveexec_b64 s[10:11], vcc
	s_cbranch_execz .LBB952_73
; %bb.72:                               ;   in Loop: Header=BB952_15 Depth=1
	v_and_b32_e32 v34, 7, v30
	v_ffbh_u32_e32 v36, v34
	v_min_u32_e32 v40, 32, v36
	v_subrev_u32_e32 v36, 28, v40
	v_lshlrev_b64 v[36:37], v36, v[30:31]
	v_lshrrev_b32_e32 v38, 3, v23
	v_sub_u32_e32 v30, 29, v40
	v_and_b32_e32 v36, 7, v36
	v_cmp_gt_u32_e32 vcc, 8, v23
	v_cndmask_b32_e32 v23, v38, v30, vcc
	v_cndmask_b32_e32 v30, v34, v36, vcc
	v_lshlrev_b32_e32 v34, 16, v28
	v_lshlrev_b32_e32 v30, 20, v30
	v_and_b32_e32 v34, 0x80000000, v34
	v_lshl_add_u32 v23, v23, 23, v33
	v_or3_b32 v23, v34, v23, v30
	v_lshrrev_b32_e32 v34, 16, v23
.LBB952_73:                             ;   in Loop: Header=BB952_15 Depth=1
	s_or_b64 exec, exec, s[10:11]
.LBB952_74:                             ;   in Loop: Header=BB952_15 Depth=1
	s_or_b64 exec, exec, s[6:7]
.LBB952_75:                             ;   in Loop: Header=BB952_15 Depth=1
	s_or_b64 exec, exec, s[4:5]
	v_lshrrev_b32_e32 v30, 16, v28
	v_cmp_ne_u16_sdwa s[6:7], v30, v31 src0_sel:BYTE_0 src1_sel:DWORD
	s_and_saveexec_b64 s[4:5], s[6:7]
	s_cbranch_execz .LBB952_81
; %bb.76:                               ;   in Loop: Header=BB952_15 Depth=1
	v_cmp_ne_u16_sdwa s[10:11], v30, s13 src0_sel:BYTE_0 src1_sel:DWORD
	v_mov_b32_e32 v35, 0xffff8000
	s_and_saveexec_b64 s[6:7], s[10:11]
	s_cbranch_execz .LBB952_80
; %bb.77:                               ;   in Loop: Header=BB952_15 Depth=1
	v_bfe_u32 v23, v28, 16, 7
	v_cmp_ne_u32_e32 vcc, s14, v23
	v_mov_b32_e32 v35, 0x7f80
	s_and_saveexec_b64 s[10:11], vcc
	s_cbranch_execz .LBB952_79
; %bb.78:                               ;   in Loop: Header=BB952_15 Depth=1
	v_and_b32_e32 v35, 7, v30
	v_ffbh_u32_e32 v36, v35
	v_min_u32_e32 v40, 32, v36
	v_subrev_u32_e32 v36, 28, v40
	v_lshlrev_b64 v[36:37], v36, v[30:31]
	v_lshrrev_b32_e32 v38, 3, v23
	v_sub_u32_e32 v37, 29, v40
	v_and_b32_e32 v36, 7, v36
	v_cmp_gt_u32_e32 vcc, 8, v23
	v_cndmask_b32_e32 v23, v38, v37, vcc
	v_cndmask_b32_e32 v35, v35, v36, vcc
	v_lshlrev_b32_e32 v30, 24, v30
	v_lshlrev_b32_e32 v35, 20, v35
	v_and_b32_e32 v30, 0x80000000, v30
	v_lshl_add_u32 v23, v23, 23, v33
	v_or3_b32 v23, v30, v23, v35
	v_lshrrev_b32_e32 v35, 16, v23
.LBB952_79:                             ;   in Loop: Header=BB952_15 Depth=1
	s_or_b64 exec, exec, s[10:11]
.LBB952_80:                             ;   in Loop: Header=BB952_15 Depth=1
	s_or_b64 exec, exec, s[6:7]
.LBB952_81:                             ;   in Loop: Header=BB952_15 Depth=1
	s_or_b64 exec, exec, s[4:5]
	v_cmp_lt_u32_e32 vcc, s15, v28
	v_mov_b32_e32 v36, 0
	v_mov_b32_e32 v37, 0
	s_and_saveexec_b64 s[4:5], vcc
	s_cbranch_execz .LBB952_87
; %bb.82:                               ;   in Loop: Header=BB952_15 Depth=1
	v_lshrrev_b32_e32 v30, 24, v28
	v_cmp_ne_u32_e32 vcc, s13, v30
	v_mov_b32_e32 v37, 0xffff8000
	s_and_saveexec_b64 s[6:7], vcc
	s_cbranch_execz .LBB952_86
; %bb.83:                               ;   in Loop: Header=BB952_15 Depth=1
	v_bfe_u32 v23, v28, 24, 7
	v_cmp_ne_u32_e32 vcc, s14, v23
	v_mov_b32_e32 v37, 0x7f80
	s_and_saveexec_b64 s[10:11], vcc
	s_cbranch_execz .LBB952_85
; %bb.84:                               ;   in Loop: Header=BB952_15 Depth=1
	v_and_b32_e32 v28, 7, v30
	v_ffbh_u32_e32 v38, v28
	v_min_u32_e32 v38, 32, v38
	v_subrev_u32_e32 v40, 28, v38
	v_lshlrev_b64 v[42:43], v40, v[30:31]
	v_lshrrev_b32_e32 v37, 3, v23
	v_sub_u32_e32 v38, 29, v38
	v_and_b32_e32 v40, 7, v42
	v_cmp_gt_u32_e32 vcc, 8, v23
	v_cndmask_b32_e32 v23, v37, v38, vcc
	v_cndmask_b32_e32 v28, v28, v40, vcc
	v_lshlrev_b32_e32 v30, 24, v30
	v_lshlrev_b32_e32 v28, 20, v28
	v_and_b32_e32 v30, 0x80000000, v30
	v_lshl_add_u32 v23, v23, 23, v33
	v_or3_b32 v23, v30, v23, v28
	v_lshrrev_b32_e32 v37, 16, v23
.LBB952_85:                             ;   in Loop: Header=BB952_15 Depth=1
	s_or_b64 exec, exec, s[10:11]
.LBB952_86:                             ;   in Loop: Header=BB952_15 Depth=1
	s_or_b64 exec, exec, s[6:7]
.LBB952_87:                             ;   in Loop: Header=BB952_15 Depth=1
	s_or_b64 exec, exec, s[4:5]
	s_waitcnt vmcnt(0)
	v_cmp_ne_u16_sdwa s[6:7], v26, v31 src0_sel:BYTE_0 src1_sel:DWORD
	s_and_saveexec_b64 s[4:5], s[6:7]
	s_cbranch_execz .LBB952_93
; %bb.88:                               ;   in Loop: Header=BB952_15 Depth=1
	v_cmp_ne_u16_sdwa s[10:11], v26, s13 src0_sel:BYTE_0 src1_sel:DWORD
	v_mov_b32_e32 v36, 0xffff8000
	s_and_saveexec_b64 s[6:7], s[10:11]
	s_cbranch_execz .LBB952_92
; %bb.89:                               ;   in Loop: Header=BB952_15 Depth=1
	v_and_b32_e32 v23, 0x7f, v26
	v_cmp_ne_u32_e32 vcc, s14, v23
	v_mov_b32_e32 v36, 0x7f80
	s_and_saveexec_b64 s[10:11], vcc
	s_cbranch_execz .LBB952_91
; %bb.90:                               ;   in Loop: Header=BB952_15 Depth=1
	v_and_b32_e32 v28, 7, v26
	v_ffbh_u32_e32 v36, v28
	v_min_u32_e32 v36, 32, v36
	v_subrev_u32_e32 v38, 28, v36
	v_lshlrev_b64 v[42:43], v38, v[26:27]
	v_lshrrev_b32_e32 v30, 3, v23
	v_sub_u32_e32 v36, 29, v36
	v_and_b32_e32 v38, 7, v42
	v_cmp_gt_u32_e32 vcc, 8, v23
	v_cndmask_b32_e32 v23, v30, v36, vcc
	v_cndmask_b32_e32 v28, v28, v38, vcc
	v_lshlrev_b32_e32 v30, 24, v26
	v_lshlrev_b32_e32 v28, 20, v28
	v_and_b32_e32 v30, 0x80000000, v30
	v_lshl_add_u32 v23, v23, 23, v33
	v_or3_b32 v23, v30, v23, v28
	v_lshrrev_b32_e32 v36, 16, v23
.LBB952_91:                             ;   in Loop: Header=BB952_15 Depth=1
	s_or_b64 exec, exec, s[10:11]
.LBB952_92:                             ;   in Loop: Header=BB952_15 Depth=1
	s_or_b64 exec, exec, s[6:7]
.LBB952_93:                             ;   in Loop: Header=BB952_15 Depth=1
	s_or_b64 exec, exec, s[4:5]
	v_lshrrev_b16_e32 v28, 8, v26
	v_cmp_ne_u16_e32 vcc, 0, v28
	v_mov_b32_e32 v40, 0
	v_mov_b32_e32 v38, 0
	s_and_saveexec_b64 s[4:5], vcc
	s_cbranch_execz .LBB952_99
; %bb.94:                               ;   in Loop: Header=BB952_15 Depth=1
	v_cmp_ne_u16_e32 vcc, s13, v28
	v_mov_b32_e32 v38, 0xffff8000
	s_and_saveexec_b64 s[6:7], vcc
	s_cbranch_execz .LBB952_98
; %bb.95:                               ;   in Loop: Header=BB952_15 Depth=1
	v_and_b32_e32 v23, 0x7f, v28
	v_cmp_ne_u32_e32 vcc, s14, v23
	v_mov_b32_e32 v38, 0x7f80
	s_and_saveexec_b64 s[10:11], vcc
	s_cbranch_execz .LBB952_97
; %bb.96:                               ;   in Loop: Header=BB952_15 Depth=1
	v_and_b32_e32 v30, 7, v28
	v_ffbh_u32_e32 v42, v30
	v_min_u32_e32 v44, 32, v42
	v_subrev_u32_e32 v42, 28, v44
	v_lshlrev_b64 v[42:43], v42, v[28:29]
	v_lshrrev_b32_e32 v38, 3, v23
	v_sub_u32_e32 v28, 29, v44
	v_and_b32_e32 v42, 7, v42
	v_cmp_gt_u32_e32 vcc, 8, v23
	v_cndmask_b32_e32 v23, v38, v28, vcc
	v_cndmask_b32_e32 v28, v30, v42, vcc
	v_lshlrev_b32_e32 v30, 16, v26
	v_lshlrev_b32_e32 v28, 20, v28
	v_and_b32_e32 v30, 0x80000000, v30
	v_lshl_add_u32 v23, v23, 23, v33
	v_or3_b32 v23, v30, v23, v28
	v_lshrrev_b32_e32 v38, 16, v23
.LBB952_97:                             ;   in Loop: Header=BB952_15 Depth=1
	s_or_b64 exec, exec, s[10:11]
.LBB952_98:                             ;   in Loop: Header=BB952_15 Depth=1
	s_or_b64 exec, exec, s[6:7]
.LBB952_99:                             ;   in Loop: Header=BB952_15 Depth=1
	s_or_b64 exec, exec, s[4:5]
	v_lshrrev_b32_e32 v28, 16, v26
	v_cmp_ne_u16_sdwa s[6:7], v28, v31 src0_sel:BYTE_0 src1_sel:DWORD
	s_and_saveexec_b64 s[4:5], s[6:7]
	s_cbranch_execz .LBB952_105
; %bb.100:                              ;   in Loop: Header=BB952_15 Depth=1
	v_cmp_ne_u16_sdwa s[10:11], v28, s13 src0_sel:BYTE_0 src1_sel:DWORD
	v_mov_b32_e32 v40, 0xffff8000
	s_and_saveexec_b64 s[6:7], s[10:11]
	s_cbranch_execz .LBB952_104
; %bb.101:                              ;   in Loop: Header=BB952_15 Depth=1
	v_bfe_u32 v23, v26, 16, 7
	v_cmp_ne_u32_e32 vcc, s14, v23
	v_mov_b32_e32 v40, 0x7f80
	s_and_saveexec_b64 s[10:11], vcc
	s_cbranch_execz .LBB952_103
; %bb.102:                              ;   in Loop: Header=BB952_15 Depth=1
	v_and_b32_e32 v30, 7, v28
	v_ffbh_u32_e32 v42, v30
	v_min_u32_e32 v44, 32, v42
	v_subrev_u32_e32 v42, 28, v44
	v_lshlrev_b64 v[42:43], v42, v[28:29]
	v_lshrrev_b32_e32 v40, 3, v23
	v_sub_u32_e32 v43, 29, v44
	v_and_b32_e32 v42, 7, v42
	v_cmp_gt_u32_e32 vcc, 8, v23
	v_cndmask_b32_e32 v23, v40, v43, vcc
	v_cndmask_b32_e32 v30, v30, v42, vcc
	v_lshlrev_b32_e32 v28, 24, v28
	v_lshlrev_b32_e32 v30, 20, v30
	v_and_b32_e32 v28, 0x80000000, v28
	v_lshl_add_u32 v23, v23, 23, v33
	v_or3_b32 v23, v28, v23, v30
	v_lshrrev_b32_e32 v40, 16, v23
.LBB952_103:                            ;   in Loop: Header=BB952_15 Depth=1
	s_or_b64 exec, exec, s[10:11]
.LBB952_104:                            ;   in Loop: Header=BB952_15 Depth=1
	s_or_b64 exec, exec, s[6:7]
.LBB952_105:                            ;   in Loop: Header=BB952_15 Depth=1
	s_or_b64 exec, exec, s[4:5]
	v_cmp_lt_u32_e32 vcc, s15, v26
	v_mov_b32_e32 v23, 0
	v_mov_b32_e32 v42, 0
	s_and_saveexec_b64 s[4:5], vcc
	s_cbranch_execz .LBB952_111
; %bb.106:                              ;   in Loop: Header=BB952_15 Depth=1
	v_lshrrev_b32_e32 v28, 24, v26
	v_cmp_ne_u32_e32 vcc, s13, v28
	v_mov_b32_e32 v42, 0xffff8000
	s_and_saveexec_b64 s[6:7], vcc
	s_cbranch_execz .LBB952_110
; %bb.107:                              ;   in Loop: Header=BB952_15 Depth=1
	v_bfe_u32 v26, v26, 24, 7
	v_cmp_ne_u32_e32 vcc, s14, v26
	v_mov_b32_e32 v42, 0x7f80
	s_and_saveexec_b64 s[10:11], vcc
	s_cbranch_execz .LBB952_109
; %bb.108:                              ;   in Loop: Header=BB952_15 Depth=1
	v_and_b32_e32 v30, 7, v28
	v_ffbh_u32_e32 v42, v30
	v_min_u32_e32 v45, 32, v42
	v_subrev_u32_e32 v42, 28, v45
	v_lshlrev_b64 v[42:43], v42, v[28:29]
	v_lshrrev_b32_e32 v44, 3, v26
	v_sub_u32_e32 v43, 29, v45
	v_and_b32_e32 v42, 7, v42
	v_cmp_gt_u32_e32 vcc, 8, v26
	v_cndmask_b32_e32 v26, v44, v43, vcc
	v_cndmask_b32_e32 v30, v30, v42, vcc
	v_lshlrev_b32_e32 v28, 24, v28
	v_lshlrev_b32_e32 v30, 20, v30
	v_and_b32_e32 v28, 0x80000000, v28
	v_lshl_add_u32 v26, v26, 23, v33
	v_or3_b32 v26, v28, v26, v30
	v_lshrrev_b32_e32 v42, 16, v26
.LBB952_109:                            ;   in Loop: Header=BB952_15 Depth=1
	s_or_b64 exec, exec, s[10:11]
.LBB952_110:                            ;   in Loop: Header=BB952_15 Depth=1
	s_or_b64 exec, exec, s[6:7]
.LBB952_111:                            ;   in Loop: Header=BB952_15 Depth=1
	s_or_b64 exec, exec, s[4:5]
	v_perm_b32 v34, v34, v32, s16
	buffer_load_dword v32, v27, s[0:3], 0 offen offset:16
	buffer_load_dword v30, v27, s[0:3], 0 offen offset:20
	;; [unrolled: 1-line block ×4, first 2 shown]
	v_perm_b32 v35, v37, v35, s16
	s_waitcnt vmcnt(3)
	v_cmp_ne_u16_sdwa s[6:7], v32, v31 src0_sel:BYTE_0 src1_sel:DWORD
	v_mfma_f32_16x16x16bf16_1k v[18:21], v[34:35], v[6:7], v[18:21]
	v_perm_b32 v35, v42, v40, s16
	v_perm_b32 v34, v38, v36, s16
	s_nop 1
	v_mfma_f32_16x16x16bf16_1k v[18:21], v[34:35], v[8:9], v[18:21]
	s_and_saveexec_b64 s[4:5], s[6:7]
	s_cbranch_execz .LBB952_117
; %bb.112:                              ;   in Loop: Header=BB952_15 Depth=1
	v_cmp_ne_u16_sdwa s[10:11], v32, s13 src0_sel:BYTE_0 src1_sel:DWORD
	v_mov_b32_e32 v23, 0xffff8000
	s_and_saveexec_b64 s[6:7], s[10:11]
	s_cbranch_execz .LBB952_116
; %bb.113:                              ;   in Loop: Header=BB952_15 Depth=1
	v_and_b32_e32 v34, 0x7f, v32
	v_cmp_ne_u32_e32 vcc, s14, v34
	v_mov_b32_e32 v23, 0x7f80
	s_and_saveexec_b64 s[10:11], vcc
	s_cbranch_execz .LBB952_115
; %bb.114:                              ;   in Loop: Header=BB952_15 Depth=1
	v_and_b32_e32 v23, 7, v32
	v_ffbh_u32_e32 v36, v23
	v_min_u32_e32 v38, 32, v36
	v_subrev_u32_e32 v36, 28, v38
	v_lshlrev_b64 v[36:37], v36, v[32:33]
	v_lshrrev_b32_e32 v35, 3, v34
	v_sub_u32_e32 v37, 29, v38
	v_and_b32_e32 v36, 7, v36
	v_cmp_gt_u32_e32 vcc, 8, v34
	v_cndmask_b32_e32 v34, v35, v37, vcc
	v_cndmask_b32_e32 v23, v23, v36, vcc
	v_lshlrev_b32_e32 v35, 24, v32
	v_lshlrev_b32_e32 v23, 20, v23
	v_and_b32_e32 v35, 0x80000000, v35
	v_lshl_add_u32 v34, v34, 23, v33
	v_or3_b32 v23, v35, v34, v23
	v_lshrrev_b32_e32 v23, 16, v23
.LBB952_115:                            ;   in Loop: Header=BB952_15 Depth=1
	s_or_b64 exec, exec, s[10:11]
.LBB952_116:                            ;   in Loop: Header=BB952_15 Depth=1
	s_or_b64 exec, exec, s[6:7]
.LBB952_117:                            ;   in Loop: Header=BB952_15 Depth=1
	s_or_b64 exec, exec, s[4:5]
	v_lshrrev_b16_e32 v34, 8, v32
	v_cmp_ne_u16_e32 vcc, 0, v34
	v_mov_b32_e32 v36, 0
	v_mov_b32_e32 v35, 0
	s_and_saveexec_b64 s[4:5], vcc
	s_cbranch_execz .LBB952_123
; %bb.118:                              ;   in Loop: Header=BB952_15 Depth=1
	v_cmp_ne_u16_e32 vcc, s13, v34
	v_mov_b32_e32 v35, 0xffff8000
	s_and_saveexec_b64 s[6:7], vcc
	s_cbranch_execz .LBB952_122
; %bb.119:                              ;   in Loop: Header=BB952_15 Depth=1
	v_and_b32_e32 v37, 0x7f, v34
	v_cmp_ne_u32_e32 vcc, s14, v37
	v_mov_b32_e32 v35, 0x7f80
	s_and_saveexec_b64 s[10:11], vcc
	s_cbranch_execz .LBB952_121
; %bb.120:                              ;   in Loop: Header=BB952_15 Depth=1
	v_and_b32_e32 v38, 7, v34
	v_ffbh_u32_e32 v35, v38
	v_min_u32_e32 v42, 32, v35
	v_subrev_u32_e32 v35, 28, v42
	v_lshlrev_b64 v[34:35], v35, v[34:35]
	v_lshrrev_b32_e32 v40, 3, v37
	v_sub_u32_e32 v35, 29, v42
	v_and_b32_e32 v34, 7, v34
	v_cmp_gt_u32_e32 vcc, 8, v37
	v_cndmask_b32_e32 v35, v40, v35, vcc
	v_cndmask_b32_e32 v34, v38, v34, vcc
	v_lshlrev_b32_e32 v37, 16, v32
	v_lshlrev_b32_e32 v34, 20, v34
	v_and_b32_e32 v37, 0x80000000, v37
	v_lshl_add_u32 v35, v35, 23, v33
	v_or3_b32 v34, v37, v35, v34
	v_lshrrev_b32_e32 v35, 16, v34
.LBB952_121:                            ;   in Loop: Header=BB952_15 Depth=1
	s_or_b64 exec, exec, s[10:11]
.LBB952_122:                            ;   in Loop: Header=BB952_15 Depth=1
	s_or_b64 exec, exec, s[6:7]
.LBB952_123:                            ;   in Loop: Header=BB952_15 Depth=1
	s_or_b64 exec, exec, s[4:5]
	v_lshrrev_b32_e32 v34, 16, v32
	v_cmp_ne_u16_sdwa s[6:7], v34, v31 src0_sel:BYTE_0 src1_sel:DWORD
	s_and_saveexec_b64 s[4:5], s[6:7]
	s_cbranch_execz .LBB952_129
; %bb.124:                              ;   in Loop: Header=BB952_15 Depth=1
	v_cmp_ne_u16_sdwa s[10:11], v34, s13 src0_sel:BYTE_0 src1_sel:DWORD
	v_mov_b32_e32 v36, 0xffff8000
	s_and_saveexec_b64 s[6:7], s[10:11]
	s_cbranch_execz .LBB952_128
; %bb.125:                              ;   in Loop: Header=BB952_15 Depth=1
	v_bfe_u32 v37, v32, 16, 7
	v_cmp_ne_u32_e32 vcc, s14, v37
	v_mov_b32_e32 v36, 0x7f80
	s_and_saveexec_b64 s[10:11], vcc
	s_cbranch_execz .LBB952_127
; %bb.126:                              ;   in Loop: Header=BB952_15 Depth=1
	v_and_b32_e32 v36, 7, v34
	v_ffbh_u32_e32 v40, v36
	v_min_u32_e32 v40, 32, v40
	v_subrev_u32_e32 v42, 28, v40
	v_lshlrev_b64 v[42:43], v42, v[34:35]
	v_lshrrev_b32_e32 v38, 3, v37
	v_sub_u32_e32 v40, 29, v40
	v_and_b32_e32 v42, 7, v42
	v_cmp_gt_u32_e32 vcc, 8, v37
	v_cndmask_b32_e32 v37, v38, v40, vcc
	v_cndmask_b32_e32 v36, v36, v42, vcc
	v_lshlrev_b32_e32 v34, 24, v34
	v_lshlrev_b32_e32 v36, 20, v36
	v_and_b32_e32 v34, 0x80000000, v34
	v_lshl_add_u32 v37, v37, 23, v33
	v_or3_b32 v34, v34, v37, v36
	v_lshrrev_b32_e32 v36, 16, v34
.LBB952_127:                            ;   in Loop: Header=BB952_15 Depth=1
	s_or_b64 exec, exec, s[10:11]
.LBB952_128:                            ;   in Loop: Header=BB952_15 Depth=1
	s_or_b64 exec, exec, s[6:7]
.LBB952_129:                            ;   in Loop: Header=BB952_15 Depth=1
	s_or_b64 exec, exec, s[4:5]
	v_cmp_lt_u32_e32 vcc, s15, v32
	v_mov_b32_e32 v37, 0
	v_mov_b32_e32 v38, 0
	s_and_saveexec_b64 s[4:5], vcc
	s_cbranch_execz .LBB952_135
; %bb.130:                              ;   in Loop: Header=BB952_15 Depth=1
	v_lshrrev_b32_e32 v34, 24, v32
	v_cmp_ne_u32_e32 vcc, s13, v34
	v_mov_b32_e32 v38, 0xffff8000
	s_and_saveexec_b64 s[6:7], vcc
	s_cbranch_execz .LBB952_134
; %bb.131:                              ;   in Loop: Header=BB952_15 Depth=1
	v_bfe_u32 v32, v32, 24, 7
	v_cmp_ne_u32_e32 vcc, s14, v32
	v_mov_b32_e32 v38, 0x7f80
	s_and_saveexec_b64 s[10:11], vcc
	s_cbranch_execz .LBB952_133
; %bb.132:                              ;   in Loop: Header=BB952_15 Depth=1
	v_and_b32_e32 v38, 7, v34
	v_ffbh_u32_e32 v42, v38
	v_min_u32_e32 v44, 32, v42
	v_subrev_u32_e32 v42, 28, v44
	v_lshlrev_b64 v[42:43], v42, v[34:35]
	v_lshrrev_b32_e32 v40, 3, v32
	v_sub_u32_e32 v43, 29, v44
	v_and_b32_e32 v42, 7, v42
	v_cmp_gt_u32_e32 vcc, 8, v32
	v_cndmask_b32_e32 v32, v40, v43, vcc
	v_cndmask_b32_e32 v38, v38, v42, vcc
	v_lshlrev_b32_e32 v34, 24, v34
	v_lshlrev_b32_e32 v38, 20, v38
	v_and_b32_e32 v34, 0x80000000, v34
	v_lshl_add_u32 v32, v32, 23, v33
	v_or3_b32 v32, v34, v32, v38
	v_lshrrev_b32_e32 v38, 16, v32
.LBB952_133:                            ;   in Loop: Header=BB952_15 Depth=1
	s_or_b64 exec, exec, s[10:11]
.LBB952_134:                            ;   in Loop: Header=BB952_15 Depth=1
	s_or_b64 exec, exec, s[6:7]
.LBB952_135:                            ;   in Loop: Header=BB952_15 Depth=1
	s_or_b64 exec, exec, s[4:5]
	s_waitcnt vmcnt(2)
	v_cmp_ne_u16_sdwa s[6:7], v30, v31 src0_sel:BYTE_0 src1_sel:DWORD
	s_and_saveexec_b64 s[4:5], s[6:7]
	s_cbranch_execz .LBB952_141
; %bb.136:                              ;   in Loop: Header=BB952_15 Depth=1
	v_cmp_ne_u16_sdwa s[10:11], v30, s13 src0_sel:BYTE_0 src1_sel:DWORD
	v_mov_b32_e32 v37, 0xffff8000
	s_and_saveexec_b64 s[6:7], s[10:11]
	s_cbranch_execz .LBB952_140
; %bb.137:                              ;   in Loop: Header=BB952_15 Depth=1
	v_and_b32_e32 v32, 0x7f, v30
	v_cmp_ne_u32_e32 vcc, s14, v32
	v_mov_b32_e32 v37, 0x7f80
	s_and_saveexec_b64 s[10:11], vcc
	s_cbranch_execz .LBB952_139
; %bb.138:                              ;   in Loop: Header=BB952_15 Depth=1
	v_and_b32_e32 v34, 7, v30
	v_ffbh_u32_e32 v40, v34
	v_min_u32_e32 v40, 32, v40
	v_subrev_u32_e32 v42, 28, v40
	v_lshlrev_b64 v[42:43], v42, v[30:31]
	v_lshrrev_b32_e32 v37, 3, v32
	v_sub_u32_e32 v40, 29, v40
	v_and_b32_e32 v42, 7, v42
	v_cmp_gt_u32_e32 vcc, 8, v32
	v_cndmask_b32_e32 v32, v37, v40, vcc
	v_cndmask_b32_e32 v34, v34, v42, vcc
	v_lshlrev_b32_e32 v37, 24, v30
	v_lshlrev_b32_e32 v34, 20, v34
	v_and_b32_e32 v37, 0x80000000, v37
	v_lshl_add_u32 v32, v32, 23, v33
	v_or3_b32 v32, v37, v32, v34
	v_lshrrev_b32_e32 v37, 16, v32
.LBB952_139:                            ;   in Loop: Header=BB952_15 Depth=1
	s_or_b64 exec, exec, s[10:11]
.LBB952_140:                            ;   in Loop: Header=BB952_15 Depth=1
	s_or_b64 exec, exec, s[6:7]
.LBB952_141:                            ;   in Loop: Header=BB952_15 Depth=1
	s_or_b64 exec, exec, s[4:5]
	v_lshrrev_b16_e32 v32, 8, v30
	v_cmp_ne_u16_e32 vcc, 0, v32
	v_mov_b32_e32 v42, 0
	v_mov_b32_e32 v40, 0
	s_and_saveexec_b64 s[4:5], vcc
	s_cbranch_execz .LBB952_147
; %bb.142:                              ;   in Loop: Header=BB952_15 Depth=1
	v_cmp_ne_u16_e32 vcc, s13, v32
	v_mov_b32_e32 v40, 0xffff8000
	s_and_saveexec_b64 s[6:7], vcc
	s_cbranch_execz .LBB952_146
; %bb.143:                              ;   in Loop: Header=BB952_15 Depth=1
	v_and_b32_e32 v34, 0x7f, v32
	v_cmp_ne_u32_e32 vcc, s14, v34
	v_mov_b32_e32 v40, 0x7f80
	s_and_saveexec_b64 s[10:11], vcc
	s_cbranch_execz .LBB952_145
; %bb.144:                              ;   in Loop: Header=BB952_15 Depth=1
	v_and_b32_e32 v40, 7, v32
	v_ffbh_u32_e32 v44, v40
	v_min_u32_e32 v46, 32, v44
	v_subrev_u32_e32 v44, 28, v46
	v_lshlrev_b64 v[44:45], v44, v[32:33]
	v_lshrrev_b32_e32 v43, 3, v34
	v_sub_u32_e32 v32, 29, v46
	v_and_b32_e32 v44, 7, v44
	v_cmp_gt_u32_e32 vcc, 8, v34
	v_cndmask_b32_e32 v32, v43, v32, vcc
	v_cndmask_b32_e32 v34, v40, v44, vcc
	v_lshlrev_b32_e32 v40, 16, v30
	v_lshlrev_b32_e32 v34, 20, v34
	v_and_b32_e32 v40, 0x80000000, v40
	v_lshl_add_u32 v32, v32, 23, v33
	v_or3_b32 v32, v40, v32, v34
	v_lshrrev_b32_e32 v40, 16, v32
.LBB952_145:                            ;   in Loop: Header=BB952_15 Depth=1
	s_or_b64 exec, exec, s[10:11]
.LBB952_146:                            ;   in Loop: Header=BB952_15 Depth=1
	s_or_b64 exec, exec, s[6:7]
.LBB952_147:                            ;   in Loop: Header=BB952_15 Depth=1
	s_or_b64 exec, exec, s[4:5]
	v_lshrrev_b32_e32 v32, 16, v30
	v_cmp_ne_u16_sdwa s[6:7], v32, v31 src0_sel:BYTE_0 src1_sel:DWORD
	s_and_saveexec_b64 s[4:5], s[6:7]
	s_cbranch_execz .LBB952_153
; %bb.148:                              ;   in Loop: Header=BB952_15 Depth=1
	v_cmp_ne_u16_sdwa s[10:11], v32, s13 src0_sel:BYTE_0 src1_sel:DWORD
	v_mov_b32_e32 v42, 0xffff8000
	s_and_saveexec_b64 s[6:7], s[10:11]
	s_cbranch_execz .LBB952_152
; %bb.149:                              ;   in Loop: Header=BB952_15 Depth=1
	v_bfe_u32 v34, v30, 16, 7
	v_cmp_ne_u32_e32 vcc, s14, v34
	v_mov_b32_e32 v42, 0x7f80
	s_and_saveexec_b64 s[10:11], vcc
	s_cbranch_execz .LBB952_151
; %bb.150:                              ;   in Loop: Header=BB952_15 Depth=1
	v_and_b32_e32 v44, 7, v32
	v_ffbh_u32_e32 v42, v44
	v_min_u32_e32 v46, 32, v42
	v_subrev_u32_e32 v42, 28, v46
	v_lshlrev_b64 v[42:43], v42, v[32:33]
	v_lshrrev_b32_e32 v45, 3, v34
	v_sub_u32_e32 v43, 29, v46
	v_and_b32_e32 v42, 7, v42
	v_cmp_gt_u32_e32 vcc, 8, v34
	v_cndmask_b32_e32 v34, v45, v43, vcc
	v_cndmask_b32_e32 v42, v44, v42, vcc
	v_lshlrev_b32_e32 v32, 24, v32
	v_lshlrev_b32_e32 v42, 20, v42
	v_and_b32_e32 v32, 0x80000000, v32
	v_lshl_add_u32 v34, v34, 23, v33
	v_or3_b32 v32, v32, v34, v42
	v_lshrrev_b32_e32 v42, 16, v32
.LBB952_151:                            ;   in Loop: Header=BB952_15 Depth=1
	s_or_b64 exec, exec, s[10:11]
.LBB952_152:                            ;   in Loop: Header=BB952_15 Depth=1
	s_or_b64 exec, exec, s[6:7]
.LBB952_153:                            ;   in Loop: Header=BB952_15 Depth=1
	s_or_b64 exec, exec, s[4:5]
	v_cmp_lt_u32_e32 vcc, s15, v30
	v_mov_b32_e32 v34, 0
	v_mov_b32_e32 v43, 0
	s_and_saveexec_b64 s[4:5], vcc
	s_cbranch_execz .LBB952_159
; %bb.154:                              ;   in Loop: Header=BB952_15 Depth=1
	v_lshrrev_b32_e32 v32, 24, v30
	v_cmp_ne_u32_e32 vcc, s13, v32
	v_mov_b32_e32 v43, 0xffff8000
	s_and_saveexec_b64 s[6:7], vcc
	s_cbranch_execz .LBB952_158
; %bb.155:                              ;   in Loop: Header=BB952_15 Depth=1
	v_bfe_u32 v30, v30, 24, 7
	v_cmp_ne_u32_e32 vcc, s14, v30
	v_mov_b32_e32 v43, 0x7f80
	s_and_saveexec_b64 s[10:11], vcc
	s_cbranch_execz .LBB952_157
; %bb.156:                              ;   in Loop: Header=BB952_15 Depth=1
	v_and_b32_e32 v43, 7, v32
	v_ffbh_u32_e32 v44, v43
	v_min_u32_e32 v47, 32, v44
	v_subrev_u32_e32 v44, 28, v47
	v_lshlrev_b64 v[44:45], v44, v[32:33]
	v_lshrrev_b32_e32 v46, 3, v30
	v_sub_u32_e32 v45, 29, v47
	v_and_b32_e32 v44, 7, v44
	v_cmp_gt_u32_e32 vcc, 8, v30
	v_cndmask_b32_e32 v30, v46, v45, vcc
	v_cndmask_b32_e32 v43, v43, v44, vcc
	v_lshlrev_b32_e32 v32, 24, v32
	v_lshlrev_b32_e32 v43, 20, v43
	v_and_b32_e32 v32, 0x80000000, v32
	v_lshl_add_u32 v30, v30, 23, v33
	v_or3_b32 v30, v32, v30, v43
	v_lshrrev_b32_e32 v43, 16, v30
.LBB952_157:                            ;   in Loop: Header=BB952_15 Depth=1
	s_or_b64 exec, exec, s[10:11]
.LBB952_158:                            ;   in Loop: Header=BB952_15 Depth=1
	s_or_b64 exec, exec, s[6:7]
.LBB952_159:                            ;   in Loop: Header=BB952_15 Depth=1
	s_or_b64 exec, exec, s[4:5]
	v_perm_b32 v45, v38, v36, s16
	v_perm_b32 v44, v35, v23, s16
	;; [unrolled: 1-line block ×4, first 2 shown]
	s_waitcnt vmcnt(1)
	v_cmp_ne_u16_sdwa s[6:7], v28, v31 src0_sel:BYTE_0 src1_sel:DWORD
	v_mfma_f32_16x16x16bf16_1k v[18:21], v[44:45], v[10:11], v[18:21]
	v_mfma_f32_16x16x16bf16_1k v[18:21], v[42:43], v[12:13], v[18:21]
	s_and_saveexec_b64 s[4:5], s[6:7]
	s_cbranch_execz .LBB952_165
; %bb.160:                              ;   in Loop: Header=BB952_15 Depth=1
	v_cmp_ne_u16_sdwa s[10:11], v28, s13 src0_sel:BYTE_0 src1_sel:DWORD
	v_mov_b32_e32 v34, 0xffff8000
	s_and_saveexec_b64 s[6:7], s[10:11]
	s_cbranch_execz .LBB952_164
; %bb.161:                              ;   in Loop: Header=BB952_15 Depth=1
	v_and_b32_e32 v23, 0x7f, v28
	v_cmp_ne_u32_e32 vcc, s14, v23
	v_mov_b32_e32 v34, 0x7f80
	s_and_saveexec_b64 s[10:11], vcc
	s_cbranch_execz .LBB952_163
; %bb.162:                              ;   in Loop: Header=BB952_15 Depth=1
	v_and_b32_e32 v30, 7, v28
	v_ffbh_u32_e32 v34, v30
	v_min_u32_e32 v36, 32, v34
	v_subrev_u32_e32 v34, 28, v36
	v_lshlrev_b64 v[34:35], v34, v[28:29]
	v_lshrrev_b32_e32 v32, 3, v23
	v_sub_u32_e32 v35, 29, v36
	v_and_b32_e32 v34, 7, v34
	v_cmp_gt_u32_e32 vcc, 8, v23
	v_cndmask_b32_e32 v23, v32, v35, vcc
	v_cndmask_b32_e32 v30, v30, v34, vcc
	v_lshlrev_b32_e32 v32, 24, v28
	v_lshlrev_b32_e32 v30, 20, v30
	v_and_b32_e32 v32, 0x80000000, v32
	v_lshl_add_u32 v23, v23, 23, v33
	v_or3_b32 v23, v32, v23, v30
	v_lshrrev_b32_e32 v34, 16, v23
.LBB952_163:                            ;   in Loop: Header=BB952_15 Depth=1
	s_or_b64 exec, exec, s[10:11]
.LBB952_164:                            ;   in Loop: Header=BB952_15 Depth=1
	s_or_b64 exec, exec, s[6:7]
.LBB952_165:                            ;   in Loop: Header=BB952_15 Depth=1
	s_or_b64 exec, exec, s[4:5]
	v_lshrrev_b16_e32 v30, 8, v28
	v_cmp_ne_u16_e32 vcc, 0, v30
	v_mov_b32_e32 v32, 0
	v_mov_b32_e32 v23, 0
	s_and_saveexec_b64 s[4:5], vcc
	s_cbranch_execz .LBB952_171
; %bb.166:                              ;   in Loop: Header=BB952_15 Depth=1
	v_cmp_ne_u16_e32 vcc, s13, v30
	v_mov_b32_e32 v23, 0xffff8000
	s_and_saveexec_b64 s[6:7], vcc
	s_cbranch_execz .LBB952_170
; %bb.167:                              ;   in Loop: Header=BB952_15 Depth=1
	v_and_b32_e32 v35, 0x7f, v30
	v_cmp_ne_u32_e32 vcc, s14, v35
	v_mov_b32_e32 v23, 0x7f80
	s_and_saveexec_b64 s[10:11], vcc
	s_cbranch_execz .LBB952_169
; %bb.168:                              ;   in Loop: Header=BB952_15 Depth=1
	v_and_b32_e32 v23, 7, v30
	v_ffbh_u32_e32 v36, v23
	v_min_u32_e32 v40, 32, v36
	v_subrev_u32_e32 v36, 28, v40
	v_lshlrev_b64 v[36:37], v36, v[30:31]
	v_lshrrev_b32_e32 v38, 3, v35
	v_sub_u32_e32 v30, 29, v40
	v_and_b32_e32 v36, 7, v36
	v_cmp_gt_u32_e32 vcc, 8, v35
	v_cndmask_b32_e32 v30, v38, v30, vcc
	v_cndmask_b32_e32 v23, v23, v36, vcc
	v_lshlrev_b32_e32 v35, 16, v28
	v_lshlrev_b32_e32 v23, 20, v23
	v_and_b32_e32 v35, 0x80000000, v35
	v_lshl_add_u32 v30, v30, 23, v33
	v_or3_b32 v23, v35, v30, v23
	v_lshrrev_b32_e32 v23, 16, v23
.LBB952_169:                            ;   in Loop: Header=BB952_15 Depth=1
	s_or_b64 exec, exec, s[10:11]
.LBB952_170:                            ;   in Loop: Header=BB952_15 Depth=1
	s_or_b64 exec, exec, s[6:7]
.LBB952_171:                            ;   in Loop: Header=BB952_15 Depth=1
	s_or_b64 exec, exec, s[4:5]
	v_lshrrev_b32_e32 v30, 16, v28
	v_cmp_ne_u16_sdwa s[6:7], v30, v31 src0_sel:BYTE_0 src1_sel:DWORD
	s_and_saveexec_b64 s[4:5], s[6:7]
	s_cbranch_execz .LBB952_177
; %bb.172:                              ;   in Loop: Header=BB952_15 Depth=1
	v_cmp_ne_u16_sdwa s[10:11], v30, s13 src0_sel:BYTE_0 src1_sel:DWORD
	v_mov_b32_e32 v32, 0xffff8000
	s_and_saveexec_b64 s[6:7], s[10:11]
	s_cbranch_execz .LBB952_176
; %bb.173:                              ;   in Loop: Header=BB952_15 Depth=1
	v_bfe_u32 v35, v28, 16, 7
	v_cmp_ne_u32_e32 vcc, s14, v35
	v_mov_b32_e32 v32, 0x7f80
	s_and_saveexec_b64 s[10:11], vcc
	s_cbranch_execz .LBB952_175
; %bb.174:                              ;   in Loop: Header=BB952_15 Depth=1
	v_and_b32_e32 v32, 7, v30
	v_ffbh_u32_e32 v36, v32
	v_min_u32_e32 v40, 32, v36
	v_subrev_u32_e32 v36, 28, v40
	v_lshlrev_b64 v[36:37], v36, v[30:31]
	v_lshrrev_b32_e32 v38, 3, v35
	v_sub_u32_e32 v37, 29, v40
	v_and_b32_e32 v36, 7, v36
	v_cmp_gt_u32_e32 vcc, 8, v35
	v_cndmask_b32_e32 v35, v38, v37, vcc
	v_cndmask_b32_e32 v32, v32, v36, vcc
	v_lshlrev_b32_e32 v30, 24, v30
	v_lshlrev_b32_e32 v32, 20, v32
	v_and_b32_e32 v30, 0x80000000, v30
	v_lshl_add_u32 v35, v35, 23, v33
	v_or3_b32 v30, v30, v35, v32
	v_lshrrev_b32_e32 v32, 16, v30
.LBB952_175:                            ;   in Loop: Header=BB952_15 Depth=1
	s_or_b64 exec, exec, s[10:11]
.LBB952_176:                            ;   in Loop: Header=BB952_15 Depth=1
	s_or_b64 exec, exec, s[6:7]
.LBB952_177:                            ;   in Loop: Header=BB952_15 Depth=1
	s_or_b64 exec, exec, s[4:5]
	v_cmp_lt_u32_e32 vcc, s15, v28
	v_mov_b32_e32 v35, 0
	v_mov_b32_e32 v36, 0
	s_and_saveexec_b64 s[4:5], vcc
	s_cbranch_execz .LBB952_183
; %bb.178:                              ;   in Loop: Header=BB952_15 Depth=1
	v_lshrrev_b32_e32 v30, 24, v28
	v_cmp_ne_u32_e32 vcc, s13, v30
	v_mov_b32_e32 v36, 0xffff8000
	s_and_saveexec_b64 s[6:7], vcc
	s_cbranch_execz .LBB952_182
; %bb.179:                              ;   in Loop: Header=BB952_15 Depth=1
	v_bfe_u32 v28, v28, 24, 7
	v_cmp_ne_u32_e32 vcc, s14, v28
	v_mov_b32_e32 v36, 0x7f80
	s_and_saveexec_b64 s[10:11], vcc
	s_cbranch_execz .LBB952_181
; %bb.180:                              ;   in Loop: Header=BB952_15 Depth=1
	v_and_b32_e32 v38, 7, v30
	v_ffbh_u32_e32 v36, v38
	v_min_u32_e32 v42, 32, v36
	v_subrev_u32_e32 v36, 28, v42
	v_lshlrev_b64 v[36:37], v36, v[30:31]
	v_lshrrev_b32_e32 v40, 3, v28
	v_sub_u32_e32 v37, 29, v42
	v_and_b32_e32 v36, 7, v36
	v_cmp_gt_u32_e32 vcc, 8, v28
	v_cndmask_b32_e32 v28, v40, v37, vcc
	v_cndmask_b32_e32 v36, v38, v36, vcc
	v_lshlrev_b32_e32 v30, 24, v30
	v_lshlrev_b32_e32 v36, 20, v36
	v_and_b32_e32 v30, 0x80000000, v30
	v_lshl_add_u32 v28, v28, 23, v33
	v_or3_b32 v28, v30, v28, v36
	v_lshrrev_b32_e32 v36, 16, v28
.LBB952_181:                            ;   in Loop: Header=BB952_15 Depth=1
	s_or_b64 exec, exec, s[10:11]
.LBB952_182:                            ;   in Loop: Header=BB952_15 Depth=1
	s_or_b64 exec, exec, s[6:7]
.LBB952_183:                            ;   in Loop: Header=BB952_15 Depth=1
	s_or_b64 exec, exec, s[4:5]
	s_waitcnt vmcnt(0)
	v_cmp_ne_u16_sdwa s[6:7], v26, v31 src0_sel:BYTE_0 src1_sel:DWORD
	s_and_saveexec_b64 s[4:5], s[6:7]
	s_cbranch_execz .LBB952_189
; %bb.184:                              ;   in Loop: Header=BB952_15 Depth=1
	v_cmp_ne_u16_sdwa s[10:11], v26, s13 src0_sel:BYTE_0 src1_sel:DWORD
	v_mov_b32_e32 v35, 0xffff8000
	s_and_saveexec_b64 s[6:7], s[10:11]
	s_cbranch_execz .LBB952_188
; %bb.185:                              ;   in Loop: Header=BB952_15 Depth=1
	v_and_b32_e32 v28, 0x7f, v26
	v_cmp_ne_u32_e32 vcc, s14, v28
	v_mov_b32_e32 v35, 0x7f80
	s_and_saveexec_b64 s[10:11], vcc
	s_cbranch_execz .LBB952_187
; %bb.186:                              ;   in Loop: Header=BB952_15 Depth=1
	v_and_b32_e32 v30, 7, v26
	v_ffbh_u32_e32 v37, v30
	v_min_u32_e32 v37, 32, v37
	v_subrev_u32_e32 v38, 28, v37
	v_lshlrev_b64 v[42:43], v38, v[26:27]
	v_lshrrev_b32_e32 v35, 3, v28
	v_sub_u32_e32 v37, 29, v37
	v_and_b32_e32 v38, 7, v42
	v_cmp_gt_u32_e32 vcc, 8, v28
	v_cndmask_b32_e32 v28, v35, v37, vcc
	v_cndmask_b32_e32 v30, v30, v38, vcc
	v_lshlrev_b32_e32 v35, 24, v26
	v_lshlrev_b32_e32 v30, 20, v30
	v_and_b32_e32 v35, 0x80000000, v35
	v_lshl_add_u32 v28, v28, 23, v33
	v_or3_b32 v28, v35, v28, v30
	v_lshrrev_b32_e32 v35, 16, v28
.LBB952_187:                            ;   in Loop: Header=BB952_15 Depth=1
	s_or_b64 exec, exec, s[10:11]
.LBB952_188:                            ;   in Loop: Header=BB952_15 Depth=1
	s_or_b64 exec, exec, s[6:7]
.LBB952_189:                            ;   in Loop: Header=BB952_15 Depth=1
	s_or_b64 exec, exec, s[4:5]
	v_lshrrev_b16_e32 v28, 8, v26
	v_cmp_ne_u16_e32 vcc, 0, v28
	v_mov_b32_e32 v37, 0
	v_mov_b32_e32 v30, 0
	s_and_saveexec_b64 s[4:5], vcc
	s_cbranch_execz .LBB952_195
; %bb.190:                              ;   in Loop: Header=BB952_15 Depth=1
	v_cmp_ne_u16_e32 vcc, s13, v28
	v_mov_b32_e32 v30, 0xffff8000
	s_and_saveexec_b64 s[6:7], vcc
	s_cbranch_execz .LBB952_194
; %bb.191:                              ;   in Loop: Header=BB952_15 Depth=1
	v_and_b32_e32 v38, 0x7f, v28
	v_cmp_ne_u32_e32 vcc, s14, v38
	v_mov_b32_e32 v30, 0x7f80
	s_and_saveexec_b64 s[10:11], vcc
	s_cbranch_execz .LBB952_193
; %bb.192:                              ;   in Loop: Header=BB952_15 Depth=1
	v_and_b32_e32 v30, 7, v28
	v_ffbh_u32_e32 v42, v30
	v_min_u32_e32 v44, 32, v42
	v_subrev_u32_e32 v42, 28, v44
	v_lshlrev_b64 v[42:43], v42, v[28:29]
	v_lshrrev_b32_e32 v40, 3, v38
	v_sub_u32_e32 v28, 29, v44
	v_and_b32_e32 v42, 7, v42
	v_cmp_gt_u32_e32 vcc, 8, v38
	v_cndmask_b32_e32 v28, v40, v28, vcc
	v_cndmask_b32_e32 v30, v30, v42, vcc
	v_lshlrev_b32_e32 v38, 16, v26
	v_lshlrev_b32_e32 v30, 20, v30
	v_and_b32_e32 v38, 0x80000000, v38
	v_lshl_add_u32 v28, v28, 23, v33
	v_or3_b32 v28, v38, v28, v30
	v_lshrrev_b32_e32 v30, 16, v28
.LBB952_193:                            ;   in Loop: Header=BB952_15 Depth=1
	s_or_b64 exec, exec, s[10:11]
.LBB952_194:                            ;   in Loop: Header=BB952_15 Depth=1
	s_or_b64 exec, exec, s[6:7]
.LBB952_195:                            ;   in Loop: Header=BB952_15 Depth=1
	s_or_b64 exec, exec, s[4:5]
	v_lshrrev_b32_e32 v28, 16, v26
	v_cmp_ne_u16_sdwa s[6:7], v28, v31 src0_sel:BYTE_0 src1_sel:DWORD
	s_and_saveexec_b64 s[4:5], s[6:7]
	s_cbranch_execz .LBB952_201
; %bb.196:                              ;   in Loop: Header=BB952_15 Depth=1
	v_cmp_ne_u16_sdwa s[10:11], v28, s13 src0_sel:BYTE_0 src1_sel:DWORD
	v_mov_b32_e32 v37, 0xffff8000
	s_and_saveexec_b64 s[6:7], s[10:11]
	s_cbranch_execz .LBB952_200
; %bb.197:                              ;   in Loop: Header=BB952_15 Depth=1
	v_bfe_u32 v38, v26, 16, 7
	v_cmp_ne_u32_e32 vcc, s14, v38
	v_mov_b32_e32 v37, 0x7f80
	s_and_saveexec_b64 s[10:11], vcc
	s_cbranch_execz .LBB952_199
; %bb.198:                              ;   in Loop: Header=BB952_15 Depth=1
	v_and_b32_e32 v37, 7, v28
	v_ffbh_u32_e32 v42, v37
	v_min_u32_e32 v44, 32, v42
	v_subrev_u32_e32 v42, 28, v44
	v_lshlrev_b64 v[42:43], v42, v[28:29]
	v_lshrrev_b32_e32 v40, 3, v38
	v_sub_u32_e32 v43, 29, v44
	v_and_b32_e32 v42, 7, v42
	v_cmp_gt_u32_e32 vcc, 8, v38
	v_cndmask_b32_e32 v38, v40, v43, vcc
	v_cndmask_b32_e32 v37, v37, v42, vcc
	v_lshlrev_b32_e32 v28, 24, v28
	v_lshlrev_b32_e32 v37, 20, v37
	v_and_b32_e32 v28, 0x80000000, v28
	v_lshl_add_u32 v38, v38, 23, v33
	v_or3_b32 v28, v28, v38, v37
	v_lshrrev_b32_e32 v37, 16, v28
.LBB952_199:                            ;   in Loop: Header=BB952_15 Depth=1
	s_or_b64 exec, exec, s[10:11]
.LBB952_200:                            ;   in Loop: Header=BB952_15 Depth=1
	s_or_b64 exec, exec, s[6:7]
.LBB952_201:                            ;   in Loop: Header=BB952_15 Depth=1
	s_or_b64 exec, exec, s[4:5]
	v_cmp_lt_u32_e32 vcc, s15, v26
	v_mov_b32_e32 v38, 0
	s_and_saveexec_b64 s[4:5], vcc
	s_cbranch_execz .LBB952_14
; %bb.202:                              ;   in Loop: Header=BB952_15 Depth=1
	v_lshrrev_b32_e32 v28, 24, v26
	v_cmp_ne_u32_e32 vcc, s13, v28
	v_mov_b32_e32 v38, 0xffff8000
	s_and_saveexec_b64 s[6:7], vcc
	s_cbranch_execz .LBB952_13
; %bb.203:                              ;   in Loop: Header=BB952_15 Depth=1
	v_bfe_u32 v26, v26, 24, 7
	v_cmp_ne_u32_e32 vcc, s14, v26
	v_mov_b32_e32 v38, 0x7f80
	s_and_saveexec_b64 s[10:11], vcc
	s_cbranch_execz .LBB952_12
; %bb.204:                              ;   in Loop: Header=BB952_15 Depth=1
	v_and_b32_e32 v38, 7, v28
	v_ffbh_u32_e32 v42, v38
	v_min_u32_e32 v44, 32, v42
	v_subrev_u32_e32 v42, 28, v44
	v_lshlrev_b64 v[42:43], v42, v[28:29]
	v_lshrrev_b32_e32 v40, 3, v26
	v_sub_u32_e32 v43, 29, v44
	v_and_b32_e32 v42, 7, v42
	v_cmp_gt_u32_e32 vcc, 8, v26
	v_cndmask_b32_e32 v26, v40, v43, vcc
	v_cndmask_b32_e32 v38, v38, v42, vcc
	v_lshlrev_b32_e32 v28, 24, v28
	v_lshlrev_b32_e32 v38, 20, v38
	v_and_b32_e32 v28, 0x80000000, v28
	v_lshl_add_u32 v26, v26, 23, v33
	v_or3_b32 v26, v28, v26, v38
	v_lshrrev_b32_e32 v38, 16, v26
	s_branch .LBB952_12
.LBB952_205:
	buffer_load_dword v13, off, s[0:3], 0 offset:256
	buffer_load_dword v14, off, s[0:3], 0 offset:260
	;; [unrolled: 1-line block ×16, first 2 shown]
	v_and_b32_e32 v12, 0xc0, v0
	v_add_u32_e32 v12, s20, v12
	v_lshl_or_b32 v12, v1, 2, v12
	v_or_b32_e32 v23, 1, v12
	v_mov_b32_e32 v19, 0xff7fffff
	v_or_b32_e32 v24, 2, v12
	v_or_b32_e32 v25, 3, v12
	v_cmp_gt_i32_e64 s[26:27], s33, v12
	v_cmp_gt_i32_e64 s[28:29], s33, v23
	s_mov_b32 s52, 0xff7fffff
	v_or_b32_e32 v26, 16, v12
	v_or_b32_e32 v27, 17, v12
	;; [unrolled: 1-line block ×12, first 2 shown]
	v_cmp_gt_i32_e64 s[30:31], s33, v24
	v_cmp_gt_i32_e64 s[34:35], s33, v25
	v_mbcnt_lo_u32_b32 v20, -1, 0
	v_cmp_gt_i32_e64 s[36:37], s33, v26
	v_cmp_gt_i32_e64 s[38:39], s33, v27
	v_mbcnt_hi_u32_b32 v20, -1, v20
	v_cmp_gt_i32_e64 s[20:21], s33, v28
	v_cmp_gt_i32_e64 s[22:23], s33, v29
	v_and_b32_e32 v21, 64, v20
	v_cmp_gt_i32_e64 s[16:17], s33, v30
	v_cmp_gt_i32_e64 s[18:19], s33, v31
	v_xor_b32_e32 v22, 32, v20
	v_add_u32_e32 v21, 64, v21
	v_cmp_gt_i32_e64 s[12:13], s33, v32
	v_cmp_gt_i32_e64 s[14:15], s33, v33
	v_cmp_lt_i32_e32 vcc, v22, v21
	v_cmp_gt_i32_e64 s[6:7], s33, v34
	v_cmp_gt_i32_e64 s[10:11], s33, v35
	v_cndmask_b32_e32 v22, v20, v22, vcc
	v_cmp_gt_i32_e32 vcc, s33, v36
	v_cmp_gt_i32_e64 s[4:5], s33, v37
	v_lshlrev_b32_e32 v22, 2, v22
	s_waitcnt vmcnt(15)
	v_cndmask_b32_e64 v12, v19, v13, s[26:27]
	s_waitcnt vmcnt(14)
	v_cndmask_b32_e64 v23, v19, v14, s[28:29]
	;; [unrolled: 2-line block ×4, first 2 shown]
	v_max3_f32 v12, v12, s52, v23
	s_waitcnt vmcnt(11)
	v_cndmask_b32_e64 v26, v19, v17, s[36:37]
	s_waitcnt vmcnt(10)
	v_cndmask_b32_e64 v27, v19, v18, s[38:39]
	v_max3_f32 v12, v12, v24, v25
	s_waitcnt vmcnt(9)
	v_cndmask_b32_e64 v28, v19, v11, s[20:21]
	s_waitcnt vmcnt(8)
	v_cndmask_b32_e64 v29, v19, v10, s[22:23]
	;; [unrolled: 5-line block ×5, first 2 shown]
	v_max3_f32 v12, v12, v32, v33
	s_waitcnt vmcnt(1)
	v_cndmask_b32_e32 v36, v19, v3, vcc
	s_waitcnt vmcnt(0)
	v_cndmask_b32_e64 v19, v19, v2, s[4:5]
	v_max3_f32 v12, v12, v34, v35
	v_max3_f32 v12, v12, v36, v19
	ds_bpermute_b32 v19, v22, v12
	v_xor_b32_e32 v23, 16, v20
	v_cmp_lt_i32_e64 s[40:41], v23, v21
	v_cndmask_b32_e64 v20, v20, v23, s[40:41]
	v_lshlrev_b32_e32 v20, 2, v20
	s_waitcnt lgkmcnt(0)
	v_max_f32_e32 v19, v19, v19
	v_max_f32_e32 v12, v12, v19
	ds_bpermute_b32 v19, v20, v12
	s_waitcnt lgkmcnt(0)
	v_max_f32_e32 v19, v19, v19
	v_max_f32_e32 v12, v12, v19
	v_sub_f32_e32 v13, v13, v12
	v_sub_f32_e32 v14, v14, v12
	;; [unrolled: 1-line block ×3, first 2 shown]
	v_mul_f32_e32 v13, 0x3fb8aa3b, v13
	v_mul_f32_e32 v14, 0x3fb8aa3b, v14
	;; [unrolled: 1-line block ×3, first 2 shown]
	v_exp_f32_e32 v13, v13
	v_exp_f32_e32 v14, v14
	;; [unrolled: 1-line block ×3, first 2 shown]
	v_sub_f32_e32 v16, v16, v12
	v_cndmask_b32_e64 v13, 0, v13, s[26:27]
	v_mul_f32_e32 v16, 0x3fb8aa3b, v16
	v_cndmask_b32_e64 v14, 0, v14, s[28:29]
	v_cndmask_b32_e64 v15, 0, v15, s[30:31]
	v_add_f32_e32 v19, 0, v13
	buffer_store_dword v13, off, s[0:3], 0 offset:256
	buffer_store_dword v14, off, s[0:3], 0 offset:260
	;; [unrolled: 1-line block ×3, first 2 shown]
	v_sub_f32_e32 v13, v17, v12
	v_exp_f32_e32 v16, v16
	v_add_f32_e32 v19, v19, v14
	v_mul_f32_e32 v13, 0x3fb8aa3b, v13
	v_sub_f32_e32 v14, v18, v12
	v_exp_f32_e32 v13, v13
	v_mul_f32_e32 v14, 0x3fb8aa3b, v14
	v_sub_f32_e32 v11, v11, v12
	v_exp_f32_e32 v14, v14
	;; [unrolled: 3-line block ×3, first 2 shown]
	v_mul_f32_e32 v10, 0x3fb8aa3b, v10
	v_sub_f32_e32 v9, v9, v12
	v_cndmask_b32_e64 v16, 0, v16, s[34:35]
	v_add_f32_e32 v19, v19, v15
	v_exp_f32_e32 v10, v10
	v_mul_f32_e32 v9, 0x3fb8aa3b, v9
	v_sub_f32_e32 v8, v8, v12
	v_add_f32_e32 v19, v19, v16
	v_cndmask_b32_e64 v13, 0, v13, s[36:37]
	v_exp_f32_e32 v9, v9
	v_mul_f32_e32 v8, 0x3fb8aa3b, v8
	v_sub_f32_e32 v7, v7, v12
	v_add_f32_e32 v15, v19, v13
	v_cndmask_b32_e64 v14, 0, v14, s[38:39]
	;; [unrolled: 5-line block ×5, first 2 shown]
	v_exp_f32_e32 v5, v5
	v_mul_f32_e32 v4, 0x3fb8aa3b, v4
	v_sub_f32_e32 v3, v3, v12
	buffer_store_dword v16, off, s[0:3], 0 offset:268
	buffer_store_dword v13, off, s[0:3], 0 offset:272
	;; [unrolled: 1-line block ×5, first 2 shown]
	v_add_f32_e32 v10, v15, v9
	v_cndmask_b32_e64 v8, 0, v8, s[18:19]
	v_exp_f32_e32 v4, v4
	v_mul_f32_e32 v3, 0x3fb8aa3b, v3
	v_sub_f32_e32 v2, v2, v12
	v_add_f32_e32 v10, v10, v8
	v_cndmask_b32_e64 v7, 0, v7, s[12:13]
	v_exp_f32_e32 v3, v3
	v_mul_f32_e32 v2, 0x3fb8aa3b, v2
	v_add_f32_e32 v10, v10, v7
	v_cndmask_b32_e64 v6, 0, v6, s[14:15]
	v_exp_f32_e32 v2, v2
	v_add_f32_e32 v10, v10, v6
	v_cndmask_b32_e64 v5, 0, v5, s[6:7]
	buffer_store_dword v9, off, s[0:3], 0 offset:288
	buffer_store_dword v8, off, s[0:3], 0 offset:292
	;; [unrolled: 1-line block ×4, first 2 shown]
	v_add_f32_e32 v6, v10, v5
	v_cndmask_b32_e64 v4, 0, v4, s[10:11]
	v_add_f32_e32 v6, v6, v4
	v_cndmask_b32_e32 v3, 0, v3, vcc
	v_add_f32_e32 v6, v6, v3
	v_cndmask_b32_e64 v2, 0, v2, s[4:5]
	v_add_f32_e32 v6, v6, v2
	ds_bpermute_b32 v7, v22, v6
	buffer_store_dword v5, off, s[0:3], 0 offset:304
	buffer_store_dword v4, off, s[0:3], 0 offset:308
	;; [unrolled: 1-line block ×4, first 2 shown]
	v_cmp_gt_u32_e32 vcc, 16, v64
	s_waitcnt lgkmcnt(0)
	s_barrier
	v_add_f32_e32 v2, v6, v7
	ds_bpermute_b32 v3, v20, v2
	s_waitcnt lgkmcnt(0)
	s_and_saveexec_b64 s[4:5], vcc
	s_cbranch_execz .LBB952_207
; %bb.206:
	v_add_f32_e32 v2, v2, v3
	v_lshlrev_b32_e32 v3, 2, v63
	ds_write2st64_b32 v3, v12, v2 offset1:1
.LBB952_207:
	s_or_b64 exec, exec, s[4:5]
	v_lshlrev_b32_e32 v2, 2, v55
	s_waitcnt lgkmcnt(0)
	s_barrier
	ds_read2_b32 v[14:15], v2 offset1:16
	ds_read2_b32 v[16:17], v2 offset0:32 offset1:48
	ds_read2_b32 v[6:7], v2 offset0:64 offset1:80
	;; [unrolled: 1-line block ×3, first 2 shown]
	s_waitcnt lgkmcnt(0)
	s_barrier
	buffer_load_dword v22, off, s[0:3], 0 offset:264
	buffer_load_dword v23, off, s[0:3], 0 offset:268
	;; [unrolled: 1-line block ×16, first 2 shown]
	v_max3_f32 v20, v14, s52, v15
	v_max3_f32 v20, v20, v16, v17
	v_sub_f32_e32 v14, v14, v20
	v_sub_f32_e32 v15, v15, v20
	v_mul_f32_e32 v14, 0x3fb8aa3b, v14
	v_sub_f32_e32 v16, v16, v20
	v_mul_f32_e32 v15, 0x3fb8aa3b, v15
	v_exp_f32_e32 v14, v14
	v_sub_f32_e32 v17, v17, v20
	v_mul_f32_e32 v16, 0x3fb8aa3b, v16
	v_exp_f32_e32 v15, v15
	v_mul_f32_e32 v17, 0x3fb8aa3b, v17
	v_exp_f32_e32 v16, v16
	v_exp_f32_e32 v17, v17
	v_fma_f32 v6, v14, v6, 0
	v_fmac_f32_e32 v6, v15, v7
	v_fmac_f32_e32 v6, v16, v12
	;; [unrolled: 1-line block ×3, first 2 shown]
	v_cmp_eq_u32_e32 vcc, 1, v62
	v_add_f32_e32 v12, 0x358637bd, v6
	v_cndmask_b32_e32 v14, v14, v15, vcc
	v_cmp_eq_u32_e32 vcc, 2, v62
	v_div_scale_f32 v13, s[4:5], v12, v12, 1.0
	v_cndmask_b32_e32 v7, v14, v16, vcc
	v_rcp_f32_e32 v14, v13
	v_cmp_eq_u32_e32 vcc, 3, v62
	v_cndmask_b32_e32 v7, v7, v17, vcc
	v_div_scale_f32 v15, vcc, 1.0, v12, 1.0
	v_fma_f32 v16, -v13, v14, 1.0
	v_fmac_f32_e32 v14, v16, v14
	v_mul_f32_e32 v16, v15, v14
	v_fma_f32 v17, -v13, v16, v15
	v_fmac_f32_e32 v16, v17, v14
	v_fma_f32 v13, -v13, v16, v15
	v_div_fmas_f32 v13, v13, v14, v16
	v_div_fixup_f32 v12, v13, v12, 1.0
	v_mul_f32_e32 v12, v7, v12
	s_movk_i32 s19, 0x7fff
	s_mov_b32 s20, 0x7060302
	s_mul_i32 s18, s51, 11
	v_cmp_gt_u32_e32 vcc, 11, v0
	s_waitcnt vmcnt(14)
	v_pk_mul_f32 v[14:15], v[12:13], v[22:23] op_sel_hi:[0,1]
	v_bfe_u32 v21, v15, 16, 1
	s_waitcnt vmcnt(12)
	v_pk_mul_f32 v[16:17], v[12:13], v[24:25] op_sel_hi:[0,1]
	v_bfe_u32 v7, v17, 16, 1
	v_bfe_u32 v13, v16, 16, 1
	;; [unrolled: 1-line block ×3, first 2 shown]
	v_add3_u32 v13, v16, v13, s19
	v_add3_u32 v7, v17, v7, s19
	buffer_store_dword v16, off, s[0:3], 0 offset:256
	buffer_store_dword v17, off, s[0:3], 0 offset:260
	buffer_store_dword v14, off, s[0:3], 0 offset:264
	buffer_store_dword v15, off, s[0:3], 0 offset:268
	v_add3_u32 v16, v14, v22, s19
	v_add3_u32 v15, v15, v21, s19
	v_perm_b32 v14, v7, v13, s20
	v_lshlrev_b32_e32 v13, 3, v1
	v_perm_b32 v15, v15, v16, s20
	v_lshlrev_b32_e32 v7, 5, v55
	v_lshlrev_b32_e32 v16, 11, v62
	s_waitcnt vmcnt(12)
	v_pk_mul_f32 v[8:9], v[12:13], v[8:9] op_sel_hi:[0,1]
	v_or3_b32 v43, v16, v7, v13
	v_pk_mul_f32 v[10:11], v[12:13], v[10:11] op_sel_hi:[0,1]
	v_bfe_u32 v13, v9, 16, 1
	v_bfe_u32 v16, v8, 16, 1
	buffer_store_dword v8, off, s[0:3], 0 offset:272
	buffer_store_dword v9, off, s[0:3], 0 offset:276
	;; [unrolled: 1-line block ×4, first 2 shown]
	v_add3_u32 v8, v8, v16, s19
	v_add3_u32 v9, v9, v13, s19
	v_perm_b32 v8, v9, v8, s20
	v_bfe_u32 v9, v11, 16, 1
	v_bfe_u32 v13, v10, 16, 1
	v_add3_u32 v10, v10, v13, s19
	v_add3_u32 v9, v11, v9, s19
	v_perm_b32 v9, v9, v10, s20
	s_waitcnt vmcnt(14)
	v_pk_mul_f32 v[10:11], v[12:13], v[18:19] op_sel_hi:[0,1]
	ds_write2st64_b64 v43, v[14:15], v[8:9] offset1:1
	s_waitcnt vmcnt(12)
	v_pk_mul_f32 v[8:9], v[12:13], v[26:27] op_sel_hi:[0,1]
	v_bfe_u32 v13, v11, 16, 1
	v_bfe_u32 v14, v10, 16, 1
	buffer_store_dword v10, off, s[0:3], 0 offset:288
	buffer_store_dword v11, off, s[0:3], 0 offset:292
	;; [unrolled: 1-line block ×4, first 2 shown]
	v_add3_u32 v10, v10, v14, s19
	v_add3_u32 v11, v11, v13, s19
	v_perm_b32 v10, v11, v10, s20
	v_bfe_u32 v11, v9, 16, 1
	v_bfe_u32 v13, v8, 16, 1
	v_add3_u32 v8, v8, v13, s19
	v_add3_u32 v9, v9, v11, s19
	s_waitcnt vmcnt(14)
	v_pk_mul_f32 v[2:3], v[12:13], v[2:3] op_sel_hi:[0,1]
	v_perm_b32 v11, v9, v8, s20
	v_bfe_u32 v8, v3, 16, 1
	v_bfe_u32 v9, v2, 16, 1
	s_waitcnt vmcnt(12)
	v_pk_mul_f32 v[4:5], v[12:13], v[4:5] op_sel_hi:[0,1]
	buffer_store_dword v2, off, s[0:3], 0 offset:304
	buffer_store_dword v3, off, s[0:3], 0 offset:308
	;; [unrolled: 1-line block ×4, first 2 shown]
	v_add3_u32 v2, v2, v9, s19
	v_add3_u32 v3, v3, v8, s19
	v_perm_b32 v2, v3, v2, s20
	v_bfe_u32 v3, v5, 16, 1
	v_bfe_u32 v8, v4, 16, 1
	v_add3_u32 v4, v4, v8, s19
	v_add3_u32 v3, v5, v3, s19
	v_perm_b32 v3, v3, v4, s20
	ds_write2st64_b64 v43, v[10:11], v[2:3] offset0:2 offset1:3
	s_and_saveexec_b64 s[4:5], vcc
	s_cbranch_execz .LBB952_209
; %bb.208:
	v_add_co_u32_e32 v4, vcc, s25, v55
	v_addc_co_u32_e64 v5, s[6:7], 0, 0, vcc
	v_mov_b32_e32 v2, s18
	v_mad_u64_u32 v[4:5], s[6:7], s8, v2, v[4:5]
	v_mov_b32_e32 v3, 0
	s_mul_i32 s6, s9, s18
	v_mov_b32_e32 v2, s24
	v_add_u32_e32 v5, s6, v5
	v_mad_u64_u32 v[2:3], s[6:7], v4, s50, v[2:3]
	v_mov_b32_e32 v4, v3
	v_mad_u64_u32 v[4:5], s[6:7], v5, s50, v[4:5]
	v_mov_b32_e32 v3, v4
	v_lshlrev_b64 v[2:3], 2, v[2:3]
	v_mov_b32_e32 v5, s47
	v_add_co_u32_e32 v4, vcc, s46, v2
	v_addc_co_u32_e32 v5, vcc, v5, v3, vcc
	global_store_dword v[4:5], v20, off
	v_mov_b32_e32 v4, s45
	v_add_co_u32_e32 v2, vcc, s44, v2
	v_addc_co_u32_e32 v3, vcc, v4, v3, vcc
	global_store_dword v[2:3], v6, off
.LBB952_209:
	s_or_b64 exec, exec, s[4:5]
	v_lshl_or_b32 v30, v1, 9, v7
	s_waitcnt lgkmcnt(0)
	s_barrier
	s_load_dword s4, s[42:43], 0x0
	ds_read_b128 v[2:5], v30
	ds_read_b128 v[6:9], v30 offset:16
	ds_read_b128 v[10:13], v30 offset:2048
	;; [unrolled: 1-line block ×7, first 2 shown]
	v_mov_b32_e32 v35, 0x80
	v_mov_b32_e32 v45, 0x140
	s_mov_b64 s[10:11], -1
	s_waitcnt lgkmcnt(0)
	s_mov_b32 s5, s4
	s_mov_b32 s6, s4
	;; [unrolled: 1-line block ×3, first 2 shown]
	s_movk_i32 s9, 0x80
	s_movk_i32 s21, 0x7f
	s_mov_b32 s22, 0xffffff
	s_mov_b32 s23, 0x5040100
	v_mov_b32_e32 v47, 0
	v_bfrev_b32_e32 v48, 60
	s_branch .LBB952_213
.LBB952_210:                            ;   in Loop: Header=BB952_213 Depth=1
	s_or_b64 exec, exec, s[16:17]
.LBB952_211:                            ;   in Loop: Header=BB952_213 Depth=1
	s_or_b64 exec, exec, s[14:15]
.LBB952_212:                            ;   in Loop: Header=BB952_213 Depth=1
	s_or_b64 exec, exec, s[12:13]
	v_perm_b32 v61, v50, v46, s23
	v_perm_b32 v60, v44, v41, s23
	s_xor_b64 s[12:13], s[10:11], -1
	s_mov_b64 s[10:11], 0
	s_and_b64 vcc, exec, s[12:13]
	v_mfma_f32_16x16x16bf16_1k v[62:65], v[60:61], v[30:31], v[34:37]
	v_mov_b32_e32 v61, v58
	v_mov_b32_e32 v60, v59
	s_nop 4
	v_perm_b32 v37, v52, v51, s23
	v_perm_b32 v36, v42, v49, s23
	v_mov_b32_e32 v35, v57
	s_nop 0
	v_mfma_f32_16x16x16bf16_1k v[50:53], v[36:37], v[32:33], v[62:65]
	s_nop 7
	s_nop 2
	v_pk_mul_f32 v[40:41], v[50:51], s[4:5]
	v_pk_mul_f32 v[36:37], v[52:53], s[6:7]
	v_bfe_u32 v34, v41, 16, 1
	v_bfe_u32 v38, v40, 16, 1
	;; [unrolled: 1-line block ×4, first 2 shown]
	v_add3_u32 v38, v40, v38, s19
	v_add3_u32 v34, v41, v34, s19
	;; [unrolled: 1-line block ×4, first 2 shown]
	v_perm_b32 v34, v34, v38, s20
	v_perm_b32 v36, v37, v36, s20
	buffer_store_dword v34, v45, s[0:3], 0 offen
	buffer_store_dword v36, v45, s[0:3], 0 offen offset:4
	v_mov_b32_e32 v45, 0x148
	v_mov_b32_e32 v41, v39
	s_cbranch_vccnz .LBB952_595
.LBB952_213:                            ; =>This Inner Loop Header: Depth=1
	buffer_load_dword v36, v35, s[0:3], 0 offen
	buffer_load_dword v34, v35, s[0:3], 0 offen offset:4
	buffer_load_dword v40, v35, s[0:3], 0 offen offset:8
	;; [unrolled: 1-line block ×3, first 2 shown]
	v_mov_b32_e32 v35, 0
	s_waitcnt vmcnt(3)
	v_cmp_ne_u16_sdwa s[14:15], v36, v47 src0_sel:BYTE_0 src1_sel:DWORD
	s_and_saveexec_b64 s[12:13], s[14:15]
	s_cbranch_execz .LBB952_219
; %bb.214:                              ;   in Loop: Header=BB952_213 Depth=1
	v_cmp_ne_u16_sdwa s[16:17], v36, s9 src0_sel:BYTE_0 src1_sel:DWORD
	v_mov_b32_e32 v35, 0xffff8000
	s_and_saveexec_b64 s[14:15], s[16:17]
	s_cbranch_execz .LBB952_218
; %bb.215:                              ;   in Loop: Header=BB952_213 Depth=1
	v_and_b32_e32 v37, 0x7f, v36
	v_cmp_ne_u32_e32 vcc, s21, v37
	v_mov_b32_e32 v35, 0x7f80
	s_and_saveexec_b64 s[16:17], vcc
	s_cbranch_execz .LBB952_217
; %bb.216:                              ;   in Loop: Header=BB952_213 Depth=1
	v_and_b32_e32 v35, 7, v36
	v_ffbh_u32_e32 v44, v35
	v_min_u32_e32 v44, 32, v44
	v_subrev_u32_e32 v46, 28, v44
	v_lshlrev_b64 v[50:51], v46, v[36:37]
	v_lshrrev_b32_e32 v42, 3, v37
	v_sub_u32_e32 v44, 29, v44
	v_and_b32_e32 v46, 7, v50
	v_cmp_gt_u32_e32 vcc, 8, v37
	v_cndmask_b32_e32 v37, v42, v44, vcc
	v_cndmask_b32_e32 v35, v35, v46, vcc
	v_lshlrev_b32_e32 v42, 24, v36
	v_lshlrev_b32_e32 v35, 20, v35
	v_and_b32_e32 v42, 0x80000000, v42
	v_lshl_add_u32 v37, v37, 23, v48
	v_or3_b32 v35, v42, v37, v35
	v_lshrrev_b32_e32 v35, 16, v35
.LBB952_217:                            ;   in Loop: Header=BB952_213 Depth=1
	s_or_b64 exec, exec, s[16:17]
.LBB952_218:                            ;   in Loop: Header=BB952_213 Depth=1
	s_or_b64 exec, exec, s[14:15]
.LBB952_219:                            ;   in Loop: Header=BB952_213 Depth=1
	s_or_b64 exec, exec, s[12:13]
	v_lshrrev_b16_e32 v42, 8, v36
	v_cmp_ne_u16_e32 vcc, 0, v42
	v_mov_b32_e32 v46, 0
	v_mov_b32_e32 v37, 0
	s_and_saveexec_b64 s[12:13], vcc
	s_cbranch_execz .LBB952_225
; %bb.220:                              ;   in Loop: Header=BB952_213 Depth=1
	v_cmp_ne_u16_e32 vcc, s9, v42
	v_mov_b32_e32 v37, 0xffff8000
	s_and_saveexec_b64 s[14:15], vcc
	s_cbranch_execz .LBB952_224
; %bb.221:                              ;   in Loop: Header=BB952_213 Depth=1
	v_and_b32_e32 v44, 0x7f, v42
	v_cmp_ne_u32_e32 vcc, s21, v44
	v_mov_b32_e32 v37, 0x7f80
	s_and_saveexec_b64 s[16:17], vcc
	s_cbranch_execz .LBB952_223
; %bb.222:                              ;   in Loop: Header=BB952_213 Depth=1
	v_and_b32_e32 v37, 7, v42
	v_ffbh_u32_e32 v50, v37
	v_min_u32_e32 v52, 32, v50
	v_subrev_u32_e32 v50, 28, v52
	v_lshlrev_b64 v[50:51], v50, v[42:43]
	v_lshrrev_b32_e32 v49, 3, v44
	v_sub_u32_e32 v42, 29, v52
	v_and_b32_e32 v50, 7, v50
	v_cmp_gt_u32_e32 vcc, 8, v44
	v_cndmask_b32_e32 v42, v49, v42, vcc
	v_cndmask_b32_e32 v37, v37, v50, vcc
	v_lshlrev_b32_e32 v44, 16, v36
	v_lshlrev_b32_e32 v37, 20, v37
	v_and_b32_e32 v44, 0x80000000, v44
	v_lshl_add_u32 v42, v42, 23, v48
	v_or3_b32 v37, v44, v42, v37
	v_lshrrev_b32_e32 v37, 16, v37
.LBB952_223:                            ;   in Loop: Header=BB952_213 Depth=1
	s_or_b64 exec, exec, s[16:17]
.LBB952_224:                            ;   in Loop: Header=BB952_213 Depth=1
	s_or_b64 exec, exec, s[14:15]
.LBB952_225:                            ;   in Loop: Header=BB952_213 Depth=1
	s_or_b64 exec, exec, s[12:13]
	v_lshrrev_b32_e32 v42, 16, v36
	v_cmp_ne_u16_sdwa s[14:15], v42, v47 src0_sel:BYTE_0 src1_sel:DWORD
	s_and_saveexec_b64 s[12:13], s[14:15]
	s_cbranch_execz .LBB952_231
; %bb.226:                              ;   in Loop: Header=BB952_213 Depth=1
	v_cmp_ne_u16_sdwa s[16:17], v42, s9 src0_sel:BYTE_0 src1_sel:DWORD
	v_mov_b32_e32 v46, 0xffff8000
	s_and_saveexec_b64 s[14:15], s[16:17]
	s_cbranch_execz .LBB952_230
; %bb.227:                              ;   in Loop: Header=BB952_213 Depth=1
	v_bfe_u32 v44, v36, 16, 7
	v_cmp_ne_u32_e32 vcc, s21, v44
	v_mov_b32_e32 v46, 0x7f80
	s_and_saveexec_b64 s[16:17], vcc
	s_cbranch_execz .LBB952_229
; %bb.228:                              ;   in Loop: Header=BB952_213 Depth=1
	v_and_b32_e32 v46, 7, v42
	v_ffbh_u32_e32 v50, v46
	v_min_u32_e32 v52, 32, v50
	v_subrev_u32_e32 v50, 28, v52
	v_lshlrev_b64 v[50:51], v50, v[42:43]
	v_lshrrev_b32_e32 v49, 3, v44
	v_sub_u32_e32 v51, 29, v52
	v_and_b32_e32 v50, 7, v50
	v_cmp_gt_u32_e32 vcc, 8, v44
	v_cndmask_b32_e32 v44, v49, v51, vcc
	v_cndmask_b32_e32 v46, v46, v50, vcc
	v_lshlrev_b32_e32 v42, 24, v42
	v_lshlrev_b32_e32 v46, 20, v46
	v_and_b32_e32 v42, 0x80000000, v42
	v_lshl_add_u32 v44, v44, 23, v48
	v_or3_b32 v42, v42, v44, v46
	v_lshrrev_b32_e32 v46, 16, v42
.LBB952_229:                            ;   in Loop: Header=BB952_213 Depth=1
	s_or_b64 exec, exec, s[16:17]
.LBB952_230:                            ;   in Loop: Header=BB952_213 Depth=1
	s_or_b64 exec, exec, s[14:15]
.LBB952_231:                            ;   in Loop: Header=BB952_213 Depth=1
	s_or_b64 exec, exec, s[12:13]
	v_cmp_lt_u32_e32 vcc, s22, v36
	v_mov_b32_e32 v49, 0
	v_mov_b32_e32 v50, 0
	s_and_saveexec_b64 s[12:13], vcc
	s_cbranch_execz .LBB952_237
; %bb.232:                              ;   in Loop: Header=BB952_213 Depth=1
	v_lshrrev_b32_e32 v42, 24, v36
	v_cmp_ne_u32_e32 vcc, s9, v42
	v_mov_b32_e32 v50, 0xffff8000
	s_and_saveexec_b64 s[14:15], vcc
	s_cbranch_execz .LBB952_236
; %bb.233:                              ;   in Loop: Header=BB952_213 Depth=1
	v_bfe_u32 v36, v36, 24, 7
	v_cmp_ne_u32_e32 vcc, s21, v36
	v_mov_b32_e32 v50, 0x7f80
	s_and_saveexec_b64 s[16:17], vcc
	s_cbranch_execz .LBB952_235
; %bb.234:                              ;   in Loop: Header=BB952_213 Depth=1
	v_and_b32_e32 v44, 7, v42
	v_ffbh_u32_e32 v50, v44
	v_min_u32_e32 v53, 32, v50
	v_subrev_u32_e32 v50, 28, v53
	v_lshlrev_b64 v[50:51], v50, v[42:43]
	v_lshrrev_b32_e32 v52, 3, v36
	v_sub_u32_e32 v51, 29, v53
	v_and_b32_e32 v50, 7, v50
	v_cmp_gt_u32_e32 vcc, 8, v36
	v_cndmask_b32_e32 v36, v52, v51, vcc
	v_cndmask_b32_e32 v44, v44, v50, vcc
	v_lshlrev_b32_e32 v42, 24, v42
	v_lshlrev_b32_e32 v44, 20, v44
	v_and_b32_e32 v42, 0x80000000, v42
	v_lshl_add_u32 v36, v36, 23, v48
	v_or3_b32 v36, v42, v36, v44
	v_lshrrev_b32_e32 v50, 16, v36
.LBB952_235:                            ;   in Loop: Header=BB952_213 Depth=1
	s_or_b64 exec, exec, s[16:17]
.LBB952_236:                            ;   in Loop: Header=BB952_213 Depth=1
	s_or_b64 exec, exec, s[14:15]
.LBB952_237:                            ;   in Loop: Header=BB952_213 Depth=1
	s_or_b64 exec, exec, s[12:13]
	s_waitcnt vmcnt(2)
	v_cmp_ne_u16_sdwa s[14:15], v34, v47 src0_sel:BYTE_0 src1_sel:DWORD
	s_and_saveexec_b64 s[12:13], s[14:15]
	s_cbranch_execz .LBB952_243
; %bb.238:                              ;   in Loop: Header=BB952_213 Depth=1
	v_cmp_ne_u16_sdwa s[16:17], v34, s9 src0_sel:BYTE_0 src1_sel:DWORD
	v_mov_b32_e32 v49, 0xffff8000
	s_and_saveexec_b64 s[14:15], s[16:17]
	s_cbranch_execz .LBB952_242
; %bb.239:                              ;   in Loop: Header=BB952_213 Depth=1
	v_and_b32_e32 v36, 0x7f, v34
	v_cmp_ne_u32_e32 vcc, s21, v36
	v_mov_b32_e32 v49, 0x7f80
	s_and_saveexec_b64 s[16:17], vcc
	s_cbranch_execz .LBB952_241
; %bb.240:                              ;   in Loop: Header=BB952_213 Depth=1
	v_and_b32_e32 v42, 7, v34
	v_ffbh_u32_e32 v49, v42
	v_min_u32_e32 v49, 32, v49
	v_subrev_u32_e32 v51, 28, v49
	v_lshlrev_b64 v[52:53], v51, v[34:35]
	v_lshrrev_b32_e32 v44, 3, v36
	v_sub_u32_e32 v49, 29, v49
	v_and_b32_e32 v51, 7, v52
	v_cmp_gt_u32_e32 vcc, 8, v36
	v_cndmask_b32_e32 v36, v44, v49, vcc
	v_cndmask_b32_e32 v42, v42, v51, vcc
	v_lshlrev_b32_e32 v44, 24, v34
	v_lshlrev_b32_e32 v42, 20, v42
	v_and_b32_e32 v44, 0x80000000, v44
	v_lshl_add_u32 v36, v36, 23, v48
	v_or3_b32 v36, v44, v36, v42
	v_lshrrev_b32_e32 v49, 16, v36
.LBB952_241:                            ;   in Loop: Header=BB952_213 Depth=1
	s_or_b64 exec, exec, s[16:17]
.LBB952_242:                            ;   in Loop: Header=BB952_213 Depth=1
	s_or_b64 exec, exec, s[14:15]
.LBB952_243:                            ;   in Loop: Header=BB952_213 Depth=1
	s_or_b64 exec, exec, s[12:13]
	v_lshrrev_b16_e32 v36, 8, v34
	v_cmp_ne_u16_e32 vcc, 0, v36
	v_mov_b32_e32 v51, 0
	v_mov_b32_e32 v42, 0
	s_and_saveexec_b64 s[12:13], vcc
	s_cbranch_execz .LBB952_249
; %bb.244:                              ;   in Loop: Header=BB952_213 Depth=1
	v_cmp_ne_u16_e32 vcc, s9, v36
	v_mov_b32_e32 v42, 0xffff8000
	s_and_saveexec_b64 s[14:15], vcc
	s_cbranch_execz .LBB952_248
; %bb.245:                              ;   in Loop: Header=BB952_213 Depth=1
	v_and_b32_e32 v44, 0x7f, v36
	v_cmp_ne_u32_e32 vcc, s21, v44
	v_mov_b32_e32 v42, 0x7f80
	s_and_saveexec_b64 s[16:17], vcc
	s_cbranch_execz .LBB952_247
; %bb.246:                              ;   in Loop: Header=BB952_213 Depth=1
	v_and_b32_e32 v42, 7, v36
	v_ffbh_u32_e32 v52, v42
	v_min_u32_e32 v63, 32, v52
	v_subrev_u32_e32 v52, 28, v63
	v_lshlrev_b64 v[52:53], v52, v[36:37]
	v_lshrrev_b32_e32 v62, 3, v44
	v_sub_u32_e32 v36, 29, v63
	v_and_b32_e32 v52, 7, v52
	v_cmp_gt_u32_e32 vcc, 8, v44
	v_cndmask_b32_e32 v36, v62, v36, vcc
	v_cndmask_b32_e32 v42, v42, v52, vcc
	v_lshlrev_b32_e32 v44, 16, v34
	v_lshlrev_b32_e32 v42, 20, v42
	v_and_b32_e32 v44, 0x80000000, v44
	v_lshl_add_u32 v36, v36, 23, v48
	v_or3_b32 v36, v44, v36, v42
	v_lshrrev_b32_e32 v42, 16, v36
.LBB952_247:                            ;   in Loop: Header=BB952_213 Depth=1
	s_or_b64 exec, exec, s[16:17]
.LBB952_248:                            ;   in Loop: Header=BB952_213 Depth=1
	s_or_b64 exec, exec, s[14:15]
.LBB952_249:                            ;   in Loop: Header=BB952_213 Depth=1
	s_or_b64 exec, exec, s[12:13]
	v_lshrrev_b32_e32 v36, 16, v34
	v_cmp_ne_u16_sdwa s[14:15], v36, v47 src0_sel:BYTE_0 src1_sel:DWORD
	s_and_saveexec_b64 s[12:13], s[14:15]
	s_cbranch_execz .LBB952_255
; %bb.250:                              ;   in Loop: Header=BB952_213 Depth=1
	v_cmp_ne_u16_sdwa s[16:17], v36, s9 src0_sel:BYTE_0 src1_sel:DWORD
	v_mov_b32_e32 v51, 0xffff8000
	s_and_saveexec_b64 s[14:15], s[16:17]
	s_cbranch_execz .LBB952_254
; %bb.251:                              ;   in Loop: Header=BB952_213 Depth=1
	v_bfe_u32 v44, v34, 16, 7
	v_cmp_ne_u32_e32 vcc, s21, v44
	v_mov_b32_e32 v51, 0x7f80
	s_and_saveexec_b64 s[16:17], vcc
	s_cbranch_execz .LBB952_253
; %bb.252:                              ;   in Loop: Header=BB952_213 Depth=1
	v_and_b32_e32 v51, 7, v36
	v_ffbh_u32_e32 v52, v51
	v_min_u32_e32 v63, 32, v52
	v_subrev_u32_e32 v52, 28, v63
	v_lshlrev_b64 v[52:53], v52, v[36:37]
	v_lshrrev_b32_e32 v62, 3, v44
	v_sub_u32_e32 v53, 29, v63
	v_and_b32_e32 v52, 7, v52
	v_cmp_gt_u32_e32 vcc, 8, v44
	v_cndmask_b32_e32 v44, v62, v53, vcc
	v_cndmask_b32_e32 v51, v51, v52, vcc
	v_lshlrev_b32_e32 v36, 24, v36
	v_lshlrev_b32_e32 v51, 20, v51
	v_and_b32_e32 v36, 0x80000000, v36
	v_lshl_add_u32 v44, v44, 23, v48
	v_or3_b32 v36, v36, v44, v51
	v_lshrrev_b32_e32 v51, 16, v36
.LBB952_253:                            ;   in Loop: Header=BB952_213 Depth=1
	s_or_b64 exec, exec, s[16:17]
.LBB952_254:                            ;   in Loop: Header=BB952_213 Depth=1
	s_or_b64 exec, exec, s[14:15]
.LBB952_255:                            ;   in Loop: Header=BB952_213 Depth=1
	s_or_b64 exec, exec, s[12:13]
	v_cmp_lt_u32_e32 vcc, s22, v34
	v_mov_b32_e32 v44, 0
	v_mov_b32_e32 v52, 0
	s_and_saveexec_b64 s[12:13], vcc
	s_cbranch_execz .LBB952_261
; %bb.256:                              ;   in Loop: Header=BB952_213 Depth=1
	v_lshrrev_b32_e32 v36, 24, v34
	v_cmp_ne_u32_e32 vcc, s9, v36
	v_mov_b32_e32 v52, 0xffff8000
	s_and_saveexec_b64 s[14:15], vcc
	s_cbranch_execz .LBB952_260
; %bb.257:                              ;   in Loop: Header=BB952_213 Depth=1
	v_bfe_u32 v34, v34, 24, 7
	v_cmp_ne_u32_e32 vcc, s21, v34
	v_mov_b32_e32 v52, 0x7f80
	s_and_saveexec_b64 s[16:17], vcc
	s_cbranch_execz .LBB952_259
; %bb.258:                              ;   in Loop: Header=BB952_213 Depth=1
	v_and_b32_e32 v62, 7, v36
	v_ffbh_u32_e32 v52, v62
	v_min_u32_e32 v64, 32, v52
	v_subrev_u32_e32 v52, 28, v64
	v_lshlrev_b64 v[52:53], v52, v[36:37]
	v_lshrrev_b32_e32 v63, 3, v34
	v_sub_u32_e32 v53, 29, v64
	v_and_b32_e32 v52, 7, v52
	v_cmp_gt_u32_e32 vcc, 8, v34
	v_cndmask_b32_e32 v34, v63, v53, vcc
	v_cndmask_b32_e32 v52, v62, v52, vcc
	v_lshlrev_b32_e32 v36, 24, v36
	v_lshlrev_b32_e32 v52, 20, v52
	v_and_b32_e32 v36, 0x80000000, v36
	v_lshl_add_u32 v34, v34, 23, v48
	v_or3_b32 v34, v36, v34, v52
	v_lshrrev_b32_e32 v52, 16, v34
.LBB952_259:                            ;   in Loop: Header=BB952_213 Depth=1
	s_or_b64 exec, exec, s[16:17]
.LBB952_260:                            ;   in Loop: Header=BB952_213 Depth=1
	s_or_b64 exec, exec, s[14:15]
.LBB952_261:                            ;   in Loop: Header=BB952_213 Depth=1
	s_or_b64 exec, exec, s[12:13]
	v_perm_b32 v63, v50, v46, s23
	v_perm_b32 v62, v37, v35, s23
	;; [unrolled: 1-line block ×4, first 2 shown]
	s_waitcnt vmcnt(1)
	v_cmp_ne_u16_sdwa s[14:15], v40, v47 src0_sel:BYTE_0 src1_sel:DWORD
	v_mfma_f32_16x16x16bf16_1k v[34:37], v[62:63], v[2:3], 0
	v_mfma_f32_16x16x16bf16_1k v[34:37], v[50:51], v[4:5], v[34:37]
	s_and_saveexec_b64 s[12:13], s[14:15]
	s_cbranch_execz .LBB952_267
; %bb.262:                              ;   in Loop: Header=BB952_213 Depth=1
	v_cmp_ne_u16_sdwa s[16:17], v40, s9 src0_sel:BYTE_0 src1_sel:DWORD
	v_mov_b32_e32 v44, 0xffff8000
	s_and_saveexec_b64 s[14:15], s[16:17]
	s_cbranch_execz .LBB952_266
; %bb.263:                              ;   in Loop: Header=BB952_213 Depth=1
	v_and_b32_e32 v42, 0x7f, v40
	v_cmp_ne_u32_e32 vcc, s21, v42
	v_mov_b32_e32 v44, 0x7f80
	s_and_saveexec_b64 s[16:17], vcc
	s_cbranch_execz .LBB952_265
; %bb.264:                              ;   in Loop: Header=BB952_213 Depth=1
	v_and_b32_e32 v44, 7, v40
	v_ffbh_u32_e32 v49, v44
	v_min_u32_e32 v49, 32, v49
	v_subrev_u32_e32 v50, 28, v49
	v_lshlrev_b64 v[50:51], v50, v[40:41]
	v_lshrrev_b32_e32 v46, 3, v42
	v_sub_u32_e32 v49, 29, v49
	v_and_b32_e32 v50, 7, v50
	v_cmp_gt_u32_e32 vcc, 8, v42
	v_cndmask_b32_e32 v42, v46, v49, vcc
	v_cndmask_b32_e32 v44, v44, v50, vcc
	v_lshlrev_b32_e32 v46, 24, v40
	v_lshlrev_b32_e32 v44, 20, v44
	v_and_b32_e32 v46, 0x80000000, v46
	v_lshl_add_u32 v42, v42, 23, v48
	v_or3_b32 v42, v46, v42, v44
	v_lshrrev_b32_e32 v44, 16, v42
.LBB952_265:                            ;   in Loop: Header=BB952_213 Depth=1
	s_or_b64 exec, exec, s[16:17]
.LBB952_266:                            ;   in Loop: Header=BB952_213 Depth=1
	s_or_b64 exec, exec, s[14:15]
.LBB952_267:                            ;   in Loop: Header=BB952_213 Depth=1
	s_or_b64 exec, exec, s[12:13]
	v_lshrrev_b16_e32 v42, 8, v40
	v_cmp_ne_u16_e32 vcc, 0, v42
	v_mov_b32_e32 v50, 0
	v_mov_b32_e32 v46, 0
	s_and_saveexec_b64 s[12:13], vcc
	s_cbranch_execz .LBB952_273
; %bb.268:                              ;   in Loop: Header=BB952_213 Depth=1
	v_cmp_ne_u16_e32 vcc, s9, v42
	v_mov_b32_e32 v46, 0xffff8000
	s_and_saveexec_b64 s[14:15], vcc
	s_cbranch_execz .LBB952_272
; %bb.269:                              ;   in Loop: Header=BB952_213 Depth=1
	v_and_b32_e32 v49, 0x7f, v42
	v_cmp_ne_u32_e32 vcc, s21, v49
	v_mov_b32_e32 v46, 0x7f80
	s_and_saveexec_b64 s[16:17], vcc
	s_cbranch_execz .LBB952_271
; %bb.270:                              ;   in Loop: Header=BB952_213 Depth=1
	v_and_b32_e32 v46, 7, v42
	v_ffbh_u32_e32 v52, v46
	v_min_u32_e32 v62, 32, v52
	v_subrev_u32_e32 v52, 28, v62
	v_lshlrev_b64 v[52:53], v52, v[42:43]
	v_lshrrev_b32_e32 v51, 3, v49
	v_sub_u32_e32 v42, 29, v62
	v_and_b32_e32 v52, 7, v52
	v_cmp_gt_u32_e32 vcc, 8, v49
	v_cndmask_b32_e32 v42, v51, v42, vcc
	v_cndmask_b32_e32 v46, v46, v52, vcc
	v_lshlrev_b32_e32 v49, 16, v40
	v_lshlrev_b32_e32 v46, 20, v46
	v_and_b32_e32 v49, 0x80000000, v49
	v_lshl_add_u32 v42, v42, 23, v48
	v_or3_b32 v42, v49, v42, v46
	v_lshrrev_b32_e32 v46, 16, v42
.LBB952_271:                            ;   in Loop: Header=BB952_213 Depth=1
	s_or_b64 exec, exec, s[16:17]
.LBB952_272:                            ;   in Loop: Header=BB952_213 Depth=1
	s_or_b64 exec, exec, s[14:15]
.LBB952_273:                            ;   in Loop: Header=BB952_213 Depth=1
	s_or_b64 exec, exec, s[12:13]
	v_lshrrev_b32_e32 v42, 16, v40
	v_cmp_ne_u16_sdwa s[14:15], v42, v47 src0_sel:BYTE_0 src1_sel:DWORD
	s_and_saveexec_b64 s[12:13], s[14:15]
	s_cbranch_execz .LBB952_279
; %bb.274:                              ;   in Loop: Header=BB952_213 Depth=1
	v_cmp_ne_u16_sdwa s[16:17], v42, s9 src0_sel:BYTE_0 src1_sel:DWORD
	v_mov_b32_e32 v50, 0xffff8000
	s_and_saveexec_b64 s[14:15], s[16:17]
	s_cbranch_execz .LBB952_278
; %bb.275:                              ;   in Loop: Header=BB952_213 Depth=1
	v_bfe_u32 v49, v40, 16, 7
	v_cmp_ne_u32_e32 vcc, s21, v49
	v_mov_b32_e32 v50, 0x7f80
	s_and_saveexec_b64 s[16:17], vcc
	s_cbranch_execz .LBB952_277
; %bb.276:                              ;   in Loop: Header=BB952_213 Depth=1
	v_and_b32_e32 v52, 7, v42
	v_ffbh_u32_e32 v50, v52
	v_min_u32_e32 v62, 32, v50
	v_subrev_u32_e32 v50, 28, v62
	v_lshlrev_b64 v[50:51], v50, v[42:43]
	v_lshrrev_b32_e32 v53, 3, v49
	v_sub_u32_e32 v51, 29, v62
	v_and_b32_e32 v50, 7, v50
	v_cmp_gt_u32_e32 vcc, 8, v49
	v_cndmask_b32_e32 v49, v53, v51, vcc
	v_cndmask_b32_e32 v50, v52, v50, vcc
	v_lshlrev_b32_e32 v42, 24, v42
	v_lshlrev_b32_e32 v50, 20, v50
	v_and_b32_e32 v42, 0x80000000, v42
	v_lshl_add_u32 v49, v49, 23, v48
	v_or3_b32 v42, v42, v49, v50
	v_lshrrev_b32_e32 v50, 16, v42
.LBB952_277:                            ;   in Loop: Header=BB952_213 Depth=1
	s_or_b64 exec, exec, s[16:17]
.LBB952_278:                            ;   in Loop: Header=BB952_213 Depth=1
	s_or_b64 exec, exec, s[14:15]
.LBB952_279:                            ;   in Loop: Header=BB952_213 Depth=1
	s_or_b64 exec, exec, s[12:13]
	v_cmp_lt_u32_e32 vcc, s22, v40
	v_mov_b32_e32 v51, 0
	v_mov_b32_e32 v52, 0
	s_and_saveexec_b64 s[12:13], vcc
	s_cbranch_execz .LBB952_285
; %bb.280:                              ;   in Loop: Header=BB952_213 Depth=1
	v_lshrrev_b32_e32 v42, 24, v40
	v_cmp_ne_u32_e32 vcc, s9, v42
	v_mov_b32_e32 v52, 0xffff8000
	s_and_saveexec_b64 s[14:15], vcc
	s_cbranch_execz .LBB952_284
; %bb.281:                              ;   in Loop: Header=BB952_213 Depth=1
	v_bfe_u32 v40, v40, 24, 7
	v_cmp_ne_u32_e32 vcc, s21, v40
	v_mov_b32_e32 v52, 0x7f80
	s_and_saveexec_b64 s[16:17], vcc
	s_cbranch_execz .LBB952_283
; %bb.282:                              ;   in Loop: Header=BB952_213 Depth=1
	v_and_b32_e32 v49, 7, v42
	v_ffbh_u32_e32 v52, v49
	v_min_u32_e32 v63, 32, v52
	v_subrev_u32_e32 v52, 28, v63
	v_lshlrev_b64 v[52:53], v52, v[42:43]
	v_lshrrev_b32_e32 v62, 3, v40
	v_sub_u32_e32 v53, 29, v63
	v_and_b32_e32 v52, 7, v52
	v_cmp_gt_u32_e32 vcc, 8, v40
	v_cndmask_b32_e32 v40, v62, v53, vcc
	v_cndmask_b32_e32 v49, v49, v52, vcc
	v_lshlrev_b32_e32 v42, 24, v42
	v_lshlrev_b32_e32 v49, 20, v49
	v_and_b32_e32 v42, 0x80000000, v42
	v_lshl_add_u32 v40, v40, 23, v48
	v_or3_b32 v40, v42, v40, v49
	v_lshrrev_b32_e32 v52, 16, v40
.LBB952_283:                            ;   in Loop: Header=BB952_213 Depth=1
	s_or_b64 exec, exec, s[16:17]
.LBB952_284:                            ;   in Loop: Header=BB952_213 Depth=1
	s_or_b64 exec, exec, s[14:15]
.LBB952_285:                            ;   in Loop: Header=BB952_213 Depth=1
	s_or_b64 exec, exec, s[12:13]
	s_waitcnt vmcnt(0)
	v_cmp_ne_u16_sdwa s[14:15], v38, v47 src0_sel:BYTE_0 src1_sel:DWORD
	s_and_saveexec_b64 s[12:13], s[14:15]
	s_cbranch_execz .LBB952_291
; %bb.286:                              ;   in Loop: Header=BB952_213 Depth=1
	v_cmp_ne_u16_sdwa s[16:17], v38, s9 src0_sel:BYTE_0 src1_sel:DWORD
	v_mov_b32_e32 v51, 0xffff8000
	s_and_saveexec_b64 s[14:15], s[16:17]
	s_cbranch_execz .LBB952_290
; %bb.287:                              ;   in Loop: Header=BB952_213 Depth=1
	v_and_b32_e32 v40, 0x7f, v38
	v_cmp_ne_u32_e32 vcc, s21, v40
	v_mov_b32_e32 v51, 0x7f80
	s_and_saveexec_b64 s[16:17], vcc
	s_cbranch_execz .LBB952_289
; %bb.288:                              ;   in Loop: Header=BB952_213 Depth=1
	v_and_b32_e32 v42, 7, v38
	v_ffbh_u32_e32 v51, v42
	v_min_u32_e32 v51, 32, v51
	v_subrev_u32_e32 v53, 28, v51
	v_lshlrev_b64 v[62:63], v53, v[38:39]
	v_lshrrev_b32_e32 v49, 3, v40
	v_sub_u32_e32 v51, 29, v51
	v_and_b32_e32 v53, 7, v62
	v_cmp_gt_u32_e32 vcc, 8, v40
	v_cndmask_b32_e32 v40, v49, v51, vcc
	v_cndmask_b32_e32 v42, v42, v53, vcc
	v_lshlrev_b32_e32 v49, 24, v38
	v_lshlrev_b32_e32 v42, 20, v42
	v_and_b32_e32 v49, 0x80000000, v49
	v_lshl_add_u32 v40, v40, 23, v48
	v_or3_b32 v40, v49, v40, v42
	v_lshrrev_b32_e32 v51, 16, v40
.LBB952_289:                            ;   in Loop: Header=BB952_213 Depth=1
	s_or_b64 exec, exec, s[16:17]
.LBB952_290:                            ;   in Loop: Header=BB952_213 Depth=1
	s_or_b64 exec, exec, s[14:15]
.LBB952_291:                            ;   in Loop: Header=BB952_213 Depth=1
	s_or_b64 exec, exec, s[12:13]
	v_lshrrev_b16_e32 v40, 8, v38
	v_cmp_ne_u16_e32 vcc, 0, v40
	v_mov_b32_e32 v62, 0
	v_mov_b32_e32 v53, 0
	s_and_saveexec_b64 s[12:13], vcc
	s_cbranch_execz .LBB952_297
; %bb.292:                              ;   in Loop: Header=BB952_213 Depth=1
	v_cmp_ne_u16_e32 vcc, s9, v40
	v_mov_b32_e32 v53, 0xffff8000
	s_and_saveexec_b64 s[14:15], vcc
	s_cbranch_execz .LBB952_296
; %bb.293:                              ;   in Loop: Header=BB952_213 Depth=1
	v_and_b32_e32 v42, 0x7f, v40
	v_cmp_ne_u32_e32 vcc, s21, v42
	v_mov_b32_e32 v53, 0x7f80
	s_and_saveexec_b64 s[16:17], vcc
	s_cbranch_execz .LBB952_295
; %bb.294:                              ;   in Loop: Header=BB952_213 Depth=1
	v_and_b32_e32 v49, 7, v40
	v_ffbh_u32_e32 v63, v49
	v_min_u32_e32 v63, 32, v63
	v_subrev_u32_e32 v64, 28, v63
	v_lshlrev_b64 v[64:65], v64, v[40:41]
	v_lshrrev_b32_e32 v53, 3, v42
	v_sub_u32_e32 v40, 29, v63
	v_and_b32_e32 v63, 7, v64
	v_cmp_gt_u32_e32 vcc, 8, v42
	v_cndmask_b32_e32 v40, v53, v40, vcc
	v_cndmask_b32_e32 v42, v49, v63, vcc
	v_lshlrev_b32_e32 v49, 16, v38
	v_lshlrev_b32_e32 v42, 20, v42
	v_and_b32_e32 v49, 0x80000000, v49
	v_lshl_add_u32 v40, v40, 23, v48
	v_or3_b32 v40, v49, v40, v42
	v_lshrrev_b32_e32 v53, 16, v40
.LBB952_295:                            ;   in Loop: Header=BB952_213 Depth=1
	s_or_b64 exec, exec, s[16:17]
.LBB952_296:                            ;   in Loop: Header=BB952_213 Depth=1
	s_or_b64 exec, exec, s[14:15]
.LBB952_297:                            ;   in Loop: Header=BB952_213 Depth=1
	s_or_b64 exec, exec, s[12:13]
	v_lshrrev_b32_e32 v40, 16, v38
	v_cmp_ne_u16_sdwa s[14:15], v40, v47 src0_sel:BYTE_0 src1_sel:DWORD
	s_and_saveexec_b64 s[12:13], s[14:15]
	s_cbranch_execz .LBB952_303
; %bb.298:                              ;   in Loop: Header=BB952_213 Depth=1
	v_cmp_ne_u16_sdwa s[16:17], v40, s9 src0_sel:BYTE_0 src1_sel:DWORD
	v_mov_b32_e32 v62, 0xffff8000
	s_and_saveexec_b64 s[14:15], s[16:17]
	s_cbranch_execz .LBB952_302
; %bb.299:                              ;   in Loop: Header=BB952_213 Depth=1
	v_bfe_u32 v42, v38, 16, 7
	v_cmp_ne_u32_e32 vcc, s21, v42
	v_mov_b32_e32 v62, 0x7f80
	s_and_saveexec_b64 s[16:17], vcc
	s_cbranch_execz .LBB952_301
; %bb.300:                              ;   in Loop: Header=BB952_213 Depth=1
	v_and_b32_e32 v49, 7, v40
	v_ffbh_u32_e32 v62, v49
	v_min_u32_e32 v65, 32, v62
	v_subrev_u32_e32 v62, 28, v65
	v_lshlrev_b64 v[62:63], v62, v[40:41]
	v_lshrrev_b32_e32 v64, 3, v42
	v_sub_u32_e32 v63, 29, v65
	v_and_b32_e32 v62, 7, v62
	v_cmp_gt_u32_e32 vcc, 8, v42
	v_cndmask_b32_e32 v42, v64, v63, vcc
	v_cndmask_b32_e32 v49, v49, v62, vcc
	v_lshlrev_b32_e32 v40, 24, v40
	v_lshlrev_b32_e32 v49, 20, v49
	v_and_b32_e32 v40, 0x80000000, v40
	v_lshl_add_u32 v42, v42, 23, v48
	v_or3_b32 v40, v40, v42, v49
	v_lshrrev_b32_e32 v62, 16, v40
.LBB952_301:                            ;   in Loop: Header=BB952_213 Depth=1
	s_or_b64 exec, exec, s[16:17]
.LBB952_302:                            ;   in Loop: Header=BB952_213 Depth=1
	s_or_b64 exec, exec, s[14:15]
.LBB952_303:                            ;   in Loop: Header=BB952_213 Depth=1
	s_or_b64 exec, exec, s[12:13]
	v_cmp_lt_u32_e32 vcc, s22, v38
	v_mov_b32_e32 v49, 0
	v_mov_b32_e32 v63, 0
	s_and_saveexec_b64 s[12:13], vcc
	s_cbranch_execz .LBB952_309
; %bb.304:                              ;   in Loop: Header=BB952_213 Depth=1
	v_lshrrev_b32_e32 v40, 24, v38
	v_cmp_ne_u32_e32 vcc, s9, v40
	v_mov_b32_e32 v63, 0xffff8000
	s_and_saveexec_b64 s[14:15], vcc
	s_cbranch_execz .LBB952_308
; %bb.305:                              ;   in Loop: Header=BB952_213 Depth=1
	v_bfe_u32 v38, v38, 24, 7
	v_cmp_ne_u32_e32 vcc, s21, v38
	v_mov_b32_e32 v63, 0x7f80
	s_and_saveexec_b64 s[16:17], vcc
	s_cbranch_execz .LBB952_307
; %bb.306:                              ;   in Loop: Header=BB952_213 Depth=1
	v_and_b32_e32 v42, 7, v40
	v_ffbh_u32_e32 v64, v42
	v_min_u32_e32 v66, 32, v64
	v_subrev_u32_e32 v64, 28, v66
	v_lshlrev_b64 v[64:65], v64, v[40:41]
	v_lshrrev_b32_e32 v63, 3, v38
	v_sub_u32_e32 v65, 29, v66
	v_and_b32_e32 v64, 7, v64
	v_cmp_gt_u32_e32 vcc, 8, v38
	v_cndmask_b32_e32 v38, v63, v65, vcc
	v_cndmask_b32_e32 v42, v42, v64, vcc
	v_lshlrev_b32_e32 v40, 24, v40
	v_lshlrev_b32_e32 v42, 20, v42
	v_and_b32_e32 v40, 0x80000000, v40
	v_lshl_add_u32 v38, v38, 23, v48
	v_or3_b32 v38, v40, v38, v42
	v_lshrrev_b32_e32 v63, 16, v38
.LBB952_307:                            ;   in Loop: Header=BB952_213 Depth=1
	s_or_b64 exec, exec, s[16:17]
.LBB952_308:                            ;   in Loop: Header=BB952_213 Depth=1
	s_or_b64 exec, exec, s[14:15]
.LBB952_309:                            ;   in Loop: Header=BB952_213 Depth=1
	s_or_b64 exec, exec, s[12:13]
	v_perm_b32 v64, v46, v44, s23
	buffer_load_dword v44, v61, s[0:3], 0 offen
	buffer_load_dword v42, v61, s[0:3], 0 offen offset:4
	buffer_load_dword v40, v61, s[0:3], 0 offen offset:8
	;; [unrolled: 1-line block ×3, first 2 shown]
	v_perm_b32 v65, v52, v50, s23
	v_perm_b32 v63, v63, v62, s23
	;; [unrolled: 1-line block ×3, first 2 shown]
	v_mfma_f32_16x16x16bf16_1k v[34:37], v[64:65], v[6:7], v[34:37]
	s_waitcnt vmcnt(3)
	v_cmp_ne_u16_sdwa s[14:15], v44, v47 src0_sel:BYTE_0 src1_sel:DWORD
	v_mfma_f32_16x16x16bf16_1k v[34:37], v[62:63], v[8:9], v[34:37]
	s_and_saveexec_b64 s[12:13], s[14:15]
	s_cbranch_execz .LBB952_315
; %bb.310:                              ;   in Loop: Header=BB952_213 Depth=1
	v_cmp_ne_u16_sdwa s[16:17], v44, s9 src0_sel:BYTE_0 src1_sel:DWORD
	v_mov_b32_e32 v49, 0xffff8000
	s_and_saveexec_b64 s[14:15], s[16:17]
	s_cbranch_execz .LBB952_314
; %bb.311:                              ;   in Loop: Header=BB952_213 Depth=1
	v_and_b32_e32 v46, 0x7f, v44
	v_cmp_ne_u32_e32 vcc, s21, v46
	v_mov_b32_e32 v49, 0x7f80
	s_and_saveexec_b64 s[16:17], vcc
	s_cbranch_execz .LBB952_313
; %bb.312:                              ;   in Loop: Header=BB952_213 Depth=1
	v_and_b32_e32 v49, 7, v44
	v_ffbh_u32_e32 v50, v49
	v_min_u32_e32 v53, 32, v50
	v_subrev_u32_e32 v50, 28, v53
	v_lshlrev_b64 v[50:51], v50, v[44:45]
	v_lshrrev_b32_e32 v52, 3, v46
	v_sub_u32_e32 v51, 29, v53
	v_and_b32_e32 v50, 7, v50
	v_cmp_gt_u32_e32 vcc, 8, v46
	v_cndmask_b32_e32 v46, v52, v51, vcc
	v_cndmask_b32_e32 v49, v49, v50, vcc
	v_lshlrev_b32_e32 v50, 24, v44
	v_lshlrev_b32_e32 v49, 20, v49
	v_and_b32_e32 v50, 0x80000000, v50
	v_lshl_add_u32 v46, v46, 23, v48
	v_or3_b32 v46, v50, v46, v49
	v_lshrrev_b32_e32 v49, 16, v46
.LBB952_313:                            ;   in Loop: Header=BB952_213 Depth=1
	s_or_b64 exec, exec, s[16:17]
.LBB952_314:                            ;   in Loop: Header=BB952_213 Depth=1
	s_or_b64 exec, exec, s[14:15]
.LBB952_315:                            ;   in Loop: Header=BB952_213 Depth=1
	s_or_b64 exec, exec, s[12:13]
	v_lshrrev_b16_e32 v46, 8, v44
	v_cmp_ne_u16_e32 vcc, 0, v46
	v_mov_b32_e32 v51, 0
	v_mov_b32_e32 v50, 0
	s_and_saveexec_b64 s[12:13], vcc
	s_cbranch_execz .LBB952_321
; %bb.316:                              ;   in Loop: Header=BB952_213 Depth=1
	v_cmp_ne_u16_e32 vcc, s9, v46
	v_mov_b32_e32 v50, 0xffff8000
	s_and_saveexec_b64 s[14:15], vcc
	s_cbranch_execz .LBB952_320
; %bb.317:                              ;   in Loop: Header=BB952_213 Depth=1
	v_and_b32_e32 v52, 0x7f, v46
	v_cmp_ne_u32_e32 vcc, s21, v52
	v_mov_b32_e32 v50, 0x7f80
	s_and_saveexec_b64 s[16:17], vcc
	s_cbranch_execz .LBB952_319
; %bb.318:                              ;   in Loop: Header=BB952_213 Depth=1
	v_and_b32_e32 v50, 7, v46
	v_ffbh_u32_e32 v61, v50
	v_min_u32_e32 v61, 32, v61
	v_subrev_u32_e32 v62, 28, v61
	v_lshlrev_b64 v[62:63], v62, v[46:47]
	v_lshrrev_b32_e32 v53, 3, v52
	v_sub_u32_e32 v46, 29, v61
	v_and_b32_e32 v61, 7, v62
	v_cmp_gt_u32_e32 vcc, 8, v52
	v_cndmask_b32_e32 v46, v53, v46, vcc
	v_cndmask_b32_e32 v50, v50, v61, vcc
	v_lshlrev_b32_e32 v52, 16, v44
	v_lshlrev_b32_e32 v50, 20, v50
	v_and_b32_e32 v52, 0x80000000, v52
	v_lshl_add_u32 v46, v46, 23, v48
	v_or3_b32 v46, v52, v46, v50
	v_lshrrev_b32_e32 v50, 16, v46
.LBB952_319:                            ;   in Loop: Header=BB952_213 Depth=1
	s_or_b64 exec, exec, s[16:17]
.LBB952_320:                            ;   in Loop: Header=BB952_213 Depth=1
	s_or_b64 exec, exec, s[14:15]
.LBB952_321:                            ;   in Loop: Header=BB952_213 Depth=1
	s_or_b64 exec, exec, s[12:13]
	v_lshrrev_b32_e32 v46, 16, v44
	v_cmp_ne_u16_sdwa s[14:15], v46, v47 src0_sel:BYTE_0 src1_sel:DWORD
	s_and_saveexec_b64 s[12:13], s[14:15]
	s_cbranch_execz .LBB952_327
; %bb.322:                              ;   in Loop: Header=BB952_213 Depth=1
	v_cmp_ne_u16_sdwa s[16:17], v46, s9 src0_sel:BYTE_0 src1_sel:DWORD
	v_mov_b32_e32 v51, 0xffff8000
	s_and_saveexec_b64 s[14:15], s[16:17]
	s_cbranch_execz .LBB952_326
; %bb.323:                              ;   in Loop: Header=BB952_213 Depth=1
	v_bfe_u32 v52, v44, 16, 7
	v_cmp_ne_u32_e32 vcc, s21, v52
	v_mov_b32_e32 v51, 0x7f80
	s_and_saveexec_b64 s[16:17], vcc
	s_cbranch_execz .LBB952_325
; %bb.324:                              ;   in Loop: Header=BB952_213 Depth=1
	v_and_b32_e32 v51, 7, v46
	v_ffbh_u32_e32 v61, v51
	v_min_u32_e32 v61, 32, v61
	v_subrev_u32_e32 v62, 28, v61
	v_lshlrev_b64 v[62:63], v62, v[46:47]
	v_lshrrev_b32_e32 v53, 3, v52
	v_sub_u32_e32 v61, 29, v61
	v_and_b32_e32 v62, 7, v62
	v_cmp_gt_u32_e32 vcc, 8, v52
	v_cndmask_b32_e32 v52, v53, v61, vcc
	v_cndmask_b32_e32 v51, v51, v62, vcc
	v_lshlrev_b32_e32 v46, 24, v46
	v_lshlrev_b32_e32 v51, 20, v51
	v_and_b32_e32 v46, 0x80000000, v46
	v_lshl_add_u32 v52, v52, 23, v48
	v_or3_b32 v46, v46, v52, v51
	v_lshrrev_b32_e32 v51, 16, v46
.LBB952_325:                            ;   in Loop: Header=BB952_213 Depth=1
	s_or_b64 exec, exec, s[16:17]
.LBB952_326:                            ;   in Loop: Header=BB952_213 Depth=1
	s_or_b64 exec, exec, s[14:15]
.LBB952_327:                            ;   in Loop: Header=BB952_213 Depth=1
	s_or_b64 exec, exec, s[12:13]
	v_cmp_lt_u32_e32 vcc, s22, v44
	v_mov_b32_e32 v52, 0
	v_mov_b32_e32 v53, 0
	s_and_saveexec_b64 s[12:13], vcc
	s_cbranch_execz .LBB952_333
; %bb.328:                              ;   in Loop: Header=BB952_213 Depth=1
	v_lshrrev_b32_e32 v46, 24, v44
	v_cmp_ne_u32_e32 vcc, s9, v46
	v_mov_b32_e32 v53, 0xffff8000
	s_and_saveexec_b64 s[14:15], vcc
	s_cbranch_execz .LBB952_332
; %bb.329:                              ;   in Loop: Header=BB952_213 Depth=1
	v_bfe_u32 v44, v44, 24, 7
	v_cmp_ne_u32_e32 vcc, s21, v44
	v_mov_b32_e32 v53, 0x7f80
	s_and_saveexec_b64 s[16:17], vcc
	s_cbranch_execz .LBB952_331
; %bb.330:                              ;   in Loop: Header=BB952_213 Depth=1
	v_and_b32_e32 v53, 7, v46
	v_ffbh_u32_e32 v62, v53
	v_min_u32_e32 v64, 32, v62
	v_subrev_u32_e32 v62, 28, v64
	v_lshlrev_b64 v[62:63], v62, v[46:47]
	v_lshrrev_b32_e32 v61, 3, v44
	v_sub_u32_e32 v63, 29, v64
	v_and_b32_e32 v62, 7, v62
	v_cmp_gt_u32_e32 vcc, 8, v44
	v_cndmask_b32_e32 v44, v61, v63, vcc
	v_cndmask_b32_e32 v53, v53, v62, vcc
	v_lshlrev_b32_e32 v46, 24, v46
	v_lshlrev_b32_e32 v53, 20, v53
	v_and_b32_e32 v46, 0x80000000, v46
	v_lshl_add_u32 v44, v44, 23, v48
	v_or3_b32 v44, v46, v44, v53
	v_lshrrev_b32_e32 v53, 16, v44
.LBB952_331:                            ;   in Loop: Header=BB952_213 Depth=1
	s_or_b64 exec, exec, s[16:17]
.LBB952_332:                            ;   in Loop: Header=BB952_213 Depth=1
	s_or_b64 exec, exec, s[14:15]
.LBB952_333:                            ;   in Loop: Header=BB952_213 Depth=1
	s_or_b64 exec, exec, s[12:13]
	s_waitcnt vmcnt(2)
	v_cmp_ne_u16_sdwa s[14:15], v42, v47 src0_sel:BYTE_0 src1_sel:DWORD
	s_and_saveexec_b64 s[12:13], s[14:15]
	s_cbranch_execz .LBB952_339
; %bb.334:                              ;   in Loop: Header=BB952_213 Depth=1
	v_cmp_ne_u16_sdwa s[16:17], v42, s9 src0_sel:BYTE_0 src1_sel:DWORD
	v_mov_b32_e32 v52, 0xffff8000
	s_and_saveexec_b64 s[14:15], s[16:17]
	s_cbranch_execz .LBB952_338
; %bb.335:                              ;   in Loop: Header=BB952_213 Depth=1
	v_and_b32_e32 v44, 0x7f, v42
	v_cmp_ne_u32_e32 vcc, s21, v44
	v_mov_b32_e32 v52, 0x7f80
	s_and_saveexec_b64 s[16:17], vcc
	s_cbranch_execz .LBB952_337
; %bb.336:                              ;   in Loop: Header=BB952_213 Depth=1
	v_and_b32_e32 v46, 7, v42
	v_ffbh_u32_e32 v61, v46
	v_min_u32_e32 v61, 32, v61
	v_subrev_u32_e32 v62, 28, v61
	v_lshlrev_b64 v[62:63], v62, v[42:43]
	v_lshrrev_b32_e32 v52, 3, v44
	v_sub_u32_e32 v61, 29, v61
	v_and_b32_e32 v62, 7, v62
	v_cmp_gt_u32_e32 vcc, 8, v44
	v_cndmask_b32_e32 v44, v52, v61, vcc
	v_cndmask_b32_e32 v46, v46, v62, vcc
	v_lshlrev_b32_e32 v52, 24, v42
	v_lshlrev_b32_e32 v46, 20, v46
	v_and_b32_e32 v52, 0x80000000, v52
	v_lshl_add_u32 v44, v44, 23, v48
	v_or3_b32 v44, v52, v44, v46
	v_lshrrev_b32_e32 v52, 16, v44
.LBB952_337:                            ;   in Loop: Header=BB952_213 Depth=1
	s_or_b64 exec, exec, s[16:17]
.LBB952_338:                            ;   in Loop: Header=BB952_213 Depth=1
	s_or_b64 exec, exec, s[14:15]
.LBB952_339:                            ;   in Loop: Header=BB952_213 Depth=1
	s_or_b64 exec, exec, s[12:13]
	v_lshrrev_b16_e32 v44, 8, v42
	v_cmp_ne_u16_e32 vcc, 0, v44
	v_mov_b32_e32 v62, 0
	v_mov_b32_e32 v61, 0
	s_and_saveexec_b64 s[12:13], vcc
	s_cbranch_execz .LBB952_345
; %bb.340:                              ;   in Loop: Header=BB952_213 Depth=1
	v_cmp_ne_u16_e32 vcc, s9, v44
	v_mov_b32_e32 v61, 0xffff8000
	s_and_saveexec_b64 s[14:15], vcc
	s_cbranch_execz .LBB952_344
; %bb.341:                              ;   in Loop: Header=BB952_213 Depth=1
	v_and_b32_e32 v46, 0x7f, v44
	v_cmp_ne_u32_e32 vcc, s21, v46
	v_mov_b32_e32 v61, 0x7f80
	s_and_saveexec_b64 s[16:17], vcc
	s_cbranch_execz .LBB952_343
; %bb.342:                              ;   in Loop: Header=BB952_213 Depth=1
	v_and_b32_e32 v61, 7, v44
	v_ffbh_u32_e32 v64, v61
	v_min_u32_e32 v66, 32, v64
	v_subrev_u32_e32 v64, 28, v66
	v_lshlrev_b64 v[64:65], v64, v[44:45]
	v_lshrrev_b32_e32 v63, 3, v46
	v_sub_u32_e32 v44, 29, v66
	v_and_b32_e32 v64, 7, v64
	v_cmp_gt_u32_e32 vcc, 8, v46
	v_cndmask_b32_e32 v44, v63, v44, vcc
	v_cndmask_b32_e32 v46, v61, v64, vcc
	v_lshlrev_b32_e32 v61, 16, v42
	v_lshlrev_b32_e32 v46, 20, v46
	v_and_b32_e32 v61, 0x80000000, v61
	v_lshl_add_u32 v44, v44, 23, v48
	v_or3_b32 v44, v61, v44, v46
	v_lshrrev_b32_e32 v61, 16, v44
.LBB952_343:                            ;   in Loop: Header=BB952_213 Depth=1
	s_or_b64 exec, exec, s[16:17]
.LBB952_344:                            ;   in Loop: Header=BB952_213 Depth=1
	s_or_b64 exec, exec, s[14:15]
.LBB952_345:                            ;   in Loop: Header=BB952_213 Depth=1
	s_or_b64 exec, exec, s[12:13]
	v_lshrrev_b32_e32 v44, 16, v42
	v_cmp_ne_u16_sdwa s[14:15], v44, v47 src0_sel:BYTE_0 src1_sel:DWORD
	s_and_saveexec_b64 s[12:13], s[14:15]
	s_cbranch_execz .LBB952_351
; %bb.346:                              ;   in Loop: Header=BB952_213 Depth=1
	v_cmp_ne_u16_sdwa s[16:17], v44, s9 src0_sel:BYTE_0 src1_sel:DWORD
	v_mov_b32_e32 v62, 0xffff8000
	s_and_saveexec_b64 s[14:15], s[16:17]
	s_cbranch_execz .LBB952_350
; %bb.347:                              ;   in Loop: Header=BB952_213 Depth=1
	v_bfe_u32 v46, v42, 16, 7
	v_cmp_ne_u32_e32 vcc, s21, v46
	v_mov_b32_e32 v62, 0x7f80
	s_and_saveexec_b64 s[16:17], vcc
	s_cbranch_execz .LBB952_349
; %bb.348:                              ;   in Loop: Header=BB952_213 Depth=1
	v_and_b32_e32 v64, 7, v44
	v_ffbh_u32_e32 v62, v64
	v_min_u32_e32 v66, 32, v62
	v_subrev_u32_e32 v62, 28, v66
	v_lshlrev_b64 v[62:63], v62, v[44:45]
	v_lshrrev_b32_e32 v65, 3, v46
	v_sub_u32_e32 v63, 29, v66
	v_and_b32_e32 v62, 7, v62
	v_cmp_gt_u32_e32 vcc, 8, v46
	v_cndmask_b32_e32 v46, v65, v63, vcc
	v_cndmask_b32_e32 v62, v64, v62, vcc
	v_lshlrev_b32_e32 v44, 24, v44
	v_lshlrev_b32_e32 v62, 20, v62
	v_and_b32_e32 v44, 0x80000000, v44
	v_lshl_add_u32 v46, v46, 23, v48
	v_or3_b32 v44, v44, v46, v62
	v_lshrrev_b32_e32 v62, 16, v44
.LBB952_349:                            ;   in Loop: Header=BB952_213 Depth=1
	s_or_b64 exec, exec, s[16:17]
.LBB952_350:                            ;   in Loop: Header=BB952_213 Depth=1
	s_or_b64 exec, exec, s[14:15]
.LBB952_351:                            ;   in Loop: Header=BB952_213 Depth=1
	s_or_b64 exec, exec, s[12:13]
	v_cmp_lt_u32_e32 vcc, s22, v42
	v_mov_b32_e32 v46, 0
	v_mov_b32_e32 v63, 0
	s_and_saveexec_b64 s[12:13], vcc
	s_cbranch_execz .LBB952_357
; %bb.352:                              ;   in Loop: Header=BB952_213 Depth=1
	v_lshrrev_b32_e32 v44, 24, v42
	v_cmp_ne_u32_e32 vcc, s9, v44
	v_mov_b32_e32 v63, 0xffff8000
	s_and_saveexec_b64 s[14:15], vcc
	s_cbranch_execz .LBB952_356
; %bb.353:                              ;   in Loop: Header=BB952_213 Depth=1
	v_bfe_u32 v42, v42, 24, 7
	v_cmp_ne_u32_e32 vcc, s21, v42
	v_mov_b32_e32 v63, 0x7f80
	s_and_saveexec_b64 s[16:17], vcc
	s_cbranch_execz .LBB952_355
; %bb.354:                              ;   in Loop: Header=BB952_213 Depth=1
	v_and_b32_e32 v63, 7, v44
	v_ffbh_u32_e32 v64, v63
	v_min_u32_e32 v67, 32, v64
	v_subrev_u32_e32 v64, 28, v67
	v_lshlrev_b64 v[64:65], v64, v[44:45]
	v_lshrrev_b32_e32 v66, 3, v42
	v_sub_u32_e32 v65, 29, v67
	v_and_b32_e32 v64, 7, v64
	v_cmp_gt_u32_e32 vcc, 8, v42
	v_cndmask_b32_e32 v42, v66, v65, vcc
	v_cndmask_b32_e32 v63, v63, v64, vcc
	v_lshlrev_b32_e32 v44, 24, v44
	v_lshlrev_b32_e32 v63, 20, v63
	v_and_b32_e32 v44, 0x80000000, v44
	v_lshl_add_u32 v42, v42, 23, v48
	v_or3_b32 v42, v44, v42, v63
	v_lshrrev_b32_e32 v63, 16, v42
.LBB952_355:                            ;   in Loop: Header=BB952_213 Depth=1
	s_or_b64 exec, exec, s[16:17]
.LBB952_356:                            ;   in Loop: Header=BB952_213 Depth=1
	s_or_b64 exec, exec, s[14:15]
.LBB952_357:                            ;   in Loop: Header=BB952_213 Depth=1
	s_or_b64 exec, exec, s[12:13]
	v_perm_b32 v51, v53, v51, s23
	v_perm_b32 v50, v50, v49, s23
	s_waitcnt vmcnt(1)
	v_cmp_ne_u16_sdwa s[14:15], v40, v47 src0_sel:BYTE_0 src1_sel:DWORD
	v_mfma_f32_16x16x16bf16_1k v[34:37], v[50:51], v[10:11], v[34:37]
	v_perm_b32 v51, v63, v62, s23
	v_perm_b32 v50, v61, v52, s23
	s_nop 1
	v_mfma_f32_16x16x16bf16_1k v[34:37], v[50:51], v[12:13], v[34:37]
	s_and_saveexec_b64 s[12:13], s[14:15]
	s_cbranch_execz .LBB952_363
; %bb.358:                              ;   in Loop: Header=BB952_213 Depth=1
	v_cmp_ne_u16_sdwa s[16:17], v40, s9 src0_sel:BYTE_0 src1_sel:DWORD
	v_mov_b32_e32 v46, 0xffff8000
	s_and_saveexec_b64 s[14:15], s[16:17]
	s_cbranch_execz .LBB952_362
; %bb.359:                              ;   in Loop: Header=BB952_213 Depth=1
	v_and_b32_e32 v42, 0x7f, v40
	v_cmp_ne_u32_e32 vcc, s21, v42
	v_mov_b32_e32 v46, 0x7f80
	s_and_saveexec_b64 s[16:17], vcc
	s_cbranch_execz .LBB952_361
; %bb.360:                              ;   in Loop: Header=BB952_213 Depth=1
	v_and_b32_e32 v44, 7, v40
	v_ffbh_u32_e32 v49, v44
	v_min_u32_e32 v49, 32, v49
	v_subrev_u32_e32 v50, 28, v49
	v_lshlrev_b64 v[50:51], v50, v[40:41]
	v_lshrrev_b32_e32 v46, 3, v42
	v_sub_u32_e32 v49, 29, v49
	v_and_b32_e32 v50, 7, v50
	v_cmp_gt_u32_e32 vcc, 8, v42
	v_cndmask_b32_e32 v42, v46, v49, vcc
	v_cndmask_b32_e32 v44, v44, v50, vcc
	v_lshlrev_b32_e32 v46, 24, v40
	v_lshlrev_b32_e32 v44, 20, v44
	v_and_b32_e32 v46, 0x80000000, v46
	v_lshl_add_u32 v42, v42, 23, v48
	v_or3_b32 v42, v46, v42, v44
	v_lshrrev_b32_e32 v46, 16, v42
.LBB952_361:                            ;   in Loop: Header=BB952_213 Depth=1
	s_or_b64 exec, exec, s[16:17]
.LBB952_362:                            ;   in Loop: Header=BB952_213 Depth=1
	s_or_b64 exec, exec, s[14:15]
.LBB952_363:                            ;   in Loop: Header=BB952_213 Depth=1
	s_or_b64 exec, exec, s[12:13]
	v_lshrrev_b16_e32 v42, 8, v40
	v_cmp_ne_u16_e32 vcc, 0, v42
	v_mov_b32_e32 v50, 0
	v_mov_b32_e32 v44, 0
	s_and_saveexec_b64 s[12:13], vcc
	s_cbranch_execz .LBB952_369
; %bb.364:                              ;   in Loop: Header=BB952_213 Depth=1
	v_cmp_ne_u16_e32 vcc, s9, v42
	v_mov_b32_e32 v44, 0xffff8000
	s_and_saveexec_b64 s[14:15], vcc
	s_cbranch_execz .LBB952_368
; %bb.365:                              ;   in Loop: Header=BB952_213 Depth=1
	v_and_b32_e32 v49, 0x7f, v42
	v_cmp_ne_u32_e32 vcc, s21, v49
	v_mov_b32_e32 v44, 0x7f80
	s_and_saveexec_b64 s[16:17], vcc
	s_cbranch_execz .LBB952_367
; %bb.366:                              ;   in Loop: Header=BB952_213 Depth=1
	v_and_b32_e32 v44, 7, v42
	v_ffbh_u32_e32 v52, v44
	v_min_u32_e32 v61, 32, v52
	v_subrev_u32_e32 v52, 28, v61
	v_lshlrev_b64 v[52:53], v52, v[42:43]
	v_lshrrev_b32_e32 v51, 3, v49
	v_sub_u32_e32 v42, 29, v61
	v_and_b32_e32 v52, 7, v52
	v_cmp_gt_u32_e32 vcc, 8, v49
	v_cndmask_b32_e32 v42, v51, v42, vcc
	v_cndmask_b32_e32 v44, v44, v52, vcc
	v_lshlrev_b32_e32 v49, 16, v40
	v_lshlrev_b32_e32 v44, 20, v44
	v_and_b32_e32 v49, 0x80000000, v49
	v_lshl_add_u32 v42, v42, 23, v48
	v_or3_b32 v42, v49, v42, v44
	v_lshrrev_b32_e32 v44, 16, v42
.LBB952_367:                            ;   in Loop: Header=BB952_213 Depth=1
	s_or_b64 exec, exec, s[16:17]
.LBB952_368:                            ;   in Loop: Header=BB952_213 Depth=1
	s_or_b64 exec, exec, s[14:15]
.LBB952_369:                            ;   in Loop: Header=BB952_213 Depth=1
	s_or_b64 exec, exec, s[12:13]
	v_lshrrev_b32_e32 v42, 16, v40
	v_cmp_ne_u16_sdwa s[14:15], v42, v47 src0_sel:BYTE_0 src1_sel:DWORD
	s_and_saveexec_b64 s[12:13], s[14:15]
	s_cbranch_execz .LBB952_375
; %bb.370:                              ;   in Loop: Header=BB952_213 Depth=1
	v_cmp_ne_u16_sdwa s[16:17], v42, s9 src0_sel:BYTE_0 src1_sel:DWORD
	v_mov_b32_e32 v50, 0xffff8000
	s_and_saveexec_b64 s[14:15], s[16:17]
	s_cbranch_execz .LBB952_374
; %bb.371:                              ;   in Loop: Header=BB952_213 Depth=1
	v_bfe_u32 v49, v40, 16, 7
	v_cmp_ne_u32_e32 vcc, s21, v49
	v_mov_b32_e32 v50, 0x7f80
	s_and_saveexec_b64 s[16:17], vcc
	s_cbranch_execz .LBB952_373
; %bb.372:                              ;   in Loop: Header=BB952_213 Depth=1
	v_and_b32_e32 v52, 7, v42
	v_ffbh_u32_e32 v50, v52
	v_min_u32_e32 v61, 32, v50
	v_subrev_u32_e32 v50, 28, v61
	v_lshlrev_b64 v[50:51], v50, v[42:43]
	v_lshrrev_b32_e32 v53, 3, v49
	v_sub_u32_e32 v51, 29, v61
	v_and_b32_e32 v50, 7, v50
	v_cmp_gt_u32_e32 vcc, 8, v49
	v_cndmask_b32_e32 v49, v53, v51, vcc
	v_cndmask_b32_e32 v50, v52, v50, vcc
	v_lshlrev_b32_e32 v42, 24, v42
	v_lshlrev_b32_e32 v50, 20, v50
	v_and_b32_e32 v42, 0x80000000, v42
	v_lshl_add_u32 v49, v49, 23, v48
	v_or3_b32 v42, v42, v49, v50
	v_lshrrev_b32_e32 v50, 16, v42
.LBB952_373:                            ;   in Loop: Header=BB952_213 Depth=1
	s_or_b64 exec, exec, s[16:17]
.LBB952_374:                            ;   in Loop: Header=BB952_213 Depth=1
	s_or_b64 exec, exec, s[14:15]
.LBB952_375:                            ;   in Loop: Header=BB952_213 Depth=1
	s_or_b64 exec, exec, s[12:13]
	v_cmp_lt_u32_e32 vcc, s22, v40
	v_mov_b32_e32 v51, 0
	v_mov_b32_e32 v52, 0
	s_and_saveexec_b64 s[12:13], vcc
	s_cbranch_execz .LBB952_381
; %bb.376:                              ;   in Loop: Header=BB952_213 Depth=1
	v_lshrrev_b32_e32 v42, 24, v40
	v_cmp_ne_u32_e32 vcc, s9, v42
	v_mov_b32_e32 v52, 0xffff8000
	s_and_saveexec_b64 s[14:15], vcc
	s_cbranch_execz .LBB952_380
; %bb.377:                              ;   in Loop: Header=BB952_213 Depth=1
	v_bfe_u32 v40, v40, 24, 7
	v_cmp_ne_u32_e32 vcc, s21, v40
	v_mov_b32_e32 v52, 0x7f80
	s_and_saveexec_b64 s[16:17], vcc
	s_cbranch_execz .LBB952_379
; %bb.378:                              ;   in Loop: Header=BB952_213 Depth=1
	v_and_b32_e32 v49, 7, v42
	v_ffbh_u32_e32 v52, v49
	v_min_u32_e32 v62, 32, v52
	v_subrev_u32_e32 v52, 28, v62
	v_lshlrev_b64 v[52:53], v52, v[42:43]
	v_lshrrev_b32_e32 v61, 3, v40
	v_sub_u32_e32 v53, 29, v62
	v_and_b32_e32 v52, 7, v52
	v_cmp_gt_u32_e32 vcc, 8, v40
	v_cndmask_b32_e32 v40, v61, v53, vcc
	v_cndmask_b32_e32 v49, v49, v52, vcc
	v_lshlrev_b32_e32 v42, 24, v42
	v_lshlrev_b32_e32 v49, 20, v49
	v_and_b32_e32 v42, 0x80000000, v42
	v_lshl_add_u32 v40, v40, 23, v48
	v_or3_b32 v40, v42, v40, v49
	v_lshrrev_b32_e32 v52, 16, v40
.LBB952_379:                            ;   in Loop: Header=BB952_213 Depth=1
	s_or_b64 exec, exec, s[16:17]
.LBB952_380:                            ;   in Loop: Header=BB952_213 Depth=1
	s_or_b64 exec, exec, s[14:15]
.LBB952_381:                            ;   in Loop: Header=BB952_213 Depth=1
	s_or_b64 exec, exec, s[12:13]
	s_waitcnt vmcnt(0)
	v_cmp_ne_u16_sdwa s[14:15], v38, v47 src0_sel:BYTE_0 src1_sel:DWORD
	s_and_saveexec_b64 s[12:13], s[14:15]
	s_cbranch_execz .LBB952_387
; %bb.382:                              ;   in Loop: Header=BB952_213 Depth=1
	v_cmp_ne_u16_sdwa s[16:17], v38, s9 src0_sel:BYTE_0 src1_sel:DWORD
	v_mov_b32_e32 v51, 0xffff8000
	s_and_saveexec_b64 s[14:15], s[16:17]
	s_cbranch_execz .LBB952_386
; %bb.383:                              ;   in Loop: Header=BB952_213 Depth=1
	v_and_b32_e32 v40, 0x7f, v38
	v_cmp_ne_u32_e32 vcc, s21, v40
	v_mov_b32_e32 v51, 0x7f80
	s_and_saveexec_b64 s[16:17], vcc
	s_cbranch_execz .LBB952_385
; %bb.384:                              ;   in Loop: Header=BB952_213 Depth=1
	v_and_b32_e32 v42, 7, v38
	v_ffbh_u32_e32 v51, v42
	v_min_u32_e32 v51, 32, v51
	v_subrev_u32_e32 v53, 28, v51
	v_lshlrev_b64 v[62:63], v53, v[38:39]
	v_lshrrev_b32_e32 v49, 3, v40
	v_sub_u32_e32 v51, 29, v51
	v_and_b32_e32 v53, 7, v62
	v_cmp_gt_u32_e32 vcc, 8, v40
	v_cndmask_b32_e32 v40, v49, v51, vcc
	v_cndmask_b32_e32 v42, v42, v53, vcc
	v_lshlrev_b32_e32 v49, 24, v38
	v_lshlrev_b32_e32 v42, 20, v42
	v_and_b32_e32 v49, 0x80000000, v49
	v_lshl_add_u32 v40, v40, 23, v48
	v_or3_b32 v40, v49, v40, v42
	v_lshrrev_b32_e32 v51, 16, v40
.LBB952_385:                            ;   in Loop: Header=BB952_213 Depth=1
	s_or_b64 exec, exec, s[16:17]
.LBB952_386:                            ;   in Loop: Header=BB952_213 Depth=1
	s_or_b64 exec, exec, s[14:15]
.LBB952_387:                            ;   in Loop: Header=BB952_213 Depth=1
	s_or_b64 exec, exec, s[12:13]
	v_lshrrev_b16_e32 v40, 8, v38
	v_cmp_ne_u16_e32 vcc, 0, v40
	v_mov_b32_e32 v61, 0
	v_mov_b32_e32 v53, 0
	s_and_saveexec_b64 s[12:13], vcc
	s_cbranch_execz .LBB952_393
; %bb.388:                              ;   in Loop: Header=BB952_213 Depth=1
	v_cmp_ne_u16_e32 vcc, s9, v40
	v_mov_b32_e32 v53, 0xffff8000
	s_and_saveexec_b64 s[14:15], vcc
	s_cbranch_execz .LBB952_392
; %bb.389:                              ;   in Loop: Header=BB952_213 Depth=1
	v_and_b32_e32 v42, 0x7f, v40
	v_cmp_ne_u32_e32 vcc, s21, v42
	v_mov_b32_e32 v53, 0x7f80
	s_and_saveexec_b64 s[16:17], vcc
	s_cbranch_execz .LBB952_391
; %bb.390:                              ;   in Loop: Header=BB952_213 Depth=1
	v_and_b32_e32 v49, 7, v40
	v_ffbh_u32_e32 v62, v49
	v_min_u32_e32 v64, 32, v62
	v_subrev_u32_e32 v62, 28, v64
	v_lshlrev_b64 v[62:63], v62, v[40:41]
	v_lshrrev_b32_e32 v53, 3, v42
	v_sub_u32_e32 v40, 29, v64
	v_and_b32_e32 v62, 7, v62
	v_cmp_gt_u32_e32 vcc, 8, v42
	v_cndmask_b32_e32 v40, v53, v40, vcc
	v_cndmask_b32_e32 v42, v49, v62, vcc
	v_lshlrev_b32_e32 v49, 16, v38
	v_lshlrev_b32_e32 v42, 20, v42
	v_and_b32_e32 v49, 0x80000000, v49
	v_lshl_add_u32 v40, v40, 23, v48
	v_or3_b32 v40, v49, v40, v42
	v_lshrrev_b32_e32 v53, 16, v40
.LBB952_391:                            ;   in Loop: Header=BB952_213 Depth=1
	s_or_b64 exec, exec, s[16:17]
.LBB952_392:                            ;   in Loop: Header=BB952_213 Depth=1
	s_or_b64 exec, exec, s[14:15]
.LBB952_393:                            ;   in Loop: Header=BB952_213 Depth=1
	s_or_b64 exec, exec, s[12:13]
	v_lshrrev_b32_e32 v40, 16, v38
	v_cmp_ne_u16_sdwa s[14:15], v40, v47 src0_sel:BYTE_0 src1_sel:DWORD
	s_and_saveexec_b64 s[12:13], s[14:15]
	s_cbranch_execz .LBB952_399
; %bb.394:                              ;   in Loop: Header=BB952_213 Depth=1
	v_cmp_ne_u16_sdwa s[16:17], v40, s9 src0_sel:BYTE_0 src1_sel:DWORD
	v_mov_b32_e32 v61, 0xffff8000
	s_and_saveexec_b64 s[14:15], s[16:17]
	s_cbranch_execz .LBB952_398
; %bb.395:                              ;   in Loop: Header=BB952_213 Depth=1
	v_bfe_u32 v42, v38, 16, 7
	v_cmp_ne_u32_e32 vcc, s21, v42
	v_mov_b32_e32 v61, 0x7f80
	s_and_saveexec_b64 s[16:17], vcc
	s_cbranch_execz .LBB952_397
; %bb.396:                              ;   in Loop: Header=BB952_213 Depth=1
	v_and_b32_e32 v49, 7, v40
	v_ffbh_u32_e32 v62, v49
	v_min_u32_e32 v64, 32, v62
	v_subrev_u32_e32 v62, 28, v64
	v_lshlrev_b64 v[62:63], v62, v[40:41]
	v_lshrrev_b32_e32 v61, 3, v42
	v_sub_u32_e32 v63, 29, v64
	v_and_b32_e32 v62, 7, v62
	v_cmp_gt_u32_e32 vcc, 8, v42
	v_cndmask_b32_e32 v42, v61, v63, vcc
	v_cndmask_b32_e32 v49, v49, v62, vcc
	v_lshlrev_b32_e32 v40, 24, v40
	v_lshlrev_b32_e32 v49, 20, v49
	v_and_b32_e32 v40, 0x80000000, v40
	v_lshl_add_u32 v42, v42, 23, v48
	v_or3_b32 v40, v40, v42, v49
	v_lshrrev_b32_e32 v61, 16, v40
.LBB952_397:                            ;   in Loop: Header=BB952_213 Depth=1
	s_or_b64 exec, exec, s[16:17]
.LBB952_398:                            ;   in Loop: Header=BB952_213 Depth=1
	s_or_b64 exec, exec, s[14:15]
.LBB952_399:                            ;   in Loop: Header=BB952_213 Depth=1
	s_or_b64 exec, exec, s[12:13]
	v_cmp_lt_u32_e32 vcc, s22, v38
	v_mov_b32_e32 v49, 0
	v_mov_b32_e32 v62, 0
	s_and_saveexec_b64 s[12:13], vcc
	s_cbranch_execz .LBB952_405
; %bb.400:                              ;   in Loop: Header=BB952_213 Depth=1
	v_lshrrev_b32_e32 v40, 24, v38
	v_cmp_ne_u32_e32 vcc, s9, v40
	v_mov_b32_e32 v62, 0xffff8000
	s_and_saveexec_b64 s[14:15], vcc
	s_cbranch_execz .LBB952_404
; %bb.401:                              ;   in Loop: Header=BB952_213 Depth=1
	v_bfe_u32 v38, v38, 24, 7
	v_cmp_ne_u32_e32 vcc, s21, v38
	v_mov_b32_e32 v62, 0x7f80
	s_and_saveexec_b64 s[16:17], vcc
	s_cbranch_execz .LBB952_403
; %bb.402:                              ;   in Loop: Header=BB952_213 Depth=1
	v_and_b32_e32 v42, 7, v40
	v_ffbh_u32_e32 v62, v42
	v_min_u32_e32 v65, 32, v62
	v_subrev_u32_e32 v62, 28, v65
	v_lshlrev_b64 v[62:63], v62, v[40:41]
	v_lshrrev_b32_e32 v64, 3, v38
	v_sub_u32_e32 v63, 29, v65
	v_and_b32_e32 v62, 7, v62
	v_cmp_gt_u32_e32 vcc, 8, v38
	v_cndmask_b32_e32 v38, v64, v63, vcc
	v_cndmask_b32_e32 v42, v42, v62, vcc
	v_lshlrev_b32_e32 v40, 24, v40
	v_lshlrev_b32_e32 v42, 20, v42
	v_and_b32_e32 v40, 0x80000000, v40
	v_lshl_add_u32 v38, v38, 23, v48
	v_or3_b32 v38, v40, v38, v42
	v_lshrrev_b32_e32 v62, 16, v38
.LBB952_403:                            ;   in Loop: Header=BB952_213 Depth=1
	s_or_b64 exec, exec, s[16:17]
.LBB952_404:                            ;   in Loop: Header=BB952_213 Depth=1
	s_or_b64 exec, exec, s[14:15]
.LBB952_405:                            ;   in Loop: Header=BB952_213 Depth=1
	s_or_b64 exec, exec, s[12:13]
	v_perm_b32 v64, v44, v46, s23
	buffer_load_dword v44, v60, s[0:3], 0 offen
	buffer_load_dword v42, v60, s[0:3], 0 offen offset:4
	buffer_load_dword v40, v60, s[0:3], 0 offen offset:8
	;; [unrolled: 1-line block ×3, first 2 shown]
	v_perm_b32 v65, v52, v50, s23
	v_perm_b32 v61, v62, v61, s23
	;; [unrolled: 1-line block ×3, first 2 shown]
	v_mfma_f32_16x16x16bf16_1k v[34:37], v[64:65], v[14:15], v[34:37]
	s_waitcnt vmcnt(3)
	v_cmp_ne_u16_sdwa s[14:15], v44, v47 src0_sel:BYTE_0 src1_sel:DWORD
	v_mfma_f32_16x16x16bf16_1k v[34:37], v[60:61], v[16:17], v[34:37]
	s_and_saveexec_b64 s[12:13], s[14:15]
	s_cbranch_execz .LBB952_411
; %bb.406:                              ;   in Loop: Header=BB952_213 Depth=1
	v_cmp_ne_u16_sdwa s[16:17], v44, s9 src0_sel:BYTE_0 src1_sel:DWORD
	v_mov_b32_e32 v49, 0xffff8000
	s_and_saveexec_b64 s[14:15], s[16:17]
	s_cbranch_execz .LBB952_410
; %bb.407:                              ;   in Loop: Header=BB952_213 Depth=1
	v_and_b32_e32 v46, 0x7f, v44
	v_cmp_ne_u32_e32 vcc, s21, v46
	v_mov_b32_e32 v49, 0x7f80
	s_and_saveexec_b64 s[16:17], vcc
	s_cbranch_execz .LBB952_409
; %bb.408:                              ;   in Loop: Header=BB952_213 Depth=1
	v_and_b32_e32 v49, 7, v44
	v_ffbh_u32_e32 v50, v49
	v_min_u32_e32 v53, 32, v50
	v_subrev_u32_e32 v50, 28, v53
	v_lshlrev_b64 v[50:51], v50, v[44:45]
	v_lshrrev_b32_e32 v52, 3, v46
	v_sub_u32_e32 v51, 29, v53
	v_and_b32_e32 v50, 7, v50
	v_cmp_gt_u32_e32 vcc, 8, v46
	v_cndmask_b32_e32 v46, v52, v51, vcc
	v_cndmask_b32_e32 v49, v49, v50, vcc
	v_lshlrev_b32_e32 v50, 24, v44
	v_lshlrev_b32_e32 v49, 20, v49
	v_and_b32_e32 v50, 0x80000000, v50
	v_lshl_add_u32 v46, v46, 23, v48
	v_or3_b32 v46, v50, v46, v49
	v_lshrrev_b32_e32 v49, 16, v46
.LBB952_409:                            ;   in Loop: Header=BB952_213 Depth=1
	s_or_b64 exec, exec, s[16:17]
.LBB952_410:                            ;   in Loop: Header=BB952_213 Depth=1
	s_or_b64 exec, exec, s[14:15]
.LBB952_411:                            ;   in Loop: Header=BB952_213 Depth=1
	s_or_b64 exec, exec, s[12:13]
	v_lshrrev_b16_e32 v46, 8, v44
	v_cmp_ne_u16_e32 vcc, 0, v46
	v_mov_b32_e32 v51, 0
	v_mov_b32_e32 v50, 0
	s_and_saveexec_b64 s[12:13], vcc
	s_cbranch_execz .LBB952_417
; %bb.412:                              ;   in Loop: Header=BB952_213 Depth=1
	v_cmp_ne_u16_e32 vcc, s9, v46
	v_mov_b32_e32 v50, 0xffff8000
	s_and_saveexec_b64 s[14:15], vcc
	s_cbranch_execz .LBB952_416
; %bb.413:                              ;   in Loop: Header=BB952_213 Depth=1
	v_and_b32_e32 v52, 0x7f, v46
	v_cmp_ne_u32_e32 vcc, s21, v52
	v_mov_b32_e32 v50, 0x7f80
	s_and_saveexec_b64 s[16:17], vcc
	s_cbranch_execz .LBB952_415
; %bb.414:                              ;   in Loop: Header=BB952_213 Depth=1
	v_and_b32_e32 v50, 7, v46
	v_ffbh_u32_e32 v60, v50
	v_min_u32_e32 v62, 32, v60
	v_subrev_u32_e32 v60, 28, v62
	v_lshlrev_b64 v[60:61], v60, v[46:47]
	v_lshrrev_b32_e32 v53, 3, v52
	v_sub_u32_e32 v46, 29, v62
	v_and_b32_e32 v60, 7, v60
	v_cmp_gt_u32_e32 vcc, 8, v52
	v_cndmask_b32_e32 v46, v53, v46, vcc
	v_cndmask_b32_e32 v50, v50, v60, vcc
	v_lshlrev_b32_e32 v52, 16, v44
	v_lshlrev_b32_e32 v50, 20, v50
	v_and_b32_e32 v52, 0x80000000, v52
	v_lshl_add_u32 v46, v46, 23, v48
	v_or3_b32 v46, v52, v46, v50
	v_lshrrev_b32_e32 v50, 16, v46
.LBB952_415:                            ;   in Loop: Header=BB952_213 Depth=1
	s_or_b64 exec, exec, s[16:17]
.LBB952_416:                            ;   in Loop: Header=BB952_213 Depth=1
	s_or_b64 exec, exec, s[14:15]
.LBB952_417:                            ;   in Loop: Header=BB952_213 Depth=1
	s_or_b64 exec, exec, s[12:13]
	v_lshrrev_b32_e32 v46, 16, v44
	v_cmp_ne_u16_sdwa s[14:15], v46, v47 src0_sel:BYTE_0 src1_sel:DWORD
	s_and_saveexec_b64 s[12:13], s[14:15]
	s_cbranch_execz .LBB952_423
; %bb.418:                              ;   in Loop: Header=BB952_213 Depth=1
	v_cmp_ne_u16_sdwa s[16:17], v46, s9 src0_sel:BYTE_0 src1_sel:DWORD
	v_mov_b32_e32 v51, 0xffff8000
	s_and_saveexec_b64 s[14:15], s[16:17]
	s_cbranch_execz .LBB952_422
; %bb.419:                              ;   in Loop: Header=BB952_213 Depth=1
	v_bfe_u32 v52, v44, 16, 7
	v_cmp_ne_u32_e32 vcc, s21, v52
	v_mov_b32_e32 v51, 0x7f80
	s_and_saveexec_b64 s[16:17], vcc
	s_cbranch_execz .LBB952_421
; %bb.420:                              ;   in Loop: Header=BB952_213 Depth=1
	v_and_b32_e32 v51, 7, v46
	v_ffbh_u32_e32 v60, v51
	v_min_u32_e32 v62, 32, v60
	v_subrev_u32_e32 v60, 28, v62
	v_lshlrev_b64 v[60:61], v60, v[46:47]
	v_lshrrev_b32_e32 v53, 3, v52
	v_sub_u32_e32 v61, 29, v62
	v_and_b32_e32 v60, 7, v60
	v_cmp_gt_u32_e32 vcc, 8, v52
	v_cndmask_b32_e32 v52, v53, v61, vcc
	v_cndmask_b32_e32 v51, v51, v60, vcc
	v_lshlrev_b32_e32 v46, 24, v46
	v_lshlrev_b32_e32 v51, 20, v51
	v_and_b32_e32 v46, 0x80000000, v46
	v_lshl_add_u32 v52, v52, 23, v48
	v_or3_b32 v46, v46, v52, v51
	v_lshrrev_b32_e32 v51, 16, v46
.LBB952_421:                            ;   in Loop: Header=BB952_213 Depth=1
	s_or_b64 exec, exec, s[16:17]
.LBB952_422:                            ;   in Loop: Header=BB952_213 Depth=1
	s_or_b64 exec, exec, s[14:15]
.LBB952_423:                            ;   in Loop: Header=BB952_213 Depth=1
	s_or_b64 exec, exec, s[12:13]
	v_cmp_lt_u32_e32 vcc, s22, v44
	v_mov_b32_e32 v52, 0
	v_mov_b32_e32 v53, 0
	s_and_saveexec_b64 s[12:13], vcc
	s_cbranch_execz .LBB952_429
; %bb.424:                              ;   in Loop: Header=BB952_213 Depth=1
	v_lshrrev_b32_e32 v46, 24, v44
	v_cmp_ne_u32_e32 vcc, s9, v46
	v_mov_b32_e32 v53, 0xffff8000
	s_and_saveexec_b64 s[14:15], vcc
	s_cbranch_execz .LBB952_428
; %bb.425:                              ;   in Loop: Header=BB952_213 Depth=1
	v_bfe_u32 v44, v44, 24, 7
	v_cmp_ne_u32_e32 vcc, s21, v44
	v_mov_b32_e32 v53, 0x7f80
	s_and_saveexec_b64 s[16:17], vcc
	s_cbranch_execz .LBB952_427
; %bb.426:                              ;   in Loop: Header=BB952_213 Depth=1
	v_and_b32_e32 v53, 7, v46
	v_ffbh_u32_e32 v60, v53
	v_min_u32_e32 v63, 32, v60
	v_subrev_u32_e32 v60, 28, v63
	v_lshlrev_b64 v[60:61], v60, v[46:47]
	v_lshrrev_b32_e32 v62, 3, v44
	v_sub_u32_e32 v61, 29, v63
	v_and_b32_e32 v60, 7, v60
	v_cmp_gt_u32_e32 vcc, 8, v44
	v_cndmask_b32_e32 v44, v62, v61, vcc
	v_cndmask_b32_e32 v53, v53, v60, vcc
	v_lshlrev_b32_e32 v46, 24, v46
	v_lshlrev_b32_e32 v53, 20, v53
	v_and_b32_e32 v46, 0x80000000, v46
	v_lshl_add_u32 v44, v44, 23, v48
	v_or3_b32 v44, v46, v44, v53
	v_lshrrev_b32_e32 v53, 16, v44
.LBB952_427:                            ;   in Loop: Header=BB952_213 Depth=1
	s_or_b64 exec, exec, s[16:17]
.LBB952_428:                            ;   in Loop: Header=BB952_213 Depth=1
	s_or_b64 exec, exec, s[14:15]
.LBB952_429:                            ;   in Loop: Header=BB952_213 Depth=1
	s_or_b64 exec, exec, s[12:13]
	s_waitcnt vmcnt(2)
	v_cmp_ne_u16_sdwa s[14:15], v42, v47 src0_sel:BYTE_0 src1_sel:DWORD
	s_and_saveexec_b64 s[12:13], s[14:15]
	s_cbranch_execz .LBB952_435
; %bb.430:                              ;   in Loop: Header=BB952_213 Depth=1
	v_cmp_ne_u16_sdwa s[16:17], v42, s9 src0_sel:BYTE_0 src1_sel:DWORD
	v_mov_b32_e32 v52, 0xffff8000
	s_and_saveexec_b64 s[14:15], s[16:17]
	s_cbranch_execz .LBB952_434
; %bb.431:                              ;   in Loop: Header=BB952_213 Depth=1
	v_and_b32_e32 v44, 0x7f, v42
	v_cmp_ne_u32_e32 vcc, s21, v44
	v_mov_b32_e32 v52, 0x7f80
	s_and_saveexec_b64 s[16:17], vcc
	s_cbranch_execz .LBB952_433
; %bb.432:                              ;   in Loop: Header=BB952_213 Depth=1
	v_and_b32_e32 v46, 7, v42
	v_ffbh_u32_e32 v60, v46
	v_min_u32_e32 v62, 32, v60
	v_subrev_u32_e32 v60, 28, v62
	v_lshlrev_b64 v[60:61], v60, v[42:43]
	v_lshrrev_b32_e32 v52, 3, v44
	v_sub_u32_e32 v61, 29, v62
	v_and_b32_e32 v60, 7, v60
	v_cmp_gt_u32_e32 vcc, 8, v44
	v_cndmask_b32_e32 v44, v52, v61, vcc
	v_cndmask_b32_e32 v46, v46, v60, vcc
	v_lshlrev_b32_e32 v52, 24, v42
	v_lshlrev_b32_e32 v46, 20, v46
	v_and_b32_e32 v52, 0x80000000, v52
	v_lshl_add_u32 v44, v44, 23, v48
	v_or3_b32 v44, v52, v44, v46
	v_lshrrev_b32_e32 v52, 16, v44
.LBB952_433:                            ;   in Loop: Header=BB952_213 Depth=1
	s_or_b64 exec, exec, s[16:17]
.LBB952_434:                            ;   in Loop: Header=BB952_213 Depth=1
	s_or_b64 exec, exec, s[14:15]
.LBB952_435:                            ;   in Loop: Header=BB952_213 Depth=1
	s_or_b64 exec, exec, s[12:13]
	v_lshrrev_b16_e32 v44, 8, v42
	v_cmp_ne_u16_e32 vcc, 0, v44
	v_mov_b32_e32 v61, 0
	v_mov_b32_e32 v60, 0
	s_and_saveexec_b64 s[12:13], vcc
	s_cbranch_execz .LBB952_441
; %bb.436:                              ;   in Loop: Header=BB952_213 Depth=1
	v_cmp_ne_u16_e32 vcc, s9, v44
	v_mov_b32_e32 v60, 0xffff8000
	s_and_saveexec_b64 s[14:15], vcc
	s_cbranch_execz .LBB952_440
; %bb.437:                              ;   in Loop: Header=BB952_213 Depth=1
	v_and_b32_e32 v46, 0x7f, v44
	v_cmp_ne_u32_e32 vcc, s21, v46
	v_mov_b32_e32 v60, 0x7f80
	s_and_saveexec_b64 s[16:17], vcc
	s_cbranch_execz .LBB952_439
; %bb.438:                              ;   in Loop: Header=BB952_213 Depth=1
	v_and_b32_e32 v60, 7, v44
	v_ffbh_u32_e32 v62, v60
	v_min_u32_e32 v65, 32, v62
	v_subrev_u32_e32 v62, 28, v65
	v_lshlrev_b64 v[62:63], v62, v[44:45]
	v_lshrrev_b32_e32 v64, 3, v46
	v_sub_u32_e32 v44, 29, v65
	v_and_b32_e32 v62, 7, v62
	v_cmp_gt_u32_e32 vcc, 8, v46
	v_cndmask_b32_e32 v44, v64, v44, vcc
	v_cndmask_b32_e32 v46, v60, v62, vcc
	v_lshlrev_b32_e32 v60, 16, v42
	v_lshlrev_b32_e32 v46, 20, v46
	v_and_b32_e32 v60, 0x80000000, v60
	v_lshl_add_u32 v44, v44, 23, v48
	v_or3_b32 v44, v60, v44, v46
	v_lshrrev_b32_e32 v60, 16, v44
.LBB952_439:                            ;   in Loop: Header=BB952_213 Depth=1
	s_or_b64 exec, exec, s[16:17]
.LBB952_440:                            ;   in Loop: Header=BB952_213 Depth=1
	s_or_b64 exec, exec, s[14:15]
.LBB952_441:                            ;   in Loop: Header=BB952_213 Depth=1
	s_or_b64 exec, exec, s[12:13]
	v_lshrrev_b32_e32 v44, 16, v42
	v_cmp_ne_u16_sdwa s[14:15], v44, v47 src0_sel:BYTE_0 src1_sel:DWORD
	s_and_saveexec_b64 s[12:13], s[14:15]
	s_cbranch_execz .LBB952_447
; %bb.442:                              ;   in Loop: Header=BB952_213 Depth=1
	v_cmp_ne_u16_sdwa s[16:17], v44, s9 src0_sel:BYTE_0 src1_sel:DWORD
	v_mov_b32_e32 v61, 0xffff8000
	s_and_saveexec_b64 s[14:15], s[16:17]
	s_cbranch_execz .LBB952_446
; %bb.443:                              ;   in Loop: Header=BB952_213 Depth=1
	v_bfe_u32 v46, v42, 16, 7
	v_cmp_ne_u32_e32 vcc, s21, v46
	v_mov_b32_e32 v61, 0x7f80
	s_and_saveexec_b64 s[16:17], vcc
	s_cbranch_execz .LBB952_445
; %bb.444:                              ;   in Loop: Header=BB952_213 Depth=1
	v_and_b32_e32 v61, 7, v44
	v_ffbh_u32_e32 v62, v61
	v_min_u32_e32 v65, 32, v62
	v_subrev_u32_e32 v62, 28, v65
	v_lshlrev_b64 v[62:63], v62, v[44:45]
	v_lshrrev_b32_e32 v64, 3, v46
	v_sub_u32_e32 v63, 29, v65
	v_and_b32_e32 v62, 7, v62
	v_cmp_gt_u32_e32 vcc, 8, v46
	v_cndmask_b32_e32 v46, v64, v63, vcc
	v_cndmask_b32_e32 v61, v61, v62, vcc
	v_lshlrev_b32_e32 v44, 24, v44
	v_lshlrev_b32_e32 v61, 20, v61
	v_and_b32_e32 v44, 0x80000000, v44
	v_lshl_add_u32 v46, v46, 23, v48
	v_or3_b32 v44, v44, v46, v61
	v_lshrrev_b32_e32 v61, 16, v44
.LBB952_445:                            ;   in Loop: Header=BB952_213 Depth=1
	s_or_b64 exec, exec, s[16:17]
.LBB952_446:                            ;   in Loop: Header=BB952_213 Depth=1
	s_or_b64 exec, exec, s[14:15]
.LBB952_447:                            ;   in Loop: Header=BB952_213 Depth=1
	s_or_b64 exec, exec, s[12:13]
	v_cmp_lt_u32_e32 vcc, s22, v42
	v_mov_b32_e32 v46, 0
	v_mov_b32_e32 v62, 0
	s_and_saveexec_b64 s[12:13], vcc
	s_cbranch_execz .LBB952_453
; %bb.448:                              ;   in Loop: Header=BB952_213 Depth=1
	v_lshrrev_b32_e32 v44, 24, v42
	v_cmp_ne_u32_e32 vcc, s9, v44
	v_mov_b32_e32 v62, 0xffff8000
	s_and_saveexec_b64 s[14:15], vcc
	s_cbranch_execz .LBB952_452
; %bb.449:                              ;   in Loop: Header=BB952_213 Depth=1
	v_bfe_u32 v42, v42, 24, 7
	v_cmp_ne_u32_e32 vcc, s21, v42
	v_mov_b32_e32 v62, 0x7f80
	s_and_saveexec_b64 s[16:17], vcc
	s_cbranch_execz .LBB952_451
; %bb.450:                              ;   in Loop: Header=BB952_213 Depth=1
	v_and_b32_e32 v64, 7, v44
	v_ffbh_u32_e32 v62, v64
	v_min_u32_e32 v66, 32, v62
	v_subrev_u32_e32 v62, 28, v66
	v_lshlrev_b64 v[62:63], v62, v[44:45]
	v_lshrrev_b32_e32 v65, 3, v42
	v_sub_u32_e32 v63, 29, v66
	v_and_b32_e32 v62, 7, v62
	v_cmp_gt_u32_e32 vcc, 8, v42
	v_cndmask_b32_e32 v42, v65, v63, vcc
	v_cndmask_b32_e32 v62, v64, v62, vcc
	v_lshlrev_b32_e32 v44, 24, v44
	v_lshlrev_b32_e32 v62, 20, v62
	v_and_b32_e32 v44, 0x80000000, v44
	v_lshl_add_u32 v42, v42, 23, v48
	v_or3_b32 v42, v44, v42, v62
	v_lshrrev_b32_e32 v62, 16, v42
.LBB952_451:                            ;   in Loop: Header=BB952_213 Depth=1
	s_or_b64 exec, exec, s[16:17]
.LBB952_452:                            ;   in Loop: Header=BB952_213 Depth=1
	s_or_b64 exec, exec, s[14:15]
.LBB952_453:                            ;   in Loop: Header=BB952_213 Depth=1
	s_or_b64 exec, exec, s[12:13]
	v_perm_b32 v51, v53, v51, s23
	v_perm_b32 v50, v50, v49, s23
	s_waitcnt vmcnt(1)
	v_cmp_ne_u16_sdwa s[14:15], v40, v47 src0_sel:BYTE_0 src1_sel:DWORD
	v_mfma_f32_16x16x16bf16_1k v[34:37], v[50:51], v[18:19], v[34:37]
	v_perm_b32 v51, v62, v61, s23
	v_perm_b32 v50, v60, v52, s23
	s_nop 1
	v_mfma_f32_16x16x16bf16_1k v[34:37], v[50:51], v[20:21], v[34:37]
	s_and_saveexec_b64 s[12:13], s[14:15]
	s_cbranch_execz .LBB952_459
; %bb.454:                              ;   in Loop: Header=BB952_213 Depth=1
	v_cmp_ne_u16_sdwa s[16:17], v40, s9 src0_sel:BYTE_0 src1_sel:DWORD
	v_mov_b32_e32 v46, 0xffff8000
	s_and_saveexec_b64 s[14:15], s[16:17]
	s_cbranch_execz .LBB952_458
; %bb.455:                              ;   in Loop: Header=BB952_213 Depth=1
	v_and_b32_e32 v42, 0x7f, v40
	v_cmp_ne_u32_e32 vcc, s21, v42
	v_mov_b32_e32 v46, 0x7f80
	s_and_saveexec_b64 s[16:17], vcc
	s_cbranch_execz .LBB952_457
; %bb.456:                              ;   in Loop: Header=BB952_213 Depth=1
	v_and_b32_e32 v44, 7, v40
	v_ffbh_u32_e32 v49, v44
	v_min_u32_e32 v49, 32, v49
	v_subrev_u32_e32 v50, 28, v49
	v_lshlrev_b64 v[50:51], v50, v[40:41]
	v_lshrrev_b32_e32 v46, 3, v42
	v_sub_u32_e32 v49, 29, v49
	v_and_b32_e32 v50, 7, v50
	v_cmp_gt_u32_e32 vcc, 8, v42
	v_cndmask_b32_e32 v42, v46, v49, vcc
	v_cndmask_b32_e32 v44, v44, v50, vcc
	v_lshlrev_b32_e32 v46, 24, v40
	v_lshlrev_b32_e32 v44, 20, v44
	v_and_b32_e32 v46, 0x80000000, v46
	v_lshl_add_u32 v42, v42, 23, v48
	v_or3_b32 v42, v46, v42, v44
	v_lshrrev_b32_e32 v46, 16, v42
.LBB952_457:                            ;   in Loop: Header=BB952_213 Depth=1
	s_or_b64 exec, exec, s[16:17]
.LBB952_458:                            ;   in Loop: Header=BB952_213 Depth=1
	s_or_b64 exec, exec, s[14:15]
.LBB952_459:                            ;   in Loop: Header=BB952_213 Depth=1
	s_or_b64 exec, exec, s[12:13]
	v_lshrrev_b16_e32 v42, 8, v40
	v_cmp_ne_u16_e32 vcc, 0, v42
	v_mov_b32_e32 v50, 0
	v_mov_b32_e32 v44, 0
	s_and_saveexec_b64 s[12:13], vcc
	s_cbranch_execz .LBB952_465
; %bb.460:                              ;   in Loop: Header=BB952_213 Depth=1
	v_cmp_ne_u16_e32 vcc, s9, v42
	v_mov_b32_e32 v44, 0xffff8000
	s_and_saveexec_b64 s[14:15], vcc
	s_cbranch_execz .LBB952_464
; %bb.461:                              ;   in Loop: Header=BB952_213 Depth=1
	v_and_b32_e32 v49, 0x7f, v42
	v_cmp_ne_u32_e32 vcc, s21, v49
	v_mov_b32_e32 v44, 0x7f80
	s_and_saveexec_b64 s[16:17], vcc
	s_cbranch_execz .LBB952_463
; %bb.462:                              ;   in Loop: Header=BB952_213 Depth=1
	v_and_b32_e32 v44, 7, v42
	v_ffbh_u32_e32 v52, v44
	v_min_u32_e32 v60, 32, v52
	v_subrev_u32_e32 v52, 28, v60
	v_lshlrev_b64 v[52:53], v52, v[42:43]
	v_lshrrev_b32_e32 v51, 3, v49
	v_sub_u32_e32 v42, 29, v60
	v_and_b32_e32 v52, 7, v52
	v_cmp_gt_u32_e32 vcc, 8, v49
	v_cndmask_b32_e32 v42, v51, v42, vcc
	v_cndmask_b32_e32 v44, v44, v52, vcc
	v_lshlrev_b32_e32 v49, 16, v40
	v_lshlrev_b32_e32 v44, 20, v44
	v_and_b32_e32 v49, 0x80000000, v49
	v_lshl_add_u32 v42, v42, 23, v48
	v_or3_b32 v42, v49, v42, v44
	v_lshrrev_b32_e32 v44, 16, v42
.LBB952_463:                            ;   in Loop: Header=BB952_213 Depth=1
	s_or_b64 exec, exec, s[16:17]
.LBB952_464:                            ;   in Loop: Header=BB952_213 Depth=1
	s_or_b64 exec, exec, s[14:15]
.LBB952_465:                            ;   in Loop: Header=BB952_213 Depth=1
	s_or_b64 exec, exec, s[12:13]
	v_lshrrev_b32_e32 v42, 16, v40
	v_cmp_ne_u16_sdwa s[14:15], v42, v47 src0_sel:BYTE_0 src1_sel:DWORD
	s_and_saveexec_b64 s[12:13], s[14:15]
	s_cbranch_execz .LBB952_471
; %bb.466:                              ;   in Loop: Header=BB952_213 Depth=1
	v_cmp_ne_u16_sdwa s[16:17], v42, s9 src0_sel:BYTE_0 src1_sel:DWORD
	v_mov_b32_e32 v50, 0xffff8000
	s_and_saveexec_b64 s[14:15], s[16:17]
	s_cbranch_execz .LBB952_470
; %bb.467:                              ;   in Loop: Header=BB952_213 Depth=1
	v_bfe_u32 v49, v40, 16, 7
	v_cmp_ne_u32_e32 vcc, s21, v49
	v_mov_b32_e32 v50, 0x7f80
	s_and_saveexec_b64 s[16:17], vcc
	s_cbranch_execz .LBB952_469
; %bb.468:                              ;   in Loop: Header=BB952_213 Depth=1
	v_and_b32_e32 v52, 7, v42
	v_ffbh_u32_e32 v50, v52
	v_min_u32_e32 v60, 32, v50
	v_subrev_u32_e32 v50, 28, v60
	v_lshlrev_b64 v[50:51], v50, v[42:43]
	v_lshrrev_b32_e32 v53, 3, v49
	v_sub_u32_e32 v51, 29, v60
	v_and_b32_e32 v50, 7, v50
	v_cmp_gt_u32_e32 vcc, 8, v49
	v_cndmask_b32_e32 v49, v53, v51, vcc
	v_cndmask_b32_e32 v50, v52, v50, vcc
	v_lshlrev_b32_e32 v42, 24, v42
	v_lshlrev_b32_e32 v50, 20, v50
	v_and_b32_e32 v42, 0x80000000, v42
	v_lshl_add_u32 v49, v49, 23, v48
	v_or3_b32 v42, v42, v49, v50
	v_lshrrev_b32_e32 v50, 16, v42
.LBB952_469:                            ;   in Loop: Header=BB952_213 Depth=1
	s_or_b64 exec, exec, s[16:17]
.LBB952_470:                            ;   in Loop: Header=BB952_213 Depth=1
	s_or_b64 exec, exec, s[14:15]
.LBB952_471:                            ;   in Loop: Header=BB952_213 Depth=1
	s_or_b64 exec, exec, s[12:13]
	v_cmp_lt_u32_e32 vcc, s22, v40
	v_mov_b32_e32 v51, 0
	v_mov_b32_e32 v52, 0
	s_and_saveexec_b64 s[12:13], vcc
	s_cbranch_execz .LBB952_477
; %bb.472:                              ;   in Loop: Header=BB952_213 Depth=1
	v_lshrrev_b32_e32 v42, 24, v40
	v_cmp_ne_u32_e32 vcc, s9, v42
	v_mov_b32_e32 v52, 0xffff8000
	s_and_saveexec_b64 s[14:15], vcc
	s_cbranch_execz .LBB952_476
; %bb.473:                              ;   in Loop: Header=BB952_213 Depth=1
	v_bfe_u32 v40, v40, 24, 7
	v_cmp_ne_u32_e32 vcc, s21, v40
	v_mov_b32_e32 v52, 0x7f80
	s_and_saveexec_b64 s[16:17], vcc
	s_cbranch_execz .LBB952_475
; %bb.474:                              ;   in Loop: Header=BB952_213 Depth=1
	v_and_b32_e32 v49, 7, v42
	v_ffbh_u32_e32 v52, v49
	v_min_u32_e32 v61, 32, v52
	v_subrev_u32_e32 v52, 28, v61
	v_lshlrev_b64 v[52:53], v52, v[42:43]
	v_lshrrev_b32_e32 v60, 3, v40
	v_sub_u32_e32 v53, 29, v61
	v_and_b32_e32 v52, 7, v52
	v_cmp_gt_u32_e32 vcc, 8, v40
	v_cndmask_b32_e32 v40, v60, v53, vcc
	v_cndmask_b32_e32 v49, v49, v52, vcc
	v_lshlrev_b32_e32 v42, 24, v42
	v_lshlrev_b32_e32 v49, 20, v49
	v_and_b32_e32 v42, 0x80000000, v42
	v_lshl_add_u32 v40, v40, 23, v48
	v_or3_b32 v40, v42, v40, v49
	v_lshrrev_b32_e32 v52, 16, v40
.LBB952_475:                            ;   in Loop: Header=BB952_213 Depth=1
	s_or_b64 exec, exec, s[16:17]
.LBB952_476:                            ;   in Loop: Header=BB952_213 Depth=1
	s_or_b64 exec, exec, s[14:15]
.LBB952_477:                            ;   in Loop: Header=BB952_213 Depth=1
	s_or_b64 exec, exec, s[12:13]
	s_waitcnt vmcnt(0)
	v_cmp_ne_u16_sdwa s[14:15], v38, v47 src0_sel:BYTE_0 src1_sel:DWORD
	s_and_saveexec_b64 s[12:13], s[14:15]
	s_cbranch_execz .LBB952_483
; %bb.478:                              ;   in Loop: Header=BB952_213 Depth=1
	v_cmp_ne_u16_sdwa s[16:17], v38, s9 src0_sel:BYTE_0 src1_sel:DWORD
	v_mov_b32_e32 v51, 0xffff8000
	s_and_saveexec_b64 s[14:15], s[16:17]
	s_cbranch_execz .LBB952_482
; %bb.479:                              ;   in Loop: Header=BB952_213 Depth=1
	v_and_b32_e32 v40, 0x7f, v38
	v_cmp_ne_u32_e32 vcc, s21, v40
	v_mov_b32_e32 v51, 0x7f80
	s_and_saveexec_b64 s[16:17], vcc
	s_cbranch_execz .LBB952_481
; %bb.480:                              ;   in Loop: Header=BB952_213 Depth=1
	v_and_b32_e32 v42, 7, v38
	v_ffbh_u32_e32 v51, v42
	v_min_u32_e32 v51, 32, v51
	v_subrev_u32_e32 v53, 28, v51
	v_lshlrev_b64 v[60:61], v53, v[38:39]
	v_lshrrev_b32_e32 v49, 3, v40
	v_sub_u32_e32 v51, 29, v51
	v_and_b32_e32 v53, 7, v60
	v_cmp_gt_u32_e32 vcc, 8, v40
	v_cndmask_b32_e32 v40, v49, v51, vcc
	v_cndmask_b32_e32 v42, v42, v53, vcc
	v_lshlrev_b32_e32 v49, 24, v38
	v_lshlrev_b32_e32 v42, 20, v42
	v_and_b32_e32 v49, 0x80000000, v49
	v_lshl_add_u32 v40, v40, 23, v48
	v_or3_b32 v40, v49, v40, v42
	v_lshrrev_b32_e32 v51, 16, v40
.LBB952_481:                            ;   in Loop: Header=BB952_213 Depth=1
	s_or_b64 exec, exec, s[16:17]
.LBB952_482:                            ;   in Loop: Header=BB952_213 Depth=1
	s_or_b64 exec, exec, s[14:15]
.LBB952_483:                            ;   in Loop: Header=BB952_213 Depth=1
	s_or_b64 exec, exec, s[12:13]
	v_lshrrev_b16_e32 v40, 8, v38
	v_cmp_ne_u16_e32 vcc, 0, v40
	v_mov_b32_e32 v60, 0
	v_mov_b32_e32 v53, 0
	s_and_saveexec_b64 s[12:13], vcc
	s_cbranch_execz .LBB952_489
; %bb.484:                              ;   in Loop: Header=BB952_213 Depth=1
	v_cmp_ne_u16_e32 vcc, s9, v40
	v_mov_b32_e32 v53, 0xffff8000
	s_and_saveexec_b64 s[14:15], vcc
	s_cbranch_execz .LBB952_488
; %bb.485:                              ;   in Loop: Header=BB952_213 Depth=1
	v_and_b32_e32 v42, 0x7f, v40
	v_cmp_ne_u32_e32 vcc, s21, v42
	v_mov_b32_e32 v53, 0x7f80
	s_and_saveexec_b64 s[16:17], vcc
	s_cbranch_execz .LBB952_487
; %bb.486:                              ;   in Loop: Header=BB952_213 Depth=1
	v_and_b32_e32 v49, 7, v40
	v_ffbh_u32_e32 v61, v49
	v_min_u32_e32 v61, 32, v61
	v_subrev_u32_e32 v62, 28, v61
	v_lshlrev_b64 v[62:63], v62, v[40:41]
	v_lshrrev_b32_e32 v53, 3, v42
	v_sub_u32_e32 v40, 29, v61
	v_and_b32_e32 v61, 7, v62
	v_cmp_gt_u32_e32 vcc, 8, v42
	v_cndmask_b32_e32 v40, v53, v40, vcc
	v_cndmask_b32_e32 v42, v49, v61, vcc
	v_lshlrev_b32_e32 v49, 16, v38
	v_lshlrev_b32_e32 v42, 20, v42
	v_and_b32_e32 v49, 0x80000000, v49
	v_lshl_add_u32 v40, v40, 23, v48
	v_or3_b32 v40, v49, v40, v42
	v_lshrrev_b32_e32 v53, 16, v40
.LBB952_487:                            ;   in Loop: Header=BB952_213 Depth=1
	s_or_b64 exec, exec, s[16:17]
.LBB952_488:                            ;   in Loop: Header=BB952_213 Depth=1
	s_or_b64 exec, exec, s[14:15]
.LBB952_489:                            ;   in Loop: Header=BB952_213 Depth=1
	s_or_b64 exec, exec, s[12:13]
	v_lshrrev_b32_e32 v40, 16, v38
	v_cmp_ne_u16_sdwa s[14:15], v40, v47 src0_sel:BYTE_0 src1_sel:DWORD
	s_and_saveexec_b64 s[12:13], s[14:15]
	s_cbranch_execz .LBB952_495
; %bb.490:                              ;   in Loop: Header=BB952_213 Depth=1
	v_cmp_ne_u16_sdwa s[16:17], v40, s9 src0_sel:BYTE_0 src1_sel:DWORD
	v_mov_b32_e32 v60, 0xffff8000
	s_and_saveexec_b64 s[14:15], s[16:17]
	s_cbranch_execz .LBB952_494
; %bb.491:                              ;   in Loop: Header=BB952_213 Depth=1
	v_bfe_u32 v42, v38, 16, 7
	v_cmp_ne_u32_e32 vcc, s21, v42
	v_mov_b32_e32 v60, 0x7f80
	s_and_saveexec_b64 s[16:17], vcc
	s_cbranch_execz .LBB952_493
; %bb.492:                              ;   in Loop: Header=BB952_213 Depth=1
	v_and_b32_e32 v49, 7, v40
	v_ffbh_u32_e32 v60, v49
	v_min_u32_e32 v63, 32, v60
	v_subrev_u32_e32 v60, 28, v63
	v_lshlrev_b64 v[60:61], v60, v[40:41]
	v_lshrrev_b32_e32 v62, 3, v42
	v_sub_u32_e32 v61, 29, v63
	v_and_b32_e32 v60, 7, v60
	v_cmp_gt_u32_e32 vcc, 8, v42
	v_cndmask_b32_e32 v42, v62, v61, vcc
	v_cndmask_b32_e32 v49, v49, v60, vcc
	v_lshlrev_b32_e32 v40, 24, v40
	v_lshlrev_b32_e32 v49, 20, v49
	v_and_b32_e32 v40, 0x80000000, v40
	v_lshl_add_u32 v42, v42, 23, v48
	v_or3_b32 v40, v40, v42, v49
	v_lshrrev_b32_e32 v60, 16, v40
.LBB952_493:                            ;   in Loop: Header=BB952_213 Depth=1
	s_or_b64 exec, exec, s[16:17]
.LBB952_494:                            ;   in Loop: Header=BB952_213 Depth=1
	s_or_b64 exec, exec, s[14:15]
.LBB952_495:                            ;   in Loop: Header=BB952_213 Depth=1
	s_or_b64 exec, exec, s[12:13]
	v_cmp_lt_u32_e32 vcc, s22, v38
	v_mov_b32_e32 v49, 0
	v_mov_b32_e32 v61, 0
	s_and_saveexec_b64 s[12:13], vcc
	s_cbranch_execz .LBB952_501
; %bb.496:                              ;   in Loop: Header=BB952_213 Depth=1
	v_lshrrev_b32_e32 v40, 24, v38
	v_cmp_ne_u32_e32 vcc, s9, v40
	v_mov_b32_e32 v61, 0xffff8000
	s_and_saveexec_b64 s[14:15], vcc
	s_cbranch_execz .LBB952_500
; %bb.497:                              ;   in Loop: Header=BB952_213 Depth=1
	v_bfe_u32 v38, v38, 24, 7
	v_cmp_ne_u32_e32 vcc, s21, v38
	v_mov_b32_e32 v61, 0x7f80
	s_and_saveexec_b64 s[16:17], vcc
	s_cbranch_execz .LBB952_499
; %bb.498:                              ;   in Loop: Header=BB952_213 Depth=1
	v_and_b32_e32 v42, 7, v40
	v_ffbh_u32_e32 v62, v42
	v_min_u32_e32 v64, 32, v62
	v_subrev_u32_e32 v62, 28, v64
	v_lshlrev_b64 v[62:63], v62, v[40:41]
	v_lshrrev_b32_e32 v61, 3, v38
	v_sub_u32_e32 v63, 29, v64
	v_and_b32_e32 v62, 7, v62
	v_cmp_gt_u32_e32 vcc, 8, v38
	v_cndmask_b32_e32 v38, v61, v63, vcc
	v_cndmask_b32_e32 v42, v42, v62, vcc
	v_lshlrev_b32_e32 v40, 24, v40
	v_lshlrev_b32_e32 v42, 20, v42
	v_and_b32_e32 v40, 0x80000000, v40
	v_lshl_add_u32 v38, v38, 23, v48
	v_or3_b32 v38, v40, v38, v42
	v_lshrrev_b32_e32 v61, 16, v38
.LBB952_499:                            ;   in Loop: Header=BB952_213 Depth=1
	s_or_b64 exec, exec, s[16:17]
.LBB952_500:                            ;   in Loop: Header=BB952_213 Depth=1
	s_or_b64 exec, exec, s[14:15]
.LBB952_501:                            ;   in Loop: Header=BB952_213 Depth=1
	s_or_b64 exec, exec, s[12:13]
	v_perm_b32 v62, v44, v46, s23
	buffer_load_dword v44, v41, s[0:3], 0 offen
	buffer_load_dword v42, v41, s[0:3], 0 offen offset:4
	buffer_load_dword v40, v41, s[0:3], 0 offen offset:8
	buffer_load_dword v38, v41, s[0:3], 0 offen offset:12
	v_perm_b32 v63, v52, v50, s23
	v_perm_b32 v61, v61, v60, s23
	;; [unrolled: 1-line block ×3, first 2 shown]
	v_mfma_f32_16x16x16bf16_1k v[34:37], v[62:63], v[22:23], v[34:37]
	s_waitcnt vmcnt(3)
	v_cmp_ne_u16_sdwa s[14:15], v44, v47 src0_sel:BYTE_0 src1_sel:DWORD
	v_mfma_f32_16x16x16bf16_1k v[34:37], v[60:61], v[24:25], v[34:37]
	s_and_saveexec_b64 s[12:13], s[14:15]
	s_cbranch_execz .LBB952_507
; %bb.502:                              ;   in Loop: Header=BB952_213 Depth=1
	v_cmp_ne_u16_sdwa s[16:17], v44, s9 src0_sel:BYTE_0 src1_sel:DWORD
	v_mov_b32_e32 v49, 0xffff8000
	s_and_saveexec_b64 s[14:15], s[16:17]
	s_cbranch_execz .LBB952_506
; %bb.503:                              ;   in Loop: Header=BB952_213 Depth=1
	v_and_b32_e32 v41, 0x7f, v44
	v_cmp_ne_u32_e32 vcc, s21, v41
	v_mov_b32_e32 v49, 0x7f80
	s_and_saveexec_b64 s[16:17], vcc
	s_cbranch_execz .LBB952_505
; %bb.504:                              ;   in Loop: Header=BB952_213 Depth=1
	v_and_b32_e32 v46, 7, v44
	v_ffbh_u32_e32 v50, v46
	v_min_u32_e32 v52, 32, v50
	v_subrev_u32_e32 v50, 28, v52
	v_lshlrev_b64 v[50:51], v50, v[44:45]
	v_lshrrev_b32_e32 v49, 3, v41
	v_sub_u32_e32 v51, 29, v52
	v_and_b32_e32 v50, 7, v50
	v_cmp_gt_u32_e32 vcc, 8, v41
	v_cndmask_b32_e32 v41, v49, v51, vcc
	v_cndmask_b32_e32 v46, v46, v50, vcc
	v_lshlrev_b32_e32 v49, 24, v44
	v_lshlrev_b32_e32 v46, 20, v46
	v_and_b32_e32 v49, 0x80000000, v49
	v_lshl_add_u32 v41, v41, 23, v48
	v_or3_b32 v41, v49, v41, v46
	v_lshrrev_b32_e32 v49, 16, v41
.LBB952_505:                            ;   in Loop: Header=BB952_213 Depth=1
	s_or_b64 exec, exec, s[16:17]
.LBB952_506:                            ;   in Loop: Header=BB952_213 Depth=1
	s_or_b64 exec, exec, s[14:15]
.LBB952_507:                            ;   in Loop: Header=BB952_213 Depth=1
	s_or_b64 exec, exec, s[12:13]
	v_lshrrev_b16_e32 v46, 8, v44
	v_cmp_ne_u16_e32 vcc, 0, v46
	v_mov_b32_e32 v51, 0
	v_mov_b32_e32 v50, 0
	s_and_saveexec_b64 s[12:13], vcc
	s_cbranch_execz .LBB952_513
; %bb.508:                              ;   in Loop: Header=BB952_213 Depth=1
	v_cmp_ne_u16_e32 vcc, s9, v46
	v_mov_b32_e32 v50, 0xffff8000
	s_and_saveexec_b64 s[14:15], vcc
	s_cbranch_execz .LBB952_512
; %bb.509:                              ;   in Loop: Header=BB952_213 Depth=1
	v_and_b32_e32 v41, 0x7f, v46
	v_cmp_ne_u32_e32 vcc, s21, v41
	v_mov_b32_e32 v50, 0x7f80
	s_and_saveexec_b64 s[16:17], vcc
	s_cbranch_execz .LBB952_511
; %bb.510:                              ;   in Loop: Header=BB952_213 Depth=1
	v_and_b32_e32 v50, 7, v46
	v_ffbh_u32_e32 v52, v50
	v_min_u32_e32 v61, 32, v52
	v_subrev_u32_e32 v52, 28, v61
	v_lshlrev_b64 v[52:53], v52, v[46:47]
	v_lshrrev_b32_e32 v60, 3, v41
	v_sub_u32_e32 v46, 29, v61
	v_and_b32_e32 v52, 7, v52
	v_cmp_gt_u32_e32 vcc, 8, v41
	v_cndmask_b32_e32 v41, v60, v46, vcc
	v_cndmask_b32_e32 v46, v50, v52, vcc
	v_lshlrev_b32_e32 v50, 16, v44
	v_lshlrev_b32_e32 v46, 20, v46
	v_and_b32_e32 v50, 0x80000000, v50
	v_lshl_add_u32 v41, v41, 23, v48
	v_or3_b32 v41, v50, v41, v46
	v_lshrrev_b32_e32 v50, 16, v41
.LBB952_511:                            ;   in Loop: Header=BB952_213 Depth=1
	s_or_b64 exec, exec, s[16:17]
.LBB952_512:                            ;   in Loop: Header=BB952_213 Depth=1
	s_or_b64 exec, exec, s[14:15]
.LBB952_513:                            ;   in Loop: Header=BB952_213 Depth=1
	s_or_b64 exec, exec, s[12:13]
	v_lshrrev_b32_e32 v46, 16, v44
	v_cmp_ne_u16_sdwa s[14:15], v46, v47 src0_sel:BYTE_0 src1_sel:DWORD
	s_and_saveexec_b64 s[12:13], s[14:15]
	s_cbranch_execz .LBB952_519
; %bb.514:                              ;   in Loop: Header=BB952_213 Depth=1
	v_cmp_ne_u16_sdwa s[16:17], v46, s9 src0_sel:BYTE_0 src1_sel:DWORD
	v_mov_b32_e32 v51, 0xffff8000
	s_and_saveexec_b64 s[14:15], s[16:17]
	s_cbranch_execz .LBB952_518
; %bb.515:                              ;   in Loop: Header=BB952_213 Depth=1
	v_bfe_u32 v41, v44, 16, 7
	v_cmp_ne_u32_e32 vcc, s21, v41
	v_mov_b32_e32 v51, 0x7f80
	s_and_saveexec_b64 s[16:17], vcc
	s_cbranch_execz .LBB952_517
; %bb.516:                              ;   in Loop: Header=BB952_213 Depth=1
	v_and_b32_e32 v51, 7, v46
	v_ffbh_u32_e32 v52, v51
	v_min_u32_e32 v61, 32, v52
	v_subrev_u32_e32 v52, 28, v61
	v_lshlrev_b64 v[52:53], v52, v[46:47]
	v_lshrrev_b32_e32 v60, 3, v41
	v_sub_u32_e32 v53, 29, v61
	v_and_b32_e32 v52, 7, v52
	v_cmp_gt_u32_e32 vcc, 8, v41
	v_cndmask_b32_e32 v41, v60, v53, vcc
	v_cndmask_b32_e32 v51, v51, v52, vcc
	v_lshlrev_b32_e32 v46, 24, v46
	v_lshlrev_b32_e32 v51, 20, v51
	v_and_b32_e32 v46, 0x80000000, v46
	v_lshl_add_u32 v41, v41, 23, v48
	v_or3_b32 v41, v46, v41, v51
	v_lshrrev_b32_e32 v51, 16, v41
.LBB952_517:                            ;   in Loop: Header=BB952_213 Depth=1
	s_or_b64 exec, exec, s[16:17]
.LBB952_518:                            ;   in Loop: Header=BB952_213 Depth=1
	s_or_b64 exec, exec, s[14:15]
.LBB952_519:                            ;   in Loop: Header=BB952_213 Depth=1
	s_or_b64 exec, exec, s[12:13]
	v_cmp_lt_u32_e32 vcc, s22, v44
	v_mov_b32_e32 v52, 0
	v_mov_b32_e32 v53, 0
	s_and_saveexec_b64 s[12:13], vcc
	s_cbranch_execz .LBB952_525
; %bb.520:                              ;   in Loop: Header=BB952_213 Depth=1
	v_lshrrev_b32_e32 v46, 24, v44
	v_cmp_ne_u32_e32 vcc, s9, v46
	v_mov_b32_e32 v53, 0xffff8000
	s_and_saveexec_b64 s[14:15], vcc
	s_cbranch_execz .LBB952_524
; %bb.521:                              ;   in Loop: Header=BB952_213 Depth=1
	v_bfe_u32 v41, v44, 24, 7
	v_cmp_ne_u32_e32 vcc, s21, v41
	v_mov_b32_e32 v53, 0x7f80
	s_and_saveexec_b64 s[16:17], vcc
	s_cbranch_execz .LBB952_523
; %bb.522:                              ;   in Loop: Header=BB952_213 Depth=1
	v_and_b32_e32 v44, 7, v46
	v_ffbh_u32_e32 v60, v44
	v_min_u32_e32 v62, 32, v60
	v_subrev_u32_e32 v60, 28, v62
	v_lshlrev_b64 v[60:61], v60, v[46:47]
	v_lshrrev_b32_e32 v53, 3, v41
	v_sub_u32_e32 v61, 29, v62
	v_and_b32_e32 v60, 7, v60
	v_cmp_gt_u32_e32 vcc, 8, v41
	v_cndmask_b32_e32 v41, v53, v61, vcc
	v_cndmask_b32_e32 v44, v44, v60, vcc
	v_lshlrev_b32_e32 v46, 24, v46
	v_lshlrev_b32_e32 v44, 20, v44
	v_and_b32_e32 v46, 0x80000000, v46
	v_lshl_add_u32 v41, v41, 23, v48
	v_or3_b32 v41, v46, v41, v44
	v_lshrrev_b32_e32 v53, 16, v41
.LBB952_523:                            ;   in Loop: Header=BB952_213 Depth=1
	s_or_b64 exec, exec, s[16:17]
.LBB952_524:                            ;   in Loop: Header=BB952_213 Depth=1
	s_or_b64 exec, exec, s[14:15]
.LBB952_525:                            ;   in Loop: Header=BB952_213 Depth=1
	s_or_b64 exec, exec, s[12:13]
	s_waitcnt vmcnt(2)
	v_cmp_ne_u16_sdwa s[14:15], v42, v47 src0_sel:BYTE_0 src1_sel:DWORD
	s_and_saveexec_b64 s[12:13], s[14:15]
	s_cbranch_execz .LBB952_531
; %bb.526:                              ;   in Loop: Header=BB952_213 Depth=1
	v_cmp_ne_u16_sdwa s[16:17], v42, s9 src0_sel:BYTE_0 src1_sel:DWORD
	v_mov_b32_e32 v52, 0xffff8000
	s_and_saveexec_b64 s[14:15], s[16:17]
	s_cbranch_execz .LBB952_530
; %bb.527:                              ;   in Loop: Header=BB952_213 Depth=1
	v_and_b32_e32 v41, 0x7f, v42
	v_cmp_ne_u32_e32 vcc, s21, v41
	v_mov_b32_e32 v52, 0x7f80
	s_and_saveexec_b64 s[16:17], vcc
	s_cbranch_execz .LBB952_529
; %bb.528:                              ;   in Loop: Header=BB952_213 Depth=1
	v_and_b32_e32 v44, 7, v42
	v_ffbh_u32_e32 v52, v44
	v_min_u32_e32 v52, 32, v52
	v_subrev_u32_e32 v60, 28, v52
	v_lshlrev_b64 v[60:61], v60, v[42:43]
	v_lshrrev_b32_e32 v46, 3, v41
	v_sub_u32_e32 v52, 29, v52
	v_and_b32_e32 v60, 7, v60
	v_cmp_gt_u32_e32 vcc, 8, v41
	v_cndmask_b32_e32 v41, v46, v52, vcc
	v_cndmask_b32_e32 v44, v44, v60, vcc
	v_lshlrev_b32_e32 v46, 24, v42
	v_lshlrev_b32_e32 v44, 20, v44
	v_and_b32_e32 v46, 0x80000000, v46
	v_lshl_add_u32 v41, v41, 23, v48
	v_or3_b32 v41, v46, v41, v44
	v_lshrrev_b32_e32 v52, 16, v41
.LBB952_529:                            ;   in Loop: Header=BB952_213 Depth=1
	s_or_b64 exec, exec, s[16:17]
.LBB952_530:                            ;   in Loop: Header=BB952_213 Depth=1
	s_or_b64 exec, exec, s[14:15]
.LBB952_531:                            ;   in Loop: Header=BB952_213 Depth=1
	s_or_b64 exec, exec, s[12:13]
	v_lshrrev_b16_e32 v44, 8, v42
	v_cmp_ne_u16_e32 vcc, 0, v44
	v_mov_b32_e32 v60, 0
	v_mov_b32_e32 v46, 0
	s_and_saveexec_b64 s[12:13], vcc
	s_cbranch_execz .LBB952_537
; %bb.532:                              ;   in Loop: Header=BB952_213 Depth=1
	v_cmp_ne_u16_e32 vcc, s9, v44
	v_mov_b32_e32 v46, 0xffff8000
	s_and_saveexec_b64 s[14:15], vcc
	s_cbranch_execz .LBB952_536
; %bb.533:                              ;   in Loop: Header=BB952_213 Depth=1
	v_and_b32_e32 v41, 0x7f, v44
	v_cmp_ne_u32_e32 vcc, s21, v41
	v_mov_b32_e32 v46, 0x7f80
	s_and_saveexec_b64 s[16:17], vcc
	s_cbranch_execz .LBB952_535
; %bb.534:                              ;   in Loop: Header=BB952_213 Depth=1
	v_and_b32_e32 v46, 7, v44
	v_ffbh_u32_e32 v62, v46
	v_min_u32_e32 v64, 32, v62
	v_subrev_u32_e32 v62, 28, v64
	v_lshlrev_b64 v[62:63], v62, v[44:45]
	v_lshrrev_b32_e32 v61, 3, v41
	v_sub_u32_e32 v44, 29, v64
	v_and_b32_e32 v62, 7, v62
	v_cmp_gt_u32_e32 vcc, 8, v41
	v_cndmask_b32_e32 v41, v61, v44, vcc
	v_cndmask_b32_e32 v44, v46, v62, vcc
	v_lshlrev_b32_e32 v46, 16, v42
	v_lshlrev_b32_e32 v44, 20, v44
	v_and_b32_e32 v46, 0x80000000, v46
	v_lshl_add_u32 v41, v41, 23, v48
	v_or3_b32 v41, v46, v41, v44
	v_lshrrev_b32_e32 v46, 16, v41
.LBB952_535:                            ;   in Loop: Header=BB952_213 Depth=1
	s_or_b64 exec, exec, s[16:17]
.LBB952_536:                            ;   in Loop: Header=BB952_213 Depth=1
	s_or_b64 exec, exec, s[14:15]
.LBB952_537:                            ;   in Loop: Header=BB952_213 Depth=1
	s_or_b64 exec, exec, s[12:13]
	v_lshrrev_b32_e32 v44, 16, v42
	v_cmp_ne_u16_sdwa s[14:15], v44, v47 src0_sel:BYTE_0 src1_sel:DWORD
	s_and_saveexec_b64 s[12:13], s[14:15]
	s_cbranch_execz .LBB952_543
; %bb.538:                              ;   in Loop: Header=BB952_213 Depth=1
	v_cmp_ne_u16_sdwa s[16:17], v44, s9 src0_sel:BYTE_0 src1_sel:DWORD
	v_mov_b32_e32 v60, 0xffff8000
	s_and_saveexec_b64 s[14:15], s[16:17]
	s_cbranch_execz .LBB952_542
; %bb.539:                              ;   in Loop: Header=BB952_213 Depth=1
	v_bfe_u32 v41, v42, 16, 7
	v_cmp_ne_u32_e32 vcc, s21, v41
	v_mov_b32_e32 v60, 0x7f80
	s_and_saveexec_b64 s[16:17], vcc
	s_cbranch_execz .LBB952_541
; %bb.540:                              ;   in Loop: Header=BB952_213 Depth=1
	v_and_b32_e32 v62, 7, v44
	v_ffbh_u32_e32 v60, v62
	v_min_u32_e32 v64, 32, v60
	v_subrev_u32_e32 v60, 28, v64
	v_lshlrev_b64 v[60:61], v60, v[44:45]
	v_lshrrev_b32_e32 v63, 3, v41
	v_sub_u32_e32 v61, 29, v64
	v_and_b32_e32 v60, 7, v60
	v_cmp_gt_u32_e32 vcc, 8, v41
	v_cndmask_b32_e32 v41, v63, v61, vcc
	v_cndmask_b32_e32 v60, v62, v60, vcc
	v_lshlrev_b32_e32 v44, 24, v44
	v_lshlrev_b32_e32 v60, 20, v60
	v_and_b32_e32 v44, 0x80000000, v44
	v_lshl_add_u32 v41, v41, 23, v48
	v_or3_b32 v41, v44, v41, v60
	v_lshrrev_b32_e32 v60, 16, v41
.LBB952_541:                            ;   in Loop: Header=BB952_213 Depth=1
	s_or_b64 exec, exec, s[16:17]
.LBB952_542:                            ;   in Loop: Header=BB952_213 Depth=1
	s_or_b64 exec, exec, s[14:15]
.LBB952_543:                            ;   in Loop: Header=BB952_213 Depth=1
	s_or_b64 exec, exec, s[12:13]
	v_cmp_lt_u32_e32 vcc, s22, v42
	v_mov_b32_e32 v41, 0
	v_mov_b32_e32 v61, 0
	s_and_saveexec_b64 s[12:13], vcc
	s_cbranch_execz .LBB952_549
; %bb.544:                              ;   in Loop: Header=BB952_213 Depth=1
	v_lshrrev_b32_e32 v44, 24, v42
	v_cmp_ne_u32_e32 vcc, s9, v44
	v_mov_b32_e32 v61, 0xffff8000
	s_and_saveexec_b64 s[14:15], vcc
	s_cbranch_execz .LBB952_548
; %bb.545:                              ;   in Loop: Header=BB952_213 Depth=1
	v_bfe_u32 v42, v42, 24, 7
	v_cmp_ne_u32_e32 vcc, s21, v42
	v_mov_b32_e32 v61, 0x7f80
	s_and_saveexec_b64 s[16:17], vcc
	s_cbranch_execz .LBB952_547
; %bb.546:                              ;   in Loop: Header=BB952_213 Depth=1
	v_and_b32_e32 v61, 7, v44
	v_ffbh_u32_e32 v62, v61
	v_min_u32_e32 v65, 32, v62
	v_subrev_u32_e32 v62, 28, v65
	v_lshlrev_b64 v[62:63], v62, v[44:45]
	v_lshrrev_b32_e32 v64, 3, v42
	v_sub_u32_e32 v63, 29, v65
	v_and_b32_e32 v62, 7, v62
	v_cmp_gt_u32_e32 vcc, 8, v42
	v_cndmask_b32_e32 v42, v64, v63, vcc
	v_cndmask_b32_e32 v61, v61, v62, vcc
	v_lshlrev_b32_e32 v44, 24, v44
	v_lshlrev_b32_e32 v61, 20, v61
	v_and_b32_e32 v44, 0x80000000, v44
	v_lshl_add_u32 v42, v42, 23, v48
	v_or3_b32 v42, v44, v42, v61
	v_lshrrev_b32_e32 v61, 16, v42
.LBB952_547:                            ;   in Loop: Header=BB952_213 Depth=1
	s_or_b64 exec, exec, s[16:17]
.LBB952_548:                            ;   in Loop: Header=BB952_213 Depth=1
	s_or_b64 exec, exec, s[14:15]
.LBB952_549:                            ;   in Loop: Header=BB952_213 Depth=1
	s_or_b64 exec, exec, s[12:13]
	v_perm_b32 v51, v53, v51, s23
	v_perm_b32 v50, v50, v49, s23
	s_waitcnt vmcnt(1)
	v_cmp_ne_u16_sdwa s[14:15], v40, v47 src0_sel:BYTE_0 src1_sel:DWORD
	v_mfma_f32_16x16x16bf16_1k v[34:37], v[50:51], v[26:27], v[34:37]
	v_perm_b32 v51, v61, v60, s23
	v_perm_b32 v50, v46, v52, s23
	s_nop 1
	v_mfma_f32_16x16x16bf16_1k v[34:37], v[50:51], v[28:29], v[34:37]
	s_and_saveexec_b64 s[12:13], s[14:15]
	s_cbranch_execz .LBB952_555
; %bb.550:                              ;   in Loop: Header=BB952_213 Depth=1
	v_cmp_ne_u16_sdwa s[16:17], v40, s9 src0_sel:BYTE_0 src1_sel:DWORD
	v_mov_b32_e32 v41, 0xffff8000
	s_and_saveexec_b64 s[14:15], s[16:17]
	s_cbranch_execz .LBB952_554
; %bb.551:                              ;   in Loop: Header=BB952_213 Depth=1
	v_and_b32_e32 v42, 0x7f, v40
	v_cmp_ne_u32_e32 vcc, s21, v42
	v_mov_b32_e32 v41, 0x7f80
	s_and_saveexec_b64 s[16:17], vcc
	s_cbranch_execz .LBB952_553
; %bb.552:                              ;   in Loop: Header=BB952_213 Depth=1
	v_and_b32_e32 v41, 7, v40
	v_ffbh_u32_e32 v46, v41
	v_min_u32_e32 v46, 32, v46
	v_subrev_u32_e32 v49, 28, v46
	v_lshlrev_b64 v[50:51], v49, v[40:41]
	v_lshrrev_b32_e32 v44, 3, v42
	v_sub_u32_e32 v46, 29, v46
	v_and_b32_e32 v49, 7, v50
	v_cmp_gt_u32_e32 vcc, 8, v42
	v_cndmask_b32_e32 v42, v44, v46, vcc
	v_cndmask_b32_e32 v41, v41, v49, vcc
	v_lshlrev_b32_e32 v44, 24, v40
	v_lshlrev_b32_e32 v41, 20, v41
	v_and_b32_e32 v44, 0x80000000, v44
	v_lshl_add_u32 v42, v42, 23, v48
	v_or3_b32 v41, v44, v42, v41
	v_lshrrev_b32_e32 v41, 16, v41
.LBB952_553:                            ;   in Loop: Header=BB952_213 Depth=1
	s_or_b64 exec, exec, s[16:17]
.LBB952_554:                            ;   in Loop: Header=BB952_213 Depth=1
	s_or_b64 exec, exec, s[14:15]
.LBB952_555:                            ;   in Loop: Header=BB952_213 Depth=1
	s_or_b64 exec, exec, s[12:13]
	v_lshrrev_b16_e32 v42, 8, v40
	v_cmp_ne_u16_e32 vcc, 0, v42
	v_mov_b32_e32 v46, 0
	v_mov_b32_e32 v44, 0
	s_and_saveexec_b64 s[12:13], vcc
	s_cbranch_execz .LBB952_561
; %bb.556:                              ;   in Loop: Header=BB952_213 Depth=1
	v_cmp_ne_u16_e32 vcc, s9, v42
	v_mov_b32_e32 v44, 0xffff8000
	s_and_saveexec_b64 s[14:15], vcc
	s_cbranch_execz .LBB952_560
; %bb.557:                              ;   in Loop: Header=BB952_213 Depth=1
	v_and_b32_e32 v49, 0x7f, v42
	v_cmp_ne_u32_e32 vcc, s21, v49
	v_mov_b32_e32 v44, 0x7f80
	s_and_saveexec_b64 s[16:17], vcc
	s_cbranch_execz .LBB952_559
; %bb.558:                              ;   in Loop: Header=BB952_213 Depth=1
	v_and_b32_e32 v44, 7, v42
	v_ffbh_u32_e32 v50, v44
	v_min_u32_e32 v53, 32, v50
	v_subrev_u32_e32 v50, 28, v53
	v_lshlrev_b64 v[50:51], v50, v[42:43]
	v_lshrrev_b32_e32 v52, 3, v49
	v_sub_u32_e32 v42, 29, v53
	v_and_b32_e32 v50, 7, v50
	v_cmp_gt_u32_e32 vcc, 8, v49
	v_cndmask_b32_e32 v42, v52, v42, vcc
	v_cndmask_b32_e32 v44, v44, v50, vcc
	v_lshlrev_b32_e32 v49, 16, v40
	v_lshlrev_b32_e32 v44, 20, v44
	v_and_b32_e32 v49, 0x80000000, v49
	v_lshl_add_u32 v42, v42, 23, v48
	v_or3_b32 v42, v49, v42, v44
	v_lshrrev_b32_e32 v44, 16, v42
.LBB952_559:                            ;   in Loop: Header=BB952_213 Depth=1
	s_or_b64 exec, exec, s[16:17]
.LBB952_560:                            ;   in Loop: Header=BB952_213 Depth=1
	s_or_b64 exec, exec, s[14:15]
.LBB952_561:                            ;   in Loop: Header=BB952_213 Depth=1
	s_or_b64 exec, exec, s[12:13]
	v_lshrrev_b32_e32 v42, 16, v40
	v_cmp_ne_u16_sdwa s[14:15], v42, v47 src0_sel:BYTE_0 src1_sel:DWORD
	s_and_saveexec_b64 s[12:13], s[14:15]
	s_cbranch_execz .LBB952_567
; %bb.562:                              ;   in Loop: Header=BB952_213 Depth=1
	v_cmp_ne_u16_sdwa s[16:17], v42, s9 src0_sel:BYTE_0 src1_sel:DWORD
	v_mov_b32_e32 v46, 0xffff8000
	s_and_saveexec_b64 s[14:15], s[16:17]
	s_cbranch_execz .LBB952_566
; %bb.563:                              ;   in Loop: Header=BB952_213 Depth=1
	v_bfe_u32 v49, v40, 16, 7
	v_cmp_ne_u32_e32 vcc, s21, v49
	v_mov_b32_e32 v46, 0x7f80
	s_and_saveexec_b64 s[16:17], vcc
	s_cbranch_execz .LBB952_565
; %bb.564:                              ;   in Loop: Header=BB952_213 Depth=1
	v_and_b32_e32 v46, 7, v42
	v_ffbh_u32_e32 v50, v46
	v_min_u32_e32 v53, 32, v50
	v_subrev_u32_e32 v50, 28, v53
	v_lshlrev_b64 v[50:51], v50, v[42:43]
	v_lshrrev_b32_e32 v52, 3, v49
	v_sub_u32_e32 v51, 29, v53
	v_and_b32_e32 v50, 7, v50
	v_cmp_gt_u32_e32 vcc, 8, v49
	v_cndmask_b32_e32 v49, v52, v51, vcc
	v_cndmask_b32_e32 v46, v46, v50, vcc
	v_lshlrev_b32_e32 v42, 24, v42
	v_lshlrev_b32_e32 v46, 20, v46
	v_and_b32_e32 v42, 0x80000000, v42
	v_lshl_add_u32 v49, v49, 23, v48
	v_or3_b32 v42, v42, v49, v46
	v_lshrrev_b32_e32 v46, 16, v42
.LBB952_565:                            ;   in Loop: Header=BB952_213 Depth=1
	s_or_b64 exec, exec, s[16:17]
.LBB952_566:                            ;   in Loop: Header=BB952_213 Depth=1
	s_or_b64 exec, exec, s[14:15]
.LBB952_567:                            ;   in Loop: Header=BB952_213 Depth=1
	s_or_b64 exec, exec, s[12:13]
	v_cmp_lt_u32_e32 vcc, s22, v40
	v_mov_b32_e32 v49, 0
	v_mov_b32_e32 v50, 0
	s_and_saveexec_b64 s[12:13], vcc
	s_cbranch_execz .LBB952_573
; %bb.568:                              ;   in Loop: Header=BB952_213 Depth=1
	v_lshrrev_b32_e32 v42, 24, v40
	v_cmp_ne_u32_e32 vcc, s9, v42
	v_mov_b32_e32 v50, 0xffff8000
	s_and_saveexec_b64 s[14:15], vcc
	s_cbranch_execz .LBB952_572
; %bb.569:                              ;   in Loop: Header=BB952_213 Depth=1
	v_bfe_u32 v40, v40, 24, 7
	v_cmp_ne_u32_e32 vcc, s21, v40
	v_mov_b32_e32 v50, 0x7f80
	s_and_saveexec_b64 s[16:17], vcc
	s_cbranch_execz .LBB952_571
; %bb.570:                              ;   in Loop: Header=BB952_213 Depth=1
	v_and_b32_e32 v52, 7, v42
	v_ffbh_u32_e32 v50, v52
	v_min_u32_e32 v60, 32, v50
	v_subrev_u32_e32 v50, 28, v60
	v_lshlrev_b64 v[50:51], v50, v[42:43]
	v_lshrrev_b32_e32 v53, 3, v40
	v_sub_u32_e32 v51, 29, v60
	v_and_b32_e32 v50, 7, v50
	v_cmp_gt_u32_e32 vcc, 8, v40
	v_cndmask_b32_e32 v40, v53, v51, vcc
	v_cndmask_b32_e32 v50, v52, v50, vcc
	v_lshlrev_b32_e32 v42, 24, v42
	v_lshlrev_b32_e32 v50, 20, v50
	v_and_b32_e32 v42, 0x80000000, v42
	v_lshl_add_u32 v40, v40, 23, v48
	v_or3_b32 v40, v42, v40, v50
	v_lshrrev_b32_e32 v50, 16, v40
.LBB952_571:                            ;   in Loop: Header=BB952_213 Depth=1
	s_or_b64 exec, exec, s[16:17]
.LBB952_572:                            ;   in Loop: Header=BB952_213 Depth=1
	s_or_b64 exec, exec, s[14:15]
.LBB952_573:                            ;   in Loop: Header=BB952_213 Depth=1
	s_or_b64 exec, exec, s[12:13]
	s_waitcnt vmcnt(0)
	v_cmp_ne_u16_sdwa s[14:15], v38, v47 src0_sel:BYTE_0 src1_sel:DWORD
	s_and_saveexec_b64 s[12:13], s[14:15]
	s_cbranch_execz .LBB952_579
; %bb.574:                              ;   in Loop: Header=BB952_213 Depth=1
	v_cmp_ne_u16_sdwa s[16:17], v38, s9 src0_sel:BYTE_0 src1_sel:DWORD
	v_mov_b32_e32 v49, 0xffff8000
	s_and_saveexec_b64 s[14:15], s[16:17]
	s_cbranch_execz .LBB952_578
; %bb.575:                              ;   in Loop: Header=BB952_213 Depth=1
	v_and_b32_e32 v40, 0x7f, v38
	v_cmp_ne_u32_e32 vcc, s21, v40
	v_mov_b32_e32 v49, 0x7f80
	s_and_saveexec_b64 s[16:17], vcc
	s_cbranch_execz .LBB952_577
; %bb.576:                              ;   in Loop: Header=BB952_213 Depth=1
	v_and_b32_e32 v42, 7, v38
	v_ffbh_u32_e32 v51, v42
	v_min_u32_e32 v51, 32, v51
	v_subrev_u32_e32 v52, 28, v51
	v_lshlrev_b64 v[52:53], v52, v[38:39]
	v_lshrrev_b32_e32 v49, 3, v40
	v_sub_u32_e32 v51, 29, v51
	v_and_b32_e32 v52, 7, v52
	v_cmp_gt_u32_e32 vcc, 8, v40
	v_cndmask_b32_e32 v40, v49, v51, vcc
	v_cndmask_b32_e32 v42, v42, v52, vcc
	v_lshlrev_b32_e32 v49, 24, v38
	v_lshlrev_b32_e32 v42, 20, v42
	v_and_b32_e32 v49, 0x80000000, v49
	v_lshl_add_u32 v40, v40, 23, v48
	v_or3_b32 v40, v49, v40, v42
	v_lshrrev_b32_e32 v49, 16, v40
.LBB952_577:                            ;   in Loop: Header=BB952_213 Depth=1
	s_or_b64 exec, exec, s[16:17]
.LBB952_578:                            ;   in Loop: Header=BB952_213 Depth=1
	s_or_b64 exec, exec, s[14:15]
.LBB952_579:                            ;   in Loop: Header=BB952_213 Depth=1
	s_or_b64 exec, exec, s[12:13]
	v_lshrrev_b16_e32 v40, 8, v38
	v_cmp_ne_u16_e32 vcc, 0, v40
	v_mov_b32_e32 v51, 0
	v_mov_b32_e32 v42, 0
	s_and_saveexec_b64 s[12:13], vcc
	s_cbranch_execz .LBB952_585
; %bb.580:                              ;   in Loop: Header=BB952_213 Depth=1
	v_cmp_ne_u16_e32 vcc, s9, v40
	v_mov_b32_e32 v42, 0xffff8000
	s_and_saveexec_b64 s[14:15], vcc
	s_cbranch_execz .LBB952_584
; %bb.581:                              ;   in Loop: Header=BB952_213 Depth=1
	v_and_b32_e32 v52, 0x7f, v40
	v_cmp_ne_u32_e32 vcc, s21, v52
	v_mov_b32_e32 v42, 0x7f80
	s_and_saveexec_b64 s[16:17], vcc
	s_cbranch_execz .LBB952_583
; %bb.582:                              ;   in Loop: Header=BB952_213 Depth=1
	v_and_b32_e32 v42, 7, v40
	v_ffbh_u32_e32 v60, v42
	v_min_u32_e32 v62, 32, v60
	v_subrev_u32_e32 v60, 28, v62
	v_lshlrev_b64 v[60:61], v60, v[40:41]
	v_lshrrev_b32_e32 v53, 3, v52
	v_sub_u32_e32 v40, 29, v62
	v_and_b32_e32 v60, 7, v60
	v_cmp_gt_u32_e32 vcc, 8, v52
	v_cndmask_b32_e32 v40, v53, v40, vcc
	v_cndmask_b32_e32 v42, v42, v60, vcc
	v_lshlrev_b32_e32 v52, 16, v38
	v_lshlrev_b32_e32 v42, 20, v42
	v_and_b32_e32 v52, 0x80000000, v52
	v_lshl_add_u32 v40, v40, 23, v48
	v_or3_b32 v40, v52, v40, v42
	v_lshrrev_b32_e32 v42, 16, v40
.LBB952_583:                            ;   in Loop: Header=BB952_213 Depth=1
	s_or_b64 exec, exec, s[16:17]
.LBB952_584:                            ;   in Loop: Header=BB952_213 Depth=1
	s_or_b64 exec, exec, s[14:15]
.LBB952_585:                            ;   in Loop: Header=BB952_213 Depth=1
	s_or_b64 exec, exec, s[12:13]
	v_lshrrev_b32_e32 v40, 16, v38
	v_cmp_ne_u16_sdwa s[14:15], v40, v47 src0_sel:BYTE_0 src1_sel:DWORD
	s_and_saveexec_b64 s[12:13], s[14:15]
	s_cbranch_execz .LBB952_591
; %bb.586:                              ;   in Loop: Header=BB952_213 Depth=1
	v_cmp_ne_u16_sdwa s[16:17], v40, s9 src0_sel:BYTE_0 src1_sel:DWORD
	v_mov_b32_e32 v51, 0xffff8000
	s_and_saveexec_b64 s[14:15], s[16:17]
	s_cbranch_execz .LBB952_590
; %bb.587:                              ;   in Loop: Header=BB952_213 Depth=1
	v_bfe_u32 v52, v38, 16, 7
	v_cmp_ne_u32_e32 vcc, s21, v52
	v_mov_b32_e32 v51, 0x7f80
	s_and_saveexec_b64 s[16:17], vcc
	s_cbranch_execz .LBB952_589
; %bb.588:                              ;   in Loop: Header=BB952_213 Depth=1
	v_and_b32_e32 v51, 7, v40
	v_ffbh_u32_e32 v60, v51
	v_min_u32_e32 v62, 32, v60
	v_subrev_u32_e32 v60, 28, v62
	v_lshlrev_b64 v[60:61], v60, v[40:41]
	v_lshrrev_b32_e32 v53, 3, v52
	v_sub_u32_e32 v61, 29, v62
	v_and_b32_e32 v60, 7, v60
	v_cmp_gt_u32_e32 vcc, 8, v52
	v_cndmask_b32_e32 v52, v53, v61, vcc
	v_cndmask_b32_e32 v51, v51, v60, vcc
	v_lshlrev_b32_e32 v40, 24, v40
	v_lshlrev_b32_e32 v51, 20, v51
	v_and_b32_e32 v40, 0x80000000, v40
	v_lshl_add_u32 v52, v52, 23, v48
	v_or3_b32 v40, v40, v52, v51
	v_lshrrev_b32_e32 v51, 16, v40
.LBB952_589:                            ;   in Loop: Header=BB952_213 Depth=1
	s_or_b64 exec, exec, s[16:17]
.LBB952_590:                            ;   in Loop: Header=BB952_213 Depth=1
	s_or_b64 exec, exec, s[14:15]
.LBB952_591:                            ;   in Loop: Header=BB952_213 Depth=1
	s_or_b64 exec, exec, s[12:13]
	v_cmp_lt_u32_e32 vcc, s22, v38
	v_mov_b32_e32 v52, 0
	s_and_saveexec_b64 s[12:13], vcc
	s_cbranch_execz .LBB952_212
; %bb.592:                              ;   in Loop: Header=BB952_213 Depth=1
	v_lshrrev_b32_e32 v40, 24, v38
	v_cmp_ne_u32_e32 vcc, s9, v40
	v_mov_b32_e32 v52, 0xffff8000
	s_and_saveexec_b64 s[14:15], vcc
	s_cbranch_execz .LBB952_211
; %bb.593:                              ;   in Loop: Header=BB952_213 Depth=1
	v_bfe_u32 v38, v38, 24, 7
	v_cmp_ne_u32_e32 vcc, s21, v38
	v_mov_b32_e32 v52, 0x7f80
	s_and_saveexec_b64 s[16:17], vcc
	s_cbranch_execz .LBB952_210
; %bb.594:                              ;   in Loop: Header=BB952_213 Depth=1
	v_and_b32_e32 v60, 7, v40
	v_ffbh_u32_e32 v52, v60
	v_min_u32_e32 v62, 32, v52
	v_subrev_u32_e32 v52, 28, v62
	v_lshlrev_b64 v[52:53], v52, v[40:41]
	v_lshrrev_b32_e32 v61, 3, v38
	v_sub_u32_e32 v53, 29, v62
	v_and_b32_e32 v52, 7, v52
	v_cmp_gt_u32_e32 vcc, 8, v38
	v_cndmask_b32_e32 v38, v61, v53, vcc
	v_cndmask_b32_e32 v52, v60, v52, vcc
	v_lshlrev_b32_e32 v40, 24, v40
	v_lshlrev_b32_e32 v52, 20, v52
	v_and_b32_e32 v40, 0x80000000, v40
	v_lshl_add_u32 v38, v38, 23, v48
	v_or3_b32 v38, v40, v38, v52
	v_lshrrev_b32_e32 v52, 16, v38
	s_branch .LBB952_210
.LBB952_595:
	s_barrier
	buffer_load_dword v2, off, s[0:3], 0 offset:320
	buffer_load_dword v5, off, s[0:3], 0 offset:332
	;; [unrolled: 1-line block ×4, first 2 shown]
	v_cmp_gt_u32_e32 vcc, 64, v0
	s_waitcnt vmcnt(0)
	ds_write2st64_b64 v43, v[2:3], v[4:5] offset1:1
	s_waitcnt lgkmcnt(0)
	s_barrier
	s_and_saveexec_b64 s[4:5], vcc
	s_cbranch_execz .LBB952_598
; %bb.596:
	s_lshl_b32 s4, s50, 7
	s_mul_i32 s5, s18, s8
	s_mul_hi_u32 s9, s5, s4
	s_mul_i32 s8, s5, s4
	s_lshl_b64 s[8:9], s[8:9], 1
	v_lshlrev_b32_e32 v4, 6, v55
	s_add_u32 s5, s48, s8
	v_lshl_or_b32 v0, v0, 10, v4
	s_mov_b32 s7, 0
	s_addc_u32 s8, s49, s9
	s_lshl_b32 s6, s24, 7
	v_lshlrev_b32_e32 v2, 5, v1
	v_and_b32_e32 v3, 16, v56
	v_and_b32_e32 v0, 0x1a00, v0
	s_lshl_b64 s[6:7], s[6:7], 1
	v_or3_b32 v0, v0, v2, v3
	s_add_u32 s5, s5, s6
	s_addc_u32 s6, s8, s7
	ds_read_b128 v[4:7], v0 offset:128
	ds_read_b128 v[8:11], v0
	v_add_u32_e32 v14, s25, v1
	v_mov_b32_e32 v3, s6
	v_add_co_u32_e32 v2, vcc, s5, v54
	v_mad_u64_u32 v[12:13], s[6:7], v14, s4, 0
	v_addc_co_u32_e32 v3, vcc, 0, v3, vcc
	v_lshlrev_b64 v[12:13], 1, v[12:13]
	v_add_co_u32_e32 v12, vcc, v2, v12
	v_addc_co_u32_e32 v13, vcc, v3, v13, vcc
	s_waitcnt lgkmcnt(0)
	global_store_dwordx4 v[12:13], v[8:11], off
	s_nop 0
	v_add_u32_e32 v8, 4, v14
	v_mad_u64_u32 v[8:9], s[6:7], v8, s4, 0
	v_lshlrev_b64 v[8:9], 1, v[8:9]
	v_add_co_u32_e32 v8, vcc, v2, v8
	v_addc_co_u32_e32 v9, vcc, v3, v9, vcc
	v_cmp_ne_u32_e32 vcc, 3, v1
	global_store_dwordx4 v[8:9], v[4:7], off
	s_and_b64 exec, exec, vcc
	s_cbranch_execz .LBB952_598
; %bb.597:
	ds_read_b128 v[4:7], v0 offset:256
	v_add3_u32 v0, s25, v1, 8
	v_mad_u64_u32 v[0:1], s[4:5], v0, s4, 0
	v_lshlrev_b64 v[0:1], 1, v[0:1]
	v_add_co_u32_e32 v0, vcc, v2, v0
	v_addc_co_u32_e32 v1, vcc, v3, v1, vcc
	s_waitcnt lgkmcnt(0)
	global_store_dwordx4 v[0:1], v[4:7], off
.LBB952_598:
	s_endpgm
	.section	.rodata,"a",@progbits
	.p2align	6, 0x0
	.amdhsa_kernel _Z39paged_attention_ll4mi_QKV_mfma16_kernelI14__hip_bfloat16hLN4vllm18Fp8KVCacheDataTypeE1ES0_Li32ELi128ELi256ELb0ELi11EL8MFMAType0EEvPKT_PKT0_S9_ifPKiSB_SB_iPKfiiiPfSE_PS4_PT2_iSD_SD_
		.amdhsa_group_segment_fixed_size 8192
		.amdhsa_private_segment_fixed_size 352
		.amdhsa_kernarg_size 400
		.amdhsa_user_sgpr_count 8
		.amdhsa_user_sgpr_private_segment_buffer 1
		.amdhsa_user_sgpr_dispatch_ptr 0
		.amdhsa_user_sgpr_queue_ptr 0
		.amdhsa_user_sgpr_kernarg_segment_ptr 1
		.amdhsa_user_sgpr_dispatch_id 0
		.amdhsa_user_sgpr_flat_scratch_init 1
		.amdhsa_user_sgpr_kernarg_preload_length 0
		.amdhsa_user_sgpr_kernarg_preload_offset 0
		.amdhsa_user_sgpr_private_segment_size 0
		.amdhsa_uses_dynamic_stack 0
		.amdhsa_system_sgpr_private_segment_wavefront_offset 1
		.amdhsa_system_sgpr_workgroup_id_x 1
		.amdhsa_system_sgpr_workgroup_id_y 1
		.amdhsa_system_sgpr_workgroup_id_z 1
		.amdhsa_system_sgpr_workgroup_info 0
		.amdhsa_system_vgpr_workitem_id 0
		.amdhsa_next_free_vgpr 78
		.amdhsa_next_free_sgpr 53
		.amdhsa_accum_offset 80
		.amdhsa_reserve_vcc 1
		.amdhsa_reserve_flat_scratch 0
		.amdhsa_float_round_mode_32 0
		.amdhsa_float_round_mode_16_64 0
		.amdhsa_float_denorm_mode_32 3
		.amdhsa_float_denorm_mode_16_64 3
		.amdhsa_dx10_clamp 1
		.amdhsa_ieee_mode 1
		.amdhsa_fp16_overflow 0
		.amdhsa_tg_split 0
		.amdhsa_exception_fp_ieee_invalid_op 0
		.amdhsa_exception_fp_denorm_src 0
		.amdhsa_exception_fp_ieee_div_zero 0
		.amdhsa_exception_fp_ieee_overflow 0
		.amdhsa_exception_fp_ieee_underflow 0
		.amdhsa_exception_fp_ieee_inexact 0
		.amdhsa_exception_int_div_zero 0
	.end_amdhsa_kernel
	.section	.text._Z39paged_attention_ll4mi_QKV_mfma16_kernelI14__hip_bfloat16hLN4vllm18Fp8KVCacheDataTypeE1ES0_Li32ELi128ELi256ELb0ELi11EL8MFMAType0EEvPKT_PKT0_S9_ifPKiSB_SB_iPKfiiiPfSE_PS4_PT2_iSD_SD_,"axG",@progbits,_Z39paged_attention_ll4mi_QKV_mfma16_kernelI14__hip_bfloat16hLN4vllm18Fp8KVCacheDataTypeE1ES0_Li32ELi128ELi256ELb0ELi11EL8MFMAType0EEvPKT_PKT0_S9_ifPKiSB_SB_iPKfiiiPfSE_PS4_PT2_iSD_SD_,comdat
.Lfunc_end952:
	.size	_Z39paged_attention_ll4mi_QKV_mfma16_kernelI14__hip_bfloat16hLN4vllm18Fp8KVCacheDataTypeE1ES0_Li32ELi128ELi256ELb0ELi11EL8MFMAType0EEvPKT_PKT0_S9_ifPKiSB_SB_iPKfiiiPfSE_PS4_PT2_iSD_SD_, .Lfunc_end952-_Z39paged_attention_ll4mi_QKV_mfma16_kernelI14__hip_bfloat16hLN4vllm18Fp8KVCacheDataTypeE1ES0_Li32ELi128ELi256ELb0ELi11EL8MFMAType0EEvPKT_PKT0_S9_ifPKiSB_SB_iPKfiiiPfSE_PS4_PT2_iSD_SD_
                                        ; -- End function
	.section	.AMDGPU.csdata,"",@progbits
; Kernel info:
; codeLenInByte = 22312
; NumSgprs: 57
; NumVgprs: 78
; NumAgprs: 0
; TotalNumVgprs: 78
; ScratchSize: 352
; MemoryBound: 0
; FloatMode: 240
; IeeeMode: 1
; LDSByteSize: 8192 bytes/workgroup (compile time only)
; SGPRBlocks: 7
; VGPRBlocks: 9
; NumSGPRsForWavesPerEU: 57
; NumVGPRsForWavesPerEU: 78
; AccumOffset: 80
; Occupancy: 6
; WaveLimiterHint : 1
; COMPUTE_PGM_RSRC2:SCRATCH_EN: 1
; COMPUTE_PGM_RSRC2:USER_SGPR: 8
; COMPUTE_PGM_RSRC2:TRAP_HANDLER: 0
; COMPUTE_PGM_RSRC2:TGID_X_EN: 1
; COMPUTE_PGM_RSRC2:TGID_Y_EN: 1
; COMPUTE_PGM_RSRC2:TGID_Z_EN: 1
; COMPUTE_PGM_RSRC2:TIDIG_COMP_CNT: 0
; COMPUTE_PGM_RSRC3_GFX90A:ACCUM_OFFSET: 19
; COMPUTE_PGM_RSRC3_GFX90A:TG_SPLIT: 0
	.section	.text._Z39paged_attention_ll4mi_QKV_mfma16_kernelI14__hip_bfloat16hLN4vllm18Fp8KVCacheDataTypeE1ES0_Li32ELi128ELi256ELb0ELi12EL8MFMAType0EEvPKT_PKT0_S9_ifPKiSB_SB_iPKfiiiPfSE_PS4_PT2_iSD_SD_,"axG",@progbits,_Z39paged_attention_ll4mi_QKV_mfma16_kernelI14__hip_bfloat16hLN4vllm18Fp8KVCacheDataTypeE1ES0_Li32ELi128ELi256ELb0ELi12EL8MFMAType0EEvPKT_PKT0_S9_ifPKiSB_SB_iPKfiiiPfSE_PS4_PT2_iSD_SD_,comdat
	.protected	_Z39paged_attention_ll4mi_QKV_mfma16_kernelI14__hip_bfloat16hLN4vllm18Fp8KVCacheDataTypeE1ES0_Li32ELi128ELi256ELb0ELi12EL8MFMAType0EEvPKT_PKT0_S9_ifPKiSB_SB_iPKfiiiPfSE_PS4_PT2_iSD_SD_ ; -- Begin function _Z39paged_attention_ll4mi_QKV_mfma16_kernelI14__hip_bfloat16hLN4vllm18Fp8KVCacheDataTypeE1ES0_Li32ELi128ELi256ELb0ELi12EL8MFMAType0EEvPKT_PKT0_S9_ifPKiSB_SB_iPKfiiiPfSE_PS4_PT2_iSD_SD_
	.globl	_Z39paged_attention_ll4mi_QKV_mfma16_kernelI14__hip_bfloat16hLN4vllm18Fp8KVCacheDataTypeE1ES0_Li32ELi128ELi256ELb0ELi12EL8MFMAType0EEvPKT_PKT0_S9_ifPKiSB_SB_iPKfiiiPfSE_PS4_PT2_iSD_SD_
	.p2align	8
	.type	_Z39paged_attention_ll4mi_QKV_mfma16_kernelI14__hip_bfloat16hLN4vllm18Fp8KVCacheDataTypeE1ES0_Li32ELi128ELi256ELb0ELi12EL8MFMAType0EEvPKT_PKT0_S9_ifPKiSB_SB_iPKfiiiPfSE_PS4_PT2_iSD_SD_,@function
_Z39paged_attention_ll4mi_QKV_mfma16_kernelI14__hip_bfloat16hLN4vllm18Fp8KVCacheDataTypeE1ES0_Li32ELi128ELi256ELb0ELi12EL8MFMAType0EEvPKT_PKT0_S9_ifPKiSB_SB_iPKfiiiPfSE_PS4_PT2_iSD_SD_: ; @_Z39paged_attention_ll4mi_QKV_mfma16_kernelI14__hip_bfloat16hLN4vllm18Fp8KVCacheDataTypeE1ES0_Li32ELi128ELi256ELb0ELi12EL8MFMAType0EEvPKT_PKT0_S9_ifPKiSB_SB_iPKfiiiPfSE_PS4_PT2_iSD_SD_
; %bb.0:
	s_load_dwordx2 s[6:7], s[4:5], 0x30
	s_add_u32 s0, s0, s11
	s_addc_u32 s1, s1, 0
	s_mov_b32 s24, s9
	s_mov_b64 s[12:13], 0
	s_waitcnt lgkmcnt(0)
	s_cmp_lg_u64 s[6:7], 0
	s_cselect_b64 s[16:17], -1, 0
	s_and_b64 vcc, exec, s[16:17]
	s_cbranch_vccz .LBB953_7
; %bb.1:
	s_add_i32 s14, s8, 1
	s_mov_b32 s15, 0
	s_lshl_b64 s[18:19], s[14:15], 2
	s_add_u32 s18, s6, s18
	s_mov_b32 s9, s15
	s_addc_u32 s19, s7, s19
	s_lshl_b64 s[14:15], s[8:9], 2
	s_add_u32 s14, s6, s14
	s_addc_u32 s15, s7, s15
	s_load_dword s11, s[18:19], 0x0
	s_load_dword s20, s[14:15], 0x0
	s_waitcnt lgkmcnt(0)
	s_sub_i32 s11, s11, s20
	s_cmp_eq_u32 s11, 1
	s_cselect_b64 s[14:15], -1, 0
	s_andn2_b64 vcc, exec, s[12:13]
	s_cbranch_vccnz .LBB953_3
.LBB953_2:
	s_mov_b32 s9, 0
	s_mov_b64 s[14:15], -1
.LBB953_3:
	s_andn2_b64 vcc, exec, s[14:15]
	s_cbranch_vccnz .LBB953_597
; %bb.4:
	s_load_dwordx2 s[12:13], s[4:5], 0x28
	s_lshl_b64 s[18:19], s[8:9], 2
	s_waitcnt lgkmcnt(0)
	s_add_u32 s12, s12, s18
	s_addc_u32 s13, s13, s19
	s_load_dword s33, s[12:13], 0x0
	s_lshl_b32 s20, s24, 8
	s_waitcnt lgkmcnt(0)
	s_cmp_ge_i32 s20, s33
	s_cbranch_scc1 .LBB953_597
; %bb.5:
	s_add_i32 s14, s33, 31
	s_load_dwordx2 s[12:13], s[4:5], 0x20
	s_load_dword s11, s[4:5], 0x38
	s_ashr_i32 s15, s14, 31
	v_and_b32_e32 v1, 0xcf, v0
	s_lshr_b32 s15, s15, 27
	v_add_u32_e32 v1, s20, v1
	s_add_i32 s14, s14, s15
	v_ashrrev_i32_e32 v2, 31, v1
	s_ashr_i32 s22, s14, 5
	v_lshrrev_b32_e32 v10, 27, v2
	s_add_i32 s22, s22, -1
	v_add_u32_e32 v2, v1, v10
	s_waitcnt lgkmcnt(0)
	s_mul_i32 s14, s8, s11
	s_mov_b32 s15, 0
	v_ashrrev_i32_e32 v2, 5, v2
	v_mov_b32_e32 v11, s22
	v_cmp_gt_i32_e32 vcc, s33, v1
	s_lshl_b64 s[14:15], s[14:15], 2
	v_cndmask_b32_e32 v2, v11, v2, vcc
	s_add_u32 s11, s12, s14
	v_ashrrev_i32_e32 v3, 31, v2
	s_addc_u32 s21, s13, s15
	v_lshlrev_b64 v[2:3], 2, v[2:3]
	v_mov_b32_e32 v5, s21
	v_add_co_u32_e32 v4, vcc, s11, v2
	v_or_b32_e32 v2, 16, v1
	v_addc_co_u32_e32 v5, vcc, v5, v3, vcc
	v_add_u32_e32 v3, v2, v10
	v_ashrrev_i32_e32 v3, 5, v3
	v_cmp_gt_i32_e32 vcc, s33, v2
	v_cndmask_b32_e32 v2, v11, v3, vcc
	v_ashrrev_i32_e32 v3, 31, v2
	v_lshlrev_b64 v[2:3], 2, v[2:3]
	v_mov_b32_e32 v7, s21
	v_add_co_u32_e32 v6, vcc, s11, v2
	v_or_b32_e32 v2, 32, v1
	v_addc_co_u32_e32 v7, vcc, v7, v3, vcc
	v_add_u32_e32 v3, v2, v10
	v_ashrrev_i32_e32 v3, 5, v3
	v_cmp_gt_i32_e32 vcc, s33, v2
	v_cndmask_b32_e32 v2, v11, v3, vcc
	v_ashrrev_i32_e32 v3, 31, v2
	;; [unrolled: 10-line block ×3, first 2 shown]
	v_lshlrev_b64 v[2:3], 2, v[2:3]
	v_mov_b32_e32 v1, s21
	v_add_co_u32_e32 v12, vcc, s11, v2
	v_addc_co_u32_e32 v13, vcc, v1, v3, vcc
	global_load_dword v2, v[4:5], off
	global_load_dword v10, v[6:7], off
	;; [unrolled: 1-line block ×4, first 2 shown]
	s_load_dwordx4 s[12:15], s[4:5], 0x8
	s_andn2_b64 vcc, exec, s[16:17]
	s_cbranch_vccnz .LBB953_8
; %bb.6:
	s_add_u32 s6, s6, s18
	s_addc_u32 s7, s7, s19
	s_load_dword s16, s[6:7], 0x0
	s_branch .LBB953_9
.LBB953_7:
	s_mov_b64 s[14:15], 0
	s_branch .LBB953_2
.LBB953_8:
	s_mov_b32 s16, s8
.LBB953_9:
	s_load_dwordx2 s[48:49], s[4:5], 0x68
	s_load_dwordx8 s[40:47], s[4:5], 0x48
	v_and_b32_e32 v55, 15, v0
	v_lshlrev_b32_e32 v3, 3, v55
	s_movk_i32 s6, 0xc0
	v_lshrrev_b32_e32 v62, 6, v0
	v_bfe_u32 v1, v0, 4, 2
	s_mul_i32 s25, s10, 12
	v_cmp_gt_u32_e32 vcc, s6, v0
	v_lshlrev_b32_e32 v54, 1, v3
	v_lshlrev_b32_e32 v56, 4, v0
	s_and_saveexec_b64 s[6:7], vcc
	s_cbranch_execz .LBB953_11
; %bb.10:
	s_load_dwordx2 s[18:19], s[4:5], 0x0
	s_waitcnt lgkmcnt(0)
	s_ashr_i32 s17, s40, 31
	s_mul_hi_u32 s23, s16, s40
	s_mul_i32 s17, s16, s17
	v_lshl_or_b32 v3, v62, 2, v1
	s_add_i32 s17, s23, s17
	s_mul_i32 s16, s16, s40
	s_lshl_b64 s[16:17], s[16:17], 1
	v_add_lshl_u32 v4, v3, s25, 7
	s_add_u32 s16, s18, s16
	v_ashrrev_i32_e32 v5, 31, v4
	s_addc_u32 s17, s19, s17
	v_lshlrev_b64 v[4:5], 1, v[4:5]
	v_mov_b32_e32 v6, s17
	v_add_co_u32_e32 v4, vcc, s16, v4
	v_addc_co_u32_e32 v5, vcc, v6, v5, vcc
	v_add_co_u32_e32 v4, vcc, v4, v54
	v_addc_co_u32_e32 v5, vcc, 0, v5, vcc
	global_load_dwordx4 v[4:7], v[4:5], off
	v_lshlrev_b32_e32 v9, 8, v0
	v_lshlrev_b32_e32 v8, 8, v55
	v_and_b32_e32 v9, 0x600, v9
	s_movk_i32 s16, 0x800
	v_and_or_b32 v8, v8, s16, v9
	v_lshlrev_b32_e32 v3, 5, v3
	v_and_b32_e32 v9, 16, v56
	v_or3_b32 v3, v8, v3, v9
	s_waitcnt vmcnt(0)
	ds_write_b128 v3, v[4:7]
.LBB953_11:
	s_or_b64 exec, exec, s[6:7]
	s_waitcnt lgkmcnt(0)
	s_mul_i32 s10, s10, s42
	s_add_u32 s6, s12, s10
	s_addc_u32 s7, s13, 0
	v_and_b32_e32 v3, 48, v0
	v_pk_mov_b32 v[22:23], s[6:7], s[6:7] op_sel:[0,1]
	s_ashr_i32 s6, s20, 31
	v_lshlrev_b32_e32 v25, 5, v3
	v_or_b32_e32 v3, s20, v3
	s_lshr_b32 s6, s6, 27
	v_add_u32_e32 v4, s6, v3
	v_ashrrev_i32_e32 v4, 5, v4
	v_mov_b32_e32 v11, s22
	v_cmp_gt_i32_e32 vcc, s33, v3
	v_cndmask_b32_e32 v4, v11, v4, vcc
	v_ashrrev_i32_e32 v5, 31, v4
	v_lshlrev_b64 v[4:5], 2, v[4:5]
	v_mov_b32_e32 v6, s21
	v_add_co_u32_e32 v4, vcc, s11, v4
	v_addc_co_u32_e32 v5, vcc, v6, v5, vcc
	v_or_b32_e32 v6, 64, v3
	v_add_u32_e32 v7, s6, v6
	v_ashrrev_i32_e32 v7, 5, v7
	v_cmp_gt_i32_e32 vcc, s33, v6
	v_cndmask_b32_e32 v6, v11, v7, vcc
	v_ashrrev_i32_e32 v7, 31, v6
	v_lshlrev_b64 v[6:7], 2, v[6:7]
	v_mov_b32_e32 v8, s21
	v_add_co_u32_e32 v6, vcc, s11, v6
	v_addc_co_u32_e32 v7, vcc, v8, v7, vcc
	v_or_b32_e32 v8, 0x80, v3
	v_add_u32_e32 v9, s6, v8
	v_ashrrev_i32_e32 v9, 5, v9
	v_cmp_gt_i32_e32 vcc, s33, v8
	v_cndmask_b32_e32 v8, v11, v9, vcc
	v_ashrrev_i32_e32 v9, 31, v8
	v_lshlrev_b64 v[8:9], 2, v[8:9]
	v_mov_b32_e32 v12, s21
	v_add_co_u32_e32 v8, vcc, s11, v8
	v_or_b32_e32 v3, 0xc0, v3
	s_load_dwordx2 s[50:51], s[4:5], 0x94
	s_waitcnt lgkmcnt(0)
	s_barrier
	v_addc_co_u32_e32 v9, vcc, v12, v9, vcc
	global_load_dword v50, v[4:5], off
	global_load_dword v57, v[6:7], off
	v_add_u32_e32 v4, s6, v3
	v_ashrrev_i32_e32 v4, 5, v4
	v_cmp_gt_i32_e32 vcc, s33, v3
	v_cndmask_b32_e32 v4, v11, v4, vcc
	v_ashrrev_i32_e32 v5, 31, v4
	v_lshlrev_b64 v[4:5], 2, v[4:5]
	v_mov_b32_e32 v3, s21
	v_add_co_u32_e32 v4, vcc, s11, v4
	v_addc_co_u32_e32 v5, vcc, v3, v5, vcc
	global_load_dword v64, v[8:9], off
	global_load_dword v65, v[4:5], off
	s_waitcnt vmcnt(7)
	v_mad_i64_i32 v[2:3], s[6:7], v2, s41, v[22:23]
	v_lshlrev_b32_e32 v26, 4, v55
	v_add_co_u32_e32 v2, vcc, v2, v26
	v_addc_co_u32_e32 v3, vcc, 0, v3, vcc
	v_add_co_u32_e32 v12, vcc, v2, v25
	v_addc_co_u32_e32 v13, vcc, 0, v3, vcc
	global_load_dwordx4 v[6:9], v[12:13], off
	global_load_dwordx4 v[2:5], v[12:13], off offset:2048
	s_waitcnt vmcnt(8)
	v_mad_i64_i32 v[10:11], s[6:7], v10, s41, v[22:23]
	v_or_b32_e32 v28, 0x100, v26
	v_add_co_u32_e32 v10, vcc, v10, v28
	v_addc_co_u32_e32 v11, vcc, 0, v11, vcc
	v_add_co_u32_e32 v20, vcc, v10, v25
	v_addc_co_u32_e32 v21, vcc, 0, v11, vcc
	s_waitcnt vmcnt(7)
	v_mad_i64_i32 v[18:19], s[6:7], v18, s41, v[22:23]
	v_add_co_u32_e32 v18, vcc, v18, v26
	v_addc_co_u32_e32 v19, vcc, 0, v19, vcc
	v_add_co_u32_e32 v26, vcc, v18, v25
	v_addc_co_u32_e32 v27, vcc, 0, v19, vcc
	s_waitcnt vmcnt(6)
	v_mad_i64_i32 v[22:23], s[6:7], v24, s41, v[22:23]
	v_add_co_u32_e32 v22, vcc, v22, v28
	v_addc_co_u32_e32 v23, vcc, 0, v23, vcc
	v_add_co_u32_e32 v30, vcc, v22, v25
	v_addc_co_u32_e32 v31, vcc, 0, v23, vcc
	s_add_u32 s6, s14, s10
	global_load_dwordx4 v[10:13], v[20:21], off
	global_load_dwordx4 v[14:17], v[20:21], off offset:2048
	global_load_dwordx4 v[38:41], v[26:27], off
	s_nop 0
	global_load_dwordx4 v[18:21], v[26:27], off offset:2048
	s_nop 0
	global_load_dwordx4 v[26:29], v[30:31], off
	global_load_dwordx4 v[22:25], v[30:31], off offset:2048
	s_addc_u32 s7, s15, 0
	v_and_b32_e32 v30, 16, v0
	v_mov_b32_e32 v31, s7
	v_add_co_u32_e32 v51, vcc, s6, v30
	v_lshl_or_b32 v63, v62, 4, v55
	v_addc_co_u32_e32 v52, vcc, 0, v31, vcc
	v_lshlrev_b32_e32 v53, 5, v63
	v_add_co_u32_e32 v42, vcc, v51, v53
	v_addc_co_u32_e32 v43, vcc, 0, v52, vcc
	v_or_b32_e32 v53, 0x800, v53
	v_add_co_u32_e32 v58, vcc, v51, v53
	v_addc_co_u32_e32 v59, vcc, 0, v52, vcc
	v_cmp_gt_u32_e32 vcc, 12, v55
	s_waitcnt vmcnt(11)
	v_mad_i64_i32 v[30:31], s[6:7], v50, s41, v[42:43]
	s_waitcnt vmcnt(10)
	v_mad_i64_i32 v[34:35], s[6:7], v57, s41, v[42:43]
	global_load_dwordx4 v[30:33], v[30:31], off
	v_mad_i64_i32 v[50:51], s[6:7], v50, s41, v[58:59]
	global_load_dwordx4 v[34:37], v[34:35], off
	v_mad_i64_i32 v[60:61], s[6:7], v57, s41, v[58:59]
	s_mov_b32 s12, 0
	s_movk_i32 s13, 0x80
	s_waitcnt vmcnt(11)
	v_mad_i64_i32 v[44:45], s[6:7], v64, s41, v[42:43]
	s_waitcnt vmcnt(10)
	v_mad_i64_i32 v[42:43], s[6:7], v65, s41, v[42:43]
	global_load_dwordx4 v[46:49], v[44:45], off
	s_nop 0
	global_load_dwordx4 v[42:45], v[42:43], off
	s_movk_i32 s14, 0x7f
	global_load_dwordx4 v[50:53], v[50:51], off
	s_mov_b32 s15, 0xffffff
	global_load_dwordx4 v[66:69], v[60:61], off
	s_mov_b32 s16, 0x5040100
	s_waitcnt vmcnt(13)
	buffer_store_dword v9, off, s[0:3], 0 offset:12
	buffer_store_dword v8, off, s[0:3], 0 offset:8
	v_mad_i64_i32 v[8:9], s[6:7], v64, s41, v[58:59]
	global_load_dwordx4 v[70:73], v[8:9], off
	v_mad_i64_i32 v[8:9], s[6:7], v65, s41, v[58:59]
	global_load_dwordx4 v[74:77], v[8:9], off
	v_and_b32_e32 v64, 63, v0
	buffer_store_dword v7, off, s[0:3], 0 offset:4
	buffer_store_dword v6, off, s[0:3], 0
	s_waitcnt vmcnt(18)
	buffer_store_dword v5, off, s[0:3], 0 offset:28
	buffer_store_dword v4, off, s[0:3], 0 offset:24
	;; [unrolled: 1-line block ×4, first 2 shown]
	s_waitcnt vmcnt(21)
	buffer_store_dword v13, off, s[0:3], 0 offset:44
	buffer_store_dword v12, off, s[0:3], 0 offset:40
	;; [unrolled: 1-line block ×4, first 2 shown]
	v_mov_b32_e32 v2, 0x80
	s_load_dword s6, s[4:5], 0x1c
	s_load_dwordx4 s[40:43], s[4:5], 0x80
	v_add_u32_e32 v57, 16, v2
	s_waitcnt vmcnt(24)
	buffer_store_dword v17, off, s[0:3], 0 offset:60
	buffer_store_dword v16, off, s[0:3], 0 offset:56
	;; [unrolled: 1-line block ×4, first 2 shown]
	v_add_u32_e32 v61, 32, v2
	v_add_u32_e32 v58, 48, v2
	v_add_u32_e32 v60, 64, v2
	v_add_u32_e32 v59, 0x50, v2
	s_waitcnt vmcnt(27)
	buffer_store_dword v41, off, s[0:3], 0 offset:76
	buffer_store_dword v40, off, s[0:3], 0 offset:72
	;; [unrolled: 1-line block ×4, first 2 shown]
	v_add_u32_e32 v41, 0x60, v2
	v_add_u32_e32 v39, 0x70, v2
	v_add_u32_e32 v2, -12, v55
	v_cndmask_b32_e32 v2, v2, v55, vcc
	v_lshlrev_b32_e32 v2, 5, v2
	v_lshl_add_u32 v14, v1, 9, v2
	ds_read_b128 v[2:5], v14
	ds_read_b128 v[6:9], v14 offset:16
	ds_read_b128 v[10:13], v14 offset:2048
	;; [unrolled: 1-line block ×3, first 2 shown]
	s_waitcnt vmcnt(30)
	buffer_store_dword v21, off, s[0:3], 0 offset:92
	buffer_store_dword v20, off, s[0:3], 0 offset:88
	buffer_store_dword v19, off, s[0:3], 0 offset:84
	buffer_store_dword v18, off, s[0:3], 0 offset:80
	s_waitcnt vmcnt(33)
	buffer_store_dword v29, off, s[0:3], 0 offset:108
	buffer_store_dword v28, off, s[0:3], 0 offset:104
	buffer_store_dword v27, off, s[0:3], 0 offset:100
	buffer_store_dword v26, off, s[0:3], 0 offset:96
	s_waitcnt vmcnt(36)
	buffer_store_dword v22, off, s[0:3], 0 offset:112
	buffer_store_dword v23, off, s[0:3], 0 offset:116
	buffer_store_dword v24, off, s[0:3], 0 offset:120
	buffer_store_dword v25, off, s[0:3], 0 offset:124
	s_waitcnt vmcnt(39)
	buffer_store_dword v33, off, s[0:3], 0 offset:140
	buffer_store_dword v32, off, s[0:3], 0 offset:136
	buffer_store_dword v31, off, s[0:3], 0 offset:132
	buffer_store_dword v30, off, s[0:3], 0 offset:128
	s_waitcnt vmcnt(42)
	buffer_store_dword v37, off, s[0:3], 0 offset:172
	buffer_store_dword v36, off, s[0:3], 0 offset:168
	buffer_store_dword v35, off, s[0:3], 0 offset:164
	buffer_store_dword v34, off, s[0:3], 0 offset:160
	s_waitcnt vmcnt(45)
	buffer_store_dword v49, off, s[0:3], 0 offset:204
	buffer_store_dword v48, off, s[0:3], 0 offset:200
	buffer_store_dword v47, off, s[0:3], 0 offset:196
	buffer_store_dword v46, off, s[0:3], 0 offset:192
	s_waitcnt vmcnt(48)
	buffer_store_dword v45, off, s[0:3], 0 offset:236
	buffer_store_dword v44, off, s[0:3], 0 offset:232
	buffer_store_dword v43, off, s[0:3], 0 offset:228
	buffer_store_dword v42, off, s[0:3], 0 offset:224
	s_waitcnt vmcnt(51)
	buffer_store_dword v53, off, s[0:3], 0 offset:156
	buffer_store_dword v52, off, s[0:3], 0 offset:152
	buffer_store_dword v51, off, s[0:3], 0 offset:148
	buffer_store_dword v50, off, s[0:3], 0 offset:144
	s_waitcnt vmcnt(54)
	buffer_store_dword v69, off, s[0:3], 0 offset:188
	buffer_store_dword v68, off, s[0:3], 0 offset:184
	buffer_store_dword v67, off, s[0:3], 0 offset:180
	buffer_store_dword v66, off, s[0:3], 0 offset:176
	s_waitcnt vmcnt(55)
	buffer_store_dword v73, off, s[0:3], 0 offset:220
	buffer_store_dword v72, off, s[0:3], 0 offset:216
	buffer_store_dword v71, off, s[0:3], 0 offset:212
	buffer_store_dword v70, off, s[0:3], 0 offset:208
	s_waitcnt vmcnt(58)
	buffer_store_dword v77, off, s[0:3], 0 offset:252
	s_waitcnt lgkmcnt(0)
	s_load_dword s4, s[40:41], 0x0
	v_mov_b32_e32 v18, s6
	v_mov_b32_e32 v27, 0
	v_mov_b32_e32 v29, 0x100
	v_mov_b32_e32 v31, 0
	s_waitcnt lgkmcnt(0)
	v_mul_f32_e32 v22, s4, v18
	v_mov_b32_e32 v24, v22
	v_mov_b32_e32 v25, v22
	v_bfrev_b32_e32 v33, 60
	buffer_store_dword v76, off, s[0:3], 0 offset:248
	buffer_store_dword v75, off, s[0:3], 0 offset:244
	;; [unrolled: 1-line block ×3, first 2 shown]
	s_branch .LBB953_15
.LBB953_12:                             ;   in Loop: Header=BB953_15 Depth=1
	s_or_b64 exec, exec, s[10:11]
.LBB953_13:                             ;   in Loop: Header=BB953_15 Depth=1
	s_or_b64 exec, exec, s[6:7]
.LBB953_14:                             ;   in Loop: Header=BB953_15 Depth=1
	s_or_b64 exec, exec, s[4:5]
	v_perm_b32 v43, v36, v32, s16
	v_perm_b32 v42, v23, v34, s16
	;; [unrolled: 1-line block ×4, first 2 shown]
	v_add_u32_e32 v26, s12, v29
	v_mfma_f32_16x16x16bf16_1k v[18:21], v[42:43], v[14:15], v[18:21]
	s_add_i32 s12, s12, 16
	v_mov_b32_e32 v23, v22
	s_cmp_eq_u32 s12, 64
	v_add_u32_e32 v27, 32, v27
	v_mfma_f32_16x16x16bf16_1k v[18:21], v[36:37], v[16:17], v[18:21]
	s_nop 7
	s_nop 2
	v_pk_mul_f32 v[18:19], v[24:25], v[18:19]
	v_pk_mul_f32 v[20:21], v[22:23], v[20:21]
	buffer_store_dword v19, v26, s[0:3], 0 offen offset:4
	buffer_store_dword v18, v26, s[0:3], 0 offen
	buffer_store_dword v21, v26, s[0:3], 0 offen offset:12
	buffer_store_dword v20, v26, s[0:3], 0 offen offset:8
	s_cbranch_scc1 .LBB953_205
.LBB953_15:                             ; =>This Inner Loop Header: Depth=1
	buffer_load_dword v20, v27, s[0:3], 0 offen
	buffer_load_dword v18, v27, s[0:3], 0 offen offset:4
	buffer_load_dword v28, v27, s[0:3], 0 offen offset:8
	;; [unrolled: 1-line block ×3, first 2 shown]
	v_mov_b32_e32 v19, 0
	s_waitcnt vmcnt(3)
	v_cmp_ne_u16_sdwa s[6:7], v20, v31 src0_sel:BYTE_0 src1_sel:DWORD
	s_and_saveexec_b64 s[4:5], s[6:7]
	s_cbranch_execz .LBB953_21
; %bb.16:                               ;   in Loop: Header=BB953_15 Depth=1
	v_cmp_ne_u16_sdwa s[10:11], v20, s13 src0_sel:BYTE_0 src1_sel:DWORD
	v_mov_b32_e32 v19, 0xffff8000
	s_and_saveexec_b64 s[6:7], s[10:11]
	s_cbranch_execz .LBB953_20
; %bb.17:                               ;   in Loop: Header=BB953_15 Depth=1
	v_and_b32_e32 v21, 0x7f, v20
	v_cmp_ne_u32_e32 vcc, s14, v21
	v_mov_b32_e32 v19, 0x7f80
	s_and_saveexec_b64 s[10:11], vcc
	s_cbranch_execz .LBB953_19
; %bb.18:                               ;   in Loop: Header=BB953_15 Depth=1
	v_and_b32_e32 v19, 7, v20
	v_ffbh_u32_e32 v30, v19
	v_min_u32_e32 v30, 32, v30
	v_subrev_u32_e32 v32, 28, v30
	v_lshlrev_b64 v[34:35], v32, v[20:21]
	v_lshrrev_b32_e32 v23, 3, v21
	v_sub_u32_e32 v30, 29, v30
	v_and_b32_e32 v32, 7, v34
	v_cmp_gt_u32_e32 vcc, 8, v21
	v_cndmask_b32_e32 v21, v23, v30, vcc
	v_cndmask_b32_e32 v19, v19, v32, vcc
	v_lshlrev_b32_e32 v23, 24, v20
	v_lshlrev_b32_e32 v19, 20, v19
	v_and_b32_e32 v23, 0x80000000, v23
	v_lshl_add_u32 v21, v21, 23, v33
	v_or3_b32 v19, v23, v21, v19
	v_lshrrev_b32_e32 v19, 16, v19
.LBB953_19:                             ;   in Loop: Header=BB953_15 Depth=1
	s_or_b64 exec, exec, s[10:11]
.LBB953_20:                             ;   in Loop: Header=BB953_15 Depth=1
	s_or_b64 exec, exec, s[6:7]
.LBB953_21:                             ;   in Loop: Header=BB953_15 Depth=1
	s_or_b64 exec, exec, s[4:5]
	v_lshrrev_b16_e32 v30, 8, v20
	v_cmp_ne_u16_e32 vcc, 0, v30
	v_mov_b32_e32 v23, 0
	v_mov_b32_e32 v21, 0
	s_and_saveexec_b64 s[4:5], vcc
	s_cbranch_execz .LBB953_27
; %bb.22:                               ;   in Loop: Header=BB953_15 Depth=1
	v_cmp_ne_u16_e32 vcc, s13, v30
	v_mov_b32_e32 v21, 0xffff8000
	s_and_saveexec_b64 s[6:7], vcc
	s_cbranch_execz .LBB953_26
; %bb.23:                               ;   in Loop: Header=BB953_15 Depth=1
	v_and_b32_e32 v32, 0x7f, v30
	v_cmp_ne_u32_e32 vcc, s14, v32
	v_mov_b32_e32 v21, 0x7f80
	s_and_saveexec_b64 s[10:11], vcc
	s_cbranch_execz .LBB953_25
; %bb.24:                               ;   in Loop: Header=BB953_15 Depth=1
	v_and_b32_e32 v21, 7, v30
	v_ffbh_u32_e32 v34, v21
	v_min_u32_e32 v37, 32, v34
	v_subrev_u32_e32 v34, 28, v37
	v_lshlrev_b64 v[34:35], v34, v[30:31]
	v_lshrrev_b32_e32 v36, 3, v32
	v_sub_u32_e32 v30, 29, v37
	v_and_b32_e32 v34, 7, v34
	v_cmp_gt_u32_e32 vcc, 8, v32
	v_cndmask_b32_e32 v30, v36, v30, vcc
	v_cndmask_b32_e32 v21, v21, v34, vcc
	v_lshlrev_b32_e32 v32, 16, v20
	v_lshlrev_b32_e32 v21, 20, v21
	v_and_b32_e32 v32, 0x80000000, v32
	v_lshl_add_u32 v30, v30, 23, v33
	v_or3_b32 v21, v32, v30, v21
	v_lshrrev_b32_e32 v21, 16, v21
.LBB953_25:                             ;   in Loop: Header=BB953_15 Depth=1
	s_or_b64 exec, exec, s[10:11]
.LBB953_26:                             ;   in Loop: Header=BB953_15 Depth=1
	s_or_b64 exec, exec, s[6:7]
.LBB953_27:                             ;   in Loop: Header=BB953_15 Depth=1
	s_or_b64 exec, exec, s[4:5]
	v_lshrrev_b32_e32 v30, 16, v20
	v_cmp_ne_u16_sdwa s[6:7], v30, v31 src0_sel:BYTE_0 src1_sel:DWORD
	s_and_saveexec_b64 s[4:5], s[6:7]
	s_cbranch_execz .LBB953_33
; %bb.28:                               ;   in Loop: Header=BB953_15 Depth=1
	v_cmp_ne_u16_sdwa s[10:11], v30, s13 src0_sel:BYTE_0 src1_sel:DWORD
	v_mov_b32_e32 v23, 0xffff8000
	s_and_saveexec_b64 s[6:7], s[10:11]
	s_cbranch_execz .LBB953_32
; %bb.29:                               ;   in Loop: Header=BB953_15 Depth=1
	v_bfe_u32 v32, v20, 16, 7
	v_cmp_ne_u32_e32 vcc, s14, v32
	v_mov_b32_e32 v23, 0x7f80
	s_and_saveexec_b64 s[10:11], vcc
	s_cbranch_execz .LBB953_31
; %bb.30:                               ;   in Loop: Header=BB953_15 Depth=1
	v_and_b32_e32 v23, 7, v30
	v_ffbh_u32_e32 v34, v23
	v_min_u32_e32 v37, 32, v34
	v_subrev_u32_e32 v34, 28, v37
	v_lshlrev_b64 v[34:35], v34, v[30:31]
	v_lshrrev_b32_e32 v36, 3, v32
	v_sub_u32_e32 v35, 29, v37
	v_and_b32_e32 v34, 7, v34
	v_cmp_gt_u32_e32 vcc, 8, v32
	v_cndmask_b32_e32 v32, v36, v35, vcc
	v_cndmask_b32_e32 v23, v23, v34, vcc
	v_lshlrev_b32_e32 v30, 24, v30
	v_lshlrev_b32_e32 v23, 20, v23
	v_and_b32_e32 v30, 0x80000000, v30
	v_lshl_add_u32 v32, v32, 23, v33
	v_or3_b32 v23, v30, v32, v23
	v_lshrrev_b32_e32 v23, 16, v23
.LBB953_31:                             ;   in Loop: Header=BB953_15 Depth=1
	s_or_b64 exec, exec, s[10:11]
.LBB953_32:                             ;   in Loop: Header=BB953_15 Depth=1
	s_or_b64 exec, exec, s[6:7]
.LBB953_33:                             ;   in Loop: Header=BB953_15 Depth=1
	s_or_b64 exec, exec, s[4:5]
	v_cmp_lt_u32_e32 vcc, s15, v20
	v_mov_b32_e32 v34, 0
	v_mov_b32_e32 v35, 0
	s_and_saveexec_b64 s[4:5], vcc
	s_cbranch_execz .LBB953_39
; %bb.34:                               ;   in Loop: Header=BB953_15 Depth=1
	v_lshrrev_b32_e32 v30, 24, v20
	v_cmp_ne_u32_e32 vcc, s13, v30
	v_mov_b32_e32 v35, 0xffff8000
	s_and_saveexec_b64 s[6:7], vcc
	s_cbranch_execz .LBB953_38
; %bb.35:                               ;   in Loop: Header=BB953_15 Depth=1
	v_bfe_u32 v20, v20, 24, 7
	v_cmp_ne_u32_e32 vcc, s14, v20
	v_mov_b32_e32 v35, 0x7f80
	s_and_saveexec_b64 s[10:11], vcc
	s_cbranch_execz .LBB953_37
; %bb.36:                               ;   in Loop: Header=BB953_15 Depth=1
	v_and_b32_e32 v32, 7, v30
	v_ffbh_u32_e32 v36, v32
	v_min_u32_e32 v38, 32, v36
	v_subrev_u32_e32 v36, 28, v38
	v_lshlrev_b64 v[36:37], v36, v[30:31]
	v_lshrrev_b32_e32 v35, 3, v20
	v_sub_u32_e32 v37, 29, v38
	v_and_b32_e32 v36, 7, v36
	v_cmp_gt_u32_e32 vcc, 8, v20
	v_cndmask_b32_e32 v20, v35, v37, vcc
	v_cndmask_b32_e32 v32, v32, v36, vcc
	v_lshlrev_b32_e32 v30, 24, v30
	v_lshlrev_b32_e32 v32, 20, v32
	v_and_b32_e32 v30, 0x80000000, v30
	v_lshl_add_u32 v20, v20, 23, v33
	v_or3_b32 v20, v30, v20, v32
	v_lshrrev_b32_e32 v35, 16, v20
.LBB953_37:                             ;   in Loop: Header=BB953_15 Depth=1
	s_or_b64 exec, exec, s[10:11]
.LBB953_38:                             ;   in Loop: Header=BB953_15 Depth=1
	s_or_b64 exec, exec, s[6:7]
.LBB953_39:                             ;   in Loop: Header=BB953_15 Depth=1
	s_or_b64 exec, exec, s[4:5]
	s_waitcnt vmcnt(2)
	v_cmp_ne_u16_sdwa s[6:7], v18, v31 src0_sel:BYTE_0 src1_sel:DWORD
	s_and_saveexec_b64 s[4:5], s[6:7]
	s_cbranch_execz .LBB953_45
; %bb.40:                               ;   in Loop: Header=BB953_15 Depth=1
	v_cmp_ne_u16_sdwa s[10:11], v18, s13 src0_sel:BYTE_0 src1_sel:DWORD
	v_mov_b32_e32 v34, 0xffff8000
	s_and_saveexec_b64 s[6:7], s[10:11]
	s_cbranch_execz .LBB953_44
; %bb.41:                               ;   in Loop: Header=BB953_15 Depth=1
	v_and_b32_e32 v20, 0x7f, v18
	v_cmp_ne_u32_e32 vcc, s14, v20
	v_mov_b32_e32 v34, 0x7f80
	s_and_saveexec_b64 s[10:11], vcc
	s_cbranch_execz .LBB953_43
; %bb.42:                               ;   in Loop: Header=BB953_15 Depth=1
	v_and_b32_e32 v30, 7, v18
	v_ffbh_u32_e32 v34, v30
	v_min_u32_e32 v34, 32, v34
	v_subrev_u32_e32 v36, 28, v34
	v_lshlrev_b64 v[36:37], v36, v[18:19]
	v_lshrrev_b32_e32 v32, 3, v20
	v_sub_u32_e32 v34, 29, v34
	v_and_b32_e32 v36, 7, v36
	v_cmp_gt_u32_e32 vcc, 8, v20
	v_cndmask_b32_e32 v20, v32, v34, vcc
	v_cndmask_b32_e32 v30, v30, v36, vcc
	v_lshlrev_b32_e32 v32, 24, v18
	v_lshlrev_b32_e32 v30, 20, v30
	v_and_b32_e32 v32, 0x80000000, v32
	v_lshl_add_u32 v20, v20, 23, v33
	v_or3_b32 v20, v32, v20, v30
	v_lshrrev_b32_e32 v34, 16, v20
.LBB953_43:                             ;   in Loop: Header=BB953_15 Depth=1
	s_or_b64 exec, exec, s[10:11]
.LBB953_44:                             ;   in Loop: Header=BB953_15 Depth=1
	s_or_b64 exec, exec, s[6:7]
.LBB953_45:                             ;   in Loop: Header=BB953_15 Depth=1
	s_or_b64 exec, exec, s[4:5]
	v_lshrrev_b16_e32 v20, 8, v18
	v_cmp_ne_u16_e32 vcc, 0, v20
	v_mov_b32_e32 v36, 0
	v_mov_b32_e32 v30, 0
	s_and_saveexec_b64 s[4:5], vcc
	s_cbranch_execz .LBB953_51
; %bb.46:                               ;   in Loop: Header=BB953_15 Depth=1
	v_cmp_ne_u16_e32 vcc, s13, v20
	v_mov_b32_e32 v30, 0xffff8000
	s_and_saveexec_b64 s[6:7], vcc
	s_cbranch_execz .LBB953_50
; %bb.47:                               ;   in Loop: Header=BB953_15 Depth=1
	v_and_b32_e32 v32, 0x7f, v20
	v_cmp_ne_u32_e32 vcc, s14, v32
	v_mov_b32_e32 v30, 0x7f80
	s_and_saveexec_b64 s[10:11], vcc
	s_cbranch_execz .LBB953_49
; %bb.48:                               ;   in Loop: Header=BB953_15 Depth=1
	v_and_b32_e32 v30, 7, v20
	v_ffbh_u32_e32 v38, v30
	v_min_u32_e32 v38, 32, v38
	v_subrev_u32_e32 v40, 28, v38
	v_lshlrev_b64 v[42:43], v40, v[20:21]
	v_lshrrev_b32_e32 v37, 3, v32
	v_sub_u32_e32 v20, 29, v38
	v_and_b32_e32 v38, 7, v42
	v_cmp_gt_u32_e32 vcc, 8, v32
	v_cndmask_b32_e32 v20, v37, v20, vcc
	v_cndmask_b32_e32 v30, v30, v38, vcc
	v_lshlrev_b32_e32 v32, 16, v18
	v_lshlrev_b32_e32 v30, 20, v30
	v_and_b32_e32 v32, 0x80000000, v32
	v_lshl_add_u32 v20, v20, 23, v33
	v_or3_b32 v20, v32, v20, v30
	v_lshrrev_b32_e32 v30, 16, v20
.LBB953_49:                             ;   in Loop: Header=BB953_15 Depth=1
	s_or_b64 exec, exec, s[10:11]
.LBB953_50:                             ;   in Loop: Header=BB953_15 Depth=1
	s_or_b64 exec, exec, s[6:7]
.LBB953_51:                             ;   in Loop: Header=BB953_15 Depth=1
	s_or_b64 exec, exec, s[4:5]
	v_lshrrev_b32_e32 v20, 16, v18
	v_cmp_ne_u16_sdwa s[6:7], v20, v31 src0_sel:BYTE_0 src1_sel:DWORD
	s_and_saveexec_b64 s[4:5], s[6:7]
	s_cbranch_execz .LBB953_57
; %bb.52:                               ;   in Loop: Header=BB953_15 Depth=1
	v_cmp_ne_u16_sdwa s[10:11], v20, s13 src0_sel:BYTE_0 src1_sel:DWORD
	v_mov_b32_e32 v36, 0xffff8000
	s_and_saveexec_b64 s[6:7], s[10:11]
	s_cbranch_execz .LBB953_56
; %bb.53:                               ;   in Loop: Header=BB953_15 Depth=1
	v_bfe_u32 v32, v18, 16, 7
	v_cmp_ne_u32_e32 vcc, s14, v32
	v_mov_b32_e32 v36, 0x7f80
	s_and_saveexec_b64 s[10:11], vcc
	s_cbranch_execz .LBB953_55
; %bb.54:                               ;   in Loop: Header=BB953_15 Depth=1
	v_and_b32_e32 v38, 7, v20
	v_ffbh_u32_e32 v36, v38
	v_min_u32_e32 v42, 32, v36
	v_subrev_u32_e32 v36, 28, v42
	v_lshlrev_b64 v[36:37], v36, v[20:21]
	v_lshrrev_b32_e32 v40, 3, v32
	v_sub_u32_e32 v37, 29, v42
	v_and_b32_e32 v36, 7, v36
	v_cmp_gt_u32_e32 vcc, 8, v32
	v_cndmask_b32_e32 v32, v40, v37, vcc
	v_cndmask_b32_e32 v36, v38, v36, vcc
	v_lshlrev_b32_e32 v20, 24, v20
	v_lshlrev_b32_e32 v36, 20, v36
	v_and_b32_e32 v20, 0x80000000, v20
	v_lshl_add_u32 v32, v32, 23, v33
	v_or3_b32 v20, v20, v32, v36
	v_lshrrev_b32_e32 v36, 16, v20
.LBB953_55:                             ;   in Loop: Header=BB953_15 Depth=1
	s_or_b64 exec, exec, s[10:11]
.LBB953_56:                             ;   in Loop: Header=BB953_15 Depth=1
	s_or_b64 exec, exec, s[6:7]
.LBB953_57:                             ;   in Loop: Header=BB953_15 Depth=1
	s_or_b64 exec, exec, s[4:5]
	v_cmp_lt_u32_e32 vcc, s15, v18
	v_mov_b32_e32 v32, 0
	v_mov_b32_e32 v37, 0
	s_and_saveexec_b64 s[4:5], vcc
	s_cbranch_execz .LBB953_63
; %bb.58:                               ;   in Loop: Header=BB953_15 Depth=1
	v_lshrrev_b32_e32 v20, 24, v18
	v_cmp_ne_u32_e32 vcc, s13, v20
	v_mov_b32_e32 v37, 0xffff8000
	s_and_saveexec_b64 s[6:7], vcc
	s_cbranch_execz .LBB953_62
; %bb.59:                               ;   in Loop: Header=BB953_15 Depth=1
	v_bfe_u32 v18, v18, 24, 7
	v_cmp_ne_u32_e32 vcc, s14, v18
	v_mov_b32_e32 v37, 0x7f80
	s_and_saveexec_b64 s[10:11], vcc
	s_cbranch_execz .LBB953_61
; %bb.60:                               ;   in Loop: Header=BB953_15 Depth=1
	v_and_b32_e32 v37, 7, v20
	v_ffbh_u32_e32 v40, v37
	v_min_u32_e32 v40, 32, v40
	v_subrev_u32_e32 v42, 28, v40
	v_lshlrev_b64 v[42:43], v42, v[20:21]
	v_lshrrev_b32_e32 v38, 3, v18
	v_sub_u32_e32 v40, 29, v40
	v_and_b32_e32 v42, 7, v42
	v_cmp_gt_u32_e32 vcc, 8, v18
	v_cndmask_b32_e32 v18, v38, v40, vcc
	v_cndmask_b32_e32 v37, v37, v42, vcc
	v_lshlrev_b32_e32 v20, 24, v20
	v_lshlrev_b32_e32 v37, 20, v37
	v_and_b32_e32 v20, 0x80000000, v20
	v_lshl_add_u32 v18, v18, 23, v33
	v_or3_b32 v18, v20, v18, v37
	v_lshrrev_b32_e32 v37, 16, v18
.LBB953_61:                             ;   in Loop: Header=BB953_15 Depth=1
	s_or_b64 exec, exec, s[10:11]
.LBB953_62:                             ;   in Loop: Header=BB953_15 Depth=1
	s_or_b64 exec, exec, s[6:7]
.LBB953_63:                             ;   in Loop: Header=BB953_15 Depth=1
	s_or_b64 exec, exec, s[4:5]
	v_perm_b32 v43, v35, v23, s16
	v_perm_b32 v42, v21, v19, s16
	;; [unrolled: 1-line block ×4, first 2 shown]
	s_waitcnt vmcnt(1)
	v_cmp_ne_u16_sdwa s[6:7], v28, v31 src0_sel:BYTE_0 src1_sel:DWORD
	v_mfma_f32_16x16x16bf16_1k v[18:21], v[42:43], v[2:3], 0
	v_mfma_f32_16x16x16bf16_1k v[18:21], v[34:35], v[4:5], v[18:21]
	s_and_saveexec_b64 s[4:5], s[6:7]
	s_cbranch_execz .LBB953_69
; %bb.64:                               ;   in Loop: Header=BB953_15 Depth=1
	v_cmp_ne_u16_sdwa s[10:11], v28, s13 src0_sel:BYTE_0 src1_sel:DWORD
	v_mov_b32_e32 v32, 0xffff8000
	s_and_saveexec_b64 s[6:7], s[10:11]
	s_cbranch_execz .LBB953_68
; %bb.65:                               ;   in Loop: Header=BB953_15 Depth=1
	v_and_b32_e32 v23, 0x7f, v28
	v_cmp_ne_u32_e32 vcc, s14, v23
	v_mov_b32_e32 v32, 0x7f80
	s_and_saveexec_b64 s[10:11], vcc
	s_cbranch_execz .LBB953_67
; %bb.66:                               ;   in Loop: Header=BB953_15 Depth=1
	v_and_b32_e32 v30, 7, v28
	v_ffbh_u32_e32 v34, v30
	v_min_u32_e32 v36, 32, v34
	v_subrev_u32_e32 v34, 28, v36
	v_lshlrev_b64 v[34:35], v34, v[28:29]
	v_lshrrev_b32_e32 v32, 3, v23
	v_sub_u32_e32 v35, 29, v36
	v_and_b32_e32 v34, 7, v34
	v_cmp_gt_u32_e32 vcc, 8, v23
	v_cndmask_b32_e32 v23, v32, v35, vcc
	v_cndmask_b32_e32 v30, v30, v34, vcc
	v_lshlrev_b32_e32 v32, 24, v28
	v_lshlrev_b32_e32 v30, 20, v30
	v_and_b32_e32 v32, 0x80000000, v32
	v_lshl_add_u32 v23, v23, 23, v33
	v_or3_b32 v23, v32, v23, v30
	v_lshrrev_b32_e32 v32, 16, v23
.LBB953_67:                             ;   in Loop: Header=BB953_15 Depth=1
	s_or_b64 exec, exec, s[10:11]
.LBB953_68:                             ;   in Loop: Header=BB953_15 Depth=1
	s_or_b64 exec, exec, s[6:7]
.LBB953_69:                             ;   in Loop: Header=BB953_15 Depth=1
	s_or_b64 exec, exec, s[4:5]
	v_lshrrev_b16_e32 v30, 8, v28
	v_cmp_ne_u16_e32 vcc, 0, v30
	v_mov_b32_e32 v35, 0
	v_mov_b32_e32 v34, 0
	s_and_saveexec_b64 s[4:5], vcc
	s_cbranch_execz .LBB953_75
; %bb.70:                               ;   in Loop: Header=BB953_15 Depth=1
	v_cmp_ne_u16_e32 vcc, s13, v30
	v_mov_b32_e32 v34, 0xffff8000
	s_and_saveexec_b64 s[6:7], vcc
	s_cbranch_execz .LBB953_74
; %bb.71:                               ;   in Loop: Header=BB953_15 Depth=1
	v_and_b32_e32 v23, 0x7f, v30
	v_cmp_ne_u32_e32 vcc, s14, v23
	v_mov_b32_e32 v34, 0x7f80
	s_and_saveexec_b64 s[10:11], vcc
	s_cbranch_execz .LBB953_73
; %bb.72:                               ;   in Loop: Header=BB953_15 Depth=1
	v_and_b32_e32 v34, 7, v30
	v_ffbh_u32_e32 v36, v34
	v_min_u32_e32 v40, 32, v36
	v_subrev_u32_e32 v36, 28, v40
	v_lshlrev_b64 v[36:37], v36, v[30:31]
	v_lshrrev_b32_e32 v38, 3, v23
	v_sub_u32_e32 v30, 29, v40
	v_and_b32_e32 v36, 7, v36
	v_cmp_gt_u32_e32 vcc, 8, v23
	v_cndmask_b32_e32 v23, v38, v30, vcc
	v_cndmask_b32_e32 v30, v34, v36, vcc
	v_lshlrev_b32_e32 v34, 16, v28
	v_lshlrev_b32_e32 v30, 20, v30
	v_and_b32_e32 v34, 0x80000000, v34
	v_lshl_add_u32 v23, v23, 23, v33
	v_or3_b32 v23, v34, v23, v30
	v_lshrrev_b32_e32 v34, 16, v23
.LBB953_73:                             ;   in Loop: Header=BB953_15 Depth=1
	s_or_b64 exec, exec, s[10:11]
.LBB953_74:                             ;   in Loop: Header=BB953_15 Depth=1
	s_or_b64 exec, exec, s[6:7]
.LBB953_75:                             ;   in Loop: Header=BB953_15 Depth=1
	s_or_b64 exec, exec, s[4:5]
	v_lshrrev_b32_e32 v30, 16, v28
	v_cmp_ne_u16_sdwa s[6:7], v30, v31 src0_sel:BYTE_0 src1_sel:DWORD
	s_and_saveexec_b64 s[4:5], s[6:7]
	s_cbranch_execz .LBB953_81
; %bb.76:                               ;   in Loop: Header=BB953_15 Depth=1
	v_cmp_ne_u16_sdwa s[10:11], v30, s13 src0_sel:BYTE_0 src1_sel:DWORD
	v_mov_b32_e32 v35, 0xffff8000
	s_and_saveexec_b64 s[6:7], s[10:11]
	s_cbranch_execz .LBB953_80
; %bb.77:                               ;   in Loop: Header=BB953_15 Depth=1
	v_bfe_u32 v23, v28, 16, 7
	v_cmp_ne_u32_e32 vcc, s14, v23
	v_mov_b32_e32 v35, 0x7f80
	s_and_saveexec_b64 s[10:11], vcc
	s_cbranch_execz .LBB953_79
; %bb.78:                               ;   in Loop: Header=BB953_15 Depth=1
	v_and_b32_e32 v35, 7, v30
	v_ffbh_u32_e32 v36, v35
	v_min_u32_e32 v40, 32, v36
	v_subrev_u32_e32 v36, 28, v40
	v_lshlrev_b64 v[36:37], v36, v[30:31]
	v_lshrrev_b32_e32 v38, 3, v23
	v_sub_u32_e32 v37, 29, v40
	v_and_b32_e32 v36, 7, v36
	v_cmp_gt_u32_e32 vcc, 8, v23
	v_cndmask_b32_e32 v23, v38, v37, vcc
	v_cndmask_b32_e32 v35, v35, v36, vcc
	v_lshlrev_b32_e32 v30, 24, v30
	v_lshlrev_b32_e32 v35, 20, v35
	v_and_b32_e32 v30, 0x80000000, v30
	v_lshl_add_u32 v23, v23, 23, v33
	v_or3_b32 v23, v30, v23, v35
	v_lshrrev_b32_e32 v35, 16, v23
.LBB953_79:                             ;   in Loop: Header=BB953_15 Depth=1
	s_or_b64 exec, exec, s[10:11]
.LBB953_80:                             ;   in Loop: Header=BB953_15 Depth=1
	s_or_b64 exec, exec, s[6:7]
.LBB953_81:                             ;   in Loop: Header=BB953_15 Depth=1
	s_or_b64 exec, exec, s[4:5]
	v_cmp_lt_u32_e32 vcc, s15, v28
	v_mov_b32_e32 v36, 0
	v_mov_b32_e32 v37, 0
	s_and_saveexec_b64 s[4:5], vcc
	s_cbranch_execz .LBB953_87
; %bb.82:                               ;   in Loop: Header=BB953_15 Depth=1
	v_lshrrev_b32_e32 v30, 24, v28
	v_cmp_ne_u32_e32 vcc, s13, v30
	v_mov_b32_e32 v37, 0xffff8000
	s_and_saveexec_b64 s[6:7], vcc
	s_cbranch_execz .LBB953_86
; %bb.83:                               ;   in Loop: Header=BB953_15 Depth=1
	v_bfe_u32 v23, v28, 24, 7
	v_cmp_ne_u32_e32 vcc, s14, v23
	v_mov_b32_e32 v37, 0x7f80
	s_and_saveexec_b64 s[10:11], vcc
	s_cbranch_execz .LBB953_85
; %bb.84:                               ;   in Loop: Header=BB953_15 Depth=1
	v_and_b32_e32 v28, 7, v30
	v_ffbh_u32_e32 v38, v28
	v_min_u32_e32 v38, 32, v38
	v_subrev_u32_e32 v40, 28, v38
	v_lshlrev_b64 v[42:43], v40, v[30:31]
	v_lshrrev_b32_e32 v37, 3, v23
	v_sub_u32_e32 v38, 29, v38
	v_and_b32_e32 v40, 7, v42
	v_cmp_gt_u32_e32 vcc, 8, v23
	v_cndmask_b32_e32 v23, v37, v38, vcc
	v_cndmask_b32_e32 v28, v28, v40, vcc
	v_lshlrev_b32_e32 v30, 24, v30
	v_lshlrev_b32_e32 v28, 20, v28
	v_and_b32_e32 v30, 0x80000000, v30
	v_lshl_add_u32 v23, v23, 23, v33
	v_or3_b32 v23, v30, v23, v28
	v_lshrrev_b32_e32 v37, 16, v23
.LBB953_85:                             ;   in Loop: Header=BB953_15 Depth=1
	s_or_b64 exec, exec, s[10:11]
.LBB953_86:                             ;   in Loop: Header=BB953_15 Depth=1
	s_or_b64 exec, exec, s[6:7]
.LBB953_87:                             ;   in Loop: Header=BB953_15 Depth=1
	s_or_b64 exec, exec, s[4:5]
	s_waitcnt vmcnt(0)
	v_cmp_ne_u16_sdwa s[6:7], v26, v31 src0_sel:BYTE_0 src1_sel:DWORD
	s_and_saveexec_b64 s[4:5], s[6:7]
	s_cbranch_execz .LBB953_93
; %bb.88:                               ;   in Loop: Header=BB953_15 Depth=1
	v_cmp_ne_u16_sdwa s[10:11], v26, s13 src0_sel:BYTE_0 src1_sel:DWORD
	v_mov_b32_e32 v36, 0xffff8000
	s_and_saveexec_b64 s[6:7], s[10:11]
	s_cbranch_execz .LBB953_92
; %bb.89:                               ;   in Loop: Header=BB953_15 Depth=1
	v_and_b32_e32 v23, 0x7f, v26
	v_cmp_ne_u32_e32 vcc, s14, v23
	v_mov_b32_e32 v36, 0x7f80
	s_and_saveexec_b64 s[10:11], vcc
	s_cbranch_execz .LBB953_91
; %bb.90:                               ;   in Loop: Header=BB953_15 Depth=1
	v_and_b32_e32 v28, 7, v26
	v_ffbh_u32_e32 v36, v28
	v_min_u32_e32 v36, 32, v36
	v_subrev_u32_e32 v38, 28, v36
	v_lshlrev_b64 v[42:43], v38, v[26:27]
	v_lshrrev_b32_e32 v30, 3, v23
	v_sub_u32_e32 v36, 29, v36
	v_and_b32_e32 v38, 7, v42
	v_cmp_gt_u32_e32 vcc, 8, v23
	v_cndmask_b32_e32 v23, v30, v36, vcc
	v_cndmask_b32_e32 v28, v28, v38, vcc
	v_lshlrev_b32_e32 v30, 24, v26
	v_lshlrev_b32_e32 v28, 20, v28
	v_and_b32_e32 v30, 0x80000000, v30
	v_lshl_add_u32 v23, v23, 23, v33
	v_or3_b32 v23, v30, v23, v28
	v_lshrrev_b32_e32 v36, 16, v23
.LBB953_91:                             ;   in Loop: Header=BB953_15 Depth=1
	s_or_b64 exec, exec, s[10:11]
.LBB953_92:                             ;   in Loop: Header=BB953_15 Depth=1
	s_or_b64 exec, exec, s[6:7]
.LBB953_93:                             ;   in Loop: Header=BB953_15 Depth=1
	s_or_b64 exec, exec, s[4:5]
	v_lshrrev_b16_e32 v28, 8, v26
	v_cmp_ne_u16_e32 vcc, 0, v28
	v_mov_b32_e32 v40, 0
	v_mov_b32_e32 v38, 0
	s_and_saveexec_b64 s[4:5], vcc
	s_cbranch_execz .LBB953_99
; %bb.94:                               ;   in Loop: Header=BB953_15 Depth=1
	v_cmp_ne_u16_e32 vcc, s13, v28
	v_mov_b32_e32 v38, 0xffff8000
	s_and_saveexec_b64 s[6:7], vcc
	s_cbranch_execz .LBB953_98
; %bb.95:                               ;   in Loop: Header=BB953_15 Depth=1
	v_and_b32_e32 v23, 0x7f, v28
	v_cmp_ne_u32_e32 vcc, s14, v23
	v_mov_b32_e32 v38, 0x7f80
	s_and_saveexec_b64 s[10:11], vcc
	s_cbranch_execz .LBB953_97
; %bb.96:                               ;   in Loop: Header=BB953_15 Depth=1
	v_and_b32_e32 v30, 7, v28
	v_ffbh_u32_e32 v42, v30
	v_min_u32_e32 v44, 32, v42
	v_subrev_u32_e32 v42, 28, v44
	v_lshlrev_b64 v[42:43], v42, v[28:29]
	v_lshrrev_b32_e32 v38, 3, v23
	v_sub_u32_e32 v28, 29, v44
	v_and_b32_e32 v42, 7, v42
	v_cmp_gt_u32_e32 vcc, 8, v23
	v_cndmask_b32_e32 v23, v38, v28, vcc
	v_cndmask_b32_e32 v28, v30, v42, vcc
	v_lshlrev_b32_e32 v30, 16, v26
	v_lshlrev_b32_e32 v28, 20, v28
	v_and_b32_e32 v30, 0x80000000, v30
	v_lshl_add_u32 v23, v23, 23, v33
	v_or3_b32 v23, v30, v23, v28
	v_lshrrev_b32_e32 v38, 16, v23
.LBB953_97:                             ;   in Loop: Header=BB953_15 Depth=1
	s_or_b64 exec, exec, s[10:11]
.LBB953_98:                             ;   in Loop: Header=BB953_15 Depth=1
	s_or_b64 exec, exec, s[6:7]
.LBB953_99:                             ;   in Loop: Header=BB953_15 Depth=1
	s_or_b64 exec, exec, s[4:5]
	v_lshrrev_b32_e32 v28, 16, v26
	v_cmp_ne_u16_sdwa s[6:7], v28, v31 src0_sel:BYTE_0 src1_sel:DWORD
	s_and_saveexec_b64 s[4:5], s[6:7]
	s_cbranch_execz .LBB953_105
; %bb.100:                              ;   in Loop: Header=BB953_15 Depth=1
	v_cmp_ne_u16_sdwa s[10:11], v28, s13 src0_sel:BYTE_0 src1_sel:DWORD
	v_mov_b32_e32 v40, 0xffff8000
	s_and_saveexec_b64 s[6:7], s[10:11]
	s_cbranch_execz .LBB953_104
; %bb.101:                              ;   in Loop: Header=BB953_15 Depth=1
	v_bfe_u32 v23, v26, 16, 7
	v_cmp_ne_u32_e32 vcc, s14, v23
	v_mov_b32_e32 v40, 0x7f80
	s_and_saveexec_b64 s[10:11], vcc
	s_cbranch_execz .LBB953_103
; %bb.102:                              ;   in Loop: Header=BB953_15 Depth=1
	v_and_b32_e32 v30, 7, v28
	v_ffbh_u32_e32 v42, v30
	v_min_u32_e32 v44, 32, v42
	v_subrev_u32_e32 v42, 28, v44
	v_lshlrev_b64 v[42:43], v42, v[28:29]
	v_lshrrev_b32_e32 v40, 3, v23
	v_sub_u32_e32 v43, 29, v44
	v_and_b32_e32 v42, 7, v42
	v_cmp_gt_u32_e32 vcc, 8, v23
	v_cndmask_b32_e32 v23, v40, v43, vcc
	v_cndmask_b32_e32 v30, v30, v42, vcc
	v_lshlrev_b32_e32 v28, 24, v28
	v_lshlrev_b32_e32 v30, 20, v30
	v_and_b32_e32 v28, 0x80000000, v28
	v_lshl_add_u32 v23, v23, 23, v33
	v_or3_b32 v23, v28, v23, v30
	v_lshrrev_b32_e32 v40, 16, v23
.LBB953_103:                            ;   in Loop: Header=BB953_15 Depth=1
	s_or_b64 exec, exec, s[10:11]
.LBB953_104:                            ;   in Loop: Header=BB953_15 Depth=1
	s_or_b64 exec, exec, s[6:7]
.LBB953_105:                            ;   in Loop: Header=BB953_15 Depth=1
	s_or_b64 exec, exec, s[4:5]
	v_cmp_lt_u32_e32 vcc, s15, v26
	v_mov_b32_e32 v23, 0
	v_mov_b32_e32 v42, 0
	s_and_saveexec_b64 s[4:5], vcc
	s_cbranch_execz .LBB953_111
; %bb.106:                              ;   in Loop: Header=BB953_15 Depth=1
	v_lshrrev_b32_e32 v28, 24, v26
	v_cmp_ne_u32_e32 vcc, s13, v28
	v_mov_b32_e32 v42, 0xffff8000
	s_and_saveexec_b64 s[6:7], vcc
	s_cbranch_execz .LBB953_110
; %bb.107:                              ;   in Loop: Header=BB953_15 Depth=1
	v_bfe_u32 v26, v26, 24, 7
	v_cmp_ne_u32_e32 vcc, s14, v26
	v_mov_b32_e32 v42, 0x7f80
	s_and_saveexec_b64 s[10:11], vcc
	s_cbranch_execz .LBB953_109
; %bb.108:                              ;   in Loop: Header=BB953_15 Depth=1
	v_and_b32_e32 v30, 7, v28
	v_ffbh_u32_e32 v42, v30
	v_min_u32_e32 v45, 32, v42
	v_subrev_u32_e32 v42, 28, v45
	v_lshlrev_b64 v[42:43], v42, v[28:29]
	v_lshrrev_b32_e32 v44, 3, v26
	v_sub_u32_e32 v43, 29, v45
	v_and_b32_e32 v42, 7, v42
	v_cmp_gt_u32_e32 vcc, 8, v26
	v_cndmask_b32_e32 v26, v44, v43, vcc
	v_cndmask_b32_e32 v30, v30, v42, vcc
	v_lshlrev_b32_e32 v28, 24, v28
	v_lshlrev_b32_e32 v30, 20, v30
	v_and_b32_e32 v28, 0x80000000, v28
	v_lshl_add_u32 v26, v26, 23, v33
	v_or3_b32 v26, v28, v26, v30
	v_lshrrev_b32_e32 v42, 16, v26
.LBB953_109:                            ;   in Loop: Header=BB953_15 Depth=1
	s_or_b64 exec, exec, s[10:11]
.LBB953_110:                            ;   in Loop: Header=BB953_15 Depth=1
	s_or_b64 exec, exec, s[6:7]
.LBB953_111:                            ;   in Loop: Header=BB953_15 Depth=1
	s_or_b64 exec, exec, s[4:5]
	v_perm_b32 v34, v34, v32, s16
	buffer_load_dword v32, v27, s[0:3], 0 offen offset:16
	buffer_load_dword v30, v27, s[0:3], 0 offen offset:20
	;; [unrolled: 1-line block ×4, first 2 shown]
	v_perm_b32 v35, v37, v35, s16
	s_waitcnt vmcnt(3)
	v_cmp_ne_u16_sdwa s[6:7], v32, v31 src0_sel:BYTE_0 src1_sel:DWORD
	v_mfma_f32_16x16x16bf16_1k v[18:21], v[34:35], v[6:7], v[18:21]
	v_perm_b32 v35, v42, v40, s16
	v_perm_b32 v34, v38, v36, s16
	s_nop 1
	v_mfma_f32_16x16x16bf16_1k v[18:21], v[34:35], v[8:9], v[18:21]
	s_and_saveexec_b64 s[4:5], s[6:7]
	s_cbranch_execz .LBB953_117
; %bb.112:                              ;   in Loop: Header=BB953_15 Depth=1
	v_cmp_ne_u16_sdwa s[10:11], v32, s13 src0_sel:BYTE_0 src1_sel:DWORD
	v_mov_b32_e32 v23, 0xffff8000
	s_and_saveexec_b64 s[6:7], s[10:11]
	s_cbranch_execz .LBB953_116
; %bb.113:                              ;   in Loop: Header=BB953_15 Depth=1
	v_and_b32_e32 v34, 0x7f, v32
	v_cmp_ne_u32_e32 vcc, s14, v34
	v_mov_b32_e32 v23, 0x7f80
	s_and_saveexec_b64 s[10:11], vcc
	s_cbranch_execz .LBB953_115
; %bb.114:                              ;   in Loop: Header=BB953_15 Depth=1
	v_and_b32_e32 v23, 7, v32
	v_ffbh_u32_e32 v36, v23
	v_min_u32_e32 v38, 32, v36
	v_subrev_u32_e32 v36, 28, v38
	v_lshlrev_b64 v[36:37], v36, v[32:33]
	v_lshrrev_b32_e32 v35, 3, v34
	v_sub_u32_e32 v37, 29, v38
	v_and_b32_e32 v36, 7, v36
	v_cmp_gt_u32_e32 vcc, 8, v34
	v_cndmask_b32_e32 v34, v35, v37, vcc
	v_cndmask_b32_e32 v23, v23, v36, vcc
	v_lshlrev_b32_e32 v35, 24, v32
	v_lshlrev_b32_e32 v23, 20, v23
	v_and_b32_e32 v35, 0x80000000, v35
	v_lshl_add_u32 v34, v34, 23, v33
	v_or3_b32 v23, v35, v34, v23
	v_lshrrev_b32_e32 v23, 16, v23
.LBB953_115:                            ;   in Loop: Header=BB953_15 Depth=1
	s_or_b64 exec, exec, s[10:11]
.LBB953_116:                            ;   in Loop: Header=BB953_15 Depth=1
	s_or_b64 exec, exec, s[6:7]
.LBB953_117:                            ;   in Loop: Header=BB953_15 Depth=1
	s_or_b64 exec, exec, s[4:5]
	v_lshrrev_b16_e32 v34, 8, v32
	v_cmp_ne_u16_e32 vcc, 0, v34
	v_mov_b32_e32 v36, 0
	v_mov_b32_e32 v35, 0
	s_and_saveexec_b64 s[4:5], vcc
	s_cbranch_execz .LBB953_123
; %bb.118:                              ;   in Loop: Header=BB953_15 Depth=1
	v_cmp_ne_u16_e32 vcc, s13, v34
	v_mov_b32_e32 v35, 0xffff8000
	s_and_saveexec_b64 s[6:7], vcc
	s_cbranch_execz .LBB953_122
; %bb.119:                              ;   in Loop: Header=BB953_15 Depth=1
	v_and_b32_e32 v37, 0x7f, v34
	v_cmp_ne_u32_e32 vcc, s14, v37
	v_mov_b32_e32 v35, 0x7f80
	s_and_saveexec_b64 s[10:11], vcc
	s_cbranch_execz .LBB953_121
; %bb.120:                              ;   in Loop: Header=BB953_15 Depth=1
	v_and_b32_e32 v38, 7, v34
	v_ffbh_u32_e32 v35, v38
	v_min_u32_e32 v42, 32, v35
	v_subrev_u32_e32 v35, 28, v42
	v_lshlrev_b64 v[34:35], v35, v[34:35]
	v_lshrrev_b32_e32 v40, 3, v37
	v_sub_u32_e32 v35, 29, v42
	v_and_b32_e32 v34, 7, v34
	v_cmp_gt_u32_e32 vcc, 8, v37
	v_cndmask_b32_e32 v35, v40, v35, vcc
	v_cndmask_b32_e32 v34, v38, v34, vcc
	v_lshlrev_b32_e32 v37, 16, v32
	v_lshlrev_b32_e32 v34, 20, v34
	v_and_b32_e32 v37, 0x80000000, v37
	v_lshl_add_u32 v35, v35, 23, v33
	v_or3_b32 v34, v37, v35, v34
	v_lshrrev_b32_e32 v35, 16, v34
.LBB953_121:                            ;   in Loop: Header=BB953_15 Depth=1
	s_or_b64 exec, exec, s[10:11]
.LBB953_122:                            ;   in Loop: Header=BB953_15 Depth=1
	s_or_b64 exec, exec, s[6:7]
.LBB953_123:                            ;   in Loop: Header=BB953_15 Depth=1
	s_or_b64 exec, exec, s[4:5]
	v_lshrrev_b32_e32 v34, 16, v32
	v_cmp_ne_u16_sdwa s[6:7], v34, v31 src0_sel:BYTE_0 src1_sel:DWORD
	s_and_saveexec_b64 s[4:5], s[6:7]
	s_cbranch_execz .LBB953_129
; %bb.124:                              ;   in Loop: Header=BB953_15 Depth=1
	v_cmp_ne_u16_sdwa s[10:11], v34, s13 src0_sel:BYTE_0 src1_sel:DWORD
	v_mov_b32_e32 v36, 0xffff8000
	s_and_saveexec_b64 s[6:7], s[10:11]
	s_cbranch_execz .LBB953_128
; %bb.125:                              ;   in Loop: Header=BB953_15 Depth=1
	v_bfe_u32 v37, v32, 16, 7
	v_cmp_ne_u32_e32 vcc, s14, v37
	v_mov_b32_e32 v36, 0x7f80
	s_and_saveexec_b64 s[10:11], vcc
	s_cbranch_execz .LBB953_127
; %bb.126:                              ;   in Loop: Header=BB953_15 Depth=1
	v_and_b32_e32 v36, 7, v34
	v_ffbh_u32_e32 v40, v36
	v_min_u32_e32 v40, 32, v40
	v_subrev_u32_e32 v42, 28, v40
	v_lshlrev_b64 v[42:43], v42, v[34:35]
	v_lshrrev_b32_e32 v38, 3, v37
	v_sub_u32_e32 v40, 29, v40
	v_and_b32_e32 v42, 7, v42
	v_cmp_gt_u32_e32 vcc, 8, v37
	v_cndmask_b32_e32 v37, v38, v40, vcc
	v_cndmask_b32_e32 v36, v36, v42, vcc
	v_lshlrev_b32_e32 v34, 24, v34
	v_lshlrev_b32_e32 v36, 20, v36
	v_and_b32_e32 v34, 0x80000000, v34
	v_lshl_add_u32 v37, v37, 23, v33
	v_or3_b32 v34, v34, v37, v36
	v_lshrrev_b32_e32 v36, 16, v34
.LBB953_127:                            ;   in Loop: Header=BB953_15 Depth=1
	s_or_b64 exec, exec, s[10:11]
.LBB953_128:                            ;   in Loop: Header=BB953_15 Depth=1
	s_or_b64 exec, exec, s[6:7]
.LBB953_129:                            ;   in Loop: Header=BB953_15 Depth=1
	s_or_b64 exec, exec, s[4:5]
	v_cmp_lt_u32_e32 vcc, s15, v32
	v_mov_b32_e32 v37, 0
	v_mov_b32_e32 v38, 0
	s_and_saveexec_b64 s[4:5], vcc
	s_cbranch_execz .LBB953_135
; %bb.130:                              ;   in Loop: Header=BB953_15 Depth=1
	v_lshrrev_b32_e32 v34, 24, v32
	v_cmp_ne_u32_e32 vcc, s13, v34
	v_mov_b32_e32 v38, 0xffff8000
	s_and_saveexec_b64 s[6:7], vcc
	s_cbranch_execz .LBB953_134
; %bb.131:                              ;   in Loop: Header=BB953_15 Depth=1
	v_bfe_u32 v32, v32, 24, 7
	v_cmp_ne_u32_e32 vcc, s14, v32
	v_mov_b32_e32 v38, 0x7f80
	s_and_saveexec_b64 s[10:11], vcc
	s_cbranch_execz .LBB953_133
; %bb.132:                              ;   in Loop: Header=BB953_15 Depth=1
	v_and_b32_e32 v38, 7, v34
	v_ffbh_u32_e32 v42, v38
	v_min_u32_e32 v44, 32, v42
	v_subrev_u32_e32 v42, 28, v44
	v_lshlrev_b64 v[42:43], v42, v[34:35]
	v_lshrrev_b32_e32 v40, 3, v32
	v_sub_u32_e32 v43, 29, v44
	v_and_b32_e32 v42, 7, v42
	v_cmp_gt_u32_e32 vcc, 8, v32
	v_cndmask_b32_e32 v32, v40, v43, vcc
	v_cndmask_b32_e32 v38, v38, v42, vcc
	v_lshlrev_b32_e32 v34, 24, v34
	v_lshlrev_b32_e32 v38, 20, v38
	v_and_b32_e32 v34, 0x80000000, v34
	v_lshl_add_u32 v32, v32, 23, v33
	v_or3_b32 v32, v34, v32, v38
	v_lshrrev_b32_e32 v38, 16, v32
.LBB953_133:                            ;   in Loop: Header=BB953_15 Depth=1
	s_or_b64 exec, exec, s[10:11]
.LBB953_134:                            ;   in Loop: Header=BB953_15 Depth=1
	s_or_b64 exec, exec, s[6:7]
.LBB953_135:                            ;   in Loop: Header=BB953_15 Depth=1
	s_or_b64 exec, exec, s[4:5]
	s_waitcnt vmcnt(2)
	v_cmp_ne_u16_sdwa s[6:7], v30, v31 src0_sel:BYTE_0 src1_sel:DWORD
	s_and_saveexec_b64 s[4:5], s[6:7]
	s_cbranch_execz .LBB953_141
; %bb.136:                              ;   in Loop: Header=BB953_15 Depth=1
	v_cmp_ne_u16_sdwa s[10:11], v30, s13 src0_sel:BYTE_0 src1_sel:DWORD
	v_mov_b32_e32 v37, 0xffff8000
	s_and_saveexec_b64 s[6:7], s[10:11]
	s_cbranch_execz .LBB953_140
; %bb.137:                              ;   in Loop: Header=BB953_15 Depth=1
	v_and_b32_e32 v32, 0x7f, v30
	v_cmp_ne_u32_e32 vcc, s14, v32
	v_mov_b32_e32 v37, 0x7f80
	s_and_saveexec_b64 s[10:11], vcc
	s_cbranch_execz .LBB953_139
; %bb.138:                              ;   in Loop: Header=BB953_15 Depth=1
	v_and_b32_e32 v34, 7, v30
	v_ffbh_u32_e32 v40, v34
	v_min_u32_e32 v40, 32, v40
	v_subrev_u32_e32 v42, 28, v40
	v_lshlrev_b64 v[42:43], v42, v[30:31]
	v_lshrrev_b32_e32 v37, 3, v32
	v_sub_u32_e32 v40, 29, v40
	v_and_b32_e32 v42, 7, v42
	v_cmp_gt_u32_e32 vcc, 8, v32
	v_cndmask_b32_e32 v32, v37, v40, vcc
	v_cndmask_b32_e32 v34, v34, v42, vcc
	v_lshlrev_b32_e32 v37, 24, v30
	v_lshlrev_b32_e32 v34, 20, v34
	v_and_b32_e32 v37, 0x80000000, v37
	v_lshl_add_u32 v32, v32, 23, v33
	v_or3_b32 v32, v37, v32, v34
	v_lshrrev_b32_e32 v37, 16, v32
.LBB953_139:                            ;   in Loop: Header=BB953_15 Depth=1
	s_or_b64 exec, exec, s[10:11]
.LBB953_140:                            ;   in Loop: Header=BB953_15 Depth=1
	s_or_b64 exec, exec, s[6:7]
.LBB953_141:                            ;   in Loop: Header=BB953_15 Depth=1
	s_or_b64 exec, exec, s[4:5]
	v_lshrrev_b16_e32 v32, 8, v30
	v_cmp_ne_u16_e32 vcc, 0, v32
	v_mov_b32_e32 v42, 0
	v_mov_b32_e32 v40, 0
	s_and_saveexec_b64 s[4:5], vcc
	s_cbranch_execz .LBB953_147
; %bb.142:                              ;   in Loop: Header=BB953_15 Depth=1
	v_cmp_ne_u16_e32 vcc, s13, v32
	v_mov_b32_e32 v40, 0xffff8000
	s_and_saveexec_b64 s[6:7], vcc
	s_cbranch_execz .LBB953_146
; %bb.143:                              ;   in Loop: Header=BB953_15 Depth=1
	v_and_b32_e32 v34, 0x7f, v32
	v_cmp_ne_u32_e32 vcc, s14, v34
	v_mov_b32_e32 v40, 0x7f80
	s_and_saveexec_b64 s[10:11], vcc
	s_cbranch_execz .LBB953_145
; %bb.144:                              ;   in Loop: Header=BB953_15 Depth=1
	v_and_b32_e32 v40, 7, v32
	v_ffbh_u32_e32 v44, v40
	v_min_u32_e32 v46, 32, v44
	v_subrev_u32_e32 v44, 28, v46
	v_lshlrev_b64 v[44:45], v44, v[32:33]
	v_lshrrev_b32_e32 v43, 3, v34
	v_sub_u32_e32 v32, 29, v46
	v_and_b32_e32 v44, 7, v44
	v_cmp_gt_u32_e32 vcc, 8, v34
	v_cndmask_b32_e32 v32, v43, v32, vcc
	v_cndmask_b32_e32 v34, v40, v44, vcc
	v_lshlrev_b32_e32 v40, 16, v30
	v_lshlrev_b32_e32 v34, 20, v34
	v_and_b32_e32 v40, 0x80000000, v40
	v_lshl_add_u32 v32, v32, 23, v33
	v_or3_b32 v32, v40, v32, v34
	v_lshrrev_b32_e32 v40, 16, v32
.LBB953_145:                            ;   in Loop: Header=BB953_15 Depth=1
	s_or_b64 exec, exec, s[10:11]
.LBB953_146:                            ;   in Loop: Header=BB953_15 Depth=1
	s_or_b64 exec, exec, s[6:7]
.LBB953_147:                            ;   in Loop: Header=BB953_15 Depth=1
	s_or_b64 exec, exec, s[4:5]
	v_lshrrev_b32_e32 v32, 16, v30
	v_cmp_ne_u16_sdwa s[6:7], v32, v31 src0_sel:BYTE_0 src1_sel:DWORD
	s_and_saveexec_b64 s[4:5], s[6:7]
	s_cbranch_execz .LBB953_153
; %bb.148:                              ;   in Loop: Header=BB953_15 Depth=1
	v_cmp_ne_u16_sdwa s[10:11], v32, s13 src0_sel:BYTE_0 src1_sel:DWORD
	v_mov_b32_e32 v42, 0xffff8000
	s_and_saveexec_b64 s[6:7], s[10:11]
	s_cbranch_execz .LBB953_152
; %bb.149:                              ;   in Loop: Header=BB953_15 Depth=1
	v_bfe_u32 v34, v30, 16, 7
	v_cmp_ne_u32_e32 vcc, s14, v34
	v_mov_b32_e32 v42, 0x7f80
	s_and_saveexec_b64 s[10:11], vcc
	s_cbranch_execz .LBB953_151
; %bb.150:                              ;   in Loop: Header=BB953_15 Depth=1
	v_and_b32_e32 v44, 7, v32
	v_ffbh_u32_e32 v42, v44
	v_min_u32_e32 v46, 32, v42
	v_subrev_u32_e32 v42, 28, v46
	v_lshlrev_b64 v[42:43], v42, v[32:33]
	v_lshrrev_b32_e32 v45, 3, v34
	v_sub_u32_e32 v43, 29, v46
	v_and_b32_e32 v42, 7, v42
	v_cmp_gt_u32_e32 vcc, 8, v34
	v_cndmask_b32_e32 v34, v45, v43, vcc
	v_cndmask_b32_e32 v42, v44, v42, vcc
	v_lshlrev_b32_e32 v32, 24, v32
	v_lshlrev_b32_e32 v42, 20, v42
	v_and_b32_e32 v32, 0x80000000, v32
	v_lshl_add_u32 v34, v34, 23, v33
	v_or3_b32 v32, v32, v34, v42
	v_lshrrev_b32_e32 v42, 16, v32
.LBB953_151:                            ;   in Loop: Header=BB953_15 Depth=1
	s_or_b64 exec, exec, s[10:11]
.LBB953_152:                            ;   in Loop: Header=BB953_15 Depth=1
	s_or_b64 exec, exec, s[6:7]
.LBB953_153:                            ;   in Loop: Header=BB953_15 Depth=1
	s_or_b64 exec, exec, s[4:5]
	v_cmp_lt_u32_e32 vcc, s15, v30
	v_mov_b32_e32 v34, 0
	v_mov_b32_e32 v43, 0
	s_and_saveexec_b64 s[4:5], vcc
	s_cbranch_execz .LBB953_159
; %bb.154:                              ;   in Loop: Header=BB953_15 Depth=1
	v_lshrrev_b32_e32 v32, 24, v30
	v_cmp_ne_u32_e32 vcc, s13, v32
	v_mov_b32_e32 v43, 0xffff8000
	s_and_saveexec_b64 s[6:7], vcc
	s_cbranch_execz .LBB953_158
; %bb.155:                              ;   in Loop: Header=BB953_15 Depth=1
	v_bfe_u32 v30, v30, 24, 7
	v_cmp_ne_u32_e32 vcc, s14, v30
	v_mov_b32_e32 v43, 0x7f80
	s_and_saveexec_b64 s[10:11], vcc
	s_cbranch_execz .LBB953_157
; %bb.156:                              ;   in Loop: Header=BB953_15 Depth=1
	v_and_b32_e32 v43, 7, v32
	v_ffbh_u32_e32 v44, v43
	v_min_u32_e32 v47, 32, v44
	v_subrev_u32_e32 v44, 28, v47
	v_lshlrev_b64 v[44:45], v44, v[32:33]
	v_lshrrev_b32_e32 v46, 3, v30
	v_sub_u32_e32 v45, 29, v47
	v_and_b32_e32 v44, 7, v44
	v_cmp_gt_u32_e32 vcc, 8, v30
	v_cndmask_b32_e32 v30, v46, v45, vcc
	v_cndmask_b32_e32 v43, v43, v44, vcc
	v_lshlrev_b32_e32 v32, 24, v32
	v_lshlrev_b32_e32 v43, 20, v43
	v_and_b32_e32 v32, 0x80000000, v32
	v_lshl_add_u32 v30, v30, 23, v33
	v_or3_b32 v30, v32, v30, v43
	v_lshrrev_b32_e32 v43, 16, v30
.LBB953_157:                            ;   in Loop: Header=BB953_15 Depth=1
	s_or_b64 exec, exec, s[10:11]
.LBB953_158:                            ;   in Loop: Header=BB953_15 Depth=1
	s_or_b64 exec, exec, s[6:7]
.LBB953_159:                            ;   in Loop: Header=BB953_15 Depth=1
	s_or_b64 exec, exec, s[4:5]
	v_perm_b32 v45, v38, v36, s16
	v_perm_b32 v44, v35, v23, s16
	;; [unrolled: 1-line block ×4, first 2 shown]
	s_waitcnt vmcnt(1)
	v_cmp_ne_u16_sdwa s[6:7], v28, v31 src0_sel:BYTE_0 src1_sel:DWORD
	v_mfma_f32_16x16x16bf16_1k v[18:21], v[44:45], v[10:11], v[18:21]
	v_mfma_f32_16x16x16bf16_1k v[18:21], v[42:43], v[12:13], v[18:21]
	s_and_saveexec_b64 s[4:5], s[6:7]
	s_cbranch_execz .LBB953_165
; %bb.160:                              ;   in Loop: Header=BB953_15 Depth=1
	v_cmp_ne_u16_sdwa s[10:11], v28, s13 src0_sel:BYTE_0 src1_sel:DWORD
	v_mov_b32_e32 v34, 0xffff8000
	s_and_saveexec_b64 s[6:7], s[10:11]
	s_cbranch_execz .LBB953_164
; %bb.161:                              ;   in Loop: Header=BB953_15 Depth=1
	v_and_b32_e32 v23, 0x7f, v28
	v_cmp_ne_u32_e32 vcc, s14, v23
	v_mov_b32_e32 v34, 0x7f80
	s_and_saveexec_b64 s[10:11], vcc
	s_cbranch_execz .LBB953_163
; %bb.162:                              ;   in Loop: Header=BB953_15 Depth=1
	v_and_b32_e32 v30, 7, v28
	v_ffbh_u32_e32 v34, v30
	v_min_u32_e32 v36, 32, v34
	v_subrev_u32_e32 v34, 28, v36
	v_lshlrev_b64 v[34:35], v34, v[28:29]
	v_lshrrev_b32_e32 v32, 3, v23
	v_sub_u32_e32 v35, 29, v36
	v_and_b32_e32 v34, 7, v34
	v_cmp_gt_u32_e32 vcc, 8, v23
	v_cndmask_b32_e32 v23, v32, v35, vcc
	v_cndmask_b32_e32 v30, v30, v34, vcc
	v_lshlrev_b32_e32 v32, 24, v28
	v_lshlrev_b32_e32 v30, 20, v30
	v_and_b32_e32 v32, 0x80000000, v32
	v_lshl_add_u32 v23, v23, 23, v33
	v_or3_b32 v23, v32, v23, v30
	v_lshrrev_b32_e32 v34, 16, v23
.LBB953_163:                            ;   in Loop: Header=BB953_15 Depth=1
	s_or_b64 exec, exec, s[10:11]
.LBB953_164:                            ;   in Loop: Header=BB953_15 Depth=1
	s_or_b64 exec, exec, s[6:7]
.LBB953_165:                            ;   in Loop: Header=BB953_15 Depth=1
	s_or_b64 exec, exec, s[4:5]
	v_lshrrev_b16_e32 v30, 8, v28
	v_cmp_ne_u16_e32 vcc, 0, v30
	v_mov_b32_e32 v32, 0
	v_mov_b32_e32 v23, 0
	s_and_saveexec_b64 s[4:5], vcc
	s_cbranch_execz .LBB953_171
; %bb.166:                              ;   in Loop: Header=BB953_15 Depth=1
	v_cmp_ne_u16_e32 vcc, s13, v30
	v_mov_b32_e32 v23, 0xffff8000
	s_and_saveexec_b64 s[6:7], vcc
	s_cbranch_execz .LBB953_170
; %bb.167:                              ;   in Loop: Header=BB953_15 Depth=1
	v_and_b32_e32 v35, 0x7f, v30
	v_cmp_ne_u32_e32 vcc, s14, v35
	v_mov_b32_e32 v23, 0x7f80
	s_and_saveexec_b64 s[10:11], vcc
	s_cbranch_execz .LBB953_169
; %bb.168:                              ;   in Loop: Header=BB953_15 Depth=1
	v_and_b32_e32 v23, 7, v30
	v_ffbh_u32_e32 v36, v23
	v_min_u32_e32 v40, 32, v36
	v_subrev_u32_e32 v36, 28, v40
	v_lshlrev_b64 v[36:37], v36, v[30:31]
	v_lshrrev_b32_e32 v38, 3, v35
	v_sub_u32_e32 v30, 29, v40
	v_and_b32_e32 v36, 7, v36
	v_cmp_gt_u32_e32 vcc, 8, v35
	v_cndmask_b32_e32 v30, v38, v30, vcc
	v_cndmask_b32_e32 v23, v23, v36, vcc
	v_lshlrev_b32_e32 v35, 16, v28
	v_lshlrev_b32_e32 v23, 20, v23
	v_and_b32_e32 v35, 0x80000000, v35
	v_lshl_add_u32 v30, v30, 23, v33
	v_or3_b32 v23, v35, v30, v23
	v_lshrrev_b32_e32 v23, 16, v23
.LBB953_169:                            ;   in Loop: Header=BB953_15 Depth=1
	s_or_b64 exec, exec, s[10:11]
.LBB953_170:                            ;   in Loop: Header=BB953_15 Depth=1
	s_or_b64 exec, exec, s[6:7]
.LBB953_171:                            ;   in Loop: Header=BB953_15 Depth=1
	s_or_b64 exec, exec, s[4:5]
	v_lshrrev_b32_e32 v30, 16, v28
	v_cmp_ne_u16_sdwa s[6:7], v30, v31 src0_sel:BYTE_0 src1_sel:DWORD
	s_and_saveexec_b64 s[4:5], s[6:7]
	s_cbranch_execz .LBB953_177
; %bb.172:                              ;   in Loop: Header=BB953_15 Depth=1
	v_cmp_ne_u16_sdwa s[10:11], v30, s13 src0_sel:BYTE_0 src1_sel:DWORD
	v_mov_b32_e32 v32, 0xffff8000
	s_and_saveexec_b64 s[6:7], s[10:11]
	s_cbranch_execz .LBB953_176
; %bb.173:                              ;   in Loop: Header=BB953_15 Depth=1
	v_bfe_u32 v35, v28, 16, 7
	v_cmp_ne_u32_e32 vcc, s14, v35
	v_mov_b32_e32 v32, 0x7f80
	s_and_saveexec_b64 s[10:11], vcc
	s_cbranch_execz .LBB953_175
; %bb.174:                              ;   in Loop: Header=BB953_15 Depth=1
	v_and_b32_e32 v32, 7, v30
	v_ffbh_u32_e32 v36, v32
	v_min_u32_e32 v40, 32, v36
	v_subrev_u32_e32 v36, 28, v40
	v_lshlrev_b64 v[36:37], v36, v[30:31]
	v_lshrrev_b32_e32 v38, 3, v35
	v_sub_u32_e32 v37, 29, v40
	v_and_b32_e32 v36, 7, v36
	v_cmp_gt_u32_e32 vcc, 8, v35
	v_cndmask_b32_e32 v35, v38, v37, vcc
	v_cndmask_b32_e32 v32, v32, v36, vcc
	v_lshlrev_b32_e32 v30, 24, v30
	v_lshlrev_b32_e32 v32, 20, v32
	v_and_b32_e32 v30, 0x80000000, v30
	v_lshl_add_u32 v35, v35, 23, v33
	v_or3_b32 v30, v30, v35, v32
	v_lshrrev_b32_e32 v32, 16, v30
.LBB953_175:                            ;   in Loop: Header=BB953_15 Depth=1
	s_or_b64 exec, exec, s[10:11]
.LBB953_176:                            ;   in Loop: Header=BB953_15 Depth=1
	s_or_b64 exec, exec, s[6:7]
.LBB953_177:                            ;   in Loop: Header=BB953_15 Depth=1
	s_or_b64 exec, exec, s[4:5]
	v_cmp_lt_u32_e32 vcc, s15, v28
	v_mov_b32_e32 v35, 0
	v_mov_b32_e32 v36, 0
	s_and_saveexec_b64 s[4:5], vcc
	s_cbranch_execz .LBB953_183
; %bb.178:                              ;   in Loop: Header=BB953_15 Depth=1
	v_lshrrev_b32_e32 v30, 24, v28
	v_cmp_ne_u32_e32 vcc, s13, v30
	v_mov_b32_e32 v36, 0xffff8000
	s_and_saveexec_b64 s[6:7], vcc
	s_cbranch_execz .LBB953_182
; %bb.179:                              ;   in Loop: Header=BB953_15 Depth=1
	v_bfe_u32 v28, v28, 24, 7
	v_cmp_ne_u32_e32 vcc, s14, v28
	v_mov_b32_e32 v36, 0x7f80
	s_and_saveexec_b64 s[10:11], vcc
	s_cbranch_execz .LBB953_181
; %bb.180:                              ;   in Loop: Header=BB953_15 Depth=1
	v_and_b32_e32 v38, 7, v30
	v_ffbh_u32_e32 v36, v38
	v_min_u32_e32 v42, 32, v36
	v_subrev_u32_e32 v36, 28, v42
	v_lshlrev_b64 v[36:37], v36, v[30:31]
	v_lshrrev_b32_e32 v40, 3, v28
	v_sub_u32_e32 v37, 29, v42
	v_and_b32_e32 v36, 7, v36
	v_cmp_gt_u32_e32 vcc, 8, v28
	v_cndmask_b32_e32 v28, v40, v37, vcc
	v_cndmask_b32_e32 v36, v38, v36, vcc
	v_lshlrev_b32_e32 v30, 24, v30
	v_lshlrev_b32_e32 v36, 20, v36
	v_and_b32_e32 v30, 0x80000000, v30
	v_lshl_add_u32 v28, v28, 23, v33
	v_or3_b32 v28, v30, v28, v36
	v_lshrrev_b32_e32 v36, 16, v28
.LBB953_181:                            ;   in Loop: Header=BB953_15 Depth=1
	s_or_b64 exec, exec, s[10:11]
.LBB953_182:                            ;   in Loop: Header=BB953_15 Depth=1
	s_or_b64 exec, exec, s[6:7]
.LBB953_183:                            ;   in Loop: Header=BB953_15 Depth=1
	s_or_b64 exec, exec, s[4:5]
	s_waitcnt vmcnt(0)
	v_cmp_ne_u16_sdwa s[6:7], v26, v31 src0_sel:BYTE_0 src1_sel:DWORD
	s_and_saveexec_b64 s[4:5], s[6:7]
	s_cbranch_execz .LBB953_189
; %bb.184:                              ;   in Loop: Header=BB953_15 Depth=1
	v_cmp_ne_u16_sdwa s[10:11], v26, s13 src0_sel:BYTE_0 src1_sel:DWORD
	v_mov_b32_e32 v35, 0xffff8000
	s_and_saveexec_b64 s[6:7], s[10:11]
	s_cbranch_execz .LBB953_188
; %bb.185:                              ;   in Loop: Header=BB953_15 Depth=1
	v_and_b32_e32 v28, 0x7f, v26
	v_cmp_ne_u32_e32 vcc, s14, v28
	v_mov_b32_e32 v35, 0x7f80
	s_and_saveexec_b64 s[10:11], vcc
	s_cbranch_execz .LBB953_187
; %bb.186:                              ;   in Loop: Header=BB953_15 Depth=1
	v_and_b32_e32 v30, 7, v26
	v_ffbh_u32_e32 v37, v30
	v_min_u32_e32 v37, 32, v37
	v_subrev_u32_e32 v38, 28, v37
	v_lshlrev_b64 v[42:43], v38, v[26:27]
	v_lshrrev_b32_e32 v35, 3, v28
	v_sub_u32_e32 v37, 29, v37
	v_and_b32_e32 v38, 7, v42
	v_cmp_gt_u32_e32 vcc, 8, v28
	v_cndmask_b32_e32 v28, v35, v37, vcc
	v_cndmask_b32_e32 v30, v30, v38, vcc
	v_lshlrev_b32_e32 v35, 24, v26
	v_lshlrev_b32_e32 v30, 20, v30
	v_and_b32_e32 v35, 0x80000000, v35
	v_lshl_add_u32 v28, v28, 23, v33
	v_or3_b32 v28, v35, v28, v30
	v_lshrrev_b32_e32 v35, 16, v28
.LBB953_187:                            ;   in Loop: Header=BB953_15 Depth=1
	s_or_b64 exec, exec, s[10:11]
.LBB953_188:                            ;   in Loop: Header=BB953_15 Depth=1
	s_or_b64 exec, exec, s[6:7]
.LBB953_189:                            ;   in Loop: Header=BB953_15 Depth=1
	s_or_b64 exec, exec, s[4:5]
	v_lshrrev_b16_e32 v28, 8, v26
	v_cmp_ne_u16_e32 vcc, 0, v28
	v_mov_b32_e32 v37, 0
	v_mov_b32_e32 v30, 0
	s_and_saveexec_b64 s[4:5], vcc
	s_cbranch_execz .LBB953_195
; %bb.190:                              ;   in Loop: Header=BB953_15 Depth=1
	v_cmp_ne_u16_e32 vcc, s13, v28
	v_mov_b32_e32 v30, 0xffff8000
	s_and_saveexec_b64 s[6:7], vcc
	s_cbranch_execz .LBB953_194
; %bb.191:                              ;   in Loop: Header=BB953_15 Depth=1
	v_and_b32_e32 v38, 0x7f, v28
	v_cmp_ne_u32_e32 vcc, s14, v38
	v_mov_b32_e32 v30, 0x7f80
	s_and_saveexec_b64 s[10:11], vcc
	s_cbranch_execz .LBB953_193
; %bb.192:                              ;   in Loop: Header=BB953_15 Depth=1
	v_and_b32_e32 v30, 7, v28
	v_ffbh_u32_e32 v42, v30
	v_min_u32_e32 v44, 32, v42
	v_subrev_u32_e32 v42, 28, v44
	v_lshlrev_b64 v[42:43], v42, v[28:29]
	v_lshrrev_b32_e32 v40, 3, v38
	v_sub_u32_e32 v28, 29, v44
	v_and_b32_e32 v42, 7, v42
	v_cmp_gt_u32_e32 vcc, 8, v38
	v_cndmask_b32_e32 v28, v40, v28, vcc
	v_cndmask_b32_e32 v30, v30, v42, vcc
	v_lshlrev_b32_e32 v38, 16, v26
	v_lshlrev_b32_e32 v30, 20, v30
	v_and_b32_e32 v38, 0x80000000, v38
	v_lshl_add_u32 v28, v28, 23, v33
	v_or3_b32 v28, v38, v28, v30
	v_lshrrev_b32_e32 v30, 16, v28
.LBB953_193:                            ;   in Loop: Header=BB953_15 Depth=1
	s_or_b64 exec, exec, s[10:11]
.LBB953_194:                            ;   in Loop: Header=BB953_15 Depth=1
	s_or_b64 exec, exec, s[6:7]
.LBB953_195:                            ;   in Loop: Header=BB953_15 Depth=1
	s_or_b64 exec, exec, s[4:5]
	v_lshrrev_b32_e32 v28, 16, v26
	v_cmp_ne_u16_sdwa s[6:7], v28, v31 src0_sel:BYTE_0 src1_sel:DWORD
	s_and_saveexec_b64 s[4:5], s[6:7]
	s_cbranch_execz .LBB953_201
; %bb.196:                              ;   in Loop: Header=BB953_15 Depth=1
	v_cmp_ne_u16_sdwa s[10:11], v28, s13 src0_sel:BYTE_0 src1_sel:DWORD
	v_mov_b32_e32 v37, 0xffff8000
	s_and_saveexec_b64 s[6:7], s[10:11]
	s_cbranch_execz .LBB953_200
; %bb.197:                              ;   in Loop: Header=BB953_15 Depth=1
	v_bfe_u32 v38, v26, 16, 7
	v_cmp_ne_u32_e32 vcc, s14, v38
	v_mov_b32_e32 v37, 0x7f80
	s_and_saveexec_b64 s[10:11], vcc
	s_cbranch_execz .LBB953_199
; %bb.198:                              ;   in Loop: Header=BB953_15 Depth=1
	v_and_b32_e32 v37, 7, v28
	v_ffbh_u32_e32 v42, v37
	v_min_u32_e32 v44, 32, v42
	v_subrev_u32_e32 v42, 28, v44
	v_lshlrev_b64 v[42:43], v42, v[28:29]
	v_lshrrev_b32_e32 v40, 3, v38
	v_sub_u32_e32 v43, 29, v44
	v_and_b32_e32 v42, 7, v42
	v_cmp_gt_u32_e32 vcc, 8, v38
	v_cndmask_b32_e32 v38, v40, v43, vcc
	v_cndmask_b32_e32 v37, v37, v42, vcc
	v_lshlrev_b32_e32 v28, 24, v28
	v_lshlrev_b32_e32 v37, 20, v37
	v_and_b32_e32 v28, 0x80000000, v28
	v_lshl_add_u32 v38, v38, 23, v33
	v_or3_b32 v28, v28, v38, v37
	v_lshrrev_b32_e32 v37, 16, v28
.LBB953_199:                            ;   in Loop: Header=BB953_15 Depth=1
	s_or_b64 exec, exec, s[10:11]
.LBB953_200:                            ;   in Loop: Header=BB953_15 Depth=1
	s_or_b64 exec, exec, s[6:7]
.LBB953_201:                            ;   in Loop: Header=BB953_15 Depth=1
	s_or_b64 exec, exec, s[4:5]
	v_cmp_lt_u32_e32 vcc, s15, v26
	v_mov_b32_e32 v38, 0
	s_and_saveexec_b64 s[4:5], vcc
	s_cbranch_execz .LBB953_14
; %bb.202:                              ;   in Loop: Header=BB953_15 Depth=1
	v_lshrrev_b32_e32 v28, 24, v26
	v_cmp_ne_u32_e32 vcc, s13, v28
	v_mov_b32_e32 v38, 0xffff8000
	s_and_saveexec_b64 s[6:7], vcc
	s_cbranch_execz .LBB953_13
; %bb.203:                              ;   in Loop: Header=BB953_15 Depth=1
	v_bfe_u32 v26, v26, 24, 7
	v_cmp_ne_u32_e32 vcc, s14, v26
	v_mov_b32_e32 v38, 0x7f80
	s_and_saveexec_b64 s[10:11], vcc
	s_cbranch_execz .LBB953_12
; %bb.204:                              ;   in Loop: Header=BB953_15 Depth=1
	v_and_b32_e32 v38, 7, v28
	v_ffbh_u32_e32 v42, v38
	v_min_u32_e32 v44, 32, v42
	v_subrev_u32_e32 v42, 28, v44
	v_lshlrev_b64 v[42:43], v42, v[28:29]
	v_lshrrev_b32_e32 v40, 3, v26
	v_sub_u32_e32 v43, 29, v44
	v_and_b32_e32 v42, 7, v42
	v_cmp_gt_u32_e32 vcc, 8, v26
	v_cndmask_b32_e32 v26, v40, v43, vcc
	v_cndmask_b32_e32 v38, v38, v42, vcc
	v_lshlrev_b32_e32 v28, 24, v28
	v_lshlrev_b32_e32 v38, 20, v38
	v_and_b32_e32 v28, 0x80000000, v28
	v_lshl_add_u32 v26, v26, 23, v33
	v_or3_b32 v26, v28, v26, v38
	v_lshrrev_b32_e32 v38, 16, v26
	s_branch .LBB953_12
.LBB953_205:
	buffer_load_dword v13, off, s[0:3], 0 offset:256
	buffer_load_dword v14, off, s[0:3], 0 offset:260
	;; [unrolled: 1-line block ×16, first 2 shown]
	v_and_b32_e32 v12, 0xc0, v0
	v_add_u32_e32 v12, s20, v12
	v_lshl_or_b32 v12, v1, 2, v12
	v_or_b32_e32 v23, 1, v12
	v_mov_b32_e32 v19, 0xff7fffff
	v_or_b32_e32 v24, 2, v12
	v_or_b32_e32 v25, 3, v12
	v_cmp_gt_i32_e64 s[26:27], s33, v12
	v_cmp_gt_i32_e64 s[28:29], s33, v23
	s_mov_b32 s52, 0xff7fffff
	v_or_b32_e32 v26, 16, v12
	v_or_b32_e32 v27, 17, v12
	;; [unrolled: 1-line block ×12, first 2 shown]
	v_cmp_gt_i32_e64 s[30:31], s33, v24
	v_cmp_gt_i32_e64 s[34:35], s33, v25
	v_mbcnt_lo_u32_b32 v20, -1, 0
	v_cmp_gt_i32_e64 s[36:37], s33, v26
	v_cmp_gt_i32_e64 s[38:39], s33, v27
	v_mbcnt_hi_u32_b32 v20, -1, v20
	v_cmp_gt_i32_e64 s[20:21], s33, v28
	v_cmp_gt_i32_e64 s[22:23], s33, v29
	v_and_b32_e32 v21, 64, v20
	v_cmp_gt_i32_e64 s[16:17], s33, v30
	v_cmp_gt_i32_e64 s[18:19], s33, v31
	v_xor_b32_e32 v22, 32, v20
	v_add_u32_e32 v21, 64, v21
	v_cmp_gt_i32_e64 s[12:13], s33, v32
	v_cmp_gt_i32_e64 s[14:15], s33, v33
	v_cmp_lt_i32_e32 vcc, v22, v21
	v_cmp_gt_i32_e64 s[6:7], s33, v34
	v_cmp_gt_i32_e64 s[10:11], s33, v35
	v_cndmask_b32_e32 v22, v20, v22, vcc
	v_cmp_gt_i32_e32 vcc, s33, v36
	v_cmp_gt_i32_e64 s[4:5], s33, v37
	v_lshlrev_b32_e32 v22, 2, v22
	s_waitcnt vmcnt(15)
	v_cndmask_b32_e64 v12, v19, v13, s[26:27]
	s_waitcnt vmcnt(14)
	v_cndmask_b32_e64 v23, v19, v14, s[28:29]
	;; [unrolled: 2-line block ×4, first 2 shown]
	v_max3_f32 v12, v12, s52, v23
	s_waitcnt vmcnt(11)
	v_cndmask_b32_e64 v26, v19, v17, s[36:37]
	s_waitcnt vmcnt(10)
	v_cndmask_b32_e64 v27, v19, v18, s[38:39]
	v_max3_f32 v12, v12, v24, v25
	s_waitcnt vmcnt(9)
	v_cndmask_b32_e64 v28, v19, v11, s[20:21]
	s_waitcnt vmcnt(8)
	v_cndmask_b32_e64 v29, v19, v10, s[22:23]
	;; [unrolled: 5-line block ×5, first 2 shown]
	v_max3_f32 v12, v12, v32, v33
	s_waitcnt vmcnt(1)
	v_cndmask_b32_e32 v36, v19, v3, vcc
	s_waitcnt vmcnt(0)
	v_cndmask_b32_e64 v19, v19, v2, s[4:5]
	v_max3_f32 v12, v12, v34, v35
	v_max3_f32 v12, v12, v36, v19
	ds_bpermute_b32 v19, v22, v12
	v_xor_b32_e32 v23, 16, v20
	v_cmp_lt_i32_e64 s[40:41], v23, v21
	v_cndmask_b32_e64 v20, v20, v23, s[40:41]
	v_lshlrev_b32_e32 v20, 2, v20
	s_waitcnt lgkmcnt(0)
	v_max_f32_e32 v19, v19, v19
	v_max_f32_e32 v12, v12, v19
	ds_bpermute_b32 v19, v20, v12
	s_waitcnt lgkmcnt(0)
	v_max_f32_e32 v19, v19, v19
	v_max_f32_e32 v12, v12, v19
	v_sub_f32_e32 v13, v13, v12
	v_sub_f32_e32 v14, v14, v12
	;; [unrolled: 1-line block ×3, first 2 shown]
	v_mul_f32_e32 v13, 0x3fb8aa3b, v13
	v_mul_f32_e32 v14, 0x3fb8aa3b, v14
	;; [unrolled: 1-line block ×3, first 2 shown]
	v_exp_f32_e32 v13, v13
	v_exp_f32_e32 v14, v14
	;; [unrolled: 1-line block ×3, first 2 shown]
	v_sub_f32_e32 v16, v16, v12
	v_cndmask_b32_e64 v13, 0, v13, s[26:27]
	v_mul_f32_e32 v16, 0x3fb8aa3b, v16
	v_cndmask_b32_e64 v14, 0, v14, s[28:29]
	v_cndmask_b32_e64 v15, 0, v15, s[30:31]
	v_add_f32_e32 v19, 0, v13
	buffer_store_dword v13, off, s[0:3], 0 offset:256
	buffer_store_dword v14, off, s[0:3], 0 offset:260
	;; [unrolled: 1-line block ×3, first 2 shown]
	v_sub_f32_e32 v13, v17, v12
	v_exp_f32_e32 v16, v16
	v_add_f32_e32 v19, v19, v14
	v_mul_f32_e32 v13, 0x3fb8aa3b, v13
	v_sub_f32_e32 v14, v18, v12
	v_exp_f32_e32 v13, v13
	v_mul_f32_e32 v14, 0x3fb8aa3b, v14
	v_sub_f32_e32 v11, v11, v12
	v_exp_f32_e32 v14, v14
	;; [unrolled: 3-line block ×3, first 2 shown]
	v_mul_f32_e32 v10, 0x3fb8aa3b, v10
	v_sub_f32_e32 v9, v9, v12
	v_cndmask_b32_e64 v16, 0, v16, s[34:35]
	v_add_f32_e32 v19, v19, v15
	v_exp_f32_e32 v10, v10
	v_mul_f32_e32 v9, 0x3fb8aa3b, v9
	v_sub_f32_e32 v8, v8, v12
	v_add_f32_e32 v19, v19, v16
	v_cndmask_b32_e64 v13, 0, v13, s[36:37]
	v_exp_f32_e32 v9, v9
	v_mul_f32_e32 v8, 0x3fb8aa3b, v8
	v_sub_f32_e32 v7, v7, v12
	v_add_f32_e32 v15, v19, v13
	v_cndmask_b32_e64 v14, 0, v14, s[38:39]
	v_exp_f32_e32 v8, v8
	v_mul_f32_e32 v7, 0x3fb8aa3b, v7
	v_sub_f32_e32 v6, v6, v12
	v_add_f32_e32 v15, v15, v14
	v_cndmask_b32_e64 v11, 0, v11, s[20:21]
	v_exp_f32_e32 v7, v7
	v_mul_f32_e32 v6, 0x3fb8aa3b, v6
	v_sub_f32_e32 v5, v5, v12
	v_add_f32_e32 v15, v15, v11
	v_cndmask_b32_e64 v10, 0, v10, s[22:23]
	v_exp_f32_e32 v6, v6
	v_mul_f32_e32 v5, 0x3fb8aa3b, v5
	v_sub_f32_e32 v4, v4, v12
	v_add_f32_e32 v15, v15, v10
	v_cndmask_b32_e64 v9, 0, v9, s[16:17]
	v_exp_f32_e32 v5, v5
	v_mul_f32_e32 v4, 0x3fb8aa3b, v4
	v_sub_f32_e32 v3, v3, v12
	buffer_store_dword v16, off, s[0:3], 0 offset:268
	buffer_store_dword v13, off, s[0:3], 0 offset:272
	;; [unrolled: 1-line block ×5, first 2 shown]
	v_add_f32_e32 v10, v15, v9
	v_cndmask_b32_e64 v8, 0, v8, s[18:19]
	v_exp_f32_e32 v4, v4
	v_mul_f32_e32 v3, 0x3fb8aa3b, v3
	v_sub_f32_e32 v2, v2, v12
	v_add_f32_e32 v10, v10, v8
	v_cndmask_b32_e64 v7, 0, v7, s[12:13]
	v_exp_f32_e32 v3, v3
	v_mul_f32_e32 v2, 0x3fb8aa3b, v2
	v_add_f32_e32 v10, v10, v7
	v_cndmask_b32_e64 v6, 0, v6, s[14:15]
	v_exp_f32_e32 v2, v2
	v_add_f32_e32 v10, v10, v6
	v_cndmask_b32_e64 v5, 0, v5, s[6:7]
	buffer_store_dword v9, off, s[0:3], 0 offset:288
	buffer_store_dword v8, off, s[0:3], 0 offset:292
	buffer_store_dword v7, off, s[0:3], 0 offset:296
	buffer_store_dword v6, off, s[0:3], 0 offset:300
	v_add_f32_e32 v6, v10, v5
	v_cndmask_b32_e64 v4, 0, v4, s[10:11]
	v_add_f32_e32 v6, v6, v4
	v_cndmask_b32_e32 v3, 0, v3, vcc
	v_add_f32_e32 v6, v6, v3
	v_cndmask_b32_e64 v2, 0, v2, s[4:5]
	v_add_f32_e32 v6, v6, v2
	ds_bpermute_b32 v7, v22, v6
	buffer_store_dword v5, off, s[0:3], 0 offset:304
	buffer_store_dword v4, off, s[0:3], 0 offset:308
	;; [unrolled: 1-line block ×4, first 2 shown]
	v_cmp_gt_u32_e32 vcc, 16, v64
	s_waitcnt lgkmcnt(0)
	s_barrier
	v_add_f32_e32 v2, v6, v7
	ds_bpermute_b32 v3, v20, v2
	s_waitcnt lgkmcnt(0)
	s_and_saveexec_b64 s[4:5], vcc
	s_cbranch_execz .LBB953_207
; %bb.206:
	v_add_f32_e32 v2, v2, v3
	v_lshlrev_b32_e32 v3, 2, v63
	ds_write2st64_b32 v3, v12, v2 offset1:1
.LBB953_207:
	s_or_b64 exec, exec, s[4:5]
	v_lshlrev_b32_e32 v2, 2, v55
	s_waitcnt lgkmcnt(0)
	s_barrier
	ds_read2_b32 v[14:15], v2 offset1:16
	ds_read2_b32 v[16:17], v2 offset0:32 offset1:48
	ds_read2_b32 v[6:7], v2 offset0:64 offset1:80
	;; [unrolled: 1-line block ×3, first 2 shown]
	s_waitcnt lgkmcnt(0)
	s_barrier
	buffer_load_dword v22, off, s[0:3], 0 offset:264
	buffer_load_dword v23, off, s[0:3], 0 offset:268
	;; [unrolled: 1-line block ×16, first 2 shown]
	v_max3_f32 v20, v14, s52, v15
	v_max3_f32 v20, v20, v16, v17
	v_sub_f32_e32 v14, v14, v20
	v_sub_f32_e32 v15, v15, v20
	v_mul_f32_e32 v14, 0x3fb8aa3b, v14
	v_sub_f32_e32 v16, v16, v20
	v_mul_f32_e32 v15, 0x3fb8aa3b, v15
	v_exp_f32_e32 v14, v14
	v_sub_f32_e32 v17, v17, v20
	v_mul_f32_e32 v16, 0x3fb8aa3b, v16
	v_exp_f32_e32 v15, v15
	v_mul_f32_e32 v17, 0x3fb8aa3b, v17
	v_exp_f32_e32 v16, v16
	v_exp_f32_e32 v17, v17
	v_fma_f32 v6, v14, v6, 0
	v_fmac_f32_e32 v6, v15, v7
	v_fmac_f32_e32 v6, v16, v12
	;; [unrolled: 1-line block ×3, first 2 shown]
	v_cmp_eq_u32_e32 vcc, 1, v62
	v_add_f32_e32 v12, 0x358637bd, v6
	v_cndmask_b32_e32 v14, v14, v15, vcc
	v_cmp_eq_u32_e32 vcc, 2, v62
	v_div_scale_f32 v13, s[4:5], v12, v12, 1.0
	v_cndmask_b32_e32 v7, v14, v16, vcc
	v_rcp_f32_e32 v14, v13
	v_cmp_eq_u32_e32 vcc, 3, v62
	v_cndmask_b32_e32 v7, v7, v17, vcc
	v_div_scale_f32 v15, vcc, 1.0, v12, 1.0
	v_fma_f32 v16, -v13, v14, 1.0
	v_fmac_f32_e32 v14, v16, v14
	v_mul_f32_e32 v16, v15, v14
	v_fma_f32 v17, -v13, v16, v15
	v_fmac_f32_e32 v16, v17, v14
	v_fma_f32 v13, -v13, v16, v15
	v_div_fmas_f32 v13, v13, v14, v16
	v_div_fixup_f32 v12, v13, v12, 1.0
	v_mul_f32_e32 v12, v7, v12
	s_movk_i32 s19, 0x7fff
	s_mov_b32 s20, 0x7060302
	s_mul_i32 s18, s51, 12
	v_cmp_gt_u32_e32 vcc, 12, v0
	s_waitcnt vmcnt(14)
	v_pk_mul_f32 v[14:15], v[12:13], v[22:23] op_sel_hi:[0,1]
	v_bfe_u32 v21, v15, 16, 1
	s_waitcnt vmcnt(12)
	v_pk_mul_f32 v[16:17], v[12:13], v[24:25] op_sel_hi:[0,1]
	v_bfe_u32 v7, v17, 16, 1
	v_bfe_u32 v13, v16, 16, 1
	v_bfe_u32 v22, v14, 16, 1
	v_add3_u32 v13, v16, v13, s19
	v_add3_u32 v7, v17, v7, s19
	buffer_store_dword v16, off, s[0:3], 0 offset:256
	buffer_store_dword v17, off, s[0:3], 0 offset:260
	buffer_store_dword v14, off, s[0:3], 0 offset:264
	buffer_store_dword v15, off, s[0:3], 0 offset:268
	v_add3_u32 v16, v14, v22, s19
	v_add3_u32 v15, v15, v21, s19
	v_perm_b32 v14, v7, v13, s20
	v_lshlrev_b32_e32 v13, 3, v1
	v_perm_b32 v15, v15, v16, s20
	v_lshlrev_b32_e32 v7, 5, v55
	v_lshlrev_b32_e32 v16, 11, v62
	s_waitcnt vmcnt(12)
	v_pk_mul_f32 v[8:9], v[12:13], v[8:9] op_sel_hi:[0,1]
	v_or3_b32 v43, v16, v7, v13
	v_pk_mul_f32 v[10:11], v[12:13], v[10:11] op_sel_hi:[0,1]
	v_bfe_u32 v13, v9, 16, 1
	v_bfe_u32 v16, v8, 16, 1
	buffer_store_dword v8, off, s[0:3], 0 offset:272
	buffer_store_dword v9, off, s[0:3], 0 offset:276
	;; [unrolled: 1-line block ×4, first 2 shown]
	v_add3_u32 v8, v8, v16, s19
	v_add3_u32 v9, v9, v13, s19
	v_perm_b32 v8, v9, v8, s20
	v_bfe_u32 v9, v11, 16, 1
	v_bfe_u32 v13, v10, 16, 1
	v_add3_u32 v10, v10, v13, s19
	v_add3_u32 v9, v11, v9, s19
	v_perm_b32 v9, v9, v10, s20
	s_waitcnt vmcnt(14)
	v_pk_mul_f32 v[10:11], v[12:13], v[18:19] op_sel_hi:[0,1]
	ds_write2st64_b64 v43, v[14:15], v[8:9] offset1:1
	s_waitcnt vmcnt(12)
	v_pk_mul_f32 v[8:9], v[12:13], v[26:27] op_sel_hi:[0,1]
	v_bfe_u32 v13, v11, 16, 1
	v_bfe_u32 v14, v10, 16, 1
	buffer_store_dword v10, off, s[0:3], 0 offset:288
	buffer_store_dword v11, off, s[0:3], 0 offset:292
	;; [unrolled: 1-line block ×4, first 2 shown]
	v_add3_u32 v10, v10, v14, s19
	v_add3_u32 v11, v11, v13, s19
	v_perm_b32 v10, v11, v10, s20
	v_bfe_u32 v11, v9, 16, 1
	v_bfe_u32 v13, v8, 16, 1
	v_add3_u32 v8, v8, v13, s19
	v_add3_u32 v9, v9, v11, s19
	s_waitcnt vmcnt(14)
	v_pk_mul_f32 v[2:3], v[12:13], v[2:3] op_sel_hi:[0,1]
	v_perm_b32 v11, v9, v8, s20
	v_bfe_u32 v8, v3, 16, 1
	v_bfe_u32 v9, v2, 16, 1
	s_waitcnt vmcnt(12)
	v_pk_mul_f32 v[4:5], v[12:13], v[4:5] op_sel_hi:[0,1]
	buffer_store_dword v2, off, s[0:3], 0 offset:304
	buffer_store_dword v3, off, s[0:3], 0 offset:308
	;; [unrolled: 1-line block ×4, first 2 shown]
	v_add3_u32 v2, v2, v9, s19
	v_add3_u32 v3, v3, v8, s19
	v_perm_b32 v2, v3, v2, s20
	v_bfe_u32 v3, v5, 16, 1
	v_bfe_u32 v8, v4, 16, 1
	v_add3_u32 v4, v4, v8, s19
	v_add3_u32 v3, v5, v3, s19
	v_perm_b32 v3, v3, v4, s20
	ds_write2st64_b64 v43, v[10:11], v[2:3] offset0:2 offset1:3
	s_and_saveexec_b64 s[4:5], vcc
	s_cbranch_execz .LBB953_209
; %bb.208:
	v_add_co_u32_e32 v4, vcc, s25, v55
	v_addc_co_u32_e64 v5, s[6:7], 0, 0, vcc
	v_mov_b32_e32 v2, s18
	v_mad_u64_u32 v[4:5], s[6:7], s8, v2, v[4:5]
	v_mov_b32_e32 v3, 0
	s_mul_i32 s6, s9, s18
	v_mov_b32_e32 v2, s24
	v_add_u32_e32 v5, s6, v5
	v_mad_u64_u32 v[2:3], s[6:7], v4, s50, v[2:3]
	v_mov_b32_e32 v4, v3
	v_mad_u64_u32 v[4:5], s[6:7], v5, s50, v[4:5]
	v_mov_b32_e32 v3, v4
	v_lshlrev_b64 v[2:3], 2, v[2:3]
	v_mov_b32_e32 v5, s47
	v_add_co_u32_e32 v4, vcc, s46, v2
	v_addc_co_u32_e32 v5, vcc, v5, v3, vcc
	global_store_dword v[4:5], v20, off
	v_mov_b32_e32 v4, s45
	v_add_co_u32_e32 v2, vcc, s44, v2
	v_addc_co_u32_e32 v3, vcc, v4, v3, vcc
	global_store_dword v[2:3], v6, off
.LBB953_209:
	s_or_b64 exec, exec, s[4:5]
	v_lshl_or_b32 v30, v1, 9, v7
	s_waitcnt lgkmcnt(0)
	s_barrier
	s_load_dword s4, s[42:43], 0x0
	ds_read_b128 v[2:5], v30
	ds_read_b128 v[6:9], v30 offset:16
	ds_read_b128 v[10:13], v30 offset:2048
	;; [unrolled: 1-line block ×7, first 2 shown]
	v_mov_b32_e32 v35, 0x80
	v_mov_b32_e32 v45, 0x140
	s_mov_b64 s[10:11], -1
	s_waitcnt lgkmcnt(0)
	s_mov_b32 s5, s4
	s_mov_b32 s6, s4
	;; [unrolled: 1-line block ×3, first 2 shown]
	s_movk_i32 s9, 0x80
	s_movk_i32 s21, 0x7f
	s_mov_b32 s22, 0xffffff
	s_mov_b32 s23, 0x5040100
	v_mov_b32_e32 v47, 0
	v_bfrev_b32_e32 v48, 60
	s_branch .LBB953_213
.LBB953_210:                            ;   in Loop: Header=BB953_213 Depth=1
	s_or_b64 exec, exec, s[16:17]
.LBB953_211:                            ;   in Loop: Header=BB953_213 Depth=1
	s_or_b64 exec, exec, s[14:15]
.LBB953_212:                            ;   in Loop: Header=BB953_213 Depth=1
	s_or_b64 exec, exec, s[12:13]
	v_perm_b32 v61, v50, v46, s23
	v_perm_b32 v60, v44, v41, s23
	s_xor_b64 s[12:13], s[10:11], -1
	s_mov_b64 s[10:11], 0
	s_and_b64 vcc, exec, s[12:13]
	v_mfma_f32_16x16x16bf16_1k v[62:65], v[60:61], v[30:31], v[34:37]
	v_mov_b32_e32 v61, v58
	v_mov_b32_e32 v60, v59
	s_nop 4
	v_perm_b32 v37, v52, v51, s23
	v_perm_b32 v36, v42, v49, s23
	v_mov_b32_e32 v35, v57
	s_nop 0
	v_mfma_f32_16x16x16bf16_1k v[50:53], v[36:37], v[32:33], v[62:65]
	s_nop 7
	s_nop 2
	v_pk_mul_f32 v[40:41], v[50:51], s[4:5]
	v_pk_mul_f32 v[36:37], v[52:53], s[6:7]
	v_bfe_u32 v34, v41, 16, 1
	v_bfe_u32 v38, v40, 16, 1
	;; [unrolled: 1-line block ×4, first 2 shown]
	v_add3_u32 v38, v40, v38, s19
	v_add3_u32 v34, v41, v34, s19
	;; [unrolled: 1-line block ×4, first 2 shown]
	v_perm_b32 v34, v34, v38, s20
	v_perm_b32 v36, v37, v36, s20
	buffer_store_dword v34, v45, s[0:3], 0 offen
	buffer_store_dword v36, v45, s[0:3], 0 offen offset:4
	v_mov_b32_e32 v45, 0x148
	v_mov_b32_e32 v41, v39
	s_cbranch_vccnz .LBB953_595
.LBB953_213:                            ; =>This Inner Loop Header: Depth=1
	buffer_load_dword v36, v35, s[0:3], 0 offen
	buffer_load_dword v34, v35, s[0:3], 0 offen offset:4
	buffer_load_dword v40, v35, s[0:3], 0 offen offset:8
	;; [unrolled: 1-line block ×3, first 2 shown]
	v_mov_b32_e32 v35, 0
	s_waitcnt vmcnt(3)
	v_cmp_ne_u16_sdwa s[14:15], v36, v47 src0_sel:BYTE_0 src1_sel:DWORD
	s_and_saveexec_b64 s[12:13], s[14:15]
	s_cbranch_execz .LBB953_219
; %bb.214:                              ;   in Loop: Header=BB953_213 Depth=1
	v_cmp_ne_u16_sdwa s[16:17], v36, s9 src0_sel:BYTE_0 src1_sel:DWORD
	v_mov_b32_e32 v35, 0xffff8000
	s_and_saveexec_b64 s[14:15], s[16:17]
	s_cbranch_execz .LBB953_218
; %bb.215:                              ;   in Loop: Header=BB953_213 Depth=1
	v_and_b32_e32 v37, 0x7f, v36
	v_cmp_ne_u32_e32 vcc, s21, v37
	v_mov_b32_e32 v35, 0x7f80
	s_and_saveexec_b64 s[16:17], vcc
	s_cbranch_execz .LBB953_217
; %bb.216:                              ;   in Loop: Header=BB953_213 Depth=1
	v_and_b32_e32 v35, 7, v36
	v_ffbh_u32_e32 v44, v35
	v_min_u32_e32 v44, 32, v44
	v_subrev_u32_e32 v46, 28, v44
	v_lshlrev_b64 v[50:51], v46, v[36:37]
	v_lshrrev_b32_e32 v42, 3, v37
	v_sub_u32_e32 v44, 29, v44
	v_and_b32_e32 v46, 7, v50
	v_cmp_gt_u32_e32 vcc, 8, v37
	v_cndmask_b32_e32 v37, v42, v44, vcc
	v_cndmask_b32_e32 v35, v35, v46, vcc
	v_lshlrev_b32_e32 v42, 24, v36
	v_lshlrev_b32_e32 v35, 20, v35
	v_and_b32_e32 v42, 0x80000000, v42
	v_lshl_add_u32 v37, v37, 23, v48
	v_or3_b32 v35, v42, v37, v35
	v_lshrrev_b32_e32 v35, 16, v35
.LBB953_217:                            ;   in Loop: Header=BB953_213 Depth=1
	s_or_b64 exec, exec, s[16:17]
.LBB953_218:                            ;   in Loop: Header=BB953_213 Depth=1
	s_or_b64 exec, exec, s[14:15]
.LBB953_219:                            ;   in Loop: Header=BB953_213 Depth=1
	s_or_b64 exec, exec, s[12:13]
	v_lshrrev_b16_e32 v42, 8, v36
	v_cmp_ne_u16_e32 vcc, 0, v42
	v_mov_b32_e32 v46, 0
	v_mov_b32_e32 v37, 0
	s_and_saveexec_b64 s[12:13], vcc
	s_cbranch_execz .LBB953_225
; %bb.220:                              ;   in Loop: Header=BB953_213 Depth=1
	v_cmp_ne_u16_e32 vcc, s9, v42
	v_mov_b32_e32 v37, 0xffff8000
	s_and_saveexec_b64 s[14:15], vcc
	s_cbranch_execz .LBB953_224
; %bb.221:                              ;   in Loop: Header=BB953_213 Depth=1
	v_and_b32_e32 v44, 0x7f, v42
	v_cmp_ne_u32_e32 vcc, s21, v44
	v_mov_b32_e32 v37, 0x7f80
	s_and_saveexec_b64 s[16:17], vcc
	s_cbranch_execz .LBB953_223
; %bb.222:                              ;   in Loop: Header=BB953_213 Depth=1
	v_and_b32_e32 v37, 7, v42
	v_ffbh_u32_e32 v50, v37
	v_min_u32_e32 v52, 32, v50
	v_subrev_u32_e32 v50, 28, v52
	v_lshlrev_b64 v[50:51], v50, v[42:43]
	v_lshrrev_b32_e32 v49, 3, v44
	v_sub_u32_e32 v42, 29, v52
	v_and_b32_e32 v50, 7, v50
	v_cmp_gt_u32_e32 vcc, 8, v44
	v_cndmask_b32_e32 v42, v49, v42, vcc
	v_cndmask_b32_e32 v37, v37, v50, vcc
	v_lshlrev_b32_e32 v44, 16, v36
	v_lshlrev_b32_e32 v37, 20, v37
	v_and_b32_e32 v44, 0x80000000, v44
	v_lshl_add_u32 v42, v42, 23, v48
	v_or3_b32 v37, v44, v42, v37
	v_lshrrev_b32_e32 v37, 16, v37
.LBB953_223:                            ;   in Loop: Header=BB953_213 Depth=1
	s_or_b64 exec, exec, s[16:17]
.LBB953_224:                            ;   in Loop: Header=BB953_213 Depth=1
	s_or_b64 exec, exec, s[14:15]
.LBB953_225:                            ;   in Loop: Header=BB953_213 Depth=1
	s_or_b64 exec, exec, s[12:13]
	v_lshrrev_b32_e32 v42, 16, v36
	v_cmp_ne_u16_sdwa s[14:15], v42, v47 src0_sel:BYTE_0 src1_sel:DWORD
	s_and_saveexec_b64 s[12:13], s[14:15]
	s_cbranch_execz .LBB953_231
; %bb.226:                              ;   in Loop: Header=BB953_213 Depth=1
	v_cmp_ne_u16_sdwa s[16:17], v42, s9 src0_sel:BYTE_0 src1_sel:DWORD
	v_mov_b32_e32 v46, 0xffff8000
	s_and_saveexec_b64 s[14:15], s[16:17]
	s_cbranch_execz .LBB953_230
; %bb.227:                              ;   in Loop: Header=BB953_213 Depth=1
	v_bfe_u32 v44, v36, 16, 7
	v_cmp_ne_u32_e32 vcc, s21, v44
	v_mov_b32_e32 v46, 0x7f80
	s_and_saveexec_b64 s[16:17], vcc
	s_cbranch_execz .LBB953_229
; %bb.228:                              ;   in Loop: Header=BB953_213 Depth=1
	v_and_b32_e32 v46, 7, v42
	v_ffbh_u32_e32 v50, v46
	v_min_u32_e32 v52, 32, v50
	v_subrev_u32_e32 v50, 28, v52
	v_lshlrev_b64 v[50:51], v50, v[42:43]
	v_lshrrev_b32_e32 v49, 3, v44
	v_sub_u32_e32 v51, 29, v52
	v_and_b32_e32 v50, 7, v50
	v_cmp_gt_u32_e32 vcc, 8, v44
	v_cndmask_b32_e32 v44, v49, v51, vcc
	v_cndmask_b32_e32 v46, v46, v50, vcc
	v_lshlrev_b32_e32 v42, 24, v42
	v_lshlrev_b32_e32 v46, 20, v46
	v_and_b32_e32 v42, 0x80000000, v42
	v_lshl_add_u32 v44, v44, 23, v48
	v_or3_b32 v42, v42, v44, v46
	v_lshrrev_b32_e32 v46, 16, v42
.LBB953_229:                            ;   in Loop: Header=BB953_213 Depth=1
	s_or_b64 exec, exec, s[16:17]
.LBB953_230:                            ;   in Loop: Header=BB953_213 Depth=1
	s_or_b64 exec, exec, s[14:15]
.LBB953_231:                            ;   in Loop: Header=BB953_213 Depth=1
	s_or_b64 exec, exec, s[12:13]
	v_cmp_lt_u32_e32 vcc, s22, v36
	v_mov_b32_e32 v49, 0
	v_mov_b32_e32 v50, 0
	s_and_saveexec_b64 s[12:13], vcc
	s_cbranch_execz .LBB953_237
; %bb.232:                              ;   in Loop: Header=BB953_213 Depth=1
	v_lshrrev_b32_e32 v42, 24, v36
	v_cmp_ne_u32_e32 vcc, s9, v42
	v_mov_b32_e32 v50, 0xffff8000
	s_and_saveexec_b64 s[14:15], vcc
	s_cbranch_execz .LBB953_236
; %bb.233:                              ;   in Loop: Header=BB953_213 Depth=1
	v_bfe_u32 v36, v36, 24, 7
	v_cmp_ne_u32_e32 vcc, s21, v36
	v_mov_b32_e32 v50, 0x7f80
	s_and_saveexec_b64 s[16:17], vcc
	s_cbranch_execz .LBB953_235
; %bb.234:                              ;   in Loop: Header=BB953_213 Depth=1
	v_and_b32_e32 v44, 7, v42
	v_ffbh_u32_e32 v50, v44
	v_min_u32_e32 v53, 32, v50
	v_subrev_u32_e32 v50, 28, v53
	v_lshlrev_b64 v[50:51], v50, v[42:43]
	v_lshrrev_b32_e32 v52, 3, v36
	v_sub_u32_e32 v51, 29, v53
	v_and_b32_e32 v50, 7, v50
	v_cmp_gt_u32_e32 vcc, 8, v36
	v_cndmask_b32_e32 v36, v52, v51, vcc
	v_cndmask_b32_e32 v44, v44, v50, vcc
	v_lshlrev_b32_e32 v42, 24, v42
	v_lshlrev_b32_e32 v44, 20, v44
	v_and_b32_e32 v42, 0x80000000, v42
	v_lshl_add_u32 v36, v36, 23, v48
	v_or3_b32 v36, v42, v36, v44
	v_lshrrev_b32_e32 v50, 16, v36
.LBB953_235:                            ;   in Loop: Header=BB953_213 Depth=1
	s_or_b64 exec, exec, s[16:17]
.LBB953_236:                            ;   in Loop: Header=BB953_213 Depth=1
	s_or_b64 exec, exec, s[14:15]
.LBB953_237:                            ;   in Loop: Header=BB953_213 Depth=1
	s_or_b64 exec, exec, s[12:13]
	s_waitcnt vmcnt(2)
	v_cmp_ne_u16_sdwa s[14:15], v34, v47 src0_sel:BYTE_0 src1_sel:DWORD
	s_and_saveexec_b64 s[12:13], s[14:15]
	s_cbranch_execz .LBB953_243
; %bb.238:                              ;   in Loop: Header=BB953_213 Depth=1
	v_cmp_ne_u16_sdwa s[16:17], v34, s9 src0_sel:BYTE_0 src1_sel:DWORD
	v_mov_b32_e32 v49, 0xffff8000
	s_and_saveexec_b64 s[14:15], s[16:17]
	s_cbranch_execz .LBB953_242
; %bb.239:                              ;   in Loop: Header=BB953_213 Depth=1
	v_and_b32_e32 v36, 0x7f, v34
	v_cmp_ne_u32_e32 vcc, s21, v36
	v_mov_b32_e32 v49, 0x7f80
	s_and_saveexec_b64 s[16:17], vcc
	s_cbranch_execz .LBB953_241
; %bb.240:                              ;   in Loop: Header=BB953_213 Depth=1
	v_and_b32_e32 v42, 7, v34
	v_ffbh_u32_e32 v49, v42
	v_min_u32_e32 v49, 32, v49
	v_subrev_u32_e32 v51, 28, v49
	v_lshlrev_b64 v[52:53], v51, v[34:35]
	v_lshrrev_b32_e32 v44, 3, v36
	v_sub_u32_e32 v49, 29, v49
	v_and_b32_e32 v51, 7, v52
	v_cmp_gt_u32_e32 vcc, 8, v36
	v_cndmask_b32_e32 v36, v44, v49, vcc
	v_cndmask_b32_e32 v42, v42, v51, vcc
	v_lshlrev_b32_e32 v44, 24, v34
	v_lshlrev_b32_e32 v42, 20, v42
	v_and_b32_e32 v44, 0x80000000, v44
	v_lshl_add_u32 v36, v36, 23, v48
	v_or3_b32 v36, v44, v36, v42
	v_lshrrev_b32_e32 v49, 16, v36
.LBB953_241:                            ;   in Loop: Header=BB953_213 Depth=1
	s_or_b64 exec, exec, s[16:17]
.LBB953_242:                            ;   in Loop: Header=BB953_213 Depth=1
	s_or_b64 exec, exec, s[14:15]
.LBB953_243:                            ;   in Loop: Header=BB953_213 Depth=1
	s_or_b64 exec, exec, s[12:13]
	v_lshrrev_b16_e32 v36, 8, v34
	v_cmp_ne_u16_e32 vcc, 0, v36
	v_mov_b32_e32 v51, 0
	v_mov_b32_e32 v42, 0
	s_and_saveexec_b64 s[12:13], vcc
	s_cbranch_execz .LBB953_249
; %bb.244:                              ;   in Loop: Header=BB953_213 Depth=1
	v_cmp_ne_u16_e32 vcc, s9, v36
	v_mov_b32_e32 v42, 0xffff8000
	s_and_saveexec_b64 s[14:15], vcc
	s_cbranch_execz .LBB953_248
; %bb.245:                              ;   in Loop: Header=BB953_213 Depth=1
	v_and_b32_e32 v44, 0x7f, v36
	v_cmp_ne_u32_e32 vcc, s21, v44
	v_mov_b32_e32 v42, 0x7f80
	s_and_saveexec_b64 s[16:17], vcc
	s_cbranch_execz .LBB953_247
; %bb.246:                              ;   in Loop: Header=BB953_213 Depth=1
	v_and_b32_e32 v42, 7, v36
	v_ffbh_u32_e32 v52, v42
	v_min_u32_e32 v63, 32, v52
	v_subrev_u32_e32 v52, 28, v63
	v_lshlrev_b64 v[52:53], v52, v[36:37]
	v_lshrrev_b32_e32 v62, 3, v44
	v_sub_u32_e32 v36, 29, v63
	v_and_b32_e32 v52, 7, v52
	v_cmp_gt_u32_e32 vcc, 8, v44
	v_cndmask_b32_e32 v36, v62, v36, vcc
	v_cndmask_b32_e32 v42, v42, v52, vcc
	v_lshlrev_b32_e32 v44, 16, v34
	v_lshlrev_b32_e32 v42, 20, v42
	v_and_b32_e32 v44, 0x80000000, v44
	v_lshl_add_u32 v36, v36, 23, v48
	v_or3_b32 v36, v44, v36, v42
	v_lshrrev_b32_e32 v42, 16, v36
.LBB953_247:                            ;   in Loop: Header=BB953_213 Depth=1
	s_or_b64 exec, exec, s[16:17]
.LBB953_248:                            ;   in Loop: Header=BB953_213 Depth=1
	s_or_b64 exec, exec, s[14:15]
.LBB953_249:                            ;   in Loop: Header=BB953_213 Depth=1
	s_or_b64 exec, exec, s[12:13]
	v_lshrrev_b32_e32 v36, 16, v34
	v_cmp_ne_u16_sdwa s[14:15], v36, v47 src0_sel:BYTE_0 src1_sel:DWORD
	s_and_saveexec_b64 s[12:13], s[14:15]
	s_cbranch_execz .LBB953_255
; %bb.250:                              ;   in Loop: Header=BB953_213 Depth=1
	v_cmp_ne_u16_sdwa s[16:17], v36, s9 src0_sel:BYTE_0 src1_sel:DWORD
	v_mov_b32_e32 v51, 0xffff8000
	s_and_saveexec_b64 s[14:15], s[16:17]
	s_cbranch_execz .LBB953_254
; %bb.251:                              ;   in Loop: Header=BB953_213 Depth=1
	v_bfe_u32 v44, v34, 16, 7
	v_cmp_ne_u32_e32 vcc, s21, v44
	v_mov_b32_e32 v51, 0x7f80
	s_and_saveexec_b64 s[16:17], vcc
	s_cbranch_execz .LBB953_253
; %bb.252:                              ;   in Loop: Header=BB953_213 Depth=1
	v_and_b32_e32 v51, 7, v36
	v_ffbh_u32_e32 v52, v51
	v_min_u32_e32 v63, 32, v52
	v_subrev_u32_e32 v52, 28, v63
	v_lshlrev_b64 v[52:53], v52, v[36:37]
	v_lshrrev_b32_e32 v62, 3, v44
	v_sub_u32_e32 v53, 29, v63
	v_and_b32_e32 v52, 7, v52
	v_cmp_gt_u32_e32 vcc, 8, v44
	v_cndmask_b32_e32 v44, v62, v53, vcc
	v_cndmask_b32_e32 v51, v51, v52, vcc
	v_lshlrev_b32_e32 v36, 24, v36
	v_lshlrev_b32_e32 v51, 20, v51
	v_and_b32_e32 v36, 0x80000000, v36
	v_lshl_add_u32 v44, v44, 23, v48
	v_or3_b32 v36, v36, v44, v51
	v_lshrrev_b32_e32 v51, 16, v36
.LBB953_253:                            ;   in Loop: Header=BB953_213 Depth=1
	s_or_b64 exec, exec, s[16:17]
.LBB953_254:                            ;   in Loop: Header=BB953_213 Depth=1
	s_or_b64 exec, exec, s[14:15]
.LBB953_255:                            ;   in Loop: Header=BB953_213 Depth=1
	s_or_b64 exec, exec, s[12:13]
	v_cmp_lt_u32_e32 vcc, s22, v34
	v_mov_b32_e32 v44, 0
	v_mov_b32_e32 v52, 0
	s_and_saveexec_b64 s[12:13], vcc
	s_cbranch_execz .LBB953_261
; %bb.256:                              ;   in Loop: Header=BB953_213 Depth=1
	v_lshrrev_b32_e32 v36, 24, v34
	v_cmp_ne_u32_e32 vcc, s9, v36
	v_mov_b32_e32 v52, 0xffff8000
	s_and_saveexec_b64 s[14:15], vcc
	s_cbranch_execz .LBB953_260
; %bb.257:                              ;   in Loop: Header=BB953_213 Depth=1
	v_bfe_u32 v34, v34, 24, 7
	v_cmp_ne_u32_e32 vcc, s21, v34
	v_mov_b32_e32 v52, 0x7f80
	s_and_saveexec_b64 s[16:17], vcc
	s_cbranch_execz .LBB953_259
; %bb.258:                              ;   in Loop: Header=BB953_213 Depth=1
	v_and_b32_e32 v62, 7, v36
	v_ffbh_u32_e32 v52, v62
	v_min_u32_e32 v64, 32, v52
	v_subrev_u32_e32 v52, 28, v64
	v_lshlrev_b64 v[52:53], v52, v[36:37]
	v_lshrrev_b32_e32 v63, 3, v34
	v_sub_u32_e32 v53, 29, v64
	v_and_b32_e32 v52, 7, v52
	v_cmp_gt_u32_e32 vcc, 8, v34
	v_cndmask_b32_e32 v34, v63, v53, vcc
	v_cndmask_b32_e32 v52, v62, v52, vcc
	v_lshlrev_b32_e32 v36, 24, v36
	v_lshlrev_b32_e32 v52, 20, v52
	v_and_b32_e32 v36, 0x80000000, v36
	v_lshl_add_u32 v34, v34, 23, v48
	v_or3_b32 v34, v36, v34, v52
	v_lshrrev_b32_e32 v52, 16, v34
.LBB953_259:                            ;   in Loop: Header=BB953_213 Depth=1
	s_or_b64 exec, exec, s[16:17]
.LBB953_260:                            ;   in Loop: Header=BB953_213 Depth=1
	s_or_b64 exec, exec, s[14:15]
.LBB953_261:                            ;   in Loop: Header=BB953_213 Depth=1
	s_or_b64 exec, exec, s[12:13]
	v_perm_b32 v63, v50, v46, s23
	v_perm_b32 v62, v37, v35, s23
	;; [unrolled: 1-line block ×4, first 2 shown]
	s_waitcnt vmcnt(1)
	v_cmp_ne_u16_sdwa s[14:15], v40, v47 src0_sel:BYTE_0 src1_sel:DWORD
	v_mfma_f32_16x16x16bf16_1k v[34:37], v[62:63], v[2:3], 0
	v_mfma_f32_16x16x16bf16_1k v[34:37], v[50:51], v[4:5], v[34:37]
	s_and_saveexec_b64 s[12:13], s[14:15]
	s_cbranch_execz .LBB953_267
; %bb.262:                              ;   in Loop: Header=BB953_213 Depth=1
	v_cmp_ne_u16_sdwa s[16:17], v40, s9 src0_sel:BYTE_0 src1_sel:DWORD
	v_mov_b32_e32 v44, 0xffff8000
	s_and_saveexec_b64 s[14:15], s[16:17]
	s_cbranch_execz .LBB953_266
; %bb.263:                              ;   in Loop: Header=BB953_213 Depth=1
	v_and_b32_e32 v42, 0x7f, v40
	v_cmp_ne_u32_e32 vcc, s21, v42
	v_mov_b32_e32 v44, 0x7f80
	s_and_saveexec_b64 s[16:17], vcc
	s_cbranch_execz .LBB953_265
; %bb.264:                              ;   in Loop: Header=BB953_213 Depth=1
	v_and_b32_e32 v44, 7, v40
	v_ffbh_u32_e32 v49, v44
	v_min_u32_e32 v49, 32, v49
	v_subrev_u32_e32 v50, 28, v49
	v_lshlrev_b64 v[50:51], v50, v[40:41]
	v_lshrrev_b32_e32 v46, 3, v42
	v_sub_u32_e32 v49, 29, v49
	v_and_b32_e32 v50, 7, v50
	v_cmp_gt_u32_e32 vcc, 8, v42
	v_cndmask_b32_e32 v42, v46, v49, vcc
	v_cndmask_b32_e32 v44, v44, v50, vcc
	v_lshlrev_b32_e32 v46, 24, v40
	v_lshlrev_b32_e32 v44, 20, v44
	v_and_b32_e32 v46, 0x80000000, v46
	v_lshl_add_u32 v42, v42, 23, v48
	v_or3_b32 v42, v46, v42, v44
	v_lshrrev_b32_e32 v44, 16, v42
.LBB953_265:                            ;   in Loop: Header=BB953_213 Depth=1
	s_or_b64 exec, exec, s[16:17]
.LBB953_266:                            ;   in Loop: Header=BB953_213 Depth=1
	s_or_b64 exec, exec, s[14:15]
.LBB953_267:                            ;   in Loop: Header=BB953_213 Depth=1
	s_or_b64 exec, exec, s[12:13]
	v_lshrrev_b16_e32 v42, 8, v40
	v_cmp_ne_u16_e32 vcc, 0, v42
	v_mov_b32_e32 v50, 0
	v_mov_b32_e32 v46, 0
	s_and_saveexec_b64 s[12:13], vcc
	s_cbranch_execz .LBB953_273
; %bb.268:                              ;   in Loop: Header=BB953_213 Depth=1
	v_cmp_ne_u16_e32 vcc, s9, v42
	v_mov_b32_e32 v46, 0xffff8000
	s_and_saveexec_b64 s[14:15], vcc
	s_cbranch_execz .LBB953_272
; %bb.269:                              ;   in Loop: Header=BB953_213 Depth=1
	v_and_b32_e32 v49, 0x7f, v42
	v_cmp_ne_u32_e32 vcc, s21, v49
	v_mov_b32_e32 v46, 0x7f80
	s_and_saveexec_b64 s[16:17], vcc
	s_cbranch_execz .LBB953_271
; %bb.270:                              ;   in Loop: Header=BB953_213 Depth=1
	v_and_b32_e32 v46, 7, v42
	v_ffbh_u32_e32 v52, v46
	v_min_u32_e32 v62, 32, v52
	v_subrev_u32_e32 v52, 28, v62
	v_lshlrev_b64 v[52:53], v52, v[42:43]
	v_lshrrev_b32_e32 v51, 3, v49
	v_sub_u32_e32 v42, 29, v62
	v_and_b32_e32 v52, 7, v52
	v_cmp_gt_u32_e32 vcc, 8, v49
	v_cndmask_b32_e32 v42, v51, v42, vcc
	v_cndmask_b32_e32 v46, v46, v52, vcc
	v_lshlrev_b32_e32 v49, 16, v40
	v_lshlrev_b32_e32 v46, 20, v46
	v_and_b32_e32 v49, 0x80000000, v49
	v_lshl_add_u32 v42, v42, 23, v48
	v_or3_b32 v42, v49, v42, v46
	v_lshrrev_b32_e32 v46, 16, v42
.LBB953_271:                            ;   in Loop: Header=BB953_213 Depth=1
	s_or_b64 exec, exec, s[16:17]
.LBB953_272:                            ;   in Loop: Header=BB953_213 Depth=1
	s_or_b64 exec, exec, s[14:15]
.LBB953_273:                            ;   in Loop: Header=BB953_213 Depth=1
	s_or_b64 exec, exec, s[12:13]
	v_lshrrev_b32_e32 v42, 16, v40
	v_cmp_ne_u16_sdwa s[14:15], v42, v47 src0_sel:BYTE_0 src1_sel:DWORD
	s_and_saveexec_b64 s[12:13], s[14:15]
	s_cbranch_execz .LBB953_279
; %bb.274:                              ;   in Loop: Header=BB953_213 Depth=1
	v_cmp_ne_u16_sdwa s[16:17], v42, s9 src0_sel:BYTE_0 src1_sel:DWORD
	v_mov_b32_e32 v50, 0xffff8000
	s_and_saveexec_b64 s[14:15], s[16:17]
	s_cbranch_execz .LBB953_278
; %bb.275:                              ;   in Loop: Header=BB953_213 Depth=1
	v_bfe_u32 v49, v40, 16, 7
	v_cmp_ne_u32_e32 vcc, s21, v49
	v_mov_b32_e32 v50, 0x7f80
	s_and_saveexec_b64 s[16:17], vcc
	s_cbranch_execz .LBB953_277
; %bb.276:                              ;   in Loop: Header=BB953_213 Depth=1
	v_and_b32_e32 v52, 7, v42
	v_ffbh_u32_e32 v50, v52
	v_min_u32_e32 v62, 32, v50
	v_subrev_u32_e32 v50, 28, v62
	v_lshlrev_b64 v[50:51], v50, v[42:43]
	v_lshrrev_b32_e32 v53, 3, v49
	v_sub_u32_e32 v51, 29, v62
	v_and_b32_e32 v50, 7, v50
	v_cmp_gt_u32_e32 vcc, 8, v49
	v_cndmask_b32_e32 v49, v53, v51, vcc
	v_cndmask_b32_e32 v50, v52, v50, vcc
	v_lshlrev_b32_e32 v42, 24, v42
	v_lshlrev_b32_e32 v50, 20, v50
	v_and_b32_e32 v42, 0x80000000, v42
	v_lshl_add_u32 v49, v49, 23, v48
	v_or3_b32 v42, v42, v49, v50
	v_lshrrev_b32_e32 v50, 16, v42
.LBB953_277:                            ;   in Loop: Header=BB953_213 Depth=1
	s_or_b64 exec, exec, s[16:17]
.LBB953_278:                            ;   in Loop: Header=BB953_213 Depth=1
	s_or_b64 exec, exec, s[14:15]
.LBB953_279:                            ;   in Loop: Header=BB953_213 Depth=1
	s_or_b64 exec, exec, s[12:13]
	v_cmp_lt_u32_e32 vcc, s22, v40
	v_mov_b32_e32 v51, 0
	v_mov_b32_e32 v52, 0
	s_and_saveexec_b64 s[12:13], vcc
	s_cbranch_execz .LBB953_285
; %bb.280:                              ;   in Loop: Header=BB953_213 Depth=1
	v_lshrrev_b32_e32 v42, 24, v40
	v_cmp_ne_u32_e32 vcc, s9, v42
	v_mov_b32_e32 v52, 0xffff8000
	s_and_saveexec_b64 s[14:15], vcc
	s_cbranch_execz .LBB953_284
; %bb.281:                              ;   in Loop: Header=BB953_213 Depth=1
	v_bfe_u32 v40, v40, 24, 7
	v_cmp_ne_u32_e32 vcc, s21, v40
	v_mov_b32_e32 v52, 0x7f80
	s_and_saveexec_b64 s[16:17], vcc
	s_cbranch_execz .LBB953_283
; %bb.282:                              ;   in Loop: Header=BB953_213 Depth=1
	v_and_b32_e32 v49, 7, v42
	v_ffbh_u32_e32 v52, v49
	v_min_u32_e32 v63, 32, v52
	v_subrev_u32_e32 v52, 28, v63
	v_lshlrev_b64 v[52:53], v52, v[42:43]
	v_lshrrev_b32_e32 v62, 3, v40
	v_sub_u32_e32 v53, 29, v63
	v_and_b32_e32 v52, 7, v52
	v_cmp_gt_u32_e32 vcc, 8, v40
	v_cndmask_b32_e32 v40, v62, v53, vcc
	v_cndmask_b32_e32 v49, v49, v52, vcc
	v_lshlrev_b32_e32 v42, 24, v42
	v_lshlrev_b32_e32 v49, 20, v49
	v_and_b32_e32 v42, 0x80000000, v42
	v_lshl_add_u32 v40, v40, 23, v48
	v_or3_b32 v40, v42, v40, v49
	v_lshrrev_b32_e32 v52, 16, v40
.LBB953_283:                            ;   in Loop: Header=BB953_213 Depth=1
	s_or_b64 exec, exec, s[16:17]
.LBB953_284:                            ;   in Loop: Header=BB953_213 Depth=1
	s_or_b64 exec, exec, s[14:15]
.LBB953_285:                            ;   in Loop: Header=BB953_213 Depth=1
	s_or_b64 exec, exec, s[12:13]
	s_waitcnt vmcnt(0)
	v_cmp_ne_u16_sdwa s[14:15], v38, v47 src0_sel:BYTE_0 src1_sel:DWORD
	s_and_saveexec_b64 s[12:13], s[14:15]
	s_cbranch_execz .LBB953_291
; %bb.286:                              ;   in Loop: Header=BB953_213 Depth=1
	v_cmp_ne_u16_sdwa s[16:17], v38, s9 src0_sel:BYTE_0 src1_sel:DWORD
	v_mov_b32_e32 v51, 0xffff8000
	s_and_saveexec_b64 s[14:15], s[16:17]
	s_cbranch_execz .LBB953_290
; %bb.287:                              ;   in Loop: Header=BB953_213 Depth=1
	v_and_b32_e32 v40, 0x7f, v38
	v_cmp_ne_u32_e32 vcc, s21, v40
	v_mov_b32_e32 v51, 0x7f80
	s_and_saveexec_b64 s[16:17], vcc
	s_cbranch_execz .LBB953_289
; %bb.288:                              ;   in Loop: Header=BB953_213 Depth=1
	v_and_b32_e32 v42, 7, v38
	v_ffbh_u32_e32 v51, v42
	v_min_u32_e32 v51, 32, v51
	v_subrev_u32_e32 v53, 28, v51
	v_lshlrev_b64 v[62:63], v53, v[38:39]
	v_lshrrev_b32_e32 v49, 3, v40
	v_sub_u32_e32 v51, 29, v51
	v_and_b32_e32 v53, 7, v62
	v_cmp_gt_u32_e32 vcc, 8, v40
	v_cndmask_b32_e32 v40, v49, v51, vcc
	v_cndmask_b32_e32 v42, v42, v53, vcc
	v_lshlrev_b32_e32 v49, 24, v38
	v_lshlrev_b32_e32 v42, 20, v42
	v_and_b32_e32 v49, 0x80000000, v49
	v_lshl_add_u32 v40, v40, 23, v48
	v_or3_b32 v40, v49, v40, v42
	v_lshrrev_b32_e32 v51, 16, v40
.LBB953_289:                            ;   in Loop: Header=BB953_213 Depth=1
	s_or_b64 exec, exec, s[16:17]
.LBB953_290:                            ;   in Loop: Header=BB953_213 Depth=1
	s_or_b64 exec, exec, s[14:15]
.LBB953_291:                            ;   in Loop: Header=BB953_213 Depth=1
	s_or_b64 exec, exec, s[12:13]
	v_lshrrev_b16_e32 v40, 8, v38
	v_cmp_ne_u16_e32 vcc, 0, v40
	v_mov_b32_e32 v62, 0
	v_mov_b32_e32 v53, 0
	s_and_saveexec_b64 s[12:13], vcc
	s_cbranch_execz .LBB953_297
; %bb.292:                              ;   in Loop: Header=BB953_213 Depth=1
	v_cmp_ne_u16_e32 vcc, s9, v40
	v_mov_b32_e32 v53, 0xffff8000
	s_and_saveexec_b64 s[14:15], vcc
	s_cbranch_execz .LBB953_296
; %bb.293:                              ;   in Loop: Header=BB953_213 Depth=1
	v_and_b32_e32 v42, 0x7f, v40
	v_cmp_ne_u32_e32 vcc, s21, v42
	v_mov_b32_e32 v53, 0x7f80
	s_and_saveexec_b64 s[16:17], vcc
	s_cbranch_execz .LBB953_295
; %bb.294:                              ;   in Loop: Header=BB953_213 Depth=1
	v_and_b32_e32 v49, 7, v40
	v_ffbh_u32_e32 v63, v49
	v_min_u32_e32 v63, 32, v63
	v_subrev_u32_e32 v64, 28, v63
	v_lshlrev_b64 v[64:65], v64, v[40:41]
	v_lshrrev_b32_e32 v53, 3, v42
	v_sub_u32_e32 v40, 29, v63
	v_and_b32_e32 v63, 7, v64
	v_cmp_gt_u32_e32 vcc, 8, v42
	v_cndmask_b32_e32 v40, v53, v40, vcc
	v_cndmask_b32_e32 v42, v49, v63, vcc
	v_lshlrev_b32_e32 v49, 16, v38
	v_lshlrev_b32_e32 v42, 20, v42
	v_and_b32_e32 v49, 0x80000000, v49
	v_lshl_add_u32 v40, v40, 23, v48
	v_or3_b32 v40, v49, v40, v42
	v_lshrrev_b32_e32 v53, 16, v40
.LBB953_295:                            ;   in Loop: Header=BB953_213 Depth=1
	s_or_b64 exec, exec, s[16:17]
.LBB953_296:                            ;   in Loop: Header=BB953_213 Depth=1
	s_or_b64 exec, exec, s[14:15]
.LBB953_297:                            ;   in Loop: Header=BB953_213 Depth=1
	s_or_b64 exec, exec, s[12:13]
	v_lshrrev_b32_e32 v40, 16, v38
	v_cmp_ne_u16_sdwa s[14:15], v40, v47 src0_sel:BYTE_0 src1_sel:DWORD
	s_and_saveexec_b64 s[12:13], s[14:15]
	s_cbranch_execz .LBB953_303
; %bb.298:                              ;   in Loop: Header=BB953_213 Depth=1
	v_cmp_ne_u16_sdwa s[16:17], v40, s9 src0_sel:BYTE_0 src1_sel:DWORD
	v_mov_b32_e32 v62, 0xffff8000
	s_and_saveexec_b64 s[14:15], s[16:17]
	s_cbranch_execz .LBB953_302
; %bb.299:                              ;   in Loop: Header=BB953_213 Depth=1
	v_bfe_u32 v42, v38, 16, 7
	v_cmp_ne_u32_e32 vcc, s21, v42
	v_mov_b32_e32 v62, 0x7f80
	s_and_saveexec_b64 s[16:17], vcc
	s_cbranch_execz .LBB953_301
; %bb.300:                              ;   in Loop: Header=BB953_213 Depth=1
	v_and_b32_e32 v49, 7, v40
	v_ffbh_u32_e32 v62, v49
	v_min_u32_e32 v65, 32, v62
	v_subrev_u32_e32 v62, 28, v65
	v_lshlrev_b64 v[62:63], v62, v[40:41]
	v_lshrrev_b32_e32 v64, 3, v42
	v_sub_u32_e32 v63, 29, v65
	v_and_b32_e32 v62, 7, v62
	v_cmp_gt_u32_e32 vcc, 8, v42
	v_cndmask_b32_e32 v42, v64, v63, vcc
	v_cndmask_b32_e32 v49, v49, v62, vcc
	v_lshlrev_b32_e32 v40, 24, v40
	v_lshlrev_b32_e32 v49, 20, v49
	v_and_b32_e32 v40, 0x80000000, v40
	v_lshl_add_u32 v42, v42, 23, v48
	v_or3_b32 v40, v40, v42, v49
	v_lshrrev_b32_e32 v62, 16, v40
.LBB953_301:                            ;   in Loop: Header=BB953_213 Depth=1
	s_or_b64 exec, exec, s[16:17]
.LBB953_302:                            ;   in Loop: Header=BB953_213 Depth=1
	s_or_b64 exec, exec, s[14:15]
.LBB953_303:                            ;   in Loop: Header=BB953_213 Depth=1
	s_or_b64 exec, exec, s[12:13]
	v_cmp_lt_u32_e32 vcc, s22, v38
	v_mov_b32_e32 v49, 0
	v_mov_b32_e32 v63, 0
	s_and_saveexec_b64 s[12:13], vcc
	s_cbranch_execz .LBB953_309
; %bb.304:                              ;   in Loop: Header=BB953_213 Depth=1
	v_lshrrev_b32_e32 v40, 24, v38
	v_cmp_ne_u32_e32 vcc, s9, v40
	v_mov_b32_e32 v63, 0xffff8000
	s_and_saveexec_b64 s[14:15], vcc
	s_cbranch_execz .LBB953_308
; %bb.305:                              ;   in Loop: Header=BB953_213 Depth=1
	v_bfe_u32 v38, v38, 24, 7
	v_cmp_ne_u32_e32 vcc, s21, v38
	v_mov_b32_e32 v63, 0x7f80
	s_and_saveexec_b64 s[16:17], vcc
	s_cbranch_execz .LBB953_307
; %bb.306:                              ;   in Loop: Header=BB953_213 Depth=1
	v_and_b32_e32 v42, 7, v40
	v_ffbh_u32_e32 v64, v42
	v_min_u32_e32 v66, 32, v64
	v_subrev_u32_e32 v64, 28, v66
	v_lshlrev_b64 v[64:65], v64, v[40:41]
	v_lshrrev_b32_e32 v63, 3, v38
	v_sub_u32_e32 v65, 29, v66
	v_and_b32_e32 v64, 7, v64
	v_cmp_gt_u32_e32 vcc, 8, v38
	v_cndmask_b32_e32 v38, v63, v65, vcc
	v_cndmask_b32_e32 v42, v42, v64, vcc
	v_lshlrev_b32_e32 v40, 24, v40
	v_lshlrev_b32_e32 v42, 20, v42
	v_and_b32_e32 v40, 0x80000000, v40
	v_lshl_add_u32 v38, v38, 23, v48
	v_or3_b32 v38, v40, v38, v42
	v_lshrrev_b32_e32 v63, 16, v38
.LBB953_307:                            ;   in Loop: Header=BB953_213 Depth=1
	s_or_b64 exec, exec, s[16:17]
.LBB953_308:                            ;   in Loop: Header=BB953_213 Depth=1
	s_or_b64 exec, exec, s[14:15]
.LBB953_309:                            ;   in Loop: Header=BB953_213 Depth=1
	s_or_b64 exec, exec, s[12:13]
	v_perm_b32 v64, v46, v44, s23
	buffer_load_dword v44, v61, s[0:3], 0 offen
	buffer_load_dword v42, v61, s[0:3], 0 offen offset:4
	buffer_load_dword v40, v61, s[0:3], 0 offen offset:8
	;; [unrolled: 1-line block ×3, first 2 shown]
	v_perm_b32 v65, v52, v50, s23
	v_perm_b32 v63, v63, v62, s23
	;; [unrolled: 1-line block ×3, first 2 shown]
	v_mfma_f32_16x16x16bf16_1k v[34:37], v[64:65], v[6:7], v[34:37]
	s_waitcnt vmcnt(3)
	v_cmp_ne_u16_sdwa s[14:15], v44, v47 src0_sel:BYTE_0 src1_sel:DWORD
	v_mfma_f32_16x16x16bf16_1k v[34:37], v[62:63], v[8:9], v[34:37]
	s_and_saveexec_b64 s[12:13], s[14:15]
	s_cbranch_execz .LBB953_315
; %bb.310:                              ;   in Loop: Header=BB953_213 Depth=1
	v_cmp_ne_u16_sdwa s[16:17], v44, s9 src0_sel:BYTE_0 src1_sel:DWORD
	v_mov_b32_e32 v49, 0xffff8000
	s_and_saveexec_b64 s[14:15], s[16:17]
	s_cbranch_execz .LBB953_314
; %bb.311:                              ;   in Loop: Header=BB953_213 Depth=1
	v_and_b32_e32 v46, 0x7f, v44
	v_cmp_ne_u32_e32 vcc, s21, v46
	v_mov_b32_e32 v49, 0x7f80
	s_and_saveexec_b64 s[16:17], vcc
	s_cbranch_execz .LBB953_313
; %bb.312:                              ;   in Loop: Header=BB953_213 Depth=1
	v_and_b32_e32 v49, 7, v44
	v_ffbh_u32_e32 v50, v49
	v_min_u32_e32 v53, 32, v50
	v_subrev_u32_e32 v50, 28, v53
	v_lshlrev_b64 v[50:51], v50, v[44:45]
	v_lshrrev_b32_e32 v52, 3, v46
	v_sub_u32_e32 v51, 29, v53
	v_and_b32_e32 v50, 7, v50
	v_cmp_gt_u32_e32 vcc, 8, v46
	v_cndmask_b32_e32 v46, v52, v51, vcc
	v_cndmask_b32_e32 v49, v49, v50, vcc
	v_lshlrev_b32_e32 v50, 24, v44
	v_lshlrev_b32_e32 v49, 20, v49
	v_and_b32_e32 v50, 0x80000000, v50
	v_lshl_add_u32 v46, v46, 23, v48
	v_or3_b32 v46, v50, v46, v49
	v_lshrrev_b32_e32 v49, 16, v46
.LBB953_313:                            ;   in Loop: Header=BB953_213 Depth=1
	s_or_b64 exec, exec, s[16:17]
.LBB953_314:                            ;   in Loop: Header=BB953_213 Depth=1
	s_or_b64 exec, exec, s[14:15]
.LBB953_315:                            ;   in Loop: Header=BB953_213 Depth=1
	s_or_b64 exec, exec, s[12:13]
	v_lshrrev_b16_e32 v46, 8, v44
	v_cmp_ne_u16_e32 vcc, 0, v46
	v_mov_b32_e32 v51, 0
	v_mov_b32_e32 v50, 0
	s_and_saveexec_b64 s[12:13], vcc
	s_cbranch_execz .LBB953_321
; %bb.316:                              ;   in Loop: Header=BB953_213 Depth=1
	v_cmp_ne_u16_e32 vcc, s9, v46
	v_mov_b32_e32 v50, 0xffff8000
	s_and_saveexec_b64 s[14:15], vcc
	s_cbranch_execz .LBB953_320
; %bb.317:                              ;   in Loop: Header=BB953_213 Depth=1
	v_and_b32_e32 v52, 0x7f, v46
	v_cmp_ne_u32_e32 vcc, s21, v52
	v_mov_b32_e32 v50, 0x7f80
	s_and_saveexec_b64 s[16:17], vcc
	s_cbranch_execz .LBB953_319
; %bb.318:                              ;   in Loop: Header=BB953_213 Depth=1
	v_and_b32_e32 v50, 7, v46
	v_ffbh_u32_e32 v61, v50
	v_min_u32_e32 v61, 32, v61
	v_subrev_u32_e32 v62, 28, v61
	v_lshlrev_b64 v[62:63], v62, v[46:47]
	v_lshrrev_b32_e32 v53, 3, v52
	v_sub_u32_e32 v46, 29, v61
	v_and_b32_e32 v61, 7, v62
	v_cmp_gt_u32_e32 vcc, 8, v52
	v_cndmask_b32_e32 v46, v53, v46, vcc
	v_cndmask_b32_e32 v50, v50, v61, vcc
	v_lshlrev_b32_e32 v52, 16, v44
	v_lshlrev_b32_e32 v50, 20, v50
	v_and_b32_e32 v52, 0x80000000, v52
	v_lshl_add_u32 v46, v46, 23, v48
	v_or3_b32 v46, v52, v46, v50
	v_lshrrev_b32_e32 v50, 16, v46
.LBB953_319:                            ;   in Loop: Header=BB953_213 Depth=1
	s_or_b64 exec, exec, s[16:17]
.LBB953_320:                            ;   in Loop: Header=BB953_213 Depth=1
	s_or_b64 exec, exec, s[14:15]
.LBB953_321:                            ;   in Loop: Header=BB953_213 Depth=1
	s_or_b64 exec, exec, s[12:13]
	v_lshrrev_b32_e32 v46, 16, v44
	v_cmp_ne_u16_sdwa s[14:15], v46, v47 src0_sel:BYTE_0 src1_sel:DWORD
	s_and_saveexec_b64 s[12:13], s[14:15]
	s_cbranch_execz .LBB953_327
; %bb.322:                              ;   in Loop: Header=BB953_213 Depth=1
	v_cmp_ne_u16_sdwa s[16:17], v46, s9 src0_sel:BYTE_0 src1_sel:DWORD
	v_mov_b32_e32 v51, 0xffff8000
	s_and_saveexec_b64 s[14:15], s[16:17]
	s_cbranch_execz .LBB953_326
; %bb.323:                              ;   in Loop: Header=BB953_213 Depth=1
	v_bfe_u32 v52, v44, 16, 7
	v_cmp_ne_u32_e32 vcc, s21, v52
	v_mov_b32_e32 v51, 0x7f80
	s_and_saveexec_b64 s[16:17], vcc
	s_cbranch_execz .LBB953_325
; %bb.324:                              ;   in Loop: Header=BB953_213 Depth=1
	v_and_b32_e32 v51, 7, v46
	v_ffbh_u32_e32 v61, v51
	v_min_u32_e32 v61, 32, v61
	v_subrev_u32_e32 v62, 28, v61
	v_lshlrev_b64 v[62:63], v62, v[46:47]
	v_lshrrev_b32_e32 v53, 3, v52
	v_sub_u32_e32 v61, 29, v61
	v_and_b32_e32 v62, 7, v62
	v_cmp_gt_u32_e32 vcc, 8, v52
	v_cndmask_b32_e32 v52, v53, v61, vcc
	v_cndmask_b32_e32 v51, v51, v62, vcc
	v_lshlrev_b32_e32 v46, 24, v46
	v_lshlrev_b32_e32 v51, 20, v51
	v_and_b32_e32 v46, 0x80000000, v46
	v_lshl_add_u32 v52, v52, 23, v48
	v_or3_b32 v46, v46, v52, v51
	v_lshrrev_b32_e32 v51, 16, v46
.LBB953_325:                            ;   in Loop: Header=BB953_213 Depth=1
	s_or_b64 exec, exec, s[16:17]
.LBB953_326:                            ;   in Loop: Header=BB953_213 Depth=1
	s_or_b64 exec, exec, s[14:15]
.LBB953_327:                            ;   in Loop: Header=BB953_213 Depth=1
	s_or_b64 exec, exec, s[12:13]
	v_cmp_lt_u32_e32 vcc, s22, v44
	v_mov_b32_e32 v52, 0
	v_mov_b32_e32 v53, 0
	s_and_saveexec_b64 s[12:13], vcc
	s_cbranch_execz .LBB953_333
; %bb.328:                              ;   in Loop: Header=BB953_213 Depth=1
	v_lshrrev_b32_e32 v46, 24, v44
	v_cmp_ne_u32_e32 vcc, s9, v46
	v_mov_b32_e32 v53, 0xffff8000
	s_and_saveexec_b64 s[14:15], vcc
	s_cbranch_execz .LBB953_332
; %bb.329:                              ;   in Loop: Header=BB953_213 Depth=1
	v_bfe_u32 v44, v44, 24, 7
	v_cmp_ne_u32_e32 vcc, s21, v44
	v_mov_b32_e32 v53, 0x7f80
	s_and_saveexec_b64 s[16:17], vcc
	s_cbranch_execz .LBB953_331
; %bb.330:                              ;   in Loop: Header=BB953_213 Depth=1
	v_and_b32_e32 v53, 7, v46
	v_ffbh_u32_e32 v62, v53
	v_min_u32_e32 v64, 32, v62
	v_subrev_u32_e32 v62, 28, v64
	v_lshlrev_b64 v[62:63], v62, v[46:47]
	v_lshrrev_b32_e32 v61, 3, v44
	v_sub_u32_e32 v63, 29, v64
	v_and_b32_e32 v62, 7, v62
	v_cmp_gt_u32_e32 vcc, 8, v44
	v_cndmask_b32_e32 v44, v61, v63, vcc
	v_cndmask_b32_e32 v53, v53, v62, vcc
	v_lshlrev_b32_e32 v46, 24, v46
	v_lshlrev_b32_e32 v53, 20, v53
	v_and_b32_e32 v46, 0x80000000, v46
	v_lshl_add_u32 v44, v44, 23, v48
	v_or3_b32 v44, v46, v44, v53
	v_lshrrev_b32_e32 v53, 16, v44
.LBB953_331:                            ;   in Loop: Header=BB953_213 Depth=1
	s_or_b64 exec, exec, s[16:17]
.LBB953_332:                            ;   in Loop: Header=BB953_213 Depth=1
	s_or_b64 exec, exec, s[14:15]
.LBB953_333:                            ;   in Loop: Header=BB953_213 Depth=1
	s_or_b64 exec, exec, s[12:13]
	s_waitcnt vmcnt(2)
	v_cmp_ne_u16_sdwa s[14:15], v42, v47 src0_sel:BYTE_0 src1_sel:DWORD
	s_and_saveexec_b64 s[12:13], s[14:15]
	s_cbranch_execz .LBB953_339
; %bb.334:                              ;   in Loop: Header=BB953_213 Depth=1
	v_cmp_ne_u16_sdwa s[16:17], v42, s9 src0_sel:BYTE_0 src1_sel:DWORD
	v_mov_b32_e32 v52, 0xffff8000
	s_and_saveexec_b64 s[14:15], s[16:17]
	s_cbranch_execz .LBB953_338
; %bb.335:                              ;   in Loop: Header=BB953_213 Depth=1
	v_and_b32_e32 v44, 0x7f, v42
	v_cmp_ne_u32_e32 vcc, s21, v44
	v_mov_b32_e32 v52, 0x7f80
	s_and_saveexec_b64 s[16:17], vcc
	s_cbranch_execz .LBB953_337
; %bb.336:                              ;   in Loop: Header=BB953_213 Depth=1
	v_and_b32_e32 v46, 7, v42
	v_ffbh_u32_e32 v61, v46
	v_min_u32_e32 v61, 32, v61
	v_subrev_u32_e32 v62, 28, v61
	v_lshlrev_b64 v[62:63], v62, v[42:43]
	v_lshrrev_b32_e32 v52, 3, v44
	v_sub_u32_e32 v61, 29, v61
	v_and_b32_e32 v62, 7, v62
	v_cmp_gt_u32_e32 vcc, 8, v44
	v_cndmask_b32_e32 v44, v52, v61, vcc
	v_cndmask_b32_e32 v46, v46, v62, vcc
	v_lshlrev_b32_e32 v52, 24, v42
	v_lshlrev_b32_e32 v46, 20, v46
	v_and_b32_e32 v52, 0x80000000, v52
	v_lshl_add_u32 v44, v44, 23, v48
	v_or3_b32 v44, v52, v44, v46
	v_lshrrev_b32_e32 v52, 16, v44
.LBB953_337:                            ;   in Loop: Header=BB953_213 Depth=1
	s_or_b64 exec, exec, s[16:17]
.LBB953_338:                            ;   in Loop: Header=BB953_213 Depth=1
	s_or_b64 exec, exec, s[14:15]
.LBB953_339:                            ;   in Loop: Header=BB953_213 Depth=1
	s_or_b64 exec, exec, s[12:13]
	v_lshrrev_b16_e32 v44, 8, v42
	v_cmp_ne_u16_e32 vcc, 0, v44
	v_mov_b32_e32 v62, 0
	v_mov_b32_e32 v61, 0
	s_and_saveexec_b64 s[12:13], vcc
	s_cbranch_execz .LBB953_345
; %bb.340:                              ;   in Loop: Header=BB953_213 Depth=1
	v_cmp_ne_u16_e32 vcc, s9, v44
	v_mov_b32_e32 v61, 0xffff8000
	s_and_saveexec_b64 s[14:15], vcc
	s_cbranch_execz .LBB953_344
; %bb.341:                              ;   in Loop: Header=BB953_213 Depth=1
	v_and_b32_e32 v46, 0x7f, v44
	v_cmp_ne_u32_e32 vcc, s21, v46
	v_mov_b32_e32 v61, 0x7f80
	s_and_saveexec_b64 s[16:17], vcc
	s_cbranch_execz .LBB953_343
; %bb.342:                              ;   in Loop: Header=BB953_213 Depth=1
	v_and_b32_e32 v61, 7, v44
	v_ffbh_u32_e32 v64, v61
	v_min_u32_e32 v66, 32, v64
	v_subrev_u32_e32 v64, 28, v66
	v_lshlrev_b64 v[64:65], v64, v[44:45]
	v_lshrrev_b32_e32 v63, 3, v46
	v_sub_u32_e32 v44, 29, v66
	v_and_b32_e32 v64, 7, v64
	v_cmp_gt_u32_e32 vcc, 8, v46
	v_cndmask_b32_e32 v44, v63, v44, vcc
	v_cndmask_b32_e32 v46, v61, v64, vcc
	v_lshlrev_b32_e32 v61, 16, v42
	v_lshlrev_b32_e32 v46, 20, v46
	v_and_b32_e32 v61, 0x80000000, v61
	v_lshl_add_u32 v44, v44, 23, v48
	v_or3_b32 v44, v61, v44, v46
	v_lshrrev_b32_e32 v61, 16, v44
.LBB953_343:                            ;   in Loop: Header=BB953_213 Depth=1
	s_or_b64 exec, exec, s[16:17]
.LBB953_344:                            ;   in Loop: Header=BB953_213 Depth=1
	s_or_b64 exec, exec, s[14:15]
.LBB953_345:                            ;   in Loop: Header=BB953_213 Depth=1
	s_or_b64 exec, exec, s[12:13]
	v_lshrrev_b32_e32 v44, 16, v42
	v_cmp_ne_u16_sdwa s[14:15], v44, v47 src0_sel:BYTE_0 src1_sel:DWORD
	s_and_saveexec_b64 s[12:13], s[14:15]
	s_cbranch_execz .LBB953_351
; %bb.346:                              ;   in Loop: Header=BB953_213 Depth=1
	v_cmp_ne_u16_sdwa s[16:17], v44, s9 src0_sel:BYTE_0 src1_sel:DWORD
	v_mov_b32_e32 v62, 0xffff8000
	s_and_saveexec_b64 s[14:15], s[16:17]
	s_cbranch_execz .LBB953_350
; %bb.347:                              ;   in Loop: Header=BB953_213 Depth=1
	v_bfe_u32 v46, v42, 16, 7
	v_cmp_ne_u32_e32 vcc, s21, v46
	v_mov_b32_e32 v62, 0x7f80
	s_and_saveexec_b64 s[16:17], vcc
	s_cbranch_execz .LBB953_349
; %bb.348:                              ;   in Loop: Header=BB953_213 Depth=1
	v_and_b32_e32 v64, 7, v44
	v_ffbh_u32_e32 v62, v64
	v_min_u32_e32 v66, 32, v62
	v_subrev_u32_e32 v62, 28, v66
	v_lshlrev_b64 v[62:63], v62, v[44:45]
	v_lshrrev_b32_e32 v65, 3, v46
	v_sub_u32_e32 v63, 29, v66
	v_and_b32_e32 v62, 7, v62
	v_cmp_gt_u32_e32 vcc, 8, v46
	v_cndmask_b32_e32 v46, v65, v63, vcc
	v_cndmask_b32_e32 v62, v64, v62, vcc
	v_lshlrev_b32_e32 v44, 24, v44
	v_lshlrev_b32_e32 v62, 20, v62
	v_and_b32_e32 v44, 0x80000000, v44
	v_lshl_add_u32 v46, v46, 23, v48
	v_or3_b32 v44, v44, v46, v62
	v_lshrrev_b32_e32 v62, 16, v44
.LBB953_349:                            ;   in Loop: Header=BB953_213 Depth=1
	s_or_b64 exec, exec, s[16:17]
.LBB953_350:                            ;   in Loop: Header=BB953_213 Depth=1
	s_or_b64 exec, exec, s[14:15]
.LBB953_351:                            ;   in Loop: Header=BB953_213 Depth=1
	s_or_b64 exec, exec, s[12:13]
	v_cmp_lt_u32_e32 vcc, s22, v42
	v_mov_b32_e32 v46, 0
	v_mov_b32_e32 v63, 0
	s_and_saveexec_b64 s[12:13], vcc
	s_cbranch_execz .LBB953_357
; %bb.352:                              ;   in Loop: Header=BB953_213 Depth=1
	v_lshrrev_b32_e32 v44, 24, v42
	v_cmp_ne_u32_e32 vcc, s9, v44
	v_mov_b32_e32 v63, 0xffff8000
	s_and_saveexec_b64 s[14:15], vcc
	s_cbranch_execz .LBB953_356
; %bb.353:                              ;   in Loop: Header=BB953_213 Depth=1
	v_bfe_u32 v42, v42, 24, 7
	v_cmp_ne_u32_e32 vcc, s21, v42
	v_mov_b32_e32 v63, 0x7f80
	s_and_saveexec_b64 s[16:17], vcc
	s_cbranch_execz .LBB953_355
; %bb.354:                              ;   in Loop: Header=BB953_213 Depth=1
	v_and_b32_e32 v63, 7, v44
	v_ffbh_u32_e32 v64, v63
	v_min_u32_e32 v67, 32, v64
	v_subrev_u32_e32 v64, 28, v67
	v_lshlrev_b64 v[64:65], v64, v[44:45]
	v_lshrrev_b32_e32 v66, 3, v42
	v_sub_u32_e32 v65, 29, v67
	v_and_b32_e32 v64, 7, v64
	v_cmp_gt_u32_e32 vcc, 8, v42
	v_cndmask_b32_e32 v42, v66, v65, vcc
	v_cndmask_b32_e32 v63, v63, v64, vcc
	v_lshlrev_b32_e32 v44, 24, v44
	v_lshlrev_b32_e32 v63, 20, v63
	v_and_b32_e32 v44, 0x80000000, v44
	v_lshl_add_u32 v42, v42, 23, v48
	v_or3_b32 v42, v44, v42, v63
	v_lshrrev_b32_e32 v63, 16, v42
.LBB953_355:                            ;   in Loop: Header=BB953_213 Depth=1
	s_or_b64 exec, exec, s[16:17]
.LBB953_356:                            ;   in Loop: Header=BB953_213 Depth=1
	s_or_b64 exec, exec, s[14:15]
.LBB953_357:                            ;   in Loop: Header=BB953_213 Depth=1
	s_or_b64 exec, exec, s[12:13]
	v_perm_b32 v51, v53, v51, s23
	v_perm_b32 v50, v50, v49, s23
	s_waitcnt vmcnt(1)
	v_cmp_ne_u16_sdwa s[14:15], v40, v47 src0_sel:BYTE_0 src1_sel:DWORD
	v_mfma_f32_16x16x16bf16_1k v[34:37], v[50:51], v[10:11], v[34:37]
	v_perm_b32 v51, v63, v62, s23
	v_perm_b32 v50, v61, v52, s23
	s_nop 1
	v_mfma_f32_16x16x16bf16_1k v[34:37], v[50:51], v[12:13], v[34:37]
	s_and_saveexec_b64 s[12:13], s[14:15]
	s_cbranch_execz .LBB953_363
; %bb.358:                              ;   in Loop: Header=BB953_213 Depth=1
	v_cmp_ne_u16_sdwa s[16:17], v40, s9 src0_sel:BYTE_0 src1_sel:DWORD
	v_mov_b32_e32 v46, 0xffff8000
	s_and_saveexec_b64 s[14:15], s[16:17]
	s_cbranch_execz .LBB953_362
; %bb.359:                              ;   in Loop: Header=BB953_213 Depth=1
	v_and_b32_e32 v42, 0x7f, v40
	v_cmp_ne_u32_e32 vcc, s21, v42
	v_mov_b32_e32 v46, 0x7f80
	s_and_saveexec_b64 s[16:17], vcc
	s_cbranch_execz .LBB953_361
; %bb.360:                              ;   in Loop: Header=BB953_213 Depth=1
	v_and_b32_e32 v44, 7, v40
	v_ffbh_u32_e32 v49, v44
	v_min_u32_e32 v49, 32, v49
	v_subrev_u32_e32 v50, 28, v49
	v_lshlrev_b64 v[50:51], v50, v[40:41]
	v_lshrrev_b32_e32 v46, 3, v42
	v_sub_u32_e32 v49, 29, v49
	v_and_b32_e32 v50, 7, v50
	v_cmp_gt_u32_e32 vcc, 8, v42
	v_cndmask_b32_e32 v42, v46, v49, vcc
	v_cndmask_b32_e32 v44, v44, v50, vcc
	v_lshlrev_b32_e32 v46, 24, v40
	v_lshlrev_b32_e32 v44, 20, v44
	v_and_b32_e32 v46, 0x80000000, v46
	v_lshl_add_u32 v42, v42, 23, v48
	v_or3_b32 v42, v46, v42, v44
	v_lshrrev_b32_e32 v46, 16, v42
.LBB953_361:                            ;   in Loop: Header=BB953_213 Depth=1
	s_or_b64 exec, exec, s[16:17]
.LBB953_362:                            ;   in Loop: Header=BB953_213 Depth=1
	s_or_b64 exec, exec, s[14:15]
.LBB953_363:                            ;   in Loop: Header=BB953_213 Depth=1
	s_or_b64 exec, exec, s[12:13]
	v_lshrrev_b16_e32 v42, 8, v40
	v_cmp_ne_u16_e32 vcc, 0, v42
	v_mov_b32_e32 v50, 0
	v_mov_b32_e32 v44, 0
	s_and_saveexec_b64 s[12:13], vcc
	s_cbranch_execz .LBB953_369
; %bb.364:                              ;   in Loop: Header=BB953_213 Depth=1
	v_cmp_ne_u16_e32 vcc, s9, v42
	v_mov_b32_e32 v44, 0xffff8000
	s_and_saveexec_b64 s[14:15], vcc
	s_cbranch_execz .LBB953_368
; %bb.365:                              ;   in Loop: Header=BB953_213 Depth=1
	v_and_b32_e32 v49, 0x7f, v42
	v_cmp_ne_u32_e32 vcc, s21, v49
	v_mov_b32_e32 v44, 0x7f80
	s_and_saveexec_b64 s[16:17], vcc
	s_cbranch_execz .LBB953_367
; %bb.366:                              ;   in Loop: Header=BB953_213 Depth=1
	v_and_b32_e32 v44, 7, v42
	v_ffbh_u32_e32 v52, v44
	v_min_u32_e32 v61, 32, v52
	v_subrev_u32_e32 v52, 28, v61
	v_lshlrev_b64 v[52:53], v52, v[42:43]
	v_lshrrev_b32_e32 v51, 3, v49
	v_sub_u32_e32 v42, 29, v61
	v_and_b32_e32 v52, 7, v52
	v_cmp_gt_u32_e32 vcc, 8, v49
	v_cndmask_b32_e32 v42, v51, v42, vcc
	v_cndmask_b32_e32 v44, v44, v52, vcc
	v_lshlrev_b32_e32 v49, 16, v40
	v_lshlrev_b32_e32 v44, 20, v44
	v_and_b32_e32 v49, 0x80000000, v49
	v_lshl_add_u32 v42, v42, 23, v48
	v_or3_b32 v42, v49, v42, v44
	v_lshrrev_b32_e32 v44, 16, v42
.LBB953_367:                            ;   in Loop: Header=BB953_213 Depth=1
	s_or_b64 exec, exec, s[16:17]
.LBB953_368:                            ;   in Loop: Header=BB953_213 Depth=1
	s_or_b64 exec, exec, s[14:15]
.LBB953_369:                            ;   in Loop: Header=BB953_213 Depth=1
	s_or_b64 exec, exec, s[12:13]
	v_lshrrev_b32_e32 v42, 16, v40
	v_cmp_ne_u16_sdwa s[14:15], v42, v47 src0_sel:BYTE_0 src1_sel:DWORD
	s_and_saveexec_b64 s[12:13], s[14:15]
	s_cbranch_execz .LBB953_375
; %bb.370:                              ;   in Loop: Header=BB953_213 Depth=1
	v_cmp_ne_u16_sdwa s[16:17], v42, s9 src0_sel:BYTE_0 src1_sel:DWORD
	v_mov_b32_e32 v50, 0xffff8000
	s_and_saveexec_b64 s[14:15], s[16:17]
	s_cbranch_execz .LBB953_374
; %bb.371:                              ;   in Loop: Header=BB953_213 Depth=1
	v_bfe_u32 v49, v40, 16, 7
	v_cmp_ne_u32_e32 vcc, s21, v49
	v_mov_b32_e32 v50, 0x7f80
	s_and_saveexec_b64 s[16:17], vcc
	s_cbranch_execz .LBB953_373
; %bb.372:                              ;   in Loop: Header=BB953_213 Depth=1
	v_and_b32_e32 v52, 7, v42
	v_ffbh_u32_e32 v50, v52
	v_min_u32_e32 v61, 32, v50
	v_subrev_u32_e32 v50, 28, v61
	v_lshlrev_b64 v[50:51], v50, v[42:43]
	v_lshrrev_b32_e32 v53, 3, v49
	v_sub_u32_e32 v51, 29, v61
	v_and_b32_e32 v50, 7, v50
	v_cmp_gt_u32_e32 vcc, 8, v49
	v_cndmask_b32_e32 v49, v53, v51, vcc
	v_cndmask_b32_e32 v50, v52, v50, vcc
	v_lshlrev_b32_e32 v42, 24, v42
	v_lshlrev_b32_e32 v50, 20, v50
	v_and_b32_e32 v42, 0x80000000, v42
	v_lshl_add_u32 v49, v49, 23, v48
	v_or3_b32 v42, v42, v49, v50
	v_lshrrev_b32_e32 v50, 16, v42
.LBB953_373:                            ;   in Loop: Header=BB953_213 Depth=1
	s_or_b64 exec, exec, s[16:17]
.LBB953_374:                            ;   in Loop: Header=BB953_213 Depth=1
	s_or_b64 exec, exec, s[14:15]
.LBB953_375:                            ;   in Loop: Header=BB953_213 Depth=1
	s_or_b64 exec, exec, s[12:13]
	v_cmp_lt_u32_e32 vcc, s22, v40
	v_mov_b32_e32 v51, 0
	v_mov_b32_e32 v52, 0
	s_and_saveexec_b64 s[12:13], vcc
	s_cbranch_execz .LBB953_381
; %bb.376:                              ;   in Loop: Header=BB953_213 Depth=1
	v_lshrrev_b32_e32 v42, 24, v40
	v_cmp_ne_u32_e32 vcc, s9, v42
	v_mov_b32_e32 v52, 0xffff8000
	s_and_saveexec_b64 s[14:15], vcc
	s_cbranch_execz .LBB953_380
; %bb.377:                              ;   in Loop: Header=BB953_213 Depth=1
	v_bfe_u32 v40, v40, 24, 7
	v_cmp_ne_u32_e32 vcc, s21, v40
	v_mov_b32_e32 v52, 0x7f80
	s_and_saveexec_b64 s[16:17], vcc
	s_cbranch_execz .LBB953_379
; %bb.378:                              ;   in Loop: Header=BB953_213 Depth=1
	v_and_b32_e32 v49, 7, v42
	v_ffbh_u32_e32 v52, v49
	v_min_u32_e32 v62, 32, v52
	v_subrev_u32_e32 v52, 28, v62
	v_lshlrev_b64 v[52:53], v52, v[42:43]
	v_lshrrev_b32_e32 v61, 3, v40
	v_sub_u32_e32 v53, 29, v62
	v_and_b32_e32 v52, 7, v52
	v_cmp_gt_u32_e32 vcc, 8, v40
	v_cndmask_b32_e32 v40, v61, v53, vcc
	v_cndmask_b32_e32 v49, v49, v52, vcc
	v_lshlrev_b32_e32 v42, 24, v42
	v_lshlrev_b32_e32 v49, 20, v49
	v_and_b32_e32 v42, 0x80000000, v42
	v_lshl_add_u32 v40, v40, 23, v48
	v_or3_b32 v40, v42, v40, v49
	v_lshrrev_b32_e32 v52, 16, v40
.LBB953_379:                            ;   in Loop: Header=BB953_213 Depth=1
	s_or_b64 exec, exec, s[16:17]
.LBB953_380:                            ;   in Loop: Header=BB953_213 Depth=1
	s_or_b64 exec, exec, s[14:15]
.LBB953_381:                            ;   in Loop: Header=BB953_213 Depth=1
	s_or_b64 exec, exec, s[12:13]
	s_waitcnt vmcnt(0)
	v_cmp_ne_u16_sdwa s[14:15], v38, v47 src0_sel:BYTE_0 src1_sel:DWORD
	s_and_saveexec_b64 s[12:13], s[14:15]
	s_cbranch_execz .LBB953_387
; %bb.382:                              ;   in Loop: Header=BB953_213 Depth=1
	v_cmp_ne_u16_sdwa s[16:17], v38, s9 src0_sel:BYTE_0 src1_sel:DWORD
	v_mov_b32_e32 v51, 0xffff8000
	s_and_saveexec_b64 s[14:15], s[16:17]
	s_cbranch_execz .LBB953_386
; %bb.383:                              ;   in Loop: Header=BB953_213 Depth=1
	v_and_b32_e32 v40, 0x7f, v38
	v_cmp_ne_u32_e32 vcc, s21, v40
	v_mov_b32_e32 v51, 0x7f80
	s_and_saveexec_b64 s[16:17], vcc
	s_cbranch_execz .LBB953_385
; %bb.384:                              ;   in Loop: Header=BB953_213 Depth=1
	v_and_b32_e32 v42, 7, v38
	v_ffbh_u32_e32 v51, v42
	v_min_u32_e32 v51, 32, v51
	v_subrev_u32_e32 v53, 28, v51
	v_lshlrev_b64 v[62:63], v53, v[38:39]
	v_lshrrev_b32_e32 v49, 3, v40
	v_sub_u32_e32 v51, 29, v51
	v_and_b32_e32 v53, 7, v62
	v_cmp_gt_u32_e32 vcc, 8, v40
	v_cndmask_b32_e32 v40, v49, v51, vcc
	v_cndmask_b32_e32 v42, v42, v53, vcc
	v_lshlrev_b32_e32 v49, 24, v38
	v_lshlrev_b32_e32 v42, 20, v42
	v_and_b32_e32 v49, 0x80000000, v49
	v_lshl_add_u32 v40, v40, 23, v48
	v_or3_b32 v40, v49, v40, v42
	v_lshrrev_b32_e32 v51, 16, v40
.LBB953_385:                            ;   in Loop: Header=BB953_213 Depth=1
	s_or_b64 exec, exec, s[16:17]
.LBB953_386:                            ;   in Loop: Header=BB953_213 Depth=1
	s_or_b64 exec, exec, s[14:15]
.LBB953_387:                            ;   in Loop: Header=BB953_213 Depth=1
	s_or_b64 exec, exec, s[12:13]
	v_lshrrev_b16_e32 v40, 8, v38
	v_cmp_ne_u16_e32 vcc, 0, v40
	v_mov_b32_e32 v61, 0
	v_mov_b32_e32 v53, 0
	s_and_saveexec_b64 s[12:13], vcc
	s_cbranch_execz .LBB953_393
; %bb.388:                              ;   in Loop: Header=BB953_213 Depth=1
	v_cmp_ne_u16_e32 vcc, s9, v40
	v_mov_b32_e32 v53, 0xffff8000
	s_and_saveexec_b64 s[14:15], vcc
	s_cbranch_execz .LBB953_392
; %bb.389:                              ;   in Loop: Header=BB953_213 Depth=1
	v_and_b32_e32 v42, 0x7f, v40
	v_cmp_ne_u32_e32 vcc, s21, v42
	v_mov_b32_e32 v53, 0x7f80
	s_and_saveexec_b64 s[16:17], vcc
	s_cbranch_execz .LBB953_391
; %bb.390:                              ;   in Loop: Header=BB953_213 Depth=1
	v_and_b32_e32 v49, 7, v40
	v_ffbh_u32_e32 v62, v49
	v_min_u32_e32 v64, 32, v62
	v_subrev_u32_e32 v62, 28, v64
	v_lshlrev_b64 v[62:63], v62, v[40:41]
	v_lshrrev_b32_e32 v53, 3, v42
	v_sub_u32_e32 v40, 29, v64
	v_and_b32_e32 v62, 7, v62
	v_cmp_gt_u32_e32 vcc, 8, v42
	v_cndmask_b32_e32 v40, v53, v40, vcc
	v_cndmask_b32_e32 v42, v49, v62, vcc
	v_lshlrev_b32_e32 v49, 16, v38
	v_lshlrev_b32_e32 v42, 20, v42
	v_and_b32_e32 v49, 0x80000000, v49
	v_lshl_add_u32 v40, v40, 23, v48
	v_or3_b32 v40, v49, v40, v42
	v_lshrrev_b32_e32 v53, 16, v40
.LBB953_391:                            ;   in Loop: Header=BB953_213 Depth=1
	s_or_b64 exec, exec, s[16:17]
.LBB953_392:                            ;   in Loop: Header=BB953_213 Depth=1
	s_or_b64 exec, exec, s[14:15]
.LBB953_393:                            ;   in Loop: Header=BB953_213 Depth=1
	s_or_b64 exec, exec, s[12:13]
	v_lshrrev_b32_e32 v40, 16, v38
	v_cmp_ne_u16_sdwa s[14:15], v40, v47 src0_sel:BYTE_0 src1_sel:DWORD
	s_and_saveexec_b64 s[12:13], s[14:15]
	s_cbranch_execz .LBB953_399
; %bb.394:                              ;   in Loop: Header=BB953_213 Depth=1
	v_cmp_ne_u16_sdwa s[16:17], v40, s9 src0_sel:BYTE_0 src1_sel:DWORD
	v_mov_b32_e32 v61, 0xffff8000
	s_and_saveexec_b64 s[14:15], s[16:17]
	s_cbranch_execz .LBB953_398
; %bb.395:                              ;   in Loop: Header=BB953_213 Depth=1
	v_bfe_u32 v42, v38, 16, 7
	v_cmp_ne_u32_e32 vcc, s21, v42
	v_mov_b32_e32 v61, 0x7f80
	s_and_saveexec_b64 s[16:17], vcc
	s_cbranch_execz .LBB953_397
; %bb.396:                              ;   in Loop: Header=BB953_213 Depth=1
	v_and_b32_e32 v49, 7, v40
	v_ffbh_u32_e32 v62, v49
	v_min_u32_e32 v64, 32, v62
	v_subrev_u32_e32 v62, 28, v64
	v_lshlrev_b64 v[62:63], v62, v[40:41]
	v_lshrrev_b32_e32 v61, 3, v42
	v_sub_u32_e32 v63, 29, v64
	v_and_b32_e32 v62, 7, v62
	v_cmp_gt_u32_e32 vcc, 8, v42
	v_cndmask_b32_e32 v42, v61, v63, vcc
	v_cndmask_b32_e32 v49, v49, v62, vcc
	v_lshlrev_b32_e32 v40, 24, v40
	v_lshlrev_b32_e32 v49, 20, v49
	v_and_b32_e32 v40, 0x80000000, v40
	v_lshl_add_u32 v42, v42, 23, v48
	v_or3_b32 v40, v40, v42, v49
	v_lshrrev_b32_e32 v61, 16, v40
.LBB953_397:                            ;   in Loop: Header=BB953_213 Depth=1
	s_or_b64 exec, exec, s[16:17]
.LBB953_398:                            ;   in Loop: Header=BB953_213 Depth=1
	s_or_b64 exec, exec, s[14:15]
.LBB953_399:                            ;   in Loop: Header=BB953_213 Depth=1
	s_or_b64 exec, exec, s[12:13]
	v_cmp_lt_u32_e32 vcc, s22, v38
	v_mov_b32_e32 v49, 0
	v_mov_b32_e32 v62, 0
	s_and_saveexec_b64 s[12:13], vcc
	s_cbranch_execz .LBB953_405
; %bb.400:                              ;   in Loop: Header=BB953_213 Depth=1
	v_lshrrev_b32_e32 v40, 24, v38
	v_cmp_ne_u32_e32 vcc, s9, v40
	v_mov_b32_e32 v62, 0xffff8000
	s_and_saveexec_b64 s[14:15], vcc
	s_cbranch_execz .LBB953_404
; %bb.401:                              ;   in Loop: Header=BB953_213 Depth=1
	v_bfe_u32 v38, v38, 24, 7
	v_cmp_ne_u32_e32 vcc, s21, v38
	v_mov_b32_e32 v62, 0x7f80
	s_and_saveexec_b64 s[16:17], vcc
	s_cbranch_execz .LBB953_403
; %bb.402:                              ;   in Loop: Header=BB953_213 Depth=1
	v_and_b32_e32 v42, 7, v40
	v_ffbh_u32_e32 v62, v42
	v_min_u32_e32 v65, 32, v62
	v_subrev_u32_e32 v62, 28, v65
	v_lshlrev_b64 v[62:63], v62, v[40:41]
	v_lshrrev_b32_e32 v64, 3, v38
	v_sub_u32_e32 v63, 29, v65
	v_and_b32_e32 v62, 7, v62
	v_cmp_gt_u32_e32 vcc, 8, v38
	v_cndmask_b32_e32 v38, v64, v63, vcc
	v_cndmask_b32_e32 v42, v42, v62, vcc
	v_lshlrev_b32_e32 v40, 24, v40
	v_lshlrev_b32_e32 v42, 20, v42
	v_and_b32_e32 v40, 0x80000000, v40
	v_lshl_add_u32 v38, v38, 23, v48
	v_or3_b32 v38, v40, v38, v42
	v_lshrrev_b32_e32 v62, 16, v38
.LBB953_403:                            ;   in Loop: Header=BB953_213 Depth=1
	s_or_b64 exec, exec, s[16:17]
.LBB953_404:                            ;   in Loop: Header=BB953_213 Depth=1
	s_or_b64 exec, exec, s[14:15]
.LBB953_405:                            ;   in Loop: Header=BB953_213 Depth=1
	s_or_b64 exec, exec, s[12:13]
	v_perm_b32 v64, v44, v46, s23
	buffer_load_dword v44, v60, s[0:3], 0 offen
	buffer_load_dword v42, v60, s[0:3], 0 offen offset:4
	buffer_load_dword v40, v60, s[0:3], 0 offen offset:8
	;; [unrolled: 1-line block ×3, first 2 shown]
	v_perm_b32 v65, v52, v50, s23
	v_perm_b32 v61, v62, v61, s23
	;; [unrolled: 1-line block ×3, first 2 shown]
	v_mfma_f32_16x16x16bf16_1k v[34:37], v[64:65], v[14:15], v[34:37]
	s_waitcnt vmcnt(3)
	v_cmp_ne_u16_sdwa s[14:15], v44, v47 src0_sel:BYTE_0 src1_sel:DWORD
	v_mfma_f32_16x16x16bf16_1k v[34:37], v[60:61], v[16:17], v[34:37]
	s_and_saveexec_b64 s[12:13], s[14:15]
	s_cbranch_execz .LBB953_411
; %bb.406:                              ;   in Loop: Header=BB953_213 Depth=1
	v_cmp_ne_u16_sdwa s[16:17], v44, s9 src0_sel:BYTE_0 src1_sel:DWORD
	v_mov_b32_e32 v49, 0xffff8000
	s_and_saveexec_b64 s[14:15], s[16:17]
	s_cbranch_execz .LBB953_410
; %bb.407:                              ;   in Loop: Header=BB953_213 Depth=1
	v_and_b32_e32 v46, 0x7f, v44
	v_cmp_ne_u32_e32 vcc, s21, v46
	v_mov_b32_e32 v49, 0x7f80
	s_and_saveexec_b64 s[16:17], vcc
	s_cbranch_execz .LBB953_409
; %bb.408:                              ;   in Loop: Header=BB953_213 Depth=1
	v_and_b32_e32 v49, 7, v44
	v_ffbh_u32_e32 v50, v49
	v_min_u32_e32 v53, 32, v50
	v_subrev_u32_e32 v50, 28, v53
	v_lshlrev_b64 v[50:51], v50, v[44:45]
	v_lshrrev_b32_e32 v52, 3, v46
	v_sub_u32_e32 v51, 29, v53
	v_and_b32_e32 v50, 7, v50
	v_cmp_gt_u32_e32 vcc, 8, v46
	v_cndmask_b32_e32 v46, v52, v51, vcc
	v_cndmask_b32_e32 v49, v49, v50, vcc
	v_lshlrev_b32_e32 v50, 24, v44
	v_lshlrev_b32_e32 v49, 20, v49
	v_and_b32_e32 v50, 0x80000000, v50
	v_lshl_add_u32 v46, v46, 23, v48
	v_or3_b32 v46, v50, v46, v49
	v_lshrrev_b32_e32 v49, 16, v46
.LBB953_409:                            ;   in Loop: Header=BB953_213 Depth=1
	s_or_b64 exec, exec, s[16:17]
.LBB953_410:                            ;   in Loop: Header=BB953_213 Depth=1
	s_or_b64 exec, exec, s[14:15]
.LBB953_411:                            ;   in Loop: Header=BB953_213 Depth=1
	s_or_b64 exec, exec, s[12:13]
	v_lshrrev_b16_e32 v46, 8, v44
	v_cmp_ne_u16_e32 vcc, 0, v46
	v_mov_b32_e32 v51, 0
	v_mov_b32_e32 v50, 0
	s_and_saveexec_b64 s[12:13], vcc
	s_cbranch_execz .LBB953_417
; %bb.412:                              ;   in Loop: Header=BB953_213 Depth=1
	v_cmp_ne_u16_e32 vcc, s9, v46
	v_mov_b32_e32 v50, 0xffff8000
	s_and_saveexec_b64 s[14:15], vcc
	s_cbranch_execz .LBB953_416
; %bb.413:                              ;   in Loop: Header=BB953_213 Depth=1
	v_and_b32_e32 v52, 0x7f, v46
	v_cmp_ne_u32_e32 vcc, s21, v52
	v_mov_b32_e32 v50, 0x7f80
	s_and_saveexec_b64 s[16:17], vcc
	s_cbranch_execz .LBB953_415
; %bb.414:                              ;   in Loop: Header=BB953_213 Depth=1
	v_and_b32_e32 v50, 7, v46
	v_ffbh_u32_e32 v60, v50
	v_min_u32_e32 v62, 32, v60
	v_subrev_u32_e32 v60, 28, v62
	v_lshlrev_b64 v[60:61], v60, v[46:47]
	v_lshrrev_b32_e32 v53, 3, v52
	v_sub_u32_e32 v46, 29, v62
	v_and_b32_e32 v60, 7, v60
	v_cmp_gt_u32_e32 vcc, 8, v52
	v_cndmask_b32_e32 v46, v53, v46, vcc
	v_cndmask_b32_e32 v50, v50, v60, vcc
	v_lshlrev_b32_e32 v52, 16, v44
	v_lshlrev_b32_e32 v50, 20, v50
	v_and_b32_e32 v52, 0x80000000, v52
	v_lshl_add_u32 v46, v46, 23, v48
	v_or3_b32 v46, v52, v46, v50
	v_lshrrev_b32_e32 v50, 16, v46
.LBB953_415:                            ;   in Loop: Header=BB953_213 Depth=1
	s_or_b64 exec, exec, s[16:17]
.LBB953_416:                            ;   in Loop: Header=BB953_213 Depth=1
	s_or_b64 exec, exec, s[14:15]
.LBB953_417:                            ;   in Loop: Header=BB953_213 Depth=1
	s_or_b64 exec, exec, s[12:13]
	v_lshrrev_b32_e32 v46, 16, v44
	v_cmp_ne_u16_sdwa s[14:15], v46, v47 src0_sel:BYTE_0 src1_sel:DWORD
	s_and_saveexec_b64 s[12:13], s[14:15]
	s_cbranch_execz .LBB953_423
; %bb.418:                              ;   in Loop: Header=BB953_213 Depth=1
	v_cmp_ne_u16_sdwa s[16:17], v46, s9 src0_sel:BYTE_0 src1_sel:DWORD
	v_mov_b32_e32 v51, 0xffff8000
	s_and_saveexec_b64 s[14:15], s[16:17]
	s_cbranch_execz .LBB953_422
; %bb.419:                              ;   in Loop: Header=BB953_213 Depth=1
	v_bfe_u32 v52, v44, 16, 7
	v_cmp_ne_u32_e32 vcc, s21, v52
	v_mov_b32_e32 v51, 0x7f80
	s_and_saveexec_b64 s[16:17], vcc
	s_cbranch_execz .LBB953_421
; %bb.420:                              ;   in Loop: Header=BB953_213 Depth=1
	v_and_b32_e32 v51, 7, v46
	v_ffbh_u32_e32 v60, v51
	v_min_u32_e32 v62, 32, v60
	v_subrev_u32_e32 v60, 28, v62
	v_lshlrev_b64 v[60:61], v60, v[46:47]
	v_lshrrev_b32_e32 v53, 3, v52
	v_sub_u32_e32 v61, 29, v62
	v_and_b32_e32 v60, 7, v60
	v_cmp_gt_u32_e32 vcc, 8, v52
	v_cndmask_b32_e32 v52, v53, v61, vcc
	v_cndmask_b32_e32 v51, v51, v60, vcc
	v_lshlrev_b32_e32 v46, 24, v46
	v_lshlrev_b32_e32 v51, 20, v51
	v_and_b32_e32 v46, 0x80000000, v46
	v_lshl_add_u32 v52, v52, 23, v48
	v_or3_b32 v46, v46, v52, v51
	v_lshrrev_b32_e32 v51, 16, v46
.LBB953_421:                            ;   in Loop: Header=BB953_213 Depth=1
	s_or_b64 exec, exec, s[16:17]
.LBB953_422:                            ;   in Loop: Header=BB953_213 Depth=1
	s_or_b64 exec, exec, s[14:15]
.LBB953_423:                            ;   in Loop: Header=BB953_213 Depth=1
	s_or_b64 exec, exec, s[12:13]
	v_cmp_lt_u32_e32 vcc, s22, v44
	v_mov_b32_e32 v52, 0
	v_mov_b32_e32 v53, 0
	s_and_saveexec_b64 s[12:13], vcc
	s_cbranch_execz .LBB953_429
; %bb.424:                              ;   in Loop: Header=BB953_213 Depth=1
	v_lshrrev_b32_e32 v46, 24, v44
	v_cmp_ne_u32_e32 vcc, s9, v46
	v_mov_b32_e32 v53, 0xffff8000
	s_and_saveexec_b64 s[14:15], vcc
	s_cbranch_execz .LBB953_428
; %bb.425:                              ;   in Loop: Header=BB953_213 Depth=1
	v_bfe_u32 v44, v44, 24, 7
	v_cmp_ne_u32_e32 vcc, s21, v44
	v_mov_b32_e32 v53, 0x7f80
	s_and_saveexec_b64 s[16:17], vcc
	s_cbranch_execz .LBB953_427
; %bb.426:                              ;   in Loop: Header=BB953_213 Depth=1
	v_and_b32_e32 v53, 7, v46
	v_ffbh_u32_e32 v60, v53
	v_min_u32_e32 v63, 32, v60
	v_subrev_u32_e32 v60, 28, v63
	v_lshlrev_b64 v[60:61], v60, v[46:47]
	v_lshrrev_b32_e32 v62, 3, v44
	v_sub_u32_e32 v61, 29, v63
	v_and_b32_e32 v60, 7, v60
	v_cmp_gt_u32_e32 vcc, 8, v44
	v_cndmask_b32_e32 v44, v62, v61, vcc
	v_cndmask_b32_e32 v53, v53, v60, vcc
	v_lshlrev_b32_e32 v46, 24, v46
	v_lshlrev_b32_e32 v53, 20, v53
	v_and_b32_e32 v46, 0x80000000, v46
	v_lshl_add_u32 v44, v44, 23, v48
	v_or3_b32 v44, v46, v44, v53
	v_lshrrev_b32_e32 v53, 16, v44
.LBB953_427:                            ;   in Loop: Header=BB953_213 Depth=1
	s_or_b64 exec, exec, s[16:17]
.LBB953_428:                            ;   in Loop: Header=BB953_213 Depth=1
	s_or_b64 exec, exec, s[14:15]
.LBB953_429:                            ;   in Loop: Header=BB953_213 Depth=1
	s_or_b64 exec, exec, s[12:13]
	s_waitcnt vmcnt(2)
	v_cmp_ne_u16_sdwa s[14:15], v42, v47 src0_sel:BYTE_0 src1_sel:DWORD
	s_and_saveexec_b64 s[12:13], s[14:15]
	s_cbranch_execz .LBB953_435
; %bb.430:                              ;   in Loop: Header=BB953_213 Depth=1
	v_cmp_ne_u16_sdwa s[16:17], v42, s9 src0_sel:BYTE_0 src1_sel:DWORD
	v_mov_b32_e32 v52, 0xffff8000
	s_and_saveexec_b64 s[14:15], s[16:17]
	s_cbranch_execz .LBB953_434
; %bb.431:                              ;   in Loop: Header=BB953_213 Depth=1
	v_and_b32_e32 v44, 0x7f, v42
	v_cmp_ne_u32_e32 vcc, s21, v44
	v_mov_b32_e32 v52, 0x7f80
	s_and_saveexec_b64 s[16:17], vcc
	s_cbranch_execz .LBB953_433
; %bb.432:                              ;   in Loop: Header=BB953_213 Depth=1
	v_and_b32_e32 v46, 7, v42
	v_ffbh_u32_e32 v60, v46
	v_min_u32_e32 v62, 32, v60
	v_subrev_u32_e32 v60, 28, v62
	v_lshlrev_b64 v[60:61], v60, v[42:43]
	v_lshrrev_b32_e32 v52, 3, v44
	v_sub_u32_e32 v61, 29, v62
	v_and_b32_e32 v60, 7, v60
	v_cmp_gt_u32_e32 vcc, 8, v44
	v_cndmask_b32_e32 v44, v52, v61, vcc
	v_cndmask_b32_e32 v46, v46, v60, vcc
	v_lshlrev_b32_e32 v52, 24, v42
	v_lshlrev_b32_e32 v46, 20, v46
	v_and_b32_e32 v52, 0x80000000, v52
	v_lshl_add_u32 v44, v44, 23, v48
	v_or3_b32 v44, v52, v44, v46
	v_lshrrev_b32_e32 v52, 16, v44
.LBB953_433:                            ;   in Loop: Header=BB953_213 Depth=1
	s_or_b64 exec, exec, s[16:17]
.LBB953_434:                            ;   in Loop: Header=BB953_213 Depth=1
	s_or_b64 exec, exec, s[14:15]
.LBB953_435:                            ;   in Loop: Header=BB953_213 Depth=1
	s_or_b64 exec, exec, s[12:13]
	v_lshrrev_b16_e32 v44, 8, v42
	v_cmp_ne_u16_e32 vcc, 0, v44
	v_mov_b32_e32 v61, 0
	v_mov_b32_e32 v60, 0
	s_and_saveexec_b64 s[12:13], vcc
	s_cbranch_execz .LBB953_441
; %bb.436:                              ;   in Loop: Header=BB953_213 Depth=1
	v_cmp_ne_u16_e32 vcc, s9, v44
	v_mov_b32_e32 v60, 0xffff8000
	s_and_saveexec_b64 s[14:15], vcc
	s_cbranch_execz .LBB953_440
; %bb.437:                              ;   in Loop: Header=BB953_213 Depth=1
	v_and_b32_e32 v46, 0x7f, v44
	v_cmp_ne_u32_e32 vcc, s21, v46
	v_mov_b32_e32 v60, 0x7f80
	s_and_saveexec_b64 s[16:17], vcc
	s_cbranch_execz .LBB953_439
; %bb.438:                              ;   in Loop: Header=BB953_213 Depth=1
	v_and_b32_e32 v60, 7, v44
	v_ffbh_u32_e32 v62, v60
	v_min_u32_e32 v65, 32, v62
	v_subrev_u32_e32 v62, 28, v65
	v_lshlrev_b64 v[62:63], v62, v[44:45]
	v_lshrrev_b32_e32 v64, 3, v46
	v_sub_u32_e32 v44, 29, v65
	v_and_b32_e32 v62, 7, v62
	v_cmp_gt_u32_e32 vcc, 8, v46
	v_cndmask_b32_e32 v44, v64, v44, vcc
	v_cndmask_b32_e32 v46, v60, v62, vcc
	v_lshlrev_b32_e32 v60, 16, v42
	v_lshlrev_b32_e32 v46, 20, v46
	v_and_b32_e32 v60, 0x80000000, v60
	v_lshl_add_u32 v44, v44, 23, v48
	v_or3_b32 v44, v60, v44, v46
	v_lshrrev_b32_e32 v60, 16, v44
.LBB953_439:                            ;   in Loop: Header=BB953_213 Depth=1
	s_or_b64 exec, exec, s[16:17]
.LBB953_440:                            ;   in Loop: Header=BB953_213 Depth=1
	s_or_b64 exec, exec, s[14:15]
.LBB953_441:                            ;   in Loop: Header=BB953_213 Depth=1
	s_or_b64 exec, exec, s[12:13]
	v_lshrrev_b32_e32 v44, 16, v42
	v_cmp_ne_u16_sdwa s[14:15], v44, v47 src0_sel:BYTE_0 src1_sel:DWORD
	s_and_saveexec_b64 s[12:13], s[14:15]
	s_cbranch_execz .LBB953_447
; %bb.442:                              ;   in Loop: Header=BB953_213 Depth=1
	v_cmp_ne_u16_sdwa s[16:17], v44, s9 src0_sel:BYTE_0 src1_sel:DWORD
	v_mov_b32_e32 v61, 0xffff8000
	s_and_saveexec_b64 s[14:15], s[16:17]
	s_cbranch_execz .LBB953_446
; %bb.443:                              ;   in Loop: Header=BB953_213 Depth=1
	v_bfe_u32 v46, v42, 16, 7
	v_cmp_ne_u32_e32 vcc, s21, v46
	v_mov_b32_e32 v61, 0x7f80
	s_and_saveexec_b64 s[16:17], vcc
	s_cbranch_execz .LBB953_445
; %bb.444:                              ;   in Loop: Header=BB953_213 Depth=1
	v_and_b32_e32 v61, 7, v44
	v_ffbh_u32_e32 v62, v61
	v_min_u32_e32 v65, 32, v62
	v_subrev_u32_e32 v62, 28, v65
	v_lshlrev_b64 v[62:63], v62, v[44:45]
	v_lshrrev_b32_e32 v64, 3, v46
	v_sub_u32_e32 v63, 29, v65
	v_and_b32_e32 v62, 7, v62
	v_cmp_gt_u32_e32 vcc, 8, v46
	v_cndmask_b32_e32 v46, v64, v63, vcc
	v_cndmask_b32_e32 v61, v61, v62, vcc
	v_lshlrev_b32_e32 v44, 24, v44
	v_lshlrev_b32_e32 v61, 20, v61
	v_and_b32_e32 v44, 0x80000000, v44
	v_lshl_add_u32 v46, v46, 23, v48
	v_or3_b32 v44, v44, v46, v61
	v_lshrrev_b32_e32 v61, 16, v44
.LBB953_445:                            ;   in Loop: Header=BB953_213 Depth=1
	s_or_b64 exec, exec, s[16:17]
.LBB953_446:                            ;   in Loop: Header=BB953_213 Depth=1
	s_or_b64 exec, exec, s[14:15]
.LBB953_447:                            ;   in Loop: Header=BB953_213 Depth=1
	s_or_b64 exec, exec, s[12:13]
	v_cmp_lt_u32_e32 vcc, s22, v42
	v_mov_b32_e32 v46, 0
	v_mov_b32_e32 v62, 0
	s_and_saveexec_b64 s[12:13], vcc
	s_cbranch_execz .LBB953_453
; %bb.448:                              ;   in Loop: Header=BB953_213 Depth=1
	v_lshrrev_b32_e32 v44, 24, v42
	v_cmp_ne_u32_e32 vcc, s9, v44
	v_mov_b32_e32 v62, 0xffff8000
	s_and_saveexec_b64 s[14:15], vcc
	s_cbranch_execz .LBB953_452
; %bb.449:                              ;   in Loop: Header=BB953_213 Depth=1
	v_bfe_u32 v42, v42, 24, 7
	v_cmp_ne_u32_e32 vcc, s21, v42
	v_mov_b32_e32 v62, 0x7f80
	s_and_saveexec_b64 s[16:17], vcc
	s_cbranch_execz .LBB953_451
; %bb.450:                              ;   in Loop: Header=BB953_213 Depth=1
	v_and_b32_e32 v64, 7, v44
	v_ffbh_u32_e32 v62, v64
	v_min_u32_e32 v66, 32, v62
	v_subrev_u32_e32 v62, 28, v66
	v_lshlrev_b64 v[62:63], v62, v[44:45]
	v_lshrrev_b32_e32 v65, 3, v42
	v_sub_u32_e32 v63, 29, v66
	v_and_b32_e32 v62, 7, v62
	v_cmp_gt_u32_e32 vcc, 8, v42
	v_cndmask_b32_e32 v42, v65, v63, vcc
	v_cndmask_b32_e32 v62, v64, v62, vcc
	v_lshlrev_b32_e32 v44, 24, v44
	v_lshlrev_b32_e32 v62, 20, v62
	v_and_b32_e32 v44, 0x80000000, v44
	v_lshl_add_u32 v42, v42, 23, v48
	v_or3_b32 v42, v44, v42, v62
	v_lshrrev_b32_e32 v62, 16, v42
.LBB953_451:                            ;   in Loop: Header=BB953_213 Depth=1
	s_or_b64 exec, exec, s[16:17]
.LBB953_452:                            ;   in Loop: Header=BB953_213 Depth=1
	s_or_b64 exec, exec, s[14:15]
.LBB953_453:                            ;   in Loop: Header=BB953_213 Depth=1
	s_or_b64 exec, exec, s[12:13]
	v_perm_b32 v51, v53, v51, s23
	v_perm_b32 v50, v50, v49, s23
	s_waitcnt vmcnt(1)
	v_cmp_ne_u16_sdwa s[14:15], v40, v47 src0_sel:BYTE_0 src1_sel:DWORD
	v_mfma_f32_16x16x16bf16_1k v[34:37], v[50:51], v[18:19], v[34:37]
	v_perm_b32 v51, v62, v61, s23
	v_perm_b32 v50, v60, v52, s23
	s_nop 1
	v_mfma_f32_16x16x16bf16_1k v[34:37], v[50:51], v[20:21], v[34:37]
	s_and_saveexec_b64 s[12:13], s[14:15]
	s_cbranch_execz .LBB953_459
; %bb.454:                              ;   in Loop: Header=BB953_213 Depth=1
	v_cmp_ne_u16_sdwa s[16:17], v40, s9 src0_sel:BYTE_0 src1_sel:DWORD
	v_mov_b32_e32 v46, 0xffff8000
	s_and_saveexec_b64 s[14:15], s[16:17]
	s_cbranch_execz .LBB953_458
; %bb.455:                              ;   in Loop: Header=BB953_213 Depth=1
	v_and_b32_e32 v42, 0x7f, v40
	v_cmp_ne_u32_e32 vcc, s21, v42
	v_mov_b32_e32 v46, 0x7f80
	s_and_saveexec_b64 s[16:17], vcc
	s_cbranch_execz .LBB953_457
; %bb.456:                              ;   in Loop: Header=BB953_213 Depth=1
	v_and_b32_e32 v44, 7, v40
	v_ffbh_u32_e32 v49, v44
	v_min_u32_e32 v49, 32, v49
	v_subrev_u32_e32 v50, 28, v49
	v_lshlrev_b64 v[50:51], v50, v[40:41]
	v_lshrrev_b32_e32 v46, 3, v42
	v_sub_u32_e32 v49, 29, v49
	v_and_b32_e32 v50, 7, v50
	v_cmp_gt_u32_e32 vcc, 8, v42
	v_cndmask_b32_e32 v42, v46, v49, vcc
	v_cndmask_b32_e32 v44, v44, v50, vcc
	v_lshlrev_b32_e32 v46, 24, v40
	v_lshlrev_b32_e32 v44, 20, v44
	v_and_b32_e32 v46, 0x80000000, v46
	v_lshl_add_u32 v42, v42, 23, v48
	v_or3_b32 v42, v46, v42, v44
	v_lshrrev_b32_e32 v46, 16, v42
.LBB953_457:                            ;   in Loop: Header=BB953_213 Depth=1
	s_or_b64 exec, exec, s[16:17]
.LBB953_458:                            ;   in Loop: Header=BB953_213 Depth=1
	s_or_b64 exec, exec, s[14:15]
.LBB953_459:                            ;   in Loop: Header=BB953_213 Depth=1
	s_or_b64 exec, exec, s[12:13]
	v_lshrrev_b16_e32 v42, 8, v40
	v_cmp_ne_u16_e32 vcc, 0, v42
	v_mov_b32_e32 v50, 0
	v_mov_b32_e32 v44, 0
	s_and_saveexec_b64 s[12:13], vcc
	s_cbranch_execz .LBB953_465
; %bb.460:                              ;   in Loop: Header=BB953_213 Depth=1
	v_cmp_ne_u16_e32 vcc, s9, v42
	v_mov_b32_e32 v44, 0xffff8000
	s_and_saveexec_b64 s[14:15], vcc
	s_cbranch_execz .LBB953_464
; %bb.461:                              ;   in Loop: Header=BB953_213 Depth=1
	v_and_b32_e32 v49, 0x7f, v42
	v_cmp_ne_u32_e32 vcc, s21, v49
	v_mov_b32_e32 v44, 0x7f80
	s_and_saveexec_b64 s[16:17], vcc
	s_cbranch_execz .LBB953_463
; %bb.462:                              ;   in Loop: Header=BB953_213 Depth=1
	v_and_b32_e32 v44, 7, v42
	v_ffbh_u32_e32 v52, v44
	v_min_u32_e32 v60, 32, v52
	v_subrev_u32_e32 v52, 28, v60
	v_lshlrev_b64 v[52:53], v52, v[42:43]
	v_lshrrev_b32_e32 v51, 3, v49
	v_sub_u32_e32 v42, 29, v60
	v_and_b32_e32 v52, 7, v52
	v_cmp_gt_u32_e32 vcc, 8, v49
	v_cndmask_b32_e32 v42, v51, v42, vcc
	v_cndmask_b32_e32 v44, v44, v52, vcc
	v_lshlrev_b32_e32 v49, 16, v40
	v_lshlrev_b32_e32 v44, 20, v44
	v_and_b32_e32 v49, 0x80000000, v49
	v_lshl_add_u32 v42, v42, 23, v48
	v_or3_b32 v42, v49, v42, v44
	v_lshrrev_b32_e32 v44, 16, v42
.LBB953_463:                            ;   in Loop: Header=BB953_213 Depth=1
	s_or_b64 exec, exec, s[16:17]
.LBB953_464:                            ;   in Loop: Header=BB953_213 Depth=1
	s_or_b64 exec, exec, s[14:15]
.LBB953_465:                            ;   in Loop: Header=BB953_213 Depth=1
	s_or_b64 exec, exec, s[12:13]
	v_lshrrev_b32_e32 v42, 16, v40
	v_cmp_ne_u16_sdwa s[14:15], v42, v47 src0_sel:BYTE_0 src1_sel:DWORD
	s_and_saveexec_b64 s[12:13], s[14:15]
	s_cbranch_execz .LBB953_471
; %bb.466:                              ;   in Loop: Header=BB953_213 Depth=1
	v_cmp_ne_u16_sdwa s[16:17], v42, s9 src0_sel:BYTE_0 src1_sel:DWORD
	v_mov_b32_e32 v50, 0xffff8000
	s_and_saveexec_b64 s[14:15], s[16:17]
	s_cbranch_execz .LBB953_470
; %bb.467:                              ;   in Loop: Header=BB953_213 Depth=1
	v_bfe_u32 v49, v40, 16, 7
	v_cmp_ne_u32_e32 vcc, s21, v49
	v_mov_b32_e32 v50, 0x7f80
	s_and_saveexec_b64 s[16:17], vcc
	s_cbranch_execz .LBB953_469
; %bb.468:                              ;   in Loop: Header=BB953_213 Depth=1
	v_and_b32_e32 v52, 7, v42
	v_ffbh_u32_e32 v50, v52
	v_min_u32_e32 v60, 32, v50
	v_subrev_u32_e32 v50, 28, v60
	v_lshlrev_b64 v[50:51], v50, v[42:43]
	v_lshrrev_b32_e32 v53, 3, v49
	v_sub_u32_e32 v51, 29, v60
	v_and_b32_e32 v50, 7, v50
	v_cmp_gt_u32_e32 vcc, 8, v49
	v_cndmask_b32_e32 v49, v53, v51, vcc
	v_cndmask_b32_e32 v50, v52, v50, vcc
	v_lshlrev_b32_e32 v42, 24, v42
	v_lshlrev_b32_e32 v50, 20, v50
	v_and_b32_e32 v42, 0x80000000, v42
	v_lshl_add_u32 v49, v49, 23, v48
	v_or3_b32 v42, v42, v49, v50
	v_lshrrev_b32_e32 v50, 16, v42
.LBB953_469:                            ;   in Loop: Header=BB953_213 Depth=1
	s_or_b64 exec, exec, s[16:17]
.LBB953_470:                            ;   in Loop: Header=BB953_213 Depth=1
	s_or_b64 exec, exec, s[14:15]
.LBB953_471:                            ;   in Loop: Header=BB953_213 Depth=1
	s_or_b64 exec, exec, s[12:13]
	v_cmp_lt_u32_e32 vcc, s22, v40
	v_mov_b32_e32 v51, 0
	v_mov_b32_e32 v52, 0
	s_and_saveexec_b64 s[12:13], vcc
	s_cbranch_execz .LBB953_477
; %bb.472:                              ;   in Loop: Header=BB953_213 Depth=1
	v_lshrrev_b32_e32 v42, 24, v40
	v_cmp_ne_u32_e32 vcc, s9, v42
	v_mov_b32_e32 v52, 0xffff8000
	s_and_saveexec_b64 s[14:15], vcc
	s_cbranch_execz .LBB953_476
; %bb.473:                              ;   in Loop: Header=BB953_213 Depth=1
	v_bfe_u32 v40, v40, 24, 7
	v_cmp_ne_u32_e32 vcc, s21, v40
	v_mov_b32_e32 v52, 0x7f80
	s_and_saveexec_b64 s[16:17], vcc
	s_cbranch_execz .LBB953_475
; %bb.474:                              ;   in Loop: Header=BB953_213 Depth=1
	v_and_b32_e32 v49, 7, v42
	v_ffbh_u32_e32 v52, v49
	v_min_u32_e32 v61, 32, v52
	v_subrev_u32_e32 v52, 28, v61
	v_lshlrev_b64 v[52:53], v52, v[42:43]
	v_lshrrev_b32_e32 v60, 3, v40
	v_sub_u32_e32 v53, 29, v61
	v_and_b32_e32 v52, 7, v52
	v_cmp_gt_u32_e32 vcc, 8, v40
	v_cndmask_b32_e32 v40, v60, v53, vcc
	v_cndmask_b32_e32 v49, v49, v52, vcc
	v_lshlrev_b32_e32 v42, 24, v42
	v_lshlrev_b32_e32 v49, 20, v49
	v_and_b32_e32 v42, 0x80000000, v42
	v_lshl_add_u32 v40, v40, 23, v48
	v_or3_b32 v40, v42, v40, v49
	v_lshrrev_b32_e32 v52, 16, v40
.LBB953_475:                            ;   in Loop: Header=BB953_213 Depth=1
	s_or_b64 exec, exec, s[16:17]
.LBB953_476:                            ;   in Loop: Header=BB953_213 Depth=1
	s_or_b64 exec, exec, s[14:15]
.LBB953_477:                            ;   in Loop: Header=BB953_213 Depth=1
	s_or_b64 exec, exec, s[12:13]
	s_waitcnt vmcnt(0)
	v_cmp_ne_u16_sdwa s[14:15], v38, v47 src0_sel:BYTE_0 src1_sel:DWORD
	s_and_saveexec_b64 s[12:13], s[14:15]
	s_cbranch_execz .LBB953_483
; %bb.478:                              ;   in Loop: Header=BB953_213 Depth=1
	v_cmp_ne_u16_sdwa s[16:17], v38, s9 src0_sel:BYTE_0 src1_sel:DWORD
	v_mov_b32_e32 v51, 0xffff8000
	s_and_saveexec_b64 s[14:15], s[16:17]
	s_cbranch_execz .LBB953_482
; %bb.479:                              ;   in Loop: Header=BB953_213 Depth=1
	v_and_b32_e32 v40, 0x7f, v38
	v_cmp_ne_u32_e32 vcc, s21, v40
	v_mov_b32_e32 v51, 0x7f80
	s_and_saveexec_b64 s[16:17], vcc
	s_cbranch_execz .LBB953_481
; %bb.480:                              ;   in Loop: Header=BB953_213 Depth=1
	v_and_b32_e32 v42, 7, v38
	v_ffbh_u32_e32 v51, v42
	v_min_u32_e32 v51, 32, v51
	v_subrev_u32_e32 v53, 28, v51
	v_lshlrev_b64 v[60:61], v53, v[38:39]
	v_lshrrev_b32_e32 v49, 3, v40
	v_sub_u32_e32 v51, 29, v51
	v_and_b32_e32 v53, 7, v60
	v_cmp_gt_u32_e32 vcc, 8, v40
	v_cndmask_b32_e32 v40, v49, v51, vcc
	v_cndmask_b32_e32 v42, v42, v53, vcc
	v_lshlrev_b32_e32 v49, 24, v38
	v_lshlrev_b32_e32 v42, 20, v42
	v_and_b32_e32 v49, 0x80000000, v49
	v_lshl_add_u32 v40, v40, 23, v48
	v_or3_b32 v40, v49, v40, v42
	v_lshrrev_b32_e32 v51, 16, v40
.LBB953_481:                            ;   in Loop: Header=BB953_213 Depth=1
	s_or_b64 exec, exec, s[16:17]
.LBB953_482:                            ;   in Loop: Header=BB953_213 Depth=1
	s_or_b64 exec, exec, s[14:15]
.LBB953_483:                            ;   in Loop: Header=BB953_213 Depth=1
	s_or_b64 exec, exec, s[12:13]
	v_lshrrev_b16_e32 v40, 8, v38
	v_cmp_ne_u16_e32 vcc, 0, v40
	v_mov_b32_e32 v60, 0
	v_mov_b32_e32 v53, 0
	s_and_saveexec_b64 s[12:13], vcc
	s_cbranch_execz .LBB953_489
; %bb.484:                              ;   in Loop: Header=BB953_213 Depth=1
	v_cmp_ne_u16_e32 vcc, s9, v40
	v_mov_b32_e32 v53, 0xffff8000
	s_and_saveexec_b64 s[14:15], vcc
	s_cbranch_execz .LBB953_488
; %bb.485:                              ;   in Loop: Header=BB953_213 Depth=1
	v_and_b32_e32 v42, 0x7f, v40
	v_cmp_ne_u32_e32 vcc, s21, v42
	v_mov_b32_e32 v53, 0x7f80
	s_and_saveexec_b64 s[16:17], vcc
	s_cbranch_execz .LBB953_487
; %bb.486:                              ;   in Loop: Header=BB953_213 Depth=1
	v_and_b32_e32 v49, 7, v40
	v_ffbh_u32_e32 v61, v49
	v_min_u32_e32 v61, 32, v61
	v_subrev_u32_e32 v62, 28, v61
	v_lshlrev_b64 v[62:63], v62, v[40:41]
	v_lshrrev_b32_e32 v53, 3, v42
	v_sub_u32_e32 v40, 29, v61
	v_and_b32_e32 v61, 7, v62
	v_cmp_gt_u32_e32 vcc, 8, v42
	v_cndmask_b32_e32 v40, v53, v40, vcc
	v_cndmask_b32_e32 v42, v49, v61, vcc
	v_lshlrev_b32_e32 v49, 16, v38
	v_lshlrev_b32_e32 v42, 20, v42
	v_and_b32_e32 v49, 0x80000000, v49
	v_lshl_add_u32 v40, v40, 23, v48
	v_or3_b32 v40, v49, v40, v42
	v_lshrrev_b32_e32 v53, 16, v40
.LBB953_487:                            ;   in Loop: Header=BB953_213 Depth=1
	s_or_b64 exec, exec, s[16:17]
.LBB953_488:                            ;   in Loop: Header=BB953_213 Depth=1
	s_or_b64 exec, exec, s[14:15]
.LBB953_489:                            ;   in Loop: Header=BB953_213 Depth=1
	s_or_b64 exec, exec, s[12:13]
	v_lshrrev_b32_e32 v40, 16, v38
	v_cmp_ne_u16_sdwa s[14:15], v40, v47 src0_sel:BYTE_0 src1_sel:DWORD
	s_and_saveexec_b64 s[12:13], s[14:15]
	s_cbranch_execz .LBB953_495
; %bb.490:                              ;   in Loop: Header=BB953_213 Depth=1
	v_cmp_ne_u16_sdwa s[16:17], v40, s9 src0_sel:BYTE_0 src1_sel:DWORD
	v_mov_b32_e32 v60, 0xffff8000
	s_and_saveexec_b64 s[14:15], s[16:17]
	s_cbranch_execz .LBB953_494
; %bb.491:                              ;   in Loop: Header=BB953_213 Depth=1
	v_bfe_u32 v42, v38, 16, 7
	v_cmp_ne_u32_e32 vcc, s21, v42
	v_mov_b32_e32 v60, 0x7f80
	s_and_saveexec_b64 s[16:17], vcc
	s_cbranch_execz .LBB953_493
; %bb.492:                              ;   in Loop: Header=BB953_213 Depth=1
	v_and_b32_e32 v49, 7, v40
	v_ffbh_u32_e32 v60, v49
	v_min_u32_e32 v63, 32, v60
	v_subrev_u32_e32 v60, 28, v63
	v_lshlrev_b64 v[60:61], v60, v[40:41]
	v_lshrrev_b32_e32 v62, 3, v42
	v_sub_u32_e32 v61, 29, v63
	v_and_b32_e32 v60, 7, v60
	v_cmp_gt_u32_e32 vcc, 8, v42
	v_cndmask_b32_e32 v42, v62, v61, vcc
	v_cndmask_b32_e32 v49, v49, v60, vcc
	v_lshlrev_b32_e32 v40, 24, v40
	v_lshlrev_b32_e32 v49, 20, v49
	v_and_b32_e32 v40, 0x80000000, v40
	v_lshl_add_u32 v42, v42, 23, v48
	v_or3_b32 v40, v40, v42, v49
	v_lshrrev_b32_e32 v60, 16, v40
.LBB953_493:                            ;   in Loop: Header=BB953_213 Depth=1
	s_or_b64 exec, exec, s[16:17]
.LBB953_494:                            ;   in Loop: Header=BB953_213 Depth=1
	s_or_b64 exec, exec, s[14:15]
.LBB953_495:                            ;   in Loop: Header=BB953_213 Depth=1
	s_or_b64 exec, exec, s[12:13]
	v_cmp_lt_u32_e32 vcc, s22, v38
	v_mov_b32_e32 v49, 0
	v_mov_b32_e32 v61, 0
	s_and_saveexec_b64 s[12:13], vcc
	s_cbranch_execz .LBB953_501
; %bb.496:                              ;   in Loop: Header=BB953_213 Depth=1
	v_lshrrev_b32_e32 v40, 24, v38
	v_cmp_ne_u32_e32 vcc, s9, v40
	v_mov_b32_e32 v61, 0xffff8000
	s_and_saveexec_b64 s[14:15], vcc
	s_cbranch_execz .LBB953_500
; %bb.497:                              ;   in Loop: Header=BB953_213 Depth=1
	v_bfe_u32 v38, v38, 24, 7
	v_cmp_ne_u32_e32 vcc, s21, v38
	v_mov_b32_e32 v61, 0x7f80
	s_and_saveexec_b64 s[16:17], vcc
	s_cbranch_execz .LBB953_499
; %bb.498:                              ;   in Loop: Header=BB953_213 Depth=1
	v_and_b32_e32 v42, 7, v40
	v_ffbh_u32_e32 v62, v42
	v_min_u32_e32 v64, 32, v62
	v_subrev_u32_e32 v62, 28, v64
	v_lshlrev_b64 v[62:63], v62, v[40:41]
	v_lshrrev_b32_e32 v61, 3, v38
	v_sub_u32_e32 v63, 29, v64
	v_and_b32_e32 v62, 7, v62
	v_cmp_gt_u32_e32 vcc, 8, v38
	v_cndmask_b32_e32 v38, v61, v63, vcc
	v_cndmask_b32_e32 v42, v42, v62, vcc
	v_lshlrev_b32_e32 v40, 24, v40
	v_lshlrev_b32_e32 v42, 20, v42
	v_and_b32_e32 v40, 0x80000000, v40
	v_lshl_add_u32 v38, v38, 23, v48
	v_or3_b32 v38, v40, v38, v42
	v_lshrrev_b32_e32 v61, 16, v38
.LBB953_499:                            ;   in Loop: Header=BB953_213 Depth=1
	s_or_b64 exec, exec, s[16:17]
.LBB953_500:                            ;   in Loop: Header=BB953_213 Depth=1
	s_or_b64 exec, exec, s[14:15]
.LBB953_501:                            ;   in Loop: Header=BB953_213 Depth=1
	s_or_b64 exec, exec, s[12:13]
	v_perm_b32 v62, v44, v46, s23
	buffer_load_dword v44, v41, s[0:3], 0 offen
	buffer_load_dword v42, v41, s[0:3], 0 offen offset:4
	buffer_load_dword v40, v41, s[0:3], 0 offen offset:8
	;; [unrolled: 1-line block ×3, first 2 shown]
	v_perm_b32 v63, v52, v50, s23
	v_perm_b32 v61, v61, v60, s23
	;; [unrolled: 1-line block ×3, first 2 shown]
	v_mfma_f32_16x16x16bf16_1k v[34:37], v[62:63], v[22:23], v[34:37]
	s_waitcnt vmcnt(3)
	v_cmp_ne_u16_sdwa s[14:15], v44, v47 src0_sel:BYTE_0 src1_sel:DWORD
	v_mfma_f32_16x16x16bf16_1k v[34:37], v[60:61], v[24:25], v[34:37]
	s_and_saveexec_b64 s[12:13], s[14:15]
	s_cbranch_execz .LBB953_507
; %bb.502:                              ;   in Loop: Header=BB953_213 Depth=1
	v_cmp_ne_u16_sdwa s[16:17], v44, s9 src0_sel:BYTE_0 src1_sel:DWORD
	v_mov_b32_e32 v49, 0xffff8000
	s_and_saveexec_b64 s[14:15], s[16:17]
	s_cbranch_execz .LBB953_506
; %bb.503:                              ;   in Loop: Header=BB953_213 Depth=1
	v_and_b32_e32 v41, 0x7f, v44
	v_cmp_ne_u32_e32 vcc, s21, v41
	v_mov_b32_e32 v49, 0x7f80
	s_and_saveexec_b64 s[16:17], vcc
	s_cbranch_execz .LBB953_505
; %bb.504:                              ;   in Loop: Header=BB953_213 Depth=1
	v_and_b32_e32 v46, 7, v44
	v_ffbh_u32_e32 v50, v46
	v_min_u32_e32 v52, 32, v50
	v_subrev_u32_e32 v50, 28, v52
	v_lshlrev_b64 v[50:51], v50, v[44:45]
	v_lshrrev_b32_e32 v49, 3, v41
	v_sub_u32_e32 v51, 29, v52
	v_and_b32_e32 v50, 7, v50
	v_cmp_gt_u32_e32 vcc, 8, v41
	v_cndmask_b32_e32 v41, v49, v51, vcc
	v_cndmask_b32_e32 v46, v46, v50, vcc
	v_lshlrev_b32_e32 v49, 24, v44
	v_lshlrev_b32_e32 v46, 20, v46
	v_and_b32_e32 v49, 0x80000000, v49
	v_lshl_add_u32 v41, v41, 23, v48
	v_or3_b32 v41, v49, v41, v46
	v_lshrrev_b32_e32 v49, 16, v41
.LBB953_505:                            ;   in Loop: Header=BB953_213 Depth=1
	s_or_b64 exec, exec, s[16:17]
.LBB953_506:                            ;   in Loop: Header=BB953_213 Depth=1
	s_or_b64 exec, exec, s[14:15]
.LBB953_507:                            ;   in Loop: Header=BB953_213 Depth=1
	s_or_b64 exec, exec, s[12:13]
	v_lshrrev_b16_e32 v46, 8, v44
	v_cmp_ne_u16_e32 vcc, 0, v46
	v_mov_b32_e32 v51, 0
	v_mov_b32_e32 v50, 0
	s_and_saveexec_b64 s[12:13], vcc
	s_cbranch_execz .LBB953_513
; %bb.508:                              ;   in Loop: Header=BB953_213 Depth=1
	v_cmp_ne_u16_e32 vcc, s9, v46
	v_mov_b32_e32 v50, 0xffff8000
	s_and_saveexec_b64 s[14:15], vcc
	s_cbranch_execz .LBB953_512
; %bb.509:                              ;   in Loop: Header=BB953_213 Depth=1
	v_and_b32_e32 v41, 0x7f, v46
	v_cmp_ne_u32_e32 vcc, s21, v41
	v_mov_b32_e32 v50, 0x7f80
	s_and_saveexec_b64 s[16:17], vcc
	s_cbranch_execz .LBB953_511
; %bb.510:                              ;   in Loop: Header=BB953_213 Depth=1
	v_and_b32_e32 v50, 7, v46
	v_ffbh_u32_e32 v52, v50
	v_min_u32_e32 v61, 32, v52
	v_subrev_u32_e32 v52, 28, v61
	v_lshlrev_b64 v[52:53], v52, v[46:47]
	v_lshrrev_b32_e32 v60, 3, v41
	v_sub_u32_e32 v46, 29, v61
	v_and_b32_e32 v52, 7, v52
	v_cmp_gt_u32_e32 vcc, 8, v41
	v_cndmask_b32_e32 v41, v60, v46, vcc
	v_cndmask_b32_e32 v46, v50, v52, vcc
	v_lshlrev_b32_e32 v50, 16, v44
	v_lshlrev_b32_e32 v46, 20, v46
	v_and_b32_e32 v50, 0x80000000, v50
	v_lshl_add_u32 v41, v41, 23, v48
	v_or3_b32 v41, v50, v41, v46
	v_lshrrev_b32_e32 v50, 16, v41
.LBB953_511:                            ;   in Loop: Header=BB953_213 Depth=1
	s_or_b64 exec, exec, s[16:17]
.LBB953_512:                            ;   in Loop: Header=BB953_213 Depth=1
	s_or_b64 exec, exec, s[14:15]
.LBB953_513:                            ;   in Loop: Header=BB953_213 Depth=1
	s_or_b64 exec, exec, s[12:13]
	v_lshrrev_b32_e32 v46, 16, v44
	v_cmp_ne_u16_sdwa s[14:15], v46, v47 src0_sel:BYTE_0 src1_sel:DWORD
	s_and_saveexec_b64 s[12:13], s[14:15]
	s_cbranch_execz .LBB953_519
; %bb.514:                              ;   in Loop: Header=BB953_213 Depth=1
	v_cmp_ne_u16_sdwa s[16:17], v46, s9 src0_sel:BYTE_0 src1_sel:DWORD
	v_mov_b32_e32 v51, 0xffff8000
	s_and_saveexec_b64 s[14:15], s[16:17]
	s_cbranch_execz .LBB953_518
; %bb.515:                              ;   in Loop: Header=BB953_213 Depth=1
	v_bfe_u32 v41, v44, 16, 7
	v_cmp_ne_u32_e32 vcc, s21, v41
	v_mov_b32_e32 v51, 0x7f80
	s_and_saveexec_b64 s[16:17], vcc
	s_cbranch_execz .LBB953_517
; %bb.516:                              ;   in Loop: Header=BB953_213 Depth=1
	v_and_b32_e32 v51, 7, v46
	v_ffbh_u32_e32 v52, v51
	v_min_u32_e32 v61, 32, v52
	v_subrev_u32_e32 v52, 28, v61
	v_lshlrev_b64 v[52:53], v52, v[46:47]
	v_lshrrev_b32_e32 v60, 3, v41
	v_sub_u32_e32 v53, 29, v61
	v_and_b32_e32 v52, 7, v52
	v_cmp_gt_u32_e32 vcc, 8, v41
	v_cndmask_b32_e32 v41, v60, v53, vcc
	v_cndmask_b32_e32 v51, v51, v52, vcc
	v_lshlrev_b32_e32 v46, 24, v46
	v_lshlrev_b32_e32 v51, 20, v51
	v_and_b32_e32 v46, 0x80000000, v46
	v_lshl_add_u32 v41, v41, 23, v48
	v_or3_b32 v41, v46, v41, v51
	v_lshrrev_b32_e32 v51, 16, v41
.LBB953_517:                            ;   in Loop: Header=BB953_213 Depth=1
	s_or_b64 exec, exec, s[16:17]
.LBB953_518:                            ;   in Loop: Header=BB953_213 Depth=1
	s_or_b64 exec, exec, s[14:15]
.LBB953_519:                            ;   in Loop: Header=BB953_213 Depth=1
	s_or_b64 exec, exec, s[12:13]
	v_cmp_lt_u32_e32 vcc, s22, v44
	v_mov_b32_e32 v52, 0
	v_mov_b32_e32 v53, 0
	s_and_saveexec_b64 s[12:13], vcc
	s_cbranch_execz .LBB953_525
; %bb.520:                              ;   in Loop: Header=BB953_213 Depth=1
	v_lshrrev_b32_e32 v46, 24, v44
	v_cmp_ne_u32_e32 vcc, s9, v46
	v_mov_b32_e32 v53, 0xffff8000
	s_and_saveexec_b64 s[14:15], vcc
	s_cbranch_execz .LBB953_524
; %bb.521:                              ;   in Loop: Header=BB953_213 Depth=1
	v_bfe_u32 v41, v44, 24, 7
	v_cmp_ne_u32_e32 vcc, s21, v41
	v_mov_b32_e32 v53, 0x7f80
	s_and_saveexec_b64 s[16:17], vcc
	s_cbranch_execz .LBB953_523
; %bb.522:                              ;   in Loop: Header=BB953_213 Depth=1
	v_and_b32_e32 v44, 7, v46
	v_ffbh_u32_e32 v60, v44
	v_min_u32_e32 v62, 32, v60
	v_subrev_u32_e32 v60, 28, v62
	v_lshlrev_b64 v[60:61], v60, v[46:47]
	v_lshrrev_b32_e32 v53, 3, v41
	v_sub_u32_e32 v61, 29, v62
	v_and_b32_e32 v60, 7, v60
	v_cmp_gt_u32_e32 vcc, 8, v41
	v_cndmask_b32_e32 v41, v53, v61, vcc
	v_cndmask_b32_e32 v44, v44, v60, vcc
	v_lshlrev_b32_e32 v46, 24, v46
	v_lshlrev_b32_e32 v44, 20, v44
	v_and_b32_e32 v46, 0x80000000, v46
	v_lshl_add_u32 v41, v41, 23, v48
	v_or3_b32 v41, v46, v41, v44
	v_lshrrev_b32_e32 v53, 16, v41
.LBB953_523:                            ;   in Loop: Header=BB953_213 Depth=1
	s_or_b64 exec, exec, s[16:17]
.LBB953_524:                            ;   in Loop: Header=BB953_213 Depth=1
	s_or_b64 exec, exec, s[14:15]
.LBB953_525:                            ;   in Loop: Header=BB953_213 Depth=1
	s_or_b64 exec, exec, s[12:13]
	s_waitcnt vmcnt(2)
	v_cmp_ne_u16_sdwa s[14:15], v42, v47 src0_sel:BYTE_0 src1_sel:DWORD
	s_and_saveexec_b64 s[12:13], s[14:15]
	s_cbranch_execz .LBB953_531
; %bb.526:                              ;   in Loop: Header=BB953_213 Depth=1
	v_cmp_ne_u16_sdwa s[16:17], v42, s9 src0_sel:BYTE_0 src1_sel:DWORD
	v_mov_b32_e32 v52, 0xffff8000
	s_and_saveexec_b64 s[14:15], s[16:17]
	s_cbranch_execz .LBB953_530
; %bb.527:                              ;   in Loop: Header=BB953_213 Depth=1
	v_and_b32_e32 v41, 0x7f, v42
	v_cmp_ne_u32_e32 vcc, s21, v41
	v_mov_b32_e32 v52, 0x7f80
	s_and_saveexec_b64 s[16:17], vcc
	s_cbranch_execz .LBB953_529
; %bb.528:                              ;   in Loop: Header=BB953_213 Depth=1
	v_and_b32_e32 v44, 7, v42
	v_ffbh_u32_e32 v52, v44
	v_min_u32_e32 v52, 32, v52
	v_subrev_u32_e32 v60, 28, v52
	v_lshlrev_b64 v[60:61], v60, v[42:43]
	v_lshrrev_b32_e32 v46, 3, v41
	v_sub_u32_e32 v52, 29, v52
	v_and_b32_e32 v60, 7, v60
	v_cmp_gt_u32_e32 vcc, 8, v41
	v_cndmask_b32_e32 v41, v46, v52, vcc
	v_cndmask_b32_e32 v44, v44, v60, vcc
	v_lshlrev_b32_e32 v46, 24, v42
	v_lshlrev_b32_e32 v44, 20, v44
	v_and_b32_e32 v46, 0x80000000, v46
	v_lshl_add_u32 v41, v41, 23, v48
	v_or3_b32 v41, v46, v41, v44
	v_lshrrev_b32_e32 v52, 16, v41
.LBB953_529:                            ;   in Loop: Header=BB953_213 Depth=1
	s_or_b64 exec, exec, s[16:17]
.LBB953_530:                            ;   in Loop: Header=BB953_213 Depth=1
	s_or_b64 exec, exec, s[14:15]
.LBB953_531:                            ;   in Loop: Header=BB953_213 Depth=1
	s_or_b64 exec, exec, s[12:13]
	v_lshrrev_b16_e32 v44, 8, v42
	v_cmp_ne_u16_e32 vcc, 0, v44
	v_mov_b32_e32 v60, 0
	v_mov_b32_e32 v46, 0
	s_and_saveexec_b64 s[12:13], vcc
	s_cbranch_execz .LBB953_537
; %bb.532:                              ;   in Loop: Header=BB953_213 Depth=1
	v_cmp_ne_u16_e32 vcc, s9, v44
	v_mov_b32_e32 v46, 0xffff8000
	s_and_saveexec_b64 s[14:15], vcc
	s_cbranch_execz .LBB953_536
; %bb.533:                              ;   in Loop: Header=BB953_213 Depth=1
	v_and_b32_e32 v41, 0x7f, v44
	v_cmp_ne_u32_e32 vcc, s21, v41
	v_mov_b32_e32 v46, 0x7f80
	s_and_saveexec_b64 s[16:17], vcc
	s_cbranch_execz .LBB953_535
; %bb.534:                              ;   in Loop: Header=BB953_213 Depth=1
	v_and_b32_e32 v46, 7, v44
	v_ffbh_u32_e32 v62, v46
	v_min_u32_e32 v64, 32, v62
	v_subrev_u32_e32 v62, 28, v64
	v_lshlrev_b64 v[62:63], v62, v[44:45]
	v_lshrrev_b32_e32 v61, 3, v41
	v_sub_u32_e32 v44, 29, v64
	v_and_b32_e32 v62, 7, v62
	v_cmp_gt_u32_e32 vcc, 8, v41
	v_cndmask_b32_e32 v41, v61, v44, vcc
	v_cndmask_b32_e32 v44, v46, v62, vcc
	v_lshlrev_b32_e32 v46, 16, v42
	v_lshlrev_b32_e32 v44, 20, v44
	v_and_b32_e32 v46, 0x80000000, v46
	v_lshl_add_u32 v41, v41, 23, v48
	v_or3_b32 v41, v46, v41, v44
	v_lshrrev_b32_e32 v46, 16, v41
.LBB953_535:                            ;   in Loop: Header=BB953_213 Depth=1
	s_or_b64 exec, exec, s[16:17]
.LBB953_536:                            ;   in Loop: Header=BB953_213 Depth=1
	s_or_b64 exec, exec, s[14:15]
.LBB953_537:                            ;   in Loop: Header=BB953_213 Depth=1
	s_or_b64 exec, exec, s[12:13]
	v_lshrrev_b32_e32 v44, 16, v42
	v_cmp_ne_u16_sdwa s[14:15], v44, v47 src0_sel:BYTE_0 src1_sel:DWORD
	s_and_saveexec_b64 s[12:13], s[14:15]
	s_cbranch_execz .LBB953_543
; %bb.538:                              ;   in Loop: Header=BB953_213 Depth=1
	v_cmp_ne_u16_sdwa s[16:17], v44, s9 src0_sel:BYTE_0 src1_sel:DWORD
	v_mov_b32_e32 v60, 0xffff8000
	s_and_saveexec_b64 s[14:15], s[16:17]
	s_cbranch_execz .LBB953_542
; %bb.539:                              ;   in Loop: Header=BB953_213 Depth=1
	v_bfe_u32 v41, v42, 16, 7
	v_cmp_ne_u32_e32 vcc, s21, v41
	v_mov_b32_e32 v60, 0x7f80
	s_and_saveexec_b64 s[16:17], vcc
	s_cbranch_execz .LBB953_541
; %bb.540:                              ;   in Loop: Header=BB953_213 Depth=1
	v_and_b32_e32 v62, 7, v44
	v_ffbh_u32_e32 v60, v62
	v_min_u32_e32 v64, 32, v60
	v_subrev_u32_e32 v60, 28, v64
	v_lshlrev_b64 v[60:61], v60, v[44:45]
	v_lshrrev_b32_e32 v63, 3, v41
	v_sub_u32_e32 v61, 29, v64
	v_and_b32_e32 v60, 7, v60
	v_cmp_gt_u32_e32 vcc, 8, v41
	v_cndmask_b32_e32 v41, v63, v61, vcc
	v_cndmask_b32_e32 v60, v62, v60, vcc
	v_lshlrev_b32_e32 v44, 24, v44
	v_lshlrev_b32_e32 v60, 20, v60
	v_and_b32_e32 v44, 0x80000000, v44
	v_lshl_add_u32 v41, v41, 23, v48
	v_or3_b32 v41, v44, v41, v60
	v_lshrrev_b32_e32 v60, 16, v41
.LBB953_541:                            ;   in Loop: Header=BB953_213 Depth=1
	s_or_b64 exec, exec, s[16:17]
.LBB953_542:                            ;   in Loop: Header=BB953_213 Depth=1
	s_or_b64 exec, exec, s[14:15]
.LBB953_543:                            ;   in Loop: Header=BB953_213 Depth=1
	s_or_b64 exec, exec, s[12:13]
	v_cmp_lt_u32_e32 vcc, s22, v42
	v_mov_b32_e32 v41, 0
	v_mov_b32_e32 v61, 0
	s_and_saveexec_b64 s[12:13], vcc
	s_cbranch_execz .LBB953_549
; %bb.544:                              ;   in Loop: Header=BB953_213 Depth=1
	v_lshrrev_b32_e32 v44, 24, v42
	v_cmp_ne_u32_e32 vcc, s9, v44
	v_mov_b32_e32 v61, 0xffff8000
	s_and_saveexec_b64 s[14:15], vcc
	s_cbranch_execz .LBB953_548
; %bb.545:                              ;   in Loop: Header=BB953_213 Depth=1
	v_bfe_u32 v42, v42, 24, 7
	v_cmp_ne_u32_e32 vcc, s21, v42
	v_mov_b32_e32 v61, 0x7f80
	s_and_saveexec_b64 s[16:17], vcc
	s_cbranch_execz .LBB953_547
; %bb.546:                              ;   in Loop: Header=BB953_213 Depth=1
	v_and_b32_e32 v61, 7, v44
	v_ffbh_u32_e32 v62, v61
	v_min_u32_e32 v65, 32, v62
	v_subrev_u32_e32 v62, 28, v65
	v_lshlrev_b64 v[62:63], v62, v[44:45]
	v_lshrrev_b32_e32 v64, 3, v42
	v_sub_u32_e32 v63, 29, v65
	v_and_b32_e32 v62, 7, v62
	v_cmp_gt_u32_e32 vcc, 8, v42
	v_cndmask_b32_e32 v42, v64, v63, vcc
	v_cndmask_b32_e32 v61, v61, v62, vcc
	v_lshlrev_b32_e32 v44, 24, v44
	v_lshlrev_b32_e32 v61, 20, v61
	v_and_b32_e32 v44, 0x80000000, v44
	v_lshl_add_u32 v42, v42, 23, v48
	v_or3_b32 v42, v44, v42, v61
	v_lshrrev_b32_e32 v61, 16, v42
.LBB953_547:                            ;   in Loop: Header=BB953_213 Depth=1
	s_or_b64 exec, exec, s[16:17]
.LBB953_548:                            ;   in Loop: Header=BB953_213 Depth=1
	s_or_b64 exec, exec, s[14:15]
.LBB953_549:                            ;   in Loop: Header=BB953_213 Depth=1
	s_or_b64 exec, exec, s[12:13]
	v_perm_b32 v51, v53, v51, s23
	v_perm_b32 v50, v50, v49, s23
	s_waitcnt vmcnt(1)
	v_cmp_ne_u16_sdwa s[14:15], v40, v47 src0_sel:BYTE_0 src1_sel:DWORD
	v_mfma_f32_16x16x16bf16_1k v[34:37], v[50:51], v[26:27], v[34:37]
	v_perm_b32 v51, v61, v60, s23
	v_perm_b32 v50, v46, v52, s23
	s_nop 1
	v_mfma_f32_16x16x16bf16_1k v[34:37], v[50:51], v[28:29], v[34:37]
	s_and_saveexec_b64 s[12:13], s[14:15]
	s_cbranch_execz .LBB953_555
; %bb.550:                              ;   in Loop: Header=BB953_213 Depth=1
	v_cmp_ne_u16_sdwa s[16:17], v40, s9 src0_sel:BYTE_0 src1_sel:DWORD
	v_mov_b32_e32 v41, 0xffff8000
	s_and_saveexec_b64 s[14:15], s[16:17]
	s_cbranch_execz .LBB953_554
; %bb.551:                              ;   in Loop: Header=BB953_213 Depth=1
	v_and_b32_e32 v42, 0x7f, v40
	v_cmp_ne_u32_e32 vcc, s21, v42
	v_mov_b32_e32 v41, 0x7f80
	s_and_saveexec_b64 s[16:17], vcc
	s_cbranch_execz .LBB953_553
; %bb.552:                              ;   in Loop: Header=BB953_213 Depth=1
	v_and_b32_e32 v41, 7, v40
	v_ffbh_u32_e32 v46, v41
	v_min_u32_e32 v46, 32, v46
	v_subrev_u32_e32 v49, 28, v46
	v_lshlrev_b64 v[50:51], v49, v[40:41]
	v_lshrrev_b32_e32 v44, 3, v42
	v_sub_u32_e32 v46, 29, v46
	v_and_b32_e32 v49, 7, v50
	v_cmp_gt_u32_e32 vcc, 8, v42
	v_cndmask_b32_e32 v42, v44, v46, vcc
	v_cndmask_b32_e32 v41, v41, v49, vcc
	v_lshlrev_b32_e32 v44, 24, v40
	v_lshlrev_b32_e32 v41, 20, v41
	v_and_b32_e32 v44, 0x80000000, v44
	v_lshl_add_u32 v42, v42, 23, v48
	v_or3_b32 v41, v44, v42, v41
	v_lshrrev_b32_e32 v41, 16, v41
.LBB953_553:                            ;   in Loop: Header=BB953_213 Depth=1
	s_or_b64 exec, exec, s[16:17]
.LBB953_554:                            ;   in Loop: Header=BB953_213 Depth=1
	s_or_b64 exec, exec, s[14:15]
.LBB953_555:                            ;   in Loop: Header=BB953_213 Depth=1
	s_or_b64 exec, exec, s[12:13]
	v_lshrrev_b16_e32 v42, 8, v40
	v_cmp_ne_u16_e32 vcc, 0, v42
	v_mov_b32_e32 v46, 0
	v_mov_b32_e32 v44, 0
	s_and_saveexec_b64 s[12:13], vcc
	s_cbranch_execz .LBB953_561
; %bb.556:                              ;   in Loop: Header=BB953_213 Depth=1
	v_cmp_ne_u16_e32 vcc, s9, v42
	v_mov_b32_e32 v44, 0xffff8000
	s_and_saveexec_b64 s[14:15], vcc
	s_cbranch_execz .LBB953_560
; %bb.557:                              ;   in Loop: Header=BB953_213 Depth=1
	v_and_b32_e32 v49, 0x7f, v42
	v_cmp_ne_u32_e32 vcc, s21, v49
	v_mov_b32_e32 v44, 0x7f80
	s_and_saveexec_b64 s[16:17], vcc
	s_cbranch_execz .LBB953_559
; %bb.558:                              ;   in Loop: Header=BB953_213 Depth=1
	v_and_b32_e32 v44, 7, v42
	v_ffbh_u32_e32 v50, v44
	v_min_u32_e32 v53, 32, v50
	v_subrev_u32_e32 v50, 28, v53
	v_lshlrev_b64 v[50:51], v50, v[42:43]
	v_lshrrev_b32_e32 v52, 3, v49
	v_sub_u32_e32 v42, 29, v53
	v_and_b32_e32 v50, 7, v50
	v_cmp_gt_u32_e32 vcc, 8, v49
	v_cndmask_b32_e32 v42, v52, v42, vcc
	v_cndmask_b32_e32 v44, v44, v50, vcc
	v_lshlrev_b32_e32 v49, 16, v40
	v_lshlrev_b32_e32 v44, 20, v44
	v_and_b32_e32 v49, 0x80000000, v49
	v_lshl_add_u32 v42, v42, 23, v48
	v_or3_b32 v42, v49, v42, v44
	v_lshrrev_b32_e32 v44, 16, v42
.LBB953_559:                            ;   in Loop: Header=BB953_213 Depth=1
	s_or_b64 exec, exec, s[16:17]
.LBB953_560:                            ;   in Loop: Header=BB953_213 Depth=1
	s_or_b64 exec, exec, s[14:15]
.LBB953_561:                            ;   in Loop: Header=BB953_213 Depth=1
	s_or_b64 exec, exec, s[12:13]
	v_lshrrev_b32_e32 v42, 16, v40
	v_cmp_ne_u16_sdwa s[14:15], v42, v47 src0_sel:BYTE_0 src1_sel:DWORD
	s_and_saveexec_b64 s[12:13], s[14:15]
	s_cbranch_execz .LBB953_567
; %bb.562:                              ;   in Loop: Header=BB953_213 Depth=1
	v_cmp_ne_u16_sdwa s[16:17], v42, s9 src0_sel:BYTE_0 src1_sel:DWORD
	v_mov_b32_e32 v46, 0xffff8000
	s_and_saveexec_b64 s[14:15], s[16:17]
	s_cbranch_execz .LBB953_566
; %bb.563:                              ;   in Loop: Header=BB953_213 Depth=1
	v_bfe_u32 v49, v40, 16, 7
	v_cmp_ne_u32_e32 vcc, s21, v49
	v_mov_b32_e32 v46, 0x7f80
	s_and_saveexec_b64 s[16:17], vcc
	s_cbranch_execz .LBB953_565
; %bb.564:                              ;   in Loop: Header=BB953_213 Depth=1
	v_and_b32_e32 v46, 7, v42
	v_ffbh_u32_e32 v50, v46
	v_min_u32_e32 v53, 32, v50
	v_subrev_u32_e32 v50, 28, v53
	v_lshlrev_b64 v[50:51], v50, v[42:43]
	v_lshrrev_b32_e32 v52, 3, v49
	v_sub_u32_e32 v51, 29, v53
	v_and_b32_e32 v50, 7, v50
	v_cmp_gt_u32_e32 vcc, 8, v49
	v_cndmask_b32_e32 v49, v52, v51, vcc
	v_cndmask_b32_e32 v46, v46, v50, vcc
	v_lshlrev_b32_e32 v42, 24, v42
	v_lshlrev_b32_e32 v46, 20, v46
	v_and_b32_e32 v42, 0x80000000, v42
	v_lshl_add_u32 v49, v49, 23, v48
	v_or3_b32 v42, v42, v49, v46
	v_lshrrev_b32_e32 v46, 16, v42
.LBB953_565:                            ;   in Loop: Header=BB953_213 Depth=1
	s_or_b64 exec, exec, s[16:17]
.LBB953_566:                            ;   in Loop: Header=BB953_213 Depth=1
	s_or_b64 exec, exec, s[14:15]
.LBB953_567:                            ;   in Loop: Header=BB953_213 Depth=1
	s_or_b64 exec, exec, s[12:13]
	v_cmp_lt_u32_e32 vcc, s22, v40
	v_mov_b32_e32 v49, 0
	v_mov_b32_e32 v50, 0
	s_and_saveexec_b64 s[12:13], vcc
	s_cbranch_execz .LBB953_573
; %bb.568:                              ;   in Loop: Header=BB953_213 Depth=1
	v_lshrrev_b32_e32 v42, 24, v40
	v_cmp_ne_u32_e32 vcc, s9, v42
	v_mov_b32_e32 v50, 0xffff8000
	s_and_saveexec_b64 s[14:15], vcc
	s_cbranch_execz .LBB953_572
; %bb.569:                              ;   in Loop: Header=BB953_213 Depth=1
	v_bfe_u32 v40, v40, 24, 7
	v_cmp_ne_u32_e32 vcc, s21, v40
	v_mov_b32_e32 v50, 0x7f80
	s_and_saveexec_b64 s[16:17], vcc
	s_cbranch_execz .LBB953_571
; %bb.570:                              ;   in Loop: Header=BB953_213 Depth=1
	v_and_b32_e32 v52, 7, v42
	v_ffbh_u32_e32 v50, v52
	v_min_u32_e32 v60, 32, v50
	v_subrev_u32_e32 v50, 28, v60
	v_lshlrev_b64 v[50:51], v50, v[42:43]
	v_lshrrev_b32_e32 v53, 3, v40
	v_sub_u32_e32 v51, 29, v60
	v_and_b32_e32 v50, 7, v50
	v_cmp_gt_u32_e32 vcc, 8, v40
	v_cndmask_b32_e32 v40, v53, v51, vcc
	v_cndmask_b32_e32 v50, v52, v50, vcc
	v_lshlrev_b32_e32 v42, 24, v42
	v_lshlrev_b32_e32 v50, 20, v50
	v_and_b32_e32 v42, 0x80000000, v42
	v_lshl_add_u32 v40, v40, 23, v48
	v_or3_b32 v40, v42, v40, v50
	v_lshrrev_b32_e32 v50, 16, v40
.LBB953_571:                            ;   in Loop: Header=BB953_213 Depth=1
	s_or_b64 exec, exec, s[16:17]
.LBB953_572:                            ;   in Loop: Header=BB953_213 Depth=1
	s_or_b64 exec, exec, s[14:15]
.LBB953_573:                            ;   in Loop: Header=BB953_213 Depth=1
	s_or_b64 exec, exec, s[12:13]
	s_waitcnt vmcnt(0)
	v_cmp_ne_u16_sdwa s[14:15], v38, v47 src0_sel:BYTE_0 src1_sel:DWORD
	s_and_saveexec_b64 s[12:13], s[14:15]
	s_cbranch_execz .LBB953_579
; %bb.574:                              ;   in Loop: Header=BB953_213 Depth=1
	v_cmp_ne_u16_sdwa s[16:17], v38, s9 src0_sel:BYTE_0 src1_sel:DWORD
	v_mov_b32_e32 v49, 0xffff8000
	s_and_saveexec_b64 s[14:15], s[16:17]
	s_cbranch_execz .LBB953_578
; %bb.575:                              ;   in Loop: Header=BB953_213 Depth=1
	v_and_b32_e32 v40, 0x7f, v38
	v_cmp_ne_u32_e32 vcc, s21, v40
	v_mov_b32_e32 v49, 0x7f80
	s_and_saveexec_b64 s[16:17], vcc
	s_cbranch_execz .LBB953_577
; %bb.576:                              ;   in Loop: Header=BB953_213 Depth=1
	v_and_b32_e32 v42, 7, v38
	v_ffbh_u32_e32 v51, v42
	v_min_u32_e32 v51, 32, v51
	v_subrev_u32_e32 v52, 28, v51
	v_lshlrev_b64 v[52:53], v52, v[38:39]
	v_lshrrev_b32_e32 v49, 3, v40
	v_sub_u32_e32 v51, 29, v51
	v_and_b32_e32 v52, 7, v52
	v_cmp_gt_u32_e32 vcc, 8, v40
	v_cndmask_b32_e32 v40, v49, v51, vcc
	v_cndmask_b32_e32 v42, v42, v52, vcc
	v_lshlrev_b32_e32 v49, 24, v38
	v_lshlrev_b32_e32 v42, 20, v42
	v_and_b32_e32 v49, 0x80000000, v49
	v_lshl_add_u32 v40, v40, 23, v48
	v_or3_b32 v40, v49, v40, v42
	v_lshrrev_b32_e32 v49, 16, v40
.LBB953_577:                            ;   in Loop: Header=BB953_213 Depth=1
	s_or_b64 exec, exec, s[16:17]
.LBB953_578:                            ;   in Loop: Header=BB953_213 Depth=1
	s_or_b64 exec, exec, s[14:15]
.LBB953_579:                            ;   in Loop: Header=BB953_213 Depth=1
	s_or_b64 exec, exec, s[12:13]
	v_lshrrev_b16_e32 v40, 8, v38
	v_cmp_ne_u16_e32 vcc, 0, v40
	v_mov_b32_e32 v51, 0
	v_mov_b32_e32 v42, 0
	s_and_saveexec_b64 s[12:13], vcc
	s_cbranch_execz .LBB953_585
; %bb.580:                              ;   in Loop: Header=BB953_213 Depth=1
	v_cmp_ne_u16_e32 vcc, s9, v40
	v_mov_b32_e32 v42, 0xffff8000
	s_and_saveexec_b64 s[14:15], vcc
	s_cbranch_execz .LBB953_584
; %bb.581:                              ;   in Loop: Header=BB953_213 Depth=1
	v_and_b32_e32 v52, 0x7f, v40
	v_cmp_ne_u32_e32 vcc, s21, v52
	v_mov_b32_e32 v42, 0x7f80
	s_and_saveexec_b64 s[16:17], vcc
	s_cbranch_execz .LBB953_583
; %bb.582:                              ;   in Loop: Header=BB953_213 Depth=1
	v_and_b32_e32 v42, 7, v40
	v_ffbh_u32_e32 v60, v42
	v_min_u32_e32 v62, 32, v60
	v_subrev_u32_e32 v60, 28, v62
	v_lshlrev_b64 v[60:61], v60, v[40:41]
	v_lshrrev_b32_e32 v53, 3, v52
	v_sub_u32_e32 v40, 29, v62
	v_and_b32_e32 v60, 7, v60
	v_cmp_gt_u32_e32 vcc, 8, v52
	v_cndmask_b32_e32 v40, v53, v40, vcc
	v_cndmask_b32_e32 v42, v42, v60, vcc
	v_lshlrev_b32_e32 v52, 16, v38
	v_lshlrev_b32_e32 v42, 20, v42
	v_and_b32_e32 v52, 0x80000000, v52
	v_lshl_add_u32 v40, v40, 23, v48
	v_or3_b32 v40, v52, v40, v42
	v_lshrrev_b32_e32 v42, 16, v40
.LBB953_583:                            ;   in Loop: Header=BB953_213 Depth=1
	s_or_b64 exec, exec, s[16:17]
.LBB953_584:                            ;   in Loop: Header=BB953_213 Depth=1
	s_or_b64 exec, exec, s[14:15]
.LBB953_585:                            ;   in Loop: Header=BB953_213 Depth=1
	s_or_b64 exec, exec, s[12:13]
	v_lshrrev_b32_e32 v40, 16, v38
	v_cmp_ne_u16_sdwa s[14:15], v40, v47 src0_sel:BYTE_0 src1_sel:DWORD
	s_and_saveexec_b64 s[12:13], s[14:15]
	s_cbranch_execz .LBB953_591
; %bb.586:                              ;   in Loop: Header=BB953_213 Depth=1
	v_cmp_ne_u16_sdwa s[16:17], v40, s9 src0_sel:BYTE_0 src1_sel:DWORD
	v_mov_b32_e32 v51, 0xffff8000
	s_and_saveexec_b64 s[14:15], s[16:17]
	s_cbranch_execz .LBB953_590
; %bb.587:                              ;   in Loop: Header=BB953_213 Depth=1
	v_bfe_u32 v52, v38, 16, 7
	v_cmp_ne_u32_e32 vcc, s21, v52
	v_mov_b32_e32 v51, 0x7f80
	s_and_saveexec_b64 s[16:17], vcc
	s_cbranch_execz .LBB953_589
; %bb.588:                              ;   in Loop: Header=BB953_213 Depth=1
	v_and_b32_e32 v51, 7, v40
	v_ffbh_u32_e32 v60, v51
	v_min_u32_e32 v62, 32, v60
	v_subrev_u32_e32 v60, 28, v62
	v_lshlrev_b64 v[60:61], v60, v[40:41]
	v_lshrrev_b32_e32 v53, 3, v52
	v_sub_u32_e32 v61, 29, v62
	v_and_b32_e32 v60, 7, v60
	v_cmp_gt_u32_e32 vcc, 8, v52
	v_cndmask_b32_e32 v52, v53, v61, vcc
	v_cndmask_b32_e32 v51, v51, v60, vcc
	v_lshlrev_b32_e32 v40, 24, v40
	v_lshlrev_b32_e32 v51, 20, v51
	v_and_b32_e32 v40, 0x80000000, v40
	v_lshl_add_u32 v52, v52, 23, v48
	v_or3_b32 v40, v40, v52, v51
	v_lshrrev_b32_e32 v51, 16, v40
.LBB953_589:                            ;   in Loop: Header=BB953_213 Depth=1
	s_or_b64 exec, exec, s[16:17]
.LBB953_590:                            ;   in Loop: Header=BB953_213 Depth=1
	s_or_b64 exec, exec, s[14:15]
.LBB953_591:                            ;   in Loop: Header=BB953_213 Depth=1
	s_or_b64 exec, exec, s[12:13]
	v_cmp_lt_u32_e32 vcc, s22, v38
	v_mov_b32_e32 v52, 0
	s_and_saveexec_b64 s[12:13], vcc
	s_cbranch_execz .LBB953_212
; %bb.592:                              ;   in Loop: Header=BB953_213 Depth=1
	v_lshrrev_b32_e32 v40, 24, v38
	v_cmp_ne_u32_e32 vcc, s9, v40
	v_mov_b32_e32 v52, 0xffff8000
	s_and_saveexec_b64 s[14:15], vcc
	s_cbranch_execz .LBB953_211
; %bb.593:                              ;   in Loop: Header=BB953_213 Depth=1
	v_bfe_u32 v38, v38, 24, 7
	v_cmp_ne_u32_e32 vcc, s21, v38
	v_mov_b32_e32 v52, 0x7f80
	s_and_saveexec_b64 s[16:17], vcc
	s_cbranch_execz .LBB953_210
; %bb.594:                              ;   in Loop: Header=BB953_213 Depth=1
	v_and_b32_e32 v60, 7, v40
	v_ffbh_u32_e32 v52, v60
	v_min_u32_e32 v62, 32, v52
	v_subrev_u32_e32 v52, 28, v62
	v_lshlrev_b64 v[52:53], v52, v[40:41]
	v_lshrrev_b32_e32 v61, 3, v38
	v_sub_u32_e32 v53, 29, v62
	v_and_b32_e32 v52, 7, v52
	v_cmp_gt_u32_e32 vcc, 8, v38
	v_cndmask_b32_e32 v38, v61, v53, vcc
	v_cndmask_b32_e32 v52, v60, v52, vcc
	v_lshlrev_b32_e32 v40, 24, v40
	v_lshlrev_b32_e32 v52, 20, v52
	v_and_b32_e32 v40, 0x80000000, v40
	v_lshl_add_u32 v38, v38, 23, v48
	v_or3_b32 v38, v40, v38, v52
	v_lshrrev_b32_e32 v52, 16, v38
	s_branch .LBB953_210
.LBB953_595:
	s_barrier
	buffer_load_dword v2, off, s[0:3], 0 offset:320
	buffer_load_dword v5, off, s[0:3], 0 offset:332
	;; [unrolled: 1-line block ×4, first 2 shown]
	v_cmp_gt_u32_e32 vcc, 64, v0
	s_waitcnt vmcnt(0)
	ds_write2st64_b64 v43, v[2:3], v[4:5] offset1:1
	s_waitcnt lgkmcnt(0)
	s_barrier
	s_and_saveexec_b64 s[4:5], vcc
	s_cbranch_execz .LBB953_597
; %bb.596:
	s_lshl_b32 s6, s50, 7
	s_mul_i32 s4, s18, s8
	s_mul_hi_u32 s5, s4, s6
	s_mul_i32 s4, s4, s6
	s_lshl_b64 s[4:5], s[4:5], 1
	s_add_u32 s7, s48, s4
	v_lshlrev_b32_e32 v4, 6, v55
	s_addc_u32 s8, s49, s5
	s_lshl_b32 s4, s24, 7
	s_mov_b32 s5, 0
	v_lshl_or_b32 v0, v0, 10, v4
	s_lshl_b64 s[4:5], s[4:5], 1
	v_lshlrev_b32_e32 v2, 5, v1
	v_and_b32_e32 v3, 16, v56
	v_and_b32_e32 v0, 0x1a00, v0
	s_add_u32 s4, s7, s4
	v_or3_b32 v0, v0, v2, v3
	s_addc_u32 s5, s8, s5
	ds_read_b128 v[2:5], v0
	ds_read_b128 v[6:9], v0 offset:128
	ds_read_b128 v[10:13], v0 offset:256
	v_or_b32_e32 v14, s25, v1
	v_mov_b32_e32 v0, s5
	v_add_co_u32_e32 v15, vcc, s4, v54
	v_addc_co_u32_e32 v16, vcc, 0, v0, vcc
	v_mad_u64_u32 v[0:1], s[4:5], v14, s6, 0
	v_lshlrev_b64 v[0:1], 1, v[0:1]
	v_add_co_u32_e32 v0, vcc, v15, v0
	v_addc_co_u32_e32 v1, vcc, v16, v1, vcc
	s_waitcnt lgkmcnt(2)
	global_store_dwordx4 v[0:1], v[2:5], off
	v_add_u32_e32 v0, 4, v14
	v_mad_u64_u32 v[0:1], s[4:5], v0, s6, 0
	v_lshlrev_b64 v[0:1], 1, v[0:1]
	v_add_co_u32_e32 v0, vcc, v15, v0
	v_addc_co_u32_e32 v1, vcc, v16, v1, vcc
	s_waitcnt lgkmcnt(1)
	global_store_dwordx4 v[0:1], v[6:9], off
	v_add_u32_e32 v0, 8, v14
	v_mad_u64_u32 v[0:1], s[4:5], v0, s6, 0
	v_lshlrev_b64 v[0:1], 1, v[0:1]
	v_add_co_u32_e32 v0, vcc, v15, v0
	v_addc_co_u32_e32 v1, vcc, v16, v1, vcc
	s_waitcnt lgkmcnt(0)
	global_store_dwordx4 v[0:1], v[10:13], off
.LBB953_597:
	s_endpgm
	.section	.rodata,"a",@progbits
	.p2align	6, 0x0
	.amdhsa_kernel _Z39paged_attention_ll4mi_QKV_mfma16_kernelI14__hip_bfloat16hLN4vllm18Fp8KVCacheDataTypeE1ES0_Li32ELi128ELi256ELb0ELi12EL8MFMAType0EEvPKT_PKT0_S9_ifPKiSB_SB_iPKfiiiPfSE_PS4_PT2_iSD_SD_
		.amdhsa_group_segment_fixed_size 8192
		.amdhsa_private_segment_fixed_size 352
		.amdhsa_kernarg_size 400
		.amdhsa_user_sgpr_count 8
		.amdhsa_user_sgpr_private_segment_buffer 1
		.amdhsa_user_sgpr_dispatch_ptr 0
		.amdhsa_user_sgpr_queue_ptr 0
		.amdhsa_user_sgpr_kernarg_segment_ptr 1
		.amdhsa_user_sgpr_dispatch_id 0
		.amdhsa_user_sgpr_flat_scratch_init 1
		.amdhsa_user_sgpr_kernarg_preload_length 0
		.amdhsa_user_sgpr_kernarg_preload_offset 0
		.amdhsa_user_sgpr_private_segment_size 0
		.amdhsa_uses_dynamic_stack 0
		.amdhsa_system_sgpr_private_segment_wavefront_offset 1
		.amdhsa_system_sgpr_workgroup_id_x 1
		.amdhsa_system_sgpr_workgroup_id_y 1
		.amdhsa_system_sgpr_workgroup_id_z 1
		.amdhsa_system_sgpr_workgroup_info 0
		.amdhsa_system_vgpr_workitem_id 0
		.amdhsa_next_free_vgpr 78
		.amdhsa_next_free_sgpr 53
		.amdhsa_accum_offset 80
		.amdhsa_reserve_vcc 1
		.amdhsa_reserve_flat_scratch 0
		.amdhsa_float_round_mode_32 0
		.amdhsa_float_round_mode_16_64 0
		.amdhsa_float_denorm_mode_32 3
		.amdhsa_float_denorm_mode_16_64 3
		.amdhsa_dx10_clamp 1
		.amdhsa_ieee_mode 1
		.amdhsa_fp16_overflow 0
		.amdhsa_tg_split 0
		.amdhsa_exception_fp_ieee_invalid_op 0
		.amdhsa_exception_fp_denorm_src 0
		.amdhsa_exception_fp_ieee_div_zero 0
		.amdhsa_exception_fp_ieee_overflow 0
		.amdhsa_exception_fp_ieee_underflow 0
		.amdhsa_exception_fp_ieee_inexact 0
		.amdhsa_exception_int_div_zero 0
	.end_amdhsa_kernel
	.section	.text._Z39paged_attention_ll4mi_QKV_mfma16_kernelI14__hip_bfloat16hLN4vllm18Fp8KVCacheDataTypeE1ES0_Li32ELi128ELi256ELb0ELi12EL8MFMAType0EEvPKT_PKT0_S9_ifPKiSB_SB_iPKfiiiPfSE_PS4_PT2_iSD_SD_,"axG",@progbits,_Z39paged_attention_ll4mi_QKV_mfma16_kernelI14__hip_bfloat16hLN4vllm18Fp8KVCacheDataTypeE1ES0_Li32ELi128ELi256ELb0ELi12EL8MFMAType0EEvPKT_PKT0_S9_ifPKiSB_SB_iPKfiiiPfSE_PS4_PT2_iSD_SD_,comdat
.Lfunc_end953:
	.size	_Z39paged_attention_ll4mi_QKV_mfma16_kernelI14__hip_bfloat16hLN4vllm18Fp8KVCacheDataTypeE1ES0_Li32ELi128ELi256ELb0ELi12EL8MFMAType0EEvPKT_PKT0_S9_ifPKiSB_SB_iPKfiiiPfSE_PS4_PT2_iSD_SD_, .Lfunc_end953-_Z39paged_attention_ll4mi_QKV_mfma16_kernelI14__hip_bfloat16hLN4vllm18Fp8KVCacheDataTypeE1ES0_Li32ELi128ELi256ELb0ELi12EL8MFMAType0EEvPKT_PKT0_S9_ifPKiSB_SB_iPKfiiiPfSE_PS4_PT2_iSD_SD_
                                        ; -- End function
	.section	.AMDGPU.csdata,"",@progbits
; Kernel info:
; codeLenInByte = 22300
; NumSgprs: 57
; NumVgprs: 78
; NumAgprs: 0
; TotalNumVgprs: 78
; ScratchSize: 352
; MemoryBound: 0
; FloatMode: 240
; IeeeMode: 1
; LDSByteSize: 8192 bytes/workgroup (compile time only)
; SGPRBlocks: 7
; VGPRBlocks: 9
; NumSGPRsForWavesPerEU: 57
; NumVGPRsForWavesPerEU: 78
; AccumOffset: 80
; Occupancy: 6
; WaveLimiterHint : 1
; COMPUTE_PGM_RSRC2:SCRATCH_EN: 1
; COMPUTE_PGM_RSRC2:USER_SGPR: 8
; COMPUTE_PGM_RSRC2:TRAP_HANDLER: 0
; COMPUTE_PGM_RSRC2:TGID_X_EN: 1
; COMPUTE_PGM_RSRC2:TGID_Y_EN: 1
; COMPUTE_PGM_RSRC2:TGID_Z_EN: 1
; COMPUTE_PGM_RSRC2:TIDIG_COMP_CNT: 0
; COMPUTE_PGM_RSRC3_GFX90A:ACCUM_OFFSET: 19
; COMPUTE_PGM_RSRC3_GFX90A:TG_SPLIT: 0
	.section	.text._Z39paged_attention_ll4mi_QKV_mfma16_kernelI14__hip_bfloat16hLN4vllm18Fp8KVCacheDataTypeE1ES0_Li32ELi128ELi256ELb0ELi13EL8MFMAType0EEvPKT_PKT0_S9_ifPKiSB_SB_iPKfiiiPfSE_PS4_PT2_iSD_SD_,"axG",@progbits,_Z39paged_attention_ll4mi_QKV_mfma16_kernelI14__hip_bfloat16hLN4vllm18Fp8KVCacheDataTypeE1ES0_Li32ELi128ELi256ELb0ELi13EL8MFMAType0EEvPKT_PKT0_S9_ifPKiSB_SB_iPKfiiiPfSE_PS4_PT2_iSD_SD_,comdat
	.protected	_Z39paged_attention_ll4mi_QKV_mfma16_kernelI14__hip_bfloat16hLN4vllm18Fp8KVCacheDataTypeE1ES0_Li32ELi128ELi256ELb0ELi13EL8MFMAType0EEvPKT_PKT0_S9_ifPKiSB_SB_iPKfiiiPfSE_PS4_PT2_iSD_SD_ ; -- Begin function _Z39paged_attention_ll4mi_QKV_mfma16_kernelI14__hip_bfloat16hLN4vllm18Fp8KVCacheDataTypeE1ES0_Li32ELi128ELi256ELb0ELi13EL8MFMAType0EEvPKT_PKT0_S9_ifPKiSB_SB_iPKfiiiPfSE_PS4_PT2_iSD_SD_
	.globl	_Z39paged_attention_ll4mi_QKV_mfma16_kernelI14__hip_bfloat16hLN4vllm18Fp8KVCacheDataTypeE1ES0_Li32ELi128ELi256ELb0ELi13EL8MFMAType0EEvPKT_PKT0_S9_ifPKiSB_SB_iPKfiiiPfSE_PS4_PT2_iSD_SD_
	.p2align	8
	.type	_Z39paged_attention_ll4mi_QKV_mfma16_kernelI14__hip_bfloat16hLN4vllm18Fp8KVCacheDataTypeE1ES0_Li32ELi128ELi256ELb0ELi13EL8MFMAType0EEvPKT_PKT0_S9_ifPKiSB_SB_iPKfiiiPfSE_PS4_PT2_iSD_SD_,@function
_Z39paged_attention_ll4mi_QKV_mfma16_kernelI14__hip_bfloat16hLN4vllm18Fp8KVCacheDataTypeE1ES0_Li32ELi128ELi256ELb0ELi13EL8MFMAType0EEvPKT_PKT0_S9_ifPKiSB_SB_iPKfiiiPfSE_PS4_PT2_iSD_SD_: ; @_Z39paged_attention_ll4mi_QKV_mfma16_kernelI14__hip_bfloat16hLN4vllm18Fp8KVCacheDataTypeE1ES0_Li32ELi128ELi256ELb0ELi13EL8MFMAType0EEvPKT_PKT0_S9_ifPKiSB_SB_iPKfiiiPfSE_PS4_PT2_iSD_SD_
; %bb.0:
	s_load_dwordx2 s[6:7], s[4:5], 0x30
	s_add_u32 s0, s0, s11
	s_addc_u32 s1, s1, 0
	s_mov_b32 s24, s9
	s_mov_b64 s[12:13], 0
	s_waitcnt lgkmcnt(0)
	s_cmp_lg_u64 s[6:7], 0
	s_cselect_b64 s[16:17], -1, 0
	s_and_b64 vcc, exec, s[16:17]
	s_cbranch_vccz .LBB954_7
; %bb.1:
	s_add_i32 s14, s8, 1
	s_mov_b32 s15, 0
	s_lshl_b64 s[18:19], s[14:15], 2
	s_add_u32 s18, s6, s18
	s_mov_b32 s9, s15
	s_addc_u32 s19, s7, s19
	s_lshl_b64 s[14:15], s[8:9], 2
	s_add_u32 s14, s6, s14
	s_addc_u32 s15, s7, s15
	s_load_dword s11, s[18:19], 0x0
	s_load_dword s20, s[14:15], 0x0
	s_waitcnt lgkmcnt(0)
	s_sub_i32 s11, s11, s20
	s_cmp_eq_u32 s11, 1
	s_cselect_b64 s[14:15], -1, 0
	s_andn2_b64 vcc, exec, s[12:13]
	s_cbranch_vccnz .LBB954_3
.LBB954_2:
	s_mov_b32 s9, 0
	s_mov_b64 s[14:15], -1
.LBB954_3:
	s_andn2_b64 vcc, exec, s[14:15]
	s_cbranch_vccnz .LBB954_598
; %bb.4:
	s_load_dwordx2 s[12:13], s[4:5], 0x28
	s_lshl_b64 s[18:19], s[8:9], 2
	s_waitcnt lgkmcnt(0)
	s_add_u32 s12, s12, s18
	s_addc_u32 s13, s13, s19
	s_load_dword s33, s[12:13], 0x0
	s_lshl_b32 s20, s24, 8
	s_waitcnt lgkmcnt(0)
	s_cmp_ge_i32 s20, s33
	s_cbranch_scc1 .LBB954_598
; %bb.5:
	s_add_i32 s14, s33, 31
	s_load_dwordx2 s[12:13], s[4:5], 0x20
	s_load_dword s11, s[4:5], 0x38
	s_ashr_i32 s15, s14, 31
	v_and_b32_e32 v1, 0xcf, v0
	s_lshr_b32 s15, s15, 27
	v_add_u32_e32 v1, s20, v1
	s_add_i32 s14, s14, s15
	v_ashrrev_i32_e32 v2, 31, v1
	s_ashr_i32 s22, s14, 5
	v_lshrrev_b32_e32 v10, 27, v2
	s_add_i32 s22, s22, -1
	v_add_u32_e32 v2, v1, v10
	s_waitcnt lgkmcnt(0)
	s_mul_i32 s14, s8, s11
	s_mov_b32 s15, 0
	v_ashrrev_i32_e32 v2, 5, v2
	v_mov_b32_e32 v11, s22
	v_cmp_gt_i32_e32 vcc, s33, v1
	s_lshl_b64 s[14:15], s[14:15], 2
	v_cndmask_b32_e32 v2, v11, v2, vcc
	s_add_u32 s11, s12, s14
	v_ashrrev_i32_e32 v3, 31, v2
	s_addc_u32 s21, s13, s15
	v_lshlrev_b64 v[2:3], 2, v[2:3]
	v_mov_b32_e32 v5, s21
	v_add_co_u32_e32 v4, vcc, s11, v2
	v_or_b32_e32 v2, 16, v1
	v_addc_co_u32_e32 v5, vcc, v5, v3, vcc
	v_add_u32_e32 v3, v2, v10
	v_ashrrev_i32_e32 v3, 5, v3
	v_cmp_gt_i32_e32 vcc, s33, v2
	v_cndmask_b32_e32 v2, v11, v3, vcc
	v_ashrrev_i32_e32 v3, 31, v2
	v_lshlrev_b64 v[2:3], 2, v[2:3]
	v_mov_b32_e32 v7, s21
	v_add_co_u32_e32 v6, vcc, s11, v2
	v_or_b32_e32 v2, 32, v1
	v_addc_co_u32_e32 v7, vcc, v7, v3, vcc
	v_add_u32_e32 v3, v2, v10
	v_ashrrev_i32_e32 v3, 5, v3
	v_cmp_gt_i32_e32 vcc, s33, v2
	v_cndmask_b32_e32 v2, v11, v3, vcc
	v_ashrrev_i32_e32 v3, 31, v2
	;; [unrolled: 10-line block ×3, first 2 shown]
	v_lshlrev_b64 v[2:3], 2, v[2:3]
	v_mov_b32_e32 v1, s21
	v_add_co_u32_e32 v12, vcc, s11, v2
	v_addc_co_u32_e32 v13, vcc, v1, v3, vcc
	global_load_dword v2, v[4:5], off
	global_load_dword v10, v[6:7], off
	;; [unrolled: 1-line block ×4, first 2 shown]
	s_load_dwordx4 s[12:15], s[4:5], 0x8
	s_andn2_b64 vcc, exec, s[16:17]
	s_cbranch_vccnz .LBB954_8
; %bb.6:
	s_add_u32 s6, s6, s18
	s_addc_u32 s7, s7, s19
	s_load_dword s16, s[6:7], 0x0
	s_branch .LBB954_9
.LBB954_7:
	s_mov_b64 s[14:15], 0
	s_branch .LBB954_2
.LBB954_8:
	s_mov_b32 s16, s8
.LBB954_9:
	s_load_dwordx2 s[48:49], s[4:5], 0x68
	s_load_dwordx8 s[40:47], s[4:5], 0x48
	v_lshrrev_b32_e32 v62, 6, v0
	v_bfe_u32 v1, v0, 4, 2
	v_and_b32_e32 v55, 15, v0
	v_lshl_or_b32 v3, v62, 2, v1
	v_lshlrev_b32_e32 v4, 3, v55
	s_mul_i32 s25, s10, 13
	v_cmp_gt_u32_e32 vcc, 13, v3
	v_lshlrev_b32_e32 v54, 1, v4
	v_lshlrev_b32_e32 v56, 4, v0
	s_and_saveexec_b64 s[6:7], vcc
	s_cbranch_execz .LBB954_11
; %bb.10:
	s_load_dwordx2 s[18:19], s[4:5], 0x0
	s_waitcnt lgkmcnt(0)
	s_ashr_i32 s17, s40, 31
	s_mul_hi_u32 s23, s16, s40
	s_mul_i32 s17, s16, s17
	s_add_i32 s17, s23, s17
	s_mul_i32 s16, s16, s40
	s_lshl_b64 s[16:17], s[16:17], 1
	v_add_lshl_u32 v4, v3, s25, 7
	s_add_u32 s16, s18, s16
	v_ashrrev_i32_e32 v5, 31, v4
	s_addc_u32 s17, s19, s17
	v_lshlrev_b64 v[4:5], 1, v[4:5]
	v_mov_b32_e32 v6, s17
	v_add_co_u32_e32 v4, vcc, s16, v4
	v_addc_co_u32_e32 v5, vcc, v6, v5, vcc
	v_add_co_u32_e32 v4, vcc, v4, v54
	v_addc_co_u32_e32 v5, vcc, 0, v5, vcc
	global_load_dwordx4 v[4:7], v[4:5], off
	v_lshlrev_b32_e32 v9, 8, v0
	v_lshlrev_b32_e32 v8, 8, v55
	v_and_b32_e32 v9, 0x600, v9
	s_movk_i32 s16, 0x800
	v_and_or_b32 v8, v8, s16, v9
	v_lshlrev_b32_e32 v3, 5, v3
	v_and_b32_e32 v9, 16, v56
	v_or3_b32 v3, v8, v3, v9
	s_waitcnt vmcnt(0)
	ds_write_b128 v3, v[4:7]
.LBB954_11:
	s_or_b64 exec, exec, s[6:7]
	s_waitcnt lgkmcnt(0)
	s_mul_i32 s10, s10, s42
	s_add_u32 s6, s12, s10
	s_addc_u32 s7, s13, 0
	v_and_b32_e32 v3, 48, v0
	v_pk_mov_b32 v[22:23], s[6:7], s[6:7] op_sel:[0,1]
	s_ashr_i32 s6, s20, 31
	v_lshlrev_b32_e32 v25, 5, v3
	v_or_b32_e32 v3, s20, v3
	s_lshr_b32 s6, s6, 27
	v_add_u32_e32 v4, s6, v3
	v_ashrrev_i32_e32 v4, 5, v4
	v_mov_b32_e32 v11, s22
	v_cmp_gt_i32_e32 vcc, s33, v3
	v_cndmask_b32_e32 v4, v11, v4, vcc
	v_ashrrev_i32_e32 v5, 31, v4
	v_lshlrev_b64 v[4:5], 2, v[4:5]
	v_mov_b32_e32 v6, s21
	v_add_co_u32_e32 v4, vcc, s11, v4
	v_addc_co_u32_e32 v5, vcc, v6, v5, vcc
	v_or_b32_e32 v6, 64, v3
	v_add_u32_e32 v7, s6, v6
	v_ashrrev_i32_e32 v7, 5, v7
	v_cmp_gt_i32_e32 vcc, s33, v6
	v_cndmask_b32_e32 v6, v11, v7, vcc
	v_ashrrev_i32_e32 v7, 31, v6
	v_lshlrev_b64 v[6:7], 2, v[6:7]
	v_mov_b32_e32 v8, s21
	v_add_co_u32_e32 v6, vcc, s11, v6
	v_addc_co_u32_e32 v7, vcc, v8, v7, vcc
	v_or_b32_e32 v8, 0x80, v3
	v_add_u32_e32 v9, s6, v8
	v_ashrrev_i32_e32 v9, 5, v9
	v_cmp_gt_i32_e32 vcc, s33, v8
	v_cndmask_b32_e32 v8, v11, v9, vcc
	v_ashrrev_i32_e32 v9, 31, v8
	v_lshlrev_b64 v[8:9], 2, v[8:9]
	v_mov_b32_e32 v12, s21
	v_add_co_u32_e32 v8, vcc, s11, v8
	v_or_b32_e32 v3, 0xc0, v3
	s_load_dwordx2 s[50:51], s[4:5], 0x94
	s_waitcnt lgkmcnt(0)
	s_barrier
	v_addc_co_u32_e32 v9, vcc, v12, v9, vcc
	global_load_dword v50, v[4:5], off
	global_load_dword v57, v[6:7], off
	v_add_u32_e32 v4, s6, v3
	v_ashrrev_i32_e32 v4, 5, v4
	v_cmp_gt_i32_e32 vcc, s33, v3
	v_cndmask_b32_e32 v4, v11, v4, vcc
	v_ashrrev_i32_e32 v5, 31, v4
	v_lshlrev_b64 v[4:5], 2, v[4:5]
	v_mov_b32_e32 v3, s21
	v_add_co_u32_e32 v4, vcc, s11, v4
	v_addc_co_u32_e32 v5, vcc, v3, v5, vcc
	global_load_dword v64, v[8:9], off
	global_load_dword v65, v[4:5], off
	s_waitcnt vmcnt(7)
	v_mad_i64_i32 v[2:3], s[6:7], v2, s41, v[22:23]
	v_lshlrev_b32_e32 v26, 4, v55
	v_add_co_u32_e32 v2, vcc, v2, v26
	v_addc_co_u32_e32 v3, vcc, 0, v3, vcc
	v_add_co_u32_e32 v12, vcc, v2, v25
	v_addc_co_u32_e32 v13, vcc, 0, v3, vcc
	global_load_dwordx4 v[6:9], v[12:13], off
	global_load_dwordx4 v[2:5], v[12:13], off offset:2048
	s_waitcnt vmcnt(8)
	v_mad_i64_i32 v[10:11], s[6:7], v10, s41, v[22:23]
	v_or_b32_e32 v28, 0x100, v26
	v_add_co_u32_e32 v10, vcc, v10, v28
	v_addc_co_u32_e32 v11, vcc, 0, v11, vcc
	v_add_co_u32_e32 v20, vcc, v10, v25
	v_addc_co_u32_e32 v21, vcc, 0, v11, vcc
	s_waitcnt vmcnt(7)
	v_mad_i64_i32 v[18:19], s[6:7], v18, s41, v[22:23]
	v_add_co_u32_e32 v18, vcc, v18, v26
	v_addc_co_u32_e32 v19, vcc, 0, v19, vcc
	v_add_co_u32_e32 v26, vcc, v18, v25
	v_addc_co_u32_e32 v27, vcc, 0, v19, vcc
	s_waitcnt vmcnt(6)
	v_mad_i64_i32 v[22:23], s[6:7], v24, s41, v[22:23]
	v_add_co_u32_e32 v22, vcc, v22, v28
	v_addc_co_u32_e32 v23, vcc, 0, v23, vcc
	v_add_co_u32_e32 v30, vcc, v22, v25
	v_addc_co_u32_e32 v31, vcc, 0, v23, vcc
	s_add_u32 s6, s14, s10
	global_load_dwordx4 v[10:13], v[20:21], off
	global_load_dwordx4 v[14:17], v[20:21], off offset:2048
	global_load_dwordx4 v[38:41], v[26:27], off
	s_nop 0
	global_load_dwordx4 v[18:21], v[26:27], off offset:2048
	s_nop 0
	global_load_dwordx4 v[26:29], v[30:31], off
	global_load_dwordx4 v[22:25], v[30:31], off offset:2048
	s_addc_u32 s7, s15, 0
	v_and_b32_e32 v30, 16, v0
	v_mov_b32_e32 v31, s7
	v_add_co_u32_e32 v51, vcc, s6, v30
	v_lshl_or_b32 v63, v62, 4, v55
	v_addc_co_u32_e32 v52, vcc, 0, v31, vcc
	v_lshlrev_b32_e32 v53, 5, v63
	v_add_co_u32_e32 v42, vcc, v51, v53
	v_addc_co_u32_e32 v43, vcc, 0, v52, vcc
	v_or_b32_e32 v53, 0x800, v53
	v_add_co_u32_e32 v58, vcc, v51, v53
	v_addc_co_u32_e32 v59, vcc, 0, v52, vcc
	v_cmp_gt_u32_e32 vcc, 13, v55
	s_waitcnt vmcnt(11)
	v_mad_i64_i32 v[30:31], s[6:7], v50, s41, v[42:43]
	s_waitcnt vmcnt(10)
	v_mad_i64_i32 v[34:35], s[6:7], v57, s41, v[42:43]
	global_load_dwordx4 v[30:33], v[30:31], off
	v_mad_i64_i32 v[50:51], s[6:7], v50, s41, v[58:59]
	global_load_dwordx4 v[34:37], v[34:35], off
	v_mad_i64_i32 v[60:61], s[6:7], v57, s41, v[58:59]
	s_mov_b32 s12, 0
	s_movk_i32 s13, 0x80
	s_waitcnt vmcnt(11)
	v_mad_i64_i32 v[44:45], s[6:7], v64, s41, v[42:43]
	s_waitcnt vmcnt(10)
	v_mad_i64_i32 v[42:43], s[6:7], v65, s41, v[42:43]
	global_load_dwordx4 v[46:49], v[44:45], off
	s_nop 0
	global_load_dwordx4 v[42:45], v[42:43], off
	s_movk_i32 s14, 0x7f
	global_load_dwordx4 v[50:53], v[50:51], off
	s_mov_b32 s15, 0xffffff
	global_load_dwordx4 v[66:69], v[60:61], off
	s_mov_b32 s16, 0x5040100
	s_waitcnt vmcnt(13)
	buffer_store_dword v9, off, s[0:3], 0 offset:12
	buffer_store_dword v8, off, s[0:3], 0 offset:8
	v_mad_i64_i32 v[8:9], s[6:7], v64, s41, v[58:59]
	global_load_dwordx4 v[70:73], v[8:9], off
	v_mad_i64_i32 v[8:9], s[6:7], v65, s41, v[58:59]
	global_load_dwordx4 v[74:77], v[8:9], off
	v_and_b32_e32 v64, 63, v0
	buffer_store_dword v7, off, s[0:3], 0 offset:4
	buffer_store_dword v6, off, s[0:3], 0
	s_waitcnt vmcnt(18)
	buffer_store_dword v5, off, s[0:3], 0 offset:28
	buffer_store_dword v4, off, s[0:3], 0 offset:24
	buffer_store_dword v3, off, s[0:3], 0 offset:20
	buffer_store_dword v2, off, s[0:3], 0 offset:16
	s_waitcnt vmcnt(21)
	buffer_store_dword v13, off, s[0:3], 0 offset:44
	buffer_store_dword v12, off, s[0:3], 0 offset:40
	;; [unrolled: 1-line block ×4, first 2 shown]
	v_mov_b32_e32 v2, 0x80
	s_load_dword s6, s[4:5], 0x1c
	s_load_dwordx4 s[40:43], s[4:5], 0x80
	v_add_u32_e32 v57, 16, v2
	s_waitcnt vmcnt(24)
	buffer_store_dword v17, off, s[0:3], 0 offset:60
	buffer_store_dword v16, off, s[0:3], 0 offset:56
	;; [unrolled: 1-line block ×4, first 2 shown]
	v_add_u32_e32 v61, 32, v2
	v_add_u32_e32 v58, 48, v2
	;; [unrolled: 1-line block ×4, first 2 shown]
	s_waitcnt vmcnt(27)
	buffer_store_dword v41, off, s[0:3], 0 offset:76
	buffer_store_dword v40, off, s[0:3], 0 offset:72
	;; [unrolled: 1-line block ×4, first 2 shown]
	v_add_u32_e32 v41, 0x60, v2
	v_add_u32_e32 v39, 0x70, v2
	v_add_u32_e32 v2, -13, v55
	v_cndmask_b32_e32 v2, v2, v55, vcc
	v_lshlrev_b32_e32 v2, 5, v2
	v_lshl_add_u32 v14, v1, 9, v2
	ds_read_b128 v[2:5], v14
	ds_read_b128 v[6:9], v14 offset:16
	ds_read_b128 v[10:13], v14 offset:2048
	;; [unrolled: 1-line block ×3, first 2 shown]
	s_waitcnt vmcnt(30)
	buffer_store_dword v21, off, s[0:3], 0 offset:92
	buffer_store_dword v20, off, s[0:3], 0 offset:88
	buffer_store_dword v19, off, s[0:3], 0 offset:84
	buffer_store_dword v18, off, s[0:3], 0 offset:80
	s_waitcnt vmcnt(33)
	buffer_store_dword v29, off, s[0:3], 0 offset:108
	buffer_store_dword v28, off, s[0:3], 0 offset:104
	buffer_store_dword v27, off, s[0:3], 0 offset:100
	buffer_store_dword v26, off, s[0:3], 0 offset:96
	;; [unrolled: 5-line block ×10, first 2 shown]
	s_waitcnt vmcnt(58)
	buffer_store_dword v77, off, s[0:3], 0 offset:252
	s_waitcnt lgkmcnt(0)
	s_load_dword s4, s[40:41], 0x0
	v_mov_b32_e32 v18, s6
	v_mov_b32_e32 v27, 0
	;; [unrolled: 1-line block ×4, first 2 shown]
	s_waitcnt lgkmcnt(0)
	v_mul_f32_e32 v22, s4, v18
	v_mov_b32_e32 v24, v22
	v_mov_b32_e32 v25, v22
	v_bfrev_b32_e32 v33, 60
	buffer_store_dword v76, off, s[0:3], 0 offset:248
	buffer_store_dword v75, off, s[0:3], 0 offset:244
	;; [unrolled: 1-line block ×3, first 2 shown]
	s_branch .LBB954_15
.LBB954_12:                             ;   in Loop: Header=BB954_15 Depth=1
	s_or_b64 exec, exec, s[10:11]
.LBB954_13:                             ;   in Loop: Header=BB954_15 Depth=1
	s_or_b64 exec, exec, s[6:7]
.LBB954_14:                             ;   in Loop: Header=BB954_15 Depth=1
	s_or_b64 exec, exec, s[4:5]
	v_perm_b32 v43, v36, v32, s16
	v_perm_b32 v42, v23, v34, s16
	;; [unrolled: 1-line block ×4, first 2 shown]
	v_add_u32_e32 v26, s12, v29
	v_mfma_f32_16x16x16bf16_1k v[18:21], v[42:43], v[14:15], v[18:21]
	s_add_i32 s12, s12, 16
	v_mov_b32_e32 v23, v22
	s_cmp_eq_u32 s12, 64
	v_add_u32_e32 v27, 32, v27
	v_mfma_f32_16x16x16bf16_1k v[18:21], v[36:37], v[16:17], v[18:21]
	s_nop 7
	s_nop 2
	v_pk_mul_f32 v[18:19], v[24:25], v[18:19]
	v_pk_mul_f32 v[20:21], v[22:23], v[20:21]
	buffer_store_dword v19, v26, s[0:3], 0 offen offset:4
	buffer_store_dword v18, v26, s[0:3], 0 offen
	buffer_store_dword v21, v26, s[0:3], 0 offen offset:12
	buffer_store_dword v20, v26, s[0:3], 0 offen offset:8
	s_cbranch_scc1 .LBB954_205
.LBB954_15:                             ; =>This Inner Loop Header: Depth=1
	buffer_load_dword v20, v27, s[0:3], 0 offen
	buffer_load_dword v18, v27, s[0:3], 0 offen offset:4
	buffer_load_dword v28, v27, s[0:3], 0 offen offset:8
	;; [unrolled: 1-line block ×3, first 2 shown]
	v_mov_b32_e32 v19, 0
	s_waitcnt vmcnt(3)
	v_cmp_ne_u16_sdwa s[6:7], v20, v31 src0_sel:BYTE_0 src1_sel:DWORD
	s_and_saveexec_b64 s[4:5], s[6:7]
	s_cbranch_execz .LBB954_21
; %bb.16:                               ;   in Loop: Header=BB954_15 Depth=1
	v_cmp_ne_u16_sdwa s[10:11], v20, s13 src0_sel:BYTE_0 src1_sel:DWORD
	v_mov_b32_e32 v19, 0xffff8000
	s_and_saveexec_b64 s[6:7], s[10:11]
	s_cbranch_execz .LBB954_20
; %bb.17:                               ;   in Loop: Header=BB954_15 Depth=1
	v_and_b32_e32 v21, 0x7f, v20
	v_cmp_ne_u32_e32 vcc, s14, v21
	v_mov_b32_e32 v19, 0x7f80
	s_and_saveexec_b64 s[10:11], vcc
	s_cbranch_execz .LBB954_19
; %bb.18:                               ;   in Loop: Header=BB954_15 Depth=1
	v_and_b32_e32 v19, 7, v20
	v_ffbh_u32_e32 v30, v19
	v_min_u32_e32 v30, 32, v30
	v_subrev_u32_e32 v32, 28, v30
	v_lshlrev_b64 v[34:35], v32, v[20:21]
	v_lshrrev_b32_e32 v23, 3, v21
	v_sub_u32_e32 v30, 29, v30
	v_and_b32_e32 v32, 7, v34
	v_cmp_gt_u32_e32 vcc, 8, v21
	v_cndmask_b32_e32 v21, v23, v30, vcc
	v_cndmask_b32_e32 v19, v19, v32, vcc
	v_lshlrev_b32_e32 v23, 24, v20
	v_lshlrev_b32_e32 v19, 20, v19
	v_and_b32_e32 v23, 0x80000000, v23
	v_lshl_add_u32 v21, v21, 23, v33
	v_or3_b32 v19, v23, v21, v19
	v_lshrrev_b32_e32 v19, 16, v19
.LBB954_19:                             ;   in Loop: Header=BB954_15 Depth=1
	s_or_b64 exec, exec, s[10:11]
.LBB954_20:                             ;   in Loop: Header=BB954_15 Depth=1
	s_or_b64 exec, exec, s[6:7]
.LBB954_21:                             ;   in Loop: Header=BB954_15 Depth=1
	s_or_b64 exec, exec, s[4:5]
	v_lshrrev_b16_e32 v30, 8, v20
	v_cmp_ne_u16_e32 vcc, 0, v30
	v_mov_b32_e32 v23, 0
	v_mov_b32_e32 v21, 0
	s_and_saveexec_b64 s[4:5], vcc
	s_cbranch_execz .LBB954_27
; %bb.22:                               ;   in Loop: Header=BB954_15 Depth=1
	v_cmp_ne_u16_e32 vcc, s13, v30
	v_mov_b32_e32 v21, 0xffff8000
	s_and_saveexec_b64 s[6:7], vcc
	s_cbranch_execz .LBB954_26
; %bb.23:                               ;   in Loop: Header=BB954_15 Depth=1
	v_and_b32_e32 v32, 0x7f, v30
	v_cmp_ne_u32_e32 vcc, s14, v32
	v_mov_b32_e32 v21, 0x7f80
	s_and_saveexec_b64 s[10:11], vcc
	s_cbranch_execz .LBB954_25
; %bb.24:                               ;   in Loop: Header=BB954_15 Depth=1
	v_and_b32_e32 v21, 7, v30
	v_ffbh_u32_e32 v34, v21
	v_min_u32_e32 v37, 32, v34
	v_subrev_u32_e32 v34, 28, v37
	v_lshlrev_b64 v[34:35], v34, v[30:31]
	v_lshrrev_b32_e32 v36, 3, v32
	v_sub_u32_e32 v30, 29, v37
	v_and_b32_e32 v34, 7, v34
	v_cmp_gt_u32_e32 vcc, 8, v32
	v_cndmask_b32_e32 v30, v36, v30, vcc
	v_cndmask_b32_e32 v21, v21, v34, vcc
	v_lshlrev_b32_e32 v32, 16, v20
	v_lshlrev_b32_e32 v21, 20, v21
	v_and_b32_e32 v32, 0x80000000, v32
	v_lshl_add_u32 v30, v30, 23, v33
	v_or3_b32 v21, v32, v30, v21
	v_lshrrev_b32_e32 v21, 16, v21
.LBB954_25:                             ;   in Loop: Header=BB954_15 Depth=1
	s_or_b64 exec, exec, s[10:11]
.LBB954_26:                             ;   in Loop: Header=BB954_15 Depth=1
	s_or_b64 exec, exec, s[6:7]
.LBB954_27:                             ;   in Loop: Header=BB954_15 Depth=1
	s_or_b64 exec, exec, s[4:5]
	v_lshrrev_b32_e32 v30, 16, v20
	v_cmp_ne_u16_sdwa s[6:7], v30, v31 src0_sel:BYTE_0 src1_sel:DWORD
	s_and_saveexec_b64 s[4:5], s[6:7]
	s_cbranch_execz .LBB954_33
; %bb.28:                               ;   in Loop: Header=BB954_15 Depth=1
	v_cmp_ne_u16_sdwa s[10:11], v30, s13 src0_sel:BYTE_0 src1_sel:DWORD
	v_mov_b32_e32 v23, 0xffff8000
	s_and_saveexec_b64 s[6:7], s[10:11]
	s_cbranch_execz .LBB954_32
; %bb.29:                               ;   in Loop: Header=BB954_15 Depth=1
	v_bfe_u32 v32, v20, 16, 7
	v_cmp_ne_u32_e32 vcc, s14, v32
	v_mov_b32_e32 v23, 0x7f80
	s_and_saveexec_b64 s[10:11], vcc
	s_cbranch_execz .LBB954_31
; %bb.30:                               ;   in Loop: Header=BB954_15 Depth=1
	v_and_b32_e32 v23, 7, v30
	v_ffbh_u32_e32 v34, v23
	v_min_u32_e32 v37, 32, v34
	v_subrev_u32_e32 v34, 28, v37
	v_lshlrev_b64 v[34:35], v34, v[30:31]
	v_lshrrev_b32_e32 v36, 3, v32
	v_sub_u32_e32 v35, 29, v37
	v_and_b32_e32 v34, 7, v34
	v_cmp_gt_u32_e32 vcc, 8, v32
	v_cndmask_b32_e32 v32, v36, v35, vcc
	v_cndmask_b32_e32 v23, v23, v34, vcc
	v_lshlrev_b32_e32 v30, 24, v30
	v_lshlrev_b32_e32 v23, 20, v23
	v_and_b32_e32 v30, 0x80000000, v30
	v_lshl_add_u32 v32, v32, 23, v33
	v_or3_b32 v23, v30, v32, v23
	v_lshrrev_b32_e32 v23, 16, v23
.LBB954_31:                             ;   in Loop: Header=BB954_15 Depth=1
	s_or_b64 exec, exec, s[10:11]
.LBB954_32:                             ;   in Loop: Header=BB954_15 Depth=1
	s_or_b64 exec, exec, s[6:7]
.LBB954_33:                             ;   in Loop: Header=BB954_15 Depth=1
	s_or_b64 exec, exec, s[4:5]
	v_cmp_lt_u32_e32 vcc, s15, v20
	v_mov_b32_e32 v34, 0
	v_mov_b32_e32 v35, 0
	s_and_saveexec_b64 s[4:5], vcc
	s_cbranch_execz .LBB954_39
; %bb.34:                               ;   in Loop: Header=BB954_15 Depth=1
	v_lshrrev_b32_e32 v30, 24, v20
	v_cmp_ne_u32_e32 vcc, s13, v30
	v_mov_b32_e32 v35, 0xffff8000
	s_and_saveexec_b64 s[6:7], vcc
	s_cbranch_execz .LBB954_38
; %bb.35:                               ;   in Loop: Header=BB954_15 Depth=1
	v_bfe_u32 v20, v20, 24, 7
	v_cmp_ne_u32_e32 vcc, s14, v20
	v_mov_b32_e32 v35, 0x7f80
	s_and_saveexec_b64 s[10:11], vcc
	s_cbranch_execz .LBB954_37
; %bb.36:                               ;   in Loop: Header=BB954_15 Depth=1
	v_and_b32_e32 v32, 7, v30
	v_ffbh_u32_e32 v36, v32
	v_min_u32_e32 v38, 32, v36
	v_subrev_u32_e32 v36, 28, v38
	v_lshlrev_b64 v[36:37], v36, v[30:31]
	v_lshrrev_b32_e32 v35, 3, v20
	v_sub_u32_e32 v37, 29, v38
	v_and_b32_e32 v36, 7, v36
	v_cmp_gt_u32_e32 vcc, 8, v20
	v_cndmask_b32_e32 v20, v35, v37, vcc
	v_cndmask_b32_e32 v32, v32, v36, vcc
	v_lshlrev_b32_e32 v30, 24, v30
	v_lshlrev_b32_e32 v32, 20, v32
	v_and_b32_e32 v30, 0x80000000, v30
	v_lshl_add_u32 v20, v20, 23, v33
	v_or3_b32 v20, v30, v20, v32
	v_lshrrev_b32_e32 v35, 16, v20
.LBB954_37:                             ;   in Loop: Header=BB954_15 Depth=1
	s_or_b64 exec, exec, s[10:11]
.LBB954_38:                             ;   in Loop: Header=BB954_15 Depth=1
	s_or_b64 exec, exec, s[6:7]
.LBB954_39:                             ;   in Loop: Header=BB954_15 Depth=1
	s_or_b64 exec, exec, s[4:5]
	s_waitcnt vmcnt(2)
	v_cmp_ne_u16_sdwa s[6:7], v18, v31 src0_sel:BYTE_0 src1_sel:DWORD
	s_and_saveexec_b64 s[4:5], s[6:7]
	s_cbranch_execz .LBB954_45
; %bb.40:                               ;   in Loop: Header=BB954_15 Depth=1
	v_cmp_ne_u16_sdwa s[10:11], v18, s13 src0_sel:BYTE_0 src1_sel:DWORD
	v_mov_b32_e32 v34, 0xffff8000
	s_and_saveexec_b64 s[6:7], s[10:11]
	s_cbranch_execz .LBB954_44
; %bb.41:                               ;   in Loop: Header=BB954_15 Depth=1
	v_and_b32_e32 v20, 0x7f, v18
	v_cmp_ne_u32_e32 vcc, s14, v20
	v_mov_b32_e32 v34, 0x7f80
	s_and_saveexec_b64 s[10:11], vcc
	s_cbranch_execz .LBB954_43
; %bb.42:                               ;   in Loop: Header=BB954_15 Depth=1
	v_and_b32_e32 v30, 7, v18
	v_ffbh_u32_e32 v34, v30
	v_min_u32_e32 v34, 32, v34
	v_subrev_u32_e32 v36, 28, v34
	v_lshlrev_b64 v[36:37], v36, v[18:19]
	v_lshrrev_b32_e32 v32, 3, v20
	v_sub_u32_e32 v34, 29, v34
	v_and_b32_e32 v36, 7, v36
	v_cmp_gt_u32_e32 vcc, 8, v20
	v_cndmask_b32_e32 v20, v32, v34, vcc
	v_cndmask_b32_e32 v30, v30, v36, vcc
	v_lshlrev_b32_e32 v32, 24, v18
	v_lshlrev_b32_e32 v30, 20, v30
	v_and_b32_e32 v32, 0x80000000, v32
	v_lshl_add_u32 v20, v20, 23, v33
	v_or3_b32 v20, v32, v20, v30
	v_lshrrev_b32_e32 v34, 16, v20
.LBB954_43:                             ;   in Loop: Header=BB954_15 Depth=1
	s_or_b64 exec, exec, s[10:11]
.LBB954_44:                             ;   in Loop: Header=BB954_15 Depth=1
	s_or_b64 exec, exec, s[6:7]
.LBB954_45:                             ;   in Loop: Header=BB954_15 Depth=1
	s_or_b64 exec, exec, s[4:5]
	v_lshrrev_b16_e32 v20, 8, v18
	v_cmp_ne_u16_e32 vcc, 0, v20
	v_mov_b32_e32 v36, 0
	v_mov_b32_e32 v30, 0
	s_and_saveexec_b64 s[4:5], vcc
	s_cbranch_execz .LBB954_51
; %bb.46:                               ;   in Loop: Header=BB954_15 Depth=1
	v_cmp_ne_u16_e32 vcc, s13, v20
	v_mov_b32_e32 v30, 0xffff8000
	s_and_saveexec_b64 s[6:7], vcc
	s_cbranch_execz .LBB954_50
; %bb.47:                               ;   in Loop: Header=BB954_15 Depth=1
	v_and_b32_e32 v32, 0x7f, v20
	v_cmp_ne_u32_e32 vcc, s14, v32
	v_mov_b32_e32 v30, 0x7f80
	s_and_saveexec_b64 s[10:11], vcc
	s_cbranch_execz .LBB954_49
; %bb.48:                               ;   in Loop: Header=BB954_15 Depth=1
	v_and_b32_e32 v30, 7, v20
	v_ffbh_u32_e32 v38, v30
	v_min_u32_e32 v38, 32, v38
	v_subrev_u32_e32 v40, 28, v38
	v_lshlrev_b64 v[42:43], v40, v[20:21]
	v_lshrrev_b32_e32 v37, 3, v32
	v_sub_u32_e32 v20, 29, v38
	v_and_b32_e32 v38, 7, v42
	v_cmp_gt_u32_e32 vcc, 8, v32
	v_cndmask_b32_e32 v20, v37, v20, vcc
	v_cndmask_b32_e32 v30, v30, v38, vcc
	v_lshlrev_b32_e32 v32, 16, v18
	v_lshlrev_b32_e32 v30, 20, v30
	v_and_b32_e32 v32, 0x80000000, v32
	v_lshl_add_u32 v20, v20, 23, v33
	v_or3_b32 v20, v32, v20, v30
	v_lshrrev_b32_e32 v30, 16, v20
.LBB954_49:                             ;   in Loop: Header=BB954_15 Depth=1
	s_or_b64 exec, exec, s[10:11]
.LBB954_50:                             ;   in Loop: Header=BB954_15 Depth=1
	s_or_b64 exec, exec, s[6:7]
.LBB954_51:                             ;   in Loop: Header=BB954_15 Depth=1
	s_or_b64 exec, exec, s[4:5]
	v_lshrrev_b32_e32 v20, 16, v18
	v_cmp_ne_u16_sdwa s[6:7], v20, v31 src0_sel:BYTE_0 src1_sel:DWORD
	s_and_saveexec_b64 s[4:5], s[6:7]
	s_cbranch_execz .LBB954_57
; %bb.52:                               ;   in Loop: Header=BB954_15 Depth=1
	v_cmp_ne_u16_sdwa s[10:11], v20, s13 src0_sel:BYTE_0 src1_sel:DWORD
	v_mov_b32_e32 v36, 0xffff8000
	s_and_saveexec_b64 s[6:7], s[10:11]
	s_cbranch_execz .LBB954_56
; %bb.53:                               ;   in Loop: Header=BB954_15 Depth=1
	v_bfe_u32 v32, v18, 16, 7
	v_cmp_ne_u32_e32 vcc, s14, v32
	v_mov_b32_e32 v36, 0x7f80
	s_and_saveexec_b64 s[10:11], vcc
	s_cbranch_execz .LBB954_55
; %bb.54:                               ;   in Loop: Header=BB954_15 Depth=1
	v_and_b32_e32 v38, 7, v20
	v_ffbh_u32_e32 v36, v38
	v_min_u32_e32 v42, 32, v36
	v_subrev_u32_e32 v36, 28, v42
	v_lshlrev_b64 v[36:37], v36, v[20:21]
	v_lshrrev_b32_e32 v40, 3, v32
	v_sub_u32_e32 v37, 29, v42
	v_and_b32_e32 v36, 7, v36
	v_cmp_gt_u32_e32 vcc, 8, v32
	v_cndmask_b32_e32 v32, v40, v37, vcc
	v_cndmask_b32_e32 v36, v38, v36, vcc
	v_lshlrev_b32_e32 v20, 24, v20
	v_lshlrev_b32_e32 v36, 20, v36
	v_and_b32_e32 v20, 0x80000000, v20
	v_lshl_add_u32 v32, v32, 23, v33
	v_or3_b32 v20, v20, v32, v36
	v_lshrrev_b32_e32 v36, 16, v20
.LBB954_55:                             ;   in Loop: Header=BB954_15 Depth=1
	s_or_b64 exec, exec, s[10:11]
.LBB954_56:                             ;   in Loop: Header=BB954_15 Depth=1
	s_or_b64 exec, exec, s[6:7]
.LBB954_57:                             ;   in Loop: Header=BB954_15 Depth=1
	s_or_b64 exec, exec, s[4:5]
	v_cmp_lt_u32_e32 vcc, s15, v18
	v_mov_b32_e32 v32, 0
	v_mov_b32_e32 v37, 0
	s_and_saveexec_b64 s[4:5], vcc
	s_cbranch_execz .LBB954_63
; %bb.58:                               ;   in Loop: Header=BB954_15 Depth=1
	v_lshrrev_b32_e32 v20, 24, v18
	v_cmp_ne_u32_e32 vcc, s13, v20
	v_mov_b32_e32 v37, 0xffff8000
	s_and_saveexec_b64 s[6:7], vcc
	s_cbranch_execz .LBB954_62
; %bb.59:                               ;   in Loop: Header=BB954_15 Depth=1
	v_bfe_u32 v18, v18, 24, 7
	v_cmp_ne_u32_e32 vcc, s14, v18
	v_mov_b32_e32 v37, 0x7f80
	s_and_saveexec_b64 s[10:11], vcc
	s_cbranch_execz .LBB954_61
; %bb.60:                               ;   in Loop: Header=BB954_15 Depth=1
	v_and_b32_e32 v37, 7, v20
	v_ffbh_u32_e32 v40, v37
	v_min_u32_e32 v40, 32, v40
	v_subrev_u32_e32 v42, 28, v40
	v_lshlrev_b64 v[42:43], v42, v[20:21]
	v_lshrrev_b32_e32 v38, 3, v18
	v_sub_u32_e32 v40, 29, v40
	v_and_b32_e32 v42, 7, v42
	v_cmp_gt_u32_e32 vcc, 8, v18
	v_cndmask_b32_e32 v18, v38, v40, vcc
	v_cndmask_b32_e32 v37, v37, v42, vcc
	v_lshlrev_b32_e32 v20, 24, v20
	v_lshlrev_b32_e32 v37, 20, v37
	v_and_b32_e32 v20, 0x80000000, v20
	v_lshl_add_u32 v18, v18, 23, v33
	v_or3_b32 v18, v20, v18, v37
	v_lshrrev_b32_e32 v37, 16, v18
.LBB954_61:                             ;   in Loop: Header=BB954_15 Depth=1
	s_or_b64 exec, exec, s[10:11]
.LBB954_62:                             ;   in Loop: Header=BB954_15 Depth=1
	s_or_b64 exec, exec, s[6:7]
.LBB954_63:                             ;   in Loop: Header=BB954_15 Depth=1
	s_or_b64 exec, exec, s[4:5]
	v_perm_b32 v43, v35, v23, s16
	v_perm_b32 v42, v21, v19, s16
	;; [unrolled: 1-line block ×4, first 2 shown]
	s_waitcnt vmcnt(1)
	v_cmp_ne_u16_sdwa s[6:7], v28, v31 src0_sel:BYTE_0 src1_sel:DWORD
	v_mfma_f32_16x16x16bf16_1k v[18:21], v[42:43], v[2:3], 0
	v_mfma_f32_16x16x16bf16_1k v[18:21], v[34:35], v[4:5], v[18:21]
	s_and_saveexec_b64 s[4:5], s[6:7]
	s_cbranch_execz .LBB954_69
; %bb.64:                               ;   in Loop: Header=BB954_15 Depth=1
	v_cmp_ne_u16_sdwa s[10:11], v28, s13 src0_sel:BYTE_0 src1_sel:DWORD
	v_mov_b32_e32 v32, 0xffff8000
	s_and_saveexec_b64 s[6:7], s[10:11]
	s_cbranch_execz .LBB954_68
; %bb.65:                               ;   in Loop: Header=BB954_15 Depth=1
	v_and_b32_e32 v23, 0x7f, v28
	v_cmp_ne_u32_e32 vcc, s14, v23
	v_mov_b32_e32 v32, 0x7f80
	s_and_saveexec_b64 s[10:11], vcc
	s_cbranch_execz .LBB954_67
; %bb.66:                               ;   in Loop: Header=BB954_15 Depth=1
	v_and_b32_e32 v30, 7, v28
	v_ffbh_u32_e32 v34, v30
	v_min_u32_e32 v36, 32, v34
	v_subrev_u32_e32 v34, 28, v36
	v_lshlrev_b64 v[34:35], v34, v[28:29]
	v_lshrrev_b32_e32 v32, 3, v23
	v_sub_u32_e32 v35, 29, v36
	v_and_b32_e32 v34, 7, v34
	v_cmp_gt_u32_e32 vcc, 8, v23
	v_cndmask_b32_e32 v23, v32, v35, vcc
	v_cndmask_b32_e32 v30, v30, v34, vcc
	v_lshlrev_b32_e32 v32, 24, v28
	v_lshlrev_b32_e32 v30, 20, v30
	v_and_b32_e32 v32, 0x80000000, v32
	v_lshl_add_u32 v23, v23, 23, v33
	v_or3_b32 v23, v32, v23, v30
	v_lshrrev_b32_e32 v32, 16, v23
.LBB954_67:                             ;   in Loop: Header=BB954_15 Depth=1
	s_or_b64 exec, exec, s[10:11]
.LBB954_68:                             ;   in Loop: Header=BB954_15 Depth=1
	s_or_b64 exec, exec, s[6:7]
.LBB954_69:                             ;   in Loop: Header=BB954_15 Depth=1
	s_or_b64 exec, exec, s[4:5]
	v_lshrrev_b16_e32 v30, 8, v28
	v_cmp_ne_u16_e32 vcc, 0, v30
	v_mov_b32_e32 v35, 0
	v_mov_b32_e32 v34, 0
	s_and_saveexec_b64 s[4:5], vcc
	s_cbranch_execz .LBB954_75
; %bb.70:                               ;   in Loop: Header=BB954_15 Depth=1
	v_cmp_ne_u16_e32 vcc, s13, v30
	v_mov_b32_e32 v34, 0xffff8000
	s_and_saveexec_b64 s[6:7], vcc
	s_cbranch_execz .LBB954_74
; %bb.71:                               ;   in Loop: Header=BB954_15 Depth=1
	v_and_b32_e32 v23, 0x7f, v30
	v_cmp_ne_u32_e32 vcc, s14, v23
	v_mov_b32_e32 v34, 0x7f80
	s_and_saveexec_b64 s[10:11], vcc
	s_cbranch_execz .LBB954_73
; %bb.72:                               ;   in Loop: Header=BB954_15 Depth=1
	v_and_b32_e32 v34, 7, v30
	v_ffbh_u32_e32 v36, v34
	v_min_u32_e32 v40, 32, v36
	v_subrev_u32_e32 v36, 28, v40
	v_lshlrev_b64 v[36:37], v36, v[30:31]
	v_lshrrev_b32_e32 v38, 3, v23
	v_sub_u32_e32 v30, 29, v40
	v_and_b32_e32 v36, 7, v36
	v_cmp_gt_u32_e32 vcc, 8, v23
	v_cndmask_b32_e32 v23, v38, v30, vcc
	v_cndmask_b32_e32 v30, v34, v36, vcc
	v_lshlrev_b32_e32 v34, 16, v28
	v_lshlrev_b32_e32 v30, 20, v30
	v_and_b32_e32 v34, 0x80000000, v34
	v_lshl_add_u32 v23, v23, 23, v33
	v_or3_b32 v23, v34, v23, v30
	v_lshrrev_b32_e32 v34, 16, v23
.LBB954_73:                             ;   in Loop: Header=BB954_15 Depth=1
	s_or_b64 exec, exec, s[10:11]
.LBB954_74:                             ;   in Loop: Header=BB954_15 Depth=1
	s_or_b64 exec, exec, s[6:7]
.LBB954_75:                             ;   in Loop: Header=BB954_15 Depth=1
	s_or_b64 exec, exec, s[4:5]
	v_lshrrev_b32_e32 v30, 16, v28
	v_cmp_ne_u16_sdwa s[6:7], v30, v31 src0_sel:BYTE_0 src1_sel:DWORD
	s_and_saveexec_b64 s[4:5], s[6:7]
	s_cbranch_execz .LBB954_81
; %bb.76:                               ;   in Loop: Header=BB954_15 Depth=1
	v_cmp_ne_u16_sdwa s[10:11], v30, s13 src0_sel:BYTE_0 src1_sel:DWORD
	v_mov_b32_e32 v35, 0xffff8000
	s_and_saveexec_b64 s[6:7], s[10:11]
	s_cbranch_execz .LBB954_80
; %bb.77:                               ;   in Loop: Header=BB954_15 Depth=1
	v_bfe_u32 v23, v28, 16, 7
	v_cmp_ne_u32_e32 vcc, s14, v23
	v_mov_b32_e32 v35, 0x7f80
	s_and_saveexec_b64 s[10:11], vcc
	s_cbranch_execz .LBB954_79
; %bb.78:                               ;   in Loop: Header=BB954_15 Depth=1
	v_and_b32_e32 v35, 7, v30
	v_ffbh_u32_e32 v36, v35
	v_min_u32_e32 v40, 32, v36
	v_subrev_u32_e32 v36, 28, v40
	v_lshlrev_b64 v[36:37], v36, v[30:31]
	v_lshrrev_b32_e32 v38, 3, v23
	v_sub_u32_e32 v37, 29, v40
	v_and_b32_e32 v36, 7, v36
	v_cmp_gt_u32_e32 vcc, 8, v23
	v_cndmask_b32_e32 v23, v38, v37, vcc
	v_cndmask_b32_e32 v35, v35, v36, vcc
	v_lshlrev_b32_e32 v30, 24, v30
	v_lshlrev_b32_e32 v35, 20, v35
	v_and_b32_e32 v30, 0x80000000, v30
	v_lshl_add_u32 v23, v23, 23, v33
	v_or3_b32 v23, v30, v23, v35
	v_lshrrev_b32_e32 v35, 16, v23
.LBB954_79:                             ;   in Loop: Header=BB954_15 Depth=1
	s_or_b64 exec, exec, s[10:11]
.LBB954_80:                             ;   in Loop: Header=BB954_15 Depth=1
	s_or_b64 exec, exec, s[6:7]
.LBB954_81:                             ;   in Loop: Header=BB954_15 Depth=1
	s_or_b64 exec, exec, s[4:5]
	v_cmp_lt_u32_e32 vcc, s15, v28
	v_mov_b32_e32 v36, 0
	v_mov_b32_e32 v37, 0
	s_and_saveexec_b64 s[4:5], vcc
	s_cbranch_execz .LBB954_87
; %bb.82:                               ;   in Loop: Header=BB954_15 Depth=1
	v_lshrrev_b32_e32 v30, 24, v28
	v_cmp_ne_u32_e32 vcc, s13, v30
	v_mov_b32_e32 v37, 0xffff8000
	s_and_saveexec_b64 s[6:7], vcc
	s_cbranch_execz .LBB954_86
; %bb.83:                               ;   in Loop: Header=BB954_15 Depth=1
	v_bfe_u32 v23, v28, 24, 7
	v_cmp_ne_u32_e32 vcc, s14, v23
	v_mov_b32_e32 v37, 0x7f80
	s_and_saveexec_b64 s[10:11], vcc
	s_cbranch_execz .LBB954_85
; %bb.84:                               ;   in Loop: Header=BB954_15 Depth=1
	v_and_b32_e32 v28, 7, v30
	v_ffbh_u32_e32 v38, v28
	v_min_u32_e32 v38, 32, v38
	v_subrev_u32_e32 v40, 28, v38
	v_lshlrev_b64 v[42:43], v40, v[30:31]
	v_lshrrev_b32_e32 v37, 3, v23
	v_sub_u32_e32 v38, 29, v38
	v_and_b32_e32 v40, 7, v42
	v_cmp_gt_u32_e32 vcc, 8, v23
	v_cndmask_b32_e32 v23, v37, v38, vcc
	v_cndmask_b32_e32 v28, v28, v40, vcc
	v_lshlrev_b32_e32 v30, 24, v30
	v_lshlrev_b32_e32 v28, 20, v28
	v_and_b32_e32 v30, 0x80000000, v30
	v_lshl_add_u32 v23, v23, 23, v33
	v_or3_b32 v23, v30, v23, v28
	v_lshrrev_b32_e32 v37, 16, v23
.LBB954_85:                             ;   in Loop: Header=BB954_15 Depth=1
	s_or_b64 exec, exec, s[10:11]
.LBB954_86:                             ;   in Loop: Header=BB954_15 Depth=1
	s_or_b64 exec, exec, s[6:7]
.LBB954_87:                             ;   in Loop: Header=BB954_15 Depth=1
	s_or_b64 exec, exec, s[4:5]
	s_waitcnt vmcnt(0)
	v_cmp_ne_u16_sdwa s[6:7], v26, v31 src0_sel:BYTE_0 src1_sel:DWORD
	s_and_saveexec_b64 s[4:5], s[6:7]
	s_cbranch_execz .LBB954_93
; %bb.88:                               ;   in Loop: Header=BB954_15 Depth=1
	v_cmp_ne_u16_sdwa s[10:11], v26, s13 src0_sel:BYTE_0 src1_sel:DWORD
	v_mov_b32_e32 v36, 0xffff8000
	s_and_saveexec_b64 s[6:7], s[10:11]
	s_cbranch_execz .LBB954_92
; %bb.89:                               ;   in Loop: Header=BB954_15 Depth=1
	v_and_b32_e32 v23, 0x7f, v26
	v_cmp_ne_u32_e32 vcc, s14, v23
	v_mov_b32_e32 v36, 0x7f80
	s_and_saveexec_b64 s[10:11], vcc
	s_cbranch_execz .LBB954_91
; %bb.90:                               ;   in Loop: Header=BB954_15 Depth=1
	v_and_b32_e32 v28, 7, v26
	v_ffbh_u32_e32 v36, v28
	v_min_u32_e32 v36, 32, v36
	v_subrev_u32_e32 v38, 28, v36
	v_lshlrev_b64 v[42:43], v38, v[26:27]
	v_lshrrev_b32_e32 v30, 3, v23
	v_sub_u32_e32 v36, 29, v36
	v_and_b32_e32 v38, 7, v42
	v_cmp_gt_u32_e32 vcc, 8, v23
	v_cndmask_b32_e32 v23, v30, v36, vcc
	v_cndmask_b32_e32 v28, v28, v38, vcc
	v_lshlrev_b32_e32 v30, 24, v26
	v_lshlrev_b32_e32 v28, 20, v28
	v_and_b32_e32 v30, 0x80000000, v30
	v_lshl_add_u32 v23, v23, 23, v33
	v_or3_b32 v23, v30, v23, v28
	v_lshrrev_b32_e32 v36, 16, v23
.LBB954_91:                             ;   in Loop: Header=BB954_15 Depth=1
	s_or_b64 exec, exec, s[10:11]
.LBB954_92:                             ;   in Loop: Header=BB954_15 Depth=1
	s_or_b64 exec, exec, s[6:7]
.LBB954_93:                             ;   in Loop: Header=BB954_15 Depth=1
	s_or_b64 exec, exec, s[4:5]
	v_lshrrev_b16_e32 v28, 8, v26
	v_cmp_ne_u16_e32 vcc, 0, v28
	v_mov_b32_e32 v40, 0
	v_mov_b32_e32 v38, 0
	s_and_saveexec_b64 s[4:5], vcc
	s_cbranch_execz .LBB954_99
; %bb.94:                               ;   in Loop: Header=BB954_15 Depth=1
	v_cmp_ne_u16_e32 vcc, s13, v28
	v_mov_b32_e32 v38, 0xffff8000
	s_and_saveexec_b64 s[6:7], vcc
	s_cbranch_execz .LBB954_98
; %bb.95:                               ;   in Loop: Header=BB954_15 Depth=1
	v_and_b32_e32 v23, 0x7f, v28
	v_cmp_ne_u32_e32 vcc, s14, v23
	v_mov_b32_e32 v38, 0x7f80
	s_and_saveexec_b64 s[10:11], vcc
	s_cbranch_execz .LBB954_97
; %bb.96:                               ;   in Loop: Header=BB954_15 Depth=1
	v_and_b32_e32 v30, 7, v28
	v_ffbh_u32_e32 v42, v30
	v_min_u32_e32 v44, 32, v42
	v_subrev_u32_e32 v42, 28, v44
	v_lshlrev_b64 v[42:43], v42, v[28:29]
	v_lshrrev_b32_e32 v38, 3, v23
	v_sub_u32_e32 v28, 29, v44
	v_and_b32_e32 v42, 7, v42
	v_cmp_gt_u32_e32 vcc, 8, v23
	v_cndmask_b32_e32 v23, v38, v28, vcc
	v_cndmask_b32_e32 v28, v30, v42, vcc
	v_lshlrev_b32_e32 v30, 16, v26
	v_lshlrev_b32_e32 v28, 20, v28
	v_and_b32_e32 v30, 0x80000000, v30
	v_lshl_add_u32 v23, v23, 23, v33
	v_or3_b32 v23, v30, v23, v28
	v_lshrrev_b32_e32 v38, 16, v23
.LBB954_97:                             ;   in Loop: Header=BB954_15 Depth=1
	s_or_b64 exec, exec, s[10:11]
.LBB954_98:                             ;   in Loop: Header=BB954_15 Depth=1
	s_or_b64 exec, exec, s[6:7]
.LBB954_99:                             ;   in Loop: Header=BB954_15 Depth=1
	s_or_b64 exec, exec, s[4:5]
	v_lshrrev_b32_e32 v28, 16, v26
	v_cmp_ne_u16_sdwa s[6:7], v28, v31 src0_sel:BYTE_0 src1_sel:DWORD
	s_and_saveexec_b64 s[4:5], s[6:7]
	s_cbranch_execz .LBB954_105
; %bb.100:                              ;   in Loop: Header=BB954_15 Depth=1
	v_cmp_ne_u16_sdwa s[10:11], v28, s13 src0_sel:BYTE_0 src1_sel:DWORD
	v_mov_b32_e32 v40, 0xffff8000
	s_and_saveexec_b64 s[6:7], s[10:11]
	s_cbranch_execz .LBB954_104
; %bb.101:                              ;   in Loop: Header=BB954_15 Depth=1
	v_bfe_u32 v23, v26, 16, 7
	v_cmp_ne_u32_e32 vcc, s14, v23
	v_mov_b32_e32 v40, 0x7f80
	s_and_saveexec_b64 s[10:11], vcc
	s_cbranch_execz .LBB954_103
; %bb.102:                              ;   in Loop: Header=BB954_15 Depth=1
	v_and_b32_e32 v30, 7, v28
	v_ffbh_u32_e32 v42, v30
	v_min_u32_e32 v44, 32, v42
	v_subrev_u32_e32 v42, 28, v44
	v_lshlrev_b64 v[42:43], v42, v[28:29]
	v_lshrrev_b32_e32 v40, 3, v23
	v_sub_u32_e32 v43, 29, v44
	v_and_b32_e32 v42, 7, v42
	v_cmp_gt_u32_e32 vcc, 8, v23
	v_cndmask_b32_e32 v23, v40, v43, vcc
	v_cndmask_b32_e32 v30, v30, v42, vcc
	v_lshlrev_b32_e32 v28, 24, v28
	v_lshlrev_b32_e32 v30, 20, v30
	v_and_b32_e32 v28, 0x80000000, v28
	v_lshl_add_u32 v23, v23, 23, v33
	v_or3_b32 v23, v28, v23, v30
	v_lshrrev_b32_e32 v40, 16, v23
.LBB954_103:                            ;   in Loop: Header=BB954_15 Depth=1
	s_or_b64 exec, exec, s[10:11]
.LBB954_104:                            ;   in Loop: Header=BB954_15 Depth=1
	s_or_b64 exec, exec, s[6:7]
.LBB954_105:                            ;   in Loop: Header=BB954_15 Depth=1
	s_or_b64 exec, exec, s[4:5]
	v_cmp_lt_u32_e32 vcc, s15, v26
	v_mov_b32_e32 v23, 0
	v_mov_b32_e32 v42, 0
	s_and_saveexec_b64 s[4:5], vcc
	s_cbranch_execz .LBB954_111
; %bb.106:                              ;   in Loop: Header=BB954_15 Depth=1
	v_lshrrev_b32_e32 v28, 24, v26
	v_cmp_ne_u32_e32 vcc, s13, v28
	v_mov_b32_e32 v42, 0xffff8000
	s_and_saveexec_b64 s[6:7], vcc
	s_cbranch_execz .LBB954_110
; %bb.107:                              ;   in Loop: Header=BB954_15 Depth=1
	v_bfe_u32 v26, v26, 24, 7
	v_cmp_ne_u32_e32 vcc, s14, v26
	v_mov_b32_e32 v42, 0x7f80
	s_and_saveexec_b64 s[10:11], vcc
	s_cbranch_execz .LBB954_109
; %bb.108:                              ;   in Loop: Header=BB954_15 Depth=1
	v_and_b32_e32 v30, 7, v28
	v_ffbh_u32_e32 v42, v30
	v_min_u32_e32 v45, 32, v42
	v_subrev_u32_e32 v42, 28, v45
	v_lshlrev_b64 v[42:43], v42, v[28:29]
	v_lshrrev_b32_e32 v44, 3, v26
	v_sub_u32_e32 v43, 29, v45
	v_and_b32_e32 v42, 7, v42
	v_cmp_gt_u32_e32 vcc, 8, v26
	v_cndmask_b32_e32 v26, v44, v43, vcc
	v_cndmask_b32_e32 v30, v30, v42, vcc
	v_lshlrev_b32_e32 v28, 24, v28
	v_lshlrev_b32_e32 v30, 20, v30
	v_and_b32_e32 v28, 0x80000000, v28
	v_lshl_add_u32 v26, v26, 23, v33
	v_or3_b32 v26, v28, v26, v30
	v_lshrrev_b32_e32 v42, 16, v26
.LBB954_109:                            ;   in Loop: Header=BB954_15 Depth=1
	s_or_b64 exec, exec, s[10:11]
.LBB954_110:                            ;   in Loop: Header=BB954_15 Depth=1
	s_or_b64 exec, exec, s[6:7]
.LBB954_111:                            ;   in Loop: Header=BB954_15 Depth=1
	s_or_b64 exec, exec, s[4:5]
	v_perm_b32 v34, v34, v32, s16
	buffer_load_dword v32, v27, s[0:3], 0 offen offset:16
	buffer_load_dword v30, v27, s[0:3], 0 offen offset:20
	;; [unrolled: 1-line block ×4, first 2 shown]
	v_perm_b32 v35, v37, v35, s16
	s_waitcnt vmcnt(3)
	v_cmp_ne_u16_sdwa s[6:7], v32, v31 src0_sel:BYTE_0 src1_sel:DWORD
	v_mfma_f32_16x16x16bf16_1k v[18:21], v[34:35], v[6:7], v[18:21]
	v_perm_b32 v35, v42, v40, s16
	v_perm_b32 v34, v38, v36, s16
	s_nop 1
	v_mfma_f32_16x16x16bf16_1k v[18:21], v[34:35], v[8:9], v[18:21]
	s_and_saveexec_b64 s[4:5], s[6:7]
	s_cbranch_execz .LBB954_117
; %bb.112:                              ;   in Loop: Header=BB954_15 Depth=1
	v_cmp_ne_u16_sdwa s[10:11], v32, s13 src0_sel:BYTE_0 src1_sel:DWORD
	v_mov_b32_e32 v23, 0xffff8000
	s_and_saveexec_b64 s[6:7], s[10:11]
	s_cbranch_execz .LBB954_116
; %bb.113:                              ;   in Loop: Header=BB954_15 Depth=1
	v_and_b32_e32 v34, 0x7f, v32
	v_cmp_ne_u32_e32 vcc, s14, v34
	v_mov_b32_e32 v23, 0x7f80
	s_and_saveexec_b64 s[10:11], vcc
	s_cbranch_execz .LBB954_115
; %bb.114:                              ;   in Loop: Header=BB954_15 Depth=1
	v_and_b32_e32 v23, 7, v32
	v_ffbh_u32_e32 v36, v23
	v_min_u32_e32 v38, 32, v36
	v_subrev_u32_e32 v36, 28, v38
	v_lshlrev_b64 v[36:37], v36, v[32:33]
	v_lshrrev_b32_e32 v35, 3, v34
	v_sub_u32_e32 v37, 29, v38
	v_and_b32_e32 v36, 7, v36
	v_cmp_gt_u32_e32 vcc, 8, v34
	v_cndmask_b32_e32 v34, v35, v37, vcc
	v_cndmask_b32_e32 v23, v23, v36, vcc
	v_lshlrev_b32_e32 v35, 24, v32
	v_lshlrev_b32_e32 v23, 20, v23
	v_and_b32_e32 v35, 0x80000000, v35
	v_lshl_add_u32 v34, v34, 23, v33
	v_or3_b32 v23, v35, v34, v23
	v_lshrrev_b32_e32 v23, 16, v23
.LBB954_115:                            ;   in Loop: Header=BB954_15 Depth=1
	s_or_b64 exec, exec, s[10:11]
.LBB954_116:                            ;   in Loop: Header=BB954_15 Depth=1
	s_or_b64 exec, exec, s[6:7]
.LBB954_117:                            ;   in Loop: Header=BB954_15 Depth=1
	s_or_b64 exec, exec, s[4:5]
	v_lshrrev_b16_e32 v34, 8, v32
	v_cmp_ne_u16_e32 vcc, 0, v34
	v_mov_b32_e32 v36, 0
	v_mov_b32_e32 v35, 0
	s_and_saveexec_b64 s[4:5], vcc
	s_cbranch_execz .LBB954_123
; %bb.118:                              ;   in Loop: Header=BB954_15 Depth=1
	v_cmp_ne_u16_e32 vcc, s13, v34
	v_mov_b32_e32 v35, 0xffff8000
	s_and_saveexec_b64 s[6:7], vcc
	s_cbranch_execz .LBB954_122
; %bb.119:                              ;   in Loop: Header=BB954_15 Depth=1
	v_and_b32_e32 v37, 0x7f, v34
	v_cmp_ne_u32_e32 vcc, s14, v37
	v_mov_b32_e32 v35, 0x7f80
	s_and_saveexec_b64 s[10:11], vcc
	s_cbranch_execz .LBB954_121
; %bb.120:                              ;   in Loop: Header=BB954_15 Depth=1
	v_and_b32_e32 v38, 7, v34
	v_ffbh_u32_e32 v35, v38
	v_min_u32_e32 v42, 32, v35
	v_subrev_u32_e32 v35, 28, v42
	v_lshlrev_b64 v[34:35], v35, v[34:35]
	v_lshrrev_b32_e32 v40, 3, v37
	v_sub_u32_e32 v35, 29, v42
	v_and_b32_e32 v34, 7, v34
	v_cmp_gt_u32_e32 vcc, 8, v37
	v_cndmask_b32_e32 v35, v40, v35, vcc
	v_cndmask_b32_e32 v34, v38, v34, vcc
	v_lshlrev_b32_e32 v37, 16, v32
	v_lshlrev_b32_e32 v34, 20, v34
	v_and_b32_e32 v37, 0x80000000, v37
	v_lshl_add_u32 v35, v35, 23, v33
	v_or3_b32 v34, v37, v35, v34
	v_lshrrev_b32_e32 v35, 16, v34
.LBB954_121:                            ;   in Loop: Header=BB954_15 Depth=1
	s_or_b64 exec, exec, s[10:11]
.LBB954_122:                            ;   in Loop: Header=BB954_15 Depth=1
	s_or_b64 exec, exec, s[6:7]
.LBB954_123:                            ;   in Loop: Header=BB954_15 Depth=1
	s_or_b64 exec, exec, s[4:5]
	v_lshrrev_b32_e32 v34, 16, v32
	v_cmp_ne_u16_sdwa s[6:7], v34, v31 src0_sel:BYTE_0 src1_sel:DWORD
	s_and_saveexec_b64 s[4:5], s[6:7]
	s_cbranch_execz .LBB954_129
; %bb.124:                              ;   in Loop: Header=BB954_15 Depth=1
	v_cmp_ne_u16_sdwa s[10:11], v34, s13 src0_sel:BYTE_0 src1_sel:DWORD
	v_mov_b32_e32 v36, 0xffff8000
	s_and_saveexec_b64 s[6:7], s[10:11]
	s_cbranch_execz .LBB954_128
; %bb.125:                              ;   in Loop: Header=BB954_15 Depth=1
	v_bfe_u32 v37, v32, 16, 7
	v_cmp_ne_u32_e32 vcc, s14, v37
	v_mov_b32_e32 v36, 0x7f80
	s_and_saveexec_b64 s[10:11], vcc
	s_cbranch_execz .LBB954_127
; %bb.126:                              ;   in Loop: Header=BB954_15 Depth=1
	v_and_b32_e32 v36, 7, v34
	v_ffbh_u32_e32 v40, v36
	v_min_u32_e32 v40, 32, v40
	v_subrev_u32_e32 v42, 28, v40
	v_lshlrev_b64 v[42:43], v42, v[34:35]
	v_lshrrev_b32_e32 v38, 3, v37
	v_sub_u32_e32 v40, 29, v40
	v_and_b32_e32 v42, 7, v42
	v_cmp_gt_u32_e32 vcc, 8, v37
	v_cndmask_b32_e32 v37, v38, v40, vcc
	v_cndmask_b32_e32 v36, v36, v42, vcc
	v_lshlrev_b32_e32 v34, 24, v34
	v_lshlrev_b32_e32 v36, 20, v36
	v_and_b32_e32 v34, 0x80000000, v34
	v_lshl_add_u32 v37, v37, 23, v33
	v_or3_b32 v34, v34, v37, v36
	v_lshrrev_b32_e32 v36, 16, v34
.LBB954_127:                            ;   in Loop: Header=BB954_15 Depth=1
	s_or_b64 exec, exec, s[10:11]
.LBB954_128:                            ;   in Loop: Header=BB954_15 Depth=1
	s_or_b64 exec, exec, s[6:7]
.LBB954_129:                            ;   in Loop: Header=BB954_15 Depth=1
	s_or_b64 exec, exec, s[4:5]
	v_cmp_lt_u32_e32 vcc, s15, v32
	v_mov_b32_e32 v37, 0
	v_mov_b32_e32 v38, 0
	s_and_saveexec_b64 s[4:5], vcc
	s_cbranch_execz .LBB954_135
; %bb.130:                              ;   in Loop: Header=BB954_15 Depth=1
	v_lshrrev_b32_e32 v34, 24, v32
	v_cmp_ne_u32_e32 vcc, s13, v34
	v_mov_b32_e32 v38, 0xffff8000
	s_and_saveexec_b64 s[6:7], vcc
	s_cbranch_execz .LBB954_134
; %bb.131:                              ;   in Loop: Header=BB954_15 Depth=1
	v_bfe_u32 v32, v32, 24, 7
	v_cmp_ne_u32_e32 vcc, s14, v32
	v_mov_b32_e32 v38, 0x7f80
	s_and_saveexec_b64 s[10:11], vcc
	s_cbranch_execz .LBB954_133
; %bb.132:                              ;   in Loop: Header=BB954_15 Depth=1
	v_and_b32_e32 v38, 7, v34
	v_ffbh_u32_e32 v42, v38
	v_min_u32_e32 v44, 32, v42
	v_subrev_u32_e32 v42, 28, v44
	v_lshlrev_b64 v[42:43], v42, v[34:35]
	v_lshrrev_b32_e32 v40, 3, v32
	v_sub_u32_e32 v43, 29, v44
	v_and_b32_e32 v42, 7, v42
	v_cmp_gt_u32_e32 vcc, 8, v32
	v_cndmask_b32_e32 v32, v40, v43, vcc
	v_cndmask_b32_e32 v38, v38, v42, vcc
	v_lshlrev_b32_e32 v34, 24, v34
	v_lshlrev_b32_e32 v38, 20, v38
	v_and_b32_e32 v34, 0x80000000, v34
	v_lshl_add_u32 v32, v32, 23, v33
	v_or3_b32 v32, v34, v32, v38
	v_lshrrev_b32_e32 v38, 16, v32
.LBB954_133:                            ;   in Loop: Header=BB954_15 Depth=1
	s_or_b64 exec, exec, s[10:11]
.LBB954_134:                            ;   in Loop: Header=BB954_15 Depth=1
	s_or_b64 exec, exec, s[6:7]
.LBB954_135:                            ;   in Loop: Header=BB954_15 Depth=1
	s_or_b64 exec, exec, s[4:5]
	s_waitcnt vmcnt(2)
	v_cmp_ne_u16_sdwa s[6:7], v30, v31 src0_sel:BYTE_0 src1_sel:DWORD
	s_and_saveexec_b64 s[4:5], s[6:7]
	s_cbranch_execz .LBB954_141
; %bb.136:                              ;   in Loop: Header=BB954_15 Depth=1
	v_cmp_ne_u16_sdwa s[10:11], v30, s13 src0_sel:BYTE_0 src1_sel:DWORD
	v_mov_b32_e32 v37, 0xffff8000
	s_and_saveexec_b64 s[6:7], s[10:11]
	s_cbranch_execz .LBB954_140
; %bb.137:                              ;   in Loop: Header=BB954_15 Depth=1
	v_and_b32_e32 v32, 0x7f, v30
	v_cmp_ne_u32_e32 vcc, s14, v32
	v_mov_b32_e32 v37, 0x7f80
	s_and_saveexec_b64 s[10:11], vcc
	s_cbranch_execz .LBB954_139
; %bb.138:                              ;   in Loop: Header=BB954_15 Depth=1
	v_and_b32_e32 v34, 7, v30
	v_ffbh_u32_e32 v40, v34
	v_min_u32_e32 v40, 32, v40
	v_subrev_u32_e32 v42, 28, v40
	v_lshlrev_b64 v[42:43], v42, v[30:31]
	v_lshrrev_b32_e32 v37, 3, v32
	v_sub_u32_e32 v40, 29, v40
	v_and_b32_e32 v42, 7, v42
	v_cmp_gt_u32_e32 vcc, 8, v32
	v_cndmask_b32_e32 v32, v37, v40, vcc
	v_cndmask_b32_e32 v34, v34, v42, vcc
	v_lshlrev_b32_e32 v37, 24, v30
	v_lshlrev_b32_e32 v34, 20, v34
	v_and_b32_e32 v37, 0x80000000, v37
	v_lshl_add_u32 v32, v32, 23, v33
	v_or3_b32 v32, v37, v32, v34
	v_lshrrev_b32_e32 v37, 16, v32
.LBB954_139:                            ;   in Loop: Header=BB954_15 Depth=1
	s_or_b64 exec, exec, s[10:11]
.LBB954_140:                            ;   in Loop: Header=BB954_15 Depth=1
	s_or_b64 exec, exec, s[6:7]
.LBB954_141:                            ;   in Loop: Header=BB954_15 Depth=1
	s_or_b64 exec, exec, s[4:5]
	v_lshrrev_b16_e32 v32, 8, v30
	v_cmp_ne_u16_e32 vcc, 0, v32
	v_mov_b32_e32 v42, 0
	v_mov_b32_e32 v40, 0
	s_and_saveexec_b64 s[4:5], vcc
	s_cbranch_execz .LBB954_147
; %bb.142:                              ;   in Loop: Header=BB954_15 Depth=1
	v_cmp_ne_u16_e32 vcc, s13, v32
	v_mov_b32_e32 v40, 0xffff8000
	s_and_saveexec_b64 s[6:7], vcc
	s_cbranch_execz .LBB954_146
; %bb.143:                              ;   in Loop: Header=BB954_15 Depth=1
	v_and_b32_e32 v34, 0x7f, v32
	v_cmp_ne_u32_e32 vcc, s14, v34
	v_mov_b32_e32 v40, 0x7f80
	s_and_saveexec_b64 s[10:11], vcc
	s_cbranch_execz .LBB954_145
; %bb.144:                              ;   in Loop: Header=BB954_15 Depth=1
	v_and_b32_e32 v40, 7, v32
	v_ffbh_u32_e32 v44, v40
	v_min_u32_e32 v46, 32, v44
	v_subrev_u32_e32 v44, 28, v46
	v_lshlrev_b64 v[44:45], v44, v[32:33]
	v_lshrrev_b32_e32 v43, 3, v34
	v_sub_u32_e32 v32, 29, v46
	v_and_b32_e32 v44, 7, v44
	v_cmp_gt_u32_e32 vcc, 8, v34
	v_cndmask_b32_e32 v32, v43, v32, vcc
	v_cndmask_b32_e32 v34, v40, v44, vcc
	v_lshlrev_b32_e32 v40, 16, v30
	v_lshlrev_b32_e32 v34, 20, v34
	v_and_b32_e32 v40, 0x80000000, v40
	v_lshl_add_u32 v32, v32, 23, v33
	v_or3_b32 v32, v40, v32, v34
	v_lshrrev_b32_e32 v40, 16, v32
.LBB954_145:                            ;   in Loop: Header=BB954_15 Depth=1
	s_or_b64 exec, exec, s[10:11]
.LBB954_146:                            ;   in Loop: Header=BB954_15 Depth=1
	s_or_b64 exec, exec, s[6:7]
.LBB954_147:                            ;   in Loop: Header=BB954_15 Depth=1
	s_or_b64 exec, exec, s[4:5]
	v_lshrrev_b32_e32 v32, 16, v30
	v_cmp_ne_u16_sdwa s[6:7], v32, v31 src0_sel:BYTE_0 src1_sel:DWORD
	s_and_saveexec_b64 s[4:5], s[6:7]
	s_cbranch_execz .LBB954_153
; %bb.148:                              ;   in Loop: Header=BB954_15 Depth=1
	v_cmp_ne_u16_sdwa s[10:11], v32, s13 src0_sel:BYTE_0 src1_sel:DWORD
	v_mov_b32_e32 v42, 0xffff8000
	s_and_saveexec_b64 s[6:7], s[10:11]
	s_cbranch_execz .LBB954_152
; %bb.149:                              ;   in Loop: Header=BB954_15 Depth=1
	v_bfe_u32 v34, v30, 16, 7
	v_cmp_ne_u32_e32 vcc, s14, v34
	v_mov_b32_e32 v42, 0x7f80
	s_and_saveexec_b64 s[10:11], vcc
	s_cbranch_execz .LBB954_151
; %bb.150:                              ;   in Loop: Header=BB954_15 Depth=1
	v_and_b32_e32 v44, 7, v32
	v_ffbh_u32_e32 v42, v44
	v_min_u32_e32 v46, 32, v42
	v_subrev_u32_e32 v42, 28, v46
	v_lshlrev_b64 v[42:43], v42, v[32:33]
	v_lshrrev_b32_e32 v45, 3, v34
	v_sub_u32_e32 v43, 29, v46
	v_and_b32_e32 v42, 7, v42
	v_cmp_gt_u32_e32 vcc, 8, v34
	v_cndmask_b32_e32 v34, v45, v43, vcc
	v_cndmask_b32_e32 v42, v44, v42, vcc
	v_lshlrev_b32_e32 v32, 24, v32
	v_lshlrev_b32_e32 v42, 20, v42
	v_and_b32_e32 v32, 0x80000000, v32
	v_lshl_add_u32 v34, v34, 23, v33
	v_or3_b32 v32, v32, v34, v42
	v_lshrrev_b32_e32 v42, 16, v32
.LBB954_151:                            ;   in Loop: Header=BB954_15 Depth=1
	s_or_b64 exec, exec, s[10:11]
.LBB954_152:                            ;   in Loop: Header=BB954_15 Depth=1
	s_or_b64 exec, exec, s[6:7]
.LBB954_153:                            ;   in Loop: Header=BB954_15 Depth=1
	s_or_b64 exec, exec, s[4:5]
	v_cmp_lt_u32_e32 vcc, s15, v30
	v_mov_b32_e32 v34, 0
	v_mov_b32_e32 v43, 0
	s_and_saveexec_b64 s[4:5], vcc
	s_cbranch_execz .LBB954_159
; %bb.154:                              ;   in Loop: Header=BB954_15 Depth=1
	v_lshrrev_b32_e32 v32, 24, v30
	v_cmp_ne_u32_e32 vcc, s13, v32
	v_mov_b32_e32 v43, 0xffff8000
	s_and_saveexec_b64 s[6:7], vcc
	s_cbranch_execz .LBB954_158
; %bb.155:                              ;   in Loop: Header=BB954_15 Depth=1
	v_bfe_u32 v30, v30, 24, 7
	v_cmp_ne_u32_e32 vcc, s14, v30
	v_mov_b32_e32 v43, 0x7f80
	s_and_saveexec_b64 s[10:11], vcc
	s_cbranch_execz .LBB954_157
; %bb.156:                              ;   in Loop: Header=BB954_15 Depth=1
	v_and_b32_e32 v43, 7, v32
	v_ffbh_u32_e32 v44, v43
	v_min_u32_e32 v47, 32, v44
	v_subrev_u32_e32 v44, 28, v47
	v_lshlrev_b64 v[44:45], v44, v[32:33]
	v_lshrrev_b32_e32 v46, 3, v30
	v_sub_u32_e32 v45, 29, v47
	v_and_b32_e32 v44, 7, v44
	v_cmp_gt_u32_e32 vcc, 8, v30
	v_cndmask_b32_e32 v30, v46, v45, vcc
	v_cndmask_b32_e32 v43, v43, v44, vcc
	v_lshlrev_b32_e32 v32, 24, v32
	v_lshlrev_b32_e32 v43, 20, v43
	v_and_b32_e32 v32, 0x80000000, v32
	v_lshl_add_u32 v30, v30, 23, v33
	v_or3_b32 v30, v32, v30, v43
	v_lshrrev_b32_e32 v43, 16, v30
.LBB954_157:                            ;   in Loop: Header=BB954_15 Depth=1
	s_or_b64 exec, exec, s[10:11]
.LBB954_158:                            ;   in Loop: Header=BB954_15 Depth=1
	s_or_b64 exec, exec, s[6:7]
.LBB954_159:                            ;   in Loop: Header=BB954_15 Depth=1
	s_or_b64 exec, exec, s[4:5]
	v_perm_b32 v45, v38, v36, s16
	v_perm_b32 v44, v35, v23, s16
	;; [unrolled: 1-line block ×4, first 2 shown]
	s_waitcnt vmcnt(1)
	v_cmp_ne_u16_sdwa s[6:7], v28, v31 src0_sel:BYTE_0 src1_sel:DWORD
	v_mfma_f32_16x16x16bf16_1k v[18:21], v[44:45], v[10:11], v[18:21]
	v_mfma_f32_16x16x16bf16_1k v[18:21], v[42:43], v[12:13], v[18:21]
	s_and_saveexec_b64 s[4:5], s[6:7]
	s_cbranch_execz .LBB954_165
; %bb.160:                              ;   in Loop: Header=BB954_15 Depth=1
	v_cmp_ne_u16_sdwa s[10:11], v28, s13 src0_sel:BYTE_0 src1_sel:DWORD
	v_mov_b32_e32 v34, 0xffff8000
	s_and_saveexec_b64 s[6:7], s[10:11]
	s_cbranch_execz .LBB954_164
; %bb.161:                              ;   in Loop: Header=BB954_15 Depth=1
	v_and_b32_e32 v23, 0x7f, v28
	v_cmp_ne_u32_e32 vcc, s14, v23
	v_mov_b32_e32 v34, 0x7f80
	s_and_saveexec_b64 s[10:11], vcc
	s_cbranch_execz .LBB954_163
; %bb.162:                              ;   in Loop: Header=BB954_15 Depth=1
	v_and_b32_e32 v30, 7, v28
	v_ffbh_u32_e32 v34, v30
	v_min_u32_e32 v36, 32, v34
	v_subrev_u32_e32 v34, 28, v36
	v_lshlrev_b64 v[34:35], v34, v[28:29]
	v_lshrrev_b32_e32 v32, 3, v23
	v_sub_u32_e32 v35, 29, v36
	v_and_b32_e32 v34, 7, v34
	v_cmp_gt_u32_e32 vcc, 8, v23
	v_cndmask_b32_e32 v23, v32, v35, vcc
	v_cndmask_b32_e32 v30, v30, v34, vcc
	v_lshlrev_b32_e32 v32, 24, v28
	v_lshlrev_b32_e32 v30, 20, v30
	v_and_b32_e32 v32, 0x80000000, v32
	v_lshl_add_u32 v23, v23, 23, v33
	v_or3_b32 v23, v32, v23, v30
	v_lshrrev_b32_e32 v34, 16, v23
.LBB954_163:                            ;   in Loop: Header=BB954_15 Depth=1
	s_or_b64 exec, exec, s[10:11]
.LBB954_164:                            ;   in Loop: Header=BB954_15 Depth=1
	s_or_b64 exec, exec, s[6:7]
.LBB954_165:                            ;   in Loop: Header=BB954_15 Depth=1
	s_or_b64 exec, exec, s[4:5]
	v_lshrrev_b16_e32 v30, 8, v28
	v_cmp_ne_u16_e32 vcc, 0, v30
	v_mov_b32_e32 v32, 0
	v_mov_b32_e32 v23, 0
	s_and_saveexec_b64 s[4:5], vcc
	s_cbranch_execz .LBB954_171
; %bb.166:                              ;   in Loop: Header=BB954_15 Depth=1
	v_cmp_ne_u16_e32 vcc, s13, v30
	v_mov_b32_e32 v23, 0xffff8000
	s_and_saveexec_b64 s[6:7], vcc
	s_cbranch_execz .LBB954_170
; %bb.167:                              ;   in Loop: Header=BB954_15 Depth=1
	v_and_b32_e32 v35, 0x7f, v30
	v_cmp_ne_u32_e32 vcc, s14, v35
	v_mov_b32_e32 v23, 0x7f80
	s_and_saveexec_b64 s[10:11], vcc
	s_cbranch_execz .LBB954_169
; %bb.168:                              ;   in Loop: Header=BB954_15 Depth=1
	v_and_b32_e32 v23, 7, v30
	v_ffbh_u32_e32 v36, v23
	v_min_u32_e32 v40, 32, v36
	v_subrev_u32_e32 v36, 28, v40
	v_lshlrev_b64 v[36:37], v36, v[30:31]
	v_lshrrev_b32_e32 v38, 3, v35
	v_sub_u32_e32 v30, 29, v40
	v_and_b32_e32 v36, 7, v36
	v_cmp_gt_u32_e32 vcc, 8, v35
	v_cndmask_b32_e32 v30, v38, v30, vcc
	v_cndmask_b32_e32 v23, v23, v36, vcc
	v_lshlrev_b32_e32 v35, 16, v28
	v_lshlrev_b32_e32 v23, 20, v23
	v_and_b32_e32 v35, 0x80000000, v35
	v_lshl_add_u32 v30, v30, 23, v33
	v_or3_b32 v23, v35, v30, v23
	v_lshrrev_b32_e32 v23, 16, v23
.LBB954_169:                            ;   in Loop: Header=BB954_15 Depth=1
	s_or_b64 exec, exec, s[10:11]
.LBB954_170:                            ;   in Loop: Header=BB954_15 Depth=1
	s_or_b64 exec, exec, s[6:7]
.LBB954_171:                            ;   in Loop: Header=BB954_15 Depth=1
	s_or_b64 exec, exec, s[4:5]
	v_lshrrev_b32_e32 v30, 16, v28
	v_cmp_ne_u16_sdwa s[6:7], v30, v31 src0_sel:BYTE_0 src1_sel:DWORD
	s_and_saveexec_b64 s[4:5], s[6:7]
	s_cbranch_execz .LBB954_177
; %bb.172:                              ;   in Loop: Header=BB954_15 Depth=1
	v_cmp_ne_u16_sdwa s[10:11], v30, s13 src0_sel:BYTE_0 src1_sel:DWORD
	v_mov_b32_e32 v32, 0xffff8000
	s_and_saveexec_b64 s[6:7], s[10:11]
	s_cbranch_execz .LBB954_176
; %bb.173:                              ;   in Loop: Header=BB954_15 Depth=1
	v_bfe_u32 v35, v28, 16, 7
	v_cmp_ne_u32_e32 vcc, s14, v35
	v_mov_b32_e32 v32, 0x7f80
	s_and_saveexec_b64 s[10:11], vcc
	s_cbranch_execz .LBB954_175
; %bb.174:                              ;   in Loop: Header=BB954_15 Depth=1
	v_and_b32_e32 v32, 7, v30
	v_ffbh_u32_e32 v36, v32
	v_min_u32_e32 v40, 32, v36
	v_subrev_u32_e32 v36, 28, v40
	v_lshlrev_b64 v[36:37], v36, v[30:31]
	v_lshrrev_b32_e32 v38, 3, v35
	v_sub_u32_e32 v37, 29, v40
	v_and_b32_e32 v36, 7, v36
	v_cmp_gt_u32_e32 vcc, 8, v35
	v_cndmask_b32_e32 v35, v38, v37, vcc
	v_cndmask_b32_e32 v32, v32, v36, vcc
	v_lshlrev_b32_e32 v30, 24, v30
	v_lshlrev_b32_e32 v32, 20, v32
	v_and_b32_e32 v30, 0x80000000, v30
	v_lshl_add_u32 v35, v35, 23, v33
	v_or3_b32 v30, v30, v35, v32
	v_lshrrev_b32_e32 v32, 16, v30
.LBB954_175:                            ;   in Loop: Header=BB954_15 Depth=1
	s_or_b64 exec, exec, s[10:11]
.LBB954_176:                            ;   in Loop: Header=BB954_15 Depth=1
	s_or_b64 exec, exec, s[6:7]
.LBB954_177:                            ;   in Loop: Header=BB954_15 Depth=1
	s_or_b64 exec, exec, s[4:5]
	v_cmp_lt_u32_e32 vcc, s15, v28
	v_mov_b32_e32 v35, 0
	v_mov_b32_e32 v36, 0
	s_and_saveexec_b64 s[4:5], vcc
	s_cbranch_execz .LBB954_183
; %bb.178:                              ;   in Loop: Header=BB954_15 Depth=1
	v_lshrrev_b32_e32 v30, 24, v28
	v_cmp_ne_u32_e32 vcc, s13, v30
	v_mov_b32_e32 v36, 0xffff8000
	s_and_saveexec_b64 s[6:7], vcc
	s_cbranch_execz .LBB954_182
; %bb.179:                              ;   in Loop: Header=BB954_15 Depth=1
	v_bfe_u32 v28, v28, 24, 7
	v_cmp_ne_u32_e32 vcc, s14, v28
	v_mov_b32_e32 v36, 0x7f80
	s_and_saveexec_b64 s[10:11], vcc
	s_cbranch_execz .LBB954_181
; %bb.180:                              ;   in Loop: Header=BB954_15 Depth=1
	v_and_b32_e32 v38, 7, v30
	v_ffbh_u32_e32 v36, v38
	v_min_u32_e32 v42, 32, v36
	v_subrev_u32_e32 v36, 28, v42
	v_lshlrev_b64 v[36:37], v36, v[30:31]
	v_lshrrev_b32_e32 v40, 3, v28
	v_sub_u32_e32 v37, 29, v42
	v_and_b32_e32 v36, 7, v36
	v_cmp_gt_u32_e32 vcc, 8, v28
	v_cndmask_b32_e32 v28, v40, v37, vcc
	v_cndmask_b32_e32 v36, v38, v36, vcc
	v_lshlrev_b32_e32 v30, 24, v30
	v_lshlrev_b32_e32 v36, 20, v36
	v_and_b32_e32 v30, 0x80000000, v30
	v_lshl_add_u32 v28, v28, 23, v33
	v_or3_b32 v28, v30, v28, v36
	v_lshrrev_b32_e32 v36, 16, v28
.LBB954_181:                            ;   in Loop: Header=BB954_15 Depth=1
	s_or_b64 exec, exec, s[10:11]
.LBB954_182:                            ;   in Loop: Header=BB954_15 Depth=1
	s_or_b64 exec, exec, s[6:7]
.LBB954_183:                            ;   in Loop: Header=BB954_15 Depth=1
	s_or_b64 exec, exec, s[4:5]
	s_waitcnt vmcnt(0)
	v_cmp_ne_u16_sdwa s[6:7], v26, v31 src0_sel:BYTE_0 src1_sel:DWORD
	s_and_saveexec_b64 s[4:5], s[6:7]
	s_cbranch_execz .LBB954_189
; %bb.184:                              ;   in Loop: Header=BB954_15 Depth=1
	v_cmp_ne_u16_sdwa s[10:11], v26, s13 src0_sel:BYTE_0 src1_sel:DWORD
	v_mov_b32_e32 v35, 0xffff8000
	s_and_saveexec_b64 s[6:7], s[10:11]
	s_cbranch_execz .LBB954_188
; %bb.185:                              ;   in Loop: Header=BB954_15 Depth=1
	v_and_b32_e32 v28, 0x7f, v26
	v_cmp_ne_u32_e32 vcc, s14, v28
	v_mov_b32_e32 v35, 0x7f80
	s_and_saveexec_b64 s[10:11], vcc
	s_cbranch_execz .LBB954_187
; %bb.186:                              ;   in Loop: Header=BB954_15 Depth=1
	v_and_b32_e32 v30, 7, v26
	v_ffbh_u32_e32 v37, v30
	v_min_u32_e32 v37, 32, v37
	v_subrev_u32_e32 v38, 28, v37
	v_lshlrev_b64 v[42:43], v38, v[26:27]
	v_lshrrev_b32_e32 v35, 3, v28
	v_sub_u32_e32 v37, 29, v37
	v_and_b32_e32 v38, 7, v42
	v_cmp_gt_u32_e32 vcc, 8, v28
	v_cndmask_b32_e32 v28, v35, v37, vcc
	v_cndmask_b32_e32 v30, v30, v38, vcc
	v_lshlrev_b32_e32 v35, 24, v26
	v_lshlrev_b32_e32 v30, 20, v30
	v_and_b32_e32 v35, 0x80000000, v35
	v_lshl_add_u32 v28, v28, 23, v33
	v_or3_b32 v28, v35, v28, v30
	v_lshrrev_b32_e32 v35, 16, v28
.LBB954_187:                            ;   in Loop: Header=BB954_15 Depth=1
	s_or_b64 exec, exec, s[10:11]
.LBB954_188:                            ;   in Loop: Header=BB954_15 Depth=1
	s_or_b64 exec, exec, s[6:7]
.LBB954_189:                            ;   in Loop: Header=BB954_15 Depth=1
	s_or_b64 exec, exec, s[4:5]
	v_lshrrev_b16_e32 v28, 8, v26
	v_cmp_ne_u16_e32 vcc, 0, v28
	v_mov_b32_e32 v37, 0
	v_mov_b32_e32 v30, 0
	s_and_saveexec_b64 s[4:5], vcc
	s_cbranch_execz .LBB954_195
; %bb.190:                              ;   in Loop: Header=BB954_15 Depth=1
	v_cmp_ne_u16_e32 vcc, s13, v28
	v_mov_b32_e32 v30, 0xffff8000
	s_and_saveexec_b64 s[6:7], vcc
	s_cbranch_execz .LBB954_194
; %bb.191:                              ;   in Loop: Header=BB954_15 Depth=1
	v_and_b32_e32 v38, 0x7f, v28
	v_cmp_ne_u32_e32 vcc, s14, v38
	v_mov_b32_e32 v30, 0x7f80
	s_and_saveexec_b64 s[10:11], vcc
	s_cbranch_execz .LBB954_193
; %bb.192:                              ;   in Loop: Header=BB954_15 Depth=1
	v_and_b32_e32 v30, 7, v28
	v_ffbh_u32_e32 v42, v30
	v_min_u32_e32 v44, 32, v42
	v_subrev_u32_e32 v42, 28, v44
	v_lshlrev_b64 v[42:43], v42, v[28:29]
	v_lshrrev_b32_e32 v40, 3, v38
	v_sub_u32_e32 v28, 29, v44
	v_and_b32_e32 v42, 7, v42
	v_cmp_gt_u32_e32 vcc, 8, v38
	v_cndmask_b32_e32 v28, v40, v28, vcc
	v_cndmask_b32_e32 v30, v30, v42, vcc
	v_lshlrev_b32_e32 v38, 16, v26
	v_lshlrev_b32_e32 v30, 20, v30
	v_and_b32_e32 v38, 0x80000000, v38
	v_lshl_add_u32 v28, v28, 23, v33
	v_or3_b32 v28, v38, v28, v30
	v_lshrrev_b32_e32 v30, 16, v28
.LBB954_193:                            ;   in Loop: Header=BB954_15 Depth=1
	s_or_b64 exec, exec, s[10:11]
.LBB954_194:                            ;   in Loop: Header=BB954_15 Depth=1
	s_or_b64 exec, exec, s[6:7]
.LBB954_195:                            ;   in Loop: Header=BB954_15 Depth=1
	s_or_b64 exec, exec, s[4:5]
	v_lshrrev_b32_e32 v28, 16, v26
	v_cmp_ne_u16_sdwa s[6:7], v28, v31 src0_sel:BYTE_0 src1_sel:DWORD
	s_and_saveexec_b64 s[4:5], s[6:7]
	s_cbranch_execz .LBB954_201
; %bb.196:                              ;   in Loop: Header=BB954_15 Depth=1
	v_cmp_ne_u16_sdwa s[10:11], v28, s13 src0_sel:BYTE_0 src1_sel:DWORD
	v_mov_b32_e32 v37, 0xffff8000
	s_and_saveexec_b64 s[6:7], s[10:11]
	s_cbranch_execz .LBB954_200
; %bb.197:                              ;   in Loop: Header=BB954_15 Depth=1
	v_bfe_u32 v38, v26, 16, 7
	v_cmp_ne_u32_e32 vcc, s14, v38
	v_mov_b32_e32 v37, 0x7f80
	s_and_saveexec_b64 s[10:11], vcc
	s_cbranch_execz .LBB954_199
; %bb.198:                              ;   in Loop: Header=BB954_15 Depth=1
	v_and_b32_e32 v37, 7, v28
	v_ffbh_u32_e32 v42, v37
	v_min_u32_e32 v44, 32, v42
	v_subrev_u32_e32 v42, 28, v44
	v_lshlrev_b64 v[42:43], v42, v[28:29]
	v_lshrrev_b32_e32 v40, 3, v38
	v_sub_u32_e32 v43, 29, v44
	v_and_b32_e32 v42, 7, v42
	v_cmp_gt_u32_e32 vcc, 8, v38
	v_cndmask_b32_e32 v38, v40, v43, vcc
	v_cndmask_b32_e32 v37, v37, v42, vcc
	v_lshlrev_b32_e32 v28, 24, v28
	v_lshlrev_b32_e32 v37, 20, v37
	v_and_b32_e32 v28, 0x80000000, v28
	v_lshl_add_u32 v38, v38, 23, v33
	v_or3_b32 v28, v28, v38, v37
	v_lshrrev_b32_e32 v37, 16, v28
.LBB954_199:                            ;   in Loop: Header=BB954_15 Depth=1
	s_or_b64 exec, exec, s[10:11]
.LBB954_200:                            ;   in Loop: Header=BB954_15 Depth=1
	s_or_b64 exec, exec, s[6:7]
.LBB954_201:                            ;   in Loop: Header=BB954_15 Depth=1
	s_or_b64 exec, exec, s[4:5]
	v_cmp_lt_u32_e32 vcc, s15, v26
	v_mov_b32_e32 v38, 0
	s_and_saveexec_b64 s[4:5], vcc
	s_cbranch_execz .LBB954_14
; %bb.202:                              ;   in Loop: Header=BB954_15 Depth=1
	v_lshrrev_b32_e32 v28, 24, v26
	v_cmp_ne_u32_e32 vcc, s13, v28
	v_mov_b32_e32 v38, 0xffff8000
	s_and_saveexec_b64 s[6:7], vcc
	s_cbranch_execz .LBB954_13
; %bb.203:                              ;   in Loop: Header=BB954_15 Depth=1
	v_bfe_u32 v26, v26, 24, 7
	v_cmp_ne_u32_e32 vcc, s14, v26
	v_mov_b32_e32 v38, 0x7f80
	s_and_saveexec_b64 s[10:11], vcc
	s_cbranch_execz .LBB954_12
; %bb.204:                              ;   in Loop: Header=BB954_15 Depth=1
	v_and_b32_e32 v38, 7, v28
	v_ffbh_u32_e32 v42, v38
	v_min_u32_e32 v44, 32, v42
	v_subrev_u32_e32 v42, 28, v44
	v_lshlrev_b64 v[42:43], v42, v[28:29]
	v_lshrrev_b32_e32 v40, 3, v26
	v_sub_u32_e32 v43, 29, v44
	v_and_b32_e32 v42, 7, v42
	v_cmp_gt_u32_e32 vcc, 8, v26
	v_cndmask_b32_e32 v26, v40, v43, vcc
	v_cndmask_b32_e32 v38, v38, v42, vcc
	v_lshlrev_b32_e32 v28, 24, v28
	v_lshlrev_b32_e32 v38, 20, v38
	v_and_b32_e32 v28, 0x80000000, v28
	v_lshl_add_u32 v26, v26, 23, v33
	v_or3_b32 v26, v28, v26, v38
	v_lshrrev_b32_e32 v38, 16, v26
	s_branch .LBB954_12
.LBB954_205:
	buffer_load_dword v13, off, s[0:3], 0 offset:256
	buffer_load_dword v14, off, s[0:3], 0 offset:260
	;; [unrolled: 1-line block ×16, first 2 shown]
	v_and_b32_e32 v12, 0xc0, v0
	v_add_u32_e32 v12, s20, v12
	v_lshl_or_b32 v12, v1, 2, v12
	v_or_b32_e32 v23, 1, v12
	v_mov_b32_e32 v19, 0xff7fffff
	v_or_b32_e32 v24, 2, v12
	v_or_b32_e32 v25, 3, v12
	v_cmp_gt_i32_e64 s[26:27], s33, v12
	v_cmp_gt_i32_e64 s[28:29], s33, v23
	s_mov_b32 s52, 0xff7fffff
	v_or_b32_e32 v26, 16, v12
	v_or_b32_e32 v27, 17, v12
	;; [unrolled: 1-line block ×12, first 2 shown]
	v_cmp_gt_i32_e64 s[30:31], s33, v24
	v_cmp_gt_i32_e64 s[34:35], s33, v25
	v_mbcnt_lo_u32_b32 v20, -1, 0
	v_cmp_gt_i32_e64 s[36:37], s33, v26
	v_cmp_gt_i32_e64 s[38:39], s33, v27
	v_mbcnt_hi_u32_b32 v20, -1, v20
	v_cmp_gt_i32_e64 s[20:21], s33, v28
	v_cmp_gt_i32_e64 s[22:23], s33, v29
	v_and_b32_e32 v21, 64, v20
	v_cmp_gt_i32_e64 s[16:17], s33, v30
	v_cmp_gt_i32_e64 s[18:19], s33, v31
	v_xor_b32_e32 v22, 32, v20
	v_add_u32_e32 v21, 64, v21
	v_cmp_gt_i32_e64 s[12:13], s33, v32
	v_cmp_gt_i32_e64 s[14:15], s33, v33
	v_cmp_lt_i32_e32 vcc, v22, v21
	v_cmp_gt_i32_e64 s[6:7], s33, v34
	v_cmp_gt_i32_e64 s[10:11], s33, v35
	v_cndmask_b32_e32 v22, v20, v22, vcc
	v_cmp_gt_i32_e32 vcc, s33, v36
	v_cmp_gt_i32_e64 s[4:5], s33, v37
	v_lshlrev_b32_e32 v22, 2, v22
	s_waitcnt vmcnt(15)
	v_cndmask_b32_e64 v12, v19, v13, s[26:27]
	s_waitcnt vmcnt(14)
	v_cndmask_b32_e64 v23, v19, v14, s[28:29]
	;; [unrolled: 2-line block ×4, first 2 shown]
	v_max3_f32 v12, v12, s52, v23
	s_waitcnt vmcnt(11)
	v_cndmask_b32_e64 v26, v19, v17, s[36:37]
	s_waitcnt vmcnt(10)
	v_cndmask_b32_e64 v27, v19, v18, s[38:39]
	v_max3_f32 v12, v12, v24, v25
	s_waitcnt vmcnt(9)
	v_cndmask_b32_e64 v28, v19, v11, s[20:21]
	s_waitcnt vmcnt(8)
	v_cndmask_b32_e64 v29, v19, v10, s[22:23]
	;; [unrolled: 5-line block ×5, first 2 shown]
	v_max3_f32 v12, v12, v32, v33
	s_waitcnt vmcnt(1)
	v_cndmask_b32_e32 v36, v19, v3, vcc
	s_waitcnt vmcnt(0)
	v_cndmask_b32_e64 v19, v19, v2, s[4:5]
	v_max3_f32 v12, v12, v34, v35
	v_max3_f32 v12, v12, v36, v19
	ds_bpermute_b32 v19, v22, v12
	v_xor_b32_e32 v23, 16, v20
	v_cmp_lt_i32_e64 s[40:41], v23, v21
	v_cndmask_b32_e64 v20, v20, v23, s[40:41]
	v_lshlrev_b32_e32 v20, 2, v20
	s_waitcnt lgkmcnt(0)
	v_max_f32_e32 v19, v19, v19
	v_max_f32_e32 v12, v12, v19
	ds_bpermute_b32 v19, v20, v12
	s_waitcnt lgkmcnt(0)
	v_max_f32_e32 v19, v19, v19
	v_max_f32_e32 v12, v12, v19
	v_sub_f32_e32 v13, v13, v12
	v_sub_f32_e32 v14, v14, v12
	;; [unrolled: 1-line block ×3, first 2 shown]
	v_mul_f32_e32 v13, 0x3fb8aa3b, v13
	v_mul_f32_e32 v14, 0x3fb8aa3b, v14
	;; [unrolled: 1-line block ×3, first 2 shown]
	v_exp_f32_e32 v13, v13
	v_exp_f32_e32 v14, v14
	v_exp_f32_e32 v15, v15
	v_sub_f32_e32 v16, v16, v12
	v_cndmask_b32_e64 v13, 0, v13, s[26:27]
	v_mul_f32_e32 v16, 0x3fb8aa3b, v16
	v_cndmask_b32_e64 v14, 0, v14, s[28:29]
	v_cndmask_b32_e64 v15, 0, v15, s[30:31]
	v_add_f32_e32 v19, 0, v13
	buffer_store_dword v13, off, s[0:3], 0 offset:256
	buffer_store_dword v14, off, s[0:3], 0 offset:260
	;; [unrolled: 1-line block ×3, first 2 shown]
	v_sub_f32_e32 v13, v17, v12
	v_exp_f32_e32 v16, v16
	v_add_f32_e32 v19, v19, v14
	v_mul_f32_e32 v13, 0x3fb8aa3b, v13
	v_sub_f32_e32 v14, v18, v12
	v_exp_f32_e32 v13, v13
	v_mul_f32_e32 v14, 0x3fb8aa3b, v14
	v_sub_f32_e32 v11, v11, v12
	v_exp_f32_e32 v14, v14
	;; [unrolled: 3-line block ×3, first 2 shown]
	v_mul_f32_e32 v10, 0x3fb8aa3b, v10
	v_sub_f32_e32 v9, v9, v12
	v_cndmask_b32_e64 v16, 0, v16, s[34:35]
	v_add_f32_e32 v19, v19, v15
	v_exp_f32_e32 v10, v10
	v_mul_f32_e32 v9, 0x3fb8aa3b, v9
	v_sub_f32_e32 v8, v8, v12
	v_add_f32_e32 v19, v19, v16
	v_cndmask_b32_e64 v13, 0, v13, s[36:37]
	v_exp_f32_e32 v9, v9
	v_mul_f32_e32 v8, 0x3fb8aa3b, v8
	v_sub_f32_e32 v7, v7, v12
	v_add_f32_e32 v15, v19, v13
	v_cndmask_b32_e64 v14, 0, v14, s[38:39]
	;; [unrolled: 5-line block ×5, first 2 shown]
	v_exp_f32_e32 v5, v5
	v_mul_f32_e32 v4, 0x3fb8aa3b, v4
	v_sub_f32_e32 v3, v3, v12
	buffer_store_dword v16, off, s[0:3], 0 offset:268
	buffer_store_dword v13, off, s[0:3], 0 offset:272
	;; [unrolled: 1-line block ×5, first 2 shown]
	v_add_f32_e32 v10, v15, v9
	v_cndmask_b32_e64 v8, 0, v8, s[18:19]
	v_exp_f32_e32 v4, v4
	v_mul_f32_e32 v3, 0x3fb8aa3b, v3
	v_sub_f32_e32 v2, v2, v12
	v_add_f32_e32 v10, v10, v8
	v_cndmask_b32_e64 v7, 0, v7, s[12:13]
	v_exp_f32_e32 v3, v3
	v_mul_f32_e32 v2, 0x3fb8aa3b, v2
	v_add_f32_e32 v10, v10, v7
	v_cndmask_b32_e64 v6, 0, v6, s[14:15]
	v_exp_f32_e32 v2, v2
	v_add_f32_e32 v10, v10, v6
	v_cndmask_b32_e64 v5, 0, v5, s[6:7]
	buffer_store_dword v9, off, s[0:3], 0 offset:288
	buffer_store_dword v8, off, s[0:3], 0 offset:292
	;; [unrolled: 1-line block ×4, first 2 shown]
	v_add_f32_e32 v6, v10, v5
	v_cndmask_b32_e64 v4, 0, v4, s[10:11]
	v_add_f32_e32 v6, v6, v4
	v_cndmask_b32_e32 v3, 0, v3, vcc
	v_add_f32_e32 v6, v6, v3
	v_cndmask_b32_e64 v2, 0, v2, s[4:5]
	v_add_f32_e32 v6, v6, v2
	ds_bpermute_b32 v7, v22, v6
	buffer_store_dword v5, off, s[0:3], 0 offset:304
	buffer_store_dword v4, off, s[0:3], 0 offset:308
	buffer_store_dword v3, off, s[0:3], 0 offset:312
	buffer_store_dword v2, off, s[0:3], 0 offset:316
	v_cmp_gt_u32_e64 s[4:5], 16, v64
	s_waitcnt lgkmcnt(0)
	s_barrier
	v_add_f32_e32 v2, v6, v7
	ds_bpermute_b32 v3, v20, v2
	s_waitcnt lgkmcnt(0)
	s_and_saveexec_b64 s[6:7], s[4:5]
	s_cbranch_execz .LBB954_207
; %bb.206:
	v_add_f32_e32 v2, v2, v3
	v_lshlrev_b32_e32 v3, 2, v63
	ds_write2st64_b32 v3, v12, v2 offset1:1
.LBB954_207:
	s_or_b64 exec, exec, s[6:7]
	v_lshlrev_b32_e32 v2, 2, v55
	s_waitcnt lgkmcnt(0)
	s_barrier
	ds_read2_b32 v[14:15], v2 offset1:16
	ds_read2_b32 v[16:17], v2 offset0:32 offset1:48
	ds_read2_b32 v[6:7], v2 offset0:64 offset1:80
	;; [unrolled: 1-line block ×3, first 2 shown]
	s_waitcnt lgkmcnt(0)
	s_barrier
	buffer_load_dword v22, off, s[0:3], 0 offset:264
	buffer_load_dword v23, off, s[0:3], 0 offset:268
	;; [unrolled: 1-line block ×16, first 2 shown]
	v_max3_f32 v20, v14, s52, v15
	v_max3_f32 v20, v20, v16, v17
	v_sub_f32_e32 v14, v14, v20
	v_sub_f32_e32 v15, v15, v20
	v_mul_f32_e32 v14, 0x3fb8aa3b, v14
	v_sub_f32_e32 v16, v16, v20
	v_mul_f32_e32 v15, 0x3fb8aa3b, v15
	v_exp_f32_e32 v14, v14
	v_sub_f32_e32 v17, v17, v20
	v_mul_f32_e32 v16, 0x3fb8aa3b, v16
	v_exp_f32_e32 v15, v15
	v_mul_f32_e32 v17, 0x3fb8aa3b, v17
	v_exp_f32_e32 v16, v16
	v_exp_f32_e32 v17, v17
	v_fma_f32 v6, v14, v6, 0
	v_fmac_f32_e32 v6, v15, v7
	v_fmac_f32_e32 v6, v16, v12
	v_fmac_f32_e32 v6, v17, v13
	v_cmp_eq_u32_e32 vcc, 1, v62
	v_add_f32_e32 v12, 0x358637bd, v6
	v_cndmask_b32_e32 v14, v14, v15, vcc
	v_cmp_eq_u32_e32 vcc, 2, v62
	v_div_scale_f32 v13, s[6:7], v12, v12, 1.0
	v_cndmask_b32_e32 v7, v14, v16, vcc
	v_rcp_f32_e32 v14, v13
	v_cmp_eq_u32_e32 vcc, 3, v62
	v_cndmask_b32_e32 v7, v7, v17, vcc
	v_div_scale_f32 v15, vcc, 1.0, v12, 1.0
	v_fma_f32 v16, -v13, v14, 1.0
	v_fmac_f32_e32 v14, v16, v14
	v_mul_f32_e32 v16, v15, v14
	v_fma_f32 v17, -v13, v16, v15
	v_fmac_f32_e32 v16, v17, v14
	v_fma_f32 v13, -v13, v16, v15
	v_div_fmas_f32 v13, v13, v14, v16
	v_div_fixup_f32 v12, v13, v12, 1.0
	v_mul_f32_e32 v12, v7, v12
	s_movk_i32 s21, 0x7fff
	s_mov_b32 s22, 0x7060302
	s_mul_i32 s20, s51, 13
	v_cmp_gt_u32_e32 vcc, 13, v0
	s_waitcnt vmcnt(14)
	v_pk_mul_f32 v[14:15], v[12:13], v[22:23] op_sel_hi:[0,1]
	v_bfe_u32 v21, v15, 16, 1
	s_waitcnt vmcnt(12)
	v_pk_mul_f32 v[16:17], v[12:13], v[24:25] op_sel_hi:[0,1]
	v_bfe_u32 v7, v17, 16, 1
	v_bfe_u32 v13, v16, 16, 1
	;; [unrolled: 1-line block ×3, first 2 shown]
	v_add3_u32 v13, v16, v13, s21
	v_add3_u32 v7, v17, v7, s21
	buffer_store_dword v16, off, s[0:3], 0 offset:256
	buffer_store_dword v17, off, s[0:3], 0 offset:260
	;; [unrolled: 1-line block ×4, first 2 shown]
	v_add3_u32 v16, v14, v22, s21
	v_add3_u32 v15, v15, v21, s21
	v_perm_b32 v14, v7, v13, s22
	v_lshlrev_b32_e32 v13, 3, v1
	v_perm_b32 v15, v15, v16, s22
	v_lshlrev_b32_e32 v7, 5, v55
	v_lshlrev_b32_e32 v16, 11, v62
	s_waitcnt vmcnt(12)
	v_pk_mul_f32 v[8:9], v[12:13], v[8:9] op_sel_hi:[0,1]
	v_or3_b32 v43, v16, v7, v13
	v_pk_mul_f32 v[10:11], v[12:13], v[10:11] op_sel_hi:[0,1]
	v_bfe_u32 v13, v9, 16, 1
	v_bfe_u32 v16, v8, 16, 1
	buffer_store_dword v8, off, s[0:3], 0 offset:272
	buffer_store_dword v9, off, s[0:3], 0 offset:276
	;; [unrolled: 1-line block ×4, first 2 shown]
	v_add3_u32 v8, v8, v16, s21
	v_add3_u32 v9, v9, v13, s21
	v_perm_b32 v8, v9, v8, s22
	v_bfe_u32 v9, v11, 16, 1
	v_bfe_u32 v13, v10, 16, 1
	v_add3_u32 v10, v10, v13, s21
	v_add3_u32 v9, v11, v9, s21
	v_perm_b32 v9, v9, v10, s22
	s_waitcnt vmcnt(14)
	v_pk_mul_f32 v[10:11], v[12:13], v[18:19] op_sel_hi:[0,1]
	ds_write2st64_b64 v43, v[14:15], v[8:9] offset1:1
	s_waitcnt vmcnt(12)
	v_pk_mul_f32 v[8:9], v[12:13], v[26:27] op_sel_hi:[0,1]
	v_bfe_u32 v13, v11, 16, 1
	v_bfe_u32 v14, v10, 16, 1
	buffer_store_dword v10, off, s[0:3], 0 offset:288
	buffer_store_dword v11, off, s[0:3], 0 offset:292
	;; [unrolled: 1-line block ×4, first 2 shown]
	v_add3_u32 v10, v10, v14, s21
	v_add3_u32 v11, v11, v13, s21
	v_perm_b32 v10, v11, v10, s22
	v_bfe_u32 v11, v9, 16, 1
	v_bfe_u32 v13, v8, 16, 1
	v_add3_u32 v8, v8, v13, s21
	v_add3_u32 v9, v9, v11, s21
	s_waitcnt vmcnt(14)
	v_pk_mul_f32 v[2:3], v[12:13], v[2:3] op_sel_hi:[0,1]
	v_perm_b32 v11, v9, v8, s22
	v_bfe_u32 v8, v3, 16, 1
	v_bfe_u32 v9, v2, 16, 1
	s_waitcnt vmcnt(12)
	v_pk_mul_f32 v[4:5], v[12:13], v[4:5] op_sel_hi:[0,1]
	buffer_store_dword v2, off, s[0:3], 0 offset:304
	buffer_store_dword v3, off, s[0:3], 0 offset:308
	buffer_store_dword v4, off, s[0:3], 0 offset:312
	buffer_store_dword v5, off, s[0:3], 0 offset:316
	v_add3_u32 v2, v2, v9, s21
	v_add3_u32 v3, v3, v8, s21
	v_perm_b32 v2, v3, v2, s22
	v_bfe_u32 v3, v5, 16, 1
	v_bfe_u32 v8, v4, 16, 1
	v_add3_u32 v4, v4, v8, s21
	v_add3_u32 v3, v5, v3, s21
	v_perm_b32 v3, v3, v4, s22
	ds_write2st64_b64 v43, v[10:11], v[2:3] offset0:2 offset1:3
	s_and_saveexec_b64 s[6:7], vcc
	s_cbranch_execz .LBB954_209
; %bb.208:
	v_add_co_u32_e32 v4, vcc, s25, v55
	v_addc_co_u32_e64 v5, s[10:11], 0, 0, vcc
	v_mov_b32_e32 v2, s20
	v_mov_b32_e32 v3, 0
	v_mad_u64_u32 v[4:5], s[10:11], s8, v2, v[4:5]
	v_mov_b32_e32 v2, s24
	s_mul_i32 s9, s9, s20
	v_mad_u64_u32 v[2:3], s[10:11], v4, s50, v[2:3]
	v_add_u32_e32 v5, s9, v5
	v_mov_b32_e32 v4, v3
	v_mad_u64_u32 v[4:5], s[10:11], v5, s50, v[4:5]
	v_mov_b32_e32 v3, v4
	v_lshlrev_b64 v[2:3], 2, v[2:3]
	v_mov_b32_e32 v5, s47
	v_add_co_u32_e32 v4, vcc, s46, v2
	v_addc_co_u32_e32 v5, vcc, v5, v3, vcc
	global_store_dword v[4:5], v20, off
	v_mov_b32_e32 v4, s45
	v_add_co_u32_e32 v2, vcc, s44, v2
	v_addc_co_u32_e32 v3, vcc, v4, v3, vcc
	global_store_dword v[2:3], v6, off
.LBB954_209:
	s_or_b64 exec, exec, s[6:7]
	v_lshl_or_b32 v30, v1, 9, v7
	s_waitcnt lgkmcnt(0)
	s_barrier
	s_load_dword s6, s[42:43], 0x0
	ds_read_b128 v[2:5], v30
	ds_read_b128 v[6:9], v30 offset:16
	ds_read_b128 v[10:13], v30 offset:2048
	;; [unrolled: 1-line block ×7, first 2 shown]
	v_mov_b32_e32 v35, 0x80
	v_mov_b32_e32 v45, 0x140
	s_mov_b64 s[12:13], -1
	s_waitcnt lgkmcnt(0)
	s_mov_b32 s7, s6
	s_mov_b32 s10, s6
	;; [unrolled: 1-line block ×3, first 2 shown]
	s_movk_i32 s9, 0x80
	s_movk_i32 s23, 0x7f
	s_mov_b32 s26, 0xffffff
	s_mov_b32 s27, 0x5040100
	v_mov_b32_e32 v47, 0
	v_bfrev_b32_e32 v48, 60
	s_branch .LBB954_213
.LBB954_210:                            ;   in Loop: Header=BB954_213 Depth=1
	s_or_b64 exec, exec, s[18:19]
.LBB954_211:                            ;   in Loop: Header=BB954_213 Depth=1
	s_or_b64 exec, exec, s[16:17]
.LBB954_212:                            ;   in Loop: Header=BB954_213 Depth=1
	s_or_b64 exec, exec, s[14:15]
	v_perm_b32 v61, v50, v46, s27
	v_perm_b32 v60, v44, v41, s27
	s_xor_b64 s[14:15], s[12:13], -1
	s_mov_b64 s[12:13], 0
	s_and_b64 vcc, exec, s[14:15]
	v_mfma_f32_16x16x16bf16_1k v[62:65], v[60:61], v[30:31], v[34:37]
	v_mov_b32_e32 v61, v58
	v_mov_b32_e32 v60, v59
	s_nop 4
	v_perm_b32 v37, v52, v51, s27
	v_perm_b32 v36, v42, v49, s27
	v_mov_b32_e32 v35, v57
	s_nop 0
	v_mfma_f32_16x16x16bf16_1k v[50:53], v[36:37], v[32:33], v[62:65]
	s_nop 7
	s_nop 2
	v_pk_mul_f32 v[40:41], v[50:51], s[6:7]
	v_pk_mul_f32 v[36:37], v[52:53], s[10:11]
	v_bfe_u32 v34, v41, 16, 1
	v_bfe_u32 v38, v40, 16, 1
	;; [unrolled: 1-line block ×4, first 2 shown]
	v_add3_u32 v38, v40, v38, s21
	v_add3_u32 v34, v41, v34, s21
	;; [unrolled: 1-line block ×4, first 2 shown]
	v_perm_b32 v34, v34, v38, s22
	v_perm_b32 v36, v37, v36, s22
	buffer_store_dword v34, v45, s[0:3], 0 offen
	buffer_store_dword v36, v45, s[0:3], 0 offen offset:4
	v_mov_b32_e32 v45, 0x148
	v_mov_b32_e32 v41, v39
	s_cbranch_vccnz .LBB954_595
.LBB954_213:                            ; =>This Inner Loop Header: Depth=1
	buffer_load_dword v36, v35, s[0:3], 0 offen
	buffer_load_dword v34, v35, s[0:3], 0 offen offset:4
	buffer_load_dword v40, v35, s[0:3], 0 offen offset:8
	;; [unrolled: 1-line block ×3, first 2 shown]
	v_mov_b32_e32 v35, 0
	s_waitcnt vmcnt(3)
	v_cmp_ne_u16_sdwa s[16:17], v36, v47 src0_sel:BYTE_0 src1_sel:DWORD
	s_and_saveexec_b64 s[14:15], s[16:17]
	s_cbranch_execz .LBB954_219
; %bb.214:                              ;   in Loop: Header=BB954_213 Depth=1
	v_cmp_ne_u16_sdwa s[18:19], v36, s9 src0_sel:BYTE_0 src1_sel:DWORD
	v_mov_b32_e32 v35, 0xffff8000
	s_and_saveexec_b64 s[16:17], s[18:19]
	s_cbranch_execz .LBB954_218
; %bb.215:                              ;   in Loop: Header=BB954_213 Depth=1
	v_and_b32_e32 v37, 0x7f, v36
	v_cmp_ne_u32_e32 vcc, s23, v37
	v_mov_b32_e32 v35, 0x7f80
	s_and_saveexec_b64 s[18:19], vcc
	s_cbranch_execz .LBB954_217
; %bb.216:                              ;   in Loop: Header=BB954_213 Depth=1
	v_and_b32_e32 v35, 7, v36
	v_ffbh_u32_e32 v44, v35
	v_min_u32_e32 v44, 32, v44
	v_subrev_u32_e32 v46, 28, v44
	v_lshlrev_b64 v[50:51], v46, v[36:37]
	v_lshrrev_b32_e32 v42, 3, v37
	v_sub_u32_e32 v44, 29, v44
	v_and_b32_e32 v46, 7, v50
	v_cmp_gt_u32_e32 vcc, 8, v37
	v_cndmask_b32_e32 v37, v42, v44, vcc
	v_cndmask_b32_e32 v35, v35, v46, vcc
	v_lshlrev_b32_e32 v42, 24, v36
	v_lshlrev_b32_e32 v35, 20, v35
	v_and_b32_e32 v42, 0x80000000, v42
	v_lshl_add_u32 v37, v37, 23, v48
	v_or3_b32 v35, v42, v37, v35
	v_lshrrev_b32_e32 v35, 16, v35
.LBB954_217:                            ;   in Loop: Header=BB954_213 Depth=1
	s_or_b64 exec, exec, s[18:19]
.LBB954_218:                            ;   in Loop: Header=BB954_213 Depth=1
	s_or_b64 exec, exec, s[16:17]
.LBB954_219:                            ;   in Loop: Header=BB954_213 Depth=1
	s_or_b64 exec, exec, s[14:15]
	v_lshrrev_b16_e32 v42, 8, v36
	v_cmp_ne_u16_e32 vcc, 0, v42
	v_mov_b32_e32 v46, 0
	v_mov_b32_e32 v37, 0
	s_and_saveexec_b64 s[14:15], vcc
	s_cbranch_execz .LBB954_225
; %bb.220:                              ;   in Loop: Header=BB954_213 Depth=1
	v_cmp_ne_u16_e32 vcc, s9, v42
	v_mov_b32_e32 v37, 0xffff8000
	s_and_saveexec_b64 s[16:17], vcc
	s_cbranch_execz .LBB954_224
; %bb.221:                              ;   in Loop: Header=BB954_213 Depth=1
	v_and_b32_e32 v44, 0x7f, v42
	v_cmp_ne_u32_e32 vcc, s23, v44
	v_mov_b32_e32 v37, 0x7f80
	s_and_saveexec_b64 s[18:19], vcc
	s_cbranch_execz .LBB954_223
; %bb.222:                              ;   in Loop: Header=BB954_213 Depth=1
	v_and_b32_e32 v37, 7, v42
	v_ffbh_u32_e32 v50, v37
	v_min_u32_e32 v52, 32, v50
	v_subrev_u32_e32 v50, 28, v52
	v_lshlrev_b64 v[50:51], v50, v[42:43]
	v_lshrrev_b32_e32 v49, 3, v44
	v_sub_u32_e32 v42, 29, v52
	v_and_b32_e32 v50, 7, v50
	v_cmp_gt_u32_e32 vcc, 8, v44
	v_cndmask_b32_e32 v42, v49, v42, vcc
	v_cndmask_b32_e32 v37, v37, v50, vcc
	v_lshlrev_b32_e32 v44, 16, v36
	v_lshlrev_b32_e32 v37, 20, v37
	v_and_b32_e32 v44, 0x80000000, v44
	v_lshl_add_u32 v42, v42, 23, v48
	v_or3_b32 v37, v44, v42, v37
	v_lshrrev_b32_e32 v37, 16, v37
.LBB954_223:                            ;   in Loop: Header=BB954_213 Depth=1
	s_or_b64 exec, exec, s[18:19]
.LBB954_224:                            ;   in Loop: Header=BB954_213 Depth=1
	s_or_b64 exec, exec, s[16:17]
.LBB954_225:                            ;   in Loop: Header=BB954_213 Depth=1
	s_or_b64 exec, exec, s[14:15]
	v_lshrrev_b32_e32 v42, 16, v36
	v_cmp_ne_u16_sdwa s[16:17], v42, v47 src0_sel:BYTE_0 src1_sel:DWORD
	s_and_saveexec_b64 s[14:15], s[16:17]
	s_cbranch_execz .LBB954_231
; %bb.226:                              ;   in Loop: Header=BB954_213 Depth=1
	v_cmp_ne_u16_sdwa s[18:19], v42, s9 src0_sel:BYTE_0 src1_sel:DWORD
	v_mov_b32_e32 v46, 0xffff8000
	s_and_saveexec_b64 s[16:17], s[18:19]
	s_cbranch_execz .LBB954_230
; %bb.227:                              ;   in Loop: Header=BB954_213 Depth=1
	v_bfe_u32 v44, v36, 16, 7
	v_cmp_ne_u32_e32 vcc, s23, v44
	v_mov_b32_e32 v46, 0x7f80
	s_and_saveexec_b64 s[18:19], vcc
	s_cbranch_execz .LBB954_229
; %bb.228:                              ;   in Loop: Header=BB954_213 Depth=1
	v_and_b32_e32 v46, 7, v42
	v_ffbh_u32_e32 v50, v46
	v_min_u32_e32 v52, 32, v50
	v_subrev_u32_e32 v50, 28, v52
	v_lshlrev_b64 v[50:51], v50, v[42:43]
	v_lshrrev_b32_e32 v49, 3, v44
	v_sub_u32_e32 v51, 29, v52
	v_and_b32_e32 v50, 7, v50
	v_cmp_gt_u32_e32 vcc, 8, v44
	v_cndmask_b32_e32 v44, v49, v51, vcc
	v_cndmask_b32_e32 v46, v46, v50, vcc
	v_lshlrev_b32_e32 v42, 24, v42
	v_lshlrev_b32_e32 v46, 20, v46
	v_and_b32_e32 v42, 0x80000000, v42
	v_lshl_add_u32 v44, v44, 23, v48
	v_or3_b32 v42, v42, v44, v46
	v_lshrrev_b32_e32 v46, 16, v42
.LBB954_229:                            ;   in Loop: Header=BB954_213 Depth=1
	s_or_b64 exec, exec, s[18:19]
.LBB954_230:                            ;   in Loop: Header=BB954_213 Depth=1
	s_or_b64 exec, exec, s[16:17]
.LBB954_231:                            ;   in Loop: Header=BB954_213 Depth=1
	s_or_b64 exec, exec, s[14:15]
	v_cmp_lt_u32_e32 vcc, s26, v36
	v_mov_b32_e32 v49, 0
	v_mov_b32_e32 v50, 0
	s_and_saveexec_b64 s[14:15], vcc
	s_cbranch_execz .LBB954_237
; %bb.232:                              ;   in Loop: Header=BB954_213 Depth=1
	v_lshrrev_b32_e32 v42, 24, v36
	v_cmp_ne_u32_e32 vcc, s9, v42
	v_mov_b32_e32 v50, 0xffff8000
	s_and_saveexec_b64 s[16:17], vcc
	s_cbranch_execz .LBB954_236
; %bb.233:                              ;   in Loop: Header=BB954_213 Depth=1
	v_bfe_u32 v36, v36, 24, 7
	v_cmp_ne_u32_e32 vcc, s23, v36
	v_mov_b32_e32 v50, 0x7f80
	s_and_saveexec_b64 s[18:19], vcc
	s_cbranch_execz .LBB954_235
; %bb.234:                              ;   in Loop: Header=BB954_213 Depth=1
	v_and_b32_e32 v44, 7, v42
	v_ffbh_u32_e32 v50, v44
	v_min_u32_e32 v53, 32, v50
	v_subrev_u32_e32 v50, 28, v53
	v_lshlrev_b64 v[50:51], v50, v[42:43]
	v_lshrrev_b32_e32 v52, 3, v36
	v_sub_u32_e32 v51, 29, v53
	v_and_b32_e32 v50, 7, v50
	v_cmp_gt_u32_e32 vcc, 8, v36
	v_cndmask_b32_e32 v36, v52, v51, vcc
	v_cndmask_b32_e32 v44, v44, v50, vcc
	v_lshlrev_b32_e32 v42, 24, v42
	v_lshlrev_b32_e32 v44, 20, v44
	v_and_b32_e32 v42, 0x80000000, v42
	v_lshl_add_u32 v36, v36, 23, v48
	v_or3_b32 v36, v42, v36, v44
	v_lshrrev_b32_e32 v50, 16, v36
.LBB954_235:                            ;   in Loop: Header=BB954_213 Depth=1
	s_or_b64 exec, exec, s[18:19]
.LBB954_236:                            ;   in Loop: Header=BB954_213 Depth=1
	s_or_b64 exec, exec, s[16:17]
.LBB954_237:                            ;   in Loop: Header=BB954_213 Depth=1
	s_or_b64 exec, exec, s[14:15]
	s_waitcnt vmcnt(2)
	v_cmp_ne_u16_sdwa s[16:17], v34, v47 src0_sel:BYTE_0 src1_sel:DWORD
	s_and_saveexec_b64 s[14:15], s[16:17]
	s_cbranch_execz .LBB954_243
; %bb.238:                              ;   in Loop: Header=BB954_213 Depth=1
	v_cmp_ne_u16_sdwa s[18:19], v34, s9 src0_sel:BYTE_0 src1_sel:DWORD
	v_mov_b32_e32 v49, 0xffff8000
	s_and_saveexec_b64 s[16:17], s[18:19]
	s_cbranch_execz .LBB954_242
; %bb.239:                              ;   in Loop: Header=BB954_213 Depth=1
	v_and_b32_e32 v36, 0x7f, v34
	v_cmp_ne_u32_e32 vcc, s23, v36
	v_mov_b32_e32 v49, 0x7f80
	s_and_saveexec_b64 s[18:19], vcc
	s_cbranch_execz .LBB954_241
; %bb.240:                              ;   in Loop: Header=BB954_213 Depth=1
	v_and_b32_e32 v42, 7, v34
	v_ffbh_u32_e32 v49, v42
	v_min_u32_e32 v49, 32, v49
	v_subrev_u32_e32 v51, 28, v49
	v_lshlrev_b64 v[52:53], v51, v[34:35]
	v_lshrrev_b32_e32 v44, 3, v36
	v_sub_u32_e32 v49, 29, v49
	v_and_b32_e32 v51, 7, v52
	v_cmp_gt_u32_e32 vcc, 8, v36
	v_cndmask_b32_e32 v36, v44, v49, vcc
	v_cndmask_b32_e32 v42, v42, v51, vcc
	v_lshlrev_b32_e32 v44, 24, v34
	v_lshlrev_b32_e32 v42, 20, v42
	v_and_b32_e32 v44, 0x80000000, v44
	v_lshl_add_u32 v36, v36, 23, v48
	v_or3_b32 v36, v44, v36, v42
	v_lshrrev_b32_e32 v49, 16, v36
.LBB954_241:                            ;   in Loop: Header=BB954_213 Depth=1
	s_or_b64 exec, exec, s[18:19]
.LBB954_242:                            ;   in Loop: Header=BB954_213 Depth=1
	s_or_b64 exec, exec, s[16:17]
.LBB954_243:                            ;   in Loop: Header=BB954_213 Depth=1
	s_or_b64 exec, exec, s[14:15]
	v_lshrrev_b16_e32 v36, 8, v34
	v_cmp_ne_u16_e32 vcc, 0, v36
	v_mov_b32_e32 v51, 0
	v_mov_b32_e32 v42, 0
	s_and_saveexec_b64 s[14:15], vcc
	s_cbranch_execz .LBB954_249
; %bb.244:                              ;   in Loop: Header=BB954_213 Depth=1
	v_cmp_ne_u16_e32 vcc, s9, v36
	v_mov_b32_e32 v42, 0xffff8000
	s_and_saveexec_b64 s[16:17], vcc
	s_cbranch_execz .LBB954_248
; %bb.245:                              ;   in Loop: Header=BB954_213 Depth=1
	v_and_b32_e32 v44, 0x7f, v36
	v_cmp_ne_u32_e32 vcc, s23, v44
	v_mov_b32_e32 v42, 0x7f80
	s_and_saveexec_b64 s[18:19], vcc
	s_cbranch_execz .LBB954_247
; %bb.246:                              ;   in Loop: Header=BB954_213 Depth=1
	v_and_b32_e32 v42, 7, v36
	v_ffbh_u32_e32 v52, v42
	v_min_u32_e32 v63, 32, v52
	v_subrev_u32_e32 v52, 28, v63
	v_lshlrev_b64 v[52:53], v52, v[36:37]
	v_lshrrev_b32_e32 v62, 3, v44
	v_sub_u32_e32 v36, 29, v63
	v_and_b32_e32 v52, 7, v52
	v_cmp_gt_u32_e32 vcc, 8, v44
	v_cndmask_b32_e32 v36, v62, v36, vcc
	v_cndmask_b32_e32 v42, v42, v52, vcc
	v_lshlrev_b32_e32 v44, 16, v34
	v_lshlrev_b32_e32 v42, 20, v42
	v_and_b32_e32 v44, 0x80000000, v44
	v_lshl_add_u32 v36, v36, 23, v48
	v_or3_b32 v36, v44, v36, v42
	v_lshrrev_b32_e32 v42, 16, v36
.LBB954_247:                            ;   in Loop: Header=BB954_213 Depth=1
	s_or_b64 exec, exec, s[18:19]
.LBB954_248:                            ;   in Loop: Header=BB954_213 Depth=1
	s_or_b64 exec, exec, s[16:17]
.LBB954_249:                            ;   in Loop: Header=BB954_213 Depth=1
	s_or_b64 exec, exec, s[14:15]
	v_lshrrev_b32_e32 v36, 16, v34
	v_cmp_ne_u16_sdwa s[16:17], v36, v47 src0_sel:BYTE_0 src1_sel:DWORD
	s_and_saveexec_b64 s[14:15], s[16:17]
	s_cbranch_execz .LBB954_255
; %bb.250:                              ;   in Loop: Header=BB954_213 Depth=1
	v_cmp_ne_u16_sdwa s[18:19], v36, s9 src0_sel:BYTE_0 src1_sel:DWORD
	v_mov_b32_e32 v51, 0xffff8000
	s_and_saveexec_b64 s[16:17], s[18:19]
	s_cbranch_execz .LBB954_254
; %bb.251:                              ;   in Loop: Header=BB954_213 Depth=1
	v_bfe_u32 v44, v34, 16, 7
	v_cmp_ne_u32_e32 vcc, s23, v44
	v_mov_b32_e32 v51, 0x7f80
	s_and_saveexec_b64 s[18:19], vcc
	s_cbranch_execz .LBB954_253
; %bb.252:                              ;   in Loop: Header=BB954_213 Depth=1
	v_and_b32_e32 v51, 7, v36
	v_ffbh_u32_e32 v52, v51
	v_min_u32_e32 v63, 32, v52
	v_subrev_u32_e32 v52, 28, v63
	v_lshlrev_b64 v[52:53], v52, v[36:37]
	v_lshrrev_b32_e32 v62, 3, v44
	v_sub_u32_e32 v53, 29, v63
	v_and_b32_e32 v52, 7, v52
	v_cmp_gt_u32_e32 vcc, 8, v44
	v_cndmask_b32_e32 v44, v62, v53, vcc
	v_cndmask_b32_e32 v51, v51, v52, vcc
	v_lshlrev_b32_e32 v36, 24, v36
	v_lshlrev_b32_e32 v51, 20, v51
	v_and_b32_e32 v36, 0x80000000, v36
	v_lshl_add_u32 v44, v44, 23, v48
	v_or3_b32 v36, v36, v44, v51
	v_lshrrev_b32_e32 v51, 16, v36
.LBB954_253:                            ;   in Loop: Header=BB954_213 Depth=1
	s_or_b64 exec, exec, s[18:19]
.LBB954_254:                            ;   in Loop: Header=BB954_213 Depth=1
	s_or_b64 exec, exec, s[16:17]
.LBB954_255:                            ;   in Loop: Header=BB954_213 Depth=1
	s_or_b64 exec, exec, s[14:15]
	v_cmp_lt_u32_e32 vcc, s26, v34
	v_mov_b32_e32 v44, 0
	v_mov_b32_e32 v52, 0
	s_and_saveexec_b64 s[14:15], vcc
	s_cbranch_execz .LBB954_261
; %bb.256:                              ;   in Loop: Header=BB954_213 Depth=1
	v_lshrrev_b32_e32 v36, 24, v34
	v_cmp_ne_u32_e32 vcc, s9, v36
	v_mov_b32_e32 v52, 0xffff8000
	s_and_saveexec_b64 s[16:17], vcc
	s_cbranch_execz .LBB954_260
; %bb.257:                              ;   in Loop: Header=BB954_213 Depth=1
	v_bfe_u32 v34, v34, 24, 7
	v_cmp_ne_u32_e32 vcc, s23, v34
	v_mov_b32_e32 v52, 0x7f80
	s_and_saveexec_b64 s[18:19], vcc
	s_cbranch_execz .LBB954_259
; %bb.258:                              ;   in Loop: Header=BB954_213 Depth=1
	v_and_b32_e32 v62, 7, v36
	v_ffbh_u32_e32 v52, v62
	v_min_u32_e32 v64, 32, v52
	v_subrev_u32_e32 v52, 28, v64
	v_lshlrev_b64 v[52:53], v52, v[36:37]
	v_lshrrev_b32_e32 v63, 3, v34
	v_sub_u32_e32 v53, 29, v64
	v_and_b32_e32 v52, 7, v52
	v_cmp_gt_u32_e32 vcc, 8, v34
	v_cndmask_b32_e32 v34, v63, v53, vcc
	v_cndmask_b32_e32 v52, v62, v52, vcc
	v_lshlrev_b32_e32 v36, 24, v36
	v_lshlrev_b32_e32 v52, 20, v52
	v_and_b32_e32 v36, 0x80000000, v36
	v_lshl_add_u32 v34, v34, 23, v48
	v_or3_b32 v34, v36, v34, v52
	v_lshrrev_b32_e32 v52, 16, v34
.LBB954_259:                            ;   in Loop: Header=BB954_213 Depth=1
	s_or_b64 exec, exec, s[18:19]
.LBB954_260:                            ;   in Loop: Header=BB954_213 Depth=1
	s_or_b64 exec, exec, s[16:17]
.LBB954_261:                            ;   in Loop: Header=BB954_213 Depth=1
	s_or_b64 exec, exec, s[14:15]
	v_perm_b32 v63, v50, v46, s27
	v_perm_b32 v62, v37, v35, s27
	;; [unrolled: 1-line block ×4, first 2 shown]
	s_waitcnt vmcnt(1)
	v_cmp_ne_u16_sdwa s[16:17], v40, v47 src0_sel:BYTE_0 src1_sel:DWORD
	v_mfma_f32_16x16x16bf16_1k v[34:37], v[62:63], v[2:3], 0
	v_mfma_f32_16x16x16bf16_1k v[34:37], v[50:51], v[4:5], v[34:37]
	s_and_saveexec_b64 s[14:15], s[16:17]
	s_cbranch_execz .LBB954_267
; %bb.262:                              ;   in Loop: Header=BB954_213 Depth=1
	v_cmp_ne_u16_sdwa s[18:19], v40, s9 src0_sel:BYTE_0 src1_sel:DWORD
	v_mov_b32_e32 v44, 0xffff8000
	s_and_saveexec_b64 s[16:17], s[18:19]
	s_cbranch_execz .LBB954_266
; %bb.263:                              ;   in Loop: Header=BB954_213 Depth=1
	v_and_b32_e32 v42, 0x7f, v40
	v_cmp_ne_u32_e32 vcc, s23, v42
	v_mov_b32_e32 v44, 0x7f80
	s_and_saveexec_b64 s[18:19], vcc
	s_cbranch_execz .LBB954_265
; %bb.264:                              ;   in Loop: Header=BB954_213 Depth=1
	v_and_b32_e32 v44, 7, v40
	v_ffbh_u32_e32 v49, v44
	v_min_u32_e32 v49, 32, v49
	v_subrev_u32_e32 v50, 28, v49
	v_lshlrev_b64 v[50:51], v50, v[40:41]
	v_lshrrev_b32_e32 v46, 3, v42
	v_sub_u32_e32 v49, 29, v49
	v_and_b32_e32 v50, 7, v50
	v_cmp_gt_u32_e32 vcc, 8, v42
	v_cndmask_b32_e32 v42, v46, v49, vcc
	v_cndmask_b32_e32 v44, v44, v50, vcc
	v_lshlrev_b32_e32 v46, 24, v40
	v_lshlrev_b32_e32 v44, 20, v44
	v_and_b32_e32 v46, 0x80000000, v46
	v_lshl_add_u32 v42, v42, 23, v48
	v_or3_b32 v42, v46, v42, v44
	v_lshrrev_b32_e32 v44, 16, v42
.LBB954_265:                            ;   in Loop: Header=BB954_213 Depth=1
	s_or_b64 exec, exec, s[18:19]
.LBB954_266:                            ;   in Loop: Header=BB954_213 Depth=1
	s_or_b64 exec, exec, s[16:17]
.LBB954_267:                            ;   in Loop: Header=BB954_213 Depth=1
	s_or_b64 exec, exec, s[14:15]
	v_lshrrev_b16_e32 v42, 8, v40
	v_cmp_ne_u16_e32 vcc, 0, v42
	v_mov_b32_e32 v50, 0
	v_mov_b32_e32 v46, 0
	s_and_saveexec_b64 s[14:15], vcc
	s_cbranch_execz .LBB954_273
; %bb.268:                              ;   in Loop: Header=BB954_213 Depth=1
	v_cmp_ne_u16_e32 vcc, s9, v42
	v_mov_b32_e32 v46, 0xffff8000
	s_and_saveexec_b64 s[16:17], vcc
	s_cbranch_execz .LBB954_272
; %bb.269:                              ;   in Loop: Header=BB954_213 Depth=1
	v_and_b32_e32 v49, 0x7f, v42
	v_cmp_ne_u32_e32 vcc, s23, v49
	v_mov_b32_e32 v46, 0x7f80
	s_and_saveexec_b64 s[18:19], vcc
	s_cbranch_execz .LBB954_271
; %bb.270:                              ;   in Loop: Header=BB954_213 Depth=1
	v_and_b32_e32 v46, 7, v42
	v_ffbh_u32_e32 v52, v46
	v_min_u32_e32 v62, 32, v52
	v_subrev_u32_e32 v52, 28, v62
	v_lshlrev_b64 v[52:53], v52, v[42:43]
	v_lshrrev_b32_e32 v51, 3, v49
	v_sub_u32_e32 v42, 29, v62
	v_and_b32_e32 v52, 7, v52
	v_cmp_gt_u32_e32 vcc, 8, v49
	v_cndmask_b32_e32 v42, v51, v42, vcc
	v_cndmask_b32_e32 v46, v46, v52, vcc
	v_lshlrev_b32_e32 v49, 16, v40
	v_lshlrev_b32_e32 v46, 20, v46
	v_and_b32_e32 v49, 0x80000000, v49
	v_lshl_add_u32 v42, v42, 23, v48
	v_or3_b32 v42, v49, v42, v46
	v_lshrrev_b32_e32 v46, 16, v42
.LBB954_271:                            ;   in Loop: Header=BB954_213 Depth=1
	s_or_b64 exec, exec, s[18:19]
.LBB954_272:                            ;   in Loop: Header=BB954_213 Depth=1
	s_or_b64 exec, exec, s[16:17]
.LBB954_273:                            ;   in Loop: Header=BB954_213 Depth=1
	s_or_b64 exec, exec, s[14:15]
	v_lshrrev_b32_e32 v42, 16, v40
	v_cmp_ne_u16_sdwa s[16:17], v42, v47 src0_sel:BYTE_0 src1_sel:DWORD
	s_and_saveexec_b64 s[14:15], s[16:17]
	s_cbranch_execz .LBB954_279
; %bb.274:                              ;   in Loop: Header=BB954_213 Depth=1
	v_cmp_ne_u16_sdwa s[18:19], v42, s9 src0_sel:BYTE_0 src1_sel:DWORD
	v_mov_b32_e32 v50, 0xffff8000
	s_and_saveexec_b64 s[16:17], s[18:19]
	s_cbranch_execz .LBB954_278
; %bb.275:                              ;   in Loop: Header=BB954_213 Depth=1
	v_bfe_u32 v49, v40, 16, 7
	v_cmp_ne_u32_e32 vcc, s23, v49
	v_mov_b32_e32 v50, 0x7f80
	s_and_saveexec_b64 s[18:19], vcc
	s_cbranch_execz .LBB954_277
; %bb.276:                              ;   in Loop: Header=BB954_213 Depth=1
	v_and_b32_e32 v52, 7, v42
	v_ffbh_u32_e32 v50, v52
	v_min_u32_e32 v62, 32, v50
	v_subrev_u32_e32 v50, 28, v62
	v_lshlrev_b64 v[50:51], v50, v[42:43]
	v_lshrrev_b32_e32 v53, 3, v49
	v_sub_u32_e32 v51, 29, v62
	v_and_b32_e32 v50, 7, v50
	v_cmp_gt_u32_e32 vcc, 8, v49
	v_cndmask_b32_e32 v49, v53, v51, vcc
	v_cndmask_b32_e32 v50, v52, v50, vcc
	v_lshlrev_b32_e32 v42, 24, v42
	v_lshlrev_b32_e32 v50, 20, v50
	v_and_b32_e32 v42, 0x80000000, v42
	v_lshl_add_u32 v49, v49, 23, v48
	v_or3_b32 v42, v42, v49, v50
	v_lshrrev_b32_e32 v50, 16, v42
.LBB954_277:                            ;   in Loop: Header=BB954_213 Depth=1
	s_or_b64 exec, exec, s[18:19]
.LBB954_278:                            ;   in Loop: Header=BB954_213 Depth=1
	s_or_b64 exec, exec, s[16:17]
.LBB954_279:                            ;   in Loop: Header=BB954_213 Depth=1
	s_or_b64 exec, exec, s[14:15]
	v_cmp_lt_u32_e32 vcc, s26, v40
	v_mov_b32_e32 v51, 0
	v_mov_b32_e32 v52, 0
	s_and_saveexec_b64 s[14:15], vcc
	s_cbranch_execz .LBB954_285
; %bb.280:                              ;   in Loop: Header=BB954_213 Depth=1
	v_lshrrev_b32_e32 v42, 24, v40
	v_cmp_ne_u32_e32 vcc, s9, v42
	v_mov_b32_e32 v52, 0xffff8000
	s_and_saveexec_b64 s[16:17], vcc
	s_cbranch_execz .LBB954_284
; %bb.281:                              ;   in Loop: Header=BB954_213 Depth=1
	v_bfe_u32 v40, v40, 24, 7
	v_cmp_ne_u32_e32 vcc, s23, v40
	v_mov_b32_e32 v52, 0x7f80
	s_and_saveexec_b64 s[18:19], vcc
	s_cbranch_execz .LBB954_283
; %bb.282:                              ;   in Loop: Header=BB954_213 Depth=1
	v_and_b32_e32 v49, 7, v42
	v_ffbh_u32_e32 v52, v49
	v_min_u32_e32 v63, 32, v52
	v_subrev_u32_e32 v52, 28, v63
	v_lshlrev_b64 v[52:53], v52, v[42:43]
	v_lshrrev_b32_e32 v62, 3, v40
	v_sub_u32_e32 v53, 29, v63
	v_and_b32_e32 v52, 7, v52
	v_cmp_gt_u32_e32 vcc, 8, v40
	v_cndmask_b32_e32 v40, v62, v53, vcc
	v_cndmask_b32_e32 v49, v49, v52, vcc
	v_lshlrev_b32_e32 v42, 24, v42
	v_lshlrev_b32_e32 v49, 20, v49
	v_and_b32_e32 v42, 0x80000000, v42
	v_lshl_add_u32 v40, v40, 23, v48
	v_or3_b32 v40, v42, v40, v49
	v_lshrrev_b32_e32 v52, 16, v40
.LBB954_283:                            ;   in Loop: Header=BB954_213 Depth=1
	s_or_b64 exec, exec, s[18:19]
.LBB954_284:                            ;   in Loop: Header=BB954_213 Depth=1
	s_or_b64 exec, exec, s[16:17]
.LBB954_285:                            ;   in Loop: Header=BB954_213 Depth=1
	s_or_b64 exec, exec, s[14:15]
	s_waitcnt vmcnt(0)
	v_cmp_ne_u16_sdwa s[16:17], v38, v47 src0_sel:BYTE_0 src1_sel:DWORD
	s_and_saveexec_b64 s[14:15], s[16:17]
	s_cbranch_execz .LBB954_291
; %bb.286:                              ;   in Loop: Header=BB954_213 Depth=1
	v_cmp_ne_u16_sdwa s[18:19], v38, s9 src0_sel:BYTE_0 src1_sel:DWORD
	v_mov_b32_e32 v51, 0xffff8000
	s_and_saveexec_b64 s[16:17], s[18:19]
	s_cbranch_execz .LBB954_290
; %bb.287:                              ;   in Loop: Header=BB954_213 Depth=1
	v_and_b32_e32 v40, 0x7f, v38
	v_cmp_ne_u32_e32 vcc, s23, v40
	v_mov_b32_e32 v51, 0x7f80
	s_and_saveexec_b64 s[18:19], vcc
	s_cbranch_execz .LBB954_289
; %bb.288:                              ;   in Loop: Header=BB954_213 Depth=1
	v_and_b32_e32 v42, 7, v38
	v_ffbh_u32_e32 v51, v42
	v_min_u32_e32 v51, 32, v51
	v_subrev_u32_e32 v53, 28, v51
	v_lshlrev_b64 v[62:63], v53, v[38:39]
	v_lshrrev_b32_e32 v49, 3, v40
	v_sub_u32_e32 v51, 29, v51
	v_and_b32_e32 v53, 7, v62
	v_cmp_gt_u32_e32 vcc, 8, v40
	v_cndmask_b32_e32 v40, v49, v51, vcc
	v_cndmask_b32_e32 v42, v42, v53, vcc
	v_lshlrev_b32_e32 v49, 24, v38
	v_lshlrev_b32_e32 v42, 20, v42
	v_and_b32_e32 v49, 0x80000000, v49
	v_lshl_add_u32 v40, v40, 23, v48
	v_or3_b32 v40, v49, v40, v42
	v_lshrrev_b32_e32 v51, 16, v40
.LBB954_289:                            ;   in Loop: Header=BB954_213 Depth=1
	s_or_b64 exec, exec, s[18:19]
.LBB954_290:                            ;   in Loop: Header=BB954_213 Depth=1
	s_or_b64 exec, exec, s[16:17]
.LBB954_291:                            ;   in Loop: Header=BB954_213 Depth=1
	s_or_b64 exec, exec, s[14:15]
	v_lshrrev_b16_e32 v40, 8, v38
	v_cmp_ne_u16_e32 vcc, 0, v40
	v_mov_b32_e32 v62, 0
	v_mov_b32_e32 v53, 0
	s_and_saveexec_b64 s[14:15], vcc
	s_cbranch_execz .LBB954_297
; %bb.292:                              ;   in Loop: Header=BB954_213 Depth=1
	v_cmp_ne_u16_e32 vcc, s9, v40
	v_mov_b32_e32 v53, 0xffff8000
	s_and_saveexec_b64 s[16:17], vcc
	s_cbranch_execz .LBB954_296
; %bb.293:                              ;   in Loop: Header=BB954_213 Depth=1
	v_and_b32_e32 v42, 0x7f, v40
	v_cmp_ne_u32_e32 vcc, s23, v42
	v_mov_b32_e32 v53, 0x7f80
	s_and_saveexec_b64 s[18:19], vcc
	s_cbranch_execz .LBB954_295
; %bb.294:                              ;   in Loop: Header=BB954_213 Depth=1
	v_and_b32_e32 v49, 7, v40
	v_ffbh_u32_e32 v63, v49
	v_min_u32_e32 v63, 32, v63
	v_subrev_u32_e32 v64, 28, v63
	v_lshlrev_b64 v[64:65], v64, v[40:41]
	v_lshrrev_b32_e32 v53, 3, v42
	v_sub_u32_e32 v40, 29, v63
	v_and_b32_e32 v63, 7, v64
	v_cmp_gt_u32_e32 vcc, 8, v42
	v_cndmask_b32_e32 v40, v53, v40, vcc
	v_cndmask_b32_e32 v42, v49, v63, vcc
	v_lshlrev_b32_e32 v49, 16, v38
	v_lshlrev_b32_e32 v42, 20, v42
	v_and_b32_e32 v49, 0x80000000, v49
	v_lshl_add_u32 v40, v40, 23, v48
	v_or3_b32 v40, v49, v40, v42
	v_lshrrev_b32_e32 v53, 16, v40
.LBB954_295:                            ;   in Loop: Header=BB954_213 Depth=1
	s_or_b64 exec, exec, s[18:19]
.LBB954_296:                            ;   in Loop: Header=BB954_213 Depth=1
	s_or_b64 exec, exec, s[16:17]
.LBB954_297:                            ;   in Loop: Header=BB954_213 Depth=1
	s_or_b64 exec, exec, s[14:15]
	v_lshrrev_b32_e32 v40, 16, v38
	v_cmp_ne_u16_sdwa s[16:17], v40, v47 src0_sel:BYTE_0 src1_sel:DWORD
	s_and_saveexec_b64 s[14:15], s[16:17]
	s_cbranch_execz .LBB954_303
; %bb.298:                              ;   in Loop: Header=BB954_213 Depth=1
	v_cmp_ne_u16_sdwa s[18:19], v40, s9 src0_sel:BYTE_0 src1_sel:DWORD
	v_mov_b32_e32 v62, 0xffff8000
	s_and_saveexec_b64 s[16:17], s[18:19]
	s_cbranch_execz .LBB954_302
; %bb.299:                              ;   in Loop: Header=BB954_213 Depth=1
	v_bfe_u32 v42, v38, 16, 7
	v_cmp_ne_u32_e32 vcc, s23, v42
	v_mov_b32_e32 v62, 0x7f80
	s_and_saveexec_b64 s[18:19], vcc
	s_cbranch_execz .LBB954_301
; %bb.300:                              ;   in Loop: Header=BB954_213 Depth=1
	v_and_b32_e32 v49, 7, v40
	v_ffbh_u32_e32 v62, v49
	v_min_u32_e32 v65, 32, v62
	v_subrev_u32_e32 v62, 28, v65
	v_lshlrev_b64 v[62:63], v62, v[40:41]
	v_lshrrev_b32_e32 v64, 3, v42
	v_sub_u32_e32 v63, 29, v65
	v_and_b32_e32 v62, 7, v62
	v_cmp_gt_u32_e32 vcc, 8, v42
	v_cndmask_b32_e32 v42, v64, v63, vcc
	v_cndmask_b32_e32 v49, v49, v62, vcc
	v_lshlrev_b32_e32 v40, 24, v40
	v_lshlrev_b32_e32 v49, 20, v49
	v_and_b32_e32 v40, 0x80000000, v40
	v_lshl_add_u32 v42, v42, 23, v48
	v_or3_b32 v40, v40, v42, v49
	v_lshrrev_b32_e32 v62, 16, v40
.LBB954_301:                            ;   in Loop: Header=BB954_213 Depth=1
	s_or_b64 exec, exec, s[18:19]
.LBB954_302:                            ;   in Loop: Header=BB954_213 Depth=1
	s_or_b64 exec, exec, s[16:17]
.LBB954_303:                            ;   in Loop: Header=BB954_213 Depth=1
	s_or_b64 exec, exec, s[14:15]
	v_cmp_lt_u32_e32 vcc, s26, v38
	v_mov_b32_e32 v49, 0
	v_mov_b32_e32 v63, 0
	s_and_saveexec_b64 s[14:15], vcc
	s_cbranch_execz .LBB954_309
; %bb.304:                              ;   in Loop: Header=BB954_213 Depth=1
	v_lshrrev_b32_e32 v40, 24, v38
	v_cmp_ne_u32_e32 vcc, s9, v40
	v_mov_b32_e32 v63, 0xffff8000
	s_and_saveexec_b64 s[16:17], vcc
	s_cbranch_execz .LBB954_308
; %bb.305:                              ;   in Loop: Header=BB954_213 Depth=1
	v_bfe_u32 v38, v38, 24, 7
	v_cmp_ne_u32_e32 vcc, s23, v38
	v_mov_b32_e32 v63, 0x7f80
	s_and_saveexec_b64 s[18:19], vcc
	s_cbranch_execz .LBB954_307
; %bb.306:                              ;   in Loop: Header=BB954_213 Depth=1
	v_and_b32_e32 v42, 7, v40
	v_ffbh_u32_e32 v64, v42
	v_min_u32_e32 v66, 32, v64
	v_subrev_u32_e32 v64, 28, v66
	v_lshlrev_b64 v[64:65], v64, v[40:41]
	v_lshrrev_b32_e32 v63, 3, v38
	v_sub_u32_e32 v65, 29, v66
	v_and_b32_e32 v64, 7, v64
	v_cmp_gt_u32_e32 vcc, 8, v38
	v_cndmask_b32_e32 v38, v63, v65, vcc
	v_cndmask_b32_e32 v42, v42, v64, vcc
	v_lshlrev_b32_e32 v40, 24, v40
	v_lshlrev_b32_e32 v42, 20, v42
	v_and_b32_e32 v40, 0x80000000, v40
	v_lshl_add_u32 v38, v38, 23, v48
	v_or3_b32 v38, v40, v38, v42
	v_lshrrev_b32_e32 v63, 16, v38
.LBB954_307:                            ;   in Loop: Header=BB954_213 Depth=1
	s_or_b64 exec, exec, s[18:19]
.LBB954_308:                            ;   in Loop: Header=BB954_213 Depth=1
	s_or_b64 exec, exec, s[16:17]
.LBB954_309:                            ;   in Loop: Header=BB954_213 Depth=1
	s_or_b64 exec, exec, s[14:15]
	v_perm_b32 v64, v46, v44, s27
	buffer_load_dword v44, v61, s[0:3], 0 offen
	buffer_load_dword v42, v61, s[0:3], 0 offen offset:4
	buffer_load_dword v40, v61, s[0:3], 0 offen offset:8
	;; [unrolled: 1-line block ×3, first 2 shown]
	v_perm_b32 v65, v52, v50, s27
	v_perm_b32 v63, v63, v62, s27
	;; [unrolled: 1-line block ×3, first 2 shown]
	v_mfma_f32_16x16x16bf16_1k v[34:37], v[64:65], v[6:7], v[34:37]
	s_waitcnt vmcnt(3)
	v_cmp_ne_u16_sdwa s[16:17], v44, v47 src0_sel:BYTE_0 src1_sel:DWORD
	v_mfma_f32_16x16x16bf16_1k v[34:37], v[62:63], v[8:9], v[34:37]
	s_and_saveexec_b64 s[14:15], s[16:17]
	s_cbranch_execz .LBB954_315
; %bb.310:                              ;   in Loop: Header=BB954_213 Depth=1
	v_cmp_ne_u16_sdwa s[18:19], v44, s9 src0_sel:BYTE_0 src1_sel:DWORD
	v_mov_b32_e32 v49, 0xffff8000
	s_and_saveexec_b64 s[16:17], s[18:19]
	s_cbranch_execz .LBB954_314
; %bb.311:                              ;   in Loop: Header=BB954_213 Depth=1
	v_and_b32_e32 v46, 0x7f, v44
	v_cmp_ne_u32_e32 vcc, s23, v46
	v_mov_b32_e32 v49, 0x7f80
	s_and_saveexec_b64 s[18:19], vcc
	s_cbranch_execz .LBB954_313
; %bb.312:                              ;   in Loop: Header=BB954_213 Depth=1
	v_and_b32_e32 v49, 7, v44
	v_ffbh_u32_e32 v50, v49
	v_min_u32_e32 v53, 32, v50
	v_subrev_u32_e32 v50, 28, v53
	v_lshlrev_b64 v[50:51], v50, v[44:45]
	v_lshrrev_b32_e32 v52, 3, v46
	v_sub_u32_e32 v51, 29, v53
	v_and_b32_e32 v50, 7, v50
	v_cmp_gt_u32_e32 vcc, 8, v46
	v_cndmask_b32_e32 v46, v52, v51, vcc
	v_cndmask_b32_e32 v49, v49, v50, vcc
	v_lshlrev_b32_e32 v50, 24, v44
	v_lshlrev_b32_e32 v49, 20, v49
	v_and_b32_e32 v50, 0x80000000, v50
	v_lshl_add_u32 v46, v46, 23, v48
	v_or3_b32 v46, v50, v46, v49
	v_lshrrev_b32_e32 v49, 16, v46
.LBB954_313:                            ;   in Loop: Header=BB954_213 Depth=1
	s_or_b64 exec, exec, s[18:19]
.LBB954_314:                            ;   in Loop: Header=BB954_213 Depth=1
	s_or_b64 exec, exec, s[16:17]
.LBB954_315:                            ;   in Loop: Header=BB954_213 Depth=1
	s_or_b64 exec, exec, s[14:15]
	v_lshrrev_b16_e32 v46, 8, v44
	v_cmp_ne_u16_e32 vcc, 0, v46
	v_mov_b32_e32 v51, 0
	v_mov_b32_e32 v50, 0
	s_and_saveexec_b64 s[14:15], vcc
	s_cbranch_execz .LBB954_321
; %bb.316:                              ;   in Loop: Header=BB954_213 Depth=1
	v_cmp_ne_u16_e32 vcc, s9, v46
	v_mov_b32_e32 v50, 0xffff8000
	s_and_saveexec_b64 s[16:17], vcc
	s_cbranch_execz .LBB954_320
; %bb.317:                              ;   in Loop: Header=BB954_213 Depth=1
	v_and_b32_e32 v52, 0x7f, v46
	v_cmp_ne_u32_e32 vcc, s23, v52
	v_mov_b32_e32 v50, 0x7f80
	s_and_saveexec_b64 s[18:19], vcc
	s_cbranch_execz .LBB954_319
; %bb.318:                              ;   in Loop: Header=BB954_213 Depth=1
	v_and_b32_e32 v50, 7, v46
	v_ffbh_u32_e32 v61, v50
	v_min_u32_e32 v61, 32, v61
	v_subrev_u32_e32 v62, 28, v61
	v_lshlrev_b64 v[62:63], v62, v[46:47]
	v_lshrrev_b32_e32 v53, 3, v52
	v_sub_u32_e32 v46, 29, v61
	v_and_b32_e32 v61, 7, v62
	v_cmp_gt_u32_e32 vcc, 8, v52
	v_cndmask_b32_e32 v46, v53, v46, vcc
	v_cndmask_b32_e32 v50, v50, v61, vcc
	v_lshlrev_b32_e32 v52, 16, v44
	v_lshlrev_b32_e32 v50, 20, v50
	v_and_b32_e32 v52, 0x80000000, v52
	v_lshl_add_u32 v46, v46, 23, v48
	v_or3_b32 v46, v52, v46, v50
	v_lshrrev_b32_e32 v50, 16, v46
.LBB954_319:                            ;   in Loop: Header=BB954_213 Depth=1
	s_or_b64 exec, exec, s[18:19]
.LBB954_320:                            ;   in Loop: Header=BB954_213 Depth=1
	s_or_b64 exec, exec, s[16:17]
.LBB954_321:                            ;   in Loop: Header=BB954_213 Depth=1
	s_or_b64 exec, exec, s[14:15]
	v_lshrrev_b32_e32 v46, 16, v44
	v_cmp_ne_u16_sdwa s[16:17], v46, v47 src0_sel:BYTE_0 src1_sel:DWORD
	s_and_saveexec_b64 s[14:15], s[16:17]
	s_cbranch_execz .LBB954_327
; %bb.322:                              ;   in Loop: Header=BB954_213 Depth=1
	v_cmp_ne_u16_sdwa s[18:19], v46, s9 src0_sel:BYTE_0 src1_sel:DWORD
	v_mov_b32_e32 v51, 0xffff8000
	s_and_saveexec_b64 s[16:17], s[18:19]
	s_cbranch_execz .LBB954_326
; %bb.323:                              ;   in Loop: Header=BB954_213 Depth=1
	v_bfe_u32 v52, v44, 16, 7
	v_cmp_ne_u32_e32 vcc, s23, v52
	v_mov_b32_e32 v51, 0x7f80
	s_and_saveexec_b64 s[18:19], vcc
	s_cbranch_execz .LBB954_325
; %bb.324:                              ;   in Loop: Header=BB954_213 Depth=1
	v_and_b32_e32 v51, 7, v46
	v_ffbh_u32_e32 v61, v51
	v_min_u32_e32 v61, 32, v61
	v_subrev_u32_e32 v62, 28, v61
	v_lshlrev_b64 v[62:63], v62, v[46:47]
	v_lshrrev_b32_e32 v53, 3, v52
	v_sub_u32_e32 v61, 29, v61
	v_and_b32_e32 v62, 7, v62
	v_cmp_gt_u32_e32 vcc, 8, v52
	v_cndmask_b32_e32 v52, v53, v61, vcc
	v_cndmask_b32_e32 v51, v51, v62, vcc
	v_lshlrev_b32_e32 v46, 24, v46
	v_lshlrev_b32_e32 v51, 20, v51
	v_and_b32_e32 v46, 0x80000000, v46
	v_lshl_add_u32 v52, v52, 23, v48
	v_or3_b32 v46, v46, v52, v51
	v_lshrrev_b32_e32 v51, 16, v46
.LBB954_325:                            ;   in Loop: Header=BB954_213 Depth=1
	s_or_b64 exec, exec, s[18:19]
.LBB954_326:                            ;   in Loop: Header=BB954_213 Depth=1
	s_or_b64 exec, exec, s[16:17]
.LBB954_327:                            ;   in Loop: Header=BB954_213 Depth=1
	s_or_b64 exec, exec, s[14:15]
	v_cmp_lt_u32_e32 vcc, s26, v44
	v_mov_b32_e32 v52, 0
	v_mov_b32_e32 v53, 0
	s_and_saveexec_b64 s[14:15], vcc
	s_cbranch_execz .LBB954_333
; %bb.328:                              ;   in Loop: Header=BB954_213 Depth=1
	v_lshrrev_b32_e32 v46, 24, v44
	v_cmp_ne_u32_e32 vcc, s9, v46
	v_mov_b32_e32 v53, 0xffff8000
	s_and_saveexec_b64 s[16:17], vcc
	s_cbranch_execz .LBB954_332
; %bb.329:                              ;   in Loop: Header=BB954_213 Depth=1
	v_bfe_u32 v44, v44, 24, 7
	v_cmp_ne_u32_e32 vcc, s23, v44
	v_mov_b32_e32 v53, 0x7f80
	s_and_saveexec_b64 s[18:19], vcc
	s_cbranch_execz .LBB954_331
; %bb.330:                              ;   in Loop: Header=BB954_213 Depth=1
	v_and_b32_e32 v53, 7, v46
	v_ffbh_u32_e32 v62, v53
	v_min_u32_e32 v64, 32, v62
	v_subrev_u32_e32 v62, 28, v64
	v_lshlrev_b64 v[62:63], v62, v[46:47]
	v_lshrrev_b32_e32 v61, 3, v44
	v_sub_u32_e32 v63, 29, v64
	v_and_b32_e32 v62, 7, v62
	v_cmp_gt_u32_e32 vcc, 8, v44
	v_cndmask_b32_e32 v44, v61, v63, vcc
	v_cndmask_b32_e32 v53, v53, v62, vcc
	v_lshlrev_b32_e32 v46, 24, v46
	v_lshlrev_b32_e32 v53, 20, v53
	v_and_b32_e32 v46, 0x80000000, v46
	v_lshl_add_u32 v44, v44, 23, v48
	v_or3_b32 v44, v46, v44, v53
	v_lshrrev_b32_e32 v53, 16, v44
.LBB954_331:                            ;   in Loop: Header=BB954_213 Depth=1
	s_or_b64 exec, exec, s[18:19]
.LBB954_332:                            ;   in Loop: Header=BB954_213 Depth=1
	s_or_b64 exec, exec, s[16:17]
.LBB954_333:                            ;   in Loop: Header=BB954_213 Depth=1
	s_or_b64 exec, exec, s[14:15]
	s_waitcnt vmcnt(2)
	v_cmp_ne_u16_sdwa s[16:17], v42, v47 src0_sel:BYTE_0 src1_sel:DWORD
	s_and_saveexec_b64 s[14:15], s[16:17]
	s_cbranch_execz .LBB954_339
; %bb.334:                              ;   in Loop: Header=BB954_213 Depth=1
	v_cmp_ne_u16_sdwa s[18:19], v42, s9 src0_sel:BYTE_0 src1_sel:DWORD
	v_mov_b32_e32 v52, 0xffff8000
	s_and_saveexec_b64 s[16:17], s[18:19]
	s_cbranch_execz .LBB954_338
; %bb.335:                              ;   in Loop: Header=BB954_213 Depth=1
	v_and_b32_e32 v44, 0x7f, v42
	v_cmp_ne_u32_e32 vcc, s23, v44
	v_mov_b32_e32 v52, 0x7f80
	s_and_saveexec_b64 s[18:19], vcc
	s_cbranch_execz .LBB954_337
; %bb.336:                              ;   in Loop: Header=BB954_213 Depth=1
	v_and_b32_e32 v46, 7, v42
	v_ffbh_u32_e32 v61, v46
	v_min_u32_e32 v61, 32, v61
	v_subrev_u32_e32 v62, 28, v61
	v_lshlrev_b64 v[62:63], v62, v[42:43]
	v_lshrrev_b32_e32 v52, 3, v44
	v_sub_u32_e32 v61, 29, v61
	v_and_b32_e32 v62, 7, v62
	v_cmp_gt_u32_e32 vcc, 8, v44
	v_cndmask_b32_e32 v44, v52, v61, vcc
	v_cndmask_b32_e32 v46, v46, v62, vcc
	v_lshlrev_b32_e32 v52, 24, v42
	v_lshlrev_b32_e32 v46, 20, v46
	v_and_b32_e32 v52, 0x80000000, v52
	v_lshl_add_u32 v44, v44, 23, v48
	v_or3_b32 v44, v52, v44, v46
	v_lshrrev_b32_e32 v52, 16, v44
.LBB954_337:                            ;   in Loop: Header=BB954_213 Depth=1
	s_or_b64 exec, exec, s[18:19]
.LBB954_338:                            ;   in Loop: Header=BB954_213 Depth=1
	s_or_b64 exec, exec, s[16:17]
.LBB954_339:                            ;   in Loop: Header=BB954_213 Depth=1
	s_or_b64 exec, exec, s[14:15]
	v_lshrrev_b16_e32 v44, 8, v42
	v_cmp_ne_u16_e32 vcc, 0, v44
	v_mov_b32_e32 v62, 0
	v_mov_b32_e32 v61, 0
	s_and_saveexec_b64 s[14:15], vcc
	s_cbranch_execz .LBB954_345
; %bb.340:                              ;   in Loop: Header=BB954_213 Depth=1
	v_cmp_ne_u16_e32 vcc, s9, v44
	v_mov_b32_e32 v61, 0xffff8000
	s_and_saveexec_b64 s[16:17], vcc
	s_cbranch_execz .LBB954_344
; %bb.341:                              ;   in Loop: Header=BB954_213 Depth=1
	v_and_b32_e32 v46, 0x7f, v44
	v_cmp_ne_u32_e32 vcc, s23, v46
	v_mov_b32_e32 v61, 0x7f80
	s_and_saveexec_b64 s[18:19], vcc
	s_cbranch_execz .LBB954_343
; %bb.342:                              ;   in Loop: Header=BB954_213 Depth=1
	v_and_b32_e32 v61, 7, v44
	v_ffbh_u32_e32 v64, v61
	v_min_u32_e32 v66, 32, v64
	v_subrev_u32_e32 v64, 28, v66
	v_lshlrev_b64 v[64:65], v64, v[44:45]
	v_lshrrev_b32_e32 v63, 3, v46
	v_sub_u32_e32 v44, 29, v66
	v_and_b32_e32 v64, 7, v64
	v_cmp_gt_u32_e32 vcc, 8, v46
	v_cndmask_b32_e32 v44, v63, v44, vcc
	v_cndmask_b32_e32 v46, v61, v64, vcc
	v_lshlrev_b32_e32 v61, 16, v42
	v_lshlrev_b32_e32 v46, 20, v46
	v_and_b32_e32 v61, 0x80000000, v61
	v_lshl_add_u32 v44, v44, 23, v48
	v_or3_b32 v44, v61, v44, v46
	v_lshrrev_b32_e32 v61, 16, v44
.LBB954_343:                            ;   in Loop: Header=BB954_213 Depth=1
	s_or_b64 exec, exec, s[18:19]
.LBB954_344:                            ;   in Loop: Header=BB954_213 Depth=1
	s_or_b64 exec, exec, s[16:17]
.LBB954_345:                            ;   in Loop: Header=BB954_213 Depth=1
	s_or_b64 exec, exec, s[14:15]
	v_lshrrev_b32_e32 v44, 16, v42
	v_cmp_ne_u16_sdwa s[16:17], v44, v47 src0_sel:BYTE_0 src1_sel:DWORD
	s_and_saveexec_b64 s[14:15], s[16:17]
	s_cbranch_execz .LBB954_351
; %bb.346:                              ;   in Loop: Header=BB954_213 Depth=1
	v_cmp_ne_u16_sdwa s[18:19], v44, s9 src0_sel:BYTE_0 src1_sel:DWORD
	v_mov_b32_e32 v62, 0xffff8000
	s_and_saveexec_b64 s[16:17], s[18:19]
	s_cbranch_execz .LBB954_350
; %bb.347:                              ;   in Loop: Header=BB954_213 Depth=1
	v_bfe_u32 v46, v42, 16, 7
	v_cmp_ne_u32_e32 vcc, s23, v46
	v_mov_b32_e32 v62, 0x7f80
	s_and_saveexec_b64 s[18:19], vcc
	s_cbranch_execz .LBB954_349
; %bb.348:                              ;   in Loop: Header=BB954_213 Depth=1
	v_and_b32_e32 v64, 7, v44
	v_ffbh_u32_e32 v62, v64
	v_min_u32_e32 v66, 32, v62
	v_subrev_u32_e32 v62, 28, v66
	v_lshlrev_b64 v[62:63], v62, v[44:45]
	v_lshrrev_b32_e32 v65, 3, v46
	v_sub_u32_e32 v63, 29, v66
	v_and_b32_e32 v62, 7, v62
	v_cmp_gt_u32_e32 vcc, 8, v46
	v_cndmask_b32_e32 v46, v65, v63, vcc
	v_cndmask_b32_e32 v62, v64, v62, vcc
	v_lshlrev_b32_e32 v44, 24, v44
	v_lshlrev_b32_e32 v62, 20, v62
	v_and_b32_e32 v44, 0x80000000, v44
	v_lshl_add_u32 v46, v46, 23, v48
	v_or3_b32 v44, v44, v46, v62
	v_lshrrev_b32_e32 v62, 16, v44
.LBB954_349:                            ;   in Loop: Header=BB954_213 Depth=1
	s_or_b64 exec, exec, s[18:19]
.LBB954_350:                            ;   in Loop: Header=BB954_213 Depth=1
	s_or_b64 exec, exec, s[16:17]
.LBB954_351:                            ;   in Loop: Header=BB954_213 Depth=1
	s_or_b64 exec, exec, s[14:15]
	v_cmp_lt_u32_e32 vcc, s26, v42
	v_mov_b32_e32 v46, 0
	v_mov_b32_e32 v63, 0
	s_and_saveexec_b64 s[14:15], vcc
	s_cbranch_execz .LBB954_357
; %bb.352:                              ;   in Loop: Header=BB954_213 Depth=1
	v_lshrrev_b32_e32 v44, 24, v42
	v_cmp_ne_u32_e32 vcc, s9, v44
	v_mov_b32_e32 v63, 0xffff8000
	s_and_saveexec_b64 s[16:17], vcc
	s_cbranch_execz .LBB954_356
; %bb.353:                              ;   in Loop: Header=BB954_213 Depth=1
	v_bfe_u32 v42, v42, 24, 7
	v_cmp_ne_u32_e32 vcc, s23, v42
	v_mov_b32_e32 v63, 0x7f80
	s_and_saveexec_b64 s[18:19], vcc
	s_cbranch_execz .LBB954_355
; %bb.354:                              ;   in Loop: Header=BB954_213 Depth=1
	v_and_b32_e32 v63, 7, v44
	v_ffbh_u32_e32 v64, v63
	v_min_u32_e32 v67, 32, v64
	v_subrev_u32_e32 v64, 28, v67
	v_lshlrev_b64 v[64:65], v64, v[44:45]
	v_lshrrev_b32_e32 v66, 3, v42
	v_sub_u32_e32 v65, 29, v67
	v_and_b32_e32 v64, 7, v64
	v_cmp_gt_u32_e32 vcc, 8, v42
	v_cndmask_b32_e32 v42, v66, v65, vcc
	v_cndmask_b32_e32 v63, v63, v64, vcc
	v_lshlrev_b32_e32 v44, 24, v44
	v_lshlrev_b32_e32 v63, 20, v63
	v_and_b32_e32 v44, 0x80000000, v44
	v_lshl_add_u32 v42, v42, 23, v48
	v_or3_b32 v42, v44, v42, v63
	v_lshrrev_b32_e32 v63, 16, v42
.LBB954_355:                            ;   in Loop: Header=BB954_213 Depth=1
	s_or_b64 exec, exec, s[18:19]
.LBB954_356:                            ;   in Loop: Header=BB954_213 Depth=1
	s_or_b64 exec, exec, s[16:17]
.LBB954_357:                            ;   in Loop: Header=BB954_213 Depth=1
	s_or_b64 exec, exec, s[14:15]
	v_perm_b32 v51, v53, v51, s27
	v_perm_b32 v50, v50, v49, s27
	s_waitcnt vmcnt(1)
	v_cmp_ne_u16_sdwa s[16:17], v40, v47 src0_sel:BYTE_0 src1_sel:DWORD
	v_mfma_f32_16x16x16bf16_1k v[34:37], v[50:51], v[10:11], v[34:37]
	v_perm_b32 v51, v63, v62, s27
	v_perm_b32 v50, v61, v52, s27
	s_nop 1
	v_mfma_f32_16x16x16bf16_1k v[34:37], v[50:51], v[12:13], v[34:37]
	s_and_saveexec_b64 s[14:15], s[16:17]
	s_cbranch_execz .LBB954_363
; %bb.358:                              ;   in Loop: Header=BB954_213 Depth=1
	v_cmp_ne_u16_sdwa s[18:19], v40, s9 src0_sel:BYTE_0 src1_sel:DWORD
	v_mov_b32_e32 v46, 0xffff8000
	s_and_saveexec_b64 s[16:17], s[18:19]
	s_cbranch_execz .LBB954_362
; %bb.359:                              ;   in Loop: Header=BB954_213 Depth=1
	v_and_b32_e32 v42, 0x7f, v40
	v_cmp_ne_u32_e32 vcc, s23, v42
	v_mov_b32_e32 v46, 0x7f80
	s_and_saveexec_b64 s[18:19], vcc
	s_cbranch_execz .LBB954_361
; %bb.360:                              ;   in Loop: Header=BB954_213 Depth=1
	v_and_b32_e32 v44, 7, v40
	v_ffbh_u32_e32 v49, v44
	v_min_u32_e32 v49, 32, v49
	v_subrev_u32_e32 v50, 28, v49
	v_lshlrev_b64 v[50:51], v50, v[40:41]
	v_lshrrev_b32_e32 v46, 3, v42
	v_sub_u32_e32 v49, 29, v49
	v_and_b32_e32 v50, 7, v50
	v_cmp_gt_u32_e32 vcc, 8, v42
	v_cndmask_b32_e32 v42, v46, v49, vcc
	v_cndmask_b32_e32 v44, v44, v50, vcc
	v_lshlrev_b32_e32 v46, 24, v40
	v_lshlrev_b32_e32 v44, 20, v44
	v_and_b32_e32 v46, 0x80000000, v46
	v_lshl_add_u32 v42, v42, 23, v48
	v_or3_b32 v42, v46, v42, v44
	v_lshrrev_b32_e32 v46, 16, v42
.LBB954_361:                            ;   in Loop: Header=BB954_213 Depth=1
	s_or_b64 exec, exec, s[18:19]
.LBB954_362:                            ;   in Loop: Header=BB954_213 Depth=1
	s_or_b64 exec, exec, s[16:17]
.LBB954_363:                            ;   in Loop: Header=BB954_213 Depth=1
	s_or_b64 exec, exec, s[14:15]
	v_lshrrev_b16_e32 v42, 8, v40
	v_cmp_ne_u16_e32 vcc, 0, v42
	v_mov_b32_e32 v50, 0
	v_mov_b32_e32 v44, 0
	s_and_saveexec_b64 s[14:15], vcc
	s_cbranch_execz .LBB954_369
; %bb.364:                              ;   in Loop: Header=BB954_213 Depth=1
	v_cmp_ne_u16_e32 vcc, s9, v42
	v_mov_b32_e32 v44, 0xffff8000
	s_and_saveexec_b64 s[16:17], vcc
	s_cbranch_execz .LBB954_368
; %bb.365:                              ;   in Loop: Header=BB954_213 Depth=1
	v_and_b32_e32 v49, 0x7f, v42
	v_cmp_ne_u32_e32 vcc, s23, v49
	v_mov_b32_e32 v44, 0x7f80
	s_and_saveexec_b64 s[18:19], vcc
	s_cbranch_execz .LBB954_367
; %bb.366:                              ;   in Loop: Header=BB954_213 Depth=1
	v_and_b32_e32 v44, 7, v42
	v_ffbh_u32_e32 v52, v44
	v_min_u32_e32 v61, 32, v52
	v_subrev_u32_e32 v52, 28, v61
	v_lshlrev_b64 v[52:53], v52, v[42:43]
	v_lshrrev_b32_e32 v51, 3, v49
	v_sub_u32_e32 v42, 29, v61
	v_and_b32_e32 v52, 7, v52
	v_cmp_gt_u32_e32 vcc, 8, v49
	v_cndmask_b32_e32 v42, v51, v42, vcc
	v_cndmask_b32_e32 v44, v44, v52, vcc
	v_lshlrev_b32_e32 v49, 16, v40
	v_lshlrev_b32_e32 v44, 20, v44
	v_and_b32_e32 v49, 0x80000000, v49
	v_lshl_add_u32 v42, v42, 23, v48
	v_or3_b32 v42, v49, v42, v44
	v_lshrrev_b32_e32 v44, 16, v42
.LBB954_367:                            ;   in Loop: Header=BB954_213 Depth=1
	s_or_b64 exec, exec, s[18:19]
.LBB954_368:                            ;   in Loop: Header=BB954_213 Depth=1
	s_or_b64 exec, exec, s[16:17]
.LBB954_369:                            ;   in Loop: Header=BB954_213 Depth=1
	s_or_b64 exec, exec, s[14:15]
	v_lshrrev_b32_e32 v42, 16, v40
	v_cmp_ne_u16_sdwa s[16:17], v42, v47 src0_sel:BYTE_0 src1_sel:DWORD
	s_and_saveexec_b64 s[14:15], s[16:17]
	s_cbranch_execz .LBB954_375
; %bb.370:                              ;   in Loop: Header=BB954_213 Depth=1
	v_cmp_ne_u16_sdwa s[18:19], v42, s9 src0_sel:BYTE_0 src1_sel:DWORD
	v_mov_b32_e32 v50, 0xffff8000
	s_and_saveexec_b64 s[16:17], s[18:19]
	s_cbranch_execz .LBB954_374
; %bb.371:                              ;   in Loop: Header=BB954_213 Depth=1
	v_bfe_u32 v49, v40, 16, 7
	v_cmp_ne_u32_e32 vcc, s23, v49
	v_mov_b32_e32 v50, 0x7f80
	s_and_saveexec_b64 s[18:19], vcc
	s_cbranch_execz .LBB954_373
; %bb.372:                              ;   in Loop: Header=BB954_213 Depth=1
	v_and_b32_e32 v52, 7, v42
	v_ffbh_u32_e32 v50, v52
	v_min_u32_e32 v61, 32, v50
	v_subrev_u32_e32 v50, 28, v61
	v_lshlrev_b64 v[50:51], v50, v[42:43]
	v_lshrrev_b32_e32 v53, 3, v49
	v_sub_u32_e32 v51, 29, v61
	v_and_b32_e32 v50, 7, v50
	v_cmp_gt_u32_e32 vcc, 8, v49
	v_cndmask_b32_e32 v49, v53, v51, vcc
	v_cndmask_b32_e32 v50, v52, v50, vcc
	v_lshlrev_b32_e32 v42, 24, v42
	v_lshlrev_b32_e32 v50, 20, v50
	v_and_b32_e32 v42, 0x80000000, v42
	v_lshl_add_u32 v49, v49, 23, v48
	v_or3_b32 v42, v42, v49, v50
	v_lshrrev_b32_e32 v50, 16, v42
.LBB954_373:                            ;   in Loop: Header=BB954_213 Depth=1
	s_or_b64 exec, exec, s[18:19]
.LBB954_374:                            ;   in Loop: Header=BB954_213 Depth=1
	s_or_b64 exec, exec, s[16:17]
.LBB954_375:                            ;   in Loop: Header=BB954_213 Depth=1
	s_or_b64 exec, exec, s[14:15]
	v_cmp_lt_u32_e32 vcc, s26, v40
	v_mov_b32_e32 v51, 0
	v_mov_b32_e32 v52, 0
	s_and_saveexec_b64 s[14:15], vcc
	s_cbranch_execz .LBB954_381
; %bb.376:                              ;   in Loop: Header=BB954_213 Depth=1
	v_lshrrev_b32_e32 v42, 24, v40
	v_cmp_ne_u32_e32 vcc, s9, v42
	v_mov_b32_e32 v52, 0xffff8000
	s_and_saveexec_b64 s[16:17], vcc
	s_cbranch_execz .LBB954_380
; %bb.377:                              ;   in Loop: Header=BB954_213 Depth=1
	v_bfe_u32 v40, v40, 24, 7
	v_cmp_ne_u32_e32 vcc, s23, v40
	v_mov_b32_e32 v52, 0x7f80
	s_and_saveexec_b64 s[18:19], vcc
	s_cbranch_execz .LBB954_379
; %bb.378:                              ;   in Loop: Header=BB954_213 Depth=1
	v_and_b32_e32 v49, 7, v42
	v_ffbh_u32_e32 v52, v49
	v_min_u32_e32 v62, 32, v52
	v_subrev_u32_e32 v52, 28, v62
	v_lshlrev_b64 v[52:53], v52, v[42:43]
	v_lshrrev_b32_e32 v61, 3, v40
	v_sub_u32_e32 v53, 29, v62
	v_and_b32_e32 v52, 7, v52
	v_cmp_gt_u32_e32 vcc, 8, v40
	v_cndmask_b32_e32 v40, v61, v53, vcc
	v_cndmask_b32_e32 v49, v49, v52, vcc
	v_lshlrev_b32_e32 v42, 24, v42
	v_lshlrev_b32_e32 v49, 20, v49
	v_and_b32_e32 v42, 0x80000000, v42
	v_lshl_add_u32 v40, v40, 23, v48
	v_or3_b32 v40, v42, v40, v49
	v_lshrrev_b32_e32 v52, 16, v40
.LBB954_379:                            ;   in Loop: Header=BB954_213 Depth=1
	s_or_b64 exec, exec, s[18:19]
.LBB954_380:                            ;   in Loop: Header=BB954_213 Depth=1
	s_or_b64 exec, exec, s[16:17]
.LBB954_381:                            ;   in Loop: Header=BB954_213 Depth=1
	s_or_b64 exec, exec, s[14:15]
	s_waitcnt vmcnt(0)
	v_cmp_ne_u16_sdwa s[16:17], v38, v47 src0_sel:BYTE_0 src1_sel:DWORD
	s_and_saveexec_b64 s[14:15], s[16:17]
	s_cbranch_execz .LBB954_387
; %bb.382:                              ;   in Loop: Header=BB954_213 Depth=1
	v_cmp_ne_u16_sdwa s[18:19], v38, s9 src0_sel:BYTE_0 src1_sel:DWORD
	v_mov_b32_e32 v51, 0xffff8000
	s_and_saveexec_b64 s[16:17], s[18:19]
	s_cbranch_execz .LBB954_386
; %bb.383:                              ;   in Loop: Header=BB954_213 Depth=1
	v_and_b32_e32 v40, 0x7f, v38
	v_cmp_ne_u32_e32 vcc, s23, v40
	v_mov_b32_e32 v51, 0x7f80
	s_and_saveexec_b64 s[18:19], vcc
	s_cbranch_execz .LBB954_385
; %bb.384:                              ;   in Loop: Header=BB954_213 Depth=1
	v_and_b32_e32 v42, 7, v38
	v_ffbh_u32_e32 v51, v42
	v_min_u32_e32 v51, 32, v51
	v_subrev_u32_e32 v53, 28, v51
	v_lshlrev_b64 v[62:63], v53, v[38:39]
	v_lshrrev_b32_e32 v49, 3, v40
	v_sub_u32_e32 v51, 29, v51
	v_and_b32_e32 v53, 7, v62
	v_cmp_gt_u32_e32 vcc, 8, v40
	v_cndmask_b32_e32 v40, v49, v51, vcc
	v_cndmask_b32_e32 v42, v42, v53, vcc
	v_lshlrev_b32_e32 v49, 24, v38
	v_lshlrev_b32_e32 v42, 20, v42
	v_and_b32_e32 v49, 0x80000000, v49
	v_lshl_add_u32 v40, v40, 23, v48
	v_or3_b32 v40, v49, v40, v42
	v_lshrrev_b32_e32 v51, 16, v40
.LBB954_385:                            ;   in Loop: Header=BB954_213 Depth=1
	s_or_b64 exec, exec, s[18:19]
.LBB954_386:                            ;   in Loop: Header=BB954_213 Depth=1
	s_or_b64 exec, exec, s[16:17]
.LBB954_387:                            ;   in Loop: Header=BB954_213 Depth=1
	s_or_b64 exec, exec, s[14:15]
	v_lshrrev_b16_e32 v40, 8, v38
	v_cmp_ne_u16_e32 vcc, 0, v40
	v_mov_b32_e32 v61, 0
	v_mov_b32_e32 v53, 0
	s_and_saveexec_b64 s[14:15], vcc
	s_cbranch_execz .LBB954_393
; %bb.388:                              ;   in Loop: Header=BB954_213 Depth=1
	v_cmp_ne_u16_e32 vcc, s9, v40
	v_mov_b32_e32 v53, 0xffff8000
	s_and_saveexec_b64 s[16:17], vcc
	s_cbranch_execz .LBB954_392
; %bb.389:                              ;   in Loop: Header=BB954_213 Depth=1
	v_and_b32_e32 v42, 0x7f, v40
	v_cmp_ne_u32_e32 vcc, s23, v42
	v_mov_b32_e32 v53, 0x7f80
	s_and_saveexec_b64 s[18:19], vcc
	s_cbranch_execz .LBB954_391
; %bb.390:                              ;   in Loop: Header=BB954_213 Depth=1
	v_and_b32_e32 v49, 7, v40
	v_ffbh_u32_e32 v62, v49
	v_min_u32_e32 v64, 32, v62
	v_subrev_u32_e32 v62, 28, v64
	v_lshlrev_b64 v[62:63], v62, v[40:41]
	v_lshrrev_b32_e32 v53, 3, v42
	v_sub_u32_e32 v40, 29, v64
	v_and_b32_e32 v62, 7, v62
	v_cmp_gt_u32_e32 vcc, 8, v42
	v_cndmask_b32_e32 v40, v53, v40, vcc
	v_cndmask_b32_e32 v42, v49, v62, vcc
	v_lshlrev_b32_e32 v49, 16, v38
	v_lshlrev_b32_e32 v42, 20, v42
	v_and_b32_e32 v49, 0x80000000, v49
	v_lshl_add_u32 v40, v40, 23, v48
	v_or3_b32 v40, v49, v40, v42
	v_lshrrev_b32_e32 v53, 16, v40
.LBB954_391:                            ;   in Loop: Header=BB954_213 Depth=1
	s_or_b64 exec, exec, s[18:19]
.LBB954_392:                            ;   in Loop: Header=BB954_213 Depth=1
	s_or_b64 exec, exec, s[16:17]
.LBB954_393:                            ;   in Loop: Header=BB954_213 Depth=1
	s_or_b64 exec, exec, s[14:15]
	v_lshrrev_b32_e32 v40, 16, v38
	v_cmp_ne_u16_sdwa s[16:17], v40, v47 src0_sel:BYTE_0 src1_sel:DWORD
	s_and_saveexec_b64 s[14:15], s[16:17]
	s_cbranch_execz .LBB954_399
; %bb.394:                              ;   in Loop: Header=BB954_213 Depth=1
	v_cmp_ne_u16_sdwa s[18:19], v40, s9 src0_sel:BYTE_0 src1_sel:DWORD
	v_mov_b32_e32 v61, 0xffff8000
	s_and_saveexec_b64 s[16:17], s[18:19]
	s_cbranch_execz .LBB954_398
; %bb.395:                              ;   in Loop: Header=BB954_213 Depth=1
	v_bfe_u32 v42, v38, 16, 7
	v_cmp_ne_u32_e32 vcc, s23, v42
	v_mov_b32_e32 v61, 0x7f80
	s_and_saveexec_b64 s[18:19], vcc
	s_cbranch_execz .LBB954_397
; %bb.396:                              ;   in Loop: Header=BB954_213 Depth=1
	v_and_b32_e32 v49, 7, v40
	v_ffbh_u32_e32 v62, v49
	v_min_u32_e32 v64, 32, v62
	v_subrev_u32_e32 v62, 28, v64
	v_lshlrev_b64 v[62:63], v62, v[40:41]
	v_lshrrev_b32_e32 v61, 3, v42
	v_sub_u32_e32 v63, 29, v64
	v_and_b32_e32 v62, 7, v62
	v_cmp_gt_u32_e32 vcc, 8, v42
	v_cndmask_b32_e32 v42, v61, v63, vcc
	v_cndmask_b32_e32 v49, v49, v62, vcc
	v_lshlrev_b32_e32 v40, 24, v40
	v_lshlrev_b32_e32 v49, 20, v49
	v_and_b32_e32 v40, 0x80000000, v40
	v_lshl_add_u32 v42, v42, 23, v48
	v_or3_b32 v40, v40, v42, v49
	v_lshrrev_b32_e32 v61, 16, v40
.LBB954_397:                            ;   in Loop: Header=BB954_213 Depth=1
	s_or_b64 exec, exec, s[18:19]
.LBB954_398:                            ;   in Loop: Header=BB954_213 Depth=1
	s_or_b64 exec, exec, s[16:17]
.LBB954_399:                            ;   in Loop: Header=BB954_213 Depth=1
	s_or_b64 exec, exec, s[14:15]
	v_cmp_lt_u32_e32 vcc, s26, v38
	v_mov_b32_e32 v49, 0
	v_mov_b32_e32 v62, 0
	s_and_saveexec_b64 s[14:15], vcc
	s_cbranch_execz .LBB954_405
; %bb.400:                              ;   in Loop: Header=BB954_213 Depth=1
	v_lshrrev_b32_e32 v40, 24, v38
	v_cmp_ne_u32_e32 vcc, s9, v40
	v_mov_b32_e32 v62, 0xffff8000
	s_and_saveexec_b64 s[16:17], vcc
	s_cbranch_execz .LBB954_404
; %bb.401:                              ;   in Loop: Header=BB954_213 Depth=1
	v_bfe_u32 v38, v38, 24, 7
	v_cmp_ne_u32_e32 vcc, s23, v38
	v_mov_b32_e32 v62, 0x7f80
	s_and_saveexec_b64 s[18:19], vcc
	s_cbranch_execz .LBB954_403
; %bb.402:                              ;   in Loop: Header=BB954_213 Depth=1
	v_and_b32_e32 v42, 7, v40
	v_ffbh_u32_e32 v62, v42
	v_min_u32_e32 v65, 32, v62
	v_subrev_u32_e32 v62, 28, v65
	v_lshlrev_b64 v[62:63], v62, v[40:41]
	v_lshrrev_b32_e32 v64, 3, v38
	v_sub_u32_e32 v63, 29, v65
	v_and_b32_e32 v62, 7, v62
	v_cmp_gt_u32_e32 vcc, 8, v38
	v_cndmask_b32_e32 v38, v64, v63, vcc
	v_cndmask_b32_e32 v42, v42, v62, vcc
	v_lshlrev_b32_e32 v40, 24, v40
	v_lshlrev_b32_e32 v42, 20, v42
	v_and_b32_e32 v40, 0x80000000, v40
	v_lshl_add_u32 v38, v38, 23, v48
	v_or3_b32 v38, v40, v38, v42
	v_lshrrev_b32_e32 v62, 16, v38
.LBB954_403:                            ;   in Loop: Header=BB954_213 Depth=1
	s_or_b64 exec, exec, s[18:19]
.LBB954_404:                            ;   in Loop: Header=BB954_213 Depth=1
	s_or_b64 exec, exec, s[16:17]
.LBB954_405:                            ;   in Loop: Header=BB954_213 Depth=1
	s_or_b64 exec, exec, s[14:15]
	v_perm_b32 v64, v44, v46, s27
	buffer_load_dword v44, v60, s[0:3], 0 offen
	buffer_load_dword v42, v60, s[0:3], 0 offen offset:4
	buffer_load_dword v40, v60, s[0:3], 0 offen offset:8
	;; [unrolled: 1-line block ×3, first 2 shown]
	v_perm_b32 v65, v52, v50, s27
	v_perm_b32 v61, v62, v61, s27
	;; [unrolled: 1-line block ×3, first 2 shown]
	v_mfma_f32_16x16x16bf16_1k v[34:37], v[64:65], v[14:15], v[34:37]
	s_waitcnt vmcnt(3)
	v_cmp_ne_u16_sdwa s[16:17], v44, v47 src0_sel:BYTE_0 src1_sel:DWORD
	v_mfma_f32_16x16x16bf16_1k v[34:37], v[60:61], v[16:17], v[34:37]
	s_and_saveexec_b64 s[14:15], s[16:17]
	s_cbranch_execz .LBB954_411
; %bb.406:                              ;   in Loop: Header=BB954_213 Depth=1
	v_cmp_ne_u16_sdwa s[18:19], v44, s9 src0_sel:BYTE_0 src1_sel:DWORD
	v_mov_b32_e32 v49, 0xffff8000
	s_and_saveexec_b64 s[16:17], s[18:19]
	s_cbranch_execz .LBB954_410
; %bb.407:                              ;   in Loop: Header=BB954_213 Depth=1
	v_and_b32_e32 v46, 0x7f, v44
	v_cmp_ne_u32_e32 vcc, s23, v46
	v_mov_b32_e32 v49, 0x7f80
	s_and_saveexec_b64 s[18:19], vcc
	s_cbranch_execz .LBB954_409
; %bb.408:                              ;   in Loop: Header=BB954_213 Depth=1
	v_and_b32_e32 v49, 7, v44
	v_ffbh_u32_e32 v50, v49
	v_min_u32_e32 v53, 32, v50
	v_subrev_u32_e32 v50, 28, v53
	v_lshlrev_b64 v[50:51], v50, v[44:45]
	v_lshrrev_b32_e32 v52, 3, v46
	v_sub_u32_e32 v51, 29, v53
	v_and_b32_e32 v50, 7, v50
	v_cmp_gt_u32_e32 vcc, 8, v46
	v_cndmask_b32_e32 v46, v52, v51, vcc
	v_cndmask_b32_e32 v49, v49, v50, vcc
	v_lshlrev_b32_e32 v50, 24, v44
	v_lshlrev_b32_e32 v49, 20, v49
	v_and_b32_e32 v50, 0x80000000, v50
	v_lshl_add_u32 v46, v46, 23, v48
	v_or3_b32 v46, v50, v46, v49
	v_lshrrev_b32_e32 v49, 16, v46
.LBB954_409:                            ;   in Loop: Header=BB954_213 Depth=1
	s_or_b64 exec, exec, s[18:19]
.LBB954_410:                            ;   in Loop: Header=BB954_213 Depth=1
	s_or_b64 exec, exec, s[16:17]
.LBB954_411:                            ;   in Loop: Header=BB954_213 Depth=1
	s_or_b64 exec, exec, s[14:15]
	v_lshrrev_b16_e32 v46, 8, v44
	v_cmp_ne_u16_e32 vcc, 0, v46
	v_mov_b32_e32 v51, 0
	v_mov_b32_e32 v50, 0
	s_and_saveexec_b64 s[14:15], vcc
	s_cbranch_execz .LBB954_417
; %bb.412:                              ;   in Loop: Header=BB954_213 Depth=1
	v_cmp_ne_u16_e32 vcc, s9, v46
	v_mov_b32_e32 v50, 0xffff8000
	s_and_saveexec_b64 s[16:17], vcc
	s_cbranch_execz .LBB954_416
; %bb.413:                              ;   in Loop: Header=BB954_213 Depth=1
	v_and_b32_e32 v52, 0x7f, v46
	v_cmp_ne_u32_e32 vcc, s23, v52
	v_mov_b32_e32 v50, 0x7f80
	s_and_saveexec_b64 s[18:19], vcc
	s_cbranch_execz .LBB954_415
; %bb.414:                              ;   in Loop: Header=BB954_213 Depth=1
	v_and_b32_e32 v50, 7, v46
	v_ffbh_u32_e32 v60, v50
	v_min_u32_e32 v62, 32, v60
	v_subrev_u32_e32 v60, 28, v62
	v_lshlrev_b64 v[60:61], v60, v[46:47]
	v_lshrrev_b32_e32 v53, 3, v52
	v_sub_u32_e32 v46, 29, v62
	v_and_b32_e32 v60, 7, v60
	v_cmp_gt_u32_e32 vcc, 8, v52
	v_cndmask_b32_e32 v46, v53, v46, vcc
	v_cndmask_b32_e32 v50, v50, v60, vcc
	v_lshlrev_b32_e32 v52, 16, v44
	v_lshlrev_b32_e32 v50, 20, v50
	v_and_b32_e32 v52, 0x80000000, v52
	v_lshl_add_u32 v46, v46, 23, v48
	v_or3_b32 v46, v52, v46, v50
	v_lshrrev_b32_e32 v50, 16, v46
.LBB954_415:                            ;   in Loop: Header=BB954_213 Depth=1
	s_or_b64 exec, exec, s[18:19]
.LBB954_416:                            ;   in Loop: Header=BB954_213 Depth=1
	s_or_b64 exec, exec, s[16:17]
.LBB954_417:                            ;   in Loop: Header=BB954_213 Depth=1
	s_or_b64 exec, exec, s[14:15]
	v_lshrrev_b32_e32 v46, 16, v44
	v_cmp_ne_u16_sdwa s[16:17], v46, v47 src0_sel:BYTE_0 src1_sel:DWORD
	s_and_saveexec_b64 s[14:15], s[16:17]
	s_cbranch_execz .LBB954_423
; %bb.418:                              ;   in Loop: Header=BB954_213 Depth=1
	v_cmp_ne_u16_sdwa s[18:19], v46, s9 src0_sel:BYTE_0 src1_sel:DWORD
	v_mov_b32_e32 v51, 0xffff8000
	s_and_saveexec_b64 s[16:17], s[18:19]
	s_cbranch_execz .LBB954_422
; %bb.419:                              ;   in Loop: Header=BB954_213 Depth=1
	v_bfe_u32 v52, v44, 16, 7
	v_cmp_ne_u32_e32 vcc, s23, v52
	v_mov_b32_e32 v51, 0x7f80
	s_and_saveexec_b64 s[18:19], vcc
	s_cbranch_execz .LBB954_421
; %bb.420:                              ;   in Loop: Header=BB954_213 Depth=1
	v_and_b32_e32 v51, 7, v46
	v_ffbh_u32_e32 v60, v51
	v_min_u32_e32 v62, 32, v60
	v_subrev_u32_e32 v60, 28, v62
	v_lshlrev_b64 v[60:61], v60, v[46:47]
	v_lshrrev_b32_e32 v53, 3, v52
	v_sub_u32_e32 v61, 29, v62
	v_and_b32_e32 v60, 7, v60
	v_cmp_gt_u32_e32 vcc, 8, v52
	v_cndmask_b32_e32 v52, v53, v61, vcc
	v_cndmask_b32_e32 v51, v51, v60, vcc
	v_lshlrev_b32_e32 v46, 24, v46
	v_lshlrev_b32_e32 v51, 20, v51
	v_and_b32_e32 v46, 0x80000000, v46
	v_lshl_add_u32 v52, v52, 23, v48
	v_or3_b32 v46, v46, v52, v51
	v_lshrrev_b32_e32 v51, 16, v46
.LBB954_421:                            ;   in Loop: Header=BB954_213 Depth=1
	s_or_b64 exec, exec, s[18:19]
.LBB954_422:                            ;   in Loop: Header=BB954_213 Depth=1
	s_or_b64 exec, exec, s[16:17]
.LBB954_423:                            ;   in Loop: Header=BB954_213 Depth=1
	s_or_b64 exec, exec, s[14:15]
	v_cmp_lt_u32_e32 vcc, s26, v44
	v_mov_b32_e32 v52, 0
	v_mov_b32_e32 v53, 0
	s_and_saveexec_b64 s[14:15], vcc
	s_cbranch_execz .LBB954_429
; %bb.424:                              ;   in Loop: Header=BB954_213 Depth=1
	v_lshrrev_b32_e32 v46, 24, v44
	v_cmp_ne_u32_e32 vcc, s9, v46
	v_mov_b32_e32 v53, 0xffff8000
	s_and_saveexec_b64 s[16:17], vcc
	s_cbranch_execz .LBB954_428
; %bb.425:                              ;   in Loop: Header=BB954_213 Depth=1
	v_bfe_u32 v44, v44, 24, 7
	v_cmp_ne_u32_e32 vcc, s23, v44
	v_mov_b32_e32 v53, 0x7f80
	s_and_saveexec_b64 s[18:19], vcc
	s_cbranch_execz .LBB954_427
; %bb.426:                              ;   in Loop: Header=BB954_213 Depth=1
	v_and_b32_e32 v53, 7, v46
	v_ffbh_u32_e32 v60, v53
	v_min_u32_e32 v63, 32, v60
	v_subrev_u32_e32 v60, 28, v63
	v_lshlrev_b64 v[60:61], v60, v[46:47]
	v_lshrrev_b32_e32 v62, 3, v44
	v_sub_u32_e32 v61, 29, v63
	v_and_b32_e32 v60, 7, v60
	v_cmp_gt_u32_e32 vcc, 8, v44
	v_cndmask_b32_e32 v44, v62, v61, vcc
	v_cndmask_b32_e32 v53, v53, v60, vcc
	v_lshlrev_b32_e32 v46, 24, v46
	v_lshlrev_b32_e32 v53, 20, v53
	v_and_b32_e32 v46, 0x80000000, v46
	v_lshl_add_u32 v44, v44, 23, v48
	v_or3_b32 v44, v46, v44, v53
	v_lshrrev_b32_e32 v53, 16, v44
.LBB954_427:                            ;   in Loop: Header=BB954_213 Depth=1
	s_or_b64 exec, exec, s[18:19]
.LBB954_428:                            ;   in Loop: Header=BB954_213 Depth=1
	s_or_b64 exec, exec, s[16:17]
.LBB954_429:                            ;   in Loop: Header=BB954_213 Depth=1
	s_or_b64 exec, exec, s[14:15]
	s_waitcnt vmcnt(2)
	v_cmp_ne_u16_sdwa s[16:17], v42, v47 src0_sel:BYTE_0 src1_sel:DWORD
	s_and_saveexec_b64 s[14:15], s[16:17]
	s_cbranch_execz .LBB954_435
; %bb.430:                              ;   in Loop: Header=BB954_213 Depth=1
	v_cmp_ne_u16_sdwa s[18:19], v42, s9 src0_sel:BYTE_0 src1_sel:DWORD
	v_mov_b32_e32 v52, 0xffff8000
	s_and_saveexec_b64 s[16:17], s[18:19]
	s_cbranch_execz .LBB954_434
; %bb.431:                              ;   in Loop: Header=BB954_213 Depth=1
	v_and_b32_e32 v44, 0x7f, v42
	v_cmp_ne_u32_e32 vcc, s23, v44
	v_mov_b32_e32 v52, 0x7f80
	s_and_saveexec_b64 s[18:19], vcc
	s_cbranch_execz .LBB954_433
; %bb.432:                              ;   in Loop: Header=BB954_213 Depth=1
	v_and_b32_e32 v46, 7, v42
	v_ffbh_u32_e32 v60, v46
	v_min_u32_e32 v62, 32, v60
	v_subrev_u32_e32 v60, 28, v62
	v_lshlrev_b64 v[60:61], v60, v[42:43]
	v_lshrrev_b32_e32 v52, 3, v44
	v_sub_u32_e32 v61, 29, v62
	v_and_b32_e32 v60, 7, v60
	v_cmp_gt_u32_e32 vcc, 8, v44
	v_cndmask_b32_e32 v44, v52, v61, vcc
	v_cndmask_b32_e32 v46, v46, v60, vcc
	v_lshlrev_b32_e32 v52, 24, v42
	v_lshlrev_b32_e32 v46, 20, v46
	v_and_b32_e32 v52, 0x80000000, v52
	v_lshl_add_u32 v44, v44, 23, v48
	v_or3_b32 v44, v52, v44, v46
	v_lshrrev_b32_e32 v52, 16, v44
.LBB954_433:                            ;   in Loop: Header=BB954_213 Depth=1
	s_or_b64 exec, exec, s[18:19]
.LBB954_434:                            ;   in Loop: Header=BB954_213 Depth=1
	s_or_b64 exec, exec, s[16:17]
.LBB954_435:                            ;   in Loop: Header=BB954_213 Depth=1
	s_or_b64 exec, exec, s[14:15]
	v_lshrrev_b16_e32 v44, 8, v42
	v_cmp_ne_u16_e32 vcc, 0, v44
	v_mov_b32_e32 v61, 0
	v_mov_b32_e32 v60, 0
	s_and_saveexec_b64 s[14:15], vcc
	s_cbranch_execz .LBB954_441
; %bb.436:                              ;   in Loop: Header=BB954_213 Depth=1
	v_cmp_ne_u16_e32 vcc, s9, v44
	v_mov_b32_e32 v60, 0xffff8000
	s_and_saveexec_b64 s[16:17], vcc
	s_cbranch_execz .LBB954_440
; %bb.437:                              ;   in Loop: Header=BB954_213 Depth=1
	v_and_b32_e32 v46, 0x7f, v44
	v_cmp_ne_u32_e32 vcc, s23, v46
	v_mov_b32_e32 v60, 0x7f80
	s_and_saveexec_b64 s[18:19], vcc
	s_cbranch_execz .LBB954_439
; %bb.438:                              ;   in Loop: Header=BB954_213 Depth=1
	v_and_b32_e32 v60, 7, v44
	v_ffbh_u32_e32 v62, v60
	v_min_u32_e32 v65, 32, v62
	v_subrev_u32_e32 v62, 28, v65
	v_lshlrev_b64 v[62:63], v62, v[44:45]
	v_lshrrev_b32_e32 v64, 3, v46
	v_sub_u32_e32 v44, 29, v65
	v_and_b32_e32 v62, 7, v62
	v_cmp_gt_u32_e32 vcc, 8, v46
	v_cndmask_b32_e32 v44, v64, v44, vcc
	v_cndmask_b32_e32 v46, v60, v62, vcc
	v_lshlrev_b32_e32 v60, 16, v42
	v_lshlrev_b32_e32 v46, 20, v46
	v_and_b32_e32 v60, 0x80000000, v60
	v_lshl_add_u32 v44, v44, 23, v48
	v_or3_b32 v44, v60, v44, v46
	v_lshrrev_b32_e32 v60, 16, v44
.LBB954_439:                            ;   in Loop: Header=BB954_213 Depth=1
	s_or_b64 exec, exec, s[18:19]
.LBB954_440:                            ;   in Loop: Header=BB954_213 Depth=1
	s_or_b64 exec, exec, s[16:17]
.LBB954_441:                            ;   in Loop: Header=BB954_213 Depth=1
	s_or_b64 exec, exec, s[14:15]
	v_lshrrev_b32_e32 v44, 16, v42
	v_cmp_ne_u16_sdwa s[16:17], v44, v47 src0_sel:BYTE_0 src1_sel:DWORD
	s_and_saveexec_b64 s[14:15], s[16:17]
	s_cbranch_execz .LBB954_447
; %bb.442:                              ;   in Loop: Header=BB954_213 Depth=1
	v_cmp_ne_u16_sdwa s[18:19], v44, s9 src0_sel:BYTE_0 src1_sel:DWORD
	v_mov_b32_e32 v61, 0xffff8000
	s_and_saveexec_b64 s[16:17], s[18:19]
	s_cbranch_execz .LBB954_446
; %bb.443:                              ;   in Loop: Header=BB954_213 Depth=1
	v_bfe_u32 v46, v42, 16, 7
	v_cmp_ne_u32_e32 vcc, s23, v46
	v_mov_b32_e32 v61, 0x7f80
	s_and_saveexec_b64 s[18:19], vcc
	s_cbranch_execz .LBB954_445
; %bb.444:                              ;   in Loop: Header=BB954_213 Depth=1
	v_and_b32_e32 v61, 7, v44
	v_ffbh_u32_e32 v62, v61
	v_min_u32_e32 v65, 32, v62
	v_subrev_u32_e32 v62, 28, v65
	v_lshlrev_b64 v[62:63], v62, v[44:45]
	v_lshrrev_b32_e32 v64, 3, v46
	v_sub_u32_e32 v63, 29, v65
	v_and_b32_e32 v62, 7, v62
	v_cmp_gt_u32_e32 vcc, 8, v46
	v_cndmask_b32_e32 v46, v64, v63, vcc
	v_cndmask_b32_e32 v61, v61, v62, vcc
	v_lshlrev_b32_e32 v44, 24, v44
	v_lshlrev_b32_e32 v61, 20, v61
	v_and_b32_e32 v44, 0x80000000, v44
	v_lshl_add_u32 v46, v46, 23, v48
	v_or3_b32 v44, v44, v46, v61
	v_lshrrev_b32_e32 v61, 16, v44
.LBB954_445:                            ;   in Loop: Header=BB954_213 Depth=1
	s_or_b64 exec, exec, s[18:19]
.LBB954_446:                            ;   in Loop: Header=BB954_213 Depth=1
	s_or_b64 exec, exec, s[16:17]
.LBB954_447:                            ;   in Loop: Header=BB954_213 Depth=1
	s_or_b64 exec, exec, s[14:15]
	v_cmp_lt_u32_e32 vcc, s26, v42
	v_mov_b32_e32 v46, 0
	v_mov_b32_e32 v62, 0
	s_and_saveexec_b64 s[14:15], vcc
	s_cbranch_execz .LBB954_453
; %bb.448:                              ;   in Loop: Header=BB954_213 Depth=1
	v_lshrrev_b32_e32 v44, 24, v42
	v_cmp_ne_u32_e32 vcc, s9, v44
	v_mov_b32_e32 v62, 0xffff8000
	s_and_saveexec_b64 s[16:17], vcc
	s_cbranch_execz .LBB954_452
; %bb.449:                              ;   in Loop: Header=BB954_213 Depth=1
	v_bfe_u32 v42, v42, 24, 7
	v_cmp_ne_u32_e32 vcc, s23, v42
	v_mov_b32_e32 v62, 0x7f80
	s_and_saveexec_b64 s[18:19], vcc
	s_cbranch_execz .LBB954_451
; %bb.450:                              ;   in Loop: Header=BB954_213 Depth=1
	v_and_b32_e32 v64, 7, v44
	v_ffbh_u32_e32 v62, v64
	v_min_u32_e32 v66, 32, v62
	v_subrev_u32_e32 v62, 28, v66
	v_lshlrev_b64 v[62:63], v62, v[44:45]
	v_lshrrev_b32_e32 v65, 3, v42
	v_sub_u32_e32 v63, 29, v66
	v_and_b32_e32 v62, 7, v62
	v_cmp_gt_u32_e32 vcc, 8, v42
	v_cndmask_b32_e32 v42, v65, v63, vcc
	v_cndmask_b32_e32 v62, v64, v62, vcc
	v_lshlrev_b32_e32 v44, 24, v44
	v_lshlrev_b32_e32 v62, 20, v62
	v_and_b32_e32 v44, 0x80000000, v44
	v_lshl_add_u32 v42, v42, 23, v48
	v_or3_b32 v42, v44, v42, v62
	v_lshrrev_b32_e32 v62, 16, v42
.LBB954_451:                            ;   in Loop: Header=BB954_213 Depth=1
	s_or_b64 exec, exec, s[18:19]
.LBB954_452:                            ;   in Loop: Header=BB954_213 Depth=1
	s_or_b64 exec, exec, s[16:17]
.LBB954_453:                            ;   in Loop: Header=BB954_213 Depth=1
	s_or_b64 exec, exec, s[14:15]
	v_perm_b32 v51, v53, v51, s27
	v_perm_b32 v50, v50, v49, s27
	s_waitcnt vmcnt(1)
	v_cmp_ne_u16_sdwa s[16:17], v40, v47 src0_sel:BYTE_0 src1_sel:DWORD
	v_mfma_f32_16x16x16bf16_1k v[34:37], v[50:51], v[18:19], v[34:37]
	v_perm_b32 v51, v62, v61, s27
	v_perm_b32 v50, v60, v52, s27
	s_nop 1
	v_mfma_f32_16x16x16bf16_1k v[34:37], v[50:51], v[20:21], v[34:37]
	s_and_saveexec_b64 s[14:15], s[16:17]
	s_cbranch_execz .LBB954_459
; %bb.454:                              ;   in Loop: Header=BB954_213 Depth=1
	v_cmp_ne_u16_sdwa s[18:19], v40, s9 src0_sel:BYTE_0 src1_sel:DWORD
	v_mov_b32_e32 v46, 0xffff8000
	s_and_saveexec_b64 s[16:17], s[18:19]
	s_cbranch_execz .LBB954_458
; %bb.455:                              ;   in Loop: Header=BB954_213 Depth=1
	v_and_b32_e32 v42, 0x7f, v40
	v_cmp_ne_u32_e32 vcc, s23, v42
	v_mov_b32_e32 v46, 0x7f80
	s_and_saveexec_b64 s[18:19], vcc
	s_cbranch_execz .LBB954_457
; %bb.456:                              ;   in Loop: Header=BB954_213 Depth=1
	v_and_b32_e32 v44, 7, v40
	v_ffbh_u32_e32 v49, v44
	v_min_u32_e32 v49, 32, v49
	v_subrev_u32_e32 v50, 28, v49
	v_lshlrev_b64 v[50:51], v50, v[40:41]
	v_lshrrev_b32_e32 v46, 3, v42
	v_sub_u32_e32 v49, 29, v49
	v_and_b32_e32 v50, 7, v50
	v_cmp_gt_u32_e32 vcc, 8, v42
	v_cndmask_b32_e32 v42, v46, v49, vcc
	v_cndmask_b32_e32 v44, v44, v50, vcc
	v_lshlrev_b32_e32 v46, 24, v40
	v_lshlrev_b32_e32 v44, 20, v44
	v_and_b32_e32 v46, 0x80000000, v46
	v_lshl_add_u32 v42, v42, 23, v48
	v_or3_b32 v42, v46, v42, v44
	v_lshrrev_b32_e32 v46, 16, v42
.LBB954_457:                            ;   in Loop: Header=BB954_213 Depth=1
	s_or_b64 exec, exec, s[18:19]
.LBB954_458:                            ;   in Loop: Header=BB954_213 Depth=1
	s_or_b64 exec, exec, s[16:17]
.LBB954_459:                            ;   in Loop: Header=BB954_213 Depth=1
	s_or_b64 exec, exec, s[14:15]
	v_lshrrev_b16_e32 v42, 8, v40
	v_cmp_ne_u16_e32 vcc, 0, v42
	v_mov_b32_e32 v50, 0
	v_mov_b32_e32 v44, 0
	s_and_saveexec_b64 s[14:15], vcc
	s_cbranch_execz .LBB954_465
; %bb.460:                              ;   in Loop: Header=BB954_213 Depth=1
	v_cmp_ne_u16_e32 vcc, s9, v42
	v_mov_b32_e32 v44, 0xffff8000
	s_and_saveexec_b64 s[16:17], vcc
	s_cbranch_execz .LBB954_464
; %bb.461:                              ;   in Loop: Header=BB954_213 Depth=1
	v_and_b32_e32 v49, 0x7f, v42
	v_cmp_ne_u32_e32 vcc, s23, v49
	v_mov_b32_e32 v44, 0x7f80
	s_and_saveexec_b64 s[18:19], vcc
	s_cbranch_execz .LBB954_463
; %bb.462:                              ;   in Loop: Header=BB954_213 Depth=1
	v_and_b32_e32 v44, 7, v42
	v_ffbh_u32_e32 v52, v44
	v_min_u32_e32 v60, 32, v52
	v_subrev_u32_e32 v52, 28, v60
	v_lshlrev_b64 v[52:53], v52, v[42:43]
	v_lshrrev_b32_e32 v51, 3, v49
	v_sub_u32_e32 v42, 29, v60
	v_and_b32_e32 v52, 7, v52
	v_cmp_gt_u32_e32 vcc, 8, v49
	v_cndmask_b32_e32 v42, v51, v42, vcc
	v_cndmask_b32_e32 v44, v44, v52, vcc
	v_lshlrev_b32_e32 v49, 16, v40
	v_lshlrev_b32_e32 v44, 20, v44
	v_and_b32_e32 v49, 0x80000000, v49
	v_lshl_add_u32 v42, v42, 23, v48
	v_or3_b32 v42, v49, v42, v44
	v_lshrrev_b32_e32 v44, 16, v42
.LBB954_463:                            ;   in Loop: Header=BB954_213 Depth=1
	s_or_b64 exec, exec, s[18:19]
.LBB954_464:                            ;   in Loop: Header=BB954_213 Depth=1
	s_or_b64 exec, exec, s[16:17]
.LBB954_465:                            ;   in Loop: Header=BB954_213 Depth=1
	s_or_b64 exec, exec, s[14:15]
	v_lshrrev_b32_e32 v42, 16, v40
	v_cmp_ne_u16_sdwa s[16:17], v42, v47 src0_sel:BYTE_0 src1_sel:DWORD
	s_and_saveexec_b64 s[14:15], s[16:17]
	s_cbranch_execz .LBB954_471
; %bb.466:                              ;   in Loop: Header=BB954_213 Depth=1
	v_cmp_ne_u16_sdwa s[18:19], v42, s9 src0_sel:BYTE_0 src1_sel:DWORD
	v_mov_b32_e32 v50, 0xffff8000
	s_and_saveexec_b64 s[16:17], s[18:19]
	s_cbranch_execz .LBB954_470
; %bb.467:                              ;   in Loop: Header=BB954_213 Depth=1
	v_bfe_u32 v49, v40, 16, 7
	v_cmp_ne_u32_e32 vcc, s23, v49
	v_mov_b32_e32 v50, 0x7f80
	s_and_saveexec_b64 s[18:19], vcc
	s_cbranch_execz .LBB954_469
; %bb.468:                              ;   in Loop: Header=BB954_213 Depth=1
	v_and_b32_e32 v52, 7, v42
	v_ffbh_u32_e32 v50, v52
	v_min_u32_e32 v60, 32, v50
	v_subrev_u32_e32 v50, 28, v60
	v_lshlrev_b64 v[50:51], v50, v[42:43]
	v_lshrrev_b32_e32 v53, 3, v49
	v_sub_u32_e32 v51, 29, v60
	v_and_b32_e32 v50, 7, v50
	v_cmp_gt_u32_e32 vcc, 8, v49
	v_cndmask_b32_e32 v49, v53, v51, vcc
	v_cndmask_b32_e32 v50, v52, v50, vcc
	v_lshlrev_b32_e32 v42, 24, v42
	v_lshlrev_b32_e32 v50, 20, v50
	v_and_b32_e32 v42, 0x80000000, v42
	v_lshl_add_u32 v49, v49, 23, v48
	v_or3_b32 v42, v42, v49, v50
	v_lshrrev_b32_e32 v50, 16, v42
.LBB954_469:                            ;   in Loop: Header=BB954_213 Depth=1
	s_or_b64 exec, exec, s[18:19]
.LBB954_470:                            ;   in Loop: Header=BB954_213 Depth=1
	s_or_b64 exec, exec, s[16:17]
.LBB954_471:                            ;   in Loop: Header=BB954_213 Depth=1
	s_or_b64 exec, exec, s[14:15]
	v_cmp_lt_u32_e32 vcc, s26, v40
	v_mov_b32_e32 v51, 0
	v_mov_b32_e32 v52, 0
	s_and_saveexec_b64 s[14:15], vcc
	s_cbranch_execz .LBB954_477
; %bb.472:                              ;   in Loop: Header=BB954_213 Depth=1
	v_lshrrev_b32_e32 v42, 24, v40
	v_cmp_ne_u32_e32 vcc, s9, v42
	v_mov_b32_e32 v52, 0xffff8000
	s_and_saveexec_b64 s[16:17], vcc
	s_cbranch_execz .LBB954_476
; %bb.473:                              ;   in Loop: Header=BB954_213 Depth=1
	v_bfe_u32 v40, v40, 24, 7
	v_cmp_ne_u32_e32 vcc, s23, v40
	v_mov_b32_e32 v52, 0x7f80
	s_and_saveexec_b64 s[18:19], vcc
	s_cbranch_execz .LBB954_475
; %bb.474:                              ;   in Loop: Header=BB954_213 Depth=1
	v_and_b32_e32 v49, 7, v42
	v_ffbh_u32_e32 v52, v49
	v_min_u32_e32 v61, 32, v52
	v_subrev_u32_e32 v52, 28, v61
	v_lshlrev_b64 v[52:53], v52, v[42:43]
	v_lshrrev_b32_e32 v60, 3, v40
	v_sub_u32_e32 v53, 29, v61
	v_and_b32_e32 v52, 7, v52
	v_cmp_gt_u32_e32 vcc, 8, v40
	v_cndmask_b32_e32 v40, v60, v53, vcc
	v_cndmask_b32_e32 v49, v49, v52, vcc
	v_lshlrev_b32_e32 v42, 24, v42
	v_lshlrev_b32_e32 v49, 20, v49
	v_and_b32_e32 v42, 0x80000000, v42
	v_lshl_add_u32 v40, v40, 23, v48
	v_or3_b32 v40, v42, v40, v49
	v_lshrrev_b32_e32 v52, 16, v40
.LBB954_475:                            ;   in Loop: Header=BB954_213 Depth=1
	s_or_b64 exec, exec, s[18:19]
.LBB954_476:                            ;   in Loop: Header=BB954_213 Depth=1
	s_or_b64 exec, exec, s[16:17]
.LBB954_477:                            ;   in Loop: Header=BB954_213 Depth=1
	s_or_b64 exec, exec, s[14:15]
	s_waitcnt vmcnt(0)
	v_cmp_ne_u16_sdwa s[16:17], v38, v47 src0_sel:BYTE_0 src1_sel:DWORD
	s_and_saveexec_b64 s[14:15], s[16:17]
	s_cbranch_execz .LBB954_483
; %bb.478:                              ;   in Loop: Header=BB954_213 Depth=1
	v_cmp_ne_u16_sdwa s[18:19], v38, s9 src0_sel:BYTE_0 src1_sel:DWORD
	v_mov_b32_e32 v51, 0xffff8000
	s_and_saveexec_b64 s[16:17], s[18:19]
	s_cbranch_execz .LBB954_482
; %bb.479:                              ;   in Loop: Header=BB954_213 Depth=1
	v_and_b32_e32 v40, 0x7f, v38
	v_cmp_ne_u32_e32 vcc, s23, v40
	v_mov_b32_e32 v51, 0x7f80
	s_and_saveexec_b64 s[18:19], vcc
	s_cbranch_execz .LBB954_481
; %bb.480:                              ;   in Loop: Header=BB954_213 Depth=1
	v_and_b32_e32 v42, 7, v38
	v_ffbh_u32_e32 v51, v42
	v_min_u32_e32 v51, 32, v51
	v_subrev_u32_e32 v53, 28, v51
	v_lshlrev_b64 v[60:61], v53, v[38:39]
	v_lshrrev_b32_e32 v49, 3, v40
	v_sub_u32_e32 v51, 29, v51
	v_and_b32_e32 v53, 7, v60
	v_cmp_gt_u32_e32 vcc, 8, v40
	v_cndmask_b32_e32 v40, v49, v51, vcc
	v_cndmask_b32_e32 v42, v42, v53, vcc
	v_lshlrev_b32_e32 v49, 24, v38
	v_lshlrev_b32_e32 v42, 20, v42
	v_and_b32_e32 v49, 0x80000000, v49
	v_lshl_add_u32 v40, v40, 23, v48
	v_or3_b32 v40, v49, v40, v42
	v_lshrrev_b32_e32 v51, 16, v40
.LBB954_481:                            ;   in Loop: Header=BB954_213 Depth=1
	s_or_b64 exec, exec, s[18:19]
.LBB954_482:                            ;   in Loop: Header=BB954_213 Depth=1
	s_or_b64 exec, exec, s[16:17]
.LBB954_483:                            ;   in Loop: Header=BB954_213 Depth=1
	s_or_b64 exec, exec, s[14:15]
	v_lshrrev_b16_e32 v40, 8, v38
	v_cmp_ne_u16_e32 vcc, 0, v40
	v_mov_b32_e32 v60, 0
	v_mov_b32_e32 v53, 0
	s_and_saveexec_b64 s[14:15], vcc
	s_cbranch_execz .LBB954_489
; %bb.484:                              ;   in Loop: Header=BB954_213 Depth=1
	v_cmp_ne_u16_e32 vcc, s9, v40
	v_mov_b32_e32 v53, 0xffff8000
	s_and_saveexec_b64 s[16:17], vcc
	s_cbranch_execz .LBB954_488
; %bb.485:                              ;   in Loop: Header=BB954_213 Depth=1
	v_and_b32_e32 v42, 0x7f, v40
	v_cmp_ne_u32_e32 vcc, s23, v42
	v_mov_b32_e32 v53, 0x7f80
	s_and_saveexec_b64 s[18:19], vcc
	s_cbranch_execz .LBB954_487
; %bb.486:                              ;   in Loop: Header=BB954_213 Depth=1
	v_and_b32_e32 v49, 7, v40
	v_ffbh_u32_e32 v61, v49
	v_min_u32_e32 v61, 32, v61
	v_subrev_u32_e32 v62, 28, v61
	v_lshlrev_b64 v[62:63], v62, v[40:41]
	v_lshrrev_b32_e32 v53, 3, v42
	v_sub_u32_e32 v40, 29, v61
	v_and_b32_e32 v61, 7, v62
	v_cmp_gt_u32_e32 vcc, 8, v42
	v_cndmask_b32_e32 v40, v53, v40, vcc
	v_cndmask_b32_e32 v42, v49, v61, vcc
	v_lshlrev_b32_e32 v49, 16, v38
	v_lshlrev_b32_e32 v42, 20, v42
	v_and_b32_e32 v49, 0x80000000, v49
	v_lshl_add_u32 v40, v40, 23, v48
	v_or3_b32 v40, v49, v40, v42
	v_lshrrev_b32_e32 v53, 16, v40
.LBB954_487:                            ;   in Loop: Header=BB954_213 Depth=1
	s_or_b64 exec, exec, s[18:19]
.LBB954_488:                            ;   in Loop: Header=BB954_213 Depth=1
	s_or_b64 exec, exec, s[16:17]
.LBB954_489:                            ;   in Loop: Header=BB954_213 Depth=1
	s_or_b64 exec, exec, s[14:15]
	v_lshrrev_b32_e32 v40, 16, v38
	v_cmp_ne_u16_sdwa s[16:17], v40, v47 src0_sel:BYTE_0 src1_sel:DWORD
	s_and_saveexec_b64 s[14:15], s[16:17]
	s_cbranch_execz .LBB954_495
; %bb.490:                              ;   in Loop: Header=BB954_213 Depth=1
	v_cmp_ne_u16_sdwa s[18:19], v40, s9 src0_sel:BYTE_0 src1_sel:DWORD
	v_mov_b32_e32 v60, 0xffff8000
	s_and_saveexec_b64 s[16:17], s[18:19]
	s_cbranch_execz .LBB954_494
; %bb.491:                              ;   in Loop: Header=BB954_213 Depth=1
	v_bfe_u32 v42, v38, 16, 7
	v_cmp_ne_u32_e32 vcc, s23, v42
	v_mov_b32_e32 v60, 0x7f80
	s_and_saveexec_b64 s[18:19], vcc
	s_cbranch_execz .LBB954_493
; %bb.492:                              ;   in Loop: Header=BB954_213 Depth=1
	v_and_b32_e32 v49, 7, v40
	v_ffbh_u32_e32 v60, v49
	v_min_u32_e32 v63, 32, v60
	v_subrev_u32_e32 v60, 28, v63
	v_lshlrev_b64 v[60:61], v60, v[40:41]
	v_lshrrev_b32_e32 v62, 3, v42
	v_sub_u32_e32 v61, 29, v63
	v_and_b32_e32 v60, 7, v60
	v_cmp_gt_u32_e32 vcc, 8, v42
	v_cndmask_b32_e32 v42, v62, v61, vcc
	v_cndmask_b32_e32 v49, v49, v60, vcc
	v_lshlrev_b32_e32 v40, 24, v40
	v_lshlrev_b32_e32 v49, 20, v49
	v_and_b32_e32 v40, 0x80000000, v40
	v_lshl_add_u32 v42, v42, 23, v48
	v_or3_b32 v40, v40, v42, v49
	v_lshrrev_b32_e32 v60, 16, v40
.LBB954_493:                            ;   in Loop: Header=BB954_213 Depth=1
	s_or_b64 exec, exec, s[18:19]
.LBB954_494:                            ;   in Loop: Header=BB954_213 Depth=1
	s_or_b64 exec, exec, s[16:17]
.LBB954_495:                            ;   in Loop: Header=BB954_213 Depth=1
	s_or_b64 exec, exec, s[14:15]
	v_cmp_lt_u32_e32 vcc, s26, v38
	v_mov_b32_e32 v49, 0
	v_mov_b32_e32 v61, 0
	s_and_saveexec_b64 s[14:15], vcc
	s_cbranch_execz .LBB954_501
; %bb.496:                              ;   in Loop: Header=BB954_213 Depth=1
	v_lshrrev_b32_e32 v40, 24, v38
	v_cmp_ne_u32_e32 vcc, s9, v40
	v_mov_b32_e32 v61, 0xffff8000
	s_and_saveexec_b64 s[16:17], vcc
	s_cbranch_execz .LBB954_500
; %bb.497:                              ;   in Loop: Header=BB954_213 Depth=1
	v_bfe_u32 v38, v38, 24, 7
	v_cmp_ne_u32_e32 vcc, s23, v38
	v_mov_b32_e32 v61, 0x7f80
	s_and_saveexec_b64 s[18:19], vcc
	s_cbranch_execz .LBB954_499
; %bb.498:                              ;   in Loop: Header=BB954_213 Depth=1
	v_and_b32_e32 v42, 7, v40
	v_ffbh_u32_e32 v62, v42
	v_min_u32_e32 v64, 32, v62
	v_subrev_u32_e32 v62, 28, v64
	v_lshlrev_b64 v[62:63], v62, v[40:41]
	v_lshrrev_b32_e32 v61, 3, v38
	v_sub_u32_e32 v63, 29, v64
	v_and_b32_e32 v62, 7, v62
	v_cmp_gt_u32_e32 vcc, 8, v38
	v_cndmask_b32_e32 v38, v61, v63, vcc
	v_cndmask_b32_e32 v42, v42, v62, vcc
	v_lshlrev_b32_e32 v40, 24, v40
	v_lshlrev_b32_e32 v42, 20, v42
	v_and_b32_e32 v40, 0x80000000, v40
	v_lshl_add_u32 v38, v38, 23, v48
	v_or3_b32 v38, v40, v38, v42
	v_lshrrev_b32_e32 v61, 16, v38
.LBB954_499:                            ;   in Loop: Header=BB954_213 Depth=1
	s_or_b64 exec, exec, s[18:19]
.LBB954_500:                            ;   in Loop: Header=BB954_213 Depth=1
	s_or_b64 exec, exec, s[16:17]
.LBB954_501:                            ;   in Loop: Header=BB954_213 Depth=1
	s_or_b64 exec, exec, s[14:15]
	v_perm_b32 v62, v44, v46, s27
	buffer_load_dword v44, v41, s[0:3], 0 offen
	buffer_load_dword v42, v41, s[0:3], 0 offen offset:4
	buffer_load_dword v40, v41, s[0:3], 0 offen offset:8
	;; [unrolled: 1-line block ×3, first 2 shown]
	v_perm_b32 v63, v52, v50, s27
	v_perm_b32 v61, v61, v60, s27
	;; [unrolled: 1-line block ×3, first 2 shown]
	v_mfma_f32_16x16x16bf16_1k v[34:37], v[62:63], v[22:23], v[34:37]
	s_waitcnt vmcnt(3)
	v_cmp_ne_u16_sdwa s[16:17], v44, v47 src0_sel:BYTE_0 src1_sel:DWORD
	v_mfma_f32_16x16x16bf16_1k v[34:37], v[60:61], v[24:25], v[34:37]
	s_and_saveexec_b64 s[14:15], s[16:17]
	s_cbranch_execz .LBB954_507
; %bb.502:                              ;   in Loop: Header=BB954_213 Depth=1
	v_cmp_ne_u16_sdwa s[18:19], v44, s9 src0_sel:BYTE_0 src1_sel:DWORD
	v_mov_b32_e32 v49, 0xffff8000
	s_and_saveexec_b64 s[16:17], s[18:19]
	s_cbranch_execz .LBB954_506
; %bb.503:                              ;   in Loop: Header=BB954_213 Depth=1
	v_and_b32_e32 v41, 0x7f, v44
	v_cmp_ne_u32_e32 vcc, s23, v41
	v_mov_b32_e32 v49, 0x7f80
	s_and_saveexec_b64 s[18:19], vcc
	s_cbranch_execz .LBB954_505
; %bb.504:                              ;   in Loop: Header=BB954_213 Depth=1
	v_and_b32_e32 v46, 7, v44
	v_ffbh_u32_e32 v50, v46
	v_min_u32_e32 v52, 32, v50
	v_subrev_u32_e32 v50, 28, v52
	v_lshlrev_b64 v[50:51], v50, v[44:45]
	v_lshrrev_b32_e32 v49, 3, v41
	v_sub_u32_e32 v51, 29, v52
	v_and_b32_e32 v50, 7, v50
	v_cmp_gt_u32_e32 vcc, 8, v41
	v_cndmask_b32_e32 v41, v49, v51, vcc
	v_cndmask_b32_e32 v46, v46, v50, vcc
	v_lshlrev_b32_e32 v49, 24, v44
	v_lshlrev_b32_e32 v46, 20, v46
	v_and_b32_e32 v49, 0x80000000, v49
	v_lshl_add_u32 v41, v41, 23, v48
	v_or3_b32 v41, v49, v41, v46
	v_lshrrev_b32_e32 v49, 16, v41
.LBB954_505:                            ;   in Loop: Header=BB954_213 Depth=1
	s_or_b64 exec, exec, s[18:19]
.LBB954_506:                            ;   in Loop: Header=BB954_213 Depth=1
	s_or_b64 exec, exec, s[16:17]
.LBB954_507:                            ;   in Loop: Header=BB954_213 Depth=1
	s_or_b64 exec, exec, s[14:15]
	v_lshrrev_b16_e32 v46, 8, v44
	v_cmp_ne_u16_e32 vcc, 0, v46
	v_mov_b32_e32 v51, 0
	v_mov_b32_e32 v50, 0
	s_and_saveexec_b64 s[14:15], vcc
	s_cbranch_execz .LBB954_513
; %bb.508:                              ;   in Loop: Header=BB954_213 Depth=1
	v_cmp_ne_u16_e32 vcc, s9, v46
	v_mov_b32_e32 v50, 0xffff8000
	s_and_saveexec_b64 s[16:17], vcc
	s_cbranch_execz .LBB954_512
; %bb.509:                              ;   in Loop: Header=BB954_213 Depth=1
	v_and_b32_e32 v41, 0x7f, v46
	v_cmp_ne_u32_e32 vcc, s23, v41
	v_mov_b32_e32 v50, 0x7f80
	s_and_saveexec_b64 s[18:19], vcc
	s_cbranch_execz .LBB954_511
; %bb.510:                              ;   in Loop: Header=BB954_213 Depth=1
	v_and_b32_e32 v50, 7, v46
	v_ffbh_u32_e32 v52, v50
	v_min_u32_e32 v61, 32, v52
	v_subrev_u32_e32 v52, 28, v61
	v_lshlrev_b64 v[52:53], v52, v[46:47]
	v_lshrrev_b32_e32 v60, 3, v41
	v_sub_u32_e32 v46, 29, v61
	v_and_b32_e32 v52, 7, v52
	v_cmp_gt_u32_e32 vcc, 8, v41
	v_cndmask_b32_e32 v41, v60, v46, vcc
	v_cndmask_b32_e32 v46, v50, v52, vcc
	v_lshlrev_b32_e32 v50, 16, v44
	v_lshlrev_b32_e32 v46, 20, v46
	v_and_b32_e32 v50, 0x80000000, v50
	v_lshl_add_u32 v41, v41, 23, v48
	v_or3_b32 v41, v50, v41, v46
	v_lshrrev_b32_e32 v50, 16, v41
.LBB954_511:                            ;   in Loop: Header=BB954_213 Depth=1
	s_or_b64 exec, exec, s[18:19]
.LBB954_512:                            ;   in Loop: Header=BB954_213 Depth=1
	s_or_b64 exec, exec, s[16:17]
.LBB954_513:                            ;   in Loop: Header=BB954_213 Depth=1
	s_or_b64 exec, exec, s[14:15]
	v_lshrrev_b32_e32 v46, 16, v44
	v_cmp_ne_u16_sdwa s[16:17], v46, v47 src0_sel:BYTE_0 src1_sel:DWORD
	s_and_saveexec_b64 s[14:15], s[16:17]
	s_cbranch_execz .LBB954_519
; %bb.514:                              ;   in Loop: Header=BB954_213 Depth=1
	v_cmp_ne_u16_sdwa s[18:19], v46, s9 src0_sel:BYTE_0 src1_sel:DWORD
	v_mov_b32_e32 v51, 0xffff8000
	s_and_saveexec_b64 s[16:17], s[18:19]
	s_cbranch_execz .LBB954_518
; %bb.515:                              ;   in Loop: Header=BB954_213 Depth=1
	v_bfe_u32 v41, v44, 16, 7
	v_cmp_ne_u32_e32 vcc, s23, v41
	v_mov_b32_e32 v51, 0x7f80
	s_and_saveexec_b64 s[18:19], vcc
	s_cbranch_execz .LBB954_517
; %bb.516:                              ;   in Loop: Header=BB954_213 Depth=1
	v_and_b32_e32 v51, 7, v46
	v_ffbh_u32_e32 v52, v51
	v_min_u32_e32 v61, 32, v52
	v_subrev_u32_e32 v52, 28, v61
	v_lshlrev_b64 v[52:53], v52, v[46:47]
	v_lshrrev_b32_e32 v60, 3, v41
	v_sub_u32_e32 v53, 29, v61
	v_and_b32_e32 v52, 7, v52
	v_cmp_gt_u32_e32 vcc, 8, v41
	v_cndmask_b32_e32 v41, v60, v53, vcc
	v_cndmask_b32_e32 v51, v51, v52, vcc
	v_lshlrev_b32_e32 v46, 24, v46
	v_lshlrev_b32_e32 v51, 20, v51
	v_and_b32_e32 v46, 0x80000000, v46
	v_lshl_add_u32 v41, v41, 23, v48
	v_or3_b32 v41, v46, v41, v51
	v_lshrrev_b32_e32 v51, 16, v41
.LBB954_517:                            ;   in Loop: Header=BB954_213 Depth=1
	s_or_b64 exec, exec, s[18:19]
.LBB954_518:                            ;   in Loop: Header=BB954_213 Depth=1
	s_or_b64 exec, exec, s[16:17]
.LBB954_519:                            ;   in Loop: Header=BB954_213 Depth=1
	s_or_b64 exec, exec, s[14:15]
	v_cmp_lt_u32_e32 vcc, s26, v44
	v_mov_b32_e32 v52, 0
	v_mov_b32_e32 v53, 0
	s_and_saveexec_b64 s[14:15], vcc
	s_cbranch_execz .LBB954_525
; %bb.520:                              ;   in Loop: Header=BB954_213 Depth=1
	v_lshrrev_b32_e32 v46, 24, v44
	v_cmp_ne_u32_e32 vcc, s9, v46
	v_mov_b32_e32 v53, 0xffff8000
	s_and_saveexec_b64 s[16:17], vcc
	s_cbranch_execz .LBB954_524
; %bb.521:                              ;   in Loop: Header=BB954_213 Depth=1
	v_bfe_u32 v41, v44, 24, 7
	v_cmp_ne_u32_e32 vcc, s23, v41
	v_mov_b32_e32 v53, 0x7f80
	s_and_saveexec_b64 s[18:19], vcc
	s_cbranch_execz .LBB954_523
; %bb.522:                              ;   in Loop: Header=BB954_213 Depth=1
	v_and_b32_e32 v44, 7, v46
	v_ffbh_u32_e32 v60, v44
	v_min_u32_e32 v62, 32, v60
	v_subrev_u32_e32 v60, 28, v62
	v_lshlrev_b64 v[60:61], v60, v[46:47]
	v_lshrrev_b32_e32 v53, 3, v41
	v_sub_u32_e32 v61, 29, v62
	v_and_b32_e32 v60, 7, v60
	v_cmp_gt_u32_e32 vcc, 8, v41
	v_cndmask_b32_e32 v41, v53, v61, vcc
	v_cndmask_b32_e32 v44, v44, v60, vcc
	v_lshlrev_b32_e32 v46, 24, v46
	v_lshlrev_b32_e32 v44, 20, v44
	v_and_b32_e32 v46, 0x80000000, v46
	v_lshl_add_u32 v41, v41, 23, v48
	v_or3_b32 v41, v46, v41, v44
	v_lshrrev_b32_e32 v53, 16, v41
.LBB954_523:                            ;   in Loop: Header=BB954_213 Depth=1
	s_or_b64 exec, exec, s[18:19]
.LBB954_524:                            ;   in Loop: Header=BB954_213 Depth=1
	s_or_b64 exec, exec, s[16:17]
.LBB954_525:                            ;   in Loop: Header=BB954_213 Depth=1
	s_or_b64 exec, exec, s[14:15]
	s_waitcnt vmcnt(2)
	v_cmp_ne_u16_sdwa s[16:17], v42, v47 src0_sel:BYTE_0 src1_sel:DWORD
	s_and_saveexec_b64 s[14:15], s[16:17]
	s_cbranch_execz .LBB954_531
; %bb.526:                              ;   in Loop: Header=BB954_213 Depth=1
	v_cmp_ne_u16_sdwa s[18:19], v42, s9 src0_sel:BYTE_0 src1_sel:DWORD
	v_mov_b32_e32 v52, 0xffff8000
	s_and_saveexec_b64 s[16:17], s[18:19]
	s_cbranch_execz .LBB954_530
; %bb.527:                              ;   in Loop: Header=BB954_213 Depth=1
	v_and_b32_e32 v41, 0x7f, v42
	v_cmp_ne_u32_e32 vcc, s23, v41
	v_mov_b32_e32 v52, 0x7f80
	s_and_saveexec_b64 s[18:19], vcc
	s_cbranch_execz .LBB954_529
; %bb.528:                              ;   in Loop: Header=BB954_213 Depth=1
	v_and_b32_e32 v44, 7, v42
	v_ffbh_u32_e32 v52, v44
	v_min_u32_e32 v52, 32, v52
	v_subrev_u32_e32 v60, 28, v52
	v_lshlrev_b64 v[60:61], v60, v[42:43]
	v_lshrrev_b32_e32 v46, 3, v41
	v_sub_u32_e32 v52, 29, v52
	v_and_b32_e32 v60, 7, v60
	v_cmp_gt_u32_e32 vcc, 8, v41
	v_cndmask_b32_e32 v41, v46, v52, vcc
	v_cndmask_b32_e32 v44, v44, v60, vcc
	v_lshlrev_b32_e32 v46, 24, v42
	v_lshlrev_b32_e32 v44, 20, v44
	v_and_b32_e32 v46, 0x80000000, v46
	v_lshl_add_u32 v41, v41, 23, v48
	v_or3_b32 v41, v46, v41, v44
	v_lshrrev_b32_e32 v52, 16, v41
.LBB954_529:                            ;   in Loop: Header=BB954_213 Depth=1
	s_or_b64 exec, exec, s[18:19]
.LBB954_530:                            ;   in Loop: Header=BB954_213 Depth=1
	s_or_b64 exec, exec, s[16:17]
.LBB954_531:                            ;   in Loop: Header=BB954_213 Depth=1
	s_or_b64 exec, exec, s[14:15]
	v_lshrrev_b16_e32 v44, 8, v42
	v_cmp_ne_u16_e32 vcc, 0, v44
	v_mov_b32_e32 v60, 0
	v_mov_b32_e32 v46, 0
	s_and_saveexec_b64 s[14:15], vcc
	s_cbranch_execz .LBB954_537
; %bb.532:                              ;   in Loop: Header=BB954_213 Depth=1
	v_cmp_ne_u16_e32 vcc, s9, v44
	v_mov_b32_e32 v46, 0xffff8000
	s_and_saveexec_b64 s[16:17], vcc
	s_cbranch_execz .LBB954_536
; %bb.533:                              ;   in Loop: Header=BB954_213 Depth=1
	v_and_b32_e32 v41, 0x7f, v44
	v_cmp_ne_u32_e32 vcc, s23, v41
	v_mov_b32_e32 v46, 0x7f80
	s_and_saveexec_b64 s[18:19], vcc
	s_cbranch_execz .LBB954_535
; %bb.534:                              ;   in Loop: Header=BB954_213 Depth=1
	v_and_b32_e32 v46, 7, v44
	v_ffbh_u32_e32 v62, v46
	v_min_u32_e32 v64, 32, v62
	v_subrev_u32_e32 v62, 28, v64
	v_lshlrev_b64 v[62:63], v62, v[44:45]
	v_lshrrev_b32_e32 v61, 3, v41
	v_sub_u32_e32 v44, 29, v64
	v_and_b32_e32 v62, 7, v62
	v_cmp_gt_u32_e32 vcc, 8, v41
	v_cndmask_b32_e32 v41, v61, v44, vcc
	v_cndmask_b32_e32 v44, v46, v62, vcc
	v_lshlrev_b32_e32 v46, 16, v42
	v_lshlrev_b32_e32 v44, 20, v44
	v_and_b32_e32 v46, 0x80000000, v46
	v_lshl_add_u32 v41, v41, 23, v48
	v_or3_b32 v41, v46, v41, v44
	v_lshrrev_b32_e32 v46, 16, v41
.LBB954_535:                            ;   in Loop: Header=BB954_213 Depth=1
	s_or_b64 exec, exec, s[18:19]
.LBB954_536:                            ;   in Loop: Header=BB954_213 Depth=1
	s_or_b64 exec, exec, s[16:17]
.LBB954_537:                            ;   in Loop: Header=BB954_213 Depth=1
	s_or_b64 exec, exec, s[14:15]
	v_lshrrev_b32_e32 v44, 16, v42
	v_cmp_ne_u16_sdwa s[16:17], v44, v47 src0_sel:BYTE_0 src1_sel:DWORD
	s_and_saveexec_b64 s[14:15], s[16:17]
	s_cbranch_execz .LBB954_543
; %bb.538:                              ;   in Loop: Header=BB954_213 Depth=1
	v_cmp_ne_u16_sdwa s[18:19], v44, s9 src0_sel:BYTE_0 src1_sel:DWORD
	v_mov_b32_e32 v60, 0xffff8000
	s_and_saveexec_b64 s[16:17], s[18:19]
	s_cbranch_execz .LBB954_542
; %bb.539:                              ;   in Loop: Header=BB954_213 Depth=1
	v_bfe_u32 v41, v42, 16, 7
	v_cmp_ne_u32_e32 vcc, s23, v41
	v_mov_b32_e32 v60, 0x7f80
	s_and_saveexec_b64 s[18:19], vcc
	s_cbranch_execz .LBB954_541
; %bb.540:                              ;   in Loop: Header=BB954_213 Depth=1
	v_and_b32_e32 v62, 7, v44
	v_ffbh_u32_e32 v60, v62
	v_min_u32_e32 v64, 32, v60
	v_subrev_u32_e32 v60, 28, v64
	v_lshlrev_b64 v[60:61], v60, v[44:45]
	v_lshrrev_b32_e32 v63, 3, v41
	v_sub_u32_e32 v61, 29, v64
	v_and_b32_e32 v60, 7, v60
	v_cmp_gt_u32_e32 vcc, 8, v41
	v_cndmask_b32_e32 v41, v63, v61, vcc
	v_cndmask_b32_e32 v60, v62, v60, vcc
	v_lshlrev_b32_e32 v44, 24, v44
	v_lshlrev_b32_e32 v60, 20, v60
	v_and_b32_e32 v44, 0x80000000, v44
	v_lshl_add_u32 v41, v41, 23, v48
	v_or3_b32 v41, v44, v41, v60
	v_lshrrev_b32_e32 v60, 16, v41
.LBB954_541:                            ;   in Loop: Header=BB954_213 Depth=1
	s_or_b64 exec, exec, s[18:19]
.LBB954_542:                            ;   in Loop: Header=BB954_213 Depth=1
	s_or_b64 exec, exec, s[16:17]
.LBB954_543:                            ;   in Loop: Header=BB954_213 Depth=1
	s_or_b64 exec, exec, s[14:15]
	v_cmp_lt_u32_e32 vcc, s26, v42
	v_mov_b32_e32 v41, 0
	v_mov_b32_e32 v61, 0
	s_and_saveexec_b64 s[14:15], vcc
	s_cbranch_execz .LBB954_549
; %bb.544:                              ;   in Loop: Header=BB954_213 Depth=1
	v_lshrrev_b32_e32 v44, 24, v42
	v_cmp_ne_u32_e32 vcc, s9, v44
	v_mov_b32_e32 v61, 0xffff8000
	s_and_saveexec_b64 s[16:17], vcc
	s_cbranch_execz .LBB954_548
; %bb.545:                              ;   in Loop: Header=BB954_213 Depth=1
	v_bfe_u32 v42, v42, 24, 7
	v_cmp_ne_u32_e32 vcc, s23, v42
	v_mov_b32_e32 v61, 0x7f80
	s_and_saveexec_b64 s[18:19], vcc
	s_cbranch_execz .LBB954_547
; %bb.546:                              ;   in Loop: Header=BB954_213 Depth=1
	v_and_b32_e32 v61, 7, v44
	v_ffbh_u32_e32 v62, v61
	v_min_u32_e32 v65, 32, v62
	v_subrev_u32_e32 v62, 28, v65
	v_lshlrev_b64 v[62:63], v62, v[44:45]
	v_lshrrev_b32_e32 v64, 3, v42
	v_sub_u32_e32 v63, 29, v65
	v_and_b32_e32 v62, 7, v62
	v_cmp_gt_u32_e32 vcc, 8, v42
	v_cndmask_b32_e32 v42, v64, v63, vcc
	v_cndmask_b32_e32 v61, v61, v62, vcc
	v_lshlrev_b32_e32 v44, 24, v44
	v_lshlrev_b32_e32 v61, 20, v61
	v_and_b32_e32 v44, 0x80000000, v44
	v_lshl_add_u32 v42, v42, 23, v48
	v_or3_b32 v42, v44, v42, v61
	v_lshrrev_b32_e32 v61, 16, v42
.LBB954_547:                            ;   in Loop: Header=BB954_213 Depth=1
	s_or_b64 exec, exec, s[18:19]
.LBB954_548:                            ;   in Loop: Header=BB954_213 Depth=1
	s_or_b64 exec, exec, s[16:17]
.LBB954_549:                            ;   in Loop: Header=BB954_213 Depth=1
	s_or_b64 exec, exec, s[14:15]
	v_perm_b32 v51, v53, v51, s27
	v_perm_b32 v50, v50, v49, s27
	s_waitcnt vmcnt(1)
	v_cmp_ne_u16_sdwa s[16:17], v40, v47 src0_sel:BYTE_0 src1_sel:DWORD
	v_mfma_f32_16x16x16bf16_1k v[34:37], v[50:51], v[26:27], v[34:37]
	v_perm_b32 v51, v61, v60, s27
	v_perm_b32 v50, v46, v52, s27
	s_nop 1
	v_mfma_f32_16x16x16bf16_1k v[34:37], v[50:51], v[28:29], v[34:37]
	s_and_saveexec_b64 s[14:15], s[16:17]
	s_cbranch_execz .LBB954_555
; %bb.550:                              ;   in Loop: Header=BB954_213 Depth=1
	v_cmp_ne_u16_sdwa s[18:19], v40, s9 src0_sel:BYTE_0 src1_sel:DWORD
	v_mov_b32_e32 v41, 0xffff8000
	s_and_saveexec_b64 s[16:17], s[18:19]
	s_cbranch_execz .LBB954_554
; %bb.551:                              ;   in Loop: Header=BB954_213 Depth=1
	v_and_b32_e32 v42, 0x7f, v40
	v_cmp_ne_u32_e32 vcc, s23, v42
	v_mov_b32_e32 v41, 0x7f80
	s_and_saveexec_b64 s[18:19], vcc
	s_cbranch_execz .LBB954_553
; %bb.552:                              ;   in Loop: Header=BB954_213 Depth=1
	v_and_b32_e32 v41, 7, v40
	v_ffbh_u32_e32 v46, v41
	v_min_u32_e32 v46, 32, v46
	v_subrev_u32_e32 v49, 28, v46
	v_lshlrev_b64 v[50:51], v49, v[40:41]
	v_lshrrev_b32_e32 v44, 3, v42
	v_sub_u32_e32 v46, 29, v46
	v_and_b32_e32 v49, 7, v50
	v_cmp_gt_u32_e32 vcc, 8, v42
	v_cndmask_b32_e32 v42, v44, v46, vcc
	v_cndmask_b32_e32 v41, v41, v49, vcc
	v_lshlrev_b32_e32 v44, 24, v40
	v_lshlrev_b32_e32 v41, 20, v41
	v_and_b32_e32 v44, 0x80000000, v44
	v_lshl_add_u32 v42, v42, 23, v48
	v_or3_b32 v41, v44, v42, v41
	v_lshrrev_b32_e32 v41, 16, v41
.LBB954_553:                            ;   in Loop: Header=BB954_213 Depth=1
	s_or_b64 exec, exec, s[18:19]
.LBB954_554:                            ;   in Loop: Header=BB954_213 Depth=1
	s_or_b64 exec, exec, s[16:17]
.LBB954_555:                            ;   in Loop: Header=BB954_213 Depth=1
	s_or_b64 exec, exec, s[14:15]
	v_lshrrev_b16_e32 v42, 8, v40
	v_cmp_ne_u16_e32 vcc, 0, v42
	v_mov_b32_e32 v46, 0
	v_mov_b32_e32 v44, 0
	s_and_saveexec_b64 s[14:15], vcc
	s_cbranch_execz .LBB954_561
; %bb.556:                              ;   in Loop: Header=BB954_213 Depth=1
	v_cmp_ne_u16_e32 vcc, s9, v42
	v_mov_b32_e32 v44, 0xffff8000
	s_and_saveexec_b64 s[16:17], vcc
	s_cbranch_execz .LBB954_560
; %bb.557:                              ;   in Loop: Header=BB954_213 Depth=1
	v_and_b32_e32 v49, 0x7f, v42
	v_cmp_ne_u32_e32 vcc, s23, v49
	v_mov_b32_e32 v44, 0x7f80
	s_and_saveexec_b64 s[18:19], vcc
	s_cbranch_execz .LBB954_559
; %bb.558:                              ;   in Loop: Header=BB954_213 Depth=1
	v_and_b32_e32 v44, 7, v42
	v_ffbh_u32_e32 v50, v44
	v_min_u32_e32 v53, 32, v50
	v_subrev_u32_e32 v50, 28, v53
	v_lshlrev_b64 v[50:51], v50, v[42:43]
	v_lshrrev_b32_e32 v52, 3, v49
	v_sub_u32_e32 v42, 29, v53
	v_and_b32_e32 v50, 7, v50
	v_cmp_gt_u32_e32 vcc, 8, v49
	v_cndmask_b32_e32 v42, v52, v42, vcc
	v_cndmask_b32_e32 v44, v44, v50, vcc
	v_lshlrev_b32_e32 v49, 16, v40
	v_lshlrev_b32_e32 v44, 20, v44
	v_and_b32_e32 v49, 0x80000000, v49
	v_lshl_add_u32 v42, v42, 23, v48
	v_or3_b32 v42, v49, v42, v44
	v_lshrrev_b32_e32 v44, 16, v42
.LBB954_559:                            ;   in Loop: Header=BB954_213 Depth=1
	s_or_b64 exec, exec, s[18:19]
.LBB954_560:                            ;   in Loop: Header=BB954_213 Depth=1
	s_or_b64 exec, exec, s[16:17]
.LBB954_561:                            ;   in Loop: Header=BB954_213 Depth=1
	s_or_b64 exec, exec, s[14:15]
	v_lshrrev_b32_e32 v42, 16, v40
	v_cmp_ne_u16_sdwa s[16:17], v42, v47 src0_sel:BYTE_0 src1_sel:DWORD
	s_and_saveexec_b64 s[14:15], s[16:17]
	s_cbranch_execz .LBB954_567
; %bb.562:                              ;   in Loop: Header=BB954_213 Depth=1
	v_cmp_ne_u16_sdwa s[18:19], v42, s9 src0_sel:BYTE_0 src1_sel:DWORD
	v_mov_b32_e32 v46, 0xffff8000
	s_and_saveexec_b64 s[16:17], s[18:19]
	s_cbranch_execz .LBB954_566
; %bb.563:                              ;   in Loop: Header=BB954_213 Depth=1
	v_bfe_u32 v49, v40, 16, 7
	v_cmp_ne_u32_e32 vcc, s23, v49
	v_mov_b32_e32 v46, 0x7f80
	s_and_saveexec_b64 s[18:19], vcc
	s_cbranch_execz .LBB954_565
; %bb.564:                              ;   in Loop: Header=BB954_213 Depth=1
	v_and_b32_e32 v46, 7, v42
	v_ffbh_u32_e32 v50, v46
	v_min_u32_e32 v53, 32, v50
	v_subrev_u32_e32 v50, 28, v53
	v_lshlrev_b64 v[50:51], v50, v[42:43]
	v_lshrrev_b32_e32 v52, 3, v49
	v_sub_u32_e32 v51, 29, v53
	v_and_b32_e32 v50, 7, v50
	v_cmp_gt_u32_e32 vcc, 8, v49
	v_cndmask_b32_e32 v49, v52, v51, vcc
	v_cndmask_b32_e32 v46, v46, v50, vcc
	v_lshlrev_b32_e32 v42, 24, v42
	v_lshlrev_b32_e32 v46, 20, v46
	v_and_b32_e32 v42, 0x80000000, v42
	v_lshl_add_u32 v49, v49, 23, v48
	v_or3_b32 v42, v42, v49, v46
	v_lshrrev_b32_e32 v46, 16, v42
.LBB954_565:                            ;   in Loop: Header=BB954_213 Depth=1
	s_or_b64 exec, exec, s[18:19]
.LBB954_566:                            ;   in Loop: Header=BB954_213 Depth=1
	s_or_b64 exec, exec, s[16:17]
.LBB954_567:                            ;   in Loop: Header=BB954_213 Depth=1
	s_or_b64 exec, exec, s[14:15]
	v_cmp_lt_u32_e32 vcc, s26, v40
	v_mov_b32_e32 v49, 0
	v_mov_b32_e32 v50, 0
	s_and_saveexec_b64 s[14:15], vcc
	s_cbranch_execz .LBB954_573
; %bb.568:                              ;   in Loop: Header=BB954_213 Depth=1
	v_lshrrev_b32_e32 v42, 24, v40
	v_cmp_ne_u32_e32 vcc, s9, v42
	v_mov_b32_e32 v50, 0xffff8000
	s_and_saveexec_b64 s[16:17], vcc
	s_cbranch_execz .LBB954_572
; %bb.569:                              ;   in Loop: Header=BB954_213 Depth=1
	v_bfe_u32 v40, v40, 24, 7
	v_cmp_ne_u32_e32 vcc, s23, v40
	v_mov_b32_e32 v50, 0x7f80
	s_and_saveexec_b64 s[18:19], vcc
	s_cbranch_execz .LBB954_571
; %bb.570:                              ;   in Loop: Header=BB954_213 Depth=1
	v_and_b32_e32 v52, 7, v42
	v_ffbh_u32_e32 v50, v52
	v_min_u32_e32 v60, 32, v50
	v_subrev_u32_e32 v50, 28, v60
	v_lshlrev_b64 v[50:51], v50, v[42:43]
	v_lshrrev_b32_e32 v53, 3, v40
	v_sub_u32_e32 v51, 29, v60
	v_and_b32_e32 v50, 7, v50
	v_cmp_gt_u32_e32 vcc, 8, v40
	v_cndmask_b32_e32 v40, v53, v51, vcc
	v_cndmask_b32_e32 v50, v52, v50, vcc
	v_lshlrev_b32_e32 v42, 24, v42
	v_lshlrev_b32_e32 v50, 20, v50
	v_and_b32_e32 v42, 0x80000000, v42
	v_lshl_add_u32 v40, v40, 23, v48
	v_or3_b32 v40, v42, v40, v50
	v_lshrrev_b32_e32 v50, 16, v40
.LBB954_571:                            ;   in Loop: Header=BB954_213 Depth=1
	s_or_b64 exec, exec, s[18:19]
.LBB954_572:                            ;   in Loop: Header=BB954_213 Depth=1
	s_or_b64 exec, exec, s[16:17]
.LBB954_573:                            ;   in Loop: Header=BB954_213 Depth=1
	s_or_b64 exec, exec, s[14:15]
	s_waitcnt vmcnt(0)
	v_cmp_ne_u16_sdwa s[16:17], v38, v47 src0_sel:BYTE_0 src1_sel:DWORD
	s_and_saveexec_b64 s[14:15], s[16:17]
	s_cbranch_execz .LBB954_579
; %bb.574:                              ;   in Loop: Header=BB954_213 Depth=1
	v_cmp_ne_u16_sdwa s[18:19], v38, s9 src0_sel:BYTE_0 src1_sel:DWORD
	v_mov_b32_e32 v49, 0xffff8000
	s_and_saveexec_b64 s[16:17], s[18:19]
	s_cbranch_execz .LBB954_578
; %bb.575:                              ;   in Loop: Header=BB954_213 Depth=1
	v_and_b32_e32 v40, 0x7f, v38
	v_cmp_ne_u32_e32 vcc, s23, v40
	v_mov_b32_e32 v49, 0x7f80
	s_and_saveexec_b64 s[18:19], vcc
	s_cbranch_execz .LBB954_577
; %bb.576:                              ;   in Loop: Header=BB954_213 Depth=1
	v_and_b32_e32 v42, 7, v38
	v_ffbh_u32_e32 v51, v42
	v_min_u32_e32 v51, 32, v51
	v_subrev_u32_e32 v52, 28, v51
	v_lshlrev_b64 v[52:53], v52, v[38:39]
	v_lshrrev_b32_e32 v49, 3, v40
	v_sub_u32_e32 v51, 29, v51
	v_and_b32_e32 v52, 7, v52
	v_cmp_gt_u32_e32 vcc, 8, v40
	v_cndmask_b32_e32 v40, v49, v51, vcc
	v_cndmask_b32_e32 v42, v42, v52, vcc
	v_lshlrev_b32_e32 v49, 24, v38
	v_lshlrev_b32_e32 v42, 20, v42
	v_and_b32_e32 v49, 0x80000000, v49
	v_lshl_add_u32 v40, v40, 23, v48
	v_or3_b32 v40, v49, v40, v42
	v_lshrrev_b32_e32 v49, 16, v40
.LBB954_577:                            ;   in Loop: Header=BB954_213 Depth=1
	s_or_b64 exec, exec, s[18:19]
.LBB954_578:                            ;   in Loop: Header=BB954_213 Depth=1
	s_or_b64 exec, exec, s[16:17]
.LBB954_579:                            ;   in Loop: Header=BB954_213 Depth=1
	s_or_b64 exec, exec, s[14:15]
	v_lshrrev_b16_e32 v40, 8, v38
	v_cmp_ne_u16_e32 vcc, 0, v40
	v_mov_b32_e32 v51, 0
	v_mov_b32_e32 v42, 0
	s_and_saveexec_b64 s[14:15], vcc
	s_cbranch_execz .LBB954_585
; %bb.580:                              ;   in Loop: Header=BB954_213 Depth=1
	v_cmp_ne_u16_e32 vcc, s9, v40
	v_mov_b32_e32 v42, 0xffff8000
	s_and_saveexec_b64 s[16:17], vcc
	s_cbranch_execz .LBB954_584
; %bb.581:                              ;   in Loop: Header=BB954_213 Depth=1
	v_and_b32_e32 v52, 0x7f, v40
	v_cmp_ne_u32_e32 vcc, s23, v52
	v_mov_b32_e32 v42, 0x7f80
	s_and_saveexec_b64 s[18:19], vcc
	s_cbranch_execz .LBB954_583
; %bb.582:                              ;   in Loop: Header=BB954_213 Depth=1
	v_and_b32_e32 v42, 7, v40
	v_ffbh_u32_e32 v60, v42
	v_min_u32_e32 v62, 32, v60
	v_subrev_u32_e32 v60, 28, v62
	v_lshlrev_b64 v[60:61], v60, v[40:41]
	v_lshrrev_b32_e32 v53, 3, v52
	v_sub_u32_e32 v40, 29, v62
	v_and_b32_e32 v60, 7, v60
	v_cmp_gt_u32_e32 vcc, 8, v52
	v_cndmask_b32_e32 v40, v53, v40, vcc
	v_cndmask_b32_e32 v42, v42, v60, vcc
	v_lshlrev_b32_e32 v52, 16, v38
	v_lshlrev_b32_e32 v42, 20, v42
	v_and_b32_e32 v52, 0x80000000, v52
	v_lshl_add_u32 v40, v40, 23, v48
	v_or3_b32 v40, v52, v40, v42
	v_lshrrev_b32_e32 v42, 16, v40
.LBB954_583:                            ;   in Loop: Header=BB954_213 Depth=1
	s_or_b64 exec, exec, s[18:19]
.LBB954_584:                            ;   in Loop: Header=BB954_213 Depth=1
	s_or_b64 exec, exec, s[16:17]
.LBB954_585:                            ;   in Loop: Header=BB954_213 Depth=1
	s_or_b64 exec, exec, s[14:15]
	v_lshrrev_b32_e32 v40, 16, v38
	v_cmp_ne_u16_sdwa s[16:17], v40, v47 src0_sel:BYTE_0 src1_sel:DWORD
	s_and_saveexec_b64 s[14:15], s[16:17]
	s_cbranch_execz .LBB954_591
; %bb.586:                              ;   in Loop: Header=BB954_213 Depth=1
	v_cmp_ne_u16_sdwa s[18:19], v40, s9 src0_sel:BYTE_0 src1_sel:DWORD
	v_mov_b32_e32 v51, 0xffff8000
	s_and_saveexec_b64 s[16:17], s[18:19]
	s_cbranch_execz .LBB954_590
; %bb.587:                              ;   in Loop: Header=BB954_213 Depth=1
	v_bfe_u32 v52, v38, 16, 7
	v_cmp_ne_u32_e32 vcc, s23, v52
	v_mov_b32_e32 v51, 0x7f80
	s_and_saveexec_b64 s[18:19], vcc
	s_cbranch_execz .LBB954_589
; %bb.588:                              ;   in Loop: Header=BB954_213 Depth=1
	v_and_b32_e32 v51, 7, v40
	v_ffbh_u32_e32 v60, v51
	v_min_u32_e32 v62, 32, v60
	v_subrev_u32_e32 v60, 28, v62
	v_lshlrev_b64 v[60:61], v60, v[40:41]
	v_lshrrev_b32_e32 v53, 3, v52
	v_sub_u32_e32 v61, 29, v62
	v_and_b32_e32 v60, 7, v60
	v_cmp_gt_u32_e32 vcc, 8, v52
	v_cndmask_b32_e32 v52, v53, v61, vcc
	v_cndmask_b32_e32 v51, v51, v60, vcc
	v_lshlrev_b32_e32 v40, 24, v40
	v_lshlrev_b32_e32 v51, 20, v51
	v_and_b32_e32 v40, 0x80000000, v40
	v_lshl_add_u32 v52, v52, 23, v48
	v_or3_b32 v40, v40, v52, v51
	v_lshrrev_b32_e32 v51, 16, v40
.LBB954_589:                            ;   in Loop: Header=BB954_213 Depth=1
	s_or_b64 exec, exec, s[18:19]
.LBB954_590:                            ;   in Loop: Header=BB954_213 Depth=1
	s_or_b64 exec, exec, s[16:17]
.LBB954_591:                            ;   in Loop: Header=BB954_213 Depth=1
	s_or_b64 exec, exec, s[14:15]
	v_cmp_lt_u32_e32 vcc, s26, v38
	v_mov_b32_e32 v52, 0
	s_and_saveexec_b64 s[14:15], vcc
	s_cbranch_execz .LBB954_212
; %bb.592:                              ;   in Loop: Header=BB954_213 Depth=1
	v_lshrrev_b32_e32 v40, 24, v38
	v_cmp_ne_u32_e32 vcc, s9, v40
	v_mov_b32_e32 v52, 0xffff8000
	s_and_saveexec_b64 s[16:17], vcc
	s_cbranch_execz .LBB954_211
; %bb.593:                              ;   in Loop: Header=BB954_213 Depth=1
	v_bfe_u32 v38, v38, 24, 7
	v_cmp_ne_u32_e32 vcc, s23, v38
	v_mov_b32_e32 v52, 0x7f80
	s_and_saveexec_b64 s[18:19], vcc
	s_cbranch_execz .LBB954_210
; %bb.594:                              ;   in Loop: Header=BB954_213 Depth=1
	v_and_b32_e32 v60, 7, v40
	v_ffbh_u32_e32 v52, v60
	v_min_u32_e32 v62, 32, v52
	v_subrev_u32_e32 v52, 28, v62
	v_lshlrev_b64 v[52:53], v52, v[40:41]
	v_lshrrev_b32_e32 v61, 3, v38
	v_sub_u32_e32 v53, 29, v62
	v_and_b32_e32 v52, 7, v52
	v_cmp_gt_u32_e32 vcc, 8, v38
	v_cndmask_b32_e32 v38, v61, v53, vcc
	v_cndmask_b32_e32 v52, v60, v52, vcc
	v_lshlrev_b32_e32 v40, 24, v40
	v_lshlrev_b32_e32 v52, 20, v52
	v_and_b32_e32 v40, 0x80000000, v40
	v_lshl_add_u32 v38, v38, 23, v48
	v_or3_b32 v38, v40, v38, v52
	v_lshrrev_b32_e32 v52, 16, v38
	s_branch .LBB954_210
.LBB954_595:
	s_barrier
	buffer_load_dword v2, off, s[0:3], 0 offset:320
	buffer_load_dword v5, off, s[0:3], 0 offset:332
	;; [unrolled: 1-line block ×4, first 2 shown]
	v_cmp_gt_u32_e32 vcc, 64, v0
	s_waitcnt vmcnt(0)
	ds_write2st64_b64 v43, v[2:3], v[4:5] offset1:1
	s_waitcnt lgkmcnt(0)
	s_barrier
	s_and_saveexec_b64 s[6:7], vcc
	s_cbranch_execz .LBB954_598
; %bb.596:
	s_lshl_b32 s6, s50, 7
	s_mul_i32 s7, s20, s8
	s_mul_hi_u32 s11, s7, s6
	s_mul_i32 s10, s7, s6
	s_lshl_b64 s[10:11], s[10:11], 1
	v_lshlrev_b32_e32 v4, 6, v55
	s_add_u32 s7, s48, s10
	v_lshl_or_b32 v0, v0, 10, v4
	s_mov_b32 s9, 0
	s_addc_u32 s10, s49, s11
	s_lshl_b32 s8, s24, 7
	v_lshlrev_b32_e32 v2, 5, v1
	v_and_b32_e32 v3, 16, v56
	v_and_b32_e32 v0, 0x1a00, v0
	s_lshl_b64 s[8:9], s[8:9], 1
	v_or3_b32 v0, v0, v2, v3
	s_add_u32 s7, s7, s8
	ds_read_b128 v[4:7], v0 offset:256
	s_addc_u32 s8, s10, s9
	ds_read_b128 v[8:11], v0 offset:128
	ds_read_b128 v[12:15], v0
	v_add_u32_e32 v18, s25, v1
	v_mov_b32_e32 v3, s8
	v_add_co_u32_e32 v2, vcc, s7, v54
	v_mad_u64_u32 v[16:17], s[8:9], v18, s6, 0
	v_addc_co_u32_e32 v3, vcc, 0, v3, vcc
	v_lshlrev_b64 v[16:17], 1, v[16:17]
	v_add_co_u32_e32 v16, vcc, v2, v16
	v_addc_co_u32_e32 v17, vcc, v3, v17, vcc
	s_waitcnt lgkmcnt(0)
	global_store_dwordx4 v[16:17], v[12:15], off
	s_nop 0
	v_add_u32_e32 v12, 4, v18
	v_mad_u64_u32 v[12:13], s[8:9], v12, s6, 0
	v_lshlrev_b64 v[12:13], 1, v[12:13]
	v_add_co_u32_e32 v12, vcc, v2, v12
	v_addc_co_u32_e32 v13, vcc, v3, v13, vcc
	global_store_dwordx4 v[12:13], v[8:11], off
	s_nop 0
	v_add_u32_e32 v8, 8, v18
	v_mad_u64_u32 v[8:9], s[8:9], v8, s6, 0
	v_lshlrev_b64 v[8:9], 1, v[8:9]
	v_add_co_u32_e32 v8, vcc, v2, v8
	v_addc_co_u32_e32 v9, vcc, v3, v9, vcc
	global_store_dwordx4 v[8:9], v[4:7], off
	s_and_b64 exec, exec, s[4:5]
	s_cbranch_execz .LBB954_598
; %bb.597:
	ds_read_b128 v[4:7], v0 offset:384
	v_add3_u32 v0, s25, v1, 12
	v_mad_u64_u32 v[0:1], s[4:5], v0, s6, 0
	v_lshlrev_b64 v[0:1], 1, v[0:1]
	v_add_co_u32_e32 v0, vcc, v2, v0
	v_addc_co_u32_e32 v1, vcc, v3, v1, vcc
	s_waitcnt lgkmcnt(0)
	global_store_dwordx4 v[0:1], v[4:7], off
.LBB954_598:
	s_endpgm
	.section	.rodata,"a",@progbits
	.p2align	6, 0x0
	.amdhsa_kernel _Z39paged_attention_ll4mi_QKV_mfma16_kernelI14__hip_bfloat16hLN4vllm18Fp8KVCacheDataTypeE1ES0_Li32ELi128ELi256ELb0ELi13EL8MFMAType0EEvPKT_PKT0_S9_ifPKiSB_SB_iPKfiiiPfSE_PS4_PT2_iSD_SD_
		.amdhsa_group_segment_fixed_size 8192
		.amdhsa_private_segment_fixed_size 352
		.amdhsa_kernarg_size 400
		.amdhsa_user_sgpr_count 8
		.amdhsa_user_sgpr_private_segment_buffer 1
		.amdhsa_user_sgpr_dispatch_ptr 0
		.amdhsa_user_sgpr_queue_ptr 0
		.amdhsa_user_sgpr_kernarg_segment_ptr 1
		.amdhsa_user_sgpr_dispatch_id 0
		.amdhsa_user_sgpr_flat_scratch_init 1
		.amdhsa_user_sgpr_kernarg_preload_length 0
		.amdhsa_user_sgpr_kernarg_preload_offset 0
		.amdhsa_user_sgpr_private_segment_size 0
		.amdhsa_uses_dynamic_stack 0
		.amdhsa_system_sgpr_private_segment_wavefront_offset 1
		.amdhsa_system_sgpr_workgroup_id_x 1
		.amdhsa_system_sgpr_workgroup_id_y 1
		.amdhsa_system_sgpr_workgroup_id_z 1
		.amdhsa_system_sgpr_workgroup_info 0
		.amdhsa_system_vgpr_workitem_id 0
		.amdhsa_next_free_vgpr 78
		.amdhsa_next_free_sgpr 53
		.amdhsa_accum_offset 80
		.amdhsa_reserve_vcc 1
		.amdhsa_reserve_flat_scratch 0
		.amdhsa_float_round_mode_32 0
		.amdhsa_float_round_mode_16_64 0
		.amdhsa_float_denorm_mode_32 3
		.amdhsa_float_denorm_mode_16_64 3
		.amdhsa_dx10_clamp 1
		.amdhsa_ieee_mode 1
		.amdhsa_fp16_overflow 0
		.amdhsa_tg_split 0
		.amdhsa_exception_fp_ieee_invalid_op 0
		.amdhsa_exception_fp_denorm_src 0
		.amdhsa_exception_fp_ieee_div_zero 0
		.amdhsa_exception_fp_ieee_overflow 0
		.amdhsa_exception_fp_ieee_underflow 0
		.amdhsa_exception_fp_ieee_inexact 0
		.amdhsa_exception_int_div_zero 0
	.end_amdhsa_kernel
	.section	.text._Z39paged_attention_ll4mi_QKV_mfma16_kernelI14__hip_bfloat16hLN4vllm18Fp8KVCacheDataTypeE1ES0_Li32ELi128ELi256ELb0ELi13EL8MFMAType0EEvPKT_PKT0_S9_ifPKiSB_SB_iPKfiiiPfSE_PS4_PT2_iSD_SD_,"axG",@progbits,_Z39paged_attention_ll4mi_QKV_mfma16_kernelI14__hip_bfloat16hLN4vllm18Fp8KVCacheDataTypeE1ES0_Li32ELi128ELi256ELb0ELi13EL8MFMAType0EEvPKT_PKT0_S9_ifPKiSB_SB_iPKfiiiPfSE_PS4_PT2_iSD_SD_,comdat
.Lfunc_end954:
	.size	_Z39paged_attention_ll4mi_QKV_mfma16_kernelI14__hip_bfloat16hLN4vllm18Fp8KVCacheDataTypeE1ES0_Li32ELi128ELi256ELb0ELi13EL8MFMAType0EEvPKT_PKT0_S9_ifPKiSB_SB_iPKfiiiPfSE_PS4_PT2_iSD_SD_, .Lfunc_end954-_Z39paged_attention_ll4mi_QKV_mfma16_kernelI14__hip_bfloat16hLN4vllm18Fp8KVCacheDataTypeE1ES0_Li32ELi128ELi256ELb0ELi13EL8MFMAType0EEvPKT_PKT0_S9_ifPKiSB_SB_iPKfiiiPfSE_PS4_PT2_iSD_SD_
                                        ; -- End function
	.section	.AMDGPU.csdata,"",@progbits
; Kernel info:
; codeLenInByte = 22360
; NumSgprs: 57
; NumVgprs: 78
; NumAgprs: 0
; TotalNumVgprs: 78
; ScratchSize: 352
; MemoryBound: 0
; FloatMode: 240
; IeeeMode: 1
; LDSByteSize: 8192 bytes/workgroup (compile time only)
; SGPRBlocks: 7
; VGPRBlocks: 9
; NumSGPRsForWavesPerEU: 57
; NumVGPRsForWavesPerEU: 78
; AccumOffset: 80
; Occupancy: 6
; WaveLimiterHint : 1
; COMPUTE_PGM_RSRC2:SCRATCH_EN: 1
; COMPUTE_PGM_RSRC2:USER_SGPR: 8
; COMPUTE_PGM_RSRC2:TRAP_HANDLER: 0
; COMPUTE_PGM_RSRC2:TGID_X_EN: 1
; COMPUTE_PGM_RSRC2:TGID_Y_EN: 1
; COMPUTE_PGM_RSRC2:TGID_Z_EN: 1
; COMPUTE_PGM_RSRC2:TIDIG_COMP_CNT: 0
; COMPUTE_PGM_RSRC3_GFX90A:ACCUM_OFFSET: 19
; COMPUTE_PGM_RSRC3_GFX90A:TG_SPLIT: 0
	.section	.text._Z39paged_attention_ll4mi_QKV_mfma16_kernelI14__hip_bfloat16hLN4vllm18Fp8KVCacheDataTypeE1ES0_Li32ELi128ELi256ELb0ELi14EL8MFMAType0EEvPKT_PKT0_S9_ifPKiSB_SB_iPKfiiiPfSE_PS4_PT2_iSD_SD_,"axG",@progbits,_Z39paged_attention_ll4mi_QKV_mfma16_kernelI14__hip_bfloat16hLN4vllm18Fp8KVCacheDataTypeE1ES0_Li32ELi128ELi256ELb0ELi14EL8MFMAType0EEvPKT_PKT0_S9_ifPKiSB_SB_iPKfiiiPfSE_PS4_PT2_iSD_SD_,comdat
	.protected	_Z39paged_attention_ll4mi_QKV_mfma16_kernelI14__hip_bfloat16hLN4vllm18Fp8KVCacheDataTypeE1ES0_Li32ELi128ELi256ELb0ELi14EL8MFMAType0EEvPKT_PKT0_S9_ifPKiSB_SB_iPKfiiiPfSE_PS4_PT2_iSD_SD_ ; -- Begin function _Z39paged_attention_ll4mi_QKV_mfma16_kernelI14__hip_bfloat16hLN4vllm18Fp8KVCacheDataTypeE1ES0_Li32ELi128ELi256ELb0ELi14EL8MFMAType0EEvPKT_PKT0_S9_ifPKiSB_SB_iPKfiiiPfSE_PS4_PT2_iSD_SD_
	.globl	_Z39paged_attention_ll4mi_QKV_mfma16_kernelI14__hip_bfloat16hLN4vllm18Fp8KVCacheDataTypeE1ES0_Li32ELi128ELi256ELb0ELi14EL8MFMAType0EEvPKT_PKT0_S9_ifPKiSB_SB_iPKfiiiPfSE_PS4_PT2_iSD_SD_
	.p2align	8
	.type	_Z39paged_attention_ll4mi_QKV_mfma16_kernelI14__hip_bfloat16hLN4vllm18Fp8KVCacheDataTypeE1ES0_Li32ELi128ELi256ELb0ELi14EL8MFMAType0EEvPKT_PKT0_S9_ifPKiSB_SB_iPKfiiiPfSE_PS4_PT2_iSD_SD_,@function
_Z39paged_attention_ll4mi_QKV_mfma16_kernelI14__hip_bfloat16hLN4vllm18Fp8KVCacheDataTypeE1ES0_Li32ELi128ELi256ELb0ELi14EL8MFMAType0EEvPKT_PKT0_S9_ifPKiSB_SB_iPKfiiiPfSE_PS4_PT2_iSD_SD_: ; @_Z39paged_attention_ll4mi_QKV_mfma16_kernelI14__hip_bfloat16hLN4vllm18Fp8KVCacheDataTypeE1ES0_Li32ELi128ELi256ELb0ELi14EL8MFMAType0EEvPKT_PKT0_S9_ifPKiSB_SB_iPKfiiiPfSE_PS4_PT2_iSD_SD_
; %bb.0:
	s_load_dwordx2 s[6:7], s[4:5], 0x30
	s_add_u32 s0, s0, s11
	s_addc_u32 s1, s1, 0
	s_mov_b32 s24, s9
	s_mov_b64 s[12:13], 0
	s_waitcnt lgkmcnt(0)
	s_cmp_lg_u64 s[6:7], 0
	s_cselect_b64 s[16:17], -1, 0
	s_and_b64 vcc, exec, s[16:17]
	s_cbranch_vccz .LBB955_7
; %bb.1:
	s_add_i32 s14, s8, 1
	s_mov_b32 s15, 0
	s_lshl_b64 s[18:19], s[14:15], 2
	s_add_u32 s18, s6, s18
	s_mov_b32 s9, s15
	s_addc_u32 s19, s7, s19
	s_lshl_b64 s[14:15], s[8:9], 2
	s_add_u32 s14, s6, s14
	s_addc_u32 s15, s7, s15
	s_load_dword s11, s[18:19], 0x0
	s_load_dword s20, s[14:15], 0x0
	s_waitcnt lgkmcnt(0)
	s_sub_i32 s11, s11, s20
	s_cmp_eq_u32 s11, 1
	s_cselect_b64 s[14:15], -1, 0
	s_andn2_b64 vcc, exec, s[12:13]
	s_cbranch_vccnz .LBB955_3
.LBB955_2:
	s_mov_b32 s9, 0
	s_mov_b64 s[14:15], -1
.LBB955_3:
	s_andn2_b64 vcc, exec, s[14:15]
	s_cbranch_vccnz .LBB955_598
; %bb.4:
	s_load_dwordx2 s[12:13], s[4:5], 0x28
	s_lshl_b64 s[18:19], s[8:9], 2
	s_waitcnt lgkmcnt(0)
	s_add_u32 s12, s12, s18
	s_addc_u32 s13, s13, s19
	s_load_dword s33, s[12:13], 0x0
	s_lshl_b32 s20, s24, 8
	s_waitcnt lgkmcnt(0)
	s_cmp_ge_i32 s20, s33
	s_cbranch_scc1 .LBB955_598
; %bb.5:
	s_add_i32 s14, s33, 31
	s_load_dwordx2 s[12:13], s[4:5], 0x20
	s_load_dword s11, s[4:5], 0x38
	s_ashr_i32 s15, s14, 31
	v_and_b32_e32 v1, 0xcf, v0
	s_lshr_b32 s15, s15, 27
	v_add_u32_e32 v1, s20, v1
	s_add_i32 s14, s14, s15
	v_ashrrev_i32_e32 v2, 31, v1
	s_ashr_i32 s22, s14, 5
	v_lshrrev_b32_e32 v10, 27, v2
	s_add_i32 s22, s22, -1
	v_add_u32_e32 v2, v1, v10
	s_waitcnt lgkmcnt(0)
	s_mul_i32 s14, s8, s11
	s_mov_b32 s15, 0
	v_ashrrev_i32_e32 v2, 5, v2
	v_mov_b32_e32 v11, s22
	v_cmp_gt_i32_e32 vcc, s33, v1
	s_lshl_b64 s[14:15], s[14:15], 2
	v_cndmask_b32_e32 v2, v11, v2, vcc
	s_add_u32 s11, s12, s14
	v_ashrrev_i32_e32 v3, 31, v2
	s_addc_u32 s21, s13, s15
	v_lshlrev_b64 v[2:3], 2, v[2:3]
	v_mov_b32_e32 v5, s21
	v_add_co_u32_e32 v4, vcc, s11, v2
	v_or_b32_e32 v2, 16, v1
	v_addc_co_u32_e32 v5, vcc, v5, v3, vcc
	v_add_u32_e32 v3, v2, v10
	v_ashrrev_i32_e32 v3, 5, v3
	v_cmp_gt_i32_e32 vcc, s33, v2
	v_cndmask_b32_e32 v2, v11, v3, vcc
	v_ashrrev_i32_e32 v3, 31, v2
	v_lshlrev_b64 v[2:3], 2, v[2:3]
	v_mov_b32_e32 v7, s21
	v_add_co_u32_e32 v6, vcc, s11, v2
	v_or_b32_e32 v2, 32, v1
	v_addc_co_u32_e32 v7, vcc, v7, v3, vcc
	v_add_u32_e32 v3, v2, v10
	v_ashrrev_i32_e32 v3, 5, v3
	v_cmp_gt_i32_e32 vcc, s33, v2
	v_cndmask_b32_e32 v2, v11, v3, vcc
	v_ashrrev_i32_e32 v3, 31, v2
	;; [unrolled: 10-line block ×3, first 2 shown]
	v_lshlrev_b64 v[2:3], 2, v[2:3]
	v_mov_b32_e32 v1, s21
	v_add_co_u32_e32 v12, vcc, s11, v2
	v_addc_co_u32_e32 v13, vcc, v1, v3, vcc
	global_load_dword v2, v[4:5], off
	global_load_dword v10, v[6:7], off
	;; [unrolled: 1-line block ×4, first 2 shown]
	s_load_dwordx4 s[12:15], s[4:5], 0x8
	s_andn2_b64 vcc, exec, s[16:17]
	s_cbranch_vccnz .LBB955_8
; %bb.6:
	s_add_u32 s6, s6, s18
	s_addc_u32 s7, s7, s19
	s_load_dword s16, s[6:7], 0x0
	s_branch .LBB955_9
.LBB955_7:
	s_mov_b64 s[14:15], 0
	s_branch .LBB955_2
.LBB955_8:
	s_mov_b32 s16, s8
.LBB955_9:
	s_load_dwordx2 s[48:49], s[4:5], 0x68
	s_load_dwordx8 s[40:47], s[4:5], 0x48
	v_lshrrev_b32_e32 v62, 6, v0
	v_bfe_u32 v1, v0, 4, 2
	v_and_b32_e32 v55, 15, v0
	v_lshl_or_b32 v3, v62, 2, v1
	v_lshlrev_b32_e32 v4, 3, v55
	s_mul_i32 s25, s10, 14
	v_cmp_gt_u32_e32 vcc, 14, v3
	v_lshlrev_b32_e32 v54, 1, v4
	v_lshlrev_b32_e32 v56, 4, v0
	s_and_saveexec_b64 s[6:7], vcc
	s_cbranch_execz .LBB955_11
; %bb.10:
	s_load_dwordx2 s[18:19], s[4:5], 0x0
	s_waitcnt lgkmcnt(0)
	s_ashr_i32 s17, s40, 31
	s_mul_hi_u32 s23, s16, s40
	s_mul_i32 s17, s16, s17
	s_add_i32 s17, s23, s17
	s_mul_i32 s16, s16, s40
	s_lshl_b64 s[16:17], s[16:17], 1
	v_add_lshl_u32 v4, v3, s25, 7
	s_add_u32 s16, s18, s16
	v_ashrrev_i32_e32 v5, 31, v4
	s_addc_u32 s17, s19, s17
	v_lshlrev_b64 v[4:5], 1, v[4:5]
	v_mov_b32_e32 v6, s17
	v_add_co_u32_e32 v4, vcc, s16, v4
	v_addc_co_u32_e32 v5, vcc, v6, v5, vcc
	v_add_co_u32_e32 v4, vcc, v4, v54
	v_addc_co_u32_e32 v5, vcc, 0, v5, vcc
	global_load_dwordx4 v[4:7], v[4:5], off
	v_lshlrev_b32_e32 v9, 8, v0
	v_lshlrev_b32_e32 v8, 8, v55
	v_and_b32_e32 v9, 0x600, v9
	s_movk_i32 s16, 0x800
	v_and_or_b32 v8, v8, s16, v9
	v_lshlrev_b32_e32 v3, 5, v3
	v_and_b32_e32 v9, 16, v56
	v_or3_b32 v3, v8, v3, v9
	s_waitcnt vmcnt(0)
	ds_write_b128 v3, v[4:7]
.LBB955_11:
	s_or_b64 exec, exec, s[6:7]
	s_waitcnt lgkmcnt(0)
	s_mul_i32 s10, s10, s42
	s_add_u32 s6, s12, s10
	s_addc_u32 s7, s13, 0
	v_and_b32_e32 v3, 48, v0
	v_pk_mov_b32 v[22:23], s[6:7], s[6:7] op_sel:[0,1]
	s_ashr_i32 s6, s20, 31
	v_lshlrev_b32_e32 v25, 5, v3
	v_or_b32_e32 v3, s20, v3
	s_lshr_b32 s6, s6, 27
	v_add_u32_e32 v4, s6, v3
	v_ashrrev_i32_e32 v4, 5, v4
	v_mov_b32_e32 v11, s22
	v_cmp_gt_i32_e32 vcc, s33, v3
	v_cndmask_b32_e32 v4, v11, v4, vcc
	v_ashrrev_i32_e32 v5, 31, v4
	v_lshlrev_b64 v[4:5], 2, v[4:5]
	v_mov_b32_e32 v6, s21
	v_add_co_u32_e32 v4, vcc, s11, v4
	v_addc_co_u32_e32 v5, vcc, v6, v5, vcc
	v_or_b32_e32 v6, 64, v3
	v_add_u32_e32 v7, s6, v6
	v_ashrrev_i32_e32 v7, 5, v7
	v_cmp_gt_i32_e32 vcc, s33, v6
	v_cndmask_b32_e32 v6, v11, v7, vcc
	v_ashrrev_i32_e32 v7, 31, v6
	v_lshlrev_b64 v[6:7], 2, v[6:7]
	v_mov_b32_e32 v8, s21
	v_add_co_u32_e32 v6, vcc, s11, v6
	v_addc_co_u32_e32 v7, vcc, v8, v7, vcc
	v_or_b32_e32 v8, 0x80, v3
	v_add_u32_e32 v9, s6, v8
	v_ashrrev_i32_e32 v9, 5, v9
	v_cmp_gt_i32_e32 vcc, s33, v8
	v_cndmask_b32_e32 v8, v11, v9, vcc
	v_ashrrev_i32_e32 v9, 31, v8
	v_lshlrev_b64 v[8:9], 2, v[8:9]
	v_mov_b32_e32 v12, s21
	v_add_co_u32_e32 v8, vcc, s11, v8
	v_or_b32_e32 v3, 0xc0, v3
	s_load_dwordx2 s[50:51], s[4:5], 0x94
	s_waitcnt lgkmcnt(0)
	s_barrier
	v_addc_co_u32_e32 v9, vcc, v12, v9, vcc
	global_load_dword v50, v[4:5], off
	global_load_dword v57, v[6:7], off
	v_add_u32_e32 v4, s6, v3
	v_ashrrev_i32_e32 v4, 5, v4
	v_cmp_gt_i32_e32 vcc, s33, v3
	v_cndmask_b32_e32 v4, v11, v4, vcc
	v_ashrrev_i32_e32 v5, 31, v4
	v_lshlrev_b64 v[4:5], 2, v[4:5]
	v_mov_b32_e32 v3, s21
	v_add_co_u32_e32 v4, vcc, s11, v4
	v_addc_co_u32_e32 v5, vcc, v3, v5, vcc
	global_load_dword v64, v[8:9], off
	global_load_dword v65, v[4:5], off
	s_waitcnt vmcnt(7)
	v_mad_i64_i32 v[2:3], s[6:7], v2, s41, v[22:23]
	v_lshlrev_b32_e32 v26, 4, v55
	v_add_co_u32_e32 v2, vcc, v2, v26
	v_addc_co_u32_e32 v3, vcc, 0, v3, vcc
	v_add_co_u32_e32 v12, vcc, v2, v25
	v_addc_co_u32_e32 v13, vcc, 0, v3, vcc
	global_load_dwordx4 v[6:9], v[12:13], off
	global_load_dwordx4 v[2:5], v[12:13], off offset:2048
	s_waitcnt vmcnt(8)
	v_mad_i64_i32 v[10:11], s[6:7], v10, s41, v[22:23]
	v_or_b32_e32 v28, 0x100, v26
	v_add_co_u32_e32 v10, vcc, v10, v28
	v_addc_co_u32_e32 v11, vcc, 0, v11, vcc
	v_add_co_u32_e32 v20, vcc, v10, v25
	v_addc_co_u32_e32 v21, vcc, 0, v11, vcc
	s_waitcnt vmcnt(7)
	v_mad_i64_i32 v[18:19], s[6:7], v18, s41, v[22:23]
	v_add_co_u32_e32 v18, vcc, v18, v26
	v_addc_co_u32_e32 v19, vcc, 0, v19, vcc
	v_add_co_u32_e32 v26, vcc, v18, v25
	v_addc_co_u32_e32 v27, vcc, 0, v19, vcc
	s_waitcnt vmcnt(6)
	v_mad_i64_i32 v[22:23], s[6:7], v24, s41, v[22:23]
	v_add_co_u32_e32 v22, vcc, v22, v28
	v_addc_co_u32_e32 v23, vcc, 0, v23, vcc
	v_add_co_u32_e32 v30, vcc, v22, v25
	v_addc_co_u32_e32 v31, vcc, 0, v23, vcc
	s_add_u32 s6, s14, s10
	global_load_dwordx4 v[10:13], v[20:21], off
	global_load_dwordx4 v[14:17], v[20:21], off offset:2048
	global_load_dwordx4 v[38:41], v[26:27], off
	s_nop 0
	global_load_dwordx4 v[18:21], v[26:27], off offset:2048
	s_nop 0
	global_load_dwordx4 v[26:29], v[30:31], off
	global_load_dwordx4 v[22:25], v[30:31], off offset:2048
	s_addc_u32 s7, s15, 0
	v_and_b32_e32 v30, 16, v0
	v_mov_b32_e32 v31, s7
	v_add_co_u32_e32 v51, vcc, s6, v30
	v_lshl_or_b32 v63, v62, 4, v55
	v_addc_co_u32_e32 v52, vcc, 0, v31, vcc
	v_lshlrev_b32_e32 v53, 5, v63
	v_add_co_u32_e32 v42, vcc, v51, v53
	v_addc_co_u32_e32 v43, vcc, 0, v52, vcc
	v_or_b32_e32 v53, 0x800, v53
	v_add_co_u32_e32 v58, vcc, v51, v53
	v_addc_co_u32_e32 v59, vcc, 0, v52, vcc
	v_cmp_gt_u32_e32 vcc, 14, v55
	s_waitcnt vmcnt(11)
	v_mad_i64_i32 v[30:31], s[6:7], v50, s41, v[42:43]
	s_waitcnt vmcnt(10)
	v_mad_i64_i32 v[34:35], s[6:7], v57, s41, v[42:43]
	global_load_dwordx4 v[30:33], v[30:31], off
	v_mad_i64_i32 v[50:51], s[6:7], v50, s41, v[58:59]
	global_load_dwordx4 v[34:37], v[34:35], off
	v_mad_i64_i32 v[60:61], s[6:7], v57, s41, v[58:59]
	s_mov_b32 s12, 0
	s_movk_i32 s13, 0x80
	s_waitcnt vmcnt(11)
	v_mad_i64_i32 v[44:45], s[6:7], v64, s41, v[42:43]
	s_waitcnt vmcnt(10)
	v_mad_i64_i32 v[42:43], s[6:7], v65, s41, v[42:43]
	global_load_dwordx4 v[46:49], v[44:45], off
	s_nop 0
	global_load_dwordx4 v[42:45], v[42:43], off
	s_movk_i32 s14, 0x7f
	global_load_dwordx4 v[50:53], v[50:51], off
	s_mov_b32 s15, 0xffffff
	global_load_dwordx4 v[66:69], v[60:61], off
	s_mov_b32 s16, 0x5040100
	s_waitcnt vmcnt(13)
	buffer_store_dword v9, off, s[0:3], 0 offset:12
	buffer_store_dword v8, off, s[0:3], 0 offset:8
	v_mad_i64_i32 v[8:9], s[6:7], v64, s41, v[58:59]
	global_load_dwordx4 v[70:73], v[8:9], off
	v_mad_i64_i32 v[8:9], s[6:7], v65, s41, v[58:59]
	global_load_dwordx4 v[74:77], v[8:9], off
	v_and_b32_e32 v64, 63, v0
	buffer_store_dword v7, off, s[0:3], 0 offset:4
	buffer_store_dword v6, off, s[0:3], 0
	s_waitcnt vmcnt(18)
	buffer_store_dword v5, off, s[0:3], 0 offset:28
	buffer_store_dword v4, off, s[0:3], 0 offset:24
	;; [unrolled: 1-line block ×4, first 2 shown]
	s_waitcnt vmcnt(21)
	buffer_store_dword v13, off, s[0:3], 0 offset:44
	buffer_store_dword v12, off, s[0:3], 0 offset:40
	;; [unrolled: 1-line block ×4, first 2 shown]
	v_mov_b32_e32 v2, 0x80
	s_load_dword s6, s[4:5], 0x1c
	s_load_dwordx4 s[40:43], s[4:5], 0x80
	v_add_u32_e32 v57, 16, v2
	s_waitcnt vmcnt(24)
	buffer_store_dword v17, off, s[0:3], 0 offset:60
	buffer_store_dword v16, off, s[0:3], 0 offset:56
	;; [unrolled: 1-line block ×4, first 2 shown]
	v_add_u32_e32 v61, 32, v2
	v_add_u32_e32 v58, 48, v2
	;; [unrolled: 1-line block ×4, first 2 shown]
	s_waitcnt vmcnt(27)
	buffer_store_dword v41, off, s[0:3], 0 offset:76
	buffer_store_dword v40, off, s[0:3], 0 offset:72
	;; [unrolled: 1-line block ×4, first 2 shown]
	v_add_u32_e32 v41, 0x60, v2
	v_add_u32_e32 v39, 0x70, v2
	v_add_u32_e32 v2, -14, v55
	v_cndmask_b32_e32 v2, v2, v55, vcc
	v_lshlrev_b32_e32 v2, 5, v2
	v_lshl_add_u32 v14, v1, 9, v2
	ds_read_b128 v[2:5], v14
	ds_read_b128 v[6:9], v14 offset:16
	ds_read_b128 v[10:13], v14 offset:2048
	;; [unrolled: 1-line block ×3, first 2 shown]
	s_waitcnt vmcnt(30)
	buffer_store_dword v21, off, s[0:3], 0 offset:92
	buffer_store_dword v20, off, s[0:3], 0 offset:88
	buffer_store_dword v19, off, s[0:3], 0 offset:84
	buffer_store_dword v18, off, s[0:3], 0 offset:80
	s_waitcnt vmcnt(33)
	buffer_store_dword v29, off, s[0:3], 0 offset:108
	buffer_store_dword v28, off, s[0:3], 0 offset:104
	buffer_store_dword v27, off, s[0:3], 0 offset:100
	buffer_store_dword v26, off, s[0:3], 0 offset:96
	;; [unrolled: 5-line block ×10, first 2 shown]
	s_waitcnt vmcnt(58)
	buffer_store_dword v77, off, s[0:3], 0 offset:252
	s_waitcnt lgkmcnt(0)
	s_load_dword s4, s[40:41], 0x0
	v_mov_b32_e32 v18, s6
	v_mov_b32_e32 v27, 0
	;; [unrolled: 1-line block ×4, first 2 shown]
	s_waitcnt lgkmcnt(0)
	v_mul_f32_e32 v22, s4, v18
	v_mov_b32_e32 v24, v22
	v_mov_b32_e32 v25, v22
	v_bfrev_b32_e32 v33, 60
	buffer_store_dword v76, off, s[0:3], 0 offset:248
	buffer_store_dword v75, off, s[0:3], 0 offset:244
	;; [unrolled: 1-line block ×3, first 2 shown]
	s_branch .LBB955_15
.LBB955_12:                             ;   in Loop: Header=BB955_15 Depth=1
	s_or_b64 exec, exec, s[10:11]
.LBB955_13:                             ;   in Loop: Header=BB955_15 Depth=1
	s_or_b64 exec, exec, s[6:7]
.LBB955_14:                             ;   in Loop: Header=BB955_15 Depth=1
	s_or_b64 exec, exec, s[4:5]
	v_perm_b32 v43, v36, v32, s16
	v_perm_b32 v42, v23, v34, s16
	;; [unrolled: 1-line block ×4, first 2 shown]
	v_add_u32_e32 v26, s12, v29
	v_mfma_f32_16x16x16bf16_1k v[18:21], v[42:43], v[14:15], v[18:21]
	s_add_i32 s12, s12, 16
	v_mov_b32_e32 v23, v22
	s_cmp_eq_u32 s12, 64
	v_add_u32_e32 v27, 32, v27
	v_mfma_f32_16x16x16bf16_1k v[18:21], v[36:37], v[16:17], v[18:21]
	s_nop 7
	s_nop 2
	v_pk_mul_f32 v[18:19], v[24:25], v[18:19]
	v_pk_mul_f32 v[20:21], v[22:23], v[20:21]
	buffer_store_dword v19, v26, s[0:3], 0 offen offset:4
	buffer_store_dword v18, v26, s[0:3], 0 offen
	buffer_store_dword v21, v26, s[0:3], 0 offen offset:12
	buffer_store_dword v20, v26, s[0:3], 0 offen offset:8
	s_cbranch_scc1 .LBB955_205
.LBB955_15:                             ; =>This Inner Loop Header: Depth=1
	buffer_load_dword v20, v27, s[0:3], 0 offen
	buffer_load_dword v18, v27, s[0:3], 0 offen offset:4
	buffer_load_dword v28, v27, s[0:3], 0 offen offset:8
	buffer_load_dword v26, v27, s[0:3], 0 offen offset:12
	v_mov_b32_e32 v19, 0
	s_waitcnt vmcnt(3)
	v_cmp_ne_u16_sdwa s[6:7], v20, v31 src0_sel:BYTE_0 src1_sel:DWORD
	s_and_saveexec_b64 s[4:5], s[6:7]
	s_cbranch_execz .LBB955_21
; %bb.16:                               ;   in Loop: Header=BB955_15 Depth=1
	v_cmp_ne_u16_sdwa s[10:11], v20, s13 src0_sel:BYTE_0 src1_sel:DWORD
	v_mov_b32_e32 v19, 0xffff8000
	s_and_saveexec_b64 s[6:7], s[10:11]
	s_cbranch_execz .LBB955_20
; %bb.17:                               ;   in Loop: Header=BB955_15 Depth=1
	v_and_b32_e32 v21, 0x7f, v20
	v_cmp_ne_u32_e32 vcc, s14, v21
	v_mov_b32_e32 v19, 0x7f80
	s_and_saveexec_b64 s[10:11], vcc
	s_cbranch_execz .LBB955_19
; %bb.18:                               ;   in Loop: Header=BB955_15 Depth=1
	v_and_b32_e32 v19, 7, v20
	v_ffbh_u32_e32 v30, v19
	v_min_u32_e32 v30, 32, v30
	v_subrev_u32_e32 v32, 28, v30
	v_lshlrev_b64 v[34:35], v32, v[20:21]
	v_lshrrev_b32_e32 v23, 3, v21
	v_sub_u32_e32 v30, 29, v30
	v_and_b32_e32 v32, 7, v34
	v_cmp_gt_u32_e32 vcc, 8, v21
	v_cndmask_b32_e32 v21, v23, v30, vcc
	v_cndmask_b32_e32 v19, v19, v32, vcc
	v_lshlrev_b32_e32 v23, 24, v20
	v_lshlrev_b32_e32 v19, 20, v19
	v_and_b32_e32 v23, 0x80000000, v23
	v_lshl_add_u32 v21, v21, 23, v33
	v_or3_b32 v19, v23, v21, v19
	v_lshrrev_b32_e32 v19, 16, v19
.LBB955_19:                             ;   in Loop: Header=BB955_15 Depth=1
	s_or_b64 exec, exec, s[10:11]
.LBB955_20:                             ;   in Loop: Header=BB955_15 Depth=1
	s_or_b64 exec, exec, s[6:7]
.LBB955_21:                             ;   in Loop: Header=BB955_15 Depth=1
	s_or_b64 exec, exec, s[4:5]
	v_lshrrev_b16_e32 v30, 8, v20
	v_cmp_ne_u16_e32 vcc, 0, v30
	v_mov_b32_e32 v23, 0
	v_mov_b32_e32 v21, 0
	s_and_saveexec_b64 s[4:5], vcc
	s_cbranch_execz .LBB955_27
; %bb.22:                               ;   in Loop: Header=BB955_15 Depth=1
	v_cmp_ne_u16_e32 vcc, s13, v30
	v_mov_b32_e32 v21, 0xffff8000
	s_and_saveexec_b64 s[6:7], vcc
	s_cbranch_execz .LBB955_26
; %bb.23:                               ;   in Loop: Header=BB955_15 Depth=1
	v_and_b32_e32 v32, 0x7f, v30
	v_cmp_ne_u32_e32 vcc, s14, v32
	v_mov_b32_e32 v21, 0x7f80
	s_and_saveexec_b64 s[10:11], vcc
	s_cbranch_execz .LBB955_25
; %bb.24:                               ;   in Loop: Header=BB955_15 Depth=1
	v_and_b32_e32 v21, 7, v30
	v_ffbh_u32_e32 v34, v21
	v_min_u32_e32 v37, 32, v34
	v_subrev_u32_e32 v34, 28, v37
	v_lshlrev_b64 v[34:35], v34, v[30:31]
	v_lshrrev_b32_e32 v36, 3, v32
	v_sub_u32_e32 v30, 29, v37
	v_and_b32_e32 v34, 7, v34
	v_cmp_gt_u32_e32 vcc, 8, v32
	v_cndmask_b32_e32 v30, v36, v30, vcc
	v_cndmask_b32_e32 v21, v21, v34, vcc
	v_lshlrev_b32_e32 v32, 16, v20
	v_lshlrev_b32_e32 v21, 20, v21
	v_and_b32_e32 v32, 0x80000000, v32
	v_lshl_add_u32 v30, v30, 23, v33
	v_or3_b32 v21, v32, v30, v21
	v_lshrrev_b32_e32 v21, 16, v21
.LBB955_25:                             ;   in Loop: Header=BB955_15 Depth=1
	s_or_b64 exec, exec, s[10:11]
.LBB955_26:                             ;   in Loop: Header=BB955_15 Depth=1
	s_or_b64 exec, exec, s[6:7]
.LBB955_27:                             ;   in Loop: Header=BB955_15 Depth=1
	s_or_b64 exec, exec, s[4:5]
	v_lshrrev_b32_e32 v30, 16, v20
	v_cmp_ne_u16_sdwa s[6:7], v30, v31 src0_sel:BYTE_0 src1_sel:DWORD
	s_and_saveexec_b64 s[4:5], s[6:7]
	s_cbranch_execz .LBB955_33
; %bb.28:                               ;   in Loop: Header=BB955_15 Depth=1
	v_cmp_ne_u16_sdwa s[10:11], v30, s13 src0_sel:BYTE_0 src1_sel:DWORD
	v_mov_b32_e32 v23, 0xffff8000
	s_and_saveexec_b64 s[6:7], s[10:11]
	s_cbranch_execz .LBB955_32
; %bb.29:                               ;   in Loop: Header=BB955_15 Depth=1
	v_bfe_u32 v32, v20, 16, 7
	v_cmp_ne_u32_e32 vcc, s14, v32
	v_mov_b32_e32 v23, 0x7f80
	s_and_saveexec_b64 s[10:11], vcc
	s_cbranch_execz .LBB955_31
; %bb.30:                               ;   in Loop: Header=BB955_15 Depth=1
	v_and_b32_e32 v23, 7, v30
	v_ffbh_u32_e32 v34, v23
	v_min_u32_e32 v37, 32, v34
	v_subrev_u32_e32 v34, 28, v37
	v_lshlrev_b64 v[34:35], v34, v[30:31]
	v_lshrrev_b32_e32 v36, 3, v32
	v_sub_u32_e32 v35, 29, v37
	v_and_b32_e32 v34, 7, v34
	v_cmp_gt_u32_e32 vcc, 8, v32
	v_cndmask_b32_e32 v32, v36, v35, vcc
	v_cndmask_b32_e32 v23, v23, v34, vcc
	v_lshlrev_b32_e32 v30, 24, v30
	v_lshlrev_b32_e32 v23, 20, v23
	v_and_b32_e32 v30, 0x80000000, v30
	v_lshl_add_u32 v32, v32, 23, v33
	v_or3_b32 v23, v30, v32, v23
	v_lshrrev_b32_e32 v23, 16, v23
.LBB955_31:                             ;   in Loop: Header=BB955_15 Depth=1
	s_or_b64 exec, exec, s[10:11]
.LBB955_32:                             ;   in Loop: Header=BB955_15 Depth=1
	s_or_b64 exec, exec, s[6:7]
.LBB955_33:                             ;   in Loop: Header=BB955_15 Depth=1
	s_or_b64 exec, exec, s[4:5]
	v_cmp_lt_u32_e32 vcc, s15, v20
	v_mov_b32_e32 v34, 0
	v_mov_b32_e32 v35, 0
	s_and_saveexec_b64 s[4:5], vcc
	s_cbranch_execz .LBB955_39
; %bb.34:                               ;   in Loop: Header=BB955_15 Depth=1
	v_lshrrev_b32_e32 v30, 24, v20
	v_cmp_ne_u32_e32 vcc, s13, v30
	v_mov_b32_e32 v35, 0xffff8000
	s_and_saveexec_b64 s[6:7], vcc
	s_cbranch_execz .LBB955_38
; %bb.35:                               ;   in Loop: Header=BB955_15 Depth=1
	v_bfe_u32 v20, v20, 24, 7
	v_cmp_ne_u32_e32 vcc, s14, v20
	v_mov_b32_e32 v35, 0x7f80
	s_and_saveexec_b64 s[10:11], vcc
	s_cbranch_execz .LBB955_37
; %bb.36:                               ;   in Loop: Header=BB955_15 Depth=1
	v_and_b32_e32 v32, 7, v30
	v_ffbh_u32_e32 v36, v32
	v_min_u32_e32 v38, 32, v36
	v_subrev_u32_e32 v36, 28, v38
	v_lshlrev_b64 v[36:37], v36, v[30:31]
	v_lshrrev_b32_e32 v35, 3, v20
	v_sub_u32_e32 v37, 29, v38
	v_and_b32_e32 v36, 7, v36
	v_cmp_gt_u32_e32 vcc, 8, v20
	v_cndmask_b32_e32 v20, v35, v37, vcc
	v_cndmask_b32_e32 v32, v32, v36, vcc
	v_lshlrev_b32_e32 v30, 24, v30
	v_lshlrev_b32_e32 v32, 20, v32
	v_and_b32_e32 v30, 0x80000000, v30
	v_lshl_add_u32 v20, v20, 23, v33
	v_or3_b32 v20, v30, v20, v32
	v_lshrrev_b32_e32 v35, 16, v20
.LBB955_37:                             ;   in Loop: Header=BB955_15 Depth=1
	s_or_b64 exec, exec, s[10:11]
.LBB955_38:                             ;   in Loop: Header=BB955_15 Depth=1
	s_or_b64 exec, exec, s[6:7]
.LBB955_39:                             ;   in Loop: Header=BB955_15 Depth=1
	s_or_b64 exec, exec, s[4:5]
	s_waitcnt vmcnt(2)
	v_cmp_ne_u16_sdwa s[6:7], v18, v31 src0_sel:BYTE_0 src1_sel:DWORD
	s_and_saveexec_b64 s[4:5], s[6:7]
	s_cbranch_execz .LBB955_45
; %bb.40:                               ;   in Loop: Header=BB955_15 Depth=1
	v_cmp_ne_u16_sdwa s[10:11], v18, s13 src0_sel:BYTE_0 src1_sel:DWORD
	v_mov_b32_e32 v34, 0xffff8000
	s_and_saveexec_b64 s[6:7], s[10:11]
	s_cbranch_execz .LBB955_44
; %bb.41:                               ;   in Loop: Header=BB955_15 Depth=1
	v_and_b32_e32 v20, 0x7f, v18
	v_cmp_ne_u32_e32 vcc, s14, v20
	v_mov_b32_e32 v34, 0x7f80
	s_and_saveexec_b64 s[10:11], vcc
	s_cbranch_execz .LBB955_43
; %bb.42:                               ;   in Loop: Header=BB955_15 Depth=1
	v_and_b32_e32 v30, 7, v18
	v_ffbh_u32_e32 v34, v30
	v_min_u32_e32 v34, 32, v34
	v_subrev_u32_e32 v36, 28, v34
	v_lshlrev_b64 v[36:37], v36, v[18:19]
	v_lshrrev_b32_e32 v32, 3, v20
	v_sub_u32_e32 v34, 29, v34
	v_and_b32_e32 v36, 7, v36
	v_cmp_gt_u32_e32 vcc, 8, v20
	v_cndmask_b32_e32 v20, v32, v34, vcc
	v_cndmask_b32_e32 v30, v30, v36, vcc
	v_lshlrev_b32_e32 v32, 24, v18
	v_lshlrev_b32_e32 v30, 20, v30
	v_and_b32_e32 v32, 0x80000000, v32
	v_lshl_add_u32 v20, v20, 23, v33
	v_or3_b32 v20, v32, v20, v30
	v_lshrrev_b32_e32 v34, 16, v20
.LBB955_43:                             ;   in Loop: Header=BB955_15 Depth=1
	s_or_b64 exec, exec, s[10:11]
.LBB955_44:                             ;   in Loop: Header=BB955_15 Depth=1
	s_or_b64 exec, exec, s[6:7]
.LBB955_45:                             ;   in Loop: Header=BB955_15 Depth=1
	s_or_b64 exec, exec, s[4:5]
	v_lshrrev_b16_e32 v20, 8, v18
	v_cmp_ne_u16_e32 vcc, 0, v20
	v_mov_b32_e32 v36, 0
	v_mov_b32_e32 v30, 0
	s_and_saveexec_b64 s[4:5], vcc
	s_cbranch_execz .LBB955_51
; %bb.46:                               ;   in Loop: Header=BB955_15 Depth=1
	v_cmp_ne_u16_e32 vcc, s13, v20
	v_mov_b32_e32 v30, 0xffff8000
	s_and_saveexec_b64 s[6:7], vcc
	s_cbranch_execz .LBB955_50
; %bb.47:                               ;   in Loop: Header=BB955_15 Depth=1
	v_and_b32_e32 v32, 0x7f, v20
	v_cmp_ne_u32_e32 vcc, s14, v32
	v_mov_b32_e32 v30, 0x7f80
	s_and_saveexec_b64 s[10:11], vcc
	s_cbranch_execz .LBB955_49
; %bb.48:                               ;   in Loop: Header=BB955_15 Depth=1
	v_and_b32_e32 v30, 7, v20
	v_ffbh_u32_e32 v38, v30
	v_min_u32_e32 v38, 32, v38
	v_subrev_u32_e32 v40, 28, v38
	v_lshlrev_b64 v[42:43], v40, v[20:21]
	v_lshrrev_b32_e32 v37, 3, v32
	v_sub_u32_e32 v20, 29, v38
	v_and_b32_e32 v38, 7, v42
	v_cmp_gt_u32_e32 vcc, 8, v32
	v_cndmask_b32_e32 v20, v37, v20, vcc
	v_cndmask_b32_e32 v30, v30, v38, vcc
	v_lshlrev_b32_e32 v32, 16, v18
	v_lshlrev_b32_e32 v30, 20, v30
	v_and_b32_e32 v32, 0x80000000, v32
	v_lshl_add_u32 v20, v20, 23, v33
	v_or3_b32 v20, v32, v20, v30
	v_lshrrev_b32_e32 v30, 16, v20
.LBB955_49:                             ;   in Loop: Header=BB955_15 Depth=1
	s_or_b64 exec, exec, s[10:11]
.LBB955_50:                             ;   in Loop: Header=BB955_15 Depth=1
	s_or_b64 exec, exec, s[6:7]
.LBB955_51:                             ;   in Loop: Header=BB955_15 Depth=1
	s_or_b64 exec, exec, s[4:5]
	v_lshrrev_b32_e32 v20, 16, v18
	v_cmp_ne_u16_sdwa s[6:7], v20, v31 src0_sel:BYTE_0 src1_sel:DWORD
	s_and_saveexec_b64 s[4:5], s[6:7]
	s_cbranch_execz .LBB955_57
; %bb.52:                               ;   in Loop: Header=BB955_15 Depth=1
	v_cmp_ne_u16_sdwa s[10:11], v20, s13 src0_sel:BYTE_0 src1_sel:DWORD
	v_mov_b32_e32 v36, 0xffff8000
	s_and_saveexec_b64 s[6:7], s[10:11]
	s_cbranch_execz .LBB955_56
; %bb.53:                               ;   in Loop: Header=BB955_15 Depth=1
	v_bfe_u32 v32, v18, 16, 7
	v_cmp_ne_u32_e32 vcc, s14, v32
	v_mov_b32_e32 v36, 0x7f80
	s_and_saveexec_b64 s[10:11], vcc
	s_cbranch_execz .LBB955_55
; %bb.54:                               ;   in Loop: Header=BB955_15 Depth=1
	v_and_b32_e32 v38, 7, v20
	v_ffbh_u32_e32 v36, v38
	v_min_u32_e32 v42, 32, v36
	v_subrev_u32_e32 v36, 28, v42
	v_lshlrev_b64 v[36:37], v36, v[20:21]
	v_lshrrev_b32_e32 v40, 3, v32
	v_sub_u32_e32 v37, 29, v42
	v_and_b32_e32 v36, 7, v36
	v_cmp_gt_u32_e32 vcc, 8, v32
	v_cndmask_b32_e32 v32, v40, v37, vcc
	v_cndmask_b32_e32 v36, v38, v36, vcc
	v_lshlrev_b32_e32 v20, 24, v20
	v_lshlrev_b32_e32 v36, 20, v36
	v_and_b32_e32 v20, 0x80000000, v20
	v_lshl_add_u32 v32, v32, 23, v33
	v_or3_b32 v20, v20, v32, v36
	v_lshrrev_b32_e32 v36, 16, v20
.LBB955_55:                             ;   in Loop: Header=BB955_15 Depth=1
	s_or_b64 exec, exec, s[10:11]
.LBB955_56:                             ;   in Loop: Header=BB955_15 Depth=1
	s_or_b64 exec, exec, s[6:7]
.LBB955_57:                             ;   in Loop: Header=BB955_15 Depth=1
	s_or_b64 exec, exec, s[4:5]
	v_cmp_lt_u32_e32 vcc, s15, v18
	v_mov_b32_e32 v32, 0
	v_mov_b32_e32 v37, 0
	s_and_saveexec_b64 s[4:5], vcc
	s_cbranch_execz .LBB955_63
; %bb.58:                               ;   in Loop: Header=BB955_15 Depth=1
	v_lshrrev_b32_e32 v20, 24, v18
	v_cmp_ne_u32_e32 vcc, s13, v20
	v_mov_b32_e32 v37, 0xffff8000
	s_and_saveexec_b64 s[6:7], vcc
	s_cbranch_execz .LBB955_62
; %bb.59:                               ;   in Loop: Header=BB955_15 Depth=1
	v_bfe_u32 v18, v18, 24, 7
	v_cmp_ne_u32_e32 vcc, s14, v18
	v_mov_b32_e32 v37, 0x7f80
	s_and_saveexec_b64 s[10:11], vcc
	s_cbranch_execz .LBB955_61
; %bb.60:                               ;   in Loop: Header=BB955_15 Depth=1
	v_and_b32_e32 v37, 7, v20
	v_ffbh_u32_e32 v40, v37
	v_min_u32_e32 v40, 32, v40
	v_subrev_u32_e32 v42, 28, v40
	v_lshlrev_b64 v[42:43], v42, v[20:21]
	v_lshrrev_b32_e32 v38, 3, v18
	v_sub_u32_e32 v40, 29, v40
	v_and_b32_e32 v42, 7, v42
	v_cmp_gt_u32_e32 vcc, 8, v18
	v_cndmask_b32_e32 v18, v38, v40, vcc
	v_cndmask_b32_e32 v37, v37, v42, vcc
	v_lshlrev_b32_e32 v20, 24, v20
	v_lshlrev_b32_e32 v37, 20, v37
	v_and_b32_e32 v20, 0x80000000, v20
	v_lshl_add_u32 v18, v18, 23, v33
	v_or3_b32 v18, v20, v18, v37
	v_lshrrev_b32_e32 v37, 16, v18
.LBB955_61:                             ;   in Loop: Header=BB955_15 Depth=1
	s_or_b64 exec, exec, s[10:11]
.LBB955_62:                             ;   in Loop: Header=BB955_15 Depth=1
	s_or_b64 exec, exec, s[6:7]
.LBB955_63:                             ;   in Loop: Header=BB955_15 Depth=1
	s_or_b64 exec, exec, s[4:5]
	v_perm_b32 v43, v35, v23, s16
	v_perm_b32 v42, v21, v19, s16
	;; [unrolled: 1-line block ×4, first 2 shown]
	s_waitcnt vmcnt(1)
	v_cmp_ne_u16_sdwa s[6:7], v28, v31 src0_sel:BYTE_0 src1_sel:DWORD
	v_mfma_f32_16x16x16bf16_1k v[18:21], v[42:43], v[2:3], 0
	v_mfma_f32_16x16x16bf16_1k v[18:21], v[34:35], v[4:5], v[18:21]
	s_and_saveexec_b64 s[4:5], s[6:7]
	s_cbranch_execz .LBB955_69
; %bb.64:                               ;   in Loop: Header=BB955_15 Depth=1
	v_cmp_ne_u16_sdwa s[10:11], v28, s13 src0_sel:BYTE_0 src1_sel:DWORD
	v_mov_b32_e32 v32, 0xffff8000
	s_and_saveexec_b64 s[6:7], s[10:11]
	s_cbranch_execz .LBB955_68
; %bb.65:                               ;   in Loop: Header=BB955_15 Depth=1
	v_and_b32_e32 v23, 0x7f, v28
	v_cmp_ne_u32_e32 vcc, s14, v23
	v_mov_b32_e32 v32, 0x7f80
	s_and_saveexec_b64 s[10:11], vcc
	s_cbranch_execz .LBB955_67
; %bb.66:                               ;   in Loop: Header=BB955_15 Depth=1
	v_and_b32_e32 v30, 7, v28
	v_ffbh_u32_e32 v34, v30
	v_min_u32_e32 v36, 32, v34
	v_subrev_u32_e32 v34, 28, v36
	v_lshlrev_b64 v[34:35], v34, v[28:29]
	v_lshrrev_b32_e32 v32, 3, v23
	v_sub_u32_e32 v35, 29, v36
	v_and_b32_e32 v34, 7, v34
	v_cmp_gt_u32_e32 vcc, 8, v23
	v_cndmask_b32_e32 v23, v32, v35, vcc
	v_cndmask_b32_e32 v30, v30, v34, vcc
	v_lshlrev_b32_e32 v32, 24, v28
	v_lshlrev_b32_e32 v30, 20, v30
	v_and_b32_e32 v32, 0x80000000, v32
	v_lshl_add_u32 v23, v23, 23, v33
	v_or3_b32 v23, v32, v23, v30
	v_lshrrev_b32_e32 v32, 16, v23
.LBB955_67:                             ;   in Loop: Header=BB955_15 Depth=1
	s_or_b64 exec, exec, s[10:11]
.LBB955_68:                             ;   in Loop: Header=BB955_15 Depth=1
	s_or_b64 exec, exec, s[6:7]
.LBB955_69:                             ;   in Loop: Header=BB955_15 Depth=1
	s_or_b64 exec, exec, s[4:5]
	v_lshrrev_b16_e32 v30, 8, v28
	v_cmp_ne_u16_e32 vcc, 0, v30
	v_mov_b32_e32 v35, 0
	v_mov_b32_e32 v34, 0
	s_and_saveexec_b64 s[4:5], vcc
	s_cbranch_execz .LBB955_75
; %bb.70:                               ;   in Loop: Header=BB955_15 Depth=1
	v_cmp_ne_u16_e32 vcc, s13, v30
	v_mov_b32_e32 v34, 0xffff8000
	s_and_saveexec_b64 s[6:7], vcc
	s_cbranch_execz .LBB955_74
; %bb.71:                               ;   in Loop: Header=BB955_15 Depth=1
	v_and_b32_e32 v23, 0x7f, v30
	v_cmp_ne_u32_e32 vcc, s14, v23
	v_mov_b32_e32 v34, 0x7f80
	s_and_saveexec_b64 s[10:11], vcc
	s_cbranch_execz .LBB955_73
; %bb.72:                               ;   in Loop: Header=BB955_15 Depth=1
	v_and_b32_e32 v34, 7, v30
	v_ffbh_u32_e32 v36, v34
	v_min_u32_e32 v40, 32, v36
	v_subrev_u32_e32 v36, 28, v40
	v_lshlrev_b64 v[36:37], v36, v[30:31]
	v_lshrrev_b32_e32 v38, 3, v23
	v_sub_u32_e32 v30, 29, v40
	v_and_b32_e32 v36, 7, v36
	v_cmp_gt_u32_e32 vcc, 8, v23
	v_cndmask_b32_e32 v23, v38, v30, vcc
	v_cndmask_b32_e32 v30, v34, v36, vcc
	v_lshlrev_b32_e32 v34, 16, v28
	v_lshlrev_b32_e32 v30, 20, v30
	v_and_b32_e32 v34, 0x80000000, v34
	v_lshl_add_u32 v23, v23, 23, v33
	v_or3_b32 v23, v34, v23, v30
	v_lshrrev_b32_e32 v34, 16, v23
.LBB955_73:                             ;   in Loop: Header=BB955_15 Depth=1
	s_or_b64 exec, exec, s[10:11]
.LBB955_74:                             ;   in Loop: Header=BB955_15 Depth=1
	s_or_b64 exec, exec, s[6:7]
.LBB955_75:                             ;   in Loop: Header=BB955_15 Depth=1
	s_or_b64 exec, exec, s[4:5]
	v_lshrrev_b32_e32 v30, 16, v28
	v_cmp_ne_u16_sdwa s[6:7], v30, v31 src0_sel:BYTE_0 src1_sel:DWORD
	s_and_saveexec_b64 s[4:5], s[6:7]
	s_cbranch_execz .LBB955_81
; %bb.76:                               ;   in Loop: Header=BB955_15 Depth=1
	v_cmp_ne_u16_sdwa s[10:11], v30, s13 src0_sel:BYTE_0 src1_sel:DWORD
	v_mov_b32_e32 v35, 0xffff8000
	s_and_saveexec_b64 s[6:7], s[10:11]
	s_cbranch_execz .LBB955_80
; %bb.77:                               ;   in Loop: Header=BB955_15 Depth=1
	v_bfe_u32 v23, v28, 16, 7
	v_cmp_ne_u32_e32 vcc, s14, v23
	v_mov_b32_e32 v35, 0x7f80
	s_and_saveexec_b64 s[10:11], vcc
	s_cbranch_execz .LBB955_79
; %bb.78:                               ;   in Loop: Header=BB955_15 Depth=1
	v_and_b32_e32 v35, 7, v30
	v_ffbh_u32_e32 v36, v35
	v_min_u32_e32 v40, 32, v36
	v_subrev_u32_e32 v36, 28, v40
	v_lshlrev_b64 v[36:37], v36, v[30:31]
	v_lshrrev_b32_e32 v38, 3, v23
	v_sub_u32_e32 v37, 29, v40
	v_and_b32_e32 v36, 7, v36
	v_cmp_gt_u32_e32 vcc, 8, v23
	v_cndmask_b32_e32 v23, v38, v37, vcc
	v_cndmask_b32_e32 v35, v35, v36, vcc
	v_lshlrev_b32_e32 v30, 24, v30
	v_lshlrev_b32_e32 v35, 20, v35
	v_and_b32_e32 v30, 0x80000000, v30
	v_lshl_add_u32 v23, v23, 23, v33
	v_or3_b32 v23, v30, v23, v35
	v_lshrrev_b32_e32 v35, 16, v23
.LBB955_79:                             ;   in Loop: Header=BB955_15 Depth=1
	s_or_b64 exec, exec, s[10:11]
.LBB955_80:                             ;   in Loop: Header=BB955_15 Depth=1
	s_or_b64 exec, exec, s[6:7]
.LBB955_81:                             ;   in Loop: Header=BB955_15 Depth=1
	s_or_b64 exec, exec, s[4:5]
	v_cmp_lt_u32_e32 vcc, s15, v28
	v_mov_b32_e32 v36, 0
	v_mov_b32_e32 v37, 0
	s_and_saveexec_b64 s[4:5], vcc
	s_cbranch_execz .LBB955_87
; %bb.82:                               ;   in Loop: Header=BB955_15 Depth=1
	v_lshrrev_b32_e32 v30, 24, v28
	v_cmp_ne_u32_e32 vcc, s13, v30
	v_mov_b32_e32 v37, 0xffff8000
	s_and_saveexec_b64 s[6:7], vcc
	s_cbranch_execz .LBB955_86
; %bb.83:                               ;   in Loop: Header=BB955_15 Depth=1
	v_bfe_u32 v23, v28, 24, 7
	v_cmp_ne_u32_e32 vcc, s14, v23
	v_mov_b32_e32 v37, 0x7f80
	s_and_saveexec_b64 s[10:11], vcc
	s_cbranch_execz .LBB955_85
; %bb.84:                               ;   in Loop: Header=BB955_15 Depth=1
	v_and_b32_e32 v28, 7, v30
	v_ffbh_u32_e32 v38, v28
	v_min_u32_e32 v38, 32, v38
	v_subrev_u32_e32 v40, 28, v38
	v_lshlrev_b64 v[42:43], v40, v[30:31]
	v_lshrrev_b32_e32 v37, 3, v23
	v_sub_u32_e32 v38, 29, v38
	v_and_b32_e32 v40, 7, v42
	v_cmp_gt_u32_e32 vcc, 8, v23
	v_cndmask_b32_e32 v23, v37, v38, vcc
	v_cndmask_b32_e32 v28, v28, v40, vcc
	v_lshlrev_b32_e32 v30, 24, v30
	v_lshlrev_b32_e32 v28, 20, v28
	v_and_b32_e32 v30, 0x80000000, v30
	v_lshl_add_u32 v23, v23, 23, v33
	v_or3_b32 v23, v30, v23, v28
	v_lshrrev_b32_e32 v37, 16, v23
.LBB955_85:                             ;   in Loop: Header=BB955_15 Depth=1
	s_or_b64 exec, exec, s[10:11]
.LBB955_86:                             ;   in Loop: Header=BB955_15 Depth=1
	s_or_b64 exec, exec, s[6:7]
.LBB955_87:                             ;   in Loop: Header=BB955_15 Depth=1
	s_or_b64 exec, exec, s[4:5]
	s_waitcnt vmcnt(0)
	v_cmp_ne_u16_sdwa s[6:7], v26, v31 src0_sel:BYTE_0 src1_sel:DWORD
	s_and_saveexec_b64 s[4:5], s[6:7]
	s_cbranch_execz .LBB955_93
; %bb.88:                               ;   in Loop: Header=BB955_15 Depth=1
	v_cmp_ne_u16_sdwa s[10:11], v26, s13 src0_sel:BYTE_0 src1_sel:DWORD
	v_mov_b32_e32 v36, 0xffff8000
	s_and_saveexec_b64 s[6:7], s[10:11]
	s_cbranch_execz .LBB955_92
; %bb.89:                               ;   in Loop: Header=BB955_15 Depth=1
	v_and_b32_e32 v23, 0x7f, v26
	v_cmp_ne_u32_e32 vcc, s14, v23
	v_mov_b32_e32 v36, 0x7f80
	s_and_saveexec_b64 s[10:11], vcc
	s_cbranch_execz .LBB955_91
; %bb.90:                               ;   in Loop: Header=BB955_15 Depth=1
	v_and_b32_e32 v28, 7, v26
	v_ffbh_u32_e32 v36, v28
	v_min_u32_e32 v36, 32, v36
	v_subrev_u32_e32 v38, 28, v36
	v_lshlrev_b64 v[42:43], v38, v[26:27]
	v_lshrrev_b32_e32 v30, 3, v23
	v_sub_u32_e32 v36, 29, v36
	v_and_b32_e32 v38, 7, v42
	v_cmp_gt_u32_e32 vcc, 8, v23
	v_cndmask_b32_e32 v23, v30, v36, vcc
	v_cndmask_b32_e32 v28, v28, v38, vcc
	v_lshlrev_b32_e32 v30, 24, v26
	v_lshlrev_b32_e32 v28, 20, v28
	v_and_b32_e32 v30, 0x80000000, v30
	v_lshl_add_u32 v23, v23, 23, v33
	v_or3_b32 v23, v30, v23, v28
	v_lshrrev_b32_e32 v36, 16, v23
.LBB955_91:                             ;   in Loop: Header=BB955_15 Depth=1
	s_or_b64 exec, exec, s[10:11]
.LBB955_92:                             ;   in Loop: Header=BB955_15 Depth=1
	s_or_b64 exec, exec, s[6:7]
.LBB955_93:                             ;   in Loop: Header=BB955_15 Depth=1
	s_or_b64 exec, exec, s[4:5]
	v_lshrrev_b16_e32 v28, 8, v26
	v_cmp_ne_u16_e32 vcc, 0, v28
	v_mov_b32_e32 v40, 0
	v_mov_b32_e32 v38, 0
	s_and_saveexec_b64 s[4:5], vcc
	s_cbranch_execz .LBB955_99
; %bb.94:                               ;   in Loop: Header=BB955_15 Depth=1
	v_cmp_ne_u16_e32 vcc, s13, v28
	v_mov_b32_e32 v38, 0xffff8000
	s_and_saveexec_b64 s[6:7], vcc
	s_cbranch_execz .LBB955_98
; %bb.95:                               ;   in Loop: Header=BB955_15 Depth=1
	v_and_b32_e32 v23, 0x7f, v28
	v_cmp_ne_u32_e32 vcc, s14, v23
	v_mov_b32_e32 v38, 0x7f80
	s_and_saveexec_b64 s[10:11], vcc
	s_cbranch_execz .LBB955_97
; %bb.96:                               ;   in Loop: Header=BB955_15 Depth=1
	v_and_b32_e32 v30, 7, v28
	v_ffbh_u32_e32 v42, v30
	v_min_u32_e32 v44, 32, v42
	v_subrev_u32_e32 v42, 28, v44
	v_lshlrev_b64 v[42:43], v42, v[28:29]
	v_lshrrev_b32_e32 v38, 3, v23
	v_sub_u32_e32 v28, 29, v44
	v_and_b32_e32 v42, 7, v42
	v_cmp_gt_u32_e32 vcc, 8, v23
	v_cndmask_b32_e32 v23, v38, v28, vcc
	v_cndmask_b32_e32 v28, v30, v42, vcc
	v_lshlrev_b32_e32 v30, 16, v26
	v_lshlrev_b32_e32 v28, 20, v28
	v_and_b32_e32 v30, 0x80000000, v30
	v_lshl_add_u32 v23, v23, 23, v33
	v_or3_b32 v23, v30, v23, v28
	v_lshrrev_b32_e32 v38, 16, v23
.LBB955_97:                             ;   in Loop: Header=BB955_15 Depth=1
	s_or_b64 exec, exec, s[10:11]
.LBB955_98:                             ;   in Loop: Header=BB955_15 Depth=1
	s_or_b64 exec, exec, s[6:7]
.LBB955_99:                             ;   in Loop: Header=BB955_15 Depth=1
	s_or_b64 exec, exec, s[4:5]
	v_lshrrev_b32_e32 v28, 16, v26
	v_cmp_ne_u16_sdwa s[6:7], v28, v31 src0_sel:BYTE_0 src1_sel:DWORD
	s_and_saveexec_b64 s[4:5], s[6:7]
	s_cbranch_execz .LBB955_105
; %bb.100:                              ;   in Loop: Header=BB955_15 Depth=1
	v_cmp_ne_u16_sdwa s[10:11], v28, s13 src0_sel:BYTE_0 src1_sel:DWORD
	v_mov_b32_e32 v40, 0xffff8000
	s_and_saveexec_b64 s[6:7], s[10:11]
	s_cbranch_execz .LBB955_104
; %bb.101:                              ;   in Loop: Header=BB955_15 Depth=1
	v_bfe_u32 v23, v26, 16, 7
	v_cmp_ne_u32_e32 vcc, s14, v23
	v_mov_b32_e32 v40, 0x7f80
	s_and_saveexec_b64 s[10:11], vcc
	s_cbranch_execz .LBB955_103
; %bb.102:                              ;   in Loop: Header=BB955_15 Depth=1
	v_and_b32_e32 v30, 7, v28
	v_ffbh_u32_e32 v42, v30
	v_min_u32_e32 v44, 32, v42
	v_subrev_u32_e32 v42, 28, v44
	v_lshlrev_b64 v[42:43], v42, v[28:29]
	v_lshrrev_b32_e32 v40, 3, v23
	v_sub_u32_e32 v43, 29, v44
	v_and_b32_e32 v42, 7, v42
	v_cmp_gt_u32_e32 vcc, 8, v23
	v_cndmask_b32_e32 v23, v40, v43, vcc
	v_cndmask_b32_e32 v30, v30, v42, vcc
	v_lshlrev_b32_e32 v28, 24, v28
	v_lshlrev_b32_e32 v30, 20, v30
	v_and_b32_e32 v28, 0x80000000, v28
	v_lshl_add_u32 v23, v23, 23, v33
	v_or3_b32 v23, v28, v23, v30
	v_lshrrev_b32_e32 v40, 16, v23
.LBB955_103:                            ;   in Loop: Header=BB955_15 Depth=1
	s_or_b64 exec, exec, s[10:11]
.LBB955_104:                            ;   in Loop: Header=BB955_15 Depth=1
	s_or_b64 exec, exec, s[6:7]
.LBB955_105:                            ;   in Loop: Header=BB955_15 Depth=1
	s_or_b64 exec, exec, s[4:5]
	v_cmp_lt_u32_e32 vcc, s15, v26
	v_mov_b32_e32 v23, 0
	v_mov_b32_e32 v42, 0
	s_and_saveexec_b64 s[4:5], vcc
	s_cbranch_execz .LBB955_111
; %bb.106:                              ;   in Loop: Header=BB955_15 Depth=1
	v_lshrrev_b32_e32 v28, 24, v26
	v_cmp_ne_u32_e32 vcc, s13, v28
	v_mov_b32_e32 v42, 0xffff8000
	s_and_saveexec_b64 s[6:7], vcc
	s_cbranch_execz .LBB955_110
; %bb.107:                              ;   in Loop: Header=BB955_15 Depth=1
	v_bfe_u32 v26, v26, 24, 7
	v_cmp_ne_u32_e32 vcc, s14, v26
	v_mov_b32_e32 v42, 0x7f80
	s_and_saveexec_b64 s[10:11], vcc
	s_cbranch_execz .LBB955_109
; %bb.108:                              ;   in Loop: Header=BB955_15 Depth=1
	v_and_b32_e32 v30, 7, v28
	v_ffbh_u32_e32 v42, v30
	v_min_u32_e32 v45, 32, v42
	v_subrev_u32_e32 v42, 28, v45
	v_lshlrev_b64 v[42:43], v42, v[28:29]
	v_lshrrev_b32_e32 v44, 3, v26
	v_sub_u32_e32 v43, 29, v45
	v_and_b32_e32 v42, 7, v42
	v_cmp_gt_u32_e32 vcc, 8, v26
	v_cndmask_b32_e32 v26, v44, v43, vcc
	v_cndmask_b32_e32 v30, v30, v42, vcc
	v_lshlrev_b32_e32 v28, 24, v28
	v_lshlrev_b32_e32 v30, 20, v30
	v_and_b32_e32 v28, 0x80000000, v28
	v_lshl_add_u32 v26, v26, 23, v33
	v_or3_b32 v26, v28, v26, v30
	v_lshrrev_b32_e32 v42, 16, v26
.LBB955_109:                            ;   in Loop: Header=BB955_15 Depth=1
	s_or_b64 exec, exec, s[10:11]
.LBB955_110:                            ;   in Loop: Header=BB955_15 Depth=1
	s_or_b64 exec, exec, s[6:7]
.LBB955_111:                            ;   in Loop: Header=BB955_15 Depth=1
	s_or_b64 exec, exec, s[4:5]
	v_perm_b32 v34, v34, v32, s16
	buffer_load_dword v32, v27, s[0:3], 0 offen offset:16
	buffer_load_dword v30, v27, s[0:3], 0 offen offset:20
	;; [unrolled: 1-line block ×4, first 2 shown]
	v_perm_b32 v35, v37, v35, s16
	s_waitcnt vmcnt(3)
	v_cmp_ne_u16_sdwa s[6:7], v32, v31 src0_sel:BYTE_0 src1_sel:DWORD
	v_mfma_f32_16x16x16bf16_1k v[18:21], v[34:35], v[6:7], v[18:21]
	v_perm_b32 v35, v42, v40, s16
	v_perm_b32 v34, v38, v36, s16
	s_nop 1
	v_mfma_f32_16x16x16bf16_1k v[18:21], v[34:35], v[8:9], v[18:21]
	s_and_saveexec_b64 s[4:5], s[6:7]
	s_cbranch_execz .LBB955_117
; %bb.112:                              ;   in Loop: Header=BB955_15 Depth=1
	v_cmp_ne_u16_sdwa s[10:11], v32, s13 src0_sel:BYTE_0 src1_sel:DWORD
	v_mov_b32_e32 v23, 0xffff8000
	s_and_saveexec_b64 s[6:7], s[10:11]
	s_cbranch_execz .LBB955_116
; %bb.113:                              ;   in Loop: Header=BB955_15 Depth=1
	v_and_b32_e32 v34, 0x7f, v32
	v_cmp_ne_u32_e32 vcc, s14, v34
	v_mov_b32_e32 v23, 0x7f80
	s_and_saveexec_b64 s[10:11], vcc
	s_cbranch_execz .LBB955_115
; %bb.114:                              ;   in Loop: Header=BB955_15 Depth=1
	v_and_b32_e32 v23, 7, v32
	v_ffbh_u32_e32 v36, v23
	v_min_u32_e32 v38, 32, v36
	v_subrev_u32_e32 v36, 28, v38
	v_lshlrev_b64 v[36:37], v36, v[32:33]
	v_lshrrev_b32_e32 v35, 3, v34
	v_sub_u32_e32 v37, 29, v38
	v_and_b32_e32 v36, 7, v36
	v_cmp_gt_u32_e32 vcc, 8, v34
	v_cndmask_b32_e32 v34, v35, v37, vcc
	v_cndmask_b32_e32 v23, v23, v36, vcc
	v_lshlrev_b32_e32 v35, 24, v32
	v_lshlrev_b32_e32 v23, 20, v23
	v_and_b32_e32 v35, 0x80000000, v35
	v_lshl_add_u32 v34, v34, 23, v33
	v_or3_b32 v23, v35, v34, v23
	v_lshrrev_b32_e32 v23, 16, v23
.LBB955_115:                            ;   in Loop: Header=BB955_15 Depth=1
	s_or_b64 exec, exec, s[10:11]
.LBB955_116:                            ;   in Loop: Header=BB955_15 Depth=1
	s_or_b64 exec, exec, s[6:7]
.LBB955_117:                            ;   in Loop: Header=BB955_15 Depth=1
	s_or_b64 exec, exec, s[4:5]
	v_lshrrev_b16_e32 v34, 8, v32
	v_cmp_ne_u16_e32 vcc, 0, v34
	v_mov_b32_e32 v36, 0
	v_mov_b32_e32 v35, 0
	s_and_saveexec_b64 s[4:5], vcc
	s_cbranch_execz .LBB955_123
; %bb.118:                              ;   in Loop: Header=BB955_15 Depth=1
	v_cmp_ne_u16_e32 vcc, s13, v34
	v_mov_b32_e32 v35, 0xffff8000
	s_and_saveexec_b64 s[6:7], vcc
	s_cbranch_execz .LBB955_122
; %bb.119:                              ;   in Loop: Header=BB955_15 Depth=1
	v_and_b32_e32 v37, 0x7f, v34
	v_cmp_ne_u32_e32 vcc, s14, v37
	v_mov_b32_e32 v35, 0x7f80
	s_and_saveexec_b64 s[10:11], vcc
	s_cbranch_execz .LBB955_121
; %bb.120:                              ;   in Loop: Header=BB955_15 Depth=1
	v_and_b32_e32 v38, 7, v34
	v_ffbh_u32_e32 v35, v38
	v_min_u32_e32 v42, 32, v35
	v_subrev_u32_e32 v35, 28, v42
	v_lshlrev_b64 v[34:35], v35, v[34:35]
	v_lshrrev_b32_e32 v40, 3, v37
	v_sub_u32_e32 v35, 29, v42
	v_and_b32_e32 v34, 7, v34
	v_cmp_gt_u32_e32 vcc, 8, v37
	v_cndmask_b32_e32 v35, v40, v35, vcc
	v_cndmask_b32_e32 v34, v38, v34, vcc
	v_lshlrev_b32_e32 v37, 16, v32
	v_lshlrev_b32_e32 v34, 20, v34
	v_and_b32_e32 v37, 0x80000000, v37
	v_lshl_add_u32 v35, v35, 23, v33
	v_or3_b32 v34, v37, v35, v34
	v_lshrrev_b32_e32 v35, 16, v34
.LBB955_121:                            ;   in Loop: Header=BB955_15 Depth=1
	s_or_b64 exec, exec, s[10:11]
.LBB955_122:                            ;   in Loop: Header=BB955_15 Depth=1
	s_or_b64 exec, exec, s[6:7]
.LBB955_123:                            ;   in Loop: Header=BB955_15 Depth=1
	s_or_b64 exec, exec, s[4:5]
	v_lshrrev_b32_e32 v34, 16, v32
	v_cmp_ne_u16_sdwa s[6:7], v34, v31 src0_sel:BYTE_0 src1_sel:DWORD
	s_and_saveexec_b64 s[4:5], s[6:7]
	s_cbranch_execz .LBB955_129
; %bb.124:                              ;   in Loop: Header=BB955_15 Depth=1
	v_cmp_ne_u16_sdwa s[10:11], v34, s13 src0_sel:BYTE_0 src1_sel:DWORD
	v_mov_b32_e32 v36, 0xffff8000
	s_and_saveexec_b64 s[6:7], s[10:11]
	s_cbranch_execz .LBB955_128
; %bb.125:                              ;   in Loop: Header=BB955_15 Depth=1
	v_bfe_u32 v37, v32, 16, 7
	v_cmp_ne_u32_e32 vcc, s14, v37
	v_mov_b32_e32 v36, 0x7f80
	s_and_saveexec_b64 s[10:11], vcc
	s_cbranch_execz .LBB955_127
; %bb.126:                              ;   in Loop: Header=BB955_15 Depth=1
	v_and_b32_e32 v36, 7, v34
	v_ffbh_u32_e32 v40, v36
	v_min_u32_e32 v40, 32, v40
	v_subrev_u32_e32 v42, 28, v40
	v_lshlrev_b64 v[42:43], v42, v[34:35]
	v_lshrrev_b32_e32 v38, 3, v37
	v_sub_u32_e32 v40, 29, v40
	v_and_b32_e32 v42, 7, v42
	v_cmp_gt_u32_e32 vcc, 8, v37
	v_cndmask_b32_e32 v37, v38, v40, vcc
	v_cndmask_b32_e32 v36, v36, v42, vcc
	v_lshlrev_b32_e32 v34, 24, v34
	v_lshlrev_b32_e32 v36, 20, v36
	v_and_b32_e32 v34, 0x80000000, v34
	v_lshl_add_u32 v37, v37, 23, v33
	v_or3_b32 v34, v34, v37, v36
	v_lshrrev_b32_e32 v36, 16, v34
.LBB955_127:                            ;   in Loop: Header=BB955_15 Depth=1
	s_or_b64 exec, exec, s[10:11]
.LBB955_128:                            ;   in Loop: Header=BB955_15 Depth=1
	s_or_b64 exec, exec, s[6:7]
.LBB955_129:                            ;   in Loop: Header=BB955_15 Depth=1
	s_or_b64 exec, exec, s[4:5]
	v_cmp_lt_u32_e32 vcc, s15, v32
	v_mov_b32_e32 v37, 0
	v_mov_b32_e32 v38, 0
	s_and_saveexec_b64 s[4:5], vcc
	s_cbranch_execz .LBB955_135
; %bb.130:                              ;   in Loop: Header=BB955_15 Depth=1
	v_lshrrev_b32_e32 v34, 24, v32
	v_cmp_ne_u32_e32 vcc, s13, v34
	v_mov_b32_e32 v38, 0xffff8000
	s_and_saveexec_b64 s[6:7], vcc
	s_cbranch_execz .LBB955_134
; %bb.131:                              ;   in Loop: Header=BB955_15 Depth=1
	v_bfe_u32 v32, v32, 24, 7
	v_cmp_ne_u32_e32 vcc, s14, v32
	v_mov_b32_e32 v38, 0x7f80
	s_and_saveexec_b64 s[10:11], vcc
	s_cbranch_execz .LBB955_133
; %bb.132:                              ;   in Loop: Header=BB955_15 Depth=1
	v_and_b32_e32 v38, 7, v34
	v_ffbh_u32_e32 v42, v38
	v_min_u32_e32 v44, 32, v42
	v_subrev_u32_e32 v42, 28, v44
	v_lshlrev_b64 v[42:43], v42, v[34:35]
	v_lshrrev_b32_e32 v40, 3, v32
	v_sub_u32_e32 v43, 29, v44
	v_and_b32_e32 v42, 7, v42
	v_cmp_gt_u32_e32 vcc, 8, v32
	v_cndmask_b32_e32 v32, v40, v43, vcc
	v_cndmask_b32_e32 v38, v38, v42, vcc
	v_lshlrev_b32_e32 v34, 24, v34
	v_lshlrev_b32_e32 v38, 20, v38
	v_and_b32_e32 v34, 0x80000000, v34
	v_lshl_add_u32 v32, v32, 23, v33
	v_or3_b32 v32, v34, v32, v38
	v_lshrrev_b32_e32 v38, 16, v32
.LBB955_133:                            ;   in Loop: Header=BB955_15 Depth=1
	s_or_b64 exec, exec, s[10:11]
.LBB955_134:                            ;   in Loop: Header=BB955_15 Depth=1
	s_or_b64 exec, exec, s[6:7]
.LBB955_135:                            ;   in Loop: Header=BB955_15 Depth=1
	s_or_b64 exec, exec, s[4:5]
	s_waitcnt vmcnt(2)
	v_cmp_ne_u16_sdwa s[6:7], v30, v31 src0_sel:BYTE_0 src1_sel:DWORD
	s_and_saveexec_b64 s[4:5], s[6:7]
	s_cbranch_execz .LBB955_141
; %bb.136:                              ;   in Loop: Header=BB955_15 Depth=1
	v_cmp_ne_u16_sdwa s[10:11], v30, s13 src0_sel:BYTE_0 src1_sel:DWORD
	v_mov_b32_e32 v37, 0xffff8000
	s_and_saveexec_b64 s[6:7], s[10:11]
	s_cbranch_execz .LBB955_140
; %bb.137:                              ;   in Loop: Header=BB955_15 Depth=1
	v_and_b32_e32 v32, 0x7f, v30
	v_cmp_ne_u32_e32 vcc, s14, v32
	v_mov_b32_e32 v37, 0x7f80
	s_and_saveexec_b64 s[10:11], vcc
	s_cbranch_execz .LBB955_139
; %bb.138:                              ;   in Loop: Header=BB955_15 Depth=1
	v_and_b32_e32 v34, 7, v30
	v_ffbh_u32_e32 v40, v34
	v_min_u32_e32 v40, 32, v40
	v_subrev_u32_e32 v42, 28, v40
	v_lshlrev_b64 v[42:43], v42, v[30:31]
	v_lshrrev_b32_e32 v37, 3, v32
	v_sub_u32_e32 v40, 29, v40
	v_and_b32_e32 v42, 7, v42
	v_cmp_gt_u32_e32 vcc, 8, v32
	v_cndmask_b32_e32 v32, v37, v40, vcc
	v_cndmask_b32_e32 v34, v34, v42, vcc
	v_lshlrev_b32_e32 v37, 24, v30
	v_lshlrev_b32_e32 v34, 20, v34
	v_and_b32_e32 v37, 0x80000000, v37
	v_lshl_add_u32 v32, v32, 23, v33
	v_or3_b32 v32, v37, v32, v34
	v_lshrrev_b32_e32 v37, 16, v32
.LBB955_139:                            ;   in Loop: Header=BB955_15 Depth=1
	s_or_b64 exec, exec, s[10:11]
.LBB955_140:                            ;   in Loop: Header=BB955_15 Depth=1
	s_or_b64 exec, exec, s[6:7]
.LBB955_141:                            ;   in Loop: Header=BB955_15 Depth=1
	s_or_b64 exec, exec, s[4:5]
	v_lshrrev_b16_e32 v32, 8, v30
	v_cmp_ne_u16_e32 vcc, 0, v32
	v_mov_b32_e32 v42, 0
	v_mov_b32_e32 v40, 0
	s_and_saveexec_b64 s[4:5], vcc
	s_cbranch_execz .LBB955_147
; %bb.142:                              ;   in Loop: Header=BB955_15 Depth=1
	v_cmp_ne_u16_e32 vcc, s13, v32
	v_mov_b32_e32 v40, 0xffff8000
	s_and_saveexec_b64 s[6:7], vcc
	s_cbranch_execz .LBB955_146
; %bb.143:                              ;   in Loop: Header=BB955_15 Depth=1
	v_and_b32_e32 v34, 0x7f, v32
	v_cmp_ne_u32_e32 vcc, s14, v34
	v_mov_b32_e32 v40, 0x7f80
	s_and_saveexec_b64 s[10:11], vcc
	s_cbranch_execz .LBB955_145
; %bb.144:                              ;   in Loop: Header=BB955_15 Depth=1
	v_and_b32_e32 v40, 7, v32
	v_ffbh_u32_e32 v44, v40
	v_min_u32_e32 v46, 32, v44
	v_subrev_u32_e32 v44, 28, v46
	v_lshlrev_b64 v[44:45], v44, v[32:33]
	v_lshrrev_b32_e32 v43, 3, v34
	v_sub_u32_e32 v32, 29, v46
	v_and_b32_e32 v44, 7, v44
	v_cmp_gt_u32_e32 vcc, 8, v34
	v_cndmask_b32_e32 v32, v43, v32, vcc
	v_cndmask_b32_e32 v34, v40, v44, vcc
	v_lshlrev_b32_e32 v40, 16, v30
	v_lshlrev_b32_e32 v34, 20, v34
	v_and_b32_e32 v40, 0x80000000, v40
	v_lshl_add_u32 v32, v32, 23, v33
	v_or3_b32 v32, v40, v32, v34
	v_lshrrev_b32_e32 v40, 16, v32
.LBB955_145:                            ;   in Loop: Header=BB955_15 Depth=1
	s_or_b64 exec, exec, s[10:11]
.LBB955_146:                            ;   in Loop: Header=BB955_15 Depth=1
	s_or_b64 exec, exec, s[6:7]
.LBB955_147:                            ;   in Loop: Header=BB955_15 Depth=1
	s_or_b64 exec, exec, s[4:5]
	v_lshrrev_b32_e32 v32, 16, v30
	v_cmp_ne_u16_sdwa s[6:7], v32, v31 src0_sel:BYTE_0 src1_sel:DWORD
	s_and_saveexec_b64 s[4:5], s[6:7]
	s_cbranch_execz .LBB955_153
; %bb.148:                              ;   in Loop: Header=BB955_15 Depth=1
	v_cmp_ne_u16_sdwa s[10:11], v32, s13 src0_sel:BYTE_0 src1_sel:DWORD
	v_mov_b32_e32 v42, 0xffff8000
	s_and_saveexec_b64 s[6:7], s[10:11]
	s_cbranch_execz .LBB955_152
; %bb.149:                              ;   in Loop: Header=BB955_15 Depth=1
	v_bfe_u32 v34, v30, 16, 7
	v_cmp_ne_u32_e32 vcc, s14, v34
	v_mov_b32_e32 v42, 0x7f80
	s_and_saveexec_b64 s[10:11], vcc
	s_cbranch_execz .LBB955_151
; %bb.150:                              ;   in Loop: Header=BB955_15 Depth=1
	v_and_b32_e32 v44, 7, v32
	v_ffbh_u32_e32 v42, v44
	v_min_u32_e32 v46, 32, v42
	v_subrev_u32_e32 v42, 28, v46
	v_lshlrev_b64 v[42:43], v42, v[32:33]
	v_lshrrev_b32_e32 v45, 3, v34
	v_sub_u32_e32 v43, 29, v46
	v_and_b32_e32 v42, 7, v42
	v_cmp_gt_u32_e32 vcc, 8, v34
	v_cndmask_b32_e32 v34, v45, v43, vcc
	v_cndmask_b32_e32 v42, v44, v42, vcc
	v_lshlrev_b32_e32 v32, 24, v32
	v_lshlrev_b32_e32 v42, 20, v42
	v_and_b32_e32 v32, 0x80000000, v32
	v_lshl_add_u32 v34, v34, 23, v33
	v_or3_b32 v32, v32, v34, v42
	v_lshrrev_b32_e32 v42, 16, v32
.LBB955_151:                            ;   in Loop: Header=BB955_15 Depth=1
	s_or_b64 exec, exec, s[10:11]
.LBB955_152:                            ;   in Loop: Header=BB955_15 Depth=1
	s_or_b64 exec, exec, s[6:7]
.LBB955_153:                            ;   in Loop: Header=BB955_15 Depth=1
	s_or_b64 exec, exec, s[4:5]
	v_cmp_lt_u32_e32 vcc, s15, v30
	v_mov_b32_e32 v34, 0
	v_mov_b32_e32 v43, 0
	s_and_saveexec_b64 s[4:5], vcc
	s_cbranch_execz .LBB955_159
; %bb.154:                              ;   in Loop: Header=BB955_15 Depth=1
	v_lshrrev_b32_e32 v32, 24, v30
	v_cmp_ne_u32_e32 vcc, s13, v32
	v_mov_b32_e32 v43, 0xffff8000
	s_and_saveexec_b64 s[6:7], vcc
	s_cbranch_execz .LBB955_158
; %bb.155:                              ;   in Loop: Header=BB955_15 Depth=1
	v_bfe_u32 v30, v30, 24, 7
	v_cmp_ne_u32_e32 vcc, s14, v30
	v_mov_b32_e32 v43, 0x7f80
	s_and_saveexec_b64 s[10:11], vcc
	s_cbranch_execz .LBB955_157
; %bb.156:                              ;   in Loop: Header=BB955_15 Depth=1
	v_and_b32_e32 v43, 7, v32
	v_ffbh_u32_e32 v44, v43
	v_min_u32_e32 v47, 32, v44
	v_subrev_u32_e32 v44, 28, v47
	v_lshlrev_b64 v[44:45], v44, v[32:33]
	v_lshrrev_b32_e32 v46, 3, v30
	v_sub_u32_e32 v45, 29, v47
	v_and_b32_e32 v44, 7, v44
	v_cmp_gt_u32_e32 vcc, 8, v30
	v_cndmask_b32_e32 v30, v46, v45, vcc
	v_cndmask_b32_e32 v43, v43, v44, vcc
	v_lshlrev_b32_e32 v32, 24, v32
	v_lshlrev_b32_e32 v43, 20, v43
	v_and_b32_e32 v32, 0x80000000, v32
	v_lshl_add_u32 v30, v30, 23, v33
	v_or3_b32 v30, v32, v30, v43
	v_lshrrev_b32_e32 v43, 16, v30
.LBB955_157:                            ;   in Loop: Header=BB955_15 Depth=1
	s_or_b64 exec, exec, s[10:11]
.LBB955_158:                            ;   in Loop: Header=BB955_15 Depth=1
	s_or_b64 exec, exec, s[6:7]
.LBB955_159:                            ;   in Loop: Header=BB955_15 Depth=1
	s_or_b64 exec, exec, s[4:5]
	v_perm_b32 v45, v38, v36, s16
	v_perm_b32 v44, v35, v23, s16
	;; [unrolled: 1-line block ×4, first 2 shown]
	s_waitcnt vmcnt(1)
	v_cmp_ne_u16_sdwa s[6:7], v28, v31 src0_sel:BYTE_0 src1_sel:DWORD
	v_mfma_f32_16x16x16bf16_1k v[18:21], v[44:45], v[10:11], v[18:21]
	v_mfma_f32_16x16x16bf16_1k v[18:21], v[42:43], v[12:13], v[18:21]
	s_and_saveexec_b64 s[4:5], s[6:7]
	s_cbranch_execz .LBB955_165
; %bb.160:                              ;   in Loop: Header=BB955_15 Depth=1
	v_cmp_ne_u16_sdwa s[10:11], v28, s13 src0_sel:BYTE_0 src1_sel:DWORD
	v_mov_b32_e32 v34, 0xffff8000
	s_and_saveexec_b64 s[6:7], s[10:11]
	s_cbranch_execz .LBB955_164
; %bb.161:                              ;   in Loop: Header=BB955_15 Depth=1
	v_and_b32_e32 v23, 0x7f, v28
	v_cmp_ne_u32_e32 vcc, s14, v23
	v_mov_b32_e32 v34, 0x7f80
	s_and_saveexec_b64 s[10:11], vcc
	s_cbranch_execz .LBB955_163
; %bb.162:                              ;   in Loop: Header=BB955_15 Depth=1
	v_and_b32_e32 v30, 7, v28
	v_ffbh_u32_e32 v34, v30
	v_min_u32_e32 v36, 32, v34
	v_subrev_u32_e32 v34, 28, v36
	v_lshlrev_b64 v[34:35], v34, v[28:29]
	v_lshrrev_b32_e32 v32, 3, v23
	v_sub_u32_e32 v35, 29, v36
	v_and_b32_e32 v34, 7, v34
	v_cmp_gt_u32_e32 vcc, 8, v23
	v_cndmask_b32_e32 v23, v32, v35, vcc
	v_cndmask_b32_e32 v30, v30, v34, vcc
	v_lshlrev_b32_e32 v32, 24, v28
	v_lshlrev_b32_e32 v30, 20, v30
	v_and_b32_e32 v32, 0x80000000, v32
	v_lshl_add_u32 v23, v23, 23, v33
	v_or3_b32 v23, v32, v23, v30
	v_lshrrev_b32_e32 v34, 16, v23
.LBB955_163:                            ;   in Loop: Header=BB955_15 Depth=1
	s_or_b64 exec, exec, s[10:11]
.LBB955_164:                            ;   in Loop: Header=BB955_15 Depth=1
	s_or_b64 exec, exec, s[6:7]
.LBB955_165:                            ;   in Loop: Header=BB955_15 Depth=1
	s_or_b64 exec, exec, s[4:5]
	v_lshrrev_b16_e32 v30, 8, v28
	v_cmp_ne_u16_e32 vcc, 0, v30
	v_mov_b32_e32 v32, 0
	v_mov_b32_e32 v23, 0
	s_and_saveexec_b64 s[4:5], vcc
	s_cbranch_execz .LBB955_171
; %bb.166:                              ;   in Loop: Header=BB955_15 Depth=1
	v_cmp_ne_u16_e32 vcc, s13, v30
	v_mov_b32_e32 v23, 0xffff8000
	s_and_saveexec_b64 s[6:7], vcc
	s_cbranch_execz .LBB955_170
; %bb.167:                              ;   in Loop: Header=BB955_15 Depth=1
	v_and_b32_e32 v35, 0x7f, v30
	v_cmp_ne_u32_e32 vcc, s14, v35
	v_mov_b32_e32 v23, 0x7f80
	s_and_saveexec_b64 s[10:11], vcc
	s_cbranch_execz .LBB955_169
; %bb.168:                              ;   in Loop: Header=BB955_15 Depth=1
	v_and_b32_e32 v23, 7, v30
	v_ffbh_u32_e32 v36, v23
	v_min_u32_e32 v40, 32, v36
	v_subrev_u32_e32 v36, 28, v40
	v_lshlrev_b64 v[36:37], v36, v[30:31]
	v_lshrrev_b32_e32 v38, 3, v35
	v_sub_u32_e32 v30, 29, v40
	v_and_b32_e32 v36, 7, v36
	v_cmp_gt_u32_e32 vcc, 8, v35
	v_cndmask_b32_e32 v30, v38, v30, vcc
	v_cndmask_b32_e32 v23, v23, v36, vcc
	v_lshlrev_b32_e32 v35, 16, v28
	v_lshlrev_b32_e32 v23, 20, v23
	v_and_b32_e32 v35, 0x80000000, v35
	v_lshl_add_u32 v30, v30, 23, v33
	v_or3_b32 v23, v35, v30, v23
	v_lshrrev_b32_e32 v23, 16, v23
.LBB955_169:                            ;   in Loop: Header=BB955_15 Depth=1
	s_or_b64 exec, exec, s[10:11]
.LBB955_170:                            ;   in Loop: Header=BB955_15 Depth=1
	s_or_b64 exec, exec, s[6:7]
.LBB955_171:                            ;   in Loop: Header=BB955_15 Depth=1
	s_or_b64 exec, exec, s[4:5]
	v_lshrrev_b32_e32 v30, 16, v28
	v_cmp_ne_u16_sdwa s[6:7], v30, v31 src0_sel:BYTE_0 src1_sel:DWORD
	s_and_saveexec_b64 s[4:5], s[6:7]
	s_cbranch_execz .LBB955_177
; %bb.172:                              ;   in Loop: Header=BB955_15 Depth=1
	v_cmp_ne_u16_sdwa s[10:11], v30, s13 src0_sel:BYTE_0 src1_sel:DWORD
	v_mov_b32_e32 v32, 0xffff8000
	s_and_saveexec_b64 s[6:7], s[10:11]
	s_cbranch_execz .LBB955_176
; %bb.173:                              ;   in Loop: Header=BB955_15 Depth=1
	v_bfe_u32 v35, v28, 16, 7
	v_cmp_ne_u32_e32 vcc, s14, v35
	v_mov_b32_e32 v32, 0x7f80
	s_and_saveexec_b64 s[10:11], vcc
	s_cbranch_execz .LBB955_175
; %bb.174:                              ;   in Loop: Header=BB955_15 Depth=1
	v_and_b32_e32 v32, 7, v30
	v_ffbh_u32_e32 v36, v32
	v_min_u32_e32 v40, 32, v36
	v_subrev_u32_e32 v36, 28, v40
	v_lshlrev_b64 v[36:37], v36, v[30:31]
	v_lshrrev_b32_e32 v38, 3, v35
	v_sub_u32_e32 v37, 29, v40
	v_and_b32_e32 v36, 7, v36
	v_cmp_gt_u32_e32 vcc, 8, v35
	v_cndmask_b32_e32 v35, v38, v37, vcc
	v_cndmask_b32_e32 v32, v32, v36, vcc
	v_lshlrev_b32_e32 v30, 24, v30
	v_lshlrev_b32_e32 v32, 20, v32
	v_and_b32_e32 v30, 0x80000000, v30
	v_lshl_add_u32 v35, v35, 23, v33
	v_or3_b32 v30, v30, v35, v32
	v_lshrrev_b32_e32 v32, 16, v30
.LBB955_175:                            ;   in Loop: Header=BB955_15 Depth=1
	s_or_b64 exec, exec, s[10:11]
.LBB955_176:                            ;   in Loop: Header=BB955_15 Depth=1
	s_or_b64 exec, exec, s[6:7]
.LBB955_177:                            ;   in Loop: Header=BB955_15 Depth=1
	s_or_b64 exec, exec, s[4:5]
	v_cmp_lt_u32_e32 vcc, s15, v28
	v_mov_b32_e32 v35, 0
	v_mov_b32_e32 v36, 0
	s_and_saveexec_b64 s[4:5], vcc
	s_cbranch_execz .LBB955_183
; %bb.178:                              ;   in Loop: Header=BB955_15 Depth=1
	v_lshrrev_b32_e32 v30, 24, v28
	v_cmp_ne_u32_e32 vcc, s13, v30
	v_mov_b32_e32 v36, 0xffff8000
	s_and_saveexec_b64 s[6:7], vcc
	s_cbranch_execz .LBB955_182
; %bb.179:                              ;   in Loop: Header=BB955_15 Depth=1
	v_bfe_u32 v28, v28, 24, 7
	v_cmp_ne_u32_e32 vcc, s14, v28
	v_mov_b32_e32 v36, 0x7f80
	s_and_saveexec_b64 s[10:11], vcc
	s_cbranch_execz .LBB955_181
; %bb.180:                              ;   in Loop: Header=BB955_15 Depth=1
	v_and_b32_e32 v38, 7, v30
	v_ffbh_u32_e32 v36, v38
	v_min_u32_e32 v42, 32, v36
	v_subrev_u32_e32 v36, 28, v42
	v_lshlrev_b64 v[36:37], v36, v[30:31]
	v_lshrrev_b32_e32 v40, 3, v28
	v_sub_u32_e32 v37, 29, v42
	v_and_b32_e32 v36, 7, v36
	v_cmp_gt_u32_e32 vcc, 8, v28
	v_cndmask_b32_e32 v28, v40, v37, vcc
	v_cndmask_b32_e32 v36, v38, v36, vcc
	v_lshlrev_b32_e32 v30, 24, v30
	v_lshlrev_b32_e32 v36, 20, v36
	v_and_b32_e32 v30, 0x80000000, v30
	v_lshl_add_u32 v28, v28, 23, v33
	v_or3_b32 v28, v30, v28, v36
	v_lshrrev_b32_e32 v36, 16, v28
.LBB955_181:                            ;   in Loop: Header=BB955_15 Depth=1
	s_or_b64 exec, exec, s[10:11]
.LBB955_182:                            ;   in Loop: Header=BB955_15 Depth=1
	s_or_b64 exec, exec, s[6:7]
.LBB955_183:                            ;   in Loop: Header=BB955_15 Depth=1
	s_or_b64 exec, exec, s[4:5]
	s_waitcnt vmcnt(0)
	v_cmp_ne_u16_sdwa s[6:7], v26, v31 src0_sel:BYTE_0 src1_sel:DWORD
	s_and_saveexec_b64 s[4:5], s[6:7]
	s_cbranch_execz .LBB955_189
; %bb.184:                              ;   in Loop: Header=BB955_15 Depth=1
	v_cmp_ne_u16_sdwa s[10:11], v26, s13 src0_sel:BYTE_0 src1_sel:DWORD
	v_mov_b32_e32 v35, 0xffff8000
	s_and_saveexec_b64 s[6:7], s[10:11]
	s_cbranch_execz .LBB955_188
; %bb.185:                              ;   in Loop: Header=BB955_15 Depth=1
	v_and_b32_e32 v28, 0x7f, v26
	v_cmp_ne_u32_e32 vcc, s14, v28
	v_mov_b32_e32 v35, 0x7f80
	s_and_saveexec_b64 s[10:11], vcc
	s_cbranch_execz .LBB955_187
; %bb.186:                              ;   in Loop: Header=BB955_15 Depth=1
	v_and_b32_e32 v30, 7, v26
	v_ffbh_u32_e32 v37, v30
	v_min_u32_e32 v37, 32, v37
	v_subrev_u32_e32 v38, 28, v37
	v_lshlrev_b64 v[42:43], v38, v[26:27]
	v_lshrrev_b32_e32 v35, 3, v28
	v_sub_u32_e32 v37, 29, v37
	v_and_b32_e32 v38, 7, v42
	v_cmp_gt_u32_e32 vcc, 8, v28
	v_cndmask_b32_e32 v28, v35, v37, vcc
	v_cndmask_b32_e32 v30, v30, v38, vcc
	v_lshlrev_b32_e32 v35, 24, v26
	v_lshlrev_b32_e32 v30, 20, v30
	v_and_b32_e32 v35, 0x80000000, v35
	v_lshl_add_u32 v28, v28, 23, v33
	v_or3_b32 v28, v35, v28, v30
	v_lshrrev_b32_e32 v35, 16, v28
.LBB955_187:                            ;   in Loop: Header=BB955_15 Depth=1
	s_or_b64 exec, exec, s[10:11]
.LBB955_188:                            ;   in Loop: Header=BB955_15 Depth=1
	s_or_b64 exec, exec, s[6:7]
.LBB955_189:                            ;   in Loop: Header=BB955_15 Depth=1
	s_or_b64 exec, exec, s[4:5]
	v_lshrrev_b16_e32 v28, 8, v26
	v_cmp_ne_u16_e32 vcc, 0, v28
	v_mov_b32_e32 v37, 0
	v_mov_b32_e32 v30, 0
	s_and_saveexec_b64 s[4:5], vcc
	s_cbranch_execz .LBB955_195
; %bb.190:                              ;   in Loop: Header=BB955_15 Depth=1
	v_cmp_ne_u16_e32 vcc, s13, v28
	v_mov_b32_e32 v30, 0xffff8000
	s_and_saveexec_b64 s[6:7], vcc
	s_cbranch_execz .LBB955_194
; %bb.191:                              ;   in Loop: Header=BB955_15 Depth=1
	v_and_b32_e32 v38, 0x7f, v28
	v_cmp_ne_u32_e32 vcc, s14, v38
	v_mov_b32_e32 v30, 0x7f80
	s_and_saveexec_b64 s[10:11], vcc
	s_cbranch_execz .LBB955_193
; %bb.192:                              ;   in Loop: Header=BB955_15 Depth=1
	v_and_b32_e32 v30, 7, v28
	v_ffbh_u32_e32 v42, v30
	v_min_u32_e32 v44, 32, v42
	v_subrev_u32_e32 v42, 28, v44
	v_lshlrev_b64 v[42:43], v42, v[28:29]
	v_lshrrev_b32_e32 v40, 3, v38
	v_sub_u32_e32 v28, 29, v44
	v_and_b32_e32 v42, 7, v42
	v_cmp_gt_u32_e32 vcc, 8, v38
	v_cndmask_b32_e32 v28, v40, v28, vcc
	v_cndmask_b32_e32 v30, v30, v42, vcc
	v_lshlrev_b32_e32 v38, 16, v26
	v_lshlrev_b32_e32 v30, 20, v30
	v_and_b32_e32 v38, 0x80000000, v38
	v_lshl_add_u32 v28, v28, 23, v33
	v_or3_b32 v28, v38, v28, v30
	v_lshrrev_b32_e32 v30, 16, v28
.LBB955_193:                            ;   in Loop: Header=BB955_15 Depth=1
	s_or_b64 exec, exec, s[10:11]
.LBB955_194:                            ;   in Loop: Header=BB955_15 Depth=1
	s_or_b64 exec, exec, s[6:7]
.LBB955_195:                            ;   in Loop: Header=BB955_15 Depth=1
	s_or_b64 exec, exec, s[4:5]
	v_lshrrev_b32_e32 v28, 16, v26
	v_cmp_ne_u16_sdwa s[6:7], v28, v31 src0_sel:BYTE_0 src1_sel:DWORD
	s_and_saveexec_b64 s[4:5], s[6:7]
	s_cbranch_execz .LBB955_201
; %bb.196:                              ;   in Loop: Header=BB955_15 Depth=1
	v_cmp_ne_u16_sdwa s[10:11], v28, s13 src0_sel:BYTE_0 src1_sel:DWORD
	v_mov_b32_e32 v37, 0xffff8000
	s_and_saveexec_b64 s[6:7], s[10:11]
	s_cbranch_execz .LBB955_200
; %bb.197:                              ;   in Loop: Header=BB955_15 Depth=1
	v_bfe_u32 v38, v26, 16, 7
	v_cmp_ne_u32_e32 vcc, s14, v38
	v_mov_b32_e32 v37, 0x7f80
	s_and_saveexec_b64 s[10:11], vcc
	s_cbranch_execz .LBB955_199
; %bb.198:                              ;   in Loop: Header=BB955_15 Depth=1
	v_and_b32_e32 v37, 7, v28
	v_ffbh_u32_e32 v42, v37
	v_min_u32_e32 v44, 32, v42
	v_subrev_u32_e32 v42, 28, v44
	v_lshlrev_b64 v[42:43], v42, v[28:29]
	v_lshrrev_b32_e32 v40, 3, v38
	v_sub_u32_e32 v43, 29, v44
	v_and_b32_e32 v42, 7, v42
	v_cmp_gt_u32_e32 vcc, 8, v38
	v_cndmask_b32_e32 v38, v40, v43, vcc
	v_cndmask_b32_e32 v37, v37, v42, vcc
	v_lshlrev_b32_e32 v28, 24, v28
	v_lshlrev_b32_e32 v37, 20, v37
	v_and_b32_e32 v28, 0x80000000, v28
	v_lshl_add_u32 v38, v38, 23, v33
	v_or3_b32 v28, v28, v38, v37
	v_lshrrev_b32_e32 v37, 16, v28
.LBB955_199:                            ;   in Loop: Header=BB955_15 Depth=1
	s_or_b64 exec, exec, s[10:11]
.LBB955_200:                            ;   in Loop: Header=BB955_15 Depth=1
	s_or_b64 exec, exec, s[6:7]
.LBB955_201:                            ;   in Loop: Header=BB955_15 Depth=1
	s_or_b64 exec, exec, s[4:5]
	v_cmp_lt_u32_e32 vcc, s15, v26
	v_mov_b32_e32 v38, 0
	s_and_saveexec_b64 s[4:5], vcc
	s_cbranch_execz .LBB955_14
; %bb.202:                              ;   in Loop: Header=BB955_15 Depth=1
	v_lshrrev_b32_e32 v28, 24, v26
	v_cmp_ne_u32_e32 vcc, s13, v28
	v_mov_b32_e32 v38, 0xffff8000
	s_and_saveexec_b64 s[6:7], vcc
	s_cbranch_execz .LBB955_13
; %bb.203:                              ;   in Loop: Header=BB955_15 Depth=1
	v_bfe_u32 v26, v26, 24, 7
	v_cmp_ne_u32_e32 vcc, s14, v26
	v_mov_b32_e32 v38, 0x7f80
	s_and_saveexec_b64 s[10:11], vcc
	s_cbranch_execz .LBB955_12
; %bb.204:                              ;   in Loop: Header=BB955_15 Depth=1
	v_and_b32_e32 v38, 7, v28
	v_ffbh_u32_e32 v42, v38
	v_min_u32_e32 v44, 32, v42
	v_subrev_u32_e32 v42, 28, v44
	v_lshlrev_b64 v[42:43], v42, v[28:29]
	v_lshrrev_b32_e32 v40, 3, v26
	v_sub_u32_e32 v43, 29, v44
	v_and_b32_e32 v42, 7, v42
	v_cmp_gt_u32_e32 vcc, 8, v26
	v_cndmask_b32_e32 v26, v40, v43, vcc
	v_cndmask_b32_e32 v38, v38, v42, vcc
	v_lshlrev_b32_e32 v28, 24, v28
	v_lshlrev_b32_e32 v38, 20, v38
	v_and_b32_e32 v28, 0x80000000, v28
	v_lshl_add_u32 v26, v26, 23, v33
	v_or3_b32 v26, v28, v26, v38
	v_lshrrev_b32_e32 v38, 16, v26
	s_branch .LBB955_12
.LBB955_205:
	buffer_load_dword v13, off, s[0:3], 0 offset:256
	buffer_load_dword v14, off, s[0:3], 0 offset:260
	;; [unrolled: 1-line block ×16, first 2 shown]
	v_and_b32_e32 v12, 0xc0, v0
	v_add_u32_e32 v12, s20, v12
	v_lshl_or_b32 v12, v1, 2, v12
	v_or_b32_e32 v23, 1, v12
	v_mov_b32_e32 v19, 0xff7fffff
	v_or_b32_e32 v24, 2, v12
	v_or_b32_e32 v25, 3, v12
	v_cmp_gt_i32_e64 s[26:27], s33, v12
	v_cmp_gt_i32_e64 s[28:29], s33, v23
	s_mov_b32 s52, 0xff7fffff
	v_or_b32_e32 v26, 16, v12
	v_or_b32_e32 v27, 17, v12
	v_or_b32_e32 v28, 18, v12
	v_or_b32_e32 v29, 19, v12
	v_or_b32_e32 v30, 32, v12
	v_or_b32_e32 v31, 33, v12
	v_or_b32_e32 v32, 34, v12
	v_or_b32_e32 v33, 35, v12
	v_or_b32_e32 v34, 48, v12
	v_or_b32_e32 v35, 49, v12
	v_or_b32_e32 v36, 50, v12
	v_or_b32_e32 v37, 51, v12
	v_cmp_gt_i32_e64 s[30:31], s33, v24
	v_cmp_gt_i32_e64 s[34:35], s33, v25
	v_mbcnt_lo_u32_b32 v20, -1, 0
	v_cmp_gt_i32_e64 s[36:37], s33, v26
	v_cmp_gt_i32_e64 s[38:39], s33, v27
	v_mbcnt_hi_u32_b32 v20, -1, v20
	v_cmp_gt_i32_e64 s[20:21], s33, v28
	v_cmp_gt_i32_e64 s[22:23], s33, v29
	v_and_b32_e32 v21, 64, v20
	v_cmp_gt_i32_e64 s[16:17], s33, v30
	v_cmp_gt_i32_e64 s[18:19], s33, v31
	v_xor_b32_e32 v22, 32, v20
	v_add_u32_e32 v21, 64, v21
	v_cmp_gt_i32_e64 s[12:13], s33, v32
	v_cmp_gt_i32_e64 s[14:15], s33, v33
	v_cmp_lt_i32_e32 vcc, v22, v21
	v_cmp_gt_i32_e64 s[6:7], s33, v34
	v_cmp_gt_i32_e64 s[10:11], s33, v35
	v_cndmask_b32_e32 v22, v20, v22, vcc
	v_cmp_gt_i32_e32 vcc, s33, v36
	v_cmp_gt_i32_e64 s[4:5], s33, v37
	v_lshlrev_b32_e32 v22, 2, v22
	s_waitcnt vmcnt(15)
	v_cndmask_b32_e64 v12, v19, v13, s[26:27]
	s_waitcnt vmcnt(14)
	v_cndmask_b32_e64 v23, v19, v14, s[28:29]
	;; [unrolled: 2-line block ×4, first 2 shown]
	v_max3_f32 v12, v12, s52, v23
	s_waitcnt vmcnt(11)
	v_cndmask_b32_e64 v26, v19, v17, s[36:37]
	s_waitcnt vmcnt(10)
	v_cndmask_b32_e64 v27, v19, v18, s[38:39]
	v_max3_f32 v12, v12, v24, v25
	s_waitcnt vmcnt(9)
	v_cndmask_b32_e64 v28, v19, v11, s[20:21]
	s_waitcnt vmcnt(8)
	v_cndmask_b32_e64 v29, v19, v10, s[22:23]
	;; [unrolled: 5-line block ×5, first 2 shown]
	v_max3_f32 v12, v12, v32, v33
	s_waitcnt vmcnt(1)
	v_cndmask_b32_e32 v36, v19, v3, vcc
	s_waitcnt vmcnt(0)
	v_cndmask_b32_e64 v19, v19, v2, s[4:5]
	v_max3_f32 v12, v12, v34, v35
	v_max3_f32 v12, v12, v36, v19
	ds_bpermute_b32 v19, v22, v12
	v_xor_b32_e32 v23, 16, v20
	v_cmp_lt_i32_e64 s[40:41], v23, v21
	v_cndmask_b32_e64 v20, v20, v23, s[40:41]
	v_lshlrev_b32_e32 v20, 2, v20
	s_waitcnt lgkmcnt(0)
	v_max_f32_e32 v19, v19, v19
	v_max_f32_e32 v12, v12, v19
	ds_bpermute_b32 v19, v20, v12
	s_waitcnt lgkmcnt(0)
	v_max_f32_e32 v19, v19, v19
	v_max_f32_e32 v12, v12, v19
	v_sub_f32_e32 v13, v13, v12
	v_sub_f32_e32 v14, v14, v12
	;; [unrolled: 1-line block ×3, first 2 shown]
	v_mul_f32_e32 v13, 0x3fb8aa3b, v13
	v_mul_f32_e32 v14, 0x3fb8aa3b, v14
	;; [unrolled: 1-line block ×3, first 2 shown]
	v_exp_f32_e32 v13, v13
	v_exp_f32_e32 v14, v14
	;; [unrolled: 1-line block ×3, first 2 shown]
	v_sub_f32_e32 v16, v16, v12
	v_cndmask_b32_e64 v13, 0, v13, s[26:27]
	v_mul_f32_e32 v16, 0x3fb8aa3b, v16
	v_cndmask_b32_e64 v14, 0, v14, s[28:29]
	v_cndmask_b32_e64 v15, 0, v15, s[30:31]
	v_add_f32_e32 v19, 0, v13
	buffer_store_dword v13, off, s[0:3], 0 offset:256
	buffer_store_dword v14, off, s[0:3], 0 offset:260
	;; [unrolled: 1-line block ×3, first 2 shown]
	v_sub_f32_e32 v13, v17, v12
	v_exp_f32_e32 v16, v16
	v_add_f32_e32 v19, v19, v14
	v_mul_f32_e32 v13, 0x3fb8aa3b, v13
	v_sub_f32_e32 v14, v18, v12
	v_exp_f32_e32 v13, v13
	v_mul_f32_e32 v14, 0x3fb8aa3b, v14
	v_sub_f32_e32 v11, v11, v12
	v_exp_f32_e32 v14, v14
	;; [unrolled: 3-line block ×3, first 2 shown]
	v_mul_f32_e32 v10, 0x3fb8aa3b, v10
	v_sub_f32_e32 v9, v9, v12
	v_cndmask_b32_e64 v16, 0, v16, s[34:35]
	v_add_f32_e32 v19, v19, v15
	v_exp_f32_e32 v10, v10
	v_mul_f32_e32 v9, 0x3fb8aa3b, v9
	v_sub_f32_e32 v8, v8, v12
	v_add_f32_e32 v19, v19, v16
	v_cndmask_b32_e64 v13, 0, v13, s[36:37]
	v_exp_f32_e32 v9, v9
	v_mul_f32_e32 v8, 0x3fb8aa3b, v8
	v_sub_f32_e32 v7, v7, v12
	v_add_f32_e32 v15, v19, v13
	v_cndmask_b32_e64 v14, 0, v14, s[38:39]
	;; [unrolled: 5-line block ×5, first 2 shown]
	v_exp_f32_e32 v5, v5
	v_mul_f32_e32 v4, 0x3fb8aa3b, v4
	v_sub_f32_e32 v3, v3, v12
	buffer_store_dword v16, off, s[0:3], 0 offset:268
	buffer_store_dword v13, off, s[0:3], 0 offset:272
	;; [unrolled: 1-line block ×5, first 2 shown]
	v_add_f32_e32 v10, v15, v9
	v_cndmask_b32_e64 v8, 0, v8, s[18:19]
	v_exp_f32_e32 v4, v4
	v_mul_f32_e32 v3, 0x3fb8aa3b, v3
	v_sub_f32_e32 v2, v2, v12
	v_add_f32_e32 v10, v10, v8
	v_cndmask_b32_e64 v7, 0, v7, s[12:13]
	v_exp_f32_e32 v3, v3
	v_mul_f32_e32 v2, 0x3fb8aa3b, v2
	v_add_f32_e32 v10, v10, v7
	v_cndmask_b32_e64 v6, 0, v6, s[14:15]
	v_exp_f32_e32 v2, v2
	v_add_f32_e32 v10, v10, v6
	v_cndmask_b32_e64 v5, 0, v5, s[6:7]
	buffer_store_dword v9, off, s[0:3], 0 offset:288
	buffer_store_dword v8, off, s[0:3], 0 offset:292
	;; [unrolled: 1-line block ×4, first 2 shown]
	v_add_f32_e32 v6, v10, v5
	v_cndmask_b32_e64 v4, 0, v4, s[10:11]
	v_add_f32_e32 v6, v6, v4
	v_cndmask_b32_e32 v3, 0, v3, vcc
	v_add_f32_e32 v6, v6, v3
	v_cndmask_b32_e64 v2, 0, v2, s[4:5]
	v_add_f32_e32 v6, v6, v2
	ds_bpermute_b32 v7, v22, v6
	buffer_store_dword v5, off, s[0:3], 0 offset:304
	buffer_store_dword v4, off, s[0:3], 0 offset:308
	;; [unrolled: 1-line block ×4, first 2 shown]
	v_cmp_gt_u32_e32 vcc, 16, v64
	s_waitcnt lgkmcnt(0)
	s_barrier
	v_add_f32_e32 v2, v6, v7
	ds_bpermute_b32 v3, v20, v2
	s_waitcnt lgkmcnt(0)
	s_and_saveexec_b64 s[4:5], vcc
	s_cbranch_execz .LBB955_207
; %bb.206:
	v_add_f32_e32 v2, v2, v3
	v_lshlrev_b32_e32 v3, 2, v63
	ds_write2st64_b32 v3, v12, v2 offset1:1
.LBB955_207:
	s_or_b64 exec, exec, s[4:5]
	v_lshlrev_b32_e32 v2, 2, v55
	s_waitcnt lgkmcnt(0)
	s_barrier
	ds_read2_b32 v[14:15], v2 offset1:16
	ds_read2_b32 v[16:17], v2 offset0:32 offset1:48
	ds_read2_b32 v[6:7], v2 offset0:64 offset1:80
	;; [unrolled: 1-line block ×3, first 2 shown]
	s_waitcnt lgkmcnt(0)
	s_barrier
	buffer_load_dword v22, off, s[0:3], 0 offset:264
	buffer_load_dword v23, off, s[0:3], 0 offset:268
	;; [unrolled: 1-line block ×16, first 2 shown]
	v_max3_f32 v20, v14, s52, v15
	v_max3_f32 v20, v20, v16, v17
	v_sub_f32_e32 v14, v14, v20
	v_sub_f32_e32 v15, v15, v20
	v_mul_f32_e32 v14, 0x3fb8aa3b, v14
	v_sub_f32_e32 v16, v16, v20
	v_mul_f32_e32 v15, 0x3fb8aa3b, v15
	v_exp_f32_e32 v14, v14
	v_sub_f32_e32 v17, v17, v20
	v_mul_f32_e32 v16, 0x3fb8aa3b, v16
	v_exp_f32_e32 v15, v15
	v_mul_f32_e32 v17, 0x3fb8aa3b, v17
	v_exp_f32_e32 v16, v16
	v_exp_f32_e32 v17, v17
	v_fma_f32 v6, v14, v6, 0
	v_fmac_f32_e32 v6, v15, v7
	v_fmac_f32_e32 v6, v16, v12
	;; [unrolled: 1-line block ×3, first 2 shown]
	v_cmp_eq_u32_e32 vcc, 1, v62
	v_add_f32_e32 v12, 0x358637bd, v6
	v_cndmask_b32_e32 v14, v14, v15, vcc
	v_cmp_eq_u32_e32 vcc, 2, v62
	v_div_scale_f32 v13, s[4:5], v12, v12, 1.0
	v_cndmask_b32_e32 v7, v14, v16, vcc
	v_rcp_f32_e32 v14, v13
	v_cmp_eq_u32_e32 vcc, 3, v62
	v_cndmask_b32_e32 v7, v7, v17, vcc
	v_div_scale_f32 v15, vcc, 1.0, v12, 1.0
	v_fma_f32 v16, -v13, v14, 1.0
	v_fmac_f32_e32 v14, v16, v14
	v_mul_f32_e32 v16, v15, v14
	v_fma_f32 v17, -v13, v16, v15
	v_fmac_f32_e32 v16, v17, v14
	v_fma_f32 v13, -v13, v16, v15
	v_div_fmas_f32 v13, v13, v14, v16
	v_div_fixup_f32 v12, v13, v12, 1.0
	v_mul_f32_e32 v12, v7, v12
	s_movk_i32 s19, 0x7fff
	s_mov_b32 s20, 0x7060302
	s_mul_i32 s18, s51, 14
	v_cmp_gt_u32_e32 vcc, 14, v0
	s_waitcnt vmcnt(14)
	v_pk_mul_f32 v[14:15], v[12:13], v[22:23] op_sel_hi:[0,1]
	v_bfe_u32 v21, v15, 16, 1
	s_waitcnt vmcnt(12)
	v_pk_mul_f32 v[16:17], v[12:13], v[24:25] op_sel_hi:[0,1]
	v_bfe_u32 v7, v17, 16, 1
	v_bfe_u32 v13, v16, 16, 1
	;; [unrolled: 1-line block ×3, first 2 shown]
	v_add3_u32 v13, v16, v13, s19
	v_add3_u32 v7, v17, v7, s19
	buffer_store_dword v16, off, s[0:3], 0 offset:256
	buffer_store_dword v17, off, s[0:3], 0 offset:260
	;; [unrolled: 1-line block ×4, first 2 shown]
	v_add3_u32 v16, v14, v22, s19
	v_add3_u32 v15, v15, v21, s19
	v_perm_b32 v14, v7, v13, s20
	v_lshlrev_b32_e32 v13, 3, v1
	v_perm_b32 v15, v15, v16, s20
	v_lshlrev_b32_e32 v7, 5, v55
	v_lshlrev_b32_e32 v16, 11, v62
	s_waitcnt vmcnt(12)
	v_pk_mul_f32 v[8:9], v[12:13], v[8:9] op_sel_hi:[0,1]
	v_or3_b32 v43, v16, v7, v13
	v_pk_mul_f32 v[10:11], v[12:13], v[10:11] op_sel_hi:[0,1]
	v_bfe_u32 v13, v9, 16, 1
	v_bfe_u32 v16, v8, 16, 1
	buffer_store_dword v8, off, s[0:3], 0 offset:272
	buffer_store_dword v9, off, s[0:3], 0 offset:276
	;; [unrolled: 1-line block ×4, first 2 shown]
	v_add3_u32 v8, v8, v16, s19
	v_add3_u32 v9, v9, v13, s19
	v_perm_b32 v8, v9, v8, s20
	v_bfe_u32 v9, v11, 16, 1
	v_bfe_u32 v13, v10, 16, 1
	v_add3_u32 v10, v10, v13, s19
	v_add3_u32 v9, v11, v9, s19
	v_perm_b32 v9, v9, v10, s20
	s_waitcnt vmcnt(14)
	v_pk_mul_f32 v[10:11], v[12:13], v[18:19] op_sel_hi:[0,1]
	ds_write2st64_b64 v43, v[14:15], v[8:9] offset1:1
	s_waitcnt vmcnt(12)
	v_pk_mul_f32 v[8:9], v[12:13], v[26:27] op_sel_hi:[0,1]
	v_bfe_u32 v13, v11, 16, 1
	v_bfe_u32 v14, v10, 16, 1
	buffer_store_dword v10, off, s[0:3], 0 offset:288
	buffer_store_dword v11, off, s[0:3], 0 offset:292
	;; [unrolled: 1-line block ×4, first 2 shown]
	v_add3_u32 v10, v10, v14, s19
	v_add3_u32 v11, v11, v13, s19
	v_perm_b32 v10, v11, v10, s20
	v_bfe_u32 v11, v9, 16, 1
	v_bfe_u32 v13, v8, 16, 1
	v_add3_u32 v8, v8, v13, s19
	v_add3_u32 v9, v9, v11, s19
	s_waitcnt vmcnt(14)
	v_pk_mul_f32 v[2:3], v[12:13], v[2:3] op_sel_hi:[0,1]
	v_perm_b32 v11, v9, v8, s20
	v_bfe_u32 v8, v3, 16, 1
	v_bfe_u32 v9, v2, 16, 1
	s_waitcnt vmcnt(12)
	v_pk_mul_f32 v[4:5], v[12:13], v[4:5] op_sel_hi:[0,1]
	buffer_store_dword v2, off, s[0:3], 0 offset:304
	buffer_store_dword v3, off, s[0:3], 0 offset:308
	;; [unrolled: 1-line block ×4, first 2 shown]
	v_add3_u32 v2, v2, v9, s19
	v_add3_u32 v3, v3, v8, s19
	v_perm_b32 v2, v3, v2, s20
	v_bfe_u32 v3, v5, 16, 1
	v_bfe_u32 v8, v4, 16, 1
	v_add3_u32 v4, v4, v8, s19
	v_add3_u32 v3, v5, v3, s19
	v_perm_b32 v3, v3, v4, s20
	ds_write2st64_b64 v43, v[10:11], v[2:3] offset0:2 offset1:3
	s_and_saveexec_b64 s[4:5], vcc
	s_cbranch_execz .LBB955_209
; %bb.208:
	v_add_co_u32_e32 v4, vcc, s25, v55
	v_addc_co_u32_e64 v5, s[6:7], 0, 0, vcc
	v_mov_b32_e32 v2, s18
	v_mad_u64_u32 v[4:5], s[6:7], s8, v2, v[4:5]
	v_mov_b32_e32 v3, 0
	s_mul_i32 s6, s9, s18
	v_mov_b32_e32 v2, s24
	v_add_u32_e32 v5, s6, v5
	v_mad_u64_u32 v[2:3], s[6:7], v4, s50, v[2:3]
	v_mov_b32_e32 v4, v3
	v_mad_u64_u32 v[4:5], s[6:7], v5, s50, v[4:5]
	v_mov_b32_e32 v3, v4
	v_lshlrev_b64 v[2:3], 2, v[2:3]
	v_mov_b32_e32 v5, s47
	v_add_co_u32_e32 v4, vcc, s46, v2
	v_addc_co_u32_e32 v5, vcc, v5, v3, vcc
	global_store_dword v[4:5], v20, off
	v_mov_b32_e32 v4, s45
	v_add_co_u32_e32 v2, vcc, s44, v2
	v_addc_co_u32_e32 v3, vcc, v4, v3, vcc
	global_store_dword v[2:3], v6, off
.LBB955_209:
	s_or_b64 exec, exec, s[4:5]
	v_lshl_or_b32 v30, v1, 9, v7
	s_waitcnt lgkmcnt(0)
	s_barrier
	s_load_dword s4, s[42:43], 0x0
	ds_read_b128 v[2:5], v30
	ds_read_b128 v[6:9], v30 offset:16
	ds_read_b128 v[10:13], v30 offset:2048
	;; [unrolled: 1-line block ×7, first 2 shown]
	v_mov_b32_e32 v35, 0x80
	v_mov_b32_e32 v45, 0x140
	s_mov_b64 s[10:11], -1
	s_waitcnt lgkmcnt(0)
	s_mov_b32 s5, s4
	s_mov_b32 s6, s4
	s_mov_b32 s7, s4
	s_movk_i32 s9, 0x80
	s_movk_i32 s21, 0x7f
	s_mov_b32 s22, 0xffffff
	s_mov_b32 s23, 0x5040100
	v_mov_b32_e32 v47, 0
	v_bfrev_b32_e32 v48, 60
	s_branch .LBB955_213
.LBB955_210:                            ;   in Loop: Header=BB955_213 Depth=1
	s_or_b64 exec, exec, s[16:17]
.LBB955_211:                            ;   in Loop: Header=BB955_213 Depth=1
	s_or_b64 exec, exec, s[14:15]
.LBB955_212:                            ;   in Loop: Header=BB955_213 Depth=1
	s_or_b64 exec, exec, s[12:13]
	v_perm_b32 v61, v50, v46, s23
	v_perm_b32 v60, v44, v41, s23
	s_xor_b64 s[12:13], s[10:11], -1
	s_mov_b64 s[10:11], 0
	s_and_b64 vcc, exec, s[12:13]
	v_mfma_f32_16x16x16bf16_1k v[62:65], v[60:61], v[30:31], v[34:37]
	v_mov_b32_e32 v61, v58
	v_mov_b32_e32 v60, v59
	s_nop 4
	v_perm_b32 v37, v52, v51, s23
	v_perm_b32 v36, v42, v49, s23
	v_mov_b32_e32 v35, v57
	s_nop 0
	v_mfma_f32_16x16x16bf16_1k v[50:53], v[36:37], v[32:33], v[62:65]
	s_nop 7
	s_nop 2
	v_pk_mul_f32 v[40:41], v[50:51], s[4:5]
	v_pk_mul_f32 v[36:37], v[52:53], s[6:7]
	v_bfe_u32 v34, v41, 16, 1
	v_bfe_u32 v38, v40, 16, 1
	;; [unrolled: 1-line block ×4, first 2 shown]
	v_add3_u32 v38, v40, v38, s19
	v_add3_u32 v34, v41, v34, s19
	;; [unrolled: 1-line block ×4, first 2 shown]
	v_perm_b32 v34, v34, v38, s20
	v_perm_b32 v36, v37, v36, s20
	buffer_store_dword v34, v45, s[0:3], 0 offen
	buffer_store_dword v36, v45, s[0:3], 0 offen offset:4
	v_mov_b32_e32 v45, 0x148
	v_mov_b32_e32 v41, v39
	s_cbranch_vccnz .LBB955_595
.LBB955_213:                            ; =>This Inner Loop Header: Depth=1
	buffer_load_dword v36, v35, s[0:3], 0 offen
	buffer_load_dword v34, v35, s[0:3], 0 offen offset:4
	buffer_load_dword v40, v35, s[0:3], 0 offen offset:8
	;; [unrolled: 1-line block ×3, first 2 shown]
	v_mov_b32_e32 v35, 0
	s_waitcnt vmcnt(3)
	v_cmp_ne_u16_sdwa s[14:15], v36, v47 src0_sel:BYTE_0 src1_sel:DWORD
	s_and_saveexec_b64 s[12:13], s[14:15]
	s_cbranch_execz .LBB955_219
; %bb.214:                              ;   in Loop: Header=BB955_213 Depth=1
	v_cmp_ne_u16_sdwa s[16:17], v36, s9 src0_sel:BYTE_0 src1_sel:DWORD
	v_mov_b32_e32 v35, 0xffff8000
	s_and_saveexec_b64 s[14:15], s[16:17]
	s_cbranch_execz .LBB955_218
; %bb.215:                              ;   in Loop: Header=BB955_213 Depth=1
	v_and_b32_e32 v37, 0x7f, v36
	v_cmp_ne_u32_e32 vcc, s21, v37
	v_mov_b32_e32 v35, 0x7f80
	s_and_saveexec_b64 s[16:17], vcc
	s_cbranch_execz .LBB955_217
; %bb.216:                              ;   in Loop: Header=BB955_213 Depth=1
	v_and_b32_e32 v35, 7, v36
	v_ffbh_u32_e32 v44, v35
	v_min_u32_e32 v44, 32, v44
	v_subrev_u32_e32 v46, 28, v44
	v_lshlrev_b64 v[50:51], v46, v[36:37]
	v_lshrrev_b32_e32 v42, 3, v37
	v_sub_u32_e32 v44, 29, v44
	v_and_b32_e32 v46, 7, v50
	v_cmp_gt_u32_e32 vcc, 8, v37
	v_cndmask_b32_e32 v37, v42, v44, vcc
	v_cndmask_b32_e32 v35, v35, v46, vcc
	v_lshlrev_b32_e32 v42, 24, v36
	v_lshlrev_b32_e32 v35, 20, v35
	v_and_b32_e32 v42, 0x80000000, v42
	v_lshl_add_u32 v37, v37, 23, v48
	v_or3_b32 v35, v42, v37, v35
	v_lshrrev_b32_e32 v35, 16, v35
.LBB955_217:                            ;   in Loop: Header=BB955_213 Depth=1
	s_or_b64 exec, exec, s[16:17]
.LBB955_218:                            ;   in Loop: Header=BB955_213 Depth=1
	s_or_b64 exec, exec, s[14:15]
.LBB955_219:                            ;   in Loop: Header=BB955_213 Depth=1
	s_or_b64 exec, exec, s[12:13]
	v_lshrrev_b16_e32 v42, 8, v36
	v_cmp_ne_u16_e32 vcc, 0, v42
	v_mov_b32_e32 v46, 0
	v_mov_b32_e32 v37, 0
	s_and_saveexec_b64 s[12:13], vcc
	s_cbranch_execz .LBB955_225
; %bb.220:                              ;   in Loop: Header=BB955_213 Depth=1
	v_cmp_ne_u16_e32 vcc, s9, v42
	v_mov_b32_e32 v37, 0xffff8000
	s_and_saveexec_b64 s[14:15], vcc
	s_cbranch_execz .LBB955_224
; %bb.221:                              ;   in Loop: Header=BB955_213 Depth=1
	v_and_b32_e32 v44, 0x7f, v42
	v_cmp_ne_u32_e32 vcc, s21, v44
	v_mov_b32_e32 v37, 0x7f80
	s_and_saveexec_b64 s[16:17], vcc
	s_cbranch_execz .LBB955_223
; %bb.222:                              ;   in Loop: Header=BB955_213 Depth=1
	v_and_b32_e32 v37, 7, v42
	v_ffbh_u32_e32 v50, v37
	v_min_u32_e32 v52, 32, v50
	v_subrev_u32_e32 v50, 28, v52
	v_lshlrev_b64 v[50:51], v50, v[42:43]
	v_lshrrev_b32_e32 v49, 3, v44
	v_sub_u32_e32 v42, 29, v52
	v_and_b32_e32 v50, 7, v50
	v_cmp_gt_u32_e32 vcc, 8, v44
	v_cndmask_b32_e32 v42, v49, v42, vcc
	v_cndmask_b32_e32 v37, v37, v50, vcc
	v_lshlrev_b32_e32 v44, 16, v36
	v_lshlrev_b32_e32 v37, 20, v37
	v_and_b32_e32 v44, 0x80000000, v44
	v_lshl_add_u32 v42, v42, 23, v48
	v_or3_b32 v37, v44, v42, v37
	v_lshrrev_b32_e32 v37, 16, v37
.LBB955_223:                            ;   in Loop: Header=BB955_213 Depth=1
	s_or_b64 exec, exec, s[16:17]
.LBB955_224:                            ;   in Loop: Header=BB955_213 Depth=1
	s_or_b64 exec, exec, s[14:15]
.LBB955_225:                            ;   in Loop: Header=BB955_213 Depth=1
	s_or_b64 exec, exec, s[12:13]
	v_lshrrev_b32_e32 v42, 16, v36
	v_cmp_ne_u16_sdwa s[14:15], v42, v47 src0_sel:BYTE_0 src1_sel:DWORD
	s_and_saveexec_b64 s[12:13], s[14:15]
	s_cbranch_execz .LBB955_231
; %bb.226:                              ;   in Loop: Header=BB955_213 Depth=1
	v_cmp_ne_u16_sdwa s[16:17], v42, s9 src0_sel:BYTE_0 src1_sel:DWORD
	v_mov_b32_e32 v46, 0xffff8000
	s_and_saveexec_b64 s[14:15], s[16:17]
	s_cbranch_execz .LBB955_230
; %bb.227:                              ;   in Loop: Header=BB955_213 Depth=1
	v_bfe_u32 v44, v36, 16, 7
	v_cmp_ne_u32_e32 vcc, s21, v44
	v_mov_b32_e32 v46, 0x7f80
	s_and_saveexec_b64 s[16:17], vcc
	s_cbranch_execz .LBB955_229
; %bb.228:                              ;   in Loop: Header=BB955_213 Depth=1
	v_and_b32_e32 v46, 7, v42
	v_ffbh_u32_e32 v50, v46
	v_min_u32_e32 v52, 32, v50
	v_subrev_u32_e32 v50, 28, v52
	v_lshlrev_b64 v[50:51], v50, v[42:43]
	v_lshrrev_b32_e32 v49, 3, v44
	v_sub_u32_e32 v51, 29, v52
	v_and_b32_e32 v50, 7, v50
	v_cmp_gt_u32_e32 vcc, 8, v44
	v_cndmask_b32_e32 v44, v49, v51, vcc
	v_cndmask_b32_e32 v46, v46, v50, vcc
	v_lshlrev_b32_e32 v42, 24, v42
	v_lshlrev_b32_e32 v46, 20, v46
	v_and_b32_e32 v42, 0x80000000, v42
	v_lshl_add_u32 v44, v44, 23, v48
	v_or3_b32 v42, v42, v44, v46
	v_lshrrev_b32_e32 v46, 16, v42
.LBB955_229:                            ;   in Loop: Header=BB955_213 Depth=1
	s_or_b64 exec, exec, s[16:17]
.LBB955_230:                            ;   in Loop: Header=BB955_213 Depth=1
	s_or_b64 exec, exec, s[14:15]
.LBB955_231:                            ;   in Loop: Header=BB955_213 Depth=1
	s_or_b64 exec, exec, s[12:13]
	v_cmp_lt_u32_e32 vcc, s22, v36
	v_mov_b32_e32 v49, 0
	v_mov_b32_e32 v50, 0
	s_and_saveexec_b64 s[12:13], vcc
	s_cbranch_execz .LBB955_237
; %bb.232:                              ;   in Loop: Header=BB955_213 Depth=1
	v_lshrrev_b32_e32 v42, 24, v36
	v_cmp_ne_u32_e32 vcc, s9, v42
	v_mov_b32_e32 v50, 0xffff8000
	s_and_saveexec_b64 s[14:15], vcc
	s_cbranch_execz .LBB955_236
; %bb.233:                              ;   in Loop: Header=BB955_213 Depth=1
	v_bfe_u32 v36, v36, 24, 7
	v_cmp_ne_u32_e32 vcc, s21, v36
	v_mov_b32_e32 v50, 0x7f80
	s_and_saveexec_b64 s[16:17], vcc
	s_cbranch_execz .LBB955_235
; %bb.234:                              ;   in Loop: Header=BB955_213 Depth=1
	v_and_b32_e32 v44, 7, v42
	v_ffbh_u32_e32 v50, v44
	v_min_u32_e32 v53, 32, v50
	v_subrev_u32_e32 v50, 28, v53
	v_lshlrev_b64 v[50:51], v50, v[42:43]
	v_lshrrev_b32_e32 v52, 3, v36
	v_sub_u32_e32 v51, 29, v53
	v_and_b32_e32 v50, 7, v50
	v_cmp_gt_u32_e32 vcc, 8, v36
	v_cndmask_b32_e32 v36, v52, v51, vcc
	v_cndmask_b32_e32 v44, v44, v50, vcc
	v_lshlrev_b32_e32 v42, 24, v42
	v_lshlrev_b32_e32 v44, 20, v44
	v_and_b32_e32 v42, 0x80000000, v42
	v_lshl_add_u32 v36, v36, 23, v48
	v_or3_b32 v36, v42, v36, v44
	v_lshrrev_b32_e32 v50, 16, v36
.LBB955_235:                            ;   in Loop: Header=BB955_213 Depth=1
	s_or_b64 exec, exec, s[16:17]
.LBB955_236:                            ;   in Loop: Header=BB955_213 Depth=1
	s_or_b64 exec, exec, s[14:15]
.LBB955_237:                            ;   in Loop: Header=BB955_213 Depth=1
	s_or_b64 exec, exec, s[12:13]
	s_waitcnt vmcnt(2)
	v_cmp_ne_u16_sdwa s[14:15], v34, v47 src0_sel:BYTE_0 src1_sel:DWORD
	s_and_saveexec_b64 s[12:13], s[14:15]
	s_cbranch_execz .LBB955_243
; %bb.238:                              ;   in Loop: Header=BB955_213 Depth=1
	v_cmp_ne_u16_sdwa s[16:17], v34, s9 src0_sel:BYTE_0 src1_sel:DWORD
	v_mov_b32_e32 v49, 0xffff8000
	s_and_saveexec_b64 s[14:15], s[16:17]
	s_cbranch_execz .LBB955_242
; %bb.239:                              ;   in Loop: Header=BB955_213 Depth=1
	v_and_b32_e32 v36, 0x7f, v34
	v_cmp_ne_u32_e32 vcc, s21, v36
	v_mov_b32_e32 v49, 0x7f80
	s_and_saveexec_b64 s[16:17], vcc
	s_cbranch_execz .LBB955_241
; %bb.240:                              ;   in Loop: Header=BB955_213 Depth=1
	v_and_b32_e32 v42, 7, v34
	v_ffbh_u32_e32 v49, v42
	v_min_u32_e32 v49, 32, v49
	v_subrev_u32_e32 v51, 28, v49
	v_lshlrev_b64 v[52:53], v51, v[34:35]
	v_lshrrev_b32_e32 v44, 3, v36
	v_sub_u32_e32 v49, 29, v49
	v_and_b32_e32 v51, 7, v52
	v_cmp_gt_u32_e32 vcc, 8, v36
	v_cndmask_b32_e32 v36, v44, v49, vcc
	v_cndmask_b32_e32 v42, v42, v51, vcc
	v_lshlrev_b32_e32 v44, 24, v34
	v_lshlrev_b32_e32 v42, 20, v42
	v_and_b32_e32 v44, 0x80000000, v44
	v_lshl_add_u32 v36, v36, 23, v48
	v_or3_b32 v36, v44, v36, v42
	v_lshrrev_b32_e32 v49, 16, v36
.LBB955_241:                            ;   in Loop: Header=BB955_213 Depth=1
	s_or_b64 exec, exec, s[16:17]
.LBB955_242:                            ;   in Loop: Header=BB955_213 Depth=1
	s_or_b64 exec, exec, s[14:15]
.LBB955_243:                            ;   in Loop: Header=BB955_213 Depth=1
	s_or_b64 exec, exec, s[12:13]
	v_lshrrev_b16_e32 v36, 8, v34
	v_cmp_ne_u16_e32 vcc, 0, v36
	v_mov_b32_e32 v51, 0
	v_mov_b32_e32 v42, 0
	s_and_saveexec_b64 s[12:13], vcc
	s_cbranch_execz .LBB955_249
; %bb.244:                              ;   in Loop: Header=BB955_213 Depth=1
	v_cmp_ne_u16_e32 vcc, s9, v36
	v_mov_b32_e32 v42, 0xffff8000
	s_and_saveexec_b64 s[14:15], vcc
	s_cbranch_execz .LBB955_248
; %bb.245:                              ;   in Loop: Header=BB955_213 Depth=1
	v_and_b32_e32 v44, 0x7f, v36
	v_cmp_ne_u32_e32 vcc, s21, v44
	v_mov_b32_e32 v42, 0x7f80
	s_and_saveexec_b64 s[16:17], vcc
	s_cbranch_execz .LBB955_247
; %bb.246:                              ;   in Loop: Header=BB955_213 Depth=1
	v_and_b32_e32 v42, 7, v36
	v_ffbh_u32_e32 v52, v42
	v_min_u32_e32 v63, 32, v52
	v_subrev_u32_e32 v52, 28, v63
	v_lshlrev_b64 v[52:53], v52, v[36:37]
	v_lshrrev_b32_e32 v62, 3, v44
	v_sub_u32_e32 v36, 29, v63
	v_and_b32_e32 v52, 7, v52
	v_cmp_gt_u32_e32 vcc, 8, v44
	v_cndmask_b32_e32 v36, v62, v36, vcc
	v_cndmask_b32_e32 v42, v42, v52, vcc
	v_lshlrev_b32_e32 v44, 16, v34
	v_lshlrev_b32_e32 v42, 20, v42
	v_and_b32_e32 v44, 0x80000000, v44
	v_lshl_add_u32 v36, v36, 23, v48
	v_or3_b32 v36, v44, v36, v42
	v_lshrrev_b32_e32 v42, 16, v36
.LBB955_247:                            ;   in Loop: Header=BB955_213 Depth=1
	s_or_b64 exec, exec, s[16:17]
.LBB955_248:                            ;   in Loop: Header=BB955_213 Depth=1
	s_or_b64 exec, exec, s[14:15]
.LBB955_249:                            ;   in Loop: Header=BB955_213 Depth=1
	s_or_b64 exec, exec, s[12:13]
	v_lshrrev_b32_e32 v36, 16, v34
	v_cmp_ne_u16_sdwa s[14:15], v36, v47 src0_sel:BYTE_0 src1_sel:DWORD
	s_and_saveexec_b64 s[12:13], s[14:15]
	s_cbranch_execz .LBB955_255
; %bb.250:                              ;   in Loop: Header=BB955_213 Depth=1
	v_cmp_ne_u16_sdwa s[16:17], v36, s9 src0_sel:BYTE_0 src1_sel:DWORD
	v_mov_b32_e32 v51, 0xffff8000
	s_and_saveexec_b64 s[14:15], s[16:17]
	s_cbranch_execz .LBB955_254
; %bb.251:                              ;   in Loop: Header=BB955_213 Depth=1
	v_bfe_u32 v44, v34, 16, 7
	v_cmp_ne_u32_e32 vcc, s21, v44
	v_mov_b32_e32 v51, 0x7f80
	s_and_saveexec_b64 s[16:17], vcc
	s_cbranch_execz .LBB955_253
; %bb.252:                              ;   in Loop: Header=BB955_213 Depth=1
	v_and_b32_e32 v51, 7, v36
	v_ffbh_u32_e32 v52, v51
	v_min_u32_e32 v63, 32, v52
	v_subrev_u32_e32 v52, 28, v63
	v_lshlrev_b64 v[52:53], v52, v[36:37]
	v_lshrrev_b32_e32 v62, 3, v44
	v_sub_u32_e32 v53, 29, v63
	v_and_b32_e32 v52, 7, v52
	v_cmp_gt_u32_e32 vcc, 8, v44
	v_cndmask_b32_e32 v44, v62, v53, vcc
	v_cndmask_b32_e32 v51, v51, v52, vcc
	v_lshlrev_b32_e32 v36, 24, v36
	v_lshlrev_b32_e32 v51, 20, v51
	v_and_b32_e32 v36, 0x80000000, v36
	v_lshl_add_u32 v44, v44, 23, v48
	v_or3_b32 v36, v36, v44, v51
	v_lshrrev_b32_e32 v51, 16, v36
.LBB955_253:                            ;   in Loop: Header=BB955_213 Depth=1
	s_or_b64 exec, exec, s[16:17]
.LBB955_254:                            ;   in Loop: Header=BB955_213 Depth=1
	s_or_b64 exec, exec, s[14:15]
.LBB955_255:                            ;   in Loop: Header=BB955_213 Depth=1
	s_or_b64 exec, exec, s[12:13]
	v_cmp_lt_u32_e32 vcc, s22, v34
	v_mov_b32_e32 v44, 0
	v_mov_b32_e32 v52, 0
	s_and_saveexec_b64 s[12:13], vcc
	s_cbranch_execz .LBB955_261
; %bb.256:                              ;   in Loop: Header=BB955_213 Depth=1
	v_lshrrev_b32_e32 v36, 24, v34
	v_cmp_ne_u32_e32 vcc, s9, v36
	v_mov_b32_e32 v52, 0xffff8000
	s_and_saveexec_b64 s[14:15], vcc
	s_cbranch_execz .LBB955_260
; %bb.257:                              ;   in Loop: Header=BB955_213 Depth=1
	v_bfe_u32 v34, v34, 24, 7
	v_cmp_ne_u32_e32 vcc, s21, v34
	v_mov_b32_e32 v52, 0x7f80
	s_and_saveexec_b64 s[16:17], vcc
	s_cbranch_execz .LBB955_259
; %bb.258:                              ;   in Loop: Header=BB955_213 Depth=1
	v_and_b32_e32 v62, 7, v36
	v_ffbh_u32_e32 v52, v62
	v_min_u32_e32 v64, 32, v52
	v_subrev_u32_e32 v52, 28, v64
	v_lshlrev_b64 v[52:53], v52, v[36:37]
	v_lshrrev_b32_e32 v63, 3, v34
	v_sub_u32_e32 v53, 29, v64
	v_and_b32_e32 v52, 7, v52
	v_cmp_gt_u32_e32 vcc, 8, v34
	v_cndmask_b32_e32 v34, v63, v53, vcc
	v_cndmask_b32_e32 v52, v62, v52, vcc
	v_lshlrev_b32_e32 v36, 24, v36
	v_lshlrev_b32_e32 v52, 20, v52
	v_and_b32_e32 v36, 0x80000000, v36
	v_lshl_add_u32 v34, v34, 23, v48
	v_or3_b32 v34, v36, v34, v52
	v_lshrrev_b32_e32 v52, 16, v34
.LBB955_259:                            ;   in Loop: Header=BB955_213 Depth=1
	s_or_b64 exec, exec, s[16:17]
.LBB955_260:                            ;   in Loop: Header=BB955_213 Depth=1
	s_or_b64 exec, exec, s[14:15]
.LBB955_261:                            ;   in Loop: Header=BB955_213 Depth=1
	s_or_b64 exec, exec, s[12:13]
	v_perm_b32 v63, v50, v46, s23
	v_perm_b32 v62, v37, v35, s23
	;; [unrolled: 1-line block ×4, first 2 shown]
	s_waitcnt vmcnt(1)
	v_cmp_ne_u16_sdwa s[14:15], v40, v47 src0_sel:BYTE_0 src1_sel:DWORD
	v_mfma_f32_16x16x16bf16_1k v[34:37], v[62:63], v[2:3], 0
	v_mfma_f32_16x16x16bf16_1k v[34:37], v[50:51], v[4:5], v[34:37]
	s_and_saveexec_b64 s[12:13], s[14:15]
	s_cbranch_execz .LBB955_267
; %bb.262:                              ;   in Loop: Header=BB955_213 Depth=1
	v_cmp_ne_u16_sdwa s[16:17], v40, s9 src0_sel:BYTE_0 src1_sel:DWORD
	v_mov_b32_e32 v44, 0xffff8000
	s_and_saveexec_b64 s[14:15], s[16:17]
	s_cbranch_execz .LBB955_266
; %bb.263:                              ;   in Loop: Header=BB955_213 Depth=1
	v_and_b32_e32 v42, 0x7f, v40
	v_cmp_ne_u32_e32 vcc, s21, v42
	v_mov_b32_e32 v44, 0x7f80
	s_and_saveexec_b64 s[16:17], vcc
	s_cbranch_execz .LBB955_265
; %bb.264:                              ;   in Loop: Header=BB955_213 Depth=1
	v_and_b32_e32 v44, 7, v40
	v_ffbh_u32_e32 v49, v44
	v_min_u32_e32 v49, 32, v49
	v_subrev_u32_e32 v50, 28, v49
	v_lshlrev_b64 v[50:51], v50, v[40:41]
	v_lshrrev_b32_e32 v46, 3, v42
	v_sub_u32_e32 v49, 29, v49
	v_and_b32_e32 v50, 7, v50
	v_cmp_gt_u32_e32 vcc, 8, v42
	v_cndmask_b32_e32 v42, v46, v49, vcc
	v_cndmask_b32_e32 v44, v44, v50, vcc
	v_lshlrev_b32_e32 v46, 24, v40
	v_lshlrev_b32_e32 v44, 20, v44
	v_and_b32_e32 v46, 0x80000000, v46
	v_lshl_add_u32 v42, v42, 23, v48
	v_or3_b32 v42, v46, v42, v44
	v_lshrrev_b32_e32 v44, 16, v42
.LBB955_265:                            ;   in Loop: Header=BB955_213 Depth=1
	s_or_b64 exec, exec, s[16:17]
.LBB955_266:                            ;   in Loop: Header=BB955_213 Depth=1
	s_or_b64 exec, exec, s[14:15]
.LBB955_267:                            ;   in Loop: Header=BB955_213 Depth=1
	s_or_b64 exec, exec, s[12:13]
	v_lshrrev_b16_e32 v42, 8, v40
	v_cmp_ne_u16_e32 vcc, 0, v42
	v_mov_b32_e32 v50, 0
	v_mov_b32_e32 v46, 0
	s_and_saveexec_b64 s[12:13], vcc
	s_cbranch_execz .LBB955_273
; %bb.268:                              ;   in Loop: Header=BB955_213 Depth=1
	v_cmp_ne_u16_e32 vcc, s9, v42
	v_mov_b32_e32 v46, 0xffff8000
	s_and_saveexec_b64 s[14:15], vcc
	s_cbranch_execz .LBB955_272
; %bb.269:                              ;   in Loop: Header=BB955_213 Depth=1
	v_and_b32_e32 v49, 0x7f, v42
	v_cmp_ne_u32_e32 vcc, s21, v49
	v_mov_b32_e32 v46, 0x7f80
	s_and_saveexec_b64 s[16:17], vcc
	s_cbranch_execz .LBB955_271
; %bb.270:                              ;   in Loop: Header=BB955_213 Depth=1
	v_and_b32_e32 v46, 7, v42
	v_ffbh_u32_e32 v52, v46
	v_min_u32_e32 v62, 32, v52
	v_subrev_u32_e32 v52, 28, v62
	v_lshlrev_b64 v[52:53], v52, v[42:43]
	v_lshrrev_b32_e32 v51, 3, v49
	v_sub_u32_e32 v42, 29, v62
	v_and_b32_e32 v52, 7, v52
	v_cmp_gt_u32_e32 vcc, 8, v49
	v_cndmask_b32_e32 v42, v51, v42, vcc
	v_cndmask_b32_e32 v46, v46, v52, vcc
	v_lshlrev_b32_e32 v49, 16, v40
	v_lshlrev_b32_e32 v46, 20, v46
	v_and_b32_e32 v49, 0x80000000, v49
	v_lshl_add_u32 v42, v42, 23, v48
	v_or3_b32 v42, v49, v42, v46
	v_lshrrev_b32_e32 v46, 16, v42
.LBB955_271:                            ;   in Loop: Header=BB955_213 Depth=1
	s_or_b64 exec, exec, s[16:17]
.LBB955_272:                            ;   in Loop: Header=BB955_213 Depth=1
	s_or_b64 exec, exec, s[14:15]
.LBB955_273:                            ;   in Loop: Header=BB955_213 Depth=1
	s_or_b64 exec, exec, s[12:13]
	v_lshrrev_b32_e32 v42, 16, v40
	v_cmp_ne_u16_sdwa s[14:15], v42, v47 src0_sel:BYTE_0 src1_sel:DWORD
	s_and_saveexec_b64 s[12:13], s[14:15]
	s_cbranch_execz .LBB955_279
; %bb.274:                              ;   in Loop: Header=BB955_213 Depth=1
	v_cmp_ne_u16_sdwa s[16:17], v42, s9 src0_sel:BYTE_0 src1_sel:DWORD
	v_mov_b32_e32 v50, 0xffff8000
	s_and_saveexec_b64 s[14:15], s[16:17]
	s_cbranch_execz .LBB955_278
; %bb.275:                              ;   in Loop: Header=BB955_213 Depth=1
	v_bfe_u32 v49, v40, 16, 7
	v_cmp_ne_u32_e32 vcc, s21, v49
	v_mov_b32_e32 v50, 0x7f80
	s_and_saveexec_b64 s[16:17], vcc
	s_cbranch_execz .LBB955_277
; %bb.276:                              ;   in Loop: Header=BB955_213 Depth=1
	v_and_b32_e32 v52, 7, v42
	v_ffbh_u32_e32 v50, v52
	v_min_u32_e32 v62, 32, v50
	v_subrev_u32_e32 v50, 28, v62
	v_lshlrev_b64 v[50:51], v50, v[42:43]
	v_lshrrev_b32_e32 v53, 3, v49
	v_sub_u32_e32 v51, 29, v62
	v_and_b32_e32 v50, 7, v50
	v_cmp_gt_u32_e32 vcc, 8, v49
	v_cndmask_b32_e32 v49, v53, v51, vcc
	v_cndmask_b32_e32 v50, v52, v50, vcc
	v_lshlrev_b32_e32 v42, 24, v42
	v_lshlrev_b32_e32 v50, 20, v50
	v_and_b32_e32 v42, 0x80000000, v42
	v_lshl_add_u32 v49, v49, 23, v48
	v_or3_b32 v42, v42, v49, v50
	v_lshrrev_b32_e32 v50, 16, v42
.LBB955_277:                            ;   in Loop: Header=BB955_213 Depth=1
	s_or_b64 exec, exec, s[16:17]
.LBB955_278:                            ;   in Loop: Header=BB955_213 Depth=1
	s_or_b64 exec, exec, s[14:15]
.LBB955_279:                            ;   in Loop: Header=BB955_213 Depth=1
	s_or_b64 exec, exec, s[12:13]
	v_cmp_lt_u32_e32 vcc, s22, v40
	v_mov_b32_e32 v51, 0
	v_mov_b32_e32 v52, 0
	s_and_saveexec_b64 s[12:13], vcc
	s_cbranch_execz .LBB955_285
; %bb.280:                              ;   in Loop: Header=BB955_213 Depth=1
	v_lshrrev_b32_e32 v42, 24, v40
	v_cmp_ne_u32_e32 vcc, s9, v42
	v_mov_b32_e32 v52, 0xffff8000
	s_and_saveexec_b64 s[14:15], vcc
	s_cbranch_execz .LBB955_284
; %bb.281:                              ;   in Loop: Header=BB955_213 Depth=1
	v_bfe_u32 v40, v40, 24, 7
	v_cmp_ne_u32_e32 vcc, s21, v40
	v_mov_b32_e32 v52, 0x7f80
	s_and_saveexec_b64 s[16:17], vcc
	s_cbranch_execz .LBB955_283
; %bb.282:                              ;   in Loop: Header=BB955_213 Depth=1
	v_and_b32_e32 v49, 7, v42
	v_ffbh_u32_e32 v52, v49
	v_min_u32_e32 v63, 32, v52
	v_subrev_u32_e32 v52, 28, v63
	v_lshlrev_b64 v[52:53], v52, v[42:43]
	v_lshrrev_b32_e32 v62, 3, v40
	v_sub_u32_e32 v53, 29, v63
	v_and_b32_e32 v52, 7, v52
	v_cmp_gt_u32_e32 vcc, 8, v40
	v_cndmask_b32_e32 v40, v62, v53, vcc
	v_cndmask_b32_e32 v49, v49, v52, vcc
	v_lshlrev_b32_e32 v42, 24, v42
	v_lshlrev_b32_e32 v49, 20, v49
	v_and_b32_e32 v42, 0x80000000, v42
	v_lshl_add_u32 v40, v40, 23, v48
	v_or3_b32 v40, v42, v40, v49
	v_lshrrev_b32_e32 v52, 16, v40
.LBB955_283:                            ;   in Loop: Header=BB955_213 Depth=1
	s_or_b64 exec, exec, s[16:17]
.LBB955_284:                            ;   in Loop: Header=BB955_213 Depth=1
	s_or_b64 exec, exec, s[14:15]
.LBB955_285:                            ;   in Loop: Header=BB955_213 Depth=1
	s_or_b64 exec, exec, s[12:13]
	s_waitcnt vmcnt(0)
	v_cmp_ne_u16_sdwa s[14:15], v38, v47 src0_sel:BYTE_0 src1_sel:DWORD
	s_and_saveexec_b64 s[12:13], s[14:15]
	s_cbranch_execz .LBB955_291
; %bb.286:                              ;   in Loop: Header=BB955_213 Depth=1
	v_cmp_ne_u16_sdwa s[16:17], v38, s9 src0_sel:BYTE_0 src1_sel:DWORD
	v_mov_b32_e32 v51, 0xffff8000
	s_and_saveexec_b64 s[14:15], s[16:17]
	s_cbranch_execz .LBB955_290
; %bb.287:                              ;   in Loop: Header=BB955_213 Depth=1
	v_and_b32_e32 v40, 0x7f, v38
	v_cmp_ne_u32_e32 vcc, s21, v40
	v_mov_b32_e32 v51, 0x7f80
	s_and_saveexec_b64 s[16:17], vcc
	s_cbranch_execz .LBB955_289
; %bb.288:                              ;   in Loop: Header=BB955_213 Depth=1
	v_and_b32_e32 v42, 7, v38
	v_ffbh_u32_e32 v51, v42
	v_min_u32_e32 v51, 32, v51
	v_subrev_u32_e32 v53, 28, v51
	v_lshlrev_b64 v[62:63], v53, v[38:39]
	v_lshrrev_b32_e32 v49, 3, v40
	v_sub_u32_e32 v51, 29, v51
	v_and_b32_e32 v53, 7, v62
	v_cmp_gt_u32_e32 vcc, 8, v40
	v_cndmask_b32_e32 v40, v49, v51, vcc
	v_cndmask_b32_e32 v42, v42, v53, vcc
	v_lshlrev_b32_e32 v49, 24, v38
	v_lshlrev_b32_e32 v42, 20, v42
	v_and_b32_e32 v49, 0x80000000, v49
	v_lshl_add_u32 v40, v40, 23, v48
	v_or3_b32 v40, v49, v40, v42
	v_lshrrev_b32_e32 v51, 16, v40
.LBB955_289:                            ;   in Loop: Header=BB955_213 Depth=1
	s_or_b64 exec, exec, s[16:17]
.LBB955_290:                            ;   in Loop: Header=BB955_213 Depth=1
	s_or_b64 exec, exec, s[14:15]
.LBB955_291:                            ;   in Loop: Header=BB955_213 Depth=1
	s_or_b64 exec, exec, s[12:13]
	v_lshrrev_b16_e32 v40, 8, v38
	v_cmp_ne_u16_e32 vcc, 0, v40
	v_mov_b32_e32 v62, 0
	v_mov_b32_e32 v53, 0
	s_and_saveexec_b64 s[12:13], vcc
	s_cbranch_execz .LBB955_297
; %bb.292:                              ;   in Loop: Header=BB955_213 Depth=1
	v_cmp_ne_u16_e32 vcc, s9, v40
	v_mov_b32_e32 v53, 0xffff8000
	s_and_saveexec_b64 s[14:15], vcc
	s_cbranch_execz .LBB955_296
; %bb.293:                              ;   in Loop: Header=BB955_213 Depth=1
	v_and_b32_e32 v42, 0x7f, v40
	v_cmp_ne_u32_e32 vcc, s21, v42
	v_mov_b32_e32 v53, 0x7f80
	s_and_saveexec_b64 s[16:17], vcc
	s_cbranch_execz .LBB955_295
; %bb.294:                              ;   in Loop: Header=BB955_213 Depth=1
	v_and_b32_e32 v49, 7, v40
	v_ffbh_u32_e32 v63, v49
	v_min_u32_e32 v63, 32, v63
	v_subrev_u32_e32 v64, 28, v63
	v_lshlrev_b64 v[64:65], v64, v[40:41]
	v_lshrrev_b32_e32 v53, 3, v42
	v_sub_u32_e32 v40, 29, v63
	v_and_b32_e32 v63, 7, v64
	v_cmp_gt_u32_e32 vcc, 8, v42
	v_cndmask_b32_e32 v40, v53, v40, vcc
	v_cndmask_b32_e32 v42, v49, v63, vcc
	v_lshlrev_b32_e32 v49, 16, v38
	v_lshlrev_b32_e32 v42, 20, v42
	v_and_b32_e32 v49, 0x80000000, v49
	v_lshl_add_u32 v40, v40, 23, v48
	v_or3_b32 v40, v49, v40, v42
	v_lshrrev_b32_e32 v53, 16, v40
.LBB955_295:                            ;   in Loop: Header=BB955_213 Depth=1
	s_or_b64 exec, exec, s[16:17]
.LBB955_296:                            ;   in Loop: Header=BB955_213 Depth=1
	s_or_b64 exec, exec, s[14:15]
.LBB955_297:                            ;   in Loop: Header=BB955_213 Depth=1
	s_or_b64 exec, exec, s[12:13]
	v_lshrrev_b32_e32 v40, 16, v38
	v_cmp_ne_u16_sdwa s[14:15], v40, v47 src0_sel:BYTE_0 src1_sel:DWORD
	s_and_saveexec_b64 s[12:13], s[14:15]
	s_cbranch_execz .LBB955_303
; %bb.298:                              ;   in Loop: Header=BB955_213 Depth=1
	v_cmp_ne_u16_sdwa s[16:17], v40, s9 src0_sel:BYTE_0 src1_sel:DWORD
	v_mov_b32_e32 v62, 0xffff8000
	s_and_saveexec_b64 s[14:15], s[16:17]
	s_cbranch_execz .LBB955_302
; %bb.299:                              ;   in Loop: Header=BB955_213 Depth=1
	v_bfe_u32 v42, v38, 16, 7
	v_cmp_ne_u32_e32 vcc, s21, v42
	v_mov_b32_e32 v62, 0x7f80
	s_and_saveexec_b64 s[16:17], vcc
	s_cbranch_execz .LBB955_301
; %bb.300:                              ;   in Loop: Header=BB955_213 Depth=1
	v_and_b32_e32 v49, 7, v40
	v_ffbh_u32_e32 v62, v49
	v_min_u32_e32 v65, 32, v62
	v_subrev_u32_e32 v62, 28, v65
	v_lshlrev_b64 v[62:63], v62, v[40:41]
	v_lshrrev_b32_e32 v64, 3, v42
	v_sub_u32_e32 v63, 29, v65
	v_and_b32_e32 v62, 7, v62
	v_cmp_gt_u32_e32 vcc, 8, v42
	v_cndmask_b32_e32 v42, v64, v63, vcc
	v_cndmask_b32_e32 v49, v49, v62, vcc
	v_lshlrev_b32_e32 v40, 24, v40
	v_lshlrev_b32_e32 v49, 20, v49
	v_and_b32_e32 v40, 0x80000000, v40
	v_lshl_add_u32 v42, v42, 23, v48
	v_or3_b32 v40, v40, v42, v49
	v_lshrrev_b32_e32 v62, 16, v40
.LBB955_301:                            ;   in Loop: Header=BB955_213 Depth=1
	s_or_b64 exec, exec, s[16:17]
.LBB955_302:                            ;   in Loop: Header=BB955_213 Depth=1
	s_or_b64 exec, exec, s[14:15]
.LBB955_303:                            ;   in Loop: Header=BB955_213 Depth=1
	s_or_b64 exec, exec, s[12:13]
	v_cmp_lt_u32_e32 vcc, s22, v38
	v_mov_b32_e32 v49, 0
	v_mov_b32_e32 v63, 0
	s_and_saveexec_b64 s[12:13], vcc
	s_cbranch_execz .LBB955_309
; %bb.304:                              ;   in Loop: Header=BB955_213 Depth=1
	v_lshrrev_b32_e32 v40, 24, v38
	v_cmp_ne_u32_e32 vcc, s9, v40
	v_mov_b32_e32 v63, 0xffff8000
	s_and_saveexec_b64 s[14:15], vcc
	s_cbranch_execz .LBB955_308
; %bb.305:                              ;   in Loop: Header=BB955_213 Depth=1
	v_bfe_u32 v38, v38, 24, 7
	v_cmp_ne_u32_e32 vcc, s21, v38
	v_mov_b32_e32 v63, 0x7f80
	s_and_saveexec_b64 s[16:17], vcc
	s_cbranch_execz .LBB955_307
; %bb.306:                              ;   in Loop: Header=BB955_213 Depth=1
	v_and_b32_e32 v42, 7, v40
	v_ffbh_u32_e32 v64, v42
	v_min_u32_e32 v66, 32, v64
	v_subrev_u32_e32 v64, 28, v66
	v_lshlrev_b64 v[64:65], v64, v[40:41]
	v_lshrrev_b32_e32 v63, 3, v38
	v_sub_u32_e32 v65, 29, v66
	v_and_b32_e32 v64, 7, v64
	v_cmp_gt_u32_e32 vcc, 8, v38
	v_cndmask_b32_e32 v38, v63, v65, vcc
	v_cndmask_b32_e32 v42, v42, v64, vcc
	v_lshlrev_b32_e32 v40, 24, v40
	v_lshlrev_b32_e32 v42, 20, v42
	v_and_b32_e32 v40, 0x80000000, v40
	v_lshl_add_u32 v38, v38, 23, v48
	v_or3_b32 v38, v40, v38, v42
	v_lshrrev_b32_e32 v63, 16, v38
.LBB955_307:                            ;   in Loop: Header=BB955_213 Depth=1
	s_or_b64 exec, exec, s[16:17]
.LBB955_308:                            ;   in Loop: Header=BB955_213 Depth=1
	s_or_b64 exec, exec, s[14:15]
.LBB955_309:                            ;   in Loop: Header=BB955_213 Depth=1
	s_or_b64 exec, exec, s[12:13]
	v_perm_b32 v64, v46, v44, s23
	buffer_load_dword v44, v61, s[0:3], 0 offen
	buffer_load_dword v42, v61, s[0:3], 0 offen offset:4
	buffer_load_dword v40, v61, s[0:3], 0 offen offset:8
	;; [unrolled: 1-line block ×3, first 2 shown]
	v_perm_b32 v65, v52, v50, s23
	v_perm_b32 v63, v63, v62, s23
	;; [unrolled: 1-line block ×3, first 2 shown]
	v_mfma_f32_16x16x16bf16_1k v[34:37], v[64:65], v[6:7], v[34:37]
	s_waitcnt vmcnt(3)
	v_cmp_ne_u16_sdwa s[14:15], v44, v47 src0_sel:BYTE_0 src1_sel:DWORD
	v_mfma_f32_16x16x16bf16_1k v[34:37], v[62:63], v[8:9], v[34:37]
	s_and_saveexec_b64 s[12:13], s[14:15]
	s_cbranch_execz .LBB955_315
; %bb.310:                              ;   in Loop: Header=BB955_213 Depth=1
	v_cmp_ne_u16_sdwa s[16:17], v44, s9 src0_sel:BYTE_0 src1_sel:DWORD
	v_mov_b32_e32 v49, 0xffff8000
	s_and_saveexec_b64 s[14:15], s[16:17]
	s_cbranch_execz .LBB955_314
; %bb.311:                              ;   in Loop: Header=BB955_213 Depth=1
	v_and_b32_e32 v46, 0x7f, v44
	v_cmp_ne_u32_e32 vcc, s21, v46
	v_mov_b32_e32 v49, 0x7f80
	s_and_saveexec_b64 s[16:17], vcc
	s_cbranch_execz .LBB955_313
; %bb.312:                              ;   in Loop: Header=BB955_213 Depth=1
	v_and_b32_e32 v49, 7, v44
	v_ffbh_u32_e32 v50, v49
	v_min_u32_e32 v53, 32, v50
	v_subrev_u32_e32 v50, 28, v53
	v_lshlrev_b64 v[50:51], v50, v[44:45]
	v_lshrrev_b32_e32 v52, 3, v46
	v_sub_u32_e32 v51, 29, v53
	v_and_b32_e32 v50, 7, v50
	v_cmp_gt_u32_e32 vcc, 8, v46
	v_cndmask_b32_e32 v46, v52, v51, vcc
	v_cndmask_b32_e32 v49, v49, v50, vcc
	v_lshlrev_b32_e32 v50, 24, v44
	v_lshlrev_b32_e32 v49, 20, v49
	v_and_b32_e32 v50, 0x80000000, v50
	v_lshl_add_u32 v46, v46, 23, v48
	v_or3_b32 v46, v50, v46, v49
	v_lshrrev_b32_e32 v49, 16, v46
.LBB955_313:                            ;   in Loop: Header=BB955_213 Depth=1
	s_or_b64 exec, exec, s[16:17]
.LBB955_314:                            ;   in Loop: Header=BB955_213 Depth=1
	s_or_b64 exec, exec, s[14:15]
.LBB955_315:                            ;   in Loop: Header=BB955_213 Depth=1
	s_or_b64 exec, exec, s[12:13]
	v_lshrrev_b16_e32 v46, 8, v44
	v_cmp_ne_u16_e32 vcc, 0, v46
	v_mov_b32_e32 v51, 0
	v_mov_b32_e32 v50, 0
	s_and_saveexec_b64 s[12:13], vcc
	s_cbranch_execz .LBB955_321
; %bb.316:                              ;   in Loop: Header=BB955_213 Depth=1
	v_cmp_ne_u16_e32 vcc, s9, v46
	v_mov_b32_e32 v50, 0xffff8000
	s_and_saveexec_b64 s[14:15], vcc
	s_cbranch_execz .LBB955_320
; %bb.317:                              ;   in Loop: Header=BB955_213 Depth=1
	v_and_b32_e32 v52, 0x7f, v46
	v_cmp_ne_u32_e32 vcc, s21, v52
	v_mov_b32_e32 v50, 0x7f80
	s_and_saveexec_b64 s[16:17], vcc
	s_cbranch_execz .LBB955_319
; %bb.318:                              ;   in Loop: Header=BB955_213 Depth=1
	v_and_b32_e32 v50, 7, v46
	v_ffbh_u32_e32 v61, v50
	v_min_u32_e32 v61, 32, v61
	v_subrev_u32_e32 v62, 28, v61
	v_lshlrev_b64 v[62:63], v62, v[46:47]
	v_lshrrev_b32_e32 v53, 3, v52
	v_sub_u32_e32 v46, 29, v61
	v_and_b32_e32 v61, 7, v62
	v_cmp_gt_u32_e32 vcc, 8, v52
	v_cndmask_b32_e32 v46, v53, v46, vcc
	v_cndmask_b32_e32 v50, v50, v61, vcc
	v_lshlrev_b32_e32 v52, 16, v44
	v_lshlrev_b32_e32 v50, 20, v50
	v_and_b32_e32 v52, 0x80000000, v52
	v_lshl_add_u32 v46, v46, 23, v48
	v_or3_b32 v46, v52, v46, v50
	v_lshrrev_b32_e32 v50, 16, v46
.LBB955_319:                            ;   in Loop: Header=BB955_213 Depth=1
	s_or_b64 exec, exec, s[16:17]
.LBB955_320:                            ;   in Loop: Header=BB955_213 Depth=1
	s_or_b64 exec, exec, s[14:15]
.LBB955_321:                            ;   in Loop: Header=BB955_213 Depth=1
	s_or_b64 exec, exec, s[12:13]
	v_lshrrev_b32_e32 v46, 16, v44
	v_cmp_ne_u16_sdwa s[14:15], v46, v47 src0_sel:BYTE_0 src1_sel:DWORD
	s_and_saveexec_b64 s[12:13], s[14:15]
	s_cbranch_execz .LBB955_327
; %bb.322:                              ;   in Loop: Header=BB955_213 Depth=1
	v_cmp_ne_u16_sdwa s[16:17], v46, s9 src0_sel:BYTE_0 src1_sel:DWORD
	v_mov_b32_e32 v51, 0xffff8000
	s_and_saveexec_b64 s[14:15], s[16:17]
	s_cbranch_execz .LBB955_326
; %bb.323:                              ;   in Loop: Header=BB955_213 Depth=1
	v_bfe_u32 v52, v44, 16, 7
	v_cmp_ne_u32_e32 vcc, s21, v52
	v_mov_b32_e32 v51, 0x7f80
	s_and_saveexec_b64 s[16:17], vcc
	s_cbranch_execz .LBB955_325
; %bb.324:                              ;   in Loop: Header=BB955_213 Depth=1
	v_and_b32_e32 v51, 7, v46
	v_ffbh_u32_e32 v61, v51
	v_min_u32_e32 v61, 32, v61
	v_subrev_u32_e32 v62, 28, v61
	v_lshlrev_b64 v[62:63], v62, v[46:47]
	v_lshrrev_b32_e32 v53, 3, v52
	v_sub_u32_e32 v61, 29, v61
	v_and_b32_e32 v62, 7, v62
	v_cmp_gt_u32_e32 vcc, 8, v52
	v_cndmask_b32_e32 v52, v53, v61, vcc
	v_cndmask_b32_e32 v51, v51, v62, vcc
	v_lshlrev_b32_e32 v46, 24, v46
	v_lshlrev_b32_e32 v51, 20, v51
	v_and_b32_e32 v46, 0x80000000, v46
	v_lshl_add_u32 v52, v52, 23, v48
	v_or3_b32 v46, v46, v52, v51
	v_lshrrev_b32_e32 v51, 16, v46
.LBB955_325:                            ;   in Loop: Header=BB955_213 Depth=1
	s_or_b64 exec, exec, s[16:17]
.LBB955_326:                            ;   in Loop: Header=BB955_213 Depth=1
	s_or_b64 exec, exec, s[14:15]
.LBB955_327:                            ;   in Loop: Header=BB955_213 Depth=1
	s_or_b64 exec, exec, s[12:13]
	v_cmp_lt_u32_e32 vcc, s22, v44
	v_mov_b32_e32 v52, 0
	v_mov_b32_e32 v53, 0
	s_and_saveexec_b64 s[12:13], vcc
	s_cbranch_execz .LBB955_333
; %bb.328:                              ;   in Loop: Header=BB955_213 Depth=1
	v_lshrrev_b32_e32 v46, 24, v44
	v_cmp_ne_u32_e32 vcc, s9, v46
	v_mov_b32_e32 v53, 0xffff8000
	s_and_saveexec_b64 s[14:15], vcc
	s_cbranch_execz .LBB955_332
; %bb.329:                              ;   in Loop: Header=BB955_213 Depth=1
	v_bfe_u32 v44, v44, 24, 7
	v_cmp_ne_u32_e32 vcc, s21, v44
	v_mov_b32_e32 v53, 0x7f80
	s_and_saveexec_b64 s[16:17], vcc
	s_cbranch_execz .LBB955_331
; %bb.330:                              ;   in Loop: Header=BB955_213 Depth=1
	v_and_b32_e32 v53, 7, v46
	v_ffbh_u32_e32 v62, v53
	v_min_u32_e32 v64, 32, v62
	v_subrev_u32_e32 v62, 28, v64
	v_lshlrev_b64 v[62:63], v62, v[46:47]
	v_lshrrev_b32_e32 v61, 3, v44
	v_sub_u32_e32 v63, 29, v64
	v_and_b32_e32 v62, 7, v62
	v_cmp_gt_u32_e32 vcc, 8, v44
	v_cndmask_b32_e32 v44, v61, v63, vcc
	v_cndmask_b32_e32 v53, v53, v62, vcc
	v_lshlrev_b32_e32 v46, 24, v46
	v_lshlrev_b32_e32 v53, 20, v53
	v_and_b32_e32 v46, 0x80000000, v46
	v_lshl_add_u32 v44, v44, 23, v48
	v_or3_b32 v44, v46, v44, v53
	v_lshrrev_b32_e32 v53, 16, v44
.LBB955_331:                            ;   in Loop: Header=BB955_213 Depth=1
	s_or_b64 exec, exec, s[16:17]
.LBB955_332:                            ;   in Loop: Header=BB955_213 Depth=1
	s_or_b64 exec, exec, s[14:15]
.LBB955_333:                            ;   in Loop: Header=BB955_213 Depth=1
	s_or_b64 exec, exec, s[12:13]
	s_waitcnt vmcnt(2)
	v_cmp_ne_u16_sdwa s[14:15], v42, v47 src0_sel:BYTE_0 src1_sel:DWORD
	s_and_saveexec_b64 s[12:13], s[14:15]
	s_cbranch_execz .LBB955_339
; %bb.334:                              ;   in Loop: Header=BB955_213 Depth=1
	v_cmp_ne_u16_sdwa s[16:17], v42, s9 src0_sel:BYTE_0 src1_sel:DWORD
	v_mov_b32_e32 v52, 0xffff8000
	s_and_saveexec_b64 s[14:15], s[16:17]
	s_cbranch_execz .LBB955_338
; %bb.335:                              ;   in Loop: Header=BB955_213 Depth=1
	v_and_b32_e32 v44, 0x7f, v42
	v_cmp_ne_u32_e32 vcc, s21, v44
	v_mov_b32_e32 v52, 0x7f80
	s_and_saveexec_b64 s[16:17], vcc
	s_cbranch_execz .LBB955_337
; %bb.336:                              ;   in Loop: Header=BB955_213 Depth=1
	v_and_b32_e32 v46, 7, v42
	v_ffbh_u32_e32 v61, v46
	v_min_u32_e32 v61, 32, v61
	v_subrev_u32_e32 v62, 28, v61
	v_lshlrev_b64 v[62:63], v62, v[42:43]
	v_lshrrev_b32_e32 v52, 3, v44
	v_sub_u32_e32 v61, 29, v61
	v_and_b32_e32 v62, 7, v62
	v_cmp_gt_u32_e32 vcc, 8, v44
	v_cndmask_b32_e32 v44, v52, v61, vcc
	v_cndmask_b32_e32 v46, v46, v62, vcc
	v_lshlrev_b32_e32 v52, 24, v42
	v_lshlrev_b32_e32 v46, 20, v46
	v_and_b32_e32 v52, 0x80000000, v52
	v_lshl_add_u32 v44, v44, 23, v48
	v_or3_b32 v44, v52, v44, v46
	v_lshrrev_b32_e32 v52, 16, v44
.LBB955_337:                            ;   in Loop: Header=BB955_213 Depth=1
	s_or_b64 exec, exec, s[16:17]
.LBB955_338:                            ;   in Loop: Header=BB955_213 Depth=1
	s_or_b64 exec, exec, s[14:15]
.LBB955_339:                            ;   in Loop: Header=BB955_213 Depth=1
	s_or_b64 exec, exec, s[12:13]
	v_lshrrev_b16_e32 v44, 8, v42
	v_cmp_ne_u16_e32 vcc, 0, v44
	v_mov_b32_e32 v62, 0
	v_mov_b32_e32 v61, 0
	s_and_saveexec_b64 s[12:13], vcc
	s_cbranch_execz .LBB955_345
; %bb.340:                              ;   in Loop: Header=BB955_213 Depth=1
	v_cmp_ne_u16_e32 vcc, s9, v44
	v_mov_b32_e32 v61, 0xffff8000
	s_and_saveexec_b64 s[14:15], vcc
	s_cbranch_execz .LBB955_344
; %bb.341:                              ;   in Loop: Header=BB955_213 Depth=1
	v_and_b32_e32 v46, 0x7f, v44
	v_cmp_ne_u32_e32 vcc, s21, v46
	v_mov_b32_e32 v61, 0x7f80
	s_and_saveexec_b64 s[16:17], vcc
	s_cbranch_execz .LBB955_343
; %bb.342:                              ;   in Loop: Header=BB955_213 Depth=1
	v_and_b32_e32 v61, 7, v44
	v_ffbh_u32_e32 v64, v61
	v_min_u32_e32 v66, 32, v64
	v_subrev_u32_e32 v64, 28, v66
	v_lshlrev_b64 v[64:65], v64, v[44:45]
	v_lshrrev_b32_e32 v63, 3, v46
	v_sub_u32_e32 v44, 29, v66
	v_and_b32_e32 v64, 7, v64
	v_cmp_gt_u32_e32 vcc, 8, v46
	v_cndmask_b32_e32 v44, v63, v44, vcc
	v_cndmask_b32_e32 v46, v61, v64, vcc
	v_lshlrev_b32_e32 v61, 16, v42
	v_lshlrev_b32_e32 v46, 20, v46
	v_and_b32_e32 v61, 0x80000000, v61
	v_lshl_add_u32 v44, v44, 23, v48
	v_or3_b32 v44, v61, v44, v46
	v_lshrrev_b32_e32 v61, 16, v44
.LBB955_343:                            ;   in Loop: Header=BB955_213 Depth=1
	s_or_b64 exec, exec, s[16:17]
.LBB955_344:                            ;   in Loop: Header=BB955_213 Depth=1
	s_or_b64 exec, exec, s[14:15]
.LBB955_345:                            ;   in Loop: Header=BB955_213 Depth=1
	s_or_b64 exec, exec, s[12:13]
	v_lshrrev_b32_e32 v44, 16, v42
	v_cmp_ne_u16_sdwa s[14:15], v44, v47 src0_sel:BYTE_0 src1_sel:DWORD
	s_and_saveexec_b64 s[12:13], s[14:15]
	s_cbranch_execz .LBB955_351
; %bb.346:                              ;   in Loop: Header=BB955_213 Depth=1
	v_cmp_ne_u16_sdwa s[16:17], v44, s9 src0_sel:BYTE_0 src1_sel:DWORD
	v_mov_b32_e32 v62, 0xffff8000
	s_and_saveexec_b64 s[14:15], s[16:17]
	s_cbranch_execz .LBB955_350
; %bb.347:                              ;   in Loop: Header=BB955_213 Depth=1
	v_bfe_u32 v46, v42, 16, 7
	v_cmp_ne_u32_e32 vcc, s21, v46
	v_mov_b32_e32 v62, 0x7f80
	s_and_saveexec_b64 s[16:17], vcc
	s_cbranch_execz .LBB955_349
; %bb.348:                              ;   in Loop: Header=BB955_213 Depth=1
	v_and_b32_e32 v64, 7, v44
	v_ffbh_u32_e32 v62, v64
	v_min_u32_e32 v66, 32, v62
	v_subrev_u32_e32 v62, 28, v66
	v_lshlrev_b64 v[62:63], v62, v[44:45]
	v_lshrrev_b32_e32 v65, 3, v46
	v_sub_u32_e32 v63, 29, v66
	v_and_b32_e32 v62, 7, v62
	v_cmp_gt_u32_e32 vcc, 8, v46
	v_cndmask_b32_e32 v46, v65, v63, vcc
	v_cndmask_b32_e32 v62, v64, v62, vcc
	v_lshlrev_b32_e32 v44, 24, v44
	v_lshlrev_b32_e32 v62, 20, v62
	v_and_b32_e32 v44, 0x80000000, v44
	v_lshl_add_u32 v46, v46, 23, v48
	v_or3_b32 v44, v44, v46, v62
	v_lshrrev_b32_e32 v62, 16, v44
.LBB955_349:                            ;   in Loop: Header=BB955_213 Depth=1
	s_or_b64 exec, exec, s[16:17]
.LBB955_350:                            ;   in Loop: Header=BB955_213 Depth=1
	s_or_b64 exec, exec, s[14:15]
.LBB955_351:                            ;   in Loop: Header=BB955_213 Depth=1
	s_or_b64 exec, exec, s[12:13]
	v_cmp_lt_u32_e32 vcc, s22, v42
	v_mov_b32_e32 v46, 0
	v_mov_b32_e32 v63, 0
	s_and_saveexec_b64 s[12:13], vcc
	s_cbranch_execz .LBB955_357
; %bb.352:                              ;   in Loop: Header=BB955_213 Depth=1
	v_lshrrev_b32_e32 v44, 24, v42
	v_cmp_ne_u32_e32 vcc, s9, v44
	v_mov_b32_e32 v63, 0xffff8000
	s_and_saveexec_b64 s[14:15], vcc
	s_cbranch_execz .LBB955_356
; %bb.353:                              ;   in Loop: Header=BB955_213 Depth=1
	v_bfe_u32 v42, v42, 24, 7
	v_cmp_ne_u32_e32 vcc, s21, v42
	v_mov_b32_e32 v63, 0x7f80
	s_and_saveexec_b64 s[16:17], vcc
	s_cbranch_execz .LBB955_355
; %bb.354:                              ;   in Loop: Header=BB955_213 Depth=1
	v_and_b32_e32 v63, 7, v44
	v_ffbh_u32_e32 v64, v63
	v_min_u32_e32 v67, 32, v64
	v_subrev_u32_e32 v64, 28, v67
	v_lshlrev_b64 v[64:65], v64, v[44:45]
	v_lshrrev_b32_e32 v66, 3, v42
	v_sub_u32_e32 v65, 29, v67
	v_and_b32_e32 v64, 7, v64
	v_cmp_gt_u32_e32 vcc, 8, v42
	v_cndmask_b32_e32 v42, v66, v65, vcc
	v_cndmask_b32_e32 v63, v63, v64, vcc
	v_lshlrev_b32_e32 v44, 24, v44
	v_lshlrev_b32_e32 v63, 20, v63
	v_and_b32_e32 v44, 0x80000000, v44
	v_lshl_add_u32 v42, v42, 23, v48
	v_or3_b32 v42, v44, v42, v63
	v_lshrrev_b32_e32 v63, 16, v42
.LBB955_355:                            ;   in Loop: Header=BB955_213 Depth=1
	s_or_b64 exec, exec, s[16:17]
.LBB955_356:                            ;   in Loop: Header=BB955_213 Depth=1
	s_or_b64 exec, exec, s[14:15]
.LBB955_357:                            ;   in Loop: Header=BB955_213 Depth=1
	s_or_b64 exec, exec, s[12:13]
	v_perm_b32 v51, v53, v51, s23
	v_perm_b32 v50, v50, v49, s23
	s_waitcnt vmcnt(1)
	v_cmp_ne_u16_sdwa s[14:15], v40, v47 src0_sel:BYTE_0 src1_sel:DWORD
	v_mfma_f32_16x16x16bf16_1k v[34:37], v[50:51], v[10:11], v[34:37]
	v_perm_b32 v51, v63, v62, s23
	v_perm_b32 v50, v61, v52, s23
	s_nop 1
	v_mfma_f32_16x16x16bf16_1k v[34:37], v[50:51], v[12:13], v[34:37]
	s_and_saveexec_b64 s[12:13], s[14:15]
	s_cbranch_execz .LBB955_363
; %bb.358:                              ;   in Loop: Header=BB955_213 Depth=1
	v_cmp_ne_u16_sdwa s[16:17], v40, s9 src0_sel:BYTE_0 src1_sel:DWORD
	v_mov_b32_e32 v46, 0xffff8000
	s_and_saveexec_b64 s[14:15], s[16:17]
	s_cbranch_execz .LBB955_362
; %bb.359:                              ;   in Loop: Header=BB955_213 Depth=1
	v_and_b32_e32 v42, 0x7f, v40
	v_cmp_ne_u32_e32 vcc, s21, v42
	v_mov_b32_e32 v46, 0x7f80
	s_and_saveexec_b64 s[16:17], vcc
	s_cbranch_execz .LBB955_361
; %bb.360:                              ;   in Loop: Header=BB955_213 Depth=1
	v_and_b32_e32 v44, 7, v40
	v_ffbh_u32_e32 v49, v44
	v_min_u32_e32 v49, 32, v49
	v_subrev_u32_e32 v50, 28, v49
	v_lshlrev_b64 v[50:51], v50, v[40:41]
	v_lshrrev_b32_e32 v46, 3, v42
	v_sub_u32_e32 v49, 29, v49
	v_and_b32_e32 v50, 7, v50
	v_cmp_gt_u32_e32 vcc, 8, v42
	v_cndmask_b32_e32 v42, v46, v49, vcc
	v_cndmask_b32_e32 v44, v44, v50, vcc
	v_lshlrev_b32_e32 v46, 24, v40
	v_lshlrev_b32_e32 v44, 20, v44
	v_and_b32_e32 v46, 0x80000000, v46
	v_lshl_add_u32 v42, v42, 23, v48
	v_or3_b32 v42, v46, v42, v44
	v_lshrrev_b32_e32 v46, 16, v42
.LBB955_361:                            ;   in Loop: Header=BB955_213 Depth=1
	s_or_b64 exec, exec, s[16:17]
.LBB955_362:                            ;   in Loop: Header=BB955_213 Depth=1
	s_or_b64 exec, exec, s[14:15]
.LBB955_363:                            ;   in Loop: Header=BB955_213 Depth=1
	s_or_b64 exec, exec, s[12:13]
	v_lshrrev_b16_e32 v42, 8, v40
	v_cmp_ne_u16_e32 vcc, 0, v42
	v_mov_b32_e32 v50, 0
	v_mov_b32_e32 v44, 0
	s_and_saveexec_b64 s[12:13], vcc
	s_cbranch_execz .LBB955_369
; %bb.364:                              ;   in Loop: Header=BB955_213 Depth=1
	v_cmp_ne_u16_e32 vcc, s9, v42
	v_mov_b32_e32 v44, 0xffff8000
	s_and_saveexec_b64 s[14:15], vcc
	s_cbranch_execz .LBB955_368
; %bb.365:                              ;   in Loop: Header=BB955_213 Depth=1
	v_and_b32_e32 v49, 0x7f, v42
	v_cmp_ne_u32_e32 vcc, s21, v49
	v_mov_b32_e32 v44, 0x7f80
	s_and_saveexec_b64 s[16:17], vcc
	s_cbranch_execz .LBB955_367
; %bb.366:                              ;   in Loop: Header=BB955_213 Depth=1
	v_and_b32_e32 v44, 7, v42
	v_ffbh_u32_e32 v52, v44
	v_min_u32_e32 v61, 32, v52
	v_subrev_u32_e32 v52, 28, v61
	v_lshlrev_b64 v[52:53], v52, v[42:43]
	v_lshrrev_b32_e32 v51, 3, v49
	v_sub_u32_e32 v42, 29, v61
	v_and_b32_e32 v52, 7, v52
	v_cmp_gt_u32_e32 vcc, 8, v49
	v_cndmask_b32_e32 v42, v51, v42, vcc
	v_cndmask_b32_e32 v44, v44, v52, vcc
	v_lshlrev_b32_e32 v49, 16, v40
	v_lshlrev_b32_e32 v44, 20, v44
	v_and_b32_e32 v49, 0x80000000, v49
	v_lshl_add_u32 v42, v42, 23, v48
	v_or3_b32 v42, v49, v42, v44
	v_lshrrev_b32_e32 v44, 16, v42
.LBB955_367:                            ;   in Loop: Header=BB955_213 Depth=1
	s_or_b64 exec, exec, s[16:17]
.LBB955_368:                            ;   in Loop: Header=BB955_213 Depth=1
	s_or_b64 exec, exec, s[14:15]
.LBB955_369:                            ;   in Loop: Header=BB955_213 Depth=1
	s_or_b64 exec, exec, s[12:13]
	v_lshrrev_b32_e32 v42, 16, v40
	v_cmp_ne_u16_sdwa s[14:15], v42, v47 src0_sel:BYTE_0 src1_sel:DWORD
	s_and_saveexec_b64 s[12:13], s[14:15]
	s_cbranch_execz .LBB955_375
; %bb.370:                              ;   in Loop: Header=BB955_213 Depth=1
	v_cmp_ne_u16_sdwa s[16:17], v42, s9 src0_sel:BYTE_0 src1_sel:DWORD
	v_mov_b32_e32 v50, 0xffff8000
	s_and_saveexec_b64 s[14:15], s[16:17]
	s_cbranch_execz .LBB955_374
; %bb.371:                              ;   in Loop: Header=BB955_213 Depth=1
	v_bfe_u32 v49, v40, 16, 7
	v_cmp_ne_u32_e32 vcc, s21, v49
	v_mov_b32_e32 v50, 0x7f80
	s_and_saveexec_b64 s[16:17], vcc
	s_cbranch_execz .LBB955_373
; %bb.372:                              ;   in Loop: Header=BB955_213 Depth=1
	v_and_b32_e32 v52, 7, v42
	v_ffbh_u32_e32 v50, v52
	v_min_u32_e32 v61, 32, v50
	v_subrev_u32_e32 v50, 28, v61
	v_lshlrev_b64 v[50:51], v50, v[42:43]
	v_lshrrev_b32_e32 v53, 3, v49
	v_sub_u32_e32 v51, 29, v61
	v_and_b32_e32 v50, 7, v50
	v_cmp_gt_u32_e32 vcc, 8, v49
	v_cndmask_b32_e32 v49, v53, v51, vcc
	v_cndmask_b32_e32 v50, v52, v50, vcc
	v_lshlrev_b32_e32 v42, 24, v42
	v_lshlrev_b32_e32 v50, 20, v50
	v_and_b32_e32 v42, 0x80000000, v42
	v_lshl_add_u32 v49, v49, 23, v48
	v_or3_b32 v42, v42, v49, v50
	v_lshrrev_b32_e32 v50, 16, v42
.LBB955_373:                            ;   in Loop: Header=BB955_213 Depth=1
	s_or_b64 exec, exec, s[16:17]
.LBB955_374:                            ;   in Loop: Header=BB955_213 Depth=1
	s_or_b64 exec, exec, s[14:15]
.LBB955_375:                            ;   in Loop: Header=BB955_213 Depth=1
	s_or_b64 exec, exec, s[12:13]
	v_cmp_lt_u32_e32 vcc, s22, v40
	v_mov_b32_e32 v51, 0
	v_mov_b32_e32 v52, 0
	s_and_saveexec_b64 s[12:13], vcc
	s_cbranch_execz .LBB955_381
; %bb.376:                              ;   in Loop: Header=BB955_213 Depth=1
	v_lshrrev_b32_e32 v42, 24, v40
	v_cmp_ne_u32_e32 vcc, s9, v42
	v_mov_b32_e32 v52, 0xffff8000
	s_and_saveexec_b64 s[14:15], vcc
	s_cbranch_execz .LBB955_380
; %bb.377:                              ;   in Loop: Header=BB955_213 Depth=1
	v_bfe_u32 v40, v40, 24, 7
	v_cmp_ne_u32_e32 vcc, s21, v40
	v_mov_b32_e32 v52, 0x7f80
	s_and_saveexec_b64 s[16:17], vcc
	s_cbranch_execz .LBB955_379
; %bb.378:                              ;   in Loop: Header=BB955_213 Depth=1
	v_and_b32_e32 v49, 7, v42
	v_ffbh_u32_e32 v52, v49
	v_min_u32_e32 v62, 32, v52
	v_subrev_u32_e32 v52, 28, v62
	v_lshlrev_b64 v[52:53], v52, v[42:43]
	v_lshrrev_b32_e32 v61, 3, v40
	v_sub_u32_e32 v53, 29, v62
	v_and_b32_e32 v52, 7, v52
	v_cmp_gt_u32_e32 vcc, 8, v40
	v_cndmask_b32_e32 v40, v61, v53, vcc
	v_cndmask_b32_e32 v49, v49, v52, vcc
	v_lshlrev_b32_e32 v42, 24, v42
	v_lshlrev_b32_e32 v49, 20, v49
	v_and_b32_e32 v42, 0x80000000, v42
	v_lshl_add_u32 v40, v40, 23, v48
	v_or3_b32 v40, v42, v40, v49
	v_lshrrev_b32_e32 v52, 16, v40
.LBB955_379:                            ;   in Loop: Header=BB955_213 Depth=1
	s_or_b64 exec, exec, s[16:17]
.LBB955_380:                            ;   in Loop: Header=BB955_213 Depth=1
	s_or_b64 exec, exec, s[14:15]
.LBB955_381:                            ;   in Loop: Header=BB955_213 Depth=1
	s_or_b64 exec, exec, s[12:13]
	s_waitcnt vmcnt(0)
	v_cmp_ne_u16_sdwa s[14:15], v38, v47 src0_sel:BYTE_0 src1_sel:DWORD
	s_and_saveexec_b64 s[12:13], s[14:15]
	s_cbranch_execz .LBB955_387
; %bb.382:                              ;   in Loop: Header=BB955_213 Depth=1
	v_cmp_ne_u16_sdwa s[16:17], v38, s9 src0_sel:BYTE_0 src1_sel:DWORD
	v_mov_b32_e32 v51, 0xffff8000
	s_and_saveexec_b64 s[14:15], s[16:17]
	s_cbranch_execz .LBB955_386
; %bb.383:                              ;   in Loop: Header=BB955_213 Depth=1
	v_and_b32_e32 v40, 0x7f, v38
	v_cmp_ne_u32_e32 vcc, s21, v40
	v_mov_b32_e32 v51, 0x7f80
	s_and_saveexec_b64 s[16:17], vcc
	s_cbranch_execz .LBB955_385
; %bb.384:                              ;   in Loop: Header=BB955_213 Depth=1
	v_and_b32_e32 v42, 7, v38
	v_ffbh_u32_e32 v51, v42
	v_min_u32_e32 v51, 32, v51
	v_subrev_u32_e32 v53, 28, v51
	v_lshlrev_b64 v[62:63], v53, v[38:39]
	v_lshrrev_b32_e32 v49, 3, v40
	v_sub_u32_e32 v51, 29, v51
	v_and_b32_e32 v53, 7, v62
	v_cmp_gt_u32_e32 vcc, 8, v40
	v_cndmask_b32_e32 v40, v49, v51, vcc
	v_cndmask_b32_e32 v42, v42, v53, vcc
	v_lshlrev_b32_e32 v49, 24, v38
	v_lshlrev_b32_e32 v42, 20, v42
	v_and_b32_e32 v49, 0x80000000, v49
	v_lshl_add_u32 v40, v40, 23, v48
	v_or3_b32 v40, v49, v40, v42
	v_lshrrev_b32_e32 v51, 16, v40
.LBB955_385:                            ;   in Loop: Header=BB955_213 Depth=1
	s_or_b64 exec, exec, s[16:17]
.LBB955_386:                            ;   in Loop: Header=BB955_213 Depth=1
	s_or_b64 exec, exec, s[14:15]
.LBB955_387:                            ;   in Loop: Header=BB955_213 Depth=1
	s_or_b64 exec, exec, s[12:13]
	v_lshrrev_b16_e32 v40, 8, v38
	v_cmp_ne_u16_e32 vcc, 0, v40
	v_mov_b32_e32 v61, 0
	v_mov_b32_e32 v53, 0
	s_and_saveexec_b64 s[12:13], vcc
	s_cbranch_execz .LBB955_393
; %bb.388:                              ;   in Loop: Header=BB955_213 Depth=1
	v_cmp_ne_u16_e32 vcc, s9, v40
	v_mov_b32_e32 v53, 0xffff8000
	s_and_saveexec_b64 s[14:15], vcc
	s_cbranch_execz .LBB955_392
; %bb.389:                              ;   in Loop: Header=BB955_213 Depth=1
	v_and_b32_e32 v42, 0x7f, v40
	v_cmp_ne_u32_e32 vcc, s21, v42
	v_mov_b32_e32 v53, 0x7f80
	s_and_saveexec_b64 s[16:17], vcc
	s_cbranch_execz .LBB955_391
; %bb.390:                              ;   in Loop: Header=BB955_213 Depth=1
	v_and_b32_e32 v49, 7, v40
	v_ffbh_u32_e32 v62, v49
	v_min_u32_e32 v64, 32, v62
	v_subrev_u32_e32 v62, 28, v64
	v_lshlrev_b64 v[62:63], v62, v[40:41]
	v_lshrrev_b32_e32 v53, 3, v42
	v_sub_u32_e32 v40, 29, v64
	v_and_b32_e32 v62, 7, v62
	v_cmp_gt_u32_e32 vcc, 8, v42
	v_cndmask_b32_e32 v40, v53, v40, vcc
	v_cndmask_b32_e32 v42, v49, v62, vcc
	v_lshlrev_b32_e32 v49, 16, v38
	v_lshlrev_b32_e32 v42, 20, v42
	v_and_b32_e32 v49, 0x80000000, v49
	v_lshl_add_u32 v40, v40, 23, v48
	v_or3_b32 v40, v49, v40, v42
	v_lshrrev_b32_e32 v53, 16, v40
.LBB955_391:                            ;   in Loop: Header=BB955_213 Depth=1
	s_or_b64 exec, exec, s[16:17]
.LBB955_392:                            ;   in Loop: Header=BB955_213 Depth=1
	s_or_b64 exec, exec, s[14:15]
.LBB955_393:                            ;   in Loop: Header=BB955_213 Depth=1
	s_or_b64 exec, exec, s[12:13]
	v_lshrrev_b32_e32 v40, 16, v38
	v_cmp_ne_u16_sdwa s[14:15], v40, v47 src0_sel:BYTE_0 src1_sel:DWORD
	s_and_saveexec_b64 s[12:13], s[14:15]
	s_cbranch_execz .LBB955_399
; %bb.394:                              ;   in Loop: Header=BB955_213 Depth=1
	v_cmp_ne_u16_sdwa s[16:17], v40, s9 src0_sel:BYTE_0 src1_sel:DWORD
	v_mov_b32_e32 v61, 0xffff8000
	s_and_saveexec_b64 s[14:15], s[16:17]
	s_cbranch_execz .LBB955_398
; %bb.395:                              ;   in Loop: Header=BB955_213 Depth=1
	v_bfe_u32 v42, v38, 16, 7
	v_cmp_ne_u32_e32 vcc, s21, v42
	v_mov_b32_e32 v61, 0x7f80
	s_and_saveexec_b64 s[16:17], vcc
	s_cbranch_execz .LBB955_397
; %bb.396:                              ;   in Loop: Header=BB955_213 Depth=1
	v_and_b32_e32 v49, 7, v40
	v_ffbh_u32_e32 v62, v49
	v_min_u32_e32 v64, 32, v62
	v_subrev_u32_e32 v62, 28, v64
	v_lshlrev_b64 v[62:63], v62, v[40:41]
	v_lshrrev_b32_e32 v61, 3, v42
	v_sub_u32_e32 v63, 29, v64
	v_and_b32_e32 v62, 7, v62
	v_cmp_gt_u32_e32 vcc, 8, v42
	v_cndmask_b32_e32 v42, v61, v63, vcc
	v_cndmask_b32_e32 v49, v49, v62, vcc
	v_lshlrev_b32_e32 v40, 24, v40
	v_lshlrev_b32_e32 v49, 20, v49
	v_and_b32_e32 v40, 0x80000000, v40
	v_lshl_add_u32 v42, v42, 23, v48
	v_or3_b32 v40, v40, v42, v49
	v_lshrrev_b32_e32 v61, 16, v40
.LBB955_397:                            ;   in Loop: Header=BB955_213 Depth=1
	s_or_b64 exec, exec, s[16:17]
.LBB955_398:                            ;   in Loop: Header=BB955_213 Depth=1
	s_or_b64 exec, exec, s[14:15]
.LBB955_399:                            ;   in Loop: Header=BB955_213 Depth=1
	s_or_b64 exec, exec, s[12:13]
	v_cmp_lt_u32_e32 vcc, s22, v38
	v_mov_b32_e32 v49, 0
	v_mov_b32_e32 v62, 0
	s_and_saveexec_b64 s[12:13], vcc
	s_cbranch_execz .LBB955_405
; %bb.400:                              ;   in Loop: Header=BB955_213 Depth=1
	v_lshrrev_b32_e32 v40, 24, v38
	v_cmp_ne_u32_e32 vcc, s9, v40
	v_mov_b32_e32 v62, 0xffff8000
	s_and_saveexec_b64 s[14:15], vcc
	s_cbranch_execz .LBB955_404
; %bb.401:                              ;   in Loop: Header=BB955_213 Depth=1
	v_bfe_u32 v38, v38, 24, 7
	v_cmp_ne_u32_e32 vcc, s21, v38
	v_mov_b32_e32 v62, 0x7f80
	s_and_saveexec_b64 s[16:17], vcc
	s_cbranch_execz .LBB955_403
; %bb.402:                              ;   in Loop: Header=BB955_213 Depth=1
	v_and_b32_e32 v42, 7, v40
	v_ffbh_u32_e32 v62, v42
	v_min_u32_e32 v65, 32, v62
	v_subrev_u32_e32 v62, 28, v65
	v_lshlrev_b64 v[62:63], v62, v[40:41]
	v_lshrrev_b32_e32 v64, 3, v38
	v_sub_u32_e32 v63, 29, v65
	v_and_b32_e32 v62, 7, v62
	v_cmp_gt_u32_e32 vcc, 8, v38
	v_cndmask_b32_e32 v38, v64, v63, vcc
	v_cndmask_b32_e32 v42, v42, v62, vcc
	v_lshlrev_b32_e32 v40, 24, v40
	v_lshlrev_b32_e32 v42, 20, v42
	v_and_b32_e32 v40, 0x80000000, v40
	v_lshl_add_u32 v38, v38, 23, v48
	v_or3_b32 v38, v40, v38, v42
	v_lshrrev_b32_e32 v62, 16, v38
.LBB955_403:                            ;   in Loop: Header=BB955_213 Depth=1
	s_or_b64 exec, exec, s[16:17]
.LBB955_404:                            ;   in Loop: Header=BB955_213 Depth=1
	s_or_b64 exec, exec, s[14:15]
.LBB955_405:                            ;   in Loop: Header=BB955_213 Depth=1
	s_or_b64 exec, exec, s[12:13]
	v_perm_b32 v64, v44, v46, s23
	buffer_load_dword v44, v60, s[0:3], 0 offen
	buffer_load_dword v42, v60, s[0:3], 0 offen offset:4
	buffer_load_dword v40, v60, s[0:3], 0 offen offset:8
	;; [unrolled: 1-line block ×3, first 2 shown]
	v_perm_b32 v65, v52, v50, s23
	v_perm_b32 v61, v62, v61, s23
	;; [unrolled: 1-line block ×3, first 2 shown]
	v_mfma_f32_16x16x16bf16_1k v[34:37], v[64:65], v[14:15], v[34:37]
	s_waitcnt vmcnt(3)
	v_cmp_ne_u16_sdwa s[14:15], v44, v47 src0_sel:BYTE_0 src1_sel:DWORD
	v_mfma_f32_16x16x16bf16_1k v[34:37], v[60:61], v[16:17], v[34:37]
	s_and_saveexec_b64 s[12:13], s[14:15]
	s_cbranch_execz .LBB955_411
; %bb.406:                              ;   in Loop: Header=BB955_213 Depth=1
	v_cmp_ne_u16_sdwa s[16:17], v44, s9 src0_sel:BYTE_0 src1_sel:DWORD
	v_mov_b32_e32 v49, 0xffff8000
	s_and_saveexec_b64 s[14:15], s[16:17]
	s_cbranch_execz .LBB955_410
; %bb.407:                              ;   in Loop: Header=BB955_213 Depth=1
	v_and_b32_e32 v46, 0x7f, v44
	v_cmp_ne_u32_e32 vcc, s21, v46
	v_mov_b32_e32 v49, 0x7f80
	s_and_saveexec_b64 s[16:17], vcc
	s_cbranch_execz .LBB955_409
; %bb.408:                              ;   in Loop: Header=BB955_213 Depth=1
	v_and_b32_e32 v49, 7, v44
	v_ffbh_u32_e32 v50, v49
	v_min_u32_e32 v53, 32, v50
	v_subrev_u32_e32 v50, 28, v53
	v_lshlrev_b64 v[50:51], v50, v[44:45]
	v_lshrrev_b32_e32 v52, 3, v46
	v_sub_u32_e32 v51, 29, v53
	v_and_b32_e32 v50, 7, v50
	v_cmp_gt_u32_e32 vcc, 8, v46
	v_cndmask_b32_e32 v46, v52, v51, vcc
	v_cndmask_b32_e32 v49, v49, v50, vcc
	v_lshlrev_b32_e32 v50, 24, v44
	v_lshlrev_b32_e32 v49, 20, v49
	v_and_b32_e32 v50, 0x80000000, v50
	v_lshl_add_u32 v46, v46, 23, v48
	v_or3_b32 v46, v50, v46, v49
	v_lshrrev_b32_e32 v49, 16, v46
.LBB955_409:                            ;   in Loop: Header=BB955_213 Depth=1
	s_or_b64 exec, exec, s[16:17]
.LBB955_410:                            ;   in Loop: Header=BB955_213 Depth=1
	s_or_b64 exec, exec, s[14:15]
.LBB955_411:                            ;   in Loop: Header=BB955_213 Depth=1
	s_or_b64 exec, exec, s[12:13]
	v_lshrrev_b16_e32 v46, 8, v44
	v_cmp_ne_u16_e32 vcc, 0, v46
	v_mov_b32_e32 v51, 0
	v_mov_b32_e32 v50, 0
	s_and_saveexec_b64 s[12:13], vcc
	s_cbranch_execz .LBB955_417
; %bb.412:                              ;   in Loop: Header=BB955_213 Depth=1
	v_cmp_ne_u16_e32 vcc, s9, v46
	v_mov_b32_e32 v50, 0xffff8000
	s_and_saveexec_b64 s[14:15], vcc
	s_cbranch_execz .LBB955_416
; %bb.413:                              ;   in Loop: Header=BB955_213 Depth=1
	v_and_b32_e32 v52, 0x7f, v46
	v_cmp_ne_u32_e32 vcc, s21, v52
	v_mov_b32_e32 v50, 0x7f80
	s_and_saveexec_b64 s[16:17], vcc
	s_cbranch_execz .LBB955_415
; %bb.414:                              ;   in Loop: Header=BB955_213 Depth=1
	v_and_b32_e32 v50, 7, v46
	v_ffbh_u32_e32 v60, v50
	v_min_u32_e32 v62, 32, v60
	v_subrev_u32_e32 v60, 28, v62
	v_lshlrev_b64 v[60:61], v60, v[46:47]
	v_lshrrev_b32_e32 v53, 3, v52
	v_sub_u32_e32 v46, 29, v62
	v_and_b32_e32 v60, 7, v60
	v_cmp_gt_u32_e32 vcc, 8, v52
	v_cndmask_b32_e32 v46, v53, v46, vcc
	v_cndmask_b32_e32 v50, v50, v60, vcc
	v_lshlrev_b32_e32 v52, 16, v44
	v_lshlrev_b32_e32 v50, 20, v50
	v_and_b32_e32 v52, 0x80000000, v52
	v_lshl_add_u32 v46, v46, 23, v48
	v_or3_b32 v46, v52, v46, v50
	v_lshrrev_b32_e32 v50, 16, v46
.LBB955_415:                            ;   in Loop: Header=BB955_213 Depth=1
	s_or_b64 exec, exec, s[16:17]
.LBB955_416:                            ;   in Loop: Header=BB955_213 Depth=1
	s_or_b64 exec, exec, s[14:15]
.LBB955_417:                            ;   in Loop: Header=BB955_213 Depth=1
	s_or_b64 exec, exec, s[12:13]
	v_lshrrev_b32_e32 v46, 16, v44
	v_cmp_ne_u16_sdwa s[14:15], v46, v47 src0_sel:BYTE_0 src1_sel:DWORD
	s_and_saveexec_b64 s[12:13], s[14:15]
	s_cbranch_execz .LBB955_423
; %bb.418:                              ;   in Loop: Header=BB955_213 Depth=1
	v_cmp_ne_u16_sdwa s[16:17], v46, s9 src0_sel:BYTE_0 src1_sel:DWORD
	v_mov_b32_e32 v51, 0xffff8000
	s_and_saveexec_b64 s[14:15], s[16:17]
	s_cbranch_execz .LBB955_422
; %bb.419:                              ;   in Loop: Header=BB955_213 Depth=1
	v_bfe_u32 v52, v44, 16, 7
	v_cmp_ne_u32_e32 vcc, s21, v52
	v_mov_b32_e32 v51, 0x7f80
	s_and_saveexec_b64 s[16:17], vcc
	s_cbranch_execz .LBB955_421
; %bb.420:                              ;   in Loop: Header=BB955_213 Depth=1
	v_and_b32_e32 v51, 7, v46
	v_ffbh_u32_e32 v60, v51
	v_min_u32_e32 v62, 32, v60
	v_subrev_u32_e32 v60, 28, v62
	v_lshlrev_b64 v[60:61], v60, v[46:47]
	v_lshrrev_b32_e32 v53, 3, v52
	v_sub_u32_e32 v61, 29, v62
	v_and_b32_e32 v60, 7, v60
	v_cmp_gt_u32_e32 vcc, 8, v52
	v_cndmask_b32_e32 v52, v53, v61, vcc
	v_cndmask_b32_e32 v51, v51, v60, vcc
	v_lshlrev_b32_e32 v46, 24, v46
	v_lshlrev_b32_e32 v51, 20, v51
	v_and_b32_e32 v46, 0x80000000, v46
	v_lshl_add_u32 v52, v52, 23, v48
	v_or3_b32 v46, v46, v52, v51
	v_lshrrev_b32_e32 v51, 16, v46
.LBB955_421:                            ;   in Loop: Header=BB955_213 Depth=1
	s_or_b64 exec, exec, s[16:17]
.LBB955_422:                            ;   in Loop: Header=BB955_213 Depth=1
	s_or_b64 exec, exec, s[14:15]
.LBB955_423:                            ;   in Loop: Header=BB955_213 Depth=1
	s_or_b64 exec, exec, s[12:13]
	v_cmp_lt_u32_e32 vcc, s22, v44
	v_mov_b32_e32 v52, 0
	v_mov_b32_e32 v53, 0
	s_and_saveexec_b64 s[12:13], vcc
	s_cbranch_execz .LBB955_429
; %bb.424:                              ;   in Loop: Header=BB955_213 Depth=1
	v_lshrrev_b32_e32 v46, 24, v44
	v_cmp_ne_u32_e32 vcc, s9, v46
	v_mov_b32_e32 v53, 0xffff8000
	s_and_saveexec_b64 s[14:15], vcc
	s_cbranch_execz .LBB955_428
; %bb.425:                              ;   in Loop: Header=BB955_213 Depth=1
	v_bfe_u32 v44, v44, 24, 7
	v_cmp_ne_u32_e32 vcc, s21, v44
	v_mov_b32_e32 v53, 0x7f80
	s_and_saveexec_b64 s[16:17], vcc
	s_cbranch_execz .LBB955_427
; %bb.426:                              ;   in Loop: Header=BB955_213 Depth=1
	v_and_b32_e32 v53, 7, v46
	v_ffbh_u32_e32 v60, v53
	v_min_u32_e32 v63, 32, v60
	v_subrev_u32_e32 v60, 28, v63
	v_lshlrev_b64 v[60:61], v60, v[46:47]
	v_lshrrev_b32_e32 v62, 3, v44
	v_sub_u32_e32 v61, 29, v63
	v_and_b32_e32 v60, 7, v60
	v_cmp_gt_u32_e32 vcc, 8, v44
	v_cndmask_b32_e32 v44, v62, v61, vcc
	v_cndmask_b32_e32 v53, v53, v60, vcc
	v_lshlrev_b32_e32 v46, 24, v46
	v_lshlrev_b32_e32 v53, 20, v53
	v_and_b32_e32 v46, 0x80000000, v46
	v_lshl_add_u32 v44, v44, 23, v48
	v_or3_b32 v44, v46, v44, v53
	v_lshrrev_b32_e32 v53, 16, v44
.LBB955_427:                            ;   in Loop: Header=BB955_213 Depth=1
	s_or_b64 exec, exec, s[16:17]
.LBB955_428:                            ;   in Loop: Header=BB955_213 Depth=1
	s_or_b64 exec, exec, s[14:15]
.LBB955_429:                            ;   in Loop: Header=BB955_213 Depth=1
	s_or_b64 exec, exec, s[12:13]
	s_waitcnt vmcnt(2)
	v_cmp_ne_u16_sdwa s[14:15], v42, v47 src0_sel:BYTE_0 src1_sel:DWORD
	s_and_saveexec_b64 s[12:13], s[14:15]
	s_cbranch_execz .LBB955_435
; %bb.430:                              ;   in Loop: Header=BB955_213 Depth=1
	v_cmp_ne_u16_sdwa s[16:17], v42, s9 src0_sel:BYTE_0 src1_sel:DWORD
	v_mov_b32_e32 v52, 0xffff8000
	s_and_saveexec_b64 s[14:15], s[16:17]
	s_cbranch_execz .LBB955_434
; %bb.431:                              ;   in Loop: Header=BB955_213 Depth=1
	v_and_b32_e32 v44, 0x7f, v42
	v_cmp_ne_u32_e32 vcc, s21, v44
	v_mov_b32_e32 v52, 0x7f80
	s_and_saveexec_b64 s[16:17], vcc
	s_cbranch_execz .LBB955_433
; %bb.432:                              ;   in Loop: Header=BB955_213 Depth=1
	v_and_b32_e32 v46, 7, v42
	v_ffbh_u32_e32 v60, v46
	v_min_u32_e32 v62, 32, v60
	v_subrev_u32_e32 v60, 28, v62
	v_lshlrev_b64 v[60:61], v60, v[42:43]
	v_lshrrev_b32_e32 v52, 3, v44
	v_sub_u32_e32 v61, 29, v62
	v_and_b32_e32 v60, 7, v60
	v_cmp_gt_u32_e32 vcc, 8, v44
	v_cndmask_b32_e32 v44, v52, v61, vcc
	v_cndmask_b32_e32 v46, v46, v60, vcc
	v_lshlrev_b32_e32 v52, 24, v42
	v_lshlrev_b32_e32 v46, 20, v46
	v_and_b32_e32 v52, 0x80000000, v52
	v_lshl_add_u32 v44, v44, 23, v48
	v_or3_b32 v44, v52, v44, v46
	v_lshrrev_b32_e32 v52, 16, v44
.LBB955_433:                            ;   in Loop: Header=BB955_213 Depth=1
	s_or_b64 exec, exec, s[16:17]
.LBB955_434:                            ;   in Loop: Header=BB955_213 Depth=1
	s_or_b64 exec, exec, s[14:15]
.LBB955_435:                            ;   in Loop: Header=BB955_213 Depth=1
	s_or_b64 exec, exec, s[12:13]
	v_lshrrev_b16_e32 v44, 8, v42
	v_cmp_ne_u16_e32 vcc, 0, v44
	v_mov_b32_e32 v61, 0
	v_mov_b32_e32 v60, 0
	s_and_saveexec_b64 s[12:13], vcc
	s_cbranch_execz .LBB955_441
; %bb.436:                              ;   in Loop: Header=BB955_213 Depth=1
	v_cmp_ne_u16_e32 vcc, s9, v44
	v_mov_b32_e32 v60, 0xffff8000
	s_and_saveexec_b64 s[14:15], vcc
	s_cbranch_execz .LBB955_440
; %bb.437:                              ;   in Loop: Header=BB955_213 Depth=1
	v_and_b32_e32 v46, 0x7f, v44
	v_cmp_ne_u32_e32 vcc, s21, v46
	v_mov_b32_e32 v60, 0x7f80
	s_and_saveexec_b64 s[16:17], vcc
	s_cbranch_execz .LBB955_439
; %bb.438:                              ;   in Loop: Header=BB955_213 Depth=1
	v_and_b32_e32 v60, 7, v44
	v_ffbh_u32_e32 v62, v60
	v_min_u32_e32 v65, 32, v62
	v_subrev_u32_e32 v62, 28, v65
	v_lshlrev_b64 v[62:63], v62, v[44:45]
	v_lshrrev_b32_e32 v64, 3, v46
	v_sub_u32_e32 v44, 29, v65
	v_and_b32_e32 v62, 7, v62
	v_cmp_gt_u32_e32 vcc, 8, v46
	v_cndmask_b32_e32 v44, v64, v44, vcc
	v_cndmask_b32_e32 v46, v60, v62, vcc
	v_lshlrev_b32_e32 v60, 16, v42
	v_lshlrev_b32_e32 v46, 20, v46
	v_and_b32_e32 v60, 0x80000000, v60
	v_lshl_add_u32 v44, v44, 23, v48
	v_or3_b32 v44, v60, v44, v46
	v_lshrrev_b32_e32 v60, 16, v44
.LBB955_439:                            ;   in Loop: Header=BB955_213 Depth=1
	s_or_b64 exec, exec, s[16:17]
.LBB955_440:                            ;   in Loop: Header=BB955_213 Depth=1
	s_or_b64 exec, exec, s[14:15]
.LBB955_441:                            ;   in Loop: Header=BB955_213 Depth=1
	s_or_b64 exec, exec, s[12:13]
	v_lshrrev_b32_e32 v44, 16, v42
	v_cmp_ne_u16_sdwa s[14:15], v44, v47 src0_sel:BYTE_0 src1_sel:DWORD
	s_and_saveexec_b64 s[12:13], s[14:15]
	s_cbranch_execz .LBB955_447
; %bb.442:                              ;   in Loop: Header=BB955_213 Depth=1
	v_cmp_ne_u16_sdwa s[16:17], v44, s9 src0_sel:BYTE_0 src1_sel:DWORD
	v_mov_b32_e32 v61, 0xffff8000
	s_and_saveexec_b64 s[14:15], s[16:17]
	s_cbranch_execz .LBB955_446
; %bb.443:                              ;   in Loop: Header=BB955_213 Depth=1
	v_bfe_u32 v46, v42, 16, 7
	v_cmp_ne_u32_e32 vcc, s21, v46
	v_mov_b32_e32 v61, 0x7f80
	s_and_saveexec_b64 s[16:17], vcc
	s_cbranch_execz .LBB955_445
; %bb.444:                              ;   in Loop: Header=BB955_213 Depth=1
	v_and_b32_e32 v61, 7, v44
	v_ffbh_u32_e32 v62, v61
	v_min_u32_e32 v65, 32, v62
	v_subrev_u32_e32 v62, 28, v65
	v_lshlrev_b64 v[62:63], v62, v[44:45]
	v_lshrrev_b32_e32 v64, 3, v46
	v_sub_u32_e32 v63, 29, v65
	v_and_b32_e32 v62, 7, v62
	v_cmp_gt_u32_e32 vcc, 8, v46
	v_cndmask_b32_e32 v46, v64, v63, vcc
	v_cndmask_b32_e32 v61, v61, v62, vcc
	v_lshlrev_b32_e32 v44, 24, v44
	v_lshlrev_b32_e32 v61, 20, v61
	v_and_b32_e32 v44, 0x80000000, v44
	v_lshl_add_u32 v46, v46, 23, v48
	v_or3_b32 v44, v44, v46, v61
	v_lshrrev_b32_e32 v61, 16, v44
.LBB955_445:                            ;   in Loop: Header=BB955_213 Depth=1
	s_or_b64 exec, exec, s[16:17]
.LBB955_446:                            ;   in Loop: Header=BB955_213 Depth=1
	s_or_b64 exec, exec, s[14:15]
.LBB955_447:                            ;   in Loop: Header=BB955_213 Depth=1
	s_or_b64 exec, exec, s[12:13]
	v_cmp_lt_u32_e32 vcc, s22, v42
	v_mov_b32_e32 v46, 0
	v_mov_b32_e32 v62, 0
	s_and_saveexec_b64 s[12:13], vcc
	s_cbranch_execz .LBB955_453
; %bb.448:                              ;   in Loop: Header=BB955_213 Depth=1
	v_lshrrev_b32_e32 v44, 24, v42
	v_cmp_ne_u32_e32 vcc, s9, v44
	v_mov_b32_e32 v62, 0xffff8000
	s_and_saveexec_b64 s[14:15], vcc
	s_cbranch_execz .LBB955_452
; %bb.449:                              ;   in Loop: Header=BB955_213 Depth=1
	v_bfe_u32 v42, v42, 24, 7
	v_cmp_ne_u32_e32 vcc, s21, v42
	v_mov_b32_e32 v62, 0x7f80
	s_and_saveexec_b64 s[16:17], vcc
	s_cbranch_execz .LBB955_451
; %bb.450:                              ;   in Loop: Header=BB955_213 Depth=1
	v_and_b32_e32 v64, 7, v44
	v_ffbh_u32_e32 v62, v64
	v_min_u32_e32 v66, 32, v62
	v_subrev_u32_e32 v62, 28, v66
	v_lshlrev_b64 v[62:63], v62, v[44:45]
	v_lshrrev_b32_e32 v65, 3, v42
	v_sub_u32_e32 v63, 29, v66
	v_and_b32_e32 v62, 7, v62
	v_cmp_gt_u32_e32 vcc, 8, v42
	v_cndmask_b32_e32 v42, v65, v63, vcc
	v_cndmask_b32_e32 v62, v64, v62, vcc
	v_lshlrev_b32_e32 v44, 24, v44
	v_lshlrev_b32_e32 v62, 20, v62
	v_and_b32_e32 v44, 0x80000000, v44
	v_lshl_add_u32 v42, v42, 23, v48
	v_or3_b32 v42, v44, v42, v62
	v_lshrrev_b32_e32 v62, 16, v42
.LBB955_451:                            ;   in Loop: Header=BB955_213 Depth=1
	s_or_b64 exec, exec, s[16:17]
.LBB955_452:                            ;   in Loop: Header=BB955_213 Depth=1
	s_or_b64 exec, exec, s[14:15]
.LBB955_453:                            ;   in Loop: Header=BB955_213 Depth=1
	s_or_b64 exec, exec, s[12:13]
	v_perm_b32 v51, v53, v51, s23
	v_perm_b32 v50, v50, v49, s23
	s_waitcnt vmcnt(1)
	v_cmp_ne_u16_sdwa s[14:15], v40, v47 src0_sel:BYTE_0 src1_sel:DWORD
	v_mfma_f32_16x16x16bf16_1k v[34:37], v[50:51], v[18:19], v[34:37]
	v_perm_b32 v51, v62, v61, s23
	v_perm_b32 v50, v60, v52, s23
	s_nop 1
	v_mfma_f32_16x16x16bf16_1k v[34:37], v[50:51], v[20:21], v[34:37]
	s_and_saveexec_b64 s[12:13], s[14:15]
	s_cbranch_execz .LBB955_459
; %bb.454:                              ;   in Loop: Header=BB955_213 Depth=1
	v_cmp_ne_u16_sdwa s[16:17], v40, s9 src0_sel:BYTE_0 src1_sel:DWORD
	v_mov_b32_e32 v46, 0xffff8000
	s_and_saveexec_b64 s[14:15], s[16:17]
	s_cbranch_execz .LBB955_458
; %bb.455:                              ;   in Loop: Header=BB955_213 Depth=1
	v_and_b32_e32 v42, 0x7f, v40
	v_cmp_ne_u32_e32 vcc, s21, v42
	v_mov_b32_e32 v46, 0x7f80
	s_and_saveexec_b64 s[16:17], vcc
	s_cbranch_execz .LBB955_457
; %bb.456:                              ;   in Loop: Header=BB955_213 Depth=1
	v_and_b32_e32 v44, 7, v40
	v_ffbh_u32_e32 v49, v44
	v_min_u32_e32 v49, 32, v49
	v_subrev_u32_e32 v50, 28, v49
	v_lshlrev_b64 v[50:51], v50, v[40:41]
	v_lshrrev_b32_e32 v46, 3, v42
	v_sub_u32_e32 v49, 29, v49
	v_and_b32_e32 v50, 7, v50
	v_cmp_gt_u32_e32 vcc, 8, v42
	v_cndmask_b32_e32 v42, v46, v49, vcc
	v_cndmask_b32_e32 v44, v44, v50, vcc
	v_lshlrev_b32_e32 v46, 24, v40
	v_lshlrev_b32_e32 v44, 20, v44
	v_and_b32_e32 v46, 0x80000000, v46
	v_lshl_add_u32 v42, v42, 23, v48
	v_or3_b32 v42, v46, v42, v44
	v_lshrrev_b32_e32 v46, 16, v42
.LBB955_457:                            ;   in Loop: Header=BB955_213 Depth=1
	s_or_b64 exec, exec, s[16:17]
.LBB955_458:                            ;   in Loop: Header=BB955_213 Depth=1
	s_or_b64 exec, exec, s[14:15]
.LBB955_459:                            ;   in Loop: Header=BB955_213 Depth=1
	s_or_b64 exec, exec, s[12:13]
	v_lshrrev_b16_e32 v42, 8, v40
	v_cmp_ne_u16_e32 vcc, 0, v42
	v_mov_b32_e32 v50, 0
	v_mov_b32_e32 v44, 0
	s_and_saveexec_b64 s[12:13], vcc
	s_cbranch_execz .LBB955_465
; %bb.460:                              ;   in Loop: Header=BB955_213 Depth=1
	v_cmp_ne_u16_e32 vcc, s9, v42
	v_mov_b32_e32 v44, 0xffff8000
	s_and_saveexec_b64 s[14:15], vcc
	s_cbranch_execz .LBB955_464
; %bb.461:                              ;   in Loop: Header=BB955_213 Depth=1
	v_and_b32_e32 v49, 0x7f, v42
	v_cmp_ne_u32_e32 vcc, s21, v49
	v_mov_b32_e32 v44, 0x7f80
	s_and_saveexec_b64 s[16:17], vcc
	s_cbranch_execz .LBB955_463
; %bb.462:                              ;   in Loop: Header=BB955_213 Depth=1
	v_and_b32_e32 v44, 7, v42
	v_ffbh_u32_e32 v52, v44
	v_min_u32_e32 v60, 32, v52
	v_subrev_u32_e32 v52, 28, v60
	v_lshlrev_b64 v[52:53], v52, v[42:43]
	v_lshrrev_b32_e32 v51, 3, v49
	v_sub_u32_e32 v42, 29, v60
	v_and_b32_e32 v52, 7, v52
	v_cmp_gt_u32_e32 vcc, 8, v49
	v_cndmask_b32_e32 v42, v51, v42, vcc
	v_cndmask_b32_e32 v44, v44, v52, vcc
	v_lshlrev_b32_e32 v49, 16, v40
	v_lshlrev_b32_e32 v44, 20, v44
	v_and_b32_e32 v49, 0x80000000, v49
	v_lshl_add_u32 v42, v42, 23, v48
	v_or3_b32 v42, v49, v42, v44
	v_lshrrev_b32_e32 v44, 16, v42
.LBB955_463:                            ;   in Loop: Header=BB955_213 Depth=1
	s_or_b64 exec, exec, s[16:17]
.LBB955_464:                            ;   in Loop: Header=BB955_213 Depth=1
	s_or_b64 exec, exec, s[14:15]
.LBB955_465:                            ;   in Loop: Header=BB955_213 Depth=1
	s_or_b64 exec, exec, s[12:13]
	v_lshrrev_b32_e32 v42, 16, v40
	v_cmp_ne_u16_sdwa s[14:15], v42, v47 src0_sel:BYTE_0 src1_sel:DWORD
	s_and_saveexec_b64 s[12:13], s[14:15]
	s_cbranch_execz .LBB955_471
; %bb.466:                              ;   in Loop: Header=BB955_213 Depth=1
	v_cmp_ne_u16_sdwa s[16:17], v42, s9 src0_sel:BYTE_0 src1_sel:DWORD
	v_mov_b32_e32 v50, 0xffff8000
	s_and_saveexec_b64 s[14:15], s[16:17]
	s_cbranch_execz .LBB955_470
; %bb.467:                              ;   in Loop: Header=BB955_213 Depth=1
	v_bfe_u32 v49, v40, 16, 7
	v_cmp_ne_u32_e32 vcc, s21, v49
	v_mov_b32_e32 v50, 0x7f80
	s_and_saveexec_b64 s[16:17], vcc
	s_cbranch_execz .LBB955_469
; %bb.468:                              ;   in Loop: Header=BB955_213 Depth=1
	v_and_b32_e32 v52, 7, v42
	v_ffbh_u32_e32 v50, v52
	v_min_u32_e32 v60, 32, v50
	v_subrev_u32_e32 v50, 28, v60
	v_lshlrev_b64 v[50:51], v50, v[42:43]
	v_lshrrev_b32_e32 v53, 3, v49
	v_sub_u32_e32 v51, 29, v60
	v_and_b32_e32 v50, 7, v50
	v_cmp_gt_u32_e32 vcc, 8, v49
	v_cndmask_b32_e32 v49, v53, v51, vcc
	v_cndmask_b32_e32 v50, v52, v50, vcc
	v_lshlrev_b32_e32 v42, 24, v42
	v_lshlrev_b32_e32 v50, 20, v50
	v_and_b32_e32 v42, 0x80000000, v42
	v_lshl_add_u32 v49, v49, 23, v48
	v_or3_b32 v42, v42, v49, v50
	v_lshrrev_b32_e32 v50, 16, v42
.LBB955_469:                            ;   in Loop: Header=BB955_213 Depth=1
	s_or_b64 exec, exec, s[16:17]
.LBB955_470:                            ;   in Loop: Header=BB955_213 Depth=1
	s_or_b64 exec, exec, s[14:15]
.LBB955_471:                            ;   in Loop: Header=BB955_213 Depth=1
	s_or_b64 exec, exec, s[12:13]
	v_cmp_lt_u32_e32 vcc, s22, v40
	v_mov_b32_e32 v51, 0
	v_mov_b32_e32 v52, 0
	s_and_saveexec_b64 s[12:13], vcc
	s_cbranch_execz .LBB955_477
; %bb.472:                              ;   in Loop: Header=BB955_213 Depth=1
	v_lshrrev_b32_e32 v42, 24, v40
	v_cmp_ne_u32_e32 vcc, s9, v42
	v_mov_b32_e32 v52, 0xffff8000
	s_and_saveexec_b64 s[14:15], vcc
	s_cbranch_execz .LBB955_476
; %bb.473:                              ;   in Loop: Header=BB955_213 Depth=1
	v_bfe_u32 v40, v40, 24, 7
	v_cmp_ne_u32_e32 vcc, s21, v40
	v_mov_b32_e32 v52, 0x7f80
	s_and_saveexec_b64 s[16:17], vcc
	s_cbranch_execz .LBB955_475
; %bb.474:                              ;   in Loop: Header=BB955_213 Depth=1
	v_and_b32_e32 v49, 7, v42
	v_ffbh_u32_e32 v52, v49
	v_min_u32_e32 v61, 32, v52
	v_subrev_u32_e32 v52, 28, v61
	v_lshlrev_b64 v[52:53], v52, v[42:43]
	v_lshrrev_b32_e32 v60, 3, v40
	v_sub_u32_e32 v53, 29, v61
	v_and_b32_e32 v52, 7, v52
	v_cmp_gt_u32_e32 vcc, 8, v40
	v_cndmask_b32_e32 v40, v60, v53, vcc
	v_cndmask_b32_e32 v49, v49, v52, vcc
	v_lshlrev_b32_e32 v42, 24, v42
	v_lshlrev_b32_e32 v49, 20, v49
	v_and_b32_e32 v42, 0x80000000, v42
	v_lshl_add_u32 v40, v40, 23, v48
	v_or3_b32 v40, v42, v40, v49
	v_lshrrev_b32_e32 v52, 16, v40
.LBB955_475:                            ;   in Loop: Header=BB955_213 Depth=1
	s_or_b64 exec, exec, s[16:17]
.LBB955_476:                            ;   in Loop: Header=BB955_213 Depth=1
	s_or_b64 exec, exec, s[14:15]
.LBB955_477:                            ;   in Loop: Header=BB955_213 Depth=1
	s_or_b64 exec, exec, s[12:13]
	s_waitcnt vmcnt(0)
	v_cmp_ne_u16_sdwa s[14:15], v38, v47 src0_sel:BYTE_0 src1_sel:DWORD
	s_and_saveexec_b64 s[12:13], s[14:15]
	s_cbranch_execz .LBB955_483
; %bb.478:                              ;   in Loop: Header=BB955_213 Depth=1
	v_cmp_ne_u16_sdwa s[16:17], v38, s9 src0_sel:BYTE_0 src1_sel:DWORD
	v_mov_b32_e32 v51, 0xffff8000
	s_and_saveexec_b64 s[14:15], s[16:17]
	s_cbranch_execz .LBB955_482
; %bb.479:                              ;   in Loop: Header=BB955_213 Depth=1
	v_and_b32_e32 v40, 0x7f, v38
	v_cmp_ne_u32_e32 vcc, s21, v40
	v_mov_b32_e32 v51, 0x7f80
	s_and_saveexec_b64 s[16:17], vcc
	s_cbranch_execz .LBB955_481
; %bb.480:                              ;   in Loop: Header=BB955_213 Depth=1
	v_and_b32_e32 v42, 7, v38
	v_ffbh_u32_e32 v51, v42
	v_min_u32_e32 v51, 32, v51
	v_subrev_u32_e32 v53, 28, v51
	v_lshlrev_b64 v[60:61], v53, v[38:39]
	v_lshrrev_b32_e32 v49, 3, v40
	v_sub_u32_e32 v51, 29, v51
	v_and_b32_e32 v53, 7, v60
	v_cmp_gt_u32_e32 vcc, 8, v40
	v_cndmask_b32_e32 v40, v49, v51, vcc
	v_cndmask_b32_e32 v42, v42, v53, vcc
	v_lshlrev_b32_e32 v49, 24, v38
	v_lshlrev_b32_e32 v42, 20, v42
	v_and_b32_e32 v49, 0x80000000, v49
	v_lshl_add_u32 v40, v40, 23, v48
	v_or3_b32 v40, v49, v40, v42
	v_lshrrev_b32_e32 v51, 16, v40
.LBB955_481:                            ;   in Loop: Header=BB955_213 Depth=1
	s_or_b64 exec, exec, s[16:17]
.LBB955_482:                            ;   in Loop: Header=BB955_213 Depth=1
	s_or_b64 exec, exec, s[14:15]
.LBB955_483:                            ;   in Loop: Header=BB955_213 Depth=1
	s_or_b64 exec, exec, s[12:13]
	v_lshrrev_b16_e32 v40, 8, v38
	v_cmp_ne_u16_e32 vcc, 0, v40
	v_mov_b32_e32 v60, 0
	v_mov_b32_e32 v53, 0
	s_and_saveexec_b64 s[12:13], vcc
	s_cbranch_execz .LBB955_489
; %bb.484:                              ;   in Loop: Header=BB955_213 Depth=1
	v_cmp_ne_u16_e32 vcc, s9, v40
	v_mov_b32_e32 v53, 0xffff8000
	s_and_saveexec_b64 s[14:15], vcc
	s_cbranch_execz .LBB955_488
; %bb.485:                              ;   in Loop: Header=BB955_213 Depth=1
	v_and_b32_e32 v42, 0x7f, v40
	v_cmp_ne_u32_e32 vcc, s21, v42
	v_mov_b32_e32 v53, 0x7f80
	s_and_saveexec_b64 s[16:17], vcc
	s_cbranch_execz .LBB955_487
; %bb.486:                              ;   in Loop: Header=BB955_213 Depth=1
	v_and_b32_e32 v49, 7, v40
	v_ffbh_u32_e32 v61, v49
	v_min_u32_e32 v61, 32, v61
	v_subrev_u32_e32 v62, 28, v61
	v_lshlrev_b64 v[62:63], v62, v[40:41]
	v_lshrrev_b32_e32 v53, 3, v42
	v_sub_u32_e32 v40, 29, v61
	v_and_b32_e32 v61, 7, v62
	v_cmp_gt_u32_e32 vcc, 8, v42
	v_cndmask_b32_e32 v40, v53, v40, vcc
	v_cndmask_b32_e32 v42, v49, v61, vcc
	v_lshlrev_b32_e32 v49, 16, v38
	v_lshlrev_b32_e32 v42, 20, v42
	v_and_b32_e32 v49, 0x80000000, v49
	v_lshl_add_u32 v40, v40, 23, v48
	v_or3_b32 v40, v49, v40, v42
	v_lshrrev_b32_e32 v53, 16, v40
.LBB955_487:                            ;   in Loop: Header=BB955_213 Depth=1
	s_or_b64 exec, exec, s[16:17]
.LBB955_488:                            ;   in Loop: Header=BB955_213 Depth=1
	s_or_b64 exec, exec, s[14:15]
.LBB955_489:                            ;   in Loop: Header=BB955_213 Depth=1
	s_or_b64 exec, exec, s[12:13]
	v_lshrrev_b32_e32 v40, 16, v38
	v_cmp_ne_u16_sdwa s[14:15], v40, v47 src0_sel:BYTE_0 src1_sel:DWORD
	s_and_saveexec_b64 s[12:13], s[14:15]
	s_cbranch_execz .LBB955_495
; %bb.490:                              ;   in Loop: Header=BB955_213 Depth=1
	v_cmp_ne_u16_sdwa s[16:17], v40, s9 src0_sel:BYTE_0 src1_sel:DWORD
	v_mov_b32_e32 v60, 0xffff8000
	s_and_saveexec_b64 s[14:15], s[16:17]
	s_cbranch_execz .LBB955_494
; %bb.491:                              ;   in Loop: Header=BB955_213 Depth=1
	v_bfe_u32 v42, v38, 16, 7
	v_cmp_ne_u32_e32 vcc, s21, v42
	v_mov_b32_e32 v60, 0x7f80
	s_and_saveexec_b64 s[16:17], vcc
	s_cbranch_execz .LBB955_493
; %bb.492:                              ;   in Loop: Header=BB955_213 Depth=1
	v_and_b32_e32 v49, 7, v40
	v_ffbh_u32_e32 v60, v49
	v_min_u32_e32 v63, 32, v60
	v_subrev_u32_e32 v60, 28, v63
	v_lshlrev_b64 v[60:61], v60, v[40:41]
	v_lshrrev_b32_e32 v62, 3, v42
	v_sub_u32_e32 v61, 29, v63
	v_and_b32_e32 v60, 7, v60
	v_cmp_gt_u32_e32 vcc, 8, v42
	v_cndmask_b32_e32 v42, v62, v61, vcc
	v_cndmask_b32_e32 v49, v49, v60, vcc
	v_lshlrev_b32_e32 v40, 24, v40
	v_lshlrev_b32_e32 v49, 20, v49
	v_and_b32_e32 v40, 0x80000000, v40
	v_lshl_add_u32 v42, v42, 23, v48
	v_or3_b32 v40, v40, v42, v49
	v_lshrrev_b32_e32 v60, 16, v40
.LBB955_493:                            ;   in Loop: Header=BB955_213 Depth=1
	s_or_b64 exec, exec, s[16:17]
.LBB955_494:                            ;   in Loop: Header=BB955_213 Depth=1
	s_or_b64 exec, exec, s[14:15]
.LBB955_495:                            ;   in Loop: Header=BB955_213 Depth=1
	s_or_b64 exec, exec, s[12:13]
	v_cmp_lt_u32_e32 vcc, s22, v38
	v_mov_b32_e32 v49, 0
	v_mov_b32_e32 v61, 0
	s_and_saveexec_b64 s[12:13], vcc
	s_cbranch_execz .LBB955_501
; %bb.496:                              ;   in Loop: Header=BB955_213 Depth=1
	v_lshrrev_b32_e32 v40, 24, v38
	v_cmp_ne_u32_e32 vcc, s9, v40
	v_mov_b32_e32 v61, 0xffff8000
	s_and_saveexec_b64 s[14:15], vcc
	s_cbranch_execz .LBB955_500
; %bb.497:                              ;   in Loop: Header=BB955_213 Depth=1
	v_bfe_u32 v38, v38, 24, 7
	v_cmp_ne_u32_e32 vcc, s21, v38
	v_mov_b32_e32 v61, 0x7f80
	s_and_saveexec_b64 s[16:17], vcc
	s_cbranch_execz .LBB955_499
; %bb.498:                              ;   in Loop: Header=BB955_213 Depth=1
	v_and_b32_e32 v42, 7, v40
	v_ffbh_u32_e32 v62, v42
	v_min_u32_e32 v64, 32, v62
	v_subrev_u32_e32 v62, 28, v64
	v_lshlrev_b64 v[62:63], v62, v[40:41]
	v_lshrrev_b32_e32 v61, 3, v38
	v_sub_u32_e32 v63, 29, v64
	v_and_b32_e32 v62, 7, v62
	v_cmp_gt_u32_e32 vcc, 8, v38
	v_cndmask_b32_e32 v38, v61, v63, vcc
	v_cndmask_b32_e32 v42, v42, v62, vcc
	v_lshlrev_b32_e32 v40, 24, v40
	v_lshlrev_b32_e32 v42, 20, v42
	v_and_b32_e32 v40, 0x80000000, v40
	v_lshl_add_u32 v38, v38, 23, v48
	v_or3_b32 v38, v40, v38, v42
	v_lshrrev_b32_e32 v61, 16, v38
.LBB955_499:                            ;   in Loop: Header=BB955_213 Depth=1
	s_or_b64 exec, exec, s[16:17]
.LBB955_500:                            ;   in Loop: Header=BB955_213 Depth=1
	s_or_b64 exec, exec, s[14:15]
.LBB955_501:                            ;   in Loop: Header=BB955_213 Depth=1
	s_or_b64 exec, exec, s[12:13]
	v_perm_b32 v62, v44, v46, s23
	buffer_load_dword v44, v41, s[0:3], 0 offen
	buffer_load_dword v42, v41, s[0:3], 0 offen offset:4
	buffer_load_dword v40, v41, s[0:3], 0 offen offset:8
	buffer_load_dword v38, v41, s[0:3], 0 offen offset:12
	v_perm_b32 v63, v52, v50, s23
	v_perm_b32 v61, v61, v60, s23
	;; [unrolled: 1-line block ×3, first 2 shown]
	v_mfma_f32_16x16x16bf16_1k v[34:37], v[62:63], v[22:23], v[34:37]
	s_waitcnt vmcnt(3)
	v_cmp_ne_u16_sdwa s[14:15], v44, v47 src0_sel:BYTE_0 src1_sel:DWORD
	v_mfma_f32_16x16x16bf16_1k v[34:37], v[60:61], v[24:25], v[34:37]
	s_and_saveexec_b64 s[12:13], s[14:15]
	s_cbranch_execz .LBB955_507
; %bb.502:                              ;   in Loop: Header=BB955_213 Depth=1
	v_cmp_ne_u16_sdwa s[16:17], v44, s9 src0_sel:BYTE_0 src1_sel:DWORD
	v_mov_b32_e32 v49, 0xffff8000
	s_and_saveexec_b64 s[14:15], s[16:17]
	s_cbranch_execz .LBB955_506
; %bb.503:                              ;   in Loop: Header=BB955_213 Depth=1
	v_and_b32_e32 v41, 0x7f, v44
	v_cmp_ne_u32_e32 vcc, s21, v41
	v_mov_b32_e32 v49, 0x7f80
	s_and_saveexec_b64 s[16:17], vcc
	s_cbranch_execz .LBB955_505
; %bb.504:                              ;   in Loop: Header=BB955_213 Depth=1
	v_and_b32_e32 v46, 7, v44
	v_ffbh_u32_e32 v50, v46
	v_min_u32_e32 v52, 32, v50
	v_subrev_u32_e32 v50, 28, v52
	v_lshlrev_b64 v[50:51], v50, v[44:45]
	v_lshrrev_b32_e32 v49, 3, v41
	v_sub_u32_e32 v51, 29, v52
	v_and_b32_e32 v50, 7, v50
	v_cmp_gt_u32_e32 vcc, 8, v41
	v_cndmask_b32_e32 v41, v49, v51, vcc
	v_cndmask_b32_e32 v46, v46, v50, vcc
	v_lshlrev_b32_e32 v49, 24, v44
	v_lshlrev_b32_e32 v46, 20, v46
	v_and_b32_e32 v49, 0x80000000, v49
	v_lshl_add_u32 v41, v41, 23, v48
	v_or3_b32 v41, v49, v41, v46
	v_lshrrev_b32_e32 v49, 16, v41
.LBB955_505:                            ;   in Loop: Header=BB955_213 Depth=1
	s_or_b64 exec, exec, s[16:17]
.LBB955_506:                            ;   in Loop: Header=BB955_213 Depth=1
	s_or_b64 exec, exec, s[14:15]
.LBB955_507:                            ;   in Loop: Header=BB955_213 Depth=1
	s_or_b64 exec, exec, s[12:13]
	v_lshrrev_b16_e32 v46, 8, v44
	v_cmp_ne_u16_e32 vcc, 0, v46
	v_mov_b32_e32 v51, 0
	v_mov_b32_e32 v50, 0
	s_and_saveexec_b64 s[12:13], vcc
	s_cbranch_execz .LBB955_513
; %bb.508:                              ;   in Loop: Header=BB955_213 Depth=1
	v_cmp_ne_u16_e32 vcc, s9, v46
	v_mov_b32_e32 v50, 0xffff8000
	s_and_saveexec_b64 s[14:15], vcc
	s_cbranch_execz .LBB955_512
; %bb.509:                              ;   in Loop: Header=BB955_213 Depth=1
	v_and_b32_e32 v41, 0x7f, v46
	v_cmp_ne_u32_e32 vcc, s21, v41
	v_mov_b32_e32 v50, 0x7f80
	s_and_saveexec_b64 s[16:17], vcc
	s_cbranch_execz .LBB955_511
; %bb.510:                              ;   in Loop: Header=BB955_213 Depth=1
	v_and_b32_e32 v50, 7, v46
	v_ffbh_u32_e32 v52, v50
	v_min_u32_e32 v61, 32, v52
	v_subrev_u32_e32 v52, 28, v61
	v_lshlrev_b64 v[52:53], v52, v[46:47]
	v_lshrrev_b32_e32 v60, 3, v41
	v_sub_u32_e32 v46, 29, v61
	v_and_b32_e32 v52, 7, v52
	v_cmp_gt_u32_e32 vcc, 8, v41
	v_cndmask_b32_e32 v41, v60, v46, vcc
	v_cndmask_b32_e32 v46, v50, v52, vcc
	v_lshlrev_b32_e32 v50, 16, v44
	v_lshlrev_b32_e32 v46, 20, v46
	v_and_b32_e32 v50, 0x80000000, v50
	v_lshl_add_u32 v41, v41, 23, v48
	v_or3_b32 v41, v50, v41, v46
	v_lshrrev_b32_e32 v50, 16, v41
.LBB955_511:                            ;   in Loop: Header=BB955_213 Depth=1
	s_or_b64 exec, exec, s[16:17]
.LBB955_512:                            ;   in Loop: Header=BB955_213 Depth=1
	s_or_b64 exec, exec, s[14:15]
.LBB955_513:                            ;   in Loop: Header=BB955_213 Depth=1
	s_or_b64 exec, exec, s[12:13]
	v_lshrrev_b32_e32 v46, 16, v44
	v_cmp_ne_u16_sdwa s[14:15], v46, v47 src0_sel:BYTE_0 src1_sel:DWORD
	s_and_saveexec_b64 s[12:13], s[14:15]
	s_cbranch_execz .LBB955_519
; %bb.514:                              ;   in Loop: Header=BB955_213 Depth=1
	v_cmp_ne_u16_sdwa s[16:17], v46, s9 src0_sel:BYTE_0 src1_sel:DWORD
	v_mov_b32_e32 v51, 0xffff8000
	s_and_saveexec_b64 s[14:15], s[16:17]
	s_cbranch_execz .LBB955_518
; %bb.515:                              ;   in Loop: Header=BB955_213 Depth=1
	v_bfe_u32 v41, v44, 16, 7
	v_cmp_ne_u32_e32 vcc, s21, v41
	v_mov_b32_e32 v51, 0x7f80
	s_and_saveexec_b64 s[16:17], vcc
	s_cbranch_execz .LBB955_517
; %bb.516:                              ;   in Loop: Header=BB955_213 Depth=1
	v_and_b32_e32 v51, 7, v46
	v_ffbh_u32_e32 v52, v51
	v_min_u32_e32 v61, 32, v52
	v_subrev_u32_e32 v52, 28, v61
	v_lshlrev_b64 v[52:53], v52, v[46:47]
	v_lshrrev_b32_e32 v60, 3, v41
	v_sub_u32_e32 v53, 29, v61
	v_and_b32_e32 v52, 7, v52
	v_cmp_gt_u32_e32 vcc, 8, v41
	v_cndmask_b32_e32 v41, v60, v53, vcc
	v_cndmask_b32_e32 v51, v51, v52, vcc
	v_lshlrev_b32_e32 v46, 24, v46
	v_lshlrev_b32_e32 v51, 20, v51
	v_and_b32_e32 v46, 0x80000000, v46
	v_lshl_add_u32 v41, v41, 23, v48
	v_or3_b32 v41, v46, v41, v51
	v_lshrrev_b32_e32 v51, 16, v41
.LBB955_517:                            ;   in Loop: Header=BB955_213 Depth=1
	s_or_b64 exec, exec, s[16:17]
.LBB955_518:                            ;   in Loop: Header=BB955_213 Depth=1
	s_or_b64 exec, exec, s[14:15]
.LBB955_519:                            ;   in Loop: Header=BB955_213 Depth=1
	s_or_b64 exec, exec, s[12:13]
	v_cmp_lt_u32_e32 vcc, s22, v44
	v_mov_b32_e32 v52, 0
	v_mov_b32_e32 v53, 0
	s_and_saveexec_b64 s[12:13], vcc
	s_cbranch_execz .LBB955_525
; %bb.520:                              ;   in Loop: Header=BB955_213 Depth=1
	v_lshrrev_b32_e32 v46, 24, v44
	v_cmp_ne_u32_e32 vcc, s9, v46
	v_mov_b32_e32 v53, 0xffff8000
	s_and_saveexec_b64 s[14:15], vcc
	s_cbranch_execz .LBB955_524
; %bb.521:                              ;   in Loop: Header=BB955_213 Depth=1
	v_bfe_u32 v41, v44, 24, 7
	v_cmp_ne_u32_e32 vcc, s21, v41
	v_mov_b32_e32 v53, 0x7f80
	s_and_saveexec_b64 s[16:17], vcc
	s_cbranch_execz .LBB955_523
; %bb.522:                              ;   in Loop: Header=BB955_213 Depth=1
	v_and_b32_e32 v44, 7, v46
	v_ffbh_u32_e32 v60, v44
	v_min_u32_e32 v62, 32, v60
	v_subrev_u32_e32 v60, 28, v62
	v_lshlrev_b64 v[60:61], v60, v[46:47]
	v_lshrrev_b32_e32 v53, 3, v41
	v_sub_u32_e32 v61, 29, v62
	v_and_b32_e32 v60, 7, v60
	v_cmp_gt_u32_e32 vcc, 8, v41
	v_cndmask_b32_e32 v41, v53, v61, vcc
	v_cndmask_b32_e32 v44, v44, v60, vcc
	v_lshlrev_b32_e32 v46, 24, v46
	v_lshlrev_b32_e32 v44, 20, v44
	v_and_b32_e32 v46, 0x80000000, v46
	v_lshl_add_u32 v41, v41, 23, v48
	v_or3_b32 v41, v46, v41, v44
	v_lshrrev_b32_e32 v53, 16, v41
.LBB955_523:                            ;   in Loop: Header=BB955_213 Depth=1
	s_or_b64 exec, exec, s[16:17]
.LBB955_524:                            ;   in Loop: Header=BB955_213 Depth=1
	s_or_b64 exec, exec, s[14:15]
.LBB955_525:                            ;   in Loop: Header=BB955_213 Depth=1
	s_or_b64 exec, exec, s[12:13]
	s_waitcnt vmcnt(2)
	v_cmp_ne_u16_sdwa s[14:15], v42, v47 src0_sel:BYTE_0 src1_sel:DWORD
	s_and_saveexec_b64 s[12:13], s[14:15]
	s_cbranch_execz .LBB955_531
; %bb.526:                              ;   in Loop: Header=BB955_213 Depth=1
	v_cmp_ne_u16_sdwa s[16:17], v42, s9 src0_sel:BYTE_0 src1_sel:DWORD
	v_mov_b32_e32 v52, 0xffff8000
	s_and_saveexec_b64 s[14:15], s[16:17]
	s_cbranch_execz .LBB955_530
; %bb.527:                              ;   in Loop: Header=BB955_213 Depth=1
	v_and_b32_e32 v41, 0x7f, v42
	v_cmp_ne_u32_e32 vcc, s21, v41
	v_mov_b32_e32 v52, 0x7f80
	s_and_saveexec_b64 s[16:17], vcc
	s_cbranch_execz .LBB955_529
; %bb.528:                              ;   in Loop: Header=BB955_213 Depth=1
	v_and_b32_e32 v44, 7, v42
	v_ffbh_u32_e32 v52, v44
	v_min_u32_e32 v52, 32, v52
	v_subrev_u32_e32 v60, 28, v52
	v_lshlrev_b64 v[60:61], v60, v[42:43]
	v_lshrrev_b32_e32 v46, 3, v41
	v_sub_u32_e32 v52, 29, v52
	v_and_b32_e32 v60, 7, v60
	v_cmp_gt_u32_e32 vcc, 8, v41
	v_cndmask_b32_e32 v41, v46, v52, vcc
	v_cndmask_b32_e32 v44, v44, v60, vcc
	v_lshlrev_b32_e32 v46, 24, v42
	v_lshlrev_b32_e32 v44, 20, v44
	v_and_b32_e32 v46, 0x80000000, v46
	v_lshl_add_u32 v41, v41, 23, v48
	v_or3_b32 v41, v46, v41, v44
	v_lshrrev_b32_e32 v52, 16, v41
.LBB955_529:                            ;   in Loop: Header=BB955_213 Depth=1
	s_or_b64 exec, exec, s[16:17]
.LBB955_530:                            ;   in Loop: Header=BB955_213 Depth=1
	s_or_b64 exec, exec, s[14:15]
.LBB955_531:                            ;   in Loop: Header=BB955_213 Depth=1
	s_or_b64 exec, exec, s[12:13]
	v_lshrrev_b16_e32 v44, 8, v42
	v_cmp_ne_u16_e32 vcc, 0, v44
	v_mov_b32_e32 v60, 0
	v_mov_b32_e32 v46, 0
	s_and_saveexec_b64 s[12:13], vcc
	s_cbranch_execz .LBB955_537
; %bb.532:                              ;   in Loop: Header=BB955_213 Depth=1
	v_cmp_ne_u16_e32 vcc, s9, v44
	v_mov_b32_e32 v46, 0xffff8000
	s_and_saveexec_b64 s[14:15], vcc
	s_cbranch_execz .LBB955_536
; %bb.533:                              ;   in Loop: Header=BB955_213 Depth=1
	v_and_b32_e32 v41, 0x7f, v44
	v_cmp_ne_u32_e32 vcc, s21, v41
	v_mov_b32_e32 v46, 0x7f80
	s_and_saveexec_b64 s[16:17], vcc
	s_cbranch_execz .LBB955_535
; %bb.534:                              ;   in Loop: Header=BB955_213 Depth=1
	v_and_b32_e32 v46, 7, v44
	v_ffbh_u32_e32 v62, v46
	v_min_u32_e32 v64, 32, v62
	v_subrev_u32_e32 v62, 28, v64
	v_lshlrev_b64 v[62:63], v62, v[44:45]
	v_lshrrev_b32_e32 v61, 3, v41
	v_sub_u32_e32 v44, 29, v64
	v_and_b32_e32 v62, 7, v62
	v_cmp_gt_u32_e32 vcc, 8, v41
	v_cndmask_b32_e32 v41, v61, v44, vcc
	v_cndmask_b32_e32 v44, v46, v62, vcc
	v_lshlrev_b32_e32 v46, 16, v42
	v_lshlrev_b32_e32 v44, 20, v44
	v_and_b32_e32 v46, 0x80000000, v46
	v_lshl_add_u32 v41, v41, 23, v48
	v_or3_b32 v41, v46, v41, v44
	v_lshrrev_b32_e32 v46, 16, v41
.LBB955_535:                            ;   in Loop: Header=BB955_213 Depth=1
	s_or_b64 exec, exec, s[16:17]
.LBB955_536:                            ;   in Loop: Header=BB955_213 Depth=1
	s_or_b64 exec, exec, s[14:15]
.LBB955_537:                            ;   in Loop: Header=BB955_213 Depth=1
	s_or_b64 exec, exec, s[12:13]
	v_lshrrev_b32_e32 v44, 16, v42
	v_cmp_ne_u16_sdwa s[14:15], v44, v47 src0_sel:BYTE_0 src1_sel:DWORD
	s_and_saveexec_b64 s[12:13], s[14:15]
	s_cbranch_execz .LBB955_543
; %bb.538:                              ;   in Loop: Header=BB955_213 Depth=1
	v_cmp_ne_u16_sdwa s[16:17], v44, s9 src0_sel:BYTE_0 src1_sel:DWORD
	v_mov_b32_e32 v60, 0xffff8000
	s_and_saveexec_b64 s[14:15], s[16:17]
	s_cbranch_execz .LBB955_542
; %bb.539:                              ;   in Loop: Header=BB955_213 Depth=1
	v_bfe_u32 v41, v42, 16, 7
	v_cmp_ne_u32_e32 vcc, s21, v41
	v_mov_b32_e32 v60, 0x7f80
	s_and_saveexec_b64 s[16:17], vcc
	s_cbranch_execz .LBB955_541
; %bb.540:                              ;   in Loop: Header=BB955_213 Depth=1
	v_and_b32_e32 v62, 7, v44
	v_ffbh_u32_e32 v60, v62
	v_min_u32_e32 v64, 32, v60
	v_subrev_u32_e32 v60, 28, v64
	v_lshlrev_b64 v[60:61], v60, v[44:45]
	v_lshrrev_b32_e32 v63, 3, v41
	v_sub_u32_e32 v61, 29, v64
	v_and_b32_e32 v60, 7, v60
	v_cmp_gt_u32_e32 vcc, 8, v41
	v_cndmask_b32_e32 v41, v63, v61, vcc
	v_cndmask_b32_e32 v60, v62, v60, vcc
	v_lshlrev_b32_e32 v44, 24, v44
	v_lshlrev_b32_e32 v60, 20, v60
	v_and_b32_e32 v44, 0x80000000, v44
	v_lshl_add_u32 v41, v41, 23, v48
	v_or3_b32 v41, v44, v41, v60
	v_lshrrev_b32_e32 v60, 16, v41
.LBB955_541:                            ;   in Loop: Header=BB955_213 Depth=1
	s_or_b64 exec, exec, s[16:17]
.LBB955_542:                            ;   in Loop: Header=BB955_213 Depth=1
	s_or_b64 exec, exec, s[14:15]
.LBB955_543:                            ;   in Loop: Header=BB955_213 Depth=1
	s_or_b64 exec, exec, s[12:13]
	v_cmp_lt_u32_e32 vcc, s22, v42
	v_mov_b32_e32 v41, 0
	v_mov_b32_e32 v61, 0
	s_and_saveexec_b64 s[12:13], vcc
	s_cbranch_execz .LBB955_549
; %bb.544:                              ;   in Loop: Header=BB955_213 Depth=1
	v_lshrrev_b32_e32 v44, 24, v42
	v_cmp_ne_u32_e32 vcc, s9, v44
	v_mov_b32_e32 v61, 0xffff8000
	s_and_saveexec_b64 s[14:15], vcc
	s_cbranch_execz .LBB955_548
; %bb.545:                              ;   in Loop: Header=BB955_213 Depth=1
	v_bfe_u32 v42, v42, 24, 7
	v_cmp_ne_u32_e32 vcc, s21, v42
	v_mov_b32_e32 v61, 0x7f80
	s_and_saveexec_b64 s[16:17], vcc
	s_cbranch_execz .LBB955_547
; %bb.546:                              ;   in Loop: Header=BB955_213 Depth=1
	v_and_b32_e32 v61, 7, v44
	v_ffbh_u32_e32 v62, v61
	v_min_u32_e32 v65, 32, v62
	v_subrev_u32_e32 v62, 28, v65
	v_lshlrev_b64 v[62:63], v62, v[44:45]
	v_lshrrev_b32_e32 v64, 3, v42
	v_sub_u32_e32 v63, 29, v65
	v_and_b32_e32 v62, 7, v62
	v_cmp_gt_u32_e32 vcc, 8, v42
	v_cndmask_b32_e32 v42, v64, v63, vcc
	v_cndmask_b32_e32 v61, v61, v62, vcc
	v_lshlrev_b32_e32 v44, 24, v44
	v_lshlrev_b32_e32 v61, 20, v61
	v_and_b32_e32 v44, 0x80000000, v44
	v_lshl_add_u32 v42, v42, 23, v48
	v_or3_b32 v42, v44, v42, v61
	v_lshrrev_b32_e32 v61, 16, v42
.LBB955_547:                            ;   in Loop: Header=BB955_213 Depth=1
	s_or_b64 exec, exec, s[16:17]
.LBB955_548:                            ;   in Loop: Header=BB955_213 Depth=1
	s_or_b64 exec, exec, s[14:15]
.LBB955_549:                            ;   in Loop: Header=BB955_213 Depth=1
	s_or_b64 exec, exec, s[12:13]
	v_perm_b32 v51, v53, v51, s23
	v_perm_b32 v50, v50, v49, s23
	s_waitcnt vmcnt(1)
	v_cmp_ne_u16_sdwa s[14:15], v40, v47 src0_sel:BYTE_0 src1_sel:DWORD
	v_mfma_f32_16x16x16bf16_1k v[34:37], v[50:51], v[26:27], v[34:37]
	v_perm_b32 v51, v61, v60, s23
	v_perm_b32 v50, v46, v52, s23
	s_nop 1
	v_mfma_f32_16x16x16bf16_1k v[34:37], v[50:51], v[28:29], v[34:37]
	s_and_saveexec_b64 s[12:13], s[14:15]
	s_cbranch_execz .LBB955_555
; %bb.550:                              ;   in Loop: Header=BB955_213 Depth=1
	v_cmp_ne_u16_sdwa s[16:17], v40, s9 src0_sel:BYTE_0 src1_sel:DWORD
	v_mov_b32_e32 v41, 0xffff8000
	s_and_saveexec_b64 s[14:15], s[16:17]
	s_cbranch_execz .LBB955_554
; %bb.551:                              ;   in Loop: Header=BB955_213 Depth=1
	v_and_b32_e32 v42, 0x7f, v40
	v_cmp_ne_u32_e32 vcc, s21, v42
	v_mov_b32_e32 v41, 0x7f80
	s_and_saveexec_b64 s[16:17], vcc
	s_cbranch_execz .LBB955_553
; %bb.552:                              ;   in Loop: Header=BB955_213 Depth=1
	v_and_b32_e32 v41, 7, v40
	v_ffbh_u32_e32 v46, v41
	v_min_u32_e32 v46, 32, v46
	v_subrev_u32_e32 v49, 28, v46
	v_lshlrev_b64 v[50:51], v49, v[40:41]
	v_lshrrev_b32_e32 v44, 3, v42
	v_sub_u32_e32 v46, 29, v46
	v_and_b32_e32 v49, 7, v50
	v_cmp_gt_u32_e32 vcc, 8, v42
	v_cndmask_b32_e32 v42, v44, v46, vcc
	v_cndmask_b32_e32 v41, v41, v49, vcc
	v_lshlrev_b32_e32 v44, 24, v40
	v_lshlrev_b32_e32 v41, 20, v41
	v_and_b32_e32 v44, 0x80000000, v44
	v_lshl_add_u32 v42, v42, 23, v48
	v_or3_b32 v41, v44, v42, v41
	v_lshrrev_b32_e32 v41, 16, v41
.LBB955_553:                            ;   in Loop: Header=BB955_213 Depth=1
	s_or_b64 exec, exec, s[16:17]
.LBB955_554:                            ;   in Loop: Header=BB955_213 Depth=1
	s_or_b64 exec, exec, s[14:15]
.LBB955_555:                            ;   in Loop: Header=BB955_213 Depth=1
	s_or_b64 exec, exec, s[12:13]
	v_lshrrev_b16_e32 v42, 8, v40
	v_cmp_ne_u16_e32 vcc, 0, v42
	v_mov_b32_e32 v46, 0
	v_mov_b32_e32 v44, 0
	s_and_saveexec_b64 s[12:13], vcc
	s_cbranch_execz .LBB955_561
; %bb.556:                              ;   in Loop: Header=BB955_213 Depth=1
	v_cmp_ne_u16_e32 vcc, s9, v42
	v_mov_b32_e32 v44, 0xffff8000
	s_and_saveexec_b64 s[14:15], vcc
	s_cbranch_execz .LBB955_560
; %bb.557:                              ;   in Loop: Header=BB955_213 Depth=1
	v_and_b32_e32 v49, 0x7f, v42
	v_cmp_ne_u32_e32 vcc, s21, v49
	v_mov_b32_e32 v44, 0x7f80
	s_and_saveexec_b64 s[16:17], vcc
	s_cbranch_execz .LBB955_559
; %bb.558:                              ;   in Loop: Header=BB955_213 Depth=1
	v_and_b32_e32 v44, 7, v42
	v_ffbh_u32_e32 v50, v44
	v_min_u32_e32 v53, 32, v50
	v_subrev_u32_e32 v50, 28, v53
	v_lshlrev_b64 v[50:51], v50, v[42:43]
	v_lshrrev_b32_e32 v52, 3, v49
	v_sub_u32_e32 v42, 29, v53
	v_and_b32_e32 v50, 7, v50
	v_cmp_gt_u32_e32 vcc, 8, v49
	v_cndmask_b32_e32 v42, v52, v42, vcc
	v_cndmask_b32_e32 v44, v44, v50, vcc
	v_lshlrev_b32_e32 v49, 16, v40
	v_lshlrev_b32_e32 v44, 20, v44
	v_and_b32_e32 v49, 0x80000000, v49
	v_lshl_add_u32 v42, v42, 23, v48
	v_or3_b32 v42, v49, v42, v44
	v_lshrrev_b32_e32 v44, 16, v42
.LBB955_559:                            ;   in Loop: Header=BB955_213 Depth=1
	s_or_b64 exec, exec, s[16:17]
.LBB955_560:                            ;   in Loop: Header=BB955_213 Depth=1
	s_or_b64 exec, exec, s[14:15]
.LBB955_561:                            ;   in Loop: Header=BB955_213 Depth=1
	s_or_b64 exec, exec, s[12:13]
	v_lshrrev_b32_e32 v42, 16, v40
	v_cmp_ne_u16_sdwa s[14:15], v42, v47 src0_sel:BYTE_0 src1_sel:DWORD
	s_and_saveexec_b64 s[12:13], s[14:15]
	s_cbranch_execz .LBB955_567
; %bb.562:                              ;   in Loop: Header=BB955_213 Depth=1
	v_cmp_ne_u16_sdwa s[16:17], v42, s9 src0_sel:BYTE_0 src1_sel:DWORD
	v_mov_b32_e32 v46, 0xffff8000
	s_and_saveexec_b64 s[14:15], s[16:17]
	s_cbranch_execz .LBB955_566
; %bb.563:                              ;   in Loop: Header=BB955_213 Depth=1
	v_bfe_u32 v49, v40, 16, 7
	v_cmp_ne_u32_e32 vcc, s21, v49
	v_mov_b32_e32 v46, 0x7f80
	s_and_saveexec_b64 s[16:17], vcc
	s_cbranch_execz .LBB955_565
; %bb.564:                              ;   in Loop: Header=BB955_213 Depth=1
	v_and_b32_e32 v46, 7, v42
	v_ffbh_u32_e32 v50, v46
	v_min_u32_e32 v53, 32, v50
	v_subrev_u32_e32 v50, 28, v53
	v_lshlrev_b64 v[50:51], v50, v[42:43]
	v_lshrrev_b32_e32 v52, 3, v49
	v_sub_u32_e32 v51, 29, v53
	v_and_b32_e32 v50, 7, v50
	v_cmp_gt_u32_e32 vcc, 8, v49
	v_cndmask_b32_e32 v49, v52, v51, vcc
	v_cndmask_b32_e32 v46, v46, v50, vcc
	v_lshlrev_b32_e32 v42, 24, v42
	v_lshlrev_b32_e32 v46, 20, v46
	v_and_b32_e32 v42, 0x80000000, v42
	v_lshl_add_u32 v49, v49, 23, v48
	v_or3_b32 v42, v42, v49, v46
	v_lshrrev_b32_e32 v46, 16, v42
.LBB955_565:                            ;   in Loop: Header=BB955_213 Depth=1
	s_or_b64 exec, exec, s[16:17]
.LBB955_566:                            ;   in Loop: Header=BB955_213 Depth=1
	s_or_b64 exec, exec, s[14:15]
.LBB955_567:                            ;   in Loop: Header=BB955_213 Depth=1
	s_or_b64 exec, exec, s[12:13]
	v_cmp_lt_u32_e32 vcc, s22, v40
	v_mov_b32_e32 v49, 0
	v_mov_b32_e32 v50, 0
	s_and_saveexec_b64 s[12:13], vcc
	s_cbranch_execz .LBB955_573
; %bb.568:                              ;   in Loop: Header=BB955_213 Depth=1
	v_lshrrev_b32_e32 v42, 24, v40
	v_cmp_ne_u32_e32 vcc, s9, v42
	v_mov_b32_e32 v50, 0xffff8000
	s_and_saveexec_b64 s[14:15], vcc
	s_cbranch_execz .LBB955_572
; %bb.569:                              ;   in Loop: Header=BB955_213 Depth=1
	v_bfe_u32 v40, v40, 24, 7
	v_cmp_ne_u32_e32 vcc, s21, v40
	v_mov_b32_e32 v50, 0x7f80
	s_and_saveexec_b64 s[16:17], vcc
	s_cbranch_execz .LBB955_571
; %bb.570:                              ;   in Loop: Header=BB955_213 Depth=1
	v_and_b32_e32 v52, 7, v42
	v_ffbh_u32_e32 v50, v52
	v_min_u32_e32 v60, 32, v50
	v_subrev_u32_e32 v50, 28, v60
	v_lshlrev_b64 v[50:51], v50, v[42:43]
	v_lshrrev_b32_e32 v53, 3, v40
	v_sub_u32_e32 v51, 29, v60
	v_and_b32_e32 v50, 7, v50
	v_cmp_gt_u32_e32 vcc, 8, v40
	v_cndmask_b32_e32 v40, v53, v51, vcc
	v_cndmask_b32_e32 v50, v52, v50, vcc
	v_lshlrev_b32_e32 v42, 24, v42
	v_lshlrev_b32_e32 v50, 20, v50
	v_and_b32_e32 v42, 0x80000000, v42
	v_lshl_add_u32 v40, v40, 23, v48
	v_or3_b32 v40, v42, v40, v50
	v_lshrrev_b32_e32 v50, 16, v40
.LBB955_571:                            ;   in Loop: Header=BB955_213 Depth=1
	s_or_b64 exec, exec, s[16:17]
.LBB955_572:                            ;   in Loop: Header=BB955_213 Depth=1
	s_or_b64 exec, exec, s[14:15]
.LBB955_573:                            ;   in Loop: Header=BB955_213 Depth=1
	s_or_b64 exec, exec, s[12:13]
	s_waitcnt vmcnt(0)
	v_cmp_ne_u16_sdwa s[14:15], v38, v47 src0_sel:BYTE_0 src1_sel:DWORD
	s_and_saveexec_b64 s[12:13], s[14:15]
	s_cbranch_execz .LBB955_579
; %bb.574:                              ;   in Loop: Header=BB955_213 Depth=1
	v_cmp_ne_u16_sdwa s[16:17], v38, s9 src0_sel:BYTE_0 src1_sel:DWORD
	v_mov_b32_e32 v49, 0xffff8000
	s_and_saveexec_b64 s[14:15], s[16:17]
	s_cbranch_execz .LBB955_578
; %bb.575:                              ;   in Loop: Header=BB955_213 Depth=1
	v_and_b32_e32 v40, 0x7f, v38
	v_cmp_ne_u32_e32 vcc, s21, v40
	v_mov_b32_e32 v49, 0x7f80
	s_and_saveexec_b64 s[16:17], vcc
	s_cbranch_execz .LBB955_577
; %bb.576:                              ;   in Loop: Header=BB955_213 Depth=1
	v_and_b32_e32 v42, 7, v38
	v_ffbh_u32_e32 v51, v42
	v_min_u32_e32 v51, 32, v51
	v_subrev_u32_e32 v52, 28, v51
	v_lshlrev_b64 v[52:53], v52, v[38:39]
	v_lshrrev_b32_e32 v49, 3, v40
	v_sub_u32_e32 v51, 29, v51
	v_and_b32_e32 v52, 7, v52
	v_cmp_gt_u32_e32 vcc, 8, v40
	v_cndmask_b32_e32 v40, v49, v51, vcc
	v_cndmask_b32_e32 v42, v42, v52, vcc
	v_lshlrev_b32_e32 v49, 24, v38
	v_lshlrev_b32_e32 v42, 20, v42
	v_and_b32_e32 v49, 0x80000000, v49
	v_lshl_add_u32 v40, v40, 23, v48
	v_or3_b32 v40, v49, v40, v42
	v_lshrrev_b32_e32 v49, 16, v40
.LBB955_577:                            ;   in Loop: Header=BB955_213 Depth=1
	s_or_b64 exec, exec, s[16:17]
.LBB955_578:                            ;   in Loop: Header=BB955_213 Depth=1
	s_or_b64 exec, exec, s[14:15]
.LBB955_579:                            ;   in Loop: Header=BB955_213 Depth=1
	s_or_b64 exec, exec, s[12:13]
	v_lshrrev_b16_e32 v40, 8, v38
	v_cmp_ne_u16_e32 vcc, 0, v40
	v_mov_b32_e32 v51, 0
	v_mov_b32_e32 v42, 0
	s_and_saveexec_b64 s[12:13], vcc
	s_cbranch_execz .LBB955_585
; %bb.580:                              ;   in Loop: Header=BB955_213 Depth=1
	v_cmp_ne_u16_e32 vcc, s9, v40
	v_mov_b32_e32 v42, 0xffff8000
	s_and_saveexec_b64 s[14:15], vcc
	s_cbranch_execz .LBB955_584
; %bb.581:                              ;   in Loop: Header=BB955_213 Depth=1
	v_and_b32_e32 v52, 0x7f, v40
	v_cmp_ne_u32_e32 vcc, s21, v52
	v_mov_b32_e32 v42, 0x7f80
	s_and_saveexec_b64 s[16:17], vcc
	s_cbranch_execz .LBB955_583
; %bb.582:                              ;   in Loop: Header=BB955_213 Depth=1
	v_and_b32_e32 v42, 7, v40
	v_ffbh_u32_e32 v60, v42
	v_min_u32_e32 v62, 32, v60
	v_subrev_u32_e32 v60, 28, v62
	v_lshlrev_b64 v[60:61], v60, v[40:41]
	v_lshrrev_b32_e32 v53, 3, v52
	v_sub_u32_e32 v40, 29, v62
	v_and_b32_e32 v60, 7, v60
	v_cmp_gt_u32_e32 vcc, 8, v52
	v_cndmask_b32_e32 v40, v53, v40, vcc
	v_cndmask_b32_e32 v42, v42, v60, vcc
	v_lshlrev_b32_e32 v52, 16, v38
	v_lshlrev_b32_e32 v42, 20, v42
	v_and_b32_e32 v52, 0x80000000, v52
	v_lshl_add_u32 v40, v40, 23, v48
	v_or3_b32 v40, v52, v40, v42
	v_lshrrev_b32_e32 v42, 16, v40
.LBB955_583:                            ;   in Loop: Header=BB955_213 Depth=1
	s_or_b64 exec, exec, s[16:17]
.LBB955_584:                            ;   in Loop: Header=BB955_213 Depth=1
	s_or_b64 exec, exec, s[14:15]
.LBB955_585:                            ;   in Loop: Header=BB955_213 Depth=1
	s_or_b64 exec, exec, s[12:13]
	v_lshrrev_b32_e32 v40, 16, v38
	v_cmp_ne_u16_sdwa s[14:15], v40, v47 src0_sel:BYTE_0 src1_sel:DWORD
	s_and_saveexec_b64 s[12:13], s[14:15]
	s_cbranch_execz .LBB955_591
; %bb.586:                              ;   in Loop: Header=BB955_213 Depth=1
	v_cmp_ne_u16_sdwa s[16:17], v40, s9 src0_sel:BYTE_0 src1_sel:DWORD
	v_mov_b32_e32 v51, 0xffff8000
	s_and_saveexec_b64 s[14:15], s[16:17]
	s_cbranch_execz .LBB955_590
; %bb.587:                              ;   in Loop: Header=BB955_213 Depth=1
	v_bfe_u32 v52, v38, 16, 7
	v_cmp_ne_u32_e32 vcc, s21, v52
	v_mov_b32_e32 v51, 0x7f80
	s_and_saveexec_b64 s[16:17], vcc
	s_cbranch_execz .LBB955_589
; %bb.588:                              ;   in Loop: Header=BB955_213 Depth=1
	v_and_b32_e32 v51, 7, v40
	v_ffbh_u32_e32 v60, v51
	v_min_u32_e32 v62, 32, v60
	v_subrev_u32_e32 v60, 28, v62
	v_lshlrev_b64 v[60:61], v60, v[40:41]
	v_lshrrev_b32_e32 v53, 3, v52
	v_sub_u32_e32 v61, 29, v62
	v_and_b32_e32 v60, 7, v60
	v_cmp_gt_u32_e32 vcc, 8, v52
	v_cndmask_b32_e32 v52, v53, v61, vcc
	v_cndmask_b32_e32 v51, v51, v60, vcc
	v_lshlrev_b32_e32 v40, 24, v40
	v_lshlrev_b32_e32 v51, 20, v51
	v_and_b32_e32 v40, 0x80000000, v40
	v_lshl_add_u32 v52, v52, 23, v48
	v_or3_b32 v40, v40, v52, v51
	v_lshrrev_b32_e32 v51, 16, v40
.LBB955_589:                            ;   in Loop: Header=BB955_213 Depth=1
	s_or_b64 exec, exec, s[16:17]
.LBB955_590:                            ;   in Loop: Header=BB955_213 Depth=1
	s_or_b64 exec, exec, s[14:15]
.LBB955_591:                            ;   in Loop: Header=BB955_213 Depth=1
	s_or_b64 exec, exec, s[12:13]
	v_cmp_lt_u32_e32 vcc, s22, v38
	v_mov_b32_e32 v52, 0
	s_and_saveexec_b64 s[12:13], vcc
	s_cbranch_execz .LBB955_212
; %bb.592:                              ;   in Loop: Header=BB955_213 Depth=1
	v_lshrrev_b32_e32 v40, 24, v38
	v_cmp_ne_u32_e32 vcc, s9, v40
	v_mov_b32_e32 v52, 0xffff8000
	s_and_saveexec_b64 s[14:15], vcc
	s_cbranch_execz .LBB955_211
; %bb.593:                              ;   in Loop: Header=BB955_213 Depth=1
	v_bfe_u32 v38, v38, 24, 7
	v_cmp_ne_u32_e32 vcc, s21, v38
	v_mov_b32_e32 v52, 0x7f80
	s_and_saveexec_b64 s[16:17], vcc
	s_cbranch_execz .LBB955_210
; %bb.594:                              ;   in Loop: Header=BB955_213 Depth=1
	v_and_b32_e32 v60, 7, v40
	v_ffbh_u32_e32 v52, v60
	v_min_u32_e32 v62, 32, v52
	v_subrev_u32_e32 v52, 28, v62
	v_lshlrev_b64 v[52:53], v52, v[40:41]
	v_lshrrev_b32_e32 v61, 3, v38
	v_sub_u32_e32 v53, 29, v62
	v_and_b32_e32 v52, 7, v52
	v_cmp_gt_u32_e32 vcc, 8, v38
	v_cndmask_b32_e32 v38, v61, v53, vcc
	v_cndmask_b32_e32 v52, v60, v52, vcc
	v_lshlrev_b32_e32 v40, 24, v40
	v_lshlrev_b32_e32 v52, 20, v52
	v_and_b32_e32 v40, 0x80000000, v40
	v_lshl_add_u32 v38, v38, 23, v48
	v_or3_b32 v38, v40, v38, v52
	v_lshrrev_b32_e32 v52, 16, v38
	s_branch .LBB955_210
.LBB955_595:
	s_barrier
	buffer_load_dword v2, off, s[0:3], 0 offset:320
	buffer_load_dword v5, off, s[0:3], 0 offset:332
	;; [unrolled: 1-line block ×4, first 2 shown]
	v_cmp_gt_u32_e32 vcc, 64, v0
	s_waitcnt vmcnt(0)
	ds_write2st64_b64 v43, v[2:3], v[4:5] offset1:1
	s_waitcnt lgkmcnt(0)
	s_barrier
	s_and_saveexec_b64 s[4:5], vcc
	s_cbranch_execz .LBB955_598
; %bb.596:
	s_lshl_b32 s4, s50, 7
	s_mul_i32 s5, s18, s8
	s_mul_hi_u32 s9, s5, s4
	s_mul_i32 s8, s5, s4
	s_lshl_b64 s[8:9], s[8:9], 1
	v_lshlrev_b32_e32 v4, 6, v55
	s_add_u32 s5, s48, s8
	v_lshl_or_b32 v0, v0, 10, v4
	s_mov_b32 s7, 0
	s_addc_u32 s8, s49, s9
	s_lshl_b32 s6, s24, 7
	v_lshlrev_b32_e32 v2, 5, v1
	v_and_b32_e32 v3, 16, v56
	v_and_b32_e32 v0, 0x1a00, v0
	s_lshl_b64 s[6:7], s[6:7], 1
	v_or3_b32 v0, v0, v2, v3
	s_add_u32 s5, s5, s6
	ds_read_b128 v[6:9], v0 offset:256
	v_or_b32_e32 v2, 12, v1
	s_addc_u32 s6, s8, s7
	ds_read_b128 v[10:13], v0 offset:128
	ds_read_b128 v[14:17], v0
	v_add_u32_e32 v1, s25, v1
	v_mov_b32_e32 v4, s6
	v_add_co_u32_e32 v3, vcc, s5, v54
	v_mad_u64_u32 v[18:19], s[6:7], v1, s4, 0
	v_addc_co_u32_e32 v4, vcc, 0, v4, vcc
	v_lshlrev_b64 v[18:19], 1, v[18:19]
	v_add_co_u32_e32 v18, vcc, v3, v18
	v_addc_co_u32_e32 v19, vcc, v4, v19, vcc
	v_add_u32_e32 v5, 4, v1
	s_waitcnt lgkmcnt(0)
	global_store_dwordx4 v[18:19], v[14:17], off
	v_add_u32_e32 v1, 8, v1
	v_mad_u64_u32 v[14:15], s[6:7], v5, s4, 0
	v_lshlrev_b64 v[14:15], 1, v[14:15]
	v_add_co_u32_e32 v14, vcc, v3, v14
	v_addc_co_u32_e32 v15, vcc, v4, v15, vcc
	global_store_dwordx4 v[14:15], v[10:13], off
	s_nop 0
	v_mad_u64_u32 v[10:11], s[6:7], v1, s4, 0
	v_lshlrev_b64 v[10:11], 1, v[10:11]
	v_add_co_u32_e32 v10, vcc, v3, v10
	v_addc_co_u32_e32 v11, vcc, v4, v11, vcc
	v_cmp_gt_u32_e32 vcc, 14, v2
	global_store_dwordx4 v[10:11], v[6:9], off
	s_and_b64 exec, exec, vcc
	s_cbranch_execz .LBB955_598
; %bb.597:
	ds_read_b128 v[6:9], v0 offset:384
	v_add_u32_e32 v0, s25, v2
	v_mad_u64_u32 v[0:1], s[4:5], v0, s4, 0
	v_lshlrev_b64 v[0:1], 1, v[0:1]
	v_add_co_u32_e32 v0, vcc, v3, v0
	v_addc_co_u32_e32 v1, vcc, v4, v1, vcc
	s_waitcnt lgkmcnt(0)
	global_store_dwordx4 v[0:1], v[6:9], off
.LBB955_598:
	s_endpgm
	.section	.rodata,"a",@progbits
	.p2align	6, 0x0
	.amdhsa_kernel _Z39paged_attention_ll4mi_QKV_mfma16_kernelI14__hip_bfloat16hLN4vllm18Fp8KVCacheDataTypeE1ES0_Li32ELi128ELi256ELb0ELi14EL8MFMAType0EEvPKT_PKT0_S9_ifPKiSB_SB_iPKfiiiPfSE_PS4_PT2_iSD_SD_
		.amdhsa_group_segment_fixed_size 8192
		.amdhsa_private_segment_fixed_size 352
		.amdhsa_kernarg_size 400
		.amdhsa_user_sgpr_count 8
		.amdhsa_user_sgpr_private_segment_buffer 1
		.amdhsa_user_sgpr_dispatch_ptr 0
		.amdhsa_user_sgpr_queue_ptr 0
		.amdhsa_user_sgpr_kernarg_segment_ptr 1
		.amdhsa_user_sgpr_dispatch_id 0
		.amdhsa_user_sgpr_flat_scratch_init 1
		.amdhsa_user_sgpr_kernarg_preload_length 0
		.amdhsa_user_sgpr_kernarg_preload_offset 0
		.amdhsa_user_sgpr_private_segment_size 0
		.amdhsa_uses_dynamic_stack 0
		.amdhsa_system_sgpr_private_segment_wavefront_offset 1
		.amdhsa_system_sgpr_workgroup_id_x 1
		.amdhsa_system_sgpr_workgroup_id_y 1
		.amdhsa_system_sgpr_workgroup_id_z 1
		.amdhsa_system_sgpr_workgroup_info 0
		.amdhsa_system_vgpr_workitem_id 0
		.amdhsa_next_free_vgpr 78
		.amdhsa_next_free_sgpr 53
		.amdhsa_accum_offset 80
		.amdhsa_reserve_vcc 1
		.amdhsa_reserve_flat_scratch 0
		.amdhsa_float_round_mode_32 0
		.amdhsa_float_round_mode_16_64 0
		.amdhsa_float_denorm_mode_32 3
		.amdhsa_float_denorm_mode_16_64 3
		.amdhsa_dx10_clamp 1
		.amdhsa_ieee_mode 1
		.amdhsa_fp16_overflow 0
		.amdhsa_tg_split 0
		.amdhsa_exception_fp_ieee_invalid_op 0
		.amdhsa_exception_fp_denorm_src 0
		.amdhsa_exception_fp_ieee_div_zero 0
		.amdhsa_exception_fp_ieee_overflow 0
		.amdhsa_exception_fp_ieee_underflow 0
		.amdhsa_exception_fp_ieee_inexact 0
		.amdhsa_exception_int_div_zero 0
	.end_amdhsa_kernel
	.section	.text._Z39paged_attention_ll4mi_QKV_mfma16_kernelI14__hip_bfloat16hLN4vllm18Fp8KVCacheDataTypeE1ES0_Li32ELi128ELi256ELb0ELi14EL8MFMAType0EEvPKT_PKT0_S9_ifPKiSB_SB_iPKfiiiPfSE_PS4_PT2_iSD_SD_,"axG",@progbits,_Z39paged_attention_ll4mi_QKV_mfma16_kernelI14__hip_bfloat16hLN4vllm18Fp8KVCacheDataTypeE1ES0_Li32ELi128ELi256ELb0ELi14EL8MFMAType0EEvPKT_PKT0_S9_ifPKiSB_SB_iPKfiiiPfSE_PS4_PT2_iSD_SD_,comdat
.Lfunc_end955:
	.size	_Z39paged_attention_ll4mi_QKV_mfma16_kernelI14__hip_bfloat16hLN4vllm18Fp8KVCacheDataTypeE1ES0_Li32ELi128ELi256ELb0ELi14EL8MFMAType0EEvPKT_PKT0_S9_ifPKiSB_SB_iPKfiiiPfSE_PS4_PT2_iSD_SD_, .Lfunc_end955-_Z39paged_attention_ll4mi_QKV_mfma16_kernelI14__hip_bfloat16hLN4vllm18Fp8KVCacheDataTypeE1ES0_Li32ELi128ELi256ELb0ELi14EL8MFMAType0EEvPKT_PKT0_S9_ifPKiSB_SB_iPKfiiiPfSE_PS4_PT2_iSD_SD_
                                        ; -- End function
	.section	.AMDGPU.csdata,"",@progbits
; Kernel info:
; codeLenInByte = 22356
; NumSgprs: 57
; NumVgprs: 78
; NumAgprs: 0
; TotalNumVgprs: 78
; ScratchSize: 352
; MemoryBound: 0
; FloatMode: 240
; IeeeMode: 1
; LDSByteSize: 8192 bytes/workgroup (compile time only)
; SGPRBlocks: 7
; VGPRBlocks: 9
; NumSGPRsForWavesPerEU: 57
; NumVGPRsForWavesPerEU: 78
; AccumOffset: 80
; Occupancy: 6
; WaveLimiterHint : 1
; COMPUTE_PGM_RSRC2:SCRATCH_EN: 1
; COMPUTE_PGM_RSRC2:USER_SGPR: 8
; COMPUTE_PGM_RSRC2:TRAP_HANDLER: 0
; COMPUTE_PGM_RSRC2:TGID_X_EN: 1
; COMPUTE_PGM_RSRC2:TGID_Y_EN: 1
; COMPUTE_PGM_RSRC2:TGID_Z_EN: 1
; COMPUTE_PGM_RSRC2:TIDIG_COMP_CNT: 0
; COMPUTE_PGM_RSRC3_GFX90A:ACCUM_OFFSET: 19
; COMPUTE_PGM_RSRC3_GFX90A:TG_SPLIT: 0
	.section	.text._Z39paged_attention_ll4mi_QKV_mfma16_kernelI14__hip_bfloat16hLN4vllm18Fp8KVCacheDataTypeE1ES0_Li32ELi128ELi256ELb0ELi15EL8MFMAType0EEvPKT_PKT0_S9_ifPKiSB_SB_iPKfiiiPfSE_PS4_PT2_iSD_SD_,"axG",@progbits,_Z39paged_attention_ll4mi_QKV_mfma16_kernelI14__hip_bfloat16hLN4vllm18Fp8KVCacheDataTypeE1ES0_Li32ELi128ELi256ELb0ELi15EL8MFMAType0EEvPKT_PKT0_S9_ifPKiSB_SB_iPKfiiiPfSE_PS4_PT2_iSD_SD_,comdat
	.protected	_Z39paged_attention_ll4mi_QKV_mfma16_kernelI14__hip_bfloat16hLN4vllm18Fp8KVCacheDataTypeE1ES0_Li32ELi128ELi256ELb0ELi15EL8MFMAType0EEvPKT_PKT0_S9_ifPKiSB_SB_iPKfiiiPfSE_PS4_PT2_iSD_SD_ ; -- Begin function _Z39paged_attention_ll4mi_QKV_mfma16_kernelI14__hip_bfloat16hLN4vllm18Fp8KVCacheDataTypeE1ES0_Li32ELi128ELi256ELb0ELi15EL8MFMAType0EEvPKT_PKT0_S9_ifPKiSB_SB_iPKfiiiPfSE_PS4_PT2_iSD_SD_
	.globl	_Z39paged_attention_ll4mi_QKV_mfma16_kernelI14__hip_bfloat16hLN4vllm18Fp8KVCacheDataTypeE1ES0_Li32ELi128ELi256ELb0ELi15EL8MFMAType0EEvPKT_PKT0_S9_ifPKiSB_SB_iPKfiiiPfSE_PS4_PT2_iSD_SD_
	.p2align	8
	.type	_Z39paged_attention_ll4mi_QKV_mfma16_kernelI14__hip_bfloat16hLN4vllm18Fp8KVCacheDataTypeE1ES0_Li32ELi128ELi256ELb0ELi15EL8MFMAType0EEvPKT_PKT0_S9_ifPKiSB_SB_iPKfiiiPfSE_PS4_PT2_iSD_SD_,@function
_Z39paged_attention_ll4mi_QKV_mfma16_kernelI14__hip_bfloat16hLN4vllm18Fp8KVCacheDataTypeE1ES0_Li32ELi128ELi256ELb0ELi15EL8MFMAType0EEvPKT_PKT0_S9_ifPKiSB_SB_iPKfiiiPfSE_PS4_PT2_iSD_SD_: ; @_Z39paged_attention_ll4mi_QKV_mfma16_kernelI14__hip_bfloat16hLN4vllm18Fp8KVCacheDataTypeE1ES0_Li32ELi128ELi256ELb0ELi15EL8MFMAType0EEvPKT_PKT0_S9_ifPKiSB_SB_iPKfiiiPfSE_PS4_PT2_iSD_SD_
; %bb.0:
	s_load_dwordx2 s[6:7], s[4:5], 0x30
	s_add_u32 s0, s0, s11
	s_addc_u32 s1, s1, 0
	s_mov_b32 s24, s9
	s_mov_b64 s[12:13], 0
	s_waitcnt lgkmcnt(0)
	s_cmp_lg_u64 s[6:7], 0
	s_cselect_b64 s[16:17], -1, 0
	s_and_b64 vcc, exec, s[16:17]
	s_cbranch_vccz .LBB956_7
; %bb.1:
	s_add_i32 s14, s8, 1
	s_mov_b32 s15, 0
	s_lshl_b64 s[18:19], s[14:15], 2
	s_add_u32 s18, s6, s18
	s_mov_b32 s9, s15
	s_addc_u32 s19, s7, s19
	s_lshl_b64 s[14:15], s[8:9], 2
	s_add_u32 s14, s6, s14
	s_addc_u32 s15, s7, s15
	s_load_dword s11, s[18:19], 0x0
	s_load_dword s20, s[14:15], 0x0
	s_waitcnt lgkmcnt(0)
	s_sub_i32 s11, s11, s20
	s_cmp_eq_u32 s11, 1
	s_cselect_b64 s[14:15], -1, 0
	s_andn2_b64 vcc, exec, s[12:13]
	s_cbranch_vccnz .LBB956_3
.LBB956_2:
	s_mov_b32 s9, 0
	s_mov_b64 s[14:15], -1
.LBB956_3:
	s_andn2_b64 vcc, exec, s[14:15]
	s_cbranch_vccnz .LBB956_598
; %bb.4:
	s_load_dwordx2 s[12:13], s[4:5], 0x28
	s_lshl_b64 s[18:19], s[8:9], 2
	s_waitcnt lgkmcnt(0)
	s_add_u32 s12, s12, s18
	s_addc_u32 s13, s13, s19
	s_load_dword s33, s[12:13], 0x0
	s_lshl_b32 s20, s24, 8
	s_waitcnt lgkmcnt(0)
	s_cmp_ge_i32 s20, s33
	s_cbranch_scc1 .LBB956_598
; %bb.5:
	s_add_i32 s14, s33, 31
	s_load_dwordx2 s[12:13], s[4:5], 0x20
	s_load_dword s11, s[4:5], 0x38
	s_ashr_i32 s15, s14, 31
	v_and_b32_e32 v1, 0xcf, v0
	s_lshr_b32 s15, s15, 27
	v_add_u32_e32 v1, s20, v1
	s_add_i32 s14, s14, s15
	v_ashrrev_i32_e32 v2, 31, v1
	s_ashr_i32 s22, s14, 5
	v_lshrrev_b32_e32 v10, 27, v2
	s_add_i32 s22, s22, -1
	v_add_u32_e32 v2, v1, v10
	s_waitcnt lgkmcnt(0)
	s_mul_i32 s14, s8, s11
	s_mov_b32 s15, 0
	v_ashrrev_i32_e32 v2, 5, v2
	v_mov_b32_e32 v11, s22
	v_cmp_gt_i32_e32 vcc, s33, v1
	s_lshl_b64 s[14:15], s[14:15], 2
	v_cndmask_b32_e32 v2, v11, v2, vcc
	s_add_u32 s11, s12, s14
	v_ashrrev_i32_e32 v3, 31, v2
	s_addc_u32 s21, s13, s15
	v_lshlrev_b64 v[2:3], 2, v[2:3]
	v_mov_b32_e32 v5, s21
	v_add_co_u32_e32 v4, vcc, s11, v2
	v_or_b32_e32 v2, 16, v1
	v_addc_co_u32_e32 v5, vcc, v5, v3, vcc
	v_add_u32_e32 v3, v2, v10
	v_ashrrev_i32_e32 v3, 5, v3
	v_cmp_gt_i32_e32 vcc, s33, v2
	v_cndmask_b32_e32 v2, v11, v3, vcc
	v_ashrrev_i32_e32 v3, 31, v2
	v_lshlrev_b64 v[2:3], 2, v[2:3]
	v_mov_b32_e32 v7, s21
	v_add_co_u32_e32 v6, vcc, s11, v2
	v_or_b32_e32 v2, 32, v1
	v_addc_co_u32_e32 v7, vcc, v7, v3, vcc
	v_add_u32_e32 v3, v2, v10
	v_ashrrev_i32_e32 v3, 5, v3
	v_cmp_gt_i32_e32 vcc, s33, v2
	v_cndmask_b32_e32 v2, v11, v3, vcc
	v_ashrrev_i32_e32 v3, 31, v2
	;; [unrolled: 10-line block ×3, first 2 shown]
	v_lshlrev_b64 v[2:3], 2, v[2:3]
	v_mov_b32_e32 v1, s21
	v_add_co_u32_e32 v12, vcc, s11, v2
	v_addc_co_u32_e32 v13, vcc, v1, v3, vcc
	global_load_dword v2, v[4:5], off
	global_load_dword v10, v[6:7], off
	;; [unrolled: 1-line block ×4, first 2 shown]
	s_load_dwordx4 s[12:15], s[4:5], 0x8
	s_andn2_b64 vcc, exec, s[16:17]
	s_cbranch_vccnz .LBB956_8
; %bb.6:
	s_add_u32 s6, s6, s18
	s_addc_u32 s7, s7, s19
	s_load_dword s16, s[6:7], 0x0
	s_branch .LBB956_9
.LBB956_7:
	s_mov_b64 s[14:15], 0
	s_branch .LBB956_2
.LBB956_8:
	s_mov_b32 s16, s8
.LBB956_9:
	s_load_dwordx2 s[48:49], s[4:5], 0x68
	s_load_dwordx8 s[40:47], s[4:5], 0x48
	v_lshrrev_b32_e32 v62, 6, v0
	v_bfe_u32 v1, v0, 4, 2
	v_and_b32_e32 v55, 15, v0
	v_lshl_or_b32 v3, v62, 2, v1
	v_lshlrev_b32_e32 v4, 3, v55
	s_mul_i32 s25, s10, 15
	v_cmp_gt_u32_e32 vcc, 15, v3
	v_lshlrev_b32_e32 v54, 1, v4
	v_lshlrev_b32_e32 v56, 4, v0
	s_and_saveexec_b64 s[6:7], vcc
	s_cbranch_execz .LBB956_11
; %bb.10:
	s_load_dwordx2 s[18:19], s[4:5], 0x0
	s_waitcnt lgkmcnt(0)
	s_ashr_i32 s17, s40, 31
	s_mul_hi_u32 s23, s16, s40
	s_mul_i32 s17, s16, s17
	s_add_i32 s17, s23, s17
	s_mul_i32 s16, s16, s40
	s_lshl_b64 s[16:17], s[16:17], 1
	v_add_lshl_u32 v4, v3, s25, 7
	s_add_u32 s16, s18, s16
	v_ashrrev_i32_e32 v5, 31, v4
	s_addc_u32 s17, s19, s17
	v_lshlrev_b64 v[4:5], 1, v[4:5]
	v_mov_b32_e32 v6, s17
	v_add_co_u32_e32 v4, vcc, s16, v4
	v_addc_co_u32_e32 v5, vcc, v6, v5, vcc
	v_add_co_u32_e32 v4, vcc, v4, v54
	v_addc_co_u32_e32 v5, vcc, 0, v5, vcc
	global_load_dwordx4 v[4:7], v[4:5], off
	v_lshlrev_b32_e32 v9, 8, v0
	v_lshlrev_b32_e32 v8, 8, v55
	v_and_b32_e32 v9, 0x600, v9
	s_movk_i32 s16, 0x800
	v_and_or_b32 v8, v8, s16, v9
	v_lshlrev_b32_e32 v3, 5, v3
	v_and_b32_e32 v9, 16, v56
	v_or3_b32 v3, v8, v3, v9
	s_waitcnt vmcnt(0)
	ds_write_b128 v3, v[4:7]
.LBB956_11:
	s_or_b64 exec, exec, s[6:7]
	s_waitcnt lgkmcnt(0)
	s_mul_i32 s10, s10, s42
	s_add_u32 s6, s12, s10
	s_addc_u32 s7, s13, 0
	v_and_b32_e32 v3, 48, v0
	s_ashr_i32 s12, s20, 31
	v_or_b32_e32 v11, s20, v3
	s_lshr_b32 s12, s12, 27
	v_add_u32_e32 v4, s12, v11
	v_ashrrev_i32_e32 v4, 5, v4
	v_mov_b32_e32 v12, s22
	v_cmp_gt_i32_e32 vcc, s33, v11
	v_cndmask_b32_e32 v4, v12, v4, vcc
	v_ashrrev_i32_e32 v5, 31, v4
	v_lshlrev_b64 v[4:5], 2, v[4:5]
	v_mov_b32_e32 v6, s21
	v_add_co_u32_e32 v4, vcc, s11, v4
	v_addc_co_u32_e32 v5, vcc, v6, v5, vcc
	v_or_b32_e32 v6, 64, v11
	v_add_u32_e32 v7, s12, v6
	v_ashrrev_i32_e32 v7, 5, v7
	v_cmp_gt_i32_e32 vcc, s33, v6
	v_cndmask_b32_e32 v6, v12, v7, vcc
	v_ashrrev_i32_e32 v7, 31, v6
	v_lshlrev_b64 v[6:7], 2, v[6:7]
	v_mov_b32_e32 v8, s21
	v_add_co_u32_e32 v6, vcc, s11, v6
	v_addc_co_u32_e32 v7, vcc, v8, v7, vcc
	v_or_b32_e32 v8, 0x80, v11
	v_add_u32_e32 v9, s12, v8
	v_ashrrev_i32_e32 v9, 5, v9
	v_cmp_gt_i32_e32 vcc, s33, v8
	v_cndmask_b32_e32 v8, v12, v9, vcc
	v_ashrrev_i32_e32 v9, 31, v8
	v_lshlrev_b64 v[8:9], 2, v[8:9]
	v_mov_b32_e32 v13, s21
	v_add_co_u32_e32 v8, vcc, s11, v8
	s_load_dwordx2 s[50:51], s[4:5], 0x94
	s_waitcnt lgkmcnt(0)
	s_barrier
	v_addc_co_u32_e32 v9, vcc, v13, v9, vcc
	global_load_dword v50, v[4:5], off
	global_load_dword v57, v[6:7], off
	;; [unrolled: 1-line block ×3, first 2 shown]
	v_or_b32_e32 v4, 0xc0, v11
	v_add_u32_e32 v5, s12, v4
	v_ashrrev_i32_e32 v5, 5, v5
	v_cmp_gt_i32_e32 vcc, s33, v4
	v_cndmask_b32_e32 v4, v12, v5, vcc
	v_ashrrev_i32_e32 v5, 31, v4
	v_lshlrev_b64 v[4:5], 2, v[4:5]
	v_mov_b32_e32 v6, s21
	v_add_co_u32_e32 v4, vcc, s11, v4
	v_addc_co_u32_e32 v5, vcc, v6, v5, vcc
	global_load_dword v65, v[4:5], off
	v_pk_mov_b32 v[24:25], s[6:7], s[6:7] op_sel:[0,1]
	v_lshlrev_b32_e32 v28, 5, v3
	s_waitcnt vmcnt(7)
	v_mad_i64_i32 v[2:3], s[6:7], v2, s41, v[24:25]
	v_lshlrev_b32_e32 v23, 4, v55
	v_add_co_u32_e32 v2, vcc, v2, v23
	v_addc_co_u32_e32 v3, vcc, 0, v3, vcc
	v_add_co_u32_e32 v12, vcc, v2, v28
	v_addc_co_u32_e32 v13, vcc, 0, v3, vcc
	global_load_dwordx4 v[6:9], v[12:13], off
	global_load_dwordx4 v[2:5], v[12:13], off offset:2048
	s_waitcnt vmcnt(8)
	v_mad_i64_i32 v[10:11], s[6:7], v10, s41, v[24:25]
	v_or_b32_e32 v29, 0x100, v23
	v_add_co_u32_e32 v10, vcc, v10, v29
	v_addc_co_u32_e32 v11, vcc, 0, v11, vcc
	v_add_co_u32_e32 v20, vcc, v10, v28
	v_addc_co_u32_e32 v21, vcc, 0, v11, vcc
	s_waitcnt vmcnt(7)
	v_mad_i64_i32 v[18:19], s[6:7], v18, s41, v[24:25]
	v_add_co_u32_e32 v18, vcc, v18, v23
	v_addc_co_u32_e32 v19, vcc, 0, v19, vcc
	v_add_co_u32_e32 v26, vcc, v18, v28
	v_addc_co_u32_e32 v27, vcc, 0, v19, vcc
	s_waitcnt vmcnt(6)
	v_mad_i64_i32 v[22:23], s[6:7], v22, s41, v[24:25]
	v_add_co_u32_e32 v22, vcc, v22, v29
	v_addc_co_u32_e32 v23, vcc, 0, v23, vcc
	v_add_co_u32_e32 v30, vcc, v22, v28
	v_addc_co_u32_e32 v31, vcc, 0, v23, vcc
	s_add_u32 s6, s14, s10
	global_load_dwordx4 v[10:13], v[20:21], off
	global_load_dwordx4 v[14:17], v[20:21], off offset:2048
	global_load_dwordx4 v[38:41], v[26:27], off
	s_nop 0
	global_load_dwordx4 v[18:21], v[26:27], off offset:2048
	s_nop 0
	global_load_dwordx4 v[26:29], v[30:31], off
	global_load_dwordx4 v[22:25], v[30:31], off offset:2048
	s_addc_u32 s7, s15, 0
	v_and_b32_e32 v30, 16, v0
	v_mov_b32_e32 v31, s7
	v_add_co_u32_e32 v51, vcc, s6, v30
	v_lshl_or_b32 v63, v62, 4, v55
	v_addc_co_u32_e32 v52, vcc, 0, v31, vcc
	v_lshlrev_b32_e32 v53, 5, v63
	v_add_co_u32_e32 v42, vcc, v51, v53
	v_addc_co_u32_e32 v43, vcc, 0, v52, vcc
	v_or_b32_e32 v53, 0x800, v53
	v_add_co_u32_e32 v58, vcc, v51, v53
	s_waitcnt vmcnt(11)
	v_mad_i64_i32 v[30:31], s[6:7], v50, s41, v[42:43]
	s_waitcnt vmcnt(10)
	v_mad_i64_i32 v[34:35], s[6:7], v57, s41, v[42:43]
	s_waitcnt vmcnt(9)
	v_mad_i64_i32 v[44:45], s[6:7], v64, s41, v[42:43]
	global_load_dwordx4 v[30:33], v[30:31], off
	v_addc_co_u32_e32 v59, vcc, 0, v52, vcc
	global_load_dwordx4 v[34:37], v[34:35], off
	v_mad_i64_i32 v[50:51], s[6:7], v50, s41, v[58:59]
	v_mad_i64_i32 v[60:61], s[6:7], v57, s41, v[58:59]
	s_waitcnt vmcnt(10)
	v_mad_i64_i32 v[42:43], s[6:7], v65, s41, v[42:43]
	global_load_dwordx4 v[46:49], v[44:45], off
	s_nop 0
	global_load_dwordx4 v[42:45], v[42:43], off
	v_cmp_ne_u32_e32 vcc, 15, v55
	global_load_dwordx4 v[50:53], v[50:51], off
	s_mov_b32 s12, 0
	global_load_dwordx4 v[66:69], v[60:61], off
	v_mad_i64_i32 v[60:61], s[6:7], v64, s41, v[58:59]
	global_load_dwordx4 v[70:73], v[60:61], off
	v_and_b32_e32 v64, 63, v0
	s_movk_i32 s13, 0x80
	s_movk_i32 s14, 0x7f
	s_waitcnt vmcnt(14)
	buffer_store_dword v9, off, s[0:3], 0 offset:12
	buffer_store_dword v8, off, s[0:3], 0 offset:8
	v_mad_i64_i32 v[8:9], s[6:7], v65, s41, v[58:59]
	global_load_dwordx4 v[74:77], v[8:9], off
	s_nop 0
	buffer_store_dword v7, off, s[0:3], 0 offset:4
	buffer_store_dword v6, off, s[0:3], 0
	s_waitcnt vmcnt(18)
	buffer_store_dword v5, off, s[0:3], 0 offset:28
	buffer_store_dword v4, off, s[0:3], 0 offset:24
	;; [unrolled: 1-line block ×4, first 2 shown]
	s_waitcnt vmcnt(21)
	buffer_store_dword v13, off, s[0:3], 0 offset:44
	buffer_store_dword v12, off, s[0:3], 0 offset:40
	;; [unrolled: 1-line block ×4, first 2 shown]
	s_load_dword s6, s[4:5], 0x1c
	s_load_dwordx4 s[40:43], s[4:5], 0x80
	v_mov_b32_e32 v2, 0x80
	v_add_u32_e32 v57, 16, v2
	s_waitcnt vmcnt(24)
	buffer_store_dword v17, off, s[0:3], 0 offset:60
	buffer_store_dword v16, off, s[0:3], 0 offset:56
	;; [unrolled: 1-line block ×4, first 2 shown]
	v_add_u32_e32 v61, 32, v2
	v_add_u32_e32 v58, 48, v2
	;; [unrolled: 1-line block ×4, first 2 shown]
	s_waitcnt vmcnt(27)
	buffer_store_dword v41, off, s[0:3], 0 offset:76
	buffer_store_dword v40, off, s[0:3], 0 offset:72
	;; [unrolled: 1-line block ×4, first 2 shown]
	v_add_u32_e32 v41, 0x60, v2
	v_add_u32_e32 v39, 0x70, v2
	v_cndmask_b32_e32 v2, 0, v55, vcc
	v_lshlrev_b32_e32 v2, 5, v2
	v_lshl_or_b32 v14, v1, 9, v2
	ds_read_b128 v[2:5], v14
	ds_read_b128 v[6:9], v14 offset:16
	ds_read_b128 v[10:13], v14 offset:2048
	;; [unrolled: 1-line block ×3, first 2 shown]
	s_waitcnt vmcnt(30)
	buffer_store_dword v21, off, s[0:3], 0 offset:92
	buffer_store_dword v20, off, s[0:3], 0 offset:88
	buffer_store_dword v19, off, s[0:3], 0 offset:84
	buffer_store_dword v18, off, s[0:3], 0 offset:80
	s_waitcnt vmcnt(33)
	buffer_store_dword v29, off, s[0:3], 0 offset:108
	buffer_store_dword v28, off, s[0:3], 0 offset:104
	buffer_store_dword v27, off, s[0:3], 0 offset:100
	buffer_store_dword v26, off, s[0:3], 0 offset:96
	;; [unrolled: 5-line block ×10, first 2 shown]
	s_waitcnt vmcnt(58)
	buffer_store_dword v77, off, s[0:3], 0 offset:252
	s_waitcnt lgkmcnt(0)
	s_load_dword s4, s[40:41], 0x0
	v_mov_b32_e32 v18, s6
	v_mov_b32_e32 v27, 0
	s_mov_b32 s15, 0xffffff
	s_mov_b32 s16, 0x5040100
	s_waitcnt lgkmcnt(0)
	v_mul_f32_e32 v22, s4, v18
	v_mov_b32_e32 v24, v22
	v_mov_b32_e32 v25, v22
	;; [unrolled: 1-line block ×4, first 2 shown]
	v_bfrev_b32_e32 v33, 60
	buffer_store_dword v76, off, s[0:3], 0 offset:248
	buffer_store_dword v75, off, s[0:3], 0 offset:244
	;; [unrolled: 1-line block ×3, first 2 shown]
	s_branch .LBB956_15
.LBB956_12:                             ;   in Loop: Header=BB956_15 Depth=1
	s_or_b64 exec, exec, s[10:11]
.LBB956_13:                             ;   in Loop: Header=BB956_15 Depth=1
	s_or_b64 exec, exec, s[6:7]
.LBB956_14:                             ;   in Loop: Header=BB956_15 Depth=1
	s_or_b64 exec, exec, s[4:5]
	v_perm_b32 v43, v36, v32, s16
	v_perm_b32 v42, v23, v34, s16
	;; [unrolled: 1-line block ×4, first 2 shown]
	v_add_u32_e32 v26, s12, v29
	v_mfma_f32_16x16x16bf16_1k v[18:21], v[42:43], v[14:15], v[18:21]
	s_add_i32 s12, s12, 16
	v_mov_b32_e32 v23, v22
	s_cmp_eq_u32 s12, 64
	v_add_u32_e32 v27, 32, v27
	v_mfma_f32_16x16x16bf16_1k v[18:21], v[36:37], v[16:17], v[18:21]
	s_nop 7
	s_nop 2
	v_pk_mul_f32 v[18:19], v[24:25], v[18:19]
	v_pk_mul_f32 v[20:21], v[22:23], v[20:21]
	buffer_store_dword v19, v26, s[0:3], 0 offen offset:4
	buffer_store_dword v18, v26, s[0:3], 0 offen
	buffer_store_dword v21, v26, s[0:3], 0 offen offset:12
	buffer_store_dword v20, v26, s[0:3], 0 offen offset:8
	s_cbranch_scc1 .LBB956_205
.LBB956_15:                             ; =>This Inner Loop Header: Depth=1
	buffer_load_dword v20, v27, s[0:3], 0 offen
	buffer_load_dword v18, v27, s[0:3], 0 offen offset:4
	buffer_load_dword v28, v27, s[0:3], 0 offen offset:8
	;; [unrolled: 1-line block ×3, first 2 shown]
	v_mov_b32_e32 v19, 0
	s_waitcnt vmcnt(3)
	v_cmp_ne_u16_sdwa s[6:7], v20, v31 src0_sel:BYTE_0 src1_sel:DWORD
	s_and_saveexec_b64 s[4:5], s[6:7]
	s_cbranch_execz .LBB956_21
; %bb.16:                               ;   in Loop: Header=BB956_15 Depth=1
	v_cmp_ne_u16_sdwa s[10:11], v20, s13 src0_sel:BYTE_0 src1_sel:DWORD
	v_mov_b32_e32 v19, 0xffff8000
	s_and_saveexec_b64 s[6:7], s[10:11]
	s_cbranch_execz .LBB956_20
; %bb.17:                               ;   in Loop: Header=BB956_15 Depth=1
	v_and_b32_e32 v21, 0x7f, v20
	v_cmp_ne_u32_e32 vcc, s14, v21
	v_mov_b32_e32 v19, 0x7f80
	s_and_saveexec_b64 s[10:11], vcc
	s_cbranch_execz .LBB956_19
; %bb.18:                               ;   in Loop: Header=BB956_15 Depth=1
	v_and_b32_e32 v19, 7, v20
	v_ffbh_u32_e32 v30, v19
	v_min_u32_e32 v30, 32, v30
	v_subrev_u32_e32 v32, 28, v30
	v_lshlrev_b64 v[34:35], v32, v[20:21]
	v_lshrrev_b32_e32 v23, 3, v21
	v_sub_u32_e32 v30, 29, v30
	v_and_b32_e32 v32, 7, v34
	v_cmp_gt_u32_e32 vcc, 8, v21
	v_cndmask_b32_e32 v21, v23, v30, vcc
	v_cndmask_b32_e32 v19, v19, v32, vcc
	v_lshlrev_b32_e32 v23, 24, v20
	v_lshlrev_b32_e32 v19, 20, v19
	v_and_b32_e32 v23, 0x80000000, v23
	v_lshl_add_u32 v21, v21, 23, v33
	v_or3_b32 v19, v23, v21, v19
	v_lshrrev_b32_e32 v19, 16, v19
.LBB956_19:                             ;   in Loop: Header=BB956_15 Depth=1
	s_or_b64 exec, exec, s[10:11]
.LBB956_20:                             ;   in Loop: Header=BB956_15 Depth=1
	s_or_b64 exec, exec, s[6:7]
.LBB956_21:                             ;   in Loop: Header=BB956_15 Depth=1
	s_or_b64 exec, exec, s[4:5]
	v_lshrrev_b16_e32 v30, 8, v20
	v_cmp_ne_u16_e32 vcc, 0, v30
	v_mov_b32_e32 v23, 0
	v_mov_b32_e32 v21, 0
	s_and_saveexec_b64 s[4:5], vcc
	s_cbranch_execz .LBB956_27
; %bb.22:                               ;   in Loop: Header=BB956_15 Depth=1
	v_cmp_ne_u16_e32 vcc, s13, v30
	v_mov_b32_e32 v21, 0xffff8000
	s_and_saveexec_b64 s[6:7], vcc
	s_cbranch_execz .LBB956_26
; %bb.23:                               ;   in Loop: Header=BB956_15 Depth=1
	v_and_b32_e32 v32, 0x7f, v30
	v_cmp_ne_u32_e32 vcc, s14, v32
	v_mov_b32_e32 v21, 0x7f80
	s_and_saveexec_b64 s[10:11], vcc
	s_cbranch_execz .LBB956_25
; %bb.24:                               ;   in Loop: Header=BB956_15 Depth=1
	v_and_b32_e32 v21, 7, v30
	v_ffbh_u32_e32 v34, v21
	v_min_u32_e32 v37, 32, v34
	v_subrev_u32_e32 v34, 28, v37
	v_lshlrev_b64 v[34:35], v34, v[30:31]
	v_lshrrev_b32_e32 v36, 3, v32
	v_sub_u32_e32 v30, 29, v37
	v_and_b32_e32 v34, 7, v34
	v_cmp_gt_u32_e32 vcc, 8, v32
	v_cndmask_b32_e32 v30, v36, v30, vcc
	v_cndmask_b32_e32 v21, v21, v34, vcc
	v_lshlrev_b32_e32 v32, 16, v20
	v_lshlrev_b32_e32 v21, 20, v21
	v_and_b32_e32 v32, 0x80000000, v32
	v_lshl_add_u32 v30, v30, 23, v33
	v_or3_b32 v21, v32, v30, v21
	v_lshrrev_b32_e32 v21, 16, v21
.LBB956_25:                             ;   in Loop: Header=BB956_15 Depth=1
	s_or_b64 exec, exec, s[10:11]
.LBB956_26:                             ;   in Loop: Header=BB956_15 Depth=1
	s_or_b64 exec, exec, s[6:7]
.LBB956_27:                             ;   in Loop: Header=BB956_15 Depth=1
	s_or_b64 exec, exec, s[4:5]
	v_lshrrev_b32_e32 v30, 16, v20
	v_cmp_ne_u16_sdwa s[6:7], v30, v31 src0_sel:BYTE_0 src1_sel:DWORD
	s_and_saveexec_b64 s[4:5], s[6:7]
	s_cbranch_execz .LBB956_33
; %bb.28:                               ;   in Loop: Header=BB956_15 Depth=1
	v_cmp_ne_u16_sdwa s[10:11], v30, s13 src0_sel:BYTE_0 src1_sel:DWORD
	v_mov_b32_e32 v23, 0xffff8000
	s_and_saveexec_b64 s[6:7], s[10:11]
	s_cbranch_execz .LBB956_32
; %bb.29:                               ;   in Loop: Header=BB956_15 Depth=1
	v_bfe_u32 v32, v20, 16, 7
	v_cmp_ne_u32_e32 vcc, s14, v32
	v_mov_b32_e32 v23, 0x7f80
	s_and_saveexec_b64 s[10:11], vcc
	s_cbranch_execz .LBB956_31
; %bb.30:                               ;   in Loop: Header=BB956_15 Depth=1
	v_and_b32_e32 v23, 7, v30
	v_ffbh_u32_e32 v34, v23
	v_min_u32_e32 v37, 32, v34
	v_subrev_u32_e32 v34, 28, v37
	v_lshlrev_b64 v[34:35], v34, v[30:31]
	v_lshrrev_b32_e32 v36, 3, v32
	v_sub_u32_e32 v35, 29, v37
	v_and_b32_e32 v34, 7, v34
	v_cmp_gt_u32_e32 vcc, 8, v32
	v_cndmask_b32_e32 v32, v36, v35, vcc
	v_cndmask_b32_e32 v23, v23, v34, vcc
	v_lshlrev_b32_e32 v30, 24, v30
	v_lshlrev_b32_e32 v23, 20, v23
	v_and_b32_e32 v30, 0x80000000, v30
	v_lshl_add_u32 v32, v32, 23, v33
	v_or3_b32 v23, v30, v32, v23
	v_lshrrev_b32_e32 v23, 16, v23
.LBB956_31:                             ;   in Loop: Header=BB956_15 Depth=1
	s_or_b64 exec, exec, s[10:11]
.LBB956_32:                             ;   in Loop: Header=BB956_15 Depth=1
	s_or_b64 exec, exec, s[6:7]
.LBB956_33:                             ;   in Loop: Header=BB956_15 Depth=1
	s_or_b64 exec, exec, s[4:5]
	v_cmp_lt_u32_e32 vcc, s15, v20
	v_mov_b32_e32 v34, 0
	v_mov_b32_e32 v35, 0
	s_and_saveexec_b64 s[4:5], vcc
	s_cbranch_execz .LBB956_39
; %bb.34:                               ;   in Loop: Header=BB956_15 Depth=1
	v_lshrrev_b32_e32 v30, 24, v20
	v_cmp_ne_u32_e32 vcc, s13, v30
	v_mov_b32_e32 v35, 0xffff8000
	s_and_saveexec_b64 s[6:7], vcc
	s_cbranch_execz .LBB956_38
; %bb.35:                               ;   in Loop: Header=BB956_15 Depth=1
	v_bfe_u32 v20, v20, 24, 7
	v_cmp_ne_u32_e32 vcc, s14, v20
	v_mov_b32_e32 v35, 0x7f80
	s_and_saveexec_b64 s[10:11], vcc
	s_cbranch_execz .LBB956_37
; %bb.36:                               ;   in Loop: Header=BB956_15 Depth=1
	v_and_b32_e32 v32, 7, v30
	v_ffbh_u32_e32 v36, v32
	v_min_u32_e32 v38, 32, v36
	v_subrev_u32_e32 v36, 28, v38
	v_lshlrev_b64 v[36:37], v36, v[30:31]
	v_lshrrev_b32_e32 v35, 3, v20
	v_sub_u32_e32 v37, 29, v38
	v_and_b32_e32 v36, 7, v36
	v_cmp_gt_u32_e32 vcc, 8, v20
	v_cndmask_b32_e32 v20, v35, v37, vcc
	v_cndmask_b32_e32 v32, v32, v36, vcc
	v_lshlrev_b32_e32 v30, 24, v30
	v_lshlrev_b32_e32 v32, 20, v32
	v_and_b32_e32 v30, 0x80000000, v30
	v_lshl_add_u32 v20, v20, 23, v33
	v_or3_b32 v20, v30, v20, v32
	v_lshrrev_b32_e32 v35, 16, v20
.LBB956_37:                             ;   in Loop: Header=BB956_15 Depth=1
	s_or_b64 exec, exec, s[10:11]
.LBB956_38:                             ;   in Loop: Header=BB956_15 Depth=1
	s_or_b64 exec, exec, s[6:7]
.LBB956_39:                             ;   in Loop: Header=BB956_15 Depth=1
	s_or_b64 exec, exec, s[4:5]
	s_waitcnt vmcnt(2)
	v_cmp_ne_u16_sdwa s[6:7], v18, v31 src0_sel:BYTE_0 src1_sel:DWORD
	s_and_saveexec_b64 s[4:5], s[6:7]
	s_cbranch_execz .LBB956_45
; %bb.40:                               ;   in Loop: Header=BB956_15 Depth=1
	v_cmp_ne_u16_sdwa s[10:11], v18, s13 src0_sel:BYTE_0 src1_sel:DWORD
	v_mov_b32_e32 v34, 0xffff8000
	s_and_saveexec_b64 s[6:7], s[10:11]
	s_cbranch_execz .LBB956_44
; %bb.41:                               ;   in Loop: Header=BB956_15 Depth=1
	v_and_b32_e32 v20, 0x7f, v18
	v_cmp_ne_u32_e32 vcc, s14, v20
	v_mov_b32_e32 v34, 0x7f80
	s_and_saveexec_b64 s[10:11], vcc
	s_cbranch_execz .LBB956_43
; %bb.42:                               ;   in Loop: Header=BB956_15 Depth=1
	v_and_b32_e32 v30, 7, v18
	v_ffbh_u32_e32 v34, v30
	v_min_u32_e32 v34, 32, v34
	v_subrev_u32_e32 v36, 28, v34
	v_lshlrev_b64 v[36:37], v36, v[18:19]
	v_lshrrev_b32_e32 v32, 3, v20
	v_sub_u32_e32 v34, 29, v34
	v_and_b32_e32 v36, 7, v36
	v_cmp_gt_u32_e32 vcc, 8, v20
	v_cndmask_b32_e32 v20, v32, v34, vcc
	v_cndmask_b32_e32 v30, v30, v36, vcc
	v_lshlrev_b32_e32 v32, 24, v18
	v_lshlrev_b32_e32 v30, 20, v30
	v_and_b32_e32 v32, 0x80000000, v32
	v_lshl_add_u32 v20, v20, 23, v33
	v_or3_b32 v20, v32, v20, v30
	v_lshrrev_b32_e32 v34, 16, v20
.LBB956_43:                             ;   in Loop: Header=BB956_15 Depth=1
	s_or_b64 exec, exec, s[10:11]
.LBB956_44:                             ;   in Loop: Header=BB956_15 Depth=1
	s_or_b64 exec, exec, s[6:7]
.LBB956_45:                             ;   in Loop: Header=BB956_15 Depth=1
	s_or_b64 exec, exec, s[4:5]
	v_lshrrev_b16_e32 v20, 8, v18
	v_cmp_ne_u16_e32 vcc, 0, v20
	v_mov_b32_e32 v36, 0
	v_mov_b32_e32 v30, 0
	s_and_saveexec_b64 s[4:5], vcc
	s_cbranch_execz .LBB956_51
; %bb.46:                               ;   in Loop: Header=BB956_15 Depth=1
	v_cmp_ne_u16_e32 vcc, s13, v20
	v_mov_b32_e32 v30, 0xffff8000
	s_and_saveexec_b64 s[6:7], vcc
	s_cbranch_execz .LBB956_50
; %bb.47:                               ;   in Loop: Header=BB956_15 Depth=1
	v_and_b32_e32 v32, 0x7f, v20
	v_cmp_ne_u32_e32 vcc, s14, v32
	v_mov_b32_e32 v30, 0x7f80
	s_and_saveexec_b64 s[10:11], vcc
	s_cbranch_execz .LBB956_49
; %bb.48:                               ;   in Loop: Header=BB956_15 Depth=1
	v_and_b32_e32 v30, 7, v20
	v_ffbh_u32_e32 v38, v30
	v_min_u32_e32 v38, 32, v38
	v_subrev_u32_e32 v40, 28, v38
	v_lshlrev_b64 v[42:43], v40, v[20:21]
	v_lshrrev_b32_e32 v37, 3, v32
	v_sub_u32_e32 v20, 29, v38
	v_and_b32_e32 v38, 7, v42
	v_cmp_gt_u32_e32 vcc, 8, v32
	v_cndmask_b32_e32 v20, v37, v20, vcc
	v_cndmask_b32_e32 v30, v30, v38, vcc
	v_lshlrev_b32_e32 v32, 16, v18
	v_lshlrev_b32_e32 v30, 20, v30
	v_and_b32_e32 v32, 0x80000000, v32
	v_lshl_add_u32 v20, v20, 23, v33
	v_or3_b32 v20, v32, v20, v30
	v_lshrrev_b32_e32 v30, 16, v20
.LBB956_49:                             ;   in Loop: Header=BB956_15 Depth=1
	s_or_b64 exec, exec, s[10:11]
.LBB956_50:                             ;   in Loop: Header=BB956_15 Depth=1
	s_or_b64 exec, exec, s[6:7]
.LBB956_51:                             ;   in Loop: Header=BB956_15 Depth=1
	s_or_b64 exec, exec, s[4:5]
	v_lshrrev_b32_e32 v20, 16, v18
	v_cmp_ne_u16_sdwa s[6:7], v20, v31 src0_sel:BYTE_0 src1_sel:DWORD
	s_and_saveexec_b64 s[4:5], s[6:7]
	s_cbranch_execz .LBB956_57
; %bb.52:                               ;   in Loop: Header=BB956_15 Depth=1
	v_cmp_ne_u16_sdwa s[10:11], v20, s13 src0_sel:BYTE_0 src1_sel:DWORD
	v_mov_b32_e32 v36, 0xffff8000
	s_and_saveexec_b64 s[6:7], s[10:11]
	s_cbranch_execz .LBB956_56
; %bb.53:                               ;   in Loop: Header=BB956_15 Depth=1
	v_bfe_u32 v32, v18, 16, 7
	v_cmp_ne_u32_e32 vcc, s14, v32
	v_mov_b32_e32 v36, 0x7f80
	s_and_saveexec_b64 s[10:11], vcc
	s_cbranch_execz .LBB956_55
; %bb.54:                               ;   in Loop: Header=BB956_15 Depth=1
	v_and_b32_e32 v38, 7, v20
	v_ffbh_u32_e32 v36, v38
	v_min_u32_e32 v42, 32, v36
	v_subrev_u32_e32 v36, 28, v42
	v_lshlrev_b64 v[36:37], v36, v[20:21]
	v_lshrrev_b32_e32 v40, 3, v32
	v_sub_u32_e32 v37, 29, v42
	v_and_b32_e32 v36, 7, v36
	v_cmp_gt_u32_e32 vcc, 8, v32
	v_cndmask_b32_e32 v32, v40, v37, vcc
	v_cndmask_b32_e32 v36, v38, v36, vcc
	v_lshlrev_b32_e32 v20, 24, v20
	v_lshlrev_b32_e32 v36, 20, v36
	v_and_b32_e32 v20, 0x80000000, v20
	v_lshl_add_u32 v32, v32, 23, v33
	v_or3_b32 v20, v20, v32, v36
	v_lshrrev_b32_e32 v36, 16, v20
.LBB956_55:                             ;   in Loop: Header=BB956_15 Depth=1
	s_or_b64 exec, exec, s[10:11]
.LBB956_56:                             ;   in Loop: Header=BB956_15 Depth=1
	s_or_b64 exec, exec, s[6:7]
.LBB956_57:                             ;   in Loop: Header=BB956_15 Depth=1
	s_or_b64 exec, exec, s[4:5]
	v_cmp_lt_u32_e32 vcc, s15, v18
	v_mov_b32_e32 v32, 0
	v_mov_b32_e32 v37, 0
	s_and_saveexec_b64 s[4:5], vcc
	s_cbranch_execz .LBB956_63
; %bb.58:                               ;   in Loop: Header=BB956_15 Depth=1
	v_lshrrev_b32_e32 v20, 24, v18
	v_cmp_ne_u32_e32 vcc, s13, v20
	v_mov_b32_e32 v37, 0xffff8000
	s_and_saveexec_b64 s[6:7], vcc
	s_cbranch_execz .LBB956_62
; %bb.59:                               ;   in Loop: Header=BB956_15 Depth=1
	v_bfe_u32 v18, v18, 24, 7
	v_cmp_ne_u32_e32 vcc, s14, v18
	v_mov_b32_e32 v37, 0x7f80
	s_and_saveexec_b64 s[10:11], vcc
	s_cbranch_execz .LBB956_61
; %bb.60:                               ;   in Loop: Header=BB956_15 Depth=1
	v_and_b32_e32 v37, 7, v20
	v_ffbh_u32_e32 v40, v37
	v_min_u32_e32 v40, 32, v40
	v_subrev_u32_e32 v42, 28, v40
	v_lshlrev_b64 v[42:43], v42, v[20:21]
	v_lshrrev_b32_e32 v38, 3, v18
	v_sub_u32_e32 v40, 29, v40
	v_and_b32_e32 v42, 7, v42
	v_cmp_gt_u32_e32 vcc, 8, v18
	v_cndmask_b32_e32 v18, v38, v40, vcc
	v_cndmask_b32_e32 v37, v37, v42, vcc
	v_lshlrev_b32_e32 v20, 24, v20
	v_lshlrev_b32_e32 v37, 20, v37
	v_and_b32_e32 v20, 0x80000000, v20
	v_lshl_add_u32 v18, v18, 23, v33
	v_or3_b32 v18, v20, v18, v37
	v_lshrrev_b32_e32 v37, 16, v18
.LBB956_61:                             ;   in Loop: Header=BB956_15 Depth=1
	s_or_b64 exec, exec, s[10:11]
.LBB956_62:                             ;   in Loop: Header=BB956_15 Depth=1
	s_or_b64 exec, exec, s[6:7]
.LBB956_63:                             ;   in Loop: Header=BB956_15 Depth=1
	s_or_b64 exec, exec, s[4:5]
	v_perm_b32 v43, v35, v23, s16
	v_perm_b32 v42, v21, v19, s16
	;; [unrolled: 1-line block ×4, first 2 shown]
	s_waitcnt vmcnt(1)
	v_cmp_ne_u16_sdwa s[6:7], v28, v31 src0_sel:BYTE_0 src1_sel:DWORD
	v_mfma_f32_16x16x16bf16_1k v[18:21], v[42:43], v[2:3], 0
	v_mfma_f32_16x16x16bf16_1k v[18:21], v[34:35], v[4:5], v[18:21]
	s_and_saveexec_b64 s[4:5], s[6:7]
	s_cbranch_execz .LBB956_69
; %bb.64:                               ;   in Loop: Header=BB956_15 Depth=1
	v_cmp_ne_u16_sdwa s[10:11], v28, s13 src0_sel:BYTE_0 src1_sel:DWORD
	v_mov_b32_e32 v32, 0xffff8000
	s_and_saveexec_b64 s[6:7], s[10:11]
	s_cbranch_execz .LBB956_68
; %bb.65:                               ;   in Loop: Header=BB956_15 Depth=1
	v_and_b32_e32 v23, 0x7f, v28
	v_cmp_ne_u32_e32 vcc, s14, v23
	v_mov_b32_e32 v32, 0x7f80
	s_and_saveexec_b64 s[10:11], vcc
	s_cbranch_execz .LBB956_67
; %bb.66:                               ;   in Loop: Header=BB956_15 Depth=1
	v_and_b32_e32 v30, 7, v28
	v_ffbh_u32_e32 v34, v30
	v_min_u32_e32 v36, 32, v34
	v_subrev_u32_e32 v34, 28, v36
	v_lshlrev_b64 v[34:35], v34, v[28:29]
	v_lshrrev_b32_e32 v32, 3, v23
	v_sub_u32_e32 v35, 29, v36
	v_and_b32_e32 v34, 7, v34
	v_cmp_gt_u32_e32 vcc, 8, v23
	v_cndmask_b32_e32 v23, v32, v35, vcc
	v_cndmask_b32_e32 v30, v30, v34, vcc
	v_lshlrev_b32_e32 v32, 24, v28
	v_lshlrev_b32_e32 v30, 20, v30
	v_and_b32_e32 v32, 0x80000000, v32
	v_lshl_add_u32 v23, v23, 23, v33
	v_or3_b32 v23, v32, v23, v30
	v_lshrrev_b32_e32 v32, 16, v23
.LBB956_67:                             ;   in Loop: Header=BB956_15 Depth=1
	s_or_b64 exec, exec, s[10:11]
.LBB956_68:                             ;   in Loop: Header=BB956_15 Depth=1
	s_or_b64 exec, exec, s[6:7]
.LBB956_69:                             ;   in Loop: Header=BB956_15 Depth=1
	s_or_b64 exec, exec, s[4:5]
	v_lshrrev_b16_e32 v30, 8, v28
	v_cmp_ne_u16_e32 vcc, 0, v30
	v_mov_b32_e32 v35, 0
	v_mov_b32_e32 v34, 0
	s_and_saveexec_b64 s[4:5], vcc
	s_cbranch_execz .LBB956_75
; %bb.70:                               ;   in Loop: Header=BB956_15 Depth=1
	v_cmp_ne_u16_e32 vcc, s13, v30
	v_mov_b32_e32 v34, 0xffff8000
	s_and_saveexec_b64 s[6:7], vcc
	s_cbranch_execz .LBB956_74
; %bb.71:                               ;   in Loop: Header=BB956_15 Depth=1
	v_and_b32_e32 v23, 0x7f, v30
	v_cmp_ne_u32_e32 vcc, s14, v23
	v_mov_b32_e32 v34, 0x7f80
	s_and_saveexec_b64 s[10:11], vcc
	s_cbranch_execz .LBB956_73
; %bb.72:                               ;   in Loop: Header=BB956_15 Depth=1
	v_and_b32_e32 v34, 7, v30
	v_ffbh_u32_e32 v36, v34
	v_min_u32_e32 v40, 32, v36
	v_subrev_u32_e32 v36, 28, v40
	v_lshlrev_b64 v[36:37], v36, v[30:31]
	v_lshrrev_b32_e32 v38, 3, v23
	v_sub_u32_e32 v30, 29, v40
	v_and_b32_e32 v36, 7, v36
	v_cmp_gt_u32_e32 vcc, 8, v23
	v_cndmask_b32_e32 v23, v38, v30, vcc
	v_cndmask_b32_e32 v30, v34, v36, vcc
	v_lshlrev_b32_e32 v34, 16, v28
	v_lshlrev_b32_e32 v30, 20, v30
	v_and_b32_e32 v34, 0x80000000, v34
	v_lshl_add_u32 v23, v23, 23, v33
	v_or3_b32 v23, v34, v23, v30
	v_lshrrev_b32_e32 v34, 16, v23
.LBB956_73:                             ;   in Loop: Header=BB956_15 Depth=1
	s_or_b64 exec, exec, s[10:11]
.LBB956_74:                             ;   in Loop: Header=BB956_15 Depth=1
	s_or_b64 exec, exec, s[6:7]
.LBB956_75:                             ;   in Loop: Header=BB956_15 Depth=1
	s_or_b64 exec, exec, s[4:5]
	v_lshrrev_b32_e32 v30, 16, v28
	v_cmp_ne_u16_sdwa s[6:7], v30, v31 src0_sel:BYTE_0 src1_sel:DWORD
	s_and_saveexec_b64 s[4:5], s[6:7]
	s_cbranch_execz .LBB956_81
; %bb.76:                               ;   in Loop: Header=BB956_15 Depth=1
	v_cmp_ne_u16_sdwa s[10:11], v30, s13 src0_sel:BYTE_0 src1_sel:DWORD
	v_mov_b32_e32 v35, 0xffff8000
	s_and_saveexec_b64 s[6:7], s[10:11]
	s_cbranch_execz .LBB956_80
; %bb.77:                               ;   in Loop: Header=BB956_15 Depth=1
	v_bfe_u32 v23, v28, 16, 7
	v_cmp_ne_u32_e32 vcc, s14, v23
	v_mov_b32_e32 v35, 0x7f80
	s_and_saveexec_b64 s[10:11], vcc
	s_cbranch_execz .LBB956_79
; %bb.78:                               ;   in Loop: Header=BB956_15 Depth=1
	v_and_b32_e32 v35, 7, v30
	v_ffbh_u32_e32 v36, v35
	v_min_u32_e32 v40, 32, v36
	v_subrev_u32_e32 v36, 28, v40
	v_lshlrev_b64 v[36:37], v36, v[30:31]
	v_lshrrev_b32_e32 v38, 3, v23
	v_sub_u32_e32 v37, 29, v40
	v_and_b32_e32 v36, 7, v36
	v_cmp_gt_u32_e32 vcc, 8, v23
	v_cndmask_b32_e32 v23, v38, v37, vcc
	v_cndmask_b32_e32 v35, v35, v36, vcc
	v_lshlrev_b32_e32 v30, 24, v30
	v_lshlrev_b32_e32 v35, 20, v35
	v_and_b32_e32 v30, 0x80000000, v30
	v_lshl_add_u32 v23, v23, 23, v33
	v_or3_b32 v23, v30, v23, v35
	v_lshrrev_b32_e32 v35, 16, v23
.LBB956_79:                             ;   in Loop: Header=BB956_15 Depth=1
	s_or_b64 exec, exec, s[10:11]
.LBB956_80:                             ;   in Loop: Header=BB956_15 Depth=1
	s_or_b64 exec, exec, s[6:7]
.LBB956_81:                             ;   in Loop: Header=BB956_15 Depth=1
	s_or_b64 exec, exec, s[4:5]
	v_cmp_lt_u32_e32 vcc, s15, v28
	v_mov_b32_e32 v36, 0
	v_mov_b32_e32 v37, 0
	s_and_saveexec_b64 s[4:5], vcc
	s_cbranch_execz .LBB956_87
; %bb.82:                               ;   in Loop: Header=BB956_15 Depth=1
	v_lshrrev_b32_e32 v30, 24, v28
	v_cmp_ne_u32_e32 vcc, s13, v30
	v_mov_b32_e32 v37, 0xffff8000
	s_and_saveexec_b64 s[6:7], vcc
	s_cbranch_execz .LBB956_86
; %bb.83:                               ;   in Loop: Header=BB956_15 Depth=1
	v_bfe_u32 v23, v28, 24, 7
	v_cmp_ne_u32_e32 vcc, s14, v23
	v_mov_b32_e32 v37, 0x7f80
	s_and_saveexec_b64 s[10:11], vcc
	s_cbranch_execz .LBB956_85
; %bb.84:                               ;   in Loop: Header=BB956_15 Depth=1
	v_and_b32_e32 v28, 7, v30
	v_ffbh_u32_e32 v38, v28
	v_min_u32_e32 v38, 32, v38
	v_subrev_u32_e32 v40, 28, v38
	v_lshlrev_b64 v[42:43], v40, v[30:31]
	v_lshrrev_b32_e32 v37, 3, v23
	v_sub_u32_e32 v38, 29, v38
	v_and_b32_e32 v40, 7, v42
	v_cmp_gt_u32_e32 vcc, 8, v23
	v_cndmask_b32_e32 v23, v37, v38, vcc
	v_cndmask_b32_e32 v28, v28, v40, vcc
	v_lshlrev_b32_e32 v30, 24, v30
	v_lshlrev_b32_e32 v28, 20, v28
	v_and_b32_e32 v30, 0x80000000, v30
	v_lshl_add_u32 v23, v23, 23, v33
	v_or3_b32 v23, v30, v23, v28
	v_lshrrev_b32_e32 v37, 16, v23
.LBB956_85:                             ;   in Loop: Header=BB956_15 Depth=1
	s_or_b64 exec, exec, s[10:11]
.LBB956_86:                             ;   in Loop: Header=BB956_15 Depth=1
	s_or_b64 exec, exec, s[6:7]
.LBB956_87:                             ;   in Loop: Header=BB956_15 Depth=1
	s_or_b64 exec, exec, s[4:5]
	s_waitcnt vmcnt(0)
	v_cmp_ne_u16_sdwa s[6:7], v26, v31 src0_sel:BYTE_0 src1_sel:DWORD
	s_and_saveexec_b64 s[4:5], s[6:7]
	s_cbranch_execz .LBB956_93
; %bb.88:                               ;   in Loop: Header=BB956_15 Depth=1
	v_cmp_ne_u16_sdwa s[10:11], v26, s13 src0_sel:BYTE_0 src1_sel:DWORD
	v_mov_b32_e32 v36, 0xffff8000
	s_and_saveexec_b64 s[6:7], s[10:11]
	s_cbranch_execz .LBB956_92
; %bb.89:                               ;   in Loop: Header=BB956_15 Depth=1
	v_and_b32_e32 v23, 0x7f, v26
	v_cmp_ne_u32_e32 vcc, s14, v23
	v_mov_b32_e32 v36, 0x7f80
	s_and_saveexec_b64 s[10:11], vcc
	s_cbranch_execz .LBB956_91
; %bb.90:                               ;   in Loop: Header=BB956_15 Depth=1
	v_and_b32_e32 v28, 7, v26
	v_ffbh_u32_e32 v36, v28
	v_min_u32_e32 v36, 32, v36
	v_subrev_u32_e32 v38, 28, v36
	v_lshlrev_b64 v[42:43], v38, v[26:27]
	v_lshrrev_b32_e32 v30, 3, v23
	v_sub_u32_e32 v36, 29, v36
	v_and_b32_e32 v38, 7, v42
	v_cmp_gt_u32_e32 vcc, 8, v23
	v_cndmask_b32_e32 v23, v30, v36, vcc
	v_cndmask_b32_e32 v28, v28, v38, vcc
	v_lshlrev_b32_e32 v30, 24, v26
	v_lshlrev_b32_e32 v28, 20, v28
	v_and_b32_e32 v30, 0x80000000, v30
	v_lshl_add_u32 v23, v23, 23, v33
	v_or3_b32 v23, v30, v23, v28
	v_lshrrev_b32_e32 v36, 16, v23
.LBB956_91:                             ;   in Loop: Header=BB956_15 Depth=1
	s_or_b64 exec, exec, s[10:11]
.LBB956_92:                             ;   in Loop: Header=BB956_15 Depth=1
	s_or_b64 exec, exec, s[6:7]
.LBB956_93:                             ;   in Loop: Header=BB956_15 Depth=1
	s_or_b64 exec, exec, s[4:5]
	v_lshrrev_b16_e32 v28, 8, v26
	v_cmp_ne_u16_e32 vcc, 0, v28
	v_mov_b32_e32 v40, 0
	v_mov_b32_e32 v38, 0
	s_and_saveexec_b64 s[4:5], vcc
	s_cbranch_execz .LBB956_99
; %bb.94:                               ;   in Loop: Header=BB956_15 Depth=1
	v_cmp_ne_u16_e32 vcc, s13, v28
	v_mov_b32_e32 v38, 0xffff8000
	s_and_saveexec_b64 s[6:7], vcc
	s_cbranch_execz .LBB956_98
; %bb.95:                               ;   in Loop: Header=BB956_15 Depth=1
	v_and_b32_e32 v23, 0x7f, v28
	v_cmp_ne_u32_e32 vcc, s14, v23
	v_mov_b32_e32 v38, 0x7f80
	s_and_saveexec_b64 s[10:11], vcc
	s_cbranch_execz .LBB956_97
; %bb.96:                               ;   in Loop: Header=BB956_15 Depth=1
	v_and_b32_e32 v30, 7, v28
	v_ffbh_u32_e32 v42, v30
	v_min_u32_e32 v44, 32, v42
	v_subrev_u32_e32 v42, 28, v44
	v_lshlrev_b64 v[42:43], v42, v[28:29]
	v_lshrrev_b32_e32 v38, 3, v23
	v_sub_u32_e32 v28, 29, v44
	v_and_b32_e32 v42, 7, v42
	v_cmp_gt_u32_e32 vcc, 8, v23
	v_cndmask_b32_e32 v23, v38, v28, vcc
	v_cndmask_b32_e32 v28, v30, v42, vcc
	v_lshlrev_b32_e32 v30, 16, v26
	v_lshlrev_b32_e32 v28, 20, v28
	v_and_b32_e32 v30, 0x80000000, v30
	v_lshl_add_u32 v23, v23, 23, v33
	v_or3_b32 v23, v30, v23, v28
	v_lshrrev_b32_e32 v38, 16, v23
.LBB956_97:                             ;   in Loop: Header=BB956_15 Depth=1
	s_or_b64 exec, exec, s[10:11]
.LBB956_98:                             ;   in Loop: Header=BB956_15 Depth=1
	s_or_b64 exec, exec, s[6:7]
.LBB956_99:                             ;   in Loop: Header=BB956_15 Depth=1
	s_or_b64 exec, exec, s[4:5]
	v_lshrrev_b32_e32 v28, 16, v26
	v_cmp_ne_u16_sdwa s[6:7], v28, v31 src0_sel:BYTE_0 src1_sel:DWORD
	s_and_saveexec_b64 s[4:5], s[6:7]
	s_cbranch_execz .LBB956_105
; %bb.100:                              ;   in Loop: Header=BB956_15 Depth=1
	v_cmp_ne_u16_sdwa s[10:11], v28, s13 src0_sel:BYTE_0 src1_sel:DWORD
	v_mov_b32_e32 v40, 0xffff8000
	s_and_saveexec_b64 s[6:7], s[10:11]
	s_cbranch_execz .LBB956_104
; %bb.101:                              ;   in Loop: Header=BB956_15 Depth=1
	v_bfe_u32 v23, v26, 16, 7
	v_cmp_ne_u32_e32 vcc, s14, v23
	v_mov_b32_e32 v40, 0x7f80
	s_and_saveexec_b64 s[10:11], vcc
	s_cbranch_execz .LBB956_103
; %bb.102:                              ;   in Loop: Header=BB956_15 Depth=1
	v_and_b32_e32 v30, 7, v28
	v_ffbh_u32_e32 v42, v30
	v_min_u32_e32 v44, 32, v42
	v_subrev_u32_e32 v42, 28, v44
	v_lshlrev_b64 v[42:43], v42, v[28:29]
	v_lshrrev_b32_e32 v40, 3, v23
	v_sub_u32_e32 v43, 29, v44
	v_and_b32_e32 v42, 7, v42
	v_cmp_gt_u32_e32 vcc, 8, v23
	v_cndmask_b32_e32 v23, v40, v43, vcc
	v_cndmask_b32_e32 v30, v30, v42, vcc
	v_lshlrev_b32_e32 v28, 24, v28
	v_lshlrev_b32_e32 v30, 20, v30
	v_and_b32_e32 v28, 0x80000000, v28
	v_lshl_add_u32 v23, v23, 23, v33
	v_or3_b32 v23, v28, v23, v30
	v_lshrrev_b32_e32 v40, 16, v23
.LBB956_103:                            ;   in Loop: Header=BB956_15 Depth=1
	s_or_b64 exec, exec, s[10:11]
.LBB956_104:                            ;   in Loop: Header=BB956_15 Depth=1
	s_or_b64 exec, exec, s[6:7]
.LBB956_105:                            ;   in Loop: Header=BB956_15 Depth=1
	s_or_b64 exec, exec, s[4:5]
	v_cmp_lt_u32_e32 vcc, s15, v26
	v_mov_b32_e32 v23, 0
	v_mov_b32_e32 v42, 0
	s_and_saveexec_b64 s[4:5], vcc
	s_cbranch_execz .LBB956_111
; %bb.106:                              ;   in Loop: Header=BB956_15 Depth=1
	v_lshrrev_b32_e32 v28, 24, v26
	v_cmp_ne_u32_e32 vcc, s13, v28
	v_mov_b32_e32 v42, 0xffff8000
	s_and_saveexec_b64 s[6:7], vcc
	s_cbranch_execz .LBB956_110
; %bb.107:                              ;   in Loop: Header=BB956_15 Depth=1
	v_bfe_u32 v26, v26, 24, 7
	v_cmp_ne_u32_e32 vcc, s14, v26
	v_mov_b32_e32 v42, 0x7f80
	s_and_saveexec_b64 s[10:11], vcc
	s_cbranch_execz .LBB956_109
; %bb.108:                              ;   in Loop: Header=BB956_15 Depth=1
	v_and_b32_e32 v30, 7, v28
	v_ffbh_u32_e32 v42, v30
	v_min_u32_e32 v45, 32, v42
	v_subrev_u32_e32 v42, 28, v45
	v_lshlrev_b64 v[42:43], v42, v[28:29]
	v_lshrrev_b32_e32 v44, 3, v26
	v_sub_u32_e32 v43, 29, v45
	v_and_b32_e32 v42, 7, v42
	v_cmp_gt_u32_e32 vcc, 8, v26
	v_cndmask_b32_e32 v26, v44, v43, vcc
	v_cndmask_b32_e32 v30, v30, v42, vcc
	v_lshlrev_b32_e32 v28, 24, v28
	v_lshlrev_b32_e32 v30, 20, v30
	v_and_b32_e32 v28, 0x80000000, v28
	v_lshl_add_u32 v26, v26, 23, v33
	v_or3_b32 v26, v28, v26, v30
	v_lshrrev_b32_e32 v42, 16, v26
.LBB956_109:                            ;   in Loop: Header=BB956_15 Depth=1
	s_or_b64 exec, exec, s[10:11]
.LBB956_110:                            ;   in Loop: Header=BB956_15 Depth=1
	s_or_b64 exec, exec, s[6:7]
.LBB956_111:                            ;   in Loop: Header=BB956_15 Depth=1
	s_or_b64 exec, exec, s[4:5]
	v_perm_b32 v34, v34, v32, s16
	buffer_load_dword v32, v27, s[0:3], 0 offen offset:16
	buffer_load_dword v30, v27, s[0:3], 0 offen offset:20
	;; [unrolled: 1-line block ×4, first 2 shown]
	v_perm_b32 v35, v37, v35, s16
	s_waitcnt vmcnt(3)
	v_cmp_ne_u16_sdwa s[6:7], v32, v31 src0_sel:BYTE_0 src1_sel:DWORD
	v_mfma_f32_16x16x16bf16_1k v[18:21], v[34:35], v[6:7], v[18:21]
	v_perm_b32 v35, v42, v40, s16
	v_perm_b32 v34, v38, v36, s16
	s_nop 1
	v_mfma_f32_16x16x16bf16_1k v[18:21], v[34:35], v[8:9], v[18:21]
	s_and_saveexec_b64 s[4:5], s[6:7]
	s_cbranch_execz .LBB956_117
; %bb.112:                              ;   in Loop: Header=BB956_15 Depth=1
	v_cmp_ne_u16_sdwa s[10:11], v32, s13 src0_sel:BYTE_0 src1_sel:DWORD
	v_mov_b32_e32 v23, 0xffff8000
	s_and_saveexec_b64 s[6:7], s[10:11]
	s_cbranch_execz .LBB956_116
; %bb.113:                              ;   in Loop: Header=BB956_15 Depth=1
	v_and_b32_e32 v34, 0x7f, v32
	v_cmp_ne_u32_e32 vcc, s14, v34
	v_mov_b32_e32 v23, 0x7f80
	s_and_saveexec_b64 s[10:11], vcc
	s_cbranch_execz .LBB956_115
; %bb.114:                              ;   in Loop: Header=BB956_15 Depth=1
	v_and_b32_e32 v23, 7, v32
	v_ffbh_u32_e32 v36, v23
	v_min_u32_e32 v38, 32, v36
	v_subrev_u32_e32 v36, 28, v38
	v_lshlrev_b64 v[36:37], v36, v[32:33]
	v_lshrrev_b32_e32 v35, 3, v34
	v_sub_u32_e32 v37, 29, v38
	v_and_b32_e32 v36, 7, v36
	v_cmp_gt_u32_e32 vcc, 8, v34
	v_cndmask_b32_e32 v34, v35, v37, vcc
	v_cndmask_b32_e32 v23, v23, v36, vcc
	v_lshlrev_b32_e32 v35, 24, v32
	v_lshlrev_b32_e32 v23, 20, v23
	v_and_b32_e32 v35, 0x80000000, v35
	v_lshl_add_u32 v34, v34, 23, v33
	v_or3_b32 v23, v35, v34, v23
	v_lshrrev_b32_e32 v23, 16, v23
.LBB956_115:                            ;   in Loop: Header=BB956_15 Depth=1
	s_or_b64 exec, exec, s[10:11]
.LBB956_116:                            ;   in Loop: Header=BB956_15 Depth=1
	s_or_b64 exec, exec, s[6:7]
.LBB956_117:                            ;   in Loop: Header=BB956_15 Depth=1
	s_or_b64 exec, exec, s[4:5]
	v_lshrrev_b16_e32 v34, 8, v32
	v_cmp_ne_u16_e32 vcc, 0, v34
	v_mov_b32_e32 v36, 0
	v_mov_b32_e32 v35, 0
	s_and_saveexec_b64 s[4:5], vcc
	s_cbranch_execz .LBB956_123
; %bb.118:                              ;   in Loop: Header=BB956_15 Depth=1
	v_cmp_ne_u16_e32 vcc, s13, v34
	v_mov_b32_e32 v35, 0xffff8000
	s_and_saveexec_b64 s[6:7], vcc
	s_cbranch_execz .LBB956_122
; %bb.119:                              ;   in Loop: Header=BB956_15 Depth=1
	v_and_b32_e32 v37, 0x7f, v34
	v_cmp_ne_u32_e32 vcc, s14, v37
	v_mov_b32_e32 v35, 0x7f80
	s_and_saveexec_b64 s[10:11], vcc
	s_cbranch_execz .LBB956_121
; %bb.120:                              ;   in Loop: Header=BB956_15 Depth=1
	v_and_b32_e32 v38, 7, v34
	v_ffbh_u32_e32 v35, v38
	v_min_u32_e32 v42, 32, v35
	v_subrev_u32_e32 v35, 28, v42
	v_lshlrev_b64 v[34:35], v35, v[34:35]
	v_lshrrev_b32_e32 v40, 3, v37
	v_sub_u32_e32 v35, 29, v42
	v_and_b32_e32 v34, 7, v34
	v_cmp_gt_u32_e32 vcc, 8, v37
	v_cndmask_b32_e32 v35, v40, v35, vcc
	v_cndmask_b32_e32 v34, v38, v34, vcc
	v_lshlrev_b32_e32 v37, 16, v32
	v_lshlrev_b32_e32 v34, 20, v34
	v_and_b32_e32 v37, 0x80000000, v37
	v_lshl_add_u32 v35, v35, 23, v33
	v_or3_b32 v34, v37, v35, v34
	v_lshrrev_b32_e32 v35, 16, v34
.LBB956_121:                            ;   in Loop: Header=BB956_15 Depth=1
	s_or_b64 exec, exec, s[10:11]
.LBB956_122:                            ;   in Loop: Header=BB956_15 Depth=1
	s_or_b64 exec, exec, s[6:7]
.LBB956_123:                            ;   in Loop: Header=BB956_15 Depth=1
	s_or_b64 exec, exec, s[4:5]
	v_lshrrev_b32_e32 v34, 16, v32
	v_cmp_ne_u16_sdwa s[6:7], v34, v31 src0_sel:BYTE_0 src1_sel:DWORD
	s_and_saveexec_b64 s[4:5], s[6:7]
	s_cbranch_execz .LBB956_129
; %bb.124:                              ;   in Loop: Header=BB956_15 Depth=1
	v_cmp_ne_u16_sdwa s[10:11], v34, s13 src0_sel:BYTE_0 src1_sel:DWORD
	v_mov_b32_e32 v36, 0xffff8000
	s_and_saveexec_b64 s[6:7], s[10:11]
	s_cbranch_execz .LBB956_128
; %bb.125:                              ;   in Loop: Header=BB956_15 Depth=1
	v_bfe_u32 v37, v32, 16, 7
	v_cmp_ne_u32_e32 vcc, s14, v37
	v_mov_b32_e32 v36, 0x7f80
	s_and_saveexec_b64 s[10:11], vcc
	s_cbranch_execz .LBB956_127
; %bb.126:                              ;   in Loop: Header=BB956_15 Depth=1
	v_and_b32_e32 v36, 7, v34
	v_ffbh_u32_e32 v40, v36
	v_min_u32_e32 v40, 32, v40
	v_subrev_u32_e32 v42, 28, v40
	v_lshlrev_b64 v[42:43], v42, v[34:35]
	v_lshrrev_b32_e32 v38, 3, v37
	v_sub_u32_e32 v40, 29, v40
	v_and_b32_e32 v42, 7, v42
	v_cmp_gt_u32_e32 vcc, 8, v37
	v_cndmask_b32_e32 v37, v38, v40, vcc
	v_cndmask_b32_e32 v36, v36, v42, vcc
	v_lshlrev_b32_e32 v34, 24, v34
	v_lshlrev_b32_e32 v36, 20, v36
	v_and_b32_e32 v34, 0x80000000, v34
	v_lshl_add_u32 v37, v37, 23, v33
	v_or3_b32 v34, v34, v37, v36
	v_lshrrev_b32_e32 v36, 16, v34
.LBB956_127:                            ;   in Loop: Header=BB956_15 Depth=1
	s_or_b64 exec, exec, s[10:11]
.LBB956_128:                            ;   in Loop: Header=BB956_15 Depth=1
	s_or_b64 exec, exec, s[6:7]
.LBB956_129:                            ;   in Loop: Header=BB956_15 Depth=1
	s_or_b64 exec, exec, s[4:5]
	v_cmp_lt_u32_e32 vcc, s15, v32
	v_mov_b32_e32 v37, 0
	v_mov_b32_e32 v38, 0
	s_and_saveexec_b64 s[4:5], vcc
	s_cbranch_execz .LBB956_135
; %bb.130:                              ;   in Loop: Header=BB956_15 Depth=1
	v_lshrrev_b32_e32 v34, 24, v32
	v_cmp_ne_u32_e32 vcc, s13, v34
	v_mov_b32_e32 v38, 0xffff8000
	s_and_saveexec_b64 s[6:7], vcc
	s_cbranch_execz .LBB956_134
; %bb.131:                              ;   in Loop: Header=BB956_15 Depth=1
	v_bfe_u32 v32, v32, 24, 7
	v_cmp_ne_u32_e32 vcc, s14, v32
	v_mov_b32_e32 v38, 0x7f80
	s_and_saveexec_b64 s[10:11], vcc
	s_cbranch_execz .LBB956_133
; %bb.132:                              ;   in Loop: Header=BB956_15 Depth=1
	v_and_b32_e32 v38, 7, v34
	v_ffbh_u32_e32 v42, v38
	v_min_u32_e32 v44, 32, v42
	v_subrev_u32_e32 v42, 28, v44
	v_lshlrev_b64 v[42:43], v42, v[34:35]
	v_lshrrev_b32_e32 v40, 3, v32
	v_sub_u32_e32 v43, 29, v44
	v_and_b32_e32 v42, 7, v42
	v_cmp_gt_u32_e32 vcc, 8, v32
	v_cndmask_b32_e32 v32, v40, v43, vcc
	v_cndmask_b32_e32 v38, v38, v42, vcc
	v_lshlrev_b32_e32 v34, 24, v34
	v_lshlrev_b32_e32 v38, 20, v38
	v_and_b32_e32 v34, 0x80000000, v34
	v_lshl_add_u32 v32, v32, 23, v33
	v_or3_b32 v32, v34, v32, v38
	v_lshrrev_b32_e32 v38, 16, v32
.LBB956_133:                            ;   in Loop: Header=BB956_15 Depth=1
	s_or_b64 exec, exec, s[10:11]
.LBB956_134:                            ;   in Loop: Header=BB956_15 Depth=1
	s_or_b64 exec, exec, s[6:7]
.LBB956_135:                            ;   in Loop: Header=BB956_15 Depth=1
	s_or_b64 exec, exec, s[4:5]
	s_waitcnt vmcnt(2)
	v_cmp_ne_u16_sdwa s[6:7], v30, v31 src0_sel:BYTE_0 src1_sel:DWORD
	s_and_saveexec_b64 s[4:5], s[6:7]
	s_cbranch_execz .LBB956_141
; %bb.136:                              ;   in Loop: Header=BB956_15 Depth=1
	v_cmp_ne_u16_sdwa s[10:11], v30, s13 src0_sel:BYTE_0 src1_sel:DWORD
	v_mov_b32_e32 v37, 0xffff8000
	s_and_saveexec_b64 s[6:7], s[10:11]
	s_cbranch_execz .LBB956_140
; %bb.137:                              ;   in Loop: Header=BB956_15 Depth=1
	v_and_b32_e32 v32, 0x7f, v30
	v_cmp_ne_u32_e32 vcc, s14, v32
	v_mov_b32_e32 v37, 0x7f80
	s_and_saveexec_b64 s[10:11], vcc
	s_cbranch_execz .LBB956_139
; %bb.138:                              ;   in Loop: Header=BB956_15 Depth=1
	v_and_b32_e32 v34, 7, v30
	v_ffbh_u32_e32 v40, v34
	v_min_u32_e32 v40, 32, v40
	v_subrev_u32_e32 v42, 28, v40
	v_lshlrev_b64 v[42:43], v42, v[30:31]
	v_lshrrev_b32_e32 v37, 3, v32
	v_sub_u32_e32 v40, 29, v40
	v_and_b32_e32 v42, 7, v42
	v_cmp_gt_u32_e32 vcc, 8, v32
	v_cndmask_b32_e32 v32, v37, v40, vcc
	v_cndmask_b32_e32 v34, v34, v42, vcc
	v_lshlrev_b32_e32 v37, 24, v30
	v_lshlrev_b32_e32 v34, 20, v34
	v_and_b32_e32 v37, 0x80000000, v37
	v_lshl_add_u32 v32, v32, 23, v33
	v_or3_b32 v32, v37, v32, v34
	v_lshrrev_b32_e32 v37, 16, v32
.LBB956_139:                            ;   in Loop: Header=BB956_15 Depth=1
	s_or_b64 exec, exec, s[10:11]
.LBB956_140:                            ;   in Loop: Header=BB956_15 Depth=1
	s_or_b64 exec, exec, s[6:7]
.LBB956_141:                            ;   in Loop: Header=BB956_15 Depth=1
	s_or_b64 exec, exec, s[4:5]
	v_lshrrev_b16_e32 v32, 8, v30
	v_cmp_ne_u16_e32 vcc, 0, v32
	v_mov_b32_e32 v42, 0
	v_mov_b32_e32 v40, 0
	s_and_saveexec_b64 s[4:5], vcc
	s_cbranch_execz .LBB956_147
; %bb.142:                              ;   in Loop: Header=BB956_15 Depth=1
	v_cmp_ne_u16_e32 vcc, s13, v32
	v_mov_b32_e32 v40, 0xffff8000
	s_and_saveexec_b64 s[6:7], vcc
	s_cbranch_execz .LBB956_146
; %bb.143:                              ;   in Loop: Header=BB956_15 Depth=1
	v_and_b32_e32 v34, 0x7f, v32
	v_cmp_ne_u32_e32 vcc, s14, v34
	v_mov_b32_e32 v40, 0x7f80
	s_and_saveexec_b64 s[10:11], vcc
	s_cbranch_execz .LBB956_145
; %bb.144:                              ;   in Loop: Header=BB956_15 Depth=1
	v_and_b32_e32 v40, 7, v32
	v_ffbh_u32_e32 v44, v40
	v_min_u32_e32 v46, 32, v44
	v_subrev_u32_e32 v44, 28, v46
	v_lshlrev_b64 v[44:45], v44, v[32:33]
	v_lshrrev_b32_e32 v43, 3, v34
	v_sub_u32_e32 v32, 29, v46
	v_and_b32_e32 v44, 7, v44
	v_cmp_gt_u32_e32 vcc, 8, v34
	v_cndmask_b32_e32 v32, v43, v32, vcc
	v_cndmask_b32_e32 v34, v40, v44, vcc
	v_lshlrev_b32_e32 v40, 16, v30
	v_lshlrev_b32_e32 v34, 20, v34
	v_and_b32_e32 v40, 0x80000000, v40
	v_lshl_add_u32 v32, v32, 23, v33
	v_or3_b32 v32, v40, v32, v34
	v_lshrrev_b32_e32 v40, 16, v32
.LBB956_145:                            ;   in Loop: Header=BB956_15 Depth=1
	s_or_b64 exec, exec, s[10:11]
.LBB956_146:                            ;   in Loop: Header=BB956_15 Depth=1
	s_or_b64 exec, exec, s[6:7]
.LBB956_147:                            ;   in Loop: Header=BB956_15 Depth=1
	s_or_b64 exec, exec, s[4:5]
	v_lshrrev_b32_e32 v32, 16, v30
	v_cmp_ne_u16_sdwa s[6:7], v32, v31 src0_sel:BYTE_0 src1_sel:DWORD
	s_and_saveexec_b64 s[4:5], s[6:7]
	s_cbranch_execz .LBB956_153
; %bb.148:                              ;   in Loop: Header=BB956_15 Depth=1
	v_cmp_ne_u16_sdwa s[10:11], v32, s13 src0_sel:BYTE_0 src1_sel:DWORD
	v_mov_b32_e32 v42, 0xffff8000
	s_and_saveexec_b64 s[6:7], s[10:11]
	s_cbranch_execz .LBB956_152
; %bb.149:                              ;   in Loop: Header=BB956_15 Depth=1
	v_bfe_u32 v34, v30, 16, 7
	v_cmp_ne_u32_e32 vcc, s14, v34
	v_mov_b32_e32 v42, 0x7f80
	s_and_saveexec_b64 s[10:11], vcc
	s_cbranch_execz .LBB956_151
; %bb.150:                              ;   in Loop: Header=BB956_15 Depth=1
	v_and_b32_e32 v44, 7, v32
	v_ffbh_u32_e32 v42, v44
	v_min_u32_e32 v46, 32, v42
	v_subrev_u32_e32 v42, 28, v46
	v_lshlrev_b64 v[42:43], v42, v[32:33]
	v_lshrrev_b32_e32 v45, 3, v34
	v_sub_u32_e32 v43, 29, v46
	v_and_b32_e32 v42, 7, v42
	v_cmp_gt_u32_e32 vcc, 8, v34
	v_cndmask_b32_e32 v34, v45, v43, vcc
	v_cndmask_b32_e32 v42, v44, v42, vcc
	v_lshlrev_b32_e32 v32, 24, v32
	v_lshlrev_b32_e32 v42, 20, v42
	v_and_b32_e32 v32, 0x80000000, v32
	v_lshl_add_u32 v34, v34, 23, v33
	v_or3_b32 v32, v32, v34, v42
	v_lshrrev_b32_e32 v42, 16, v32
.LBB956_151:                            ;   in Loop: Header=BB956_15 Depth=1
	s_or_b64 exec, exec, s[10:11]
.LBB956_152:                            ;   in Loop: Header=BB956_15 Depth=1
	s_or_b64 exec, exec, s[6:7]
.LBB956_153:                            ;   in Loop: Header=BB956_15 Depth=1
	s_or_b64 exec, exec, s[4:5]
	v_cmp_lt_u32_e32 vcc, s15, v30
	v_mov_b32_e32 v34, 0
	v_mov_b32_e32 v43, 0
	s_and_saveexec_b64 s[4:5], vcc
	s_cbranch_execz .LBB956_159
; %bb.154:                              ;   in Loop: Header=BB956_15 Depth=1
	v_lshrrev_b32_e32 v32, 24, v30
	v_cmp_ne_u32_e32 vcc, s13, v32
	v_mov_b32_e32 v43, 0xffff8000
	s_and_saveexec_b64 s[6:7], vcc
	s_cbranch_execz .LBB956_158
; %bb.155:                              ;   in Loop: Header=BB956_15 Depth=1
	v_bfe_u32 v30, v30, 24, 7
	v_cmp_ne_u32_e32 vcc, s14, v30
	v_mov_b32_e32 v43, 0x7f80
	s_and_saveexec_b64 s[10:11], vcc
	s_cbranch_execz .LBB956_157
; %bb.156:                              ;   in Loop: Header=BB956_15 Depth=1
	v_and_b32_e32 v43, 7, v32
	v_ffbh_u32_e32 v44, v43
	v_min_u32_e32 v47, 32, v44
	v_subrev_u32_e32 v44, 28, v47
	v_lshlrev_b64 v[44:45], v44, v[32:33]
	v_lshrrev_b32_e32 v46, 3, v30
	v_sub_u32_e32 v45, 29, v47
	v_and_b32_e32 v44, 7, v44
	v_cmp_gt_u32_e32 vcc, 8, v30
	v_cndmask_b32_e32 v30, v46, v45, vcc
	v_cndmask_b32_e32 v43, v43, v44, vcc
	v_lshlrev_b32_e32 v32, 24, v32
	v_lshlrev_b32_e32 v43, 20, v43
	v_and_b32_e32 v32, 0x80000000, v32
	v_lshl_add_u32 v30, v30, 23, v33
	v_or3_b32 v30, v32, v30, v43
	v_lshrrev_b32_e32 v43, 16, v30
.LBB956_157:                            ;   in Loop: Header=BB956_15 Depth=1
	s_or_b64 exec, exec, s[10:11]
.LBB956_158:                            ;   in Loop: Header=BB956_15 Depth=1
	s_or_b64 exec, exec, s[6:7]
.LBB956_159:                            ;   in Loop: Header=BB956_15 Depth=1
	s_or_b64 exec, exec, s[4:5]
	v_perm_b32 v45, v38, v36, s16
	v_perm_b32 v44, v35, v23, s16
	;; [unrolled: 1-line block ×4, first 2 shown]
	s_waitcnt vmcnt(1)
	v_cmp_ne_u16_sdwa s[6:7], v28, v31 src0_sel:BYTE_0 src1_sel:DWORD
	v_mfma_f32_16x16x16bf16_1k v[18:21], v[44:45], v[10:11], v[18:21]
	v_mfma_f32_16x16x16bf16_1k v[18:21], v[42:43], v[12:13], v[18:21]
	s_and_saveexec_b64 s[4:5], s[6:7]
	s_cbranch_execz .LBB956_165
; %bb.160:                              ;   in Loop: Header=BB956_15 Depth=1
	v_cmp_ne_u16_sdwa s[10:11], v28, s13 src0_sel:BYTE_0 src1_sel:DWORD
	v_mov_b32_e32 v34, 0xffff8000
	s_and_saveexec_b64 s[6:7], s[10:11]
	s_cbranch_execz .LBB956_164
; %bb.161:                              ;   in Loop: Header=BB956_15 Depth=1
	v_and_b32_e32 v23, 0x7f, v28
	v_cmp_ne_u32_e32 vcc, s14, v23
	v_mov_b32_e32 v34, 0x7f80
	s_and_saveexec_b64 s[10:11], vcc
	s_cbranch_execz .LBB956_163
; %bb.162:                              ;   in Loop: Header=BB956_15 Depth=1
	v_and_b32_e32 v30, 7, v28
	v_ffbh_u32_e32 v34, v30
	v_min_u32_e32 v36, 32, v34
	v_subrev_u32_e32 v34, 28, v36
	v_lshlrev_b64 v[34:35], v34, v[28:29]
	v_lshrrev_b32_e32 v32, 3, v23
	v_sub_u32_e32 v35, 29, v36
	v_and_b32_e32 v34, 7, v34
	v_cmp_gt_u32_e32 vcc, 8, v23
	v_cndmask_b32_e32 v23, v32, v35, vcc
	v_cndmask_b32_e32 v30, v30, v34, vcc
	v_lshlrev_b32_e32 v32, 24, v28
	v_lshlrev_b32_e32 v30, 20, v30
	v_and_b32_e32 v32, 0x80000000, v32
	v_lshl_add_u32 v23, v23, 23, v33
	v_or3_b32 v23, v32, v23, v30
	v_lshrrev_b32_e32 v34, 16, v23
.LBB956_163:                            ;   in Loop: Header=BB956_15 Depth=1
	s_or_b64 exec, exec, s[10:11]
.LBB956_164:                            ;   in Loop: Header=BB956_15 Depth=1
	s_or_b64 exec, exec, s[6:7]
.LBB956_165:                            ;   in Loop: Header=BB956_15 Depth=1
	s_or_b64 exec, exec, s[4:5]
	v_lshrrev_b16_e32 v30, 8, v28
	v_cmp_ne_u16_e32 vcc, 0, v30
	v_mov_b32_e32 v32, 0
	v_mov_b32_e32 v23, 0
	s_and_saveexec_b64 s[4:5], vcc
	s_cbranch_execz .LBB956_171
; %bb.166:                              ;   in Loop: Header=BB956_15 Depth=1
	v_cmp_ne_u16_e32 vcc, s13, v30
	v_mov_b32_e32 v23, 0xffff8000
	s_and_saveexec_b64 s[6:7], vcc
	s_cbranch_execz .LBB956_170
; %bb.167:                              ;   in Loop: Header=BB956_15 Depth=1
	v_and_b32_e32 v35, 0x7f, v30
	v_cmp_ne_u32_e32 vcc, s14, v35
	v_mov_b32_e32 v23, 0x7f80
	s_and_saveexec_b64 s[10:11], vcc
	s_cbranch_execz .LBB956_169
; %bb.168:                              ;   in Loop: Header=BB956_15 Depth=1
	v_and_b32_e32 v23, 7, v30
	v_ffbh_u32_e32 v36, v23
	v_min_u32_e32 v40, 32, v36
	v_subrev_u32_e32 v36, 28, v40
	v_lshlrev_b64 v[36:37], v36, v[30:31]
	v_lshrrev_b32_e32 v38, 3, v35
	v_sub_u32_e32 v30, 29, v40
	v_and_b32_e32 v36, 7, v36
	v_cmp_gt_u32_e32 vcc, 8, v35
	v_cndmask_b32_e32 v30, v38, v30, vcc
	v_cndmask_b32_e32 v23, v23, v36, vcc
	v_lshlrev_b32_e32 v35, 16, v28
	v_lshlrev_b32_e32 v23, 20, v23
	v_and_b32_e32 v35, 0x80000000, v35
	v_lshl_add_u32 v30, v30, 23, v33
	v_or3_b32 v23, v35, v30, v23
	v_lshrrev_b32_e32 v23, 16, v23
.LBB956_169:                            ;   in Loop: Header=BB956_15 Depth=1
	s_or_b64 exec, exec, s[10:11]
.LBB956_170:                            ;   in Loop: Header=BB956_15 Depth=1
	s_or_b64 exec, exec, s[6:7]
.LBB956_171:                            ;   in Loop: Header=BB956_15 Depth=1
	s_or_b64 exec, exec, s[4:5]
	v_lshrrev_b32_e32 v30, 16, v28
	v_cmp_ne_u16_sdwa s[6:7], v30, v31 src0_sel:BYTE_0 src1_sel:DWORD
	s_and_saveexec_b64 s[4:5], s[6:7]
	s_cbranch_execz .LBB956_177
; %bb.172:                              ;   in Loop: Header=BB956_15 Depth=1
	v_cmp_ne_u16_sdwa s[10:11], v30, s13 src0_sel:BYTE_0 src1_sel:DWORD
	v_mov_b32_e32 v32, 0xffff8000
	s_and_saveexec_b64 s[6:7], s[10:11]
	s_cbranch_execz .LBB956_176
; %bb.173:                              ;   in Loop: Header=BB956_15 Depth=1
	v_bfe_u32 v35, v28, 16, 7
	v_cmp_ne_u32_e32 vcc, s14, v35
	v_mov_b32_e32 v32, 0x7f80
	s_and_saveexec_b64 s[10:11], vcc
	s_cbranch_execz .LBB956_175
; %bb.174:                              ;   in Loop: Header=BB956_15 Depth=1
	v_and_b32_e32 v32, 7, v30
	v_ffbh_u32_e32 v36, v32
	v_min_u32_e32 v40, 32, v36
	v_subrev_u32_e32 v36, 28, v40
	v_lshlrev_b64 v[36:37], v36, v[30:31]
	v_lshrrev_b32_e32 v38, 3, v35
	v_sub_u32_e32 v37, 29, v40
	v_and_b32_e32 v36, 7, v36
	v_cmp_gt_u32_e32 vcc, 8, v35
	v_cndmask_b32_e32 v35, v38, v37, vcc
	v_cndmask_b32_e32 v32, v32, v36, vcc
	v_lshlrev_b32_e32 v30, 24, v30
	v_lshlrev_b32_e32 v32, 20, v32
	v_and_b32_e32 v30, 0x80000000, v30
	v_lshl_add_u32 v35, v35, 23, v33
	v_or3_b32 v30, v30, v35, v32
	v_lshrrev_b32_e32 v32, 16, v30
.LBB956_175:                            ;   in Loop: Header=BB956_15 Depth=1
	s_or_b64 exec, exec, s[10:11]
.LBB956_176:                            ;   in Loop: Header=BB956_15 Depth=1
	s_or_b64 exec, exec, s[6:7]
.LBB956_177:                            ;   in Loop: Header=BB956_15 Depth=1
	s_or_b64 exec, exec, s[4:5]
	v_cmp_lt_u32_e32 vcc, s15, v28
	v_mov_b32_e32 v35, 0
	v_mov_b32_e32 v36, 0
	s_and_saveexec_b64 s[4:5], vcc
	s_cbranch_execz .LBB956_183
; %bb.178:                              ;   in Loop: Header=BB956_15 Depth=1
	v_lshrrev_b32_e32 v30, 24, v28
	v_cmp_ne_u32_e32 vcc, s13, v30
	v_mov_b32_e32 v36, 0xffff8000
	s_and_saveexec_b64 s[6:7], vcc
	s_cbranch_execz .LBB956_182
; %bb.179:                              ;   in Loop: Header=BB956_15 Depth=1
	v_bfe_u32 v28, v28, 24, 7
	v_cmp_ne_u32_e32 vcc, s14, v28
	v_mov_b32_e32 v36, 0x7f80
	s_and_saveexec_b64 s[10:11], vcc
	s_cbranch_execz .LBB956_181
; %bb.180:                              ;   in Loop: Header=BB956_15 Depth=1
	v_and_b32_e32 v38, 7, v30
	v_ffbh_u32_e32 v36, v38
	v_min_u32_e32 v42, 32, v36
	v_subrev_u32_e32 v36, 28, v42
	v_lshlrev_b64 v[36:37], v36, v[30:31]
	v_lshrrev_b32_e32 v40, 3, v28
	v_sub_u32_e32 v37, 29, v42
	v_and_b32_e32 v36, 7, v36
	v_cmp_gt_u32_e32 vcc, 8, v28
	v_cndmask_b32_e32 v28, v40, v37, vcc
	v_cndmask_b32_e32 v36, v38, v36, vcc
	v_lshlrev_b32_e32 v30, 24, v30
	v_lshlrev_b32_e32 v36, 20, v36
	v_and_b32_e32 v30, 0x80000000, v30
	v_lshl_add_u32 v28, v28, 23, v33
	v_or3_b32 v28, v30, v28, v36
	v_lshrrev_b32_e32 v36, 16, v28
.LBB956_181:                            ;   in Loop: Header=BB956_15 Depth=1
	s_or_b64 exec, exec, s[10:11]
.LBB956_182:                            ;   in Loop: Header=BB956_15 Depth=1
	s_or_b64 exec, exec, s[6:7]
.LBB956_183:                            ;   in Loop: Header=BB956_15 Depth=1
	s_or_b64 exec, exec, s[4:5]
	s_waitcnt vmcnt(0)
	v_cmp_ne_u16_sdwa s[6:7], v26, v31 src0_sel:BYTE_0 src1_sel:DWORD
	s_and_saveexec_b64 s[4:5], s[6:7]
	s_cbranch_execz .LBB956_189
; %bb.184:                              ;   in Loop: Header=BB956_15 Depth=1
	v_cmp_ne_u16_sdwa s[10:11], v26, s13 src0_sel:BYTE_0 src1_sel:DWORD
	v_mov_b32_e32 v35, 0xffff8000
	s_and_saveexec_b64 s[6:7], s[10:11]
	s_cbranch_execz .LBB956_188
; %bb.185:                              ;   in Loop: Header=BB956_15 Depth=1
	v_and_b32_e32 v28, 0x7f, v26
	v_cmp_ne_u32_e32 vcc, s14, v28
	v_mov_b32_e32 v35, 0x7f80
	s_and_saveexec_b64 s[10:11], vcc
	s_cbranch_execz .LBB956_187
; %bb.186:                              ;   in Loop: Header=BB956_15 Depth=1
	v_and_b32_e32 v30, 7, v26
	v_ffbh_u32_e32 v37, v30
	v_min_u32_e32 v37, 32, v37
	v_subrev_u32_e32 v38, 28, v37
	v_lshlrev_b64 v[42:43], v38, v[26:27]
	v_lshrrev_b32_e32 v35, 3, v28
	v_sub_u32_e32 v37, 29, v37
	v_and_b32_e32 v38, 7, v42
	v_cmp_gt_u32_e32 vcc, 8, v28
	v_cndmask_b32_e32 v28, v35, v37, vcc
	v_cndmask_b32_e32 v30, v30, v38, vcc
	v_lshlrev_b32_e32 v35, 24, v26
	v_lshlrev_b32_e32 v30, 20, v30
	v_and_b32_e32 v35, 0x80000000, v35
	v_lshl_add_u32 v28, v28, 23, v33
	v_or3_b32 v28, v35, v28, v30
	v_lshrrev_b32_e32 v35, 16, v28
.LBB956_187:                            ;   in Loop: Header=BB956_15 Depth=1
	s_or_b64 exec, exec, s[10:11]
.LBB956_188:                            ;   in Loop: Header=BB956_15 Depth=1
	s_or_b64 exec, exec, s[6:7]
.LBB956_189:                            ;   in Loop: Header=BB956_15 Depth=1
	s_or_b64 exec, exec, s[4:5]
	v_lshrrev_b16_e32 v28, 8, v26
	v_cmp_ne_u16_e32 vcc, 0, v28
	v_mov_b32_e32 v37, 0
	v_mov_b32_e32 v30, 0
	s_and_saveexec_b64 s[4:5], vcc
	s_cbranch_execz .LBB956_195
; %bb.190:                              ;   in Loop: Header=BB956_15 Depth=1
	v_cmp_ne_u16_e32 vcc, s13, v28
	v_mov_b32_e32 v30, 0xffff8000
	s_and_saveexec_b64 s[6:7], vcc
	s_cbranch_execz .LBB956_194
; %bb.191:                              ;   in Loop: Header=BB956_15 Depth=1
	v_and_b32_e32 v38, 0x7f, v28
	v_cmp_ne_u32_e32 vcc, s14, v38
	v_mov_b32_e32 v30, 0x7f80
	s_and_saveexec_b64 s[10:11], vcc
	s_cbranch_execz .LBB956_193
; %bb.192:                              ;   in Loop: Header=BB956_15 Depth=1
	v_and_b32_e32 v30, 7, v28
	v_ffbh_u32_e32 v42, v30
	v_min_u32_e32 v44, 32, v42
	v_subrev_u32_e32 v42, 28, v44
	v_lshlrev_b64 v[42:43], v42, v[28:29]
	v_lshrrev_b32_e32 v40, 3, v38
	v_sub_u32_e32 v28, 29, v44
	v_and_b32_e32 v42, 7, v42
	v_cmp_gt_u32_e32 vcc, 8, v38
	v_cndmask_b32_e32 v28, v40, v28, vcc
	v_cndmask_b32_e32 v30, v30, v42, vcc
	v_lshlrev_b32_e32 v38, 16, v26
	v_lshlrev_b32_e32 v30, 20, v30
	v_and_b32_e32 v38, 0x80000000, v38
	v_lshl_add_u32 v28, v28, 23, v33
	v_or3_b32 v28, v38, v28, v30
	v_lshrrev_b32_e32 v30, 16, v28
.LBB956_193:                            ;   in Loop: Header=BB956_15 Depth=1
	s_or_b64 exec, exec, s[10:11]
.LBB956_194:                            ;   in Loop: Header=BB956_15 Depth=1
	s_or_b64 exec, exec, s[6:7]
.LBB956_195:                            ;   in Loop: Header=BB956_15 Depth=1
	s_or_b64 exec, exec, s[4:5]
	v_lshrrev_b32_e32 v28, 16, v26
	v_cmp_ne_u16_sdwa s[6:7], v28, v31 src0_sel:BYTE_0 src1_sel:DWORD
	s_and_saveexec_b64 s[4:5], s[6:7]
	s_cbranch_execz .LBB956_201
; %bb.196:                              ;   in Loop: Header=BB956_15 Depth=1
	v_cmp_ne_u16_sdwa s[10:11], v28, s13 src0_sel:BYTE_0 src1_sel:DWORD
	v_mov_b32_e32 v37, 0xffff8000
	s_and_saveexec_b64 s[6:7], s[10:11]
	s_cbranch_execz .LBB956_200
; %bb.197:                              ;   in Loop: Header=BB956_15 Depth=1
	v_bfe_u32 v38, v26, 16, 7
	v_cmp_ne_u32_e32 vcc, s14, v38
	v_mov_b32_e32 v37, 0x7f80
	s_and_saveexec_b64 s[10:11], vcc
	s_cbranch_execz .LBB956_199
; %bb.198:                              ;   in Loop: Header=BB956_15 Depth=1
	v_and_b32_e32 v37, 7, v28
	v_ffbh_u32_e32 v42, v37
	v_min_u32_e32 v44, 32, v42
	v_subrev_u32_e32 v42, 28, v44
	v_lshlrev_b64 v[42:43], v42, v[28:29]
	v_lshrrev_b32_e32 v40, 3, v38
	v_sub_u32_e32 v43, 29, v44
	v_and_b32_e32 v42, 7, v42
	v_cmp_gt_u32_e32 vcc, 8, v38
	v_cndmask_b32_e32 v38, v40, v43, vcc
	v_cndmask_b32_e32 v37, v37, v42, vcc
	v_lshlrev_b32_e32 v28, 24, v28
	v_lshlrev_b32_e32 v37, 20, v37
	v_and_b32_e32 v28, 0x80000000, v28
	v_lshl_add_u32 v38, v38, 23, v33
	v_or3_b32 v28, v28, v38, v37
	v_lshrrev_b32_e32 v37, 16, v28
.LBB956_199:                            ;   in Loop: Header=BB956_15 Depth=1
	s_or_b64 exec, exec, s[10:11]
.LBB956_200:                            ;   in Loop: Header=BB956_15 Depth=1
	s_or_b64 exec, exec, s[6:7]
.LBB956_201:                            ;   in Loop: Header=BB956_15 Depth=1
	s_or_b64 exec, exec, s[4:5]
	v_cmp_lt_u32_e32 vcc, s15, v26
	v_mov_b32_e32 v38, 0
	s_and_saveexec_b64 s[4:5], vcc
	s_cbranch_execz .LBB956_14
; %bb.202:                              ;   in Loop: Header=BB956_15 Depth=1
	v_lshrrev_b32_e32 v28, 24, v26
	v_cmp_ne_u32_e32 vcc, s13, v28
	v_mov_b32_e32 v38, 0xffff8000
	s_and_saveexec_b64 s[6:7], vcc
	s_cbranch_execz .LBB956_13
; %bb.203:                              ;   in Loop: Header=BB956_15 Depth=1
	v_bfe_u32 v26, v26, 24, 7
	v_cmp_ne_u32_e32 vcc, s14, v26
	v_mov_b32_e32 v38, 0x7f80
	s_and_saveexec_b64 s[10:11], vcc
	s_cbranch_execz .LBB956_12
; %bb.204:                              ;   in Loop: Header=BB956_15 Depth=1
	v_and_b32_e32 v38, 7, v28
	v_ffbh_u32_e32 v42, v38
	v_min_u32_e32 v44, 32, v42
	v_subrev_u32_e32 v42, 28, v44
	v_lshlrev_b64 v[42:43], v42, v[28:29]
	v_lshrrev_b32_e32 v40, 3, v26
	v_sub_u32_e32 v43, 29, v44
	v_and_b32_e32 v42, 7, v42
	v_cmp_gt_u32_e32 vcc, 8, v26
	v_cndmask_b32_e32 v26, v40, v43, vcc
	v_cndmask_b32_e32 v38, v38, v42, vcc
	v_lshlrev_b32_e32 v28, 24, v28
	v_lshlrev_b32_e32 v38, 20, v38
	v_and_b32_e32 v28, 0x80000000, v28
	v_lshl_add_u32 v26, v26, 23, v33
	v_or3_b32 v26, v28, v26, v38
	v_lshrrev_b32_e32 v38, 16, v26
	s_branch .LBB956_12
.LBB956_205:
	buffer_load_dword v13, off, s[0:3], 0 offset:256
	buffer_load_dword v14, off, s[0:3], 0 offset:260
	;; [unrolled: 1-line block ×16, first 2 shown]
	v_and_b32_e32 v12, 0xc0, v0
	v_add_u32_e32 v12, s20, v12
	v_lshl_or_b32 v12, v1, 2, v12
	v_or_b32_e32 v23, 1, v12
	v_mov_b32_e32 v19, 0xff7fffff
	v_or_b32_e32 v24, 2, v12
	v_or_b32_e32 v25, 3, v12
	v_cmp_gt_i32_e64 s[26:27], s33, v12
	v_cmp_gt_i32_e64 s[28:29], s33, v23
	s_mov_b32 s52, 0xff7fffff
	v_or_b32_e32 v26, 16, v12
	v_or_b32_e32 v27, 17, v12
	;; [unrolled: 1-line block ×12, first 2 shown]
	v_cmp_gt_i32_e64 s[30:31], s33, v24
	v_cmp_gt_i32_e64 s[34:35], s33, v25
	v_mbcnt_lo_u32_b32 v20, -1, 0
	v_cmp_gt_i32_e64 s[36:37], s33, v26
	v_cmp_gt_i32_e64 s[38:39], s33, v27
	v_mbcnt_hi_u32_b32 v20, -1, v20
	v_cmp_gt_i32_e64 s[20:21], s33, v28
	v_cmp_gt_i32_e64 s[22:23], s33, v29
	v_and_b32_e32 v21, 64, v20
	v_cmp_gt_i32_e64 s[16:17], s33, v30
	v_cmp_gt_i32_e64 s[18:19], s33, v31
	v_xor_b32_e32 v22, 32, v20
	v_add_u32_e32 v21, 64, v21
	v_cmp_gt_i32_e64 s[12:13], s33, v32
	v_cmp_gt_i32_e64 s[14:15], s33, v33
	v_cmp_lt_i32_e32 vcc, v22, v21
	v_cmp_gt_i32_e64 s[6:7], s33, v34
	v_cmp_gt_i32_e64 s[10:11], s33, v35
	v_cndmask_b32_e32 v22, v20, v22, vcc
	v_cmp_gt_i32_e32 vcc, s33, v36
	v_cmp_gt_i32_e64 s[4:5], s33, v37
	v_lshlrev_b32_e32 v22, 2, v22
	s_waitcnt vmcnt(15)
	v_cndmask_b32_e64 v12, v19, v13, s[26:27]
	s_waitcnt vmcnt(14)
	v_cndmask_b32_e64 v23, v19, v14, s[28:29]
	;; [unrolled: 2-line block ×4, first 2 shown]
	v_max3_f32 v12, v12, s52, v23
	s_waitcnt vmcnt(11)
	v_cndmask_b32_e64 v26, v19, v17, s[36:37]
	s_waitcnt vmcnt(10)
	v_cndmask_b32_e64 v27, v19, v18, s[38:39]
	v_max3_f32 v12, v12, v24, v25
	s_waitcnt vmcnt(9)
	v_cndmask_b32_e64 v28, v19, v11, s[20:21]
	s_waitcnt vmcnt(8)
	v_cndmask_b32_e64 v29, v19, v10, s[22:23]
	;; [unrolled: 5-line block ×5, first 2 shown]
	v_max3_f32 v12, v12, v32, v33
	s_waitcnt vmcnt(1)
	v_cndmask_b32_e32 v36, v19, v3, vcc
	s_waitcnt vmcnt(0)
	v_cndmask_b32_e64 v19, v19, v2, s[4:5]
	v_max3_f32 v12, v12, v34, v35
	v_max3_f32 v12, v12, v36, v19
	ds_bpermute_b32 v19, v22, v12
	v_xor_b32_e32 v23, 16, v20
	v_cmp_lt_i32_e64 s[40:41], v23, v21
	v_cndmask_b32_e64 v20, v20, v23, s[40:41]
	v_lshlrev_b32_e32 v20, 2, v20
	s_waitcnt lgkmcnt(0)
	v_max_f32_e32 v19, v19, v19
	v_max_f32_e32 v12, v12, v19
	ds_bpermute_b32 v19, v20, v12
	s_waitcnt lgkmcnt(0)
	v_max_f32_e32 v19, v19, v19
	v_max_f32_e32 v12, v12, v19
	v_sub_f32_e32 v13, v13, v12
	v_sub_f32_e32 v14, v14, v12
	;; [unrolled: 1-line block ×3, first 2 shown]
	v_mul_f32_e32 v13, 0x3fb8aa3b, v13
	v_mul_f32_e32 v14, 0x3fb8aa3b, v14
	;; [unrolled: 1-line block ×3, first 2 shown]
	v_exp_f32_e32 v13, v13
	v_exp_f32_e32 v14, v14
	;; [unrolled: 1-line block ×3, first 2 shown]
	v_sub_f32_e32 v16, v16, v12
	v_cndmask_b32_e64 v13, 0, v13, s[26:27]
	v_mul_f32_e32 v16, 0x3fb8aa3b, v16
	v_cndmask_b32_e64 v14, 0, v14, s[28:29]
	v_cndmask_b32_e64 v15, 0, v15, s[30:31]
	v_add_f32_e32 v19, 0, v13
	buffer_store_dword v13, off, s[0:3], 0 offset:256
	buffer_store_dword v14, off, s[0:3], 0 offset:260
	;; [unrolled: 1-line block ×3, first 2 shown]
	v_sub_f32_e32 v13, v17, v12
	v_exp_f32_e32 v16, v16
	v_add_f32_e32 v19, v19, v14
	v_mul_f32_e32 v13, 0x3fb8aa3b, v13
	v_sub_f32_e32 v14, v18, v12
	v_exp_f32_e32 v13, v13
	v_mul_f32_e32 v14, 0x3fb8aa3b, v14
	v_sub_f32_e32 v11, v11, v12
	v_exp_f32_e32 v14, v14
	;; [unrolled: 3-line block ×3, first 2 shown]
	v_mul_f32_e32 v10, 0x3fb8aa3b, v10
	v_sub_f32_e32 v9, v9, v12
	v_cndmask_b32_e64 v16, 0, v16, s[34:35]
	v_add_f32_e32 v19, v19, v15
	v_exp_f32_e32 v10, v10
	v_mul_f32_e32 v9, 0x3fb8aa3b, v9
	v_sub_f32_e32 v8, v8, v12
	v_add_f32_e32 v19, v19, v16
	v_cndmask_b32_e64 v13, 0, v13, s[36:37]
	v_exp_f32_e32 v9, v9
	v_mul_f32_e32 v8, 0x3fb8aa3b, v8
	v_sub_f32_e32 v7, v7, v12
	v_add_f32_e32 v15, v19, v13
	v_cndmask_b32_e64 v14, 0, v14, s[38:39]
	;; [unrolled: 5-line block ×5, first 2 shown]
	v_exp_f32_e32 v5, v5
	v_mul_f32_e32 v4, 0x3fb8aa3b, v4
	v_sub_f32_e32 v3, v3, v12
	buffer_store_dword v16, off, s[0:3], 0 offset:268
	buffer_store_dword v13, off, s[0:3], 0 offset:272
	buffer_store_dword v14, off, s[0:3], 0 offset:276
	buffer_store_dword v11, off, s[0:3], 0 offset:280
	buffer_store_dword v10, off, s[0:3], 0 offset:284
	v_add_f32_e32 v10, v15, v9
	v_cndmask_b32_e64 v8, 0, v8, s[18:19]
	v_exp_f32_e32 v4, v4
	v_mul_f32_e32 v3, 0x3fb8aa3b, v3
	v_sub_f32_e32 v2, v2, v12
	v_add_f32_e32 v10, v10, v8
	v_cndmask_b32_e64 v7, 0, v7, s[12:13]
	v_exp_f32_e32 v3, v3
	v_mul_f32_e32 v2, 0x3fb8aa3b, v2
	v_add_f32_e32 v10, v10, v7
	v_cndmask_b32_e64 v6, 0, v6, s[14:15]
	v_exp_f32_e32 v2, v2
	v_add_f32_e32 v10, v10, v6
	v_cndmask_b32_e64 v5, 0, v5, s[6:7]
	buffer_store_dword v9, off, s[0:3], 0 offset:288
	buffer_store_dword v8, off, s[0:3], 0 offset:292
	;; [unrolled: 1-line block ×4, first 2 shown]
	v_add_f32_e32 v6, v10, v5
	v_cndmask_b32_e64 v4, 0, v4, s[10:11]
	v_add_f32_e32 v6, v6, v4
	v_cndmask_b32_e32 v3, 0, v3, vcc
	v_add_f32_e32 v6, v6, v3
	v_cndmask_b32_e64 v2, 0, v2, s[4:5]
	v_add_f32_e32 v6, v6, v2
	ds_bpermute_b32 v7, v22, v6
	buffer_store_dword v5, off, s[0:3], 0 offset:304
	buffer_store_dword v4, off, s[0:3], 0 offset:308
	;; [unrolled: 1-line block ×4, first 2 shown]
	v_cmp_gt_u32_e32 vcc, 16, v64
	s_waitcnt lgkmcnt(0)
	s_barrier
	v_add_f32_e32 v2, v6, v7
	ds_bpermute_b32 v3, v20, v2
	s_waitcnt lgkmcnt(0)
	s_and_saveexec_b64 s[4:5], vcc
	s_cbranch_execz .LBB956_207
; %bb.206:
	v_add_f32_e32 v2, v2, v3
	v_lshlrev_b32_e32 v3, 2, v63
	ds_write2st64_b32 v3, v12, v2 offset1:1
.LBB956_207:
	s_or_b64 exec, exec, s[4:5]
	v_lshlrev_b32_e32 v2, 2, v55
	s_waitcnt lgkmcnt(0)
	s_barrier
	ds_read2_b32 v[14:15], v2 offset1:16
	ds_read2_b32 v[16:17], v2 offset0:32 offset1:48
	ds_read2_b32 v[6:7], v2 offset0:64 offset1:80
	;; [unrolled: 1-line block ×3, first 2 shown]
	s_waitcnt lgkmcnt(0)
	s_barrier
	buffer_load_dword v22, off, s[0:3], 0 offset:264
	buffer_load_dword v23, off, s[0:3], 0 offset:268
	buffer_load_dword v24, off, s[0:3], 0 offset:256
	buffer_load_dword v25, off, s[0:3], 0 offset:260
	buffer_load_dword v10, off, s[0:3], 0 offset:280
	buffer_load_dword v11, off, s[0:3], 0 offset:284
	buffer_load_dword v8, off, s[0:3], 0 offset:272
	buffer_load_dword v9, off, s[0:3], 0 offset:276
	buffer_load_dword v18, off, s[0:3], 0 offset:288
	buffer_load_dword v19, off, s[0:3], 0 offset:292
	buffer_load_dword v26, off, s[0:3], 0 offset:296
	buffer_load_dword v27, off, s[0:3], 0 offset:300
	buffer_load_dword v2, off, s[0:3], 0 offset:304
	buffer_load_dword v3, off, s[0:3], 0 offset:308
	buffer_load_dword v4, off, s[0:3], 0 offset:312
	buffer_load_dword v5, off, s[0:3], 0 offset:316
	v_max3_f32 v20, v14, s52, v15
	v_max3_f32 v20, v20, v16, v17
	v_sub_f32_e32 v14, v14, v20
	v_sub_f32_e32 v15, v15, v20
	v_mul_f32_e32 v14, 0x3fb8aa3b, v14
	v_sub_f32_e32 v16, v16, v20
	v_mul_f32_e32 v15, 0x3fb8aa3b, v15
	v_exp_f32_e32 v14, v14
	v_sub_f32_e32 v17, v17, v20
	v_mul_f32_e32 v16, 0x3fb8aa3b, v16
	v_exp_f32_e32 v15, v15
	v_mul_f32_e32 v17, 0x3fb8aa3b, v17
	v_exp_f32_e32 v16, v16
	v_exp_f32_e32 v17, v17
	v_fma_f32 v6, v14, v6, 0
	v_fmac_f32_e32 v6, v15, v7
	v_fmac_f32_e32 v6, v16, v12
	;; [unrolled: 1-line block ×3, first 2 shown]
	v_cmp_eq_u32_e32 vcc, 1, v62
	v_add_f32_e32 v12, 0x358637bd, v6
	v_cndmask_b32_e32 v14, v14, v15, vcc
	v_cmp_eq_u32_e32 vcc, 2, v62
	v_div_scale_f32 v13, s[4:5], v12, v12, 1.0
	v_cndmask_b32_e32 v7, v14, v16, vcc
	v_rcp_f32_e32 v14, v13
	v_cmp_eq_u32_e32 vcc, 3, v62
	v_cndmask_b32_e32 v7, v7, v17, vcc
	v_div_scale_f32 v15, vcc, 1.0, v12, 1.0
	v_fma_f32 v16, -v13, v14, 1.0
	v_fmac_f32_e32 v14, v16, v14
	v_mul_f32_e32 v16, v15, v14
	v_fma_f32 v17, -v13, v16, v15
	v_fmac_f32_e32 v16, v17, v14
	v_fma_f32 v13, -v13, v16, v15
	v_div_fmas_f32 v13, v13, v14, v16
	v_div_fixup_f32 v12, v13, v12, 1.0
	v_mul_f32_e32 v12, v7, v12
	s_movk_i32 s19, 0x7fff
	s_mov_b32 s20, 0x7060302
	s_mul_i32 s18, s51, 15
	v_cmp_gt_u32_e32 vcc, 15, v0
	s_waitcnt vmcnt(14)
	v_pk_mul_f32 v[14:15], v[12:13], v[22:23] op_sel_hi:[0,1]
	v_bfe_u32 v21, v15, 16, 1
	s_waitcnt vmcnt(12)
	v_pk_mul_f32 v[16:17], v[12:13], v[24:25] op_sel_hi:[0,1]
	v_bfe_u32 v7, v17, 16, 1
	v_bfe_u32 v13, v16, 16, 1
	;; [unrolled: 1-line block ×3, first 2 shown]
	v_add3_u32 v13, v16, v13, s19
	v_add3_u32 v7, v17, v7, s19
	buffer_store_dword v16, off, s[0:3], 0 offset:256
	buffer_store_dword v17, off, s[0:3], 0 offset:260
	;; [unrolled: 1-line block ×4, first 2 shown]
	v_add3_u32 v16, v14, v22, s19
	v_add3_u32 v15, v15, v21, s19
	v_perm_b32 v14, v7, v13, s20
	v_lshlrev_b32_e32 v13, 3, v1
	v_perm_b32 v15, v15, v16, s20
	v_lshlrev_b32_e32 v7, 5, v55
	v_lshlrev_b32_e32 v16, 11, v62
	s_waitcnt vmcnt(12)
	v_pk_mul_f32 v[8:9], v[12:13], v[8:9] op_sel_hi:[0,1]
	v_or3_b32 v43, v16, v7, v13
	v_pk_mul_f32 v[10:11], v[12:13], v[10:11] op_sel_hi:[0,1]
	v_bfe_u32 v13, v9, 16, 1
	v_bfe_u32 v16, v8, 16, 1
	buffer_store_dword v8, off, s[0:3], 0 offset:272
	buffer_store_dword v9, off, s[0:3], 0 offset:276
	;; [unrolled: 1-line block ×4, first 2 shown]
	v_add3_u32 v8, v8, v16, s19
	v_add3_u32 v9, v9, v13, s19
	v_perm_b32 v8, v9, v8, s20
	v_bfe_u32 v9, v11, 16, 1
	v_bfe_u32 v13, v10, 16, 1
	v_add3_u32 v10, v10, v13, s19
	v_add3_u32 v9, v11, v9, s19
	v_perm_b32 v9, v9, v10, s20
	s_waitcnt vmcnt(14)
	v_pk_mul_f32 v[10:11], v[12:13], v[18:19] op_sel_hi:[0,1]
	ds_write2st64_b64 v43, v[14:15], v[8:9] offset1:1
	s_waitcnt vmcnt(12)
	v_pk_mul_f32 v[8:9], v[12:13], v[26:27] op_sel_hi:[0,1]
	v_bfe_u32 v13, v11, 16, 1
	v_bfe_u32 v14, v10, 16, 1
	buffer_store_dword v10, off, s[0:3], 0 offset:288
	buffer_store_dword v11, off, s[0:3], 0 offset:292
	;; [unrolled: 1-line block ×4, first 2 shown]
	v_add3_u32 v10, v10, v14, s19
	v_add3_u32 v11, v11, v13, s19
	v_perm_b32 v10, v11, v10, s20
	v_bfe_u32 v11, v9, 16, 1
	v_bfe_u32 v13, v8, 16, 1
	v_add3_u32 v8, v8, v13, s19
	v_add3_u32 v9, v9, v11, s19
	s_waitcnt vmcnt(14)
	v_pk_mul_f32 v[2:3], v[12:13], v[2:3] op_sel_hi:[0,1]
	v_perm_b32 v11, v9, v8, s20
	v_bfe_u32 v8, v3, 16, 1
	v_bfe_u32 v9, v2, 16, 1
	s_waitcnt vmcnt(12)
	v_pk_mul_f32 v[4:5], v[12:13], v[4:5] op_sel_hi:[0,1]
	buffer_store_dword v2, off, s[0:3], 0 offset:304
	buffer_store_dword v3, off, s[0:3], 0 offset:308
	;; [unrolled: 1-line block ×4, first 2 shown]
	v_add3_u32 v2, v2, v9, s19
	v_add3_u32 v3, v3, v8, s19
	v_perm_b32 v2, v3, v2, s20
	v_bfe_u32 v3, v5, 16, 1
	v_bfe_u32 v8, v4, 16, 1
	v_add3_u32 v4, v4, v8, s19
	v_add3_u32 v3, v5, v3, s19
	v_perm_b32 v3, v3, v4, s20
	ds_write2st64_b64 v43, v[10:11], v[2:3] offset0:2 offset1:3
	s_and_saveexec_b64 s[4:5], vcc
	s_cbranch_execz .LBB956_209
; %bb.208:
	v_add_co_u32_e32 v4, vcc, s25, v55
	v_addc_co_u32_e64 v5, s[6:7], 0, 0, vcc
	v_mov_b32_e32 v2, s18
	v_mad_u64_u32 v[4:5], s[6:7], s8, v2, v[4:5]
	v_mov_b32_e32 v3, 0
	s_mul_i32 s6, s9, s18
	v_mov_b32_e32 v2, s24
	v_add_u32_e32 v5, s6, v5
	v_mad_u64_u32 v[2:3], s[6:7], v4, s50, v[2:3]
	v_mov_b32_e32 v4, v3
	v_mad_u64_u32 v[4:5], s[6:7], v5, s50, v[4:5]
	v_mov_b32_e32 v3, v4
	v_lshlrev_b64 v[2:3], 2, v[2:3]
	v_mov_b32_e32 v5, s47
	v_add_co_u32_e32 v4, vcc, s46, v2
	v_addc_co_u32_e32 v5, vcc, v5, v3, vcc
	global_store_dword v[4:5], v20, off
	v_mov_b32_e32 v4, s45
	v_add_co_u32_e32 v2, vcc, s44, v2
	v_addc_co_u32_e32 v3, vcc, v4, v3, vcc
	global_store_dword v[2:3], v6, off
.LBB956_209:
	s_or_b64 exec, exec, s[4:5]
	v_lshl_or_b32 v30, v1, 9, v7
	s_waitcnt lgkmcnt(0)
	s_barrier
	s_load_dword s4, s[42:43], 0x0
	ds_read_b128 v[2:5], v30
	ds_read_b128 v[6:9], v30 offset:16
	ds_read_b128 v[10:13], v30 offset:2048
	;; [unrolled: 1-line block ×7, first 2 shown]
	v_mov_b32_e32 v35, 0x80
	v_mov_b32_e32 v45, 0x140
	s_mov_b64 s[10:11], -1
	s_waitcnt lgkmcnt(0)
	s_mov_b32 s5, s4
	s_mov_b32 s6, s4
	;; [unrolled: 1-line block ×3, first 2 shown]
	s_movk_i32 s9, 0x80
	s_movk_i32 s21, 0x7f
	s_mov_b32 s22, 0xffffff
	s_mov_b32 s23, 0x5040100
	v_mov_b32_e32 v47, 0
	v_bfrev_b32_e32 v48, 60
	s_branch .LBB956_213
.LBB956_210:                            ;   in Loop: Header=BB956_213 Depth=1
	s_or_b64 exec, exec, s[16:17]
.LBB956_211:                            ;   in Loop: Header=BB956_213 Depth=1
	s_or_b64 exec, exec, s[14:15]
.LBB956_212:                            ;   in Loop: Header=BB956_213 Depth=1
	s_or_b64 exec, exec, s[12:13]
	v_perm_b32 v61, v50, v46, s23
	v_perm_b32 v60, v44, v41, s23
	s_xor_b64 s[12:13], s[10:11], -1
	s_mov_b64 s[10:11], 0
	s_and_b64 vcc, exec, s[12:13]
	v_mfma_f32_16x16x16bf16_1k v[62:65], v[60:61], v[30:31], v[34:37]
	v_mov_b32_e32 v61, v58
	v_mov_b32_e32 v60, v59
	s_nop 4
	v_perm_b32 v37, v52, v51, s23
	v_perm_b32 v36, v42, v49, s23
	v_mov_b32_e32 v35, v57
	s_nop 0
	v_mfma_f32_16x16x16bf16_1k v[50:53], v[36:37], v[32:33], v[62:65]
	s_nop 7
	s_nop 2
	v_pk_mul_f32 v[40:41], v[50:51], s[4:5]
	v_pk_mul_f32 v[36:37], v[52:53], s[6:7]
	v_bfe_u32 v34, v41, 16, 1
	v_bfe_u32 v38, v40, 16, 1
	;; [unrolled: 1-line block ×4, first 2 shown]
	v_add3_u32 v38, v40, v38, s19
	v_add3_u32 v34, v41, v34, s19
	;; [unrolled: 1-line block ×4, first 2 shown]
	v_perm_b32 v34, v34, v38, s20
	v_perm_b32 v36, v37, v36, s20
	buffer_store_dword v34, v45, s[0:3], 0 offen
	buffer_store_dword v36, v45, s[0:3], 0 offen offset:4
	v_mov_b32_e32 v45, 0x148
	v_mov_b32_e32 v41, v39
	s_cbranch_vccnz .LBB956_595
.LBB956_213:                            ; =>This Inner Loop Header: Depth=1
	buffer_load_dword v36, v35, s[0:3], 0 offen
	buffer_load_dword v34, v35, s[0:3], 0 offen offset:4
	buffer_load_dword v40, v35, s[0:3], 0 offen offset:8
	;; [unrolled: 1-line block ×3, first 2 shown]
	v_mov_b32_e32 v35, 0
	s_waitcnt vmcnt(3)
	v_cmp_ne_u16_sdwa s[14:15], v36, v47 src0_sel:BYTE_0 src1_sel:DWORD
	s_and_saveexec_b64 s[12:13], s[14:15]
	s_cbranch_execz .LBB956_219
; %bb.214:                              ;   in Loop: Header=BB956_213 Depth=1
	v_cmp_ne_u16_sdwa s[16:17], v36, s9 src0_sel:BYTE_0 src1_sel:DWORD
	v_mov_b32_e32 v35, 0xffff8000
	s_and_saveexec_b64 s[14:15], s[16:17]
	s_cbranch_execz .LBB956_218
; %bb.215:                              ;   in Loop: Header=BB956_213 Depth=1
	v_and_b32_e32 v37, 0x7f, v36
	v_cmp_ne_u32_e32 vcc, s21, v37
	v_mov_b32_e32 v35, 0x7f80
	s_and_saveexec_b64 s[16:17], vcc
	s_cbranch_execz .LBB956_217
; %bb.216:                              ;   in Loop: Header=BB956_213 Depth=1
	v_and_b32_e32 v35, 7, v36
	v_ffbh_u32_e32 v44, v35
	v_min_u32_e32 v44, 32, v44
	v_subrev_u32_e32 v46, 28, v44
	v_lshlrev_b64 v[50:51], v46, v[36:37]
	v_lshrrev_b32_e32 v42, 3, v37
	v_sub_u32_e32 v44, 29, v44
	v_and_b32_e32 v46, 7, v50
	v_cmp_gt_u32_e32 vcc, 8, v37
	v_cndmask_b32_e32 v37, v42, v44, vcc
	v_cndmask_b32_e32 v35, v35, v46, vcc
	v_lshlrev_b32_e32 v42, 24, v36
	v_lshlrev_b32_e32 v35, 20, v35
	v_and_b32_e32 v42, 0x80000000, v42
	v_lshl_add_u32 v37, v37, 23, v48
	v_or3_b32 v35, v42, v37, v35
	v_lshrrev_b32_e32 v35, 16, v35
.LBB956_217:                            ;   in Loop: Header=BB956_213 Depth=1
	s_or_b64 exec, exec, s[16:17]
.LBB956_218:                            ;   in Loop: Header=BB956_213 Depth=1
	s_or_b64 exec, exec, s[14:15]
.LBB956_219:                            ;   in Loop: Header=BB956_213 Depth=1
	s_or_b64 exec, exec, s[12:13]
	v_lshrrev_b16_e32 v42, 8, v36
	v_cmp_ne_u16_e32 vcc, 0, v42
	v_mov_b32_e32 v46, 0
	v_mov_b32_e32 v37, 0
	s_and_saveexec_b64 s[12:13], vcc
	s_cbranch_execz .LBB956_225
; %bb.220:                              ;   in Loop: Header=BB956_213 Depth=1
	v_cmp_ne_u16_e32 vcc, s9, v42
	v_mov_b32_e32 v37, 0xffff8000
	s_and_saveexec_b64 s[14:15], vcc
	s_cbranch_execz .LBB956_224
; %bb.221:                              ;   in Loop: Header=BB956_213 Depth=1
	v_and_b32_e32 v44, 0x7f, v42
	v_cmp_ne_u32_e32 vcc, s21, v44
	v_mov_b32_e32 v37, 0x7f80
	s_and_saveexec_b64 s[16:17], vcc
	s_cbranch_execz .LBB956_223
; %bb.222:                              ;   in Loop: Header=BB956_213 Depth=1
	v_and_b32_e32 v37, 7, v42
	v_ffbh_u32_e32 v50, v37
	v_min_u32_e32 v52, 32, v50
	v_subrev_u32_e32 v50, 28, v52
	v_lshlrev_b64 v[50:51], v50, v[42:43]
	v_lshrrev_b32_e32 v49, 3, v44
	v_sub_u32_e32 v42, 29, v52
	v_and_b32_e32 v50, 7, v50
	v_cmp_gt_u32_e32 vcc, 8, v44
	v_cndmask_b32_e32 v42, v49, v42, vcc
	v_cndmask_b32_e32 v37, v37, v50, vcc
	v_lshlrev_b32_e32 v44, 16, v36
	v_lshlrev_b32_e32 v37, 20, v37
	v_and_b32_e32 v44, 0x80000000, v44
	v_lshl_add_u32 v42, v42, 23, v48
	v_or3_b32 v37, v44, v42, v37
	v_lshrrev_b32_e32 v37, 16, v37
.LBB956_223:                            ;   in Loop: Header=BB956_213 Depth=1
	s_or_b64 exec, exec, s[16:17]
.LBB956_224:                            ;   in Loop: Header=BB956_213 Depth=1
	s_or_b64 exec, exec, s[14:15]
.LBB956_225:                            ;   in Loop: Header=BB956_213 Depth=1
	s_or_b64 exec, exec, s[12:13]
	v_lshrrev_b32_e32 v42, 16, v36
	v_cmp_ne_u16_sdwa s[14:15], v42, v47 src0_sel:BYTE_0 src1_sel:DWORD
	s_and_saveexec_b64 s[12:13], s[14:15]
	s_cbranch_execz .LBB956_231
; %bb.226:                              ;   in Loop: Header=BB956_213 Depth=1
	v_cmp_ne_u16_sdwa s[16:17], v42, s9 src0_sel:BYTE_0 src1_sel:DWORD
	v_mov_b32_e32 v46, 0xffff8000
	s_and_saveexec_b64 s[14:15], s[16:17]
	s_cbranch_execz .LBB956_230
; %bb.227:                              ;   in Loop: Header=BB956_213 Depth=1
	v_bfe_u32 v44, v36, 16, 7
	v_cmp_ne_u32_e32 vcc, s21, v44
	v_mov_b32_e32 v46, 0x7f80
	s_and_saveexec_b64 s[16:17], vcc
	s_cbranch_execz .LBB956_229
; %bb.228:                              ;   in Loop: Header=BB956_213 Depth=1
	v_and_b32_e32 v46, 7, v42
	v_ffbh_u32_e32 v50, v46
	v_min_u32_e32 v52, 32, v50
	v_subrev_u32_e32 v50, 28, v52
	v_lshlrev_b64 v[50:51], v50, v[42:43]
	v_lshrrev_b32_e32 v49, 3, v44
	v_sub_u32_e32 v51, 29, v52
	v_and_b32_e32 v50, 7, v50
	v_cmp_gt_u32_e32 vcc, 8, v44
	v_cndmask_b32_e32 v44, v49, v51, vcc
	v_cndmask_b32_e32 v46, v46, v50, vcc
	v_lshlrev_b32_e32 v42, 24, v42
	v_lshlrev_b32_e32 v46, 20, v46
	v_and_b32_e32 v42, 0x80000000, v42
	v_lshl_add_u32 v44, v44, 23, v48
	v_or3_b32 v42, v42, v44, v46
	v_lshrrev_b32_e32 v46, 16, v42
.LBB956_229:                            ;   in Loop: Header=BB956_213 Depth=1
	s_or_b64 exec, exec, s[16:17]
.LBB956_230:                            ;   in Loop: Header=BB956_213 Depth=1
	s_or_b64 exec, exec, s[14:15]
.LBB956_231:                            ;   in Loop: Header=BB956_213 Depth=1
	s_or_b64 exec, exec, s[12:13]
	v_cmp_lt_u32_e32 vcc, s22, v36
	v_mov_b32_e32 v49, 0
	v_mov_b32_e32 v50, 0
	s_and_saveexec_b64 s[12:13], vcc
	s_cbranch_execz .LBB956_237
; %bb.232:                              ;   in Loop: Header=BB956_213 Depth=1
	v_lshrrev_b32_e32 v42, 24, v36
	v_cmp_ne_u32_e32 vcc, s9, v42
	v_mov_b32_e32 v50, 0xffff8000
	s_and_saveexec_b64 s[14:15], vcc
	s_cbranch_execz .LBB956_236
; %bb.233:                              ;   in Loop: Header=BB956_213 Depth=1
	v_bfe_u32 v36, v36, 24, 7
	v_cmp_ne_u32_e32 vcc, s21, v36
	v_mov_b32_e32 v50, 0x7f80
	s_and_saveexec_b64 s[16:17], vcc
	s_cbranch_execz .LBB956_235
; %bb.234:                              ;   in Loop: Header=BB956_213 Depth=1
	v_and_b32_e32 v44, 7, v42
	v_ffbh_u32_e32 v50, v44
	v_min_u32_e32 v53, 32, v50
	v_subrev_u32_e32 v50, 28, v53
	v_lshlrev_b64 v[50:51], v50, v[42:43]
	v_lshrrev_b32_e32 v52, 3, v36
	v_sub_u32_e32 v51, 29, v53
	v_and_b32_e32 v50, 7, v50
	v_cmp_gt_u32_e32 vcc, 8, v36
	v_cndmask_b32_e32 v36, v52, v51, vcc
	v_cndmask_b32_e32 v44, v44, v50, vcc
	v_lshlrev_b32_e32 v42, 24, v42
	v_lshlrev_b32_e32 v44, 20, v44
	v_and_b32_e32 v42, 0x80000000, v42
	v_lshl_add_u32 v36, v36, 23, v48
	v_or3_b32 v36, v42, v36, v44
	v_lshrrev_b32_e32 v50, 16, v36
.LBB956_235:                            ;   in Loop: Header=BB956_213 Depth=1
	s_or_b64 exec, exec, s[16:17]
.LBB956_236:                            ;   in Loop: Header=BB956_213 Depth=1
	s_or_b64 exec, exec, s[14:15]
.LBB956_237:                            ;   in Loop: Header=BB956_213 Depth=1
	s_or_b64 exec, exec, s[12:13]
	s_waitcnt vmcnt(2)
	v_cmp_ne_u16_sdwa s[14:15], v34, v47 src0_sel:BYTE_0 src1_sel:DWORD
	s_and_saveexec_b64 s[12:13], s[14:15]
	s_cbranch_execz .LBB956_243
; %bb.238:                              ;   in Loop: Header=BB956_213 Depth=1
	v_cmp_ne_u16_sdwa s[16:17], v34, s9 src0_sel:BYTE_0 src1_sel:DWORD
	v_mov_b32_e32 v49, 0xffff8000
	s_and_saveexec_b64 s[14:15], s[16:17]
	s_cbranch_execz .LBB956_242
; %bb.239:                              ;   in Loop: Header=BB956_213 Depth=1
	v_and_b32_e32 v36, 0x7f, v34
	v_cmp_ne_u32_e32 vcc, s21, v36
	v_mov_b32_e32 v49, 0x7f80
	s_and_saveexec_b64 s[16:17], vcc
	s_cbranch_execz .LBB956_241
; %bb.240:                              ;   in Loop: Header=BB956_213 Depth=1
	v_and_b32_e32 v42, 7, v34
	v_ffbh_u32_e32 v49, v42
	v_min_u32_e32 v49, 32, v49
	v_subrev_u32_e32 v51, 28, v49
	v_lshlrev_b64 v[52:53], v51, v[34:35]
	v_lshrrev_b32_e32 v44, 3, v36
	v_sub_u32_e32 v49, 29, v49
	v_and_b32_e32 v51, 7, v52
	v_cmp_gt_u32_e32 vcc, 8, v36
	v_cndmask_b32_e32 v36, v44, v49, vcc
	v_cndmask_b32_e32 v42, v42, v51, vcc
	v_lshlrev_b32_e32 v44, 24, v34
	v_lshlrev_b32_e32 v42, 20, v42
	v_and_b32_e32 v44, 0x80000000, v44
	v_lshl_add_u32 v36, v36, 23, v48
	v_or3_b32 v36, v44, v36, v42
	v_lshrrev_b32_e32 v49, 16, v36
.LBB956_241:                            ;   in Loop: Header=BB956_213 Depth=1
	s_or_b64 exec, exec, s[16:17]
.LBB956_242:                            ;   in Loop: Header=BB956_213 Depth=1
	s_or_b64 exec, exec, s[14:15]
.LBB956_243:                            ;   in Loop: Header=BB956_213 Depth=1
	s_or_b64 exec, exec, s[12:13]
	v_lshrrev_b16_e32 v36, 8, v34
	v_cmp_ne_u16_e32 vcc, 0, v36
	v_mov_b32_e32 v51, 0
	v_mov_b32_e32 v42, 0
	s_and_saveexec_b64 s[12:13], vcc
	s_cbranch_execz .LBB956_249
; %bb.244:                              ;   in Loop: Header=BB956_213 Depth=1
	v_cmp_ne_u16_e32 vcc, s9, v36
	v_mov_b32_e32 v42, 0xffff8000
	s_and_saveexec_b64 s[14:15], vcc
	s_cbranch_execz .LBB956_248
; %bb.245:                              ;   in Loop: Header=BB956_213 Depth=1
	v_and_b32_e32 v44, 0x7f, v36
	v_cmp_ne_u32_e32 vcc, s21, v44
	v_mov_b32_e32 v42, 0x7f80
	s_and_saveexec_b64 s[16:17], vcc
	s_cbranch_execz .LBB956_247
; %bb.246:                              ;   in Loop: Header=BB956_213 Depth=1
	v_and_b32_e32 v42, 7, v36
	v_ffbh_u32_e32 v52, v42
	v_min_u32_e32 v63, 32, v52
	v_subrev_u32_e32 v52, 28, v63
	v_lshlrev_b64 v[52:53], v52, v[36:37]
	v_lshrrev_b32_e32 v62, 3, v44
	v_sub_u32_e32 v36, 29, v63
	v_and_b32_e32 v52, 7, v52
	v_cmp_gt_u32_e32 vcc, 8, v44
	v_cndmask_b32_e32 v36, v62, v36, vcc
	v_cndmask_b32_e32 v42, v42, v52, vcc
	v_lshlrev_b32_e32 v44, 16, v34
	v_lshlrev_b32_e32 v42, 20, v42
	v_and_b32_e32 v44, 0x80000000, v44
	v_lshl_add_u32 v36, v36, 23, v48
	v_or3_b32 v36, v44, v36, v42
	v_lshrrev_b32_e32 v42, 16, v36
.LBB956_247:                            ;   in Loop: Header=BB956_213 Depth=1
	s_or_b64 exec, exec, s[16:17]
.LBB956_248:                            ;   in Loop: Header=BB956_213 Depth=1
	s_or_b64 exec, exec, s[14:15]
.LBB956_249:                            ;   in Loop: Header=BB956_213 Depth=1
	s_or_b64 exec, exec, s[12:13]
	v_lshrrev_b32_e32 v36, 16, v34
	v_cmp_ne_u16_sdwa s[14:15], v36, v47 src0_sel:BYTE_0 src1_sel:DWORD
	s_and_saveexec_b64 s[12:13], s[14:15]
	s_cbranch_execz .LBB956_255
; %bb.250:                              ;   in Loop: Header=BB956_213 Depth=1
	v_cmp_ne_u16_sdwa s[16:17], v36, s9 src0_sel:BYTE_0 src1_sel:DWORD
	v_mov_b32_e32 v51, 0xffff8000
	s_and_saveexec_b64 s[14:15], s[16:17]
	s_cbranch_execz .LBB956_254
; %bb.251:                              ;   in Loop: Header=BB956_213 Depth=1
	v_bfe_u32 v44, v34, 16, 7
	v_cmp_ne_u32_e32 vcc, s21, v44
	v_mov_b32_e32 v51, 0x7f80
	s_and_saveexec_b64 s[16:17], vcc
	s_cbranch_execz .LBB956_253
; %bb.252:                              ;   in Loop: Header=BB956_213 Depth=1
	v_and_b32_e32 v51, 7, v36
	v_ffbh_u32_e32 v52, v51
	v_min_u32_e32 v63, 32, v52
	v_subrev_u32_e32 v52, 28, v63
	v_lshlrev_b64 v[52:53], v52, v[36:37]
	v_lshrrev_b32_e32 v62, 3, v44
	v_sub_u32_e32 v53, 29, v63
	v_and_b32_e32 v52, 7, v52
	v_cmp_gt_u32_e32 vcc, 8, v44
	v_cndmask_b32_e32 v44, v62, v53, vcc
	v_cndmask_b32_e32 v51, v51, v52, vcc
	v_lshlrev_b32_e32 v36, 24, v36
	v_lshlrev_b32_e32 v51, 20, v51
	v_and_b32_e32 v36, 0x80000000, v36
	v_lshl_add_u32 v44, v44, 23, v48
	v_or3_b32 v36, v36, v44, v51
	v_lshrrev_b32_e32 v51, 16, v36
.LBB956_253:                            ;   in Loop: Header=BB956_213 Depth=1
	s_or_b64 exec, exec, s[16:17]
.LBB956_254:                            ;   in Loop: Header=BB956_213 Depth=1
	s_or_b64 exec, exec, s[14:15]
.LBB956_255:                            ;   in Loop: Header=BB956_213 Depth=1
	s_or_b64 exec, exec, s[12:13]
	v_cmp_lt_u32_e32 vcc, s22, v34
	v_mov_b32_e32 v44, 0
	v_mov_b32_e32 v52, 0
	s_and_saveexec_b64 s[12:13], vcc
	s_cbranch_execz .LBB956_261
; %bb.256:                              ;   in Loop: Header=BB956_213 Depth=1
	v_lshrrev_b32_e32 v36, 24, v34
	v_cmp_ne_u32_e32 vcc, s9, v36
	v_mov_b32_e32 v52, 0xffff8000
	s_and_saveexec_b64 s[14:15], vcc
	s_cbranch_execz .LBB956_260
; %bb.257:                              ;   in Loop: Header=BB956_213 Depth=1
	v_bfe_u32 v34, v34, 24, 7
	v_cmp_ne_u32_e32 vcc, s21, v34
	v_mov_b32_e32 v52, 0x7f80
	s_and_saveexec_b64 s[16:17], vcc
	s_cbranch_execz .LBB956_259
; %bb.258:                              ;   in Loop: Header=BB956_213 Depth=1
	v_and_b32_e32 v62, 7, v36
	v_ffbh_u32_e32 v52, v62
	v_min_u32_e32 v64, 32, v52
	v_subrev_u32_e32 v52, 28, v64
	v_lshlrev_b64 v[52:53], v52, v[36:37]
	v_lshrrev_b32_e32 v63, 3, v34
	v_sub_u32_e32 v53, 29, v64
	v_and_b32_e32 v52, 7, v52
	v_cmp_gt_u32_e32 vcc, 8, v34
	v_cndmask_b32_e32 v34, v63, v53, vcc
	v_cndmask_b32_e32 v52, v62, v52, vcc
	v_lshlrev_b32_e32 v36, 24, v36
	v_lshlrev_b32_e32 v52, 20, v52
	v_and_b32_e32 v36, 0x80000000, v36
	v_lshl_add_u32 v34, v34, 23, v48
	v_or3_b32 v34, v36, v34, v52
	v_lshrrev_b32_e32 v52, 16, v34
.LBB956_259:                            ;   in Loop: Header=BB956_213 Depth=1
	s_or_b64 exec, exec, s[16:17]
.LBB956_260:                            ;   in Loop: Header=BB956_213 Depth=1
	s_or_b64 exec, exec, s[14:15]
.LBB956_261:                            ;   in Loop: Header=BB956_213 Depth=1
	s_or_b64 exec, exec, s[12:13]
	v_perm_b32 v63, v50, v46, s23
	v_perm_b32 v62, v37, v35, s23
	;; [unrolled: 1-line block ×4, first 2 shown]
	s_waitcnt vmcnt(1)
	v_cmp_ne_u16_sdwa s[14:15], v40, v47 src0_sel:BYTE_0 src1_sel:DWORD
	v_mfma_f32_16x16x16bf16_1k v[34:37], v[62:63], v[2:3], 0
	v_mfma_f32_16x16x16bf16_1k v[34:37], v[50:51], v[4:5], v[34:37]
	s_and_saveexec_b64 s[12:13], s[14:15]
	s_cbranch_execz .LBB956_267
; %bb.262:                              ;   in Loop: Header=BB956_213 Depth=1
	v_cmp_ne_u16_sdwa s[16:17], v40, s9 src0_sel:BYTE_0 src1_sel:DWORD
	v_mov_b32_e32 v44, 0xffff8000
	s_and_saveexec_b64 s[14:15], s[16:17]
	s_cbranch_execz .LBB956_266
; %bb.263:                              ;   in Loop: Header=BB956_213 Depth=1
	v_and_b32_e32 v42, 0x7f, v40
	v_cmp_ne_u32_e32 vcc, s21, v42
	v_mov_b32_e32 v44, 0x7f80
	s_and_saveexec_b64 s[16:17], vcc
	s_cbranch_execz .LBB956_265
; %bb.264:                              ;   in Loop: Header=BB956_213 Depth=1
	v_and_b32_e32 v44, 7, v40
	v_ffbh_u32_e32 v49, v44
	v_min_u32_e32 v49, 32, v49
	v_subrev_u32_e32 v50, 28, v49
	v_lshlrev_b64 v[50:51], v50, v[40:41]
	v_lshrrev_b32_e32 v46, 3, v42
	v_sub_u32_e32 v49, 29, v49
	v_and_b32_e32 v50, 7, v50
	v_cmp_gt_u32_e32 vcc, 8, v42
	v_cndmask_b32_e32 v42, v46, v49, vcc
	v_cndmask_b32_e32 v44, v44, v50, vcc
	v_lshlrev_b32_e32 v46, 24, v40
	v_lshlrev_b32_e32 v44, 20, v44
	v_and_b32_e32 v46, 0x80000000, v46
	v_lshl_add_u32 v42, v42, 23, v48
	v_or3_b32 v42, v46, v42, v44
	v_lshrrev_b32_e32 v44, 16, v42
.LBB956_265:                            ;   in Loop: Header=BB956_213 Depth=1
	s_or_b64 exec, exec, s[16:17]
.LBB956_266:                            ;   in Loop: Header=BB956_213 Depth=1
	s_or_b64 exec, exec, s[14:15]
.LBB956_267:                            ;   in Loop: Header=BB956_213 Depth=1
	s_or_b64 exec, exec, s[12:13]
	v_lshrrev_b16_e32 v42, 8, v40
	v_cmp_ne_u16_e32 vcc, 0, v42
	v_mov_b32_e32 v50, 0
	v_mov_b32_e32 v46, 0
	s_and_saveexec_b64 s[12:13], vcc
	s_cbranch_execz .LBB956_273
; %bb.268:                              ;   in Loop: Header=BB956_213 Depth=1
	v_cmp_ne_u16_e32 vcc, s9, v42
	v_mov_b32_e32 v46, 0xffff8000
	s_and_saveexec_b64 s[14:15], vcc
	s_cbranch_execz .LBB956_272
; %bb.269:                              ;   in Loop: Header=BB956_213 Depth=1
	v_and_b32_e32 v49, 0x7f, v42
	v_cmp_ne_u32_e32 vcc, s21, v49
	v_mov_b32_e32 v46, 0x7f80
	s_and_saveexec_b64 s[16:17], vcc
	s_cbranch_execz .LBB956_271
; %bb.270:                              ;   in Loop: Header=BB956_213 Depth=1
	v_and_b32_e32 v46, 7, v42
	v_ffbh_u32_e32 v52, v46
	v_min_u32_e32 v62, 32, v52
	v_subrev_u32_e32 v52, 28, v62
	v_lshlrev_b64 v[52:53], v52, v[42:43]
	v_lshrrev_b32_e32 v51, 3, v49
	v_sub_u32_e32 v42, 29, v62
	v_and_b32_e32 v52, 7, v52
	v_cmp_gt_u32_e32 vcc, 8, v49
	v_cndmask_b32_e32 v42, v51, v42, vcc
	v_cndmask_b32_e32 v46, v46, v52, vcc
	v_lshlrev_b32_e32 v49, 16, v40
	v_lshlrev_b32_e32 v46, 20, v46
	v_and_b32_e32 v49, 0x80000000, v49
	v_lshl_add_u32 v42, v42, 23, v48
	v_or3_b32 v42, v49, v42, v46
	v_lshrrev_b32_e32 v46, 16, v42
.LBB956_271:                            ;   in Loop: Header=BB956_213 Depth=1
	s_or_b64 exec, exec, s[16:17]
.LBB956_272:                            ;   in Loop: Header=BB956_213 Depth=1
	s_or_b64 exec, exec, s[14:15]
.LBB956_273:                            ;   in Loop: Header=BB956_213 Depth=1
	s_or_b64 exec, exec, s[12:13]
	v_lshrrev_b32_e32 v42, 16, v40
	v_cmp_ne_u16_sdwa s[14:15], v42, v47 src0_sel:BYTE_0 src1_sel:DWORD
	s_and_saveexec_b64 s[12:13], s[14:15]
	s_cbranch_execz .LBB956_279
; %bb.274:                              ;   in Loop: Header=BB956_213 Depth=1
	v_cmp_ne_u16_sdwa s[16:17], v42, s9 src0_sel:BYTE_0 src1_sel:DWORD
	v_mov_b32_e32 v50, 0xffff8000
	s_and_saveexec_b64 s[14:15], s[16:17]
	s_cbranch_execz .LBB956_278
; %bb.275:                              ;   in Loop: Header=BB956_213 Depth=1
	v_bfe_u32 v49, v40, 16, 7
	v_cmp_ne_u32_e32 vcc, s21, v49
	v_mov_b32_e32 v50, 0x7f80
	s_and_saveexec_b64 s[16:17], vcc
	s_cbranch_execz .LBB956_277
; %bb.276:                              ;   in Loop: Header=BB956_213 Depth=1
	v_and_b32_e32 v52, 7, v42
	v_ffbh_u32_e32 v50, v52
	v_min_u32_e32 v62, 32, v50
	v_subrev_u32_e32 v50, 28, v62
	v_lshlrev_b64 v[50:51], v50, v[42:43]
	v_lshrrev_b32_e32 v53, 3, v49
	v_sub_u32_e32 v51, 29, v62
	v_and_b32_e32 v50, 7, v50
	v_cmp_gt_u32_e32 vcc, 8, v49
	v_cndmask_b32_e32 v49, v53, v51, vcc
	v_cndmask_b32_e32 v50, v52, v50, vcc
	v_lshlrev_b32_e32 v42, 24, v42
	v_lshlrev_b32_e32 v50, 20, v50
	v_and_b32_e32 v42, 0x80000000, v42
	v_lshl_add_u32 v49, v49, 23, v48
	v_or3_b32 v42, v42, v49, v50
	v_lshrrev_b32_e32 v50, 16, v42
.LBB956_277:                            ;   in Loop: Header=BB956_213 Depth=1
	s_or_b64 exec, exec, s[16:17]
.LBB956_278:                            ;   in Loop: Header=BB956_213 Depth=1
	s_or_b64 exec, exec, s[14:15]
.LBB956_279:                            ;   in Loop: Header=BB956_213 Depth=1
	s_or_b64 exec, exec, s[12:13]
	v_cmp_lt_u32_e32 vcc, s22, v40
	v_mov_b32_e32 v51, 0
	v_mov_b32_e32 v52, 0
	s_and_saveexec_b64 s[12:13], vcc
	s_cbranch_execz .LBB956_285
; %bb.280:                              ;   in Loop: Header=BB956_213 Depth=1
	v_lshrrev_b32_e32 v42, 24, v40
	v_cmp_ne_u32_e32 vcc, s9, v42
	v_mov_b32_e32 v52, 0xffff8000
	s_and_saveexec_b64 s[14:15], vcc
	s_cbranch_execz .LBB956_284
; %bb.281:                              ;   in Loop: Header=BB956_213 Depth=1
	v_bfe_u32 v40, v40, 24, 7
	v_cmp_ne_u32_e32 vcc, s21, v40
	v_mov_b32_e32 v52, 0x7f80
	s_and_saveexec_b64 s[16:17], vcc
	s_cbranch_execz .LBB956_283
; %bb.282:                              ;   in Loop: Header=BB956_213 Depth=1
	v_and_b32_e32 v49, 7, v42
	v_ffbh_u32_e32 v52, v49
	v_min_u32_e32 v63, 32, v52
	v_subrev_u32_e32 v52, 28, v63
	v_lshlrev_b64 v[52:53], v52, v[42:43]
	v_lshrrev_b32_e32 v62, 3, v40
	v_sub_u32_e32 v53, 29, v63
	v_and_b32_e32 v52, 7, v52
	v_cmp_gt_u32_e32 vcc, 8, v40
	v_cndmask_b32_e32 v40, v62, v53, vcc
	v_cndmask_b32_e32 v49, v49, v52, vcc
	v_lshlrev_b32_e32 v42, 24, v42
	v_lshlrev_b32_e32 v49, 20, v49
	v_and_b32_e32 v42, 0x80000000, v42
	v_lshl_add_u32 v40, v40, 23, v48
	v_or3_b32 v40, v42, v40, v49
	v_lshrrev_b32_e32 v52, 16, v40
.LBB956_283:                            ;   in Loop: Header=BB956_213 Depth=1
	s_or_b64 exec, exec, s[16:17]
.LBB956_284:                            ;   in Loop: Header=BB956_213 Depth=1
	s_or_b64 exec, exec, s[14:15]
.LBB956_285:                            ;   in Loop: Header=BB956_213 Depth=1
	s_or_b64 exec, exec, s[12:13]
	s_waitcnt vmcnt(0)
	v_cmp_ne_u16_sdwa s[14:15], v38, v47 src0_sel:BYTE_0 src1_sel:DWORD
	s_and_saveexec_b64 s[12:13], s[14:15]
	s_cbranch_execz .LBB956_291
; %bb.286:                              ;   in Loop: Header=BB956_213 Depth=1
	v_cmp_ne_u16_sdwa s[16:17], v38, s9 src0_sel:BYTE_0 src1_sel:DWORD
	v_mov_b32_e32 v51, 0xffff8000
	s_and_saveexec_b64 s[14:15], s[16:17]
	s_cbranch_execz .LBB956_290
; %bb.287:                              ;   in Loop: Header=BB956_213 Depth=1
	v_and_b32_e32 v40, 0x7f, v38
	v_cmp_ne_u32_e32 vcc, s21, v40
	v_mov_b32_e32 v51, 0x7f80
	s_and_saveexec_b64 s[16:17], vcc
	s_cbranch_execz .LBB956_289
; %bb.288:                              ;   in Loop: Header=BB956_213 Depth=1
	v_and_b32_e32 v42, 7, v38
	v_ffbh_u32_e32 v51, v42
	v_min_u32_e32 v51, 32, v51
	v_subrev_u32_e32 v53, 28, v51
	v_lshlrev_b64 v[62:63], v53, v[38:39]
	v_lshrrev_b32_e32 v49, 3, v40
	v_sub_u32_e32 v51, 29, v51
	v_and_b32_e32 v53, 7, v62
	v_cmp_gt_u32_e32 vcc, 8, v40
	v_cndmask_b32_e32 v40, v49, v51, vcc
	v_cndmask_b32_e32 v42, v42, v53, vcc
	v_lshlrev_b32_e32 v49, 24, v38
	v_lshlrev_b32_e32 v42, 20, v42
	v_and_b32_e32 v49, 0x80000000, v49
	v_lshl_add_u32 v40, v40, 23, v48
	v_or3_b32 v40, v49, v40, v42
	v_lshrrev_b32_e32 v51, 16, v40
.LBB956_289:                            ;   in Loop: Header=BB956_213 Depth=1
	s_or_b64 exec, exec, s[16:17]
.LBB956_290:                            ;   in Loop: Header=BB956_213 Depth=1
	s_or_b64 exec, exec, s[14:15]
.LBB956_291:                            ;   in Loop: Header=BB956_213 Depth=1
	s_or_b64 exec, exec, s[12:13]
	v_lshrrev_b16_e32 v40, 8, v38
	v_cmp_ne_u16_e32 vcc, 0, v40
	v_mov_b32_e32 v62, 0
	v_mov_b32_e32 v53, 0
	s_and_saveexec_b64 s[12:13], vcc
	s_cbranch_execz .LBB956_297
; %bb.292:                              ;   in Loop: Header=BB956_213 Depth=1
	v_cmp_ne_u16_e32 vcc, s9, v40
	v_mov_b32_e32 v53, 0xffff8000
	s_and_saveexec_b64 s[14:15], vcc
	s_cbranch_execz .LBB956_296
; %bb.293:                              ;   in Loop: Header=BB956_213 Depth=1
	v_and_b32_e32 v42, 0x7f, v40
	v_cmp_ne_u32_e32 vcc, s21, v42
	v_mov_b32_e32 v53, 0x7f80
	s_and_saveexec_b64 s[16:17], vcc
	s_cbranch_execz .LBB956_295
; %bb.294:                              ;   in Loop: Header=BB956_213 Depth=1
	v_and_b32_e32 v49, 7, v40
	v_ffbh_u32_e32 v63, v49
	v_min_u32_e32 v63, 32, v63
	v_subrev_u32_e32 v64, 28, v63
	v_lshlrev_b64 v[64:65], v64, v[40:41]
	v_lshrrev_b32_e32 v53, 3, v42
	v_sub_u32_e32 v40, 29, v63
	v_and_b32_e32 v63, 7, v64
	v_cmp_gt_u32_e32 vcc, 8, v42
	v_cndmask_b32_e32 v40, v53, v40, vcc
	v_cndmask_b32_e32 v42, v49, v63, vcc
	v_lshlrev_b32_e32 v49, 16, v38
	v_lshlrev_b32_e32 v42, 20, v42
	v_and_b32_e32 v49, 0x80000000, v49
	v_lshl_add_u32 v40, v40, 23, v48
	v_or3_b32 v40, v49, v40, v42
	v_lshrrev_b32_e32 v53, 16, v40
.LBB956_295:                            ;   in Loop: Header=BB956_213 Depth=1
	s_or_b64 exec, exec, s[16:17]
.LBB956_296:                            ;   in Loop: Header=BB956_213 Depth=1
	s_or_b64 exec, exec, s[14:15]
.LBB956_297:                            ;   in Loop: Header=BB956_213 Depth=1
	s_or_b64 exec, exec, s[12:13]
	v_lshrrev_b32_e32 v40, 16, v38
	v_cmp_ne_u16_sdwa s[14:15], v40, v47 src0_sel:BYTE_0 src1_sel:DWORD
	s_and_saveexec_b64 s[12:13], s[14:15]
	s_cbranch_execz .LBB956_303
; %bb.298:                              ;   in Loop: Header=BB956_213 Depth=1
	v_cmp_ne_u16_sdwa s[16:17], v40, s9 src0_sel:BYTE_0 src1_sel:DWORD
	v_mov_b32_e32 v62, 0xffff8000
	s_and_saveexec_b64 s[14:15], s[16:17]
	s_cbranch_execz .LBB956_302
; %bb.299:                              ;   in Loop: Header=BB956_213 Depth=1
	v_bfe_u32 v42, v38, 16, 7
	v_cmp_ne_u32_e32 vcc, s21, v42
	v_mov_b32_e32 v62, 0x7f80
	s_and_saveexec_b64 s[16:17], vcc
	s_cbranch_execz .LBB956_301
; %bb.300:                              ;   in Loop: Header=BB956_213 Depth=1
	v_and_b32_e32 v49, 7, v40
	v_ffbh_u32_e32 v62, v49
	v_min_u32_e32 v65, 32, v62
	v_subrev_u32_e32 v62, 28, v65
	v_lshlrev_b64 v[62:63], v62, v[40:41]
	v_lshrrev_b32_e32 v64, 3, v42
	v_sub_u32_e32 v63, 29, v65
	v_and_b32_e32 v62, 7, v62
	v_cmp_gt_u32_e32 vcc, 8, v42
	v_cndmask_b32_e32 v42, v64, v63, vcc
	v_cndmask_b32_e32 v49, v49, v62, vcc
	v_lshlrev_b32_e32 v40, 24, v40
	v_lshlrev_b32_e32 v49, 20, v49
	v_and_b32_e32 v40, 0x80000000, v40
	v_lshl_add_u32 v42, v42, 23, v48
	v_or3_b32 v40, v40, v42, v49
	v_lshrrev_b32_e32 v62, 16, v40
.LBB956_301:                            ;   in Loop: Header=BB956_213 Depth=1
	s_or_b64 exec, exec, s[16:17]
.LBB956_302:                            ;   in Loop: Header=BB956_213 Depth=1
	s_or_b64 exec, exec, s[14:15]
.LBB956_303:                            ;   in Loop: Header=BB956_213 Depth=1
	s_or_b64 exec, exec, s[12:13]
	v_cmp_lt_u32_e32 vcc, s22, v38
	v_mov_b32_e32 v49, 0
	v_mov_b32_e32 v63, 0
	s_and_saveexec_b64 s[12:13], vcc
	s_cbranch_execz .LBB956_309
; %bb.304:                              ;   in Loop: Header=BB956_213 Depth=1
	v_lshrrev_b32_e32 v40, 24, v38
	v_cmp_ne_u32_e32 vcc, s9, v40
	v_mov_b32_e32 v63, 0xffff8000
	s_and_saveexec_b64 s[14:15], vcc
	s_cbranch_execz .LBB956_308
; %bb.305:                              ;   in Loop: Header=BB956_213 Depth=1
	v_bfe_u32 v38, v38, 24, 7
	v_cmp_ne_u32_e32 vcc, s21, v38
	v_mov_b32_e32 v63, 0x7f80
	s_and_saveexec_b64 s[16:17], vcc
	s_cbranch_execz .LBB956_307
; %bb.306:                              ;   in Loop: Header=BB956_213 Depth=1
	v_and_b32_e32 v42, 7, v40
	v_ffbh_u32_e32 v64, v42
	v_min_u32_e32 v66, 32, v64
	v_subrev_u32_e32 v64, 28, v66
	v_lshlrev_b64 v[64:65], v64, v[40:41]
	v_lshrrev_b32_e32 v63, 3, v38
	v_sub_u32_e32 v65, 29, v66
	v_and_b32_e32 v64, 7, v64
	v_cmp_gt_u32_e32 vcc, 8, v38
	v_cndmask_b32_e32 v38, v63, v65, vcc
	v_cndmask_b32_e32 v42, v42, v64, vcc
	v_lshlrev_b32_e32 v40, 24, v40
	v_lshlrev_b32_e32 v42, 20, v42
	v_and_b32_e32 v40, 0x80000000, v40
	v_lshl_add_u32 v38, v38, 23, v48
	v_or3_b32 v38, v40, v38, v42
	v_lshrrev_b32_e32 v63, 16, v38
.LBB956_307:                            ;   in Loop: Header=BB956_213 Depth=1
	s_or_b64 exec, exec, s[16:17]
.LBB956_308:                            ;   in Loop: Header=BB956_213 Depth=1
	s_or_b64 exec, exec, s[14:15]
.LBB956_309:                            ;   in Loop: Header=BB956_213 Depth=1
	s_or_b64 exec, exec, s[12:13]
	v_perm_b32 v64, v46, v44, s23
	buffer_load_dword v44, v61, s[0:3], 0 offen
	buffer_load_dword v42, v61, s[0:3], 0 offen offset:4
	buffer_load_dword v40, v61, s[0:3], 0 offen offset:8
	;; [unrolled: 1-line block ×3, first 2 shown]
	v_perm_b32 v65, v52, v50, s23
	v_perm_b32 v63, v63, v62, s23
	;; [unrolled: 1-line block ×3, first 2 shown]
	v_mfma_f32_16x16x16bf16_1k v[34:37], v[64:65], v[6:7], v[34:37]
	s_waitcnt vmcnt(3)
	v_cmp_ne_u16_sdwa s[14:15], v44, v47 src0_sel:BYTE_0 src1_sel:DWORD
	v_mfma_f32_16x16x16bf16_1k v[34:37], v[62:63], v[8:9], v[34:37]
	s_and_saveexec_b64 s[12:13], s[14:15]
	s_cbranch_execz .LBB956_315
; %bb.310:                              ;   in Loop: Header=BB956_213 Depth=1
	v_cmp_ne_u16_sdwa s[16:17], v44, s9 src0_sel:BYTE_0 src1_sel:DWORD
	v_mov_b32_e32 v49, 0xffff8000
	s_and_saveexec_b64 s[14:15], s[16:17]
	s_cbranch_execz .LBB956_314
; %bb.311:                              ;   in Loop: Header=BB956_213 Depth=1
	v_and_b32_e32 v46, 0x7f, v44
	v_cmp_ne_u32_e32 vcc, s21, v46
	v_mov_b32_e32 v49, 0x7f80
	s_and_saveexec_b64 s[16:17], vcc
	s_cbranch_execz .LBB956_313
; %bb.312:                              ;   in Loop: Header=BB956_213 Depth=1
	v_and_b32_e32 v49, 7, v44
	v_ffbh_u32_e32 v50, v49
	v_min_u32_e32 v53, 32, v50
	v_subrev_u32_e32 v50, 28, v53
	v_lshlrev_b64 v[50:51], v50, v[44:45]
	v_lshrrev_b32_e32 v52, 3, v46
	v_sub_u32_e32 v51, 29, v53
	v_and_b32_e32 v50, 7, v50
	v_cmp_gt_u32_e32 vcc, 8, v46
	v_cndmask_b32_e32 v46, v52, v51, vcc
	v_cndmask_b32_e32 v49, v49, v50, vcc
	v_lshlrev_b32_e32 v50, 24, v44
	v_lshlrev_b32_e32 v49, 20, v49
	v_and_b32_e32 v50, 0x80000000, v50
	v_lshl_add_u32 v46, v46, 23, v48
	v_or3_b32 v46, v50, v46, v49
	v_lshrrev_b32_e32 v49, 16, v46
.LBB956_313:                            ;   in Loop: Header=BB956_213 Depth=1
	s_or_b64 exec, exec, s[16:17]
.LBB956_314:                            ;   in Loop: Header=BB956_213 Depth=1
	s_or_b64 exec, exec, s[14:15]
.LBB956_315:                            ;   in Loop: Header=BB956_213 Depth=1
	s_or_b64 exec, exec, s[12:13]
	v_lshrrev_b16_e32 v46, 8, v44
	v_cmp_ne_u16_e32 vcc, 0, v46
	v_mov_b32_e32 v51, 0
	v_mov_b32_e32 v50, 0
	s_and_saveexec_b64 s[12:13], vcc
	s_cbranch_execz .LBB956_321
; %bb.316:                              ;   in Loop: Header=BB956_213 Depth=1
	v_cmp_ne_u16_e32 vcc, s9, v46
	v_mov_b32_e32 v50, 0xffff8000
	s_and_saveexec_b64 s[14:15], vcc
	s_cbranch_execz .LBB956_320
; %bb.317:                              ;   in Loop: Header=BB956_213 Depth=1
	v_and_b32_e32 v52, 0x7f, v46
	v_cmp_ne_u32_e32 vcc, s21, v52
	v_mov_b32_e32 v50, 0x7f80
	s_and_saveexec_b64 s[16:17], vcc
	s_cbranch_execz .LBB956_319
; %bb.318:                              ;   in Loop: Header=BB956_213 Depth=1
	v_and_b32_e32 v50, 7, v46
	v_ffbh_u32_e32 v61, v50
	v_min_u32_e32 v61, 32, v61
	v_subrev_u32_e32 v62, 28, v61
	v_lshlrev_b64 v[62:63], v62, v[46:47]
	v_lshrrev_b32_e32 v53, 3, v52
	v_sub_u32_e32 v46, 29, v61
	v_and_b32_e32 v61, 7, v62
	v_cmp_gt_u32_e32 vcc, 8, v52
	v_cndmask_b32_e32 v46, v53, v46, vcc
	v_cndmask_b32_e32 v50, v50, v61, vcc
	v_lshlrev_b32_e32 v52, 16, v44
	v_lshlrev_b32_e32 v50, 20, v50
	v_and_b32_e32 v52, 0x80000000, v52
	v_lshl_add_u32 v46, v46, 23, v48
	v_or3_b32 v46, v52, v46, v50
	v_lshrrev_b32_e32 v50, 16, v46
.LBB956_319:                            ;   in Loop: Header=BB956_213 Depth=1
	s_or_b64 exec, exec, s[16:17]
.LBB956_320:                            ;   in Loop: Header=BB956_213 Depth=1
	s_or_b64 exec, exec, s[14:15]
.LBB956_321:                            ;   in Loop: Header=BB956_213 Depth=1
	s_or_b64 exec, exec, s[12:13]
	v_lshrrev_b32_e32 v46, 16, v44
	v_cmp_ne_u16_sdwa s[14:15], v46, v47 src0_sel:BYTE_0 src1_sel:DWORD
	s_and_saveexec_b64 s[12:13], s[14:15]
	s_cbranch_execz .LBB956_327
; %bb.322:                              ;   in Loop: Header=BB956_213 Depth=1
	v_cmp_ne_u16_sdwa s[16:17], v46, s9 src0_sel:BYTE_0 src1_sel:DWORD
	v_mov_b32_e32 v51, 0xffff8000
	s_and_saveexec_b64 s[14:15], s[16:17]
	s_cbranch_execz .LBB956_326
; %bb.323:                              ;   in Loop: Header=BB956_213 Depth=1
	v_bfe_u32 v52, v44, 16, 7
	v_cmp_ne_u32_e32 vcc, s21, v52
	v_mov_b32_e32 v51, 0x7f80
	s_and_saveexec_b64 s[16:17], vcc
	s_cbranch_execz .LBB956_325
; %bb.324:                              ;   in Loop: Header=BB956_213 Depth=1
	v_and_b32_e32 v51, 7, v46
	v_ffbh_u32_e32 v61, v51
	v_min_u32_e32 v61, 32, v61
	v_subrev_u32_e32 v62, 28, v61
	v_lshlrev_b64 v[62:63], v62, v[46:47]
	v_lshrrev_b32_e32 v53, 3, v52
	v_sub_u32_e32 v61, 29, v61
	v_and_b32_e32 v62, 7, v62
	v_cmp_gt_u32_e32 vcc, 8, v52
	v_cndmask_b32_e32 v52, v53, v61, vcc
	v_cndmask_b32_e32 v51, v51, v62, vcc
	v_lshlrev_b32_e32 v46, 24, v46
	v_lshlrev_b32_e32 v51, 20, v51
	v_and_b32_e32 v46, 0x80000000, v46
	v_lshl_add_u32 v52, v52, 23, v48
	v_or3_b32 v46, v46, v52, v51
	v_lshrrev_b32_e32 v51, 16, v46
.LBB956_325:                            ;   in Loop: Header=BB956_213 Depth=1
	s_or_b64 exec, exec, s[16:17]
.LBB956_326:                            ;   in Loop: Header=BB956_213 Depth=1
	s_or_b64 exec, exec, s[14:15]
.LBB956_327:                            ;   in Loop: Header=BB956_213 Depth=1
	s_or_b64 exec, exec, s[12:13]
	v_cmp_lt_u32_e32 vcc, s22, v44
	v_mov_b32_e32 v52, 0
	v_mov_b32_e32 v53, 0
	s_and_saveexec_b64 s[12:13], vcc
	s_cbranch_execz .LBB956_333
; %bb.328:                              ;   in Loop: Header=BB956_213 Depth=1
	v_lshrrev_b32_e32 v46, 24, v44
	v_cmp_ne_u32_e32 vcc, s9, v46
	v_mov_b32_e32 v53, 0xffff8000
	s_and_saveexec_b64 s[14:15], vcc
	s_cbranch_execz .LBB956_332
; %bb.329:                              ;   in Loop: Header=BB956_213 Depth=1
	v_bfe_u32 v44, v44, 24, 7
	v_cmp_ne_u32_e32 vcc, s21, v44
	v_mov_b32_e32 v53, 0x7f80
	s_and_saveexec_b64 s[16:17], vcc
	s_cbranch_execz .LBB956_331
; %bb.330:                              ;   in Loop: Header=BB956_213 Depth=1
	v_and_b32_e32 v53, 7, v46
	v_ffbh_u32_e32 v62, v53
	v_min_u32_e32 v64, 32, v62
	v_subrev_u32_e32 v62, 28, v64
	v_lshlrev_b64 v[62:63], v62, v[46:47]
	v_lshrrev_b32_e32 v61, 3, v44
	v_sub_u32_e32 v63, 29, v64
	v_and_b32_e32 v62, 7, v62
	v_cmp_gt_u32_e32 vcc, 8, v44
	v_cndmask_b32_e32 v44, v61, v63, vcc
	v_cndmask_b32_e32 v53, v53, v62, vcc
	v_lshlrev_b32_e32 v46, 24, v46
	v_lshlrev_b32_e32 v53, 20, v53
	v_and_b32_e32 v46, 0x80000000, v46
	v_lshl_add_u32 v44, v44, 23, v48
	v_or3_b32 v44, v46, v44, v53
	v_lshrrev_b32_e32 v53, 16, v44
.LBB956_331:                            ;   in Loop: Header=BB956_213 Depth=1
	s_or_b64 exec, exec, s[16:17]
.LBB956_332:                            ;   in Loop: Header=BB956_213 Depth=1
	s_or_b64 exec, exec, s[14:15]
.LBB956_333:                            ;   in Loop: Header=BB956_213 Depth=1
	s_or_b64 exec, exec, s[12:13]
	s_waitcnt vmcnt(2)
	v_cmp_ne_u16_sdwa s[14:15], v42, v47 src0_sel:BYTE_0 src1_sel:DWORD
	s_and_saveexec_b64 s[12:13], s[14:15]
	s_cbranch_execz .LBB956_339
; %bb.334:                              ;   in Loop: Header=BB956_213 Depth=1
	v_cmp_ne_u16_sdwa s[16:17], v42, s9 src0_sel:BYTE_0 src1_sel:DWORD
	v_mov_b32_e32 v52, 0xffff8000
	s_and_saveexec_b64 s[14:15], s[16:17]
	s_cbranch_execz .LBB956_338
; %bb.335:                              ;   in Loop: Header=BB956_213 Depth=1
	v_and_b32_e32 v44, 0x7f, v42
	v_cmp_ne_u32_e32 vcc, s21, v44
	v_mov_b32_e32 v52, 0x7f80
	s_and_saveexec_b64 s[16:17], vcc
	s_cbranch_execz .LBB956_337
; %bb.336:                              ;   in Loop: Header=BB956_213 Depth=1
	v_and_b32_e32 v46, 7, v42
	v_ffbh_u32_e32 v61, v46
	v_min_u32_e32 v61, 32, v61
	v_subrev_u32_e32 v62, 28, v61
	v_lshlrev_b64 v[62:63], v62, v[42:43]
	v_lshrrev_b32_e32 v52, 3, v44
	v_sub_u32_e32 v61, 29, v61
	v_and_b32_e32 v62, 7, v62
	v_cmp_gt_u32_e32 vcc, 8, v44
	v_cndmask_b32_e32 v44, v52, v61, vcc
	v_cndmask_b32_e32 v46, v46, v62, vcc
	v_lshlrev_b32_e32 v52, 24, v42
	v_lshlrev_b32_e32 v46, 20, v46
	v_and_b32_e32 v52, 0x80000000, v52
	v_lshl_add_u32 v44, v44, 23, v48
	v_or3_b32 v44, v52, v44, v46
	v_lshrrev_b32_e32 v52, 16, v44
.LBB956_337:                            ;   in Loop: Header=BB956_213 Depth=1
	s_or_b64 exec, exec, s[16:17]
.LBB956_338:                            ;   in Loop: Header=BB956_213 Depth=1
	s_or_b64 exec, exec, s[14:15]
.LBB956_339:                            ;   in Loop: Header=BB956_213 Depth=1
	s_or_b64 exec, exec, s[12:13]
	v_lshrrev_b16_e32 v44, 8, v42
	v_cmp_ne_u16_e32 vcc, 0, v44
	v_mov_b32_e32 v62, 0
	v_mov_b32_e32 v61, 0
	s_and_saveexec_b64 s[12:13], vcc
	s_cbranch_execz .LBB956_345
; %bb.340:                              ;   in Loop: Header=BB956_213 Depth=1
	v_cmp_ne_u16_e32 vcc, s9, v44
	v_mov_b32_e32 v61, 0xffff8000
	s_and_saveexec_b64 s[14:15], vcc
	s_cbranch_execz .LBB956_344
; %bb.341:                              ;   in Loop: Header=BB956_213 Depth=1
	v_and_b32_e32 v46, 0x7f, v44
	v_cmp_ne_u32_e32 vcc, s21, v46
	v_mov_b32_e32 v61, 0x7f80
	s_and_saveexec_b64 s[16:17], vcc
	s_cbranch_execz .LBB956_343
; %bb.342:                              ;   in Loop: Header=BB956_213 Depth=1
	v_and_b32_e32 v61, 7, v44
	v_ffbh_u32_e32 v64, v61
	v_min_u32_e32 v66, 32, v64
	v_subrev_u32_e32 v64, 28, v66
	v_lshlrev_b64 v[64:65], v64, v[44:45]
	v_lshrrev_b32_e32 v63, 3, v46
	v_sub_u32_e32 v44, 29, v66
	v_and_b32_e32 v64, 7, v64
	v_cmp_gt_u32_e32 vcc, 8, v46
	v_cndmask_b32_e32 v44, v63, v44, vcc
	v_cndmask_b32_e32 v46, v61, v64, vcc
	v_lshlrev_b32_e32 v61, 16, v42
	v_lshlrev_b32_e32 v46, 20, v46
	v_and_b32_e32 v61, 0x80000000, v61
	v_lshl_add_u32 v44, v44, 23, v48
	v_or3_b32 v44, v61, v44, v46
	v_lshrrev_b32_e32 v61, 16, v44
.LBB956_343:                            ;   in Loop: Header=BB956_213 Depth=1
	s_or_b64 exec, exec, s[16:17]
.LBB956_344:                            ;   in Loop: Header=BB956_213 Depth=1
	s_or_b64 exec, exec, s[14:15]
.LBB956_345:                            ;   in Loop: Header=BB956_213 Depth=1
	s_or_b64 exec, exec, s[12:13]
	v_lshrrev_b32_e32 v44, 16, v42
	v_cmp_ne_u16_sdwa s[14:15], v44, v47 src0_sel:BYTE_0 src1_sel:DWORD
	s_and_saveexec_b64 s[12:13], s[14:15]
	s_cbranch_execz .LBB956_351
; %bb.346:                              ;   in Loop: Header=BB956_213 Depth=1
	v_cmp_ne_u16_sdwa s[16:17], v44, s9 src0_sel:BYTE_0 src1_sel:DWORD
	v_mov_b32_e32 v62, 0xffff8000
	s_and_saveexec_b64 s[14:15], s[16:17]
	s_cbranch_execz .LBB956_350
; %bb.347:                              ;   in Loop: Header=BB956_213 Depth=1
	v_bfe_u32 v46, v42, 16, 7
	v_cmp_ne_u32_e32 vcc, s21, v46
	v_mov_b32_e32 v62, 0x7f80
	s_and_saveexec_b64 s[16:17], vcc
	s_cbranch_execz .LBB956_349
; %bb.348:                              ;   in Loop: Header=BB956_213 Depth=1
	v_and_b32_e32 v64, 7, v44
	v_ffbh_u32_e32 v62, v64
	v_min_u32_e32 v66, 32, v62
	v_subrev_u32_e32 v62, 28, v66
	v_lshlrev_b64 v[62:63], v62, v[44:45]
	v_lshrrev_b32_e32 v65, 3, v46
	v_sub_u32_e32 v63, 29, v66
	v_and_b32_e32 v62, 7, v62
	v_cmp_gt_u32_e32 vcc, 8, v46
	v_cndmask_b32_e32 v46, v65, v63, vcc
	v_cndmask_b32_e32 v62, v64, v62, vcc
	v_lshlrev_b32_e32 v44, 24, v44
	v_lshlrev_b32_e32 v62, 20, v62
	v_and_b32_e32 v44, 0x80000000, v44
	v_lshl_add_u32 v46, v46, 23, v48
	v_or3_b32 v44, v44, v46, v62
	v_lshrrev_b32_e32 v62, 16, v44
.LBB956_349:                            ;   in Loop: Header=BB956_213 Depth=1
	s_or_b64 exec, exec, s[16:17]
.LBB956_350:                            ;   in Loop: Header=BB956_213 Depth=1
	s_or_b64 exec, exec, s[14:15]
.LBB956_351:                            ;   in Loop: Header=BB956_213 Depth=1
	s_or_b64 exec, exec, s[12:13]
	v_cmp_lt_u32_e32 vcc, s22, v42
	v_mov_b32_e32 v46, 0
	v_mov_b32_e32 v63, 0
	s_and_saveexec_b64 s[12:13], vcc
	s_cbranch_execz .LBB956_357
; %bb.352:                              ;   in Loop: Header=BB956_213 Depth=1
	v_lshrrev_b32_e32 v44, 24, v42
	v_cmp_ne_u32_e32 vcc, s9, v44
	v_mov_b32_e32 v63, 0xffff8000
	s_and_saveexec_b64 s[14:15], vcc
	s_cbranch_execz .LBB956_356
; %bb.353:                              ;   in Loop: Header=BB956_213 Depth=1
	v_bfe_u32 v42, v42, 24, 7
	v_cmp_ne_u32_e32 vcc, s21, v42
	v_mov_b32_e32 v63, 0x7f80
	s_and_saveexec_b64 s[16:17], vcc
	s_cbranch_execz .LBB956_355
; %bb.354:                              ;   in Loop: Header=BB956_213 Depth=1
	v_and_b32_e32 v63, 7, v44
	v_ffbh_u32_e32 v64, v63
	v_min_u32_e32 v67, 32, v64
	v_subrev_u32_e32 v64, 28, v67
	v_lshlrev_b64 v[64:65], v64, v[44:45]
	v_lshrrev_b32_e32 v66, 3, v42
	v_sub_u32_e32 v65, 29, v67
	v_and_b32_e32 v64, 7, v64
	v_cmp_gt_u32_e32 vcc, 8, v42
	v_cndmask_b32_e32 v42, v66, v65, vcc
	v_cndmask_b32_e32 v63, v63, v64, vcc
	v_lshlrev_b32_e32 v44, 24, v44
	v_lshlrev_b32_e32 v63, 20, v63
	v_and_b32_e32 v44, 0x80000000, v44
	v_lshl_add_u32 v42, v42, 23, v48
	v_or3_b32 v42, v44, v42, v63
	v_lshrrev_b32_e32 v63, 16, v42
.LBB956_355:                            ;   in Loop: Header=BB956_213 Depth=1
	s_or_b64 exec, exec, s[16:17]
.LBB956_356:                            ;   in Loop: Header=BB956_213 Depth=1
	s_or_b64 exec, exec, s[14:15]
.LBB956_357:                            ;   in Loop: Header=BB956_213 Depth=1
	s_or_b64 exec, exec, s[12:13]
	v_perm_b32 v51, v53, v51, s23
	v_perm_b32 v50, v50, v49, s23
	s_waitcnt vmcnt(1)
	v_cmp_ne_u16_sdwa s[14:15], v40, v47 src0_sel:BYTE_0 src1_sel:DWORD
	v_mfma_f32_16x16x16bf16_1k v[34:37], v[50:51], v[10:11], v[34:37]
	v_perm_b32 v51, v63, v62, s23
	v_perm_b32 v50, v61, v52, s23
	s_nop 1
	v_mfma_f32_16x16x16bf16_1k v[34:37], v[50:51], v[12:13], v[34:37]
	s_and_saveexec_b64 s[12:13], s[14:15]
	s_cbranch_execz .LBB956_363
; %bb.358:                              ;   in Loop: Header=BB956_213 Depth=1
	v_cmp_ne_u16_sdwa s[16:17], v40, s9 src0_sel:BYTE_0 src1_sel:DWORD
	v_mov_b32_e32 v46, 0xffff8000
	s_and_saveexec_b64 s[14:15], s[16:17]
	s_cbranch_execz .LBB956_362
; %bb.359:                              ;   in Loop: Header=BB956_213 Depth=1
	v_and_b32_e32 v42, 0x7f, v40
	v_cmp_ne_u32_e32 vcc, s21, v42
	v_mov_b32_e32 v46, 0x7f80
	s_and_saveexec_b64 s[16:17], vcc
	s_cbranch_execz .LBB956_361
; %bb.360:                              ;   in Loop: Header=BB956_213 Depth=1
	v_and_b32_e32 v44, 7, v40
	v_ffbh_u32_e32 v49, v44
	v_min_u32_e32 v49, 32, v49
	v_subrev_u32_e32 v50, 28, v49
	v_lshlrev_b64 v[50:51], v50, v[40:41]
	v_lshrrev_b32_e32 v46, 3, v42
	v_sub_u32_e32 v49, 29, v49
	v_and_b32_e32 v50, 7, v50
	v_cmp_gt_u32_e32 vcc, 8, v42
	v_cndmask_b32_e32 v42, v46, v49, vcc
	v_cndmask_b32_e32 v44, v44, v50, vcc
	v_lshlrev_b32_e32 v46, 24, v40
	v_lshlrev_b32_e32 v44, 20, v44
	v_and_b32_e32 v46, 0x80000000, v46
	v_lshl_add_u32 v42, v42, 23, v48
	v_or3_b32 v42, v46, v42, v44
	v_lshrrev_b32_e32 v46, 16, v42
.LBB956_361:                            ;   in Loop: Header=BB956_213 Depth=1
	s_or_b64 exec, exec, s[16:17]
.LBB956_362:                            ;   in Loop: Header=BB956_213 Depth=1
	s_or_b64 exec, exec, s[14:15]
.LBB956_363:                            ;   in Loop: Header=BB956_213 Depth=1
	s_or_b64 exec, exec, s[12:13]
	v_lshrrev_b16_e32 v42, 8, v40
	v_cmp_ne_u16_e32 vcc, 0, v42
	v_mov_b32_e32 v50, 0
	v_mov_b32_e32 v44, 0
	s_and_saveexec_b64 s[12:13], vcc
	s_cbranch_execz .LBB956_369
; %bb.364:                              ;   in Loop: Header=BB956_213 Depth=1
	v_cmp_ne_u16_e32 vcc, s9, v42
	v_mov_b32_e32 v44, 0xffff8000
	s_and_saveexec_b64 s[14:15], vcc
	s_cbranch_execz .LBB956_368
; %bb.365:                              ;   in Loop: Header=BB956_213 Depth=1
	v_and_b32_e32 v49, 0x7f, v42
	v_cmp_ne_u32_e32 vcc, s21, v49
	v_mov_b32_e32 v44, 0x7f80
	s_and_saveexec_b64 s[16:17], vcc
	s_cbranch_execz .LBB956_367
; %bb.366:                              ;   in Loop: Header=BB956_213 Depth=1
	v_and_b32_e32 v44, 7, v42
	v_ffbh_u32_e32 v52, v44
	v_min_u32_e32 v61, 32, v52
	v_subrev_u32_e32 v52, 28, v61
	v_lshlrev_b64 v[52:53], v52, v[42:43]
	v_lshrrev_b32_e32 v51, 3, v49
	v_sub_u32_e32 v42, 29, v61
	v_and_b32_e32 v52, 7, v52
	v_cmp_gt_u32_e32 vcc, 8, v49
	v_cndmask_b32_e32 v42, v51, v42, vcc
	v_cndmask_b32_e32 v44, v44, v52, vcc
	v_lshlrev_b32_e32 v49, 16, v40
	v_lshlrev_b32_e32 v44, 20, v44
	v_and_b32_e32 v49, 0x80000000, v49
	v_lshl_add_u32 v42, v42, 23, v48
	v_or3_b32 v42, v49, v42, v44
	v_lshrrev_b32_e32 v44, 16, v42
.LBB956_367:                            ;   in Loop: Header=BB956_213 Depth=1
	s_or_b64 exec, exec, s[16:17]
.LBB956_368:                            ;   in Loop: Header=BB956_213 Depth=1
	s_or_b64 exec, exec, s[14:15]
.LBB956_369:                            ;   in Loop: Header=BB956_213 Depth=1
	s_or_b64 exec, exec, s[12:13]
	v_lshrrev_b32_e32 v42, 16, v40
	v_cmp_ne_u16_sdwa s[14:15], v42, v47 src0_sel:BYTE_0 src1_sel:DWORD
	s_and_saveexec_b64 s[12:13], s[14:15]
	s_cbranch_execz .LBB956_375
; %bb.370:                              ;   in Loop: Header=BB956_213 Depth=1
	v_cmp_ne_u16_sdwa s[16:17], v42, s9 src0_sel:BYTE_0 src1_sel:DWORD
	v_mov_b32_e32 v50, 0xffff8000
	s_and_saveexec_b64 s[14:15], s[16:17]
	s_cbranch_execz .LBB956_374
; %bb.371:                              ;   in Loop: Header=BB956_213 Depth=1
	v_bfe_u32 v49, v40, 16, 7
	v_cmp_ne_u32_e32 vcc, s21, v49
	v_mov_b32_e32 v50, 0x7f80
	s_and_saveexec_b64 s[16:17], vcc
	s_cbranch_execz .LBB956_373
; %bb.372:                              ;   in Loop: Header=BB956_213 Depth=1
	v_and_b32_e32 v52, 7, v42
	v_ffbh_u32_e32 v50, v52
	v_min_u32_e32 v61, 32, v50
	v_subrev_u32_e32 v50, 28, v61
	v_lshlrev_b64 v[50:51], v50, v[42:43]
	v_lshrrev_b32_e32 v53, 3, v49
	v_sub_u32_e32 v51, 29, v61
	v_and_b32_e32 v50, 7, v50
	v_cmp_gt_u32_e32 vcc, 8, v49
	v_cndmask_b32_e32 v49, v53, v51, vcc
	v_cndmask_b32_e32 v50, v52, v50, vcc
	v_lshlrev_b32_e32 v42, 24, v42
	v_lshlrev_b32_e32 v50, 20, v50
	v_and_b32_e32 v42, 0x80000000, v42
	v_lshl_add_u32 v49, v49, 23, v48
	v_or3_b32 v42, v42, v49, v50
	v_lshrrev_b32_e32 v50, 16, v42
.LBB956_373:                            ;   in Loop: Header=BB956_213 Depth=1
	s_or_b64 exec, exec, s[16:17]
.LBB956_374:                            ;   in Loop: Header=BB956_213 Depth=1
	s_or_b64 exec, exec, s[14:15]
.LBB956_375:                            ;   in Loop: Header=BB956_213 Depth=1
	s_or_b64 exec, exec, s[12:13]
	v_cmp_lt_u32_e32 vcc, s22, v40
	v_mov_b32_e32 v51, 0
	v_mov_b32_e32 v52, 0
	s_and_saveexec_b64 s[12:13], vcc
	s_cbranch_execz .LBB956_381
; %bb.376:                              ;   in Loop: Header=BB956_213 Depth=1
	v_lshrrev_b32_e32 v42, 24, v40
	v_cmp_ne_u32_e32 vcc, s9, v42
	v_mov_b32_e32 v52, 0xffff8000
	s_and_saveexec_b64 s[14:15], vcc
	s_cbranch_execz .LBB956_380
; %bb.377:                              ;   in Loop: Header=BB956_213 Depth=1
	v_bfe_u32 v40, v40, 24, 7
	v_cmp_ne_u32_e32 vcc, s21, v40
	v_mov_b32_e32 v52, 0x7f80
	s_and_saveexec_b64 s[16:17], vcc
	s_cbranch_execz .LBB956_379
; %bb.378:                              ;   in Loop: Header=BB956_213 Depth=1
	v_and_b32_e32 v49, 7, v42
	v_ffbh_u32_e32 v52, v49
	v_min_u32_e32 v62, 32, v52
	v_subrev_u32_e32 v52, 28, v62
	v_lshlrev_b64 v[52:53], v52, v[42:43]
	v_lshrrev_b32_e32 v61, 3, v40
	v_sub_u32_e32 v53, 29, v62
	v_and_b32_e32 v52, 7, v52
	v_cmp_gt_u32_e32 vcc, 8, v40
	v_cndmask_b32_e32 v40, v61, v53, vcc
	v_cndmask_b32_e32 v49, v49, v52, vcc
	v_lshlrev_b32_e32 v42, 24, v42
	v_lshlrev_b32_e32 v49, 20, v49
	v_and_b32_e32 v42, 0x80000000, v42
	v_lshl_add_u32 v40, v40, 23, v48
	v_or3_b32 v40, v42, v40, v49
	v_lshrrev_b32_e32 v52, 16, v40
.LBB956_379:                            ;   in Loop: Header=BB956_213 Depth=1
	s_or_b64 exec, exec, s[16:17]
.LBB956_380:                            ;   in Loop: Header=BB956_213 Depth=1
	s_or_b64 exec, exec, s[14:15]
.LBB956_381:                            ;   in Loop: Header=BB956_213 Depth=1
	s_or_b64 exec, exec, s[12:13]
	s_waitcnt vmcnt(0)
	v_cmp_ne_u16_sdwa s[14:15], v38, v47 src0_sel:BYTE_0 src1_sel:DWORD
	s_and_saveexec_b64 s[12:13], s[14:15]
	s_cbranch_execz .LBB956_387
; %bb.382:                              ;   in Loop: Header=BB956_213 Depth=1
	v_cmp_ne_u16_sdwa s[16:17], v38, s9 src0_sel:BYTE_0 src1_sel:DWORD
	v_mov_b32_e32 v51, 0xffff8000
	s_and_saveexec_b64 s[14:15], s[16:17]
	s_cbranch_execz .LBB956_386
; %bb.383:                              ;   in Loop: Header=BB956_213 Depth=1
	v_and_b32_e32 v40, 0x7f, v38
	v_cmp_ne_u32_e32 vcc, s21, v40
	v_mov_b32_e32 v51, 0x7f80
	s_and_saveexec_b64 s[16:17], vcc
	s_cbranch_execz .LBB956_385
; %bb.384:                              ;   in Loop: Header=BB956_213 Depth=1
	v_and_b32_e32 v42, 7, v38
	v_ffbh_u32_e32 v51, v42
	v_min_u32_e32 v51, 32, v51
	v_subrev_u32_e32 v53, 28, v51
	v_lshlrev_b64 v[62:63], v53, v[38:39]
	v_lshrrev_b32_e32 v49, 3, v40
	v_sub_u32_e32 v51, 29, v51
	v_and_b32_e32 v53, 7, v62
	v_cmp_gt_u32_e32 vcc, 8, v40
	v_cndmask_b32_e32 v40, v49, v51, vcc
	v_cndmask_b32_e32 v42, v42, v53, vcc
	v_lshlrev_b32_e32 v49, 24, v38
	v_lshlrev_b32_e32 v42, 20, v42
	v_and_b32_e32 v49, 0x80000000, v49
	v_lshl_add_u32 v40, v40, 23, v48
	v_or3_b32 v40, v49, v40, v42
	v_lshrrev_b32_e32 v51, 16, v40
.LBB956_385:                            ;   in Loop: Header=BB956_213 Depth=1
	s_or_b64 exec, exec, s[16:17]
.LBB956_386:                            ;   in Loop: Header=BB956_213 Depth=1
	s_or_b64 exec, exec, s[14:15]
.LBB956_387:                            ;   in Loop: Header=BB956_213 Depth=1
	s_or_b64 exec, exec, s[12:13]
	v_lshrrev_b16_e32 v40, 8, v38
	v_cmp_ne_u16_e32 vcc, 0, v40
	v_mov_b32_e32 v61, 0
	v_mov_b32_e32 v53, 0
	s_and_saveexec_b64 s[12:13], vcc
	s_cbranch_execz .LBB956_393
; %bb.388:                              ;   in Loop: Header=BB956_213 Depth=1
	v_cmp_ne_u16_e32 vcc, s9, v40
	v_mov_b32_e32 v53, 0xffff8000
	s_and_saveexec_b64 s[14:15], vcc
	s_cbranch_execz .LBB956_392
; %bb.389:                              ;   in Loop: Header=BB956_213 Depth=1
	v_and_b32_e32 v42, 0x7f, v40
	v_cmp_ne_u32_e32 vcc, s21, v42
	v_mov_b32_e32 v53, 0x7f80
	s_and_saveexec_b64 s[16:17], vcc
	s_cbranch_execz .LBB956_391
; %bb.390:                              ;   in Loop: Header=BB956_213 Depth=1
	v_and_b32_e32 v49, 7, v40
	v_ffbh_u32_e32 v62, v49
	v_min_u32_e32 v64, 32, v62
	v_subrev_u32_e32 v62, 28, v64
	v_lshlrev_b64 v[62:63], v62, v[40:41]
	v_lshrrev_b32_e32 v53, 3, v42
	v_sub_u32_e32 v40, 29, v64
	v_and_b32_e32 v62, 7, v62
	v_cmp_gt_u32_e32 vcc, 8, v42
	v_cndmask_b32_e32 v40, v53, v40, vcc
	v_cndmask_b32_e32 v42, v49, v62, vcc
	v_lshlrev_b32_e32 v49, 16, v38
	v_lshlrev_b32_e32 v42, 20, v42
	v_and_b32_e32 v49, 0x80000000, v49
	v_lshl_add_u32 v40, v40, 23, v48
	v_or3_b32 v40, v49, v40, v42
	v_lshrrev_b32_e32 v53, 16, v40
.LBB956_391:                            ;   in Loop: Header=BB956_213 Depth=1
	s_or_b64 exec, exec, s[16:17]
.LBB956_392:                            ;   in Loop: Header=BB956_213 Depth=1
	s_or_b64 exec, exec, s[14:15]
.LBB956_393:                            ;   in Loop: Header=BB956_213 Depth=1
	s_or_b64 exec, exec, s[12:13]
	v_lshrrev_b32_e32 v40, 16, v38
	v_cmp_ne_u16_sdwa s[14:15], v40, v47 src0_sel:BYTE_0 src1_sel:DWORD
	s_and_saveexec_b64 s[12:13], s[14:15]
	s_cbranch_execz .LBB956_399
; %bb.394:                              ;   in Loop: Header=BB956_213 Depth=1
	v_cmp_ne_u16_sdwa s[16:17], v40, s9 src0_sel:BYTE_0 src1_sel:DWORD
	v_mov_b32_e32 v61, 0xffff8000
	s_and_saveexec_b64 s[14:15], s[16:17]
	s_cbranch_execz .LBB956_398
; %bb.395:                              ;   in Loop: Header=BB956_213 Depth=1
	v_bfe_u32 v42, v38, 16, 7
	v_cmp_ne_u32_e32 vcc, s21, v42
	v_mov_b32_e32 v61, 0x7f80
	s_and_saveexec_b64 s[16:17], vcc
	s_cbranch_execz .LBB956_397
; %bb.396:                              ;   in Loop: Header=BB956_213 Depth=1
	v_and_b32_e32 v49, 7, v40
	v_ffbh_u32_e32 v62, v49
	v_min_u32_e32 v64, 32, v62
	v_subrev_u32_e32 v62, 28, v64
	v_lshlrev_b64 v[62:63], v62, v[40:41]
	v_lshrrev_b32_e32 v61, 3, v42
	v_sub_u32_e32 v63, 29, v64
	v_and_b32_e32 v62, 7, v62
	v_cmp_gt_u32_e32 vcc, 8, v42
	v_cndmask_b32_e32 v42, v61, v63, vcc
	v_cndmask_b32_e32 v49, v49, v62, vcc
	v_lshlrev_b32_e32 v40, 24, v40
	v_lshlrev_b32_e32 v49, 20, v49
	v_and_b32_e32 v40, 0x80000000, v40
	v_lshl_add_u32 v42, v42, 23, v48
	v_or3_b32 v40, v40, v42, v49
	v_lshrrev_b32_e32 v61, 16, v40
.LBB956_397:                            ;   in Loop: Header=BB956_213 Depth=1
	s_or_b64 exec, exec, s[16:17]
.LBB956_398:                            ;   in Loop: Header=BB956_213 Depth=1
	s_or_b64 exec, exec, s[14:15]
.LBB956_399:                            ;   in Loop: Header=BB956_213 Depth=1
	s_or_b64 exec, exec, s[12:13]
	v_cmp_lt_u32_e32 vcc, s22, v38
	v_mov_b32_e32 v49, 0
	v_mov_b32_e32 v62, 0
	s_and_saveexec_b64 s[12:13], vcc
	s_cbranch_execz .LBB956_405
; %bb.400:                              ;   in Loop: Header=BB956_213 Depth=1
	v_lshrrev_b32_e32 v40, 24, v38
	v_cmp_ne_u32_e32 vcc, s9, v40
	v_mov_b32_e32 v62, 0xffff8000
	s_and_saveexec_b64 s[14:15], vcc
	s_cbranch_execz .LBB956_404
; %bb.401:                              ;   in Loop: Header=BB956_213 Depth=1
	v_bfe_u32 v38, v38, 24, 7
	v_cmp_ne_u32_e32 vcc, s21, v38
	v_mov_b32_e32 v62, 0x7f80
	s_and_saveexec_b64 s[16:17], vcc
	s_cbranch_execz .LBB956_403
; %bb.402:                              ;   in Loop: Header=BB956_213 Depth=1
	v_and_b32_e32 v42, 7, v40
	v_ffbh_u32_e32 v62, v42
	v_min_u32_e32 v65, 32, v62
	v_subrev_u32_e32 v62, 28, v65
	v_lshlrev_b64 v[62:63], v62, v[40:41]
	v_lshrrev_b32_e32 v64, 3, v38
	v_sub_u32_e32 v63, 29, v65
	v_and_b32_e32 v62, 7, v62
	v_cmp_gt_u32_e32 vcc, 8, v38
	v_cndmask_b32_e32 v38, v64, v63, vcc
	v_cndmask_b32_e32 v42, v42, v62, vcc
	v_lshlrev_b32_e32 v40, 24, v40
	v_lshlrev_b32_e32 v42, 20, v42
	v_and_b32_e32 v40, 0x80000000, v40
	v_lshl_add_u32 v38, v38, 23, v48
	v_or3_b32 v38, v40, v38, v42
	v_lshrrev_b32_e32 v62, 16, v38
.LBB956_403:                            ;   in Loop: Header=BB956_213 Depth=1
	s_or_b64 exec, exec, s[16:17]
.LBB956_404:                            ;   in Loop: Header=BB956_213 Depth=1
	s_or_b64 exec, exec, s[14:15]
.LBB956_405:                            ;   in Loop: Header=BB956_213 Depth=1
	s_or_b64 exec, exec, s[12:13]
	v_perm_b32 v64, v44, v46, s23
	buffer_load_dword v44, v60, s[0:3], 0 offen
	buffer_load_dword v42, v60, s[0:3], 0 offen offset:4
	buffer_load_dword v40, v60, s[0:3], 0 offen offset:8
	;; [unrolled: 1-line block ×3, first 2 shown]
	v_perm_b32 v65, v52, v50, s23
	v_perm_b32 v61, v62, v61, s23
	;; [unrolled: 1-line block ×3, first 2 shown]
	v_mfma_f32_16x16x16bf16_1k v[34:37], v[64:65], v[14:15], v[34:37]
	s_waitcnt vmcnt(3)
	v_cmp_ne_u16_sdwa s[14:15], v44, v47 src0_sel:BYTE_0 src1_sel:DWORD
	v_mfma_f32_16x16x16bf16_1k v[34:37], v[60:61], v[16:17], v[34:37]
	s_and_saveexec_b64 s[12:13], s[14:15]
	s_cbranch_execz .LBB956_411
; %bb.406:                              ;   in Loop: Header=BB956_213 Depth=1
	v_cmp_ne_u16_sdwa s[16:17], v44, s9 src0_sel:BYTE_0 src1_sel:DWORD
	v_mov_b32_e32 v49, 0xffff8000
	s_and_saveexec_b64 s[14:15], s[16:17]
	s_cbranch_execz .LBB956_410
; %bb.407:                              ;   in Loop: Header=BB956_213 Depth=1
	v_and_b32_e32 v46, 0x7f, v44
	v_cmp_ne_u32_e32 vcc, s21, v46
	v_mov_b32_e32 v49, 0x7f80
	s_and_saveexec_b64 s[16:17], vcc
	s_cbranch_execz .LBB956_409
; %bb.408:                              ;   in Loop: Header=BB956_213 Depth=1
	v_and_b32_e32 v49, 7, v44
	v_ffbh_u32_e32 v50, v49
	v_min_u32_e32 v53, 32, v50
	v_subrev_u32_e32 v50, 28, v53
	v_lshlrev_b64 v[50:51], v50, v[44:45]
	v_lshrrev_b32_e32 v52, 3, v46
	v_sub_u32_e32 v51, 29, v53
	v_and_b32_e32 v50, 7, v50
	v_cmp_gt_u32_e32 vcc, 8, v46
	v_cndmask_b32_e32 v46, v52, v51, vcc
	v_cndmask_b32_e32 v49, v49, v50, vcc
	v_lshlrev_b32_e32 v50, 24, v44
	v_lshlrev_b32_e32 v49, 20, v49
	v_and_b32_e32 v50, 0x80000000, v50
	v_lshl_add_u32 v46, v46, 23, v48
	v_or3_b32 v46, v50, v46, v49
	v_lshrrev_b32_e32 v49, 16, v46
.LBB956_409:                            ;   in Loop: Header=BB956_213 Depth=1
	s_or_b64 exec, exec, s[16:17]
.LBB956_410:                            ;   in Loop: Header=BB956_213 Depth=1
	s_or_b64 exec, exec, s[14:15]
.LBB956_411:                            ;   in Loop: Header=BB956_213 Depth=1
	s_or_b64 exec, exec, s[12:13]
	v_lshrrev_b16_e32 v46, 8, v44
	v_cmp_ne_u16_e32 vcc, 0, v46
	v_mov_b32_e32 v51, 0
	v_mov_b32_e32 v50, 0
	s_and_saveexec_b64 s[12:13], vcc
	s_cbranch_execz .LBB956_417
; %bb.412:                              ;   in Loop: Header=BB956_213 Depth=1
	v_cmp_ne_u16_e32 vcc, s9, v46
	v_mov_b32_e32 v50, 0xffff8000
	s_and_saveexec_b64 s[14:15], vcc
	s_cbranch_execz .LBB956_416
; %bb.413:                              ;   in Loop: Header=BB956_213 Depth=1
	v_and_b32_e32 v52, 0x7f, v46
	v_cmp_ne_u32_e32 vcc, s21, v52
	v_mov_b32_e32 v50, 0x7f80
	s_and_saveexec_b64 s[16:17], vcc
	s_cbranch_execz .LBB956_415
; %bb.414:                              ;   in Loop: Header=BB956_213 Depth=1
	v_and_b32_e32 v50, 7, v46
	v_ffbh_u32_e32 v60, v50
	v_min_u32_e32 v62, 32, v60
	v_subrev_u32_e32 v60, 28, v62
	v_lshlrev_b64 v[60:61], v60, v[46:47]
	v_lshrrev_b32_e32 v53, 3, v52
	v_sub_u32_e32 v46, 29, v62
	v_and_b32_e32 v60, 7, v60
	v_cmp_gt_u32_e32 vcc, 8, v52
	v_cndmask_b32_e32 v46, v53, v46, vcc
	v_cndmask_b32_e32 v50, v50, v60, vcc
	v_lshlrev_b32_e32 v52, 16, v44
	v_lshlrev_b32_e32 v50, 20, v50
	v_and_b32_e32 v52, 0x80000000, v52
	v_lshl_add_u32 v46, v46, 23, v48
	v_or3_b32 v46, v52, v46, v50
	v_lshrrev_b32_e32 v50, 16, v46
.LBB956_415:                            ;   in Loop: Header=BB956_213 Depth=1
	s_or_b64 exec, exec, s[16:17]
.LBB956_416:                            ;   in Loop: Header=BB956_213 Depth=1
	s_or_b64 exec, exec, s[14:15]
.LBB956_417:                            ;   in Loop: Header=BB956_213 Depth=1
	s_or_b64 exec, exec, s[12:13]
	v_lshrrev_b32_e32 v46, 16, v44
	v_cmp_ne_u16_sdwa s[14:15], v46, v47 src0_sel:BYTE_0 src1_sel:DWORD
	s_and_saveexec_b64 s[12:13], s[14:15]
	s_cbranch_execz .LBB956_423
; %bb.418:                              ;   in Loop: Header=BB956_213 Depth=1
	v_cmp_ne_u16_sdwa s[16:17], v46, s9 src0_sel:BYTE_0 src1_sel:DWORD
	v_mov_b32_e32 v51, 0xffff8000
	s_and_saveexec_b64 s[14:15], s[16:17]
	s_cbranch_execz .LBB956_422
; %bb.419:                              ;   in Loop: Header=BB956_213 Depth=1
	v_bfe_u32 v52, v44, 16, 7
	v_cmp_ne_u32_e32 vcc, s21, v52
	v_mov_b32_e32 v51, 0x7f80
	s_and_saveexec_b64 s[16:17], vcc
	s_cbranch_execz .LBB956_421
; %bb.420:                              ;   in Loop: Header=BB956_213 Depth=1
	v_and_b32_e32 v51, 7, v46
	v_ffbh_u32_e32 v60, v51
	v_min_u32_e32 v62, 32, v60
	v_subrev_u32_e32 v60, 28, v62
	v_lshlrev_b64 v[60:61], v60, v[46:47]
	v_lshrrev_b32_e32 v53, 3, v52
	v_sub_u32_e32 v61, 29, v62
	v_and_b32_e32 v60, 7, v60
	v_cmp_gt_u32_e32 vcc, 8, v52
	v_cndmask_b32_e32 v52, v53, v61, vcc
	v_cndmask_b32_e32 v51, v51, v60, vcc
	v_lshlrev_b32_e32 v46, 24, v46
	v_lshlrev_b32_e32 v51, 20, v51
	v_and_b32_e32 v46, 0x80000000, v46
	v_lshl_add_u32 v52, v52, 23, v48
	v_or3_b32 v46, v46, v52, v51
	v_lshrrev_b32_e32 v51, 16, v46
.LBB956_421:                            ;   in Loop: Header=BB956_213 Depth=1
	s_or_b64 exec, exec, s[16:17]
.LBB956_422:                            ;   in Loop: Header=BB956_213 Depth=1
	s_or_b64 exec, exec, s[14:15]
.LBB956_423:                            ;   in Loop: Header=BB956_213 Depth=1
	s_or_b64 exec, exec, s[12:13]
	v_cmp_lt_u32_e32 vcc, s22, v44
	v_mov_b32_e32 v52, 0
	v_mov_b32_e32 v53, 0
	s_and_saveexec_b64 s[12:13], vcc
	s_cbranch_execz .LBB956_429
; %bb.424:                              ;   in Loop: Header=BB956_213 Depth=1
	v_lshrrev_b32_e32 v46, 24, v44
	v_cmp_ne_u32_e32 vcc, s9, v46
	v_mov_b32_e32 v53, 0xffff8000
	s_and_saveexec_b64 s[14:15], vcc
	s_cbranch_execz .LBB956_428
; %bb.425:                              ;   in Loop: Header=BB956_213 Depth=1
	v_bfe_u32 v44, v44, 24, 7
	v_cmp_ne_u32_e32 vcc, s21, v44
	v_mov_b32_e32 v53, 0x7f80
	s_and_saveexec_b64 s[16:17], vcc
	s_cbranch_execz .LBB956_427
; %bb.426:                              ;   in Loop: Header=BB956_213 Depth=1
	v_and_b32_e32 v53, 7, v46
	v_ffbh_u32_e32 v60, v53
	v_min_u32_e32 v63, 32, v60
	v_subrev_u32_e32 v60, 28, v63
	v_lshlrev_b64 v[60:61], v60, v[46:47]
	v_lshrrev_b32_e32 v62, 3, v44
	v_sub_u32_e32 v61, 29, v63
	v_and_b32_e32 v60, 7, v60
	v_cmp_gt_u32_e32 vcc, 8, v44
	v_cndmask_b32_e32 v44, v62, v61, vcc
	v_cndmask_b32_e32 v53, v53, v60, vcc
	v_lshlrev_b32_e32 v46, 24, v46
	v_lshlrev_b32_e32 v53, 20, v53
	v_and_b32_e32 v46, 0x80000000, v46
	v_lshl_add_u32 v44, v44, 23, v48
	v_or3_b32 v44, v46, v44, v53
	v_lshrrev_b32_e32 v53, 16, v44
.LBB956_427:                            ;   in Loop: Header=BB956_213 Depth=1
	s_or_b64 exec, exec, s[16:17]
.LBB956_428:                            ;   in Loop: Header=BB956_213 Depth=1
	s_or_b64 exec, exec, s[14:15]
.LBB956_429:                            ;   in Loop: Header=BB956_213 Depth=1
	s_or_b64 exec, exec, s[12:13]
	s_waitcnt vmcnt(2)
	v_cmp_ne_u16_sdwa s[14:15], v42, v47 src0_sel:BYTE_0 src1_sel:DWORD
	s_and_saveexec_b64 s[12:13], s[14:15]
	s_cbranch_execz .LBB956_435
; %bb.430:                              ;   in Loop: Header=BB956_213 Depth=1
	v_cmp_ne_u16_sdwa s[16:17], v42, s9 src0_sel:BYTE_0 src1_sel:DWORD
	v_mov_b32_e32 v52, 0xffff8000
	s_and_saveexec_b64 s[14:15], s[16:17]
	s_cbranch_execz .LBB956_434
; %bb.431:                              ;   in Loop: Header=BB956_213 Depth=1
	v_and_b32_e32 v44, 0x7f, v42
	v_cmp_ne_u32_e32 vcc, s21, v44
	v_mov_b32_e32 v52, 0x7f80
	s_and_saveexec_b64 s[16:17], vcc
	s_cbranch_execz .LBB956_433
; %bb.432:                              ;   in Loop: Header=BB956_213 Depth=1
	v_and_b32_e32 v46, 7, v42
	v_ffbh_u32_e32 v60, v46
	v_min_u32_e32 v62, 32, v60
	v_subrev_u32_e32 v60, 28, v62
	v_lshlrev_b64 v[60:61], v60, v[42:43]
	v_lshrrev_b32_e32 v52, 3, v44
	v_sub_u32_e32 v61, 29, v62
	v_and_b32_e32 v60, 7, v60
	v_cmp_gt_u32_e32 vcc, 8, v44
	v_cndmask_b32_e32 v44, v52, v61, vcc
	v_cndmask_b32_e32 v46, v46, v60, vcc
	v_lshlrev_b32_e32 v52, 24, v42
	v_lshlrev_b32_e32 v46, 20, v46
	v_and_b32_e32 v52, 0x80000000, v52
	v_lshl_add_u32 v44, v44, 23, v48
	v_or3_b32 v44, v52, v44, v46
	v_lshrrev_b32_e32 v52, 16, v44
.LBB956_433:                            ;   in Loop: Header=BB956_213 Depth=1
	s_or_b64 exec, exec, s[16:17]
.LBB956_434:                            ;   in Loop: Header=BB956_213 Depth=1
	s_or_b64 exec, exec, s[14:15]
.LBB956_435:                            ;   in Loop: Header=BB956_213 Depth=1
	s_or_b64 exec, exec, s[12:13]
	v_lshrrev_b16_e32 v44, 8, v42
	v_cmp_ne_u16_e32 vcc, 0, v44
	v_mov_b32_e32 v61, 0
	v_mov_b32_e32 v60, 0
	s_and_saveexec_b64 s[12:13], vcc
	s_cbranch_execz .LBB956_441
; %bb.436:                              ;   in Loop: Header=BB956_213 Depth=1
	v_cmp_ne_u16_e32 vcc, s9, v44
	v_mov_b32_e32 v60, 0xffff8000
	s_and_saveexec_b64 s[14:15], vcc
	s_cbranch_execz .LBB956_440
; %bb.437:                              ;   in Loop: Header=BB956_213 Depth=1
	v_and_b32_e32 v46, 0x7f, v44
	v_cmp_ne_u32_e32 vcc, s21, v46
	v_mov_b32_e32 v60, 0x7f80
	s_and_saveexec_b64 s[16:17], vcc
	s_cbranch_execz .LBB956_439
; %bb.438:                              ;   in Loop: Header=BB956_213 Depth=1
	v_and_b32_e32 v60, 7, v44
	v_ffbh_u32_e32 v62, v60
	v_min_u32_e32 v65, 32, v62
	v_subrev_u32_e32 v62, 28, v65
	v_lshlrev_b64 v[62:63], v62, v[44:45]
	v_lshrrev_b32_e32 v64, 3, v46
	v_sub_u32_e32 v44, 29, v65
	v_and_b32_e32 v62, 7, v62
	v_cmp_gt_u32_e32 vcc, 8, v46
	v_cndmask_b32_e32 v44, v64, v44, vcc
	v_cndmask_b32_e32 v46, v60, v62, vcc
	v_lshlrev_b32_e32 v60, 16, v42
	v_lshlrev_b32_e32 v46, 20, v46
	v_and_b32_e32 v60, 0x80000000, v60
	v_lshl_add_u32 v44, v44, 23, v48
	v_or3_b32 v44, v60, v44, v46
	v_lshrrev_b32_e32 v60, 16, v44
.LBB956_439:                            ;   in Loop: Header=BB956_213 Depth=1
	s_or_b64 exec, exec, s[16:17]
.LBB956_440:                            ;   in Loop: Header=BB956_213 Depth=1
	s_or_b64 exec, exec, s[14:15]
.LBB956_441:                            ;   in Loop: Header=BB956_213 Depth=1
	s_or_b64 exec, exec, s[12:13]
	v_lshrrev_b32_e32 v44, 16, v42
	v_cmp_ne_u16_sdwa s[14:15], v44, v47 src0_sel:BYTE_0 src1_sel:DWORD
	s_and_saveexec_b64 s[12:13], s[14:15]
	s_cbranch_execz .LBB956_447
; %bb.442:                              ;   in Loop: Header=BB956_213 Depth=1
	v_cmp_ne_u16_sdwa s[16:17], v44, s9 src0_sel:BYTE_0 src1_sel:DWORD
	v_mov_b32_e32 v61, 0xffff8000
	s_and_saveexec_b64 s[14:15], s[16:17]
	s_cbranch_execz .LBB956_446
; %bb.443:                              ;   in Loop: Header=BB956_213 Depth=1
	v_bfe_u32 v46, v42, 16, 7
	v_cmp_ne_u32_e32 vcc, s21, v46
	v_mov_b32_e32 v61, 0x7f80
	s_and_saveexec_b64 s[16:17], vcc
	s_cbranch_execz .LBB956_445
; %bb.444:                              ;   in Loop: Header=BB956_213 Depth=1
	v_and_b32_e32 v61, 7, v44
	v_ffbh_u32_e32 v62, v61
	v_min_u32_e32 v65, 32, v62
	v_subrev_u32_e32 v62, 28, v65
	v_lshlrev_b64 v[62:63], v62, v[44:45]
	v_lshrrev_b32_e32 v64, 3, v46
	v_sub_u32_e32 v63, 29, v65
	v_and_b32_e32 v62, 7, v62
	v_cmp_gt_u32_e32 vcc, 8, v46
	v_cndmask_b32_e32 v46, v64, v63, vcc
	v_cndmask_b32_e32 v61, v61, v62, vcc
	v_lshlrev_b32_e32 v44, 24, v44
	v_lshlrev_b32_e32 v61, 20, v61
	v_and_b32_e32 v44, 0x80000000, v44
	v_lshl_add_u32 v46, v46, 23, v48
	v_or3_b32 v44, v44, v46, v61
	v_lshrrev_b32_e32 v61, 16, v44
.LBB956_445:                            ;   in Loop: Header=BB956_213 Depth=1
	s_or_b64 exec, exec, s[16:17]
.LBB956_446:                            ;   in Loop: Header=BB956_213 Depth=1
	s_or_b64 exec, exec, s[14:15]
.LBB956_447:                            ;   in Loop: Header=BB956_213 Depth=1
	s_or_b64 exec, exec, s[12:13]
	v_cmp_lt_u32_e32 vcc, s22, v42
	v_mov_b32_e32 v46, 0
	v_mov_b32_e32 v62, 0
	s_and_saveexec_b64 s[12:13], vcc
	s_cbranch_execz .LBB956_453
; %bb.448:                              ;   in Loop: Header=BB956_213 Depth=1
	v_lshrrev_b32_e32 v44, 24, v42
	v_cmp_ne_u32_e32 vcc, s9, v44
	v_mov_b32_e32 v62, 0xffff8000
	s_and_saveexec_b64 s[14:15], vcc
	s_cbranch_execz .LBB956_452
; %bb.449:                              ;   in Loop: Header=BB956_213 Depth=1
	v_bfe_u32 v42, v42, 24, 7
	v_cmp_ne_u32_e32 vcc, s21, v42
	v_mov_b32_e32 v62, 0x7f80
	s_and_saveexec_b64 s[16:17], vcc
	s_cbranch_execz .LBB956_451
; %bb.450:                              ;   in Loop: Header=BB956_213 Depth=1
	v_and_b32_e32 v64, 7, v44
	v_ffbh_u32_e32 v62, v64
	v_min_u32_e32 v66, 32, v62
	v_subrev_u32_e32 v62, 28, v66
	v_lshlrev_b64 v[62:63], v62, v[44:45]
	v_lshrrev_b32_e32 v65, 3, v42
	v_sub_u32_e32 v63, 29, v66
	v_and_b32_e32 v62, 7, v62
	v_cmp_gt_u32_e32 vcc, 8, v42
	v_cndmask_b32_e32 v42, v65, v63, vcc
	v_cndmask_b32_e32 v62, v64, v62, vcc
	v_lshlrev_b32_e32 v44, 24, v44
	v_lshlrev_b32_e32 v62, 20, v62
	v_and_b32_e32 v44, 0x80000000, v44
	v_lshl_add_u32 v42, v42, 23, v48
	v_or3_b32 v42, v44, v42, v62
	v_lshrrev_b32_e32 v62, 16, v42
.LBB956_451:                            ;   in Loop: Header=BB956_213 Depth=1
	s_or_b64 exec, exec, s[16:17]
.LBB956_452:                            ;   in Loop: Header=BB956_213 Depth=1
	s_or_b64 exec, exec, s[14:15]
.LBB956_453:                            ;   in Loop: Header=BB956_213 Depth=1
	s_or_b64 exec, exec, s[12:13]
	v_perm_b32 v51, v53, v51, s23
	v_perm_b32 v50, v50, v49, s23
	s_waitcnt vmcnt(1)
	v_cmp_ne_u16_sdwa s[14:15], v40, v47 src0_sel:BYTE_0 src1_sel:DWORD
	v_mfma_f32_16x16x16bf16_1k v[34:37], v[50:51], v[18:19], v[34:37]
	v_perm_b32 v51, v62, v61, s23
	v_perm_b32 v50, v60, v52, s23
	s_nop 1
	v_mfma_f32_16x16x16bf16_1k v[34:37], v[50:51], v[20:21], v[34:37]
	s_and_saveexec_b64 s[12:13], s[14:15]
	s_cbranch_execz .LBB956_459
; %bb.454:                              ;   in Loop: Header=BB956_213 Depth=1
	v_cmp_ne_u16_sdwa s[16:17], v40, s9 src0_sel:BYTE_0 src1_sel:DWORD
	v_mov_b32_e32 v46, 0xffff8000
	s_and_saveexec_b64 s[14:15], s[16:17]
	s_cbranch_execz .LBB956_458
; %bb.455:                              ;   in Loop: Header=BB956_213 Depth=1
	v_and_b32_e32 v42, 0x7f, v40
	v_cmp_ne_u32_e32 vcc, s21, v42
	v_mov_b32_e32 v46, 0x7f80
	s_and_saveexec_b64 s[16:17], vcc
	s_cbranch_execz .LBB956_457
; %bb.456:                              ;   in Loop: Header=BB956_213 Depth=1
	v_and_b32_e32 v44, 7, v40
	v_ffbh_u32_e32 v49, v44
	v_min_u32_e32 v49, 32, v49
	v_subrev_u32_e32 v50, 28, v49
	v_lshlrev_b64 v[50:51], v50, v[40:41]
	v_lshrrev_b32_e32 v46, 3, v42
	v_sub_u32_e32 v49, 29, v49
	v_and_b32_e32 v50, 7, v50
	v_cmp_gt_u32_e32 vcc, 8, v42
	v_cndmask_b32_e32 v42, v46, v49, vcc
	v_cndmask_b32_e32 v44, v44, v50, vcc
	v_lshlrev_b32_e32 v46, 24, v40
	v_lshlrev_b32_e32 v44, 20, v44
	v_and_b32_e32 v46, 0x80000000, v46
	v_lshl_add_u32 v42, v42, 23, v48
	v_or3_b32 v42, v46, v42, v44
	v_lshrrev_b32_e32 v46, 16, v42
.LBB956_457:                            ;   in Loop: Header=BB956_213 Depth=1
	s_or_b64 exec, exec, s[16:17]
.LBB956_458:                            ;   in Loop: Header=BB956_213 Depth=1
	s_or_b64 exec, exec, s[14:15]
.LBB956_459:                            ;   in Loop: Header=BB956_213 Depth=1
	s_or_b64 exec, exec, s[12:13]
	v_lshrrev_b16_e32 v42, 8, v40
	v_cmp_ne_u16_e32 vcc, 0, v42
	v_mov_b32_e32 v50, 0
	v_mov_b32_e32 v44, 0
	s_and_saveexec_b64 s[12:13], vcc
	s_cbranch_execz .LBB956_465
; %bb.460:                              ;   in Loop: Header=BB956_213 Depth=1
	v_cmp_ne_u16_e32 vcc, s9, v42
	v_mov_b32_e32 v44, 0xffff8000
	s_and_saveexec_b64 s[14:15], vcc
	s_cbranch_execz .LBB956_464
; %bb.461:                              ;   in Loop: Header=BB956_213 Depth=1
	v_and_b32_e32 v49, 0x7f, v42
	v_cmp_ne_u32_e32 vcc, s21, v49
	v_mov_b32_e32 v44, 0x7f80
	s_and_saveexec_b64 s[16:17], vcc
	s_cbranch_execz .LBB956_463
; %bb.462:                              ;   in Loop: Header=BB956_213 Depth=1
	v_and_b32_e32 v44, 7, v42
	v_ffbh_u32_e32 v52, v44
	v_min_u32_e32 v60, 32, v52
	v_subrev_u32_e32 v52, 28, v60
	v_lshlrev_b64 v[52:53], v52, v[42:43]
	v_lshrrev_b32_e32 v51, 3, v49
	v_sub_u32_e32 v42, 29, v60
	v_and_b32_e32 v52, 7, v52
	v_cmp_gt_u32_e32 vcc, 8, v49
	v_cndmask_b32_e32 v42, v51, v42, vcc
	v_cndmask_b32_e32 v44, v44, v52, vcc
	v_lshlrev_b32_e32 v49, 16, v40
	v_lshlrev_b32_e32 v44, 20, v44
	v_and_b32_e32 v49, 0x80000000, v49
	v_lshl_add_u32 v42, v42, 23, v48
	v_or3_b32 v42, v49, v42, v44
	v_lshrrev_b32_e32 v44, 16, v42
.LBB956_463:                            ;   in Loop: Header=BB956_213 Depth=1
	s_or_b64 exec, exec, s[16:17]
.LBB956_464:                            ;   in Loop: Header=BB956_213 Depth=1
	s_or_b64 exec, exec, s[14:15]
.LBB956_465:                            ;   in Loop: Header=BB956_213 Depth=1
	s_or_b64 exec, exec, s[12:13]
	v_lshrrev_b32_e32 v42, 16, v40
	v_cmp_ne_u16_sdwa s[14:15], v42, v47 src0_sel:BYTE_0 src1_sel:DWORD
	s_and_saveexec_b64 s[12:13], s[14:15]
	s_cbranch_execz .LBB956_471
; %bb.466:                              ;   in Loop: Header=BB956_213 Depth=1
	v_cmp_ne_u16_sdwa s[16:17], v42, s9 src0_sel:BYTE_0 src1_sel:DWORD
	v_mov_b32_e32 v50, 0xffff8000
	s_and_saveexec_b64 s[14:15], s[16:17]
	s_cbranch_execz .LBB956_470
; %bb.467:                              ;   in Loop: Header=BB956_213 Depth=1
	v_bfe_u32 v49, v40, 16, 7
	v_cmp_ne_u32_e32 vcc, s21, v49
	v_mov_b32_e32 v50, 0x7f80
	s_and_saveexec_b64 s[16:17], vcc
	s_cbranch_execz .LBB956_469
; %bb.468:                              ;   in Loop: Header=BB956_213 Depth=1
	v_and_b32_e32 v52, 7, v42
	v_ffbh_u32_e32 v50, v52
	v_min_u32_e32 v60, 32, v50
	v_subrev_u32_e32 v50, 28, v60
	v_lshlrev_b64 v[50:51], v50, v[42:43]
	v_lshrrev_b32_e32 v53, 3, v49
	v_sub_u32_e32 v51, 29, v60
	v_and_b32_e32 v50, 7, v50
	v_cmp_gt_u32_e32 vcc, 8, v49
	v_cndmask_b32_e32 v49, v53, v51, vcc
	v_cndmask_b32_e32 v50, v52, v50, vcc
	v_lshlrev_b32_e32 v42, 24, v42
	v_lshlrev_b32_e32 v50, 20, v50
	v_and_b32_e32 v42, 0x80000000, v42
	v_lshl_add_u32 v49, v49, 23, v48
	v_or3_b32 v42, v42, v49, v50
	v_lshrrev_b32_e32 v50, 16, v42
.LBB956_469:                            ;   in Loop: Header=BB956_213 Depth=1
	s_or_b64 exec, exec, s[16:17]
.LBB956_470:                            ;   in Loop: Header=BB956_213 Depth=1
	s_or_b64 exec, exec, s[14:15]
.LBB956_471:                            ;   in Loop: Header=BB956_213 Depth=1
	s_or_b64 exec, exec, s[12:13]
	v_cmp_lt_u32_e32 vcc, s22, v40
	v_mov_b32_e32 v51, 0
	v_mov_b32_e32 v52, 0
	s_and_saveexec_b64 s[12:13], vcc
	s_cbranch_execz .LBB956_477
; %bb.472:                              ;   in Loop: Header=BB956_213 Depth=1
	v_lshrrev_b32_e32 v42, 24, v40
	v_cmp_ne_u32_e32 vcc, s9, v42
	v_mov_b32_e32 v52, 0xffff8000
	s_and_saveexec_b64 s[14:15], vcc
	s_cbranch_execz .LBB956_476
; %bb.473:                              ;   in Loop: Header=BB956_213 Depth=1
	v_bfe_u32 v40, v40, 24, 7
	v_cmp_ne_u32_e32 vcc, s21, v40
	v_mov_b32_e32 v52, 0x7f80
	s_and_saveexec_b64 s[16:17], vcc
	s_cbranch_execz .LBB956_475
; %bb.474:                              ;   in Loop: Header=BB956_213 Depth=1
	v_and_b32_e32 v49, 7, v42
	v_ffbh_u32_e32 v52, v49
	v_min_u32_e32 v61, 32, v52
	v_subrev_u32_e32 v52, 28, v61
	v_lshlrev_b64 v[52:53], v52, v[42:43]
	v_lshrrev_b32_e32 v60, 3, v40
	v_sub_u32_e32 v53, 29, v61
	v_and_b32_e32 v52, 7, v52
	v_cmp_gt_u32_e32 vcc, 8, v40
	v_cndmask_b32_e32 v40, v60, v53, vcc
	v_cndmask_b32_e32 v49, v49, v52, vcc
	v_lshlrev_b32_e32 v42, 24, v42
	v_lshlrev_b32_e32 v49, 20, v49
	v_and_b32_e32 v42, 0x80000000, v42
	v_lshl_add_u32 v40, v40, 23, v48
	v_or3_b32 v40, v42, v40, v49
	v_lshrrev_b32_e32 v52, 16, v40
.LBB956_475:                            ;   in Loop: Header=BB956_213 Depth=1
	s_or_b64 exec, exec, s[16:17]
.LBB956_476:                            ;   in Loop: Header=BB956_213 Depth=1
	s_or_b64 exec, exec, s[14:15]
.LBB956_477:                            ;   in Loop: Header=BB956_213 Depth=1
	s_or_b64 exec, exec, s[12:13]
	s_waitcnt vmcnt(0)
	v_cmp_ne_u16_sdwa s[14:15], v38, v47 src0_sel:BYTE_0 src1_sel:DWORD
	s_and_saveexec_b64 s[12:13], s[14:15]
	s_cbranch_execz .LBB956_483
; %bb.478:                              ;   in Loop: Header=BB956_213 Depth=1
	v_cmp_ne_u16_sdwa s[16:17], v38, s9 src0_sel:BYTE_0 src1_sel:DWORD
	v_mov_b32_e32 v51, 0xffff8000
	s_and_saveexec_b64 s[14:15], s[16:17]
	s_cbranch_execz .LBB956_482
; %bb.479:                              ;   in Loop: Header=BB956_213 Depth=1
	v_and_b32_e32 v40, 0x7f, v38
	v_cmp_ne_u32_e32 vcc, s21, v40
	v_mov_b32_e32 v51, 0x7f80
	s_and_saveexec_b64 s[16:17], vcc
	s_cbranch_execz .LBB956_481
; %bb.480:                              ;   in Loop: Header=BB956_213 Depth=1
	v_and_b32_e32 v42, 7, v38
	v_ffbh_u32_e32 v51, v42
	v_min_u32_e32 v51, 32, v51
	v_subrev_u32_e32 v53, 28, v51
	v_lshlrev_b64 v[60:61], v53, v[38:39]
	v_lshrrev_b32_e32 v49, 3, v40
	v_sub_u32_e32 v51, 29, v51
	v_and_b32_e32 v53, 7, v60
	v_cmp_gt_u32_e32 vcc, 8, v40
	v_cndmask_b32_e32 v40, v49, v51, vcc
	v_cndmask_b32_e32 v42, v42, v53, vcc
	v_lshlrev_b32_e32 v49, 24, v38
	v_lshlrev_b32_e32 v42, 20, v42
	v_and_b32_e32 v49, 0x80000000, v49
	v_lshl_add_u32 v40, v40, 23, v48
	v_or3_b32 v40, v49, v40, v42
	v_lshrrev_b32_e32 v51, 16, v40
.LBB956_481:                            ;   in Loop: Header=BB956_213 Depth=1
	s_or_b64 exec, exec, s[16:17]
.LBB956_482:                            ;   in Loop: Header=BB956_213 Depth=1
	s_or_b64 exec, exec, s[14:15]
.LBB956_483:                            ;   in Loop: Header=BB956_213 Depth=1
	s_or_b64 exec, exec, s[12:13]
	v_lshrrev_b16_e32 v40, 8, v38
	v_cmp_ne_u16_e32 vcc, 0, v40
	v_mov_b32_e32 v60, 0
	v_mov_b32_e32 v53, 0
	s_and_saveexec_b64 s[12:13], vcc
	s_cbranch_execz .LBB956_489
; %bb.484:                              ;   in Loop: Header=BB956_213 Depth=1
	v_cmp_ne_u16_e32 vcc, s9, v40
	v_mov_b32_e32 v53, 0xffff8000
	s_and_saveexec_b64 s[14:15], vcc
	s_cbranch_execz .LBB956_488
; %bb.485:                              ;   in Loop: Header=BB956_213 Depth=1
	v_and_b32_e32 v42, 0x7f, v40
	v_cmp_ne_u32_e32 vcc, s21, v42
	v_mov_b32_e32 v53, 0x7f80
	s_and_saveexec_b64 s[16:17], vcc
	s_cbranch_execz .LBB956_487
; %bb.486:                              ;   in Loop: Header=BB956_213 Depth=1
	v_and_b32_e32 v49, 7, v40
	v_ffbh_u32_e32 v61, v49
	v_min_u32_e32 v61, 32, v61
	v_subrev_u32_e32 v62, 28, v61
	v_lshlrev_b64 v[62:63], v62, v[40:41]
	v_lshrrev_b32_e32 v53, 3, v42
	v_sub_u32_e32 v40, 29, v61
	v_and_b32_e32 v61, 7, v62
	v_cmp_gt_u32_e32 vcc, 8, v42
	v_cndmask_b32_e32 v40, v53, v40, vcc
	v_cndmask_b32_e32 v42, v49, v61, vcc
	v_lshlrev_b32_e32 v49, 16, v38
	v_lshlrev_b32_e32 v42, 20, v42
	v_and_b32_e32 v49, 0x80000000, v49
	v_lshl_add_u32 v40, v40, 23, v48
	v_or3_b32 v40, v49, v40, v42
	v_lshrrev_b32_e32 v53, 16, v40
.LBB956_487:                            ;   in Loop: Header=BB956_213 Depth=1
	s_or_b64 exec, exec, s[16:17]
.LBB956_488:                            ;   in Loop: Header=BB956_213 Depth=1
	s_or_b64 exec, exec, s[14:15]
.LBB956_489:                            ;   in Loop: Header=BB956_213 Depth=1
	s_or_b64 exec, exec, s[12:13]
	v_lshrrev_b32_e32 v40, 16, v38
	v_cmp_ne_u16_sdwa s[14:15], v40, v47 src0_sel:BYTE_0 src1_sel:DWORD
	s_and_saveexec_b64 s[12:13], s[14:15]
	s_cbranch_execz .LBB956_495
; %bb.490:                              ;   in Loop: Header=BB956_213 Depth=1
	v_cmp_ne_u16_sdwa s[16:17], v40, s9 src0_sel:BYTE_0 src1_sel:DWORD
	v_mov_b32_e32 v60, 0xffff8000
	s_and_saveexec_b64 s[14:15], s[16:17]
	s_cbranch_execz .LBB956_494
; %bb.491:                              ;   in Loop: Header=BB956_213 Depth=1
	v_bfe_u32 v42, v38, 16, 7
	v_cmp_ne_u32_e32 vcc, s21, v42
	v_mov_b32_e32 v60, 0x7f80
	s_and_saveexec_b64 s[16:17], vcc
	s_cbranch_execz .LBB956_493
; %bb.492:                              ;   in Loop: Header=BB956_213 Depth=1
	v_and_b32_e32 v49, 7, v40
	v_ffbh_u32_e32 v60, v49
	v_min_u32_e32 v63, 32, v60
	v_subrev_u32_e32 v60, 28, v63
	v_lshlrev_b64 v[60:61], v60, v[40:41]
	v_lshrrev_b32_e32 v62, 3, v42
	v_sub_u32_e32 v61, 29, v63
	v_and_b32_e32 v60, 7, v60
	v_cmp_gt_u32_e32 vcc, 8, v42
	v_cndmask_b32_e32 v42, v62, v61, vcc
	v_cndmask_b32_e32 v49, v49, v60, vcc
	v_lshlrev_b32_e32 v40, 24, v40
	v_lshlrev_b32_e32 v49, 20, v49
	v_and_b32_e32 v40, 0x80000000, v40
	v_lshl_add_u32 v42, v42, 23, v48
	v_or3_b32 v40, v40, v42, v49
	v_lshrrev_b32_e32 v60, 16, v40
.LBB956_493:                            ;   in Loop: Header=BB956_213 Depth=1
	s_or_b64 exec, exec, s[16:17]
.LBB956_494:                            ;   in Loop: Header=BB956_213 Depth=1
	s_or_b64 exec, exec, s[14:15]
.LBB956_495:                            ;   in Loop: Header=BB956_213 Depth=1
	s_or_b64 exec, exec, s[12:13]
	v_cmp_lt_u32_e32 vcc, s22, v38
	v_mov_b32_e32 v49, 0
	v_mov_b32_e32 v61, 0
	s_and_saveexec_b64 s[12:13], vcc
	s_cbranch_execz .LBB956_501
; %bb.496:                              ;   in Loop: Header=BB956_213 Depth=1
	v_lshrrev_b32_e32 v40, 24, v38
	v_cmp_ne_u32_e32 vcc, s9, v40
	v_mov_b32_e32 v61, 0xffff8000
	s_and_saveexec_b64 s[14:15], vcc
	s_cbranch_execz .LBB956_500
; %bb.497:                              ;   in Loop: Header=BB956_213 Depth=1
	v_bfe_u32 v38, v38, 24, 7
	v_cmp_ne_u32_e32 vcc, s21, v38
	v_mov_b32_e32 v61, 0x7f80
	s_and_saveexec_b64 s[16:17], vcc
	s_cbranch_execz .LBB956_499
; %bb.498:                              ;   in Loop: Header=BB956_213 Depth=1
	v_and_b32_e32 v42, 7, v40
	v_ffbh_u32_e32 v62, v42
	v_min_u32_e32 v64, 32, v62
	v_subrev_u32_e32 v62, 28, v64
	v_lshlrev_b64 v[62:63], v62, v[40:41]
	v_lshrrev_b32_e32 v61, 3, v38
	v_sub_u32_e32 v63, 29, v64
	v_and_b32_e32 v62, 7, v62
	v_cmp_gt_u32_e32 vcc, 8, v38
	v_cndmask_b32_e32 v38, v61, v63, vcc
	v_cndmask_b32_e32 v42, v42, v62, vcc
	v_lshlrev_b32_e32 v40, 24, v40
	v_lshlrev_b32_e32 v42, 20, v42
	v_and_b32_e32 v40, 0x80000000, v40
	v_lshl_add_u32 v38, v38, 23, v48
	v_or3_b32 v38, v40, v38, v42
	v_lshrrev_b32_e32 v61, 16, v38
.LBB956_499:                            ;   in Loop: Header=BB956_213 Depth=1
	s_or_b64 exec, exec, s[16:17]
.LBB956_500:                            ;   in Loop: Header=BB956_213 Depth=1
	s_or_b64 exec, exec, s[14:15]
.LBB956_501:                            ;   in Loop: Header=BB956_213 Depth=1
	s_or_b64 exec, exec, s[12:13]
	v_perm_b32 v62, v44, v46, s23
	buffer_load_dword v44, v41, s[0:3], 0 offen
	buffer_load_dword v42, v41, s[0:3], 0 offen offset:4
	buffer_load_dword v40, v41, s[0:3], 0 offen offset:8
	;; [unrolled: 1-line block ×3, first 2 shown]
	v_perm_b32 v63, v52, v50, s23
	v_perm_b32 v61, v61, v60, s23
	;; [unrolled: 1-line block ×3, first 2 shown]
	v_mfma_f32_16x16x16bf16_1k v[34:37], v[62:63], v[22:23], v[34:37]
	s_waitcnt vmcnt(3)
	v_cmp_ne_u16_sdwa s[14:15], v44, v47 src0_sel:BYTE_0 src1_sel:DWORD
	v_mfma_f32_16x16x16bf16_1k v[34:37], v[60:61], v[24:25], v[34:37]
	s_and_saveexec_b64 s[12:13], s[14:15]
	s_cbranch_execz .LBB956_507
; %bb.502:                              ;   in Loop: Header=BB956_213 Depth=1
	v_cmp_ne_u16_sdwa s[16:17], v44, s9 src0_sel:BYTE_0 src1_sel:DWORD
	v_mov_b32_e32 v49, 0xffff8000
	s_and_saveexec_b64 s[14:15], s[16:17]
	s_cbranch_execz .LBB956_506
; %bb.503:                              ;   in Loop: Header=BB956_213 Depth=1
	v_and_b32_e32 v41, 0x7f, v44
	v_cmp_ne_u32_e32 vcc, s21, v41
	v_mov_b32_e32 v49, 0x7f80
	s_and_saveexec_b64 s[16:17], vcc
	s_cbranch_execz .LBB956_505
; %bb.504:                              ;   in Loop: Header=BB956_213 Depth=1
	v_and_b32_e32 v46, 7, v44
	v_ffbh_u32_e32 v50, v46
	v_min_u32_e32 v52, 32, v50
	v_subrev_u32_e32 v50, 28, v52
	v_lshlrev_b64 v[50:51], v50, v[44:45]
	v_lshrrev_b32_e32 v49, 3, v41
	v_sub_u32_e32 v51, 29, v52
	v_and_b32_e32 v50, 7, v50
	v_cmp_gt_u32_e32 vcc, 8, v41
	v_cndmask_b32_e32 v41, v49, v51, vcc
	v_cndmask_b32_e32 v46, v46, v50, vcc
	v_lshlrev_b32_e32 v49, 24, v44
	v_lshlrev_b32_e32 v46, 20, v46
	v_and_b32_e32 v49, 0x80000000, v49
	v_lshl_add_u32 v41, v41, 23, v48
	v_or3_b32 v41, v49, v41, v46
	v_lshrrev_b32_e32 v49, 16, v41
.LBB956_505:                            ;   in Loop: Header=BB956_213 Depth=1
	s_or_b64 exec, exec, s[16:17]
.LBB956_506:                            ;   in Loop: Header=BB956_213 Depth=1
	s_or_b64 exec, exec, s[14:15]
.LBB956_507:                            ;   in Loop: Header=BB956_213 Depth=1
	s_or_b64 exec, exec, s[12:13]
	v_lshrrev_b16_e32 v46, 8, v44
	v_cmp_ne_u16_e32 vcc, 0, v46
	v_mov_b32_e32 v51, 0
	v_mov_b32_e32 v50, 0
	s_and_saveexec_b64 s[12:13], vcc
	s_cbranch_execz .LBB956_513
; %bb.508:                              ;   in Loop: Header=BB956_213 Depth=1
	v_cmp_ne_u16_e32 vcc, s9, v46
	v_mov_b32_e32 v50, 0xffff8000
	s_and_saveexec_b64 s[14:15], vcc
	s_cbranch_execz .LBB956_512
; %bb.509:                              ;   in Loop: Header=BB956_213 Depth=1
	v_and_b32_e32 v41, 0x7f, v46
	v_cmp_ne_u32_e32 vcc, s21, v41
	v_mov_b32_e32 v50, 0x7f80
	s_and_saveexec_b64 s[16:17], vcc
	s_cbranch_execz .LBB956_511
; %bb.510:                              ;   in Loop: Header=BB956_213 Depth=1
	v_and_b32_e32 v50, 7, v46
	v_ffbh_u32_e32 v52, v50
	v_min_u32_e32 v61, 32, v52
	v_subrev_u32_e32 v52, 28, v61
	v_lshlrev_b64 v[52:53], v52, v[46:47]
	v_lshrrev_b32_e32 v60, 3, v41
	v_sub_u32_e32 v46, 29, v61
	v_and_b32_e32 v52, 7, v52
	v_cmp_gt_u32_e32 vcc, 8, v41
	v_cndmask_b32_e32 v41, v60, v46, vcc
	v_cndmask_b32_e32 v46, v50, v52, vcc
	v_lshlrev_b32_e32 v50, 16, v44
	v_lshlrev_b32_e32 v46, 20, v46
	v_and_b32_e32 v50, 0x80000000, v50
	v_lshl_add_u32 v41, v41, 23, v48
	v_or3_b32 v41, v50, v41, v46
	v_lshrrev_b32_e32 v50, 16, v41
.LBB956_511:                            ;   in Loop: Header=BB956_213 Depth=1
	s_or_b64 exec, exec, s[16:17]
.LBB956_512:                            ;   in Loop: Header=BB956_213 Depth=1
	s_or_b64 exec, exec, s[14:15]
.LBB956_513:                            ;   in Loop: Header=BB956_213 Depth=1
	s_or_b64 exec, exec, s[12:13]
	v_lshrrev_b32_e32 v46, 16, v44
	v_cmp_ne_u16_sdwa s[14:15], v46, v47 src0_sel:BYTE_0 src1_sel:DWORD
	s_and_saveexec_b64 s[12:13], s[14:15]
	s_cbranch_execz .LBB956_519
; %bb.514:                              ;   in Loop: Header=BB956_213 Depth=1
	v_cmp_ne_u16_sdwa s[16:17], v46, s9 src0_sel:BYTE_0 src1_sel:DWORD
	v_mov_b32_e32 v51, 0xffff8000
	s_and_saveexec_b64 s[14:15], s[16:17]
	s_cbranch_execz .LBB956_518
; %bb.515:                              ;   in Loop: Header=BB956_213 Depth=1
	v_bfe_u32 v41, v44, 16, 7
	v_cmp_ne_u32_e32 vcc, s21, v41
	v_mov_b32_e32 v51, 0x7f80
	s_and_saveexec_b64 s[16:17], vcc
	s_cbranch_execz .LBB956_517
; %bb.516:                              ;   in Loop: Header=BB956_213 Depth=1
	v_and_b32_e32 v51, 7, v46
	v_ffbh_u32_e32 v52, v51
	v_min_u32_e32 v61, 32, v52
	v_subrev_u32_e32 v52, 28, v61
	v_lshlrev_b64 v[52:53], v52, v[46:47]
	v_lshrrev_b32_e32 v60, 3, v41
	v_sub_u32_e32 v53, 29, v61
	v_and_b32_e32 v52, 7, v52
	v_cmp_gt_u32_e32 vcc, 8, v41
	v_cndmask_b32_e32 v41, v60, v53, vcc
	v_cndmask_b32_e32 v51, v51, v52, vcc
	v_lshlrev_b32_e32 v46, 24, v46
	v_lshlrev_b32_e32 v51, 20, v51
	v_and_b32_e32 v46, 0x80000000, v46
	v_lshl_add_u32 v41, v41, 23, v48
	v_or3_b32 v41, v46, v41, v51
	v_lshrrev_b32_e32 v51, 16, v41
.LBB956_517:                            ;   in Loop: Header=BB956_213 Depth=1
	s_or_b64 exec, exec, s[16:17]
.LBB956_518:                            ;   in Loop: Header=BB956_213 Depth=1
	s_or_b64 exec, exec, s[14:15]
.LBB956_519:                            ;   in Loop: Header=BB956_213 Depth=1
	s_or_b64 exec, exec, s[12:13]
	v_cmp_lt_u32_e32 vcc, s22, v44
	v_mov_b32_e32 v52, 0
	v_mov_b32_e32 v53, 0
	s_and_saveexec_b64 s[12:13], vcc
	s_cbranch_execz .LBB956_525
; %bb.520:                              ;   in Loop: Header=BB956_213 Depth=1
	v_lshrrev_b32_e32 v46, 24, v44
	v_cmp_ne_u32_e32 vcc, s9, v46
	v_mov_b32_e32 v53, 0xffff8000
	s_and_saveexec_b64 s[14:15], vcc
	s_cbranch_execz .LBB956_524
; %bb.521:                              ;   in Loop: Header=BB956_213 Depth=1
	v_bfe_u32 v41, v44, 24, 7
	v_cmp_ne_u32_e32 vcc, s21, v41
	v_mov_b32_e32 v53, 0x7f80
	s_and_saveexec_b64 s[16:17], vcc
	s_cbranch_execz .LBB956_523
; %bb.522:                              ;   in Loop: Header=BB956_213 Depth=1
	v_and_b32_e32 v44, 7, v46
	v_ffbh_u32_e32 v60, v44
	v_min_u32_e32 v62, 32, v60
	v_subrev_u32_e32 v60, 28, v62
	v_lshlrev_b64 v[60:61], v60, v[46:47]
	v_lshrrev_b32_e32 v53, 3, v41
	v_sub_u32_e32 v61, 29, v62
	v_and_b32_e32 v60, 7, v60
	v_cmp_gt_u32_e32 vcc, 8, v41
	v_cndmask_b32_e32 v41, v53, v61, vcc
	v_cndmask_b32_e32 v44, v44, v60, vcc
	v_lshlrev_b32_e32 v46, 24, v46
	v_lshlrev_b32_e32 v44, 20, v44
	v_and_b32_e32 v46, 0x80000000, v46
	v_lshl_add_u32 v41, v41, 23, v48
	v_or3_b32 v41, v46, v41, v44
	v_lshrrev_b32_e32 v53, 16, v41
.LBB956_523:                            ;   in Loop: Header=BB956_213 Depth=1
	s_or_b64 exec, exec, s[16:17]
.LBB956_524:                            ;   in Loop: Header=BB956_213 Depth=1
	s_or_b64 exec, exec, s[14:15]
.LBB956_525:                            ;   in Loop: Header=BB956_213 Depth=1
	s_or_b64 exec, exec, s[12:13]
	s_waitcnt vmcnt(2)
	v_cmp_ne_u16_sdwa s[14:15], v42, v47 src0_sel:BYTE_0 src1_sel:DWORD
	s_and_saveexec_b64 s[12:13], s[14:15]
	s_cbranch_execz .LBB956_531
; %bb.526:                              ;   in Loop: Header=BB956_213 Depth=1
	v_cmp_ne_u16_sdwa s[16:17], v42, s9 src0_sel:BYTE_0 src1_sel:DWORD
	v_mov_b32_e32 v52, 0xffff8000
	s_and_saveexec_b64 s[14:15], s[16:17]
	s_cbranch_execz .LBB956_530
; %bb.527:                              ;   in Loop: Header=BB956_213 Depth=1
	v_and_b32_e32 v41, 0x7f, v42
	v_cmp_ne_u32_e32 vcc, s21, v41
	v_mov_b32_e32 v52, 0x7f80
	s_and_saveexec_b64 s[16:17], vcc
	s_cbranch_execz .LBB956_529
; %bb.528:                              ;   in Loop: Header=BB956_213 Depth=1
	v_and_b32_e32 v44, 7, v42
	v_ffbh_u32_e32 v52, v44
	v_min_u32_e32 v52, 32, v52
	v_subrev_u32_e32 v60, 28, v52
	v_lshlrev_b64 v[60:61], v60, v[42:43]
	v_lshrrev_b32_e32 v46, 3, v41
	v_sub_u32_e32 v52, 29, v52
	v_and_b32_e32 v60, 7, v60
	v_cmp_gt_u32_e32 vcc, 8, v41
	v_cndmask_b32_e32 v41, v46, v52, vcc
	v_cndmask_b32_e32 v44, v44, v60, vcc
	v_lshlrev_b32_e32 v46, 24, v42
	v_lshlrev_b32_e32 v44, 20, v44
	v_and_b32_e32 v46, 0x80000000, v46
	v_lshl_add_u32 v41, v41, 23, v48
	v_or3_b32 v41, v46, v41, v44
	v_lshrrev_b32_e32 v52, 16, v41
.LBB956_529:                            ;   in Loop: Header=BB956_213 Depth=1
	s_or_b64 exec, exec, s[16:17]
.LBB956_530:                            ;   in Loop: Header=BB956_213 Depth=1
	s_or_b64 exec, exec, s[14:15]
.LBB956_531:                            ;   in Loop: Header=BB956_213 Depth=1
	s_or_b64 exec, exec, s[12:13]
	v_lshrrev_b16_e32 v44, 8, v42
	v_cmp_ne_u16_e32 vcc, 0, v44
	v_mov_b32_e32 v60, 0
	v_mov_b32_e32 v46, 0
	s_and_saveexec_b64 s[12:13], vcc
	s_cbranch_execz .LBB956_537
; %bb.532:                              ;   in Loop: Header=BB956_213 Depth=1
	v_cmp_ne_u16_e32 vcc, s9, v44
	v_mov_b32_e32 v46, 0xffff8000
	s_and_saveexec_b64 s[14:15], vcc
	s_cbranch_execz .LBB956_536
; %bb.533:                              ;   in Loop: Header=BB956_213 Depth=1
	v_and_b32_e32 v41, 0x7f, v44
	v_cmp_ne_u32_e32 vcc, s21, v41
	v_mov_b32_e32 v46, 0x7f80
	s_and_saveexec_b64 s[16:17], vcc
	s_cbranch_execz .LBB956_535
; %bb.534:                              ;   in Loop: Header=BB956_213 Depth=1
	v_and_b32_e32 v46, 7, v44
	v_ffbh_u32_e32 v62, v46
	v_min_u32_e32 v64, 32, v62
	v_subrev_u32_e32 v62, 28, v64
	v_lshlrev_b64 v[62:63], v62, v[44:45]
	v_lshrrev_b32_e32 v61, 3, v41
	v_sub_u32_e32 v44, 29, v64
	v_and_b32_e32 v62, 7, v62
	v_cmp_gt_u32_e32 vcc, 8, v41
	v_cndmask_b32_e32 v41, v61, v44, vcc
	v_cndmask_b32_e32 v44, v46, v62, vcc
	v_lshlrev_b32_e32 v46, 16, v42
	v_lshlrev_b32_e32 v44, 20, v44
	v_and_b32_e32 v46, 0x80000000, v46
	v_lshl_add_u32 v41, v41, 23, v48
	v_or3_b32 v41, v46, v41, v44
	v_lshrrev_b32_e32 v46, 16, v41
.LBB956_535:                            ;   in Loop: Header=BB956_213 Depth=1
	s_or_b64 exec, exec, s[16:17]
.LBB956_536:                            ;   in Loop: Header=BB956_213 Depth=1
	s_or_b64 exec, exec, s[14:15]
.LBB956_537:                            ;   in Loop: Header=BB956_213 Depth=1
	s_or_b64 exec, exec, s[12:13]
	v_lshrrev_b32_e32 v44, 16, v42
	v_cmp_ne_u16_sdwa s[14:15], v44, v47 src0_sel:BYTE_0 src1_sel:DWORD
	s_and_saveexec_b64 s[12:13], s[14:15]
	s_cbranch_execz .LBB956_543
; %bb.538:                              ;   in Loop: Header=BB956_213 Depth=1
	v_cmp_ne_u16_sdwa s[16:17], v44, s9 src0_sel:BYTE_0 src1_sel:DWORD
	v_mov_b32_e32 v60, 0xffff8000
	s_and_saveexec_b64 s[14:15], s[16:17]
	s_cbranch_execz .LBB956_542
; %bb.539:                              ;   in Loop: Header=BB956_213 Depth=1
	v_bfe_u32 v41, v42, 16, 7
	v_cmp_ne_u32_e32 vcc, s21, v41
	v_mov_b32_e32 v60, 0x7f80
	s_and_saveexec_b64 s[16:17], vcc
	s_cbranch_execz .LBB956_541
; %bb.540:                              ;   in Loop: Header=BB956_213 Depth=1
	v_and_b32_e32 v62, 7, v44
	v_ffbh_u32_e32 v60, v62
	v_min_u32_e32 v64, 32, v60
	v_subrev_u32_e32 v60, 28, v64
	v_lshlrev_b64 v[60:61], v60, v[44:45]
	v_lshrrev_b32_e32 v63, 3, v41
	v_sub_u32_e32 v61, 29, v64
	v_and_b32_e32 v60, 7, v60
	v_cmp_gt_u32_e32 vcc, 8, v41
	v_cndmask_b32_e32 v41, v63, v61, vcc
	v_cndmask_b32_e32 v60, v62, v60, vcc
	v_lshlrev_b32_e32 v44, 24, v44
	v_lshlrev_b32_e32 v60, 20, v60
	v_and_b32_e32 v44, 0x80000000, v44
	v_lshl_add_u32 v41, v41, 23, v48
	v_or3_b32 v41, v44, v41, v60
	v_lshrrev_b32_e32 v60, 16, v41
.LBB956_541:                            ;   in Loop: Header=BB956_213 Depth=1
	s_or_b64 exec, exec, s[16:17]
.LBB956_542:                            ;   in Loop: Header=BB956_213 Depth=1
	s_or_b64 exec, exec, s[14:15]
.LBB956_543:                            ;   in Loop: Header=BB956_213 Depth=1
	s_or_b64 exec, exec, s[12:13]
	v_cmp_lt_u32_e32 vcc, s22, v42
	v_mov_b32_e32 v41, 0
	v_mov_b32_e32 v61, 0
	s_and_saveexec_b64 s[12:13], vcc
	s_cbranch_execz .LBB956_549
; %bb.544:                              ;   in Loop: Header=BB956_213 Depth=1
	v_lshrrev_b32_e32 v44, 24, v42
	v_cmp_ne_u32_e32 vcc, s9, v44
	v_mov_b32_e32 v61, 0xffff8000
	s_and_saveexec_b64 s[14:15], vcc
	s_cbranch_execz .LBB956_548
; %bb.545:                              ;   in Loop: Header=BB956_213 Depth=1
	v_bfe_u32 v42, v42, 24, 7
	v_cmp_ne_u32_e32 vcc, s21, v42
	v_mov_b32_e32 v61, 0x7f80
	s_and_saveexec_b64 s[16:17], vcc
	s_cbranch_execz .LBB956_547
; %bb.546:                              ;   in Loop: Header=BB956_213 Depth=1
	v_and_b32_e32 v61, 7, v44
	v_ffbh_u32_e32 v62, v61
	v_min_u32_e32 v65, 32, v62
	v_subrev_u32_e32 v62, 28, v65
	v_lshlrev_b64 v[62:63], v62, v[44:45]
	v_lshrrev_b32_e32 v64, 3, v42
	v_sub_u32_e32 v63, 29, v65
	v_and_b32_e32 v62, 7, v62
	v_cmp_gt_u32_e32 vcc, 8, v42
	v_cndmask_b32_e32 v42, v64, v63, vcc
	v_cndmask_b32_e32 v61, v61, v62, vcc
	v_lshlrev_b32_e32 v44, 24, v44
	v_lshlrev_b32_e32 v61, 20, v61
	v_and_b32_e32 v44, 0x80000000, v44
	v_lshl_add_u32 v42, v42, 23, v48
	v_or3_b32 v42, v44, v42, v61
	v_lshrrev_b32_e32 v61, 16, v42
.LBB956_547:                            ;   in Loop: Header=BB956_213 Depth=1
	s_or_b64 exec, exec, s[16:17]
.LBB956_548:                            ;   in Loop: Header=BB956_213 Depth=1
	s_or_b64 exec, exec, s[14:15]
.LBB956_549:                            ;   in Loop: Header=BB956_213 Depth=1
	s_or_b64 exec, exec, s[12:13]
	v_perm_b32 v51, v53, v51, s23
	v_perm_b32 v50, v50, v49, s23
	s_waitcnt vmcnt(1)
	v_cmp_ne_u16_sdwa s[14:15], v40, v47 src0_sel:BYTE_0 src1_sel:DWORD
	v_mfma_f32_16x16x16bf16_1k v[34:37], v[50:51], v[26:27], v[34:37]
	v_perm_b32 v51, v61, v60, s23
	v_perm_b32 v50, v46, v52, s23
	s_nop 1
	v_mfma_f32_16x16x16bf16_1k v[34:37], v[50:51], v[28:29], v[34:37]
	s_and_saveexec_b64 s[12:13], s[14:15]
	s_cbranch_execz .LBB956_555
; %bb.550:                              ;   in Loop: Header=BB956_213 Depth=1
	v_cmp_ne_u16_sdwa s[16:17], v40, s9 src0_sel:BYTE_0 src1_sel:DWORD
	v_mov_b32_e32 v41, 0xffff8000
	s_and_saveexec_b64 s[14:15], s[16:17]
	s_cbranch_execz .LBB956_554
; %bb.551:                              ;   in Loop: Header=BB956_213 Depth=1
	v_and_b32_e32 v42, 0x7f, v40
	v_cmp_ne_u32_e32 vcc, s21, v42
	v_mov_b32_e32 v41, 0x7f80
	s_and_saveexec_b64 s[16:17], vcc
	s_cbranch_execz .LBB956_553
; %bb.552:                              ;   in Loop: Header=BB956_213 Depth=1
	v_and_b32_e32 v41, 7, v40
	v_ffbh_u32_e32 v46, v41
	v_min_u32_e32 v46, 32, v46
	v_subrev_u32_e32 v49, 28, v46
	v_lshlrev_b64 v[50:51], v49, v[40:41]
	v_lshrrev_b32_e32 v44, 3, v42
	v_sub_u32_e32 v46, 29, v46
	v_and_b32_e32 v49, 7, v50
	v_cmp_gt_u32_e32 vcc, 8, v42
	v_cndmask_b32_e32 v42, v44, v46, vcc
	v_cndmask_b32_e32 v41, v41, v49, vcc
	v_lshlrev_b32_e32 v44, 24, v40
	v_lshlrev_b32_e32 v41, 20, v41
	v_and_b32_e32 v44, 0x80000000, v44
	v_lshl_add_u32 v42, v42, 23, v48
	v_or3_b32 v41, v44, v42, v41
	v_lshrrev_b32_e32 v41, 16, v41
.LBB956_553:                            ;   in Loop: Header=BB956_213 Depth=1
	s_or_b64 exec, exec, s[16:17]
.LBB956_554:                            ;   in Loop: Header=BB956_213 Depth=1
	s_or_b64 exec, exec, s[14:15]
.LBB956_555:                            ;   in Loop: Header=BB956_213 Depth=1
	s_or_b64 exec, exec, s[12:13]
	v_lshrrev_b16_e32 v42, 8, v40
	v_cmp_ne_u16_e32 vcc, 0, v42
	v_mov_b32_e32 v46, 0
	v_mov_b32_e32 v44, 0
	s_and_saveexec_b64 s[12:13], vcc
	s_cbranch_execz .LBB956_561
; %bb.556:                              ;   in Loop: Header=BB956_213 Depth=1
	v_cmp_ne_u16_e32 vcc, s9, v42
	v_mov_b32_e32 v44, 0xffff8000
	s_and_saveexec_b64 s[14:15], vcc
	s_cbranch_execz .LBB956_560
; %bb.557:                              ;   in Loop: Header=BB956_213 Depth=1
	v_and_b32_e32 v49, 0x7f, v42
	v_cmp_ne_u32_e32 vcc, s21, v49
	v_mov_b32_e32 v44, 0x7f80
	s_and_saveexec_b64 s[16:17], vcc
	s_cbranch_execz .LBB956_559
; %bb.558:                              ;   in Loop: Header=BB956_213 Depth=1
	v_and_b32_e32 v44, 7, v42
	v_ffbh_u32_e32 v50, v44
	v_min_u32_e32 v53, 32, v50
	v_subrev_u32_e32 v50, 28, v53
	v_lshlrev_b64 v[50:51], v50, v[42:43]
	v_lshrrev_b32_e32 v52, 3, v49
	v_sub_u32_e32 v42, 29, v53
	v_and_b32_e32 v50, 7, v50
	v_cmp_gt_u32_e32 vcc, 8, v49
	v_cndmask_b32_e32 v42, v52, v42, vcc
	v_cndmask_b32_e32 v44, v44, v50, vcc
	v_lshlrev_b32_e32 v49, 16, v40
	v_lshlrev_b32_e32 v44, 20, v44
	v_and_b32_e32 v49, 0x80000000, v49
	v_lshl_add_u32 v42, v42, 23, v48
	v_or3_b32 v42, v49, v42, v44
	v_lshrrev_b32_e32 v44, 16, v42
.LBB956_559:                            ;   in Loop: Header=BB956_213 Depth=1
	s_or_b64 exec, exec, s[16:17]
.LBB956_560:                            ;   in Loop: Header=BB956_213 Depth=1
	s_or_b64 exec, exec, s[14:15]
.LBB956_561:                            ;   in Loop: Header=BB956_213 Depth=1
	s_or_b64 exec, exec, s[12:13]
	v_lshrrev_b32_e32 v42, 16, v40
	v_cmp_ne_u16_sdwa s[14:15], v42, v47 src0_sel:BYTE_0 src1_sel:DWORD
	s_and_saveexec_b64 s[12:13], s[14:15]
	s_cbranch_execz .LBB956_567
; %bb.562:                              ;   in Loop: Header=BB956_213 Depth=1
	v_cmp_ne_u16_sdwa s[16:17], v42, s9 src0_sel:BYTE_0 src1_sel:DWORD
	v_mov_b32_e32 v46, 0xffff8000
	s_and_saveexec_b64 s[14:15], s[16:17]
	s_cbranch_execz .LBB956_566
; %bb.563:                              ;   in Loop: Header=BB956_213 Depth=1
	v_bfe_u32 v49, v40, 16, 7
	v_cmp_ne_u32_e32 vcc, s21, v49
	v_mov_b32_e32 v46, 0x7f80
	s_and_saveexec_b64 s[16:17], vcc
	s_cbranch_execz .LBB956_565
; %bb.564:                              ;   in Loop: Header=BB956_213 Depth=1
	v_and_b32_e32 v46, 7, v42
	v_ffbh_u32_e32 v50, v46
	v_min_u32_e32 v53, 32, v50
	v_subrev_u32_e32 v50, 28, v53
	v_lshlrev_b64 v[50:51], v50, v[42:43]
	v_lshrrev_b32_e32 v52, 3, v49
	v_sub_u32_e32 v51, 29, v53
	v_and_b32_e32 v50, 7, v50
	v_cmp_gt_u32_e32 vcc, 8, v49
	v_cndmask_b32_e32 v49, v52, v51, vcc
	v_cndmask_b32_e32 v46, v46, v50, vcc
	v_lshlrev_b32_e32 v42, 24, v42
	v_lshlrev_b32_e32 v46, 20, v46
	v_and_b32_e32 v42, 0x80000000, v42
	v_lshl_add_u32 v49, v49, 23, v48
	v_or3_b32 v42, v42, v49, v46
	v_lshrrev_b32_e32 v46, 16, v42
.LBB956_565:                            ;   in Loop: Header=BB956_213 Depth=1
	s_or_b64 exec, exec, s[16:17]
.LBB956_566:                            ;   in Loop: Header=BB956_213 Depth=1
	s_or_b64 exec, exec, s[14:15]
.LBB956_567:                            ;   in Loop: Header=BB956_213 Depth=1
	s_or_b64 exec, exec, s[12:13]
	v_cmp_lt_u32_e32 vcc, s22, v40
	v_mov_b32_e32 v49, 0
	v_mov_b32_e32 v50, 0
	s_and_saveexec_b64 s[12:13], vcc
	s_cbranch_execz .LBB956_573
; %bb.568:                              ;   in Loop: Header=BB956_213 Depth=1
	v_lshrrev_b32_e32 v42, 24, v40
	v_cmp_ne_u32_e32 vcc, s9, v42
	v_mov_b32_e32 v50, 0xffff8000
	s_and_saveexec_b64 s[14:15], vcc
	s_cbranch_execz .LBB956_572
; %bb.569:                              ;   in Loop: Header=BB956_213 Depth=1
	v_bfe_u32 v40, v40, 24, 7
	v_cmp_ne_u32_e32 vcc, s21, v40
	v_mov_b32_e32 v50, 0x7f80
	s_and_saveexec_b64 s[16:17], vcc
	s_cbranch_execz .LBB956_571
; %bb.570:                              ;   in Loop: Header=BB956_213 Depth=1
	v_and_b32_e32 v52, 7, v42
	v_ffbh_u32_e32 v50, v52
	v_min_u32_e32 v60, 32, v50
	v_subrev_u32_e32 v50, 28, v60
	v_lshlrev_b64 v[50:51], v50, v[42:43]
	v_lshrrev_b32_e32 v53, 3, v40
	v_sub_u32_e32 v51, 29, v60
	v_and_b32_e32 v50, 7, v50
	v_cmp_gt_u32_e32 vcc, 8, v40
	v_cndmask_b32_e32 v40, v53, v51, vcc
	v_cndmask_b32_e32 v50, v52, v50, vcc
	v_lshlrev_b32_e32 v42, 24, v42
	v_lshlrev_b32_e32 v50, 20, v50
	v_and_b32_e32 v42, 0x80000000, v42
	v_lshl_add_u32 v40, v40, 23, v48
	v_or3_b32 v40, v42, v40, v50
	v_lshrrev_b32_e32 v50, 16, v40
.LBB956_571:                            ;   in Loop: Header=BB956_213 Depth=1
	s_or_b64 exec, exec, s[16:17]
.LBB956_572:                            ;   in Loop: Header=BB956_213 Depth=1
	s_or_b64 exec, exec, s[14:15]
.LBB956_573:                            ;   in Loop: Header=BB956_213 Depth=1
	s_or_b64 exec, exec, s[12:13]
	s_waitcnt vmcnt(0)
	v_cmp_ne_u16_sdwa s[14:15], v38, v47 src0_sel:BYTE_0 src1_sel:DWORD
	s_and_saveexec_b64 s[12:13], s[14:15]
	s_cbranch_execz .LBB956_579
; %bb.574:                              ;   in Loop: Header=BB956_213 Depth=1
	v_cmp_ne_u16_sdwa s[16:17], v38, s9 src0_sel:BYTE_0 src1_sel:DWORD
	v_mov_b32_e32 v49, 0xffff8000
	s_and_saveexec_b64 s[14:15], s[16:17]
	s_cbranch_execz .LBB956_578
; %bb.575:                              ;   in Loop: Header=BB956_213 Depth=1
	v_and_b32_e32 v40, 0x7f, v38
	v_cmp_ne_u32_e32 vcc, s21, v40
	v_mov_b32_e32 v49, 0x7f80
	s_and_saveexec_b64 s[16:17], vcc
	s_cbranch_execz .LBB956_577
; %bb.576:                              ;   in Loop: Header=BB956_213 Depth=1
	v_and_b32_e32 v42, 7, v38
	v_ffbh_u32_e32 v51, v42
	v_min_u32_e32 v51, 32, v51
	v_subrev_u32_e32 v52, 28, v51
	v_lshlrev_b64 v[52:53], v52, v[38:39]
	v_lshrrev_b32_e32 v49, 3, v40
	v_sub_u32_e32 v51, 29, v51
	v_and_b32_e32 v52, 7, v52
	v_cmp_gt_u32_e32 vcc, 8, v40
	v_cndmask_b32_e32 v40, v49, v51, vcc
	v_cndmask_b32_e32 v42, v42, v52, vcc
	v_lshlrev_b32_e32 v49, 24, v38
	v_lshlrev_b32_e32 v42, 20, v42
	v_and_b32_e32 v49, 0x80000000, v49
	v_lshl_add_u32 v40, v40, 23, v48
	v_or3_b32 v40, v49, v40, v42
	v_lshrrev_b32_e32 v49, 16, v40
.LBB956_577:                            ;   in Loop: Header=BB956_213 Depth=1
	s_or_b64 exec, exec, s[16:17]
.LBB956_578:                            ;   in Loop: Header=BB956_213 Depth=1
	s_or_b64 exec, exec, s[14:15]
.LBB956_579:                            ;   in Loop: Header=BB956_213 Depth=1
	s_or_b64 exec, exec, s[12:13]
	v_lshrrev_b16_e32 v40, 8, v38
	v_cmp_ne_u16_e32 vcc, 0, v40
	v_mov_b32_e32 v51, 0
	v_mov_b32_e32 v42, 0
	s_and_saveexec_b64 s[12:13], vcc
	s_cbranch_execz .LBB956_585
; %bb.580:                              ;   in Loop: Header=BB956_213 Depth=1
	v_cmp_ne_u16_e32 vcc, s9, v40
	v_mov_b32_e32 v42, 0xffff8000
	s_and_saveexec_b64 s[14:15], vcc
	s_cbranch_execz .LBB956_584
; %bb.581:                              ;   in Loop: Header=BB956_213 Depth=1
	v_and_b32_e32 v52, 0x7f, v40
	v_cmp_ne_u32_e32 vcc, s21, v52
	v_mov_b32_e32 v42, 0x7f80
	s_and_saveexec_b64 s[16:17], vcc
	s_cbranch_execz .LBB956_583
; %bb.582:                              ;   in Loop: Header=BB956_213 Depth=1
	v_and_b32_e32 v42, 7, v40
	v_ffbh_u32_e32 v60, v42
	v_min_u32_e32 v62, 32, v60
	v_subrev_u32_e32 v60, 28, v62
	v_lshlrev_b64 v[60:61], v60, v[40:41]
	v_lshrrev_b32_e32 v53, 3, v52
	v_sub_u32_e32 v40, 29, v62
	v_and_b32_e32 v60, 7, v60
	v_cmp_gt_u32_e32 vcc, 8, v52
	v_cndmask_b32_e32 v40, v53, v40, vcc
	v_cndmask_b32_e32 v42, v42, v60, vcc
	v_lshlrev_b32_e32 v52, 16, v38
	v_lshlrev_b32_e32 v42, 20, v42
	v_and_b32_e32 v52, 0x80000000, v52
	v_lshl_add_u32 v40, v40, 23, v48
	v_or3_b32 v40, v52, v40, v42
	v_lshrrev_b32_e32 v42, 16, v40
.LBB956_583:                            ;   in Loop: Header=BB956_213 Depth=1
	s_or_b64 exec, exec, s[16:17]
.LBB956_584:                            ;   in Loop: Header=BB956_213 Depth=1
	s_or_b64 exec, exec, s[14:15]
.LBB956_585:                            ;   in Loop: Header=BB956_213 Depth=1
	s_or_b64 exec, exec, s[12:13]
	v_lshrrev_b32_e32 v40, 16, v38
	v_cmp_ne_u16_sdwa s[14:15], v40, v47 src0_sel:BYTE_0 src1_sel:DWORD
	s_and_saveexec_b64 s[12:13], s[14:15]
	s_cbranch_execz .LBB956_591
; %bb.586:                              ;   in Loop: Header=BB956_213 Depth=1
	v_cmp_ne_u16_sdwa s[16:17], v40, s9 src0_sel:BYTE_0 src1_sel:DWORD
	v_mov_b32_e32 v51, 0xffff8000
	s_and_saveexec_b64 s[14:15], s[16:17]
	s_cbranch_execz .LBB956_590
; %bb.587:                              ;   in Loop: Header=BB956_213 Depth=1
	v_bfe_u32 v52, v38, 16, 7
	v_cmp_ne_u32_e32 vcc, s21, v52
	v_mov_b32_e32 v51, 0x7f80
	s_and_saveexec_b64 s[16:17], vcc
	s_cbranch_execz .LBB956_589
; %bb.588:                              ;   in Loop: Header=BB956_213 Depth=1
	v_and_b32_e32 v51, 7, v40
	v_ffbh_u32_e32 v60, v51
	v_min_u32_e32 v62, 32, v60
	v_subrev_u32_e32 v60, 28, v62
	v_lshlrev_b64 v[60:61], v60, v[40:41]
	v_lshrrev_b32_e32 v53, 3, v52
	v_sub_u32_e32 v61, 29, v62
	v_and_b32_e32 v60, 7, v60
	v_cmp_gt_u32_e32 vcc, 8, v52
	v_cndmask_b32_e32 v52, v53, v61, vcc
	v_cndmask_b32_e32 v51, v51, v60, vcc
	v_lshlrev_b32_e32 v40, 24, v40
	v_lshlrev_b32_e32 v51, 20, v51
	v_and_b32_e32 v40, 0x80000000, v40
	v_lshl_add_u32 v52, v52, 23, v48
	v_or3_b32 v40, v40, v52, v51
	v_lshrrev_b32_e32 v51, 16, v40
.LBB956_589:                            ;   in Loop: Header=BB956_213 Depth=1
	s_or_b64 exec, exec, s[16:17]
.LBB956_590:                            ;   in Loop: Header=BB956_213 Depth=1
	s_or_b64 exec, exec, s[14:15]
.LBB956_591:                            ;   in Loop: Header=BB956_213 Depth=1
	s_or_b64 exec, exec, s[12:13]
	v_cmp_lt_u32_e32 vcc, s22, v38
	v_mov_b32_e32 v52, 0
	s_and_saveexec_b64 s[12:13], vcc
	s_cbranch_execz .LBB956_212
; %bb.592:                              ;   in Loop: Header=BB956_213 Depth=1
	v_lshrrev_b32_e32 v40, 24, v38
	v_cmp_ne_u32_e32 vcc, s9, v40
	v_mov_b32_e32 v52, 0xffff8000
	s_and_saveexec_b64 s[14:15], vcc
	s_cbranch_execz .LBB956_211
; %bb.593:                              ;   in Loop: Header=BB956_213 Depth=1
	v_bfe_u32 v38, v38, 24, 7
	v_cmp_ne_u32_e32 vcc, s21, v38
	v_mov_b32_e32 v52, 0x7f80
	s_and_saveexec_b64 s[16:17], vcc
	s_cbranch_execz .LBB956_210
; %bb.594:                              ;   in Loop: Header=BB956_213 Depth=1
	v_and_b32_e32 v60, 7, v40
	v_ffbh_u32_e32 v52, v60
	v_min_u32_e32 v62, 32, v52
	v_subrev_u32_e32 v52, 28, v62
	v_lshlrev_b64 v[52:53], v52, v[40:41]
	v_lshrrev_b32_e32 v61, 3, v38
	v_sub_u32_e32 v53, 29, v62
	v_and_b32_e32 v52, 7, v52
	v_cmp_gt_u32_e32 vcc, 8, v38
	v_cndmask_b32_e32 v38, v61, v53, vcc
	v_cndmask_b32_e32 v52, v60, v52, vcc
	v_lshlrev_b32_e32 v40, 24, v40
	v_lshlrev_b32_e32 v52, 20, v52
	v_and_b32_e32 v40, 0x80000000, v40
	v_lshl_add_u32 v38, v38, 23, v48
	v_or3_b32 v38, v40, v38, v52
	v_lshrrev_b32_e32 v52, 16, v38
	s_branch .LBB956_210
.LBB956_595:
	s_barrier
	buffer_load_dword v2, off, s[0:3], 0 offset:320
	buffer_load_dword v5, off, s[0:3], 0 offset:332
	;; [unrolled: 1-line block ×4, first 2 shown]
	v_cmp_gt_u32_e32 vcc, 64, v0
	s_waitcnt vmcnt(0)
	ds_write2st64_b64 v43, v[2:3], v[4:5] offset1:1
	s_waitcnt lgkmcnt(0)
	s_barrier
	s_and_saveexec_b64 s[4:5], vcc
	s_cbranch_execz .LBB956_598
; %bb.596:
	s_lshl_b32 s4, s50, 7
	s_mul_i32 s5, s18, s8
	s_mul_hi_u32 s9, s5, s4
	s_mul_i32 s8, s5, s4
	s_lshl_b64 s[8:9], s[8:9], 1
	v_lshlrev_b32_e32 v4, 6, v55
	s_add_u32 s5, s48, s8
	v_lshl_or_b32 v0, v0, 10, v4
	s_mov_b32 s7, 0
	s_addc_u32 s8, s49, s9
	s_lshl_b32 s6, s24, 7
	v_lshlrev_b32_e32 v2, 5, v1
	v_and_b32_e32 v3, 16, v56
	v_and_b32_e32 v0, 0x1a00, v0
	s_lshl_b64 s[6:7], s[6:7], 1
	v_or3_b32 v0, v0, v2, v3
	s_add_u32 s5, s5, s6
	ds_read_b128 v[4:7], v0 offset:256
	s_addc_u32 s6, s8, s7
	ds_read_b128 v[8:11], v0 offset:128
	ds_read_b128 v[12:15], v0
	v_add_u32_e32 v18, s25, v1
	v_mov_b32_e32 v3, s6
	v_add_co_u32_e32 v2, vcc, s5, v54
	v_mad_u64_u32 v[16:17], s[6:7], v18, s4, 0
	v_addc_co_u32_e32 v3, vcc, 0, v3, vcc
	v_lshlrev_b64 v[16:17], 1, v[16:17]
	v_add_co_u32_e32 v16, vcc, v2, v16
	v_addc_co_u32_e32 v17, vcc, v3, v17, vcc
	s_waitcnt lgkmcnt(0)
	global_store_dwordx4 v[16:17], v[12:15], off
	s_nop 0
	v_add_u32_e32 v12, 4, v18
	v_mad_u64_u32 v[12:13], s[6:7], v12, s4, 0
	v_lshlrev_b64 v[12:13], 1, v[12:13]
	v_add_co_u32_e32 v12, vcc, v2, v12
	v_addc_co_u32_e32 v13, vcc, v3, v13, vcc
	global_store_dwordx4 v[12:13], v[8:11], off
	s_nop 0
	v_add_u32_e32 v8, 8, v18
	v_mad_u64_u32 v[8:9], s[6:7], v8, s4, 0
	v_lshlrev_b64 v[8:9], 1, v[8:9]
	v_add_co_u32_e32 v8, vcc, v2, v8
	v_addc_co_u32_e32 v9, vcc, v3, v9, vcc
	v_cmp_ne_u32_e32 vcc, 3, v1
	global_store_dwordx4 v[8:9], v[4:7], off
	s_and_b64 exec, exec, vcc
	s_cbranch_execz .LBB956_598
; %bb.597:
	ds_read_b128 v[4:7], v0 offset:384
	v_add3_u32 v0, s25, v1, 12
	v_mad_u64_u32 v[0:1], s[4:5], v0, s4, 0
	v_lshlrev_b64 v[0:1], 1, v[0:1]
	v_add_co_u32_e32 v0, vcc, v2, v0
	v_addc_co_u32_e32 v1, vcc, v3, v1, vcc
	s_waitcnt lgkmcnt(0)
	global_store_dwordx4 v[0:1], v[4:7], off
.LBB956_598:
	s_endpgm
	.section	.rodata,"a",@progbits
	.p2align	6, 0x0
	.amdhsa_kernel _Z39paged_attention_ll4mi_QKV_mfma16_kernelI14__hip_bfloat16hLN4vllm18Fp8KVCacheDataTypeE1ES0_Li32ELi128ELi256ELb0ELi15EL8MFMAType0EEvPKT_PKT0_S9_ifPKiSB_SB_iPKfiiiPfSE_PS4_PT2_iSD_SD_
		.amdhsa_group_segment_fixed_size 8192
		.amdhsa_private_segment_fixed_size 352
		.amdhsa_kernarg_size 400
		.amdhsa_user_sgpr_count 8
		.amdhsa_user_sgpr_private_segment_buffer 1
		.amdhsa_user_sgpr_dispatch_ptr 0
		.amdhsa_user_sgpr_queue_ptr 0
		.amdhsa_user_sgpr_kernarg_segment_ptr 1
		.amdhsa_user_sgpr_dispatch_id 0
		.amdhsa_user_sgpr_flat_scratch_init 1
		.amdhsa_user_sgpr_kernarg_preload_length 0
		.amdhsa_user_sgpr_kernarg_preload_offset 0
		.amdhsa_user_sgpr_private_segment_size 0
		.amdhsa_uses_dynamic_stack 0
		.amdhsa_system_sgpr_private_segment_wavefront_offset 1
		.amdhsa_system_sgpr_workgroup_id_x 1
		.amdhsa_system_sgpr_workgroup_id_y 1
		.amdhsa_system_sgpr_workgroup_id_z 1
		.amdhsa_system_sgpr_workgroup_info 0
		.amdhsa_system_vgpr_workitem_id 0
		.amdhsa_next_free_vgpr 78
		.amdhsa_next_free_sgpr 53
		.amdhsa_accum_offset 80
		.amdhsa_reserve_vcc 1
		.amdhsa_reserve_flat_scratch 0
		.amdhsa_float_round_mode_32 0
		.amdhsa_float_round_mode_16_64 0
		.amdhsa_float_denorm_mode_32 3
		.amdhsa_float_denorm_mode_16_64 3
		.amdhsa_dx10_clamp 1
		.amdhsa_ieee_mode 1
		.amdhsa_fp16_overflow 0
		.amdhsa_tg_split 0
		.amdhsa_exception_fp_ieee_invalid_op 0
		.amdhsa_exception_fp_denorm_src 0
		.amdhsa_exception_fp_ieee_div_zero 0
		.amdhsa_exception_fp_ieee_overflow 0
		.amdhsa_exception_fp_ieee_underflow 0
		.amdhsa_exception_fp_ieee_inexact 0
		.amdhsa_exception_int_div_zero 0
	.end_amdhsa_kernel
	.section	.text._Z39paged_attention_ll4mi_QKV_mfma16_kernelI14__hip_bfloat16hLN4vllm18Fp8KVCacheDataTypeE1ES0_Li32ELi128ELi256ELb0ELi15EL8MFMAType0EEvPKT_PKT0_S9_ifPKiSB_SB_iPKfiiiPfSE_PS4_PT2_iSD_SD_,"axG",@progbits,_Z39paged_attention_ll4mi_QKV_mfma16_kernelI14__hip_bfloat16hLN4vllm18Fp8KVCacheDataTypeE1ES0_Li32ELi128ELi256ELb0ELi15EL8MFMAType0EEvPKT_PKT0_S9_ifPKiSB_SB_iPKfiiiPfSE_PS4_PT2_iSD_SD_,comdat
.Lfunc_end956:
	.size	_Z39paged_attention_ll4mi_QKV_mfma16_kernelI14__hip_bfloat16hLN4vllm18Fp8KVCacheDataTypeE1ES0_Li32ELi128ELi256ELb0ELi15EL8MFMAType0EEvPKT_PKT0_S9_ifPKiSB_SB_iPKfiiiPfSE_PS4_PT2_iSD_SD_, .Lfunc_end956-_Z39paged_attention_ll4mi_QKV_mfma16_kernelI14__hip_bfloat16hLN4vllm18Fp8KVCacheDataTypeE1ES0_Li32ELi128ELi256ELb0ELi15EL8MFMAType0EEvPKT_PKT0_S9_ifPKiSB_SB_iPKfiiiPfSE_PS4_PT2_iSD_SD_
                                        ; -- End function
	.section	.AMDGPU.csdata,"",@progbits
; Kernel info:
; codeLenInByte = 22360
; NumSgprs: 57
; NumVgprs: 78
; NumAgprs: 0
; TotalNumVgprs: 78
; ScratchSize: 352
; MemoryBound: 0
; FloatMode: 240
; IeeeMode: 1
; LDSByteSize: 8192 bytes/workgroup (compile time only)
; SGPRBlocks: 7
; VGPRBlocks: 9
; NumSGPRsForWavesPerEU: 57
; NumVGPRsForWavesPerEU: 78
; AccumOffset: 80
; Occupancy: 6
; WaveLimiterHint : 1
; COMPUTE_PGM_RSRC2:SCRATCH_EN: 1
; COMPUTE_PGM_RSRC2:USER_SGPR: 8
; COMPUTE_PGM_RSRC2:TRAP_HANDLER: 0
; COMPUTE_PGM_RSRC2:TGID_X_EN: 1
; COMPUTE_PGM_RSRC2:TGID_Y_EN: 1
; COMPUTE_PGM_RSRC2:TGID_Z_EN: 1
; COMPUTE_PGM_RSRC2:TIDIG_COMP_CNT: 0
; COMPUTE_PGM_RSRC3_GFX90A:ACCUM_OFFSET: 19
; COMPUTE_PGM_RSRC3_GFX90A:TG_SPLIT: 0
	.section	.text._Z39paged_attention_ll4mi_QKV_mfma16_kernelI14__hip_bfloat16hLN4vllm18Fp8KVCacheDataTypeE1ES0_Li32ELi128ELi256ELb0ELi16EL8MFMAType0EEvPKT_PKT0_S9_ifPKiSB_SB_iPKfiiiPfSE_PS4_PT2_iSD_SD_,"axG",@progbits,_Z39paged_attention_ll4mi_QKV_mfma16_kernelI14__hip_bfloat16hLN4vllm18Fp8KVCacheDataTypeE1ES0_Li32ELi128ELi256ELb0ELi16EL8MFMAType0EEvPKT_PKT0_S9_ifPKiSB_SB_iPKfiiiPfSE_PS4_PT2_iSD_SD_,comdat
	.protected	_Z39paged_attention_ll4mi_QKV_mfma16_kernelI14__hip_bfloat16hLN4vllm18Fp8KVCacheDataTypeE1ES0_Li32ELi128ELi256ELb0ELi16EL8MFMAType0EEvPKT_PKT0_S9_ifPKiSB_SB_iPKfiiiPfSE_PS4_PT2_iSD_SD_ ; -- Begin function _Z39paged_attention_ll4mi_QKV_mfma16_kernelI14__hip_bfloat16hLN4vllm18Fp8KVCacheDataTypeE1ES0_Li32ELi128ELi256ELb0ELi16EL8MFMAType0EEvPKT_PKT0_S9_ifPKiSB_SB_iPKfiiiPfSE_PS4_PT2_iSD_SD_
	.globl	_Z39paged_attention_ll4mi_QKV_mfma16_kernelI14__hip_bfloat16hLN4vllm18Fp8KVCacheDataTypeE1ES0_Li32ELi128ELi256ELb0ELi16EL8MFMAType0EEvPKT_PKT0_S9_ifPKiSB_SB_iPKfiiiPfSE_PS4_PT2_iSD_SD_
	.p2align	8
	.type	_Z39paged_attention_ll4mi_QKV_mfma16_kernelI14__hip_bfloat16hLN4vllm18Fp8KVCacheDataTypeE1ES0_Li32ELi128ELi256ELb0ELi16EL8MFMAType0EEvPKT_PKT0_S9_ifPKiSB_SB_iPKfiiiPfSE_PS4_PT2_iSD_SD_,@function
_Z39paged_attention_ll4mi_QKV_mfma16_kernelI14__hip_bfloat16hLN4vllm18Fp8KVCacheDataTypeE1ES0_Li32ELi128ELi256ELb0ELi16EL8MFMAType0EEvPKT_PKT0_S9_ifPKiSB_SB_iPKfiiiPfSE_PS4_PT2_iSD_SD_: ; @_Z39paged_attention_ll4mi_QKV_mfma16_kernelI14__hip_bfloat16hLN4vllm18Fp8KVCacheDataTypeE1ES0_Li32ELi128ELi256ELb0ELi16EL8MFMAType0EEvPKT_PKT0_S9_ifPKiSB_SB_iPKfiiiPfSE_PS4_PT2_iSD_SD_
; %bb.0:
	s_load_dwordx2 s[6:7], s[4:5], 0x30
	s_add_u32 s0, s0, s11
	s_addc_u32 s1, s1, 0
	s_mov_b32 s24, s9
	s_mov_b64 s[12:13], 0
	s_waitcnt lgkmcnt(0)
	s_cmp_lg_u64 s[6:7], 0
	s_cselect_b64 s[16:17], -1, 0
	s_and_b64 vcc, exec, s[16:17]
	s_cbranch_vccz .LBB957_7
; %bb.1:
	s_add_i32 s14, s8, 1
	s_mov_b32 s15, 0
	s_lshl_b64 s[18:19], s[14:15], 2
	s_add_u32 s18, s6, s18
	s_mov_b32 s9, s15
	s_addc_u32 s19, s7, s19
	s_lshl_b64 s[14:15], s[8:9], 2
	s_add_u32 s14, s6, s14
	s_addc_u32 s15, s7, s15
	s_load_dword s11, s[18:19], 0x0
	s_load_dword s20, s[14:15], 0x0
	s_waitcnt lgkmcnt(0)
	s_sub_i32 s11, s11, s20
	s_cmp_eq_u32 s11, 1
	s_cselect_b64 s[14:15], -1, 0
	s_andn2_b64 vcc, exec, s[12:13]
	s_cbranch_vccnz .LBB957_3
.LBB957_2:
	s_mov_b32 s9, 0
	s_mov_b64 s[14:15], -1
.LBB957_3:
	s_andn2_b64 vcc, exec, s[14:15]
	s_cbranch_vccnz .LBB957_597
; %bb.4:
	s_load_dwordx2 s[12:13], s[4:5], 0x28
	s_lshl_b64 s[18:19], s[8:9], 2
	s_waitcnt lgkmcnt(0)
	s_add_u32 s12, s12, s18
	s_addc_u32 s13, s13, s19
	s_load_dword s33, s[12:13], 0x0
	s_lshl_b32 s20, s24, 8
	s_waitcnt lgkmcnt(0)
	s_cmp_ge_i32 s20, s33
	s_cbranch_scc1 .LBB957_597
; %bb.5:
	s_add_i32 s14, s33, 31
	s_load_dwordx2 s[12:13], s[4:5], 0x20
	s_load_dword s11, s[4:5], 0x38
	s_ashr_i32 s15, s14, 31
	v_and_b32_e32 v1, 0xcf, v0
	s_lshr_b32 s15, s15, 27
	v_add_u32_e32 v1, s20, v1
	s_add_i32 s14, s14, s15
	v_ashrrev_i32_e32 v2, 31, v1
	s_ashr_i32 s22, s14, 5
	v_lshrrev_b32_e32 v10, 27, v2
	s_add_i32 s22, s22, -1
	v_add_u32_e32 v2, v1, v10
	s_waitcnt lgkmcnt(0)
	s_mul_i32 s14, s8, s11
	s_mov_b32 s15, 0
	v_ashrrev_i32_e32 v2, 5, v2
	v_mov_b32_e32 v11, s22
	v_cmp_gt_i32_e32 vcc, s33, v1
	s_lshl_b64 s[14:15], s[14:15], 2
	v_cndmask_b32_e32 v2, v11, v2, vcc
	s_add_u32 s11, s12, s14
	v_ashrrev_i32_e32 v3, 31, v2
	s_addc_u32 s21, s13, s15
	v_lshlrev_b64 v[2:3], 2, v[2:3]
	v_mov_b32_e32 v5, s21
	v_add_co_u32_e32 v4, vcc, s11, v2
	v_or_b32_e32 v2, 16, v1
	v_addc_co_u32_e32 v5, vcc, v5, v3, vcc
	v_add_u32_e32 v3, v2, v10
	v_ashrrev_i32_e32 v3, 5, v3
	v_cmp_gt_i32_e32 vcc, s33, v2
	v_cndmask_b32_e32 v2, v11, v3, vcc
	v_ashrrev_i32_e32 v3, 31, v2
	v_lshlrev_b64 v[2:3], 2, v[2:3]
	v_mov_b32_e32 v7, s21
	v_add_co_u32_e32 v6, vcc, s11, v2
	v_or_b32_e32 v2, 32, v1
	v_addc_co_u32_e32 v7, vcc, v7, v3, vcc
	v_add_u32_e32 v3, v2, v10
	v_ashrrev_i32_e32 v3, 5, v3
	v_cmp_gt_i32_e32 vcc, s33, v2
	v_cndmask_b32_e32 v2, v11, v3, vcc
	v_ashrrev_i32_e32 v3, 31, v2
	;; [unrolled: 10-line block ×3, first 2 shown]
	v_lshlrev_b64 v[2:3], 2, v[2:3]
	v_mov_b32_e32 v1, s21
	v_add_co_u32_e32 v12, vcc, s11, v2
	v_addc_co_u32_e32 v13, vcc, v1, v3, vcc
	global_load_dword v2, v[4:5], off
	global_load_dword v10, v[6:7], off
	;; [unrolled: 1-line block ×4, first 2 shown]
	s_load_dwordx4 s[12:15], s[4:5], 0x8
	s_andn2_b64 vcc, exec, s[16:17]
	s_cbranch_vccnz .LBB957_8
; %bb.6:
	s_add_u32 s6, s6, s18
	s_addc_u32 s7, s7, s19
	s_load_dword s16, s[6:7], 0x0
	s_branch .LBB957_9
.LBB957_7:
	s_mov_b64 s[14:15], 0
	s_branch .LBB957_2
.LBB957_8:
	s_mov_b32 s16, s8
.LBB957_9:
	s_load_dwordx2 s[48:49], s[4:5], 0x68
	s_load_dwordx8 s[40:47], s[4:5], 0x48
	v_and_b32_e32 v51, 15, v0
	v_lshlrev_b32_e32 v3, 3, v51
	s_movk_i32 s6, 0x100
	v_lshrrev_b32_e32 v60, 6, v0
	v_bfe_u32 v1, v0, 4, 2
	s_lshl_b32 s25, s10, 4
	v_cmp_gt_u32_e32 vcc, s6, v0
	v_lshlrev_b32_e32 v50, 1, v3
	v_lshlrev_b32_e32 v52, 4, v0
	s_and_saveexec_b64 s[6:7], vcc
	s_cbranch_execz .LBB957_11
; %bb.10:
	s_load_dwordx2 s[18:19], s[4:5], 0x0
	s_waitcnt lgkmcnt(0)
	s_ashr_i32 s17, s40, 31
	s_mul_hi_u32 s23, s16, s40
	s_mul_i32 s17, s16, s17
	v_lshl_or_b32 v3, v60, 2, v1
	s_add_i32 s17, s23, s17
	s_mul_i32 s16, s16, s40
	s_lshl_b64 s[16:17], s[16:17], 1
	v_add_lshl_u32 v4, v3, s25, 7
	s_add_u32 s16, s18, s16
	v_ashrrev_i32_e32 v5, 31, v4
	s_addc_u32 s17, s19, s17
	v_lshlrev_b64 v[4:5], 1, v[4:5]
	v_mov_b32_e32 v6, s17
	v_add_co_u32_e32 v4, vcc, s16, v4
	v_addc_co_u32_e32 v5, vcc, v6, v5, vcc
	v_add_co_u32_e32 v4, vcc, v4, v50
	v_addc_co_u32_e32 v5, vcc, 0, v5, vcc
	global_load_dwordx4 v[4:7], v[4:5], off
	v_lshlrev_b32_e32 v9, 8, v0
	v_lshlrev_b32_e32 v8, 8, v51
	v_and_b32_e32 v9, 0x600, v9
	s_movk_i32 s16, 0x800
	v_and_or_b32 v8, v8, s16, v9
	v_lshlrev_b32_e32 v3, 5, v3
	v_and_b32_e32 v9, 16, v52
	v_or3_b32 v3, v8, v3, v9
	s_waitcnt vmcnt(0)
	ds_write_b128 v3, v[4:7]
.LBB957_11:
	s_or_b64 exec, exec, s[6:7]
	s_waitcnt lgkmcnt(0)
	s_mul_i32 s10, s10, s42
	s_add_u32 s6, s12, s10
	s_addc_u32 s7, s13, 0
	v_and_b32_e32 v3, 48, v0
	s_ashr_i32 s12, s20, 31
	v_or_b32_e32 v11, s20, v3
	s_lshr_b32 s12, s12, 27
	v_add_u32_e32 v4, s12, v11
	v_ashrrev_i32_e32 v4, 5, v4
	v_mov_b32_e32 v12, s22
	v_cmp_gt_i32_e32 vcc, s33, v11
	v_cndmask_b32_e32 v4, v12, v4, vcc
	v_ashrrev_i32_e32 v5, 31, v4
	v_lshlrev_b64 v[4:5], 2, v[4:5]
	v_mov_b32_e32 v6, s21
	v_add_co_u32_e32 v4, vcc, s11, v4
	v_addc_co_u32_e32 v5, vcc, v6, v5, vcc
	v_or_b32_e32 v6, 64, v11
	v_add_u32_e32 v7, s12, v6
	v_ashrrev_i32_e32 v7, 5, v7
	v_cmp_gt_i32_e32 vcc, s33, v6
	v_cndmask_b32_e32 v6, v12, v7, vcc
	v_ashrrev_i32_e32 v7, 31, v6
	v_lshlrev_b64 v[6:7], 2, v[6:7]
	v_mov_b32_e32 v8, s21
	v_add_co_u32_e32 v6, vcc, s11, v6
	v_addc_co_u32_e32 v7, vcc, v8, v7, vcc
	v_or_b32_e32 v8, 0x80, v11
	v_add_u32_e32 v9, s12, v8
	v_ashrrev_i32_e32 v9, 5, v9
	v_cmp_gt_i32_e32 vcc, s33, v8
	v_cndmask_b32_e32 v8, v12, v9, vcc
	v_ashrrev_i32_e32 v9, 31, v8
	v_lshlrev_b64 v[8:9], 2, v[8:9]
	v_mov_b32_e32 v13, s21
	v_add_co_u32_e32 v8, vcc, s11, v8
	s_load_dwordx2 s[50:51], s[4:5], 0x94
	s_waitcnt lgkmcnt(0)
	s_barrier
	v_addc_co_u32_e32 v9, vcc, v13, v9, vcc
	global_load_dword v53, v[4:5], off
	global_load_dword v58, v[6:7], off
	;; [unrolled: 1-line block ×3, first 2 shown]
	v_or_b32_e32 v4, 0xc0, v11
	v_add_u32_e32 v5, s12, v4
	v_ashrrev_i32_e32 v5, 5, v5
	v_cmp_gt_i32_e32 vcc, s33, v4
	v_cndmask_b32_e32 v4, v12, v5, vcc
	v_ashrrev_i32_e32 v5, 31, v4
	v_lshlrev_b64 v[4:5], 2, v[4:5]
	v_mov_b32_e32 v6, s21
	v_add_co_u32_e32 v4, vcc, s11, v4
	v_addc_co_u32_e32 v5, vcc, v6, v5, vcc
	global_load_dword v62, v[4:5], off
	v_pk_mov_b32 v[24:25], s[6:7], s[6:7] op_sel:[0,1]
	v_lshlrev_b32_e32 v28, 5, v3
	s_waitcnt vmcnt(7)
	v_mad_i64_i32 v[2:3], s[6:7], v2, s41, v[24:25]
	v_lshlrev_b32_e32 v23, 4, v51
	v_add_co_u32_e32 v2, vcc, v2, v23
	v_addc_co_u32_e32 v3, vcc, 0, v3, vcc
	v_add_co_u32_e32 v12, vcc, v2, v28
	v_addc_co_u32_e32 v13, vcc, 0, v3, vcc
	s_waitcnt vmcnt(6)
	v_mad_i64_i32 v[10:11], s[6:7], v10, s41, v[24:25]
	v_or_b32_e32 v29, 0x100, v23
	v_add_co_u32_e32 v10, vcc, v10, v29
	v_addc_co_u32_e32 v11, vcc, 0, v11, vcc
	v_add_co_u32_e32 v20, vcc, v10, v28
	v_addc_co_u32_e32 v21, vcc, 0, v11, vcc
	s_waitcnt vmcnt(5)
	v_mad_i64_i32 v[18:19], s[6:7], v18, s41, v[24:25]
	v_add_co_u32_e32 v18, vcc, v18, v23
	v_addc_co_u32_e32 v19, vcc, 0, v19, vcc
	v_add_co_u32_e32 v26, vcc, v18, v28
	v_addc_co_u32_e32 v27, vcc, 0, v19, vcc
	s_waitcnt vmcnt(4)
	v_mad_i64_i32 v[22:23], s[6:7], v22, s41, v[24:25]
	v_add_co_u32_e32 v22, vcc, v22, v29
	v_addc_co_u32_e32 v23, vcc, 0, v23, vcc
	v_add_co_u32_e32 v30, vcc, v22, v28
	v_addc_co_u32_e32 v31, vcc, 0, v23, vcc
	s_add_u32 s6, s14, s10
	global_load_dwordx4 v[6:9], v[12:13], off
	global_load_dwordx4 v[2:5], v[12:13], off offset:2048
	s_nop 0
	global_load_dwordx4 v[10:13], v[20:21], off
	global_load_dwordx4 v[14:17], v[20:21], off offset:2048
	global_load_dwordx4 v[34:37], v[26:27], off
	s_nop 0
	global_load_dwordx4 v[18:21], v[26:27], off offset:2048
	s_nop 0
	global_load_dwordx4 v[26:29], v[30:31], off
	global_load_dwordx4 v[22:25], v[30:31], off offset:2048
	s_addc_u32 s7, s15, 0
	v_and_b32_e32 v30, 16, v0
	v_mov_b32_e32 v31, s7
	v_add_co_u32_e32 v54, vcc, s6, v30
	v_lshl_or_b32 v61, v60, 4, v51
	v_addc_co_u32_e32 v55, vcc, 0, v31, vcc
	v_lshlrev_b32_e32 v56, 5, v61
	v_add_co_u32_e32 v42, vcc, v54, v56
	v_addc_co_u32_e32 v43, vcc, 0, v55, vcc
	v_or_b32_e32 v56, 0x800, v56
	v_add_co_u32_e32 v54, vcc, v54, v56
	s_waitcnt vmcnt(11)
	v_mad_i64_i32 v[30:31], s[6:7], v53, s41, v[42:43]
	s_waitcnt vmcnt(10)
	v_mad_i64_i32 v[38:39], s[6:7], v58, s41, v[42:43]
	;; [unrolled: 2-line block ×3, first 2 shown]
	global_load_dwordx4 v[30:33], v[30:31], off
	v_addc_co_u32_e32 v55, vcc, 0, v55, vcc
	global_load_dwordx4 v[38:41], v[38:39], off
	v_mad_i64_i32 v[56:57], s[6:7], v53, s41, v[54:55]
	s_mov_b32 s12, 0
	s_movk_i32 s13, 0x80
	s_waitcnt vmcnt(10)
	v_mad_i64_i32 v[42:43], s[6:7], v62, s41, v[42:43]
	global_load_dwordx4 v[46:49], v[44:45], off
	s_nop 0
	global_load_dwordx4 v[42:45], v[42:43], off
	s_movk_i32 s14, 0x7f
	global_load_dwordx4 v[64:67], v[56:57], off
	v_mad_i64_i32 v[56:57], s[6:7], v58, s41, v[54:55]
	global_load_dwordx4 v[68:71], v[56:57], off
	v_mad_i64_i32 v[56:57], s[6:7], v59, s41, v[54:55]
	v_mad_i64_i32 v[54:55], s[6:7], v62, s41, v[54:55]
	global_load_dwordx4 v[72:75], v[56:57], off
	global_load_dwordx4 v[76:79], v[54:55], off
	s_waitcnt vmcnt(15)
	buffer_store_dword v9, off, s[0:3], 0 offset:12
	buffer_store_dword v8, off, s[0:3], 0 offset:8
	;; [unrolled: 1-line block ×3, first 2 shown]
	buffer_store_dword v6, off, s[0:3], 0
	s_waitcnt vmcnt(18)
	buffer_store_dword v5, off, s[0:3], 0 offset:28
	buffer_store_dword v4, off, s[0:3], 0 offset:24
	;; [unrolled: 1-line block ×4, first 2 shown]
	s_waitcnt vmcnt(21)
	buffer_store_dword v13, off, s[0:3], 0 offset:44
	buffer_store_dword v12, off, s[0:3], 0 offset:40
	;; [unrolled: 1-line block ×4, first 2 shown]
	s_load_dword s6, s[4:5], 0x1c
	s_load_dwordx4 s[40:43], s[4:5], 0x80
	s_waitcnt vmcnt(24)
	buffer_store_dword v17, off, s[0:3], 0 offset:60
	buffer_store_dword v16, off, s[0:3], 0 offset:56
	buffer_store_dword v15, off, s[0:3], 0 offset:52
	buffer_store_dword v14, off, s[0:3], 0 offset:48
	s_waitcnt vmcnt(27)
	buffer_store_dword v37, off, s[0:3], 0 offset:76
	buffer_store_dword v36, off, s[0:3], 0 offset:72
	;; [unrolled: 1-line block ×4, first 2 shown]
	v_lshlrev_b32_e32 v36, 5, v51
	v_mov_b32_e32 v2, 0x80
	v_lshl_or_b32 v35, v1, 9, v36
	v_add_u32_e32 v53, 16, v2
	v_add_u32_e32 v59, 32, v2
	;; [unrolled: 1-line block ×7, first 2 shown]
	ds_read_b128 v[2:5], v35
	ds_read_b128 v[6:9], v35 offset:16
	ds_read_b128 v[10:13], v35 offset:2048
	;; [unrolled: 1-line block ×3, first 2 shown]
	s_waitcnt vmcnt(30)
	buffer_store_dword v21, off, s[0:3], 0 offset:92
	buffer_store_dword v20, off, s[0:3], 0 offset:88
	buffer_store_dword v19, off, s[0:3], 0 offset:84
	buffer_store_dword v18, off, s[0:3], 0 offset:80
	s_waitcnt vmcnt(33)
	buffer_store_dword v29, off, s[0:3], 0 offset:108
	buffer_store_dword v28, off, s[0:3], 0 offset:104
	buffer_store_dword v27, off, s[0:3], 0 offset:100
	buffer_store_dword v26, off, s[0:3], 0 offset:96
	;; [unrolled: 5-line block ×10, first 2 shown]
	s_waitcnt vmcnt(60)
	buffer_store_dword v79, off, s[0:3], 0 offset:252
	s_waitcnt lgkmcnt(0)
	s_load_dword s4, s[40:41], 0x0
	v_mov_b32_e32 v18, s6
	v_and_b32_e32 v62, 63, v0
	v_mov_b32_e32 v27, 0
	s_mov_b32 s15, 0xffffff
	s_waitcnt lgkmcnt(0)
	v_mul_f32_e32 v22, s4, v18
	v_mov_b32_e32 v24, v22
	v_mov_b32_e32 v25, v22
	s_mov_b32 s16, 0x5040100
	v_mov_b32_e32 v29, 0x100
	v_mov_b32_e32 v31, 0
	v_bfrev_b32_e32 v33, 60
	buffer_store_dword v78, off, s[0:3], 0 offset:248
	buffer_store_dword v77, off, s[0:3], 0 offset:244
	;; [unrolled: 1-line block ×3, first 2 shown]
	s_branch .LBB957_15
.LBB957_12:                             ;   in Loop: Header=BB957_15 Depth=1
	s_or_b64 exec, exec, s[10:11]
.LBB957_13:                             ;   in Loop: Header=BB957_15 Depth=1
	s_or_b64 exec, exec, s[6:7]
.LBB957_14:                             ;   in Loop: Header=BB957_15 Depth=1
	s_or_b64 exec, exec, s[4:5]
	v_perm_b32 v43, v38, v32, s16
	v_perm_b32 v42, v23, v34, s16
	;; [unrolled: 1-line block ×4, first 2 shown]
	v_add_u32_e32 v26, s12, v29
	v_mfma_f32_16x16x16bf16_1k v[18:21], v[42:43], v[14:15], v[18:21]
	s_add_i32 s12, s12, 16
	v_mov_b32_e32 v23, v22
	s_cmp_eq_u32 s12, 64
	v_add_u32_e32 v27, 32, v27
	v_mfma_f32_16x16x16bf16_1k v[18:21], v[38:39], v[16:17], v[18:21]
	s_nop 7
	s_nop 2
	v_pk_mul_f32 v[18:19], v[24:25], v[18:19]
	v_pk_mul_f32 v[20:21], v[22:23], v[20:21]
	buffer_store_dword v19, v26, s[0:3], 0 offen offset:4
	buffer_store_dword v18, v26, s[0:3], 0 offen
	buffer_store_dword v21, v26, s[0:3], 0 offen offset:12
	buffer_store_dword v20, v26, s[0:3], 0 offen offset:8
	s_cbranch_scc1 .LBB957_205
.LBB957_15:                             ; =>This Inner Loop Header: Depth=1
	buffer_load_dword v20, v27, s[0:3], 0 offen
	buffer_load_dword v18, v27, s[0:3], 0 offen offset:4
	buffer_load_dword v28, v27, s[0:3], 0 offen offset:8
	;; [unrolled: 1-line block ×3, first 2 shown]
	v_mov_b32_e32 v19, 0
	s_waitcnt vmcnt(3)
	v_cmp_ne_u16_sdwa s[6:7], v20, v31 src0_sel:BYTE_0 src1_sel:DWORD
	s_and_saveexec_b64 s[4:5], s[6:7]
	s_cbranch_execz .LBB957_21
; %bb.16:                               ;   in Loop: Header=BB957_15 Depth=1
	v_cmp_ne_u16_sdwa s[10:11], v20, s13 src0_sel:BYTE_0 src1_sel:DWORD
	v_mov_b32_e32 v19, 0xffff8000
	s_and_saveexec_b64 s[6:7], s[10:11]
	s_cbranch_execz .LBB957_20
; %bb.17:                               ;   in Loop: Header=BB957_15 Depth=1
	v_and_b32_e32 v21, 0x7f, v20
	v_cmp_ne_u32_e32 vcc, s14, v21
	v_mov_b32_e32 v19, 0x7f80
	s_and_saveexec_b64 s[10:11], vcc
	s_cbranch_execz .LBB957_19
; %bb.18:                               ;   in Loop: Header=BB957_15 Depth=1
	v_and_b32_e32 v19, 7, v20
	v_ffbh_u32_e32 v30, v19
	v_min_u32_e32 v30, 32, v30
	v_subrev_u32_e32 v32, 28, v30
	v_lshlrev_b64 v[38:39], v32, v[20:21]
	v_lshrrev_b32_e32 v23, 3, v21
	v_sub_u32_e32 v30, 29, v30
	v_and_b32_e32 v32, 7, v38
	v_cmp_gt_u32_e32 vcc, 8, v21
	v_cndmask_b32_e32 v21, v23, v30, vcc
	v_cndmask_b32_e32 v19, v19, v32, vcc
	v_lshlrev_b32_e32 v23, 24, v20
	v_lshlrev_b32_e32 v19, 20, v19
	v_and_b32_e32 v23, 0x80000000, v23
	v_lshl_add_u32 v21, v21, 23, v33
	v_or3_b32 v19, v23, v21, v19
	v_lshrrev_b32_e32 v19, 16, v19
.LBB957_19:                             ;   in Loop: Header=BB957_15 Depth=1
	s_or_b64 exec, exec, s[10:11]
.LBB957_20:                             ;   in Loop: Header=BB957_15 Depth=1
	s_or_b64 exec, exec, s[6:7]
.LBB957_21:                             ;   in Loop: Header=BB957_15 Depth=1
	s_or_b64 exec, exec, s[4:5]
	v_lshrrev_b16_e32 v30, 8, v20
	v_cmp_ne_u16_e32 vcc, 0, v30
	v_mov_b32_e32 v23, 0
	v_mov_b32_e32 v21, 0
	s_and_saveexec_b64 s[4:5], vcc
	s_cbranch_execz .LBB957_27
; %bb.22:                               ;   in Loop: Header=BB957_15 Depth=1
	v_cmp_ne_u16_e32 vcc, s13, v30
	v_mov_b32_e32 v21, 0xffff8000
	s_and_saveexec_b64 s[6:7], vcc
	s_cbranch_execz .LBB957_26
; %bb.23:                               ;   in Loop: Header=BB957_15 Depth=1
	v_and_b32_e32 v32, 0x7f, v30
	v_cmp_ne_u32_e32 vcc, s14, v32
	v_mov_b32_e32 v21, 0x7f80
	s_and_saveexec_b64 s[10:11], vcc
	s_cbranch_execz .LBB957_25
; %bb.24:                               ;   in Loop: Header=BB957_15 Depth=1
	v_and_b32_e32 v21, 7, v30
	v_ffbh_u32_e32 v37, v21
	v_min_u32_e32 v37, 32, v37
	v_subrev_u32_e32 v38, 28, v37
	v_lshlrev_b64 v[38:39], v38, v[30:31]
	v_lshrrev_b32_e32 v34, 3, v32
	v_sub_u32_e32 v30, 29, v37
	v_and_b32_e32 v37, 7, v38
	v_cmp_gt_u32_e32 vcc, 8, v32
	v_cndmask_b32_e32 v30, v34, v30, vcc
	v_cndmask_b32_e32 v21, v21, v37, vcc
	v_lshlrev_b32_e32 v32, 16, v20
	v_lshlrev_b32_e32 v21, 20, v21
	v_and_b32_e32 v32, 0x80000000, v32
	v_lshl_add_u32 v30, v30, 23, v33
	v_or3_b32 v21, v32, v30, v21
	v_lshrrev_b32_e32 v21, 16, v21
.LBB957_25:                             ;   in Loop: Header=BB957_15 Depth=1
	s_or_b64 exec, exec, s[10:11]
.LBB957_26:                             ;   in Loop: Header=BB957_15 Depth=1
	s_or_b64 exec, exec, s[6:7]
.LBB957_27:                             ;   in Loop: Header=BB957_15 Depth=1
	s_or_b64 exec, exec, s[4:5]
	v_lshrrev_b32_e32 v30, 16, v20
	v_cmp_ne_u16_sdwa s[6:7], v30, v31 src0_sel:BYTE_0 src1_sel:DWORD
	s_and_saveexec_b64 s[4:5], s[6:7]
	s_cbranch_execz .LBB957_33
; %bb.28:                               ;   in Loop: Header=BB957_15 Depth=1
	v_cmp_ne_u16_sdwa s[10:11], v30, s13 src0_sel:BYTE_0 src1_sel:DWORD
	v_mov_b32_e32 v23, 0xffff8000
	s_and_saveexec_b64 s[6:7], s[10:11]
	s_cbranch_execz .LBB957_32
; %bb.29:                               ;   in Loop: Header=BB957_15 Depth=1
	v_bfe_u32 v32, v20, 16, 7
	v_cmp_ne_u32_e32 vcc, s14, v32
	v_mov_b32_e32 v23, 0x7f80
	s_and_saveexec_b64 s[10:11], vcc
	s_cbranch_execz .LBB957_31
; %bb.30:                               ;   in Loop: Header=BB957_15 Depth=1
	v_and_b32_e32 v23, 7, v30
	v_ffbh_u32_e32 v37, v23
	v_min_u32_e32 v37, 32, v37
	v_subrev_u32_e32 v38, 28, v37
	v_lshlrev_b64 v[38:39], v38, v[30:31]
	v_lshrrev_b32_e32 v34, 3, v32
	v_sub_u32_e32 v37, 29, v37
	v_and_b32_e32 v38, 7, v38
	v_cmp_gt_u32_e32 vcc, 8, v32
	v_cndmask_b32_e32 v32, v34, v37, vcc
	v_cndmask_b32_e32 v23, v23, v38, vcc
	v_lshlrev_b32_e32 v30, 24, v30
	v_lshlrev_b32_e32 v23, 20, v23
	v_and_b32_e32 v30, 0x80000000, v30
	v_lshl_add_u32 v32, v32, 23, v33
	v_or3_b32 v23, v30, v32, v23
	v_lshrrev_b32_e32 v23, 16, v23
.LBB957_31:                             ;   in Loop: Header=BB957_15 Depth=1
	s_or_b64 exec, exec, s[10:11]
.LBB957_32:                             ;   in Loop: Header=BB957_15 Depth=1
	s_or_b64 exec, exec, s[6:7]
.LBB957_33:                             ;   in Loop: Header=BB957_15 Depth=1
	s_or_b64 exec, exec, s[4:5]
	v_cmp_lt_u32_e32 vcc, s15, v20
	v_mov_b32_e32 v34, 0
	v_mov_b32_e32 v37, 0
	s_and_saveexec_b64 s[4:5], vcc
	s_cbranch_execz .LBB957_39
; %bb.34:                               ;   in Loop: Header=BB957_15 Depth=1
	v_lshrrev_b32_e32 v30, 24, v20
	v_cmp_ne_u32_e32 vcc, s13, v30
	v_mov_b32_e32 v37, 0xffff8000
	s_and_saveexec_b64 s[6:7], vcc
	s_cbranch_execz .LBB957_38
; %bb.35:                               ;   in Loop: Header=BB957_15 Depth=1
	v_bfe_u32 v20, v20, 24, 7
	v_cmp_ne_u32_e32 vcc, s14, v20
	v_mov_b32_e32 v37, 0x7f80
	s_and_saveexec_b64 s[10:11], vcc
	s_cbranch_execz .LBB957_37
; %bb.36:                               ;   in Loop: Header=BB957_15 Depth=1
	v_and_b32_e32 v32, 7, v30
	v_ffbh_u32_e32 v38, v32
	v_min_u32_e32 v40, 32, v38
	v_subrev_u32_e32 v38, 28, v40
	v_lshlrev_b64 v[38:39], v38, v[30:31]
	v_lshrrev_b32_e32 v37, 3, v20
	v_sub_u32_e32 v39, 29, v40
	v_and_b32_e32 v38, 7, v38
	v_cmp_gt_u32_e32 vcc, 8, v20
	v_cndmask_b32_e32 v20, v37, v39, vcc
	v_cndmask_b32_e32 v32, v32, v38, vcc
	v_lshlrev_b32_e32 v30, 24, v30
	v_lshlrev_b32_e32 v32, 20, v32
	v_and_b32_e32 v30, 0x80000000, v30
	v_lshl_add_u32 v20, v20, 23, v33
	v_or3_b32 v20, v30, v20, v32
	v_lshrrev_b32_e32 v37, 16, v20
.LBB957_37:                             ;   in Loop: Header=BB957_15 Depth=1
	s_or_b64 exec, exec, s[10:11]
.LBB957_38:                             ;   in Loop: Header=BB957_15 Depth=1
	s_or_b64 exec, exec, s[6:7]
.LBB957_39:                             ;   in Loop: Header=BB957_15 Depth=1
	s_or_b64 exec, exec, s[4:5]
	s_waitcnt vmcnt(2)
	v_cmp_ne_u16_sdwa s[6:7], v18, v31 src0_sel:BYTE_0 src1_sel:DWORD
	s_and_saveexec_b64 s[4:5], s[6:7]
	s_cbranch_execz .LBB957_45
; %bb.40:                               ;   in Loop: Header=BB957_15 Depth=1
	v_cmp_ne_u16_sdwa s[10:11], v18, s13 src0_sel:BYTE_0 src1_sel:DWORD
	v_mov_b32_e32 v34, 0xffff8000
	s_and_saveexec_b64 s[6:7], s[10:11]
	s_cbranch_execz .LBB957_44
; %bb.41:                               ;   in Loop: Header=BB957_15 Depth=1
	v_and_b32_e32 v20, 0x7f, v18
	v_cmp_ne_u32_e32 vcc, s14, v20
	v_mov_b32_e32 v34, 0x7f80
	s_and_saveexec_b64 s[10:11], vcc
	s_cbranch_execz .LBB957_43
; %bb.42:                               ;   in Loop: Header=BB957_15 Depth=1
	v_and_b32_e32 v30, 7, v18
	v_ffbh_u32_e32 v34, v30
	v_min_u32_e32 v34, 32, v34
	v_subrev_u32_e32 v38, 28, v34
	v_lshlrev_b64 v[38:39], v38, v[18:19]
	v_lshrrev_b32_e32 v32, 3, v20
	v_sub_u32_e32 v34, 29, v34
	v_and_b32_e32 v38, 7, v38
	v_cmp_gt_u32_e32 vcc, 8, v20
	v_cndmask_b32_e32 v20, v32, v34, vcc
	v_cndmask_b32_e32 v30, v30, v38, vcc
	v_lshlrev_b32_e32 v32, 24, v18
	v_lshlrev_b32_e32 v30, 20, v30
	v_and_b32_e32 v32, 0x80000000, v32
	v_lshl_add_u32 v20, v20, 23, v33
	v_or3_b32 v20, v32, v20, v30
	v_lshrrev_b32_e32 v34, 16, v20
.LBB957_43:                             ;   in Loop: Header=BB957_15 Depth=1
	s_or_b64 exec, exec, s[10:11]
.LBB957_44:                             ;   in Loop: Header=BB957_15 Depth=1
	s_or_b64 exec, exec, s[6:7]
.LBB957_45:                             ;   in Loop: Header=BB957_15 Depth=1
	s_or_b64 exec, exec, s[4:5]
	v_lshrrev_b16_e32 v20, 8, v18
	v_cmp_ne_u16_e32 vcc, 0, v20
	v_mov_b32_e32 v38, 0
	v_mov_b32_e32 v30, 0
	s_and_saveexec_b64 s[4:5], vcc
	s_cbranch_execz .LBB957_51
; %bb.46:                               ;   in Loop: Header=BB957_15 Depth=1
	v_cmp_ne_u16_e32 vcc, s13, v20
	v_mov_b32_e32 v30, 0xffff8000
	s_and_saveexec_b64 s[6:7], vcc
	s_cbranch_execz .LBB957_50
; %bb.47:                               ;   in Loop: Header=BB957_15 Depth=1
	v_and_b32_e32 v32, 0x7f, v20
	v_cmp_ne_u32_e32 vcc, s14, v32
	v_mov_b32_e32 v30, 0x7f80
	s_and_saveexec_b64 s[10:11], vcc
	s_cbranch_execz .LBB957_49
; %bb.48:                               ;   in Loop: Header=BB957_15 Depth=1
	v_and_b32_e32 v30, 7, v20
	v_ffbh_u32_e32 v40, v30
	v_min_u32_e32 v42, 32, v40
	v_subrev_u32_e32 v40, 28, v42
	v_lshlrev_b64 v[40:41], v40, v[20:21]
	v_lshrrev_b32_e32 v39, 3, v32
	v_sub_u32_e32 v20, 29, v42
	v_and_b32_e32 v40, 7, v40
	v_cmp_gt_u32_e32 vcc, 8, v32
	v_cndmask_b32_e32 v20, v39, v20, vcc
	v_cndmask_b32_e32 v30, v30, v40, vcc
	v_lshlrev_b32_e32 v32, 16, v18
	v_lshlrev_b32_e32 v30, 20, v30
	v_and_b32_e32 v32, 0x80000000, v32
	v_lshl_add_u32 v20, v20, 23, v33
	v_or3_b32 v20, v32, v20, v30
	v_lshrrev_b32_e32 v30, 16, v20
.LBB957_49:                             ;   in Loop: Header=BB957_15 Depth=1
	s_or_b64 exec, exec, s[10:11]
.LBB957_50:                             ;   in Loop: Header=BB957_15 Depth=1
	s_or_b64 exec, exec, s[6:7]
.LBB957_51:                             ;   in Loop: Header=BB957_15 Depth=1
	s_or_b64 exec, exec, s[4:5]
	v_lshrrev_b32_e32 v20, 16, v18
	v_cmp_ne_u16_sdwa s[6:7], v20, v31 src0_sel:BYTE_0 src1_sel:DWORD
	s_and_saveexec_b64 s[4:5], s[6:7]
	s_cbranch_execz .LBB957_57
; %bb.52:                               ;   in Loop: Header=BB957_15 Depth=1
	v_cmp_ne_u16_sdwa s[10:11], v20, s13 src0_sel:BYTE_0 src1_sel:DWORD
	v_mov_b32_e32 v38, 0xffff8000
	s_and_saveexec_b64 s[6:7], s[10:11]
	s_cbranch_execz .LBB957_56
; %bb.53:                               ;   in Loop: Header=BB957_15 Depth=1
	v_bfe_u32 v32, v18, 16, 7
	v_cmp_ne_u32_e32 vcc, s14, v32
	v_mov_b32_e32 v38, 0x7f80
	s_and_saveexec_b64 s[10:11], vcc
	s_cbranch_execz .LBB957_55
; %bb.54:                               ;   in Loop: Header=BB957_15 Depth=1
	v_and_b32_e32 v40, 7, v20
	v_ffbh_u32_e32 v38, v40
	v_min_u32_e32 v42, 32, v38
	v_subrev_u32_e32 v38, 28, v42
	v_lshlrev_b64 v[38:39], v38, v[20:21]
	v_lshrrev_b32_e32 v41, 3, v32
	v_sub_u32_e32 v39, 29, v42
	v_and_b32_e32 v38, 7, v38
	v_cmp_gt_u32_e32 vcc, 8, v32
	v_cndmask_b32_e32 v32, v41, v39, vcc
	v_cndmask_b32_e32 v38, v40, v38, vcc
	v_lshlrev_b32_e32 v20, 24, v20
	v_lshlrev_b32_e32 v38, 20, v38
	v_and_b32_e32 v20, 0x80000000, v20
	v_lshl_add_u32 v32, v32, 23, v33
	v_or3_b32 v20, v20, v32, v38
	v_lshrrev_b32_e32 v38, 16, v20
.LBB957_55:                             ;   in Loop: Header=BB957_15 Depth=1
	s_or_b64 exec, exec, s[10:11]
.LBB957_56:                             ;   in Loop: Header=BB957_15 Depth=1
	s_or_b64 exec, exec, s[6:7]
.LBB957_57:                             ;   in Loop: Header=BB957_15 Depth=1
	s_or_b64 exec, exec, s[4:5]
	v_cmp_lt_u32_e32 vcc, s15, v18
	v_mov_b32_e32 v32, 0
	v_mov_b32_e32 v39, 0
	s_and_saveexec_b64 s[4:5], vcc
	s_cbranch_execz .LBB957_63
; %bb.58:                               ;   in Loop: Header=BB957_15 Depth=1
	v_lshrrev_b32_e32 v20, 24, v18
	v_cmp_ne_u32_e32 vcc, s13, v20
	v_mov_b32_e32 v39, 0xffff8000
	s_and_saveexec_b64 s[6:7], vcc
	s_cbranch_execz .LBB957_62
; %bb.59:                               ;   in Loop: Header=BB957_15 Depth=1
	v_bfe_u32 v18, v18, 24, 7
	v_cmp_ne_u32_e32 vcc, s14, v18
	v_mov_b32_e32 v39, 0x7f80
	s_and_saveexec_b64 s[10:11], vcc
	s_cbranch_execz .LBB957_61
; %bb.60:                               ;   in Loop: Header=BB957_15 Depth=1
	v_and_b32_e32 v39, 7, v20
	v_ffbh_u32_e32 v40, v39
	v_min_u32_e32 v43, 32, v40
	v_subrev_u32_e32 v40, 28, v43
	v_lshlrev_b64 v[40:41], v40, v[20:21]
	v_lshrrev_b32_e32 v42, 3, v18
	v_sub_u32_e32 v41, 29, v43
	v_and_b32_e32 v40, 7, v40
	v_cmp_gt_u32_e32 vcc, 8, v18
	v_cndmask_b32_e32 v18, v42, v41, vcc
	v_cndmask_b32_e32 v39, v39, v40, vcc
	v_lshlrev_b32_e32 v20, 24, v20
	v_lshlrev_b32_e32 v39, 20, v39
	v_and_b32_e32 v20, 0x80000000, v20
	v_lshl_add_u32 v18, v18, 23, v33
	v_or3_b32 v18, v20, v18, v39
	v_lshrrev_b32_e32 v39, 16, v18
.LBB957_61:                             ;   in Loop: Header=BB957_15 Depth=1
	s_or_b64 exec, exec, s[10:11]
.LBB957_62:                             ;   in Loop: Header=BB957_15 Depth=1
	s_or_b64 exec, exec, s[6:7]
.LBB957_63:                             ;   in Loop: Header=BB957_15 Depth=1
	s_or_b64 exec, exec, s[4:5]
	v_perm_b32 v41, v37, v23, s16
	v_perm_b32 v40, v21, v19, s16
	;; [unrolled: 1-line block ×4, first 2 shown]
	s_waitcnt vmcnt(1)
	v_cmp_ne_u16_sdwa s[6:7], v28, v31 src0_sel:BYTE_0 src1_sel:DWORD
	v_mfma_f32_16x16x16bf16_1k v[18:21], v[40:41], v[2:3], 0
	v_mfma_f32_16x16x16bf16_1k v[18:21], v[38:39], v[4:5], v[18:21]
	s_and_saveexec_b64 s[4:5], s[6:7]
	s_cbranch_execz .LBB957_69
; %bb.64:                               ;   in Loop: Header=BB957_15 Depth=1
	v_cmp_ne_u16_sdwa s[10:11], v28, s13 src0_sel:BYTE_0 src1_sel:DWORD
	v_mov_b32_e32 v32, 0xffff8000
	s_and_saveexec_b64 s[6:7], s[10:11]
	s_cbranch_execz .LBB957_68
; %bb.65:                               ;   in Loop: Header=BB957_15 Depth=1
	v_and_b32_e32 v23, 0x7f, v28
	v_cmp_ne_u32_e32 vcc, s14, v23
	v_mov_b32_e32 v32, 0x7f80
	s_and_saveexec_b64 s[10:11], vcc
	s_cbranch_execz .LBB957_67
; %bb.66:                               ;   in Loop: Header=BB957_15 Depth=1
	v_and_b32_e32 v30, 7, v28
	v_ffbh_u32_e32 v34, v30
	v_min_u32_e32 v34, 32, v34
	v_subrev_u32_e32 v37, 28, v34
	v_lshlrev_b64 v[38:39], v37, v[28:29]
	v_lshrrev_b32_e32 v32, 3, v23
	v_sub_u32_e32 v34, 29, v34
	v_and_b32_e32 v37, 7, v38
	v_cmp_gt_u32_e32 vcc, 8, v23
	v_cndmask_b32_e32 v23, v32, v34, vcc
	v_cndmask_b32_e32 v30, v30, v37, vcc
	v_lshlrev_b32_e32 v32, 24, v28
	v_lshlrev_b32_e32 v30, 20, v30
	v_and_b32_e32 v32, 0x80000000, v32
	v_lshl_add_u32 v23, v23, 23, v33
	v_or3_b32 v23, v32, v23, v30
	v_lshrrev_b32_e32 v32, 16, v23
.LBB957_67:                             ;   in Loop: Header=BB957_15 Depth=1
	s_or_b64 exec, exec, s[10:11]
.LBB957_68:                             ;   in Loop: Header=BB957_15 Depth=1
	s_or_b64 exec, exec, s[6:7]
.LBB957_69:                             ;   in Loop: Header=BB957_15 Depth=1
	s_or_b64 exec, exec, s[4:5]
	v_lshrrev_b16_e32 v30, 8, v28
	v_cmp_ne_u16_e32 vcc, 0, v30
	v_mov_b32_e32 v37, 0
	v_mov_b32_e32 v34, 0
	s_and_saveexec_b64 s[4:5], vcc
	s_cbranch_execz .LBB957_75
; %bb.70:                               ;   in Loop: Header=BB957_15 Depth=1
	v_cmp_ne_u16_e32 vcc, s13, v30
	v_mov_b32_e32 v34, 0xffff8000
	s_and_saveexec_b64 s[6:7], vcc
	s_cbranch_execz .LBB957_74
; %bb.71:                               ;   in Loop: Header=BB957_15 Depth=1
	v_and_b32_e32 v23, 0x7f, v30
	v_cmp_ne_u32_e32 vcc, s14, v23
	v_mov_b32_e32 v34, 0x7f80
	s_and_saveexec_b64 s[10:11], vcc
	s_cbranch_execz .LBB957_73
; %bb.72:                               ;   in Loop: Header=BB957_15 Depth=1
	v_and_b32_e32 v34, 7, v30
	v_ffbh_u32_e32 v38, v34
	v_min_u32_e32 v41, 32, v38
	v_subrev_u32_e32 v38, 28, v41
	v_lshlrev_b64 v[38:39], v38, v[30:31]
	v_lshrrev_b32_e32 v40, 3, v23
	v_sub_u32_e32 v30, 29, v41
	v_and_b32_e32 v38, 7, v38
	v_cmp_gt_u32_e32 vcc, 8, v23
	v_cndmask_b32_e32 v23, v40, v30, vcc
	v_cndmask_b32_e32 v30, v34, v38, vcc
	v_lshlrev_b32_e32 v34, 16, v28
	v_lshlrev_b32_e32 v30, 20, v30
	v_and_b32_e32 v34, 0x80000000, v34
	v_lshl_add_u32 v23, v23, 23, v33
	v_or3_b32 v23, v34, v23, v30
	v_lshrrev_b32_e32 v34, 16, v23
.LBB957_73:                             ;   in Loop: Header=BB957_15 Depth=1
	s_or_b64 exec, exec, s[10:11]
.LBB957_74:                             ;   in Loop: Header=BB957_15 Depth=1
	s_or_b64 exec, exec, s[6:7]
.LBB957_75:                             ;   in Loop: Header=BB957_15 Depth=1
	s_or_b64 exec, exec, s[4:5]
	v_lshrrev_b32_e32 v30, 16, v28
	v_cmp_ne_u16_sdwa s[6:7], v30, v31 src0_sel:BYTE_0 src1_sel:DWORD
	s_and_saveexec_b64 s[4:5], s[6:7]
	s_cbranch_execz .LBB957_81
; %bb.76:                               ;   in Loop: Header=BB957_15 Depth=1
	v_cmp_ne_u16_sdwa s[10:11], v30, s13 src0_sel:BYTE_0 src1_sel:DWORD
	v_mov_b32_e32 v37, 0xffff8000
	s_and_saveexec_b64 s[6:7], s[10:11]
	s_cbranch_execz .LBB957_80
; %bb.77:                               ;   in Loop: Header=BB957_15 Depth=1
	v_bfe_u32 v23, v28, 16, 7
	v_cmp_ne_u32_e32 vcc, s14, v23
	v_mov_b32_e32 v37, 0x7f80
	s_and_saveexec_b64 s[10:11], vcc
	s_cbranch_execz .LBB957_79
; %bb.78:                               ;   in Loop: Header=BB957_15 Depth=1
	v_and_b32_e32 v37, 7, v30
	v_ffbh_u32_e32 v38, v37
	v_min_u32_e32 v41, 32, v38
	v_subrev_u32_e32 v38, 28, v41
	v_lshlrev_b64 v[38:39], v38, v[30:31]
	v_lshrrev_b32_e32 v40, 3, v23
	v_sub_u32_e32 v39, 29, v41
	v_and_b32_e32 v38, 7, v38
	v_cmp_gt_u32_e32 vcc, 8, v23
	v_cndmask_b32_e32 v23, v40, v39, vcc
	v_cndmask_b32_e32 v37, v37, v38, vcc
	v_lshlrev_b32_e32 v30, 24, v30
	v_lshlrev_b32_e32 v37, 20, v37
	v_and_b32_e32 v30, 0x80000000, v30
	v_lshl_add_u32 v23, v23, 23, v33
	v_or3_b32 v23, v30, v23, v37
	v_lshrrev_b32_e32 v37, 16, v23
.LBB957_79:                             ;   in Loop: Header=BB957_15 Depth=1
	s_or_b64 exec, exec, s[10:11]
.LBB957_80:                             ;   in Loop: Header=BB957_15 Depth=1
	s_or_b64 exec, exec, s[6:7]
.LBB957_81:                             ;   in Loop: Header=BB957_15 Depth=1
	s_or_b64 exec, exec, s[4:5]
	v_cmp_lt_u32_e32 vcc, s15, v28
	v_mov_b32_e32 v38, 0
	v_mov_b32_e32 v39, 0
	s_and_saveexec_b64 s[4:5], vcc
	s_cbranch_execz .LBB957_87
; %bb.82:                               ;   in Loop: Header=BB957_15 Depth=1
	v_lshrrev_b32_e32 v30, 24, v28
	v_cmp_ne_u32_e32 vcc, s13, v30
	v_mov_b32_e32 v39, 0xffff8000
	s_and_saveexec_b64 s[6:7], vcc
	s_cbranch_execz .LBB957_86
; %bb.83:                               ;   in Loop: Header=BB957_15 Depth=1
	v_bfe_u32 v23, v28, 24, 7
	v_cmp_ne_u32_e32 vcc, s14, v23
	v_mov_b32_e32 v39, 0x7f80
	s_and_saveexec_b64 s[10:11], vcc
	s_cbranch_execz .LBB957_85
; %bb.84:                               ;   in Loop: Header=BB957_15 Depth=1
	v_and_b32_e32 v28, 7, v30
	v_ffbh_u32_e32 v40, v28
	v_min_u32_e32 v42, 32, v40
	v_subrev_u32_e32 v40, 28, v42
	v_lshlrev_b64 v[40:41], v40, v[30:31]
	v_lshrrev_b32_e32 v39, 3, v23
	v_sub_u32_e32 v41, 29, v42
	v_and_b32_e32 v40, 7, v40
	v_cmp_gt_u32_e32 vcc, 8, v23
	v_cndmask_b32_e32 v23, v39, v41, vcc
	v_cndmask_b32_e32 v28, v28, v40, vcc
	v_lshlrev_b32_e32 v30, 24, v30
	v_lshlrev_b32_e32 v28, 20, v28
	v_and_b32_e32 v30, 0x80000000, v30
	v_lshl_add_u32 v23, v23, 23, v33
	v_or3_b32 v23, v30, v23, v28
	v_lshrrev_b32_e32 v39, 16, v23
.LBB957_85:                             ;   in Loop: Header=BB957_15 Depth=1
	s_or_b64 exec, exec, s[10:11]
.LBB957_86:                             ;   in Loop: Header=BB957_15 Depth=1
	s_or_b64 exec, exec, s[6:7]
.LBB957_87:                             ;   in Loop: Header=BB957_15 Depth=1
	s_or_b64 exec, exec, s[4:5]
	s_waitcnt vmcnt(0)
	v_cmp_ne_u16_sdwa s[6:7], v26, v31 src0_sel:BYTE_0 src1_sel:DWORD
	s_and_saveexec_b64 s[4:5], s[6:7]
	s_cbranch_execz .LBB957_93
; %bb.88:                               ;   in Loop: Header=BB957_15 Depth=1
	v_cmp_ne_u16_sdwa s[10:11], v26, s13 src0_sel:BYTE_0 src1_sel:DWORD
	v_mov_b32_e32 v38, 0xffff8000
	s_and_saveexec_b64 s[6:7], s[10:11]
	s_cbranch_execz .LBB957_92
; %bb.89:                               ;   in Loop: Header=BB957_15 Depth=1
	v_and_b32_e32 v23, 0x7f, v26
	v_cmp_ne_u32_e32 vcc, s14, v23
	v_mov_b32_e32 v38, 0x7f80
	s_and_saveexec_b64 s[10:11], vcc
	s_cbranch_execz .LBB957_91
; %bb.90:                               ;   in Loop: Header=BB957_15 Depth=1
	v_and_b32_e32 v28, 7, v26
	v_ffbh_u32_e32 v38, v28
	v_min_u32_e32 v38, 32, v38
	v_subrev_u32_e32 v40, 28, v38
	v_lshlrev_b64 v[40:41], v40, v[26:27]
	v_lshrrev_b32_e32 v30, 3, v23
	v_sub_u32_e32 v38, 29, v38
	v_and_b32_e32 v40, 7, v40
	v_cmp_gt_u32_e32 vcc, 8, v23
	v_cndmask_b32_e32 v23, v30, v38, vcc
	v_cndmask_b32_e32 v28, v28, v40, vcc
	v_lshlrev_b32_e32 v30, 24, v26
	v_lshlrev_b32_e32 v28, 20, v28
	v_and_b32_e32 v30, 0x80000000, v30
	v_lshl_add_u32 v23, v23, 23, v33
	v_or3_b32 v23, v30, v23, v28
	v_lshrrev_b32_e32 v38, 16, v23
.LBB957_91:                             ;   in Loop: Header=BB957_15 Depth=1
	s_or_b64 exec, exec, s[10:11]
.LBB957_92:                             ;   in Loop: Header=BB957_15 Depth=1
	s_or_b64 exec, exec, s[6:7]
.LBB957_93:                             ;   in Loop: Header=BB957_15 Depth=1
	s_or_b64 exec, exec, s[4:5]
	v_lshrrev_b16_e32 v28, 8, v26
	v_cmp_ne_u16_e32 vcc, 0, v28
	v_mov_b32_e32 v41, 0
	v_mov_b32_e32 v40, 0
	s_and_saveexec_b64 s[4:5], vcc
	s_cbranch_execz .LBB957_99
; %bb.94:                               ;   in Loop: Header=BB957_15 Depth=1
	v_cmp_ne_u16_e32 vcc, s13, v28
	v_mov_b32_e32 v40, 0xffff8000
	s_and_saveexec_b64 s[6:7], vcc
	s_cbranch_execz .LBB957_98
; %bb.95:                               ;   in Loop: Header=BB957_15 Depth=1
	v_and_b32_e32 v23, 0x7f, v28
	v_cmp_ne_u32_e32 vcc, s14, v23
	v_mov_b32_e32 v40, 0x7f80
	s_and_saveexec_b64 s[10:11], vcc
	s_cbranch_execz .LBB957_97
; %bb.96:                               ;   in Loop: Header=BB957_15 Depth=1
	v_and_b32_e32 v30, 7, v28
	v_ffbh_u32_e32 v42, v30
	v_min_u32_e32 v44, 32, v42
	v_subrev_u32_e32 v42, 28, v44
	v_lshlrev_b64 v[42:43], v42, v[28:29]
	v_lshrrev_b32_e32 v40, 3, v23
	v_sub_u32_e32 v28, 29, v44
	v_and_b32_e32 v42, 7, v42
	v_cmp_gt_u32_e32 vcc, 8, v23
	v_cndmask_b32_e32 v23, v40, v28, vcc
	v_cndmask_b32_e32 v28, v30, v42, vcc
	v_lshlrev_b32_e32 v30, 16, v26
	v_lshlrev_b32_e32 v28, 20, v28
	v_and_b32_e32 v30, 0x80000000, v30
	v_lshl_add_u32 v23, v23, 23, v33
	v_or3_b32 v23, v30, v23, v28
	v_lshrrev_b32_e32 v40, 16, v23
.LBB957_97:                             ;   in Loop: Header=BB957_15 Depth=1
	s_or_b64 exec, exec, s[10:11]
.LBB957_98:                             ;   in Loop: Header=BB957_15 Depth=1
	s_or_b64 exec, exec, s[6:7]
.LBB957_99:                             ;   in Loop: Header=BB957_15 Depth=1
	s_or_b64 exec, exec, s[4:5]
	v_lshrrev_b32_e32 v28, 16, v26
	v_cmp_ne_u16_sdwa s[6:7], v28, v31 src0_sel:BYTE_0 src1_sel:DWORD
	s_and_saveexec_b64 s[4:5], s[6:7]
	s_cbranch_execz .LBB957_105
; %bb.100:                              ;   in Loop: Header=BB957_15 Depth=1
	v_cmp_ne_u16_sdwa s[10:11], v28, s13 src0_sel:BYTE_0 src1_sel:DWORD
	v_mov_b32_e32 v41, 0xffff8000
	s_and_saveexec_b64 s[6:7], s[10:11]
	s_cbranch_execz .LBB957_104
; %bb.101:                              ;   in Loop: Header=BB957_15 Depth=1
	v_bfe_u32 v23, v26, 16, 7
	v_cmp_ne_u32_e32 vcc, s14, v23
	v_mov_b32_e32 v41, 0x7f80
	s_and_saveexec_b64 s[10:11], vcc
	s_cbranch_execz .LBB957_103
; %bb.102:                              ;   in Loop: Header=BB957_15 Depth=1
	v_and_b32_e32 v30, 7, v28
	v_ffbh_u32_e32 v42, v30
	v_min_u32_e32 v44, 32, v42
	v_subrev_u32_e32 v42, 28, v44
	v_lshlrev_b64 v[42:43], v42, v[28:29]
	v_lshrrev_b32_e32 v41, 3, v23
	v_sub_u32_e32 v43, 29, v44
	v_and_b32_e32 v42, 7, v42
	v_cmp_gt_u32_e32 vcc, 8, v23
	v_cndmask_b32_e32 v23, v41, v43, vcc
	v_cndmask_b32_e32 v30, v30, v42, vcc
	v_lshlrev_b32_e32 v28, 24, v28
	v_lshlrev_b32_e32 v30, 20, v30
	v_and_b32_e32 v28, 0x80000000, v28
	v_lshl_add_u32 v23, v23, 23, v33
	v_or3_b32 v23, v28, v23, v30
	v_lshrrev_b32_e32 v41, 16, v23
.LBB957_103:                            ;   in Loop: Header=BB957_15 Depth=1
	s_or_b64 exec, exec, s[10:11]
.LBB957_104:                            ;   in Loop: Header=BB957_15 Depth=1
	s_or_b64 exec, exec, s[6:7]
.LBB957_105:                            ;   in Loop: Header=BB957_15 Depth=1
	s_or_b64 exec, exec, s[4:5]
	v_cmp_lt_u32_e32 vcc, s15, v26
	v_mov_b32_e32 v23, 0
	v_mov_b32_e32 v42, 0
	s_and_saveexec_b64 s[4:5], vcc
	s_cbranch_execz .LBB957_111
; %bb.106:                              ;   in Loop: Header=BB957_15 Depth=1
	v_lshrrev_b32_e32 v28, 24, v26
	v_cmp_ne_u32_e32 vcc, s13, v28
	v_mov_b32_e32 v42, 0xffff8000
	s_and_saveexec_b64 s[6:7], vcc
	s_cbranch_execz .LBB957_110
; %bb.107:                              ;   in Loop: Header=BB957_15 Depth=1
	v_bfe_u32 v26, v26, 24, 7
	v_cmp_ne_u32_e32 vcc, s14, v26
	v_mov_b32_e32 v42, 0x7f80
	s_and_saveexec_b64 s[10:11], vcc
	s_cbranch_execz .LBB957_109
; %bb.108:                              ;   in Loop: Header=BB957_15 Depth=1
	v_and_b32_e32 v30, 7, v28
	v_ffbh_u32_e32 v42, v30
	v_min_u32_e32 v45, 32, v42
	v_subrev_u32_e32 v42, 28, v45
	v_lshlrev_b64 v[42:43], v42, v[28:29]
	v_lshrrev_b32_e32 v44, 3, v26
	v_sub_u32_e32 v43, 29, v45
	v_and_b32_e32 v42, 7, v42
	v_cmp_gt_u32_e32 vcc, 8, v26
	v_cndmask_b32_e32 v26, v44, v43, vcc
	v_cndmask_b32_e32 v30, v30, v42, vcc
	v_lshlrev_b32_e32 v28, 24, v28
	v_lshlrev_b32_e32 v30, 20, v30
	v_and_b32_e32 v28, 0x80000000, v28
	v_lshl_add_u32 v26, v26, 23, v33
	v_or3_b32 v26, v28, v26, v30
	v_lshrrev_b32_e32 v42, 16, v26
.LBB957_109:                            ;   in Loop: Header=BB957_15 Depth=1
	s_or_b64 exec, exec, s[10:11]
.LBB957_110:                            ;   in Loop: Header=BB957_15 Depth=1
	s_or_b64 exec, exec, s[6:7]
.LBB957_111:                            ;   in Loop: Header=BB957_15 Depth=1
	s_or_b64 exec, exec, s[4:5]
	v_perm_b32 v44, v34, v32, s16
	buffer_load_dword v32, v27, s[0:3], 0 offen offset:16
	buffer_load_dword v30, v27, s[0:3], 0 offen offset:20
	;; [unrolled: 1-line block ×4, first 2 shown]
	v_perm_b32 v45, v39, v37, s16
	v_perm_b32 v39, v42, v41, s16
	;; [unrolled: 1-line block ×3, first 2 shown]
	v_mfma_f32_16x16x16bf16_1k v[18:21], v[44:45], v[6:7], v[18:21]
	s_waitcnt vmcnt(3)
	v_cmp_ne_u16_sdwa s[6:7], v32, v31 src0_sel:BYTE_0 src1_sel:DWORD
	v_mfma_f32_16x16x16bf16_1k v[18:21], v[38:39], v[8:9], v[18:21]
	s_and_saveexec_b64 s[4:5], s[6:7]
	s_cbranch_execz .LBB957_117
; %bb.112:                              ;   in Loop: Header=BB957_15 Depth=1
	v_cmp_ne_u16_sdwa s[10:11], v32, s13 src0_sel:BYTE_0 src1_sel:DWORD
	v_mov_b32_e32 v23, 0xffff8000
	s_and_saveexec_b64 s[6:7], s[10:11]
	s_cbranch_execz .LBB957_116
; %bb.113:                              ;   in Loop: Header=BB957_15 Depth=1
	v_and_b32_e32 v34, 0x7f, v32
	v_cmp_ne_u32_e32 vcc, s14, v34
	v_mov_b32_e32 v23, 0x7f80
	s_and_saveexec_b64 s[10:11], vcc
	s_cbranch_execz .LBB957_115
; %bb.114:                              ;   in Loop: Header=BB957_15 Depth=1
	v_and_b32_e32 v23, 7, v32
	v_ffbh_u32_e32 v38, v23
	v_min_u32_e32 v40, 32, v38
	v_subrev_u32_e32 v38, 28, v40
	v_lshlrev_b64 v[38:39], v38, v[32:33]
	v_lshrrev_b32_e32 v37, 3, v34
	v_sub_u32_e32 v39, 29, v40
	v_and_b32_e32 v38, 7, v38
	v_cmp_gt_u32_e32 vcc, 8, v34
	v_cndmask_b32_e32 v34, v37, v39, vcc
	v_cndmask_b32_e32 v23, v23, v38, vcc
	v_lshlrev_b32_e32 v37, 24, v32
	v_lshlrev_b32_e32 v23, 20, v23
	v_and_b32_e32 v37, 0x80000000, v37
	v_lshl_add_u32 v34, v34, 23, v33
	v_or3_b32 v23, v37, v34, v23
	v_lshrrev_b32_e32 v23, 16, v23
.LBB957_115:                            ;   in Loop: Header=BB957_15 Depth=1
	s_or_b64 exec, exec, s[10:11]
.LBB957_116:                            ;   in Loop: Header=BB957_15 Depth=1
	s_or_b64 exec, exec, s[6:7]
.LBB957_117:                            ;   in Loop: Header=BB957_15 Depth=1
	s_or_b64 exec, exec, s[4:5]
	v_lshrrev_b16_e32 v34, 8, v32
	v_cmp_ne_u16_e32 vcc, 0, v34
	v_mov_b32_e32 v38, 0
	v_mov_b32_e32 v37, 0
	s_and_saveexec_b64 s[4:5], vcc
	s_cbranch_execz .LBB957_123
; %bb.118:                              ;   in Loop: Header=BB957_15 Depth=1
	v_cmp_ne_u16_e32 vcc, s13, v34
	v_mov_b32_e32 v37, 0xffff8000
	s_and_saveexec_b64 s[6:7], vcc
	s_cbranch_execz .LBB957_122
; %bb.119:                              ;   in Loop: Header=BB957_15 Depth=1
	v_and_b32_e32 v39, 0x7f, v34
	v_cmp_ne_u32_e32 vcc, s14, v39
	v_mov_b32_e32 v37, 0x7f80
	s_and_saveexec_b64 s[10:11], vcc
	s_cbranch_execz .LBB957_121
; %bb.120:                              ;   in Loop: Header=BB957_15 Depth=1
	v_and_b32_e32 v37, 7, v34
	v_ffbh_u32_e32 v40, v37
	v_min_u32_e32 v43, 32, v40
	v_subrev_u32_e32 v40, 28, v43
	v_lshlrev_b64 v[40:41], v40, v[34:35]
	v_lshrrev_b32_e32 v42, 3, v39
	v_sub_u32_e32 v34, 29, v43
	v_and_b32_e32 v40, 7, v40
	v_cmp_gt_u32_e32 vcc, 8, v39
	v_cndmask_b32_e32 v34, v42, v34, vcc
	v_cndmask_b32_e32 v37, v37, v40, vcc
	v_lshlrev_b32_e32 v39, 16, v32
	v_lshlrev_b32_e32 v37, 20, v37
	v_and_b32_e32 v39, 0x80000000, v39
	v_lshl_add_u32 v34, v34, 23, v33
	v_or3_b32 v34, v39, v34, v37
	v_lshrrev_b32_e32 v37, 16, v34
.LBB957_121:                            ;   in Loop: Header=BB957_15 Depth=1
	s_or_b64 exec, exec, s[10:11]
.LBB957_122:                            ;   in Loop: Header=BB957_15 Depth=1
	s_or_b64 exec, exec, s[6:7]
.LBB957_123:                            ;   in Loop: Header=BB957_15 Depth=1
	s_or_b64 exec, exec, s[4:5]
	v_lshrrev_b32_e32 v34, 16, v32
	v_cmp_ne_u16_sdwa s[6:7], v34, v31 src0_sel:BYTE_0 src1_sel:DWORD
	s_and_saveexec_b64 s[4:5], s[6:7]
	s_cbranch_execz .LBB957_129
; %bb.124:                              ;   in Loop: Header=BB957_15 Depth=1
	v_cmp_ne_u16_sdwa s[10:11], v34, s13 src0_sel:BYTE_0 src1_sel:DWORD
	v_mov_b32_e32 v38, 0xffff8000
	s_and_saveexec_b64 s[6:7], s[10:11]
	s_cbranch_execz .LBB957_128
; %bb.125:                              ;   in Loop: Header=BB957_15 Depth=1
	v_bfe_u32 v39, v32, 16, 7
	v_cmp_ne_u32_e32 vcc, s14, v39
	v_mov_b32_e32 v38, 0x7f80
	s_and_saveexec_b64 s[10:11], vcc
	s_cbranch_execz .LBB957_127
; %bb.126:                              ;   in Loop: Header=BB957_15 Depth=1
	v_and_b32_e32 v38, 7, v34
	v_ffbh_u32_e32 v40, v38
	v_min_u32_e32 v43, 32, v40
	v_subrev_u32_e32 v40, 28, v43
	v_lshlrev_b64 v[40:41], v40, v[34:35]
	v_lshrrev_b32_e32 v42, 3, v39
	v_sub_u32_e32 v41, 29, v43
	v_and_b32_e32 v40, 7, v40
	v_cmp_gt_u32_e32 vcc, 8, v39
	v_cndmask_b32_e32 v39, v42, v41, vcc
	v_cndmask_b32_e32 v38, v38, v40, vcc
	v_lshlrev_b32_e32 v34, 24, v34
	v_lshlrev_b32_e32 v38, 20, v38
	v_and_b32_e32 v34, 0x80000000, v34
	v_lshl_add_u32 v39, v39, 23, v33
	v_or3_b32 v34, v34, v39, v38
	v_lshrrev_b32_e32 v38, 16, v34
.LBB957_127:                            ;   in Loop: Header=BB957_15 Depth=1
	s_or_b64 exec, exec, s[10:11]
.LBB957_128:                            ;   in Loop: Header=BB957_15 Depth=1
	s_or_b64 exec, exec, s[6:7]
.LBB957_129:                            ;   in Loop: Header=BB957_15 Depth=1
	s_or_b64 exec, exec, s[4:5]
	v_cmp_lt_u32_e32 vcc, s15, v32
	v_mov_b32_e32 v39, 0
	v_mov_b32_e32 v40, 0
	s_and_saveexec_b64 s[4:5], vcc
	s_cbranch_execz .LBB957_135
; %bb.130:                              ;   in Loop: Header=BB957_15 Depth=1
	v_lshrrev_b32_e32 v34, 24, v32
	v_cmp_ne_u32_e32 vcc, s13, v34
	v_mov_b32_e32 v40, 0xffff8000
	s_and_saveexec_b64 s[6:7], vcc
	s_cbranch_execz .LBB957_134
; %bb.131:                              ;   in Loop: Header=BB957_15 Depth=1
	v_bfe_u32 v32, v32, 24, 7
	v_cmp_ne_u32_e32 vcc, s14, v32
	v_mov_b32_e32 v40, 0x7f80
	s_and_saveexec_b64 s[10:11], vcc
	s_cbranch_execz .LBB957_133
; %bb.132:                              ;   in Loop: Header=BB957_15 Depth=1
	v_and_b32_e32 v42, 7, v34
	v_ffbh_u32_e32 v40, v42
	v_min_u32_e32 v44, 32, v40
	v_subrev_u32_e32 v40, 28, v44
	v_lshlrev_b64 v[40:41], v40, v[34:35]
	v_lshrrev_b32_e32 v43, 3, v32
	v_sub_u32_e32 v41, 29, v44
	v_and_b32_e32 v40, 7, v40
	v_cmp_gt_u32_e32 vcc, 8, v32
	v_cndmask_b32_e32 v32, v43, v41, vcc
	v_cndmask_b32_e32 v40, v42, v40, vcc
	v_lshlrev_b32_e32 v34, 24, v34
	v_lshlrev_b32_e32 v40, 20, v40
	v_and_b32_e32 v34, 0x80000000, v34
	v_lshl_add_u32 v32, v32, 23, v33
	v_or3_b32 v32, v34, v32, v40
	v_lshrrev_b32_e32 v40, 16, v32
.LBB957_133:                            ;   in Loop: Header=BB957_15 Depth=1
	s_or_b64 exec, exec, s[10:11]
.LBB957_134:                            ;   in Loop: Header=BB957_15 Depth=1
	s_or_b64 exec, exec, s[6:7]
.LBB957_135:                            ;   in Loop: Header=BB957_15 Depth=1
	s_or_b64 exec, exec, s[4:5]
	s_waitcnt vmcnt(2)
	v_cmp_ne_u16_sdwa s[6:7], v30, v31 src0_sel:BYTE_0 src1_sel:DWORD
	s_and_saveexec_b64 s[4:5], s[6:7]
	s_cbranch_execz .LBB957_141
; %bb.136:                              ;   in Loop: Header=BB957_15 Depth=1
	v_cmp_ne_u16_sdwa s[10:11], v30, s13 src0_sel:BYTE_0 src1_sel:DWORD
	v_mov_b32_e32 v39, 0xffff8000
	s_and_saveexec_b64 s[6:7], s[10:11]
	s_cbranch_execz .LBB957_140
; %bb.137:                              ;   in Loop: Header=BB957_15 Depth=1
	v_and_b32_e32 v32, 0x7f, v30
	v_cmp_ne_u32_e32 vcc, s14, v32
	v_mov_b32_e32 v39, 0x7f80
	s_and_saveexec_b64 s[10:11], vcc
	s_cbranch_execz .LBB957_139
; %bb.138:                              ;   in Loop: Header=BB957_15 Depth=1
	v_and_b32_e32 v34, 7, v30
	v_ffbh_u32_e32 v41, v34
	v_min_u32_e32 v41, 32, v41
	v_subrev_u32_e32 v42, 28, v41
	v_lshlrev_b64 v[42:43], v42, v[30:31]
	v_lshrrev_b32_e32 v39, 3, v32
	v_sub_u32_e32 v41, 29, v41
	v_and_b32_e32 v42, 7, v42
	v_cmp_gt_u32_e32 vcc, 8, v32
	v_cndmask_b32_e32 v32, v39, v41, vcc
	v_cndmask_b32_e32 v34, v34, v42, vcc
	v_lshlrev_b32_e32 v39, 24, v30
	v_lshlrev_b32_e32 v34, 20, v34
	v_and_b32_e32 v39, 0x80000000, v39
	v_lshl_add_u32 v32, v32, 23, v33
	v_or3_b32 v32, v39, v32, v34
	v_lshrrev_b32_e32 v39, 16, v32
.LBB957_139:                            ;   in Loop: Header=BB957_15 Depth=1
	s_or_b64 exec, exec, s[10:11]
.LBB957_140:                            ;   in Loop: Header=BB957_15 Depth=1
	s_or_b64 exec, exec, s[6:7]
.LBB957_141:                            ;   in Loop: Header=BB957_15 Depth=1
	s_or_b64 exec, exec, s[4:5]
	v_lshrrev_b16_e32 v32, 8, v30
	v_cmp_ne_u16_e32 vcc, 0, v32
	v_mov_b32_e32 v42, 0
	v_mov_b32_e32 v41, 0
	s_and_saveexec_b64 s[4:5], vcc
	s_cbranch_execz .LBB957_147
; %bb.142:                              ;   in Loop: Header=BB957_15 Depth=1
	v_cmp_ne_u16_e32 vcc, s13, v32
	v_mov_b32_e32 v41, 0xffff8000
	s_and_saveexec_b64 s[6:7], vcc
	s_cbranch_execz .LBB957_146
; %bb.143:                              ;   in Loop: Header=BB957_15 Depth=1
	v_and_b32_e32 v34, 0x7f, v32
	v_cmp_ne_u32_e32 vcc, s14, v34
	v_mov_b32_e32 v41, 0x7f80
	s_and_saveexec_b64 s[10:11], vcc
	s_cbranch_execz .LBB957_145
; %bb.144:                              ;   in Loop: Header=BB957_15 Depth=1
	v_and_b32_e32 v41, 7, v32
	v_ffbh_u32_e32 v44, v41
	v_min_u32_e32 v46, 32, v44
	v_subrev_u32_e32 v44, 28, v46
	v_lshlrev_b64 v[44:45], v44, v[32:33]
	v_lshrrev_b32_e32 v43, 3, v34
	v_sub_u32_e32 v32, 29, v46
	v_and_b32_e32 v44, 7, v44
	v_cmp_gt_u32_e32 vcc, 8, v34
	v_cndmask_b32_e32 v32, v43, v32, vcc
	v_cndmask_b32_e32 v34, v41, v44, vcc
	v_lshlrev_b32_e32 v41, 16, v30
	v_lshlrev_b32_e32 v34, 20, v34
	v_and_b32_e32 v41, 0x80000000, v41
	v_lshl_add_u32 v32, v32, 23, v33
	v_or3_b32 v32, v41, v32, v34
	v_lshrrev_b32_e32 v41, 16, v32
.LBB957_145:                            ;   in Loop: Header=BB957_15 Depth=1
	s_or_b64 exec, exec, s[10:11]
.LBB957_146:                            ;   in Loop: Header=BB957_15 Depth=1
	s_or_b64 exec, exec, s[6:7]
.LBB957_147:                            ;   in Loop: Header=BB957_15 Depth=1
	s_or_b64 exec, exec, s[4:5]
	v_lshrrev_b32_e32 v32, 16, v30
	v_cmp_ne_u16_sdwa s[6:7], v32, v31 src0_sel:BYTE_0 src1_sel:DWORD
	s_and_saveexec_b64 s[4:5], s[6:7]
	s_cbranch_execz .LBB957_153
; %bb.148:                              ;   in Loop: Header=BB957_15 Depth=1
	v_cmp_ne_u16_sdwa s[10:11], v32, s13 src0_sel:BYTE_0 src1_sel:DWORD
	v_mov_b32_e32 v42, 0xffff8000
	s_and_saveexec_b64 s[6:7], s[10:11]
	s_cbranch_execz .LBB957_152
; %bb.149:                              ;   in Loop: Header=BB957_15 Depth=1
	v_bfe_u32 v34, v30, 16, 7
	v_cmp_ne_u32_e32 vcc, s14, v34
	v_mov_b32_e32 v42, 0x7f80
	s_and_saveexec_b64 s[10:11], vcc
	s_cbranch_execz .LBB957_151
; %bb.150:                              ;   in Loop: Header=BB957_15 Depth=1
	v_and_b32_e32 v44, 7, v32
	v_ffbh_u32_e32 v42, v44
	v_min_u32_e32 v46, 32, v42
	v_subrev_u32_e32 v42, 28, v46
	v_lshlrev_b64 v[42:43], v42, v[32:33]
	v_lshrrev_b32_e32 v45, 3, v34
	v_sub_u32_e32 v43, 29, v46
	v_and_b32_e32 v42, 7, v42
	v_cmp_gt_u32_e32 vcc, 8, v34
	v_cndmask_b32_e32 v34, v45, v43, vcc
	v_cndmask_b32_e32 v42, v44, v42, vcc
	v_lshlrev_b32_e32 v32, 24, v32
	v_lshlrev_b32_e32 v42, 20, v42
	v_and_b32_e32 v32, 0x80000000, v32
	v_lshl_add_u32 v34, v34, 23, v33
	v_or3_b32 v32, v32, v34, v42
	v_lshrrev_b32_e32 v42, 16, v32
.LBB957_151:                            ;   in Loop: Header=BB957_15 Depth=1
	s_or_b64 exec, exec, s[10:11]
.LBB957_152:                            ;   in Loop: Header=BB957_15 Depth=1
	s_or_b64 exec, exec, s[6:7]
.LBB957_153:                            ;   in Loop: Header=BB957_15 Depth=1
	s_or_b64 exec, exec, s[4:5]
	v_cmp_lt_u32_e32 vcc, s15, v30
	v_mov_b32_e32 v34, 0
	v_mov_b32_e32 v43, 0
	s_and_saveexec_b64 s[4:5], vcc
	s_cbranch_execz .LBB957_159
; %bb.154:                              ;   in Loop: Header=BB957_15 Depth=1
	v_lshrrev_b32_e32 v32, 24, v30
	v_cmp_ne_u32_e32 vcc, s13, v32
	v_mov_b32_e32 v43, 0xffff8000
	s_and_saveexec_b64 s[6:7], vcc
	s_cbranch_execz .LBB957_158
; %bb.155:                              ;   in Loop: Header=BB957_15 Depth=1
	v_bfe_u32 v30, v30, 24, 7
	v_cmp_ne_u32_e32 vcc, s14, v30
	v_mov_b32_e32 v43, 0x7f80
	s_and_saveexec_b64 s[10:11], vcc
	s_cbranch_execz .LBB957_157
; %bb.156:                              ;   in Loop: Header=BB957_15 Depth=1
	v_and_b32_e32 v43, 7, v32
	v_ffbh_u32_e32 v44, v43
	v_min_u32_e32 v47, 32, v44
	v_subrev_u32_e32 v44, 28, v47
	v_lshlrev_b64 v[44:45], v44, v[32:33]
	v_lshrrev_b32_e32 v46, 3, v30
	v_sub_u32_e32 v45, 29, v47
	v_and_b32_e32 v44, 7, v44
	v_cmp_gt_u32_e32 vcc, 8, v30
	v_cndmask_b32_e32 v30, v46, v45, vcc
	v_cndmask_b32_e32 v43, v43, v44, vcc
	v_lshlrev_b32_e32 v32, 24, v32
	v_lshlrev_b32_e32 v43, 20, v43
	v_and_b32_e32 v32, 0x80000000, v32
	v_lshl_add_u32 v30, v30, 23, v33
	v_or3_b32 v30, v32, v30, v43
	v_lshrrev_b32_e32 v43, 16, v30
.LBB957_157:                            ;   in Loop: Header=BB957_15 Depth=1
	s_or_b64 exec, exec, s[10:11]
.LBB957_158:                            ;   in Loop: Header=BB957_15 Depth=1
	s_or_b64 exec, exec, s[6:7]
.LBB957_159:                            ;   in Loop: Header=BB957_15 Depth=1
	s_or_b64 exec, exec, s[4:5]
	v_perm_b32 v45, v40, v38, s16
	v_perm_b32 v44, v37, v23, s16
	;; [unrolled: 1-line block ×4, first 2 shown]
	s_waitcnt vmcnt(1)
	v_cmp_ne_u16_sdwa s[6:7], v28, v31 src0_sel:BYTE_0 src1_sel:DWORD
	v_mfma_f32_16x16x16bf16_1k v[18:21], v[44:45], v[10:11], v[18:21]
	v_mfma_f32_16x16x16bf16_1k v[18:21], v[42:43], v[12:13], v[18:21]
	s_and_saveexec_b64 s[4:5], s[6:7]
	s_cbranch_execz .LBB957_165
; %bb.160:                              ;   in Loop: Header=BB957_15 Depth=1
	v_cmp_ne_u16_sdwa s[10:11], v28, s13 src0_sel:BYTE_0 src1_sel:DWORD
	v_mov_b32_e32 v34, 0xffff8000
	s_and_saveexec_b64 s[6:7], s[10:11]
	s_cbranch_execz .LBB957_164
; %bb.161:                              ;   in Loop: Header=BB957_15 Depth=1
	v_and_b32_e32 v23, 0x7f, v28
	v_cmp_ne_u32_e32 vcc, s14, v23
	v_mov_b32_e32 v34, 0x7f80
	s_and_saveexec_b64 s[10:11], vcc
	s_cbranch_execz .LBB957_163
; %bb.162:                              ;   in Loop: Header=BB957_15 Depth=1
	v_and_b32_e32 v30, 7, v28
	v_ffbh_u32_e32 v34, v30
	v_min_u32_e32 v34, 32, v34
	v_subrev_u32_e32 v37, 28, v34
	v_lshlrev_b64 v[38:39], v37, v[28:29]
	v_lshrrev_b32_e32 v32, 3, v23
	v_sub_u32_e32 v34, 29, v34
	v_and_b32_e32 v37, 7, v38
	v_cmp_gt_u32_e32 vcc, 8, v23
	v_cndmask_b32_e32 v23, v32, v34, vcc
	v_cndmask_b32_e32 v30, v30, v37, vcc
	v_lshlrev_b32_e32 v32, 24, v28
	v_lshlrev_b32_e32 v30, 20, v30
	v_and_b32_e32 v32, 0x80000000, v32
	v_lshl_add_u32 v23, v23, 23, v33
	v_or3_b32 v23, v32, v23, v30
	v_lshrrev_b32_e32 v34, 16, v23
.LBB957_163:                            ;   in Loop: Header=BB957_15 Depth=1
	s_or_b64 exec, exec, s[10:11]
.LBB957_164:                            ;   in Loop: Header=BB957_15 Depth=1
	s_or_b64 exec, exec, s[6:7]
.LBB957_165:                            ;   in Loop: Header=BB957_15 Depth=1
	s_or_b64 exec, exec, s[4:5]
	v_lshrrev_b16_e32 v30, 8, v28
	v_cmp_ne_u16_e32 vcc, 0, v30
	v_mov_b32_e32 v32, 0
	v_mov_b32_e32 v23, 0
	s_and_saveexec_b64 s[4:5], vcc
	s_cbranch_execz .LBB957_171
; %bb.166:                              ;   in Loop: Header=BB957_15 Depth=1
	v_cmp_ne_u16_e32 vcc, s13, v30
	v_mov_b32_e32 v23, 0xffff8000
	s_and_saveexec_b64 s[6:7], vcc
	s_cbranch_execz .LBB957_170
; %bb.167:                              ;   in Loop: Header=BB957_15 Depth=1
	v_and_b32_e32 v37, 0x7f, v30
	v_cmp_ne_u32_e32 vcc, s14, v37
	v_mov_b32_e32 v23, 0x7f80
	s_and_saveexec_b64 s[10:11], vcc
	s_cbranch_execz .LBB957_169
; %bb.168:                              ;   in Loop: Header=BB957_15 Depth=1
	v_and_b32_e32 v23, 7, v30
	v_ffbh_u32_e32 v38, v23
	v_min_u32_e32 v41, 32, v38
	v_subrev_u32_e32 v38, 28, v41
	v_lshlrev_b64 v[38:39], v38, v[30:31]
	v_lshrrev_b32_e32 v40, 3, v37
	v_sub_u32_e32 v30, 29, v41
	v_and_b32_e32 v38, 7, v38
	v_cmp_gt_u32_e32 vcc, 8, v37
	v_cndmask_b32_e32 v30, v40, v30, vcc
	v_cndmask_b32_e32 v23, v23, v38, vcc
	v_lshlrev_b32_e32 v37, 16, v28
	v_lshlrev_b32_e32 v23, 20, v23
	v_and_b32_e32 v37, 0x80000000, v37
	v_lshl_add_u32 v30, v30, 23, v33
	v_or3_b32 v23, v37, v30, v23
	v_lshrrev_b32_e32 v23, 16, v23
.LBB957_169:                            ;   in Loop: Header=BB957_15 Depth=1
	s_or_b64 exec, exec, s[10:11]
.LBB957_170:                            ;   in Loop: Header=BB957_15 Depth=1
	s_or_b64 exec, exec, s[6:7]
.LBB957_171:                            ;   in Loop: Header=BB957_15 Depth=1
	s_or_b64 exec, exec, s[4:5]
	v_lshrrev_b32_e32 v30, 16, v28
	v_cmp_ne_u16_sdwa s[6:7], v30, v31 src0_sel:BYTE_0 src1_sel:DWORD
	s_and_saveexec_b64 s[4:5], s[6:7]
	s_cbranch_execz .LBB957_177
; %bb.172:                              ;   in Loop: Header=BB957_15 Depth=1
	v_cmp_ne_u16_sdwa s[10:11], v30, s13 src0_sel:BYTE_0 src1_sel:DWORD
	v_mov_b32_e32 v32, 0xffff8000
	s_and_saveexec_b64 s[6:7], s[10:11]
	s_cbranch_execz .LBB957_176
; %bb.173:                              ;   in Loop: Header=BB957_15 Depth=1
	v_bfe_u32 v37, v28, 16, 7
	v_cmp_ne_u32_e32 vcc, s14, v37
	v_mov_b32_e32 v32, 0x7f80
	s_and_saveexec_b64 s[10:11], vcc
	s_cbranch_execz .LBB957_175
; %bb.174:                              ;   in Loop: Header=BB957_15 Depth=1
	v_and_b32_e32 v32, 7, v30
	v_ffbh_u32_e32 v38, v32
	v_min_u32_e32 v41, 32, v38
	v_subrev_u32_e32 v38, 28, v41
	v_lshlrev_b64 v[38:39], v38, v[30:31]
	v_lshrrev_b32_e32 v40, 3, v37
	v_sub_u32_e32 v39, 29, v41
	v_and_b32_e32 v38, 7, v38
	v_cmp_gt_u32_e32 vcc, 8, v37
	v_cndmask_b32_e32 v37, v40, v39, vcc
	v_cndmask_b32_e32 v32, v32, v38, vcc
	v_lshlrev_b32_e32 v30, 24, v30
	v_lshlrev_b32_e32 v32, 20, v32
	v_and_b32_e32 v30, 0x80000000, v30
	v_lshl_add_u32 v37, v37, 23, v33
	v_or3_b32 v30, v30, v37, v32
	v_lshrrev_b32_e32 v32, 16, v30
.LBB957_175:                            ;   in Loop: Header=BB957_15 Depth=1
	s_or_b64 exec, exec, s[10:11]
.LBB957_176:                            ;   in Loop: Header=BB957_15 Depth=1
	s_or_b64 exec, exec, s[6:7]
.LBB957_177:                            ;   in Loop: Header=BB957_15 Depth=1
	s_or_b64 exec, exec, s[4:5]
	v_cmp_lt_u32_e32 vcc, s15, v28
	v_mov_b32_e32 v37, 0
	v_mov_b32_e32 v38, 0
	s_and_saveexec_b64 s[4:5], vcc
	s_cbranch_execz .LBB957_183
; %bb.178:                              ;   in Loop: Header=BB957_15 Depth=1
	v_lshrrev_b32_e32 v30, 24, v28
	v_cmp_ne_u32_e32 vcc, s13, v30
	v_mov_b32_e32 v38, 0xffff8000
	s_and_saveexec_b64 s[6:7], vcc
	s_cbranch_execz .LBB957_182
; %bb.179:                              ;   in Loop: Header=BB957_15 Depth=1
	v_bfe_u32 v28, v28, 24, 7
	v_cmp_ne_u32_e32 vcc, s14, v28
	v_mov_b32_e32 v38, 0x7f80
	s_and_saveexec_b64 s[10:11], vcc
	s_cbranch_execz .LBB957_181
; %bb.180:                              ;   in Loop: Header=BB957_15 Depth=1
	v_and_b32_e32 v40, 7, v30
	v_ffbh_u32_e32 v38, v40
	v_min_u32_e32 v42, 32, v38
	v_subrev_u32_e32 v38, 28, v42
	v_lshlrev_b64 v[38:39], v38, v[30:31]
	v_lshrrev_b32_e32 v41, 3, v28
	v_sub_u32_e32 v39, 29, v42
	v_and_b32_e32 v38, 7, v38
	v_cmp_gt_u32_e32 vcc, 8, v28
	v_cndmask_b32_e32 v28, v41, v39, vcc
	v_cndmask_b32_e32 v38, v40, v38, vcc
	v_lshlrev_b32_e32 v30, 24, v30
	v_lshlrev_b32_e32 v38, 20, v38
	v_and_b32_e32 v30, 0x80000000, v30
	v_lshl_add_u32 v28, v28, 23, v33
	v_or3_b32 v28, v30, v28, v38
	v_lshrrev_b32_e32 v38, 16, v28
.LBB957_181:                            ;   in Loop: Header=BB957_15 Depth=1
	s_or_b64 exec, exec, s[10:11]
.LBB957_182:                            ;   in Loop: Header=BB957_15 Depth=1
	s_or_b64 exec, exec, s[6:7]
.LBB957_183:                            ;   in Loop: Header=BB957_15 Depth=1
	s_or_b64 exec, exec, s[4:5]
	s_waitcnt vmcnt(0)
	v_cmp_ne_u16_sdwa s[6:7], v26, v31 src0_sel:BYTE_0 src1_sel:DWORD
	s_and_saveexec_b64 s[4:5], s[6:7]
	s_cbranch_execz .LBB957_189
; %bb.184:                              ;   in Loop: Header=BB957_15 Depth=1
	v_cmp_ne_u16_sdwa s[10:11], v26, s13 src0_sel:BYTE_0 src1_sel:DWORD
	v_mov_b32_e32 v37, 0xffff8000
	s_and_saveexec_b64 s[6:7], s[10:11]
	s_cbranch_execz .LBB957_188
; %bb.185:                              ;   in Loop: Header=BB957_15 Depth=1
	v_and_b32_e32 v28, 0x7f, v26
	v_cmp_ne_u32_e32 vcc, s14, v28
	v_mov_b32_e32 v37, 0x7f80
	s_and_saveexec_b64 s[10:11], vcc
	s_cbranch_execz .LBB957_187
; %bb.186:                              ;   in Loop: Header=BB957_15 Depth=1
	v_and_b32_e32 v30, 7, v26
	v_ffbh_u32_e32 v39, v30
	v_min_u32_e32 v39, 32, v39
	v_subrev_u32_e32 v40, 28, v39
	v_lshlrev_b64 v[40:41], v40, v[26:27]
	v_lshrrev_b32_e32 v37, 3, v28
	v_sub_u32_e32 v39, 29, v39
	v_and_b32_e32 v40, 7, v40
	v_cmp_gt_u32_e32 vcc, 8, v28
	v_cndmask_b32_e32 v28, v37, v39, vcc
	v_cndmask_b32_e32 v30, v30, v40, vcc
	v_lshlrev_b32_e32 v37, 24, v26
	v_lshlrev_b32_e32 v30, 20, v30
	v_and_b32_e32 v37, 0x80000000, v37
	v_lshl_add_u32 v28, v28, 23, v33
	v_or3_b32 v28, v37, v28, v30
	v_lshrrev_b32_e32 v37, 16, v28
.LBB957_187:                            ;   in Loop: Header=BB957_15 Depth=1
	s_or_b64 exec, exec, s[10:11]
.LBB957_188:                            ;   in Loop: Header=BB957_15 Depth=1
	s_or_b64 exec, exec, s[6:7]
.LBB957_189:                            ;   in Loop: Header=BB957_15 Depth=1
	s_or_b64 exec, exec, s[4:5]
	v_lshrrev_b16_e32 v28, 8, v26
	v_cmp_ne_u16_e32 vcc, 0, v28
	v_mov_b32_e32 v39, 0
	v_mov_b32_e32 v30, 0
	s_and_saveexec_b64 s[4:5], vcc
	s_cbranch_execz .LBB957_195
; %bb.190:                              ;   in Loop: Header=BB957_15 Depth=1
	v_cmp_ne_u16_e32 vcc, s13, v28
	v_mov_b32_e32 v30, 0xffff8000
	s_and_saveexec_b64 s[6:7], vcc
	s_cbranch_execz .LBB957_194
; %bb.191:                              ;   in Loop: Header=BB957_15 Depth=1
	v_and_b32_e32 v40, 0x7f, v28
	v_cmp_ne_u32_e32 vcc, s14, v40
	v_mov_b32_e32 v30, 0x7f80
	s_and_saveexec_b64 s[10:11], vcc
	s_cbranch_execz .LBB957_193
; %bb.192:                              ;   in Loop: Header=BB957_15 Depth=1
	v_and_b32_e32 v30, 7, v28
	v_ffbh_u32_e32 v42, v30
	v_min_u32_e32 v44, 32, v42
	v_subrev_u32_e32 v42, 28, v44
	v_lshlrev_b64 v[42:43], v42, v[28:29]
	v_lshrrev_b32_e32 v41, 3, v40
	v_sub_u32_e32 v28, 29, v44
	v_and_b32_e32 v42, 7, v42
	v_cmp_gt_u32_e32 vcc, 8, v40
	v_cndmask_b32_e32 v28, v41, v28, vcc
	v_cndmask_b32_e32 v30, v30, v42, vcc
	v_lshlrev_b32_e32 v40, 16, v26
	v_lshlrev_b32_e32 v30, 20, v30
	v_and_b32_e32 v40, 0x80000000, v40
	v_lshl_add_u32 v28, v28, 23, v33
	v_or3_b32 v28, v40, v28, v30
	v_lshrrev_b32_e32 v30, 16, v28
.LBB957_193:                            ;   in Loop: Header=BB957_15 Depth=1
	s_or_b64 exec, exec, s[10:11]
.LBB957_194:                            ;   in Loop: Header=BB957_15 Depth=1
	s_or_b64 exec, exec, s[6:7]
.LBB957_195:                            ;   in Loop: Header=BB957_15 Depth=1
	s_or_b64 exec, exec, s[4:5]
	v_lshrrev_b32_e32 v28, 16, v26
	v_cmp_ne_u16_sdwa s[6:7], v28, v31 src0_sel:BYTE_0 src1_sel:DWORD
	s_and_saveexec_b64 s[4:5], s[6:7]
	s_cbranch_execz .LBB957_201
; %bb.196:                              ;   in Loop: Header=BB957_15 Depth=1
	v_cmp_ne_u16_sdwa s[10:11], v28, s13 src0_sel:BYTE_0 src1_sel:DWORD
	v_mov_b32_e32 v39, 0xffff8000
	s_and_saveexec_b64 s[6:7], s[10:11]
	s_cbranch_execz .LBB957_200
; %bb.197:                              ;   in Loop: Header=BB957_15 Depth=1
	v_bfe_u32 v40, v26, 16, 7
	v_cmp_ne_u32_e32 vcc, s14, v40
	v_mov_b32_e32 v39, 0x7f80
	s_and_saveexec_b64 s[10:11], vcc
	s_cbranch_execz .LBB957_199
; %bb.198:                              ;   in Loop: Header=BB957_15 Depth=1
	v_and_b32_e32 v39, 7, v28
	v_ffbh_u32_e32 v42, v39
	v_min_u32_e32 v44, 32, v42
	v_subrev_u32_e32 v42, 28, v44
	v_lshlrev_b64 v[42:43], v42, v[28:29]
	v_lshrrev_b32_e32 v41, 3, v40
	v_sub_u32_e32 v43, 29, v44
	v_and_b32_e32 v42, 7, v42
	v_cmp_gt_u32_e32 vcc, 8, v40
	v_cndmask_b32_e32 v40, v41, v43, vcc
	v_cndmask_b32_e32 v39, v39, v42, vcc
	v_lshlrev_b32_e32 v28, 24, v28
	v_lshlrev_b32_e32 v39, 20, v39
	v_and_b32_e32 v28, 0x80000000, v28
	v_lshl_add_u32 v40, v40, 23, v33
	v_or3_b32 v28, v28, v40, v39
	v_lshrrev_b32_e32 v39, 16, v28
.LBB957_199:                            ;   in Loop: Header=BB957_15 Depth=1
	s_or_b64 exec, exec, s[10:11]
.LBB957_200:                            ;   in Loop: Header=BB957_15 Depth=1
	s_or_b64 exec, exec, s[6:7]
.LBB957_201:                            ;   in Loop: Header=BB957_15 Depth=1
	s_or_b64 exec, exec, s[4:5]
	v_cmp_lt_u32_e32 vcc, s15, v26
	v_mov_b32_e32 v40, 0
	s_and_saveexec_b64 s[4:5], vcc
	s_cbranch_execz .LBB957_14
; %bb.202:                              ;   in Loop: Header=BB957_15 Depth=1
	v_lshrrev_b32_e32 v28, 24, v26
	v_cmp_ne_u32_e32 vcc, s13, v28
	v_mov_b32_e32 v40, 0xffff8000
	s_and_saveexec_b64 s[6:7], vcc
	s_cbranch_execz .LBB957_13
; %bb.203:                              ;   in Loop: Header=BB957_15 Depth=1
	v_bfe_u32 v26, v26, 24, 7
	v_cmp_ne_u32_e32 vcc, s14, v26
	v_mov_b32_e32 v40, 0x7f80
	s_and_saveexec_b64 s[10:11], vcc
	s_cbranch_execz .LBB957_12
; %bb.204:                              ;   in Loop: Header=BB957_15 Depth=1
	v_and_b32_e32 v42, 7, v28
	v_ffbh_u32_e32 v40, v42
	v_min_u32_e32 v44, 32, v40
	v_subrev_u32_e32 v40, 28, v44
	v_lshlrev_b64 v[40:41], v40, v[28:29]
	v_lshrrev_b32_e32 v43, 3, v26
	v_sub_u32_e32 v41, 29, v44
	v_and_b32_e32 v40, 7, v40
	v_cmp_gt_u32_e32 vcc, 8, v26
	v_cndmask_b32_e32 v26, v43, v41, vcc
	v_cndmask_b32_e32 v40, v42, v40, vcc
	v_lshlrev_b32_e32 v28, 24, v28
	v_lshlrev_b32_e32 v40, 20, v40
	v_and_b32_e32 v28, 0x80000000, v28
	v_lshl_add_u32 v26, v26, 23, v33
	v_or3_b32 v26, v28, v26, v40
	v_lshrrev_b32_e32 v40, 16, v26
	s_branch .LBB957_12
.LBB957_205:
	buffer_load_dword v13, off, s[0:3], 0 offset:256
	buffer_load_dword v14, off, s[0:3], 0 offset:260
	;; [unrolled: 1-line block ×16, first 2 shown]
	v_and_b32_e32 v12, 0xc0, v0
	v_add_u32_e32 v12, s20, v12
	v_lshl_or_b32 v12, v1, 2, v12
	v_or_b32_e32 v23, 1, v12
	v_mov_b32_e32 v19, 0xff7fffff
	v_or_b32_e32 v24, 2, v12
	v_or_b32_e32 v25, 3, v12
	v_cmp_gt_i32_e64 s[26:27], s33, v12
	v_cmp_gt_i32_e64 s[28:29], s33, v23
	s_mov_b32 s52, 0xff7fffff
	v_or_b32_e32 v26, 16, v12
	v_or_b32_e32 v27, 17, v12
	;; [unrolled: 1-line block ×12, first 2 shown]
	v_cmp_gt_i32_e64 s[30:31], s33, v24
	v_cmp_gt_i32_e64 s[34:35], s33, v25
	v_mbcnt_lo_u32_b32 v20, -1, 0
	v_cmp_gt_i32_e64 s[36:37], s33, v26
	v_cmp_gt_i32_e64 s[38:39], s33, v27
	v_mbcnt_hi_u32_b32 v20, -1, v20
	v_cmp_gt_i32_e64 s[20:21], s33, v28
	v_cmp_gt_i32_e64 s[22:23], s33, v29
	v_and_b32_e32 v21, 64, v20
	v_cmp_gt_i32_e64 s[16:17], s33, v30
	v_cmp_gt_i32_e64 s[18:19], s33, v31
	v_xor_b32_e32 v22, 32, v20
	v_add_u32_e32 v21, 64, v21
	v_cmp_gt_i32_e64 s[12:13], s33, v32
	v_cmp_gt_i32_e64 s[14:15], s33, v33
	v_cmp_lt_i32_e32 vcc, v22, v21
	v_cmp_gt_i32_e64 s[6:7], s33, v34
	v_cmp_gt_i32_e64 s[10:11], s33, v37
	v_cndmask_b32_e32 v22, v20, v22, vcc
	v_cmp_gt_i32_e32 vcc, s33, v38
	v_cmp_gt_i32_e64 s[4:5], s33, v39
	v_lshlrev_b32_e32 v22, 2, v22
	s_waitcnt vmcnt(15)
	v_cndmask_b32_e64 v12, v19, v13, s[26:27]
	s_waitcnt vmcnt(14)
	v_cndmask_b32_e64 v23, v19, v14, s[28:29]
	;; [unrolled: 2-line block ×4, first 2 shown]
	v_max3_f32 v12, v12, s52, v23
	s_waitcnt vmcnt(11)
	v_cndmask_b32_e64 v26, v19, v17, s[36:37]
	s_waitcnt vmcnt(10)
	v_cndmask_b32_e64 v27, v19, v18, s[38:39]
	v_max3_f32 v12, v12, v24, v25
	s_waitcnt vmcnt(9)
	v_cndmask_b32_e64 v28, v19, v11, s[20:21]
	s_waitcnt vmcnt(8)
	v_cndmask_b32_e64 v29, v19, v10, s[22:23]
	v_max3_f32 v12, v12, v26, v27
	s_waitcnt vmcnt(7)
	v_cndmask_b32_e64 v30, v19, v9, s[16:17]
	s_waitcnt vmcnt(6)
	v_cndmask_b32_e64 v31, v19, v8, s[18:19]
	v_max3_f32 v12, v12, v28, v29
	s_waitcnt vmcnt(5)
	v_cndmask_b32_e64 v32, v19, v7, s[12:13]
	s_waitcnt vmcnt(4)
	v_cndmask_b32_e64 v33, v19, v6, s[14:15]
	v_max3_f32 v12, v12, v30, v31
	s_waitcnt vmcnt(3)
	v_cndmask_b32_e64 v34, v19, v5, s[6:7]
	s_waitcnt vmcnt(2)
	v_cndmask_b32_e64 v37, v19, v4, s[10:11]
	v_max3_f32 v12, v12, v32, v33
	s_waitcnt vmcnt(1)
	v_cndmask_b32_e32 v38, v19, v3, vcc
	s_waitcnt vmcnt(0)
	v_cndmask_b32_e64 v19, v19, v2, s[4:5]
	v_max3_f32 v12, v12, v34, v37
	v_max3_f32 v12, v12, v38, v19
	ds_bpermute_b32 v19, v22, v12
	v_xor_b32_e32 v23, 16, v20
	v_cmp_lt_i32_e64 s[40:41], v23, v21
	v_cndmask_b32_e64 v20, v20, v23, s[40:41]
	v_lshlrev_b32_e32 v20, 2, v20
	s_waitcnt lgkmcnt(0)
	v_max_f32_e32 v19, v19, v19
	v_max_f32_e32 v12, v12, v19
	ds_bpermute_b32 v19, v20, v12
	s_waitcnt lgkmcnt(0)
	v_max_f32_e32 v19, v19, v19
	v_max_f32_e32 v12, v12, v19
	v_sub_f32_e32 v13, v13, v12
	v_sub_f32_e32 v14, v14, v12
	;; [unrolled: 1-line block ×3, first 2 shown]
	v_mul_f32_e32 v13, 0x3fb8aa3b, v13
	v_mul_f32_e32 v14, 0x3fb8aa3b, v14
	;; [unrolled: 1-line block ×3, first 2 shown]
	v_exp_f32_e32 v13, v13
	v_exp_f32_e32 v14, v14
	v_exp_f32_e32 v15, v15
	v_sub_f32_e32 v16, v16, v12
	v_cndmask_b32_e64 v13, 0, v13, s[26:27]
	v_mul_f32_e32 v16, 0x3fb8aa3b, v16
	v_cndmask_b32_e64 v14, 0, v14, s[28:29]
	v_cndmask_b32_e64 v15, 0, v15, s[30:31]
	v_add_f32_e32 v19, 0, v13
	buffer_store_dword v13, off, s[0:3], 0 offset:256
	buffer_store_dword v14, off, s[0:3], 0 offset:260
	;; [unrolled: 1-line block ×3, first 2 shown]
	v_sub_f32_e32 v13, v17, v12
	v_exp_f32_e32 v16, v16
	v_add_f32_e32 v19, v19, v14
	v_mul_f32_e32 v13, 0x3fb8aa3b, v13
	v_sub_f32_e32 v14, v18, v12
	v_exp_f32_e32 v13, v13
	v_mul_f32_e32 v14, 0x3fb8aa3b, v14
	v_sub_f32_e32 v11, v11, v12
	v_exp_f32_e32 v14, v14
	;; [unrolled: 3-line block ×3, first 2 shown]
	v_mul_f32_e32 v10, 0x3fb8aa3b, v10
	v_sub_f32_e32 v9, v9, v12
	v_cndmask_b32_e64 v16, 0, v16, s[34:35]
	v_add_f32_e32 v19, v19, v15
	v_exp_f32_e32 v10, v10
	v_mul_f32_e32 v9, 0x3fb8aa3b, v9
	v_sub_f32_e32 v8, v8, v12
	v_add_f32_e32 v19, v19, v16
	v_cndmask_b32_e64 v13, 0, v13, s[36:37]
	v_exp_f32_e32 v9, v9
	v_mul_f32_e32 v8, 0x3fb8aa3b, v8
	v_sub_f32_e32 v7, v7, v12
	v_add_f32_e32 v15, v19, v13
	v_cndmask_b32_e64 v14, 0, v14, s[38:39]
	;; [unrolled: 5-line block ×5, first 2 shown]
	v_exp_f32_e32 v5, v5
	v_mul_f32_e32 v4, 0x3fb8aa3b, v4
	v_sub_f32_e32 v3, v3, v12
	buffer_store_dword v16, off, s[0:3], 0 offset:268
	buffer_store_dword v13, off, s[0:3], 0 offset:272
	;; [unrolled: 1-line block ×5, first 2 shown]
	v_add_f32_e32 v10, v15, v9
	v_cndmask_b32_e64 v8, 0, v8, s[18:19]
	v_exp_f32_e32 v4, v4
	v_mul_f32_e32 v3, 0x3fb8aa3b, v3
	v_sub_f32_e32 v2, v2, v12
	v_add_f32_e32 v10, v10, v8
	v_cndmask_b32_e64 v7, 0, v7, s[12:13]
	v_exp_f32_e32 v3, v3
	v_mul_f32_e32 v2, 0x3fb8aa3b, v2
	v_add_f32_e32 v10, v10, v7
	v_cndmask_b32_e64 v6, 0, v6, s[14:15]
	v_exp_f32_e32 v2, v2
	v_add_f32_e32 v10, v10, v6
	v_cndmask_b32_e64 v5, 0, v5, s[6:7]
	buffer_store_dword v9, off, s[0:3], 0 offset:288
	buffer_store_dword v8, off, s[0:3], 0 offset:292
	;; [unrolled: 1-line block ×4, first 2 shown]
	v_add_f32_e32 v6, v10, v5
	v_cndmask_b32_e64 v4, 0, v4, s[10:11]
	v_add_f32_e32 v6, v6, v4
	v_cndmask_b32_e32 v3, 0, v3, vcc
	v_add_f32_e32 v6, v6, v3
	v_cndmask_b32_e64 v2, 0, v2, s[4:5]
	v_add_f32_e32 v6, v6, v2
	ds_bpermute_b32 v7, v22, v6
	buffer_store_dword v5, off, s[0:3], 0 offset:304
	buffer_store_dword v4, off, s[0:3], 0 offset:308
	;; [unrolled: 1-line block ×4, first 2 shown]
	v_cmp_gt_u32_e32 vcc, 16, v62
	s_waitcnt lgkmcnt(0)
	s_barrier
	v_add_f32_e32 v2, v6, v7
	ds_bpermute_b32 v3, v20, v2
	s_waitcnt lgkmcnt(0)
	s_and_saveexec_b64 s[4:5], vcc
	s_cbranch_execz .LBB957_207
; %bb.206:
	v_add_f32_e32 v2, v2, v3
	v_lshlrev_b32_e32 v3, 2, v61
	ds_write2st64_b32 v3, v12, v2 offset1:1
.LBB957_207:
	s_or_b64 exec, exec, s[4:5]
	v_lshlrev_b32_e32 v2, 2, v51
	s_waitcnt lgkmcnt(0)
	s_barrier
	ds_read2_b32 v[14:15], v2 offset1:16
	ds_read2_b32 v[16:17], v2 offset0:32 offset1:48
	ds_read2_b32 v[6:7], v2 offset0:64 offset1:80
	;; [unrolled: 1-line block ×3, first 2 shown]
	s_waitcnt lgkmcnt(0)
	s_barrier
	buffer_load_dword v20, off, s[0:3], 0 offset:264
	buffer_load_dword v21, off, s[0:3], 0 offset:268
	;; [unrolled: 1-line block ×16, first 2 shown]
	v_max3_f32 v18, v14, s52, v15
	v_max3_f32 v18, v18, v16, v17
	v_sub_f32_e32 v14, v14, v18
	v_sub_f32_e32 v15, v15, v18
	v_mul_f32_e32 v14, 0x3fb8aa3b, v14
	v_sub_f32_e32 v16, v16, v18
	v_mul_f32_e32 v15, 0x3fb8aa3b, v15
	v_exp_f32_e32 v14, v14
	v_sub_f32_e32 v17, v17, v18
	v_mul_f32_e32 v16, 0x3fb8aa3b, v16
	v_exp_f32_e32 v15, v15
	v_mul_f32_e32 v17, 0x3fb8aa3b, v17
	v_exp_f32_e32 v16, v16
	v_exp_f32_e32 v17, v17
	v_fma_f32 v6, v14, v6, 0
	v_fmac_f32_e32 v6, v15, v7
	v_fmac_f32_e32 v6, v16, v10
	;; [unrolled: 1-line block ×3, first 2 shown]
	v_cmp_eq_u32_e32 vcc, 1, v60
	v_add_f32_e32 v10, 0x358637bd, v6
	v_cndmask_b32_e32 v14, v14, v15, vcc
	v_cmp_eq_u32_e32 vcc, 2, v60
	v_div_scale_f32 v11, s[4:5], v10, v10, 1.0
	v_cndmask_b32_e32 v7, v14, v16, vcc
	v_rcp_f32_e32 v14, v11
	v_cmp_eq_u32_e32 vcc, 3, v60
	v_cndmask_b32_e32 v7, v7, v17, vcc
	v_div_scale_f32 v15, vcc, 1.0, v10, 1.0
	v_fma_f32 v16, -v11, v14, 1.0
	v_fmac_f32_e32 v14, v16, v14
	v_mul_f32_e32 v16, v15, v14
	v_fma_f32 v17, -v11, v16, v15
	v_fmac_f32_e32 v16, v17, v14
	v_fma_f32 v11, -v11, v16, v15
	v_div_fmas_f32 v11, v11, v14, v16
	v_div_fixup_f32 v10, v11, v10, 1.0
	v_mul_f32_e32 v10, v7, v10
	s_movk_i32 s19, 0x7fff
	s_mov_b32 s20, 0x7060302
	s_lshl_b32 s18, s51, 4
	v_cmp_gt_u32_e32 vcc, 16, v0
	s_waitcnt vmcnt(14)
	v_pk_mul_f32 v[14:15], v[10:11], v[20:21] op_sel_hi:[0,1]
	v_bfe_u32 v20, v14, 16, 1
	s_waitcnt vmcnt(12)
	v_pk_mul_f32 v[16:17], v[10:11], v[22:23] op_sel_hi:[0,1]
	v_bfe_u32 v7, v17, 16, 1
	v_bfe_u32 v11, v16, 16, 1
	v_add3_u32 v11, v16, v11, s19
	v_add3_u32 v7, v17, v7, s19
	buffer_store_dword v16, off, s[0:3], 0 offset:256
	buffer_store_dword v17, off, s[0:3], 0 offset:260
	;; [unrolled: 1-line block ×4, first 2 shown]
	v_add3_u32 v16, v14, v20, s19
	v_perm_b32 v14, v7, v11, s20
	v_lshlrev_b32_e32 v11, 11, v60
	v_lshlrev_b32_e32 v7, 3, v1
	s_waitcnt vmcnt(12)
	v_pk_mul_f32 v[8:9], v[10:11], v[8:9] op_sel_hi:[0,1]
	v_or3_b32 v39, v11, v36, v7
	v_pk_mul_f32 v[12:13], v[10:11], v[12:13] op_sel_hi:[0,1]
	v_bfe_u32 v7, v9, 16, 1
	v_bfe_u32 v11, v8, 16, 1
	buffer_store_dword v8, off, s[0:3], 0 offset:272
	buffer_store_dword v9, off, s[0:3], 0 offset:276
	;; [unrolled: 1-line block ×4, first 2 shown]
	v_add3_u32 v8, v8, v11, s19
	v_add3_u32 v7, v9, v7, s19
	v_bfe_u32 v19, v15, 16, 1
	v_perm_b32 v8, v7, v8, s20
	v_bfe_u32 v7, v13, 16, 1
	v_bfe_u32 v9, v12, 16, 1
	v_add3_u32 v15, v15, v19, s19
	v_add3_u32 v9, v12, v9, s19
	v_add3_u32 v7, v13, v7, s19
	v_perm_b32 v15, v15, v16, s20
	v_perm_b32 v9, v7, v9, s20
	s_waitcnt vmcnt(14)
	v_pk_mul_f32 v[12:13], v[10:11], v[24:25] op_sel_hi:[0,1]
	ds_write2st64_b64 v39, v[14:15], v[8:9] offset1:1
	s_waitcnt vmcnt(12)
	v_pk_mul_f32 v[8:9], v[10:11], v[26:27] op_sel_hi:[0,1]
	v_bfe_u32 v7, v13, 16, 1
	v_bfe_u32 v11, v12, 16, 1
	v_add3_u32 v11, v12, v11, s19
	v_add3_u32 v7, v13, v7, s19
	buffer_store_dword v12, off, s[0:3], 0 offset:288
	buffer_store_dword v13, off, s[0:3], 0 offset:292
	;; [unrolled: 1-line block ×4, first 2 shown]
	v_perm_b32 v12, v7, v11, s20
	v_bfe_u32 v7, v9, 16, 1
	v_bfe_u32 v11, v8, 16, 1
	v_add3_u32 v8, v8, v11, s19
	v_add3_u32 v7, v9, v7, s19
	s_waitcnt vmcnt(14)
	v_pk_mul_f32 v[2:3], v[10:11], v[2:3] op_sel_hi:[0,1]
	v_perm_b32 v13, v7, v8, s20
	v_bfe_u32 v7, v3, 16, 1
	v_bfe_u32 v8, v2, 16, 1
	s_waitcnt vmcnt(12)
	v_pk_mul_f32 v[4:5], v[10:11], v[4:5] op_sel_hi:[0,1]
	buffer_store_dword v2, off, s[0:3], 0 offset:304
	buffer_store_dword v3, off, s[0:3], 0 offset:308
	;; [unrolled: 1-line block ×4, first 2 shown]
	v_add3_u32 v2, v2, v8, s19
	v_add3_u32 v3, v3, v7, s19
	v_perm_b32 v2, v3, v2, s20
	v_bfe_u32 v3, v5, 16, 1
	v_bfe_u32 v7, v4, 16, 1
	v_add3_u32 v4, v4, v7, s19
	v_add3_u32 v3, v5, v3, s19
	v_perm_b32 v3, v3, v4, s20
	ds_write2st64_b64 v39, v[12:13], v[2:3] offset0:2 offset1:3
	s_and_saveexec_b64 s[4:5], vcc
	s_cbranch_execz .LBB957_209
; %bb.208:
	v_or_b32_e32 v2, s25, v0
	v_mov_b32_e32 v3, 0
	v_mov_b32_e32 v4, s18
	v_mad_u64_u32 v[4:5], s[6:7], s8, v4, v[2:3]
	v_mov_b32_e32 v2, s24
	s_mul_i32 s9, s9, s18
	v_mad_u64_u32 v[2:3], s[6:7], v4, s50, v[2:3]
	v_add_u32_e32 v5, s9, v5
	v_mov_b32_e32 v4, v3
	v_mad_u64_u32 v[4:5], s[6:7], v5, s50, v[4:5]
	v_mov_b32_e32 v3, v4
	v_lshlrev_b64 v[2:3], 2, v[2:3]
	v_mov_b32_e32 v5, s47
	v_add_co_u32_e32 v4, vcc, s46, v2
	v_addc_co_u32_e32 v5, vcc, v5, v3, vcc
	global_store_dword v[4:5], v18, off
	v_mov_b32_e32 v4, s45
	v_add_co_u32_e32 v2, vcc, s44, v2
	v_addc_co_u32_e32 v3, vcc, v4, v3, vcc
	global_store_dword v[2:3], v6, off
.LBB957_209:
	s_or_b64 exec, exec, s[4:5]
	s_waitcnt lgkmcnt(0)
	s_barrier
	s_load_dword s4, s[42:43], 0x0
	ds_read_b128 v[2:5], v35
	ds_read_b128 v[6:9], v35 offset:16
	ds_read_b128 v[10:13], v35 offset:2048
	;; [unrolled: 1-line block ×7, first 2 shown]
	v_mov_b32_e32 v35, 0x80
	v_mov_b32_e32 v41, 0x140
	s_mov_b64 s[10:11], -1
	s_waitcnt lgkmcnt(0)
	s_mov_b32 s5, s4
	s_mov_b32 s6, s4
	;; [unrolled: 1-line block ×3, first 2 shown]
	s_movk_i32 s9, 0x80
	s_movk_i32 s21, 0x7f
	s_mov_b32 s22, 0xffffff
	s_mov_b32 s23, 0x5040100
	v_mov_b32_e32 v43, 0
	v_bfrev_b32_e32 v45, 60
	s_branch .LBB957_213
.LBB957_210:                            ;   in Loop: Header=BB957_213 Depth=1
	s_or_b64 exec, exec, s[16:17]
.LBB957_211:                            ;   in Loop: Header=BB957_213 Depth=1
	s_or_b64 exec, exec, s[14:15]
.LBB957_212:                            ;   in Loop: Header=BB957_213 Depth=1
	s_or_b64 exec, exec, s[12:13]
	v_perm_b32 v47, v49, v47, s23
	v_perm_b32 v46, v44, v46, s23
	s_xor_b64 s[12:13], s[10:11], -1
	s_mov_b64 s[10:11], 0
	v_mov_b32_e32 v59, v54
	v_mfma_f32_16x16x16bf16_1k v[60:63], v[46:47], v[30:31], v[34:37]
	s_and_b64 vcc, exec, s[12:13]
	s_nop 5
	v_perm_b32 v37, v58, v57, s23
	v_perm_b32 v36, v42, v48, s23
	v_mov_b32_e32 v35, v53
	v_mov_b32_e32 v58, v55
	v_mfma_f32_16x16x16bf16_1k v[46:49], v[36:37], v[32:33], v[60:63]
	v_mov_b32_e32 v57, v56
	s_nop 7
	s_nop 1
	v_pk_mul_f32 v[46:47], v[46:47], s[4:5]
	v_pk_mul_f32 v[36:37], v[48:49], s[6:7]
	v_bfe_u32 v34, v47, 16, 1
	v_bfe_u32 v38, v46, 16, 1
	;; [unrolled: 1-line block ×4, first 2 shown]
	v_add3_u32 v38, v46, v38, s19
	v_add3_u32 v34, v47, v34, s19
	v_add3_u32 v36, v36, v42, s19
	v_add3_u32 v37, v37, v40, s19
	v_perm_b32 v34, v34, v38, s20
	v_perm_b32 v36, v37, v36, s20
	buffer_store_dword v34, v41, s[0:3], 0 offen
	buffer_store_dword v36, v41, s[0:3], 0 offen offset:4
	v_mov_b32_e32 v41, 0x148
	s_cbranch_vccnz .LBB957_595
.LBB957_213:                            ; =>This Inner Loop Header: Depth=1
	buffer_load_dword v36, v35, s[0:3], 0 offen
	buffer_load_dword v34, v35, s[0:3], 0 offen offset:4
	buffer_load_dword v40, v35, s[0:3], 0 offen offset:8
	;; [unrolled: 1-line block ×3, first 2 shown]
	v_mov_b32_e32 v35, 0
	s_waitcnt vmcnt(3)
	v_cmp_ne_u16_sdwa s[14:15], v36, v43 src0_sel:BYTE_0 src1_sel:DWORD
	s_and_saveexec_b64 s[12:13], s[14:15]
	s_cbranch_execz .LBB957_219
; %bb.214:                              ;   in Loop: Header=BB957_213 Depth=1
	v_cmp_ne_u16_sdwa s[16:17], v36, s9 src0_sel:BYTE_0 src1_sel:DWORD
	v_mov_b32_e32 v35, 0xffff8000
	s_and_saveexec_b64 s[14:15], s[16:17]
	s_cbranch_execz .LBB957_218
; %bb.215:                              ;   in Loop: Header=BB957_213 Depth=1
	v_and_b32_e32 v37, 0x7f, v36
	v_cmp_ne_u32_e32 vcc, s21, v37
	v_mov_b32_e32 v35, 0x7f80
	s_and_saveexec_b64 s[16:17], vcc
	s_cbranch_execz .LBB957_217
; %bb.216:                              ;   in Loop: Header=BB957_213 Depth=1
	v_and_b32_e32 v35, 7, v36
	v_ffbh_u32_e32 v44, v35
	v_min_u32_e32 v44, 32, v44
	v_subrev_u32_e32 v46, 28, v44
	v_lshlrev_b64 v[46:47], v46, v[36:37]
	v_lshrrev_b32_e32 v42, 3, v37
	v_sub_u32_e32 v44, 29, v44
	v_and_b32_e32 v46, 7, v46
	v_cmp_gt_u32_e32 vcc, 8, v37
	v_cndmask_b32_e32 v37, v42, v44, vcc
	v_cndmask_b32_e32 v35, v35, v46, vcc
	v_lshlrev_b32_e32 v42, 24, v36
	v_lshlrev_b32_e32 v35, 20, v35
	v_and_b32_e32 v42, 0x80000000, v42
	v_lshl_add_u32 v37, v37, 23, v45
	v_or3_b32 v35, v42, v37, v35
	v_lshrrev_b32_e32 v35, 16, v35
.LBB957_217:                            ;   in Loop: Header=BB957_213 Depth=1
	s_or_b64 exec, exec, s[16:17]
.LBB957_218:                            ;   in Loop: Header=BB957_213 Depth=1
	s_or_b64 exec, exec, s[14:15]
.LBB957_219:                            ;   in Loop: Header=BB957_213 Depth=1
	s_or_b64 exec, exec, s[12:13]
	v_lshrrev_b16_e32 v42, 8, v36
	v_cmp_ne_u16_e32 vcc, 0, v42
	v_mov_b32_e32 v46, 0
	v_mov_b32_e32 v37, 0
	s_and_saveexec_b64 s[12:13], vcc
	s_cbranch_execz .LBB957_225
; %bb.220:                              ;   in Loop: Header=BB957_213 Depth=1
	v_cmp_ne_u16_e32 vcc, s9, v42
	v_mov_b32_e32 v37, 0xffff8000
	s_and_saveexec_b64 s[14:15], vcc
	s_cbranch_execz .LBB957_224
; %bb.221:                              ;   in Loop: Header=BB957_213 Depth=1
	v_and_b32_e32 v44, 0x7f, v42
	v_cmp_ne_u32_e32 vcc, s21, v44
	v_mov_b32_e32 v37, 0x7f80
	s_and_saveexec_b64 s[16:17], vcc
	s_cbranch_execz .LBB957_223
; %bb.222:                              ;   in Loop: Header=BB957_213 Depth=1
	v_and_b32_e32 v37, 7, v42
	v_ffbh_u32_e32 v48, v37
	v_min_u32_e32 v60, 32, v48
	v_subrev_u32_e32 v48, 28, v60
	v_lshlrev_b64 v[48:49], v48, v[42:43]
	v_lshrrev_b32_e32 v47, 3, v44
	v_sub_u32_e32 v42, 29, v60
	v_and_b32_e32 v48, 7, v48
	v_cmp_gt_u32_e32 vcc, 8, v44
	v_cndmask_b32_e32 v42, v47, v42, vcc
	v_cndmask_b32_e32 v37, v37, v48, vcc
	v_lshlrev_b32_e32 v44, 16, v36
	v_lshlrev_b32_e32 v37, 20, v37
	v_and_b32_e32 v44, 0x80000000, v44
	v_lshl_add_u32 v42, v42, 23, v45
	v_or3_b32 v37, v44, v42, v37
	v_lshrrev_b32_e32 v37, 16, v37
.LBB957_223:                            ;   in Loop: Header=BB957_213 Depth=1
	s_or_b64 exec, exec, s[16:17]
.LBB957_224:                            ;   in Loop: Header=BB957_213 Depth=1
	s_or_b64 exec, exec, s[14:15]
.LBB957_225:                            ;   in Loop: Header=BB957_213 Depth=1
	s_or_b64 exec, exec, s[12:13]
	v_lshrrev_b32_e32 v42, 16, v36
	v_cmp_ne_u16_sdwa s[14:15], v42, v43 src0_sel:BYTE_0 src1_sel:DWORD
	s_and_saveexec_b64 s[12:13], s[14:15]
	s_cbranch_execz .LBB957_231
; %bb.226:                              ;   in Loop: Header=BB957_213 Depth=1
	v_cmp_ne_u16_sdwa s[16:17], v42, s9 src0_sel:BYTE_0 src1_sel:DWORD
	v_mov_b32_e32 v46, 0xffff8000
	s_and_saveexec_b64 s[14:15], s[16:17]
	s_cbranch_execz .LBB957_230
; %bb.227:                              ;   in Loop: Header=BB957_213 Depth=1
	v_bfe_u32 v44, v36, 16, 7
	v_cmp_ne_u32_e32 vcc, s21, v44
	v_mov_b32_e32 v46, 0x7f80
	s_and_saveexec_b64 s[16:17], vcc
	s_cbranch_execz .LBB957_229
; %bb.228:                              ;   in Loop: Header=BB957_213 Depth=1
	v_and_b32_e32 v48, 7, v42
	v_ffbh_u32_e32 v46, v48
	v_min_u32_e32 v60, 32, v46
	v_subrev_u32_e32 v46, 28, v60
	v_lshlrev_b64 v[46:47], v46, v[42:43]
	v_lshrrev_b32_e32 v49, 3, v44
	v_sub_u32_e32 v47, 29, v60
	v_and_b32_e32 v46, 7, v46
	v_cmp_gt_u32_e32 vcc, 8, v44
	v_cndmask_b32_e32 v44, v49, v47, vcc
	v_cndmask_b32_e32 v46, v48, v46, vcc
	v_lshlrev_b32_e32 v42, 24, v42
	v_lshlrev_b32_e32 v46, 20, v46
	v_and_b32_e32 v42, 0x80000000, v42
	v_lshl_add_u32 v44, v44, 23, v45
	v_or3_b32 v42, v42, v44, v46
	v_lshrrev_b32_e32 v46, 16, v42
.LBB957_229:                            ;   in Loop: Header=BB957_213 Depth=1
	s_or_b64 exec, exec, s[16:17]
.LBB957_230:                            ;   in Loop: Header=BB957_213 Depth=1
	s_or_b64 exec, exec, s[14:15]
.LBB957_231:                            ;   in Loop: Header=BB957_213 Depth=1
	s_or_b64 exec, exec, s[12:13]
	v_cmp_lt_u32_e32 vcc, s22, v36
	v_mov_b32_e32 v47, 0
	v_mov_b32_e32 v48, 0
	s_and_saveexec_b64 s[12:13], vcc
	s_cbranch_execz .LBB957_237
; %bb.232:                              ;   in Loop: Header=BB957_213 Depth=1
	v_lshrrev_b32_e32 v42, 24, v36
	v_cmp_ne_u32_e32 vcc, s9, v42
	v_mov_b32_e32 v48, 0xffff8000
	s_and_saveexec_b64 s[14:15], vcc
	s_cbranch_execz .LBB957_236
; %bb.233:                              ;   in Loop: Header=BB957_213 Depth=1
	v_bfe_u32 v36, v36, 24, 7
	v_cmp_ne_u32_e32 vcc, s21, v36
	v_mov_b32_e32 v48, 0x7f80
	s_and_saveexec_b64 s[16:17], vcc
	s_cbranch_execz .LBB957_235
; %bb.234:                              ;   in Loop: Header=BB957_213 Depth=1
	v_and_b32_e32 v44, 7, v42
	v_ffbh_u32_e32 v48, v44
	v_min_u32_e32 v61, 32, v48
	v_subrev_u32_e32 v48, 28, v61
	v_lshlrev_b64 v[48:49], v48, v[42:43]
	v_lshrrev_b32_e32 v60, 3, v36
	v_sub_u32_e32 v49, 29, v61
	v_and_b32_e32 v48, 7, v48
	v_cmp_gt_u32_e32 vcc, 8, v36
	v_cndmask_b32_e32 v36, v60, v49, vcc
	v_cndmask_b32_e32 v44, v44, v48, vcc
	v_lshlrev_b32_e32 v42, 24, v42
	v_lshlrev_b32_e32 v44, 20, v44
	v_and_b32_e32 v42, 0x80000000, v42
	v_lshl_add_u32 v36, v36, 23, v45
	v_or3_b32 v36, v42, v36, v44
	v_lshrrev_b32_e32 v48, 16, v36
.LBB957_235:                            ;   in Loop: Header=BB957_213 Depth=1
	s_or_b64 exec, exec, s[16:17]
.LBB957_236:                            ;   in Loop: Header=BB957_213 Depth=1
	s_or_b64 exec, exec, s[14:15]
.LBB957_237:                            ;   in Loop: Header=BB957_213 Depth=1
	s_or_b64 exec, exec, s[12:13]
	s_waitcnt vmcnt(2)
	v_cmp_ne_u16_sdwa s[14:15], v34, v43 src0_sel:BYTE_0 src1_sel:DWORD
	s_and_saveexec_b64 s[12:13], s[14:15]
	s_cbranch_execz .LBB957_243
; %bb.238:                              ;   in Loop: Header=BB957_213 Depth=1
	v_cmp_ne_u16_sdwa s[16:17], v34, s9 src0_sel:BYTE_0 src1_sel:DWORD
	v_mov_b32_e32 v47, 0xffff8000
	s_and_saveexec_b64 s[14:15], s[16:17]
	s_cbranch_execz .LBB957_242
; %bb.239:                              ;   in Loop: Header=BB957_213 Depth=1
	v_and_b32_e32 v36, 0x7f, v34
	v_cmp_ne_u32_e32 vcc, s21, v36
	v_mov_b32_e32 v47, 0x7f80
	s_and_saveexec_b64 s[16:17], vcc
	s_cbranch_execz .LBB957_241
; %bb.240:                              ;   in Loop: Header=BB957_213 Depth=1
	v_and_b32_e32 v42, 7, v34
	v_ffbh_u32_e32 v47, v42
	v_min_u32_e32 v47, 32, v47
	v_subrev_u32_e32 v49, 28, v47
	v_lshlrev_b64 v[60:61], v49, v[34:35]
	v_lshrrev_b32_e32 v44, 3, v36
	v_sub_u32_e32 v47, 29, v47
	v_and_b32_e32 v49, 7, v60
	v_cmp_gt_u32_e32 vcc, 8, v36
	v_cndmask_b32_e32 v36, v44, v47, vcc
	v_cndmask_b32_e32 v42, v42, v49, vcc
	v_lshlrev_b32_e32 v44, 24, v34
	v_lshlrev_b32_e32 v42, 20, v42
	v_and_b32_e32 v44, 0x80000000, v44
	v_lshl_add_u32 v36, v36, 23, v45
	v_or3_b32 v36, v44, v36, v42
	v_lshrrev_b32_e32 v47, 16, v36
.LBB957_241:                            ;   in Loop: Header=BB957_213 Depth=1
	s_or_b64 exec, exec, s[16:17]
.LBB957_242:                            ;   in Loop: Header=BB957_213 Depth=1
	s_or_b64 exec, exec, s[14:15]
.LBB957_243:                            ;   in Loop: Header=BB957_213 Depth=1
	s_or_b64 exec, exec, s[12:13]
	v_lshrrev_b16_e32 v36, 8, v34
	v_cmp_ne_u16_e32 vcc, 0, v36
	v_mov_b32_e32 v49, 0
	v_mov_b32_e32 v42, 0
	s_and_saveexec_b64 s[12:13], vcc
	s_cbranch_execz .LBB957_249
; %bb.244:                              ;   in Loop: Header=BB957_213 Depth=1
	v_cmp_ne_u16_e32 vcc, s9, v36
	v_mov_b32_e32 v42, 0xffff8000
	s_and_saveexec_b64 s[14:15], vcc
	s_cbranch_execz .LBB957_248
; %bb.245:                              ;   in Loop: Header=BB957_213 Depth=1
	v_and_b32_e32 v44, 0x7f, v36
	v_cmp_ne_u32_e32 vcc, s21, v44
	v_mov_b32_e32 v42, 0x7f80
	s_and_saveexec_b64 s[16:17], vcc
	s_cbranch_execz .LBB957_247
; %bb.246:                              ;   in Loop: Header=BB957_213 Depth=1
	v_and_b32_e32 v42, 7, v36
	v_ffbh_u32_e32 v60, v42
	v_min_u32_e32 v63, 32, v60
	v_subrev_u32_e32 v60, 28, v63
	v_lshlrev_b64 v[60:61], v60, v[36:37]
	v_lshrrev_b32_e32 v62, 3, v44
	v_sub_u32_e32 v36, 29, v63
	v_and_b32_e32 v60, 7, v60
	v_cmp_gt_u32_e32 vcc, 8, v44
	v_cndmask_b32_e32 v36, v62, v36, vcc
	v_cndmask_b32_e32 v42, v42, v60, vcc
	v_lshlrev_b32_e32 v44, 16, v34
	v_lshlrev_b32_e32 v42, 20, v42
	v_and_b32_e32 v44, 0x80000000, v44
	v_lshl_add_u32 v36, v36, 23, v45
	v_or3_b32 v36, v44, v36, v42
	v_lshrrev_b32_e32 v42, 16, v36
.LBB957_247:                            ;   in Loop: Header=BB957_213 Depth=1
	s_or_b64 exec, exec, s[16:17]
.LBB957_248:                            ;   in Loop: Header=BB957_213 Depth=1
	s_or_b64 exec, exec, s[14:15]
.LBB957_249:                            ;   in Loop: Header=BB957_213 Depth=1
	s_or_b64 exec, exec, s[12:13]
	v_lshrrev_b32_e32 v36, 16, v34
	v_cmp_ne_u16_sdwa s[14:15], v36, v43 src0_sel:BYTE_0 src1_sel:DWORD
	s_and_saveexec_b64 s[12:13], s[14:15]
	s_cbranch_execz .LBB957_255
; %bb.250:                              ;   in Loop: Header=BB957_213 Depth=1
	v_cmp_ne_u16_sdwa s[16:17], v36, s9 src0_sel:BYTE_0 src1_sel:DWORD
	v_mov_b32_e32 v49, 0xffff8000
	s_and_saveexec_b64 s[14:15], s[16:17]
	s_cbranch_execz .LBB957_254
; %bb.251:                              ;   in Loop: Header=BB957_213 Depth=1
	v_bfe_u32 v44, v34, 16, 7
	v_cmp_ne_u32_e32 vcc, s21, v44
	v_mov_b32_e32 v49, 0x7f80
	s_and_saveexec_b64 s[16:17], vcc
	s_cbranch_execz .LBB957_253
; %bb.252:                              ;   in Loop: Header=BB957_213 Depth=1
	v_and_b32_e32 v49, 7, v36
	v_ffbh_u32_e32 v60, v49
	v_min_u32_e32 v63, 32, v60
	v_subrev_u32_e32 v60, 28, v63
	v_lshlrev_b64 v[60:61], v60, v[36:37]
	v_lshrrev_b32_e32 v62, 3, v44
	v_sub_u32_e32 v61, 29, v63
	v_and_b32_e32 v60, 7, v60
	v_cmp_gt_u32_e32 vcc, 8, v44
	v_cndmask_b32_e32 v44, v62, v61, vcc
	v_cndmask_b32_e32 v49, v49, v60, vcc
	v_lshlrev_b32_e32 v36, 24, v36
	v_lshlrev_b32_e32 v49, 20, v49
	v_and_b32_e32 v36, 0x80000000, v36
	v_lshl_add_u32 v44, v44, 23, v45
	v_or3_b32 v36, v36, v44, v49
	v_lshrrev_b32_e32 v49, 16, v36
.LBB957_253:                            ;   in Loop: Header=BB957_213 Depth=1
	s_or_b64 exec, exec, s[16:17]
.LBB957_254:                            ;   in Loop: Header=BB957_213 Depth=1
	s_or_b64 exec, exec, s[14:15]
.LBB957_255:                            ;   in Loop: Header=BB957_213 Depth=1
	s_or_b64 exec, exec, s[12:13]
	v_cmp_lt_u32_e32 vcc, s22, v34
	v_mov_b32_e32 v44, 0
	v_mov_b32_e32 v60, 0
	s_and_saveexec_b64 s[12:13], vcc
	s_cbranch_execz .LBB957_261
; %bb.256:                              ;   in Loop: Header=BB957_213 Depth=1
	v_lshrrev_b32_e32 v36, 24, v34
	v_cmp_ne_u32_e32 vcc, s9, v36
	v_mov_b32_e32 v60, 0xffff8000
	s_and_saveexec_b64 s[14:15], vcc
	s_cbranch_execz .LBB957_260
; %bb.257:                              ;   in Loop: Header=BB957_213 Depth=1
	v_bfe_u32 v34, v34, 24, 7
	v_cmp_ne_u32_e32 vcc, s21, v34
	v_mov_b32_e32 v60, 0x7f80
	s_and_saveexec_b64 s[16:17], vcc
	s_cbranch_execz .LBB957_259
; %bb.258:                              ;   in Loop: Header=BB957_213 Depth=1
	v_and_b32_e32 v62, 7, v36
	v_ffbh_u32_e32 v60, v62
	v_min_u32_e32 v64, 32, v60
	v_subrev_u32_e32 v60, 28, v64
	v_lshlrev_b64 v[60:61], v60, v[36:37]
	v_lshrrev_b32_e32 v63, 3, v34
	v_sub_u32_e32 v61, 29, v64
	v_and_b32_e32 v60, 7, v60
	v_cmp_gt_u32_e32 vcc, 8, v34
	v_cndmask_b32_e32 v34, v63, v61, vcc
	v_cndmask_b32_e32 v60, v62, v60, vcc
	v_lshlrev_b32_e32 v36, 24, v36
	v_lshlrev_b32_e32 v60, 20, v60
	v_and_b32_e32 v36, 0x80000000, v36
	v_lshl_add_u32 v34, v34, 23, v45
	v_or3_b32 v34, v36, v34, v60
	v_lshrrev_b32_e32 v60, 16, v34
.LBB957_259:                            ;   in Loop: Header=BB957_213 Depth=1
	s_or_b64 exec, exec, s[16:17]
.LBB957_260:                            ;   in Loop: Header=BB957_213 Depth=1
	s_or_b64 exec, exec, s[14:15]
.LBB957_261:                            ;   in Loop: Header=BB957_213 Depth=1
	s_or_b64 exec, exec, s[12:13]
	v_perm_b32 v63, v48, v46, s23
	v_perm_b32 v62, v37, v35, s23
	;; [unrolled: 1-line block ×4, first 2 shown]
	s_waitcnt vmcnt(1)
	v_cmp_ne_u16_sdwa s[14:15], v40, v43 src0_sel:BYTE_0 src1_sel:DWORD
	v_mfma_f32_16x16x16bf16_1k v[34:37], v[62:63], v[2:3], 0
	v_mfma_f32_16x16x16bf16_1k v[34:37], v[48:49], v[4:5], v[34:37]
	s_and_saveexec_b64 s[12:13], s[14:15]
	s_cbranch_execz .LBB957_267
; %bb.262:                              ;   in Loop: Header=BB957_213 Depth=1
	v_cmp_ne_u16_sdwa s[16:17], v40, s9 src0_sel:BYTE_0 src1_sel:DWORD
	v_mov_b32_e32 v44, 0xffff8000
	s_and_saveexec_b64 s[14:15], s[16:17]
	s_cbranch_execz .LBB957_266
; %bb.263:                              ;   in Loop: Header=BB957_213 Depth=1
	v_and_b32_e32 v42, 0x7f, v40
	v_cmp_ne_u32_e32 vcc, s21, v42
	v_mov_b32_e32 v44, 0x7f80
	s_and_saveexec_b64 s[16:17], vcc
	s_cbranch_execz .LBB957_265
; %bb.264:                              ;   in Loop: Header=BB957_213 Depth=1
	v_and_b32_e32 v44, 7, v40
	v_ffbh_u32_e32 v46, v44
	v_min_u32_e32 v49, 32, v46
	v_subrev_u32_e32 v46, 28, v49
	v_lshlrev_b64 v[46:47], v46, v[40:41]
	v_lshrrev_b32_e32 v48, 3, v42
	v_sub_u32_e32 v47, 29, v49
	v_and_b32_e32 v46, 7, v46
	v_cmp_gt_u32_e32 vcc, 8, v42
	v_cndmask_b32_e32 v42, v48, v47, vcc
	v_cndmask_b32_e32 v44, v44, v46, vcc
	v_lshlrev_b32_e32 v46, 24, v40
	v_lshlrev_b32_e32 v44, 20, v44
	v_and_b32_e32 v46, 0x80000000, v46
	v_lshl_add_u32 v42, v42, 23, v45
	v_or3_b32 v42, v46, v42, v44
	v_lshrrev_b32_e32 v44, 16, v42
.LBB957_265:                            ;   in Loop: Header=BB957_213 Depth=1
	s_or_b64 exec, exec, s[16:17]
.LBB957_266:                            ;   in Loop: Header=BB957_213 Depth=1
	s_or_b64 exec, exec, s[14:15]
.LBB957_267:                            ;   in Loop: Header=BB957_213 Depth=1
	s_or_b64 exec, exec, s[12:13]
	v_lshrrev_b16_e32 v42, 8, v40
	v_cmp_ne_u16_e32 vcc, 0, v42
	v_mov_b32_e32 v48, 0
	v_mov_b32_e32 v46, 0
	s_and_saveexec_b64 s[12:13], vcc
	s_cbranch_execz .LBB957_273
; %bb.268:                              ;   in Loop: Header=BB957_213 Depth=1
	v_cmp_ne_u16_e32 vcc, s9, v42
	v_mov_b32_e32 v46, 0xffff8000
	s_and_saveexec_b64 s[14:15], vcc
	s_cbranch_execz .LBB957_272
; %bb.269:                              ;   in Loop: Header=BB957_213 Depth=1
	v_and_b32_e32 v47, 0x7f, v42
	v_cmp_ne_u32_e32 vcc, s21, v47
	v_mov_b32_e32 v46, 0x7f80
	s_and_saveexec_b64 s[16:17], vcc
	s_cbranch_execz .LBB957_271
; %bb.270:                              ;   in Loop: Header=BB957_213 Depth=1
	v_and_b32_e32 v46, 7, v42
	v_ffbh_u32_e32 v60, v46
	v_min_u32_e32 v62, 32, v60
	v_subrev_u32_e32 v60, 28, v62
	v_lshlrev_b64 v[60:61], v60, v[42:43]
	v_lshrrev_b32_e32 v49, 3, v47
	v_sub_u32_e32 v42, 29, v62
	v_and_b32_e32 v60, 7, v60
	v_cmp_gt_u32_e32 vcc, 8, v47
	v_cndmask_b32_e32 v42, v49, v42, vcc
	v_cndmask_b32_e32 v46, v46, v60, vcc
	v_lshlrev_b32_e32 v47, 16, v40
	v_lshlrev_b32_e32 v46, 20, v46
	v_and_b32_e32 v47, 0x80000000, v47
	v_lshl_add_u32 v42, v42, 23, v45
	v_or3_b32 v42, v47, v42, v46
	v_lshrrev_b32_e32 v46, 16, v42
.LBB957_271:                            ;   in Loop: Header=BB957_213 Depth=1
	s_or_b64 exec, exec, s[16:17]
.LBB957_272:                            ;   in Loop: Header=BB957_213 Depth=1
	s_or_b64 exec, exec, s[14:15]
.LBB957_273:                            ;   in Loop: Header=BB957_213 Depth=1
	s_or_b64 exec, exec, s[12:13]
	v_lshrrev_b32_e32 v42, 16, v40
	v_cmp_ne_u16_sdwa s[14:15], v42, v43 src0_sel:BYTE_0 src1_sel:DWORD
	s_and_saveexec_b64 s[12:13], s[14:15]
	s_cbranch_execz .LBB957_279
; %bb.274:                              ;   in Loop: Header=BB957_213 Depth=1
	v_cmp_ne_u16_sdwa s[16:17], v42, s9 src0_sel:BYTE_0 src1_sel:DWORD
	v_mov_b32_e32 v48, 0xffff8000
	s_and_saveexec_b64 s[14:15], s[16:17]
	s_cbranch_execz .LBB957_278
; %bb.275:                              ;   in Loop: Header=BB957_213 Depth=1
	v_bfe_u32 v47, v40, 16, 7
	v_cmp_ne_u32_e32 vcc, s21, v47
	v_mov_b32_e32 v48, 0x7f80
	s_and_saveexec_b64 s[16:17], vcc
	s_cbranch_execz .LBB957_277
; %bb.276:                              ;   in Loop: Header=BB957_213 Depth=1
	v_and_b32_e32 v60, 7, v42
	v_ffbh_u32_e32 v48, v60
	v_min_u32_e32 v62, 32, v48
	v_subrev_u32_e32 v48, 28, v62
	v_lshlrev_b64 v[48:49], v48, v[42:43]
	v_lshrrev_b32_e32 v61, 3, v47
	v_sub_u32_e32 v49, 29, v62
	v_and_b32_e32 v48, 7, v48
	v_cmp_gt_u32_e32 vcc, 8, v47
	v_cndmask_b32_e32 v47, v61, v49, vcc
	v_cndmask_b32_e32 v48, v60, v48, vcc
	v_lshlrev_b32_e32 v42, 24, v42
	v_lshlrev_b32_e32 v48, 20, v48
	v_and_b32_e32 v42, 0x80000000, v42
	v_lshl_add_u32 v47, v47, 23, v45
	v_or3_b32 v42, v42, v47, v48
	v_lshrrev_b32_e32 v48, 16, v42
.LBB957_277:                            ;   in Loop: Header=BB957_213 Depth=1
	s_or_b64 exec, exec, s[16:17]
.LBB957_278:                            ;   in Loop: Header=BB957_213 Depth=1
	s_or_b64 exec, exec, s[14:15]
.LBB957_279:                            ;   in Loop: Header=BB957_213 Depth=1
	s_or_b64 exec, exec, s[12:13]
	v_cmp_lt_u32_e32 vcc, s22, v40
	v_mov_b32_e32 v49, 0
	v_mov_b32_e32 v60, 0
	s_and_saveexec_b64 s[12:13], vcc
	s_cbranch_execz .LBB957_285
; %bb.280:                              ;   in Loop: Header=BB957_213 Depth=1
	v_lshrrev_b32_e32 v42, 24, v40
	v_cmp_ne_u32_e32 vcc, s9, v42
	v_mov_b32_e32 v60, 0xffff8000
	s_and_saveexec_b64 s[14:15], vcc
	s_cbranch_execz .LBB957_284
; %bb.281:                              ;   in Loop: Header=BB957_213 Depth=1
	v_bfe_u32 v40, v40, 24, 7
	v_cmp_ne_u32_e32 vcc, s21, v40
	v_mov_b32_e32 v60, 0x7f80
	s_and_saveexec_b64 s[16:17], vcc
	s_cbranch_execz .LBB957_283
; %bb.282:                              ;   in Loop: Header=BB957_213 Depth=1
	v_and_b32_e32 v47, 7, v42
	v_ffbh_u32_e32 v60, v47
	v_min_u32_e32 v63, 32, v60
	v_subrev_u32_e32 v60, 28, v63
	v_lshlrev_b64 v[60:61], v60, v[42:43]
	v_lshrrev_b32_e32 v62, 3, v40
	v_sub_u32_e32 v61, 29, v63
	v_and_b32_e32 v60, 7, v60
	v_cmp_gt_u32_e32 vcc, 8, v40
	v_cndmask_b32_e32 v40, v62, v61, vcc
	v_cndmask_b32_e32 v47, v47, v60, vcc
	v_lshlrev_b32_e32 v42, 24, v42
	v_lshlrev_b32_e32 v47, 20, v47
	v_and_b32_e32 v42, 0x80000000, v42
	v_lshl_add_u32 v40, v40, 23, v45
	v_or3_b32 v40, v42, v40, v47
	v_lshrrev_b32_e32 v60, 16, v40
.LBB957_283:                            ;   in Loop: Header=BB957_213 Depth=1
	s_or_b64 exec, exec, s[16:17]
.LBB957_284:                            ;   in Loop: Header=BB957_213 Depth=1
	s_or_b64 exec, exec, s[14:15]
.LBB957_285:                            ;   in Loop: Header=BB957_213 Depth=1
	s_or_b64 exec, exec, s[12:13]
	s_waitcnt vmcnt(0)
	v_cmp_ne_u16_sdwa s[14:15], v38, v43 src0_sel:BYTE_0 src1_sel:DWORD
	s_and_saveexec_b64 s[12:13], s[14:15]
	s_cbranch_execz .LBB957_291
; %bb.286:                              ;   in Loop: Header=BB957_213 Depth=1
	v_cmp_ne_u16_sdwa s[16:17], v38, s9 src0_sel:BYTE_0 src1_sel:DWORD
	v_mov_b32_e32 v49, 0xffff8000
	s_and_saveexec_b64 s[14:15], s[16:17]
	s_cbranch_execz .LBB957_290
; %bb.287:                              ;   in Loop: Header=BB957_213 Depth=1
	v_and_b32_e32 v40, 0x7f, v38
	v_cmp_ne_u32_e32 vcc, s21, v40
	v_mov_b32_e32 v49, 0x7f80
	s_and_saveexec_b64 s[16:17], vcc
	s_cbranch_execz .LBB957_289
; %bb.288:                              ;   in Loop: Header=BB957_213 Depth=1
	v_and_b32_e32 v42, 7, v38
	v_ffbh_u32_e32 v49, v42
	v_min_u32_e32 v49, 32, v49
	v_subrev_u32_e32 v61, 28, v49
	v_lshlrev_b64 v[62:63], v61, v[38:39]
	v_lshrrev_b32_e32 v47, 3, v40
	v_sub_u32_e32 v49, 29, v49
	v_and_b32_e32 v61, 7, v62
	v_cmp_gt_u32_e32 vcc, 8, v40
	v_cndmask_b32_e32 v40, v47, v49, vcc
	v_cndmask_b32_e32 v42, v42, v61, vcc
	v_lshlrev_b32_e32 v47, 24, v38
	v_lshlrev_b32_e32 v42, 20, v42
	v_and_b32_e32 v47, 0x80000000, v47
	v_lshl_add_u32 v40, v40, 23, v45
	v_or3_b32 v40, v47, v40, v42
	v_lshrrev_b32_e32 v49, 16, v40
.LBB957_289:                            ;   in Loop: Header=BB957_213 Depth=1
	s_or_b64 exec, exec, s[16:17]
.LBB957_290:                            ;   in Loop: Header=BB957_213 Depth=1
	s_or_b64 exec, exec, s[14:15]
.LBB957_291:                            ;   in Loop: Header=BB957_213 Depth=1
	s_or_b64 exec, exec, s[12:13]
	v_lshrrev_b16_e32 v40, 8, v38
	v_cmp_ne_u16_e32 vcc, 0, v40
	v_mov_b32_e32 v62, 0
	v_mov_b32_e32 v61, 0
	s_and_saveexec_b64 s[12:13], vcc
	s_cbranch_execz .LBB957_297
; %bb.292:                              ;   in Loop: Header=BB957_213 Depth=1
	v_cmp_ne_u16_e32 vcc, s9, v40
	v_mov_b32_e32 v61, 0xffff8000
	s_and_saveexec_b64 s[14:15], vcc
	s_cbranch_execz .LBB957_296
; %bb.293:                              ;   in Loop: Header=BB957_213 Depth=1
	v_and_b32_e32 v42, 0x7f, v40
	v_cmp_ne_u32_e32 vcc, s21, v42
	v_mov_b32_e32 v61, 0x7f80
	s_and_saveexec_b64 s[16:17], vcc
	s_cbranch_execz .LBB957_295
; %bb.294:                              ;   in Loop: Header=BB957_213 Depth=1
	v_and_b32_e32 v47, 7, v40
	v_ffbh_u32_e32 v63, v47
	v_min_u32_e32 v63, 32, v63
	v_subrev_u32_e32 v64, 28, v63
	v_lshlrev_b64 v[64:65], v64, v[40:41]
	v_lshrrev_b32_e32 v61, 3, v42
	v_sub_u32_e32 v40, 29, v63
	v_and_b32_e32 v63, 7, v64
	v_cmp_gt_u32_e32 vcc, 8, v42
	v_cndmask_b32_e32 v40, v61, v40, vcc
	v_cndmask_b32_e32 v42, v47, v63, vcc
	v_lshlrev_b32_e32 v47, 16, v38
	v_lshlrev_b32_e32 v42, 20, v42
	v_and_b32_e32 v47, 0x80000000, v47
	v_lshl_add_u32 v40, v40, 23, v45
	v_or3_b32 v40, v47, v40, v42
	v_lshrrev_b32_e32 v61, 16, v40
.LBB957_295:                            ;   in Loop: Header=BB957_213 Depth=1
	s_or_b64 exec, exec, s[16:17]
.LBB957_296:                            ;   in Loop: Header=BB957_213 Depth=1
	s_or_b64 exec, exec, s[14:15]
.LBB957_297:                            ;   in Loop: Header=BB957_213 Depth=1
	s_or_b64 exec, exec, s[12:13]
	v_lshrrev_b32_e32 v40, 16, v38
	v_cmp_ne_u16_sdwa s[14:15], v40, v43 src0_sel:BYTE_0 src1_sel:DWORD
	s_and_saveexec_b64 s[12:13], s[14:15]
	s_cbranch_execz .LBB957_303
; %bb.298:                              ;   in Loop: Header=BB957_213 Depth=1
	v_cmp_ne_u16_sdwa s[16:17], v40, s9 src0_sel:BYTE_0 src1_sel:DWORD
	v_mov_b32_e32 v62, 0xffff8000
	s_and_saveexec_b64 s[14:15], s[16:17]
	s_cbranch_execz .LBB957_302
; %bb.299:                              ;   in Loop: Header=BB957_213 Depth=1
	v_bfe_u32 v42, v38, 16, 7
	v_cmp_ne_u32_e32 vcc, s21, v42
	v_mov_b32_e32 v62, 0x7f80
	s_and_saveexec_b64 s[16:17], vcc
	s_cbranch_execz .LBB957_301
; %bb.300:                              ;   in Loop: Header=BB957_213 Depth=1
	v_and_b32_e32 v47, 7, v40
	v_ffbh_u32_e32 v62, v47
	v_min_u32_e32 v65, 32, v62
	v_subrev_u32_e32 v62, 28, v65
	v_lshlrev_b64 v[62:63], v62, v[40:41]
	v_lshrrev_b32_e32 v64, 3, v42
	v_sub_u32_e32 v63, 29, v65
	v_and_b32_e32 v62, 7, v62
	v_cmp_gt_u32_e32 vcc, 8, v42
	v_cndmask_b32_e32 v42, v64, v63, vcc
	v_cndmask_b32_e32 v47, v47, v62, vcc
	v_lshlrev_b32_e32 v40, 24, v40
	v_lshlrev_b32_e32 v47, 20, v47
	v_and_b32_e32 v40, 0x80000000, v40
	v_lshl_add_u32 v42, v42, 23, v45
	v_or3_b32 v40, v40, v42, v47
	v_lshrrev_b32_e32 v62, 16, v40
.LBB957_301:                            ;   in Loop: Header=BB957_213 Depth=1
	s_or_b64 exec, exec, s[16:17]
.LBB957_302:                            ;   in Loop: Header=BB957_213 Depth=1
	s_or_b64 exec, exec, s[14:15]
.LBB957_303:                            ;   in Loop: Header=BB957_213 Depth=1
	s_or_b64 exec, exec, s[12:13]
	v_cmp_lt_u32_e32 vcc, s22, v38
	v_mov_b32_e32 v47, 0
	v_mov_b32_e32 v63, 0
	s_and_saveexec_b64 s[12:13], vcc
	s_cbranch_execz .LBB957_309
; %bb.304:                              ;   in Loop: Header=BB957_213 Depth=1
	v_lshrrev_b32_e32 v40, 24, v38
	v_cmp_ne_u32_e32 vcc, s9, v40
	v_mov_b32_e32 v63, 0xffff8000
	s_and_saveexec_b64 s[14:15], vcc
	s_cbranch_execz .LBB957_308
; %bb.305:                              ;   in Loop: Header=BB957_213 Depth=1
	v_bfe_u32 v38, v38, 24, 7
	v_cmp_ne_u32_e32 vcc, s21, v38
	v_mov_b32_e32 v63, 0x7f80
	s_and_saveexec_b64 s[16:17], vcc
	s_cbranch_execz .LBB957_307
; %bb.306:                              ;   in Loop: Header=BB957_213 Depth=1
	v_and_b32_e32 v42, 7, v40
	v_ffbh_u32_e32 v64, v42
	v_min_u32_e32 v66, 32, v64
	v_subrev_u32_e32 v64, 28, v66
	v_lshlrev_b64 v[64:65], v64, v[40:41]
	v_lshrrev_b32_e32 v63, 3, v38
	v_sub_u32_e32 v65, 29, v66
	v_and_b32_e32 v64, 7, v64
	v_cmp_gt_u32_e32 vcc, 8, v38
	v_cndmask_b32_e32 v38, v63, v65, vcc
	v_cndmask_b32_e32 v42, v42, v64, vcc
	v_lshlrev_b32_e32 v40, 24, v40
	v_lshlrev_b32_e32 v42, 20, v42
	v_and_b32_e32 v40, 0x80000000, v40
	v_lshl_add_u32 v38, v38, 23, v45
	v_or3_b32 v38, v40, v38, v42
	v_lshrrev_b32_e32 v63, 16, v38
.LBB957_307:                            ;   in Loop: Header=BB957_213 Depth=1
	s_or_b64 exec, exec, s[16:17]
.LBB957_308:                            ;   in Loop: Header=BB957_213 Depth=1
	s_or_b64 exec, exec, s[14:15]
.LBB957_309:                            ;   in Loop: Header=BB957_213 Depth=1
	s_or_b64 exec, exec, s[12:13]
	v_perm_b32 v64, v46, v44, s23
	buffer_load_dword v44, v59, s[0:3], 0 offen
	buffer_load_dword v42, v59, s[0:3], 0 offen offset:4
	buffer_load_dword v40, v59, s[0:3], 0 offen offset:8
	;; [unrolled: 1-line block ×3, first 2 shown]
	v_perm_b32 v65, v60, v48, s23
	v_perm_b32 v63, v63, v62, s23
	;; [unrolled: 1-line block ×3, first 2 shown]
	v_mfma_f32_16x16x16bf16_1k v[34:37], v[64:65], v[6:7], v[34:37]
	s_waitcnt vmcnt(3)
	v_cmp_ne_u16_sdwa s[14:15], v44, v43 src0_sel:BYTE_0 src1_sel:DWORD
	v_mfma_f32_16x16x16bf16_1k v[34:37], v[62:63], v[8:9], v[34:37]
	s_and_saveexec_b64 s[12:13], s[14:15]
	s_cbranch_execz .LBB957_315
; %bb.310:                              ;   in Loop: Header=BB957_213 Depth=1
	v_cmp_ne_u16_sdwa s[16:17], v44, s9 src0_sel:BYTE_0 src1_sel:DWORD
	v_mov_b32_e32 v47, 0xffff8000
	s_and_saveexec_b64 s[14:15], s[16:17]
	s_cbranch_execz .LBB957_314
; %bb.311:                              ;   in Loop: Header=BB957_213 Depth=1
	v_and_b32_e32 v46, 0x7f, v44
	v_cmp_ne_u32_e32 vcc, s21, v46
	v_mov_b32_e32 v47, 0x7f80
	s_and_saveexec_b64 s[16:17], vcc
	s_cbranch_execz .LBB957_313
; %bb.312:                              ;   in Loop: Header=BB957_213 Depth=1
	v_and_b32_e32 v47, 7, v44
	v_ffbh_u32_e32 v48, v47
	v_min_u32_e32 v60, 32, v48
	v_subrev_u32_e32 v48, 28, v60
	v_lshlrev_b64 v[48:49], v48, v[44:45]
	v_lshrrev_b32_e32 v59, 3, v46
	v_sub_u32_e32 v49, 29, v60
	v_and_b32_e32 v48, 7, v48
	v_cmp_gt_u32_e32 vcc, 8, v46
	v_cndmask_b32_e32 v46, v59, v49, vcc
	v_cndmask_b32_e32 v47, v47, v48, vcc
	v_lshlrev_b32_e32 v48, 24, v44
	v_lshlrev_b32_e32 v47, 20, v47
	v_and_b32_e32 v48, 0x80000000, v48
	v_lshl_add_u32 v46, v46, 23, v45
	v_or3_b32 v46, v48, v46, v47
	v_lshrrev_b32_e32 v47, 16, v46
.LBB957_313:                            ;   in Loop: Header=BB957_213 Depth=1
	s_or_b64 exec, exec, s[16:17]
.LBB957_314:                            ;   in Loop: Header=BB957_213 Depth=1
	s_or_b64 exec, exec, s[14:15]
.LBB957_315:                            ;   in Loop: Header=BB957_213 Depth=1
	s_or_b64 exec, exec, s[12:13]
	v_lshrrev_b16_e32 v46, 8, v44
	v_cmp_ne_u16_e32 vcc, 0, v46
	v_mov_b32_e32 v49, 0
	v_mov_b32_e32 v48, 0
	s_and_saveexec_b64 s[12:13], vcc
	s_cbranch_execz .LBB957_321
; %bb.316:                              ;   in Loop: Header=BB957_213 Depth=1
	v_cmp_ne_u16_e32 vcc, s9, v46
	v_mov_b32_e32 v48, 0xffff8000
	s_and_saveexec_b64 s[14:15], vcc
	s_cbranch_execz .LBB957_320
; %bb.317:                              ;   in Loop: Header=BB957_213 Depth=1
	v_and_b32_e32 v59, 0x7f, v46
	v_cmp_ne_u32_e32 vcc, s21, v59
	v_mov_b32_e32 v48, 0x7f80
	s_and_saveexec_b64 s[16:17], vcc
	s_cbranch_execz .LBB957_319
; %bb.318:                              ;   in Loop: Header=BB957_213 Depth=1
	v_and_b32_e32 v48, 7, v46
	v_ffbh_u32_e32 v60, v48
	v_min_u32_e32 v63, 32, v60
	v_subrev_u32_e32 v60, 28, v63
	v_lshlrev_b64 v[60:61], v60, v[46:47]
	v_lshrrev_b32_e32 v62, 3, v59
	v_sub_u32_e32 v46, 29, v63
	v_and_b32_e32 v60, 7, v60
	v_cmp_gt_u32_e32 vcc, 8, v59
	v_cndmask_b32_e32 v46, v62, v46, vcc
	v_cndmask_b32_e32 v48, v48, v60, vcc
	v_lshlrev_b32_e32 v59, 16, v44
	v_lshlrev_b32_e32 v48, 20, v48
	v_and_b32_e32 v59, 0x80000000, v59
	v_lshl_add_u32 v46, v46, 23, v45
	v_or3_b32 v46, v59, v46, v48
	v_lshrrev_b32_e32 v48, 16, v46
.LBB957_319:                            ;   in Loop: Header=BB957_213 Depth=1
	s_or_b64 exec, exec, s[16:17]
.LBB957_320:                            ;   in Loop: Header=BB957_213 Depth=1
	s_or_b64 exec, exec, s[14:15]
.LBB957_321:                            ;   in Loop: Header=BB957_213 Depth=1
	s_or_b64 exec, exec, s[12:13]
	v_lshrrev_b32_e32 v46, 16, v44
	v_cmp_ne_u16_sdwa s[14:15], v46, v43 src0_sel:BYTE_0 src1_sel:DWORD
	s_and_saveexec_b64 s[12:13], s[14:15]
	s_cbranch_execz .LBB957_327
; %bb.322:                              ;   in Loop: Header=BB957_213 Depth=1
	v_cmp_ne_u16_sdwa s[16:17], v46, s9 src0_sel:BYTE_0 src1_sel:DWORD
	v_mov_b32_e32 v49, 0xffff8000
	s_and_saveexec_b64 s[14:15], s[16:17]
	s_cbranch_execz .LBB957_326
; %bb.323:                              ;   in Loop: Header=BB957_213 Depth=1
	v_bfe_u32 v59, v44, 16, 7
	v_cmp_ne_u32_e32 vcc, s21, v59
	v_mov_b32_e32 v49, 0x7f80
	s_and_saveexec_b64 s[16:17], vcc
	s_cbranch_execz .LBB957_325
; %bb.324:                              ;   in Loop: Header=BB957_213 Depth=1
	v_and_b32_e32 v49, 7, v46
	v_ffbh_u32_e32 v60, v49
	v_min_u32_e32 v63, 32, v60
	v_subrev_u32_e32 v60, 28, v63
	v_lshlrev_b64 v[60:61], v60, v[46:47]
	v_lshrrev_b32_e32 v62, 3, v59
	v_sub_u32_e32 v61, 29, v63
	v_and_b32_e32 v60, 7, v60
	v_cmp_gt_u32_e32 vcc, 8, v59
	v_cndmask_b32_e32 v59, v62, v61, vcc
	v_cndmask_b32_e32 v49, v49, v60, vcc
	v_lshlrev_b32_e32 v46, 24, v46
	v_lshlrev_b32_e32 v49, 20, v49
	v_and_b32_e32 v46, 0x80000000, v46
	v_lshl_add_u32 v59, v59, 23, v45
	v_or3_b32 v46, v46, v59, v49
	v_lshrrev_b32_e32 v49, 16, v46
.LBB957_325:                            ;   in Loop: Header=BB957_213 Depth=1
	s_or_b64 exec, exec, s[16:17]
.LBB957_326:                            ;   in Loop: Header=BB957_213 Depth=1
	s_or_b64 exec, exec, s[14:15]
.LBB957_327:                            ;   in Loop: Header=BB957_213 Depth=1
	s_or_b64 exec, exec, s[12:13]
	v_cmp_lt_u32_e32 vcc, s22, v44
	v_mov_b32_e32 v59, 0
	v_mov_b32_e32 v60, 0
	s_and_saveexec_b64 s[12:13], vcc
	s_cbranch_execz .LBB957_333
; %bb.328:                              ;   in Loop: Header=BB957_213 Depth=1
	v_lshrrev_b32_e32 v46, 24, v44
	v_cmp_ne_u32_e32 vcc, s9, v46
	v_mov_b32_e32 v60, 0xffff8000
	s_and_saveexec_b64 s[14:15], vcc
	s_cbranch_execz .LBB957_332
; %bb.329:                              ;   in Loop: Header=BB957_213 Depth=1
	v_bfe_u32 v44, v44, 24, 7
	v_cmp_ne_u32_e32 vcc, s21, v44
	v_mov_b32_e32 v60, 0x7f80
	s_and_saveexec_b64 s[16:17], vcc
	s_cbranch_execz .LBB957_331
; %bb.330:                              ;   in Loop: Header=BB957_213 Depth=1
	v_and_b32_e32 v62, 7, v46
	v_ffbh_u32_e32 v60, v62
	v_min_u32_e32 v64, 32, v60
	v_subrev_u32_e32 v60, 28, v64
	v_lshlrev_b64 v[60:61], v60, v[46:47]
	v_lshrrev_b32_e32 v63, 3, v44
	v_sub_u32_e32 v61, 29, v64
	v_and_b32_e32 v60, 7, v60
	v_cmp_gt_u32_e32 vcc, 8, v44
	v_cndmask_b32_e32 v44, v63, v61, vcc
	v_cndmask_b32_e32 v60, v62, v60, vcc
	v_lshlrev_b32_e32 v46, 24, v46
	v_lshlrev_b32_e32 v60, 20, v60
	v_and_b32_e32 v46, 0x80000000, v46
	v_lshl_add_u32 v44, v44, 23, v45
	v_or3_b32 v44, v46, v44, v60
	v_lshrrev_b32_e32 v60, 16, v44
.LBB957_331:                            ;   in Loop: Header=BB957_213 Depth=1
	s_or_b64 exec, exec, s[16:17]
.LBB957_332:                            ;   in Loop: Header=BB957_213 Depth=1
	s_or_b64 exec, exec, s[14:15]
.LBB957_333:                            ;   in Loop: Header=BB957_213 Depth=1
	s_or_b64 exec, exec, s[12:13]
	s_waitcnt vmcnt(2)
	v_cmp_ne_u16_sdwa s[14:15], v42, v43 src0_sel:BYTE_0 src1_sel:DWORD
	s_and_saveexec_b64 s[12:13], s[14:15]
	s_cbranch_execz .LBB957_339
; %bb.334:                              ;   in Loop: Header=BB957_213 Depth=1
	v_cmp_ne_u16_sdwa s[16:17], v42, s9 src0_sel:BYTE_0 src1_sel:DWORD
	v_mov_b32_e32 v59, 0xffff8000
	s_and_saveexec_b64 s[14:15], s[16:17]
	s_cbranch_execz .LBB957_338
; %bb.335:                              ;   in Loop: Header=BB957_213 Depth=1
	v_and_b32_e32 v44, 0x7f, v42
	v_cmp_ne_u32_e32 vcc, s21, v44
	v_mov_b32_e32 v59, 0x7f80
	s_and_saveexec_b64 s[16:17], vcc
	s_cbranch_execz .LBB957_337
; %bb.336:                              ;   in Loop: Header=BB957_213 Depth=1
	v_and_b32_e32 v46, 7, v42
	v_ffbh_u32_e32 v61, v46
	v_min_u32_e32 v61, 32, v61
	v_subrev_u32_e32 v62, 28, v61
	v_lshlrev_b64 v[62:63], v62, v[42:43]
	v_lshrrev_b32_e32 v59, 3, v44
	v_sub_u32_e32 v61, 29, v61
	v_and_b32_e32 v62, 7, v62
	v_cmp_gt_u32_e32 vcc, 8, v44
	v_cndmask_b32_e32 v44, v59, v61, vcc
	v_cndmask_b32_e32 v46, v46, v62, vcc
	v_lshlrev_b32_e32 v59, 24, v42
	v_lshlrev_b32_e32 v46, 20, v46
	v_and_b32_e32 v59, 0x80000000, v59
	v_lshl_add_u32 v44, v44, 23, v45
	v_or3_b32 v44, v59, v44, v46
	v_lshrrev_b32_e32 v59, 16, v44
.LBB957_337:                            ;   in Loop: Header=BB957_213 Depth=1
	s_or_b64 exec, exec, s[16:17]
.LBB957_338:                            ;   in Loop: Header=BB957_213 Depth=1
	s_or_b64 exec, exec, s[14:15]
.LBB957_339:                            ;   in Loop: Header=BB957_213 Depth=1
	s_or_b64 exec, exec, s[12:13]
	v_lshrrev_b16_e32 v44, 8, v42
	v_cmp_ne_u16_e32 vcc, 0, v44
	v_mov_b32_e32 v62, 0
	v_mov_b32_e32 v61, 0
	s_and_saveexec_b64 s[12:13], vcc
	s_cbranch_execz .LBB957_345
; %bb.340:                              ;   in Loop: Header=BB957_213 Depth=1
	v_cmp_ne_u16_e32 vcc, s9, v44
	v_mov_b32_e32 v61, 0xffff8000
	s_and_saveexec_b64 s[14:15], vcc
	s_cbranch_execz .LBB957_344
; %bb.341:                              ;   in Loop: Header=BB957_213 Depth=1
	v_and_b32_e32 v46, 0x7f, v44
	v_cmp_ne_u32_e32 vcc, s21, v46
	v_mov_b32_e32 v61, 0x7f80
	s_and_saveexec_b64 s[16:17], vcc
	s_cbranch_execz .LBB957_343
; %bb.342:                              ;   in Loop: Header=BB957_213 Depth=1
	v_and_b32_e32 v61, 7, v44
	v_ffbh_u32_e32 v64, v61
	v_min_u32_e32 v66, 32, v64
	v_subrev_u32_e32 v64, 28, v66
	v_lshlrev_b64 v[64:65], v64, v[44:45]
	v_lshrrev_b32_e32 v63, 3, v46
	v_sub_u32_e32 v44, 29, v66
	v_and_b32_e32 v64, 7, v64
	v_cmp_gt_u32_e32 vcc, 8, v46
	v_cndmask_b32_e32 v44, v63, v44, vcc
	v_cndmask_b32_e32 v46, v61, v64, vcc
	v_lshlrev_b32_e32 v61, 16, v42
	v_lshlrev_b32_e32 v46, 20, v46
	v_and_b32_e32 v61, 0x80000000, v61
	v_lshl_add_u32 v44, v44, 23, v45
	v_or3_b32 v44, v61, v44, v46
	v_lshrrev_b32_e32 v61, 16, v44
.LBB957_343:                            ;   in Loop: Header=BB957_213 Depth=1
	s_or_b64 exec, exec, s[16:17]
.LBB957_344:                            ;   in Loop: Header=BB957_213 Depth=1
	s_or_b64 exec, exec, s[14:15]
.LBB957_345:                            ;   in Loop: Header=BB957_213 Depth=1
	s_or_b64 exec, exec, s[12:13]
	v_lshrrev_b32_e32 v44, 16, v42
	v_cmp_ne_u16_sdwa s[14:15], v44, v43 src0_sel:BYTE_0 src1_sel:DWORD
	s_and_saveexec_b64 s[12:13], s[14:15]
	s_cbranch_execz .LBB957_351
; %bb.346:                              ;   in Loop: Header=BB957_213 Depth=1
	v_cmp_ne_u16_sdwa s[16:17], v44, s9 src0_sel:BYTE_0 src1_sel:DWORD
	v_mov_b32_e32 v62, 0xffff8000
	s_and_saveexec_b64 s[14:15], s[16:17]
	s_cbranch_execz .LBB957_350
; %bb.347:                              ;   in Loop: Header=BB957_213 Depth=1
	v_bfe_u32 v46, v42, 16, 7
	v_cmp_ne_u32_e32 vcc, s21, v46
	v_mov_b32_e32 v62, 0x7f80
	s_and_saveexec_b64 s[16:17], vcc
	s_cbranch_execz .LBB957_349
; %bb.348:                              ;   in Loop: Header=BB957_213 Depth=1
	v_and_b32_e32 v64, 7, v44
	v_ffbh_u32_e32 v62, v64
	v_min_u32_e32 v66, 32, v62
	v_subrev_u32_e32 v62, 28, v66
	v_lshlrev_b64 v[62:63], v62, v[44:45]
	v_lshrrev_b32_e32 v65, 3, v46
	v_sub_u32_e32 v63, 29, v66
	v_and_b32_e32 v62, 7, v62
	v_cmp_gt_u32_e32 vcc, 8, v46
	v_cndmask_b32_e32 v46, v65, v63, vcc
	v_cndmask_b32_e32 v62, v64, v62, vcc
	v_lshlrev_b32_e32 v44, 24, v44
	v_lshlrev_b32_e32 v62, 20, v62
	v_and_b32_e32 v44, 0x80000000, v44
	v_lshl_add_u32 v46, v46, 23, v45
	v_or3_b32 v44, v44, v46, v62
	v_lshrrev_b32_e32 v62, 16, v44
.LBB957_349:                            ;   in Loop: Header=BB957_213 Depth=1
	s_or_b64 exec, exec, s[16:17]
.LBB957_350:                            ;   in Loop: Header=BB957_213 Depth=1
	s_or_b64 exec, exec, s[14:15]
.LBB957_351:                            ;   in Loop: Header=BB957_213 Depth=1
	s_or_b64 exec, exec, s[12:13]
	v_cmp_lt_u32_e32 vcc, s22, v42
	v_mov_b32_e32 v46, 0
	v_mov_b32_e32 v63, 0
	s_and_saveexec_b64 s[12:13], vcc
	s_cbranch_execz .LBB957_357
; %bb.352:                              ;   in Loop: Header=BB957_213 Depth=1
	v_lshrrev_b32_e32 v44, 24, v42
	v_cmp_ne_u32_e32 vcc, s9, v44
	v_mov_b32_e32 v63, 0xffff8000
	s_and_saveexec_b64 s[14:15], vcc
	s_cbranch_execz .LBB957_356
; %bb.353:                              ;   in Loop: Header=BB957_213 Depth=1
	v_bfe_u32 v42, v42, 24, 7
	v_cmp_ne_u32_e32 vcc, s21, v42
	v_mov_b32_e32 v63, 0x7f80
	s_and_saveexec_b64 s[16:17], vcc
	s_cbranch_execz .LBB957_355
; %bb.354:                              ;   in Loop: Header=BB957_213 Depth=1
	v_and_b32_e32 v63, 7, v44
	v_ffbh_u32_e32 v64, v63
	v_min_u32_e32 v67, 32, v64
	v_subrev_u32_e32 v64, 28, v67
	v_lshlrev_b64 v[64:65], v64, v[44:45]
	v_lshrrev_b32_e32 v66, 3, v42
	v_sub_u32_e32 v65, 29, v67
	v_and_b32_e32 v64, 7, v64
	v_cmp_gt_u32_e32 vcc, 8, v42
	v_cndmask_b32_e32 v42, v66, v65, vcc
	v_cndmask_b32_e32 v63, v63, v64, vcc
	v_lshlrev_b32_e32 v44, 24, v44
	v_lshlrev_b32_e32 v63, 20, v63
	v_and_b32_e32 v44, 0x80000000, v44
	v_lshl_add_u32 v42, v42, 23, v45
	v_or3_b32 v42, v44, v42, v63
	v_lshrrev_b32_e32 v63, 16, v42
.LBB957_355:                            ;   in Loop: Header=BB957_213 Depth=1
	s_or_b64 exec, exec, s[16:17]
.LBB957_356:                            ;   in Loop: Header=BB957_213 Depth=1
	s_or_b64 exec, exec, s[14:15]
.LBB957_357:                            ;   in Loop: Header=BB957_213 Depth=1
	s_or_b64 exec, exec, s[12:13]
	v_perm_b32 v49, v60, v49, s23
	v_perm_b32 v48, v48, v47, s23
	s_waitcnt vmcnt(1)
	v_cmp_ne_u16_sdwa s[14:15], v40, v43 src0_sel:BYTE_0 src1_sel:DWORD
	v_mfma_f32_16x16x16bf16_1k v[34:37], v[48:49], v[10:11], v[34:37]
	v_perm_b32 v49, v63, v62, s23
	v_perm_b32 v48, v61, v59, s23
	s_nop 1
	v_mfma_f32_16x16x16bf16_1k v[34:37], v[48:49], v[12:13], v[34:37]
	s_and_saveexec_b64 s[12:13], s[14:15]
	s_cbranch_execz .LBB957_363
; %bb.358:                              ;   in Loop: Header=BB957_213 Depth=1
	v_cmp_ne_u16_sdwa s[16:17], v40, s9 src0_sel:BYTE_0 src1_sel:DWORD
	v_mov_b32_e32 v46, 0xffff8000
	s_and_saveexec_b64 s[14:15], s[16:17]
	s_cbranch_execz .LBB957_362
; %bb.359:                              ;   in Loop: Header=BB957_213 Depth=1
	v_and_b32_e32 v42, 0x7f, v40
	v_cmp_ne_u32_e32 vcc, s21, v42
	v_mov_b32_e32 v46, 0x7f80
	s_and_saveexec_b64 s[16:17], vcc
	s_cbranch_execz .LBB957_361
; %bb.360:                              ;   in Loop: Header=BB957_213 Depth=1
	v_and_b32_e32 v44, 7, v40
	v_ffbh_u32_e32 v46, v44
	v_min_u32_e32 v49, 32, v46
	v_subrev_u32_e32 v46, 28, v49
	v_lshlrev_b64 v[46:47], v46, v[40:41]
	v_lshrrev_b32_e32 v48, 3, v42
	v_sub_u32_e32 v47, 29, v49
	v_and_b32_e32 v46, 7, v46
	v_cmp_gt_u32_e32 vcc, 8, v42
	v_cndmask_b32_e32 v42, v48, v47, vcc
	v_cndmask_b32_e32 v44, v44, v46, vcc
	v_lshlrev_b32_e32 v46, 24, v40
	v_lshlrev_b32_e32 v44, 20, v44
	v_and_b32_e32 v46, 0x80000000, v46
	v_lshl_add_u32 v42, v42, 23, v45
	v_or3_b32 v42, v46, v42, v44
	v_lshrrev_b32_e32 v46, 16, v42
.LBB957_361:                            ;   in Loop: Header=BB957_213 Depth=1
	s_or_b64 exec, exec, s[16:17]
.LBB957_362:                            ;   in Loop: Header=BB957_213 Depth=1
	s_or_b64 exec, exec, s[14:15]
.LBB957_363:                            ;   in Loop: Header=BB957_213 Depth=1
	s_or_b64 exec, exec, s[12:13]
	v_lshrrev_b16_e32 v42, 8, v40
	v_cmp_ne_u16_e32 vcc, 0, v42
	v_mov_b32_e32 v48, 0
	v_mov_b32_e32 v44, 0
	s_and_saveexec_b64 s[12:13], vcc
	s_cbranch_execz .LBB957_369
; %bb.364:                              ;   in Loop: Header=BB957_213 Depth=1
	v_cmp_ne_u16_e32 vcc, s9, v42
	v_mov_b32_e32 v44, 0xffff8000
	s_and_saveexec_b64 s[14:15], vcc
	s_cbranch_execz .LBB957_368
; %bb.365:                              ;   in Loop: Header=BB957_213 Depth=1
	v_and_b32_e32 v47, 0x7f, v42
	v_cmp_ne_u32_e32 vcc, s21, v47
	v_mov_b32_e32 v44, 0x7f80
	s_and_saveexec_b64 s[16:17], vcc
	s_cbranch_execz .LBB957_367
; %bb.366:                              ;   in Loop: Header=BB957_213 Depth=1
	v_and_b32_e32 v44, 7, v42
	v_ffbh_u32_e32 v59, v44
	v_min_u32_e32 v59, 32, v59
	v_subrev_u32_e32 v60, 28, v59
	v_lshlrev_b64 v[60:61], v60, v[42:43]
	v_lshrrev_b32_e32 v49, 3, v47
	v_sub_u32_e32 v42, 29, v59
	v_and_b32_e32 v59, 7, v60
	v_cmp_gt_u32_e32 vcc, 8, v47
	v_cndmask_b32_e32 v42, v49, v42, vcc
	v_cndmask_b32_e32 v44, v44, v59, vcc
	v_lshlrev_b32_e32 v47, 16, v40
	v_lshlrev_b32_e32 v44, 20, v44
	v_and_b32_e32 v47, 0x80000000, v47
	v_lshl_add_u32 v42, v42, 23, v45
	v_or3_b32 v42, v47, v42, v44
	v_lshrrev_b32_e32 v44, 16, v42
.LBB957_367:                            ;   in Loop: Header=BB957_213 Depth=1
	s_or_b64 exec, exec, s[16:17]
.LBB957_368:                            ;   in Loop: Header=BB957_213 Depth=1
	s_or_b64 exec, exec, s[14:15]
.LBB957_369:                            ;   in Loop: Header=BB957_213 Depth=1
	s_or_b64 exec, exec, s[12:13]
	v_lshrrev_b32_e32 v42, 16, v40
	v_cmp_ne_u16_sdwa s[14:15], v42, v43 src0_sel:BYTE_0 src1_sel:DWORD
	s_and_saveexec_b64 s[12:13], s[14:15]
	s_cbranch_execz .LBB957_375
; %bb.370:                              ;   in Loop: Header=BB957_213 Depth=1
	v_cmp_ne_u16_sdwa s[16:17], v42, s9 src0_sel:BYTE_0 src1_sel:DWORD
	v_mov_b32_e32 v48, 0xffff8000
	s_and_saveexec_b64 s[14:15], s[16:17]
	s_cbranch_execz .LBB957_374
; %bb.371:                              ;   in Loop: Header=BB957_213 Depth=1
	v_bfe_u32 v47, v40, 16, 7
	v_cmp_ne_u32_e32 vcc, s21, v47
	v_mov_b32_e32 v48, 0x7f80
	s_and_saveexec_b64 s[16:17], vcc
	s_cbranch_execz .LBB957_373
; %bb.372:                              ;   in Loop: Header=BB957_213 Depth=1
	v_and_b32_e32 v59, 7, v42
	v_ffbh_u32_e32 v48, v59
	v_min_u32_e32 v61, 32, v48
	v_subrev_u32_e32 v48, 28, v61
	v_lshlrev_b64 v[48:49], v48, v[42:43]
	v_lshrrev_b32_e32 v60, 3, v47
	v_sub_u32_e32 v49, 29, v61
	v_and_b32_e32 v48, 7, v48
	v_cmp_gt_u32_e32 vcc, 8, v47
	v_cndmask_b32_e32 v47, v60, v49, vcc
	v_cndmask_b32_e32 v48, v59, v48, vcc
	v_lshlrev_b32_e32 v42, 24, v42
	v_lshlrev_b32_e32 v48, 20, v48
	v_and_b32_e32 v42, 0x80000000, v42
	v_lshl_add_u32 v47, v47, 23, v45
	v_or3_b32 v42, v42, v47, v48
	v_lshrrev_b32_e32 v48, 16, v42
.LBB957_373:                            ;   in Loop: Header=BB957_213 Depth=1
	s_or_b64 exec, exec, s[16:17]
.LBB957_374:                            ;   in Loop: Header=BB957_213 Depth=1
	s_or_b64 exec, exec, s[14:15]
.LBB957_375:                            ;   in Loop: Header=BB957_213 Depth=1
	s_or_b64 exec, exec, s[12:13]
	v_cmp_lt_u32_e32 vcc, s22, v40
	v_mov_b32_e32 v49, 0
	v_mov_b32_e32 v59, 0
	s_and_saveexec_b64 s[12:13], vcc
	s_cbranch_execz .LBB957_381
; %bb.376:                              ;   in Loop: Header=BB957_213 Depth=1
	v_lshrrev_b32_e32 v42, 24, v40
	v_cmp_ne_u32_e32 vcc, s9, v42
	v_mov_b32_e32 v59, 0xffff8000
	s_and_saveexec_b64 s[14:15], vcc
	s_cbranch_execz .LBB957_380
; %bb.377:                              ;   in Loop: Header=BB957_213 Depth=1
	v_bfe_u32 v40, v40, 24, 7
	v_cmp_ne_u32_e32 vcc, s21, v40
	v_mov_b32_e32 v59, 0x7f80
	s_and_saveexec_b64 s[16:17], vcc
	s_cbranch_execz .LBB957_379
; %bb.378:                              ;   in Loop: Header=BB957_213 Depth=1
	v_and_b32_e32 v47, 7, v42
	v_ffbh_u32_e32 v60, v47
	v_min_u32_e32 v62, 32, v60
	v_subrev_u32_e32 v60, 28, v62
	v_lshlrev_b64 v[60:61], v60, v[42:43]
	v_lshrrev_b32_e32 v59, 3, v40
	v_sub_u32_e32 v61, 29, v62
	v_and_b32_e32 v60, 7, v60
	v_cmp_gt_u32_e32 vcc, 8, v40
	v_cndmask_b32_e32 v40, v59, v61, vcc
	v_cndmask_b32_e32 v47, v47, v60, vcc
	v_lshlrev_b32_e32 v42, 24, v42
	v_lshlrev_b32_e32 v47, 20, v47
	v_and_b32_e32 v42, 0x80000000, v42
	v_lshl_add_u32 v40, v40, 23, v45
	v_or3_b32 v40, v42, v40, v47
	v_lshrrev_b32_e32 v59, 16, v40
.LBB957_379:                            ;   in Loop: Header=BB957_213 Depth=1
	s_or_b64 exec, exec, s[16:17]
.LBB957_380:                            ;   in Loop: Header=BB957_213 Depth=1
	s_or_b64 exec, exec, s[14:15]
.LBB957_381:                            ;   in Loop: Header=BB957_213 Depth=1
	s_or_b64 exec, exec, s[12:13]
	s_waitcnt vmcnt(0)
	v_cmp_ne_u16_sdwa s[14:15], v38, v43 src0_sel:BYTE_0 src1_sel:DWORD
	s_and_saveexec_b64 s[12:13], s[14:15]
	s_cbranch_execz .LBB957_387
; %bb.382:                              ;   in Loop: Header=BB957_213 Depth=1
	v_cmp_ne_u16_sdwa s[16:17], v38, s9 src0_sel:BYTE_0 src1_sel:DWORD
	v_mov_b32_e32 v49, 0xffff8000
	s_and_saveexec_b64 s[14:15], s[16:17]
	s_cbranch_execz .LBB957_386
; %bb.383:                              ;   in Loop: Header=BB957_213 Depth=1
	v_and_b32_e32 v40, 0x7f, v38
	v_cmp_ne_u32_e32 vcc, s21, v40
	v_mov_b32_e32 v49, 0x7f80
	s_and_saveexec_b64 s[16:17], vcc
	s_cbranch_execz .LBB957_385
; %bb.384:                              ;   in Loop: Header=BB957_213 Depth=1
	v_and_b32_e32 v42, 7, v38
	v_ffbh_u32_e32 v49, v42
	v_min_u32_e32 v49, 32, v49
	v_subrev_u32_e32 v60, 28, v49
	v_lshlrev_b64 v[60:61], v60, v[38:39]
	v_lshrrev_b32_e32 v47, 3, v40
	v_sub_u32_e32 v49, 29, v49
	v_and_b32_e32 v60, 7, v60
	v_cmp_gt_u32_e32 vcc, 8, v40
	v_cndmask_b32_e32 v40, v47, v49, vcc
	v_cndmask_b32_e32 v42, v42, v60, vcc
	v_lshlrev_b32_e32 v47, 24, v38
	v_lshlrev_b32_e32 v42, 20, v42
	v_and_b32_e32 v47, 0x80000000, v47
	v_lshl_add_u32 v40, v40, 23, v45
	v_or3_b32 v40, v47, v40, v42
	v_lshrrev_b32_e32 v49, 16, v40
.LBB957_385:                            ;   in Loop: Header=BB957_213 Depth=1
	s_or_b64 exec, exec, s[16:17]
.LBB957_386:                            ;   in Loop: Header=BB957_213 Depth=1
	s_or_b64 exec, exec, s[14:15]
.LBB957_387:                            ;   in Loop: Header=BB957_213 Depth=1
	s_or_b64 exec, exec, s[12:13]
	v_lshrrev_b16_e32 v40, 8, v38
	v_cmp_ne_u16_e32 vcc, 0, v40
	v_mov_b32_e32 v61, 0
	v_mov_b32_e32 v60, 0
	s_and_saveexec_b64 s[12:13], vcc
	s_cbranch_execz .LBB957_393
; %bb.388:                              ;   in Loop: Header=BB957_213 Depth=1
	v_cmp_ne_u16_e32 vcc, s9, v40
	v_mov_b32_e32 v60, 0xffff8000
	s_and_saveexec_b64 s[14:15], vcc
	s_cbranch_execz .LBB957_392
; %bb.389:                              ;   in Loop: Header=BB957_213 Depth=1
	v_and_b32_e32 v42, 0x7f, v40
	v_cmp_ne_u32_e32 vcc, s21, v42
	v_mov_b32_e32 v60, 0x7f80
	s_and_saveexec_b64 s[16:17], vcc
	s_cbranch_execz .LBB957_391
; %bb.390:                              ;   in Loop: Header=BB957_213 Depth=1
	v_and_b32_e32 v47, 7, v40
	v_ffbh_u32_e32 v62, v47
	v_min_u32_e32 v64, 32, v62
	v_subrev_u32_e32 v62, 28, v64
	v_lshlrev_b64 v[62:63], v62, v[40:41]
	v_lshrrev_b32_e32 v60, 3, v42
	v_sub_u32_e32 v40, 29, v64
	v_and_b32_e32 v62, 7, v62
	v_cmp_gt_u32_e32 vcc, 8, v42
	v_cndmask_b32_e32 v40, v60, v40, vcc
	v_cndmask_b32_e32 v42, v47, v62, vcc
	v_lshlrev_b32_e32 v47, 16, v38
	v_lshlrev_b32_e32 v42, 20, v42
	v_and_b32_e32 v47, 0x80000000, v47
	v_lshl_add_u32 v40, v40, 23, v45
	v_or3_b32 v40, v47, v40, v42
	v_lshrrev_b32_e32 v60, 16, v40
.LBB957_391:                            ;   in Loop: Header=BB957_213 Depth=1
	s_or_b64 exec, exec, s[16:17]
.LBB957_392:                            ;   in Loop: Header=BB957_213 Depth=1
	s_or_b64 exec, exec, s[14:15]
.LBB957_393:                            ;   in Loop: Header=BB957_213 Depth=1
	s_or_b64 exec, exec, s[12:13]
	v_lshrrev_b32_e32 v40, 16, v38
	v_cmp_ne_u16_sdwa s[14:15], v40, v43 src0_sel:BYTE_0 src1_sel:DWORD
	s_and_saveexec_b64 s[12:13], s[14:15]
	s_cbranch_execz .LBB957_399
; %bb.394:                              ;   in Loop: Header=BB957_213 Depth=1
	v_cmp_ne_u16_sdwa s[16:17], v40, s9 src0_sel:BYTE_0 src1_sel:DWORD
	v_mov_b32_e32 v61, 0xffff8000
	s_and_saveexec_b64 s[14:15], s[16:17]
	s_cbranch_execz .LBB957_398
; %bb.395:                              ;   in Loop: Header=BB957_213 Depth=1
	v_bfe_u32 v42, v38, 16, 7
	v_cmp_ne_u32_e32 vcc, s21, v42
	v_mov_b32_e32 v61, 0x7f80
	s_and_saveexec_b64 s[16:17], vcc
	s_cbranch_execz .LBB957_397
; %bb.396:                              ;   in Loop: Header=BB957_213 Depth=1
	v_and_b32_e32 v47, 7, v40
	v_ffbh_u32_e32 v62, v47
	v_min_u32_e32 v64, 32, v62
	v_subrev_u32_e32 v62, 28, v64
	v_lshlrev_b64 v[62:63], v62, v[40:41]
	v_lshrrev_b32_e32 v61, 3, v42
	v_sub_u32_e32 v63, 29, v64
	v_and_b32_e32 v62, 7, v62
	v_cmp_gt_u32_e32 vcc, 8, v42
	v_cndmask_b32_e32 v42, v61, v63, vcc
	v_cndmask_b32_e32 v47, v47, v62, vcc
	v_lshlrev_b32_e32 v40, 24, v40
	v_lshlrev_b32_e32 v47, 20, v47
	v_and_b32_e32 v40, 0x80000000, v40
	v_lshl_add_u32 v42, v42, 23, v45
	v_or3_b32 v40, v40, v42, v47
	v_lshrrev_b32_e32 v61, 16, v40
.LBB957_397:                            ;   in Loop: Header=BB957_213 Depth=1
	s_or_b64 exec, exec, s[16:17]
.LBB957_398:                            ;   in Loop: Header=BB957_213 Depth=1
	s_or_b64 exec, exec, s[14:15]
.LBB957_399:                            ;   in Loop: Header=BB957_213 Depth=1
	s_or_b64 exec, exec, s[12:13]
	v_cmp_lt_u32_e32 vcc, s22, v38
	v_mov_b32_e32 v47, 0
	v_mov_b32_e32 v62, 0
	s_and_saveexec_b64 s[12:13], vcc
	s_cbranch_execz .LBB957_405
; %bb.400:                              ;   in Loop: Header=BB957_213 Depth=1
	v_lshrrev_b32_e32 v40, 24, v38
	v_cmp_ne_u32_e32 vcc, s9, v40
	v_mov_b32_e32 v62, 0xffff8000
	s_and_saveexec_b64 s[14:15], vcc
	s_cbranch_execz .LBB957_404
; %bb.401:                              ;   in Loop: Header=BB957_213 Depth=1
	v_bfe_u32 v38, v38, 24, 7
	v_cmp_ne_u32_e32 vcc, s21, v38
	v_mov_b32_e32 v62, 0x7f80
	s_and_saveexec_b64 s[16:17], vcc
	s_cbranch_execz .LBB957_403
; %bb.402:                              ;   in Loop: Header=BB957_213 Depth=1
	v_and_b32_e32 v42, 7, v40
	v_ffbh_u32_e32 v62, v42
	v_min_u32_e32 v65, 32, v62
	v_subrev_u32_e32 v62, 28, v65
	v_lshlrev_b64 v[62:63], v62, v[40:41]
	v_lshrrev_b32_e32 v64, 3, v38
	v_sub_u32_e32 v63, 29, v65
	v_and_b32_e32 v62, 7, v62
	v_cmp_gt_u32_e32 vcc, 8, v38
	v_cndmask_b32_e32 v38, v64, v63, vcc
	v_cndmask_b32_e32 v42, v42, v62, vcc
	v_lshlrev_b32_e32 v40, 24, v40
	v_lshlrev_b32_e32 v42, 20, v42
	v_and_b32_e32 v40, 0x80000000, v40
	v_lshl_add_u32 v38, v38, 23, v45
	v_or3_b32 v38, v40, v38, v42
	v_lshrrev_b32_e32 v62, 16, v38
.LBB957_403:                            ;   in Loop: Header=BB957_213 Depth=1
	s_or_b64 exec, exec, s[16:17]
.LBB957_404:                            ;   in Loop: Header=BB957_213 Depth=1
	s_or_b64 exec, exec, s[14:15]
.LBB957_405:                            ;   in Loop: Header=BB957_213 Depth=1
	s_or_b64 exec, exec, s[12:13]
	v_perm_b32 v64, v44, v46, s23
	buffer_load_dword v44, v58, s[0:3], 0 offen
	buffer_load_dword v42, v58, s[0:3], 0 offen offset:4
	buffer_load_dword v40, v58, s[0:3], 0 offen offset:8
	;; [unrolled: 1-line block ×3, first 2 shown]
	v_perm_b32 v65, v59, v48, s23
	v_perm_b32 v59, v62, v61, s23
	;; [unrolled: 1-line block ×3, first 2 shown]
	v_mfma_f32_16x16x16bf16_1k v[34:37], v[64:65], v[14:15], v[34:37]
	s_waitcnt vmcnt(3)
	v_cmp_ne_u16_sdwa s[14:15], v44, v43 src0_sel:BYTE_0 src1_sel:DWORD
	v_mfma_f32_16x16x16bf16_1k v[34:37], v[58:59], v[16:17], v[34:37]
	s_and_saveexec_b64 s[12:13], s[14:15]
	s_cbranch_execz .LBB957_411
; %bb.406:                              ;   in Loop: Header=BB957_213 Depth=1
	v_cmp_ne_u16_sdwa s[16:17], v44, s9 src0_sel:BYTE_0 src1_sel:DWORD
	v_mov_b32_e32 v47, 0xffff8000
	s_and_saveexec_b64 s[14:15], s[16:17]
	s_cbranch_execz .LBB957_410
; %bb.407:                              ;   in Loop: Header=BB957_213 Depth=1
	v_and_b32_e32 v46, 0x7f, v44
	v_cmp_ne_u32_e32 vcc, s21, v46
	v_mov_b32_e32 v47, 0x7f80
	s_and_saveexec_b64 s[16:17], vcc
	s_cbranch_execz .LBB957_409
; %bb.408:                              ;   in Loop: Header=BB957_213 Depth=1
	v_and_b32_e32 v47, 7, v44
	v_ffbh_u32_e32 v48, v47
	v_min_u32_e32 v59, 32, v48
	v_subrev_u32_e32 v48, 28, v59
	v_lshlrev_b64 v[48:49], v48, v[44:45]
	v_lshrrev_b32_e32 v58, 3, v46
	v_sub_u32_e32 v49, 29, v59
	v_and_b32_e32 v48, 7, v48
	v_cmp_gt_u32_e32 vcc, 8, v46
	v_cndmask_b32_e32 v46, v58, v49, vcc
	v_cndmask_b32_e32 v47, v47, v48, vcc
	v_lshlrev_b32_e32 v48, 24, v44
	v_lshlrev_b32_e32 v47, 20, v47
	v_and_b32_e32 v48, 0x80000000, v48
	v_lshl_add_u32 v46, v46, 23, v45
	v_or3_b32 v46, v48, v46, v47
	v_lshrrev_b32_e32 v47, 16, v46
.LBB957_409:                            ;   in Loop: Header=BB957_213 Depth=1
	s_or_b64 exec, exec, s[16:17]
.LBB957_410:                            ;   in Loop: Header=BB957_213 Depth=1
	s_or_b64 exec, exec, s[14:15]
.LBB957_411:                            ;   in Loop: Header=BB957_213 Depth=1
	s_or_b64 exec, exec, s[12:13]
	v_lshrrev_b16_e32 v46, 8, v44
	v_cmp_ne_u16_e32 vcc, 0, v46
	v_mov_b32_e32 v49, 0
	v_mov_b32_e32 v48, 0
	s_and_saveexec_b64 s[12:13], vcc
	s_cbranch_execz .LBB957_417
; %bb.412:                              ;   in Loop: Header=BB957_213 Depth=1
	v_cmp_ne_u16_e32 vcc, s9, v46
	v_mov_b32_e32 v48, 0xffff8000
	s_and_saveexec_b64 s[14:15], vcc
	s_cbranch_execz .LBB957_416
; %bb.413:                              ;   in Loop: Header=BB957_213 Depth=1
	v_and_b32_e32 v58, 0x7f, v46
	v_cmp_ne_u32_e32 vcc, s21, v58
	v_mov_b32_e32 v48, 0x7f80
	s_and_saveexec_b64 s[16:17], vcc
	s_cbranch_execz .LBB957_415
; %bb.414:                              ;   in Loop: Header=BB957_213 Depth=1
	v_and_b32_e32 v48, 7, v46
	v_ffbh_u32_e32 v60, v48
	v_min_u32_e32 v62, 32, v60
	v_subrev_u32_e32 v60, 28, v62
	v_lshlrev_b64 v[60:61], v60, v[46:47]
	v_lshrrev_b32_e32 v59, 3, v58
	v_sub_u32_e32 v46, 29, v62
	v_and_b32_e32 v60, 7, v60
	v_cmp_gt_u32_e32 vcc, 8, v58
	v_cndmask_b32_e32 v46, v59, v46, vcc
	v_cndmask_b32_e32 v48, v48, v60, vcc
	v_lshlrev_b32_e32 v58, 16, v44
	v_lshlrev_b32_e32 v48, 20, v48
	v_and_b32_e32 v58, 0x80000000, v58
	v_lshl_add_u32 v46, v46, 23, v45
	v_or3_b32 v46, v58, v46, v48
	v_lshrrev_b32_e32 v48, 16, v46
.LBB957_415:                            ;   in Loop: Header=BB957_213 Depth=1
	s_or_b64 exec, exec, s[16:17]
.LBB957_416:                            ;   in Loop: Header=BB957_213 Depth=1
	s_or_b64 exec, exec, s[14:15]
.LBB957_417:                            ;   in Loop: Header=BB957_213 Depth=1
	s_or_b64 exec, exec, s[12:13]
	v_lshrrev_b32_e32 v46, 16, v44
	v_cmp_ne_u16_sdwa s[14:15], v46, v43 src0_sel:BYTE_0 src1_sel:DWORD
	s_and_saveexec_b64 s[12:13], s[14:15]
	s_cbranch_execz .LBB957_423
; %bb.418:                              ;   in Loop: Header=BB957_213 Depth=1
	v_cmp_ne_u16_sdwa s[16:17], v46, s9 src0_sel:BYTE_0 src1_sel:DWORD
	v_mov_b32_e32 v49, 0xffff8000
	s_and_saveexec_b64 s[14:15], s[16:17]
	s_cbranch_execz .LBB957_422
; %bb.419:                              ;   in Loop: Header=BB957_213 Depth=1
	v_bfe_u32 v58, v44, 16, 7
	v_cmp_ne_u32_e32 vcc, s21, v58
	v_mov_b32_e32 v49, 0x7f80
	s_and_saveexec_b64 s[16:17], vcc
	s_cbranch_execz .LBB957_421
; %bb.420:                              ;   in Loop: Header=BB957_213 Depth=1
	v_and_b32_e32 v49, 7, v46
	v_ffbh_u32_e32 v60, v49
	v_min_u32_e32 v62, 32, v60
	v_subrev_u32_e32 v60, 28, v62
	v_lshlrev_b64 v[60:61], v60, v[46:47]
	v_lshrrev_b32_e32 v59, 3, v58
	v_sub_u32_e32 v61, 29, v62
	v_and_b32_e32 v60, 7, v60
	v_cmp_gt_u32_e32 vcc, 8, v58
	v_cndmask_b32_e32 v58, v59, v61, vcc
	v_cndmask_b32_e32 v49, v49, v60, vcc
	v_lshlrev_b32_e32 v46, 24, v46
	v_lshlrev_b32_e32 v49, 20, v49
	v_and_b32_e32 v46, 0x80000000, v46
	v_lshl_add_u32 v58, v58, 23, v45
	v_or3_b32 v46, v46, v58, v49
	v_lshrrev_b32_e32 v49, 16, v46
.LBB957_421:                            ;   in Loop: Header=BB957_213 Depth=1
	s_or_b64 exec, exec, s[16:17]
.LBB957_422:                            ;   in Loop: Header=BB957_213 Depth=1
	s_or_b64 exec, exec, s[14:15]
.LBB957_423:                            ;   in Loop: Header=BB957_213 Depth=1
	s_or_b64 exec, exec, s[12:13]
	v_cmp_lt_u32_e32 vcc, s22, v44
	v_mov_b32_e32 v58, 0
	v_mov_b32_e32 v59, 0
	s_and_saveexec_b64 s[12:13], vcc
	s_cbranch_execz .LBB957_429
; %bb.424:                              ;   in Loop: Header=BB957_213 Depth=1
	v_lshrrev_b32_e32 v46, 24, v44
	v_cmp_ne_u32_e32 vcc, s9, v46
	v_mov_b32_e32 v59, 0xffff8000
	s_and_saveexec_b64 s[14:15], vcc
	s_cbranch_execz .LBB957_428
; %bb.425:                              ;   in Loop: Header=BB957_213 Depth=1
	v_bfe_u32 v44, v44, 24, 7
	v_cmp_ne_u32_e32 vcc, s21, v44
	v_mov_b32_e32 v59, 0x7f80
	s_and_saveexec_b64 s[16:17], vcc
	s_cbranch_execz .LBB957_427
; %bb.426:                              ;   in Loop: Header=BB957_213 Depth=1
	v_and_b32_e32 v59, 7, v46
	v_ffbh_u32_e32 v60, v59
	v_min_u32_e32 v63, 32, v60
	v_subrev_u32_e32 v60, 28, v63
	v_lshlrev_b64 v[60:61], v60, v[46:47]
	v_lshrrev_b32_e32 v62, 3, v44
	v_sub_u32_e32 v61, 29, v63
	v_and_b32_e32 v60, 7, v60
	v_cmp_gt_u32_e32 vcc, 8, v44
	v_cndmask_b32_e32 v44, v62, v61, vcc
	v_cndmask_b32_e32 v59, v59, v60, vcc
	v_lshlrev_b32_e32 v46, 24, v46
	v_lshlrev_b32_e32 v59, 20, v59
	v_and_b32_e32 v46, 0x80000000, v46
	v_lshl_add_u32 v44, v44, 23, v45
	v_or3_b32 v44, v46, v44, v59
	v_lshrrev_b32_e32 v59, 16, v44
.LBB957_427:                            ;   in Loop: Header=BB957_213 Depth=1
	s_or_b64 exec, exec, s[16:17]
.LBB957_428:                            ;   in Loop: Header=BB957_213 Depth=1
	s_or_b64 exec, exec, s[14:15]
.LBB957_429:                            ;   in Loop: Header=BB957_213 Depth=1
	s_or_b64 exec, exec, s[12:13]
	s_waitcnt vmcnt(2)
	v_cmp_ne_u16_sdwa s[14:15], v42, v43 src0_sel:BYTE_0 src1_sel:DWORD
	s_and_saveexec_b64 s[12:13], s[14:15]
	s_cbranch_execz .LBB957_435
; %bb.430:                              ;   in Loop: Header=BB957_213 Depth=1
	v_cmp_ne_u16_sdwa s[16:17], v42, s9 src0_sel:BYTE_0 src1_sel:DWORD
	v_mov_b32_e32 v58, 0xffff8000
	s_and_saveexec_b64 s[14:15], s[16:17]
	s_cbranch_execz .LBB957_434
; %bb.431:                              ;   in Loop: Header=BB957_213 Depth=1
	v_and_b32_e32 v44, 0x7f, v42
	v_cmp_ne_u32_e32 vcc, s21, v44
	v_mov_b32_e32 v58, 0x7f80
	s_and_saveexec_b64 s[16:17], vcc
	s_cbranch_execz .LBB957_433
; %bb.432:                              ;   in Loop: Header=BB957_213 Depth=1
	v_and_b32_e32 v46, 7, v42
	v_ffbh_u32_e32 v60, v46
	v_min_u32_e32 v62, 32, v60
	v_subrev_u32_e32 v60, 28, v62
	v_lshlrev_b64 v[60:61], v60, v[42:43]
	v_lshrrev_b32_e32 v58, 3, v44
	v_sub_u32_e32 v61, 29, v62
	v_and_b32_e32 v60, 7, v60
	v_cmp_gt_u32_e32 vcc, 8, v44
	v_cndmask_b32_e32 v44, v58, v61, vcc
	v_cndmask_b32_e32 v46, v46, v60, vcc
	v_lshlrev_b32_e32 v58, 24, v42
	v_lshlrev_b32_e32 v46, 20, v46
	v_and_b32_e32 v58, 0x80000000, v58
	v_lshl_add_u32 v44, v44, 23, v45
	v_or3_b32 v44, v58, v44, v46
	v_lshrrev_b32_e32 v58, 16, v44
.LBB957_433:                            ;   in Loop: Header=BB957_213 Depth=1
	s_or_b64 exec, exec, s[16:17]
.LBB957_434:                            ;   in Loop: Header=BB957_213 Depth=1
	s_or_b64 exec, exec, s[14:15]
.LBB957_435:                            ;   in Loop: Header=BB957_213 Depth=1
	s_or_b64 exec, exec, s[12:13]
	v_lshrrev_b16_e32 v44, 8, v42
	v_cmp_ne_u16_e32 vcc, 0, v44
	v_mov_b32_e32 v61, 0
	v_mov_b32_e32 v60, 0
	s_and_saveexec_b64 s[12:13], vcc
	s_cbranch_execz .LBB957_441
; %bb.436:                              ;   in Loop: Header=BB957_213 Depth=1
	v_cmp_ne_u16_e32 vcc, s9, v44
	v_mov_b32_e32 v60, 0xffff8000
	s_and_saveexec_b64 s[14:15], vcc
	s_cbranch_execz .LBB957_440
; %bb.437:                              ;   in Loop: Header=BB957_213 Depth=1
	v_and_b32_e32 v46, 0x7f, v44
	v_cmp_ne_u32_e32 vcc, s21, v46
	v_mov_b32_e32 v60, 0x7f80
	s_and_saveexec_b64 s[16:17], vcc
	s_cbranch_execz .LBB957_439
; %bb.438:                              ;   in Loop: Header=BB957_213 Depth=1
	v_and_b32_e32 v60, 7, v44
	v_ffbh_u32_e32 v62, v60
	v_min_u32_e32 v65, 32, v62
	v_subrev_u32_e32 v62, 28, v65
	v_lshlrev_b64 v[62:63], v62, v[44:45]
	v_lshrrev_b32_e32 v64, 3, v46
	v_sub_u32_e32 v44, 29, v65
	v_and_b32_e32 v62, 7, v62
	v_cmp_gt_u32_e32 vcc, 8, v46
	v_cndmask_b32_e32 v44, v64, v44, vcc
	v_cndmask_b32_e32 v46, v60, v62, vcc
	v_lshlrev_b32_e32 v60, 16, v42
	v_lshlrev_b32_e32 v46, 20, v46
	v_and_b32_e32 v60, 0x80000000, v60
	v_lshl_add_u32 v44, v44, 23, v45
	v_or3_b32 v44, v60, v44, v46
	v_lshrrev_b32_e32 v60, 16, v44
.LBB957_439:                            ;   in Loop: Header=BB957_213 Depth=1
	s_or_b64 exec, exec, s[16:17]
.LBB957_440:                            ;   in Loop: Header=BB957_213 Depth=1
	s_or_b64 exec, exec, s[14:15]
.LBB957_441:                            ;   in Loop: Header=BB957_213 Depth=1
	s_or_b64 exec, exec, s[12:13]
	v_lshrrev_b32_e32 v44, 16, v42
	v_cmp_ne_u16_sdwa s[14:15], v44, v43 src0_sel:BYTE_0 src1_sel:DWORD
	s_and_saveexec_b64 s[12:13], s[14:15]
	s_cbranch_execz .LBB957_447
; %bb.442:                              ;   in Loop: Header=BB957_213 Depth=1
	v_cmp_ne_u16_sdwa s[16:17], v44, s9 src0_sel:BYTE_0 src1_sel:DWORD
	v_mov_b32_e32 v61, 0xffff8000
	s_and_saveexec_b64 s[14:15], s[16:17]
	s_cbranch_execz .LBB957_446
; %bb.443:                              ;   in Loop: Header=BB957_213 Depth=1
	v_bfe_u32 v46, v42, 16, 7
	v_cmp_ne_u32_e32 vcc, s21, v46
	v_mov_b32_e32 v61, 0x7f80
	s_and_saveexec_b64 s[16:17], vcc
	s_cbranch_execz .LBB957_445
; %bb.444:                              ;   in Loop: Header=BB957_213 Depth=1
	v_and_b32_e32 v61, 7, v44
	v_ffbh_u32_e32 v62, v61
	v_min_u32_e32 v65, 32, v62
	v_subrev_u32_e32 v62, 28, v65
	v_lshlrev_b64 v[62:63], v62, v[44:45]
	v_lshrrev_b32_e32 v64, 3, v46
	v_sub_u32_e32 v63, 29, v65
	v_and_b32_e32 v62, 7, v62
	v_cmp_gt_u32_e32 vcc, 8, v46
	v_cndmask_b32_e32 v46, v64, v63, vcc
	v_cndmask_b32_e32 v61, v61, v62, vcc
	v_lshlrev_b32_e32 v44, 24, v44
	v_lshlrev_b32_e32 v61, 20, v61
	v_and_b32_e32 v44, 0x80000000, v44
	v_lshl_add_u32 v46, v46, 23, v45
	v_or3_b32 v44, v44, v46, v61
	v_lshrrev_b32_e32 v61, 16, v44
.LBB957_445:                            ;   in Loop: Header=BB957_213 Depth=1
	s_or_b64 exec, exec, s[16:17]
.LBB957_446:                            ;   in Loop: Header=BB957_213 Depth=1
	s_or_b64 exec, exec, s[14:15]
.LBB957_447:                            ;   in Loop: Header=BB957_213 Depth=1
	s_or_b64 exec, exec, s[12:13]
	v_cmp_lt_u32_e32 vcc, s22, v42
	v_mov_b32_e32 v46, 0
	v_mov_b32_e32 v62, 0
	s_and_saveexec_b64 s[12:13], vcc
	s_cbranch_execz .LBB957_453
; %bb.448:                              ;   in Loop: Header=BB957_213 Depth=1
	v_lshrrev_b32_e32 v44, 24, v42
	v_cmp_ne_u32_e32 vcc, s9, v44
	v_mov_b32_e32 v62, 0xffff8000
	s_and_saveexec_b64 s[14:15], vcc
	s_cbranch_execz .LBB957_452
; %bb.449:                              ;   in Loop: Header=BB957_213 Depth=1
	v_bfe_u32 v42, v42, 24, 7
	v_cmp_ne_u32_e32 vcc, s21, v42
	v_mov_b32_e32 v62, 0x7f80
	s_and_saveexec_b64 s[16:17], vcc
	s_cbranch_execz .LBB957_451
; %bb.450:                              ;   in Loop: Header=BB957_213 Depth=1
	v_and_b32_e32 v64, 7, v44
	v_ffbh_u32_e32 v62, v64
	v_min_u32_e32 v66, 32, v62
	v_subrev_u32_e32 v62, 28, v66
	v_lshlrev_b64 v[62:63], v62, v[44:45]
	v_lshrrev_b32_e32 v65, 3, v42
	v_sub_u32_e32 v63, 29, v66
	v_and_b32_e32 v62, 7, v62
	v_cmp_gt_u32_e32 vcc, 8, v42
	v_cndmask_b32_e32 v42, v65, v63, vcc
	v_cndmask_b32_e32 v62, v64, v62, vcc
	v_lshlrev_b32_e32 v44, 24, v44
	v_lshlrev_b32_e32 v62, 20, v62
	v_and_b32_e32 v44, 0x80000000, v44
	v_lshl_add_u32 v42, v42, 23, v45
	v_or3_b32 v42, v44, v42, v62
	v_lshrrev_b32_e32 v62, 16, v42
.LBB957_451:                            ;   in Loop: Header=BB957_213 Depth=1
	s_or_b64 exec, exec, s[16:17]
.LBB957_452:                            ;   in Loop: Header=BB957_213 Depth=1
	s_or_b64 exec, exec, s[14:15]
.LBB957_453:                            ;   in Loop: Header=BB957_213 Depth=1
	s_or_b64 exec, exec, s[12:13]
	v_perm_b32 v49, v59, v49, s23
	v_perm_b32 v48, v48, v47, s23
	s_waitcnt vmcnt(1)
	v_cmp_ne_u16_sdwa s[14:15], v40, v43 src0_sel:BYTE_0 src1_sel:DWORD
	v_mfma_f32_16x16x16bf16_1k v[34:37], v[48:49], v[18:19], v[34:37]
	v_perm_b32 v49, v62, v61, s23
	v_perm_b32 v48, v60, v58, s23
	s_nop 1
	v_mfma_f32_16x16x16bf16_1k v[34:37], v[48:49], v[20:21], v[34:37]
	s_and_saveexec_b64 s[12:13], s[14:15]
	s_cbranch_execz .LBB957_459
; %bb.454:                              ;   in Loop: Header=BB957_213 Depth=1
	v_cmp_ne_u16_sdwa s[16:17], v40, s9 src0_sel:BYTE_0 src1_sel:DWORD
	v_mov_b32_e32 v46, 0xffff8000
	s_and_saveexec_b64 s[14:15], s[16:17]
	s_cbranch_execz .LBB957_458
; %bb.455:                              ;   in Loop: Header=BB957_213 Depth=1
	v_and_b32_e32 v42, 0x7f, v40
	v_cmp_ne_u32_e32 vcc, s21, v42
	v_mov_b32_e32 v46, 0x7f80
	s_and_saveexec_b64 s[16:17], vcc
	s_cbranch_execz .LBB957_457
; %bb.456:                              ;   in Loop: Header=BB957_213 Depth=1
	v_and_b32_e32 v44, 7, v40
	v_ffbh_u32_e32 v46, v44
	v_min_u32_e32 v49, 32, v46
	v_subrev_u32_e32 v46, 28, v49
	v_lshlrev_b64 v[46:47], v46, v[40:41]
	v_lshrrev_b32_e32 v48, 3, v42
	v_sub_u32_e32 v47, 29, v49
	v_and_b32_e32 v46, 7, v46
	v_cmp_gt_u32_e32 vcc, 8, v42
	v_cndmask_b32_e32 v42, v48, v47, vcc
	v_cndmask_b32_e32 v44, v44, v46, vcc
	v_lshlrev_b32_e32 v46, 24, v40
	v_lshlrev_b32_e32 v44, 20, v44
	v_and_b32_e32 v46, 0x80000000, v46
	v_lshl_add_u32 v42, v42, 23, v45
	v_or3_b32 v42, v46, v42, v44
	v_lshrrev_b32_e32 v46, 16, v42
.LBB957_457:                            ;   in Loop: Header=BB957_213 Depth=1
	s_or_b64 exec, exec, s[16:17]
.LBB957_458:                            ;   in Loop: Header=BB957_213 Depth=1
	s_or_b64 exec, exec, s[14:15]
.LBB957_459:                            ;   in Loop: Header=BB957_213 Depth=1
	s_or_b64 exec, exec, s[12:13]
	v_lshrrev_b16_e32 v42, 8, v40
	v_cmp_ne_u16_e32 vcc, 0, v42
	v_mov_b32_e32 v48, 0
	v_mov_b32_e32 v44, 0
	s_and_saveexec_b64 s[12:13], vcc
	s_cbranch_execz .LBB957_465
; %bb.460:                              ;   in Loop: Header=BB957_213 Depth=1
	v_cmp_ne_u16_e32 vcc, s9, v42
	v_mov_b32_e32 v44, 0xffff8000
	s_and_saveexec_b64 s[14:15], vcc
	s_cbranch_execz .LBB957_464
; %bb.461:                              ;   in Loop: Header=BB957_213 Depth=1
	v_and_b32_e32 v47, 0x7f, v42
	v_cmp_ne_u32_e32 vcc, s21, v47
	v_mov_b32_e32 v44, 0x7f80
	s_and_saveexec_b64 s[16:17], vcc
	s_cbranch_execz .LBB957_463
; %bb.462:                              ;   in Loop: Header=BB957_213 Depth=1
	v_and_b32_e32 v44, 7, v42
	v_ffbh_u32_e32 v58, v44
	v_min_u32_e32 v60, 32, v58
	v_subrev_u32_e32 v58, 28, v60
	v_lshlrev_b64 v[58:59], v58, v[42:43]
	v_lshrrev_b32_e32 v49, 3, v47
	v_sub_u32_e32 v42, 29, v60
	v_and_b32_e32 v58, 7, v58
	v_cmp_gt_u32_e32 vcc, 8, v47
	v_cndmask_b32_e32 v42, v49, v42, vcc
	v_cndmask_b32_e32 v44, v44, v58, vcc
	v_lshlrev_b32_e32 v47, 16, v40
	v_lshlrev_b32_e32 v44, 20, v44
	v_and_b32_e32 v47, 0x80000000, v47
	v_lshl_add_u32 v42, v42, 23, v45
	v_or3_b32 v42, v47, v42, v44
	v_lshrrev_b32_e32 v44, 16, v42
.LBB957_463:                            ;   in Loop: Header=BB957_213 Depth=1
	s_or_b64 exec, exec, s[16:17]
.LBB957_464:                            ;   in Loop: Header=BB957_213 Depth=1
	s_or_b64 exec, exec, s[14:15]
.LBB957_465:                            ;   in Loop: Header=BB957_213 Depth=1
	s_or_b64 exec, exec, s[12:13]
	v_lshrrev_b32_e32 v42, 16, v40
	v_cmp_ne_u16_sdwa s[14:15], v42, v43 src0_sel:BYTE_0 src1_sel:DWORD
	s_and_saveexec_b64 s[12:13], s[14:15]
	s_cbranch_execz .LBB957_471
; %bb.466:                              ;   in Loop: Header=BB957_213 Depth=1
	v_cmp_ne_u16_sdwa s[16:17], v42, s9 src0_sel:BYTE_0 src1_sel:DWORD
	v_mov_b32_e32 v48, 0xffff8000
	s_and_saveexec_b64 s[14:15], s[16:17]
	s_cbranch_execz .LBB957_470
; %bb.467:                              ;   in Loop: Header=BB957_213 Depth=1
	v_bfe_u32 v47, v40, 16, 7
	v_cmp_ne_u32_e32 vcc, s21, v47
	v_mov_b32_e32 v48, 0x7f80
	s_and_saveexec_b64 s[16:17], vcc
	s_cbranch_execz .LBB957_469
; %bb.468:                              ;   in Loop: Header=BB957_213 Depth=1
	v_and_b32_e32 v58, 7, v42
	v_ffbh_u32_e32 v48, v58
	v_min_u32_e32 v60, 32, v48
	v_subrev_u32_e32 v48, 28, v60
	v_lshlrev_b64 v[48:49], v48, v[42:43]
	v_lshrrev_b32_e32 v59, 3, v47
	v_sub_u32_e32 v49, 29, v60
	v_and_b32_e32 v48, 7, v48
	v_cmp_gt_u32_e32 vcc, 8, v47
	v_cndmask_b32_e32 v47, v59, v49, vcc
	v_cndmask_b32_e32 v48, v58, v48, vcc
	v_lshlrev_b32_e32 v42, 24, v42
	v_lshlrev_b32_e32 v48, 20, v48
	v_and_b32_e32 v42, 0x80000000, v42
	v_lshl_add_u32 v47, v47, 23, v45
	v_or3_b32 v42, v42, v47, v48
	v_lshrrev_b32_e32 v48, 16, v42
.LBB957_469:                            ;   in Loop: Header=BB957_213 Depth=1
	s_or_b64 exec, exec, s[16:17]
.LBB957_470:                            ;   in Loop: Header=BB957_213 Depth=1
	s_or_b64 exec, exec, s[14:15]
.LBB957_471:                            ;   in Loop: Header=BB957_213 Depth=1
	s_or_b64 exec, exec, s[12:13]
	v_cmp_lt_u32_e32 vcc, s22, v40
	v_mov_b32_e32 v49, 0
	v_mov_b32_e32 v58, 0
	s_and_saveexec_b64 s[12:13], vcc
	s_cbranch_execz .LBB957_477
; %bb.472:                              ;   in Loop: Header=BB957_213 Depth=1
	v_lshrrev_b32_e32 v42, 24, v40
	v_cmp_ne_u32_e32 vcc, s9, v42
	v_mov_b32_e32 v58, 0xffff8000
	s_and_saveexec_b64 s[14:15], vcc
	s_cbranch_execz .LBB957_476
; %bb.473:                              ;   in Loop: Header=BB957_213 Depth=1
	v_bfe_u32 v40, v40, 24, 7
	v_cmp_ne_u32_e32 vcc, s21, v40
	v_mov_b32_e32 v58, 0x7f80
	s_and_saveexec_b64 s[16:17], vcc
	s_cbranch_execz .LBB957_475
; %bb.474:                              ;   in Loop: Header=BB957_213 Depth=1
	v_and_b32_e32 v47, 7, v42
	v_ffbh_u32_e32 v58, v47
	v_min_u32_e32 v61, 32, v58
	v_subrev_u32_e32 v58, 28, v61
	v_lshlrev_b64 v[58:59], v58, v[42:43]
	v_lshrrev_b32_e32 v60, 3, v40
	v_sub_u32_e32 v59, 29, v61
	v_and_b32_e32 v58, 7, v58
	v_cmp_gt_u32_e32 vcc, 8, v40
	v_cndmask_b32_e32 v40, v60, v59, vcc
	v_cndmask_b32_e32 v47, v47, v58, vcc
	v_lshlrev_b32_e32 v42, 24, v42
	v_lshlrev_b32_e32 v47, 20, v47
	v_and_b32_e32 v42, 0x80000000, v42
	v_lshl_add_u32 v40, v40, 23, v45
	v_or3_b32 v40, v42, v40, v47
	v_lshrrev_b32_e32 v58, 16, v40
.LBB957_475:                            ;   in Loop: Header=BB957_213 Depth=1
	s_or_b64 exec, exec, s[16:17]
.LBB957_476:                            ;   in Loop: Header=BB957_213 Depth=1
	s_or_b64 exec, exec, s[14:15]
.LBB957_477:                            ;   in Loop: Header=BB957_213 Depth=1
	s_or_b64 exec, exec, s[12:13]
	s_waitcnt vmcnt(0)
	v_cmp_ne_u16_sdwa s[14:15], v38, v43 src0_sel:BYTE_0 src1_sel:DWORD
	s_and_saveexec_b64 s[12:13], s[14:15]
	s_cbranch_execz .LBB957_483
; %bb.478:                              ;   in Loop: Header=BB957_213 Depth=1
	v_cmp_ne_u16_sdwa s[16:17], v38, s9 src0_sel:BYTE_0 src1_sel:DWORD
	v_mov_b32_e32 v49, 0xffff8000
	s_and_saveexec_b64 s[14:15], s[16:17]
	s_cbranch_execz .LBB957_482
; %bb.479:                              ;   in Loop: Header=BB957_213 Depth=1
	v_and_b32_e32 v40, 0x7f, v38
	v_cmp_ne_u32_e32 vcc, s21, v40
	v_mov_b32_e32 v49, 0x7f80
	s_and_saveexec_b64 s[16:17], vcc
	s_cbranch_execz .LBB957_481
; %bb.480:                              ;   in Loop: Header=BB957_213 Depth=1
	v_and_b32_e32 v42, 7, v38
	v_ffbh_u32_e32 v49, v42
	v_min_u32_e32 v49, 32, v49
	v_subrev_u32_e32 v59, 28, v49
	v_lshlrev_b64 v[60:61], v59, v[38:39]
	v_lshrrev_b32_e32 v47, 3, v40
	v_sub_u32_e32 v49, 29, v49
	v_and_b32_e32 v59, 7, v60
	v_cmp_gt_u32_e32 vcc, 8, v40
	v_cndmask_b32_e32 v40, v47, v49, vcc
	v_cndmask_b32_e32 v42, v42, v59, vcc
	v_lshlrev_b32_e32 v47, 24, v38
	v_lshlrev_b32_e32 v42, 20, v42
	v_and_b32_e32 v47, 0x80000000, v47
	v_lshl_add_u32 v40, v40, 23, v45
	v_or3_b32 v40, v47, v40, v42
	v_lshrrev_b32_e32 v49, 16, v40
.LBB957_481:                            ;   in Loop: Header=BB957_213 Depth=1
	s_or_b64 exec, exec, s[16:17]
.LBB957_482:                            ;   in Loop: Header=BB957_213 Depth=1
	s_or_b64 exec, exec, s[14:15]
.LBB957_483:                            ;   in Loop: Header=BB957_213 Depth=1
	s_or_b64 exec, exec, s[12:13]
	v_lshrrev_b16_e32 v40, 8, v38
	v_cmp_ne_u16_e32 vcc, 0, v40
	v_mov_b32_e32 v60, 0
	v_mov_b32_e32 v59, 0
	s_and_saveexec_b64 s[12:13], vcc
	s_cbranch_execz .LBB957_489
; %bb.484:                              ;   in Loop: Header=BB957_213 Depth=1
	v_cmp_ne_u16_e32 vcc, s9, v40
	v_mov_b32_e32 v59, 0xffff8000
	s_and_saveexec_b64 s[14:15], vcc
	s_cbranch_execz .LBB957_488
; %bb.485:                              ;   in Loop: Header=BB957_213 Depth=1
	v_and_b32_e32 v42, 0x7f, v40
	v_cmp_ne_u32_e32 vcc, s21, v42
	v_mov_b32_e32 v59, 0x7f80
	s_and_saveexec_b64 s[16:17], vcc
	s_cbranch_execz .LBB957_487
; %bb.486:                              ;   in Loop: Header=BB957_213 Depth=1
	v_and_b32_e32 v47, 7, v40
	v_ffbh_u32_e32 v61, v47
	v_min_u32_e32 v61, 32, v61
	v_subrev_u32_e32 v62, 28, v61
	v_lshlrev_b64 v[62:63], v62, v[40:41]
	v_lshrrev_b32_e32 v59, 3, v42
	v_sub_u32_e32 v40, 29, v61
	v_and_b32_e32 v61, 7, v62
	v_cmp_gt_u32_e32 vcc, 8, v42
	v_cndmask_b32_e32 v40, v59, v40, vcc
	v_cndmask_b32_e32 v42, v47, v61, vcc
	v_lshlrev_b32_e32 v47, 16, v38
	v_lshlrev_b32_e32 v42, 20, v42
	v_and_b32_e32 v47, 0x80000000, v47
	v_lshl_add_u32 v40, v40, 23, v45
	v_or3_b32 v40, v47, v40, v42
	v_lshrrev_b32_e32 v59, 16, v40
.LBB957_487:                            ;   in Loop: Header=BB957_213 Depth=1
	s_or_b64 exec, exec, s[16:17]
.LBB957_488:                            ;   in Loop: Header=BB957_213 Depth=1
	s_or_b64 exec, exec, s[14:15]
.LBB957_489:                            ;   in Loop: Header=BB957_213 Depth=1
	s_or_b64 exec, exec, s[12:13]
	v_lshrrev_b32_e32 v40, 16, v38
	v_cmp_ne_u16_sdwa s[14:15], v40, v43 src0_sel:BYTE_0 src1_sel:DWORD
	s_and_saveexec_b64 s[12:13], s[14:15]
	s_cbranch_execz .LBB957_495
; %bb.490:                              ;   in Loop: Header=BB957_213 Depth=1
	v_cmp_ne_u16_sdwa s[16:17], v40, s9 src0_sel:BYTE_0 src1_sel:DWORD
	v_mov_b32_e32 v60, 0xffff8000
	s_and_saveexec_b64 s[14:15], s[16:17]
	s_cbranch_execz .LBB957_494
; %bb.491:                              ;   in Loop: Header=BB957_213 Depth=1
	v_bfe_u32 v42, v38, 16, 7
	v_cmp_ne_u32_e32 vcc, s21, v42
	v_mov_b32_e32 v60, 0x7f80
	s_and_saveexec_b64 s[16:17], vcc
	s_cbranch_execz .LBB957_493
; %bb.492:                              ;   in Loop: Header=BB957_213 Depth=1
	v_and_b32_e32 v47, 7, v40
	v_ffbh_u32_e32 v60, v47
	v_min_u32_e32 v63, 32, v60
	v_subrev_u32_e32 v60, 28, v63
	v_lshlrev_b64 v[60:61], v60, v[40:41]
	v_lshrrev_b32_e32 v62, 3, v42
	v_sub_u32_e32 v61, 29, v63
	v_and_b32_e32 v60, 7, v60
	v_cmp_gt_u32_e32 vcc, 8, v42
	v_cndmask_b32_e32 v42, v62, v61, vcc
	v_cndmask_b32_e32 v47, v47, v60, vcc
	v_lshlrev_b32_e32 v40, 24, v40
	v_lshlrev_b32_e32 v47, 20, v47
	v_and_b32_e32 v40, 0x80000000, v40
	v_lshl_add_u32 v42, v42, 23, v45
	v_or3_b32 v40, v40, v42, v47
	v_lshrrev_b32_e32 v60, 16, v40
.LBB957_493:                            ;   in Loop: Header=BB957_213 Depth=1
	s_or_b64 exec, exec, s[16:17]
.LBB957_494:                            ;   in Loop: Header=BB957_213 Depth=1
	s_or_b64 exec, exec, s[14:15]
.LBB957_495:                            ;   in Loop: Header=BB957_213 Depth=1
	s_or_b64 exec, exec, s[12:13]
	v_cmp_lt_u32_e32 vcc, s22, v38
	v_mov_b32_e32 v47, 0
	v_mov_b32_e32 v61, 0
	s_and_saveexec_b64 s[12:13], vcc
	s_cbranch_execz .LBB957_501
; %bb.496:                              ;   in Loop: Header=BB957_213 Depth=1
	v_lshrrev_b32_e32 v40, 24, v38
	v_cmp_ne_u32_e32 vcc, s9, v40
	v_mov_b32_e32 v61, 0xffff8000
	s_and_saveexec_b64 s[14:15], vcc
	s_cbranch_execz .LBB957_500
; %bb.497:                              ;   in Loop: Header=BB957_213 Depth=1
	v_bfe_u32 v38, v38, 24, 7
	v_cmp_ne_u32_e32 vcc, s21, v38
	v_mov_b32_e32 v61, 0x7f80
	s_and_saveexec_b64 s[16:17], vcc
	s_cbranch_execz .LBB957_499
; %bb.498:                              ;   in Loop: Header=BB957_213 Depth=1
	v_and_b32_e32 v42, 7, v40
	v_ffbh_u32_e32 v62, v42
	v_min_u32_e32 v64, 32, v62
	v_subrev_u32_e32 v62, 28, v64
	v_lshlrev_b64 v[62:63], v62, v[40:41]
	v_lshrrev_b32_e32 v61, 3, v38
	v_sub_u32_e32 v63, 29, v64
	v_and_b32_e32 v62, 7, v62
	v_cmp_gt_u32_e32 vcc, 8, v38
	v_cndmask_b32_e32 v38, v61, v63, vcc
	v_cndmask_b32_e32 v42, v42, v62, vcc
	v_lshlrev_b32_e32 v40, 24, v40
	v_lshlrev_b32_e32 v42, 20, v42
	v_and_b32_e32 v40, 0x80000000, v40
	v_lshl_add_u32 v38, v38, 23, v45
	v_or3_b32 v38, v40, v38, v42
	v_lshrrev_b32_e32 v61, 16, v38
.LBB957_499:                            ;   in Loop: Header=BB957_213 Depth=1
	s_or_b64 exec, exec, s[16:17]
.LBB957_500:                            ;   in Loop: Header=BB957_213 Depth=1
	s_or_b64 exec, exec, s[14:15]
.LBB957_501:                            ;   in Loop: Header=BB957_213 Depth=1
	s_or_b64 exec, exec, s[12:13]
	v_perm_b32 v62, v44, v46, s23
	buffer_load_dword v44, v57, s[0:3], 0 offen
	buffer_load_dword v42, v57, s[0:3], 0 offen offset:4
	buffer_load_dword v40, v57, s[0:3], 0 offen offset:8
	;; [unrolled: 1-line block ×3, first 2 shown]
	v_perm_b32 v63, v58, v48, s23
	v_perm_b32 v61, v61, v60, s23
	;; [unrolled: 1-line block ×3, first 2 shown]
	v_mfma_f32_16x16x16bf16_1k v[34:37], v[62:63], v[22:23], v[34:37]
	s_waitcnt vmcnt(3)
	v_cmp_ne_u16_sdwa s[14:15], v44, v43 src0_sel:BYTE_0 src1_sel:DWORD
	v_mfma_f32_16x16x16bf16_1k v[34:37], v[60:61], v[24:25], v[34:37]
	s_and_saveexec_b64 s[12:13], s[14:15]
	s_cbranch_execz .LBB957_507
; %bb.502:                              ;   in Loop: Header=BB957_213 Depth=1
	v_cmp_ne_u16_sdwa s[16:17], v44, s9 src0_sel:BYTE_0 src1_sel:DWORD
	v_mov_b32_e32 v47, 0xffff8000
	s_and_saveexec_b64 s[14:15], s[16:17]
	s_cbranch_execz .LBB957_506
; %bb.503:                              ;   in Loop: Header=BB957_213 Depth=1
	v_and_b32_e32 v46, 0x7f, v44
	v_cmp_ne_u32_e32 vcc, s21, v46
	v_mov_b32_e32 v47, 0x7f80
	s_and_saveexec_b64 s[16:17], vcc
	s_cbranch_execz .LBB957_505
; %bb.504:                              ;   in Loop: Header=BB957_213 Depth=1
	v_and_b32_e32 v47, 7, v44
	v_ffbh_u32_e32 v48, v47
	v_min_u32_e32 v58, 32, v48
	v_subrev_u32_e32 v48, 28, v58
	v_lshlrev_b64 v[48:49], v48, v[44:45]
	v_lshrrev_b32_e32 v57, 3, v46
	v_sub_u32_e32 v49, 29, v58
	v_and_b32_e32 v48, 7, v48
	v_cmp_gt_u32_e32 vcc, 8, v46
	v_cndmask_b32_e32 v46, v57, v49, vcc
	v_cndmask_b32_e32 v47, v47, v48, vcc
	v_lshlrev_b32_e32 v48, 24, v44
	v_lshlrev_b32_e32 v47, 20, v47
	v_and_b32_e32 v48, 0x80000000, v48
	v_lshl_add_u32 v46, v46, 23, v45
	v_or3_b32 v46, v48, v46, v47
	v_lshrrev_b32_e32 v47, 16, v46
.LBB957_505:                            ;   in Loop: Header=BB957_213 Depth=1
	s_or_b64 exec, exec, s[16:17]
.LBB957_506:                            ;   in Loop: Header=BB957_213 Depth=1
	s_or_b64 exec, exec, s[14:15]
.LBB957_507:                            ;   in Loop: Header=BB957_213 Depth=1
	s_or_b64 exec, exec, s[12:13]
	v_lshrrev_b16_e32 v46, 8, v44
	v_cmp_ne_u16_e32 vcc, 0, v46
	v_mov_b32_e32 v49, 0
	v_mov_b32_e32 v48, 0
	s_and_saveexec_b64 s[12:13], vcc
	s_cbranch_execz .LBB957_513
; %bb.508:                              ;   in Loop: Header=BB957_213 Depth=1
	v_cmp_ne_u16_e32 vcc, s9, v46
	v_mov_b32_e32 v48, 0xffff8000
	s_and_saveexec_b64 s[14:15], vcc
	s_cbranch_execz .LBB957_512
; %bb.509:                              ;   in Loop: Header=BB957_213 Depth=1
	v_and_b32_e32 v57, 0x7f, v46
	v_cmp_ne_u32_e32 vcc, s21, v57
	v_mov_b32_e32 v48, 0x7f80
	s_and_saveexec_b64 s[16:17], vcc
	s_cbranch_execz .LBB957_511
; %bb.510:                              ;   in Loop: Header=BB957_213 Depth=1
	v_and_b32_e32 v48, 7, v46
	v_ffbh_u32_e32 v58, v48
	v_min_u32_e32 v61, 32, v58
	v_subrev_u32_e32 v58, 28, v61
	v_lshlrev_b64 v[58:59], v58, v[46:47]
	v_lshrrev_b32_e32 v60, 3, v57
	v_sub_u32_e32 v46, 29, v61
	v_and_b32_e32 v58, 7, v58
	v_cmp_gt_u32_e32 vcc, 8, v57
	v_cndmask_b32_e32 v46, v60, v46, vcc
	v_cndmask_b32_e32 v48, v48, v58, vcc
	v_lshlrev_b32_e32 v57, 16, v44
	v_lshlrev_b32_e32 v48, 20, v48
	v_and_b32_e32 v57, 0x80000000, v57
	v_lshl_add_u32 v46, v46, 23, v45
	v_or3_b32 v46, v57, v46, v48
	v_lshrrev_b32_e32 v48, 16, v46
.LBB957_511:                            ;   in Loop: Header=BB957_213 Depth=1
	s_or_b64 exec, exec, s[16:17]
.LBB957_512:                            ;   in Loop: Header=BB957_213 Depth=1
	s_or_b64 exec, exec, s[14:15]
.LBB957_513:                            ;   in Loop: Header=BB957_213 Depth=1
	s_or_b64 exec, exec, s[12:13]
	v_lshrrev_b32_e32 v46, 16, v44
	v_cmp_ne_u16_sdwa s[14:15], v46, v43 src0_sel:BYTE_0 src1_sel:DWORD
	s_and_saveexec_b64 s[12:13], s[14:15]
	s_cbranch_execz .LBB957_519
; %bb.514:                              ;   in Loop: Header=BB957_213 Depth=1
	v_cmp_ne_u16_sdwa s[16:17], v46, s9 src0_sel:BYTE_0 src1_sel:DWORD
	v_mov_b32_e32 v49, 0xffff8000
	s_and_saveexec_b64 s[14:15], s[16:17]
	s_cbranch_execz .LBB957_518
; %bb.515:                              ;   in Loop: Header=BB957_213 Depth=1
	v_bfe_u32 v57, v44, 16, 7
	v_cmp_ne_u32_e32 vcc, s21, v57
	v_mov_b32_e32 v49, 0x7f80
	s_and_saveexec_b64 s[16:17], vcc
	s_cbranch_execz .LBB957_517
; %bb.516:                              ;   in Loop: Header=BB957_213 Depth=1
	v_and_b32_e32 v49, 7, v46
	v_ffbh_u32_e32 v58, v49
	v_min_u32_e32 v61, 32, v58
	v_subrev_u32_e32 v58, 28, v61
	v_lshlrev_b64 v[58:59], v58, v[46:47]
	v_lshrrev_b32_e32 v60, 3, v57
	v_sub_u32_e32 v59, 29, v61
	v_and_b32_e32 v58, 7, v58
	v_cmp_gt_u32_e32 vcc, 8, v57
	v_cndmask_b32_e32 v57, v60, v59, vcc
	v_cndmask_b32_e32 v49, v49, v58, vcc
	v_lshlrev_b32_e32 v46, 24, v46
	v_lshlrev_b32_e32 v49, 20, v49
	v_and_b32_e32 v46, 0x80000000, v46
	v_lshl_add_u32 v57, v57, 23, v45
	v_or3_b32 v46, v46, v57, v49
	v_lshrrev_b32_e32 v49, 16, v46
.LBB957_517:                            ;   in Loop: Header=BB957_213 Depth=1
	s_or_b64 exec, exec, s[16:17]
.LBB957_518:                            ;   in Loop: Header=BB957_213 Depth=1
	s_or_b64 exec, exec, s[14:15]
.LBB957_519:                            ;   in Loop: Header=BB957_213 Depth=1
	s_or_b64 exec, exec, s[12:13]
	v_cmp_lt_u32_e32 vcc, s22, v44
	v_mov_b32_e32 v57, 0
	v_mov_b32_e32 v58, 0
	s_and_saveexec_b64 s[12:13], vcc
	s_cbranch_execz .LBB957_525
; %bb.520:                              ;   in Loop: Header=BB957_213 Depth=1
	v_lshrrev_b32_e32 v46, 24, v44
	v_cmp_ne_u32_e32 vcc, s9, v46
	v_mov_b32_e32 v58, 0xffff8000
	s_and_saveexec_b64 s[14:15], vcc
	s_cbranch_execz .LBB957_524
; %bb.521:                              ;   in Loop: Header=BB957_213 Depth=1
	v_bfe_u32 v44, v44, 24, 7
	v_cmp_ne_u32_e32 vcc, s21, v44
	v_mov_b32_e32 v58, 0x7f80
	s_and_saveexec_b64 s[16:17], vcc
	s_cbranch_execz .LBB957_523
; %bb.522:                              ;   in Loop: Header=BB957_213 Depth=1
	v_and_b32_e32 v60, 7, v46
	v_ffbh_u32_e32 v58, v60
	v_min_u32_e32 v62, 32, v58
	v_subrev_u32_e32 v58, 28, v62
	v_lshlrev_b64 v[58:59], v58, v[46:47]
	v_lshrrev_b32_e32 v61, 3, v44
	v_sub_u32_e32 v59, 29, v62
	v_and_b32_e32 v58, 7, v58
	v_cmp_gt_u32_e32 vcc, 8, v44
	v_cndmask_b32_e32 v44, v61, v59, vcc
	v_cndmask_b32_e32 v58, v60, v58, vcc
	v_lshlrev_b32_e32 v46, 24, v46
	v_lshlrev_b32_e32 v58, 20, v58
	v_and_b32_e32 v46, 0x80000000, v46
	v_lshl_add_u32 v44, v44, 23, v45
	v_or3_b32 v44, v46, v44, v58
	v_lshrrev_b32_e32 v58, 16, v44
.LBB957_523:                            ;   in Loop: Header=BB957_213 Depth=1
	s_or_b64 exec, exec, s[16:17]
.LBB957_524:                            ;   in Loop: Header=BB957_213 Depth=1
	s_or_b64 exec, exec, s[14:15]
.LBB957_525:                            ;   in Loop: Header=BB957_213 Depth=1
	s_or_b64 exec, exec, s[12:13]
	s_waitcnt vmcnt(2)
	v_cmp_ne_u16_sdwa s[14:15], v42, v43 src0_sel:BYTE_0 src1_sel:DWORD
	s_and_saveexec_b64 s[12:13], s[14:15]
	s_cbranch_execz .LBB957_531
; %bb.526:                              ;   in Loop: Header=BB957_213 Depth=1
	v_cmp_ne_u16_sdwa s[16:17], v42, s9 src0_sel:BYTE_0 src1_sel:DWORD
	v_mov_b32_e32 v57, 0xffff8000
	s_and_saveexec_b64 s[14:15], s[16:17]
	s_cbranch_execz .LBB957_530
; %bb.527:                              ;   in Loop: Header=BB957_213 Depth=1
	v_and_b32_e32 v44, 0x7f, v42
	v_cmp_ne_u32_e32 vcc, s21, v44
	v_mov_b32_e32 v57, 0x7f80
	s_and_saveexec_b64 s[16:17], vcc
	s_cbranch_execz .LBB957_529
; %bb.528:                              ;   in Loop: Header=BB957_213 Depth=1
	v_and_b32_e32 v46, 7, v42
	v_ffbh_u32_e32 v59, v46
	v_min_u32_e32 v59, 32, v59
	v_subrev_u32_e32 v60, 28, v59
	v_lshlrev_b64 v[60:61], v60, v[42:43]
	v_lshrrev_b32_e32 v57, 3, v44
	v_sub_u32_e32 v59, 29, v59
	v_and_b32_e32 v60, 7, v60
	v_cmp_gt_u32_e32 vcc, 8, v44
	v_cndmask_b32_e32 v44, v57, v59, vcc
	v_cndmask_b32_e32 v46, v46, v60, vcc
	v_lshlrev_b32_e32 v57, 24, v42
	v_lshlrev_b32_e32 v46, 20, v46
	v_and_b32_e32 v57, 0x80000000, v57
	v_lshl_add_u32 v44, v44, 23, v45
	v_or3_b32 v44, v57, v44, v46
	v_lshrrev_b32_e32 v57, 16, v44
.LBB957_529:                            ;   in Loop: Header=BB957_213 Depth=1
	s_or_b64 exec, exec, s[16:17]
.LBB957_530:                            ;   in Loop: Header=BB957_213 Depth=1
	s_or_b64 exec, exec, s[14:15]
.LBB957_531:                            ;   in Loop: Header=BB957_213 Depth=1
	s_or_b64 exec, exec, s[12:13]
	v_lshrrev_b16_e32 v44, 8, v42
	v_cmp_ne_u16_e32 vcc, 0, v44
	v_mov_b32_e32 v60, 0
	v_mov_b32_e32 v59, 0
	s_and_saveexec_b64 s[12:13], vcc
	s_cbranch_execz .LBB957_537
; %bb.532:                              ;   in Loop: Header=BB957_213 Depth=1
	v_cmp_ne_u16_e32 vcc, s9, v44
	v_mov_b32_e32 v59, 0xffff8000
	s_and_saveexec_b64 s[14:15], vcc
	s_cbranch_execz .LBB957_536
; %bb.533:                              ;   in Loop: Header=BB957_213 Depth=1
	v_and_b32_e32 v46, 0x7f, v44
	v_cmp_ne_u32_e32 vcc, s21, v46
	v_mov_b32_e32 v59, 0x7f80
	s_and_saveexec_b64 s[16:17], vcc
	s_cbranch_execz .LBB957_535
; %bb.534:                              ;   in Loop: Header=BB957_213 Depth=1
	v_and_b32_e32 v59, 7, v44
	v_ffbh_u32_e32 v62, v59
	v_min_u32_e32 v64, 32, v62
	v_subrev_u32_e32 v62, 28, v64
	v_lshlrev_b64 v[62:63], v62, v[44:45]
	v_lshrrev_b32_e32 v61, 3, v46
	v_sub_u32_e32 v44, 29, v64
	v_and_b32_e32 v62, 7, v62
	v_cmp_gt_u32_e32 vcc, 8, v46
	v_cndmask_b32_e32 v44, v61, v44, vcc
	v_cndmask_b32_e32 v46, v59, v62, vcc
	v_lshlrev_b32_e32 v59, 16, v42
	v_lshlrev_b32_e32 v46, 20, v46
	v_and_b32_e32 v59, 0x80000000, v59
	v_lshl_add_u32 v44, v44, 23, v45
	v_or3_b32 v44, v59, v44, v46
	v_lshrrev_b32_e32 v59, 16, v44
.LBB957_535:                            ;   in Loop: Header=BB957_213 Depth=1
	s_or_b64 exec, exec, s[16:17]
.LBB957_536:                            ;   in Loop: Header=BB957_213 Depth=1
	s_or_b64 exec, exec, s[14:15]
.LBB957_537:                            ;   in Loop: Header=BB957_213 Depth=1
	s_or_b64 exec, exec, s[12:13]
	v_lshrrev_b32_e32 v44, 16, v42
	v_cmp_ne_u16_sdwa s[14:15], v44, v43 src0_sel:BYTE_0 src1_sel:DWORD
	s_and_saveexec_b64 s[12:13], s[14:15]
	s_cbranch_execz .LBB957_543
; %bb.538:                              ;   in Loop: Header=BB957_213 Depth=1
	v_cmp_ne_u16_sdwa s[16:17], v44, s9 src0_sel:BYTE_0 src1_sel:DWORD
	v_mov_b32_e32 v60, 0xffff8000
	s_and_saveexec_b64 s[14:15], s[16:17]
	s_cbranch_execz .LBB957_542
; %bb.539:                              ;   in Loop: Header=BB957_213 Depth=1
	v_bfe_u32 v46, v42, 16, 7
	v_cmp_ne_u32_e32 vcc, s21, v46
	v_mov_b32_e32 v60, 0x7f80
	s_and_saveexec_b64 s[16:17], vcc
	s_cbranch_execz .LBB957_541
; %bb.540:                              ;   in Loop: Header=BB957_213 Depth=1
	v_and_b32_e32 v62, 7, v44
	v_ffbh_u32_e32 v60, v62
	v_min_u32_e32 v64, 32, v60
	v_subrev_u32_e32 v60, 28, v64
	v_lshlrev_b64 v[60:61], v60, v[44:45]
	v_lshrrev_b32_e32 v63, 3, v46
	v_sub_u32_e32 v61, 29, v64
	v_and_b32_e32 v60, 7, v60
	v_cmp_gt_u32_e32 vcc, 8, v46
	v_cndmask_b32_e32 v46, v63, v61, vcc
	v_cndmask_b32_e32 v60, v62, v60, vcc
	v_lshlrev_b32_e32 v44, 24, v44
	v_lshlrev_b32_e32 v60, 20, v60
	v_and_b32_e32 v44, 0x80000000, v44
	v_lshl_add_u32 v46, v46, 23, v45
	v_or3_b32 v44, v44, v46, v60
	v_lshrrev_b32_e32 v60, 16, v44
.LBB957_541:                            ;   in Loop: Header=BB957_213 Depth=1
	s_or_b64 exec, exec, s[16:17]
.LBB957_542:                            ;   in Loop: Header=BB957_213 Depth=1
	s_or_b64 exec, exec, s[14:15]
.LBB957_543:                            ;   in Loop: Header=BB957_213 Depth=1
	s_or_b64 exec, exec, s[12:13]
	v_cmp_lt_u32_e32 vcc, s22, v42
	v_mov_b32_e32 v46, 0
	v_mov_b32_e32 v61, 0
	s_and_saveexec_b64 s[12:13], vcc
	s_cbranch_execz .LBB957_549
; %bb.544:                              ;   in Loop: Header=BB957_213 Depth=1
	v_lshrrev_b32_e32 v44, 24, v42
	v_cmp_ne_u32_e32 vcc, s9, v44
	v_mov_b32_e32 v61, 0xffff8000
	s_and_saveexec_b64 s[14:15], vcc
	s_cbranch_execz .LBB957_548
; %bb.545:                              ;   in Loop: Header=BB957_213 Depth=1
	v_bfe_u32 v42, v42, 24, 7
	v_cmp_ne_u32_e32 vcc, s21, v42
	v_mov_b32_e32 v61, 0x7f80
	s_and_saveexec_b64 s[16:17], vcc
	s_cbranch_execz .LBB957_547
; %bb.546:                              ;   in Loop: Header=BB957_213 Depth=1
	v_and_b32_e32 v61, 7, v44
	v_ffbh_u32_e32 v62, v61
	v_min_u32_e32 v65, 32, v62
	v_subrev_u32_e32 v62, 28, v65
	v_lshlrev_b64 v[62:63], v62, v[44:45]
	v_lshrrev_b32_e32 v64, 3, v42
	v_sub_u32_e32 v63, 29, v65
	v_and_b32_e32 v62, 7, v62
	v_cmp_gt_u32_e32 vcc, 8, v42
	v_cndmask_b32_e32 v42, v64, v63, vcc
	v_cndmask_b32_e32 v61, v61, v62, vcc
	v_lshlrev_b32_e32 v44, 24, v44
	v_lshlrev_b32_e32 v61, 20, v61
	v_and_b32_e32 v44, 0x80000000, v44
	v_lshl_add_u32 v42, v42, 23, v45
	v_or3_b32 v42, v44, v42, v61
	v_lshrrev_b32_e32 v61, 16, v42
.LBB957_547:                            ;   in Loop: Header=BB957_213 Depth=1
	s_or_b64 exec, exec, s[16:17]
.LBB957_548:                            ;   in Loop: Header=BB957_213 Depth=1
	s_or_b64 exec, exec, s[14:15]
.LBB957_549:                            ;   in Loop: Header=BB957_213 Depth=1
	s_or_b64 exec, exec, s[12:13]
	v_perm_b32 v49, v58, v49, s23
	v_perm_b32 v48, v48, v47, s23
	s_waitcnt vmcnt(1)
	v_cmp_ne_u16_sdwa s[14:15], v40, v43 src0_sel:BYTE_0 src1_sel:DWORD
	v_mfma_f32_16x16x16bf16_1k v[34:37], v[48:49], v[26:27], v[34:37]
	v_perm_b32 v49, v61, v60, s23
	v_perm_b32 v48, v59, v57, s23
	s_nop 1
	v_mfma_f32_16x16x16bf16_1k v[34:37], v[48:49], v[28:29], v[34:37]
	s_and_saveexec_b64 s[12:13], s[14:15]
	s_cbranch_execz .LBB957_555
; %bb.550:                              ;   in Loop: Header=BB957_213 Depth=1
	v_cmp_ne_u16_sdwa s[16:17], v40, s9 src0_sel:BYTE_0 src1_sel:DWORD
	v_mov_b32_e32 v46, 0xffff8000
	s_and_saveexec_b64 s[14:15], s[16:17]
	s_cbranch_execz .LBB957_554
; %bb.551:                              ;   in Loop: Header=BB957_213 Depth=1
	v_and_b32_e32 v42, 0x7f, v40
	v_cmp_ne_u32_e32 vcc, s21, v42
	v_mov_b32_e32 v46, 0x7f80
	s_and_saveexec_b64 s[16:17], vcc
	s_cbranch_execz .LBB957_553
; %bb.552:                              ;   in Loop: Header=BB957_213 Depth=1
	v_and_b32_e32 v44, 7, v40
	v_ffbh_u32_e32 v46, v44
	v_min_u32_e32 v49, 32, v46
	v_subrev_u32_e32 v46, 28, v49
	v_lshlrev_b64 v[46:47], v46, v[40:41]
	v_lshrrev_b32_e32 v48, 3, v42
	v_sub_u32_e32 v47, 29, v49
	v_and_b32_e32 v46, 7, v46
	v_cmp_gt_u32_e32 vcc, 8, v42
	v_cndmask_b32_e32 v42, v48, v47, vcc
	v_cndmask_b32_e32 v44, v44, v46, vcc
	v_lshlrev_b32_e32 v46, 24, v40
	v_lshlrev_b32_e32 v44, 20, v44
	v_and_b32_e32 v46, 0x80000000, v46
	v_lshl_add_u32 v42, v42, 23, v45
	v_or3_b32 v42, v46, v42, v44
	v_lshrrev_b32_e32 v46, 16, v42
.LBB957_553:                            ;   in Loop: Header=BB957_213 Depth=1
	s_or_b64 exec, exec, s[16:17]
.LBB957_554:                            ;   in Loop: Header=BB957_213 Depth=1
	s_or_b64 exec, exec, s[14:15]
.LBB957_555:                            ;   in Loop: Header=BB957_213 Depth=1
	s_or_b64 exec, exec, s[12:13]
	v_lshrrev_b16_e32 v42, 8, v40
	v_cmp_ne_u16_e32 vcc, 0, v42
	v_mov_b32_e32 v47, 0
	v_mov_b32_e32 v44, 0
	s_and_saveexec_b64 s[12:13], vcc
	s_cbranch_execz .LBB957_561
; %bb.556:                              ;   in Loop: Header=BB957_213 Depth=1
	v_cmp_ne_u16_e32 vcc, s9, v42
	v_mov_b32_e32 v44, 0xffff8000
	s_and_saveexec_b64 s[14:15], vcc
	s_cbranch_execz .LBB957_560
; %bb.557:                              ;   in Loop: Header=BB957_213 Depth=1
	v_and_b32_e32 v48, 0x7f, v42
	v_cmp_ne_u32_e32 vcc, s21, v48
	v_mov_b32_e32 v44, 0x7f80
	s_and_saveexec_b64 s[16:17], vcc
	s_cbranch_execz .LBB957_559
; %bb.558:                              ;   in Loop: Header=BB957_213 Depth=1
	v_and_b32_e32 v44, 7, v42
	v_ffbh_u32_e32 v57, v44
	v_min_u32_e32 v57, 32, v57
	v_subrev_u32_e32 v58, 28, v57
	v_lshlrev_b64 v[58:59], v58, v[42:43]
	v_lshrrev_b32_e32 v49, 3, v48
	v_sub_u32_e32 v42, 29, v57
	v_and_b32_e32 v57, 7, v58
	v_cmp_gt_u32_e32 vcc, 8, v48
	v_cndmask_b32_e32 v42, v49, v42, vcc
	v_cndmask_b32_e32 v44, v44, v57, vcc
	v_lshlrev_b32_e32 v48, 16, v40
	v_lshlrev_b32_e32 v44, 20, v44
	v_and_b32_e32 v48, 0x80000000, v48
	v_lshl_add_u32 v42, v42, 23, v45
	v_or3_b32 v42, v48, v42, v44
	v_lshrrev_b32_e32 v44, 16, v42
.LBB957_559:                            ;   in Loop: Header=BB957_213 Depth=1
	s_or_b64 exec, exec, s[16:17]
.LBB957_560:                            ;   in Loop: Header=BB957_213 Depth=1
	s_or_b64 exec, exec, s[14:15]
.LBB957_561:                            ;   in Loop: Header=BB957_213 Depth=1
	s_or_b64 exec, exec, s[12:13]
	v_lshrrev_b32_e32 v42, 16, v40
	v_cmp_ne_u16_sdwa s[14:15], v42, v43 src0_sel:BYTE_0 src1_sel:DWORD
	s_and_saveexec_b64 s[12:13], s[14:15]
	s_cbranch_execz .LBB957_567
; %bb.562:                              ;   in Loop: Header=BB957_213 Depth=1
	v_cmp_ne_u16_sdwa s[16:17], v42, s9 src0_sel:BYTE_0 src1_sel:DWORD
	v_mov_b32_e32 v47, 0xffff8000
	s_and_saveexec_b64 s[14:15], s[16:17]
	s_cbranch_execz .LBB957_566
; %bb.563:                              ;   in Loop: Header=BB957_213 Depth=1
	v_bfe_u32 v48, v40, 16, 7
	v_cmp_ne_u32_e32 vcc, s21, v48
	v_mov_b32_e32 v47, 0x7f80
	s_and_saveexec_b64 s[16:17], vcc
	s_cbranch_execz .LBB957_565
; %bb.564:                              ;   in Loop: Header=BB957_213 Depth=1
	v_and_b32_e32 v47, 7, v42
	v_ffbh_u32_e32 v57, v47
	v_min_u32_e32 v57, 32, v57
	v_subrev_u32_e32 v58, 28, v57
	v_lshlrev_b64 v[58:59], v58, v[42:43]
	v_lshrrev_b32_e32 v49, 3, v48
	v_sub_u32_e32 v57, 29, v57
	v_and_b32_e32 v58, 7, v58
	v_cmp_gt_u32_e32 vcc, 8, v48
	v_cndmask_b32_e32 v48, v49, v57, vcc
	v_cndmask_b32_e32 v47, v47, v58, vcc
	v_lshlrev_b32_e32 v42, 24, v42
	v_lshlrev_b32_e32 v47, 20, v47
	v_and_b32_e32 v42, 0x80000000, v42
	v_lshl_add_u32 v48, v48, 23, v45
	v_or3_b32 v42, v42, v48, v47
	v_lshrrev_b32_e32 v47, 16, v42
.LBB957_565:                            ;   in Loop: Header=BB957_213 Depth=1
	s_or_b64 exec, exec, s[16:17]
.LBB957_566:                            ;   in Loop: Header=BB957_213 Depth=1
	s_or_b64 exec, exec, s[14:15]
.LBB957_567:                            ;   in Loop: Header=BB957_213 Depth=1
	s_or_b64 exec, exec, s[12:13]
	v_cmp_lt_u32_e32 vcc, s22, v40
	v_mov_b32_e32 v48, 0
	v_mov_b32_e32 v49, 0
	s_and_saveexec_b64 s[12:13], vcc
	s_cbranch_execz .LBB957_573
; %bb.568:                              ;   in Loop: Header=BB957_213 Depth=1
	v_lshrrev_b32_e32 v42, 24, v40
	v_cmp_ne_u32_e32 vcc, s9, v42
	v_mov_b32_e32 v49, 0xffff8000
	s_and_saveexec_b64 s[14:15], vcc
	s_cbranch_execz .LBB957_572
; %bb.569:                              ;   in Loop: Header=BB957_213 Depth=1
	v_bfe_u32 v40, v40, 24, 7
	v_cmp_ne_u32_e32 vcc, s21, v40
	v_mov_b32_e32 v49, 0x7f80
	s_and_saveexec_b64 s[16:17], vcc
	s_cbranch_execz .LBB957_571
; %bb.570:                              ;   in Loop: Header=BB957_213 Depth=1
	v_and_b32_e32 v49, 7, v42
	v_ffbh_u32_e32 v58, v49
	v_min_u32_e32 v60, 32, v58
	v_subrev_u32_e32 v58, 28, v60
	v_lshlrev_b64 v[58:59], v58, v[42:43]
	v_lshrrev_b32_e32 v57, 3, v40
	v_sub_u32_e32 v59, 29, v60
	v_and_b32_e32 v58, 7, v58
	v_cmp_gt_u32_e32 vcc, 8, v40
	v_cndmask_b32_e32 v40, v57, v59, vcc
	v_cndmask_b32_e32 v49, v49, v58, vcc
	v_lshlrev_b32_e32 v42, 24, v42
	v_lshlrev_b32_e32 v49, 20, v49
	v_and_b32_e32 v42, 0x80000000, v42
	v_lshl_add_u32 v40, v40, 23, v45
	v_or3_b32 v40, v42, v40, v49
	v_lshrrev_b32_e32 v49, 16, v40
.LBB957_571:                            ;   in Loop: Header=BB957_213 Depth=1
	s_or_b64 exec, exec, s[16:17]
.LBB957_572:                            ;   in Loop: Header=BB957_213 Depth=1
	s_or_b64 exec, exec, s[14:15]
.LBB957_573:                            ;   in Loop: Header=BB957_213 Depth=1
	s_or_b64 exec, exec, s[12:13]
	s_waitcnt vmcnt(0)
	v_cmp_ne_u16_sdwa s[14:15], v38, v43 src0_sel:BYTE_0 src1_sel:DWORD
	s_and_saveexec_b64 s[12:13], s[14:15]
	s_cbranch_execz .LBB957_579
; %bb.574:                              ;   in Loop: Header=BB957_213 Depth=1
	v_cmp_ne_u16_sdwa s[16:17], v38, s9 src0_sel:BYTE_0 src1_sel:DWORD
	v_mov_b32_e32 v48, 0xffff8000
	s_and_saveexec_b64 s[14:15], s[16:17]
	s_cbranch_execz .LBB957_578
; %bb.575:                              ;   in Loop: Header=BB957_213 Depth=1
	v_and_b32_e32 v40, 0x7f, v38
	v_cmp_ne_u32_e32 vcc, s21, v40
	v_mov_b32_e32 v48, 0x7f80
	s_and_saveexec_b64 s[16:17], vcc
	s_cbranch_execz .LBB957_577
; %bb.576:                              ;   in Loop: Header=BB957_213 Depth=1
	v_and_b32_e32 v42, 7, v38
	v_ffbh_u32_e32 v57, v42
	v_min_u32_e32 v57, 32, v57
	v_subrev_u32_e32 v58, 28, v57
	v_lshlrev_b64 v[58:59], v58, v[38:39]
	v_lshrrev_b32_e32 v48, 3, v40
	v_sub_u32_e32 v57, 29, v57
	v_and_b32_e32 v58, 7, v58
	v_cmp_gt_u32_e32 vcc, 8, v40
	v_cndmask_b32_e32 v40, v48, v57, vcc
	v_cndmask_b32_e32 v42, v42, v58, vcc
	v_lshlrev_b32_e32 v48, 24, v38
	v_lshlrev_b32_e32 v42, 20, v42
	v_and_b32_e32 v48, 0x80000000, v48
	v_lshl_add_u32 v40, v40, 23, v45
	v_or3_b32 v40, v48, v40, v42
	v_lshrrev_b32_e32 v48, 16, v40
.LBB957_577:                            ;   in Loop: Header=BB957_213 Depth=1
	s_or_b64 exec, exec, s[16:17]
.LBB957_578:                            ;   in Loop: Header=BB957_213 Depth=1
	s_or_b64 exec, exec, s[14:15]
.LBB957_579:                            ;   in Loop: Header=BB957_213 Depth=1
	s_or_b64 exec, exec, s[12:13]
	v_lshrrev_b16_e32 v40, 8, v38
	v_cmp_ne_u16_e32 vcc, 0, v40
	v_mov_b32_e32 v57, 0
	v_mov_b32_e32 v42, 0
	s_and_saveexec_b64 s[12:13], vcc
	s_cbranch_execz .LBB957_585
; %bb.580:                              ;   in Loop: Header=BB957_213 Depth=1
	v_cmp_ne_u16_e32 vcc, s9, v40
	v_mov_b32_e32 v42, 0xffff8000
	s_and_saveexec_b64 s[14:15], vcc
	s_cbranch_execz .LBB957_584
; %bb.581:                              ;   in Loop: Header=BB957_213 Depth=1
	v_and_b32_e32 v58, 0x7f, v40
	v_cmp_ne_u32_e32 vcc, s21, v58
	v_mov_b32_e32 v42, 0x7f80
	s_and_saveexec_b64 s[16:17], vcc
	s_cbranch_execz .LBB957_583
; %bb.582:                              ;   in Loop: Header=BB957_213 Depth=1
	v_and_b32_e32 v42, 7, v40
	v_ffbh_u32_e32 v60, v42
	v_min_u32_e32 v62, 32, v60
	v_subrev_u32_e32 v60, 28, v62
	v_lshlrev_b64 v[60:61], v60, v[40:41]
	v_lshrrev_b32_e32 v59, 3, v58
	v_sub_u32_e32 v40, 29, v62
	v_and_b32_e32 v60, 7, v60
	v_cmp_gt_u32_e32 vcc, 8, v58
	v_cndmask_b32_e32 v40, v59, v40, vcc
	v_cndmask_b32_e32 v42, v42, v60, vcc
	v_lshlrev_b32_e32 v58, 16, v38
	v_lshlrev_b32_e32 v42, 20, v42
	v_and_b32_e32 v58, 0x80000000, v58
	v_lshl_add_u32 v40, v40, 23, v45
	v_or3_b32 v40, v58, v40, v42
	v_lshrrev_b32_e32 v42, 16, v40
.LBB957_583:                            ;   in Loop: Header=BB957_213 Depth=1
	s_or_b64 exec, exec, s[16:17]
.LBB957_584:                            ;   in Loop: Header=BB957_213 Depth=1
	s_or_b64 exec, exec, s[14:15]
.LBB957_585:                            ;   in Loop: Header=BB957_213 Depth=1
	s_or_b64 exec, exec, s[12:13]
	v_lshrrev_b32_e32 v40, 16, v38
	v_cmp_ne_u16_sdwa s[14:15], v40, v43 src0_sel:BYTE_0 src1_sel:DWORD
	s_and_saveexec_b64 s[12:13], s[14:15]
	s_cbranch_execz .LBB957_591
; %bb.586:                              ;   in Loop: Header=BB957_213 Depth=1
	v_cmp_ne_u16_sdwa s[16:17], v40, s9 src0_sel:BYTE_0 src1_sel:DWORD
	v_mov_b32_e32 v57, 0xffff8000
	s_and_saveexec_b64 s[14:15], s[16:17]
	s_cbranch_execz .LBB957_590
; %bb.587:                              ;   in Loop: Header=BB957_213 Depth=1
	v_bfe_u32 v58, v38, 16, 7
	v_cmp_ne_u32_e32 vcc, s21, v58
	v_mov_b32_e32 v57, 0x7f80
	s_and_saveexec_b64 s[16:17], vcc
	s_cbranch_execz .LBB957_589
; %bb.588:                              ;   in Loop: Header=BB957_213 Depth=1
	v_and_b32_e32 v57, 7, v40
	v_ffbh_u32_e32 v60, v57
	v_min_u32_e32 v62, 32, v60
	v_subrev_u32_e32 v60, 28, v62
	v_lshlrev_b64 v[60:61], v60, v[40:41]
	v_lshrrev_b32_e32 v59, 3, v58
	v_sub_u32_e32 v61, 29, v62
	v_and_b32_e32 v60, 7, v60
	v_cmp_gt_u32_e32 vcc, 8, v58
	v_cndmask_b32_e32 v58, v59, v61, vcc
	v_cndmask_b32_e32 v57, v57, v60, vcc
	v_lshlrev_b32_e32 v40, 24, v40
	v_lshlrev_b32_e32 v57, 20, v57
	v_and_b32_e32 v40, 0x80000000, v40
	v_lshl_add_u32 v58, v58, 23, v45
	v_or3_b32 v40, v40, v58, v57
	v_lshrrev_b32_e32 v57, 16, v40
.LBB957_589:                            ;   in Loop: Header=BB957_213 Depth=1
	s_or_b64 exec, exec, s[16:17]
.LBB957_590:                            ;   in Loop: Header=BB957_213 Depth=1
	s_or_b64 exec, exec, s[14:15]
.LBB957_591:                            ;   in Loop: Header=BB957_213 Depth=1
	s_or_b64 exec, exec, s[12:13]
	v_cmp_lt_u32_e32 vcc, s22, v38
	v_mov_b32_e32 v58, 0
	s_and_saveexec_b64 s[12:13], vcc
	s_cbranch_execz .LBB957_212
; %bb.592:                              ;   in Loop: Header=BB957_213 Depth=1
	v_lshrrev_b32_e32 v40, 24, v38
	v_cmp_ne_u32_e32 vcc, s9, v40
	v_mov_b32_e32 v58, 0xffff8000
	s_and_saveexec_b64 s[14:15], vcc
	s_cbranch_execz .LBB957_211
; %bb.593:                              ;   in Loop: Header=BB957_213 Depth=1
	v_bfe_u32 v38, v38, 24, 7
	v_cmp_ne_u32_e32 vcc, s21, v38
	v_mov_b32_e32 v58, 0x7f80
	s_and_saveexec_b64 s[16:17], vcc
	s_cbranch_execz .LBB957_210
; %bb.594:                              ;   in Loop: Header=BB957_213 Depth=1
	v_and_b32_e32 v60, 7, v40
	v_ffbh_u32_e32 v58, v60
	v_min_u32_e32 v62, 32, v58
	v_subrev_u32_e32 v58, 28, v62
	v_lshlrev_b64 v[58:59], v58, v[40:41]
	v_lshrrev_b32_e32 v61, 3, v38
	v_sub_u32_e32 v59, 29, v62
	v_and_b32_e32 v58, 7, v58
	v_cmp_gt_u32_e32 vcc, 8, v38
	v_cndmask_b32_e32 v38, v61, v59, vcc
	v_cndmask_b32_e32 v58, v60, v58, vcc
	v_lshlrev_b32_e32 v40, 24, v40
	v_lshlrev_b32_e32 v58, 20, v58
	v_and_b32_e32 v40, 0x80000000, v40
	v_lshl_add_u32 v38, v38, 23, v45
	v_or3_b32 v38, v40, v38, v58
	v_lshrrev_b32_e32 v58, 16, v38
	s_branch .LBB957_210
.LBB957_595:
	s_barrier
	buffer_load_dword v2, off, s[0:3], 0 offset:320
	buffer_load_dword v5, off, s[0:3], 0 offset:332
	;; [unrolled: 1-line block ×4, first 2 shown]
	v_cmp_gt_u32_e32 vcc, 64, v0
	s_waitcnt vmcnt(0)
	ds_write2st64_b64 v39, v[2:3], v[4:5] offset1:1
	s_waitcnt lgkmcnt(0)
	s_barrier
	s_and_saveexec_b64 s[4:5], vcc
	s_cbranch_execz .LBB957_597
; %bb.596:
	s_lshl_b32 s6, s50, 7
	s_mul_i32 s4, s18, s8
	s_mul_hi_u32 s5, s4, s6
	s_mul_i32 s4, s4, s6
	s_lshl_b64 s[4:5], s[4:5], 1
	s_add_u32 s7, s48, s4
	v_lshlrev_b32_e32 v4, 6, v51
	s_addc_u32 s8, s49, s5
	s_lshl_b32 s4, s24, 7
	s_mov_b32 s5, 0
	v_lshl_or_b32 v0, v0, 10, v4
	s_lshl_b64 s[4:5], s[4:5], 1
	v_lshlrev_b32_e32 v2, 5, v1
	v_and_b32_e32 v3, 16, v52
	v_and_b32_e32 v0, 0x1a00, v0
	s_add_u32 s4, s7, s4
	v_or3_b32 v0, v0, v2, v3
	s_addc_u32 s5, s8, s5
	ds_read_b128 v[2:5], v0
	ds_read_b128 v[6:9], v0 offset:128
	ds_read_b128 v[10:13], v0 offset:256
	;; [unrolled: 1-line block ×3, first 2 shown]
	v_mov_b32_e32 v0, s5
	v_add_co_u32_e32 v18, vcc, s4, v50
	v_or_b32_e32 v20, s25, v1
	v_addc_co_u32_e32 v19, vcc, 0, v0, vcc
	v_mad_u64_u32 v[0:1], s[4:5], v20, s6, 0
	v_lshlrev_b64 v[0:1], 1, v[0:1]
	v_add_co_u32_e32 v0, vcc, v18, v0
	v_addc_co_u32_e32 v1, vcc, v19, v1, vcc
	s_waitcnt lgkmcnt(3)
	global_store_dwordx4 v[0:1], v[2:5], off
	v_or_b32_e32 v0, 4, v20
	v_mad_u64_u32 v[0:1], s[4:5], v0, s6, 0
	v_lshlrev_b64 v[0:1], 1, v[0:1]
	v_add_co_u32_e32 v0, vcc, v18, v0
	v_addc_co_u32_e32 v1, vcc, v19, v1, vcc
	s_waitcnt lgkmcnt(2)
	global_store_dwordx4 v[0:1], v[6:9], off
	v_or_b32_e32 v0, 8, v20
	;; [unrolled: 7-line block ×3, first 2 shown]
	v_mad_u64_u32 v[0:1], s[4:5], v0, s6, 0
	v_lshlrev_b64 v[0:1], 1, v[0:1]
	v_add_co_u32_e32 v0, vcc, v18, v0
	v_addc_co_u32_e32 v1, vcc, v19, v1, vcc
	s_waitcnt lgkmcnt(0)
	global_store_dwordx4 v[0:1], v[14:17], off
.LBB957_597:
	s_endpgm
	.section	.rodata,"a",@progbits
	.p2align	6, 0x0
	.amdhsa_kernel _Z39paged_attention_ll4mi_QKV_mfma16_kernelI14__hip_bfloat16hLN4vllm18Fp8KVCacheDataTypeE1ES0_Li32ELi128ELi256ELb0ELi16EL8MFMAType0EEvPKT_PKT0_S9_ifPKiSB_SB_iPKfiiiPfSE_PS4_PT2_iSD_SD_
		.amdhsa_group_segment_fixed_size 8192
		.amdhsa_private_segment_fixed_size 352
		.amdhsa_kernarg_size 400
		.amdhsa_user_sgpr_count 8
		.amdhsa_user_sgpr_private_segment_buffer 1
		.amdhsa_user_sgpr_dispatch_ptr 0
		.amdhsa_user_sgpr_queue_ptr 0
		.amdhsa_user_sgpr_kernarg_segment_ptr 1
		.amdhsa_user_sgpr_dispatch_id 0
		.amdhsa_user_sgpr_flat_scratch_init 1
		.amdhsa_user_sgpr_kernarg_preload_length 0
		.amdhsa_user_sgpr_kernarg_preload_offset 0
		.amdhsa_user_sgpr_private_segment_size 0
		.amdhsa_uses_dynamic_stack 0
		.amdhsa_system_sgpr_private_segment_wavefront_offset 1
		.amdhsa_system_sgpr_workgroup_id_x 1
		.amdhsa_system_sgpr_workgroup_id_y 1
		.amdhsa_system_sgpr_workgroup_id_z 1
		.amdhsa_system_sgpr_workgroup_info 0
		.amdhsa_system_vgpr_workitem_id 0
		.amdhsa_next_free_vgpr 80
		.amdhsa_next_free_sgpr 53
		.amdhsa_accum_offset 80
		.amdhsa_reserve_vcc 1
		.amdhsa_reserve_flat_scratch 0
		.amdhsa_float_round_mode_32 0
		.amdhsa_float_round_mode_16_64 0
		.amdhsa_float_denorm_mode_32 3
		.amdhsa_float_denorm_mode_16_64 3
		.amdhsa_dx10_clamp 1
		.amdhsa_ieee_mode 1
		.amdhsa_fp16_overflow 0
		.amdhsa_tg_split 0
		.amdhsa_exception_fp_ieee_invalid_op 0
		.amdhsa_exception_fp_denorm_src 0
		.amdhsa_exception_fp_ieee_div_zero 0
		.amdhsa_exception_fp_ieee_overflow 0
		.amdhsa_exception_fp_ieee_underflow 0
		.amdhsa_exception_fp_ieee_inexact 0
		.amdhsa_exception_int_div_zero 0
	.end_amdhsa_kernel
	.section	.text._Z39paged_attention_ll4mi_QKV_mfma16_kernelI14__hip_bfloat16hLN4vllm18Fp8KVCacheDataTypeE1ES0_Li32ELi128ELi256ELb0ELi16EL8MFMAType0EEvPKT_PKT0_S9_ifPKiSB_SB_iPKfiiiPfSE_PS4_PT2_iSD_SD_,"axG",@progbits,_Z39paged_attention_ll4mi_QKV_mfma16_kernelI14__hip_bfloat16hLN4vllm18Fp8KVCacheDataTypeE1ES0_Li32ELi128ELi256ELb0ELi16EL8MFMAType0EEvPKT_PKT0_S9_ifPKiSB_SB_iPKfiiiPfSE_PS4_PT2_iSD_SD_,comdat
.Lfunc_end957:
	.size	_Z39paged_attention_ll4mi_QKV_mfma16_kernelI14__hip_bfloat16hLN4vllm18Fp8KVCacheDataTypeE1ES0_Li32ELi128ELi256ELb0ELi16EL8MFMAType0EEvPKT_PKT0_S9_ifPKiSB_SB_iPKfiiiPfSE_PS4_PT2_iSD_SD_, .Lfunc_end957-_Z39paged_attention_ll4mi_QKV_mfma16_kernelI14__hip_bfloat16hLN4vllm18Fp8KVCacheDataTypeE1ES0_Li32ELi128ELi256ELb0ELi16EL8MFMAType0EEvPKT_PKT0_S9_ifPKiSB_SB_iPKfiiiPfSE_PS4_PT2_iSD_SD_
                                        ; -- End function
	.section	.AMDGPU.csdata,"",@progbits
; Kernel info:
; codeLenInByte = 22312
; NumSgprs: 57
; NumVgprs: 80
; NumAgprs: 0
; TotalNumVgprs: 80
; ScratchSize: 352
; MemoryBound: 0
; FloatMode: 240
; IeeeMode: 1
; LDSByteSize: 8192 bytes/workgroup (compile time only)
; SGPRBlocks: 7
; VGPRBlocks: 9
; NumSGPRsForWavesPerEU: 57
; NumVGPRsForWavesPerEU: 80
; AccumOffset: 80
; Occupancy: 6
; WaveLimiterHint : 1
; COMPUTE_PGM_RSRC2:SCRATCH_EN: 1
; COMPUTE_PGM_RSRC2:USER_SGPR: 8
; COMPUTE_PGM_RSRC2:TRAP_HANDLER: 0
; COMPUTE_PGM_RSRC2:TGID_X_EN: 1
; COMPUTE_PGM_RSRC2:TGID_Y_EN: 1
; COMPUTE_PGM_RSRC2:TGID_Z_EN: 1
; COMPUTE_PGM_RSRC2:TIDIG_COMP_CNT: 0
; COMPUTE_PGM_RSRC3_GFX90A:ACCUM_OFFSET: 19
; COMPUTE_PGM_RSRC3_GFX90A:TG_SPLIT: 0
	.section	.text._Z39paged_attention_ll4mi_QKV_mfma16_kernelI14__hip_bfloat16hLN4vllm18Fp8KVCacheDataTypeE1ES0_Li32ELi128ELi256ELb0ELi1EL8MFMAType0EEvPKT_PKT0_S9_ifPKiSB_SB_iPKfiiiPfSE_PS4_PT2_iSD_SD_,"axG",@progbits,_Z39paged_attention_ll4mi_QKV_mfma16_kernelI14__hip_bfloat16hLN4vllm18Fp8KVCacheDataTypeE1ES0_Li32ELi128ELi256ELb0ELi1EL8MFMAType0EEvPKT_PKT0_S9_ifPKiSB_SB_iPKfiiiPfSE_PS4_PT2_iSD_SD_,comdat
	.protected	_Z39paged_attention_ll4mi_QKV_mfma16_kernelI14__hip_bfloat16hLN4vllm18Fp8KVCacheDataTypeE1ES0_Li32ELi128ELi256ELb0ELi1EL8MFMAType0EEvPKT_PKT0_S9_ifPKiSB_SB_iPKfiiiPfSE_PS4_PT2_iSD_SD_ ; -- Begin function _Z39paged_attention_ll4mi_QKV_mfma16_kernelI14__hip_bfloat16hLN4vllm18Fp8KVCacheDataTypeE1ES0_Li32ELi128ELi256ELb0ELi1EL8MFMAType0EEvPKT_PKT0_S9_ifPKiSB_SB_iPKfiiiPfSE_PS4_PT2_iSD_SD_
	.globl	_Z39paged_attention_ll4mi_QKV_mfma16_kernelI14__hip_bfloat16hLN4vllm18Fp8KVCacheDataTypeE1ES0_Li32ELi128ELi256ELb0ELi1EL8MFMAType0EEvPKT_PKT0_S9_ifPKiSB_SB_iPKfiiiPfSE_PS4_PT2_iSD_SD_
	.p2align	8
	.type	_Z39paged_attention_ll4mi_QKV_mfma16_kernelI14__hip_bfloat16hLN4vllm18Fp8KVCacheDataTypeE1ES0_Li32ELi128ELi256ELb0ELi1EL8MFMAType0EEvPKT_PKT0_S9_ifPKiSB_SB_iPKfiiiPfSE_PS4_PT2_iSD_SD_,@function
_Z39paged_attention_ll4mi_QKV_mfma16_kernelI14__hip_bfloat16hLN4vllm18Fp8KVCacheDataTypeE1ES0_Li32ELi128ELi256ELb0ELi1EL8MFMAType0EEvPKT_PKT0_S9_ifPKiSB_SB_iPKfiiiPfSE_PS4_PT2_iSD_SD_: ; @_Z39paged_attention_ll4mi_QKV_mfma16_kernelI14__hip_bfloat16hLN4vllm18Fp8KVCacheDataTypeE1ES0_Li32ELi128ELi256ELb0ELi1EL8MFMAType0EEvPKT_PKT0_S9_ifPKiSB_SB_iPKfiiiPfSE_PS4_PT2_iSD_SD_
; %bb.0:
	s_load_dwordx2 s[6:7], s[4:5], 0x30
	s_add_u32 s0, s0, s11
	s_addc_u32 s1, s1, 0
	s_mov_b32 s11, s9
	s_mov_b64 s[12:13], 0
	s_waitcnt lgkmcnt(0)
	s_cmp_lg_u64 s[6:7], 0
	s_cselect_b64 s[16:17], -1, 0
	s_and_b64 vcc, exec, s[16:17]
	s_cbranch_vccz .LBB958_7
; %bb.1:
	s_add_i32 s14, s8, 1
	s_mov_b32 s15, 0
	s_lshl_b64 s[18:19], s[14:15], 2
	s_add_u32 s18, s6, s18
	s_mov_b32 s9, s15
	s_addc_u32 s19, s7, s19
	s_lshl_b64 s[14:15], s[8:9], 2
	s_add_u32 s14, s6, s14
	s_addc_u32 s15, s7, s15
	s_load_dword s20, s[18:19], 0x0
	s_load_dword s21, s[14:15], 0x0
	s_waitcnt lgkmcnt(0)
	s_sub_i32 s14, s20, s21
	s_cmp_eq_u32 s14, 1
	s_cselect_b64 s[14:15], -1, 0
	s_andn2_b64 vcc, exec, s[12:13]
	s_cbranch_vccnz .LBB958_3
.LBB958_2:
	s_mov_b32 s9, 0
	s_mov_b64 s[14:15], -1
.LBB958_3:
	s_andn2_b64 vcc, exec, s[14:15]
	s_cbranch_vccnz .LBB958_597
; %bb.4:
	s_load_dwordx2 s[12:13], s[4:5], 0x28
	s_lshl_b64 s[18:19], s[8:9], 2
	s_waitcnt lgkmcnt(0)
	s_add_u32 s12, s12, s18
	s_addc_u32 s13, s13, s19
	s_load_dword s33, s[12:13], 0x0
	s_lshl_b32 s20, s11, 8
	s_waitcnt lgkmcnt(0)
	s_cmp_ge_i32 s20, s33
	s_cbranch_scc1 .LBB958_597
; %bb.5:
	s_add_i32 s15, s33, 31
	s_load_dwordx2 s[12:13], s[4:5], 0x20
	s_load_dword s14, s[4:5], 0x38
	s_ashr_i32 s21, s15, 31
	v_and_b32_e32 v1, 0xcf, v0
	s_lshr_b32 s21, s21, 27
	v_add_u32_e32 v1, s20, v1
	s_add_i32 s15, s15, s21
	v_ashrrev_i32_e32 v2, 31, v1
	s_ashr_i32 s23, s15, 5
	v_lshrrev_b32_e32 v10, 27, v2
	s_add_i32 s23, s23, -1
	v_add_u32_e32 v2, v1, v10
	s_waitcnt lgkmcnt(0)
	s_mul_i32 s14, s8, s14
	s_mov_b32 s15, 0
	v_ashrrev_i32_e32 v2, 5, v2
	v_mov_b32_e32 v11, s23
	v_cmp_gt_i32_e32 vcc, s33, v1
	s_lshl_b64 s[14:15], s[14:15], 2
	v_cndmask_b32_e32 v2, v11, v2, vcc
	s_add_u32 s21, s12, s14
	v_ashrrev_i32_e32 v3, 31, v2
	s_addc_u32 s22, s13, s15
	v_lshlrev_b64 v[2:3], 2, v[2:3]
	v_mov_b32_e32 v5, s22
	v_add_co_u32_e32 v4, vcc, s21, v2
	v_or_b32_e32 v2, 16, v1
	v_addc_co_u32_e32 v5, vcc, v5, v3, vcc
	v_add_u32_e32 v3, v2, v10
	v_ashrrev_i32_e32 v3, 5, v3
	v_cmp_gt_i32_e32 vcc, s33, v2
	v_cndmask_b32_e32 v2, v11, v3, vcc
	v_ashrrev_i32_e32 v3, 31, v2
	v_lshlrev_b64 v[2:3], 2, v[2:3]
	v_mov_b32_e32 v7, s22
	v_add_co_u32_e32 v6, vcc, s21, v2
	v_or_b32_e32 v2, 32, v1
	v_addc_co_u32_e32 v7, vcc, v7, v3, vcc
	v_add_u32_e32 v3, v2, v10
	v_ashrrev_i32_e32 v3, 5, v3
	v_cmp_gt_i32_e32 vcc, s33, v2
	v_cndmask_b32_e32 v2, v11, v3, vcc
	v_ashrrev_i32_e32 v3, 31, v2
	;; [unrolled: 10-line block ×3, first 2 shown]
	v_lshlrev_b64 v[2:3], 2, v[2:3]
	v_mov_b32_e32 v1, s22
	v_add_co_u32_e32 v12, vcc, s21, v2
	v_addc_co_u32_e32 v13, vcc, v1, v3, vcc
	global_load_dword v2, v[4:5], off
	global_load_dword v10, v[6:7], off
	global_load_dword v18, v[8:9], off
	global_load_dword v22, v[12:13], off
	s_load_dwordx4 s[12:15], s[4:5], 0x8
	s_andn2_b64 vcc, exec, s[16:17]
	s_cbranch_vccnz .LBB958_8
; %bb.6:
	s_add_u32 s6, s6, s18
	s_addc_u32 s7, s7, s19
	s_load_dword s16, s[6:7], 0x0
	s_branch .LBB958_9
.LBB958_7:
	s_mov_b64 s[14:15], 0
	s_branch .LBB958_2
.LBB958_8:
	s_mov_b32 s16, s8
.LBB958_9:
	s_load_dwordx2 s[48:49], s[4:5], 0x68
	s_load_dwordx8 s[40:47], s[4:5], 0x48
	v_lshrrev_b32_e32 v60, 6, v0
	v_bfe_u32 v50, v0, 4, 2
	v_and_b32_e32 v51, 15, v0
	v_lshl_or_b32 v1, v60, 2, v50
	v_lshlrev_b32_e32 v3, 3, v51
	v_cmp_eq_u32_e32 vcc, 0, v1
	v_lshlrev_b32_e32 v1, 1, v3
	v_lshlrev_b32_e32 v52, 4, v0
	s_and_saveexec_b64 s[6:7], vcc
	s_cbranch_execz .LBB958_11
; %bb.10:
	s_load_dwordx2 s[18:19], s[4:5], 0x0
	s_waitcnt lgkmcnt(0)
	s_ashr_i32 s17, s40, 31
	s_mul_hi_u32 s24, s16, s40
	s_mul_i32 s17, s16, s17
	s_add_i32 s17, s24, s17
	s_mul_i32 s16, s16, s40
	s_lshl_b64 s[16:17], s[16:17], 1
	s_add_u32 s18, s18, s16
	s_addc_u32 s19, s19, s17
	s_lshl_b32 s16, s10, 7
	s_ashr_i32 s17, s16, 31
	s_lshl_b64 s[16:17], s[16:17], 1
	s_add_u32 s16, s18, s16
	s_addc_u32 s17, s19, s17
	global_load_dwordx4 v[4:7], v1, s[16:17]
	v_lshlrev_b32_e32 v3, 8, v0
	v_lshlrev_b32_e32 v8, 8, v51
	v_and_b32_e32 v3, 0x600, v3
	v_and_b32_e32 v8, 0x800, v8
	;; [unrolled: 1-line block ×3, first 2 shown]
	v_or3_b32 v3, v8, v3, v9
	s_waitcnt vmcnt(0)
	ds_write_b128 v3, v[4:7]
.LBB958_11:
	s_or_b64 exec, exec, s[6:7]
	s_waitcnt lgkmcnt(0)
	s_mul_i32 s16, s10, s42
	s_add_u32 s6, s12, s16
	s_addc_u32 s7, s13, 0
	v_and_b32_e32 v3, 48, v0
	s_ashr_i32 s12, s20, 31
	v_or_b32_e32 v11, s20, v3
	s_lshr_b32 s12, s12, 27
	v_add_u32_e32 v4, s12, v11
	v_ashrrev_i32_e32 v4, 5, v4
	v_mov_b32_e32 v12, s23
	v_cmp_gt_i32_e32 vcc, s33, v11
	v_cndmask_b32_e32 v4, v12, v4, vcc
	v_ashrrev_i32_e32 v5, 31, v4
	v_lshlrev_b64 v[4:5], 2, v[4:5]
	v_mov_b32_e32 v6, s22
	v_add_co_u32_e32 v4, vcc, s21, v4
	v_addc_co_u32_e32 v5, vcc, v6, v5, vcc
	v_or_b32_e32 v6, 64, v11
	v_add_u32_e32 v7, s12, v6
	v_ashrrev_i32_e32 v7, 5, v7
	v_cmp_gt_i32_e32 vcc, s33, v6
	v_cndmask_b32_e32 v6, v12, v7, vcc
	v_ashrrev_i32_e32 v7, 31, v6
	v_lshlrev_b64 v[6:7], 2, v[6:7]
	v_mov_b32_e32 v8, s22
	v_add_co_u32_e32 v6, vcc, s21, v6
	v_addc_co_u32_e32 v7, vcc, v8, v7, vcc
	v_or_b32_e32 v8, 0x80, v11
	v_add_u32_e32 v9, s12, v8
	v_ashrrev_i32_e32 v9, 5, v9
	v_cmp_gt_i32_e32 vcc, s33, v8
	v_cndmask_b32_e32 v8, v12, v9, vcc
	v_ashrrev_i32_e32 v9, 31, v8
	v_lshlrev_b64 v[8:9], 2, v[8:9]
	v_mov_b32_e32 v13, s22
	v_add_co_u32_e32 v8, vcc, s21, v8
	s_load_dwordx2 s[50:51], s[4:5], 0x94
	s_waitcnt lgkmcnt(0)
	s_barrier
	v_addc_co_u32_e32 v9, vcc, v13, v9, vcc
	global_load_dword v53, v[4:5], off
	global_load_dword v58, v[6:7], off
	;; [unrolled: 1-line block ×3, first 2 shown]
	v_or_b32_e32 v4, 0xc0, v11
	v_add_u32_e32 v5, s12, v4
	v_ashrrev_i32_e32 v5, 5, v5
	v_cmp_gt_i32_e32 vcc, s33, v4
	v_cndmask_b32_e32 v4, v12, v5, vcc
	v_ashrrev_i32_e32 v5, 31, v4
	v_lshlrev_b64 v[4:5], 2, v[4:5]
	v_mov_b32_e32 v6, s22
	v_add_co_u32_e32 v4, vcc, s21, v4
	v_addc_co_u32_e32 v5, vcc, v6, v5, vcc
	global_load_dword v62, v[4:5], off
	v_pk_mov_b32 v[24:25], s[6:7], s[6:7] op_sel:[0,1]
	v_lshlrev_b32_e32 v28, 5, v3
	s_waitcnt vmcnt(7)
	v_mad_i64_i32 v[2:3], s[6:7], v2, s41, v[24:25]
	v_lshlrev_b32_e32 v23, 4, v51
	v_add_co_u32_e32 v2, vcc, v2, v23
	v_addc_co_u32_e32 v3, vcc, 0, v3, vcc
	v_add_co_u32_e32 v12, vcc, v2, v28
	v_addc_co_u32_e32 v13, vcc, 0, v3, vcc
	s_waitcnt vmcnt(6)
	v_mad_i64_i32 v[10:11], s[6:7], v10, s41, v[24:25]
	v_or_b32_e32 v29, 0x100, v23
	v_add_co_u32_e32 v10, vcc, v10, v29
	v_addc_co_u32_e32 v11, vcc, 0, v11, vcc
	v_add_co_u32_e32 v20, vcc, v10, v28
	v_addc_co_u32_e32 v21, vcc, 0, v11, vcc
	s_waitcnt vmcnt(5)
	v_mad_i64_i32 v[18:19], s[6:7], v18, s41, v[24:25]
	v_add_co_u32_e32 v18, vcc, v18, v23
	v_addc_co_u32_e32 v19, vcc, 0, v19, vcc
	v_add_co_u32_e32 v26, vcc, v18, v28
	v_addc_co_u32_e32 v27, vcc, 0, v19, vcc
	s_waitcnt vmcnt(4)
	v_mad_i64_i32 v[22:23], s[6:7], v22, s41, v[24:25]
	v_add_co_u32_e32 v22, vcc, v22, v29
	v_addc_co_u32_e32 v23, vcc, 0, v23, vcc
	v_add_co_u32_e32 v34, vcc, v22, v28
	v_addc_co_u32_e32 v35, vcc, 0, v23, vcc
	s_add_u32 s6, s14, s16
	global_load_dwordx4 v[6:9], v[12:13], off
	global_load_dwordx4 v[2:5], v[12:13], off offset:2048
	s_nop 0
	global_load_dwordx4 v[10:13], v[20:21], off
	global_load_dwordx4 v[14:17], v[20:21], off offset:2048
	global_load_dwordx4 v[30:33], v[26:27], off
	s_nop 0
	global_load_dwordx4 v[18:21], v[26:27], off offset:2048
	s_nop 0
	global_load_dwordx4 v[26:29], v[34:35], off
	global_load_dwordx4 v[22:25], v[34:35], off offset:2048
	s_addc_u32 s7, s15, 0
	v_and_b32_e32 v34, 16, v0
	v_mov_b32_e32 v35, s7
	v_add_co_u32_e32 v54, vcc, s6, v34
	v_lshl_or_b32 v61, v60, 4, v51
	v_addc_co_u32_e32 v55, vcc, 0, v35, vcc
	v_lshlrev_b32_e32 v56, 5, v61
	v_add_co_u32_e32 v42, vcc, v54, v56
	v_addc_co_u32_e32 v43, vcc, 0, v55, vcc
	v_or_b32_e32 v56, 0x800, v56
	v_add_co_u32_e32 v54, vcc, v54, v56
	s_waitcnt vmcnt(11)
	v_mad_i64_i32 v[34:35], s[6:7], v53, s41, v[42:43]
	s_waitcnt vmcnt(10)
	v_mad_i64_i32 v[38:39], s[6:7], v58, s41, v[42:43]
	;; [unrolled: 2-line block ×3, first 2 shown]
	global_load_dwordx4 v[34:37], v[34:35], off
	v_addc_co_u32_e32 v55, vcc, 0, v55, vcc
	global_load_dwordx4 v[38:41], v[38:39], off
	v_mad_i64_i32 v[56:57], s[6:7], v53, s41, v[54:55]
	s_mov_b32 s14, 0
	s_movk_i32 s15, 0x80
	s_waitcnt vmcnt(10)
	v_mad_i64_i32 v[42:43], s[6:7], v62, s41, v[42:43]
	global_load_dwordx4 v[46:49], v[44:45], off
	s_nop 0
	global_load_dwordx4 v[42:45], v[42:43], off
	s_movk_i32 s16, 0x7f
	global_load_dwordx4 v[64:67], v[56:57], off
	v_mad_i64_i32 v[56:57], s[6:7], v58, s41, v[54:55]
	global_load_dwordx4 v[68:71], v[56:57], off
	v_mad_i64_i32 v[56:57], s[6:7], v59, s41, v[54:55]
	v_mad_i64_i32 v[54:55], s[6:7], v62, s41, v[54:55]
	global_load_dwordx4 v[72:75], v[56:57], off
	global_load_dwordx4 v[76:79], v[54:55], off
	s_waitcnt vmcnt(15)
	buffer_store_dword v9, off, s[0:3], 0 offset:12
	buffer_store_dword v8, off, s[0:3], 0 offset:8
	;; [unrolled: 1-line block ×3, first 2 shown]
	buffer_store_dword v6, off, s[0:3], 0
	s_waitcnt vmcnt(18)
	buffer_store_dword v5, off, s[0:3], 0 offset:28
	buffer_store_dword v4, off, s[0:3], 0 offset:24
	;; [unrolled: 1-line block ×4, first 2 shown]
	s_waitcnt vmcnt(21)
	buffer_store_dword v13, off, s[0:3], 0 offset:44
	buffer_store_dword v12, off, s[0:3], 0 offset:40
	buffer_store_dword v11, off, s[0:3], 0 offset:36
	buffer_store_dword v10, off, s[0:3], 0 offset:32
	s_load_dword s6, s[4:5], 0x1c
	s_load_dwordx4 s[40:43], s[4:5], 0x80
	v_mov_b32_e32 v2, 0x80
	s_waitcnt vmcnt(24)
	buffer_store_dword v17, off, s[0:3], 0 offset:60
	buffer_store_dword v16, off, s[0:3], 0 offset:56
	;; [unrolled: 1-line block ×4, first 2 shown]
	s_waitcnt vmcnt(27)
	buffer_store_dword v33, off, s[0:3], 0 offset:76
	buffer_store_dword v32, off, s[0:3], 0 offset:72
	;; [unrolled: 1-line block ×4, first 2 shown]
	v_lshlrev_b32_e32 v14, 9, v50
	v_add_u32_e32 v53, 16, v2
	v_add_u32_e32 v59, 32, v2
	v_add_u32_e32 v54, 48, v2
	v_add_u32_e32 v58, 64, v2
	v_add_u32_e32 v55, 0x50, v2
	v_add_u32_e32 v57, 0x60, v2
	v_add_u32_e32 v56, 0x70, v2
	ds_read_b128 v[2:5], v14
	ds_read_b128 v[6:9], v14 offset:16
	ds_read_b128 v[10:13], v14 offset:2048
	;; [unrolled: 1-line block ×3, first 2 shown]
	s_waitcnt vmcnt(30)
	buffer_store_dword v21, off, s[0:3], 0 offset:92
	buffer_store_dword v20, off, s[0:3], 0 offset:88
	buffer_store_dword v19, off, s[0:3], 0 offset:84
	buffer_store_dword v18, off, s[0:3], 0 offset:80
	s_waitcnt vmcnt(33)
	buffer_store_dword v29, off, s[0:3], 0 offset:108
	buffer_store_dword v28, off, s[0:3], 0 offset:104
	buffer_store_dword v27, off, s[0:3], 0 offset:100
	buffer_store_dword v26, off, s[0:3], 0 offset:96
	;; [unrolled: 5-line block ×10, first 2 shown]
	s_waitcnt vmcnt(60)
	buffer_store_dword v79, off, s[0:3], 0 offset:252
	s_waitcnt lgkmcnt(0)
	s_load_dword s4, s[40:41], 0x0
	v_mov_b32_e32 v18, s6
	v_and_b32_e32 v62, 63, v0
	v_mov_b32_e32 v27, 0
	s_mov_b32 s17, 0xffffff
	s_waitcnt lgkmcnt(0)
	v_mul_f32_e32 v22, s4, v18
	v_mov_b32_e32 v24, v22
	v_mov_b32_e32 v25, v22
	s_mov_b32 s18, 0x5040100
	v_mov_b32_e32 v29, 0x100
	v_mov_b32_e32 v31, 0
	v_bfrev_b32_e32 v33, 60
	buffer_store_dword v78, off, s[0:3], 0 offset:248
	buffer_store_dword v77, off, s[0:3], 0 offset:244
	;; [unrolled: 1-line block ×3, first 2 shown]
	s_branch .LBB958_15
.LBB958_12:                             ;   in Loop: Header=BB958_15 Depth=1
	s_or_b64 exec, exec, s[12:13]
.LBB958_13:                             ;   in Loop: Header=BB958_15 Depth=1
	s_or_b64 exec, exec, s[6:7]
.LBB958_14:                             ;   in Loop: Header=BB958_15 Depth=1
	s_or_b64 exec, exec, s[4:5]
	v_perm_b32 v41, v36, v32, s18
	v_perm_b32 v40, v23, v34, s18
	;; [unrolled: 1-line block ×4, first 2 shown]
	v_add_u32_e32 v26, s14, v29
	v_mfma_f32_16x16x16bf16_1k v[18:21], v[40:41], v[14:15], v[18:21]
	s_add_i32 s14, s14, 16
	v_mov_b32_e32 v23, v22
	s_cmp_eq_u32 s14, 64
	v_add_u32_e32 v27, 32, v27
	v_mfma_f32_16x16x16bf16_1k v[18:21], v[36:37], v[16:17], v[18:21]
	s_nop 7
	s_nop 2
	v_pk_mul_f32 v[18:19], v[24:25], v[18:19]
	v_pk_mul_f32 v[20:21], v[22:23], v[20:21]
	buffer_store_dword v19, v26, s[0:3], 0 offen offset:4
	buffer_store_dword v18, v26, s[0:3], 0 offen
	buffer_store_dword v21, v26, s[0:3], 0 offen offset:12
	buffer_store_dword v20, v26, s[0:3], 0 offen offset:8
	s_cbranch_scc1 .LBB958_205
.LBB958_15:                             ; =>This Inner Loop Header: Depth=1
	buffer_load_dword v20, v27, s[0:3], 0 offen
	buffer_load_dword v18, v27, s[0:3], 0 offen offset:4
	buffer_load_dword v28, v27, s[0:3], 0 offen offset:8
	;; [unrolled: 1-line block ×3, first 2 shown]
	v_mov_b32_e32 v19, 0
	s_waitcnt vmcnt(3)
	v_cmp_ne_u16_sdwa s[6:7], v20, v31 src0_sel:BYTE_0 src1_sel:DWORD
	s_and_saveexec_b64 s[4:5], s[6:7]
	s_cbranch_execz .LBB958_21
; %bb.16:                               ;   in Loop: Header=BB958_15 Depth=1
	v_cmp_ne_u16_sdwa s[12:13], v20, s15 src0_sel:BYTE_0 src1_sel:DWORD
	v_mov_b32_e32 v19, 0xffff8000
	s_and_saveexec_b64 s[6:7], s[12:13]
	s_cbranch_execz .LBB958_20
; %bb.17:                               ;   in Loop: Header=BB958_15 Depth=1
	v_and_b32_e32 v21, 0x7f, v20
	v_cmp_ne_u32_e32 vcc, s16, v21
	v_mov_b32_e32 v19, 0x7f80
	s_and_saveexec_b64 s[12:13], vcc
	s_cbranch_execz .LBB958_19
; %bb.18:                               ;   in Loop: Header=BB958_15 Depth=1
	v_and_b32_e32 v19, 7, v20
	v_ffbh_u32_e32 v30, v19
	v_min_u32_e32 v30, 32, v30
	v_subrev_u32_e32 v32, 28, v30
	v_lshlrev_b64 v[34:35], v32, v[20:21]
	v_lshrrev_b32_e32 v23, 3, v21
	v_sub_u32_e32 v30, 29, v30
	v_and_b32_e32 v32, 7, v34
	v_cmp_gt_u32_e32 vcc, 8, v21
	v_cndmask_b32_e32 v21, v23, v30, vcc
	v_cndmask_b32_e32 v19, v19, v32, vcc
	v_lshlrev_b32_e32 v23, 24, v20
	v_lshlrev_b32_e32 v19, 20, v19
	v_and_b32_e32 v23, 0x80000000, v23
	v_lshl_add_u32 v21, v21, 23, v33
	v_or3_b32 v19, v23, v21, v19
	v_lshrrev_b32_e32 v19, 16, v19
.LBB958_19:                             ;   in Loop: Header=BB958_15 Depth=1
	s_or_b64 exec, exec, s[12:13]
.LBB958_20:                             ;   in Loop: Header=BB958_15 Depth=1
	s_or_b64 exec, exec, s[6:7]
.LBB958_21:                             ;   in Loop: Header=BB958_15 Depth=1
	s_or_b64 exec, exec, s[4:5]
	v_lshrrev_b16_e32 v30, 8, v20
	v_cmp_ne_u16_e32 vcc, 0, v30
	v_mov_b32_e32 v23, 0
	v_mov_b32_e32 v21, 0
	s_and_saveexec_b64 s[4:5], vcc
	s_cbranch_execz .LBB958_27
; %bb.22:                               ;   in Loop: Header=BB958_15 Depth=1
	v_cmp_ne_u16_e32 vcc, s15, v30
	v_mov_b32_e32 v21, 0xffff8000
	s_and_saveexec_b64 s[6:7], vcc
	s_cbranch_execz .LBB958_26
; %bb.23:                               ;   in Loop: Header=BB958_15 Depth=1
	v_and_b32_e32 v32, 0x7f, v30
	v_cmp_ne_u32_e32 vcc, s16, v32
	v_mov_b32_e32 v21, 0x7f80
	s_and_saveexec_b64 s[12:13], vcc
	s_cbranch_execz .LBB958_25
; %bb.24:                               ;   in Loop: Header=BB958_15 Depth=1
	v_and_b32_e32 v21, 7, v30
	v_ffbh_u32_e32 v34, v21
	v_min_u32_e32 v37, 32, v34
	v_subrev_u32_e32 v34, 28, v37
	v_lshlrev_b64 v[34:35], v34, v[30:31]
	v_lshrrev_b32_e32 v36, 3, v32
	v_sub_u32_e32 v30, 29, v37
	v_and_b32_e32 v34, 7, v34
	v_cmp_gt_u32_e32 vcc, 8, v32
	v_cndmask_b32_e32 v30, v36, v30, vcc
	v_cndmask_b32_e32 v21, v21, v34, vcc
	v_lshlrev_b32_e32 v32, 16, v20
	v_lshlrev_b32_e32 v21, 20, v21
	v_and_b32_e32 v32, 0x80000000, v32
	v_lshl_add_u32 v30, v30, 23, v33
	v_or3_b32 v21, v32, v30, v21
	v_lshrrev_b32_e32 v21, 16, v21
.LBB958_25:                             ;   in Loop: Header=BB958_15 Depth=1
	s_or_b64 exec, exec, s[12:13]
.LBB958_26:                             ;   in Loop: Header=BB958_15 Depth=1
	s_or_b64 exec, exec, s[6:7]
.LBB958_27:                             ;   in Loop: Header=BB958_15 Depth=1
	s_or_b64 exec, exec, s[4:5]
	v_lshrrev_b32_e32 v30, 16, v20
	v_cmp_ne_u16_sdwa s[6:7], v30, v31 src0_sel:BYTE_0 src1_sel:DWORD
	s_and_saveexec_b64 s[4:5], s[6:7]
	s_cbranch_execz .LBB958_33
; %bb.28:                               ;   in Loop: Header=BB958_15 Depth=1
	v_cmp_ne_u16_sdwa s[12:13], v30, s15 src0_sel:BYTE_0 src1_sel:DWORD
	v_mov_b32_e32 v23, 0xffff8000
	s_and_saveexec_b64 s[6:7], s[12:13]
	s_cbranch_execz .LBB958_32
; %bb.29:                               ;   in Loop: Header=BB958_15 Depth=1
	v_bfe_u32 v32, v20, 16, 7
	v_cmp_ne_u32_e32 vcc, s16, v32
	v_mov_b32_e32 v23, 0x7f80
	s_and_saveexec_b64 s[12:13], vcc
	s_cbranch_execz .LBB958_31
; %bb.30:                               ;   in Loop: Header=BB958_15 Depth=1
	v_and_b32_e32 v23, 7, v30
	v_ffbh_u32_e32 v34, v23
	v_min_u32_e32 v37, 32, v34
	v_subrev_u32_e32 v34, 28, v37
	v_lshlrev_b64 v[34:35], v34, v[30:31]
	v_lshrrev_b32_e32 v36, 3, v32
	v_sub_u32_e32 v35, 29, v37
	v_and_b32_e32 v34, 7, v34
	v_cmp_gt_u32_e32 vcc, 8, v32
	v_cndmask_b32_e32 v32, v36, v35, vcc
	v_cndmask_b32_e32 v23, v23, v34, vcc
	v_lshlrev_b32_e32 v30, 24, v30
	v_lshlrev_b32_e32 v23, 20, v23
	v_and_b32_e32 v30, 0x80000000, v30
	v_lshl_add_u32 v32, v32, 23, v33
	v_or3_b32 v23, v30, v32, v23
	v_lshrrev_b32_e32 v23, 16, v23
.LBB958_31:                             ;   in Loop: Header=BB958_15 Depth=1
	s_or_b64 exec, exec, s[12:13]
.LBB958_32:                             ;   in Loop: Header=BB958_15 Depth=1
	s_or_b64 exec, exec, s[6:7]
.LBB958_33:                             ;   in Loop: Header=BB958_15 Depth=1
	s_or_b64 exec, exec, s[4:5]
	v_cmp_lt_u32_e32 vcc, s17, v20
	v_mov_b32_e32 v34, 0
	v_mov_b32_e32 v35, 0
	s_and_saveexec_b64 s[4:5], vcc
	s_cbranch_execz .LBB958_39
; %bb.34:                               ;   in Loop: Header=BB958_15 Depth=1
	v_lshrrev_b32_e32 v30, 24, v20
	v_cmp_ne_u32_e32 vcc, s15, v30
	v_mov_b32_e32 v35, 0xffff8000
	s_and_saveexec_b64 s[6:7], vcc
	s_cbranch_execz .LBB958_38
; %bb.35:                               ;   in Loop: Header=BB958_15 Depth=1
	v_bfe_u32 v20, v20, 24, 7
	v_cmp_ne_u32_e32 vcc, s16, v20
	v_mov_b32_e32 v35, 0x7f80
	s_and_saveexec_b64 s[12:13], vcc
	s_cbranch_execz .LBB958_37
; %bb.36:                               ;   in Loop: Header=BB958_15 Depth=1
	v_and_b32_e32 v32, 7, v30
	v_ffbh_u32_e32 v36, v32
	v_min_u32_e32 v38, 32, v36
	v_subrev_u32_e32 v36, 28, v38
	v_lshlrev_b64 v[36:37], v36, v[30:31]
	v_lshrrev_b32_e32 v35, 3, v20
	v_sub_u32_e32 v37, 29, v38
	v_and_b32_e32 v36, 7, v36
	v_cmp_gt_u32_e32 vcc, 8, v20
	v_cndmask_b32_e32 v20, v35, v37, vcc
	v_cndmask_b32_e32 v32, v32, v36, vcc
	v_lshlrev_b32_e32 v30, 24, v30
	v_lshlrev_b32_e32 v32, 20, v32
	v_and_b32_e32 v30, 0x80000000, v30
	v_lshl_add_u32 v20, v20, 23, v33
	v_or3_b32 v20, v30, v20, v32
	v_lshrrev_b32_e32 v35, 16, v20
.LBB958_37:                             ;   in Loop: Header=BB958_15 Depth=1
	s_or_b64 exec, exec, s[12:13]
.LBB958_38:                             ;   in Loop: Header=BB958_15 Depth=1
	s_or_b64 exec, exec, s[6:7]
.LBB958_39:                             ;   in Loop: Header=BB958_15 Depth=1
	s_or_b64 exec, exec, s[4:5]
	s_waitcnt vmcnt(2)
	v_cmp_ne_u16_sdwa s[6:7], v18, v31 src0_sel:BYTE_0 src1_sel:DWORD
	s_and_saveexec_b64 s[4:5], s[6:7]
	s_cbranch_execz .LBB958_45
; %bb.40:                               ;   in Loop: Header=BB958_15 Depth=1
	v_cmp_ne_u16_sdwa s[12:13], v18, s15 src0_sel:BYTE_0 src1_sel:DWORD
	v_mov_b32_e32 v34, 0xffff8000
	s_and_saveexec_b64 s[6:7], s[12:13]
	s_cbranch_execz .LBB958_44
; %bb.41:                               ;   in Loop: Header=BB958_15 Depth=1
	v_and_b32_e32 v20, 0x7f, v18
	v_cmp_ne_u32_e32 vcc, s16, v20
	v_mov_b32_e32 v34, 0x7f80
	s_and_saveexec_b64 s[12:13], vcc
	s_cbranch_execz .LBB958_43
; %bb.42:                               ;   in Loop: Header=BB958_15 Depth=1
	v_and_b32_e32 v30, 7, v18
	v_ffbh_u32_e32 v34, v30
	v_min_u32_e32 v34, 32, v34
	v_subrev_u32_e32 v36, 28, v34
	v_lshlrev_b64 v[36:37], v36, v[18:19]
	v_lshrrev_b32_e32 v32, 3, v20
	v_sub_u32_e32 v34, 29, v34
	v_and_b32_e32 v36, 7, v36
	v_cmp_gt_u32_e32 vcc, 8, v20
	v_cndmask_b32_e32 v20, v32, v34, vcc
	v_cndmask_b32_e32 v30, v30, v36, vcc
	v_lshlrev_b32_e32 v32, 24, v18
	v_lshlrev_b32_e32 v30, 20, v30
	v_and_b32_e32 v32, 0x80000000, v32
	v_lshl_add_u32 v20, v20, 23, v33
	v_or3_b32 v20, v32, v20, v30
	v_lshrrev_b32_e32 v34, 16, v20
.LBB958_43:                             ;   in Loop: Header=BB958_15 Depth=1
	s_or_b64 exec, exec, s[12:13]
.LBB958_44:                             ;   in Loop: Header=BB958_15 Depth=1
	s_or_b64 exec, exec, s[6:7]
.LBB958_45:                             ;   in Loop: Header=BB958_15 Depth=1
	s_or_b64 exec, exec, s[4:5]
	v_lshrrev_b16_e32 v20, 8, v18
	v_cmp_ne_u16_e32 vcc, 0, v20
	v_mov_b32_e32 v36, 0
	v_mov_b32_e32 v30, 0
	s_and_saveexec_b64 s[4:5], vcc
	s_cbranch_execz .LBB958_51
; %bb.46:                               ;   in Loop: Header=BB958_15 Depth=1
	v_cmp_ne_u16_e32 vcc, s15, v20
	v_mov_b32_e32 v30, 0xffff8000
	s_and_saveexec_b64 s[6:7], vcc
	s_cbranch_execz .LBB958_50
; %bb.47:                               ;   in Loop: Header=BB958_15 Depth=1
	v_and_b32_e32 v32, 0x7f, v20
	v_cmp_ne_u32_e32 vcc, s16, v32
	v_mov_b32_e32 v30, 0x7f80
	s_and_saveexec_b64 s[12:13], vcc
	s_cbranch_execz .LBB958_49
; %bb.48:                               ;   in Loop: Header=BB958_15 Depth=1
	v_and_b32_e32 v30, 7, v20
	v_ffbh_u32_e32 v38, v30
	v_min_u32_e32 v40, 32, v38
	v_subrev_u32_e32 v38, 28, v40
	v_lshlrev_b64 v[38:39], v38, v[20:21]
	v_lshrrev_b32_e32 v37, 3, v32
	v_sub_u32_e32 v20, 29, v40
	v_and_b32_e32 v38, 7, v38
	v_cmp_gt_u32_e32 vcc, 8, v32
	v_cndmask_b32_e32 v20, v37, v20, vcc
	v_cndmask_b32_e32 v30, v30, v38, vcc
	v_lshlrev_b32_e32 v32, 16, v18
	v_lshlrev_b32_e32 v30, 20, v30
	v_and_b32_e32 v32, 0x80000000, v32
	v_lshl_add_u32 v20, v20, 23, v33
	v_or3_b32 v20, v32, v20, v30
	v_lshrrev_b32_e32 v30, 16, v20
.LBB958_49:                             ;   in Loop: Header=BB958_15 Depth=1
	s_or_b64 exec, exec, s[12:13]
.LBB958_50:                             ;   in Loop: Header=BB958_15 Depth=1
	s_or_b64 exec, exec, s[6:7]
.LBB958_51:                             ;   in Loop: Header=BB958_15 Depth=1
	s_or_b64 exec, exec, s[4:5]
	v_lshrrev_b32_e32 v20, 16, v18
	v_cmp_ne_u16_sdwa s[6:7], v20, v31 src0_sel:BYTE_0 src1_sel:DWORD
	s_and_saveexec_b64 s[4:5], s[6:7]
	s_cbranch_execz .LBB958_57
; %bb.52:                               ;   in Loop: Header=BB958_15 Depth=1
	v_cmp_ne_u16_sdwa s[12:13], v20, s15 src0_sel:BYTE_0 src1_sel:DWORD
	v_mov_b32_e32 v36, 0xffff8000
	s_and_saveexec_b64 s[6:7], s[12:13]
	s_cbranch_execz .LBB958_56
; %bb.53:                               ;   in Loop: Header=BB958_15 Depth=1
	v_bfe_u32 v32, v18, 16, 7
	v_cmp_ne_u32_e32 vcc, s16, v32
	v_mov_b32_e32 v36, 0x7f80
	s_and_saveexec_b64 s[12:13], vcc
	s_cbranch_execz .LBB958_55
; %bb.54:                               ;   in Loop: Header=BB958_15 Depth=1
	v_and_b32_e32 v38, 7, v20
	v_ffbh_u32_e32 v36, v38
	v_min_u32_e32 v40, 32, v36
	v_subrev_u32_e32 v36, 28, v40
	v_lshlrev_b64 v[36:37], v36, v[20:21]
	v_lshrrev_b32_e32 v39, 3, v32
	v_sub_u32_e32 v37, 29, v40
	v_and_b32_e32 v36, 7, v36
	v_cmp_gt_u32_e32 vcc, 8, v32
	v_cndmask_b32_e32 v32, v39, v37, vcc
	v_cndmask_b32_e32 v36, v38, v36, vcc
	v_lshlrev_b32_e32 v20, 24, v20
	v_lshlrev_b32_e32 v36, 20, v36
	v_and_b32_e32 v20, 0x80000000, v20
	v_lshl_add_u32 v32, v32, 23, v33
	v_or3_b32 v20, v20, v32, v36
	v_lshrrev_b32_e32 v36, 16, v20
.LBB958_55:                             ;   in Loop: Header=BB958_15 Depth=1
	s_or_b64 exec, exec, s[12:13]
.LBB958_56:                             ;   in Loop: Header=BB958_15 Depth=1
	s_or_b64 exec, exec, s[6:7]
.LBB958_57:                             ;   in Loop: Header=BB958_15 Depth=1
	s_or_b64 exec, exec, s[4:5]
	v_cmp_lt_u32_e32 vcc, s17, v18
	v_mov_b32_e32 v32, 0
	v_mov_b32_e32 v37, 0
	s_and_saveexec_b64 s[4:5], vcc
	s_cbranch_execz .LBB958_63
; %bb.58:                               ;   in Loop: Header=BB958_15 Depth=1
	v_lshrrev_b32_e32 v20, 24, v18
	v_cmp_ne_u32_e32 vcc, s15, v20
	v_mov_b32_e32 v37, 0xffff8000
	s_and_saveexec_b64 s[6:7], vcc
	s_cbranch_execz .LBB958_62
; %bb.59:                               ;   in Loop: Header=BB958_15 Depth=1
	v_bfe_u32 v18, v18, 24, 7
	v_cmp_ne_u32_e32 vcc, s16, v18
	v_mov_b32_e32 v37, 0x7f80
	s_and_saveexec_b64 s[12:13], vcc
	s_cbranch_execz .LBB958_61
; %bb.60:                               ;   in Loop: Header=BB958_15 Depth=1
	v_and_b32_e32 v37, 7, v20
	v_ffbh_u32_e32 v38, v37
	v_min_u32_e32 v41, 32, v38
	v_subrev_u32_e32 v38, 28, v41
	v_lshlrev_b64 v[38:39], v38, v[20:21]
	v_lshrrev_b32_e32 v40, 3, v18
	v_sub_u32_e32 v39, 29, v41
	v_and_b32_e32 v38, 7, v38
	v_cmp_gt_u32_e32 vcc, 8, v18
	v_cndmask_b32_e32 v18, v40, v39, vcc
	v_cndmask_b32_e32 v37, v37, v38, vcc
	v_lshlrev_b32_e32 v20, 24, v20
	v_lshlrev_b32_e32 v37, 20, v37
	v_and_b32_e32 v20, 0x80000000, v20
	v_lshl_add_u32 v18, v18, 23, v33
	v_or3_b32 v18, v20, v18, v37
	v_lshrrev_b32_e32 v37, 16, v18
.LBB958_61:                             ;   in Loop: Header=BB958_15 Depth=1
	s_or_b64 exec, exec, s[12:13]
.LBB958_62:                             ;   in Loop: Header=BB958_15 Depth=1
	s_or_b64 exec, exec, s[6:7]
.LBB958_63:                             ;   in Loop: Header=BB958_15 Depth=1
	s_or_b64 exec, exec, s[4:5]
	v_perm_b32 v39, v35, v23, s18
	v_perm_b32 v38, v21, v19, s18
	;; [unrolled: 1-line block ×4, first 2 shown]
	s_waitcnt vmcnt(1)
	v_cmp_ne_u16_sdwa s[6:7], v28, v31 src0_sel:BYTE_0 src1_sel:DWORD
	v_mfma_f32_16x16x16bf16_1k v[18:21], v[38:39], v[2:3], 0
	v_mfma_f32_16x16x16bf16_1k v[18:21], v[34:35], v[4:5], v[18:21]
	s_and_saveexec_b64 s[4:5], s[6:7]
	s_cbranch_execz .LBB958_69
; %bb.64:                               ;   in Loop: Header=BB958_15 Depth=1
	v_cmp_ne_u16_sdwa s[12:13], v28, s15 src0_sel:BYTE_0 src1_sel:DWORD
	v_mov_b32_e32 v32, 0xffff8000
	s_and_saveexec_b64 s[6:7], s[12:13]
	s_cbranch_execz .LBB958_68
; %bb.65:                               ;   in Loop: Header=BB958_15 Depth=1
	v_and_b32_e32 v23, 0x7f, v28
	v_cmp_ne_u32_e32 vcc, s16, v23
	v_mov_b32_e32 v32, 0x7f80
	s_and_saveexec_b64 s[12:13], vcc
	s_cbranch_execz .LBB958_67
; %bb.66:                               ;   in Loop: Header=BB958_15 Depth=1
	v_and_b32_e32 v30, 7, v28
	v_ffbh_u32_e32 v34, v30
	v_min_u32_e32 v36, 32, v34
	v_subrev_u32_e32 v34, 28, v36
	v_lshlrev_b64 v[34:35], v34, v[28:29]
	v_lshrrev_b32_e32 v32, 3, v23
	v_sub_u32_e32 v35, 29, v36
	v_and_b32_e32 v34, 7, v34
	v_cmp_gt_u32_e32 vcc, 8, v23
	v_cndmask_b32_e32 v23, v32, v35, vcc
	v_cndmask_b32_e32 v30, v30, v34, vcc
	v_lshlrev_b32_e32 v32, 24, v28
	v_lshlrev_b32_e32 v30, 20, v30
	v_and_b32_e32 v32, 0x80000000, v32
	v_lshl_add_u32 v23, v23, 23, v33
	v_or3_b32 v23, v32, v23, v30
	v_lshrrev_b32_e32 v32, 16, v23
.LBB958_67:                             ;   in Loop: Header=BB958_15 Depth=1
	s_or_b64 exec, exec, s[12:13]
.LBB958_68:                             ;   in Loop: Header=BB958_15 Depth=1
	s_or_b64 exec, exec, s[6:7]
.LBB958_69:                             ;   in Loop: Header=BB958_15 Depth=1
	s_or_b64 exec, exec, s[4:5]
	v_lshrrev_b16_e32 v30, 8, v28
	v_cmp_ne_u16_e32 vcc, 0, v30
	v_mov_b32_e32 v35, 0
	v_mov_b32_e32 v34, 0
	s_and_saveexec_b64 s[4:5], vcc
	s_cbranch_execz .LBB958_75
; %bb.70:                               ;   in Loop: Header=BB958_15 Depth=1
	v_cmp_ne_u16_e32 vcc, s15, v30
	v_mov_b32_e32 v34, 0xffff8000
	s_and_saveexec_b64 s[6:7], vcc
	s_cbranch_execz .LBB958_74
; %bb.71:                               ;   in Loop: Header=BB958_15 Depth=1
	v_and_b32_e32 v23, 0x7f, v30
	v_cmp_ne_u32_e32 vcc, s16, v23
	v_mov_b32_e32 v34, 0x7f80
	s_and_saveexec_b64 s[12:13], vcc
	s_cbranch_execz .LBB958_73
; %bb.72:                               ;   in Loop: Header=BB958_15 Depth=1
	v_and_b32_e32 v34, 7, v30
	v_ffbh_u32_e32 v36, v34
	v_min_u32_e32 v39, 32, v36
	v_subrev_u32_e32 v36, 28, v39
	v_lshlrev_b64 v[36:37], v36, v[30:31]
	v_lshrrev_b32_e32 v38, 3, v23
	v_sub_u32_e32 v30, 29, v39
	v_and_b32_e32 v36, 7, v36
	v_cmp_gt_u32_e32 vcc, 8, v23
	v_cndmask_b32_e32 v23, v38, v30, vcc
	v_cndmask_b32_e32 v30, v34, v36, vcc
	v_lshlrev_b32_e32 v34, 16, v28
	v_lshlrev_b32_e32 v30, 20, v30
	v_and_b32_e32 v34, 0x80000000, v34
	v_lshl_add_u32 v23, v23, 23, v33
	v_or3_b32 v23, v34, v23, v30
	v_lshrrev_b32_e32 v34, 16, v23
.LBB958_73:                             ;   in Loop: Header=BB958_15 Depth=1
	s_or_b64 exec, exec, s[12:13]
.LBB958_74:                             ;   in Loop: Header=BB958_15 Depth=1
	s_or_b64 exec, exec, s[6:7]
.LBB958_75:                             ;   in Loop: Header=BB958_15 Depth=1
	s_or_b64 exec, exec, s[4:5]
	v_lshrrev_b32_e32 v30, 16, v28
	v_cmp_ne_u16_sdwa s[6:7], v30, v31 src0_sel:BYTE_0 src1_sel:DWORD
	s_and_saveexec_b64 s[4:5], s[6:7]
	s_cbranch_execz .LBB958_81
; %bb.76:                               ;   in Loop: Header=BB958_15 Depth=1
	v_cmp_ne_u16_sdwa s[12:13], v30, s15 src0_sel:BYTE_0 src1_sel:DWORD
	v_mov_b32_e32 v35, 0xffff8000
	s_and_saveexec_b64 s[6:7], s[12:13]
	s_cbranch_execz .LBB958_80
; %bb.77:                               ;   in Loop: Header=BB958_15 Depth=1
	v_bfe_u32 v23, v28, 16, 7
	v_cmp_ne_u32_e32 vcc, s16, v23
	v_mov_b32_e32 v35, 0x7f80
	s_and_saveexec_b64 s[12:13], vcc
	s_cbranch_execz .LBB958_79
; %bb.78:                               ;   in Loop: Header=BB958_15 Depth=1
	v_and_b32_e32 v35, 7, v30
	v_ffbh_u32_e32 v36, v35
	v_min_u32_e32 v39, 32, v36
	v_subrev_u32_e32 v36, 28, v39
	v_lshlrev_b64 v[36:37], v36, v[30:31]
	v_lshrrev_b32_e32 v38, 3, v23
	v_sub_u32_e32 v37, 29, v39
	v_and_b32_e32 v36, 7, v36
	v_cmp_gt_u32_e32 vcc, 8, v23
	v_cndmask_b32_e32 v23, v38, v37, vcc
	v_cndmask_b32_e32 v35, v35, v36, vcc
	v_lshlrev_b32_e32 v30, 24, v30
	v_lshlrev_b32_e32 v35, 20, v35
	v_and_b32_e32 v30, 0x80000000, v30
	v_lshl_add_u32 v23, v23, 23, v33
	v_or3_b32 v23, v30, v23, v35
	v_lshrrev_b32_e32 v35, 16, v23
.LBB958_79:                             ;   in Loop: Header=BB958_15 Depth=1
	s_or_b64 exec, exec, s[12:13]
.LBB958_80:                             ;   in Loop: Header=BB958_15 Depth=1
	s_or_b64 exec, exec, s[6:7]
.LBB958_81:                             ;   in Loop: Header=BB958_15 Depth=1
	s_or_b64 exec, exec, s[4:5]
	v_cmp_lt_u32_e32 vcc, s17, v28
	v_mov_b32_e32 v36, 0
	v_mov_b32_e32 v37, 0
	s_and_saveexec_b64 s[4:5], vcc
	s_cbranch_execz .LBB958_87
; %bb.82:                               ;   in Loop: Header=BB958_15 Depth=1
	v_lshrrev_b32_e32 v30, 24, v28
	v_cmp_ne_u32_e32 vcc, s15, v30
	v_mov_b32_e32 v37, 0xffff8000
	s_and_saveexec_b64 s[6:7], vcc
	s_cbranch_execz .LBB958_86
; %bb.83:                               ;   in Loop: Header=BB958_15 Depth=1
	v_bfe_u32 v23, v28, 24, 7
	v_cmp_ne_u32_e32 vcc, s16, v23
	v_mov_b32_e32 v37, 0x7f80
	s_and_saveexec_b64 s[12:13], vcc
	s_cbranch_execz .LBB958_85
; %bb.84:                               ;   in Loop: Header=BB958_15 Depth=1
	v_and_b32_e32 v28, 7, v30
	v_ffbh_u32_e32 v38, v28
	v_min_u32_e32 v40, 32, v38
	v_subrev_u32_e32 v38, 28, v40
	v_lshlrev_b64 v[38:39], v38, v[30:31]
	v_lshrrev_b32_e32 v37, 3, v23
	v_sub_u32_e32 v39, 29, v40
	v_and_b32_e32 v38, 7, v38
	v_cmp_gt_u32_e32 vcc, 8, v23
	v_cndmask_b32_e32 v23, v37, v39, vcc
	v_cndmask_b32_e32 v28, v28, v38, vcc
	v_lshlrev_b32_e32 v30, 24, v30
	v_lshlrev_b32_e32 v28, 20, v28
	v_and_b32_e32 v30, 0x80000000, v30
	v_lshl_add_u32 v23, v23, 23, v33
	v_or3_b32 v23, v30, v23, v28
	v_lshrrev_b32_e32 v37, 16, v23
.LBB958_85:                             ;   in Loop: Header=BB958_15 Depth=1
	s_or_b64 exec, exec, s[12:13]
.LBB958_86:                             ;   in Loop: Header=BB958_15 Depth=1
	s_or_b64 exec, exec, s[6:7]
.LBB958_87:                             ;   in Loop: Header=BB958_15 Depth=1
	s_or_b64 exec, exec, s[4:5]
	s_waitcnt vmcnt(0)
	v_cmp_ne_u16_sdwa s[6:7], v26, v31 src0_sel:BYTE_0 src1_sel:DWORD
	s_and_saveexec_b64 s[4:5], s[6:7]
	s_cbranch_execz .LBB958_93
; %bb.88:                               ;   in Loop: Header=BB958_15 Depth=1
	v_cmp_ne_u16_sdwa s[12:13], v26, s15 src0_sel:BYTE_0 src1_sel:DWORD
	v_mov_b32_e32 v36, 0xffff8000
	s_and_saveexec_b64 s[6:7], s[12:13]
	s_cbranch_execz .LBB958_92
; %bb.89:                               ;   in Loop: Header=BB958_15 Depth=1
	v_and_b32_e32 v23, 0x7f, v26
	v_cmp_ne_u32_e32 vcc, s16, v23
	v_mov_b32_e32 v36, 0x7f80
	s_and_saveexec_b64 s[12:13], vcc
	s_cbranch_execz .LBB958_91
; %bb.90:                               ;   in Loop: Header=BB958_15 Depth=1
	v_and_b32_e32 v28, 7, v26
	v_ffbh_u32_e32 v36, v28
	v_min_u32_e32 v36, 32, v36
	v_subrev_u32_e32 v38, 28, v36
	v_lshlrev_b64 v[38:39], v38, v[26:27]
	v_lshrrev_b32_e32 v30, 3, v23
	v_sub_u32_e32 v36, 29, v36
	v_and_b32_e32 v38, 7, v38
	v_cmp_gt_u32_e32 vcc, 8, v23
	v_cndmask_b32_e32 v23, v30, v36, vcc
	v_cndmask_b32_e32 v28, v28, v38, vcc
	v_lshlrev_b32_e32 v30, 24, v26
	v_lshlrev_b32_e32 v28, 20, v28
	v_and_b32_e32 v30, 0x80000000, v30
	v_lshl_add_u32 v23, v23, 23, v33
	v_or3_b32 v23, v30, v23, v28
	v_lshrrev_b32_e32 v36, 16, v23
.LBB958_91:                             ;   in Loop: Header=BB958_15 Depth=1
	s_or_b64 exec, exec, s[12:13]
.LBB958_92:                             ;   in Loop: Header=BB958_15 Depth=1
	s_or_b64 exec, exec, s[6:7]
.LBB958_93:                             ;   in Loop: Header=BB958_15 Depth=1
	s_or_b64 exec, exec, s[4:5]
	v_lshrrev_b16_e32 v28, 8, v26
	v_cmp_ne_u16_e32 vcc, 0, v28
	v_mov_b32_e32 v39, 0
	v_mov_b32_e32 v38, 0
	s_and_saveexec_b64 s[4:5], vcc
	s_cbranch_execz .LBB958_99
; %bb.94:                               ;   in Loop: Header=BB958_15 Depth=1
	v_cmp_ne_u16_e32 vcc, s15, v28
	v_mov_b32_e32 v38, 0xffff8000
	s_and_saveexec_b64 s[6:7], vcc
	s_cbranch_execz .LBB958_98
; %bb.95:                               ;   in Loop: Header=BB958_15 Depth=1
	v_and_b32_e32 v23, 0x7f, v28
	v_cmp_ne_u32_e32 vcc, s16, v23
	v_mov_b32_e32 v38, 0x7f80
	s_and_saveexec_b64 s[12:13], vcc
	s_cbranch_execz .LBB958_97
; %bb.96:                               ;   in Loop: Header=BB958_15 Depth=1
	v_and_b32_e32 v30, 7, v28
	v_ffbh_u32_e32 v40, v30
	v_min_u32_e32 v42, 32, v40
	v_subrev_u32_e32 v40, 28, v42
	v_lshlrev_b64 v[40:41], v40, v[28:29]
	v_lshrrev_b32_e32 v38, 3, v23
	v_sub_u32_e32 v28, 29, v42
	v_and_b32_e32 v40, 7, v40
	v_cmp_gt_u32_e32 vcc, 8, v23
	v_cndmask_b32_e32 v23, v38, v28, vcc
	v_cndmask_b32_e32 v28, v30, v40, vcc
	v_lshlrev_b32_e32 v30, 16, v26
	v_lshlrev_b32_e32 v28, 20, v28
	v_and_b32_e32 v30, 0x80000000, v30
	v_lshl_add_u32 v23, v23, 23, v33
	v_or3_b32 v23, v30, v23, v28
	v_lshrrev_b32_e32 v38, 16, v23
.LBB958_97:                             ;   in Loop: Header=BB958_15 Depth=1
	s_or_b64 exec, exec, s[12:13]
.LBB958_98:                             ;   in Loop: Header=BB958_15 Depth=1
	s_or_b64 exec, exec, s[6:7]
.LBB958_99:                             ;   in Loop: Header=BB958_15 Depth=1
	s_or_b64 exec, exec, s[4:5]
	v_lshrrev_b32_e32 v28, 16, v26
	v_cmp_ne_u16_sdwa s[6:7], v28, v31 src0_sel:BYTE_0 src1_sel:DWORD
	s_and_saveexec_b64 s[4:5], s[6:7]
	s_cbranch_execz .LBB958_105
; %bb.100:                              ;   in Loop: Header=BB958_15 Depth=1
	v_cmp_ne_u16_sdwa s[12:13], v28, s15 src0_sel:BYTE_0 src1_sel:DWORD
	v_mov_b32_e32 v39, 0xffff8000
	s_and_saveexec_b64 s[6:7], s[12:13]
	s_cbranch_execz .LBB958_104
; %bb.101:                              ;   in Loop: Header=BB958_15 Depth=1
	v_bfe_u32 v23, v26, 16, 7
	v_cmp_ne_u32_e32 vcc, s16, v23
	v_mov_b32_e32 v39, 0x7f80
	s_and_saveexec_b64 s[12:13], vcc
	s_cbranch_execz .LBB958_103
; %bb.102:                              ;   in Loop: Header=BB958_15 Depth=1
	v_and_b32_e32 v30, 7, v28
	v_ffbh_u32_e32 v40, v30
	v_min_u32_e32 v42, 32, v40
	v_subrev_u32_e32 v40, 28, v42
	v_lshlrev_b64 v[40:41], v40, v[28:29]
	v_lshrrev_b32_e32 v39, 3, v23
	v_sub_u32_e32 v41, 29, v42
	v_and_b32_e32 v40, 7, v40
	v_cmp_gt_u32_e32 vcc, 8, v23
	v_cndmask_b32_e32 v23, v39, v41, vcc
	v_cndmask_b32_e32 v30, v30, v40, vcc
	v_lshlrev_b32_e32 v28, 24, v28
	v_lshlrev_b32_e32 v30, 20, v30
	v_and_b32_e32 v28, 0x80000000, v28
	v_lshl_add_u32 v23, v23, 23, v33
	v_or3_b32 v23, v28, v23, v30
	v_lshrrev_b32_e32 v39, 16, v23
.LBB958_103:                            ;   in Loop: Header=BB958_15 Depth=1
	s_or_b64 exec, exec, s[12:13]
.LBB958_104:                            ;   in Loop: Header=BB958_15 Depth=1
	s_or_b64 exec, exec, s[6:7]
.LBB958_105:                            ;   in Loop: Header=BB958_15 Depth=1
	s_or_b64 exec, exec, s[4:5]
	v_cmp_lt_u32_e32 vcc, s17, v26
	v_mov_b32_e32 v23, 0
	v_mov_b32_e32 v40, 0
	s_and_saveexec_b64 s[4:5], vcc
	s_cbranch_execz .LBB958_111
; %bb.106:                              ;   in Loop: Header=BB958_15 Depth=1
	v_lshrrev_b32_e32 v28, 24, v26
	v_cmp_ne_u32_e32 vcc, s15, v28
	v_mov_b32_e32 v40, 0xffff8000
	s_and_saveexec_b64 s[6:7], vcc
	s_cbranch_execz .LBB958_110
; %bb.107:                              ;   in Loop: Header=BB958_15 Depth=1
	v_bfe_u32 v26, v26, 24, 7
	v_cmp_ne_u32_e32 vcc, s16, v26
	v_mov_b32_e32 v40, 0x7f80
	s_and_saveexec_b64 s[12:13], vcc
	s_cbranch_execz .LBB958_109
; %bb.108:                              ;   in Loop: Header=BB958_15 Depth=1
	v_and_b32_e32 v30, 7, v28
	v_ffbh_u32_e32 v40, v30
	v_min_u32_e32 v43, 32, v40
	v_subrev_u32_e32 v40, 28, v43
	v_lshlrev_b64 v[40:41], v40, v[28:29]
	v_lshrrev_b32_e32 v42, 3, v26
	v_sub_u32_e32 v41, 29, v43
	v_and_b32_e32 v40, 7, v40
	v_cmp_gt_u32_e32 vcc, 8, v26
	v_cndmask_b32_e32 v26, v42, v41, vcc
	v_cndmask_b32_e32 v30, v30, v40, vcc
	v_lshlrev_b32_e32 v28, 24, v28
	v_lshlrev_b32_e32 v30, 20, v30
	v_and_b32_e32 v28, 0x80000000, v28
	v_lshl_add_u32 v26, v26, 23, v33
	v_or3_b32 v26, v28, v26, v30
	v_lshrrev_b32_e32 v40, 16, v26
.LBB958_109:                            ;   in Loop: Header=BB958_15 Depth=1
	s_or_b64 exec, exec, s[12:13]
.LBB958_110:                            ;   in Loop: Header=BB958_15 Depth=1
	s_or_b64 exec, exec, s[6:7]
.LBB958_111:                            ;   in Loop: Header=BB958_15 Depth=1
	s_or_b64 exec, exec, s[4:5]
	v_perm_b32 v34, v34, v32, s18
	buffer_load_dword v32, v27, s[0:3], 0 offen offset:16
	buffer_load_dword v30, v27, s[0:3], 0 offen offset:20
	;; [unrolled: 1-line block ×4, first 2 shown]
	v_perm_b32 v35, v37, v35, s18
	s_waitcnt vmcnt(3)
	v_cmp_ne_u16_sdwa s[6:7], v32, v31 src0_sel:BYTE_0 src1_sel:DWORD
	v_mfma_f32_16x16x16bf16_1k v[18:21], v[34:35], v[6:7], v[18:21]
	v_perm_b32 v35, v40, v39, s18
	v_perm_b32 v34, v38, v36, s18
	s_nop 1
	v_mfma_f32_16x16x16bf16_1k v[18:21], v[34:35], v[8:9], v[18:21]
	s_and_saveexec_b64 s[4:5], s[6:7]
	s_cbranch_execz .LBB958_117
; %bb.112:                              ;   in Loop: Header=BB958_15 Depth=1
	v_cmp_ne_u16_sdwa s[12:13], v32, s15 src0_sel:BYTE_0 src1_sel:DWORD
	v_mov_b32_e32 v23, 0xffff8000
	s_and_saveexec_b64 s[6:7], s[12:13]
	s_cbranch_execz .LBB958_116
; %bb.113:                              ;   in Loop: Header=BB958_15 Depth=1
	v_and_b32_e32 v34, 0x7f, v32
	v_cmp_ne_u32_e32 vcc, s16, v34
	v_mov_b32_e32 v23, 0x7f80
	s_and_saveexec_b64 s[12:13], vcc
	s_cbranch_execz .LBB958_115
; %bb.114:                              ;   in Loop: Header=BB958_15 Depth=1
	v_and_b32_e32 v23, 7, v32
	v_ffbh_u32_e32 v36, v23
	v_min_u32_e32 v38, 32, v36
	v_subrev_u32_e32 v36, 28, v38
	v_lshlrev_b64 v[36:37], v36, v[32:33]
	v_lshrrev_b32_e32 v35, 3, v34
	v_sub_u32_e32 v37, 29, v38
	v_and_b32_e32 v36, 7, v36
	v_cmp_gt_u32_e32 vcc, 8, v34
	v_cndmask_b32_e32 v34, v35, v37, vcc
	v_cndmask_b32_e32 v23, v23, v36, vcc
	v_lshlrev_b32_e32 v35, 24, v32
	v_lshlrev_b32_e32 v23, 20, v23
	v_and_b32_e32 v35, 0x80000000, v35
	v_lshl_add_u32 v34, v34, 23, v33
	v_or3_b32 v23, v35, v34, v23
	v_lshrrev_b32_e32 v23, 16, v23
.LBB958_115:                            ;   in Loop: Header=BB958_15 Depth=1
	s_or_b64 exec, exec, s[12:13]
.LBB958_116:                            ;   in Loop: Header=BB958_15 Depth=1
	s_or_b64 exec, exec, s[6:7]
.LBB958_117:                            ;   in Loop: Header=BB958_15 Depth=1
	s_or_b64 exec, exec, s[4:5]
	v_lshrrev_b16_e32 v34, 8, v32
	v_cmp_ne_u16_e32 vcc, 0, v34
	v_mov_b32_e32 v36, 0
	v_mov_b32_e32 v35, 0
	s_and_saveexec_b64 s[4:5], vcc
	s_cbranch_execz .LBB958_123
; %bb.118:                              ;   in Loop: Header=BB958_15 Depth=1
	v_cmp_ne_u16_e32 vcc, s15, v34
	v_mov_b32_e32 v35, 0xffff8000
	s_and_saveexec_b64 s[6:7], vcc
	s_cbranch_execz .LBB958_122
; %bb.119:                              ;   in Loop: Header=BB958_15 Depth=1
	v_and_b32_e32 v37, 0x7f, v34
	v_cmp_ne_u32_e32 vcc, s16, v37
	v_mov_b32_e32 v35, 0x7f80
	s_and_saveexec_b64 s[12:13], vcc
	s_cbranch_execz .LBB958_121
; %bb.120:                              ;   in Loop: Header=BB958_15 Depth=1
	v_and_b32_e32 v38, 7, v34
	v_ffbh_u32_e32 v35, v38
	v_min_u32_e32 v40, 32, v35
	v_subrev_u32_e32 v35, 28, v40
	v_lshlrev_b64 v[34:35], v35, v[34:35]
	v_lshrrev_b32_e32 v39, 3, v37
	v_sub_u32_e32 v35, 29, v40
	v_and_b32_e32 v34, 7, v34
	v_cmp_gt_u32_e32 vcc, 8, v37
	v_cndmask_b32_e32 v35, v39, v35, vcc
	v_cndmask_b32_e32 v34, v38, v34, vcc
	v_lshlrev_b32_e32 v37, 16, v32
	v_lshlrev_b32_e32 v34, 20, v34
	v_and_b32_e32 v37, 0x80000000, v37
	v_lshl_add_u32 v35, v35, 23, v33
	v_or3_b32 v34, v37, v35, v34
	v_lshrrev_b32_e32 v35, 16, v34
.LBB958_121:                            ;   in Loop: Header=BB958_15 Depth=1
	s_or_b64 exec, exec, s[12:13]
.LBB958_122:                            ;   in Loop: Header=BB958_15 Depth=1
	s_or_b64 exec, exec, s[6:7]
.LBB958_123:                            ;   in Loop: Header=BB958_15 Depth=1
	s_or_b64 exec, exec, s[4:5]
	v_lshrrev_b32_e32 v34, 16, v32
	v_cmp_ne_u16_sdwa s[6:7], v34, v31 src0_sel:BYTE_0 src1_sel:DWORD
	s_and_saveexec_b64 s[4:5], s[6:7]
	s_cbranch_execz .LBB958_129
; %bb.124:                              ;   in Loop: Header=BB958_15 Depth=1
	v_cmp_ne_u16_sdwa s[12:13], v34, s15 src0_sel:BYTE_0 src1_sel:DWORD
	v_mov_b32_e32 v36, 0xffff8000
	s_and_saveexec_b64 s[6:7], s[12:13]
	s_cbranch_execz .LBB958_128
; %bb.125:                              ;   in Loop: Header=BB958_15 Depth=1
	v_bfe_u32 v37, v32, 16, 7
	v_cmp_ne_u32_e32 vcc, s16, v37
	v_mov_b32_e32 v36, 0x7f80
	s_and_saveexec_b64 s[12:13], vcc
	s_cbranch_execz .LBB958_127
; %bb.126:                              ;   in Loop: Header=BB958_15 Depth=1
	v_and_b32_e32 v36, 7, v34
	v_ffbh_u32_e32 v38, v36
	v_min_u32_e32 v41, 32, v38
	v_subrev_u32_e32 v38, 28, v41
	v_lshlrev_b64 v[38:39], v38, v[34:35]
	v_lshrrev_b32_e32 v40, 3, v37
	v_sub_u32_e32 v39, 29, v41
	v_and_b32_e32 v38, 7, v38
	v_cmp_gt_u32_e32 vcc, 8, v37
	v_cndmask_b32_e32 v37, v40, v39, vcc
	v_cndmask_b32_e32 v36, v36, v38, vcc
	v_lshlrev_b32_e32 v34, 24, v34
	v_lshlrev_b32_e32 v36, 20, v36
	v_and_b32_e32 v34, 0x80000000, v34
	v_lshl_add_u32 v37, v37, 23, v33
	v_or3_b32 v34, v34, v37, v36
	v_lshrrev_b32_e32 v36, 16, v34
.LBB958_127:                            ;   in Loop: Header=BB958_15 Depth=1
	s_or_b64 exec, exec, s[12:13]
.LBB958_128:                            ;   in Loop: Header=BB958_15 Depth=1
	s_or_b64 exec, exec, s[6:7]
.LBB958_129:                            ;   in Loop: Header=BB958_15 Depth=1
	s_or_b64 exec, exec, s[4:5]
	v_cmp_lt_u32_e32 vcc, s17, v32
	v_mov_b32_e32 v37, 0
	v_mov_b32_e32 v38, 0
	s_and_saveexec_b64 s[4:5], vcc
	s_cbranch_execz .LBB958_135
; %bb.130:                              ;   in Loop: Header=BB958_15 Depth=1
	v_lshrrev_b32_e32 v34, 24, v32
	v_cmp_ne_u32_e32 vcc, s15, v34
	v_mov_b32_e32 v38, 0xffff8000
	s_and_saveexec_b64 s[6:7], vcc
	s_cbranch_execz .LBB958_134
; %bb.131:                              ;   in Loop: Header=BB958_15 Depth=1
	v_bfe_u32 v32, v32, 24, 7
	v_cmp_ne_u32_e32 vcc, s16, v32
	v_mov_b32_e32 v38, 0x7f80
	s_and_saveexec_b64 s[12:13], vcc
	s_cbranch_execz .LBB958_133
; %bb.132:                              ;   in Loop: Header=BB958_15 Depth=1
	v_and_b32_e32 v40, 7, v34
	v_ffbh_u32_e32 v38, v40
	v_min_u32_e32 v42, 32, v38
	v_subrev_u32_e32 v38, 28, v42
	v_lshlrev_b64 v[38:39], v38, v[34:35]
	v_lshrrev_b32_e32 v41, 3, v32
	v_sub_u32_e32 v39, 29, v42
	v_and_b32_e32 v38, 7, v38
	v_cmp_gt_u32_e32 vcc, 8, v32
	v_cndmask_b32_e32 v32, v41, v39, vcc
	v_cndmask_b32_e32 v38, v40, v38, vcc
	v_lshlrev_b32_e32 v34, 24, v34
	v_lshlrev_b32_e32 v38, 20, v38
	v_and_b32_e32 v34, 0x80000000, v34
	v_lshl_add_u32 v32, v32, 23, v33
	v_or3_b32 v32, v34, v32, v38
	v_lshrrev_b32_e32 v38, 16, v32
.LBB958_133:                            ;   in Loop: Header=BB958_15 Depth=1
	s_or_b64 exec, exec, s[12:13]
.LBB958_134:                            ;   in Loop: Header=BB958_15 Depth=1
	s_or_b64 exec, exec, s[6:7]
.LBB958_135:                            ;   in Loop: Header=BB958_15 Depth=1
	s_or_b64 exec, exec, s[4:5]
	s_waitcnt vmcnt(2)
	v_cmp_ne_u16_sdwa s[6:7], v30, v31 src0_sel:BYTE_0 src1_sel:DWORD
	s_and_saveexec_b64 s[4:5], s[6:7]
	s_cbranch_execz .LBB958_141
; %bb.136:                              ;   in Loop: Header=BB958_15 Depth=1
	v_cmp_ne_u16_sdwa s[12:13], v30, s15 src0_sel:BYTE_0 src1_sel:DWORD
	v_mov_b32_e32 v37, 0xffff8000
	s_and_saveexec_b64 s[6:7], s[12:13]
	s_cbranch_execz .LBB958_140
; %bb.137:                              ;   in Loop: Header=BB958_15 Depth=1
	v_and_b32_e32 v32, 0x7f, v30
	v_cmp_ne_u32_e32 vcc, s16, v32
	v_mov_b32_e32 v37, 0x7f80
	s_and_saveexec_b64 s[12:13], vcc
	s_cbranch_execz .LBB958_139
; %bb.138:                              ;   in Loop: Header=BB958_15 Depth=1
	v_and_b32_e32 v34, 7, v30
	v_ffbh_u32_e32 v39, v34
	v_min_u32_e32 v39, 32, v39
	v_subrev_u32_e32 v40, 28, v39
	v_lshlrev_b64 v[40:41], v40, v[30:31]
	v_lshrrev_b32_e32 v37, 3, v32
	v_sub_u32_e32 v39, 29, v39
	v_and_b32_e32 v40, 7, v40
	v_cmp_gt_u32_e32 vcc, 8, v32
	v_cndmask_b32_e32 v32, v37, v39, vcc
	v_cndmask_b32_e32 v34, v34, v40, vcc
	v_lshlrev_b32_e32 v37, 24, v30
	v_lshlrev_b32_e32 v34, 20, v34
	v_and_b32_e32 v37, 0x80000000, v37
	v_lshl_add_u32 v32, v32, 23, v33
	v_or3_b32 v32, v37, v32, v34
	v_lshrrev_b32_e32 v37, 16, v32
.LBB958_139:                            ;   in Loop: Header=BB958_15 Depth=1
	s_or_b64 exec, exec, s[12:13]
.LBB958_140:                            ;   in Loop: Header=BB958_15 Depth=1
	s_or_b64 exec, exec, s[6:7]
.LBB958_141:                            ;   in Loop: Header=BB958_15 Depth=1
	s_or_b64 exec, exec, s[4:5]
	v_lshrrev_b16_e32 v32, 8, v30
	v_cmp_ne_u16_e32 vcc, 0, v32
	v_mov_b32_e32 v40, 0
	v_mov_b32_e32 v39, 0
	s_and_saveexec_b64 s[4:5], vcc
	s_cbranch_execz .LBB958_147
; %bb.142:                              ;   in Loop: Header=BB958_15 Depth=1
	v_cmp_ne_u16_e32 vcc, s15, v32
	v_mov_b32_e32 v39, 0xffff8000
	s_and_saveexec_b64 s[6:7], vcc
	s_cbranch_execz .LBB958_146
; %bb.143:                              ;   in Loop: Header=BB958_15 Depth=1
	v_and_b32_e32 v34, 0x7f, v32
	v_cmp_ne_u32_e32 vcc, s16, v34
	v_mov_b32_e32 v39, 0x7f80
	s_and_saveexec_b64 s[12:13], vcc
	s_cbranch_execz .LBB958_145
; %bb.144:                              ;   in Loop: Header=BB958_15 Depth=1
	v_and_b32_e32 v39, 7, v32
	v_ffbh_u32_e32 v42, v39
	v_min_u32_e32 v44, 32, v42
	v_subrev_u32_e32 v42, 28, v44
	v_lshlrev_b64 v[42:43], v42, v[32:33]
	v_lshrrev_b32_e32 v41, 3, v34
	v_sub_u32_e32 v32, 29, v44
	v_and_b32_e32 v42, 7, v42
	v_cmp_gt_u32_e32 vcc, 8, v34
	v_cndmask_b32_e32 v32, v41, v32, vcc
	v_cndmask_b32_e32 v34, v39, v42, vcc
	v_lshlrev_b32_e32 v39, 16, v30
	v_lshlrev_b32_e32 v34, 20, v34
	v_and_b32_e32 v39, 0x80000000, v39
	v_lshl_add_u32 v32, v32, 23, v33
	v_or3_b32 v32, v39, v32, v34
	v_lshrrev_b32_e32 v39, 16, v32
.LBB958_145:                            ;   in Loop: Header=BB958_15 Depth=1
	s_or_b64 exec, exec, s[12:13]
.LBB958_146:                            ;   in Loop: Header=BB958_15 Depth=1
	s_or_b64 exec, exec, s[6:7]
.LBB958_147:                            ;   in Loop: Header=BB958_15 Depth=1
	s_or_b64 exec, exec, s[4:5]
	v_lshrrev_b32_e32 v32, 16, v30
	v_cmp_ne_u16_sdwa s[6:7], v32, v31 src0_sel:BYTE_0 src1_sel:DWORD
	s_and_saveexec_b64 s[4:5], s[6:7]
	s_cbranch_execz .LBB958_153
; %bb.148:                              ;   in Loop: Header=BB958_15 Depth=1
	v_cmp_ne_u16_sdwa s[12:13], v32, s15 src0_sel:BYTE_0 src1_sel:DWORD
	v_mov_b32_e32 v40, 0xffff8000
	s_and_saveexec_b64 s[6:7], s[12:13]
	s_cbranch_execz .LBB958_152
; %bb.149:                              ;   in Loop: Header=BB958_15 Depth=1
	v_bfe_u32 v34, v30, 16, 7
	v_cmp_ne_u32_e32 vcc, s16, v34
	v_mov_b32_e32 v40, 0x7f80
	s_and_saveexec_b64 s[12:13], vcc
	s_cbranch_execz .LBB958_151
; %bb.150:                              ;   in Loop: Header=BB958_15 Depth=1
	v_and_b32_e32 v42, 7, v32
	v_ffbh_u32_e32 v40, v42
	v_min_u32_e32 v44, 32, v40
	v_subrev_u32_e32 v40, 28, v44
	v_lshlrev_b64 v[40:41], v40, v[32:33]
	v_lshrrev_b32_e32 v43, 3, v34
	v_sub_u32_e32 v41, 29, v44
	v_and_b32_e32 v40, 7, v40
	v_cmp_gt_u32_e32 vcc, 8, v34
	v_cndmask_b32_e32 v34, v43, v41, vcc
	v_cndmask_b32_e32 v40, v42, v40, vcc
	v_lshlrev_b32_e32 v32, 24, v32
	v_lshlrev_b32_e32 v40, 20, v40
	v_and_b32_e32 v32, 0x80000000, v32
	v_lshl_add_u32 v34, v34, 23, v33
	v_or3_b32 v32, v32, v34, v40
	v_lshrrev_b32_e32 v40, 16, v32
.LBB958_151:                            ;   in Loop: Header=BB958_15 Depth=1
	s_or_b64 exec, exec, s[12:13]
.LBB958_152:                            ;   in Loop: Header=BB958_15 Depth=1
	s_or_b64 exec, exec, s[6:7]
.LBB958_153:                            ;   in Loop: Header=BB958_15 Depth=1
	s_or_b64 exec, exec, s[4:5]
	v_cmp_lt_u32_e32 vcc, s17, v30
	v_mov_b32_e32 v34, 0
	v_mov_b32_e32 v41, 0
	s_and_saveexec_b64 s[4:5], vcc
	s_cbranch_execz .LBB958_159
; %bb.154:                              ;   in Loop: Header=BB958_15 Depth=1
	v_lshrrev_b32_e32 v32, 24, v30
	v_cmp_ne_u32_e32 vcc, s15, v32
	v_mov_b32_e32 v41, 0xffff8000
	s_and_saveexec_b64 s[6:7], vcc
	s_cbranch_execz .LBB958_158
; %bb.155:                              ;   in Loop: Header=BB958_15 Depth=1
	v_bfe_u32 v30, v30, 24, 7
	v_cmp_ne_u32_e32 vcc, s16, v30
	v_mov_b32_e32 v41, 0x7f80
	s_and_saveexec_b64 s[12:13], vcc
	s_cbranch_execz .LBB958_157
; %bb.156:                              ;   in Loop: Header=BB958_15 Depth=1
	v_and_b32_e32 v41, 7, v32
	v_ffbh_u32_e32 v42, v41
	v_min_u32_e32 v45, 32, v42
	v_subrev_u32_e32 v42, 28, v45
	v_lshlrev_b64 v[42:43], v42, v[32:33]
	v_lshrrev_b32_e32 v44, 3, v30
	v_sub_u32_e32 v43, 29, v45
	v_and_b32_e32 v42, 7, v42
	v_cmp_gt_u32_e32 vcc, 8, v30
	v_cndmask_b32_e32 v30, v44, v43, vcc
	v_cndmask_b32_e32 v41, v41, v42, vcc
	v_lshlrev_b32_e32 v32, 24, v32
	v_lshlrev_b32_e32 v41, 20, v41
	v_and_b32_e32 v32, 0x80000000, v32
	v_lshl_add_u32 v30, v30, 23, v33
	v_or3_b32 v30, v32, v30, v41
	v_lshrrev_b32_e32 v41, 16, v30
.LBB958_157:                            ;   in Loop: Header=BB958_15 Depth=1
	s_or_b64 exec, exec, s[12:13]
.LBB958_158:                            ;   in Loop: Header=BB958_15 Depth=1
	s_or_b64 exec, exec, s[6:7]
.LBB958_159:                            ;   in Loop: Header=BB958_15 Depth=1
	s_or_b64 exec, exec, s[4:5]
	v_perm_b32 v43, v38, v36, s18
	v_perm_b32 v42, v35, v23, s18
	;; [unrolled: 1-line block ×4, first 2 shown]
	s_waitcnt vmcnt(1)
	v_cmp_ne_u16_sdwa s[6:7], v28, v31 src0_sel:BYTE_0 src1_sel:DWORD
	v_mfma_f32_16x16x16bf16_1k v[18:21], v[42:43], v[10:11], v[18:21]
	v_mfma_f32_16x16x16bf16_1k v[18:21], v[40:41], v[12:13], v[18:21]
	s_and_saveexec_b64 s[4:5], s[6:7]
	s_cbranch_execz .LBB958_165
; %bb.160:                              ;   in Loop: Header=BB958_15 Depth=1
	v_cmp_ne_u16_sdwa s[12:13], v28, s15 src0_sel:BYTE_0 src1_sel:DWORD
	v_mov_b32_e32 v34, 0xffff8000
	s_and_saveexec_b64 s[6:7], s[12:13]
	s_cbranch_execz .LBB958_164
; %bb.161:                              ;   in Loop: Header=BB958_15 Depth=1
	v_and_b32_e32 v23, 0x7f, v28
	v_cmp_ne_u32_e32 vcc, s16, v23
	v_mov_b32_e32 v34, 0x7f80
	s_and_saveexec_b64 s[12:13], vcc
	s_cbranch_execz .LBB958_163
; %bb.162:                              ;   in Loop: Header=BB958_15 Depth=1
	v_and_b32_e32 v30, 7, v28
	v_ffbh_u32_e32 v34, v30
	v_min_u32_e32 v36, 32, v34
	v_subrev_u32_e32 v34, 28, v36
	v_lshlrev_b64 v[34:35], v34, v[28:29]
	v_lshrrev_b32_e32 v32, 3, v23
	v_sub_u32_e32 v35, 29, v36
	v_and_b32_e32 v34, 7, v34
	v_cmp_gt_u32_e32 vcc, 8, v23
	v_cndmask_b32_e32 v23, v32, v35, vcc
	v_cndmask_b32_e32 v30, v30, v34, vcc
	v_lshlrev_b32_e32 v32, 24, v28
	v_lshlrev_b32_e32 v30, 20, v30
	v_and_b32_e32 v32, 0x80000000, v32
	v_lshl_add_u32 v23, v23, 23, v33
	v_or3_b32 v23, v32, v23, v30
	v_lshrrev_b32_e32 v34, 16, v23
.LBB958_163:                            ;   in Loop: Header=BB958_15 Depth=1
	s_or_b64 exec, exec, s[12:13]
.LBB958_164:                            ;   in Loop: Header=BB958_15 Depth=1
	s_or_b64 exec, exec, s[6:7]
.LBB958_165:                            ;   in Loop: Header=BB958_15 Depth=1
	s_or_b64 exec, exec, s[4:5]
	v_lshrrev_b16_e32 v30, 8, v28
	v_cmp_ne_u16_e32 vcc, 0, v30
	v_mov_b32_e32 v32, 0
	v_mov_b32_e32 v23, 0
	s_and_saveexec_b64 s[4:5], vcc
	s_cbranch_execz .LBB958_171
; %bb.166:                              ;   in Loop: Header=BB958_15 Depth=1
	v_cmp_ne_u16_e32 vcc, s15, v30
	v_mov_b32_e32 v23, 0xffff8000
	s_and_saveexec_b64 s[6:7], vcc
	s_cbranch_execz .LBB958_170
; %bb.167:                              ;   in Loop: Header=BB958_15 Depth=1
	v_and_b32_e32 v35, 0x7f, v30
	v_cmp_ne_u32_e32 vcc, s16, v35
	v_mov_b32_e32 v23, 0x7f80
	s_and_saveexec_b64 s[12:13], vcc
	s_cbranch_execz .LBB958_169
; %bb.168:                              ;   in Loop: Header=BB958_15 Depth=1
	v_and_b32_e32 v23, 7, v30
	v_ffbh_u32_e32 v36, v23
	v_min_u32_e32 v39, 32, v36
	v_subrev_u32_e32 v36, 28, v39
	v_lshlrev_b64 v[36:37], v36, v[30:31]
	v_lshrrev_b32_e32 v38, 3, v35
	v_sub_u32_e32 v30, 29, v39
	v_and_b32_e32 v36, 7, v36
	v_cmp_gt_u32_e32 vcc, 8, v35
	v_cndmask_b32_e32 v30, v38, v30, vcc
	v_cndmask_b32_e32 v23, v23, v36, vcc
	v_lshlrev_b32_e32 v35, 16, v28
	v_lshlrev_b32_e32 v23, 20, v23
	v_and_b32_e32 v35, 0x80000000, v35
	v_lshl_add_u32 v30, v30, 23, v33
	v_or3_b32 v23, v35, v30, v23
	v_lshrrev_b32_e32 v23, 16, v23
.LBB958_169:                            ;   in Loop: Header=BB958_15 Depth=1
	s_or_b64 exec, exec, s[12:13]
.LBB958_170:                            ;   in Loop: Header=BB958_15 Depth=1
	s_or_b64 exec, exec, s[6:7]
.LBB958_171:                            ;   in Loop: Header=BB958_15 Depth=1
	s_or_b64 exec, exec, s[4:5]
	v_lshrrev_b32_e32 v30, 16, v28
	v_cmp_ne_u16_sdwa s[6:7], v30, v31 src0_sel:BYTE_0 src1_sel:DWORD
	s_and_saveexec_b64 s[4:5], s[6:7]
	s_cbranch_execz .LBB958_177
; %bb.172:                              ;   in Loop: Header=BB958_15 Depth=1
	v_cmp_ne_u16_sdwa s[12:13], v30, s15 src0_sel:BYTE_0 src1_sel:DWORD
	v_mov_b32_e32 v32, 0xffff8000
	s_and_saveexec_b64 s[6:7], s[12:13]
	s_cbranch_execz .LBB958_176
; %bb.173:                              ;   in Loop: Header=BB958_15 Depth=1
	v_bfe_u32 v35, v28, 16, 7
	v_cmp_ne_u32_e32 vcc, s16, v35
	v_mov_b32_e32 v32, 0x7f80
	s_and_saveexec_b64 s[12:13], vcc
	s_cbranch_execz .LBB958_175
; %bb.174:                              ;   in Loop: Header=BB958_15 Depth=1
	v_and_b32_e32 v32, 7, v30
	v_ffbh_u32_e32 v36, v32
	v_min_u32_e32 v39, 32, v36
	v_subrev_u32_e32 v36, 28, v39
	v_lshlrev_b64 v[36:37], v36, v[30:31]
	v_lshrrev_b32_e32 v38, 3, v35
	v_sub_u32_e32 v37, 29, v39
	v_and_b32_e32 v36, 7, v36
	v_cmp_gt_u32_e32 vcc, 8, v35
	v_cndmask_b32_e32 v35, v38, v37, vcc
	v_cndmask_b32_e32 v32, v32, v36, vcc
	v_lshlrev_b32_e32 v30, 24, v30
	v_lshlrev_b32_e32 v32, 20, v32
	v_and_b32_e32 v30, 0x80000000, v30
	v_lshl_add_u32 v35, v35, 23, v33
	v_or3_b32 v30, v30, v35, v32
	v_lshrrev_b32_e32 v32, 16, v30
.LBB958_175:                            ;   in Loop: Header=BB958_15 Depth=1
	s_or_b64 exec, exec, s[12:13]
.LBB958_176:                            ;   in Loop: Header=BB958_15 Depth=1
	s_or_b64 exec, exec, s[6:7]
.LBB958_177:                            ;   in Loop: Header=BB958_15 Depth=1
	s_or_b64 exec, exec, s[4:5]
	v_cmp_lt_u32_e32 vcc, s17, v28
	v_mov_b32_e32 v35, 0
	v_mov_b32_e32 v36, 0
	s_and_saveexec_b64 s[4:5], vcc
	s_cbranch_execz .LBB958_183
; %bb.178:                              ;   in Loop: Header=BB958_15 Depth=1
	v_lshrrev_b32_e32 v30, 24, v28
	v_cmp_ne_u32_e32 vcc, s15, v30
	v_mov_b32_e32 v36, 0xffff8000
	s_and_saveexec_b64 s[6:7], vcc
	s_cbranch_execz .LBB958_182
; %bb.179:                              ;   in Loop: Header=BB958_15 Depth=1
	v_bfe_u32 v28, v28, 24, 7
	v_cmp_ne_u32_e32 vcc, s16, v28
	v_mov_b32_e32 v36, 0x7f80
	s_and_saveexec_b64 s[12:13], vcc
	s_cbranch_execz .LBB958_181
; %bb.180:                              ;   in Loop: Header=BB958_15 Depth=1
	v_and_b32_e32 v38, 7, v30
	v_ffbh_u32_e32 v36, v38
	v_min_u32_e32 v40, 32, v36
	v_subrev_u32_e32 v36, 28, v40
	v_lshlrev_b64 v[36:37], v36, v[30:31]
	v_lshrrev_b32_e32 v39, 3, v28
	v_sub_u32_e32 v37, 29, v40
	v_and_b32_e32 v36, 7, v36
	v_cmp_gt_u32_e32 vcc, 8, v28
	v_cndmask_b32_e32 v28, v39, v37, vcc
	v_cndmask_b32_e32 v36, v38, v36, vcc
	v_lshlrev_b32_e32 v30, 24, v30
	v_lshlrev_b32_e32 v36, 20, v36
	v_and_b32_e32 v30, 0x80000000, v30
	v_lshl_add_u32 v28, v28, 23, v33
	v_or3_b32 v28, v30, v28, v36
	v_lshrrev_b32_e32 v36, 16, v28
.LBB958_181:                            ;   in Loop: Header=BB958_15 Depth=1
	s_or_b64 exec, exec, s[12:13]
.LBB958_182:                            ;   in Loop: Header=BB958_15 Depth=1
	s_or_b64 exec, exec, s[6:7]
.LBB958_183:                            ;   in Loop: Header=BB958_15 Depth=1
	s_or_b64 exec, exec, s[4:5]
	s_waitcnt vmcnt(0)
	v_cmp_ne_u16_sdwa s[6:7], v26, v31 src0_sel:BYTE_0 src1_sel:DWORD
	s_and_saveexec_b64 s[4:5], s[6:7]
	s_cbranch_execz .LBB958_189
; %bb.184:                              ;   in Loop: Header=BB958_15 Depth=1
	v_cmp_ne_u16_sdwa s[12:13], v26, s15 src0_sel:BYTE_0 src1_sel:DWORD
	v_mov_b32_e32 v35, 0xffff8000
	s_and_saveexec_b64 s[6:7], s[12:13]
	s_cbranch_execz .LBB958_188
; %bb.185:                              ;   in Loop: Header=BB958_15 Depth=1
	v_and_b32_e32 v28, 0x7f, v26
	v_cmp_ne_u32_e32 vcc, s16, v28
	v_mov_b32_e32 v35, 0x7f80
	s_and_saveexec_b64 s[12:13], vcc
	s_cbranch_execz .LBB958_187
; %bb.186:                              ;   in Loop: Header=BB958_15 Depth=1
	v_and_b32_e32 v30, 7, v26
	v_ffbh_u32_e32 v37, v30
	v_min_u32_e32 v37, 32, v37
	v_subrev_u32_e32 v38, 28, v37
	v_lshlrev_b64 v[38:39], v38, v[26:27]
	v_lshrrev_b32_e32 v35, 3, v28
	v_sub_u32_e32 v37, 29, v37
	v_and_b32_e32 v38, 7, v38
	v_cmp_gt_u32_e32 vcc, 8, v28
	v_cndmask_b32_e32 v28, v35, v37, vcc
	v_cndmask_b32_e32 v30, v30, v38, vcc
	v_lshlrev_b32_e32 v35, 24, v26
	v_lshlrev_b32_e32 v30, 20, v30
	v_and_b32_e32 v35, 0x80000000, v35
	v_lshl_add_u32 v28, v28, 23, v33
	v_or3_b32 v28, v35, v28, v30
	v_lshrrev_b32_e32 v35, 16, v28
.LBB958_187:                            ;   in Loop: Header=BB958_15 Depth=1
	s_or_b64 exec, exec, s[12:13]
.LBB958_188:                            ;   in Loop: Header=BB958_15 Depth=1
	s_or_b64 exec, exec, s[6:7]
.LBB958_189:                            ;   in Loop: Header=BB958_15 Depth=1
	s_or_b64 exec, exec, s[4:5]
	v_lshrrev_b16_e32 v28, 8, v26
	v_cmp_ne_u16_e32 vcc, 0, v28
	v_mov_b32_e32 v37, 0
	v_mov_b32_e32 v30, 0
	s_and_saveexec_b64 s[4:5], vcc
	s_cbranch_execz .LBB958_195
; %bb.190:                              ;   in Loop: Header=BB958_15 Depth=1
	v_cmp_ne_u16_e32 vcc, s15, v28
	v_mov_b32_e32 v30, 0xffff8000
	s_and_saveexec_b64 s[6:7], vcc
	s_cbranch_execz .LBB958_194
; %bb.191:                              ;   in Loop: Header=BB958_15 Depth=1
	v_and_b32_e32 v38, 0x7f, v28
	v_cmp_ne_u32_e32 vcc, s16, v38
	v_mov_b32_e32 v30, 0x7f80
	s_and_saveexec_b64 s[12:13], vcc
	s_cbranch_execz .LBB958_193
; %bb.192:                              ;   in Loop: Header=BB958_15 Depth=1
	v_and_b32_e32 v30, 7, v28
	v_ffbh_u32_e32 v40, v30
	v_min_u32_e32 v42, 32, v40
	v_subrev_u32_e32 v40, 28, v42
	v_lshlrev_b64 v[40:41], v40, v[28:29]
	v_lshrrev_b32_e32 v39, 3, v38
	v_sub_u32_e32 v28, 29, v42
	v_and_b32_e32 v40, 7, v40
	v_cmp_gt_u32_e32 vcc, 8, v38
	v_cndmask_b32_e32 v28, v39, v28, vcc
	v_cndmask_b32_e32 v30, v30, v40, vcc
	v_lshlrev_b32_e32 v38, 16, v26
	v_lshlrev_b32_e32 v30, 20, v30
	v_and_b32_e32 v38, 0x80000000, v38
	v_lshl_add_u32 v28, v28, 23, v33
	v_or3_b32 v28, v38, v28, v30
	v_lshrrev_b32_e32 v30, 16, v28
.LBB958_193:                            ;   in Loop: Header=BB958_15 Depth=1
	s_or_b64 exec, exec, s[12:13]
.LBB958_194:                            ;   in Loop: Header=BB958_15 Depth=1
	s_or_b64 exec, exec, s[6:7]
.LBB958_195:                            ;   in Loop: Header=BB958_15 Depth=1
	s_or_b64 exec, exec, s[4:5]
	v_lshrrev_b32_e32 v28, 16, v26
	v_cmp_ne_u16_sdwa s[6:7], v28, v31 src0_sel:BYTE_0 src1_sel:DWORD
	s_and_saveexec_b64 s[4:5], s[6:7]
	s_cbranch_execz .LBB958_201
; %bb.196:                              ;   in Loop: Header=BB958_15 Depth=1
	v_cmp_ne_u16_sdwa s[12:13], v28, s15 src0_sel:BYTE_0 src1_sel:DWORD
	v_mov_b32_e32 v37, 0xffff8000
	s_and_saveexec_b64 s[6:7], s[12:13]
	s_cbranch_execz .LBB958_200
; %bb.197:                              ;   in Loop: Header=BB958_15 Depth=1
	v_bfe_u32 v38, v26, 16, 7
	v_cmp_ne_u32_e32 vcc, s16, v38
	v_mov_b32_e32 v37, 0x7f80
	s_and_saveexec_b64 s[12:13], vcc
	s_cbranch_execz .LBB958_199
; %bb.198:                              ;   in Loop: Header=BB958_15 Depth=1
	v_and_b32_e32 v37, 7, v28
	v_ffbh_u32_e32 v40, v37
	v_min_u32_e32 v42, 32, v40
	v_subrev_u32_e32 v40, 28, v42
	v_lshlrev_b64 v[40:41], v40, v[28:29]
	v_lshrrev_b32_e32 v39, 3, v38
	v_sub_u32_e32 v41, 29, v42
	v_and_b32_e32 v40, 7, v40
	v_cmp_gt_u32_e32 vcc, 8, v38
	v_cndmask_b32_e32 v38, v39, v41, vcc
	v_cndmask_b32_e32 v37, v37, v40, vcc
	v_lshlrev_b32_e32 v28, 24, v28
	v_lshlrev_b32_e32 v37, 20, v37
	v_and_b32_e32 v28, 0x80000000, v28
	v_lshl_add_u32 v38, v38, 23, v33
	v_or3_b32 v28, v28, v38, v37
	v_lshrrev_b32_e32 v37, 16, v28
.LBB958_199:                            ;   in Loop: Header=BB958_15 Depth=1
	s_or_b64 exec, exec, s[12:13]
.LBB958_200:                            ;   in Loop: Header=BB958_15 Depth=1
	s_or_b64 exec, exec, s[6:7]
.LBB958_201:                            ;   in Loop: Header=BB958_15 Depth=1
	s_or_b64 exec, exec, s[4:5]
	v_cmp_lt_u32_e32 vcc, s17, v26
	v_mov_b32_e32 v38, 0
	s_and_saveexec_b64 s[4:5], vcc
	s_cbranch_execz .LBB958_14
; %bb.202:                              ;   in Loop: Header=BB958_15 Depth=1
	v_lshrrev_b32_e32 v28, 24, v26
	v_cmp_ne_u32_e32 vcc, s15, v28
	v_mov_b32_e32 v38, 0xffff8000
	s_and_saveexec_b64 s[6:7], vcc
	s_cbranch_execz .LBB958_13
; %bb.203:                              ;   in Loop: Header=BB958_15 Depth=1
	v_bfe_u32 v26, v26, 24, 7
	v_cmp_ne_u32_e32 vcc, s16, v26
	v_mov_b32_e32 v38, 0x7f80
	s_and_saveexec_b64 s[12:13], vcc
	s_cbranch_execz .LBB958_12
; %bb.204:                              ;   in Loop: Header=BB958_15 Depth=1
	v_and_b32_e32 v40, 7, v28
	v_ffbh_u32_e32 v38, v40
	v_min_u32_e32 v42, 32, v38
	v_subrev_u32_e32 v38, 28, v42
	v_lshlrev_b64 v[38:39], v38, v[28:29]
	v_lshrrev_b32_e32 v41, 3, v26
	v_sub_u32_e32 v39, 29, v42
	v_and_b32_e32 v38, 7, v38
	v_cmp_gt_u32_e32 vcc, 8, v26
	v_cndmask_b32_e32 v26, v41, v39, vcc
	v_cndmask_b32_e32 v38, v40, v38, vcc
	v_lshlrev_b32_e32 v28, 24, v28
	v_lshlrev_b32_e32 v38, 20, v38
	v_and_b32_e32 v28, 0x80000000, v28
	v_lshl_add_u32 v26, v26, 23, v33
	v_or3_b32 v26, v28, v26, v38
	v_lshrrev_b32_e32 v38, 16, v26
	s_branch .LBB958_12
.LBB958_205:
	buffer_load_dword v13, off, s[0:3], 0 offset:256
	buffer_load_dword v14, off, s[0:3], 0 offset:260
	;; [unrolled: 1-line block ×16, first 2 shown]
	v_and_b32_e32 v12, 0xc0, v0
	v_add_u32_e32 v12, s20, v12
	v_lshl_or_b32 v12, v50, 2, v12
	v_or_b32_e32 v23, 1, v12
	v_mov_b32_e32 v19, 0xff7fffff
	v_or_b32_e32 v24, 2, v12
	v_or_b32_e32 v25, 3, v12
	v_cmp_gt_i32_e64 s[26:27], s33, v12
	v_cmp_gt_i32_e64 s[28:29], s33, v23
	s_mov_b32 s52, 0xff7fffff
	v_or_b32_e32 v26, 16, v12
	v_or_b32_e32 v27, 17, v12
	;; [unrolled: 1-line block ×12, first 2 shown]
	v_cmp_gt_i32_e64 s[30:31], s33, v24
	v_cmp_gt_i32_e64 s[34:35], s33, v25
	v_mbcnt_lo_u32_b32 v20, -1, 0
	v_cmp_gt_i32_e64 s[36:37], s33, v26
	v_cmp_gt_i32_e64 s[38:39], s33, v27
	v_mbcnt_hi_u32_b32 v20, -1, v20
	v_cmp_gt_i32_e64 s[20:21], s33, v28
	v_cmp_gt_i32_e64 s[22:23], s33, v29
	v_and_b32_e32 v21, 64, v20
	v_cmp_gt_i32_e64 s[16:17], s33, v30
	v_cmp_gt_i32_e64 s[18:19], s33, v31
	v_xor_b32_e32 v22, 32, v20
	v_add_u32_e32 v21, 64, v21
	v_cmp_gt_i32_e64 s[12:13], s33, v32
	v_cmp_gt_i32_e64 s[14:15], s33, v33
	v_cmp_lt_i32_e32 vcc, v22, v21
	v_cmp_gt_i32_e64 s[6:7], s33, v34
	v_cmp_gt_i32_e64 s[24:25], s33, v35
	v_cndmask_b32_e32 v22, v20, v22, vcc
	v_cmp_gt_i32_e32 vcc, s33, v36
	v_cmp_gt_i32_e64 s[4:5], s33, v37
	v_lshlrev_b32_e32 v22, 2, v22
	s_waitcnt vmcnt(15)
	v_cndmask_b32_e64 v12, v19, v13, s[26:27]
	s_waitcnt vmcnt(14)
	v_cndmask_b32_e64 v23, v19, v14, s[28:29]
	;; [unrolled: 2-line block ×4, first 2 shown]
	v_max3_f32 v12, v12, s52, v23
	s_waitcnt vmcnt(11)
	v_cndmask_b32_e64 v26, v19, v17, s[36:37]
	s_waitcnt vmcnt(10)
	v_cndmask_b32_e64 v27, v19, v18, s[38:39]
	v_max3_f32 v12, v12, v24, v25
	s_waitcnt vmcnt(9)
	v_cndmask_b32_e64 v28, v19, v11, s[20:21]
	s_waitcnt vmcnt(8)
	v_cndmask_b32_e64 v29, v19, v10, s[22:23]
	;; [unrolled: 5-line block ×5, first 2 shown]
	v_max3_f32 v12, v12, v32, v33
	s_waitcnt vmcnt(1)
	v_cndmask_b32_e32 v36, v19, v3, vcc
	s_waitcnt vmcnt(0)
	v_cndmask_b32_e64 v19, v19, v2, s[4:5]
	v_max3_f32 v12, v12, v34, v35
	v_max3_f32 v12, v12, v36, v19
	ds_bpermute_b32 v19, v22, v12
	v_xor_b32_e32 v23, 16, v20
	v_cmp_lt_i32_e64 s[40:41], v23, v21
	v_cndmask_b32_e64 v20, v20, v23, s[40:41]
	v_lshlrev_b32_e32 v20, 2, v20
	s_waitcnt lgkmcnt(0)
	v_max_f32_e32 v19, v19, v19
	v_max_f32_e32 v12, v12, v19
	ds_bpermute_b32 v19, v20, v12
	s_waitcnt lgkmcnt(0)
	v_max_f32_e32 v19, v19, v19
	v_max_f32_e32 v12, v12, v19
	v_sub_f32_e32 v13, v13, v12
	v_sub_f32_e32 v14, v14, v12
	;; [unrolled: 1-line block ×3, first 2 shown]
	v_mul_f32_e32 v13, 0x3fb8aa3b, v13
	v_mul_f32_e32 v14, 0x3fb8aa3b, v14
	;; [unrolled: 1-line block ×3, first 2 shown]
	v_exp_f32_e32 v13, v13
	v_exp_f32_e32 v14, v14
	;; [unrolled: 1-line block ×3, first 2 shown]
	v_sub_f32_e32 v16, v16, v12
	v_cndmask_b32_e64 v13, 0, v13, s[26:27]
	v_mul_f32_e32 v16, 0x3fb8aa3b, v16
	v_cndmask_b32_e64 v14, 0, v14, s[28:29]
	v_cndmask_b32_e64 v15, 0, v15, s[30:31]
	v_add_f32_e32 v19, 0, v13
	buffer_store_dword v13, off, s[0:3], 0 offset:256
	buffer_store_dword v14, off, s[0:3], 0 offset:260
	buffer_store_dword v15, off, s[0:3], 0 offset:264
	v_sub_f32_e32 v13, v17, v12
	v_exp_f32_e32 v16, v16
	v_add_f32_e32 v19, v19, v14
	v_mul_f32_e32 v13, 0x3fb8aa3b, v13
	v_sub_f32_e32 v14, v18, v12
	v_exp_f32_e32 v13, v13
	v_mul_f32_e32 v14, 0x3fb8aa3b, v14
	v_sub_f32_e32 v11, v11, v12
	v_exp_f32_e32 v14, v14
	v_mul_f32_e32 v11, 0x3fb8aa3b, v11
	v_sub_f32_e32 v10, v10, v12
	v_exp_f32_e32 v11, v11
	v_mul_f32_e32 v10, 0x3fb8aa3b, v10
	v_sub_f32_e32 v9, v9, v12
	v_cndmask_b32_e64 v16, 0, v16, s[34:35]
	v_add_f32_e32 v19, v19, v15
	v_exp_f32_e32 v10, v10
	v_mul_f32_e32 v9, 0x3fb8aa3b, v9
	v_sub_f32_e32 v8, v8, v12
	v_add_f32_e32 v19, v19, v16
	v_cndmask_b32_e64 v13, 0, v13, s[36:37]
	v_exp_f32_e32 v9, v9
	v_mul_f32_e32 v8, 0x3fb8aa3b, v8
	v_sub_f32_e32 v7, v7, v12
	v_add_f32_e32 v15, v19, v13
	v_cndmask_b32_e64 v14, 0, v14, s[38:39]
	v_exp_f32_e32 v8, v8
	v_mul_f32_e32 v7, 0x3fb8aa3b, v7
	v_sub_f32_e32 v6, v6, v12
	v_add_f32_e32 v15, v15, v14
	v_cndmask_b32_e64 v11, 0, v11, s[20:21]
	v_exp_f32_e32 v7, v7
	v_mul_f32_e32 v6, 0x3fb8aa3b, v6
	v_sub_f32_e32 v5, v5, v12
	v_add_f32_e32 v15, v15, v11
	v_cndmask_b32_e64 v10, 0, v10, s[22:23]
	v_exp_f32_e32 v6, v6
	v_mul_f32_e32 v5, 0x3fb8aa3b, v5
	v_sub_f32_e32 v4, v4, v12
	v_add_f32_e32 v15, v15, v10
	v_cndmask_b32_e64 v9, 0, v9, s[16:17]
	v_exp_f32_e32 v5, v5
	v_mul_f32_e32 v4, 0x3fb8aa3b, v4
	v_sub_f32_e32 v3, v3, v12
	buffer_store_dword v16, off, s[0:3], 0 offset:268
	buffer_store_dword v13, off, s[0:3], 0 offset:272
	;; [unrolled: 1-line block ×5, first 2 shown]
	v_add_f32_e32 v10, v15, v9
	v_cndmask_b32_e64 v8, 0, v8, s[18:19]
	v_exp_f32_e32 v4, v4
	v_mul_f32_e32 v3, 0x3fb8aa3b, v3
	v_sub_f32_e32 v2, v2, v12
	v_add_f32_e32 v10, v10, v8
	v_cndmask_b32_e64 v7, 0, v7, s[12:13]
	v_exp_f32_e32 v3, v3
	v_mul_f32_e32 v2, 0x3fb8aa3b, v2
	v_add_f32_e32 v10, v10, v7
	v_cndmask_b32_e64 v6, 0, v6, s[14:15]
	v_exp_f32_e32 v2, v2
	v_add_f32_e32 v10, v10, v6
	v_cndmask_b32_e64 v5, 0, v5, s[6:7]
	buffer_store_dword v9, off, s[0:3], 0 offset:288
	buffer_store_dword v8, off, s[0:3], 0 offset:292
	;; [unrolled: 1-line block ×4, first 2 shown]
	v_add_f32_e32 v6, v10, v5
	v_cndmask_b32_e64 v4, 0, v4, s[24:25]
	v_add_f32_e32 v6, v6, v4
	v_cndmask_b32_e32 v3, 0, v3, vcc
	v_add_f32_e32 v6, v6, v3
	v_cndmask_b32_e64 v2, 0, v2, s[4:5]
	v_add_f32_e32 v6, v6, v2
	ds_bpermute_b32 v7, v22, v6
	buffer_store_dword v5, off, s[0:3], 0 offset:304
	buffer_store_dword v4, off, s[0:3], 0 offset:308
	;; [unrolled: 1-line block ×4, first 2 shown]
	v_cmp_lt_u32_e64 s[4:5], 15, v62
	v_cmp_gt_u32_e32 vcc, 16, v62
	s_waitcnt lgkmcnt(0)
	v_add_f32_e32 v2, v6, v7
	ds_bpermute_b32 v3, v20, v2
	s_barrier
	s_waitcnt lgkmcnt(0)
	s_and_saveexec_b64 s[6:7], vcc
	s_cbranch_execz .LBB958_207
; %bb.206:
	v_add_f32_e32 v2, v2, v3
	v_lshlrev_b32_e32 v3, 2, v61
	ds_write2st64_b32 v3, v12, v2 offset1:1
.LBB958_207:
	s_or_b64 exec, exec, s[6:7]
	v_lshlrev_b32_e32 v2, 2, v51
	s_waitcnt lgkmcnt(0)
	s_barrier
	ds_read2_b32 v[12:13], v2 offset1:16
	ds_read2_b32 v[14:15], v2 offset0:32 offset1:48
	ds_read2_b32 v[6:7], v2 offset0:64 offset1:80
	;; [unrolled: 1-line block ×3, first 2 shown]
	s_waitcnt lgkmcnt(0)
	s_barrier
	buffer_load_dword v22, off, s[0:3], 0 offset:264
	buffer_load_dword v23, off, s[0:3], 0 offset:268
	;; [unrolled: 1-line block ×16, first 2 shown]
	v_max3_f32 v20, v12, s52, v13
	v_max3_f32 v20, v20, v14, v15
	v_sub_f32_e32 v12, v12, v20
	v_sub_f32_e32 v13, v13, v20
	v_mul_f32_e32 v12, 0x3fb8aa3b, v12
	v_sub_f32_e32 v14, v14, v20
	v_mul_f32_e32 v13, 0x3fb8aa3b, v13
	v_exp_f32_e32 v12, v12
	v_sub_f32_e32 v15, v15, v20
	v_mul_f32_e32 v14, 0x3fb8aa3b, v14
	v_exp_f32_e32 v13, v13
	v_mul_f32_e32 v15, 0x3fb8aa3b, v15
	v_exp_f32_e32 v14, v14
	v_exp_f32_e32 v15, v15
	v_fma_f32 v6, v12, v6, 0
	v_fmac_f32_e32 v6, v13, v7
	v_cmp_eq_u32_e32 vcc, 1, v60
	v_fmac_f32_e32 v6, v14, v16
	v_cndmask_b32_e32 v12, v12, v13, vcc
	v_cmp_eq_u32_e32 vcc, 2, v60
	v_fmac_f32_e32 v6, v15, v17
	v_cndmask_b32_e32 v7, v12, v14, vcc
	v_add_f32_e32 v12, 0x358637bd, v6
	v_div_scale_f32 v13, s[6:7], v12, v12, 1.0
	v_rcp_f32_e32 v14, v13
	v_cmp_eq_u32_e32 vcc, 3, v60
	v_cndmask_b32_e32 v7, v7, v15, vcc
	v_div_scale_f32 v15, vcc, 1.0, v12, 1.0
	v_fma_f32 v16, -v13, v14, 1.0
	v_fmac_f32_e32 v14, v16, v14
	v_mul_f32_e32 v16, v15, v14
	v_fma_f32 v17, -v13, v16, v15
	v_fmac_f32_e32 v16, v17, v14
	v_fma_f32 v13, -v13, v16, v15
	v_div_fmas_f32 v13, v13, v14, v16
	v_div_fixup_f32 v12, v13, v12, 1.0
	v_mul_f32_e32 v12, v7, v12
	s_movk_i32 s22, 0x7fff
	s_mov_b32 s23, 0x7060302
	v_mov_b32_e32 v39, 0
	v_cmp_eq_u32_e32 vcc, 0, v0
	s_waitcnt vmcnt(14)
	v_pk_mul_f32 v[14:15], v[12:13], v[22:23] op_sel_hi:[0,1]
	v_bfe_u32 v21, v15, 16, 1
	s_waitcnt vmcnt(12)
	v_pk_mul_f32 v[16:17], v[12:13], v[24:25] op_sel_hi:[0,1]
	v_bfe_u32 v7, v17, 16, 1
	v_bfe_u32 v13, v16, 16, 1
	;; [unrolled: 1-line block ×3, first 2 shown]
	v_add3_u32 v13, v16, v13, s22
	v_add3_u32 v7, v17, v7, s22
	buffer_store_dword v16, off, s[0:3], 0 offset:256
	buffer_store_dword v17, off, s[0:3], 0 offset:260
	;; [unrolled: 1-line block ×4, first 2 shown]
	v_add3_u32 v16, v14, v22, s22
	v_add3_u32 v15, v15, v21, s22
	v_perm_b32 v14, v7, v13, s23
	v_lshlrev_b32_e32 v13, 3, v50
	v_perm_b32 v15, v15, v16, s23
	v_lshlrev_b32_e32 v7, 5, v51
	v_lshlrev_b32_e32 v16, 11, v60
	s_waitcnt vmcnt(12)
	v_pk_mul_f32 v[8:9], v[12:13], v[8:9] op_sel_hi:[0,1]
	v_or3_b32 v41, v16, v7, v13
	v_pk_mul_f32 v[10:11], v[12:13], v[10:11] op_sel_hi:[0,1]
	v_bfe_u32 v13, v9, 16, 1
	v_bfe_u32 v16, v8, 16, 1
	buffer_store_dword v8, off, s[0:3], 0 offset:272
	buffer_store_dword v9, off, s[0:3], 0 offset:276
	;; [unrolled: 1-line block ×4, first 2 shown]
	v_add3_u32 v8, v8, v16, s22
	v_add3_u32 v9, v9, v13, s22
	v_perm_b32 v8, v9, v8, s23
	v_bfe_u32 v9, v11, 16, 1
	v_bfe_u32 v13, v10, 16, 1
	v_add3_u32 v10, v10, v13, s22
	v_add3_u32 v9, v11, v9, s22
	v_perm_b32 v9, v9, v10, s23
	s_waitcnt vmcnt(14)
	v_pk_mul_f32 v[10:11], v[12:13], v[18:19] op_sel_hi:[0,1]
	ds_write2st64_b64 v41, v[14:15], v[8:9] offset1:1
	s_waitcnt vmcnt(12)
	v_pk_mul_f32 v[8:9], v[12:13], v[26:27] op_sel_hi:[0,1]
	v_bfe_u32 v13, v11, 16, 1
	v_bfe_u32 v14, v10, 16, 1
	buffer_store_dword v10, off, s[0:3], 0 offset:288
	buffer_store_dword v11, off, s[0:3], 0 offset:292
	;; [unrolled: 1-line block ×4, first 2 shown]
	v_add3_u32 v10, v10, v14, s22
	v_add3_u32 v11, v11, v13, s22
	v_perm_b32 v10, v11, v10, s23
	v_bfe_u32 v11, v9, 16, 1
	v_bfe_u32 v13, v8, 16, 1
	v_add3_u32 v8, v8, v13, s22
	v_add3_u32 v9, v9, v11, s22
	s_waitcnt vmcnt(14)
	v_pk_mul_f32 v[2:3], v[12:13], v[2:3] op_sel_hi:[0,1]
	v_perm_b32 v11, v9, v8, s23
	v_bfe_u32 v8, v3, 16, 1
	v_bfe_u32 v9, v2, 16, 1
	s_waitcnt vmcnt(12)
	v_pk_mul_f32 v[4:5], v[12:13], v[4:5] op_sel_hi:[0,1]
	buffer_store_dword v2, off, s[0:3], 0 offset:304
	buffer_store_dword v3, off, s[0:3], 0 offset:308
	;; [unrolled: 1-line block ×4, first 2 shown]
	v_add3_u32 v2, v2, v9, s22
	v_add3_u32 v3, v3, v8, s22
	v_perm_b32 v2, v3, v2, s23
	v_bfe_u32 v3, v5, 16, 1
	v_bfe_u32 v8, v4, 16, 1
	v_add3_u32 v4, v4, v8, s22
	v_add3_u32 v3, v5, v3, s22
	v_perm_b32 v3, v3, v4, s23
	ds_write2st64_b64 v41, v[10:11], v[2:3] offset0:2 offset1:3
	s_and_saveexec_b64 s[6:7], vcc
	s_cbranch_execz .LBB958_209
; %bb.208:
	s_mul_i32 s9, s9, s51
	s_mul_hi_u32 s12, s8, s51
	s_add_i32 s12, s12, s9
	s_mul_i32 s9, s8, s51
	s_add_u32 s9, s9, s10
	s_addc_u32 s12, s12, 0
	s_mul_i32 s12, s12, s50
	s_mul_hi_u32 s13, s9, s50
	s_add_i32 s13, s13, s12
	s_mul_i32 s9, s9, s50
	s_add_u32 s12, s9, s11
	s_addc_u32 s13, s13, 0
	s_lshl_b64 s[12:13], s[12:13], 2
	s_add_u32 s14, s46, s12
	s_addc_u32 s15, s47, s13
	s_add_u32 s12, s44, s12
	s_addc_u32 s13, s45, s13
	global_store_dword v39, v20, s[14:15]
	global_store_dword v39, v6, s[12:13]
.LBB958_209:
	s_or_b64 exec, exec, s[6:7]
	v_lshl_or_b32 v30, v50, 9, v7
	s_waitcnt lgkmcnt(0)
	s_barrier
	s_load_dword s6, s[42:43], 0x0
	ds_read_b128 v[2:5], v30
	ds_read_b128 v[6:9], v30 offset:16
	ds_read_b128 v[10:13], v30 offset:2048
	ds_read_b128 v[14:17], v30 offset:2064
	ds_read_b128 v[18:21], v30 offset:4096
	ds_read_b128 v[22:25], v30 offset:4112
	ds_read_b128 v[26:29], v30 offset:6144
	ds_read_b128 v[30:33], v30 offset:6160
	v_mov_b32_e32 v35, 0x80
	v_mov_b32_e32 v43, 0x140
	s_mov_b64 s[14:15], -1
	s_waitcnt lgkmcnt(0)
	s_mov_b32 s7, s6
	s_mov_b32 s12, s6
	;; [unrolled: 1-line block ×3, first 2 shown]
	s_movk_i32 s9, 0x80
	s_movk_i32 s24, 0x7f
	s_mov_b32 s25, 0xffffff
	s_mov_b32 s26, 0x5040100
	v_bfrev_b32_e32 v45, 60
	s_branch .LBB958_213
.LBB958_210:                            ;   in Loop: Header=BB958_213 Depth=1
	s_or_b64 exec, exec, s[20:21]
.LBB958_211:                            ;   in Loop: Header=BB958_213 Depth=1
	s_or_b64 exec, exec, s[18:19]
.LBB958_212:                            ;   in Loop: Header=BB958_213 Depth=1
	s_or_b64 exec, exec, s[16:17]
	v_perm_b32 v47, v48, v47, s26
	v_perm_b32 v46, v44, v46, s26
	s_xor_b64 s[16:17], s[14:15], -1
	s_mov_b64 s[14:15], 0
	v_mov_b32_e32 v59, v54
	v_mfma_f32_16x16x16bf16_1k v[60:63], v[46:47], v[30:31], v[34:37]
	s_and_b64 vcc, exec, s[16:17]
	s_nop 5
	v_perm_b32 v37, v58, v57, s26
	v_perm_b32 v36, v42, v49, s26
	v_mov_b32_e32 v35, v53
	v_mov_b32_e32 v58, v55
	v_mfma_f32_16x16x16bf16_1k v[46:49], v[36:37], v[32:33], v[60:63]
	v_mov_b32_e32 v57, v56
	s_nop 7
	s_nop 1
	v_pk_mul_f32 v[46:47], v[46:47], s[6:7]
	v_pk_mul_f32 v[36:37], v[48:49], s[12:13]
	v_bfe_u32 v34, v47, 16, 1
	v_bfe_u32 v38, v46, 16, 1
	;; [unrolled: 1-line block ×4, first 2 shown]
	v_add3_u32 v38, v46, v38, s22
	v_add3_u32 v34, v47, v34, s22
	;; [unrolled: 1-line block ×4, first 2 shown]
	v_perm_b32 v34, v34, v38, s23
	v_perm_b32 v36, v37, v36, s23
	buffer_store_dword v34, v43, s[0:3], 0 offen
	buffer_store_dword v36, v43, s[0:3], 0 offen offset:4
	v_mov_b32_e32 v43, 0x148
	s_cbranch_vccnz .LBB958_595
.LBB958_213:                            ; =>This Inner Loop Header: Depth=1
	buffer_load_dword v36, v35, s[0:3], 0 offen
	buffer_load_dword v34, v35, s[0:3], 0 offen offset:4
	buffer_load_dword v40, v35, s[0:3], 0 offen offset:8
	;; [unrolled: 1-line block ×3, first 2 shown]
	v_mov_b32_e32 v35, 0
	v_mov_b32_e32 v37, 0
	s_waitcnt vmcnt(3)
	v_cmp_ne_u16_sdwa s[18:19], v36, v39 src0_sel:BYTE_0 src1_sel:DWORD
	s_and_saveexec_b64 s[16:17], s[18:19]
	s_cbranch_execz .LBB958_219
; %bb.214:                              ;   in Loop: Header=BB958_213 Depth=1
	v_cmp_ne_u16_sdwa s[20:21], v36, s9 src0_sel:BYTE_0 src1_sel:DWORD
	v_mov_b32_e32 v37, 0xffff8000
	s_and_saveexec_b64 s[18:19], s[20:21]
	s_cbranch_execz .LBB958_218
; %bb.215:                              ;   in Loop: Header=BB958_213 Depth=1
	v_and_b32_e32 v42, 0x7f, v36
	v_cmp_ne_u32_e32 vcc, s24, v42
	v_mov_b32_e32 v37, 0x7f80
	s_and_saveexec_b64 s[20:21], vcc
	s_cbranch_execz .LBB958_217
; %bb.216:                              ;   in Loop: Header=BB958_213 Depth=1
	v_and_b32_e32 v37, 7, v36
	v_ffbh_u32_e32 v46, v37
	v_min_u32_e32 v48, 32, v46
	v_subrev_u32_e32 v46, 28, v48
	v_lshlrev_b64 v[46:47], v46, v[36:37]
	v_lshrrev_b32_e32 v44, 3, v42
	v_sub_u32_e32 v47, 29, v48
	v_and_b32_e32 v46, 7, v46
	v_cmp_gt_u32_e32 vcc, 8, v42
	v_cndmask_b32_e32 v42, v44, v47, vcc
	v_cndmask_b32_e32 v37, v37, v46, vcc
	v_lshlrev_b32_e32 v44, 24, v36
	v_lshlrev_b32_e32 v37, 20, v37
	v_and_b32_e32 v44, 0x80000000, v44
	v_lshl_add_u32 v42, v42, 23, v45
	v_or3_b32 v37, v44, v42, v37
	v_lshrrev_b32_e32 v37, 16, v37
.LBB958_217:                            ;   in Loop: Header=BB958_213 Depth=1
	s_or_b64 exec, exec, s[20:21]
.LBB958_218:                            ;   in Loop: Header=BB958_213 Depth=1
	s_or_b64 exec, exec, s[18:19]
.LBB958_219:                            ;   in Loop: Header=BB958_213 Depth=1
	s_or_b64 exec, exec, s[16:17]
	v_lshrrev_b16_e32 v42, 8, v36
	v_cmp_ne_u16_e32 vcc, 0, v42
	s_and_saveexec_b64 s[16:17], vcc
	s_cbranch_execz .LBB958_225
; %bb.220:                              ;   in Loop: Header=BB958_213 Depth=1
	v_cmp_ne_u16_e32 vcc, s9, v42
	v_mov_b32_e32 v35, 0xffff8000
	s_and_saveexec_b64 s[18:19], vcc
	s_cbranch_execz .LBB958_224
; %bb.221:                              ;   in Loop: Header=BB958_213 Depth=1
	v_and_b32_e32 v44, 0x7f, v42
	v_cmp_ne_u32_e32 vcc, s24, v44
	v_mov_b32_e32 v35, 0x7f80
	s_and_saveexec_b64 s[20:21], vcc
	s_cbranch_execz .LBB958_223
; %bb.222:                              ;   in Loop: Header=BB958_213 Depth=1
	v_and_b32_e32 v35, 7, v42
	v_ffbh_u32_e32 v46, v35
	v_min_u32_e32 v49, 32, v46
	v_subrev_u32_e32 v46, 28, v49
	v_lshlrev_b64 v[46:47], v46, v[42:43]
	v_lshrrev_b32_e32 v48, 3, v44
	v_sub_u32_e32 v42, 29, v49
	v_and_b32_e32 v46, 7, v46
	v_cmp_gt_u32_e32 vcc, 8, v44
	v_cndmask_b32_e32 v42, v48, v42, vcc
	v_cndmask_b32_e32 v35, v35, v46, vcc
	v_lshlrev_b32_e32 v44, 16, v36
	v_lshlrev_b32_e32 v35, 20, v35
	v_and_b32_e32 v44, 0x80000000, v44
	v_lshl_add_u32 v42, v42, 23, v45
	v_or3_b32 v35, v44, v42, v35
	v_lshrrev_b32_e32 v35, 16, v35
.LBB958_223:                            ;   in Loop: Header=BB958_213 Depth=1
	s_or_b64 exec, exec, s[20:21]
.LBB958_224:                            ;   in Loop: Header=BB958_213 Depth=1
	s_or_b64 exec, exec, s[18:19]
.LBB958_225:                            ;   in Loop: Header=BB958_213 Depth=1
	s_or_b64 exec, exec, s[16:17]
	v_lshrrev_b32_e32 v42, 16, v36
	v_cmp_ne_u16_sdwa s[18:19], v42, v39 src0_sel:BYTE_0 src1_sel:DWORD
	v_mov_b32_e32 v46, 0
	v_mov_b32_e32 v44, 0
	s_and_saveexec_b64 s[16:17], s[18:19]
	s_cbranch_execz .LBB958_231
; %bb.226:                              ;   in Loop: Header=BB958_213 Depth=1
	v_cmp_ne_u16_sdwa s[20:21], v42, s9 src0_sel:BYTE_0 src1_sel:DWORD
	v_mov_b32_e32 v44, 0xffff8000
	s_and_saveexec_b64 s[18:19], s[20:21]
	s_cbranch_execz .LBB958_230
; %bb.227:                              ;   in Loop: Header=BB958_213 Depth=1
	v_bfe_u32 v47, v36, 16, 7
	v_cmp_ne_u32_e32 vcc, s24, v47
	v_mov_b32_e32 v44, 0x7f80
	s_and_saveexec_b64 s[20:21], vcc
	s_cbranch_execz .LBB958_229
; %bb.228:                              ;   in Loop: Header=BB958_213 Depth=1
	v_and_b32_e32 v44, 7, v42
	v_ffbh_u32_e32 v48, v44
	v_min_u32_e32 v61, 32, v48
	v_subrev_u32_e32 v48, 28, v61
	v_lshlrev_b64 v[48:49], v48, v[42:43]
	v_lshrrev_b32_e32 v60, 3, v47
	v_sub_u32_e32 v49, 29, v61
	v_and_b32_e32 v48, 7, v48
	v_cmp_gt_u32_e32 vcc, 8, v47
	v_cndmask_b32_e32 v47, v60, v49, vcc
	v_cndmask_b32_e32 v44, v44, v48, vcc
	v_lshlrev_b32_e32 v42, 24, v42
	v_lshlrev_b32_e32 v44, 20, v44
	v_and_b32_e32 v42, 0x80000000, v42
	v_lshl_add_u32 v47, v47, 23, v45
	v_or3_b32 v42, v42, v47, v44
	v_lshrrev_b32_e32 v44, 16, v42
.LBB958_229:                            ;   in Loop: Header=BB958_213 Depth=1
	s_or_b64 exec, exec, s[20:21]
.LBB958_230:                            ;   in Loop: Header=BB958_213 Depth=1
	s_or_b64 exec, exec, s[18:19]
.LBB958_231:                            ;   in Loop: Header=BB958_213 Depth=1
	s_or_b64 exec, exec, s[16:17]
	v_cmp_lt_u32_e32 vcc, s25, v36
	s_and_saveexec_b64 s[16:17], vcc
	s_cbranch_execz .LBB958_237
; %bb.232:                              ;   in Loop: Header=BB958_213 Depth=1
	v_lshrrev_b32_e32 v42, 24, v36
	v_cmp_ne_u32_e32 vcc, s9, v42
	v_mov_b32_e32 v46, 0xffff8000
	s_and_saveexec_b64 s[18:19], vcc
	s_cbranch_execz .LBB958_236
; %bb.233:                              ;   in Loop: Header=BB958_213 Depth=1
	v_bfe_u32 v36, v36, 24, 7
	v_cmp_ne_u32_e32 vcc, s24, v36
	v_mov_b32_e32 v46, 0x7f80
	s_and_saveexec_b64 s[20:21], vcc
	s_cbranch_execz .LBB958_235
; %bb.234:                              ;   in Loop: Header=BB958_213 Depth=1
	v_and_b32_e32 v48, 7, v42
	v_ffbh_u32_e32 v46, v48
	v_min_u32_e32 v60, 32, v46
	v_subrev_u32_e32 v46, 28, v60
	v_lshlrev_b64 v[46:47], v46, v[42:43]
	v_lshrrev_b32_e32 v49, 3, v36
	v_sub_u32_e32 v47, 29, v60
	v_and_b32_e32 v46, 7, v46
	v_cmp_gt_u32_e32 vcc, 8, v36
	v_cndmask_b32_e32 v36, v49, v47, vcc
	v_cndmask_b32_e32 v46, v48, v46, vcc
	v_lshlrev_b32_e32 v42, 24, v42
	v_lshlrev_b32_e32 v46, 20, v46
	v_and_b32_e32 v42, 0x80000000, v42
	v_lshl_add_u32 v36, v36, 23, v45
	v_or3_b32 v36, v42, v36, v46
	v_lshrrev_b32_e32 v46, 16, v36
.LBB958_235:                            ;   in Loop: Header=BB958_213 Depth=1
	s_or_b64 exec, exec, s[20:21]
.LBB958_236:                            ;   in Loop: Header=BB958_213 Depth=1
	s_or_b64 exec, exec, s[18:19]
.LBB958_237:                            ;   in Loop: Header=BB958_213 Depth=1
	s_or_b64 exec, exec, s[16:17]
	s_waitcnt vmcnt(2)
	v_cmp_ne_u16_sdwa s[18:19], v34, v39 src0_sel:BYTE_0 src1_sel:DWORD
	v_mov_b32_e32 v42, 0
	v_mov_b32_e32 v47, 0
	s_and_saveexec_b64 s[16:17], s[18:19]
	s_cbranch_execz .LBB958_243
; %bb.238:                              ;   in Loop: Header=BB958_213 Depth=1
	v_cmp_ne_u16_sdwa s[20:21], v34, s9 src0_sel:BYTE_0 src1_sel:DWORD
	v_mov_b32_e32 v47, 0xffff8000
	s_and_saveexec_b64 s[18:19], s[20:21]
	s_cbranch_execz .LBB958_242
; %bb.239:                              ;   in Loop: Header=BB958_213 Depth=1
	v_and_b32_e32 v36, 0x7f, v34
	v_cmp_ne_u32_e32 vcc, s24, v36
	v_mov_b32_e32 v47, 0x7f80
	s_and_saveexec_b64 s[20:21], vcc
	s_cbranch_execz .LBB958_241
; %bb.240:                              ;   in Loop: Header=BB958_213 Depth=1
	v_and_b32_e32 v47, 7, v34
	v_ffbh_u32_e32 v48, v47
	v_min_u32_e32 v61, 32, v48
	v_subrev_u32_e32 v48, 28, v61
	v_lshlrev_b64 v[48:49], v48, v[34:35]
	v_lshrrev_b32_e32 v60, 3, v36
	v_sub_u32_e32 v49, 29, v61
	v_and_b32_e32 v48, 7, v48
	v_cmp_gt_u32_e32 vcc, 8, v36
	v_cndmask_b32_e32 v36, v60, v49, vcc
	v_cndmask_b32_e32 v47, v47, v48, vcc
	v_lshlrev_b32_e32 v48, 24, v34
	v_lshlrev_b32_e32 v47, 20, v47
	v_and_b32_e32 v48, 0x80000000, v48
	v_lshl_add_u32 v36, v36, 23, v45
	v_or3_b32 v36, v48, v36, v47
	v_lshrrev_b32_e32 v47, 16, v36
.LBB958_241:                            ;   in Loop: Header=BB958_213 Depth=1
	s_or_b64 exec, exec, s[20:21]
.LBB958_242:                            ;   in Loop: Header=BB958_213 Depth=1
	s_or_b64 exec, exec, s[18:19]
.LBB958_243:                            ;   in Loop: Header=BB958_213 Depth=1
	s_or_b64 exec, exec, s[16:17]
	v_lshrrev_b16_e32 v36, 8, v34
	v_cmp_ne_u16_e32 vcc, 0, v36
	s_and_saveexec_b64 s[16:17], vcc
	s_cbranch_execz .LBB958_249
; %bb.244:                              ;   in Loop: Header=BB958_213 Depth=1
	v_cmp_ne_u16_e32 vcc, s9, v36
	v_mov_b32_e32 v42, 0xffff8000
	s_and_saveexec_b64 s[18:19], vcc
	s_cbranch_execz .LBB958_248
; %bb.245:                              ;   in Loop: Header=BB958_213 Depth=1
	v_and_b32_e32 v48, 0x7f, v36
	v_cmp_ne_u32_e32 vcc, s24, v48
	v_mov_b32_e32 v42, 0x7f80
	s_and_saveexec_b64 s[20:21], vcc
	s_cbranch_execz .LBB958_247
; %bb.246:                              ;   in Loop: Header=BB958_213 Depth=1
	v_and_b32_e32 v42, 7, v36
	v_ffbh_u32_e32 v60, v42
	v_min_u32_e32 v62, 32, v60
	v_subrev_u32_e32 v60, 28, v62
	v_lshlrev_b64 v[60:61], v60, v[36:37]
	v_lshrrev_b32_e32 v49, 3, v48
	v_sub_u32_e32 v36, 29, v62
	v_and_b32_e32 v60, 7, v60
	v_cmp_gt_u32_e32 vcc, 8, v48
	v_cndmask_b32_e32 v36, v49, v36, vcc
	v_cndmask_b32_e32 v42, v42, v60, vcc
	v_lshlrev_b32_e32 v48, 16, v34
	v_lshlrev_b32_e32 v42, 20, v42
	v_and_b32_e32 v48, 0x80000000, v48
	v_lshl_add_u32 v36, v36, 23, v45
	v_or3_b32 v36, v48, v36, v42
	v_lshrrev_b32_e32 v42, 16, v36
.LBB958_247:                            ;   in Loop: Header=BB958_213 Depth=1
	s_or_b64 exec, exec, s[20:21]
.LBB958_248:                            ;   in Loop: Header=BB958_213 Depth=1
	s_or_b64 exec, exec, s[18:19]
.LBB958_249:                            ;   in Loop: Header=BB958_213 Depth=1
	s_or_b64 exec, exec, s[16:17]
	v_lshrrev_b32_e32 v36, 16, v34
	v_cmp_ne_u16_sdwa s[18:19], v36, v39 src0_sel:BYTE_0 src1_sel:DWORD
	v_mov_b32_e32 v49, 0
	v_mov_b32_e32 v48, 0
	s_and_saveexec_b64 s[16:17], s[18:19]
	s_cbranch_execz .LBB958_255
; %bb.250:                              ;   in Loop: Header=BB958_213 Depth=1
	v_cmp_ne_u16_sdwa s[20:21], v36, s9 src0_sel:BYTE_0 src1_sel:DWORD
	v_mov_b32_e32 v48, 0xffff8000
	s_and_saveexec_b64 s[18:19], s[20:21]
	s_cbranch_execz .LBB958_254
; %bb.251:                              ;   in Loop: Header=BB958_213 Depth=1
	v_bfe_u32 v60, v34, 16, 7
	v_cmp_ne_u32_e32 vcc, s24, v60
	v_mov_b32_e32 v48, 0x7f80
	s_and_saveexec_b64 s[20:21], vcc
	s_cbranch_execz .LBB958_253
; %bb.252:                              ;   in Loop: Header=BB958_213 Depth=1
	v_and_b32_e32 v48, 7, v36
	v_ffbh_u32_e32 v62, v48
	v_min_u32_e32 v64, 32, v62
	v_subrev_u32_e32 v62, 28, v64
	v_lshlrev_b64 v[62:63], v62, v[36:37]
	v_lshrrev_b32_e32 v61, 3, v60
	v_sub_u32_e32 v63, 29, v64
	v_and_b32_e32 v62, 7, v62
	v_cmp_gt_u32_e32 vcc, 8, v60
	v_cndmask_b32_e32 v60, v61, v63, vcc
	v_cndmask_b32_e32 v48, v48, v62, vcc
	v_lshlrev_b32_e32 v36, 24, v36
	v_lshlrev_b32_e32 v48, 20, v48
	v_and_b32_e32 v36, 0x80000000, v36
	v_lshl_add_u32 v60, v60, 23, v45
	v_or3_b32 v36, v36, v60, v48
	v_lshrrev_b32_e32 v48, 16, v36
.LBB958_253:                            ;   in Loop: Header=BB958_213 Depth=1
	s_or_b64 exec, exec, s[20:21]
.LBB958_254:                            ;   in Loop: Header=BB958_213 Depth=1
	s_or_b64 exec, exec, s[18:19]
.LBB958_255:                            ;   in Loop: Header=BB958_213 Depth=1
	s_or_b64 exec, exec, s[16:17]
	v_cmp_lt_u32_e32 vcc, s25, v34
	s_and_saveexec_b64 s[16:17], vcc
	s_cbranch_execz .LBB958_261
; %bb.256:                              ;   in Loop: Header=BB958_213 Depth=1
	v_lshrrev_b32_e32 v36, 24, v34
	v_cmp_ne_u32_e32 vcc, s9, v36
	v_mov_b32_e32 v49, 0xffff8000
	s_and_saveexec_b64 s[18:19], vcc
	s_cbranch_execz .LBB958_260
; %bb.257:                              ;   in Loop: Header=BB958_213 Depth=1
	v_bfe_u32 v34, v34, 24, 7
	v_cmp_ne_u32_e32 vcc, s24, v34
	v_mov_b32_e32 v49, 0x7f80
	s_and_saveexec_b64 s[20:21], vcc
	s_cbranch_execz .LBB958_259
; %bb.258:                              ;   in Loop: Header=BB958_213 Depth=1
	v_and_b32_e32 v49, 7, v36
	v_ffbh_u32_e32 v60, v49
	v_min_u32_e32 v63, 32, v60
	v_subrev_u32_e32 v60, 28, v63
	v_lshlrev_b64 v[60:61], v60, v[36:37]
	v_lshrrev_b32_e32 v62, 3, v34
	v_sub_u32_e32 v61, 29, v63
	v_and_b32_e32 v60, 7, v60
	v_cmp_gt_u32_e32 vcc, 8, v34
	v_cndmask_b32_e32 v34, v62, v61, vcc
	v_cndmask_b32_e32 v49, v49, v60, vcc
	v_lshlrev_b32_e32 v36, 24, v36
	v_lshlrev_b32_e32 v49, 20, v49
	v_and_b32_e32 v36, 0x80000000, v36
	v_lshl_add_u32 v34, v34, 23, v45
	v_or3_b32 v34, v36, v34, v49
	v_lshrrev_b32_e32 v49, 16, v34
.LBB958_259:                            ;   in Loop: Header=BB958_213 Depth=1
	s_or_b64 exec, exec, s[20:21]
.LBB958_260:                            ;   in Loop: Header=BB958_213 Depth=1
	s_or_b64 exec, exec, s[18:19]
.LBB958_261:                            ;   in Loop: Header=BB958_213 Depth=1
	s_or_b64 exec, exec, s[16:17]
	v_perm_b32 v61, v46, v44, s26
	v_perm_b32 v60, v35, v37, s26
	;; [unrolled: 1-line block ×4, first 2 shown]
	s_waitcnt vmcnt(1)
	v_cmp_ne_u16_sdwa s[18:19], v40, v39 src0_sel:BYTE_0 src1_sel:DWORD
	v_mfma_f32_16x16x16bf16_1k v[34:37], v[60:61], v[2:3], 0
	v_mov_b32_e32 v44, 0
	v_mov_b32_e32 v46, 0
	v_mfma_f32_16x16x16bf16_1k v[34:37], v[48:49], v[4:5], v[34:37]
	s_and_saveexec_b64 s[16:17], s[18:19]
	s_cbranch_execz .LBB958_267
; %bb.262:                              ;   in Loop: Header=BB958_213 Depth=1
	v_cmp_ne_u16_sdwa s[20:21], v40, s9 src0_sel:BYTE_0 src1_sel:DWORD
	v_mov_b32_e32 v46, 0xffff8000
	s_and_saveexec_b64 s[18:19], s[20:21]
	s_cbranch_execz .LBB958_266
; %bb.263:                              ;   in Loop: Header=BB958_213 Depth=1
	v_and_b32_e32 v42, 0x7f, v40
	v_cmp_ne_u32_e32 vcc, s24, v42
	v_mov_b32_e32 v46, 0x7f80
	s_and_saveexec_b64 s[20:21], vcc
	s_cbranch_execz .LBB958_265
; %bb.264:                              ;   in Loop: Header=BB958_213 Depth=1
	v_and_b32_e32 v48, 7, v40
	v_ffbh_u32_e32 v46, v48
	v_min_u32_e32 v60, 32, v46
	v_subrev_u32_e32 v46, 28, v60
	v_lshlrev_b64 v[46:47], v46, v[40:41]
	v_lshrrev_b32_e32 v49, 3, v42
	v_sub_u32_e32 v47, 29, v60
	v_and_b32_e32 v46, 7, v46
	v_cmp_gt_u32_e32 vcc, 8, v42
	v_cndmask_b32_e32 v42, v49, v47, vcc
	v_cndmask_b32_e32 v46, v48, v46, vcc
	v_lshlrev_b32_e32 v47, 24, v40
	v_lshlrev_b32_e32 v46, 20, v46
	v_and_b32_e32 v47, 0x80000000, v47
	v_lshl_add_u32 v42, v42, 23, v45
	v_or3_b32 v42, v47, v42, v46
	v_lshrrev_b32_e32 v46, 16, v42
.LBB958_265:                            ;   in Loop: Header=BB958_213 Depth=1
	s_or_b64 exec, exec, s[20:21]
.LBB958_266:                            ;   in Loop: Header=BB958_213 Depth=1
	s_or_b64 exec, exec, s[18:19]
.LBB958_267:                            ;   in Loop: Header=BB958_213 Depth=1
	s_or_b64 exec, exec, s[16:17]
	v_lshrrev_b16_e32 v42, 8, v40
	v_cmp_ne_u16_e32 vcc, 0, v42
	s_and_saveexec_b64 s[16:17], vcc
	s_cbranch_execz .LBB958_273
; %bb.268:                              ;   in Loop: Header=BB958_213 Depth=1
	v_cmp_ne_u16_e32 vcc, s9, v42
	v_mov_b32_e32 v44, 0xffff8000
	s_and_saveexec_b64 s[18:19], vcc
	s_cbranch_execz .LBB958_272
; %bb.269:                              ;   in Loop: Header=BB958_213 Depth=1
	v_and_b32_e32 v47, 0x7f, v42
	v_cmp_ne_u32_e32 vcc, s24, v47
	v_mov_b32_e32 v44, 0x7f80
	s_and_saveexec_b64 s[20:21], vcc
	s_cbranch_execz .LBB958_271
; %bb.270:                              ;   in Loop: Header=BB958_213 Depth=1
	v_and_b32_e32 v44, 7, v42
	v_ffbh_u32_e32 v48, v44
	v_min_u32_e32 v61, 32, v48
	v_subrev_u32_e32 v48, 28, v61
	v_lshlrev_b64 v[48:49], v48, v[42:43]
	v_lshrrev_b32_e32 v60, 3, v47
	v_sub_u32_e32 v42, 29, v61
	v_and_b32_e32 v48, 7, v48
	v_cmp_gt_u32_e32 vcc, 8, v47
	v_cndmask_b32_e32 v42, v60, v42, vcc
	v_cndmask_b32_e32 v44, v44, v48, vcc
	v_lshlrev_b32_e32 v47, 16, v40
	v_lshlrev_b32_e32 v44, 20, v44
	v_and_b32_e32 v47, 0x80000000, v47
	v_lshl_add_u32 v42, v42, 23, v45
	v_or3_b32 v42, v47, v42, v44
	v_lshrrev_b32_e32 v44, 16, v42
.LBB958_271:                            ;   in Loop: Header=BB958_213 Depth=1
	s_or_b64 exec, exec, s[20:21]
.LBB958_272:                            ;   in Loop: Header=BB958_213 Depth=1
	s_or_b64 exec, exec, s[18:19]
.LBB958_273:                            ;   in Loop: Header=BB958_213 Depth=1
	s_or_b64 exec, exec, s[16:17]
	v_lshrrev_b32_e32 v42, 16, v40
	v_cmp_ne_u16_sdwa s[18:19], v42, v39 src0_sel:BYTE_0 src1_sel:DWORD
	v_mov_b32_e32 v48, 0
	v_mov_b32_e32 v47, 0
	s_and_saveexec_b64 s[16:17], s[18:19]
	s_cbranch_execz .LBB958_279
; %bb.274:                              ;   in Loop: Header=BB958_213 Depth=1
	v_cmp_ne_u16_sdwa s[20:21], v42, s9 src0_sel:BYTE_0 src1_sel:DWORD
	v_mov_b32_e32 v47, 0xffff8000
	s_and_saveexec_b64 s[18:19], s[20:21]
	s_cbranch_execz .LBB958_278
; %bb.275:                              ;   in Loop: Header=BB958_213 Depth=1
	v_bfe_u32 v49, v40, 16, 7
	v_cmp_ne_u32_e32 vcc, s24, v49
	v_mov_b32_e32 v47, 0x7f80
	s_and_saveexec_b64 s[20:21], vcc
	s_cbranch_execz .LBB958_277
; %bb.276:                              ;   in Loop: Header=BB958_213 Depth=1
	v_and_b32_e32 v47, 7, v42
	v_ffbh_u32_e32 v60, v47
	v_min_u32_e32 v63, 32, v60
	v_subrev_u32_e32 v60, 28, v63
	v_lshlrev_b64 v[60:61], v60, v[42:43]
	v_lshrrev_b32_e32 v62, 3, v49
	v_sub_u32_e32 v61, 29, v63
	v_and_b32_e32 v60, 7, v60
	v_cmp_gt_u32_e32 vcc, 8, v49
	v_cndmask_b32_e32 v49, v62, v61, vcc
	v_cndmask_b32_e32 v47, v47, v60, vcc
	v_lshlrev_b32_e32 v42, 24, v42
	v_lshlrev_b32_e32 v47, 20, v47
	v_and_b32_e32 v42, 0x80000000, v42
	v_lshl_add_u32 v49, v49, 23, v45
	v_or3_b32 v42, v42, v49, v47
	v_lshrrev_b32_e32 v47, 16, v42
.LBB958_277:                            ;   in Loop: Header=BB958_213 Depth=1
	s_or_b64 exec, exec, s[20:21]
.LBB958_278:                            ;   in Loop: Header=BB958_213 Depth=1
	s_or_b64 exec, exec, s[18:19]
.LBB958_279:                            ;   in Loop: Header=BB958_213 Depth=1
	s_or_b64 exec, exec, s[16:17]
	v_cmp_lt_u32_e32 vcc, s25, v40
	s_and_saveexec_b64 s[16:17], vcc
	s_cbranch_execz .LBB958_285
; %bb.280:                              ;   in Loop: Header=BB958_213 Depth=1
	v_lshrrev_b32_e32 v42, 24, v40
	v_cmp_ne_u32_e32 vcc, s9, v42
	v_mov_b32_e32 v48, 0xffff8000
	s_and_saveexec_b64 s[18:19], vcc
	s_cbranch_execz .LBB958_284
; %bb.281:                              ;   in Loop: Header=BB958_213 Depth=1
	v_bfe_u32 v40, v40, 24, 7
	v_cmp_ne_u32_e32 vcc, s24, v40
	v_mov_b32_e32 v48, 0x7f80
	s_and_saveexec_b64 s[20:21], vcc
	s_cbranch_execz .LBB958_283
; %bb.282:                              ;   in Loop: Header=BB958_213 Depth=1
	v_and_b32_e32 v60, 7, v42
	v_ffbh_u32_e32 v48, v60
	v_min_u32_e32 v62, 32, v48
	v_subrev_u32_e32 v48, 28, v62
	v_lshlrev_b64 v[48:49], v48, v[42:43]
	v_lshrrev_b32_e32 v61, 3, v40
	v_sub_u32_e32 v49, 29, v62
	v_and_b32_e32 v48, 7, v48
	v_cmp_gt_u32_e32 vcc, 8, v40
	v_cndmask_b32_e32 v40, v61, v49, vcc
	v_cndmask_b32_e32 v48, v60, v48, vcc
	v_lshlrev_b32_e32 v42, 24, v42
	v_lshlrev_b32_e32 v48, 20, v48
	v_and_b32_e32 v42, 0x80000000, v42
	v_lshl_add_u32 v40, v40, 23, v45
	v_or3_b32 v40, v42, v40, v48
	v_lshrrev_b32_e32 v48, 16, v40
.LBB958_283:                            ;   in Loop: Header=BB958_213 Depth=1
	s_or_b64 exec, exec, s[20:21]
.LBB958_284:                            ;   in Loop: Header=BB958_213 Depth=1
	s_or_b64 exec, exec, s[18:19]
.LBB958_285:                            ;   in Loop: Header=BB958_213 Depth=1
	s_or_b64 exec, exec, s[16:17]
	s_waitcnt vmcnt(0)
	v_cmp_ne_u16_sdwa s[18:19], v38, v39 src0_sel:BYTE_0 src1_sel:DWORD
	v_mov_b32_e32 v49, 0
	v_mov_b32_e32 v60, 0
	s_and_saveexec_b64 s[16:17], s[18:19]
	s_cbranch_execz .LBB958_291
; %bb.286:                              ;   in Loop: Header=BB958_213 Depth=1
	v_cmp_ne_u16_sdwa s[20:21], v38, s9 src0_sel:BYTE_0 src1_sel:DWORD
	v_mov_b32_e32 v60, 0xffff8000
	s_and_saveexec_b64 s[18:19], s[20:21]
	s_cbranch_execz .LBB958_290
; %bb.287:                              ;   in Loop: Header=BB958_213 Depth=1
	v_and_b32_e32 v40, 0x7f, v38
	v_cmp_ne_u32_e32 vcc, s24, v40
	v_mov_b32_e32 v60, 0x7f80
	s_and_saveexec_b64 s[20:21], vcc
	s_cbranch_execz .LBB958_289
; %bb.288:                              ;   in Loop: Header=BB958_213 Depth=1
	v_and_b32_e32 v42, 7, v38
	v_ffbh_u32_e32 v60, v42
	v_min_u32_e32 v63, 32, v60
	v_subrev_u32_e32 v60, 28, v63
	v_lshlrev_b64 v[60:61], v60, v[38:39]
	v_lshrrev_b32_e32 v62, 3, v40
	v_sub_u32_e32 v61, 29, v63
	v_and_b32_e32 v60, 7, v60
	v_cmp_gt_u32_e32 vcc, 8, v40
	v_cndmask_b32_e32 v40, v62, v61, vcc
	v_cndmask_b32_e32 v42, v42, v60, vcc
	v_lshlrev_b32_e32 v60, 24, v38
	v_lshlrev_b32_e32 v42, 20, v42
	v_and_b32_e32 v60, 0x80000000, v60
	v_lshl_add_u32 v40, v40, 23, v45
	v_or3_b32 v40, v60, v40, v42
	v_lshrrev_b32_e32 v60, 16, v40
.LBB958_289:                            ;   in Loop: Header=BB958_213 Depth=1
	s_or_b64 exec, exec, s[20:21]
.LBB958_290:                            ;   in Loop: Header=BB958_213 Depth=1
	s_or_b64 exec, exec, s[18:19]
.LBB958_291:                            ;   in Loop: Header=BB958_213 Depth=1
	s_or_b64 exec, exec, s[16:17]
	v_lshrrev_b16_e32 v40, 8, v38
	v_cmp_ne_u16_e32 vcc, 0, v40
	s_and_saveexec_b64 s[16:17], vcc
	s_cbranch_execz .LBB958_297
; %bb.292:                              ;   in Loop: Header=BB958_213 Depth=1
	v_cmp_ne_u16_e32 vcc, s9, v40
	v_mov_b32_e32 v49, 0xffff8000
	s_and_saveexec_b64 s[18:19], vcc
	s_cbranch_execz .LBB958_296
; %bb.293:                              ;   in Loop: Header=BB958_213 Depth=1
	v_and_b32_e32 v42, 0x7f, v40
	v_cmp_ne_u32_e32 vcc, s24, v42
	v_mov_b32_e32 v49, 0x7f80
	s_and_saveexec_b64 s[20:21], vcc
	s_cbranch_execz .LBB958_295
; %bb.294:                              ;   in Loop: Header=BB958_213 Depth=1
	v_and_b32_e32 v49, 7, v40
	v_ffbh_u32_e32 v62, v49
	v_min_u32_e32 v64, 32, v62
	v_subrev_u32_e32 v62, 28, v64
	v_lshlrev_b64 v[62:63], v62, v[40:41]
	v_lshrrev_b32_e32 v61, 3, v42
	v_sub_u32_e32 v40, 29, v64
	v_and_b32_e32 v62, 7, v62
	v_cmp_gt_u32_e32 vcc, 8, v42
	v_cndmask_b32_e32 v40, v61, v40, vcc
	v_cndmask_b32_e32 v42, v49, v62, vcc
	v_lshlrev_b32_e32 v49, 16, v38
	v_lshlrev_b32_e32 v42, 20, v42
	v_and_b32_e32 v49, 0x80000000, v49
	v_lshl_add_u32 v40, v40, 23, v45
	v_or3_b32 v40, v49, v40, v42
	v_lshrrev_b32_e32 v49, 16, v40
.LBB958_295:                            ;   in Loop: Header=BB958_213 Depth=1
	s_or_b64 exec, exec, s[20:21]
.LBB958_296:                            ;   in Loop: Header=BB958_213 Depth=1
	s_or_b64 exec, exec, s[18:19]
.LBB958_297:                            ;   in Loop: Header=BB958_213 Depth=1
	s_or_b64 exec, exec, s[16:17]
	v_lshrrev_b32_e32 v40, 16, v38
	v_cmp_ne_u16_sdwa s[18:19], v40, v39 src0_sel:BYTE_0 src1_sel:DWORD
	v_mov_b32_e32 v62, 0
	v_mov_b32_e32 v61, 0
	s_and_saveexec_b64 s[16:17], s[18:19]
	s_cbranch_execz .LBB958_303
; %bb.298:                              ;   in Loop: Header=BB958_213 Depth=1
	v_cmp_ne_u16_sdwa s[20:21], v40, s9 src0_sel:BYTE_0 src1_sel:DWORD
	v_mov_b32_e32 v61, 0xffff8000
	s_and_saveexec_b64 s[18:19], s[20:21]
	s_cbranch_execz .LBB958_302
; %bb.299:                              ;   in Loop: Header=BB958_213 Depth=1
	v_bfe_u32 v42, v38, 16, 7
	v_cmp_ne_u32_e32 vcc, s24, v42
	v_mov_b32_e32 v61, 0x7f80
	s_and_saveexec_b64 s[20:21], vcc
	s_cbranch_execz .LBB958_301
; %bb.300:                              ;   in Loop: Header=BB958_213 Depth=1
	v_and_b32_e32 v61, 7, v40
	v_ffbh_u32_e32 v64, v61
	v_min_u32_e32 v66, 32, v64
	v_subrev_u32_e32 v64, 28, v66
	v_lshlrev_b64 v[64:65], v64, v[40:41]
	v_lshrrev_b32_e32 v63, 3, v42
	v_sub_u32_e32 v65, 29, v66
	v_and_b32_e32 v64, 7, v64
	v_cmp_gt_u32_e32 vcc, 8, v42
	v_cndmask_b32_e32 v42, v63, v65, vcc
	v_cndmask_b32_e32 v61, v61, v64, vcc
	v_lshlrev_b32_e32 v40, 24, v40
	v_lshlrev_b32_e32 v61, 20, v61
	v_and_b32_e32 v40, 0x80000000, v40
	v_lshl_add_u32 v42, v42, 23, v45
	v_or3_b32 v40, v40, v42, v61
	v_lshrrev_b32_e32 v61, 16, v40
.LBB958_301:                            ;   in Loop: Header=BB958_213 Depth=1
	s_or_b64 exec, exec, s[20:21]
.LBB958_302:                            ;   in Loop: Header=BB958_213 Depth=1
	s_or_b64 exec, exec, s[18:19]
.LBB958_303:                            ;   in Loop: Header=BB958_213 Depth=1
	s_or_b64 exec, exec, s[16:17]
	v_cmp_lt_u32_e32 vcc, s25, v38
	s_and_saveexec_b64 s[16:17], vcc
	s_cbranch_execz .LBB958_309
; %bb.304:                              ;   in Loop: Header=BB958_213 Depth=1
	v_lshrrev_b32_e32 v40, 24, v38
	v_cmp_ne_u32_e32 vcc, s9, v40
	v_mov_b32_e32 v62, 0xffff8000
	s_and_saveexec_b64 s[18:19], vcc
	s_cbranch_execz .LBB958_308
; %bb.305:                              ;   in Loop: Header=BB958_213 Depth=1
	v_bfe_u32 v38, v38, 24, 7
	v_cmp_ne_u32_e32 vcc, s24, v38
	v_mov_b32_e32 v62, 0x7f80
	s_and_saveexec_b64 s[20:21], vcc
	s_cbranch_execz .LBB958_307
; %bb.306:                              ;   in Loop: Header=BB958_213 Depth=1
	v_and_b32_e32 v42, 7, v40
	v_ffbh_u32_e32 v62, v42
	v_min_u32_e32 v65, 32, v62
	v_subrev_u32_e32 v62, 28, v65
	v_lshlrev_b64 v[62:63], v62, v[40:41]
	v_lshrrev_b32_e32 v64, 3, v38
	v_sub_u32_e32 v63, 29, v65
	v_and_b32_e32 v62, 7, v62
	v_cmp_gt_u32_e32 vcc, 8, v38
	v_cndmask_b32_e32 v38, v64, v63, vcc
	v_cndmask_b32_e32 v42, v42, v62, vcc
	v_lshlrev_b32_e32 v40, 24, v40
	v_lshlrev_b32_e32 v42, 20, v42
	v_and_b32_e32 v40, 0x80000000, v40
	v_lshl_add_u32 v38, v38, 23, v45
	v_or3_b32 v38, v40, v38, v42
	v_lshrrev_b32_e32 v62, 16, v38
.LBB958_307:                            ;   in Loop: Header=BB958_213 Depth=1
	s_or_b64 exec, exec, s[20:21]
.LBB958_308:                            ;   in Loop: Header=BB958_213 Depth=1
	s_or_b64 exec, exec, s[18:19]
.LBB958_309:                            ;   in Loop: Header=BB958_213 Depth=1
	s_or_b64 exec, exec, s[16:17]
	v_perm_b32 v46, v44, v46, s26
	buffer_load_dword v44, v59, s[0:3], 0 offen
	buffer_load_dword v42, v59, s[0:3], 0 offen offset:4
	buffer_load_dword v40, v59, s[0:3], 0 offen offset:8
	;; [unrolled: 1-line block ×3, first 2 shown]
	v_perm_b32 v47, v48, v47, s26
	v_mov_b32_e32 v48, 0
	s_waitcnt vmcnt(3)
	v_cmp_ne_u16_sdwa s[18:19], v44, v39 src0_sel:BYTE_0 src1_sel:DWORD
	v_mfma_f32_16x16x16bf16_1k v[34:37], v[46:47], v[6:7], v[34:37]
	v_perm_b32 v47, v62, v61, s26
	v_perm_b32 v46, v49, v60, s26
	s_nop 1
	v_mfma_f32_16x16x16bf16_1k v[34:37], v[46:47], v[8:9], v[34:37]
	v_mov_b32_e32 v47, 0
	s_and_saveexec_b64 s[16:17], s[18:19]
	s_cbranch_execz .LBB958_315
; %bb.310:                              ;   in Loop: Header=BB958_213 Depth=1
	v_cmp_ne_u16_sdwa s[20:21], v44, s9 src0_sel:BYTE_0 src1_sel:DWORD
	v_mov_b32_e32 v48, 0xffff8000
	s_and_saveexec_b64 s[18:19], s[20:21]
	s_cbranch_execz .LBB958_314
; %bb.311:                              ;   in Loop: Header=BB958_213 Depth=1
	v_and_b32_e32 v46, 0x7f, v44
	v_cmp_ne_u32_e32 vcc, s24, v46
	v_mov_b32_e32 v48, 0x7f80
	s_and_saveexec_b64 s[20:21], vcc
	s_cbranch_execz .LBB958_313
; %bb.312:                              ;   in Loop: Header=BB958_213 Depth=1
	v_and_b32_e32 v59, 7, v44
	v_ffbh_u32_e32 v48, v59
	v_min_u32_e32 v61, 32, v48
	v_subrev_u32_e32 v48, 28, v61
	v_lshlrev_b64 v[48:49], v48, v[44:45]
	v_lshrrev_b32_e32 v60, 3, v46
	v_sub_u32_e32 v49, 29, v61
	v_and_b32_e32 v48, 7, v48
	v_cmp_gt_u32_e32 vcc, 8, v46
	v_cndmask_b32_e32 v46, v60, v49, vcc
	v_cndmask_b32_e32 v48, v59, v48, vcc
	v_lshlrev_b32_e32 v49, 24, v44
	v_lshlrev_b32_e32 v48, 20, v48
	v_and_b32_e32 v49, 0x80000000, v49
	v_lshl_add_u32 v46, v46, 23, v45
	v_or3_b32 v46, v49, v46, v48
	v_lshrrev_b32_e32 v48, 16, v46
.LBB958_313:                            ;   in Loop: Header=BB958_213 Depth=1
	s_or_b64 exec, exec, s[20:21]
.LBB958_314:                            ;   in Loop: Header=BB958_213 Depth=1
	s_or_b64 exec, exec, s[18:19]
.LBB958_315:                            ;   in Loop: Header=BB958_213 Depth=1
	s_or_b64 exec, exec, s[16:17]
	v_lshrrev_b16_e32 v46, 8, v44
	v_cmp_ne_u16_e32 vcc, 0, v46
	s_and_saveexec_b64 s[16:17], vcc
	s_cbranch_execz .LBB958_321
; %bb.316:                              ;   in Loop: Header=BB958_213 Depth=1
	v_cmp_ne_u16_e32 vcc, s9, v46
	v_mov_b32_e32 v47, 0xffff8000
	s_and_saveexec_b64 s[18:19], vcc
	s_cbranch_execz .LBB958_320
; %bb.317:                              ;   in Loop: Header=BB958_213 Depth=1
	v_and_b32_e32 v49, 0x7f, v46
	v_cmp_ne_u32_e32 vcc, s24, v49
	v_mov_b32_e32 v47, 0x7f80
	s_and_saveexec_b64 s[20:21], vcc
	s_cbranch_execz .LBB958_319
; %bb.318:                              ;   in Loop: Header=BB958_213 Depth=1
	v_and_b32_e32 v59, 7, v46
	v_ffbh_u32_e32 v47, v59
	v_min_u32_e32 v61, 32, v47
	v_subrev_u32_e32 v47, 28, v61
	v_lshlrev_b64 v[46:47], v47, v[46:47]
	v_lshrrev_b32_e32 v60, 3, v49
	v_sub_u32_e32 v47, 29, v61
	v_and_b32_e32 v46, 7, v46
	v_cmp_gt_u32_e32 vcc, 8, v49
	v_cndmask_b32_e32 v47, v60, v47, vcc
	v_cndmask_b32_e32 v46, v59, v46, vcc
	v_lshlrev_b32_e32 v49, 16, v44
	v_lshlrev_b32_e32 v46, 20, v46
	v_and_b32_e32 v49, 0x80000000, v49
	v_lshl_add_u32 v47, v47, 23, v45
	v_or3_b32 v46, v49, v47, v46
	v_lshrrev_b32_e32 v47, 16, v46
.LBB958_319:                            ;   in Loop: Header=BB958_213 Depth=1
	s_or_b64 exec, exec, s[20:21]
.LBB958_320:                            ;   in Loop: Header=BB958_213 Depth=1
	s_or_b64 exec, exec, s[18:19]
.LBB958_321:                            ;   in Loop: Header=BB958_213 Depth=1
	s_or_b64 exec, exec, s[16:17]
	v_lshrrev_b32_e32 v46, 16, v44
	v_cmp_ne_u16_sdwa s[18:19], v46, v39 src0_sel:BYTE_0 src1_sel:DWORD
	v_mov_b32_e32 v59, 0
	v_mov_b32_e32 v49, 0
	s_and_saveexec_b64 s[16:17], s[18:19]
	s_cbranch_execz .LBB958_327
; %bb.322:                              ;   in Loop: Header=BB958_213 Depth=1
	v_cmp_ne_u16_sdwa s[20:21], v46, s9 src0_sel:BYTE_0 src1_sel:DWORD
	v_mov_b32_e32 v49, 0xffff8000
	s_and_saveexec_b64 s[18:19], s[20:21]
	s_cbranch_execz .LBB958_326
; %bb.323:                              ;   in Loop: Header=BB958_213 Depth=1
	v_bfe_u32 v60, v44, 16, 7
	v_cmp_ne_u32_e32 vcc, s24, v60
	v_mov_b32_e32 v49, 0x7f80
	s_and_saveexec_b64 s[20:21], vcc
	s_cbranch_execz .LBB958_325
; %bb.324:                              ;   in Loop: Header=BB958_213 Depth=1
	v_and_b32_e32 v49, 7, v46
	v_ffbh_u32_e32 v62, v49
	v_min_u32_e32 v64, 32, v62
	v_subrev_u32_e32 v62, 28, v64
	v_lshlrev_b64 v[62:63], v62, v[46:47]
	v_lshrrev_b32_e32 v61, 3, v60
	v_sub_u32_e32 v63, 29, v64
	v_and_b32_e32 v62, 7, v62
	v_cmp_gt_u32_e32 vcc, 8, v60
	v_cndmask_b32_e32 v60, v61, v63, vcc
	v_cndmask_b32_e32 v49, v49, v62, vcc
	v_lshlrev_b32_e32 v46, 24, v46
	v_lshlrev_b32_e32 v49, 20, v49
	v_and_b32_e32 v46, 0x80000000, v46
	v_lshl_add_u32 v60, v60, 23, v45
	v_or3_b32 v46, v46, v60, v49
	v_lshrrev_b32_e32 v49, 16, v46
.LBB958_325:                            ;   in Loop: Header=BB958_213 Depth=1
	s_or_b64 exec, exec, s[20:21]
.LBB958_326:                            ;   in Loop: Header=BB958_213 Depth=1
	s_or_b64 exec, exec, s[18:19]
.LBB958_327:                            ;   in Loop: Header=BB958_213 Depth=1
	s_or_b64 exec, exec, s[16:17]
	v_cmp_lt_u32_e32 vcc, s25, v44
	s_and_saveexec_b64 s[16:17], vcc
	s_cbranch_execz .LBB958_333
; %bb.328:                              ;   in Loop: Header=BB958_213 Depth=1
	v_lshrrev_b32_e32 v46, 24, v44
	v_cmp_ne_u32_e32 vcc, s9, v46
	v_mov_b32_e32 v59, 0xffff8000
	s_and_saveexec_b64 s[18:19], vcc
	s_cbranch_execz .LBB958_332
; %bb.329:                              ;   in Loop: Header=BB958_213 Depth=1
	v_bfe_u32 v44, v44, 24, 7
	v_cmp_ne_u32_e32 vcc, s24, v44
	v_mov_b32_e32 v59, 0x7f80
	s_and_saveexec_b64 s[20:21], vcc
	s_cbranch_execz .LBB958_331
; %bb.330:                              ;   in Loop: Header=BB958_213 Depth=1
	v_and_b32_e32 v59, 7, v46
	v_ffbh_u32_e32 v60, v59
	v_min_u32_e32 v63, 32, v60
	v_subrev_u32_e32 v60, 28, v63
	v_lshlrev_b64 v[60:61], v60, v[46:47]
	v_lshrrev_b32_e32 v62, 3, v44
	v_sub_u32_e32 v61, 29, v63
	v_and_b32_e32 v60, 7, v60
	v_cmp_gt_u32_e32 vcc, 8, v44
	v_cndmask_b32_e32 v44, v62, v61, vcc
	v_cndmask_b32_e32 v59, v59, v60, vcc
	v_lshlrev_b32_e32 v46, 24, v46
	v_lshlrev_b32_e32 v59, 20, v59
	v_and_b32_e32 v46, 0x80000000, v46
	v_lshl_add_u32 v44, v44, 23, v45
	v_or3_b32 v44, v46, v44, v59
	v_lshrrev_b32_e32 v59, 16, v44
.LBB958_331:                            ;   in Loop: Header=BB958_213 Depth=1
	s_or_b64 exec, exec, s[20:21]
.LBB958_332:                            ;   in Loop: Header=BB958_213 Depth=1
	s_or_b64 exec, exec, s[18:19]
.LBB958_333:                            ;   in Loop: Header=BB958_213 Depth=1
	s_or_b64 exec, exec, s[16:17]
	s_waitcnt vmcnt(2)
	v_cmp_ne_u16_sdwa s[18:19], v42, v39 src0_sel:BYTE_0 src1_sel:DWORD
	v_mov_b32_e32 v46, 0
	v_mov_b32_e32 v60, 0
	s_and_saveexec_b64 s[16:17], s[18:19]
	s_cbranch_execz .LBB958_339
; %bb.334:                              ;   in Loop: Header=BB958_213 Depth=1
	v_cmp_ne_u16_sdwa s[20:21], v42, s9 src0_sel:BYTE_0 src1_sel:DWORD
	v_mov_b32_e32 v60, 0xffff8000
	s_and_saveexec_b64 s[18:19], s[20:21]
	s_cbranch_execz .LBB958_338
; %bb.335:                              ;   in Loop: Header=BB958_213 Depth=1
	v_and_b32_e32 v44, 0x7f, v42
	v_cmp_ne_u32_e32 vcc, s24, v44
	v_mov_b32_e32 v60, 0x7f80
	s_and_saveexec_b64 s[20:21], vcc
	s_cbranch_execz .LBB958_337
; %bb.336:                              ;   in Loop: Header=BB958_213 Depth=1
	v_and_b32_e32 v62, 7, v42
	v_ffbh_u32_e32 v60, v62
	v_min_u32_e32 v64, 32, v60
	v_subrev_u32_e32 v60, 28, v64
	v_lshlrev_b64 v[60:61], v60, v[42:43]
	v_lshrrev_b32_e32 v63, 3, v44
	v_sub_u32_e32 v61, 29, v64
	v_and_b32_e32 v60, 7, v60
	v_cmp_gt_u32_e32 vcc, 8, v44
	v_cndmask_b32_e32 v44, v63, v61, vcc
	v_cndmask_b32_e32 v60, v62, v60, vcc
	v_lshlrev_b32_e32 v61, 24, v42
	v_lshlrev_b32_e32 v60, 20, v60
	v_and_b32_e32 v61, 0x80000000, v61
	v_lshl_add_u32 v44, v44, 23, v45
	v_or3_b32 v44, v61, v44, v60
	v_lshrrev_b32_e32 v60, 16, v44
.LBB958_337:                            ;   in Loop: Header=BB958_213 Depth=1
	s_or_b64 exec, exec, s[20:21]
.LBB958_338:                            ;   in Loop: Header=BB958_213 Depth=1
	s_or_b64 exec, exec, s[18:19]
.LBB958_339:                            ;   in Loop: Header=BB958_213 Depth=1
	s_or_b64 exec, exec, s[16:17]
	v_lshrrev_b16_e32 v44, 8, v42
	v_cmp_ne_u16_e32 vcc, 0, v44
	s_and_saveexec_b64 s[16:17], vcc
	s_cbranch_execz .LBB958_345
; %bb.340:                              ;   in Loop: Header=BB958_213 Depth=1
	v_cmp_ne_u16_e32 vcc, s9, v44
	v_mov_b32_e32 v46, 0xffff8000
	s_and_saveexec_b64 s[18:19], vcc
	s_cbranch_execz .LBB958_344
; %bb.341:                              ;   in Loop: Header=BB958_213 Depth=1
	v_and_b32_e32 v61, 0x7f, v44
	v_cmp_ne_u32_e32 vcc, s24, v61
	v_mov_b32_e32 v46, 0x7f80
	s_and_saveexec_b64 s[20:21], vcc
	s_cbranch_execz .LBB958_343
; %bb.342:                              ;   in Loop: Header=BB958_213 Depth=1
	v_and_b32_e32 v46, 7, v44
	v_ffbh_u32_e32 v62, v46
	v_min_u32_e32 v65, 32, v62
	v_subrev_u32_e32 v62, 28, v65
	v_lshlrev_b64 v[62:63], v62, v[44:45]
	v_lshrrev_b32_e32 v64, 3, v61
	v_sub_u32_e32 v44, 29, v65
	v_and_b32_e32 v62, 7, v62
	v_cmp_gt_u32_e32 vcc, 8, v61
	v_cndmask_b32_e32 v44, v64, v44, vcc
	v_cndmask_b32_e32 v46, v46, v62, vcc
	v_lshlrev_b32_e32 v61, 16, v42
	v_lshlrev_b32_e32 v46, 20, v46
	v_and_b32_e32 v61, 0x80000000, v61
	v_lshl_add_u32 v44, v44, 23, v45
	v_or3_b32 v44, v61, v44, v46
	v_lshrrev_b32_e32 v46, 16, v44
.LBB958_343:                            ;   in Loop: Header=BB958_213 Depth=1
	s_or_b64 exec, exec, s[20:21]
.LBB958_344:                            ;   in Loop: Header=BB958_213 Depth=1
	s_or_b64 exec, exec, s[18:19]
.LBB958_345:                            ;   in Loop: Header=BB958_213 Depth=1
	s_or_b64 exec, exec, s[16:17]
	v_lshrrev_b32_e32 v44, 16, v42
	v_cmp_ne_u16_sdwa s[18:19], v44, v39 src0_sel:BYTE_0 src1_sel:DWORD
	v_mov_b32_e32 v62, 0
	v_mov_b32_e32 v61, 0
	s_and_saveexec_b64 s[16:17], s[18:19]
	s_cbranch_execz .LBB958_351
; %bb.346:                              ;   in Loop: Header=BB958_213 Depth=1
	v_cmp_ne_u16_sdwa s[20:21], v44, s9 src0_sel:BYTE_0 src1_sel:DWORD
	v_mov_b32_e32 v61, 0xffff8000
	s_and_saveexec_b64 s[18:19], s[20:21]
	s_cbranch_execz .LBB958_350
; %bb.347:                              ;   in Loop: Header=BB958_213 Depth=1
	v_bfe_u32 v63, v42, 16, 7
	v_cmp_ne_u32_e32 vcc, s24, v63
	v_mov_b32_e32 v61, 0x7f80
	s_and_saveexec_b64 s[20:21], vcc
	s_cbranch_execz .LBB958_349
; %bb.348:                              ;   in Loop: Header=BB958_213 Depth=1
	v_and_b32_e32 v61, 7, v44
	v_ffbh_u32_e32 v64, v61
	v_min_u32_e32 v67, 32, v64
	v_subrev_u32_e32 v64, 28, v67
	v_lshlrev_b64 v[64:65], v64, v[44:45]
	v_lshrrev_b32_e32 v66, 3, v63
	v_sub_u32_e32 v65, 29, v67
	v_and_b32_e32 v64, 7, v64
	v_cmp_gt_u32_e32 vcc, 8, v63
	v_cndmask_b32_e32 v63, v66, v65, vcc
	v_cndmask_b32_e32 v61, v61, v64, vcc
	v_lshlrev_b32_e32 v44, 24, v44
	v_lshlrev_b32_e32 v61, 20, v61
	v_and_b32_e32 v44, 0x80000000, v44
	v_lshl_add_u32 v63, v63, 23, v45
	v_or3_b32 v44, v44, v63, v61
	v_lshrrev_b32_e32 v61, 16, v44
.LBB958_349:                            ;   in Loop: Header=BB958_213 Depth=1
	s_or_b64 exec, exec, s[20:21]
.LBB958_350:                            ;   in Loop: Header=BB958_213 Depth=1
	s_or_b64 exec, exec, s[18:19]
.LBB958_351:                            ;   in Loop: Header=BB958_213 Depth=1
	s_or_b64 exec, exec, s[16:17]
	v_cmp_lt_u32_e32 vcc, s25, v42
	s_and_saveexec_b64 s[16:17], vcc
	s_cbranch_execz .LBB958_357
; %bb.352:                              ;   in Loop: Header=BB958_213 Depth=1
	v_lshrrev_b32_e32 v44, 24, v42
	v_cmp_ne_u32_e32 vcc, s9, v44
	v_mov_b32_e32 v62, 0xffff8000
	s_and_saveexec_b64 s[18:19], vcc
	s_cbranch_execz .LBB958_356
; %bb.353:                              ;   in Loop: Header=BB958_213 Depth=1
	v_bfe_u32 v42, v42, 24, 7
	v_cmp_ne_u32_e32 vcc, s24, v42
	v_mov_b32_e32 v62, 0x7f80
	s_and_saveexec_b64 s[20:21], vcc
	s_cbranch_execz .LBB958_355
; %bb.354:                              ;   in Loop: Header=BB958_213 Depth=1
	v_and_b32_e32 v64, 7, v44
	v_ffbh_u32_e32 v62, v64
	v_min_u32_e32 v66, 32, v62
	v_subrev_u32_e32 v62, 28, v66
	v_lshlrev_b64 v[62:63], v62, v[44:45]
	v_lshrrev_b32_e32 v65, 3, v42
	v_sub_u32_e32 v63, 29, v66
	v_and_b32_e32 v62, 7, v62
	v_cmp_gt_u32_e32 vcc, 8, v42
	v_cndmask_b32_e32 v42, v65, v63, vcc
	v_cndmask_b32_e32 v62, v64, v62, vcc
	v_lshlrev_b32_e32 v44, 24, v44
	v_lshlrev_b32_e32 v62, 20, v62
	v_and_b32_e32 v44, 0x80000000, v44
	v_lshl_add_u32 v42, v42, 23, v45
	v_or3_b32 v42, v44, v42, v62
	v_lshrrev_b32_e32 v62, 16, v42
.LBB958_355:                            ;   in Loop: Header=BB958_213 Depth=1
	s_or_b64 exec, exec, s[20:21]
.LBB958_356:                            ;   in Loop: Header=BB958_213 Depth=1
	s_or_b64 exec, exec, s[18:19]
.LBB958_357:                            ;   in Loop: Header=BB958_213 Depth=1
	s_or_b64 exec, exec, s[16:17]
	v_perm_b32 v49, v59, v49, s26
	v_perm_b32 v48, v47, v48, s26
	s_waitcnt vmcnt(1)
	v_cmp_ne_u16_sdwa s[18:19], v40, v39 src0_sel:BYTE_0 src1_sel:DWORD
	v_mov_b32_e32 v44, 0
	v_mfma_f32_16x16x16bf16_1k v[34:37], v[48:49], v[10:11], v[34:37]
	v_perm_b32 v49, v62, v61, s26
	v_perm_b32 v48, v46, v60, s26
	v_mov_b32_e32 v46, 0
	s_nop 0
	v_mfma_f32_16x16x16bf16_1k v[34:37], v[48:49], v[12:13], v[34:37]
	s_and_saveexec_b64 s[16:17], s[18:19]
	s_cbranch_execz .LBB958_363
; %bb.358:                              ;   in Loop: Header=BB958_213 Depth=1
	v_cmp_ne_u16_sdwa s[20:21], v40, s9 src0_sel:BYTE_0 src1_sel:DWORD
	v_mov_b32_e32 v46, 0xffff8000
	s_and_saveexec_b64 s[18:19], s[20:21]
	s_cbranch_execz .LBB958_362
; %bb.359:                              ;   in Loop: Header=BB958_213 Depth=1
	v_and_b32_e32 v42, 0x7f, v40
	v_cmp_ne_u32_e32 vcc, s24, v42
	v_mov_b32_e32 v46, 0x7f80
	s_and_saveexec_b64 s[20:21], vcc
	s_cbranch_execz .LBB958_361
; %bb.360:                              ;   in Loop: Header=BB958_213 Depth=1
	v_and_b32_e32 v48, 7, v40
	v_ffbh_u32_e32 v46, v48
	v_min_u32_e32 v59, 32, v46
	v_subrev_u32_e32 v46, 28, v59
	v_lshlrev_b64 v[46:47], v46, v[40:41]
	v_lshrrev_b32_e32 v49, 3, v42
	v_sub_u32_e32 v47, 29, v59
	v_and_b32_e32 v46, 7, v46
	v_cmp_gt_u32_e32 vcc, 8, v42
	v_cndmask_b32_e32 v42, v49, v47, vcc
	v_cndmask_b32_e32 v46, v48, v46, vcc
	v_lshlrev_b32_e32 v47, 24, v40
	v_lshlrev_b32_e32 v46, 20, v46
	v_and_b32_e32 v47, 0x80000000, v47
	v_lshl_add_u32 v42, v42, 23, v45
	v_or3_b32 v42, v47, v42, v46
	v_lshrrev_b32_e32 v46, 16, v42
.LBB958_361:                            ;   in Loop: Header=BB958_213 Depth=1
	s_or_b64 exec, exec, s[20:21]
.LBB958_362:                            ;   in Loop: Header=BB958_213 Depth=1
	s_or_b64 exec, exec, s[18:19]
.LBB958_363:                            ;   in Loop: Header=BB958_213 Depth=1
	s_or_b64 exec, exec, s[16:17]
	v_lshrrev_b16_e32 v42, 8, v40
	v_cmp_ne_u16_e32 vcc, 0, v42
	s_and_saveexec_b64 s[16:17], vcc
	s_cbranch_execz .LBB958_369
; %bb.364:                              ;   in Loop: Header=BB958_213 Depth=1
	v_cmp_ne_u16_e32 vcc, s9, v42
	v_mov_b32_e32 v44, 0xffff8000
	s_and_saveexec_b64 s[18:19], vcc
	s_cbranch_execz .LBB958_368
; %bb.365:                              ;   in Loop: Header=BB958_213 Depth=1
	v_and_b32_e32 v47, 0x7f, v42
	v_cmp_ne_u32_e32 vcc, s24, v47
	v_mov_b32_e32 v44, 0x7f80
	s_and_saveexec_b64 s[20:21], vcc
	s_cbranch_execz .LBB958_367
; %bb.366:                              ;   in Loop: Header=BB958_213 Depth=1
	v_and_b32_e32 v44, 7, v42
	v_ffbh_u32_e32 v48, v44
	v_min_u32_e32 v60, 32, v48
	v_subrev_u32_e32 v48, 28, v60
	v_lshlrev_b64 v[48:49], v48, v[42:43]
	v_lshrrev_b32_e32 v59, 3, v47
	v_sub_u32_e32 v42, 29, v60
	v_and_b32_e32 v48, 7, v48
	v_cmp_gt_u32_e32 vcc, 8, v47
	v_cndmask_b32_e32 v42, v59, v42, vcc
	v_cndmask_b32_e32 v44, v44, v48, vcc
	v_lshlrev_b32_e32 v47, 16, v40
	v_lshlrev_b32_e32 v44, 20, v44
	v_and_b32_e32 v47, 0x80000000, v47
	v_lshl_add_u32 v42, v42, 23, v45
	v_or3_b32 v42, v47, v42, v44
	v_lshrrev_b32_e32 v44, 16, v42
.LBB958_367:                            ;   in Loop: Header=BB958_213 Depth=1
	s_or_b64 exec, exec, s[20:21]
.LBB958_368:                            ;   in Loop: Header=BB958_213 Depth=1
	s_or_b64 exec, exec, s[18:19]
.LBB958_369:                            ;   in Loop: Header=BB958_213 Depth=1
	s_or_b64 exec, exec, s[16:17]
	v_lshrrev_b32_e32 v42, 16, v40
	v_cmp_ne_u16_sdwa s[18:19], v42, v39 src0_sel:BYTE_0 src1_sel:DWORD
	v_mov_b32_e32 v48, 0
	v_mov_b32_e32 v47, 0
	s_and_saveexec_b64 s[16:17], s[18:19]
	s_cbranch_execz .LBB958_375
; %bb.370:                              ;   in Loop: Header=BB958_213 Depth=1
	v_cmp_ne_u16_sdwa s[20:21], v42, s9 src0_sel:BYTE_0 src1_sel:DWORD
	v_mov_b32_e32 v47, 0xffff8000
	s_and_saveexec_b64 s[18:19], s[20:21]
	s_cbranch_execz .LBB958_374
; %bb.371:                              ;   in Loop: Header=BB958_213 Depth=1
	v_bfe_u32 v49, v40, 16, 7
	v_cmp_ne_u32_e32 vcc, s24, v49
	v_mov_b32_e32 v47, 0x7f80
	s_and_saveexec_b64 s[20:21], vcc
	s_cbranch_execz .LBB958_373
; %bb.372:                              ;   in Loop: Header=BB958_213 Depth=1
	v_and_b32_e32 v47, 7, v42
	v_ffbh_u32_e32 v60, v47
	v_min_u32_e32 v62, 32, v60
	v_subrev_u32_e32 v60, 28, v62
	v_lshlrev_b64 v[60:61], v60, v[42:43]
	v_lshrrev_b32_e32 v59, 3, v49
	v_sub_u32_e32 v61, 29, v62
	v_and_b32_e32 v60, 7, v60
	v_cmp_gt_u32_e32 vcc, 8, v49
	v_cndmask_b32_e32 v49, v59, v61, vcc
	v_cndmask_b32_e32 v47, v47, v60, vcc
	v_lshlrev_b32_e32 v42, 24, v42
	v_lshlrev_b32_e32 v47, 20, v47
	v_and_b32_e32 v42, 0x80000000, v42
	v_lshl_add_u32 v49, v49, 23, v45
	v_or3_b32 v42, v42, v49, v47
	v_lshrrev_b32_e32 v47, 16, v42
.LBB958_373:                            ;   in Loop: Header=BB958_213 Depth=1
	s_or_b64 exec, exec, s[20:21]
.LBB958_374:                            ;   in Loop: Header=BB958_213 Depth=1
	s_or_b64 exec, exec, s[18:19]
.LBB958_375:                            ;   in Loop: Header=BB958_213 Depth=1
	s_or_b64 exec, exec, s[16:17]
	v_cmp_lt_u32_e32 vcc, s25, v40
	s_and_saveexec_b64 s[16:17], vcc
	s_cbranch_execz .LBB958_381
; %bb.376:                              ;   in Loop: Header=BB958_213 Depth=1
	v_lshrrev_b32_e32 v42, 24, v40
	v_cmp_ne_u32_e32 vcc, s9, v42
	v_mov_b32_e32 v48, 0xffff8000
	s_and_saveexec_b64 s[18:19], vcc
	s_cbranch_execz .LBB958_380
; %bb.377:                              ;   in Loop: Header=BB958_213 Depth=1
	v_bfe_u32 v40, v40, 24, 7
	v_cmp_ne_u32_e32 vcc, s24, v40
	v_mov_b32_e32 v48, 0x7f80
	s_and_saveexec_b64 s[20:21], vcc
	s_cbranch_execz .LBB958_379
; %bb.378:                              ;   in Loop: Header=BB958_213 Depth=1
	v_and_b32_e32 v59, 7, v42
	v_ffbh_u32_e32 v48, v59
	v_min_u32_e32 v61, 32, v48
	v_subrev_u32_e32 v48, 28, v61
	v_lshlrev_b64 v[48:49], v48, v[42:43]
	v_lshrrev_b32_e32 v60, 3, v40
	v_sub_u32_e32 v49, 29, v61
	v_and_b32_e32 v48, 7, v48
	v_cmp_gt_u32_e32 vcc, 8, v40
	v_cndmask_b32_e32 v40, v60, v49, vcc
	v_cndmask_b32_e32 v48, v59, v48, vcc
	v_lshlrev_b32_e32 v42, 24, v42
	v_lshlrev_b32_e32 v48, 20, v48
	v_and_b32_e32 v42, 0x80000000, v42
	v_lshl_add_u32 v40, v40, 23, v45
	v_or3_b32 v40, v42, v40, v48
	v_lshrrev_b32_e32 v48, 16, v40
.LBB958_379:                            ;   in Loop: Header=BB958_213 Depth=1
	s_or_b64 exec, exec, s[20:21]
.LBB958_380:                            ;   in Loop: Header=BB958_213 Depth=1
	s_or_b64 exec, exec, s[18:19]
.LBB958_381:                            ;   in Loop: Header=BB958_213 Depth=1
	s_or_b64 exec, exec, s[16:17]
	s_waitcnt vmcnt(0)
	v_cmp_ne_u16_sdwa s[18:19], v38, v39 src0_sel:BYTE_0 src1_sel:DWORD
	v_mov_b32_e32 v49, 0
	v_mov_b32_e32 v59, 0
	s_and_saveexec_b64 s[16:17], s[18:19]
	s_cbranch_execz .LBB958_387
; %bb.382:                              ;   in Loop: Header=BB958_213 Depth=1
	v_cmp_ne_u16_sdwa s[20:21], v38, s9 src0_sel:BYTE_0 src1_sel:DWORD
	v_mov_b32_e32 v59, 0xffff8000
	s_and_saveexec_b64 s[18:19], s[20:21]
	s_cbranch_execz .LBB958_386
; %bb.383:                              ;   in Loop: Header=BB958_213 Depth=1
	v_and_b32_e32 v40, 0x7f, v38
	v_cmp_ne_u32_e32 vcc, s24, v40
	v_mov_b32_e32 v59, 0x7f80
	s_and_saveexec_b64 s[20:21], vcc
	s_cbranch_execz .LBB958_385
; %bb.384:                              ;   in Loop: Header=BB958_213 Depth=1
	v_and_b32_e32 v42, 7, v38
	v_ffbh_u32_e32 v60, v42
	v_min_u32_e32 v62, 32, v60
	v_subrev_u32_e32 v60, 28, v62
	v_lshlrev_b64 v[60:61], v60, v[38:39]
	v_lshrrev_b32_e32 v59, 3, v40
	v_sub_u32_e32 v61, 29, v62
	v_and_b32_e32 v60, 7, v60
	v_cmp_gt_u32_e32 vcc, 8, v40
	v_cndmask_b32_e32 v40, v59, v61, vcc
	v_cndmask_b32_e32 v42, v42, v60, vcc
	v_lshlrev_b32_e32 v59, 24, v38
	v_lshlrev_b32_e32 v42, 20, v42
	v_and_b32_e32 v59, 0x80000000, v59
	v_lshl_add_u32 v40, v40, 23, v45
	v_or3_b32 v40, v59, v40, v42
	v_lshrrev_b32_e32 v59, 16, v40
.LBB958_385:                            ;   in Loop: Header=BB958_213 Depth=1
	s_or_b64 exec, exec, s[20:21]
.LBB958_386:                            ;   in Loop: Header=BB958_213 Depth=1
	s_or_b64 exec, exec, s[18:19]
.LBB958_387:                            ;   in Loop: Header=BB958_213 Depth=1
	s_or_b64 exec, exec, s[16:17]
	v_lshrrev_b16_e32 v40, 8, v38
	v_cmp_ne_u16_e32 vcc, 0, v40
	s_and_saveexec_b64 s[16:17], vcc
	s_cbranch_execz .LBB958_393
; %bb.388:                              ;   in Loop: Header=BB958_213 Depth=1
	v_cmp_ne_u16_e32 vcc, s9, v40
	v_mov_b32_e32 v49, 0xffff8000
	s_and_saveexec_b64 s[18:19], vcc
	s_cbranch_execz .LBB958_392
; %bb.389:                              ;   in Loop: Header=BB958_213 Depth=1
	v_and_b32_e32 v42, 0x7f, v40
	v_cmp_ne_u32_e32 vcc, s24, v42
	v_mov_b32_e32 v49, 0x7f80
	s_and_saveexec_b64 s[20:21], vcc
	s_cbranch_execz .LBB958_391
; %bb.390:                              ;   in Loop: Header=BB958_213 Depth=1
	v_and_b32_e32 v49, 7, v40
	v_ffbh_u32_e32 v60, v49
	v_min_u32_e32 v63, 32, v60
	v_subrev_u32_e32 v60, 28, v63
	v_lshlrev_b64 v[60:61], v60, v[40:41]
	v_lshrrev_b32_e32 v62, 3, v42
	v_sub_u32_e32 v40, 29, v63
	v_and_b32_e32 v60, 7, v60
	v_cmp_gt_u32_e32 vcc, 8, v42
	v_cndmask_b32_e32 v40, v62, v40, vcc
	v_cndmask_b32_e32 v42, v49, v60, vcc
	v_lshlrev_b32_e32 v49, 16, v38
	v_lshlrev_b32_e32 v42, 20, v42
	v_and_b32_e32 v49, 0x80000000, v49
	v_lshl_add_u32 v40, v40, 23, v45
	v_or3_b32 v40, v49, v40, v42
	v_lshrrev_b32_e32 v49, 16, v40
.LBB958_391:                            ;   in Loop: Header=BB958_213 Depth=1
	s_or_b64 exec, exec, s[20:21]
.LBB958_392:                            ;   in Loop: Header=BB958_213 Depth=1
	s_or_b64 exec, exec, s[18:19]
.LBB958_393:                            ;   in Loop: Header=BB958_213 Depth=1
	s_or_b64 exec, exec, s[16:17]
	v_lshrrev_b32_e32 v40, 16, v38
	v_cmp_ne_u16_sdwa s[18:19], v40, v39 src0_sel:BYTE_0 src1_sel:DWORD
	v_mov_b32_e32 v61, 0
	v_mov_b32_e32 v60, 0
	s_and_saveexec_b64 s[16:17], s[18:19]
	s_cbranch_execz .LBB958_399
; %bb.394:                              ;   in Loop: Header=BB958_213 Depth=1
	v_cmp_ne_u16_sdwa s[20:21], v40, s9 src0_sel:BYTE_0 src1_sel:DWORD
	v_mov_b32_e32 v60, 0xffff8000
	s_and_saveexec_b64 s[18:19], s[20:21]
	s_cbranch_execz .LBB958_398
; %bb.395:                              ;   in Loop: Header=BB958_213 Depth=1
	v_bfe_u32 v42, v38, 16, 7
	v_cmp_ne_u32_e32 vcc, s24, v42
	v_mov_b32_e32 v60, 0x7f80
	s_and_saveexec_b64 s[20:21], vcc
	s_cbranch_execz .LBB958_397
; %bb.396:                              ;   in Loop: Header=BB958_213 Depth=1
	v_and_b32_e32 v60, 7, v40
	v_ffbh_u32_e32 v62, v60
	v_min_u32_e32 v65, 32, v62
	v_subrev_u32_e32 v62, 28, v65
	v_lshlrev_b64 v[62:63], v62, v[40:41]
	v_lshrrev_b32_e32 v64, 3, v42
	v_sub_u32_e32 v63, 29, v65
	v_and_b32_e32 v62, 7, v62
	v_cmp_gt_u32_e32 vcc, 8, v42
	v_cndmask_b32_e32 v42, v64, v63, vcc
	v_cndmask_b32_e32 v60, v60, v62, vcc
	v_lshlrev_b32_e32 v40, 24, v40
	v_lshlrev_b32_e32 v60, 20, v60
	v_and_b32_e32 v40, 0x80000000, v40
	v_lshl_add_u32 v42, v42, 23, v45
	v_or3_b32 v40, v40, v42, v60
	v_lshrrev_b32_e32 v60, 16, v40
.LBB958_397:                            ;   in Loop: Header=BB958_213 Depth=1
	s_or_b64 exec, exec, s[20:21]
.LBB958_398:                            ;   in Loop: Header=BB958_213 Depth=1
	s_or_b64 exec, exec, s[18:19]
.LBB958_399:                            ;   in Loop: Header=BB958_213 Depth=1
	s_or_b64 exec, exec, s[16:17]
	v_cmp_lt_u32_e32 vcc, s25, v38
	s_and_saveexec_b64 s[16:17], vcc
	s_cbranch_execz .LBB958_405
; %bb.400:                              ;   in Loop: Header=BB958_213 Depth=1
	v_lshrrev_b32_e32 v40, 24, v38
	v_cmp_ne_u32_e32 vcc, s9, v40
	v_mov_b32_e32 v61, 0xffff8000
	s_and_saveexec_b64 s[18:19], vcc
	s_cbranch_execz .LBB958_404
; %bb.401:                              ;   in Loop: Header=BB958_213 Depth=1
	v_bfe_u32 v38, v38, 24, 7
	v_cmp_ne_u32_e32 vcc, s24, v38
	v_mov_b32_e32 v61, 0x7f80
	s_and_saveexec_b64 s[20:21], vcc
	s_cbranch_execz .LBB958_403
; %bb.402:                              ;   in Loop: Header=BB958_213 Depth=1
	v_and_b32_e32 v42, 7, v40
	v_ffbh_u32_e32 v62, v42
	v_min_u32_e32 v64, 32, v62
	v_subrev_u32_e32 v62, 28, v64
	v_lshlrev_b64 v[62:63], v62, v[40:41]
	v_lshrrev_b32_e32 v61, 3, v38
	v_sub_u32_e32 v63, 29, v64
	v_and_b32_e32 v62, 7, v62
	v_cmp_gt_u32_e32 vcc, 8, v38
	v_cndmask_b32_e32 v38, v61, v63, vcc
	v_cndmask_b32_e32 v42, v42, v62, vcc
	v_lshlrev_b32_e32 v40, 24, v40
	v_lshlrev_b32_e32 v42, 20, v42
	v_and_b32_e32 v40, 0x80000000, v40
	v_lshl_add_u32 v38, v38, 23, v45
	v_or3_b32 v38, v40, v38, v42
	v_lshrrev_b32_e32 v61, 16, v38
.LBB958_403:                            ;   in Loop: Header=BB958_213 Depth=1
	s_or_b64 exec, exec, s[20:21]
.LBB958_404:                            ;   in Loop: Header=BB958_213 Depth=1
	s_or_b64 exec, exec, s[18:19]
.LBB958_405:                            ;   in Loop: Header=BB958_213 Depth=1
	s_or_b64 exec, exec, s[16:17]
	v_perm_b32 v46, v44, v46, s26
	buffer_load_dword v44, v58, s[0:3], 0 offen
	buffer_load_dword v42, v58, s[0:3], 0 offen offset:4
	buffer_load_dword v40, v58, s[0:3], 0 offen offset:8
	;; [unrolled: 1-line block ×3, first 2 shown]
	v_perm_b32 v47, v48, v47, s26
	v_mov_b32_e32 v48, 0
	s_waitcnt vmcnt(3)
	v_cmp_ne_u16_sdwa s[18:19], v44, v39 src0_sel:BYTE_0 src1_sel:DWORD
	v_mfma_f32_16x16x16bf16_1k v[34:37], v[46:47], v[14:15], v[34:37]
	v_perm_b32 v47, v61, v60, s26
	v_perm_b32 v46, v49, v59, s26
	s_nop 1
	v_mfma_f32_16x16x16bf16_1k v[34:37], v[46:47], v[16:17], v[34:37]
	v_mov_b32_e32 v47, 0
	s_and_saveexec_b64 s[16:17], s[18:19]
	s_cbranch_execz .LBB958_411
; %bb.406:                              ;   in Loop: Header=BB958_213 Depth=1
	v_cmp_ne_u16_sdwa s[20:21], v44, s9 src0_sel:BYTE_0 src1_sel:DWORD
	v_mov_b32_e32 v48, 0xffff8000
	s_and_saveexec_b64 s[18:19], s[20:21]
	s_cbranch_execz .LBB958_410
; %bb.407:                              ;   in Loop: Header=BB958_213 Depth=1
	v_and_b32_e32 v46, 0x7f, v44
	v_cmp_ne_u32_e32 vcc, s24, v46
	v_mov_b32_e32 v48, 0x7f80
	s_and_saveexec_b64 s[20:21], vcc
	s_cbranch_execz .LBB958_409
; %bb.408:                              ;   in Loop: Header=BB958_213 Depth=1
	v_and_b32_e32 v58, 7, v44
	v_ffbh_u32_e32 v48, v58
	v_min_u32_e32 v60, 32, v48
	v_subrev_u32_e32 v48, 28, v60
	v_lshlrev_b64 v[48:49], v48, v[44:45]
	v_lshrrev_b32_e32 v59, 3, v46
	v_sub_u32_e32 v49, 29, v60
	v_and_b32_e32 v48, 7, v48
	v_cmp_gt_u32_e32 vcc, 8, v46
	v_cndmask_b32_e32 v46, v59, v49, vcc
	v_cndmask_b32_e32 v48, v58, v48, vcc
	v_lshlrev_b32_e32 v49, 24, v44
	v_lshlrev_b32_e32 v48, 20, v48
	v_and_b32_e32 v49, 0x80000000, v49
	v_lshl_add_u32 v46, v46, 23, v45
	v_or3_b32 v46, v49, v46, v48
	v_lshrrev_b32_e32 v48, 16, v46
.LBB958_409:                            ;   in Loop: Header=BB958_213 Depth=1
	s_or_b64 exec, exec, s[20:21]
.LBB958_410:                            ;   in Loop: Header=BB958_213 Depth=1
	s_or_b64 exec, exec, s[18:19]
.LBB958_411:                            ;   in Loop: Header=BB958_213 Depth=1
	s_or_b64 exec, exec, s[16:17]
	v_lshrrev_b16_e32 v46, 8, v44
	v_cmp_ne_u16_e32 vcc, 0, v46
	s_and_saveexec_b64 s[16:17], vcc
	s_cbranch_execz .LBB958_417
; %bb.412:                              ;   in Loop: Header=BB958_213 Depth=1
	v_cmp_ne_u16_e32 vcc, s9, v46
	v_mov_b32_e32 v47, 0xffff8000
	s_and_saveexec_b64 s[18:19], vcc
	s_cbranch_execz .LBB958_416
; %bb.413:                              ;   in Loop: Header=BB958_213 Depth=1
	v_and_b32_e32 v49, 0x7f, v46
	v_cmp_ne_u32_e32 vcc, s24, v49
	v_mov_b32_e32 v47, 0x7f80
	s_and_saveexec_b64 s[20:21], vcc
	s_cbranch_execz .LBB958_415
; %bb.414:                              ;   in Loop: Header=BB958_213 Depth=1
	v_and_b32_e32 v58, 7, v46
	v_ffbh_u32_e32 v47, v58
	v_min_u32_e32 v60, 32, v47
	v_subrev_u32_e32 v47, 28, v60
	v_lshlrev_b64 v[46:47], v47, v[46:47]
	v_lshrrev_b32_e32 v59, 3, v49
	v_sub_u32_e32 v47, 29, v60
	v_and_b32_e32 v46, 7, v46
	v_cmp_gt_u32_e32 vcc, 8, v49
	v_cndmask_b32_e32 v47, v59, v47, vcc
	v_cndmask_b32_e32 v46, v58, v46, vcc
	v_lshlrev_b32_e32 v49, 16, v44
	v_lshlrev_b32_e32 v46, 20, v46
	v_and_b32_e32 v49, 0x80000000, v49
	v_lshl_add_u32 v47, v47, 23, v45
	v_or3_b32 v46, v49, v47, v46
	v_lshrrev_b32_e32 v47, 16, v46
.LBB958_415:                            ;   in Loop: Header=BB958_213 Depth=1
	s_or_b64 exec, exec, s[20:21]
.LBB958_416:                            ;   in Loop: Header=BB958_213 Depth=1
	s_or_b64 exec, exec, s[18:19]
.LBB958_417:                            ;   in Loop: Header=BB958_213 Depth=1
	s_or_b64 exec, exec, s[16:17]
	v_lshrrev_b32_e32 v46, 16, v44
	v_cmp_ne_u16_sdwa s[18:19], v46, v39 src0_sel:BYTE_0 src1_sel:DWORD
	v_mov_b32_e32 v58, 0
	v_mov_b32_e32 v49, 0
	s_and_saveexec_b64 s[16:17], s[18:19]
	s_cbranch_execz .LBB958_423
; %bb.418:                              ;   in Loop: Header=BB958_213 Depth=1
	v_cmp_ne_u16_sdwa s[20:21], v46, s9 src0_sel:BYTE_0 src1_sel:DWORD
	v_mov_b32_e32 v49, 0xffff8000
	s_and_saveexec_b64 s[18:19], s[20:21]
	s_cbranch_execz .LBB958_422
; %bb.419:                              ;   in Loop: Header=BB958_213 Depth=1
	v_bfe_u32 v59, v44, 16, 7
	v_cmp_ne_u32_e32 vcc, s24, v59
	v_mov_b32_e32 v49, 0x7f80
	s_and_saveexec_b64 s[20:21], vcc
	s_cbranch_execz .LBB958_421
; %bb.420:                              ;   in Loop: Header=BB958_213 Depth=1
	v_and_b32_e32 v49, 7, v46
	v_ffbh_u32_e32 v60, v49
	v_min_u32_e32 v63, 32, v60
	v_subrev_u32_e32 v60, 28, v63
	v_lshlrev_b64 v[60:61], v60, v[46:47]
	v_lshrrev_b32_e32 v62, 3, v59
	v_sub_u32_e32 v61, 29, v63
	v_and_b32_e32 v60, 7, v60
	v_cmp_gt_u32_e32 vcc, 8, v59
	v_cndmask_b32_e32 v59, v62, v61, vcc
	v_cndmask_b32_e32 v49, v49, v60, vcc
	v_lshlrev_b32_e32 v46, 24, v46
	v_lshlrev_b32_e32 v49, 20, v49
	v_and_b32_e32 v46, 0x80000000, v46
	v_lshl_add_u32 v59, v59, 23, v45
	v_or3_b32 v46, v46, v59, v49
	v_lshrrev_b32_e32 v49, 16, v46
.LBB958_421:                            ;   in Loop: Header=BB958_213 Depth=1
	s_or_b64 exec, exec, s[20:21]
.LBB958_422:                            ;   in Loop: Header=BB958_213 Depth=1
	s_or_b64 exec, exec, s[18:19]
.LBB958_423:                            ;   in Loop: Header=BB958_213 Depth=1
	s_or_b64 exec, exec, s[16:17]
	v_cmp_lt_u32_e32 vcc, s25, v44
	s_and_saveexec_b64 s[16:17], vcc
	s_cbranch_execz .LBB958_429
; %bb.424:                              ;   in Loop: Header=BB958_213 Depth=1
	v_lshrrev_b32_e32 v46, 24, v44
	v_cmp_ne_u32_e32 vcc, s9, v46
	v_mov_b32_e32 v58, 0xffff8000
	s_and_saveexec_b64 s[18:19], vcc
	s_cbranch_execz .LBB958_428
; %bb.425:                              ;   in Loop: Header=BB958_213 Depth=1
	v_bfe_u32 v44, v44, 24, 7
	v_cmp_ne_u32_e32 vcc, s24, v44
	v_mov_b32_e32 v58, 0x7f80
	s_and_saveexec_b64 s[20:21], vcc
	s_cbranch_execz .LBB958_427
; %bb.426:                              ;   in Loop: Header=BB958_213 Depth=1
	v_and_b32_e32 v60, 7, v46
	v_ffbh_u32_e32 v58, v60
	v_min_u32_e32 v62, 32, v58
	v_subrev_u32_e32 v58, 28, v62
	v_lshlrev_b64 v[58:59], v58, v[46:47]
	v_lshrrev_b32_e32 v61, 3, v44
	v_sub_u32_e32 v59, 29, v62
	v_and_b32_e32 v58, 7, v58
	v_cmp_gt_u32_e32 vcc, 8, v44
	v_cndmask_b32_e32 v44, v61, v59, vcc
	v_cndmask_b32_e32 v58, v60, v58, vcc
	v_lshlrev_b32_e32 v46, 24, v46
	v_lshlrev_b32_e32 v58, 20, v58
	v_and_b32_e32 v46, 0x80000000, v46
	v_lshl_add_u32 v44, v44, 23, v45
	v_or3_b32 v44, v46, v44, v58
	v_lshrrev_b32_e32 v58, 16, v44
.LBB958_427:                            ;   in Loop: Header=BB958_213 Depth=1
	s_or_b64 exec, exec, s[20:21]
.LBB958_428:                            ;   in Loop: Header=BB958_213 Depth=1
	s_or_b64 exec, exec, s[18:19]
.LBB958_429:                            ;   in Loop: Header=BB958_213 Depth=1
	s_or_b64 exec, exec, s[16:17]
	s_waitcnt vmcnt(2)
	v_cmp_ne_u16_sdwa s[18:19], v42, v39 src0_sel:BYTE_0 src1_sel:DWORD
	v_mov_b32_e32 v46, 0
	v_mov_b32_e32 v59, 0
	s_and_saveexec_b64 s[16:17], s[18:19]
	s_cbranch_execz .LBB958_435
; %bb.430:                              ;   in Loop: Header=BB958_213 Depth=1
	v_cmp_ne_u16_sdwa s[20:21], v42, s9 src0_sel:BYTE_0 src1_sel:DWORD
	v_mov_b32_e32 v59, 0xffff8000
	s_and_saveexec_b64 s[18:19], s[20:21]
	s_cbranch_execz .LBB958_434
; %bb.431:                              ;   in Loop: Header=BB958_213 Depth=1
	v_and_b32_e32 v44, 0x7f, v42
	v_cmp_ne_u32_e32 vcc, s24, v44
	v_mov_b32_e32 v59, 0x7f80
	s_and_saveexec_b64 s[20:21], vcc
	s_cbranch_execz .LBB958_433
; %bb.432:                              ;   in Loop: Header=BB958_213 Depth=1
	v_and_b32_e32 v59, 7, v42
	v_ffbh_u32_e32 v60, v59
	v_min_u32_e32 v63, 32, v60
	v_subrev_u32_e32 v60, 28, v63
	v_lshlrev_b64 v[60:61], v60, v[42:43]
	v_lshrrev_b32_e32 v62, 3, v44
	v_sub_u32_e32 v61, 29, v63
	v_and_b32_e32 v60, 7, v60
	v_cmp_gt_u32_e32 vcc, 8, v44
	v_cndmask_b32_e32 v44, v62, v61, vcc
	v_cndmask_b32_e32 v59, v59, v60, vcc
	v_lshlrev_b32_e32 v60, 24, v42
	v_lshlrev_b32_e32 v59, 20, v59
	v_and_b32_e32 v60, 0x80000000, v60
	v_lshl_add_u32 v44, v44, 23, v45
	v_or3_b32 v44, v60, v44, v59
	v_lshrrev_b32_e32 v59, 16, v44
.LBB958_433:                            ;   in Loop: Header=BB958_213 Depth=1
	s_or_b64 exec, exec, s[20:21]
.LBB958_434:                            ;   in Loop: Header=BB958_213 Depth=1
	s_or_b64 exec, exec, s[18:19]
.LBB958_435:                            ;   in Loop: Header=BB958_213 Depth=1
	s_or_b64 exec, exec, s[16:17]
	v_lshrrev_b16_e32 v44, 8, v42
	v_cmp_ne_u16_e32 vcc, 0, v44
	s_and_saveexec_b64 s[16:17], vcc
	s_cbranch_execz .LBB958_441
; %bb.436:                              ;   in Loop: Header=BB958_213 Depth=1
	v_cmp_ne_u16_e32 vcc, s9, v44
	v_mov_b32_e32 v46, 0xffff8000
	s_and_saveexec_b64 s[18:19], vcc
	s_cbranch_execz .LBB958_440
; %bb.437:                              ;   in Loop: Header=BB958_213 Depth=1
	v_and_b32_e32 v60, 0x7f, v44
	v_cmp_ne_u32_e32 vcc, s24, v60
	v_mov_b32_e32 v46, 0x7f80
	s_and_saveexec_b64 s[20:21], vcc
	s_cbranch_execz .LBB958_439
; %bb.438:                              ;   in Loop: Header=BB958_213 Depth=1
	v_and_b32_e32 v46, 7, v44
	v_ffbh_u32_e32 v62, v46
	v_min_u32_e32 v64, 32, v62
	v_subrev_u32_e32 v62, 28, v64
	v_lshlrev_b64 v[62:63], v62, v[44:45]
	v_lshrrev_b32_e32 v61, 3, v60
	v_sub_u32_e32 v44, 29, v64
	v_and_b32_e32 v62, 7, v62
	v_cmp_gt_u32_e32 vcc, 8, v60
	v_cndmask_b32_e32 v44, v61, v44, vcc
	v_cndmask_b32_e32 v46, v46, v62, vcc
	v_lshlrev_b32_e32 v60, 16, v42
	v_lshlrev_b32_e32 v46, 20, v46
	v_and_b32_e32 v60, 0x80000000, v60
	v_lshl_add_u32 v44, v44, 23, v45
	v_or3_b32 v44, v60, v44, v46
	v_lshrrev_b32_e32 v46, 16, v44
.LBB958_439:                            ;   in Loop: Header=BB958_213 Depth=1
	s_or_b64 exec, exec, s[20:21]
.LBB958_440:                            ;   in Loop: Header=BB958_213 Depth=1
	s_or_b64 exec, exec, s[18:19]
.LBB958_441:                            ;   in Loop: Header=BB958_213 Depth=1
	s_or_b64 exec, exec, s[16:17]
	v_lshrrev_b32_e32 v44, 16, v42
	v_cmp_ne_u16_sdwa s[18:19], v44, v39 src0_sel:BYTE_0 src1_sel:DWORD
	v_mov_b32_e32 v61, 0
	v_mov_b32_e32 v60, 0
	s_and_saveexec_b64 s[16:17], s[18:19]
	s_cbranch_execz .LBB958_447
; %bb.442:                              ;   in Loop: Header=BB958_213 Depth=1
	v_cmp_ne_u16_sdwa s[20:21], v44, s9 src0_sel:BYTE_0 src1_sel:DWORD
	v_mov_b32_e32 v60, 0xffff8000
	s_and_saveexec_b64 s[18:19], s[20:21]
	s_cbranch_execz .LBB958_446
; %bb.443:                              ;   in Loop: Header=BB958_213 Depth=1
	v_bfe_u32 v62, v42, 16, 7
	v_cmp_ne_u32_e32 vcc, s24, v62
	v_mov_b32_e32 v60, 0x7f80
	s_and_saveexec_b64 s[20:21], vcc
	s_cbranch_execz .LBB958_445
; %bb.444:                              ;   in Loop: Header=BB958_213 Depth=1
	v_and_b32_e32 v60, 7, v44
	v_ffbh_u32_e32 v64, v60
	v_min_u32_e32 v66, 32, v64
	v_subrev_u32_e32 v64, 28, v66
	v_lshlrev_b64 v[64:65], v64, v[44:45]
	v_lshrrev_b32_e32 v63, 3, v62
	v_sub_u32_e32 v65, 29, v66
	v_and_b32_e32 v64, 7, v64
	v_cmp_gt_u32_e32 vcc, 8, v62
	v_cndmask_b32_e32 v62, v63, v65, vcc
	v_cndmask_b32_e32 v60, v60, v64, vcc
	v_lshlrev_b32_e32 v44, 24, v44
	v_lshlrev_b32_e32 v60, 20, v60
	v_and_b32_e32 v44, 0x80000000, v44
	v_lshl_add_u32 v62, v62, 23, v45
	v_or3_b32 v44, v44, v62, v60
	v_lshrrev_b32_e32 v60, 16, v44
.LBB958_445:                            ;   in Loop: Header=BB958_213 Depth=1
	s_or_b64 exec, exec, s[20:21]
.LBB958_446:                            ;   in Loop: Header=BB958_213 Depth=1
	s_or_b64 exec, exec, s[18:19]
.LBB958_447:                            ;   in Loop: Header=BB958_213 Depth=1
	s_or_b64 exec, exec, s[16:17]
	v_cmp_lt_u32_e32 vcc, s25, v42
	s_and_saveexec_b64 s[16:17], vcc
	s_cbranch_execz .LBB958_453
; %bb.448:                              ;   in Loop: Header=BB958_213 Depth=1
	v_lshrrev_b32_e32 v44, 24, v42
	v_cmp_ne_u32_e32 vcc, s9, v44
	v_mov_b32_e32 v61, 0xffff8000
	s_and_saveexec_b64 s[18:19], vcc
	s_cbranch_execz .LBB958_452
; %bb.449:                              ;   in Loop: Header=BB958_213 Depth=1
	v_bfe_u32 v42, v42, 24, 7
	v_cmp_ne_u32_e32 vcc, s24, v42
	v_mov_b32_e32 v61, 0x7f80
	s_and_saveexec_b64 s[20:21], vcc
	s_cbranch_execz .LBB958_451
; %bb.450:                              ;   in Loop: Header=BB958_213 Depth=1
	v_and_b32_e32 v61, 7, v44
	v_ffbh_u32_e32 v62, v61
	v_min_u32_e32 v65, 32, v62
	v_subrev_u32_e32 v62, 28, v65
	v_lshlrev_b64 v[62:63], v62, v[44:45]
	v_lshrrev_b32_e32 v64, 3, v42
	v_sub_u32_e32 v63, 29, v65
	v_and_b32_e32 v62, 7, v62
	v_cmp_gt_u32_e32 vcc, 8, v42
	v_cndmask_b32_e32 v42, v64, v63, vcc
	v_cndmask_b32_e32 v61, v61, v62, vcc
	v_lshlrev_b32_e32 v44, 24, v44
	v_lshlrev_b32_e32 v61, 20, v61
	v_and_b32_e32 v44, 0x80000000, v44
	v_lshl_add_u32 v42, v42, 23, v45
	v_or3_b32 v42, v44, v42, v61
	v_lshrrev_b32_e32 v61, 16, v42
.LBB958_451:                            ;   in Loop: Header=BB958_213 Depth=1
	s_or_b64 exec, exec, s[20:21]
.LBB958_452:                            ;   in Loop: Header=BB958_213 Depth=1
	s_or_b64 exec, exec, s[18:19]
.LBB958_453:                            ;   in Loop: Header=BB958_213 Depth=1
	s_or_b64 exec, exec, s[16:17]
	v_perm_b32 v49, v58, v49, s26
	v_perm_b32 v48, v47, v48, s26
	s_waitcnt vmcnt(1)
	v_cmp_ne_u16_sdwa s[18:19], v40, v39 src0_sel:BYTE_0 src1_sel:DWORD
	v_mov_b32_e32 v44, 0
	v_mfma_f32_16x16x16bf16_1k v[34:37], v[48:49], v[18:19], v[34:37]
	v_perm_b32 v49, v61, v60, s26
	v_perm_b32 v48, v46, v59, s26
	v_mov_b32_e32 v46, 0
	s_nop 0
	v_mfma_f32_16x16x16bf16_1k v[34:37], v[48:49], v[20:21], v[34:37]
	s_and_saveexec_b64 s[16:17], s[18:19]
	s_cbranch_execz .LBB958_459
; %bb.454:                              ;   in Loop: Header=BB958_213 Depth=1
	v_cmp_ne_u16_sdwa s[20:21], v40, s9 src0_sel:BYTE_0 src1_sel:DWORD
	v_mov_b32_e32 v46, 0xffff8000
	s_and_saveexec_b64 s[18:19], s[20:21]
	s_cbranch_execz .LBB958_458
; %bb.455:                              ;   in Loop: Header=BB958_213 Depth=1
	v_and_b32_e32 v42, 0x7f, v40
	v_cmp_ne_u32_e32 vcc, s24, v42
	v_mov_b32_e32 v46, 0x7f80
	s_and_saveexec_b64 s[20:21], vcc
	s_cbranch_execz .LBB958_457
; %bb.456:                              ;   in Loop: Header=BB958_213 Depth=1
	v_and_b32_e32 v48, 7, v40
	v_ffbh_u32_e32 v46, v48
	v_min_u32_e32 v58, 32, v46
	v_subrev_u32_e32 v46, 28, v58
	v_lshlrev_b64 v[46:47], v46, v[40:41]
	v_lshrrev_b32_e32 v49, 3, v42
	v_sub_u32_e32 v47, 29, v58
	v_and_b32_e32 v46, 7, v46
	v_cmp_gt_u32_e32 vcc, 8, v42
	v_cndmask_b32_e32 v42, v49, v47, vcc
	v_cndmask_b32_e32 v46, v48, v46, vcc
	v_lshlrev_b32_e32 v47, 24, v40
	v_lshlrev_b32_e32 v46, 20, v46
	v_and_b32_e32 v47, 0x80000000, v47
	v_lshl_add_u32 v42, v42, 23, v45
	v_or3_b32 v42, v47, v42, v46
	v_lshrrev_b32_e32 v46, 16, v42
.LBB958_457:                            ;   in Loop: Header=BB958_213 Depth=1
	s_or_b64 exec, exec, s[20:21]
.LBB958_458:                            ;   in Loop: Header=BB958_213 Depth=1
	s_or_b64 exec, exec, s[18:19]
.LBB958_459:                            ;   in Loop: Header=BB958_213 Depth=1
	s_or_b64 exec, exec, s[16:17]
	v_lshrrev_b16_e32 v42, 8, v40
	v_cmp_ne_u16_e32 vcc, 0, v42
	s_and_saveexec_b64 s[16:17], vcc
	s_cbranch_execz .LBB958_465
; %bb.460:                              ;   in Loop: Header=BB958_213 Depth=1
	v_cmp_ne_u16_e32 vcc, s9, v42
	v_mov_b32_e32 v44, 0xffff8000
	s_and_saveexec_b64 s[18:19], vcc
	s_cbranch_execz .LBB958_464
; %bb.461:                              ;   in Loop: Header=BB958_213 Depth=1
	v_and_b32_e32 v47, 0x7f, v42
	v_cmp_ne_u32_e32 vcc, s24, v47
	v_mov_b32_e32 v44, 0x7f80
	s_and_saveexec_b64 s[20:21], vcc
	s_cbranch_execz .LBB958_463
; %bb.462:                              ;   in Loop: Header=BB958_213 Depth=1
	v_and_b32_e32 v44, 7, v42
	v_ffbh_u32_e32 v48, v44
	v_min_u32_e32 v59, 32, v48
	v_subrev_u32_e32 v48, 28, v59
	v_lshlrev_b64 v[48:49], v48, v[42:43]
	v_lshrrev_b32_e32 v58, 3, v47
	v_sub_u32_e32 v42, 29, v59
	v_and_b32_e32 v48, 7, v48
	v_cmp_gt_u32_e32 vcc, 8, v47
	v_cndmask_b32_e32 v42, v58, v42, vcc
	v_cndmask_b32_e32 v44, v44, v48, vcc
	v_lshlrev_b32_e32 v47, 16, v40
	v_lshlrev_b32_e32 v44, 20, v44
	v_and_b32_e32 v47, 0x80000000, v47
	v_lshl_add_u32 v42, v42, 23, v45
	v_or3_b32 v42, v47, v42, v44
	v_lshrrev_b32_e32 v44, 16, v42
.LBB958_463:                            ;   in Loop: Header=BB958_213 Depth=1
	s_or_b64 exec, exec, s[20:21]
.LBB958_464:                            ;   in Loop: Header=BB958_213 Depth=1
	s_or_b64 exec, exec, s[18:19]
.LBB958_465:                            ;   in Loop: Header=BB958_213 Depth=1
	s_or_b64 exec, exec, s[16:17]
	v_lshrrev_b32_e32 v42, 16, v40
	v_cmp_ne_u16_sdwa s[18:19], v42, v39 src0_sel:BYTE_0 src1_sel:DWORD
	v_mov_b32_e32 v48, 0
	v_mov_b32_e32 v47, 0
	s_and_saveexec_b64 s[16:17], s[18:19]
	s_cbranch_execz .LBB958_471
; %bb.466:                              ;   in Loop: Header=BB958_213 Depth=1
	v_cmp_ne_u16_sdwa s[20:21], v42, s9 src0_sel:BYTE_0 src1_sel:DWORD
	v_mov_b32_e32 v47, 0xffff8000
	s_and_saveexec_b64 s[18:19], s[20:21]
	s_cbranch_execz .LBB958_470
; %bb.467:                              ;   in Loop: Header=BB958_213 Depth=1
	v_bfe_u32 v49, v40, 16, 7
	v_cmp_ne_u32_e32 vcc, s24, v49
	v_mov_b32_e32 v47, 0x7f80
	s_and_saveexec_b64 s[20:21], vcc
	s_cbranch_execz .LBB958_469
; %bb.468:                              ;   in Loop: Header=BB958_213 Depth=1
	v_and_b32_e32 v47, 7, v42
	v_ffbh_u32_e32 v58, v47
	v_min_u32_e32 v61, 32, v58
	v_subrev_u32_e32 v58, 28, v61
	v_lshlrev_b64 v[58:59], v58, v[42:43]
	v_lshrrev_b32_e32 v60, 3, v49
	v_sub_u32_e32 v59, 29, v61
	v_and_b32_e32 v58, 7, v58
	v_cmp_gt_u32_e32 vcc, 8, v49
	v_cndmask_b32_e32 v49, v60, v59, vcc
	v_cndmask_b32_e32 v47, v47, v58, vcc
	v_lshlrev_b32_e32 v42, 24, v42
	v_lshlrev_b32_e32 v47, 20, v47
	v_and_b32_e32 v42, 0x80000000, v42
	v_lshl_add_u32 v49, v49, 23, v45
	v_or3_b32 v42, v42, v49, v47
	v_lshrrev_b32_e32 v47, 16, v42
.LBB958_469:                            ;   in Loop: Header=BB958_213 Depth=1
	s_or_b64 exec, exec, s[20:21]
.LBB958_470:                            ;   in Loop: Header=BB958_213 Depth=1
	s_or_b64 exec, exec, s[18:19]
.LBB958_471:                            ;   in Loop: Header=BB958_213 Depth=1
	s_or_b64 exec, exec, s[16:17]
	v_cmp_lt_u32_e32 vcc, s25, v40
	s_and_saveexec_b64 s[16:17], vcc
	s_cbranch_execz .LBB958_477
; %bb.472:                              ;   in Loop: Header=BB958_213 Depth=1
	v_lshrrev_b32_e32 v42, 24, v40
	v_cmp_ne_u32_e32 vcc, s9, v42
	v_mov_b32_e32 v48, 0xffff8000
	s_and_saveexec_b64 s[18:19], vcc
	s_cbranch_execz .LBB958_476
; %bb.473:                              ;   in Loop: Header=BB958_213 Depth=1
	v_bfe_u32 v40, v40, 24, 7
	v_cmp_ne_u32_e32 vcc, s24, v40
	v_mov_b32_e32 v48, 0x7f80
	s_and_saveexec_b64 s[20:21], vcc
	s_cbranch_execz .LBB958_475
; %bb.474:                              ;   in Loop: Header=BB958_213 Depth=1
	v_and_b32_e32 v58, 7, v42
	v_ffbh_u32_e32 v48, v58
	v_min_u32_e32 v60, 32, v48
	v_subrev_u32_e32 v48, 28, v60
	v_lshlrev_b64 v[48:49], v48, v[42:43]
	v_lshrrev_b32_e32 v59, 3, v40
	v_sub_u32_e32 v49, 29, v60
	v_and_b32_e32 v48, 7, v48
	v_cmp_gt_u32_e32 vcc, 8, v40
	v_cndmask_b32_e32 v40, v59, v49, vcc
	v_cndmask_b32_e32 v48, v58, v48, vcc
	v_lshlrev_b32_e32 v42, 24, v42
	v_lshlrev_b32_e32 v48, 20, v48
	v_and_b32_e32 v42, 0x80000000, v42
	v_lshl_add_u32 v40, v40, 23, v45
	v_or3_b32 v40, v42, v40, v48
	v_lshrrev_b32_e32 v48, 16, v40
.LBB958_475:                            ;   in Loop: Header=BB958_213 Depth=1
	s_or_b64 exec, exec, s[20:21]
.LBB958_476:                            ;   in Loop: Header=BB958_213 Depth=1
	s_or_b64 exec, exec, s[18:19]
.LBB958_477:                            ;   in Loop: Header=BB958_213 Depth=1
	s_or_b64 exec, exec, s[16:17]
	s_waitcnt vmcnt(0)
	v_cmp_ne_u16_sdwa s[18:19], v38, v39 src0_sel:BYTE_0 src1_sel:DWORD
	v_mov_b32_e32 v49, 0
	v_mov_b32_e32 v58, 0
	s_and_saveexec_b64 s[16:17], s[18:19]
	s_cbranch_execz .LBB958_483
; %bb.478:                              ;   in Loop: Header=BB958_213 Depth=1
	v_cmp_ne_u16_sdwa s[20:21], v38, s9 src0_sel:BYTE_0 src1_sel:DWORD
	v_mov_b32_e32 v58, 0xffff8000
	s_and_saveexec_b64 s[18:19], s[20:21]
	s_cbranch_execz .LBB958_482
; %bb.479:                              ;   in Loop: Header=BB958_213 Depth=1
	v_and_b32_e32 v40, 0x7f, v38
	v_cmp_ne_u32_e32 vcc, s24, v40
	v_mov_b32_e32 v58, 0x7f80
	s_and_saveexec_b64 s[20:21], vcc
	s_cbranch_execz .LBB958_481
; %bb.480:                              ;   in Loop: Header=BB958_213 Depth=1
	v_and_b32_e32 v42, 7, v38
	v_ffbh_u32_e32 v58, v42
	v_min_u32_e32 v61, 32, v58
	v_subrev_u32_e32 v58, 28, v61
	v_lshlrev_b64 v[58:59], v58, v[38:39]
	v_lshrrev_b32_e32 v60, 3, v40
	v_sub_u32_e32 v59, 29, v61
	v_and_b32_e32 v58, 7, v58
	v_cmp_gt_u32_e32 vcc, 8, v40
	v_cndmask_b32_e32 v40, v60, v59, vcc
	v_cndmask_b32_e32 v42, v42, v58, vcc
	v_lshlrev_b32_e32 v58, 24, v38
	v_lshlrev_b32_e32 v42, 20, v42
	v_and_b32_e32 v58, 0x80000000, v58
	v_lshl_add_u32 v40, v40, 23, v45
	v_or3_b32 v40, v58, v40, v42
	v_lshrrev_b32_e32 v58, 16, v40
.LBB958_481:                            ;   in Loop: Header=BB958_213 Depth=1
	s_or_b64 exec, exec, s[20:21]
.LBB958_482:                            ;   in Loop: Header=BB958_213 Depth=1
	s_or_b64 exec, exec, s[18:19]
.LBB958_483:                            ;   in Loop: Header=BB958_213 Depth=1
	s_or_b64 exec, exec, s[16:17]
	v_lshrrev_b16_e32 v40, 8, v38
	v_cmp_ne_u16_e32 vcc, 0, v40
	s_and_saveexec_b64 s[16:17], vcc
	s_cbranch_execz .LBB958_489
; %bb.484:                              ;   in Loop: Header=BB958_213 Depth=1
	v_cmp_ne_u16_e32 vcc, s9, v40
	v_mov_b32_e32 v49, 0xffff8000
	s_and_saveexec_b64 s[18:19], vcc
	s_cbranch_execz .LBB958_488
; %bb.485:                              ;   in Loop: Header=BB958_213 Depth=1
	v_and_b32_e32 v42, 0x7f, v40
	v_cmp_ne_u32_e32 vcc, s24, v42
	v_mov_b32_e32 v49, 0x7f80
	s_and_saveexec_b64 s[20:21], vcc
	s_cbranch_execz .LBB958_487
; %bb.486:                              ;   in Loop: Header=BB958_213 Depth=1
	v_and_b32_e32 v49, 7, v40
	v_ffbh_u32_e32 v60, v49
	v_min_u32_e32 v62, 32, v60
	v_subrev_u32_e32 v60, 28, v62
	v_lshlrev_b64 v[60:61], v60, v[40:41]
	v_lshrrev_b32_e32 v59, 3, v42
	v_sub_u32_e32 v40, 29, v62
	v_and_b32_e32 v60, 7, v60
	v_cmp_gt_u32_e32 vcc, 8, v42
	v_cndmask_b32_e32 v40, v59, v40, vcc
	v_cndmask_b32_e32 v42, v49, v60, vcc
	v_lshlrev_b32_e32 v49, 16, v38
	v_lshlrev_b32_e32 v42, 20, v42
	v_and_b32_e32 v49, 0x80000000, v49
	v_lshl_add_u32 v40, v40, 23, v45
	v_or3_b32 v40, v49, v40, v42
	v_lshrrev_b32_e32 v49, 16, v40
.LBB958_487:                            ;   in Loop: Header=BB958_213 Depth=1
	s_or_b64 exec, exec, s[20:21]
.LBB958_488:                            ;   in Loop: Header=BB958_213 Depth=1
	s_or_b64 exec, exec, s[18:19]
.LBB958_489:                            ;   in Loop: Header=BB958_213 Depth=1
	s_or_b64 exec, exec, s[16:17]
	v_lshrrev_b32_e32 v40, 16, v38
	v_cmp_ne_u16_sdwa s[18:19], v40, v39 src0_sel:BYTE_0 src1_sel:DWORD
	v_mov_b32_e32 v60, 0
	v_mov_b32_e32 v59, 0
	s_and_saveexec_b64 s[16:17], s[18:19]
	s_cbranch_execz .LBB958_495
; %bb.490:                              ;   in Loop: Header=BB958_213 Depth=1
	v_cmp_ne_u16_sdwa s[20:21], v40, s9 src0_sel:BYTE_0 src1_sel:DWORD
	v_mov_b32_e32 v59, 0xffff8000
	s_and_saveexec_b64 s[18:19], s[20:21]
	s_cbranch_execz .LBB958_494
; %bb.491:                              ;   in Loop: Header=BB958_213 Depth=1
	v_bfe_u32 v42, v38, 16, 7
	v_cmp_ne_u32_e32 vcc, s24, v42
	v_mov_b32_e32 v59, 0x7f80
	s_and_saveexec_b64 s[20:21], vcc
	s_cbranch_execz .LBB958_493
; %bb.492:                              ;   in Loop: Header=BB958_213 Depth=1
	v_and_b32_e32 v59, 7, v40
	v_ffbh_u32_e32 v62, v59
	v_min_u32_e32 v64, 32, v62
	v_subrev_u32_e32 v62, 28, v64
	v_lshlrev_b64 v[62:63], v62, v[40:41]
	v_lshrrev_b32_e32 v61, 3, v42
	v_sub_u32_e32 v63, 29, v64
	v_and_b32_e32 v62, 7, v62
	v_cmp_gt_u32_e32 vcc, 8, v42
	v_cndmask_b32_e32 v42, v61, v63, vcc
	v_cndmask_b32_e32 v59, v59, v62, vcc
	v_lshlrev_b32_e32 v40, 24, v40
	v_lshlrev_b32_e32 v59, 20, v59
	v_and_b32_e32 v40, 0x80000000, v40
	v_lshl_add_u32 v42, v42, 23, v45
	v_or3_b32 v40, v40, v42, v59
	v_lshrrev_b32_e32 v59, 16, v40
.LBB958_493:                            ;   in Loop: Header=BB958_213 Depth=1
	s_or_b64 exec, exec, s[20:21]
.LBB958_494:                            ;   in Loop: Header=BB958_213 Depth=1
	s_or_b64 exec, exec, s[18:19]
.LBB958_495:                            ;   in Loop: Header=BB958_213 Depth=1
	s_or_b64 exec, exec, s[16:17]
	v_cmp_lt_u32_e32 vcc, s25, v38
	s_and_saveexec_b64 s[16:17], vcc
	s_cbranch_execz .LBB958_501
; %bb.496:                              ;   in Loop: Header=BB958_213 Depth=1
	v_lshrrev_b32_e32 v40, 24, v38
	v_cmp_ne_u32_e32 vcc, s9, v40
	v_mov_b32_e32 v60, 0xffff8000
	s_and_saveexec_b64 s[18:19], vcc
	s_cbranch_execz .LBB958_500
; %bb.497:                              ;   in Loop: Header=BB958_213 Depth=1
	v_bfe_u32 v38, v38, 24, 7
	v_cmp_ne_u32_e32 vcc, s24, v38
	v_mov_b32_e32 v60, 0x7f80
	s_and_saveexec_b64 s[20:21], vcc
	s_cbranch_execz .LBB958_499
; %bb.498:                              ;   in Loop: Header=BB958_213 Depth=1
	v_and_b32_e32 v42, 7, v40
	v_ffbh_u32_e32 v60, v42
	v_min_u32_e32 v63, 32, v60
	v_subrev_u32_e32 v60, 28, v63
	v_lshlrev_b64 v[60:61], v60, v[40:41]
	v_lshrrev_b32_e32 v62, 3, v38
	v_sub_u32_e32 v61, 29, v63
	v_and_b32_e32 v60, 7, v60
	v_cmp_gt_u32_e32 vcc, 8, v38
	v_cndmask_b32_e32 v38, v62, v61, vcc
	v_cndmask_b32_e32 v42, v42, v60, vcc
	v_lshlrev_b32_e32 v40, 24, v40
	v_lshlrev_b32_e32 v42, 20, v42
	v_and_b32_e32 v40, 0x80000000, v40
	v_lshl_add_u32 v38, v38, 23, v45
	v_or3_b32 v38, v40, v38, v42
	v_lshrrev_b32_e32 v60, 16, v38
.LBB958_499:                            ;   in Loop: Header=BB958_213 Depth=1
	s_or_b64 exec, exec, s[20:21]
.LBB958_500:                            ;   in Loop: Header=BB958_213 Depth=1
	s_or_b64 exec, exec, s[18:19]
.LBB958_501:                            ;   in Loop: Header=BB958_213 Depth=1
	s_or_b64 exec, exec, s[16:17]
	v_perm_b32 v46, v44, v46, s26
	buffer_load_dword v44, v57, s[0:3], 0 offen
	buffer_load_dword v42, v57, s[0:3], 0 offen offset:4
	buffer_load_dword v40, v57, s[0:3], 0 offen offset:8
	;; [unrolled: 1-line block ×3, first 2 shown]
	v_perm_b32 v47, v48, v47, s26
	v_mov_b32_e32 v48, 0
	s_waitcnt vmcnt(3)
	v_cmp_ne_u16_sdwa s[18:19], v44, v39 src0_sel:BYTE_0 src1_sel:DWORD
	v_mfma_f32_16x16x16bf16_1k v[34:37], v[46:47], v[22:23], v[34:37]
	v_perm_b32 v47, v60, v59, s26
	v_perm_b32 v46, v49, v58, s26
	s_nop 1
	v_mfma_f32_16x16x16bf16_1k v[34:37], v[46:47], v[24:25], v[34:37]
	v_mov_b32_e32 v47, 0
	s_and_saveexec_b64 s[16:17], s[18:19]
	s_cbranch_execz .LBB958_507
; %bb.502:                              ;   in Loop: Header=BB958_213 Depth=1
	v_cmp_ne_u16_sdwa s[20:21], v44, s9 src0_sel:BYTE_0 src1_sel:DWORD
	v_mov_b32_e32 v48, 0xffff8000
	s_and_saveexec_b64 s[18:19], s[20:21]
	s_cbranch_execz .LBB958_506
; %bb.503:                              ;   in Loop: Header=BB958_213 Depth=1
	v_and_b32_e32 v46, 0x7f, v44
	v_cmp_ne_u32_e32 vcc, s24, v46
	v_mov_b32_e32 v48, 0x7f80
	s_and_saveexec_b64 s[20:21], vcc
	s_cbranch_execz .LBB958_505
; %bb.504:                              ;   in Loop: Header=BB958_213 Depth=1
	v_and_b32_e32 v57, 7, v44
	v_ffbh_u32_e32 v48, v57
	v_min_u32_e32 v59, 32, v48
	v_subrev_u32_e32 v48, 28, v59
	v_lshlrev_b64 v[48:49], v48, v[44:45]
	v_lshrrev_b32_e32 v58, 3, v46
	v_sub_u32_e32 v49, 29, v59
	v_and_b32_e32 v48, 7, v48
	v_cmp_gt_u32_e32 vcc, 8, v46
	v_cndmask_b32_e32 v46, v58, v49, vcc
	v_cndmask_b32_e32 v48, v57, v48, vcc
	v_lshlrev_b32_e32 v49, 24, v44
	v_lshlrev_b32_e32 v48, 20, v48
	v_and_b32_e32 v49, 0x80000000, v49
	v_lshl_add_u32 v46, v46, 23, v45
	v_or3_b32 v46, v49, v46, v48
	v_lshrrev_b32_e32 v48, 16, v46
.LBB958_505:                            ;   in Loop: Header=BB958_213 Depth=1
	s_or_b64 exec, exec, s[20:21]
.LBB958_506:                            ;   in Loop: Header=BB958_213 Depth=1
	s_or_b64 exec, exec, s[18:19]
.LBB958_507:                            ;   in Loop: Header=BB958_213 Depth=1
	s_or_b64 exec, exec, s[16:17]
	v_lshrrev_b16_e32 v46, 8, v44
	v_cmp_ne_u16_e32 vcc, 0, v46
	s_and_saveexec_b64 s[16:17], vcc
	s_cbranch_execz .LBB958_513
; %bb.508:                              ;   in Loop: Header=BB958_213 Depth=1
	v_cmp_ne_u16_e32 vcc, s9, v46
	v_mov_b32_e32 v47, 0xffff8000
	s_and_saveexec_b64 s[18:19], vcc
	s_cbranch_execz .LBB958_512
; %bb.509:                              ;   in Loop: Header=BB958_213 Depth=1
	v_and_b32_e32 v49, 0x7f, v46
	v_cmp_ne_u32_e32 vcc, s24, v49
	v_mov_b32_e32 v47, 0x7f80
	s_and_saveexec_b64 s[20:21], vcc
	s_cbranch_execz .LBB958_511
; %bb.510:                              ;   in Loop: Header=BB958_213 Depth=1
	v_and_b32_e32 v57, 7, v46
	v_ffbh_u32_e32 v47, v57
	v_min_u32_e32 v59, 32, v47
	v_subrev_u32_e32 v47, 28, v59
	v_lshlrev_b64 v[46:47], v47, v[46:47]
	v_lshrrev_b32_e32 v58, 3, v49
	v_sub_u32_e32 v47, 29, v59
	v_and_b32_e32 v46, 7, v46
	v_cmp_gt_u32_e32 vcc, 8, v49
	v_cndmask_b32_e32 v47, v58, v47, vcc
	v_cndmask_b32_e32 v46, v57, v46, vcc
	v_lshlrev_b32_e32 v49, 16, v44
	v_lshlrev_b32_e32 v46, 20, v46
	v_and_b32_e32 v49, 0x80000000, v49
	v_lshl_add_u32 v47, v47, 23, v45
	v_or3_b32 v46, v49, v47, v46
	v_lshrrev_b32_e32 v47, 16, v46
.LBB958_511:                            ;   in Loop: Header=BB958_213 Depth=1
	s_or_b64 exec, exec, s[20:21]
.LBB958_512:                            ;   in Loop: Header=BB958_213 Depth=1
	s_or_b64 exec, exec, s[18:19]
.LBB958_513:                            ;   in Loop: Header=BB958_213 Depth=1
	s_or_b64 exec, exec, s[16:17]
	v_lshrrev_b32_e32 v46, 16, v44
	v_cmp_ne_u16_sdwa s[18:19], v46, v39 src0_sel:BYTE_0 src1_sel:DWORD
	v_mov_b32_e32 v57, 0
	v_mov_b32_e32 v49, 0
	s_and_saveexec_b64 s[16:17], s[18:19]
	s_cbranch_execz .LBB958_519
; %bb.514:                              ;   in Loop: Header=BB958_213 Depth=1
	v_cmp_ne_u16_sdwa s[20:21], v46, s9 src0_sel:BYTE_0 src1_sel:DWORD
	v_mov_b32_e32 v49, 0xffff8000
	s_and_saveexec_b64 s[18:19], s[20:21]
	s_cbranch_execz .LBB958_518
; %bb.515:                              ;   in Loop: Header=BB958_213 Depth=1
	v_bfe_u32 v58, v44, 16, 7
	v_cmp_ne_u32_e32 vcc, s24, v58
	v_mov_b32_e32 v49, 0x7f80
	s_and_saveexec_b64 s[20:21], vcc
	s_cbranch_execz .LBB958_517
; %bb.516:                              ;   in Loop: Header=BB958_213 Depth=1
	v_and_b32_e32 v49, 7, v46
	v_ffbh_u32_e32 v60, v49
	v_min_u32_e32 v62, 32, v60
	v_subrev_u32_e32 v60, 28, v62
	v_lshlrev_b64 v[60:61], v60, v[46:47]
	v_lshrrev_b32_e32 v59, 3, v58
	v_sub_u32_e32 v61, 29, v62
	v_and_b32_e32 v60, 7, v60
	v_cmp_gt_u32_e32 vcc, 8, v58
	v_cndmask_b32_e32 v58, v59, v61, vcc
	v_cndmask_b32_e32 v49, v49, v60, vcc
	v_lshlrev_b32_e32 v46, 24, v46
	v_lshlrev_b32_e32 v49, 20, v49
	v_and_b32_e32 v46, 0x80000000, v46
	v_lshl_add_u32 v58, v58, 23, v45
	v_or3_b32 v46, v46, v58, v49
	v_lshrrev_b32_e32 v49, 16, v46
.LBB958_517:                            ;   in Loop: Header=BB958_213 Depth=1
	s_or_b64 exec, exec, s[20:21]
.LBB958_518:                            ;   in Loop: Header=BB958_213 Depth=1
	s_or_b64 exec, exec, s[18:19]
.LBB958_519:                            ;   in Loop: Header=BB958_213 Depth=1
	s_or_b64 exec, exec, s[16:17]
	v_cmp_lt_u32_e32 vcc, s25, v44
	s_and_saveexec_b64 s[16:17], vcc
	s_cbranch_execz .LBB958_525
; %bb.520:                              ;   in Loop: Header=BB958_213 Depth=1
	v_lshrrev_b32_e32 v46, 24, v44
	v_cmp_ne_u32_e32 vcc, s9, v46
	v_mov_b32_e32 v57, 0xffff8000
	s_and_saveexec_b64 s[18:19], vcc
	s_cbranch_execz .LBB958_524
; %bb.521:                              ;   in Loop: Header=BB958_213 Depth=1
	v_bfe_u32 v44, v44, 24, 7
	v_cmp_ne_u32_e32 vcc, s24, v44
	v_mov_b32_e32 v57, 0x7f80
	s_and_saveexec_b64 s[20:21], vcc
	s_cbranch_execz .LBB958_523
; %bb.522:                              ;   in Loop: Header=BB958_213 Depth=1
	v_and_b32_e32 v57, 7, v46
	v_ffbh_u32_e32 v58, v57
	v_min_u32_e32 v61, 32, v58
	v_subrev_u32_e32 v58, 28, v61
	v_lshlrev_b64 v[58:59], v58, v[46:47]
	v_lshrrev_b32_e32 v60, 3, v44
	v_sub_u32_e32 v59, 29, v61
	v_and_b32_e32 v58, 7, v58
	v_cmp_gt_u32_e32 vcc, 8, v44
	v_cndmask_b32_e32 v44, v60, v59, vcc
	v_cndmask_b32_e32 v57, v57, v58, vcc
	v_lshlrev_b32_e32 v46, 24, v46
	v_lshlrev_b32_e32 v57, 20, v57
	v_and_b32_e32 v46, 0x80000000, v46
	v_lshl_add_u32 v44, v44, 23, v45
	v_or3_b32 v44, v46, v44, v57
	v_lshrrev_b32_e32 v57, 16, v44
.LBB958_523:                            ;   in Loop: Header=BB958_213 Depth=1
	s_or_b64 exec, exec, s[20:21]
.LBB958_524:                            ;   in Loop: Header=BB958_213 Depth=1
	s_or_b64 exec, exec, s[18:19]
.LBB958_525:                            ;   in Loop: Header=BB958_213 Depth=1
	s_or_b64 exec, exec, s[16:17]
	s_waitcnt vmcnt(2)
	v_cmp_ne_u16_sdwa s[18:19], v42, v39 src0_sel:BYTE_0 src1_sel:DWORD
	v_mov_b32_e32 v46, 0
	v_mov_b32_e32 v58, 0
	s_and_saveexec_b64 s[16:17], s[18:19]
	s_cbranch_execz .LBB958_531
; %bb.526:                              ;   in Loop: Header=BB958_213 Depth=1
	v_cmp_ne_u16_sdwa s[20:21], v42, s9 src0_sel:BYTE_0 src1_sel:DWORD
	v_mov_b32_e32 v58, 0xffff8000
	s_and_saveexec_b64 s[18:19], s[20:21]
	s_cbranch_execz .LBB958_530
; %bb.527:                              ;   in Loop: Header=BB958_213 Depth=1
	v_and_b32_e32 v44, 0x7f, v42
	v_cmp_ne_u32_e32 vcc, s24, v44
	v_mov_b32_e32 v58, 0x7f80
	s_and_saveexec_b64 s[20:21], vcc
	s_cbranch_execz .LBB958_529
; %bb.528:                              ;   in Loop: Header=BB958_213 Depth=1
	v_and_b32_e32 v60, 7, v42
	v_ffbh_u32_e32 v58, v60
	v_min_u32_e32 v62, 32, v58
	v_subrev_u32_e32 v58, 28, v62
	v_lshlrev_b64 v[58:59], v58, v[42:43]
	v_lshrrev_b32_e32 v61, 3, v44
	v_sub_u32_e32 v59, 29, v62
	v_and_b32_e32 v58, 7, v58
	v_cmp_gt_u32_e32 vcc, 8, v44
	v_cndmask_b32_e32 v44, v61, v59, vcc
	v_cndmask_b32_e32 v58, v60, v58, vcc
	v_lshlrev_b32_e32 v59, 24, v42
	v_lshlrev_b32_e32 v58, 20, v58
	v_and_b32_e32 v59, 0x80000000, v59
	v_lshl_add_u32 v44, v44, 23, v45
	v_or3_b32 v44, v59, v44, v58
	v_lshrrev_b32_e32 v58, 16, v44
.LBB958_529:                            ;   in Loop: Header=BB958_213 Depth=1
	s_or_b64 exec, exec, s[20:21]
.LBB958_530:                            ;   in Loop: Header=BB958_213 Depth=1
	s_or_b64 exec, exec, s[18:19]
.LBB958_531:                            ;   in Loop: Header=BB958_213 Depth=1
	s_or_b64 exec, exec, s[16:17]
	v_lshrrev_b16_e32 v44, 8, v42
	v_cmp_ne_u16_e32 vcc, 0, v44
	s_and_saveexec_b64 s[16:17], vcc
	s_cbranch_execz .LBB958_537
; %bb.532:                              ;   in Loop: Header=BB958_213 Depth=1
	v_cmp_ne_u16_e32 vcc, s9, v44
	v_mov_b32_e32 v46, 0xffff8000
	s_and_saveexec_b64 s[18:19], vcc
	s_cbranch_execz .LBB958_536
; %bb.533:                              ;   in Loop: Header=BB958_213 Depth=1
	v_and_b32_e32 v59, 0x7f, v44
	v_cmp_ne_u32_e32 vcc, s24, v59
	v_mov_b32_e32 v46, 0x7f80
	s_and_saveexec_b64 s[20:21], vcc
	s_cbranch_execz .LBB958_535
; %bb.534:                              ;   in Loop: Header=BB958_213 Depth=1
	v_and_b32_e32 v46, 7, v44
	v_ffbh_u32_e32 v60, v46
	v_min_u32_e32 v63, 32, v60
	v_subrev_u32_e32 v60, 28, v63
	v_lshlrev_b64 v[60:61], v60, v[44:45]
	v_lshrrev_b32_e32 v62, 3, v59
	v_sub_u32_e32 v44, 29, v63
	v_and_b32_e32 v60, 7, v60
	v_cmp_gt_u32_e32 vcc, 8, v59
	v_cndmask_b32_e32 v44, v62, v44, vcc
	v_cndmask_b32_e32 v46, v46, v60, vcc
	v_lshlrev_b32_e32 v59, 16, v42
	v_lshlrev_b32_e32 v46, 20, v46
	v_and_b32_e32 v59, 0x80000000, v59
	v_lshl_add_u32 v44, v44, 23, v45
	v_or3_b32 v44, v59, v44, v46
	v_lshrrev_b32_e32 v46, 16, v44
.LBB958_535:                            ;   in Loop: Header=BB958_213 Depth=1
	s_or_b64 exec, exec, s[20:21]
.LBB958_536:                            ;   in Loop: Header=BB958_213 Depth=1
	s_or_b64 exec, exec, s[18:19]
.LBB958_537:                            ;   in Loop: Header=BB958_213 Depth=1
	s_or_b64 exec, exec, s[16:17]
	v_lshrrev_b32_e32 v44, 16, v42
	v_cmp_ne_u16_sdwa s[18:19], v44, v39 src0_sel:BYTE_0 src1_sel:DWORD
	v_mov_b32_e32 v60, 0
	v_mov_b32_e32 v59, 0
	s_and_saveexec_b64 s[16:17], s[18:19]
	s_cbranch_execz .LBB958_543
; %bb.538:                              ;   in Loop: Header=BB958_213 Depth=1
	v_cmp_ne_u16_sdwa s[20:21], v44, s9 src0_sel:BYTE_0 src1_sel:DWORD
	v_mov_b32_e32 v59, 0xffff8000
	s_and_saveexec_b64 s[18:19], s[20:21]
	s_cbranch_execz .LBB958_542
; %bb.539:                              ;   in Loop: Header=BB958_213 Depth=1
	v_bfe_u32 v61, v42, 16, 7
	v_cmp_ne_u32_e32 vcc, s24, v61
	v_mov_b32_e32 v59, 0x7f80
	s_and_saveexec_b64 s[20:21], vcc
	s_cbranch_execz .LBB958_541
; %bb.540:                              ;   in Loop: Header=BB958_213 Depth=1
	v_and_b32_e32 v59, 7, v44
	v_ffbh_u32_e32 v62, v59
	v_min_u32_e32 v65, 32, v62
	v_subrev_u32_e32 v62, 28, v65
	v_lshlrev_b64 v[62:63], v62, v[44:45]
	v_lshrrev_b32_e32 v64, 3, v61
	v_sub_u32_e32 v63, 29, v65
	v_and_b32_e32 v62, 7, v62
	v_cmp_gt_u32_e32 vcc, 8, v61
	v_cndmask_b32_e32 v61, v64, v63, vcc
	v_cndmask_b32_e32 v59, v59, v62, vcc
	v_lshlrev_b32_e32 v44, 24, v44
	v_lshlrev_b32_e32 v59, 20, v59
	v_and_b32_e32 v44, 0x80000000, v44
	v_lshl_add_u32 v61, v61, 23, v45
	v_or3_b32 v44, v44, v61, v59
	v_lshrrev_b32_e32 v59, 16, v44
.LBB958_541:                            ;   in Loop: Header=BB958_213 Depth=1
	s_or_b64 exec, exec, s[20:21]
.LBB958_542:                            ;   in Loop: Header=BB958_213 Depth=1
	s_or_b64 exec, exec, s[18:19]
.LBB958_543:                            ;   in Loop: Header=BB958_213 Depth=1
	s_or_b64 exec, exec, s[16:17]
	v_cmp_lt_u32_e32 vcc, s25, v42
	s_and_saveexec_b64 s[16:17], vcc
	s_cbranch_execz .LBB958_549
; %bb.544:                              ;   in Loop: Header=BB958_213 Depth=1
	v_lshrrev_b32_e32 v44, 24, v42
	v_cmp_ne_u32_e32 vcc, s9, v44
	v_mov_b32_e32 v60, 0xffff8000
	s_and_saveexec_b64 s[18:19], vcc
	s_cbranch_execz .LBB958_548
; %bb.545:                              ;   in Loop: Header=BB958_213 Depth=1
	v_bfe_u32 v42, v42, 24, 7
	v_cmp_ne_u32_e32 vcc, s24, v42
	v_mov_b32_e32 v60, 0x7f80
	s_and_saveexec_b64 s[20:21], vcc
	s_cbranch_execz .LBB958_547
; %bb.546:                              ;   in Loop: Header=BB958_213 Depth=1
	v_and_b32_e32 v62, 7, v44
	v_ffbh_u32_e32 v60, v62
	v_min_u32_e32 v64, 32, v60
	v_subrev_u32_e32 v60, 28, v64
	v_lshlrev_b64 v[60:61], v60, v[44:45]
	v_lshrrev_b32_e32 v63, 3, v42
	v_sub_u32_e32 v61, 29, v64
	v_and_b32_e32 v60, 7, v60
	v_cmp_gt_u32_e32 vcc, 8, v42
	v_cndmask_b32_e32 v42, v63, v61, vcc
	v_cndmask_b32_e32 v60, v62, v60, vcc
	v_lshlrev_b32_e32 v44, 24, v44
	v_lshlrev_b32_e32 v60, 20, v60
	v_and_b32_e32 v44, 0x80000000, v44
	v_lshl_add_u32 v42, v42, 23, v45
	v_or3_b32 v42, v44, v42, v60
	v_lshrrev_b32_e32 v60, 16, v42
.LBB958_547:                            ;   in Loop: Header=BB958_213 Depth=1
	s_or_b64 exec, exec, s[20:21]
.LBB958_548:                            ;   in Loop: Header=BB958_213 Depth=1
	s_or_b64 exec, exec, s[18:19]
.LBB958_549:                            ;   in Loop: Header=BB958_213 Depth=1
	s_or_b64 exec, exec, s[16:17]
	v_perm_b32 v49, v57, v49, s26
	v_perm_b32 v48, v47, v48, s26
	s_waitcnt vmcnt(1)
	v_cmp_ne_u16_sdwa s[18:19], v40, v39 src0_sel:BYTE_0 src1_sel:DWORD
	v_mov_b32_e32 v44, 0
	v_mfma_f32_16x16x16bf16_1k v[34:37], v[48:49], v[26:27], v[34:37]
	v_perm_b32 v49, v60, v59, s26
	v_perm_b32 v48, v46, v58, s26
	v_mov_b32_e32 v46, 0
	s_nop 0
	v_mfma_f32_16x16x16bf16_1k v[34:37], v[48:49], v[28:29], v[34:37]
	s_and_saveexec_b64 s[16:17], s[18:19]
	s_cbranch_execz .LBB958_555
; %bb.550:                              ;   in Loop: Header=BB958_213 Depth=1
	v_cmp_ne_u16_sdwa s[20:21], v40, s9 src0_sel:BYTE_0 src1_sel:DWORD
	v_mov_b32_e32 v46, 0xffff8000
	s_and_saveexec_b64 s[18:19], s[20:21]
	s_cbranch_execz .LBB958_554
; %bb.551:                              ;   in Loop: Header=BB958_213 Depth=1
	v_and_b32_e32 v42, 0x7f, v40
	v_cmp_ne_u32_e32 vcc, s24, v42
	v_mov_b32_e32 v46, 0x7f80
	s_and_saveexec_b64 s[20:21], vcc
	s_cbranch_execz .LBB958_553
; %bb.552:                              ;   in Loop: Header=BB958_213 Depth=1
	v_and_b32_e32 v48, 7, v40
	v_ffbh_u32_e32 v46, v48
	v_min_u32_e32 v57, 32, v46
	v_subrev_u32_e32 v46, 28, v57
	v_lshlrev_b64 v[46:47], v46, v[40:41]
	v_lshrrev_b32_e32 v49, 3, v42
	v_sub_u32_e32 v47, 29, v57
	v_and_b32_e32 v46, 7, v46
	v_cmp_gt_u32_e32 vcc, 8, v42
	v_cndmask_b32_e32 v42, v49, v47, vcc
	v_cndmask_b32_e32 v46, v48, v46, vcc
	v_lshlrev_b32_e32 v47, 24, v40
	v_lshlrev_b32_e32 v46, 20, v46
	v_and_b32_e32 v47, 0x80000000, v47
	v_lshl_add_u32 v42, v42, 23, v45
	v_or3_b32 v42, v47, v42, v46
	v_lshrrev_b32_e32 v46, 16, v42
.LBB958_553:                            ;   in Loop: Header=BB958_213 Depth=1
	s_or_b64 exec, exec, s[20:21]
.LBB958_554:                            ;   in Loop: Header=BB958_213 Depth=1
	s_or_b64 exec, exec, s[18:19]
.LBB958_555:                            ;   in Loop: Header=BB958_213 Depth=1
	s_or_b64 exec, exec, s[16:17]
	v_lshrrev_b16_e32 v42, 8, v40
	v_cmp_ne_u16_e32 vcc, 0, v42
	s_and_saveexec_b64 s[16:17], vcc
	s_cbranch_execz .LBB958_561
; %bb.556:                              ;   in Loop: Header=BB958_213 Depth=1
	v_cmp_ne_u16_e32 vcc, s9, v42
	v_mov_b32_e32 v44, 0xffff8000
	s_and_saveexec_b64 s[18:19], vcc
	s_cbranch_execz .LBB958_560
; %bb.557:                              ;   in Loop: Header=BB958_213 Depth=1
	v_and_b32_e32 v47, 0x7f, v42
	v_cmp_ne_u32_e32 vcc, s24, v47
	v_mov_b32_e32 v44, 0x7f80
	s_and_saveexec_b64 s[20:21], vcc
	s_cbranch_execz .LBB958_559
; %bb.558:                              ;   in Loop: Header=BB958_213 Depth=1
	v_and_b32_e32 v44, 7, v42
	v_ffbh_u32_e32 v48, v44
	v_min_u32_e32 v58, 32, v48
	v_subrev_u32_e32 v48, 28, v58
	v_lshlrev_b64 v[48:49], v48, v[42:43]
	v_lshrrev_b32_e32 v57, 3, v47
	v_sub_u32_e32 v42, 29, v58
	v_and_b32_e32 v48, 7, v48
	v_cmp_gt_u32_e32 vcc, 8, v47
	v_cndmask_b32_e32 v42, v57, v42, vcc
	v_cndmask_b32_e32 v44, v44, v48, vcc
	v_lshlrev_b32_e32 v47, 16, v40
	v_lshlrev_b32_e32 v44, 20, v44
	v_and_b32_e32 v47, 0x80000000, v47
	v_lshl_add_u32 v42, v42, 23, v45
	v_or3_b32 v42, v47, v42, v44
	v_lshrrev_b32_e32 v44, 16, v42
.LBB958_559:                            ;   in Loop: Header=BB958_213 Depth=1
	s_or_b64 exec, exec, s[20:21]
.LBB958_560:                            ;   in Loop: Header=BB958_213 Depth=1
	s_or_b64 exec, exec, s[18:19]
.LBB958_561:                            ;   in Loop: Header=BB958_213 Depth=1
	s_or_b64 exec, exec, s[16:17]
	v_lshrrev_b32_e32 v42, 16, v40
	v_cmp_ne_u16_sdwa s[18:19], v42, v39 src0_sel:BYTE_0 src1_sel:DWORD
	v_mov_b32_e32 v48, 0
	v_mov_b32_e32 v47, 0
	s_and_saveexec_b64 s[16:17], s[18:19]
	s_cbranch_execz .LBB958_567
; %bb.562:                              ;   in Loop: Header=BB958_213 Depth=1
	v_cmp_ne_u16_sdwa s[20:21], v42, s9 src0_sel:BYTE_0 src1_sel:DWORD
	v_mov_b32_e32 v47, 0xffff8000
	s_and_saveexec_b64 s[18:19], s[20:21]
	s_cbranch_execz .LBB958_566
; %bb.563:                              ;   in Loop: Header=BB958_213 Depth=1
	v_bfe_u32 v49, v40, 16, 7
	v_cmp_ne_u32_e32 vcc, s24, v49
	v_mov_b32_e32 v47, 0x7f80
	s_and_saveexec_b64 s[20:21], vcc
	s_cbranch_execz .LBB958_565
; %bb.564:                              ;   in Loop: Header=BB958_213 Depth=1
	v_and_b32_e32 v47, 7, v42
	v_ffbh_u32_e32 v58, v47
	v_min_u32_e32 v60, 32, v58
	v_subrev_u32_e32 v58, 28, v60
	v_lshlrev_b64 v[58:59], v58, v[42:43]
	v_lshrrev_b32_e32 v57, 3, v49
	v_sub_u32_e32 v59, 29, v60
	v_and_b32_e32 v58, 7, v58
	v_cmp_gt_u32_e32 vcc, 8, v49
	v_cndmask_b32_e32 v49, v57, v59, vcc
	v_cndmask_b32_e32 v47, v47, v58, vcc
	v_lshlrev_b32_e32 v42, 24, v42
	v_lshlrev_b32_e32 v47, 20, v47
	v_and_b32_e32 v42, 0x80000000, v42
	v_lshl_add_u32 v49, v49, 23, v45
	v_or3_b32 v42, v42, v49, v47
	v_lshrrev_b32_e32 v47, 16, v42
.LBB958_565:                            ;   in Loop: Header=BB958_213 Depth=1
	s_or_b64 exec, exec, s[20:21]
.LBB958_566:                            ;   in Loop: Header=BB958_213 Depth=1
	s_or_b64 exec, exec, s[18:19]
.LBB958_567:                            ;   in Loop: Header=BB958_213 Depth=1
	s_or_b64 exec, exec, s[16:17]
	v_cmp_lt_u32_e32 vcc, s25, v40
	s_and_saveexec_b64 s[16:17], vcc
	s_cbranch_execz .LBB958_573
; %bb.568:                              ;   in Loop: Header=BB958_213 Depth=1
	v_lshrrev_b32_e32 v42, 24, v40
	v_cmp_ne_u32_e32 vcc, s9, v42
	v_mov_b32_e32 v48, 0xffff8000
	s_and_saveexec_b64 s[18:19], vcc
	s_cbranch_execz .LBB958_572
; %bb.569:                              ;   in Loop: Header=BB958_213 Depth=1
	v_bfe_u32 v40, v40, 24, 7
	v_cmp_ne_u32_e32 vcc, s24, v40
	v_mov_b32_e32 v48, 0x7f80
	s_and_saveexec_b64 s[20:21], vcc
	s_cbranch_execz .LBB958_571
; %bb.570:                              ;   in Loop: Header=BB958_213 Depth=1
	v_and_b32_e32 v57, 7, v42
	v_ffbh_u32_e32 v48, v57
	v_min_u32_e32 v59, 32, v48
	v_subrev_u32_e32 v48, 28, v59
	v_lshlrev_b64 v[48:49], v48, v[42:43]
	v_lshrrev_b32_e32 v58, 3, v40
	v_sub_u32_e32 v49, 29, v59
	v_and_b32_e32 v48, 7, v48
	v_cmp_gt_u32_e32 vcc, 8, v40
	v_cndmask_b32_e32 v40, v58, v49, vcc
	v_cndmask_b32_e32 v48, v57, v48, vcc
	v_lshlrev_b32_e32 v42, 24, v42
	v_lshlrev_b32_e32 v48, 20, v48
	v_and_b32_e32 v42, 0x80000000, v42
	v_lshl_add_u32 v40, v40, 23, v45
	v_or3_b32 v40, v42, v40, v48
	v_lshrrev_b32_e32 v48, 16, v40
.LBB958_571:                            ;   in Loop: Header=BB958_213 Depth=1
	s_or_b64 exec, exec, s[20:21]
.LBB958_572:                            ;   in Loop: Header=BB958_213 Depth=1
	s_or_b64 exec, exec, s[18:19]
.LBB958_573:                            ;   in Loop: Header=BB958_213 Depth=1
	s_or_b64 exec, exec, s[16:17]
	s_waitcnt vmcnt(0)
	v_cmp_ne_u16_sdwa s[18:19], v38, v39 src0_sel:BYTE_0 src1_sel:DWORD
	v_mov_b32_e32 v42, 0
	v_mov_b32_e32 v49, 0
	s_and_saveexec_b64 s[16:17], s[18:19]
	s_cbranch_execz .LBB958_579
; %bb.574:                              ;   in Loop: Header=BB958_213 Depth=1
	v_cmp_ne_u16_sdwa s[20:21], v38, s9 src0_sel:BYTE_0 src1_sel:DWORD
	v_mov_b32_e32 v49, 0xffff8000
	s_and_saveexec_b64 s[18:19], s[20:21]
	s_cbranch_execz .LBB958_578
; %bb.575:                              ;   in Loop: Header=BB958_213 Depth=1
	v_and_b32_e32 v40, 0x7f, v38
	v_cmp_ne_u32_e32 vcc, s24, v40
	v_mov_b32_e32 v49, 0x7f80
	s_and_saveexec_b64 s[20:21], vcc
	s_cbranch_execz .LBB958_577
; %bb.576:                              ;   in Loop: Header=BB958_213 Depth=1
	v_and_b32_e32 v49, 7, v38
	v_ffbh_u32_e32 v58, v49
	v_min_u32_e32 v60, 32, v58
	v_subrev_u32_e32 v58, 28, v60
	v_lshlrev_b64 v[58:59], v58, v[38:39]
	v_lshrrev_b32_e32 v57, 3, v40
	v_sub_u32_e32 v59, 29, v60
	v_and_b32_e32 v58, 7, v58
	v_cmp_gt_u32_e32 vcc, 8, v40
	v_cndmask_b32_e32 v40, v57, v59, vcc
	v_cndmask_b32_e32 v49, v49, v58, vcc
	v_lshlrev_b32_e32 v57, 24, v38
	v_lshlrev_b32_e32 v49, 20, v49
	v_and_b32_e32 v57, 0x80000000, v57
	v_lshl_add_u32 v40, v40, 23, v45
	v_or3_b32 v40, v57, v40, v49
	v_lshrrev_b32_e32 v49, 16, v40
.LBB958_577:                            ;   in Loop: Header=BB958_213 Depth=1
	s_or_b64 exec, exec, s[20:21]
.LBB958_578:                            ;   in Loop: Header=BB958_213 Depth=1
	s_or_b64 exec, exec, s[18:19]
.LBB958_579:                            ;   in Loop: Header=BB958_213 Depth=1
	s_or_b64 exec, exec, s[16:17]
	v_lshrrev_b16_e32 v40, 8, v38
	v_cmp_ne_u16_e32 vcc, 0, v40
	s_and_saveexec_b64 s[16:17], vcc
	s_cbranch_execz .LBB958_585
; %bb.580:                              ;   in Loop: Header=BB958_213 Depth=1
	v_cmp_ne_u16_e32 vcc, s9, v40
	v_mov_b32_e32 v42, 0xffff8000
	s_and_saveexec_b64 s[18:19], vcc
	s_cbranch_execz .LBB958_584
; %bb.581:                              ;   in Loop: Header=BB958_213 Depth=1
	v_and_b32_e32 v57, 0x7f, v40
	v_cmp_ne_u32_e32 vcc, s24, v57
	v_mov_b32_e32 v42, 0x7f80
	s_and_saveexec_b64 s[20:21], vcc
	s_cbranch_execz .LBB958_583
; %bb.582:                              ;   in Loop: Header=BB958_213 Depth=1
	v_and_b32_e32 v42, 7, v40
	v_ffbh_u32_e32 v58, v42
	v_min_u32_e32 v61, 32, v58
	v_subrev_u32_e32 v58, 28, v61
	v_lshlrev_b64 v[58:59], v58, v[40:41]
	v_lshrrev_b32_e32 v60, 3, v57
	v_sub_u32_e32 v40, 29, v61
	v_and_b32_e32 v58, 7, v58
	v_cmp_gt_u32_e32 vcc, 8, v57
	v_cndmask_b32_e32 v40, v60, v40, vcc
	v_cndmask_b32_e32 v42, v42, v58, vcc
	v_lshlrev_b32_e32 v57, 16, v38
	v_lshlrev_b32_e32 v42, 20, v42
	v_and_b32_e32 v57, 0x80000000, v57
	v_lshl_add_u32 v40, v40, 23, v45
	v_or3_b32 v40, v57, v40, v42
	v_lshrrev_b32_e32 v42, 16, v40
.LBB958_583:                            ;   in Loop: Header=BB958_213 Depth=1
	s_or_b64 exec, exec, s[20:21]
.LBB958_584:                            ;   in Loop: Header=BB958_213 Depth=1
	s_or_b64 exec, exec, s[18:19]
.LBB958_585:                            ;   in Loop: Header=BB958_213 Depth=1
	s_or_b64 exec, exec, s[16:17]
	v_lshrrev_b32_e32 v40, 16, v38
	v_cmp_ne_u16_sdwa s[18:19], v40, v39 src0_sel:BYTE_0 src1_sel:DWORD
	v_mov_b32_e32 v58, 0
	v_mov_b32_e32 v57, 0
	s_and_saveexec_b64 s[16:17], s[18:19]
	s_cbranch_execz .LBB958_591
; %bb.586:                              ;   in Loop: Header=BB958_213 Depth=1
	v_cmp_ne_u16_sdwa s[20:21], v40, s9 src0_sel:BYTE_0 src1_sel:DWORD
	v_mov_b32_e32 v57, 0xffff8000
	s_and_saveexec_b64 s[18:19], s[20:21]
	s_cbranch_execz .LBB958_590
; %bb.587:                              ;   in Loop: Header=BB958_213 Depth=1
	v_bfe_u32 v59, v38, 16, 7
	v_cmp_ne_u32_e32 vcc, s24, v59
	v_mov_b32_e32 v57, 0x7f80
	s_and_saveexec_b64 s[20:21], vcc
	s_cbranch_execz .LBB958_589
; %bb.588:                              ;   in Loop: Header=BB958_213 Depth=1
	v_and_b32_e32 v57, 7, v40
	v_ffbh_u32_e32 v60, v57
	v_min_u32_e32 v63, 32, v60
	v_subrev_u32_e32 v60, 28, v63
	v_lshlrev_b64 v[60:61], v60, v[40:41]
	v_lshrrev_b32_e32 v62, 3, v59
	v_sub_u32_e32 v61, 29, v63
	v_and_b32_e32 v60, 7, v60
	v_cmp_gt_u32_e32 vcc, 8, v59
	v_cndmask_b32_e32 v59, v62, v61, vcc
	v_cndmask_b32_e32 v57, v57, v60, vcc
	v_lshlrev_b32_e32 v40, 24, v40
	v_lshlrev_b32_e32 v57, 20, v57
	v_and_b32_e32 v40, 0x80000000, v40
	v_lshl_add_u32 v59, v59, 23, v45
	v_or3_b32 v40, v40, v59, v57
	v_lshrrev_b32_e32 v57, 16, v40
.LBB958_589:                            ;   in Loop: Header=BB958_213 Depth=1
	s_or_b64 exec, exec, s[20:21]
.LBB958_590:                            ;   in Loop: Header=BB958_213 Depth=1
	s_or_b64 exec, exec, s[18:19]
.LBB958_591:                            ;   in Loop: Header=BB958_213 Depth=1
	s_or_b64 exec, exec, s[16:17]
	v_cmp_lt_u32_e32 vcc, s25, v38
	s_and_saveexec_b64 s[16:17], vcc
	s_cbranch_execz .LBB958_212
; %bb.592:                              ;   in Loop: Header=BB958_213 Depth=1
	v_lshrrev_b32_e32 v40, 24, v38
	v_cmp_ne_u32_e32 vcc, s9, v40
	v_mov_b32_e32 v58, 0xffff8000
	s_and_saveexec_b64 s[18:19], vcc
	s_cbranch_execz .LBB958_211
; %bb.593:                              ;   in Loop: Header=BB958_213 Depth=1
	v_bfe_u32 v38, v38, 24, 7
	v_cmp_ne_u32_e32 vcc, s24, v38
	v_mov_b32_e32 v58, 0x7f80
	s_and_saveexec_b64 s[20:21], vcc
	s_cbranch_execz .LBB958_210
; %bb.594:                              ;   in Loop: Header=BB958_213 Depth=1
	v_and_b32_e32 v60, 7, v40
	v_ffbh_u32_e32 v58, v60
	v_min_u32_e32 v62, 32, v58
	v_subrev_u32_e32 v58, 28, v62
	v_lshlrev_b64 v[58:59], v58, v[40:41]
	v_lshrrev_b32_e32 v61, 3, v38
	v_sub_u32_e32 v59, 29, v62
	v_and_b32_e32 v58, 7, v58
	v_cmp_gt_u32_e32 vcc, 8, v38
	v_cndmask_b32_e32 v38, v61, v59, vcc
	v_cndmask_b32_e32 v58, v60, v58, vcc
	v_lshlrev_b32_e32 v40, 24, v40
	v_lshlrev_b32_e32 v58, 20, v58
	v_and_b32_e32 v40, 0x80000000, v40
	v_lshl_add_u32 v38, v38, 23, v45
	v_or3_b32 v38, v40, v38, v58
	v_lshrrev_b32_e32 v58, 16, v38
	s_branch .LBB958_210
.LBB958_595:
	s_barrier
	buffer_load_dword v2, off, s[0:3], 0 offset:320
	buffer_load_dword v5, off, s[0:3], 0 offset:332
	;; [unrolled: 1-line block ×4, first 2 shown]
	v_cmp_gt_u32_e32 vcc, 64, v0
	s_xor_b64 s[4:5], s[4:5], -1
	s_and_b64 s[4:5], vcc, s[4:5]
	s_waitcnt vmcnt(0)
	ds_write2st64_b64 v41, v[2:3], v[4:5] offset1:1
	s_waitcnt lgkmcnt(0)
	s_barrier
	s_and_saveexec_b64 s[6:7], s[4:5]
	s_cbranch_execz .LBB958_597
; %bb.596:
	s_mul_i32 s4, s51, s8
	s_lshl_b32 s6, s50, 7
	s_mul_hi_u32 s5, s4, s6
	s_mul_i32 s4, s4, s6
	v_lshlrev_b32_e32 v4, 6, v51
	s_lshl_b64 s[4:5], s[4:5], 1
	v_lshl_or_b32 v0, v0, 10, v4
	s_add_u32 s7, s48, s4
	v_lshlrev_b32_e32 v2, 5, v50
	v_and_b32_e32 v3, 16, v52
	v_and_b32_e32 v0, 0x1a00, v0
	s_addc_u32 s8, s49, s5
	s_lshl_b32 s4, s11, 7
	s_mov_b32 s5, 0
	v_or3_b32 v0, v0, v2, v3
	s_lshl_b64 s[4:5], s[4:5], 1
	ds_read_b128 v[2:5], v0
	s_add_u32 s7, s7, s4
	s_addc_u32 s8, s8, s5
	s_mul_hi_u32 s5, s6, s10
	s_mul_i32 s4, s6, s10
	s_lshl_b64 s[4:5], s[4:5], 1
	s_add_u32 s4, s7, s4
	s_addc_u32 s5, s8, s5
	s_waitcnt lgkmcnt(0)
	global_store_dwordx4 v1, v[2:5], s[4:5]
.LBB958_597:
	s_endpgm
	.section	.rodata,"a",@progbits
	.p2align	6, 0x0
	.amdhsa_kernel _Z39paged_attention_ll4mi_QKV_mfma16_kernelI14__hip_bfloat16hLN4vllm18Fp8KVCacheDataTypeE1ES0_Li32ELi128ELi256ELb0ELi1EL8MFMAType0EEvPKT_PKT0_S9_ifPKiSB_SB_iPKfiiiPfSE_PS4_PT2_iSD_SD_
		.amdhsa_group_segment_fixed_size 8192
		.amdhsa_private_segment_fixed_size 352
		.amdhsa_kernarg_size 400
		.amdhsa_user_sgpr_count 8
		.amdhsa_user_sgpr_private_segment_buffer 1
		.amdhsa_user_sgpr_dispatch_ptr 0
		.amdhsa_user_sgpr_queue_ptr 0
		.amdhsa_user_sgpr_kernarg_segment_ptr 1
		.amdhsa_user_sgpr_dispatch_id 0
		.amdhsa_user_sgpr_flat_scratch_init 1
		.amdhsa_user_sgpr_kernarg_preload_length 0
		.amdhsa_user_sgpr_kernarg_preload_offset 0
		.amdhsa_user_sgpr_private_segment_size 0
		.amdhsa_uses_dynamic_stack 0
		.amdhsa_system_sgpr_private_segment_wavefront_offset 1
		.amdhsa_system_sgpr_workgroup_id_x 1
		.amdhsa_system_sgpr_workgroup_id_y 1
		.amdhsa_system_sgpr_workgroup_id_z 1
		.amdhsa_system_sgpr_workgroup_info 0
		.amdhsa_system_vgpr_workitem_id 0
		.amdhsa_next_free_vgpr 80
		.amdhsa_next_free_sgpr 53
		.amdhsa_accum_offset 80
		.amdhsa_reserve_vcc 1
		.amdhsa_reserve_flat_scratch 0
		.amdhsa_float_round_mode_32 0
		.amdhsa_float_round_mode_16_64 0
		.amdhsa_float_denorm_mode_32 3
		.amdhsa_float_denorm_mode_16_64 3
		.amdhsa_dx10_clamp 1
		.amdhsa_ieee_mode 1
		.amdhsa_fp16_overflow 0
		.amdhsa_tg_split 0
		.amdhsa_exception_fp_ieee_invalid_op 0
		.amdhsa_exception_fp_denorm_src 0
		.amdhsa_exception_fp_ieee_div_zero 0
		.amdhsa_exception_fp_ieee_overflow 0
		.amdhsa_exception_fp_ieee_underflow 0
		.amdhsa_exception_fp_ieee_inexact 0
		.amdhsa_exception_int_div_zero 0
	.end_amdhsa_kernel
	.section	.text._Z39paged_attention_ll4mi_QKV_mfma16_kernelI14__hip_bfloat16hLN4vllm18Fp8KVCacheDataTypeE1ES0_Li32ELi128ELi256ELb0ELi1EL8MFMAType0EEvPKT_PKT0_S9_ifPKiSB_SB_iPKfiiiPfSE_PS4_PT2_iSD_SD_,"axG",@progbits,_Z39paged_attention_ll4mi_QKV_mfma16_kernelI14__hip_bfloat16hLN4vllm18Fp8KVCacheDataTypeE1ES0_Li32ELi128ELi256ELb0ELi1EL8MFMAType0EEvPKT_PKT0_S9_ifPKiSB_SB_iPKfiiiPfSE_PS4_PT2_iSD_SD_,comdat
.Lfunc_end958:
	.size	_Z39paged_attention_ll4mi_QKV_mfma16_kernelI14__hip_bfloat16hLN4vllm18Fp8KVCacheDataTypeE1ES0_Li32ELi128ELi256ELb0ELi1EL8MFMAType0EEvPKT_PKT0_S9_ifPKiSB_SB_iPKfiiiPfSE_PS4_PT2_iSD_SD_, .Lfunc_end958-_Z39paged_attention_ll4mi_QKV_mfma16_kernelI14__hip_bfloat16hLN4vllm18Fp8KVCacheDataTypeE1ES0_Li32ELi128ELi256ELb0ELi1EL8MFMAType0EEvPKT_PKT0_S9_ifPKiSB_SB_iPKfiiiPfSE_PS4_PT2_iSD_SD_
                                        ; -- End function
	.section	.AMDGPU.csdata,"",@progbits
; Kernel info:
; codeLenInByte = 22124
; NumSgprs: 57
; NumVgprs: 80
; NumAgprs: 0
; TotalNumVgprs: 80
; ScratchSize: 352
; MemoryBound: 0
; FloatMode: 240
; IeeeMode: 1
; LDSByteSize: 8192 bytes/workgroup (compile time only)
; SGPRBlocks: 7
; VGPRBlocks: 9
; NumSGPRsForWavesPerEU: 57
; NumVGPRsForWavesPerEU: 80
; AccumOffset: 80
; Occupancy: 6
; WaveLimiterHint : 1
; COMPUTE_PGM_RSRC2:SCRATCH_EN: 1
; COMPUTE_PGM_RSRC2:USER_SGPR: 8
; COMPUTE_PGM_RSRC2:TRAP_HANDLER: 0
; COMPUTE_PGM_RSRC2:TGID_X_EN: 1
; COMPUTE_PGM_RSRC2:TGID_Y_EN: 1
; COMPUTE_PGM_RSRC2:TGID_Z_EN: 1
; COMPUTE_PGM_RSRC2:TIDIG_COMP_CNT: 0
; COMPUTE_PGM_RSRC3_GFX90A:ACCUM_OFFSET: 19
; COMPUTE_PGM_RSRC3_GFX90A:TG_SPLIT: 0
	.section	.text._Z39paged_attention_ll4mi_QKV_mfma16_kernelI14__hip_bfloat16hLN4vllm18Fp8KVCacheDataTypeE1ES0_Li32ELi128ELi256ELb0ELi2EL8MFMAType0EEvPKT_PKT0_S9_ifPKiSB_SB_iPKfiiiPfSE_PS4_PT2_iSD_SD_,"axG",@progbits,_Z39paged_attention_ll4mi_QKV_mfma16_kernelI14__hip_bfloat16hLN4vllm18Fp8KVCacheDataTypeE1ES0_Li32ELi128ELi256ELb0ELi2EL8MFMAType0EEvPKT_PKT0_S9_ifPKiSB_SB_iPKfiiiPfSE_PS4_PT2_iSD_SD_,comdat
	.protected	_Z39paged_attention_ll4mi_QKV_mfma16_kernelI14__hip_bfloat16hLN4vllm18Fp8KVCacheDataTypeE1ES0_Li32ELi128ELi256ELb0ELi2EL8MFMAType0EEvPKT_PKT0_S9_ifPKiSB_SB_iPKfiiiPfSE_PS4_PT2_iSD_SD_ ; -- Begin function _Z39paged_attention_ll4mi_QKV_mfma16_kernelI14__hip_bfloat16hLN4vllm18Fp8KVCacheDataTypeE1ES0_Li32ELi128ELi256ELb0ELi2EL8MFMAType0EEvPKT_PKT0_S9_ifPKiSB_SB_iPKfiiiPfSE_PS4_PT2_iSD_SD_
	.globl	_Z39paged_attention_ll4mi_QKV_mfma16_kernelI14__hip_bfloat16hLN4vllm18Fp8KVCacheDataTypeE1ES0_Li32ELi128ELi256ELb0ELi2EL8MFMAType0EEvPKT_PKT0_S9_ifPKiSB_SB_iPKfiiiPfSE_PS4_PT2_iSD_SD_
	.p2align	8
	.type	_Z39paged_attention_ll4mi_QKV_mfma16_kernelI14__hip_bfloat16hLN4vllm18Fp8KVCacheDataTypeE1ES0_Li32ELi128ELi256ELb0ELi2EL8MFMAType0EEvPKT_PKT0_S9_ifPKiSB_SB_iPKfiiiPfSE_PS4_PT2_iSD_SD_,@function
_Z39paged_attention_ll4mi_QKV_mfma16_kernelI14__hip_bfloat16hLN4vllm18Fp8KVCacheDataTypeE1ES0_Li32ELi128ELi256ELb0ELi2EL8MFMAType0EEvPKT_PKT0_S9_ifPKiSB_SB_iPKfiiiPfSE_PS4_PT2_iSD_SD_: ; @_Z39paged_attention_ll4mi_QKV_mfma16_kernelI14__hip_bfloat16hLN4vllm18Fp8KVCacheDataTypeE1ES0_Li32ELi128ELi256ELb0ELi2EL8MFMAType0EEvPKT_PKT0_S9_ifPKiSB_SB_iPKfiiiPfSE_PS4_PT2_iSD_SD_
; %bb.0:
	s_load_dwordx2 s[6:7], s[4:5], 0x30
	s_add_u32 s0, s0, s11
	s_addc_u32 s1, s1, 0
	s_mov_b32 s24, s9
	s_mov_b64 s[12:13], 0
	s_waitcnt lgkmcnt(0)
	s_cmp_lg_u64 s[6:7], 0
	s_cselect_b64 s[16:17], -1, 0
	s_and_b64 vcc, exec, s[16:17]
	s_cbranch_vccz .LBB959_7
; %bb.1:
	s_add_i32 s14, s8, 1
	s_mov_b32 s15, 0
	s_lshl_b64 s[18:19], s[14:15], 2
	s_add_u32 s18, s6, s18
	s_mov_b32 s9, s15
	s_addc_u32 s19, s7, s19
	s_lshl_b64 s[14:15], s[8:9], 2
	s_add_u32 s14, s6, s14
	s_addc_u32 s15, s7, s15
	s_load_dword s11, s[18:19], 0x0
	s_load_dword s20, s[14:15], 0x0
	s_waitcnt lgkmcnt(0)
	s_sub_i32 s11, s11, s20
	s_cmp_eq_u32 s11, 1
	s_cselect_b64 s[14:15], -1, 0
	s_andn2_b64 vcc, exec, s[12:13]
	s_cbranch_vccnz .LBB959_3
.LBB959_2:
	s_mov_b32 s9, 0
	s_mov_b64 s[14:15], -1
.LBB959_3:
	s_andn2_b64 vcc, exec, s[14:15]
	s_cbranch_vccnz .LBB959_597
; %bb.4:
	s_load_dwordx2 s[12:13], s[4:5], 0x28
	s_lshl_b64 s[18:19], s[8:9], 2
	s_waitcnt lgkmcnt(0)
	s_add_u32 s12, s12, s18
	s_addc_u32 s13, s13, s19
	s_load_dword s33, s[12:13], 0x0
	s_lshl_b32 s20, s24, 8
	s_waitcnt lgkmcnt(0)
	s_cmp_ge_i32 s20, s33
	s_cbranch_scc1 .LBB959_597
; %bb.5:
	s_add_i32 s14, s33, 31
	s_load_dwordx2 s[12:13], s[4:5], 0x20
	s_load_dword s11, s[4:5], 0x38
	s_ashr_i32 s15, s14, 31
	v_and_b32_e32 v1, 0xcf, v0
	s_lshr_b32 s15, s15, 27
	v_add_u32_e32 v1, s20, v1
	s_add_i32 s14, s14, s15
	v_ashrrev_i32_e32 v2, 31, v1
	s_ashr_i32 s22, s14, 5
	v_lshrrev_b32_e32 v10, 27, v2
	s_add_i32 s22, s22, -1
	v_add_u32_e32 v2, v1, v10
	s_waitcnt lgkmcnt(0)
	s_mul_i32 s14, s8, s11
	s_mov_b32 s15, 0
	v_ashrrev_i32_e32 v2, 5, v2
	v_mov_b32_e32 v11, s22
	v_cmp_gt_i32_e32 vcc, s33, v1
	s_lshl_b64 s[14:15], s[14:15], 2
	v_cndmask_b32_e32 v2, v11, v2, vcc
	s_add_u32 s11, s12, s14
	v_ashrrev_i32_e32 v3, 31, v2
	s_addc_u32 s21, s13, s15
	v_lshlrev_b64 v[2:3], 2, v[2:3]
	v_mov_b32_e32 v5, s21
	v_add_co_u32_e32 v4, vcc, s11, v2
	v_or_b32_e32 v2, 16, v1
	v_addc_co_u32_e32 v5, vcc, v5, v3, vcc
	v_add_u32_e32 v3, v2, v10
	v_ashrrev_i32_e32 v3, 5, v3
	v_cmp_gt_i32_e32 vcc, s33, v2
	v_cndmask_b32_e32 v2, v11, v3, vcc
	v_ashrrev_i32_e32 v3, 31, v2
	v_lshlrev_b64 v[2:3], 2, v[2:3]
	v_mov_b32_e32 v7, s21
	v_add_co_u32_e32 v6, vcc, s11, v2
	v_or_b32_e32 v2, 32, v1
	v_addc_co_u32_e32 v7, vcc, v7, v3, vcc
	v_add_u32_e32 v3, v2, v10
	v_ashrrev_i32_e32 v3, 5, v3
	v_cmp_gt_i32_e32 vcc, s33, v2
	v_cndmask_b32_e32 v2, v11, v3, vcc
	v_ashrrev_i32_e32 v3, 31, v2
	;; [unrolled: 10-line block ×3, first 2 shown]
	v_lshlrev_b64 v[2:3], 2, v[2:3]
	v_mov_b32_e32 v1, s21
	v_add_co_u32_e32 v12, vcc, s11, v2
	v_addc_co_u32_e32 v13, vcc, v1, v3, vcc
	global_load_dword v2, v[4:5], off
	global_load_dword v10, v[6:7], off
	;; [unrolled: 1-line block ×4, first 2 shown]
	s_load_dwordx4 s[12:15], s[4:5], 0x8
	s_andn2_b64 vcc, exec, s[16:17]
	s_cbranch_vccnz .LBB959_8
; %bb.6:
	s_add_u32 s6, s6, s18
	s_addc_u32 s7, s7, s19
	s_load_dword s16, s[6:7], 0x0
	s_branch .LBB959_9
.LBB959_7:
	s_mov_b64 s[14:15], 0
	s_branch .LBB959_2
.LBB959_8:
	s_mov_b32 s16, s8
.LBB959_9:
	s_load_dwordx2 s[48:49], s[4:5], 0x68
	s_load_dwordx8 s[40:47], s[4:5], 0x48
	v_lshrrev_b32_e32 v65, 6, v0
	v_bfe_u32 v54, v0, 4, 2
	v_and_b32_e32 v55, 15, v0
	v_lshl_or_b32 v3, v65, 2, v54
	v_lshlrev_b32_e32 v1, 3, v55
	s_lshl_b32 s25, s10, 1
	v_cmp_gt_u32_e32 vcc, 2, v3
	v_lshlrev_b32_e32 v1, 1, v1
	v_lshlrev_b32_e32 v56, 4, v0
	s_and_saveexec_b64 s[6:7], vcc
	s_cbranch_execz .LBB959_11
; %bb.10:
	s_load_dwordx2 s[18:19], s[4:5], 0x0
	s_waitcnt lgkmcnt(0)
	s_ashr_i32 s17, s40, 31
	s_mul_hi_u32 s23, s16, s40
	s_mul_i32 s17, s16, s17
	s_add_i32 s17, s23, s17
	s_mul_i32 s16, s16, s40
	s_lshl_b64 s[16:17], s[16:17], 1
	v_add_lshl_u32 v4, v54, s25, 7
	s_add_u32 s16, s18, s16
	v_ashrrev_i32_e32 v5, 31, v4
	s_addc_u32 s17, s19, s17
	v_lshlrev_b64 v[4:5], 1, v[4:5]
	v_mov_b32_e32 v6, s17
	v_add_co_u32_e32 v4, vcc, s16, v4
	v_addc_co_u32_e32 v5, vcc, v6, v5, vcc
	v_add_co_u32_e32 v4, vcc, v4, v1
	v_addc_co_u32_e32 v5, vcc, 0, v5, vcc
	global_load_dwordx4 v[4:7], v[4:5], off
	v_lshlrev_b32_e32 v9, 8, v0
	v_lshlrev_b32_e32 v8, 8, v55
	v_and_b32_e32 v9, 0x600, v9
	s_movk_i32 s16, 0x800
	v_and_or_b32 v8, v8, s16, v9
	v_lshlrev_b32_e32 v3, 5, v3
	v_and_b32_e32 v9, 16, v56
	v_or3_b32 v3, v8, v3, v9
	s_waitcnt vmcnt(0)
	ds_write_b128 v3, v[4:7]
.LBB959_11:
	s_or_b64 exec, exec, s[6:7]
	s_waitcnt lgkmcnt(0)
	s_mul_i32 s10, s10, s42
	s_add_u32 s6, s12, s10
	s_addc_u32 s7, s13, 0
	v_and_b32_e32 v3, 48, v0
	s_ashr_i32 s12, s20, 31
	v_or_b32_e32 v11, s20, v3
	s_lshr_b32 s12, s12, 27
	v_add_u32_e32 v4, s12, v11
	v_ashrrev_i32_e32 v4, 5, v4
	v_mov_b32_e32 v12, s22
	v_cmp_gt_i32_e32 vcc, s33, v11
	v_cndmask_b32_e32 v4, v12, v4, vcc
	v_ashrrev_i32_e32 v5, 31, v4
	v_lshlrev_b64 v[4:5], 2, v[4:5]
	v_mov_b32_e32 v6, s21
	v_add_co_u32_e32 v4, vcc, s11, v4
	v_addc_co_u32_e32 v5, vcc, v6, v5, vcc
	v_or_b32_e32 v6, 64, v11
	v_add_u32_e32 v7, s12, v6
	v_ashrrev_i32_e32 v7, 5, v7
	v_cmp_gt_i32_e32 vcc, s33, v6
	v_cndmask_b32_e32 v6, v12, v7, vcc
	v_ashrrev_i32_e32 v7, 31, v6
	v_lshlrev_b64 v[6:7], 2, v[6:7]
	v_mov_b32_e32 v8, s21
	v_add_co_u32_e32 v6, vcc, s11, v6
	v_addc_co_u32_e32 v7, vcc, v8, v7, vcc
	v_or_b32_e32 v8, 0x80, v11
	v_add_u32_e32 v9, s12, v8
	v_ashrrev_i32_e32 v9, 5, v9
	v_cmp_gt_i32_e32 vcc, s33, v8
	v_cndmask_b32_e32 v8, v12, v9, vcc
	v_ashrrev_i32_e32 v9, 31, v8
	v_lshlrev_b64 v[8:9], 2, v[8:9]
	v_mov_b32_e32 v13, s21
	v_add_co_u32_e32 v8, vcc, s11, v8
	s_load_dwordx2 s[50:51], s[4:5], 0x94
	s_waitcnt lgkmcnt(0)
	s_barrier
	v_addc_co_u32_e32 v9, vcc, v13, v9, vcc
	global_load_dword v50, v[4:5], off
	global_load_dword v57, v[6:7], off
	;; [unrolled: 1-line block ×3, first 2 shown]
	v_or_b32_e32 v4, 0xc0, v11
	v_add_u32_e32 v5, s12, v4
	v_ashrrev_i32_e32 v5, 5, v5
	v_cmp_gt_i32_e32 vcc, s33, v4
	v_cndmask_b32_e32 v4, v12, v5, vcc
	v_ashrrev_i32_e32 v5, 31, v4
	v_lshlrev_b64 v[4:5], 2, v[4:5]
	v_mov_b32_e32 v6, s21
	v_add_co_u32_e32 v4, vcc, s11, v4
	v_addc_co_u32_e32 v5, vcc, v6, v5, vcc
	global_load_dword v63, v[4:5], off
	v_pk_mov_b32 v[24:25], s[6:7], s[6:7] op_sel:[0,1]
	v_lshlrev_b32_e32 v28, 5, v3
	s_waitcnt vmcnt(7)
	v_mad_i64_i32 v[2:3], s[6:7], v2, s41, v[24:25]
	v_lshlrev_b32_e32 v23, 4, v55
	v_add_co_u32_e32 v2, vcc, v2, v23
	v_addc_co_u32_e32 v3, vcc, 0, v3, vcc
	v_add_co_u32_e32 v12, vcc, v2, v28
	v_addc_co_u32_e32 v13, vcc, 0, v3, vcc
	s_waitcnt vmcnt(6)
	v_mad_i64_i32 v[10:11], s[6:7], v10, s41, v[24:25]
	v_or_b32_e32 v29, 0x100, v23
	v_add_co_u32_e32 v10, vcc, v10, v29
	v_addc_co_u32_e32 v11, vcc, 0, v11, vcc
	v_add_co_u32_e32 v20, vcc, v10, v28
	v_addc_co_u32_e32 v21, vcc, 0, v11, vcc
	s_waitcnt vmcnt(5)
	v_mad_i64_i32 v[18:19], s[6:7], v18, s41, v[24:25]
	v_add_co_u32_e32 v18, vcc, v18, v23
	v_addc_co_u32_e32 v19, vcc, 0, v19, vcc
	v_add_co_u32_e32 v26, vcc, v18, v28
	v_addc_co_u32_e32 v27, vcc, 0, v19, vcc
	s_waitcnt vmcnt(4)
	v_mad_i64_i32 v[22:23], s[6:7], v22, s41, v[24:25]
	v_add_co_u32_e32 v22, vcc, v22, v29
	v_addc_co_u32_e32 v23, vcc, 0, v23, vcc
	v_add_co_u32_e32 v30, vcc, v22, v28
	v_addc_co_u32_e32 v31, vcc, 0, v23, vcc
	s_add_u32 s6, s14, s10
	global_load_dwordx4 v[6:9], v[12:13], off
	global_load_dwordx4 v[2:5], v[12:13], off offset:2048
	s_nop 0
	global_load_dwordx4 v[10:13], v[20:21], off
	global_load_dwordx4 v[14:17], v[20:21], off offset:2048
	global_load_dwordx4 v[34:37], v[26:27], off
	s_nop 0
	global_load_dwordx4 v[18:21], v[26:27], off offset:2048
	s_nop 0
	global_load_dwordx4 v[26:29], v[30:31], off
	global_load_dwordx4 v[22:25], v[30:31], off offset:2048
	s_addc_u32 s7, s15, 0
	v_and_b32_e32 v30, 16, v0
	v_mov_b32_e32 v31, s7
	v_add_co_u32_e32 v51, vcc, s6, v30
	v_lshl_or_b32 v66, v65, 4, v55
	v_addc_co_u32_e32 v52, vcc, 0, v31, vcc
	v_lshlrev_b32_e32 v53, 5, v66
	v_add_co_u32_e32 v42, vcc, v51, v53
	v_addc_co_u32_e32 v43, vcc, 0, v52, vcc
	v_or_b32_e32 v53, 0x800, v53
	v_add_co_u32_e32 v58, vcc, v51, v53
	s_waitcnt vmcnt(11)
	v_mad_i64_i32 v[30:31], s[6:7], v50, s41, v[42:43]
	s_waitcnt vmcnt(10)
	v_mad_i64_i32 v[38:39], s[6:7], v57, s41, v[42:43]
	;; [unrolled: 2-line block ×3, first 2 shown]
	global_load_dwordx4 v[30:33], v[30:31], off
	v_addc_co_u32_e32 v59, vcc, 0, v52, vcc
	global_load_dwordx4 v[38:41], v[38:39], off
	v_mad_i64_i32 v[60:61], s[6:7], v57, s41, v[58:59]
	v_mad_i64_i32 v[50:51], s[6:7], v50, s41, v[58:59]
	s_waitcnt vmcnt(10)
	v_mad_i64_i32 v[42:43], s[6:7], v63, s41, v[42:43]
	global_load_dwordx4 v[46:49], v[44:45], off
	s_nop 0
	global_load_dwordx4 v[42:45], v[42:43], off
	v_and_b32_e32 v57, 63, v0
	global_load_dwordx4 v[68:71], v[60:61], off
	v_mad_i64_i32 v[60:61], s[6:7], v62, s41, v[58:59]
	v_mad_i64_i32 v[58:59], s[6:7], v63, s41, v[58:59]
	global_load_dwordx4 v[50:53], v[50:51], off
	s_mov_b32 s12, 0
	global_load_dwordx4 v[76:79], v[58:59], off
	global_load_dwordx4 v[72:75], v[60:61], off
	s_movk_i32 s13, 0x80
	s_movk_i32 s14, 0x7f
	s_mov_b32 s15, 0xffffff
	s_mov_b32 s16, 0x5040100
	s_waitcnt vmcnt(15)
	buffer_store_dword v9, off, s[0:3], 0 offset:12
	buffer_store_dword v8, off, s[0:3], 0 offset:8
	;; [unrolled: 1-line block ×3, first 2 shown]
	buffer_store_dword v6, off, s[0:3], 0
	s_waitcnt vmcnt(18)
	buffer_store_dword v5, off, s[0:3], 0 offset:28
	buffer_store_dword v4, off, s[0:3], 0 offset:24
	;; [unrolled: 1-line block ×4, first 2 shown]
	s_waitcnt vmcnt(21)
	buffer_store_dword v13, off, s[0:3], 0 offset:44
	buffer_store_dword v12, off, s[0:3], 0 offset:40
	;; [unrolled: 1-line block ×4, first 2 shown]
	s_load_dword s6, s[4:5], 0x1c
	s_load_dwordx4 s[40:43], s[4:5], 0x80
	v_mov_b32_e32 v2, 0x80
	v_add_u32_e32 v58, 16, v2
	v_add_u32_e32 v64, 32, v2
	;; [unrolled: 1-line block ×7, first 2 shown]
	v_and_b32_e32 v2, 1, v0
	v_lshlrev_b32_e32 v2, 5, v2
	s_waitcnt vmcnt(24)
	buffer_store_dword v17, off, s[0:3], 0 offset:60
	buffer_store_dword v16, off, s[0:3], 0 offset:56
	;; [unrolled: 1-line block ×4, first 2 shown]
	s_waitcnt vmcnt(27)
	buffer_store_dword v37, off, s[0:3], 0 offset:76
	buffer_store_dword v36, off, s[0:3], 0 offset:72
	;; [unrolled: 1-line block ×4, first 2 shown]
	v_lshl_or_b32 v14, v54, 9, v2
	ds_read_b128 v[2:5], v14
	ds_read_b128 v[6:9], v14 offset:16
	ds_read_b128 v[10:13], v14 offset:2048
	;; [unrolled: 1-line block ×3, first 2 shown]
	s_waitcnt vmcnt(30)
	buffer_store_dword v21, off, s[0:3], 0 offset:92
	buffer_store_dword v20, off, s[0:3], 0 offset:88
	buffer_store_dword v19, off, s[0:3], 0 offset:84
	buffer_store_dword v18, off, s[0:3], 0 offset:80
	s_waitcnt vmcnt(33)
	buffer_store_dword v29, off, s[0:3], 0 offset:108
	buffer_store_dword v28, off, s[0:3], 0 offset:104
	buffer_store_dword v27, off, s[0:3], 0 offset:100
	buffer_store_dword v26, off, s[0:3], 0 offset:96
	;; [unrolled: 5-line block ×8, first 2 shown]
	buffer_store_dword v71, off, s[0:3], 0 offset:188
	buffer_store_dword v70, off, s[0:3], 0 offset:184
	;; [unrolled: 1-line block ×4, first 2 shown]
	s_waitcnt vmcnt(56)
	buffer_store_dword v75, off, s[0:3], 0 offset:220
	buffer_store_dword v74, off, s[0:3], 0 offset:216
	;; [unrolled: 1-line block ×5, first 2 shown]
	s_waitcnt lgkmcnt(0)
	s_load_dword s4, s[40:41], 0x0
	v_mov_b32_e32 v18, s6
	v_mov_b32_e32 v27, 0
	;; [unrolled: 1-line block ×4, first 2 shown]
	s_waitcnt lgkmcnt(0)
	v_mul_f32_e32 v22, s4, v18
	v_mov_b32_e32 v24, v22
	v_mov_b32_e32 v25, v22
	v_bfrev_b32_e32 v33, 60
	buffer_store_dword v78, off, s[0:3], 0 offset:248
	buffer_store_dword v77, off, s[0:3], 0 offset:244
	;; [unrolled: 1-line block ×3, first 2 shown]
	s_branch .LBB959_15
.LBB959_12:                             ;   in Loop: Header=BB959_15 Depth=1
	s_or_b64 exec, exec, s[10:11]
.LBB959_13:                             ;   in Loop: Header=BB959_15 Depth=1
	s_or_b64 exec, exec, s[6:7]
.LBB959_14:                             ;   in Loop: Header=BB959_15 Depth=1
	s_or_b64 exec, exec, s[4:5]
	v_perm_b32 v41, v36, v32, s16
	v_perm_b32 v40, v23, v34, s16
	;; [unrolled: 1-line block ×4, first 2 shown]
	v_add_u32_e32 v26, s12, v29
	v_mfma_f32_16x16x16bf16_1k v[18:21], v[40:41], v[14:15], v[18:21]
	s_add_i32 s12, s12, 16
	v_mov_b32_e32 v23, v22
	s_cmp_eq_u32 s12, 64
	v_add_u32_e32 v27, 32, v27
	v_mfma_f32_16x16x16bf16_1k v[18:21], v[36:37], v[16:17], v[18:21]
	s_nop 7
	s_nop 2
	v_pk_mul_f32 v[18:19], v[24:25], v[18:19]
	v_pk_mul_f32 v[20:21], v[22:23], v[20:21]
	buffer_store_dword v19, v26, s[0:3], 0 offen offset:4
	buffer_store_dword v18, v26, s[0:3], 0 offen
	buffer_store_dword v21, v26, s[0:3], 0 offen offset:12
	buffer_store_dword v20, v26, s[0:3], 0 offen offset:8
	s_cbranch_scc1 .LBB959_205
.LBB959_15:                             ; =>This Inner Loop Header: Depth=1
	buffer_load_dword v20, v27, s[0:3], 0 offen
	buffer_load_dword v18, v27, s[0:3], 0 offen offset:4
	buffer_load_dword v28, v27, s[0:3], 0 offen offset:8
	;; [unrolled: 1-line block ×3, first 2 shown]
	v_mov_b32_e32 v19, 0
	s_waitcnt vmcnt(3)
	v_cmp_ne_u16_sdwa s[6:7], v20, v31 src0_sel:BYTE_0 src1_sel:DWORD
	s_and_saveexec_b64 s[4:5], s[6:7]
	s_cbranch_execz .LBB959_21
; %bb.16:                               ;   in Loop: Header=BB959_15 Depth=1
	v_cmp_ne_u16_sdwa s[10:11], v20, s13 src0_sel:BYTE_0 src1_sel:DWORD
	v_mov_b32_e32 v19, 0xffff8000
	s_and_saveexec_b64 s[6:7], s[10:11]
	s_cbranch_execz .LBB959_20
; %bb.17:                               ;   in Loop: Header=BB959_15 Depth=1
	v_and_b32_e32 v21, 0x7f, v20
	v_cmp_ne_u32_e32 vcc, s14, v21
	v_mov_b32_e32 v19, 0x7f80
	s_and_saveexec_b64 s[10:11], vcc
	s_cbranch_execz .LBB959_19
; %bb.18:                               ;   in Loop: Header=BB959_15 Depth=1
	v_and_b32_e32 v19, 7, v20
	v_ffbh_u32_e32 v30, v19
	v_min_u32_e32 v30, 32, v30
	v_subrev_u32_e32 v32, 28, v30
	v_lshlrev_b64 v[34:35], v32, v[20:21]
	v_lshrrev_b32_e32 v23, 3, v21
	v_sub_u32_e32 v30, 29, v30
	v_and_b32_e32 v32, 7, v34
	v_cmp_gt_u32_e32 vcc, 8, v21
	v_cndmask_b32_e32 v21, v23, v30, vcc
	v_cndmask_b32_e32 v19, v19, v32, vcc
	v_lshlrev_b32_e32 v23, 24, v20
	v_lshlrev_b32_e32 v19, 20, v19
	v_and_b32_e32 v23, 0x80000000, v23
	v_lshl_add_u32 v21, v21, 23, v33
	v_or3_b32 v19, v23, v21, v19
	v_lshrrev_b32_e32 v19, 16, v19
.LBB959_19:                             ;   in Loop: Header=BB959_15 Depth=1
	s_or_b64 exec, exec, s[10:11]
.LBB959_20:                             ;   in Loop: Header=BB959_15 Depth=1
	s_or_b64 exec, exec, s[6:7]
.LBB959_21:                             ;   in Loop: Header=BB959_15 Depth=1
	s_or_b64 exec, exec, s[4:5]
	v_lshrrev_b16_e32 v30, 8, v20
	v_cmp_ne_u16_e32 vcc, 0, v30
	v_mov_b32_e32 v23, 0
	v_mov_b32_e32 v21, 0
	s_and_saveexec_b64 s[4:5], vcc
	s_cbranch_execz .LBB959_27
; %bb.22:                               ;   in Loop: Header=BB959_15 Depth=1
	v_cmp_ne_u16_e32 vcc, s13, v30
	v_mov_b32_e32 v21, 0xffff8000
	s_and_saveexec_b64 s[6:7], vcc
	s_cbranch_execz .LBB959_26
; %bb.23:                               ;   in Loop: Header=BB959_15 Depth=1
	v_and_b32_e32 v32, 0x7f, v30
	v_cmp_ne_u32_e32 vcc, s14, v32
	v_mov_b32_e32 v21, 0x7f80
	s_and_saveexec_b64 s[10:11], vcc
	s_cbranch_execz .LBB959_25
; %bb.24:                               ;   in Loop: Header=BB959_15 Depth=1
	v_and_b32_e32 v21, 7, v30
	v_ffbh_u32_e32 v34, v21
	v_min_u32_e32 v37, 32, v34
	v_subrev_u32_e32 v34, 28, v37
	v_lshlrev_b64 v[34:35], v34, v[30:31]
	v_lshrrev_b32_e32 v36, 3, v32
	v_sub_u32_e32 v30, 29, v37
	v_and_b32_e32 v34, 7, v34
	v_cmp_gt_u32_e32 vcc, 8, v32
	v_cndmask_b32_e32 v30, v36, v30, vcc
	v_cndmask_b32_e32 v21, v21, v34, vcc
	v_lshlrev_b32_e32 v32, 16, v20
	v_lshlrev_b32_e32 v21, 20, v21
	v_and_b32_e32 v32, 0x80000000, v32
	v_lshl_add_u32 v30, v30, 23, v33
	v_or3_b32 v21, v32, v30, v21
	v_lshrrev_b32_e32 v21, 16, v21
.LBB959_25:                             ;   in Loop: Header=BB959_15 Depth=1
	s_or_b64 exec, exec, s[10:11]
.LBB959_26:                             ;   in Loop: Header=BB959_15 Depth=1
	s_or_b64 exec, exec, s[6:7]
.LBB959_27:                             ;   in Loop: Header=BB959_15 Depth=1
	s_or_b64 exec, exec, s[4:5]
	v_lshrrev_b32_e32 v30, 16, v20
	v_cmp_ne_u16_sdwa s[6:7], v30, v31 src0_sel:BYTE_0 src1_sel:DWORD
	s_and_saveexec_b64 s[4:5], s[6:7]
	s_cbranch_execz .LBB959_33
; %bb.28:                               ;   in Loop: Header=BB959_15 Depth=1
	v_cmp_ne_u16_sdwa s[10:11], v30, s13 src0_sel:BYTE_0 src1_sel:DWORD
	v_mov_b32_e32 v23, 0xffff8000
	s_and_saveexec_b64 s[6:7], s[10:11]
	s_cbranch_execz .LBB959_32
; %bb.29:                               ;   in Loop: Header=BB959_15 Depth=1
	v_bfe_u32 v32, v20, 16, 7
	v_cmp_ne_u32_e32 vcc, s14, v32
	v_mov_b32_e32 v23, 0x7f80
	s_and_saveexec_b64 s[10:11], vcc
	s_cbranch_execz .LBB959_31
; %bb.30:                               ;   in Loop: Header=BB959_15 Depth=1
	v_and_b32_e32 v23, 7, v30
	v_ffbh_u32_e32 v34, v23
	v_min_u32_e32 v37, 32, v34
	v_subrev_u32_e32 v34, 28, v37
	v_lshlrev_b64 v[34:35], v34, v[30:31]
	v_lshrrev_b32_e32 v36, 3, v32
	v_sub_u32_e32 v35, 29, v37
	v_and_b32_e32 v34, 7, v34
	v_cmp_gt_u32_e32 vcc, 8, v32
	v_cndmask_b32_e32 v32, v36, v35, vcc
	v_cndmask_b32_e32 v23, v23, v34, vcc
	v_lshlrev_b32_e32 v30, 24, v30
	v_lshlrev_b32_e32 v23, 20, v23
	v_and_b32_e32 v30, 0x80000000, v30
	v_lshl_add_u32 v32, v32, 23, v33
	v_or3_b32 v23, v30, v32, v23
	v_lshrrev_b32_e32 v23, 16, v23
.LBB959_31:                             ;   in Loop: Header=BB959_15 Depth=1
	s_or_b64 exec, exec, s[10:11]
.LBB959_32:                             ;   in Loop: Header=BB959_15 Depth=1
	s_or_b64 exec, exec, s[6:7]
.LBB959_33:                             ;   in Loop: Header=BB959_15 Depth=1
	s_or_b64 exec, exec, s[4:5]
	v_cmp_lt_u32_e32 vcc, s15, v20
	v_mov_b32_e32 v34, 0
	v_mov_b32_e32 v35, 0
	s_and_saveexec_b64 s[4:5], vcc
	s_cbranch_execz .LBB959_39
; %bb.34:                               ;   in Loop: Header=BB959_15 Depth=1
	v_lshrrev_b32_e32 v30, 24, v20
	v_cmp_ne_u32_e32 vcc, s13, v30
	v_mov_b32_e32 v35, 0xffff8000
	s_and_saveexec_b64 s[6:7], vcc
	s_cbranch_execz .LBB959_38
; %bb.35:                               ;   in Loop: Header=BB959_15 Depth=1
	v_bfe_u32 v20, v20, 24, 7
	v_cmp_ne_u32_e32 vcc, s14, v20
	v_mov_b32_e32 v35, 0x7f80
	s_and_saveexec_b64 s[10:11], vcc
	s_cbranch_execz .LBB959_37
; %bb.36:                               ;   in Loop: Header=BB959_15 Depth=1
	v_and_b32_e32 v32, 7, v30
	v_ffbh_u32_e32 v36, v32
	v_min_u32_e32 v38, 32, v36
	v_subrev_u32_e32 v36, 28, v38
	v_lshlrev_b64 v[36:37], v36, v[30:31]
	v_lshrrev_b32_e32 v35, 3, v20
	v_sub_u32_e32 v37, 29, v38
	v_and_b32_e32 v36, 7, v36
	v_cmp_gt_u32_e32 vcc, 8, v20
	v_cndmask_b32_e32 v20, v35, v37, vcc
	v_cndmask_b32_e32 v32, v32, v36, vcc
	v_lshlrev_b32_e32 v30, 24, v30
	v_lshlrev_b32_e32 v32, 20, v32
	v_and_b32_e32 v30, 0x80000000, v30
	v_lshl_add_u32 v20, v20, 23, v33
	v_or3_b32 v20, v30, v20, v32
	v_lshrrev_b32_e32 v35, 16, v20
.LBB959_37:                             ;   in Loop: Header=BB959_15 Depth=1
	s_or_b64 exec, exec, s[10:11]
.LBB959_38:                             ;   in Loop: Header=BB959_15 Depth=1
	s_or_b64 exec, exec, s[6:7]
.LBB959_39:                             ;   in Loop: Header=BB959_15 Depth=1
	s_or_b64 exec, exec, s[4:5]
	s_waitcnt vmcnt(2)
	v_cmp_ne_u16_sdwa s[6:7], v18, v31 src0_sel:BYTE_0 src1_sel:DWORD
	s_and_saveexec_b64 s[4:5], s[6:7]
	s_cbranch_execz .LBB959_45
; %bb.40:                               ;   in Loop: Header=BB959_15 Depth=1
	v_cmp_ne_u16_sdwa s[10:11], v18, s13 src0_sel:BYTE_0 src1_sel:DWORD
	v_mov_b32_e32 v34, 0xffff8000
	s_and_saveexec_b64 s[6:7], s[10:11]
	s_cbranch_execz .LBB959_44
; %bb.41:                               ;   in Loop: Header=BB959_15 Depth=1
	v_and_b32_e32 v20, 0x7f, v18
	v_cmp_ne_u32_e32 vcc, s14, v20
	v_mov_b32_e32 v34, 0x7f80
	s_and_saveexec_b64 s[10:11], vcc
	s_cbranch_execz .LBB959_43
; %bb.42:                               ;   in Loop: Header=BB959_15 Depth=1
	v_and_b32_e32 v30, 7, v18
	v_ffbh_u32_e32 v34, v30
	v_min_u32_e32 v34, 32, v34
	v_subrev_u32_e32 v36, 28, v34
	v_lshlrev_b64 v[36:37], v36, v[18:19]
	v_lshrrev_b32_e32 v32, 3, v20
	v_sub_u32_e32 v34, 29, v34
	v_and_b32_e32 v36, 7, v36
	v_cmp_gt_u32_e32 vcc, 8, v20
	v_cndmask_b32_e32 v20, v32, v34, vcc
	v_cndmask_b32_e32 v30, v30, v36, vcc
	v_lshlrev_b32_e32 v32, 24, v18
	v_lshlrev_b32_e32 v30, 20, v30
	v_and_b32_e32 v32, 0x80000000, v32
	v_lshl_add_u32 v20, v20, 23, v33
	v_or3_b32 v20, v32, v20, v30
	v_lshrrev_b32_e32 v34, 16, v20
.LBB959_43:                             ;   in Loop: Header=BB959_15 Depth=1
	s_or_b64 exec, exec, s[10:11]
.LBB959_44:                             ;   in Loop: Header=BB959_15 Depth=1
	s_or_b64 exec, exec, s[6:7]
.LBB959_45:                             ;   in Loop: Header=BB959_15 Depth=1
	s_or_b64 exec, exec, s[4:5]
	v_lshrrev_b16_e32 v20, 8, v18
	v_cmp_ne_u16_e32 vcc, 0, v20
	v_mov_b32_e32 v36, 0
	v_mov_b32_e32 v30, 0
	s_and_saveexec_b64 s[4:5], vcc
	s_cbranch_execz .LBB959_51
; %bb.46:                               ;   in Loop: Header=BB959_15 Depth=1
	v_cmp_ne_u16_e32 vcc, s13, v20
	v_mov_b32_e32 v30, 0xffff8000
	s_and_saveexec_b64 s[6:7], vcc
	s_cbranch_execz .LBB959_50
; %bb.47:                               ;   in Loop: Header=BB959_15 Depth=1
	v_and_b32_e32 v32, 0x7f, v20
	v_cmp_ne_u32_e32 vcc, s14, v32
	v_mov_b32_e32 v30, 0x7f80
	s_and_saveexec_b64 s[10:11], vcc
	s_cbranch_execz .LBB959_49
; %bb.48:                               ;   in Loop: Header=BB959_15 Depth=1
	v_and_b32_e32 v30, 7, v20
	v_ffbh_u32_e32 v38, v30
	v_min_u32_e32 v40, 32, v38
	v_subrev_u32_e32 v38, 28, v40
	v_lshlrev_b64 v[38:39], v38, v[20:21]
	v_lshrrev_b32_e32 v37, 3, v32
	v_sub_u32_e32 v20, 29, v40
	v_and_b32_e32 v38, 7, v38
	v_cmp_gt_u32_e32 vcc, 8, v32
	v_cndmask_b32_e32 v20, v37, v20, vcc
	v_cndmask_b32_e32 v30, v30, v38, vcc
	v_lshlrev_b32_e32 v32, 16, v18
	v_lshlrev_b32_e32 v30, 20, v30
	v_and_b32_e32 v32, 0x80000000, v32
	v_lshl_add_u32 v20, v20, 23, v33
	v_or3_b32 v20, v32, v20, v30
	v_lshrrev_b32_e32 v30, 16, v20
.LBB959_49:                             ;   in Loop: Header=BB959_15 Depth=1
	s_or_b64 exec, exec, s[10:11]
.LBB959_50:                             ;   in Loop: Header=BB959_15 Depth=1
	s_or_b64 exec, exec, s[6:7]
.LBB959_51:                             ;   in Loop: Header=BB959_15 Depth=1
	s_or_b64 exec, exec, s[4:5]
	v_lshrrev_b32_e32 v20, 16, v18
	v_cmp_ne_u16_sdwa s[6:7], v20, v31 src0_sel:BYTE_0 src1_sel:DWORD
	s_and_saveexec_b64 s[4:5], s[6:7]
	s_cbranch_execz .LBB959_57
; %bb.52:                               ;   in Loop: Header=BB959_15 Depth=1
	v_cmp_ne_u16_sdwa s[10:11], v20, s13 src0_sel:BYTE_0 src1_sel:DWORD
	v_mov_b32_e32 v36, 0xffff8000
	s_and_saveexec_b64 s[6:7], s[10:11]
	s_cbranch_execz .LBB959_56
; %bb.53:                               ;   in Loop: Header=BB959_15 Depth=1
	v_bfe_u32 v32, v18, 16, 7
	v_cmp_ne_u32_e32 vcc, s14, v32
	v_mov_b32_e32 v36, 0x7f80
	s_and_saveexec_b64 s[10:11], vcc
	s_cbranch_execz .LBB959_55
; %bb.54:                               ;   in Loop: Header=BB959_15 Depth=1
	v_and_b32_e32 v38, 7, v20
	v_ffbh_u32_e32 v36, v38
	v_min_u32_e32 v40, 32, v36
	v_subrev_u32_e32 v36, 28, v40
	v_lshlrev_b64 v[36:37], v36, v[20:21]
	v_lshrrev_b32_e32 v39, 3, v32
	v_sub_u32_e32 v37, 29, v40
	v_and_b32_e32 v36, 7, v36
	v_cmp_gt_u32_e32 vcc, 8, v32
	v_cndmask_b32_e32 v32, v39, v37, vcc
	v_cndmask_b32_e32 v36, v38, v36, vcc
	v_lshlrev_b32_e32 v20, 24, v20
	v_lshlrev_b32_e32 v36, 20, v36
	v_and_b32_e32 v20, 0x80000000, v20
	v_lshl_add_u32 v32, v32, 23, v33
	v_or3_b32 v20, v20, v32, v36
	v_lshrrev_b32_e32 v36, 16, v20
.LBB959_55:                             ;   in Loop: Header=BB959_15 Depth=1
	s_or_b64 exec, exec, s[10:11]
.LBB959_56:                             ;   in Loop: Header=BB959_15 Depth=1
	s_or_b64 exec, exec, s[6:7]
.LBB959_57:                             ;   in Loop: Header=BB959_15 Depth=1
	s_or_b64 exec, exec, s[4:5]
	v_cmp_lt_u32_e32 vcc, s15, v18
	v_mov_b32_e32 v32, 0
	v_mov_b32_e32 v37, 0
	s_and_saveexec_b64 s[4:5], vcc
	s_cbranch_execz .LBB959_63
; %bb.58:                               ;   in Loop: Header=BB959_15 Depth=1
	v_lshrrev_b32_e32 v20, 24, v18
	v_cmp_ne_u32_e32 vcc, s13, v20
	v_mov_b32_e32 v37, 0xffff8000
	s_and_saveexec_b64 s[6:7], vcc
	s_cbranch_execz .LBB959_62
; %bb.59:                               ;   in Loop: Header=BB959_15 Depth=1
	v_bfe_u32 v18, v18, 24, 7
	v_cmp_ne_u32_e32 vcc, s14, v18
	v_mov_b32_e32 v37, 0x7f80
	s_and_saveexec_b64 s[10:11], vcc
	s_cbranch_execz .LBB959_61
; %bb.60:                               ;   in Loop: Header=BB959_15 Depth=1
	v_and_b32_e32 v37, 7, v20
	v_ffbh_u32_e32 v38, v37
	v_min_u32_e32 v41, 32, v38
	v_subrev_u32_e32 v38, 28, v41
	v_lshlrev_b64 v[38:39], v38, v[20:21]
	v_lshrrev_b32_e32 v40, 3, v18
	v_sub_u32_e32 v39, 29, v41
	v_and_b32_e32 v38, 7, v38
	v_cmp_gt_u32_e32 vcc, 8, v18
	v_cndmask_b32_e32 v18, v40, v39, vcc
	v_cndmask_b32_e32 v37, v37, v38, vcc
	v_lshlrev_b32_e32 v20, 24, v20
	v_lshlrev_b32_e32 v37, 20, v37
	v_and_b32_e32 v20, 0x80000000, v20
	v_lshl_add_u32 v18, v18, 23, v33
	v_or3_b32 v18, v20, v18, v37
	v_lshrrev_b32_e32 v37, 16, v18
.LBB959_61:                             ;   in Loop: Header=BB959_15 Depth=1
	s_or_b64 exec, exec, s[10:11]
.LBB959_62:                             ;   in Loop: Header=BB959_15 Depth=1
	s_or_b64 exec, exec, s[6:7]
.LBB959_63:                             ;   in Loop: Header=BB959_15 Depth=1
	s_or_b64 exec, exec, s[4:5]
	v_perm_b32 v39, v35, v23, s16
	v_perm_b32 v38, v21, v19, s16
	;; [unrolled: 1-line block ×4, first 2 shown]
	s_waitcnt vmcnt(1)
	v_cmp_ne_u16_sdwa s[6:7], v28, v31 src0_sel:BYTE_0 src1_sel:DWORD
	v_mfma_f32_16x16x16bf16_1k v[18:21], v[38:39], v[2:3], 0
	v_mfma_f32_16x16x16bf16_1k v[18:21], v[34:35], v[4:5], v[18:21]
	s_and_saveexec_b64 s[4:5], s[6:7]
	s_cbranch_execz .LBB959_69
; %bb.64:                               ;   in Loop: Header=BB959_15 Depth=1
	v_cmp_ne_u16_sdwa s[10:11], v28, s13 src0_sel:BYTE_0 src1_sel:DWORD
	v_mov_b32_e32 v32, 0xffff8000
	s_and_saveexec_b64 s[6:7], s[10:11]
	s_cbranch_execz .LBB959_68
; %bb.65:                               ;   in Loop: Header=BB959_15 Depth=1
	v_and_b32_e32 v23, 0x7f, v28
	v_cmp_ne_u32_e32 vcc, s14, v23
	v_mov_b32_e32 v32, 0x7f80
	s_and_saveexec_b64 s[10:11], vcc
	s_cbranch_execz .LBB959_67
; %bb.66:                               ;   in Loop: Header=BB959_15 Depth=1
	v_and_b32_e32 v30, 7, v28
	v_ffbh_u32_e32 v34, v30
	v_min_u32_e32 v36, 32, v34
	v_subrev_u32_e32 v34, 28, v36
	v_lshlrev_b64 v[34:35], v34, v[28:29]
	v_lshrrev_b32_e32 v32, 3, v23
	v_sub_u32_e32 v35, 29, v36
	v_and_b32_e32 v34, 7, v34
	v_cmp_gt_u32_e32 vcc, 8, v23
	v_cndmask_b32_e32 v23, v32, v35, vcc
	v_cndmask_b32_e32 v30, v30, v34, vcc
	v_lshlrev_b32_e32 v32, 24, v28
	v_lshlrev_b32_e32 v30, 20, v30
	v_and_b32_e32 v32, 0x80000000, v32
	v_lshl_add_u32 v23, v23, 23, v33
	v_or3_b32 v23, v32, v23, v30
	v_lshrrev_b32_e32 v32, 16, v23
.LBB959_67:                             ;   in Loop: Header=BB959_15 Depth=1
	s_or_b64 exec, exec, s[10:11]
.LBB959_68:                             ;   in Loop: Header=BB959_15 Depth=1
	s_or_b64 exec, exec, s[6:7]
.LBB959_69:                             ;   in Loop: Header=BB959_15 Depth=1
	s_or_b64 exec, exec, s[4:5]
	v_lshrrev_b16_e32 v30, 8, v28
	v_cmp_ne_u16_e32 vcc, 0, v30
	v_mov_b32_e32 v35, 0
	v_mov_b32_e32 v34, 0
	s_and_saveexec_b64 s[4:5], vcc
	s_cbranch_execz .LBB959_75
; %bb.70:                               ;   in Loop: Header=BB959_15 Depth=1
	v_cmp_ne_u16_e32 vcc, s13, v30
	v_mov_b32_e32 v34, 0xffff8000
	s_and_saveexec_b64 s[6:7], vcc
	s_cbranch_execz .LBB959_74
; %bb.71:                               ;   in Loop: Header=BB959_15 Depth=1
	v_and_b32_e32 v23, 0x7f, v30
	v_cmp_ne_u32_e32 vcc, s14, v23
	v_mov_b32_e32 v34, 0x7f80
	s_and_saveexec_b64 s[10:11], vcc
	s_cbranch_execz .LBB959_73
; %bb.72:                               ;   in Loop: Header=BB959_15 Depth=1
	v_and_b32_e32 v34, 7, v30
	v_ffbh_u32_e32 v36, v34
	v_min_u32_e32 v39, 32, v36
	v_subrev_u32_e32 v36, 28, v39
	v_lshlrev_b64 v[36:37], v36, v[30:31]
	v_lshrrev_b32_e32 v38, 3, v23
	v_sub_u32_e32 v30, 29, v39
	v_and_b32_e32 v36, 7, v36
	v_cmp_gt_u32_e32 vcc, 8, v23
	v_cndmask_b32_e32 v23, v38, v30, vcc
	v_cndmask_b32_e32 v30, v34, v36, vcc
	v_lshlrev_b32_e32 v34, 16, v28
	v_lshlrev_b32_e32 v30, 20, v30
	v_and_b32_e32 v34, 0x80000000, v34
	v_lshl_add_u32 v23, v23, 23, v33
	v_or3_b32 v23, v34, v23, v30
	v_lshrrev_b32_e32 v34, 16, v23
.LBB959_73:                             ;   in Loop: Header=BB959_15 Depth=1
	s_or_b64 exec, exec, s[10:11]
.LBB959_74:                             ;   in Loop: Header=BB959_15 Depth=1
	s_or_b64 exec, exec, s[6:7]
.LBB959_75:                             ;   in Loop: Header=BB959_15 Depth=1
	s_or_b64 exec, exec, s[4:5]
	v_lshrrev_b32_e32 v30, 16, v28
	v_cmp_ne_u16_sdwa s[6:7], v30, v31 src0_sel:BYTE_0 src1_sel:DWORD
	s_and_saveexec_b64 s[4:5], s[6:7]
	s_cbranch_execz .LBB959_81
; %bb.76:                               ;   in Loop: Header=BB959_15 Depth=1
	v_cmp_ne_u16_sdwa s[10:11], v30, s13 src0_sel:BYTE_0 src1_sel:DWORD
	v_mov_b32_e32 v35, 0xffff8000
	s_and_saveexec_b64 s[6:7], s[10:11]
	s_cbranch_execz .LBB959_80
; %bb.77:                               ;   in Loop: Header=BB959_15 Depth=1
	v_bfe_u32 v23, v28, 16, 7
	v_cmp_ne_u32_e32 vcc, s14, v23
	v_mov_b32_e32 v35, 0x7f80
	s_and_saveexec_b64 s[10:11], vcc
	s_cbranch_execz .LBB959_79
; %bb.78:                               ;   in Loop: Header=BB959_15 Depth=1
	v_and_b32_e32 v35, 7, v30
	v_ffbh_u32_e32 v36, v35
	v_min_u32_e32 v39, 32, v36
	v_subrev_u32_e32 v36, 28, v39
	v_lshlrev_b64 v[36:37], v36, v[30:31]
	v_lshrrev_b32_e32 v38, 3, v23
	v_sub_u32_e32 v37, 29, v39
	v_and_b32_e32 v36, 7, v36
	v_cmp_gt_u32_e32 vcc, 8, v23
	v_cndmask_b32_e32 v23, v38, v37, vcc
	v_cndmask_b32_e32 v35, v35, v36, vcc
	v_lshlrev_b32_e32 v30, 24, v30
	v_lshlrev_b32_e32 v35, 20, v35
	v_and_b32_e32 v30, 0x80000000, v30
	v_lshl_add_u32 v23, v23, 23, v33
	v_or3_b32 v23, v30, v23, v35
	v_lshrrev_b32_e32 v35, 16, v23
.LBB959_79:                             ;   in Loop: Header=BB959_15 Depth=1
	s_or_b64 exec, exec, s[10:11]
.LBB959_80:                             ;   in Loop: Header=BB959_15 Depth=1
	s_or_b64 exec, exec, s[6:7]
.LBB959_81:                             ;   in Loop: Header=BB959_15 Depth=1
	s_or_b64 exec, exec, s[4:5]
	v_cmp_lt_u32_e32 vcc, s15, v28
	v_mov_b32_e32 v36, 0
	v_mov_b32_e32 v37, 0
	s_and_saveexec_b64 s[4:5], vcc
	s_cbranch_execz .LBB959_87
; %bb.82:                               ;   in Loop: Header=BB959_15 Depth=1
	v_lshrrev_b32_e32 v30, 24, v28
	v_cmp_ne_u32_e32 vcc, s13, v30
	v_mov_b32_e32 v37, 0xffff8000
	s_and_saveexec_b64 s[6:7], vcc
	s_cbranch_execz .LBB959_86
; %bb.83:                               ;   in Loop: Header=BB959_15 Depth=1
	v_bfe_u32 v23, v28, 24, 7
	v_cmp_ne_u32_e32 vcc, s14, v23
	v_mov_b32_e32 v37, 0x7f80
	s_and_saveexec_b64 s[10:11], vcc
	s_cbranch_execz .LBB959_85
; %bb.84:                               ;   in Loop: Header=BB959_15 Depth=1
	v_and_b32_e32 v28, 7, v30
	v_ffbh_u32_e32 v38, v28
	v_min_u32_e32 v40, 32, v38
	v_subrev_u32_e32 v38, 28, v40
	v_lshlrev_b64 v[38:39], v38, v[30:31]
	v_lshrrev_b32_e32 v37, 3, v23
	v_sub_u32_e32 v39, 29, v40
	v_and_b32_e32 v38, 7, v38
	v_cmp_gt_u32_e32 vcc, 8, v23
	v_cndmask_b32_e32 v23, v37, v39, vcc
	v_cndmask_b32_e32 v28, v28, v38, vcc
	v_lshlrev_b32_e32 v30, 24, v30
	v_lshlrev_b32_e32 v28, 20, v28
	v_and_b32_e32 v30, 0x80000000, v30
	v_lshl_add_u32 v23, v23, 23, v33
	v_or3_b32 v23, v30, v23, v28
	v_lshrrev_b32_e32 v37, 16, v23
.LBB959_85:                             ;   in Loop: Header=BB959_15 Depth=1
	s_or_b64 exec, exec, s[10:11]
.LBB959_86:                             ;   in Loop: Header=BB959_15 Depth=1
	s_or_b64 exec, exec, s[6:7]
.LBB959_87:                             ;   in Loop: Header=BB959_15 Depth=1
	s_or_b64 exec, exec, s[4:5]
	s_waitcnt vmcnt(0)
	v_cmp_ne_u16_sdwa s[6:7], v26, v31 src0_sel:BYTE_0 src1_sel:DWORD
	s_and_saveexec_b64 s[4:5], s[6:7]
	s_cbranch_execz .LBB959_93
; %bb.88:                               ;   in Loop: Header=BB959_15 Depth=1
	v_cmp_ne_u16_sdwa s[10:11], v26, s13 src0_sel:BYTE_0 src1_sel:DWORD
	v_mov_b32_e32 v36, 0xffff8000
	s_and_saveexec_b64 s[6:7], s[10:11]
	s_cbranch_execz .LBB959_92
; %bb.89:                               ;   in Loop: Header=BB959_15 Depth=1
	v_and_b32_e32 v23, 0x7f, v26
	v_cmp_ne_u32_e32 vcc, s14, v23
	v_mov_b32_e32 v36, 0x7f80
	s_and_saveexec_b64 s[10:11], vcc
	s_cbranch_execz .LBB959_91
; %bb.90:                               ;   in Loop: Header=BB959_15 Depth=1
	v_and_b32_e32 v28, 7, v26
	v_ffbh_u32_e32 v36, v28
	v_min_u32_e32 v36, 32, v36
	v_subrev_u32_e32 v38, 28, v36
	v_lshlrev_b64 v[38:39], v38, v[26:27]
	v_lshrrev_b32_e32 v30, 3, v23
	v_sub_u32_e32 v36, 29, v36
	v_and_b32_e32 v38, 7, v38
	v_cmp_gt_u32_e32 vcc, 8, v23
	v_cndmask_b32_e32 v23, v30, v36, vcc
	v_cndmask_b32_e32 v28, v28, v38, vcc
	v_lshlrev_b32_e32 v30, 24, v26
	v_lshlrev_b32_e32 v28, 20, v28
	v_and_b32_e32 v30, 0x80000000, v30
	v_lshl_add_u32 v23, v23, 23, v33
	v_or3_b32 v23, v30, v23, v28
	v_lshrrev_b32_e32 v36, 16, v23
.LBB959_91:                             ;   in Loop: Header=BB959_15 Depth=1
	s_or_b64 exec, exec, s[10:11]
.LBB959_92:                             ;   in Loop: Header=BB959_15 Depth=1
	s_or_b64 exec, exec, s[6:7]
.LBB959_93:                             ;   in Loop: Header=BB959_15 Depth=1
	s_or_b64 exec, exec, s[4:5]
	v_lshrrev_b16_e32 v28, 8, v26
	v_cmp_ne_u16_e32 vcc, 0, v28
	v_mov_b32_e32 v39, 0
	v_mov_b32_e32 v38, 0
	s_and_saveexec_b64 s[4:5], vcc
	s_cbranch_execz .LBB959_99
; %bb.94:                               ;   in Loop: Header=BB959_15 Depth=1
	v_cmp_ne_u16_e32 vcc, s13, v28
	v_mov_b32_e32 v38, 0xffff8000
	s_and_saveexec_b64 s[6:7], vcc
	s_cbranch_execz .LBB959_98
; %bb.95:                               ;   in Loop: Header=BB959_15 Depth=1
	v_and_b32_e32 v23, 0x7f, v28
	v_cmp_ne_u32_e32 vcc, s14, v23
	v_mov_b32_e32 v38, 0x7f80
	s_and_saveexec_b64 s[10:11], vcc
	s_cbranch_execz .LBB959_97
; %bb.96:                               ;   in Loop: Header=BB959_15 Depth=1
	v_and_b32_e32 v30, 7, v28
	v_ffbh_u32_e32 v40, v30
	v_min_u32_e32 v42, 32, v40
	v_subrev_u32_e32 v40, 28, v42
	v_lshlrev_b64 v[40:41], v40, v[28:29]
	v_lshrrev_b32_e32 v38, 3, v23
	v_sub_u32_e32 v28, 29, v42
	v_and_b32_e32 v40, 7, v40
	v_cmp_gt_u32_e32 vcc, 8, v23
	v_cndmask_b32_e32 v23, v38, v28, vcc
	v_cndmask_b32_e32 v28, v30, v40, vcc
	v_lshlrev_b32_e32 v30, 16, v26
	v_lshlrev_b32_e32 v28, 20, v28
	v_and_b32_e32 v30, 0x80000000, v30
	v_lshl_add_u32 v23, v23, 23, v33
	v_or3_b32 v23, v30, v23, v28
	v_lshrrev_b32_e32 v38, 16, v23
.LBB959_97:                             ;   in Loop: Header=BB959_15 Depth=1
	s_or_b64 exec, exec, s[10:11]
.LBB959_98:                             ;   in Loop: Header=BB959_15 Depth=1
	s_or_b64 exec, exec, s[6:7]
.LBB959_99:                             ;   in Loop: Header=BB959_15 Depth=1
	s_or_b64 exec, exec, s[4:5]
	v_lshrrev_b32_e32 v28, 16, v26
	v_cmp_ne_u16_sdwa s[6:7], v28, v31 src0_sel:BYTE_0 src1_sel:DWORD
	s_and_saveexec_b64 s[4:5], s[6:7]
	s_cbranch_execz .LBB959_105
; %bb.100:                              ;   in Loop: Header=BB959_15 Depth=1
	v_cmp_ne_u16_sdwa s[10:11], v28, s13 src0_sel:BYTE_0 src1_sel:DWORD
	v_mov_b32_e32 v39, 0xffff8000
	s_and_saveexec_b64 s[6:7], s[10:11]
	s_cbranch_execz .LBB959_104
; %bb.101:                              ;   in Loop: Header=BB959_15 Depth=1
	v_bfe_u32 v23, v26, 16, 7
	v_cmp_ne_u32_e32 vcc, s14, v23
	v_mov_b32_e32 v39, 0x7f80
	s_and_saveexec_b64 s[10:11], vcc
	s_cbranch_execz .LBB959_103
; %bb.102:                              ;   in Loop: Header=BB959_15 Depth=1
	v_and_b32_e32 v30, 7, v28
	v_ffbh_u32_e32 v40, v30
	v_min_u32_e32 v42, 32, v40
	v_subrev_u32_e32 v40, 28, v42
	v_lshlrev_b64 v[40:41], v40, v[28:29]
	v_lshrrev_b32_e32 v39, 3, v23
	v_sub_u32_e32 v41, 29, v42
	v_and_b32_e32 v40, 7, v40
	v_cmp_gt_u32_e32 vcc, 8, v23
	v_cndmask_b32_e32 v23, v39, v41, vcc
	v_cndmask_b32_e32 v30, v30, v40, vcc
	v_lshlrev_b32_e32 v28, 24, v28
	v_lshlrev_b32_e32 v30, 20, v30
	v_and_b32_e32 v28, 0x80000000, v28
	v_lshl_add_u32 v23, v23, 23, v33
	v_or3_b32 v23, v28, v23, v30
	v_lshrrev_b32_e32 v39, 16, v23
.LBB959_103:                            ;   in Loop: Header=BB959_15 Depth=1
	s_or_b64 exec, exec, s[10:11]
.LBB959_104:                            ;   in Loop: Header=BB959_15 Depth=1
	s_or_b64 exec, exec, s[6:7]
.LBB959_105:                            ;   in Loop: Header=BB959_15 Depth=1
	s_or_b64 exec, exec, s[4:5]
	v_cmp_lt_u32_e32 vcc, s15, v26
	v_mov_b32_e32 v23, 0
	v_mov_b32_e32 v40, 0
	s_and_saveexec_b64 s[4:5], vcc
	s_cbranch_execz .LBB959_111
; %bb.106:                              ;   in Loop: Header=BB959_15 Depth=1
	v_lshrrev_b32_e32 v28, 24, v26
	v_cmp_ne_u32_e32 vcc, s13, v28
	v_mov_b32_e32 v40, 0xffff8000
	s_and_saveexec_b64 s[6:7], vcc
	s_cbranch_execz .LBB959_110
; %bb.107:                              ;   in Loop: Header=BB959_15 Depth=1
	v_bfe_u32 v26, v26, 24, 7
	v_cmp_ne_u32_e32 vcc, s14, v26
	v_mov_b32_e32 v40, 0x7f80
	s_and_saveexec_b64 s[10:11], vcc
	s_cbranch_execz .LBB959_109
; %bb.108:                              ;   in Loop: Header=BB959_15 Depth=1
	v_and_b32_e32 v30, 7, v28
	v_ffbh_u32_e32 v40, v30
	v_min_u32_e32 v43, 32, v40
	v_subrev_u32_e32 v40, 28, v43
	v_lshlrev_b64 v[40:41], v40, v[28:29]
	v_lshrrev_b32_e32 v42, 3, v26
	v_sub_u32_e32 v41, 29, v43
	v_and_b32_e32 v40, 7, v40
	v_cmp_gt_u32_e32 vcc, 8, v26
	v_cndmask_b32_e32 v26, v42, v41, vcc
	v_cndmask_b32_e32 v30, v30, v40, vcc
	v_lshlrev_b32_e32 v28, 24, v28
	v_lshlrev_b32_e32 v30, 20, v30
	v_and_b32_e32 v28, 0x80000000, v28
	v_lshl_add_u32 v26, v26, 23, v33
	v_or3_b32 v26, v28, v26, v30
	v_lshrrev_b32_e32 v40, 16, v26
.LBB959_109:                            ;   in Loop: Header=BB959_15 Depth=1
	s_or_b64 exec, exec, s[10:11]
.LBB959_110:                            ;   in Loop: Header=BB959_15 Depth=1
	s_or_b64 exec, exec, s[6:7]
.LBB959_111:                            ;   in Loop: Header=BB959_15 Depth=1
	s_or_b64 exec, exec, s[4:5]
	v_perm_b32 v34, v34, v32, s16
	buffer_load_dword v32, v27, s[0:3], 0 offen offset:16
	buffer_load_dword v30, v27, s[0:3], 0 offen offset:20
	;; [unrolled: 1-line block ×4, first 2 shown]
	v_perm_b32 v35, v37, v35, s16
	s_waitcnt vmcnt(3)
	v_cmp_ne_u16_sdwa s[6:7], v32, v31 src0_sel:BYTE_0 src1_sel:DWORD
	v_mfma_f32_16x16x16bf16_1k v[18:21], v[34:35], v[6:7], v[18:21]
	v_perm_b32 v35, v40, v39, s16
	v_perm_b32 v34, v38, v36, s16
	s_nop 1
	v_mfma_f32_16x16x16bf16_1k v[18:21], v[34:35], v[8:9], v[18:21]
	s_and_saveexec_b64 s[4:5], s[6:7]
	s_cbranch_execz .LBB959_117
; %bb.112:                              ;   in Loop: Header=BB959_15 Depth=1
	v_cmp_ne_u16_sdwa s[10:11], v32, s13 src0_sel:BYTE_0 src1_sel:DWORD
	v_mov_b32_e32 v23, 0xffff8000
	s_and_saveexec_b64 s[6:7], s[10:11]
	s_cbranch_execz .LBB959_116
; %bb.113:                              ;   in Loop: Header=BB959_15 Depth=1
	v_and_b32_e32 v34, 0x7f, v32
	v_cmp_ne_u32_e32 vcc, s14, v34
	v_mov_b32_e32 v23, 0x7f80
	s_and_saveexec_b64 s[10:11], vcc
	s_cbranch_execz .LBB959_115
; %bb.114:                              ;   in Loop: Header=BB959_15 Depth=1
	v_and_b32_e32 v23, 7, v32
	v_ffbh_u32_e32 v36, v23
	v_min_u32_e32 v38, 32, v36
	v_subrev_u32_e32 v36, 28, v38
	v_lshlrev_b64 v[36:37], v36, v[32:33]
	v_lshrrev_b32_e32 v35, 3, v34
	v_sub_u32_e32 v37, 29, v38
	v_and_b32_e32 v36, 7, v36
	v_cmp_gt_u32_e32 vcc, 8, v34
	v_cndmask_b32_e32 v34, v35, v37, vcc
	v_cndmask_b32_e32 v23, v23, v36, vcc
	v_lshlrev_b32_e32 v35, 24, v32
	v_lshlrev_b32_e32 v23, 20, v23
	v_and_b32_e32 v35, 0x80000000, v35
	v_lshl_add_u32 v34, v34, 23, v33
	v_or3_b32 v23, v35, v34, v23
	v_lshrrev_b32_e32 v23, 16, v23
.LBB959_115:                            ;   in Loop: Header=BB959_15 Depth=1
	s_or_b64 exec, exec, s[10:11]
.LBB959_116:                            ;   in Loop: Header=BB959_15 Depth=1
	s_or_b64 exec, exec, s[6:7]
.LBB959_117:                            ;   in Loop: Header=BB959_15 Depth=1
	s_or_b64 exec, exec, s[4:5]
	v_lshrrev_b16_e32 v34, 8, v32
	v_cmp_ne_u16_e32 vcc, 0, v34
	v_mov_b32_e32 v36, 0
	v_mov_b32_e32 v35, 0
	s_and_saveexec_b64 s[4:5], vcc
	s_cbranch_execz .LBB959_123
; %bb.118:                              ;   in Loop: Header=BB959_15 Depth=1
	v_cmp_ne_u16_e32 vcc, s13, v34
	v_mov_b32_e32 v35, 0xffff8000
	s_and_saveexec_b64 s[6:7], vcc
	s_cbranch_execz .LBB959_122
; %bb.119:                              ;   in Loop: Header=BB959_15 Depth=1
	v_and_b32_e32 v37, 0x7f, v34
	v_cmp_ne_u32_e32 vcc, s14, v37
	v_mov_b32_e32 v35, 0x7f80
	s_and_saveexec_b64 s[10:11], vcc
	s_cbranch_execz .LBB959_121
; %bb.120:                              ;   in Loop: Header=BB959_15 Depth=1
	v_and_b32_e32 v38, 7, v34
	v_ffbh_u32_e32 v35, v38
	v_min_u32_e32 v40, 32, v35
	v_subrev_u32_e32 v35, 28, v40
	v_lshlrev_b64 v[34:35], v35, v[34:35]
	v_lshrrev_b32_e32 v39, 3, v37
	v_sub_u32_e32 v35, 29, v40
	v_and_b32_e32 v34, 7, v34
	v_cmp_gt_u32_e32 vcc, 8, v37
	v_cndmask_b32_e32 v35, v39, v35, vcc
	v_cndmask_b32_e32 v34, v38, v34, vcc
	v_lshlrev_b32_e32 v37, 16, v32
	v_lshlrev_b32_e32 v34, 20, v34
	v_and_b32_e32 v37, 0x80000000, v37
	v_lshl_add_u32 v35, v35, 23, v33
	v_or3_b32 v34, v37, v35, v34
	v_lshrrev_b32_e32 v35, 16, v34
.LBB959_121:                            ;   in Loop: Header=BB959_15 Depth=1
	s_or_b64 exec, exec, s[10:11]
.LBB959_122:                            ;   in Loop: Header=BB959_15 Depth=1
	s_or_b64 exec, exec, s[6:7]
.LBB959_123:                            ;   in Loop: Header=BB959_15 Depth=1
	s_or_b64 exec, exec, s[4:5]
	v_lshrrev_b32_e32 v34, 16, v32
	v_cmp_ne_u16_sdwa s[6:7], v34, v31 src0_sel:BYTE_0 src1_sel:DWORD
	s_and_saveexec_b64 s[4:5], s[6:7]
	s_cbranch_execz .LBB959_129
; %bb.124:                              ;   in Loop: Header=BB959_15 Depth=1
	v_cmp_ne_u16_sdwa s[10:11], v34, s13 src0_sel:BYTE_0 src1_sel:DWORD
	v_mov_b32_e32 v36, 0xffff8000
	s_and_saveexec_b64 s[6:7], s[10:11]
	s_cbranch_execz .LBB959_128
; %bb.125:                              ;   in Loop: Header=BB959_15 Depth=1
	v_bfe_u32 v37, v32, 16, 7
	v_cmp_ne_u32_e32 vcc, s14, v37
	v_mov_b32_e32 v36, 0x7f80
	s_and_saveexec_b64 s[10:11], vcc
	s_cbranch_execz .LBB959_127
; %bb.126:                              ;   in Loop: Header=BB959_15 Depth=1
	v_and_b32_e32 v36, 7, v34
	v_ffbh_u32_e32 v38, v36
	v_min_u32_e32 v41, 32, v38
	v_subrev_u32_e32 v38, 28, v41
	v_lshlrev_b64 v[38:39], v38, v[34:35]
	v_lshrrev_b32_e32 v40, 3, v37
	v_sub_u32_e32 v39, 29, v41
	v_and_b32_e32 v38, 7, v38
	v_cmp_gt_u32_e32 vcc, 8, v37
	v_cndmask_b32_e32 v37, v40, v39, vcc
	v_cndmask_b32_e32 v36, v36, v38, vcc
	v_lshlrev_b32_e32 v34, 24, v34
	v_lshlrev_b32_e32 v36, 20, v36
	v_and_b32_e32 v34, 0x80000000, v34
	v_lshl_add_u32 v37, v37, 23, v33
	v_or3_b32 v34, v34, v37, v36
	v_lshrrev_b32_e32 v36, 16, v34
.LBB959_127:                            ;   in Loop: Header=BB959_15 Depth=1
	s_or_b64 exec, exec, s[10:11]
.LBB959_128:                            ;   in Loop: Header=BB959_15 Depth=1
	s_or_b64 exec, exec, s[6:7]
.LBB959_129:                            ;   in Loop: Header=BB959_15 Depth=1
	s_or_b64 exec, exec, s[4:5]
	v_cmp_lt_u32_e32 vcc, s15, v32
	v_mov_b32_e32 v37, 0
	v_mov_b32_e32 v38, 0
	s_and_saveexec_b64 s[4:5], vcc
	s_cbranch_execz .LBB959_135
; %bb.130:                              ;   in Loop: Header=BB959_15 Depth=1
	v_lshrrev_b32_e32 v34, 24, v32
	v_cmp_ne_u32_e32 vcc, s13, v34
	v_mov_b32_e32 v38, 0xffff8000
	s_and_saveexec_b64 s[6:7], vcc
	s_cbranch_execz .LBB959_134
; %bb.131:                              ;   in Loop: Header=BB959_15 Depth=1
	v_bfe_u32 v32, v32, 24, 7
	v_cmp_ne_u32_e32 vcc, s14, v32
	v_mov_b32_e32 v38, 0x7f80
	s_and_saveexec_b64 s[10:11], vcc
	s_cbranch_execz .LBB959_133
; %bb.132:                              ;   in Loop: Header=BB959_15 Depth=1
	v_and_b32_e32 v40, 7, v34
	v_ffbh_u32_e32 v38, v40
	v_min_u32_e32 v42, 32, v38
	v_subrev_u32_e32 v38, 28, v42
	v_lshlrev_b64 v[38:39], v38, v[34:35]
	v_lshrrev_b32_e32 v41, 3, v32
	v_sub_u32_e32 v39, 29, v42
	v_and_b32_e32 v38, 7, v38
	v_cmp_gt_u32_e32 vcc, 8, v32
	v_cndmask_b32_e32 v32, v41, v39, vcc
	v_cndmask_b32_e32 v38, v40, v38, vcc
	v_lshlrev_b32_e32 v34, 24, v34
	v_lshlrev_b32_e32 v38, 20, v38
	v_and_b32_e32 v34, 0x80000000, v34
	v_lshl_add_u32 v32, v32, 23, v33
	v_or3_b32 v32, v34, v32, v38
	v_lshrrev_b32_e32 v38, 16, v32
.LBB959_133:                            ;   in Loop: Header=BB959_15 Depth=1
	s_or_b64 exec, exec, s[10:11]
.LBB959_134:                            ;   in Loop: Header=BB959_15 Depth=1
	s_or_b64 exec, exec, s[6:7]
.LBB959_135:                            ;   in Loop: Header=BB959_15 Depth=1
	s_or_b64 exec, exec, s[4:5]
	s_waitcnt vmcnt(2)
	v_cmp_ne_u16_sdwa s[6:7], v30, v31 src0_sel:BYTE_0 src1_sel:DWORD
	s_and_saveexec_b64 s[4:5], s[6:7]
	s_cbranch_execz .LBB959_141
; %bb.136:                              ;   in Loop: Header=BB959_15 Depth=1
	v_cmp_ne_u16_sdwa s[10:11], v30, s13 src0_sel:BYTE_0 src1_sel:DWORD
	v_mov_b32_e32 v37, 0xffff8000
	s_and_saveexec_b64 s[6:7], s[10:11]
	s_cbranch_execz .LBB959_140
; %bb.137:                              ;   in Loop: Header=BB959_15 Depth=1
	v_and_b32_e32 v32, 0x7f, v30
	v_cmp_ne_u32_e32 vcc, s14, v32
	v_mov_b32_e32 v37, 0x7f80
	s_and_saveexec_b64 s[10:11], vcc
	s_cbranch_execz .LBB959_139
; %bb.138:                              ;   in Loop: Header=BB959_15 Depth=1
	v_and_b32_e32 v34, 7, v30
	v_ffbh_u32_e32 v39, v34
	v_min_u32_e32 v39, 32, v39
	v_subrev_u32_e32 v40, 28, v39
	v_lshlrev_b64 v[40:41], v40, v[30:31]
	v_lshrrev_b32_e32 v37, 3, v32
	v_sub_u32_e32 v39, 29, v39
	v_and_b32_e32 v40, 7, v40
	v_cmp_gt_u32_e32 vcc, 8, v32
	v_cndmask_b32_e32 v32, v37, v39, vcc
	v_cndmask_b32_e32 v34, v34, v40, vcc
	v_lshlrev_b32_e32 v37, 24, v30
	v_lshlrev_b32_e32 v34, 20, v34
	v_and_b32_e32 v37, 0x80000000, v37
	v_lshl_add_u32 v32, v32, 23, v33
	v_or3_b32 v32, v37, v32, v34
	v_lshrrev_b32_e32 v37, 16, v32
.LBB959_139:                            ;   in Loop: Header=BB959_15 Depth=1
	s_or_b64 exec, exec, s[10:11]
.LBB959_140:                            ;   in Loop: Header=BB959_15 Depth=1
	s_or_b64 exec, exec, s[6:7]
.LBB959_141:                            ;   in Loop: Header=BB959_15 Depth=1
	s_or_b64 exec, exec, s[4:5]
	v_lshrrev_b16_e32 v32, 8, v30
	v_cmp_ne_u16_e32 vcc, 0, v32
	v_mov_b32_e32 v40, 0
	v_mov_b32_e32 v39, 0
	s_and_saveexec_b64 s[4:5], vcc
	s_cbranch_execz .LBB959_147
; %bb.142:                              ;   in Loop: Header=BB959_15 Depth=1
	v_cmp_ne_u16_e32 vcc, s13, v32
	v_mov_b32_e32 v39, 0xffff8000
	s_and_saveexec_b64 s[6:7], vcc
	s_cbranch_execz .LBB959_146
; %bb.143:                              ;   in Loop: Header=BB959_15 Depth=1
	v_and_b32_e32 v34, 0x7f, v32
	v_cmp_ne_u32_e32 vcc, s14, v34
	v_mov_b32_e32 v39, 0x7f80
	s_and_saveexec_b64 s[10:11], vcc
	s_cbranch_execz .LBB959_145
; %bb.144:                              ;   in Loop: Header=BB959_15 Depth=1
	v_and_b32_e32 v39, 7, v32
	v_ffbh_u32_e32 v42, v39
	v_min_u32_e32 v44, 32, v42
	v_subrev_u32_e32 v42, 28, v44
	v_lshlrev_b64 v[42:43], v42, v[32:33]
	v_lshrrev_b32_e32 v41, 3, v34
	v_sub_u32_e32 v32, 29, v44
	v_and_b32_e32 v42, 7, v42
	v_cmp_gt_u32_e32 vcc, 8, v34
	v_cndmask_b32_e32 v32, v41, v32, vcc
	v_cndmask_b32_e32 v34, v39, v42, vcc
	v_lshlrev_b32_e32 v39, 16, v30
	v_lshlrev_b32_e32 v34, 20, v34
	v_and_b32_e32 v39, 0x80000000, v39
	v_lshl_add_u32 v32, v32, 23, v33
	v_or3_b32 v32, v39, v32, v34
	v_lshrrev_b32_e32 v39, 16, v32
.LBB959_145:                            ;   in Loop: Header=BB959_15 Depth=1
	s_or_b64 exec, exec, s[10:11]
.LBB959_146:                            ;   in Loop: Header=BB959_15 Depth=1
	s_or_b64 exec, exec, s[6:7]
.LBB959_147:                            ;   in Loop: Header=BB959_15 Depth=1
	s_or_b64 exec, exec, s[4:5]
	v_lshrrev_b32_e32 v32, 16, v30
	v_cmp_ne_u16_sdwa s[6:7], v32, v31 src0_sel:BYTE_0 src1_sel:DWORD
	s_and_saveexec_b64 s[4:5], s[6:7]
	s_cbranch_execz .LBB959_153
; %bb.148:                              ;   in Loop: Header=BB959_15 Depth=1
	v_cmp_ne_u16_sdwa s[10:11], v32, s13 src0_sel:BYTE_0 src1_sel:DWORD
	v_mov_b32_e32 v40, 0xffff8000
	s_and_saveexec_b64 s[6:7], s[10:11]
	s_cbranch_execz .LBB959_152
; %bb.149:                              ;   in Loop: Header=BB959_15 Depth=1
	v_bfe_u32 v34, v30, 16, 7
	v_cmp_ne_u32_e32 vcc, s14, v34
	v_mov_b32_e32 v40, 0x7f80
	s_and_saveexec_b64 s[10:11], vcc
	s_cbranch_execz .LBB959_151
; %bb.150:                              ;   in Loop: Header=BB959_15 Depth=1
	v_and_b32_e32 v42, 7, v32
	v_ffbh_u32_e32 v40, v42
	v_min_u32_e32 v44, 32, v40
	v_subrev_u32_e32 v40, 28, v44
	v_lshlrev_b64 v[40:41], v40, v[32:33]
	v_lshrrev_b32_e32 v43, 3, v34
	v_sub_u32_e32 v41, 29, v44
	v_and_b32_e32 v40, 7, v40
	v_cmp_gt_u32_e32 vcc, 8, v34
	v_cndmask_b32_e32 v34, v43, v41, vcc
	v_cndmask_b32_e32 v40, v42, v40, vcc
	v_lshlrev_b32_e32 v32, 24, v32
	v_lshlrev_b32_e32 v40, 20, v40
	v_and_b32_e32 v32, 0x80000000, v32
	v_lshl_add_u32 v34, v34, 23, v33
	v_or3_b32 v32, v32, v34, v40
	v_lshrrev_b32_e32 v40, 16, v32
.LBB959_151:                            ;   in Loop: Header=BB959_15 Depth=1
	s_or_b64 exec, exec, s[10:11]
.LBB959_152:                            ;   in Loop: Header=BB959_15 Depth=1
	s_or_b64 exec, exec, s[6:7]
.LBB959_153:                            ;   in Loop: Header=BB959_15 Depth=1
	s_or_b64 exec, exec, s[4:5]
	v_cmp_lt_u32_e32 vcc, s15, v30
	v_mov_b32_e32 v34, 0
	v_mov_b32_e32 v41, 0
	s_and_saveexec_b64 s[4:5], vcc
	s_cbranch_execz .LBB959_159
; %bb.154:                              ;   in Loop: Header=BB959_15 Depth=1
	v_lshrrev_b32_e32 v32, 24, v30
	v_cmp_ne_u32_e32 vcc, s13, v32
	v_mov_b32_e32 v41, 0xffff8000
	s_and_saveexec_b64 s[6:7], vcc
	s_cbranch_execz .LBB959_158
; %bb.155:                              ;   in Loop: Header=BB959_15 Depth=1
	v_bfe_u32 v30, v30, 24, 7
	v_cmp_ne_u32_e32 vcc, s14, v30
	v_mov_b32_e32 v41, 0x7f80
	s_and_saveexec_b64 s[10:11], vcc
	s_cbranch_execz .LBB959_157
; %bb.156:                              ;   in Loop: Header=BB959_15 Depth=1
	v_and_b32_e32 v41, 7, v32
	v_ffbh_u32_e32 v42, v41
	v_min_u32_e32 v45, 32, v42
	v_subrev_u32_e32 v42, 28, v45
	v_lshlrev_b64 v[42:43], v42, v[32:33]
	v_lshrrev_b32_e32 v44, 3, v30
	v_sub_u32_e32 v43, 29, v45
	v_and_b32_e32 v42, 7, v42
	v_cmp_gt_u32_e32 vcc, 8, v30
	v_cndmask_b32_e32 v30, v44, v43, vcc
	v_cndmask_b32_e32 v41, v41, v42, vcc
	v_lshlrev_b32_e32 v32, 24, v32
	v_lshlrev_b32_e32 v41, 20, v41
	v_and_b32_e32 v32, 0x80000000, v32
	v_lshl_add_u32 v30, v30, 23, v33
	v_or3_b32 v30, v32, v30, v41
	v_lshrrev_b32_e32 v41, 16, v30
.LBB959_157:                            ;   in Loop: Header=BB959_15 Depth=1
	s_or_b64 exec, exec, s[10:11]
.LBB959_158:                            ;   in Loop: Header=BB959_15 Depth=1
	s_or_b64 exec, exec, s[6:7]
.LBB959_159:                            ;   in Loop: Header=BB959_15 Depth=1
	s_or_b64 exec, exec, s[4:5]
	v_perm_b32 v43, v38, v36, s16
	v_perm_b32 v42, v35, v23, s16
	;; [unrolled: 1-line block ×4, first 2 shown]
	s_waitcnt vmcnt(1)
	v_cmp_ne_u16_sdwa s[6:7], v28, v31 src0_sel:BYTE_0 src1_sel:DWORD
	v_mfma_f32_16x16x16bf16_1k v[18:21], v[42:43], v[10:11], v[18:21]
	v_mfma_f32_16x16x16bf16_1k v[18:21], v[40:41], v[12:13], v[18:21]
	s_and_saveexec_b64 s[4:5], s[6:7]
	s_cbranch_execz .LBB959_165
; %bb.160:                              ;   in Loop: Header=BB959_15 Depth=1
	v_cmp_ne_u16_sdwa s[10:11], v28, s13 src0_sel:BYTE_0 src1_sel:DWORD
	v_mov_b32_e32 v34, 0xffff8000
	s_and_saveexec_b64 s[6:7], s[10:11]
	s_cbranch_execz .LBB959_164
; %bb.161:                              ;   in Loop: Header=BB959_15 Depth=1
	v_and_b32_e32 v23, 0x7f, v28
	v_cmp_ne_u32_e32 vcc, s14, v23
	v_mov_b32_e32 v34, 0x7f80
	s_and_saveexec_b64 s[10:11], vcc
	s_cbranch_execz .LBB959_163
; %bb.162:                              ;   in Loop: Header=BB959_15 Depth=1
	v_and_b32_e32 v30, 7, v28
	v_ffbh_u32_e32 v34, v30
	v_min_u32_e32 v36, 32, v34
	v_subrev_u32_e32 v34, 28, v36
	v_lshlrev_b64 v[34:35], v34, v[28:29]
	v_lshrrev_b32_e32 v32, 3, v23
	v_sub_u32_e32 v35, 29, v36
	v_and_b32_e32 v34, 7, v34
	v_cmp_gt_u32_e32 vcc, 8, v23
	v_cndmask_b32_e32 v23, v32, v35, vcc
	v_cndmask_b32_e32 v30, v30, v34, vcc
	v_lshlrev_b32_e32 v32, 24, v28
	v_lshlrev_b32_e32 v30, 20, v30
	v_and_b32_e32 v32, 0x80000000, v32
	v_lshl_add_u32 v23, v23, 23, v33
	v_or3_b32 v23, v32, v23, v30
	v_lshrrev_b32_e32 v34, 16, v23
.LBB959_163:                            ;   in Loop: Header=BB959_15 Depth=1
	s_or_b64 exec, exec, s[10:11]
.LBB959_164:                            ;   in Loop: Header=BB959_15 Depth=1
	s_or_b64 exec, exec, s[6:7]
.LBB959_165:                            ;   in Loop: Header=BB959_15 Depth=1
	s_or_b64 exec, exec, s[4:5]
	v_lshrrev_b16_e32 v30, 8, v28
	v_cmp_ne_u16_e32 vcc, 0, v30
	v_mov_b32_e32 v32, 0
	v_mov_b32_e32 v23, 0
	s_and_saveexec_b64 s[4:5], vcc
	s_cbranch_execz .LBB959_171
; %bb.166:                              ;   in Loop: Header=BB959_15 Depth=1
	v_cmp_ne_u16_e32 vcc, s13, v30
	v_mov_b32_e32 v23, 0xffff8000
	s_and_saveexec_b64 s[6:7], vcc
	s_cbranch_execz .LBB959_170
; %bb.167:                              ;   in Loop: Header=BB959_15 Depth=1
	v_and_b32_e32 v35, 0x7f, v30
	v_cmp_ne_u32_e32 vcc, s14, v35
	v_mov_b32_e32 v23, 0x7f80
	s_and_saveexec_b64 s[10:11], vcc
	s_cbranch_execz .LBB959_169
; %bb.168:                              ;   in Loop: Header=BB959_15 Depth=1
	v_and_b32_e32 v23, 7, v30
	v_ffbh_u32_e32 v36, v23
	v_min_u32_e32 v39, 32, v36
	v_subrev_u32_e32 v36, 28, v39
	v_lshlrev_b64 v[36:37], v36, v[30:31]
	v_lshrrev_b32_e32 v38, 3, v35
	v_sub_u32_e32 v30, 29, v39
	v_and_b32_e32 v36, 7, v36
	v_cmp_gt_u32_e32 vcc, 8, v35
	v_cndmask_b32_e32 v30, v38, v30, vcc
	v_cndmask_b32_e32 v23, v23, v36, vcc
	v_lshlrev_b32_e32 v35, 16, v28
	v_lshlrev_b32_e32 v23, 20, v23
	v_and_b32_e32 v35, 0x80000000, v35
	v_lshl_add_u32 v30, v30, 23, v33
	v_or3_b32 v23, v35, v30, v23
	v_lshrrev_b32_e32 v23, 16, v23
.LBB959_169:                            ;   in Loop: Header=BB959_15 Depth=1
	s_or_b64 exec, exec, s[10:11]
.LBB959_170:                            ;   in Loop: Header=BB959_15 Depth=1
	s_or_b64 exec, exec, s[6:7]
.LBB959_171:                            ;   in Loop: Header=BB959_15 Depth=1
	s_or_b64 exec, exec, s[4:5]
	v_lshrrev_b32_e32 v30, 16, v28
	v_cmp_ne_u16_sdwa s[6:7], v30, v31 src0_sel:BYTE_0 src1_sel:DWORD
	s_and_saveexec_b64 s[4:5], s[6:7]
	s_cbranch_execz .LBB959_177
; %bb.172:                              ;   in Loop: Header=BB959_15 Depth=1
	v_cmp_ne_u16_sdwa s[10:11], v30, s13 src0_sel:BYTE_0 src1_sel:DWORD
	v_mov_b32_e32 v32, 0xffff8000
	s_and_saveexec_b64 s[6:7], s[10:11]
	s_cbranch_execz .LBB959_176
; %bb.173:                              ;   in Loop: Header=BB959_15 Depth=1
	v_bfe_u32 v35, v28, 16, 7
	v_cmp_ne_u32_e32 vcc, s14, v35
	v_mov_b32_e32 v32, 0x7f80
	s_and_saveexec_b64 s[10:11], vcc
	s_cbranch_execz .LBB959_175
; %bb.174:                              ;   in Loop: Header=BB959_15 Depth=1
	v_and_b32_e32 v32, 7, v30
	v_ffbh_u32_e32 v36, v32
	v_min_u32_e32 v39, 32, v36
	v_subrev_u32_e32 v36, 28, v39
	v_lshlrev_b64 v[36:37], v36, v[30:31]
	v_lshrrev_b32_e32 v38, 3, v35
	v_sub_u32_e32 v37, 29, v39
	v_and_b32_e32 v36, 7, v36
	v_cmp_gt_u32_e32 vcc, 8, v35
	v_cndmask_b32_e32 v35, v38, v37, vcc
	v_cndmask_b32_e32 v32, v32, v36, vcc
	v_lshlrev_b32_e32 v30, 24, v30
	v_lshlrev_b32_e32 v32, 20, v32
	v_and_b32_e32 v30, 0x80000000, v30
	v_lshl_add_u32 v35, v35, 23, v33
	v_or3_b32 v30, v30, v35, v32
	v_lshrrev_b32_e32 v32, 16, v30
.LBB959_175:                            ;   in Loop: Header=BB959_15 Depth=1
	s_or_b64 exec, exec, s[10:11]
.LBB959_176:                            ;   in Loop: Header=BB959_15 Depth=1
	s_or_b64 exec, exec, s[6:7]
.LBB959_177:                            ;   in Loop: Header=BB959_15 Depth=1
	s_or_b64 exec, exec, s[4:5]
	v_cmp_lt_u32_e32 vcc, s15, v28
	v_mov_b32_e32 v35, 0
	v_mov_b32_e32 v36, 0
	s_and_saveexec_b64 s[4:5], vcc
	s_cbranch_execz .LBB959_183
; %bb.178:                              ;   in Loop: Header=BB959_15 Depth=1
	v_lshrrev_b32_e32 v30, 24, v28
	v_cmp_ne_u32_e32 vcc, s13, v30
	v_mov_b32_e32 v36, 0xffff8000
	s_and_saveexec_b64 s[6:7], vcc
	s_cbranch_execz .LBB959_182
; %bb.179:                              ;   in Loop: Header=BB959_15 Depth=1
	v_bfe_u32 v28, v28, 24, 7
	v_cmp_ne_u32_e32 vcc, s14, v28
	v_mov_b32_e32 v36, 0x7f80
	s_and_saveexec_b64 s[10:11], vcc
	s_cbranch_execz .LBB959_181
; %bb.180:                              ;   in Loop: Header=BB959_15 Depth=1
	v_and_b32_e32 v38, 7, v30
	v_ffbh_u32_e32 v36, v38
	v_min_u32_e32 v40, 32, v36
	v_subrev_u32_e32 v36, 28, v40
	v_lshlrev_b64 v[36:37], v36, v[30:31]
	v_lshrrev_b32_e32 v39, 3, v28
	v_sub_u32_e32 v37, 29, v40
	v_and_b32_e32 v36, 7, v36
	v_cmp_gt_u32_e32 vcc, 8, v28
	v_cndmask_b32_e32 v28, v39, v37, vcc
	v_cndmask_b32_e32 v36, v38, v36, vcc
	v_lshlrev_b32_e32 v30, 24, v30
	v_lshlrev_b32_e32 v36, 20, v36
	v_and_b32_e32 v30, 0x80000000, v30
	v_lshl_add_u32 v28, v28, 23, v33
	v_or3_b32 v28, v30, v28, v36
	v_lshrrev_b32_e32 v36, 16, v28
.LBB959_181:                            ;   in Loop: Header=BB959_15 Depth=1
	s_or_b64 exec, exec, s[10:11]
.LBB959_182:                            ;   in Loop: Header=BB959_15 Depth=1
	s_or_b64 exec, exec, s[6:7]
.LBB959_183:                            ;   in Loop: Header=BB959_15 Depth=1
	s_or_b64 exec, exec, s[4:5]
	s_waitcnt vmcnt(0)
	v_cmp_ne_u16_sdwa s[6:7], v26, v31 src0_sel:BYTE_0 src1_sel:DWORD
	s_and_saveexec_b64 s[4:5], s[6:7]
	s_cbranch_execz .LBB959_189
; %bb.184:                              ;   in Loop: Header=BB959_15 Depth=1
	v_cmp_ne_u16_sdwa s[10:11], v26, s13 src0_sel:BYTE_0 src1_sel:DWORD
	v_mov_b32_e32 v35, 0xffff8000
	s_and_saveexec_b64 s[6:7], s[10:11]
	s_cbranch_execz .LBB959_188
; %bb.185:                              ;   in Loop: Header=BB959_15 Depth=1
	v_and_b32_e32 v28, 0x7f, v26
	v_cmp_ne_u32_e32 vcc, s14, v28
	v_mov_b32_e32 v35, 0x7f80
	s_and_saveexec_b64 s[10:11], vcc
	s_cbranch_execz .LBB959_187
; %bb.186:                              ;   in Loop: Header=BB959_15 Depth=1
	v_and_b32_e32 v30, 7, v26
	v_ffbh_u32_e32 v37, v30
	v_min_u32_e32 v37, 32, v37
	v_subrev_u32_e32 v38, 28, v37
	v_lshlrev_b64 v[38:39], v38, v[26:27]
	v_lshrrev_b32_e32 v35, 3, v28
	v_sub_u32_e32 v37, 29, v37
	v_and_b32_e32 v38, 7, v38
	v_cmp_gt_u32_e32 vcc, 8, v28
	v_cndmask_b32_e32 v28, v35, v37, vcc
	v_cndmask_b32_e32 v30, v30, v38, vcc
	v_lshlrev_b32_e32 v35, 24, v26
	v_lshlrev_b32_e32 v30, 20, v30
	v_and_b32_e32 v35, 0x80000000, v35
	v_lshl_add_u32 v28, v28, 23, v33
	v_or3_b32 v28, v35, v28, v30
	v_lshrrev_b32_e32 v35, 16, v28
.LBB959_187:                            ;   in Loop: Header=BB959_15 Depth=1
	s_or_b64 exec, exec, s[10:11]
.LBB959_188:                            ;   in Loop: Header=BB959_15 Depth=1
	s_or_b64 exec, exec, s[6:7]
.LBB959_189:                            ;   in Loop: Header=BB959_15 Depth=1
	s_or_b64 exec, exec, s[4:5]
	v_lshrrev_b16_e32 v28, 8, v26
	v_cmp_ne_u16_e32 vcc, 0, v28
	v_mov_b32_e32 v37, 0
	v_mov_b32_e32 v30, 0
	s_and_saveexec_b64 s[4:5], vcc
	s_cbranch_execz .LBB959_195
; %bb.190:                              ;   in Loop: Header=BB959_15 Depth=1
	v_cmp_ne_u16_e32 vcc, s13, v28
	v_mov_b32_e32 v30, 0xffff8000
	s_and_saveexec_b64 s[6:7], vcc
	s_cbranch_execz .LBB959_194
; %bb.191:                              ;   in Loop: Header=BB959_15 Depth=1
	v_and_b32_e32 v38, 0x7f, v28
	v_cmp_ne_u32_e32 vcc, s14, v38
	v_mov_b32_e32 v30, 0x7f80
	s_and_saveexec_b64 s[10:11], vcc
	s_cbranch_execz .LBB959_193
; %bb.192:                              ;   in Loop: Header=BB959_15 Depth=1
	v_and_b32_e32 v30, 7, v28
	v_ffbh_u32_e32 v40, v30
	v_min_u32_e32 v42, 32, v40
	v_subrev_u32_e32 v40, 28, v42
	v_lshlrev_b64 v[40:41], v40, v[28:29]
	v_lshrrev_b32_e32 v39, 3, v38
	v_sub_u32_e32 v28, 29, v42
	v_and_b32_e32 v40, 7, v40
	v_cmp_gt_u32_e32 vcc, 8, v38
	v_cndmask_b32_e32 v28, v39, v28, vcc
	v_cndmask_b32_e32 v30, v30, v40, vcc
	v_lshlrev_b32_e32 v38, 16, v26
	v_lshlrev_b32_e32 v30, 20, v30
	v_and_b32_e32 v38, 0x80000000, v38
	v_lshl_add_u32 v28, v28, 23, v33
	v_or3_b32 v28, v38, v28, v30
	v_lshrrev_b32_e32 v30, 16, v28
.LBB959_193:                            ;   in Loop: Header=BB959_15 Depth=1
	s_or_b64 exec, exec, s[10:11]
.LBB959_194:                            ;   in Loop: Header=BB959_15 Depth=1
	s_or_b64 exec, exec, s[6:7]
.LBB959_195:                            ;   in Loop: Header=BB959_15 Depth=1
	s_or_b64 exec, exec, s[4:5]
	v_lshrrev_b32_e32 v28, 16, v26
	v_cmp_ne_u16_sdwa s[6:7], v28, v31 src0_sel:BYTE_0 src1_sel:DWORD
	s_and_saveexec_b64 s[4:5], s[6:7]
	s_cbranch_execz .LBB959_201
; %bb.196:                              ;   in Loop: Header=BB959_15 Depth=1
	v_cmp_ne_u16_sdwa s[10:11], v28, s13 src0_sel:BYTE_0 src1_sel:DWORD
	v_mov_b32_e32 v37, 0xffff8000
	s_and_saveexec_b64 s[6:7], s[10:11]
	s_cbranch_execz .LBB959_200
; %bb.197:                              ;   in Loop: Header=BB959_15 Depth=1
	v_bfe_u32 v38, v26, 16, 7
	v_cmp_ne_u32_e32 vcc, s14, v38
	v_mov_b32_e32 v37, 0x7f80
	s_and_saveexec_b64 s[10:11], vcc
	s_cbranch_execz .LBB959_199
; %bb.198:                              ;   in Loop: Header=BB959_15 Depth=1
	v_and_b32_e32 v37, 7, v28
	v_ffbh_u32_e32 v40, v37
	v_min_u32_e32 v42, 32, v40
	v_subrev_u32_e32 v40, 28, v42
	v_lshlrev_b64 v[40:41], v40, v[28:29]
	v_lshrrev_b32_e32 v39, 3, v38
	v_sub_u32_e32 v41, 29, v42
	v_and_b32_e32 v40, 7, v40
	v_cmp_gt_u32_e32 vcc, 8, v38
	v_cndmask_b32_e32 v38, v39, v41, vcc
	v_cndmask_b32_e32 v37, v37, v40, vcc
	v_lshlrev_b32_e32 v28, 24, v28
	v_lshlrev_b32_e32 v37, 20, v37
	v_and_b32_e32 v28, 0x80000000, v28
	v_lshl_add_u32 v38, v38, 23, v33
	v_or3_b32 v28, v28, v38, v37
	v_lshrrev_b32_e32 v37, 16, v28
.LBB959_199:                            ;   in Loop: Header=BB959_15 Depth=1
	s_or_b64 exec, exec, s[10:11]
.LBB959_200:                            ;   in Loop: Header=BB959_15 Depth=1
	s_or_b64 exec, exec, s[6:7]
.LBB959_201:                            ;   in Loop: Header=BB959_15 Depth=1
	s_or_b64 exec, exec, s[4:5]
	v_cmp_lt_u32_e32 vcc, s15, v26
	v_mov_b32_e32 v38, 0
	s_and_saveexec_b64 s[4:5], vcc
	s_cbranch_execz .LBB959_14
; %bb.202:                              ;   in Loop: Header=BB959_15 Depth=1
	v_lshrrev_b32_e32 v28, 24, v26
	v_cmp_ne_u32_e32 vcc, s13, v28
	v_mov_b32_e32 v38, 0xffff8000
	s_and_saveexec_b64 s[6:7], vcc
	s_cbranch_execz .LBB959_13
; %bb.203:                              ;   in Loop: Header=BB959_15 Depth=1
	v_bfe_u32 v26, v26, 24, 7
	v_cmp_ne_u32_e32 vcc, s14, v26
	v_mov_b32_e32 v38, 0x7f80
	s_and_saveexec_b64 s[10:11], vcc
	s_cbranch_execz .LBB959_12
; %bb.204:                              ;   in Loop: Header=BB959_15 Depth=1
	v_and_b32_e32 v40, 7, v28
	v_ffbh_u32_e32 v38, v40
	v_min_u32_e32 v42, 32, v38
	v_subrev_u32_e32 v38, 28, v42
	v_lshlrev_b64 v[38:39], v38, v[28:29]
	v_lshrrev_b32_e32 v41, 3, v26
	v_sub_u32_e32 v39, 29, v42
	v_and_b32_e32 v38, 7, v38
	v_cmp_gt_u32_e32 vcc, 8, v26
	v_cndmask_b32_e32 v26, v41, v39, vcc
	v_cndmask_b32_e32 v38, v40, v38, vcc
	v_lshlrev_b32_e32 v28, 24, v28
	v_lshlrev_b32_e32 v38, 20, v38
	v_and_b32_e32 v28, 0x80000000, v28
	v_lshl_add_u32 v26, v26, 23, v33
	v_or3_b32 v26, v28, v26, v38
	v_lshrrev_b32_e32 v38, 16, v26
	s_branch .LBB959_12
.LBB959_205:
	buffer_load_dword v13, off, s[0:3], 0 offset:256
	buffer_load_dword v14, off, s[0:3], 0 offset:260
	;; [unrolled: 1-line block ×16, first 2 shown]
	v_and_b32_e32 v12, 0xc0, v0
	v_add_u32_e32 v12, s20, v12
	v_lshl_or_b32 v12, v54, 2, v12
	v_or_b32_e32 v23, 1, v12
	v_mov_b32_e32 v19, 0xff7fffff
	v_or_b32_e32 v24, 2, v12
	v_or_b32_e32 v25, 3, v12
	v_cmp_gt_i32_e64 s[26:27], s33, v12
	v_cmp_gt_i32_e64 s[28:29], s33, v23
	s_mov_b32 s52, 0xff7fffff
	v_or_b32_e32 v26, 16, v12
	v_or_b32_e32 v27, 17, v12
	;; [unrolled: 1-line block ×12, first 2 shown]
	v_cmp_gt_i32_e64 s[30:31], s33, v24
	v_cmp_gt_i32_e64 s[34:35], s33, v25
	v_mbcnt_lo_u32_b32 v20, -1, 0
	v_cmp_gt_i32_e64 s[36:37], s33, v26
	v_cmp_gt_i32_e64 s[38:39], s33, v27
	v_mbcnt_hi_u32_b32 v20, -1, v20
	v_cmp_gt_i32_e64 s[20:21], s33, v28
	v_cmp_gt_i32_e64 s[22:23], s33, v29
	v_and_b32_e32 v21, 64, v20
	v_cmp_gt_i32_e64 s[16:17], s33, v30
	v_cmp_gt_i32_e64 s[18:19], s33, v31
	v_xor_b32_e32 v22, 32, v20
	v_add_u32_e32 v21, 64, v21
	v_cmp_gt_i32_e64 s[12:13], s33, v32
	v_cmp_gt_i32_e64 s[14:15], s33, v33
	v_cmp_lt_i32_e32 vcc, v22, v21
	v_cmp_gt_i32_e64 s[6:7], s33, v34
	v_cmp_gt_i32_e64 s[10:11], s33, v35
	v_cndmask_b32_e32 v22, v20, v22, vcc
	v_cmp_gt_i32_e32 vcc, s33, v36
	v_cmp_gt_i32_e64 s[4:5], s33, v37
	v_lshlrev_b32_e32 v22, 2, v22
	s_waitcnt vmcnt(15)
	v_cndmask_b32_e64 v12, v19, v13, s[26:27]
	s_waitcnt vmcnt(14)
	v_cndmask_b32_e64 v23, v19, v14, s[28:29]
	;; [unrolled: 2-line block ×4, first 2 shown]
	v_max3_f32 v12, v12, s52, v23
	s_waitcnt vmcnt(11)
	v_cndmask_b32_e64 v26, v19, v17, s[36:37]
	s_waitcnt vmcnt(10)
	v_cndmask_b32_e64 v27, v19, v18, s[38:39]
	v_max3_f32 v12, v12, v24, v25
	s_waitcnt vmcnt(9)
	v_cndmask_b32_e64 v28, v19, v11, s[20:21]
	s_waitcnt vmcnt(8)
	v_cndmask_b32_e64 v29, v19, v10, s[22:23]
	;; [unrolled: 5-line block ×5, first 2 shown]
	v_max3_f32 v12, v12, v32, v33
	s_waitcnt vmcnt(1)
	v_cndmask_b32_e32 v36, v19, v3, vcc
	s_waitcnt vmcnt(0)
	v_cndmask_b32_e64 v19, v19, v2, s[4:5]
	v_max3_f32 v12, v12, v34, v35
	v_max3_f32 v12, v12, v36, v19
	ds_bpermute_b32 v19, v22, v12
	v_xor_b32_e32 v23, 16, v20
	v_cmp_lt_i32_e64 s[40:41], v23, v21
	v_cndmask_b32_e64 v20, v20, v23, s[40:41]
	v_lshlrev_b32_e32 v20, 2, v20
	s_waitcnt lgkmcnt(0)
	v_max_f32_e32 v19, v19, v19
	v_max_f32_e32 v12, v12, v19
	ds_bpermute_b32 v19, v20, v12
	s_waitcnt lgkmcnt(0)
	v_max_f32_e32 v19, v19, v19
	v_max_f32_e32 v12, v12, v19
	v_sub_f32_e32 v13, v13, v12
	v_sub_f32_e32 v14, v14, v12
	;; [unrolled: 1-line block ×3, first 2 shown]
	v_mul_f32_e32 v13, 0x3fb8aa3b, v13
	v_mul_f32_e32 v14, 0x3fb8aa3b, v14
	v_mul_f32_e32 v15, 0x3fb8aa3b, v15
	v_exp_f32_e32 v13, v13
	v_exp_f32_e32 v14, v14
	;; [unrolled: 1-line block ×3, first 2 shown]
	v_sub_f32_e32 v16, v16, v12
	v_cndmask_b32_e64 v13, 0, v13, s[26:27]
	v_mul_f32_e32 v16, 0x3fb8aa3b, v16
	v_cndmask_b32_e64 v14, 0, v14, s[28:29]
	v_cndmask_b32_e64 v15, 0, v15, s[30:31]
	v_add_f32_e32 v19, 0, v13
	buffer_store_dword v13, off, s[0:3], 0 offset:256
	buffer_store_dword v14, off, s[0:3], 0 offset:260
	;; [unrolled: 1-line block ×3, first 2 shown]
	v_sub_f32_e32 v13, v17, v12
	v_exp_f32_e32 v16, v16
	v_add_f32_e32 v19, v19, v14
	v_mul_f32_e32 v13, 0x3fb8aa3b, v13
	v_sub_f32_e32 v14, v18, v12
	v_exp_f32_e32 v13, v13
	v_mul_f32_e32 v14, 0x3fb8aa3b, v14
	v_sub_f32_e32 v11, v11, v12
	v_exp_f32_e32 v14, v14
	;; [unrolled: 3-line block ×3, first 2 shown]
	v_mul_f32_e32 v10, 0x3fb8aa3b, v10
	v_sub_f32_e32 v9, v9, v12
	v_cndmask_b32_e64 v16, 0, v16, s[34:35]
	v_add_f32_e32 v19, v19, v15
	v_exp_f32_e32 v10, v10
	v_mul_f32_e32 v9, 0x3fb8aa3b, v9
	v_sub_f32_e32 v8, v8, v12
	v_add_f32_e32 v19, v19, v16
	v_cndmask_b32_e64 v13, 0, v13, s[36:37]
	v_exp_f32_e32 v9, v9
	v_mul_f32_e32 v8, 0x3fb8aa3b, v8
	v_sub_f32_e32 v7, v7, v12
	v_add_f32_e32 v15, v19, v13
	v_cndmask_b32_e64 v14, 0, v14, s[38:39]
	;; [unrolled: 5-line block ×5, first 2 shown]
	v_exp_f32_e32 v5, v5
	v_mul_f32_e32 v4, 0x3fb8aa3b, v4
	v_sub_f32_e32 v3, v3, v12
	buffer_store_dword v16, off, s[0:3], 0 offset:268
	buffer_store_dword v13, off, s[0:3], 0 offset:272
	;; [unrolled: 1-line block ×5, first 2 shown]
	v_add_f32_e32 v10, v15, v9
	v_cndmask_b32_e64 v8, 0, v8, s[18:19]
	v_exp_f32_e32 v4, v4
	v_mul_f32_e32 v3, 0x3fb8aa3b, v3
	v_sub_f32_e32 v2, v2, v12
	v_add_f32_e32 v10, v10, v8
	v_cndmask_b32_e64 v7, 0, v7, s[12:13]
	v_exp_f32_e32 v3, v3
	v_mul_f32_e32 v2, 0x3fb8aa3b, v2
	v_add_f32_e32 v10, v10, v7
	v_cndmask_b32_e64 v6, 0, v6, s[14:15]
	v_exp_f32_e32 v2, v2
	v_add_f32_e32 v10, v10, v6
	v_cndmask_b32_e64 v5, 0, v5, s[6:7]
	buffer_store_dword v9, off, s[0:3], 0 offset:288
	buffer_store_dword v8, off, s[0:3], 0 offset:292
	;; [unrolled: 1-line block ×4, first 2 shown]
	v_add_f32_e32 v6, v10, v5
	v_cndmask_b32_e64 v4, 0, v4, s[10:11]
	v_add_f32_e32 v6, v6, v4
	v_cndmask_b32_e32 v3, 0, v3, vcc
	v_add_f32_e32 v6, v6, v3
	v_cndmask_b32_e64 v2, 0, v2, s[4:5]
	v_add_f32_e32 v6, v6, v2
	ds_bpermute_b32 v7, v22, v6
	buffer_store_dword v5, off, s[0:3], 0 offset:304
	buffer_store_dword v4, off, s[0:3], 0 offset:308
	;; [unrolled: 1-line block ×4, first 2 shown]
	v_cmp_gt_u32_e32 vcc, 16, v57
	s_waitcnt lgkmcnt(0)
	s_barrier
	v_add_f32_e32 v2, v6, v7
	ds_bpermute_b32 v3, v20, v2
	s_waitcnt lgkmcnt(0)
	s_and_saveexec_b64 s[4:5], vcc
	s_cbranch_execz .LBB959_207
; %bb.206:
	v_add_f32_e32 v2, v2, v3
	v_lshlrev_b32_e32 v3, 2, v66
	ds_write2st64_b32 v3, v12, v2 offset1:1
.LBB959_207:
	s_or_b64 exec, exec, s[4:5]
	v_lshlrev_b32_e32 v2, 2, v55
	s_waitcnt lgkmcnt(0)
	s_barrier
	ds_read2_b32 v[14:15], v2 offset1:16
	ds_read2_b32 v[16:17], v2 offset0:32 offset1:48
	ds_read2_b32 v[6:7], v2 offset0:64 offset1:80
	;; [unrolled: 1-line block ×3, first 2 shown]
	s_waitcnt lgkmcnt(0)
	s_barrier
	buffer_load_dword v22, off, s[0:3], 0 offset:264
	buffer_load_dword v23, off, s[0:3], 0 offset:268
	;; [unrolled: 1-line block ×16, first 2 shown]
	v_max3_f32 v20, v14, s52, v15
	v_max3_f32 v20, v20, v16, v17
	v_sub_f32_e32 v14, v14, v20
	v_sub_f32_e32 v15, v15, v20
	v_mul_f32_e32 v14, 0x3fb8aa3b, v14
	v_sub_f32_e32 v16, v16, v20
	v_mul_f32_e32 v15, 0x3fb8aa3b, v15
	v_exp_f32_e32 v14, v14
	v_sub_f32_e32 v17, v17, v20
	v_mul_f32_e32 v16, 0x3fb8aa3b, v16
	v_exp_f32_e32 v15, v15
	v_mul_f32_e32 v17, 0x3fb8aa3b, v17
	v_exp_f32_e32 v16, v16
	v_exp_f32_e32 v17, v17
	v_fma_f32 v6, v14, v6, 0
	v_fmac_f32_e32 v6, v15, v7
	v_fmac_f32_e32 v6, v16, v12
	;; [unrolled: 1-line block ×3, first 2 shown]
	v_cmp_eq_u32_e32 vcc, 1, v65
	v_add_f32_e32 v12, 0x358637bd, v6
	v_cndmask_b32_e32 v14, v14, v15, vcc
	v_cmp_eq_u32_e32 vcc, 2, v65
	v_div_scale_f32 v13, s[4:5], v12, v12, 1.0
	v_cndmask_b32_e32 v7, v14, v16, vcc
	v_rcp_f32_e32 v14, v13
	v_cmp_eq_u32_e32 vcc, 3, v65
	v_cndmask_b32_e32 v7, v7, v17, vcc
	v_div_scale_f32 v15, vcc, 1.0, v12, 1.0
	v_fma_f32 v16, -v13, v14, 1.0
	v_fmac_f32_e32 v14, v16, v14
	v_mul_f32_e32 v16, v15, v14
	v_fma_f32 v17, -v13, v16, v15
	v_fmac_f32_e32 v16, v17, v14
	v_fma_f32 v13, -v13, v16, v15
	v_div_fmas_f32 v13, v13, v14, v16
	v_div_fixup_f32 v12, v13, v12, 1.0
	v_mul_f32_e32 v12, v7, v12
	s_movk_i32 s19, 0x7fff
	s_mov_b32 s20, 0x7060302
	s_lshl_b32 s18, s51, 1
	v_cmp_gt_u32_e32 vcc, 2, v0
	s_waitcnt vmcnt(14)
	v_pk_mul_f32 v[14:15], v[12:13], v[22:23] op_sel_hi:[0,1]
	v_bfe_u32 v21, v15, 16, 1
	s_waitcnt vmcnt(12)
	v_pk_mul_f32 v[16:17], v[12:13], v[24:25] op_sel_hi:[0,1]
	v_bfe_u32 v7, v17, 16, 1
	v_bfe_u32 v13, v16, 16, 1
	;; [unrolled: 1-line block ×3, first 2 shown]
	v_add3_u32 v13, v16, v13, s19
	v_add3_u32 v7, v17, v7, s19
	buffer_store_dword v16, off, s[0:3], 0 offset:256
	buffer_store_dword v17, off, s[0:3], 0 offset:260
	buffer_store_dword v14, off, s[0:3], 0 offset:264
	buffer_store_dword v15, off, s[0:3], 0 offset:268
	v_add3_u32 v16, v14, v22, s19
	v_add3_u32 v15, v15, v21, s19
	v_perm_b32 v14, v7, v13, s20
	v_lshlrev_b32_e32 v13, 3, v54
	v_perm_b32 v15, v15, v16, s20
	v_lshlrev_b32_e32 v7, 5, v55
	v_lshlrev_b32_e32 v16, 11, v65
	s_waitcnt vmcnt(12)
	v_pk_mul_f32 v[8:9], v[12:13], v[8:9] op_sel_hi:[0,1]
	v_or3_b32 v39, v16, v7, v13
	v_pk_mul_f32 v[10:11], v[12:13], v[10:11] op_sel_hi:[0,1]
	v_bfe_u32 v13, v9, 16, 1
	v_bfe_u32 v16, v8, 16, 1
	buffer_store_dword v8, off, s[0:3], 0 offset:272
	buffer_store_dword v9, off, s[0:3], 0 offset:276
	;; [unrolled: 1-line block ×4, first 2 shown]
	v_add3_u32 v8, v8, v16, s19
	v_add3_u32 v9, v9, v13, s19
	v_perm_b32 v8, v9, v8, s20
	v_bfe_u32 v9, v11, 16, 1
	v_bfe_u32 v13, v10, 16, 1
	v_add3_u32 v10, v10, v13, s19
	v_add3_u32 v9, v11, v9, s19
	v_perm_b32 v9, v9, v10, s20
	s_waitcnt vmcnt(14)
	v_pk_mul_f32 v[10:11], v[12:13], v[18:19] op_sel_hi:[0,1]
	ds_write2st64_b64 v39, v[14:15], v[8:9] offset1:1
	s_waitcnt vmcnt(12)
	v_pk_mul_f32 v[8:9], v[12:13], v[26:27] op_sel_hi:[0,1]
	v_bfe_u32 v13, v11, 16, 1
	v_bfe_u32 v14, v10, 16, 1
	buffer_store_dword v10, off, s[0:3], 0 offset:288
	buffer_store_dword v11, off, s[0:3], 0 offset:292
	;; [unrolled: 1-line block ×4, first 2 shown]
	v_add3_u32 v10, v10, v14, s19
	v_add3_u32 v11, v11, v13, s19
	v_perm_b32 v10, v11, v10, s20
	v_bfe_u32 v11, v9, 16, 1
	v_bfe_u32 v13, v8, 16, 1
	v_add3_u32 v8, v8, v13, s19
	v_add3_u32 v9, v9, v11, s19
	s_waitcnt vmcnt(14)
	v_pk_mul_f32 v[2:3], v[12:13], v[2:3] op_sel_hi:[0,1]
	v_perm_b32 v11, v9, v8, s20
	v_bfe_u32 v8, v3, 16, 1
	v_bfe_u32 v9, v2, 16, 1
	s_waitcnt vmcnt(12)
	v_pk_mul_f32 v[4:5], v[12:13], v[4:5] op_sel_hi:[0,1]
	buffer_store_dword v2, off, s[0:3], 0 offset:304
	buffer_store_dword v3, off, s[0:3], 0 offset:308
	;; [unrolled: 1-line block ×4, first 2 shown]
	v_add3_u32 v2, v2, v9, s19
	v_add3_u32 v3, v3, v8, s19
	v_perm_b32 v2, v3, v2, s20
	v_bfe_u32 v3, v5, 16, 1
	v_bfe_u32 v8, v4, 16, 1
	v_add3_u32 v4, v4, v8, s19
	v_add3_u32 v3, v5, v3, s19
	v_perm_b32 v3, v3, v4, s20
	ds_write2st64_b64 v39, v[10:11], v[2:3] offset0:2 offset1:3
	s_and_saveexec_b64 s[4:5], vcc
	s_cbranch_execz .LBB959_209
; %bb.208:
	v_or_b32_e32 v2, s25, v0
	v_mov_b32_e32 v3, 0
	v_mov_b32_e32 v4, s18
	v_mad_u64_u32 v[4:5], s[6:7], s8, v4, v[2:3]
	v_mov_b32_e32 v2, s24
	s_mul_i32 s9, s9, s18
	v_mad_u64_u32 v[2:3], s[6:7], v4, s50, v[2:3]
	v_add_u32_e32 v5, s9, v5
	v_mov_b32_e32 v4, v3
	v_mad_u64_u32 v[4:5], s[6:7], v5, s50, v[4:5]
	v_mov_b32_e32 v3, v4
	v_lshlrev_b64 v[2:3], 2, v[2:3]
	v_mov_b32_e32 v5, s47
	v_add_co_u32_e32 v4, vcc, s46, v2
	v_addc_co_u32_e32 v5, vcc, v5, v3, vcc
	global_store_dword v[4:5], v20, off
	v_mov_b32_e32 v4, s45
	v_add_co_u32_e32 v2, vcc, s44, v2
	v_addc_co_u32_e32 v3, vcc, v4, v3, vcc
	global_store_dword v[2:3], v6, off
.LBB959_209:
	s_or_b64 exec, exec, s[4:5]
	v_lshl_or_b32 v30, v54, 9, v7
	s_waitcnt lgkmcnt(0)
	s_barrier
	s_load_dword s4, s[42:43], 0x0
	ds_read_b128 v[2:5], v30
	ds_read_b128 v[6:9], v30 offset:16
	ds_read_b128 v[10:13], v30 offset:2048
	;; [unrolled: 1-line block ×7, first 2 shown]
	v_mov_b32_e32 v35, 0x80
	v_mov_b32_e32 v41, 0x140
	s_mov_b64 s[10:11], -1
	s_waitcnt lgkmcnt(0)
	s_mov_b32 s5, s4
	s_mov_b32 s6, s4
	;; [unrolled: 1-line block ×3, first 2 shown]
	s_movk_i32 s9, 0x80
	s_movk_i32 s21, 0x7f
	s_mov_b32 s22, 0xffffff
	s_mov_b32 s23, 0x5040100
	v_mov_b32_e32 v43, 0
	v_bfrev_b32_e32 v45, 60
	s_branch .LBB959_213
.LBB959_210:                            ;   in Loop: Header=BB959_213 Depth=1
	s_or_b64 exec, exec, s[16:17]
.LBB959_211:                            ;   in Loop: Header=BB959_213 Depth=1
	s_or_b64 exec, exec, s[14:15]
.LBB959_212:                            ;   in Loop: Header=BB959_213 Depth=1
	s_or_b64 exec, exec, s[12:13]
	v_perm_b32 v47, v49, v47, s23
	v_perm_b32 v46, v44, v46, s23
	s_xor_b64 s[12:13], s[10:11], -1
	s_mov_b64 s[10:11], 0
	v_mov_b32_e32 v64, v59
	v_mfma_f32_16x16x16bf16_1k v[66:69], v[46:47], v[30:31], v[34:37]
	s_and_b64 vcc, exec, s[12:13]
	v_mov_b32_e32 v63, v60
	v_mov_b32_e32 v62, v61
	s_nop 3
	v_perm_b32 v37, v51, v50, s23
	v_perm_b32 v36, v42, v48, s23
	v_mov_b32_e32 v35, v58
	s_nop 0
	v_mfma_f32_16x16x16bf16_1k v[46:49], v[36:37], v[32:33], v[66:69]
	s_nop 7
	s_nop 2
	v_pk_mul_f32 v[46:47], v[46:47], s[4:5]
	v_pk_mul_f32 v[36:37], v[48:49], s[6:7]
	v_bfe_u32 v34, v47, 16, 1
	v_bfe_u32 v38, v46, 16, 1
	v_bfe_u32 v40, v37, 16, 1
	v_bfe_u32 v42, v36, 16, 1
	v_add3_u32 v38, v46, v38, s19
	v_add3_u32 v34, v47, v34, s19
	;; [unrolled: 1-line block ×4, first 2 shown]
	v_perm_b32 v34, v34, v38, s20
	v_perm_b32 v36, v37, v36, s20
	buffer_store_dword v34, v41, s[0:3], 0 offen
	buffer_store_dword v36, v41, s[0:3], 0 offen offset:4
	v_mov_b32_e32 v41, 0x148
	s_cbranch_vccnz .LBB959_595
.LBB959_213:                            ; =>This Inner Loop Header: Depth=1
	buffer_load_dword v36, v35, s[0:3], 0 offen
	buffer_load_dword v34, v35, s[0:3], 0 offen offset:4
	buffer_load_dword v40, v35, s[0:3], 0 offen offset:8
	buffer_load_dword v38, v35, s[0:3], 0 offen offset:12
	v_mov_b32_e32 v35, 0
	s_waitcnt vmcnt(3)
	v_cmp_ne_u16_sdwa s[14:15], v36, v43 src0_sel:BYTE_0 src1_sel:DWORD
	s_and_saveexec_b64 s[12:13], s[14:15]
	s_cbranch_execz .LBB959_219
; %bb.214:                              ;   in Loop: Header=BB959_213 Depth=1
	v_cmp_ne_u16_sdwa s[16:17], v36, s9 src0_sel:BYTE_0 src1_sel:DWORD
	v_mov_b32_e32 v35, 0xffff8000
	s_and_saveexec_b64 s[14:15], s[16:17]
	s_cbranch_execz .LBB959_218
; %bb.215:                              ;   in Loop: Header=BB959_213 Depth=1
	v_and_b32_e32 v37, 0x7f, v36
	v_cmp_ne_u32_e32 vcc, s21, v37
	v_mov_b32_e32 v35, 0x7f80
	s_and_saveexec_b64 s[16:17], vcc
	s_cbranch_execz .LBB959_217
; %bb.216:                              ;   in Loop: Header=BB959_213 Depth=1
	v_and_b32_e32 v35, 7, v36
	v_ffbh_u32_e32 v44, v35
	v_min_u32_e32 v44, 32, v44
	v_subrev_u32_e32 v46, 28, v44
	v_lshlrev_b64 v[46:47], v46, v[36:37]
	v_lshrrev_b32_e32 v42, 3, v37
	v_sub_u32_e32 v44, 29, v44
	v_and_b32_e32 v46, 7, v46
	v_cmp_gt_u32_e32 vcc, 8, v37
	v_cndmask_b32_e32 v37, v42, v44, vcc
	v_cndmask_b32_e32 v35, v35, v46, vcc
	v_lshlrev_b32_e32 v42, 24, v36
	v_lshlrev_b32_e32 v35, 20, v35
	v_and_b32_e32 v42, 0x80000000, v42
	v_lshl_add_u32 v37, v37, 23, v45
	v_or3_b32 v35, v42, v37, v35
	v_lshrrev_b32_e32 v35, 16, v35
.LBB959_217:                            ;   in Loop: Header=BB959_213 Depth=1
	s_or_b64 exec, exec, s[16:17]
.LBB959_218:                            ;   in Loop: Header=BB959_213 Depth=1
	s_or_b64 exec, exec, s[14:15]
.LBB959_219:                            ;   in Loop: Header=BB959_213 Depth=1
	s_or_b64 exec, exec, s[12:13]
	v_lshrrev_b16_e32 v42, 8, v36
	v_cmp_ne_u16_e32 vcc, 0, v42
	v_mov_b32_e32 v46, 0
	v_mov_b32_e32 v37, 0
	s_and_saveexec_b64 s[12:13], vcc
	s_cbranch_execz .LBB959_225
; %bb.220:                              ;   in Loop: Header=BB959_213 Depth=1
	v_cmp_ne_u16_e32 vcc, s9, v42
	v_mov_b32_e32 v37, 0xffff8000
	s_and_saveexec_b64 s[14:15], vcc
	s_cbranch_execz .LBB959_224
; %bb.221:                              ;   in Loop: Header=BB959_213 Depth=1
	v_and_b32_e32 v44, 0x7f, v42
	v_cmp_ne_u32_e32 vcc, s21, v44
	v_mov_b32_e32 v37, 0x7f80
	s_and_saveexec_b64 s[16:17], vcc
	s_cbranch_execz .LBB959_223
; %bb.222:                              ;   in Loop: Header=BB959_213 Depth=1
	v_and_b32_e32 v37, 7, v42
	v_ffbh_u32_e32 v48, v37
	v_min_u32_e32 v50, 32, v48
	v_subrev_u32_e32 v48, 28, v50
	v_lshlrev_b64 v[48:49], v48, v[42:43]
	v_lshrrev_b32_e32 v47, 3, v44
	v_sub_u32_e32 v42, 29, v50
	v_and_b32_e32 v48, 7, v48
	v_cmp_gt_u32_e32 vcc, 8, v44
	v_cndmask_b32_e32 v42, v47, v42, vcc
	v_cndmask_b32_e32 v37, v37, v48, vcc
	v_lshlrev_b32_e32 v44, 16, v36
	v_lshlrev_b32_e32 v37, 20, v37
	v_and_b32_e32 v44, 0x80000000, v44
	v_lshl_add_u32 v42, v42, 23, v45
	v_or3_b32 v37, v44, v42, v37
	v_lshrrev_b32_e32 v37, 16, v37
.LBB959_223:                            ;   in Loop: Header=BB959_213 Depth=1
	s_or_b64 exec, exec, s[16:17]
.LBB959_224:                            ;   in Loop: Header=BB959_213 Depth=1
	s_or_b64 exec, exec, s[14:15]
.LBB959_225:                            ;   in Loop: Header=BB959_213 Depth=1
	s_or_b64 exec, exec, s[12:13]
	v_lshrrev_b32_e32 v42, 16, v36
	v_cmp_ne_u16_sdwa s[14:15], v42, v43 src0_sel:BYTE_0 src1_sel:DWORD
	s_and_saveexec_b64 s[12:13], s[14:15]
	s_cbranch_execz .LBB959_231
; %bb.226:                              ;   in Loop: Header=BB959_213 Depth=1
	v_cmp_ne_u16_sdwa s[16:17], v42, s9 src0_sel:BYTE_0 src1_sel:DWORD
	v_mov_b32_e32 v46, 0xffff8000
	s_and_saveexec_b64 s[14:15], s[16:17]
	s_cbranch_execz .LBB959_230
; %bb.227:                              ;   in Loop: Header=BB959_213 Depth=1
	v_bfe_u32 v44, v36, 16, 7
	v_cmp_ne_u32_e32 vcc, s21, v44
	v_mov_b32_e32 v46, 0x7f80
	s_and_saveexec_b64 s[16:17], vcc
	s_cbranch_execz .LBB959_229
; %bb.228:                              ;   in Loop: Header=BB959_213 Depth=1
	v_and_b32_e32 v48, 7, v42
	v_ffbh_u32_e32 v46, v48
	v_min_u32_e32 v50, 32, v46
	v_subrev_u32_e32 v46, 28, v50
	v_lshlrev_b64 v[46:47], v46, v[42:43]
	v_lshrrev_b32_e32 v49, 3, v44
	v_sub_u32_e32 v47, 29, v50
	v_and_b32_e32 v46, 7, v46
	v_cmp_gt_u32_e32 vcc, 8, v44
	v_cndmask_b32_e32 v44, v49, v47, vcc
	v_cndmask_b32_e32 v46, v48, v46, vcc
	v_lshlrev_b32_e32 v42, 24, v42
	v_lshlrev_b32_e32 v46, 20, v46
	v_and_b32_e32 v42, 0x80000000, v42
	v_lshl_add_u32 v44, v44, 23, v45
	v_or3_b32 v42, v42, v44, v46
	v_lshrrev_b32_e32 v46, 16, v42
.LBB959_229:                            ;   in Loop: Header=BB959_213 Depth=1
	s_or_b64 exec, exec, s[16:17]
.LBB959_230:                            ;   in Loop: Header=BB959_213 Depth=1
	s_or_b64 exec, exec, s[14:15]
.LBB959_231:                            ;   in Loop: Header=BB959_213 Depth=1
	s_or_b64 exec, exec, s[12:13]
	v_cmp_lt_u32_e32 vcc, s22, v36
	v_mov_b32_e32 v47, 0
	v_mov_b32_e32 v48, 0
	s_and_saveexec_b64 s[12:13], vcc
	s_cbranch_execz .LBB959_237
; %bb.232:                              ;   in Loop: Header=BB959_213 Depth=1
	v_lshrrev_b32_e32 v42, 24, v36
	v_cmp_ne_u32_e32 vcc, s9, v42
	v_mov_b32_e32 v48, 0xffff8000
	s_and_saveexec_b64 s[14:15], vcc
	s_cbranch_execz .LBB959_236
; %bb.233:                              ;   in Loop: Header=BB959_213 Depth=1
	v_bfe_u32 v36, v36, 24, 7
	v_cmp_ne_u32_e32 vcc, s21, v36
	v_mov_b32_e32 v48, 0x7f80
	s_and_saveexec_b64 s[16:17], vcc
	s_cbranch_execz .LBB959_235
; %bb.234:                              ;   in Loop: Header=BB959_213 Depth=1
	v_and_b32_e32 v44, 7, v42
	v_ffbh_u32_e32 v48, v44
	v_min_u32_e32 v51, 32, v48
	v_subrev_u32_e32 v48, 28, v51
	v_lshlrev_b64 v[48:49], v48, v[42:43]
	v_lshrrev_b32_e32 v50, 3, v36
	v_sub_u32_e32 v49, 29, v51
	v_and_b32_e32 v48, 7, v48
	v_cmp_gt_u32_e32 vcc, 8, v36
	v_cndmask_b32_e32 v36, v50, v49, vcc
	v_cndmask_b32_e32 v44, v44, v48, vcc
	v_lshlrev_b32_e32 v42, 24, v42
	v_lshlrev_b32_e32 v44, 20, v44
	v_and_b32_e32 v42, 0x80000000, v42
	v_lshl_add_u32 v36, v36, 23, v45
	v_or3_b32 v36, v42, v36, v44
	v_lshrrev_b32_e32 v48, 16, v36
.LBB959_235:                            ;   in Loop: Header=BB959_213 Depth=1
	s_or_b64 exec, exec, s[16:17]
.LBB959_236:                            ;   in Loop: Header=BB959_213 Depth=1
	s_or_b64 exec, exec, s[14:15]
.LBB959_237:                            ;   in Loop: Header=BB959_213 Depth=1
	s_or_b64 exec, exec, s[12:13]
	s_waitcnt vmcnt(2)
	v_cmp_ne_u16_sdwa s[14:15], v34, v43 src0_sel:BYTE_0 src1_sel:DWORD
	s_and_saveexec_b64 s[12:13], s[14:15]
	s_cbranch_execz .LBB959_243
; %bb.238:                              ;   in Loop: Header=BB959_213 Depth=1
	v_cmp_ne_u16_sdwa s[16:17], v34, s9 src0_sel:BYTE_0 src1_sel:DWORD
	v_mov_b32_e32 v47, 0xffff8000
	s_and_saveexec_b64 s[14:15], s[16:17]
	s_cbranch_execz .LBB959_242
; %bb.239:                              ;   in Loop: Header=BB959_213 Depth=1
	v_and_b32_e32 v36, 0x7f, v34
	v_cmp_ne_u32_e32 vcc, s21, v36
	v_mov_b32_e32 v47, 0x7f80
	s_and_saveexec_b64 s[16:17], vcc
	s_cbranch_execz .LBB959_241
; %bb.240:                              ;   in Loop: Header=BB959_213 Depth=1
	v_and_b32_e32 v42, 7, v34
	v_ffbh_u32_e32 v47, v42
	v_min_u32_e32 v47, 32, v47
	v_subrev_u32_e32 v49, 28, v47
	v_lshlrev_b64 v[50:51], v49, v[34:35]
	v_lshrrev_b32_e32 v44, 3, v36
	v_sub_u32_e32 v47, 29, v47
	v_and_b32_e32 v49, 7, v50
	v_cmp_gt_u32_e32 vcc, 8, v36
	v_cndmask_b32_e32 v36, v44, v47, vcc
	v_cndmask_b32_e32 v42, v42, v49, vcc
	v_lshlrev_b32_e32 v44, 24, v34
	v_lshlrev_b32_e32 v42, 20, v42
	v_and_b32_e32 v44, 0x80000000, v44
	v_lshl_add_u32 v36, v36, 23, v45
	v_or3_b32 v36, v44, v36, v42
	v_lshrrev_b32_e32 v47, 16, v36
.LBB959_241:                            ;   in Loop: Header=BB959_213 Depth=1
	s_or_b64 exec, exec, s[16:17]
.LBB959_242:                            ;   in Loop: Header=BB959_213 Depth=1
	s_or_b64 exec, exec, s[14:15]
.LBB959_243:                            ;   in Loop: Header=BB959_213 Depth=1
	s_or_b64 exec, exec, s[12:13]
	v_lshrrev_b16_e32 v36, 8, v34
	v_cmp_ne_u16_e32 vcc, 0, v36
	v_mov_b32_e32 v49, 0
	v_mov_b32_e32 v42, 0
	s_and_saveexec_b64 s[12:13], vcc
	s_cbranch_execz .LBB959_249
; %bb.244:                              ;   in Loop: Header=BB959_213 Depth=1
	v_cmp_ne_u16_e32 vcc, s9, v36
	v_mov_b32_e32 v42, 0xffff8000
	s_and_saveexec_b64 s[14:15], vcc
	s_cbranch_execz .LBB959_248
; %bb.245:                              ;   in Loop: Header=BB959_213 Depth=1
	v_and_b32_e32 v44, 0x7f, v36
	v_cmp_ne_u32_e32 vcc, s21, v44
	v_mov_b32_e32 v42, 0x7f80
	s_and_saveexec_b64 s[16:17], vcc
	s_cbranch_execz .LBB959_247
; %bb.246:                              ;   in Loop: Header=BB959_213 Depth=1
	v_and_b32_e32 v42, 7, v36
	v_ffbh_u32_e32 v50, v42
	v_min_u32_e32 v53, 32, v50
	v_subrev_u32_e32 v50, 28, v53
	v_lshlrev_b64 v[50:51], v50, v[36:37]
	v_lshrrev_b32_e32 v52, 3, v44
	v_sub_u32_e32 v36, 29, v53
	v_and_b32_e32 v50, 7, v50
	v_cmp_gt_u32_e32 vcc, 8, v44
	v_cndmask_b32_e32 v36, v52, v36, vcc
	v_cndmask_b32_e32 v42, v42, v50, vcc
	v_lshlrev_b32_e32 v44, 16, v34
	v_lshlrev_b32_e32 v42, 20, v42
	v_and_b32_e32 v44, 0x80000000, v44
	v_lshl_add_u32 v36, v36, 23, v45
	v_or3_b32 v36, v44, v36, v42
	v_lshrrev_b32_e32 v42, 16, v36
.LBB959_247:                            ;   in Loop: Header=BB959_213 Depth=1
	s_or_b64 exec, exec, s[16:17]
.LBB959_248:                            ;   in Loop: Header=BB959_213 Depth=1
	s_or_b64 exec, exec, s[14:15]
.LBB959_249:                            ;   in Loop: Header=BB959_213 Depth=1
	s_or_b64 exec, exec, s[12:13]
	v_lshrrev_b32_e32 v36, 16, v34
	v_cmp_ne_u16_sdwa s[14:15], v36, v43 src0_sel:BYTE_0 src1_sel:DWORD
	s_and_saveexec_b64 s[12:13], s[14:15]
	s_cbranch_execz .LBB959_255
; %bb.250:                              ;   in Loop: Header=BB959_213 Depth=1
	v_cmp_ne_u16_sdwa s[16:17], v36, s9 src0_sel:BYTE_0 src1_sel:DWORD
	v_mov_b32_e32 v49, 0xffff8000
	s_and_saveexec_b64 s[14:15], s[16:17]
	s_cbranch_execz .LBB959_254
; %bb.251:                              ;   in Loop: Header=BB959_213 Depth=1
	v_bfe_u32 v44, v34, 16, 7
	v_cmp_ne_u32_e32 vcc, s21, v44
	v_mov_b32_e32 v49, 0x7f80
	s_and_saveexec_b64 s[16:17], vcc
	s_cbranch_execz .LBB959_253
; %bb.252:                              ;   in Loop: Header=BB959_213 Depth=1
	v_and_b32_e32 v49, 7, v36
	v_ffbh_u32_e32 v50, v49
	v_min_u32_e32 v53, 32, v50
	v_subrev_u32_e32 v50, 28, v53
	v_lshlrev_b64 v[50:51], v50, v[36:37]
	v_lshrrev_b32_e32 v52, 3, v44
	v_sub_u32_e32 v51, 29, v53
	v_and_b32_e32 v50, 7, v50
	v_cmp_gt_u32_e32 vcc, 8, v44
	v_cndmask_b32_e32 v44, v52, v51, vcc
	v_cndmask_b32_e32 v49, v49, v50, vcc
	v_lshlrev_b32_e32 v36, 24, v36
	v_lshlrev_b32_e32 v49, 20, v49
	v_and_b32_e32 v36, 0x80000000, v36
	v_lshl_add_u32 v44, v44, 23, v45
	v_or3_b32 v36, v36, v44, v49
	v_lshrrev_b32_e32 v49, 16, v36
.LBB959_253:                            ;   in Loop: Header=BB959_213 Depth=1
	s_or_b64 exec, exec, s[16:17]
.LBB959_254:                            ;   in Loop: Header=BB959_213 Depth=1
	s_or_b64 exec, exec, s[14:15]
.LBB959_255:                            ;   in Loop: Header=BB959_213 Depth=1
	s_or_b64 exec, exec, s[12:13]
	v_cmp_lt_u32_e32 vcc, s22, v34
	v_mov_b32_e32 v44, 0
	v_mov_b32_e32 v50, 0
	s_and_saveexec_b64 s[12:13], vcc
	s_cbranch_execz .LBB959_261
; %bb.256:                              ;   in Loop: Header=BB959_213 Depth=1
	v_lshrrev_b32_e32 v36, 24, v34
	v_cmp_ne_u32_e32 vcc, s9, v36
	v_mov_b32_e32 v50, 0xffff8000
	s_and_saveexec_b64 s[14:15], vcc
	s_cbranch_execz .LBB959_260
; %bb.257:                              ;   in Loop: Header=BB959_213 Depth=1
	v_bfe_u32 v34, v34, 24, 7
	v_cmp_ne_u32_e32 vcc, s21, v34
	v_mov_b32_e32 v50, 0x7f80
	s_and_saveexec_b64 s[16:17], vcc
	s_cbranch_execz .LBB959_259
; %bb.258:                              ;   in Loop: Header=BB959_213 Depth=1
	v_and_b32_e32 v52, 7, v36
	v_ffbh_u32_e32 v50, v52
	v_min_u32_e32 v65, 32, v50
	v_subrev_u32_e32 v50, 28, v65
	v_lshlrev_b64 v[50:51], v50, v[36:37]
	v_lshrrev_b32_e32 v53, 3, v34
	v_sub_u32_e32 v51, 29, v65
	v_and_b32_e32 v50, 7, v50
	v_cmp_gt_u32_e32 vcc, 8, v34
	v_cndmask_b32_e32 v34, v53, v51, vcc
	v_cndmask_b32_e32 v50, v52, v50, vcc
	v_lshlrev_b32_e32 v36, 24, v36
	v_lshlrev_b32_e32 v50, 20, v50
	v_and_b32_e32 v36, 0x80000000, v36
	v_lshl_add_u32 v34, v34, 23, v45
	v_or3_b32 v34, v36, v34, v50
	v_lshrrev_b32_e32 v50, 16, v34
.LBB959_259:                            ;   in Loop: Header=BB959_213 Depth=1
	s_or_b64 exec, exec, s[16:17]
.LBB959_260:                            ;   in Loop: Header=BB959_213 Depth=1
	s_or_b64 exec, exec, s[14:15]
.LBB959_261:                            ;   in Loop: Header=BB959_213 Depth=1
	s_or_b64 exec, exec, s[12:13]
	v_perm_b32 v53, v48, v46, s23
	v_perm_b32 v52, v37, v35, s23
	;; [unrolled: 1-line block ×4, first 2 shown]
	s_waitcnt vmcnt(1)
	v_cmp_ne_u16_sdwa s[14:15], v40, v43 src0_sel:BYTE_0 src1_sel:DWORD
	v_mfma_f32_16x16x16bf16_1k v[34:37], v[52:53], v[2:3], 0
	v_mfma_f32_16x16x16bf16_1k v[34:37], v[48:49], v[4:5], v[34:37]
	s_and_saveexec_b64 s[12:13], s[14:15]
	s_cbranch_execz .LBB959_267
; %bb.262:                              ;   in Loop: Header=BB959_213 Depth=1
	v_cmp_ne_u16_sdwa s[16:17], v40, s9 src0_sel:BYTE_0 src1_sel:DWORD
	v_mov_b32_e32 v44, 0xffff8000
	s_and_saveexec_b64 s[14:15], s[16:17]
	s_cbranch_execz .LBB959_266
; %bb.263:                              ;   in Loop: Header=BB959_213 Depth=1
	v_and_b32_e32 v42, 0x7f, v40
	v_cmp_ne_u32_e32 vcc, s21, v42
	v_mov_b32_e32 v44, 0x7f80
	s_and_saveexec_b64 s[16:17], vcc
	s_cbranch_execz .LBB959_265
; %bb.264:                              ;   in Loop: Header=BB959_213 Depth=1
	v_and_b32_e32 v44, 7, v40
	v_ffbh_u32_e32 v46, v44
	v_min_u32_e32 v49, 32, v46
	v_subrev_u32_e32 v46, 28, v49
	v_lshlrev_b64 v[46:47], v46, v[40:41]
	v_lshrrev_b32_e32 v48, 3, v42
	v_sub_u32_e32 v47, 29, v49
	v_and_b32_e32 v46, 7, v46
	v_cmp_gt_u32_e32 vcc, 8, v42
	v_cndmask_b32_e32 v42, v48, v47, vcc
	v_cndmask_b32_e32 v44, v44, v46, vcc
	v_lshlrev_b32_e32 v46, 24, v40
	v_lshlrev_b32_e32 v44, 20, v44
	v_and_b32_e32 v46, 0x80000000, v46
	v_lshl_add_u32 v42, v42, 23, v45
	v_or3_b32 v42, v46, v42, v44
	v_lshrrev_b32_e32 v44, 16, v42
.LBB959_265:                            ;   in Loop: Header=BB959_213 Depth=1
	s_or_b64 exec, exec, s[16:17]
.LBB959_266:                            ;   in Loop: Header=BB959_213 Depth=1
	s_or_b64 exec, exec, s[14:15]
.LBB959_267:                            ;   in Loop: Header=BB959_213 Depth=1
	s_or_b64 exec, exec, s[12:13]
	v_lshrrev_b16_e32 v42, 8, v40
	v_cmp_ne_u16_e32 vcc, 0, v42
	v_mov_b32_e32 v48, 0
	v_mov_b32_e32 v46, 0
	s_and_saveexec_b64 s[12:13], vcc
	s_cbranch_execz .LBB959_273
; %bb.268:                              ;   in Loop: Header=BB959_213 Depth=1
	v_cmp_ne_u16_e32 vcc, s9, v42
	v_mov_b32_e32 v46, 0xffff8000
	s_and_saveexec_b64 s[14:15], vcc
	s_cbranch_execz .LBB959_272
; %bb.269:                              ;   in Loop: Header=BB959_213 Depth=1
	v_and_b32_e32 v47, 0x7f, v42
	v_cmp_ne_u32_e32 vcc, s21, v47
	v_mov_b32_e32 v46, 0x7f80
	s_and_saveexec_b64 s[16:17], vcc
	s_cbranch_execz .LBB959_271
; %bb.270:                              ;   in Loop: Header=BB959_213 Depth=1
	v_and_b32_e32 v46, 7, v42
	v_ffbh_u32_e32 v50, v46
	v_min_u32_e32 v52, 32, v50
	v_subrev_u32_e32 v50, 28, v52
	v_lshlrev_b64 v[50:51], v50, v[42:43]
	v_lshrrev_b32_e32 v49, 3, v47
	v_sub_u32_e32 v42, 29, v52
	v_and_b32_e32 v50, 7, v50
	v_cmp_gt_u32_e32 vcc, 8, v47
	v_cndmask_b32_e32 v42, v49, v42, vcc
	v_cndmask_b32_e32 v46, v46, v50, vcc
	v_lshlrev_b32_e32 v47, 16, v40
	v_lshlrev_b32_e32 v46, 20, v46
	v_and_b32_e32 v47, 0x80000000, v47
	v_lshl_add_u32 v42, v42, 23, v45
	v_or3_b32 v42, v47, v42, v46
	v_lshrrev_b32_e32 v46, 16, v42
.LBB959_271:                            ;   in Loop: Header=BB959_213 Depth=1
	s_or_b64 exec, exec, s[16:17]
.LBB959_272:                            ;   in Loop: Header=BB959_213 Depth=1
	s_or_b64 exec, exec, s[14:15]
.LBB959_273:                            ;   in Loop: Header=BB959_213 Depth=1
	s_or_b64 exec, exec, s[12:13]
	v_lshrrev_b32_e32 v42, 16, v40
	v_cmp_ne_u16_sdwa s[14:15], v42, v43 src0_sel:BYTE_0 src1_sel:DWORD
	s_and_saveexec_b64 s[12:13], s[14:15]
	s_cbranch_execz .LBB959_279
; %bb.274:                              ;   in Loop: Header=BB959_213 Depth=1
	v_cmp_ne_u16_sdwa s[16:17], v42, s9 src0_sel:BYTE_0 src1_sel:DWORD
	v_mov_b32_e32 v48, 0xffff8000
	s_and_saveexec_b64 s[14:15], s[16:17]
	s_cbranch_execz .LBB959_278
; %bb.275:                              ;   in Loop: Header=BB959_213 Depth=1
	v_bfe_u32 v47, v40, 16, 7
	v_cmp_ne_u32_e32 vcc, s21, v47
	v_mov_b32_e32 v48, 0x7f80
	s_and_saveexec_b64 s[16:17], vcc
	s_cbranch_execz .LBB959_277
; %bb.276:                              ;   in Loop: Header=BB959_213 Depth=1
	v_and_b32_e32 v50, 7, v42
	v_ffbh_u32_e32 v48, v50
	v_min_u32_e32 v52, 32, v48
	v_subrev_u32_e32 v48, 28, v52
	v_lshlrev_b64 v[48:49], v48, v[42:43]
	v_lshrrev_b32_e32 v51, 3, v47
	v_sub_u32_e32 v49, 29, v52
	v_and_b32_e32 v48, 7, v48
	v_cmp_gt_u32_e32 vcc, 8, v47
	v_cndmask_b32_e32 v47, v51, v49, vcc
	v_cndmask_b32_e32 v48, v50, v48, vcc
	v_lshlrev_b32_e32 v42, 24, v42
	v_lshlrev_b32_e32 v48, 20, v48
	v_and_b32_e32 v42, 0x80000000, v42
	v_lshl_add_u32 v47, v47, 23, v45
	v_or3_b32 v42, v42, v47, v48
	v_lshrrev_b32_e32 v48, 16, v42
.LBB959_277:                            ;   in Loop: Header=BB959_213 Depth=1
	s_or_b64 exec, exec, s[16:17]
.LBB959_278:                            ;   in Loop: Header=BB959_213 Depth=1
	s_or_b64 exec, exec, s[14:15]
.LBB959_279:                            ;   in Loop: Header=BB959_213 Depth=1
	s_or_b64 exec, exec, s[12:13]
	v_cmp_lt_u32_e32 vcc, s22, v40
	v_mov_b32_e32 v49, 0
	v_mov_b32_e32 v50, 0
	s_and_saveexec_b64 s[12:13], vcc
	s_cbranch_execz .LBB959_285
; %bb.280:                              ;   in Loop: Header=BB959_213 Depth=1
	v_lshrrev_b32_e32 v42, 24, v40
	v_cmp_ne_u32_e32 vcc, s9, v42
	v_mov_b32_e32 v50, 0xffff8000
	s_and_saveexec_b64 s[14:15], vcc
	s_cbranch_execz .LBB959_284
; %bb.281:                              ;   in Loop: Header=BB959_213 Depth=1
	v_bfe_u32 v40, v40, 24, 7
	v_cmp_ne_u32_e32 vcc, s21, v40
	v_mov_b32_e32 v50, 0x7f80
	s_and_saveexec_b64 s[16:17], vcc
	s_cbranch_execz .LBB959_283
; %bb.282:                              ;   in Loop: Header=BB959_213 Depth=1
	v_and_b32_e32 v47, 7, v42
	v_ffbh_u32_e32 v50, v47
	v_min_u32_e32 v53, 32, v50
	v_subrev_u32_e32 v50, 28, v53
	v_lshlrev_b64 v[50:51], v50, v[42:43]
	v_lshrrev_b32_e32 v52, 3, v40
	v_sub_u32_e32 v51, 29, v53
	v_and_b32_e32 v50, 7, v50
	v_cmp_gt_u32_e32 vcc, 8, v40
	v_cndmask_b32_e32 v40, v52, v51, vcc
	v_cndmask_b32_e32 v47, v47, v50, vcc
	v_lshlrev_b32_e32 v42, 24, v42
	v_lshlrev_b32_e32 v47, 20, v47
	v_and_b32_e32 v42, 0x80000000, v42
	v_lshl_add_u32 v40, v40, 23, v45
	v_or3_b32 v40, v42, v40, v47
	v_lshrrev_b32_e32 v50, 16, v40
.LBB959_283:                            ;   in Loop: Header=BB959_213 Depth=1
	s_or_b64 exec, exec, s[16:17]
.LBB959_284:                            ;   in Loop: Header=BB959_213 Depth=1
	s_or_b64 exec, exec, s[14:15]
.LBB959_285:                            ;   in Loop: Header=BB959_213 Depth=1
	s_or_b64 exec, exec, s[12:13]
	s_waitcnt vmcnt(0)
	v_cmp_ne_u16_sdwa s[14:15], v38, v43 src0_sel:BYTE_0 src1_sel:DWORD
	s_and_saveexec_b64 s[12:13], s[14:15]
	s_cbranch_execz .LBB959_291
; %bb.286:                              ;   in Loop: Header=BB959_213 Depth=1
	v_cmp_ne_u16_sdwa s[16:17], v38, s9 src0_sel:BYTE_0 src1_sel:DWORD
	v_mov_b32_e32 v49, 0xffff8000
	s_and_saveexec_b64 s[14:15], s[16:17]
	s_cbranch_execz .LBB959_290
; %bb.287:                              ;   in Loop: Header=BB959_213 Depth=1
	v_and_b32_e32 v40, 0x7f, v38
	v_cmp_ne_u32_e32 vcc, s21, v40
	v_mov_b32_e32 v49, 0x7f80
	s_and_saveexec_b64 s[16:17], vcc
	s_cbranch_execz .LBB959_289
; %bb.288:                              ;   in Loop: Header=BB959_213 Depth=1
	v_and_b32_e32 v42, 7, v38
	v_ffbh_u32_e32 v49, v42
	v_min_u32_e32 v49, 32, v49
	v_subrev_u32_e32 v51, 28, v49
	v_lshlrev_b64 v[52:53], v51, v[38:39]
	v_lshrrev_b32_e32 v47, 3, v40
	v_sub_u32_e32 v49, 29, v49
	v_and_b32_e32 v51, 7, v52
	v_cmp_gt_u32_e32 vcc, 8, v40
	v_cndmask_b32_e32 v40, v47, v49, vcc
	v_cndmask_b32_e32 v42, v42, v51, vcc
	v_lshlrev_b32_e32 v47, 24, v38
	v_lshlrev_b32_e32 v42, 20, v42
	v_and_b32_e32 v47, 0x80000000, v47
	v_lshl_add_u32 v40, v40, 23, v45
	v_or3_b32 v40, v47, v40, v42
	v_lshrrev_b32_e32 v49, 16, v40
.LBB959_289:                            ;   in Loop: Header=BB959_213 Depth=1
	s_or_b64 exec, exec, s[16:17]
.LBB959_290:                            ;   in Loop: Header=BB959_213 Depth=1
	s_or_b64 exec, exec, s[14:15]
.LBB959_291:                            ;   in Loop: Header=BB959_213 Depth=1
	s_or_b64 exec, exec, s[12:13]
	v_lshrrev_b16_e32 v40, 8, v38
	v_cmp_ne_u16_e32 vcc, 0, v40
	v_mov_b32_e32 v52, 0
	v_mov_b32_e32 v51, 0
	s_and_saveexec_b64 s[12:13], vcc
	s_cbranch_execz .LBB959_297
; %bb.292:                              ;   in Loop: Header=BB959_213 Depth=1
	v_cmp_ne_u16_e32 vcc, s9, v40
	v_mov_b32_e32 v51, 0xffff8000
	s_and_saveexec_b64 s[14:15], vcc
	s_cbranch_execz .LBB959_296
; %bb.293:                              ;   in Loop: Header=BB959_213 Depth=1
	v_and_b32_e32 v42, 0x7f, v40
	v_cmp_ne_u32_e32 vcc, s21, v42
	v_mov_b32_e32 v51, 0x7f80
	s_and_saveexec_b64 s[16:17], vcc
	s_cbranch_execz .LBB959_295
; %bb.294:                              ;   in Loop: Header=BB959_213 Depth=1
	v_and_b32_e32 v47, 7, v40
	v_ffbh_u32_e32 v53, v47
	v_min_u32_e32 v53, 32, v53
	v_subrev_u32_e32 v65, 28, v53
	v_lshlrev_b64 v[66:67], v65, v[40:41]
	v_lshrrev_b32_e32 v51, 3, v42
	v_sub_u32_e32 v40, 29, v53
	v_and_b32_e32 v53, 7, v66
	v_cmp_gt_u32_e32 vcc, 8, v42
	v_cndmask_b32_e32 v40, v51, v40, vcc
	v_cndmask_b32_e32 v42, v47, v53, vcc
	v_lshlrev_b32_e32 v47, 16, v38
	v_lshlrev_b32_e32 v42, 20, v42
	v_and_b32_e32 v47, 0x80000000, v47
	v_lshl_add_u32 v40, v40, 23, v45
	v_or3_b32 v40, v47, v40, v42
	v_lshrrev_b32_e32 v51, 16, v40
.LBB959_295:                            ;   in Loop: Header=BB959_213 Depth=1
	s_or_b64 exec, exec, s[16:17]
.LBB959_296:                            ;   in Loop: Header=BB959_213 Depth=1
	s_or_b64 exec, exec, s[14:15]
.LBB959_297:                            ;   in Loop: Header=BB959_213 Depth=1
	s_or_b64 exec, exec, s[12:13]
	v_lshrrev_b32_e32 v40, 16, v38
	v_cmp_ne_u16_sdwa s[14:15], v40, v43 src0_sel:BYTE_0 src1_sel:DWORD
	s_and_saveexec_b64 s[12:13], s[14:15]
	s_cbranch_execz .LBB959_303
; %bb.298:                              ;   in Loop: Header=BB959_213 Depth=1
	v_cmp_ne_u16_sdwa s[16:17], v40, s9 src0_sel:BYTE_0 src1_sel:DWORD
	v_mov_b32_e32 v52, 0xffff8000
	s_and_saveexec_b64 s[14:15], s[16:17]
	s_cbranch_execz .LBB959_302
; %bb.299:                              ;   in Loop: Header=BB959_213 Depth=1
	v_bfe_u32 v42, v38, 16, 7
	v_cmp_ne_u32_e32 vcc, s21, v42
	v_mov_b32_e32 v52, 0x7f80
	s_and_saveexec_b64 s[16:17], vcc
	s_cbranch_execz .LBB959_301
; %bb.300:                              ;   in Loop: Header=BB959_213 Depth=1
	v_and_b32_e32 v47, 7, v40
	v_ffbh_u32_e32 v52, v47
	v_min_u32_e32 v66, 32, v52
	v_subrev_u32_e32 v52, 28, v66
	v_lshlrev_b64 v[52:53], v52, v[40:41]
	v_lshrrev_b32_e32 v65, 3, v42
	v_sub_u32_e32 v53, 29, v66
	v_and_b32_e32 v52, 7, v52
	v_cmp_gt_u32_e32 vcc, 8, v42
	v_cndmask_b32_e32 v42, v65, v53, vcc
	v_cndmask_b32_e32 v47, v47, v52, vcc
	v_lshlrev_b32_e32 v40, 24, v40
	v_lshlrev_b32_e32 v47, 20, v47
	v_and_b32_e32 v40, 0x80000000, v40
	v_lshl_add_u32 v42, v42, 23, v45
	v_or3_b32 v40, v40, v42, v47
	v_lshrrev_b32_e32 v52, 16, v40
.LBB959_301:                            ;   in Loop: Header=BB959_213 Depth=1
	s_or_b64 exec, exec, s[16:17]
.LBB959_302:                            ;   in Loop: Header=BB959_213 Depth=1
	s_or_b64 exec, exec, s[14:15]
.LBB959_303:                            ;   in Loop: Header=BB959_213 Depth=1
	s_or_b64 exec, exec, s[12:13]
	v_cmp_lt_u32_e32 vcc, s22, v38
	v_mov_b32_e32 v47, 0
	v_mov_b32_e32 v53, 0
	s_and_saveexec_b64 s[12:13], vcc
	s_cbranch_execz .LBB959_309
; %bb.304:                              ;   in Loop: Header=BB959_213 Depth=1
	v_lshrrev_b32_e32 v40, 24, v38
	v_cmp_ne_u32_e32 vcc, s9, v40
	v_mov_b32_e32 v53, 0xffff8000
	s_and_saveexec_b64 s[14:15], vcc
	s_cbranch_execz .LBB959_308
; %bb.305:                              ;   in Loop: Header=BB959_213 Depth=1
	v_bfe_u32 v38, v38, 24, 7
	v_cmp_ne_u32_e32 vcc, s21, v38
	v_mov_b32_e32 v53, 0x7f80
	s_and_saveexec_b64 s[16:17], vcc
	s_cbranch_execz .LBB959_307
; %bb.306:                              ;   in Loop: Header=BB959_213 Depth=1
	v_and_b32_e32 v42, 7, v40
	v_ffbh_u32_e32 v65, v42
	v_min_u32_e32 v65, 32, v65
	v_subrev_u32_e32 v66, 28, v65
	v_lshlrev_b64 v[66:67], v66, v[40:41]
	v_lshrrev_b32_e32 v53, 3, v38
	v_sub_u32_e32 v65, 29, v65
	v_and_b32_e32 v66, 7, v66
	v_cmp_gt_u32_e32 vcc, 8, v38
	v_cndmask_b32_e32 v38, v53, v65, vcc
	v_cndmask_b32_e32 v42, v42, v66, vcc
	v_lshlrev_b32_e32 v40, 24, v40
	v_lshlrev_b32_e32 v42, 20, v42
	v_and_b32_e32 v40, 0x80000000, v40
	v_lshl_add_u32 v38, v38, 23, v45
	v_or3_b32 v38, v40, v38, v42
	v_lshrrev_b32_e32 v53, 16, v38
.LBB959_307:                            ;   in Loop: Header=BB959_213 Depth=1
	s_or_b64 exec, exec, s[16:17]
.LBB959_308:                            ;   in Loop: Header=BB959_213 Depth=1
	s_or_b64 exec, exec, s[14:15]
.LBB959_309:                            ;   in Loop: Header=BB959_213 Depth=1
	s_or_b64 exec, exec, s[12:13]
	v_perm_b32 v66, v46, v44, s23
	buffer_load_dword v44, v64, s[0:3], 0 offen
	buffer_load_dword v42, v64, s[0:3], 0 offen offset:4
	buffer_load_dword v40, v64, s[0:3], 0 offen offset:8
	buffer_load_dword v38, v64, s[0:3], 0 offen offset:12
	v_perm_b32 v67, v50, v48, s23
	v_perm_b32 v53, v53, v52, s23
	;; [unrolled: 1-line block ×3, first 2 shown]
	v_mfma_f32_16x16x16bf16_1k v[34:37], v[66:67], v[6:7], v[34:37]
	s_waitcnt vmcnt(3)
	v_cmp_ne_u16_sdwa s[14:15], v44, v43 src0_sel:BYTE_0 src1_sel:DWORD
	v_mfma_f32_16x16x16bf16_1k v[34:37], v[52:53], v[8:9], v[34:37]
	s_and_saveexec_b64 s[12:13], s[14:15]
	s_cbranch_execz .LBB959_315
; %bb.310:                              ;   in Loop: Header=BB959_213 Depth=1
	v_cmp_ne_u16_sdwa s[16:17], v44, s9 src0_sel:BYTE_0 src1_sel:DWORD
	v_mov_b32_e32 v47, 0xffff8000
	s_and_saveexec_b64 s[14:15], s[16:17]
	s_cbranch_execz .LBB959_314
; %bb.311:                              ;   in Loop: Header=BB959_213 Depth=1
	v_and_b32_e32 v46, 0x7f, v44
	v_cmp_ne_u32_e32 vcc, s21, v46
	v_mov_b32_e32 v47, 0x7f80
	s_and_saveexec_b64 s[16:17], vcc
	s_cbranch_execz .LBB959_313
; %bb.312:                              ;   in Loop: Header=BB959_213 Depth=1
	v_and_b32_e32 v47, 7, v44
	v_ffbh_u32_e32 v48, v47
	v_min_u32_e32 v51, 32, v48
	v_subrev_u32_e32 v48, 28, v51
	v_lshlrev_b64 v[48:49], v48, v[44:45]
	v_lshrrev_b32_e32 v50, 3, v46
	v_sub_u32_e32 v49, 29, v51
	v_and_b32_e32 v48, 7, v48
	v_cmp_gt_u32_e32 vcc, 8, v46
	v_cndmask_b32_e32 v46, v50, v49, vcc
	v_cndmask_b32_e32 v47, v47, v48, vcc
	v_lshlrev_b32_e32 v48, 24, v44
	v_lshlrev_b32_e32 v47, 20, v47
	v_and_b32_e32 v48, 0x80000000, v48
	v_lshl_add_u32 v46, v46, 23, v45
	v_or3_b32 v46, v48, v46, v47
	v_lshrrev_b32_e32 v47, 16, v46
.LBB959_313:                            ;   in Loop: Header=BB959_213 Depth=1
	s_or_b64 exec, exec, s[16:17]
.LBB959_314:                            ;   in Loop: Header=BB959_213 Depth=1
	s_or_b64 exec, exec, s[14:15]
.LBB959_315:                            ;   in Loop: Header=BB959_213 Depth=1
	s_or_b64 exec, exec, s[12:13]
	v_lshrrev_b16_e32 v46, 8, v44
	v_cmp_ne_u16_e32 vcc, 0, v46
	v_mov_b32_e32 v49, 0
	v_mov_b32_e32 v48, 0
	s_and_saveexec_b64 s[12:13], vcc
	s_cbranch_execz .LBB959_321
; %bb.316:                              ;   in Loop: Header=BB959_213 Depth=1
	v_cmp_ne_u16_e32 vcc, s9, v46
	v_mov_b32_e32 v48, 0xffff8000
	s_and_saveexec_b64 s[14:15], vcc
	s_cbranch_execz .LBB959_320
; %bb.317:                              ;   in Loop: Header=BB959_213 Depth=1
	v_and_b32_e32 v50, 0x7f, v46
	v_cmp_ne_u32_e32 vcc, s21, v50
	v_mov_b32_e32 v48, 0x7f80
	s_and_saveexec_b64 s[16:17], vcc
	s_cbranch_execz .LBB959_319
; %bb.318:                              ;   in Loop: Header=BB959_213 Depth=1
	v_and_b32_e32 v48, 7, v46
	v_ffbh_u32_e32 v52, v48
	v_min_u32_e32 v64, 32, v52
	v_subrev_u32_e32 v52, 28, v64
	v_lshlrev_b64 v[52:53], v52, v[46:47]
	v_lshrrev_b32_e32 v51, 3, v50
	v_sub_u32_e32 v46, 29, v64
	v_and_b32_e32 v52, 7, v52
	v_cmp_gt_u32_e32 vcc, 8, v50
	v_cndmask_b32_e32 v46, v51, v46, vcc
	v_cndmask_b32_e32 v48, v48, v52, vcc
	v_lshlrev_b32_e32 v50, 16, v44
	v_lshlrev_b32_e32 v48, 20, v48
	v_and_b32_e32 v50, 0x80000000, v50
	v_lshl_add_u32 v46, v46, 23, v45
	v_or3_b32 v46, v50, v46, v48
	v_lshrrev_b32_e32 v48, 16, v46
.LBB959_319:                            ;   in Loop: Header=BB959_213 Depth=1
	s_or_b64 exec, exec, s[16:17]
.LBB959_320:                            ;   in Loop: Header=BB959_213 Depth=1
	s_or_b64 exec, exec, s[14:15]
.LBB959_321:                            ;   in Loop: Header=BB959_213 Depth=1
	s_or_b64 exec, exec, s[12:13]
	v_lshrrev_b32_e32 v46, 16, v44
	v_cmp_ne_u16_sdwa s[14:15], v46, v43 src0_sel:BYTE_0 src1_sel:DWORD
	s_and_saveexec_b64 s[12:13], s[14:15]
	s_cbranch_execz .LBB959_327
; %bb.322:                              ;   in Loop: Header=BB959_213 Depth=1
	v_cmp_ne_u16_sdwa s[16:17], v46, s9 src0_sel:BYTE_0 src1_sel:DWORD
	v_mov_b32_e32 v49, 0xffff8000
	s_and_saveexec_b64 s[14:15], s[16:17]
	s_cbranch_execz .LBB959_326
; %bb.323:                              ;   in Loop: Header=BB959_213 Depth=1
	v_bfe_u32 v50, v44, 16, 7
	v_cmp_ne_u32_e32 vcc, s21, v50
	v_mov_b32_e32 v49, 0x7f80
	s_and_saveexec_b64 s[16:17], vcc
	s_cbranch_execz .LBB959_325
; %bb.324:                              ;   in Loop: Header=BB959_213 Depth=1
	v_and_b32_e32 v49, 7, v46
	v_ffbh_u32_e32 v52, v49
	v_min_u32_e32 v64, 32, v52
	v_subrev_u32_e32 v52, 28, v64
	v_lshlrev_b64 v[52:53], v52, v[46:47]
	v_lshrrev_b32_e32 v51, 3, v50
	v_sub_u32_e32 v53, 29, v64
	v_and_b32_e32 v52, 7, v52
	v_cmp_gt_u32_e32 vcc, 8, v50
	v_cndmask_b32_e32 v50, v51, v53, vcc
	v_cndmask_b32_e32 v49, v49, v52, vcc
	v_lshlrev_b32_e32 v46, 24, v46
	v_lshlrev_b32_e32 v49, 20, v49
	v_and_b32_e32 v46, 0x80000000, v46
	v_lshl_add_u32 v50, v50, 23, v45
	v_or3_b32 v46, v46, v50, v49
	v_lshrrev_b32_e32 v49, 16, v46
.LBB959_325:                            ;   in Loop: Header=BB959_213 Depth=1
	s_or_b64 exec, exec, s[16:17]
.LBB959_326:                            ;   in Loop: Header=BB959_213 Depth=1
	s_or_b64 exec, exec, s[14:15]
.LBB959_327:                            ;   in Loop: Header=BB959_213 Depth=1
	s_or_b64 exec, exec, s[12:13]
	v_cmp_lt_u32_e32 vcc, s22, v44
	v_mov_b32_e32 v50, 0
	v_mov_b32_e32 v51, 0
	s_and_saveexec_b64 s[12:13], vcc
	s_cbranch_execz .LBB959_333
; %bb.328:                              ;   in Loop: Header=BB959_213 Depth=1
	v_lshrrev_b32_e32 v46, 24, v44
	v_cmp_ne_u32_e32 vcc, s9, v46
	v_mov_b32_e32 v51, 0xffff8000
	s_and_saveexec_b64 s[14:15], vcc
	s_cbranch_execz .LBB959_332
; %bb.329:                              ;   in Loop: Header=BB959_213 Depth=1
	v_bfe_u32 v44, v44, 24, 7
	v_cmp_ne_u32_e32 vcc, s21, v44
	v_mov_b32_e32 v51, 0x7f80
	s_and_saveexec_b64 s[16:17], vcc
	s_cbranch_execz .LBB959_331
; %bb.330:                              ;   in Loop: Header=BB959_213 Depth=1
	v_and_b32_e32 v51, 7, v46
	v_ffbh_u32_e32 v52, v51
	v_min_u32_e32 v65, 32, v52
	v_subrev_u32_e32 v52, 28, v65
	v_lshlrev_b64 v[52:53], v52, v[46:47]
	v_lshrrev_b32_e32 v64, 3, v44
	v_sub_u32_e32 v53, 29, v65
	v_and_b32_e32 v52, 7, v52
	v_cmp_gt_u32_e32 vcc, 8, v44
	v_cndmask_b32_e32 v44, v64, v53, vcc
	v_cndmask_b32_e32 v51, v51, v52, vcc
	v_lshlrev_b32_e32 v46, 24, v46
	v_lshlrev_b32_e32 v51, 20, v51
	v_and_b32_e32 v46, 0x80000000, v46
	v_lshl_add_u32 v44, v44, 23, v45
	v_or3_b32 v44, v46, v44, v51
	v_lshrrev_b32_e32 v51, 16, v44
.LBB959_331:                            ;   in Loop: Header=BB959_213 Depth=1
	s_or_b64 exec, exec, s[16:17]
.LBB959_332:                            ;   in Loop: Header=BB959_213 Depth=1
	s_or_b64 exec, exec, s[14:15]
.LBB959_333:                            ;   in Loop: Header=BB959_213 Depth=1
	s_or_b64 exec, exec, s[12:13]
	s_waitcnt vmcnt(2)
	v_cmp_ne_u16_sdwa s[14:15], v42, v43 src0_sel:BYTE_0 src1_sel:DWORD
	s_and_saveexec_b64 s[12:13], s[14:15]
	s_cbranch_execz .LBB959_339
; %bb.334:                              ;   in Loop: Header=BB959_213 Depth=1
	v_cmp_ne_u16_sdwa s[16:17], v42, s9 src0_sel:BYTE_0 src1_sel:DWORD
	v_mov_b32_e32 v50, 0xffff8000
	s_and_saveexec_b64 s[14:15], s[16:17]
	s_cbranch_execz .LBB959_338
; %bb.335:                              ;   in Loop: Header=BB959_213 Depth=1
	v_and_b32_e32 v44, 0x7f, v42
	v_cmp_ne_u32_e32 vcc, s21, v44
	v_mov_b32_e32 v50, 0x7f80
	s_and_saveexec_b64 s[16:17], vcc
	s_cbranch_execz .LBB959_337
; %bb.336:                              ;   in Loop: Header=BB959_213 Depth=1
	v_and_b32_e32 v46, 7, v42
	v_ffbh_u32_e32 v52, v46
	v_min_u32_e32 v64, 32, v52
	v_subrev_u32_e32 v52, 28, v64
	v_lshlrev_b64 v[52:53], v52, v[42:43]
	v_lshrrev_b32_e32 v50, 3, v44
	v_sub_u32_e32 v53, 29, v64
	v_and_b32_e32 v52, 7, v52
	v_cmp_gt_u32_e32 vcc, 8, v44
	v_cndmask_b32_e32 v44, v50, v53, vcc
	v_cndmask_b32_e32 v46, v46, v52, vcc
	v_lshlrev_b32_e32 v50, 24, v42
	v_lshlrev_b32_e32 v46, 20, v46
	v_and_b32_e32 v50, 0x80000000, v50
	v_lshl_add_u32 v44, v44, 23, v45
	v_or3_b32 v44, v50, v44, v46
	v_lshrrev_b32_e32 v50, 16, v44
.LBB959_337:                            ;   in Loop: Header=BB959_213 Depth=1
	s_or_b64 exec, exec, s[16:17]
.LBB959_338:                            ;   in Loop: Header=BB959_213 Depth=1
	s_or_b64 exec, exec, s[14:15]
.LBB959_339:                            ;   in Loop: Header=BB959_213 Depth=1
	s_or_b64 exec, exec, s[12:13]
	v_lshrrev_b16_e32 v44, 8, v42
	v_cmp_ne_u16_e32 vcc, 0, v44
	v_mov_b32_e32 v53, 0
	v_mov_b32_e32 v52, 0
	s_and_saveexec_b64 s[12:13], vcc
	s_cbranch_execz .LBB959_345
; %bb.340:                              ;   in Loop: Header=BB959_213 Depth=1
	v_cmp_ne_u16_e32 vcc, s9, v44
	v_mov_b32_e32 v52, 0xffff8000
	s_and_saveexec_b64 s[14:15], vcc
	s_cbranch_execz .LBB959_344
; %bb.341:                              ;   in Loop: Header=BB959_213 Depth=1
	v_and_b32_e32 v46, 0x7f, v44
	v_cmp_ne_u32_e32 vcc, s21, v46
	v_mov_b32_e32 v52, 0x7f80
	s_and_saveexec_b64 s[16:17], vcc
	s_cbranch_execz .LBB959_343
; %bb.342:                              ;   in Loop: Header=BB959_213 Depth=1
	v_and_b32_e32 v52, 7, v44
	v_ffbh_u32_e32 v64, v52
	v_min_u32_e32 v67, 32, v64
	v_subrev_u32_e32 v64, 28, v67
	v_lshlrev_b64 v[64:65], v64, v[44:45]
	v_lshrrev_b32_e32 v66, 3, v46
	v_sub_u32_e32 v44, 29, v67
	v_and_b32_e32 v64, 7, v64
	v_cmp_gt_u32_e32 vcc, 8, v46
	v_cndmask_b32_e32 v44, v66, v44, vcc
	v_cndmask_b32_e32 v46, v52, v64, vcc
	v_lshlrev_b32_e32 v52, 16, v42
	v_lshlrev_b32_e32 v46, 20, v46
	v_and_b32_e32 v52, 0x80000000, v52
	v_lshl_add_u32 v44, v44, 23, v45
	v_or3_b32 v44, v52, v44, v46
	v_lshrrev_b32_e32 v52, 16, v44
.LBB959_343:                            ;   in Loop: Header=BB959_213 Depth=1
	s_or_b64 exec, exec, s[16:17]
.LBB959_344:                            ;   in Loop: Header=BB959_213 Depth=1
	s_or_b64 exec, exec, s[14:15]
.LBB959_345:                            ;   in Loop: Header=BB959_213 Depth=1
	s_or_b64 exec, exec, s[12:13]
	v_lshrrev_b32_e32 v44, 16, v42
	v_cmp_ne_u16_sdwa s[14:15], v44, v43 src0_sel:BYTE_0 src1_sel:DWORD
	s_and_saveexec_b64 s[12:13], s[14:15]
	s_cbranch_execz .LBB959_351
; %bb.346:                              ;   in Loop: Header=BB959_213 Depth=1
	v_cmp_ne_u16_sdwa s[16:17], v44, s9 src0_sel:BYTE_0 src1_sel:DWORD
	v_mov_b32_e32 v53, 0xffff8000
	s_and_saveexec_b64 s[14:15], s[16:17]
	s_cbranch_execz .LBB959_350
; %bb.347:                              ;   in Loop: Header=BB959_213 Depth=1
	v_bfe_u32 v46, v42, 16, 7
	v_cmp_ne_u32_e32 vcc, s21, v46
	v_mov_b32_e32 v53, 0x7f80
	s_and_saveexec_b64 s[16:17], vcc
	s_cbranch_execz .LBB959_349
; %bb.348:                              ;   in Loop: Header=BB959_213 Depth=1
	v_and_b32_e32 v53, 7, v44
	v_ffbh_u32_e32 v64, v53
	v_min_u32_e32 v67, 32, v64
	v_subrev_u32_e32 v64, 28, v67
	v_lshlrev_b64 v[64:65], v64, v[44:45]
	v_lshrrev_b32_e32 v66, 3, v46
	v_sub_u32_e32 v65, 29, v67
	v_and_b32_e32 v64, 7, v64
	v_cmp_gt_u32_e32 vcc, 8, v46
	v_cndmask_b32_e32 v46, v66, v65, vcc
	v_cndmask_b32_e32 v53, v53, v64, vcc
	v_lshlrev_b32_e32 v44, 24, v44
	v_lshlrev_b32_e32 v53, 20, v53
	v_and_b32_e32 v44, 0x80000000, v44
	v_lshl_add_u32 v46, v46, 23, v45
	v_or3_b32 v44, v44, v46, v53
	v_lshrrev_b32_e32 v53, 16, v44
.LBB959_349:                            ;   in Loop: Header=BB959_213 Depth=1
	s_or_b64 exec, exec, s[16:17]
.LBB959_350:                            ;   in Loop: Header=BB959_213 Depth=1
	s_or_b64 exec, exec, s[14:15]
.LBB959_351:                            ;   in Loop: Header=BB959_213 Depth=1
	s_or_b64 exec, exec, s[12:13]
	v_cmp_lt_u32_e32 vcc, s22, v42
	v_mov_b32_e32 v46, 0
	v_mov_b32_e32 v64, 0
	s_and_saveexec_b64 s[12:13], vcc
	s_cbranch_execz .LBB959_357
; %bb.352:                              ;   in Loop: Header=BB959_213 Depth=1
	v_lshrrev_b32_e32 v44, 24, v42
	v_cmp_ne_u32_e32 vcc, s9, v44
	v_mov_b32_e32 v64, 0xffff8000
	s_and_saveexec_b64 s[14:15], vcc
	s_cbranch_execz .LBB959_356
; %bb.353:                              ;   in Loop: Header=BB959_213 Depth=1
	v_bfe_u32 v42, v42, 24, 7
	v_cmp_ne_u32_e32 vcc, s21, v42
	v_mov_b32_e32 v64, 0x7f80
	s_and_saveexec_b64 s[16:17], vcc
	s_cbranch_execz .LBB959_355
; %bb.354:                              ;   in Loop: Header=BB959_213 Depth=1
	v_and_b32_e32 v66, 7, v44
	v_ffbh_u32_e32 v64, v66
	v_min_u32_e32 v68, 32, v64
	v_subrev_u32_e32 v64, 28, v68
	v_lshlrev_b64 v[64:65], v64, v[44:45]
	v_lshrrev_b32_e32 v67, 3, v42
	v_sub_u32_e32 v65, 29, v68
	v_and_b32_e32 v64, 7, v64
	v_cmp_gt_u32_e32 vcc, 8, v42
	v_cndmask_b32_e32 v42, v67, v65, vcc
	v_cndmask_b32_e32 v64, v66, v64, vcc
	v_lshlrev_b32_e32 v44, 24, v44
	v_lshlrev_b32_e32 v64, 20, v64
	v_and_b32_e32 v44, 0x80000000, v44
	v_lshl_add_u32 v42, v42, 23, v45
	v_or3_b32 v42, v44, v42, v64
	v_lshrrev_b32_e32 v64, 16, v42
.LBB959_355:                            ;   in Loop: Header=BB959_213 Depth=1
	s_or_b64 exec, exec, s[16:17]
.LBB959_356:                            ;   in Loop: Header=BB959_213 Depth=1
	s_or_b64 exec, exec, s[14:15]
.LBB959_357:                            ;   in Loop: Header=BB959_213 Depth=1
	s_or_b64 exec, exec, s[12:13]
	v_perm_b32 v49, v51, v49, s23
	v_perm_b32 v48, v48, v47, s23
	s_waitcnt vmcnt(1)
	v_cmp_ne_u16_sdwa s[14:15], v40, v43 src0_sel:BYTE_0 src1_sel:DWORD
	v_mfma_f32_16x16x16bf16_1k v[34:37], v[48:49], v[10:11], v[34:37]
	v_perm_b32 v49, v64, v53, s23
	v_perm_b32 v48, v52, v50, s23
	s_nop 1
	v_mfma_f32_16x16x16bf16_1k v[34:37], v[48:49], v[12:13], v[34:37]
	s_and_saveexec_b64 s[12:13], s[14:15]
	s_cbranch_execz .LBB959_363
; %bb.358:                              ;   in Loop: Header=BB959_213 Depth=1
	v_cmp_ne_u16_sdwa s[16:17], v40, s9 src0_sel:BYTE_0 src1_sel:DWORD
	v_mov_b32_e32 v46, 0xffff8000
	s_and_saveexec_b64 s[14:15], s[16:17]
	s_cbranch_execz .LBB959_362
; %bb.359:                              ;   in Loop: Header=BB959_213 Depth=1
	v_and_b32_e32 v42, 0x7f, v40
	v_cmp_ne_u32_e32 vcc, s21, v42
	v_mov_b32_e32 v46, 0x7f80
	s_and_saveexec_b64 s[16:17], vcc
	s_cbranch_execz .LBB959_361
; %bb.360:                              ;   in Loop: Header=BB959_213 Depth=1
	v_and_b32_e32 v44, 7, v40
	v_ffbh_u32_e32 v46, v44
	v_min_u32_e32 v49, 32, v46
	v_subrev_u32_e32 v46, 28, v49
	v_lshlrev_b64 v[46:47], v46, v[40:41]
	v_lshrrev_b32_e32 v48, 3, v42
	v_sub_u32_e32 v47, 29, v49
	v_and_b32_e32 v46, 7, v46
	v_cmp_gt_u32_e32 vcc, 8, v42
	v_cndmask_b32_e32 v42, v48, v47, vcc
	v_cndmask_b32_e32 v44, v44, v46, vcc
	v_lshlrev_b32_e32 v46, 24, v40
	v_lshlrev_b32_e32 v44, 20, v44
	v_and_b32_e32 v46, 0x80000000, v46
	v_lshl_add_u32 v42, v42, 23, v45
	v_or3_b32 v42, v46, v42, v44
	v_lshrrev_b32_e32 v46, 16, v42
.LBB959_361:                            ;   in Loop: Header=BB959_213 Depth=1
	s_or_b64 exec, exec, s[16:17]
.LBB959_362:                            ;   in Loop: Header=BB959_213 Depth=1
	s_or_b64 exec, exec, s[14:15]
.LBB959_363:                            ;   in Loop: Header=BB959_213 Depth=1
	s_or_b64 exec, exec, s[12:13]
	v_lshrrev_b16_e32 v42, 8, v40
	v_cmp_ne_u16_e32 vcc, 0, v42
	v_mov_b32_e32 v48, 0
	v_mov_b32_e32 v44, 0
	s_and_saveexec_b64 s[12:13], vcc
	s_cbranch_execz .LBB959_369
; %bb.364:                              ;   in Loop: Header=BB959_213 Depth=1
	v_cmp_ne_u16_e32 vcc, s9, v42
	v_mov_b32_e32 v44, 0xffff8000
	s_and_saveexec_b64 s[14:15], vcc
	s_cbranch_execz .LBB959_368
; %bb.365:                              ;   in Loop: Header=BB959_213 Depth=1
	v_and_b32_e32 v47, 0x7f, v42
	v_cmp_ne_u32_e32 vcc, s21, v47
	v_mov_b32_e32 v44, 0x7f80
	s_and_saveexec_b64 s[16:17], vcc
	s_cbranch_execz .LBB959_367
; %bb.366:                              ;   in Loop: Header=BB959_213 Depth=1
	v_and_b32_e32 v44, 7, v42
	v_ffbh_u32_e32 v50, v44
	v_min_u32_e32 v52, 32, v50
	v_subrev_u32_e32 v50, 28, v52
	v_lshlrev_b64 v[50:51], v50, v[42:43]
	v_lshrrev_b32_e32 v49, 3, v47
	v_sub_u32_e32 v42, 29, v52
	v_and_b32_e32 v50, 7, v50
	v_cmp_gt_u32_e32 vcc, 8, v47
	v_cndmask_b32_e32 v42, v49, v42, vcc
	v_cndmask_b32_e32 v44, v44, v50, vcc
	v_lshlrev_b32_e32 v47, 16, v40
	v_lshlrev_b32_e32 v44, 20, v44
	v_and_b32_e32 v47, 0x80000000, v47
	v_lshl_add_u32 v42, v42, 23, v45
	v_or3_b32 v42, v47, v42, v44
	v_lshrrev_b32_e32 v44, 16, v42
.LBB959_367:                            ;   in Loop: Header=BB959_213 Depth=1
	s_or_b64 exec, exec, s[16:17]
.LBB959_368:                            ;   in Loop: Header=BB959_213 Depth=1
	s_or_b64 exec, exec, s[14:15]
.LBB959_369:                            ;   in Loop: Header=BB959_213 Depth=1
	s_or_b64 exec, exec, s[12:13]
	v_lshrrev_b32_e32 v42, 16, v40
	v_cmp_ne_u16_sdwa s[14:15], v42, v43 src0_sel:BYTE_0 src1_sel:DWORD
	s_and_saveexec_b64 s[12:13], s[14:15]
	s_cbranch_execz .LBB959_375
; %bb.370:                              ;   in Loop: Header=BB959_213 Depth=1
	v_cmp_ne_u16_sdwa s[16:17], v42, s9 src0_sel:BYTE_0 src1_sel:DWORD
	v_mov_b32_e32 v48, 0xffff8000
	s_and_saveexec_b64 s[14:15], s[16:17]
	s_cbranch_execz .LBB959_374
; %bb.371:                              ;   in Loop: Header=BB959_213 Depth=1
	v_bfe_u32 v47, v40, 16, 7
	v_cmp_ne_u32_e32 vcc, s21, v47
	v_mov_b32_e32 v48, 0x7f80
	s_and_saveexec_b64 s[16:17], vcc
	s_cbranch_execz .LBB959_373
; %bb.372:                              ;   in Loop: Header=BB959_213 Depth=1
	v_and_b32_e32 v50, 7, v42
	v_ffbh_u32_e32 v48, v50
	v_min_u32_e32 v52, 32, v48
	v_subrev_u32_e32 v48, 28, v52
	v_lshlrev_b64 v[48:49], v48, v[42:43]
	v_lshrrev_b32_e32 v51, 3, v47
	v_sub_u32_e32 v49, 29, v52
	v_and_b32_e32 v48, 7, v48
	v_cmp_gt_u32_e32 vcc, 8, v47
	v_cndmask_b32_e32 v47, v51, v49, vcc
	v_cndmask_b32_e32 v48, v50, v48, vcc
	v_lshlrev_b32_e32 v42, 24, v42
	v_lshlrev_b32_e32 v48, 20, v48
	v_and_b32_e32 v42, 0x80000000, v42
	v_lshl_add_u32 v47, v47, 23, v45
	v_or3_b32 v42, v42, v47, v48
	v_lshrrev_b32_e32 v48, 16, v42
.LBB959_373:                            ;   in Loop: Header=BB959_213 Depth=1
	s_or_b64 exec, exec, s[16:17]
.LBB959_374:                            ;   in Loop: Header=BB959_213 Depth=1
	s_or_b64 exec, exec, s[14:15]
.LBB959_375:                            ;   in Loop: Header=BB959_213 Depth=1
	s_or_b64 exec, exec, s[12:13]
	v_cmp_lt_u32_e32 vcc, s22, v40
	v_mov_b32_e32 v49, 0
	v_mov_b32_e32 v50, 0
	s_and_saveexec_b64 s[12:13], vcc
	s_cbranch_execz .LBB959_381
; %bb.376:                              ;   in Loop: Header=BB959_213 Depth=1
	v_lshrrev_b32_e32 v42, 24, v40
	v_cmp_ne_u32_e32 vcc, s9, v42
	v_mov_b32_e32 v50, 0xffff8000
	s_and_saveexec_b64 s[14:15], vcc
	s_cbranch_execz .LBB959_380
; %bb.377:                              ;   in Loop: Header=BB959_213 Depth=1
	v_bfe_u32 v40, v40, 24, 7
	v_cmp_ne_u32_e32 vcc, s21, v40
	v_mov_b32_e32 v50, 0x7f80
	s_and_saveexec_b64 s[16:17], vcc
	s_cbranch_execz .LBB959_379
; %bb.378:                              ;   in Loop: Header=BB959_213 Depth=1
	v_and_b32_e32 v47, 7, v42
	v_ffbh_u32_e32 v50, v47
	v_min_u32_e32 v53, 32, v50
	v_subrev_u32_e32 v50, 28, v53
	v_lshlrev_b64 v[50:51], v50, v[42:43]
	v_lshrrev_b32_e32 v52, 3, v40
	v_sub_u32_e32 v51, 29, v53
	v_and_b32_e32 v50, 7, v50
	v_cmp_gt_u32_e32 vcc, 8, v40
	v_cndmask_b32_e32 v40, v52, v51, vcc
	v_cndmask_b32_e32 v47, v47, v50, vcc
	v_lshlrev_b32_e32 v42, 24, v42
	v_lshlrev_b32_e32 v47, 20, v47
	v_and_b32_e32 v42, 0x80000000, v42
	v_lshl_add_u32 v40, v40, 23, v45
	v_or3_b32 v40, v42, v40, v47
	v_lshrrev_b32_e32 v50, 16, v40
.LBB959_379:                            ;   in Loop: Header=BB959_213 Depth=1
	s_or_b64 exec, exec, s[16:17]
.LBB959_380:                            ;   in Loop: Header=BB959_213 Depth=1
	s_or_b64 exec, exec, s[14:15]
.LBB959_381:                            ;   in Loop: Header=BB959_213 Depth=1
	s_or_b64 exec, exec, s[12:13]
	s_waitcnt vmcnt(0)
	v_cmp_ne_u16_sdwa s[14:15], v38, v43 src0_sel:BYTE_0 src1_sel:DWORD
	s_and_saveexec_b64 s[12:13], s[14:15]
	s_cbranch_execz .LBB959_387
; %bb.382:                              ;   in Loop: Header=BB959_213 Depth=1
	v_cmp_ne_u16_sdwa s[16:17], v38, s9 src0_sel:BYTE_0 src1_sel:DWORD
	v_mov_b32_e32 v49, 0xffff8000
	s_and_saveexec_b64 s[14:15], s[16:17]
	s_cbranch_execz .LBB959_386
; %bb.383:                              ;   in Loop: Header=BB959_213 Depth=1
	v_and_b32_e32 v40, 0x7f, v38
	v_cmp_ne_u32_e32 vcc, s21, v40
	v_mov_b32_e32 v49, 0x7f80
	s_and_saveexec_b64 s[16:17], vcc
	s_cbranch_execz .LBB959_385
; %bb.384:                              ;   in Loop: Header=BB959_213 Depth=1
	v_and_b32_e32 v42, 7, v38
	v_ffbh_u32_e32 v49, v42
	v_min_u32_e32 v49, 32, v49
	v_subrev_u32_e32 v51, 28, v49
	v_lshlrev_b64 v[52:53], v51, v[38:39]
	v_lshrrev_b32_e32 v47, 3, v40
	v_sub_u32_e32 v49, 29, v49
	v_and_b32_e32 v51, 7, v52
	v_cmp_gt_u32_e32 vcc, 8, v40
	v_cndmask_b32_e32 v40, v47, v49, vcc
	v_cndmask_b32_e32 v42, v42, v51, vcc
	v_lshlrev_b32_e32 v47, 24, v38
	v_lshlrev_b32_e32 v42, 20, v42
	v_and_b32_e32 v47, 0x80000000, v47
	v_lshl_add_u32 v40, v40, 23, v45
	v_or3_b32 v40, v47, v40, v42
	v_lshrrev_b32_e32 v49, 16, v40
.LBB959_385:                            ;   in Loop: Header=BB959_213 Depth=1
	s_or_b64 exec, exec, s[16:17]
.LBB959_386:                            ;   in Loop: Header=BB959_213 Depth=1
	s_or_b64 exec, exec, s[14:15]
.LBB959_387:                            ;   in Loop: Header=BB959_213 Depth=1
	s_or_b64 exec, exec, s[12:13]
	v_lshrrev_b16_e32 v40, 8, v38
	v_cmp_ne_u16_e32 vcc, 0, v40
	v_mov_b32_e32 v52, 0
	v_mov_b32_e32 v51, 0
	s_and_saveexec_b64 s[12:13], vcc
	s_cbranch_execz .LBB959_393
; %bb.388:                              ;   in Loop: Header=BB959_213 Depth=1
	v_cmp_ne_u16_e32 vcc, s9, v40
	v_mov_b32_e32 v51, 0xffff8000
	s_and_saveexec_b64 s[14:15], vcc
	s_cbranch_execz .LBB959_392
; %bb.389:                              ;   in Loop: Header=BB959_213 Depth=1
	v_and_b32_e32 v42, 0x7f, v40
	v_cmp_ne_u32_e32 vcc, s21, v42
	v_mov_b32_e32 v51, 0x7f80
	s_and_saveexec_b64 s[16:17], vcc
	s_cbranch_execz .LBB959_391
; %bb.390:                              ;   in Loop: Header=BB959_213 Depth=1
	v_and_b32_e32 v47, 7, v40
	v_ffbh_u32_e32 v53, v47
	v_min_u32_e32 v53, 32, v53
	v_subrev_u32_e32 v64, 28, v53
	v_lshlrev_b64 v[64:65], v64, v[40:41]
	v_lshrrev_b32_e32 v51, 3, v42
	v_sub_u32_e32 v40, 29, v53
	v_and_b32_e32 v53, 7, v64
	v_cmp_gt_u32_e32 vcc, 8, v42
	v_cndmask_b32_e32 v40, v51, v40, vcc
	v_cndmask_b32_e32 v42, v47, v53, vcc
	v_lshlrev_b32_e32 v47, 16, v38
	v_lshlrev_b32_e32 v42, 20, v42
	v_and_b32_e32 v47, 0x80000000, v47
	v_lshl_add_u32 v40, v40, 23, v45
	v_or3_b32 v40, v47, v40, v42
	v_lshrrev_b32_e32 v51, 16, v40
.LBB959_391:                            ;   in Loop: Header=BB959_213 Depth=1
	s_or_b64 exec, exec, s[16:17]
.LBB959_392:                            ;   in Loop: Header=BB959_213 Depth=1
	s_or_b64 exec, exec, s[14:15]
.LBB959_393:                            ;   in Loop: Header=BB959_213 Depth=1
	s_or_b64 exec, exec, s[12:13]
	v_lshrrev_b32_e32 v40, 16, v38
	v_cmp_ne_u16_sdwa s[14:15], v40, v43 src0_sel:BYTE_0 src1_sel:DWORD
	s_and_saveexec_b64 s[12:13], s[14:15]
	s_cbranch_execz .LBB959_399
; %bb.394:                              ;   in Loop: Header=BB959_213 Depth=1
	v_cmp_ne_u16_sdwa s[16:17], v40, s9 src0_sel:BYTE_0 src1_sel:DWORD
	v_mov_b32_e32 v52, 0xffff8000
	s_and_saveexec_b64 s[14:15], s[16:17]
	s_cbranch_execz .LBB959_398
; %bb.395:                              ;   in Loop: Header=BB959_213 Depth=1
	v_bfe_u32 v42, v38, 16, 7
	v_cmp_ne_u32_e32 vcc, s21, v42
	v_mov_b32_e32 v52, 0x7f80
	s_and_saveexec_b64 s[16:17], vcc
	s_cbranch_execz .LBB959_397
; %bb.396:                              ;   in Loop: Header=BB959_213 Depth=1
	v_and_b32_e32 v47, 7, v40
	v_ffbh_u32_e32 v52, v47
	v_min_u32_e32 v65, 32, v52
	v_subrev_u32_e32 v52, 28, v65
	v_lshlrev_b64 v[52:53], v52, v[40:41]
	v_lshrrev_b32_e32 v64, 3, v42
	v_sub_u32_e32 v53, 29, v65
	v_and_b32_e32 v52, 7, v52
	v_cmp_gt_u32_e32 vcc, 8, v42
	v_cndmask_b32_e32 v42, v64, v53, vcc
	v_cndmask_b32_e32 v47, v47, v52, vcc
	v_lshlrev_b32_e32 v40, 24, v40
	v_lshlrev_b32_e32 v47, 20, v47
	v_and_b32_e32 v40, 0x80000000, v40
	v_lshl_add_u32 v42, v42, 23, v45
	v_or3_b32 v40, v40, v42, v47
	v_lshrrev_b32_e32 v52, 16, v40
.LBB959_397:                            ;   in Loop: Header=BB959_213 Depth=1
	s_or_b64 exec, exec, s[16:17]
.LBB959_398:                            ;   in Loop: Header=BB959_213 Depth=1
	s_or_b64 exec, exec, s[14:15]
.LBB959_399:                            ;   in Loop: Header=BB959_213 Depth=1
	s_or_b64 exec, exec, s[12:13]
	v_cmp_lt_u32_e32 vcc, s22, v38
	v_mov_b32_e32 v47, 0
	v_mov_b32_e32 v53, 0
	s_and_saveexec_b64 s[12:13], vcc
	s_cbranch_execz .LBB959_405
; %bb.400:                              ;   in Loop: Header=BB959_213 Depth=1
	v_lshrrev_b32_e32 v40, 24, v38
	v_cmp_ne_u32_e32 vcc, s9, v40
	v_mov_b32_e32 v53, 0xffff8000
	s_and_saveexec_b64 s[14:15], vcc
	s_cbranch_execz .LBB959_404
; %bb.401:                              ;   in Loop: Header=BB959_213 Depth=1
	v_bfe_u32 v38, v38, 24, 7
	v_cmp_ne_u32_e32 vcc, s21, v38
	v_mov_b32_e32 v53, 0x7f80
	s_and_saveexec_b64 s[16:17], vcc
	s_cbranch_execz .LBB959_403
; %bb.402:                              ;   in Loop: Header=BB959_213 Depth=1
	v_and_b32_e32 v42, 7, v40
	v_ffbh_u32_e32 v64, v42
	v_min_u32_e32 v66, 32, v64
	v_subrev_u32_e32 v64, 28, v66
	v_lshlrev_b64 v[64:65], v64, v[40:41]
	v_lshrrev_b32_e32 v53, 3, v38
	v_sub_u32_e32 v65, 29, v66
	v_and_b32_e32 v64, 7, v64
	v_cmp_gt_u32_e32 vcc, 8, v38
	v_cndmask_b32_e32 v38, v53, v65, vcc
	v_cndmask_b32_e32 v42, v42, v64, vcc
	v_lshlrev_b32_e32 v40, 24, v40
	v_lshlrev_b32_e32 v42, 20, v42
	v_and_b32_e32 v40, 0x80000000, v40
	v_lshl_add_u32 v38, v38, 23, v45
	v_or3_b32 v38, v40, v38, v42
	v_lshrrev_b32_e32 v53, 16, v38
.LBB959_403:                            ;   in Loop: Header=BB959_213 Depth=1
	s_or_b64 exec, exec, s[16:17]
.LBB959_404:                            ;   in Loop: Header=BB959_213 Depth=1
	s_or_b64 exec, exec, s[14:15]
.LBB959_405:                            ;   in Loop: Header=BB959_213 Depth=1
	s_or_b64 exec, exec, s[12:13]
	v_perm_b32 v64, v44, v46, s23
	buffer_load_dword v44, v63, s[0:3], 0 offen
	buffer_load_dword v42, v63, s[0:3], 0 offen offset:4
	buffer_load_dword v40, v63, s[0:3], 0 offen offset:8
	;; [unrolled: 1-line block ×3, first 2 shown]
	v_perm_b32 v65, v50, v48, s23
	v_perm_b32 v53, v53, v52, s23
	;; [unrolled: 1-line block ×3, first 2 shown]
	v_mfma_f32_16x16x16bf16_1k v[34:37], v[64:65], v[14:15], v[34:37]
	s_waitcnt vmcnt(3)
	v_cmp_ne_u16_sdwa s[14:15], v44, v43 src0_sel:BYTE_0 src1_sel:DWORD
	v_mfma_f32_16x16x16bf16_1k v[34:37], v[52:53], v[16:17], v[34:37]
	s_and_saveexec_b64 s[12:13], s[14:15]
	s_cbranch_execz .LBB959_411
; %bb.406:                              ;   in Loop: Header=BB959_213 Depth=1
	v_cmp_ne_u16_sdwa s[16:17], v44, s9 src0_sel:BYTE_0 src1_sel:DWORD
	v_mov_b32_e32 v47, 0xffff8000
	s_and_saveexec_b64 s[14:15], s[16:17]
	s_cbranch_execz .LBB959_410
; %bb.407:                              ;   in Loop: Header=BB959_213 Depth=1
	v_and_b32_e32 v46, 0x7f, v44
	v_cmp_ne_u32_e32 vcc, s21, v46
	v_mov_b32_e32 v47, 0x7f80
	s_and_saveexec_b64 s[16:17], vcc
	s_cbranch_execz .LBB959_409
; %bb.408:                              ;   in Loop: Header=BB959_213 Depth=1
	v_and_b32_e32 v47, 7, v44
	v_ffbh_u32_e32 v48, v47
	v_min_u32_e32 v51, 32, v48
	v_subrev_u32_e32 v48, 28, v51
	v_lshlrev_b64 v[48:49], v48, v[44:45]
	v_lshrrev_b32_e32 v50, 3, v46
	v_sub_u32_e32 v49, 29, v51
	v_and_b32_e32 v48, 7, v48
	v_cmp_gt_u32_e32 vcc, 8, v46
	v_cndmask_b32_e32 v46, v50, v49, vcc
	v_cndmask_b32_e32 v47, v47, v48, vcc
	v_lshlrev_b32_e32 v48, 24, v44
	v_lshlrev_b32_e32 v47, 20, v47
	v_and_b32_e32 v48, 0x80000000, v48
	v_lshl_add_u32 v46, v46, 23, v45
	v_or3_b32 v46, v48, v46, v47
	v_lshrrev_b32_e32 v47, 16, v46
.LBB959_409:                            ;   in Loop: Header=BB959_213 Depth=1
	s_or_b64 exec, exec, s[16:17]
.LBB959_410:                            ;   in Loop: Header=BB959_213 Depth=1
	s_or_b64 exec, exec, s[14:15]
.LBB959_411:                            ;   in Loop: Header=BB959_213 Depth=1
	s_or_b64 exec, exec, s[12:13]
	v_lshrrev_b16_e32 v46, 8, v44
	v_cmp_ne_u16_e32 vcc, 0, v46
	v_mov_b32_e32 v49, 0
	v_mov_b32_e32 v48, 0
	s_and_saveexec_b64 s[12:13], vcc
	s_cbranch_execz .LBB959_417
; %bb.412:                              ;   in Loop: Header=BB959_213 Depth=1
	v_cmp_ne_u16_e32 vcc, s9, v46
	v_mov_b32_e32 v48, 0xffff8000
	s_and_saveexec_b64 s[14:15], vcc
	s_cbranch_execz .LBB959_416
; %bb.413:                              ;   in Loop: Header=BB959_213 Depth=1
	v_and_b32_e32 v50, 0x7f, v46
	v_cmp_ne_u32_e32 vcc, s21, v50
	v_mov_b32_e32 v48, 0x7f80
	s_and_saveexec_b64 s[16:17], vcc
	s_cbranch_execz .LBB959_415
; %bb.414:                              ;   in Loop: Header=BB959_213 Depth=1
	v_and_b32_e32 v48, 7, v46
	v_ffbh_u32_e32 v52, v48
	v_min_u32_e32 v63, 32, v52
	v_subrev_u32_e32 v52, 28, v63
	v_lshlrev_b64 v[52:53], v52, v[46:47]
	v_lshrrev_b32_e32 v51, 3, v50
	v_sub_u32_e32 v46, 29, v63
	v_and_b32_e32 v52, 7, v52
	v_cmp_gt_u32_e32 vcc, 8, v50
	v_cndmask_b32_e32 v46, v51, v46, vcc
	v_cndmask_b32_e32 v48, v48, v52, vcc
	v_lshlrev_b32_e32 v50, 16, v44
	v_lshlrev_b32_e32 v48, 20, v48
	v_and_b32_e32 v50, 0x80000000, v50
	v_lshl_add_u32 v46, v46, 23, v45
	v_or3_b32 v46, v50, v46, v48
	v_lshrrev_b32_e32 v48, 16, v46
.LBB959_415:                            ;   in Loop: Header=BB959_213 Depth=1
	s_or_b64 exec, exec, s[16:17]
.LBB959_416:                            ;   in Loop: Header=BB959_213 Depth=1
	s_or_b64 exec, exec, s[14:15]
.LBB959_417:                            ;   in Loop: Header=BB959_213 Depth=1
	s_or_b64 exec, exec, s[12:13]
	v_lshrrev_b32_e32 v46, 16, v44
	v_cmp_ne_u16_sdwa s[14:15], v46, v43 src0_sel:BYTE_0 src1_sel:DWORD
	s_and_saveexec_b64 s[12:13], s[14:15]
	s_cbranch_execz .LBB959_423
; %bb.418:                              ;   in Loop: Header=BB959_213 Depth=1
	v_cmp_ne_u16_sdwa s[16:17], v46, s9 src0_sel:BYTE_0 src1_sel:DWORD
	v_mov_b32_e32 v49, 0xffff8000
	s_and_saveexec_b64 s[14:15], s[16:17]
	s_cbranch_execz .LBB959_422
; %bb.419:                              ;   in Loop: Header=BB959_213 Depth=1
	v_bfe_u32 v50, v44, 16, 7
	v_cmp_ne_u32_e32 vcc, s21, v50
	v_mov_b32_e32 v49, 0x7f80
	s_and_saveexec_b64 s[16:17], vcc
	s_cbranch_execz .LBB959_421
; %bb.420:                              ;   in Loop: Header=BB959_213 Depth=1
	v_and_b32_e32 v49, 7, v46
	v_ffbh_u32_e32 v52, v49
	v_min_u32_e32 v63, 32, v52
	v_subrev_u32_e32 v52, 28, v63
	v_lshlrev_b64 v[52:53], v52, v[46:47]
	v_lshrrev_b32_e32 v51, 3, v50
	v_sub_u32_e32 v53, 29, v63
	v_and_b32_e32 v52, 7, v52
	v_cmp_gt_u32_e32 vcc, 8, v50
	v_cndmask_b32_e32 v50, v51, v53, vcc
	v_cndmask_b32_e32 v49, v49, v52, vcc
	v_lshlrev_b32_e32 v46, 24, v46
	v_lshlrev_b32_e32 v49, 20, v49
	v_and_b32_e32 v46, 0x80000000, v46
	v_lshl_add_u32 v50, v50, 23, v45
	v_or3_b32 v46, v46, v50, v49
	v_lshrrev_b32_e32 v49, 16, v46
.LBB959_421:                            ;   in Loop: Header=BB959_213 Depth=1
	s_or_b64 exec, exec, s[16:17]
.LBB959_422:                            ;   in Loop: Header=BB959_213 Depth=1
	s_or_b64 exec, exec, s[14:15]
.LBB959_423:                            ;   in Loop: Header=BB959_213 Depth=1
	s_or_b64 exec, exec, s[12:13]
	v_cmp_lt_u32_e32 vcc, s22, v44
	v_mov_b32_e32 v50, 0
	v_mov_b32_e32 v51, 0
	s_and_saveexec_b64 s[12:13], vcc
	s_cbranch_execz .LBB959_429
; %bb.424:                              ;   in Loop: Header=BB959_213 Depth=1
	v_lshrrev_b32_e32 v46, 24, v44
	v_cmp_ne_u32_e32 vcc, s9, v46
	v_mov_b32_e32 v51, 0xffff8000
	s_and_saveexec_b64 s[14:15], vcc
	s_cbranch_execz .LBB959_428
; %bb.425:                              ;   in Loop: Header=BB959_213 Depth=1
	v_bfe_u32 v44, v44, 24, 7
	v_cmp_ne_u32_e32 vcc, s21, v44
	v_mov_b32_e32 v51, 0x7f80
	s_and_saveexec_b64 s[16:17], vcc
	s_cbranch_execz .LBB959_427
; %bb.426:                              ;   in Loop: Header=BB959_213 Depth=1
	v_and_b32_e32 v51, 7, v46
	v_ffbh_u32_e32 v52, v51
	v_min_u32_e32 v64, 32, v52
	v_subrev_u32_e32 v52, 28, v64
	v_lshlrev_b64 v[52:53], v52, v[46:47]
	v_lshrrev_b32_e32 v63, 3, v44
	v_sub_u32_e32 v53, 29, v64
	v_and_b32_e32 v52, 7, v52
	v_cmp_gt_u32_e32 vcc, 8, v44
	v_cndmask_b32_e32 v44, v63, v53, vcc
	v_cndmask_b32_e32 v51, v51, v52, vcc
	v_lshlrev_b32_e32 v46, 24, v46
	v_lshlrev_b32_e32 v51, 20, v51
	v_and_b32_e32 v46, 0x80000000, v46
	v_lshl_add_u32 v44, v44, 23, v45
	v_or3_b32 v44, v46, v44, v51
	v_lshrrev_b32_e32 v51, 16, v44
.LBB959_427:                            ;   in Loop: Header=BB959_213 Depth=1
	s_or_b64 exec, exec, s[16:17]
.LBB959_428:                            ;   in Loop: Header=BB959_213 Depth=1
	s_or_b64 exec, exec, s[14:15]
.LBB959_429:                            ;   in Loop: Header=BB959_213 Depth=1
	s_or_b64 exec, exec, s[12:13]
	s_waitcnt vmcnt(2)
	v_cmp_ne_u16_sdwa s[14:15], v42, v43 src0_sel:BYTE_0 src1_sel:DWORD
	s_and_saveexec_b64 s[12:13], s[14:15]
	s_cbranch_execz .LBB959_435
; %bb.430:                              ;   in Loop: Header=BB959_213 Depth=1
	v_cmp_ne_u16_sdwa s[16:17], v42, s9 src0_sel:BYTE_0 src1_sel:DWORD
	v_mov_b32_e32 v50, 0xffff8000
	s_and_saveexec_b64 s[14:15], s[16:17]
	s_cbranch_execz .LBB959_434
; %bb.431:                              ;   in Loop: Header=BB959_213 Depth=1
	v_and_b32_e32 v44, 0x7f, v42
	v_cmp_ne_u32_e32 vcc, s21, v44
	v_mov_b32_e32 v50, 0x7f80
	s_and_saveexec_b64 s[16:17], vcc
	s_cbranch_execz .LBB959_433
; %bb.432:                              ;   in Loop: Header=BB959_213 Depth=1
	v_and_b32_e32 v46, 7, v42
	v_ffbh_u32_e32 v52, v46
	v_min_u32_e32 v63, 32, v52
	v_subrev_u32_e32 v52, 28, v63
	v_lshlrev_b64 v[52:53], v52, v[42:43]
	v_lshrrev_b32_e32 v50, 3, v44
	v_sub_u32_e32 v53, 29, v63
	v_and_b32_e32 v52, 7, v52
	v_cmp_gt_u32_e32 vcc, 8, v44
	v_cndmask_b32_e32 v44, v50, v53, vcc
	v_cndmask_b32_e32 v46, v46, v52, vcc
	v_lshlrev_b32_e32 v50, 24, v42
	v_lshlrev_b32_e32 v46, 20, v46
	v_and_b32_e32 v50, 0x80000000, v50
	v_lshl_add_u32 v44, v44, 23, v45
	v_or3_b32 v44, v50, v44, v46
	v_lshrrev_b32_e32 v50, 16, v44
.LBB959_433:                            ;   in Loop: Header=BB959_213 Depth=1
	s_or_b64 exec, exec, s[16:17]
.LBB959_434:                            ;   in Loop: Header=BB959_213 Depth=1
	s_or_b64 exec, exec, s[14:15]
.LBB959_435:                            ;   in Loop: Header=BB959_213 Depth=1
	s_or_b64 exec, exec, s[12:13]
	v_lshrrev_b16_e32 v44, 8, v42
	v_cmp_ne_u16_e32 vcc, 0, v44
	v_mov_b32_e32 v53, 0
	v_mov_b32_e32 v52, 0
	s_and_saveexec_b64 s[12:13], vcc
	s_cbranch_execz .LBB959_441
; %bb.436:                              ;   in Loop: Header=BB959_213 Depth=1
	v_cmp_ne_u16_e32 vcc, s9, v44
	v_mov_b32_e32 v52, 0xffff8000
	s_and_saveexec_b64 s[14:15], vcc
	s_cbranch_execz .LBB959_440
; %bb.437:                              ;   in Loop: Header=BB959_213 Depth=1
	v_and_b32_e32 v46, 0x7f, v44
	v_cmp_ne_u32_e32 vcc, s21, v46
	v_mov_b32_e32 v52, 0x7f80
	s_and_saveexec_b64 s[16:17], vcc
	s_cbranch_execz .LBB959_439
; %bb.438:                              ;   in Loop: Header=BB959_213 Depth=1
	v_and_b32_e32 v52, 7, v44
	v_ffbh_u32_e32 v64, v52
	v_min_u32_e32 v66, 32, v64
	v_subrev_u32_e32 v64, 28, v66
	v_lshlrev_b64 v[64:65], v64, v[44:45]
	v_lshrrev_b32_e32 v63, 3, v46
	v_sub_u32_e32 v44, 29, v66
	v_and_b32_e32 v64, 7, v64
	v_cmp_gt_u32_e32 vcc, 8, v46
	v_cndmask_b32_e32 v44, v63, v44, vcc
	v_cndmask_b32_e32 v46, v52, v64, vcc
	v_lshlrev_b32_e32 v52, 16, v42
	v_lshlrev_b32_e32 v46, 20, v46
	v_and_b32_e32 v52, 0x80000000, v52
	v_lshl_add_u32 v44, v44, 23, v45
	v_or3_b32 v44, v52, v44, v46
	v_lshrrev_b32_e32 v52, 16, v44
.LBB959_439:                            ;   in Loop: Header=BB959_213 Depth=1
	s_or_b64 exec, exec, s[16:17]
.LBB959_440:                            ;   in Loop: Header=BB959_213 Depth=1
	s_or_b64 exec, exec, s[14:15]
.LBB959_441:                            ;   in Loop: Header=BB959_213 Depth=1
	s_or_b64 exec, exec, s[12:13]
	v_lshrrev_b32_e32 v44, 16, v42
	v_cmp_ne_u16_sdwa s[14:15], v44, v43 src0_sel:BYTE_0 src1_sel:DWORD
	s_and_saveexec_b64 s[12:13], s[14:15]
	s_cbranch_execz .LBB959_447
; %bb.442:                              ;   in Loop: Header=BB959_213 Depth=1
	v_cmp_ne_u16_sdwa s[16:17], v44, s9 src0_sel:BYTE_0 src1_sel:DWORD
	v_mov_b32_e32 v53, 0xffff8000
	s_and_saveexec_b64 s[14:15], s[16:17]
	s_cbranch_execz .LBB959_446
; %bb.443:                              ;   in Loop: Header=BB959_213 Depth=1
	v_bfe_u32 v46, v42, 16, 7
	v_cmp_ne_u32_e32 vcc, s21, v46
	v_mov_b32_e32 v53, 0x7f80
	s_and_saveexec_b64 s[16:17], vcc
	s_cbranch_execz .LBB959_445
; %bb.444:                              ;   in Loop: Header=BB959_213 Depth=1
	v_and_b32_e32 v53, 7, v44
	v_ffbh_u32_e32 v64, v53
	v_min_u32_e32 v66, 32, v64
	v_subrev_u32_e32 v64, 28, v66
	v_lshlrev_b64 v[64:65], v64, v[44:45]
	v_lshrrev_b32_e32 v63, 3, v46
	v_sub_u32_e32 v65, 29, v66
	v_and_b32_e32 v64, 7, v64
	v_cmp_gt_u32_e32 vcc, 8, v46
	v_cndmask_b32_e32 v46, v63, v65, vcc
	v_cndmask_b32_e32 v53, v53, v64, vcc
	v_lshlrev_b32_e32 v44, 24, v44
	v_lshlrev_b32_e32 v53, 20, v53
	v_and_b32_e32 v44, 0x80000000, v44
	v_lshl_add_u32 v46, v46, 23, v45
	v_or3_b32 v44, v44, v46, v53
	v_lshrrev_b32_e32 v53, 16, v44
.LBB959_445:                            ;   in Loop: Header=BB959_213 Depth=1
	s_or_b64 exec, exec, s[16:17]
.LBB959_446:                            ;   in Loop: Header=BB959_213 Depth=1
	s_or_b64 exec, exec, s[14:15]
.LBB959_447:                            ;   in Loop: Header=BB959_213 Depth=1
	s_or_b64 exec, exec, s[12:13]
	v_cmp_lt_u32_e32 vcc, s22, v42
	v_mov_b32_e32 v46, 0
	v_mov_b32_e32 v63, 0
	s_and_saveexec_b64 s[12:13], vcc
	s_cbranch_execz .LBB959_453
; %bb.448:                              ;   in Loop: Header=BB959_213 Depth=1
	v_lshrrev_b32_e32 v44, 24, v42
	v_cmp_ne_u32_e32 vcc, s9, v44
	v_mov_b32_e32 v63, 0xffff8000
	s_and_saveexec_b64 s[14:15], vcc
	s_cbranch_execz .LBB959_452
; %bb.449:                              ;   in Loop: Header=BB959_213 Depth=1
	v_bfe_u32 v42, v42, 24, 7
	v_cmp_ne_u32_e32 vcc, s21, v42
	v_mov_b32_e32 v63, 0x7f80
	s_and_saveexec_b64 s[16:17], vcc
	s_cbranch_execz .LBB959_451
; %bb.450:                              ;   in Loop: Header=BB959_213 Depth=1
	v_and_b32_e32 v63, 7, v44
	v_ffbh_u32_e32 v64, v63
	v_min_u32_e32 v67, 32, v64
	v_subrev_u32_e32 v64, 28, v67
	v_lshlrev_b64 v[64:65], v64, v[44:45]
	v_lshrrev_b32_e32 v66, 3, v42
	v_sub_u32_e32 v65, 29, v67
	v_and_b32_e32 v64, 7, v64
	v_cmp_gt_u32_e32 vcc, 8, v42
	v_cndmask_b32_e32 v42, v66, v65, vcc
	v_cndmask_b32_e32 v63, v63, v64, vcc
	v_lshlrev_b32_e32 v44, 24, v44
	v_lshlrev_b32_e32 v63, 20, v63
	v_and_b32_e32 v44, 0x80000000, v44
	v_lshl_add_u32 v42, v42, 23, v45
	v_or3_b32 v42, v44, v42, v63
	v_lshrrev_b32_e32 v63, 16, v42
.LBB959_451:                            ;   in Loop: Header=BB959_213 Depth=1
	s_or_b64 exec, exec, s[16:17]
.LBB959_452:                            ;   in Loop: Header=BB959_213 Depth=1
	s_or_b64 exec, exec, s[14:15]
.LBB959_453:                            ;   in Loop: Header=BB959_213 Depth=1
	s_or_b64 exec, exec, s[12:13]
	v_perm_b32 v49, v51, v49, s23
	v_perm_b32 v48, v48, v47, s23
	s_waitcnt vmcnt(1)
	v_cmp_ne_u16_sdwa s[14:15], v40, v43 src0_sel:BYTE_0 src1_sel:DWORD
	v_mfma_f32_16x16x16bf16_1k v[34:37], v[48:49], v[18:19], v[34:37]
	v_perm_b32 v49, v63, v53, s23
	v_perm_b32 v48, v52, v50, s23
	s_nop 1
	v_mfma_f32_16x16x16bf16_1k v[34:37], v[48:49], v[20:21], v[34:37]
	s_and_saveexec_b64 s[12:13], s[14:15]
	s_cbranch_execz .LBB959_459
; %bb.454:                              ;   in Loop: Header=BB959_213 Depth=1
	v_cmp_ne_u16_sdwa s[16:17], v40, s9 src0_sel:BYTE_0 src1_sel:DWORD
	v_mov_b32_e32 v46, 0xffff8000
	s_and_saveexec_b64 s[14:15], s[16:17]
	s_cbranch_execz .LBB959_458
; %bb.455:                              ;   in Loop: Header=BB959_213 Depth=1
	v_and_b32_e32 v42, 0x7f, v40
	v_cmp_ne_u32_e32 vcc, s21, v42
	v_mov_b32_e32 v46, 0x7f80
	s_and_saveexec_b64 s[16:17], vcc
	s_cbranch_execz .LBB959_457
; %bb.456:                              ;   in Loop: Header=BB959_213 Depth=1
	v_and_b32_e32 v44, 7, v40
	v_ffbh_u32_e32 v46, v44
	v_min_u32_e32 v49, 32, v46
	v_subrev_u32_e32 v46, 28, v49
	v_lshlrev_b64 v[46:47], v46, v[40:41]
	v_lshrrev_b32_e32 v48, 3, v42
	v_sub_u32_e32 v47, 29, v49
	v_and_b32_e32 v46, 7, v46
	v_cmp_gt_u32_e32 vcc, 8, v42
	v_cndmask_b32_e32 v42, v48, v47, vcc
	v_cndmask_b32_e32 v44, v44, v46, vcc
	v_lshlrev_b32_e32 v46, 24, v40
	v_lshlrev_b32_e32 v44, 20, v44
	v_and_b32_e32 v46, 0x80000000, v46
	v_lshl_add_u32 v42, v42, 23, v45
	v_or3_b32 v42, v46, v42, v44
	v_lshrrev_b32_e32 v46, 16, v42
.LBB959_457:                            ;   in Loop: Header=BB959_213 Depth=1
	s_or_b64 exec, exec, s[16:17]
.LBB959_458:                            ;   in Loop: Header=BB959_213 Depth=1
	s_or_b64 exec, exec, s[14:15]
.LBB959_459:                            ;   in Loop: Header=BB959_213 Depth=1
	s_or_b64 exec, exec, s[12:13]
	v_lshrrev_b16_e32 v42, 8, v40
	v_cmp_ne_u16_e32 vcc, 0, v42
	v_mov_b32_e32 v48, 0
	v_mov_b32_e32 v44, 0
	s_and_saveexec_b64 s[12:13], vcc
	s_cbranch_execz .LBB959_465
; %bb.460:                              ;   in Loop: Header=BB959_213 Depth=1
	v_cmp_ne_u16_e32 vcc, s9, v42
	v_mov_b32_e32 v44, 0xffff8000
	s_and_saveexec_b64 s[14:15], vcc
	s_cbranch_execz .LBB959_464
; %bb.461:                              ;   in Loop: Header=BB959_213 Depth=1
	v_and_b32_e32 v47, 0x7f, v42
	v_cmp_ne_u32_e32 vcc, s21, v47
	v_mov_b32_e32 v44, 0x7f80
	s_and_saveexec_b64 s[16:17], vcc
	s_cbranch_execz .LBB959_463
; %bb.462:                              ;   in Loop: Header=BB959_213 Depth=1
	v_and_b32_e32 v44, 7, v42
	v_ffbh_u32_e32 v50, v44
	v_min_u32_e32 v52, 32, v50
	v_subrev_u32_e32 v50, 28, v52
	v_lshlrev_b64 v[50:51], v50, v[42:43]
	v_lshrrev_b32_e32 v49, 3, v47
	v_sub_u32_e32 v42, 29, v52
	v_and_b32_e32 v50, 7, v50
	v_cmp_gt_u32_e32 vcc, 8, v47
	v_cndmask_b32_e32 v42, v49, v42, vcc
	v_cndmask_b32_e32 v44, v44, v50, vcc
	v_lshlrev_b32_e32 v47, 16, v40
	v_lshlrev_b32_e32 v44, 20, v44
	v_and_b32_e32 v47, 0x80000000, v47
	v_lshl_add_u32 v42, v42, 23, v45
	v_or3_b32 v42, v47, v42, v44
	v_lshrrev_b32_e32 v44, 16, v42
.LBB959_463:                            ;   in Loop: Header=BB959_213 Depth=1
	s_or_b64 exec, exec, s[16:17]
.LBB959_464:                            ;   in Loop: Header=BB959_213 Depth=1
	s_or_b64 exec, exec, s[14:15]
.LBB959_465:                            ;   in Loop: Header=BB959_213 Depth=1
	s_or_b64 exec, exec, s[12:13]
	v_lshrrev_b32_e32 v42, 16, v40
	v_cmp_ne_u16_sdwa s[14:15], v42, v43 src0_sel:BYTE_0 src1_sel:DWORD
	s_and_saveexec_b64 s[12:13], s[14:15]
	s_cbranch_execz .LBB959_471
; %bb.466:                              ;   in Loop: Header=BB959_213 Depth=1
	v_cmp_ne_u16_sdwa s[16:17], v42, s9 src0_sel:BYTE_0 src1_sel:DWORD
	v_mov_b32_e32 v48, 0xffff8000
	s_and_saveexec_b64 s[14:15], s[16:17]
	s_cbranch_execz .LBB959_470
; %bb.467:                              ;   in Loop: Header=BB959_213 Depth=1
	v_bfe_u32 v47, v40, 16, 7
	v_cmp_ne_u32_e32 vcc, s21, v47
	v_mov_b32_e32 v48, 0x7f80
	s_and_saveexec_b64 s[16:17], vcc
	s_cbranch_execz .LBB959_469
; %bb.468:                              ;   in Loop: Header=BB959_213 Depth=1
	v_and_b32_e32 v50, 7, v42
	v_ffbh_u32_e32 v48, v50
	v_min_u32_e32 v52, 32, v48
	v_subrev_u32_e32 v48, 28, v52
	v_lshlrev_b64 v[48:49], v48, v[42:43]
	v_lshrrev_b32_e32 v51, 3, v47
	v_sub_u32_e32 v49, 29, v52
	v_and_b32_e32 v48, 7, v48
	v_cmp_gt_u32_e32 vcc, 8, v47
	v_cndmask_b32_e32 v47, v51, v49, vcc
	v_cndmask_b32_e32 v48, v50, v48, vcc
	v_lshlrev_b32_e32 v42, 24, v42
	v_lshlrev_b32_e32 v48, 20, v48
	v_and_b32_e32 v42, 0x80000000, v42
	v_lshl_add_u32 v47, v47, 23, v45
	v_or3_b32 v42, v42, v47, v48
	v_lshrrev_b32_e32 v48, 16, v42
.LBB959_469:                            ;   in Loop: Header=BB959_213 Depth=1
	s_or_b64 exec, exec, s[16:17]
.LBB959_470:                            ;   in Loop: Header=BB959_213 Depth=1
	s_or_b64 exec, exec, s[14:15]
.LBB959_471:                            ;   in Loop: Header=BB959_213 Depth=1
	s_or_b64 exec, exec, s[12:13]
	v_cmp_lt_u32_e32 vcc, s22, v40
	v_mov_b32_e32 v49, 0
	v_mov_b32_e32 v50, 0
	s_and_saveexec_b64 s[12:13], vcc
	s_cbranch_execz .LBB959_477
; %bb.472:                              ;   in Loop: Header=BB959_213 Depth=1
	v_lshrrev_b32_e32 v42, 24, v40
	v_cmp_ne_u32_e32 vcc, s9, v42
	v_mov_b32_e32 v50, 0xffff8000
	s_and_saveexec_b64 s[14:15], vcc
	s_cbranch_execz .LBB959_476
; %bb.473:                              ;   in Loop: Header=BB959_213 Depth=1
	v_bfe_u32 v40, v40, 24, 7
	v_cmp_ne_u32_e32 vcc, s21, v40
	v_mov_b32_e32 v50, 0x7f80
	s_and_saveexec_b64 s[16:17], vcc
	s_cbranch_execz .LBB959_475
; %bb.474:                              ;   in Loop: Header=BB959_213 Depth=1
	v_and_b32_e32 v47, 7, v42
	v_ffbh_u32_e32 v50, v47
	v_min_u32_e32 v53, 32, v50
	v_subrev_u32_e32 v50, 28, v53
	v_lshlrev_b64 v[50:51], v50, v[42:43]
	v_lshrrev_b32_e32 v52, 3, v40
	v_sub_u32_e32 v51, 29, v53
	v_and_b32_e32 v50, 7, v50
	v_cmp_gt_u32_e32 vcc, 8, v40
	v_cndmask_b32_e32 v40, v52, v51, vcc
	v_cndmask_b32_e32 v47, v47, v50, vcc
	v_lshlrev_b32_e32 v42, 24, v42
	v_lshlrev_b32_e32 v47, 20, v47
	v_and_b32_e32 v42, 0x80000000, v42
	v_lshl_add_u32 v40, v40, 23, v45
	v_or3_b32 v40, v42, v40, v47
	v_lshrrev_b32_e32 v50, 16, v40
.LBB959_475:                            ;   in Loop: Header=BB959_213 Depth=1
	s_or_b64 exec, exec, s[16:17]
.LBB959_476:                            ;   in Loop: Header=BB959_213 Depth=1
	s_or_b64 exec, exec, s[14:15]
.LBB959_477:                            ;   in Loop: Header=BB959_213 Depth=1
	s_or_b64 exec, exec, s[12:13]
	s_waitcnt vmcnt(0)
	v_cmp_ne_u16_sdwa s[14:15], v38, v43 src0_sel:BYTE_0 src1_sel:DWORD
	s_and_saveexec_b64 s[12:13], s[14:15]
	s_cbranch_execz .LBB959_483
; %bb.478:                              ;   in Loop: Header=BB959_213 Depth=1
	v_cmp_ne_u16_sdwa s[16:17], v38, s9 src0_sel:BYTE_0 src1_sel:DWORD
	v_mov_b32_e32 v49, 0xffff8000
	s_and_saveexec_b64 s[14:15], s[16:17]
	s_cbranch_execz .LBB959_482
; %bb.479:                              ;   in Loop: Header=BB959_213 Depth=1
	v_and_b32_e32 v40, 0x7f, v38
	v_cmp_ne_u32_e32 vcc, s21, v40
	v_mov_b32_e32 v49, 0x7f80
	s_and_saveexec_b64 s[16:17], vcc
	s_cbranch_execz .LBB959_481
; %bb.480:                              ;   in Loop: Header=BB959_213 Depth=1
	v_and_b32_e32 v42, 7, v38
	v_ffbh_u32_e32 v49, v42
	v_min_u32_e32 v49, 32, v49
	v_subrev_u32_e32 v51, 28, v49
	v_lshlrev_b64 v[52:53], v51, v[38:39]
	v_lshrrev_b32_e32 v47, 3, v40
	v_sub_u32_e32 v49, 29, v49
	v_and_b32_e32 v51, 7, v52
	v_cmp_gt_u32_e32 vcc, 8, v40
	v_cndmask_b32_e32 v40, v47, v49, vcc
	v_cndmask_b32_e32 v42, v42, v51, vcc
	v_lshlrev_b32_e32 v47, 24, v38
	v_lshlrev_b32_e32 v42, 20, v42
	v_and_b32_e32 v47, 0x80000000, v47
	v_lshl_add_u32 v40, v40, 23, v45
	v_or3_b32 v40, v47, v40, v42
	v_lshrrev_b32_e32 v49, 16, v40
.LBB959_481:                            ;   in Loop: Header=BB959_213 Depth=1
	s_or_b64 exec, exec, s[16:17]
.LBB959_482:                            ;   in Loop: Header=BB959_213 Depth=1
	s_or_b64 exec, exec, s[14:15]
.LBB959_483:                            ;   in Loop: Header=BB959_213 Depth=1
	s_or_b64 exec, exec, s[12:13]
	v_lshrrev_b16_e32 v40, 8, v38
	v_cmp_ne_u16_e32 vcc, 0, v40
	v_mov_b32_e32 v52, 0
	v_mov_b32_e32 v51, 0
	s_and_saveexec_b64 s[12:13], vcc
	s_cbranch_execz .LBB959_489
; %bb.484:                              ;   in Loop: Header=BB959_213 Depth=1
	v_cmp_ne_u16_e32 vcc, s9, v40
	v_mov_b32_e32 v51, 0xffff8000
	s_and_saveexec_b64 s[14:15], vcc
	s_cbranch_execz .LBB959_488
; %bb.485:                              ;   in Loop: Header=BB959_213 Depth=1
	v_and_b32_e32 v42, 0x7f, v40
	v_cmp_ne_u32_e32 vcc, s21, v42
	v_mov_b32_e32 v51, 0x7f80
	s_and_saveexec_b64 s[16:17], vcc
	s_cbranch_execz .LBB959_487
; %bb.486:                              ;   in Loop: Header=BB959_213 Depth=1
	v_and_b32_e32 v47, 7, v40
	v_ffbh_u32_e32 v53, v47
	v_min_u32_e32 v53, 32, v53
	v_subrev_u32_e32 v63, 28, v53
	v_lshlrev_b64 v[64:65], v63, v[40:41]
	v_lshrrev_b32_e32 v51, 3, v42
	v_sub_u32_e32 v40, 29, v53
	v_and_b32_e32 v53, 7, v64
	v_cmp_gt_u32_e32 vcc, 8, v42
	v_cndmask_b32_e32 v40, v51, v40, vcc
	v_cndmask_b32_e32 v42, v47, v53, vcc
	v_lshlrev_b32_e32 v47, 16, v38
	v_lshlrev_b32_e32 v42, 20, v42
	v_and_b32_e32 v47, 0x80000000, v47
	v_lshl_add_u32 v40, v40, 23, v45
	v_or3_b32 v40, v47, v40, v42
	v_lshrrev_b32_e32 v51, 16, v40
.LBB959_487:                            ;   in Loop: Header=BB959_213 Depth=1
	s_or_b64 exec, exec, s[16:17]
.LBB959_488:                            ;   in Loop: Header=BB959_213 Depth=1
	s_or_b64 exec, exec, s[14:15]
.LBB959_489:                            ;   in Loop: Header=BB959_213 Depth=1
	s_or_b64 exec, exec, s[12:13]
	v_lshrrev_b32_e32 v40, 16, v38
	v_cmp_ne_u16_sdwa s[14:15], v40, v43 src0_sel:BYTE_0 src1_sel:DWORD
	s_and_saveexec_b64 s[12:13], s[14:15]
	s_cbranch_execz .LBB959_495
; %bb.490:                              ;   in Loop: Header=BB959_213 Depth=1
	v_cmp_ne_u16_sdwa s[16:17], v40, s9 src0_sel:BYTE_0 src1_sel:DWORD
	v_mov_b32_e32 v52, 0xffff8000
	s_and_saveexec_b64 s[14:15], s[16:17]
	s_cbranch_execz .LBB959_494
; %bb.491:                              ;   in Loop: Header=BB959_213 Depth=1
	v_bfe_u32 v42, v38, 16, 7
	v_cmp_ne_u32_e32 vcc, s21, v42
	v_mov_b32_e32 v52, 0x7f80
	s_and_saveexec_b64 s[16:17], vcc
	s_cbranch_execz .LBB959_493
; %bb.492:                              ;   in Loop: Header=BB959_213 Depth=1
	v_and_b32_e32 v47, 7, v40
	v_ffbh_u32_e32 v52, v47
	v_min_u32_e32 v64, 32, v52
	v_subrev_u32_e32 v52, 28, v64
	v_lshlrev_b64 v[52:53], v52, v[40:41]
	v_lshrrev_b32_e32 v63, 3, v42
	v_sub_u32_e32 v53, 29, v64
	v_and_b32_e32 v52, 7, v52
	v_cmp_gt_u32_e32 vcc, 8, v42
	v_cndmask_b32_e32 v42, v63, v53, vcc
	v_cndmask_b32_e32 v47, v47, v52, vcc
	v_lshlrev_b32_e32 v40, 24, v40
	v_lshlrev_b32_e32 v47, 20, v47
	v_and_b32_e32 v40, 0x80000000, v40
	v_lshl_add_u32 v42, v42, 23, v45
	v_or3_b32 v40, v40, v42, v47
	v_lshrrev_b32_e32 v52, 16, v40
.LBB959_493:                            ;   in Loop: Header=BB959_213 Depth=1
	s_or_b64 exec, exec, s[16:17]
.LBB959_494:                            ;   in Loop: Header=BB959_213 Depth=1
	s_or_b64 exec, exec, s[14:15]
.LBB959_495:                            ;   in Loop: Header=BB959_213 Depth=1
	s_or_b64 exec, exec, s[12:13]
	v_cmp_lt_u32_e32 vcc, s22, v38
	v_mov_b32_e32 v47, 0
	v_mov_b32_e32 v53, 0
	s_and_saveexec_b64 s[12:13], vcc
	s_cbranch_execz .LBB959_501
; %bb.496:                              ;   in Loop: Header=BB959_213 Depth=1
	v_lshrrev_b32_e32 v40, 24, v38
	v_cmp_ne_u32_e32 vcc, s9, v40
	v_mov_b32_e32 v53, 0xffff8000
	s_and_saveexec_b64 s[14:15], vcc
	s_cbranch_execz .LBB959_500
; %bb.497:                              ;   in Loop: Header=BB959_213 Depth=1
	v_bfe_u32 v38, v38, 24, 7
	v_cmp_ne_u32_e32 vcc, s21, v38
	v_mov_b32_e32 v53, 0x7f80
	s_and_saveexec_b64 s[16:17], vcc
	s_cbranch_execz .LBB959_499
; %bb.498:                              ;   in Loop: Header=BB959_213 Depth=1
	v_and_b32_e32 v42, 7, v40
	v_ffbh_u32_e32 v63, v42
	v_min_u32_e32 v63, 32, v63
	v_subrev_u32_e32 v64, 28, v63
	v_lshlrev_b64 v[64:65], v64, v[40:41]
	v_lshrrev_b32_e32 v53, 3, v38
	v_sub_u32_e32 v63, 29, v63
	v_and_b32_e32 v64, 7, v64
	v_cmp_gt_u32_e32 vcc, 8, v38
	v_cndmask_b32_e32 v38, v53, v63, vcc
	v_cndmask_b32_e32 v42, v42, v64, vcc
	v_lshlrev_b32_e32 v40, 24, v40
	v_lshlrev_b32_e32 v42, 20, v42
	v_and_b32_e32 v40, 0x80000000, v40
	v_lshl_add_u32 v38, v38, 23, v45
	v_or3_b32 v38, v40, v38, v42
	v_lshrrev_b32_e32 v53, 16, v38
.LBB959_499:                            ;   in Loop: Header=BB959_213 Depth=1
	s_or_b64 exec, exec, s[16:17]
.LBB959_500:                            ;   in Loop: Header=BB959_213 Depth=1
	s_or_b64 exec, exec, s[14:15]
.LBB959_501:                            ;   in Loop: Header=BB959_213 Depth=1
	s_or_b64 exec, exec, s[12:13]
	v_perm_b32 v64, v44, v46, s23
	buffer_load_dword v44, v62, s[0:3], 0 offen
	buffer_load_dword v42, v62, s[0:3], 0 offen offset:4
	buffer_load_dword v40, v62, s[0:3], 0 offen offset:8
	;; [unrolled: 1-line block ×3, first 2 shown]
	v_perm_b32 v65, v50, v48, s23
	v_perm_b32 v53, v53, v52, s23
	;; [unrolled: 1-line block ×3, first 2 shown]
	v_mfma_f32_16x16x16bf16_1k v[34:37], v[64:65], v[22:23], v[34:37]
	s_waitcnt vmcnt(3)
	v_cmp_ne_u16_sdwa s[14:15], v44, v43 src0_sel:BYTE_0 src1_sel:DWORD
	v_mfma_f32_16x16x16bf16_1k v[34:37], v[52:53], v[24:25], v[34:37]
	s_and_saveexec_b64 s[12:13], s[14:15]
	s_cbranch_execz .LBB959_507
; %bb.502:                              ;   in Loop: Header=BB959_213 Depth=1
	v_cmp_ne_u16_sdwa s[16:17], v44, s9 src0_sel:BYTE_0 src1_sel:DWORD
	v_mov_b32_e32 v47, 0xffff8000
	s_and_saveexec_b64 s[14:15], s[16:17]
	s_cbranch_execz .LBB959_506
; %bb.503:                              ;   in Loop: Header=BB959_213 Depth=1
	v_and_b32_e32 v46, 0x7f, v44
	v_cmp_ne_u32_e32 vcc, s21, v46
	v_mov_b32_e32 v47, 0x7f80
	s_and_saveexec_b64 s[16:17], vcc
	s_cbranch_execz .LBB959_505
; %bb.504:                              ;   in Loop: Header=BB959_213 Depth=1
	v_and_b32_e32 v47, 7, v44
	v_ffbh_u32_e32 v48, v47
	v_min_u32_e32 v51, 32, v48
	v_subrev_u32_e32 v48, 28, v51
	v_lshlrev_b64 v[48:49], v48, v[44:45]
	v_lshrrev_b32_e32 v50, 3, v46
	v_sub_u32_e32 v49, 29, v51
	v_and_b32_e32 v48, 7, v48
	v_cmp_gt_u32_e32 vcc, 8, v46
	v_cndmask_b32_e32 v46, v50, v49, vcc
	v_cndmask_b32_e32 v47, v47, v48, vcc
	v_lshlrev_b32_e32 v48, 24, v44
	v_lshlrev_b32_e32 v47, 20, v47
	v_and_b32_e32 v48, 0x80000000, v48
	v_lshl_add_u32 v46, v46, 23, v45
	v_or3_b32 v46, v48, v46, v47
	v_lshrrev_b32_e32 v47, 16, v46
.LBB959_505:                            ;   in Loop: Header=BB959_213 Depth=1
	s_or_b64 exec, exec, s[16:17]
.LBB959_506:                            ;   in Loop: Header=BB959_213 Depth=1
	s_or_b64 exec, exec, s[14:15]
.LBB959_507:                            ;   in Loop: Header=BB959_213 Depth=1
	s_or_b64 exec, exec, s[12:13]
	v_lshrrev_b16_e32 v46, 8, v44
	v_cmp_ne_u16_e32 vcc, 0, v46
	v_mov_b32_e32 v49, 0
	v_mov_b32_e32 v48, 0
	s_and_saveexec_b64 s[12:13], vcc
	s_cbranch_execz .LBB959_513
; %bb.508:                              ;   in Loop: Header=BB959_213 Depth=1
	v_cmp_ne_u16_e32 vcc, s9, v46
	v_mov_b32_e32 v48, 0xffff8000
	s_and_saveexec_b64 s[14:15], vcc
	s_cbranch_execz .LBB959_512
; %bb.509:                              ;   in Loop: Header=BB959_213 Depth=1
	v_and_b32_e32 v50, 0x7f, v46
	v_cmp_ne_u32_e32 vcc, s21, v50
	v_mov_b32_e32 v48, 0x7f80
	s_and_saveexec_b64 s[16:17], vcc
	s_cbranch_execz .LBB959_511
; %bb.510:                              ;   in Loop: Header=BB959_213 Depth=1
	v_and_b32_e32 v48, 7, v46
	v_ffbh_u32_e32 v52, v48
	v_min_u32_e32 v62, 32, v52
	v_subrev_u32_e32 v52, 28, v62
	v_lshlrev_b64 v[52:53], v52, v[46:47]
	v_lshrrev_b32_e32 v51, 3, v50
	v_sub_u32_e32 v46, 29, v62
	v_and_b32_e32 v52, 7, v52
	v_cmp_gt_u32_e32 vcc, 8, v50
	v_cndmask_b32_e32 v46, v51, v46, vcc
	v_cndmask_b32_e32 v48, v48, v52, vcc
	v_lshlrev_b32_e32 v50, 16, v44
	v_lshlrev_b32_e32 v48, 20, v48
	v_and_b32_e32 v50, 0x80000000, v50
	v_lshl_add_u32 v46, v46, 23, v45
	v_or3_b32 v46, v50, v46, v48
	v_lshrrev_b32_e32 v48, 16, v46
.LBB959_511:                            ;   in Loop: Header=BB959_213 Depth=1
	s_or_b64 exec, exec, s[16:17]
.LBB959_512:                            ;   in Loop: Header=BB959_213 Depth=1
	s_or_b64 exec, exec, s[14:15]
.LBB959_513:                            ;   in Loop: Header=BB959_213 Depth=1
	s_or_b64 exec, exec, s[12:13]
	v_lshrrev_b32_e32 v46, 16, v44
	v_cmp_ne_u16_sdwa s[14:15], v46, v43 src0_sel:BYTE_0 src1_sel:DWORD
	s_and_saveexec_b64 s[12:13], s[14:15]
	s_cbranch_execz .LBB959_519
; %bb.514:                              ;   in Loop: Header=BB959_213 Depth=1
	v_cmp_ne_u16_sdwa s[16:17], v46, s9 src0_sel:BYTE_0 src1_sel:DWORD
	v_mov_b32_e32 v49, 0xffff8000
	s_and_saveexec_b64 s[14:15], s[16:17]
	s_cbranch_execz .LBB959_518
; %bb.515:                              ;   in Loop: Header=BB959_213 Depth=1
	v_bfe_u32 v50, v44, 16, 7
	v_cmp_ne_u32_e32 vcc, s21, v50
	v_mov_b32_e32 v49, 0x7f80
	s_and_saveexec_b64 s[16:17], vcc
	s_cbranch_execz .LBB959_517
; %bb.516:                              ;   in Loop: Header=BB959_213 Depth=1
	v_and_b32_e32 v49, 7, v46
	v_ffbh_u32_e32 v52, v49
	v_min_u32_e32 v62, 32, v52
	v_subrev_u32_e32 v52, 28, v62
	v_lshlrev_b64 v[52:53], v52, v[46:47]
	v_lshrrev_b32_e32 v51, 3, v50
	v_sub_u32_e32 v53, 29, v62
	v_and_b32_e32 v52, 7, v52
	v_cmp_gt_u32_e32 vcc, 8, v50
	v_cndmask_b32_e32 v50, v51, v53, vcc
	v_cndmask_b32_e32 v49, v49, v52, vcc
	v_lshlrev_b32_e32 v46, 24, v46
	v_lshlrev_b32_e32 v49, 20, v49
	v_and_b32_e32 v46, 0x80000000, v46
	v_lshl_add_u32 v50, v50, 23, v45
	v_or3_b32 v46, v46, v50, v49
	v_lshrrev_b32_e32 v49, 16, v46
.LBB959_517:                            ;   in Loop: Header=BB959_213 Depth=1
	s_or_b64 exec, exec, s[16:17]
.LBB959_518:                            ;   in Loop: Header=BB959_213 Depth=1
	s_or_b64 exec, exec, s[14:15]
.LBB959_519:                            ;   in Loop: Header=BB959_213 Depth=1
	s_or_b64 exec, exec, s[12:13]
	v_cmp_lt_u32_e32 vcc, s22, v44
	v_mov_b32_e32 v50, 0
	v_mov_b32_e32 v51, 0
	s_and_saveexec_b64 s[12:13], vcc
	s_cbranch_execz .LBB959_525
; %bb.520:                              ;   in Loop: Header=BB959_213 Depth=1
	v_lshrrev_b32_e32 v46, 24, v44
	v_cmp_ne_u32_e32 vcc, s9, v46
	v_mov_b32_e32 v51, 0xffff8000
	s_and_saveexec_b64 s[14:15], vcc
	s_cbranch_execz .LBB959_524
; %bb.521:                              ;   in Loop: Header=BB959_213 Depth=1
	v_bfe_u32 v44, v44, 24, 7
	v_cmp_ne_u32_e32 vcc, s21, v44
	v_mov_b32_e32 v51, 0x7f80
	s_and_saveexec_b64 s[16:17], vcc
	s_cbranch_execz .LBB959_523
; %bb.522:                              ;   in Loop: Header=BB959_213 Depth=1
	v_and_b32_e32 v51, 7, v46
	v_ffbh_u32_e32 v52, v51
	v_min_u32_e32 v63, 32, v52
	v_subrev_u32_e32 v52, 28, v63
	v_lshlrev_b64 v[52:53], v52, v[46:47]
	v_lshrrev_b32_e32 v62, 3, v44
	v_sub_u32_e32 v53, 29, v63
	v_and_b32_e32 v52, 7, v52
	v_cmp_gt_u32_e32 vcc, 8, v44
	v_cndmask_b32_e32 v44, v62, v53, vcc
	v_cndmask_b32_e32 v51, v51, v52, vcc
	v_lshlrev_b32_e32 v46, 24, v46
	v_lshlrev_b32_e32 v51, 20, v51
	v_and_b32_e32 v46, 0x80000000, v46
	v_lshl_add_u32 v44, v44, 23, v45
	v_or3_b32 v44, v46, v44, v51
	v_lshrrev_b32_e32 v51, 16, v44
.LBB959_523:                            ;   in Loop: Header=BB959_213 Depth=1
	s_or_b64 exec, exec, s[16:17]
.LBB959_524:                            ;   in Loop: Header=BB959_213 Depth=1
	s_or_b64 exec, exec, s[14:15]
.LBB959_525:                            ;   in Loop: Header=BB959_213 Depth=1
	s_or_b64 exec, exec, s[12:13]
	s_waitcnt vmcnt(2)
	v_cmp_ne_u16_sdwa s[14:15], v42, v43 src0_sel:BYTE_0 src1_sel:DWORD
	s_and_saveexec_b64 s[12:13], s[14:15]
	s_cbranch_execz .LBB959_531
; %bb.526:                              ;   in Loop: Header=BB959_213 Depth=1
	v_cmp_ne_u16_sdwa s[16:17], v42, s9 src0_sel:BYTE_0 src1_sel:DWORD
	v_mov_b32_e32 v50, 0xffff8000
	s_and_saveexec_b64 s[14:15], s[16:17]
	s_cbranch_execz .LBB959_530
; %bb.527:                              ;   in Loop: Header=BB959_213 Depth=1
	v_and_b32_e32 v44, 0x7f, v42
	v_cmp_ne_u32_e32 vcc, s21, v44
	v_mov_b32_e32 v50, 0x7f80
	s_and_saveexec_b64 s[16:17], vcc
	s_cbranch_execz .LBB959_529
; %bb.528:                              ;   in Loop: Header=BB959_213 Depth=1
	v_and_b32_e32 v46, 7, v42
	v_ffbh_u32_e32 v52, v46
	v_min_u32_e32 v62, 32, v52
	v_subrev_u32_e32 v52, 28, v62
	v_lshlrev_b64 v[52:53], v52, v[42:43]
	v_lshrrev_b32_e32 v50, 3, v44
	v_sub_u32_e32 v53, 29, v62
	v_and_b32_e32 v52, 7, v52
	v_cmp_gt_u32_e32 vcc, 8, v44
	v_cndmask_b32_e32 v44, v50, v53, vcc
	v_cndmask_b32_e32 v46, v46, v52, vcc
	v_lshlrev_b32_e32 v50, 24, v42
	v_lshlrev_b32_e32 v46, 20, v46
	v_and_b32_e32 v50, 0x80000000, v50
	v_lshl_add_u32 v44, v44, 23, v45
	v_or3_b32 v44, v50, v44, v46
	v_lshrrev_b32_e32 v50, 16, v44
.LBB959_529:                            ;   in Loop: Header=BB959_213 Depth=1
	s_or_b64 exec, exec, s[16:17]
.LBB959_530:                            ;   in Loop: Header=BB959_213 Depth=1
	s_or_b64 exec, exec, s[14:15]
.LBB959_531:                            ;   in Loop: Header=BB959_213 Depth=1
	s_or_b64 exec, exec, s[12:13]
	v_lshrrev_b16_e32 v44, 8, v42
	v_cmp_ne_u16_e32 vcc, 0, v44
	v_mov_b32_e32 v53, 0
	v_mov_b32_e32 v52, 0
	s_and_saveexec_b64 s[12:13], vcc
	s_cbranch_execz .LBB959_537
; %bb.532:                              ;   in Loop: Header=BB959_213 Depth=1
	v_cmp_ne_u16_e32 vcc, s9, v44
	v_mov_b32_e32 v52, 0xffff8000
	s_and_saveexec_b64 s[14:15], vcc
	s_cbranch_execz .LBB959_536
; %bb.533:                              ;   in Loop: Header=BB959_213 Depth=1
	v_and_b32_e32 v46, 0x7f, v44
	v_cmp_ne_u32_e32 vcc, s21, v46
	v_mov_b32_e32 v52, 0x7f80
	s_and_saveexec_b64 s[16:17], vcc
	s_cbranch_execz .LBB959_535
; %bb.534:                              ;   in Loop: Header=BB959_213 Depth=1
	v_and_b32_e32 v52, 7, v44
	v_ffbh_u32_e32 v62, v52
	v_min_u32_e32 v65, 32, v62
	v_subrev_u32_e32 v62, 28, v65
	v_lshlrev_b64 v[62:63], v62, v[44:45]
	v_lshrrev_b32_e32 v64, 3, v46
	v_sub_u32_e32 v44, 29, v65
	v_and_b32_e32 v62, 7, v62
	v_cmp_gt_u32_e32 vcc, 8, v46
	v_cndmask_b32_e32 v44, v64, v44, vcc
	v_cndmask_b32_e32 v46, v52, v62, vcc
	v_lshlrev_b32_e32 v52, 16, v42
	v_lshlrev_b32_e32 v46, 20, v46
	v_and_b32_e32 v52, 0x80000000, v52
	v_lshl_add_u32 v44, v44, 23, v45
	v_or3_b32 v44, v52, v44, v46
	v_lshrrev_b32_e32 v52, 16, v44
.LBB959_535:                            ;   in Loop: Header=BB959_213 Depth=1
	s_or_b64 exec, exec, s[16:17]
.LBB959_536:                            ;   in Loop: Header=BB959_213 Depth=1
	s_or_b64 exec, exec, s[14:15]
.LBB959_537:                            ;   in Loop: Header=BB959_213 Depth=1
	s_or_b64 exec, exec, s[12:13]
	v_lshrrev_b32_e32 v44, 16, v42
	v_cmp_ne_u16_sdwa s[14:15], v44, v43 src0_sel:BYTE_0 src1_sel:DWORD
	s_and_saveexec_b64 s[12:13], s[14:15]
	s_cbranch_execz .LBB959_543
; %bb.538:                              ;   in Loop: Header=BB959_213 Depth=1
	v_cmp_ne_u16_sdwa s[16:17], v44, s9 src0_sel:BYTE_0 src1_sel:DWORD
	v_mov_b32_e32 v53, 0xffff8000
	s_and_saveexec_b64 s[14:15], s[16:17]
	s_cbranch_execz .LBB959_542
; %bb.539:                              ;   in Loop: Header=BB959_213 Depth=1
	v_bfe_u32 v46, v42, 16, 7
	v_cmp_ne_u32_e32 vcc, s21, v46
	v_mov_b32_e32 v53, 0x7f80
	s_and_saveexec_b64 s[16:17], vcc
	s_cbranch_execz .LBB959_541
; %bb.540:                              ;   in Loop: Header=BB959_213 Depth=1
	v_and_b32_e32 v53, 7, v44
	v_ffbh_u32_e32 v62, v53
	v_min_u32_e32 v65, 32, v62
	v_subrev_u32_e32 v62, 28, v65
	v_lshlrev_b64 v[62:63], v62, v[44:45]
	v_lshrrev_b32_e32 v64, 3, v46
	v_sub_u32_e32 v63, 29, v65
	v_and_b32_e32 v62, 7, v62
	v_cmp_gt_u32_e32 vcc, 8, v46
	v_cndmask_b32_e32 v46, v64, v63, vcc
	v_cndmask_b32_e32 v53, v53, v62, vcc
	v_lshlrev_b32_e32 v44, 24, v44
	v_lshlrev_b32_e32 v53, 20, v53
	v_and_b32_e32 v44, 0x80000000, v44
	v_lshl_add_u32 v46, v46, 23, v45
	v_or3_b32 v44, v44, v46, v53
	v_lshrrev_b32_e32 v53, 16, v44
.LBB959_541:                            ;   in Loop: Header=BB959_213 Depth=1
	s_or_b64 exec, exec, s[16:17]
.LBB959_542:                            ;   in Loop: Header=BB959_213 Depth=1
	s_or_b64 exec, exec, s[14:15]
.LBB959_543:                            ;   in Loop: Header=BB959_213 Depth=1
	s_or_b64 exec, exec, s[12:13]
	v_cmp_lt_u32_e32 vcc, s22, v42
	v_mov_b32_e32 v46, 0
	v_mov_b32_e32 v62, 0
	s_and_saveexec_b64 s[12:13], vcc
	s_cbranch_execz .LBB959_549
; %bb.544:                              ;   in Loop: Header=BB959_213 Depth=1
	v_lshrrev_b32_e32 v44, 24, v42
	v_cmp_ne_u32_e32 vcc, s9, v44
	v_mov_b32_e32 v62, 0xffff8000
	s_and_saveexec_b64 s[14:15], vcc
	s_cbranch_execz .LBB959_548
; %bb.545:                              ;   in Loop: Header=BB959_213 Depth=1
	v_bfe_u32 v42, v42, 24, 7
	v_cmp_ne_u32_e32 vcc, s21, v42
	v_mov_b32_e32 v62, 0x7f80
	s_and_saveexec_b64 s[16:17], vcc
	s_cbranch_execz .LBB959_547
; %bb.546:                              ;   in Loop: Header=BB959_213 Depth=1
	v_and_b32_e32 v64, 7, v44
	v_ffbh_u32_e32 v62, v64
	v_min_u32_e32 v66, 32, v62
	v_subrev_u32_e32 v62, 28, v66
	v_lshlrev_b64 v[62:63], v62, v[44:45]
	v_lshrrev_b32_e32 v65, 3, v42
	v_sub_u32_e32 v63, 29, v66
	v_and_b32_e32 v62, 7, v62
	v_cmp_gt_u32_e32 vcc, 8, v42
	v_cndmask_b32_e32 v42, v65, v63, vcc
	v_cndmask_b32_e32 v62, v64, v62, vcc
	v_lshlrev_b32_e32 v44, 24, v44
	v_lshlrev_b32_e32 v62, 20, v62
	v_and_b32_e32 v44, 0x80000000, v44
	v_lshl_add_u32 v42, v42, 23, v45
	v_or3_b32 v42, v44, v42, v62
	v_lshrrev_b32_e32 v62, 16, v42
.LBB959_547:                            ;   in Loop: Header=BB959_213 Depth=1
	s_or_b64 exec, exec, s[16:17]
.LBB959_548:                            ;   in Loop: Header=BB959_213 Depth=1
	s_or_b64 exec, exec, s[14:15]
.LBB959_549:                            ;   in Loop: Header=BB959_213 Depth=1
	s_or_b64 exec, exec, s[12:13]
	v_perm_b32 v49, v51, v49, s23
	v_perm_b32 v48, v48, v47, s23
	s_waitcnt vmcnt(1)
	v_cmp_ne_u16_sdwa s[14:15], v40, v43 src0_sel:BYTE_0 src1_sel:DWORD
	v_mfma_f32_16x16x16bf16_1k v[34:37], v[48:49], v[26:27], v[34:37]
	v_perm_b32 v49, v62, v53, s23
	v_perm_b32 v48, v52, v50, s23
	s_nop 1
	v_mfma_f32_16x16x16bf16_1k v[34:37], v[48:49], v[28:29], v[34:37]
	s_and_saveexec_b64 s[12:13], s[14:15]
	s_cbranch_execz .LBB959_555
; %bb.550:                              ;   in Loop: Header=BB959_213 Depth=1
	v_cmp_ne_u16_sdwa s[16:17], v40, s9 src0_sel:BYTE_0 src1_sel:DWORD
	v_mov_b32_e32 v46, 0xffff8000
	s_and_saveexec_b64 s[14:15], s[16:17]
	s_cbranch_execz .LBB959_554
; %bb.551:                              ;   in Loop: Header=BB959_213 Depth=1
	v_and_b32_e32 v42, 0x7f, v40
	v_cmp_ne_u32_e32 vcc, s21, v42
	v_mov_b32_e32 v46, 0x7f80
	s_and_saveexec_b64 s[16:17], vcc
	s_cbranch_execz .LBB959_553
; %bb.552:                              ;   in Loop: Header=BB959_213 Depth=1
	v_and_b32_e32 v44, 7, v40
	v_ffbh_u32_e32 v46, v44
	v_min_u32_e32 v49, 32, v46
	v_subrev_u32_e32 v46, 28, v49
	v_lshlrev_b64 v[46:47], v46, v[40:41]
	v_lshrrev_b32_e32 v48, 3, v42
	v_sub_u32_e32 v47, 29, v49
	v_and_b32_e32 v46, 7, v46
	v_cmp_gt_u32_e32 vcc, 8, v42
	v_cndmask_b32_e32 v42, v48, v47, vcc
	v_cndmask_b32_e32 v44, v44, v46, vcc
	v_lshlrev_b32_e32 v46, 24, v40
	v_lshlrev_b32_e32 v44, 20, v44
	v_and_b32_e32 v46, 0x80000000, v46
	v_lshl_add_u32 v42, v42, 23, v45
	v_or3_b32 v42, v46, v42, v44
	v_lshrrev_b32_e32 v46, 16, v42
.LBB959_553:                            ;   in Loop: Header=BB959_213 Depth=1
	s_or_b64 exec, exec, s[16:17]
.LBB959_554:                            ;   in Loop: Header=BB959_213 Depth=1
	s_or_b64 exec, exec, s[14:15]
.LBB959_555:                            ;   in Loop: Header=BB959_213 Depth=1
	s_or_b64 exec, exec, s[12:13]
	v_lshrrev_b16_e32 v42, 8, v40
	v_cmp_ne_u16_e32 vcc, 0, v42
	v_mov_b32_e32 v47, 0
	v_mov_b32_e32 v44, 0
	s_and_saveexec_b64 s[12:13], vcc
	s_cbranch_execz .LBB959_561
; %bb.556:                              ;   in Loop: Header=BB959_213 Depth=1
	v_cmp_ne_u16_e32 vcc, s9, v42
	v_mov_b32_e32 v44, 0xffff8000
	s_and_saveexec_b64 s[14:15], vcc
	s_cbranch_execz .LBB959_560
; %bb.557:                              ;   in Loop: Header=BB959_213 Depth=1
	v_and_b32_e32 v48, 0x7f, v42
	v_cmp_ne_u32_e32 vcc, s21, v48
	v_mov_b32_e32 v44, 0x7f80
	s_and_saveexec_b64 s[16:17], vcc
	s_cbranch_execz .LBB959_559
; %bb.558:                              ;   in Loop: Header=BB959_213 Depth=1
	v_and_b32_e32 v44, 7, v42
	v_ffbh_u32_e32 v50, v44
	v_min_u32_e32 v52, 32, v50
	v_subrev_u32_e32 v50, 28, v52
	v_lshlrev_b64 v[50:51], v50, v[42:43]
	v_lshrrev_b32_e32 v49, 3, v48
	v_sub_u32_e32 v42, 29, v52
	v_and_b32_e32 v50, 7, v50
	v_cmp_gt_u32_e32 vcc, 8, v48
	v_cndmask_b32_e32 v42, v49, v42, vcc
	v_cndmask_b32_e32 v44, v44, v50, vcc
	v_lshlrev_b32_e32 v48, 16, v40
	v_lshlrev_b32_e32 v44, 20, v44
	v_and_b32_e32 v48, 0x80000000, v48
	v_lshl_add_u32 v42, v42, 23, v45
	v_or3_b32 v42, v48, v42, v44
	v_lshrrev_b32_e32 v44, 16, v42
.LBB959_559:                            ;   in Loop: Header=BB959_213 Depth=1
	s_or_b64 exec, exec, s[16:17]
.LBB959_560:                            ;   in Loop: Header=BB959_213 Depth=1
	s_or_b64 exec, exec, s[14:15]
.LBB959_561:                            ;   in Loop: Header=BB959_213 Depth=1
	s_or_b64 exec, exec, s[12:13]
	v_lshrrev_b32_e32 v42, 16, v40
	v_cmp_ne_u16_sdwa s[14:15], v42, v43 src0_sel:BYTE_0 src1_sel:DWORD
	s_and_saveexec_b64 s[12:13], s[14:15]
	s_cbranch_execz .LBB959_567
; %bb.562:                              ;   in Loop: Header=BB959_213 Depth=1
	v_cmp_ne_u16_sdwa s[16:17], v42, s9 src0_sel:BYTE_0 src1_sel:DWORD
	v_mov_b32_e32 v47, 0xffff8000
	s_and_saveexec_b64 s[14:15], s[16:17]
	s_cbranch_execz .LBB959_566
; %bb.563:                              ;   in Loop: Header=BB959_213 Depth=1
	v_bfe_u32 v48, v40, 16, 7
	v_cmp_ne_u32_e32 vcc, s21, v48
	v_mov_b32_e32 v47, 0x7f80
	s_and_saveexec_b64 s[16:17], vcc
	s_cbranch_execz .LBB959_565
; %bb.564:                              ;   in Loop: Header=BB959_213 Depth=1
	v_and_b32_e32 v47, 7, v42
	v_ffbh_u32_e32 v50, v47
	v_min_u32_e32 v52, 32, v50
	v_subrev_u32_e32 v50, 28, v52
	v_lshlrev_b64 v[50:51], v50, v[42:43]
	v_lshrrev_b32_e32 v49, 3, v48
	v_sub_u32_e32 v51, 29, v52
	v_and_b32_e32 v50, 7, v50
	v_cmp_gt_u32_e32 vcc, 8, v48
	v_cndmask_b32_e32 v48, v49, v51, vcc
	v_cndmask_b32_e32 v47, v47, v50, vcc
	v_lshlrev_b32_e32 v42, 24, v42
	v_lshlrev_b32_e32 v47, 20, v47
	v_and_b32_e32 v42, 0x80000000, v42
	v_lshl_add_u32 v48, v48, 23, v45
	v_or3_b32 v42, v42, v48, v47
	v_lshrrev_b32_e32 v47, 16, v42
.LBB959_565:                            ;   in Loop: Header=BB959_213 Depth=1
	s_or_b64 exec, exec, s[16:17]
.LBB959_566:                            ;   in Loop: Header=BB959_213 Depth=1
	s_or_b64 exec, exec, s[14:15]
.LBB959_567:                            ;   in Loop: Header=BB959_213 Depth=1
	s_or_b64 exec, exec, s[12:13]
	v_cmp_lt_u32_e32 vcc, s22, v40
	v_mov_b32_e32 v48, 0
	v_mov_b32_e32 v49, 0
	s_and_saveexec_b64 s[12:13], vcc
	s_cbranch_execz .LBB959_573
; %bb.568:                              ;   in Loop: Header=BB959_213 Depth=1
	v_lshrrev_b32_e32 v42, 24, v40
	v_cmp_ne_u32_e32 vcc, s9, v42
	v_mov_b32_e32 v49, 0xffff8000
	s_and_saveexec_b64 s[14:15], vcc
	s_cbranch_execz .LBB959_572
; %bb.569:                              ;   in Loop: Header=BB959_213 Depth=1
	v_bfe_u32 v40, v40, 24, 7
	v_cmp_ne_u32_e32 vcc, s21, v40
	v_mov_b32_e32 v49, 0x7f80
	s_and_saveexec_b64 s[16:17], vcc
	s_cbranch_execz .LBB959_571
; %bb.570:                              ;   in Loop: Header=BB959_213 Depth=1
	v_and_b32_e32 v49, 7, v42
	v_ffbh_u32_e32 v50, v49
	v_min_u32_e32 v53, 32, v50
	v_subrev_u32_e32 v50, 28, v53
	v_lshlrev_b64 v[50:51], v50, v[42:43]
	v_lshrrev_b32_e32 v52, 3, v40
	v_sub_u32_e32 v51, 29, v53
	v_and_b32_e32 v50, 7, v50
	v_cmp_gt_u32_e32 vcc, 8, v40
	v_cndmask_b32_e32 v40, v52, v51, vcc
	v_cndmask_b32_e32 v49, v49, v50, vcc
	v_lshlrev_b32_e32 v42, 24, v42
	v_lshlrev_b32_e32 v49, 20, v49
	v_and_b32_e32 v42, 0x80000000, v42
	v_lshl_add_u32 v40, v40, 23, v45
	v_or3_b32 v40, v42, v40, v49
	v_lshrrev_b32_e32 v49, 16, v40
.LBB959_571:                            ;   in Loop: Header=BB959_213 Depth=1
	s_or_b64 exec, exec, s[16:17]
.LBB959_572:                            ;   in Loop: Header=BB959_213 Depth=1
	s_or_b64 exec, exec, s[14:15]
.LBB959_573:                            ;   in Loop: Header=BB959_213 Depth=1
	s_or_b64 exec, exec, s[12:13]
	s_waitcnt vmcnt(0)
	v_cmp_ne_u16_sdwa s[14:15], v38, v43 src0_sel:BYTE_0 src1_sel:DWORD
	s_and_saveexec_b64 s[12:13], s[14:15]
	s_cbranch_execz .LBB959_579
; %bb.574:                              ;   in Loop: Header=BB959_213 Depth=1
	v_cmp_ne_u16_sdwa s[16:17], v38, s9 src0_sel:BYTE_0 src1_sel:DWORD
	v_mov_b32_e32 v48, 0xffff8000
	s_and_saveexec_b64 s[14:15], s[16:17]
	s_cbranch_execz .LBB959_578
; %bb.575:                              ;   in Loop: Header=BB959_213 Depth=1
	v_and_b32_e32 v40, 0x7f, v38
	v_cmp_ne_u32_e32 vcc, s21, v40
	v_mov_b32_e32 v48, 0x7f80
	s_and_saveexec_b64 s[16:17], vcc
	s_cbranch_execz .LBB959_577
; %bb.576:                              ;   in Loop: Header=BB959_213 Depth=1
	v_and_b32_e32 v42, 7, v38
	v_ffbh_u32_e32 v50, v42
	v_min_u32_e32 v52, 32, v50
	v_subrev_u32_e32 v50, 28, v52
	v_lshlrev_b64 v[50:51], v50, v[38:39]
	v_lshrrev_b32_e32 v48, 3, v40
	v_sub_u32_e32 v51, 29, v52
	v_and_b32_e32 v50, 7, v50
	v_cmp_gt_u32_e32 vcc, 8, v40
	v_cndmask_b32_e32 v40, v48, v51, vcc
	v_cndmask_b32_e32 v42, v42, v50, vcc
	v_lshlrev_b32_e32 v48, 24, v38
	v_lshlrev_b32_e32 v42, 20, v42
	v_and_b32_e32 v48, 0x80000000, v48
	v_lshl_add_u32 v40, v40, 23, v45
	v_or3_b32 v40, v48, v40, v42
	v_lshrrev_b32_e32 v48, 16, v40
.LBB959_577:                            ;   in Loop: Header=BB959_213 Depth=1
	s_or_b64 exec, exec, s[16:17]
.LBB959_578:                            ;   in Loop: Header=BB959_213 Depth=1
	s_or_b64 exec, exec, s[14:15]
.LBB959_579:                            ;   in Loop: Header=BB959_213 Depth=1
	s_or_b64 exec, exec, s[12:13]
	v_lshrrev_b16_e32 v40, 8, v38
	v_cmp_ne_u16_e32 vcc, 0, v40
	v_mov_b32_e32 v50, 0
	v_mov_b32_e32 v42, 0
	s_and_saveexec_b64 s[12:13], vcc
	s_cbranch_execz .LBB959_585
; %bb.580:                              ;   in Loop: Header=BB959_213 Depth=1
	v_cmp_ne_u16_e32 vcc, s9, v40
	v_mov_b32_e32 v42, 0xffff8000
	s_and_saveexec_b64 s[14:15], vcc
	s_cbranch_execz .LBB959_584
; %bb.581:                              ;   in Loop: Header=BB959_213 Depth=1
	v_and_b32_e32 v51, 0x7f, v40
	v_cmp_ne_u32_e32 vcc, s21, v51
	v_mov_b32_e32 v42, 0x7f80
	s_and_saveexec_b64 s[16:17], vcc
	s_cbranch_execz .LBB959_583
; %bb.582:                              ;   in Loop: Header=BB959_213 Depth=1
	v_and_b32_e32 v42, 7, v40
	v_ffbh_u32_e32 v52, v42
	v_min_u32_e32 v63, 32, v52
	v_subrev_u32_e32 v52, 28, v63
	v_lshlrev_b64 v[52:53], v52, v[40:41]
	v_lshrrev_b32_e32 v62, 3, v51
	v_sub_u32_e32 v40, 29, v63
	v_and_b32_e32 v52, 7, v52
	v_cmp_gt_u32_e32 vcc, 8, v51
	v_cndmask_b32_e32 v40, v62, v40, vcc
	v_cndmask_b32_e32 v42, v42, v52, vcc
	v_lshlrev_b32_e32 v51, 16, v38
	v_lshlrev_b32_e32 v42, 20, v42
	v_and_b32_e32 v51, 0x80000000, v51
	v_lshl_add_u32 v40, v40, 23, v45
	v_or3_b32 v40, v51, v40, v42
	v_lshrrev_b32_e32 v42, 16, v40
.LBB959_583:                            ;   in Loop: Header=BB959_213 Depth=1
	s_or_b64 exec, exec, s[16:17]
.LBB959_584:                            ;   in Loop: Header=BB959_213 Depth=1
	s_or_b64 exec, exec, s[14:15]
.LBB959_585:                            ;   in Loop: Header=BB959_213 Depth=1
	s_or_b64 exec, exec, s[12:13]
	v_lshrrev_b32_e32 v40, 16, v38
	v_cmp_ne_u16_sdwa s[14:15], v40, v43 src0_sel:BYTE_0 src1_sel:DWORD
	s_and_saveexec_b64 s[12:13], s[14:15]
	s_cbranch_execz .LBB959_591
; %bb.586:                              ;   in Loop: Header=BB959_213 Depth=1
	v_cmp_ne_u16_sdwa s[16:17], v40, s9 src0_sel:BYTE_0 src1_sel:DWORD
	v_mov_b32_e32 v50, 0xffff8000
	s_and_saveexec_b64 s[14:15], s[16:17]
	s_cbranch_execz .LBB959_590
; %bb.587:                              ;   in Loop: Header=BB959_213 Depth=1
	v_bfe_u32 v51, v38, 16, 7
	v_cmp_ne_u32_e32 vcc, s21, v51
	v_mov_b32_e32 v50, 0x7f80
	s_and_saveexec_b64 s[16:17], vcc
	s_cbranch_execz .LBB959_589
; %bb.588:                              ;   in Loop: Header=BB959_213 Depth=1
	v_and_b32_e32 v50, 7, v40
	v_ffbh_u32_e32 v52, v50
	v_min_u32_e32 v63, 32, v52
	v_subrev_u32_e32 v52, 28, v63
	v_lshlrev_b64 v[52:53], v52, v[40:41]
	v_lshrrev_b32_e32 v62, 3, v51
	v_sub_u32_e32 v53, 29, v63
	v_and_b32_e32 v52, 7, v52
	v_cmp_gt_u32_e32 vcc, 8, v51
	v_cndmask_b32_e32 v51, v62, v53, vcc
	v_cndmask_b32_e32 v50, v50, v52, vcc
	v_lshlrev_b32_e32 v40, 24, v40
	v_lshlrev_b32_e32 v50, 20, v50
	v_and_b32_e32 v40, 0x80000000, v40
	v_lshl_add_u32 v51, v51, 23, v45
	v_or3_b32 v40, v40, v51, v50
	v_lshrrev_b32_e32 v50, 16, v40
.LBB959_589:                            ;   in Loop: Header=BB959_213 Depth=1
	s_or_b64 exec, exec, s[16:17]
.LBB959_590:                            ;   in Loop: Header=BB959_213 Depth=1
	s_or_b64 exec, exec, s[14:15]
.LBB959_591:                            ;   in Loop: Header=BB959_213 Depth=1
	s_or_b64 exec, exec, s[12:13]
	v_cmp_lt_u32_e32 vcc, s22, v38
	v_mov_b32_e32 v51, 0
	s_and_saveexec_b64 s[12:13], vcc
	s_cbranch_execz .LBB959_212
; %bb.592:                              ;   in Loop: Header=BB959_213 Depth=1
	v_lshrrev_b32_e32 v40, 24, v38
	v_cmp_ne_u32_e32 vcc, s9, v40
	v_mov_b32_e32 v51, 0xffff8000
	s_and_saveexec_b64 s[14:15], vcc
	s_cbranch_execz .LBB959_211
; %bb.593:                              ;   in Loop: Header=BB959_213 Depth=1
	v_bfe_u32 v38, v38, 24, 7
	v_cmp_ne_u32_e32 vcc, s21, v38
	v_mov_b32_e32 v51, 0x7f80
	s_and_saveexec_b64 s[16:17], vcc
	s_cbranch_execz .LBB959_210
; %bb.594:                              ;   in Loop: Header=BB959_213 Depth=1
	v_and_b32_e32 v51, 7, v40
	v_ffbh_u32_e32 v52, v51
	v_min_u32_e32 v63, 32, v52
	v_subrev_u32_e32 v52, 28, v63
	v_lshlrev_b64 v[52:53], v52, v[40:41]
	v_lshrrev_b32_e32 v62, 3, v38
	v_sub_u32_e32 v53, 29, v63
	v_and_b32_e32 v52, 7, v52
	v_cmp_gt_u32_e32 vcc, 8, v38
	v_cndmask_b32_e32 v38, v62, v53, vcc
	v_cndmask_b32_e32 v51, v51, v52, vcc
	v_lshlrev_b32_e32 v40, 24, v40
	v_lshlrev_b32_e32 v51, 20, v51
	v_and_b32_e32 v40, 0x80000000, v40
	v_lshl_add_u32 v38, v38, 23, v45
	v_or3_b32 v38, v40, v38, v51
	v_lshrrev_b32_e32 v51, 16, v38
	s_branch .LBB959_210
.LBB959_595:
	s_barrier
	buffer_load_dword v2, off, s[0:3], 0 offset:320
	buffer_load_dword v5, off, s[0:3], 0 offset:332
	;; [unrolled: 1-line block ×4, first 2 shown]
	v_cmp_gt_u32_e32 vcc, 64, v0
	v_cmp_gt_u32_e64 s[4:5], 32, v57
	s_and_b64 s[4:5], vcc, s[4:5]
	s_waitcnt vmcnt(0)
	ds_write2st64_b64 v39, v[2:3], v[4:5] offset1:1
	s_waitcnt lgkmcnt(0)
	s_barrier
	s_and_saveexec_b64 s[6:7], s[4:5]
	s_cbranch_execz .LBB959_597
; %bb.596:
	s_mul_i32 s4, s18, s8
	s_lshl_b32 s6, s50, 7
	s_mul_hi_u32 s5, s4, s6
	s_mul_i32 s4, s4, s6
	v_lshlrev_b32_e32 v4, 6, v55
	s_lshl_b64 s[4:5], s[4:5], 1
	v_lshl_or_b32 v0, v0, 10, v4
	s_add_u32 s7, s48, s4
	v_lshlrev_b32_e32 v2, 5, v54
	v_and_b32_e32 v3, 16, v56
	v_and_b32_e32 v0, 0x1a00, v0
	s_addc_u32 s8, s49, s5
	s_lshl_b32 s4, s24, 7
	s_mov_b32 s5, 0
	v_or3_b32 v0, v0, v2, v3
	s_lshl_b64 s[4:5], s[4:5], 1
	ds_read_b128 v[2:5], v0
	s_add_u32 s7, s7, s4
	v_or_b32_e32 v0, s25, v54
	s_addc_u32 s8, s8, s5
	v_mad_u64_u32 v[6:7], s[4:5], s6, v0, 0
	v_lshlrev_b64 v[6:7], 1, v[6:7]
	v_mov_b32_e32 v0, s8
	v_add_co_u32_e32 v6, vcc, s7, v6
	v_addc_co_u32_e32 v7, vcc, v0, v7, vcc
	v_add_co_u32_e32 v0, vcc, v6, v1
	v_addc_co_u32_e32 v1, vcc, 0, v7, vcc
	s_waitcnt lgkmcnt(0)
	global_store_dwordx4 v[0:1], v[2:5], off
.LBB959_597:
	s_endpgm
	.section	.rodata,"a",@progbits
	.p2align	6, 0x0
	.amdhsa_kernel _Z39paged_attention_ll4mi_QKV_mfma16_kernelI14__hip_bfloat16hLN4vllm18Fp8KVCacheDataTypeE1ES0_Li32ELi128ELi256ELb0ELi2EL8MFMAType0EEvPKT_PKT0_S9_ifPKiSB_SB_iPKfiiiPfSE_PS4_PT2_iSD_SD_
		.amdhsa_group_segment_fixed_size 8192
		.amdhsa_private_segment_fixed_size 352
		.amdhsa_kernarg_size 400
		.amdhsa_user_sgpr_count 8
		.amdhsa_user_sgpr_private_segment_buffer 1
		.amdhsa_user_sgpr_dispatch_ptr 0
		.amdhsa_user_sgpr_queue_ptr 0
		.amdhsa_user_sgpr_kernarg_segment_ptr 1
		.amdhsa_user_sgpr_dispatch_id 0
		.amdhsa_user_sgpr_flat_scratch_init 1
		.amdhsa_user_sgpr_kernarg_preload_length 0
		.amdhsa_user_sgpr_kernarg_preload_offset 0
		.amdhsa_user_sgpr_private_segment_size 0
		.amdhsa_uses_dynamic_stack 0
		.amdhsa_system_sgpr_private_segment_wavefront_offset 1
		.amdhsa_system_sgpr_workgroup_id_x 1
		.amdhsa_system_sgpr_workgroup_id_y 1
		.amdhsa_system_sgpr_workgroup_id_z 1
		.amdhsa_system_sgpr_workgroup_info 0
		.amdhsa_system_vgpr_workitem_id 0
		.amdhsa_next_free_vgpr 80
		.amdhsa_next_free_sgpr 53
		.amdhsa_accum_offset 80
		.amdhsa_reserve_vcc 1
		.amdhsa_reserve_flat_scratch 0
		.amdhsa_float_round_mode_32 0
		.amdhsa_float_round_mode_16_64 0
		.amdhsa_float_denorm_mode_32 3
		.amdhsa_float_denorm_mode_16_64 3
		.amdhsa_dx10_clamp 1
		.amdhsa_ieee_mode 1
		.amdhsa_fp16_overflow 0
		.amdhsa_tg_split 0
		.amdhsa_exception_fp_ieee_invalid_op 0
		.amdhsa_exception_fp_denorm_src 0
		.amdhsa_exception_fp_ieee_div_zero 0
		.amdhsa_exception_fp_ieee_overflow 0
		.amdhsa_exception_fp_ieee_underflow 0
		.amdhsa_exception_fp_ieee_inexact 0
		.amdhsa_exception_int_div_zero 0
	.end_amdhsa_kernel
	.section	.text._Z39paged_attention_ll4mi_QKV_mfma16_kernelI14__hip_bfloat16hLN4vllm18Fp8KVCacheDataTypeE1ES0_Li32ELi128ELi256ELb0ELi2EL8MFMAType0EEvPKT_PKT0_S9_ifPKiSB_SB_iPKfiiiPfSE_PS4_PT2_iSD_SD_,"axG",@progbits,_Z39paged_attention_ll4mi_QKV_mfma16_kernelI14__hip_bfloat16hLN4vllm18Fp8KVCacheDataTypeE1ES0_Li32ELi128ELi256ELb0ELi2EL8MFMAType0EEvPKT_PKT0_S9_ifPKiSB_SB_iPKfiiiPfSE_PS4_PT2_iSD_SD_,comdat
.Lfunc_end959:
	.size	_Z39paged_attention_ll4mi_QKV_mfma16_kernelI14__hip_bfloat16hLN4vllm18Fp8KVCacheDataTypeE1ES0_Li32ELi128ELi256ELb0ELi2EL8MFMAType0EEvPKT_PKT0_S9_ifPKiSB_SB_iPKfiiiPfSE_PS4_PT2_iSD_SD_, .Lfunc_end959-_Z39paged_attention_ll4mi_QKV_mfma16_kernelI14__hip_bfloat16hLN4vllm18Fp8KVCacheDataTypeE1ES0_Li32ELi128ELi256ELb0ELi2EL8MFMAType0EEvPKT_PKT0_S9_ifPKiSB_SB_iPKfiiiPfSE_PS4_PT2_iSD_SD_
                                        ; -- End function
	.section	.AMDGPU.csdata,"",@progbits
; Kernel info:
; codeLenInByte = 22192
; NumSgprs: 57
; NumVgprs: 80
; NumAgprs: 0
; TotalNumVgprs: 80
; ScratchSize: 352
; MemoryBound: 0
; FloatMode: 240
; IeeeMode: 1
; LDSByteSize: 8192 bytes/workgroup (compile time only)
; SGPRBlocks: 7
; VGPRBlocks: 9
; NumSGPRsForWavesPerEU: 57
; NumVGPRsForWavesPerEU: 80
; AccumOffset: 80
; Occupancy: 6
; WaveLimiterHint : 1
; COMPUTE_PGM_RSRC2:SCRATCH_EN: 1
; COMPUTE_PGM_RSRC2:USER_SGPR: 8
; COMPUTE_PGM_RSRC2:TRAP_HANDLER: 0
; COMPUTE_PGM_RSRC2:TGID_X_EN: 1
; COMPUTE_PGM_RSRC2:TGID_Y_EN: 1
; COMPUTE_PGM_RSRC2:TGID_Z_EN: 1
; COMPUTE_PGM_RSRC2:TIDIG_COMP_CNT: 0
; COMPUTE_PGM_RSRC3_GFX90A:ACCUM_OFFSET: 19
; COMPUTE_PGM_RSRC3_GFX90A:TG_SPLIT: 0
	.section	.text._Z39paged_attention_ll4mi_QKV_mfma16_kernelI14__hip_bfloat16hLN4vllm18Fp8KVCacheDataTypeE1ES0_Li32ELi128ELi256ELb0ELi3EL8MFMAType0EEvPKT_PKT0_S9_ifPKiSB_SB_iPKfiiiPfSE_PS4_PT2_iSD_SD_,"axG",@progbits,_Z39paged_attention_ll4mi_QKV_mfma16_kernelI14__hip_bfloat16hLN4vllm18Fp8KVCacheDataTypeE1ES0_Li32ELi128ELi256ELb0ELi3EL8MFMAType0EEvPKT_PKT0_S9_ifPKiSB_SB_iPKfiiiPfSE_PS4_PT2_iSD_SD_,comdat
	.protected	_Z39paged_attention_ll4mi_QKV_mfma16_kernelI14__hip_bfloat16hLN4vllm18Fp8KVCacheDataTypeE1ES0_Li32ELi128ELi256ELb0ELi3EL8MFMAType0EEvPKT_PKT0_S9_ifPKiSB_SB_iPKfiiiPfSE_PS4_PT2_iSD_SD_ ; -- Begin function _Z39paged_attention_ll4mi_QKV_mfma16_kernelI14__hip_bfloat16hLN4vllm18Fp8KVCacheDataTypeE1ES0_Li32ELi128ELi256ELb0ELi3EL8MFMAType0EEvPKT_PKT0_S9_ifPKiSB_SB_iPKfiiiPfSE_PS4_PT2_iSD_SD_
	.globl	_Z39paged_attention_ll4mi_QKV_mfma16_kernelI14__hip_bfloat16hLN4vllm18Fp8KVCacheDataTypeE1ES0_Li32ELi128ELi256ELb0ELi3EL8MFMAType0EEvPKT_PKT0_S9_ifPKiSB_SB_iPKfiiiPfSE_PS4_PT2_iSD_SD_
	.p2align	8
	.type	_Z39paged_attention_ll4mi_QKV_mfma16_kernelI14__hip_bfloat16hLN4vllm18Fp8KVCacheDataTypeE1ES0_Li32ELi128ELi256ELb0ELi3EL8MFMAType0EEvPKT_PKT0_S9_ifPKiSB_SB_iPKfiiiPfSE_PS4_PT2_iSD_SD_,@function
_Z39paged_attention_ll4mi_QKV_mfma16_kernelI14__hip_bfloat16hLN4vllm18Fp8KVCacheDataTypeE1ES0_Li32ELi128ELi256ELb0ELi3EL8MFMAType0EEvPKT_PKT0_S9_ifPKiSB_SB_iPKfiiiPfSE_PS4_PT2_iSD_SD_: ; @_Z39paged_attention_ll4mi_QKV_mfma16_kernelI14__hip_bfloat16hLN4vllm18Fp8KVCacheDataTypeE1ES0_Li32ELi128ELi256ELb0ELi3EL8MFMAType0EEvPKT_PKT0_S9_ifPKiSB_SB_iPKfiiiPfSE_PS4_PT2_iSD_SD_
; %bb.0:
	s_load_dwordx2 s[6:7], s[4:5], 0x30
	s_add_u32 s0, s0, s11
	s_addc_u32 s1, s1, 0
	s_mov_b32 s24, s9
	s_mov_b64 s[12:13], 0
	s_waitcnt lgkmcnt(0)
	s_cmp_lg_u64 s[6:7], 0
	s_cselect_b64 s[16:17], -1, 0
	s_and_b64 vcc, exec, s[16:17]
	s_cbranch_vccz .LBB960_7
; %bb.1:
	s_add_i32 s14, s8, 1
	s_mov_b32 s15, 0
	s_lshl_b64 s[18:19], s[14:15], 2
	s_add_u32 s18, s6, s18
	s_mov_b32 s9, s15
	s_addc_u32 s19, s7, s19
	s_lshl_b64 s[14:15], s[8:9], 2
	s_add_u32 s14, s6, s14
	s_addc_u32 s15, s7, s15
	s_load_dword s11, s[18:19], 0x0
	s_load_dword s20, s[14:15], 0x0
	s_waitcnt lgkmcnt(0)
	s_sub_i32 s11, s11, s20
	s_cmp_eq_u32 s11, 1
	s_cselect_b64 s[14:15], -1, 0
	s_andn2_b64 vcc, exec, s[12:13]
	s_cbranch_vccnz .LBB960_3
.LBB960_2:
	s_mov_b32 s9, 0
	s_mov_b64 s[14:15], -1
.LBB960_3:
	s_andn2_b64 vcc, exec, s[14:15]
	s_cbranch_vccnz .LBB960_597
; %bb.4:
	s_load_dwordx2 s[12:13], s[4:5], 0x28
	s_lshl_b64 s[18:19], s[8:9], 2
	s_waitcnt lgkmcnt(0)
	s_add_u32 s12, s12, s18
	s_addc_u32 s13, s13, s19
	s_load_dword s33, s[12:13], 0x0
	s_lshl_b32 s20, s24, 8
	s_waitcnt lgkmcnt(0)
	s_cmp_ge_i32 s20, s33
	s_cbranch_scc1 .LBB960_597
; %bb.5:
	s_add_i32 s14, s33, 31
	s_load_dwordx2 s[12:13], s[4:5], 0x20
	s_load_dword s11, s[4:5], 0x38
	s_ashr_i32 s15, s14, 31
	v_and_b32_e32 v1, 0xcf, v0
	s_lshr_b32 s15, s15, 27
	v_add_u32_e32 v1, s20, v1
	s_add_i32 s14, s14, s15
	v_ashrrev_i32_e32 v2, 31, v1
	s_ashr_i32 s22, s14, 5
	v_lshrrev_b32_e32 v10, 27, v2
	s_add_i32 s22, s22, -1
	v_add_u32_e32 v2, v1, v10
	s_waitcnt lgkmcnt(0)
	s_mul_i32 s14, s8, s11
	s_mov_b32 s15, 0
	v_ashrrev_i32_e32 v2, 5, v2
	v_mov_b32_e32 v11, s22
	v_cmp_gt_i32_e32 vcc, s33, v1
	s_lshl_b64 s[14:15], s[14:15], 2
	v_cndmask_b32_e32 v2, v11, v2, vcc
	s_add_u32 s11, s12, s14
	v_ashrrev_i32_e32 v3, 31, v2
	s_addc_u32 s21, s13, s15
	v_lshlrev_b64 v[2:3], 2, v[2:3]
	v_mov_b32_e32 v5, s21
	v_add_co_u32_e32 v4, vcc, s11, v2
	v_or_b32_e32 v2, 16, v1
	v_addc_co_u32_e32 v5, vcc, v5, v3, vcc
	v_add_u32_e32 v3, v2, v10
	v_ashrrev_i32_e32 v3, 5, v3
	v_cmp_gt_i32_e32 vcc, s33, v2
	v_cndmask_b32_e32 v2, v11, v3, vcc
	v_ashrrev_i32_e32 v3, 31, v2
	v_lshlrev_b64 v[2:3], 2, v[2:3]
	v_mov_b32_e32 v7, s21
	v_add_co_u32_e32 v6, vcc, s11, v2
	v_or_b32_e32 v2, 32, v1
	v_addc_co_u32_e32 v7, vcc, v7, v3, vcc
	v_add_u32_e32 v3, v2, v10
	v_ashrrev_i32_e32 v3, 5, v3
	v_cmp_gt_i32_e32 vcc, s33, v2
	v_cndmask_b32_e32 v2, v11, v3, vcc
	v_ashrrev_i32_e32 v3, 31, v2
	;; [unrolled: 10-line block ×3, first 2 shown]
	v_lshlrev_b64 v[2:3], 2, v[2:3]
	v_mov_b32_e32 v1, s21
	v_add_co_u32_e32 v10, vcc, s11, v2
	v_addc_co_u32_e32 v11, vcc, v1, v3, vcc
	global_load_dword v2, v[4:5], off
	global_load_dword v13, v[6:7], off
	;; [unrolled: 1-line block ×4, first 2 shown]
	s_load_dwordx4 s[12:15], s[4:5], 0x8
	s_andn2_b64 vcc, exec, s[16:17]
	s_cbranch_vccnz .LBB960_8
; %bb.6:
	s_add_u32 s6, s6, s18
	s_addc_u32 s7, s7, s19
	s_load_dword s16, s[6:7], 0x0
	s_branch .LBB960_9
.LBB960_7:
	s_mov_b64 s[14:15], 0
	s_branch .LBB960_2
.LBB960_8:
	s_mov_b32 s16, s8
.LBB960_9:
	s_load_dwordx2 s[48:49], s[4:5], 0x68
	s_load_dwordx8 s[40:47], s[4:5], 0x48
	v_lshrrev_b32_e32 v63, 6, v0
	v_bfe_u32 v55, v0, 4, 2
	v_and_b32_e32 v56, 15, v0
	s_mul_i32 s25, s10, 3
	v_lshl_or_b32 v3, v63, 2, v55
	v_lshlrev_b32_e32 v1, 3, v56
	v_add_u32_e32 v54, s25, v55
	v_cmp_gt_u32_e32 vcc, 3, v3
	v_lshlrev_b32_e32 v1, 1, v1
	v_lshlrev_b32_e32 v57, 4, v0
	s_and_saveexec_b64 s[6:7], vcc
	s_cbranch_execz .LBB960_11
; %bb.10:
	s_load_dwordx2 s[18:19], s[4:5], 0x0
	s_waitcnt lgkmcnt(0)
	s_ashr_i32 s17, s40, 31
	s_mul_hi_u32 s23, s16, s40
	s_mul_i32 s17, s16, s17
	s_add_i32 s17, s23, s17
	s_mul_i32 s16, s16, s40
	s_lshl_b64 s[16:17], s[16:17], 1
	v_lshlrev_b32_e32 v4, 7, v54
	s_add_u32 s16, s18, s16
	v_ashrrev_i32_e32 v5, 31, v4
	s_addc_u32 s17, s19, s17
	v_lshlrev_b64 v[4:5], 1, v[4:5]
	v_mov_b32_e32 v6, s17
	v_add_co_u32_e32 v4, vcc, s16, v4
	v_addc_co_u32_e32 v5, vcc, v6, v5, vcc
	v_add_co_u32_e32 v4, vcc, v4, v1
	v_addc_co_u32_e32 v5, vcc, 0, v5, vcc
	global_load_dwordx4 v[4:7], v[4:5], off
	v_lshlrev_b32_e32 v9, 8, v0
	v_lshlrev_b32_e32 v8, 8, v56
	v_and_b32_e32 v9, 0x600, v9
	s_movk_i32 s16, 0x800
	v_and_or_b32 v8, v8, s16, v9
	v_lshlrev_b32_e32 v3, 5, v3
	v_and_b32_e32 v9, 16, v57
	v_or3_b32 v3, v8, v3, v9
	s_waitcnt vmcnt(0)
	ds_write_b128 v3, v[4:7]
.LBB960_11:
	s_or_b64 exec, exec, s[6:7]
	s_waitcnt lgkmcnt(0)
	s_mul_i32 s10, s10, s42
	s_add_u32 s6, s12, s10
	s_addc_u32 s7, s13, 0
	v_pk_mov_b32 v[22:23], s[6:7], s[6:7] op_sel:[0,1]
	s_waitcnt vmcnt(3)
	v_mad_i64_i32 v[2:3], s[6:7], v2, s41, v[22:23]
	v_lshlrev_b32_e32 v18, 4, v56
	v_and_b32_e32 v6, 48, v0
	v_add_co_u32_e32 v2, vcc, v2, v18
	v_lshlrev_b32_e32 v25, 5, v6
	v_addc_co_u32_e32 v3, vcc, 0, v3, vcc
	s_ashr_i32 s6, s20, 31
	v_add_co_u32_e32 v10, vcc, v2, v25
	v_or_b32_e32 v16, s20, v6
	s_lshr_b32 s6, s6, 27
	v_addc_co_u32_e32 v11, vcc, 0, v3, vcc
	v_add_u32_e32 v6, s6, v16
	v_ashrrev_i32_e32 v6, 5, v6
	v_mov_b32_e32 v17, s22
	v_cmp_gt_i32_e32 vcc, s33, v16
	v_cndmask_b32_e32 v6, v17, v6, vcc
	v_ashrrev_i32_e32 v7, 31, v6
	v_lshlrev_b64 v[6:7], 2, v[6:7]
	v_mov_b32_e32 v8, s21
	v_add_co_u32_e32 v6, vcc, s11, v6
	v_addc_co_u32_e32 v7, vcc, v8, v7, vcc
	v_or_b32_e32 v8, 64, v16
	v_add_u32_e32 v9, s6, v8
	v_ashrrev_i32_e32 v9, 5, v9
	v_cmp_gt_i32_e32 vcc, s33, v8
	v_cndmask_b32_e32 v8, v17, v9, vcc
	v_ashrrev_i32_e32 v9, 31, v8
	s_load_dwordx2 s[50:51], s[4:5], 0x94
	s_waitcnt lgkmcnt(0)
	s_barrier
	global_load_dwordx4 v[2:5], v[10:11], off
	v_lshlrev_b64 v[8:9], 2, v[8:9]
	v_mov_b32_e32 v14, s21
	v_add_co_u32_e32 v8, vcc, s11, v8
	v_addc_co_u32_e32 v9, vcc, v14, v9, vcc
	v_or_b32_e32 v14, 0x80, v16
	v_add_u32_e32 v15, s6, v14
	v_ashrrev_i32_e32 v15, 5, v15
	v_cmp_gt_i32_e32 vcc, s33, v14
	v_cndmask_b32_e32 v14, v17, v15, vcc
	v_ashrrev_i32_e32 v15, 31, v14
	v_lshlrev_b64 v[14:15], 2, v[14:15]
	v_mov_b32_e32 v19, s21
	v_add_co_u32_e32 v14, vcc, s11, v14
	v_addc_co_u32_e32 v15, vcc, v19, v15, vcc
	global_load_dword v50, v[6:7], off
	global_load_dword v58, v[8:9], off
	;; [unrolled: 1-line block ×3, first 2 shown]
	v_or_b32_e32 v6, 0xc0, v16
	v_add_u32_e32 v7, s6, v6
	v_ashrrev_i32_e32 v7, 5, v7
	v_cmp_gt_i32_e32 vcc, s33, v6
	v_cndmask_b32_e32 v6, v17, v7, vcc
	v_ashrrev_i32_e32 v7, 31, v6
	v_lshlrev_b64 v[6:7], 2, v[6:7]
	v_mov_b32_e32 v8, s21
	v_add_co_u32_e32 v14, vcc, s11, v6
	v_addc_co_u32_e32 v15, vcc, v8, v7, vcc
	global_load_dword v61, v[14:15], off
	global_load_dwordx4 v[6:9], v[10:11], off offset:2048
	s_waitcnt vmcnt(8)
	v_mad_i64_i32 v[10:11], s[6:7], v13, s41, v[22:23]
	v_or_b32_e32 v26, 0x100, v18
	v_add_co_u32_e32 v10, vcc, v10, v26
	v_addc_co_u32_e32 v11, vcc, 0, v11, vcc
	v_add_co_u32_e32 v10, vcc, v10, v25
	v_addc_co_u32_e32 v11, vcc, 0, v11, vcc
	global_load_dwordx4 v[14:17], v[10:11], off
	v_lshl_or_b32 v64, v63, 4, v56
	v_lshlrev_b32_e32 v53, 5, v64
	s_waitcnt vmcnt(6)
	buffer_store_dword v5, off, s[0:3], 0 offset:12
	buffer_store_dword v4, off, s[0:3], 0 offset:8
	v_mad_i64_i32 v[4:5], s[6:7], v12, s41, v[22:23]
	v_add_co_u32_e32 v4, vcc, v4, v18
	v_addc_co_u32_e32 v5, vcc, 0, v5, vcc
	v_add_co_u32_e32 v4, vcc, v4, v25
	v_addc_co_u32_e32 v5, vcc, 0, v5, vcc
	global_load_dwordx4 v[38:41], v[10:11], off offset:2048
	s_nop 0
	global_load_dwordx4 v[10:13], v[4:5], off
	global_load_dwordx4 v[18:21], v[4:5], off offset:2048
	v_mad_i64_i32 v[4:5], s[6:7], v24, s41, v[22:23]
	v_add_co_u32_e32 v4, vcc, v4, v26
	v_addc_co_u32_e32 v5, vcc, 0, v5, vcc
	v_add_co_u32_e32 v4, vcc, v4, v25
	v_addc_co_u32_e32 v5, vcc, 0, v5, vcc
	s_add_u32 s6, s14, s10
	global_load_dwordx4 v[26:29], v[4:5], off
	global_load_dwordx4 v[22:25], v[4:5], off offset:2048
	s_addc_u32 s7, s15, 0
	v_and_b32_e32 v4, 16, v0
	v_mov_b32_e32 v5, s7
	v_add_co_u32_e32 v51, vcc, s6, v4
	v_addc_co_u32_e32 v52, vcc, 0, v5, vcc
	v_add_co_u32_e32 v4, vcc, v51, v53
	v_addc_co_u32_e32 v5, vcc, 0, v52, vcc
	s_waitcnt vmcnt(12)
	v_mad_i64_i32 v[30:31], s[6:7], v50, s41, v[4:5]
	s_waitcnt vmcnt(11)
	v_mad_i64_i32 v[34:35], s[6:7], v58, s41, v[4:5]
	;; [unrolled: 2-line block ×3, first 2 shown]
	global_load_dwordx4 v[30:33], v[30:31], off
	s_waitcnt vmcnt(10)
	v_mad_i64_i32 v[4:5], s[6:7], v61, s41, v[4:5]
	global_load_dwordx4 v[34:37], v[34:35], off
	s_nop 0
	global_load_dwordx4 v[46:49], v[42:43], off
	s_nop 0
	global_load_dwordx4 v[42:45], v[4:5], off
	v_or_b32_e32 v4, 0x800, v53
	v_add_co_u32_e32 v4, vcc, v51, v4
	v_addc_co_u32_e32 v5, vcc, 0, v52, vcc
	v_mad_i64_i32 v[50:51], s[6:7], v50, s41, v[4:5]
	buffer_store_dword v3, off, s[0:3], 0 offset:4
	buffer_store_dword v2, off, s[0:3], 0
	v_mad_i64_i32 v[2:3], s[6:7], v60, s41, v[4:5]
	global_load_dwordx4 v[50:53], v[50:51], off
	v_mad_i64_i32 v[58:59], s[6:7], v58, s41, v[4:5]
	global_load_dwordx4 v[70:73], v[2:3], off
	;; [unrolled: 2-line block ×3, first 2 shown]
	global_load_dwordx4 v[74:77], v[2:3], off
	v_mov_b32_e32 v2, 0x80
	s_waitcnt vmcnt(18)
	buffer_store_dword v9, off, s[0:3], 0 offset:28
	buffer_store_dword v8, off, s[0:3], 0 offset:24
	;; [unrolled: 1-line block ×4, first 2 shown]
	s_waitcnt vmcnt(21)
	buffer_store_dword v17, off, s[0:3], 0 offset:44
	buffer_store_dword v16, off, s[0:3], 0 offset:40
	;; [unrolled: 1-line block ×4, first 2 shown]
	s_load_dword s6, s[4:5], 0x1c
	s_load_dwordx4 s[40:43], s[4:5], 0x80
	v_add_u32_e32 v58, 16, v2
	s_waitcnt vmcnt(22)
	buffer_store_dword v41, off, s[0:3], 0 offset:60
	buffer_store_dword v40, off, s[0:3], 0 offset:56
	;; [unrolled: 1-line block ×4, first 2 shown]
	v_add_u32_e32 v62, 32, v2
	v_add_u32_e32 v39, 48, v2
	v_add_u32_e32 v61, 64, v2
	v_add_u32_e32 v41, 0x50, v2
	v_add_u32_e32 v60, 0x60, v2
	v_add_u32_e32 v59, 0x70, v2
	v_mul_lo_u16_e32 v2, 0x56, v56
	v_mov_b32_e32 v3, 3
	v_mul_lo_u16_sdwa v2, v2, v3 dst_sel:DWORD dst_unused:UNUSED_PAD src0_sel:BYTE_1 src1_sel:DWORD
	v_sub_u16_e32 v2, v56, v2
	v_mov_b32_e32 v3, 5
	v_lshlrev_b32_sdwa v2, v3, v2 dst_sel:DWORD dst_unused:UNUSED_PAD src0_sel:DWORD src1_sel:BYTE_0
	s_waitcnt vmcnt(25)
	buffer_store_dword v13, off, s[0:3], 0 offset:76
	buffer_store_dword v12, off, s[0:3], 0 offset:72
	buffer_store_dword v11, off, s[0:3], 0 offset:68
	buffer_store_dword v10, off, s[0:3], 0 offset:64
	v_lshl_add_u32 v14, v55, 9, v2
	ds_read_b128 v[2:5], v14
	ds_read_b128 v[6:9], v14 offset:16
	ds_read_b128 v[10:13], v14 offset:2048
	;; [unrolled: 1-line block ×3, first 2 shown]
	s_waitcnt vmcnt(28)
	buffer_store_dword v21, off, s[0:3], 0 offset:92
	buffer_store_dword v20, off, s[0:3], 0 offset:88
	buffer_store_dword v19, off, s[0:3], 0 offset:84
	buffer_store_dword v18, off, s[0:3], 0 offset:80
	s_waitcnt vmcnt(31)
	buffer_store_dword v29, off, s[0:3], 0 offset:108
	buffer_store_dword v28, off, s[0:3], 0 offset:104
	buffer_store_dword v27, off, s[0:3], 0 offset:100
	buffer_store_dword v26, off, s[0:3], 0 offset:96
	;; [unrolled: 5-line block ×9, first 2 shown]
	buffer_store_dword v73, off, s[0:3], 0 offset:220
	buffer_store_dword v72, off, s[0:3], 0 offset:216
	;; [unrolled: 1-line block ×4, first 2 shown]
	s_waitcnt vmcnt(56)
	buffer_store_dword v77, off, s[0:3], 0 offset:252
	s_waitcnt lgkmcnt(0)
	s_load_dword s4, s[40:41], 0x0
	v_mov_b32_e32 v18, s6
	v_and_b32_e32 v65, 63, v0
	s_mov_b32 s12, 0
	s_movk_i32 s13, 0x80
	s_waitcnt lgkmcnt(0)
	v_mul_f32_e32 v22, s4, v18
	v_mov_b32_e32 v24, v22
	v_mov_b32_e32 v25, v22
	;; [unrolled: 1-line block ×3, first 2 shown]
	s_movk_i32 s14, 0x7f
	s_mov_b32 s15, 0xffffff
	s_mov_b32 s16, 0x5040100
	v_mov_b32_e32 v29, 0x100
	v_mov_b32_e32 v31, 0
	v_bfrev_b32_e32 v33, 60
	buffer_store_dword v76, off, s[0:3], 0 offset:248
	buffer_store_dword v75, off, s[0:3], 0 offset:244
	;; [unrolled: 1-line block ×3, first 2 shown]
	s_branch .LBB960_15
.LBB960_12:                             ;   in Loop: Header=BB960_15 Depth=1
	s_or_b64 exec, exec, s[10:11]
.LBB960_13:                             ;   in Loop: Header=BB960_15 Depth=1
	s_or_b64 exec, exec, s[6:7]
.LBB960_14:                             ;   in Loop: Header=BB960_15 Depth=1
	s_or_b64 exec, exec, s[4:5]
	v_perm_b32 v43, v36, v32, s16
	v_perm_b32 v42, v23, v34, s16
	;; [unrolled: 1-line block ×4, first 2 shown]
	v_add_u32_e32 v26, s12, v29
	v_mfma_f32_16x16x16bf16_1k v[18:21], v[42:43], v[14:15], v[18:21]
	s_add_i32 s12, s12, 16
	v_mov_b32_e32 v23, v22
	s_cmp_eq_u32 s12, 64
	v_add_u32_e32 v27, 32, v27
	v_mfma_f32_16x16x16bf16_1k v[18:21], v[36:37], v[16:17], v[18:21]
	s_nop 7
	s_nop 2
	v_pk_mul_f32 v[18:19], v[24:25], v[18:19]
	v_pk_mul_f32 v[20:21], v[22:23], v[20:21]
	buffer_store_dword v19, v26, s[0:3], 0 offen offset:4
	buffer_store_dword v18, v26, s[0:3], 0 offen
	buffer_store_dword v21, v26, s[0:3], 0 offen offset:12
	buffer_store_dword v20, v26, s[0:3], 0 offen offset:8
	s_cbranch_scc1 .LBB960_205
.LBB960_15:                             ; =>This Inner Loop Header: Depth=1
	buffer_load_dword v20, v27, s[0:3], 0 offen
	buffer_load_dword v18, v27, s[0:3], 0 offen offset:4
	buffer_load_dword v28, v27, s[0:3], 0 offen offset:8
	;; [unrolled: 1-line block ×3, first 2 shown]
	v_mov_b32_e32 v19, 0
	s_waitcnt vmcnt(3)
	v_cmp_ne_u16_sdwa s[6:7], v20, v31 src0_sel:BYTE_0 src1_sel:DWORD
	s_and_saveexec_b64 s[4:5], s[6:7]
	s_cbranch_execz .LBB960_21
; %bb.16:                               ;   in Loop: Header=BB960_15 Depth=1
	v_cmp_ne_u16_sdwa s[10:11], v20, s13 src0_sel:BYTE_0 src1_sel:DWORD
	v_mov_b32_e32 v19, 0xffff8000
	s_and_saveexec_b64 s[6:7], s[10:11]
	s_cbranch_execz .LBB960_20
; %bb.17:                               ;   in Loop: Header=BB960_15 Depth=1
	v_and_b32_e32 v21, 0x7f, v20
	v_cmp_ne_u32_e32 vcc, s14, v21
	v_mov_b32_e32 v19, 0x7f80
	s_and_saveexec_b64 s[10:11], vcc
	s_cbranch_execz .LBB960_19
; %bb.18:                               ;   in Loop: Header=BB960_15 Depth=1
	v_and_b32_e32 v19, 7, v20
	v_ffbh_u32_e32 v30, v19
	v_min_u32_e32 v30, 32, v30
	v_subrev_u32_e32 v32, 28, v30
	v_lshlrev_b64 v[34:35], v32, v[20:21]
	v_lshrrev_b32_e32 v23, 3, v21
	v_sub_u32_e32 v30, 29, v30
	v_and_b32_e32 v32, 7, v34
	v_cmp_gt_u32_e32 vcc, 8, v21
	v_cndmask_b32_e32 v21, v23, v30, vcc
	v_cndmask_b32_e32 v19, v19, v32, vcc
	v_lshlrev_b32_e32 v23, 24, v20
	v_lshlrev_b32_e32 v19, 20, v19
	v_and_b32_e32 v23, 0x80000000, v23
	v_lshl_add_u32 v21, v21, 23, v33
	v_or3_b32 v19, v23, v21, v19
	v_lshrrev_b32_e32 v19, 16, v19
.LBB960_19:                             ;   in Loop: Header=BB960_15 Depth=1
	s_or_b64 exec, exec, s[10:11]
.LBB960_20:                             ;   in Loop: Header=BB960_15 Depth=1
	s_or_b64 exec, exec, s[6:7]
.LBB960_21:                             ;   in Loop: Header=BB960_15 Depth=1
	s_or_b64 exec, exec, s[4:5]
	v_lshrrev_b16_e32 v30, 8, v20
	v_cmp_ne_u16_e32 vcc, 0, v30
	v_mov_b32_e32 v23, 0
	v_mov_b32_e32 v21, 0
	s_and_saveexec_b64 s[4:5], vcc
	s_cbranch_execz .LBB960_27
; %bb.22:                               ;   in Loop: Header=BB960_15 Depth=1
	v_cmp_ne_u16_e32 vcc, s13, v30
	v_mov_b32_e32 v21, 0xffff8000
	s_and_saveexec_b64 s[6:7], vcc
	s_cbranch_execz .LBB960_26
; %bb.23:                               ;   in Loop: Header=BB960_15 Depth=1
	v_and_b32_e32 v32, 0x7f, v30
	v_cmp_ne_u32_e32 vcc, s14, v32
	v_mov_b32_e32 v21, 0x7f80
	s_and_saveexec_b64 s[10:11], vcc
	s_cbranch_execz .LBB960_25
; %bb.24:                               ;   in Loop: Header=BB960_15 Depth=1
	v_and_b32_e32 v21, 7, v30
	v_ffbh_u32_e32 v34, v21
	v_min_u32_e32 v37, 32, v34
	v_subrev_u32_e32 v34, 28, v37
	v_lshlrev_b64 v[34:35], v34, v[30:31]
	v_lshrrev_b32_e32 v36, 3, v32
	v_sub_u32_e32 v30, 29, v37
	v_and_b32_e32 v34, 7, v34
	v_cmp_gt_u32_e32 vcc, 8, v32
	v_cndmask_b32_e32 v30, v36, v30, vcc
	v_cndmask_b32_e32 v21, v21, v34, vcc
	v_lshlrev_b32_e32 v32, 16, v20
	v_lshlrev_b32_e32 v21, 20, v21
	v_and_b32_e32 v32, 0x80000000, v32
	v_lshl_add_u32 v30, v30, 23, v33
	v_or3_b32 v21, v32, v30, v21
	v_lshrrev_b32_e32 v21, 16, v21
.LBB960_25:                             ;   in Loop: Header=BB960_15 Depth=1
	s_or_b64 exec, exec, s[10:11]
.LBB960_26:                             ;   in Loop: Header=BB960_15 Depth=1
	s_or_b64 exec, exec, s[6:7]
.LBB960_27:                             ;   in Loop: Header=BB960_15 Depth=1
	s_or_b64 exec, exec, s[4:5]
	v_lshrrev_b32_e32 v30, 16, v20
	v_cmp_ne_u16_sdwa s[6:7], v30, v31 src0_sel:BYTE_0 src1_sel:DWORD
	s_and_saveexec_b64 s[4:5], s[6:7]
	s_cbranch_execz .LBB960_33
; %bb.28:                               ;   in Loop: Header=BB960_15 Depth=1
	v_cmp_ne_u16_sdwa s[10:11], v30, s13 src0_sel:BYTE_0 src1_sel:DWORD
	v_mov_b32_e32 v23, 0xffff8000
	s_and_saveexec_b64 s[6:7], s[10:11]
	s_cbranch_execz .LBB960_32
; %bb.29:                               ;   in Loop: Header=BB960_15 Depth=1
	v_bfe_u32 v32, v20, 16, 7
	v_cmp_ne_u32_e32 vcc, s14, v32
	v_mov_b32_e32 v23, 0x7f80
	s_and_saveexec_b64 s[10:11], vcc
	s_cbranch_execz .LBB960_31
; %bb.30:                               ;   in Loop: Header=BB960_15 Depth=1
	v_and_b32_e32 v23, 7, v30
	v_ffbh_u32_e32 v34, v23
	v_min_u32_e32 v37, 32, v34
	v_subrev_u32_e32 v34, 28, v37
	v_lshlrev_b64 v[34:35], v34, v[30:31]
	v_lshrrev_b32_e32 v36, 3, v32
	v_sub_u32_e32 v35, 29, v37
	v_and_b32_e32 v34, 7, v34
	v_cmp_gt_u32_e32 vcc, 8, v32
	v_cndmask_b32_e32 v32, v36, v35, vcc
	v_cndmask_b32_e32 v23, v23, v34, vcc
	v_lshlrev_b32_e32 v30, 24, v30
	v_lshlrev_b32_e32 v23, 20, v23
	v_and_b32_e32 v30, 0x80000000, v30
	v_lshl_add_u32 v32, v32, 23, v33
	v_or3_b32 v23, v30, v32, v23
	v_lshrrev_b32_e32 v23, 16, v23
.LBB960_31:                             ;   in Loop: Header=BB960_15 Depth=1
	s_or_b64 exec, exec, s[10:11]
.LBB960_32:                             ;   in Loop: Header=BB960_15 Depth=1
	s_or_b64 exec, exec, s[6:7]
.LBB960_33:                             ;   in Loop: Header=BB960_15 Depth=1
	s_or_b64 exec, exec, s[4:5]
	v_cmp_lt_u32_e32 vcc, s15, v20
	v_mov_b32_e32 v34, 0
	v_mov_b32_e32 v35, 0
	s_and_saveexec_b64 s[4:5], vcc
	s_cbranch_execz .LBB960_39
; %bb.34:                               ;   in Loop: Header=BB960_15 Depth=1
	v_lshrrev_b32_e32 v30, 24, v20
	v_cmp_ne_u32_e32 vcc, s13, v30
	v_mov_b32_e32 v35, 0xffff8000
	s_and_saveexec_b64 s[6:7], vcc
	s_cbranch_execz .LBB960_38
; %bb.35:                               ;   in Loop: Header=BB960_15 Depth=1
	v_bfe_u32 v20, v20, 24, 7
	v_cmp_ne_u32_e32 vcc, s14, v20
	v_mov_b32_e32 v35, 0x7f80
	s_and_saveexec_b64 s[10:11], vcc
	s_cbranch_execz .LBB960_37
; %bb.36:                               ;   in Loop: Header=BB960_15 Depth=1
	v_and_b32_e32 v32, 7, v30
	v_ffbh_u32_e32 v36, v32
	v_min_u32_e32 v38, 32, v36
	v_subrev_u32_e32 v36, 28, v38
	v_lshlrev_b64 v[36:37], v36, v[30:31]
	v_lshrrev_b32_e32 v35, 3, v20
	v_sub_u32_e32 v37, 29, v38
	v_and_b32_e32 v36, 7, v36
	v_cmp_gt_u32_e32 vcc, 8, v20
	v_cndmask_b32_e32 v20, v35, v37, vcc
	v_cndmask_b32_e32 v32, v32, v36, vcc
	v_lshlrev_b32_e32 v30, 24, v30
	v_lshlrev_b32_e32 v32, 20, v32
	v_and_b32_e32 v30, 0x80000000, v30
	v_lshl_add_u32 v20, v20, 23, v33
	v_or3_b32 v20, v30, v20, v32
	v_lshrrev_b32_e32 v35, 16, v20
.LBB960_37:                             ;   in Loop: Header=BB960_15 Depth=1
	s_or_b64 exec, exec, s[10:11]
.LBB960_38:                             ;   in Loop: Header=BB960_15 Depth=1
	s_or_b64 exec, exec, s[6:7]
.LBB960_39:                             ;   in Loop: Header=BB960_15 Depth=1
	s_or_b64 exec, exec, s[4:5]
	s_waitcnt vmcnt(2)
	v_cmp_ne_u16_sdwa s[6:7], v18, v31 src0_sel:BYTE_0 src1_sel:DWORD
	s_and_saveexec_b64 s[4:5], s[6:7]
	s_cbranch_execz .LBB960_45
; %bb.40:                               ;   in Loop: Header=BB960_15 Depth=1
	v_cmp_ne_u16_sdwa s[10:11], v18, s13 src0_sel:BYTE_0 src1_sel:DWORD
	v_mov_b32_e32 v34, 0xffff8000
	s_and_saveexec_b64 s[6:7], s[10:11]
	s_cbranch_execz .LBB960_44
; %bb.41:                               ;   in Loop: Header=BB960_15 Depth=1
	v_and_b32_e32 v20, 0x7f, v18
	v_cmp_ne_u32_e32 vcc, s14, v20
	v_mov_b32_e32 v34, 0x7f80
	s_and_saveexec_b64 s[10:11], vcc
	s_cbranch_execz .LBB960_43
; %bb.42:                               ;   in Loop: Header=BB960_15 Depth=1
	v_and_b32_e32 v30, 7, v18
	v_ffbh_u32_e32 v34, v30
	v_min_u32_e32 v34, 32, v34
	v_subrev_u32_e32 v36, 28, v34
	v_lshlrev_b64 v[36:37], v36, v[18:19]
	v_lshrrev_b32_e32 v32, 3, v20
	v_sub_u32_e32 v34, 29, v34
	v_and_b32_e32 v36, 7, v36
	v_cmp_gt_u32_e32 vcc, 8, v20
	v_cndmask_b32_e32 v20, v32, v34, vcc
	v_cndmask_b32_e32 v30, v30, v36, vcc
	v_lshlrev_b32_e32 v32, 24, v18
	v_lshlrev_b32_e32 v30, 20, v30
	v_and_b32_e32 v32, 0x80000000, v32
	v_lshl_add_u32 v20, v20, 23, v33
	v_or3_b32 v20, v32, v20, v30
	v_lshrrev_b32_e32 v34, 16, v20
.LBB960_43:                             ;   in Loop: Header=BB960_15 Depth=1
	s_or_b64 exec, exec, s[10:11]
.LBB960_44:                             ;   in Loop: Header=BB960_15 Depth=1
	s_or_b64 exec, exec, s[6:7]
.LBB960_45:                             ;   in Loop: Header=BB960_15 Depth=1
	s_or_b64 exec, exec, s[4:5]
	v_lshrrev_b16_e32 v20, 8, v18
	v_cmp_ne_u16_e32 vcc, 0, v20
	v_mov_b32_e32 v36, 0
	v_mov_b32_e32 v30, 0
	s_and_saveexec_b64 s[4:5], vcc
	s_cbranch_execz .LBB960_51
; %bb.46:                               ;   in Loop: Header=BB960_15 Depth=1
	v_cmp_ne_u16_e32 vcc, s13, v20
	v_mov_b32_e32 v30, 0xffff8000
	s_and_saveexec_b64 s[6:7], vcc
	s_cbranch_execz .LBB960_50
; %bb.47:                               ;   in Loop: Header=BB960_15 Depth=1
	v_and_b32_e32 v32, 0x7f, v20
	v_cmp_ne_u32_e32 vcc, s14, v32
	v_mov_b32_e32 v30, 0x7f80
	s_and_saveexec_b64 s[10:11], vcc
	s_cbranch_execz .LBB960_49
; %bb.48:                               ;   in Loop: Header=BB960_15 Depth=1
	v_and_b32_e32 v30, 7, v20
	v_ffbh_u32_e32 v38, v30
	v_min_u32_e32 v38, 32, v38
	v_subrev_u32_e32 v40, 28, v38
	v_lshlrev_b64 v[42:43], v40, v[20:21]
	v_lshrrev_b32_e32 v37, 3, v32
	v_sub_u32_e32 v20, 29, v38
	v_and_b32_e32 v38, 7, v42
	v_cmp_gt_u32_e32 vcc, 8, v32
	v_cndmask_b32_e32 v20, v37, v20, vcc
	v_cndmask_b32_e32 v30, v30, v38, vcc
	v_lshlrev_b32_e32 v32, 16, v18
	v_lshlrev_b32_e32 v30, 20, v30
	v_and_b32_e32 v32, 0x80000000, v32
	v_lshl_add_u32 v20, v20, 23, v33
	v_or3_b32 v20, v32, v20, v30
	v_lshrrev_b32_e32 v30, 16, v20
.LBB960_49:                             ;   in Loop: Header=BB960_15 Depth=1
	s_or_b64 exec, exec, s[10:11]
.LBB960_50:                             ;   in Loop: Header=BB960_15 Depth=1
	s_or_b64 exec, exec, s[6:7]
.LBB960_51:                             ;   in Loop: Header=BB960_15 Depth=1
	s_or_b64 exec, exec, s[4:5]
	v_lshrrev_b32_e32 v20, 16, v18
	v_cmp_ne_u16_sdwa s[6:7], v20, v31 src0_sel:BYTE_0 src1_sel:DWORD
	s_and_saveexec_b64 s[4:5], s[6:7]
	s_cbranch_execz .LBB960_57
; %bb.52:                               ;   in Loop: Header=BB960_15 Depth=1
	v_cmp_ne_u16_sdwa s[10:11], v20, s13 src0_sel:BYTE_0 src1_sel:DWORD
	v_mov_b32_e32 v36, 0xffff8000
	s_and_saveexec_b64 s[6:7], s[10:11]
	s_cbranch_execz .LBB960_56
; %bb.53:                               ;   in Loop: Header=BB960_15 Depth=1
	v_bfe_u32 v32, v18, 16, 7
	v_cmp_ne_u32_e32 vcc, s14, v32
	v_mov_b32_e32 v36, 0x7f80
	s_and_saveexec_b64 s[10:11], vcc
	s_cbranch_execz .LBB960_55
; %bb.54:                               ;   in Loop: Header=BB960_15 Depth=1
	v_and_b32_e32 v38, 7, v20
	v_ffbh_u32_e32 v36, v38
	v_min_u32_e32 v42, 32, v36
	v_subrev_u32_e32 v36, 28, v42
	v_lshlrev_b64 v[36:37], v36, v[20:21]
	v_lshrrev_b32_e32 v40, 3, v32
	v_sub_u32_e32 v37, 29, v42
	v_and_b32_e32 v36, 7, v36
	v_cmp_gt_u32_e32 vcc, 8, v32
	v_cndmask_b32_e32 v32, v40, v37, vcc
	v_cndmask_b32_e32 v36, v38, v36, vcc
	v_lshlrev_b32_e32 v20, 24, v20
	v_lshlrev_b32_e32 v36, 20, v36
	v_and_b32_e32 v20, 0x80000000, v20
	v_lshl_add_u32 v32, v32, 23, v33
	v_or3_b32 v20, v20, v32, v36
	v_lshrrev_b32_e32 v36, 16, v20
.LBB960_55:                             ;   in Loop: Header=BB960_15 Depth=1
	s_or_b64 exec, exec, s[10:11]
.LBB960_56:                             ;   in Loop: Header=BB960_15 Depth=1
	s_or_b64 exec, exec, s[6:7]
.LBB960_57:                             ;   in Loop: Header=BB960_15 Depth=1
	s_or_b64 exec, exec, s[4:5]
	v_cmp_lt_u32_e32 vcc, s15, v18
	v_mov_b32_e32 v32, 0
	v_mov_b32_e32 v37, 0
	s_and_saveexec_b64 s[4:5], vcc
	s_cbranch_execz .LBB960_63
; %bb.58:                               ;   in Loop: Header=BB960_15 Depth=1
	v_lshrrev_b32_e32 v20, 24, v18
	v_cmp_ne_u32_e32 vcc, s13, v20
	v_mov_b32_e32 v37, 0xffff8000
	s_and_saveexec_b64 s[6:7], vcc
	s_cbranch_execz .LBB960_62
; %bb.59:                               ;   in Loop: Header=BB960_15 Depth=1
	v_bfe_u32 v18, v18, 24, 7
	v_cmp_ne_u32_e32 vcc, s14, v18
	v_mov_b32_e32 v37, 0x7f80
	s_and_saveexec_b64 s[10:11], vcc
	s_cbranch_execz .LBB960_61
; %bb.60:                               ;   in Loop: Header=BB960_15 Depth=1
	v_and_b32_e32 v37, 7, v20
	v_ffbh_u32_e32 v40, v37
	v_min_u32_e32 v40, 32, v40
	v_subrev_u32_e32 v42, 28, v40
	v_lshlrev_b64 v[42:43], v42, v[20:21]
	v_lshrrev_b32_e32 v38, 3, v18
	v_sub_u32_e32 v40, 29, v40
	v_and_b32_e32 v42, 7, v42
	v_cmp_gt_u32_e32 vcc, 8, v18
	v_cndmask_b32_e32 v18, v38, v40, vcc
	v_cndmask_b32_e32 v37, v37, v42, vcc
	v_lshlrev_b32_e32 v20, 24, v20
	v_lshlrev_b32_e32 v37, 20, v37
	v_and_b32_e32 v20, 0x80000000, v20
	v_lshl_add_u32 v18, v18, 23, v33
	v_or3_b32 v18, v20, v18, v37
	v_lshrrev_b32_e32 v37, 16, v18
.LBB960_61:                             ;   in Loop: Header=BB960_15 Depth=1
	s_or_b64 exec, exec, s[10:11]
.LBB960_62:                             ;   in Loop: Header=BB960_15 Depth=1
	s_or_b64 exec, exec, s[6:7]
.LBB960_63:                             ;   in Loop: Header=BB960_15 Depth=1
	s_or_b64 exec, exec, s[4:5]
	v_perm_b32 v43, v35, v23, s16
	v_perm_b32 v42, v21, v19, s16
	;; [unrolled: 1-line block ×4, first 2 shown]
	s_waitcnt vmcnt(1)
	v_cmp_ne_u16_sdwa s[6:7], v28, v31 src0_sel:BYTE_0 src1_sel:DWORD
	v_mfma_f32_16x16x16bf16_1k v[18:21], v[42:43], v[2:3], 0
	v_mfma_f32_16x16x16bf16_1k v[18:21], v[34:35], v[4:5], v[18:21]
	s_and_saveexec_b64 s[4:5], s[6:7]
	s_cbranch_execz .LBB960_69
; %bb.64:                               ;   in Loop: Header=BB960_15 Depth=1
	v_cmp_ne_u16_sdwa s[10:11], v28, s13 src0_sel:BYTE_0 src1_sel:DWORD
	v_mov_b32_e32 v32, 0xffff8000
	s_and_saveexec_b64 s[6:7], s[10:11]
	s_cbranch_execz .LBB960_68
; %bb.65:                               ;   in Loop: Header=BB960_15 Depth=1
	v_and_b32_e32 v23, 0x7f, v28
	v_cmp_ne_u32_e32 vcc, s14, v23
	v_mov_b32_e32 v32, 0x7f80
	s_and_saveexec_b64 s[10:11], vcc
	s_cbranch_execz .LBB960_67
; %bb.66:                               ;   in Loop: Header=BB960_15 Depth=1
	v_and_b32_e32 v30, 7, v28
	v_ffbh_u32_e32 v34, v30
	v_min_u32_e32 v36, 32, v34
	v_subrev_u32_e32 v34, 28, v36
	v_lshlrev_b64 v[34:35], v34, v[28:29]
	v_lshrrev_b32_e32 v32, 3, v23
	v_sub_u32_e32 v35, 29, v36
	v_and_b32_e32 v34, 7, v34
	v_cmp_gt_u32_e32 vcc, 8, v23
	v_cndmask_b32_e32 v23, v32, v35, vcc
	v_cndmask_b32_e32 v30, v30, v34, vcc
	v_lshlrev_b32_e32 v32, 24, v28
	v_lshlrev_b32_e32 v30, 20, v30
	v_and_b32_e32 v32, 0x80000000, v32
	v_lshl_add_u32 v23, v23, 23, v33
	v_or3_b32 v23, v32, v23, v30
	v_lshrrev_b32_e32 v32, 16, v23
.LBB960_67:                             ;   in Loop: Header=BB960_15 Depth=1
	s_or_b64 exec, exec, s[10:11]
.LBB960_68:                             ;   in Loop: Header=BB960_15 Depth=1
	s_or_b64 exec, exec, s[6:7]
.LBB960_69:                             ;   in Loop: Header=BB960_15 Depth=1
	s_or_b64 exec, exec, s[4:5]
	v_lshrrev_b16_e32 v30, 8, v28
	v_cmp_ne_u16_e32 vcc, 0, v30
	v_mov_b32_e32 v35, 0
	v_mov_b32_e32 v34, 0
	s_and_saveexec_b64 s[4:5], vcc
	s_cbranch_execz .LBB960_75
; %bb.70:                               ;   in Loop: Header=BB960_15 Depth=1
	v_cmp_ne_u16_e32 vcc, s13, v30
	v_mov_b32_e32 v34, 0xffff8000
	s_and_saveexec_b64 s[6:7], vcc
	s_cbranch_execz .LBB960_74
; %bb.71:                               ;   in Loop: Header=BB960_15 Depth=1
	v_and_b32_e32 v23, 0x7f, v30
	v_cmp_ne_u32_e32 vcc, s14, v23
	v_mov_b32_e32 v34, 0x7f80
	s_and_saveexec_b64 s[10:11], vcc
	s_cbranch_execz .LBB960_73
; %bb.72:                               ;   in Loop: Header=BB960_15 Depth=1
	v_and_b32_e32 v34, 7, v30
	v_ffbh_u32_e32 v36, v34
	v_min_u32_e32 v40, 32, v36
	v_subrev_u32_e32 v36, 28, v40
	v_lshlrev_b64 v[36:37], v36, v[30:31]
	v_lshrrev_b32_e32 v38, 3, v23
	v_sub_u32_e32 v30, 29, v40
	v_and_b32_e32 v36, 7, v36
	v_cmp_gt_u32_e32 vcc, 8, v23
	v_cndmask_b32_e32 v23, v38, v30, vcc
	v_cndmask_b32_e32 v30, v34, v36, vcc
	v_lshlrev_b32_e32 v34, 16, v28
	v_lshlrev_b32_e32 v30, 20, v30
	v_and_b32_e32 v34, 0x80000000, v34
	v_lshl_add_u32 v23, v23, 23, v33
	v_or3_b32 v23, v34, v23, v30
	v_lshrrev_b32_e32 v34, 16, v23
.LBB960_73:                             ;   in Loop: Header=BB960_15 Depth=1
	s_or_b64 exec, exec, s[10:11]
.LBB960_74:                             ;   in Loop: Header=BB960_15 Depth=1
	s_or_b64 exec, exec, s[6:7]
.LBB960_75:                             ;   in Loop: Header=BB960_15 Depth=1
	s_or_b64 exec, exec, s[4:5]
	v_lshrrev_b32_e32 v30, 16, v28
	v_cmp_ne_u16_sdwa s[6:7], v30, v31 src0_sel:BYTE_0 src1_sel:DWORD
	s_and_saveexec_b64 s[4:5], s[6:7]
	s_cbranch_execz .LBB960_81
; %bb.76:                               ;   in Loop: Header=BB960_15 Depth=1
	v_cmp_ne_u16_sdwa s[10:11], v30, s13 src0_sel:BYTE_0 src1_sel:DWORD
	v_mov_b32_e32 v35, 0xffff8000
	s_and_saveexec_b64 s[6:7], s[10:11]
	s_cbranch_execz .LBB960_80
; %bb.77:                               ;   in Loop: Header=BB960_15 Depth=1
	v_bfe_u32 v23, v28, 16, 7
	v_cmp_ne_u32_e32 vcc, s14, v23
	v_mov_b32_e32 v35, 0x7f80
	s_and_saveexec_b64 s[10:11], vcc
	s_cbranch_execz .LBB960_79
; %bb.78:                               ;   in Loop: Header=BB960_15 Depth=1
	v_and_b32_e32 v35, 7, v30
	v_ffbh_u32_e32 v36, v35
	v_min_u32_e32 v40, 32, v36
	v_subrev_u32_e32 v36, 28, v40
	v_lshlrev_b64 v[36:37], v36, v[30:31]
	v_lshrrev_b32_e32 v38, 3, v23
	v_sub_u32_e32 v37, 29, v40
	v_and_b32_e32 v36, 7, v36
	v_cmp_gt_u32_e32 vcc, 8, v23
	v_cndmask_b32_e32 v23, v38, v37, vcc
	v_cndmask_b32_e32 v35, v35, v36, vcc
	v_lshlrev_b32_e32 v30, 24, v30
	v_lshlrev_b32_e32 v35, 20, v35
	v_and_b32_e32 v30, 0x80000000, v30
	v_lshl_add_u32 v23, v23, 23, v33
	v_or3_b32 v23, v30, v23, v35
	v_lshrrev_b32_e32 v35, 16, v23
.LBB960_79:                             ;   in Loop: Header=BB960_15 Depth=1
	s_or_b64 exec, exec, s[10:11]
.LBB960_80:                             ;   in Loop: Header=BB960_15 Depth=1
	s_or_b64 exec, exec, s[6:7]
.LBB960_81:                             ;   in Loop: Header=BB960_15 Depth=1
	s_or_b64 exec, exec, s[4:5]
	v_cmp_lt_u32_e32 vcc, s15, v28
	v_mov_b32_e32 v36, 0
	v_mov_b32_e32 v37, 0
	s_and_saveexec_b64 s[4:5], vcc
	s_cbranch_execz .LBB960_87
; %bb.82:                               ;   in Loop: Header=BB960_15 Depth=1
	v_lshrrev_b32_e32 v30, 24, v28
	v_cmp_ne_u32_e32 vcc, s13, v30
	v_mov_b32_e32 v37, 0xffff8000
	s_and_saveexec_b64 s[6:7], vcc
	s_cbranch_execz .LBB960_86
; %bb.83:                               ;   in Loop: Header=BB960_15 Depth=1
	v_bfe_u32 v23, v28, 24, 7
	v_cmp_ne_u32_e32 vcc, s14, v23
	v_mov_b32_e32 v37, 0x7f80
	s_and_saveexec_b64 s[10:11], vcc
	s_cbranch_execz .LBB960_85
; %bb.84:                               ;   in Loop: Header=BB960_15 Depth=1
	v_and_b32_e32 v28, 7, v30
	v_ffbh_u32_e32 v38, v28
	v_min_u32_e32 v38, 32, v38
	v_subrev_u32_e32 v40, 28, v38
	v_lshlrev_b64 v[42:43], v40, v[30:31]
	v_lshrrev_b32_e32 v37, 3, v23
	v_sub_u32_e32 v38, 29, v38
	v_and_b32_e32 v40, 7, v42
	v_cmp_gt_u32_e32 vcc, 8, v23
	v_cndmask_b32_e32 v23, v37, v38, vcc
	v_cndmask_b32_e32 v28, v28, v40, vcc
	v_lshlrev_b32_e32 v30, 24, v30
	v_lshlrev_b32_e32 v28, 20, v28
	v_and_b32_e32 v30, 0x80000000, v30
	v_lshl_add_u32 v23, v23, 23, v33
	v_or3_b32 v23, v30, v23, v28
	v_lshrrev_b32_e32 v37, 16, v23
.LBB960_85:                             ;   in Loop: Header=BB960_15 Depth=1
	s_or_b64 exec, exec, s[10:11]
.LBB960_86:                             ;   in Loop: Header=BB960_15 Depth=1
	s_or_b64 exec, exec, s[6:7]
.LBB960_87:                             ;   in Loop: Header=BB960_15 Depth=1
	s_or_b64 exec, exec, s[4:5]
	s_waitcnt vmcnt(0)
	v_cmp_ne_u16_sdwa s[6:7], v26, v31 src0_sel:BYTE_0 src1_sel:DWORD
	s_and_saveexec_b64 s[4:5], s[6:7]
	s_cbranch_execz .LBB960_93
; %bb.88:                               ;   in Loop: Header=BB960_15 Depth=1
	v_cmp_ne_u16_sdwa s[10:11], v26, s13 src0_sel:BYTE_0 src1_sel:DWORD
	v_mov_b32_e32 v36, 0xffff8000
	s_and_saveexec_b64 s[6:7], s[10:11]
	s_cbranch_execz .LBB960_92
; %bb.89:                               ;   in Loop: Header=BB960_15 Depth=1
	v_and_b32_e32 v23, 0x7f, v26
	v_cmp_ne_u32_e32 vcc, s14, v23
	v_mov_b32_e32 v36, 0x7f80
	s_and_saveexec_b64 s[10:11], vcc
	s_cbranch_execz .LBB960_91
; %bb.90:                               ;   in Loop: Header=BB960_15 Depth=1
	v_and_b32_e32 v28, 7, v26
	v_ffbh_u32_e32 v36, v28
	v_min_u32_e32 v36, 32, v36
	v_subrev_u32_e32 v38, 28, v36
	v_lshlrev_b64 v[42:43], v38, v[26:27]
	v_lshrrev_b32_e32 v30, 3, v23
	v_sub_u32_e32 v36, 29, v36
	v_and_b32_e32 v38, 7, v42
	v_cmp_gt_u32_e32 vcc, 8, v23
	v_cndmask_b32_e32 v23, v30, v36, vcc
	v_cndmask_b32_e32 v28, v28, v38, vcc
	v_lshlrev_b32_e32 v30, 24, v26
	v_lshlrev_b32_e32 v28, 20, v28
	v_and_b32_e32 v30, 0x80000000, v30
	v_lshl_add_u32 v23, v23, 23, v33
	v_or3_b32 v23, v30, v23, v28
	v_lshrrev_b32_e32 v36, 16, v23
.LBB960_91:                             ;   in Loop: Header=BB960_15 Depth=1
	s_or_b64 exec, exec, s[10:11]
.LBB960_92:                             ;   in Loop: Header=BB960_15 Depth=1
	s_or_b64 exec, exec, s[6:7]
.LBB960_93:                             ;   in Loop: Header=BB960_15 Depth=1
	s_or_b64 exec, exec, s[4:5]
	v_lshrrev_b16_e32 v28, 8, v26
	v_cmp_ne_u16_e32 vcc, 0, v28
	v_mov_b32_e32 v40, 0
	v_mov_b32_e32 v38, 0
	s_and_saveexec_b64 s[4:5], vcc
	s_cbranch_execz .LBB960_99
; %bb.94:                               ;   in Loop: Header=BB960_15 Depth=1
	v_cmp_ne_u16_e32 vcc, s13, v28
	v_mov_b32_e32 v38, 0xffff8000
	s_and_saveexec_b64 s[6:7], vcc
	s_cbranch_execz .LBB960_98
; %bb.95:                               ;   in Loop: Header=BB960_15 Depth=1
	v_and_b32_e32 v23, 0x7f, v28
	v_cmp_ne_u32_e32 vcc, s14, v23
	v_mov_b32_e32 v38, 0x7f80
	s_and_saveexec_b64 s[10:11], vcc
	s_cbranch_execz .LBB960_97
; %bb.96:                               ;   in Loop: Header=BB960_15 Depth=1
	v_and_b32_e32 v30, 7, v28
	v_ffbh_u32_e32 v42, v30
	v_min_u32_e32 v44, 32, v42
	v_subrev_u32_e32 v42, 28, v44
	v_lshlrev_b64 v[42:43], v42, v[28:29]
	v_lshrrev_b32_e32 v38, 3, v23
	v_sub_u32_e32 v28, 29, v44
	v_and_b32_e32 v42, 7, v42
	v_cmp_gt_u32_e32 vcc, 8, v23
	v_cndmask_b32_e32 v23, v38, v28, vcc
	v_cndmask_b32_e32 v28, v30, v42, vcc
	v_lshlrev_b32_e32 v30, 16, v26
	v_lshlrev_b32_e32 v28, 20, v28
	v_and_b32_e32 v30, 0x80000000, v30
	v_lshl_add_u32 v23, v23, 23, v33
	v_or3_b32 v23, v30, v23, v28
	v_lshrrev_b32_e32 v38, 16, v23
.LBB960_97:                             ;   in Loop: Header=BB960_15 Depth=1
	s_or_b64 exec, exec, s[10:11]
.LBB960_98:                             ;   in Loop: Header=BB960_15 Depth=1
	s_or_b64 exec, exec, s[6:7]
.LBB960_99:                             ;   in Loop: Header=BB960_15 Depth=1
	s_or_b64 exec, exec, s[4:5]
	v_lshrrev_b32_e32 v28, 16, v26
	v_cmp_ne_u16_sdwa s[6:7], v28, v31 src0_sel:BYTE_0 src1_sel:DWORD
	s_and_saveexec_b64 s[4:5], s[6:7]
	s_cbranch_execz .LBB960_105
; %bb.100:                              ;   in Loop: Header=BB960_15 Depth=1
	v_cmp_ne_u16_sdwa s[10:11], v28, s13 src0_sel:BYTE_0 src1_sel:DWORD
	v_mov_b32_e32 v40, 0xffff8000
	s_and_saveexec_b64 s[6:7], s[10:11]
	s_cbranch_execz .LBB960_104
; %bb.101:                              ;   in Loop: Header=BB960_15 Depth=1
	v_bfe_u32 v23, v26, 16, 7
	v_cmp_ne_u32_e32 vcc, s14, v23
	v_mov_b32_e32 v40, 0x7f80
	s_and_saveexec_b64 s[10:11], vcc
	s_cbranch_execz .LBB960_103
; %bb.102:                              ;   in Loop: Header=BB960_15 Depth=1
	v_and_b32_e32 v30, 7, v28
	v_ffbh_u32_e32 v42, v30
	v_min_u32_e32 v44, 32, v42
	v_subrev_u32_e32 v42, 28, v44
	v_lshlrev_b64 v[42:43], v42, v[28:29]
	v_lshrrev_b32_e32 v40, 3, v23
	v_sub_u32_e32 v43, 29, v44
	v_and_b32_e32 v42, 7, v42
	v_cmp_gt_u32_e32 vcc, 8, v23
	v_cndmask_b32_e32 v23, v40, v43, vcc
	v_cndmask_b32_e32 v30, v30, v42, vcc
	v_lshlrev_b32_e32 v28, 24, v28
	v_lshlrev_b32_e32 v30, 20, v30
	v_and_b32_e32 v28, 0x80000000, v28
	v_lshl_add_u32 v23, v23, 23, v33
	v_or3_b32 v23, v28, v23, v30
	v_lshrrev_b32_e32 v40, 16, v23
.LBB960_103:                            ;   in Loop: Header=BB960_15 Depth=1
	s_or_b64 exec, exec, s[10:11]
.LBB960_104:                            ;   in Loop: Header=BB960_15 Depth=1
	s_or_b64 exec, exec, s[6:7]
.LBB960_105:                            ;   in Loop: Header=BB960_15 Depth=1
	s_or_b64 exec, exec, s[4:5]
	v_cmp_lt_u32_e32 vcc, s15, v26
	v_mov_b32_e32 v23, 0
	v_mov_b32_e32 v42, 0
	s_and_saveexec_b64 s[4:5], vcc
	s_cbranch_execz .LBB960_111
; %bb.106:                              ;   in Loop: Header=BB960_15 Depth=1
	v_lshrrev_b32_e32 v28, 24, v26
	v_cmp_ne_u32_e32 vcc, s13, v28
	v_mov_b32_e32 v42, 0xffff8000
	s_and_saveexec_b64 s[6:7], vcc
	s_cbranch_execz .LBB960_110
; %bb.107:                              ;   in Loop: Header=BB960_15 Depth=1
	v_bfe_u32 v26, v26, 24, 7
	v_cmp_ne_u32_e32 vcc, s14, v26
	v_mov_b32_e32 v42, 0x7f80
	s_and_saveexec_b64 s[10:11], vcc
	s_cbranch_execz .LBB960_109
; %bb.108:                              ;   in Loop: Header=BB960_15 Depth=1
	v_and_b32_e32 v30, 7, v28
	v_ffbh_u32_e32 v42, v30
	v_min_u32_e32 v45, 32, v42
	v_subrev_u32_e32 v42, 28, v45
	v_lshlrev_b64 v[42:43], v42, v[28:29]
	v_lshrrev_b32_e32 v44, 3, v26
	v_sub_u32_e32 v43, 29, v45
	v_and_b32_e32 v42, 7, v42
	v_cmp_gt_u32_e32 vcc, 8, v26
	v_cndmask_b32_e32 v26, v44, v43, vcc
	v_cndmask_b32_e32 v30, v30, v42, vcc
	v_lshlrev_b32_e32 v28, 24, v28
	v_lshlrev_b32_e32 v30, 20, v30
	v_and_b32_e32 v28, 0x80000000, v28
	v_lshl_add_u32 v26, v26, 23, v33
	v_or3_b32 v26, v28, v26, v30
	v_lshrrev_b32_e32 v42, 16, v26
.LBB960_109:                            ;   in Loop: Header=BB960_15 Depth=1
	s_or_b64 exec, exec, s[10:11]
.LBB960_110:                            ;   in Loop: Header=BB960_15 Depth=1
	s_or_b64 exec, exec, s[6:7]
.LBB960_111:                            ;   in Loop: Header=BB960_15 Depth=1
	s_or_b64 exec, exec, s[4:5]
	v_perm_b32 v34, v34, v32, s16
	buffer_load_dword v32, v27, s[0:3], 0 offen offset:16
	buffer_load_dword v30, v27, s[0:3], 0 offen offset:20
	;; [unrolled: 1-line block ×4, first 2 shown]
	v_perm_b32 v35, v37, v35, s16
	s_waitcnt vmcnt(3)
	v_cmp_ne_u16_sdwa s[6:7], v32, v31 src0_sel:BYTE_0 src1_sel:DWORD
	v_mfma_f32_16x16x16bf16_1k v[18:21], v[34:35], v[6:7], v[18:21]
	v_perm_b32 v35, v42, v40, s16
	v_perm_b32 v34, v38, v36, s16
	s_nop 1
	v_mfma_f32_16x16x16bf16_1k v[18:21], v[34:35], v[8:9], v[18:21]
	s_and_saveexec_b64 s[4:5], s[6:7]
	s_cbranch_execz .LBB960_117
; %bb.112:                              ;   in Loop: Header=BB960_15 Depth=1
	v_cmp_ne_u16_sdwa s[10:11], v32, s13 src0_sel:BYTE_0 src1_sel:DWORD
	v_mov_b32_e32 v23, 0xffff8000
	s_and_saveexec_b64 s[6:7], s[10:11]
	s_cbranch_execz .LBB960_116
; %bb.113:                              ;   in Loop: Header=BB960_15 Depth=1
	v_and_b32_e32 v34, 0x7f, v32
	v_cmp_ne_u32_e32 vcc, s14, v34
	v_mov_b32_e32 v23, 0x7f80
	s_and_saveexec_b64 s[10:11], vcc
	s_cbranch_execz .LBB960_115
; %bb.114:                              ;   in Loop: Header=BB960_15 Depth=1
	v_and_b32_e32 v23, 7, v32
	v_ffbh_u32_e32 v36, v23
	v_min_u32_e32 v38, 32, v36
	v_subrev_u32_e32 v36, 28, v38
	v_lshlrev_b64 v[36:37], v36, v[32:33]
	v_lshrrev_b32_e32 v35, 3, v34
	v_sub_u32_e32 v37, 29, v38
	v_and_b32_e32 v36, 7, v36
	v_cmp_gt_u32_e32 vcc, 8, v34
	v_cndmask_b32_e32 v34, v35, v37, vcc
	v_cndmask_b32_e32 v23, v23, v36, vcc
	v_lshlrev_b32_e32 v35, 24, v32
	v_lshlrev_b32_e32 v23, 20, v23
	v_and_b32_e32 v35, 0x80000000, v35
	v_lshl_add_u32 v34, v34, 23, v33
	v_or3_b32 v23, v35, v34, v23
	v_lshrrev_b32_e32 v23, 16, v23
.LBB960_115:                            ;   in Loop: Header=BB960_15 Depth=1
	s_or_b64 exec, exec, s[10:11]
.LBB960_116:                            ;   in Loop: Header=BB960_15 Depth=1
	s_or_b64 exec, exec, s[6:7]
.LBB960_117:                            ;   in Loop: Header=BB960_15 Depth=1
	s_or_b64 exec, exec, s[4:5]
	v_lshrrev_b16_e32 v34, 8, v32
	v_cmp_ne_u16_e32 vcc, 0, v34
	v_mov_b32_e32 v36, 0
	v_mov_b32_e32 v35, 0
	s_and_saveexec_b64 s[4:5], vcc
	s_cbranch_execz .LBB960_123
; %bb.118:                              ;   in Loop: Header=BB960_15 Depth=1
	v_cmp_ne_u16_e32 vcc, s13, v34
	v_mov_b32_e32 v35, 0xffff8000
	s_and_saveexec_b64 s[6:7], vcc
	s_cbranch_execz .LBB960_122
; %bb.119:                              ;   in Loop: Header=BB960_15 Depth=1
	v_and_b32_e32 v37, 0x7f, v34
	v_cmp_ne_u32_e32 vcc, s14, v37
	v_mov_b32_e32 v35, 0x7f80
	s_and_saveexec_b64 s[10:11], vcc
	s_cbranch_execz .LBB960_121
; %bb.120:                              ;   in Loop: Header=BB960_15 Depth=1
	v_and_b32_e32 v38, 7, v34
	v_ffbh_u32_e32 v35, v38
	v_min_u32_e32 v42, 32, v35
	v_subrev_u32_e32 v35, 28, v42
	v_lshlrev_b64 v[34:35], v35, v[34:35]
	v_lshrrev_b32_e32 v40, 3, v37
	v_sub_u32_e32 v35, 29, v42
	v_and_b32_e32 v34, 7, v34
	v_cmp_gt_u32_e32 vcc, 8, v37
	v_cndmask_b32_e32 v35, v40, v35, vcc
	v_cndmask_b32_e32 v34, v38, v34, vcc
	v_lshlrev_b32_e32 v37, 16, v32
	v_lshlrev_b32_e32 v34, 20, v34
	v_and_b32_e32 v37, 0x80000000, v37
	v_lshl_add_u32 v35, v35, 23, v33
	v_or3_b32 v34, v37, v35, v34
	v_lshrrev_b32_e32 v35, 16, v34
.LBB960_121:                            ;   in Loop: Header=BB960_15 Depth=1
	s_or_b64 exec, exec, s[10:11]
.LBB960_122:                            ;   in Loop: Header=BB960_15 Depth=1
	s_or_b64 exec, exec, s[6:7]
.LBB960_123:                            ;   in Loop: Header=BB960_15 Depth=1
	s_or_b64 exec, exec, s[4:5]
	v_lshrrev_b32_e32 v34, 16, v32
	v_cmp_ne_u16_sdwa s[6:7], v34, v31 src0_sel:BYTE_0 src1_sel:DWORD
	s_and_saveexec_b64 s[4:5], s[6:7]
	s_cbranch_execz .LBB960_129
; %bb.124:                              ;   in Loop: Header=BB960_15 Depth=1
	v_cmp_ne_u16_sdwa s[10:11], v34, s13 src0_sel:BYTE_0 src1_sel:DWORD
	v_mov_b32_e32 v36, 0xffff8000
	s_and_saveexec_b64 s[6:7], s[10:11]
	s_cbranch_execz .LBB960_128
; %bb.125:                              ;   in Loop: Header=BB960_15 Depth=1
	v_bfe_u32 v37, v32, 16, 7
	v_cmp_ne_u32_e32 vcc, s14, v37
	v_mov_b32_e32 v36, 0x7f80
	s_and_saveexec_b64 s[10:11], vcc
	s_cbranch_execz .LBB960_127
; %bb.126:                              ;   in Loop: Header=BB960_15 Depth=1
	v_and_b32_e32 v36, 7, v34
	v_ffbh_u32_e32 v40, v36
	v_min_u32_e32 v40, 32, v40
	v_subrev_u32_e32 v42, 28, v40
	v_lshlrev_b64 v[42:43], v42, v[34:35]
	v_lshrrev_b32_e32 v38, 3, v37
	v_sub_u32_e32 v40, 29, v40
	v_and_b32_e32 v42, 7, v42
	v_cmp_gt_u32_e32 vcc, 8, v37
	v_cndmask_b32_e32 v37, v38, v40, vcc
	v_cndmask_b32_e32 v36, v36, v42, vcc
	v_lshlrev_b32_e32 v34, 24, v34
	v_lshlrev_b32_e32 v36, 20, v36
	v_and_b32_e32 v34, 0x80000000, v34
	v_lshl_add_u32 v37, v37, 23, v33
	v_or3_b32 v34, v34, v37, v36
	v_lshrrev_b32_e32 v36, 16, v34
.LBB960_127:                            ;   in Loop: Header=BB960_15 Depth=1
	s_or_b64 exec, exec, s[10:11]
.LBB960_128:                            ;   in Loop: Header=BB960_15 Depth=1
	s_or_b64 exec, exec, s[6:7]
.LBB960_129:                            ;   in Loop: Header=BB960_15 Depth=1
	s_or_b64 exec, exec, s[4:5]
	v_cmp_lt_u32_e32 vcc, s15, v32
	v_mov_b32_e32 v37, 0
	v_mov_b32_e32 v38, 0
	s_and_saveexec_b64 s[4:5], vcc
	s_cbranch_execz .LBB960_135
; %bb.130:                              ;   in Loop: Header=BB960_15 Depth=1
	v_lshrrev_b32_e32 v34, 24, v32
	v_cmp_ne_u32_e32 vcc, s13, v34
	v_mov_b32_e32 v38, 0xffff8000
	s_and_saveexec_b64 s[6:7], vcc
	s_cbranch_execz .LBB960_134
; %bb.131:                              ;   in Loop: Header=BB960_15 Depth=1
	v_bfe_u32 v32, v32, 24, 7
	v_cmp_ne_u32_e32 vcc, s14, v32
	v_mov_b32_e32 v38, 0x7f80
	s_and_saveexec_b64 s[10:11], vcc
	s_cbranch_execz .LBB960_133
; %bb.132:                              ;   in Loop: Header=BB960_15 Depth=1
	v_and_b32_e32 v38, 7, v34
	v_ffbh_u32_e32 v42, v38
	v_min_u32_e32 v44, 32, v42
	v_subrev_u32_e32 v42, 28, v44
	v_lshlrev_b64 v[42:43], v42, v[34:35]
	v_lshrrev_b32_e32 v40, 3, v32
	v_sub_u32_e32 v43, 29, v44
	v_and_b32_e32 v42, 7, v42
	v_cmp_gt_u32_e32 vcc, 8, v32
	v_cndmask_b32_e32 v32, v40, v43, vcc
	v_cndmask_b32_e32 v38, v38, v42, vcc
	v_lshlrev_b32_e32 v34, 24, v34
	v_lshlrev_b32_e32 v38, 20, v38
	v_and_b32_e32 v34, 0x80000000, v34
	v_lshl_add_u32 v32, v32, 23, v33
	v_or3_b32 v32, v34, v32, v38
	v_lshrrev_b32_e32 v38, 16, v32
.LBB960_133:                            ;   in Loop: Header=BB960_15 Depth=1
	s_or_b64 exec, exec, s[10:11]
.LBB960_134:                            ;   in Loop: Header=BB960_15 Depth=1
	s_or_b64 exec, exec, s[6:7]
.LBB960_135:                            ;   in Loop: Header=BB960_15 Depth=1
	s_or_b64 exec, exec, s[4:5]
	s_waitcnt vmcnt(2)
	v_cmp_ne_u16_sdwa s[6:7], v30, v31 src0_sel:BYTE_0 src1_sel:DWORD
	s_and_saveexec_b64 s[4:5], s[6:7]
	s_cbranch_execz .LBB960_141
; %bb.136:                              ;   in Loop: Header=BB960_15 Depth=1
	v_cmp_ne_u16_sdwa s[10:11], v30, s13 src0_sel:BYTE_0 src1_sel:DWORD
	v_mov_b32_e32 v37, 0xffff8000
	s_and_saveexec_b64 s[6:7], s[10:11]
	s_cbranch_execz .LBB960_140
; %bb.137:                              ;   in Loop: Header=BB960_15 Depth=1
	v_and_b32_e32 v32, 0x7f, v30
	v_cmp_ne_u32_e32 vcc, s14, v32
	v_mov_b32_e32 v37, 0x7f80
	s_and_saveexec_b64 s[10:11], vcc
	s_cbranch_execz .LBB960_139
; %bb.138:                              ;   in Loop: Header=BB960_15 Depth=1
	v_and_b32_e32 v34, 7, v30
	v_ffbh_u32_e32 v40, v34
	v_min_u32_e32 v40, 32, v40
	v_subrev_u32_e32 v42, 28, v40
	v_lshlrev_b64 v[42:43], v42, v[30:31]
	v_lshrrev_b32_e32 v37, 3, v32
	v_sub_u32_e32 v40, 29, v40
	v_and_b32_e32 v42, 7, v42
	v_cmp_gt_u32_e32 vcc, 8, v32
	v_cndmask_b32_e32 v32, v37, v40, vcc
	v_cndmask_b32_e32 v34, v34, v42, vcc
	v_lshlrev_b32_e32 v37, 24, v30
	v_lshlrev_b32_e32 v34, 20, v34
	v_and_b32_e32 v37, 0x80000000, v37
	v_lshl_add_u32 v32, v32, 23, v33
	v_or3_b32 v32, v37, v32, v34
	v_lshrrev_b32_e32 v37, 16, v32
.LBB960_139:                            ;   in Loop: Header=BB960_15 Depth=1
	s_or_b64 exec, exec, s[10:11]
.LBB960_140:                            ;   in Loop: Header=BB960_15 Depth=1
	s_or_b64 exec, exec, s[6:7]
.LBB960_141:                            ;   in Loop: Header=BB960_15 Depth=1
	s_or_b64 exec, exec, s[4:5]
	v_lshrrev_b16_e32 v32, 8, v30
	v_cmp_ne_u16_e32 vcc, 0, v32
	v_mov_b32_e32 v42, 0
	v_mov_b32_e32 v40, 0
	s_and_saveexec_b64 s[4:5], vcc
	s_cbranch_execz .LBB960_147
; %bb.142:                              ;   in Loop: Header=BB960_15 Depth=1
	v_cmp_ne_u16_e32 vcc, s13, v32
	v_mov_b32_e32 v40, 0xffff8000
	s_and_saveexec_b64 s[6:7], vcc
	s_cbranch_execz .LBB960_146
; %bb.143:                              ;   in Loop: Header=BB960_15 Depth=1
	v_and_b32_e32 v34, 0x7f, v32
	v_cmp_ne_u32_e32 vcc, s14, v34
	v_mov_b32_e32 v40, 0x7f80
	s_and_saveexec_b64 s[10:11], vcc
	s_cbranch_execz .LBB960_145
; %bb.144:                              ;   in Loop: Header=BB960_15 Depth=1
	v_and_b32_e32 v40, 7, v32
	v_ffbh_u32_e32 v44, v40
	v_min_u32_e32 v46, 32, v44
	v_subrev_u32_e32 v44, 28, v46
	v_lshlrev_b64 v[44:45], v44, v[32:33]
	v_lshrrev_b32_e32 v43, 3, v34
	v_sub_u32_e32 v32, 29, v46
	v_and_b32_e32 v44, 7, v44
	v_cmp_gt_u32_e32 vcc, 8, v34
	v_cndmask_b32_e32 v32, v43, v32, vcc
	v_cndmask_b32_e32 v34, v40, v44, vcc
	v_lshlrev_b32_e32 v40, 16, v30
	v_lshlrev_b32_e32 v34, 20, v34
	v_and_b32_e32 v40, 0x80000000, v40
	v_lshl_add_u32 v32, v32, 23, v33
	v_or3_b32 v32, v40, v32, v34
	v_lshrrev_b32_e32 v40, 16, v32
.LBB960_145:                            ;   in Loop: Header=BB960_15 Depth=1
	s_or_b64 exec, exec, s[10:11]
.LBB960_146:                            ;   in Loop: Header=BB960_15 Depth=1
	s_or_b64 exec, exec, s[6:7]
.LBB960_147:                            ;   in Loop: Header=BB960_15 Depth=1
	s_or_b64 exec, exec, s[4:5]
	v_lshrrev_b32_e32 v32, 16, v30
	v_cmp_ne_u16_sdwa s[6:7], v32, v31 src0_sel:BYTE_0 src1_sel:DWORD
	s_and_saveexec_b64 s[4:5], s[6:7]
	s_cbranch_execz .LBB960_153
; %bb.148:                              ;   in Loop: Header=BB960_15 Depth=1
	v_cmp_ne_u16_sdwa s[10:11], v32, s13 src0_sel:BYTE_0 src1_sel:DWORD
	v_mov_b32_e32 v42, 0xffff8000
	s_and_saveexec_b64 s[6:7], s[10:11]
	s_cbranch_execz .LBB960_152
; %bb.149:                              ;   in Loop: Header=BB960_15 Depth=1
	v_bfe_u32 v34, v30, 16, 7
	v_cmp_ne_u32_e32 vcc, s14, v34
	v_mov_b32_e32 v42, 0x7f80
	s_and_saveexec_b64 s[10:11], vcc
	s_cbranch_execz .LBB960_151
; %bb.150:                              ;   in Loop: Header=BB960_15 Depth=1
	v_and_b32_e32 v44, 7, v32
	v_ffbh_u32_e32 v42, v44
	v_min_u32_e32 v46, 32, v42
	v_subrev_u32_e32 v42, 28, v46
	v_lshlrev_b64 v[42:43], v42, v[32:33]
	v_lshrrev_b32_e32 v45, 3, v34
	v_sub_u32_e32 v43, 29, v46
	v_and_b32_e32 v42, 7, v42
	v_cmp_gt_u32_e32 vcc, 8, v34
	v_cndmask_b32_e32 v34, v45, v43, vcc
	v_cndmask_b32_e32 v42, v44, v42, vcc
	v_lshlrev_b32_e32 v32, 24, v32
	v_lshlrev_b32_e32 v42, 20, v42
	v_and_b32_e32 v32, 0x80000000, v32
	v_lshl_add_u32 v34, v34, 23, v33
	v_or3_b32 v32, v32, v34, v42
	v_lshrrev_b32_e32 v42, 16, v32
.LBB960_151:                            ;   in Loop: Header=BB960_15 Depth=1
	s_or_b64 exec, exec, s[10:11]
.LBB960_152:                            ;   in Loop: Header=BB960_15 Depth=1
	s_or_b64 exec, exec, s[6:7]
.LBB960_153:                            ;   in Loop: Header=BB960_15 Depth=1
	s_or_b64 exec, exec, s[4:5]
	v_cmp_lt_u32_e32 vcc, s15, v30
	v_mov_b32_e32 v34, 0
	v_mov_b32_e32 v43, 0
	s_and_saveexec_b64 s[4:5], vcc
	s_cbranch_execz .LBB960_159
; %bb.154:                              ;   in Loop: Header=BB960_15 Depth=1
	v_lshrrev_b32_e32 v32, 24, v30
	v_cmp_ne_u32_e32 vcc, s13, v32
	v_mov_b32_e32 v43, 0xffff8000
	s_and_saveexec_b64 s[6:7], vcc
	s_cbranch_execz .LBB960_158
; %bb.155:                              ;   in Loop: Header=BB960_15 Depth=1
	v_bfe_u32 v30, v30, 24, 7
	v_cmp_ne_u32_e32 vcc, s14, v30
	v_mov_b32_e32 v43, 0x7f80
	s_and_saveexec_b64 s[10:11], vcc
	s_cbranch_execz .LBB960_157
; %bb.156:                              ;   in Loop: Header=BB960_15 Depth=1
	v_and_b32_e32 v43, 7, v32
	v_ffbh_u32_e32 v44, v43
	v_min_u32_e32 v47, 32, v44
	v_subrev_u32_e32 v44, 28, v47
	v_lshlrev_b64 v[44:45], v44, v[32:33]
	v_lshrrev_b32_e32 v46, 3, v30
	v_sub_u32_e32 v45, 29, v47
	v_and_b32_e32 v44, 7, v44
	v_cmp_gt_u32_e32 vcc, 8, v30
	v_cndmask_b32_e32 v30, v46, v45, vcc
	v_cndmask_b32_e32 v43, v43, v44, vcc
	v_lshlrev_b32_e32 v32, 24, v32
	v_lshlrev_b32_e32 v43, 20, v43
	v_and_b32_e32 v32, 0x80000000, v32
	v_lshl_add_u32 v30, v30, 23, v33
	v_or3_b32 v30, v32, v30, v43
	v_lshrrev_b32_e32 v43, 16, v30
.LBB960_157:                            ;   in Loop: Header=BB960_15 Depth=1
	s_or_b64 exec, exec, s[10:11]
.LBB960_158:                            ;   in Loop: Header=BB960_15 Depth=1
	s_or_b64 exec, exec, s[6:7]
.LBB960_159:                            ;   in Loop: Header=BB960_15 Depth=1
	s_or_b64 exec, exec, s[4:5]
	v_perm_b32 v45, v38, v36, s16
	v_perm_b32 v44, v35, v23, s16
	;; [unrolled: 1-line block ×4, first 2 shown]
	s_waitcnt vmcnt(1)
	v_cmp_ne_u16_sdwa s[6:7], v28, v31 src0_sel:BYTE_0 src1_sel:DWORD
	v_mfma_f32_16x16x16bf16_1k v[18:21], v[44:45], v[10:11], v[18:21]
	v_mfma_f32_16x16x16bf16_1k v[18:21], v[42:43], v[12:13], v[18:21]
	s_and_saveexec_b64 s[4:5], s[6:7]
	s_cbranch_execz .LBB960_165
; %bb.160:                              ;   in Loop: Header=BB960_15 Depth=1
	v_cmp_ne_u16_sdwa s[10:11], v28, s13 src0_sel:BYTE_0 src1_sel:DWORD
	v_mov_b32_e32 v34, 0xffff8000
	s_and_saveexec_b64 s[6:7], s[10:11]
	s_cbranch_execz .LBB960_164
; %bb.161:                              ;   in Loop: Header=BB960_15 Depth=1
	v_and_b32_e32 v23, 0x7f, v28
	v_cmp_ne_u32_e32 vcc, s14, v23
	v_mov_b32_e32 v34, 0x7f80
	s_and_saveexec_b64 s[10:11], vcc
	s_cbranch_execz .LBB960_163
; %bb.162:                              ;   in Loop: Header=BB960_15 Depth=1
	v_and_b32_e32 v30, 7, v28
	v_ffbh_u32_e32 v34, v30
	v_min_u32_e32 v36, 32, v34
	v_subrev_u32_e32 v34, 28, v36
	v_lshlrev_b64 v[34:35], v34, v[28:29]
	v_lshrrev_b32_e32 v32, 3, v23
	v_sub_u32_e32 v35, 29, v36
	v_and_b32_e32 v34, 7, v34
	v_cmp_gt_u32_e32 vcc, 8, v23
	v_cndmask_b32_e32 v23, v32, v35, vcc
	v_cndmask_b32_e32 v30, v30, v34, vcc
	v_lshlrev_b32_e32 v32, 24, v28
	v_lshlrev_b32_e32 v30, 20, v30
	v_and_b32_e32 v32, 0x80000000, v32
	v_lshl_add_u32 v23, v23, 23, v33
	v_or3_b32 v23, v32, v23, v30
	v_lshrrev_b32_e32 v34, 16, v23
.LBB960_163:                            ;   in Loop: Header=BB960_15 Depth=1
	s_or_b64 exec, exec, s[10:11]
.LBB960_164:                            ;   in Loop: Header=BB960_15 Depth=1
	s_or_b64 exec, exec, s[6:7]
.LBB960_165:                            ;   in Loop: Header=BB960_15 Depth=1
	s_or_b64 exec, exec, s[4:5]
	v_lshrrev_b16_e32 v30, 8, v28
	v_cmp_ne_u16_e32 vcc, 0, v30
	v_mov_b32_e32 v32, 0
	v_mov_b32_e32 v23, 0
	s_and_saveexec_b64 s[4:5], vcc
	s_cbranch_execz .LBB960_171
; %bb.166:                              ;   in Loop: Header=BB960_15 Depth=1
	v_cmp_ne_u16_e32 vcc, s13, v30
	v_mov_b32_e32 v23, 0xffff8000
	s_and_saveexec_b64 s[6:7], vcc
	s_cbranch_execz .LBB960_170
; %bb.167:                              ;   in Loop: Header=BB960_15 Depth=1
	v_and_b32_e32 v35, 0x7f, v30
	v_cmp_ne_u32_e32 vcc, s14, v35
	v_mov_b32_e32 v23, 0x7f80
	s_and_saveexec_b64 s[10:11], vcc
	s_cbranch_execz .LBB960_169
; %bb.168:                              ;   in Loop: Header=BB960_15 Depth=1
	v_and_b32_e32 v23, 7, v30
	v_ffbh_u32_e32 v36, v23
	v_min_u32_e32 v40, 32, v36
	v_subrev_u32_e32 v36, 28, v40
	v_lshlrev_b64 v[36:37], v36, v[30:31]
	v_lshrrev_b32_e32 v38, 3, v35
	v_sub_u32_e32 v30, 29, v40
	v_and_b32_e32 v36, 7, v36
	v_cmp_gt_u32_e32 vcc, 8, v35
	v_cndmask_b32_e32 v30, v38, v30, vcc
	v_cndmask_b32_e32 v23, v23, v36, vcc
	v_lshlrev_b32_e32 v35, 16, v28
	v_lshlrev_b32_e32 v23, 20, v23
	v_and_b32_e32 v35, 0x80000000, v35
	v_lshl_add_u32 v30, v30, 23, v33
	v_or3_b32 v23, v35, v30, v23
	v_lshrrev_b32_e32 v23, 16, v23
.LBB960_169:                            ;   in Loop: Header=BB960_15 Depth=1
	s_or_b64 exec, exec, s[10:11]
.LBB960_170:                            ;   in Loop: Header=BB960_15 Depth=1
	s_or_b64 exec, exec, s[6:7]
.LBB960_171:                            ;   in Loop: Header=BB960_15 Depth=1
	s_or_b64 exec, exec, s[4:5]
	v_lshrrev_b32_e32 v30, 16, v28
	v_cmp_ne_u16_sdwa s[6:7], v30, v31 src0_sel:BYTE_0 src1_sel:DWORD
	s_and_saveexec_b64 s[4:5], s[6:7]
	s_cbranch_execz .LBB960_177
; %bb.172:                              ;   in Loop: Header=BB960_15 Depth=1
	v_cmp_ne_u16_sdwa s[10:11], v30, s13 src0_sel:BYTE_0 src1_sel:DWORD
	v_mov_b32_e32 v32, 0xffff8000
	s_and_saveexec_b64 s[6:7], s[10:11]
	s_cbranch_execz .LBB960_176
; %bb.173:                              ;   in Loop: Header=BB960_15 Depth=1
	v_bfe_u32 v35, v28, 16, 7
	v_cmp_ne_u32_e32 vcc, s14, v35
	v_mov_b32_e32 v32, 0x7f80
	s_and_saveexec_b64 s[10:11], vcc
	s_cbranch_execz .LBB960_175
; %bb.174:                              ;   in Loop: Header=BB960_15 Depth=1
	v_and_b32_e32 v32, 7, v30
	v_ffbh_u32_e32 v36, v32
	v_min_u32_e32 v40, 32, v36
	v_subrev_u32_e32 v36, 28, v40
	v_lshlrev_b64 v[36:37], v36, v[30:31]
	v_lshrrev_b32_e32 v38, 3, v35
	v_sub_u32_e32 v37, 29, v40
	v_and_b32_e32 v36, 7, v36
	v_cmp_gt_u32_e32 vcc, 8, v35
	v_cndmask_b32_e32 v35, v38, v37, vcc
	v_cndmask_b32_e32 v32, v32, v36, vcc
	v_lshlrev_b32_e32 v30, 24, v30
	v_lshlrev_b32_e32 v32, 20, v32
	v_and_b32_e32 v30, 0x80000000, v30
	v_lshl_add_u32 v35, v35, 23, v33
	v_or3_b32 v30, v30, v35, v32
	v_lshrrev_b32_e32 v32, 16, v30
.LBB960_175:                            ;   in Loop: Header=BB960_15 Depth=1
	s_or_b64 exec, exec, s[10:11]
.LBB960_176:                            ;   in Loop: Header=BB960_15 Depth=1
	s_or_b64 exec, exec, s[6:7]
.LBB960_177:                            ;   in Loop: Header=BB960_15 Depth=1
	s_or_b64 exec, exec, s[4:5]
	v_cmp_lt_u32_e32 vcc, s15, v28
	v_mov_b32_e32 v35, 0
	v_mov_b32_e32 v36, 0
	s_and_saveexec_b64 s[4:5], vcc
	s_cbranch_execz .LBB960_183
; %bb.178:                              ;   in Loop: Header=BB960_15 Depth=1
	v_lshrrev_b32_e32 v30, 24, v28
	v_cmp_ne_u32_e32 vcc, s13, v30
	v_mov_b32_e32 v36, 0xffff8000
	s_and_saveexec_b64 s[6:7], vcc
	s_cbranch_execz .LBB960_182
; %bb.179:                              ;   in Loop: Header=BB960_15 Depth=1
	v_bfe_u32 v28, v28, 24, 7
	v_cmp_ne_u32_e32 vcc, s14, v28
	v_mov_b32_e32 v36, 0x7f80
	s_and_saveexec_b64 s[10:11], vcc
	s_cbranch_execz .LBB960_181
; %bb.180:                              ;   in Loop: Header=BB960_15 Depth=1
	v_and_b32_e32 v38, 7, v30
	v_ffbh_u32_e32 v36, v38
	v_min_u32_e32 v42, 32, v36
	v_subrev_u32_e32 v36, 28, v42
	v_lshlrev_b64 v[36:37], v36, v[30:31]
	v_lshrrev_b32_e32 v40, 3, v28
	v_sub_u32_e32 v37, 29, v42
	v_and_b32_e32 v36, 7, v36
	v_cmp_gt_u32_e32 vcc, 8, v28
	v_cndmask_b32_e32 v28, v40, v37, vcc
	v_cndmask_b32_e32 v36, v38, v36, vcc
	v_lshlrev_b32_e32 v30, 24, v30
	v_lshlrev_b32_e32 v36, 20, v36
	v_and_b32_e32 v30, 0x80000000, v30
	v_lshl_add_u32 v28, v28, 23, v33
	v_or3_b32 v28, v30, v28, v36
	v_lshrrev_b32_e32 v36, 16, v28
.LBB960_181:                            ;   in Loop: Header=BB960_15 Depth=1
	s_or_b64 exec, exec, s[10:11]
.LBB960_182:                            ;   in Loop: Header=BB960_15 Depth=1
	s_or_b64 exec, exec, s[6:7]
.LBB960_183:                            ;   in Loop: Header=BB960_15 Depth=1
	s_or_b64 exec, exec, s[4:5]
	s_waitcnt vmcnt(0)
	v_cmp_ne_u16_sdwa s[6:7], v26, v31 src0_sel:BYTE_0 src1_sel:DWORD
	s_and_saveexec_b64 s[4:5], s[6:7]
	s_cbranch_execz .LBB960_189
; %bb.184:                              ;   in Loop: Header=BB960_15 Depth=1
	v_cmp_ne_u16_sdwa s[10:11], v26, s13 src0_sel:BYTE_0 src1_sel:DWORD
	v_mov_b32_e32 v35, 0xffff8000
	s_and_saveexec_b64 s[6:7], s[10:11]
	s_cbranch_execz .LBB960_188
; %bb.185:                              ;   in Loop: Header=BB960_15 Depth=1
	v_and_b32_e32 v28, 0x7f, v26
	v_cmp_ne_u32_e32 vcc, s14, v28
	v_mov_b32_e32 v35, 0x7f80
	s_and_saveexec_b64 s[10:11], vcc
	s_cbranch_execz .LBB960_187
; %bb.186:                              ;   in Loop: Header=BB960_15 Depth=1
	v_and_b32_e32 v30, 7, v26
	v_ffbh_u32_e32 v37, v30
	v_min_u32_e32 v37, 32, v37
	v_subrev_u32_e32 v38, 28, v37
	v_lshlrev_b64 v[42:43], v38, v[26:27]
	v_lshrrev_b32_e32 v35, 3, v28
	v_sub_u32_e32 v37, 29, v37
	v_and_b32_e32 v38, 7, v42
	v_cmp_gt_u32_e32 vcc, 8, v28
	v_cndmask_b32_e32 v28, v35, v37, vcc
	v_cndmask_b32_e32 v30, v30, v38, vcc
	v_lshlrev_b32_e32 v35, 24, v26
	v_lshlrev_b32_e32 v30, 20, v30
	v_and_b32_e32 v35, 0x80000000, v35
	v_lshl_add_u32 v28, v28, 23, v33
	v_or3_b32 v28, v35, v28, v30
	v_lshrrev_b32_e32 v35, 16, v28
.LBB960_187:                            ;   in Loop: Header=BB960_15 Depth=1
	s_or_b64 exec, exec, s[10:11]
.LBB960_188:                            ;   in Loop: Header=BB960_15 Depth=1
	s_or_b64 exec, exec, s[6:7]
.LBB960_189:                            ;   in Loop: Header=BB960_15 Depth=1
	s_or_b64 exec, exec, s[4:5]
	v_lshrrev_b16_e32 v28, 8, v26
	v_cmp_ne_u16_e32 vcc, 0, v28
	v_mov_b32_e32 v37, 0
	v_mov_b32_e32 v30, 0
	s_and_saveexec_b64 s[4:5], vcc
	s_cbranch_execz .LBB960_195
; %bb.190:                              ;   in Loop: Header=BB960_15 Depth=1
	v_cmp_ne_u16_e32 vcc, s13, v28
	v_mov_b32_e32 v30, 0xffff8000
	s_and_saveexec_b64 s[6:7], vcc
	s_cbranch_execz .LBB960_194
; %bb.191:                              ;   in Loop: Header=BB960_15 Depth=1
	v_and_b32_e32 v38, 0x7f, v28
	v_cmp_ne_u32_e32 vcc, s14, v38
	v_mov_b32_e32 v30, 0x7f80
	s_and_saveexec_b64 s[10:11], vcc
	s_cbranch_execz .LBB960_193
; %bb.192:                              ;   in Loop: Header=BB960_15 Depth=1
	v_and_b32_e32 v30, 7, v28
	v_ffbh_u32_e32 v42, v30
	v_min_u32_e32 v44, 32, v42
	v_subrev_u32_e32 v42, 28, v44
	v_lshlrev_b64 v[42:43], v42, v[28:29]
	v_lshrrev_b32_e32 v40, 3, v38
	v_sub_u32_e32 v28, 29, v44
	v_and_b32_e32 v42, 7, v42
	v_cmp_gt_u32_e32 vcc, 8, v38
	v_cndmask_b32_e32 v28, v40, v28, vcc
	v_cndmask_b32_e32 v30, v30, v42, vcc
	v_lshlrev_b32_e32 v38, 16, v26
	v_lshlrev_b32_e32 v30, 20, v30
	v_and_b32_e32 v38, 0x80000000, v38
	v_lshl_add_u32 v28, v28, 23, v33
	v_or3_b32 v28, v38, v28, v30
	v_lshrrev_b32_e32 v30, 16, v28
.LBB960_193:                            ;   in Loop: Header=BB960_15 Depth=1
	s_or_b64 exec, exec, s[10:11]
.LBB960_194:                            ;   in Loop: Header=BB960_15 Depth=1
	s_or_b64 exec, exec, s[6:7]
.LBB960_195:                            ;   in Loop: Header=BB960_15 Depth=1
	s_or_b64 exec, exec, s[4:5]
	v_lshrrev_b32_e32 v28, 16, v26
	v_cmp_ne_u16_sdwa s[6:7], v28, v31 src0_sel:BYTE_0 src1_sel:DWORD
	s_and_saveexec_b64 s[4:5], s[6:7]
	s_cbranch_execz .LBB960_201
; %bb.196:                              ;   in Loop: Header=BB960_15 Depth=1
	v_cmp_ne_u16_sdwa s[10:11], v28, s13 src0_sel:BYTE_0 src1_sel:DWORD
	v_mov_b32_e32 v37, 0xffff8000
	s_and_saveexec_b64 s[6:7], s[10:11]
	s_cbranch_execz .LBB960_200
; %bb.197:                              ;   in Loop: Header=BB960_15 Depth=1
	v_bfe_u32 v38, v26, 16, 7
	v_cmp_ne_u32_e32 vcc, s14, v38
	v_mov_b32_e32 v37, 0x7f80
	s_and_saveexec_b64 s[10:11], vcc
	s_cbranch_execz .LBB960_199
; %bb.198:                              ;   in Loop: Header=BB960_15 Depth=1
	v_and_b32_e32 v37, 7, v28
	v_ffbh_u32_e32 v42, v37
	v_min_u32_e32 v44, 32, v42
	v_subrev_u32_e32 v42, 28, v44
	v_lshlrev_b64 v[42:43], v42, v[28:29]
	v_lshrrev_b32_e32 v40, 3, v38
	v_sub_u32_e32 v43, 29, v44
	v_and_b32_e32 v42, 7, v42
	v_cmp_gt_u32_e32 vcc, 8, v38
	v_cndmask_b32_e32 v38, v40, v43, vcc
	v_cndmask_b32_e32 v37, v37, v42, vcc
	v_lshlrev_b32_e32 v28, 24, v28
	v_lshlrev_b32_e32 v37, 20, v37
	v_and_b32_e32 v28, 0x80000000, v28
	v_lshl_add_u32 v38, v38, 23, v33
	v_or3_b32 v28, v28, v38, v37
	v_lshrrev_b32_e32 v37, 16, v28
.LBB960_199:                            ;   in Loop: Header=BB960_15 Depth=1
	s_or_b64 exec, exec, s[10:11]
.LBB960_200:                            ;   in Loop: Header=BB960_15 Depth=1
	s_or_b64 exec, exec, s[6:7]
.LBB960_201:                            ;   in Loop: Header=BB960_15 Depth=1
	s_or_b64 exec, exec, s[4:5]
	v_cmp_lt_u32_e32 vcc, s15, v26
	v_mov_b32_e32 v38, 0
	s_and_saveexec_b64 s[4:5], vcc
	s_cbranch_execz .LBB960_14
; %bb.202:                              ;   in Loop: Header=BB960_15 Depth=1
	v_lshrrev_b32_e32 v28, 24, v26
	v_cmp_ne_u32_e32 vcc, s13, v28
	v_mov_b32_e32 v38, 0xffff8000
	s_and_saveexec_b64 s[6:7], vcc
	s_cbranch_execz .LBB960_13
; %bb.203:                              ;   in Loop: Header=BB960_15 Depth=1
	v_bfe_u32 v26, v26, 24, 7
	v_cmp_ne_u32_e32 vcc, s14, v26
	v_mov_b32_e32 v38, 0x7f80
	s_and_saveexec_b64 s[10:11], vcc
	s_cbranch_execz .LBB960_12
; %bb.204:                              ;   in Loop: Header=BB960_15 Depth=1
	v_and_b32_e32 v38, 7, v28
	v_ffbh_u32_e32 v42, v38
	v_min_u32_e32 v44, 32, v42
	v_subrev_u32_e32 v42, 28, v44
	v_lshlrev_b64 v[42:43], v42, v[28:29]
	v_lshrrev_b32_e32 v40, 3, v26
	v_sub_u32_e32 v43, 29, v44
	v_and_b32_e32 v42, 7, v42
	v_cmp_gt_u32_e32 vcc, 8, v26
	v_cndmask_b32_e32 v26, v40, v43, vcc
	v_cndmask_b32_e32 v38, v38, v42, vcc
	v_lshlrev_b32_e32 v28, 24, v28
	v_lshlrev_b32_e32 v38, 20, v38
	v_and_b32_e32 v28, 0x80000000, v28
	v_lshl_add_u32 v26, v26, 23, v33
	v_or3_b32 v26, v28, v26, v38
	v_lshrrev_b32_e32 v38, 16, v26
	s_branch .LBB960_12
.LBB960_205:
	buffer_load_dword v13, off, s[0:3], 0 offset:256
	buffer_load_dword v14, off, s[0:3], 0 offset:260
	;; [unrolled: 1-line block ×16, first 2 shown]
	v_and_b32_e32 v12, 0xc0, v0
	v_add_u32_e32 v12, s20, v12
	v_lshl_or_b32 v12, v55, 2, v12
	v_or_b32_e32 v23, 1, v12
	v_mov_b32_e32 v19, 0xff7fffff
	v_or_b32_e32 v24, 2, v12
	v_or_b32_e32 v25, 3, v12
	v_cmp_gt_i32_e64 s[26:27], s33, v12
	v_cmp_gt_i32_e64 s[28:29], s33, v23
	s_mov_b32 s52, 0xff7fffff
	v_or_b32_e32 v26, 16, v12
	v_or_b32_e32 v27, 17, v12
	;; [unrolled: 1-line block ×12, first 2 shown]
	v_cmp_gt_i32_e64 s[30:31], s33, v24
	v_cmp_gt_i32_e64 s[34:35], s33, v25
	v_mbcnt_lo_u32_b32 v20, -1, 0
	v_cmp_gt_i32_e64 s[36:37], s33, v26
	v_cmp_gt_i32_e64 s[38:39], s33, v27
	v_mbcnt_hi_u32_b32 v20, -1, v20
	v_cmp_gt_i32_e64 s[20:21], s33, v28
	v_cmp_gt_i32_e64 s[22:23], s33, v29
	v_and_b32_e32 v21, 64, v20
	v_cmp_gt_i32_e64 s[16:17], s33, v30
	v_cmp_gt_i32_e64 s[18:19], s33, v31
	v_xor_b32_e32 v22, 32, v20
	v_add_u32_e32 v21, 64, v21
	v_cmp_gt_i32_e64 s[12:13], s33, v32
	v_cmp_gt_i32_e64 s[14:15], s33, v33
	v_cmp_lt_i32_e32 vcc, v22, v21
	v_cmp_gt_i32_e64 s[6:7], s33, v34
	v_cmp_gt_i32_e64 s[10:11], s33, v35
	v_cndmask_b32_e32 v22, v20, v22, vcc
	v_cmp_gt_i32_e32 vcc, s33, v36
	v_cmp_gt_i32_e64 s[4:5], s33, v37
	v_lshlrev_b32_e32 v22, 2, v22
	s_waitcnt vmcnt(15)
	v_cndmask_b32_e64 v12, v19, v13, s[26:27]
	s_waitcnt vmcnt(14)
	v_cndmask_b32_e64 v23, v19, v14, s[28:29]
	;; [unrolled: 2-line block ×4, first 2 shown]
	v_max3_f32 v12, v12, s52, v23
	s_waitcnt vmcnt(11)
	v_cndmask_b32_e64 v26, v19, v17, s[36:37]
	s_waitcnt vmcnt(10)
	v_cndmask_b32_e64 v27, v19, v18, s[38:39]
	v_max3_f32 v12, v12, v24, v25
	s_waitcnt vmcnt(9)
	v_cndmask_b32_e64 v28, v19, v11, s[20:21]
	s_waitcnt vmcnt(8)
	v_cndmask_b32_e64 v29, v19, v10, s[22:23]
	;; [unrolled: 5-line block ×5, first 2 shown]
	v_max3_f32 v12, v12, v32, v33
	s_waitcnt vmcnt(1)
	v_cndmask_b32_e32 v36, v19, v3, vcc
	s_waitcnt vmcnt(0)
	v_cndmask_b32_e64 v19, v19, v2, s[4:5]
	v_max3_f32 v12, v12, v34, v35
	v_max3_f32 v12, v12, v36, v19
	ds_bpermute_b32 v19, v22, v12
	v_xor_b32_e32 v23, 16, v20
	v_cmp_lt_i32_e64 s[40:41], v23, v21
	v_cndmask_b32_e64 v20, v20, v23, s[40:41]
	v_lshlrev_b32_e32 v20, 2, v20
	s_waitcnt lgkmcnt(0)
	v_max_f32_e32 v19, v19, v19
	v_max_f32_e32 v12, v12, v19
	ds_bpermute_b32 v19, v20, v12
	s_waitcnt lgkmcnt(0)
	v_max_f32_e32 v19, v19, v19
	v_max_f32_e32 v12, v12, v19
	v_sub_f32_e32 v13, v13, v12
	v_sub_f32_e32 v14, v14, v12
	;; [unrolled: 1-line block ×3, first 2 shown]
	v_mul_f32_e32 v13, 0x3fb8aa3b, v13
	v_mul_f32_e32 v14, 0x3fb8aa3b, v14
	;; [unrolled: 1-line block ×3, first 2 shown]
	v_exp_f32_e32 v13, v13
	v_exp_f32_e32 v14, v14
	;; [unrolled: 1-line block ×3, first 2 shown]
	v_sub_f32_e32 v16, v16, v12
	v_cndmask_b32_e64 v13, 0, v13, s[26:27]
	v_mul_f32_e32 v16, 0x3fb8aa3b, v16
	v_cndmask_b32_e64 v14, 0, v14, s[28:29]
	v_cndmask_b32_e64 v15, 0, v15, s[30:31]
	v_add_f32_e32 v19, 0, v13
	buffer_store_dword v13, off, s[0:3], 0 offset:256
	buffer_store_dword v14, off, s[0:3], 0 offset:260
	;; [unrolled: 1-line block ×3, first 2 shown]
	v_sub_f32_e32 v13, v17, v12
	v_exp_f32_e32 v16, v16
	v_add_f32_e32 v19, v19, v14
	v_mul_f32_e32 v13, 0x3fb8aa3b, v13
	v_sub_f32_e32 v14, v18, v12
	v_exp_f32_e32 v13, v13
	v_mul_f32_e32 v14, 0x3fb8aa3b, v14
	v_sub_f32_e32 v11, v11, v12
	v_exp_f32_e32 v14, v14
	;; [unrolled: 3-line block ×3, first 2 shown]
	v_mul_f32_e32 v10, 0x3fb8aa3b, v10
	v_sub_f32_e32 v9, v9, v12
	v_cndmask_b32_e64 v16, 0, v16, s[34:35]
	v_add_f32_e32 v19, v19, v15
	v_exp_f32_e32 v10, v10
	v_mul_f32_e32 v9, 0x3fb8aa3b, v9
	v_sub_f32_e32 v8, v8, v12
	v_add_f32_e32 v19, v19, v16
	v_cndmask_b32_e64 v13, 0, v13, s[36:37]
	v_exp_f32_e32 v9, v9
	v_mul_f32_e32 v8, 0x3fb8aa3b, v8
	v_sub_f32_e32 v7, v7, v12
	v_add_f32_e32 v15, v19, v13
	v_cndmask_b32_e64 v14, 0, v14, s[38:39]
	;; [unrolled: 5-line block ×5, first 2 shown]
	v_exp_f32_e32 v5, v5
	v_mul_f32_e32 v4, 0x3fb8aa3b, v4
	v_sub_f32_e32 v3, v3, v12
	buffer_store_dword v16, off, s[0:3], 0 offset:268
	buffer_store_dword v13, off, s[0:3], 0 offset:272
	;; [unrolled: 1-line block ×5, first 2 shown]
	v_add_f32_e32 v10, v15, v9
	v_cndmask_b32_e64 v8, 0, v8, s[18:19]
	v_exp_f32_e32 v4, v4
	v_mul_f32_e32 v3, 0x3fb8aa3b, v3
	v_sub_f32_e32 v2, v2, v12
	v_add_f32_e32 v10, v10, v8
	v_cndmask_b32_e64 v7, 0, v7, s[12:13]
	v_exp_f32_e32 v3, v3
	v_mul_f32_e32 v2, 0x3fb8aa3b, v2
	v_add_f32_e32 v10, v10, v7
	v_cndmask_b32_e64 v6, 0, v6, s[14:15]
	v_exp_f32_e32 v2, v2
	v_add_f32_e32 v10, v10, v6
	v_cndmask_b32_e64 v5, 0, v5, s[6:7]
	buffer_store_dword v9, off, s[0:3], 0 offset:288
	buffer_store_dword v8, off, s[0:3], 0 offset:292
	;; [unrolled: 1-line block ×4, first 2 shown]
	v_add_f32_e32 v6, v10, v5
	v_cndmask_b32_e64 v4, 0, v4, s[10:11]
	v_add_f32_e32 v6, v6, v4
	v_cndmask_b32_e32 v3, 0, v3, vcc
	v_add_f32_e32 v6, v6, v3
	v_cndmask_b32_e64 v2, 0, v2, s[4:5]
	v_add_f32_e32 v6, v6, v2
	ds_bpermute_b32 v7, v22, v6
	buffer_store_dword v5, off, s[0:3], 0 offset:304
	buffer_store_dword v4, off, s[0:3], 0 offset:308
	;; [unrolled: 1-line block ×4, first 2 shown]
	v_cmp_gt_u32_e32 vcc, 16, v65
	s_waitcnt lgkmcnt(0)
	s_barrier
	v_add_f32_e32 v2, v6, v7
	ds_bpermute_b32 v3, v20, v2
	s_waitcnt lgkmcnt(0)
	s_and_saveexec_b64 s[4:5], vcc
	s_cbranch_execz .LBB960_207
; %bb.206:
	v_add_f32_e32 v2, v2, v3
	v_lshlrev_b32_e32 v3, 2, v64
	ds_write2st64_b32 v3, v12, v2 offset1:1
.LBB960_207:
	s_or_b64 exec, exec, s[4:5]
	v_lshlrev_b32_e32 v2, 2, v56
	s_waitcnt lgkmcnt(0)
	s_barrier
	ds_read2_b32 v[14:15], v2 offset1:16
	ds_read2_b32 v[16:17], v2 offset0:32 offset1:48
	ds_read2_b32 v[6:7], v2 offset0:64 offset1:80
	;; [unrolled: 1-line block ×3, first 2 shown]
	s_waitcnt lgkmcnt(0)
	s_barrier
	buffer_load_dword v22, off, s[0:3], 0 offset:264
	buffer_load_dword v23, off, s[0:3], 0 offset:268
	;; [unrolled: 1-line block ×16, first 2 shown]
	v_max3_f32 v20, v14, s52, v15
	v_max3_f32 v20, v20, v16, v17
	v_sub_f32_e32 v14, v14, v20
	v_sub_f32_e32 v15, v15, v20
	v_mul_f32_e32 v14, 0x3fb8aa3b, v14
	v_sub_f32_e32 v16, v16, v20
	v_mul_f32_e32 v15, 0x3fb8aa3b, v15
	v_exp_f32_e32 v14, v14
	v_sub_f32_e32 v17, v17, v20
	v_mul_f32_e32 v16, 0x3fb8aa3b, v16
	v_exp_f32_e32 v15, v15
	v_mul_f32_e32 v17, 0x3fb8aa3b, v17
	v_exp_f32_e32 v16, v16
	v_exp_f32_e32 v17, v17
	v_fma_f32 v6, v14, v6, 0
	v_fmac_f32_e32 v6, v15, v7
	v_fmac_f32_e32 v6, v16, v12
	;; [unrolled: 1-line block ×3, first 2 shown]
	v_cmp_eq_u32_e32 vcc, 1, v63
	v_add_f32_e32 v12, 0x358637bd, v6
	v_cndmask_b32_e32 v14, v14, v15, vcc
	v_cmp_eq_u32_e32 vcc, 2, v63
	v_div_scale_f32 v13, s[4:5], v12, v12, 1.0
	v_cndmask_b32_e32 v7, v14, v16, vcc
	v_rcp_f32_e32 v14, v13
	v_cmp_eq_u32_e32 vcc, 3, v63
	v_cndmask_b32_e32 v7, v7, v17, vcc
	v_div_scale_f32 v15, vcc, 1.0, v12, 1.0
	v_fma_f32 v16, -v13, v14, 1.0
	v_fmac_f32_e32 v14, v16, v14
	v_mul_f32_e32 v16, v15, v14
	v_fma_f32 v17, -v13, v16, v15
	v_fmac_f32_e32 v16, v17, v14
	v_fma_f32 v13, -v13, v16, v15
	v_div_fmas_f32 v13, v13, v14, v16
	v_div_fixup_f32 v12, v13, v12, 1.0
	v_mul_f32_e32 v12, v7, v12
	s_movk_i32 s19, 0x7fff
	s_mov_b32 s20, 0x7060302
	s_mul_i32 s18, s51, 3
	v_cmp_gt_u32_e32 vcc, 3, v0
	s_waitcnt vmcnt(14)
	v_pk_mul_f32 v[14:15], v[12:13], v[22:23] op_sel_hi:[0,1]
	v_bfe_u32 v21, v15, 16, 1
	s_waitcnt vmcnt(12)
	v_pk_mul_f32 v[16:17], v[12:13], v[24:25] op_sel_hi:[0,1]
	v_bfe_u32 v7, v17, 16, 1
	v_bfe_u32 v13, v16, 16, 1
	;; [unrolled: 1-line block ×3, first 2 shown]
	v_add3_u32 v13, v16, v13, s19
	v_add3_u32 v7, v17, v7, s19
	buffer_store_dword v16, off, s[0:3], 0 offset:256
	buffer_store_dword v17, off, s[0:3], 0 offset:260
	;; [unrolled: 1-line block ×4, first 2 shown]
	v_add3_u32 v16, v14, v22, s19
	v_add3_u32 v15, v15, v21, s19
	v_perm_b32 v14, v7, v13, s20
	v_lshlrev_b32_e32 v13, 3, v55
	v_perm_b32 v15, v15, v16, s20
	v_lshlrev_b32_e32 v7, 5, v56
	v_lshlrev_b32_e32 v16, 11, v63
	s_waitcnt vmcnt(12)
	v_pk_mul_f32 v[8:9], v[12:13], v[8:9] op_sel_hi:[0,1]
	v_or3_b32 v43, v16, v7, v13
	v_pk_mul_f32 v[10:11], v[12:13], v[10:11] op_sel_hi:[0,1]
	v_bfe_u32 v13, v9, 16, 1
	v_bfe_u32 v16, v8, 16, 1
	buffer_store_dword v8, off, s[0:3], 0 offset:272
	buffer_store_dword v9, off, s[0:3], 0 offset:276
	;; [unrolled: 1-line block ×4, first 2 shown]
	v_add3_u32 v8, v8, v16, s19
	v_add3_u32 v9, v9, v13, s19
	v_perm_b32 v8, v9, v8, s20
	v_bfe_u32 v9, v11, 16, 1
	v_bfe_u32 v13, v10, 16, 1
	v_add3_u32 v10, v10, v13, s19
	v_add3_u32 v9, v11, v9, s19
	v_perm_b32 v9, v9, v10, s20
	s_waitcnt vmcnt(14)
	v_pk_mul_f32 v[10:11], v[12:13], v[18:19] op_sel_hi:[0,1]
	ds_write2st64_b64 v43, v[14:15], v[8:9] offset1:1
	s_waitcnt vmcnt(12)
	v_pk_mul_f32 v[8:9], v[12:13], v[26:27] op_sel_hi:[0,1]
	v_bfe_u32 v13, v11, 16, 1
	v_bfe_u32 v14, v10, 16, 1
	buffer_store_dword v10, off, s[0:3], 0 offset:288
	buffer_store_dword v11, off, s[0:3], 0 offset:292
	;; [unrolled: 1-line block ×4, first 2 shown]
	v_add3_u32 v10, v10, v14, s19
	v_add3_u32 v11, v11, v13, s19
	v_perm_b32 v10, v11, v10, s20
	v_bfe_u32 v11, v9, 16, 1
	v_bfe_u32 v13, v8, 16, 1
	v_add3_u32 v8, v8, v13, s19
	v_add3_u32 v9, v9, v11, s19
	s_waitcnt vmcnt(14)
	v_pk_mul_f32 v[2:3], v[12:13], v[2:3] op_sel_hi:[0,1]
	v_perm_b32 v11, v9, v8, s20
	v_bfe_u32 v8, v3, 16, 1
	v_bfe_u32 v9, v2, 16, 1
	s_waitcnt vmcnt(12)
	v_pk_mul_f32 v[4:5], v[12:13], v[4:5] op_sel_hi:[0,1]
	buffer_store_dword v2, off, s[0:3], 0 offset:304
	buffer_store_dword v3, off, s[0:3], 0 offset:308
	;; [unrolled: 1-line block ×4, first 2 shown]
	v_add3_u32 v2, v2, v9, s19
	v_add3_u32 v3, v3, v8, s19
	v_perm_b32 v2, v3, v2, s20
	v_bfe_u32 v3, v5, 16, 1
	v_bfe_u32 v8, v4, 16, 1
	v_add3_u32 v4, v4, v8, s19
	v_add3_u32 v3, v5, v3, s19
	v_perm_b32 v3, v3, v4, s20
	ds_write2st64_b64 v43, v[10:11], v[2:3] offset0:2 offset1:3
	s_and_saveexec_b64 s[4:5], vcc
	s_cbranch_execz .LBB960_209
; %bb.208:
	v_add_co_u32_e32 v4, vcc, s25, v56
	v_addc_co_u32_e64 v5, s[6:7], 0, 0, vcc
	v_mov_b32_e32 v2, s18
	v_mad_u64_u32 v[4:5], s[6:7], s8, v2, v[4:5]
	v_mov_b32_e32 v3, 0
	s_mul_i32 s6, s9, s18
	v_mov_b32_e32 v2, s24
	v_add_u32_e32 v5, s6, v5
	v_mad_u64_u32 v[2:3], s[6:7], v4, s50, v[2:3]
	v_mov_b32_e32 v4, v3
	v_mad_u64_u32 v[4:5], s[6:7], v5, s50, v[4:5]
	v_mov_b32_e32 v3, v4
	v_lshlrev_b64 v[2:3], 2, v[2:3]
	v_mov_b32_e32 v5, s47
	v_add_co_u32_e32 v4, vcc, s46, v2
	v_addc_co_u32_e32 v5, vcc, v5, v3, vcc
	global_store_dword v[4:5], v20, off
	v_mov_b32_e32 v4, s45
	v_add_co_u32_e32 v2, vcc, s44, v2
	v_addc_co_u32_e32 v3, vcc, v4, v3, vcc
	global_store_dword v[2:3], v6, off
.LBB960_209:
	s_or_b64 exec, exec, s[4:5]
	v_lshl_or_b32 v30, v55, 9, v7
	s_waitcnt lgkmcnt(0)
	s_barrier
	s_load_dword s4, s[42:43], 0x0
	ds_read_b128 v[2:5], v30
	ds_read_b128 v[6:9], v30 offset:16
	ds_read_b128 v[10:13], v30 offset:2048
	;; [unrolled: 1-line block ×7, first 2 shown]
	v_mov_b32_e32 v35, 0x80
	v_mov_b32_e32 v45, 0x140
	s_mov_b64 s[10:11], -1
	s_waitcnt lgkmcnt(0)
	s_mov_b32 s5, s4
	s_mov_b32 s6, s4
	;; [unrolled: 1-line block ×3, first 2 shown]
	s_movk_i32 s9, 0x80
	s_movk_i32 s21, 0x7f
	s_mov_b32 s22, 0xffffff
	s_mov_b32 s23, 0x5040100
	v_mov_b32_e32 v47, 0
	v_bfrev_b32_e32 v48, 60
	s_branch .LBB960_213
.LBB960_210:                            ;   in Loop: Header=BB960_213 Depth=1
	s_or_b64 exec, exec, s[16:17]
.LBB960_211:                            ;   in Loop: Header=BB960_213 Depth=1
	s_or_b64 exec, exec, s[14:15]
.LBB960_212:                            ;   in Loop: Header=BB960_213 Depth=1
	s_or_b64 exec, exec, s[12:13]
	v_perm_b32 v61, v51, v49, s23
	v_perm_b32 v60, v44, v46, s23
	s_xor_b64 s[12:13], s[10:11], -1
	s_mov_b64 s[10:11], 0
	v_mov_b32_e32 v62, v39
	v_mfma_f32_16x16x16bf16_1k v[64:67], v[60:61], v[30:31], v[34:37]
	s_and_b64 vcc, exec, s[12:13]
	v_mov_b32_e32 v61, v41
	v_mov_b32_e32 v60, v59
	s_nop 3
	v_perm_b32 v37, v53, v52, s23
	v_perm_b32 v36, v42, v50, s23
	v_mov_b32_e32 v35, v58
	s_nop 0
	v_mfma_f32_16x16x16bf16_1k v[50:53], v[36:37], v[32:33], v[64:67]
	s_nop 7
	s_nop 2
	v_pk_mul_f32 v[50:51], v[50:51], s[4:5]
	v_pk_mul_f32 v[36:37], v[52:53], s[6:7]
	v_bfe_u32 v34, v51, 16, 1
	v_bfe_u32 v38, v50, 16, 1
	;; [unrolled: 1-line block ×4, first 2 shown]
	v_add3_u32 v38, v50, v38, s19
	v_add3_u32 v34, v51, v34, s19
	;; [unrolled: 1-line block ×4, first 2 shown]
	v_perm_b32 v34, v34, v38, s20
	v_perm_b32 v36, v37, v36, s20
	buffer_store_dword v34, v45, s[0:3], 0 offen
	buffer_store_dword v36, v45, s[0:3], 0 offen offset:4
	v_mov_b32_e32 v45, 0x148
	s_cbranch_vccnz .LBB960_595
.LBB960_213:                            ; =>This Inner Loop Header: Depth=1
	buffer_load_dword v36, v35, s[0:3], 0 offen
	buffer_load_dword v34, v35, s[0:3], 0 offen offset:4
	buffer_load_dword v40, v35, s[0:3], 0 offen offset:8
	;; [unrolled: 1-line block ×3, first 2 shown]
	v_mov_b32_e32 v35, 0
	s_waitcnt vmcnt(3)
	v_cmp_ne_u16_sdwa s[14:15], v36, v47 src0_sel:BYTE_0 src1_sel:DWORD
	s_and_saveexec_b64 s[12:13], s[14:15]
	s_cbranch_execz .LBB960_219
; %bb.214:                              ;   in Loop: Header=BB960_213 Depth=1
	v_cmp_ne_u16_sdwa s[16:17], v36, s9 src0_sel:BYTE_0 src1_sel:DWORD
	v_mov_b32_e32 v35, 0xffff8000
	s_and_saveexec_b64 s[14:15], s[16:17]
	s_cbranch_execz .LBB960_218
; %bb.215:                              ;   in Loop: Header=BB960_213 Depth=1
	v_and_b32_e32 v37, 0x7f, v36
	v_cmp_ne_u32_e32 vcc, s21, v37
	v_mov_b32_e32 v35, 0x7f80
	s_and_saveexec_b64 s[16:17], vcc
	s_cbranch_execz .LBB960_217
; %bb.216:                              ;   in Loop: Header=BB960_213 Depth=1
	v_and_b32_e32 v35, 7, v36
	v_ffbh_u32_e32 v44, v35
	v_min_u32_e32 v44, 32, v44
	v_subrev_u32_e32 v46, 28, v44
	v_lshlrev_b64 v[50:51], v46, v[36:37]
	v_lshrrev_b32_e32 v42, 3, v37
	v_sub_u32_e32 v44, 29, v44
	v_and_b32_e32 v46, 7, v50
	v_cmp_gt_u32_e32 vcc, 8, v37
	v_cndmask_b32_e32 v37, v42, v44, vcc
	v_cndmask_b32_e32 v35, v35, v46, vcc
	v_lshlrev_b32_e32 v42, 24, v36
	v_lshlrev_b32_e32 v35, 20, v35
	v_and_b32_e32 v42, 0x80000000, v42
	v_lshl_add_u32 v37, v37, 23, v48
	v_or3_b32 v35, v42, v37, v35
	v_lshrrev_b32_e32 v35, 16, v35
.LBB960_217:                            ;   in Loop: Header=BB960_213 Depth=1
	s_or_b64 exec, exec, s[16:17]
.LBB960_218:                            ;   in Loop: Header=BB960_213 Depth=1
	s_or_b64 exec, exec, s[14:15]
.LBB960_219:                            ;   in Loop: Header=BB960_213 Depth=1
	s_or_b64 exec, exec, s[12:13]
	v_lshrrev_b16_e32 v42, 8, v36
	v_cmp_ne_u16_e32 vcc, 0, v42
	v_mov_b32_e32 v46, 0
	v_mov_b32_e32 v37, 0
	s_and_saveexec_b64 s[12:13], vcc
	s_cbranch_execz .LBB960_225
; %bb.220:                              ;   in Loop: Header=BB960_213 Depth=1
	v_cmp_ne_u16_e32 vcc, s9, v42
	v_mov_b32_e32 v37, 0xffff8000
	s_and_saveexec_b64 s[14:15], vcc
	s_cbranch_execz .LBB960_224
; %bb.221:                              ;   in Loop: Header=BB960_213 Depth=1
	v_and_b32_e32 v44, 0x7f, v42
	v_cmp_ne_u32_e32 vcc, s21, v44
	v_mov_b32_e32 v37, 0x7f80
	s_and_saveexec_b64 s[16:17], vcc
	s_cbranch_execz .LBB960_223
; %bb.222:                              ;   in Loop: Header=BB960_213 Depth=1
	v_and_b32_e32 v37, 7, v42
	v_ffbh_u32_e32 v50, v37
	v_min_u32_e32 v52, 32, v50
	v_subrev_u32_e32 v50, 28, v52
	v_lshlrev_b64 v[50:51], v50, v[42:43]
	v_lshrrev_b32_e32 v49, 3, v44
	v_sub_u32_e32 v42, 29, v52
	v_and_b32_e32 v50, 7, v50
	v_cmp_gt_u32_e32 vcc, 8, v44
	v_cndmask_b32_e32 v42, v49, v42, vcc
	v_cndmask_b32_e32 v37, v37, v50, vcc
	v_lshlrev_b32_e32 v44, 16, v36
	v_lshlrev_b32_e32 v37, 20, v37
	v_and_b32_e32 v44, 0x80000000, v44
	v_lshl_add_u32 v42, v42, 23, v48
	v_or3_b32 v37, v44, v42, v37
	v_lshrrev_b32_e32 v37, 16, v37
.LBB960_223:                            ;   in Loop: Header=BB960_213 Depth=1
	s_or_b64 exec, exec, s[16:17]
.LBB960_224:                            ;   in Loop: Header=BB960_213 Depth=1
	s_or_b64 exec, exec, s[14:15]
.LBB960_225:                            ;   in Loop: Header=BB960_213 Depth=1
	s_or_b64 exec, exec, s[12:13]
	v_lshrrev_b32_e32 v42, 16, v36
	v_cmp_ne_u16_sdwa s[14:15], v42, v47 src0_sel:BYTE_0 src1_sel:DWORD
	s_and_saveexec_b64 s[12:13], s[14:15]
	s_cbranch_execz .LBB960_231
; %bb.226:                              ;   in Loop: Header=BB960_213 Depth=1
	v_cmp_ne_u16_sdwa s[16:17], v42, s9 src0_sel:BYTE_0 src1_sel:DWORD
	v_mov_b32_e32 v46, 0xffff8000
	s_and_saveexec_b64 s[14:15], s[16:17]
	s_cbranch_execz .LBB960_230
; %bb.227:                              ;   in Loop: Header=BB960_213 Depth=1
	v_bfe_u32 v44, v36, 16, 7
	v_cmp_ne_u32_e32 vcc, s21, v44
	v_mov_b32_e32 v46, 0x7f80
	s_and_saveexec_b64 s[16:17], vcc
	s_cbranch_execz .LBB960_229
; %bb.228:                              ;   in Loop: Header=BB960_213 Depth=1
	v_and_b32_e32 v46, 7, v42
	v_ffbh_u32_e32 v50, v46
	v_min_u32_e32 v52, 32, v50
	v_subrev_u32_e32 v50, 28, v52
	v_lshlrev_b64 v[50:51], v50, v[42:43]
	v_lshrrev_b32_e32 v49, 3, v44
	v_sub_u32_e32 v51, 29, v52
	v_and_b32_e32 v50, 7, v50
	v_cmp_gt_u32_e32 vcc, 8, v44
	v_cndmask_b32_e32 v44, v49, v51, vcc
	v_cndmask_b32_e32 v46, v46, v50, vcc
	v_lshlrev_b32_e32 v42, 24, v42
	v_lshlrev_b32_e32 v46, 20, v46
	v_and_b32_e32 v42, 0x80000000, v42
	v_lshl_add_u32 v44, v44, 23, v48
	v_or3_b32 v42, v42, v44, v46
	v_lshrrev_b32_e32 v46, 16, v42
.LBB960_229:                            ;   in Loop: Header=BB960_213 Depth=1
	s_or_b64 exec, exec, s[16:17]
.LBB960_230:                            ;   in Loop: Header=BB960_213 Depth=1
	s_or_b64 exec, exec, s[14:15]
.LBB960_231:                            ;   in Loop: Header=BB960_213 Depth=1
	s_or_b64 exec, exec, s[12:13]
	v_cmp_lt_u32_e32 vcc, s22, v36
	v_mov_b32_e32 v49, 0
	v_mov_b32_e32 v50, 0
	s_and_saveexec_b64 s[12:13], vcc
	s_cbranch_execz .LBB960_237
; %bb.232:                              ;   in Loop: Header=BB960_213 Depth=1
	v_lshrrev_b32_e32 v42, 24, v36
	v_cmp_ne_u32_e32 vcc, s9, v42
	v_mov_b32_e32 v50, 0xffff8000
	s_and_saveexec_b64 s[14:15], vcc
	s_cbranch_execz .LBB960_236
; %bb.233:                              ;   in Loop: Header=BB960_213 Depth=1
	v_bfe_u32 v36, v36, 24, 7
	v_cmp_ne_u32_e32 vcc, s21, v36
	v_mov_b32_e32 v50, 0x7f80
	s_and_saveexec_b64 s[16:17], vcc
	s_cbranch_execz .LBB960_235
; %bb.234:                              ;   in Loop: Header=BB960_213 Depth=1
	v_and_b32_e32 v44, 7, v42
	v_ffbh_u32_e32 v50, v44
	v_min_u32_e32 v53, 32, v50
	v_subrev_u32_e32 v50, 28, v53
	v_lshlrev_b64 v[50:51], v50, v[42:43]
	v_lshrrev_b32_e32 v52, 3, v36
	v_sub_u32_e32 v51, 29, v53
	v_and_b32_e32 v50, 7, v50
	v_cmp_gt_u32_e32 vcc, 8, v36
	v_cndmask_b32_e32 v36, v52, v51, vcc
	v_cndmask_b32_e32 v44, v44, v50, vcc
	v_lshlrev_b32_e32 v42, 24, v42
	v_lshlrev_b32_e32 v44, 20, v44
	v_and_b32_e32 v42, 0x80000000, v42
	v_lshl_add_u32 v36, v36, 23, v48
	v_or3_b32 v36, v42, v36, v44
	v_lshrrev_b32_e32 v50, 16, v36
.LBB960_235:                            ;   in Loop: Header=BB960_213 Depth=1
	s_or_b64 exec, exec, s[16:17]
.LBB960_236:                            ;   in Loop: Header=BB960_213 Depth=1
	s_or_b64 exec, exec, s[14:15]
.LBB960_237:                            ;   in Loop: Header=BB960_213 Depth=1
	s_or_b64 exec, exec, s[12:13]
	s_waitcnt vmcnt(2)
	v_cmp_ne_u16_sdwa s[14:15], v34, v47 src0_sel:BYTE_0 src1_sel:DWORD
	s_and_saveexec_b64 s[12:13], s[14:15]
	s_cbranch_execz .LBB960_243
; %bb.238:                              ;   in Loop: Header=BB960_213 Depth=1
	v_cmp_ne_u16_sdwa s[16:17], v34, s9 src0_sel:BYTE_0 src1_sel:DWORD
	v_mov_b32_e32 v49, 0xffff8000
	s_and_saveexec_b64 s[14:15], s[16:17]
	s_cbranch_execz .LBB960_242
; %bb.239:                              ;   in Loop: Header=BB960_213 Depth=1
	v_and_b32_e32 v36, 0x7f, v34
	v_cmp_ne_u32_e32 vcc, s21, v36
	v_mov_b32_e32 v49, 0x7f80
	s_and_saveexec_b64 s[16:17], vcc
	s_cbranch_execz .LBB960_241
; %bb.240:                              ;   in Loop: Header=BB960_213 Depth=1
	v_and_b32_e32 v42, 7, v34
	v_ffbh_u32_e32 v49, v42
	v_min_u32_e32 v49, 32, v49
	v_subrev_u32_e32 v51, 28, v49
	v_lshlrev_b64 v[52:53], v51, v[34:35]
	v_lshrrev_b32_e32 v44, 3, v36
	v_sub_u32_e32 v49, 29, v49
	v_and_b32_e32 v51, 7, v52
	v_cmp_gt_u32_e32 vcc, 8, v36
	v_cndmask_b32_e32 v36, v44, v49, vcc
	v_cndmask_b32_e32 v42, v42, v51, vcc
	v_lshlrev_b32_e32 v44, 24, v34
	v_lshlrev_b32_e32 v42, 20, v42
	v_and_b32_e32 v44, 0x80000000, v44
	v_lshl_add_u32 v36, v36, 23, v48
	v_or3_b32 v36, v44, v36, v42
	v_lshrrev_b32_e32 v49, 16, v36
.LBB960_241:                            ;   in Loop: Header=BB960_213 Depth=1
	s_or_b64 exec, exec, s[16:17]
.LBB960_242:                            ;   in Loop: Header=BB960_213 Depth=1
	s_or_b64 exec, exec, s[14:15]
.LBB960_243:                            ;   in Loop: Header=BB960_213 Depth=1
	s_or_b64 exec, exec, s[12:13]
	v_lshrrev_b16_e32 v36, 8, v34
	v_cmp_ne_u16_e32 vcc, 0, v36
	v_mov_b32_e32 v51, 0
	v_mov_b32_e32 v42, 0
	s_and_saveexec_b64 s[12:13], vcc
	s_cbranch_execz .LBB960_249
; %bb.244:                              ;   in Loop: Header=BB960_213 Depth=1
	v_cmp_ne_u16_e32 vcc, s9, v36
	v_mov_b32_e32 v42, 0xffff8000
	s_and_saveexec_b64 s[14:15], vcc
	s_cbranch_execz .LBB960_248
; %bb.245:                              ;   in Loop: Header=BB960_213 Depth=1
	v_and_b32_e32 v44, 0x7f, v36
	v_cmp_ne_u32_e32 vcc, s21, v44
	v_mov_b32_e32 v42, 0x7f80
	s_and_saveexec_b64 s[16:17], vcc
	s_cbranch_execz .LBB960_247
; %bb.246:                              ;   in Loop: Header=BB960_213 Depth=1
	v_and_b32_e32 v42, 7, v36
	v_ffbh_u32_e32 v52, v42
	v_min_u32_e32 v64, 32, v52
	v_subrev_u32_e32 v52, 28, v64
	v_lshlrev_b64 v[52:53], v52, v[36:37]
	v_lshrrev_b32_e32 v63, 3, v44
	v_sub_u32_e32 v36, 29, v64
	v_and_b32_e32 v52, 7, v52
	v_cmp_gt_u32_e32 vcc, 8, v44
	v_cndmask_b32_e32 v36, v63, v36, vcc
	v_cndmask_b32_e32 v42, v42, v52, vcc
	v_lshlrev_b32_e32 v44, 16, v34
	v_lshlrev_b32_e32 v42, 20, v42
	v_and_b32_e32 v44, 0x80000000, v44
	v_lshl_add_u32 v36, v36, 23, v48
	v_or3_b32 v36, v44, v36, v42
	v_lshrrev_b32_e32 v42, 16, v36
.LBB960_247:                            ;   in Loop: Header=BB960_213 Depth=1
	s_or_b64 exec, exec, s[16:17]
.LBB960_248:                            ;   in Loop: Header=BB960_213 Depth=1
	s_or_b64 exec, exec, s[14:15]
.LBB960_249:                            ;   in Loop: Header=BB960_213 Depth=1
	s_or_b64 exec, exec, s[12:13]
	v_lshrrev_b32_e32 v36, 16, v34
	v_cmp_ne_u16_sdwa s[14:15], v36, v47 src0_sel:BYTE_0 src1_sel:DWORD
	s_and_saveexec_b64 s[12:13], s[14:15]
	s_cbranch_execz .LBB960_255
; %bb.250:                              ;   in Loop: Header=BB960_213 Depth=1
	v_cmp_ne_u16_sdwa s[16:17], v36, s9 src0_sel:BYTE_0 src1_sel:DWORD
	v_mov_b32_e32 v51, 0xffff8000
	s_and_saveexec_b64 s[14:15], s[16:17]
	s_cbranch_execz .LBB960_254
; %bb.251:                              ;   in Loop: Header=BB960_213 Depth=1
	v_bfe_u32 v44, v34, 16, 7
	v_cmp_ne_u32_e32 vcc, s21, v44
	v_mov_b32_e32 v51, 0x7f80
	s_and_saveexec_b64 s[16:17], vcc
	s_cbranch_execz .LBB960_253
; %bb.252:                              ;   in Loop: Header=BB960_213 Depth=1
	v_and_b32_e32 v51, 7, v36
	v_ffbh_u32_e32 v52, v51
	v_min_u32_e32 v64, 32, v52
	v_subrev_u32_e32 v52, 28, v64
	v_lshlrev_b64 v[52:53], v52, v[36:37]
	v_lshrrev_b32_e32 v63, 3, v44
	v_sub_u32_e32 v53, 29, v64
	v_and_b32_e32 v52, 7, v52
	v_cmp_gt_u32_e32 vcc, 8, v44
	v_cndmask_b32_e32 v44, v63, v53, vcc
	v_cndmask_b32_e32 v51, v51, v52, vcc
	v_lshlrev_b32_e32 v36, 24, v36
	v_lshlrev_b32_e32 v51, 20, v51
	v_and_b32_e32 v36, 0x80000000, v36
	v_lshl_add_u32 v44, v44, 23, v48
	v_or3_b32 v36, v36, v44, v51
	v_lshrrev_b32_e32 v51, 16, v36
.LBB960_253:                            ;   in Loop: Header=BB960_213 Depth=1
	s_or_b64 exec, exec, s[16:17]
.LBB960_254:                            ;   in Loop: Header=BB960_213 Depth=1
	s_or_b64 exec, exec, s[14:15]
.LBB960_255:                            ;   in Loop: Header=BB960_213 Depth=1
	s_or_b64 exec, exec, s[12:13]
	v_cmp_lt_u32_e32 vcc, s22, v34
	v_mov_b32_e32 v44, 0
	v_mov_b32_e32 v52, 0
	s_and_saveexec_b64 s[12:13], vcc
	s_cbranch_execz .LBB960_261
; %bb.256:                              ;   in Loop: Header=BB960_213 Depth=1
	v_lshrrev_b32_e32 v36, 24, v34
	v_cmp_ne_u32_e32 vcc, s9, v36
	v_mov_b32_e32 v52, 0xffff8000
	s_and_saveexec_b64 s[14:15], vcc
	s_cbranch_execz .LBB960_260
; %bb.257:                              ;   in Loop: Header=BB960_213 Depth=1
	v_bfe_u32 v34, v34, 24, 7
	v_cmp_ne_u32_e32 vcc, s21, v34
	v_mov_b32_e32 v52, 0x7f80
	s_and_saveexec_b64 s[16:17], vcc
	s_cbranch_execz .LBB960_259
; %bb.258:                              ;   in Loop: Header=BB960_213 Depth=1
	v_and_b32_e32 v63, 7, v36
	v_ffbh_u32_e32 v52, v63
	v_min_u32_e32 v65, 32, v52
	v_subrev_u32_e32 v52, 28, v65
	v_lshlrev_b64 v[52:53], v52, v[36:37]
	v_lshrrev_b32_e32 v64, 3, v34
	v_sub_u32_e32 v53, 29, v65
	v_and_b32_e32 v52, 7, v52
	v_cmp_gt_u32_e32 vcc, 8, v34
	v_cndmask_b32_e32 v34, v64, v53, vcc
	v_cndmask_b32_e32 v52, v63, v52, vcc
	v_lshlrev_b32_e32 v36, 24, v36
	v_lshlrev_b32_e32 v52, 20, v52
	v_and_b32_e32 v36, 0x80000000, v36
	v_lshl_add_u32 v34, v34, 23, v48
	v_or3_b32 v34, v36, v34, v52
	v_lshrrev_b32_e32 v52, 16, v34
.LBB960_259:                            ;   in Loop: Header=BB960_213 Depth=1
	s_or_b64 exec, exec, s[16:17]
.LBB960_260:                            ;   in Loop: Header=BB960_213 Depth=1
	s_or_b64 exec, exec, s[14:15]
.LBB960_261:                            ;   in Loop: Header=BB960_213 Depth=1
	s_or_b64 exec, exec, s[12:13]
	v_perm_b32 v65, v50, v46, s23
	v_perm_b32 v64, v37, v35, s23
	;; [unrolled: 1-line block ×4, first 2 shown]
	s_waitcnt vmcnt(1)
	v_cmp_ne_u16_sdwa s[14:15], v40, v47 src0_sel:BYTE_0 src1_sel:DWORD
	v_mfma_f32_16x16x16bf16_1k v[34:37], v[64:65], v[2:3], 0
	v_mfma_f32_16x16x16bf16_1k v[34:37], v[50:51], v[4:5], v[34:37]
	s_and_saveexec_b64 s[12:13], s[14:15]
	s_cbranch_execz .LBB960_267
; %bb.262:                              ;   in Loop: Header=BB960_213 Depth=1
	v_cmp_ne_u16_sdwa s[16:17], v40, s9 src0_sel:BYTE_0 src1_sel:DWORD
	v_mov_b32_e32 v44, 0xffff8000
	s_and_saveexec_b64 s[14:15], s[16:17]
	s_cbranch_execz .LBB960_266
; %bb.263:                              ;   in Loop: Header=BB960_213 Depth=1
	v_and_b32_e32 v42, 0x7f, v40
	v_cmp_ne_u32_e32 vcc, s21, v42
	v_mov_b32_e32 v44, 0x7f80
	s_and_saveexec_b64 s[16:17], vcc
	s_cbranch_execz .LBB960_265
; %bb.264:                              ;   in Loop: Header=BB960_213 Depth=1
	v_and_b32_e32 v44, 7, v40
	v_ffbh_u32_e32 v49, v44
	v_min_u32_e32 v49, 32, v49
	v_subrev_u32_e32 v50, 28, v49
	v_lshlrev_b64 v[50:51], v50, v[40:41]
	v_lshrrev_b32_e32 v46, 3, v42
	v_sub_u32_e32 v49, 29, v49
	v_and_b32_e32 v50, 7, v50
	v_cmp_gt_u32_e32 vcc, 8, v42
	v_cndmask_b32_e32 v42, v46, v49, vcc
	v_cndmask_b32_e32 v44, v44, v50, vcc
	v_lshlrev_b32_e32 v46, 24, v40
	v_lshlrev_b32_e32 v44, 20, v44
	v_and_b32_e32 v46, 0x80000000, v46
	v_lshl_add_u32 v42, v42, 23, v48
	v_or3_b32 v42, v46, v42, v44
	v_lshrrev_b32_e32 v44, 16, v42
.LBB960_265:                            ;   in Loop: Header=BB960_213 Depth=1
	s_or_b64 exec, exec, s[16:17]
.LBB960_266:                            ;   in Loop: Header=BB960_213 Depth=1
	s_or_b64 exec, exec, s[14:15]
.LBB960_267:                            ;   in Loop: Header=BB960_213 Depth=1
	s_or_b64 exec, exec, s[12:13]
	v_lshrrev_b16_e32 v42, 8, v40
	v_cmp_ne_u16_e32 vcc, 0, v42
	v_mov_b32_e32 v50, 0
	v_mov_b32_e32 v46, 0
	s_and_saveexec_b64 s[12:13], vcc
	s_cbranch_execz .LBB960_273
; %bb.268:                              ;   in Loop: Header=BB960_213 Depth=1
	v_cmp_ne_u16_e32 vcc, s9, v42
	v_mov_b32_e32 v46, 0xffff8000
	s_and_saveexec_b64 s[14:15], vcc
	s_cbranch_execz .LBB960_272
; %bb.269:                              ;   in Loop: Header=BB960_213 Depth=1
	v_and_b32_e32 v49, 0x7f, v42
	v_cmp_ne_u32_e32 vcc, s21, v49
	v_mov_b32_e32 v46, 0x7f80
	s_and_saveexec_b64 s[16:17], vcc
	s_cbranch_execz .LBB960_271
; %bb.270:                              ;   in Loop: Header=BB960_213 Depth=1
	v_and_b32_e32 v46, 7, v42
	v_ffbh_u32_e32 v52, v46
	v_min_u32_e32 v63, 32, v52
	v_subrev_u32_e32 v52, 28, v63
	v_lshlrev_b64 v[52:53], v52, v[42:43]
	v_lshrrev_b32_e32 v51, 3, v49
	v_sub_u32_e32 v42, 29, v63
	v_and_b32_e32 v52, 7, v52
	v_cmp_gt_u32_e32 vcc, 8, v49
	v_cndmask_b32_e32 v42, v51, v42, vcc
	v_cndmask_b32_e32 v46, v46, v52, vcc
	v_lshlrev_b32_e32 v49, 16, v40
	v_lshlrev_b32_e32 v46, 20, v46
	v_and_b32_e32 v49, 0x80000000, v49
	v_lshl_add_u32 v42, v42, 23, v48
	v_or3_b32 v42, v49, v42, v46
	v_lshrrev_b32_e32 v46, 16, v42
.LBB960_271:                            ;   in Loop: Header=BB960_213 Depth=1
	s_or_b64 exec, exec, s[16:17]
.LBB960_272:                            ;   in Loop: Header=BB960_213 Depth=1
	s_or_b64 exec, exec, s[14:15]
.LBB960_273:                            ;   in Loop: Header=BB960_213 Depth=1
	s_or_b64 exec, exec, s[12:13]
	v_lshrrev_b32_e32 v42, 16, v40
	v_cmp_ne_u16_sdwa s[14:15], v42, v47 src0_sel:BYTE_0 src1_sel:DWORD
	s_and_saveexec_b64 s[12:13], s[14:15]
	s_cbranch_execz .LBB960_279
; %bb.274:                              ;   in Loop: Header=BB960_213 Depth=1
	v_cmp_ne_u16_sdwa s[16:17], v42, s9 src0_sel:BYTE_0 src1_sel:DWORD
	v_mov_b32_e32 v50, 0xffff8000
	s_and_saveexec_b64 s[14:15], s[16:17]
	s_cbranch_execz .LBB960_278
; %bb.275:                              ;   in Loop: Header=BB960_213 Depth=1
	v_bfe_u32 v49, v40, 16, 7
	v_cmp_ne_u32_e32 vcc, s21, v49
	v_mov_b32_e32 v50, 0x7f80
	s_and_saveexec_b64 s[16:17], vcc
	s_cbranch_execz .LBB960_277
; %bb.276:                              ;   in Loop: Header=BB960_213 Depth=1
	v_and_b32_e32 v52, 7, v42
	v_ffbh_u32_e32 v50, v52
	v_min_u32_e32 v63, 32, v50
	v_subrev_u32_e32 v50, 28, v63
	v_lshlrev_b64 v[50:51], v50, v[42:43]
	v_lshrrev_b32_e32 v53, 3, v49
	v_sub_u32_e32 v51, 29, v63
	v_and_b32_e32 v50, 7, v50
	v_cmp_gt_u32_e32 vcc, 8, v49
	v_cndmask_b32_e32 v49, v53, v51, vcc
	v_cndmask_b32_e32 v50, v52, v50, vcc
	v_lshlrev_b32_e32 v42, 24, v42
	v_lshlrev_b32_e32 v50, 20, v50
	v_and_b32_e32 v42, 0x80000000, v42
	v_lshl_add_u32 v49, v49, 23, v48
	v_or3_b32 v42, v42, v49, v50
	v_lshrrev_b32_e32 v50, 16, v42
.LBB960_277:                            ;   in Loop: Header=BB960_213 Depth=1
	s_or_b64 exec, exec, s[16:17]
.LBB960_278:                            ;   in Loop: Header=BB960_213 Depth=1
	s_or_b64 exec, exec, s[14:15]
.LBB960_279:                            ;   in Loop: Header=BB960_213 Depth=1
	s_or_b64 exec, exec, s[12:13]
	v_cmp_lt_u32_e32 vcc, s22, v40
	v_mov_b32_e32 v51, 0
	v_mov_b32_e32 v52, 0
	s_and_saveexec_b64 s[12:13], vcc
	s_cbranch_execz .LBB960_285
; %bb.280:                              ;   in Loop: Header=BB960_213 Depth=1
	v_lshrrev_b32_e32 v42, 24, v40
	v_cmp_ne_u32_e32 vcc, s9, v42
	v_mov_b32_e32 v52, 0xffff8000
	s_and_saveexec_b64 s[14:15], vcc
	s_cbranch_execz .LBB960_284
; %bb.281:                              ;   in Loop: Header=BB960_213 Depth=1
	v_bfe_u32 v40, v40, 24, 7
	v_cmp_ne_u32_e32 vcc, s21, v40
	v_mov_b32_e32 v52, 0x7f80
	s_and_saveexec_b64 s[16:17], vcc
	s_cbranch_execz .LBB960_283
; %bb.282:                              ;   in Loop: Header=BB960_213 Depth=1
	v_and_b32_e32 v49, 7, v42
	v_ffbh_u32_e32 v52, v49
	v_min_u32_e32 v64, 32, v52
	v_subrev_u32_e32 v52, 28, v64
	v_lshlrev_b64 v[52:53], v52, v[42:43]
	v_lshrrev_b32_e32 v63, 3, v40
	v_sub_u32_e32 v53, 29, v64
	v_and_b32_e32 v52, 7, v52
	v_cmp_gt_u32_e32 vcc, 8, v40
	v_cndmask_b32_e32 v40, v63, v53, vcc
	v_cndmask_b32_e32 v49, v49, v52, vcc
	v_lshlrev_b32_e32 v42, 24, v42
	v_lshlrev_b32_e32 v49, 20, v49
	v_and_b32_e32 v42, 0x80000000, v42
	v_lshl_add_u32 v40, v40, 23, v48
	v_or3_b32 v40, v42, v40, v49
	v_lshrrev_b32_e32 v52, 16, v40
.LBB960_283:                            ;   in Loop: Header=BB960_213 Depth=1
	s_or_b64 exec, exec, s[16:17]
.LBB960_284:                            ;   in Loop: Header=BB960_213 Depth=1
	s_or_b64 exec, exec, s[14:15]
.LBB960_285:                            ;   in Loop: Header=BB960_213 Depth=1
	s_or_b64 exec, exec, s[12:13]
	s_waitcnt vmcnt(0)
	v_cmp_ne_u16_sdwa s[14:15], v38, v47 src0_sel:BYTE_0 src1_sel:DWORD
	s_and_saveexec_b64 s[12:13], s[14:15]
	s_cbranch_execz .LBB960_291
; %bb.286:                              ;   in Loop: Header=BB960_213 Depth=1
	v_cmp_ne_u16_sdwa s[16:17], v38, s9 src0_sel:BYTE_0 src1_sel:DWORD
	v_mov_b32_e32 v51, 0xffff8000
	s_and_saveexec_b64 s[14:15], s[16:17]
	s_cbranch_execz .LBB960_290
; %bb.287:                              ;   in Loop: Header=BB960_213 Depth=1
	v_and_b32_e32 v40, 0x7f, v38
	v_cmp_ne_u32_e32 vcc, s21, v40
	v_mov_b32_e32 v51, 0x7f80
	s_and_saveexec_b64 s[16:17], vcc
	s_cbranch_execz .LBB960_289
; %bb.288:                              ;   in Loop: Header=BB960_213 Depth=1
	v_and_b32_e32 v42, 7, v38
	v_ffbh_u32_e32 v51, v42
	v_min_u32_e32 v51, 32, v51
	v_subrev_u32_e32 v53, 28, v51
	v_lshlrev_b64 v[64:65], v53, v[38:39]
	v_lshrrev_b32_e32 v49, 3, v40
	v_sub_u32_e32 v51, 29, v51
	v_and_b32_e32 v53, 7, v64
	v_cmp_gt_u32_e32 vcc, 8, v40
	v_cndmask_b32_e32 v40, v49, v51, vcc
	v_cndmask_b32_e32 v42, v42, v53, vcc
	v_lshlrev_b32_e32 v49, 24, v38
	v_lshlrev_b32_e32 v42, 20, v42
	v_and_b32_e32 v49, 0x80000000, v49
	v_lshl_add_u32 v40, v40, 23, v48
	v_or3_b32 v40, v49, v40, v42
	v_lshrrev_b32_e32 v51, 16, v40
.LBB960_289:                            ;   in Loop: Header=BB960_213 Depth=1
	s_or_b64 exec, exec, s[16:17]
.LBB960_290:                            ;   in Loop: Header=BB960_213 Depth=1
	s_or_b64 exec, exec, s[14:15]
.LBB960_291:                            ;   in Loop: Header=BB960_213 Depth=1
	s_or_b64 exec, exec, s[12:13]
	v_lshrrev_b16_e32 v40, 8, v38
	v_cmp_ne_u16_e32 vcc, 0, v40
	v_mov_b32_e32 v63, 0
	v_mov_b32_e32 v53, 0
	s_and_saveexec_b64 s[12:13], vcc
	s_cbranch_execz .LBB960_297
; %bb.292:                              ;   in Loop: Header=BB960_213 Depth=1
	v_cmp_ne_u16_e32 vcc, s9, v40
	v_mov_b32_e32 v53, 0xffff8000
	s_and_saveexec_b64 s[14:15], vcc
	s_cbranch_execz .LBB960_296
; %bb.293:                              ;   in Loop: Header=BB960_213 Depth=1
	v_and_b32_e32 v42, 0x7f, v40
	v_cmp_ne_u32_e32 vcc, s21, v42
	v_mov_b32_e32 v53, 0x7f80
	s_and_saveexec_b64 s[16:17], vcc
	s_cbranch_execz .LBB960_295
; %bb.294:                              ;   in Loop: Header=BB960_213 Depth=1
	v_and_b32_e32 v49, 7, v40
	v_ffbh_u32_e32 v64, v49
	v_min_u32_e32 v66, 32, v64
	v_subrev_u32_e32 v64, 28, v66
	v_lshlrev_b64 v[64:65], v64, v[40:41]
	v_lshrrev_b32_e32 v53, 3, v42
	v_sub_u32_e32 v40, 29, v66
	v_and_b32_e32 v64, 7, v64
	v_cmp_gt_u32_e32 vcc, 8, v42
	v_cndmask_b32_e32 v40, v53, v40, vcc
	v_cndmask_b32_e32 v42, v49, v64, vcc
	v_lshlrev_b32_e32 v49, 16, v38
	v_lshlrev_b32_e32 v42, 20, v42
	v_and_b32_e32 v49, 0x80000000, v49
	v_lshl_add_u32 v40, v40, 23, v48
	v_or3_b32 v40, v49, v40, v42
	v_lshrrev_b32_e32 v53, 16, v40
.LBB960_295:                            ;   in Loop: Header=BB960_213 Depth=1
	s_or_b64 exec, exec, s[16:17]
.LBB960_296:                            ;   in Loop: Header=BB960_213 Depth=1
	s_or_b64 exec, exec, s[14:15]
.LBB960_297:                            ;   in Loop: Header=BB960_213 Depth=1
	s_or_b64 exec, exec, s[12:13]
	v_lshrrev_b32_e32 v40, 16, v38
	v_cmp_ne_u16_sdwa s[14:15], v40, v47 src0_sel:BYTE_0 src1_sel:DWORD
	s_and_saveexec_b64 s[12:13], s[14:15]
	s_cbranch_execz .LBB960_303
; %bb.298:                              ;   in Loop: Header=BB960_213 Depth=1
	v_cmp_ne_u16_sdwa s[16:17], v40, s9 src0_sel:BYTE_0 src1_sel:DWORD
	v_mov_b32_e32 v63, 0xffff8000
	s_and_saveexec_b64 s[14:15], s[16:17]
	s_cbranch_execz .LBB960_302
; %bb.299:                              ;   in Loop: Header=BB960_213 Depth=1
	v_bfe_u32 v42, v38, 16, 7
	v_cmp_ne_u32_e32 vcc, s21, v42
	v_mov_b32_e32 v63, 0x7f80
	s_and_saveexec_b64 s[16:17], vcc
	s_cbranch_execz .LBB960_301
; %bb.300:                              ;   in Loop: Header=BB960_213 Depth=1
	v_and_b32_e32 v49, 7, v40
	v_ffbh_u32_e32 v64, v49
	v_min_u32_e32 v66, 32, v64
	v_subrev_u32_e32 v64, 28, v66
	v_lshlrev_b64 v[64:65], v64, v[40:41]
	v_lshrrev_b32_e32 v63, 3, v42
	v_sub_u32_e32 v65, 29, v66
	v_and_b32_e32 v64, 7, v64
	v_cmp_gt_u32_e32 vcc, 8, v42
	v_cndmask_b32_e32 v42, v63, v65, vcc
	v_cndmask_b32_e32 v49, v49, v64, vcc
	v_lshlrev_b32_e32 v40, 24, v40
	v_lshlrev_b32_e32 v49, 20, v49
	v_and_b32_e32 v40, 0x80000000, v40
	v_lshl_add_u32 v42, v42, 23, v48
	v_or3_b32 v40, v40, v42, v49
	v_lshrrev_b32_e32 v63, 16, v40
.LBB960_301:                            ;   in Loop: Header=BB960_213 Depth=1
	s_or_b64 exec, exec, s[16:17]
.LBB960_302:                            ;   in Loop: Header=BB960_213 Depth=1
	s_or_b64 exec, exec, s[14:15]
.LBB960_303:                            ;   in Loop: Header=BB960_213 Depth=1
	s_or_b64 exec, exec, s[12:13]
	v_cmp_lt_u32_e32 vcc, s22, v38
	v_mov_b32_e32 v49, 0
	v_mov_b32_e32 v64, 0
	s_and_saveexec_b64 s[12:13], vcc
	s_cbranch_execz .LBB960_309
; %bb.304:                              ;   in Loop: Header=BB960_213 Depth=1
	v_lshrrev_b32_e32 v40, 24, v38
	v_cmp_ne_u32_e32 vcc, s9, v40
	v_mov_b32_e32 v64, 0xffff8000
	s_and_saveexec_b64 s[14:15], vcc
	s_cbranch_execz .LBB960_308
; %bb.305:                              ;   in Loop: Header=BB960_213 Depth=1
	v_bfe_u32 v38, v38, 24, 7
	v_cmp_ne_u32_e32 vcc, s21, v38
	v_mov_b32_e32 v64, 0x7f80
	s_and_saveexec_b64 s[16:17], vcc
	s_cbranch_execz .LBB960_307
; %bb.306:                              ;   in Loop: Header=BB960_213 Depth=1
	v_and_b32_e32 v42, 7, v40
	v_ffbh_u32_e32 v64, v42
	v_min_u32_e32 v67, 32, v64
	v_subrev_u32_e32 v64, 28, v67
	v_lshlrev_b64 v[64:65], v64, v[40:41]
	v_lshrrev_b32_e32 v66, 3, v38
	v_sub_u32_e32 v65, 29, v67
	v_and_b32_e32 v64, 7, v64
	v_cmp_gt_u32_e32 vcc, 8, v38
	v_cndmask_b32_e32 v38, v66, v65, vcc
	v_cndmask_b32_e32 v42, v42, v64, vcc
	v_lshlrev_b32_e32 v40, 24, v40
	v_lshlrev_b32_e32 v42, 20, v42
	v_and_b32_e32 v40, 0x80000000, v40
	v_lshl_add_u32 v38, v38, 23, v48
	v_or3_b32 v38, v40, v38, v42
	v_lshrrev_b32_e32 v64, 16, v38
.LBB960_307:                            ;   in Loop: Header=BB960_213 Depth=1
	s_or_b64 exec, exec, s[16:17]
.LBB960_308:                            ;   in Loop: Header=BB960_213 Depth=1
	s_or_b64 exec, exec, s[14:15]
.LBB960_309:                            ;   in Loop: Header=BB960_213 Depth=1
	s_or_b64 exec, exec, s[12:13]
	v_perm_b32 v66, v46, v44, s23
	buffer_load_dword v44, v62, s[0:3], 0 offen
	buffer_load_dword v42, v62, s[0:3], 0 offen offset:4
	buffer_load_dword v40, v62, s[0:3], 0 offen offset:8
	;; [unrolled: 1-line block ×3, first 2 shown]
	v_perm_b32 v67, v52, v50, s23
	v_perm_b32 v63, v64, v63, s23
	;; [unrolled: 1-line block ×3, first 2 shown]
	v_mfma_f32_16x16x16bf16_1k v[34:37], v[66:67], v[6:7], v[34:37]
	s_waitcnt vmcnt(3)
	v_cmp_ne_u16_sdwa s[14:15], v44, v47 src0_sel:BYTE_0 src1_sel:DWORD
	v_mfma_f32_16x16x16bf16_1k v[34:37], v[62:63], v[8:9], v[34:37]
	s_and_saveexec_b64 s[12:13], s[14:15]
	s_cbranch_execz .LBB960_315
; %bb.310:                              ;   in Loop: Header=BB960_213 Depth=1
	v_cmp_ne_u16_sdwa s[16:17], v44, s9 src0_sel:BYTE_0 src1_sel:DWORD
	v_mov_b32_e32 v49, 0xffff8000
	s_and_saveexec_b64 s[14:15], s[16:17]
	s_cbranch_execz .LBB960_314
; %bb.311:                              ;   in Loop: Header=BB960_213 Depth=1
	v_and_b32_e32 v46, 0x7f, v44
	v_cmp_ne_u32_e32 vcc, s21, v46
	v_mov_b32_e32 v49, 0x7f80
	s_and_saveexec_b64 s[16:17], vcc
	s_cbranch_execz .LBB960_313
; %bb.312:                              ;   in Loop: Header=BB960_213 Depth=1
	v_and_b32_e32 v49, 7, v44
	v_ffbh_u32_e32 v50, v49
	v_min_u32_e32 v53, 32, v50
	v_subrev_u32_e32 v50, 28, v53
	v_lshlrev_b64 v[50:51], v50, v[44:45]
	v_lshrrev_b32_e32 v52, 3, v46
	v_sub_u32_e32 v51, 29, v53
	v_and_b32_e32 v50, 7, v50
	v_cmp_gt_u32_e32 vcc, 8, v46
	v_cndmask_b32_e32 v46, v52, v51, vcc
	v_cndmask_b32_e32 v49, v49, v50, vcc
	v_lshlrev_b32_e32 v50, 24, v44
	v_lshlrev_b32_e32 v49, 20, v49
	v_and_b32_e32 v50, 0x80000000, v50
	v_lshl_add_u32 v46, v46, 23, v48
	v_or3_b32 v46, v50, v46, v49
	v_lshrrev_b32_e32 v49, 16, v46
.LBB960_313:                            ;   in Loop: Header=BB960_213 Depth=1
	s_or_b64 exec, exec, s[16:17]
.LBB960_314:                            ;   in Loop: Header=BB960_213 Depth=1
	s_or_b64 exec, exec, s[14:15]
.LBB960_315:                            ;   in Loop: Header=BB960_213 Depth=1
	s_or_b64 exec, exec, s[12:13]
	v_lshrrev_b16_e32 v46, 8, v44
	v_cmp_ne_u16_e32 vcc, 0, v46
	v_mov_b32_e32 v51, 0
	v_mov_b32_e32 v50, 0
	s_and_saveexec_b64 s[12:13], vcc
	s_cbranch_execz .LBB960_321
; %bb.316:                              ;   in Loop: Header=BB960_213 Depth=1
	v_cmp_ne_u16_e32 vcc, s9, v46
	v_mov_b32_e32 v50, 0xffff8000
	s_and_saveexec_b64 s[14:15], vcc
	s_cbranch_execz .LBB960_320
; %bb.317:                              ;   in Loop: Header=BB960_213 Depth=1
	v_and_b32_e32 v52, 0x7f, v46
	v_cmp_ne_u32_e32 vcc, s21, v52
	v_mov_b32_e32 v50, 0x7f80
	s_and_saveexec_b64 s[16:17], vcc
	s_cbranch_execz .LBB960_319
; %bb.318:                              ;   in Loop: Header=BB960_213 Depth=1
	v_and_b32_e32 v50, 7, v46
	v_ffbh_u32_e32 v62, v50
	v_min_u32_e32 v64, 32, v62
	v_subrev_u32_e32 v62, 28, v64
	v_lshlrev_b64 v[62:63], v62, v[46:47]
	v_lshrrev_b32_e32 v53, 3, v52
	v_sub_u32_e32 v46, 29, v64
	v_and_b32_e32 v62, 7, v62
	v_cmp_gt_u32_e32 vcc, 8, v52
	v_cndmask_b32_e32 v46, v53, v46, vcc
	v_cndmask_b32_e32 v50, v50, v62, vcc
	v_lshlrev_b32_e32 v52, 16, v44
	v_lshlrev_b32_e32 v50, 20, v50
	v_and_b32_e32 v52, 0x80000000, v52
	v_lshl_add_u32 v46, v46, 23, v48
	v_or3_b32 v46, v52, v46, v50
	v_lshrrev_b32_e32 v50, 16, v46
.LBB960_319:                            ;   in Loop: Header=BB960_213 Depth=1
	s_or_b64 exec, exec, s[16:17]
.LBB960_320:                            ;   in Loop: Header=BB960_213 Depth=1
	s_or_b64 exec, exec, s[14:15]
.LBB960_321:                            ;   in Loop: Header=BB960_213 Depth=1
	s_or_b64 exec, exec, s[12:13]
	v_lshrrev_b32_e32 v46, 16, v44
	v_cmp_ne_u16_sdwa s[14:15], v46, v47 src0_sel:BYTE_0 src1_sel:DWORD
	s_and_saveexec_b64 s[12:13], s[14:15]
	s_cbranch_execz .LBB960_327
; %bb.322:                              ;   in Loop: Header=BB960_213 Depth=1
	v_cmp_ne_u16_sdwa s[16:17], v46, s9 src0_sel:BYTE_0 src1_sel:DWORD
	v_mov_b32_e32 v51, 0xffff8000
	s_and_saveexec_b64 s[14:15], s[16:17]
	s_cbranch_execz .LBB960_326
; %bb.323:                              ;   in Loop: Header=BB960_213 Depth=1
	v_bfe_u32 v52, v44, 16, 7
	v_cmp_ne_u32_e32 vcc, s21, v52
	v_mov_b32_e32 v51, 0x7f80
	s_and_saveexec_b64 s[16:17], vcc
	s_cbranch_execz .LBB960_325
; %bb.324:                              ;   in Loop: Header=BB960_213 Depth=1
	v_and_b32_e32 v51, 7, v46
	v_ffbh_u32_e32 v62, v51
	v_min_u32_e32 v64, 32, v62
	v_subrev_u32_e32 v62, 28, v64
	v_lshlrev_b64 v[62:63], v62, v[46:47]
	v_lshrrev_b32_e32 v53, 3, v52
	v_sub_u32_e32 v63, 29, v64
	v_and_b32_e32 v62, 7, v62
	v_cmp_gt_u32_e32 vcc, 8, v52
	v_cndmask_b32_e32 v52, v53, v63, vcc
	v_cndmask_b32_e32 v51, v51, v62, vcc
	v_lshlrev_b32_e32 v46, 24, v46
	v_lshlrev_b32_e32 v51, 20, v51
	v_and_b32_e32 v46, 0x80000000, v46
	v_lshl_add_u32 v52, v52, 23, v48
	v_or3_b32 v46, v46, v52, v51
	v_lshrrev_b32_e32 v51, 16, v46
.LBB960_325:                            ;   in Loop: Header=BB960_213 Depth=1
	s_or_b64 exec, exec, s[16:17]
.LBB960_326:                            ;   in Loop: Header=BB960_213 Depth=1
	s_or_b64 exec, exec, s[14:15]
.LBB960_327:                            ;   in Loop: Header=BB960_213 Depth=1
	s_or_b64 exec, exec, s[12:13]
	v_cmp_lt_u32_e32 vcc, s22, v44
	v_mov_b32_e32 v52, 0
	v_mov_b32_e32 v53, 0
	s_and_saveexec_b64 s[12:13], vcc
	s_cbranch_execz .LBB960_333
; %bb.328:                              ;   in Loop: Header=BB960_213 Depth=1
	v_lshrrev_b32_e32 v46, 24, v44
	v_cmp_ne_u32_e32 vcc, s9, v46
	v_mov_b32_e32 v53, 0xffff8000
	s_and_saveexec_b64 s[14:15], vcc
	s_cbranch_execz .LBB960_332
; %bb.329:                              ;   in Loop: Header=BB960_213 Depth=1
	v_bfe_u32 v44, v44, 24, 7
	v_cmp_ne_u32_e32 vcc, s21, v44
	v_mov_b32_e32 v53, 0x7f80
	s_and_saveexec_b64 s[16:17], vcc
	s_cbranch_execz .LBB960_331
; %bb.330:                              ;   in Loop: Header=BB960_213 Depth=1
	v_and_b32_e32 v53, 7, v46
	v_ffbh_u32_e32 v62, v53
	v_min_u32_e32 v65, 32, v62
	v_subrev_u32_e32 v62, 28, v65
	v_lshlrev_b64 v[62:63], v62, v[46:47]
	v_lshrrev_b32_e32 v64, 3, v44
	v_sub_u32_e32 v63, 29, v65
	v_and_b32_e32 v62, 7, v62
	v_cmp_gt_u32_e32 vcc, 8, v44
	v_cndmask_b32_e32 v44, v64, v63, vcc
	v_cndmask_b32_e32 v53, v53, v62, vcc
	v_lshlrev_b32_e32 v46, 24, v46
	v_lshlrev_b32_e32 v53, 20, v53
	v_and_b32_e32 v46, 0x80000000, v46
	v_lshl_add_u32 v44, v44, 23, v48
	v_or3_b32 v44, v46, v44, v53
	v_lshrrev_b32_e32 v53, 16, v44
.LBB960_331:                            ;   in Loop: Header=BB960_213 Depth=1
	s_or_b64 exec, exec, s[16:17]
.LBB960_332:                            ;   in Loop: Header=BB960_213 Depth=1
	s_or_b64 exec, exec, s[14:15]
.LBB960_333:                            ;   in Loop: Header=BB960_213 Depth=1
	s_or_b64 exec, exec, s[12:13]
	s_waitcnt vmcnt(2)
	v_cmp_ne_u16_sdwa s[14:15], v42, v47 src0_sel:BYTE_0 src1_sel:DWORD
	s_and_saveexec_b64 s[12:13], s[14:15]
	s_cbranch_execz .LBB960_339
; %bb.334:                              ;   in Loop: Header=BB960_213 Depth=1
	v_cmp_ne_u16_sdwa s[16:17], v42, s9 src0_sel:BYTE_0 src1_sel:DWORD
	v_mov_b32_e32 v52, 0xffff8000
	s_and_saveexec_b64 s[14:15], s[16:17]
	s_cbranch_execz .LBB960_338
; %bb.335:                              ;   in Loop: Header=BB960_213 Depth=1
	v_and_b32_e32 v44, 0x7f, v42
	v_cmp_ne_u32_e32 vcc, s21, v44
	v_mov_b32_e32 v52, 0x7f80
	s_and_saveexec_b64 s[16:17], vcc
	s_cbranch_execz .LBB960_337
; %bb.336:                              ;   in Loop: Header=BB960_213 Depth=1
	v_and_b32_e32 v46, 7, v42
	v_ffbh_u32_e32 v62, v46
	v_min_u32_e32 v64, 32, v62
	v_subrev_u32_e32 v62, 28, v64
	v_lshlrev_b64 v[62:63], v62, v[42:43]
	v_lshrrev_b32_e32 v52, 3, v44
	v_sub_u32_e32 v63, 29, v64
	v_and_b32_e32 v62, 7, v62
	v_cmp_gt_u32_e32 vcc, 8, v44
	v_cndmask_b32_e32 v44, v52, v63, vcc
	v_cndmask_b32_e32 v46, v46, v62, vcc
	v_lshlrev_b32_e32 v52, 24, v42
	v_lshlrev_b32_e32 v46, 20, v46
	v_and_b32_e32 v52, 0x80000000, v52
	v_lshl_add_u32 v44, v44, 23, v48
	v_or3_b32 v44, v52, v44, v46
	v_lshrrev_b32_e32 v52, 16, v44
.LBB960_337:                            ;   in Loop: Header=BB960_213 Depth=1
	s_or_b64 exec, exec, s[16:17]
.LBB960_338:                            ;   in Loop: Header=BB960_213 Depth=1
	s_or_b64 exec, exec, s[14:15]
.LBB960_339:                            ;   in Loop: Header=BB960_213 Depth=1
	s_or_b64 exec, exec, s[12:13]
	v_lshrrev_b16_e32 v44, 8, v42
	v_cmp_ne_u16_e32 vcc, 0, v44
	v_mov_b32_e32 v63, 0
	v_mov_b32_e32 v62, 0
	s_and_saveexec_b64 s[12:13], vcc
	s_cbranch_execz .LBB960_345
; %bb.340:                              ;   in Loop: Header=BB960_213 Depth=1
	v_cmp_ne_u16_e32 vcc, s9, v44
	v_mov_b32_e32 v62, 0xffff8000
	s_and_saveexec_b64 s[14:15], vcc
	s_cbranch_execz .LBB960_344
; %bb.341:                              ;   in Loop: Header=BB960_213 Depth=1
	v_and_b32_e32 v46, 0x7f, v44
	v_cmp_ne_u32_e32 vcc, s21, v46
	v_mov_b32_e32 v62, 0x7f80
	s_and_saveexec_b64 s[16:17], vcc
	s_cbranch_execz .LBB960_343
; %bb.342:                              ;   in Loop: Header=BB960_213 Depth=1
	v_and_b32_e32 v62, 7, v44
	v_ffbh_u32_e32 v64, v62
	v_min_u32_e32 v67, 32, v64
	v_subrev_u32_e32 v64, 28, v67
	v_lshlrev_b64 v[64:65], v64, v[44:45]
	v_lshrrev_b32_e32 v66, 3, v46
	v_sub_u32_e32 v44, 29, v67
	v_and_b32_e32 v64, 7, v64
	v_cmp_gt_u32_e32 vcc, 8, v46
	v_cndmask_b32_e32 v44, v66, v44, vcc
	v_cndmask_b32_e32 v46, v62, v64, vcc
	v_lshlrev_b32_e32 v62, 16, v42
	v_lshlrev_b32_e32 v46, 20, v46
	v_and_b32_e32 v62, 0x80000000, v62
	v_lshl_add_u32 v44, v44, 23, v48
	v_or3_b32 v44, v62, v44, v46
	v_lshrrev_b32_e32 v62, 16, v44
.LBB960_343:                            ;   in Loop: Header=BB960_213 Depth=1
	s_or_b64 exec, exec, s[16:17]
.LBB960_344:                            ;   in Loop: Header=BB960_213 Depth=1
	s_or_b64 exec, exec, s[14:15]
.LBB960_345:                            ;   in Loop: Header=BB960_213 Depth=1
	s_or_b64 exec, exec, s[12:13]
	v_lshrrev_b32_e32 v44, 16, v42
	v_cmp_ne_u16_sdwa s[14:15], v44, v47 src0_sel:BYTE_0 src1_sel:DWORD
	s_and_saveexec_b64 s[12:13], s[14:15]
	s_cbranch_execz .LBB960_351
; %bb.346:                              ;   in Loop: Header=BB960_213 Depth=1
	v_cmp_ne_u16_sdwa s[16:17], v44, s9 src0_sel:BYTE_0 src1_sel:DWORD
	v_mov_b32_e32 v63, 0xffff8000
	s_and_saveexec_b64 s[14:15], s[16:17]
	s_cbranch_execz .LBB960_350
; %bb.347:                              ;   in Loop: Header=BB960_213 Depth=1
	v_bfe_u32 v46, v42, 16, 7
	v_cmp_ne_u32_e32 vcc, s21, v46
	v_mov_b32_e32 v63, 0x7f80
	s_and_saveexec_b64 s[16:17], vcc
	s_cbranch_execz .LBB960_349
; %bb.348:                              ;   in Loop: Header=BB960_213 Depth=1
	v_and_b32_e32 v63, 7, v44
	v_ffbh_u32_e32 v64, v63
	v_min_u32_e32 v67, 32, v64
	v_subrev_u32_e32 v64, 28, v67
	v_lshlrev_b64 v[64:65], v64, v[44:45]
	v_lshrrev_b32_e32 v66, 3, v46
	v_sub_u32_e32 v65, 29, v67
	v_and_b32_e32 v64, 7, v64
	v_cmp_gt_u32_e32 vcc, 8, v46
	v_cndmask_b32_e32 v46, v66, v65, vcc
	v_cndmask_b32_e32 v63, v63, v64, vcc
	v_lshlrev_b32_e32 v44, 24, v44
	v_lshlrev_b32_e32 v63, 20, v63
	v_and_b32_e32 v44, 0x80000000, v44
	v_lshl_add_u32 v46, v46, 23, v48
	v_or3_b32 v44, v44, v46, v63
	v_lshrrev_b32_e32 v63, 16, v44
.LBB960_349:                            ;   in Loop: Header=BB960_213 Depth=1
	s_or_b64 exec, exec, s[16:17]
.LBB960_350:                            ;   in Loop: Header=BB960_213 Depth=1
	s_or_b64 exec, exec, s[14:15]
.LBB960_351:                            ;   in Loop: Header=BB960_213 Depth=1
	s_or_b64 exec, exec, s[12:13]
	v_cmp_lt_u32_e32 vcc, s22, v42
	v_mov_b32_e32 v46, 0
	v_mov_b32_e32 v64, 0
	s_and_saveexec_b64 s[12:13], vcc
	s_cbranch_execz .LBB960_357
; %bb.352:                              ;   in Loop: Header=BB960_213 Depth=1
	v_lshrrev_b32_e32 v44, 24, v42
	v_cmp_ne_u32_e32 vcc, s9, v44
	v_mov_b32_e32 v64, 0xffff8000
	s_and_saveexec_b64 s[14:15], vcc
	s_cbranch_execz .LBB960_356
; %bb.353:                              ;   in Loop: Header=BB960_213 Depth=1
	v_bfe_u32 v42, v42, 24, 7
	v_cmp_ne_u32_e32 vcc, s21, v42
	v_mov_b32_e32 v64, 0x7f80
	s_and_saveexec_b64 s[16:17], vcc
	s_cbranch_execz .LBB960_355
; %bb.354:                              ;   in Loop: Header=BB960_213 Depth=1
	v_and_b32_e32 v66, 7, v44
	v_ffbh_u32_e32 v64, v66
	v_min_u32_e32 v68, 32, v64
	v_subrev_u32_e32 v64, 28, v68
	v_lshlrev_b64 v[64:65], v64, v[44:45]
	v_lshrrev_b32_e32 v67, 3, v42
	v_sub_u32_e32 v65, 29, v68
	v_and_b32_e32 v64, 7, v64
	v_cmp_gt_u32_e32 vcc, 8, v42
	v_cndmask_b32_e32 v42, v67, v65, vcc
	v_cndmask_b32_e32 v64, v66, v64, vcc
	v_lshlrev_b32_e32 v44, 24, v44
	v_lshlrev_b32_e32 v64, 20, v64
	v_and_b32_e32 v44, 0x80000000, v44
	v_lshl_add_u32 v42, v42, 23, v48
	v_or3_b32 v42, v44, v42, v64
	v_lshrrev_b32_e32 v64, 16, v42
.LBB960_355:                            ;   in Loop: Header=BB960_213 Depth=1
	s_or_b64 exec, exec, s[16:17]
.LBB960_356:                            ;   in Loop: Header=BB960_213 Depth=1
	s_or_b64 exec, exec, s[14:15]
.LBB960_357:                            ;   in Loop: Header=BB960_213 Depth=1
	s_or_b64 exec, exec, s[12:13]
	v_perm_b32 v51, v53, v51, s23
	v_perm_b32 v50, v50, v49, s23
	s_waitcnt vmcnt(1)
	v_cmp_ne_u16_sdwa s[14:15], v40, v47 src0_sel:BYTE_0 src1_sel:DWORD
	v_mfma_f32_16x16x16bf16_1k v[34:37], v[50:51], v[10:11], v[34:37]
	v_perm_b32 v51, v64, v63, s23
	v_perm_b32 v50, v62, v52, s23
	s_nop 1
	v_mfma_f32_16x16x16bf16_1k v[34:37], v[50:51], v[12:13], v[34:37]
	s_and_saveexec_b64 s[12:13], s[14:15]
	s_cbranch_execz .LBB960_363
; %bb.358:                              ;   in Loop: Header=BB960_213 Depth=1
	v_cmp_ne_u16_sdwa s[16:17], v40, s9 src0_sel:BYTE_0 src1_sel:DWORD
	v_mov_b32_e32 v46, 0xffff8000
	s_and_saveexec_b64 s[14:15], s[16:17]
	s_cbranch_execz .LBB960_362
; %bb.359:                              ;   in Loop: Header=BB960_213 Depth=1
	v_and_b32_e32 v42, 0x7f, v40
	v_cmp_ne_u32_e32 vcc, s21, v42
	v_mov_b32_e32 v46, 0x7f80
	s_and_saveexec_b64 s[16:17], vcc
	s_cbranch_execz .LBB960_361
; %bb.360:                              ;   in Loop: Header=BB960_213 Depth=1
	v_and_b32_e32 v44, 7, v40
	v_ffbh_u32_e32 v49, v44
	v_min_u32_e32 v49, 32, v49
	v_subrev_u32_e32 v50, 28, v49
	v_lshlrev_b64 v[50:51], v50, v[40:41]
	v_lshrrev_b32_e32 v46, 3, v42
	v_sub_u32_e32 v49, 29, v49
	v_and_b32_e32 v50, 7, v50
	v_cmp_gt_u32_e32 vcc, 8, v42
	v_cndmask_b32_e32 v42, v46, v49, vcc
	v_cndmask_b32_e32 v44, v44, v50, vcc
	v_lshlrev_b32_e32 v46, 24, v40
	v_lshlrev_b32_e32 v44, 20, v44
	v_and_b32_e32 v46, 0x80000000, v46
	v_lshl_add_u32 v42, v42, 23, v48
	v_or3_b32 v42, v46, v42, v44
	v_lshrrev_b32_e32 v46, 16, v42
.LBB960_361:                            ;   in Loop: Header=BB960_213 Depth=1
	s_or_b64 exec, exec, s[16:17]
.LBB960_362:                            ;   in Loop: Header=BB960_213 Depth=1
	s_or_b64 exec, exec, s[14:15]
.LBB960_363:                            ;   in Loop: Header=BB960_213 Depth=1
	s_or_b64 exec, exec, s[12:13]
	v_lshrrev_b16_e32 v42, 8, v40
	v_cmp_ne_u16_e32 vcc, 0, v42
	v_mov_b32_e32 v50, 0
	v_mov_b32_e32 v44, 0
	s_and_saveexec_b64 s[12:13], vcc
	s_cbranch_execz .LBB960_369
; %bb.364:                              ;   in Loop: Header=BB960_213 Depth=1
	v_cmp_ne_u16_e32 vcc, s9, v42
	v_mov_b32_e32 v44, 0xffff8000
	s_and_saveexec_b64 s[14:15], vcc
	s_cbranch_execz .LBB960_368
; %bb.365:                              ;   in Loop: Header=BB960_213 Depth=1
	v_and_b32_e32 v49, 0x7f, v42
	v_cmp_ne_u32_e32 vcc, s21, v49
	v_mov_b32_e32 v44, 0x7f80
	s_and_saveexec_b64 s[16:17], vcc
	s_cbranch_execz .LBB960_367
; %bb.366:                              ;   in Loop: Header=BB960_213 Depth=1
	v_and_b32_e32 v44, 7, v42
	v_ffbh_u32_e32 v52, v44
	v_min_u32_e32 v62, 32, v52
	v_subrev_u32_e32 v52, 28, v62
	v_lshlrev_b64 v[52:53], v52, v[42:43]
	v_lshrrev_b32_e32 v51, 3, v49
	v_sub_u32_e32 v42, 29, v62
	v_and_b32_e32 v52, 7, v52
	v_cmp_gt_u32_e32 vcc, 8, v49
	v_cndmask_b32_e32 v42, v51, v42, vcc
	v_cndmask_b32_e32 v44, v44, v52, vcc
	v_lshlrev_b32_e32 v49, 16, v40
	v_lshlrev_b32_e32 v44, 20, v44
	v_and_b32_e32 v49, 0x80000000, v49
	v_lshl_add_u32 v42, v42, 23, v48
	v_or3_b32 v42, v49, v42, v44
	v_lshrrev_b32_e32 v44, 16, v42
.LBB960_367:                            ;   in Loop: Header=BB960_213 Depth=1
	s_or_b64 exec, exec, s[16:17]
.LBB960_368:                            ;   in Loop: Header=BB960_213 Depth=1
	s_or_b64 exec, exec, s[14:15]
.LBB960_369:                            ;   in Loop: Header=BB960_213 Depth=1
	s_or_b64 exec, exec, s[12:13]
	v_lshrrev_b32_e32 v42, 16, v40
	v_cmp_ne_u16_sdwa s[14:15], v42, v47 src0_sel:BYTE_0 src1_sel:DWORD
	s_and_saveexec_b64 s[12:13], s[14:15]
	s_cbranch_execz .LBB960_375
; %bb.370:                              ;   in Loop: Header=BB960_213 Depth=1
	v_cmp_ne_u16_sdwa s[16:17], v42, s9 src0_sel:BYTE_0 src1_sel:DWORD
	v_mov_b32_e32 v50, 0xffff8000
	s_and_saveexec_b64 s[14:15], s[16:17]
	s_cbranch_execz .LBB960_374
; %bb.371:                              ;   in Loop: Header=BB960_213 Depth=1
	v_bfe_u32 v49, v40, 16, 7
	v_cmp_ne_u32_e32 vcc, s21, v49
	v_mov_b32_e32 v50, 0x7f80
	s_and_saveexec_b64 s[16:17], vcc
	s_cbranch_execz .LBB960_373
; %bb.372:                              ;   in Loop: Header=BB960_213 Depth=1
	v_and_b32_e32 v52, 7, v42
	v_ffbh_u32_e32 v50, v52
	v_min_u32_e32 v62, 32, v50
	v_subrev_u32_e32 v50, 28, v62
	v_lshlrev_b64 v[50:51], v50, v[42:43]
	v_lshrrev_b32_e32 v53, 3, v49
	v_sub_u32_e32 v51, 29, v62
	v_and_b32_e32 v50, 7, v50
	v_cmp_gt_u32_e32 vcc, 8, v49
	v_cndmask_b32_e32 v49, v53, v51, vcc
	v_cndmask_b32_e32 v50, v52, v50, vcc
	v_lshlrev_b32_e32 v42, 24, v42
	v_lshlrev_b32_e32 v50, 20, v50
	v_and_b32_e32 v42, 0x80000000, v42
	v_lshl_add_u32 v49, v49, 23, v48
	v_or3_b32 v42, v42, v49, v50
	v_lshrrev_b32_e32 v50, 16, v42
.LBB960_373:                            ;   in Loop: Header=BB960_213 Depth=1
	s_or_b64 exec, exec, s[16:17]
.LBB960_374:                            ;   in Loop: Header=BB960_213 Depth=1
	s_or_b64 exec, exec, s[14:15]
.LBB960_375:                            ;   in Loop: Header=BB960_213 Depth=1
	s_or_b64 exec, exec, s[12:13]
	v_cmp_lt_u32_e32 vcc, s22, v40
	v_mov_b32_e32 v51, 0
	v_mov_b32_e32 v52, 0
	s_and_saveexec_b64 s[12:13], vcc
	s_cbranch_execz .LBB960_381
; %bb.376:                              ;   in Loop: Header=BB960_213 Depth=1
	v_lshrrev_b32_e32 v42, 24, v40
	v_cmp_ne_u32_e32 vcc, s9, v42
	v_mov_b32_e32 v52, 0xffff8000
	s_and_saveexec_b64 s[14:15], vcc
	s_cbranch_execz .LBB960_380
; %bb.377:                              ;   in Loop: Header=BB960_213 Depth=1
	v_bfe_u32 v40, v40, 24, 7
	v_cmp_ne_u32_e32 vcc, s21, v40
	v_mov_b32_e32 v52, 0x7f80
	s_and_saveexec_b64 s[16:17], vcc
	s_cbranch_execz .LBB960_379
; %bb.378:                              ;   in Loop: Header=BB960_213 Depth=1
	v_and_b32_e32 v49, 7, v42
	v_ffbh_u32_e32 v52, v49
	v_min_u32_e32 v63, 32, v52
	v_subrev_u32_e32 v52, 28, v63
	v_lshlrev_b64 v[52:53], v52, v[42:43]
	v_lshrrev_b32_e32 v62, 3, v40
	v_sub_u32_e32 v53, 29, v63
	v_and_b32_e32 v52, 7, v52
	v_cmp_gt_u32_e32 vcc, 8, v40
	v_cndmask_b32_e32 v40, v62, v53, vcc
	v_cndmask_b32_e32 v49, v49, v52, vcc
	v_lshlrev_b32_e32 v42, 24, v42
	v_lshlrev_b32_e32 v49, 20, v49
	v_and_b32_e32 v42, 0x80000000, v42
	v_lshl_add_u32 v40, v40, 23, v48
	v_or3_b32 v40, v42, v40, v49
	v_lshrrev_b32_e32 v52, 16, v40
.LBB960_379:                            ;   in Loop: Header=BB960_213 Depth=1
	s_or_b64 exec, exec, s[16:17]
.LBB960_380:                            ;   in Loop: Header=BB960_213 Depth=1
	s_or_b64 exec, exec, s[14:15]
.LBB960_381:                            ;   in Loop: Header=BB960_213 Depth=1
	s_or_b64 exec, exec, s[12:13]
	s_waitcnt vmcnt(0)
	v_cmp_ne_u16_sdwa s[14:15], v38, v47 src0_sel:BYTE_0 src1_sel:DWORD
	s_and_saveexec_b64 s[12:13], s[14:15]
	s_cbranch_execz .LBB960_387
; %bb.382:                              ;   in Loop: Header=BB960_213 Depth=1
	v_cmp_ne_u16_sdwa s[16:17], v38, s9 src0_sel:BYTE_0 src1_sel:DWORD
	v_mov_b32_e32 v51, 0xffff8000
	s_and_saveexec_b64 s[14:15], s[16:17]
	s_cbranch_execz .LBB960_386
; %bb.383:                              ;   in Loop: Header=BB960_213 Depth=1
	v_and_b32_e32 v40, 0x7f, v38
	v_cmp_ne_u32_e32 vcc, s21, v40
	v_mov_b32_e32 v51, 0x7f80
	s_and_saveexec_b64 s[16:17], vcc
	s_cbranch_execz .LBB960_385
; %bb.384:                              ;   in Loop: Header=BB960_213 Depth=1
	v_and_b32_e32 v42, 7, v38
	v_ffbh_u32_e32 v51, v42
	v_min_u32_e32 v51, 32, v51
	v_subrev_u32_e32 v53, 28, v51
	v_lshlrev_b64 v[62:63], v53, v[38:39]
	v_lshrrev_b32_e32 v49, 3, v40
	v_sub_u32_e32 v51, 29, v51
	v_and_b32_e32 v53, 7, v62
	v_cmp_gt_u32_e32 vcc, 8, v40
	v_cndmask_b32_e32 v40, v49, v51, vcc
	v_cndmask_b32_e32 v42, v42, v53, vcc
	v_lshlrev_b32_e32 v49, 24, v38
	v_lshlrev_b32_e32 v42, 20, v42
	v_and_b32_e32 v49, 0x80000000, v49
	v_lshl_add_u32 v40, v40, 23, v48
	v_or3_b32 v40, v49, v40, v42
	v_lshrrev_b32_e32 v51, 16, v40
.LBB960_385:                            ;   in Loop: Header=BB960_213 Depth=1
	s_or_b64 exec, exec, s[16:17]
.LBB960_386:                            ;   in Loop: Header=BB960_213 Depth=1
	s_or_b64 exec, exec, s[14:15]
.LBB960_387:                            ;   in Loop: Header=BB960_213 Depth=1
	s_or_b64 exec, exec, s[12:13]
	v_lshrrev_b16_e32 v40, 8, v38
	v_cmp_ne_u16_e32 vcc, 0, v40
	v_mov_b32_e32 v62, 0
	v_mov_b32_e32 v53, 0
	s_and_saveexec_b64 s[12:13], vcc
	s_cbranch_execz .LBB960_393
; %bb.388:                              ;   in Loop: Header=BB960_213 Depth=1
	v_cmp_ne_u16_e32 vcc, s9, v40
	v_mov_b32_e32 v53, 0xffff8000
	s_and_saveexec_b64 s[14:15], vcc
	s_cbranch_execz .LBB960_392
; %bb.389:                              ;   in Loop: Header=BB960_213 Depth=1
	v_and_b32_e32 v42, 0x7f, v40
	v_cmp_ne_u32_e32 vcc, s21, v42
	v_mov_b32_e32 v53, 0x7f80
	s_and_saveexec_b64 s[16:17], vcc
	s_cbranch_execz .LBB960_391
; %bb.390:                              ;   in Loop: Header=BB960_213 Depth=1
	v_and_b32_e32 v49, 7, v40
	v_ffbh_u32_e32 v63, v49
	v_min_u32_e32 v63, 32, v63
	v_subrev_u32_e32 v64, 28, v63
	v_lshlrev_b64 v[64:65], v64, v[40:41]
	v_lshrrev_b32_e32 v53, 3, v42
	v_sub_u32_e32 v40, 29, v63
	v_and_b32_e32 v63, 7, v64
	v_cmp_gt_u32_e32 vcc, 8, v42
	v_cndmask_b32_e32 v40, v53, v40, vcc
	v_cndmask_b32_e32 v42, v49, v63, vcc
	v_lshlrev_b32_e32 v49, 16, v38
	v_lshlrev_b32_e32 v42, 20, v42
	v_and_b32_e32 v49, 0x80000000, v49
	v_lshl_add_u32 v40, v40, 23, v48
	v_or3_b32 v40, v49, v40, v42
	v_lshrrev_b32_e32 v53, 16, v40
.LBB960_391:                            ;   in Loop: Header=BB960_213 Depth=1
	s_or_b64 exec, exec, s[16:17]
.LBB960_392:                            ;   in Loop: Header=BB960_213 Depth=1
	s_or_b64 exec, exec, s[14:15]
.LBB960_393:                            ;   in Loop: Header=BB960_213 Depth=1
	s_or_b64 exec, exec, s[12:13]
	v_lshrrev_b32_e32 v40, 16, v38
	v_cmp_ne_u16_sdwa s[14:15], v40, v47 src0_sel:BYTE_0 src1_sel:DWORD
	s_and_saveexec_b64 s[12:13], s[14:15]
	s_cbranch_execz .LBB960_399
; %bb.394:                              ;   in Loop: Header=BB960_213 Depth=1
	v_cmp_ne_u16_sdwa s[16:17], v40, s9 src0_sel:BYTE_0 src1_sel:DWORD
	v_mov_b32_e32 v62, 0xffff8000
	s_and_saveexec_b64 s[14:15], s[16:17]
	s_cbranch_execz .LBB960_398
; %bb.395:                              ;   in Loop: Header=BB960_213 Depth=1
	v_bfe_u32 v42, v38, 16, 7
	v_cmp_ne_u32_e32 vcc, s21, v42
	v_mov_b32_e32 v62, 0x7f80
	s_and_saveexec_b64 s[16:17], vcc
	s_cbranch_execz .LBB960_397
; %bb.396:                              ;   in Loop: Header=BB960_213 Depth=1
	v_and_b32_e32 v49, 7, v40
	v_ffbh_u32_e32 v62, v49
	v_min_u32_e32 v65, 32, v62
	v_subrev_u32_e32 v62, 28, v65
	v_lshlrev_b64 v[62:63], v62, v[40:41]
	v_lshrrev_b32_e32 v64, 3, v42
	v_sub_u32_e32 v63, 29, v65
	v_and_b32_e32 v62, 7, v62
	v_cmp_gt_u32_e32 vcc, 8, v42
	v_cndmask_b32_e32 v42, v64, v63, vcc
	v_cndmask_b32_e32 v49, v49, v62, vcc
	v_lshlrev_b32_e32 v40, 24, v40
	v_lshlrev_b32_e32 v49, 20, v49
	v_and_b32_e32 v40, 0x80000000, v40
	v_lshl_add_u32 v42, v42, 23, v48
	v_or3_b32 v40, v40, v42, v49
	v_lshrrev_b32_e32 v62, 16, v40
.LBB960_397:                            ;   in Loop: Header=BB960_213 Depth=1
	s_or_b64 exec, exec, s[16:17]
.LBB960_398:                            ;   in Loop: Header=BB960_213 Depth=1
	s_or_b64 exec, exec, s[14:15]
.LBB960_399:                            ;   in Loop: Header=BB960_213 Depth=1
	s_or_b64 exec, exec, s[12:13]
	v_cmp_lt_u32_e32 vcc, s22, v38
	v_mov_b32_e32 v49, 0
	v_mov_b32_e32 v63, 0
	s_and_saveexec_b64 s[12:13], vcc
	s_cbranch_execz .LBB960_405
; %bb.400:                              ;   in Loop: Header=BB960_213 Depth=1
	v_lshrrev_b32_e32 v40, 24, v38
	v_cmp_ne_u32_e32 vcc, s9, v40
	v_mov_b32_e32 v63, 0xffff8000
	s_and_saveexec_b64 s[14:15], vcc
	s_cbranch_execz .LBB960_404
; %bb.401:                              ;   in Loop: Header=BB960_213 Depth=1
	v_bfe_u32 v38, v38, 24, 7
	v_cmp_ne_u32_e32 vcc, s21, v38
	v_mov_b32_e32 v63, 0x7f80
	s_and_saveexec_b64 s[16:17], vcc
	s_cbranch_execz .LBB960_403
; %bb.402:                              ;   in Loop: Header=BB960_213 Depth=1
	v_and_b32_e32 v42, 7, v40
	v_ffbh_u32_e32 v64, v42
	v_min_u32_e32 v66, 32, v64
	v_subrev_u32_e32 v64, 28, v66
	v_lshlrev_b64 v[64:65], v64, v[40:41]
	v_lshrrev_b32_e32 v63, 3, v38
	v_sub_u32_e32 v65, 29, v66
	v_and_b32_e32 v64, 7, v64
	v_cmp_gt_u32_e32 vcc, 8, v38
	v_cndmask_b32_e32 v38, v63, v65, vcc
	v_cndmask_b32_e32 v42, v42, v64, vcc
	v_lshlrev_b32_e32 v40, 24, v40
	v_lshlrev_b32_e32 v42, 20, v42
	v_and_b32_e32 v40, 0x80000000, v40
	v_lshl_add_u32 v38, v38, 23, v48
	v_or3_b32 v38, v40, v38, v42
	v_lshrrev_b32_e32 v63, 16, v38
.LBB960_403:                            ;   in Loop: Header=BB960_213 Depth=1
	s_or_b64 exec, exec, s[16:17]
.LBB960_404:                            ;   in Loop: Header=BB960_213 Depth=1
	s_or_b64 exec, exec, s[14:15]
.LBB960_405:                            ;   in Loop: Header=BB960_213 Depth=1
	s_or_b64 exec, exec, s[12:13]
	v_perm_b32 v64, v44, v46, s23
	buffer_load_dword v44, v61, s[0:3], 0 offen
	buffer_load_dword v42, v61, s[0:3], 0 offen offset:4
	buffer_load_dword v40, v61, s[0:3], 0 offen offset:8
	;; [unrolled: 1-line block ×3, first 2 shown]
	v_perm_b32 v65, v52, v50, s23
	v_perm_b32 v63, v63, v62, s23
	;; [unrolled: 1-line block ×3, first 2 shown]
	v_mfma_f32_16x16x16bf16_1k v[34:37], v[64:65], v[14:15], v[34:37]
	s_waitcnt vmcnt(3)
	v_cmp_ne_u16_sdwa s[14:15], v44, v47 src0_sel:BYTE_0 src1_sel:DWORD
	v_mfma_f32_16x16x16bf16_1k v[34:37], v[62:63], v[16:17], v[34:37]
	s_and_saveexec_b64 s[12:13], s[14:15]
	s_cbranch_execz .LBB960_411
; %bb.406:                              ;   in Loop: Header=BB960_213 Depth=1
	v_cmp_ne_u16_sdwa s[16:17], v44, s9 src0_sel:BYTE_0 src1_sel:DWORD
	v_mov_b32_e32 v49, 0xffff8000
	s_and_saveexec_b64 s[14:15], s[16:17]
	s_cbranch_execz .LBB960_410
; %bb.407:                              ;   in Loop: Header=BB960_213 Depth=1
	v_and_b32_e32 v46, 0x7f, v44
	v_cmp_ne_u32_e32 vcc, s21, v46
	v_mov_b32_e32 v49, 0x7f80
	s_and_saveexec_b64 s[16:17], vcc
	s_cbranch_execz .LBB960_409
; %bb.408:                              ;   in Loop: Header=BB960_213 Depth=1
	v_and_b32_e32 v49, 7, v44
	v_ffbh_u32_e32 v50, v49
	v_min_u32_e32 v53, 32, v50
	v_subrev_u32_e32 v50, 28, v53
	v_lshlrev_b64 v[50:51], v50, v[44:45]
	v_lshrrev_b32_e32 v52, 3, v46
	v_sub_u32_e32 v51, 29, v53
	v_and_b32_e32 v50, 7, v50
	v_cmp_gt_u32_e32 vcc, 8, v46
	v_cndmask_b32_e32 v46, v52, v51, vcc
	v_cndmask_b32_e32 v49, v49, v50, vcc
	v_lshlrev_b32_e32 v50, 24, v44
	v_lshlrev_b32_e32 v49, 20, v49
	v_and_b32_e32 v50, 0x80000000, v50
	v_lshl_add_u32 v46, v46, 23, v48
	v_or3_b32 v46, v50, v46, v49
	v_lshrrev_b32_e32 v49, 16, v46
.LBB960_409:                            ;   in Loop: Header=BB960_213 Depth=1
	s_or_b64 exec, exec, s[16:17]
.LBB960_410:                            ;   in Loop: Header=BB960_213 Depth=1
	s_or_b64 exec, exec, s[14:15]
.LBB960_411:                            ;   in Loop: Header=BB960_213 Depth=1
	s_or_b64 exec, exec, s[12:13]
	v_lshrrev_b16_e32 v46, 8, v44
	v_cmp_ne_u16_e32 vcc, 0, v46
	v_mov_b32_e32 v51, 0
	v_mov_b32_e32 v50, 0
	s_and_saveexec_b64 s[12:13], vcc
	s_cbranch_execz .LBB960_417
; %bb.412:                              ;   in Loop: Header=BB960_213 Depth=1
	v_cmp_ne_u16_e32 vcc, s9, v46
	v_mov_b32_e32 v50, 0xffff8000
	s_and_saveexec_b64 s[14:15], vcc
	s_cbranch_execz .LBB960_416
; %bb.413:                              ;   in Loop: Header=BB960_213 Depth=1
	v_and_b32_e32 v52, 0x7f, v46
	v_cmp_ne_u32_e32 vcc, s21, v52
	v_mov_b32_e32 v50, 0x7f80
	s_and_saveexec_b64 s[16:17], vcc
	s_cbranch_execz .LBB960_415
; %bb.414:                              ;   in Loop: Header=BB960_213 Depth=1
	v_and_b32_e32 v50, 7, v46
	v_ffbh_u32_e32 v61, v50
	v_min_u32_e32 v61, 32, v61
	v_subrev_u32_e32 v62, 28, v61
	v_lshlrev_b64 v[62:63], v62, v[46:47]
	v_lshrrev_b32_e32 v53, 3, v52
	v_sub_u32_e32 v46, 29, v61
	v_and_b32_e32 v61, 7, v62
	v_cmp_gt_u32_e32 vcc, 8, v52
	v_cndmask_b32_e32 v46, v53, v46, vcc
	v_cndmask_b32_e32 v50, v50, v61, vcc
	v_lshlrev_b32_e32 v52, 16, v44
	v_lshlrev_b32_e32 v50, 20, v50
	v_and_b32_e32 v52, 0x80000000, v52
	v_lshl_add_u32 v46, v46, 23, v48
	v_or3_b32 v46, v52, v46, v50
	v_lshrrev_b32_e32 v50, 16, v46
.LBB960_415:                            ;   in Loop: Header=BB960_213 Depth=1
	s_or_b64 exec, exec, s[16:17]
.LBB960_416:                            ;   in Loop: Header=BB960_213 Depth=1
	s_or_b64 exec, exec, s[14:15]
.LBB960_417:                            ;   in Loop: Header=BB960_213 Depth=1
	s_or_b64 exec, exec, s[12:13]
	v_lshrrev_b32_e32 v46, 16, v44
	v_cmp_ne_u16_sdwa s[14:15], v46, v47 src0_sel:BYTE_0 src1_sel:DWORD
	s_and_saveexec_b64 s[12:13], s[14:15]
	s_cbranch_execz .LBB960_423
; %bb.418:                              ;   in Loop: Header=BB960_213 Depth=1
	v_cmp_ne_u16_sdwa s[16:17], v46, s9 src0_sel:BYTE_0 src1_sel:DWORD
	v_mov_b32_e32 v51, 0xffff8000
	s_and_saveexec_b64 s[14:15], s[16:17]
	s_cbranch_execz .LBB960_422
; %bb.419:                              ;   in Loop: Header=BB960_213 Depth=1
	v_bfe_u32 v52, v44, 16, 7
	v_cmp_ne_u32_e32 vcc, s21, v52
	v_mov_b32_e32 v51, 0x7f80
	s_and_saveexec_b64 s[16:17], vcc
	s_cbranch_execz .LBB960_421
; %bb.420:                              ;   in Loop: Header=BB960_213 Depth=1
	v_and_b32_e32 v51, 7, v46
	v_ffbh_u32_e32 v61, v51
	v_min_u32_e32 v61, 32, v61
	v_subrev_u32_e32 v62, 28, v61
	v_lshlrev_b64 v[62:63], v62, v[46:47]
	v_lshrrev_b32_e32 v53, 3, v52
	v_sub_u32_e32 v61, 29, v61
	v_and_b32_e32 v62, 7, v62
	v_cmp_gt_u32_e32 vcc, 8, v52
	v_cndmask_b32_e32 v52, v53, v61, vcc
	v_cndmask_b32_e32 v51, v51, v62, vcc
	v_lshlrev_b32_e32 v46, 24, v46
	v_lshlrev_b32_e32 v51, 20, v51
	v_and_b32_e32 v46, 0x80000000, v46
	v_lshl_add_u32 v52, v52, 23, v48
	v_or3_b32 v46, v46, v52, v51
	v_lshrrev_b32_e32 v51, 16, v46
.LBB960_421:                            ;   in Loop: Header=BB960_213 Depth=1
	s_or_b64 exec, exec, s[16:17]
.LBB960_422:                            ;   in Loop: Header=BB960_213 Depth=1
	s_or_b64 exec, exec, s[14:15]
.LBB960_423:                            ;   in Loop: Header=BB960_213 Depth=1
	s_or_b64 exec, exec, s[12:13]
	v_cmp_lt_u32_e32 vcc, s22, v44
	v_mov_b32_e32 v52, 0
	v_mov_b32_e32 v53, 0
	s_and_saveexec_b64 s[12:13], vcc
	s_cbranch_execz .LBB960_429
; %bb.424:                              ;   in Loop: Header=BB960_213 Depth=1
	v_lshrrev_b32_e32 v46, 24, v44
	v_cmp_ne_u32_e32 vcc, s9, v46
	v_mov_b32_e32 v53, 0xffff8000
	s_and_saveexec_b64 s[14:15], vcc
	s_cbranch_execz .LBB960_428
; %bb.425:                              ;   in Loop: Header=BB960_213 Depth=1
	v_bfe_u32 v44, v44, 24, 7
	v_cmp_ne_u32_e32 vcc, s21, v44
	v_mov_b32_e32 v53, 0x7f80
	s_and_saveexec_b64 s[16:17], vcc
	s_cbranch_execz .LBB960_427
; %bb.426:                              ;   in Loop: Header=BB960_213 Depth=1
	v_and_b32_e32 v53, 7, v46
	v_ffbh_u32_e32 v62, v53
	v_min_u32_e32 v64, 32, v62
	v_subrev_u32_e32 v62, 28, v64
	v_lshlrev_b64 v[62:63], v62, v[46:47]
	v_lshrrev_b32_e32 v61, 3, v44
	v_sub_u32_e32 v63, 29, v64
	v_and_b32_e32 v62, 7, v62
	v_cmp_gt_u32_e32 vcc, 8, v44
	v_cndmask_b32_e32 v44, v61, v63, vcc
	v_cndmask_b32_e32 v53, v53, v62, vcc
	v_lshlrev_b32_e32 v46, 24, v46
	v_lshlrev_b32_e32 v53, 20, v53
	v_and_b32_e32 v46, 0x80000000, v46
	v_lshl_add_u32 v44, v44, 23, v48
	v_or3_b32 v44, v46, v44, v53
	v_lshrrev_b32_e32 v53, 16, v44
.LBB960_427:                            ;   in Loop: Header=BB960_213 Depth=1
	s_or_b64 exec, exec, s[16:17]
.LBB960_428:                            ;   in Loop: Header=BB960_213 Depth=1
	s_or_b64 exec, exec, s[14:15]
.LBB960_429:                            ;   in Loop: Header=BB960_213 Depth=1
	s_or_b64 exec, exec, s[12:13]
	s_waitcnt vmcnt(2)
	v_cmp_ne_u16_sdwa s[14:15], v42, v47 src0_sel:BYTE_0 src1_sel:DWORD
	s_and_saveexec_b64 s[12:13], s[14:15]
	s_cbranch_execz .LBB960_435
; %bb.430:                              ;   in Loop: Header=BB960_213 Depth=1
	v_cmp_ne_u16_sdwa s[16:17], v42, s9 src0_sel:BYTE_0 src1_sel:DWORD
	v_mov_b32_e32 v52, 0xffff8000
	s_and_saveexec_b64 s[14:15], s[16:17]
	s_cbranch_execz .LBB960_434
; %bb.431:                              ;   in Loop: Header=BB960_213 Depth=1
	v_and_b32_e32 v44, 0x7f, v42
	v_cmp_ne_u32_e32 vcc, s21, v44
	v_mov_b32_e32 v52, 0x7f80
	s_and_saveexec_b64 s[16:17], vcc
	s_cbranch_execz .LBB960_433
; %bb.432:                              ;   in Loop: Header=BB960_213 Depth=1
	v_and_b32_e32 v46, 7, v42
	v_ffbh_u32_e32 v61, v46
	v_min_u32_e32 v61, 32, v61
	v_subrev_u32_e32 v62, 28, v61
	v_lshlrev_b64 v[62:63], v62, v[42:43]
	v_lshrrev_b32_e32 v52, 3, v44
	v_sub_u32_e32 v61, 29, v61
	v_and_b32_e32 v62, 7, v62
	v_cmp_gt_u32_e32 vcc, 8, v44
	v_cndmask_b32_e32 v44, v52, v61, vcc
	v_cndmask_b32_e32 v46, v46, v62, vcc
	v_lshlrev_b32_e32 v52, 24, v42
	v_lshlrev_b32_e32 v46, 20, v46
	v_and_b32_e32 v52, 0x80000000, v52
	v_lshl_add_u32 v44, v44, 23, v48
	v_or3_b32 v44, v52, v44, v46
	v_lshrrev_b32_e32 v52, 16, v44
.LBB960_433:                            ;   in Loop: Header=BB960_213 Depth=1
	s_or_b64 exec, exec, s[16:17]
.LBB960_434:                            ;   in Loop: Header=BB960_213 Depth=1
	s_or_b64 exec, exec, s[14:15]
.LBB960_435:                            ;   in Loop: Header=BB960_213 Depth=1
	s_or_b64 exec, exec, s[12:13]
	v_lshrrev_b16_e32 v44, 8, v42
	v_cmp_ne_u16_e32 vcc, 0, v44
	v_mov_b32_e32 v62, 0
	v_mov_b32_e32 v61, 0
	s_and_saveexec_b64 s[12:13], vcc
	s_cbranch_execz .LBB960_441
; %bb.436:                              ;   in Loop: Header=BB960_213 Depth=1
	v_cmp_ne_u16_e32 vcc, s9, v44
	v_mov_b32_e32 v61, 0xffff8000
	s_and_saveexec_b64 s[14:15], vcc
	s_cbranch_execz .LBB960_440
; %bb.437:                              ;   in Loop: Header=BB960_213 Depth=1
	v_and_b32_e32 v46, 0x7f, v44
	v_cmp_ne_u32_e32 vcc, s21, v46
	v_mov_b32_e32 v61, 0x7f80
	s_and_saveexec_b64 s[16:17], vcc
	s_cbranch_execz .LBB960_439
; %bb.438:                              ;   in Loop: Header=BB960_213 Depth=1
	v_and_b32_e32 v61, 7, v44
	v_ffbh_u32_e32 v64, v61
	v_min_u32_e32 v66, 32, v64
	v_subrev_u32_e32 v64, 28, v66
	v_lshlrev_b64 v[64:65], v64, v[44:45]
	v_lshrrev_b32_e32 v63, 3, v46
	v_sub_u32_e32 v44, 29, v66
	v_and_b32_e32 v64, 7, v64
	v_cmp_gt_u32_e32 vcc, 8, v46
	v_cndmask_b32_e32 v44, v63, v44, vcc
	v_cndmask_b32_e32 v46, v61, v64, vcc
	v_lshlrev_b32_e32 v61, 16, v42
	v_lshlrev_b32_e32 v46, 20, v46
	v_and_b32_e32 v61, 0x80000000, v61
	v_lshl_add_u32 v44, v44, 23, v48
	v_or3_b32 v44, v61, v44, v46
	v_lshrrev_b32_e32 v61, 16, v44
.LBB960_439:                            ;   in Loop: Header=BB960_213 Depth=1
	s_or_b64 exec, exec, s[16:17]
.LBB960_440:                            ;   in Loop: Header=BB960_213 Depth=1
	s_or_b64 exec, exec, s[14:15]
.LBB960_441:                            ;   in Loop: Header=BB960_213 Depth=1
	s_or_b64 exec, exec, s[12:13]
	v_lshrrev_b32_e32 v44, 16, v42
	v_cmp_ne_u16_sdwa s[14:15], v44, v47 src0_sel:BYTE_0 src1_sel:DWORD
	s_and_saveexec_b64 s[12:13], s[14:15]
	s_cbranch_execz .LBB960_447
; %bb.442:                              ;   in Loop: Header=BB960_213 Depth=1
	v_cmp_ne_u16_sdwa s[16:17], v44, s9 src0_sel:BYTE_0 src1_sel:DWORD
	v_mov_b32_e32 v62, 0xffff8000
	s_and_saveexec_b64 s[14:15], s[16:17]
	s_cbranch_execz .LBB960_446
; %bb.443:                              ;   in Loop: Header=BB960_213 Depth=1
	v_bfe_u32 v46, v42, 16, 7
	v_cmp_ne_u32_e32 vcc, s21, v46
	v_mov_b32_e32 v62, 0x7f80
	s_and_saveexec_b64 s[16:17], vcc
	s_cbranch_execz .LBB960_445
; %bb.444:                              ;   in Loop: Header=BB960_213 Depth=1
	v_and_b32_e32 v64, 7, v44
	v_ffbh_u32_e32 v62, v64
	v_min_u32_e32 v66, 32, v62
	v_subrev_u32_e32 v62, 28, v66
	v_lshlrev_b64 v[62:63], v62, v[44:45]
	v_lshrrev_b32_e32 v65, 3, v46
	v_sub_u32_e32 v63, 29, v66
	v_and_b32_e32 v62, 7, v62
	v_cmp_gt_u32_e32 vcc, 8, v46
	v_cndmask_b32_e32 v46, v65, v63, vcc
	v_cndmask_b32_e32 v62, v64, v62, vcc
	v_lshlrev_b32_e32 v44, 24, v44
	v_lshlrev_b32_e32 v62, 20, v62
	v_and_b32_e32 v44, 0x80000000, v44
	v_lshl_add_u32 v46, v46, 23, v48
	v_or3_b32 v44, v44, v46, v62
	v_lshrrev_b32_e32 v62, 16, v44
.LBB960_445:                            ;   in Loop: Header=BB960_213 Depth=1
	s_or_b64 exec, exec, s[16:17]
.LBB960_446:                            ;   in Loop: Header=BB960_213 Depth=1
	s_or_b64 exec, exec, s[14:15]
.LBB960_447:                            ;   in Loop: Header=BB960_213 Depth=1
	s_or_b64 exec, exec, s[12:13]
	v_cmp_lt_u32_e32 vcc, s22, v42
	v_mov_b32_e32 v46, 0
	v_mov_b32_e32 v63, 0
	s_and_saveexec_b64 s[12:13], vcc
	s_cbranch_execz .LBB960_453
; %bb.448:                              ;   in Loop: Header=BB960_213 Depth=1
	v_lshrrev_b32_e32 v44, 24, v42
	v_cmp_ne_u32_e32 vcc, s9, v44
	v_mov_b32_e32 v63, 0xffff8000
	s_and_saveexec_b64 s[14:15], vcc
	s_cbranch_execz .LBB960_452
; %bb.449:                              ;   in Loop: Header=BB960_213 Depth=1
	v_bfe_u32 v42, v42, 24, 7
	v_cmp_ne_u32_e32 vcc, s21, v42
	v_mov_b32_e32 v63, 0x7f80
	s_and_saveexec_b64 s[16:17], vcc
	s_cbranch_execz .LBB960_451
; %bb.450:                              ;   in Loop: Header=BB960_213 Depth=1
	v_and_b32_e32 v63, 7, v44
	v_ffbh_u32_e32 v64, v63
	v_min_u32_e32 v67, 32, v64
	v_subrev_u32_e32 v64, 28, v67
	v_lshlrev_b64 v[64:65], v64, v[44:45]
	v_lshrrev_b32_e32 v66, 3, v42
	v_sub_u32_e32 v65, 29, v67
	v_and_b32_e32 v64, 7, v64
	v_cmp_gt_u32_e32 vcc, 8, v42
	v_cndmask_b32_e32 v42, v66, v65, vcc
	v_cndmask_b32_e32 v63, v63, v64, vcc
	v_lshlrev_b32_e32 v44, 24, v44
	v_lshlrev_b32_e32 v63, 20, v63
	v_and_b32_e32 v44, 0x80000000, v44
	v_lshl_add_u32 v42, v42, 23, v48
	v_or3_b32 v42, v44, v42, v63
	v_lshrrev_b32_e32 v63, 16, v42
.LBB960_451:                            ;   in Loop: Header=BB960_213 Depth=1
	s_or_b64 exec, exec, s[16:17]
.LBB960_452:                            ;   in Loop: Header=BB960_213 Depth=1
	s_or_b64 exec, exec, s[14:15]
.LBB960_453:                            ;   in Loop: Header=BB960_213 Depth=1
	s_or_b64 exec, exec, s[12:13]
	v_perm_b32 v51, v53, v51, s23
	v_perm_b32 v50, v50, v49, s23
	s_waitcnt vmcnt(1)
	v_cmp_ne_u16_sdwa s[14:15], v40, v47 src0_sel:BYTE_0 src1_sel:DWORD
	v_mfma_f32_16x16x16bf16_1k v[34:37], v[50:51], v[18:19], v[34:37]
	v_perm_b32 v51, v63, v62, s23
	v_perm_b32 v50, v61, v52, s23
	s_nop 1
	v_mfma_f32_16x16x16bf16_1k v[34:37], v[50:51], v[20:21], v[34:37]
	s_and_saveexec_b64 s[12:13], s[14:15]
	s_cbranch_execz .LBB960_459
; %bb.454:                              ;   in Loop: Header=BB960_213 Depth=1
	v_cmp_ne_u16_sdwa s[16:17], v40, s9 src0_sel:BYTE_0 src1_sel:DWORD
	v_mov_b32_e32 v46, 0xffff8000
	s_and_saveexec_b64 s[14:15], s[16:17]
	s_cbranch_execz .LBB960_458
; %bb.455:                              ;   in Loop: Header=BB960_213 Depth=1
	v_and_b32_e32 v42, 0x7f, v40
	v_cmp_ne_u32_e32 vcc, s21, v42
	v_mov_b32_e32 v46, 0x7f80
	s_and_saveexec_b64 s[16:17], vcc
	s_cbranch_execz .LBB960_457
; %bb.456:                              ;   in Loop: Header=BB960_213 Depth=1
	v_and_b32_e32 v44, 7, v40
	v_ffbh_u32_e32 v49, v44
	v_min_u32_e32 v49, 32, v49
	v_subrev_u32_e32 v50, 28, v49
	v_lshlrev_b64 v[50:51], v50, v[40:41]
	v_lshrrev_b32_e32 v46, 3, v42
	v_sub_u32_e32 v49, 29, v49
	v_and_b32_e32 v50, 7, v50
	v_cmp_gt_u32_e32 vcc, 8, v42
	v_cndmask_b32_e32 v42, v46, v49, vcc
	v_cndmask_b32_e32 v44, v44, v50, vcc
	v_lshlrev_b32_e32 v46, 24, v40
	v_lshlrev_b32_e32 v44, 20, v44
	v_and_b32_e32 v46, 0x80000000, v46
	v_lshl_add_u32 v42, v42, 23, v48
	v_or3_b32 v42, v46, v42, v44
	v_lshrrev_b32_e32 v46, 16, v42
.LBB960_457:                            ;   in Loop: Header=BB960_213 Depth=1
	s_or_b64 exec, exec, s[16:17]
.LBB960_458:                            ;   in Loop: Header=BB960_213 Depth=1
	s_or_b64 exec, exec, s[14:15]
.LBB960_459:                            ;   in Loop: Header=BB960_213 Depth=1
	s_or_b64 exec, exec, s[12:13]
	v_lshrrev_b16_e32 v42, 8, v40
	v_cmp_ne_u16_e32 vcc, 0, v42
	v_mov_b32_e32 v50, 0
	v_mov_b32_e32 v44, 0
	s_and_saveexec_b64 s[12:13], vcc
	s_cbranch_execz .LBB960_465
; %bb.460:                              ;   in Loop: Header=BB960_213 Depth=1
	v_cmp_ne_u16_e32 vcc, s9, v42
	v_mov_b32_e32 v44, 0xffff8000
	s_and_saveexec_b64 s[14:15], vcc
	s_cbranch_execz .LBB960_464
; %bb.461:                              ;   in Loop: Header=BB960_213 Depth=1
	v_and_b32_e32 v49, 0x7f, v42
	v_cmp_ne_u32_e32 vcc, s21, v49
	v_mov_b32_e32 v44, 0x7f80
	s_and_saveexec_b64 s[16:17], vcc
	s_cbranch_execz .LBB960_463
; %bb.462:                              ;   in Loop: Header=BB960_213 Depth=1
	v_and_b32_e32 v44, 7, v42
	v_ffbh_u32_e32 v52, v44
	v_min_u32_e32 v61, 32, v52
	v_subrev_u32_e32 v52, 28, v61
	v_lshlrev_b64 v[52:53], v52, v[42:43]
	v_lshrrev_b32_e32 v51, 3, v49
	v_sub_u32_e32 v42, 29, v61
	v_and_b32_e32 v52, 7, v52
	v_cmp_gt_u32_e32 vcc, 8, v49
	v_cndmask_b32_e32 v42, v51, v42, vcc
	v_cndmask_b32_e32 v44, v44, v52, vcc
	v_lshlrev_b32_e32 v49, 16, v40
	v_lshlrev_b32_e32 v44, 20, v44
	v_and_b32_e32 v49, 0x80000000, v49
	v_lshl_add_u32 v42, v42, 23, v48
	v_or3_b32 v42, v49, v42, v44
	v_lshrrev_b32_e32 v44, 16, v42
.LBB960_463:                            ;   in Loop: Header=BB960_213 Depth=1
	s_or_b64 exec, exec, s[16:17]
.LBB960_464:                            ;   in Loop: Header=BB960_213 Depth=1
	s_or_b64 exec, exec, s[14:15]
.LBB960_465:                            ;   in Loop: Header=BB960_213 Depth=1
	s_or_b64 exec, exec, s[12:13]
	v_lshrrev_b32_e32 v42, 16, v40
	v_cmp_ne_u16_sdwa s[14:15], v42, v47 src0_sel:BYTE_0 src1_sel:DWORD
	s_and_saveexec_b64 s[12:13], s[14:15]
	s_cbranch_execz .LBB960_471
; %bb.466:                              ;   in Loop: Header=BB960_213 Depth=1
	v_cmp_ne_u16_sdwa s[16:17], v42, s9 src0_sel:BYTE_0 src1_sel:DWORD
	v_mov_b32_e32 v50, 0xffff8000
	s_and_saveexec_b64 s[14:15], s[16:17]
	s_cbranch_execz .LBB960_470
; %bb.467:                              ;   in Loop: Header=BB960_213 Depth=1
	v_bfe_u32 v49, v40, 16, 7
	v_cmp_ne_u32_e32 vcc, s21, v49
	v_mov_b32_e32 v50, 0x7f80
	s_and_saveexec_b64 s[16:17], vcc
	s_cbranch_execz .LBB960_469
; %bb.468:                              ;   in Loop: Header=BB960_213 Depth=1
	v_and_b32_e32 v52, 7, v42
	v_ffbh_u32_e32 v50, v52
	v_min_u32_e32 v61, 32, v50
	v_subrev_u32_e32 v50, 28, v61
	v_lshlrev_b64 v[50:51], v50, v[42:43]
	v_lshrrev_b32_e32 v53, 3, v49
	v_sub_u32_e32 v51, 29, v61
	v_and_b32_e32 v50, 7, v50
	v_cmp_gt_u32_e32 vcc, 8, v49
	v_cndmask_b32_e32 v49, v53, v51, vcc
	v_cndmask_b32_e32 v50, v52, v50, vcc
	v_lshlrev_b32_e32 v42, 24, v42
	v_lshlrev_b32_e32 v50, 20, v50
	v_and_b32_e32 v42, 0x80000000, v42
	v_lshl_add_u32 v49, v49, 23, v48
	v_or3_b32 v42, v42, v49, v50
	v_lshrrev_b32_e32 v50, 16, v42
.LBB960_469:                            ;   in Loop: Header=BB960_213 Depth=1
	s_or_b64 exec, exec, s[16:17]
.LBB960_470:                            ;   in Loop: Header=BB960_213 Depth=1
	s_or_b64 exec, exec, s[14:15]
.LBB960_471:                            ;   in Loop: Header=BB960_213 Depth=1
	s_or_b64 exec, exec, s[12:13]
	v_cmp_lt_u32_e32 vcc, s22, v40
	v_mov_b32_e32 v51, 0
	v_mov_b32_e32 v52, 0
	s_and_saveexec_b64 s[12:13], vcc
	s_cbranch_execz .LBB960_477
; %bb.472:                              ;   in Loop: Header=BB960_213 Depth=1
	v_lshrrev_b32_e32 v42, 24, v40
	v_cmp_ne_u32_e32 vcc, s9, v42
	v_mov_b32_e32 v52, 0xffff8000
	s_and_saveexec_b64 s[14:15], vcc
	s_cbranch_execz .LBB960_476
; %bb.473:                              ;   in Loop: Header=BB960_213 Depth=1
	v_bfe_u32 v40, v40, 24, 7
	v_cmp_ne_u32_e32 vcc, s21, v40
	v_mov_b32_e32 v52, 0x7f80
	s_and_saveexec_b64 s[16:17], vcc
	s_cbranch_execz .LBB960_475
; %bb.474:                              ;   in Loop: Header=BB960_213 Depth=1
	v_and_b32_e32 v49, 7, v42
	v_ffbh_u32_e32 v52, v49
	v_min_u32_e32 v62, 32, v52
	v_subrev_u32_e32 v52, 28, v62
	v_lshlrev_b64 v[52:53], v52, v[42:43]
	v_lshrrev_b32_e32 v61, 3, v40
	v_sub_u32_e32 v53, 29, v62
	v_and_b32_e32 v52, 7, v52
	v_cmp_gt_u32_e32 vcc, 8, v40
	v_cndmask_b32_e32 v40, v61, v53, vcc
	v_cndmask_b32_e32 v49, v49, v52, vcc
	v_lshlrev_b32_e32 v42, 24, v42
	v_lshlrev_b32_e32 v49, 20, v49
	v_and_b32_e32 v42, 0x80000000, v42
	v_lshl_add_u32 v40, v40, 23, v48
	v_or3_b32 v40, v42, v40, v49
	v_lshrrev_b32_e32 v52, 16, v40
.LBB960_475:                            ;   in Loop: Header=BB960_213 Depth=1
	s_or_b64 exec, exec, s[16:17]
.LBB960_476:                            ;   in Loop: Header=BB960_213 Depth=1
	s_or_b64 exec, exec, s[14:15]
.LBB960_477:                            ;   in Loop: Header=BB960_213 Depth=1
	s_or_b64 exec, exec, s[12:13]
	s_waitcnt vmcnt(0)
	v_cmp_ne_u16_sdwa s[14:15], v38, v47 src0_sel:BYTE_0 src1_sel:DWORD
	s_and_saveexec_b64 s[12:13], s[14:15]
	s_cbranch_execz .LBB960_483
; %bb.478:                              ;   in Loop: Header=BB960_213 Depth=1
	v_cmp_ne_u16_sdwa s[16:17], v38, s9 src0_sel:BYTE_0 src1_sel:DWORD
	v_mov_b32_e32 v51, 0xffff8000
	s_and_saveexec_b64 s[14:15], s[16:17]
	s_cbranch_execz .LBB960_482
; %bb.479:                              ;   in Loop: Header=BB960_213 Depth=1
	v_and_b32_e32 v40, 0x7f, v38
	v_cmp_ne_u32_e32 vcc, s21, v40
	v_mov_b32_e32 v51, 0x7f80
	s_and_saveexec_b64 s[16:17], vcc
	s_cbranch_execz .LBB960_481
; %bb.480:                              ;   in Loop: Header=BB960_213 Depth=1
	v_and_b32_e32 v42, 7, v38
	v_ffbh_u32_e32 v51, v42
	v_min_u32_e32 v51, 32, v51
	v_subrev_u32_e32 v53, 28, v51
	v_lshlrev_b64 v[62:63], v53, v[38:39]
	v_lshrrev_b32_e32 v49, 3, v40
	v_sub_u32_e32 v51, 29, v51
	v_and_b32_e32 v53, 7, v62
	v_cmp_gt_u32_e32 vcc, 8, v40
	v_cndmask_b32_e32 v40, v49, v51, vcc
	v_cndmask_b32_e32 v42, v42, v53, vcc
	v_lshlrev_b32_e32 v49, 24, v38
	v_lshlrev_b32_e32 v42, 20, v42
	v_and_b32_e32 v49, 0x80000000, v49
	v_lshl_add_u32 v40, v40, 23, v48
	v_or3_b32 v40, v49, v40, v42
	v_lshrrev_b32_e32 v51, 16, v40
.LBB960_481:                            ;   in Loop: Header=BB960_213 Depth=1
	s_or_b64 exec, exec, s[16:17]
.LBB960_482:                            ;   in Loop: Header=BB960_213 Depth=1
	s_or_b64 exec, exec, s[14:15]
.LBB960_483:                            ;   in Loop: Header=BB960_213 Depth=1
	s_or_b64 exec, exec, s[12:13]
	v_lshrrev_b16_e32 v40, 8, v38
	v_cmp_ne_u16_e32 vcc, 0, v40
	v_mov_b32_e32 v61, 0
	v_mov_b32_e32 v53, 0
	s_and_saveexec_b64 s[12:13], vcc
	s_cbranch_execz .LBB960_489
; %bb.484:                              ;   in Loop: Header=BB960_213 Depth=1
	v_cmp_ne_u16_e32 vcc, s9, v40
	v_mov_b32_e32 v53, 0xffff8000
	s_and_saveexec_b64 s[14:15], vcc
	s_cbranch_execz .LBB960_488
; %bb.485:                              ;   in Loop: Header=BB960_213 Depth=1
	v_and_b32_e32 v42, 0x7f, v40
	v_cmp_ne_u32_e32 vcc, s21, v42
	v_mov_b32_e32 v53, 0x7f80
	s_and_saveexec_b64 s[16:17], vcc
	s_cbranch_execz .LBB960_487
; %bb.486:                              ;   in Loop: Header=BB960_213 Depth=1
	v_and_b32_e32 v49, 7, v40
	v_ffbh_u32_e32 v62, v49
	v_min_u32_e32 v64, 32, v62
	v_subrev_u32_e32 v62, 28, v64
	v_lshlrev_b64 v[62:63], v62, v[40:41]
	v_lshrrev_b32_e32 v53, 3, v42
	v_sub_u32_e32 v40, 29, v64
	v_and_b32_e32 v62, 7, v62
	v_cmp_gt_u32_e32 vcc, 8, v42
	v_cndmask_b32_e32 v40, v53, v40, vcc
	v_cndmask_b32_e32 v42, v49, v62, vcc
	v_lshlrev_b32_e32 v49, 16, v38
	v_lshlrev_b32_e32 v42, 20, v42
	v_and_b32_e32 v49, 0x80000000, v49
	v_lshl_add_u32 v40, v40, 23, v48
	v_or3_b32 v40, v49, v40, v42
	v_lshrrev_b32_e32 v53, 16, v40
.LBB960_487:                            ;   in Loop: Header=BB960_213 Depth=1
	s_or_b64 exec, exec, s[16:17]
.LBB960_488:                            ;   in Loop: Header=BB960_213 Depth=1
	s_or_b64 exec, exec, s[14:15]
.LBB960_489:                            ;   in Loop: Header=BB960_213 Depth=1
	s_or_b64 exec, exec, s[12:13]
	v_lshrrev_b32_e32 v40, 16, v38
	v_cmp_ne_u16_sdwa s[14:15], v40, v47 src0_sel:BYTE_0 src1_sel:DWORD
	s_and_saveexec_b64 s[12:13], s[14:15]
	s_cbranch_execz .LBB960_495
; %bb.490:                              ;   in Loop: Header=BB960_213 Depth=1
	v_cmp_ne_u16_sdwa s[16:17], v40, s9 src0_sel:BYTE_0 src1_sel:DWORD
	v_mov_b32_e32 v61, 0xffff8000
	s_and_saveexec_b64 s[14:15], s[16:17]
	s_cbranch_execz .LBB960_494
; %bb.491:                              ;   in Loop: Header=BB960_213 Depth=1
	v_bfe_u32 v42, v38, 16, 7
	v_cmp_ne_u32_e32 vcc, s21, v42
	v_mov_b32_e32 v61, 0x7f80
	s_and_saveexec_b64 s[16:17], vcc
	s_cbranch_execz .LBB960_493
; %bb.492:                              ;   in Loop: Header=BB960_213 Depth=1
	v_and_b32_e32 v49, 7, v40
	v_ffbh_u32_e32 v62, v49
	v_min_u32_e32 v64, 32, v62
	v_subrev_u32_e32 v62, 28, v64
	v_lshlrev_b64 v[62:63], v62, v[40:41]
	v_lshrrev_b32_e32 v61, 3, v42
	v_sub_u32_e32 v63, 29, v64
	v_and_b32_e32 v62, 7, v62
	v_cmp_gt_u32_e32 vcc, 8, v42
	v_cndmask_b32_e32 v42, v61, v63, vcc
	v_cndmask_b32_e32 v49, v49, v62, vcc
	v_lshlrev_b32_e32 v40, 24, v40
	v_lshlrev_b32_e32 v49, 20, v49
	v_and_b32_e32 v40, 0x80000000, v40
	v_lshl_add_u32 v42, v42, 23, v48
	v_or3_b32 v40, v40, v42, v49
	v_lshrrev_b32_e32 v61, 16, v40
.LBB960_493:                            ;   in Loop: Header=BB960_213 Depth=1
	s_or_b64 exec, exec, s[16:17]
.LBB960_494:                            ;   in Loop: Header=BB960_213 Depth=1
	s_or_b64 exec, exec, s[14:15]
.LBB960_495:                            ;   in Loop: Header=BB960_213 Depth=1
	s_or_b64 exec, exec, s[12:13]
	v_cmp_lt_u32_e32 vcc, s22, v38
	v_mov_b32_e32 v49, 0
	v_mov_b32_e32 v62, 0
	s_and_saveexec_b64 s[12:13], vcc
	s_cbranch_execz .LBB960_501
; %bb.496:                              ;   in Loop: Header=BB960_213 Depth=1
	v_lshrrev_b32_e32 v40, 24, v38
	v_cmp_ne_u32_e32 vcc, s9, v40
	v_mov_b32_e32 v62, 0xffff8000
	s_and_saveexec_b64 s[14:15], vcc
	s_cbranch_execz .LBB960_500
; %bb.497:                              ;   in Loop: Header=BB960_213 Depth=1
	v_bfe_u32 v38, v38, 24, 7
	v_cmp_ne_u32_e32 vcc, s21, v38
	v_mov_b32_e32 v62, 0x7f80
	s_and_saveexec_b64 s[16:17], vcc
	s_cbranch_execz .LBB960_499
; %bb.498:                              ;   in Loop: Header=BB960_213 Depth=1
	v_and_b32_e32 v42, 7, v40
	v_ffbh_u32_e32 v62, v42
	v_min_u32_e32 v65, 32, v62
	v_subrev_u32_e32 v62, 28, v65
	v_lshlrev_b64 v[62:63], v62, v[40:41]
	v_lshrrev_b32_e32 v64, 3, v38
	v_sub_u32_e32 v63, 29, v65
	v_and_b32_e32 v62, 7, v62
	v_cmp_gt_u32_e32 vcc, 8, v38
	v_cndmask_b32_e32 v38, v64, v63, vcc
	v_cndmask_b32_e32 v42, v42, v62, vcc
	v_lshlrev_b32_e32 v40, 24, v40
	v_lshlrev_b32_e32 v42, 20, v42
	v_and_b32_e32 v40, 0x80000000, v40
	v_lshl_add_u32 v38, v38, 23, v48
	v_or3_b32 v38, v40, v38, v42
	v_lshrrev_b32_e32 v62, 16, v38
.LBB960_499:                            ;   in Loop: Header=BB960_213 Depth=1
	s_or_b64 exec, exec, s[16:17]
.LBB960_500:                            ;   in Loop: Header=BB960_213 Depth=1
	s_or_b64 exec, exec, s[14:15]
.LBB960_501:                            ;   in Loop: Header=BB960_213 Depth=1
	s_or_b64 exec, exec, s[12:13]
	v_perm_b32 v64, v44, v46, s23
	buffer_load_dword v44, v60, s[0:3], 0 offen
	buffer_load_dword v42, v60, s[0:3], 0 offen offset:4
	buffer_load_dword v40, v60, s[0:3], 0 offen offset:8
	;; [unrolled: 1-line block ×3, first 2 shown]
	v_perm_b32 v65, v52, v50, s23
	v_perm_b32 v61, v62, v61, s23
	;; [unrolled: 1-line block ×3, first 2 shown]
	v_mfma_f32_16x16x16bf16_1k v[34:37], v[64:65], v[22:23], v[34:37]
	s_waitcnt vmcnt(3)
	v_cmp_ne_u16_sdwa s[14:15], v44, v47 src0_sel:BYTE_0 src1_sel:DWORD
	v_mfma_f32_16x16x16bf16_1k v[34:37], v[60:61], v[24:25], v[34:37]
	s_and_saveexec_b64 s[12:13], s[14:15]
	s_cbranch_execz .LBB960_507
; %bb.502:                              ;   in Loop: Header=BB960_213 Depth=1
	v_cmp_ne_u16_sdwa s[16:17], v44, s9 src0_sel:BYTE_0 src1_sel:DWORD
	v_mov_b32_e32 v49, 0xffff8000
	s_and_saveexec_b64 s[14:15], s[16:17]
	s_cbranch_execz .LBB960_506
; %bb.503:                              ;   in Loop: Header=BB960_213 Depth=1
	v_and_b32_e32 v46, 0x7f, v44
	v_cmp_ne_u32_e32 vcc, s21, v46
	v_mov_b32_e32 v49, 0x7f80
	s_and_saveexec_b64 s[16:17], vcc
	s_cbranch_execz .LBB960_505
; %bb.504:                              ;   in Loop: Header=BB960_213 Depth=1
	v_and_b32_e32 v49, 7, v44
	v_ffbh_u32_e32 v50, v49
	v_min_u32_e32 v53, 32, v50
	v_subrev_u32_e32 v50, 28, v53
	v_lshlrev_b64 v[50:51], v50, v[44:45]
	v_lshrrev_b32_e32 v52, 3, v46
	v_sub_u32_e32 v51, 29, v53
	v_and_b32_e32 v50, 7, v50
	v_cmp_gt_u32_e32 vcc, 8, v46
	v_cndmask_b32_e32 v46, v52, v51, vcc
	v_cndmask_b32_e32 v49, v49, v50, vcc
	v_lshlrev_b32_e32 v50, 24, v44
	v_lshlrev_b32_e32 v49, 20, v49
	v_and_b32_e32 v50, 0x80000000, v50
	v_lshl_add_u32 v46, v46, 23, v48
	v_or3_b32 v46, v50, v46, v49
	v_lshrrev_b32_e32 v49, 16, v46
.LBB960_505:                            ;   in Loop: Header=BB960_213 Depth=1
	s_or_b64 exec, exec, s[16:17]
.LBB960_506:                            ;   in Loop: Header=BB960_213 Depth=1
	s_or_b64 exec, exec, s[14:15]
.LBB960_507:                            ;   in Loop: Header=BB960_213 Depth=1
	s_or_b64 exec, exec, s[12:13]
	v_lshrrev_b16_e32 v46, 8, v44
	v_cmp_ne_u16_e32 vcc, 0, v46
	v_mov_b32_e32 v51, 0
	v_mov_b32_e32 v50, 0
	s_and_saveexec_b64 s[12:13], vcc
	s_cbranch_execz .LBB960_513
; %bb.508:                              ;   in Loop: Header=BB960_213 Depth=1
	v_cmp_ne_u16_e32 vcc, s9, v46
	v_mov_b32_e32 v50, 0xffff8000
	s_and_saveexec_b64 s[14:15], vcc
	s_cbranch_execz .LBB960_512
; %bb.509:                              ;   in Loop: Header=BB960_213 Depth=1
	v_and_b32_e32 v52, 0x7f, v46
	v_cmp_ne_u32_e32 vcc, s21, v52
	v_mov_b32_e32 v50, 0x7f80
	s_and_saveexec_b64 s[16:17], vcc
	s_cbranch_execz .LBB960_511
; %bb.510:                              ;   in Loop: Header=BB960_213 Depth=1
	v_and_b32_e32 v50, 7, v46
	v_ffbh_u32_e32 v60, v50
	v_min_u32_e32 v62, 32, v60
	v_subrev_u32_e32 v60, 28, v62
	v_lshlrev_b64 v[60:61], v60, v[46:47]
	v_lshrrev_b32_e32 v53, 3, v52
	v_sub_u32_e32 v46, 29, v62
	v_and_b32_e32 v60, 7, v60
	v_cmp_gt_u32_e32 vcc, 8, v52
	v_cndmask_b32_e32 v46, v53, v46, vcc
	v_cndmask_b32_e32 v50, v50, v60, vcc
	v_lshlrev_b32_e32 v52, 16, v44
	v_lshlrev_b32_e32 v50, 20, v50
	v_and_b32_e32 v52, 0x80000000, v52
	v_lshl_add_u32 v46, v46, 23, v48
	v_or3_b32 v46, v52, v46, v50
	v_lshrrev_b32_e32 v50, 16, v46
.LBB960_511:                            ;   in Loop: Header=BB960_213 Depth=1
	s_or_b64 exec, exec, s[16:17]
.LBB960_512:                            ;   in Loop: Header=BB960_213 Depth=1
	s_or_b64 exec, exec, s[14:15]
.LBB960_513:                            ;   in Loop: Header=BB960_213 Depth=1
	s_or_b64 exec, exec, s[12:13]
	v_lshrrev_b32_e32 v46, 16, v44
	v_cmp_ne_u16_sdwa s[14:15], v46, v47 src0_sel:BYTE_0 src1_sel:DWORD
	s_and_saveexec_b64 s[12:13], s[14:15]
	s_cbranch_execz .LBB960_519
; %bb.514:                              ;   in Loop: Header=BB960_213 Depth=1
	v_cmp_ne_u16_sdwa s[16:17], v46, s9 src0_sel:BYTE_0 src1_sel:DWORD
	v_mov_b32_e32 v51, 0xffff8000
	s_and_saveexec_b64 s[14:15], s[16:17]
	s_cbranch_execz .LBB960_518
; %bb.515:                              ;   in Loop: Header=BB960_213 Depth=1
	v_bfe_u32 v52, v44, 16, 7
	v_cmp_ne_u32_e32 vcc, s21, v52
	v_mov_b32_e32 v51, 0x7f80
	s_and_saveexec_b64 s[16:17], vcc
	s_cbranch_execz .LBB960_517
; %bb.516:                              ;   in Loop: Header=BB960_213 Depth=1
	v_and_b32_e32 v51, 7, v46
	v_ffbh_u32_e32 v60, v51
	v_min_u32_e32 v62, 32, v60
	v_subrev_u32_e32 v60, 28, v62
	v_lshlrev_b64 v[60:61], v60, v[46:47]
	v_lshrrev_b32_e32 v53, 3, v52
	v_sub_u32_e32 v61, 29, v62
	v_and_b32_e32 v60, 7, v60
	v_cmp_gt_u32_e32 vcc, 8, v52
	v_cndmask_b32_e32 v52, v53, v61, vcc
	v_cndmask_b32_e32 v51, v51, v60, vcc
	v_lshlrev_b32_e32 v46, 24, v46
	v_lshlrev_b32_e32 v51, 20, v51
	v_and_b32_e32 v46, 0x80000000, v46
	v_lshl_add_u32 v52, v52, 23, v48
	v_or3_b32 v46, v46, v52, v51
	v_lshrrev_b32_e32 v51, 16, v46
.LBB960_517:                            ;   in Loop: Header=BB960_213 Depth=1
	s_or_b64 exec, exec, s[16:17]
.LBB960_518:                            ;   in Loop: Header=BB960_213 Depth=1
	s_or_b64 exec, exec, s[14:15]
.LBB960_519:                            ;   in Loop: Header=BB960_213 Depth=1
	s_or_b64 exec, exec, s[12:13]
	v_cmp_lt_u32_e32 vcc, s22, v44
	v_mov_b32_e32 v52, 0
	v_mov_b32_e32 v53, 0
	s_and_saveexec_b64 s[12:13], vcc
	s_cbranch_execz .LBB960_525
; %bb.520:                              ;   in Loop: Header=BB960_213 Depth=1
	v_lshrrev_b32_e32 v46, 24, v44
	v_cmp_ne_u32_e32 vcc, s9, v46
	v_mov_b32_e32 v53, 0xffff8000
	s_and_saveexec_b64 s[14:15], vcc
	s_cbranch_execz .LBB960_524
; %bb.521:                              ;   in Loop: Header=BB960_213 Depth=1
	v_bfe_u32 v44, v44, 24, 7
	v_cmp_ne_u32_e32 vcc, s21, v44
	v_mov_b32_e32 v53, 0x7f80
	s_and_saveexec_b64 s[16:17], vcc
	s_cbranch_execz .LBB960_523
; %bb.522:                              ;   in Loop: Header=BB960_213 Depth=1
	v_and_b32_e32 v53, 7, v46
	v_ffbh_u32_e32 v60, v53
	v_min_u32_e32 v63, 32, v60
	v_subrev_u32_e32 v60, 28, v63
	v_lshlrev_b64 v[60:61], v60, v[46:47]
	v_lshrrev_b32_e32 v62, 3, v44
	v_sub_u32_e32 v61, 29, v63
	v_and_b32_e32 v60, 7, v60
	v_cmp_gt_u32_e32 vcc, 8, v44
	v_cndmask_b32_e32 v44, v62, v61, vcc
	v_cndmask_b32_e32 v53, v53, v60, vcc
	v_lshlrev_b32_e32 v46, 24, v46
	v_lshlrev_b32_e32 v53, 20, v53
	v_and_b32_e32 v46, 0x80000000, v46
	v_lshl_add_u32 v44, v44, 23, v48
	v_or3_b32 v44, v46, v44, v53
	v_lshrrev_b32_e32 v53, 16, v44
.LBB960_523:                            ;   in Loop: Header=BB960_213 Depth=1
	s_or_b64 exec, exec, s[16:17]
.LBB960_524:                            ;   in Loop: Header=BB960_213 Depth=1
	s_or_b64 exec, exec, s[14:15]
.LBB960_525:                            ;   in Loop: Header=BB960_213 Depth=1
	s_or_b64 exec, exec, s[12:13]
	s_waitcnt vmcnt(2)
	v_cmp_ne_u16_sdwa s[14:15], v42, v47 src0_sel:BYTE_0 src1_sel:DWORD
	s_and_saveexec_b64 s[12:13], s[14:15]
	s_cbranch_execz .LBB960_531
; %bb.526:                              ;   in Loop: Header=BB960_213 Depth=1
	v_cmp_ne_u16_sdwa s[16:17], v42, s9 src0_sel:BYTE_0 src1_sel:DWORD
	v_mov_b32_e32 v52, 0xffff8000
	s_and_saveexec_b64 s[14:15], s[16:17]
	s_cbranch_execz .LBB960_530
; %bb.527:                              ;   in Loop: Header=BB960_213 Depth=1
	v_and_b32_e32 v44, 0x7f, v42
	v_cmp_ne_u32_e32 vcc, s21, v44
	v_mov_b32_e32 v52, 0x7f80
	s_and_saveexec_b64 s[16:17], vcc
	s_cbranch_execz .LBB960_529
; %bb.528:                              ;   in Loop: Header=BB960_213 Depth=1
	v_and_b32_e32 v46, 7, v42
	v_ffbh_u32_e32 v60, v46
	v_min_u32_e32 v62, 32, v60
	v_subrev_u32_e32 v60, 28, v62
	v_lshlrev_b64 v[60:61], v60, v[42:43]
	v_lshrrev_b32_e32 v52, 3, v44
	v_sub_u32_e32 v61, 29, v62
	v_and_b32_e32 v60, 7, v60
	v_cmp_gt_u32_e32 vcc, 8, v44
	v_cndmask_b32_e32 v44, v52, v61, vcc
	v_cndmask_b32_e32 v46, v46, v60, vcc
	v_lshlrev_b32_e32 v52, 24, v42
	v_lshlrev_b32_e32 v46, 20, v46
	v_and_b32_e32 v52, 0x80000000, v52
	v_lshl_add_u32 v44, v44, 23, v48
	v_or3_b32 v44, v52, v44, v46
	v_lshrrev_b32_e32 v52, 16, v44
.LBB960_529:                            ;   in Loop: Header=BB960_213 Depth=1
	s_or_b64 exec, exec, s[16:17]
.LBB960_530:                            ;   in Loop: Header=BB960_213 Depth=1
	s_or_b64 exec, exec, s[14:15]
.LBB960_531:                            ;   in Loop: Header=BB960_213 Depth=1
	s_or_b64 exec, exec, s[12:13]
	v_lshrrev_b16_e32 v44, 8, v42
	v_cmp_ne_u16_e32 vcc, 0, v44
	v_mov_b32_e32 v61, 0
	v_mov_b32_e32 v60, 0
	s_and_saveexec_b64 s[12:13], vcc
	s_cbranch_execz .LBB960_537
; %bb.532:                              ;   in Loop: Header=BB960_213 Depth=1
	v_cmp_ne_u16_e32 vcc, s9, v44
	v_mov_b32_e32 v60, 0xffff8000
	s_and_saveexec_b64 s[14:15], vcc
	s_cbranch_execz .LBB960_536
; %bb.533:                              ;   in Loop: Header=BB960_213 Depth=1
	v_and_b32_e32 v46, 0x7f, v44
	v_cmp_ne_u32_e32 vcc, s21, v46
	v_mov_b32_e32 v60, 0x7f80
	s_and_saveexec_b64 s[16:17], vcc
	s_cbranch_execz .LBB960_535
; %bb.534:                              ;   in Loop: Header=BB960_213 Depth=1
	v_and_b32_e32 v60, 7, v44
	v_ffbh_u32_e32 v62, v60
	v_min_u32_e32 v65, 32, v62
	v_subrev_u32_e32 v62, 28, v65
	v_lshlrev_b64 v[62:63], v62, v[44:45]
	v_lshrrev_b32_e32 v64, 3, v46
	v_sub_u32_e32 v44, 29, v65
	v_and_b32_e32 v62, 7, v62
	v_cmp_gt_u32_e32 vcc, 8, v46
	v_cndmask_b32_e32 v44, v64, v44, vcc
	v_cndmask_b32_e32 v46, v60, v62, vcc
	v_lshlrev_b32_e32 v60, 16, v42
	v_lshlrev_b32_e32 v46, 20, v46
	v_and_b32_e32 v60, 0x80000000, v60
	v_lshl_add_u32 v44, v44, 23, v48
	v_or3_b32 v44, v60, v44, v46
	v_lshrrev_b32_e32 v60, 16, v44
.LBB960_535:                            ;   in Loop: Header=BB960_213 Depth=1
	s_or_b64 exec, exec, s[16:17]
.LBB960_536:                            ;   in Loop: Header=BB960_213 Depth=1
	s_or_b64 exec, exec, s[14:15]
.LBB960_537:                            ;   in Loop: Header=BB960_213 Depth=1
	s_or_b64 exec, exec, s[12:13]
	v_lshrrev_b32_e32 v44, 16, v42
	v_cmp_ne_u16_sdwa s[14:15], v44, v47 src0_sel:BYTE_0 src1_sel:DWORD
	s_and_saveexec_b64 s[12:13], s[14:15]
	s_cbranch_execz .LBB960_543
; %bb.538:                              ;   in Loop: Header=BB960_213 Depth=1
	v_cmp_ne_u16_sdwa s[16:17], v44, s9 src0_sel:BYTE_0 src1_sel:DWORD
	v_mov_b32_e32 v61, 0xffff8000
	s_and_saveexec_b64 s[14:15], s[16:17]
	s_cbranch_execz .LBB960_542
; %bb.539:                              ;   in Loop: Header=BB960_213 Depth=1
	v_bfe_u32 v46, v42, 16, 7
	v_cmp_ne_u32_e32 vcc, s21, v46
	v_mov_b32_e32 v61, 0x7f80
	s_and_saveexec_b64 s[16:17], vcc
	s_cbranch_execz .LBB960_541
; %bb.540:                              ;   in Loop: Header=BB960_213 Depth=1
	v_and_b32_e32 v61, 7, v44
	v_ffbh_u32_e32 v62, v61
	v_min_u32_e32 v65, 32, v62
	v_subrev_u32_e32 v62, 28, v65
	v_lshlrev_b64 v[62:63], v62, v[44:45]
	v_lshrrev_b32_e32 v64, 3, v46
	v_sub_u32_e32 v63, 29, v65
	v_and_b32_e32 v62, 7, v62
	v_cmp_gt_u32_e32 vcc, 8, v46
	v_cndmask_b32_e32 v46, v64, v63, vcc
	v_cndmask_b32_e32 v61, v61, v62, vcc
	v_lshlrev_b32_e32 v44, 24, v44
	v_lshlrev_b32_e32 v61, 20, v61
	v_and_b32_e32 v44, 0x80000000, v44
	v_lshl_add_u32 v46, v46, 23, v48
	v_or3_b32 v44, v44, v46, v61
	v_lshrrev_b32_e32 v61, 16, v44
.LBB960_541:                            ;   in Loop: Header=BB960_213 Depth=1
	s_or_b64 exec, exec, s[16:17]
.LBB960_542:                            ;   in Loop: Header=BB960_213 Depth=1
	s_or_b64 exec, exec, s[14:15]
.LBB960_543:                            ;   in Loop: Header=BB960_213 Depth=1
	s_or_b64 exec, exec, s[12:13]
	v_cmp_lt_u32_e32 vcc, s22, v42
	v_mov_b32_e32 v46, 0
	v_mov_b32_e32 v62, 0
	s_and_saveexec_b64 s[12:13], vcc
	s_cbranch_execz .LBB960_549
; %bb.544:                              ;   in Loop: Header=BB960_213 Depth=1
	v_lshrrev_b32_e32 v44, 24, v42
	v_cmp_ne_u32_e32 vcc, s9, v44
	v_mov_b32_e32 v62, 0xffff8000
	s_and_saveexec_b64 s[14:15], vcc
	s_cbranch_execz .LBB960_548
; %bb.545:                              ;   in Loop: Header=BB960_213 Depth=1
	v_bfe_u32 v42, v42, 24, 7
	v_cmp_ne_u32_e32 vcc, s21, v42
	v_mov_b32_e32 v62, 0x7f80
	s_and_saveexec_b64 s[16:17], vcc
	s_cbranch_execz .LBB960_547
; %bb.546:                              ;   in Loop: Header=BB960_213 Depth=1
	v_and_b32_e32 v64, 7, v44
	v_ffbh_u32_e32 v62, v64
	v_min_u32_e32 v66, 32, v62
	v_subrev_u32_e32 v62, 28, v66
	v_lshlrev_b64 v[62:63], v62, v[44:45]
	v_lshrrev_b32_e32 v65, 3, v42
	v_sub_u32_e32 v63, 29, v66
	v_and_b32_e32 v62, 7, v62
	v_cmp_gt_u32_e32 vcc, 8, v42
	v_cndmask_b32_e32 v42, v65, v63, vcc
	v_cndmask_b32_e32 v62, v64, v62, vcc
	v_lshlrev_b32_e32 v44, 24, v44
	v_lshlrev_b32_e32 v62, 20, v62
	v_and_b32_e32 v44, 0x80000000, v44
	v_lshl_add_u32 v42, v42, 23, v48
	v_or3_b32 v42, v44, v42, v62
	v_lshrrev_b32_e32 v62, 16, v42
.LBB960_547:                            ;   in Loop: Header=BB960_213 Depth=1
	s_or_b64 exec, exec, s[16:17]
.LBB960_548:                            ;   in Loop: Header=BB960_213 Depth=1
	s_or_b64 exec, exec, s[14:15]
.LBB960_549:                            ;   in Loop: Header=BB960_213 Depth=1
	s_or_b64 exec, exec, s[12:13]
	v_perm_b32 v51, v53, v51, s23
	v_perm_b32 v50, v50, v49, s23
	s_waitcnt vmcnt(1)
	v_cmp_ne_u16_sdwa s[14:15], v40, v47 src0_sel:BYTE_0 src1_sel:DWORD
	v_mfma_f32_16x16x16bf16_1k v[34:37], v[50:51], v[26:27], v[34:37]
	v_perm_b32 v51, v62, v61, s23
	v_perm_b32 v50, v60, v52, s23
	s_nop 1
	v_mfma_f32_16x16x16bf16_1k v[34:37], v[50:51], v[28:29], v[34:37]
	s_and_saveexec_b64 s[12:13], s[14:15]
	s_cbranch_execz .LBB960_555
; %bb.550:                              ;   in Loop: Header=BB960_213 Depth=1
	v_cmp_ne_u16_sdwa s[16:17], v40, s9 src0_sel:BYTE_0 src1_sel:DWORD
	v_mov_b32_e32 v46, 0xffff8000
	s_and_saveexec_b64 s[14:15], s[16:17]
	s_cbranch_execz .LBB960_554
; %bb.551:                              ;   in Loop: Header=BB960_213 Depth=1
	v_and_b32_e32 v42, 0x7f, v40
	v_cmp_ne_u32_e32 vcc, s21, v42
	v_mov_b32_e32 v46, 0x7f80
	s_and_saveexec_b64 s[16:17], vcc
	s_cbranch_execz .LBB960_553
; %bb.552:                              ;   in Loop: Header=BB960_213 Depth=1
	v_and_b32_e32 v44, 7, v40
	v_ffbh_u32_e32 v49, v44
	v_min_u32_e32 v49, 32, v49
	v_subrev_u32_e32 v50, 28, v49
	v_lshlrev_b64 v[50:51], v50, v[40:41]
	v_lshrrev_b32_e32 v46, 3, v42
	v_sub_u32_e32 v49, 29, v49
	v_and_b32_e32 v50, 7, v50
	v_cmp_gt_u32_e32 vcc, 8, v42
	v_cndmask_b32_e32 v42, v46, v49, vcc
	v_cndmask_b32_e32 v44, v44, v50, vcc
	v_lshlrev_b32_e32 v46, 24, v40
	v_lshlrev_b32_e32 v44, 20, v44
	v_and_b32_e32 v46, 0x80000000, v46
	v_lshl_add_u32 v42, v42, 23, v48
	v_or3_b32 v42, v46, v42, v44
	v_lshrrev_b32_e32 v46, 16, v42
.LBB960_553:                            ;   in Loop: Header=BB960_213 Depth=1
	s_or_b64 exec, exec, s[16:17]
.LBB960_554:                            ;   in Loop: Header=BB960_213 Depth=1
	s_or_b64 exec, exec, s[14:15]
.LBB960_555:                            ;   in Loop: Header=BB960_213 Depth=1
	s_or_b64 exec, exec, s[12:13]
	v_lshrrev_b16_e32 v42, 8, v40
	v_cmp_ne_u16_e32 vcc, 0, v42
	v_mov_b32_e32 v49, 0
	v_mov_b32_e32 v44, 0
	s_and_saveexec_b64 s[12:13], vcc
	s_cbranch_execz .LBB960_561
; %bb.556:                              ;   in Loop: Header=BB960_213 Depth=1
	v_cmp_ne_u16_e32 vcc, s9, v42
	v_mov_b32_e32 v44, 0xffff8000
	s_and_saveexec_b64 s[14:15], vcc
	s_cbranch_execz .LBB960_560
; %bb.557:                              ;   in Loop: Header=BB960_213 Depth=1
	v_and_b32_e32 v50, 0x7f, v42
	v_cmp_ne_u32_e32 vcc, s21, v50
	v_mov_b32_e32 v44, 0x7f80
	s_and_saveexec_b64 s[16:17], vcc
	s_cbranch_execz .LBB960_559
; %bb.558:                              ;   in Loop: Header=BB960_213 Depth=1
	v_and_b32_e32 v44, 7, v42
	v_ffbh_u32_e32 v52, v44
	v_min_u32_e32 v60, 32, v52
	v_subrev_u32_e32 v52, 28, v60
	v_lshlrev_b64 v[52:53], v52, v[42:43]
	v_lshrrev_b32_e32 v51, 3, v50
	v_sub_u32_e32 v42, 29, v60
	v_and_b32_e32 v52, 7, v52
	v_cmp_gt_u32_e32 vcc, 8, v50
	v_cndmask_b32_e32 v42, v51, v42, vcc
	v_cndmask_b32_e32 v44, v44, v52, vcc
	v_lshlrev_b32_e32 v50, 16, v40
	v_lshlrev_b32_e32 v44, 20, v44
	v_and_b32_e32 v50, 0x80000000, v50
	v_lshl_add_u32 v42, v42, 23, v48
	v_or3_b32 v42, v50, v42, v44
	v_lshrrev_b32_e32 v44, 16, v42
.LBB960_559:                            ;   in Loop: Header=BB960_213 Depth=1
	s_or_b64 exec, exec, s[16:17]
.LBB960_560:                            ;   in Loop: Header=BB960_213 Depth=1
	s_or_b64 exec, exec, s[14:15]
.LBB960_561:                            ;   in Loop: Header=BB960_213 Depth=1
	s_or_b64 exec, exec, s[12:13]
	v_lshrrev_b32_e32 v42, 16, v40
	v_cmp_ne_u16_sdwa s[14:15], v42, v47 src0_sel:BYTE_0 src1_sel:DWORD
	s_and_saveexec_b64 s[12:13], s[14:15]
	s_cbranch_execz .LBB960_567
; %bb.562:                              ;   in Loop: Header=BB960_213 Depth=1
	v_cmp_ne_u16_sdwa s[16:17], v42, s9 src0_sel:BYTE_0 src1_sel:DWORD
	v_mov_b32_e32 v49, 0xffff8000
	s_and_saveexec_b64 s[14:15], s[16:17]
	s_cbranch_execz .LBB960_566
; %bb.563:                              ;   in Loop: Header=BB960_213 Depth=1
	v_bfe_u32 v50, v40, 16, 7
	v_cmp_ne_u32_e32 vcc, s21, v50
	v_mov_b32_e32 v49, 0x7f80
	s_and_saveexec_b64 s[16:17], vcc
	s_cbranch_execz .LBB960_565
; %bb.564:                              ;   in Loop: Header=BB960_213 Depth=1
	v_and_b32_e32 v49, 7, v42
	v_ffbh_u32_e32 v52, v49
	v_min_u32_e32 v60, 32, v52
	v_subrev_u32_e32 v52, 28, v60
	v_lshlrev_b64 v[52:53], v52, v[42:43]
	v_lshrrev_b32_e32 v51, 3, v50
	v_sub_u32_e32 v53, 29, v60
	v_and_b32_e32 v52, 7, v52
	v_cmp_gt_u32_e32 vcc, 8, v50
	v_cndmask_b32_e32 v50, v51, v53, vcc
	v_cndmask_b32_e32 v49, v49, v52, vcc
	v_lshlrev_b32_e32 v42, 24, v42
	v_lshlrev_b32_e32 v49, 20, v49
	v_and_b32_e32 v42, 0x80000000, v42
	v_lshl_add_u32 v50, v50, 23, v48
	v_or3_b32 v42, v42, v50, v49
	v_lshrrev_b32_e32 v49, 16, v42
.LBB960_565:                            ;   in Loop: Header=BB960_213 Depth=1
	s_or_b64 exec, exec, s[16:17]
.LBB960_566:                            ;   in Loop: Header=BB960_213 Depth=1
	s_or_b64 exec, exec, s[14:15]
.LBB960_567:                            ;   in Loop: Header=BB960_213 Depth=1
	s_or_b64 exec, exec, s[12:13]
	v_cmp_lt_u32_e32 vcc, s22, v40
	v_mov_b32_e32 v50, 0
	v_mov_b32_e32 v51, 0
	s_and_saveexec_b64 s[12:13], vcc
	s_cbranch_execz .LBB960_573
; %bb.568:                              ;   in Loop: Header=BB960_213 Depth=1
	v_lshrrev_b32_e32 v42, 24, v40
	v_cmp_ne_u32_e32 vcc, s9, v42
	v_mov_b32_e32 v51, 0xffff8000
	s_and_saveexec_b64 s[14:15], vcc
	s_cbranch_execz .LBB960_572
; %bb.569:                              ;   in Loop: Header=BB960_213 Depth=1
	v_bfe_u32 v40, v40, 24, 7
	v_cmp_ne_u32_e32 vcc, s21, v40
	v_mov_b32_e32 v51, 0x7f80
	s_and_saveexec_b64 s[16:17], vcc
	s_cbranch_execz .LBB960_571
; %bb.570:                              ;   in Loop: Header=BB960_213 Depth=1
	v_and_b32_e32 v51, 7, v42
	v_ffbh_u32_e32 v52, v51
	v_min_u32_e32 v61, 32, v52
	v_subrev_u32_e32 v52, 28, v61
	v_lshlrev_b64 v[52:53], v52, v[42:43]
	v_lshrrev_b32_e32 v60, 3, v40
	v_sub_u32_e32 v53, 29, v61
	v_and_b32_e32 v52, 7, v52
	v_cmp_gt_u32_e32 vcc, 8, v40
	v_cndmask_b32_e32 v40, v60, v53, vcc
	v_cndmask_b32_e32 v51, v51, v52, vcc
	v_lshlrev_b32_e32 v42, 24, v42
	v_lshlrev_b32_e32 v51, 20, v51
	v_and_b32_e32 v42, 0x80000000, v42
	v_lshl_add_u32 v40, v40, 23, v48
	v_or3_b32 v40, v42, v40, v51
	v_lshrrev_b32_e32 v51, 16, v40
.LBB960_571:                            ;   in Loop: Header=BB960_213 Depth=1
	s_or_b64 exec, exec, s[16:17]
.LBB960_572:                            ;   in Loop: Header=BB960_213 Depth=1
	s_or_b64 exec, exec, s[14:15]
.LBB960_573:                            ;   in Loop: Header=BB960_213 Depth=1
	s_or_b64 exec, exec, s[12:13]
	s_waitcnt vmcnt(0)
	v_cmp_ne_u16_sdwa s[14:15], v38, v47 src0_sel:BYTE_0 src1_sel:DWORD
	s_and_saveexec_b64 s[12:13], s[14:15]
	s_cbranch_execz .LBB960_579
; %bb.574:                              ;   in Loop: Header=BB960_213 Depth=1
	v_cmp_ne_u16_sdwa s[16:17], v38, s9 src0_sel:BYTE_0 src1_sel:DWORD
	v_mov_b32_e32 v50, 0xffff8000
	s_and_saveexec_b64 s[14:15], s[16:17]
	s_cbranch_execz .LBB960_578
; %bb.575:                              ;   in Loop: Header=BB960_213 Depth=1
	v_and_b32_e32 v40, 0x7f, v38
	v_cmp_ne_u32_e32 vcc, s21, v40
	v_mov_b32_e32 v50, 0x7f80
	s_and_saveexec_b64 s[16:17], vcc
	s_cbranch_execz .LBB960_577
; %bb.576:                              ;   in Loop: Header=BB960_213 Depth=1
	v_and_b32_e32 v42, 7, v38
	v_ffbh_u32_e32 v52, v42
	v_min_u32_e32 v60, 32, v52
	v_subrev_u32_e32 v52, 28, v60
	v_lshlrev_b64 v[52:53], v52, v[38:39]
	v_lshrrev_b32_e32 v50, 3, v40
	v_sub_u32_e32 v53, 29, v60
	v_and_b32_e32 v52, 7, v52
	v_cmp_gt_u32_e32 vcc, 8, v40
	v_cndmask_b32_e32 v40, v50, v53, vcc
	v_cndmask_b32_e32 v42, v42, v52, vcc
	v_lshlrev_b32_e32 v50, 24, v38
	v_lshlrev_b32_e32 v42, 20, v42
	v_and_b32_e32 v50, 0x80000000, v50
	v_lshl_add_u32 v40, v40, 23, v48
	v_or3_b32 v40, v50, v40, v42
	v_lshrrev_b32_e32 v50, 16, v40
.LBB960_577:                            ;   in Loop: Header=BB960_213 Depth=1
	s_or_b64 exec, exec, s[16:17]
.LBB960_578:                            ;   in Loop: Header=BB960_213 Depth=1
	s_or_b64 exec, exec, s[14:15]
.LBB960_579:                            ;   in Loop: Header=BB960_213 Depth=1
	s_or_b64 exec, exec, s[12:13]
	v_lshrrev_b16_e32 v40, 8, v38
	v_cmp_ne_u16_e32 vcc, 0, v40
	v_mov_b32_e32 v52, 0
	v_mov_b32_e32 v42, 0
	s_and_saveexec_b64 s[12:13], vcc
	s_cbranch_execz .LBB960_585
; %bb.580:                              ;   in Loop: Header=BB960_213 Depth=1
	v_cmp_ne_u16_e32 vcc, s9, v40
	v_mov_b32_e32 v42, 0xffff8000
	s_and_saveexec_b64 s[14:15], vcc
	s_cbranch_execz .LBB960_584
; %bb.581:                              ;   in Loop: Header=BB960_213 Depth=1
	v_and_b32_e32 v53, 0x7f, v40
	v_cmp_ne_u32_e32 vcc, s21, v53
	v_mov_b32_e32 v42, 0x7f80
	s_and_saveexec_b64 s[16:17], vcc
	s_cbranch_execz .LBB960_583
; %bb.582:                              ;   in Loop: Header=BB960_213 Depth=1
	v_and_b32_e32 v42, 7, v40
	v_ffbh_u32_e32 v60, v42
	v_min_u32_e32 v63, 32, v60
	v_subrev_u32_e32 v60, 28, v63
	v_lshlrev_b64 v[60:61], v60, v[40:41]
	v_lshrrev_b32_e32 v62, 3, v53
	v_sub_u32_e32 v40, 29, v63
	v_and_b32_e32 v60, 7, v60
	v_cmp_gt_u32_e32 vcc, 8, v53
	v_cndmask_b32_e32 v40, v62, v40, vcc
	v_cndmask_b32_e32 v42, v42, v60, vcc
	v_lshlrev_b32_e32 v53, 16, v38
	v_lshlrev_b32_e32 v42, 20, v42
	v_and_b32_e32 v53, 0x80000000, v53
	v_lshl_add_u32 v40, v40, 23, v48
	v_or3_b32 v40, v53, v40, v42
	v_lshrrev_b32_e32 v42, 16, v40
.LBB960_583:                            ;   in Loop: Header=BB960_213 Depth=1
	s_or_b64 exec, exec, s[16:17]
.LBB960_584:                            ;   in Loop: Header=BB960_213 Depth=1
	s_or_b64 exec, exec, s[14:15]
.LBB960_585:                            ;   in Loop: Header=BB960_213 Depth=1
	s_or_b64 exec, exec, s[12:13]
	v_lshrrev_b32_e32 v40, 16, v38
	v_cmp_ne_u16_sdwa s[14:15], v40, v47 src0_sel:BYTE_0 src1_sel:DWORD
	s_and_saveexec_b64 s[12:13], s[14:15]
	s_cbranch_execz .LBB960_591
; %bb.586:                              ;   in Loop: Header=BB960_213 Depth=1
	v_cmp_ne_u16_sdwa s[16:17], v40, s9 src0_sel:BYTE_0 src1_sel:DWORD
	v_mov_b32_e32 v52, 0xffff8000
	s_and_saveexec_b64 s[14:15], s[16:17]
	s_cbranch_execz .LBB960_590
; %bb.587:                              ;   in Loop: Header=BB960_213 Depth=1
	v_bfe_u32 v53, v38, 16, 7
	v_cmp_ne_u32_e32 vcc, s21, v53
	v_mov_b32_e32 v52, 0x7f80
	s_and_saveexec_b64 s[16:17], vcc
	s_cbranch_execz .LBB960_589
; %bb.588:                              ;   in Loop: Header=BB960_213 Depth=1
	v_and_b32_e32 v52, 7, v40
	v_ffbh_u32_e32 v60, v52
	v_min_u32_e32 v63, 32, v60
	v_subrev_u32_e32 v60, 28, v63
	v_lshlrev_b64 v[60:61], v60, v[40:41]
	v_lshrrev_b32_e32 v62, 3, v53
	v_sub_u32_e32 v61, 29, v63
	v_and_b32_e32 v60, 7, v60
	v_cmp_gt_u32_e32 vcc, 8, v53
	v_cndmask_b32_e32 v53, v62, v61, vcc
	v_cndmask_b32_e32 v52, v52, v60, vcc
	v_lshlrev_b32_e32 v40, 24, v40
	v_lshlrev_b32_e32 v52, 20, v52
	v_and_b32_e32 v40, 0x80000000, v40
	v_lshl_add_u32 v53, v53, 23, v48
	v_or3_b32 v40, v40, v53, v52
	v_lshrrev_b32_e32 v52, 16, v40
.LBB960_589:                            ;   in Loop: Header=BB960_213 Depth=1
	s_or_b64 exec, exec, s[16:17]
.LBB960_590:                            ;   in Loop: Header=BB960_213 Depth=1
	s_or_b64 exec, exec, s[14:15]
.LBB960_591:                            ;   in Loop: Header=BB960_213 Depth=1
	s_or_b64 exec, exec, s[12:13]
	v_cmp_lt_u32_e32 vcc, s22, v38
	v_mov_b32_e32 v53, 0
	s_and_saveexec_b64 s[12:13], vcc
	s_cbranch_execz .LBB960_212
; %bb.592:                              ;   in Loop: Header=BB960_213 Depth=1
	v_lshrrev_b32_e32 v40, 24, v38
	v_cmp_ne_u32_e32 vcc, s9, v40
	v_mov_b32_e32 v53, 0xffff8000
	s_and_saveexec_b64 s[14:15], vcc
	s_cbranch_execz .LBB960_211
; %bb.593:                              ;   in Loop: Header=BB960_213 Depth=1
	v_bfe_u32 v38, v38, 24, 7
	v_cmp_ne_u32_e32 vcc, s21, v38
	v_mov_b32_e32 v53, 0x7f80
	s_and_saveexec_b64 s[16:17], vcc
	s_cbranch_execz .LBB960_210
; %bb.594:                              ;   in Loop: Header=BB960_213 Depth=1
	v_and_b32_e32 v53, 7, v40
	v_ffbh_u32_e32 v60, v53
	v_min_u32_e32 v63, 32, v60
	v_subrev_u32_e32 v60, 28, v63
	v_lshlrev_b64 v[60:61], v60, v[40:41]
	v_lshrrev_b32_e32 v62, 3, v38
	v_sub_u32_e32 v61, 29, v63
	v_and_b32_e32 v60, 7, v60
	v_cmp_gt_u32_e32 vcc, 8, v38
	v_cndmask_b32_e32 v38, v62, v61, vcc
	v_cndmask_b32_e32 v53, v53, v60, vcc
	v_lshlrev_b32_e32 v40, 24, v40
	v_lshlrev_b32_e32 v53, 20, v53
	v_and_b32_e32 v40, 0x80000000, v40
	v_lshl_add_u32 v38, v38, 23, v48
	v_or3_b32 v38, v40, v38, v53
	v_lshrrev_b32_e32 v53, 16, v38
	s_branch .LBB960_210
.LBB960_595:
	s_barrier
	buffer_load_dword v2, off, s[0:3], 0 offset:320
	buffer_load_dword v5, off, s[0:3], 0 offset:332
	buffer_load_dword v3, off, s[0:3], 0 offset:324
	buffer_load_dword v4, off, s[0:3], 0 offset:328
	v_cmp_gt_u32_e32 vcc, 64, v0
	v_cmp_ne_u32_e64 s[4:5], 3, v55
	s_and_b64 s[4:5], vcc, s[4:5]
	s_waitcnt vmcnt(0)
	ds_write2st64_b64 v43, v[2:3], v[4:5] offset1:1
	s_waitcnt lgkmcnt(0)
	s_barrier
	s_and_saveexec_b64 s[6:7], s[4:5]
	s_cbranch_execz .LBB960_597
; %bb.596:
	s_mul_i32 s4, s18, s8
	s_lshl_b32 s6, s50, 7
	s_mul_hi_u32 s5, s4, s6
	s_mul_i32 s4, s4, s6
	s_lshl_b64 s[4:5], s[4:5], 1
	s_add_u32 s7, s48, s4
	v_lshlrev_b32_e32 v4, 6, v56
	s_addc_u32 s8, s49, s5
	s_lshl_b32 s4, s24, 7
	s_mov_b32 s5, 0
	v_lshl_or_b32 v0, v0, 10, v4
	s_lshl_b64 s[4:5], s[4:5], 1
	v_lshlrev_b32_e32 v2, 5, v55
	v_and_b32_e32 v3, 16, v57
	v_and_b32_e32 v0, 0x1a00, v0
	s_add_u32 s7, s7, s4
	v_or3_b32 v0, v0, v2, v3
	s_addc_u32 s8, s8, s5
	v_mad_u64_u32 v[6:7], s[4:5], s6, v54, 0
	ds_read_b128 v[2:5], v0
	v_lshlrev_b64 v[6:7], 1, v[6:7]
	v_mov_b32_e32 v0, s8
	v_add_co_u32_e32 v6, vcc, s7, v6
	v_addc_co_u32_e32 v7, vcc, v0, v7, vcc
	v_add_co_u32_e32 v0, vcc, v6, v1
	v_addc_co_u32_e32 v1, vcc, 0, v7, vcc
	s_waitcnt lgkmcnt(0)
	global_store_dwordx4 v[0:1], v[2:5], off
.LBB960_597:
	s_endpgm
	.section	.rodata,"a",@progbits
	.p2align	6, 0x0
	.amdhsa_kernel _Z39paged_attention_ll4mi_QKV_mfma16_kernelI14__hip_bfloat16hLN4vllm18Fp8KVCacheDataTypeE1ES0_Li32ELi128ELi256ELb0ELi3EL8MFMAType0EEvPKT_PKT0_S9_ifPKiSB_SB_iPKfiiiPfSE_PS4_PT2_iSD_SD_
		.amdhsa_group_segment_fixed_size 8192
		.amdhsa_private_segment_fixed_size 352
		.amdhsa_kernarg_size 400
		.amdhsa_user_sgpr_count 8
		.amdhsa_user_sgpr_private_segment_buffer 1
		.amdhsa_user_sgpr_dispatch_ptr 0
		.amdhsa_user_sgpr_queue_ptr 0
		.amdhsa_user_sgpr_kernarg_segment_ptr 1
		.amdhsa_user_sgpr_dispatch_id 0
		.amdhsa_user_sgpr_flat_scratch_init 1
		.amdhsa_user_sgpr_kernarg_preload_length 0
		.amdhsa_user_sgpr_kernarg_preload_offset 0
		.amdhsa_user_sgpr_private_segment_size 0
		.amdhsa_uses_dynamic_stack 0
		.amdhsa_system_sgpr_private_segment_wavefront_offset 1
		.amdhsa_system_sgpr_workgroup_id_x 1
		.amdhsa_system_sgpr_workgroup_id_y 1
		.amdhsa_system_sgpr_workgroup_id_z 1
		.amdhsa_system_sgpr_workgroup_info 0
		.amdhsa_system_vgpr_workitem_id 0
		.amdhsa_next_free_vgpr 78
		.amdhsa_next_free_sgpr 53
		.amdhsa_accum_offset 80
		.amdhsa_reserve_vcc 1
		.amdhsa_reserve_flat_scratch 0
		.amdhsa_float_round_mode_32 0
		.amdhsa_float_round_mode_16_64 0
		.amdhsa_float_denorm_mode_32 3
		.amdhsa_float_denorm_mode_16_64 3
		.amdhsa_dx10_clamp 1
		.amdhsa_ieee_mode 1
		.amdhsa_fp16_overflow 0
		.amdhsa_tg_split 0
		.amdhsa_exception_fp_ieee_invalid_op 0
		.amdhsa_exception_fp_denorm_src 0
		.amdhsa_exception_fp_ieee_div_zero 0
		.amdhsa_exception_fp_ieee_overflow 0
		.amdhsa_exception_fp_ieee_underflow 0
		.amdhsa_exception_fp_ieee_inexact 0
		.amdhsa_exception_int_div_zero 0
	.end_amdhsa_kernel
	.section	.text._Z39paged_attention_ll4mi_QKV_mfma16_kernelI14__hip_bfloat16hLN4vllm18Fp8KVCacheDataTypeE1ES0_Li32ELi128ELi256ELb0ELi3EL8MFMAType0EEvPKT_PKT0_S9_ifPKiSB_SB_iPKfiiiPfSE_PS4_PT2_iSD_SD_,"axG",@progbits,_Z39paged_attention_ll4mi_QKV_mfma16_kernelI14__hip_bfloat16hLN4vllm18Fp8KVCacheDataTypeE1ES0_Li32ELi128ELi256ELb0ELi3EL8MFMAType0EEvPKT_PKT0_S9_ifPKiSB_SB_iPKfiiiPfSE_PS4_PT2_iSD_SD_,comdat
.Lfunc_end960:
	.size	_Z39paged_attention_ll4mi_QKV_mfma16_kernelI14__hip_bfloat16hLN4vllm18Fp8KVCacheDataTypeE1ES0_Li32ELi128ELi256ELb0ELi3EL8MFMAType0EEvPKT_PKT0_S9_ifPKiSB_SB_iPKfiiiPfSE_PS4_PT2_iSD_SD_, .Lfunc_end960-_Z39paged_attention_ll4mi_QKV_mfma16_kernelI14__hip_bfloat16hLN4vllm18Fp8KVCacheDataTypeE1ES0_Li32ELi128ELi256ELb0ELi3EL8MFMAType0EEvPKT_PKT0_S9_ifPKiSB_SB_iPKfiiiPfSE_PS4_PT2_iSD_SD_
                                        ; -- End function
	.section	.AMDGPU.csdata,"",@progbits
; Kernel info:
; codeLenInByte = 22216
; NumSgprs: 57
; NumVgprs: 78
; NumAgprs: 0
; TotalNumVgprs: 78
; ScratchSize: 352
; MemoryBound: 0
; FloatMode: 240
; IeeeMode: 1
; LDSByteSize: 8192 bytes/workgroup (compile time only)
; SGPRBlocks: 7
; VGPRBlocks: 9
; NumSGPRsForWavesPerEU: 57
; NumVGPRsForWavesPerEU: 78
; AccumOffset: 80
; Occupancy: 6
; WaveLimiterHint : 1
; COMPUTE_PGM_RSRC2:SCRATCH_EN: 1
; COMPUTE_PGM_RSRC2:USER_SGPR: 8
; COMPUTE_PGM_RSRC2:TRAP_HANDLER: 0
; COMPUTE_PGM_RSRC2:TGID_X_EN: 1
; COMPUTE_PGM_RSRC2:TGID_Y_EN: 1
; COMPUTE_PGM_RSRC2:TGID_Z_EN: 1
; COMPUTE_PGM_RSRC2:TIDIG_COMP_CNT: 0
; COMPUTE_PGM_RSRC3_GFX90A:ACCUM_OFFSET: 19
; COMPUTE_PGM_RSRC3_GFX90A:TG_SPLIT: 0
	.section	.text._Z39paged_attention_ll4mi_QKV_mfma16_kernelI14__hip_bfloat16hLN4vllm18Fp8KVCacheDataTypeE1ES0_Li32ELi128ELi256ELb0ELi4EL8MFMAType0EEvPKT_PKT0_S9_ifPKiSB_SB_iPKfiiiPfSE_PS4_PT2_iSD_SD_,"axG",@progbits,_Z39paged_attention_ll4mi_QKV_mfma16_kernelI14__hip_bfloat16hLN4vllm18Fp8KVCacheDataTypeE1ES0_Li32ELi128ELi256ELb0ELi4EL8MFMAType0EEvPKT_PKT0_S9_ifPKiSB_SB_iPKfiiiPfSE_PS4_PT2_iSD_SD_,comdat
	.protected	_Z39paged_attention_ll4mi_QKV_mfma16_kernelI14__hip_bfloat16hLN4vllm18Fp8KVCacheDataTypeE1ES0_Li32ELi128ELi256ELb0ELi4EL8MFMAType0EEvPKT_PKT0_S9_ifPKiSB_SB_iPKfiiiPfSE_PS4_PT2_iSD_SD_ ; -- Begin function _Z39paged_attention_ll4mi_QKV_mfma16_kernelI14__hip_bfloat16hLN4vllm18Fp8KVCacheDataTypeE1ES0_Li32ELi128ELi256ELb0ELi4EL8MFMAType0EEvPKT_PKT0_S9_ifPKiSB_SB_iPKfiiiPfSE_PS4_PT2_iSD_SD_
	.globl	_Z39paged_attention_ll4mi_QKV_mfma16_kernelI14__hip_bfloat16hLN4vllm18Fp8KVCacheDataTypeE1ES0_Li32ELi128ELi256ELb0ELi4EL8MFMAType0EEvPKT_PKT0_S9_ifPKiSB_SB_iPKfiiiPfSE_PS4_PT2_iSD_SD_
	.p2align	8
	.type	_Z39paged_attention_ll4mi_QKV_mfma16_kernelI14__hip_bfloat16hLN4vllm18Fp8KVCacheDataTypeE1ES0_Li32ELi128ELi256ELb0ELi4EL8MFMAType0EEvPKT_PKT0_S9_ifPKiSB_SB_iPKfiiiPfSE_PS4_PT2_iSD_SD_,@function
_Z39paged_attention_ll4mi_QKV_mfma16_kernelI14__hip_bfloat16hLN4vllm18Fp8KVCacheDataTypeE1ES0_Li32ELi128ELi256ELb0ELi4EL8MFMAType0EEvPKT_PKT0_S9_ifPKiSB_SB_iPKfiiiPfSE_PS4_PT2_iSD_SD_: ; @_Z39paged_attention_ll4mi_QKV_mfma16_kernelI14__hip_bfloat16hLN4vllm18Fp8KVCacheDataTypeE1ES0_Li32ELi128ELi256ELb0ELi4EL8MFMAType0EEvPKT_PKT0_S9_ifPKiSB_SB_iPKfiiiPfSE_PS4_PT2_iSD_SD_
; %bb.0:
	s_load_dwordx2 s[6:7], s[4:5], 0x30
	s_add_u32 s0, s0, s11
	s_addc_u32 s1, s1, 0
	s_mov_b32 s26, s9
	s_mov_b64 s[12:13], 0
	s_waitcnt lgkmcnt(0)
	s_cmp_lg_u64 s[6:7], 0
	s_cselect_b64 s[16:17], -1, 0
	s_and_b64 vcc, exec, s[16:17]
	s_cbranch_vccz .LBB961_7
; %bb.1:
	s_add_i32 s14, s8, 1
	s_mov_b32 s15, 0
	s_lshl_b64 s[18:19], s[14:15], 2
	s_add_u32 s18, s6, s18
	s_mov_b32 s9, s15
	s_addc_u32 s19, s7, s19
	s_lshl_b64 s[14:15], s[8:9], 2
	s_add_u32 s14, s6, s14
	s_addc_u32 s15, s7, s15
	s_load_dword s11, s[18:19], 0x0
	s_load_dword s20, s[14:15], 0x0
	s_waitcnt lgkmcnt(0)
	s_sub_i32 s11, s11, s20
	s_cmp_eq_u32 s11, 1
	s_cselect_b64 s[14:15], -1, 0
	s_andn2_b64 vcc, exec, s[12:13]
	s_cbranch_vccnz .LBB961_3
.LBB961_2:
	s_mov_b32 s9, 0
	s_mov_b64 s[14:15], -1
.LBB961_3:
	s_andn2_b64 vcc, exec, s[14:15]
	s_cbranch_vccnz .LBB961_597
; %bb.4:
	s_load_dwordx2 s[12:13], s[4:5], 0x28
	s_lshl_b64 s[18:19], s[8:9], 2
	s_waitcnt lgkmcnt(0)
	s_add_u32 s12, s12, s18
	s_addc_u32 s13, s13, s19
	s_load_dword s33, s[12:13], 0x0
	s_lshl_b32 s20, s26, 8
	s_waitcnt lgkmcnt(0)
	s_cmp_ge_i32 s20, s33
	s_cbranch_scc1 .LBB961_597
; %bb.5:
	s_add_i32 s14, s33, 31
	s_load_dwordx2 s[12:13], s[4:5], 0x20
	s_load_dword s11, s[4:5], 0x38
	s_ashr_i32 s15, s14, 31
	v_and_b32_e32 v1, 0xcf, v0
	s_lshr_b32 s15, s15, 27
	v_add_u32_e32 v1, s20, v1
	s_add_i32 s14, s14, s15
	v_ashrrev_i32_e32 v2, 31, v1
	s_ashr_i32 s23, s14, 5
	v_lshrrev_b32_e32 v10, 27, v2
	s_add_i32 s23, s23, -1
	v_add_u32_e32 v2, v1, v10
	s_waitcnt lgkmcnt(0)
	s_mul_i32 s14, s8, s11
	s_mov_b32 s15, 0
	v_ashrrev_i32_e32 v2, 5, v2
	v_mov_b32_e32 v11, s23
	v_cmp_gt_i32_e32 vcc, s33, v1
	s_lshl_b64 s[14:15], s[14:15], 2
	v_cndmask_b32_e32 v2, v11, v2, vcc
	s_add_u32 s21, s12, s14
	v_ashrrev_i32_e32 v3, 31, v2
	s_addc_u32 s22, s13, s15
	v_lshlrev_b64 v[2:3], 2, v[2:3]
	v_mov_b32_e32 v5, s22
	v_add_co_u32_e32 v4, vcc, s21, v2
	v_or_b32_e32 v2, 16, v1
	v_addc_co_u32_e32 v5, vcc, v5, v3, vcc
	v_add_u32_e32 v3, v2, v10
	v_ashrrev_i32_e32 v3, 5, v3
	v_cmp_gt_i32_e32 vcc, s33, v2
	v_cndmask_b32_e32 v2, v11, v3, vcc
	v_ashrrev_i32_e32 v3, 31, v2
	v_lshlrev_b64 v[2:3], 2, v[2:3]
	v_mov_b32_e32 v7, s22
	v_add_co_u32_e32 v6, vcc, s21, v2
	v_or_b32_e32 v2, 32, v1
	v_addc_co_u32_e32 v7, vcc, v7, v3, vcc
	v_add_u32_e32 v3, v2, v10
	v_ashrrev_i32_e32 v3, 5, v3
	v_cmp_gt_i32_e32 vcc, s33, v2
	v_cndmask_b32_e32 v2, v11, v3, vcc
	v_ashrrev_i32_e32 v3, 31, v2
	;; [unrolled: 10-line block ×3, first 2 shown]
	v_lshlrev_b64 v[2:3], 2, v[2:3]
	v_mov_b32_e32 v1, s22
	v_add_co_u32_e32 v12, vcc, s21, v2
	v_addc_co_u32_e32 v13, vcc, v1, v3, vcc
	global_load_dword v2, v[4:5], off
	global_load_dword v10, v[6:7], off
	;; [unrolled: 1-line block ×4, first 2 shown]
	s_load_dwordx4 s[12:15], s[4:5], 0x8
	s_andn2_b64 vcc, exec, s[16:17]
	s_cbranch_vccnz .LBB961_8
; %bb.6:
	s_add_u32 s6, s6, s18
	s_addc_u32 s7, s7, s19
	s_load_dword s11, s[6:7], 0x0
	s_branch .LBB961_9
.LBB961_7:
	s_mov_b64 s[14:15], 0
	s_branch .LBB961_2
.LBB961_8:
	s_mov_b32 s11, s8
.LBB961_9:
	s_load_dwordx2 s[52:53], s[4:5], 0x68
	s_load_dwordx8 s[40:47], s[4:5], 0x48
	v_and_b32_e32 v55, 15, v0
	v_bfe_u32 v65, v0, 4, 2
	s_lshl_b32 s27, s10, 2
	v_lshlrev_b32_e32 v1, 3, v55
	v_lshrrev_b32_e32 v66, 6, v0
	v_or_b32_e32 v54, s27, v65
	v_cmp_gt_u32_e64 s[6:7], 64, v0
	v_lshlrev_b32_e32 v1, 1, v1
	v_lshlrev_b32_e32 v56, 5, v65
	;; [unrolled: 1-line block ×3, first 2 shown]
	s_and_saveexec_b64 s[16:17], s[6:7]
	s_cbranch_execz .LBB961_11
; %bb.10:
	s_load_dwordx2 s[18:19], s[4:5], 0x0
	s_waitcnt lgkmcnt(0)
	s_ashr_i32 s24, s40, 31
	s_mul_hi_u32 s25, s11, s40
	s_mul_i32 s24, s11, s24
	s_add_i32 s25, s25, s24
	s_mul_i32 s24, s11, s40
	s_lshl_b64 s[24:25], s[24:25], 1
	v_lshlrev_b32_e32 v4, 7, v54
	s_add_u32 s11, s18, s24
	v_ashrrev_i32_e32 v5, 31, v4
	s_addc_u32 s18, s19, s25
	v_lshlrev_b64 v[4:5], 1, v[4:5]
	v_mov_b32_e32 v3, s18
	v_add_co_u32_e32 v4, vcc, s11, v4
	v_addc_co_u32_e32 v3, vcc, v3, v5, vcc
	v_add_co_u32_e32 v4, vcc, v4, v1
	v_addc_co_u32_e32 v5, vcc, 0, v3, vcc
	global_load_dwordx4 v[4:7], v[4:5], off
	v_lshlrev_b32_e32 v8, 8, v0
	v_lshlrev_b32_e32 v3, 8, v55
	v_and_b32_e32 v8, 0x600, v8
	s_movk_i32 s11, 0x800
	v_and_or_b32 v3, v3, s11, v8
	v_lshl_or_b32 v8, v66, 7, v56
	v_and_b32_e32 v9, 16, v57
	v_or3_b32 v3, v3, v8, v9
	s_waitcnt vmcnt(0)
	ds_write_b128 v3, v[4:7]
.LBB961_11:
	s_or_b64 exec, exec, s[16:17]
	s_waitcnt lgkmcnt(0)
	s_mul_i32 s16, s10, s42
	s_add_u32 s10, s12, s16
	s_addc_u32 s11, s13, 0
	v_and_b32_e32 v3, 48, v0
	s_ashr_i32 s12, s20, 31
	v_or_b32_e32 v11, s20, v3
	s_lshr_b32 s12, s12, 27
	v_add_u32_e32 v4, s12, v11
	v_ashrrev_i32_e32 v4, 5, v4
	v_mov_b32_e32 v12, s23
	v_cmp_gt_i32_e32 vcc, s33, v11
	v_cndmask_b32_e32 v4, v12, v4, vcc
	v_ashrrev_i32_e32 v5, 31, v4
	v_lshlrev_b64 v[4:5], 2, v[4:5]
	v_mov_b32_e32 v6, s22
	v_add_co_u32_e32 v4, vcc, s21, v4
	v_addc_co_u32_e32 v5, vcc, v6, v5, vcc
	v_or_b32_e32 v6, 64, v11
	v_add_u32_e32 v7, s12, v6
	v_ashrrev_i32_e32 v7, 5, v7
	v_cmp_gt_i32_e32 vcc, s33, v6
	v_cndmask_b32_e32 v6, v12, v7, vcc
	v_ashrrev_i32_e32 v7, 31, v6
	v_lshlrev_b64 v[6:7], 2, v[6:7]
	v_mov_b32_e32 v8, s22
	v_add_co_u32_e32 v6, vcc, s21, v6
	v_addc_co_u32_e32 v7, vcc, v8, v7, vcc
	v_or_b32_e32 v8, 0x80, v11
	v_add_u32_e32 v9, s12, v8
	v_ashrrev_i32_e32 v9, 5, v9
	v_cmp_gt_i32_e32 vcc, s33, v8
	v_cndmask_b32_e32 v8, v12, v9, vcc
	v_ashrrev_i32_e32 v9, 31, v8
	v_lshlrev_b64 v[8:9], 2, v[8:9]
	v_mov_b32_e32 v13, s22
	v_add_co_u32_e32 v8, vcc, s21, v8
	s_load_dwordx2 s[54:55], s[4:5], 0x94
	s_waitcnt lgkmcnt(0)
	s_barrier
	v_addc_co_u32_e32 v9, vcc, v13, v9, vcc
	global_load_dword v50, v[4:5], off
	global_load_dword v60, v[6:7], off
	;; [unrolled: 1-line block ×3, first 2 shown]
	v_or_b32_e32 v4, 0xc0, v11
	v_add_u32_e32 v5, s12, v4
	v_ashrrev_i32_e32 v5, 5, v5
	v_cmp_gt_i32_e32 vcc, s33, v4
	v_cndmask_b32_e32 v4, v12, v5, vcc
	v_ashrrev_i32_e32 v5, 31, v4
	v_lshlrev_b64 v[4:5], 2, v[4:5]
	v_mov_b32_e32 v6, s22
	v_add_co_u32_e32 v4, vcc, s21, v4
	v_addc_co_u32_e32 v5, vcc, v6, v5, vcc
	global_load_dword v63, v[4:5], off
	v_pk_mov_b32 v[24:25], s[10:11], s[10:11] op_sel:[0,1]
	v_lshlrev_b32_e32 v28, 5, v3
	s_waitcnt vmcnt(7)
	v_mad_i64_i32 v[2:3], s[10:11], v2, s41, v[24:25]
	v_lshlrev_b32_e32 v23, 4, v55
	v_add_co_u32_e32 v2, vcc, v2, v23
	v_addc_co_u32_e32 v3, vcc, 0, v3, vcc
	v_add_co_u32_e32 v12, vcc, v2, v28
	v_addc_co_u32_e32 v13, vcc, 0, v3, vcc
	s_waitcnt vmcnt(6)
	v_mad_i64_i32 v[10:11], s[10:11], v10, s41, v[24:25]
	v_or_b32_e32 v29, 0x100, v23
	v_add_co_u32_e32 v10, vcc, v10, v29
	v_addc_co_u32_e32 v11, vcc, 0, v11, vcc
	v_add_co_u32_e32 v20, vcc, v10, v28
	v_addc_co_u32_e32 v21, vcc, 0, v11, vcc
	s_waitcnt vmcnt(5)
	v_mad_i64_i32 v[18:19], s[10:11], v18, s41, v[24:25]
	v_add_co_u32_e32 v18, vcc, v18, v23
	v_addc_co_u32_e32 v19, vcc, 0, v19, vcc
	v_add_co_u32_e32 v26, vcc, v18, v28
	v_addc_co_u32_e32 v27, vcc, 0, v19, vcc
	s_waitcnt vmcnt(4)
	v_mad_i64_i32 v[22:23], s[10:11], v22, s41, v[24:25]
	v_add_co_u32_e32 v22, vcc, v22, v29
	v_addc_co_u32_e32 v23, vcc, 0, v23, vcc
	v_add_co_u32_e32 v30, vcc, v22, v28
	v_addc_co_u32_e32 v31, vcc, 0, v23, vcc
	s_add_u32 s10, s14, s16
	global_load_dwordx4 v[6:9], v[12:13], off
	global_load_dwordx4 v[2:5], v[12:13], off offset:2048
	s_nop 0
	global_load_dwordx4 v[10:13], v[20:21], off
	global_load_dwordx4 v[14:17], v[20:21], off offset:2048
	global_load_dwordx4 v[34:37], v[26:27], off
	s_nop 0
	global_load_dwordx4 v[18:21], v[26:27], off offset:2048
	s_nop 0
	global_load_dwordx4 v[26:29], v[30:31], off
	global_load_dwordx4 v[22:25], v[30:31], off offset:2048
	s_addc_u32 s11, s15, 0
	v_and_b32_e32 v30, 16, v0
	v_mov_b32_e32 v31, s11
	v_add_co_u32_e32 v51, vcc, s10, v30
	v_lshl_or_b32 v67, v66, 4, v55
	v_addc_co_u32_e32 v52, vcc, 0, v31, vcc
	v_lshlrev_b32_e32 v53, 5, v67
	v_add_co_u32_e32 v42, vcc, v51, v53
	v_addc_co_u32_e32 v43, vcc, 0, v52, vcc
	v_or_b32_e32 v53, 0x800, v53
	v_add_co_u32_e32 v58, vcc, v51, v53
	s_waitcnt vmcnt(11)
	v_mad_i64_i32 v[30:31], s[10:11], v50, s41, v[42:43]
	s_waitcnt vmcnt(10)
	v_mad_i64_i32 v[38:39], s[10:11], v60, s41, v[42:43]
	;; [unrolled: 2-line block ×3, first 2 shown]
	global_load_dwordx4 v[30:33], v[30:31], off
	v_addc_co_u32_e32 v59, vcc, 0, v52, vcc
	global_load_dwordx4 v[38:41], v[38:39], off
	v_mad_i64_i32 v[60:61], s[10:11], v60, s41, v[58:59]
	v_mad_i64_i32 v[50:51], s[10:11], v50, s41, v[58:59]
	s_waitcnt vmcnt(10)
	v_mad_i64_i32 v[42:43], s[10:11], v63, s41, v[42:43]
	global_load_dwordx4 v[46:49], v[44:45], off
	s_nop 0
	global_load_dwordx4 v[42:45], v[42:43], off
	v_and_b32_e32 v68, 63, v0
	global_load_dwordx4 v[70:73], v[60:61], off
	v_mad_i64_i32 v[60:61], s[10:11], v62, s41, v[58:59]
	v_mad_i64_i32 v[58:59], s[10:11], v63, s41, v[58:59]
	global_load_dwordx4 v[50:53], v[50:51], off
	s_mov_b32 s14, 0
	global_load_dwordx4 v[78:81], v[58:59], off
	global_load_dwordx4 v[74:77], v[60:61], off
	s_movk_i32 s15, 0x80
	s_movk_i32 s16, 0x7f
	s_mov_b32 s17, 0xffffff
	s_mov_b32 s18, 0x5040100
	s_waitcnt vmcnt(15)
	buffer_store_dword v9, off, s[0:3], 0 offset:12
	buffer_store_dword v8, off, s[0:3], 0 offset:8
	;; [unrolled: 1-line block ×3, first 2 shown]
	buffer_store_dword v6, off, s[0:3], 0
	s_waitcnt vmcnt(18)
	buffer_store_dword v5, off, s[0:3], 0 offset:28
	buffer_store_dword v4, off, s[0:3], 0 offset:24
	;; [unrolled: 1-line block ×4, first 2 shown]
	s_waitcnt vmcnt(21)
	buffer_store_dword v13, off, s[0:3], 0 offset:44
	buffer_store_dword v12, off, s[0:3], 0 offset:40
	;; [unrolled: 1-line block ×4, first 2 shown]
	s_load_dword s10, s[4:5], 0x1c
	s_load_dwordx4 s[48:51], s[4:5], 0x80
	v_mov_b32_e32 v2, 0x80
	v_add_u32_e32 v58, 16, v2
	v_add_u32_e32 v64, 32, v2
	;; [unrolled: 1-line block ×7, first 2 shown]
	v_and_b32_e32 v2, 3, v0
	v_lshlrev_b32_e32 v2, 5, v2
	s_waitcnt vmcnt(24)
	buffer_store_dword v17, off, s[0:3], 0 offset:60
	buffer_store_dword v16, off, s[0:3], 0 offset:56
	;; [unrolled: 1-line block ×4, first 2 shown]
	s_waitcnt vmcnt(27)
	buffer_store_dword v37, off, s[0:3], 0 offset:76
	buffer_store_dword v36, off, s[0:3], 0 offset:72
	;; [unrolled: 1-line block ×4, first 2 shown]
	v_lshl_or_b32 v14, v65, 9, v2
	ds_read_b128 v[2:5], v14
	ds_read_b128 v[6:9], v14 offset:16
	ds_read_b128 v[10:13], v14 offset:2048
	;; [unrolled: 1-line block ×3, first 2 shown]
	s_waitcnt vmcnt(30)
	buffer_store_dword v21, off, s[0:3], 0 offset:92
	buffer_store_dword v20, off, s[0:3], 0 offset:88
	buffer_store_dword v19, off, s[0:3], 0 offset:84
	buffer_store_dword v18, off, s[0:3], 0 offset:80
	s_waitcnt vmcnt(33)
	buffer_store_dword v29, off, s[0:3], 0 offset:108
	buffer_store_dword v28, off, s[0:3], 0 offset:104
	buffer_store_dword v27, off, s[0:3], 0 offset:100
	buffer_store_dword v26, off, s[0:3], 0 offset:96
	;; [unrolled: 5-line block ×8, first 2 shown]
	buffer_store_dword v73, off, s[0:3], 0 offset:188
	buffer_store_dword v72, off, s[0:3], 0 offset:184
	;; [unrolled: 1-line block ×4, first 2 shown]
	s_waitcnt vmcnt(56)
	buffer_store_dword v77, off, s[0:3], 0 offset:220
	buffer_store_dword v76, off, s[0:3], 0 offset:216
	;; [unrolled: 1-line block ×5, first 2 shown]
	s_waitcnt lgkmcnt(0)
	s_load_dword s4, s[48:49], 0x0
	v_mov_b32_e32 v18, s10
	v_mov_b32_e32 v27, 0
	v_mov_b32_e32 v29, 0x100
	v_mov_b32_e32 v31, 0
	s_waitcnt lgkmcnt(0)
	v_mul_f32_e32 v22, s4, v18
	v_mov_b32_e32 v24, v22
	v_mov_b32_e32 v25, v22
	v_bfrev_b32_e32 v33, 60
	buffer_store_dword v80, off, s[0:3], 0 offset:248
	buffer_store_dword v79, off, s[0:3], 0 offset:244
	;; [unrolled: 1-line block ×3, first 2 shown]
	s_branch .LBB961_15
.LBB961_12:                             ;   in Loop: Header=BB961_15 Depth=1
	s_or_b64 exec, exec, s[12:13]
.LBB961_13:                             ;   in Loop: Header=BB961_15 Depth=1
	s_or_b64 exec, exec, s[10:11]
.LBB961_14:                             ;   in Loop: Header=BB961_15 Depth=1
	s_or_b64 exec, exec, s[4:5]
	v_perm_b32 v41, v36, v32, s18
	v_perm_b32 v40, v23, v34, s18
	;; [unrolled: 1-line block ×4, first 2 shown]
	v_add_u32_e32 v26, s14, v29
	v_mfma_f32_16x16x16bf16_1k v[18:21], v[40:41], v[14:15], v[18:21]
	s_add_i32 s14, s14, 16
	v_mov_b32_e32 v23, v22
	s_cmp_eq_u32 s14, 64
	v_add_u32_e32 v27, 32, v27
	v_mfma_f32_16x16x16bf16_1k v[18:21], v[36:37], v[16:17], v[18:21]
	s_nop 7
	s_nop 2
	v_pk_mul_f32 v[18:19], v[24:25], v[18:19]
	v_pk_mul_f32 v[20:21], v[22:23], v[20:21]
	buffer_store_dword v19, v26, s[0:3], 0 offen offset:4
	buffer_store_dword v18, v26, s[0:3], 0 offen
	buffer_store_dword v21, v26, s[0:3], 0 offen offset:12
	buffer_store_dword v20, v26, s[0:3], 0 offen offset:8
	s_cbranch_scc1 .LBB961_205
.LBB961_15:                             ; =>This Inner Loop Header: Depth=1
	buffer_load_dword v20, v27, s[0:3], 0 offen
	buffer_load_dword v18, v27, s[0:3], 0 offen offset:4
	buffer_load_dword v28, v27, s[0:3], 0 offen offset:8
	;; [unrolled: 1-line block ×3, first 2 shown]
	v_mov_b32_e32 v19, 0
	s_waitcnt vmcnt(3)
	v_cmp_ne_u16_sdwa s[10:11], v20, v31 src0_sel:BYTE_0 src1_sel:DWORD
	s_and_saveexec_b64 s[4:5], s[10:11]
	s_cbranch_execz .LBB961_21
; %bb.16:                               ;   in Loop: Header=BB961_15 Depth=1
	v_cmp_ne_u16_sdwa s[12:13], v20, s15 src0_sel:BYTE_0 src1_sel:DWORD
	v_mov_b32_e32 v19, 0xffff8000
	s_and_saveexec_b64 s[10:11], s[12:13]
	s_cbranch_execz .LBB961_20
; %bb.17:                               ;   in Loop: Header=BB961_15 Depth=1
	v_and_b32_e32 v21, 0x7f, v20
	v_cmp_ne_u32_e32 vcc, s16, v21
	v_mov_b32_e32 v19, 0x7f80
	s_and_saveexec_b64 s[12:13], vcc
	s_cbranch_execz .LBB961_19
; %bb.18:                               ;   in Loop: Header=BB961_15 Depth=1
	v_and_b32_e32 v19, 7, v20
	v_ffbh_u32_e32 v30, v19
	v_min_u32_e32 v30, 32, v30
	v_subrev_u32_e32 v32, 28, v30
	v_lshlrev_b64 v[34:35], v32, v[20:21]
	v_lshrrev_b32_e32 v23, 3, v21
	v_sub_u32_e32 v30, 29, v30
	v_and_b32_e32 v32, 7, v34
	v_cmp_gt_u32_e32 vcc, 8, v21
	v_cndmask_b32_e32 v21, v23, v30, vcc
	v_cndmask_b32_e32 v19, v19, v32, vcc
	v_lshlrev_b32_e32 v23, 24, v20
	v_lshlrev_b32_e32 v19, 20, v19
	v_and_b32_e32 v23, 0x80000000, v23
	v_lshl_add_u32 v21, v21, 23, v33
	v_or3_b32 v19, v23, v21, v19
	v_lshrrev_b32_e32 v19, 16, v19
.LBB961_19:                             ;   in Loop: Header=BB961_15 Depth=1
	s_or_b64 exec, exec, s[12:13]
.LBB961_20:                             ;   in Loop: Header=BB961_15 Depth=1
	s_or_b64 exec, exec, s[10:11]
.LBB961_21:                             ;   in Loop: Header=BB961_15 Depth=1
	s_or_b64 exec, exec, s[4:5]
	v_lshrrev_b16_e32 v30, 8, v20
	v_cmp_ne_u16_e32 vcc, 0, v30
	v_mov_b32_e32 v23, 0
	v_mov_b32_e32 v21, 0
	s_and_saveexec_b64 s[4:5], vcc
	s_cbranch_execz .LBB961_27
; %bb.22:                               ;   in Loop: Header=BB961_15 Depth=1
	v_cmp_ne_u16_e32 vcc, s15, v30
	v_mov_b32_e32 v21, 0xffff8000
	s_and_saveexec_b64 s[10:11], vcc
	s_cbranch_execz .LBB961_26
; %bb.23:                               ;   in Loop: Header=BB961_15 Depth=1
	v_and_b32_e32 v32, 0x7f, v30
	v_cmp_ne_u32_e32 vcc, s16, v32
	v_mov_b32_e32 v21, 0x7f80
	s_and_saveexec_b64 s[12:13], vcc
	s_cbranch_execz .LBB961_25
; %bb.24:                               ;   in Loop: Header=BB961_15 Depth=1
	v_and_b32_e32 v21, 7, v30
	v_ffbh_u32_e32 v34, v21
	v_min_u32_e32 v37, 32, v34
	v_subrev_u32_e32 v34, 28, v37
	v_lshlrev_b64 v[34:35], v34, v[30:31]
	v_lshrrev_b32_e32 v36, 3, v32
	v_sub_u32_e32 v30, 29, v37
	v_and_b32_e32 v34, 7, v34
	v_cmp_gt_u32_e32 vcc, 8, v32
	v_cndmask_b32_e32 v30, v36, v30, vcc
	v_cndmask_b32_e32 v21, v21, v34, vcc
	v_lshlrev_b32_e32 v32, 16, v20
	v_lshlrev_b32_e32 v21, 20, v21
	v_and_b32_e32 v32, 0x80000000, v32
	v_lshl_add_u32 v30, v30, 23, v33
	v_or3_b32 v21, v32, v30, v21
	v_lshrrev_b32_e32 v21, 16, v21
.LBB961_25:                             ;   in Loop: Header=BB961_15 Depth=1
	s_or_b64 exec, exec, s[12:13]
.LBB961_26:                             ;   in Loop: Header=BB961_15 Depth=1
	s_or_b64 exec, exec, s[10:11]
.LBB961_27:                             ;   in Loop: Header=BB961_15 Depth=1
	s_or_b64 exec, exec, s[4:5]
	v_lshrrev_b32_e32 v30, 16, v20
	v_cmp_ne_u16_sdwa s[10:11], v30, v31 src0_sel:BYTE_0 src1_sel:DWORD
	s_and_saveexec_b64 s[4:5], s[10:11]
	s_cbranch_execz .LBB961_33
; %bb.28:                               ;   in Loop: Header=BB961_15 Depth=1
	v_cmp_ne_u16_sdwa s[12:13], v30, s15 src0_sel:BYTE_0 src1_sel:DWORD
	v_mov_b32_e32 v23, 0xffff8000
	s_and_saveexec_b64 s[10:11], s[12:13]
	s_cbranch_execz .LBB961_32
; %bb.29:                               ;   in Loop: Header=BB961_15 Depth=1
	v_bfe_u32 v32, v20, 16, 7
	v_cmp_ne_u32_e32 vcc, s16, v32
	v_mov_b32_e32 v23, 0x7f80
	s_and_saveexec_b64 s[12:13], vcc
	s_cbranch_execz .LBB961_31
; %bb.30:                               ;   in Loop: Header=BB961_15 Depth=1
	v_and_b32_e32 v23, 7, v30
	v_ffbh_u32_e32 v34, v23
	v_min_u32_e32 v37, 32, v34
	v_subrev_u32_e32 v34, 28, v37
	v_lshlrev_b64 v[34:35], v34, v[30:31]
	v_lshrrev_b32_e32 v36, 3, v32
	v_sub_u32_e32 v35, 29, v37
	v_and_b32_e32 v34, 7, v34
	v_cmp_gt_u32_e32 vcc, 8, v32
	v_cndmask_b32_e32 v32, v36, v35, vcc
	v_cndmask_b32_e32 v23, v23, v34, vcc
	v_lshlrev_b32_e32 v30, 24, v30
	v_lshlrev_b32_e32 v23, 20, v23
	v_and_b32_e32 v30, 0x80000000, v30
	v_lshl_add_u32 v32, v32, 23, v33
	v_or3_b32 v23, v30, v32, v23
	v_lshrrev_b32_e32 v23, 16, v23
.LBB961_31:                             ;   in Loop: Header=BB961_15 Depth=1
	s_or_b64 exec, exec, s[12:13]
.LBB961_32:                             ;   in Loop: Header=BB961_15 Depth=1
	s_or_b64 exec, exec, s[10:11]
.LBB961_33:                             ;   in Loop: Header=BB961_15 Depth=1
	s_or_b64 exec, exec, s[4:5]
	v_cmp_lt_u32_e32 vcc, s17, v20
	v_mov_b32_e32 v34, 0
	v_mov_b32_e32 v35, 0
	s_and_saveexec_b64 s[4:5], vcc
	s_cbranch_execz .LBB961_39
; %bb.34:                               ;   in Loop: Header=BB961_15 Depth=1
	v_lshrrev_b32_e32 v30, 24, v20
	v_cmp_ne_u32_e32 vcc, s15, v30
	v_mov_b32_e32 v35, 0xffff8000
	s_and_saveexec_b64 s[10:11], vcc
	s_cbranch_execz .LBB961_38
; %bb.35:                               ;   in Loop: Header=BB961_15 Depth=1
	v_bfe_u32 v20, v20, 24, 7
	v_cmp_ne_u32_e32 vcc, s16, v20
	v_mov_b32_e32 v35, 0x7f80
	s_and_saveexec_b64 s[12:13], vcc
	s_cbranch_execz .LBB961_37
; %bb.36:                               ;   in Loop: Header=BB961_15 Depth=1
	v_and_b32_e32 v32, 7, v30
	v_ffbh_u32_e32 v36, v32
	v_min_u32_e32 v38, 32, v36
	v_subrev_u32_e32 v36, 28, v38
	v_lshlrev_b64 v[36:37], v36, v[30:31]
	v_lshrrev_b32_e32 v35, 3, v20
	v_sub_u32_e32 v37, 29, v38
	v_and_b32_e32 v36, 7, v36
	v_cmp_gt_u32_e32 vcc, 8, v20
	v_cndmask_b32_e32 v20, v35, v37, vcc
	v_cndmask_b32_e32 v32, v32, v36, vcc
	v_lshlrev_b32_e32 v30, 24, v30
	v_lshlrev_b32_e32 v32, 20, v32
	v_and_b32_e32 v30, 0x80000000, v30
	v_lshl_add_u32 v20, v20, 23, v33
	v_or3_b32 v20, v30, v20, v32
	v_lshrrev_b32_e32 v35, 16, v20
.LBB961_37:                             ;   in Loop: Header=BB961_15 Depth=1
	s_or_b64 exec, exec, s[12:13]
.LBB961_38:                             ;   in Loop: Header=BB961_15 Depth=1
	s_or_b64 exec, exec, s[10:11]
.LBB961_39:                             ;   in Loop: Header=BB961_15 Depth=1
	s_or_b64 exec, exec, s[4:5]
	s_waitcnt vmcnt(2)
	v_cmp_ne_u16_sdwa s[10:11], v18, v31 src0_sel:BYTE_0 src1_sel:DWORD
	s_and_saveexec_b64 s[4:5], s[10:11]
	s_cbranch_execz .LBB961_45
; %bb.40:                               ;   in Loop: Header=BB961_15 Depth=1
	v_cmp_ne_u16_sdwa s[12:13], v18, s15 src0_sel:BYTE_0 src1_sel:DWORD
	v_mov_b32_e32 v34, 0xffff8000
	s_and_saveexec_b64 s[10:11], s[12:13]
	s_cbranch_execz .LBB961_44
; %bb.41:                               ;   in Loop: Header=BB961_15 Depth=1
	v_and_b32_e32 v20, 0x7f, v18
	v_cmp_ne_u32_e32 vcc, s16, v20
	v_mov_b32_e32 v34, 0x7f80
	s_and_saveexec_b64 s[12:13], vcc
	s_cbranch_execz .LBB961_43
; %bb.42:                               ;   in Loop: Header=BB961_15 Depth=1
	v_and_b32_e32 v30, 7, v18
	v_ffbh_u32_e32 v34, v30
	v_min_u32_e32 v34, 32, v34
	v_subrev_u32_e32 v36, 28, v34
	v_lshlrev_b64 v[36:37], v36, v[18:19]
	v_lshrrev_b32_e32 v32, 3, v20
	v_sub_u32_e32 v34, 29, v34
	v_and_b32_e32 v36, 7, v36
	v_cmp_gt_u32_e32 vcc, 8, v20
	v_cndmask_b32_e32 v20, v32, v34, vcc
	v_cndmask_b32_e32 v30, v30, v36, vcc
	v_lshlrev_b32_e32 v32, 24, v18
	v_lshlrev_b32_e32 v30, 20, v30
	v_and_b32_e32 v32, 0x80000000, v32
	v_lshl_add_u32 v20, v20, 23, v33
	v_or3_b32 v20, v32, v20, v30
	v_lshrrev_b32_e32 v34, 16, v20
.LBB961_43:                             ;   in Loop: Header=BB961_15 Depth=1
	s_or_b64 exec, exec, s[12:13]
.LBB961_44:                             ;   in Loop: Header=BB961_15 Depth=1
	s_or_b64 exec, exec, s[10:11]
.LBB961_45:                             ;   in Loop: Header=BB961_15 Depth=1
	s_or_b64 exec, exec, s[4:5]
	v_lshrrev_b16_e32 v20, 8, v18
	v_cmp_ne_u16_e32 vcc, 0, v20
	v_mov_b32_e32 v36, 0
	v_mov_b32_e32 v30, 0
	s_and_saveexec_b64 s[4:5], vcc
	s_cbranch_execz .LBB961_51
; %bb.46:                               ;   in Loop: Header=BB961_15 Depth=1
	v_cmp_ne_u16_e32 vcc, s15, v20
	v_mov_b32_e32 v30, 0xffff8000
	s_and_saveexec_b64 s[10:11], vcc
	s_cbranch_execz .LBB961_50
; %bb.47:                               ;   in Loop: Header=BB961_15 Depth=1
	v_and_b32_e32 v32, 0x7f, v20
	v_cmp_ne_u32_e32 vcc, s16, v32
	v_mov_b32_e32 v30, 0x7f80
	s_and_saveexec_b64 s[12:13], vcc
	s_cbranch_execz .LBB961_49
; %bb.48:                               ;   in Loop: Header=BB961_15 Depth=1
	v_and_b32_e32 v30, 7, v20
	v_ffbh_u32_e32 v38, v30
	v_min_u32_e32 v40, 32, v38
	v_subrev_u32_e32 v38, 28, v40
	v_lshlrev_b64 v[38:39], v38, v[20:21]
	v_lshrrev_b32_e32 v37, 3, v32
	v_sub_u32_e32 v20, 29, v40
	v_and_b32_e32 v38, 7, v38
	v_cmp_gt_u32_e32 vcc, 8, v32
	v_cndmask_b32_e32 v20, v37, v20, vcc
	v_cndmask_b32_e32 v30, v30, v38, vcc
	v_lshlrev_b32_e32 v32, 16, v18
	v_lshlrev_b32_e32 v30, 20, v30
	v_and_b32_e32 v32, 0x80000000, v32
	v_lshl_add_u32 v20, v20, 23, v33
	v_or3_b32 v20, v32, v20, v30
	v_lshrrev_b32_e32 v30, 16, v20
.LBB961_49:                             ;   in Loop: Header=BB961_15 Depth=1
	s_or_b64 exec, exec, s[12:13]
.LBB961_50:                             ;   in Loop: Header=BB961_15 Depth=1
	s_or_b64 exec, exec, s[10:11]
.LBB961_51:                             ;   in Loop: Header=BB961_15 Depth=1
	s_or_b64 exec, exec, s[4:5]
	v_lshrrev_b32_e32 v20, 16, v18
	v_cmp_ne_u16_sdwa s[10:11], v20, v31 src0_sel:BYTE_0 src1_sel:DWORD
	s_and_saveexec_b64 s[4:5], s[10:11]
	s_cbranch_execz .LBB961_57
; %bb.52:                               ;   in Loop: Header=BB961_15 Depth=1
	v_cmp_ne_u16_sdwa s[12:13], v20, s15 src0_sel:BYTE_0 src1_sel:DWORD
	v_mov_b32_e32 v36, 0xffff8000
	s_and_saveexec_b64 s[10:11], s[12:13]
	s_cbranch_execz .LBB961_56
; %bb.53:                               ;   in Loop: Header=BB961_15 Depth=1
	v_bfe_u32 v32, v18, 16, 7
	v_cmp_ne_u32_e32 vcc, s16, v32
	v_mov_b32_e32 v36, 0x7f80
	s_and_saveexec_b64 s[12:13], vcc
	s_cbranch_execz .LBB961_55
; %bb.54:                               ;   in Loop: Header=BB961_15 Depth=1
	v_and_b32_e32 v38, 7, v20
	v_ffbh_u32_e32 v36, v38
	v_min_u32_e32 v40, 32, v36
	v_subrev_u32_e32 v36, 28, v40
	v_lshlrev_b64 v[36:37], v36, v[20:21]
	v_lshrrev_b32_e32 v39, 3, v32
	v_sub_u32_e32 v37, 29, v40
	v_and_b32_e32 v36, 7, v36
	v_cmp_gt_u32_e32 vcc, 8, v32
	v_cndmask_b32_e32 v32, v39, v37, vcc
	v_cndmask_b32_e32 v36, v38, v36, vcc
	v_lshlrev_b32_e32 v20, 24, v20
	v_lshlrev_b32_e32 v36, 20, v36
	v_and_b32_e32 v20, 0x80000000, v20
	v_lshl_add_u32 v32, v32, 23, v33
	v_or3_b32 v20, v20, v32, v36
	v_lshrrev_b32_e32 v36, 16, v20
.LBB961_55:                             ;   in Loop: Header=BB961_15 Depth=1
	s_or_b64 exec, exec, s[12:13]
.LBB961_56:                             ;   in Loop: Header=BB961_15 Depth=1
	s_or_b64 exec, exec, s[10:11]
.LBB961_57:                             ;   in Loop: Header=BB961_15 Depth=1
	s_or_b64 exec, exec, s[4:5]
	v_cmp_lt_u32_e32 vcc, s17, v18
	v_mov_b32_e32 v32, 0
	v_mov_b32_e32 v37, 0
	s_and_saveexec_b64 s[4:5], vcc
	s_cbranch_execz .LBB961_63
; %bb.58:                               ;   in Loop: Header=BB961_15 Depth=1
	v_lshrrev_b32_e32 v20, 24, v18
	v_cmp_ne_u32_e32 vcc, s15, v20
	v_mov_b32_e32 v37, 0xffff8000
	s_and_saveexec_b64 s[10:11], vcc
	s_cbranch_execz .LBB961_62
; %bb.59:                               ;   in Loop: Header=BB961_15 Depth=1
	v_bfe_u32 v18, v18, 24, 7
	v_cmp_ne_u32_e32 vcc, s16, v18
	v_mov_b32_e32 v37, 0x7f80
	s_and_saveexec_b64 s[12:13], vcc
	s_cbranch_execz .LBB961_61
; %bb.60:                               ;   in Loop: Header=BB961_15 Depth=1
	v_and_b32_e32 v37, 7, v20
	v_ffbh_u32_e32 v38, v37
	v_min_u32_e32 v41, 32, v38
	v_subrev_u32_e32 v38, 28, v41
	v_lshlrev_b64 v[38:39], v38, v[20:21]
	v_lshrrev_b32_e32 v40, 3, v18
	v_sub_u32_e32 v39, 29, v41
	v_and_b32_e32 v38, 7, v38
	v_cmp_gt_u32_e32 vcc, 8, v18
	v_cndmask_b32_e32 v18, v40, v39, vcc
	v_cndmask_b32_e32 v37, v37, v38, vcc
	v_lshlrev_b32_e32 v20, 24, v20
	v_lshlrev_b32_e32 v37, 20, v37
	v_and_b32_e32 v20, 0x80000000, v20
	v_lshl_add_u32 v18, v18, 23, v33
	v_or3_b32 v18, v20, v18, v37
	v_lshrrev_b32_e32 v37, 16, v18
.LBB961_61:                             ;   in Loop: Header=BB961_15 Depth=1
	s_or_b64 exec, exec, s[12:13]
.LBB961_62:                             ;   in Loop: Header=BB961_15 Depth=1
	s_or_b64 exec, exec, s[10:11]
.LBB961_63:                             ;   in Loop: Header=BB961_15 Depth=1
	s_or_b64 exec, exec, s[4:5]
	v_perm_b32 v39, v35, v23, s18
	v_perm_b32 v38, v21, v19, s18
	;; [unrolled: 1-line block ×4, first 2 shown]
	s_waitcnt vmcnt(1)
	v_cmp_ne_u16_sdwa s[10:11], v28, v31 src0_sel:BYTE_0 src1_sel:DWORD
	v_mfma_f32_16x16x16bf16_1k v[18:21], v[38:39], v[2:3], 0
	v_mfma_f32_16x16x16bf16_1k v[18:21], v[34:35], v[4:5], v[18:21]
	s_and_saveexec_b64 s[4:5], s[10:11]
	s_cbranch_execz .LBB961_69
; %bb.64:                               ;   in Loop: Header=BB961_15 Depth=1
	v_cmp_ne_u16_sdwa s[12:13], v28, s15 src0_sel:BYTE_0 src1_sel:DWORD
	v_mov_b32_e32 v32, 0xffff8000
	s_and_saveexec_b64 s[10:11], s[12:13]
	s_cbranch_execz .LBB961_68
; %bb.65:                               ;   in Loop: Header=BB961_15 Depth=1
	v_and_b32_e32 v23, 0x7f, v28
	v_cmp_ne_u32_e32 vcc, s16, v23
	v_mov_b32_e32 v32, 0x7f80
	s_and_saveexec_b64 s[12:13], vcc
	s_cbranch_execz .LBB961_67
; %bb.66:                               ;   in Loop: Header=BB961_15 Depth=1
	v_and_b32_e32 v30, 7, v28
	v_ffbh_u32_e32 v34, v30
	v_min_u32_e32 v36, 32, v34
	v_subrev_u32_e32 v34, 28, v36
	v_lshlrev_b64 v[34:35], v34, v[28:29]
	v_lshrrev_b32_e32 v32, 3, v23
	v_sub_u32_e32 v35, 29, v36
	v_and_b32_e32 v34, 7, v34
	v_cmp_gt_u32_e32 vcc, 8, v23
	v_cndmask_b32_e32 v23, v32, v35, vcc
	v_cndmask_b32_e32 v30, v30, v34, vcc
	v_lshlrev_b32_e32 v32, 24, v28
	v_lshlrev_b32_e32 v30, 20, v30
	v_and_b32_e32 v32, 0x80000000, v32
	v_lshl_add_u32 v23, v23, 23, v33
	v_or3_b32 v23, v32, v23, v30
	v_lshrrev_b32_e32 v32, 16, v23
.LBB961_67:                             ;   in Loop: Header=BB961_15 Depth=1
	s_or_b64 exec, exec, s[12:13]
.LBB961_68:                             ;   in Loop: Header=BB961_15 Depth=1
	s_or_b64 exec, exec, s[10:11]
.LBB961_69:                             ;   in Loop: Header=BB961_15 Depth=1
	s_or_b64 exec, exec, s[4:5]
	v_lshrrev_b16_e32 v30, 8, v28
	v_cmp_ne_u16_e32 vcc, 0, v30
	v_mov_b32_e32 v35, 0
	v_mov_b32_e32 v34, 0
	s_and_saveexec_b64 s[4:5], vcc
	s_cbranch_execz .LBB961_75
; %bb.70:                               ;   in Loop: Header=BB961_15 Depth=1
	v_cmp_ne_u16_e32 vcc, s15, v30
	v_mov_b32_e32 v34, 0xffff8000
	s_and_saveexec_b64 s[10:11], vcc
	s_cbranch_execz .LBB961_74
; %bb.71:                               ;   in Loop: Header=BB961_15 Depth=1
	v_and_b32_e32 v23, 0x7f, v30
	v_cmp_ne_u32_e32 vcc, s16, v23
	v_mov_b32_e32 v34, 0x7f80
	s_and_saveexec_b64 s[12:13], vcc
	s_cbranch_execz .LBB961_73
; %bb.72:                               ;   in Loop: Header=BB961_15 Depth=1
	v_and_b32_e32 v34, 7, v30
	v_ffbh_u32_e32 v36, v34
	v_min_u32_e32 v39, 32, v36
	v_subrev_u32_e32 v36, 28, v39
	v_lshlrev_b64 v[36:37], v36, v[30:31]
	v_lshrrev_b32_e32 v38, 3, v23
	v_sub_u32_e32 v30, 29, v39
	v_and_b32_e32 v36, 7, v36
	v_cmp_gt_u32_e32 vcc, 8, v23
	v_cndmask_b32_e32 v23, v38, v30, vcc
	v_cndmask_b32_e32 v30, v34, v36, vcc
	v_lshlrev_b32_e32 v34, 16, v28
	v_lshlrev_b32_e32 v30, 20, v30
	v_and_b32_e32 v34, 0x80000000, v34
	v_lshl_add_u32 v23, v23, 23, v33
	v_or3_b32 v23, v34, v23, v30
	v_lshrrev_b32_e32 v34, 16, v23
.LBB961_73:                             ;   in Loop: Header=BB961_15 Depth=1
	s_or_b64 exec, exec, s[12:13]
.LBB961_74:                             ;   in Loop: Header=BB961_15 Depth=1
	s_or_b64 exec, exec, s[10:11]
.LBB961_75:                             ;   in Loop: Header=BB961_15 Depth=1
	s_or_b64 exec, exec, s[4:5]
	v_lshrrev_b32_e32 v30, 16, v28
	v_cmp_ne_u16_sdwa s[10:11], v30, v31 src0_sel:BYTE_0 src1_sel:DWORD
	s_and_saveexec_b64 s[4:5], s[10:11]
	s_cbranch_execz .LBB961_81
; %bb.76:                               ;   in Loop: Header=BB961_15 Depth=1
	v_cmp_ne_u16_sdwa s[12:13], v30, s15 src0_sel:BYTE_0 src1_sel:DWORD
	v_mov_b32_e32 v35, 0xffff8000
	s_and_saveexec_b64 s[10:11], s[12:13]
	s_cbranch_execz .LBB961_80
; %bb.77:                               ;   in Loop: Header=BB961_15 Depth=1
	v_bfe_u32 v23, v28, 16, 7
	v_cmp_ne_u32_e32 vcc, s16, v23
	v_mov_b32_e32 v35, 0x7f80
	s_and_saveexec_b64 s[12:13], vcc
	s_cbranch_execz .LBB961_79
; %bb.78:                               ;   in Loop: Header=BB961_15 Depth=1
	v_and_b32_e32 v35, 7, v30
	v_ffbh_u32_e32 v36, v35
	v_min_u32_e32 v39, 32, v36
	v_subrev_u32_e32 v36, 28, v39
	v_lshlrev_b64 v[36:37], v36, v[30:31]
	v_lshrrev_b32_e32 v38, 3, v23
	v_sub_u32_e32 v37, 29, v39
	v_and_b32_e32 v36, 7, v36
	v_cmp_gt_u32_e32 vcc, 8, v23
	v_cndmask_b32_e32 v23, v38, v37, vcc
	v_cndmask_b32_e32 v35, v35, v36, vcc
	v_lshlrev_b32_e32 v30, 24, v30
	v_lshlrev_b32_e32 v35, 20, v35
	v_and_b32_e32 v30, 0x80000000, v30
	v_lshl_add_u32 v23, v23, 23, v33
	v_or3_b32 v23, v30, v23, v35
	v_lshrrev_b32_e32 v35, 16, v23
.LBB961_79:                             ;   in Loop: Header=BB961_15 Depth=1
	s_or_b64 exec, exec, s[12:13]
.LBB961_80:                             ;   in Loop: Header=BB961_15 Depth=1
	s_or_b64 exec, exec, s[10:11]
.LBB961_81:                             ;   in Loop: Header=BB961_15 Depth=1
	s_or_b64 exec, exec, s[4:5]
	v_cmp_lt_u32_e32 vcc, s17, v28
	v_mov_b32_e32 v36, 0
	v_mov_b32_e32 v37, 0
	s_and_saveexec_b64 s[4:5], vcc
	s_cbranch_execz .LBB961_87
; %bb.82:                               ;   in Loop: Header=BB961_15 Depth=1
	v_lshrrev_b32_e32 v30, 24, v28
	v_cmp_ne_u32_e32 vcc, s15, v30
	v_mov_b32_e32 v37, 0xffff8000
	s_and_saveexec_b64 s[10:11], vcc
	s_cbranch_execz .LBB961_86
; %bb.83:                               ;   in Loop: Header=BB961_15 Depth=1
	v_bfe_u32 v23, v28, 24, 7
	v_cmp_ne_u32_e32 vcc, s16, v23
	v_mov_b32_e32 v37, 0x7f80
	s_and_saveexec_b64 s[12:13], vcc
	s_cbranch_execz .LBB961_85
; %bb.84:                               ;   in Loop: Header=BB961_15 Depth=1
	v_and_b32_e32 v28, 7, v30
	v_ffbh_u32_e32 v38, v28
	v_min_u32_e32 v40, 32, v38
	v_subrev_u32_e32 v38, 28, v40
	v_lshlrev_b64 v[38:39], v38, v[30:31]
	v_lshrrev_b32_e32 v37, 3, v23
	v_sub_u32_e32 v39, 29, v40
	v_and_b32_e32 v38, 7, v38
	v_cmp_gt_u32_e32 vcc, 8, v23
	v_cndmask_b32_e32 v23, v37, v39, vcc
	v_cndmask_b32_e32 v28, v28, v38, vcc
	v_lshlrev_b32_e32 v30, 24, v30
	v_lshlrev_b32_e32 v28, 20, v28
	v_and_b32_e32 v30, 0x80000000, v30
	v_lshl_add_u32 v23, v23, 23, v33
	v_or3_b32 v23, v30, v23, v28
	v_lshrrev_b32_e32 v37, 16, v23
.LBB961_85:                             ;   in Loop: Header=BB961_15 Depth=1
	s_or_b64 exec, exec, s[12:13]
.LBB961_86:                             ;   in Loop: Header=BB961_15 Depth=1
	s_or_b64 exec, exec, s[10:11]
.LBB961_87:                             ;   in Loop: Header=BB961_15 Depth=1
	s_or_b64 exec, exec, s[4:5]
	s_waitcnt vmcnt(0)
	v_cmp_ne_u16_sdwa s[10:11], v26, v31 src0_sel:BYTE_0 src1_sel:DWORD
	s_and_saveexec_b64 s[4:5], s[10:11]
	s_cbranch_execz .LBB961_93
; %bb.88:                               ;   in Loop: Header=BB961_15 Depth=1
	v_cmp_ne_u16_sdwa s[12:13], v26, s15 src0_sel:BYTE_0 src1_sel:DWORD
	v_mov_b32_e32 v36, 0xffff8000
	s_and_saveexec_b64 s[10:11], s[12:13]
	s_cbranch_execz .LBB961_92
; %bb.89:                               ;   in Loop: Header=BB961_15 Depth=1
	v_and_b32_e32 v23, 0x7f, v26
	v_cmp_ne_u32_e32 vcc, s16, v23
	v_mov_b32_e32 v36, 0x7f80
	s_and_saveexec_b64 s[12:13], vcc
	s_cbranch_execz .LBB961_91
; %bb.90:                               ;   in Loop: Header=BB961_15 Depth=1
	v_and_b32_e32 v28, 7, v26
	v_ffbh_u32_e32 v36, v28
	v_min_u32_e32 v36, 32, v36
	v_subrev_u32_e32 v38, 28, v36
	v_lshlrev_b64 v[38:39], v38, v[26:27]
	v_lshrrev_b32_e32 v30, 3, v23
	v_sub_u32_e32 v36, 29, v36
	v_and_b32_e32 v38, 7, v38
	v_cmp_gt_u32_e32 vcc, 8, v23
	v_cndmask_b32_e32 v23, v30, v36, vcc
	v_cndmask_b32_e32 v28, v28, v38, vcc
	v_lshlrev_b32_e32 v30, 24, v26
	v_lshlrev_b32_e32 v28, 20, v28
	v_and_b32_e32 v30, 0x80000000, v30
	v_lshl_add_u32 v23, v23, 23, v33
	v_or3_b32 v23, v30, v23, v28
	v_lshrrev_b32_e32 v36, 16, v23
.LBB961_91:                             ;   in Loop: Header=BB961_15 Depth=1
	s_or_b64 exec, exec, s[12:13]
.LBB961_92:                             ;   in Loop: Header=BB961_15 Depth=1
	s_or_b64 exec, exec, s[10:11]
.LBB961_93:                             ;   in Loop: Header=BB961_15 Depth=1
	s_or_b64 exec, exec, s[4:5]
	v_lshrrev_b16_e32 v28, 8, v26
	v_cmp_ne_u16_e32 vcc, 0, v28
	v_mov_b32_e32 v39, 0
	v_mov_b32_e32 v38, 0
	s_and_saveexec_b64 s[4:5], vcc
	s_cbranch_execz .LBB961_99
; %bb.94:                               ;   in Loop: Header=BB961_15 Depth=1
	v_cmp_ne_u16_e32 vcc, s15, v28
	v_mov_b32_e32 v38, 0xffff8000
	s_and_saveexec_b64 s[10:11], vcc
	s_cbranch_execz .LBB961_98
; %bb.95:                               ;   in Loop: Header=BB961_15 Depth=1
	v_and_b32_e32 v23, 0x7f, v28
	v_cmp_ne_u32_e32 vcc, s16, v23
	v_mov_b32_e32 v38, 0x7f80
	s_and_saveexec_b64 s[12:13], vcc
	s_cbranch_execz .LBB961_97
; %bb.96:                               ;   in Loop: Header=BB961_15 Depth=1
	v_and_b32_e32 v30, 7, v28
	v_ffbh_u32_e32 v40, v30
	v_min_u32_e32 v42, 32, v40
	v_subrev_u32_e32 v40, 28, v42
	v_lshlrev_b64 v[40:41], v40, v[28:29]
	v_lshrrev_b32_e32 v38, 3, v23
	v_sub_u32_e32 v28, 29, v42
	v_and_b32_e32 v40, 7, v40
	v_cmp_gt_u32_e32 vcc, 8, v23
	v_cndmask_b32_e32 v23, v38, v28, vcc
	v_cndmask_b32_e32 v28, v30, v40, vcc
	v_lshlrev_b32_e32 v30, 16, v26
	v_lshlrev_b32_e32 v28, 20, v28
	v_and_b32_e32 v30, 0x80000000, v30
	v_lshl_add_u32 v23, v23, 23, v33
	v_or3_b32 v23, v30, v23, v28
	v_lshrrev_b32_e32 v38, 16, v23
.LBB961_97:                             ;   in Loop: Header=BB961_15 Depth=1
	s_or_b64 exec, exec, s[12:13]
.LBB961_98:                             ;   in Loop: Header=BB961_15 Depth=1
	s_or_b64 exec, exec, s[10:11]
.LBB961_99:                             ;   in Loop: Header=BB961_15 Depth=1
	s_or_b64 exec, exec, s[4:5]
	v_lshrrev_b32_e32 v28, 16, v26
	v_cmp_ne_u16_sdwa s[10:11], v28, v31 src0_sel:BYTE_0 src1_sel:DWORD
	s_and_saveexec_b64 s[4:5], s[10:11]
	s_cbranch_execz .LBB961_105
; %bb.100:                              ;   in Loop: Header=BB961_15 Depth=1
	v_cmp_ne_u16_sdwa s[12:13], v28, s15 src0_sel:BYTE_0 src1_sel:DWORD
	v_mov_b32_e32 v39, 0xffff8000
	s_and_saveexec_b64 s[10:11], s[12:13]
	s_cbranch_execz .LBB961_104
; %bb.101:                              ;   in Loop: Header=BB961_15 Depth=1
	v_bfe_u32 v23, v26, 16, 7
	v_cmp_ne_u32_e32 vcc, s16, v23
	v_mov_b32_e32 v39, 0x7f80
	s_and_saveexec_b64 s[12:13], vcc
	s_cbranch_execz .LBB961_103
; %bb.102:                              ;   in Loop: Header=BB961_15 Depth=1
	v_and_b32_e32 v30, 7, v28
	v_ffbh_u32_e32 v40, v30
	v_min_u32_e32 v42, 32, v40
	v_subrev_u32_e32 v40, 28, v42
	v_lshlrev_b64 v[40:41], v40, v[28:29]
	v_lshrrev_b32_e32 v39, 3, v23
	v_sub_u32_e32 v41, 29, v42
	v_and_b32_e32 v40, 7, v40
	v_cmp_gt_u32_e32 vcc, 8, v23
	v_cndmask_b32_e32 v23, v39, v41, vcc
	v_cndmask_b32_e32 v30, v30, v40, vcc
	v_lshlrev_b32_e32 v28, 24, v28
	v_lshlrev_b32_e32 v30, 20, v30
	v_and_b32_e32 v28, 0x80000000, v28
	v_lshl_add_u32 v23, v23, 23, v33
	v_or3_b32 v23, v28, v23, v30
	v_lshrrev_b32_e32 v39, 16, v23
.LBB961_103:                            ;   in Loop: Header=BB961_15 Depth=1
	s_or_b64 exec, exec, s[12:13]
.LBB961_104:                            ;   in Loop: Header=BB961_15 Depth=1
	s_or_b64 exec, exec, s[10:11]
.LBB961_105:                            ;   in Loop: Header=BB961_15 Depth=1
	s_or_b64 exec, exec, s[4:5]
	v_cmp_lt_u32_e32 vcc, s17, v26
	v_mov_b32_e32 v23, 0
	v_mov_b32_e32 v40, 0
	s_and_saveexec_b64 s[4:5], vcc
	s_cbranch_execz .LBB961_111
; %bb.106:                              ;   in Loop: Header=BB961_15 Depth=1
	v_lshrrev_b32_e32 v28, 24, v26
	v_cmp_ne_u32_e32 vcc, s15, v28
	v_mov_b32_e32 v40, 0xffff8000
	s_and_saveexec_b64 s[10:11], vcc
	s_cbranch_execz .LBB961_110
; %bb.107:                              ;   in Loop: Header=BB961_15 Depth=1
	v_bfe_u32 v26, v26, 24, 7
	v_cmp_ne_u32_e32 vcc, s16, v26
	v_mov_b32_e32 v40, 0x7f80
	s_and_saveexec_b64 s[12:13], vcc
	s_cbranch_execz .LBB961_109
; %bb.108:                              ;   in Loop: Header=BB961_15 Depth=1
	v_and_b32_e32 v30, 7, v28
	v_ffbh_u32_e32 v40, v30
	v_min_u32_e32 v43, 32, v40
	v_subrev_u32_e32 v40, 28, v43
	v_lshlrev_b64 v[40:41], v40, v[28:29]
	v_lshrrev_b32_e32 v42, 3, v26
	v_sub_u32_e32 v41, 29, v43
	v_and_b32_e32 v40, 7, v40
	v_cmp_gt_u32_e32 vcc, 8, v26
	v_cndmask_b32_e32 v26, v42, v41, vcc
	v_cndmask_b32_e32 v30, v30, v40, vcc
	v_lshlrev_b32_e32 v28, 24, v28
	v_lshlrev_b32_e32 v30, 20, v30
	v_and_b32_e32 v28, 0x80000000, v28
	v_lshl_add_u32 v26, v26, 23, v33
	v_or3_b32 v26, v28, v26, v30
	v_lshrrev_b32_e32 v40, 16, v26
.LBB961_109:                            ;   in Loop: Header=BB961_15 Depth=1
	s_or_b64 exec, exec, s[12:13]
.LBB961_110:                            ;   in Loop: Header=BB961_15 Depth=1
	s_or_b64 exec, exec, s[10:11]
.LBB961_111:                            ;   in Loop: Header=BB961_15 Depth=1
	s_or_b64 exec, exec, s[4:5]
	v_perm_b32 v34, v34, v32, s18
	buffer_load_dword v32, v27, s[0:3], 0 offen offset:16
	buffer_load_dword v30, v27, s[0:3], 0 offen offset:20
	;; [unrolled: 1-line block ×4, first 2 shown]
	v_perm_b32 v35, v37, v35, s18
	s_waitcnt vmcnt(3)
	v_cmp_ne_u16_sdwa s[10:11], v32, v31 src0_sel:BYTE_0 src1_sel:DWORD
	v_mfma_f32_16x16x16bf16_1k v[18:21], v[34:35], v[6:7], v[18:21]
	v_perm_b32 v35, v40, v39, s18
	v_perm_b32 v34, v38, v36, s18
	s_nop 1
	v_mfma_f32_16x16x16bf16_1k v[18:21], v[34:35], v[8:9], v[18:21]
	s_and_saveexec_b64 s[4:5], s[10:11]
	s_cbranch_execz .LBB961_117
; %bb.112:                              ;   in Loop: Header=BB961_15 Depth=1
	v_cmp_ne_u16_sdwa s[12:13], v32, s15 src0_sel:BYTE_0 src1_sel:DWORD
	v_mov_b32_e32 v23, 0xffff8000
	s_and_saveexec_b64 s[10:11], s[12:13]
	s_cbranch_execz .LBB961_116
; %bb.113:                              ;   in Loop: Header=BB961_15 Depth=1
	v_and_b32_e32 v34, 0x7f, v32
	v_cmp_ne_u32_e32 vcc, s16, v34
	v_mov_b32_e32 v23, 0x7f80
	s_and_saveexec_b64 s[12:13], vcc
	s_cbranch_execz .LBB961_115
; %bb.114:                              ;   in Loop: Header=BB961_15 Depth=1
	v_and_b32_e32 v23, 7, v32
	v_ffbh_u32_e32 v36, v23
	v_min_u32_e32 v38, 32, v36
	v_subrev_u32_e32 v36, 28, v38
	v_lshlrev_b64 v[36:37], v36, v[32:33]
	v_lshrrev_b32_e32 v35, 3, v34
	v_sub_u32_e32 v37, 29, v38
	v_and_b32_e32 v36, 7, v36
	v_cmp_gt_u32_e32 vcc, 8, v34
	v_cndmask_b32_e32 v34, v35, v37, vcc
	v_cndmask_b32_e32 v23, v23, v36, vcc
	v_lshlrev_b32_e32 v35, 24, v32
	v_lshlrev_b32_e32 v23, 20, v23
	v_and_b32_e32 v35, 0x80000000, v35
	v_lshl_add_u32 v34, v34, 23, v33
	v_or3_b32 v23, v35, v34, v23
	v_lshrrev_b32_e32 v23, 16, v23
.LBB961_115:                            ;   in Loop: Header=BB961_15 Depth=1
	s_or_b64 exec, exec, s[12:13]
.LBB961_116:                            ;   in Loop: Header=BB961_15 Depth=1
	s_or_b64 exec, exec, s[10:11]
.LBB961_117:                            ;   in Loop: Header=BB961_15 Depth=1
	s_or_b64 exec, exec, s[4:5]
	v_lshrrev_b16_e32 v34, 8, v32
	v_cmp_ne_u16_e32 vcc, 0, v34
	v_mov_b32_e32 v36, 0
	v_mov_b32_e32 v35, 0
	s_and_saveexec_b64 s[4:5], vcc
	s_cbranch_execz .LBB961_123
; %bb.118:                              ;   in Loop: Header=BB961_15 Depth=1
	v_cmp_ne_u16_e32 vcc, s15, v34
	v_mov_b32_e32 v35, 0xffff8000
	s_and_saveexec_b64 s[10:11], vcc
	s_cbranch_execz .LBB961_122
; %bb.119:                              ;   in Loop: Header=BB961_15 Depth=1
	v_and_b32_e32 v37, 0x7f, v34
	v_cmp_ne_u32_e32 vcc, s16, v37
	v_mov_b32_e32 v35, 0x7f80
	s_and_saveexec_b64 s[12:13], vcc
	s_cbranch_execz .LBB961_121
; %bb.120:                              ;   in Loop: Header=BB961_15 Depth=1
	v_and_b32_e32 v38, 7, v34
	v_ffbh_u32_e32 v35, v38
	v_min_u32_e32 v40, 32, v35
	v_subrev_u32_e32 v35, 28, v40
	v_lshlrev_b64 v[34:35], v35, v[34:35]
	v_lshrrev_b32_e32 v39, 3, v37
	v_sub_u32_e32 v35, 29, v40
	v_and_b32_e32 v34, 7, v34
	v_cmp_gt_u32_e32 vcc, 8, v37
	v_cndmask_b32_e32 v35, v39, v35, vcc
	v_cndmask_b32_e32 v34, v38, v34, vcc
	v_lshlrev_b32_e32 v37, 16, v32
	v_lshlrev_b32_e32 v34, 20, v34
	v_and_b32_e32 v37, 0x80000000, v37
	v_lshl_add_u32 v35, v35, 23, v33
	v_or3_b32 v34, v37, v35, v34
	v_lshrrev_b32_e32 v35, 16, v34
.LBB961_121:                            ;   in Loop: Header=BB961_15 Depth=1
	s_or_b64 exec, exec, s[12:13]
.LBB961_122:                            ;   in Loop: Header=BB961_15 Depth=1
	s_or_b64 exec, exec, s[10:11]
.LBB961_123:                            ;   in Loop: Header=BB961_15 Depth=1
	s_or_b64 exec, exec, s[4:5]
	v_lshrrev_b32_e32 v34, 16, v32
	v_cmp_ne_u16_sdwa s[10:11], v34, v31 src0_sel:BYTE_0 src1_sel:DWORD
	s_and_saveexec_b64 s[4:5], s[10:11]
	s_cbranch_execz .LBB961_129
; %bb.124:                              ;   in Loop: Header=BB961_15 Depth=1
	v_cmp_ne_u16_sdwa s[12:13], v34, s15 src0_sel:BYTE_0 src1_sel:DWORD
	v_mov_b32_e32 v36, 0xffff8000
	s_and_saveexec_b64 s[10:11], s[12:13]
	s_cbranch_execz .LBB961_128
; %bb.125:                              ;   in Loop: Header=BB961_15 Depth=1
	v_bfe_u32 v37, v32, 16, 7
	v_cmp_ne_u32_e32 vcc, s16, v37
	v_mov_b32_e32 v36, 0x7f80
	s_and_saveexec_b64 s[12:13], vcc
	s_cbranch_execz .LBB961_127
; %bb.126:                              ;   in Loop: Header=BB961_15 Depth=1
	v_and_b32_e32 v36, 7, v34
	v_ffbh_u32_e32 v38, v36
	v_min_u32_e32 v41, 32, v38
	v_subrev_u32_e32 v38, 28, v41
	v_lshlrev_b64 v[38:39], v38, v[34:35]
	v_lshrrev_b32_e32 v40, 3, v37
	v_sub_u32_e32 v39, 29, v41
	v_and_b32_e32 v38, 7, v38
	v_cmp_gt_u32_e32 vcc, 8, v37
	v_cndmask_b32_e32 v37, v40, v39, vcc
	v_cndmask_b32_e32 v36, v36, v38, vcc
	v_lshlrev_b32_e32 v34, 24, v34
	v_lshlrev_b32_e32 v36, 20, v36
	v_and_b32_e32 v34, 0x80000000, v34
	v_lshl_add_u32 v37, v37, 23, v33
	v_or3_b32 v34, v34, v37, v36
	v_lshrrev_b32_e32 v36, 16, v34
.LBB961_127:                            ;   in Loop: Header=BB961_15 Depth=1
	s_or_b64 exec, exec, s[12:13]
.LBB961_128:                            ;   in Loop: Header=BB961_15 Depth=1
	s_or_b64 exec, exec, s[10:11]
.LBB961_129:                            ;   in Loop: Header=BB961_15 Depth=1
	s_or_b64 exec, exec, s[4:5]
	v_cmp_lt_u32_e32 vcc, s17, v32
	v_mov_b32_e32 v37, 0
	v_mov_b32_e32 v38, 0
	s_and_saveexec_b64 s[4:5], vcc
	s_cbranch_execz .LBB961_135
; %bb.130:                              ;   in Loop: Header=BB961_15 Depth=1
	v_lshrrev_b32_e32 v34, 24, v32
	v_cmp_ne_u32_e32 vcc, s15, v34
	v_mov_b32_e32 v38, 0xffff8000
	s_and_saveexec_b64 s[10:11], vcc
	s_cbranch_execz .LBB961_134
; %bb.131:                              ;   in Loop: Header=BB961_15 Depth=1
	v_bfe_u32 v32, v32, 24, 7
	v_cmp_ne_u32_e32 vcc, s16, v32
	v_mov_b32_e32 v38, 0x7f80
	s_and_saveexec_b64 s[12:13], vcc
	s_cbranch_execz .LBB961_133
; %bb.132:                              ;   in Loop: Header=BB961_15 Depth=1
	v_and_b32_e32 v40, 7, v34
	v_ffbh_u32_e32 v38, v40
	v_min_u32_e32 v42, 32, v38
	v_subrev_u32_e32 v38, 28, v42
	v_lshlrev_b64 v[38:39], v38, v[34:35]
	v_lshrrev_b32_e32 v41, 3, v32
	v_sub_u32_e32 v39, 29, v42
	v_and_b32_e32 v38, 7, v38
	v_cmp_gt_u32_e32 vcc, 8, v32
	v_cndmask_b32_e32 v32, v41, v39, vcc
	v_cndmask_b32_e32 v38, v40, v38, vcc
	v_lshlrev_b32_e32 v34, 24, v34
	v_lshlrev_b32_e32 v38, 20, v38
	v_and_b32_e32 v34, 0x80000000, v34
	v_lshl_add_u32 v32, v32, 23, v33
	v_or3_b32 v32, v34, v32, v38
	v_lshrrev_b32_e32 v38, 16, v32
.LBB961_133:                            ;   in Loop: Header=BB961_15 Depth=1
	s_or_b64 exec, exec, s[12:13]
.LBB961_134:                            ;   in Loop: Header=BB961_15 Depth=1
	s_or_b64 exec, exec, s[10:11]
.LBB961_135:                            ;   in Loop: Header=BB961_15 Depth=1
	s_or_b64 exec, exec, s[4:5]
	s_waitcnt vmcnt(2)
	v_cmp_ne_u16_sdwa s[10:11], v30, v31 src0_sel:BYTE_0 src1_sel:DWORD
	s_and_saveexec_b64 s[4:5], s[10:11]
	s_cbranch_execz .LBB961_141
; %bb.136:                              ;   in Loop: Header=BB961_15 Depth=1
	v_cmp_ne_u16_sdwa s[12:13], v30, s15 src0_sel:BYTE_0 src1_sel:DWORD
	v_mov_b32_e32 v37, 0xffff8000
	s_and_saveexec_b64 s[10:11], s[12:13]
	s_cbranch_execz .LBB961_140
; %bb.137:                              ;   in Loop: Header=BB961_15 Depth=1
	v_and_b32_e32 v32, 0x7f, v30
	v_cmp_ne_u32_e32 vcc, s16, v32
	v_mov_b32_e32 v37, 0x7f80
	s_and_saveexec_b64 s[12:13], vcc
	s_cbranch_execz .LBB961_139
; %bb.138:                              ;   in Loop: Header=BB961_15 Depth=1
	v_and_b32_e32 v34, 7, v30
	v_ffbh_u32_e32 v39, v34
	v_min_u32_e32 v39, 32, v39
	v_subrev_u32_e32 v40, 28, v39
	v_lshlrev_b64 v[40:41], v40, v[30:31]
	v_lshrrev_b32_e32 v37, 3, v32
	v_sub_u32_e32 v39, 29, v39
	v_and_b32_e32 v40, 7, v40
	v_cmp_gt_u32_e32 vcc, 8, v32
	v_cndmask_b32_e32 v32, v37, v39, vcc
	v_cndmask_b32_e32 v34, v34, v40, vcc
	v_lshlrev_b32_e32 v37, 24, v30
	v_lshlrev_b32_e32 v34, 20, v34
	v_and_b32_e32 v37, 0x80000000, v37
	v_lshl_add_u32 v32, v32, 23, v33
	v_or3_b32 v32, v37, v32, v34
	v_lshrrev_b32_e32 v37, 16, v32
.LBB961_139:                            ;   in Loop: Header=BB961_15 Depth=1
	s_or_b64 exec, exec, s[12:13]
.LBB961_140:                            ;   in Loop: Header=BB961_15 Depth=1
	s_or_b64 exec, exec, s[10:11]
.LBB961_141:                            ;   in Loop: Header=BB961_15 Depth=1
	s_or_b64 exec, exec, s[4:5]
	v_lshrrev_b16_e32 v32, 8, v30
	v_cmp_ne_u16_e32 vcc, 0, v32
	v_mov_b32_e32 v40, 0
	v_mov_b32_e32 v39, 0
	s_and_saveexec_b64 s[4:5], vcc
	s_cbranch_execz .LBB961_147
; %bb.142:                              ;   in Loop: Header=BB961_15 Depth=1
	v_cmp_ne_u16_e32 vcc, s15, v32
	v_mov_b32_e32 v39, 0xffff8000
	s_and_saveexec_b64 s[10:11], vcc
	s_cbranch_execz .LBB961_146
; %bb.143:                              ;   in Loop: Header=BB961_15 Depth=1
	v_and_b32_e32 v34, 0x7f, v32
	v_cmp_ne_u32_e32 vcc, s16, v34
	v_mov_b32_e32 v39, 0x7f80
	s_and_saveexec_b64 s[12:13], vcc
	s_cbranch_execz .LBB961_145
; %bb.144:                              ;   in Loop: Header=BB961_15 Depth=1
	v_and_b32_e32 v39, 7, v32
	v_ffbh_u32_e32 v42, v39
	v_min_u32_e32 v44, 32, v42
	v_subrev_u32_e32 v42, 28, v44
	v_lshlrev_b64 v[42:43], v42, v[32:33]
	v_lshrrev_b32_e32 v41, 3, v34
	v_sub_u32_e32 v32, 29, v44
	v_and_b32_e32 v42, 7, v42
	v_cmp_gt_u32_e32 vcc, 8, v34
	v_cndmask_b32_e32 v32, v41, v32, vcc
	v_cndmask_b32_e32 v34, v39, v42, vcc
	v_lshlrev_b32_e32 v39, 16, v30
	v_lshlrev_b32_e32 v34, 20, v34
	v_and_b32_e32 v39, 0x80000000, v39
	v_lshl_add_u32 v32, v32, 23, v33
	v_or3_b32 v32, v39, v32, v34
	v_lshrrev_b32_e32 v39, 16, v32
.LBB961_145:                            ;   in Loop: Header=BB961_15 Depth=1
	s_or_b64 exec, exec, s[12:13]
.LBB961_146:                            ;   in Loop: Header=BB961_15 Depth=1
	s_or_b64 exec, exec, s[10:11]
.LBB961_147:                            ;   in Loop: Header=BB961_15 Depth=1
	s_or_b64 exec, exec, s[4:5]
	v_lshrrev_b32_e32 v32, 16, v30
	v_cmp_ne_u16_sdwa s[10:11], v32, v31 src0_sel:BYTE_0 src1_sel:DWORD
	s_and_saveexec_b64 s[4:5], s[10:11]
	s_cbranch_execz .LBB961_153
; %bb.148:                              ;   in Loop: Header=BB961_15 Depth=1
	v_cmp_ne_u16_sdwa s[12:13], v32, s15 src0_sel:BYTE_0 src1_sel:DWORD
	v_mov_b32_e32 v40, 0xffff8000
	s_and_saveexec_b64 s[10:11], s[12:13]
	s_cbranch_execz .LBB961_152
; %bb.149:                              ;   in Loop: Header=BB961_15 Depth=1
	v_bfe_u32 v34, v30, 16, 7
	v_cmp_ne_u32_e32 vcc, s16, v34
	v_mov_b32_e32 v40, 0x7f80
	s_and_saveexec_b64 s[12:13], vcc
	s_cbranch_execz .LBB961_151
; %bb.150:                              ;   in Loop: Header=BB961_15 Depth=1
	v_and_b32_e32 v42, 7, v32
	v_ffbh_u32_e32 v40, v42
	v_min_u32_e32 v44, 32, v40
	v_subrev_u32_e32 v40, 28, v44
	v_lshlrev_b64 v[40:41], v40, v[32:33]
	v_lshrrev_b32_e32 v43, 3, v34
	v_sub_u32_e32 v41, 29, v44
	v_and_b32_e32 v40, 7, v40
	v_cmp_gt_u32_e32 vcc, 8, v34
	v_cndmask_b32_e32 v34, v43, v41, vcc
	v_cndmask_b32_e32 v40, v42, v40, vcc
	v_lshlrev_b32_e32 v32, 24, v32
	v_lshlrev_b32_e32 v40, 20, v40
	v_and_b32_e32 v32, 0x80000000, v32
	v_lshl_add_u32 v34, v34, 23, v33
	v_or3_b32 v32, v32, v34, v40
	v_lshrrev_b32_e32 v40, 16, v32
.LBB961_151:                            ;   in Loop: Header=BB961_15 Depth=1
	s_or_b64 exec, exec, s[12:13]
.LBB961_152:                            ;   in Loop: Header=BB961_15 Depth=1
	s_or_b64 exec, exec, s[10:11]
.LBB961_153:                            ;   in Loop: Header=BB961_15 Depth=1
	s_or_b64 exec, exec, s[4:5]
	v_cmp_lt_u32_e32 vcc, s17, v30
	v_mov_b32_e32 v34, 0
	v_mov_b32_e32 v41, 0
	s_and_saveexec_b64 s[4:5], vcc
	s_cbranch_execz .LBB961_159
; %bb.154:                              ;   in Loop: Header=BB961_15 Depth=1
	v_lshrrev_b32_e32 v32, 24, v30
	v_cmp_ne_u32_e32 vcc, s15, v32
	v_mov_b32_e32 v41, 0xffff8000
	s_and_saveexec_b64 s[10:11], vcc
	s_cbranch_execz .LBB961_158
; %bb.155:                              ;   in Loop: Header=BB961_15 Depth=1
	v_bfe_u32 v30, v30, 24, 7
	v_cmp_ne_u32_e32 vcc, s16, v30
	v_mov_b32_e32 v41, 0x7f80
	s_and_saveexec_b64 s[12:13], vcc
	s_cbranch_execz .LBB961_157
; %bb.156:                              ;   in Loop: Header=BB961_15 Depth=1
	v_and_b32_e32 v41, 7, v32
	v_ffbh_u32_e32 v42, v41
	v_min_u32_e32 v45, 32, v42
	v_subrev_u32_e32 v42, 28, v45
	v_lshlrev_b64 v[42:43], v42, v[32:33]
	v_lshrrev_b32_e32 v44, 3, v30
	v_sub_u32_e32 v43, 29, v45
	v_and_b32_e32 v42, 7, v42
	v_cmp_gt_u32_e32 vcc, 8, v30
	v_cndmask_b32_e32 v30, v44, v43, vcc
	v_cndmask_b32_e32 v41, v41, v42, vcc
	v_lshlrev_b32_e32 v32, 24, v32
	v_lshlrev_b32_e32 v41, 20, v41
	v_and_b32_e32 v32, 0x80000000, v32
	v_lshl_add_u32 v30, v30, 23, v33
	v_or3_b32 v30, v32, v30, v41
	v_lshrrev_b32_e32 v41, 16, v30
.LBB961_157:                            ;   in Loop: Header=BB961_15 Depth=1
	s_or_b64 exec, exec, s[12:13]
.LBB961_158:                            ;   in Loop: Header=BB961_15 Depth=1
	s_or_b64 exec, exec, s[10:11]
.LBB961_159:                            ;   in Loop: Header=BB961_15 Depth=1
	s_or_b64 exec, exec, s[4:5]
	v_perm_b32 v43, v38, v36, s18
	v_perm_b32 v42, v35, v23, s18
	;; [unrolled: 1-line block ×4, first 2 shown]
	s_waitcnt vmcnt(1)
	v_cmp_ne_u16_sdwa s[10:11], v28, v31 src0_sel:BYTE_0 src1_sel:DWORD
	v_mfma_f32_16x16x16bf16_1k v[18:21], v[42:43], v[10:11], v[18:21]
	v_mfma_f32_16x16x16bf16_1k v[18:21], v[40:41], v[12:13], v[18:21]
	s_and_saveexec_b64 s[4:5], s[10:11]
	s_cbranch_execz .LBB961_165
; %bb.160:                              ;   in Loop: Header=BB961_15 Depth=1
	v_cmp_ne_u16_sdwa s[12:13], v28, s15 src0_sel:BYTE_0 src1_sel:DWORD
	v_mov_b32_e32 v34, 0xffff8000
	s_and_saveexec_b64 s[10:11], s[12:13]
	s_cbranch_execz .LBB961_164
; %bb.161:                              ;   in Loop: Header=BB961_15 Depth=1
	v_and_b32_e32 v23, 0x7f, v28
	v_cmp_ne_u32_e32 vcc, s16, v23
	v_mov_b32_e32 v34, 0x7f80
	s_and_saveexec_b64 s[12:13], vcc
	s_cbranch_execz .LBB961_163
; %bb.162:                              ;   in Loop: Header=BB961_15 Depth=1
	v_and_b32_e32 v30, 7, v28
	v_ffbh_u32_e32 v34, v30
	v_min_u32_e32 v36, 32, v34
	v_subrev_u32_e32 v34, 28, v36
	v_lshlrev_b64 v[34:35], v34, v[28:29]
	v_lshrrev_b32_e32 v32, 3, v23
	v_sub_u32_e32 v35, 29, v36
	v_and_b32_e32 v34, 7, v34
	v_cmp_gt_u32_e32 vcc, 8, v23
	v_cndmask_b32_e32 v23, v32, v35, vcc
	v_cndmask_b32_e32 v30, v30, v34, vcc
	v_lshlrev_b32_e32 v32, 24, v28
	v_lshlrev_b32_e32 v30, 20, v30
	v_and_b32_e32 v32, 0x80000000, v32
	v_lshl_add_u32 v23, v23, 23, v33
	v_or3_b32 v23, v32, v23, v30
	v_lshrrev_b32_e32 v34, 16, v23
.LBB961_163:                            ;   in Loop: Header=BB961_15 Depth=1
	s_or_b64 exec, exec, s[12:13]
.LBB961_164:                            ;   in Loop: Header=BB961_15 Depth=1
	s_or_b64 exec, exec, s[10:11]
.LBB961_165:                            ;   in Loop: Header=BB961_15 Depth=1
	s_or_b64 exec, exec, s[4:5]
	v_lshrrev_b16_e32 v30, 8, v28
	v_cmp_ne_u16_e32 vcc, 0, v30
	v_mov_b32_e32 v32, 0
	v_mov_b32_e32 v23, 0
	s_and_saveexec_b64 s[4:5], vcc
	s_cbranch_execz .LBB961_171
; %bb.166:                              ;   in Loop: Header=BB961_15 Depth=1
	v_cmp_ne_u16_e32 vcc, s15, v30
	v_mov_b32_e32 v23, 0xffff8000
	s_and_saveexec_b64 s[10:11], vcc
	s_cbranch_execz .LBB961_170
; %bb.167:                              ;   in Loop: Header=BB961_15 Depth=1
	v_and_b32_e32 v35, 0x7f, v30
	v_cmp_ne_u32_e32 vcc, s16, v35
	v_mov_b32_e32 v23, 0x7f80
	s_and_saveexec_b64 s[12:13], vcc
	s_cbranch_execz .LBB961_169
; %bb.168:                              ;   in Loop: Header=BB961_15 Depth=1
	v_and_b32_e32 v23, 7, v30
	v_ffbh_u32_e32 v36, v23
	v_min_u32_e32 v39, 32, v36
	v_subrev_u32_e32 v36, 28, v39
	v_lshlrev_b64 v[36:37], v36, v[30:31]
	v_lshrrev_b32_e32 v38, 3, v35
	v_sub_u32_e32 v30, 29, v39
	v_and_b32_e32 v36, 7, v36
	v_cmp_gt_u32_e32 vcc, 8, v35
	v_cndmask_b32_e32 v30, v38, v30, vcc
	v_cndmask_b32_e32 v23, v23, v36, vcc
	v_lshlrev_b32_e32 v35, 16, v28
	v_lshlrev_b32_e32 v23, 20, v23
	v_and_b32_e32 v35, 0x80000000, v35
	v_lshl_add_u32 v30, v30, 23, v33
	v_or3_b32 v23, v35, v30, v23
	v_lshrrev_b32_e32 v23, 16, v23
.LBB961_169:                            ;   in Loop: Header=BB961_15 Depth=1
	s_or_b64 exec, exec, s[12:13]
.LBB961_170:                            ;   in Loop: Header=BB961_15 Depth=1
	s_or_b64 exec, exec, s[10:11]
.LBB961_171:                            ;   in Loop: Header=BB961_15 Depth=1
	s_or_b64 exec, exec, s[4:5]
	v_lshrrev_b32_e32 v30, 16, v28
	v_cmp_ne_u16_sdwa s[10:11], v30, v31 src0_sel:BYTE_0 src1_sel:DWORD
	s_and_saveexec_b64 s[4:5], s[10:11]
	s_cbranch_execz .LBB961_177
; %bb.172:                              ;   in Loop: Header=BB961_15 Depth=1
	v_cmp_ne_u16_sdwa s[12:13], v30, s15 src0_sel:BYTE_0 src1_sel:DWORD
	v_mov_b32_e32 v32, 0xffff8000
	s_and_saveexec_b64 s[10:11], s[12:13]
	s_cbranch_execz .LBB961_176
; %bb.173:                              ;   in Loop: Header=BB961_15 Depth=1
	v_bfe_u32 v35, v28, 16, 7
	v_cmp_ne_u32_e32 vcc, s16, v35
	v_mov_b32_e32 v32, 0x7f80
	s_and_saveexec_b64 s[12:13], vcc
	s_cbranch_execz .LBB961_175
; %bb.174:                              ;   in Loop: Header=BB961_15 Depth=1
	v_and_b32_e32 v32, 7, v30
	v_ffbh_u32_e32 v36, v32
	v_min_u32_e32 v39, 32, v36
	v_subrev_u32_e32 v36, 28, v39
	v_lshlrev_b64 v[36:37], v36, v[30:31]
	v_lshrrev_b32_e32 v38, 3, v35
	v_sub_u32_e32 v37, 29, v39
	v_and_b32_e32 v36, 7, v36
	v_cmp_gt_u32_e32 vcc, 8, v35
	v_cndmask_b32_e32 v35, v38, v37, vcc
	v_cndmask_b32_e32 v32, v32, v36, vcc
	v_lshlrev_b32_e32 v30, 24, v30
	v_lshlrev_b32_e32 v32, 20, v32
	v_and_b32_e32 v30, 0x80000000, v30
	v_lshl_add_u32 v35, v35, 23, v33
	v_or3_b32 v30, v30, v35, v32
	v_lshrrev_b32_e32 v32, 16, v30
.LBB961_175:                            ;   in Loop: Header=BB961_15 Depth=1
	s_or_b64 exec, exec, s[12:13]
.LBB961_176:                            ;   in Loop: Header=BB961_15 Depth=1
	s_or_b64 exec, exec, s[10:11]
.LBB961_177:                            ;   in Loop: Header=BB961_15 Depth=1
	s_or_b64 exec, exec, s[4:5]
	v_cmp_lt_u32_e32 vcc, s17, v28
	v_mov_b32_e32 v35, 0
	v_mov_b32_e32 v36, 0
	s_and_saveexec_b64 s[4:5], vcc
	s_cbranch_execz .LBB961_183
; %bb.178:                              ;   in Loop: Header=BB961_15 Depth=1
	v_lshrrev_b32_e32 v30, 24, v28
	v_cmp_ne_u32_e32 vcc, s15, v30
	v_mov_b32_e32 v36, 0xffff8000
	s_and_saveexec_b64 s[10:11], vcc
	s_cbranch_execz .LBB961_182
; %bb.179:                              ;   in Loop: Header=BB961_15 Depth=1
	v_bfe_u32 v28, v28, 24, 7
	v_cmp_ne_u32_e32 vcc, s16, v28
	v_mov_b32_e32 v36, 0x7f80
	s_and_saveexec_b64 s[12:13], vcc
	s_cbranch_execz .LBB961_181
; %bb.180:                              ;   in Loop: Header=BB961_15 Depth=1
	v_and_b32_e32 v38, 7, v30
	v_ffbh_u32_e32 v36, v38
	v_min_u32_e32 v40, 32, v36
	v_subrev_u32_e32 v36, 28, v40
	v_lshlrev_b64 v[36:37], v36, v[30:31]
	v_lshrrev_b32_e32 v39, 3, v28
	v_sub_u32_e32 v37, 29, v40
	v_and_b32_e32 v36, 7, v36
	v_cmp_gt_u32_e32 vcc, 8, v28
	v_cndmask_b32_e32 v28, v39, v37, vcc
	v_cndmask_b32_e32 v36, v38, v36, vcc
	v_lshlrev_b32_e32 v30, 24, v30
	v_lshlrev_b32_e32 v36, 20, v36
	v_and_b32_e32 v30, 0x80000000, v30
	v_lshl_add_u32 v28, v28, 23, v33
	v_or3_b32 v28, v30, v28, v36
	v_lshrrev_b32_e32 v36, 16, v28
.LBB961_181:                            ;   in Loop: Header=BB961_15 Depth=1
	s_or_b64 exec, exec, s[12:13]
.LBB961_182:                            ;   in Loop: Header=BB961_15 Depth=1
	s_or_b64 exec, exec, s[10:11]
.LBB961_183:                            ;   in Loop: Header=BB961_15 Depth=1
	s_or_b64 exec, exec, s[4:5]
	s_waitcnt vmcnt(0)
	v_cmp_ne_u16_sdwa s[10:11], v26, v31 src0_sel:BYTE_0 src1_sel:DWORD
	s_and_saveexec_b64 s[4:5], s[10:11]
	s_cbranch_execz .LBB961_189
; %bb.184:                              ;   in Loop: Header=BB961_15 Depth=1
	v_cmp_ne_u16_sdwa s[12:13], v26, s15 src0_sel:BYTE_0 src1_sel:DWORD
	v_mov_b32_e32 v35, 0xffff8000
	s_and_saveexec_b64 s[10:11], s[12:13]
	s_cbranch_execz .LBB961_188
; %bb.185:                              ;   in Loop: Header=BB961_15 Depth=1
	v_and_b32_e32 v28, 0x7f, v26
	v_cmp_ne_u32_e32 vcc, s16, v28
	v_mov_b32_e32 v35, 0x7f80
	s_and_saveexec_b64 s[12:13], vcc
	s_cbranch_execz .LBB961_187
; %bb.186:                              ;   in Loop: Header=BB961_15 Depth=1
	v_and_b32_e32 v30, 7, v26
	v_ffbh_u32_e32 v37, v30
	v_min_u32_e32 v37, 32, v37
	v_subrev_u32_e32 v38, 28, v37
	v_lshlrev_b64 v[38:39], v38, v[26:27]
	v_lshrrev_b32_e32 v35, 3, v28
	v_sub_u32_e32 v37, 29, v37
	v_and_b32_e32 v38, 7, v38
	v_cmp_gt_u32_e32 vcc, 8, v28
	v_cndmask_b32_e32 v28, v35, v37, vcc
	v_cndmask_b32_e32 v30, v30, v38, vcc
	v_lshlrev_b32_e32 v35, 24, v26
	v_lshlrev_b32_e32 v30, 20, v30
	v_and_b32_e32 v35, 0x80000000, v35
	v_lshl_add_u32 v28, v28, 23, v33
	v_or3_b32 v28, v35, v28, v30
	v_lshrrev_b32_e32 v35, 16, v28
.LBB961_187:                            ;   in Loop: Header=BB961_15 Depth=1
	s_or_b64 exec, exec, s[12:13]
.LBB961_188:                            ;   in Loop: Header=BB961_15 Depth=1
	s_or_b64 exec, exec, s[10:11]
.LBB961_189:                            ;   in Loop: Header=BB961_15 Depth=1
	s_or_b64 exec, exec, s[4:5]
	v_lshrrev_b16_e32 v28, 8, v26
	v_cmp_ne_u16_e32 vcc, 0, v28
	v_mov_b32_e32 v37, 0
	v_mov_b32_e32 v30, 0
	s_and_saveexec_b64 s[4:5], vcc
	s_cbranch_execz .LBB961_195
; %bb.190:                              ;   in Loop: Header=BB961_15 Depth=1
	v_cmp_ne_u16_e32 vcc, s15, v28
	v_mov_b32_e32 v30, 0xffff8000
	s_and_saveexec_b64 s[10:11], vcc
	s_cbranch_execz .LBB961_194
; %bb.191:                              ;   in Loop: Header=BB961_15 Depth=1
	v_and_b32_e32 v38, 0x7f, v28
	v_cmp_ne_u32_e32 vcc, s16, v38
	v_mov_b32_e32 v30, 0x7f80
	s_and_saveexec_b64 s[12:13], vcc
	s_cbranch_execz .LBB961_193
; %bb.192:                              ;   in Loop: Header=BB961_15 Depth=1
	v_and_b32_e32 v30, 7, v28
	v_ffbh_u32_e32 v40, v30
	v_min_u32_e32 v42, 32, v40
	v_subrev_u32_e32 v40, 28, v42
	v_lshlrev_b64 v[40:41], v40, v[28:29]
	v_lshrrev_b32_e32 v39, 3, v38
	v_sub_u32_e32 v28, 29, v42
	v_and_b32_e32 v40, 7, v40
	v_cmp_gt_u32_e32 vcc, 8, v38
	v_cndmask_b32_e32 v28, v39, v28, vcc
	v_cndmask_b32_e32 v30, v30, v40, vcc
	v_lshlrev_b32_e32 v38, 16, v26
	v_lshlrev_b32_e32 v30, 20, v30
	v_and_b32_e32 v38, 0x80000000, v38
	v_lshl_add_u32 v28, v28, 23, v33
	v_or3_b32 v28, v38, v28, v30
	v_lshrrev_b32_e32 v30, 16, v28
.LBB961_193:                            ;   in Loop: Header=BB961_15 Depth=1
	s_or_b64 exec, exec, s[12:13]
.LBB961_194:                            ;   in Loop: Header=BB961_15 Depth=1
	s_or_b64 exec, exec, s[10:11]
.LBB961_195:                            ;   in Loop: Header=BB961_15 Depth=1
	s_or_b64 exec, exec, s[4:5]
	v_lshrrev_b32_e32 v28, 16, v26
	v_cmp_ne_u16_sdwa s[10:11], v28, v31 src0_sel:BYTE_0 src1_sel:DWORD
	s_and_saveexec_b64 s[4:5], s[10:11]
	s_cbranch_execz .LBB961_201
; %bb.196:                              ;   in Loop: Header=BB961_15 Depth=1
	v_cmp_ne_u16_sdwa s[12:13], v28, s15 src0_sel:BYTE_0 src1_sel:DWORD
	v_mov_b32_e32 v37, 0xffff8000
	s_and_saveexec_b64 s[10:11], s[12:13]
	s_cbranch_execz .LBB961_200
; %bb.197:                              ;   in Loop: Header=BB961_15 Depth=1
	v_bfe_u32 v38, v26, 16, 7
	v_cmp_ne_u32_e32 vcc, s16, v38
	v_mov_b32_e32 v37, 0x7f80
	s_and_saveexec_b64 s[12:13], vcc
	s_cbranch_execz .LBB961_199
; %bb.198:                              ;   in Loop: Header=BB961_15 Depth=1
	v_and_b32_e32 v37, 7, v28
	v_ffbh_u32_e32 v40, v37
	v_min_u32_e32 v42, 32, v40
	v_subrev_u32_e32 v40, 28, v42
	v_lshlrev_b64 v[40:41], v40, v[28:29]
	v_lshrrev_b32_e32 v39, 3, v38
	v_sub_u32_e32 v41, 29, v42
	v_and_b32_e32 v40, 7, v40
	v_cmp_gt_u32_e32 vcc, 8, v38
	v_cndmask_b32_e32 v38, v39, v41, vcc
	v_cndmask_b32_e32 v37, v37, v40, vcc
	v_lshlrev_b32_e32 v28, 24, v28
	v_lshlrev_b32_e32 v37, 20, v37
	v_and_b32_e32 v28, 0x80000000, v28
	v_lshl_add_u32 v38, v38, 23, v33
	v_or3_b32 v28, v28, v38, v37
	v_lshrrev_b32_e32 v37, 16, v28
.LBB961_199:                            ;   in Loop: Header=BB961_15 Depth=1
	s_or_b64 exec, exec, s[12:13]
.LBB961_200:                            ;   in Loop: Header=BB961_15 Depth=1
	s_or_b64 exec, exec, s[10:11]
.LBB961_201:                            ;   in Loop: Header=BB961_15 Depth=1
	s_or_b64 exec, exec, s[4:5]
	v_cmp_lt_u32_e32 vcc, s17, v26
	v_mov_b32_e32 v38, 0
	s_and_saveexec_b64 s[4:5], vcc
	s_cbranch_execz .LBB961_14
; %bb.202:                              ;   in Loop: Header=BB961_15 Depth=1
	v_lshrrev_b32_e32 v28, 24, v26
	v_cmp_ne_u32_e32 vcc, s15, v28
	v_mov_b32_e32 v38, 0xffff8000
	s_and_saveexec_b64 s[10:11], vcc
	s_cbranch_execz .LBB961_13
; %bb.203:                              ;   in Loop: Header=BB961_15 Depth=1
	v_bfe_u32 v26, v26, 24, 7
	v_cmp_ne_u32_e32 vcc, s16, v26
	v_mov_b32_e32 v38, 0x7f80
	s_and_saveexec_b64 s[12:13], vcc
	s_cbranch_execz .LBB961_12
; %bb.204:                              ;   in Loop: Header=BB961_15 Depth=1
	v_and_b32_e32 v40, 7, v28
	v_ffbh_u32_e32 v38, v40
	v_min_u32_e32 v42, 32, v38
	v_subrev_u32_e32 v38, 28, v42
	v_lshlrev_b64 v[38:39], v38, v[28:29]
	v_lshrrev_b32_e32 v41, 3, v26
	v_sub_u32_e32 v39, 29, v42
	v_and_b32_e32 v38, 7, v38
	v_cmp_gt_u32_e32 vcc, 8, v26
	v_cndmask_b32_e32 v26, v41, v39, vcc
	v_cndmask_b32_e32 v38, v40, v38, vcc
	v_lshlrev_b32_e32 v28, 24, v28
	v_lshlrev_b32_e32 v38, 20, v38
	v_and_b32_e32 v28, 0x80000000, v28
	v_lshl_add_u32 v26, v26, 23, v33
	v_or3_b32 v26, v28, v26, v38
	v_lshrrev_b32_e32 v38, 16, v26
	s_branch .LBB961_12
.LBB961_205:
	buffer_load_dword v13, off, s[0:3], 0 offset:256
	buffer_load_dword v14, off, s[0:3], 0 offset:260
	;; [unrolled: 1-line block ×16, first 2 shown]
	v_and_b32_e32 v12, 0xc0, v0
	v_add_u32_e32 v12, s20, v12
	v_lshl_or_b32 v12, v65, 2, v12
	v_or_b32_e32 v23, 1, v12
	v_mov_b32_e32 v19, 0xff7fffff
	v_or_b32_e32 v24, 2, v12
	v_or_b32_e32 v25, 3, v12
	v_cmp_gt_i32_e64 s[28:29], s33, v12
	v_cmp_gt_i32_e64 s[30:31], s33, v23
	s_mov_b32 s48, 0xff7fffff
	v_or_b32_e32 v26, 16, v12
	v_or_b32_e32 v27, 17, v12
	;; [unrolled: 1-line block ×12, first 2 shown]
	v_cmp_gt_i32_e64 s[34:35], s33, v24
	v_cmp_gt_i32_e64 s[36:37], s33, v25
	v_mbcnt_lo_u32_b32 v20, -1, 0
	v_cmp_gt_i32_e64 s[38:39], s33, v26
	v_cmp_gt_i32_e64 s[40:41], s33, v27
	v_mbcnt_hi_u32_b32 v20, -1, v20
	v_cmp_gt_i32_e64 s[22:23], s33, v28
	v_cmp_gt_i32_e64 s[24:25], s33, v29
	v_and_b32_e32 v21, 64, v20
	v_cmp_gt_i32_e64 s[18:19], s33, v30
	v_cmp_gt_i32_e64 s[20:21], s33, v31
	v_xor_b32_e32 v22, 32, v20
	v_add_u32_e32 v21, 64, v21
	v_cmp_gt_i32_e64 s[14:15], s33, v32
	v_cmp_gt_i32_e64 s[16:17], s33, v33
	v_cmp_lt_i32_e32 vcc, v22, v21
	v_cmp_gt_i32_e64 s[10:11], s33, v34
	v_cmp_gt_i32_e64 s[12:13], s33, v35
	v_cndmask_b32_e32 v22, v20, v22, vcc
	v_cmp_gt_i32_e32 vcc, s33, v36
	v_cmp_gt_i32_e64 s[4:5], s33, v37
	v_lshlrev_b32_e32 v22, 2, v22
	s_waitcnt vmcnt(15)
	v_cndmask_b32_e64 v12, v19, v13, s[28:29]
	s_waitcnt vmcnt(14)
	v_cndmask_b32_e64 v23, v19, v14, s[30:31]
	;; [unrolled: 2-line block ×4, first 2 shown]
	v_max3_f32 v12, v12, s48, v23
	s_waitcnt vmcnt(11)
	v_cndmask_b32_e64 v26, v19, v17, s[38:39]
	s_waitcnt vmcnt(10)
	v_cndmask_b32_e64 v27, v19, v18, s[40:41]
	v_max3_f32 v12, v12, v24, v25
	s_waitcnt vmcnt(9)
	v_cndmask_b32_e64 v28, v19, v11, s[22:23]
	s_waitcnt vmcnt(8)
	v_cndmask_b32_e64 v29, v19, v10, s[24:25]
	;; [unrolled: 5-line block ×5, first 2 shown]
	v_max3_f32 v12, v12, v32, v33
	s_waitcnt vmcnt(1)
	v_cndmask_b32_e32 v36, v19, v3, vcc
	s_waitcnt vmcnt(0)
	v_cndmask_b32_e64 v19, v19, v2, s[4:5]
	v_max3_f32 v12, v12, v34, v35
	v_max3_f32 v12, v12, v36, v19
	ds_bpermute_b32 v19, v22, v12
	v_xor_b32_e32 v23, 16, v20
	v_cmp_lt_i32_e64 s[42:43], v23, v21
	v_cndmask_b32_e64 v20, v20, v23, s[42:43]
	v_lshlrev_b32_e32 v20, 2, v20
	s_waitcnt lgkmcnt(0)
	v_max_f32_e32 v19, v19, v19
	v_max_f32_e32 v12, v12, v19
	ds_bpermute_b32 v19, v20, v12
	s_waitcnt lgkmcnt(0)
	v_max_f32_e32 v19, v19, v19
	v_max_f32_e32 v12, v12, v19
	v_sub_f32_e32 v13, v13, v12
	v_sub_f32_e32 v14, v14, v12
	;; [unrolled: 1-line block ×3, first 2 shown]
	v_mul_f32_e32 v13, 0x3fb8aa3b, v13
	v_mul_f32_e32 v14, 0x3fb8aa3b, v14
	;; [unrolled: 1-line block ×3, first 2 shown]
	v_exp_f32_e32 v13, v13
	v_exp_f32_e32 v14, v14
	;; [unrolled: 1-line block ×3, first 2 shown]
	v_sub_f32_e32 v16, v16, v12
	v_cndmask_b32_e64 v13, 0, v13, s[28:29]
	v_mul_f32_e32 v16, 0x3fb8aa3b, v16
	v_cndmask_b32_e64 v14, 0, v14, s[30:31]
	v_cndmask_b32_e64 v15, 0, v15, s[34:35]
	v_add_f32_e32 v19, 0, v13
	buffer_store_dword v13, off, s[0:3], 0 offset:256
	buffer_store_dword v14, off, s[0:3], 0 offset:260
	buffer_store_dword v15, off, s[0:3], 0 offset:264
	v_sub_f32_e32 v13, v17, v12
	v_exp_f32_e32 v16, v16
	v_add_f32_e32 v19, v19, v14
	v_mul_f32_e32 v13, 0x3fb8aa3b, v13
	v_sub_f32_e32 v14, v18, v12
	v_exp_f32_e32 v13, v13
	v_mul_f32_e32 v14, 0x3fb8aa3b, v14
	v_sub_f32_e32 v11, v11, v12
	v_exp_f32_e32 v14, v14
	;; [unrolled: 3-line block ×3, first 2 shown]
	v_mul_f32_e32 v10, 0x3fb8aa3b, v10
	v_sub_f32_e32 v9, v9, v12
	v_cndmask_b32_e64 v16, 0, v16, s[36:37]
	v_add_f32_e32 v19, v19, v15
	v_exp_f32_e32 v10, v10
	v_mul_f32_e32 v9, 0x3fb8aa3b, v9
	v_sub_f32_e32 v8, v8, v12
	v_add_f32_e32 v19, v19, v16
	v_cndmask_b32_e64 v13, 0, v13, s[38:39]
	v_exp_f32_e32 v9, v9
	v_mul_f32_e32 v8, 0x3fb8aa3b, v8
	v_sub_f32_e32 v7, v7, v12
	v_add_f32_e32 v15, v19, v13
	v_cndmask_b32_e64 v14, 0, v14, s[40:41]
	;; [unrolled: 5-line block ×5, first 2 shown]
	v_exp_f32_e32 v5, v5
	v_mul_f32_e32 v4, 0x3fb8aa3b, v4
	v_sub_f32_e32 v3, v3, v12
	buffer_store_dword v16, off, s[0:3], 0 offset:268
	buffer_store_dword v13, off, s[0:3], 0 offset:272
	;; [unrolled: 1-line block ×5, first 2 shown]
	v_add_f32_e32 v10, v15, v9
	v_cndmask_b32_e64 v8, 0, v8, s[20:21]
	v_exp_f32_e32 v4, v4
	v_mul_f32_e32 v3, 0x3fb8aa3b, v3
	v_sub_f32_e32 v2, v2, v12
	v_add_f32_e32 v10, v10, v8
	v_cndmask_b32_e64 v7, 0, v7, s[14:15]
	v_exp_f32_e32 v3, v3
	v_mul_f32_e32 v2, 0x3fb8aa3b, v2
	v_add_f32_e32 v10, v10, v7
	v_cndmask_b32_e64 v6, 0, v6, s[16:17]
	v_exp_f32_e32 v2, v2
	v_add_f32_e32 v10, v10, v6
	v_cndmask_b32_e64 v5, 0, v5, s[10:11]
	buffer_store_dword v9, off, s[0:3], 0 offset:288
	buffer_store_dword v8, off, s[0:3], 0 offset:292
	;; [unrolled: 1-line block ×4, first 2 shown]
	v_add_f32_e32 v6, v10, v5
	v_cndmask_b32_e64 v4, 0, v4, s[12:13]
	v_add_f32_e32 v6, v6, v4
	v_cndmask_b32_e32 v3, 0, v3, vcc
	v_add_f32_e32 v6, v6, v3
	v_cndmask_b32_e64 v2, 0, v2, s[4:5]
	v_add_f32_e32 v6, v6, v2
	ds_bpermute_b32 v7, v22, v6
	buffer_store_dword v5, off, s[0:3], 0 offset:304
	buffer_store_dword v4, off, s[0:3], 0 offset:308
	;; [unrolled: 1-line block ×4, first 2 shown]
	v_cmp_gt_u32_e32 vcc, 16, v68
	s_waitcnt lgkmcnt(0)
	s_barrier
	v_add_f32_e32 v2, v6, v7
	ds_bpermute_b32 v3, v20, v2
	s_waitcnt lgkmcnt(0)
	s_and_saveexec_b64 s[4:5], vcc
	s_cbranch_execz .LBB961_207
; %bb.206:
	v_add_f32_e32 v2, v2, v3
	v_lshlrev_b32_e32 v3, 2, v67
	ds_write2st64_b32 v3, v12, v2 offset1:1
.LBB961_207:
	s_or_b64 exec, exec, s[4:5]
	v_lshlrev_b32_e32 v2, 2, v55
	s_waitcnt lgkmcnt(0)
	s_barrier
	ds_read2_b32 v[14:15], v2 offset1:16
	ds_read2_b32 v[16:17], v2 offset0:32 offset1:48
	ds_read2_b32 v[6:7], v2 offset0:64 offset1:80
	;; [unrolled: 1-line block ×3, first 2 shown]
	s_waitcnt lgkmcnt(0)
	s_barrier
	buffer_load_dword v22, off, s[0:3], 0 offset:264
	buffer_load_dword v23, off, s[0:3], 0 offset:268
	;; [unrolled: 1-line block ×16, first 2 shown]
	v_max3_f32 v20, v14, s48, v15
	v_max3_f32 v20, v20, v16, v17
	v_sub_f32_e32 v14, v14, v20
	v_sub_f32_e32 v15, v15, v20
	v_mul_f32_e32 v14, 0x3fb8aa3b, v14
	v_sub_f32_e32 v16, v16, v20
	v_mul_f32_e32 v15, 0x3fb8aa3b, v15
	v_exp_f32_e32 v14, v14
	v_sub_f32_e32 v17, v17, v20
	v_mul_f32_e32 v16, 0x3fb8aa3b, v16
	v_exp_f32_e32 v15, v15
	v_mul_f32_e32 v17, 0x3fb8aa3b, v17
	v_exp_f32_e32 v16, v16
	v_exp_f32_e32 v17, v17
	v_fma_f32 v6, v14, v6, 0
	v_fmac_f32_e32 v6, v15, v7
	v_fmac_f32_e32 v6, v16, v12
	;; [unrolled: 1-line block ×3, first 2 shown]
	v_cmp_eq_u32_e32 vcc, 1, v66
	v_add_f32_e32 v12, 0x358637bd, v6
	v_cndmask_b32_e32 v14, v14, v15, vcc
	v_cmp_eq_u32_e32 vcc, 2, v66
	v_div_scale_f32 v13, s[4:5], v12, v12, 1.0
	v_cndmask_b32_e32 v7, v14, v16, vcc
	v_rcp_f32_e32 v14, v13
	v_cmp_eq_u32_e32 vcc, 3, v66
	v_cndmask_b32_e32 v7, v7, v17, vcc
	v_div_scale_f32 v15, vcc, 1.0, v12, 1.0
	v_fma_f32 v16, -v13, v14, 1.0
	v_fmac_f32_e32 v14, v16, v14
	v_mul_f32_e32 v16, v15, v14
	v_fma_f32 v17, -v13, v16, v15
	v_fmac_f32_e32 v16, v17, v14
	v_fma_f32 v13, -v13, v16, v15
	v_div_fmas_f32 v13, v13, v14, v16
	v_div_fixup_f32 v12, v13, v12, 1.0
	v_mul_f32_e32 v12, v7, v12
	s_movk_i32 s21, 0x7fff
	s_mov_b32 s22, 0x7060302
	s_lshl_b32 s20, s55, 2
	v_cmp_gt_u32_e32 vcc, 4, v0
	s_waitcnt vmcnt(14)
	v_pk_mul_f32 v[14:15], v[12:13], v[22:23] op_sel_hi:[0,1]
	v_bfe_u32 v21, v15, 16, 1
	s_waitcnt vmcnt(12)
	v_pk_mul_f32 v[16:17], v[12:13], v[24:25] op_sel_hi:[0,1]
	v_bfe_u32 v7, v17, 16, 1
	v_bfe_u32 v13, v16, 16, 1
	;; [unrolled: 1-line block ×3, first 2 shown]
	v_add3_u32 v13, v16, v13, s21
	v_add3_u32 v7, v17, v7, s21
	buffer_store_dword v16, off, s[0:3], 0 offset:256
	buffer_store_dword v17, off, s[0:3], 0 offset:260
	;; [unrolled: 1-line block ×4, first 2 shown]
	v_add3_u32 v16, v14, v22, s21
	v_add3_u32 v15, v15, v21, s21
	v_perm_b32 v14, v7, v13, s22
	v_lshlrev_b32_e32 v13, 3, v65
	v_perm_b32 v15, v15, v16, s22
	v_lshlrev_b32_e32 v7, 5, v55
	v_lshlrev_b32_e32 v16, 11, v66
	s_waitcnt vmcnt(12)
	v_pk_mul_f32 v[8:9], v[12:13], v[8:9] op_sel_hi:[0,1]
	v_or3_b32 v39, v16, v7, v13
	v_pk_mul_f32 v[10:11], v[12:13], v[10:11] op_sel_hi:[0,1]
	v_bfe_u32 v13, v9, 16, 1
	v_bfe_u32 v16, v8, 16, 1
	buffer_store_dword v8, off, s[0:3], 0 offset:272
	buffer_store_dword v9, off, s[0:3], 0 offset:276
	;; [unrolled: 1-line block ×4, first 2 shown]
	v_add3_u32 v8, v8, v16, s21
	v_add3_u32 v9, v9, v13, s21
	v_perm_b32 v8, v9, v8, s22
	v_bfe_u32 v9, v11, 16, 1
	v_bfe_u32 v13, v10, 16, 1
	v_add3_u32 v10, v10, v13, s21
	v_add3_u32 v9, v11, v9, s21
	v_perm_b32 v9, v9, v10, s22
	s_waitcnt vmcnt(14)
	v_pk_mul_f32 v[10:11], v[12:13], v[18:19] op_sel_hi:[0,1]
	ds_write2st64_b64 v39, v[14:15], v[8:9] offset1:1
	s_waitcnt vmcnt(12)
	v_pk_mul_f32 v[8:9], v[12:13], v[26:27] op_sel_hi:[0,1]
	v_bfe_u32 v13, v11, 16, 1
	v_bfe_u32 v14, v10, 16, 1
	buffer_store_dword v10, off, s[0:3], 0 offset:288
	buffer_store_dword v11, off, s[0:3], 0 offset:292
	;; [unrolled: 1-line block ×4, first 2 shown]
	v_add3_u32 v10, v10, v14, s21
	v_add3_u32 v11, v11, v13, s21
	v_perm_b32 v10, v11, v10, s22
	v_bfe_u32 v11, v9, 16, 1
	v_bfe_u32 v13, v8, 16, 1
	v_add3_u32 v8, v8, v13, s21
	v_add3_u32 v9, v9, v11, s21
	s_waitcnt vmcnt(14)
	v_pk_mul_f32 v[2:3], v[12:13], v[2:3] op_sel_hi:[0,1]
	v_perm_b32 v11, v9, v8, s22
	v_bfe_u32 v8, v3, 16, 1
	v_bfe_u32 v9, v2, 16, 1
	s_waitcnt vmcnt(12)
	v_pk_mul_f32 v[4:5], v[12:13], v[4:5] op_sel_hi:[0,1]
	buffer_store_dword v2, off, s[0:3], 0 offset:304
	buffer_store_dword v3, off, s[0:3], 0 offset:308
	;; [unrolled: 1-line block ×4, first 2 shown]
	v_add3_u32 v2, v2, v9, s21
	v_add3_u32 v3, v3, v8, s21
	v_perm_b32 v2, v3, v2, s22
	v_bfe_u32 v3, v5, 16, 1
	v_bfe_u32 v8, v4, 16, 1
	v_add3_u32 v4, v4, v8, s21
	v_add3_u32 v3, v5, v3, s21
	v_perm_b32 v3, v3, v4, s22
	ds_write2st64_b64 v39, v[10:11], v[2:3] offset0:2 offset1:3
	s_and_saveexec_b64 s[4:5], vcc
	s_cbranch_execz .LBB961_209
; %bb.208:
	v_or_b32_e32 v2, s27, v0
	v_mov_b32_e32 v3, 0
	v_mov_b32_e32 v4, s20
	v_mad_u64_u32 v[4:5], s[10:11], s8, v4, v[2:3]
	v_mov_b32_e32 v2, s26
	s_mul_i32 s9, s9, s20
	v_mad_u64_u32 v[2:3], s[10:11], v4, s54, v[2:3]
	v_add_u32_e32 v5, s9, v5
	v_mov_b32_e32 v4, v3
	v_mad_u64_u32 v[4:5], s[10:11], v5, s54, v[4:5]
	v_mov_b32_e32 v3, v4
	v_lshlrev_b64 v[2:3], 2, v[2:3]
	v_mov_b32_e32 v5, s47
	v_add_co_u32_e32 v4, vcc, s46, v2
	v_addc_co_u32_e32 v5, vcc, v5, v3, vcc
	global_store_dword v[4:5], v20, off
	v_mov_b32_e32 v4, s45
	v_add_co_u32_e32 v2, vcc, s44, v2
	v_addc_co_u32_e32 v3, vcc, v4, v3, vcc
	global_store_dword v[2:3], v6, off
.LBB961_209:
	s_or_b64 exec, exec, s[4:5]
	v_lshl_or_b32 v30, v65, 9, v7
	s_waitcnt lgkmcnt(0)
	s_barrier
	s_load_dword s4, s[50:51], 0x0
	ds_read_b128 v[2:5], v30
	ds_read_b128 v[6:9], v30 offset:16
	ds_read_b128 v[10:13], v30 offset:2048
	;; [unrolled: 1-line block ×7, first 2 shown]
	v_mov_b32_e32 v35, 0x80
	v_mov_b32_e32 v41, 0x140
	s_mov_b64 s[12:13], -1
	s_waitcnt lgkmcnt(0)
	s_mov_b32 s5, s4
	s_mov_b32 s10, s4
	;; [unrolled: 1-line block ×3, first 2 shown]
	s_movk_i32 s9, 0x80
	s_movk_i32 s23, 0x7f
	s_mov_b32 s24, 0xffffff
	s_mov_b32 s25, 0x5040100
	v_mov_b32_e32 v43, 0
	v_bfrev_b32_e32 v45, 60
	s_branch .LBB961_213
.LBB961_210:                            ;   in Loop: Header=BB961_213 Depth=1
	s_or_b64 exec, exec, s[18:19]
.LBB961_211:                            ;   in Loop: Header=BB961_213 Depth=1
	s_or_b64 exec, exec, s[16:17]
.LBB961_212:                            ;   in Loop: Header=BB961_213 Depth=1
	s_or_b64 exec, exec, s[14:15]
	v_perm_b32 v47, v49, v47, s25
	v_perm_b32 v46, v44, v46, s25
	s_xor_b64 s[14:15], s[12:13], -1
	s_mov_b64 s[12:13], 0
	v_mov_b32_e32 v64, v59
	v_mfma_f32_16x16x16bf16_1k v[66:69], v[46:47], v[30:31], v[34:37]
	s_and_b64 vcc, exec, s[14:15]
	v_mov_b32_e32 v63, v60
	v_mov_b32_e32 v62, v61
	s_nop 3
	v_perm_b32 v37, v51, v50, s25
	v_perm_b32 v36, v42, v48, s25
	v_mov_b32_e32 v35, v58
	s_nop 0
	v_mfma_f32_16x16x16bf16_1k v[46:49], v[36:37], v[32:33], v[66:69]
	s_nop 7
	s_nop 2
	v_pk_mul_f32 v[46:47], v[46:47], s[4:5]
	v_pk_mul_f32 v[36:37], v[48:49], s[10:11]
	v_bfe_u32 v34, v47, 16, 1
	v_bfe_u32 v38, v46, 16, 1
	;; [unrolled: 1-line block ×4, first 2 shown]
	v_add3_u32 v38, v46, v38, s21
	v_add3_u32 v34, v47, v34, s21
	;; [unrolled: 1-line block ×4, first 2 shown]
	v_perm_b32 v34, v34, v38, s22
	v_perm_b32 v36, v37, v36, s22
	buffer_store_dword v34, v41, s[0:3], 0 offen
	buffer_store_dword v36, v41, s[0:3], 0 offen offset:4
	v_mov_b32_e32 v41, 0x148
	s_cbranch_vccnz .LBB961_595
.LBB961_213:                            ; =>This Inner Loop Header: Depth=1
	buffer_load_dword v36, v35, s[0:3], 0 offen
	buffer_load_dword v34, v35, s[0:3], 0 offen offset:4
	buffer_load_dword v40, v35, s[0:3], 0 offen offset:8
	;; [unrolled: 1-line block ×3, first 2 shown]
	v_mov_b32_e32 v35, 0
	s_waitcnt vmcnt(3)
	v_cmp_ne_u16_sdwa s[16:17], v36, v43 src0_sel:BYTE_0 src1_sel:DWORD
	s_and_saveexec_b64 s[14:15], s[16:17]
	s_cbranch_execz .LBB961_219
; %bb.214:                              ;   in Loop: Header=BB961_213 Depth=1
	v_cmp_ne_u16_sdwa s[18:19], v36, s9 src0_sel:BYTE_0 src1_sel:DWORD
	v_mov_b32_e32 v35, 0xffff8000
	s_and_saveexec_b64 s[16:17], s[18:19]
	s_cbranch_execz .LBB961_218
; %bb.215:                              ;   in Loop: Header=BB961_213 Depth=1
	v_and_b32_e32 v37, 0x7f, v36
	v_cmp_ne_u32_e32 vcc, s23, v37
	v_mov_b32_e32 v35, 0x7f80
	s_and_saveexec_b64 s[18:19], vcc
	s_cbranch_execz .LBB961_217
; %bb.216:                              ;   in Loop: Header=BB961_213 Depth=1
	v_and_b32_e32 v35, 7, v36
	v_ffbh_u32_e32 v44, v35
	v_min_u32_e32 v44, 32, v44
	v_subrev_u32_e32 v46, 28, v44
	v_lshlrev_b64 v[46:47], v46, v[36:37]
	v_lshrrev_b32_e32 v42, 3, v37
	v_sub_u32_e32 v44, 29, v44
	v_and_b32_e32 v46, 7, v46
	v_cmp_gt_u32_e32 vcc, 8, v37
	v_cndmask_b32_e32 v37, v42, v44, vcc
	v_cndmask_b32_e32 v35, v35, v46, vcc
	v_lshlrev_b32_e32 v42, 24, v36
	v_lshlrev_b32_e32 v35, 20, v35
	v_and_b32_e32 v42, 0x80000000, v42
	v_lshl_add_u32 v37, v37, 23, v45
	v_or3_b32 v35, v42, v37, v35
	v_lshrrev_b32_e32 v35, 16, v35
.LBB961_217:                            ;   in Loop: Header=BB961_213 Depth=1
	s_or_b64 exec, exec, s[18:19]
.LBB961_218:                            ;   in Loop: Header=BB961_213 Depth=1
	s_or_b64 exec, exec, s[16:17]
.LBB961_219:                            ;   in Loop: Header=BB961_213 Depth=1
	s_or_b64 exec, exec, s[14:15]
	v_lshrrev_b16_e32 v42, 8, v36
	v_cmp_ne_u16_e32 vcc, 0, v42
	v_mov_b32_e32 v46, 0
	v_mov_b32_e32 v37, 0
	s_and_saveexec_b64 s[14:15], vcc
	s_cbranch_execz .LBB961_225
; %bb.220:                              ;   in Loop: Header=BB961_213 Depth=1
	v_cmp_ne_u16_e32 vcc, s9, v42
	v_mov_b32_e32 v37, 0xffff8000
	s_and_saveexec_b64 s[16:17], vcc
	s_cbranch_execz .LBB961_224
; %bb.221:                              ;   in Loop: Header=BB961_213 Depth=1
	v_and_b32_e32 v44, 0x7f, v42
	v_cmp_ne_u32_e32 vcc, s23, v44
	v_mov_b32_e32 v37, 0x7f80
	s_and_saveexec_b64 s[18:19], vcc
	s_cbranch_execz .LBB961_223
; %bb.222:                              ;   in Loop: Header=BB961_213 Depth=1
	v_and_b32_e32 v37, 7, v42
	v_ffbh_u32_e32 v48, v37
	v_min_u32_e32 v50, 32, v48
	v_subrev_u32_e32 v48, 28, v50
	v_lshlrev_b64 v[48:49], v48, v[42:43]
	v_lshrrev_b32_e32 v47, 3, v44
	v_sub_u32_e32 v42, 29, v50
	v_and_b32_e32 v48, 7, v48
	v_cmp_gt_u32_e32 vcc, 8, v44
	v_cndmask_b32_e32 v42, v47, v42, vcc
	v_cndmask_b32_e32 v37, v37, v48, vcc
	v_lshlrev_b32_e32 v44, 16, v36
	v_lshlrev_b32_e32 v37, 20, v37
	v_and_b32_e32 v44, 0x80000000, v44
	v_lshl_add_u32 v42, v42, 23, v45
	v_or3_b32 v37, v44, v42, v37
	v_lshrrev_b32_e32 v37, 16, v37
.LBB961_223:                            ;   in Loop: Header=BB961_213 Depth=1
	s_or_b64 exec, exec, s[18:19]
.LBB961_224:                            ;   in Loop: Header=BB961_213 Depth=1
	s_or_b64 exec, exec, s[16:17]
.LBB961_225:                            ;   in Loop: Header=BB961_213 Depth=1
	s_or_b64 exec, exec, s[14:15]
	v_lshrrev_b32_e32 v42, 16, v36
	v_cmp_ne_u16_sdwa s[16:17], v42, v43 src0_sel:BYTE_0 src1_sel:DWORD
	s_and_saveexec_b64 s[14:15], s[16:17]
	s_cbranch_execz .LBB961_231
; %bb.226:                              ;   in Loop: Header=BB961_213 Depth=1
	v_cmp_ne_u16_sdwa s[18:19], v42, s9 src0_sel:BYTE_0 src1_sel:DWORD
	v_mov_b32_e32 v46, 0xffff8000
	s_and_saveexec_b64 s[16:17], s[18:19]
	s_cbranch_execz .LBB961_230
; %bb.227:                              ;   in Loop: Header=BB961_213 Depth=1
	v_bfe_u32 v44, v36, 16, 7
	v_cmp_ne_u32_e32 vcc, s23, v44
	v_mov_b32_e32 v46, 0x7f80
	s_and_saveexec_b64 s[18:19], vcc
	s_cbranch_execz .LBB961_229
; %bb.228:                              ;   in Loop: Header=BB961_213 Depth=1
	v_and_b32_e32 v48, 7, v42
	v_ffbh_u32_e32 v46, v48
	v_min_u32_e32 v50, 32, v46
	v_subrev_u32_e32 v46, 28, v50
	v_lshlrev_b64 v[46:47], v46, v[42:43]
	v_lshrrev_b32_e32 v49, 3, v44
	v_sub_u32_e32 v47, 29, v50
	v_and_b32_e32 v46, 7, v46
	v_cmp_gt_u32_e32 vcc, 8, v44
	v_cndmask_b32_e32 v44, v49, v47, vcc
	v_cndmask_b32_e32 v46, v48, v46, vcc
	v_lshlrev_b32_e32 v42, 24, v42
	v_lshlrev_b32_e32 v46, 20, v46
	v_and_b32_e32 v42, 0x80000000, v42
	v_lshl_add_u32 v44, v44, 23, v45
	v_or3_b32 v42, v42, v44, v46
	v_lshrrev_b32_e32 v46, 16, v42
.LBB961_229:                            ;   in Loop: Header=BB961_213 Depth=1
	s_or_b64 exec, exec, s[18:19]
.LBB961_230:                            ;   in Loop: Header=BB961_213 Depth=1
	s_or_b64 exec, exec, s[16:17]
.LBB961_231:                            ;   in Loop: Header=BB961_213 Depth=1
	s_or_b64 exec, exec, s[14:15]
	v_cmp_lt_u32_e32 vcc, s24, v36
	v_mov_b32_e32 v47, 0
	v_mov_b32_e32 v48, 0
	s_and_saveexec_b64 s[14:15], vcc
	s_cbranch_execz .LBB961_237
; %bb.232:                              ;   in Loop: Header=BB961_213 Depth=1
	v_lshrrev_b32_e32 v42, 24, v36
	v_cmp_ne_u32_e32 vcc, s9, v42
	v_mov_b32_e32 v48, 0xffff8000
	s_and_saveexec_b64 s[16:17], vcc
	s_cbranch_execz .LBB961_236
; %bb.233:                              ;   in Loop: Header=BB961_213 Depth=1
	v_bfe_u32 v36, v36, 24, 7
	v_cmp_ne_u32_e32 vcc, s23, v36
	v_mov_b32_e32 v48, 0x7f80
	s_and_saveexec_b64 s[18:19], vcc
	s_cbranch_execz .LBB961_235
; %bb.234:                              ;   in Loop: Header=BB961_213 Depth=1
	v_and_b32_e32 v44, 7, v42
	v_ffbh_u32_e32 v48, v44
	v_min_u32_e32 v51, 32, v48
	v_subrev_u32_e32 v48, 28, v51
	v_lshlrev_b64 v[48:49], v48, v[42:43]
	v_lshrrev_b32_e32 v50, 3, v36
	v_sub_u32_e32 v49, 29, v51
	v_and_b32_e32 v48, 7, v48
	v_cmp_gt_u32_e32 vcc, 8, v36
	v_cndmask_b32_e32 v36, v50, v49, vcc
	v_cndmask_b32_e32 v44, v44, v48, vcc
	v_lshlrev_b32_e32 v42, 24, v42
	v_lshlrev_b32_e32 v44, 20, v44
	v_and_b32_e32 v42, 0x80000000, v42
	v_lshl_add_u32 v36, v36, 23, v45
	v_or3_b32 v36, v42, v36, v44
	v_lshrrev_b32_e32 v48, 16, v36
.LBB961_235:                            ;   in Loop: Header=BB961_213 Depth=1
	s_or_b64 exec, exec, s[18:19]
.LBB961_236:                            ;   in Loop: Header=BB961_213 Depth=1
	s_or_b64 exec, exec, s[16:17]
.LBB961_237:                            ;   in Loop: Header=BB961_213 Depth=1
	s_or_b64 exec, exec, s[14:15]
	s_waitcnt vmcnt(2)
	v_cmp_ne_u16_sdwa s[16:17], v34, v43 src0_sel:BYTE_0 src1_sel:DWORD
	s_and_saveexec_b64 s[14:15], s[16:17]
	s_cbranch_execz .LBB961_243
; %bb.238:                              ;   in Loop: Header=BB961_213 Depth=1
	v_cmp_ne_u16_sdwa s[18:19], v34, s9 src0_sel:BYTE_0 src1_sel:DWORD
	v_mov_b32_e32 v47, 0xffff8000
	s_and_saveexec_b64 s[16:17], s[18:19]
	s_cbranch_execz .LBB961_242
; %bb.239:                              ;   in Loop: Header=BB961_213 Depth=1
	v_and_b32_e32 v36, 0x7f, v34
	v_cmp_ne_u32_e32 vcc, s23, v36
	v_mov_b32_e32 v47, 0x7f80
	s_and_saveexec_b64 s[18:19], vcc
	s_cbranch_execz .LBB961_241
; %bb.240:                              ;   in Loop: Header=BB961_213 Depth=1
	v_and_b32_e32 v42, 7, v34
	v_ffbh_u32_e32 v47, v42
	v_min_u32_e32 v47, 32, v47
	v_subrev_u32_e32 v49, 28, v47
	v_lshlrev_b64 v[50:51], v49, v[34:35]
	v_lshrrev_b32_e32 v44, 3, v36
	v_sub_u32_e32 v47, 29, v47
	v_and_b32_e32 v49, 7, v50
	v_cmp_gt_u32_e32 vcc, 8, v36
	v_cndmask_b32_e32 v36, v44, v47, vcc
	v_cndmask_b32_e32 v42, v42, v49, vcc
	v_lshlrev_b32_e32 v44, 24, v34
	v_lshlrev_b32_e32 v42, 20, v42
	v_and_b32_e32 v44, 0x80000000, v44
	v_lshl_add_u32 v36, v36, 23, v45
	v_or3_b32 v36, v44, v36, v42
	v_lshrrev_b32_e32 v47, 16, v36
.LBB961_241:                            ;   in Loop: Header=BB961_213 Depth=1
	s_or_b64 exec, exec, s[18:19]
.LBB961_242:                            ;   in Loop: Header=BB961_213 Depth=1
	s_or_b64 exec, exec, s[16:17]
.LBB961_243:                            ;   in Loop: Header=BB961_213 Depth=1
	s_or_b64 exec, exec, s[14:15]
	v_lshrrev_b16_e32 v36, 8, v34
	v_cmp_ne_u16_e32 vcc, 0, v36
	v_mov_b32_e32 v49, 0
	v_mov_b32_e32 v42, 0
	s_and_saveexec_b64 s[14:15], vcc
	s_cbranch_execz .LBB961_249
; %bb.244:                              ;   in Loop: Header=BB961_213 Depth=1
	v_cmp_ne_u16_e32 vcc, s9, v36
	v_mov_b32_e32 v42, 0xffff8000
	s_and_saveexec_b64 s[16:17], vcc
	s_cbranch_execz .LBB961_248
; %bb.245:                              ;   in Loop: Header=BB961_213 Depth=1
	v_and_b32_e32 v44, 0x7f, v36
	v_cmp_ne_u32_e32 vcc, s23, v44
	v_mov_b32_e32 v42, 0x7f80
	s_and_saveexec_b64 s[18:19], vcc
	s_cbranch_execz .LBB961_247
; %bb.246:                              ;   in Loop: Header=BB961_213 Depth=1
	v_and_b32_e32 v42, 7, v36
	v_ffbh_u32_e32 v50, v42
	v_min_u32_e32 v53, 32, v50
	v_subrev_u32_e32 v50, 28, v53
	v_lshlrev_b64 v[50:51], v50, v[36:37]
	v_lshrrev_b32_e32 v52, 3, v44
	v_sub_u32_e32 v36, 29, v53
	v_and_b32_e32 v50, 7, v50
	v_cmp_gt_u32_e32 vcc, 8, v44
	v_cndmask_b32_e32 v36, v52, v36, vcc
	v_cndmask_b32_e32 v42, v42, v50, vcc
	v_lshlrev_b32_e32 v44, 16, v34
	v_lshlrev_b32_e32 v42, 20, v42
	v_and_b32_e32 v44, 0x80000000, v44
	v_lshl_add_u32 v36, v36, 23, v45
	v_or3_b32 v36, v44, v36, v42
	v_lshrrev_b32_e32 v42, 16, v36
.LBB961_247:                            ;   in Loop: Header=BB961_213 Depth=1
	s_or_b64 exec, exec, s[18:19]
.LBB961_248:                            ;   in Loop: Header=BB961_213 Depth=1
	s_or_b64 exec, exec, s[16:17]
.LBB961_249:                            ;   in Loop: Header=BB961_213 Depth=1
	s_or_b64 exec, exec, s[14:15]
	v_lshrrev_b32_e32 v36, 16, v34
	v_cmp_ne_u16_sdwa s[16:17], v36, v43 src0_sel:BYTE_0 src1_sel:DWORD
	s_and_saveexec_b64 s[14:15], s[16:17]
	s_cbranch_execz .LBB961_255
; %bb.250:                              ;   in Loop: Header=BB961_213 Depth=1
	v_cmp_ne_u16_sdwa s[18:19], v36, s9 src0_sel:BYTE_0 src1_sel:DWORD
	v_mov_b32_e32 v49, 0xffff8000
	s_and_saveexec_b64 s[16:17], s[18:19]
	s_cbranch_execz .LBB961_254
; %bb.251:                              ;   in Loop: Header=BB961_213 Depth=1
	v_bfe_u32 v44, v34, 16, 7
	v_cmp_ne_u32_e32 vcc, s23, v44
	v_mov_b32_e32 v49, 0x7f80
	s_and_saveexec_b64 s[18:19], vcc
	s_cbranch_execz .LBB961_253
; %bb.252:                              ;   in Loop: Header=BB961_213 Depth=1
	v_and_b32_e32 v49, 7, v36
	v_ffbh_u32_e32 v50, v49
	v_min_u32_e32 v53, 32, v50
	v_subrev_u32_e32 v50, 28, v53
	v_lshlrev_b64 v[50:51], v50, v[36:37]
	v_lshrrev_b32_e32 v52, 3, v44
	v_sub_u32_e32 v51, 29, v53
	v_and_b32_e32 v50, 7, v50
	v_cmp_gt_u32_e32 vcc, 8, v44
	v_cndmask_b32_e32 v44, v52, v51, vcc
	v_cndmask_b32_e32 v49, v49, v50, vcc
	v_lshlrev_b32_e32 v36, 24, v36
	v_lshlrev_b32_e32 v49, 20, v49
	v_and_b32_e32 v36, 0x80000000, v36
	v_lshl_add_u32 v44, v44, 23, v45
	v_or3_b32 v36, v36, v44, v49
	v_lshrrev_b32_e32 v49, 16, v36
.LBB961_253:                            ;   in Loop: Header=BB961_213 Depth=1
	s_or_b64 exec, exec, s[18:19]
.LBB961_254:                            ;   in Loop: Header=BB961_213 Depth=1
	s_or_b64 exec, exec, s[16:17]
.LBB961_255:                            ;   in Loop: Header=BB961_213 Depth=1
	s_or_b64 exec, exec, s[14:15]
	v_cmp_lt_u32_e32 vcc, s24, v34
	v_mov_b32_e32 v44, 0
	v_mov_b32_e32 v50, 0
	s_and_saveexec_b64 s[14:15], vcc
	s_cbranch_execz .LBB961_261
; %bb.256:                              ;   in Loop: Header=BB961_213 Depth=1
	v_lshrrev_b32_e32 v36, 24, v34
	v_cmp_ne_u32_e32 vcc, s9, v36
	v_mov_b32_e32 v50, 0xffff8000
	s_and_saveexec_b64 s[16:17], vcc
	s_cbranch_execz .LBB961_260
; %bb.257:                              ;   in Loop: Header=BB961_213 Depth=1
	v_bfe_u32 v34, v34, 24, 7
	v_cmp_ne_u32_e32 vcc, s23, v34
	v_mov_b32_e32 v50, 0x7f80
	s_and_saveexec_b64 s[18:19], vcc
	s_cbranch_execz .LBB961_259
; %bb.258:                              ;   in Loop: Header=BB961_213 Depth=1
	v_and_b32_e32 v52, 7, v36
	v_ffbh_u32_e32 v50, v52
	v_min_u32_e32 v65, 32, v50
	v_subrev_u32_e32 v50, 28, v65
	v_lshlrev_b64 v[50:51], v50, v[36:37]
	v_lshrrev_b32_e32 v53, 3, v34
	v_sub_u32_e32 v51, 29, v65
	v_and_b32_e32 v50, 7, v50
	v_cmp_gt_u32_e32 vcc, 8, v34
	v_cndmask_b32_e32 v34, v53, v51, vcc
	v_cndmask_b32_e32 v50, v52, v50, vcc
	v_lshlrev_b32_e32 v36, 24, v36
	v_lshlrev_b32_e32 v50, 20, v50
	v_and_b32_e32 v36, 0x80000000, v36
	v_lshl_add_u32 v34, v34, 23, v45
	v_or3_b32 v34, v36, v34, v50
	v_lshrrev_b32_e32 v50, 16, v34
.LBB961_259:                            ;   in Loop: Header=BB961_213 Depth=1
	s_or_b64 exec, exec, s[18:19]
.LBB961_260:                            ;   in Loop: Header=BB961_213 Depth=1
	s_or_b64 exec, exec, s[16:17]
.LBB961_261:                            ;   in Loop: Header=BB961_213 Depth=1
	s_or_b64 exec, exec, s[14:15]
	v_perm_b32 v53, v48, v46, s25
	v_perm_b32 v52, v37, v35, s25
	;; [unrolled: 1-line block ×4, first 2 shown]
	s_waitcnt vmcnt(1)
	v_cmp_ne_u16_sdwa s[16:17], v40, v43 src0_sel:BYTE_0 src1_sel:DWORD
	v_mfma_f32_16x16x16bf16_1k v[34:37], v[52:53], v[2:3], 0
	v_mfma_f32_16x16x16bf16_1k v[34:37], v[48:49], v[4:5], v[34:37]
	s_and_saveexec_b64 s[14:15], s[16:17]
	s_cbranch_execz .LBB961_267
; %bb.262:                              ;   in Loop: Header=BB961_213 Depth=1
	v_cmp_ne_u16_sdwa s[18:19], v40, s9 src0_sel:BYTE_0 src1_sel:DWORD
	v_mov_b32_e32 v44, 0xffff8000
	s_and_saveexec_b64 s[16:17], s[18:19]
	s_cbranch_execz .LBB961_266
; %bb.263:                              ;   in Loop: Header=BB961_213 Depth=1
	v_and_b32_e32 v42, 0x7f, v40
	v_cmp_ne_u32_e32 vcc, s23, v42
	v_mov_b32_e32 v44, 0x7f80
	s_and_saveexec_b64 s[18:19], vcc
	s_cbranch_execz .LBB961_265
; %bb.264:                              ;   in Loop: Header=BB961_213 Depth=1
	v_and_b32_e32 v44, 7, v40
	v_ffbh_u32_e32 v46, v44
	v_min_u32_e32 v49, 32, v46
	v_subrev_u32_e32 v46, 28, v49
	v_lshlrev_b64 v[46:47], v46, v[40:41]
	v_lshrrev_b32_e32 v48, 3, v42
	v_sub_u32_e32 v47, 29, v49
	v_and_b32_e32 v46, 7, v46
	v_cmp_gt_u32_e32 vcc, 8, v42
	v_cndmask_b32_e32 v42, v48, v47, vcc
	v_cndmask_b32_e32 v44, v44, v46, vcc
	v_lshlrev_b32_e32 v46, 24, v40
	v_lshlrev_b32_e32 v44, 20, v44
	v_and_b32_e32 v46, 0x80000000, v46
	v_lshl_add_u32 v42, v42, 23, v45
	v_or3_b32 v42, v46, v42, v44
	v_lshrrev_b32_e32 v44, 16, v42
.LBB961_265:                            ;   in Loop: Header=BB961_213 Depth=1
	s_or_b64 exec, exec, s[18:19]
.LBB961_266:                            ;   in Loop: Header=BB961_213 Depth=1
	s_or_b64 exec, exec, s[16:17]
.LBB961_267:                            ;   in Loop: Header=BB961_213 Depth=1
	s_or_b64 exec, exec, s[14:15]
	v_lshrrev_b16_e32 v42, 8, v40
	v_cmp_ne_u16_e32 vcc, 0, v42
	v_mov_b32_e32 v48, 0
	v_mov_b32_e32 v46, 0
	s_and_saveexec_b64 s[14:15], vcc
	s_cbranch_execz .LBB961_273
; %bb.268:                              ;   in Loop: Header=BB961_213 Depth=1
	v_cmp_ne_u16_e32 vcc, s9, v42
	v_mov_b32_e32 v46, 0xffff8000
	s_and_saveexec_b64 s[16:17], vcc
	s_cbranch_execz .LBB961_272
; %bb.269:                              ;   in Loop: Header=BB961_213 Depth=1
	v_and_b32_e32 v47, 0x7f, v42
	v_cmp_ne_u32_e32 vcc, s23, v47
	v_mov_b32_e32 v46, 0x7f80
	s_and_saveexec_b64 s[18:19], vcc
	s_cbranch_execz .LBB961_271
; %bb.270:                              ;   in Loop: Header=BB961_213 Depth=1
	v_and_b32_e32 v46, 7, v42
	v_ffbh_u32_e32 v50, v46
	v_min_u32_e32 v52, 32, v50
	v_subrev_u32_e32 v50, 28, v52
	v_lshlrev_b64 v[50:51], v50, v[42:43]
	v_lshrrev_b32_e32 v49, 3, v47
	v_sub_u32_e32 v42, 29, v52
	v_and_b32_e32 v50, 7, v50
	v_cmp_gt_u32_e32 vcc, 8, v47
	v_cndmask_b32_e32 v42, v49, v42, vcc
	v_cndmask_b32_e32 v46, v46, v50, vcc
	v_lshlrev_b32_e32 v47, 16, v40
	v_lshlrev_b32_e32 v46, 20, v46
	v_and_b32_e32 v47, 0x80000000, v47
	v_lshl_add_u32 v42, v42, 23, v45
	v_or3_b32 v42, v47, v42, v46
	v_lshrrev_b32_e32 v46, 16, v42
.LBB961_271:                            ;   in Loop: Header=BB961_213 Depth=1
	s_or_b64 exec, exec, s[18:19]
.LBB961_272:                            ;   in Loop: Header=BB961_213 Depth=1
	s_or_b64 exec, exec, s[16:17]
.LBB961_273:                            ;   in Loop: Header=BB961_213 Depth=1
	s_or_b64 exec, exec, s[14:15]
	v_lshrrev_b32_e32 v42, 16, v40
	v_cmp_ne_u16_sdwa s[16:17], v42, v43 src0_sel:BYTE_0 src1_sel:DWORD
	s_and_saveexec_b64 s[14:15], s[16:17]
	s_cbranch_execz .LBB961_279
; %bb.274:                              ;   in Loop: Header=BB961_213 Depth=1
	v_cmp_ne_u16_sdwa s[18:19], v42, s9 src0_sel:BYTE_0 src1_sel:DWORD
	v_mov_b32_e32 v48, 0xffff8000
	s_and_saveexec_b64 s[16:17], s[18:19]
	s_cbranch_execz .LBB961_278
; %bb.275:                              ;   in Loop: Header=BB961_213 Depth=1
	v_bfe_u32 v47, v40, 16, 7
	v_cmp_ne_u32_e32 vcc, s23, v47
	v_mov_b32_e32 v48, 0x7f80
	s_and_saveexec_b64 s[18:19], vcc
	s_cbranch_execz .LBB961_277
; %bb.276:                              ;   in Loop: Header=BB961_213 Depth=1
	v_and_b32_e32 v50, 7, v42
	v_ffbh_u32_e32 v48, v50
	v_min_u32_e32 v52, 32, v48
	v_subrev_u32_e32 v48, 28, v52
	v_lshlrev_b64 v[48:49], v48, v[42:43]
	v_lshrrev_b32_e32 v51, 3, v47
	v_sub_u32_e32 v49, 29, v52
	v_and_b32_e32 v48, 7, v48
	v_cmp_gt_u32_e32 vcc, 8, v47
	v_cndmask_b32_e32 v47, v51, v49, vcc
	v_cndmask_b32_e32 v48, v50, v48, vcc
	v_lshlrev_b32_e32 v42, 24, v42
	v_lshlrev_b32_e32 v48, 20, v48
	v_and_b32_e32 v42, 0x80000000, v42
	v_lshl_add_u32 v47, v47, 23, v45
	v_or3_b32 v42, v42, v47, v48
	v_lshrrev_b32_e32 v48, 16, v42
.LBB961_277:                            ;   in Loop: Header=BB961_213 Depth=1
	s_or_b64 exec, exec, s[18:19]
.LBB961_278:                            ;   in Loop: Header=BB961_213 Depth=1
	s_or_b64 exec, exec, s[16:17]
.LBB961_279:                            ;   in Loop: Header=BB961_213 Depth=1
	s_or_b64 exec, exec, s[14:15]
	v_cmp_lt_u32_e32 vcc, s24, v40
	v_mov_b32_e32 v49, 0
	v_mov_b32_e32 v50, 0
	s_and_saveexec_b64 s[14:15], vcc
	s_cbranch_execz .LBB961_285
; %bb.280:                              ;   in Loop: Header=BB961_213 Depth=1
	v_lshrrev_b32_e32 v42, 24, v40
	v_cmp_ne_u32_e32 vcc, s9, v42
	v_mov_b32_e32 v50, 0xffff8000
	s_and_saveexec_b64 s[16:17], vcc
	s_cbranch_execz .LBB961_284
; %bb.281:                              ;   in Loop: Header=BB961_213 Depth=1
	v_bfe_u32 v40, v40, 24, 7
	v_cmp_ne_u32_e32 vcc, s23, v40
	v_mov_b32_e32 v50, 0x7f80
	s_and_saveexec_b64 s[18:19], vcc
	s_cbranch_execz .LBB961_283
; %bb.282:                              ;   in Loop: Header=BB961_213 Depth=1
	v_and_b32_e32 v47, 7, v42
	v_ffbh_u32_e32 v50, v47
	v_min_u32_e32 v53, 32, v50
	v_subrev_u32_e32 v50, 28, v53
	v_lshlrev_b64 v[50:51], v50, v[42:43]
	v_lshrrev_b32_e32 v52, 3, v40
	v_sub_u32_e32 v51, 29, v53
	v_and_b32_e32 v50, 7, v50
	v_cmp_gt_u32_e32 vcc, 8, v40
	v_cndmask_b32_e32 v40, v52, v51, vcc
	v_cndmask_b32_e32 v47, v47, v50, vcc
	v_lshlrev_b32_e32 v42, 24, v42
	v_lshlrev_b32_e32 v47, 20, v47
	v_and_b32_e32 v42, 0x80000000, v42
	v_lshl_add_u32 v40, v40, 23, v45
	v_or3_b32 v40, v42, v40, v47
	v_lshrrev_b32_e32 v50, 16, v40
.LBB961_283:                            ;   in Loop: Header=BB961_213 Depth=1
	s_or_b64 exec, exec, s[18:19]
.LBB961_284:                            ;   in Loop: Header=BB961_213 Depth=1
	s_or_b64 exec, exec, s[16:17]
.LBB961_285:                            ;   in Loop: Header=BB961_213 Depth=1
	s_or_b64 exec, exec, s[14:15]
	s_waitcnt vmcnt(0)
	v_cmp_ne_u16_sdwa s[16:17], v38, v43 src0_sel:BYTE_0 src1_sel:DWORD
	s_and_saveexec_b64 s[14:15], s[16:17]
	s_cbranch_execz .LBB961_291
; %bb.286:                              ;   in Loop: Header=BB961_213 Depth=1
	v_cmp_ne_u16_sdwa s[18:19], v38, s9 src0_sel:BYTE_0 src1_sel:DWORD
	v_mov_b32_e32 v49, 0xffff8000
	s_and_saveexec_b64 s[16:17], s[18:19]
	s_cbranch_execz .LBB961_290
; %bb.287:                              ;   in Loop: Header=BB961_213 Depth=1
	v_and_b32_e32 v40, 0x7f, v38
	v_cmp_ne_u32_e32 vcc, s23, v40
	v_mov_b32_e32 v49, 0x7f80
	s_and_saveexec_b64 s[18:19], vcc
	s_cbranch_execz .LBB961_289
; %bb.288:                              ;   in Loop: Header=BB961_213 Depth=1
	v_and_b32_e32 v42, 7, v38
	v_ffbh_u32_e32 v49, v42
	v_min_u32_e32 v49, 32, v49
	v_subrev_u32_e32 v51, 28, v49
	v_lshlrev_b64 v[52:53], v51, v[38:39]
	v_lshrrev_b32_e32 v47, 3, v40
	v_sub_u32_e32 v49, 29, v49
	v_and_b32_e32 v51, 7, v52
	v_cmp_gt_u32_e32 vcc, 8, v40
	v_cndmask_b32_e32 v40, v47, v49, vcc
	v_cndmask_b32_e32 v42, v42, v51, vcc
	v_lshlrev_b32_e32 v47, 24, v38
	v_lshlrev_b32_e32 v42, 20, v42
	v_and_b32_e32 v47, 0x80000000, v47
	v_lshl_add_u32 v40, v40, 23, v45
	v_or3_b32 v40, v47, v40, v42
	v_lshrrev_b32_e32 v49, 16, v40
.LBB961_289:                            ;   in Loop: Header=BB961_213 Depth=1
	s_or_b64 exec, exec, s[18:19]
.LBB961_290:                            ;   in Loop: Header=BB961_213 Depth=1
	s_or_b64 exec, exec, s[16:17]
.LBB961_291:                            ;   in Loop: Header=BB961_213 Depth=1
	s_or_b64 exec, exec, s[14:15]
	v_lshrrev_b16_e32 v40, 8, v38
	v_cmp_ne_u16_e32 vcc, 0, v40
	v_mov_b32_e32 v52, 0
	v_mov_b32_e32 v51, 0
	s_and_saveexec_b64 s[14:15], vcc
	s_cbranch_execz .LBB961_297
; %bb.292:                              ;   in Loop: Header=BB961_213 Depth=1
	v_cmp_ne_u16_e32 vcc, s9, v40
	v_mov_b32_e32 v51, 0xffff8000
	s_and_saveexec_b64 s[16:17], vcc
	s_cbranch_execz .LBB961_296
; %bb.293:                              ;   in Loop: Header=BB961_213 Depth=1
	v_and_b32_e32 v42, 0x7f, v40
	v_cmp_ne_u32_e32 vcc, s23, v42
	v_mov_b32_e32 v51, 0x7f80
	s_and_saveexec_b64 s[18:19], vcc
	s_cbranch_execz .LBB961_295
; %bb.294:                              ;   in Loop: Header=BB961_213 Depth=1
	v_and_b32_e32 v47, 7, v40
	v_ffbh_u32_e32 v53, v47
	v_min_u32_e32 v53, 32, v53
	v_subrev_u32_e32 v65, 28, v53
	v_lshlrev_b64 v[66:67], v65, v[40:41]
	v_lshrrev_b32_e32 v51, 3, v42
	v_sub_u32_e32 v40, 29, v53
	v_and_b32_e32 v53, 7, v66
	v_cmp_gt_u32_e32 vcc, 8, v42
	v_cndmask_b32_e32 v40, v51, v40, vcc
	v_cndmask_b32_e32 v42, v47, v53, vcc
	v_lshlrev_b32_e32 v47, 16, v38
	v_lshlrev_b32_e32 v42, 20, v42
	v_and_b32_e32 v47, 0x80000000, v47
	v_lshl_add_u32 v40, v40, 23, v45
	v_or3_b32 v40, v47, v40, v42
	v_lshrrev_b32_e32 v51, 16, v40
.LBB961_295:                            ;   in Loop: Header=BB961_213 Depth=1
	s_or_b64 exec, exec, s[18:19]
.LBB961_296:                            ;   in Loop: Header=BB961_213 Depth=1
	s_or_b64 exec, exec, s[16:17]
.LBB961_297:                            ;   in Loop: Header=BB961_213 Depth=1
	s_or_b64 exec, exec, s[14:15]
	v_lshrrev_b32_e32 v40, 16, v38
	v_cmp_ne_u16_sdwa s[16:17], v40, v43 src0_sel:BYTE_0 src1_sel:DWORD
	s_and_saveexec_b64 s[14:15], s[16:17]
	s_cbranch_execz .LBB961_303
; %bb.298:                              ;   in Loop: Header=BB961_213 Depth=1
	v_cmp_ne_u16_sdwa s[18:19], v40, s9 src0_sel:BYTE_0 src1_sel:DWORD
	v_mov_b32_e32 v52, 0xffff8000
	s_and_saveexec_b64 s[16:17], s[18:19]
	s_cbranch_execz .LBB961_302
; %bb.299:                              ;   in Loop: Header=BB961_213 Depth=1
	v_bfe_u32 v42, v38, 16, 7
	v_cmp_ne_u32_e32 vcc, s23, v42
	v_mov_b32_e32 v52, 0x7f80
	s_and_saveexec_b64 s[18:19], vcc
	s_cbranch_execz .LBB961_301
; %bb.300:                              ;   in Loop: Header=BB961_213 Depth=1
	v_and_b32_e32 v47, 7, v40
	v_ffbh_u32_e32 v52, v47
	v_min_u32_e32 v66, 32, v52
	v_subrev_u32_e32 v52, 28, v66
	v_lshlrev_b64 v[52:53], v52, v[40:41]
	v_lshrrev_b32_e32 v65, 3, v42
	v_sub_u32_e32 v53, 29, v66
	v_and_b32_e32 v52, 7, v52
	v_cmp_gt_u32_e32 vcc, 8, v42
	v_cndmask_b32_e32 v42, v65, v53, vcc
	v_cndmask_b32_e32 v47, v47, v52, vcc
	v_lshlrev_b32_e32 v40, 24, v40
	v_lshlrev_b32_e32 v47, 20, v47
	v_and_b32_e32 v40, 0x80000000, v40
	v_lshl_add_u32 v42, v42, 23, v45
	v_or3_b32 v40, v40, v42, v47
	v_lshrrev_b32_e32 v52, 16, v40
.LBB961_301:                            ;   in Loop: Header=BB961_213 Depth=1
	s_or_b64 exec, exec, s[18:19]
.LBB961_302:                            ;   in Loop: Header=BB961_213 Depth=1
	s_or_b64 exec, exec, s[16:17]
.LBB961_303:                            ;   in Loop: Header=BB961_213 Depth=1
	s_or_b64 exec, exec, s[14:15]
	v_cmp_lt_u32_e32 vcc, s24, v38
	v_mov_b32_e32 v47, 0
	v_mov_b32_e32 v53, 0
	s_and_saveexec_b64 s[14:15], vcc
	s_cbranch_execz .LBB961_309
; %bb.304:                              ;   in Loop: Header=BB961_213 Depth=1
	v_lshrrev_b32_e32 v40, 24, v38
	v_cmp_ne_u32_e32 vcc, s9, v40
	v_mov_b32_e32 v53, 0xffff8000
	s_and_saveexec_b64 s[16:17], vcc
	s_cbranch_execz .LBB961_308
; %bb.305:                              ;   in Loop: Header=BB961_213 Depth=1
	v_bfe_u32 v38, v38, 24, 7
	v_cmp_ne_u32_e32 vcc, s23, v38
	v_mov_b32_e32 v53, 0x7f80
	s_and_saveexec_b64 s[18:19], vcc
	s_cbranch_execz .LBB961_307
; %bb.306:                              ;   in Loop: Header=BB961_213 Depth=1
	v_and_b32_e32 v42, 7, v40
	v_ffbh_u32_e32 v65, v42
	v_min_u32_e32 v65, 32, v65
	v_subrev_u32_e32 v66, 28, v65
	v_lshlrev_b64 v[66:67], v66, v[40:41]
	v_lshrrev_b32_e32 v53, 3, v38
	v_sub_u32_e32 v65, 29, v65
	v_and_b32_e32 v66, 7, v66
	v_cmp_gt_u32_e32 vcc, 8, v38
	v_cndmask_b32_e32 v38, v53, v65, vcc
	v_cndmask_b32_e32 v42, v42, v66, vcc
	v_lshlrev_b32_e32 v40, 24, v40
	v_lshlrev_b32_e32 v42, 20, v42
	v_and_b32_e32 v40, 0x80000000, v40
	v_lshl_add_u32 v38, v38, 23, v45
	v_or3_b32 v38, v40, v38, v42
	v_lshrrev_b32_e32 v53, 16, v38
.LBB961_307:                            ;   in Loop: Header=BB961_213 Depth=1
	s_or_b64 exec, exec, s[18:19]
.LBB961_308:                            ;   in Loop: Header=BB961_213 Depth=1
	s_or_b64 exec, exec, s[16:17]
.LBB961_309:                            ;   in Loop: Header=BB961_213 Depth=1
	s_or_b64 exec, exec, s[14:15]
	v_perm_b32 v66, v46, v44, s25
	buffer_load_dword v44, v64, s[0:3], 0 offen
	buffer_load_dword v42, v64, s[0:3], 0 offen offset:4
	buffer_load_dword v40, v64, s[0:3], 0 offen offset:8
	;; [unrolled: 1-line block ×3, first 2 shown]
	v_perm_b32 v67, v50, v48, s25
	v_perm_b32 v53, v53, v52, s25
	;; [unrolled: 1-line block ×3, first 2 shown]
	v_mfma_f32_16x16x16bf16_1k v[34:37], v[66:67], v[6:7], v[34:37]
	s_waitcnt vmcnt(3)
	v_cmp_ne_u16_sdwa s[16:17], v44, v43 src0_sel:BYTE_0 src1_sel:DWORD
	v_mfma_f32_16x16x16bf16_1k v[34:37], v[52:53], v[8:9], v[34:37]
	s_and_saveexec_b64 s[14:15], s[16:17]
	s_cbranch_execz .LBB961_315
; %bb.310:                              ;   in Loop: Header=BB961_213 Depth=1
	v_cmp_ne_u16_sdwa s[18:19], v44, s9 src0_sel:BYTE_0 src1_sel:DWORD
	v_mov_b32_e32 v47, 0xffff8000
	s_and_saveexec_b64 s[16:17], s[18:19]
	s_cbranch_execz .LBB961_314
; %bb.311:                              ;   in Loop: Header=BB961_213 Depth=1
	v_and_b32_e32 v46, 0x7f, v44
	v_cmp_ne_u32_e32 vcc, s23, v46
	v_mov_b32_e32 v47, 0x7f80
	s_and_saveexec_b64 s[18:19], vcc
	s_cbranch_execz .LBB961_313
; %bb.312:                              ;   in Loop: Header=BB961_213 Depth=1
	v_and_b32_e32 v47, 7, v44
	v_ffbh_u32_e32 v48, v47
	v_min_u32_e32 v51, 32, v48
	v_subrev_u32_e32 v48, 28, v51
	v_lshlrev_b64 v[48:49], v48, v[44:45]
	v_lshrrev_b32_e32 v50, 3, v46
	v_sub_u32_e32 v49, 29, v51
	v_and_b32_e32 v48, 7, v48
	v_cmp_gt_u32_e32 vcc, 8, v46
	v_cndmask_b32_e32 v46, v50, v49, vcc
	v_cndmask_b32_e32 v47, v47, v48, vcc
	v_lshlrev_b32_e32 v48, 24, v44
	v_lshlrev_b32_e32 v47, 20, v47
	v_and_b32_e32 v48, 0x80000000, v48
	v_lshl_add_u32 v46, v46, 23, v45
	v_or3_b32 v46, v48, v46, v47
	v_lshrrev_b32_e32 v47, 16, v46
.LBB961_313:                            ;   in Loop: Header=BB961_213 Depth=1
	s_or_b64 exec, exec, s[18:19]
.LBB961_314:                            ;   in Loop: Header=BB961_213 Depth=1
	s_or_b64 exec, exec, s[16:17]
.LBB961_315:                            ;   in Loop: Header=BB961_213 Depth=1
	s_or_b64 exec, exec, s[14:15]
	v_lshrrev_b16_e32 v46, 8, v44
	v_cmp_ne_u16_e32 vcc, 0, v46
	v_mov_b32_e32 v49, 0
	v_mov_b32_e32 v48, 0
	s_and_saveexec_b64 s[14:15], vcc
	s_cbranch_execz .LBB961_321
; %bb.316:                              ;   in Loop: Header=BB961_213 Depth=1
	v_cmp_ne_u16_e32 vcc, s9, v46
	v_mov_b32_e32 v48, 0xffff8000
	s_and_saveexec_b64 s[16:17], vcc
	s_cbranch_execz .LBB961_320
; %bb.317:                              ;   in Loop: Header=BB961_213 Depth=1
	v_and_b32_e32 v50, 0x7f, v46
	v_cmp_ne_u32_e32 vcc, s23, v50
	v_mov_b32_e32 v48, 0x7f80
	s_and_saveexec_b64 s[18:19], vcc
	s_cbranch_execz .LBB961_319
; %bb.318:                              ;   in Loop: Header=BB961_213 Depth=1
	v_and_b32_e32 v48, 7, v46
	v_ffbh_u32_e32 v52, v48
	v_min_u32_e32 v64, 32, v52
	v_subrev_u32_e32 v52, 28, v64
	v_lshlrev_b64 v[52:53], v52, v[46:47]
	v_lshrrev_b32_e32 v51, 3, v50
	v_sub_u32_e32 v46, 29, v64
	v_and_b32_e32 v52, 7, v52
	v_cmp_gt_u32_e32 vcc, 8, v50
	v_cndmask_b32_e32 v46, v51, v46, vcc
	v_cndmask_b32_e32 v48, v48, v52, vcc
	v_lshlrev_b32_e32 v50, 16, v44
	v_lshlrev_b32_e32 v48, 20, v48
	v_and_b32_e32 v50, 0x80000000, v50
	v_lshl_add_u32 v46, v46, 23, v45
	v_or3_b32 v46, v50, v46, v48
	v_lshrrev_b32_e32 v48, 16, v46
.LBB961_319:                            ;   in Loop: Header=BB961_213 Depth=1
	s_or_b64 exec, exec, s[18:19]
.LBB961_320:                            ;   in Loop: Header=BB961_213 Depth=1
	s_or_b64 exec, exec, s[16:17]
.LBB961_321:                            ;   in Loop: Header=BB961_213 Depth=1
	s_or_b64 exec, exec, s[14:15]
	v_lshrrev_b32_e32 v46, 16, v44
	v_cmp_ne_u16_sdwa s[16:17], v46, v43 src0_sel:BYTE_0 src1_sel:DWORD
	s_and_saveexec_b64 s[14:15], s[16:17]
	s_cbranch_execz .LBB961_327
; %bb.322:                              ;   in Loop: Header=BB961_213 Depth=1
	v_cmp_ne_u16_sdwa s[18:19], v46, s9 src0_sel:BYTE_0 src1_sel:DWORD
	v_mov_b32_e32 v49, 0xffff8000
	s_and_saveexec_b64 s[16:17], s[18:19]
	s_cbranch_execz .LBB961_326
; %bb.323:                              ;   in Loop: Header=BB961_213 Depth=1
	v_bfe_u32 v50, v44, 16, 7
	v_cmp_ne_u32_e32 vcc, s23, v50
	v_mov_b32_e32 v49, 0x7f80
	s_and_saveexec_b64 s[18:19], vcc
	s_cbranch_execz .LBB961_325
; %bb.324:                              ;   in Loop: Header=BB961_213 Depth=1
	v_and_b32_e32 v49, 7, v46
	v_ffbh_u32_e32 v52, v49
	v_min_u32_e32 v64, 32, v52
	v_subrev_u32_e32 v52, 28, v64
	v_lshlrev_b64 v[52:53], v52, v[46:47]
	v_lshrrev_b32_e32 v51, 3, v50
	v_sub_u32_e32 v53, 29, v64
	v_and_b32_e32 v52, 7, v52
	v_cmp_gt_u32_e32 vcc, 8, v50
	v_cndmask_b32_e32 v50, v51, v53, vcc
	v_cndmask_b32_e32 v49, v49, v52, vcc
	v_lshlrev_b32_e32 v46, 24, v46
	v_lshlrev_b32_e32 v49, 20, v49
	v_and_b32_e32 v46, 0x80000000, v46
	v_lshl_add_u32 v50, v50, 23, v45
	v_or3_b32 v46, v46, v50, v49
	v_lshrrev_b32_e32 v49, 16, v46
.LBB961_325:                            ;   in Loop: Header=BB961_213 Depth=1
	s_or_b64 exec, exec, s[18:19]
.LBB961_326:                            ;   in Loop: Header=BB961_213 Depth=1
	s_or_b64 exec, exec, s[16:17]
.LBB961_327:                            ;   in Loop: Header=BB961_213 Depth=1
	s_or_b64 exec, exec, s[14:15]
	v_cmp_lt_u32_e32 vcc, s24, v44
	v_mov_b32_e32 v50, 0
	v_mov_b32_e32 v51, 0
	s_and_saveexec_b64 s[14:15], vcc
	s_cbranch_execz .LBB961_333
; %bb.328:                              ;   in Loop: Header=BB961_213 Depth=1
	v_lshrrev_b32_e32 v46, 24, v44
	v_cmp_ne_u32_e32 vcc, s9, v46
	v_mov_b32_e32 v51, 0xffff8000
	s_and_saveexec_b64 s[16:17], vcc
	s_cbranch_execz .LBB961_332
; %bb.329:                              ;   in Loop: Header=BB961_213 Depth=1
	v_bfe_u32 v44, v44, 24, 7
	v_cmp_ne_u32_e32 vcc, s23, v44
	v_mov_b32_e32 v51, 0x7f80
	s_and_saveexec_b64 s[18:19], vcc
	s_cbranch_execz .LBB961_331
; %bb.330:                              ;   in Loop: Header=BB961_213 Depth=1
	v_and_b32_e32 v51, 7, v46
	v_ffbh_u32_e32 v52, v51
	v_min_u32_e32 v65, 32, v52
	v_subrev_u32_e32 v52, 28, v65
	v_lshlrev_b64 v[52:53], v52, v[46:47]
	v_lshrrev_b32_e32 v64, 3, v44
	v_sub_u32_e32 v53, 29, v65
	v_and_b32_e32 v52, 7, v52
	v_cmp_gt_u32_e32 vcc, 8, v44
	v_cndmask_b32_e32 v44, v64, v53, vcc
	v_cndmask_b32_e32 v51, v51, v52, vcc
	v_lshlrev_b32_e32 v46, 24, v46
	v_lshlrev_b32_e32 v51, 20, v51
	v_and_b32_e32 v46, 0x80000000, v46
	v_lshl_add_u32 v44, v44, 23, v45
	v_or3_b32 v44, v46, v44, v51
	v_lshrrev_b32_e32 v51, 16, v44
.LBB961_331:                            ;   in Loop: Header=BB961_213 Depth=1
	s_or_b64 exec, exec, s[18:19]
.LBB961_332:                            ;   in Loop: Header=BB961_213 Depth=1
	s_or_b64 exec, exec, s[16:17]
.LBB961_333:                            ;   in Loop: Header=BB961_213 Depth=1
	s_or_b64 exec, exec, s[14:15]
	s_waitcnt vmcnt(2)
	v_cmp_ne_u16_sdwa s[16:17], v42, v43 src0_sel:BYTE_0 src1_sel:DWORD
	s_and_saveexec_b64 s[14:15], s[16:17]
	s_cbranch_execz .LBB961_339
; %bb.334:                              ;   in Loop: Header=BB961_213 Depth=1
	v_cmp_ne_u16_sdwa s[18:19], v42, s9 src0_sel:BYTE_0 src1_sel:DWORD
	v_mov_b32_e32 v50, 0xffff8000
	s_and_saveexec_b64 s[16:17], s[18:19]
	s_cbranch_execz .LBB961_338
; %bb.335:                              ;   in Loop: Header=BB961_213 Depth=1
	v_and_b32_e32 v44, 0x7f, v42
	v_cmp_ne_u32_e32 vcc, s23, v44
	v_mov_b32_e32 v50, 0x7f80
	s_and_saveexec_b64 s[18:19], vcc
	s_cbranch_execz .LBB961_337
; %bb.336:                              ;   in Loop: Header=BB961_213 Depth=1
	v_and_b32_e32 v46, 7, v42
	v_ffbh_u32_e32 v52, v46
	v_min_u32_e32 v64, 32, v52
	v_subrev_u32_e32 v52, 28, v64
	v_lshlrev_b64 v[52:53], v52, v[42:43]
	v_lshrrev_b32_e32 v50, 3, v44
	v_sub_u32_e32 v53, 29, v64
	v_and_b32_e32 v52, 7, v52
	v_cmp_gt_u32_e32 vcc, 8, v44
	v_cndmask_b32_e32 v44, v50, v53, vcc
	v_cndmask_b32_e32 v46, v46, v52, vcc
	v_lshlrev_b32_e32 v50, 24, v42
	v_lshlrev_b32_e32 v46, 20, v46
	v_and_b32_e32 v50, 0x80000000, v50
	v_lshl_add_u32 v44, v44, 23, v45
	v_or3_b32 v44, v50, v44, v46
	v_lshrrev_b32_e32 v50, 16, v44
.LBB961_337:                            ;   in Loop: Header=BB961_213 Depth=1
	s_or_b64 exec, exec, s[18:19]
.LBB961_338:                            ;   in Loop: Header=BB961_213 Depth=1
	s_or_b64 exec, exec, s[16:17]
.LBB961_339:                            ;   in Loop: Header=BB961_213 Depth=1
	s_or_b64 exec, exec, s[14:15]
	v_lshrrev_b16_e32 v44, 8, v42
	v_cmp_ne_u16_e32 vcc, 0, v44
	v_mov_b32_e32 v53, 0
	v_mov_b32_e32 v52, 0
	s_and_saveexec_b64 s[14:15], vcc
	s_cbranch_execz .LBB961_345
; %bb.340:                              ;   in Loop: Header=BB961_213 Depth=1
	v_cmp_ne_u16_e32 vcc, s9, v44
	v_mov_b32_e32 v52, 0xffff8000
	s_and_saveexec_b64 s[16:17], vcc
	s_cbranch_execz .LBB961_344
; %bb.341:                              ;   in Loop: Header=BB961_213 Depth=1
	v_and_b32_e32 v46, 0x7f, v44
	v_cmp_ne_u32_e32 vcc, s23, v46
	v_mov_b32_e32 v52, 0x7f80
	s_and_saveexec_b64 s[18:19], vcc
	s_cbranch_execz .LBB961_343
; %bb.342:                              ;   in Loop: Header=BB961_213 Depth=1
	v_and_b32_e32 v52, 7, v44
	v_ffbh_u32_e32 v64, v52
	v_min_u32_e32 v67, 32, v64
	v_subrev_u32_e32 v64, 28, v67
	v_lshlrev_b64 v[64:65], v64, v[44:45]
	v_lshrrev_b32_e32 v66, 3, v46
	v_sub_u32_e32 v44, 29, v67
	v_and_b32_e32 v64, 7, v64
	v_cmp_gt_u32_e32 vcc, 8, v46
	v_cndmask_b32_e32 v44, v66, v44, vcc
	v_cndmask_b32_e32 v46, v52, v64, vcc
	v_lshlrev_b32_e32 v52, 16, v42
	v_lshlrev_b32_e32 v46, 20, v46
	v_and_b32_e32 v52, 0x80000000, v52
	v_lshl_add_u32 v44, v44, 23, v45
	v_or3_b32 v44, v52, v44, v46
	v_lshrrev_b32_e32 v52, 16, v44
.LBB961_343:                            ;   in Loop: Header=BB961_213 Depth=1
	s_or_b64 exec, exec, s[18:19]
.LBB961_344:                            ;   in Loop: Header=BB961_213 Depth=1
	s_or_b64 exec, exec, s[16:17]
.LBB961_345:                            ;   in Loop: Header=BB961_213 Depth=1
	s_or_b64 exec, exec, s[14:15]
	v_lshrrev_b32_e32 v44, 16, v42
	v_cmp_ne_u16_sdwa s[16:17], v44, v43 src0_sel:BYTE_0 src1_sel:DWORD
	s_and_saveexec_b64 s[14:15], s[16:17]
	s_cbranch_execz .LBB961_351
; %bb.346:                              ;   in Loop: Header=BB961_213 Depth=1
	v_cmp_ne_u16_sdwa s[18:19], v44, s9 src0_sel:BYTE_0 src1_sel:DWORD
	v_mov_b32_e32 v53, 0xffff8000
	s_and_saveexec_b64 s[16:17], s[18:19]
	s_cbranch_execz .LBB961_350
; %bb.347:                              ;   in Loop: Header=BB961_213 Depth=1
	v_bfe_u32 v46, v42, 16, 7
	v_cmp_ne_u32_e32 vcc, s23, v46
	v_mov_b32_e32 v53, 0x7f80
	s_and_saveexec_b64 s[18:19], vcc
	s_cbranch_execz .LBB961_349
; %bb.348:                              ;   in Loop: Header=BB961_213 Depth=1
	v_and_b32_e32 v53, 7, v44
	v_ffbh_u32_e32 v64, v53
	v_min_u32_e32 v67, 32, v64
	v_subrev_u32_e32 v64, 28, v67
	v_lshlrev_b64 v[64:65], v64, v[44:45]
	v_lshrrev_b32_e32 v66, 3, v46
	v_sub_u32_e32 v65, 29, v67
	v_and_b32_e32 v64, 7, v64
	v_cmp_gt_u32_e32 vcc, 8, v46
	v_cndmask_b32_e32 v46, v66, v65, vcc
	v_cndmask_b32_e32 v53, v53, v64, vcc
	v_lshlrev_b32_e32 v44, 24, v44
	v_lshlrev_b32_e32 v53, 20, v53
	v_and_b32_e32 v44, 0x80000000, v44
	v_lshl_add_u32 v46, v46, 23, v45
	v_or3_b32 v44, v44, v46, v53
	v_lshrrev_b32_e32 v53, 16, v44
.LBB961_349:                            ;   in Loop: Header=BB961_213 Depth=1
	s_or_b64 exec, exec, s[18:19]
.LBB961_350:                            ;   in Loop: Header=BB961_213 Depth=1
	s_or_b64 exec, exec, s[16:17]
.LBB961_351:                            ;   in Loop: Header=BB961_213 Depth=1
	s_or_b64 exec, exec, s[14:15]
	v_cmp_lt_u32_e32 vcc, s24, v42
	v_mov_b32_e32 v46, 0
	v_mov_b32_e32 v64, 0
	s_and_saveexec_b64 s[14:15], vcc
	s_cbranch_execz .LBB961_357
; %bb.352:                              ;   in Loop: Header=BB961_213 Depth=1
	v_lshrrev_b32_e32 v44, 24, v42
	v_cmp_ne_u32_e32 vcc, s9, v44
	v_mov_b32_e32 v64, 0xffff8000
	s_and_saveexec_b64 s[16:17], vcc
	s_cbranch_execz .LBB961_356
; %bb.353:                              ;   in Loop: Header=BB961_213 Depth=1
	v_bfe_u32 v42, v42, 24, 7
	v_cmp_ne_u32_e32 vcc, s23, v42
	v_mov_b32_e32 v64, 0x7f80
	s_and_saveexec_b64 s[18:19], vcc
	s_cbranch_execz .LBB961_355
; %bb.354:                              ;   in Loop: Header=BB961_213 Depth=1
	v_and_b32_e32 v66, 7, v44
	v_ffbh_u32_e32 v64, v66
	v_min_u32_e32 v68, 32, v64
	v_subrev_u32_e32 v64, 28, v68
	v_lshlrev_b64 v[64:65], v64, v[44:45]
	v_lshrrev_b32_e32 v67, 3, v42
	v_sub_u32_e32 v65, 29, v68
	v_and_b32_e32 v64, 7, v64
	v_cmp_gt_u32_e32 vcc, 8, v42
	v_cndmask_b32_e32 v42, v67, v65, vcc
	v_cndmask_b32_e32 v64, v66, v64, vcc
	v_lshlrev_b32_e32 v44, 24, v44
	v_lshlrev_b32_e32 v64, 20, v64
	v_and_b32_e32 v44, 0x80000000, v44
	v_lshl_add_u32 v42, v42, 23, v45
	v_or3_b32 v42, v44, v42, v64
	v_lshrrev_b32_e32 v64, 16, v42
.LBB961_355:                            ;   in Loop: Header=BB961_213 Depth=1
	s_or_b64 exec, exec, s[18:19]
.LBB961_356:                            ;   in Loop: Header=BB961_213 Depth=1
	s_or_b64 exec, exec, s[16:17]
.LBB961_357:                            ;   in Loop: Header=BB961_213 Depth=1
	s_or_b64 exec, exec, s[14:15]
	v_perm_b32 v49, v51, v49, s25
	v_perm_b32 v48, v48, v47, s25
	s_waitcnt vmcnt(1)
	v_cmp_ne_u16_sdwa s[16:17], v40, v43 src0_sel:BYTE_0 src1_sel:DWORD
	v_mfma_f32_16x16x16bf16_1k v[34:37], v[48:49], v[10:11], v[34:37]
	v_perm_b32 v49, v64, v53, s25
	v_perm_b32 v48, v52, v50, s25
	s_nop 1
	v_mfma_f32_16x16x16bf16_1k v[34:37], v[48:49], v[12:13], v[34:37]
	s_and_saveexec_b64 s[14:15], s[16:17]
	s_cbranch_execz .LBB961_363
; %bb.358:                              ;   in Loop: Header=BB961_213 Depth=1
	v_cmp_ne_u16_sdwa s[18:19], v40, s9 src0_sel:BYTE_0 src1_sel:DWORD
	v_mov_b32_e32 v46, 0xffff8000
	s_and_saveexec_b64 s[16:17], s[18:19]
	s_cbranch_execz .LBB961_362
; %bb.359:                              ;   in Loop: Header=BB961_213 Depth=1
	v_and_b32_e32 v42, 0x7f, v40
	v_cmp_ne_u32_e32 vcc, s23, v42
	v_mov_b32_e32 v46, 0x7f80
	s_and_saveexec_b64 s[18:19], vcc
	s_cbranch_execz .LBB961_361
; %bb.360:                              ;   in Loop: Header=BB961_213 Depth=1
	v_and_b32_e32 v44, 7, v40
	v_ffbh_u32_e32 v46, v44
	v_min_u32_e32 v49, 32, v46
	v_subrev_u32_e32 v46, 28, v49
	v_lshlrev_b64 v[46:47], v46, v[40:41]
	v_lshrrev_b32_e32 v48, 3, v42
	v_sub_u32_e32 v47, 29, v49
	v_and_b32_e32 v46, 7, v46
	v_cmp_gt_u32_e32 vcc, 8, v42
	v_cndmask_b32_e32 v42, v48, v47, vcc
	v_cndmask_b32_e32 v44, v44, v46, vcc
	v_lshlrev_b32_e32 v46, 24, v40
	v_lshlrev_b32_e32 v44, 20, v44
	v_and_b32_e32 v46, 0x80000000, v46
	v_lshl_add_u32 v42, v42, 23, v45
	v_or3_b32 v42, v46, v42, v44
	v_lshrrev_b32_e32 v46, 16, v42
.LBB961_361:                            ;   in Loop: Header=BB961_213 Depth=1
	s_or_b64 exec, exec, s[18:19]
.LBB961_362:                            ;   in Loop: Header=BB961_213 Depth=1
	s_or_b64 exec, exec, s[16:17]
.LBB961_363:                            ;   in Loop: Header=BB961_213 Depth=1
	s_or_b64 exec, exec, s[14:15]
	v_lshrrev_b16_e32 v42, 8, v40
	v_cmp_ne_u16_e32 vcc, 0, v42
	v_mov_b32_e32 v48, 0
	v_mov_b32_e32 v44, 0
	s_and_saveexec_b64 s[14:15], vcc
	s_cbranch_execz .LBB961_369
; %bb.364:                              ;   in Loop: Header=BB961_213 Depth=1
	v_cmp_ne_u16_e32 vcc, s9, v42
	v_mov_b32_e32 v44, 0xffff8000
	s_and_saveexec_b64 s[16:17], vcc
	s_cbranch_execz .LBB961_368
; %bb.365:                              ;   in Loop: Header=BB961_213 Depth=1
	v_and_b32_e32 v47, 0x7f, v42
	v_cmp_ne_u32_e32 vcc, s23, v47
	v_mov_b32_e32 v44, 0x7f80
	s_and_saveexec_b64 s[18:19], vcc
	s_cbranch_execz .LBB961_367
; %bb.366:                              ;   in Loop: Header=BB961_213 Depth=1
	v_and_b32_e32 v44, 7, v42
	v_ffbh_u32_e32 v50, v44
	v_min_u32_e32 v52, 32, v50
	v_subrev_u32_e32 v50, 28, v52
	v_lshlrev_b64 v[50:51], v50, v[42:43]
	v_lshrrev_b32_e32 v49, 3, v47
	v_sub_u32_e32 v42, 29, v52
	v_and_b32_e32 v50, 7, v50
	v_cmp_gt_u32_e32 vcc, 8, v47
	v_cndmask_b32_e32 v42, v49, v42, vcc
	v_cndmask_b32_e32 v44, v44, v50, vcc
	v_lshlrev_b32_e32 v47, 16, v40
	v_lshlrev_b32_e32 v44, 20, v44
	v_and_b32_e32 v47, 0x80000000, v47
	v_lshl_add_u32 v42, v42, 23, v45
	v_or3_b32 v42, v47, v42, v44
	v_lshrrev_b32_e32 v44, 16, v42
.LBB961_367:                            ;   in Loop: Header=BB961_213 Depth=1
	s_or_b64 exec, exec, s[18:19]
.LBB961_368:                            ;   in Loop: Header=BB961_213 Depth=1
	s_or_b64 exec, exec, s[16:17]
.LBB961_369:                            ;   in Loop: Header=BB961_213 Depth=1
	s_or_b64 exec, exec, s[14:15]
	v_lshrrev_b32_e32 v42, 16, v40
	v_cmp_ne_u16_sdwa s[16:17], v42, v43 src0_sel:BYTE_0 src1_sel:DWORD
	s_and_saveexec_b64 s[14:15], s[16:17]
	s_cbranch_execz .LBB961_375
; %bb.370:                              ;   in Loop: Header=BB961_213 Depth=1
	v_cmp_ne_u16_sdwa s[18:19], v42, s9 src0_sel:BYTE_0 src1_sel:DWORD
	v_mov_b32_e32 v48, 0xffff8000
	s_and_saveexec_b64 s[16:17], s[18:19]
	s_cbranch_execz .LBB961_374
; %bb.371:                              ;   in Loop: Header=BB961_213 Depth=1
	v_bfe_u32 v47, v40, 16, 7
	v_cmp_ne_u32_e32 vcc, s23, v47
	v_mov_b32_e32 v48, 0x7f80
	s_and_saveexec_b64 s[18:19], vcc
	s_cbranch_execz .LBB961_373
; %bb.372:                              ;   in Loop: Header=BB961_213 Depth=1
	v_and_b32_e32 v50, 7, v42
	v_ffbh_u32_e32 v48, v50
	v_min_u32_e32 v52, 32, v48
	v_subrev_u32_e32 v48, 28, v52
	v_lshlrev_b64 v[48:49], v48, v[42:43]
	v_lshrrev_b32_e32 v51, 3, v47
	v_sub_u32_e32 v49, 29, v52
	v_and_b32_e32 v48, 7, v48
	v_cmp_gt_u32_e32 vcc, 8, v47
	v_cndmask_b32_e32 v47, v51, v49, vcc
	v_cndmask_b32_e32 v48, v50, v48, vcc
	v_lshlrev_b32_e32 v42, 24, v42
	v_lshlrev_b32_e32 v48, 20, v48
	v_and_b32_e32 v42, 0x80000000, v42
	v_lshl_add_u32 v47, v47, 23, v45
	v_or3_b32 v42, v42, v47, v48
	v_lshrrev_b32_e32 v48, 16, v42
.LBB961_373:                            ;   in Loop: Header=BB961_213 Depth=1
	s_or_b64 exec, exec, s[18:19]
.LBB961_374:                            ;   in Loop: Header=BB961_213 Depth=1
	s_or_b64 exec, exec, s[16:17]
.LBB961_375:                            ;   in Loop: Header=BB961_213 Depth=1
	s_or_b64 exec, exec, s[14:15]
	v_cmp_lt_u32_e32 vcc, s24, v40
	v_mov_b32_e32 v49, 0
	v_mov_b32_e32 v50, 0
	s_and_saveexec_b64 s[14:15], vcc
	s_cbranch_execz .LBB961_381
; %bb.376:                              ;   in Loop: Header=BB961_213 Depth=1
	v_lshrrev_b32_e32 v42, 24, v40
	v_cmp_ne_u32_e32 vcc, s9, v42
	v_mov_b32_e32 v50, 0xffff8000
	s_and_saveexec_b64 s[16:17], vcc
	s_cbranch_execz .LBB961_380
; %bb.377:                              ;   in Loop: Header=BB961_213 Depth=1
	v_bfe_u32 v40, v40, 24, 7
	v_cmp_ne_u32_e32 vcc, s23, v40
	v_mov_b32_e32 v50, 0x7f80
	s_and_saveexec_b64 s[18:19], vcc
	s_cbranch_execz .LBB961_379
; %bb.378:                              ;   in Loop: Header=BB961_213 Depth=1
	v_and_b32_e32 v47, 7, v42
	v_ffbh_u32_e32 v50, v47
	v_min_u32_e32 v53, 32, v50
	v_subrev_u32_e32 v50, 28, v53
	v_lshlrev_b64 v[50:51], v50, v[42:43]
	v_lshrrev_b32_e32 v52, 3, v40
	v_sub_u32_e32 v51, 29, v53
	v_and_b32_e32 v50, 7, v50
	v_cmp_gt_u32_e32 vcc, 8, v40
	v_cndmask_b32_e32 v40, v52, v51, vcc
	v_cndmask_b32_e32 v47, v47, v50, vcc
	v_lshlrev_b32_e32 v42, 24, v42
	v_lshlrev_b32_e32 v47, 20, v47
	v_and_b32_e32 v42, 0x80000000, v42
	v_lshl_add_u32 v40, v40, 23, v45
	v_or3_b32 v40, v42, v40, v47
	v_lshrrev_b32_e32 v50, 16, v40
.LBB961_379:                            ;   in Loop: Header=BB961_213 Depth=1
	s_or_b64 exec, exec, s[18:19]
.LBB961_380:                            ;   in Loop: Header=BB961_213 Depth=1
	s_or_b64 exec, exec, s[16:17]
.LBB961_381:                            ;   in Loop: Header=BB961_213 Depth=1
	s_or_b64 exec, exec, s[14:15]
	s_waitcnt vmcnt(0)
	v_cmp_ne_u16_sdwa s[16:17], v38, v43 src0_sel:BYTE_0 src1_sel:DWORD
	s_and_saveexec_b64 s[14:15], s[16:17]
	s_cbranch_execz .LBB961_387
; %bb.382:                              ;   in Loop: Header=BB961_213 Depth=1
	v_cmp_ne_u16_sdwa s[18:19], v38, s9 src0_sel:BYTE_0 src1_sel:DWORD
	v_mov_b32_e32 v49, 0xffff8000
	s_and_saveexec_b64 s[16:17], s[18:19]
	s_cbranch_execz .LBB961_386
; %bb.383:                              ;   in Loop: Header=BB961_213 Depth=1
	v_and_b32_e32 v40, 0x7f, v38
	v_cmp_ne_u32_e32 vcc, s23, v40
	v_mov_b32_e32 v49, 0x7f80
	s_and_saveexec_b64 s[18:19], vcc
	s_cbranch_execz .LBB961_385
; %bb.384:                              ;   in Loop: Header=BB961_213 Depth=1
	v_and_b32_e32 v42, 7, v38
	v_ffbh_u32_e32 v49, v42
	v_min_u32_e32 v49, 32, v49
	v_subrev_u32_e32 v51, 28, v49
	v_lshlrev_b64 v[52:53], v51, v[38:39]
	v_lshrrev_b32_e32 v47, 3, v40
	v_sub_u32_e32 v49, 29, v49
	v_and_b32_e32 v51, 7, v52
	v_cmp_gt_u32_e32 vcc, 8, v40
	v_cndmask_b32_e32 v40, v47, v49, vcc
	v_cndmask_b32_e32 v42, v42, v51, vcc
	v_lshlrev_b32_e32 v47, 24, v38
	v_lshlrev_b32_e32 v42, 20, v42
	v_and_b32_e32 v47, 0x80000000, v47
	v_lshl_add_u32 v40, v40, 23, v45
	v_or3_b32 v40, v47, v40, v42
	v_lshrrev_b32_e32 v49, 16, v40
.LBB961_385:                            ;   in Loop: Header=BB961_213 Depth=1
	s_or_b64 exec, exec, s[18:19]
.LBB961_386:                            ;   in Loop: Header=BB961_213 Depth=1
	s_or_b64 exec, exec, s[16:17]
.LBB961_387:                            ;   in Loop: Header=BB961_213 Depth=1
	s_or_b64 exec, exec, s[14:15]
	v_lshrrev_b16_e32 v40, 8, v38
	v_cmp_ne_u16_e32 vcc, 0, v40
	v_mov_b32_e32 v52, 0
	v_mov_b32_e32 v51, 0
	s_and_saveexec_b64 s[14:15], vcc
	s_cbranch_execz .LBB961_393
; %bb.388:                              ;   in Loop: Header=BB961_213 Depth=1
	v_cmp_ne_u16_e32 vcc, s9, v40
	v_mov_b32_e32 v51, 0xffff8000
	s_and_saveexec_b64 s[16:17], vcc
	s_cbranch_execz .LBB961_392
; %bb.389:                              ;   in Loop: Header=BB961_213 Depth=1
	v_and_b32_e32 v42, 0x7f, v40
	v_cmp_ne_u32_e32 vcc, s23, v42
	v_mov_b32_e32 v51, 0x7f80
	s_and_saveexec_b64 s[18:19], vcc
	s_cbranch_execz .LBB961_391
; %bb.390:                              ;   in Loop: Header=BB961_213 Depth=1
	v_and_b32_e32 v47, 7, v40
	v_ffbh_u32_e32 v53, v47
	v_min_u32_e32 v53, 32, v53
	v_subrev_u32_e32 v64, 28, v53
	v_lshlrev_b64 v[64:65], v64, v[40:41]
	v_lshrrev_b32_e32 v51, 3, v42
	v_sub_u32_e32 v40, 29, v53
	v_and_b32_e32 v53, 7, v64
	v_cmp_gt_u32_e32 vcc, 8, v42
	v_cndmask_b32_e32 v40, v51, v40, vcc
	v_cndmask_b32_e32 v42, v47, v53, vcc
	v_lshlrev_b32_e32 v47, 16, v38
	v_lshlrev_b32_e32 v42, 20, v42
	v_and_b32_e32 v47, 0x80000000, v47
	v_lshl_add_u32 v40, v40, 23, v45
	v_or3_b32 v40, v47, v40, v42
	v_lshrrev_b32_e32 v51, 16, v40
.LBB961_391:                            ;   in Loop: Header=BB961_213 Depth=1
	s_or_b64 exec, exec, s[18:19]
.LBB961_392:                            ;   in Loop: Header=BB961_213 Depth=1
	s_or_b64 exec, exec, s[16:17]
.LBB961_393:                            ;   in Loop: Header=BB961_213 Depth=1
	s_or_b64 exec, exec, s[14:15]
	v_lshrrev_b32_e32 v40, 16, v38
	v_cmp_ne_u16_sdwa s[16:17], v40, v43 src0_sel:BYTE_0 src1_sel:DWORD
	s_and_saveexec_b64 s[14:15], s[16:17]
	s_cbranch_execz .LBB961_399
; %bb.394:                              ;   in Loop: Header=BB961_213 Depth=1
	v_cmp_ne_u16_sdwa s[18:19], v40, s9 src0_sel:BYTE_0 src1_sel:DWORD
	v_mov_b32_e32 v52, 0xffff8000
	s_and_saveexec_b64 s[16:17], s[18:19]
	s_cbranch_execz .LBB961_398
; %bb.395:                              ;   in Loop: Header=BB961_213 Depth=1
	v_bfe_u32 v42, v38, 16, 7
	v_cmp_ne_u32_e32 vcc, s23, v42
	v_mov_b32_e32 v52, 0x7f80
	s_and_saveexec_b64 s[18:19], vcc
	s_cbranch_execz .LBB961_397
; %bb.396:                              ;   in Loop: Header=BB961_213 Depth=1
	v_and_b32_e32 v47, 7, v40
	v_ffbh_u32_e32 v52, v47
	v_min_u32_e32 v65, 32, v52
	v_subrev_u32_e32 v52, 28, v65
	v_lshlrev_b64 v[52:53], v52, v[40:41]
	v_lshrrev_b32_e32 v64, 3, v42
	v_sub_u32_e32 v53, 29, v65
	v_and_b32_e32 v52, 7, v52
	v_cmp_gt_u32_e32 vcc, 8, v42
	v_cndmask_b32_e32 v42, v64, v53, vcc
	v_cndmask_b32_e32 v47, v47, v52, vcc
	v_lshlrev_b32_e32 v40, 24, v40
	v_lshlrev_b32_e32 v47, 20, v47
	v_and_b32_e32 v40, 0x80000000, v40
	v_lshl_add_u32 v42, v42, 23, v45
	v_or3_b32 v40, v40, v42, v47
	v_lshrrev_b32_e32 v52, 16, v40
.LBB961_397:                            ;   in Loop: Header=BB961_213 Depth=1
	s_or_b64 exec, exec, s[18:19]
.LBB961_398:                            ;   in Loop: Header=BB961_213 Depth=1
	s_or_b64 exec, exec, s[16:17]
.LBB961_399:                            ;   in Loop: Header=BB961_213 Depth=1
	s_or_b64 exec, exec, s[14:15]
	v_cmp_lt_u32_e32 vcc, s24, v38
	v_mov_b32_e32 v47, 0
	v_mov_b32_e32 v53, 0
	s_and_saveexec_b64 s[14:15], vcc
	s_cbranch_execz .LBB961_405
; %bb.400:                              ;   in Loop: Header=BB961_213 Depth=1
	v_lshrrev_b32_e32 v40, 24, v38
	v_cmp_ne_u32_e32 vcc, s9, v40
	v_mov_b32_e32 v53, 0xffff8000
	s_and_saveexec_b64 s[16:17], vcc
	s_cbranch_execz .LBB961_404
; %bb.401:                              ;   in Loop: Header=BB961_213 Depth=1
	v_bfe_u32 v38, v38, 24, 7
	v_cmp_ne_u32_e32 vcc, s23, v38
	v_mov_b32_e32 v53, 0x7f80
	s_and_saveexec_b64 s[18:19], vcc
	s_cbranch_execz .LBB961_403
; %bb.402:                              ;   in Loop: Header=BB961_213 Depth=1
	v_and_b32_e32 v42, 7, v40
	v_ffbh_u32_e32 v64, v42
	v_min_u32_e32 v66, 32, v64
	v_subrev_u32_e32 v64, 28, v66
	v_lshlrev_b64 v[64:65], v64, v[40:41]
	v_lshrrev_b32_e32 v53, 3, v38
	v_sub_u32_e32 v65, 29, v66
	v_and_b32_e32 v64, 7, v64
	v_cmp_gt_u32_e32 vcc, 8, v38
	v_cndmask_b32_e32 v38, v53, v65, vcc
	v_cndmask_b32_e32 v42, v42, v64, vcc
	v_lshlrev_b32_e32 v40, 24, v40
	v_lshlrev_b32_e32 v42, 20, v42
	v_and_b32_e32 v40, 0x80000000, v40
	v_lshl_add_u32 v38, v38, 23, v45
	v_or3_b32 v38, v40, v38, v42
	v_lshrrev_b32_e32 v53, 16, v38
.LBB961_403:                            ;   in Loop: Header=BB961_213 Depth=1
	s_or_b64 exec, exec, s[18:19]
.LBB961_404:                            ;   in Loop: Header=BB961_213 Depth=1
	s_or_b64 exec, exec, s[16:17]
.LBB961_405:                            ;   in Loop: Header=BB961_213 Depth=1
	s_or_b64 exec, exec, s[14:15]
	v_perm_b32 v64, v44, v46, s25
	buffer_load_dword v44, v63, s[0:3], 0 offen
	buffer_load_dword v42, v63, s[0:3], 0 offen offset:4
	buffer_load_dword v40, v63, s[0:3], 0 offen offset:8
	;; [unrolled: 1-line block ×3, first 2 shown]
	v_perm_b32 v65, v50, v48, s25
	v_perm_b32 v53, v53, v52, s25
	;; [unrolled: 1-line block ×3, first 2 shown]
	v_mfma_f32_16x16x16bf16_1k v[34:37], v[64:65], v[14:15], v[34:37]
	s_waitcnt vmcnt(3)
	v_cmp_ne_u16_sdwa s[16:17], v44, v43 src0_sel:BYTE_0 src1_sel:DWORD
	v_mfma_f32_16x16x16bf16_1k v[34:37], v[52:53], v[16:17], v[34:37]
	s_and_saveexec_b64 s[14:15], s[16:17]
	s_cbranch_execz .LBB961_411
; %bb.406:                              ;   in Loop: Header=BB961_213 Depth=1
	v_cmp_ne_u16_sdwa s[18:19], v44, s9 src0_sel:BYTE_0 src1_sel:DWORD
	v_mov_b32_e32 v47, 0xffff8000
	s_and_saveexec_b64 s[16:17], s[18:19]
	s_cbranch_execz .LBB961_410
; %bb.407:                              ;   in Loop: Header=BB961_213 Depth=1
	v_and_b32_e32 v46, 0x7f, v44
	v_cmp_ne_u32_e32 vcc, s23, v46
	v_mov_b32_e32 v47, 0x7f80
	s_and_saveexec_b64 s[18:19], vcc
	s_cbranch_execz .LBB961_409
; %bb.408:                              ;   in Loop: Header=BB961_213 Depth=1
	v_and_b32_e32 v47, 7, v44
	v_ffbh_u32_e32 v48, v47
	v_min_u32_e32 v51, 32, v48
	v_subrev_u32_e32 v48, 28, v51
	v_lshlrev_b64 v[48:49], v48, v[44:45]
	v_lshrrev_b32_e32 v50, 3, v46
	v_sub_u32_e32 v49, 29, v51
	v_and_b32_e32 v48, 7, v48
	v_cmp_gt_u32_e32 vcc, 8, v46
	v_cndmask_b32_e32 v46, v50, v49, vcc
	v_cndmask_b32_e32 v47, v47, v48, vcc
	v_lshlrev_b32_e32 v48, 24, v44
	v_lshlrev_b32_e32 v47, 20, v47
	v_and_b32_e32 v48, 0x80000000, v48
	v_lshl_add_u32 v46, v46, 23, v45
	v_or3_b32 v46, v48, v46, v47
	v_lshrrev_b32_e32 v47, 16, v46
.LBB961_409:                            ;   in Loop: Header=BB961_213 Depth=1
	s_or_b64 exec, exec, s[18:19]
.LBB961_410:                            ;   in Loop: Header=BB961_213 Depth=1
	s_or_b64 exec, exec, s[16:17]
.LBB961_411:                            ;   in Loop: Header=BB961_213 Depth=1
	s_or_b64 exec, exec, s[14:15]
	v_lshrrev_b16_e32 v46, 8, v44
	v_cmp_ne_u16_e32 vcc, 0, v46
	v_mov_b32_e32 v49, 0
	v_mov_b32_e32 v48, 0
	s_and_saveexec_b64 s[14:15], vcc
	s_cbranch_execz .LBB961_417
; %bb.412:                              ;   in Loop: Header=BB961_213 Depth=1
	v_cmp_ne_u16_e32 vcc, s9, v46
	v_mov_b32_e32 v48, 0xffff8000
	s_and_saveexec_b64 s[16:17], vcc
	s_cbranch_execz .LBB961_416
; %bb.413:                              ;   in Loop: Header=BB961_213 Depth=1
	v_and_b32_e32 v50, 0x7f, v46
	v_cmp_ne_u32_e32 vcc, s23, v50
	v_mov_b32_e32 v48, 0x7f80
	s_and_saveexec_b64 s[18:19], vcc
	s_cbranch_execz .LBB961_415
; %bb.414:                              ;   in Loop: Header=BB961_213 Depth=1
	v_and_b32_e32 v48, 7, v46
	v_ffbh_u32_e32 v52, v48
	v_min_u32_e32 v63, 32, v52
	v_subrev_u32_e32 v52, 28, v63
	v_lshlrev_b64 v[52:53], v52, v[46:47]
	v_lshrrev_b32_e32 v51, 3, v50
	v_sub_u32_e32 v46, 29, v63
	v_and_b32_e32 v52, 7, v52
	v_cmp_gt_u32_e32 vcc, 8, v50
	v_cndmask_b32_e32 v46, v51, v46, vcc
	v_cndmask_b32_e32 v48, v48, v52, vcc
	v_lshlrev_b32_e32 v50, 16, v44
	v_lshlrev_b32_e32 v48, 20, v48
	v_and_b32_e32 v50, 0x80000000, v50
	v_lshl_add_u32 v46, v46, 23, v45
	v_or3_b32 v46, v50, v46, v48
	v_lshrrev_b32_e32 v48, 16, v46
.LBB961_415:                            ;   in Loop: Header=BB961_213 Depth=1
	s_or_b64 exec, exec, s[18:19]
.LBB961_416:                            ;   in Loop: Header=BB961_213 Depth=1
	s_or_b64 exec, exec, s[16:17]
.LBB961_417:                            ;   in Loop: Header=BB961_213 Depth=1
	s_or_b64 exec, exec, s[14:15]
	v_lshrrev_b32_e32 v46, 16, v44
	v_cmp_ne_u16_sdwa s[16:17], v46, v43 src0_sel:BYTE_0 src1_sel:DWORD
	s_and_saveexec_b64 s[14:15], s[16:17]
	s_cbranch_execz .LBB961_423
; %bb.418:                              ;   in Loop: Header=BB961_213 Depth=1
	v_cmp_ne_u16_sdwa s[18:19], v46, s9 src0_sel:BYTE_0 src1_sel:DWORD
	v_mov_b32_e32 v49, 0xffff8000
	s_and_saveexec_b64 s[16:17], s[18:19]
	s_cbranch_execz .LBB961_422
; %bb.419:                              ;   in Loop: Header=BB961_213 Depth=1
	v_bfe_u32 v50, v44, 16, 7
	v_cmp_ne_u32_e32 vcc, s23, v50
	v_mov_b32_e32 v49, 0x7f80
	s_and_saveexec_b64 s[18:19], vcc
	s_cbranch_execz .LBB961_421
; %bb.420:                              ;   in Loop: Header=BB961_213 Depth=1
	v_and_b32_e32 v49, 7, v46
	v_ffbh_u32_e32 v52, v49
	v_min_u32_e32 v63, 32, v52
	v_subrev_u32_e32 v52, 28, v63
	v_lshlrev_b64 v[52:53], v52, v[46:47]
	v_lshrrev_b32_e32 v51, 3, v50
	v_sub_u32_e32 v53, 29, v63
	v_and_b32_e32 v52, 7, v52
	v_cmp_gt_u32_e32 vcc, 8, v50
	v_cndmask_b32_e32 v50, v51, v53, vcc
	v_cndmask_b32_e32 v49, v49, v52, vcc
	v_lshlrev_b32_e32 v46, 24, v46
	v_lshlrev_b32_e32 v49, 20, v49
	v_and_b32_e32 v46, 0x80000000, v46
	v_lshl_add_u32 v50, v50, 23, v45
	v_or3_b32 v46, v46, v50, v49
	v_lshrrev_b32_e32 v49, 16, v46
.LBB961_421:                            ;   in Loop: Header=BB961_213 Depth=1
	s_or_b64 exec, exec, s[18:19]
.LBB961_422:                            ;   in Loop: Header=BB961_213 Depth=1
	s_or_b64 exec, exec, s[16:17]
.LBB961_423:                            ;   in Loop: Header=BB961_213 Depth=1
	s_or_b64 exec, exec, s[14:15]
	v_cmp_lt_u32_e32 vcc, s24, v44
	v_mov_b32_e32 v50, 0
	v_mov_b32_e32 v51, 0
	s_and_saveexec_b64 s[14:15], vcc
	s_cbranch_execz .LBB961_429
; %bb.424:                              ;   in Loop: Header=BB961_213 Depth=1
	v_lshrrev_b32_e32 v46, 24, v44
	v_cmp_ne_u32_e32 vcc, s9, v46
	v_mov_b32_e32 v51, 0xffff8000
	s_and_saveexec_b64 s[16:17], vcc
	s_cbranch_execz .LBB961_428
; %bb.425:                              ;   in Loop: Header=BB961_213 Depth=1
	v_bfe_u32 v44, v44, 24, 7
	v_cmp_ne_u32_e32 vcc, s23, v44
	v_mov_b32_e32 v51, 0x7f80
	s_and_saveexec_b64 s[18:19], vcc
	s_cbranch_execz .LBB961_427
; %bb.426:                              ;   in Loop: Header=BB961_213 Depth=1
	v_and_b32_e32 v51, 7, v46
	v_ffbh_u32_e32 v52, v51
	v_min_u32_e32 v64, 32, v52
	v_subrev_u32_e32 v52, 28, v64
	v_lshlrev_b64 v[52:53], v52, v[46:47]
	v_lshrrev_b32_e32 v63, 3, v44
	v_sub_u32_e32 v53, 29, v64
	v_and_b32_e32 v52, 7, v52
	v_cmp_gt_u32_e32 vcc, 8, v44
	v_cndmask_b32_e32 v44, v63, v53, vcc
	v_cndmask_b32_e32 v51, v51, v52, vcc
	v_lshlrev_b32_e32 v46, 24, v46
	v_lshlrev_b32_e32 v51, 20, v51
	v_and_b32_e32 v46, 0x80000000, v46
	v_lshl_add_u32 v44, v44, 23, v45
	v_or3_b32 v44, v46, v44, v51
	v_lshrrev_b32_e32 v51, 16, v44
.LBB961_427:                            ;   in Loop: Header=BB961_213 Depth=1
	s_or_b64 exec, exec, s[18:19]
.LBB961_428:                            ;   in Loop: Header=BB961_213 Depth=1
	s_or_b64 exec, exec, s[16:17]
.LBB961_429:                            ;   in Loop: Header=BB961_213 Depth=1
	s_or_b64 exec, exec, s[14:15]
	s_waitcnt vmcnt(2)
	v_cmp_ne_u16_sdwa s[16:17], v42, v43 src0_sel:BYTE_0 src1_sel:DWORD
	s_and_saveexec_b64 s[14:15], s[16:17]
	s_cbranch_execz .LBB961_435
; %bb.430:                              ;   in Loop: Header=BB961_213 Depth=1
	v_cmp_ne_u16_sdwa s[18:19], v42, s9 src0_sel:BYTE_0 src1_sel:DWORD
	v_mov_b32_e32 v50, 0xffff8000
	s_and_saveexec_b64 s[16:17], s[18:19]
	s_cbranch_execz .LBB961_434
; %bb.431:                              ;   in Loop: Header=BB961_213 Depth=1
	v_and_b32_e32 v44, 0x7f, v42
	v_cmp_ne_u32_e32 vcc, s23, v44
	v_mov_b32_e32 v50, 0x7f80
	s_and_saveexec_b64 s[18:19], vcc
	s_cbranch_execz .LBB961_433
; %bb.432:                              ;   in Loop: Header=BB961_213 Depth=1
	v_and_b32_e32 v46, 7, v42
	v_ffbh_u32_e32 v52, v46
	v_min_u32_e32 v63, 32, v52
	v_subrev_u32_e32 v52, 28, v63
	v_lshlrev_b64 v[52:53], v52, v[42:43]
	v_lshrrev_b32_e32 v50, 3, v44
	v_sub_u32_e32 v53, 29, v63
	v_and_b32_e32 v52, 7, v52
	v_cmp_gt_u32_e32 vcc, 8, v44
	v_cndmask_b32_e32 v44, v50, v53, vcc
	v_cndmask_b32_e32 v46, v46, v52, vcc
	v_lshlrev_b32_e32 v50, 24, v42
	v_lshlrev_b32_e32 v46, 20, v46
	v_and_b32_e32 v50, 0x80000000, v50
	v_lshl_add_u32 v44, v44, 23, v45
	v_or3_b32 v44, v50, v44, v46
	v_lshrrev_b32_e32 v50, 16, v44
.LBB961_433:                            ;   in Loop: Header=BB961_213 Depth=1
	s_or_b64 exec, exec, s[18:19]
.LBB961_434:                            ;   in Loop: Header=BB961_213 Depth=1
	s_or_b64 exec, exec, s[16:17]
.LBB961_435:                            ;   in Loop: Header=BB961_213 Depth=1
	s_or_b64 exec, exec, s[14:15]
	v_lshrrev_b16_e32 v44, 8, v42
	v_cmp_ne_u16_e32 vcc, 0, v44
	v_mov_b32_e32 v53, 0
	v_mov_b32_e32 v52, 0
	s_and_saveexec_b64 s[14:15], vcc
	s_cbranch_execz .LBB961_441
; %bb.436:                              ;   in Loop: Header=BB961_213 Depth=1
	v_cmp_ne_u16_e32 vcc, s9, v44
	v_mov_b32_e32 v52, 0xffff8000
	s_and_saveexec_b64 s[16:17], vcc
	s_cbranch_execz .LBB961_440
; %bb.437:                              ;   in Loop: Header=BB961_213 Depth=1
	v_and_b32_e32 v46, 0x7f, v44
	v_cmp_ne_u32_e32 vcc, s23, v46
	v_mov_b32_e32 v52, 0x7f80
	s_and_saveexec_b64 s[18:19], vcc
	s_cbranch_execz .LBB961_439
; %bb.438:                              ;   in Loop: Header=BB961_213 Depth=1
	v_and_b32_e32 v52, 7, v44
	v_ffbh_u32_e32 v64, v52
	v_min_u32_e32 v66, 32, v64
	v_subrev_u32_e32 v64, 28, v66
	v_lshlrev_b64 v[64:65], v64, v[44:45]
	v_lshrrev_b32_e32 v63, 3, v46
	v_sub_u32_e32 v44, 29, v66
	v_and_b32_e32 v64, 7, v64
	v_cmp_gt_u32_e32 vcc, 8, v46
	v_cndmask_b32_e32 v44, v63, v44, vcc
	v_cndmask_b32_e32 v46, v52, v64, vcc
	v_lshlrev_b32_e32 v52, 16, v42
	v_lshlrev_b32_e32 v46, 20, v46
	v_and_b32_e32 v52, 0x80000000, v52
	v_lshl_add_u32 v44, v44, 23, v45
	v_or3_b32 v44, v52, v44, v46
	v_lshrrev_b32_e32 v52, 16, v44
.LBB961_439:                            ;   in Loop: Header=BB961_213 Depth=1
	s_or_b64 exec, exec, s[18:19]
.LBB961_440:                            ;   in Loop: Header=BB961_213 Depth=1
	s_or_b64 exec, exec, s[16:17]
.LBB961_441:                            ;   in Loop: Header=BB961_213 Depth=1
	s_or_b64 exec, exec, s[14:15]
	v_lshrrev_b32_e32 v44, 16, v42
	v_cmp_ne_u16_sdwa s[16:17], v44, v43 src0_sel:BYTE_0 src1_sel:DWORD
	s_and_saveexec_b64 s[14:15], s[16:17]
	s_cbranch_execz .LBB961_447
; %bb.442:                              ;   in Loop: Header=BB961_213 Depth=1
	v_cmp_ne_u16_sdwa s[18:19], v44, s9 src0_sel:BYTE_0 src1_sel:DWORD
	v_mov_b32_e32 v53, 0xffff8000
	s_and_saveexec_b64 s[16:17], s[18:19]
	s_cbranch_execz .LBB961_446
; %bb.443:                              ;   in Loop: Header=BB961_213 Depth=1
	v_bfe_u32 v46, v42, 16, 7
	v_cmp_ne_u32_e32 vcc, s23, v46
	v_mov_b32_e32 v53, 0x7f80
	s_and_saveexec_b64 s[18:19], vcc
	s_cbranch_execz .LBB961_445
; %bb.444:                              ;   in Loop: Header=BB961_213 Depth=1
	v_and_b32_e32 v53, 7, v44
	v_ffbh_u32_e32 v64, v53
	v_min_u32_e32 v66, 32, v64
	v_subrev_u32_e32 v64, 28, v66
	v_lshlrev_b64 v[64:65], v64, v[44:45]
	v_lshrrev_b32_e32 v63, 3, v46
	v_sub_u32_e32 v65, 29, v66
	v_and_b32_e32 v64, 7, v64
	v_cmp_gt_u32_e32 vcc, 8, v46
	v_cndmask_b32_e32 v46, v63, v65, vcc
	v_cndmask_b32_e32 v53, v53, v64, vcc
	v_lshlrev_b32_e32 v44, 24, v44
	v_lshlrev_b32_e32 v53, 20, v53
	v_and_b32_e32 v44, 0x80000000, v44
	v_lshl_add_u32 v46, v46, 23, v45
	v_or3_b32 v44, v44, v46, v53
	v_lshrrev_b32_e32 v53, 16, v44
.LBB961_445:                            ;   in Loop: Header=BB961_213 Depth=1
	s_or_b64 exec, exec, s[18:19]
.LBB961_446:                            ;   in Loop: Header=BB961_213 Depth=1
	s_or_b64 exec, exec, s[16:17]
.LBB961_447:                            ;   in Loop: Header=BB961_213 Depth=1
	s_or_b64 exec, exec, s[14:15]
	v_cmp_lt_u32_e32 vcc, s24, v42
	v_mov_b32_e32 v46, 0
	v_mov_b32_e32 v63, 0
	s_and_saveexec_b64 s[14:15], vcc
	s_cbranch_execz .LBB961_453
; %bb.448:                              ;   in Loop: Header=BB961_213 Depth=1
	v_lshrrev_b32_e32 v44, 24, v42
	v_cmp_ne_u32_e32 vcc, s9, v44
	v_mov_b32_e32 v63, 0xffff8000
	s_and_saveexec_b64 s[16:17], vcc
	s_cbranch_execz .LBB961_452
; %bb.449:                              ;   in Loop: Header=BB961_213 Depth=1
	v_bfe_u32 v42, v42, 24, 7
	v_cmp_ne_u32_e32 vcc, s23, v42
	v_mov_b32_e32 v63, 0x7f80
	s_and_saveexec_b64 s[18:19], vcc
	s_cbranch_execz .LBB961_451
; %bb.450:                              ;   in Loop: Header=BB961_213 Depth=1
	v_and_b32_e32 v63, 7, v44
	v_ffbh_u32_e32 v64, v63
	v_min_u32_e32 v67, 32, v64
	v_subrev_u32_e32 v64, 28, v67
	v_lshlrev_b64 v[64:65], v64, v[44:45]
	v_lshrrev_b32_e32 v66, 3, v42
	v_sub_u32_e32 v65, 29, v67
	v_and_b32_e32 v64, 7, v64
	v_cmp_gt_u32_e32 vcc, 8, v42
	v_cndmask_b32_e32 v42, v66, v65, vcc
	v_cndmask_b32_e32 v63, v63, v64, vcc
	v_lshlrev_b32_e32 v44, 24, v44
	v_lshlrev_b32_e32 v63, 20, v63
	v_and_b32_e32 v44, 0x80000000, v44
	v_lshl_add_u32 v42, v42, 23, v45
	v_or3_b32 v42, v44, v42, v63
	v_lshrrev_b32_e32 v63, 16, v42
.LBB961_451:                            ;   in Loop: Header=BB961_213 Depth=1
	s_or_b64 exec, exec, s[18:19]
.LBB961_452:                            ;   in Loop: Header=BB961_213 Depth=1
	s_or_b64 exec, exec, s[16:17]
.LBB961_453:                            ;   in Loop: Header=BB961_213 Depth=1
	s_or_b64 exec, exec, s[14:15]
	v_perm_b32 v49, v51, v49, s25
	v_perm_b32 v48, v48, v47, s25
	s_waitcnt vmcnt(1)
	v_cmp_ne_u16_sdwa s[16:17], v40, v43 src0_sel:BYTE_0 src1_sel:DWORD
	v_mfma_f32_16x16x16bf16_1k v[34:37], v[48:49], v[18:19], v[34:37]
	v_perm_b32 v49, v63, v53, s25
	v_perm_b32 v48, v52, v50, s25
	s_nop 1
	v_mfma_f32_16x16x16bf16_1k v[34:37], v[48:49], v[20:21], v[34:37]
	s_and_saveexec_b64 s[14:15], s[16:17]
	s_cbranch_execz .LBB961_459
; %bb.454:                              ;   in Loop: Header=BB961_213 Depth=1
	v_cmp_ne_u16_sdwa s[18:19], v40, s9 src0_sel:BYTE_0 src1_sel:DWORD
	v_mov_b32_e32 v46, 0xffff8000
	s_and_saveexec_b64 s[16:17], s[18:19]
	s_cbranch_execz .LBB961_458
; %bb.455:                              ;   in Loop: Header=BB961_213 Depth=1
	v_and_b32_e32 v42, 0x7f, v40
	v_cmp_ne_u32_e32 vcc, s23, v42
	v_mov_b32_e32 v46, 0x7f80
	s_and_saveexec_b64 s[18:19], vcc
	s_cbranch_execz .LBB961_457
; %bb.456:                              ;   in Loop: Header=BB961_213 Depth=1
	v_and_b32_e32 v44, 7, v40
	v_ffbh_u32_e32 v46, v44
	v_min_u32_e32 v49, 32, v46
	v_subrev_u32_e32 v46, 28, v49
	v_lshlrev_b64 v[46:47], v46, v[40:41]
	v_lshrrev_b32_e32 v48, 3, v42
	v_sub_u32_e32 v47, 29, v49
	v_and_b32_e32 v46, 7, v46
	v_cmp_gt_u32_e32 vcc, 8, v42
	v_cndmask_b32_e32 v42, v48, v47, vcc
	v_cndmask_b32_e32 v44, v44, v46, vcc
	v_lshlrev_b32_e32 v46, 24, v40
	v_lshlrev_b32_e32 v44, 20, v44
	v_and_b32_e32 v46, 0x80000000, v46
	v_lshl_add_u32 v42, v42, 23, v45
	v_or3_b32 v42, v46, v42, v44
	v_lshrrev_b32_e32 v46, 16, v42
.LBB961_457:                            ;   in Loop: Header=BB961_213 Depth=1
	s_or_b64 exec, exec, s[18:19]
.LBB961_458:                            ;   in Loop: Header=BB961_213 Depth=1
	s_or_b64 exec, exec, s[16:17]
.LBB961_459:                            ;   in Loop: Header=BB961_213 Depth=1
	s_or_b64 exec, exec, s[14:15]
	v_lshrrev_b16_e32 v42, 8, v40
	v_cmp_ne_u16_e32 vcc, 0, v42
	v_mov_b32_e32 v48, 0
	v_mov_b32_e32 v44, 0
	s_and_saveexec_b64 s[14:15], vcc
	s_cbranch_execz .LBB961_465
; %bb.460:                              ;   in Loop: Header=BB961_213 Depth=1
	v_cmp_ne_u16_e32 vcc, s9, v42
	v_mov_b32_e32 v44, 0xffff8000
	s_and_saveexec_b64 s[16:17], vcc
	s_cbranch_execz .LBB961_464
; %bb.461:                              ;   in Loop: Header=BB961_213 Depth=1
	v_and_b32_e32 v47, 0x7f, v42
	v_cmp_ne_u32_e32 vcc, s23, v47
	v_mov_b32_e32 v44, 0x7f80
	s_and_saveexec_b64 s[18:19], vcc
	s_cbranch_execz .LBB961_463
; %bb.462:                              ;   in Loop: Header=BB961_213 Depth=1
	v_and_b32_e32 v44, 7, v42
	v_ffbh_u32_e32 v50, v44
	v_min_u32_e32 v52, 32, v50
	v_subrev_u32_e32 v50, 28, v52
	v_lshlrev_b64 v[50:51], v50, v[42:43]
	v_lshrrev_b32_e32 v49, 3, v47
	v_sub_u32_e32 v42, 29, v52
	v_and_b32_e32 v50, 7, v50
	v_cmp_gt_u32_e32 vcc, 8, v47
	v_cndmask_b32_e32 v42, v49, v42, vcc
	v_cndmask_b32_e32 v44, v44, v50, vcc
	v_lshlrev_b32_e32 v47, 16, v40
	v_lshlrev_b32_e32 v44, 20, v44
	v_and_b32_e32 v47, 0x80000000, v47
	v_lshl_add_u32 v42, v42, 23, v45
	v_or3_b32 v42, v47, v42, v44
	v_lshrrev_b32_e32 v44, 16, v42
.LBB961_463:                            ;   in Loop: Header=BB961_213 Depth=1
	s_or_b64 exec, exec, s[18:19]
.LBB961_464:                            ;   in Loop: Header=BB961_213 Depth=1
	s_or_b64 exec, exec, s[16:17]
.LBB961_465:                            ;   in Loop: Header=BB961_213 Depth=1
	s_or_b64 exec, exec, s[14:15]
	v_lshrrev_b32_e32 v42, 16, v40
	v_cmp_ne_u16_sdwa s[16:17], v42, v43 src0_sel:BYTE_0 src1_sel:DWORD
	s_and_saveexec_b64 s[14:15], s[16:17]
	s_cbranch_execz .LBB961_471
; %bb.466:                              ;   in Loop: Header=BB961_213 Depth=1
	v_cmp_ne_u16_sdwa s[18:19], v42, s9 src0_sel:BYTE_0 src1_sel:DWORD
	v_mov_b32_e32 v48, 0xffff8000
	s_and_saveexec_b64 s[16:17], s[18:19]
	s_cbranch_execz .LBB961_470
; %bb.467:                              ;   in Loop: Header=BB961_213 Depth=1
	v_bfe_u32 v47, v40, 16, 7
	v_cmp_ne_u32_e32 vcc, s23, v47
	v_mov_b32_e32 v48, 0x7f80
	s_and_saveexec_b64 s[18:19], vcc
	s_cbranch_execz .LBB961_469
; %bb.468:                              ;   in Loop: Header=BB961_213 Depth=1
	v_and_b32_e32 v50, 7, v42
	v_ffbh_u32_e32 v48, v50
	v_min_u32_e32 v52, 32, v48
	v_subrev_u32_e32 v48, 28, v52
	v_lshlrev_b64 v[48:49], v48, v[42:43]
	v_lshrrev_b32_e32 v51, 3, v47
	v_sub_u32_e32 v49, 29, v52
	v_and_b32_e32 v48, 7, v48
	v_cmp_gt_u32_e32 vcc, 8, v47
	v_cndmask_b32_e32 v47, v51, v49, vcc
	v_cndmask_b32_e32 v48, v50, v48, vcc
	v_lshlrev_b32_e32 v42, 24, v42
	v_lshlrev_b32_e32 v48, 20, v48
	v_and_b32_e32 v42, 0x80000000, v42
	v_lshl_add_u32 v47, v47, 23, v45
	v_or3_b32 v42, v42, v47, v48
	v_lshrrev_b32_e32 v48, 16, v42
.LBB961_469:                            ;   in Loop: Header=BB961_213 Depth=1
	s_or_b64 exec, exec, s[18:19]
.LBB961_470:                            ;   in Loop: Header=BB961_213 Depth=1
	s_or_b64 exec, exec, s[16:17]
.LBB961_471:                            ;   in Loop: Header=BB961_213 Depth=1
	s_or_b64 exec, exec, s[14:15]
	v_cmp_lt_u32_e32 vcc, s24, v40
	v_mov_b32_e32 v49, 0
	v_mov_b32_e32 v50, 0
	s_and_saveexec_b64 s[14:15], vcc
	s_cbranch_execz .LBB961_477
; %bb.472:                              ;   in Loop: Header=BB961_213 Depth=1
	v_lshrrev_b32_e32 v42, 24, v40
	v_cmp_ne_u32_e32 vcc, s9, v42
	v_mov_b32_e32 v50, 0xffff8000
	s_and_saveexec_b64 s[16:17], vcc
	s_cbranch_execz .LBB961_476
; %bb.473:                              ;   in Loop: Header=BB961_213 Depth=1
	v_bfe_u32 v40, v40, 24, 7
	v_cmp_ne_u32_e32 vcc, s23, v40
	v_mov_b32_e32 v50, 0x7f80
	s_and_saveexec_b64 s[18:19], vcc
	s_cbranch_execz .LBB961_475
; %bb.474:                              ;   in Loop: Header=BB961_213 Depth=1
	v_and_b32_e32 v47, 7, v42
	v_ffbh_u32_e32 v50, v47
	v_min_u32_e32 v53, 32, v50
	v_subrev_u32_e32 v50, 28, v53
	v_lshlrev_b64 v[50:51], v50, v[42:43]
	v_lshrrev_b32_e32 v52, 3, v40
	v_sub_u32_e32 v51, 29, v53
	v_and_b32_e32 v50, 7, v50
	v_cmp_gt_u32_e32 vcc, 8, v40
	v_cndmask_b32_e32 v40, v52, v51, vcc
	v_cndmask_b32_e32 v47, v47, v50, vcc
	v_lshlrev_b32_e32 v42, 24, v42
	v_lshlrev_b32_e32 v47, 20, v47
	v_and_b32_e32 v42, 0x80000000, v42
	v_lshl_add_u32 v40, v40, 23, v45
	v_or3_b32 v40, v42, v40, v47
	v_lshrrev_b32_e32 v50, 16, v40
.LBB961_475:                            ;   in Loop: Header=BB961_213 Depth=1
	s_or_b64 exec, exec, s[18:19]
.LBB961_476:                            ;   in Loop: Header=BB961_213 Depth=1
	s_or_b64 exec, exec, s[16:17]
.LBB961_477:                            ;   in Loop: Header=BB961_213 Depth=1
	s_or_b64 exec, exec, s[14:15]
	s_waitcnt vmcnt(0)
	v_cmp_ne_u16_sdwa s[16:17], v38, v43 src0_sel:BYTE_0 src1_sel:DWORD
	s_and_saveexec_b64 s[14:15], s[16:17]
	s_cbranch_execz .LBB961_483
; %bb.478:                              ;   in Loop: Header=BB961_213 Depth=1
	v_cmp_ne_u16_sdwa s[18:19], v38, s9 src0_sel:BYTE_0 src1_sel:DWORD
	v_mov_b32_e32 v49, 0xffff8000
	s_and_saveexec_b64 s[16:17], s[18:19]
	s_cbranch_execz .LBB961_482
; %bb.479:                              ;   in Loop: Header=BB961_213 Depth=1
	v_and_b32_e32 v40, 0x7f, v38
	v_cmp_ne_u32_e32 vcc, s23, v40
	v_mov_b32_e32 v49, 0x7f80
	s_and_saveexec_b64 s[18:19], vcc
	s_cbranch_execz .LBB961_481
; %bb.480:                              ;   in Loop: Header=BB961_213 Depth=1
	v_and_b32_e32 v42, 7, v38
	v_ffbh_u32_e32 v49, v42
	v_min_u32_e32 v49, 32, v49
	v_subrev_u32_e32 v51, 28, v49
	v_lshlrev_b64 v[52:53], v51, v[38:39]
	v_lshrrev_b32_e32 v47, 3, v40
	v_sub_u32_e32 v49, 29, v49
	v_and_b32_e32 v51, 7, v52
	v_cmp_gt_u32_e32 vcc, 8, v40
	v_cndmask_b32_e32 v40, v47, v49, vcc
	v_cndmask_b32_e32 v42, v42, v51, vcc
	v_lshlrev_b32_e32 v47, 24, v38
	v_lshlrev_b32_e32 v42, 20, v42
	v_and_b32_e32 v47, 0x80000000, v47
	v_lshl_add_u32 v40, v40, 23, v45
	v_or3_b32 v40, v47, v40, v42
	v_lshrrev_b32_e32 v49, 16, v40
.LBB961_481:                            ;   in Loop: Header=BB961_213 Depth=1
	s_or_b64 exec, exec, s[18:19]
.LBB961_482:                            ;   in Loop: Header=BB961_213 Depth=1
	s_or_b64 exec, exec, s[16:17]
.LBB961_483:                            ;   in Loop: Header=BB961_213 Depth=1
	s_or_b64 exec, exec, s[14:15]
	v_lshrrev_b16_e32 v40, 8, v38
	v_cmp_ne_u16_e32 vcc, 0, v40
	v_mov_b32_e32 v52, 0
	v_mov_b32_e32 v51, 0
	s_and_saveexec_b64 s[14:15], vcc
	s_cbranch_execz .LBB961_489
; %bb.484:                              ;   in Loop: Header=BB961_213 Depth=1
	v_cmp_ne_u16_e32 vcc, s9, v40
	v_mov_b32_e32 v51, 0xffff8000
	s_and_saveexec_b64 s[16:17], vcc
	s_cbranch_execz .LBB961_488
; %bb.485:                              ;   in Loop: Header=BB961_213 Depth=1
	v_and_b32_e32 v42, 0x7f, v40
	v_cmp_ne_u32_e32 vcc, s23, v42
	v_mov_b32_e32 v51, 0x7f80
	s_and_saveexec_b64 s[18:19], vcc
	s_cbranch_execz .LBB961_487
; %bb.486:                              ;   in Loop: Header=BB961_213 Depth=1
	v_and_b32_e32 v47, 7, v40
	v_ffbh_u32_e32 v53, v47
	v_min_u32_e32 v53, 32, v53
	v_subrev_u32_e32 v63, 28, v53
	v_lshlrev_b64 v[64:65], v63, v[40:41]
	v_lshrrev_b32_e32 v51, 3, v42
	v_sub_u32_e32 v40, 29, v53
	v_and_b32_e32 v53, 7, v64
	v_cmp_gt_u32_e32 vcc, 8, v42
	v_cndmask_b32_e32 v40, v51, v40, vcc
	v_cndmask_b32_e32 v42, v47, v53, vcc
	v_lshlrev_b32_e32 v47, 16, v38
	v_lshlrev_b32_e32 v42, 20, v42
	v_and_b32_e32 v47, 0x80000000, v47
	v_lshl_add_u32 v40, v40, 23, v45
	v_or3_b32 v40, v47, v40, v42
	v_lshrrev_b32_e32 v51, 16, v40
.LBB961_487:                            ;   in Loop: Header=BB961_213 Depth=1
	s_or_b64 exec, exec, s[18:19]
.LBB961_488:                            ;   in Loop: Header=BB961_213 Depth=1
	s_or_b64 exec, exec, s[16:17]
.LBB961_489:                            ;   in Loop: Header=BB961_213 Depth=1
	s_or_b64 exec, exec, s[14:15]
	v_lshrrev_b32_e32 v40, 16, v38
	v_cmp_ne_u16_sdwa s[16:17], v40, v43 src0_sel:BYTE_0 src1_sel:DWORD
	s_and_saveexec_b64 s[14:15], s[16:17]
	s_cbranch_execz .LBB961_495
; %bb.490:                              ;   in Loop: Header=BB961_213 Depth=1
	v_cmp_ne_u16_sdwa s[18:19], v40, s9 src0_sel:BYTE_0 src1_sel:DWORD
	v_mov_b32_e32 v52, 0xffff8000
	s_and_saveexec_b64 s[16:17], s[18:19]
	s_cbranch_execz .LBB961_494
; %bb.491:                              ;   in Loop: Header=BB961_213 Depth=1
	v_bfe_u32 v42, v38, 16, 7
	v_cmp_ne_u32_e32 vcc, s23, v42
	v_mov_b32_e32 v52, 0x7f80
	s_and_saveexec_b64 s[18:19], vcc
	s_cbranch_execz .LBB961_493
; %bb.492:                              ;   in Loop: Header=BB961_213 Depth=1
	v_and_b32_e32 v47, 7, v40
	v_ffbh_u32_e32 v52, v47
	v_min_u32_e32 v64, 32, v52
	v_subrev_u32_e32 v52, 28, v64
	v_lshlrev_b64 v[52:53], v52, v[40:41]
	v_lshrrev_b32_e32 v63, 3, v42
	v_sub_u32_e32 v53, 29, v64
	v_and_b32_e32 v52, 7, v52
	v_cmp_gt_u32_e32 vcc, 8, v42
	v_cndmask_b32_e32 v42, v63, v53, vcc
	v_cndmask_b32_e32 v47, v47, v52, vcc
	v_lshlrev_b32_e32 v40, 24, v40
	v_lshlrev_b32_e32 v47, 20, v47
	v_and_b32_e32 v40, 0x80000000, v40
	v_lshl_add_u32 v42, v42, 23, v45
	v_or3_b32 v40, v40, v42, v47
	v_lshrrev_b32_e32 v52, 16, v40
.LBB961_493:                            ;   in Loop: Header=BB961_213 Depth=1
	s_or_b64 exec, exec, s[18:19]
.LBB961_494:                            ;   in Loop: Header=BB961_213 Depth=1
	s_or_b64 exec, exec, s[16:17]
.LBB961_495:                            ;   in Loop: Header=BB961_213 Depth=1
	s_or_b64 exec, exec, s[14:15]
	v_cmp_lt_u32_e32 vcc, s24, v38
	v_mov_b32_e32 v47, 0
	v_mov_b32_e32 v53, 0
	s_and_saveexec_b64 s[14:15], vcc
	s_cbranch_execz .LBB961_501
; %bb.496:                              ;   in Loop: Header=BB961_213 Depth=1
	v_lshrrev_b32_e32 v40, 24, v38
	v_cmp_ne_u32_e32 vcc, s9, v40
	v_mov_b32_e32 v53, 0xffff8000
	s_and_saveexec_b64 s[16:17], vcc
	s_cbranch_execz .LBB961_500
; %bb.497:                              ;   in Loop: Header=BB961_213 Depth=1
	v_bfe_u32 v38, v38, 24, 7
	v_cmp_ne_u32_e32 vcc, s23, v38
	v_mov_b32_e32 v53, 0x7f80
	s_and_saveexec_b64 s[18:19], vcc
	s_cbranch_execz .LBB961_499
; %bb.498:                              ;   in Loop: Header=BB961_213 Depth=1
	v_and_b32_e32 v42, 7, v40
	v_ffbh_u32_e32 v63, v42
	v_min_u32_e32 v63, 32, v63
	v_subrev_u32_e32 v64, 28, v63
	v_lshlrev_b64 v[64:65], v64, v[40:41]
	v_lshrrev_b32_e32 v53, 3, v38
	v_sub_u32_e32 v63, 29, v63
	v_and_b32_e32 v64, 7, v64
	v_cmp_gt_u32_e32 vcc, 8, v38
	v_cndmask_b32_e32 v38, v53, v63, vcc
	v_cndmask_b32_e32 v42, v42, v64, vcc
	v_lshlrev_b32_e32 v40, 24, v40
	v_lshlrev_b32_e32 v42, 20, v42
	v_and_b32_e32 v40, 0x80000000, v40
	v_lshl_add_u32 v38, v38, 23, v45
	v_or3_b32 v38, v40, v38, v42
	v_lshrrev_b32_e32 v53, 16, v38
.LBB961_499:                            ;   in Loop: Header=BB961_213 Depth=1
	s_or_b64 exec, exec, s[18:19]
.LBB961_500:                            ;   in Loop: Header=BB961_213 Depth=1
	s_or_b64 exec, exec, s[16:17]
.LBB961_501:                            ;   in Loop: Header=BB961_213 Depth=1
	s_or_b64 exec, exec, s[14:15]
	v_perm_b32 v64, v44, v46, s25
	buffer_load_dword v44, v62, s[0:3], 0 offen
	buffer_load_dword v42, v62, s[0:3], 0 offen offset:4
	buffer_load_dword v40, v62, s[0:3], 0 offen offset:8
	;; [unrolled: 1-line block ×3, first 2 shown]
	v_perm_b32 v65, v50, v48, s25
	v_perm_b32 v53, v53, v52, s25
	;; [unrolled: 1-line block ×3, first 2 shown]
	v_mfma_f32_16x16x16bf16_1k v[34:37], v[64:65], v[22:23], v[34:37]
	s_waitcnt vmcnt(3)
	v_cmp_ne_u16_sdwa s[16:17], v44, v43 src0_sel:BYTE_0 src1_sel:DWORD
	v_mfma_f32_16x16x16bf16_1k v[34:37], v[52:53], v[24:25], v[34:37]
	s_and_saveexec_b64 s[14:15], s[16:17]
	s_cbranch_execz .LBB961_507
; %bb.502:                              ;   in Loop: Header=BB961_213 Depth=1
	v_cmp_ne_u16_sdwa s[18:19], v44, s9 src0_sel:BYTE_0 src1_sel:DWORD
	v_mov_b32_e32 v47, 0xffff8000
	s_and_saveexec_b64 s[16:17], s[18:19]
	s_cbranch_execz .LBB961_506
; %bb.503:                              ;   in Loop: Header=BB961_213 Depth=1
	v_and_b32_e32 v46, 0x7f, v44
	v_cmp_ne_u32_e32 vcc, s23, v46
	v_mov_b32_e32 v47, 0x7f80
	s_and_saveexec_b64 s[18:19], vcc
	s_cbranch_execz .LBB961_505
; %bb.504:                              ;   in Loop: Header=BB961_213 Depth=1
	v_and_b32_e32 v47, 7, v44
	v_ffbh_u32_e32 v48, v47
	v_min_u32_e32 v51, 32, v48
	v_subrev_u32_e32 v48, 28, v51
	v_lshlrev_b64 v[48:49], v48, v[44:45]
	v_lshrrev_b32_e32 v50, 3, v46
	v_sub_u32_e32 v49, 29, v51
	v_and_b32_e32 v48, 7, v48
	v_cmp_gt_u32_e32 vcc, 8, v46
	v_cndmask_b32_e32 v46, v50, v49, vcc
	v_cndmask_b32_e32 v47, v47, v48, vcc
	v_lshlrev_b32_e32 v48, 24, v44
	v_lshlrev_b32_e32 v47, 20, v47
	v_and_b32_e32 v48, 0x80000000, v48
	v_lshl_add_u32 v46, v46, 23, v45
	v_or3_b32 v46, v48, v46, v47
	v_lshrrev_b32_e32 v47, 16, v46
.LBB961_505:                            ;   in Loop: Header=BB961_213 Depth=1
	s_or_b64 exec, exec, s[18:19]
.LBB961_506:                            ;   in Loop: Header=BB961_213 Depth=1
	s_or_b64 exec, exec, s[16:17]
.LBB961_507:                            ;   in Loop: Header=BB961_213 Depth=1
	s_or_b64 exec, exec, s[14:15]
	v_lshrrev_b16_e32 v46, 8, v44
	v_cmp_ne_u16_e32 vcc, 0, v46
	v_mov_b32_e32 v49, 0
	v_mov_b32_e32 v48, 0
	s_and_saveexec_b64 s[14:15], vcc
	s_cbranch_execz .LBB961_513
; %bb.508:                              ;   in Loop: Header=BB961_213 Depth=1
	v_cmp_ne_u16_e32 vcc, s9, v46
	v_mov_b32_e32 v48, 0xffff8000
	s_and_saveexec_b64 s[16:17], vcc
	s_cbranch_execz .LBB961_512
; %bb.509:                              ;   in Loop: Header=BB961_213 Depth=1
	v_and_b32_e32 v50, 0x7f, v46
	v_cmp_ne_u32_e32 vcc, s23, v50
	v_mov_b32_e32 v48, 0x7f80
	s_and_saveexec_b64 s[18:19], vcc
	s_cbranch_execz .LBB961_511
; %bb.510:                              ;   in Loop: Header=BB961_213 Depth=1
	v_and_b32_e32 v48, 7, v46
	v_ffbh_u32_e32 v52, v48
	v_min_u32_e32 v62, 32, v52
	v_subrev_u32_e32 v52, 28, v62
	v_lshlrev_b64 v[52:53], v52, v[46:47]
	v_lshrrev_b32_e32 v51, 3, v50
	v_sub_u32_e32 v46, 29, v62
	v_and_b32_e32 v52, 7, v52
	v_cmp_gt_u32_e32 vcc, 8, v50
	v_cndmask_b32_e32 v46, v51, v46, vcc
	v_cndmask_b32_e32 v48, v48, v52, vcc
	v_lshlrev_b32_e32 v50, 16, v44
	v_lshlrev_b32_e32 v48, 20, v48
	v_and_b32_e32 v50, 0x80000000, v50
	v_lshl_add_u32 v46, v46, 23, v45
	v_or3_b32 v46, v50, v46, v48
	v_lshrrev_b32_e32 v48, 16, v46
.LBB961_511:                            ;   in Loop: Header=BB961_213 Depth=1
	s_or_b64 exec, exec, s[18:19]
.LBB961_512:                            ;   in Loop: Header=BB961_213 Depth=1
	s_or_b64 exec, exec, s[16:17]
.LBB961_513:                            ;   in Loop: Header=BB961_213 Depth=1
	s_or_b64 exec, exec, s[14:15]
	v_lshrrev_b32_e32 v46, 16, v44
	v_cmp_ne_u16_sdwa s[16:17], v46, v43 src0_sel:BYTE_0 src1_sel:DWORD
	s_and_saveexec_b64 s[14:15], s[16:17]
	s_cbranch_execz .LBB961_519
; %bb.514:                              ;   in Loop: Header=BB961_213 Depth=1
	v_cmp_ne_u16_sdwa s[18:19], v46, s9 src0_sel:BYTE_0 src1_sel:DWORD
	v_mov_b32_e32 v49, 0xffff8000
	s_and_saveexec_b64 s[16:17], s[18:19]
	s_cbranch_execz .LBB961_518
; %bb.515:                              ;   in Loop: Header=BB961_213 Depth=1
	v_bfe_u32 v50, v44, 16, 7
	v_cmp_ne_u32_e32 vcc, s23, v50
	v_mov_b32_e32 v49, 0x7f80
	s_and_saveexec_b64 s[18:19], vcc
	s_cbranch_execz .LBB961_517
; %bb.516:                              ;   in Loop: Header=BB961_213 Depth=1
	v_and_b32_e32 v49, 7, v46
	v_ffbh_u32_e32 v52, v49
	v_min_u32_e32 v62, 32, v52
	v_subrev_u32_e32 v52, 28, v62
	v_lshlrev_b64 v[52:53], v52, v[46:47]
	v_lshrrev_b32_e32 v51, 3, v50
	v_sub_u32_e32 v53, 29, v62
	v_and_b32_e32 v52, 7, v52
	v_cmp_gt_u32_e32 vcc, 8, v50
	v_cndmask_b32_e32 v50, v51, v53, vcc
	v_cndmask_b32_e32 v49, v49, v52, vcc
	v_lshlrev_b32_e32 v46, 24, v46
	v_lshlrev_b32_e32 v49, 20, v49
	v_and_b32_e32 v46, 0x80000000, v46
	v_lshl_add_u32 v50, v50, 23, v45
	v_or3_b32 v46, v46, v50, v49
	v_lshrrev_b32_e32 v49, 16, v46
.LBB961_517:                            ;   in Loop: Header=BB961_213 Depth=1
	s_or_b64 exec, exec, s[18:19]
.LBB961_518:                            ;   in Loop: Header=BB961_213 Depth=1
	s_or_b64 exec, exec, s[16:17]
.LBB961_519:                            ;   in Loop: Header=BB961_213 Depth=1
	s_or_b64 exec, exec, s[14:15]
	v_cmp_lt_u32_e32 vcc, s24, v44
	v_mov_b32_e32 v50, 0
	v_mov_b32_e32 v51, 0
	s_and_saveexec_b64 s[14:15], vcc
	s_cbranch_execz .LBB961_525
; %bb.520:                              ;   in Loop: Header=BB961_213 Depth=1
	v_lshrrev_b32_e32 v46, 24, v44
	v_cmp_ne_u32_e32 vcc, s9, v46
	v_mov_b32_e32 v51, 0xffff8000
	s_and_saveexec_b64 s[16:17], vcc
	s_cbranch_execz .LBB961_524
; %bb.521:                              ;   in Loop: Header=BB961_213 Depth=1
	v_bfe_u32 v44, v44, 24, 7
	v_cmp_ne_u32_e32 vcc, s23, v44
	v_mov_b32_e32 v51, 0x7f80
	s_and_saveexec_b64 s[18:19], vcc
	s_cbranch_execz .LBB961_523
; %bb.522:                              ;   in Loop: Header=BB961_213 Depth=1
	v_and_b32_e32 v51, 7, v46
	v_ffbh_u32_e32 v52, v51
	v_min_u32_e32 v63, 32, v52
	v_subrev_u32_e32 v52, 28, v63
	v_lshlrev_b64 v[52:53], v52, v[46:47]
	v_lshrrev_b32_e32 v62, 3, v44
	v_sub_u32_e32 v53, 29, v63
	v_and_b32_e32 v52, 7, v52
	v_cmp_gt_u32_e32 vcc, 8, v44
	v_cndmask_b32_e32 v44, v62, v53, vcc
	v_cndmask_b32_e32 v51, v51, v52, vcc
	v_lshlrev_b32_e32 v46, 24, v46
	v_lshlrev_b32_e32 v51, 20, v51
	v_and_b32_e32 v46, 0x80000000, v46
	v_lshl_add_u32 v44, v44, 23, v45
	v_or3_b32 v44, v46, v44, v51
	v_lshrrev_b32_e32 v51, 16, v44
.LBB961_523:                            ;   in Loop: Header=BB961_213 Depth=1
	s_or_b64 exec, exec, s[18:19]
.LBB961_524:                            ;   in Loop: Header=BB961_213 Depth=1
	s_or_b64 exec, exec, s[16:17]
.LBB961_525:                            ;   in Loop: Header=BB961_213 Depth=1
	s_or_b64 exec, exec, s[14:15]
	s_waitcnt vmcnt(2)
	v_cmp_ne_u16_sdwa s[16:17], v42, v43 src0_sel:BYTE_0 src1_sel:DWORD
	s_and_saveexec_b64 s[14:15], s[16:17]
	s_cbranch_execz .LBB961_531
; %bb.526:                              ;   in Loop: Header=BB961_213 Depth=1
	v_cmp_ne_u16_sdwa s[18:19], v42, s9 src0_sel:BYTE_0 src1_sel:DWORD
	v_mov_b32_e32 v50, 0xffff8000
	s_and_saveexec_b64 s[16:17], s[18:19]
	s_cbranch_execz .LBB961_530
; %bb.527:                              ;   in Loop: Header=BB961_213 Depth=1
	v_and_b32_e32 v44, 0x7f, v42
	v_cmp_ne_u32_e32 vcc, s23, v44
	v_mov_b32_e32 v50, 0x7f80
	s_and_saveexec_b64 s[18:19], vcc
	s_cbranch_execz .LBB961_529
; %bb.528:                              ;   in Loop: Header=BB961_213 Depth=1
	v_and_b32_e32 v46, 7, v42
	v_ffbh_u32_e32 v52, v46
	v_min_u32_e32 v62, 32, v52
	v_subrev_u32_e32 v52, 28, v62
	v_lshlrev_b64 v[52:53], v52, v[42:43]
	v_lshrrev_b32_e32 v50, 3, v44
	v_sub_u32_e32 v53, 29, v62
	v_and_b32_e32 v52, 7, v52
	v_cmp_gt_u32_e32 vcc, 8, v44
	v_cndmask_b32_e32 v44, v50, v53, vcc
	v_cndmask_b32_e32 v46, v46, v52, vcc
	v_lshlrev_b32_e32 v50, 24, v42
	v_lshlrev_b32_e32 v46, 20, v46
	v_and_b32_e32 v50, 0x80000000, v50
	v_lshl_add_u32 v44, v44, 23, v45
	v_or3_b32 v44, v50, v44, v46
	v_lshrrev_b32_e32 v50, 16, v44
.LBB961_529:                            ;   in Loop: Header=BB961_213 Depth=1
	s_or_b64 exec, exec, s[18:19]
.LBB961_530:                            ;   in Loop: Header=BB961_213 Depth=1
	s_or_b64 exec, exec, s[16:17]
.LBB961_531:                            ;   in Loop: Header=BB961_213 Depth=1
	s_or_b64 exec, exec, s[14:15]
	v_lshrrev_b16_e32 v44, 8, v42
	v_cmp_ne_u16_e32 vcc, 0, v44
	v_mov_b32_e32 v53, 0
	v_mov_b32_e32 v52, 0
	s_and_saveexec_b64 s[14:15], vcc
	s_cbranch_execz .LBB961_537
; %bb.532:                              ;   in Loop: Header=BB961_213 Depth=1
	v_cmp_ne_u16_e32 vcc, s9, v44
	v_mov_b32_e32 v52, 0xffff8000
	s_and_saveexec_b64 s[16:17], vcc
	s_cbranch_execz .LBB961_536
; %bb.533:                              ;   in Loop: Header=BB961_213 Depth=1
	v_and_b32_e32 v46, 0x7f, v44
	v_cmp_ne_u32_e32 vcc, s23, v46
	v_mov_b32_e32 v52, 0x7f80
	s_and_saveexec_b64 s[18:19], vcc
	s_cbranch_execz .LBB961_535
; %bb.534:                              ;   in Loop: Header=BB961_213 Depth=1
	v_and_b32_e32 v52, 7, v44
	v_ffbh_u32_e32 v62, v52
	v_min_u32_e32 v65, 32, v62
	v_subrev_u32_e32 v62, 28, v65
	v_lshlrev_b64 v[62:63], v62, v[44:45]
	v_lshrrev_b32_e32 v64, 3, v46
	v_sub_u32_e32 v44, 29, v65
	v_and_b32_e32 v62, 7, v62
	v_cmp_gt_u32_e32 vcc, 8, v46
	v_cndmask_b32_e32 v44, v64, v44, vcc
	v_cndmask_b32_e32 v46, v52, v62, vcc
	v_lshlrev_b32_e32 v52, 16, v42
	v_lshlrev_b32_e32 v46, 20, v46
	v_and_b32_e32 v52, 0x80000000, v52
	v_lshl_add_u32 v44, v44, 23, v45
	v_or3_b32 v44, v52, v44, v46
	v_lshrrev_b32_e32 v52, 16, v44
.LBB961_535:                            ;   in Loop: Header=BB961_213 Depth=1
	s_or_b64 exec, exec, s[18:19]
.LBB961_536:                            ;   in Loop: Header=BB961_213 Depth=1
	s_or_b64 exec, exec, s[16:17]
.LBB961_537:                            ;   in Loop: Header=BB961_213 Depth=1
	s_or_b64 exec, exec, s[14:15]
	v_lshrrev_b32_e32 v44, 16, v42
	v_cmp_ne_u16_sdwa s[16:17], v44, v43 src0_sel:BYTE_0 src1_sel:DWORD
	s_and_saveexec_b64 s[14:15], s[16:17]
	s_cbranch_execz .LBB961_543
; %bb.538:                              ;   in Loop: Header=BB961_213 Depth=1
	v_cmp_ne_u16_sdwa s[18:19], v44, s9 src0_sel:BYTE_0 src1_sel:DWORD
	v_mov_b32_e32 v53, 0xffff8000
	s_and_saveexec_b64 s[16:17], s[18:19]
	s_cbranch_execz .LBB961_542
; %bb.539:                              ;   in Loop: Header=BB961_213 Depth=1
	v_bfe_u32 v46, v42, 16, 7
	v_cmp_ne_u32_e32 vcc, s23, v46
	v_mov_b32_e32 v53, 0x7f80
	s_and_saveexec_b64 s[18:19], vcc
	s_cbranch_execz .LBB961_541
; %bb.540:                              ;   in Loop: Header=BB961_213 Depth=1
	v_and_b32_e32 v53, 7, v44
	v_ffbh_u32_e32 v62, v53
	v_min_u32_e32 v65, 32, v62
	v_subrev_u32_e32 v62, 28, v65
	v_lshlrev_b64 v[62:63], v62, v[44:45]
	v_lshrrev_b32_e32 v64, 3, v46
	v_sub_u32_e32 v63, 29, v65
	v_and_b32_e32 v62, 7, v62
	v_cmp_gt_u32_e32 vcc, 8, v46
	v_cndmask_b32_e32 v46, v64, v63, vcc
	v_cndmask_b32_e32 v53, v53, v62, vcc
	v_lshlrev_b32_e32 v44, 24, v44
	v_lshlrev_b32_e32 v53, 20, v53
	v_and_b32_e32 v44, 0x80000000, v44
	v_lshl_add_u32 v46, v46, 23, v45
	v_or3_b32 v44, v44, v46, v53
	v_lshrrev_b32_e32 v53, 16, v44
.LBB961_541:                            ;   in Loop: Header=BB961_213 Depth=1
	s_or_b64 exec, exec, s[18:19]
.LBB961_542:                            ;   in Loop: Header=BB961_213 Depth=1
	s_or_b64 exec, exec, s[16:17]
.LBB961_543:                            ;   in Loop: Header=BB961_213 Depth=1
	s_or_b64 exec, exec, s[14:15]
	v_cmp_lt_u32_e32 vcc, s24, v42
	v_mov_b32_e32 v46, 0
	v_mov_b32_e32 v62, 0
	s_and_saveexec_b64 s[14:15], vcc
	s_cbranch_execz .LBB961_549
; %bb.544:                              ;   in Loop: Header=BB961_213 Depth=1
	v_lshrrev_b32_e32 v44, 24, v42
	v_cmp_ne_u32_e32 vcc, s9, v44
	v_mov_b32_e32 v62, 0xffff8000
	s_and_saveexec_b64 s[16:17], vcc
	s_cbranch_execz .LBB961_548
; %bb.545:                              ;   in Loop: Header=BB961_213 Depth=1
	v_bfe_u32 v42, v42, 24, 7
	v_cmp_ne_u32_e32 vcc, s23, v42
	v_mov_b32_e32 v62, 0x7f80
	s_and_saveexec_b64 s[18:19], vcc
	s_cbranch_execz .LBB961_547
; %bb.546:                              ;   in Loop: Header=BB961_213 Depth=1
	v_and_b32_e32 v64, 7, v44
	v_ffbh_u32_e32 v62, v64
	v_min_u32_e32 v66, 32, v62
	v_subrev_u32_e32 v62, 28, v66
	v_lshlrev_b64 v[62:63], v62, v[44:45]
	v_lshrrev_b32_e32 v65, 3, v42
	v_sub_u32_e32 v63, 29, v66
	v_and_b32_e32 v62, 7, v62
	v_cmp_gt_u32_e32 vcc, 8, v42
	v_cndmask_b32_e32 v42, v65, v63, vcc
	v_cndmask_b32_e32 v62, v64, v62, vcc
	v_lshlrev_b32_e32 v44, 24, v44
	v_lshlrev_b32_e32 v62, 20, v62
	v_and_b32_e32 v44, 0x80000000, v44
	v_lshl_add_u32 v42, v42, 23, v45
	v_or3_b32 v42, v44, v42, v62
	v_lshrrev_b32_e32 v62, 16, v42
.LBB961_547:                            ;   in Loop: Header=BB961_213 Depth=1
	s_or_b64 exec, exec, s[18:19]
.LBB961_548:                            ;   in Loop: Header=BB961_213 Depth=1
	s_or_b64 exec, exec, s[16:17]
.LBB961_549:                            ;   in Loop: Header=BB961_213 Depth=1
	s_or_b64 exec, exec, s[14:15]
	v_perm_b32 v49, v51, v49, s25
	v_perm_b32 v48, v48, v47, s25
	s_waitcnt vmcnt(1)
	v_cmp_ne_u16_sdwa s[16:17], v40, v43 src0_sel:BYTE_0 src1_sel:DWORD
	v_mfma_f32_16x16x16bf16_1k v[34:37], v[48:49], v[26:27], v[34:37]
	v_perm_b32 v49, v62, v53, s25
	v_perm_b32 v48, v52, v50, s25
	s_nop 1
	v_mfma_f32_16x16x16bf16_1k v[34:37], v[48:49], v[28:29], v[34:37]
	s_and_saveexec_b64 s[14:15], s[16:17]
	s_cbranch_execz .LBB961_555
; %bb.550:                              ;   in Loop: Header=BB961_213 Depth=1
	v_cmp_ne_u16_sdwa s[18:19], v40, s9 src0_sel:BYTE_0 src1_sel:DWORD
	v_mov_b32_e32 v46, 0xffff8000
	s_and_saveexec_b64 s[16:17], s[18:19]
	s_cbranch_execz .LBB961_554
; %bb.551:                              ;   in Loop: Header=BB961_213 Depth=1
	v_and_b32_e32 v42, 0x7f, v40
	v_cmp_ne_u32_e32 vcc, s23, v42
	v_mov_b32_e32 v46, 0x7f80
	s_and_saveexec_b64 s[18:19], vcc
	s_cbranch_execz .LBB961_553
; %bb.552:                              ;   in Loop: Header=BB961_213 Depth=1
	v_and_b32_e32 v44, 7, v40
	v_ffbh_u32_e32 v46, v44
	v_min_u32_e32 v49, 32, v46
	v_subrev_u32_e32 v46, 28, v49
	v_lshlrev_b64 v[46:47], v46, v[40:41]
	v_lshrrev_b32_e32 v48, 3, v42
	v_sub_u32_e32 v47, 29, v49
	v_and_b32_e32 v46, 7, v46
	v_cmp_gt_u32_e32 vcc, 8, v42
	v_cndmask_b32_e32 v42, v48, v47, vcc
	v_cndmask_b32_e32 v44, v44, v46, vcc
	v_lshlrev_b32_e32 v46, 24, v40
	v_lshlrev_b32_e32 v44, 20, v44
	v_and_b32_e32 v46, 0x80000000, v46
	v_lshl_add_u32 v42, v42, 23, v45
	v_or3_b32 v42, v46, v42, v44
	v_lshrrev_b32_e32 v46, 16, v42
.LBB961_553:                            ;   in Loop: Header=BB961_213 Depth=1
	s_or_b64 exec, exec, s[18:19]
.LBB961_554:                            ;   in Loop: Header=BB961_213 Depth=1
	s_or_b64 exec, exec, s[16:17]
.LBB961_555:                            ;   in Loop: Header=BB961_213 Depth=1
	s_or_b64 exec, exec, s[14:15]
	v_lshrrev_b16_e32 v42, 8, v40
	v_cmp_ne_u16_e32 vcc, 0, v42
	v_mov_b32_e32 v47, 0
	v_mov_b32_e32 v44, 0
	s_and_saveexec_b64 s[14:15], vcc
	s_cbranch_execz .LBB961_561
; %bb.556:                              ;   in Loop: Header=BB961_213 Depth=1
	v_cmp_ne_u16_e32 vcc, s9, v42
	v_mov_b32_e32 v44, 0xffff8000
	s_and_saveexec_b64 s[16:17], vcc
	s_cbranch_execz .LBB961_560
; %bb.557:                              ;   in Loop: Header=BB961_213 Depth=1
	v_and_b32_e32 v48, 0x7f, v42
	v_cmp_ne_u32_e32 vcc, s23, v48
	v_mov_b32_e32 v44, 0x7f80
	s_and_saveexec_b64 s[18:19], vcc
	s_cbranch_execz .LBB961_559
; %bb.558:                              ;   in Loop: Header=BB961_213 Depth=1
	v_and_b32_e32 v44, 7, v42
	v_ffbh_u32_e32 v50, v44
	v_min_u32_e32 v52, 32, v50
	v_subrev_u32_e32 v50, 28, v52
	v_lshlrev_b64 v[50:51], v50, v[42:43]
	v_lshrrev_b32_e32 v49, 3, v48
	v_sub_u32_e32 v42, 29, v52
	v_and_b32_e32 v50, 7, v50
	v_cmp_gt_u32_e32 vcc, 8, v48
	v_cndmask_b32_e32 v42, v49, v42, vcc
	v_cndmask_b32_e32 v44, v44, v50, vcc
	v_lshlrev_b32_e32 v48, 16, v40
	v_lshlrev_b32_e32 v44, 20, v44
	v_and_b32_e32 v48, 0x80000000, v48
	v_lshl_add_u32 v42, v42, 23, v45
	v_or3_b32 v42, v48, v42, v44
	v_lshrrev_b32_e32 v44, 16, v42
.LBB961_559:                            ;   in Loop: Header=BB961_213 Depth=1
	s_or_b64 exec, exec, s[18:19]
.LBB961_560:                            ;   in Loop: Header=BB961_213 Depth=1
	s_or_b64 exec, exec, s[16:17]
.LBB961_561:                            ;   in Loop: Header=BB961_213 Depth=1
	s_or_b64 exec, exec, s[14:15]
	v_lshrrev_b32_e32 v42, 16, v40
	v_cmp_ne_u16_sdwa s[16:17], v42, v43 src0_sel:BYTE_0 src1_sel:DWORD
	s_and_saveexec_b64 s[14:15], s[16:17]
	s_cbranch_execz .LBB961_567
; %bb.562:                              ;   in Loop: Header=BB961_213 Depth=1
	v_cmp_ne_u16_sdwa s[18:19], v42, s9 src0_sel:BYTE_0 src1_sel:DWORD
	v_mov_b32_e32 v47, 0xffff8000
	s_and_saveexec_b64 s[16:17], s[18:19]
	s_cbranch_execz .LBB961_566
; %bb.563:                              ;   in Loop: Header=BB961_213 Depth=1
	v_bfe_u32 v48, v40, 16, 7
	v_cmp_ne_u32_e32 vcc, s23, v48
	v_mov_b32_e32 v47, 0x7f80
	s_and_saveexec_b64 s[18:19], vcc
	s_cbranch_execz .LBB961_565
; %bb.564:                              ;   in Loop: Header=BB961_213 Depth=1
	v_and_b32_e32 v47, 7, v42
	v_ffbh_u32_e32 v50, v47
	v_min_u32_e32 v52, 32, v50
	v_subrev_u32_e32 v50, 28, v52
	v_lshlrev_b64 v[50:51], v50, v[42:43]
	v_lshrrev_b32_e32 v49, 3, v48
	v_sub_u32_e32 v51, 29, v52
	v_and_b32_e32 v50, 7, v50
	v_cmp_gt_u32_e32 vcc, 8, v48
	v_cndmask_b32_e32 v48, v49, v51, vcc
	v_cndmask_b32_e32 v47, v47, v50, vcc
	v_lshlrev_b32_e32 v42, 24, v42
	v_lshlrev_b32_e32 v47, 20, v47
	v_and_b32_e32 v42, 0x80000000, v42
	v_lshl_add_u32 v48, v48, 23, v45
	v_or3_b32 v42, v42, v48, v47
	v_lshrrev_b32_e32 v47, 16, v42
.LBB961_565:                            ;   in Loop: Header=BB961_213 Depth=1
	s_or_b64 exec, exec, s[18:19]
.LBB961_566:                            ;   in Loop: Header=BB961_213 Depth=1
	s_or_b64 exec, exec, s[16:17]
.LBB961_567:                            ;   in Loop: Header=BB961_213 Depth=1
	s_or_b64 exec, exec, s[14:15]
	v_cmp_lt_u32_e32 vcc, s24, v40
	v_mov_b32_e32 v48, 0
	v_mov_b32_e32 v49, 0
	s_and_saveexec_b64 s[14:15], vcc
	s_cbranch_execz .LBB961_573
; %bb.568:                              ;   in Loop: Header=BB961_213 Depth=1
	v_lshrrev_b32_e32 v42, 24, v40
	v_cmp_ne_u32_e32 vcc, s9, v42
	v_mov_b32_e32 v49, 0xffff8000
	s_and_saveexec_b64 s[16:17], vcc
	s_cbranch_execz .LBB961_572
; %bb.569:                              ;   in Loop: Header=BB961_213 Depth=1
	v_bfe_u32 v40, v40, 24, 7
	v_cmp_ne_u32_e32 vcc, s23, v40
	v_mov_b32_e32 v49, 0x7f80
	s_and_saveexec_b64 s[18:19], vcc
	s_cbranch_execz .LBB961_571
; %bb.570:                              ;   in Loop: Header=BB961_213 Depth=1
	v_and_b32_e32 v49, 7, v42
	v_ffbh_u32_e32 v50, v49
	v_min_u32_e32 v53, 32, v50
	v_subrev_u32_e32 v50, 28, v53
	v_lshlrev_b64 v[50:51], v50, v[42:43]
	v_lshrrev_b32_e32 v52, 3, v40
	v_sub_u32_e32 v51, 29, v53
	v_and_b32_e32 v50, 7, v50
	v_cmp_gt_u32_e32 vcc, 8, v40
	v_cndmask_b32_e32 v40, v52, v51, vcc
	v_cndmask_b32_e32 v49, v49, v50, vcc
	v_lshlrev_b32_e32 v42, 24, v42
	v_lshlrev_b32_e32 v49, 20, v49
	v_and_b32_e32 v42, 0x80000000, v42
	v_lshl_add_u32 v40, v40, 23, v45
	v_or3_b32 v40, v42, v40, v49
	v_lshrrev_b32_e32 v49, 16, v40
.LBB961_571:                            ;   in Loop: Header=BB961_213 Depth=1
	s_or_b64 exec, exec, s[18:19]
.LBB961_572:                            ;   in Loop: Header=BB961_213 Depth=1
	s_or_b64 exec, exec, s[16:17]
.LBB961_573:                            ;   in Loop: Header=BB961_213 Depth=1
	s_or_b64 exec, exec, s[14:15]
	s_waitcnt vmcnt(0)
	v_cmp_ne_u16_sdwa s[16:17], v38, v43 src0_sel:BYTE_0 src1_sel:DWORD
	s_and_saveexec_b64 s[14:15], s[16:17]
	s_cbranch_execz .LBB961_579
; %bb.574:                              ;   in Loop: Header=BB961_213 Depth=1
	v_cmp_ne_u16_sdwa s[18:19], v38, s9 src0_sel:BYTE_0 src1_sel:DWORD
	v_mov_b32_e32 v48, 0xffff8000
	s_and_saveexec_b64 s[16:17], s[18:19]
	s_cbranch_execz .LBB961_578
; %bb.575:                              ;   in Loop: Header=BB961_213 Depth=1
	v_and_b32_e32 v40, 0x7f, v38
	v_cmp_ne_u32_e32 vcc, s23, v40
	v_mov_b32_e32 v48, 0x7f80
	s_and_saveexec_b64 s[18:19], vcc
	s_cbranch_execz .LBB961_577
; %bb.576:                              ;   in Loop: Header=BB961_213 Depth=1
	v_and_b32_e32 v42, 7, v38
	v_ffbh_u32_e32 v50, v42
	v_min_u32_e32 v52, 32, v50
	v_subrev_u32_e32 v50, 28, v52
	v_lshlrev_b64 v[50:51], v50, v[38:39]
	v_lshrrev_b32_e32 v48, 3, v40
	v_sub_u32_e32 v51, 29, v52
	v_and_b32_e32 v50, 7, v50
	v_cmp_gt_u32_e32 vcc, 8, v40
	v_cndmask_b32_e32 v40, v48, v51, vcc
	v_cndmask_b32_e32 v42, v42, v50, vcc
	v_lshlrev_b32_e32 v48, 24, v38
	v_lshlrev_b32_e32 v42, 20, v42
	v_and_b32_e32 v48, 0x80000000, v48
	v_lshl_add_u32 v40, v40, 23, v45
	v_or3_b32 v40, v48, v40, v42
	v_lshrrev_b32_e32 v48, 16, v40
.LBB961_577:                            ;   in Loop: Header=BB961_213 Depth=1
	s_or_b64 exec, exec, s[18:19]
.LBB961_578:                            ;   in Loop: Header=BB961_213 Depth=1
	s_or_b64 exec, exec, s[16:17]
.LBB961_579:                            ;   in Loop: Header=BB961_213 Depth=1
	s_or_b64 exec, exec, s[14:15]
	v_lshrrev_b16_e32 v40, 8, v38
	v_cmp_ne_u16_e32 vcc, 0, v40
	v_mov_b32_e32 v50, 0
	v_mov_b32_e32 v42, 0
	s_and_saveexec_b64 s[14:15], vcc
	s_cbranch_execz .LBB961_585
; %bb.580:                              ;   in Loop: Header=BB961_213 Depth=1
	v_cmp_ne_u16_e32 vcc, s9, v40
	v_mov_b32_e32 v42, 0xffff8000
	s_and_saveexec_b64 s[16:17], vcc
	s_cbranch_execz .LBB961_584
; %bb.581:                              ;   in Loop: Header=BB961_213 Depth=1
	v_and_b32_e32 v51, 0x7f, v40
	v_cmp_ne_u32_e32 vcc, s23, v51
	v_mov_b32_e32 v42, 0x7f80
	s_and_saveexec_b64 s[18:19], vcc
	s_cbranch_execz .LBB961_583
; %bb.582:                              ;   in Loop: Header=BB961_213 Depth=1
	v_and_b32_e32 v42, 7, v40
	v_ffbh_u32_e32 v52, v42
	v_min_u32_e32 v63, 32, v52
	v_subrev_u32_e32 v52, 28, v63
	v_lshlrev_b64 v[52:53], v52, v[40:41]
	v_lshrrev_b32_e32 v62, 3, v51
	v_sub_u32_e32 v40, 29, v63
	v_and_b32_e32 v52, 7, v52
	v_cmp_gt_u32_e32 vcc, 8, v51
	v_cndmask_b32_e32 v40, v62, v40, vcc
	v_cndmask_b32_e32 v42, v42, v52, vcc
	v_lshlrev_b32_e32 v51, 16, v38
	v_lshlrev_b32_e32 v42, 20, v42
	v_and_b32_e32 v51, 0x80000000, v51
	v_lshl_add_u32 v40, v40, 23, v45
	v_or3_b32 v40, v51, v40, v42
	v_lshrrev_b32_e32 v42, 16, v40
.LBB961_583:                            ;   in Loop: Header=BB961_213 Depth=1
	s_or_b64 exec, exec, s[18:19]
.LBB961_584:                            ;   in Loop: Header=BB961_213 Depth=1
	s_or_b64 exec, exec, s[16:17]
.LBB961_585:                            ;   in Loop: Header=BB961_213 Depth=1
	s_or_b64 exec, exec, s[14:15]
	v_lshrrev_b32_e32 v40, 16, v38
	v_cmp_ne_u16_sdwa s[16:17], v40, v43 src0_sel:BYTE_0 src1_sel:DWORD
	s_and_saveexec_b64 s[14:15], s[16:17]
	s_cbranch_execz .LBB961_591
; %bb.586:                              ;   in Loop: Header=BB961_213 Depth=1
	v_cmp_ne_u16_sdwa s[18:19], v40, s9 src0_sel:BYTE_0 src1_sel:DWORD
	v_mov_b32_e32 v50, 0xffff8000
	s_and_saveexec_b64 s[16:17], s[18:19]
	s_cbranch_execz .LBB961_590
; %bb.587:                              ;   in Loop: Header=BB961_213 Depth=1
	v_bfe_u32 v51, v38, 16, 7
	v_cmp_ne_u32_e32 vcc, s23, v51
	v_mov_b32_e32 v50, 0x7f80
	s_and_saveexec_b64 s[18:19], vcc
	s_cbranch_execz .LBB961_589
; %bb.588:                              ;   in Loop: Header=BB961_213 Depth=1
	v_and_b32_e32 v50, 7, v40
	v_ffbh_u32_e32 v52, v50
	v_min_u32_e32 v63, 32, v52
	v_subrev_u32_e32 v52, 28, v63
	v_lshlrev_b64 v[52:53], v52, v[40:41]
	v_lshrrev_b32_e32 v62, 3, v51
	v_sub_u32_e32 v53, 29, v63
	v_and_b32_e32 v52, 7, v52
	v_cmp_gt_u32_e32 vcc, 8, v51
	v_cndmask_b32_e32 v51, v62, v53, vcc
	v_cndmask_b32_e32 v50, v50, v52, vcc
	v_lshlrev_b32_e32 v40, 24, v40
	v_lshlrev_b32_e32 v50, 20, v50
	v_and_b32_e32 v40, 0x80000000, v40
	v_lshl_add_u32 v51, v51, 23, v45
	v_or3_b32 v40, v40, v51, v50
	v_lshrrev_b32_e32 v50, 16, v40
.LBB961_589:                            ;   in Loop: Header=BB961_213 Depth=1
	s_or_b64 exec, exec, s[18:19]
.LBB961_590:                            ;   in Loop: Header=BB961_213 Depth=1
	s_or_b64 exec, exec, s[16:17]
.LBB961_591:                            ;   in Loop: Header=BB961_213 Depth=1
	s_or_b64 exec, exec, s[14:15]
	v_cmp_lt_u32_e32 vcc, s24, v38
	v_mov_b32_e32 v51, 0
	s_and_saveexec_b64 s[14:15], vcc
	s_cbranch_execz .LBB961_212
; %bb.592:                              ;   in Loop: Header=BB961_213 Depth=1
	v_lshrrev_b32_e32 v40, 24, v38
	v_cmp_ne_u32_e32 vcc, s9, v40
	v_mov_b32_e32 v51, 0xffff8000
	s_and_saveexec_b64 s[16:17], vcc
	s_cbranch_execz .LBB961_211
; %bb.593:                              ;   in Loop: Header=BB961_213 Depth=1
	v_bfe_u32 v38, v38, 24, 7
	v_cmp_ne_u32_e32 vcc, s23, v38
	v_mov_b32_e32 v51, 0x7f80
	s_and_saveexec_b64 s[18:19], vcc
	s_cbranch_execz .LBB961_210
; %bb.594:                              ;   in Loop: Header=BB961_213 Depth=1
	v_and_b32_e32 v51, 7, v40
	v_ffbh_u32_e32 v52, v51
	v_min_u32_e32 v63, 32, v52
	v_subrev_u32_e32 v52, 28, v63
	v_lshlrev_b64 v[52:53], v52, v[40:41]
	v_lshrrev_b32_e32 v62, 3, v38
	v_sub_u32_e32 v53, 29, v63
	v_and_b32_e32 v52, 7, v52
	v_cmp_gt_u32_e32 vcc, 8, v38
	v_cndmask_b32_e32 v38, v62, v53, vcc
	v_cndmask_b32_e32 v51, v51, v52, vcc
	v_lshlrev_b32_e32 v40, 24, v40
	v_lshlrev_b32_e32 v51, 20, v51
	v_and_b32_e32 v40, 0x80000000, v40
	v_lshl_add_u32 v38, v38, 23, v45
	v_or3_b32 v38, v40, v38, v51
	v_lshrrev_b32_e32 v51, 16, v38
	s_branch .LBB961_210
.LBB961_595:
	s_barrier
	buffer_load_dword v2, off, s[0:3], 0 offset:320
	buffer_load_dword v5, off, s[0:3], 0 offset:332
	;; [unrolled: 1-line block ×4, first 2 shown]
	s_waitcnt vmcnt(0)
	ds_write2st64_b64 v39, v[2:3], v[4:5] offset1:1
	s_waitcnt lgkmcnt(0)
	s_barrier
	s_and_saveexec_b64 s[4:5], s[6:7]
	s_cbranch_execz .LBB961_597
; %bb.596:
	s_lshl_b32 s6, s54, 7
	s_mul_i32 s4, s20, s8
	s_mul_hi_u32 s5, s4, s6
	s_mul_i32 s4, s4, s6
	s_lshl_b64 s[4:5], s[4:5], 1
	s_add_u32 s7, s52, s4
	v_lshlrev_b32_e32 v3, 6, v55
	s_addc_u32 s8, s53, s5
	s_lshl_b32 s4, s26, 7
	s_mov_b32 s5, 0
	v_lshl_or_b32 v0, v0, 10, v3
	s_lshl_b64 s[4:5], s[4:5], 1
	v_and_b32_e32 v2, 16, v57
	v_and_b32_e32 v0, 0x1a00, v0
	s_add_u32 s7, s7, s4
	v_or3_b32 v0, v0, v56, v2
	s_addc_u32 s8, s8, s5
	v_mad_u64_u32 v[6:7], s[4:5], s6, v54, 0
	ds_read_b128 v[2:5], v0
	v_lshlrev_b64 v[6:7], 1, v[6:7]
	v_mov_b32_e32 v0, s8
	v_add_co_u32_e32 v6, vcc, s7, v6
	v_addc_co_u32_e32 v7, vcc, v0, v7, vcc
	v_add_co_u32_e32 v0, vcc, v6, v1
	v_addc_co_u32_e32 v1, vcc, 0, v7, vcc
	s_waitcnt lgkmcnt(0)
	global_store_dwordx4 v[0:1], v[2:5], off
.LBB961_597:
	s_endpgm
	.section	.rodata,"a",@progbits
	.p2align	6, 0x0
	.amdhsa_kernel _Z39paged_attention_ll4mi_QKV_mfma16_kernelI14__hip_bfloat16hLN4vllm18Fp8KVCacheDataTypeE1ES0_Li32ELi128ELi256ELb0ELi4EL8MFMAType0EEvPKT_PKT0_S9_ifPKiSB_SB_iPKfiiiPfSE_PS4_PT2_iSD_SD_
		.amdhsa_group_segment_fixed_size 8192
		.amdhsa_private_segment_fixed_size 352
		.amdhsa_kernarg_size 400
		.amdhsa_user_sgpr_count 8
		.amdhsa_user_sgpr_private_segment_buffer 1
		.amdhsa_user_sgpr_dispatch_ptr 0
		.amdhsa_user_sgpr_queue_ptr 0
		.amdhsa_user_sgpr_kernarg_segment_ptr 1
		.amdhsa_user_sgpr_dispatch_id 0
		.amdhsa_user_sgpr_flat_scratch_init 1
		.amdhsa_user_sgpr_kernarg_preload_length 0
		.amdhsa_user_sgpr_kernarg_preload_offset 0
		.amdhsa_user_sgpr_private_segment_size 0
		.amdhsa_uses_dynamic_stack 0
		.amdhsa_system_sgpr_private_segment_wavefront_offset 1
		.amdhsa_system_sgpr_workgroup_id_x 1
		.amdhsa_system_sgpr_workgroup_id_y 1
		.amdhsa_system_sgpr_workgroup_id_z 1
		.amdhsa_system_sgpr_workgroup_info 0
		.amdhsa_system_vgpr_workitem_id 0
		.amdhsa_next_free_vgpr 82
		.amdhsa_next_free_sgpr 56
		.amdhsa_accum_offset 84
		.amdhsa_reserve_vcc 1
		.amdhsa_reserve_flat_scratch 0
		.amdhsa_float_round_mode_32 0
		.amdhsa_float_round_mode_16_64 0
		.amdhsa_float_denorm_mode_32 3
		.amdhsa_float_denorm_mode_16_64 3
		.amdhsa_dx10_clamp 1
		.amdhsa_ieee_mode 1
		.amdhsa_fp16_overflow 0
		.amdhsa_tg_split 0
		.amdhsa_exception_fp_ieee_invalid_op 0
		.amdhsa_exception_fp_denorm_src 0
		.amdhsa_exception_fp_ieee_div_zero 0
		.amdhsa_exception_fp_ieee_overflow 0
		.amdhsa_exception_fp_ieee_underflow 0
		.amdhsa_exception_fp_ieee_inexact 0
		.amdhsa_exception_int_div_zero 0
	.end_amdhsa_kernel
	.section	.text._Z39paged_attention_ll4mi_QKV_mfma16_kernelI14__hip_bfloat16hLN4vllm18Fp8KVCacheDataTypeE1ES0_Li32ELi128ELi256ELb0ELi4EL8MFMAType0EEvPKT_PKT0_S9_ifPKiSB_SB_iPKfiiiPfSE_PS4_PT2_iSD_SD_,"axG",@progbits,_Z39paged_attention_ll4mi_QKV_mfma16_kernelI14__hip_bfloat16hLN4vllm18Fp8KVCacheDataTypeE1ES0_Li32ELi128ELi256ELb0ELi4EL8MFMAType0EEvPKT_PKT0_S9_ifPKiSB_SB_iPKfiiiPfSE_PS4_PT2_iSD_SD_,comdat
.Lfunc_end961:
	.size	_Z39paged_attention_ll4mi_QKV_mfma16_kernelI14__hip_bfloat16hLN4vllm18Fp8KVCacheDataTypeE1ES0_Li32ELi128ELi256ELb0ELi4EL8MFMAType0EEvPKT_PKT0_S9_ifPKiSB_SB_iPKfiiiPfSE_PS4_PT2_iSD_SD_, .Lfunc_end961-_Z39paged_attention_ll4mi_QKV_mfma16_kernelI14__hip_bfloat16hLN4vllm18Fp8KVCacheDataTypeE1ES0_Li32ELi128ELi256ELb0ELi4EL8MFMAType0EEvPKT_PKT0_S9_ifPKiSB_SB_iPKfiiiPfSE_PS4_PT2_iSD_SD_
                                        ; -- End function
	.section	.AMDGPU.csdata,"",@progbits
; Kernel info:
; codeLenInByte = 22172
; NumSgprs: 60
; NumVgprs: 82
; NumAgprs: 0
; TotalNumVgprs: 82
; ScratchSize: 352
; MemoryBound: 0
; FloatMode: 240
; IeeeMode: 1
; LDSByteSize: 8192 bytes/workgroup (compile time only)
; SGPRBlocks: 7
; VGPRBlocks: 10
; NumSGPRsForWavesPerEU: 60
; NumVGPRsForWavesPerEU: 82
; AccumOffset: 84
; Occupancy: 5
; WaveLimiterHint : 1
; COMPUTE_PGM_RSRC2:SCRATCH_EN: 1
; COMPUTE_PGM_RSRC2:USER_SGPR: 8
; COMPUTE_PGM_RSRC2:TRAP_HANDLER: 0
; COMPUTE_PGM_RSRC2:TGID_X_EN: 1
; COMPUTE_PGM_RSRC2:TGID_Y_EN: 1
; COMPUTE_PGM_RSRC2:TGID_Z_EN: 1
; COMPUTE_PGM_RSRC2:TIDIG_COMP_CNT: 0
; COMPUTE_PGM_RSRC3_GFX90A:ACCUM_OFFSET: 20
; COMPUTE_PGM_RSRC3_GFX90A:TG_SPLIT: 0
	.text
	.p2alignl 6, 3212836864
	.fill 256, 4, 3212836864
	.type	__const.__assert_fail.fmt,@object ; @__const.__assert_fail.fmt
	.section	.rodata.str1.16,"aMS",@progbits,1
	.p2align	4, 0x0
__const.__assert_fail.fmt:
	.asciz	"%s:%u: %s: Device-side assertion `%s' failed.\n"
	.size	__const.__assert_fail.fmt, 47

	.type	.str.1,@object                  ; @.str.1
	.section	.rodata.str1.1,"aMS",@progbits,1
.str.1:
	.asciz	"false"
	.size	.str.1, 6

	.type	.str.2,@object                  ; @.str.2
.str.2:
	.asciz	"/root/src/amdgpu-assembly/repos/vllm-project__vllm/csrc/rocm/attention.hip"
	.size	.str.2, 75

	.type	__PRETTY_FUNCTION__._Z39paged_attention_ll4mi_QKV_mfma16_kernelIDF16_hLN4vllm18Fp8KVCacheDataTypeE1EDF16_Li16ELi64ELi256ELb1ELi5EL8MFMAType1EEvPKT_PKT0_S8_ifPKiSA_SA_iPKfiiiPfSD_PS3_PT2_iSC_SC_,@object ; @__PRETTY_FUNCTION__._Z39paged_attention_ll4mi_QKV_mfma16_kernelIDF16_hLN4vllm18Fp8KVCacheDataTypeE1EDF16_Li16ELi64ELi256ELb1ELi5EL8MFMAType1EEvPKT_PKT0_S8_ifPKiSA_SA_iPKfiiiPfSD_PS3_PT2_iSC_SC_
__PRETTY_FUNCTION__._Z39paged_attention_ll4mi_QKV_mfma16_kernelIDF16_hLN4vllm18Fp8KVCacheDataTypeE1EDF16_Li16ELi64ELi256ELb1ELi5EL8MFMAType1EEvPKT_PKT0_S8_ifPKiSA_SA_iPKfiiiPfSD_PS3_PT2_iSC_SC_:
	.asciz	"void paged_attention_ll4mi_QKV_mfma16_kernel(const scalar_t *__restrict, const cache_t *__restrict, const cache_t *__restrict, const int, const float, const int *__restrict, const int *__restrict, const int *__restrict, const int, const float *__restrict, const int, const int, const int, float *__restrict, float *__restrict, scalar_t *__restrict, OUTT *__restrict, int, const float *, const float *) [scalar_t = _Float16, cache_t = unsigned char, KV_DTYPE = vllm::Fp8KVCacheDataType::kFp8E4M3, OUTT = _Float16, BLOCK_SIZE = 16, HEAD_SIZE = 64, NUM_THREADS = 256, ALIBI_ENABLED = true, GQA_RATIO = 5, MFMA_TYPE = MFMAType::Fp8]"
	.size	__PRETTY_FUNCTION__._Z39paged_attention_ll4mi_QKV_mfma16_kernelIDF16_hLN4vllm18Fp8KVCacheDataTypeE1EDF16_Li16ELi64ELi256ELb1ELi5EL8MFMAType1EEvPKT_PKT0_S8_ifPKiSA_SA_iPKfiiiPfSD_PS3_PT2_iSC_SC_, 629

	.type	__PRETTY_FUNCTION__._Z39paged_attention_ll4mi_QKV_mfma16_kernelIDF16_hLN4vllm18Fp8KVCacheDataTypeE1EDF16_Li16ELi64ELi256ELb1ELi6EL8MFMAType1EEvPKT_PKT0_S8_ifPKiSA_SA_iPKfiiiPfSD_PS3_PT2_iSC_SC_,@object ; @__PRETTY_FUNCTION__._Z39paged_attention_ll4mi_QKV_mfma16_kernelIDF16_hLN4vllm18Fp8KVCacheDataTypeE1EDF16_Li16ELi64ELi256ELb1ELi6EL8MFMAType1EEvPKT_PKT0_S8_ifPKiSA_SA_iPKfiiiPfSD_PS3_PT2_iSC_SC_
__PRETTY_FUNCTION__._Z39paged_attention_ll4mi_QKV_mfma16_kernelIDF16_hLN4vllm18Fp8KVCacheDataTypeE1EDF16_Li16ELi64ELi256ELb1ELi6EL8MFMAType1EEvPKT_PKT0_S8_ifPKiSA_SA_iPKfiiiPfSD_PS3_PT2_iSC_SC_:
	.asciz	"void paged_attention_ll4mi_QKV_mfma16_kernel(const scalar_t *__restrict, const cache_t *__restrict, const cache_t *__restrict, const int, const float, const int *__restrict, const int *__restrict, const int *__restrict, const int, const float *__restrict, const int, const int, const int, float *__restrict, float *__restrict, scalar_t *__restrict, OUTT *__restrict, int, const float *, const float *) [scalar_t = _Float16, cache_t = unsigned char, KV_DTYPE = vllm::Fp8KVCacheDataType::kFp8E4M3, OUTT = _Float16, BLOCK_SIZE = 16, HEAD_SIZE = 64, NUM_THREADS = 256, ALIBI_ENABLED = true, GQA_RATIO = 6, MFMA_TYPE = MFMAType::Fp8]"
	.size	__PRETTY_FUNCTION__._Z39paged_attention_ll4mi_QKV_mfma16_kernelIDF16_hLN4vllm18Fp8KVCacheDataTypeE1EDF16_Li16ELi64ELi256ELb1ELi6EL8MFMAType1EEvPKT_PKT0_S8_ifPKiSA_SA_iPKfiiiPfSD_PS3_PT2_iSC_SC_, 629

	.type	__PRETTY_FUNCTION__._Z39paged_attention_ll4mi_QKV_mfma16_kernelIDF16_hLN4vllm18Fp8KVCacheDataTypeE1EDF16_Li16ELi64ELi256ELb1ELi7EL8MFMAType1EEvPKT_PKT0_S8_ifPKiSA_SA_iPKfiiiPfSD_PS3_PT2_iSC_SC_,@object ; @__PRETTY_FUNCTION__._Z39paged_attention_ll4mi_QKV_mfma16_kernelIDF16_hLN4vllm18Fp8KVCacheDataTypeE1EDF16_Li16ELi64ELi256ELb1ELi7EL8MFMAType1EEvPKT_PKT0_S8_ifPKiSA_SA_iPKfiiiPfSD_PS3_PT2_iSC_SC_
__PRETTY_FUNCTION__._Z39paged_attention_ll4mi_QKV_mfma16_kernelIDF16_hLN4vllm18Fp8KVCacheDataTypeE1EDF16_Li16ELi64ELi256ELb1ELi7EL8MFMAType1EEvPKT_PKT0_S8_ifPKiSA_SA_iPKfiiiPfSD_PS3_PT2_iSC_SC_:
	.asciz	"void paged_attention_ll4mi_QKV_mfma16_kernel(const scalar_t *__restrict, const cache_t *__restrict, const cache_t *__restrict, const int, const float, const int *__restrict, const int *__restrict, const int *__restrict, const int, const float *__restrict, const int, const int, const int, float *__restrict, float *__restrict, scalar_t *__restrict, OUTT *__restrict, int, const float *, const float *) [scalar_t = _Float16, cache_t = unsigned char, KV_DTYPE = vllm::Fp8KVCacheDataType::kFp8E4M3, OUTT = _Float16, BLOCK_SIZE = 16, HEAD_SIZE = 64, NUM_THREADS = 256, ALIBI_ENABLED = true, GQA_RATIO = 7, MFMA_TYPE = MFMAType::Fp8]"
	.size	__PRETTY_FUNCTION__._Z39paged_attention_ll4mi_QKV_mfma16_kernelIDF16_hLN4vllm18Fp8KVCacheDataTypeE1EDF16_Li16ELi64ELi256ELb1ELi7EL8MFMAType1EEvPKT_PKT0_S8_ifPKiSA_SA_iPKfiiiPfSD_PS3_PT2_iSC_SC_, 629

	.type	__PRETTY_FUNCTION__._Z39paged_attention_ll4mi_QKV_mfma16_kernelIDF16_hLN4vllm18Fp8KVCacheDataTypeE1EDF16_Li16ELi64ELi256ELb1ELi8EL8MFMAType1EEvPKT_PKT0_S8_ifPKiSA_SA_iPKfiiiPfSD_PS3_PT2_iSC_SC_,@object ; @__PRETTY_FUNCTION__._Z39paged_attention_ll4mi_QKV_mfma16_kernelIDF16_hLN4vllm18Fp8KVCacheDataTypeE1EDF16_Li16ELi64ELi256ELb1ELi8EL8MFMAType1EEvPKT_PKT0_S8_ifPKiSA_SA_iPKfiiiPfSD_PS3_PT2_iSC_SC_
__PRETTY_FUNCTION__._Z39paged_attention_ll4mi_QKV_mfma16_kernelIDF16_hLN4vllm18Fp8KVCacheDataTypeE1EDF16_Li16ELi64ELi256ELb1ELi8EL8MFMAType1EEvPKT_PKT0_S8_ifPKiSA_SA_iPKfiiiPfSD_PS3_PT2_iSC_SC_:
	.asciz	"void paged_attention_ll4mi_QKV_mfma16_kernel(const scalar_t *__restrict, const cache_t *__restrict, const cache_t *__restrict, const int, const float, const int *__restrict, const int *__restrict, const int *__restrict, const int, const float *__restrict, const int, const int, const int, float *__restrict, float *__restrict, scalar_t *__restrict, OUTT *__restrict, int, const float *, const float *) [scalar_t = _Float16, cache_t = unsigned char, KV_DTYPE = vllm::Fp8KVCacheDataType::kFp8E4M3, OUTT = _Float16, BLOCK_SIZE = 16, HEAD_SIZE = 64, NUM_THREADS = 256, ALIBI_ENABLED = true, GQA_RATIO = 8, MFMA_TYPE = MFMAType::Fp8]"
	.size	__PRETTY_FUNCTION__._Z39paged_attention_ll4mi_QKV_mfma16_kernelIDF16_hLN4vllm18Fp8KVCacheDataTypeE1EDF16_Li16ELi64ELi256ELb1ELi8EL8MFMAType1EEvPKT_PKT0_S8_ifPKiSA_SA_iPKfiiiPfSD_PS3_PT2_iSC_SC_, 629

	.type	__PRETTY_FUNCTION__._Z39paged_attention_ll4mi_QKV_mfma16_kernelIDF16_hLN4vllm18Fp8KVCacheDataTypeE1EDF16_Li16ELi64ELi256ELb1ELi9EL8MFMAType1EEvPKT_PKT0_S8_ifPKiSA_SA_iPKfiiiPfSD_PS3_PT2_iSC_SC_,@object ; @__PRETTY_FUNCTION__._Z39paged_attention_ll4mi_QKV_mfma16_kernelIDF16_hLN4vllm18Fp8KVCacheDataTypeE1EDF16_Li16ELi64ELi256ELb1ELi9EL8MFMAType1EEvPKT_PKT0_S8_ifPKiSA_SA_iPKfiiiPfSD_PS3_PT2_iSC_SC_
__PRETTY_FUNCTION__._Z39paged_attention_ll4mi_QKV_mfma16_kernelIDF16_hLN4vllm18Fp8KVCacheDataTypeE1EDF16_Li16ELi64ELi256ELb1ELi9EL8MFMAType1EEvPKT_PKT0_S8_ifPKiSA_SA_iPKfiiiPfSD_PS3_PT2_iSC_SC_:
	.asciz	"void paged_attention_ll4mi_QKV_mfma16_kernel(const scalar_t *__restrict, const cache_t *__restrict, const cache_t *__restrict, const int, const float, const int *__restrict, const int *__restrict, const int *__restrict, const int, const float *__restrict, const int, const int, const int, float *__restrict, float *__restrict, scalar_t *__restrict, OUTT *__restrict, int, const float *, const float *) [scalar_t = _Float16, cache_t = unsigned char, KV_DTYPE = vllm::Fp8KVCacheDataType::kFp8E4M3, OUTT = _Float16, BLOCK_SIZE = 16, HEAD_SIZE = 64, NUM_THREADS = 256, ALIBI_ENABLED = true, GQA_RATIO = 9, MFMA_TYPE = MFMAType::Fp8]"
	.size	__PRETTY_FUNCTION__._Z39paged_attention_ll4mi_QKV_mfma16_kernelIDF16_hLN4vllm18Fp8KVCacheDataTypeE1EDF16_Li16ELi64ELi256ELb1ELi9EL8MFMAType1EEvPKT_PKT0_S8_ifPKiSA_SA_iPKfiiiPfSD_PS3_PT2_iSC_SC_, 629

	.type	__PRETTY_FUNCTION__._Z39paged_attention_ll4mi_QKV_mfma16_kernelIDF16_hLN4vllm18Fp8KVCacheDataTypeE1EDF16_Li16ELi64ELi256ELb1ELi10EL8MFMAType1EEvPKT_PKT0_S8_ifPKiSA_SA_iPKfiiiPfSD_PS3_PT2_iSC_SC_,@object ; @__PRETTY_FUNCTION__._Z39paged_attention_ll4mi_QKV_mfma16_kernelIDF16_hLN4vllm18Fp8KVCacheDataTypeE1EDF16_Li16ELi64ELi256ELb1ELi10EL8MFMAType1EEvPKT_PKT0_S8_ifPKiSA_SA_iPKfiiiPfSD_PS3_PT2_iSC_SC_
__PRETTY_FUNCTION__._Z39paged_attention_ll4mi_QKV_mfma16_kernelIDF16_hLN4vllm18Fp8KVCacheDataTypeE1EDF16_Li16ELi64ELi256ELb1ELi10EL8MFMAType1EEvPKT_PKT0_S8_ifPKiSA_SA_iPKfiiiPfSD_PS3_PT2_iSC_SC_:
	.asciz	"void paged_attention_ll4mi_QKV_mfma16_kernel(const scalar_t *__restrict, const cache_t *__restrict, const cache_t *__restrict, const int, const float, const int *__restrict, const int *__restrict, const int *__restrict, const int, const float *__restrict, const int, const int, const int, float *__restrict, float *__restrict, scalar_t *__restrict, OUTT *__restrict, int, const float *, const float *) [scalar_t = _Float16, cache_t = unsigned char, KV_DTYPE = vllm::Fp8KVCacheDataType::kFp8E4M3, OUTT = _Float16, BLOCK_SIZE = 16, HEAD_SIZE = 64, NUM_THREADS = 256, ALIBI_ENABLED = true, GQA_RATIO = 10, MFMA_TYPE = MFMAType::Fp8]"
	.size	__PRETTY_FUNCTION__._Z39paged_attention_ll4mi_QKV_mfma16_kernelIDF16_hLN4vllm18Fp8KVCacheDataTypeE1EDF16_Li16ELi64ELi256ELb1ELi10EL8MFMAType1EEvPKT_PKT0_S8_ifPKiSA_SA_iPKfiiiPfSD_PS3_PT2_iSC_SC_, 630

	.type	__PRETTY_FUNCTION__._Z39paged_attention_ll4mi_QKV_mfma16_kernelIDF16_hLN4vllm18Fp8KVCacheDataTypeE1EDF16_Li16ELi64ELi256ELb1ELi11EL8MFMAType1EEvPKT_PKT0_S8_ifPKiSA_SA_iPKfiiiPfSD_PS3_PT2_iSC_SC_,@object ; @__PRETTY_FUNCTION__._Z39paged_attention_ll4mi_QKV_mfma16_kernelIDF16_hLN4vllm18Fp8KVCacheDataTypeE1EDF16_Li16ELi64ELi256ELb1ELi11EL8MFMAType1EEvPKT_PKT0_S8_ifPKiSA_SA_iPKfiiiPfSD_PS3_PT2_iSC_SC_
__PRETTY_FUNCTION__._Z39paged_attention_ll4mi_QKV_mfma16_kernelIDF16_hLN4vllm18Fp8KVCacheDataTypeE1EDF16_Li16ELi64ELi256ELb1ELi11EL8MFMAType1EEvPKT_PKT0_S8_ifPKiSA_SA_iPKfiiiPfSD_PS3_PT2_iSC_SC_:
	.asciz	"void paged_attention_ll4mi_QKV_mfma16_kernel(const scalar_t *__restrict, const cache_t *__restrict, const cache_t *__restrict, const int, const float, const int *__restrict, const int *__restrict, const int *__restrict, const int, const float *__restrict, const int, const int, const int, float *__restrict, float *__restrict, scalar_t *__restrict, OUTT *__restrict, int, const float *, const float *) [scalar_t = _Float16, cache_t = unsigned char, KV_DTYPE = vllm::Fp8KVCacheDataType::kFp8E4M3, OUTT = _Float16, BLOCK_SIZE = 16, HEAD_SIZE = 64, NUM_THREADS = 256, ALIBI_ENABLED = true, GQA_RATIO = 11, MFMA_TYPE = MFMAType::Fp8]"
	.size	__PRETTY_FUNCTION__._Z39paged_attention_ll4mi_QKV_mfma16_kernelIDF16_hLN4vllm18Fp8KVCacheDataTypeE1EDF16_Li16ELi64ELi256ELb1ELi11EL8MFMAType1EEvPKT_PKT0_S8_ifPKiSA_SA_iPKfiiiPfSD_PS3_PT2_iSC_SC_, 630

	.type	__PRETTY_FUNCTION__._Z39paged_attention_ll4mi_QKV_mfma16_kernelIDF16_hLN4vllm18Fp8KVCacheDataTypeE1EDF16_Li16ELi64ELi256ELb1ELi12EL8MFMAType1EEvPKT_PKT0_S8_ifPKiSA_SA_iPKfiiiPfSD_PS3_PT2_iSC_SC_,@object ; @__PRETTY_FUNCTION__._Z39paged_attention_ll4mi_QKV_mfma16_kernelIDF16_hLN4vllm18Fp8KVCacheDataTypeE1EDF16_Li16ELi64ELi256ELb1ELi12EL8MFMAType1EEvPKT_PKT0_S8_ifPKiSA_SA_iPKfiiiPfSD_PS3_PT2_iSC_SC_
__PRETTY_FUNCTION__._Z39paged_attention_ll4mi_QKV_mfma16_kernelIDF16_hLN4vllm18Fp8KVCacheDataTypeE1EDF16_Li16ELi64ELi256ELb1ELi12EL8MFMAType1EEvPKT_PKT0_S8_ifPKiSA_SA_iPKfiiiPfSD_PS3_PT2_iSC_SC_:
	.asciz	"void paged_attention_ll4mi_QKV_mfma16_kernel(const scalar_t *__restrict, const cache_t *__restrict, const cache_t *__restrict, const int, const float, const int *__restrict, const int *__restrict, const int *__restrict, const int, const float *__restrict, const int, const int, const int, float *__restrict, float *__restrict, scalar_t *__restrict, OUTT *__restrict, int, const float *, const float *) [scalar_t = _Float16, cache_t = unsigned char, KV_DTYPE = vllm::Fp8KVCacheDataType::kFp8E4M3, OUTT = _Float16, BLOCK_SIZE = 16, HEAD_SIZE = 64, NUM_THREADS = 256, ALIBI_ENABLED = true, GQA_RATIO = 12, MFMA_TYPE = MFMAType::Fp8]"
	.size	__PRETTY_FUNCTION__._Z39paged_attention_ll4mi_QKV_mfma16_kernelIDF16_hLN4vllm18Fp8KVCacheDataTypeE1EDF16_Li16ELi64ELi256ELb1ELi12EL8MFMAType1EEvPKT_PKT0_S8_ifPKiSA_SA_iPKfiiiPfSD_PS3_PT2_iSC_SC_, 630

	.type	__PRETTY_FUNCTION__._Z39paged_attention_ll4mi_QKV_mfma16_kernelIDF16_hLN4vllm18Fp8KVCacheDataTypeE1EDF16_Li16ELi64ELi256ELb1ELi13EL8MFMAType1EEvPKT_PKT0_S8_ifPKiSA_SA_iPKfiiiPfSD_PS3_PT2_iSC_SC_,@object ; @__PRETTY_FUNCTION__._Z39paged_attention_ll4mi_QKV_mfma16_kernelIDF16_hLN4vllm18Fp8KVCacheDataTypeE1EDF16_Li16ELi64ELi256ELb1ELi13EL8MFMAType1EEvPKT_PKT0_S8_ifPKiSA_SA_iPKfiiiPfSD_PS3_PT2_iSC_SC_
__PRETTY_FUNCTION__._Z39paged_attention_ll4mi_QKV_mfma16_kernelIDF16_hLN4vllm18Fp8KVCacheDataTypeE1EDF16_Li16ELi64ELi256ELb1ELi13EL8MFMAType1EEvPKT_PKT0_S8_ifPKiSA_SA_iPKfiiiPfSD_PS3_PT2_iSC_SC_:
	.asciz	"void paged_attention_ll4mi_QKV_mfma16_kernel(const scalar_t *__restrict, const cache_t *__restrict, const cache_t *__restrict, const int, const float, const int *__restrict, const int *__restrict, const int *__restrict, const int, const float *__restrict, const int, const int, const int, float *__restrict, float *__restrict, scalar_t *__restrict, OUTT *__restrict, int, const float *, const float *) [scalar_t = _Float16, cache_t = unsigned char, KV_DTYPE = vllm::Fp8KVCacheDataType::kFp8E4M3, OUTT = _Float16, BLOCK_SIZE = 16, HEAD_SIZE = 64, NUM_THREADS = 256, ALIBI_ENABLED = true, GQA_RATIO = 13, MFMA_TYPE = MFMAType::Fp8]"
	.size	__PRETTY_FUNCTION__._Z39paged_attention_ll4mi_QKV_mfma16_kernelIDF16_hLN4vllm18Fp8KVCacheDataTypeE1EDF16_Li16ELi64ELi256ELb1ELi13EL8MFMAType1EEvPKT_PKT0_S8_ifPKiSA_SA_iPKfiiiPfSD_PS3_PT2_iSC_SC_, 630

	.type	__PRETTY_FUNCTION__._Z39paged_attention_ll4mi_QKV_mfma16_kernelIDF16_hLN4vllm18Fp8KVCacheDataTypeE1EDF16_Li16ELi64ELi256ELb1ELi14EL8MFMAType1EEvPKT_PKT0_S8_ifPKiSA_SA_iPKfiiiPfSD_PS3_PT2_iSC_SC_,@object ; @__PRETTY_FUNCTION__._Z39paged_attention_ll4mi_QKV_mfma16_kernelIDF16_hLN4vllm18Fp8KVCacheDataTypeE1EDF16_Li16ELi64ELi256ELb1ELi14EL8MFMAType1EEvPKT_PKT0_S8_ifPKiSA_SA_iPKfiiiPfSD_PS3_PT2_iSC_SC_
__PRETTY_FUNCTION__._Z39paged_attention_ll4mi_QKV_mfma16_kernelIDF16_hLN4vllm18Fp8KVCacheDataTypeE1EDF16_Li16ELi64ELi256ELb1ELi14EL8MFMAType1EEvPKT_PKT0_S8_ifPKiSA_SA_iPKfiiiPfSD_PS3_PT2_iSC_SC_:
	.asciz	"void paged_attention_ll4mi_QKV_mfma16_kernel(const scalar_t *__restrict, const cache_t *__restrict, const cache_t *__restrict, const int, const float, const int *__restrict, const int *__restrict, const int *__restrict, const int, const float *__restrict, const int, const int, const int, float *__restrict, float *__restrict, scalar_t *__restrict, OUTT *__restrict, int, const float *, const float *) [scalar_t = _Float16, cache_t = unsigned char, KV_DTYPE = vllm::Fp8KVCacheDataType::kFp8E4M3, OUTT = _Float16, BLOCK_SIZE = 16, HEAD_SIZE = 64, NUM_THREADS = 256, ALIBI_ENABLED = true, GQA_RATIO = 14, MFMA_TYPE = MFMAType::Fp8]"
	.size	__PRETTY_FUNCTION__._Z39paged_attention_ll4mi_QKV_mfma16_kernelIDF16_hLN4vllm18Fp8KVCacheDataTypeE1EDF16_Li16ELi64ELi256ELb1ELi14EL8MFMAType1EEvPKT_PKT0_S8_ifPKiSA_SA_iPKfiiiPfSD_PS3_PT2_iSC_SC_, 630

	.type	__PRETTY_FUNCTION__._Z39paged_attention_ll4mi_QKV_mfma16_kernelIDF16_hLN4vllm18Fp8KVCacheDataTypeE1EDF16_Li16ELi64ELi256ELb1ELi15EL8MFMAType1EEvPKT_PKT0_S8_ifPKiSA_SA_iPKfiiiPfSD_PS3_PT2_iSC_SC_,@object ; @__PRETTY_FUNCTION__._Z39paged_attention_ll4mi_QKV_mfma16_kernelIDF16_hLN4vllm18Fp8KVCacheDataTypeE1EDF16_Li16ELi64ELi256ELb1ELi15EL8MFMAType1EEvPKT_PKT0_S8_ifPKiSA_SA_iPKfiiiPfSD_PS3_PT2_iSC_SC_
__PRETTY_FUNCTION__._Z39paged_attention_ll4mi_QKV_mfma16_kernelIDF16_hLN4vllm18Fp8KVCacheDataTypeE1EDF16_Li16ELi64ELi256ELb1ELi15EL8MFMAType1EEvPKT_PKT0_S8_ifPKiSA_SA_iPKfiiiPfSD_PS3_PT2_iSC_SC_:
	.asciz	"void paged_attention_ll4mi_QKV_mfma16_kernel(const scalar_t *__restrict, const cache_t *__restrict, const cache_t *__restrict, const int, const float, const int *__restrict, const int *__restrict, const int *__restrict, const int, const float *__restrict, const int, const int, const int, float *__restrict, float *__restrict, scalar_t *__restrict, OUTT *__restrict, int, const float *, const float *) [scalar_t = _Float16, cache_t = unsigned char, KV_DTYPE = vllm::Fp8KVCacheDataType::kFp8E4M3, OUTT = _Float16, BLOCK_SIZE = 16, HEAD_SIZE = 64, NUM_THREADS = 256, ALIBI_ENABLED = true, GQA_RATIO = 15, MFMA_TYPE = MFMAType::Fp8]"
	.size	__PRETTY_FUNCTION__._Z39paged_attention_ll4mi_QKV_mfma16_kernelIDF16_hLN4vllm18Fp8KVCacheDataTypeE1EDF16_Li16ELi64ELi256ELb1ELi15EL8MFMAType1EEvPKT_PKT0_S8_ifPKiSA_SA_iPKfiiiPfSD_PS3_PT2_iSC_SC_, 630

	.type	__PRETTY_FUNCTION__._Z39paged_attention_ll4mi_QKV_mfma16_kernelIDF16_hLN4vllm18Fp8KVCacheDataTypeE1EDF16_Li16ELi64ELi256ELb1ELi16EL8MFMAType1EEvPKT_PKT0_S8_ifPKiSA_SA_iPKfiiiPfSD_PS3_PT2_iSC_SC_,@object ; @__PRETTY_FUNCTION__._Z39paged_attention_ll4mi_QKV_mfma16_kernelIDF16_hLN4vllm18Fp8KVCacheDataTypeE1EDF16_Li16ELi64ELi256ELb1ELi16EL8MFMAType1EEvPKT_PKT0_S8_ifPKiSA_SA_iPKfiiiPfSD_PS3_PT2_iSC_SC_
__PRETTY_FUNCTION__._Z39paged_attention_ll4mi_QKV_mfma16_kernelIDF16_hLN4vllm18Fp8KVCacheDataTypeE1EDF16_Li16ELi64ELi256ELb1ELi16EL8MFMAType1EEvPKT_PKT0_S8_ifPKiSA_SA_iPKfiiiPfSD_PS3_PT2_iSC_SC_:
	.asciz	"void paged_attention_ll4mi_QKV_mfma16_kernel(const scalar_t *__restrict, const cache_t *__restrict, const cache_t *__restrict, const int, const float, const int *__restrict, const int *__restrict, const int *__restrict, const int, const float *__restrict, const int, const int, const int, float *__restrict, float *__restrict, scalar_t *__restrict, OUTT *__restrict, int, const float *, const float *) [scalar_t = _Float16, cache_t = unsigned char, KV_DTYPE = vllm::Fp8KVCacheDataType::kFp8E4M3, OUTT = _Float16, BLOCK_SIZE = 16, HEAD_SIZE = 64, NUM_THREADS = 256, ALIBI_ENABLED = true, GQA_RATIO = 16, MFMA_TYPE = MFMAType::Fp8]"
	.size	__PRETTY_FUNCTION__._Z39paged_attention_ll4mi_QKV_mfma16_kernelIDF16_hLN4vllm18Fp8KVCacheDataTypeE1EDF16_Li16ELi64ELi256ELb1ELi16EL8MFMAType1EEvPKT_PKT0_S8_ifPKiSA_SA_iPKfiiiPfSD_PS3_PT2_iSC_SC_, 630

	.type	__PRETTY_FUNCTION__._Z39paged_attention_ll4mi_QKV_mfma16_kernelIDF16_hLN4vllm18Fp8KVCacheDataTypeE1EDF16_Li16ELi64ELi256ELb1ELi1EL8MFMAType1EEvPKT_PKT0_S8_ifPKiSA_SA_iPKfiiiPfSD_PS3_PT2_iSC_SC_,@object ; @__PRETTY_FUNCTION__._Z39paged_attention_ll4mi_QKV_mfma16_kernelIDF16_hLN4vllm18Fp8KVCacheDataTypeE1EDF16_Li16ELi64ELi256ELb1ELi1EL8MFMAType1EEvPKT_PKT0_S8_ifPKiSA_SA_iPKfiiiPfSD_PS3_PT2_iSC_SC_
__PRETTY_FUNCTION__._Z39paged_attention_ll4mi_QKV_mfma16_kernelIDF16_hLN4vllm18Fp8KVCacheDataTypeE1EDF16_Li16ELi64ELi256ELb1ELi1EL8MFMAType1EEvPKT_PKT0_S8_ifPKiSA_SA_iPKfiiiPfSD_PS3_PT2_iSC_SC_:
	.asciz	"void paged_attention_ll4mi_QKV_mfma16_kernel(const scalar_t *__restrict, const cache_t *__restrict, const cache_t *__restrict, const int, const float, const int *__restrict, const int *__restrict, const int *__restrict, const int, const float *__restrict, const int, const int, const int, float *__restrict, float *__restrict, scalar_t *__restrict, OUTT *__restrict, int, const float *, const float *) [scalar_t = _Float16, cache_t = unsigned char, KV_DTYPE = vllm::Fp8KVCacheDataType::kFp8E4M3, OUTT = _Float16, BLOCK_SIZE = 16, HEAD_SIZE = 64, NUM_THREADS = 256, ALIBI_ENABLED = true, GQA_RATIO = 1, MFMA_TYPE = MFMAType::Fp8]"
	.size	__PRETTY_FUNCTION__._Z39paged_attention_ll4mi_QKV_mfma16_kernelIDF16_hLN4vllm18Fp8KVCacheDataTypeE1EDF16_Li16ELi64ELi256ELb1ELi1EL8MFMAType1EEvPKT_PKT0_S8_ifPKiSA_SA_iPKfiiiPfSD_PS3_PT2_iSC_SC_, 629

	.type	__PRETTY_FUNCTION__._Z39paged_attention_ll4mi_QKV_mfma16_kernelIDF16_hLN4vllm18Fp8KVCacheDataTypeE1EDF16_Li16ELi64ELi256ELb1ELi2EL8MFMAType1EEvPKT_PKT0_S8_ifPKiSA_SA_iPKfiiiPfSD_PS3_PT2_iSC_SC_,@object ; @__PRETTY_FUNCTION__._Z39paged_attention_ll4mi_QKV_mfma16_kernelIDF16_hLN4vllm18Fp8KVCacheDataTypeE1EDF16_Li16ELi64ELi256ELb1ELi2EL8MFMAType1EEvPKT_PKT0_S8_ifPKiSA_SA_iPKfiiiPfSD_PS3_PT2_iSC_SC_
__PRETTY_FUNCTION__._Z39paged_attention_ll4mi_QKV_mfma16_kernelIDF16_hLN4vllm18Fp8KVCacheDataTypeE1EDF16_Li16ELi64ELi256ELb1ELi2EL8MFMAType1EEvPKT_PKT0_S8_ifPKiSA_SA_iPKfiiiPfSD_PS3_PT2_iSC_SC_:
	.asciz	"void paged_attention_ll4mi_QKV_mfma16_kernel(const scalar_t *__restrict, const cache_t *__restrict, const cache_t *__restrict, const int, const float, const int *__restrict, const int *__restrict, const int *__restrict, const int, const float *__restrict, const int, const int, const int, float *__restrict, float *__restrict, scalar_t *__restrict, OUTT *__restrict, int, const float *, const float *) [scalar_t = _Float16, cache_t = unsigned char, KV_DTYPE = vllm::Fp8KVCacheDataType::kFp8E4M3, OUTT = _Float16, BLOCK_SIZE = 16, HEAD_SIZE = 64, NUM_THREADS = 256, ALIBI_ENABLED = true, GQA_RATIO = 2, MFMA_TYPE = MFMAType::Fp8]"
	.size	__PRETTY_FUNCTION__._Z39paged_attention_ll4mi_QKV_mfma16_kernelIDF16_hLN4vllm18Fp8KVCacheDataTypeE1EDF16_Li16ELi64ELi256ELb1ELi2EL8MFMAType1EEvPKT_PKT0_S8_ifPKiSA_SA_iPKfiiiPfSD_PS3_PT2_iSC_SC_, 629

	.type	__PRETTY_FUNCTION__._Z39paged_attention_ll4mi_QKV_mfma16_kernelIDF16_hLN4vllm18Fp8KVCacheDataTypeE1EDF16_Li16ELi64ELi256ELb1ELi3EL8MFMAType1EEvPKT_PKT0_S8_ifPKiSA_SA_iPKfiiiPfSD_PS3_PT2_iSC_SC_,@object ; @__PRETTY_FUNCTION__._Z39paged_attention_ll4mi_QKV_mfma16_kernelIDF16_hLN4vllm18Fp8KVCacheDataTypeE1EDF16_Li16ELi64ELi256ELb1ELi3EL8MFMAType1EEvPKT_PKT0_S8_ifPKiSA_SA_iPKfiiiPfSD_PS3_PT2_iSC_SC_
__PRETTY_FUNCTION__._Z39paged_attention_ll4mi_QKV_mfma16_kernelIDF16_hLN4vllm18Fp8KVCacheDataTypeE1EDF16_Li16ELi64ELi256ELb1ELi3EL8MFMAType1EEvPKT_PKT0_S8_ifPKiSA_SA_iPKfiiiPfSD_PS3_PT2_iSC_SC_:
	.asciz	"void paged_attention_ll4mi_QKV_mfma16_kernel(const scalar_t *__restrict, const cache_t *__restrict, const cache_t *__restrict, const int, const float, const int *__restrict, const int *__restrict, const int *__restrict, const int, const float *__restrict, const int, const int, const int, float *__restrict, float *__restrict, scalar_t *__restrict, OUTT *__restrict, int, const float *, const float *) [scalar_t = _Float16, cache_t = unsigned char, KV_DTYPE = vllm::Fp8KVCacheDataType::kFp8E4M3, OUTT = _Float16, BLOCK_SIZE = 16, HEAD_SIZE = 64, NUM_THREADS = 256, ALIBI_ENABLED = true, GQA_RATIO = 3, MFMA_TYPE = MFMAType::Fp8]"
	.size	__PRETTY_FUNCTION__._Z39paged_attention_ll4mi_QKV_mfma16_kernelIDF16_hLN4vllm18Fp8KVCacheDataTypeE1EDF16_Li16ELi64ELi256ELb1ELi3EL8MFMAType1EEvPKT_PKT0_S8_ifPKiSA_SA_iPKfiiiPfSD_PS3_PT2_iSC_SC_, 629

	.type	__PRETTY_FUNCTION__._Z39paged_attention_ll4mi_QKV_mfma16_kernelIDF16_hLN4vllm18Fp8KVCacheDataTypeE1EDF16_Li16ELi64ELi256ELb1ELi4EL8MFMAType1EEvPKT_PKT0_S8_ifPKiSA_SA_iPKfiiiPfSD_PS3_PT2_iSC_SC_,@object ; @__PRETTY_FUNCTION__._Z39paged_attention_ll4mi_QKV_mfma16_kernelIDF16_hLN4vllm18Fp8KVCacheDataTypeE1EDF16_Li16ELi64ELi256ELb1ELi4EL8MFMAType1EEvPKT_PKT0_S8_ifPKiSA_SA_iPKfiiiPfSD_PS3_PT2_iSC_SC_
__PRETTY_FUNCTION__._Z39paged_attention_ll4mi_QKV_mfma16_kernelIDF16_hLN4vllm18Fp8KVCacheDataTypeE1EDF16_Li16ELi64ELi256ELb1ELi4EL8MFMAType1EEvPKT_PKT0_S8_ifPKiSA_SA_iPKfiiiPfSD_PS3_PT2_iSC_SC_:
	.asciz	"void paged_attention_ll4mi_QKV_mfma16_kernel(const scalar_t *__restrict, const cache_t *__restrict, const cache_t *__restrict, const int, const float, const int *__restrict, const int *__restrict, const int *__restrict, const int, const float *__restrict, const int, const int, const int, float *__restrict, float *__restrict, scalar_t *__restrict, OUTT *__restrict, int, const float *, const float *) [scalar_t = _Float16, cache_t = unsigned char, KV_DTYPE = vllm::Fp8KVCacheDataType::kFp8E4M3, OUTT = _Float16, BLOCK_SIZE = 16, HEAD_SIZE = 64, NUM_THREADS = 256, ALIBI_ENABLED = true, GQA_RATIO = 4, MFMA_TYPE = MFMAType::Fp8]"
	.size	__PRETTY_FUNCTION__._Z39paged_attention_ll4mi_QKV_mfma16_kernelIDF16_hLN4vllm18Fp8KVCacheDataTypeE1EDF16_Li16ELi64ELi256ELb1ELi4EL8MFMAType1EEvPKT_PKT0_S8_ifPKiSA_SA_iPKfiiiPfSD_PS3_PT2_iSC_SC_, 629

	.type	__PRETTY_FUNCTION__._Z39paged_attention_ll4mi_QKV_mfma16_kernelIDF16_hLN4vllm18Fp8KVCacheDataTypeE1EDF16_Li16ELi64ELi256ELb0ELi5EL8MFMAType1EEvPKT_PKT0_S8_ifPKiSA_SA_iPKfiiiPfSD_PS3_PT2_iSC_SC_,@object ; @__PRETTY_FUNCTION__._Z39paged_attention_ll4mi_QKV_mfma16_kernelIDF16_hLN4vllm18Fp8KVCacheDataTypeE1EDF16_Li16ELi64ELi256ELb0ELi5EL8MFMAType1EEvPKT_PKT0_S8_ifPKiSA_SA_iPKfiiiPfSD_PS3_PT2_iSC_SC_
__PRETTY_FUNCTION__._Z39paged_attention_ll4mi_QKV_mfma16_kernelIDF16_hLN4vllm18Fp8KVCacheDataTypeE1EDF16_Li16ELi64ELi256ELb0ELi5EL8MFMAType1EEvPKT_PKT0_S8_ifPKiSA_SA_iPKfiiiPfSD_PS3_PT2_iSC_SC_:
	.asciz	"void paged_attention_ll4mi_QKV_mfma16_kernel(const scalar_t *__restrict, const cache_t *__restrict, const cache_t *__restrict, const int, const float, const int *__restrict, const int *__restrict, const int *__restrict, const int, const float *__restrict, const int, const int, const int, float *__restrict, float *__restrict, scalar_t *__restrict, OUTT *__restrict, int, const float *, const float *) [scalar_t = _Float16, cache_t = unsigned char, KV_DTYPE = vllm::Fp8KVCacheDataType::kFp8E4M3, OUTT = _Float16, BLOCK_SIZE = 16, HEAD_SIZE = 64, NUM_THREADS = 256, ALIBI_ENABLED = false, GQA_RATIO = 5, MFMA_TYPE = MFMAType::Fp8]"
	.size	__PRETTY_FUNCTION__._Z39paged_attention_ll4mi_QKV_mfma16_kernelIDF16_hLN4vllm18Fp8KVCacheDataTypeE1EDF16_Li16ELi64ELi256ELb0ELi5EL8MFMAType1EEvPKT_PKT0_S8_ifPKiSA_SA_iPKfiiiPfSD_PS3_PT2_iSC_SC_, 630

	.type	__PRETTY_FUNCTION__._Z39paged_attention_ll4mi_QKV_mfma16_kernelIDF16_hLN4vllm18Fp8KVCacheDataTypeE1EDF16_Li16ELi64ELi256ELb0ELi6EL8MFMAType1EEvPKT_PKT0_S8_ifPKiSA_SA_iPKfiiiPfSD_PS3_PT2_iSC_SC_,@object ; @__PRETTY_FUNCTION__._Z39paged_attention_ll4mi_QKV_mfma16_kernelIDF16_hLN4vllm18Fp8KVCacheDataTypeE1EDF16_Li16ELi64ELi256ELb0ELi6EL8MFMAType1EEvPKT_PKT0_S8_ifPKiSA_SA_iPKfiiiPfSD_PS3_PT2_iSC_SC_
__PRETTY_FUNCTION__._Z39paged_attention_ll4mi_QKV_mfma16_kernelIDF16_hLN4vllm18Fp8KVCacheDataTypeE1EDF16_Li16ELi64ELi256ELb0ELi6EL8MFMAType1EEvPKT_PKT0_S8_ifPKiSA_SA_iPKfiiiPfSD_PS3_PT2_iSC_SC_:
	.asciz	"void paged_attention_ll4mi_QKV_mfma16_kernel(const scalar_t *__restrict, const cache_t *__restrict, const cache_t *__restrict, const int, const float, const int *__restrict, const int *__restrict, const int *__restrict, const int, const float *__restrict, const int, const int, const int, float *__restrict, float *__restrict, scalar_t *__restrict, OUTT *__restrict, int, const float *, const float *) [scalar_t = _Float16, cache_t = unsigned char, KV_DTYPE = vllm::Fp8KVCacheDataType::kFp8E4M3, OUTT = _Float16, BLOCK_SIZE = 16, HEAD_SIZE = 64, NUM_THREADS = 256, ALIBI_ENABLED = false, GQA_RATIO = 6, MFMA_TYPE = MFMAType::Fp8]"
	.size	__PRETTY_FUNCTION__._Z39paged_attention_ll4mi_QKV_mfma16_kernelIDF16_hLN4vllm18Fp8KVCacheDataTypeE1EDF16_Li16ELi64ELi256ELb0ELi6EL8MFMAType1EEvPKT_PKT0_S8_ifPKiSA_SA_iPKfiiiPfSD_PS3_PT2_iSC_SC_, 630

	.type	__PRETTY_FUNCTION__._Z39paged_attention_ll4mi_QKV_mfma16_kernelIDF16_hLN4vllm18Fp8KVCacheDataTypeE1EDF16_Li16ELi64ELi256ELb0ELi7EL8MFMAType1EEvPKT_PKT0_S8_ifPKiSA_SA_iPKfiiiPfSD_PS3_PT2_iSC_SC_,@object ; @__PRETTY_FUNCTION__._Z39paged_attention_ll4mi_QKV_mfma16_kernelIDF16_hLN4vllm18Fp8KVCacheDataTypeE1EDF16_Li16ELi64ELi256ELb0ELi7EL8MFMAType1EEvPKT_PKT0_S8_ifPKiSA_SA_iPKfiiiPfSD_PS3_PT2_iSC_SC_
__PRETTY_FUNCTION__._Z39paged_attention_ll4mi_QKV_mfma16_kernelIDF16_hLN4vllm18Fp8KVCacheDataTypeE1EDF16_Li16ELi64ELi256ELb0ELi7EL8MFMAType1EEvPKT_PKT0_S8_ifPKiSA_SA_iPKfiiiPfSD_PS3_PT2_iSC_SC_:
	.asciz	"void paged_attention_ll4mi_QKV_mfma16_kernel(const scalar_t *__restrict, const cache_t *__restrict, const cache_t *__restrict, const int, const float, const int *__restrict, const int *__restrict, const int *__restrict, const int, const float *__restrict, const int, const int, const int, float *__restrict, float *__restrict, scalar_t *__restrict, OUTT *__restrict, int, const float *, const float *) [scalar_t = _Float16, cache_t = unsigned char, KV_DTYPE = vllm::Fp8KVCacheDataType::kFp8E4M3, OUTT = _Float16, BLOCK_SIZE = 16, HEAD_SIZE = 64, NUM_THREADS = 256, ALIBI_ENABLED = false, GQA_RATIO = 7, MFMA_TYPE = MFMAType::Fp8]"
	.size	__PRETTY_FUNCTION__._Z39paged_attention_ll4mi_QKV_mfma16_kernelIDF16_hLN4vllm18Fp8KVCacheDataTypeE1EDF16_Li16ELi64ELi256ELb0ELi7EL8MFMAType1EEvPKT_PKT0_S8_ifPKiSA_SA_iPKfiiiPfSD_PS3_PT2_iSC_SC_, 630

	.type	__PRETTY_FUNCTION__._Z39paged_attention_ll4mi_QKV_mfma16_kernelIDF16_hLN4vllm18Fp8KVCacheDataTypeE1EDF16_Li16ELi64ELi256ELb0ELi8EL8MFMAType1EEvPKT_PKT0_S8_ifPKiSA_SA_iPKfiiiPfSD_PS3_PT2_iSC_SC_,@object ; @__PRETTY_FUNCTION__._Z39paged_attention_ll4mi_QKV_mfma16_kernelIDF16_hLN4vllm18Fp8KVCacheDataTypeE1EDF16_Li16ELi64ELi256ELb0ELi8EL8MFMAType1EEvPKT_PKT0_S8_ifPKiSA_SA_iPKfiiiPfSD_PS3_PT2_iSC_SC_
__PRETTY_FUNCTION__._Z39paged_attention_ll4mi_QKV_mfma16_kernelIDF16_hLN4vllm18Fp8KVCacheDataTypeE1EDF16_Li16ELi64ELi256ELb0ELi8EL8MFMAType1EEvPKT_PKT0_S8_ifPKiSA_SA_iPKfiiiPfSD_PS3_PT2_iSC_SC_:
	.asciz	"void paged_attention_ll4mi_QKV_mfma16_kernel(const scalar_t *__restrict, const cache_t *__restrict, const cache_t *__restrict, const int, const float, const int *__restrict, const int *__restrict, const int *__restrict, const int, const float *__restrict, const int, const int, const int, float *__restrict, float *__restrict, scalar_t *__restrict, OUTT *__restrict, int, const float *, const float *) [scalar_t = _Float16, cache_t = unsigned char, KV_DTYPE = vllm::Fp8KVCacheDataType::kFp8E4M3, OUTT = _Float16, BLOCK_SIZE = 16, HEAD_SIZE = 64, NUM_THREADS = 256, ALIBI_ENABLED = false, GQA_RATIO = 8, MFMA_TYPE = MFMAType::Fp8]"
	.size	__PRETTY_FUNCTION__._Z39paged_attention_ll4mi_QKV_mfma16_kernelIDF16_hLN4vllm18Fp8KVCacheDataTypeE1EDF16_Li16ELi64ELi256ELb0ELi8EL8MFMAType1EEvPKT_PKT0_S8_ifPKiSA_SA_iPKfiiiPfSD_PS3_PT2_iSC_SC_, 630

	.type	__PRETTY_FUNCTION__._Z39paged_attention_ll4mi_QKV_mfma16_kernelIDF16_hLN4vllm18Fp8KVCacheDataTypeE1EDF16_Li16ELi64ELi256ELb0ELi9EL8MFMAType1EEvPKT_PKT0_S8_ifPKiSA_SA_iPKfiiiPfSD_PS3_PT2_iSC_SC_,@object ; @__PRETTY_FUNCTION__._Z39paged_attention_ll4mi_QKV_mfma16_kernelIDF16_hLN4vllm18Fp8KVCacheDataTypeE1EDF16_Li16ELi64ELi256ELb0ELi9EL8MFMAType1EEvPKT_PKT0_S8_ifPKiSA_SA_iPKfiiiPfSD_PS3_PT2_iSC_SC_
__PRETTY_FUNCTION__._Z39paged_attention_ll4mi_QKV_mfma16_kernelIDF16_hLN4vllm18Fp8KVCacheDataTypeE1EDF16_Li16ELi64ELi256ELb0ELi9EL8MFMAType1EEvPKT_PKT0_S8_ifPKiSA_SA_iPKfiiiPfSD_PS3_PT2_iSC_SC_:
	.asciz	"void paged_attention_ll4mi_QKV_mfma16_kernel(const scalar_t *__restrict, const cache_t *__restrict, const cache_t *__restrict, const int, const float, const int *__restrict, const int *__restrict, const int *__restrict, const int, const float *__restrict, const int, const int, const int, float *__restrict, float *__restrict, scalar_t *__restrict, OUTT *__restrict, int, const float *, const float *) [scalar_t = _Float16, cache_t = unsigned char, KV_DTYPE = vllm::Fp8KVCacheDataType::kFp8E4M3, OUTT = _Float16, BLOCK_SIZE = 16, HEAD_SIZE = 64, NUM_THREADS = 256, ALIBI_ENABLED = false, GQA_RATIO = 9, MFMA_TYPE = MFMAType::Fp8]"
	.size	__PRETTY_FUNCTION__._Z39paged_attention_ll4mi_QKV_mfma16_kernelIDF16_hLN4vllm18Fp8KVCacheDataTypeE1EDF16_Li16ELi64ELi256ELb0ELi9EL8MFMAType1EEvPKT_PKT0_S8_ifPKiSA_SA_iPKfiiiPfSD_PS3_PT2_iSC_SC_, 630

	.type	__PRETTY_FUNCTION__._Z39paged_attention_ll4mi_QKV_mfma16_kernelIDF16_hLN4vllm18Fp8KVCacheDataTypeE1EDF16_Li16ELi64ELi256ELb0ELi10EL8MFMAType1EEvPKT_PKT0_S8_ifPKiSA_SA_iPKfiiiPfSD_PS3_PT2_iSC_SC_,@object ; @__PRETTY_FUNCTION__._Z39paged_attention_ll4mi_QKV_mfma16_kernelIDF16_hLN4vllm18Fp8KVCacheDataTypeE1EDF16_Li16ELi64ELi256ELb0ELi10EL8MFMAType1EEvPKT_PKT0_S8_ifPKiSA_SA_iPKfiiiPfSD_PS3_PT2_iSC_SC_
__PRETTY_FUNCTION__._Z39paged_attention_ll4mi_QKV_mfma16_kernelIDF16_hLN4vllm18Fp8KVCacheDataTypeE1EDF16_Li16ELi64ELi256ELb0ELi10EL8MFMAType1EEvPKT_PKT0_S8_ifPKiSA_SA_iPKfiiiPfSD_PS3_PT2_iSC_SC_:
	.asciz	"void paged_attention_ll4mi_QKV_mfma16_kernel(const scalar_t *__restrict, const cache_t *__restrict, const cache_t *__restrict, const int, const float, const int *__restrict, const int *__restrict, const int *__restrict, const int, const float *__restrict, const int, const int, const int, float *__restrict, float *__restrict, scalar_t *__restrict, OUTT *__restrict, int, const float *, const float *) [scalar_t = _Float16, cache_t = unsigned char, KV_DTYPE = vllm::Fp8KVCacheDataType::kFp8E4M3, OUTT = _Float16, BLOCK_SIZE = 16, HEAD_SIZE = 64, NUM_THREADS = 256, ALIBI_ENABLED = false, GQA_RATIO = 10, MFMA_TYPE = MFMAType::Fp8]"
	.size	__PRETTY_FUNCTION__._Z39paged_attention_ll4mi_QKV_mfma16_kernelIDF16_hLN4vllm18Fp8KVCacheDataTypeE1EDF16_Li16ELi64ELi256ELb0ELi10EL8MFMAType1EEvPKT_PKT0_S8_ifPKiSA_SA_iPKfiiiPfSD_PS3_PT2_iSC_SC_, 631

	.type	__PRETTY_FUNCTION__._Z39paged_attention_ll4mi_QKV_mfma16_kernelIDF16_hLN4vllm18Fp8KVCacheDataTypeE1EDF16_Li16ELi64ELi256ELb0ELi11EL8MFMAType1EEvPKT_PKT0_S8_ifPKiSA_SA_iPKfiiiPfSD_PS3_PT2_iSC_SC_,@object ; @__PRETTY_FUNCTION__._Z39paged_attention_ll4mi_QKV_mfma16_kernelIDF16_hLN4vllm18Fp8KVCacheDataTypeE1EDF16_Li16ELi64ELi256ELb0ELi11EL8MFMAType1EEvPKT_PKT0_S8_ifPKiSA_SA_iPKfiiiPfSD_PS3_PT2_iSC_SC_
__PRETTY_FUNCTION__._Z39paged_attention_ll4mi_QKV_mfma16_kernelIDF16_hLN4vllm18Fp8KVCacheDataTypeE1EDF16_Li16ELi64ELi256ELb0ELi11EL8MFMAType1EEvPKT_PKT0_S8_ifPKiSA_SA_iPKfiiiPfSD_PS3_PT2_iSC_SC_:
	.asciz	"void paged_attention_ll4mi_QKV_mfma16_kernel(const scalar_t *__restrict, const cache_t *__restrict, const cache_t *__restrict, const int, const float, const int *__restrict, const int *__restrict, const int *__restrict, const int, const float *__restrict, const int, const int, const int, float *__restrict, float *__restrict, scalar_t *__restrict, OUTT *__restrict, int, const float *, const float *) [scalar_t = _Float16, cache_t = unsigned char, KV_DTYPE = vllm::Fp8KVCacheDataType::kFp8E4M3, OUTT = _Float16, BLOCK_SIZE = 16, HEAD_SIZE = 64, NUM_THREADS = 256, ALIBI_ENABLED = false, GQA_RATIO = 11, MFMA_TYPE = MFMAType::Fp8]"
	.size	__PRETTY_FUNCTION__._Z39paged_attention_ll4mi_QKV_mfma16_kernelIDF16_hLN4vllm18Fp8KVCacheDataTypeE1EDF16_Li16ELi64ELi256ELb0ELi11EL8MFMAType1EEvPKT_PKT0_S8_ifPKiSA_SA_iPKfiiiPfSD_PS3_PT2_iSC_SC_, 631

	.type	__PRETTY_FUNCTION__._Z39paged_attention_ll4mi_QKV_mfma16_kernelIDF16_hLN4vllm18Fp8KVCacheDataTypeE1EDF16_Li16ELi64ELi256ELb0ELi12EL8MFMAType1EEvPKT_PKT0_S8_ifPKiSA_SA_iPKfiiiPfSD_PS3_PT2_iSC_SC_,@object ; @__PRETTY_FUNCTION__._Z39paged_attention_ll4mi_QKV_mfma16_kernelIDF16_hLN4vllm18Fp8KVCacheDataTypeE1EDF16_Li16ELi64ELi256ELb0ELi12EL8MFMAType1EEvPKT_PKT0_S8_ifPKiSA_SA_iPKfiiiPfSD_PS3_PT2_iSC_SC_
__PRETTY_FUNCTION__._Z39paged_attention_ll4mi_QKV_mfma16_kernelIDF16_hLN4vllm18Fp8KVCacheDataTypeE1EDF16_Li16ELi64ELi256ELb0ELi12EL8MFMAType1EEvPKT_PKT0_S8_ifPKiSA_SA_iPKfiiiPfSD_PS3_PT2_iSC_SC_:
	.asciz	"void paged_attention_ll4mi_QKV_mfma16_kernel(const scalar_t *__restrict, const cache_t *__restrict, const cache_t *__restrict, const int, const float, const int *__restrict, const int *__restrict, const int *__restrict, const int, const float *__restrict, const int, const int, const int, float *__restrict, float *__restrict, scalar_t *__restrict, OUTT *__restrict, int, const float *, const float *) [scalar_t = _Float16, cache_t = unsigned char, KV_DTYPE = vllm::Fp8KVCacheDataType::kFp8E4M3, OUTT = _Float16, BLOCK_SIZE = 16, HEAD_SIZE = 64, NUM_THREADS = 256, ALIBI_ENABLED = false, GQA_RATIO = 12, MFMA_TYPE = MFMAType::Fp8]"
	.size	__PRETTY_FUNCTION__._Z39paged_attention_ll4mi_QKV_mfma16_kernelIDF16_hLN4vllm18Fp8KVCacheDataTypeE1EDF16_Li16ELi64ELi256ELb0ELi12EL8MFMAType1EEvPKT_PKT0_S8_ifPKiSA_SA_iPKfiiiPfSD_PS3_PT2_iSC_SC_, 631

	.type	__PRETTY_FUNCTION__._Z39paged_attention_ll4mi_QKV_mfma16_kernelIDF16_hLN4vllm18Fp8KVCacheDataTypeE1EDF16_Li16ELi64ELi256ELb0ELi13EL8MFMAType1EEvPKT_PKT0_S8_ifPKiSA_SA_iPKfiiiPfSD_PS3_PT2_iSC_SC_,@object ; @__PRETTY_FUNCTION__._Z39paged_attention_ll4mi_QKV_mfma16_kernelIDF16_hLN4vllm18Fp8KVCacheDataTypeE1EDF16_Li16ELi64ELi256ELb0ELi13EL8MFMAType1EEvPKT_PKT0_S8_ifPKiSA_SA_iPKfiiiPfSD_PS3_PT2_iSC_SC_
__PRETTY_FUNCTION__._Z39paged_attention_ll4mi_QKV_mfma16_kernelIDF16_hLN4vllm18Fp8KVCacheDataTypeE1EDF16_Li16ELi64ELi256ELb0ELi13EL8MFMAType1EEvPKT_PKT0_S8_ifPKiSA_SA_iPKfiiiPfSD_PS3_PT2_iSC_SC_:
	.asciz	"void paged_attention_ll4mi_QKV_mfma16_kernel(const scalar_t *__restrict, const cache_t *__restrict, const cache_t *__restrict, const int, const float, const int *__restrict, const int *__restrict, const int *__restrict, const int, const float *__restrict, const int, const int, const int, float *__restrict, float *__restrict, scalar_t *__restrict, OUTT *__restrict, int, const float *, const float *) [scalar_t = _Float16, cache_t = unsigned char, KV_DTYPE = vllm::Fp8KVCacheDataType::kFp8E4M3, OUTT = _Float16, BLOCK_SIZE = 16, HEAD_SIZE = 64, NUM_THREADS = 256, ALIBI_ENABLED = false, GQA_RATIO = 13, MFMA_TYPE = MFMAType::Fp8]"
	.size	__PRETTY_FUNCTION__._Z39paged_attention_ll4mi_QKV_mfma16_kernelIDF16_hLN4vllm18Fp8KVCacheDataTypeE1EDF16_Li16ELi64ELi256ELb0ELi13EL8MFMAType1EEvPKT_PKT0_S8_ifPKiSA_SA_iPKfiiiPfSD_PS3_PT2_iSC_SC_, 631

	.type	__PRETTY_FUNCTION__._Z39paged_attention_ll4mi_QKV_mfma16_kernelIDF16_hLN4vllm18Fp8KVCacheDataTypeE1EDF16_Li16ELi64ELi256ELb0ELi14EL8MFMAType1EEvPKT_PKT0_S8_ifPKiSA_SA_iPKfiiiPfSD_PS3_PT2_iSC_SC_,@object ; @__PRETTY_FUNCTION__._Z39paged_attention_ll4mi_QKV_mfma16_kernelIDF16_hLN4vllm18Fp8KVCacheDataTypeE1EDF16_Li16ELi64ELi256ELb0ELi14EL8MFMAType1EEvPKT_PKT0_S8_ifPKiSA_SA_iPKfiiiPfSD_PS3_PT2_iSC_SC_
__PRETTY_FUNCTION__._Z39paged_attention_ll4mi_QKV_mfma16_kernelIDF16_hLN4vllm18Fp8KVCacheDataTypeE1EDF16_Li16ELi64ELi256ELb0ELi14EL8MFMAType1EEvPKT_PKT0_S8_ifPKiSA_SA_iPKfiiiPfSD_PS3_PT2_iSC_SC_:
	.asciz	"void paged_attention_ll4mi_QKV_mfma16_kernel(const scalar_t *__restrict, const cache_t *__restrict, const cache_t *__restrict, const int, const float, const int *__restrict, const int *__restrict, const int *__restrict, const int, const float *__restrict, const int, const int, const int, float *__restrict, float *__restrict, scalar_t *__restrict, OUTT *__restrict, int, const float *, const float *) [scalar_t = _Float16, cache_t = unsigned char, KV_DTYPE = vllm::Fp8KVCacheDataType::kFp8E4M3, OUTT = _Float16, BLOCK_SIZE = 16, HEAD_SIZE = 64, NUM_THREADS = 256, ALIBI_ENABLED = false, GQA_RATIO = 14, MFMA_TYPE = MFMAType::Fp8]"
	.size	__PRETTY_FUNCTION__._Z39paged_attention_ll4mi_QKV_mfma16_kernelIDF16_hLN4vllm18Fp8KVCacheDataTypeE1EDF16_Li16ELi64ELi256ELb0ELi14EL8MFMAType1EEvPKT_PKT0_S8_ifPKiSA_SA_iPKfiiiPfSD_PS3_PT2_iSC_SC_, 631

	.type	__PRETTY_FUNCTION__._Z39paged_attention_ll4mi_QKV_mfma16_kernelIDF16_hLN4vllm18Fp8KVCacheDataTypeE1EDF16_Li16ELi64ELi256ELb0ELi15EL8MFMAType1EEvPKT_PKT0_S8_ifPKiSA_SA_iPKfiiiPfSD_PS3_PT2_iSC_SC_,@object ; @__PRETTY_FUNCTION__._Z39paged_attention_ll4mi_QKV_mfma16_kernelIDF16_hLN4vllm18Fp8KVCacheDataTypeE1EDF16_Li16ELi64ELi256ELb0ELi15EL8MFMAType1EEvPKT_PKT0_S8_ifPKiSA_SA_iPKfiiiPfSD_PS3_PT2_iSC_SC_
__PRETTY_FUNCTION__._Z39paged_attention_ll4mi_QKV_mfma16_kernelIDF16_hLN4vllm18Fp8KVCacheDataTypeE1EDF16_Li16ELi64ELi256ELb0ELi15EL8MFMAType1EEvPKT_PKT0_S8_ifPKiSA_SA_iPKfiiiPfSD_PS3_PT2_iSC_SC_:
	.asciz	"void paged_attention_ll4mi_QKV_mfma16_kernel(const scalar_t *__restrict, const cache_t *__restrict, const cache_t *__restrict, const int, const float, const int *__restrict, const int *__restrict, const int *__restrict, const int, const float *__restrict, const int, const int, const int, float *__restrict, float *__restrict, scalar_t *__restrict, OUTT *__restrict, int, const float *, const float *) [scalar_t = _Float16, cache_t = unsigned char, KV_DTYPE = vllm::Fp8KVCacheDataType::kFp8E4M3, OUTT = _Float16, BLOCK_SIZE = 16, HEAD_SIZE = 64, NUM_THREADS = 256, ALIBI_ENABLED = false, GQA_RATIO = 15, MFMA_TYPE = MFMAType::Fp8]"
	.size	__PRETTY_FUNCTION__._Z39paged_attention_ll4mi_QKV_mfma16_kernelIDF16_hLN4vllm18Fp8KVCacheDataTypeE1EDF16_Li16ELi64ELi256ELb0ELi15EL8MFMAType1EEvPKT_PKT0_S8_ifPKiSA_SA_iPKfiiiPfSD_PS3_PT2_iSC_SC_, 631

	.type	__PRETTY_FUNCTION__._Z39paged_attention_ll4mi_QKV_mfma16_kernelIDF16_hLN4vllm18Fp8KVCacheDataTypeE1EDF16_Li16ELi64ELi256ELb0ELi16EL8MFMAType1EEvPKT_PKT0_S8_ifPKiSA_SA_iPKfiiiPfSD_PS3_PT2_iSC_SC_,@object ; @__PRETTY_FUNCTION__._Z39paged_attention_ll4mi_QKV_mfma16_kernelIDF16_hLN4vllm18Fp8KVCacheDataTypeE1EDF16_Li16ELi64ELi256ELb0ELi16EL8MFMAType1EEvPKT_PKT0_S8_ifPKiSA_SA_iPKfiiiPfSD_PS3_PT2_iSC_SC_
__PRETTY_FUNCTION__._Z39paged_attention_ll4mi_QKV_mfma16_kernelIDF16_hLN4vllm18Fp8KVCacheDataTypeE1EDF16_Li16ELi64ELi256ELb0ELi16EL8MFMAType1EEvPKT_PKT0_S8_ifPKiSA_SA_iPKfiiiPfSD_PS3_PT2_iSC_SC_:
	.asciz	"void paged_attention_ll4mi_QKV_mfma16_kernel(const scalar_t *__restrict, const cache_t *__restrict, const cache_t *__restrict, const int, const float, const int *__restrict, const int *__restrict, const int *__restrict, const int, const float *__restrict, const int, const int, const int, float *__restrict, float *__restrict, scalar_t *__restrict, OUTT *__restrict, int, const float *, const float *) [scalar_t = _Float16, cache_t = unsigned char, KV_DTYPE = vllm::Fp8KVCacheDataType::kFp8E4M3, OUTT = _Float16, BLOCK_SIZE = 16, HEAD_SIZE = 64, NUM_THREADS = 256, ALIBI_ENABLED = false, GQA_RATIO = 16, MFMA_TYPE = MFMAType::Fp8]"
	.size	__PRETTY_FUNCTION__._Z39paged_attention_ll4mi_QKV_mfma16_kernelIDF16_hLN4vllm18Fp8KVCacheDataTypeE1EDF16_Li16ELi64ELi256ELb0ELi16EL8MFMAType1EEvPKT_PKT0_S8_ifPKiSA_SA_iPKfiiiPfSD_PS3_PT2_iSC_SC_, 631

	.type	__PRETTY_FUNCTION__._Z39paged_attention_ll4mi_QKV_mfma16_kernelIDF16_hLN4vllm18Fp8KVCacheDataTypeE1EDF16_Li16ELi64ELi256ELb0ELi1EL8MFMAType1EEvPKT_PKT0_S8_ifPKiSA_SA_iPKfiiiPfSD_PS3_PT2_iSC_SC_,@object ; @__PRETTY_FUNCTION__._Z39paged_attention_ll4mi_QKV_mfma16_kernelIDF16_hLN4vllm18Fp8KVCacheDataTypeE1EDF16_Li16ELi64ELi256ELb0ELi1EL8MFMAType1EEvPKT_PKT0_S8_ifPKiSA_SA_iPKfiiiPfSD_PS3_PT2_iSC_SC_
__PRETTY_FUNCTION__._Z39paged_attention_ll4mi_QKV_mfma16_kernelIDF16_hLN4vllm18Fp8KVCacheDataTypeE1EDF16_Li16ELi64ELi256ELb0ELi1EL8MFMAType1EEvPKT_PKT0_S8_ifPKiSA_SA_iPKfiiiPfSD_PS3_PT2_iSC_SC_:
	.asciz	"void paged_attention_ll4mi_QKV_mfma16_kernel(const scalar_t *__restrict, const cache_t *__restrict, const cache_t *__restrict, const int, const float, const int *__restrict, const int *__restrict, const int *__restrict, const int, const float *__restrict, const int, const int, const int, float *__restrict, float *__restrict, scalar_t *__restrict, OUTT *__restrict, int, const float *, const float *) [scalar_t = _Float16, cache_t = unsigned char, KV_DTYPE = vllm::Fp8KVCacheDataType::kFp8E4M3, OUTT = _Float16, BLOCK_SIZE = 16, HEAD_SIZE = 64, NUM_THREADS = 256, ALIBI_ENABLED = false, GQA_RATIO = 1, MFMA_TYPE = MFMAType::Fp8]"
	.size	__PRETTY_FUNCTION__._Z39paged_attention_ll4mi_QKV_mfma16_kernelIDF16_hLN4vllm18Fp8KVCacheDataTypeE1EDF16_Li16ELi64ELi256ELb0ELi1EL8MFMAType1EEvPKT_PKT0_S8_ifPKiSA_SA_iPKfiiiPfSD_PS3_PT2_iSC_SC_, 630

	.type	__PRETTY_FUNCTION__._Z39paged_attention_ll4mi_QKV_mfma16_kernelIDF16_hLN4vllm18Fp8KVCacheDataTypeE1EDF16_Li16ELi64ELi256ELb0ELi2EL8MFMAType1EEvPKT_PKT0_S8_ifPKiSA_SA_iPKfiiiPfSD_PS3_PT2_iSC_SC_,@object ; @__PRETTY_FUNCTION__._Z39paged_attention_ll4mi_QKV_mfma16_kernelIDF16_hLN4vllm18Fp8KVCacheDataTypeE1EDF16_Li16ELi64ELi256ELb0ELi2EL8MFMAType1EEvPKT_PKT0_S8_ifPKiSA_SA_iPKfiiiPfSD_PS3_PT2_iSC_SC_
__PRETTY_FUNCTION__._Z39paged_attention_ll4mi_QKV_mfma16_kernelIDF16_hLN4vllm18Fp8KVCacheDataTypeE1EDF16_Li16ELi64ELi256ELb0ELi2EL8MFMAType1EEvPKT_PKT0_S8_ifPKiSA_SA_iPKfiiiPfSD_PS3_PT2_iSC_SC_:
	.asciz	"void paged_attention_ll4mi_QKV_mfma16_kernel(const scalar_t *__restrict, const cache_t *__restrict, const cache_t *__restrict, const int, const float, const int *__restrict, const int *__restrict, const int *__restrict, const int, const float *__restrict, const int, const int, const int, float *__restrict, float *__restrict, scalar_t *__restrict, OUTT *__restrict, int, const float *, const float *) [scalar_t = _Float16, cache_t = unsigned char, KV_DTYPE = vllm::Fp8KVCacheDataType::kFp8E4M3, OUTT = _Float16, BLOCK_SIZE = 16, HEAD_SIZE = 64, NUM_THREADS = 256, ALIBI_ENABLED = false, GQA_RATIO = 2, MFMA_TYPE = MFMAType::Fp8]"
	.size	__PRETTY_FUNCTION__._Z39paged_attention_ll4mi_QKV_mfma16_kernelIDF16_hLN4vllm18Fp8KVCacheDataTypeE1EDF16_Li16ELi64ELi256ELb0ELi2EL8MFMAType1EEvPKT_PKT0_S8_ifPKiSA_SA_iPKfiiiPfSD_PS3_PT2_iSC_SC_, 630

	.type	__PRETTY_FUNCTION__._Z39paged_attention_ll4mi_QKV_mfma16_kernelIDF16_hLN4vllm18Fp8KVCacheDataTypeE1EDF16_Li16ELi64ELi256ELb0ELi3EL8MFMAType1EEvPKT_PKT0_S8_ifPKiSA_SA_iPKfiiiPfSD_PS3_PT2_iSC_SC_,@object ; @__PRETTY_FUNCTION__._Z39paged_attention_ll4mi_QKV_mfma16_kernelIDF16_hLN4vllm18Fp8KVCacheDataTypeE1EDF16_Li16ELi64ELi256ELb0ELi3EL8MFMAType1EEvPKT_PKT0_S8_ifPKiSA_SA_iPKfiiiPfSD_PS3_PT2_iSC_SC_
__PRETTY_FUNCTION__._Z39paged_attention_ll4mi_QKV_mfma16_kernelIDF16_hLN4vllm18Fp8KVCacheDataTypeE1EDF16_Li16ELi64ELi256ELb0ELi3EL8MFMAType1EEvPKT_PKT0_S8_ifPKiSA_SA_iPKfiiiPfSD_PS3_PT2_iSC_SC_:
	.asciz	"void paged_attention_ll4mi_QKV_mfma16_kernel(const scalar_t *__restrict, const cache_t *__restrict, const cache_t *__restrict, const int, const float, const int *__restrict, const int *__restrict, const int *__restrict, const int, const float *__restrict, const int, const int, const int, float *__restrict, float *__restrict, scalar_t *__restrict, OUTT *__restrict, int, const float *, const float *) [scalar_t = _Float16, cache_t = unsigned char, KV_DTYPE = vllm::Fp8KVCacheDataType::kFp8E4M3, OUTT = _Float16, BLOCK_SIZE = 16, HEAD_SIZE = 64, NUM_THREADS = 256, ALIBI_ENABLED = false, GQA_RATIO = 3, MFMA_TYPE = MFMAType::Fp8]"
	.size	__PRETTY_FUNCTION__._Z39paged_attention_ll4mi_QKV_mfma16_kernelIDF16_hLN4vllm18Fp8KVCacheDataTypeE1EDF16_Li16ELi64ELi256ELb0ELi3EL8MFMAType1EEvPKT_PKT0_S8_ifPKiSA_SA_iPKfiiiPfSD_PS3_PT2_iSC_SC_, 630

	.type	__PRETTY_FUNCTION__._Z39paged_attention_ll4mi_QKV_mfma16_kernelIDF16_hLN4vllm18Fp8KVCacheDataTypeE1EDF16_Li16ELi64ELi256ELb0ELi4EL8MFMAType1EEvPKT_PKT0_S8_ifPKiSA_SA_iPKfiiiPfSD_PS3_PT2_iSC_SC_,@object ; @__PRETTY_FUNCTION__._Z39paged_attention_ll4mi_QKV_mfma16_kernelIDF16_hLN4vllm18Fp8KVCacheDataTypeE1EDF16_Li16ELi64ELi256ELb0ELi4EL8MFMAType1EEvPKT_PKT0_S8_ifPKiSA_SA_iPKfiiiPfSD_PS3_PT2_iSC_SC_
__PRETTY_FUNCTION__._Z39paged_attention_ll4mi_QKV_mfma16_kernelIDF16_hLN4vllm18Fp8KVCacheDataTypeE1EDF16_Li16ELi64ELi256ELb0ELi4EL8MFMAType1EEvPKT_PKT0_S8_ifPKiSA_SA_iPKfiiiPfSD_PS3_PT2_iSC_SC_:
	.asciz	"void paged_attention_ll4mi_QKV_mfma16_kernel(const scalar_t *__restrict, const cache_t *__restrict, const cache_t *__restrict, const int, const float, const int *__restrict, const int *__restrict, const int *__restrict, const int, const float *__restrict, const int, const int, const int, float *__restrict, float *__restrict, scalar_t *__restrict, OUTT *__restrict, int, const float *, const float *) [scalar_t = _Float16, cache_t = unsigned char, KV_DTYPE = vllm::Fp8KVCacheDataType::kFp8E4M3, OUTT = _Float16, BLOCK_SIZE = 16, HEAD_SIZE = 64, NUM_THREADS = 256, ALIBI_ENABLED = false, GQA_RATIO = 4, MFMA_TYPE = MFMAType::Fp8]"
	.size	__PRETTY_FUNCTION__._Z39paged_attention_ll4mi_QKV_mfma16_kernelIDF16_hLN4vllm18Fp8KVCacheDataTypeE1EDF16_Li16ELi64ELi256ELb0ELi4EL8MFMAType1EEvPKT_PKT0_S8_ifPKiSA_SA_iPKfiiiPfSD_PS3_PT2_iSC_SC_, 630

	.type	__PRETTY_FUNCTION__._Z39paged_attention_ll4mi_QKV_mfma16_kernelIDF16_hLN4vllm18Fp8KVCacheDataTypeE1EDF16_Li32ELi64ELi256ELb1ELi5EL8MFMAType1EEvPKT_PKT0_S8_ifPKiSA_SA_iPKfiiiPfSD_PS3_PT2_iSC_SC_,@object ; @__PRETTY_FUNCTION__._Z39paged_attention_ll4mi_QKV_mfma16_kernelIDF16_hLN4vllm18Fp8KVCacheDataTypeE1EDF16_Li32ELi64ELi256ELb1ELi5EL8MFMAType1EEvPKT_PKT0_S8_ifPKiSA_SA_iPKfiiiPfSD_PS3_PT2_iSC_SC_
__PRETTY_FUNCTION__._Z39paged_attention_ll4mi_QKV_mfma16_kernelIDF16_hLN4vllm18Fp8KVCacheDataTypeE1EDF16_Li32ELi64ELi256ELb1ELi5EL8MFMAType1EEvPKT_PKT0_S8_ifPKiSA_SA_iPKfiiiPfSD_PS3_PT2_iSC_SC_:
	.asciz	"void paged_attention_ll4mi_QKV_mfma16_kernel(const scalar_t *__restrict, const cache_t *__restrict, const cache_t *__restrict, const int, const float, const int *__restrict, const int *__restrict, const int *__restrict, const int, const float *__restrict, const int, const int, const int, float *__restrict, float *__restrict, scalar_t *__restrict, OUTT *__restrict, int, const float *, const float *) [scalar_t = _Float16, cache_t = unsigned char, KV_DTYPE = vllm::Fp8KVCacheDataType::kFp8E4M3, OUTT = _Float16, BLOCK_SIZE = 32, HEAD_SIZE = 64, NUM_THREADS = 256, ALIBI_ENABLED = true, GQA_RATIO = 5, MFMA_TYPE = MFMAType::Fp8]"
	.size	__PRETTY_FUNCTION__._Z39paged_attention_ll4mi_QKV_mfma16_kernelIDF16_hLN4vllm18Fp8KVCacheDataTypeE1EDF16_Li32ELi64ELi256ELb1ELi5EL8MFMAType1EEvPKT_PKT0_S8_ifPKiSA_SA_iPKfiiiPfSD_PS3_PT2_iSC_SC_, 629

	.type	__PRETTY_FUNCTION__._Z39paged_attention_ll4mi_QKV_mfma16_kernelIDF16_hLN4vllm18Fp8KVCacheDataTypeE1EDF16_Li32ELi64ELi256ELb1ELi6EL8MFMAType1EEvPKT_PKT0_S8_ifPKiSA_SA_iPKfiiiPfSD_PS3_PT2_iSC_SC_,@object ; @__PRETTY_FUNCTION__._Z39paged_attention_ll4mi_QKV_mfma16_kernelIDF16_hLN4vllm18Fp8KVCacheDataTypeE1EDF16_Li32ELi64ELi256ELb1ELi6EL8MFMAType1EEvPKT_PKT0_S8_ifPKiSA_SA_iPKfiiiPfSD_PS3_PT2_iSC_SC_
__PRETTY_FUNCTION__._Z39paged_attention_ll4mi_QKV_mfma16_kernelIDF16_hLN4vllm18Fp8KVCacheDataTypeE1EDF16_Li32ELi64ELi256ELb1ELi6EL8MFMAType1EEvPKT_PKT0_S8_ifPKiSA_SA_iPKfiiiPfSD_PS3_PT2_iSC_SC_:
	.asciz	"void paged_attention_ll4mi_QKV_mfma16_kernel(const scalar_t *__restrict, const cache_t *__restrict, const cache_t *__restrict, const int, const float, const int *__restrict, const int *__restrict, const int *__restrict, const int, const float *__restrict, const int, const int, const int, float *__restrict, float *__restrict, scalar_t *__restrict, OUTT *__restrict, int, const float *, const float *) [scalar_t = _Float16, cache_t = unsigned char, KV_DTYPE = vllm::Fp8KVCacheDataType::kFp8E4M3, OUTT = _Float16, BLOCK_SIZE = 32, HEAD_SIZE = 64, NUM_THREADS = 256, ALIBI_ENABLED = true, GQA_RATIO = 6, MFMA_TYPE = MFMAType::Fp8]"
	.size	__PRETTY_FUNCTION__._Z39paged_attention_ll4mi_QKV_mfma16_kernelIDF16_hLN4vllm18Fp8KVCacheDataTypeE1EDF16_Li32ELi64ELi256ELb1ELi6EL8MFMAType1EEvPKT_PKT0_S8_ifPKiSA_SA_iPKfiiiPfSD_PS3_PT2_iSC_SC_, 629

	.type	__PRETTY_FUNCTION__._Z39paged_attention_ll4mi_QKV_mfma16_kernelIDF16_hLN4vllm18Fp8KVCacheDataTypeE1EDF16_Li32ELi64ELi256ELb1ELi7EL8MFMAType1EEvPKT_PKT0_S8_ifPKiSA_SA_iPKfiiiPfSD_PS3_PT2_iSC_SC_,@object ; @__PRETTY_FUNCTION__._Z39paged_attention_ll4mi_QKV_mfma16_kernelIDF16_hLN4vllm18Fp8KVCacheDataTypeE1EDF16_Li32ELi64ELi256ELb1ELi7EL8MFMAType1EEvPKT_PKT0_S8_ifPKiSA_SA_iPKfiiiPfSD_PS3_PT2_iSC_SC_
__PRETTY_FUNCTION__._Z39paged_attention_ll4mi_QKV_mfma16_kernelIDF16_hLN4vllm18Fp8KVCacheDataTypeE1EDF16_Li32ELi64ELi256ELb1ELi7EL8MFMAType1EEvPKT_PKT0_S8_ifPKiSA_SA_iPKfiiiPfSD_PS3_PT2_iSC_SC_:
	.asciz	"void paged_attention_ll4mi_QKV_mfma16_kernel(const scalar_t *__restrict, const cache_t *__restrict, const cache_t *__restrict, const int, const float, const int *__restrict, const int *__restrict, const int *__restrict, const int, const float *__restrict, const int, const int, const int, float *__restrict, float *__restrict, scalar_t *__restrict, OUTT *__restrict, int, const float *, const float *) [scalar_t = _Float16, cache_t = unsigned char, KV_DTYPE = vllm::Fp8KVCacheDataType::kFp8E4M3, OUTT = _Float16, BLOCK_SIZE = 32, HEAD_SIZE = 64, NUM_THREADS = 256, ALIBI_ENABLED = true, GQA_RATIO = 7, MFMA_TYPE = MFMAType::Fp8]"
	.size	__PRETTY_FUNCTION__._Z39paged_attention_ll4mi_QKV_mfma16_kernelIDF16_hLN4vllm18Fp8KVCacheDataTypeE1EDF16_Li32ELi64ELi256ELb1ELi7EL8MFMAType1EEvPKT_PKT0_S8_ifPKiSA_SA_iPKfiiiPfSD_PS3_PT2_iSC_SC_, 629

	.type	__PRETTY_FUNCTION__._Z39paged_attention_ll4mi_QKV_mfma16_kernelIDF16_hLN4vllm18Fp8KVCacheDataTypeE1EDF16_Li32ELi64ELi256ELb1ELi8EL8MFMAType1EEvPKT_PKT0_S8_ifPKiSA_SA_iPKfiiiPfSD_PS3_PT2_iSC_SC_,@object ; @__PRETTY_FUNCTION__._Z39paged_attention_ll4mi_QKV_mfma16_kernelIDF16_hLN4vllm18Fp8KVCacheDataTypeE1EDF16_Li32ELi64ELi256ELb1ELi8EL8MFMAType1EEvPKT_PKT0_S8_ifPKiSA_SA_iPKfiiiPfSD_PS3_PT2_iSC_SC_
__PRETTY_FUNCTION__._Z39paged_attention_ll4mi_QKV_mfma16_kernelIDF16_hLN4vllm18Fp8KVCacheDataTypeE1EDF16_Li32ELi64ELi256ELb1ELi8EL8MFMAType1EEvPKT_PKT0_S8_ifPKiSA_SA_iPKfiiiPfSD_PS3_PT2_iSC_SC_:
	.asciz	"void paged_attention_ll4mi_QKV_mfma16_kernel(const scalar_t *__restrict, const cache_t *__restrict, const cache_t *__restrict, const int, const float, const int *__restrict, const int *__restrict, const int *__restrict, const int, const float *__restrict, const int, const int, const int, float *__restrict, float *__restrict, scalar_t *__restrict, OUTT *__restrict, int, const float *, const float *) [scalar_t = _Float16, cache_t = unsigned char, KV_DTYPE = vllm::Fp8KVCacheDataType::kFp8E4M3, OUTT = _Float16, BLOCK_SIZE = 32, HEAD_SIZE = 64, NUM_THREADS = 256, ALIBI_ENABLED = true, GQA_RATIO = 8, MFMA_TYPE = MFMAType::Fp8]"
	.size	__PRETTY_FUNCTION__._Z39paged_attention_ll4mi_QKV_mfma16_kernelIDF16_hLN4vllm18Fp8KVCacheDataTypeE1EDF16_Li32ELi64ELi256ELb1ELi8EL8MFMAType1EEvPKT_PKT0_S8_ifPKiSA_SA_iPKfiiiPfSD_PS3_PT2_iSC_SC_, 629

	.type	__PRETTY_FUNCTION__._Z39paged_attention_ll4mi_QKV_mfma16_kernelIDF16_hLN4vllm18Fp8KVCacheDataTypeE1EDF16_Li32ELi64ELi256ELb1ELi9EL8MFMAType1EEvPKT_PKT0_S8_ifPKiSA_SA_iPKfiiiPfSD_PS3_PT2_iSC_SC_,@object ; @__PRETTY_FUNCTION__._Z39paged_attention_ll4mi_QKV_mfma16_kernelIDF16_hLN4vllm18Fp8KVCacheDataTypeE1EDF16_Li32ELi64ELi256ELb1ELi9EL8MFMAType1EEvPKT_PKT0_S8_ifPKiSA_SA_iPKfiiiPfSD_PS3_PT2_iSC_SC_
__PRETTY_FUNCTION__._Z39paged_attention_ll4mi_QKV_mfma16_kernelIDF16_hLN4vllm18Fp8KVCacheDataTypeE1EDF16_Li32ELi64ELi256ELb1ELi9EL8MFMAType1EEvPKT_PKT0_S8_ifPKiSA_SA_iPKfiiiPfSD_PS3_PT2_iSC_SC_:
	.asciz	"void paged_attention_ll4mi_QKV_mfma16_kernel(const scalar_t *__restrict, const cache_t *__restrict, const cache_t *__restrict, const int, const float, const int *__restrict, const int *__restrict, const int *__restrict, const int, const float *__restrict, const int, const int, const int, float *__restrict, float *__restrict, scalar_t *__restrict, OUTT *__restrict, int, const float *, const float *) [scalar_t = _Float16, cache_t = unsigned char, KV_DTYPE = vllm::Fp8KVCacheDataType::kFp8E4M3, OUTT = _Float16, BLOCK_SIZE = 32, HEAD_SIZE = 64, NUM_THREADS = 256, ALIBI_ENABLED = true, GQA_RATIO = 9, MFMA_TYPE = MFMAType::Fp8]"
	.size	__PRETTY_FUNCTION__._Z39paged_attention_ll4mi_QKV_mfma16_kernelIDF16_hLN4vllm18Fp8KVCacheDataTypeE1EDF16_Li32ELi64ELi256ELb1ELi9EL8MFMAType1EEvPKT_PKT0_S8_ifPKiSA_SA_iPKfiiiPfSD_PS3_PT2_iSC_SC_, 629

	.type	__PRETTY_FUNCTION__._Z39paged_attention_ll4mi_QKV_mfma16_kernelIDF16_hLN4vllm18Fp8KVCacheDataTypeE1EDF16_Li32ELi64ELi256ELb1ELi10EL8MFMAType1EEvPKT_PKT0_S8_ifPKiSA_SA_iPKfiiiPfSD_PS3_PT2_iSC_SC_,@object ; @__PRETTY_FUNCTION__._Z39paged_attention_ll4mi_QKV_mfma16_kernelIDF16_hLN4vllm18Fp8KVCacheDataTypeE1EDF16_Li32ELi64ELi256ELb1ELi10EL8MFMAType1EEvPKT_PKT0_S8_ifPKiSA_SA_iPKfiiiPfSD_PS3_PT2_iSC_SC_
__PRETTY_FUNCTION__._Z39paged_attention_ll4mi_QKV_mfma16_kernelIDF16_hLN4vllm18Fp8KVCacheDataTypeE1EDF16_Li32ELi64ELi256ELb1ELi10EL8MFMAType1EEvPKT_PKT0_S8_ifPKiSA_SA_iPKfiiiPfSD_PS3_PT2_iSC_SC_:
	.asciz	"void paged_attention_ll4mi_QKV_mfma16_kernel(const scalar_t *__restrict, const cache_t *__restrict, const cache_t *__restrict, const int, const float, const int *__restrict, const int *__restrict, const int *__restrict, const int, const float *__restrict, const int, const int, const int, float *__restrict, float *__restrict, scalar_t *__restrict, OUTT *__restrict, int, const float *, const float *) [scalar_t = _Float16, cache_t = unsigned char, KV_DTYPE = vllm::Fp8KVCacheDataType::kFp8E4M3, OUTT = _Float16, BLOCK_SIZE = 32, HEAD_SIZE = 64, NUM_THREADS = 256, ALIBI_ENABLED = true, GQA_RATIO = 10, MFMA_TYPE = MFMAType::Fp8]"
	.size	__PRETTY_FUNCTION__._Z39paged_attention_ll4mi_QKV_mfma16_kernelIDF16_hLN4vllm18Fp8KVCacheDataTypeE1EDF16_Li32ELi64ELi256ELb1ELi10EL8MFMAType1EEvPKT_PKT0_S8_ifPKiSA_SA_iPKfiiiPfSD_PS3_PT2_iSC_SC_, 630

	.type	__PRETTY_FUNCTION__._Z39paged_attention_ll4mi_QKV_mfma16_kernelIDF16_hLN4vllm18Fp8KVCacheDataTypeE1EDF16_Li32ELi64ELi256ELb1ELi11EL8MFMAType1EEvPKT_PKT0_S8_ifPKiSA_SA_iPKfiiiPfSD_PS3_PT2_iSC_SC_,@object ; @__PRETTY_FUNCTION__._Z39paged_attention_ll4mi_QKV_mfma16_kernelIDF16_hLN4vllm18Fp8KVCacheDataTypeE1EDF16_Li32ELi64ELi256ELb1ELi11EL8MFMAType1EEvPKT_PKT0_S8_ifPKiSA_SA_iPKfiiiPfSD_PS3_PT2_iSC_SC_
__PRETTY_FUNCTION__._Z39paged_attention_ll4mi_QKV_mfma16_kernelIDF16_hLN4vllm18Fp8KVCacheDataTypeE1EDF16_Li32ELi64ELi256ELb1ELi11EL8MFMAType1EEvPKT_PKT0_S8_ifPKiSA_SA_iPKfiiiPfSD_PS3_PT2_iSC_SC_:
	.asciz	"void paged_attention_ll4mi_QKV_mfma16_kernel(const scalar_t *__restrict, const cache_t *__restrict, const cache_t *__restrict, const int, const float, const int *__restrict, const int *__restrict, const int *__restrict, const int, const float *__restrict, const int, const int, const int, float *__restrict, float *__restrict, scalar_t *__restrict, OUTT *__restrict, int, const float *, const float *) [scalar_t = _Float16, cache_t = unsigned char, KV_DTYPE = vllm::Fp8KVCacheDataType::kFp8E4M3, OUTT = _Float16, BLOCK_SIZE = 32, HEAD_SIZE = 64, NUM_THREADS = 256, ALIBI_ENABLED = true, GQA_RATIO = 11, MFMA_TYPE = MFMAType::Fp8]"
	.size	__PRETTY_FUNCTION__._Z39paged_attention_ll4mi_QKV_mfma16_kernelIDF16_hLN4vllm18Fp8KVCacheDataTypeE1EDF16_Li32ELi64ELi256ELb1ELi11EL8MFMAType1EEvPKT_PKT0_S8_ifPKiSA_SA_iPKfiiiPfSD_PS3_PT2_iSC_SC_, 630

	.type	__PRETTY_FUNCTION__._Z39paged_attention_ll4mi_QKV_mfma16_kernelIDF16_hLN4vllm18Fp8KVCacheDataTypeE1EDF16_Li32ELi64ELi256ELb1ELi12EL8MFMAType1EEvPKT_PKT0_S8_ifPKiSA_SA_iPKfiiiPfSD_PS3_PT2_iSC_SC_,@object ; @__PRETTY_FUNCTION__._Z39paged_attention_ll4mi_QKV_mfma16_kernelIDF16_hLN4vllm18Fp8KVCacheDataTypeE1EDF16_Li32ELi64ELi256ELb1ELi12EL8MFMAType1EEvPKT_PKT0_S8_ifPKiSA_SA_iPKfiiiPfSD_PS3_PT2_iSC_SC_
__PRETTY_FUNCTION__._Z39paged_attention_ll4mi_QKV_mfma16_kernelIDF16_hLN4vllm18Fp8KVCacheDataTypeE1EDF16_Li32ELi64ELi256ELb1ELi12EL8MFMAType1EEvPKT_PKT0_S8_ifPKiSA_SA_iPKfiiiPfSD_PS3_PT2_iSC_SC_:
	.asciz	"void paged_attention_ll4mi_QKV_mfma16_kernel(const scalar_t *__restrict, const cache_t *__restrict, const cache_t *__restrict, const int, const float, const int *__restrict, const int *__restrict, const int *__restrict, const int, const float *__restrict, const int, const int, const int, float *__restrict, float *__restrict, scalar_t *__restrict, OUTT *__restrict, int, const float *, const float *) [scalar_t = _Float16, cache_t = unsigned char, KV_DTYPE = vllm::Fp8KVCacheDataType::kFp8E4M3, OUTT = _Float16, BLOCK_SIZE = 32, HEAD_SIZE = 64, NUM_THREADS = 256, ALIBI_ENABLED = true, GQA_RATIO = 12, MFMA_TYPE = MFMAType::Fp8]"
	.size	__PRETTY_FUNCTION__._Z39paged_attention_ll4mi_QKV_mfma16_kernelIDF16_hLN4vllm18Fp8KVCacheDataTypeE1EDF16_Li32ELi64ELi256ELb1ELi12EL8MFMAType1EEvPKT_PKT0_S8_ifPKiSA_SA_iPKfiiiPfSD_PS3_PT2_iSC_SC_, 630

	.type	__PRETTY_FUNCTION__._Z39paged_attention_ll4mi_QKV_mfma16_kernelIDF16_hLN4vllm18Fp8KVCacheDataTypeE1EDF16_Li32ELi64ELi256ELb1ELi13EL8MFMAType1EEvPKT_PKT0_S8_ifPKiSA_SA_iPKfiiiPfSD_PS3_PT2_iSC_SC_,@object ; @__PRETTY_FUNCTION__._Z39paged_attention_ll4mi_QKV_mfma16_kernelIDF16_hLN4vllm18Fp8KVCacheDataTypeE1EDF16_Li32ELi64ELi256ELb1ELi13EL8MFMAType1EEvPKT_PKT0_S8_ifPKiSA_SA_iPKfiiiPfSD_PS3_PT2_iSC_SC_
__PRETTY_FUNCTION__._Z39paged_attention_ll4mi_QKV_mfma16_kernelIDF16_hLN4vllm18Fp8KVCacheDataTypeE1EDF16_Li32ELi64ELi256ELb1ELi13EL8MFMAType1EEvPKT_PKT0_S8_ifPKiSA_SA_iPKfiiiPfSD_PS3_PT2_iSC_SC_:
	.asciz	"void paged_attention_ll4mi_QKV_mfma16_kernel(const scalar_t *__restrict, const cache_t *__restrict, const cache_t *__restrict, const int, const float, const int *__restrict, const int *__restrict, const int *__restrict, const int, const float *__restrict, const int, const int, const int, float *__restrict, float *__restrict, scalar_t *__restrict, OUTT *__restrict, int, const float *, const float *) [scalar_t = _Float16, cache_t = unsigned char, KV_DTYPE = vllm::Fp8KVCacheDataType::kFp8E4M3, OUTT = _Float16, BLOCK_SIZE = 32, HEAD_SIZE = 64, NUM_THREADS = 256, ALIBI_ENABLED = true, GQA_RATIO = 13, MFMA_TYPE = MFMAType::Fp8]"
	.size	__PRETTY_FUNCTION__._Z39paged_attention_ll4mi_QKV_mfma16_kernelIDF16_hLN4vllm18Fp8KVCacheDataTypeE1EDF16_Li32ELi64ELi256ELb1ELi13EL8MFMAType1EEvPKT_PKT0_S8_ifPKiSA_SA_iPKfiiiPfSD_PS3_PT2_iSC_SC_, 630

	.type	__PRETTY_FUNCTION__._Z39paged_attention_ll4mi_QKV_mfma16_kernelIDF16_hLN4vllm18Fp8KVCacheDataTypeE1EDF16_Li32ELi64ELi256ELb1ELi14EL8MFMAType1EEvPKT_PKT0_S8_ifPKiSA_SA_iPKfiiiPfSD_PS3_PT2_iSC_SC_,@object ; @__PRETTY_FUNCTION__._Z39paged_attention_ll4mi_QKV_mfma16_kernelIDF16_hLN4vllm18Fp8KVCacheDataTypeE1EDF16_Li32ELi64ELi256ELb1ELi14EL8MFMAType1EEvPKT_PKT0_S8_ifPKiSA_SA_iPKfiiiPfSD_PS3_PT2_iSC_SC_
__PRETTY_FUNCTION__._Z39paged_attention_ll4mi_QKV_mfma16_kernelIDF16_hLN4vllm18Fp8KVCacheDataTypeE1EDF16_Li32ELi64ELi256ELb1ELi14EL8MFMAType1EEvPKT_PKT0_S8_ifPKiSA_SA_iPKfiiiPfSD_PS3_PT2_iSC_SC_:
	.asciz	"void paged_attention_ll4mi_QKV_mfma16_kernel(const scalar_t *__restrict, const cache_t *__restrict, const cache_t *__restrict, const int, const float, const int *__restrict, const int *__restrict, const int *__restrict, const int, const float *__restrict, const int, const int, const int, float *__restrict, float *__restrict, scalar_t *__restrict, OUTT *__restrict, int, const float *, const float *) [scalar_t = _Float16, cache_t = unsigned char, KV_DTYPE = vllm::Fp8KVCacheDataType::kFp8E4M3, OUTT = _Float16, BLOCK_SIZE = 32, HEAD_SIZE = 64, NUM_THREADS = 256, ALIBI_ENABLED = true, GQA_RATIO = 14, MFMA_TYPE = MFMAType::Fp8]"
	.size	__PRETTY_FUNCTION__._Z39paged_attention_ll4mi_QKV_mfma16_kernelIDF16_hLN4vllm18Fp8KVCacheDataTypeE1EDF16_Li32ELi64ELi256ELb1ELi14EL8MFMAType1EEvPKT_PKT0_S8_ifPKiSA_SA_iPKfiiiPfSD_PS3_PT2_iSC_SC_, 630

	.type	__PRETTY_FUNCTION__._Z39paged_attention_ll4mi_QKV_mfma16_kernelIDF16_hLN4vllm18Fp8KVCacheDataTypeE1EDF16_Li32ELi64ELi256ELb1ELi15EL8MFMAType1EEvPKT_PKT0_S8_ifPKiSA_SA_iPKfiiiPfSD_PS3_PT2_iSC_SC_,@object ; @__PRETTY_FUNCTION__._Z39paged_attention_ll4mi_QKV_mfma16_kernelIDF16_hLN4vllm18Fp8KVCacheDataTypeE1EDF16_Li32ELi64ELi256ELb1ELi15EL8MFMAType1EEvPKT_PKT0_S8_ifPKiSA_SA_iPKfiiiPfSD_PS3_PT2_iSC_SC_
__PRETTY_FUNCTION__._Z39paged_attention_ll4mi_QKV_mfma16_kernelIDF16_hLN4vllm18Fp8KVCacheDataTypeE1EDF16_Li32ELi64ELi256ELb1ELi15EL8MFMAType1EEvPKT_PKT0_S8_ifPKiSA_SA_iPKfiiiPfSD_PS3_PT2_iSC_SC_:
	.asciz	"void paged_attention_ll4mi_QKV_mfma16_kernel(const scalar_t *__restrict, const cache_t *__restrict, const cache_t *__restrict, const int, const float, const int *__restrict, const int *__restrict, const int *__restrict, const int, const float *__restrict, const int, const int, const int, float *__restrict, float *__restrict, scalar_t *__restrict, OUTT *__restrict, int, const float *, const float *) [scalar_t = _Float16, cache_t = unsigned char, KV_DTYPE = vllm::Fp8KVCacheDataType::kFp8E4M3, OUTT = _Float16, BLOCK_SIZE = 32, HEAD_SIZE = 64, NUM_THREADS = 256, ALIBI_ENABLED = true, GQA_RATIO = 15, MFMA_TYPE = MFMAType::Fp8]"
	.size	__PRETTY_FUNCTION__._Z39paged_attention_ll4mi_QKV_mfma16_kernelIDF16_hLN4vllm18Fp8KVCacheDataTypeE1EDF16_Li32ELi64ELi256ELb1ELi15EL8MFMAType1EEvPKT_PKT0_S8_ifPKiSA_SA_iPKfiiiPfSD_PS3_PT2_iSC_SC_, 630

	.type	__PRETTY_FUNCTION__._Z39paged_attention_ll4mi_QKV_mfma16_kernelIDF16_hLN4vllm18Fp8KVCacheDataTypeE1EDF16_Li32ELi64ELi256ELb1ELi16EL8MFMAType1EEvPKT_PKT0_S8_ifPKiSA_SA_iPKfiiiPfSD_PS3_PT2_iSC_SC_,@object ; @__PRETTY_FUNCTION__._Z39paged_attention_ll4mi_QKV_mfma16_kernelIDF16_hLN4vllm18Fp8KVCacheDataTypeE1EDF16_Li32ELi64ELi256ELb1ELi16EL8MFMAType1EEvPKT_PKT0_S8_ifPKiSA_SA_iPKfiiiPfSD_PS3_PT2_iSC_SC_
__PRETTY_FUNCTION__._Z39paged_attention_ll4mi_QKV_mfma16_kernelIDF16_hLN4vllm18Fp8KVCacheDataTypeE1EDF16_Li32ELi64ELi256ELb1ELi16EL8MFMAType1EEvPKT_PKT0_S8_ifPKiSA_SA_iPKfiiiPfSD_PS3_PT2_iSC_SC_:
	.asciz	"void paged_attention_ll4mi_QKV_mfma16_kernel(const scalar_t *__restrict, const cache_t *__restrict, const cache_t *__restrict, const int, const float, const int *__restrict, const int *__restrict, const int *__restrict, const int, const float *__restrict, const int, const int, const int, float *__restrict, float *__restrict, scalar_t *__restrict, OUTT *__restrict, int, const float *, const float *) [scalar_t = _Float16, cache_t = unsigned char, KV_DTYPE = vllm::Fp8KVCacheDataType::kFp8E4M3, OUTT = _Float16, BLOCK_SIZE = 32, HEAD_SIZE = 64, NUM_THREADS = 256, ALIBI_ENABLED = true, GQA_RATIO = 16, MFMA_TYPE = MFMAType::Fp8]"
	.size	__PRETTY_FUNCTION__._Z39paged_attention_ll4mi_QKV_mfma16_kernelIDF16_hLN4vllm18Fp8KVCacheDataTypeE1EDF16_Li32ELi64ELi256ELb1ELi16EL8MFMAType1EEvPKT_PKT0_S8_ifPKiSA_SA_iPKfiiiPfSD_PS3_PT2_iSC_SC_, 630

	.type	__PRETTY_FUNCTION__._Z39paged_attention_ll4mi_QKV_mfma16_kernelIDF16_hLN4vllm18Fp8KVCacheDataTypeE1EDF16_Li32ELi64ELi256ELb1ELi1EL8MFMAType1EEvPKT_PKT0_S8_ifPKiSA_SA_iPKfiiiPfSD_PS3_PT2_iSC_SC_,@object ; @__PRETTY_FUNCTION__._Z39paged_attention_ll4mi_QKV_mfma16_kernelIDF16_hLN4vllm18Fp8KVCacheDataTypeE1EDF16_Li32ELi64ELi256ELb1ELi1EL8MFMAType1EEvPKT_PKT0_S8_ifPKiSA_SA_iPKfiiiPfSD_PS3_PT2_iSC_SC_
__PRETTY_FUNCTION__._Z39paged_attention_ll4mi_QKV_mfma16_kernelIDF16_hLN4vllm18Fp8KVCacheDataTypeE1EDF16_Li32ELi64ELi256ELb1ELi1EL8MFMAType1EEvPKT_PKT0_S8_ifPKiSA_SA_iPKfiiiPfSD_PS3_PT2_iSC_SC_:
	.asciz	"void paged_attention_ll4mi_QKV_mfma16_kernel(const scalar_t *__restrict, const cache_t *__restrict, const cache_t *__restrict, const int, const float, const int *__restrict, const int *__restrict, const int *__restrict, const int, const float *__restrict, const int, const int, const int, float *__restrict, float *__restrict, scalar_t *__restrict, OUTT *__restrict, int, const float *, const float *) [scalar_t = _Float16, cache_t = unsigned char, KV_DTYPE = vllm::Fp8KVCacheDataType::kFp8E4M3, OUTT = _Float16, BLOCK_SIZE = 32, HEAD_SIZE = 64, NUM_THREADS = 256, ALIBI_ENABLED = true, GQA_RATIO = 1, MFMA_TYPE = MFMAType::Fp8]"
	.size	__PRETTY_FUNCTION__._Z39paged_attention_ll4mi_QKV_mfma16_kernelIDF16_hLN4vllm18Fp8KVCacheDataTypeE1EDF16_Li32ELi64ELi256ELb1ELi1EL8MFMAType1EEvPKT_PKT0_S8_ifPKiSA_SA_iPKfiiiPfSD_PS3_PT2_iSC_SC_, 629

	.type	__PRETTY_FUNCTION__._Z39paged_attention_ll4mi_QKV_mfma16_kernelIDF16_hLN4vllm18Fp8KVCacheDataTypeE1EDF16_Li32ELi64ELi256ELb1ELi2EL8MFMAType1EEvPKT_PKT0_S8_ifPKiSA_SA_iPKfiiiPfSD_PS3_PT2_iSC_SC_,@object ; @__PRETTY_FUNCTION__._Z39paged_attention_ll4mi_QKV_mfma16_kernelIDF16_hLN4vllm18Fp8KVCacheDataTypeE1EDF16_Li32ELi64ELi256ELb1ELi2EL8MFMAType1EEvPKT_PKT0_S8_ifPKiSA_SA_iPKfiiiPfSD_PS3_PT2_iSC_SC_
__PRETTY_FUNCTION__._Z39paged_attention_ll4mi_QKV_mfma16_kernelIDF16_hLN4vllm18Fp8KVCacheDataTypeE1EDF16_Li32ELi64ELi256ELb1ELi2EL8MFMAType1EEvPKT_PKT0_S8_ifPKiSA_SA_iPKfiiiPfSD_PS3_PT2_iSC_SC_:
	.asciz	"void paged_attention_ll4mi_QKV_mfma16_kernel(const scalar_t *__restrict, const cache_t *__restrict, const cache_t *__restrict, const int, const float, const int *__restrict, const int *__restrict, const int *__restrict, const int, const float *__restrict, const int, const int, const int, float *__restrict, float *__restrict, scalar_t *__restrict, OUTT *__restrict, int, const float *, const float *) [scalar_t = _Float16, cache_t = unsigned char, KV_DTYPE = vllm::Fp8KVCacheDataType::kFp8E4M3, OUTT = _Float16, BLOCK_SIZE = 32, HEAD_SIZE = 64, NUM_THREADS = 256, ALIBI_ENABLED = true, GQA_RATIO = 2, MFMA_TYPE = MFMAType::Fp8]"
	.size	__PRETTY_FUNCTION__._Z39paged_attention_ll4mi_QKV_mfma16_kernelIDF16_hLN4vllm18Fp8KVCacheDataTypeE1EDF16_Li32ELi64ELi256ELb1ELi2EL8MFMAType1EEvPKT_PKT0_S8_ifPKiSA_SA_iPKfiiiPfSD_PS3_PT2_iSC_SC_, 629

	.type	__PRETTY_FUNCTION__._Z39paged_attention_ll4mi_QKV_mfma16_kernelIDF16_hLN4vllm18Fp8KVCacheDataTypeE1EDF16_Li32ELi64ELi256ELb1ELi3EL8MFMAType1EEvPKT_PKT0_S8_ifPKiSA_SA_iPKfiiiPfSD_PS3_PT2_iSC_SC_,@object ; @__PRETTY_FUNCTION__._Z39paged_attention_ll4mi_QKV_mfma16_kernelIDF16_hLN4vllm18Fp8KVCacheDataTypeE1EDF16_Li32ELi64ELi256ELb1ELi3EL8MFMAType1EEvPKT_PKT0_S8_ifPKiSA_SA_iPKfiiiPfSD_PS3_PT2_iSC_SC_
__PRETTY_FUNCTION__._Z39paged_attention_ll4mi_QKV_mfma16_kernelIDF16_hLN4vllm18Fp8KVCacheDataTypeE1EDF16_Li32ELi64ELi256ELb1ELi3EL8MFMAType1EEvPKT_PKT0_S8_ifPKiSA_SA_iPKfiiiPfSD_PS3_PT2_iSC_SC_:
	.asciz	"void paged_attention_ll4mi_QKV_mfma16_kernel(const scalar_t *__restrict, const cache_t *__restrict, const cache_t *__restrict, const int, const float, const int *__restrict, const int *__restrict, const int *__restrict, const int, const float *__restrict, const int, const int, const int, float *__restrict, float *__restrict, scalar_t *__restrict, OUTT *__restrict, int, const float *, const float *) [scalar_t = _Float16, cache_t = unsigned char, KV_DTYPE = vllm::Fp8KVCacheDataType::kFp8E4M3, OUTT = _Float16, BLOCK_SIZE = 32, HEAD_SIZE = 64, NUM_THREADS = 256, ALIBI_ENABLED = true, GQA_RATIO = 3, MFMA_TYPE = MFMAType::Fp8]"
	.size	__PRETTY_FUNCTION__._Z39paged_attention_ll4mi_QKV_mfma16_kernelIDF16_hLN4vllm18Fp8KVCacheDataTypeE1EDF16_Li32ELi64ELi256ELb1ELi3EL8MFMAType1EEvPKT_PKT0_S8_ifPKiSA_SA_iPKfiiiPfSD_PS3_PT2_iSC_SC_, 629

	.type	__PRETTY_FUNCTION__._Z39paged_attention_ll4mi_QKV_mfma16_kernelIDF16_hLN4vllm18Fp8KVCacheDataTypeE1EDF16_Li32ELi64ELi256ELb1ELi4EL8MFMAType1EEvPKT_PKT0_S8_ifPKiSA_SA_iPKfiiiPfSD_PS3_PT2_iSC_SC_,@object ; @__PRETTY_FUNCTION__._Z39paged_attention_ll4mi_QKV_mfma16_kernelIDF16_hLN4vllm18Fp8KVCacheDataTypeE1EDF16_Li32ELi64ELi256ELb1ELi4EL8MFMAType1EEvPKT_PKT0_S8_ifPKiSA_SA_iPKfiiiPfSD_PS3_PT2_iSC_SC_
__PRETTY_FUNCTION__._Z39paged_attention_ll4mi_QKV_mfma16_kernelIDF16_hLN4vllm18Fp8KVCacheDataTypeE1EDF16_Li32ELi64ELi256ELb1ELi4EL8MFMAType1EEvPKT_PKT0_S8_ifPKiSA_SA_iPKfiiiPfSD_PS3_PT2_iSC_SC_:
	.asciz	"void paged_attention_ll4mi_QKV_mfma16_kernel(const scalar_t *__restrict, const cache_t *__restrict, const cache_t *__restrict, const int, const float, const int *__restrict, const int *__restrict, const int *__restrict, const int, const float *__restrict, const int, const int, const int, float *__restrict, float *__restrict, scalar_t *__restrict, OUTT *__restrict, int, const float *, const float *) [scalar_t = _Float16, cache_t = unsigned char, KV_DTYPE = vllm::Fp8KVCacheDataType::kFp8E4M3, OUTT = _Float16, BLOCK_SIZE = 32, HEAD_SIZE = 64, NUM_THREADS = 256, ALIBI_ENABLED = true, GQA_RATIO = 4, MFMA_TYPE = MFMAType::Fp8]"
	.size	__PRETTY_FUNCTION__._Z39paged_attention_ll4mi_QKV_mfma16_kernelIDF16_hLN4vllm18Fp8KVCacheDataTypeE1EDF16_Li32ELi64ELi256ELb1ELi4EL8MFMAType1EEvPKT_PKT0_S8_ifPKiSA_SA_iPKfiiiPfSD_PS3_PT2_iSC_SC_, 629

	.type	__PRETTY_FUNCTION__._Z39paged_attention_ll4mi_QKV_mfma16_kernelIDF16_hLN4vllm18Fp8KVCacheDataTypeE1EDF16_Li32ELi64ELi256ELb0ELi5EL8MFMAType1EEvPKT_PKT0_S8_ifPKiSA_SA_iPKfiiiPfSD_PS3_PT2_iSC_SC_,@object ; @__PRETTY_FUNCTION__._Z39paged_attention_ll4mi_QKV_mfma16_kernelIDF16_hLN4vllm18Fp8KVCacheDataTypeE1EDF16_Li32ELi64ELi256ELb0ELi5EL8MFMAType1EEvPKT_PKT0_S8_ifPKiSA_SA_iPKfiiiPfSD_PS3_PT2_iSC_SC_
__PRETTY_FUNCTION__._Z39paged_attention_ll4mi_QKV_mfma16_kernelIDF16_hLN4vllm18Fp8KVCacheDataTypeE1EDF16_Li32ELi64ELi256ELb0ELi5EL8MFMAType1EEvPKT_PKT0_S8_ifPKiSA_SA_iPKfiiiPfSD_PS3_PT2_iSC_SC_:
	.asciz	"void paged_attention_ll4mi_QKV_mfma16_kernel(const scalar_t *__restrict, const cache_t *__restrict, const cache_t *__restrict, const int, const float, const int *__restrict, const int *__restrict, const int *__restrict, const int, const float *__restrict, const int, const int, const int, float *__restrict, float *__restrict, scalar_t *__restrict, OUTT *__restrict, int, const float *, const float *) [scalar_t = _Float16, cache_t = unsigned char, KV_DTYPE = vllm::Fp8KVCacheDataType::kFp8E4M3, OUTT = _Float16, BLOCK_SIZE = 32, HEAD_SIZE = 64, NUM_THREADS = 256, ALIBI_ENABLED = false, GQA_RATIO = 5, MFMA_TYPE = MFMAType::Fp8]"
	.size	__PRETTY_FUNCTION__._Z39paged_attention_ll4mi_QKV_mfma16_kernelIDF16_hLN4vllm18Fp8KVCacheDataTypeE1EDF16_Li32ELi64ELi256ELb0ELi5EL8MFMAType1EEvPKT_PKT0_S8_ifPKiSA_SA_iPKfiiiPfSD_PS3_PT2_iSC_SC_, 630

	.type	__PRETTY_FUNCTION__._Z39paged_attention_ll4mi_QKV_mfma16_kernelIDF16_hLN4vllm18Fp8KVCacheDataTypeE1EDF16_Li32ELi64ELi256ELb0ELi6EL8MFMAType1EEvPKT_PKT0_S8_ifPKiSA_SA_iPKfiiiPfSD_PS3_PT2_iSC_SC_,@object ; @__PRETTY_FUNCTION__._Z39paged_attention_ll4mi_QKV_mfma16_kernelIDF16_hLN4vllm18Fp8KVCacheDataTypeE1EDF16_Li32ELi64ELi256ELb0ELi6EL8MFMAType1EEvPKT_PKT0_S8_ifPKiSA_SA_iPKfiiiPfSD_PS3_PT2_iSC_SC_
__PRETTY_FUNCTION__._Z39paged_attention_ll4mi_QKV_mfma16_kernelIDF16_hLN4vllm18Fp8KVCacheDataTypeE1EDF16_Li32ELi64ELi256ELb0ELi6EL8MFMAType1EEvPKT_PKT0_S8_ifPKiSA_SA_iPKfiiiPfSD_PS3_PT2_iSC_SC_:
	.asciz	"void paged_attention_ll4mi_QKV_mfma16_kernel(const scalar_t *__restrict, const cache_t *__restrict, const cache_t *__restrict, const int, const float, const int *__restrict, const int *__restrict, const int *__restrict, const int, const float *__restrict, const int, const int, const int, float *__restrict, float *__restrict, scalar_t *__restrict, OUTT *__restrict, int, const float *, const float *) [scalar_t = _Float16, cache_t = unsigned char, KV_DTYPE = vllm::Fp8KVCacheDataType::kFp8E4M3, OUTT = _Float16, BLOCK_SIZE = 32, HEAD_SIZE = 64, NUM_THREADS = 256, ALIBI_ENABLED = false, GQA_RATIO = 6, MFMA_TYPE = MFMAType::Fp8]"
	.size	__PRETTY_FUNCTION__._Z39paged_attention_ll4mi_QKV_mfma16_kernelIDF16_hLN4vllm18Fp8KVCacheDataTypeE1EDF16_Li32ELi64ELi256ELb0ELi6EL8MFMAType1EEvPKT_PKT0_S8_ifPKiSA_SA_iPKfiiiPfSD_PS3_PT2_iSC_SC_, 630

	.type	__PRETTY_FUNCTION__._Z39paged_attention_ll4mi_QKV_mfma16_kernelIDF16_hLN4vllm18Fp8KVCacheDataTypeE1EDF16_Li32ELi64ELi256ELb0ELi7EL8MFMAType1EEvPKT_PKT0_S8_ifPKiSA_SA_iPKfiiiPfSD_PS3_PT2_iSC_SC_,@object ; @__PRETTY_FUNCTION__._Z39paged_attention_ll4mi_QKV_mfma16_kernelIDF16_hLN4vllm18Fp8KVCacheDataTypeE1EDF16_Li32ELi64ELi256ELb0ELi7EL8MFMAType1EEvPKT_PKT0_S8_ifPKiSA_SA_iPKfiiiPfSD_PS3_PT2_iSC_SC_
__PRETTY_FUNCTION__._Z39paged_attention_ll4mi_QKV_mfma16_kernelIDF16_hLN4vllm18Fp8KVCacheDataTypeE1EDF16_Li32ELi64ELi256ELb0ELi7EL8MFMAType1EEvPKT_PKT0_S8_ifPKiSA_SA_iPKfiiiPfSD_PS3_PT2_iSC_SC_:
	.asciz	"void paged_attention_ll4mi_QKV_mfma16_kernel(const scalar_t *__restrict, const cache_t *__restrict, const cache_t *__restrict, const int, const float, const int *__restrict, const int *__restrict, const int *__restrict, const int, const float *__restrict, const int, const int, const int, float *__restrict, float *__restrict, scalar_t *__restrict, OUTT *__restrict, int, const float *, const float *) [scalar_t = _Float16, cache_t = unsigned char, KV_DTYPE = vllm::Fp8KVCacheDataType::kFp8E4M3, OUTT = _Float16, BLOCK_SIZE = 32, HEAD_SIZE = 64, NUM_THREADS = 256, ALIBI_ENABLED = false, GQA_RATIO = 7, MFMA_TYPE = MFMAType::Fp8]"
	.size	__PRETTY_FUNCTION__._Z39paged_attention_ll4mi_QKV_mfma16_kernelIDF16_hLN4vllm18Fp8KVCacheDataTypeE1EDF16_Li32ELi64ELi256ELb0ELi7EL8MFMAType1EEvPKT_PKT0_S8_ifPKiSA_SA_iPKfiiiPfSD_PS3_PT2_iSC_SC_, 630

	.type	__PRETTY_FUNCTION__._Z39paged_attention_ll4mi_QKV_mfma16_kernelIDF16_hLN4vllm18Fp8KVCacheDataTypeE1EDF16_Li32ELi64ELi256ELb0ELi8EL8MFMAType1EEvPKT_PKT0_S8_ifPKiSA_SA_iPKfiiiPfSD_PS3_PT2_iSC_SC_,@object ; @__PRETTY_FUNCTION__._Z39paged_attention_ll4mi_QKV_mfma16_kernelIDF16_hLN4vllm18Fp8KVCacheDataTypeE1EDF16_Li32ELi64ELi256ELb0ELi8EL8MFMAType1EEvPKT_PKT0_S8_ifPKiSA_SA_iPKfiiiPfSD_PS3_PT2_iSC_SC_
__PRETTY_FUNCTION__._Z39paged_attention_ll4mi_QKV_mfma16_kernelIDF16_hLN4vllm18Fp8KVCacheDataTypeE1EDF16_Li32ELi64ELi256ELb0ELi8EL8MFMAType1EEvPKT_PKT0_S8_ifPKiSA_SA_iPKfiiiPfSD_PS3_PT2_iSC_SC_:
	.asciz	"void paged_attention_ll4mi_QKV_mfma16_kernel(const scalar_t *__restrict, const cache_t *__restrict, const cache_t *__restrict, const int, const float, const int *__restrict, const int *__restrict, const int *__restrict, const int, const float *__restrict, const int, const int, const int, float *__restrict, float *__restrict, scalar_t *__restrict, OUTT *__restrict, int, const float *, const float *) [scalar_t = _Float16, cache_t = unsigned char, KV_DTYPE = vllm::Fp8KVCacheDataType::kFp8E4M3, OUTT = _Float16, BLOCK_SIZE = 32, HEAD_SIZE = 64, NUM_THREADS = 256, ALIBI_ENABLED = false, GQA_RATIO = 8, MFMA_TYPE = MFMAType::Fp8]"
	.size	__PRETTY_FUNCTION__._Z39paged_attention_ll4mi_QKV_mfma16_kernelIDF16_hLN4vllm18Fp8KVCacheDataTypeE1EDF16_Li32ELi64ELi256ELb0ELi8EL8MFMAType1EEvPKT_PKT0_S8_ifPKiSA_SA_iPKfiiiPfSD_PS3_PT2_iSC_SC_, 630

	.type	__PRETTY_FUNCTION__._Z39paged_attention_ll4mi_QKV_mfma16_kernelIDF16_hLN4vllm18Fp8KVCacheDataTypeE1EDF16_Li32ELi64ELi256ELb0ELi9EL8MFMAType1EEvPKT_PKT0_S8_ifPKiSA_SA_iPKfiiiPfSD_PS3_PT2_iSC_SC_,@object ; @__PRETTY_FUNCTION__._Z39paged_attention_ll4mi_QKV_mfma16_kernelIDF16_hLN4vllm18Fp8KVCacheDataTypeE1EDF16_Li32ELi64ELi256ELb0ELi9EL8MFMAType1EEvPKT_PKT0_S8_ifPKiSA_SA_iPKfiiiPfSD_PS3_PT2_iSC_SC_
__PRETTY_FUNCTION__._Z39paged_attention_ll4mi_QKV_mfma16_kernelIDF16_hLN4vllm18Fp8KVCacheDataTypeE1EDF16_Li32ELi64ELi256ELb0ELi9EL8MFMAType1EEvPKT_PKT0_S8_ifPKiSA_SA_iPKfiiiPfSD_PS3_PT2_iSC_SC_:
	.asciz	"void paged_attention_ll4mi_QKV_mfma16_kernel(const scalar_t *__restrict, const cache_t *__restrict, const cache_t *__restrict, const int, const float, const int *__restrict, const int *__restrict, const int *__restrict, const int, const float *__restrict, const int, const int, const int, float *__restrict, float *__restrict, scalar_t *__restrict, OUTT *__restrict, int, const float *, const float *) [scalar_t = _Float16, cache_t = unsigned char, KV_DTYPE = vllm::Fp8KVCacheDataType::kFp8E4M3, OUTT = _Float16, BLOCK_SIZE = 32, HEAD_SIZE = 64, NUM_THREADS = 256, ALIBI_ENABLED = false, GQA_RATIO = 9, MFMA_TYPE = MFMAType::Fp8]"
	.size	__PRETTY_FUNCTION__._Z39paged_attention_ll4mi_QKV_mfma16_kernelIDF16_hLN4vllm18Fp8KVCacheDataTypeE1EDF16_Li32ELi64ELi256ELb0ELi9EL8MFMAType1EEvPKT_PKT0_S8_ifPKiSA_SA_iPKfiiiPfSD_PS3_PT2_iSC_SC_, 630

	.type	__PRETTY_FUNCTION__._Z39paged_attention_ll4mi_QKV_mfma16_kernelIDF16_hLN4vllm18Fp8KVCacheDataTypeE1EDF16_Li32ELi64ELi256ELb0ELi10EL8MFMAType1EEvPKT_PKT0_S8_ifPKiSA_SA_iPKfiiiPfSD_PS3_PT2_iSC_SC_,@object ; @__PRETTY_FUNCTION__._Z39paged_attention_ll4mi_QKV_mfma16_kernelIDF16_hLN4vllm18Fp8KVCacheDataTypeE1EDF16_Li32ELi64ELi256ELb0ELi10EL8MFMAType1EEvPKT_PKT0_S8_ifPKiSA_SA_iPKfiiiPfSD_PS3_PT2_iSC_SC_
__PRETTY_FUNCTION__._Z39paged_attention_ll4mi_QKV_mfma16_kernelIDF16_hLN4vllm18Fp8KVCacheDataTypeE1EDF16_Li32ELi64ELi256ELb0ELi10EL8MFMAType1EEvPKT_PKT0_S8_ifPKiSA_SA_iPKfiiiPfSD_PS3_PT2_iSC_SC_:
	.asciz	"void paged_attention_ll4mi_QKV_mfma16_kernel(const scalar_t *__restrict, const cache_t *__restrict, const cache_t *__restrict, const int, const float, const int *__restrict, const int *__restrict, const int *__restrict, const int, const float *__restrict, const int, const int, const int, float *__restrict, float *__restrict, scalar_t *__restrict, OUTT *__restrict, int, const float *, const float *) [scalar_t = _Float16, cache_t = unsigned char, KV_DTYPE = vllm::Fp8KVCacheDataType::kFp8E4M3, OUTT = _Float16, BLOCK_SIZE = 32, HEAD_SIZE = 64, NUM_THREADS = 256, ALIBI_ENABLED = false, GQA_RATIO = 10, MFMA_TYPE = MFMAType::Fp8]"
	.size	__PRETTY_FUNCTION__._Z39paged_attention_ll4mi_QKV_mfma16_kernelIDF16_hLN4vllm18Fp8KVCacheDataTypeE1EDF16_Li32ELi64ELi256ELb0ELi10EL8MFMAType1EEvPKT_PKT0_S8_ifPKiSA_SA_iPKfiiiPfSD_PS3_PT2_iSC_SC_, 631

	.type	__PRETTY_FUNCTION__._Z39paged_attention_ll4mi_QKV_mfma16_kernelIDF16_hLN4vllm18Fp8KVCacheDataTypeE1EDF16_Li32ELi64ELi256ELb0ELi11EL8MFMAType1EEvPKT_PKT0_S8_ifPKiSA_SA_iPKfiiiPfSD_PS3_PT2_iSC_SC_,@object ; @__PRETTY_FUNCTION__._Z39paged_attention_ll4mi_QKV_mfma16_kernelIDF16_hLN4vllm18Fp8KVCacheDataTypeE1EDF16_Li32ELi64ELi256ELb0ELi11EL8MFMAType1EEvPKT_PKT0_S8_ifPKiSA_SA_iPKfiiiPfSD_PS3_PT2_iSC_SC_
__PRETTY_FUNCTION__._Z39paged_attention_ll4mi_QKV_mfma16_kernelIDF16_hLN4vllm18Fp8KVCacheDataTypeE1EDF16_Li32ELi64ELi256ELb0ELi11EL8MFMAType1EEvPKT_PKT0_S8_ifPKiSA_SA_iPKfiiiPfSD_PS3_PT2_iSC_SC_:
	.asciz	"void paged_attention_ll4mi_QKV_mfma16_kernel(const scalar_t *__restrict, const cache_t *__restrict, const cache_t *__restrict, const int, const float, const int *__restrict, const int *__restrict, const int *__restrict, const int, const float *__restrict, const int, const int, const int, float *__restrict, float *__restrict, scalar_t *__restrict, OUTT *__restrict, int, const float *, const float *) [scalar_t = _Float16, cache_t = unsigned char, KV_DTYPE = vllm::Fp8KVCacheDataType::kFp8E4M3, OUTT = _Float16, BLOCK_SIZE = 32, HEAD_SIZE = 64, NUM_THREADS = 256, ALIBI_ENABLED = false, GQA_RATIO = 11, MFMA_TYPE = MFMAType::Fp8]"
	.size	__PRETTY_FUNCTION__._Z39paged_attention_ll4mi_QKV_mfma16_kernelIDF16_hLN4vllm18Fp8KVCacheDataTypeE1EDF16_Li32ELi64ELi256ELb0ELi11EL8MFMAType1EEvPKT_PKT0_S8_ifPKiSA_SA_iPKfiiiPfSD_PS3_PT2_iSC_SC_, 631

	.type	__PRETTY_FUNCTION__._Z39paged_attention_ll4mi_QKV_mfma16_kernelIDF16_hLN4vllm18Fp8KVCacheDataTypeE1EDF16_Li32ELi64ELi256ELb0ELi12EL8MFMAType1EEvPKT_PKT0_S8_ifPKiSA_SA_iPKfiiiPfSD_PS3_PT2_iSC_SC_,@object ; @__PRETTY_FUNCTION__._Z39paged_attention_ll4mi_QKV_mfma16_kernelIDF16_hLN4vllm18Fp8KVCacheDataTypeE1EDF16_Li32ELi64ELi256ELb0ELi12EL8MFMAType1EEvPKT_PKT0_S8_ifPKiSA_SA_iPKfiiiPfSD_PS3_PT2_iSC_SC_
__PRETTY_FUNCTION__._Z39paged_attention_ll4mi_QKV_mfma16_kernelIDF16_hLN4vllm18Fp8KVCacheDataTypeE1EDF16_Li32ELi64ELi256ELb0ELi12EL8MFMAType1EEvPKT_PKT0_S8_ifPKiSA_SA_iPKfiiiPfSD_PS3_PT2_iSC_SC_:
	.asciz	"void paged_attention_ll4mi_QKV_mfma16_kernel(const scalar_t *__restrict, const cache_t *__restrict, const cache_t *__restrict, const int, const float, const int *__restrict, const int *__restrict, const int *__restrict, const int, const float *__restrict, const int, const int, const int, float *__restrict, float *__restrict, scalar_t *__restrict, OUTT *__restrict, int, const float *, const float *) [scalar_t = _Float16, cache_t = unsigned char, KV_DTYPE = vllm::Fp8KVCacheDataType::kFp8E4M3, OUTT = _Float16, BLOCK_SIZE = 32, HEAD_SIZE = 64, NUM_THREADS = 256, ALIBI_ENABLED = false, GQA_RATIO = 12, MFMA_TYPE = MFMAType::Fp8]"
	.size	__PRETTY_FUNCTION__._Z39paged_attention_ll4mi_QKV_mfma16_kernelIDF16_hLN4vllm18Fp8KVCacheDataTypeE1EDF16_Li32ELi64ELi256ELb0ELi12EL8MFMAType1EEvPKT_PKT0_S8_ifPKiSA_SA_iPKfiiiPfSD_PS3_PT2_iSC_SC_, 631

	.type	__PRETTY_FUNCTION__._Z39paged_attention_ll4mi_QKV_mfma16_kernelIDF16_hLN4vllm18Fp8KVCacheDataTypeE1EDF16_Li32ELi64ELi256ELb0ELi13EL8MFMAType1EEvPKT_PKT0_S8_ifPKiSA_SA_iPKfiiiPfSD_PS3_PT2_iSC_SC_,@object ; @__PRETTY_FUNCTION__._Z39paged_attention_ll4mi_QKV_mfma16_kernelIDF16_hLN4vllm18Fp8KVCacheDataTypeE1EDF16_Li32ELi64ELi256ELb0ELi13EL8MFMAType1EEvPKT_PKT0_S8_ifPKiSA_SA_iPKfiiiPfSD_PS3_PT2_iSC_SC_
__PRETTY_FUNCTION__._Z39paged_attention_ll4mi_QKV_mfma16_kernelIDF16_hLN4vllm18Fp8KVCacheDataTypeE1EDF16_Li32ELi64ELi256ELb0ELi13EL8MFMAType1EEvPKT_PKT0_S8_ifPKiSA_SA_iPKfiiiPfSD_PS3_PT2_iSC_SC_:
	.asciz	"void paged_attention_ll4mi_QKV_mfma16_kernel(const scalar_t *__restrict, const cache_t *__restrict, const cache_t *__restrict, const int, const float, const int *__restrict, const int *__restrict, const int *__restrict, const int, const float *__restrict, const int, const int, const int, float *__restrict, float *__restrict, scalar_t *__restrict, OUTT *__restrict, int, const float *, const float *) [scalar_t = _Float16, cache_t = unsigned char, KV_DTYPE = vllm::Fp8KVCacheDataType::kFp8E4M3, OUTT = _Float16, BLOCK_SIZE = 32, HEAD_SIZE = 64, NUM_THREADS = 256, ALIBI_ENABLED = false, GQA_RATIO = 13, MFMA_TYPE = MFMAType::Fp8]"
	.size	__PRETTY_FUNCTION__._Z39paged_attention_ll4mi_QKV_mfma16_kernelIDF16_hLN4vllm18Fp8KVCacheDataTypeE1EDF16_Li32ELi64ELi256ELb0ELi13EL8MFMAType1EEvPKT_PKT0_S8_ifPKiSA_SA_iPKfiiiPfSD_PS3_PT2_iSC_SC_, 631

	.type	__PRETTY_FUNCTION__._Z39paged_attention_ll4mi_QKV_mfma16_kernelIDF16_hLN4vllm18Fp8KVCacheDataTypeE1EDF16_Li32ELi64ELi256ELb0ELi14EL8MFMAType1EEvPKT_PKT0_S8_ifPKiSA_SA_iPKfiiiPfSD_PS3_PT2_iSC_SC_,@object ; @__PRETTY_FUNCTION__._Z39paged_attention_ll4mi_QKV_mfma16_kernelIDF16_hLN4vllm18Fp8KVCacheDataTypeE1EDF16_Li32ELi64ELi256ELb0ELi14EL8MFMAType1EEvPKT_PKT0_S8_ifPKiSA_SA_iPKfiiiPfSD_PS3_PT2_iSC_SC_
__PRETTY_FUNCTION__._Z39paged_attention_ll4mi_QKV_mfma16_kernelIDF16_hLN4vllm18Fp8KVCacheDataTypeE1EDF16_Li32ELi64ELi256ELb0ELi14EL8MFMAType1EEvPKT_PKT0_S8_ifPKiSA_SA_iPKfiiiPfSD_PS3_PT2_iSC_SC_:
	.asciz	"void paged_attention_ll4mi_QKV_mfma16_kernel(const scalar_t *__restrict, const cache_t *__restrict, const cache_t *__restrict, const int, const float, const int *__restrict, const int *__restrict, const int *__restrict, const int, const float *__restrict, const int, const int, const int, float *__restrict, float *__restrict, scalar_t *__restrict, OUTT *__restrict, int, const float *, const float *) [scalar_t = _Float16, cache_t = unsigned char, KV_DTYPE = vllm::Fp8KVCacheDataType::kFp8E4M3, OUTT = _Float16, BLOCK_SIZE = 32, HEAD_SIZE = 64, NUM_THREADS = 256, ALIBI_ENABLED = false, GQA_RATIO = 14, MFMA_TYPE = MFMAType::Fp8]"
	.size	__PRETTY_FUNCTION__._Z39paged_attention_ll4mi_QKV_mfma16_kernelIDF16_hLN4vllm18Fp8KVCacheDataTypeE1EDF16_Li32ELi64ELi256ELb0ELi14EL8MFMAType1EEvPKT_PKT0_S8_ifPKiSA_SA_iPKfiiiPfSD_PS3_PT2_iSC_SC_, 631

	.type	__PRETTY_FUNCTION__._Z39paged_attention_ll4mi_QKV_mfma16_kernelIDF16_hLN4vllm18Fp8KVCacheDataTypeE1EDF16_Li32ELi64ELi256ELb0ELi15EL8MFMAType1EEvPKT_PKT0_S8_ifPKiSA_SA_iPKfiiiPfSD_PS3_PT2_iSC_SC_,@object ; @__PRETTY_FUNCTION__._Z39paged_attention_ll4mi_QKV_mfma16_kernelIDF16_hLN4vllm18Fp8KVCacheDataTypeE1EDF16_Li32ELi64ELi256ELb0ELi15EL8MFMAType1EEvPKT_PKT0_S8_ifPKiSA_SA_iPKfiiiPfSD_PS3_PT2_iSC_SC_
__PRETTY_FUNCTION__._Z39paged_attention_ll4mi_QKV_mfma16_kernelIDF16_hLN4vllm18Fp8KVCacheDataTypeE1EDF16_Li32ELi64ELi256ELb0ELi15EL8MFMAType1EEvPKT_PKT0_S8_ifPKiSA_SA_iPKfiiiPfSD_PS3_PT2_iSC_SC_:
	.asciz	"void paged_attention_ll4mi_QKV_mfma16_kernel(const scalar_t *__restrict, const cache_t *__restrict, const cache_t *__restrict, const int, const float, const int *__restrict, const int *__restrict, const int *__restrict, const int, const float *__restrict, const int, const int, const int, float *__restrict, float *__restrict, scalar_t *__restrict, OUTT *__restrict, int, const float *, const float *) [scalar_t = _Float16, cache_t = unsigned char, KV_DTYPE = vllm::Fp8KVCacheDataType::kFp8E4M3, OUTT = _Float16, BLOCK_SIZE = 32, HEAD_SIZE = 64, NUM_THREADS = 256, ALIBI_ENABLED = false, GQA_RATIO = 15, MFMA_TYPE = MFMAType::Fp8]"
	.size	__PRETTY_FUNCTION__._Z39paged_attention_ll4mi_QKV_mfma16_kernelIDF16_hLN4vllm18Fp8KVCacheDataTypeE1EDF16_Li32ELi64ELi256ELb0ELi15EL8MFMAType1EEvPKT_PKT0_S8_ifPKiSA_SA_iPKfiiiPfSD_PS3_PT2_iSC_SC_, 631

	.type	__PRETTY_FUNCTION__._Z39paged_attention_ll4mi_QKV_mfma16_kernelIDF16_hLN4vllm18Fp8KVCacheDataTypeE1EDF16_Li32ELi64ELi256ELb0ELi16EL8MFMAType1EEvPKT_PKT0_S8_ifPKiSA_SA_iPKfiiiPfSD_PS3_PT2_iSC_SC_,@object ; @__PRETTY_FUNCTION__._Z39paged_attention_ll4mi_QKV_mfma16_kernelIDF16_hLN4vllm18Fp8KVCacheDataTypeE1EDF16_Li32ELi64ELi256ELb0ELi16EL8MFMAType1EEvPKT_PKT0_S8_ifPKiSA_SA_iPKfiiiPfSD_PS3_PT2_iSC_SC_
__PRETTY_FUNCTION__._Z39paged_attention_ll4mi_QKV_mfma16_kernelIDF16_hLN4vllm18Fp8KVCacheDataTypeE1EDF16_Li32ELi64ELi256ELb0ELi16EL8MFMAType1EEvPKT_PKT0_S8_ifPKiSA_SA_iPKfiiiPfSD_PS3_PT2_iSC_SC_:
	.asciz	"void paged_attention_ll4mi_QKV_mfma16_kernel(const scalar_t *__restrict, const cache_t *__restrict, const cache_t *__restrict, const int, const float, const int *__restrict, const int *__restrict, const int *__restrict, const int, const float *__restrict, const int, const int, const int, float *__restrict, float *__restrict, scalar_t *__restrict, OUTT *__restrict, int, const float *, const float *) [scalar_t = _Float16, cache_t = unsigned char, KV_DTYPE = vllm::Fp8KVCacheDataType::kFp8E4M3, OUTT = _Float16, BLOCK_SIZE = 32, HEAD_SIZE = 64, NUM_THREADS = 256, ALIBI_ENABLED = false, GQA_RATIO = 16, MFMA_TYPE = MFMAType::Fp8]"
	.size	__PRETTY_FUNCTION__._Z39paged_attention_ll4mi_QKV_mfma16_kernelIDF16_hLN4vllm18Fp8KVCacheDataTypeE1EDF16_Li32ELi64ELi256ELb0ELi16EL8MFMAType1EEvPKT_PKT0_S8_ifPKiSA_SA_iPKfiiiPfSD_PS3_PT2_iSC_SC_, 631

	.type	__PRETTY_FUNCTION__._Z39paged_attention_ll4mi_QKV_mfma16_kernelIDF16_hLN4vllm18Fp8KVCacheDataTypeE1EDF16_Li32ELi64ELi256ELb0ELi1EL8MFMAType1EEvPKT_PKT0_S8_ifPKiSA_SA_iPKfiiiPfSD_PS3_PT2_iSC_SC_,@object ; @__PRETTY_FUNCTION__._Z39paged_attention_ll4mi_QKV_mfma16_kernelIDF16_hLN4vllm18Fp8KVCacheDataTypeE1EDF16_Li32ELi64ELi256ELb0ELi1EL8MFMAType1EEvPKT_PKT0_S8_ifPKiSA_SA_iPKfiiiPfSD_PS3_PT2_iSC_SC_
__PRETTY_FUNCTION__._Z39paged_attention_ll4mi_QKV_mfma16_kernelIDF16_hLN4vllm18Fp8KVCacheDataTypeE1EDF16_Li32ELi64ELi256ELb0ELi1EL8MFMAType1EEvPKT_PKT0_S8_ifPKiSA_SA_iPKfiiiPfSD_PS3_PT2_iSC_SC_:
	.asciz	"void paged_attention_ll4mi_QKV_mfma16_kernel(const scalar_t *__restrict, const cache_t *__restrict, const cache_t *__restrict, const int, const float, const int *__restrict, const int *__restrict, const int *__restrict, const int, const float *__restrict, const int, const int, const int, float *__restrict, float *__restrict, scalar_t *__restrict, OUTT *__restrict, int, const float *, const float *) [scalar_t = _Float16, cache_t = unsigned char, KV_DTYPE = vllm::Fp8KVCacheDataType::kFp8E4M3, OUTT = _Float16, BLOCK_SIZE = 32, HEAD_SIZE = 64, NUM_THREADS = 256, ALIBI_ENABLED = false, GQA_RATIO = 1, MFMA_TYPE = MFMAType::Fp8]"
	.size	__PRETTY_FUNCTION__._Z39paged_attention_ll4mi_QKV_mfma16_kernelIDF16_hLN4vllm18Fp8KVCacheDataTypeE1EDF16_Li32ELi64ELi256ELb0ELi1EL8MFMAType1EEvPKT_PKT0_S8_ifPKiSA_SA_iPKfiiiPfSD_PS3_PT2_iSC_SC_, 630

	.type	__PRETTY_FUNCTION__._Z39paged_attention_ll4mi_QKV_mfma16_kernelIDF16_hLN4vllm18Fp8KVCacheDataTypeE1EDF16_Li32ELi64ELi256ELb0ELi2EL8MFMAType1EEvPKT_PKT0_S8_ifPKiSA_SA_iPKfiiiPfSD_PS3_PT2_iSC_SC_,@object ; @__PRETTY_FUNCTION__._Z39paged_attention_ll4mi_QKV_mfma16_kernelIDF16_hLN4vllm18Fp8KVCacheDataTypeE1EDF16_Li32ELi64ELi256ELb0ELi2EL8MFMAType1EEvPKT_PKT0_S8_ifPKiSA_SA_iPKfiiiPfSD_PS3_PT2_iSC_SC_
__PRETTY_FUNCTION__._Z39paged_attention_ll4mi_QKV_mfma16_kernelIDF16_hLN4vllm18Fp8KVCacheDataTypeE1EDF16_Li32ELi64ELi256ELb0ELi2EL8MFMAType1EEvPKT_PKT0_S8_ifPKiSA_SA_iPKfiiiPfSD_PS3_PT2_iSC_SC_:
	.asciz	"void paged_attention_ll4mi_QKV_mfma16_kernel(const scalar_t *__restrict, const cache_t *__restrict, const cache_t *__restrict, const int, const float, const int *__restrict, const int *__restrict, const int *__restrict, const int, const float *__restrict, const int, const int, const int, float *__restrict, float *__restrict, scalar_t *__restrict, OUTT *__restrict, int, const float *, const float *) [scalar_t = _Float16, cache_t = unsigned char, KV_DTYPE = vllm::Fp8KVCacheDataType::kFp8E4M3, OUTT = _Float16, BLOCK_SIZE = 32, HEAD_SIZE = 64, NUM_THREADS = 256, ALIBI_ENABLED = false, GQA_RATIO = 2, MFMA_TYPE = MFMAType::Fp8]"
	.size	__PRETTY_FUNCTION__._Z39paged_attention_ll4mi_QKV_mfma16_kernelIDF16_hLN4vllm18Fp8KVCacheDataTypeE1EDF16_Li32ELi64ELi256ELb0ELi2EL8MFMAType1EEvPKT_PKT0_S8_ifPKiSA_SA_iPKfiiiPfSD_PS3_PT2_iSC_SC_, 630

	.type	__PRETTY_FUNCTION__._Z39paged_attention_ll4mi_QKV_mfma16_kernelIDF16_hLN4vllm18Fp8KVCacheDataTypeE1EDF16_Li32ELi64ELi256ELb0ELi3EL8MFMAType1EEvPKT_PKT0_S8_ifPKiSA_SA_iPKfiiiPfSD_PS3_PT2_iSC_SC_,@object ; @__PRETTY_FUNCTION__._Z39paged_attention_ll4mi_QKV_mfma16_kernelIDF16_hLN4vllm18Fp8KVCacheDataTypeE1EDF16_Li32ELi64ELi256ELb0ELi3EL8MFMAType1EEvPKT_PKT0_S8_ifPKiSA_SA_iPKfiiiPfSD_PS3_PT2_iSC_SC_
__PRETTY_FUNCTION__._Z39paged_attention_ll4mi_QKV_mfma16_kernelIDF16_hLN4vllm18Fp8KVCacheDataTypeE1EDF16_Li32ELi64ELi256ELb0ELi3EL8MFMAType1EEvPKT_PKT0_S8_ifPKiSA_SA_iPKfiiiPfSD_PS3_PT2_iSC_SC_:
	.asciz	"void paged_attention_ll4mi_QKV_mfma16_kernel(const scalar_t *__restrict, const cache_t *__restrict, const cache_t *__restrict, const int, const float, const int *__restrict, const int *__restrict, const int *__restrict, const int, const float *__restrict, const int, const int, const int, float *__restrict, float *__restrict, scalar_t *__restrict, OUTT *__restrict, int, const float *, const float *) [scalar_t = _Float16, cache_t = unsigned char, KV_DTYPE = vllm::Fp8KVCacheDataType::kFp8E4M3, OUTT = _Float16, BLOCK_SIZE = 32, HEAD_SIZE = 64, NUM_THREADS = 256, ALIBI_ENABLED = false, GQA_RATIO = 3, MFMA_TYPE = MFMAType::Fp8]"
	.size	__PRETTY_FUNCTION__._Z39paged_attention_ll4mi_QKV_mfma16_kernelIDF16_hLN4vllm18Fp8KVCacheDataTypeE1EDF16_Li32ELi64ELi256ELb0ELi3EL8MFMAType1EEvPKT_PKT0_S8_ifPKiSA_SA_iPKfiiiPfSD_PS3_PT2_iSC_SC_, 630

	.type	__PRETTY_FUNCTION__._Z39paged_attention_ll4mi_QKV_mfma16_kernelIDF16_hLN4vllm18Fp8KVCacheDataTypeE1EDF16_Li32ELi64ELi256ELb0ELi4EL8MFMAType1EEvPKT_PKT0_S8_ifPKiSA_SA_iPKfiiiPfSD_PS3_PT2_iSC_SC_,@object ; @__PRETTY_FUNCTION__._Z39paged_attention_ll4mi_QKV_mfma16_kernelIDF16_hLN4vllm18Fp8KVCacheDataTypeE1EDF16_Li32ELi64ELi256ELb0ELi4EL8MFMAType1EEvPKT_PKT0_S8_ifPKiSA_SA_iPKfiiiPfSD_PS3_PT2_iSC_SC_
__PRETTY_FUNCTION__._Z39paged_attention_ll4mi_QKV_mfma16_kernelIDF16_hLN4vllm18Fp8KVCacheDataTypeE1EDF16_Li32ELi64ELi256ELb0ELi4EL8MFMAType1EEvPKT_PKT0_S8_ifPKiSA_SA_iPKfiiiPfSD_PS3_PT2_iSC_SC_:
	.asciz	"void paged_attention_ll4mi_QKV_mfma16_kernel(const scalar_t *__restrict, const cache_t *__restrict, const cache_t *__restrict, const int, const float, const int *__restrict, const int *__restrict, const int *__restrict, const int, const float *__restrict, const int, const int, const int, float *__restrict, float *__restrict, scalar_t *__restrict, OUTT *__restrict, int, const float *, const float *) [scalar_t = _Float16, cache_t = unsigned char, KV_DTYPE = vllm::Fp8KVCacheDataType::kFp8E4M3, OUTT = _Float16, BLOCK_SIZE = 32, HEAD_SIZE = 64, NUM_THREADS = 256, ALIBI_ENABLED = false, GQA_RATIO = 4, MFMA_TYPE = MFMAType::Fp8]"
	.size	__PRETTY_FUNCTION__._Z39paged_attention_ll4mi_QKV_mfma16_kernelIDF16_hLN4vllm18Fp8KVCacheDataTypeE1EDF16_Li32ELi64ELi256ELb0ELi4EL8MFMAType1EEvPKT_PKT0_S8_ifPKiSA_SA_iPKfiiiPfSD_PS3_PT2_iSC_SC_, 630

	.type	__PRETTY_FUNCTION__._Z39paged_attention_ll4mi_QKV_mfma16_kernelIDF16_hLN4vllm18Fp8KVCacheDataTypeE1EDF16_Li16ELi128ELi256ELb1ELi5EL8MFMAType1EEvPKT_PKT0_S8_ifPKiSA_SA_iPKfiiiPfSD_PS3_PT2_iSC_SC_,@object ; @__PRETTY_FUNCTION__._Z39paged_attention_ll4mi_QKV_mfma16_kernelIDF16_hLN4vllm18Fp8KVCacheDataTypeE1EDF16_Li16ELi128ELi256ELb1ELi5EL8MFMAType1EEvPKT_PKT0_S8_ifPKiSA_SA_iPKfiiiPfSD_PS3_PT2_iSC_SC_
__PRETTY_FUNCTION__._Z39paged_attention_ll4mi_QKV_mfma16_kernelIDF16_hLN4vllm18Fp8KVCacheDataTypeE1EDF16_Li16ELi128ELi256ELb1ELi5EL8MFMAType1EEvPKT_PKT0_S8_ifPKiSA_SA_iPKfiiiPfSD_PS3_PT2_iSC_SC_:
	.asciz	"void paged_attention_ll4mi_QKV_mfma16_kernel(const scalar_t *__restrict, const cache_t *__restrict, const cache_t *__restrict, const int, const float, const int *__restrict, const int *__restrict, const int *__restrict, const int, const float *__restrict, const int, const int, const int, float *__restrict, float *__restrict, scalar_t *__restrict, OUTT *__restrict, int, const float *, const float *) [scalar_t = _Float16, cache_t = unsigned char, KV_DTYPE = vllm::Fp8KVCacheDataType::kFp8E4M3, OUTT = _Float16, BLOCK_SIZE = 16, HEAD_SIZE = 128, NUM_THREADS = 256, ALIBI_ENABLED = true, GQA_RATIO = 5, MFMA_TYPE = MFMAType::Fp8]"
	.size	__PRETTY_FUNCTION__._Z39paged_attention_ll4mi_QKV_mfma16_kernelIDF16_hLN4vllm18Fp8KVCacheDataTypeE1EDF16_Li16ELi128ELi256ELb1ELi5EL8MFMAType1EEvPKT_PKT0_S8_ifPKiSA_SA_iPKfiiiPfSD_PS3_PT2_iSC_SC_, 630

	.type	__PRETTY_FUNCTION__._Z39paged_attention_ll4mi_QKV_mfma16_kernelIDF16_hLN4vllm18Fp8KVCacheDataTypeE1EDF16_Li16ELi128ELi256ELb1ELi6EL8MFMAType1EEvPKT_PKT0_S8_ifPKiSA_SA_iPKfiiiPfSD_PS3_PT2_iSC_SC_,@object ; @__PRETTY_FUNCTION__._Z39paged_attention_ll4mi_QKV_mfma16_kernelIDF16_hLN4vllm18Fp8KVCacheDataTypeE1EDF16_Li16ELi128ELi256ELb1ELi6EL8MFMAType1EEvPKT_PKT0_S8_ifPKiSA_SA_iPKfiiiPfSD_PS3_PT2_iSC_SC_
__PRETTY_FUNCTION__._Z39paged_attention_ll4mi_QKV_mfma16_kernelIDF16_hLN4vllm18Fp8KVCacheDataTypeE1EDF16_Li16ELi128ELi256ELb1ELi6EL8MFMAType1EEvPKT_PKT0_S8_ifPKiSA_SA_iPKfiiiPfSD_PS3_PT2_iSC_SC_:
	.asciz	"void paged_attention_ll4mi_QKV_mfma16_kernel(const scalar_t *__restrict, const cache_t *__restrict, const cache_t *__restrict, const int, const float, const int *__restrict, const int *__restrict, const int *__restrict, const int, const float *__restrict, const int, const int, const int, float *__restrict, float *__restrict, scalar_t *__restrict, OUTT *__restrict, int, const float *, const float *) [scalar_t = _Float16, cache_t = unsigned char, KV_DTYPE = vllm::Fp8KVCacheDataType::kFp8E4M3, OUTT = _Float16, BLOCK_SIZE = 16, HEAD_SIZE = 128, NUM_THREADS = 256, ALIBI_ENABLED = true, GQA_RATIO = 6, MFMA_TYPE = MFMAType::Fp8]"
	.size	__PRETTY_FUNCTION__._Z39paged_attention_ll4mi_QKV_mfma16_kernelIDF16_hLN4vllm18Fp8KVCacheDataTypeE1EDF16_Li16ELi128ELi256ELb1ELi6EL8MFMAType1EEvPKT_PKT0_S8_ifPKiSA_SA_iPKfiiiPfSD_PS3_PT2_iSC_SC_, 630

	.type	__PRETTY_FUNCTION__._Z39paged_attention_ll4mi_QKV_mfma16_kernelIDF16_hLN4vllm18Fp8KVCacheDataTypeE1EDF16_Li16ELi128ELi256ELb1ELi7EL8MFMAType1EEvPKT_PKT0_S8_ifPKiSA_SA_iPKfiiiPfSD_PS3_PT2_iSC_SC_,@object ; @__PRETTY_FUNCTION__._Z39paged_attention_ll4mi_QKV_mfma16_kernelIDF16_hLN4vllm18Fp8KVCacheDataTypeE1EDF16_Li16ELi128ELi256ELb1ELi7EL8MFMAType1EEvPKT_PKT0_S8_ifPKiSA_SA_iPKfiiiPfSD_PS3_PT2_iSC_SC_
__PRETTY_FUNCTION__._Z39paged_attention_ll4mi_QKV_mfma16_kernelIDF16_hLN4vllm18Fp8KVCacheDataTypeE1EDF16_Li16ELi128ELi256ELb1ELi7EL8MFMAType1EEvPKT_PKT0_S8_ifPKiSA_SA_iPKfiiiPfSD_PS3_PT2_iSC_SC_:
	.asciz	"void paged_attention_ll4mi_QKV_mfma16_kernel(const scalar_t *__restrict, const cache_t *__restrict, const cache_t *__restrict, const int, const float, const int *__restrict, const int *__restrict, const int *__restrict, const int, const float *__restrict, const int, const int, const int, float *__restrict, float *__restrict, scalar_t *__restrict, OUTT *__restrict, int, const float *, const float *) [scalar_t = _Float16, cache_t = unsigned char, KV_DTYPE = vllm::Fp8KVCacheDataType::kFp8E4M3, OUTT = _Float16, BLOCK_SIZE = 16, HEAD_SIZE = 128, NUM_THREADS = 256, ALIBI_ENABLED = true, GQA_RATIO = 7, MFMA_TYPE = MFMAType::Fp8]"
	.size	__PRETTY_FUNCTION__._Z39paged_attention_ll4mi_QKV_mfma16_kernelIDF16_hLN4vllm18Fp8KVCacheDataTypeE1EDF16_Li16ELi128ELi256ELb1ELi7EL8MFMAType1EEvPKT_PKT0_S8_ifPKiSA_SA_iPKfiiiPfSD_PS3_PT2_iSC_SC_, 630

	.type	__PRETTY_FUNCTION__._Z39paged_attention_ll4mi_QKV_mfma16_kernelIDF16_hLN4vllm18Fp8KVCacheDataTypeE1EDF16_Li16ELi128ELi256ELb1ELi8EL8MFMAType1EEvPKT_PKT0_S8_ifPKiSA_SA_iPKfiiiPfSD_PS3_PT2_iSC_SC_,@object ; @__PRETTY_FUNCTION__._Z39paged_attention_ll4mi_QKV_mfma16_kernelIDF16_hLN4vllm18Fp8KVCacheDataTypeE1EDF16_Li16ELi128ELi256ELb1ELi8EL8MFMAType1EEvPKT_PKT0_S8_ifPKiSA_SA_iPKfiiiPfSD_PS3_PT2_iSC_SC_
__PRETTY_FUNCTION__._Z39paged_attention_ll4mi_QKV_mfma16_kernelIDF16_hLN4vllm18Fp8KVCacheDataTypeE1EDF16_Li16ELi128ELi256ELb1ELi8EL8MFMAType1EEvPKT_PKT0_S8_ifPKiSA_SA_iPKfiiiPfSD_PS3_PT2_iSC_SC_:
	.asciz	"void paged_attention_ll4mi_QKV_mfma16_kernel(const scalar_t *__restrict, const cache_t *__restrict, const cache_t *__restrict, const int, const float, const int *__restrict, const int *__restrict, const int *__restrict, const int, const float *__restrict, const int, const int, const int, float *__restrict, float *__restrict, scalar_t *__restrict, OUTT *__restrict, int, const float *, const float *) [scalar_t = _Float16, cache_t = unsigned char, KV_DTYPE = vllm::Fp8KVCacheDataType::kFp8E4M3, OUTT = _Float16, BLOCK_SIZE = 16, HEAD_SIZE = 128, NUM_THREADS = 256, ALIBI_ENABLED = true, GQA_RATIO = 8, MFMA_TYPE = MFMAType::Fp8]"
	.size	__PRETTY_FUNCTION__._Z39paged_attention_ll4mi_QKV_mfma16_kernelIDF16_hLN4vllm18Fp8KVCacheDataTypeE1EDF16_Li16ELi128ELi256ELb1ELi8EL8MFMAType1EEvPKT_PKT0_S8_ifPKiSA_SA_iPKfiiiPfSD_PS3_PT2_iSC_SC_, 630

	.type	__PRETTY_FUNCTION__._Z39paged_attention_ll4mi_QKV_mfma16_kernelIDF16_hLN4vllm18Fp8KVCacheDataTypeE1EDF16_Li16ELi128ELi256ELb1ELi9EL8MFMAType1EEvPKT_PKT0_S8_ifPKiSA_SA_iPKfiiiPfSD_PS3_PT2_iSC_SC_,@object ; @__PRETTY_FUNCTION__._Z39paged_attention_ll4mi_QKV_mfma16_kernelIDF16_hLN4vllm18Fp8KVCacheDataTypeE1EDF16_Li16ELi128ELi256ELb1ELi9EL8MFMAType1EEvPKT_PKT0_S8_ifPKiSA_SA_iPKfiiiPfSD_PS3_PT2_iSC_SC_
__PRETTY_FUNCTION__._Z39paged_attention_ll4mi_QKV_mfma16_kernelIDF16_hLN4vllm18Fp8KVCacheDataTypeE1EDF16_Li16ELi128ELi256ELb1ELi9EL8MFMAType1EEvPKT_PKT0_S8_ifPKiSA_SA_iPKfiiiPfSD_PS3_PT2_iSC_SC_:
	.asciz	"void paged_attention_ll4mi_QKV_mfma16_kernel(const scalar_t *__restrict, const cache_t *__restrict, const cache_t *__restrict, const int, const float, const int *__restrict, const int *__restrict, const int *__restrict, const int, const float *__restrict, const int, const int, const int, float *__restrict, float *__restrict, scalar_t *__restrict, OUTT *__restrict, int, const float *, const float *) [scalar_t = _Float16, cache_t = unsigned char, KV_DTYPE = vllm::Fp8KVCacheDataType::kFp8E4M3, OUTT = _Float16, BLOCK_SIZE = 16, HEAD_SIZE = 128, NUM_THREADS = 256, ALIBI_ENABLED = true, GQA_RATIO = 9, MFMA_TYPE = MFMAType::Fp8]"
	.size	__PRETTY_FUNCTION__._Z39paged_attention_ll4mi_QKV_mfma16_kernelIDF16_hLN4vllm18Fp8KVCacheDataTypeE1EDF16_Li16ELi128ELi256ELb1ELi9EL8MFMAType1EEvPKT_PKT0_S8_ifPKiSA_SA_iPKfiiiPfSD_PS3_PT2_iSC_SC_, 630

	.type	__PRETTY_FUNCTION__._Z39paged_attention_ll4mi_QKV_mfma16_kernelIDF16_hLN4vllm18Fp8KVCacheDataTypeE1EDF16_Li16ELi128ELi256ELb1ELi10EL8MFMAType1EEvPKT_PKT0_S8_ifPKiSA_SA_iPKfiiiPfSD_PS3_PT2_iSC_SC_,@object ; @__PRETTY_FUNCTION__._Z39paged_attention_ll4mi_QKV_mfma16_kernelIDF16_hLN4vllm18Fp8KVCacheDataTypeE1EDF16_Li16ELi128ELi256ELb1ELi10EL8MFMAType1EEvPKT_PKT0_S8_ifPKiSA_SA_iPKfiiiPfSD_PS3_PT2_iSC_SC_
__PRETTY_FUNCTION__._Z39paged_attention_ll4mi_QKV_mfma16_kernelIDF16_hLN4vllm18Fp8KVCacheDataTypeE1EDF16_Li16ELi128ELi256ELb1ELi10EL8MFMAType1EEvPKT_PKT0_S8_ifPKiSA_SA_iPKfiiiPfSD_PS3_PT2_iSC_SC_:
	.asciz	"void paged_attention_ll4mi_QKV_mfma16_kernel(const scalar_t *__restrict, const cache_t *__restrict, const cache_t *__restrict, const int, const float, const int *__restrict, const int *__restrict, const int *__restrict, const int, const float *__restrict, const int, const int, const int, float *__restrict, float *__restrict, scalar_t *__restrict, OUTT *__restrict, int, const float *, const float *) [scalar_t = _Float16, cache_t = unsigned char, KV_DTYPE = vllm::Fp8KVCacheDataType::kFp8E4M3, OUTT = _Float16, BLOCK_SIZE = 16, HEAD_SIZE = 128, NUM_THREADS = 256, ALIBI_ENABLED = true, GQA_RATIO = 10, MFMA_TYPE = MFMAType::Fp8]"
	.size	__PRETTY_FUNCTION__._Z39paged_attention_ll4mi_QKV_mfma16_kernelIDF16_hLN4vllm18Fp8KVCacheDataTypeE1EDF16_Li16ELi128ELi256ELb1ELi10EL8MFMAType1EEvPKT_PKT0_S8_ifPKiSA_SA_iPKfiiiPfSD_PS3_PT2_iSC_SC_, 631

	.type	__PRETTY_FUNCTION__._Z39paged_attention_ll4mi_QKV_mfma16_kernelIDF16_hLN4vllm18Fp8KVCacheDataTypeE1EDF16_Li16ELi128ELi256ELb1ELi11EL8MFMAType1EEvPKT_PKT0_S8_ifPKiSA_SA_iPKfiiiPfSD_PS3_PT2_iSC_SC_,@object ; @__PRETTY_FUNCTION__._Z39paged_attention_ll4mi_QKV_mfma16_kernelIDF16_hLN4vllm18Fp8KVCacheDataTypeE1EDF16_Li16ELi128ELi256ELb1ELi11EL8MFMAType1EEvPKT_PKT0_S8_ifPKiSA_SA_iPKfiiiPfSD_PS3_PT2_iSC_SC_
__PRETTY_FUNCTION__._Z39paged_attention_ll4mi_QKV_mfma16_kernelIDF16_hLN4vllm18Fp8KVCacheDataTypeE1EDF16_Li16ELi128ELi256ELb1ELi11EL8MFMAType1EEvPKT_PKT0_S8_ifPKiSA_SA_iPKfiiiPfSD_PS3_PT2_iSC_SC_:
	.asciz	"void paged_attention_ll4mi_QKV_mfma16_kernel(const scalar_t *__restrict, const cache_t *__restrict, const cache_t *__restrict, const int, const float, const int *__restrict, const int *__restrict, const int *__restrict, const int, const float *__restrict, const int, const int, const int, float *__restrict, float *__restrict, scalar_t *__restrict, OUTT *__restrict, int, const float *, const float *) [scalar_t = _Float16, cache_t = unsigned char, KV_DTYPE = vllm::Fp8KVCacheDataType::kFp8E4M3, OUTT = _Float16, BLOCK_SIZE = 16, HEAD_SIZE = 128, NUM_THREADS = 256, ALIBI_ENABLED = true, GQA_RATIO = 11, MFMA_TYPE = MFMAType::Fp8]"
	.size	__PRETTY_FUNCTION__._Z39paged_attention_ll4mi_QKV_mfma16_kernelIDF16_hLN4vllm18Fp8KVCacheDataTypeE1EDF16_Li16ELi128ELi256ELb1ELi11EL8MFMAType1EEvPKT_PKT0_S8_ifPKiSA_SA_iPKfiiiPfSD_PS3_PT2_iSC_SC_, 631

	.type	__PRETTY_FUNCTION__._Z39paged_attention_ll4mi_QKV_mfma16_kernelIDF16_hLN4vllm18Fp8KVCacheDataTypeE1EDF16_Li16ELi128ELi256ELb1ELi12EL8MFMAType1EEvPKT_PKT0_S8_ifPKiSA_SA_iPKfiiiPfSD_PS3_PT2_iSC_SC_,@object ; @__PRETTY_FUNCTION__._Z39paged_attention_ll4mi_QKV_mfma16_kernelIDF16_hLN4vllm18Fp8KVCacheDataTypeE1EDF16_Li16ELi128ELi256ELb1ELi12EL8MFMAType1EEvPKT_PKT0_S8_ifPKiSA_SA_iPKfiiiPfSD_PS3_PT2_iSC_SC_
__PRETTY_FUNCTION__._Z39paged_attention_ll4mi_QKV_mfma16_kernelIDF16_hLN4vllm18Fp8KVCacheDataTypeE1EDF16_Li16ELi128ELi256ELb1ELi12EL8MFMAType1EEvPKT_PKT0_S8_ifPKiSA_SA_iPKfiiiPfSD_PS3_PT2_iSC_SC_:
	.asciz	"void paged_attention_ll4mi_QKV_mfma16_kernel(const scalar_t *__restrict, const cache_t *__restrict, const cache_t *__restrict, const int, const float, const int *__restrict, const int *__restrict, const int *__restrict, const int, const float *__restrict, const int, const int, const int, float *__restrict, float *__restrict, scalar_t *__restrict, OUTT *__restrict, int, const float *, const float *) [scalar_t = _Float16, cache_t = unsigned char, KV_DTYPE = vllm::Fp8KVCacheDataType::kFp8E4M3, OUTT = _Float16, BLOCK_SIZE = 16, HEAD_SIZE = 128, NUM_THREADS = 256, ALIBI_ENABLED = true, GQA_RATIO = 12, MFMA_TYPE = MFMAType::Fp8]"
	.size	__PRETTY_FUNCTION__._Z39paged_attention_ll4mi_QKV_mfma16_kernelIDF16_hLN4vllm18Fp8KVCacheDataTypeE1EDF16_Li16ELi128ELi256ELb1ELi12EL8MFMAType1EEvPKT_PKT0_S8_ifPKiSA_SA_iPKfiiiPfSD_PS3_PT2_iSC_SC_, 631

	.type	__PRETTY_FUNCTION__._Z39paged_attention_ll4mi_QKV_mfma16_kernelIDF16_hLN4vllm18Fp8KVCacheDataTypeE1EDF16_Li16ELi128ELi256ELb1ELi13EL8MFMAType1EEvPKT_PKT0_S8_ifPKiSA_SA_iPKfiiiPfSD_PS3_PT2_iSC_SC_,@object ; @__PRETTY_FUNCTION__._Z39paged_attention_ll4mi_QKV_mfma16_kernelIDF16_hLN4vllm18Fp8KVCacheDataTypeE1EDF16_Li16ELi128ELi256ELb1ELi13EL8MFMAType1EEvPKT_PKT0_S8_ifPKiSA_SA_iPKfiiiPfSD_PS3_PT2_iSC_SC_
__PRETTY_FUNCTION__._Z39paged_attention_ll4mi_QKV_mfma16_kernelIDF16_hLN4vllm18Fp8KVCacheDataTypeE1EDF16_Li16ELi128ELi256ELb1ELi13EL8MFMAType1EEvPKT_PKT0_S8_ifPKiSA_SA_iPKfiiiPfSD_PS3_PT2_iSC_SC_:
	.asciz	"void paged_attention_ll4mi_QKV_mfma16_kernel(const scalar_t *__restrict, const cache_t *__restrict, const cache_t *__restrict, const int, const float, const int *__restrict, const int *__restrict, const int *__restrict, const int, const float *__restrict, const int, const int, const int, float *__restrict, float *__restrict, scalar_t *__restrict, OUTT *__restrict, int, const float *, const float *) [scalar_t = _Float16, cache_t = unsigned char, KV_DTYPE = vllm::Fp8KVCacheDataType::kFp8E4M3, OUTT = _Float16, BLOCK_SIZE = 16, HEAD_SIZE = 128, NUM_THREADS = 256, ALIBI_ENABLED = true, GQA_RATIO = 13, MFMA_TYPE = MFMAType::Fp8]"
	.size	__PRETTY_FUNCTION__._Z39paged_attention_ll4mi_QKV_mfma16_kernelIDF16_hLN4vllm18Fp8KVCacheDataTypeE1EDF16_Li16ELi128ELi256ELb1ELi13EL8MFMAType1EEvPKT_PKT0_S8_ifPKiSA_SA_iPKfiiiPfSD_PS3_PT2_iSC_SC_, 631

	.type	__PRETTY_FUNCTION__._Z39paged_attention_ll4mi_QKV_mfma16_kernelIDF16_hLN4vllm18Fp8KVCacheDataTypeE1EDF16_Li16ELi128ELi256ELb1ELi14EL8MFMAType1EEvPKT_PKT0_S8_ifPKiSA_SA_iPKfiiiPfSD_PS3_PT2_iSC_SC_,@object ; @__PRETTY_FUNCTION__._Z39paged_attention_ll4mi_QKV_mfma16_kernelIDF16_hLN4vllm18Fp8KVCacheDataTypeE1EDF16_Li16ELi128ELi256ELb1ELi14EL8MFMAType1EEvPKT_PKT0_S8_ifPKiSA_SA_iPKfiiiPfSD_PS3_PT2_iSC_SC_
__PRETTY_FUNCTION__._Z39paged_attention_ll4mi_QKV_mfma16_kernelIDF16_hLN4vllm18Fp8KVCacheDataTypeE1EDF16_Li16ELi128ELi256ELb1ELi14EL8MFMAType1EEvPKT_PKT0_S8_ifPKiSA_SA_iPKfiiiPfSD_PS3_PT2_iSC_SC_:
	.asciz	"void paged_attention_ll4mi_QKV_mfma16_kernel(const scalar_t *__restrict, const cache_t *__restrict, const cache_t *__restrict, const int, const float, const int *__restrict, const int *__restrict, const int *__restrict, const int, const float *__restrict, const int, const int, const int, float *__restrict, float *__restrict, scalar_t *__restrict, OUTT *__restrict, int, const float *, const float *) [scalar_t = _Float16, cache_t = unsigned char, KV_DTYPE = vllm::Fp8KVCacheDataType::kFp8E4M3, OUTT = _Float16, BLOCK_SIZE = 16, HEAD_SIZE = 128, NUM_THREADS = 256, ALIBI_ENABLED = true, GQA_RATIO = 14, MFMA_TYPE = MFMAType::Fp8]"
	.size	__PRETTY_FUNCTION__._Z39paged_attention_ll4mi_QKV_mfma16_kernelIDF16_hLN4vllm18Fp8KVCacheDataTypeE1EDF16_Li16ELi128ELi256ELb1ELi14EL8MFMAType1EEvPKT_PKT0_S8_ifPKiSA_SA_iPKfiiiPfSD_PS3_PT2_iSC_SC_, 631

	.type	__PRETTY_FUNCTION__._Z39paged_attention_ll4mi_QKV_mfma16_kernelIDF16_hLN4vllm18Fp8KVCacheDataTypeE1EDF16_Li16ELi128ELi256ELb1ELi15EL8MFMAType1EEvPKT_PKT0_S8_ifPKiSA_SA_iPKfiiiPfSD_PS3_PT2_iSC_SC_,@object ; @__PRETTY_FUNCTION__._Z39paged_attention_ll4mi_QKV_mfma16_kernelIDF16_hLN4vllm18Fp8KVCacheDataTypeE1EDF16_Li16ELi128ELi256ELb1ELi15EL8MFMAType1EEvPKT_PKT0_S8_ifPKiSA_SA_iPKfiiiPfSD_PS3_PT2_iSC_SC_
__PRETTY_FUNCTION__._Z39paged_attention_ll4mi_QKV_mfma16_kernelIDF16_hLN4vllm18Fp8KVCacheDataTypeE1EDF16_Li16ELi128ELi256ELb1ELi15EL8MFMAType1EEvPKT_PKT0_S8_ifPKiSA_SA_iPKfiiiPfSD_PS3_PT2_iSC_SC_:
	.asciz	"void paged_attention_ll4mi_QKV_mfma16_kernel(const scalar_t *__restrict, const cache_t *__restrict, const cache_t *__restrict, const int, const float, const int *__restrict, const int *__restrict, const int *__restrict, const int, const float *__restrict, const int, const int, const int, float *__restrict, float *__restrict, scalar_t *__restrict, OUTT *__restrict, int, const float *, const float *) [scalar_t = _Float16, cache_t = unsigned char, KV_DTYPE = vllm::Fp8KVCacheDataType::kFp8E4M3, OUTT = _Float16, BLOCK_SIZE = 16, HEAD_SIZE = 128, NUM_THREADS = 256, ALIBI_ENABLED = true, GQA_RATIO = 15, MFMA_TYPE = MFMAType::Fp8]"
	.size	__PRETTY_FUNCTION__._Z39paged_attention_ll4mi_QKV_mfma16_kernelIDF16_hLN4vllm18Fp8KVCacheDataTypeE1EDF16_Li16ELi128ELi256ELb1ELi15EL8MFMAType1EEvPKT_PKT0_S8_ifPKiSA_SA_iPKfiiiPfSD_PS3_PT2_iSC_SC_, 631

	.type	__PRETTY_FUNCTION__._Z39paged_attention_ll4mi_QKV_mfma16_kernelIDF16_hLN4vllm18Fp8KVCacheDataTypeE1EDF16_Li16ELi128ELi256ELb1ELi16EL8MFMAType1EEvPKT_PKT0_S8_ifPKiSA_SA_iPKfiiiPfSD_PS3_PT2_iSC_SC_,@object ; @__PRETTY_FUNCTION__._Z39paged_attention_ll4mi_QKV_mfma16_kernelIDF16_hLN4vllm18Fp8KVCacheDataTypeE1EDF16_Li16ELi128ELi256ELb1ELi16EL8MFMAType1EEvPKT_PKT0_S8_ifPKiSA_SA_iPKfiiiPfSD_PS3_PT2_iSC_SC_
__PRETTY_FUNCTION__._Z39paged_attention_ll4mi_QKV_mfma16_kernelIDF16_hLN4vllm18Fp8KVCacheDataTypeE1EDF16_Li16ELi128ELi256ELb1ELi16EL8MFMAType1EEvPKT_PKT0_S8_ifPKiSA_SA_iPKfiiiPfSD_PS3_PT2_iSC_SC_:
	.asciz	"void paged_attention_ll4mi_QKV_mfma16_kernel(const scalar_t *__restrict, const cache_t *__restrict, const cache_t *__restrict, const int, const float, const int *__restrict, const int *__restrict, const int *__restrict, const int, const float *__restrict, const int, const int, const int, float *__restrict, float *__restrict, scalar_t *__restrict, OUTT *__restrict, int, const float *, const float *) [scalar_t = _Float16, cache_t = unsigned char, KV_DTYPE = vllm::Fp8KVCacheDataType::kFp8E4M3, OUTT = _Float16, BLOCK_SIZE = 16, HEAD_SIZE = 128, NUM_THREADS = 256, ALIBI_ENABLED = true, GQA_RATIO = 16, MFMA_TYPE = MFMAType::Fp8]"
	.size	__PRETTY_FUNCTION__._Z39paged_attention_ll4mi_QKV_mfma16_kernelIDF16_hLN4vllm18Fp8KVCacheDataTypeE1EDF16_Li16ELi128ELi256ELb1ELi16EL8MFMAType1EEvPKT_PKT0_S8_ifPKiSA_SA_iPKfiiiPfSD_PS3_PT2_iSC_SC_, 631

	.type	__PRETTY_FUNCTION__._Z39paged_attention_ll4mi_QKV_mfma16_kernelIDF16_hLN4vllm18Fp8KVCacheDataTypeE1EDF16_Li16ELi128ELi256ELb1ELi1EL8MFMAType1EEvPKT_PKT0_S8_ifPKiSA_SA_iPKfiiiPfSD_PS3_PT2_iSC_SC_,@object ; @__PRETTY_FUNCTION__._Z39paged_attention_ll4mi_QKV_mfma16_kernelIDF16_hLN4vllm18Fp8KVCacheDataTypeE1EDF16_Li16ELi128ELi256ELb1ELi1EL8MFMAType1EEvPKT_PKT0_S8_ifPKiSA_SA_iPKfiiiPfSD_PS3_PT2_iSC_SC_
__PRETTY_FUNCTION__._Z39paged_attention_ll4mi_QKV_mfma16_kernelIDF16_hLN4vllm18Fp8KVCacheDataTypeE1EDF16_Li16ELi128ELi256ELb1ELi1EL8MFMAType1EEvPKT_PKT0_S8_ifPKiSA_SA_iPKfiiiPfSD_PS3_PT2_iSC_SC_:
	.asciz	"void paged_attention_ll4mi_QKV_mfma16_kernel(const scalar_t *__restrict, const cache_t *__restrict, const cache_t *__restrict, const int, const float, const int *__restrict, const int *__restrict, const int *__restrict, const int, const float *__restrict, const int, const int, const int, float *__restrict, float *__restrict, scalar_t *__restrict, OUTT *__restrict, int, const float *, const float *) [scalar_t = _Float16, cache_t = unsigned char, KV_DTYPE = vllm::Fp8KVCacheDataType::kFp8E4M3, OUTT = _Float16, BLOCK_SIZE = 16, HEAD_SIZE = 128, NUM_THREADS = 256, ALIBI_ENABLED = true, GQA_RATIO = 1, MFMA_TYPE = MFMAType::Fp8]"
	.size	__PRETTY_FUNCTION__._Z39paged_attention_ll4mi_QKV_mfma16_kernelIDF16_hLN4vllm18Fp8KVCacheDataTypeE1EDF16_Li16ELi128ELi256ELb1ELi1EL8MFMAType1EEvPKT_PKT0_S8_ifPKiSA_SA_iPKfiiiPfSD_PS3_PT2_iSC_SC_, 630

	.type	__PRETTY_FUNCTION__._Z39paged_attention_ll4mi_QKV_mfma16_kernelIDF16_hLN4vllm18Fp8KVCacheDataTypeE1EDF16_Li16ELi128ELi256ELb1ELi2EL8MFMAType1EEvPKT_PKT0_S8_ifPKiSA_SA_iPKfiiiPfSD_PS3_PT2_iSC_SC_,@object ; @__PRETTY_FUNCTION__._Z39paged_attention_ll4mi_QKV_mfma16_kernelIDF16_hLN4vllm18Fp8KVCacheDataTypeE1EDF16_Li16ELi128ELi256ELb1ELi2EL8MFMAType1EEvPKT_PKT0_S8_ifPKiSA_SA_iPKfiiiPfSD_PS3_PT2_iSC_SC_
__PRETTY_FUNCTION__._Z39paged_attention_ll4mi_QKV_mfma16_kernelIDF16_hLN4vllm18Fp8KVCacheDataTypeE1EDF16_Li16ELi128ELi256ELb1ELi2EL8MFMAType1EEvPKT_PKT0_S8_ifPKiSA_SA_iPKfiiiPfSD_PS3_PT2_iSC_SC_:
	.asciz	"void paged_attention_ll4mi_QKV_mfma16_kernel(const scalar_t *__restrict, const cache_t *__restrict, const cache_t *__restrict, const int, const float, const int *__restrict, const int *__restrict, const int *__restrict, const int, const float *__restrict, const int, const int, const int, float *__restrict, float *__restrict, scalar_t *__restrict, OUTT *__restrict, int, const float *, const float *) [scalar_t = _Float16, cache_t = unsigned char, KV_DTYPE = vllm::Fp8KVCacheDataType::kFp8E4M3, OUTT = _Float16, BLOCK_SIZE = 16, HEAD_SIZE = 128, NUM_THREADS = 256, ALIBI_ENABLED = true, GQA_RATIO = 2, MFMA_TYPE = MFMAType::Fp8]"
	.size	__PRETTY_FUNCTION__._Z39paged_attention_ll4mi_QKV_mfma16_kernelIDF16_hLN4vllm18Fp8KVCacheDataTypeE1EDF16_Li16ELi128ELi256ELb1ELi2EL8MFMAType1EEvPKT_PKT0_S8_ifPKiSA_SA_iPKfiiiPfSD_PS3_PT2_iSC_SC_, 630

	.type	__PRETTY_FUNCTION__._Z39paged_attention_ll4mi_QKV_mfma16_kernelIDF16_hLN4vllm18Fp8KVCacheDataTypeE1EDF16_Li16ELi128ELi256ELb1ELi3EL8MFMAType1EEvPKT_PKT0_S8_ifPKiSA_SA_iPKfiiiPfSD_PS3_PT2_iSC_SC_,@object ; @__PRETTY_FUNCTION__._Z39paged_attention_ll4mi_QKV_mfma16_kernelIDF16_hLN4vllm18Fp8KVCacheDataTypeE1EDF16_Li16ELi128ELi256ELb1ELi3EL8MFMAType1EEvPKT_PKT0_S8_ifPKiSA_SA_iPKfiiiPfSD_PS3_PT2_iSC_SC_
__PRETTY_FUNCTION__._Z39paged_attention_ll4mi_QKV_mfma16_kernelIDF16_hLN4vllm18Fp8KVCacheDataTypeE1EDF16_Li16ELi128ELi256ELb1ELi3EL8MFMAType1EEvPKT_PKT0_S8_ifPKiSA_SA_iPKfiiiPfSD_PS3_PT2_iSC_SC_:
	.asciz	"void paged_attention_ll4mi_QKV_mfma16_kernel(const scalar_t *__restrict, const cache_t *__restrict, const cache_t *__restrict, const int, const float, const int *__restrict, const int *__restrict, const int *__restrict, const int, const float *__restrict, const int, const int, const int, float *__restrict, float *__restrict, scalar_t *__restrict, OUTT *__restrict, int, const float *, const float *) [scalar_t = _Float16, cache_t = unsigned char, KV_DTYPE = vllm::Fp8KVCacheDataType::kFp8E4M3, OUTT = _Float16, BLOCK_SIZE = 16, HEAD_SIZE = 128, NUM_THREADS = 256, ALIBI_ENABLED = true, GQA_RATIO = 3, MFMA_TYPE = MFMAType::Fp8]"
	.size	__PRETTY_FUNCTION__._Z39paged_attention_ll4mi_QKV_mfma16_kernelIDF16_hLN4vllm18Fp8KVCacheDataTypeE1EDF16_Li16ELi128ELi256ELb1ELi3EL8MFMAType1EEvPKT_PKT0_S8_ifPKiSA_SA_iPKfiiiPfSD_PS3_PT2_iSC_SC_, 630

	.type	__PRETTY_FUNCTION__._Z39paged_attention_ll4mi_QKV_mfma16_kernelIDF16_hLN4vllm18Fp8KVCacheDataTypeE1EDF16_Li16ELi128ELi256ELb1ELi4EL8MFMAType1EEvPKT_PKT0_S8_ifPKiSA_SA_iPKfiiiPfSD_PS3_PT2_iSC_SC_,@object ; @__PRETTY_FUNCTION__._Z39paged_attention_ll4mi_QKV_mfma16_kernelIDF16_hLN4vllm18Fp8KVCacheDataTypeE1EDF16_Li16ELi128ELi256ELb1ELi4EL8MFMAType1EEvPKT_PKT0_S8_ifPKiSA_SA_iPKfiiiPfSD_PS3_PT2_iSC_SC_
__PRETTY_FUNCTION__._Z39paged_attention_ll4mi_QKV_mfma16_kernelIDF16_hLN4vllm18Fp8KVCacheDataTypeE1EDF16_Li16ELi128ELi256ELb1ELi4EL8MFMAType1EEvPKT_PKT0_S8_ifPKiSA_SA_iPKfiiiPfSD_PS3_PT2_iSC_SC_:
	.asciz	"void paged_attention_ll4mi_QKV_mfma16_kernel(const scalar_t *__restrict, const cache_t *__restrict, const cache_t *__restrict, const int, const float, const int *__restrict, const int *__restrict, const int *__restrict, const int, const float *__restrict, const int, const int, const int, float *__restrict, float *__restrict, scalar_t *__restrict, OUTT *__restrict, int, const float *, const float *) [scalar_t = _Float16, cache_t = unsigned char, KV_DTYPE = vllm::Fp8KVCacheDataType::kFp8E4M3, OUTT = _Float16, BLOCK_SIZE = 16, HEAD_SIZE = 128, NUM_THREADS = 256, ALIBI_ENABLED = true, GQA_RATIO = 4, MFMA_TYPE = MFMAType::Fp8]"
	.size	__PRETTY_FUNCTION__._Z39paged_attention_ll4mi_QKV_mfma16_kernelIDF16_hLN4vllm18Fp8KVCacheDataTypeE1EDF16_Li16ELi128ELi256ELb1ELi4EL8MFMAType1EEvPKT_PKT0_S8_ifPKiSA_SA_iPKfiiiPfSD_PS3_PT2_iSC_SC_, 630

	.type	__PRETTY_FUNCTION__._Z39paged_attention_ll4mi_QKV_mfma16_kernelIDF16_hLN4vllm18Fp8KVCacheDataTypeE1EDF16_Li16ELi128ELi256ELb0ELi5EL8MFMAType1EEvPKT_PKT0_S8_ifPKiSA_SA_iPKfiiiPfSD_PS3_PT2_iSC_SC_,@object ; @__PRETTY_FUNCTION__._Z39paged_attention_ll4mi_QKV_mfma16_kernelIDF16_hLN4vllm18Fp8KVCacheDataTypeE1EDF16_Li16ELi128ELi256ELb0ELi5EL8MFMAType1EEvPKT_PKT0_S8_ifPKiSA_SA_iPKfiiiPfSD_PS3_PT2_iSC_SC_
__PRETTY_FUNCTION__._Z39paged_attention_ll4mi_QKV_mfma16_kernelIDF16_hLN4vllm18Fp8KVCacheDataTypeE1EDF16_Li16ELi128ELi256ELb0ELi5EL8MFMAType1EEvPKT_PKT0_S8_ifPKiSA_SA_iPKfiiiPfSD_PS3_PT2_iSC_SC_:
	.asciz	"void paged_attention_ll4mi_QKV_mfma16_kernel(const scalar_t *__restrict, const cache_t *__restrict, const cache_t *__restrict, const int, const float, const int *__restrict, const int *__restrict, const int *__restrict, const int, const float *__restrict, const int, const int, const int, float *__restrict, float *__restrict, scalar_t *__restrict, OUTT *__restrict, int, const float *, const float *) [scalar_t = _Float16, cache_t = unsigned char, KV_DTYPE = vllm::Fp8KVCacheDataType::kFp8E4M3, OUTT = _Float16, BLOCK_SIZE = 16, HEAD_SIZE = 128, NUM_THREADS = 256, ALIBI_ENABLED = false, GQA_RATIO = 5, MFMA_TYPE = MFMAType::Fp8]"
	.size	__PRETTY_FUNCTION__._Z39paged_attention_ll4mi_QKV_mfma16_kernelIDF16_hLN4vllm18Fp8KVCacheDataTypeE1EDF16_Li16ELi128ELi256ELb0ELi5EL8MFMAType1EEvPKT_PKT0_S8_ifPKiSA_SA_iPKfiiiPfSD_PS3_PT2_iSC_SC_, 631

	.type	__PRETTY_FUNCTION__._Z39paged_attention_ll4mi_QKV_mfma16_kernelIDF16_hLN4vllm18Fp8KVCacheDataTypeE1EDF16_Li16ELi128ELi256ELb0ELi6EL8MFMAType1EEvPKT_PKT0_S8_ifPKiSA_SA_iPKfiiiPfSD_PS3_PT2_iSC_SC_,@object ; @__PRETTY_FUNCTION__._Z39paged_attention_ll4mi_QKV_mfma16_kernelIDF16_hLN4vllm18Fp8KVCacheDataTypeE1EDF16_Li16ELi128ELi256ELb0ELi6EL8MFMAType1EEvPKT_PKT0_S8_ifPKiSA_SA_iPKfiiiPfSD_PS3_PT2_iSC_SC_
__PRETTY_FUNCTION__._Z39paged_attention_ll4mi_QKV_mfma16_kernelIDF16_hLN4vllm18Fp8KVCacheDataTypeE1EDF16_Li16ELi128ELi256ELb0ELi6EL8MFMAType1EEvPKT_PKT0_S8_ifPKiSA_SA_iPKfiiiPfSD_PS3_PT2_iSC_SC_:
	.asciz	"void paged_attention_ll4mi_QKV_mfma16_kernel(const scalar_t *__restrict, const cache_t *__restrict, const cache_t *__restrict, const int, const float, const int *__restrict, const int *__restrict, const int *__restrict, const int, const float *__restrict, const int, const int, const int, float *__restrict, float *__restrict, scalar_t *__restrict, OUTT *__restrict, int, const float *, const float *) [scalar_t = _Float16, cache_t = unsigned char, KV_DTYPE = vllm::Fp8KVCacheDataType::kFp8E4M3, OUTT = _Float16, BLOCK_SIZE = 16, HEAD_SIZE = 128, NUM_THREADS = 256, ALIBI_ENABLED = false, GQA_RATIO = 6, MFMA_TYPE = MFMAType::Fp8]"
	.size	__PRETTY_FUNCTION__._Z39paged_attention_ll4mi_QKV_mfma16_kernelIDF16_hLN4vllm18Fp8KVCacheDataTypeE1EDF16_Li16ELi128ELi256ELb0ELi6EL8MFMAType1EEvPKT_PKT0_S8_ifPKiSA_SA_iPKfiiiPfSD_PS3_PT2_iSC_SC_, 631

	.type	__PRETTY_FUNCTION__._Z39paged_attention_ll4mi_QKV_mfma16_kernelIDF16_hLN4vllm18Fp8KVCacheDataTypeE1EDF16_Li16ELi128ELi256ELb0ELi7EL8MFMAType1EEvPKT_PKT0_S8_ifPKiSA_SA_iPKfiiiPfSD_PS3_PT2_iSC_SC_,@object ; @__PRETTY_FUNCTION__._Z39paged_attention_ll4mi_QKV_mfma16_kernelIDF16_hLN4vllm18Fp8KVCacheDataTypeE1EDF16_Li16ELi128ELi256ELb0ELi7EL8MFMAType1EEvPKT_PKT0_S8_ifPKiSA_SA_iPKfiiiPfSD_PS3_PT2_iSC_SC_
__PRETTY_FUNCTION__._Z39paged_attention_ll4mi_QKV_mfma16_kernelIDF16_hLN4vllm18Fp8KVCacheDataTypeE1EDF16_Li16ELi128ELi256ELb0ELi7EL8MFMAType1EEvPKT_PKT0_S8_ifPKiSA_SA_iPKfiiiPfSD_PS3_PT2_iSC_SC_:
	.asciz	"void paged_attention_ll4mi_QKV_mfma16_kernel(const scalar_t *__restrict, const cache_t *__restrict, const cache_t *__restrict, const int, const float, const int *__restrict, const int *__restrict, const int *__restrict, const int, const float *__restrict, const int, const int, const int, float *__restrict, float *__restrict, scalar_t *__restrict, OUTT *__restrict, int, const float *, const float *) [scalar_t = _Float16, cache_t = unsigned char, KV_DTYPE = vllm::Fp8KVCacheDataType::kFp8E4M3, OUTT = _Float16, BLOCK_SIZE = 16, HEAD_SIZE = 128, NUM_THREADS = 256, ALIBI_ENABLED = false, GQA_RATIO = 7, MFMA_TYPE = MFMAType::Fp8]"
	.size	__PRETTY_FUNCTION__._Z39paged_attention_ll4mi_QKV_mfma16_kernelIDF16_hLN4vllm18Fp8KVCacheDataTypeE1EDF16_Li16ELi128ELi256ELb0ELi7EL8MFMAType1EEvPKT_PKT0_S8_ifPKiSA_SA_iPKfiiiPfSD_PS3_PT2_iSC_SC_, 631

	.type	__PRETTY_FUNCTION__._Z39paged_attention_ll4mi_QKV_mfma16_kernelIDF16_hLN4vllm18Fp8KVCacheDataTypeE1EDF16_Li16ELi128ELi256ELb0ELi8EL8MFMAType1EEvPKT_PKT0_S8_ifPKiSA_SA_iPKfiiiPfSD_PS3_PT2_iSC_SC_,@object ; @__PRETTY_FUNCTION__._Z39paged_attention_ll4mi_QKV_mfma16_kernelIDF16_hLN4vllm18Fp8KVCacheDataTypeE1EDF16_Li16ELi128ELi256ELb0ELi8EL8MFMAType1EEvPKT_PKT0_S8_ifPKiSA_SA_iPKfiiiPfSD_PS3_PT2_iSC_SC_
__PRETTY_FUNCTION__._Z39paged_attention_ll4mi_QKV_mfma16_kernelIDF16_hLN4vllm18Fp8KVCacheDataTypeE1EDF16_Li16ELi128ELi256ELb0ELi8EL8MFMAType1EEvPKT_PKT0_S8_ifPKiSA_SA_iPKfiiiPfSD_PS3_PT2_iSC_SC_:
	.asciz	"void paged_attention_ll4mi_QKV_mfma16_kernel(const scalar_t *__restrict, const cache_t *__restrict, const cache_t *__restrict, const int, const float, const int *__restrict, const int *__restrict, const int *__restrict, const int, const float *__restrict, const int, const int, const int, float *__restrict, float *__restrict, scalar_t *__restrict, OUTT *__restrict, int, const float *, const float *) [scalar_t = _Float16, cache_t = unsigned char, KV_DTYPE = vllm::Fp8KVCacheDataType::kFp8E4M3, OUTT = _Float16, BLOCK_SIZE = 16, HEAD_SIZE = 128, NUM_THREADS = 256, ALIBI_ENABLED = false, GQA_RATIO = 8, MFMA_TYPE = MFMAType::Fp8]"
	.size	__PRETTY_FUNCTION__._Z39paged_attention_ll4mi_QKV_mfma16_kernelIDF16_hLN4vllm18Fp8KVCacheDataTypeE1EDF16_Li16ELi128ELi256ELb0ELi8EL8MFMAType1EEvPKT_PKT0_S8_ifPKiSA_SA_iPKfiiiPfSD_PS3_PT2_iSC_SC_, 631

	.type	__PRETTY_FUNCTION__._Z39paged_attention_ll4mi_QKV_mfma16_kernelIDF16_hLN4vllm18Fp8KVCacheDataTypeE1EDF16_Li16ELi128ELi256ELb0ELi9EL8MFMAType1EEvPKT_PKT0_S8_ifPKiSA_SA_iPKfiiiPfSD_PS3_PT2_iSC_SC_,@object ; @__PRETTY_FUNCTION__._Z39paged_attention_ll4mi_QKV_mfma16_kernelIDF16_hLN4vllm18Fp8KVCacheDataTypeE1EDF16_Li16ELi128ELi256ELb0ELi9EL8MFMAType1EEvPKT_PKT0_S8_ifPKiSA_SA_iPKfiiiPfSD_PS3_PT2_iSC_SC_
__PRETTY_FUNCTION__._Z39paged_attention_ll4mi_QKV_mfma16_kernelIDF16_hLN4vllm18Fp8KVCacheDataTypeE1EDF16_Li16ELi128ELi256ELb0ELi9EL8MFMAType1EEvPKT_PKT0_S8_ifPKiSA_SA_iPKfiiiPfSD_PS3_PT2_iSC_SC_:
	.asciz	"void paged_attention_ll4mi_QKV_mfma16_kernel(const scalar_t *__restrict, const cache_t *__restrict, const cache_t *__restrict, const int, const float, const int *__restrict, const int *__restrict, const int *__restrict, const int, const float *__restrict, const int, const int, const int, float *__restrict, float *__restrict, scalar_t *__restrict, OUTT *__restrict, int, const float *, const float *) [scalar_t = _Float16, cache_t = unsigned char, KV_DTYPE = vllm::Fp8KVCacheDataType::kFp8E4M3, OUTT = _Float16, BLOCK_SIZE = 16, HEAD_SIZE = 128, NUM_THREADS = 256, ALIBI_ENABLED = false, GQA_RATIO = 9, MFMA_TYPE = MFMAType::Fp8]"
	.size	__PRETTY_FUNCTION__._Z39paged_attention_ll4mi_QKV_mfma16_kernelIDF16_hLN4vllm18Fp8KVCacheDataTypeE1EDF16_Li16ELi128ELi256ELb0ELi9EL8MFMAType1EEvPKT_PKT0_S8_ifPKiSA_SA_iPKfiiiPfSD_PS3_PT2_iSC_SC_, 631

	.type	__PRETTY_FUNCTION__._Z39paged_attention_ll4mi_QKV_mfma16_kernelIDF16_hLN4vllm18Fp8KVCacheDataTypeE1EDF16_Li16ELi128ELi256ELb0ELi10EL8MFMAType1EEvPKT_PKT0_S8_ifPKiSA_SA_iPKfiiiPfSD_PS3_PT2_iSC_SC_,@object ; @__PRETTY_FUNCTION__._Z39paged_attention_ll4mi_QKV_mfma16_kernelIDF16_hLN4vllm18Fp8KVCacheDataTypeE1EDF16_Li16ELi128ELi256ELb0ELi10EL8MFMAType1EEvPKT_PKT0_S8_ifPKiSA_SA_iPKfiiiPfSD_PS3_PT2_iSC_SC_
__PRETTY_FUNCTION__._Z39paged_attention_ll4mi_QKV_mfma16_kernelIDF16_hLN4vllm18Fp8KVCacheDataTypeE1EDF16_Li16ELi128ELi256ELb0ELi10EL8MFMAType1EEvPKT_PKT0_S8_ifPKiSA_SA_iPKfiiiPfSD_PS3_PT2_iSC_SC_:
	.asciz	"void paged_attention_ll4mi_QKV_mfma16_kernel(const scalar_t *__restrict, const cache_t *__restrict, const cache_t *__restrict, const int, const float, const int *__restrict, const int *__restrict, const int *__restrict, const int, const float *__restrict, const int, const int, const int, float *__restrict, float *__restrict, scalar_t *__restrict, OUTT *__restrict, int, const float *, const float *) [scalar_t = _Float16, cache_t = unsigned char, KV_DTYPE = vllm::Fp8KVCacheDataType::kFp8E4M3, OUTT = _Float16, BLOCK_SIZE = 16, HEAD_SIZE = 128, NUM_THREADS = 256, ALIBI_ENABLED = false, GQA_RATIO = 10, MFMA_TYPE = MFMAType::Fp8]"
	.size	__PRETTY_FUNCTION__._Z39paged_attention_ll4mi_QKV_mfma16_kernelIDF16_hLN4vllm18Fp8KVCacheDataTypeE1EDF16_Li16ELi128ELi256ELb0ELi10EL8MFMAType1EEvPKT_PKT0_S8_ifPKiSA_SA_iPKfiiiPfSD_PS3_PT2_iSC_SC_, 632

	.type	__PRETTY_FUNCTION__._Z39paged_attention_ll4mi_QKV_mfma16_kernelIDF16_hLN4vllm18Fp8KVCacheDataTypeE1EDF16_Li16ELi128ELi256ELb0ELi11EL8MFMAType1EEvPKT_PKT0_S8_ifPKiSA_SA_iPKfiiiPfSD_PS3_PT2_iSC_SC_,@object ; @__PRETTY_FUNCTION__._Z39paged_attention_ll4mi_QKV_mfma16_kernelIDF16_hLN4vllm18Fp8KVCacheDataTypeE1EDF16_Li16ELi128ELi256ELb0ELi11EL8MFMAType1EEvPKT_PKT0_S8_ifPKiSA_SA_iPKfiiiPfSD_PS3_PT2_iSC_SC_
__PRETTY_FUNCTION__._Z39paged_attention_ll4mi_QKV_mfma16_kernelIDF16_hLN4vllm18Fp8KVCacheDataTypeE1EDF16_Li16ELi128ELi256ELb0ELi11EL8MFMAType1EEvPKT_PKT0_S8_ifPKiSA_SA_iPKfiiiPfSD_PS3_PT2_iSC_SC_:
	.asciz	"void paged_attention_ll4mi_QKV_mfma16_kernel(const scalar_t *__restrict, const cache_t *__restrict, const cache_t *__restrict, const int, const float, const int *__restrict, const int *__restrict, const int *__restrict, const int, const float *__restrict, const int, const int, const int, float *__restrict, float *__restrict, scalar_t *__restrict, OUTT *__restrict, int, const float *, const float *) [scalar_t = _Float16, cache_t = unsigned char, KV_DTYPE = vllm::Fp8KVCacheDataType::kFp8E4M3, OUTT = _Float16, BLOCK_SIZE = 16, HEAD_SIZE = 128, NUM_THREADS = 256, ALIBI_ENABLED = false, GQA_RATIO = 11, MFMA_TYPE = MFMAType::Fp8]"
	.size	__PRETTY_FUNCTION__._Z39paged_attention_ll4mi_QKV_mfma16_kernelIDF16_hLN4vllm18Fp8KVCacheDataTypeE1EDF16_Li16ELi128ELi256ELb0ELi11EL8MFMAType1EEvPKT_PKT0_S8_ifPKiSA_SA_iPKfiiiPfSD_PS3_PT2_iSC_SC_, 632

	.type	__PRETTY_FUNCTION__._Z39paged_attention_ll4mi_QKV_mfma16_kernelIDF16_hLN4vllm18Fp8KVCacheDataTypeE1EDF16_Li16ELi128ELi256ELb0ELi12EL8MFMAType1EEvPKT_PKT0_S8_ifPKiSA_SA_iPKfiiiPfSD_PS3_PT2_iSC_SC_,@object ; @__PRETTY_FUNCTION__._Z39paged_attention_ll4mi_QKV_mfma16_kernelIDF16_hLN4vllm18Fp8KVCacheDataTypeE1EDF16_Li16ELi128ELi256ELb0ELi12EL8MFMAType1EEvPKT_PKT0_S8_ifPKiSA_SA_iPKfiiiPfSD_PS3_PT2_iSC_SC_
__PRETTY_FUNCTION__._Z39paged_attention_ll4mi_QKV_mfma16_kernelIDF16_hLN4vllm18Fp8KVCacheDataTypeE1EDF16_Li16ELi128ELi256ELb0ELi12EL8MFMAType1EEvPKT_PKT0_S8_ifPKiSA_SA_iPKfiiiPfSD_PS3_PT2_iSC_SC_:
	.asciz	"void paged_attention_ll4mi_QKV_mfma16_kernel(const scalar_t *__restrict, const cache_t *__restrict, const cache_t *__restrict, const int, const float, const int *__restrict, const int *__restrict, const int *__restrict, const int, const float *__restrict, const int, const int, const int, float *__restrict, float *__restrict, scalar_t *__restrict, OUTT *__restrict, int, const float *, const float *) [scalar_t = _Float16, cache_t = unsigned char, KV_DTYPE = vllm::Fp8KVCacheDataType::kFp8E4M3, OUTT = _Float16, BLOCK_SIZE = 16, HEAD_SIZE = 128, NUM_THREADS = 256, ALIBI_ENABLED = false, GQA_RATIO = 12, MFMA_TYPE = MFMAType::Fp8]"
	.size	__PRETTY_FUNCTION__._Z39paged_attention_ll4mi_QKV_mfma16_kernelIDF16_hLN4vllm18Fp8KVCacheDataTypeE1EDF16_Li16ELi128ELi256ELb0ELi12EL8MFMAType1EEvPKT_PKT0_S8_ifPKiSA_SA_iPKfiiiPfSD_PS3_PT2_iSC_SC_, 632

	.type	__PRETTY_FUNCTION__._Z39paged_attention_ll4mi_QKV_mfma16_kernelIDF16_hLN4vllm18Fp8KVCacheDataTypeE1EDF16_Li16ELi128ELi256ELb0ELi13EL8MFMAType1EEvPKT_PKT0_S8_ifPKiSA_SA_iPKfiiiPfSD_PS3_PT2_iSC_SC_,@object ; @__PRETTY_FUNCTION__._Z39paged_attention_ll4mi_QKV_mfma16_kernelIDF16_hLN4vllm18Fp8KVCacheDataTypeE1EDF16_Li16ELi128ELi256ELb0ELi13EL8MFMAType1EEvPKT_PKT0_S8_ifPKiSA_SA_iPKfiiiPfSD_PS3_PT2_iSC_SC_
__PRETTY_FUNCTION__._Z39paged_attention_ll4mi_QKV_mfma16_kernelIDF16_hLN4vllm18Fp8KVCacheDataTypeE1EDF16_Li16ELi128ELi256ELb0ELi13EL8MFMAType1EEvPKT_PKT0_S8_ifPKiSA_SA_iPKfiiiPfSD_PS3_PT2_iSC_SC_:
	.asciz	"void paged_attention_ll4mi_QKV_mfma16_kernel(const scalar_t *__restrict, const cache_t *__restrict, const cache_t *__restrict, const int, const float, const int *__restrict, const int *__restrict, const int *__restrict, const int, const float *__restrict, const int, const int, const int, float *__restrict, float *__restrict, scalar_t *__restrict, OUTT *__restrict, int, const float *, const float *) [scalar_t = _Float16, cache_t = unsigned char, KV_DTYPE = vllm::Fp8KVCacheDataType::kFp8E4M3, OUTT = _Float16, BLOCK_SIZE = 16, HEAD_SIZE = 128, NUM_THREADS = 256, ALIBI_ENABLED = false, GQA_RATIO = 13, MFMA_TYPE = MFMAType::Fp8]"
	.size	__PRETTY_FUNCTION__._Z39paged_attention_ll4mi_QKV_mfma16_kernelIDF16_hLN4vllm18Fp8KVCacheDataTypeE1EDF16_Li16ELi128ELi256ELb0ELi13EL8MFMAType1EEvPKT_PKT0_S8_ifPKiSA_SA_iPKfiiiPfSD_PS3_PT2_iSC_SC_, 632

	.type	__PRETTY_FUNCTION__._Z39paged_attention_ll4mi_QKV_mfma16_kernelIDF16_hLN4vllm18Fp8KVCacheDataTypeE1EDF16_Li16ELi128ELi256ELb0ELi14EL8MFMAType1EEvPKT_PKT0_S8_ifPKiSA_SA_iPKfiiiPfSD_PS3_PT2_iSC_SC_,@object ; @__PRETTY_FUNCTION__._Z39paged_attention_ll4mi_QKV_mfma16_kernelIDF16_hLN4vllm18Fp8KVCacheDataTypeE1EDF16_Li16ELi128ELi256ELb0ELi14EL8MFMAType1EEvPKT_PKT0_S8_ifPKiSA_SA_iPKfiiiPfSD_PS3_PT2_iSC_SC_
__PRETTY_FUNCTION__._Z39paged_attention_ll4mi_QKV_mfma16_kernelIDF16_hLN4vllm18Fp8KVCacheDataTypeE1EDF16_Li16ELi128ELi256ELb0ELi14EL8MFMAType1EEvPKT_PKT0_S8_ifPKiSA_SA_iPKfiiiPfSD_PS3_PT2_iSC_SC_:
	.asciz	"void paged_attention_ll4mi_QKV_mfma16_kernel(const scalar_t *__restrict, const cache_t *__restrict, const cache_t *__restrict, const int, const float, const int *__restrict, const int *__restrict, const int *__restrict, const int, const float *__restrict, const int, const int, const int, float *__restrict, float *__restrict, scalar_t *__restrict, OUTT *__restrict, int, const float *, const float *) [scalar_t = _Float16, cache_t = unsigned char, KV_DTYPE = vllm::Fp8KVCacheDataType::kFp8E4M3, OUTT = _Float16, BLOCK_SIZE = 16, HEAD_SIZE = 128, NUM_THREADS = 256, ALIBI_ENABLED = false, GQA_RATIO = 14, MFMA_TYPE = MFMAType::Fp8]"
	.size	__PRETTY_FUNCTION__._Z39paged_attention_ll4mi_QKV_mfma16_kernelIDF16_hLN4vllm18Fp8KVCacheDataTypeE1EDF16_Li16ELi128ELi256ELb0ELi14EL8MFMAType1EEvPKT_PKT0_S8_ifPKiSA_SA_iPKfiiiPfSD_PS3_PT2_iSC_SC_, 632

	.type	__PRETTY_FUNCTION__._Z39paged_attention_ll4mi_QKV_mfma16_kernelIDF16_hLN4vllm18Fp8KVCacheDataTypeE1EDF16_Li16ELi128ELi256ELb0ELi15EL8MFMAType1EEvPKT_PKT0_S8_ifPKiSA_SA_iPKfiiiPfSD_PS3_PT2_iSC_SC_,@object ; @__PRETTY_FUNCTION__._Z39paged_attention_ll4mi_QKV_mfma16_kernelIDF16_hLN4vllm18Fp8KVCacheDataTypeE1EDF16_Li16ELi128ELi256ELb0ELi15EL8MFMAType1EEvPKT_PKT0_S8_ifPKiSA_SA_iPKfiiiPfSD_PS3_PT2_iSC_SC_
__PRETTY_FUNCTION__._Z39paged_attention_ll4mi_QKV_mfma16_kernelIDF16_hLN4vllm18Fp8KVCacheDataTypeE1EDF16_Li16ELi128ELi256ELb0ELi15EL8MFMAType1EEvPKT_PKT0_S8_ifPKiSA_SA_iPKfiiiPfSD_PS3_PT2_iSC_SC_:
	.asciz	"void paged_attention_ll4mi_QKV_mfma16_kernel(const scalar_t *__restrict, const cache_t *__restrict, const cache_t *__restrict, const int, const float, const int *__restrict, const int *__restrict, const int *__restrict, const int, const float *__restrict, const int, const int, const int, float *__restrict, float *__restrict, scalar_t *__restrict, OUTT *__restrict, int, const float *, const float *) [scalar_t = _Float16, cache_t = unsigned char, KV_DTYPE = vllm::Fp8KVCacheDataType::kFp8E4M3, OUTT = _Float16, BLOCK_SIZE = 16, HEAD_SIZE = 128, NUM_THREADS = 256, ALIBI_ENABLED = false, GQA_RATIO = 15, MFMA_TYPE = MFMAType::Fp8]"
	.size	__PRETTY_FUNCTION__._Z39paged_attention_ll4mi_QKV_mfma16_kernelIDF16_hLN4vllm18Fp8KVCacheDataTypeE1EDF16_Li16ELi128ELi256ELb0ELi15EL8MFMAType1EEvPKT_PKT0_S8_ifPKiSA_SA_iPKfiiiPfSD_PS3_PT2_iSC_SC_, 632

	.type	__PRETTY_FUNCTION__._Z39paged_attention_ll4mi_QKV_mfma16_kernelIDF16_hLN4vllm18Fp8KVCacheDataTypeE1EDF16_Li16ELi128ELi256ELb0ELi16EL8MFMAType1EEvPKT_PKT0_S8_ifPKiSA_SA_iPKfiiiPfSD_PS3_PT2_iSC_SC_,@object ; @__PRETTY_FUNCTION__._Z39paged_attention_ll4mi_QKV_mfma16_kernelIDF16_hLN4vllm18Fp8KVCacheDataTypeE1EDF16_Li16ELi128ELi256ELb0ELi16EL8MFMAType1EEvPKT_PKT0_S8_ifPKiSA_SA_iPKfiiiPfSD_PS3_PT2_iSC_SC_
__PRETTY_FUNCTION__._Z39paged_attention_ll4mi_QKV_mfma16_kernelIDF16_hLN4vllm18Fp8KVCacheDataTypeE1EDF16_Li16ELi128ELi256ELb0ELi16EL8MFMAType1EEvPKT_PKT0_S8_ifPKiSA_SA_iPKfiiiPfSD_PS3_PT2_iSC_SC_:
	.asciz	"void paged_attention_ll4mi_QKV_mfma16_kernel(const scalar_t *__restrict, const cache_t *__restrict, const cache_t *__restrict, const int, const float, const int *__restrict, const int *__restrict, const int *__restrict, const int, const float *__restrict, const int, const int, const int, float *__restrict, float *__restrict, scalar_t *__restrict, OUTT *__restrict, int, const float *, const float *) [scalar_t = _Float16, cache_t = unsigned char, KV_DTYPE = vllm::Fp8KVCacheDataType::kFp8E4M3, OUTT = _Float16, BLOCK_SIZE = 16, HEAD_SIZE = 128, NUM_THREADS = 256, ALIBI_ENABLED = false, GQA_RATIO = 16, MFMA_TYPE = MFMAType::Fp8]"
	.size	__PRETTY_FUNCTION__._Z39paged_attention_ll4mi_QKV_mfma16_kernelIDF16_hLN4vllm18Fp8KVCacheDataTypeE1EDF16_Li16ELi128ELi256ELb0ELi16EL8MFMAType1EEvPKT_PKT0_S8_ifPKiSA_SA_iPKfiiiPfSD_PS3_PT2_iSC_SC_, 632

	.type	__PRETTY_FUNCTION__._Z39paged_attention_ll4mi_QKV_mfma16_kernelIDF16_hLN4vllm18Fp8KVCacheDataTypeE1EDF16_Li16ELi128ELi256ELb0ELi1EL8MFMAType1EEvPKT_PKT0_S8_ifPKiSA_SA_iPKfiiiPfSD_PS3_PT2_iSC_SC_,@object ; @__PRETTY_FUNCTION__._Z39paged_attention_ll4mi_QKV_mfma16_kernelIDF16_hLN4vllm18Fp8KVCacheDataTypeE1EDF16_Li16ELi128ELi256ELb0ELi1EL8MFMAType1EEvPKT_PKT0_S8_ifPKiSA_SA_iPKfiiiPfSD_PS3_PT2_iSC_SC_
__PRETTY_FUNCTION__._Z39paged_attention_ll4mi_QKV_mfma16_kernelIDF16_hLN4vllm18Fp8KVCacheDataTypeE1EDF16_Li16ELi128ELi256ELb0ELi1EL8MFMAType1EEvPKT_PKT0_S8_ifPKiSA_SA_iPKfiiiPfSD_PS3_PT2_iSC_SC_:
	.asciz	"void paged_attention_ll4mi_QKV_mfma16_kernel(const scalar_t *__restrict, const cache_t *__restrict, const cache_t *__restrict, const int, const float, const int *__restrict, const int *__restrict, const int *__restrict, const int, const float *__restrict, const int, const int, const int, float *__restrict, float *__restrict, scalar_t *__restrict, OUTT *__restrict, int, const float *, const float *) [scalar_t = _Float16, cache_t = unsigned char, KV_DTYPE = vllm::Fp8KVCacheDataType::kFp8E4M3, OUTT = _Float16, BLOCK_SIZE = 16, HEAD_SIZE = 128, NUM_THREADS = 256, ALIBI_ENABLED = false, GQA_RATIO = 1, MFMA_TYPE = MFMAType::Fp8]"
	.size	__PRETTY_FUNCTION__._Z39paged_attention_ll4mi_QKV_mfma16_kernelIDF16_hLN4vllm18Fp8KVCacheDataTypeE1EDF16_Li16ELi128ELi256ELb0ELi1EL8MFMAType1EEvPKT_PKT0_S8_ifPKiSA_SA_iPKfiiiPfSD_PS3_PT2_iSC_SC_, 631

	.type	__PRETTY_FUNCTION__._Z39paged_attention_ll4mi_QKV_mfma16_kernelIDF16_hLN4vllm18Fp8KVCacheDataTypeE1EDF16_Li16ELi128ELi256ELb0ELi2EL8MFMAType1EEvPKT_PKT0_S8_ifPKiSA_SA_iPKfiiiPfSD_PS3_PT2_iSC_SC_,@object ; @__PRETTY_FUNCTION__._Z39paged_attention_ll4mi_QKV_mfma16_kernelIDF16_hLN4vllm18Fp8KVCacheDataTypeE1EDF16_Li16ELi128ELi256ELb0ELi2EL8MFMAType1EEvPKT_PKT0_S8_ifPKiSA_SA_iPKfiiiPfSD_PS3_PT2_iSC_SC_
__PRETTY_FUNCTION__._Z39paged_attention_ll4mi_QKV_mfma16_kernelIDF16_hLN4vllm18Fp8KVCacheDataTypeE1EDF16_Li16ELi128ELi256ELb0ELi2EL8MFMAType1EEvPKT_PKT0_S8_ifPKiSA_SA_iPKfiiiPfSD_PS3_PT2_iSC_SC_:
	.asciz	"void paged_attention_ll4mi_QKV_mfma16_kernel(const scalar_t *__restrict, const cache_t *__restrict, const cache_t *__restrict, const int, const float, const int *__restrict, const int *__restrict, const int *__restrict, const int, const float *__restrict, const int, const int, const int, float *__restrict, float *__restrict, scalar_t *__restrict, OUTT *__restrict, int, const float *, const float *) [scalar_t = _Float16, cache_t = unsigned char, KV_DTYPE = vllm::Fp8KVCacheDataType::kFp8E4M3, OUTT = _Float16, BLOCK_SIZE = 16, HEAD_SIZE = 128, NUM_THREADS = 256, ALIBI_ENABLED = false, GQA_RATIO = 2, MFMA_TYPE = MFMAType::Fp8]"
	.size	__PRETTY_FUNCTION__._Z39paged_attention_ll4mi_QKV_mfma16_kernelIDF16_hLN4vllm18Fp8KVCacheDataTypeE1EDF16_Li16ELi128ELi256ELb0ELi2EL8MFMAType1EEvPKT_PKT0_S8_ifPKiSA_SA_iPKfiiiPfSD_PS3_PT2_iSC_SC_, 631

	.type	__PRETTY_FUNCTION__._Z39paged_attention_ll4mi_QKV_mfma16_kernelIDF16_hLN4vllm18Fp8KVCacheDataTypeE1EDF16_Li16ELi128ELi256ELb0ELi3EL8MFMAType1EEvPKT_PKT0_S8_ifPKiSA_SA_iPKfiiiPfSD_PS3_PT2_iSC_SC_,@object ; @__PRETTY_FUNCTION__._Z39paged_attention_ll4mi_QKV_mfma16_kernelIDF16_hLN4vllm18Fp8KVCacheDataTypeE1EDF16_Li16ELi128ELi256ELb0ELi3EL8MFMAType1EEvPKT_PKT0_S8_ifPKiSA_SA_iPKfiiiPfSD_PS3_PT2_iSC_SC_
__PRETTY_FUNCTION__._Z39paged_attention_ll4mi_QKV_mfma16_kernelIDF16_hLN4vllm18Fp8KVCacheDataTypeE1EDF16_Li16ELi128ELi256ELb0ELi3EL8MFMAType1EEvPKT_PKT0_S8_ifPKiSA_SA_iPKfiiiPfSD_PS3_PT2_iSC_SC_:
	.asciz	"void paged_attention_ll4mi_QKV_mfma16_kernel(const scalar_t *__restrict, const cache_t *__restrict, const cache_t *__restrict, const int, const float, const int *__restrict, const int *__restrict, const int *__restrict, const int, const float *__restrict, const int, const int, const int, float *__restrict, float *__restrict, scalar_t *__restrict, OUTT *__restrict, int, const float *, const float *) [scalar_t = _Float16, cache_t = unsigned char, KV_DTYPE = vllm::Fp8KVCacheDataType::kFp8E4M3, OUTT = _Float16, BLOCK_SIZE = 16, HEAD_SIZE = 128, NUM_THREADS = 256, ALIBI_ENABLED = false, GQA_RATIO = 3, MFMA_TYPE = MFMAType::Fp8]"
	.size	__PRETTY_FUNCTION__._Z39paged_attention_ll4mi_QKV_mfma16_kernelIDF16_hLN4vllm18Fp8KVCacheDataTypeE1EDF16_Li16ELi128ELi256ELb0ELi3EL8MFMAType1EEvPKT_PKT0_S8_ifPKiSA_SA_iPKfiiiPfSD_PS3_PT2_iSC_SC_, 631

	.type	__PRETTY_FUNCTION__._Z39paged_attention_ll4mi_QKV_mfma16_kernelIDF16_hLN4vllm18Fp8KVCacheDataTypeE1EDF16_Li16ELi128ELi256ELb0ELi4EL8MFMAType1EEvPKT_PKT0_S8_ifPKiSA_SA_iPKfiiiPfSD_PS3_PT2_iSC_SC_,@object ; @__PRETTY_FUNCTION__._Z39paged_attention_ll4mi_QKV_mfma16_kernelIDF16_hLN4vllm18Fp8KVCacheDataTypeE1EDF16_Li16ELi128ELi256ELb0ELi4EL8MFMAType1EEvPKT_PKT0_S8_ifPKiSA_SA_iPKfiiiPfSD_PS3_PT2_iSC_SC_
__PRETTY_FUNCTION__._Z39paged_attention_ll4mi_QKV_mfma16_kernelIDF16_hLN4vllm18Fp8KVCacheDataTypeE1EDF16_Li16ELi128ELi256ELb0ELi4EL8MFMAType1EEvPKT_PKT0_S8_ifPKiSA_SA_iPKfiiiPfSD_PS3_PT2_iSC_SC_:
	.asciz	"void paged_attention_ll4mi_QKV_mfma16_kernel(const scalar_t *__restrict, const cache_t *__restrict, const cache_t *__restrict, const int, const float, const int *__restrict, const int *__restrict, const int *__restrict, const int, const float *__restrict, const int, const int, const int, float *__restrict, float *__restrict, scalar_t *__restrict, OUTT *__restrict, int, const float *, const float *) [scalar_t = _Float16, cache_t = unsigned char, KV_DTYPE = vllm::Fp8KVCacheDataType::kFp8E4M3, OUTT = _Float16, BLOCK_SIZE = 16, HEAD_SIZE = 128, NUM_THREADS = 256, ALIBI_ENABLED = false, GQA_RATIO = 4, MFMA_TYPE = MFMAType::Fp8]"
	.size	__PRETTY_FUNCTION__._Z39paged_attention_ll4mi_QKV_mfma16_kernelIDF16_hLN4vllm18Fp8KVCacheDataTypeE1EDF16_Li16ELi128ELi256ELb0ELi4EL8MFMAType1EEvPKT_PKT0_S8_ifPKiSA_SA_iPKfiiiPfSD_PS3_PT2_iSC_SC_, 631

	.type	__PRETTY_FUNCTION__._Z39paged_attention_ll4mi_QKV_mfma16_kernelIDF16_hLN4vllm18Fp8KVCacheDataTypeE1EDF16_Li32ELi128ELi256ELb1ELi5EL8MFMAType1EEvPKT_PKT0_S8_ifPKiSA_SA_iPKfiiiPfSD_PS3_PT2_iSC_SC_,@object ; @__PRETTY_FUNCTION__._Z39paged_attention_ll4mi_QKV_mfma16_kernelIDF16_hLN4vllm18Fp8KVCacheDataTypeE1EDF16_Li32ELi128ELi256ELb1ELi5EL8MFMAType1EEvPKT_PKT0_S8_ifPKiSA_SA_iPKfiiiPfSD_PS3_PT2_iSC_SC_
__PRETTY_FUNCTION__._Z39paged_attention_ll4mi_QKV_mfma16_kernelIDF16_hLN4vllm18Fp8KVCacheDataTypeE1EDF16_Li32ELi128ELi256ELb1ELi5EL8MFMAType1EEvPKT_PKT0_S8_ifPKiSA_SA_iPKfiiiPfSD_PS3_PT2_iSC_SC_:
	.asciz	"void paged_attention_ll4mi_QKV_mfma16_kernel(const scalar_t *__restrict, const cache_t *__restrict, const cache_t *__restrict, const int, const float, const int *__restrict, const int *__restrict, const int *__restrict, const int, const float *__restrict, const int, const int, const int, float *__restrict, float *__restrict, scalar_t *__restrict, OUTT *__restrict, int, const float *, const float *) [scalar_t = _Float16, cache_t = unsigned char, KV_DTYPE = vllm::Fp8KVCacheDataType::kFp8E4M3, OUTT = _Float16, BLOCK_SIZE = 32, HEAD_SIZE = 128, NUM_THREADS = 256, ALIBI_ENABLED = true, GQA_RATIO = 5, MFMA_TYPE = MFMAType::Fp8]"
	.size	__PRETTY_FUNCTION__._Z39paged_attention_ll4mi_QKV_mfma16_kernelIDF16_hLN4vllm18Fp8KVCacheDataTypeE1EDF16_Li32ELi128ELi256ELb1ELi5EL8MFMAType1EEvPKT_PKT0_S8_ifPKiSA_SA_iPKfiiiPfSD_PS3_PT2_iSC_SC_, 630

	.type	__PRETTY_FUNCTION__._Z39paged_attention_ll4mi_QKV_mfma16_kernelIDF16_hLN4vllm18Fp8KVCacheDataTypeE1EDF16_Li32ELi128ELi256ELb1ELi6EL8MFMAType1EEvPKT_PKT0_S8_ifPKiSA_SA_iPKfiiiPfSD_PS3_PT2_iSC_SC_,@object ; @__PRETTY_FUNCTION__._Z39paged_attention_ll4mi_QKV_mfma16_kernelIDF16_hLN4vllm18Fp8KVCacheDataTypeE1EDF16_Li32ELi128ELi256ELb1ELi6EL8MFMAType1EEvPKT_PKT0_S8_ifPKiSA_SA_iPKfiiiPfSD_PS3_PT2_iSC_SC_
__PRETTY_FUNCTION__._Z39paged_attention_ll4mi_QKV_mfma16_kernelIDF16_hLN4vllm18Fp8KVCacheDataTypeE1EDF16_Li32ELi128ELi256ELb1ELi6EL8MFMAType1EEvPKT_PKT0_S8_ifPKiSA_SA_iPKfiiiPfSD_PS3_PT2_iSC_SC_:
	.asciz	"void paged_attention_ll4mi_QKV_mfma16_kernel(const scalar_t *__restrict, const cache_t *__restrict, const cache_t *__restrict, const int, const float, const int *__restrict, const int *__restrict, const int *__restrict, const int, const float *__restrict, const int, const int, const int, float *__restrict, float *__restrict, scalar_t *__restrict, OUTT *__restrict, int, const float *, const float *) [scalar_t = _Float16, cache_t = unsigned char, KV_DTYPE = vllm::Fp8KVCacheDataType::kFp8E4M3, OUTT = _Float16, BLOCK_SIZE = 32, HEAD_SIZE = 128, NUM_THREADS = 256, ALIBI_ENABLED = true, GQA_RATIO = 6, MFMA_TYPE = MFMAType::Fp8]"
	.size	__PRETTY_FUNCTION__._Z39paged_attention_ll4mi_QKV_mfma16_kernelIDF16_hLN4vllm18Fp8KVCacheDataTypeE1EDF16_Li32ELi128ELi256ELb1ELi6EL8MFMAType1EEvPKT_PKT0_S8_ifPKiSA_SA_iPKfiiiPfSD_PS3_PT2_iSC_SC_, 630

	.type	__PRETTY_FUNCTION__._Z39paged_attention_ll4mi_QKV_mfma16_kernelIDF16_hLN4vllm18Fp8KVCacheDataTypeE1EDF16_Li32ELi128ELi256ELb1ELi7EL8MFMAType1EEvPKT_PKT0_S8_ifPKiSA_SA_iPKfiiiPfSD_PS3_PT2_iSC_SC_,@object ; @__PRETTY_FUNCTION__._Z39paged_attention_ll4mi_QKV_mfma16_kernelIDF16_hLN4vllm18Fp8KVCacheDataTypeE1EDF16_Li32ELi128ELi256ELb1ELi7EL8MFMAType1EEvPKT_PKT0_S8_ifPKiSA_SA_iPKfiiiPfSD_PS3_PT2_iSC_SC_
__PRETTY_FUNCTION__._Z39paged_attention_ll4mi_QKV_mfma16_kernelIDF16_hLN4vllm18Fp8KVCacheDataTypeE1EDF16_Li32ELi128ELi256ELb1ELi7EL8MFMAType1EEvPKT_PKT0_S8_ifPKiSA_SA_iPKfiiiPfSD_PS3_PT2_iSC_SC_:
	.asciz	"void paged_attention_ll4mi_QKV_mfma16_kernel(const scalar_t *__restrict, const cache_t *__restrict, const cache_t *__restrict, const int, const float, const int *__restrict, const int *__restrict, const int *__restrict, const int, const float *__restrict, const int, const int, const int, float *__restrict, float *__restrict, scalar_t *__restrict, OUTT *__restrict, int, const float *, const float *) [scalar_t = _Float16, cache_t = unsigned char, KV_DTYPE = vllm::Fp8KVCacheDataType::kFp8E4M3, OUTT = _Float16, BLOCK_SIZE = 32, HEAD_SIZE = 128, NUM_THREADS = 256, ALIBI_ENABLED = true, GQA_RATIO = 7, MFMA_TYPE = MFMAType::Fp8]"
	.size	__PRETTY_FUNCTION__._Z39paged_attention_ll4mi_QKV_mfma16_kernelIDF16_hLN4vllm18Fp8KVCacheDataTypeE1EDF16_Li32ELi128ELi256ELb1ELi7EL8MFMAType1EEvPKT_PKT0_S8_ifPKiSA_SA_iPKfiiiPfSD_PS3_PT2_iSC_SC_, 630

	.type	__PRETTY_FUNCTION__._Z39paged_attention_ll4mi_QKV_mfma16_kernelIDF16_hLN4vllm18Fp8KVCacheDataTypeE1EDF16_Li32ELi128ELi256ELb1ELi8EL8MFMAType1EEvPKT_PKT0_S8_ifPKiSA_SA_iPKfiiiPfSD_PS3_PT2_iSC_SC_,@object ; @__PRETTY_FUNCTION__._Z39paged_attention_ll4mi_QKV_mfma16_kernelIDF16_hLN4vllm18Fp8KVCacheDataTypeE1EDF16_Li32ELi128ELi256ELb1ELi8EL8MFMAType1EEvPKT_PKT0_S8_ifPKiSA_SA_iPKfiiiPfSD_PS3_PT2_iSC_SC_
__PRETTY_FUNCTION__._Z39paged_attention_ll4mi_QKV_mfma16_kernelIDF16_hLN4vllm18Fp8KVCacheDataTypeE1EDF16_Li32ELi128ELi256ELb1ELi8EL8MFMAType1EEvPKT_PKT0_S8_ifPKiSA_SA_iPKfiiiPfSD_PS3_PT2_iSC_SC_:
	.asciz	"void paged_attention_ll4mi_QKV_mfma16_kernel(const scalar_t *__restrict, const cache_t *__restrict, const cache_t *__restrict, const int, const float, const int *__restrict, const int *__restrict, const int *__restrict, const int, const float *__restrict, const int, const int, const int, float *__restrict, float *__restrict, scalar_t *__restrict, OUTT *__restrict, int, const float *, const float *) [scalar_t = _Float16, cache_t = unsigned char, KV_DTYPE = vllm::Fp8KVCacheDataType::kFp8E4M3, OUTT = _Float16, BLOCK_SIZE = 32, HEAD_SIZE = 128, NUM_THREADS = 256, ALIBI_ENABLED = true, GQA_RATIO = 8, MFMA_TYPE = MFMAType::Fp8]"
	.size	__PRETTY_FUNCTION__._Z39paged_attention_ll4mi_QKV_mfma16_kernelIDF16_hLN4vllm18Fp8KVCacheDataTypeE1EDF16_Li32ELi128ELi256ELb1ELi8EL8MFMAType1EEvPKT_PKT0_S8_ifPKiSA_SA_iPKfiiiPfSD_PS3_PT2_iSC_SC_, 630

	.type	__PRETTY_FUNCTION__._Z39paged_attention_ll4mi_QKV_mfma16_kernelIDF16_hLN4vllm18Fp8KVCacheDataTypeE1EDF16_Li32ELi128ELi256ELb1ELi9EL8MFMAType1EEvPKT_PKT0_S8_ifPKiSA_SA_iPKfiiiPfSD_PS3_PT2_iSC_SC_,@object ; @__PRETTY_FUNCTION__._Z39paged_attention_ll4mi_QKV_mfma16_kernelIDF16_hLN4vllm18Fp8KVCacheDataTypeE1EDF16_Li32ELi128ELi256ELb1ELi9EL8MFMAType1EEvPKT_PKT0_S8_ifPKiSA_SA_iPKfiiiPfSD_PS3_PT2_iSC_SC_
__PRETTY_FUNCTION__._Z39paged_attention_ll4mi_QKV_mfma16_kernelIDF16_hLN4vllm18Fp8KVCacheDataTypeE1EDF16_Li32ELi128ELi256ELb1ELi9EL8MFMAType1EEvPKT_PKT0_S8_ifPKiSA_SA_iPKfiiiPfSD_PS3_PT2_iSC_SC_:
	.asciz	"void paged_attention_ll4mi_QKV_mfma16_kernel(const scalar_t *__restrict, const cache_t *__restrict, const cache_t *__restrict, const int, const float, const int *__restrict, const int *__restrict, const int *__restrict, const int, const float *__restrict, const int, const int, const int, float *__restrict, float *__restrict, scalar_t *__restrict, OUTT *__restrict, int, const float *, const float *) [scalar_t = _Float16, cache_t = unsigned char, KV_DTYPE = vllm::Fp8KVCacheDataType::kFp8E4M3, OUTT = _Float16, BLOCK_SIZE = 32, HEAD_SIZE = 128, NUM_THREADS = 256, ALIBI_ENABLED = true, GQA_RATIO = 9, MFMA_TYPE = MFMAType::Fp8]"
	.size	__PRETTY_FUNCTION__._Z39paged_attention_ll4mi_QKV_mfma16_kernelIDF16_hLN4vllm18Fp8KVCacheDataTypeE1EDF16_Li32ELi128ELi256ELb1ELi9EL8MFMAType1EEvPKT_PKT0_S8_ifPKiSA_SA_iPKfiiiPfSD_PS3_PT2_iSC_SC_, 630

	.type	__PRETTY_FUNCTION__._Z39paged_attention_ll4mi_QKV_mfma16_kernelIDF16_hLN4vllm18Fp8KVCacheDataTypeE1EDF16_Li32ELi128ELi256ELb1ELi10EL8MFMAType1EEvPKT_PKT0_S8_ifPKiSA_SA_iPKfiiiPfSD_PS3_PT2_iSC_SC_,@object ; @__PRETTY_FUNCTION__._Z39paged_attention_ll4mi_QKV_mfma16_kernelIDF16_hLN4vllm18Fp8KVCacheDataTypeE1EDF16_Li32ELi128ELi256ELb1ELi10EL8MFMAType1EEvPKT_PKT0_S8_ifPKiSA_SA_iPKfiiiPfSD_PS3_PT2_iSC_SC_
__PRETTY_FUNCTION__._Z39paged_attention_ll4mi_QKV_mfma16_kernelIDF16_hLN4vllm18Fp8KVCacheDataTypeE1EDF16_Li32ELi128ELi256ELb1ELi10EL8MFMAType1EEvPKT_PKT0_S8_ifPKiSA_SA_iPKfiiiPfSD_PS3_PT2_iSC_SC_:
	.asciz	"void paged_attention_ll4mi_QKV_mfma16_kernel(const scalar_t *__restrict, const cache_t *__restrict, const cache_t *__restrict, const int, const float, const int *__restrict, const int *__restrict, const int *__restrict, const int, const float *__restrict, const int, const int, const int, float *__restrict, float *__restrict, scalar_t *__restrict, OUTT *__restrict, int, const float *, const float *) [scalar_t = _Float16, cache_t = unsigned char, KV_DTYPE = vllm::Fp8KVCacheDataType::kFp8E4M3, OUTT = _Float16, BLOCK_SIZE = 32, HEAD_SIZE = 128, NUM_THREADS = 256, ALIBI_ENABLED = true, GQA_RATIO = 10, MFMA_TYPE = MFMAType::Fp8]"
	.size	__PRETTY_FUNCTION__._Z39paged_attention_ll4mi_QKV_mfma16_kernelIDF16_hLN4vllm18Fp8KVCacheDataTypeE1EDF16_Li32ELi128ELi256ELb1ELi10EL8MFMAType1EEvPKT_PKT0_S8_ifPKiSA_SA_iPKfiiiPfSD_PS3_PT2_iSC_SC_, 631

	.type	__PRETTY_FUNCTION__._Z39paged_attention_ll4mi_QKV_mfma16_kernelIDF16_hLN4vllm18Fp8KVCacheDataTypeE1EDF16_Li32ELi128ELi256ELb1ELi11EL8MFMAType1EEvPKT_PKT0_S8_ifPKiSA_SA_iPKfiiiPfSD_PS3_PT2_iSC_SC_,@object ; @__PRETTY_FUNCTION__._Z39paged_attention_ll4mi_QKV_mfma16_kernelIDF16_hLN4vllm18Fp8KVCacheDataTypeE1EDF16_Li32ELi128ELi256ELb1ELi11EL8MFMAType1EEvPKT_PKT0_S8_ifPKiSA_SA_iPKfiiiPfSD_PS3_PT2_iSC_SC_
__PRETTY_FUNCTION__._Z39paged_attention_ll4mi_QKV_mfma16_kernelIDF16_hLN4vllm18Fp8KVCacheDataTypeE1EDF16_Li32ELi128ELi256ELb1ELi11EL8MFMAType1EEvPKT_PKT0_S8_ifPKiSA_SA_iPKfiiiPfSD_PS3_PT2_iSC_SC_:
	.asciz	"void paged_attention_ll4mi_QKV_mfma16_kernel(const scalar_t *__restrict, const cache_t *__restrict, const cache_t *__restrict, const int, const float, const int *__restrict, const int *__restrict, const int *__restrict, const int, const float *__restrict, const int, const int, const int, float *__restrict, float *__restrict, scalar_t *__restrict, OUTT *__restrict, int, const float *, const float *) [scalar_t = _Float16, cache_t = unsigned char, KV_DTYPE = vllm::Fp8KVCacheDataType::kFp8E4M3, OUTT = _Float16, BLOCK_SIZE = 32, HEAD_SIZE = 128, NUM_THREADS = 256, ALIBI_ENABLED = true, GQA_RATIO = 11, MFMA_TYPE = MFMAType::Fp8]"
	.size	__PRETTY_FUNCTION__._Z39paged_attention_ll4mi_QKV_mfma16_kernelIDF16_hLN4vllm18Fp8KVCacheDataTypeE1EDF16_Li32ELi128ELi256ELb1ELi11EL8MFMAType1EEvPKT_PKT0_S8_ifPKiSA_SA_iPKfiiiPfSD_PS3_PT2_iSC_SC_, 631

	.type	__PRETTY_FUNCTION__._Z39paged_attention_ll4mi_QKV_mfma16_kernelIDF16_hLN4vllm18Fp8KVCacheDataTypeE1EDF16_Li32ELi128ELi256ELb1ELi12EL8MFMAType1EEvPKT_PKT0_S8_ifPKiSA_SA_iPKfiiiPfSD_PS3_PT2_iSC_SC_,@object ; @__PRETTY_FUNCTION__._Z39paged_attention_ll4mi_QKV_mfma16_kernelIDF16_hLN4vllm18Fp8KVCacheDataTypeE1EDF16_Li32ELi128ELi256ELb1ELi12EL8MFMAType1EEvPKT_PKT0_S8_ifPKiSA_SA_iPKfiiiPfSD_PS3_PT2_iSC_SC_
__PRETTY_FUNCTION__._Z39paged_attention_ll4mi_QKV_mfma16_kernelIDF16_hLN4vllm18Fp8KVCacheDataTypeE1EDF16_Li32ELi128ELi256ELb1ELi12EL8MFMAType1EEvPKT_PKT0_S8_ifPKiSA_SA_iPKfiiiPfSD_PS3_PT2_iSC_SC_:
	.asciz	"void paged_attention_ll4mi_QKV_mfma16_kernel(const scalar_t *__restrict, const cache_t *__restrict, const cache_t *__restrict, const int, const float, const int *__restrict, const int *__restrict, const int *__restrict, const int, const float *__restrict, const int, const int, const int, float *__restrict, float *__restrict, scalar_t *__restrict, OUTT *__restrict, int, const float *, const float *) [scalar_t = _Float16, cache_t = unsigned char, KV_DTYPE = vllm::Fp8KVCacheDataType::kFp8E4M3, OUTT = _Float16, BLOCK_SIZE = 32, HEAD_SIZE = 128, NUM_THREADS = 256, ALIBI_ENABLED = true, GQA_RATIO = 12, MFMA_TYPE = MFMAType::Fp8]"
	.size	__PRETTY_FUNCTION__._Z39paged_attention_ll4mi_QKV_mfma16_kernelIDF16_hLN4vllm18Fp8KVCacheDataTypeE1EDF16_Li32ELi128ELi256ELb1ELi12EL8MFMAType1EEvPKT_PKT0_S8_ifPKiSA_SA_iPKfiiiPfSD_PS3_PT2_iSC_SC_, 631

	.type	__PRETTY_FUNCTION__._Z39paged_attention_ll4mi_QKV_mfma16_kernelIDF16_hLN4vllm18Fp8KVCacheDataTypeE1EDF16_Li32ELi128ELi256ELb1ELi13EL8MFMAType1EEvPKT_PKT0_S8_ifPKiSA_SA_iPKfiiiPfSD_PS3_PT2_iSC_SC_,@object ; @__PRETTY_FUNCTION__._Z39paged_attention_ll4mi_QKV_mfma16_kernelIDF16_hLN4vllm18Fp8KVCacheDataTypeE1EDF16_Li32ELi128ELi256ELb1ELi13EL8MFMAType1EEvPKT_PKT0_S8_ifPKiSA_SA_iPKfiiiPfSD_PS3_PT2_iSC_SC_
__PRETTY_FUNCTION__._Z39paged_attention_ll4mi_QKV_mfma16_kernelIDF16_hLN4vllm18Fp8KVCacheDataTypeE1EDF16_Li32ELi128ELi256ELb1ELi13EL8MFMAType1EEvPKT_PKT0_S8_ifPKiSA_SA_iPKfiiiPfSD_PS3_PT2_iSC_SC_:
	.asciz	"void paged_attention_ll4mi_QKV_mfma16_kernel(const scalar_t *__restrict, const cache_t *__restrict, const cache_t *__restrict, const int, const float, const int *__restrict, const int *__restrict, const int *__restrict, const int, const float *__restrict, const int, const int, const int, float *__restrict, float *__restrict, scalar_t *__restrict, OUTT *__restrict, int, const float *, const float *) [scalar_t = _Float16, cache_t = unsigned char, KV_DTYPE = vllm::Fp8KVCacheDataType::kFp8E4M3, OUTT = _Float16, BLOCK_SIZE = 32, HEAD_SIZE = 128, NUM_THREADS = 256, ALIBI_ENABLED = true, GQA_RATIO = 13, MFMA_TYPE = MFMAType::Fp8]"
	.size	__PRETTY_FUNCTION__._Z39paged_attention_ll4mi_QKV_mfma16_kernelIDF16_hLN4vllm18Fp8KVCacheDataTypeE1EDF16_Li32ELi128ELi256ELb1ELi13EL8MFMAType1EEvPKT_PKT0_S8_ifPKiSA_SA_iPKfiiiPfSD_PS3_PT2_iSC_SC_, 631

	.type	__PRETTY_FUNCTION__._Z39paged_attention_ll4mi_QKV_mfma16_kernelIDF16_hLN4vllm18Fp8KVCacheDataTypeE1EDF16_Li32ELi128ELi256ELb1ELi14EL8MFMAType1EEvPKT_PKT0_S8_ifPKiSA_SA_iPKfiiiPfSD_PS3_PT2_iSC_SC_,@object ; @__PRETTY_FUNCTION__._Z39paged_attention_ll4mi_QKV_mfma16_kernelIDF16_hLN4vllm18Fp8KVCacheDataTypeE1EDF16_Li32ELi128ELi256ELb1ELi14EL8MFMAType1EEvPKT_PKT0_S8_ifPKiSA_SA_iPKfiiiPfSD_PS3_PT2_iSC_SC_
__PRETTY_FUNCTION__._Z39paged_attention_ll4mi_QKV_mfma16_kernelIDF16_hLN4vllm18Fp8KVCacheDataTypeE1EDF16_Li32ELi128ELi256ELb1ELi14EL8MFMAType1EEvPKT_PKT0_S8_ifPKiSA_SA_iPKfiiiPfSD_PS3_PT2_iSC_SC_:
	.asciz	"void paged_attention_ll4mi_QKV_mfma16_kernel(const scalar_t *__restrict, const cache_t *__restrict, const cache_t *__restrict, const int, const float, const int *__restrict, const int *__restrict, const int *__restrict, const int, const float *__restrict, const int, const int, const int, float *__restrict, float *__restrict, scalar_t *__restrict, OUTT *__restrict, int, const float *, const float *) [scalar_t = _Float16, cache_t = unsigned char, KV_DTYPE = vllm::Fp8KVCacheDataType::kFp8E4M3, OUTT = _Float16, BLOCK_SIZE = 32, HEAD_SIZE = 128, NUM_THREADS = 256, ALIBI_ENABLED = true, GQA_RATIO = 14, MFMA_TYPE = MFMAType::Fp8]"
	.size	__PRETTY_FUNCTION__._Z39paged_attention_ll4mi_QKV_mfma16_kernelIDF16_hLN4vllm18Fp8KVCacheDataTypeE1EDF16_Li32ELi128ELi256ELb1ELi14EL8MFMAType1EEvPKT_PKT0_S8_ifPKiSA_SA_iPKfiiiPfSD_PS3_PT2_iSC_SC_, 631

	.type	__PRETTY_FUNCTION__._Z39paged_attention_ll4mi_QKV_mfma16_kernelIDF16_hLN4vllm18Fp8KVCacheDataTypeE1EDF16_Li32ELi128ELi256ELb1ELi15EL8MFMAType1EEvPKT_PKT0_S8_ifPKiSA_SA_iPKfiiiPfSD_PS3_PT2_iSC_SC_,@object ; @__PRETTY_FUNCTION__._Z39paged_attention_ll4mi_QKV_mfma16_kernelIDF16_hLN4vllm18Fp8KVCacheDataTypeE1EDF16_Li32ELi128ELi256ELb1ELi15EL8MFMAType1EEvPKT_PKT0_S8_ifPKiSA_SA_iPKfiiiPfSD_PS3_PT2_iSC_SC_
__PRETTY_FUNCTION__._Z39paged_attention_ll4mi_QKV_mfma16_kernelIDF16_hLN4vllm18Fp8KVCacheDataTypeE1EDF16_Li32ELi128ELi256ELb1ELi15EL8MFMAType1EEvPKT_PKT0_S8_ifPKiSA_SA_iPKfiiiPfSD_PS3_PT2_iSC_SC_:
	.asciz	"void paged_attention_ll4mi_QKV_mfma16_kernel(const scalar_t *__restrict, const cache_t *__restrict, const cache_t *__restrict, const int, const float, const int *__restrict, const int *__restrict, const int *__restrict, const int, const float *__restrict, const int, const int, const int, float *__restrict, float *__restrict, scalar_t *__restrict, OUTT *__restrict, int, const float *, const float *) [scalar_t = _Float16, cache_t = unsigned char, KV_DTYPE = vllm::Fp8KVCacheDataType::kFp8E4M3, OUTT = _Float16, BLOCK_SIZE = 32, HEAD_SIZE = 128, NUM_THREADS = 256, ALIBI_ENABLED = true, GQA_RATIO = 15, MFMA_TYPE = MFMAType::Fp8]"
	.size	__PRETTY_FUNCTION__._Z39paged_attention_ll4mi_QKV_mfma16_kernelIDF16_hLN4vllm18Fp8KVCacheDataTypeE1EDF16_Li32ELi128ELi256ELb1ELi15EL8MFMAType1EEvPKT_PKT0_S8_ifPKiSA_SA_iPKfiiiPfSD_PS3_PT2_iSC_SC_, 631

	.type	__PRETTY_FUNCTION__._Z39paged_attention_ll4mi_QKV_mfma16_kernelIDF16_hLN4vllm18Fp8KVCacheDataTypeE1EDF16_Li32ELi128ELi256ELb1ELi16EL8MFMAType1EEvPKT_PKT0_S8_ifPKiSA_SA_iPKfiiiPfSD_PS3_PT2_iSC_SC_,@object ; @__PRETTY_FUNCTION__._Z39paged_attention_ll4mi_QKV_mfma16_kernelIDF16_hLN4vllm18Fp8KVCacheDataTypeE1EDF16_Li32ELi128ELi256ELb1ELi16EL8MFMAType1EEvPKT_PKT0_S8_ifPKiSA_SA_iPKfiiiPfSD_PS3_PT2_iSC_SC_
__PRETTY_FUNCTION__._Z39paged_attention_ll4mi_QKV_mfma16_kernelIDF16_hLN4vllm18Fp8KVCacheDataTypeE1EDF16_Li32ELi128ELi256ELb1ELi16EL8MFMAType1EEvPKT_PKT0_S8_ifPKiSA_SA_iPKfiiiPfSD_PS3_PT2_iSC_SC_:
	.asciz	"void paged_attention_ll4mi_QKV_mfma16_kernel(const scalar_t *__restrict, const cache_t *__restrict, const cache_t *__restrict, const int, const float, const int *__restrict, const int *__restrict, const int *__restrict, const int, const float *__restrict, const int, const int, const int, float *__restrict, float *__restrict, scalar_t *__restrict, OUTT *__restrict, int, const float *, const float *) [scalar_t = _Float16, cache_t = unsigned char, KV_DTYPE = vllm::Fp8KVCacheDataType::kFp8E4M3, OUTT = _Float16, BLOCK_SIZE = 32, HEAD_SIZE = 128, NUM_THREADS = 256, ALIBI_ENABLED = true, GQA_RATIO = 16, MFMA_TYPE = MFMAType::Fp8]"
	.size	__PRETTY_FUNCTION__._Z39paged_attention_ll4mi_QKV_mfma16_kernelIDF16_hLN4vllm18Fp8KVCacheDataTypeE1EDF16_Li32ELi128ELi256ELb1ELi16EL8MFMAType1EEvPKT_PKT0_S8_ifPKiSA_SA_iPKfiiiPfSD_PS3_PT2_iSC_SC_, 631

	.type	__PRETTY_FUNCTION__._Z39paged_attention_ll4mi_QKV_mfma16_kernelIDF16_hLN4vllm18Fp8KVCacheDataTypeE1EDF16_Li32ELi128ELi256ELb1ELi1EL8MFMAType1EEvPKT_PKT0_S8_ifPKiSA_SA_iPKfiiiPfSD_PS3_PT2_iSC_SC_,@object ; @__PRETTY_FUNCTION__._Z39paged_attention_ll4mi_QKV_mfma16_kernelIDF16_hLN4vllm18Fp8KVCacheDataTypeE1EDF16_Li32ELi128ELi256ELb1ELi1EL8MFMAType1EEvPKT_PKT0_S8_ifPKiSA_SA_iPKfiiiPfSD_PS3_PT2_iSC_SC_
__PRETTY_FUNCTION__._Z39paged_attention_ll4mi_QKV_mfma16_kernelIDF16_hLN4vllm18Fp8KVCacheDataTypeE1EDF16_Li32ELi128ELi256ELb1ELi1EL8MFMAType1EEvPKT_PKT0_S8_ifPKiSA_SA_iPKfiiiPfSD_PS3_PT2_iSC_SC_:
	.asciz	"void paged_attention_ll4mi_QKV_mfma16_kernel(const scalar_t *__restrict, const cache_t *__restrict, const cache_t *__restrict, const int, const float, const int *__restrict, const int *__restrict, const int *__restrict, const int, const float *__restrict, const int, const int, const int, float *__restrict, float *__restrict, scalar_t *__restrict, OUTT *__restrict, int, const float *, const float *) [scalar_t = _Float16, cache_t = unsigned char, KV_DTYPE = vllm::Fp8KVCacheDataType::kFp8E4M3, OUTT = _Float16, BLOCK_SIZE = 32, HEAD_SIZE = 128, NUM_THREADS = 256, ALIBI_ENABLED = true, GQA_RATIO = 1, MFMA_TYPE = MFMAType::Fp8]"
	.size	__PRETTY_FUNCTION__._Z39paged_attention_ll4mi_QKV_mfma16_kernelIDF16_hLN4vllm18Fp8KVCacheDataTypeE1EDF16_Li32ELi128ELi256ELb1ELi1EL8MFMAType1EEvPKT_PKT0_S8_ifPKiSA_SA_iPKfiiiPfSD_PS3_PT2_iSC_SC_, 630

	.type	__PRETTY_FUNCTION__._Z39paged_attention_ll4mi_QKV_mfma16_kernelIDF16_hLN4vllm18Fp8KVCacheDataTypeE1EDF16_Li32ELi128ELi256ELb1ELi2EL8MFMAType1EEvPKT_PKT0_S8_ifPKiSA_SA_iPKfiiiPfSD_PS3_PT2_iSC_SC_,@object ; @__PRETTY_FUNCTION__._Z39paged_attention_ll4mi_QKV_mfma16_kernelIDF16_hLN4vllm18Fp8KVCacheDataTypeE1EDF16_Li32ELi128ELi256ELb1ELi2EL8MFMAType1EEvPKT_PKT0_S8_ifPKiSA_SA_iPKfiiiPfSD_PS3_PT2_iSC_SC_
__PRETTY_FUNCTION__._Z39paged_attention_ll4mi_QKV_mfma16_kernelIDF16_hLN4vllm18Fp8KVCacheDataTypeE1EDF16_Li32ELi128ELi256ELb1ELi2EL8MFMAType1EEvPKT_PKT0_S8_ifPKiSA_SA_iPKfiiiPfSD_PS3_PT2_iSC_SC_:
	.asciz	"void paged_attention_ll4mi_QKV_mfma16_kernel(const scalar_t *__restrict, const cache_t *__restrict, const cache_t *__restrict, const int, const float, const int *__restrict, const int *__restrict, const int *__restrict, const int, const float *__restrict, const int, const int, const int, float *__restrict, float *__restrict, scalar_t *__restrict, OUTT *__restrict, int, const float *, const float *) [scalar_t = _Float16, cache_t = unsigned char, KV_DTYPE = vllm::Fp8KVCacheDataType::kFp8E4M3, OUTT = _Float16, BLOCK_SIZE = 32, HEAD_SIZE = 128, NUM_THREADS = 256, ALIBI_ENABLED = true, GQA_RATIO = 2, MFMA_TYPE = MFMAType::Fp8]"
	.size	__PRETTY_FUNCTION__._Z39paged_attention_ll4mi_QKV_mfma16_kernelIDF16_hLN4vllm18Fp8KVCacheDataTypeE1EDF16_Li32ELi128ELi256ELb1ELi2EL8MFMAType1EEvPKT_PKT0_S8_ifPKiSA_SA_iPKfiiiPfSD_PS3_PT2_iSC_SC_, 630

	.type	__PRETTY_FUNCTION__._Z39paged_attention_ll4mi_QKV_mfma16_kernelIDF16_hLN4vllm18Fp8KVCacheDataTypeE1EDF16_Li32ELi128ELi256ELb1ELi3EL8MFMAType1EEvPKT_PKT0_S8_ifPKiSA_SA_iPKfiiiPfSD_PS3_PT2_iSC_SC_,@object ; @__PRETTY_FUNCTION__._Z39paged_attention_ll4mi_QKV_mfma16_kernelIDF16_hLN4vllm18Fp8KVCacheDataTypeE1EDF16_Li32ELi128ELi256ELb1ELi3EL8MFMAType1EEvPKT_PKT0_S8_ifPKiSA_SA_iPKfiiiPfSD_PS3_PT2_iSC_SC_
__PRETTY_FUNCTION__._Z39paged_attention_ll4mi_QKV_mfma16_kernelIDF16_hLN4vllm18Fp8KVCacheDataTypeE1EDF16_Li32ELi128ELi256ELb1ELi3EL8MFMAType1EEvPKT_PKT0_S8_ifPKiSA_SA_iPKfiiiPfSD_PS3_PT2_iSC_SC_:
	.asciz	"void paged_attention_ll4mi_QKV_mfma16_kernel(const scalar_t *__restrict, const cache_t *__restrict, const cache_t *__restrict, const int, const float, const int *__restrict, const int *__restrict, const int *__restrict, const int, const float *__restrict, const int, const int, const int, float *__restrict, float *__restrict, scalar_t *__restrict, OUTT *__restrict, int, const float *, const float *) [scalar_t = _Float16, cache_t = unsigned char, KV_DTYPE = vllm::Fp8KVCacheDataType::kFp8E4M3, OUTT = _Float16, BLOCK_SIZE = 32, HEAD_SIZE = 128, NUM_THREADS = 256, ALIBI_ENABLED = true, GQA_RATIO = 3, MFMA_TYPE = MFMAType::Fp8]"
	.size	__PRETTY_FUNCTION__._Z39paged_attention_ll4mi_QKV_mfma16_kernelIDF16_hLN4vllm18Fp8KVCacheDataTypeE1EDF16_Li32ELi128ELi256ELb1ELi3EL8MFMAType1EEvPKT_PKT0_S8_ifPKiSA_SA_iPKfiiiPfSD_PS3_PT2_iSC_SC_, 630

	.type	__PRETTY_FUNCTION__._Z39paged_attention_ll4mi_QKV_mfma16_kernelIDF16_hLN4vllm18Fp8KVCacheDataTypeE1EDF16_Li32ELi128ELi256ELb1ELi4EL8MFMAType1EEvPKT_PKT0_S8_ifPKiSA_SA_iPKfiiiPfSD_PS3_PT2_iSC_SC_,@object ; @__PRETTY_FUNCTION__._Z39paged_attention_ll4mi_QKV_mfma16_kernelIDF16_hLN4vllm18Fp8KVCacheDataTypeE1EDF16_Li32ELi128ELi256ELb1ELi4EL8MFMAType1EEvPKT_PKT0_S8_ifPKiSA_SA_iPKfiiiPfSD_PS3_PT2_iSC_SC_
__PRETTY_FUNCTION__._Z39paged_attention_ll4mi_QKV_mfma16_kernelIDF16_hLN4vllm18Fp8KVCacheDataTypeE1EDF16_Li32ELi128ELi256ELb1ELi4EL8MFMAType1EEvPKT_PKT0_S8_ifPKiSA_SA_iPKfiiiPfSD_PS3_PT2_iSC_SC_:
	.asciz	"void paged_attention_ll4mi_QKV_mfma16_kernel(const scalar_t *__restrict, const cache_t *__restrict, const cache_t *__restrict, const int, const float, const int *__restrict, const int *__restrict, const int *__restrict, const int, const float *__restrict, const int, const int, const int, float *__restrict, float *__restrict, scalar_t *__restrict, OUTT *__restrict, int, const float *, const float *) [scalar_t = _Float16, cache_t = unsigned char, KV_DTYPE = vllm::Fp8KVCacheDataType::kFp8E4M3, OUTT = _Float16, BLOCK_SIZE = 32, HEAD_SIZE = 128, NUM_THREADS = 256, ALIBI_ENABLED = true, GQA_RATIO = 4, MFMA_TYPE = MFMAType::Fp8]"
	.size	__PRETTY_FUNCTION__._Z39paged_attention_ll4mi_QKV_mfma16_kernelIDF16_hLN4vllm18Fp8KVCacheDataTypeE1EDF16_Li32ELi128ELi256ELb1ELi4EL8MFMAType1EEvPKT_PKT0_S8_ifPKiSA_SA_iPKfiiiPfSD_PS3_PT2_iSC_SC_, 630

	.type	__PRETTY_FUNCTION__._Z39paged_attention_ll4mi_QKV_mfma16_kernelIDF16_hLN4vllm18Fp8KVCacheDataTypeE1EDF16_Li32ELi128ELi256ELb0ELi5EL8MFMAType1EEvPKT_PKT0_S8_ifPKiSA_SA_iPKfiiiPfSD_PS3_PT2_iSC_SC_,@object ; @__PRETTY_FUNCTION__._Z39paged_attention_ll4mi_QKV_mfma16_kernelIDF16_hLN4vllm18Fp8KVCacheDataTypeE1EDF16_Li32ELi128ELi256ELb0ELi5EL8MFMAType1EEvPKT_PKT0_S8_ifPKiSA_SA_iPKfiiiPfSD_PS3_PT2_iSC_SC_
__PRETTY_FUNCTION__._Z39paged_attention_ll4mi_QKV_mfma16_kernelIDF16_hLN4vllm18Fp8KVCacheDataTypeE1EDF16_Li32ELi128ELi256ELb0ELi5EL8MFMAType1EEvPKT_PKT0_S8_ifPKiSA_SA_iPKfiiiPfSD_PS3_PT2_iSC_SC_:
	.asciz	"void paged_attention_ll4mi_QKV_mfma16_kernel(const scalar_t *__restrict, const cache_t *__restrict, const cache_t *__restrict, const int, const float, const int *__restrict, const int *__restrict, const int *__restrict, const int, const float *__restrict, const int, const int, const int, float *__restrict, float *__restrict, scalar_t *__restrict, OUTT *__restrict, int, const float *, const float *) [scalar_t = _Float16, cache_t = unsigned char, KV_DTYPE = vllm::Fp8KVCacheDataType::kFp8E4M3, OUTT = _Float16, BLOCK_SIZE = 32, HEAD_SIZE = 128, NUM_THREADS = 256, ALIBI_ENABLED = false, GQA_RATIO = 5, MFMA_TYPE = MFMAType::Fp8]"
	.size	__PRETTY_FUNCTION__._Z39paged_attention_ll4mi_QKV_mfma16_kernelIDF16_hLN4vllm18Fp8KVCacheDataTypeE1EDF16_Li32ELi128ELi256ELb0ELi5EL8MFMAType1EEvPKT_PKT0_S8_ifPKiSA_SA_iPKfiiiPfSD_PS3_PT2_iSC_SC_, 631

	.type	__PRETTY_FUNCTION__._Z39paged_attention_ll4mi_QKV_mfma16_kernelIDF16_hLN4vllm18Fp8KVCacheDataTypeE1EDF16_Li32ELi128ELi256ELb0ELi6EL8MFMAType1EEvPKT_PKT0_S8_ifPKiSA_SA_iPKfiiiPfSD_PS3_PT2_iSC_SC_,@object ; @__PRETTY_FUNCTION__._Z39paged_attention_ll4mi_QKV_mfma16_kernelIDF16_hLN4vllm18Fp8KVCacheDataTypeE1EDF16_Li32ELi128ELi256ELb0ELi6EL8MFMAType1EEvPKT_PKT0_S8_ifPKiSA_SA_iPKfiiiPfSD_PS3_PT2_iSC_SC_
__PRETTY_FUNCTION__._Z39paged_attention_ll4mi_QKV_mfma16_kernelIDF16_hLN4vllm18Fp8KVCacheDataTypeE1EDF16_Li32ELi128ELi256ELb0ELi6EL8MFMAType1EEvPKT_PKT0_S8_ifPKiSA_SA_iPKfiiiPfSD_PS3_PT2_iSC_SC_:
	.asciz	"void paged_attention_ll4mi_QKV_mfma16_kernel(const scalar_t *__restrict, const cache_t *__restrict, const cache_t *__restrict, const int, const float, const int *__restrict, const int *__restrict, const int *__restrict, const int, const float *__restrict, const int, const int, const int, float *__restrict, float *__restrict, scalar_t *__restrict, OUTT *__restrict, int, const float *, const float *) [scalar_t = _Float16, cache_t = unsigned char, KV_DTYPE = vllm::Fp8KVCacheDataType::kFp8E4M3, OUTT = _Float16, BLOCK_SIZE = 32, HEAD_SIZE = 128, NUM_THREADS = 256, ALIBI_ENABLED = false, GQA_RATIO = 6, MFMA_TYPE = MFMAType::Fp8]"
	.size	__PRETTY_FUNCTION__._Z39paged_attention_ll4mi_QKV_mfma16_kernelIDF16_hLN4vllm18Fp8KVCacheDataTypeE1EDF16_Li32ELi128ELi256ELb0ELi6EL8MFMAType1EEvPKT_PKT0_S8_ifPKiSA_SA_iPKfiiiPfSD_PS3_PT2_iSC_SC_, 631

	.type	__PRETTY_FUNCTION__._Z39paged_attention_ll4mi_QKV_mfma16_kernelIDF16_hLN4vllm18Fp8KVCacheDataTypeE1EDF16_Li32ELi128ELi256ELb0ELi7EL8MFMAType1EEvPKT_PKT0_S8_ifPKiSA_SA_iPKfiiiPfSD_PS3_PT2_iSC_SC_,@object ; @__PRETTY_FUNCTION__._Z39paged_attention_ll4mi_QKV_mfma16_kernelIDF16_hLN4vllm18Fp8KVCacheDataTypeE1EDF16_Li32ELi128ELi256ELb0ELi7EL8MFMAType1EEvPKT_PKT0_S8_ifPKiSA_SA_iPKfiiiPfSD_PS3_PT2_iSC_SC_
__PRETTY_FUNCTION__._Z39paged_attention_ll4mi_QKV_mfma16_kernelIDF16_hLN4vllm18Fp8KVCacheDataTypeE1EDF16_Li32ELi128ELi256ELb0ELi7EL8MFMAType1EEvPKT_PKT0_S8_ifPKiSA_SA_iPKfiiiPfSD_PS3_PT2_iSC_SC_:
	.asciz	"void paged_attention_ll4mi_QKV_mfma16_kernel(const scalar_t *__restrict, const cache_t *__restrict, const cache_t *__restrict, const int, const float, const int *__restrict, const int *__restrict, const int *__restrict, const int, const float *__restrict, const int, const int, const int, float *__restrict, float *__restrict, scalar_t *__restrict, OUTT *__restrict, int, const float *, const float *) [scalar_t = _Float16, cache_t = unsigned char, KV_DTYPE = vllm::Fp8KVCacheDataType::kFp8E4M3, OUTT = _Float16, BLOCK_SIZE = 32, HEAD_SIZE = 128, NUM_THREADS = 256, ALIBI_ENABLED = false, GQA_RATIO = 7, MFMA_TYPE = MFMAType::Fp8]"
	.size	__PRETTY_FUNCTION__._Z39paged_attention_ll4mi_QKV_mfma16_kernelIDF16_hLN4vllm18Fp8KVCacheDataTypeE1EDF16_Li32ELi128ELi256ELb0ELi7EL8MFMAType1EEvPKT_PKT0_S8_ifPKiSA_SA_iPKfiiiPfSD_PS3_PT2_iSC_SC_, 631

	.type	__PRETTY_FUNCTION__._Z39paged_attention_ll4mi_QKV_mfma16_kernelIDF16_hLN4vllm18Fp8KVCacheDataTypeE1EDF16_Li32ELi128ELi256ELb0ELi8EL8MFMAType1EEvPKT_PKT0_S8_ifPKiSA_SA_iPKfiiiPfSD_PS3_PT2_iSC_SC_,@object ; @__PRETTY_FUNCTION__._Z39paged_attention_ll4mi_QKV_mfma16_kernelIDF16_hLN4vllm18Fp8KVCacheDataTypeE1EDF16_Li32ELi128ELi256ELb0ELi8EL8MFMAType1EEvPKT_PKT0_S8_ifPKiSA_SA_iPKfiiiPfSD_PS3_PT2_iSC_SC_
__PRETTY_FUNCTION__._Z39paged_attention_ll4mi_QKV_mfma16_kernelIDF16_hLN4vllm18Fp8KVCacheDataTypeE1EDF16_Li32ELi128ELi256ELb0ELi8EL8MFMAType1EEvPKT_PKT0_S8_ifPKiSA_SA_iPKfiiiPfSD_PS3_PT2_iSC_SC_:
	.asciz	"void paged_attention_ll4mi_QKV_mfma16_kernel(const scalar_t *__restrict, const cache_t *__restrict, const cache_t *__restrict, const int, const float, const int *__restrict, const int *__restrict, const int *__restrict, const int, const float *__restrict, const int, const int, const int, float *__restrict, float *__restrict, scalar_t *__restrict, OUTT *__restrict, int, const float *, const float *) [scalar_t = _Float16, cache_t = unsigned char, KV_DTYPE = vllm::Fp8KVCacheDataType::kFp8E4M3, OUTT = _Float16, BLOCK_SIZE = 32, HEAD_SIZE = 128, NUM_THREADS = 256, ALIBI_ENABLED = false, GQA_RATIO = 8, MFMA_TYPE = MFMAType::Fp8]"
	.size	__PRETTY_FUNCTION__._Z39paged_attention_ll4mi_QKV_mfma16_kernelIDF16_hLN4vllm18Fp8KVCacheDataTypeE1EDF16_Li32ELi128ELi256ELb0ELi8EL8MFMAType1EEvPKT_PKT0_S8_ifPKiSA_SA_iPKfiiiPfSD_PS3_PT2_iSC_SC_, 631

	.type	__PRETTY_FUNCTION__._Z39paged_attention_ll4mi_QKV_mfma16_kernelIDF16_hLN4vllm18Fp8KVCacheDataTypeE1EDF16_Li32ELi128ELi256ELb0ELi9EL8MFMAType1EEvPKT_PKT0_S8_ifPKiSA_SA_iPKfiiiPfSD_PS3_PT2_iSC_SC_,@object ; @__PRETTY_FUNCTION__._Z39paged_attention_ll4mi_QKV_mfma16_kernelIDF16_hLN4vllm18Fp8KVCacheDataTypeE1EDF16_Li32ELi128ELi256ELb0ELi9EL8MFMAType1EEvPKT_PKT0_S8_ifPKiSA_SA_iPKfiiiPfSD_PS3_PT2_iSC_SC_
__PRETTY_FUNCTION__._Z39paged_attention_ll4mi_QKV_mfma16_kernelIDF16_hLN4vllm18Fp8KVCacheDataTypeE1EDF16_Li32ELi128ELi256ELb0ELi9EL8MFMAType1EEvPKT_PKT0_S8_ifPKiSA_SA_iPKfiiiPfSD_PS3_PT2_iSC_SC_:
	.asciz	"void paged_attention_ll4mi_QKV_mfma16_kernel(const scalar_t *__restrict, const cache_t *__restrict, const cache_t *__restrict, const int, const float, const int *__restrict, const int *__restrict, const int *__restrict, const int, const float *__restrict, const int, const int, const int, float *__restrict, float *__restrict, scalar_t *__restrict, OUTT *__restrict, int, const float *, const float *) [scalar_t = _Float16, cache_t = unsigned char, KV_DTYPE = vllm::Fp8KVCacheDataType::kFp8E4M3, OUTT = _Float16, BLOCK_SIZE = 32, HEAD_SIZE = 128, NUM_THREADS = 256, ALIBI_ENABLED = false, GQA_RATIO = 9, MFMA_TYPE = MFMAType::Fp8]"
	.size	__PRETTY_FUNCTION__._Z39paged_attention_ll4mi_QKV_mfma16_kernelIDF16_hLN4vllm18Fp8KVCacheDataTypeE1EDF16_Li32ELi128ELi256ELb0ELi9EL8MFMAType1EEvPKT_PKT0_S8_ifPKiSA_SA_iPKfiiiPfSD_PS3_PT2_iSC_SC_, 631

	.type	__PRETTY_FUNCTION__._Z39paged_attention_ll4mi_QKV_mfma16_kernelIDF16_hLN4vllm18Fp8KVCacheDataTypeE1EDF16_Li32ELi128ELi256ELb0ELi10EL8MFMAType1EEvPKT_PKT0_S8_ifPKiSA_SA_iPKfiiiPfSD_PS3_PT2_iSC_SC_,@object ; @__PRETTY_FUNCTION__._Z39paged_attention_ll4mi_QKV_mfma16_kernelIDF16_hLN4vllm18Fp8KVCacheDataTypeE1EDF16_Li32ELi128ELi256ELb0ELi10EL8MFMAType1EEvPKT_PKT0_S8_ifPKiSA_SA_iPKfiiiPfSD_PS3_PT2_iSC_SC_
__PRETTY_FUNCTION__._Z39paged_attention_ll4mi_QKV_mfma16_kernelIDF16_hLN4vllm18Fp8KVCacheDataTypeE1EDF16_Li32ELi128ELi256ELb0ELi10EL8MFMAType1EEvPKT_PKT0_S8_ifPKiSA_SA_iPKfiiiPfSD_PS3_PT2_iSC_SC_:
	.asciz	"void paged_attention_ll4mi_QKV_mfma16_kernel(const scalar_t *__restrict, const cache_t *__restrict, const cache_t *__restrict, const int, const float, const int *__restrict, const int *__restrict, const int *__restrict, const int, const float *__restrict, const int, const int, const int, float *__restrict, float *__restrict, scalar_t *__restrict, OUTT *__restrict, int, const float *, const float *) [scalar_t = _Float16, cache_t = unsigned char, KV_DTYPE = vllm::Fp8KVCacheDataType::kFp8E4M3, OUTT = _Float16, BLOCK_SIZE = 32, HEAD_SIZE = 128, NUM_THREADS = 256, ALIBI_ENABLED = false, GQA_RATIO = 10, MFMA_TYPE = MFMAType::Fp8]"
	.size	__PRETTY_FUNCTION__._Z39paged_attention_ll4mi_QKV_mfma16_kernelIDF16_hLN4vllm18Fp8KVCacheDataTypeE1EDF16_Li32ELi128ELi256ELb0ELi10EL8MFMAType1EEvPKT_PKT0_S8_ifPKiSA_SA_iPKfiiiPfSD_PS3_PT2_iSC_SC_, 632

	.type	__PRETTY_FUNCTION__._Z39paged_attention_ll4mi_QKV_mfma16_kernelIDF16_hLN4vllm18Fp8KVCacheDataTypeE1EDF16_Li32ELi128ELi256ELb0ELi11EL8MFMAType1EEvPKT_PKT0_S8_ifPKiSA_SA_iPKfiiiPfSD_PS3_PT2_iSC_SC_,@object ; @__PRETTY_FUNCTION__._Z39paged_attention_ll4mi_QKV_mfma16_kernelIDF16_hLN4vllm18Fp8KVCacheDataTypeE1EDF16_Li32ELi128ELi256ELb0ELi11EL8MFMAType1EEvPKT_PKT0_S8_ifPKiSA_SA_iPKfiiiPfSD_PS3_PT2_iSC_SC_
__PRETTY_FUNCTION__._Z39paged_attention_ll4mi_QKV_mfma16_kernelIDF16_hLN4vllm18Fp8KVCacheDataTypeE1EDF16_Li32ELi128ELi256ELb0ELi11EL8MFMAType1EEvPKT_PKT0_S8_ifPKiSA_SA_iPKfiiiPfSD_PS3_PT2_iSC_SC_:
	.asciz	"void paged_attention_ll4mi_QKV_mfma16_kernel(const scalar_t *__restrict, const cache_t *__restrict, const cache_t *__restrict, const int, const float, const int *__restrict, const int *__restrict, const int *__restrict, const int, const float *__restrict, const int, const int, const int, float *__restrict, float *__restrict, scalar_t *__restrict, OUTT *__restrict, int, const float *, const float *) [scalar_t = _Float16, cache_t = unsigned char, KV_DTYPE = vllm::Fp8KVCacheDataType::kFp8E4M3, OUTT = _Float16, BLOCK_SIZE = 32, HEAD_SIZE = 128, NUM_THREADS = 256, ALIBI_ENABLED = false, GQA_RATIO = 11, MFMA_TYPE = MFMAType::Fp8]"
	.size	__PRETTY_FUNCTION__._Z39paged_attention_ll4mi_QKV_mfma16_kernelIDF16_hLN4vllm18Fp8KVCacheDataTypeE1EDF16_Li32ELi128ELi256ELb0ELi11EL8MFMAType1EEvPKT_PKT0_S8_ifPKiSA_SA_iPKfiiiPfSD_PS3_PT2_iSC_SC_, 632

	.type	__PRETTY_FUNCTION__._Z39paged_attention_ll4mi_QKV_mfma16_kernelIDF16_hLN4vllm18Fp8KVCacheDataTypeE1EDF16_Li32ELi128ELi256ELb0ELi12EL8MFMAType1EEvPKT_PKT0_S8_ifPKiSA_SA_iPKfiiiPfSD_PS3_PT2_iSC_SC_,@object ; @__PRETTY_FUNCTION__._Z39paged_attention_ll4mi_QKV_mfma16_kernelIDF16_hLN4vllm18Fp8KVCacheDataTypeE1EDF16_Li32ELi128ELi256ELb0ELi12EL8MFMAType1EEvPKT_PKT0_S8_ifPKiSA_SA_iPKfiiiPfSD_PS3_PT2_iSC_SC_
__PRETTY_FUNCTION__._Z39paged_attention_ll4mi_QKV_mfma16_kernelIDF16_hLN4vllm18Fp8KVCacheDataTypeE1EDF16_Li32ELi128ELi256ELb0ELi12EL8MFMAType1EEvPKT_PKT0_S8_ifPKiSA_SA_iPKfiiiPfSD_PS3_PT2_iSC_SC_:
	.asciz	"void paged_attention_ll4mi_QKV_mfma16_kernel(const scalar_t *__restrict, const cache_t *__restrict, const cache_t *__restrict, const int, const float, const int *__restrict, const int *__restrict, const int *__restrict, const int, const float *__restrict, const int, const int, const int, float *__restrict, float *__restrict, scalar_t *__restrict, OUTT *__restrict, int, const float *, const float *) [scalar_t = _Float16, cache_t = unsigned char, KV_DTYPE = vllm::Fp8KVCacheDataType::kFp8E4M3, OUTT = _Float16, BLOCK_SIZE = 32, HEAD_SIZE = 128, NUM_THREADS = 256, ALIBI_ENABLED = false, GQA_RATIO = 12, MFMA_TYPE = MFMAType::Fp8]"
	.size	__PRETTY_FUNCTION__._Z39paged_attention_ll4mi_QKV_mfma16_kernelIDF16_hLN4vllm18Fp8KVCacheDataTypeE1EDF16_Li32ELi128ELi256ELb0ELi12EL8MFMAType1EEvPKT_PKT0_S8_ifPKiSA_SA_iPKfiiiPfSD_PS3_PT2_iSC_SC_, 632

	.type	__PRETTY_FUNCTION__._Z39paged_attention_ll4mi_QKV_mfma16_kernelIDF16_hLN4vllm18Fp8KVCacheDataTypeE1EDF16_Li32ELi128ELi256ELb0ELi13EL8MFMAType1EEvPKT_PKT0_S8_ifPKiSA_SA_iPKfiiiPfSD_PS3_PT2_iSC_SC_,@object ; @__PRETTY_FUNCTION__._Z39paged_attention_ll4mi_QKV_mfma16_kernelIDF16_hLN4vllm18Fp8KVCacheDataTypeE1EDF16_Li32ELi128ELi256ELb0ELi13EL8MFMAType1EEvPKT_PKT0_S8_ifPKiSA_SA_iPKfiiiPfSD_PS3_PT2_iSC_SC_
__PRETTY_FUNCTION__._Z39paged_attention_ll4mi_QKV_mfma16_kernelIDF16_hLN4vllm18Fp8KVCacheDataTypeE1EDF16_Li32ELi128ELi256ELb0ELi13EL8MFMAType1EEvPKT_PKT0_S8_ifPKiSA_SA_iPKfiiiPfSD_PS3_PT2_iSC_SC_:
	.asciz	"void paged_attention_ll4mi_QKV_mfma16_kernel(const scalar_t *__restrict, const cache_t *__restrict, const cache_t *__restrict, const int, const float, const int *__restrict, const int *__restrict, const int *__restrict, const int, const float *__restrict, const int, const int, const int, float *__restrict, float *__restrict, scalar_t *__restrict, OUTT *__restrict, int, const float *, const float *) [scalar_t = _Float16, cache_t = unsigned char, KV_DTYPE = vllm::Fp8KVCacheDataType::kFp8E4M3, OUTT = _Float16, BLOCK_SIZE = 32, HEAD_SIZE = 128, NUM_THREADS = 256, ALIBI_ENABLED = false, GQA_RATIO = 13, MFMA_TYPE = MFMAType::Fp8]"
	.size	__PRETTY_FUNCTION__._Z39paged_attention_ll4mi_QKV_mfma16_kernelIDF16_hLN4vllm18Fp8KVCacheDataTypeE1EDF16_Li32ELi128ELi256ELb0ELi13EL8MFMAType1EEvPKT_PKT0_S8_ifPKiSA_SA_iPKfiiiPfSD_PS3_PT2_iSC_SC_, 632

	.type	__PRETTY_FUNCTION__._Z39paged_attention_ll4mi_QKV_mfma16_kernelIDF16_hLN4vllm18Fp8KVCacheDataTypeE1EDF16_Li32ELi128ELi256ELb0ELi14EL8MFMAType1EEvPKT_PKT0_S8_ifPKiSA_SA_iPKfiiiPfSD_PS3_PT2_iSC_SC_,@object ; @__PRETTY_FUNCTION__._Z39paged_attention_ll4mi_QKV_mfma16_kernelIDF16_hLN4vllm18Fp8KVCacheDataTypeE1EDF16_Li32ELi128ELi256ELb0ELi14EL8MFMAType1EEvPKT_PKT0_S8_ifPKiSA_SA_iPKfiiiPfSD_PS3_PT2_iSC_SC_
__PRETTY_FUNCTION__._Z39paged_attention_ll4mi_QKV_mfma16_kernelIDF16_hLN4vllm18Fp8KVCacheDataTypeE1EDF16_Li32ELi128ELi256ELb0ELi14EL8MFMAType1EEvPKT_PKT0_S8_ifPKiSA_SA_iPKfiiiPfSD_PS3_PT2_iSC_SC_:
	.asciz	"void paged_attention_ll4mi_QKV_mfma16_kernel(const scalar_t *__restrict, const cache_t *__restrict, const cache_t *__restrict, const int, const float, const int *__restrict, const int *__restrict, const int *__restrict, const int, const float *__restrict, const int, const int, const int, float *__restrict, float *__restrict, scalar_t *__restrict, OUTT *__restrict, int, const float *, const float *) [scalar_t = _Float16, cache_t = unsigned char, KV_DTYPE = vllm::Fp8KVCacheDataType::kFp8E4M3, OUTT = _Float16, BLOCK_SIZE = 32, HEAD_SIZE = 128, NUM_THREADS = 256, ALIBI_ENABLED = false, GQA_RATIO = 14, MFMA_TYPE = MFMAType::Fp8]"
	.size	__PRETTY_FUNCTION__._Z39paged_attention_ll4mi_QKV_mfma16_kernelIDF16_hLN4vllm18Fp8KVCacheDataTypeE1EDF16_Li32ELi128ELi256ELb0ELi14EL8MFMAType1EEvPKT_PKT0_S8_ifPKiSA_SA_iPKfiiiPfSD_PS3_PT2_iSC_SC_, 632

	.type	__PRETTY_FUNCTION__._Z39paged_attention_ll4mi_QKV_mfma16_kernelIDF16_hLN4vllm18Fp8KVCacheDataTypeE1EDF16_Li32ELi128ELi256ELb0ELi15EL8MFMAType1EEvPKT_PKT0_S8_ifPKiSA_SA_iPKfiiiPfSD_PS3_PT2_iSC_SC_,@object ; @__PRETTY_FUNCTION__._Z39paged_attention_ll4mi_QKV_mfma16_kernelIDF16_hLN4vllm18Fp8KVCacheDataTypeE1EDF16_Li32ELi128ELi256ELb0ELi15EL8MFMAType1EEvPKT_PKT0_S8_ifPKiSA_SA_iPKfiiiPfSD_PS3_PT2_iSC_SC_
__PRETTY_FUNCTION__._Z39paged_attention_ll4mi_QKV_mfma16_kernelIDF16_hLN4vllm18Fp8KVCacheDataTypeE1EDF16_Li32ELi128ELi256ELb0ELi15EL8MFMAType1EEvPKT_PKT0_S8_ifPKiSA_SA_iPKfiiiPfSD_PS3_PT2_iSC_SC_:
	.asciz	"void paged_attention_ll4mi_QKV_mfma16_kernel(const scalar_t *__restrict, const cache_t *__restrict, const cache_t *__restrict, const int, const float, const int *__restrict, const int *__restrict, const int *__restrict, const int, const float *__restrict, const int, const int, const int, float *__restrict, float *__restrict, scalar_t *__restrict, OUTT *__restrict, int, const float *, const float *) [scalar_t = _Float16, cache_t = unsigned char, KV_DTYPE = vllm::Fp8KVCacheDataType::kFp8E4M3, OUTT = _Float16, BLOCK_SIZE = 32, HEAD_SIZE = 128, NUM_THREADS = 256, ALIBI_ENABLED = false, GQA_RATIO = 15, MFMA_TYPE = MFMAType::Fp8]"
	.size	__PRETTY_FUNCTION__._Z39paged_attention_ll4mi_QKV_mfma16_kernelIDF16_hLN4vllm18Fp8KVCacheDataTypeE1EDF16_Li32ELi128ELi256ELb0ELi15EL8MFMAType1EEvPKT_PKT0_S8_ifPKiSA_SA_iPKfiiiPfSD_PS3_PT2_iSC_SC_, 632

	.type	__PRETTY_FUNCTION__._Z39paged_attention_ll4mi_QKV_mfma16_kernelIDF16_hLN4vllm18Fp8KVCacheDataTypeE1EDF16_Li32ELi128ELi256ELb0ELi16EL8MFMAType1EEvPKT_PKT0_S8_ifPKiSA_SA_iPKfiiiPfSD_PS3_PT2_iSC_SC_,@object ; @__PRETTY_FUNCTION__._Z39paged_attention_ll4mi_QKV_mfma16_kernelIDF16_hLN4vllm18Fp8KVCacheDataTypeE1EDF16_Li32ELi128ELi256ELb0ELi16EL8MFMAType1EEvPKT_PKT0_S8_ifPKiSA_SA_iPKfiiiPfSD_PS3_PT2_iSC_SC_
__PRETTY_FUNCTION__._Z39paged_attention_ll4mi_QKV_mfma16_kernelIDF16_hLN4vllm18Fp8KVCacheDataTypeE1EDF16_Li32ELi128ELi256ELb0ELi16EL8MFMAType1EEvPKT_PKT0_S8_ifPKiSA_SA_iPKfiiiPfSD_PS3_PT2_iSC_SC_:
	.asciz	"void paged_attention_ll4mi_QKV_mfma16_kernel(const scalar_t *__restrict, const cache_t *__restrict, const cache_t *__restrict, const int, const float, const int *__restrict, const int *__restrict, const int *__restrict, const int, const float *__restrict, const int, const int, const int, float *__restrict, float *__restrict, scalar_t *__restrict, OUTT *__restrict, int, const float *, const float *) [scalar_t = _Float16, cache_t = unsigned char, KV_DTYPE = vllm::Fp8KVCacheDataType::kFp8E4M3, OUTT = _Float16, BLOCK_SIZE = 32, HEAD_SIZE = 128, NUM_THREADS = 256, ALIBI_ENABLED = false, GQA_RATIO = 16, MFMA_TYPE = MFMAType::Fp8]"
	.size	__PRETTY_FUNCTION__._Z39paged_attention_ll4mi_QKV_mfma16_kernelIDF16_hLN4vllm18Fp8KVCacheDataTypeE1EDF16_Li32ELi128ELi256ELb0ELi16EL8MFMAType1EEvPKT_PKT0_S8_ifPKiSA_SA_iPKfiiiPfSD_PS3_PT2_iSC_SC_, 632

	.type	__PRETTY_FUNCTION__._Z39paged_attention_ll4mi_QKV_mfma16_kernelIDF16_hLN4vllm18Fp8KVCacheDataTypeE1EDF16_Li32ELi128ELi256ELb0ELi1EL8MFMAType1EEvPKT_PKT0_S8_ifPKiSA_SA_iPKfiiiPfSD_PS3_PT2_iSC_SC_,@object ; @__PRETTY_FUNCTION__._Z39paged_attention_ll4mi_QKV_mfma16_kernelIDF16_hLN4vllm18Fp8KVCacheDataTypeE1EDF16_Li32ELi128ELi256ELb0ELi1EL8MFMAType1EEvPKT_PKT0_S8_ifPKiSA_SA_iPKfiiiPfSD_PS3_PT2_iSC_SC_
__PRETTY_FUNCTION__._Z39paged_attention_ll4mi_QKV_mfma16_kernelIDF16_hLN4vllm18Fp8KVCacheDataTypeE1EDF16_Li32ELi128ELi256ELb0ELi1EL8MFMAType1EEvPKT_PKT0_S8_ifPKiSA_SA_iPKfiiiPfSD_PS3_PT2_iSC_SC_:
	.asciz	"void paged_attention_ll4mi_QKV_mfma16_kernel(const scalar_t *__restrict, const cache_t *__restrict, const cache_t *__restrict, const int, const float, const int *__restrict, const int *__restrict, const int *__restrict, const int, const float *__restrict, const int, const int, const int, float *__restrict, float *__restrict, scalar_t *__restrict, OUTT *__restrict, int, const float *, const float *) [scalar_t = _Float16, cache_t = unsigned char, KV_DTYPE = vllm::Fp8KVCacheDataType::kFp8E4M3, OUTT = _Float16, BLOCK_SIZE = 32, HEAD_SIZE = 128, NUM_THREADS = 256, ALIBI_ENABLED = false, GQA_RATIO = 1, MFMA_TYPE = MFMAType::Fp8]"
	.size	__PRETTY_FUNCTION__._Z39paged_attention_ll4mi_QKV_mfma16_kernelIDF16_hLN4vllm18Fp8KVCacheDataTypeE1EDF16_Li32ELi128ELi256ELb0ELi1EL8MFMAType1EEvPKT_PKT0_S8_ifPKiSA_SA_iPKfiiiPfSD_PS3_PT2_iSC_SC_, 631

	.type	__PRETTY_FUNCTION__._Z39paged_attention_ll4mi_QKV_mfma16_kernelIDF16_hLN4vllm18Fp8KVCacheDataTypeE1EDF16_Li32ELi128ELi256ELb0ELi2EL8MFMAType1EEvPKT_PKT0_S8_ifPKiSA_SA_iPKfiiiPfSD_PS3_PT2_iSC_SC_,@object ; @__PRETTY_FUNCTION__._Z39paged_attention_ll4mi_QKV_mfma16_kernelIDF16_hLN4vllm18Fp8KVCacheDataTypeE1EDF16_Li32ELi128ELi256ELb0ELi2EL8MFMAType1EEvPKT_PKT0_S8_ifPKiSA_SA_iPKfiiiPfSD_PS3_PT2_iSC_SC_
__PRETTY_FUNCTION__._Z39paged_attention_ll4mi_QKV_mfma16_kernelIDF16_hLN4vllm18Fp8KVCacheDataTypeE1EDF16_Li32ELi128ELi256ELb0ELi2EL8MFMAType1EEvPKT_PKT0_S8_ifPKiSA_SA_iPKfiiiPfSD_PS3_PT2_iSC_SC_:
	.asciz	"void paged_attention_ll4mi_QKV_mfma16_kernel(const scalar_t *__restrict, const cache_t *__restrict, const cache_t *__restrict, const int, const float, const int *__restrict, const int *__restrict, const int *__restrict, const int, const float *__restrict, const int, const int, const int, float *__restrict, float *__restrict, scalar_t *__restrict, OUTT *__restrict, int, const float *, const float *) [scalar_t = _Float16, cache_t = unsigned char, KV_DTYPE = vllm::Fp8KVCacheDataType::kFp8E4M3, OUTT = _Float16, BLOCK_SIZE = 32, HEAD_SIZE = 128, NUM_THREADS = 256, ALIBI_ENABLED = false, GQA_RATIO = 2, MFMA_TYPE = MFMAType::Fp8]"
	.size	__PRETTY_FUNCTION__._Z39paged_attention_ll4mi_QKV_mfma16_kernelIDF16_hLN4vllm18Fp8KVCacheDataTypeE1EDF16_Li32ELi128ELi256ELb0ELi2EL8MFMAType1EEvPKT_PKT0_S8_ifPKiSA_SA_iPKfiiiPfSD_PS3_PT2_iSC_SC_, 631

	.type	__PRETTY_FUNCTION__._Z39paged_attention_ll4mi_QKV_mfma16_kernelIDF16_hLN4vllm18Fp8KVCacheDataTypeE1EDF16_Li32ELi128ELi256ELb0ELi3EL8MFMAType1EEvPKT_PKT0_S8_ifPKiSA_SA_iPKfiiiPfSD_PS3_PT2_iSC_SC_,@object ; @__PRETTY_FUNCTION__._Z39paged_attention_ll4mi_QKV_mfma16_kernelIDF16_hLN4vllm18Fp8KVCacheDataTypeE1EDF16_Li32ELi128ELi256ELb0ELi3EL8MFMAType1EEvPKT_PKT0_S8_ifPKiSA_SA_iPKfiiiPfSD_PS3_PT2_iSC_SC_
__PRETTY_FUNCTION__._Z39paged_attention_ll4mi_QKV_mfma16_kernelIDF16_hLN4vllm18Fp8KVCacheDataTypeE1EDF16_Li32ELi128ELi256ELb0ELi3EL8MFMAType1EEvPKT_PKT0_S8_ifPKiSA_SA_iPKfiiiPfSD_PS3_PT2_iSC_SC_:
	.asciz	"void paged_attention_ll4mi_QKV_mfma16_kernel(const scalar_t *__restrict, const cache_t *__restrict, const cache_t *__restrict, const int, const float, const int *__restrict, const int *__restrict, const int *__restrict, const int, const float *__restrict, const int, const int, const int, float *__restrict, float *__restrict, scalar_t *__restrict, OUTT *__restrict, int, const float *, const float *) [scalar_t = _Float16, cache_t = unsigned char, KV_DTYPE = vllm::Fp8KVCacheDataType::kFp8E4M3, OUTT = _Float16, BLOCK_SIZE = 32, HEAD_SIZE = 128, NUM_THREADS = 256, ALIBI_ENABLED = false, GQA_RATIO = 3, MFMA_TYPE = MFMAType::Fp8]"
	.size	__PRETTY_FUNCTION__._Z39paged_attention_ll4mi_QKV_mfma16_kernelIDF16_hLN4vllm18Fp8KVCacheDataTypeE1EDF16_Li32ELi128ELi256ELb0ELi3EL8MFMAType1EEvPKT_PKT0_S8_ifPKiSA_SA_iPKfiiiPfSD_PS3_PT2_iSC_SC_, 631

	.type	__PRETTY_FUNCTION__._Z39paged_attention_ll4mi_QKV_mfma16_kernelIDF16_hLN4vllm18Fp8KVCacheDataTypeE1EDF16_Li32ELi128ELi256ELb0ELi4EL8MFMAType1EEvPKT_PKT0_S8_ifPKiSA_SA_iPKfiiiPfSD_PS3_PT2_iSC_SC_,@object ; @__PRETTY_FUNCTION__._Z39paged_attention_ll4mi_QKV_mfma16_kernelIDF16_hLN4vllm18Fp8KVCacheDataTypeE1EDF16_Li32ELi128ELi256ELb0ELi4EL8MFMAType1EEvPKT_PKT0_S8_ifPKiSA_SA_iPKfiiiPfSD_PS3_PT2_iSC_SC_
__PRETTY_FUNCTION__._Z39paged_attention_ll4mi_QKV_mfma16_kernelIDF16_hLN4vllm18Fp8KVCacheDataTypeE1EDF16_Li32ELi128ELi256ELb0ELi4EL8MFMAType1EEvPKT_PKT0_S8_ifPKiSA_SA_iPKfiiiPfSD_PS3_PT2_iSC_SC_:
	.asciz	"void paged_attention_ll4mi_QKV_mfma16_kernel(const scalar_t *__restrict, const cache_t *__restrict, const cache_t *__restrict, const int, const float, const int *__restrict, const int *__restrict, const int *__restrict, const int, const float *__restrict, const int, const int, const int, float *__restrict, float *__restrict, scalar_t *__restrict, OUTT *__restrict, int, const float *, const float *) [scalar_t = _Float16, cache_t = unsigned char, KV_DTYPE = vllm::Fp8KVCacheDataType::kFp8E4M3, OUTT = _Float16, BLOCK_SIZE = 32, HEAD_SIZE = 128, NUM_THREADS = 256, ALIBI_ENABLED = false, GQA_RATIO = 4, MFMA_TYPE = MFMAType::Fp8]"
	.size	__PRETTY_FUNCTION__._Z39paged_attention_ll4mi_QKV_mfma16_kernelIDF16_hLN4vllm18Fp8KVCacheDataTypeE1EDF16_Li32ELi128ELi256ELb0ELi4EL8MFMAType1EEvPKT_PKT0_S8_ifPKiSA_SA_iPKfiiiPfSD_PS3_PT2_iSC_SC_, 631

	.type	__PRETTY_FUNCTION__._Z39paged_attention_ll4mi_QKV_mfma16_kernelI14__hip_bfloat16hLN4vllm18Fp8KVCacheDataTypeE1ES0_Li16ELi64ELi256ELb1ELi5EL8MFMAType1EEvPKT_PKT0_S9_ifPKiSB_SB_iPKfiiiPfSE_PS4_PT2_iSD_SD_,@object ; @__PRETTY_FUNCTION__._Z39paged_attention_ll4mi_QKV_mfma16_kernelI14__hip_bfloat16hLN4vllm18Fp8KVCacheDataTypeE1ES0_Li16ELi64ELi256ELb1ELi5EL8MFMAType1EEvPKT_PKT0_S9_ifPKiSB_SB_iPKfiiiPfSE_PS4_PT2_iSD_SD_
__PRETTY_FUNCTION__._Z39paged_attention_ll4mi_QKV_mfma16_kernelI14__hip_bfloat16hLN4vllm18Fp8KVCacheDataTypeE1ES0_Li16ELi64ELi256ELb1ELi5EL8MFMAType1EEvPKT_PKT0_S9_ifPKiSB_SB_iPKfiiiPfSE_PS4_PT2_iSD_SD_:
	.asciz	"void paged_attention_ll4mi_QKV_mfma16_kernel(const scalar_t *__restrict, const cache_t *__restrict, const cache_t *__restrict, const int, const float, const int *__restrict, const int *__restrict, const int *__restrict, const int, const float *__restrict, const int, const int, const int, float *__restrict, float *__restrict, scalar_t *__restrict, OUTT *__restrict, int, const float *, const float *) [scalar_t = __hip_bfloat16, cache_t = unsigned char, KV_DTYPE = vllm::Fp8KVCacheDataType::kFp8E4M3, OUTT = __hip_bfloat16, BLOCK_SIZE = 16, HEAD_SIZE = 64, NUM_THREADS = 256, ALIBI_ENABLED = true, GQA_RATIO = 5, MFMA_TYPE = MFMAType::Fp8]"
	.size	__PRETTY_FUNCTION__._Z39paged_attention_ll4mi_QKV_mfma16_kernelI14__hip_bfloat16hLN4vllm18Fp8KVCacheDataTypeE1ES0_Li16ELi64ELi256ELb1ELi5EL8MFMAType1EEvPKT_PKT0_S9_ifPKiSB_SB_iPKfiiiPfSE_PS4_PT2_iSD_SD_, 641

	.type	__PRETTY_FUNCTION__._Z39paged_attention_ll4mi_QKV_mfma16_kernelI14__hip_bfloat16hLN4vllm18Fp8KVCacheDataTypeE1ES0_Li16ELi64ELi256ELb1ELi6EL8MFMAType1EEvPKT_PKT0_S9_ifPKiSB_SB_iPKfiiiPfSE_PS4_PT2_iSD_SD_,@object ; @__PRETTY_FUNCTION__._Z39paged_attention_ll4mi_QKV_mfma16_kernelI14__hip_bfloat16hLN4vllm18Fp8KVCacheDataTypeE1ES0_Li16ELi64ELi256ELb1ELi6EL8MFMAType1EEvPKT_PKT0_S9_ifPKiSB_SB_iPKfiiiPfSE_PS4_PT2_iSD_SD_
__PRETTY_FUNCTION__._Z39paged_attention_ll4mi_QKV_mfma16_kernelI14__hip_bfloat16hLN4vllm18Fp8KVCacheDataTypeE1ES0_Li16ELi64ELi256ELb1ELi6EL8MFMAType1EEvPKT_PKT0_S9_ifPKiSB_SB_iPKfiiiPfSE_PS4_PT2_iSD_SD_:
	.asciz	"void paged_attention_ll4mi_QKV_mfma16_kernel(const scalar_t *__restrict, const cache_t *__restrict, const cache_t *__restrict, const int, const float, const int *__restrict, const int *__restrict, const int *__restrict, const int, const float *__restrict, const int, const int, const int, float *__restrict, float *__restrict, scalar_t *__restrict, OUTT *__restrict, int, const float *, const float *) [scalar_t = __hip_bfloat16, cache_t = unsigned char, KV_DTYPE = vllm::Fp8KVCacheDataType::kFp8E4M3, OUTT = __hip_bfloat16, BLOCK_SIZE = 16, HEAD_SIZE = 64, NUM_THREADS = 256, ALIBI_ENABLED = true, GQA_RATIO = 6, MFMA_TYPE = MFMAType::Fp8]"
	.size	__PRETTY_FUNCTION__._Z39paged_attention_ll4mi_QKV_mfma16_kernelI14__hip_bfloat16hLN4vllm18Fp8KVCacheDataTypeE1ES0_Li16ELi64ELi256ELb1ELi6EL8MFMAType1EEvPKT_PKT0_S9_ifPKiSB_SB_iPKfiiiPfSE_PS4_PT2_iSD_SD_, 641

	.type	__PRETTY_FUNCTION__._Z39paged_attention_ll4mi_QKV_mfma16_kernelI14__hip_bfloat16hLN4vllm18Fp8KVCacheDataTypeE1ES0_Li16ELi64ELi256ELb1ELi7EL8MFMAType1EEvPKT_PKT0_S9_ifPKiSB_SB_iPKfiiiPfSE_PS4_PT2_iSD_SD_,@object ; @__PRETTY_FUNCTION__._Z39paged_attention_ll4mi_QKV_mfma16_kernelI14__hip_bfloat16hLN4vllm18Fp8KVCacheDataTypeE1ES0_Li16ELi64ELi256ELb1ELi7EL8MFMAType1EEvPKT_PKT0_S9_ifPKiSB_SB_iPKfiiiPfSE_PS4_PT2_iSD_SD_
__PRETTY_FUNCTION__._Z39paged_attention_ll4mi_QKV_mfma16_kernelI14__hip_bfloat16hLN4vllm18Fp8KVCacheDataTypeE1ES0_Li16ELi64ELi256ELb1ELi7EL8MFMAType1EEvPKT_PKT0_S9_ifPKiSB_SB_iPKfiiiPfSE_PS4_PT2_iSD_SD_:
	.asciz	"void paged_attention_ll4mi_QKV_mfma16_kernel(const scalar_t *__restrict, const cache_t *__restrict, const cache_t *__restrict, const int, const float, const int *__restrict, const int *__restrict, const int *__restrict, const int, const float *__restrict, const int, const int, const int, float *__restrict, float *__restrict, scalar_t *__restrict, OUTT *__restrict, int, const float *, const float *) [scalar_t = __hip_bfloat16, cache_t = unsigned char, KV_DTYPE = vllm::Fp8KVCacheDataType::kFp8E4M3, OUTT = __hip_bfloat16, BLOCK_SIZE = 16, HEAD_SIZE = 64, NUM_THREADS = 256, ALIBI_ENABLED = true, GQA_RATIO = 7, MFMA_TYPE = MFMAType::Fp8]"
	.size	__PRETTY_FUNCTION__._Z39paged_attention_ll4mi_QKV_mfma16_kernelI14__hip_bfloat16hLN4vllm18Fp8KVCacheDataTypeE1ES0_Li16ELi64ELi256ELb1ELi7EL8MFMAType1EEvPKT_PKT0_S9_ifPKiSB_SB_iPKfiiiPfSE_PS4_PT2_iSD_SD_, 641

	.type	__PRETTY_FUNCTION__._Z39paged_attention_ll4mi_QKV_mfma16_kernelI14__hip_bfloat16hLN4vllm18Fp8KVCacheDataTypeE1ES0_Li16ELi64ELi256ELb1ELi8EL8MFMAType1EEvPKT_PKT0_S9_ifPKiSB_SB_iPKfiiiPfSE_PS4_PT2_iSD_SD_,@object ; @__PRETTY_FUNCTION__._Z39paged_attention_ll4mi_QKV_mfma16_kernelI14__hip_bfloat16hLN4vllm18Fp8KVCacheDataTypeE1ES0_Li16ELi64ELi256ELb1ELi8EL8MFMAType1EEvPKT_PKT0_S9_ifPKiSB_SB_iPKfiiiPfSE_PS4_PT2_iSD_SD_
__PRETTY_FUNCTION__._Z39paged_attention_ll4mi_QKV_mfma16_kernelI14__hip_bfloat16hLN4vllm18Fp8KVCacheDataTypeE1ES0_Li16ELi64ELi256ELb1ELi8EL8MFMAType1EEvPKT_PKT0_S9_ifPKiSB_SB_iPKfiiiPfSE_PS4_PT2_iSD_SD_:
	.asciz	"void paged_attention_ll4mi_QKV_mfma16_kernel(const scalar_t *__restrict, const cache_t *__restrict, const cache_t *__restrict, const int, const float, const int *__restrict, const int *__restrict, const int *__restrict, const int, const float *__restrict, const int, const int, const int, float *__restrict, float *__restrict, scalar_t *__restrict, OUTT *__restrict, int, const float *, const float *) [scalar_t = __hip_bfloat16, cache_t = unsigned char, KV_DTYPE = vllm::Fp8KVCacheDataType::kFp8E4M3, OUTT = __hip_bfloat16, BLOCK_SIZE = 16, HEAD_SIZE = 64, NUM_THREADS = 256, ALIBI_ENABLED = true, GQA_RATIO = 8, MFMA_TYPE = MFMAType::Fp8]"
	.size	__PRETTY_FUNCTION__._Z39paged_attention_ll4mi_QKV_mfma16_kernelI14__hip_bfloat16hLN4vllm18Fp8KVCacheDataTypeE1ES0_Li16ELi64ELi256ELb1ELi8EL8MFMAType1EEvPKT_PKT0_S9_ifPKiSB_SB_iPKfiiiPfSE_PS4_PT2_iSD_SD_, 641

	.type	__PRETTY_FUNCTION__._Z39paged_attention_ll4mi_QKV_mfma16_kernelI14__hip_bfloat16hLN4vllm18Fp8KVCacheDataTypeE1ES0_Li16ELi64ELi256ELb1ELi9EL8MFMAType1EEvPKT_PKT0_S9_ifPKiSB_SB_iPKfiiiPfSE_PS4_PT2_iSD_SD_,@object ; @__PRETTY_FUNCTION__._Z39paged_attention_ll4mi_QKV_mfma16_kernelI14__hip_bfloat16hLN4vllm18Fp8KVCacheDataTypeE1ES0_Li16ELi64ELi256ELb1ELi9EL8MFMAType1EEvPKT_PKT0_S9_ifPKiSB_SB_iPKfiiiPfSE_PS4_PT2_iSD_SD_
__PRETTY_FUNCTION__._Z39paged_attention_ll4mi_QKV_mfma16_kernelI14__hip_bfloat16hLN4vllm18Fp8KVCacheDataTypeE1ES0_Li16ELi64ELi256ELb1ELi9EL8MFMAType1EEvPKT_PKT0_S9_ifPKiSB_SB_iPKfiiiPfSE_PS4_PT2_iSD_SD_:
	.asciz	"void paged_attention_ll4mi_QKV_mfma16_kernel(const scalar_t *__restrict, const cache_t *__restrict, const cache_t *__restrict, const int, const float, const int *__restrict, const int *__restrict, const int *__restrict, const int, const float *__restrict, const int, const int, const int, float *__restrict, float *__restrict, scalar_t *__restrict, OUTT *__restrict, int, const float *, const float *) [scalar_t = __hip_bfloat16, cache_t = unsigned char, KV_DTYPE = vllm::Fp8KVCacheDataType::kFp8E4M3, OUTT = __hip_bfloat16, BLOCK_SIZE = 16, HEAD_SIZE = 64, NUM_THREADS = 256, ALIBI_ENABLED = true, GQA_RATIO = 9, MFMA_TYPE = MFMAType::Fp8]"
	.size	__PRETTY_FUNCTION__._Z39paged_attention_ll4mi_QKV_mfma16_kernelI14__hip_bfloat16hLN4vllm18Fp8KVCacheDataTypeE1ES0_Li16ELi64ELi256ELb1ELi9EL8MFMAType1EEvPKT_PKT0_S9_ifPKiSB_SB_iPKfiiiPfSE_PS4_PT2_iSD_SD_, 641

	.type	__PRETTY_FUNCTION__._Z39paged_attention_ll4mi_QKV_mfma16_kernelI14__hip_bfloat16hLN4vllm18Fp8KVCacheDataTypeE1ES0_Li16ELi64ELi256ELb1ELi10EL8MFMAType1EEvPKT_PKT0_S9_ifPKiSB_SB_iPKfiiiPfSE_PS4_PT2_iSD_SD_,@object ; @__PRETTY_FUNCTION__._Z39paged_attention_ll4mi_QKV_mfma16_kernelI14__hip_bfloat16hLN4vllm18Fp8KVCacheDataTypeE1ES0_Li16ELi64ELi256ELb1ELi10EL8MFMAType1EEvPKT_PKT0_S9_ifPKiSB_SB_iPKfiiiPfSE_PS4_PT2_iSD_SD_
__PRETTY_FUNCTION__._Z39paged_attention_ll4mi_QKV_mfma16_kernelI14__hip_bfloat16hLN4vllm18Fp8KVCacheDataTypeE1ES0_Li16ELi64ELi256ELb1ELi10EL8MFMAType1EEvPKT_PKT0_S9_ifPKiSB_SB_iPKfiiiPfSE_PS4_PT2_iSD_SD_:
	.asciz	"void paged_attention_ll4mi_QKV_mfma16_kernel(const scalar_t *__restrict, const cache_t *__restrict, const cache_t *__restrict, const int, const float, const int *__restrict, const int *__restrict, const int *__restrict, const int, const float *__restrict, const int, const int, const int, float *__restrict, float *__restrict, scalar_t *__restrict, OUTT *__restrict, int, const float *, const float *) [scalar_t = __hip_bfloat16, cache_t = unsigned char, KV_DTYPE = vllm::Fp8KVCacheDataType::kFp8E4M3, OUTT = __hip_bfloat16, BLOCK_SIZE = 16, HEAD_SIZE = 64, NUM_THREADS = 256, ALIBI_ENABLED = true, GQA_RATIO = 10, MFMA_TYPE = MFMAType::Fp8]"
	.size	__PRETTY_FUNCTION__._Z39paged_attention_ll4mi_QKV_mfma16_kernelI14__hip_bfloat16hLN4vllm18Fp8KVCacheDataTypeE1ES0_Li16ELi64ELi256ELb1ELi10EL8MFMAType1EEvPKT_PKT0_S9_ifPKiSB_SB_iPKfiiiPfSE_PS4_PT2_iSD_SD_, 642

	.type	__PRETTY_FUNCTION__._Z39paged_attention_ll4mi_QKV_mfma16_kernelI14__hip_bfloat16hLN4vllm18Fp8KVCacheDataTypeE1ES0_Li16ELi64ELi256ELb1ELi11EL8MFMAType1EEvPKT_PKT0_S9_ifPKiSB_SB_iPKfiiiPfSE_PS4_PT2_iSD_SD_,@object ; @__PRETTY_FUNCTION__._Z39paged_attention_ll4mi_QKV_mfma16_kernelI14__hip_bfloat16hLN4vllm18Fp8KVCacheDataTypeE1ES0_Li16ELi64ELi256ELb1ELi11EL8MFMAType1EEvPKT_PKT0_S9_ifPKiSB_SB_iPKfiiiPfSE_PS4_PT2_iSD_SD_
__PRETTY_FUNCTION__._Z39paged_attention_ll4mi_QKV_mfma16_kernelI14__hip_bfloat16hLN4vllm18Fp8KVCacheDataTypeE1ES0_Li16ELi64ELi256ELb1ELi11EL8MFMAType1EEvPKT_PKT0_S9_ifPKiSB_SB_iPKfiiiPfSE_PS4_PT2_iSD_SD_:
	.asciz	"void paged_attention_ll4mi_QKV_mfma16_kernel(const scalar_t *__restrict, const cache_t *__restrict, const cache_t *__restrict, const int, const float, const int *__restrict, const int *__restrict, const int *__restrict, const int, const float *__restrict, const int, const int, const int, float *__restrict, float *__restrict, scalar_t *__restrict, OUTT *__restrict, int, const float *, const float *) [scalar_t = __hip_bfloat16, cache_t = unsigned char, KV_DTYPE = vllm::Fp8KVCacheDataType::kFp8E4M3, OUTT = __hip_bfloat16, BLOCK_SIZE = 16, HEAD_SIZE = 64, NUM_THREADS = 256, ALIBI_ENABLED = true, GQA_RATIO = 11, MFMA_TYPE = MFMAType::Fp8]"
	.size	__PRETTY_FUNCTION__._Z39paged_attention_ll4mi_QKV_mfma16_kernelI14__hip_bfloat16hLN4vllm18Fp8KVCacheDataTypeE1ES0_Li16ELi64ELi256ELb1ELi11EL8MFMAType1EEvPKT_PKT0_S9_ifPKiSB_SB_iPKfiiiPfSE_PS4_PT2_iSD_SD_, 642

	.type	__PRETTY_FUNCTION__._Z39paged_attention_ll4mi_QKV_mfma16_kernelI14__hip_bfloat16hLN4vllm18Fp8KVCacheDataTypeE1ES0_Li16ELi64ELi256ELb1ELi12EL8MFMAType1EEvPKT_PKT0_S9_ifPKiSB_SB_iPKfiiiPfSE_PS4_PT2_iSD_SD_,@object ; @__PRETTY_FUNCTION__._Z39paged_attention_ll4mi_QKV_mfma16_kernelI14__hip_bfloat16hLN4vllm18Fp8KVCacheDataTypeE1ES0_Li16ELi64ELi256ELb1ELi12EL8MFMAType1EEvPKT_PKT0_S9_ifPKiSB_SB_iPKfiiiPfSE_PS4_PT2_iSD_SD_
__PRETTY_FUNCTION__._Z39paged_attention_ll4mi_QKV_mfma16_kernelI14__hip_bfloat16hLN4vllm18Fp8KVCacheDataTypeE1ES0_Li16ELi64ELi256ELb1ELi12EL8MFMAType1EEvPKT_PKT0_S9_ifPKiSB_SB_iPKfiiiPfSE_PS4_PT2_iSD_SD_:
	.asciz	"void paged_attention_ll4mi_QKV_mfma16_kernel(const scalar_t *__restrict, const cache_t *__restrict, const cache_t *__restrict, const int, const float, const int *__restrict, const int *__restrict, const int *__restrict, const int, const float *__restrict, const int, const int, const int, float *__restrict, float *__restrict, scalar_t *__restrict, OUTT *__restrict, int, const float *, const float *) [scalar_t = __hip_bfloat16, cache_t = unsigned char, KV_DTYPE = vllm::Fp8KVCacheDataType::kFp8E4M3, OUTT = __hip_bfloat16, BLOCK_SIZE = 16, HEAD_SIZE = 64, NUM_THREADS = 256, ALIBI_ENABLED = true, GQA_RATIO = 12, MFMA_TYPE = MFMAType::Fp8]"
	.size	__PRETTY_FUNCTION__._Z39paged_attention_ll4mi_QKV_mfma16_kernelI14__hip_bfloat16hLN4vllm18Fp8KVCacheDataTypeE1ES0_Li16ELi64ELi256ELb1ELi12EL8MFMAType1EEvPKT_PKT0_S9_ifPKiSB_SB_iPKfiiiPfSE_PS4_PT2_iSD_SD_, 642

	.type	__PRETTY_FUNCTION__._Z39paged_attention_ll4mi_QKV_mfma16_kernelI14__hip_bfloat16hLN4vllm18Fp8KVCacheDataTypeE1ES0_Li16ELi64ELi256ELb1ELi13EL8MFMAType1EEvPKT_PKT0_S9_ifPKiSB_SB_iPKfiiiPfSE_PS4_PT2_iSD_SD_,@object ; @__PRETTY_FUNCTION__._Z39paged_attention_ll4mi_QKV_mfma16_kernelI14__hip_bfloat16hLN4vllm18Fp8KVCacheDataTypeE1ES0_Li16ELi64ELi256ELb1ELi13EL8MFMAType1EEvPKT_PKT0_S9_ifPKiSB_SB_iPKfiiiPfSE_PS4_PT2_iSD_SD_
__PRETTY_FUNCTION__._Z39paged_attention_ll4mi_QKV_mfma16_kernelI14__hip_bfloat16hLN4vllm18Fp8KVCacheDataTypeE1ES0_Li16ELi64ELi256ELb1ELi13EL8MFMAType1EEvPKT_PKT0_S9_ifPKiSB_SB_iPKfiiiPfSE_PS4_PT2_iSD_SD_:
	.asciz	"void paged_attention_ll4mi_QKV_mfma16_kernel(const scalar_t *__restrict, const cache_t *__restrict, const cache_t *__restrict, const int, const float, const int *__restrict, const int *__restrict, const int *__restrict, const int, const float *__restrict, const int, const int, const int, float *__restrict, float *__restrict, scalar_t *__restrict, OUTT *__restrict, int, const float *, const float *) [scalar_t = __hip_bfloat16, cache_t = unsigned char, KV_DTYPE = vllm::Fp8KVCacheDataType::kFp8E4M3, OUTT = __hip_bfloat16, BLOCK_SIZE = 16, HEAD_SIZE = 64, NUM_THREADS = 256, ALIBI_ENABLED = true, GQA_RATIO = 13, MFMA_TYPE = MFMAType::Fp8]"
	.size	__PRETTY_FUNCTION__._Z39paged_attention_ll4mi_QKV_mfma16_kernelI14__hip_bfloat16hLN4vllm18Fp8KVCacheDataTypeE1ES0_Li16ELi64ELi256ELb1ELi13EL8MFMAType1EEvPKT_PKT0_S9_ifPKiSB_SB_iPKfiiiPfSE_PS4_PT2_iSD_SD_, 642

	.type	__PRETTY_FUNCTION__._Z39paged_attention_ll4mi_QKV_mfma16_kernelI14__hip_bfloat16hLN4vllm18Fp8KVCacheDataTypeE1ES0_Li16ELi64ELi256ELb1ELi14EL8MFMAType1EEvPKT_PKT0_S9_ifPKiSB_SB_iPKfiiiPfSE_PS4_PT2_iSD_SD_,@object ; @__PRETTY_FUNCTION__._Z39paged_attention_ll4mi_QKV_mfma16_kernelI14__hip_bfloat16hLN4vllm18Fp8KVCacheDataTypeE1ES0_Li16ELi64ELi256ELb1ELi14EL8MFMAType1EEvPKT_PKT0_S9_ifPKiSB_SB_iPKfiiiPfSE_PS4_PT2_iSD_SD_
__PRETTY_FUNCTION__._Z39paged_attention_ll4mi_QKV_mfma16_kernelI14__hip_bfloat16hLN4vllm18Fp8KVCacheDataTypeE1ES0_Li16ELi64ELi256ELb1ELi14EL8MFMAType1EEvPKT_PKT0_S9_ifPKiSB_SB_iPKfiiiPfSE_PS4_PT2_iSD_SD_:
	.asciz	"void paged_attention_ll4mi_QKV_mfma16_kernel(const scalar_t *__restrict, const cache_t *__restrict, const cache_t *__restrict, const int, const float, const int *__restrict, const int *__restrict, const int *__restrict, const int, const float *__restrict, const int, const int, const int, float *__restrict, float *__restrict, scalar_t *__restrict, OUTT *__restrict, int, const float *, const float *) [scalar_t = __hip_bfloat16, cache_t = unsigned char, KV_DTYPE = vllm::Fp8KVCacheDataType::kFp8E4M3, OUTT = __hip_bfloat16, BLOCK_SIZE = 16, HEAD_SIZE = 64, NUM_THREADS = 256, ALIBI_ENABLED = true, GQA_RATIO = 14, MFMA_TYPE = MFMAType::Fp8]"
	.size	__PRETTY_FUNCTION__._Z39paged_attention_ll4mi_QKV_mfma16_kernelI14__hip_bfloat16hLN4vllm18Fp8KVCacheDataTypeE1ES0_Li16ELi64ELi256ELb1ELi14EL8MFMAType1EEvPKT_PKT0_S9_ifPKiSB_SB_iPKfiiiPfSE_PS4_PT2_iSD_SD_, 642

	.type	__PRETTY_FUNCTION__._Z39paged_attention_ll4mi_QKV_mfma16_kernelI14__hip_bfloat16hLN4vllm18Fp8KVCacheDataTypeE1ES0_Li16ELi64ELi256ELb1ELi15EL8MFMAType1EEvPKT_PKT0_S9_ifPKiSB_SB_iPKfiiiPfSE_PS4_PT2_iSD_SD_,@object ; @__PRETTY_FUNCTION__._Z39paged_attention_ll4mi_QKV_mfma16_kernelI14__hip_bfloat16hLN4vllm18Fp8KVCacheDataTypeE1ES0_Li16ELi64ELi256ELb1ELi15EL8MFMAType1EEvPKT_PKT0_S9_ifPKiSB_SB_iPKfiiiPfSE_PS4_PT2_iSD_SD_
__PRETTY_FUNCTION__._Z39paged_attention_ll4mi_QKV_mfma16_kernelI14__hip_bfloat16hLN4vllm18Fp8KVCacheDataTypeE1ES0_Li16ELi64ELi256ELb1ELi15EL8MFMAType1EEvPKT_PKT0_S9_ifPKiSB_SB_iPKfiiiPfSE_PS4_PT2_iSD_SD_:
	.asciz	"void paged_attention_ll4mi_QKV_mfma16_kernel(const scalar_t *__restrict, const cache_t *__restrict, const cache_t *__restrict, const int, const float, const int *__restrict, const int *__restrict, const int *__restrict, const int, const float *__restrict, const int, const int, const int, float *__restrict, float *__restrict, scalar_t *__restrict, OUTT *__restrict, int, const float *, const float *) [scalar_t = __hip_bfloat16, cache_t = unsigned char, KV_DTYPE = vllm::Fp8KVCacheDataType::kFp8E4M3, OUTT = __hip_bfloat16, BLOCK_SIZE = 16, HEAD_SIZE = 64, NUM_THREADS = 256, ALIBI_ENABLED = true, GQA_RATIO = 15, MFMA_TYPE = MFMAType::Fp8]"
	.size	__PRETTY_FUNCTION__._Z39paged_attention_ll4mi_QKV_mfma16_kernelI14__hip_bfloat16hLN4vllm18Fp8KVCacheDataTypeE1ES0_Li16ELi64ELi256ELb1ELi15EL8MFMAType1EEvPKT_PKT0_S9_ifPKiSB_SB_iPKfiiiPfSE_PS4_PT2_iSD_SD_, 642

	.type	__PRETTY_FUNCTION__._Z39paged_attention_ll4mi_QKV_mfma16_kernelI14__hip_bfloat16hLN4vllm18Fp8KVCacheDataTypeE1ES0_Li16ELi64ELi256ELb1ELi16EL8MFMAType1EEvPKT_PKT0_S9_ifPKiSB_SB_iPKfiiiPfSE_PS4_PT2_iSD_SD_,@object ; @__PRETTY_FUNCTION__._Z39paged_attention_ll4mi_QKV_mfma16_kernelI14__hip_bfloat16hLN4vllm18Fp8KVCacheDataTypeE1ES0_Li16ELi64ELi256ELb1ELi16EL8MFMAType1EEvPKT_PKT0_S9_ifPKiSB_SB_iPKfiiiPfSE_PS4_PT2_iSD_SD_
__PRETTY_FUNCTION__._Z39paged_attention_ll4mi_QKV_mfma16_kernelI14__hip_bfloat16hLN4vllm18Fp8KVCacheDataTypeE1ES0_Li16ELi64ELi256ELb1ELi16EL8MFMAType1EEvPKT_PKT0_S9_ifPKiSB_SB_iPKfiiiPfSE_PS4_PT2_iSD_SD_:
	.asciz	"void paged_attention_ll4mi_QKV_mfma16_kernel(const scalar_t *__restrict, const cache_t *__restrict, const cache_t *__restrict, const int, const float, const int *__restrict, const int *__restrict, const int *__restrict, const int, const float *__restrict, const int, const int, const int, float *__restrict, float *__restrict, scalar_t *__restrict, OUTT *__restrict, int, const float *, const float *) [scalar_t = __hip_bfloat16, cache_t = unsigned char, KV_DTYPE = vllm::Fp8KVCacheDataType::kFp8E4M3, OUTT = __hip_bfloat16, BLOCK_SIZE = 16, HEAD_SIZE = 64, NUM_THREADS = 256, ALIBI_ENABLED = true, GQA_RATIO = 16, MFMA_TYPE = MFMAType::Fp8]"
	.size	__PRETTY_FUNCTION__._Z39paged_attention_ll4mi_QKV_mfma16_kernelI14__hip_bfloat16hLN4vllm18Fp8KVCacheDataTypeE1ES0_Li16ELi64ELi256ELb1ELi16EL8MFMAType1EEvPKT_PKT0_S9_ifPKiSB_SB_iPKfiiiPfSE_PS4_PT2_iSD_SD_, 642

	.type	__PRETTY_FUNCTION__._Z39paged_attention_ll4mi_QKV_mfma16_kernelI14__hip_bfloat16hLN4vllm18Fp8KVCacheDataTypeE1ES0_Li16ELi64ELi256ELb1ELi1EL8MFMAType1EEvPKT_PKT0_S9_ifPKiSB_SB_iPKfiiiPfSE_PS4_PT2_iSD_SD_,@object ; @__PRETTY_FUNCTION__._Z39paged_attention_ll4mi_QKV_mfma16_kernelI14__hip_bfloat16hLN4vllm18Fp8KVCacheDataTypeE1ES0_Li16ELi64ELi256ELb1ELi1EL8MFMAType1EEvPKT_PKT0_S9_ifPKiSB_SB_iPKfiiiPfSE_PS4_PT2_iSD_SD_
__PRETTY_FUNCTION__._Z39paged_attention_ll4mi_QKV_mfma16_kernelI14__hip_bfloat16hLN4vllm18Fp8KVCacheDataTypeE1ES0_Li16ELi64ELi256ELb1ELi1EL8MFMAType1EEvPKT_PKT0_S9_ifPKiSB_SB_iPKfiiiPfSE_PS4_PT2_iSD_SD_:
	.asciz	"void paged_attention_ll4mi_QKV_mfma16_kernel(const scalar_t *__restrict, const cache_t *__restrict, const cache_t *__restrict, const int, const float, const int *__restrict, const int *__restrict, const int *__restrict, const int, const float *__restrict, const int, const int, const int, float *__restrict, float *__restrict, scalar_t *__restrict, OUTT *__restrict, int, const float *, const float *) [scalar_t = __hip_bfloat16, cache_t = unsigned char, KV_DTYPE = vllm::Fp8KVCacheDataType::kFp8E4M3, OUTT = __hip_bfloat16, BLOCK_SIZE = 16, HEAD_SIZE = 64, NUM_THREADS = 256, ALIBI_ENABLED = true, GQA_RATIO = 1, MFMA_TYPE = MFMAType::Fp8]"
	.size	__PRETTY_FUNCTION__._Z39paged_attention_ll4mi_QKV_mfma16_kernelI14__hip_bfloat16hLN4vllm18Fp8KVCacheDataTypeE1ES0_Li16ELi64ELi256ELb1ELi1EL8MFMAType1EEvPKT_PKT0_S9_ifPKiSB_SB_iPKfiiiPfSE_PS4_PT2_iSD_SD_, 641

	.type	__PRETTY_FUNCTION__._Z39paged_attention_ll4mi_QKV_mfma16_kernelI14__hip_bfloat16hLN4vllm18Fp8KVCacheDataTypeE1ES0_Li16ELi64ELi256ELb1ELi2EL8MFMAType1EEvPKT_PKT0_S9_ifPKiSB_SB_iPKfiiiPfSE_PS4_PT2_iSD_SD_,@object ; @__PRETTY_FUNCTION__._Z39paged_attention_ll4mi_QKV_mfma16_kernelI14__hip_bfloat16hLN4vllm18Fp8KVCacheDataTypeE1ES0_Li16ELi64ELi256ELb1ELi2EL8MFMAType1EEvPKT_PKT0_S9_ifPKiSB_SB_iPKfiiiPfSE_PS4_PT2_iSD_SD_
__PRETTY_FUNCTION__._Z39paged_attention_ll4mi_QKV_mfma16_kernelI14__hip_bfloat16hLN4vllm18Fp8KVCacheDataTypeE1ES0_Li16ELi64ELi256ELb1ELi2EL8MFMAType1EEvPKT_PKT0_S9_ifPKiSB_SB_iPKfiiiPfSE_PS4_PT2_iSD_SD_:
	.asciz	"void paged_attention_ll4mi_QKV_mfma16_kernel(const scalar_t *__restrict, const cache_t *__restrict, const cache_t *__restrict, const int, const float, const int *__restrict, const int *__restrict, const int *__restrict, const int, const float *__restrict, const int, const int, const int, float *__restrict, float *__restrict, scalar_t *__restrict, OUTT *__restrict, int, const float *, const float *) [scalar_t = __hip_bfloat16, cache_t = unsigned char, KV_DTYPE = vllm::Fp8KVCacheDataType::kFp8E4M3, OUTT = __hip_bfloat16, BLOCK_SIZE = 16, HEAD_SIZE = 64, NUM_THREADS = 256, ALIBI_ENABLED = true, GQA_RATIO = 2, MFMA_TYPE = MFMAType::Fp8]"
	.size	__PRETTY_FUNCTION__._Z39paged_attention_ll4mi_QKV_mfma16_kernelI14__hip_bfloat16hLN4vllm18Fp8KVCacheDataTypeE1ES0_Li16ELi64ELi256ELb1ELi2EL8MFMAType1EEvPKT_PKT0_S9_ifPKiSB_SB_iPKfiiiPfSE_PS4_PT2_iSD_SD_, 641

	.type	__PRETTY_FUNCTION__._Z39paged_attention_ll4mi_QKV_mfma16_kernelI14__hip_bfloat16hLN4vllm18Fp8KVCacheDataTypeE1ES0_Li16ELi64ELi256ELb1ELi3EL8MFMAType1EEvPKT_PKT0_S9_ifPKiSB_SB_iPKfiiiPfSE_PS4_PT2_iSD_SD_,@object ; @__PRETTY_FUNCTION__._Z39paged_attention_ll4mi_QKV_mfma16_kernelI14__hip_bfloat16hLN4vllm18Fp8KVCacheDataTypeE1ES0_Li16ELi64ELi256ELb1ELi3EL8MFMAType1EEvPKT_PKT0_S9_ifPKiSB_SB_iPKfiiiPfSE_PS4_PT2_iSD_SD_
__PRETTY_FUNCTION__._Z39paged_attention_ll4mi_QKV_mfma16_kernelI14__hip_bfloat16hLN4vllm18Fp8KVCacheDataTypeE1ES0_Li16ELi64ELi256ELb1ELi3EL8MFMAType1EEvPKT_PKT0_S9_ifPKiSB_SB_iPKfiiiPfSE_PS4_PT2_iSD_SD_:
	.asciz	"void paged_attention_ll4mi_QKV_mfma16_kernel(const scalar_t *__restrict, const cache_t *__restrict, const cache_t *__restrict, const int, const float, const int *__restrict, const int *__restrict, const int *__restrict, const int, const float *__restrict, const int, const int, const int, float *__restrict, float *__restrict, scalar_t *__restrict, OUTT *__restrict, int, const float *, const float *) [scalar_t = __hip_bfloat16, cache_t = unsigned char, KV_DTYPE = vllm::Fp8KVCacheDataType::kFp8E4M3, OUTT = __hip_bfloat16, BLOCK_SIZE = 16, HEAD_SIZE = 64, NUM_THREADS = 256, ALIBI_ENABLED = true, GQA_RATIO = 3, MFMA_TYPE = MFMAType::Fp8]"
	.size	__PRETTY_FUNCTION__._Z39paged_attention_ll4mi_QKV_mfma16_kernelI14__hip_bfloat16hLN4vllm18Fp8KVCacheDataTypeE1ES0_Li16ELi64ELi256ELb1ELi3EL8MFMAType1EEvPKT_PKT0_S9_ifPKiSB_SB_iPKfiiiPfSE_PS4_PT2_iSD_SD_, 641

	.type	__PRETTY_FUNCTION__._Z39paged_attention_ll4mi_QKV_mfma16_kernelI14__hip_bfloat16hLN4vllm18Fp8KVCacheDataTypeE1ES0_Li16ELi64ELi256ELb1ELi4EL8MFMAType1EEvPKT_PKT0_S9_ifPKiSB_SB_iPKfiiiPfSE_PS4_PT2_iSD_SD_,@object ; @__PRETTY_FUNCTION__._Z39paged_attention_ll4mi_QKV_mfma16_kernelI14__hip_bfloat16hLN4vllm18Fp8KVCacheDataTypeE1ES0_Li16ELi64ELi256ELb1ELi4EL8MFMAType1EEvPKT_PKT0_S9_ifPKiSB_SB_iPKfiiiPfSE_PS4_PT2_iSD_SD_
__PRETTY_FUNCTION__._Z39paged_attention_ll4mi_QKV_mfma16_kernelI14__hip_bfloat16hLN4vllm18Fp8KVCacheDataTypeE1ES0_Li16ELi64ELi256ELb1ELi4EL8MFMAType1EEvPKT_PKT0_S9_ifPKiSB_SB_iPKfiiiPfSE_PS4_PT2_iSD_SD_:
	.asciz	"void paged_attention_ll4mi_QKV_mfma16_kernel(const scalar_t *__restrict, const cache_t *__restrict, const cache_t *__restrict, const int, const float, const int *__restrict, const int *__restrict, const int *__restrict, const int, const float *__restrict, const int, const int, const int, float *__restrict, float *__restrict, scalar_t *__restrict, OUTT *__restrict, int, const float *, const float *) [scalar_t = __hip_bfloat16, cache_t = unsigned char, KV_DTYPE = vllm::Fp8KVCacheDataType::kFp8E4M3, OUTT = __hip_bfloat16, BLOCK_SIZE = 16, HEAD_SIZE = 64, NUM_THREADS = 256, ALIBI_ENABLED = true, GQA_RATIO = 4, MFMA_TYPE = MFMAType::Fp8]"
	.size	__PRETTY_FUNCTION__._Z39paged_attention_ll4mi_QKV_mfma16_kernelI14__hip_bfloat16hLN4vllm18Fp8KVCacheDataTypeE1ES0_Li16ELi64ELi256ELb1ELi4EL8MFMAType1EEvPKT_PKT0_S9_ifPKiSB_SB_iPKfiiiPfSE_PS4_PT2_iSD_SD_, 641

	.type	__PRETTY_FUNCTION__._Z39paged_attention_ll4mi_QKV_mfma16_kernelI14__hip_bfloat16hLN4vllm18Fp8KVCacheDataTypeE1ES0_Li16ELi64ELi256ELb0ELi5EL8MFMAType1EEvPKT_PKT0_S9_ifPKiSB_SB_iPKfiiiPfSE_PS4_PT2_iSD_SD_,@object ; @__PRETTY_FUNCTION__._Z39paged_attention_ll4mi_QKV_mfma16_kernelI14__hip_bfloat16hLN4vllm18Fp8KVCacheDataTypeE1ES0_Li16ELi64ELi256ELb0ELi5EL8MFMAType1EEvPKT_PKT0_S9_ifPKiSB_SB_iPKfiiiPfSE_PS4_PT2_iSD_SD_
__PRETTY_FUNCTION__._Z39paged_attention_ll4mi_QKV_mfma16_kernelI14__hip_bfloat16hLN4vllm18Fp8KVCacheDataTypeE1ES0_Li16ELi64ELi256ELb0ELi5EL8MFMAType1EEvPKT_PKT0_S9_ifPKiSB_SB_iPKfiiiPfSE_PS4_PT2_iSD_SD_:
	.asciz	"void paged_attention_ll4mi_QKV_mfma16_kernel(const scalar_t *__restrict, const cache_t *__restrict, const cache_t *__restrict, const int, const float, const int *__restrict, const int *__restrict, const int *__restrict, const int, const float *__restrict, const int, const int, const int, float *__restrict, float *__restrict, scalar_t *__restrict, OUTT *__restrict, int, const float *, const float *) [scalar_t = __hip_bfloat16, cache_t = unsigned char, KV_DTYPE = vllm::Fp8KVCacheDataType::kFp8E4M3, OUTT = __hip_bfloat16, BLOCK_SIZE = 16, HEAD_SIZE = 64, NUM_THREADS = 256, ALIBI_ENABLED = false, GQA_RATIO = 5, MFMA_TYPE = MFMAType::Fp8]"
	.size	__PRETTY_FUNCTION__._Z39paged_attention_ll4mi_QKV_mfma16_kernelI14__hip_bfloat16hLN4vllm18Fp8KVCacheDataTypeE1ES0_Li16ELi64ELi256ELb0ELi5EL8MFMAType1EEvPKT_PKT0_S9_ifPKiSB_SB_iPKfiiiPfSE_PS4_PT2_iSD_SD_, 642

	.type	__PRETTY_FUNCTION__._Z39paged_attention_ll4mi_QKV_mfma16_kernelI14__hip_bfloat16hLN4vllm18Fp8KVCacheDataTypeE1ES0_Li16ELi64ELi256ELb0ELi6EL8MFMAType1EEvPKT_PKT0_S9_ifPKiSB_SB_iPKfiiiPfSE_PS4_PT2_iSD_SD_,@object ; @__PRETTY_FUNCTION__._Z39paged_attention_ll4mi_QKV_mfma16_kernelI14__hip_bfloat16hLN4vllm18Fp8KVCacheDataTypeE1ES0_Li16ELi64ELi256ELb0ELi6EL8MFMAType1EEvPKT_PKT0_S9_ifPKiSB_SB_iPKfiiiPfSE_PS4_PT2_iSD_SD_
__PRETTY_FUNCTION__._Z39paged_attention_ll4mi_QKV_mfma16_kernelI14__hip_bfloat16hLN4vllm18Fp8KVCacheDataTypeE1ES0_Li16ELi64ELi256ELb0ELi6EL8MFMAType1EEvPKT_PKT0_S9_ifPKiSB_SB_iPKfiiiPfSE_PS4_PT2_iSD_SD_:
	.asciz	"void paged_attention_ll4mi_QKV_mfma16_kernel(const scalar_t *__restrict, const cache_t *__restrict, const cache_t *__restrict, const int, const float, const int *__restrict, const int *__restrict, const int *__restrict, const int, const float *__restrict, const int, const int, const int, float *__restrict, float *__restrict, scalar_t *__restrict, OUTT *__restrict, int, const float *, const float *) [scalar_t = __hip_bfloat16, cache_t = unsigned char, KV_DTYPE = vllm::Fp8KVCacheDataType::kFp8E4M3, OUTT = __hip_bfloat16, BLOCK_SIZE = 16, HEAD_SIZE = 64, NUM_THREADS = 256, ALIBI_ENABLED = false, GQA_RATIO = 6, MFMA_TYPE = MFMAType::Fp8]"
	.size	__PRETTY_FUNCTION__._Z39paged_attention_ll4mi_QKV_mfma16_kernelI14__hip_bfloat16hLN4vllm18Fp8KVCacheDataTypeE1ES0_Li16ELi64ELi256ELb0ELi6EL8MFMAType1EEvPKT_PKT0_S9_ifPKiSB_SB_iPKfiiiPfSE_PS4_PT2_iSD_SD_, 642

	.type	__PRETTY_FUNCTION__._Z39paged_attention_ll4mi_QKV_mfma16_kernelI14__hip_bfloat16hLN4vllm18Fp8KVCacheDataTypeE1ES0_Li16ELi64ELi256ELb0ELi7EL8MFMAType1EEvPKT_PKT0_S9_ifPKiSB_SB_iPKfiiiPfSE_PS4_PT2_iSD_SD_,@object ; @__PRETTY_FUNCTION__._Z39paged_attention_ll4mi_QKV_mfma16_kernelI14__hip_bfloat16hLN4vllm18Fp8KVCacheDataTypeE1ES0_Li16ELi64ELi256ELb0ELi7EL8MFMAType1EEvPKT_PKT0_S9_ifPKiSB_SB_iPKfiiiPfSE_PS4_PT2_iSD_SD_
__PRETTY_FUNCTION__._Z39paged_attention_ll4mi_QKV_mfma16_kernelI14__hip_bfloat16hLN4vllm18Fp8KVCacheDataTypeE1ES0_Li16ELi64ELi256ELb0ELi7EL8MFMAType1EEvPKT_PKT0_S9_ifPKiSB_SB_iPKfiiiPfSE_PS4_PT2_iSD_SD_:
	.asciz	"void paged_attention_ll4mi_QKV_mfma16_kernel(const scalar_t *__restrict, const cache_t *__restrict, const cache_t *__restrict, const int, const float, const int *__restrict, const int *__restrict, const int *__restrict, const int, const float *__restrict, const int, const int, const int, float *__restrict, float *__restrict, scalar_t *__restrict, OUTT *__restrict, int, const float *, const float *) [scalar_t = __hip_bfloat16, cache_t = unsigned char, KV_DTYPE = vllm::Fp8KVCacheDataType::kFp8E4M3, OUTT = __hip_bfloat16, BLOCK_SIZE = 16, HEAD_SIZE = 64, NUM_THREADS = 256, ALIBI_ENABLED = false, GQA_RATIO = 7, MFMA_TYPE = MFMAType::Fp8]"
	.size	__PRETTY_FUNCTION__._Z39paged_attention_ll4mi_QKV_mfma16_kernelI14__hip_bfloat16hLN4vllm18Fp8KVCacheDataTypeE1ES0_Li16ELi64ELi256ELb0ELi7EL8MFMAType1EEvPKT_PKT0_S9_ifPKiSB_SB_iPKfiiiPfSE_PS4_PT2_iSD_SD_, 642

	.type	__PRETTY_FUNCTION__._Z39paged_attention_ll4mi_QKV_mfma16_kernelI14__hip_bfloat16hLN4vllm18Fp8KVCacheDataTypeE1ES0_Li16ELi64ELi256ELb0ELi8EL8MFMAType1EEvPKT_PKT0_S9_ifPKiSB_SB_iPKfiiiPfSE_PS4_PT2_iSD_SD_,@object ; @__PRETTY_FUNCTION__._Z39paged_attention_ll4mi_QKV_mfma16_kernelI14__hip_bfloat16hLN4vllm18Fp8KVCacheDataTypeE1ES0_Li16ELi64ELi256ELb0ELi8EL8MFMAType1EEvPKT_PKT0_S9_ifPKiSB_SB_iPKfiiiPfSE_PS4_PT2_iSD_SD_
__PRETTY_FUNCTION__._Z39paged_attention_ll4mi_QKV_mfma16_kernelI14__hip_bfloat16hLN4vllm18Fp8KVCacheDataTypeE1ES0_Li16ELi64ELi256ELb0ELi8EL8MFMAType1EEvPKT_PKT0_S9_ifPKiSB_SB_iPKfiiiPfSE_PS4_PT2_iSD_SD_:
	.asciz	"void paged_attention_ll4mi_QKV_mfma16_kernel(const scalar_t *__restrict, const cache_t *__restrict, const cache_t *__restrict, const int, const float, const int *__restrict, const int *__restrict, const int *__restrict, const int, const float *__restrict, const int, const int, const int, float *__restrict, float *__restrict, scalar_t *__restrict, OUTT *__restrict, int, const float *, const float *) [scalar_t = __hip_bfloat16, cache_t = unsigned char, KV_DTYPE = vllm::Fp8KVCacheDataType::kFp8E4M3, OUTT = __hip_bfloat16, BLOCK_SIZE = 16, HEAD_SIZE = 64, NUM_THREADS = 256, ALIBI_ENABLED = false, GQA_RATIO = 8, MFMA_TYPE = MFMAType::Fp8]"
	.size	__PRETTY_FUNCTION__._Z39paged_attention_ll4mi_QKV_mfma16_kernelI14__hip_bfloat16hLN4vllm18Fp8KVCacheDataTypeE1ES0_Li16ELi64ELi256ELb0ELi8EL8MFMAType1EEvPKT_PKT0_S9_ifPKiSB_SB_iPKfiiiPfSE_PS4_PT2_iSD_SD_, 642

	.type	__PRETTY_FUNCTION__._Z39paged_attention_ll4mi_QKV_mfma16_kernelI14__hip_bfloat16hLN4vllm18Fp8KVCacheDataTypeE1ES0_Li16ELi64ELi256ELb0ELi9EL8MFMAType1EEvPKT_PKT0_S9_ifPKiSB_SB_iPKfiiiPfSE_PS4_PT2_iSD_SD_,@object ; @__PRETTY_FUNCTION__._Z39paged_attention_ll4mi_QKV_mfma16_kernelI14__hip_bfloat16hLN4vllm18Fp8KVCacheDataTypeE1ES0_Li16ELi64ELi256ELb0ELi9EL8MFMAType1EEvPKT_PKT0_S9_ifPKiSB_SB_iPKfiiiPfSE_PS4_PT2_iSD_SD_
__PRETTY_FUNCTION__._Z39paged_attention_ll4mi_QKV_mfma16_kernelI14__hip_bfloat16hLN4vllm18Fp8KVCacheDataTypeE1ES0_Li16ELi64ELi256ELb0ELi9EL8MFMAType1EEvPKT_PKT0_S9_ifPKiSB_SB_iPKfiiiPfSE_PS4_PT2_iSD_SD_:
	.asciz	"void paged_attention_ll4mi_QKV_mfma16_kernel(const scalar_t *__restrict, const cache_t *__restrict, const cache_t *__restrict, const int, const float, const int *__restrict, const int *__restrict, const int *__restrict, const int, const float *__restrict, const int, const int, const int, float *__restrict, float *__restrict, scalar_t *__restrict, OUTT *__restrict, int, const float *, const float *) [scalar_t = __hip_bfloat16, cache_t = unsigned char, KV_DTYPE = vllm::Fp8KVCacheDataType::kFp8E4M3, OUTT = __hip_bfloat16, BLOCK_SIZE = 16, HEAD_SIZE = 64, NUM_THREADS = 256, ALIBI_ENABLED = false, GQA_RATIO = 9, MFMA_TYPE = MFMAType::Fp8]"
	.size	__PRETTY_FUNCTION__._Z39paged_attention_ll4mi_QKV_mfma16_kernelI14__hip_bfloat16hLN4vllm18Fp8KVCacheDataTypeE1ES0_Li16ELi64ELi256ELb0ELi9EL8MFMAType1EEvPKT_PKT0_S9_ifPKiSB_SB_iPKfiiiPfSE_PS4_PT2_iSD_SD_, 642

	.type	__PRETTY_FUNCTION__._Z39paged_attention_ll4mi_QKV_mfma16_kernelI14__hip_bfloat16hLN4vllm18Fp8KVCacheDataTypeE1ES0_Li16ELi64ELi256ELb0ELi10EL8MFMAType1EEvPKT_PKT0_S9_ifPKiSB_SB_iPKfiiiPfSE_PS4_PT2_iSD_SD_,@object ; @__PRETTY_FUNCTION__._Z39paged_attention_ll4mi_QKV_mfma16_kernelI14__hip_bfloat16hLN4vllm18Fp8KVCacheDataTypeE1ES0_Li16ELi64ELi256ELb0ELi10EL8MFMAType1EEvPKT_PKT0_S9_ifPKiSB_SB_iPKfiiiPfSE_PS4_PT2_iSD_SD_
__PRETTY_FUNCTION__._Z39paged_attention_ll4mi_QKV_mfma16_kernelI14__hip_bfloat16hLN4vllm18Fp8KVCacheDataTypeE1ES0_Li16ELi64ELi256ELb0ELi10EL8MFMAType1EEvPKT_PKT0_S9_ifPKiSB_SB_iPKfiiiPfSE_PS4_PT2_iSD_SD_:
	.asciz	"void paged_attention_ll4mi_QKV_mfma16_kernel(const scalar_t *__restrict, const cache_t *__restrict, const cache_t *__restrict, const int, const float, const int *__restrict, const int *__restrict, const int *__restrict, const int, const float *__restrict, const int, const int, const int, float *__restrict, float *__restrict, scalar_t *__restrict, OUTT *__restrict, int, const float *, const float *) [scalar_t = __hip_bfloat16, cache_t = unsigned char, KV_DTYPE = vllm::Fp8KVCacheDataType::kFp8E4M3, OUTT = __hip_bfloat16, BLOCK_SIZE = 16, HEAD_SIZE = 64, NUM_THREADS = 256, ALIBI_ENABLED = false, GQA_RATIO = 10, MFMA_TYPE = MFMAType::Fp8]"
	.size	__PRETTY_FUNCTION__._Z39paged_attention_ll4mi_QKV_mfma16_kernelI14__hip_bfloat16hLN4vllm18Fp8KVCacheDataTypeE1ES0_Li16ELi64ELi256ELb0ELi10EL8MFMAType1EEvPKT_PKT0_S9_ifPKiSB_SB_iPKfiiiPfSE_PS4_PT2_iSD_SD_, 643

	.type	__PRETTY_FUNCTION__._Z39paged_attention_ll4mi_QKV_mfma16_kernelI14__hip_bfloat16hLN4vllm18Fp8KVCacheDataTypeE1ES0_Li16ELi64ELi256ELb0ELi11EL8MFMAType1EEvPKT_PKT0_S9_ifPKiSB_SB_iPKfiiiPfSE_PS4_PT2_iSD_SD_,@object ; @__PRETTY_FUNCTION__._Z39paged_attention_ll4mi_QKV_mfma16_kernelI14__hip_bfloat16hLN4vllm18Fp8KVCacheDataTypeE1ES0_Li16ELi64ELi256ELb0ELi11EL8MFMAType1EEvPKT_PKT0_S9_ifPKiSB_SB_iPKfiiiPfSE_PS4_PT2_iSD_SD_
__PRETTY_FUNCTION__._Z39paged_attention_ll4mi_QKV_mfma16_kernelI14__hip_bfloat16hLN4vllm18Fp8KVCacheDataTypeE1ES0_Li16ELi64ELi256ELb0ELi11EL8MFMAType1EEvPKT_PKT0_S9_ifPKiSB_SB_iPKfiiiPfSE_PS4_PT2_iSD_SD_:
	.asciz	"void paged_attention_ll4mi_QKV_mfma16_kernel(const scalar_t *__restrict, const cache_t *__restrict, const cache_t *__restrict, const int, const float, const int *__restrict, const int *__restrict, const int *__restrict, const int, const float *__restrict, const int, const int, const int, float *__restrict, float *__restrict, scalar_t *__restrict, OUTT *__restrict, int, const float *, const float *) [scalar_t = __hip_bfloat16, cache_t = unsigned char, KV_DTYPE = vllm::Fp8KVCacheDataType::kFp8E4M3, OUTT = __hip_bfloat16, BLOCK_SIZE = 16, HEAD_SIZE = 64, NUM_THREADS = 256, ALIBI_ENABLED = false, GQA_RATIO = 11, MFMA_TYPE = MFMAType::Fp8]"
	.size	__PRETTY_FUNCTION__._Z39paged_attention_ll4mi_QKV_mfma16_kernelI14__hip_bfloat16hLN4vllm18Fp8KVCacheDataTypeE1ES0_Li16ELi64ELi256ELb0ELi11EL8MFMAType1EEvPKT_PKT0_S9_ifPKiSB_SB_iPKfiiiPfSE_PS4_PT2_iSD_SD_, 643

	.type	__PRETTY_FUNCTION__._Z39paged_attention_ll4mi_QKV_mfma16_kernelI14__hip_bfloat16hLN4vllm18Fp8KVCacheDataTypeE1ES0_Li16ELi64ELi256ELb0ELi12EL8MFMAType1EEvPKT_PKT0_S9_ifPKiSB_SB_iPKfiiiPfSE_PS4_PT2_iSD_SD_,@object ; @__PRETTY_FUNCTION__._Z39paged_attention_ll4mi_QKV_mfma16_kernelI14__hip_bfloat16hLN4vllm18Fp8KVCacheDataTypeE1ES0_Li16ELi64ELi256ELb0ELi12EL8MFMAType1EEvPKT_PKT0_S9_ifPKiSB_SB_iPKfiiiPfSE_PS4_PT2_iSD_SD_
__PRETTY_FUNCTION__._Z39paged_attention_ll4mi_QKV_mfma16_kernelI14__hip_bfloat16hLN4vllm18Fp8KVCacheDataTypeE1ES0_Li16ELi64ELi256ELb0ELi12EL8MFMAType1EEvPKT_PKT0_S9_ifPKiSB_SB_iPKfiiiPfSE_PS4_PT2_iSD_SD_:
	.asciz	"void paged_attention_ll4mi_QKV_mfma16_kernel(const scalar_t *__restrict, const cache_t *__restrict, const cache_t *__restrict, const int, const float, const int *__restrict, const int *__restrict, const int *__restrict, const int, const float *__restrict, const int, const int, const int, float *__restrict, float *__restrict, scalar_t *__restrict, OUTT *__restrict, int, const float *, const float *) [scalar_t = __hip_bfloat16, cache_t = unsigned char, KV_DTYPE = vllm::Fp8KVCacheDataType::kFp8E4M3, OUTT = __hip_bfloat16, BLOCK_SIZE = 16, HEAD_SIZE = 64, NUM_THREADS = 256, ALIBI_ENABLED = false, GQA_RATIO = 12, MFMA_TYPE = MFMAType::Fp8]"
	.size	__PRETTY_FUNCTION__._Z39paged_attention_ll4mi_QKV_mfma16_kernelI14__hip_bfloat16hLN4vllm18Fp8KVCacheDataTypeE1ES0_Li16ELi64ELi256ELb0ELi12EL8MFMAType1EEvPKT_PKT0_S9_ifPKiSB_SB_iPKfiiiPfSE_PS4_PT2_iSD_SD_, 643

	.type	__PRETTY_FUNCTION__._Z39paged_attention_ll4mi_QKV_mfma16_kernelI14__hip_bfloat16hLN4vllm18Fp8KVCacheDataTypeE1ES0_Li16ELi64ELi256ELb0ELi13EL8MFMAType1EEvPKT_PKT0_S9_ifPKiSB_SB_iPKfiiiPfSE_PS4_PT2_iSD_SD_,@object ; @__PRETTY_FUNCTION__._Z39paged_attention_ll4mi_QKV_mfma16_kernelI14__hip_bfloat16hLN4vllm18Fp8KVCacheDataTypeE1ES0_Li16ELi64ELi256ELb0ELi13EL8MFMAType1EEvPKT_PKT0_S9_ifPKiSB_SB_iPKfiiiPfSE_PS4_PT2_iSD_SD_
__PRETTY_FUNCTION__._Z39paged_attention_ll4mi_QKV_mfma16_kernelI14__hip_bfloat16hLN4vllm18Fp8KVCacheDataTypeE1ES0_Li16ELi64ELi256ELb0ELi13EL8MFMAType1EEvPKT_PKT0_S9_ifPKiSB_SB_iPKfiiiPfSE_PS4_PT2_iSD_SD_:
	.asciz	"void paged_attention_ll4mi_QKV_mfma16_kernel(const scalar_t *__restrict, const cache_t *__restrict, const cache_t *__restrict, const int, const float, const int *__restrict, const int *__restrict, const int *__restrict, const int, const float *__restrict, const int, const int, const int, float *__restrict, float *__restrict, scalar_t *__restrict, OUTT *__restrict, int, const float *, const float *) [scalar_t = __hip_bfloat16, cache_t = unsigned char, KV_DTYPE = vllm::Fp8KVCacheDataType::kFp8E4M3, OUTT = __hip_bfloat16, BLOCK_SIZE = 16, HEAD_SIZE = 64, NUM_THREADS = 256, ALIBI_ENABLED = false, GQA_RATIO = 13, MFMA_TYPE = MFMAType::Fp8]"
	.size	__PRETTY_FUNCTION__._Z39paged_attention_ll4mi_QKV_mfma16_kernelI14__hip_bfloat16hLN4vllm18Fp8KVCacheDataTypeE1ES0_Li16ELi64ELi256ELb0ELi13EL8MFMAType1EEvPKT_PKT0_S9_ifPKiSB_SB_iPKfiiiPfSE_PS4_PT2_iSD_SD_, 643

	.type	__PRETTY_FUNCTION__._Z39paged_attention_ll4mi_QKV_mfma16_kernelI14__hip_bfloat16hLN4vllm18Fp8KVCacheDataTypeE1ES0_Li16ELi64ELi256ELb0ELi14EL8MFMAType1EEvPKT_PKT0_S9_ifPKiSB_SB_iPKfiiiPfSE_PS4_PT2_iSD_SD_,@object ; @__PRETTY_FUNCTION__._Z39paged_attention_ll4mi_QKV_mfma16_kernelI14__hip_bfloat16hLN4vllm18Fp8KVCacheDataTypeE1ES0_Li16ELi64ELi256ELb0ELi14EL8MFMAType1EEvPKT_PKT0_S9_ifPKiSB_SB_iPKfiiiPfSE_PS4_PT2_iSD_SD_
__PRETTY_FUNCTION__._Z39paged_attention_ll4mi_QKV_mfma16_kernelI14__hip_bfloat16hLN4vllm18Fp8KVCacheDataTypeE1ES0_Li16ELi64ELi256ELb0ELi14EL8MFMAType1EEvPKT_PKT0_S9_ifPKiSB_SB_iPKfiiiPfSE_PS4_PT2_iSD_SD_:
	.asciz	"void paged_attention_ll4mi_QKV_mfma16_kernel(const scalar_t *__restrict, const cache_t *__restrict, const cache_t *__restrict, const int, const float, const int *__restrict, const int *__restrict, const int *__restrict, const int, const float *__restrict, const int, const int, const int, float *__restrict, float *__restrict, scalar_t *__restrict, OUTT *__restrict, int, const float *, const float *) [scalar_t = __hip_bfloat16, cache_t = unsigned char, KV_DTYPE = vllm::Fp8KVCacheDataType::kFp8E4M3, OUTT = __hip_bfloat16, BLOCK_SIZE = 16, HEAD_SIZE = 64, NUM_THREADS = 256, ALIBI_ENABLED = false, GQA_RATIO = 14, MFMA_TYPE = MFMAType::Fp8]"
	.size	__PRETTY_FUNCTION__._Z39paged_attention_ll4mi_QKV_mfma16_kernelI14__hip_bfloat16hLN4vllm18Fp8KVCacheDataTypeE1ES0_Li16ELi64ELi256ELb0ELi14EL8MFMAType1EEvPKT_PKT0_S9_ifPKiSB_SB_iPKfiiiPfSE_PS4_PT2_iSD_SD_, 643

	.type	__PRETTY_FUNCTION__._Z39paged_attention_ll4mi_QKV_mfma16_kernelI14__hip_bfloat16hLN4vllm18Fp8KVCacheDataTypeE1ES0_Li16ELi64ELi256ELb0ELi15EL8MFMAType1EEvPKT_PKT0_S9_ifPKiSB_SB_iPKfiiiPfSE_PS4_PT2_iSD_SD_,@object ; @__PRETTY_FUNCTION__._Z39paged_attention_ll4mi_QKV_mfma16_kernelI14__hip_bfloat16hLN4vllm18Fp8KVCacheDataTypeE1ES0_Li16ELi64ELi256ELb0ELi15EL8MFMAType1EEvPKT_PKT0_S9_ifPKiSB_SB_iPKfiiiPfSE_PS4_PT2_iSD_SD_
__PRETTY_FUNCTION__._Z39paged_attention_ll4mi_QKV_mfma16_kernelI14__hip_bfloat16hLN4vllm18Fp8KVCacheDataTypeE1ES0_Li16ELi64ELi256ELb0ELi15EL8MFMAType1EEvPKT_PKT0_S9_ifPKiSB_SB_iPKfiiiPfSE_PS4_PT2_iSD_SD_:
	.asciz	"void paged_attention_ll4mi_QKV_mfma16_kernel(const scalar_t *__restrict, const cache_t *__restrict, const cache_t *__restrict, const int, const float, const int *__restrict, const int *__restrict, const int *__restrict, const int, const float *__restrict, const int, const int, const int, float *__restrict, float *__restrict, scalar_t *__restrict, OUTT *__restrict, int, const float *, const float *) [scalar_t = __hip_bfloat16, cache_t = unsigned char, KV_DTYPE = vllm::Fp8KVCacheDataType::kFp8E4M3, OUTT = __hip_bfloat16, BLOCK_SIZE = 16, HEAD_SIZE = 64, NUM_THREADS = 256, ALIBI_ENABLED = false, GQA_RATIO = 15, MFMA_TYPE = MFMAType::Fp8]"
	.size	__PRETTY_FUNCTION__._Z39paged_attention_ll4mi_QKV_mfma16_kernelI14__hip_bfloat16hLN4vllm18Fp8KVCacheDataTypeE1ES0_Li16ELi64ELi256ELb0ELi15EL8MFMAType1EEvPKT_PKT0_S9_ifPKiSB_SB_iPKfiiiPfSE_PS4_PT2_iSD_SD_, 643

	.type	__PRETTY_FUNCTION__._Z39paged_attention_ll4mi_QKV_mfma16_kernelI14__hip_bfloat16hLN4vllm18Fp8KVCacheDataTypeE1ES0_Li16ELi64ELi256ELb0ELi16EL8MFMAType1EEvPKT_PKT0_S9_ifPKiSB_SB_iPKfiiiPfSE_PS4_PT2_iSD_SD_,@object ; @__PRETTY_FUNCTION__._Z39paged_attention_ll4mi_QKV_mfma16_kernelI14__hip_bfloat16hLN4vllm18Fp8KVCacheDataTypeE1ES0_Li16ELi64ELi256ELb0ELi16EL8MFMAType1EEvPKT_PKT0_S9_ifPKiSB_SB_iPKfiiiPfSE_PS4_PT2_iSD_SD_
__PRETTY_FUNCTION__._Z39paged_attention_ll4mi_QKV_mfma16_kernelI14__hip_bfloat16hLN4vllm18Fp8KVCacheDataTypeE1ES0_Li16ELi64ELi256ELb0ELi16EL8MFMAType1EEvPKT_PKT0_S9_ifPKiSB_SB_iPKfiiiPfSE_PS4_PT2_iSD_SD_:
	.asciz	"void paged_attention_ll4mi_QKV_mfma16_kernel(const scalar_t *__restrict, const cache_t *__restrict, const cache_t *__restrict, const int, const float, const int *__restrict, const int *__restrict, const int *__restrict, const int, const float *__restrict, const int, const int, const int, float *__restrict, float *__restrict, scalar_t *__restrict, OUTT *__restrict, int, const float *, const float *) [scalar_t = __hip_bfloat16, cache_t = unsigned char, KV_DTYPE = vllm::Fp8KVCacheDataType::kFp8E4M3, OUTT = __hip_bfloat16, BLOCK_SIZE = 16, HEAD_SIZE = 64, NUM_THREADS = 256, ALIBI_ENABLED = false, GQA_RATIO = 16, MFMA_TYPE = MFMAType::Fp8]"
	.size	__PRETTY_FUNCTION__._Z39paged_attention_ll4mi_QKV_mfma16_kernelI14__hip_bfloat16hLN4vllm18Fp8KVCacheDataTypeE1ES0_Li16ELi64ELi256ELb0ELi16EL8MFMAType1EEvPKT_PKT0_S9_ifPKiSB_SB_iPKfiiiPfSE_PS4_PT2_iSD_SD_, 643

	.type	__PRETTY_FUNCTION__._Z39paged_attention_ll4mi_QKV_mfma16_kernelI14__hip_bfloat16hLN4vllm18Fp8KVCacheDataTypeE1ES0_Li16ELi64ELi256ELb0ELi1EL8MFMAType1EEvPKT_PKT0_S9_ifPKiSB_SB_iPKfiiiPfSE_PS4_PT2_iSD_SD_,@object ; @__PRETTY_FUNCTION__._Z39paged_attention_ll4mi_QKV_mfma16_kernelI14__hip_bfloat16hLN4vllm18Fp8KVCacheDataTypeE1ES0_Li16ELi64ELi256ELb0ELi1EL8MFMAType1EEvPKT_PKT0_S9_ifPKiSB_SB_iPKfiiiPfSE_PS4_PT2_iSD_SD_
__PRETTY_FUNCTION__._Z39paged_attention_ll4mi_QKV_mfma16_kernelI14__hip_bfloat16hLN4vllm18Fp8KVCacheDataTypeE1ES0_Li16ELi64ELi256ELb0ELi1EL8MFMAType1EEvPKT_PKT0_S9_ifPKiSB_SB_iPKfiiiPfSE_PS4_PT2_iSD_SD_:
	.asciz	"void paged_attention_ll4mi_QKV_mfma16_kernel(const scalar_t *__restrict, const cache_t *__restrict, const cache_t *__restrict, const int, const float, const int *__restrict, const int *__restrict, const int *__restrict, const int, const float *__restrict, const int, const int, const int, float *__restrict, float *__restrict, scalar_t *__restrict, OUTT *__restrict, int, const float *, const float *) [scalar_t = __hip_bfloat16, cache_t = unsigned char, KV_DTYPE = vllm::Fp8KVCacheDataType::kFp8E4M3, OUTT = __hip_bfloat16, BLOCK_SIZE = 16, HEAD_SIZE = 64, NUM_THREADS = 256, ALIBI_ENABLED = false, GQA_RATIO = 1, MFMA_TYPE = MFMAType::Fp8]"
	.size	__PRETTY_FUNCTION__._Z39paged_attention_ll4mi_QKV_mfma16_kernelI14__hip_bfloat16hLN4vllm18Fp8KVCacheDataTypeE1ES0_Li16ELi64ELi256ELb0ELi1EL8MFMAType1EEvPKT_PKT0_S9_ifPKiSB_SB_iPKfiiiPfSE_PS4_PT2_iSD_SD_, 642

	.type	__PRETTY_FUNCTION__._Z39paged_attention_ll4mi_QKV_mfma16_kernelI14__hip_bfloat16hLN4vllm18Fp8KVCacheDataTypeE1ES0_Li16ELi64ELi256ELb0ELi2EL8MFMAType1EEvPKT_PKT0_S9_ifPKiSB_SB_iPKfiiiPfSE_PS4_PT2_iSD_SD_,@object ; @__PRETTY_FUNCTION__._Z39paged_attention_ll4mi_QKV_mfma16_kernelI14__hip_bfloat16hLN4vllm18Fp8KVCacheDataTypeE1ES0_Li16ELi64ELi256ELb0ELi2EL8MFMAType1EEvPKT_PKT0_S9_ifPKiSB_SB_iPKfiiiPfSE_PS4_PT2_iSD_SD_
__PRETTY_FUNCTION__._Z39paged_attention_ll4mi_QKV_mfma16_kernelI14__hip_bfloat16hLN4vllm18Fp8KVCacheDataTypeE1ES0_Li16ELi64ELi256ELb0ELi2EL8MFMAType1EEvPKT_PKT0_S9_ifPKiSB_SB_iPKfiiiPfSE_PS4_PT2_iSD_SD_:
	.asciz	"void paged_attention_ll4mi_QKV_mfma16_kernel(const scalar_t *__restrict, const cache_t *__restrict, const cache_t *__restrict, const int, const float, const int *__restrict, const int *__restrict, const int *__restrict, const int, const float *__restrict, const int, const int, const int, float *__restrict, float *__restrict, scalar_t *__restrict, OUTT *__restrict, int, const float *, const float *) [scalar_t = __hip_bfloat16, cache_t = unsigned char, KV_DTYPE = vllm::Fp8KVCacheDataType::kFp8E4M3, OUTT = __hip_bfloat16, BLOCK_SIZE = 16, HEAD_SIZE = 64, NUM_THREADS = 256, ALIBI_ENABLED = false, GQA_RATIO = 2, MFMA_TYPE = MFMAType::Fp8]"
	.size	__PRETTY_FUNCTION__._Z39paged_attention_ll4mi_QKV_mfma16_kernelI14__hip_bfloat16hLN4vllm18Fp8KVCacheDataTypeE1ES0_Li16ELi64ELi256ELb0ELi2EL8MFMAType1EEvPKT_PKT0_S9_ifPKiSB_SB_iPKfiiiPfSE_PS4_PT2_iSD_SD_, 642

	.type	__PRETTY_FUNCTION__._Z39paged_attention_ll4mi_QKV_mfma16_kernelI14__hip_bfloat16hLN4vllm18Fp8KVCacheDataTypeE1ES0_Li16ELi64ELi256ELb0ELi3EL8MFMAType1EEvPKT_PKT0_S9_ifPKiSB_SB_iPKfiiiPfSE_PS4_PT2_iSD_SD_,@object ; @__PRETTY_FUNCTION__._Z39paged_attention_ll4mi_QKV_mfma16_kernelI14__hip_bfloat16hLN4vllm18Fp8KVCacheDataTypeE1ES0_Li16ELi64ELi256ELb0ELi3EL8MFMAType1EEvPKT_PKT0_S9_ifPKiSB_SB_iPKfiiiPfSE_PS4_PT2_iSD_SD_
__PRETTY_FUNCTION__._Z39paged_attention_ll4mi_QKV_mfma16_kernelI14__hip_bfloat16hLN4vllm18Fp8KVCacheDataTypeE1ES0_Li16ELi64ELi256ELb0ELi3EL8MFMAType1EEvPKT_PKT0_S9_ifPKiSB_SB_iPKfiiiPfSE_PS4_PT2_iSD_SD_:
	.asciz	"void paged_attention_ll4mi_QKV_mfma16_kernel(const scalar_t *__restrict, const cache_t *__restrict, const cache_t *__restrict, const int, const float, const int *__restrict, const int *__restrict, const int *__restrict, const int, const float *__restrict, const int, const int, const int, float *__restrict, float *__restrict, scalar_t *__restrict, OUTT *__restrict, int, const float *, const float *) [scalar_t = __hip_bfloat16, cache_t = unsigned char, KV_DTYPE = vllm::Fp8KVCacheDataType::kFp8E4M3, OUTT = __hip_bfloat16, BLOCK_SIZE = 16, HEAD_SIZE = 64, NUM_THREADS = 256, ALIBI_ENABLED = false, GQA_RATIO = 3, MFMA_TYPE = MFMAType::Fp8]"
	.size	__PRETTY_FUNCTION__._Z39paged_attention_ll4mi_QKV_mfma16_kernelI14__hip_bfloat16hLN4vllm18Fp8KVCacheDataTypeE1ES0_Li16ELi64ELi256ELb0ELi3EL8MFMAType1EEvPKT_PKT0_S9_ifPKiSB_SB_iPKfiiiPfSE_PS4_PT2_iSD_SD_, 642

	.type	__PRETTY_FUNCTION__._Z39paged_attention_ll4mi_QKV_mfma16_kernelI14__hip_bfloat16hLN4vllm18Fp8KVCacheDataTypeE1ES0_Li16ELi64ELi256ELb0ELi4EL8MFMAType1EEvPKT_PKT0_S9_ifPKiSB_SB_iPKfiiiPfSE_PS4_PT2_iSD_SD_,@object ; @__PRETTY_FUNCTION__._Z39paged_attention_ll4mi_QKV_mfma16_kernelI14__hip_bfloat16hLN4vllm18Fp8KVCacheDataTypeE1ES0_Li16ELi64ELi256ELb0ELi4EL8MFMAType1EEvPKT_PKT0_S9_ifPKiSB_SB_iPKfiiiPfSE_PS4_PT2_iSD_SD_
__PRETTY_FUNCTION__._Z39paged_attention_ll4mi_QKV_mfma16_kernelI14__hip_bfloat16hLN4vllm18Fp8KVCacheDataTypeE1ES0_Li16ELi64ELi256ELb0ELi4EL8MFMAType1EEvPKT_PKT0_S9_ifPKiSB_SB_iPKfiiiPfSE_PS4_PT2_iSD_SD_:
	.asciz	"void paged_attention_ll4mi_QKV_mfma16_kernel(const scalar_t *__restrict, const cache_t *__restrict, const cache_t *__restrict, const int, const float, const int *__restrict, const int *__restrict, const int *__restrict, const int, const float *__restrict, const int, const int, const int, float *__restrict, float *__restrict, scalar_t *__restrict, OUTT *__restrict, int, const float *, const float *) [scalar_t = __hip_bfloat16, cache_t = unsigned char, KV_DTYPE = vllm::Fp8KVCacheDataType::kFp8E4M3, OUTT = __hip_bfloat16, BLOCK_SIZE = 16, HEAD_SIZE = 64, NUM_THREADS = 256, ALIBI_ENABLED = false, GQA_RATIO = 4, MFMA_TYPE = MFMAType::Fp8]"
	.size	__PRETTY_FUNCTION__._Z39paged_attention_ll4mi_QKV_mfma16_kernelI14__hip_bfloat16hLN4vllm18Fp8KVCacheDataTypeE1ES0_Li16ELi64ELi256ELb0ELi4EL8MFMAType1EEvPKT_PKT0_S9_ifPKiSB_SB_iPKfiiiPfSE_PS4_PT2_iSD_SD_, 642

	.type	__PRETTY_FUNCTION__._Z39paged_attention_ll4mi_QKV_mfma16_kernelI14__hip_bfloat16hLN4vllm18Fp8KVCacheDataTypeE1ES0_Li32ELi64ELi256ELb1ELi5EL8MFMAType1EEvPKT_PKT0_S9_ifPKiSB_SB_iPKfiiiPfSE_PS4_PT2_iSD_SD_,@object ; @__PRETTY_FUNCTION__._Z39paged_attention_ll4mi_QKV_mfma16_kernelI14__hip_bfloat16hLN4vllm18Fp8KVCacheDataTypeE1ES0_Li32ELi64ELi256ELb1ELi5EL8MFMAType1EEvPKT_PKT0_S9_ifPKiSB_SB_iPKfiiiPfSE_PS4_PT2_iSD_SD_
__PRETTY_FUNCTION__._Z39paged_attention_ll4mi_QKV_mfma16_kernelI14__hip_bfloat16hLN4vllm18Fp8KVCacheDataTypeE1ES0_Li32ELi64ELi256ELb1ELi5EL8MFMAType1EEvPKT_PKT0_S9_ifPKiSB_SB_iPKfiiiPfSE_PS4_PT2_iSD_SD_:
	.asciz	"void paged_attention_ll4mi_QKV_mfma16_kernel(const scalar_t *__restrict, const cache_t *__restrict, const cache_t *__restrict, const int, const float, const int *__restrict, const int *__restrict, const int *__restrict, const int, const float *__restrict, const int, const int, const int, float *__restrict, float *__restrict, scalar_t *__restrict, OUTT *__restrict, int, const float *, const float *) [scalar_t = __hip_bfloat16, cache_t = unsigned char, KV_DTYPE = vllm::Fp8KVCacheDataType::kFp8E4M3, OUTT = __hip_bfloat16, BLOCK_SIZE = 32, HEAD_SIZE = 64, NUM_THREADS = 256, ALIBI_ENABLED = true, GQA_RATIO = 5, MFMA_TYPE = MFMAType::Fp8]"
	.size	__PRETTY_FUNCTION__._Z39paged_attention_ll4mi_QKV_mfma16_kernelI14__hip_bfloat16hLN4vllm18Fp8KVCacheDataTypeE1ES0_Li32ELi64ELi256ELb1ELi5EL8MFMAType1EEvPKT_PKT0_S9_ifPKiSB_SB_iPKfiiiPfSE_PS4_PT2_iSD_SD_, 641

	.type	__PRETTY_FUNCTION__._Z39paged_attention_ll4mi_QKV_mfma16_kernelI14__hip_bfloat16hLN4vllm18Fp8KVCacheDataTypeE1ES0_Li32ELi64ELi256ELb1ELi6EL8MFMAType1EEvPKT_PKT0_S9_ifPKiSB_SB_iPKfiiiPfSE_PS4_PT2_iSD_SD_,@object ; @__PRETTY_FUNCTION__._Z39paged_attention_ll4mi_QKV_mfma16_kernelI14__hip_bfloat16hLN4vllm18Fp8KVCacheDataTypeE1ES0_Li32ELi64ELi256ELb1ELi6EL8MFMAType1EEvPKT_PKT0_S9_ifPKiSB_SB_iPKfiiiPfSE_PS4_PT2_iSD_SD_
__PRETTY_FUNCTION__._Z39paged_attention_ll4mi_QKV_mfma16_kernelI14__hip_bfloat16hLN4vllm18Fp8KVCacheDataTypeE1ES0_Li32ELi64ELi256ELb1ELi6EL8MFMAType1EEvPKT_PKT0_S9_ifPKiSB_SB_iPKfiiiPfSE_PS4_PT2_iSD_SD_:
	.asciz	"void paged_attention_ll4mi_QKV_mfma16_kernel(const scalar_t *__restrict, const cache_t *__restrict, const cache_t *__restrict, const int, const float, const int *__restrict, const int *__restrict, const int *__restrict, const int, const float *__restrict, const int, const int, const int, float *__restrict, float *__restrict, scalar_t *__restrict, OUTT *__restrict, int, const float *, const float *) [scalar_t = __hip_bfloat16, cache_t = unsigned char, KV_DTYPE = vllm::Fp8KVCacheDataType::kFp8E4M3, OUTT = __hip_bfloat16, BLOCK_SIZE = 32, HEAD_SIZE = 64, NUM_THREADS = 256, ALIBI_ENABLED = true, GQA_RATIO = 6, MFMA_TYPE = MFMAType::Fp8]"
	.size	__PRETTY_FUNCTION__._Z39paged_attention_ll4mi_QKV_mfma16_kernelI14__hip_bfloat16hLN4vllm18Fp8KVCacheDataTypeE1ES0_Li32ELi64ELi256ELb1ELi6EL8MFMAType1EEvPKT_PKT0_S9_ifPKiSB_SB_iPKfiiiPfSE_PS4_PT2_iSD_SD_, 641

	.type	__PRETTY_FUNCTION__._Z39paged_attention_ll4mi_QKV_mfma16_kernelI14__hip_bfloat16hLN4vllm18Fp8KVCacheDataTypeE1ES0_Li32ELi64ELi256ELb1ELi7EL8MFMAType1EEvPKT_PKT0_S9_ifPKiSB_SB_iPKfiiiPfSE_PS4_PT2_iSD_SD_,@object ; @__PRETTY_FUNCTION__._Z39paged_attention_ll4mi_QKV_mfma16_kernelI14__hip_bfloat16hLN4vllm18Fp8KVCacheDataTypeE1ES0_Li32ELi64ELi256ELb1ELi7EL8MFMAType1EEvPKT_PKT0_S9_ifPKiSB_SB_iPKfiiiPfSE_PS4_PT2_iSD_SD_
__PRETTY_FUNCTION__._Z39paged_attention_ll4mi_QKV_mfma16_kernelI14__hip_bfloat16hLN4vllm18Fp8KVCacheDataTypeE1ES0_Li32ELi64ELi256ELb1ELi7EL8MFMAType1EEvPKT_PKT0_S9_ifPKiSB_SB_iPKfiiiPfSE_PS4_PT2_iSD_SD_:
	.asciz	"void paged_attention_ll4mi_QKV_mfma16_kernel(const scalar_t *__restrict, const cache_t *__restrict, const cache_t *__restrict, const int, const float, const int *__restrict, const int *__restrict, const int *__restrict, const int, const float *__restrict, const int, const int, const int, float *__restrict, float *__restrict, scalar_t *__restrict, OUTT *__restrict, int, const float *, const float *) [scalar_t = __hip_bfloat16, cache_t = unsigned char, KV_DTYPE = vllm::Fp8KVCacheDataType::kFp8E4M3, OUTT = __hip_bfloat16, BLOCK_SIZE = 32, HEAD_SIZE = 64, NUM_THREADS = 256, ALIBI_ENABLED = true, GQA_RATIO = 7, MFMA_TYPE = MFMAType::Fp8]"
	.size	__PRETTY_FUNCTION__._Z39paged_attention_ll4mi_QKV_mfma16_kernelI14__hip_bfloat16hLN4vllm18Fp8KVCacheDataTypeE1ES0_Li32ELi64ELi256ELb1ELi7EL8MFMAType1EEvPKT_PKT0_S9_ifPKiSB_SB_iPKfiiiPfSE_PS4_PT2_iSD_SD_, 641

	.type	__PRETTY_FUNCTION__._Z39paged_attention_ll4mi_QKV_mfma16_kernelI14__hip_bfloat16hLN4vllm18Fp8KVCacheDataTypeE1ES0_Li32ELi64ELi256ELb1ELi8EL8MFMAType1EEvPKT_PKT0_S9_ifPKiSB_SB_iPKfiiiPfSE_PS4_PT2_iSD_SD_,@object ; @__PRETTY_FUNCTION__._Z39paged_attention_ll4mi_QKV_mfma16_kernelI14__hip_bfloat16hLN4vllm18Fp8KVCacheDataTypeE1ES0_Li32ELi64ELi256ELb1ELi8EL8MFMAType1EEvPKT_PKT0_S9_ifPKiSB_SB_iPKfiiiPfSE_PS4_PT2_iSD_SD_
__PRETTY_FUNCTION__._Z39paged_attention_ll4mi_QKV_mfma16_kernelI14__hip_bfloat16hLN4vllm18Fp8KVCacheDataTypeE1ES0_Li32ELi64ELi256ELb1ELi8EL8MFMAType1EEvPKT_PKT0_S9_ifPKiSB_SB_iPKfiiiPfSE_PS4_PT2_iSD_SD_:
	.asciz	"void paged_attention_ll4mi_QKV_mfma16_kernel(const scalar_t *__restrict, const cache_t *__restrict, const cache_t *__restrict, const int, const float, const int *__restrict, const int *__restrict, const int *__restrict, const int, const float *__restrict, const int, const int, const int, float *__restrict, float *__restrict, scalar_t *__restrict, OUTT *__restrict, int, const float *, const float *) [scalar_t = __hip_bfloat16, cache_t = unsigned char, KV_DTYPE = vllm::Fp8KVCacheDataType::kFp8E4M3, OUTT = __hip_bfloat16, BLOCK_SIZE = 32, HEAD_SIZE = 64, NUM_THREADS = 256, ALIBI_ENABLED = true, GQA_RATIO = 8, MFMA_TYPE = MFMAType::Fp8]"
	.size	__PRETTY_FUNCTION__._Z39paged_attention_ll4mi_QKV_mfma16_kernelI14__hip_bfloat16hLN4vllm18Fp8KVCacheDataTypeE1ES0_Li32ELi64ELi256ELb1ELi8EL8MFMAType1EEvPKT_PKT0_S9_ifPKiSB_SB_iPKfiiiPfSE_PS4_PT2_iSD_SD_, 641

	.type	__PRETTY_FUNCTION__._Z39paged_attention_ll4mi_QKV_mfma16_kernelI14__hip_bfloat16hLN4vllm18Fp8KVCacheDataTypeE1ES0_Li32ELi64ELi256ELb1ELi9EL8MFMAType1EEvPKT_PKT0_S9_ifPKiSB_SB_iPKfiiiPfSE_PS4_PT2_iSD_SD_,@object ; @__PRETTY_FUNCTION__._Z39paged_attention_ll4mi_QKV_mfma16_kernelI14__hip_bfloat16hLN4vllm18Fp8KVCacheDataTypeE1ES0_Li32ELi64ELi256ELb1ELi9EL8MFMAType1EEvPKT_PKT0_S9_ifPKiSB_SB_iPKfiiiPfSE_PS4_PT2_iSD_SD_
__PRETTY_FUNCTION__._Z39paged_attention_ll4mi_QKV_mfma16_kernelI14__hip_bfloat16hLN4vllm18Fp8KVCacheDataTypeE1ES0_Li32ELi64ELi256ELb1ELi9EL8MFMAType1EEvPKT_PKT0_S9_ifPKiSB_SB_iPKfiiiPfSE_PS4_PT2_iSD_SD_:
	.asciz	"void paged_attention_ll4mi_QKV_mfma16_kernel(const scalar_t *__restrict, const cache_t *__restrict, const cache_t *__restrict, const int, const float, const int *__restrict, const int *__restrict, const int *__restrict, const int, const float *__restrict, const int, const int, const int, float *__restrict, float *__restrict, scalar_t *__restrict, OUTT *__restrict, int, const float *, const float *) [scalar_t = __hip_bfloat16, cache_t = unsigned char, KV_DTYPE = vllm::Fp8KVCacheDataType::kFp8E4M3, OUTT = __hip_bfloat16, BLOCK_SIZE = 32, HEAD_SIZE = 64, NUM_THREADS = 256, ALIBI_ENABLED = true, GQA_RATIO = 9, MFMA_TYPE = MFMAType::Fp8]"
	.size	__PRETTY_FUNCTION__._Z39paged_attention_ll4mi_QKV_mfma16_kernelI14__hip_bfloat16hLN4vllm18Fp8KVCacheDataTypeE1ES0_Li32ELi64ELi256ELb1ELi9EL8MFMAType1EEvPKT_PKT0_S9_ifPKiSB_SB_iPKfiiiPfSE_PS4_PT2_iSD_SD_, 641

	.type	__PRETTY_FUNCTION__._Z39paged_attention_ll4mi_QKV_mfma16_kernelI14__hip_bfloat16hLN4vllm18Fp8KVCacheDataTypeE1ES0_Li32ELi64ELi256ELb1ELi10EL8MFMAType1EEvPKT_PKT0_S9_ifPKiSB_SB_iPKfiiiPfSE_PS4_PT2_iSD_SD_,@object ; @__PRETTY_FUNCTION__._Z39paged_attention_ll4mi_QKV_mfma16_kernelI14__hip_bfloat16hLN4vllm18Fp8KVCacheDataTypeE1ES0_Li32ELi64ELi256ELb1ELi10EL8MFMAType1EEvPKT_PKT0_S9_ifPKiSB_SB_iPKfiiiPfSE_PS4_PT2_iSD_SD_
__PRETTY_FUNCTION__._Z39paged_attention_ll4mi_QKV_mfma16_kernelI14__hip_bfloat16hLN4vllm18Fp8KVCacheDataTypeE1ES0_Li32ELi64ELi256ELb1ELi10EL8MFMAType1EEvPKT_PKT0_S9_ifPKiSB_SB_iPKfiiiPfSE_PS4_PT2_iSD_SD_:
	.asciz	"void paged_attention_ll4mi_QKV_mfma16_kernel(const scalar_t *__restrict, const cache_t *__restrict, const cache_t *__restrict, const int, const float, const int *__restrict, const int *__restrict, const int *__restrict, const int, const float *__restrict, const int, const int, const int, float *__restrict, float *__restrict, scalar_t *__restrict, OUTT *__restrict, int, const float *, const float *) [scalar_t = __hip_bfloat16, cache_t = unsigned char, KV_DTYPE = vllm::Fp8KVCacheDataType::kFp8E4M3, OUTT = __hip_bfloat16, BLOCK_SIZE = 32, HEAD_SIZE = 64, NUM_THREADS = 256, ALIBI_ENABLED = true, GQA_RATIO = 10, MFMA_TYPE = MFMAType::Fp8]"
	.size	__PRETTY_FUNCTION__._Z39paged_attention_ll4mi_QKV_mfma16_kernelI14__hip_bfloat16hLN4vllm18Fp8KVCacheDataTypeE1ES0_Li32ELi64ELi256ELb1ELi10EL8MFMAType1EEvPKT_PKT0_S9_ifPKiSB_SB_iPKfiiiPfSE_PS4_PT2_iSD_SD_, 642

	.type	__PRETTY_FUNCTION__._Z39paged_attention_ll4mi_QKV_mfma16_kernelI14__hip_bfloat16hLN4vllm18Fp8KVCacheDataTypeE1ES0_Li32ELi64ELi256ELb1ELi11EL8MFMAType1EEvPKT_PKT0_S9_ifPKiSB_SB_iPKfiiiPfSE_PS4_PT2_iSD_SD_,@object ; @__PRETTY_FUNCTION__._Z39paged_attention_ll4mi_QKV_mfma16_kernelI14__hip_bfloat16hLN4vllm18Fp8KVCacheDataTypeE1ES0_Li32ELi64ELi256ELb1ELi11EL8MFMAType1EEvPKT_PKT0_S9_ifPKiSB_SB_iPKfiiiPfSE_PS4_PT2_iSD_SD_
__PRETTY_FUNCTION__._Z39paged_attention_ll4mi_QKV_mfma16_kernelI14__hip_bfloat16hLN4vllm18Fp8KVCacheDataTypeE1ES0_Li32ELi64ELi256ELb1ELi11EL8MFMAType1EEvPKT_PKT0_S9_ifPKiSB_SB_iPKfiiiPfSE_PS4_PT2_iSD_SD_:
	.asciz	"void paged_attention_ll4mi_QKV_mfma16_kernel(const scalar_t *__restrict, const cache_t *__restrict, const cache_t *__restrict, const int, const float, const int *__restrict, const int *__restrict, const int *__restrict, const int, const float *__restrict, const int, const int, const int, float *__restrict, float *__restrict, scalar_t *__restrict, OUTT *__restrict, int, const float *, const float *) [scalar_t = __hip_bfloat16, cache_t = unsigned char, KV_DTYPE = vllm::Fp8KVCacheDataType::kFp8E4M3, OUTT = __hip_bfloat16, BLOCK_SIZE = 32, HEAD_SIZE = 64, NUM_THREADS = 256, ALIBI_ENABLED = true, GQA_RATIO = 11, MFMA_TYPE = MFMAType::Fp8]"
	.size	__PRETTY_FUNCTION__._Z39paged_attention_ll4mi_QKV_mfma16_kernelI14__hip_bfloat16hLN4vllm18Fp8KVCacheDataTypeE1ES0_Li32ELi64ELi256ELb1ELi11EL8MFMAType1EEvPKT_PKT0_S9_ifPKiSB_SB_iPKfiiiPfSE_PS4_PT2_iSD_SD_, 642

	.type	__PRETTY_FUNCTION__._Z39paged_attention_ll4mi_QKV_mfma16_kernelI14__hip_bfloat16hLN4vllm18Fp8KVCacheDataTypeE1ES0_Li32ELi64ELi256ELb1ELi12EL8MFMAType1EEvPKT_PKT0_S9_ifPKiSB_SB_iPKfiiiPfSE_PS4_PT2_iSD_SD_,@object ; @__PRETTY_FUNCTION__._Z39paged_attention_ll4mi_QKV_mfma16_kernelI14__hip_bfloat16hLN4vllm18Fp8KVCacheDataTypeE1ES0_Li32ELi64ELi256ELb1ELi12EL8MFMAType1EEvPKT_PKT0_S9_ifPKiSB_SB_iPKfiiiPfSE_PS4_PT2_iSD_SD_
__PRETTY_FUNCTION__._Z39paged_attention_ll4mi_QKV_mfma16_kernelI14__hip_bfloat16hLN4vllm18Fp8KVCacheDataTypeE1ES0_Li32ELi64ELi256ELb1ELi12EL8MFMAType1EEvPKT_PKT0_S9_ifPKiSB_SB_iPKfiiiPfSE_PS4_PT2_iSD_SD_:
	.asciz	"void paged_attention_ll4mi_QKV_mfma16_kernel(const scalar_t *__restrict, const cache_t *__restrict, const cache_t *__restrict, const int, const float, const int *__restrict, const int *__restrict, const int *__restrict, const int, const float *__restrict, const int, const int, const int, float *__restrict, float *__restrict, scalar_t *__restrict, OUTT *__restrict, int, const float *, const float *) [scalar_t = __hip_bfloat16, cache_t = unsigned char, KV_DTYPE = vllm::Fp8KVCacheDataType::kFp8E4M3, OUTT = __hip_bfloat16, BLOCK_SIZE = 32, HEAD_SIZE = 64, NUM_THREADS = 256, ALIBI_ENABLED = true, GQA_RATIO = 12, MFMA_TYPE = MFMAType::Fp8]"
	.size	__PRETTY_FUNCTION__._Z39paged_attention_ll4mi_QKV_mfma16_kernelI14__hip_bfloat16hLN4vllm18Fp8KVCacheDataTypeE1ES0_Li32ELi64ELi256ELb1ELi12EL8MFMAType1EEvPKT_PKT0_S9_ifPKiSB_SB_iPKfiiiPfSE_PS4_PT2_iSD_SD_, 642

	.type	__PRETTY_FUNCTION__._Z39paged_attention_ll4mi_QKV_mfma16_kernelI14__hip_bfloat16hLN4vllm18Fp8KVCacheDataTypeE1ES0_Li32ELi64ELi256ELb1ELi13EL8MFMAType1EEvPKT_PKT0_S9_ifPKiSB_SB_iPKfiiiPfSE_PS4_PT2_iSD_SD_,@object ; @__PRETTY_FUNCTION__._Z39paged_attention_ll4mi_QKV_mfma16_kernelI14__hip_bfloat16hLN4vllm18Fp8KVCacheDataTypeE1ES0_Li32ELi64ELi256ELb1ELi13EL8MFMAType1EEvPKT_PKT0_S9_ifPKiSB_SB_iPKfiiiPfSE_PS4_PT2_iSD_SD_
__PRETTY_FUNCTION__._Z39paged_attention_ll4mi_QKV_mfma16_kernelI14__hip_bfloat16hLN4vllm18Fp8KVCacheDataTypeE1ES0_Li32ELi64ELi256ELb1ELi13EL8MFMAType1EEvPKT_PKT0_S9_ifPKiSB_SB_iPKfiiiPfSE_PS4_PT2_iSD_SD_:
	.asciz	"void paged_attention_ll4mi_QKV_mfma16_kernel(const scalar_t *__restrict, const cache_t *__restrict, const cache_t *__restrict, const int, const float, const int *__restrict, const int *__restrict, const int *__restrict, const int, const float *__restrict, const int, const int, const int, float *__restrict, float *__restrict, scalar_t *__restrict, OUTT *__restrict, int, const float *, const float *) [scalar_t = __hip_bfloat16, cache_t = unsigned char, KV_DTYPE = vllm::Fp8KVCacheDataType::kFp8E4M3, OUTT = __hip_bfloat16, BLOCK_SIZE = 32, HEAD_SIZE = 64, NUM_THREADS = 256, ALIBI_ENABLED = true, GQA_RATIO = 13, MFMA_TYPE = MFMAType::Fp8]"
	.size	__PRETTY_FUNCTION__._Z39paged_attention_ll4mi_QKV_mfma16_kernelI14__hip_bfloat16hLN4vllm18Fp8KVCacheDataTypeE1ES0_Li32ELi64ELi256ELb1ELi13EL8MFMAType1EEvPKT_PKT0_S9_ifPKiSB_SB_iPKfiiiPfSE_PS4_PT2_iSD_SD_, 642

	.type	__PRETTY_FUNCTION__._Z39paged_attention_ll4mi_QKV_mfma16_kernelI14__hip_bfloat16hLN4vllm18Fp8KVCacheDataTypeE1ES0_Li32ELi64ELi256ELb1ELi14EL8MFMAType1EEvPKT_PKT0_S9_ifPKiSB_SB_iPKfiiiPfSE_PS4_PT2_iSD_SD_,@object ; @__PRETTY_FUNCTION__._Z39paged_attention_ll4mi_QKV_mfma16_kernelI14__hip_bfloat16hLN4vllm18Fp8KVCacheDataTypeE1ES0_Li32ELi64ELi256ELb1ELi14EL8MFMAType1EEvPKT_PKT0_S9_ifPKiSB_SB_iPKfiiiPfSE_PS4_PT2_iSD_SD_
__PRETTY_FUNCTION__._Z39paged_attention_ll4mi_QKV_mfma16_kernelI14__hip_bfloat16hLN4vllm18Fp8KVCacheDataTypeE1ES0_Li32ELi64ELi256ELb1ELi14EL8MFMAType1EEvPKT_PKT0_S9_ifPKiSB_SB_iPKfiiiPfSE_PS4_PT2_iSD_SD_:
	.asciz	"void paged_attention_ll4mi_QKV_mfma16_kernel(const scalar_t *__restrict, const cache_t *__restrict, const cache_t *__restrict, const int, const float, const int *__restrict, const int *__restrict, const int *__restrict, const int, const float *__restrict, const int, const int, const int, float *__restrict, float *__restrict, scalar_t *__restrict, OUTT *__restrict, int, const float *, const float *) [scalar_t = __hip_bfloat16, cache_t = unsigned char, KV_DTYPE = vllm::Fp8KVCacheDataType::kFp8E4M3, OUTT = __hip_bfloat16, BLOCK_SIZE = 32, HEAD_SIZE = 64, NUM_THREADS = 256, ALIBI_ENABLED = true, GQA_RATIO = 14, MFMA_TYPE = MFMAType::Fp8]"
	.size	__PRETTY_FUNCTION__._Z39paged_attention_ll4mi_QKV_mfma16_kernelI14__hip_bfloat16hLN4vllm18Fp8KVCacheDataTypeE1ES0_Li32ELi64ELi256ELb1ELi14EL8MFMAType1EEvPKT_PKT0_S9_ifPKiSB_SB_iPKfiiiPfSE_PS4_PT2_iSD_SD_, 642

	.type	__PRETTY_FUNCTION__._Z39paged_attention_ll4mi_QKV_mfma16_kernelI14__hip_bfloat16hLN4vllm18Fp8KVCacheDataTypeE1ES0_Li32ELi64ELi256ELb1ELi15EL8MFMAType1EEvPKT_PKT0_S9_ifPKiSB_SB_iPKfiiiPfSE_PS4_PT2_iSD_SD_,@object ; @__PRETTY_FUNCTION__._Z39paged_attention_ll4mi_QKV_mfma16_kernelI14__hip_bfloat16hLN4vllm18Fp8KVCacheDataTypeE1ES0_Li32ELi64ELi256ELb1ELi15EL8MFMAType1EEvPKT_PKT0_S9_ifPKiSB_SB_iPKfiiiPfSE_PS4_PT2_iSD_SD_
__PRETTY_FUNCTION__._Z39paged_attention_ll4mi_QKV_mfma16_kernelI14__hip_bfloat16hLN4vllm18Fp8KVCacheDataTypeE1ES0_Li32ELi64ELi256ELb1ELi15EL8MFMAType1EEvPKT_PKT0_S9_ifPKiSB_SB_iPKfiiiPfSE_PS4_PT2_iSD_SD_:
	.asciz	"void paged_attention_ll4mi_QKV_mfma16_kernel(const scalar_t *__restrict, const cache_t *__restrict, const cache_t *__restrict, const int, const float, const int *__restrict, const int *__restrict, const int *__restrict, const int, const float *__restrict, const int, const int, const int, float *__restrict, float *__restrict, scalar_t *__restrict, OUTT *__restrict, int, const float *, const float *) [scalar_t = __hip_bfloat16, cache_t = unsigned char, KV_DTYPE = vllm::Fp8KVCacheDataType::kFp8E4M3, OUTT = __hip_bfloat16, BLOCK_SIZE = 32, HEAD_SIZE = 64, NUM_THREADS = 256, ALIBI_ENABLED = true, GQA_RATIO = 15, MFMA_TYPE = MFMAType::Fp8]"
	.size	__PRETTY_FUNCTION__._Z39paged_attention_ll4mi_QKV_mfma16_kernelI14__hip_bfloat16hLN4vllm18Fp8KVCacheDataTypeE1ES0_Li32ELi64ELi256ELb1ELi15EL8MFMAType1EEvPKT_PKT0_S9_ifPKiSB_SB_iPKfiiiPfSE_PS4_PT2_iSD_SD_, 642

	.type	__PRETTY_FUNCTION__._Z39paged_attention_ll4mi_QKV_mfma16_kernelI14__hip_bfloat16hLN4vllm18Fp8KVCacheDataTypeE1ES0_Li32ELi64ELi256ELb1ELi16EL8MFMAType1EEvPKT_PKT0_S9_ifPKiSB_SB_iPKfiiiPfSE_PS4_PT2_iSD_SD_,@object ; @__PRETTY_FUNCTION__._Z39paged_attention_ll4mi_QKV_mfma16_kernelI14__hip_bfloat16hLN4vllm18Fp8KVCacheDataTypeE1ES0_Li32ELi64ELi256ELb1ELi16EL8MFMAType1EEvPKT_PKT0_S9_ifPKiSB_SB_iPKfiiiPfSE_PS4_PT2_iSD_SD_
__PRETTY_FUNCTION__._Z39paged_attention_ll4mi_QKV_mfma16_kernelI14__hip_bfloat16hLN4vllm18Fp8KVCacheDataTypeE1ES0_Li32ELi64ELi256ELb1ELi16EL8MFMAType1EEvPKT_PKT0_S9_ifPKiSB_SB_iPKfiiiPfSE_PS4_PT2_iSD_SD_:
	.asciz	"void paged_attention_ll4mi_QKV_mfma16_kernel(const scalar_t *__restrict, const cache_t *__restrict, const cache_t *__restrict, const int, const float, const int *__restrict, const int *__restrict, const int *__restrict, const int, const float *__restrict, const int, const int, const int, float *__restrict, float *__restrict, scalar_t *__restrict, OUTT *__restrict, int, const float *, const float *) [scalar_t = __hip_bfloat16, cache_t = unsigned char, KV_DTYPE = vllm::Fp8KVCacheDataType::kFp8E4M3, OUTT = __hip_bfloat16, BLOCK_SIZE = 32, HEAD_SIZE = 64, NUM_THREADS = 256, ALIBI_ENABLED = true, GQA_RATIO = 16, MFMA_TYPE = MFMAType::Fp8]"
	.size	__PRETTY_FUNCTION__._Z39paged_attention_ll4mi_QKV_mfma16_kernelI14__hip_bfloat16hLN4vllm18Fp8KVCacheDataTypeE1ES0_Li32ELi64ELi256ELb1ELi16EL8MFMAType1EEvPKT_PKT0_S9_ifPKiSB_SB_iPKfiiiPfSE_PS4_PT2_iSD_SD_, 642

	.type	__PRETTY_FUNCTION__._Z39paged_attention_ll4mi_QKV_mfma16_kernelI14__hip_bfloat16hLN4vllm18Fp8KVCacheDataTypeE1ES0_Li32ELi64ELi256ELb1ELi1EL8MFMAType1EEvPKT_PKT0_S9_ifPKiSB_SB_iPKfiiiPfSE_PS4_PT2_iSD_SD_,@object ; @__PRETTY_FUNCTION__._Z39paged_attention_ll4mi_QKV_mfma16_kernelI14__hip_bfloat16hLN4vllm18Fp8KVCacheDataTypeE1ES0_Li32ELi64ELi256ELb1ELi1EL8MFMAType1EEvPKT_PKT0_S9_ifPKiSB_SB_iPKfiiiPfSE_PS4_PT2_iSD_SD_
__PRETTY_FUNCTION__._Z39paged_attention_ll4mi_QKV_mfma16_kernelI14__hip_bfloat16hLN4vllm18Fp8KVCacheDataTypeE1ES0_Li32ELi64ELi256ELb1ELi1EL8MFMAType1EEvPKT_PKT0_S9_ifPKiSB_SB_iPKfiiiPfSE_PS4_PT2_iSD_SD_:
	.asciz	"void paged_attention_ll4mi_QKV_mfma16_kernel(const scalar_t *__restrict, const cache_t *__restrict, const cache_t *__restrict, const int, const float, const int *__restrict, const int *__restrict, const int *__restrict, const int, const float *__restrict, const int, const int, const int, float *__restrict, float *__restrict, scalar_t *__restrict, OUTT *__restrict, int, const float *, const float *) [scalar_t = __hip_bfloat16, cache_t = unsigned char, KV_DTYPE = vllm::Fp8KVCacheDataType::kFp8E4M3, OUTT = __hip_bfloat16, BLOCK_SIZE = 32, HEAD_SIZE = 64, NUM_THREADS = 256, ALIBI_ENABLED = true, GQA_RATIO = 1, MFMA_TYPE = MFMAType::Fp8]"
	.size	__PRETTY_FUNCTION__._Z39paged_attention_ll4mi_QKV_mfma16_kernelI14__hip_bfloat16hLN4vllm18Fp8KVCacheDataTypeE1ES0_Li32ELi64ELi256ELb1ELi1EL8MFMAType1EEvPKT_PKT0_S9_ifPKiSB_SB_iPKfiiiPfSE_PS4_PT2_iSD_SD_, 641

	.type	__PRETTY_FUNCTION__._Z39paged_attention_ll4mi_QKV_mfma16_kernelI14__hip_bfloat16hLN4vllm18Fp8KVCacheDataTypeE1ES0_Li32ELi64ELi256ELb1ELi2EL8MFMAType1EEvPKT_PKT0_S9_ifPKiSB_SB_iPKfiiiPfSE_PS4_PT2_iSD_SD_,@object ; @__PRETTY_FUNCTION__._Z39paged_attention_ll4mi_QKV_mfma16_kernelI14__hip_bfloat16hLN4vllm18Fp8KVCacheDataTypeE1ES0_Li32ELi64ELi256ELb1ELi2EL8MFMAType1EEvPKT_PKT0_S9_ifPKiSB_SB_iPKfiiiPfSE_PS4_PT2_iSD_SD_
__PRETTY_FUNCTION__._Z39paged_attention_ll4mi_QKV_mfma16_kernelI14__hip_bfloat16hLN4vllm18Fp8KVCacheDataTypeE1ES0_Li32ELi64ELi256ELb1ELi2EL8MFMAType1EEvPKT_PKT0_S9_ifPKiSB_SB_iPKfiiiPfSE_PS4_PT2_iSD_SD_:
	.asciz	"void paged_attention_ll4mi_QKV_mfma16_kernel(const scalar_t *__restrict, const cache_t *__restrict, const cache_t *__restrict, const int, const float, const int *__restrict, const int *__restrict, const int *__restrict, const int, const float *__restrict, const int, const int, const int, float *__restrict, float *__restrict, scalar_t *__restrict, OUTT *__restrict, int, const float *, const float *) [scalar_t = __hip_bfloat16, cache_t = unsigned char, KV_DTYPE = vllm::Fp8KVCacheDataType::kFp8E4M3, OUTT = __hip_bfloat16, BLOCK_SIZE = 32, HEAD_SIZE = 64, NUM_THREADS = 256, ALIBI_ENABLED = true, GQA_RATIO = 2, MFMA_TYPE = MFMAType::Fp8]"
	.size	__PRETTY_FUNCTION__._Z39paged_attention_ll4mi_QKV_mfma16_kernelI14__hip_bfloat16hLN4vllm18Fp8KVCacheDataTypeE1ES0_Li32ELi64ELi256ELb1ELi2EL8MFMAType1EEvPKT_PKT0_S9_ifPKiSB_SB_iPKfiiiPfSE_PS4_PT2_iSD_SD_, 641

	.type	__PRETTY_FUNCTION__._Z39paged_attention_ll4mi_QKV_mfma16_kernelI14__hip_bfloat16hLN4vllm18Fp8KVCacheDataTypeE1ES0_Li32ELi64ELi256ELb1ELi3EL8MFMAType1EEvPKT_PKT0_S9_ifPKiSB_SB_iPKfiiiPfSE_PS4_PT2_iSD_SD_,@object ; @__PRETTY_FUNCTION__._Z39paged_attention_ll4mi_QKV_mfma16_kernelI14__hip_bfloat16hLN4vllm18Fp8KVCacheDataTypeE1ES0_Li32ELi64ELi256ELb1ELi3EL8MFMAType1EEvPKT_PKT0_S9_ifPKiSB_SB_iPKfiiiPfSE_PS4_PT2_iSD_SD_
__PRETTY_FUNCTION__._Z39paged_attention_ll4mi_QKV_mfma16_kernelI14__hip_bfloat16hLN4vllm18Fp8KVCacheDataTypeE1ES0_Li32ELi64ELi256ELb1ELi3EL8MFMAType1EEvPKT_PKT0_S9_ifPKiSB_SB_iPKfiiiPfSE_PS4_PT2_iSD_SD_:
	.asciz	"void paged_attention_ll4mi_QKV_mfma16_kernel(const scalar_t *__restrict, const cache_t *__restrict, const cache_t *__restrict, const int, const float, const int *__restrict, const int *__restrict, const int *__restrict, const int, const float *__restrict, const int, const int, const int, float *__restrict, float *__restrict, scalar_t *__restrict, OUTT *__restrict, int, const float *, const float *) [scalar_t = __hip_bfloat16, cache_t = unsigned char, KV_DTYPE = vllm::Fp8KVCacheDataType::kFp8E4M3, OUTT = __hip_bfloat16, BLOCK_SIZE = 32, HEAD_SIZE = 64, NUM_THREADS = 256, ALIBI_ENABLED = true, GQA_RATIO = 3, MFMA_TYPE = MFMAType::Fp8]"
	.size	__PRETTY_FUNCTION__._Z39paged_attention_ll4mi_QKV_mfma16_kernelI14__hip_bfloat16hLN4vllm18Fp8KVCacheDataTypeE1ES0_Li32ELi64ELi256ELb1ELi3EL8MFMAType1EEvPKT_PKT0_S9_ifPKiSB_SB_iPKfiiiPfSE_PS4_PT2_iSD_SD_, 641

	.type	__PRETTY_FUNCTION__._Z39paged_attention_ll4mi_QKV_mfma16_kernelI14__hip_bfloat16hLN4vllm18Fp8KVCacheDataTypeE1ES0_Li32ELi64ELi256ELb1ELi4EL8MFMAType1EEvPKT_PKT0_S9_ifPKiSB_SB_iPKfiiiPfSE_PS4_PT2_iSD_SD_,@object ; @__PRETTY_FUNCTION__._Z39paged_attention_ll4mi_QKV_mfma16_kernelI14__hip_bfloat16hLN4vllm18Fp8KVCacheDataTypeE1ES0_Li32ELi64ELi256ELb1ELi4EL8MFMAType1EEvPKT_PKT0_S9_ifPKiSB_SB_iPKfiiiPfSE_PS4_PT2_iSD_SD_
__PRETTY_FUNCTION__._Z39paged_attention_ll4mi_QKV_mfma16_kernelI14__hip_bfloat16hLN4vllm18Fp8KVCacheDataTypeE1ES0_Li32ELi64ELi256ELb1ELi4EL8MFMAType1EEvPKT_PKT0_S9_ifPKiSB_SB_iPKfiiiPfSE_PS4_PT2_iSD_SD_:
	.asciz	"void paged_attention_ll4mi_QKV_mfma16_kernel(const scalar_t *__restrict, const cache_t *__restrict, const cache_t *__restrict, const int, const float, const int *__restrict, const int *__restrict, const int *__restrict, const int, const float *__restrict, const int, const int, const int, float *__restrict, float *__restrict, scalar_t *__restrict, OUTT *__restrict, int, const float *, const float *) [scalar_t = __hip_bfloat16, cache_t = unsigned char, KV_DTYPE = vllm::Fp8KVCacheDataType::kFp8E4M3, OUTT = __hip_bfloat16, BLOCK_SIZE = 32, HEAD_SIZE = 64, NUM_THREADS = 256, ALIBI_ENABLED = true, GQA_RATIO = 4, MFMA_TYPE = MFMAType::Fp8]"
	.size	__PRETTY_FUNCTION__._Z39paged_attention_ll4mi_QKV_mfma16_kernelI14__hip_bfloat16hLN4vllm18Fp8KVCacheDataTypeE1ES0_Li32ELi64ELi256ELb1ELi4EL8MFMAType1EEvPKT_PKT0_S9_ifPKiSB_SB_iPKfiiiPfSE_PS4_PT2_iSD_SD_, 641

	.type	__PRETTY_FUNCTION__._Z39paged_attention_ll4mi_QKV_mfma16_kernelI14__hip_bfloat16hLN4vllm18Fp8KVCacheDataTypeE1ES0_Li32ELi64ELi256ELb0ELi5EL8MFMAType1EEvPKT_PKT0_S9_ifPKiSB_SB_iPKfiiiPfSE_PS4_PT2_iSD_SD_,@object ; @__PRETTY_FUNCTION__._Z39paged_attention_ll4mi_QKV_mfma16_kernelI14__hip_bfloat16hLN4vllm18Fp8KVCacheDataTypeE1ES0_Li32ELi64ELi256ELb0ELi5EL8MFMAType1EEvPKT_PKT0_S9_ifPKiSB_SB_iPKfiiiPfSE_PS4_PT2_iSD_SD_
__PRETTY_FUNCTION__._Z39paged_attention_ll4mi_QKV_mfma16_kernelI14__hip_bfloat16hLN4vllm18Fp8KVCacheDataTypeE1ES0_Li32ELi64ELi256ELb0ELi5EL8MFMAType1EEvPKT_PKT0_S9_ifPKiSB_SB_iPKfiiiPfSE_PS4_PT2_iSD_SD_:
	.asciz	"void paged_attention_ll4mi_QKV_mfma16_kernel(const scalar_t *__restrict, const cache_t *__restrict, const cache_t *__restrict, const int, const float, const int *__restrict, const int *__restrict, const int *__restrict, const int, const float *__restrict, const int, const int, const int, float *__restrict, float *__restrict, scalar_t *__restrict, OUTT *__restrict, int, const float *, const float *) [scalar_t = __hip_bfloat16, cache_t = unsigned char, KV_DTYPE = vllm::Fp8KVCacheDataType::kFp8E4M3, OUTT = __hip_bfloat16, BLOCK_SIZE = 32, HEAD_SIZE = 64, NUM_THREADS = 256, ALIBI_ENABLED = false, GQA_RATIO = 5, MFMA_TYPE = MFMAType::Fp8]"
	.size	__PRETTY_FUNCTION__._Z39paged_attention_ll4mi_QKV_mfma16_kernelI14__hip_bfloat16hLN4vllm18Fp8KVCacheDataTypeE1ES0_Li32ELi64ELi256ELb0ELi5EL8MFMAType1EEvPKT_PKT0_S9_ifPKiSB_SB_iPKfiiiPfSE_PS4_PT2_iSD_SD_, 642

	.type	__PRETTY_FUNCTION__._Z39paged_attention_ll4mi_QKV_mfma16_kernelI14__hip_bfloat16hLN4vllm18Fp8KVCacheDataTypeE1ES0_Li32ELi64ELi256ELb0ELi6EL8MFMAType1EEvPKT_PKT0_S9_ifPKiSB_SB_iPKfiiiPfSE_PS4_PT2_iSD_SD_,@object ; @__PRETTY_FUNCTION__._Z39paged_attention_ll4mi_QKV_mfma16_kernelI14__hip_bfloat16hLN4vllm18Fp8KVCacheDataTypeE1ES0_Li32ELi64ELi256ELb0ELi6EL8MFMAType1EEvPKT_PKT0_S9_ifPKiSB_SB_iPKfiiiPfSE_PS4_PT2_iSD_SD_
__PRETTY_FUNCTION__._Z39paged_attention_ll4mi_QKV_mfma16_kernelI14__hip_bfloat16hLN4vllm18Fp8KVCacheDataTypeE1ES0_Li32ELi64ELi256ELb0ELi6EL8MFMAType1EEvPKT_PKT0_S9_ifPKiSB_SB_iPKfiiiPfSE_PS4_PT2_iSD_SD_:
	.asciz	"void paged_attention_ll4mi_QKV_mfma16_kernel(const scalar_t *__restrict, const cache_t *__restrict, const cache_t *__restrict, const int, const float, const int *__restrict, const int *__restrict, const int *__restrict, const int, const float *__restrict, const int, const int, const int, float *__restrict, float *__restrict, scalar_t *__restrict, OUTT *__restrict, int, const float *, const float *) [scalar_t = __hip_bfloat16, cache_t = unsigned char, KV_DTYPE = vllm::Fp8KVCacheDataType::kFp8E4M3, OUTT = __hip_bfloat16, BLOCK_SIZE = 32, HEAD_SIZE = 64, NUM_THREADS = 256, ALIBI_ENABLED = false, GQA_RATIO = 6, MFMA_TYPE = MFMAType::Fp8]"
	.size	__PRETTY_FUNCTION__._Z39paged_attention_ll4mi_QKV_mfma16_kernelI14__hip_bfloat16hLN4vllm18Fp8KVCacheDataTypeE1ES0_Li32ELi64ELi256ELb0ELi6EL8MFMAType1EEvPKT_PKT0_S9_ifPKiSB_SB_iPKfiiiPfSE_PS4_PT2_iSD_SD_, 642

	.type	__PRETTY_FUNCTION__._Z39paged_attention_ll4mi_QKV_mfma16_kernelI14__hip_bfloat16hLN4vllm18Fp8KVCacheDataTypeE1ES0_Li32ELi64ELi256ELb0ELi7EL8MFMAType1EEvPKT_PKT0_S9_ifPKiSB_SB_iPKfiiiPfSE_PS4_PT2_iSD_SD_,@object ; @__PRETTY_FUNCTION__._Z39paged_attention_ll4mi_QKV_mfma16_kernelI14__hip_bfloat16hLN4vllm18Fp8KVCacheDataTypeE1ES0_Li32ELi64ELi256ELb0ELi7EL8MFMAType1EEvPKT_PKT0_S9_ifPKiSB_SB_iPKfiiiPfSE_PS4_PT2_iSD_SD_
__PRETTY_FUNCTION__._Z39paged_attention_ll4mi_QKV_mfma16_kernelI14__hip_bfloat16hLN4vllm18Fp8KVCacheDataTypeE1ES0_Li32ELi64ELi256ELb0ELi7EL8MFMAType1EEvPKT_PKT0_S9_ifPKiSB_SB_iPKfiiiPfSE_PS4_PT2_iSD_SD_:
	.asciz	"void paged_attention_ll4mi_QKV_mfma16_kernel(const scalar_t *__restrict, const cache_t *__restrict, const cache_t *__restrict, const int, const float, const int *__restrict, const int *__restrict, const int *__restrict, const int, const float *__restrict, const int, const int, const int, float *__restrict, float *__restrict, scalar_t *__restrict, OUTT *__restrict, int, const float *, const float *) [scalar_t = __hip_bfloat16, cache_t = unsigned char, KV_DTYPE = vllm::Fp8KVCacheDataType::kFp8E4M3, OUTT = __hip_bfloat16, BLOCK_SIZE = 32, HEAD_SIZE = 64, NUM_THREADS = 256, ALIBI_ENABLED = false, GQA_RATIO = 7, MFMA_TYPE = MFMAType::Fp8]"
	.size	__PRETTY_FUNCTION__._Z39paged_attention_ll4mi_QKV_mfma16_kernelI14__hip_bfloat16hLN4vllm18Fp8KVCacheDataTypeE1ES0_Li32ELi64ELi256ELb0ELi7EL8MFMAType1EEvPKT_PKT0_S9_ifPKiSB_SB_iPKfiiiPfSE_PS4_PT2_iSD_SD_, 642

	.type	__PRETTY_FUNCTION__._Z39paged_attention_ll4mi_QKV_mfma16_kernelI14__hip_bfloat16hLN4vllm18Fp8KVCacheDataTypeE1ES0_Li32ELi64ELi256ELb0ELi8EL8MFMAType1EEvPKT_PKT0_S9_ifPKiSB_SB_iPKfiiiPfSE_PS4_PT2_iSD_SD_,@object ; @__PRETTY_FUNCTION__._Z39paged_attention_ll4mi_QKV_mfma16_kernelI14__hip_bfloat16hLN4vllm18Fp8KVCacheDataTypeE1ES0_Li32ELi64ELi256ELb0ELi8EL8MFMAType1EEvPKT_PKT0_S9_ifPKiSB_SB_iPKfiiiPfSE_PS4_PT2_iSD_SD_
__PRETTY_FUNCTION__._Z39paged_attention_ll4mi_QKV_mfma16_kernelI14__hip_bfloat16hLN4vllm18Fp8KVCacheDataTypeE1ES0_Li32ELi64ELi256ELb0ELi8EL8MFMAType1EEvPKT_PKT0_S9_ifPKiSB_SB_iPKfiiiPfSE_PS4_PT2_iSD_SD_:
	.asciz	"void paged_attention_ll4mi_QKV_mfma16_kernel(const scalar_t *__restrict, const cache_t *__restrict, const cache_t *__restrict, const int, const float, const int *__restrict, const int *__restrict, const int *__restrict, const int, const float *__restrict, const int, const int, const int, float *__restrict, float *__restrict, scalar_t *__restrict, OUTT *__restrict, int, const float *, const float *) [scalar_t = __hip_bfloat16, cache_t = unsigned char, KV_DTYPE = vllm::Fp8KVCacheDataType::kFp8E4M3, OUTT = __hip_bfloat16, BLOCK_SIZE = 32, HEAD_SIZE = 64, NUM_THREADS = 256, ALIBI_ENABLED = false, GQA_RATIO = 8, MFMA_TYPE = MFMAType::Fp8]"
	.size	__PRETTY_FUNCTION__._Z39paged_attention_ll4mi_QKV_mfma16_kernelI14__hip_bfloat16hLN4vllm18Fp8KVCacheDataTypeE1ES0_Li32ELi64ELi256ELb0ELi8EL8MFMAType1EEvPKT_PKT0_S9_ifPKiSB_SB_iPKfiiiPfSE_PS4_PT2_iSD_SD_, 642

	.type	__PRETTY_FUNCTION__._Z39paged_attention_ll4mi_QKV_mfma16_kernelI14__hip_bfloat16hLN4vllm18Fp8KVCacheDataTypeE1ES0_Li32ELi64ELi256ELb0ELi9EL8MFMAType1EEvPKT_PKT0_S9_ifPKiSB_SB_iPKfiiiPfSE_PS4_PT2_iSD_SD_,@object ; @__PRETTY_FUNCTION__._Z39paged_attention_ll4mi_QKV_mfma16_kernelI14__hip_bfloat16hLN4vllm18Fp8KVCacheDataTypeE1ES0_Li32ELi64ELi256ELb0ELi9EL8MFMAType1EEvPKT_PKT0_S9_ifPKiSB_SB_iPKfiiiPfSE_PS4_PT2_iSD_SD_
__PRETTY_FUNCTION__._Z39paged_attention_ll4mi_QKV_mfma16_kernelI14__hip_bfloat16hLN4vllm18Fp8KVCacheDataTypeE1ES0_Li32ELi64ELi256ELb0ELi9EL8MFMAType1EEvPKT_PKT0_S9_ifPKiSB_SB_iPKfiiiPfSE_PS4_PT2_iSD_SD_:
	.asciz	"void paged_attention_ll4mi_QKV_mfma16_kernel(const scalar_t *__restrict, const cache_t *__restrict, const cache_t *__restrict, const int, const float, const int *__restrict, const int *__restrict, const int *__restrict, const int, const float *__restrict, const int, const int, const int, float *__restrict, float *__restrict, scalar_t *__restrict, OUTT *__restrict, int, const float *, const float *) [scalar_t = __hip_bfloat16, cache_t = unsigned char, KV_DTYPE = vllm::Fp8KVCacheDataType::kFp8E4M3, OUTT = __hip_bfloat16, BLOCK_SIZE = 32, HEAD_SIZE = 64, NUM_THREADS = 256, ALIBI_ENABLED = false, GQA_RATIO = 9, MFMA_TYPE = MFMAType::Fp8]"
	.size	__PRETTY_FUNCTION__._Z39paged_attention_ll4mi_QKV_mfma16_kernelI14__hip_bfloat16hLN4vllm18Fp8KVCacheDataTypeE1ES0_Li32ELi64ELi256ELb0ELi9EL8MFMAType1EEvPKT_PKT0_S9_ifPKiSB_SB_iPKfiiiPfSE_PS4_PT2_iSD_SD_, 642

	.type	__PRETTY_FUNCTION__._Z39paged_attention_ll4mi_QKV_mfma16_kernelI14__hip_bfloat16hLN4vllm18Fp8KVCacheDataTypeE1ES0_Li32ELi64ELi256ELb0ELi10EL8MFMAType1EEvPKT_PKT0_S9_ifPKiSB_SB_iPKfiiiPfSE_PS4_PT2_iSD_SD_,@object ; @__PRETTY_FUNCTION__._Z39paged_attention_ll4mi_QKV_mfma16_kernelI14__hip_bfloat16hLN4vllm18Fp8KVCacheDataTypeE1ES0_Li32ELi64ELi256ELb0ELi10EL8MFMAType1EEvPKT_PKT0_S9_ifPKiSB_SB_iPKfiiiPfSE_PS4_PT2_iSD_SD_
__PRETTY_FUNCTION__._Z39paged_attention_ll4mi_QKV_mfma16_kernelI14__hip_bfloat16hLN4vllm18Fp8KVCacheDataTypeE1ES0_Li32ELi64ELi256ELb0ELi10EL8MFMAType1EEvPKT_PKT0_S9_ifPKiSB_SB_iPKfiiiPfSE_PS4_PT2_iSD_SD_:
	.asciz	"void paged_attention_ll4mi_QKV_mfma16_kernel(const scalar_t *__restrict, const cache_t *__restrict, const cache_t *__restrict, const int, const float, const int *__restrict, const int *__restrict, const int *__restrict, const int, const float *__restrict, const int, const int, const int, float *__restrict, float *__restrict, scalar_t *__restrict, OUTT *__restrict, int, const float *, const float *) [scalar_t = __hip_bfloat16, cache_t = unsigned char, KV_DTYPE = vllm::Fp8KVCacheDataType::kFp8E4M3, OUTT = __hip_bfloat16, BLOCK_SIZE = 32, HEAD_SIZE = 64, NUM_THREADS = 256, ALIBI_ENABLED = false, GQA_RATIO = 10, MFMA_TYPE = MFMAType::Fp8]"
	.size	__PRETTY_FUNCTION__._Z39paged_attention_ll4mi_QKV_mfma16_kernelI14__hip_bfloat16hLN4vllm18Fp8KVCacheDataTypeE1ES0_Li32ELi64ELi256ELb0ELi10EL8MFMAType1EEvPKT_PKT0_S9_ifPKiSB_SB_iPKfiiiPfSE_PS4_PT2_iSD_SD_, 643

	.type	__PRETTY_FUNCTION__._Z39paged_attention_ll4mi_QKV_mfma16_kernelI14__hip_bfloat16hLN4vllm18Fp8KVCacheDataTypeE1ES0_Li32ELi64ELi256ELb0ELi11EL8MFMAType1EEvPKT_PKT0_S9_ifPKiSB_SB_iPKfiiiPfSE_PS4_PT2_iSD_SD_,@object ; @__PRETTY_FUNCTION__._Z39paged_attention_ll4mi_QKV_mfma16_kernelI14__hip_bfloat16hLN4vllm18Fp8KVCacheDataTypeE1ES0_Li32ELi64ELi256ELb0ELi11EL8MFMAType1EEvPKT_PKT0_S9_ifPKiSB_SB_iPKfiiiPfSE_PS4_PT2_iSD_SD_
__PRETTY_FUNCTION__._Z39paged_attention_ll4mi_QKV_mfma16_kernelI14__hip_bfloat16hLN4vllm18Fp8KVCacheDataTypeE1ES0_Li32ELi64ELi256ELb0ELi11EL8MFMAType1EEvPKT_PKT0_S9_ifPKiSB_SB_iPKfiiiPfSE_PS4_PT2_iSD_SD_:
	.asciz	"void paged_attention_ll4mi_QKV_mfma16_kernel(const scalar_t *__restrict, const cache_t *__restrict, const cache_t *__restrict, const int, const float, const int *__restrict, const int *__restrict, const int *__restrict, const int, const float *__restrict, const int, const int, const int, float *__restrict, float *__restrict, scalar_t *__restrict, OUTT *__restrict, int, const float *, const float *) [scalar_t = __hip_bfloat16, cache_t = unsigned char, KV_DTYPE = vllm::Fp8KVCacheDataType::kFp8E4M3, OUTT = __hip_bfloat16, BLOCK_SIZE = 32, HEAD_SIZE = 64, NUM_THREADS = 256, ALIBI_ENABLED = false, GQA_RATIO = 11, MFMA_TYPE = MFMAType::Fp8]"
	.size	__PRETTY_FUNCTION__._Z39paged_attention_ll4mi_QKV_mfma16_kernelI14__hip_bfloat16hLN4vllm18Fp8KVCacheDataTypeE1ES0_Li32ELi64ELi256ELb0ELi11EL8MFMAType1EEvPKT_PKT0_S9_ifPKiSB_SB_iPKfiiiPfSE_PS4_PT2_iSD_SD_, 643

	.type	__PRETTY_FUNCTION__._Z39paged_attention_ll4mi_QKV_mfma16_kernelI14__hip_bfloat16hLN4vllm18Fp8KVCacheDataTypeE1ES0_Li32ELi64ELi256ELb0ELi12EL8MFMAType1EEvPKT_PKT0_S9_ifPKiSB_SB_iPKfiiiPfSE_PS4_PT2_iSD_SD_,@object ; @__PRETTY_FUNCTION__._Z39paged_attention_ll4mi_QKV_mfma16_kernelI14__hip_bfloat16hLN4vllm18Fp8KVCacheDataTypeE1ES0_Li32ELi64ELi256ELb0ELi12EL8MFMAType1EEvPKT_PKT0_S9_ifPKiSB_SB_iPKfiiiPfSE_PS4_PT2_iSD_SD_
__PRETTY_FUNCTION__._Z39paged_attention_ll4mi_QKV_mfma16_kernelI14__hip_bfloat16hLN4vllm18Fp8KVCacheDataTypeE1ES0_Li32ELi64ELi256ELb0ELi12EL8MFMAType1EEvPKT_PKT0_S9_ifPKiSB_SB_iPKfiiiPfSE_PS4_PT2_iSD_SD_:
	.asciz	"void paged_attention_ll4mi_QKV_mfma16_kernel(const scalar_t *__restrict, const cache_t *__restrict, const cache_t *__restrict, const int, const float, const int *__restrict, const int *__restrict, const int *__restrict, const int, const float *__restrict, const int, const int, const int, float *__restrict, float *__restrict, scalar_t *__restrict, OUTT *__restrict, int, const float *, const float *) [scalar_t = __hip_bfloat16, cache_t = unsigned char, KV_DTYPE = vllm::Fp8KVCacheDataType::kFp8E4M3, OUTT = __hip_bfloat16, BLOCK_SIZE = 32, HEAD_SIZE = 64, NUM_THREADS = 256, ALIBI_ENABLED = false, GQA_RATIO = 12, MFMA_TYPE = MFMAType::Fp8]"
	.size	__PRETTY_FUNCTION__._Z39paged_attention_ll4mi_QKV_mfma16_kernelI14__hip_bfloat16hLN4vllm18Fp8KVCacheDataTypeE1ES0_Li32ELi64ELi256ELb0ELi12EL8MFMAType1EEvPKT_PKT0_S9_ifPKiSB_SB_iPKfiiiPfSE_PS4_PT2_iSD_SD_, 643

	.type	__PRETTY_FUNCTION__._Z39paged_attention_ll4mi_QKV_mfma16_kernelI14__hip_bfloat16hLN4vllm18Fp8KVCacheDataTypeE1ES0_Li32ELi64ELi256ELb0ELi13EL8MFMAType1EEvPKT_PKT0_S9_ifPKiSB_SB_iPKfiiiPfSE_PS4_PT2_iSD_SD_,@object ; @__PRETTY_FUNCTION__._Z39paged_attention_ll4mi_QKV_mfma16_kernelI14__hip_bfloat16hLN4vllm18Fp8KVCacheDataTypeE1ES0_Li32ELi64ELi256ELb0ELi13EL8MFMAType1EEvPKT_PKT0_S9_ifPKiSB_SB_iPKfiiiPfSE_PS4_PT2_iSD_SD_
__PRETTY_FUNCTION__._Z39paged_attention_ll4mi_QKV_mfma16_kernelI14__hip_bfloat16hLN4vllm18Fp8KVCacheDataTypeE1ES0_Li32ELi64ELi256ELb0ELi13EL8MFMAType1EEvPKT_PKT0_S9_ifPKiSB_SB_iPKfiiiPfSE_PS4_PT2_iSD_SD_:
	.asciz	"void paged_attention_ll4mi_QKV_mfma16_kernel(const scalar_t *__restrict, const cache_t *__restrict, const cache_t *__restrict, const int, const float, const int *__restrict, const int *__restrict, const int *__restrict, const int, const float *__restrict, const int, const int, const int, float *__restrict, float *__restrict, scalar_t *__restrict, OUTT *__restrict, int, const float *, const float *) [scalar_t = __hip_bfloat16, cache_t = unsigned char, KV_DTYPE = vllm::Fp8KVCacheDataType::kFp8E4M3, OUTT = __hip_bfloat16, BLOCK_SIZE = 32, HEAD_SIZE = 64, NUM_THREADS = 256, ALIBI_ENABLED = false, GQA_RATIO = 13, MFMA_TYPE = MFMAType::Fp8]"
	.size	__PRETTY_FUNCTION__._Z39paged_attention_ll4mi_QKV_mfma16_kernelI14__hip_bfloat16hLN4vllm18Fp8KVCacheDataTypeE1ES0_Li32ELi64ELi256ELb0ELi13EL8MFMAType1EEvPKT_PKT0_S9_ifPKiSB_SB_iPKfiiiPfSE_PS4_PT2_iSD_SD_, 643

	.type	__PRETTY_FUNCTION__._Z39paged_attention_ll4mi_QKV_mfma16_kernelI14__hip_bfloat16hLN4vllm18Fp8KVCacheDataTypeE1ES0_Li32ELi64ELi256ELb0ELi14EL8MFMAType1EEvPKT_PKT0_S9_ifPKiSB_SB_iPKfiiiPfSE_PS4_PT2_iSD_SD_,@object ; @__PRETTY_FUNCTION__._Z39paged_attention_ll4mi_QKV_mfma16_kernelI14__hip_bfloat16hLN4vllm18Fp8KVCacheDataTypeE1ES0_Li32ELi64ELi256ELb0ELi14EL8MFMAType1EEvPKT_PKT0_S9_ifPKiSB_SB_iPKfiiiPfSE_PS4_PT2_iSD_SD_
__PRETTY_FUNCTION__._Z39paged_attention_ll4mi_QKV_mfma16_kernelI14__hip_bfloat16hLN4vllm18Fp8KVCacheDataTypeE1ES0_Li32ELi64ELi256ELb0ELi14EL8MFMAType1EEvPKT_PKT0_S9_ifPKiSB_SB_iPKfiiiPfSE_PS4_PT2_iSD_SD_:
	.asciz	"void paged_attention_ll4mi_QKV_mfma16_kernel(const scalar_t *__restrict, const cache_t *__restrict, const cache_t *__restrict, const int, const float, const int *__restrict, const int *__restrict, const int *__restrict, const int, const float *__restrict, const int, const int, const int, float *__restrict, float *__restrict, scalar_t *__restrict, OUTT *__restrict, int, const float *, const float *) [scalar_t = __hip_bfloat16, cache_t = unsigned char, KV_DTYPE = vllm::Fp8KVCacheDataType::kFp8E4M3, OUTT = __hip_bfloat16, BLOCK_SIZE = 32, HEAD_SIZE = 64, NUM_THREADS = 256, ALIBI_ENABLED = false, GQA_RATIO = 14, MFMA_TYPE = MFMAType::Fp8]"
	.size	__PRETTY_FUNCTION__._Z39paged_attention_ll4mi_QKV_mfma16_kernelI14__hip_bfloat16hLN4vllm18Fp8KVCacheDataTypeE1ES0_Li32ELi64ELi256ELb0ELi14EL8MFMAType1EEvPKT_PKT0_S9_ifPKiSB_SB_iPKfiiiPfSE_PS4_PT2_iSD_SD_, 643

	.type	__PRETTY_FUNCTION__._Z39paged_attention_ll4mi_QKV_mfma16_kernelI14__hip_bfloat16hLN4vllm18Fp8KVCacheDataTypeE1ES0_Li32ELi64ELi256ELb0ELi15EL8MFMAType1EEvPKT_PKT0_S9_ifPKiSB_SB_iPKfiiiPfSE_PS4_PT2_iSD_SD_,@object ; @__PRETTY_FUNCTION__._Z39paged_attention_ll4mi_QKV_mfma16_kernelI14__hip_bfloat16hLN4vllm18Fp8KVCacheDataTypeE1ES0_Li32ELi64ELi256ELb0ELi15EL8MFMAType1EEvPKT_PKT0_S9_ifPKiSB_SB_iPKfiiiPfSE_PS4_PT2_iSD_SD_
__PRETTY_FUNCTION__._Z39paged_attention_ll4mi_QKV_mfma16_kernelI14__hip_bfloat16hLN4vllm18Fp8KVCacheDataTypeE1ES0_Li32ELi64ELi256ELb0ELi15EL8MFMAType1EEvPKT_PKT0_S9_ifPKiSB_SB_iPKfiiiPfSE_PS4_PT2_iSD_SD_:
	.asciz	"void paged_attention_ll4mi_QKV_mfma16_kernel(const scalar_t *__restrict, const cache_t *__restrict, const cache_t *__restrict, const int, const float, const int *__restrict, const int *__restrict, const int *__restrict, const int, const float *__restrict, const int, const int, const int, float *__restrict, float *__restrict, scalar_t *__restrict, OUTT *__restrict, int, const float *, const float *) [scalar_t = __hip_bfloat16, cache_t = unsigned char, KV_DTYPE = vllm::Fp8KVCacheDataType::kFp8E4M3, OUTT = __hip_bfloat16, BLOCK_SIZE = 32, HEAD_SIZE = 64, NUM_THREADS = 256, ALIBI_ENABLED = false, GQA_RATIO = 15, MFMA_TYPE = MFMAType::Fp8]"
	.size	__PRETTY_FUNCTION__._Z39paged_attention_ll4mi_QKV_mfma16_kernelI14__hip_bfloat16hLN4vllm18Fp8KVCacheDataTypeE1ES0_Li32ELi64ELi256ELb0ELi15EL8MFMAType1EEvPKT_PKT0_S9_ifPKiSB_SB_iPKfiiiPfSE_PS4_PT2_iSD_SD_, 643

	.type	__PRETTY_FUNCTION__._Z39paged_attention_ll4mi_QKV_mfma16_kernelI14__hip_bfloat16hLN4vllm18Fp8KVCacheDataTypeE1ES0_Li32ELi64ELi256ELb0ELi16EL8MFMAType1EEvPKT_PKT0_S9_ifPKiSB_SB_iPKfiiiPfSE_PS4_PT2_iSD_SD_,@object ; @__PRETTY_FUNCTION__._Z39paged_attention_ll4mi_QKV_mfma16_kernelI14__hip_bfloat16hLN4vllm18Fp8KVCacheDataTypeE1ES0_Li32ELi64ELi256ELb0ELi16EL8MFMAType1EEvPKT_PKT0_S9_ifPKiSB_SB_iPKfiiiPfSE_PS4_PT2_iSD_SD_
__PRETTY_FUNCTION__._Z39paged_attention_ll4mi_QKV_mfma16_kernelI14__hip_bfloat16hLN4vllm18Fp8KVCacheDataTypeE1ES0_Li32ELi64ELi256ELb0ELi16EL8MFMAType1EEvPKT_PKT0_S9_ifPKiSB_SB_iPKfiiiPfSE_PS4_PT2_iSD_SD_:
	.asciz	"void paged_attention_ll4mi_QKV_mfma16_kernel(const scalar_t *__restrict, const cache_t *__restrict, const cache_t *__restrict, const int, const float, const int *__restrict, const int *__restrict, const int *__restrict, const int, const float *__restrict, const int, const int, const int, float *__restrict, float *__restrict, scalar_t *__restrict, OUTT *__restrict, int, const float *, const float *) [scalar_t = __hip_bfloat16, cache_t = unsigned char, KV_DTYPE = vllm::Fp8KVCacheDataType::kFp8E4M3, OUTT = __hip_bfloat16, BLOCK_SIZE = 32, HEAD_SIZE = 64, NUM_THREADS = 256, ALIBI_ENABLED = false, GQA_RATIO = 16, MFMA_TYPE = MFMAType::Fp8]"
	.size	__PRETTY_FUNCTION__._Z39paged_attention_ll4mi_QKV_mfma16_kernelI14__hip_bfloat16hLN4vllm18Fp8KVCacheDataTypeE1ES0_Li32ELi64ELi256ELb0ELi16EL8MFMAType1EEvPKT_PKT0_S9_ifPKiSB_SB_iPKfiiiPfSE_PS4_PT2_iSD_SD_, 643

	.type	__PRETTY_FUNCTION__._Z39paged_attention_ll4mi_QKV_mfma16_kernelI14__hip_bfloat16hLN4vllm18Fp8KVCacheDataTypeE1ES0_Li32ELi64ELi256ELb0ELi1EL8MFMAType1EEvPKT_PKT0_S9_ifPKiSB_SB_iPKfiiiPfSE_PS4_PT2_iSD_SD_,@object ; @__PRETTY_FUNCTION__._Z39paged_attention_ll4mi_QKV_mfma16_kernelI14__hip_bfloat16hLN4vllm18Fp8KVCacheDataTypeE1ES0_Li32ELi64ELi256ELb0ELi1EL8MFMAType1EEvPKT_PKT0_S9_ifPKiSB_SB_iPKfiiiPfSE_PS4_PT2_iSD_SD_
__PRETTY_FUNCTION__._Z39paged_attention_ll4mi_QKV_mfma16_kernelI14__hip_bfloat16hLN4vllm18Fp8KVCacheDataTypeE1ES0_Li32ELi64ELi256ELb0ELi1EL8MFMAType1EEvPKT_PKT0_S9_ifPKiSB_SB_iPKfiiiPfSE_PS4_PT2_iSD_SD_:
	.asciz	"void paged_attention_ll4mi_QKV_mfma16_kernel(const scalar_t *__restrict, const cache_t *__restrict, const cache_t *__restrict, const int, const float, const int *__restrict, const int *__restrict, const int *__restrict, const int, const float *__restrict, const int, const int, const int, float *__restrict, float *__restrict, scalar_t *__restrict, OUTT *__restrict, int, const float *, const float *) [scalar_t = __hip_bfloat16, cache_t = unsigned char, KV_DTYPE = vllm::Fp8KVCacheDataType::kFp8E4M3, OUTT = __hip_bfloat16, BLOCK_SIZE = 32, HEAD_SIZE = 64, NUM_THREADS = 256, ALIBI_ENABLED = false, GQA_RATIO = 1, MFMA_TYPE = MFMAType::Fp8]"
	.size	__PRETTY_FUNCTION__._Z39paged_attention_ll4mi_QKV_mfma16_kernelI14__hip_bfloat16hLN4vllm18Fp8KVCacheDataTypeE1ES0_Li32ELi64ELi256ELb0ELi1EL8MFMAType1EEvPKT_PKT0_S9_ifPKiSB_SB_iPKfiiiPfSE_PS4_PT2_iSD_SD_, 642

	.type	__PRETTY_FUNCTION__._Z39paged_attention_ll4mi_QKV_mfma16_kernelI14__hip_bfloat16hLN4vllm18Fp8KVCacheDataTypeE1ES0_Li32ELi64ELi256ELb0ELi2EL8MFMAType1EEvPKT_PKT0_S9_ifPKiSB_SB_iPKfiiiPfSE_PS4_PT2_iSD_SD_,@object ; @__PRETTY_FUNCTION__._Z39paged_attention_ll4mi_QKV_mfma16_kernelI14__hip_bfloat16hLN4vllm18Fp8KVCacheDataTypeE1ES0_Li32ELi64ELi256ELb0ELi2EL8MFMAType1EEvPKT_PKT0_S9_ifPKiSB_SB_iPKfiiiPfSE_PS4_PT2_iSD_SD_
__PRETTY_FUNCTION__._Z39paged_attention_ll4mi_QKV_mfma16_kernelI14__hip_bfloat16hLN4vllm18Fp8KVCacheDataTypeE1ES0_Li32ELi64ELi256ELb0ELi2EL8MFMAType1EEvPKT_PKT0_S9_ifPKiSB_SB_iPKfiiiPfSE_PS4_PT2_iSD_SD_:
	.asciz	"void paged_attention_ll4mi_QKV_mfma16_kernel(const scalar_t *__restrict, const cache_t *__restrict, const cache_t *__restrict, const int, const float, const int *__restrict, const int *__restrict, const int *__restrict, const int, const float *__restrict, const int, const int, const int, float *__restrict, float *__restrict, scalar_t *__restrict, OUTT *__restrict, int, const float *, const float *) [scalar_t = __hip_bfloat16, cache_t = unsigned char, KV_DTYPE = vllm::Fp8KVCacheDataType::kFp8E4M3, OUTT = __hip_bfloat16, BLOCK_SIZE = 32, HEAD_SIZE = 64, NUM_THREADS = 256, ALIBI_ENABLED = false, GQA_RATIO = 2, MFMA_TYPE = MFMAType::Fp8]"
	.size	__PRETTY_FUNCTION__._Z39paged_attention_ll4mi_QKV_mfma16_kernelI14__hip_bfloat16hLN4vllm18Fp8KVCacheDataTypeE1ES0_Li32ELi64ELi256ELb0ELi2EL8MFMAType1EEvPKT_PKT0_S9_ifPKiSB_SB_iPKfiiiPfSE_PS4_PT2_iSD_SD_, 642

	.type	__PRETTY_FUNCTION__._Z39paged_attention_ll4mi_QKV_mfma16_kernelI14__hip_bfloat16hLN4vllm18Fp8KVCacheDataTypeE1ES0_Li32ELi64ELi256ELb0ELi3EL8MFMAType1EEvPKT_PKT0_S9_ifPKiSB_SB_iPKfiiiPfSE_PS4_PT2_iSD_SD_,@object ; @__PRETTY_FUNCTION__._Z39paged_attention_ll4mi_QKV_mfma16_kernelI14__hip_bfloat16hLN4vllm18Fp8KVCacheDataTypeE1ES0_Li32ELi64ELi256ELb0ELi3EL8MFMAType1EEvPKT_PKT0_S9_ifPKiSB_SB_iPKfiiiPfSE_PS4_PT2_iSD_SD_
__PRETTY_FUNCTION__._Z39paged_attention_ll4mi_QKV_mfma16_kernelI14__hip_bfloat16hLN4vllm18Fp8KVCacheDataTypeE1ES0_Li32ELi64ELi256ELb0ELi3EL8MFMAType1EEvPKT_PKT0_S9_ifPKiSB_SB_iPKfiiiPfSE_PS4_PT2_iSD_SD_:
	.asciz	"void paged_attention_ll4mi_QKV_mfma16_kernel(const scalar_t *__restrict, const cache_t *__restrict, const cache_t *__restrict, const int, const float, const int *__restrict, const int *__restrict, const int *__restrict, const int, const float *__restrict, const int, const int, const int, float *__restrict, float *__restrict, scalar_t *__restrict, OUTT *__restrict, int, const float *, const float *) [scalar_t = __hip_bfloat16, cache_t = unsigned char, KV_DTYPE = vllm::Fp8KVCacheDataType::kFp8E4M3, OUTT = __hip_bfloat16, BLOCK_SIZE = 32, HEAD_SIZE = 64, NUM_THREADS = 256, ALIBI_ENABLED = false, GQA_RATIO = 3, MFMA_TYPE = MFMAType::Fp8]"
	.size	__PRETTY_FUNCTION__._Z39paged_attention_ll4mi_QKV_mfma16_kernelI14__hip_bfloat16hLN4vllm18Fp8KVCacheDataTypeE1ES0_Li32ELi64ELi256ELb0ELi3EL8MFMAType1EEvPKT_PKT0_S9_ifPKiSB_SB_iPKfiiiPfSE_PS4_PT2_iSD_SD_, 642

	.type	__PRETTY_FUNCTION__._Z39paged_attention_ll4mi_QKV_mfma16_kernelI14__hip_bfloat16hLN4vllm18Fp8KVCacheDataTypeE1ES0_Li32ELi64ELi256ELb0ELi4EL8MFMAType1EEvPKT_PKT0_S9_ifPKiSB_SB_iPKfiiiPfSE_PS4_PT2_iSD_SD_,@object ; @__PRETTY_FUNCTION__._Z39paged_attention_ll4mi_QKV_mfma16_kernelI14__hip_bfloat16hLN4vllm18Fp8KVCacheDataTypeE1ES0_Li32ELi64ELi256ELb0ELi4EL8MFMAType1EEvPKT_PKT0_S9_ifPKiSB_SB_iPKfiiiPfSE_PS4_PT2_iSD_SD_
__PRETTY_FUNCTION__._Z39paged_attention_ll4mi_QKV_mfma16_kernelI14__hip_bfloat16hLN4vllm18Fp8KVCacheDataTypeE1ES0_Li32ELi64ELi256ELb0ELi4EL8MFMAType1EEvPKT_PKT0_S9_ifPKiSB_SB_iPKfiiiPfSE_PS4_PT2_iSD_SD_:
	.asciz	"void paged_attention_ll4mi_QKV_mfma16_kernel(const scalar_t *__restrict, const cache_t *__restrict, const cache_t *__restrict, const int, const float, const int *__restrict, const int *__restrict, const int *__restrict, const int, const float *__restrict, const int, const int, const int, float *__restrict, float *__restrict, scalar_t *__restrict, OUTT *__restrict, int, const float *, const float *) [scalar_t = __hip_bfloat16, cache_t = unsigned char, KV_DTYPE = vllm::Fp8KVCacheDataType::kFp8E4M3, OUTT = __hip_bfloat16, BLOCK_SIZE = 32, HEAD_SIZE = 64, NUM_THREADS = 256, ALIBI_ENABLED = false, GQA_RATIO = 4, MFMA_TYPE = MFMAType::Fp8]"
	.size	__PRETTY_FUNCTION__._Z39paged_attention_ll4mi_QKV_mfma16_kernelI14__hip_bfloat16hLN4vllm18Fp8KVCacheDataTypeE1ES0_Li32ELi64ELi256ELb0ELi4EL8MFMAType1EEvPKT_PKT0_S9_ifPKiSB_SB_iPKfiiiPfSE_PS4_PT2_iSD_SD_, 642

	.type	__PRETTY_FUNCTION__._Z39paged_attention_ll4mi_QKV_mfma16_kernelI14__hip_bfloat16hLN4vllm18Fp8KVCacheDataTypeE1ES0_Li16ELi128ELi256ELb1ELi5EL8MFMAType1EEvPKT_PKT0_S9_ifPKiSB_SB_iPKfiiiPfSE_PS4_PT2_iSD_SD_,@object ; @__PRETTY_FUNCTION__._Z39paged_attention_ll4mi_QKV_mfma16_kernelI14__hip_bfloat16hLN4vllm18Fp8KVCacheDataTypeE1ES0_Li16ELi128ELi256ELb1ELi5EL8MFMAType1EEvPKT_PKT0_S9_ifPKiSB_SB_iPKfiiiPfSE_PS4_PT2_iSD_SD_
__PRETTY_FUNCTION__._Z39paged_attention_ll4mi_QKV_mfma16_kernelI14__hip_bfloat16hLN4vllm18Fp8KVCacheDataTypeE1ES0_Li16ELi128ELi256ELb1ELi5EL8MFMAType1EEvPKT_PKT0_S9_ifPKiSB_SB_iPKfiiiPfSE_PS4_PT2_iSD_SD_:
	.asciz	"void paged_attention_ll4mi_QKV_mfma16_kernel(const scalar_t *__restrict, const cache_t *__restrict, const cache_t *__restrict, const int, const float, const int *__restrict, const int *__restrict, const int *__restrict, const int, const float *__restrict, const int, const int, const int, float *__restrict, float *__restrict, scalar_t *__restrict, OUTT *__restrict, int, const float *, const float *) [scalar_t = __hip_bfloat16, cache_t = unsigned char, KV_DTYPE = vllm::Fp8KVCacheDataType::kFp8E4M3, OUTT = __hip_bfloat16, BLOCK_SIZE = 16, HEAD_SIZE = 128, NUM_THREADS = 256, ALIBI_ENABLED = true, GQA_RATIO = 5, MFMA_TYPE = MFMAType::Fp8]"
	.size	__PRETTY_FUNCTION__._Z39paged_attention_ll4mi_QKV_mfma16_kernelI14__hip_bfloat16hLN4vllm18Fp8KVCacheDataTypeE1ES0_Li16ELi128ELi256ELb1ELi5EL8MFMAType1EEvPKT_PKT0_S9_ifPKiSB_SB_iPKfiiiPfSE_PS4_PT2_iSD_SD_, 642

	.type	__PRETTY_FUNCTION__._Z39paged_attention_ll4mi_QKV_mfma16_kernelI14__hip_bfloat16hLN4vllm18Fp8KVCacheDataTypeE1ES0_Li16ELi128ELi256ELb1ELi6EL8MFMAType1EEvPKT_PKT0_S9_ifPKiSB_SB_iPKfiiiPfSE_PS4_PT2_iSD_SD_,@object ; @__PRETTY_FUNCTION__._Z39paged_attention_ll4mi_QKV_mfma16_kernelI14__hip_bfloat16hLN4vllm18Fp8KVCacheDataTypeE1ES0_Li16ELi128ELi256ELb1ELi6EL8MFMAType1EEvPKT_PKT0_S9_ifPKiSB_SB_iPKfiiiPfSE_PS4_PT2_iSD_SD_
__PRETTY_FUNCTION__._Z39paged_attention_ll4mi_QKV_mfma16_kernelI14__hip_bfloat16hLN4vllm18Fp8KVCacheDataTypeE1ES0_Li16ELi128ELi256ELb1ELi6EL8MFMAType1EEvPKT_PKT0_S9_ifPKiSB_SB_iPKfiiiPfSE_PS4_PT2_iSD_SD_:
	.asciz	"void paged_attention_ll4mi_QKV_mfma16_kernel(const scalar_t *__restrict, const cache_t *__restrict, const cache_t *__restrict, const int, const float, const int *__restrict, const int *__restrict, const int *__restrict, const int, const float *__restrict, const int, const int, const int, float *__restrict, float *__restrict, scalar_t *__restrict, OUTT *__restrict, int, const float *, const float *) [scalar_t = __hip_bfloat16, cache_t = unsigned char, KV_DTYPE = vllm::Fp8KVCacheDataType::kFp8E4M3, OUTT = __hip_bfloat16, BLOCK_SIZE = 16, HEAD_SIZE = 128, NUM_THREADS = 256, ALIBI_ENABLED = true, GQA_RATIO = 6, MFMA_TYPE = MFMAType::Fp8]"
	.size	__PRETTY_FUNCTION__._Z39paged_attention_ll4mi_QKV_mfma16_kernelI14__hip_bfloat16hLN4vllm18Fp8KVCacheDataTypeE1ES0_Li16ELi128ELi256ELb1ELi6EL8MFMAType1EEvPKT_PKT0_S9_ifPKiSB_SB_iPKfiiiPfSE_PS4_PT2_iSD_SD_, 642

	.type	__PRETTY_FUNCTION__._Z39paged_attention_ll4mi_QKV_mfma16_kernelI14__hip_bfloat16hLN4vllm18Fp8KVCacheDataTypeE1ES0_Li16ELi128ELi256ELb1ELi7EL8MFMAType1EEvPKT_PKT0_S9_ifPKiSB_SB_iPKfiiiPfSE_PS4_PT2_iSD_SD_,@object ; @__PRETTY_FUNCTION__._Z39paged_attention_ll4mi_QKV_mfma16_kernelI14__hip_bfloat16hLN4vllm18Fp8KVCacheDataTypeE1ES0_Li16ELi128ELi256ELb1ELi7EL8MFMAType1EEvPKT_PKT0_S9_ifPKiSB_SB_iPKfiiiPfSE_PS4_PT2_iSD_SD_
__PRETTY_FUNCTION__._Z39paged_attention_ll4mi_QKV_mfma16_kernelI14__hip_bfloat16hLN4vllm18Fp8KVCacheDataTypeE1ES0_Li16ELi128ELi256ELb1ELi7EL8MFMAType1EEvPKT_PKT0_S9_ifPKiSB_SB_iPKfiiiPfSE_PS4_PT2_iSD_SD_:
	.asciz	"void paged_attention_ll4mi_QKV_mfma16_kernel(const scalar_t *__restrict, const cache_t *__restrict, const cache_t *__restrict, const int, const float, const int *__restrict, const int *__restrict, const int *__restrict, const int, const float *__restrict, const int, const int, const int, float *__restrict, float *__restrict, scalar_t *__restrict, OUTT *__restrict, int, const float *, const float *) [scalar_t = __hip_bfloat16, cache_t = unsigned char, KV_DTYPE = vllm::Fp8KVCacheDataType::kFp8E4M3, OUTT = __hip_bfloat16, BLOCK_SIZE = 16, HEAD_SIZE = 128, NUM_THREADS = 256, ALIBI_ENABLED = true, GQA_RATIO = 7, MFMA_TYPE = MFMAType::Fp8]"
	.size	__PRETTY_FUNCTION__._Z39paged_attention_ll4mi_QKV_mfma16_kernelI14__hip_bfloat16hLN4vllm18Fp8KVCacheDataTypeE1ES0_Li16ELi128ELi256ELb1ELi7EL8MFMAType1EEvPKT_PKT0_S9_ifPKiSB_SB_iPKfiiiPfSE_PS4_PT2_iSD_SD_, 642

	.type	__PRETTY_FUNCTION__._Z39paged_attention_ll4mi_QKV_mfma16_kernelI14__hip_bfloat16hLN4vllm18Fp8KVCacheDataTypeE1ES0_Li16ELi128ELi256ELb1ELi8EL8MFMAType1EEvPKT_PKT0_S9_ifPKiSB_SB_iPKfiiiPfSE_PS4_PT2_iSD_SD_,@object ; @__PRETTY_FUNCTION__._Z39paged_attention_ll4mi_QKV_mfma16_kernelI14__hip_bfloat16hLN4vllm18Fp8KVCacheDataTypeE1ES0_Li16ELi128ELi256ELb1ELi8EL8MFMAType1EEvPKT_PKT0_S9_ifPKiSB_SB_iPKfiiiPfSE_PS4_PT2_iSD_SD_
__PRETTY_FUNCTION__._Z39paged_attention_ll4mi_QKV_mfma16_kernelI14__hip_bfloat16hLN4vllm18Fp8KVCacheDataTypeE1ES0_Li16ELi128ELi256ELb1ELi8EL8MFMAType1EEvPKT_PKT0_S9_ifPKiSB_SB_iPKfiiiPfSE_PS4_PT2_iSD_SD_:
	.asciz	"void paged_attention_ll4mi_QKV_mfma16_kernel(const scalar_t *__restrict, const cache_t *__restrict, const cache_t *__restrict, const int, const float, const int *__restrict, const int *__restrict, const int *__restrict, const int, const float *__restrict, const int, const int, const int, float *__restrict, float *__restrict, scalar_t *__restrict, OUTT *__restrict, int, const float *, const float *) [scalar_t = __hip_bfloat16, cache_t = unsigned char, KV_DTYPE = vllm::Fp8KVCacheDataType::kFp8E4M3, OUTT = __hip_bfloat16, BLOCK_SIZE = 16, HEAD_SIZE = 128, NUM_THREADS = 256, ALIBI_ENABLED = true, GQA_RATIO = 8, MFMA_TYPE = MFMAType::Fp8]"
	.size	__PRETTY_FUNCTION__._Z39paged_attention_ll4mi_QKV_mfma16_kernelI14__hip_bfloat16hLN4vllm18Fp8KVCacheDataTypeE1ES0_Li16ELi128ELi256ELb1ELi8EL8MFMAType1EEvPKT_PKT0_S9_ifPKiSB_SB_iPKfiiiPfSE_PS4_PT2_iSD_SD_, 642

	.type	__PRETTY_FUNCTION__._Z39paged_attention_ll4mi_QKV_mfma16_kernelI14__hip_bfloat16hLN4vllm18Fp8KVCacheDataTypeE1ES0_Li16ELi128ELi256ELb1ELi9EL8MFMAType1EEvPKT_PKT0_S9_ifPKiSB_SB_iPKfiiiPfSE_PS4_PT2_iSD_SD_,@object ; @__PRETTY_FUNCTION__._Z39paged_attention_ll4mi_QKV_mfma16_kernelI14__hip_bfloat16hLN4vllm18Fp8KVCacheDataTypeE1ES0_Li16ELi128ELi256ELb1ELi9EL8MFMAType1EEvPKT_PKT0_S9_ifPKiSB_SB_iPKfiiiPfSE_PS4_PT2_iSD_SD_
__PRETTY_FUNCTION__._Z39paged_attention_ll4mi_QKV_mfma16_kernelI14__hip_bfloat16hLN4vllm18Fp8KVCacheDataTypeE1ES0_Li16ELi128ELi256ELb1ELi9EL8MFMAType1EEvPKT_PKT0_S9_ifPKiSB_SB_iPKfiiiPfSE_PS4_PT2_iSD_SD_:
	.asciz	"void paged_attention_ll4mi_QKV_mfma16_kernel(const scalar_t *__restrict, const cache_t *__restrict, const cache_t *__restrict, const int, const float, const int *__restrict, const int *__restrict, const int *__restrict, const int, const float *__restrict, const int, const int, const int, float *__restrict, float *__restrict, scalar_t *__restrict, OUTT *__restrict, int, const float *, const float *) [scalar_t = __hip_bfloat16, cache_t = unsigned char, KV_DTYPE = vllm::Fp8KVCacheDataType::kFp8E4M3, OUTT = __hip_bfloat16, BLOCK_SIZE = 16, HEAD_SIZE = 128, NUM_THREADS = 256, ALIBI_ENABLED = true, GQA_RATIO = 9, MFMA_TYPE = MFMAType::Fp8]"
	.size	__PRETTY_FUNCTION__._Z39paged_attention_ll4mi_QKV_mfma16_kernelI14__hip_bfloat16hLN4vllm18Fp8KVCacheDataTypeE1ES0_Li16ELi128ELi256ELb1ELi9EL8MFMAType1EEvPKT_PKT0_S9_ifPKiSB_SB_iPKfiiiPfSE_PS4_PT2_iSD_SD_, 642

	.type	__PRETTY_FUNCTION__._Z39paged_attention_ll4mi_QKV_mfma16_kernelI14__hip_bfloat16hLN4vllm18Fp8KVCacheDataTypeE1ES0_Li16ELi128ELi256ELb1ELi10EL8MFMAType1EEvPKT_PKT0_S9_ifPKiSB_SB_iPKfiiiPfSE_PS4_PT2_iSD_SD_,@object ; @__PRETTY_FUNCTION__._Z39paged_attention_ll4mi_QKV_mfma16_kernelI14__hip_bfloat16hLN4vllm18Fp8KVCacheDataTypeE1ES0_Li16ELi128ELi256ELb1ELi10EL8MFMAType1EEvPKT_PKT0_S9_ifPKiSB_SB_iPKfiiiPfSE_PS4_PT2_iSD_SD_
__PRETTY_FUNCTION__._Z39paged_attention_ll4mi_QKV_mfma16_kernelI14__hip_bfloat16hLN4vllm18Fp8KVCacheDataTypeE1ES0_Li16ELi128ELi256ELb1ELi10EL8MFMAType1EEvPKT_PKT0_S9_ifPKiSB_SB_iPKfiiiPfSE_PS4_PT2_iSD_SD_:
	.asciz	"void paged_attention_ll4mi_QKV_mfma16_kernel(const scalar_t *__restrict, const cache_t *__restrict, const cache_t *__restrict, const int, const float, const int *__restrict, const int *__restrict, const int *__restrict, const int, const float *__restrict, const int, const int, const int, float *__restrict, float *__restrict, scalar_t *__restrict, OUTT *__restrict, int, const float *, const float *) [scalar_t = __hip_bfloat16, cache_t = unsigned char, KV_DTYPE = vllm::Fp8KVCacheDataType::kFp8E4M3, OUTT = __hip_bfloat16, BLOCK_SIZE = 16, HEAD_SIZE = 128, NUM_THREADS = 256, ALIBI_ENABLED = true, GQA_RATIO = 10, MFMA_TYPE = MFMAType::Fp8]"
	.size	__PRETTY_FUNCTION__._Z39paged_attention_ll4mi_QKV_mfma16_kernelI14__hip_bfloat16hLN4vllm18Fp8KVCacheDataTypeE1ES0_Li16ELi128ELi256ELb1ELi10EL8MFMAType1EEvPKT_PKT0_S9_ifPKiSB_SB_iPKfiiiPfSE_PS4_PT2_iSD_SD_, 643

	.type	__PRETTY_FUNCTION__._Z39paged_attention_ll4mi_QKV_mfma16_kernelI14__hip_bfloat16hLN4vllm18Fp8KVCacheDataTypeE1ES0_Li16ELi128ELi256ELb1ELi11EL8MFMAType1EEvPKT_PKT0_S9_ifPKiSB_SB_iPKfiiiPfSE_PS4_PT2_iSD_SD_,@object ; @__PRETTY_FUNCTION__._Z39paged_attention_ll4mi_QKV_mfma16_kernelI14__hip_bfloat16hLN4vllm18Fp8KVCacheDataTypeE1ES0_Li16ELi128ELi256ELb1ELi11EL8MFMAType1EEvPKT_PKT0_S9_ifPKiSB_SB_iPKfiiiPfSE_PS4_PT2_iSD_SD_
__PRETTY_FUNCTION__._Z39paged_attention_ll4mi_QKV_mfma16_kernelI14__hip_bfloat16hLN4vllm18Fp8KVCacheDataTypeE1ES0_Li16ELi128ELi256ELb1ELi11EL8MFMAType1EEvPKT_PKT0_S9_ifPKiSB_SB_iPKfiiiPfSE_PS4_PT2_iSD_SD_:
	.asciz	"void paged_attention_ll4mi_QKV_mfma16_kernel(const scalar_t *__restrict, const cache_t *__restrict, const cache_t *__restrict, const int, const float, const int *__restrict, const int *__restrict, const int *__restrict, const int, const float *__restrict, const int, const int, const int, float *__restrict, float *__restrict, scalar_t *__restrict, OUTT *__restrict, int, const float *, const float *) [scalar_t = __hip_bfloat16, cache_t = unsigned char, KV_DTYPE = vllm::Fp8KVCacheDataType::kFp8E4M3, OUTT = __hip_bfloat16, BLOCK_SIZE = 16, HEAD_SIZE = 128, NUM_THREADS = 256, ALIBI_ENABLED = true, GQA_RATIO = 11, MFMA_TYPE = MFMAType::Fp8]"
	.size	__PRETTY_FUNCTION__._Z39paged_attention_ll4mi_QKV_mfma16_kernelI14__hip_bfloat16hLN4vllm18Fp8KVCacheDataTypeE1ES0_Li16ELi128ELi256ELb1ELi11EL8MFMAType1EEvPKT_PKT0_S9_ifPKiSB_SB_iPKfiiiPfSE_PS4_PT2_iSD_SD_, 643

	.type	__PRETTY_FUNCTION__._Z39paged_attention_ll4mi_QKV_mfma16_kernelI14__hip_bfloat16hLN4vllm18Fp8KVCacheDataTypeE1ES0_Li16ELi128ELi256ELb1ELi12EL8MFMAType1EEvPKT_PKT0_S9_ifPKiSB_SB_iPKfiiiPfSE_PS4_PT2_iSD_SD_,@object ; @__PRETTY_FUNCTION__._Z39paged_attention_ll4mi_QKV_mfma16_kernelI14__hip_bfloat16hLN4vllm18Fp8KVCacheDataTypeE1ES0_Li16ELi128ELi256ELb1ELi12EL8MFMAType1EEvPKT_PKT0_S9_ifPKiSB_SB_iPKfiiiPfSE_PS4_PT2_iSD_SD_
__PRETTY_FUNCTION__._Z39paged_attention_ll4mi_QKV_mfma16_kernelI14__hip_bfloat16hLN4vllm18Fp8KVCacheDataTypeE1ES0_Li16ELi128ELi256ELb1ELi12EL8MFMAType1EEvPKT_PKT0_S9_ifPKiSB_SB_iPKfiiiPfSE_PS4_PT2_iSD_SD_:
	.asciz	"void paged_attention_ll4mi_QKV_mfma16_kernel(const scalar_t *__restrict, const cache_t *__restrict, const cache_t *__restrict, const int, const float, const int *__restrict, const int *__restrict, const int *__restrict, const int, const float *__restrict, const int, const int, const int, float *__restrict, float *__restrict, scalar_t *__restrict, OUTT *__restrict, int, const float *, const float *) [scalar_t = __hip_bfloat16, cache_t = unsigned char, KV_DTYPE = vllm::Fp8KVCacheDataType::kFp8E4M3, OUTT = __hip_bfloat16, BLOCK_SIZE = 16, HEAD_SIZE = 128, NUM_THREADS = 256, ALIBI_ENABLED = true, GQA_RATIO = 12, MFMA_TYPE = MFMAType::Fp8]"
	.size	__PRETTY_FUNCTION__._Z39paged_attention_ll4mi_QKV_mfma16_kernelI14__hip_bfloat16hLN4vllm18Fp8KVCacheDataTypeE1ES0_Li16ELi128ELi256ELb1ELi12EL8MFMAType1EEvPKT_PKT0_S9_ifPKiSB_SB_iPKfiiiPfSE_PS4_PT2_iSD_SD_, 643

	.type	__PRETTY_FUNCTION__._Z39paged_attention_ll4mi_QKV_mfma16_kernelI14__hip_bfloat16hLN4vllm18Fp8KVCacheDataTypeE1ES0_Li16ELi128ELi256ELb1ELi13EL8MFMAType1EEvPKT_PKT0_S9_ifPKiSB_SB_iPKfiiiPfSE_PS4_PT2_iSD_SD_,@object ; @__PRETTY_FUNCTION__._Z39paged_attention_ll4mi_QKV_mfma16_kernelI14__hip_bfloat16hLN4vllm18Fp8KVCacheDataTypeE1ES0_Li16ELi128ELi256ELb1ELi13EL8MFMAType1EEvPKT_PKT0_S9_ifPKiSB_SB_iPKfiiiPfSE_PS4_PT2_iSD_SD_
__PRETTY_FUNCTION__._Z39paged_attention_ll4mi_QKV_mfma16_kernelI14__hip_bfloat16hLN4vllm18Fp8KVCacheDataTypeE1ES0_Li16ELi128ELi256ELb1ELi13EL8MFMAType1EEvPKT_PKT0_S9_ifPKiSB_SB_iPKfiiiPfSE_PS4_PT2_iSD_SD_:
	.asciz	"void paged_attention_ll4mi_QKV_mfma16_kernel(const scalar_t *__restrict, const cache_t *__restrict, const cache_t *__restrict, const int, const float, const int *__restrict, const int *__restrict, const int *__restrict, const int, const float *__restrict, const int, const int, const int, float *__restrict, float *__restrict, scalar_t *__restrict, OUTT *__restrict, int, const float *, const float *) [scalar_t = __hip_bfloat16, cache_t = unsigned char, KV_DTYPE = vllm::Fp8KVCacheDataType::kFp8E4M3, OUTT = __hip_bfloat16, BLOCK_SIZE = 16, HEAD_SIZE = 128, NUM_THREADS = 256, ALIBI_ENABLED = true, GQA_RATIO = 13, MFMA_TYPE = MFMAType::Fp8]"
	.size	__PRETTY_FUNCTION__._Z39paged_attention_ll4mi_QKV_mfma16_kernelI14__hip_bfloat16hLN4vllm18Fp8KVCacheDataTypeE1ES0_Li16ELi128ELi256ELb1ELi13EL8MFMAType1EEvPKT_PKT0_S9_ifPKiSB_SB_iPKfiiiPfSE_PS4_PT2_iSD_SD_, 643

	.type	__PRETTY_FUNCTION__._Z39paged_attention_ll4mi_QKV_mfma16_kernelI14__hip_bfloat16hLN4vllm18Fp8KVCacheDataTypeE1ES0_Li16ELi128ELi256ELb1ELi14EL8MFMAType1EEvPKT_PKT0_S9_ifPKiSB_SB_iPKfiiiPfSE_PS4_PT2_iSD_SD_,@object ; @__PRETTY_FUNCTION__._Z39paged_attention_ll4mi_QKV_mfma16_kernelI14__hip_bfloat16hLN4vllm18Fp8KVCacheDataTypeE1ES0_Li16ELi128ELi256ELb1ELi14EL8MFMAType1EEvPKT_PKT0_S9_ifPKiSB_SB_iPKfiiiPfSE_PS4_PT2_iSD_SD_
__PRETTY_FUNCTION__._Z39paged_attention_ll4mi_QKV_mfma16_kernelI14__hip_bfloat16hLN4vllm18Fp8KVCacheDataTypeE1ES0_Li16ELi128ELi256ELb1ELi14EL8MFMAType1EEvPKT_PKT0_S9_ifPKiSB_SB_iPKfiiiPfSE_PS4_PT2_iSD_SD_:
	.asciz	"void paged_attention_ll4mi_QKV_mfma16_kernel(const scalar_t *__restrict, const cache_t *__restrict, const cache_t *__restrict, const int, const float, const int *__restrict, const int *__restrict, const int *__restrict, const int, const float *__restrict, const int, const int, const int, float *__restrict, float *__restrict, scalar_t *__restrict, OUTT *__restrict, int, const float *, const float *) [scalar_t = __hip_bfloat16, cache_t = unsigned char, KV_DTYPE = vllm::Fp8KVCacheDataType::kFp8E4M3, OUTT = __hip_bfloat16, BLOCK_SIZE = 16, HEAD_SIZE = 128, NUM_THREADS = 256, ALIBI_ENABLED = true, GQA_RATIO = 14, MFMA_TYPE = MFMAType::Fp8]"
	.size	__PRETTY_FUNCTION__._Z39paged_attention_ll4mi_QKV_mfma16_kernelI14__hip_bfloat16hLN4vllm18Fp8KVCacheDataTypeE1ES0_Li16ELi128ELi256ELb1ELi14EL8MFMAType1EEvPKT_PKT0_S9_ifPKiSB_SB_iPKfiiiPfSE_PS4_PT2_iSD_SD_, 643

	.type	__PRETTY_FUNCTION__._Z39paged_attention_ll4mi_QKV_mfma16_kernelI14__hip_bfloat16hLN4vllm18Fp8KVCacheDataTypeE1ES0_Li16ELi128ELi256ELb1ELi15EL8MFMAType1EEvPKT_PKT0_S9_ifPKiSB_SB_iPKfiiiPfSE_PS4_PT2_iSD_SD_,@object ; @__PRETTY_FUNCTION__._Z39paged_attention_ll4mi_QKV_mfma16_kernelI14__hip_bfloat16hLN4vllm18Fp8KVCacheDataTypeE1ES0_Li16ELi128ELi256ELb1ELi15EL8MFMAType1EEvPKT_PKT0_S9_ifPKiSB_SB_iPKfiiiPfSE_PS4_PT2_iSD_SD_
__PRETTY_FUNCTION__._Z39paged_attention_ll4mi_QKV_mfma16_kernelI14__hip_bfloat16hLN4vllm18Fp8KVCacheDataTypeE1ES0_Li16ELi128ELi256ELb1ELi15EL8MFMAType1EEvPKT_PKT0_S9_ifPKiSB_SB_iPKfiiiPfSE_PS4_PT2_iSD_SD_:
	.asciz	"void paged_attention_ll4mi_QKV_mfma16_kernel(const scalar_t *__restrict, const cache_t *__restrict, const cache_t *__restrict, const int, const float, const int *__restrict, const int *__restrict, const int *__restrict, const int, const float *__restrict, const int, const int, const int, float *__restrict, float *__restrict, scalar_t *__restrict, OUTT *__restrict, int, const float *, const float *) [scalar_t = __hip_bfloat16, cache_t = unsigned char, KV_DTYPE = vllm::Fp8KVCacheDataType::kFp8E4M3, OUTT = __hip_bfloat16, BLOCK_SIZE = 16, HEAD_SIZE = 128, NUM_THREADS = 256, ALIBI_ENABLED = true, GQA_RATIO = 15, MFMA_TYPE = MFMAType::Fp8]"
	.size	__PRETTY_FUNCTION__._Z39paged_attention_ll4mi_QKV_mfma16_kernelI14__hip_bfloat16hLN4vllm18Fp8KVCacheDataTypeE1ES0_Li16ELi128ELi256ELb1ELi15EL8MFMAType1EEvPKT_PKT0_S9_ifPKiSB_SB_iPKfiiiPfSE_PS4_PT2_iSD_SD_, 643

	.type	__PRETTY_FUNCTION__._Z39paged_attention_ll4mi_QKV_mfma16_kernelI14__hip_bfloat16hLN4vllm18Fp8KVCacheDataTypeE1ES0_Li16ELi128ELi256ELb1ELi16EL8MFMAType1EEvPKT_PKT0_S9_ifPKiSB_SB_iPKfiiiPfSE_PS4_PT2_iSD_SD_,@object ; @__PRETTY_FUNCTION__._Z39paged_attention_ll4mi_QKV_mfma16_kernelI14__hip_bfloat16hLN4vllm18Fp8KVCacheDataTypeE1ES0_Li16ELi128ELi256ELb1ELi16EL8MFMAType1EEvPKT_PKT0_S9_ifPKiSB_SB_iPKfiiiPfSE_PS4_PT2_iSD_SD_
__PRETTY_FUNCTION__._Z39paged_attention_ll4mi_QKV_mfma16_kernelI14__hip_bfloat16hLN4vllm18Fp8KVCacheDataTypeE1ES0_Li16ELi128ELi256ELb1ELi16EL8MFMAType1EEvPKT_PKT0_S9_ifPKiSB_SB_iPKfiiiPfSE_PS4_PT2_iSD_SD_:
	.asciz	"void paged_attention_ll4mi_QKV_mfma16_kernel(const scalar_t *__restrict, const cache_t *__restrict, const cache_t *__restrict, const int, const float, const int *__restrict, const int *__restrict, const int *__restrict, const int, const float *__restrict, const int, const int, const int, float *__restrict, float *__restrict, scalar_t *__restrict, OUTT *__restrict, int, const float *, const float *) [scalar_t = __hip_bfloat16, cache_t = unsigned char, KV_DTYPE = vllm::Fp8KVCacheDataType::kFp8E4M3, OUTT = __hip_bfloat16, BLOCK_SIZE = 16, HEAD_SIZE = 128, NUM_THREADS = 256, ALIBI_ENABLED = true, GQA_RATIO = 16, MFMA_TYPE = MFMAType::Fp8]"
	.size	__PRETTY_FUNCTION__._Z39paged_attention_ll4mi_QKV_mfma16_kernelI14__hip_bfloat16hLN4vllm18Fp8KVCacheDataTypeE1ES0_Li16ELi128ELi256ELb1ELi16EL8MFMAType1EEvPKT_PKT0_S9_ifPKiSB_SB_iPKfiiiPfSE_PS4_PT2_iSD_SD_, 643

	.type	__PRETTY_FUNCTION__._Z39paged_attention_ll4mi_QKV_mfma16_kernelI14__hip_bfloat16hLN4vllm18Fp8KVCacheDataTypeE1ES0_Li16ELi128ELi256ELb1ELi1EL8MFMAType1EEvPKT_PKT0_S9_ifPKiSB_SB_iPKfiiiPfSE_PS4_PT2_iSD_SD_,@object ; @__PRETTY_FUNCTION__._Z39paged_attention_ll4mi_QKV_mfma16_kernelI14__hip_bfloat16hLN4vllm18Fp8KVCacheDataTypeE1ES0_Li16ELi128ELi256ELb1ELi1EL8MFMAType1EEvPKT_PKT0_S9_ifPKiSB_SB_iPKfiiiPfSE_PS4_PT2_iSD_SD_
__PRETTY_FUNCTION__._Z39paged_attention_ll4mi_QKV_mfma16_kernelI14__hip_bfloat16hLN4vllm18Fp8KVCacheDataTypeE1ES0_Li16ELi128ELi256ELb1ELi1EL8MFMAType1EEvPKT_PKT0_S9_ifPKiSB_SB_iPKfiiiPfSE_PS4_PT2_iSD_SD_:
	.asciz	"void paged_attention_ll4mi_QKV_mfma16_kernel(const scalar_t *__restrict, const cache_t *__restrict, const cache_t *__restrict, const int, const float, const int *__restrict, const int *__restrict, const int *__restrict, const int, const float *__restrict, const int, const int, const int, float *__restrict, float *__restrict, scalar_t *__restrict, OUTT *__restrict, int, const float *, const float *) [scalar_t = __hip_bfloat16, cache_t = unsigned char, KV_DTYPE = vllm::Fp8KVCacheDataType::kFp8E4M3, OUTT = __hip_bfloat16, BLOCK_SIZE = 16, HEAD_SIZE = 128, NUM_THREADS = 256, ALIBI_ENABLED = true, GQA_RATIO = 1, MFMA_TYPE = MFMAType::Fp8]"
	.size	__PRETTY_FUNCTION__._Z39paged_attention_ll4mi_QKV_mfma16_kernelI14__hip_bfloat16hLN4vllm18Fp8KVCacheDataTypeE1ES0_Li16ELi128ELi256ELb1ELi1EL8MFMAType1EEvPKT_PKT0_S9_ifPKiSB_SB_iPKfiiiPfSE_PS4_PT2_iSD_SD_, 642

	.type	__PRETTY_FUNCTION__._Z39paged_attention_ll4mi_QKV_mfma16_kernelI14__hip_bfloat16hLN4vllm18Fp8KVCacheDataTypeE1ES0_Li16ELi128ELi256ELb1ELi2EL8MFMAType1EEvPKT_PKT0_S9_ifPKiSB_SB_iPKfiiiPfSE_PS4_PT2_iSD_SD_,@object ; @__PRETTY_FUNCTION__._Z39paged_attention_ll4mi_QKV_mfma16_kernelI14__hip_bfloat16hLN4vllm18Fp8KVCacheDataTypeE1ES0_Li16ELi128ELi256ELb1ELi2EL8MFMAType1EEvPKT_PKT0_S9_ifPKiSB_SB_iPKfiiiPfSE_PS4_PT2_iSD_SD_
__PRETTY_FUNCTION__._Z39paged_attention_ll4mi_QKV_mfma16_kernelI14__hip_bfloat16hLN4vllm18Fp8KVCacheDataTypeE1ES0_Li16ELi128ELi256ELb1ELi2EL8MFMAType1EEvPKT_PKT0_S9_ifPKiSB_SB_iPKfiiiPfSE_PS4_PT2_iSD_SD_:
	.asciz	"void paged_attention_ll4mi_QKV_mfma16_kernel(const scalar_t *__restrict, const cache_t *__restrict, const cache_t *__restrict, const int, const float, const int *__restrict, const int *__restrict, const int *__restrict, const int, const float *__restrict, const int, const int, const int, float *__restrict, float *__restrict, scalar_t *__restrict, OUTT *__restrict, int, const float *, const float *) [scalar_t = __hip_bfloat16, cache_t = unsigned char, KV_DTYPE = vllm::Fp8KVCacheDataType::kFp8E4M3, OUTT = __hip_bfloat16, BLOCK_SIZE = 16, HEAD_SIZE = 128, NUM_THREADS = 256, ALIBI_ENABLED = true, GQA_RATIO = 2, MFMA_TYPE = MFMAType::Fp8]"
	.size	__PRETTY_FUNCTION__._Z39paged_attention_ll4mi_QKV_mfma16_kernelI14__hip_bfloat16hLN4vllm18Fp8KVCacheDataTypeE1ES0_Li16ELi128ELi256ELb1ELi2EL8MFMAType1EEvPKT_PKT0_S9_ifPKiSB_SB_iPKfiiiPfSE_PS4_PT2_iSD_SD_, 642

	.type	__PRETTY_FUNCTION__._Z39paged_attention_ll4mi_QKV_mfma16_kernelI14__hip_bfloat16hLN4vllm18Fp8KVCacheDataTypeE1ES0_Li16ELi128ELi256ELb1ELi3EL8MFMAType1EEvPKT_PKT0_S9_ifPKiSB_SB_iPKfiiiPfSE_PS4_PT2_iSD_SD_,@object ; @__PRETTY_FUNCTION__._Z39paged_attention_ll4mi_QKV_mfma16_kernelI14__hip_bfloat16hLN4vllm18Fp8KVCacheDataTypeE1ES0_Li16ELi128ELi256ELb1ELi3EL8MFMAType1EEvPKT_PKT0_S9_ifPKiSB_SB_iPKfiiiPfSE_PS4_PT2_iSD_SD_
__PRETTY_FUNCTION__._Z39paged_attention_ll4mi_QKV_mfma16_kernelI14__hip_bfloat16hLN4vllm18Fp8KVCacheDataTypeE1ES0_Li16ELi128ELi256ELb1ELi3EL8MFMAType1EEvPKT_PKT0_S9_ifPKiSB_SB_iPKfiiiPfSE_PS4_PT2_iSD_SD_:
	.asciz	"void paged_attention_ll4mi_QKV_mfma16_kernel(const scalar_t *__restrict, const cache_t *__restrict, const cache_t *__restrict, const int, const float, const int *__restrict, const int *__restrict, const int *__restrict, const int, const float *__restrict, const int, const int, const int, float *__restrict, float *__restrict, scalar_t *__restrict, OUTT *__restrict, int, const float *, const float *) [scalar_t = __hip_bfloat16, cache_t = unsigned char, KV_DTYPE = vllm::Fp8KVCacheDataType::kFp8E4M3, OUTT = __hip_bfloat16, BLOCK_SIZE = 16, HEAD_SIZE = 128, NUM_THREADS = 256, ALIBI_ENABLED = true, GQA_RATIO = 3, MFMA_TYPE = MFMAType::Fp8]"
	.size	__PRETTY_FUNCTION__._Z39paged_attention_ll4mi_QKV_mfma16_kernelI14__hip_bfloat16hLN4vllm18Fp8KVCacheDataTypeE1ES0_Li16ELi128ELi256ELb1ELi3EL8MFMAType1EEvPKT_PKT0_S9_ifPKiSB_SB_iPKfiiiPfSE_PS4_PT2_iSD_SD_, 642

	.type	__PRETTY_FUNCTION__._Z39paged_attention_ll4mi_QKV_mfma16_kernelI14__hip_bfloat16hLN4vllm18Fp8KVCacheDataTypeE1ES0_Li16ELi128ELi256ELb1ELi4EL8MFMAType1EEvPKT_PKT0_S9_ifPKiSB_SB_iPKfiiiPfSE_PS4_PT2_iSD_SD_,@object ; @__PRETTY_FUNCTION__._Z39paged_attention_ll4mi_QKV_mfma16_kernelI14__hip_bfloat16hLN4vllm18Fp8KVCacheDataTypeE1ES0_Li16ELi128ELi256ELb1ELi4EL8MFMAType1EEvPKT_PKT0_S9_ifPKiSB_SB_iPKfiiiPfSE_PS4_PT2_iSD_SD_
__PRETTY_FUNCTION__._Z39paged_attention_ll4mi_QKV_mfma16_kernelI14__hip_bfloat16hLN4vllm18Fp8KVCacheDataTypeE1ES0_Li16ELi128ELi256ELb1ELi4EL8MFMAType1EEvPKT_PKT0_S9_ifPKiSB_SB_iPKfiiiPfSE_PS4_PT2_iSD_SD_:
	.asciz	"void paged_attention_ll4mi_QKV_mfma16_kernel(const scalar_t *__restrict, const cache_t *__restrict, const cache_t *__restrict, const int, const float, const int *__restrict, const int *__restrict, const int *__restrict, const int, const float *__restrict, const int, const int, const int, float *__restrict, float *__restrict, scalar_t *__restrict, OUTT *__restrict, int, const float *, const float *) [scalar_t = __hip_bfloat16, cache_t = unsigned char, KV_DTYPE = vllm::Fp8KVCacheDataType::kFp8E4M3, OUTT = __hip_bfloat16, BLOCK_SIZE = 16, HEAD_SIZE = 128, NUM_THREADS = 256, ALIBI_ENABLED = true, GQA_RATIO = 4, MFMA_TYPE = MFMAType::Fp8]"
	.size	__PRETTY_FUNCTION__._Z39paged_attention_ll4mi_QKV_mfma16_kernelI14__hip_bfloat16hLN4vllm18Fp8KVCacheDataTypeE1ES0_Li16ELi128ELi256ELb1ELi4EL8MFMAType1EEvPKT_PKT0_S9_ifPKiSB_SB_iPKfiiiPfSE_PS4_PT2_iSD_SD_, 642

	.type	__PRETTY_FUNCTION__._Z39paged_attention_ll4mi_QKV_mfma16_kernelI14__hip_bfloat16hLN4vllm18Fp8KVCacheDataTypeE1ES0_Li16ELi128ELi256ELb0ELi5EL8MFMAType1EEvPKT_PKT0_S9_ifPKiSB_SB_iPKfiiiPfSE_PS4_PT2_iSD_SD_,@object ; @__PRETTY_FUNCTION__._Z39paged_attention_ll4mi_QKV_mfma16_kernelI14__hip_bfloat16hLN4vllm18Fp8KVCacheDataTypeE1ES0_Li16ELi128ELi256ELb0ELi5EL8MFMAType1EEvPKT_PKT0_S9_ifPKiSB_SB_iPKfiiiPfSE_PS4_PT2_iSD_SD_
__PRETTY_FUNCTION__._Z39paged_attention_ll4mi_QKV_mfma16_kernelI14__hip_bfloat16hLN4vllm18Fp8KVCacheDataTypeE1ES0_Li16ELi128ELi256ELb0ELi5EL8MFMAType1EEvPKT_PKT0_S9_ifPKiSB_SB_iPKfiiiPfSE_PS4_PT2_iSD_SD_:
	.asciz	"void paged_attention_ll4mi_QKV_mfma16_kernel(const scalar_t *__restrict, const cache_t *__restrict, const cache_t *__restrict, const int, const float, const int *__restrict, const int *__restrict, const int *__restrict, const int, const float *__restrict, const int, const int, const int, float *__restrict, float *__restrict, scalar_t *__restrict, OUTT *__restrict, int, const float *, const float *) [scalar_t = __hip_bfloat16, cache_t = unsigned char, KV_DTYPE = vllm::Fp8KVCacheDataType::kFp8E4M3, OUTT = __hip_bfloat16, BLOCK_SIZE = 16, HEAD_SIZE = 128, NUM_THREADS = 256, ALIBI_ENABLED = false, GQA_RATIO = 5, MFMA_TYPE = MFMAType::Fp8]"
	.size	__PRETTY_FUNCTION__._Z39paged_attention_ll4mi_QKV_mfma16_kernelI14__hip_bfloat16hLN4vllm18Fp8KVCacheDataTypeE1ES0_Li16ELi128ELi256ELb0ELi5EL8MFMAType1EEvPKT_PKT0_S9_ifPKiSB_SB_iPKfiiiPfSE_PS4_PT2_iSD_SD_, 643

	.type	__PRETTY_FUNCTION__._Z39paged_attention_ll4mi_QKV_mfma16_kernelI14__hip_bfloat16hLN4vllm18Fp8KVCacheDataTypeE1ES0_Li16ELi128ELi256ELb0ELi6EL8MFMAType1EEvPKT_PKT0_S9_ifPKiSB_SB_iPKfiiiPfSE_PS4_PT2_iSD_SD_,@object ; @__PRETTY_FUNCTION__._Z39paged_attention_ll4mi_QKV_mfma16_kernelI14__hip_bfloat16hLN4vllm18Fp8KVCacheDataTypeE1ES0_Li16ELi128ELi256ELb0ELi6EL8MFMAType1EEvPKT_PKT0_S9_ifPKiSB_SB_iPKfiiiPfSE_PS4_PT2_iSD_SD_
__PRETTY_FUNCTION__._Z39paged_attention_ll4mi_QKV_mfma16_kernelI14__hip_bfloat16hLN4vllm18Fp8KVCacheDataTypeE1ES0_Li16ELi128ELi256ELb0ELi6EL8MFMAType1EEvPKT_PKT0_S9_ifPKiSB_SB_iPKfiiiPfSE_PS4_PT2_iSD_SD_:
	.asciz	"void paged_attention_ll4mi_QKV_mfma16_kernel(const scalar_t *__restrict, const cache_t *__restrict, const cache_t *__restrict, const int, const float, const int *__restrict, const int *__restrict, const int *__restrict, const int, const float *__restrict, const int, const int, const int, float *__restrict, float *__restrict, scalar_t *__restrict, OUTT *__restrict, int, const float *, const float *) [scalar_t = __hip_bfloat16, cache_t = unsigned char, KV_DTYPE = vllm::Fp8KVCacheDataType::kFp8E4M3, OUTT = __hip_bfloat16, BLOCK_SIZE = 16, HEAD_SIZE = 128, NUM_THREADS = 256, ALIBI_ENABLED = false, GQA_RATIO = 6, MFMA_TYPE = MFMAType::Fp8]"
	.size	__PRETTY_FUNCTION__._Z39paged_attention_ll4mi_QKV_mfma16_kernelI14__hip_bfloat16hLN4vllm18Fp8KVCacheDataTypeE1ES0_Li16ELi128ELi256ELb0ELi6EL8MFMAType1EEvPKT_PKT0_S9_ifPKiSB_SB_iPKfiiiPfSE_PS4_PT2_iSD_SD_, 643

	.type	__PRETTY_FUNCTION__._Z39paged_attention_ll4mi_QKV_mfma16_kernelI14__hip_bfloat16hLN4vllm18Fp8KVCacheDataTypeE1ES0_Li16ELi128ELi256ELb0ELi7EL8MFMAType1EEvPKT_PKT0_S9_ifPKiSB_SB_iPKfiiiPfSE_PS4_PT2_iSD_SD_,@object ; @__PRETTY_FUNCTION__._Z39paged_attention_ll4mi_QKV_mfma16_kernelI14__hip_bfloat16hLN4vllm18Fp8KVCacheDataTypeE1ES0_Li16ELi128ELi256ELb0ELi7EL8MFMAType1EEvPKT_PKT0_S9_ifPKiSB_SB_iPKfiiiPfSE_PS4_PT2_iSD_SD_
__PRETTY_FUNCTION__._Z39paged_attention_ll4mi_QKV_mfma16_kernelI14__hip_bfloat16hLN4vllm18Fp8KVCacheDataTypeE1ES0_Li16ELi128ELi256ELb0ELi7EL8MFMAType1EEvPKT_PKT0_S9_ifPKiSB_SB_iPKfiiiPfSE_PS4_PT2_iSD_SD_:
	.asciz	"void paged_attention_ll4mi_QKV_mfma16_kernel(const scalar_t *__restrict, const cache_t *__restrict, const cache_t *__restrict, const int, const float, const int *__restrict, const int *__restrict, const int *__restrict, const int, const float *__restrict, const int, const int, const int, float *__restrict, float *__restrict, scalar_t *__restrict, OUTT *__restrict, int, const float *, const float *) [scalar_t = __hip_bfloat16, cache_t = unsigned char, KV_DTYPE = vllm::Fp8KVCacheDataType::kFp8E4M3, OUTT = __hip_bfloat16, BLOCK_SIZE = 16, HEAD_SIZE = 128, NUM_THREADS = 256, ALIBI_ENABLED = false, GQA_RATIO = 7, MFMA_TYPE = MFMAType::Fp8]"
	.size	__PRETTY_FUNCTION__._Z39paged_attention_ll4mi_QKV_mfma16_kernelI14__hip_bfloat16hLN4vllm18Fp8KVCacheDataTypeE1ES0_Li16ELi128ELi256ELb0ELi7EL8MFMAType1EEvPKT_PKT0_S9_ifPKiSB_SB_iPKfiiiPfSE_PS4_PT2_iSD_SD_, 643

	.type	__PRETTY_FUNCTION__._Z39paged_attention_ll4mi_QKV_mfma16_kernelI14__hip_bfloat16hLN4vllm18Fp8KVCacheDataTypeE1ES0_Li16ELi128ELi256ELb0ELi8EL8MFMAType1EEvPKT_PKT0_S9_ifPKiSB_SB_iPKfiiiPfSE_PS4_PT2_iSD_SD_,@object ; @__PRETTY_FUNCTION__._Z39paged_attention_ll4mi_QKV_mfma16_kernelI14__hip_bfloat16hLN4vllm18Fp8KVCacheDataTypeE1ES0_Li16ELi128ELi256ELb0ELi8EL8MFMAType1EEvPKT_PKT0_S9_ifPKiSB_SB_iPKfiiiPfSE_PS4_PT2_iSD_SD_
__PRETTY_FUNCTION__._Z39paged_attention_ll4mi_QKV_mfma16_kernelI14__hip_bfloat16hLN4vllm18Fp8KVCacheDataTypeE1ES0_Li16ELi128ELi256ELb0ELi8EL8MFMAType1EEvPKT_PKT0_S9_ifPKiSB_SB_iPKfiiiPfSE_PS4_PT2_iSD_SD_:
	.asciz	"void paged_attention_ll4mi_QKV_mfma16_kernel(const scalar_t *__restrict, const cache_t *__restrict, const cache_t *__restrict, const int, const float, const int *__restrict, const int *__restrict, const int *__restrict, const int, const float *__restrict, const int, const int, const int, float *__restrict, float *__restrict, scalar_t *__restrict, OUTT *__restrict, int, const float *, const float *) [scalar_t = __hip_bfloat16, cache_t = unsigned char, KV_DTYPE = vllm::Fp8KVCacheDataType::kFp8E4M3, OUTT = __hip_bfloat16, BLOCK_SIZE = 16, HEAD_SIZE = 128, NUM_THREADS = 256, ALIBI_ENABLED = false, GQA_RATIO = 8, MFMA_TYPE = MFMAType::Fp8]"
	.size	__PRETTY_FUNCTION__._Z39paged_attention_ll4mi_QKV_mfma16_kernelI14__hip_bfloat16hLN4vllm18Fp8KVCacheDataTypeE1ES0_Li16ELi128ELi256ELb0ELi8EL8MFMAType1EEvPKT_PKT0_S9_ifPKiSB_SB_iPKfiiiPfSE_PS4_PT2_iSD_SD_, 643

	.type	__PRETTY_FUNCTION__._Z39paged_attention_ll4mi_QKV_mfma16_kernelI14__hip_bfloat16hLN4vllm18Fp8KVCacheDataTypeE1ES0_Li16ELi128ELi256ELb0ELi9EL8MFMAType1EEvPKT_PKT0_S9_ifPKiSB_SB_iPKfiiiPfSE_PS4_PT2_iSD_SD_,@object ; @__PRETTY_FUNCTION__._Z39paged_attention_ll4mi_QKV_mfma16_kernelI14__hip_bfloat16hLN4vllm18Fp8KVCacheDataTypeE1ES0_Li16ELi128ELi256ELb0ELi9EL8MFMAType1EEvPKT_PKT0_S9_ifPKiSB_SB_iPKfiiiPfSE_PS4_PT2_iSD_SD_
__PRETTY_FUNCTION__._Z39paged_attention_ll4mi_QKV_mfma16_kernelI14__hip_bfloat16hLN4vllm18Fp8KVCacheDataTypeE1ES0_Li16ELi128ELi256ELb0ELi9EL8MFMAType1EEvPKT_PKT0_S9_ifPKiSB_SB_iPKfiiiPfSE_PS4_PT2_iSD_SD_:
	.asciz	"void paged_attention_ll4mi_QKV_mfma16_kernel(const scalar_t *__restrict, const cache_t *__restrict, const cache_t *__restrict, const int, const float, const int *__restrict, const int *__restrict, const int *__restrict, const int, const float *__restrict, const int, const int, const int, float *__restrict, float *__restrict, scalar_t *__restrict, OUTT *__restrict, int, const float *, const float *) [scalar_t = __hip_bfloat16, cache_t = unsigned char, KV_DTYPE = vllm::Fp8KVCacheDataType::kFp8E4M3, OUTT = __hip_bfloat16, BLOCK_SIZE = 16, HEAD_SIZE = 128, NUM_THREADS = 256, ALIBI_ENABLED = false, GQA_RATIO = 9, MFMA_TYPE = MFMAType::Fp8]"
	.size	__PRETTY_FUNCTION__._Z39paged_attention_ll4mi_QKV_mfma16_kernelI14__hip_bfloat16hLN4vllm18Fp8KVCacheDataTypeE1ES0_Li16ELi128ELi256ELb0ELi9EL8MFMAType1EEvPKT_PKT0_S9_ifPKiSB_SB_iPKfiiiPfSE_PS4_PT2_iSD_SD_, 643

	.type	__PRETTY_FUNCTION__._Z39paged_attention_ll4mi_QKV_mfma16_kernelI14__hip_bfloat16hLN4vllm18Fp8KVCacheDataTypeE1ES0_Li16ELi128ELi256ELb0ELi10EL8MFMAType1EEvPKT_PKT0_S9_ifPKiSB_SB_iPKfiiiPfSE_PS4_PT2_iSD_SD_,@object ; @__PRETTY_FUNCTION__._Z39paged_attention_ll4mi_QKV_mfma16_kernelI14__hip_bfloat16hLN4vllm18Fp8KVCacheDataTypeE1ES0_Li16ELi128ELi256ELb0ELi10EL8MFMAType1EEvPKT_PKT0_S9_ifPKiSB_SB_iPKfiiiPfSE_PS4_PT2_iSD_SD_
__PRETTY_FUNCTION__._Z39paged_attention_ll4mi_QKV_mfma16_kernelI14__hip_bfloat16hLN4vllm18Fp8KVCacheDataTypeE1ES0_Li16ELi128ELi256ELb0ELi10EL8MFMAType1EEvPKT_PKT0_S9_ifPKiSB_SB_iPKfiiiPfSE_PS4_PT2_iSD_SD_:
	.asciz	"void paged_attention_ll4mi_QKV_mfma16_kernel(const scalar_t *__restrict, const cache_t *__restrict, const cache_t *__restrict, const int, const float, const int *__restrict, const int *__restrict, const int *__restrict, const int, const float *__restrict, const int, const int, const int, float *__restrict, float *__restrict, scalar_t *__restrict, OUTT *__restrict, int, const float *, const float *) [scalar_t = __hip_bfloat16, cache_t = unsigned char, KV_DTYPE = vllm::Fp8KVCacheDataType::kFp8E4M3, OUTT = __hip_bfloat16, BLOCK_SIZE = 16, HEAD_SIZE = 128, NUM_THREADS = 256, ALIBI_ENABLED = false, GQA_RATIO = 10, MFMA_TYPE = MFMAType::Fp8]"
	.size	__PRETTY_FUNCTION__._Z39paged_attention_ll4mi_QKV_mfma16_kernelI14__hip_bfloat16hLN4vllm18Fp8KVCacheDataTypeE1ES0_Li16ELi128ELi256ELb0ELi10EL8MFMAType1EEvPKT_PKT0_S9_ifPKiSB_SB_iPKfiiiPfSE_PS4_PT2_iSD_SD_, 644

	.type	__PRETTY_FUNCTION__._Z39paged_attention_ll4mi_QKV_mfma16_kernelI14__hip_bfloat16hLN4vllm18Fp8KVCacheDataTypeE1ES0_Li16ELi128ELi256ELb0ELi11EL8MFMAType1EEvPKT_PKT0_S9_ifPKiSB_SB_iPKfiiiPfSE_PS4_PT2_iSD_SD_,@object ; @__PRETTY_FUNCTION__._Z39paged_attention_ll4mi_QKV_mfma16_kernelI14__hip_bfloat16hLN4vllm18Fp8KVCacheDataTypeE1ES0_Li16ELi128ELi256ELb0ELi11EL8MFMAType1EEvPKT_PKT0_S9_ifPKiSB_SB_iPKfiiiPfSE_PS4_PT2_iSD_SD_
__PRETTY_FUNCTION__._Z39paged_attention_ll4mi_QKV_mfma16_kernelI14__hip_bfloat16hLN4vllm18Fp8KVCacheDataTypeE1ES0_Li16ELi128ELi256ELb0ELi11EL8MFMAType1EEvPKT_PKT0_S9_ifPKiSB_SB_iPKfiiiPfSE_PS4_PT2_iSD_SD_:
	.asciz	"void paged_attention_ll4mi_QKV_mfma16_kernel(const scalar_t *__restrict, const cache_t *__restrict, const cache_t *__restrict, const int, const float, const int *__restrict, const int *__restrict, const int *__restrict, const int, const float *__restrict, const int, const int, const int, float *__restrict, float *__restrict, scalar_t *__restrict, OUTT *__restrict, int, const float *, const float *) [scalar_t = __hip_bfloat16, cache_t = unsigned char, KV_DTYPE = vllm::Fp8KVCacheDataType::kFp8E4M3, OUTT = __hip_bfloat16, BLOCK_SIZE = 16, HEAD_SIZE = 128, NUM_THREADS = 256, ALIBI_ENABLED = false, GQA_RATIO = 11, MFMA_TYPE = MFMAType::Fp8]"
	.size	__PRETTY_FUNCTION__._Z39paged_attention_ll4mi_QKV_mfma16_kernelI14__hip_bfloat16hLN4vllm18Fp8KVCacheDataTypeE1ES0_Li16ELi128ELi256ELb0ELi11EL8MFMAType1EEvPKT_PKT0_S9_ifPKiSB_SB_iPKfiiiPfSE_PS4_PT2_iSD_SD_, 644

	.type	__PRETTY_FUNCTION__._Z39paged_attention_ll4mi_QKV_mfma16_kernelI14__hip_bfloat16hLN4vllm18Fp8KVCacheDataTypeE1ES0_Li16ELi128ELi256ELb0ELi12EL8MFMAType1EEvPKT_PKT0_S9_ifPKiSB_SB_iPKfiiiPfSE_PS4_PT2_iSD_SD_,@object ; @__PRETTY_FUNCTION__._Z39paged_attention_ll4mi_QKV_mfma16_kernelI14__hip_bfloat16hLN4vllm18Fp8KVCacheDataTypeE1ES0_Li16ELi128ELi256ELb0ELi12EL8MFMAType1EEvPKT_PKT0_S9_ifPKiSB_SB_iPKfiiiPfSE_PS4_PT2_iSD_SD_
__PRETTY_FUNCTION__._Z39paged_attention_ll4mi_QKV_mfma16_kernelI14__hip_bfloat16hLN4vllm18Fp8KVCacheDataTypeE1ES0_Li16ELi128ELi256ELb0ELi12EL8MFMAType1EEvPKT_PKT0_S9_ifPKiSB_SB_iPKfiiiPfSE_PS4_PT2_iSD_SD_:
	.asciz	"void paged_attention_ll4mi_QKV_mfma16_kernel(const scalar_t *__restrict, const cache_t *__restrict, const cache_t *__restrict, const int, const float, const int *__restrict, const int *__restrict, const int *__restrict, const int, const float *__restrict, const int, const int, const int, float *__restrict, float *__restrict, scalar_t *__restrict, OUTT *__restrict, int, const float *, const float *) [scalar_t = __hip_bfloat16, cache_t = unsigned char, KV_DTYPE = vllm::Fp8KVCacheDataType::kFp8E4M3, OUTT = __hip_bfloat16, BLOCK_SIZE = 16, HEAD_SIZE = 128, NUM_THREADS = 256, ALIBI_ENABLED = false, GQA_RATIO = 12, MFMA_TYPE = MFMAType::Fp8]"
	.size	__PRETTY_FUNCTION__._Z39paged_attention_ll4mi_QKV_mfma16_kernelI14__hip_bfloat16hLN4vllm18Fp8KVCacheDataTypeE1ES0_Li16ELi128ELi256ELb0ELi12EL8MFMAType1EEvPKT_PKT0_S9_ifPKiSB_SB_iPKfiiiPfSE_PS4_PT2_iSD_SD_, 644

	.type	__PRETTY_FUNCTION__._Z39paged_attention_ll4mi_QKV_mfma16_kernelI14__hip_bfloat16hLN4vllm18Fp8KVCacheDataTypeE1ES0_Li16ELi128ELi256ELb0ELi13EL8MFMAType1EEvPKT_PKT0_S9_ifPKiSB_SB_iPKfiiiPfSE_PS4_PT2_iSD_SD_,@object ; @__PRETTY_FUNCTION__._Z39paged_attention_ll4mi_QKV_mfma16_kernelI14__hip_bfloat16hLN4vllm18Fp8KVCacheDataTypeE1ES0_Li16ELi128ELi256ELb0ELi13EL8MFMAType1EEvPKT_PKT0_S9_ifPKiSB_SB_iPKfiiiPfSE_PS4_PT2_iSD_SD_
__PRETTY_FUNCTION__._Z39paged_attention_ll4mi_QKV_mfma16_kernelI14__hip_bfloat16hLN4vllm18Fp8KVCacheDataTypeE1ES0_Li16ELi128ELi256ELb0ELi13EL8MFMAType1EEvPKT_PKT0_S9_ifPKiSB_SB_iPKfiiiPfSE_PS4_PT2_iSD_SD_:
	.asciz	"void paged_attention_ll4mi_QKV_mfma16_kernel(const scalar_t *__restrict, const cache_t *__restrict, const cache_t *__restrict, const int, const float, const int *__restrict, const int *__restrict, const int *__restrict, const int, const float *__restrict, const int, const int, const int, float *__restrict, float *__restrict, scalar_t *__restrict, OUTT *__restrict, int, const float *, const float *) [scalar_t = __hip_bfloat16, cache_t = unsigned char, KV_DTYPE = vllm::Fp8KVCacheDataType::kFp8E4M3, OUTT = __hip_bfloat16, BLOCK_SIZE = 16, HEAD_SIZE = 128, NUM_THREADS = 256, ALIBI_ENABLED = false, GQA_RATIO = 13, MFMA_TYPE = MFMAType::Fp8]"
	.size	__PRETTY_FUNCTION__._Z39paged_attention_ll4mi_QKV_mfma16_kernelI14__hip_bfloat16hLN4vllm18Fp8KVCacheDataTypeE1ES0_Li16ELi128ELi256ELb0ELi13EL8MFMAType1EEvPKT_PKT0_S9_ifPKiSB_SB_iPKfiiiPfSE_PS4_PT2_iSD_SD_, 644

	.type	__PRETTY_FUNCTION__._Z39paged_attention_ll4mi_QKV_mfma16_kernelI14__hip_bfloat16hLN4vllm18Fp8KVCacheDataTypeE1ES0_Li16ELi128ELi256ELb0ELi14EL8MFMAType1EEvPKT_PKT0_S9_ifPKiSB_SB_iPKfiiiPfSE_PS4_PT2_iSD_SD_,@object ; @__PRETTY_FUNCTION__._Z39paged_attention_ll4mi_QKV_mfma16_kernelI14__hip_bfloat16hLN4vllm18Fp8KVCacheDataTypeE1ES0_Li16ELi128ELi256ELb0ELi14EL8MFMAType1EEvPKT_PKT0_S9_ifPKiSB_SB_iPKfiiiPfSE_PS4_PT2_iSD_SD_
__PRETTY_FUNCTION__._Z39paged_attention_ll4mi_QKV_mfma16_kernelI14__hip_bfloat16hLN4vllm18Fp8KVCacheDataTypeE1ES0_Li16ELi128ELi256ELb0ELi14EL8MFMAType1EEvPKT_PKT0_S9_ifPKiSB_SB_iPKfiiiPfSE_PS4_PT2_iSD_SD_:
	.asciz	"void paged_attention_ll4mi_QKV_mfma16_kernel(const scalar_t *__restrict, const cache_t *__restrict, const cache_t *__restrict, const int, const float, const int *__restrict, const int *__restrict, const int *__restrict, const int, const float *__restrict, const int, const int, const int, float *__restrict, float *__restrict, scalar_t *__restrict, OUTT *__restrict, int, const float *, const float *) [scalar_t = __hip_bfloat16, cache_t = unsigned char, KV_DTYPE = vllm::Fp8KVCacheDataType::kFp8E4M3, OUTT = __hip_bfloat16, BLOCK_SIZE = 16, HEAD_SIZE = 128, NUM_THREADS = 256, ALIBI_ENABLED = false, GQA_RATIO = 14, MFMA_TYPE = MFMAType::Fp8]"
	.size	__PRETTY_FUNCTION__._Z39paged_attention_ll4mi_QKV_mfma16_kernelI14__hip_bfloat16hLN4vllm18Fp8KVCacheDataTypeE1ES0_Li16ELi128ELi256ELb0ELi14EL8MFMAType1EEvPKT_PKT0_S9_ifPKiSB_SB_iPKfiiiPfSE_PS4_PT2_iSD_SD_, 644

	.type	__PRETTY_FUNCTION__._Z39paged_attention_ll4mi_QKV_mfma16_kernelI14__hip_bfloat16hLN4vllm18Fp8KVCacheDataTypeE1ES0_Li16ELi128ELi256ELb0ELi15EL8MFMAType1EEvPKT_PKT0_S9_ifPKiSB_SB_iPKfiiiPfSE_PS4_PT2_iSD_SD_,@object ; @__PRETTY_FUNCTION__._Z39paged_attention_ll4mi_QKV_mfma16_kernelI14__hip_bfloat16hLN4vllm18Fp8KVCacheDataTypeE1ES0_Li16ELi128ELi256ELb0ELi15EL8MFMAType1EEvPKT_PKT0_S9_ifPKiSB_SB_iPKfiiiPfSE_PS4_PT2_iSD_SD_
__PRETTY_FUNCTION__._Z39paged_attention_ll4mi_QKV_mfma16_kernelI14__hip_bfloat16hLN4vllm18Fp8KVCacheDataTypeE1ES0_Li16ELi128ELi256ELb0ELi15EL8MFMAType1EEvPKT_PKT0_S9_ifPKiSB_SB_iPKfiiiPfSE_PS4_PT2_iSD_SD_:
	.asciz	"void paged_attention_ll4mi_QKV_mfma16_kernel(const scalar_t *__restrict, const cache_t *__restrict, const cache_t *__restrict, const int, const float, const int *__restrict, const int *__restrict, const int *__restrict, const int, const float *__restrict, const int, const int, const int, float *__restrict, float *__restrict, scalar_t *__restrict, OUTT *__restrict, int, const float *, const float *) [scalar_t = __hip_bfloat16, cache_t = unsigned char, KV_DTYPE = vllm::Fp8KVCacheDataType::kFp8E4M3, OUTT = __hip_bfloat16, BLOCK_SIZE = 16, HEAD_SIZE = 128, NUM_THREADS = 256, ALIBI_ENABLED = false, GQA_RATIO = 15, MFMA_TYPE = MFMAType::Fp8]"
	.size	__PRETTY_FUNCTION__._Z39paged_attention_ll4mi_QKV_mfma16_kernelI14__hip_bfloat16hLN4vllm18Fp8KVCacheDataTypeE1ES0_Li16ELi128ELi256ELb0ELi15EL8MFMAType1EEvPKT_PKT0_S9_ifPKiSB_SB_iPKfiiiPfSE_PS4_PT2_iSD_SD_, 644

	.type	__PRETTY_FUNCTION__._Z39paged_attention_ll4mi_QKV_mfma16_kernelI14__hip_bfloat16hLN4vllm18Fp8KVCacheDataTypeE1ES0_Li16ELi128ELi256ELb0ELi16EL8MFMAType1EEvPKT_PKT0_S9_ifPKiSB_SB_iPKfiiiPfSE_PS4_PT2_iSD_SD_,@object ; @__PRETTY_FUNCTION__._Z39paged_attention_ll4mi_QKV_mfma16_kernelI14__hip_bfloat16hLN4vllm18Fp8KVCacheDataTypeE1ES0_Li16ELi128ELi256ELb0ELi16EL8MFMAType1EEvPKT_PKT0_S9_ifPKiSB_SB_iPKfiiiPfSE_PS4_PT2_iSD_SD_
__PRETTY_FUNCTION__._Z39paged_attention_ll4mi_QKV_mfma16_kernelI14__hip_bfloat16hLN4vllm18Fp8KVCacheDataTypeE1ES0_Li16ELi128ELi256ELb0ELi16EL8MFMAType1EEvPKT_PKT0_S9_ifPKiSB_SB_iPKfiiiPfSE_PS4_PT2_iSD_SD_:
	.asciz	"void paged_attention_ll4mi_QKV_mfma16_kernel(const scalar_t *__restrict, const cache_t *__restrict, const cache_t *__restrict, const int, const float, const int *__restrict, const int *__restrict, const int *__restrict, const int, const float *__restrict, const int, const int, const int, float *__restrict, float *__restrict, scalar_t *__restrict, OUTT *__restrict, int, const float *, const float *) [scalar_t = __hip_bfloat16, cache_t = unsigned char, KV_DTYPE = vllm::Fp8KVCacheDataType::kFp8E4M3, OUTT = __hip_bfloat16, BLOCK_SIZE = 16, HEAD_SIZE = 128, NUM_THREADS = 256, ALIBI_ENABLED = false, GQA_RATIO = 16, MFMA_TYPE = MFMAType::Fp8]"
	.size	__PRETTY_FUNCTION__._Z39paged_attention_ll4mi_QKV_mfma16_kernelI14__hip_bfloat16hLN4vllm18Fp8KVCacheDataTypeE1ES0_Li16ELi128ELi256ELb0ELi16EL8MFMAType1EEvPKT_PKT0_S9_ifPKiSB_SB_iPKfiiiPfSE_PS4_PT2_iSD_SD_, 644

	.type	__PRETTY_FUNCTION__._Z39paged_attention_ll4mi_QKV_mfma16_kernelI14__hip_bfloat16hLN4vllm18Fp8KVCacheDataTypeE1ES0_Li16ELi128ELi256ELb0ELi1EL8MFMAType1EEvPKT_PKT0_S9_ifPKiSB_SB_iPKfiiiPfSE_PS4_PT2_iSD_SD_,@object ; @__PRETTY_FUNCTION__._Z39paged_attention_ll4mi_QKV_mfma16_kernelI14__hip_bfloat16hLN4vllm18Fp8KVCacheDataTypeE1ES0_Li16ELi128ELi256ELb0ELi1EL8MFMAType1EEvPKT_PKT0_S9_ifPKiSB_SB_iPKfiiiPfSE_PS4_PT2_iSD_SD_
__PRETTY_FUNCTION__._Z39paged_attention_ll4mi_QKV_mfma16_kernelI14__hip_bfloat16hLN4vllm18Fp8KVCacheDataTypeE1ES0_Li16ELi128ELi256ELb0ELi1EL8MFMAType1EEvPKT_PKT0_S9_ifPKiSB_SB_iPKfiiiPfSE_PS4_PT2_iSD_SD_:
	.asciz	"void paged_attention_ll4mi_QKV_mfma16_kernel(const scalar_t *__restrict, const cache_t *__restrict, const cache_t *__restrict, const int, const float, const int *__restrict, const int *__restrict, const int *__restrict, const int, const float *__restrict, const int, const int, const int, float *__restrict, float *__restrict, scalar_t *__restrict, OUTT *__restrict, int, const float *, const float *) [scalar_t = __hip_bfloat16, cache_t = unsigned char, KV_DTYPE = vllm::Fp8KVCacheDataType::kFp8E4M3, OUTT = __hip_bfloat16, BLOCK_SIZE = 16, HEAD_SIZE = 128, NUM_THREADS = 256, ALIBI_ENABLED = false, GQA_RATIO = 1, MFMA_TYPE = MFMAType::Fp8]"
	.size	__PRETTY_FUNCTION__._Z39paged_attention_ll4mi_QKV_mfma16_kernelI14__hip_bfloat16hLN4vllm18Fp8KVCacheDataTypeE1ES0_Li16ELi128ELi256ELb0ELi1EL8MFMAType1EEvPKT_PKT0_S9_ifPKiSB_SB_iPKfiiiPfSE_PS4_PT2_iSD_SD_, 643

	.type	__PRETTY_FUNCTION__._Z39paged_attention_ll4mi_QKV_mfma16_kernelI14__hip_bfloat16hLN4vllm18Fp8KVCacheDataTypeE1ES0_Li16ELi128ELi256ELb0ELi2EL8MFMAType1EEvPKT_PKT0_S9_ifPKiSB_SB_iPKfiiiPfSE_PS4_PT2_iSD_SD_,@object ; @__PRETTY_FUNCTION__._Z39paged_attention_ll4mi_QKV_mfma16_kernelI14__hip_bfloat16hLN4vllm18Fp8KVCacheDataTypeE1ES0_Li16ELi128ELi256ELb0ELi2EL8MFMAType1EEvPKT_PKT0_S9_ifPKiSB_SB_iPKfiiiPfSE_PS4_PT2_iSD_SD_
__PRETTY_FUNCTION__._Z39paged_attention_ll4mi_QKV_mfma16_kernelI14__hip_bfloat16hLN4vllm18Fp8KVCacheDataTypeE1ES0_Li16ELi128ELi256ELb0ELi2EL8MFMAType1EEvPKT_PKT0_S9_ifPKiSB_SB_iPKfiiiPfSE_PS4_PT2_iSD_SD_:
	.asciz	"void paged_attention_ll4mi_QKV_mfma16_kernel(const scalar_t *__restrict, const cache_t *__restrict, const cache_t *__restrict, const int, const float, const int *__restrict, const int *__restrict, const int *__restrict, const int, const float *__restrict, const int, const int, const int, float *__restrict, float *__restrict, scalar_t *__restrict, OUTT *__restrict, int, const float *, const float *) [scalar_t = __hip_bfloat16, cache_t = unsigned char, KV_DTYPE = vllm::Fp8KVCacheDataType::kFp8E4M3, OUTT = __hip_bfloat16, BLOCK_SIZE = 16, HEAD_SIZE = 128, NUM_THREADS = 256, ALIBI_ENABLED = false, GQA_RATIO = 2, MFMA_TYPE = MFMAType::Fp8]"
	.size	__PRETTY_FUNCTION__._Z39paged_attention_ll4mi_QKV_mfma16_kernelI14__hip_bfloat16hLN4vllm18Fp8KVCacheDataTypeE1ES0_Li16ELi128ELi256ELb0ELi2EL8MFMAType1EEvPKT_PKT0_S9_ifPKiSB_SB_iPKfiiiPfSE_PS4_PT2_iSD_SD_, 643

	.type	__PRETTY_FUNCTION__._Z39paged_attention_ll4mi_QKV_mfma16_kernelI14__hip_bfloat16hLN4vllm18Fp8KVCacheDataTypeE1ES0_Li16ELi128ELi256ELb0ELi3EL8MFMAType1EEvPKT_PKT0_S9_ifPKiSB_SB_iPKfiiiPfSE_PS4_PT2_iSD_SD_,@object ; @__PRETTY_FUNCTION__._Z39paged_attention_ll4mi_QKV_mfma16_kernelI14__hip_bfloat16hLN4vllm18Fp8KVCacheDataTypeE1ES0_Li16ELi128ELi256ELb0ELi3EL8MFMAType1EEvPKT_PKT0_S9_ifPKiSB_SB_iPKfiiiPfSE_PS4_PT2_iSD_SD_
__PRETTY_FUNCTION__._Z39paged_attention_ll4mi_QKV_mfma16_kernelI14__hip_bfloat16hLN4vllm18Fp8KVCacheDataTypeE1ES0_Li16ELi128ELi256ELb0ELi3EL8MFMAType1EEvPKT_PKT0_S9_ifPKiSB_SB_iPKfiiiPfSE_PS4_PT2_iSD_SD_:
	.asciz	"void paged_attention_ll4mi_QKV_mfma16_kernel(const scalar_t *__restrict, const cache_t *__restrict, const cache_t *__restrict, const int, const float, const int *__restrict, const int *__restrict, const int *__restrict, const int, const float *__restrict, const int, const int, const int, float *__restrict, float *__restrict, scalar_t *__restrict, OUTT *__restrict, int, const float *, const float *) [scalar_t = __hip_bfloat16, cache_t = unsigned char, KV_DTYPE = vllm::Fp8KVCacheDataType::kFp8E4M3, OUTT = __hip_bfloat16, BLOCK_SIZE = 16, HEAD_SIZE = 128, NUM_THREADS = 256, ALIBI_ENABLED = false, GQA_RATIO = 3, MFMA_TYPE = MFMAType::Fp8]"
	.size	__PRETTY_FUNCTION__._Z39paged_attention_ll4mi_QKV_mfma16_kernelI14__hip_bfloat16hLN4vllm18Fp8KVCacheDataTypeE1ES0_Li16ELi128ELi256ELb0ELi3EL8MFMAType1EEvPKT_PKT0_S9_ifPKiSB_SB_iPKfiiiPfSE_PS4_PT2_iSD_SD_, 643

	.type	__PRETTY_FUNCTION__._Z39paged_attention_ll4mi_QKV_mfma16_kernelI14__hip_bfloat16hLN4vllm18Fp8KVCacheDataTypeE1ES0_Li16ELi128ELi256ELb0ELi4EL8MFMAType1EEvPKT_PKT0_S9_ifPKiSB_SB_iPKfiiiPfSE_PS4_PT2_iSD_SD_,@object ; @__PRETTY_FUNCTION__._Z39paged_attention_ll4mi_QKV_mfma16_kernelI14__hip_bfloat16hLN4vllm18Fp8KVCacheDataTypeE1ES0_Li16ELi128ELi256ELb0ELi4EL8MFMAType1EEvPKT_PKT0_S9_ifPKiSB_SB_iPKfiiiPfSE_PS4_PT2_iSD_SD_
__PRETTY_FUNCTION__._Z39paged_attention_ll4mi_QKV_mfma16_kernelI14__hip_bfloat16hLN4vllm18Fp8KVCacheDataTypeE1ES0_Li16ELi128ELi256ELb0ELi4EL8MFMAType1EEvPKT_PKT0_S9_ifPKiSB_SB_iPKfiiiPfSE_PS4_PT2_iSD_SD_:
	.asciz	"void paged_attention_ll4mi_QKV_mfma16_kernel(const scalar_t *__restrict, const cache_t *__restrict, const cache_t *__restrict, const int, const float, const int *__restrict, const int *__restrict, const int *__restrict, const int, const float *__restrict, const int, const int, const int, float *__restrict, float *__restrict, scalar_t *__restrict, OUTT *__restrict, int, const float *, const float *) [scalar_t = __hip_bfloat16, cache_t = unsigned char, KV_DTYPE = vllm::Fp8KVCacheDataType::kFp8E4M3, OUTT = __hip_bfloat16, BLOCK_SIZE = 16, HEAD_SIZE = 128, NUM_THREADS = 256, ALIBI_ENABLED = false, GQA_RATIO = 4, MFMA_TYPE = MFMAType::Fp8]"
	.size	__PRETTY_FUNCTION__._Z39paged_attention_ll4mi_QKV_mfma16_kernelI14__hip_bfloat16hLN4vllm18Fp8KVCacheDataTypeE1ES0_Li16ELi128ELi256ELb0ELi4EL8MFMAType1EEvPKT_PKT0_S9_ifPKiSB_SB_iPKfiiiPfSE_PS4_PT2_iSD_SD_, 643

	.type	__PRETTY_FUNCTION__._Z39paged_attention_ll4mi_QKV_mfma16_kernelI14__hip_bfloat16hLN4vllm18Fp8KVCacheDataTypeE1ES0_Li32ELi128ELi256ELb1ELi5EL8MFMAType1EEvPKT_PKT0_S9_ifPKiSB_SB_iPKfiiiPfSE_PS4_PT2_iSD_SD_,@object ; @__PRETTY_FUNCTION__._Z39paged_attention_ll4mi_QKV_mfma16_kernelI14__hip_bfloat16hLN4vllm18Fp8KVCacheDataTypeE1ES0_Li32ELi128ELi256ELb1ELi5EL8MFMAType1EEvPKT_PKT0_S9_ifPKiSB_SB_iPKfiiiPfSE_PS4_PT2_iSD_SD_
__PRETTY_FUNCTION__._Z39paged_attention_ll4mi_QKV_mfma16_kernelI14__hip_bfloat16hLN4vllm18Fp8KVCacheDataTypeE1ES0_Li32ELi128ELi256ELb1ELi5EL8MFMAType1EEvPKT_PKT0_S9_ifPKiSB_SB_iPKfiiiPfSE_PS4_PT2_iSD_SD_:
	.asciz	"void paged_attention_ll4mi_QKV_mfma16_kernel(const scalar_t *__restrict, const cache_t *__restrict, const cache_t *__restrict, const int, const float, const int *__restrict, const int *__restrict, const int *__restrict, const int, const float *__restrict, const int, const int, const int, float *__restrict, float *__restrict, scalar_t *__restrict, OUTT *__restrict, int, const float *, const float *) [scalar_t = __hip_bfloat16, cache_t = unsigned char, KV_DTYPE = vllm::Fp8KVCacheDataType::kFp8E4M3, OUTT = __hip_bfloat16, BLOCK_SIZE = 32, HEAD_SIZE = 128, NUM_THREADS = 256, ALIBI_ENABLED = true, GQA_RATIO = 5, MFMA_TYPE = MFMAType::Fp8]"
	.size	__PRETTY_FUNCTION__._Z39paged_attention_ll4mi_QKV_mfma16_kernelI14__hip_bfloat16hLN4vllm18Fp8KVCacheDataTypeE1ES0_Li32ELi128ELi256ELb1ELi5EL8MFMAType1EEvPKT_PKT0_S9_ifPKiSB_SB_iPKfiiiPfSE_PS4_PT2_iSD_SD_, 642

	.type	__PRETTY_FUNCTION__._Z39paged_attention_ll4mi_QKV_mfma16_kernelI14__hip_bfloat16hLN4vllm18Fp8KVCacheDataTypeE1ES0_Li32ELi128ELi256ELb1ELi6EL8MFMAType1EEvPKT_PKT0_S9_ifPKiSB_SB_iPKfiiiPfSE_PS4_PT2_iSD_SD_,@object ; @__PRETTY_FUNCTION__._Z39paged_attention_ll4mi_QKV_mfma16_kernelI14__hip_bfloat16hLN4vllm18Fp8KVCacheDataTypeE1ES0_Li32ELi128ELi256ELb1ELi6EL8MFMAType1EEvPKT_PKT0_S9_ifPKiSB_SB_iPKfiiiPfSE_PS4_PT2_iSD_SD_
__PRETTY_FUNCTION__._Z39paged_attention_ll4mi_QKV_mfma16_kernelI14__hip_bfloat16hLN4vllm18Fp8KVCacheDataTypeE1ES0_Li32ELi128ELi256ELb1ELi6EL8MFMAType1EEvPKT_PKT0_S9_ifPKiSB_SB_iPKfiiiPfSE_PS4_PT2_iSD_SD_:
	.asciz	"void paged_attention_ll4mi_QKV_mfma16_kernel(const scalar_t *__restrict, const cache_t *__restrict, const cache_t *__restrict, const int, const float, const int *__restrict, const int *__restrict, const int *__restrict, const int, const float *__restrict, const int, const int, const int, float *__restrict, float *__restrict, scalar_t *__restrict, OUTT *__restrict, int, const float *, const float *) [scalar_t = __hip_bfloat16, cache_t = unsigned char, KV_DTYPE = vllm::Fp8KVCacheDataType::kFp8E4M3, OUTT = __hip_bfloat16, BLOCK_SIZE = 32, HEAD_SIZE = 128, NUM_THREADS = 256, ALIBI_ENABLED = true, GQA_RATIO = 6, MFMA_TYPE = MFMAType::Fp8]"
	.size	__PRETTY_FUNCTION__._Z39paged_attention_ll4mi_QKV_mfma16_kernelI14__hip_bfloat16hLN4vllm18Fp8KVCacheDataTypeE1ES0_Li32ELi128ELi256ELb1ELi6EL8MFMAType1EEvPKT_PKT0_S9_ifPKiSB_SB_iPKfiiiPfSE_PS4_PT2_iSD_SD_, 642

	.type	__PRETTY_FUNCTION__._Z39paged_attention_ll4mi_QKV_mfma16_kernelI14__hip_bfloat16hLN4vllm18Fp8KVCacheDataTypeE1ES0_Li32ELi128ELi256ELb1ELi7EL8MFMAType1EEvPKT_PKT0_S9_ifPKiSB_SB_iPKfiiiPfSE_PS4_PT2_iSD_SD_,@object ; @__PRETTY_FUNCTION__._Z39paged_attention_ll4mi_QKV_mfma16_kernelI14__hip_bfloat16hLN4vllm18Fp8KVCacheDataTypeE1ES0_Li32ELi128ELi256ELb1ELi7EL8MFMAType1EEvPKT_PKT0_S9_ifPKiSB_SB_iPKfiiiPfSE_PS4_PT2_iSD_SD_
__PRETTY_FUNCTION__._Z39paged_attention_ll4mi_QKV_mfma16_kernelI14__hip_bfloat16hLN4vllm18Fp8KVCacheDataTypeE1ES0_Li32ELi128ELi256ELb1ELi7EL8MFMAType1EEvPKT_PKT0_S9_ifPKiSB_SB_iPKfiiiPfSE_PS4_PT2_iSD_SD_:
	.asciz	"void paged_attention_ll4mi_QKV_mfma16_kernel(const scalar_t *__restrict, const cache_t *__restrict, const cache_t *__restrict, const int, const float, const int *__restrict, const int *__restrict, const int *__restrict, const int, const float *__restrict, const int, const int, const int, float *__restrict, float *__restrict, scalar_t *__restrict, OUTT *__restrict, int, const float *, const float *) [scalar_t = __hip_bfloat16, cache_t = unsigned char, KV_DTYPE = vllm::Fp8KVCacheDataType::kFp8E4M3, OUTT = __hip_bfloat16, BLOCK_SIZE = 32, HEAD_SIZE = 128, NUM_THREADS = 256, ALIBI_ENABLED = true, GQA_RATIO = 7, MFMA_TYPE = MFMAType::Fp8]"
	.size	__PRETTY_FUNCTION__._Z39paged_attention_ll4mi_QKV_mfma16_kernelI14__hip_bfloat16hLN4vllm18Fp8KVCacheDataTypeE1ES0_Li32ELi128ELi256ELb1ELi7EL8MFMAType1EEvPKT_PKT0_S9_ifPKiSB_SB_iPKfiiiPfSE_PS4_PT2_iSD_SD_, 642

	.type	__PRETTY_FUNCTION__._Z39paged_attention_ll4mi_QKV_mfma16_kernelI14__hip_bfloat16hLN4vllm18Fp8KVCacheDataTypeE1ES0_Li32ELi128ELi256ELb1ELi8EL8MFMAType1EEvPKT_PKT0_S9_ifPKiSB_SB_iPKfiiiPfSE_PS4_PT2_iSD_SD_,@object ; @__PRETTY_FUNCTION__._Z39paged_attention_ll4mi_QKV_mfma16_kernelI14__hip_bfloat16hLN4vllm18Fp8KVCacheDataTypeE1ES0_Li32ELi128ELi256ELb1ELi8EL8MFMAType1EEvPKT_PKT0_S9_ifPKiSB_SB_iPKfiiiPfSE_PS4_PT2_iSD_SD_
__PRETTY_FUNCTION__._Z39paged_attention_ll4mi_QKV_mfma16_kernelI14__hip_bfloat16hLN4vllm18Fp8KVCacheDataTypeE1ES0_Li32ELi128ELi256ELb1ELi8EL8MFMAType1EEvPKT_PKT0_S9_ifPKiSB_SB_iPKfiiiPfSE_PS4_PT2_iSD_SD_:
	.asciz	"void paged_attention_ll4mi_QKV_mfma16_kernel(const scalar_t *__restrict, const cache_t *__restrict, const cache_t *__restrict, const int, const float, const int *__restrict, const int *__restrict, const int *__restrict, const int, const float *__restrict, const int, const int, const int, float *__restrict, float *__restrict, scalar_t *__restrict, OUTT *__restrict, int, const float *, const float *) [scalar_t = __hip_bfloat16, cache_t = unsigned char, KV_DTYPE = vllm::Fp8KVCacheDataType::kFp8E4M3, OUTT = __hip_bfloat16, BLOCK_SIZE = 32, HEAD_SIZE = 128, NUM_THREADS = 256, ALIBI_ENABLED = true, GQA_RATIO = 8, MFMA_TYPE = MFMAType::Fp8]"
	.size	__PRETTY_FUNCTION__._Z39paged_attention_ll4mi_QKV_mfma16_kernelI14__hip_bfloat16hLN4vllm18Fp8KVCacheDataTypeE1ES0_Li32ELi128ELi256ELb1ELi8EL8MFMAType1EEvPKT_PKT0_S9_ifPKiSB_SB_iPKfiiiPfSE_PS4_PT2_iSD_SD_, 642

	.type	__PRETTY_FUNCTION__._Z39paged_attention_ll4mi_QKV_mfma16_kernelI14__hip_bfloat16hLN4vllm18Fp8KVCacheDataTypeE1ES0_Li32ELi128ELi256ELb1ELi9EL8MFMAType1EEvPKT_PKT0_S9_ifPKiSB_SB_iPKfiiiPfSE_PS4_PT2_iSD_SD_,@object ; @__PRETTY_FUNCTION__._Z39paged_attention_ll4mi_QKV_mfma16_kernelI14__hip_bfloat16hLN4vllm18Fp8KVCacheDataTypeE1ES0_Li32ELi128ELi256ELb1ELi9EL8MFMAType1EEvPKT_PKT0_S9_ifPKiSB_SB_iPKfiiiPfSE_PS4_PT2_iSD_SD_
__PRETTY_FUNCTION__._Z39paged_attention_ll4mi_QKV_mfma16_kernelI14__hip_bfloat16hLN4vllm18Fp8KVCacheDataTypeE1ES0_Li32ELi128ELi256ELb1ELi9EL8MFMAType1EEvPKT_PKT0_S9_ifPKiSB_SB_iPKfiiiPfSE_PS4_PT2_iSD_SD_:
	.asciz	"void paged_attention_ll4mi_QKV_mfma16_kernel(const scalar_t *__restrict, const cache_t *__restrict, const cache_t *__restrict, const int, const float, const int *__restrict, const int *__restrict, const int *__restrict, const int, const float *__restrict, const int, const int, const int, float *__restrict, float *__restrict, scalar_t *__restrict, OUTT *__restrict, int, const float *, const float *) [scalar_t = __hip_bfloat16, cache_t = unsigned char, KV_DTYPE = vllm::Fp8KVCacheDataType::kFp8E4M3, OUTT = __hip_bfloat16, BLOCK_SIZE = 32, HEAD_SIZE = 128, NUM_THREADS = 256, ALIBI_ENABLED = true, GQA_RATIO = 9, MFMA_TYPE = MFMAType::Fp8]"
	.size	__PRETTY_FUNCTION__._Z39paged_attention_ll4mi_QKV_mfma16_kernelI14__hip_bfloat16hLN4vllm18Fp8KVCacheDataTypeE1ES0_Li32ELi128ELi256ELb1ELi9EL8MFMAType1EEvPKT_PKT0_S9_ifPKiSB_SB_iPKfiiiPfSE_PS4_PT2_iSD_SD_, 642

	.type	__PRETTY_FUNCTION__._Z39paged_attention_ll4mi_QKV_mfma16_kernelI14__hip_bfloat16hLN4vllm18Fp8KVCacheDataTypeE1ES0_Li32ELi128ELi256ELb1ELi10EL8MFMAType1EEvPKT_PKT0_S9_ifPKiSB_SB_iPKfiiiPfSE_PS4_PT2_iSD_SD_,@object ; @__PRETTY_FUNCTION__._Z39paged_attention_ll4mi_QKV_mfma16_kernelI14__hip_bfloat16hLN4vllm18Fp8KVCacheDataTypeE1ES0_Li32ELi128ELi256ELb1ELi10EL8MFMAType1EEvPKT_PKT0_S9_ifPKiSB_SB_iPKfiiiPfSE_PS4_PT2_iSD_SD_
__PRETTY_FUNCTION__._Z39paged_attention_ll4mi_QKV_mfma16_kernelI14__hip_bfloat16hLN4vllm18Fp8KVCacheDataTypeE1ES0_Li32ELi128ELi256ELb1ELi10EL8MFMAType1EEvPKT_PKT0_S9_ifPKiSB_SB_iPKfiiiPfSE_PS4_PT2_iSD_SD_:
	.asciz	"void paged_attention_ll4mi_QKV_mfma16_kernel(const scalar_t *__restrict, const cache_t *__restrict, const cache_t *__restrict, const int, const float, const int *__restrict, const int *__restrict, const int *__restrict, const int, const float *__restrict, const int, const int, const int, float *__restrict, float *__restrict, scalar_t *__restrict, OUTT *__restrict, int, const float *, const float *) [scalar_t = __hip_bfloat16, cache_t = unsigned char, KV_DTYPE = vllm::Fp8KVCacheDataType::kFp8E4M3, OUTT = __hip_bfloat16, BLOCK_SIZE = 32, HEAD_SIZE = 128, NUM_THREADS = 256, ALIBI_ENABLED = true, GQA_RATIO = 10, MFMA_TYPE = MFMAType::Fp8]"
	.size	__PRETTY_FUNCTION__._Z39paged_attention_ll4mi_QKV_mfma16_kernelI14__hip_bfloat16hLN4vllm18Fp8KVCacheDataTypeE1ES0_Li32ELi128ELi256ELb1ELi10EL8MFMAType1EEvPKT_PKT0_S9_ifPKiSB_SB_iPKfiiiPfSE_PS4_PT2_iSD_SD_, 643

	.type	__PRETTY_FUNCTION__._Z39paged_attention_ll4mi_QKV_mfma16_kernelI14__hip_bfloat16hLN4vllm18Fp8KVCacheDataTypeE1ES0_Li32ELi128ELi256ELb1ELi11EL8MFMAType1EEvPKT_PKT0_S9_ifPKiSB_SB_iPKfiiiPfSE_PS4_PT2_iSD_SD_,@object ; @__PRETTY_FUNCTION__._Z39paged_attention_ll4mi_QKV_mfma16_kernelI14__hip_bfloat16hLN4vllm18Fp8KVCacheDataTypeE1ES0_Li32ELi128ELi256ELb1ELi11EL8MFMAType1EEvPKT_PKT0_S9_ifPKiSB_SB_iPKfiiiPfSE_PS4_PT2_iSD_SD_
__PRETTY_FUNCTION__._Z39paged_attention_ll4mi_QKV_mfma16_kernelI14__hip_bfloat16hLN4vllm18Fp8KVCacheDataTypeE1ES0_Li32ELi128ELi256ELb1ELi11EL8MFMAType1EEvPKT_PKT0_S9_ifPKiSB_SB_iPKfiiiPfSE_PS4_PT2_iSD_SD_:
	.asciz	"void paged_attention_ll4mi_QKV_mfma16_kernel(const scalar_t *__restrict, const cache_t *__restrict, const cache_t *__restrict, const int, const float, const int *__restrict, const int *__restrict, const int *__restrict, const int, const float *__restrict, const int, const int, const int, float *__restrict, float *__restrict, scalar_t *__restrict, OUTT *__restrict, int, const float *, const float *) [scalar_t = __hip_bfloat16, cache_t = unsigned char, KV_DTYPE = vllm::Fp8KVCacheDataType::kFp8E4M3, OUTT = __hip_bfloat16, BLOCK_SIZE = 32, HEAD_SIZE = 128, NUM_THREADS = 256, ALIBI_ENABLED = true, GQA_RATIO = 11, MFMA_TYPE = MFMAType::Fp8]"
	.size	__PRETTY_FUNCTION__._Z39paged_attention_ll4mi_QKV_mfma16_kernelI14__hip_bfloat16hLN4vllm18Fp8KVCacheDataTypeE1ES0_Li32ELi128ELi256ELb1ELi11EL8MFMAType1EEvPKT_PKT0_S9_ifPKiSB_SB_iPKfiiiPfSE_PS4_PT2_iSD_SD_, 643

	.type	__PRETTY_FUNCTION__._Z39paged_attention_ll4mi_QKV_mfma16_kernelI14__hip_bfloat16hLN4vllm18Fp8KVCacheDataTypeE1ES0_Li32ELi128ELi256ELb1ELi12EL8MFMAType1EEvPKT_PKT0_S9_ifPKiSB_SB_iPKfiiiPfSE_PS4_PT2_iSD_SD_,@object ; @__PRETTY_FUNCTION__._Z39paged_attention_ll4mi_QKV_mfma16_kernelI14__hip_bfloat16hLN4vllm18Fp8KVCacheDataTypeE1ES0_Li32ELi128ELi256ELb1ELi12EL8MFMAType1EEvPKT_PKT0_S9_ifPKiSB_SB_iPKfiiiPfSE_PS4_PT2_iSD_SD_
__PRETTY_FUNCTION__._Z39paged_attention_ll4mi_QKV_mfma16_kernelI14__hip_bfloat16hLN4vllm18Fp8KVCacheDataTypeE1ES0_Li32ELi128ELi256ELb1ELi12EL8MFMAType1EEvPKT_PKT0_S9_ifPKiSB_SB_iPKfiiiPfSE_PS4_PT2_iSD_SD_:
	.asciz	"void paged_attention_ll4mi_QKV_mfma16_kernel(const scalar_t *__restrict, const cache_t *__restrict, const cache_t *__restrict, const int, const float, const int *__restrict, const int *__restrict, const int *__restrict, const int, const float *__restrict, const int, const int, const int, float *__restrict, float *__restrict, scalar_t *__restrict, OUTT *__restrict, int, const float *, const float *) [scalar_t = __hip_bfloat16, cache_t = unsigned char, KV_DTYPE = vllm::Fp8KVCacheDataType::kFp8E4M3, OUTT = __hip_bfloat16, BLOCK_SIZE = 32, HEAD_SIZE = 128, NUM_THREADS = 256, ALIBI_ENABLED = true, GQA_RATIO = 12, MFMA_TYPE = MFMAType::Fp8]"
	.size	__PRETTY_FUNCTION__._Z39paged_attention_ll4mi_QKV_mfma16_kernelI14__hip_bfloat16hLN4vllm18Fp8KVCacheDataTypeE1ES0_Li32ELi128ELi256ELb1ELi12EL8MFMAType1EEvPKT_PKT0_S9_ifPKiSB_SB_iPKfiiiPfSE_PS4_PT2_iSD_SD_, 643

	.type	__PRETTY_FUNCTION__._Z39paged_attention_ll4mi_QKV_mfma16_kernelI14__hip_bfloat16hLN4vllm18Fp8KVCacheDataTypeE1ES0_Li32ELi128ELi256ELb1ELi13EL8MFMAType1EEvPKT_PKT0_S9_ifPKiSB_SB_iPKfiiiPfSE_PS4_PT2_iSD_SD_,@object ; @__PRETTY_FUNCTION__._Z39paged_attention_ll4mi_QKV_mfma16_kernelI14__hip_bfloat16hLN4vllm18Fp8KVCacheDataTypeE1ES0_Li32ELi128ELi256ELb1ELi13EL8MFMAType1EEvPKT_PKT0_S9_ifPKiSB_SB_iPKfiiiPfSE_PS4_PT2_iSD_SD_
__PRETTY_FUNCTION__._Z39paged_attention_ll4mi_QKV_mfma16_kernelI14__hip_bfloat16hLN4vllm18Fp8KVCacheDataTypeE1ES0_Li32ELi128ELi256ELb1ELi13EL8MFMAType1EEvPKT_PKT0_S9_ifPKiSB_SB_iPKfiiiPfSE_PS4_PT2_iSD_SD_:
	.asciz	"void paged_attention_ll4mi_QKV_mfma16_kernel(const scalar_t *__restrict, const cache_t *__restrict, const cache_t *__restrict, const int, const float, const int *__restrict, const int *__restrict, const int *__restrict, const int, const float *__restrict, const int, const int, const int, float *__restrict, float *__restrict, scalar_t *__restrict, OUTT *__restrict, int, const float *, const float *) [scalar_t = __hip_bfloat16, cache_t = unsigned char, KV_DTYPE = vllm::Fp8KVCacheDataType::kFp8E4M3, OUTT = __hip_bfloat16, BLOCK_SIZE = 32, HEAD_SIZE = 128, NUM_THREADS = 256, ALIBI_ENABLED = true, GQA_RATIO = 13, MFMA_TYPE = MFMAType::Fp8]"
	.size	__PRETTY_FUNCTION__._Z39paged_attention_ll4mi_QKV_mfma16_kernelI14__hip_bfloat16hLN4vllm18Fp8KVCacheDataTypeE1ES0_Li32ELi128ELi256ELb1ELi13EL8MFMAType1EEvPKT_PKT0_S9_ifPKiSB_SB_iPKfiiiPfSE_PS4_PT2_iSD_SD_, 643

	.type	__PRETTY_FUNCTION__._Z39paged_attention_ll4mi_QKV_mfma16_kernelI14__hip_bfloat16hLN4vllm18Fp8KVCacheDataTypeE1ES0_Li32ELi128ELi256ELb1ELi14EL8MFMAType1EEvPKT_PKT0_S9_ifPKiSB_SB_iPKfiiiPfSE_PS4_PT2_iSD_SD_,@object ; @__PRETTY_FUNCTION__._Z39paged_attention_ll4mi_QKV_mfma16_kernelI14__hip_bfloat16hLN4vllm18Fp8KVCacheDataTypeE1ES0_Li32ELi128ELi256ELb1ELi14EL8MFMAType1EEvPKT_PKT0_S9_ifPKiSB_SB_iPKfiiiPfSE_PS4_PT2_iSD_SD_
__PRETTY_FUNCTION__._Z39paged_attention_ll4mi_QKV_mfma16_kernelI14__hip_bfloat16hLN4vllm18Fp8KVCacheDataTypeE1ES0_Li32ELi128ELi256ELb1ELi14EL8MFMAType1EEvPKT_PKT0_S9_ifPKiSB_SB_iPKfiiiPfSE_PS4_PT2_iSD_SD_:
	.asciz	"void paged_attention_ll4mi_QKV_mfma16_kernel(const scalar_t *__restrict, const cache_t *__restrict, const cache_t *__restrict, const int, const float, const int *__restrict, const int *__restrict, const int *__restrict, const int, const float *__restrict, const int, const int, const int, float *__restrict, float *__restrict, scalar_t *__restrict, OUTT *__restrict, int, const float *, const float *) [scalar_t = __hip_bfloat16, cache_t = unsigned char, KV_DTYPE = vllm::Fp8KVCacheDataType::kFp8E4M3, OUTT = __hip_bfloat16, BLOCK_SIZE = 32, HEAD_SIZE = 128, NUM_THREADS = 256, ALIBI_ENABLED = true, GQA_RATIO = 14, MFMA_TYPE = MFMAType::Fp8]"
	.size	__PRETTY_FUNCTION__._Z39paged_attention_ll4mi_QKV_mfma16_kernelI14__hip_bfloat16hLN4vllm18Fp8KVCacheDataTypeE1ES0_Li32ELi128ELi256ELb1ELi14EL8MFMAType1EEvPKT_PKT0_S9_ifPKiSB_SB_iPKfiiiPfSE_PS4_PT2_iSD_SD_, 643

	.type	__PRETTY_FUNCTION__._Z39paged_attention_ll4mi_QKV_mfma16_kernelI14__hip_bfloat16hLN4vllm18Fp8KVCacheDataTypeE1ES0_Li32ELi128ELi256ELb1ELi15EL8MFMAType1EEvPKT_PKT0_S9_ifPKiSB_SB_iPKfiiiPfSE_PS4_PT2_iSD_SD_,@object ; @__PRETTY_FUNCTION__._Z39paged_attention_ll4mi_QKV_mfma16_kernelI14__hip_bfloat16hLN4vllm18Fp8KVCacheDataTypeE1ES0_Li32ELi128ELi256ELb1ELi15EL8MFMAType1EEvPKT_PKT0_S9_ifPKiSB_SB_iPKfiiiPfSE_PS4_PT2_iSD_SD_
__PRETTY_FUNCTION__._Z39paged_attention_ll4mi_QKV_mfma16_kernelI14__hip_bfloat16hLN4vllm18Fp8KVCacheDataTypeE1ES0_Li32ELi128ELi256ELb1ELi15EL8MFMAType1EEvPKT_PKT0_S9_ifPKiSB_SB_iPKfiiiPfSE_PS4_PT2_iSD_SD_:
	.asciz	"void paged_attention_ll4mi_QKV_mfma16_kernel(const scalar_t *__restrict, const cache_t *__restrict, const cache_t *__restrict, const int, const float, const int *__restrict, const int *__restrict, const int *__restrict, const int, const float *__restrict, const int, const int, const int, float *__restrict, float *__restrict, scalar_t *__restrict, OUTT *__restrict, int, const float *, const float *) [scalar_t = __hip_bfloat16, cache_t = unsigned char, KV_DTYPE = vllm::Fp8KVCacheDataType::kFp8E4M3, OUTT = __hip_bfloat16, BLOCK_SIZE = 32, HEAD_SIZE = 128, NUM_THREADS = 256, ALIBI_ENABLED = true, GQA_RATIO = 15, MFMA_TYPE = MFMAType::Fp8]"
	.size	__PRETTY_FUNCTION__._Z39paged_attention_ll4mi_QKV_mfma16_kernelI14__hip_bfloat16hLN4vllm18Fp8KVCacheDataTypeE1ES0_Li32ELi128ELi256ELb1ELi15EL8MFMAType1EEvPKT_PKT0_S9_ifPKiSB_SB_iPKfiiiPfSE_PS4_PT2_iSD_SD_, 643

	.type	__PRETTY_FUNCTION__._Z39paged_attention_ll4mi_QKV_mfma16_kernelI14__hip_bfloat16hLN4vllm18Fp8KVCacheDataTypeE1ES0_Li32ELi128ELi256ELb1ELi16EL8MFMAType1EEvPKT_PKT0_S9_ifPKiSB_SB_iPKfiiiPfSE_PS4_PT2_iSD_SD_,@object ; @__PRETTY_FUNCTION__._Z39paged_attention_ll4mi_QKV_mfma16_kernelI14__hip_bfloat16hLN4vllm18Fp8KVCacheDataTypeE1ES0_Li32ELi128ELi256ELb1ELi16EL8MFMAType1EEvPKT_PKT0_S9_ifPKiSB_SB_iPKfiiiPfSE_PS4_PT2_iSD_SD_
__PRETTY_FUNCTION__._Z39paged_attention_ll4mi_QKV_mfma16_kernelI14__hip_bfloat16hLN4vllm18Fp8KVCacheDataTypeE1ES0_Li32ELi128ELi256ELb1ELi16EL8MFMAType1EEvPKT_PKT0_S9_ifPKiSB_SB_iPKfiiiPfSE_PS4_PT2_iSD_SD_:
	.asciz	"void paged_attention_ll4mi_QKV_mfma16_kernel(const scalar_t *__restrict, const cache_t *__restrict, const cache_t *__restrict, const int, const float, const int *__restrict, const int *__restrict, const int *__restrict, const int, const float *__restrict, const int, const int, const int, float *__restrict, float *__restrict, scalar_t *__restrict, OUTT *__restrict, int, const float *, const float *) [scalar_t = __hip_bfloat16, cache_t = unsigned char, KV_DTYPE = vllm::Fp8KVCacheDataType::kFp8E4M3, OUTT = __hip_bfloat16, BLOCK_SIZE = 32, HEAD_SIZE = 128, NUM_THREADS = 256, ALIBI_ENABLED = true, GQA_RATIO = 16, MFMA_TYPE = MFMAType::Fp8]"
	.size	__PRETTY_FUNCTION__._Z39paged_attention_ll4mi_QKV_mfma16_kernelI14__hip_bfloat16hLN4vllm18Fp8KVCacheDataTypeE1ES0_Li32ELi128ELi256ELb1ELi16EL8MFMAType1EEvPKT_PKT0_S9_ifPKiSB_SB_iPKfiiiPfSE_PS4_PT2_iSD_SD_, 643

	.type	__PRETTY_FUNCTION__._Z39paged_attention_ll4mi_QKV_mfma16_kernelI14__hip_bfloat16hLN4vllm18Fp8KVCacheDataTypeE1ES0_Li32ELi128ELi256ELb1ELi1EL8MFMAType1EEvPKT_PKT0_S9_ifPKiSB_SB_iPKfiiiPfSE_PS4_PT2_iSD_SD_,@object ; @__PRETTY_FUNCTION__._Z39paged_attention_ll4mi_QKV_mfma16_kernelI14__hip_bfloat16hLN4vllm18Fp8KVCacheDataTypeE1ES0_Li32ELi128ELi256ELb1ELi1EL8MFMAType1EEvPKT_PKT0_S9_ifPKiSB_SB_iPKfiiiPfSE_PS4_PT2_iSD_SD_
__PRETTY_FUNCTION__._Z39paged_attention_ll4mi_QKV_mfma16_kernelI14__hip_bfloat16hLN4vllm18Fp8KVCacheDataTypeE1ES0_Li32ELi128ELi256ELb1ELi1EL8MFMAType1EEvPKT_PKT0_S9_ifPKiSB_SB_iPKfiiiPfSE_PS4_PT2_iSD_SD_:
	.asciz	"void paged_attention_ll4mi_QKV_mfma16_kernel(const scalar_t *__restrict, const cache_t *__restrict, const cache_t *__restrict, const int, const float, const int *__restrict, const int *__restrict, const int *__restrict, const int, const float *__restrict, const int, const int, const int, float *__restrict, float *__restrict, scalar_t *__restrict, OUTT *__restrict, int, const float *, const float *) [scalar_t = __hip_bfloat16, cache_t = unsigned char, KV_DTYPE = vllm::Fp8KVCacheDataType::kFp8E4M3, OUTT = __hip_bfloat16, BLOCK_SIZE = 32, HEAD_SIZE = 128, NUM_THREADS = 256, ALIBI_ENABLED = true, GQA_RATIO = 1, MFMA_TYPE = MFMAType::Fp8]"
	.size	__PRETTY_FUNCTION__._Z39paged_attention_ll4mi_QKV_mfma16_kernelI14__hip_bfloat16hLN4vllm18Fp8KVCacheDataTypeE1ES0_Li32ELi128ELi256ELb1ELi1EL8MFMAType1EEvPKT_PKT0_S9_ifPKiSB_SB_iPKfiiiPfSE_PS4_PT2_iSD_SD_, 642

	.type	__PRETTY_FUNCTION__._Z39paged_attention_ll4mi_QKV_mfma16_kernelI14__hip_bfloat16hLN4vllm18Fp8KVCacheDataTypeE1ES0_Li32ELi128ELi256ELb1ELi2EL8MFMAType1EEvPKT_PKT0_S9_ifPKiSB_SB_iPKfiiiPfSE_PS4_PT2_iSD_SD_,@object ; @__PRETTY_FUNCTION__._Z39paged_attention_ll4mi_QKV_mfma16_kernelI14__hip_bfloat16hLN4vllm18Fp8KVCacheDataTypeE1ES0_Li32ELi128ELi256ELb1ELi2EL8MFMAType1EEvPKT_PKT0_S9_ifPKiSB_SB_iPKfiiiPfSE_PS4_PT2_iSD_SD_
__PRETTY_FUNCTION__._Z39paged_attention_ll4mi_QKV_mfma16_kernelI14__hip_bfloat16hLN4vllm18Fp8KVCacheDataTypeE1ES0_Li32ELi128ELi256ELb1ELi2EL8MFMAType1EEvPKT_PKT0_S9_ifPKiSB_SB_iPKfiiiPfSE_PS4_PT2_iSD_SD_:
	.asciz	"void paged_attention_ll4mi_QKV_mfma16_kernel(const scalar_t *__restrict, const cache_t *__restrict, const cache_t *__restrict, const int, const float, const int *__restrict, const int *__restrict, const int *__restrict, const int, const float *__restrict, const int, const int, const int, float *__restrict, float *__restrict, scalar_t *__restrict, OUTT *__restrict, int, const float *, const float *) [scalar_t = __hip_bfloat16, cache_t = unsigned char, KV_DTYPE = vllm::Fp8KVCacheDataType::kFp8E4M3, OUTT = __hip_bfloat16, BLOCK_SIZE = 32, HEAD_SIZE = 128, NUM_THREADS = 256, ALIBI_ENABLED = true, GQA_RATIO = 2, MFMA_TYPE = MFMAType::Fp8]"
	.size	__PRETTY_FUNCTION__._Z39paged_attention_ll4mi_QKV_mfma16_kernelI14__hip_bfloat16hLN4vllm18Fp8KVCacheDataTypeE1ES0_Li32ELi128ELi256ELb1ELi2EL8MFMAType1EEvPKT_PKT0_S9_ifPKiSB_SB_iPKfiiiPfSE_PS4_PT2_iSD_SD_, 642

	.type	__PRETTY_FUNCTION__._Z39paged_attention_ll4mi_QKV_mfma16_kernelI14__hip_bfloat16hLN4vllm18Fp8KVCacheDataTypeE1ES0_Li32ELi128ELi256ELb1ELi3EL8MFMAType1EEvPKT_PKT0_S9_ifPKiSB_SB_iPKfiiiPfSE_PS4_PT2_iSD_SD_,@object ; @__PRETTY_FUNCTION__._Z39paged_attention_ll4mi_QKV_mfma16_kernelI14__hip_bfloat16hLN4vllm18Fp8KVCacheDataTypeE1ES0_Li32ELi128ELi256ELb1ELi3EL8MFMAType1EEvPKT_PKT0_S9_ifPKiSB_SB_iPKfiiiPfSE_PS4_PT2_iSD_SD_
__PRETTY_FUNCTION__._Z39paged_attention_ll4mi_QKV_mfma16_kernelI14__hip_bfloat16hLN4vllm18Fp8KVCacheDataTypeE1ES0_Li32ELi128ELi256ELb1ELi3EL8MFMAType1EEvPKT_PKT0_S9_ifPKiSB_SB_iPKfiiiPfSE_PS4_PT2_iSD_SD_:
	.asciz	"void paged_attention_ll4mi_QKV_mfma16_kernel(const scalar_t *__restrict, const cache_t *__restrict, const cache_t *__restrict, const int, const float, const int *__restrict, const int *__restrict, const int *__restrict, const int, const float *__restrict, const int, const int, const int, float *__restrict, float *__restrict, scalar_t *__restrict, OUTT *__restrict, int, const float *, const float *) [scalar_t = __hip_bfloat16, cache_t = unsigned char, KV_DTYPE = vllm::Fp8KVCacheDataType::kFp8E4M3, OUTT = __hip_bfloat16, BLOCK_SIZE = 32, HEAD_SIZE = 128, NUM_THREADS = 256, ALIBI_ENABLED = true, GQA_RATIO = 3, MFMA_TYPE = MFMAType::Fp8]"
	.size	__PRETTY_FUNCTION__._Z39paged_attention_ll4mi_QKV_mfma16_kernelI14__hip_bfloat16hLN4vllm18Fp8KVCacheDataTypeE1ES0_Li32ELi128ELi256ELb1ELi3EL8MFMAType1EEvPKT_PKT0_S9_ifPKiSB_SB_iPKfiiiPfSE_PS4_PT2_iSD_SD_, 642

	.type	__PRETTY_FUNCTION__._Z39paged_attention_ll4mi_QKV_mfma16_kernelI14__hip_bfloat16hLN4vllm18Fp8KVCacheDataTypeE1ES0_Li32ELi128ELi256ELb1ELi4EL8MFMAType1EEvPKT_PKT0_S9_ifPKiSB_SB_iPKfiiiPfSE_PS4_PT2_iSD_SD_,@object ; @__PRETTY_FUNCTION__._Z39paged_attention_ll4mi_QKV_mfma16_kernelI14__hip_bfloat16hLN4vllm18Fp8KVCacheDataTypeE1ES0_Li32ELi128ELi256ELb1ELi4EL8MFMAType1EEvPKT_PKT0_S9_ifPKiSB_SB_iPKfiiiPfSE_PS4_PT2_iSD_SD_
__PRETTY_FUNCTION__._Z39paged_attention_ll4mi_QKV_mfma16_kernelI14__hip_bfloat16hLN4vllm18Fp8KVCacheDataTypeE1ES0_Li32ELi128ELi256ELb1ELi4EL8MFMAType1EEvPKT_PKT0_S9_ifPKiSB_SB_iPKfiiiPfSE_PS4_PT2_iSD_SD_:
	.asciz	"void paged_attention_ll4mi_QKV_mfma16_kernel(const scalar_t *__restrict, const cache_t *__restrict, const cache_t *__restrict, const int, const float, const int *__restrict, const int *__restrict, const int *__restrict, const int, const float *__restrict, const int, const int, const int, float *__restrict, float *__restrict, scalar_t *__restrict, OUTT *__restrict, int, const float *, const float *) [scalar_t = __hip_bfloat16, cache_t = unsigned char, KV_DTYPE = vllm::Fp8KVCacheDataType::kFp8E4M3, OUTT = __hip_bfloat16, BLOCK_SIZE = 32, HEAD_SIZE = 128, NUM_THREADS = 256, ALIBI_ENABLED = true, GQA_RATIO = 4, MFMA_TYPE = MFMAType::Fp8]"
	.size	__PRETTY_FUNCTION__._Z39paged_attention_ll4mi_QKV_mfma16_kernelI14__hip_bfloat16hLN4vllm18Fp8KVCacheDataTypeE1ES0_Li32ELi128ELi256ELb1ELi4EL8MFMAType1EEvPKT_PKT0_S9_ifPKiSB_SB_iPKfiiiPfSE_PS4_PT2_iSD_SD_, 642

	.type	__PRETTY_FUNCTION__._Z39paged_attention_ll4mi_QKV_mfma16_kernelI14__hip_bfloat16hLN4vllm18Fp8KVCacheDataTypeE1ES0_Li32ELi128ELi256ELb0ELi5EL8MFMAType1EEvPKT_PKT0_S9_ifPKiSB_SB_iPKfiiiPfSE_PS4_PT2_iSD_SD_,@object ; @__PRETTY_FUNCTION__._Z39paged_attention_ll4mi_QKV_mfma16_kernelI14__hip_bfloat16hLN4vllm18Fp8KVCacheDataTypeE1ES0_Li32ELi128ELi256ELb0ELi5EL8MFMAType1EEvPKT_PKT0_S9_ifPKiSB_SB_iPKfiiiPfSE_PS4_PT2_iSD_SD_
__PRETTY_FUNCTION__._Z39paged_attention_ll4mi_QKV_mfma16_kernelI14__hip_bfloat16hLN4vllm18Fp8KVCacheDataTypeE1ES0_Li32ELi128ELi256ELb0ELi5EL8MFMAType1EEvPKT_PKT0_S9_ifPKiSB_SB_iPKfiiiPfSE_PS4_PT2_iSD_SD_:
	.asciz	"void paged_attention_ll4mi_QKV_mfma16_kernel(const scalar_t *__restrict, const cache_t *__restrict, const cache_t *__restrict, const int, const float, const int *__restrict, const int *__restrict, const int *__restrict, const int, const float *__restrict, const int, const int, const int, float *__restrict, float *__restrict, scalar_t *__restrict, OUTT *__restrict, int, const float *, const float *) [scalar_t = __hip_bfloat16, cache_t = unsigned char, KV_DTYPE = vllm::Fp8KVCacheDataType::kFp8E4M3, OUTT = __hip_bfloat16, BLOCK_SIZE = 32, HEAD_SIZE = 128, NUM_THREADS = 256, ALIBI_ENABLED = false, GQA_RATIO = 5, MFMA_TYPE = MFMAType::Fp8]"
	.size	__PRETTY_FUNCTION__._Z39paged_attention_ll4mi_QKV_mfma16_kernelI14__hip_bfloat16hLN4vllm18Fp8KVCacheDataTypeE1ES0_Li32ELi128ELi256ELb0ELi5EL8MFMAType1EEvPKT_PKT0_S9_ifPKiSB_SB_iPKfiiiPfSE_PS4_PT2_iSD_SD_, 643

	.type	__PRETTY_FUNCTION__._Z39paged_attention_ll4mi_QKV_mfma16_kernelI14__hip_bfloat16hLN4vllm18Fp8KVCacheDataTypeE1ES0_Li32ELi128ELi256ELb0ELi6EL8MFMAType1EEvPKT_PKT0_S9_ifPKiSB_SB_iPKfiiiPfSE_PS4_PT2_iSD_SD_,@object ; @__PRETTY_FUNCTION__._Z39paged_attention_ll4mi_QKV_mfma16_kernelI14__hip_bfloat16hLN4vllm18Fp8KVCacheDataTypeE1ES0_Li32ELi128ELi256ELb0ELi6EL8MFMAType1EEvPKT_PKT0_S9_ifPKiSB_SB_iPKfiiiPfSE_PS4_PT2_iSD_SD_
__PRETTY_FUNCTION__._Z39paged_attention_ll4mi_QKV_mfma16_kernelI14__hip_bfloat16hLN4vllm18Fp8KVCacheDataTypeE1ES0_Li32ELi128ELi256ELb0ELi6EL8MFMAType1EEvPKT_PKT0_S9_ifPKiSB_SB_iPKfiiiPfSE_PS4_PT2_iSD_SD_:
	.asciz	"void paged_attention_ll4mi_QKV_mfma16_kernel(const scalar_t *__restrict, const cache_t *__restrict, const cache_t *__restrict, const int, const float, const int *__restrict, const int *__restrict, const int *__restrict, const int, const float *__restrict, const int, const int, const int, float *__restrict, float *__restrict, scalar_t *__restrict, OUTT *__restrict, int, const float *, const float *) [scalar_t = __hip_bfloat16, cache_t = unsigned char, KV_DTYPE = vllm::Fp8KVCacheDataType::kFp8E4M3, OUTT = __hip_bfloat16, BLOCK_SIZE = 32, HEAD_SIZE = 128, NUM_THREADS = 256, ALIBI_ENABLED = false, GQA_RATIO = 6, MFMA_TYPE = MFMAType::Fp8]"
	.size	__PRETTY_FUNCTION__._Z39paged_attention_ll4mi_QKV_mfma16_kernelI14__hip_bfloat16hLN4vllm18Fp8KVCacheDataTypeE1ES0_Li32ELi128ELi256ELb0ELi6EL8MFMAType1EEvPKT_PKT0_S9_ifPKiSB_SB_iPKfiiiPfSE_PS4_PT2_iSD_SD_, 643

	.type	__PRETTY_FUNCTION__._Z39paged_attention_ll4mi_QKV_mfma16_kernelI14__hip_bfloat16hLN4vllm18Fp8KVCacheDataTypeE1ES0_Li32ELi128ELi256ELb0ELi7EL8MFMAType1EEvPKT_PKT0_S9_ifPKiSB_SB_iPKfiiiPfSE_PS4_PT2_iSD_SD_,@object ; @__PRETTY_FUNCTION__._Z39paged_attention_ll4mi_QKV_mfma16_kernelI14__hip_bfloat16hLN4vllm18Fp8KVCacheDataTypeE1ES0_Li32ELi128ELi256ELb0ELi7EL8MFMAType1EEvPKT_PKT0_S9_ifPKiSB_SB_iPKfiiiPfSE_PS4_PT2_iSD_SD_
__PRETTY_FUNCTION__._Z39paged_attention_ll4mi_QKV_mfma16_kernelI14__hip_bfloat16hLN4vllm18Fp8KVCacheDataTypeE1ES0_Li32ELi128ELi256ELb0ELi7EL8MFMAType1EEvPKT_PKT0_S9_ifPKiSB_SB_iPKfiiiPfSE_PS4_PT2_iSD_SD_:
	.asciz	"void paged_attention_ll4mi_QKV_mfma16_kernel(const scalar_t *__restrict, const cache_t *__restrict, const cache_t *__restrict, const int, const float, const int *__restrict, const int *__restrict, const int *__restrict, const int, const float *__restrict, const int, const int, const int, float *__restrict, float *__restrict, scalar_t *__restrict, OUTT *__restrict, int, const float *, const float *) [scalar_t = __hip_bfloat16, cache_t = unsigned char, KV_DTYPE = vllm::Fp8KVCacheDataType::kFp8E4M3, OUTT = __hip_bfloat16, BLOCK_SIZE = 32, HEAD_SIZE = 128, NUM_THREADS = 256, ALIBI_ENABLED = false, GQA_RATIO = 7, MFMA_TYPE = MFMAType::Fp8]"
	.size	__PRETTY_FUNCTION__._Z39paged_attention_ll4mi_QKV_mfma16_kernelI14__hip_bfloat16hLN4vllm18Fp8KVCacheDataTypeE1ES0_Li32ELi128ELi256ELb0ELi7EL8MFMAType1EEvPKT_PKT0_S9_ifPKiSB_SB_iPKfiiiPfSE_PS4_PT2_iSD_SD_, 643

	.type	__PRETTY_FUNCTION__._Z39paged_attention_ll4mi_QKV_mfma16_kernelI14__hip_bfloat16hLN4vllm18Fp8KVCacheDataTypeE1ES0_Li32ELi128ELi256ELb0ELi8EL8MFMAType1EEvPKT_PKT0_S9_ifPKiSB_SB_iPKfiiiPfSE_PS4_PT2_iSD_SD_,@object ; @__PRETTY_FUNCTION__._Z39paged_attention_ll4mi_QKV_mfma16_kernelI14__hip_bfloat16hLN4vllm18Fp8KVCacheDataTypeE1ES0_Li32ELi128ELi256ELb0ELi8EL8MFMAType1EEvPKT_PKT0_S9_ifPKiSB_SB_iPKfiiiPfSE_PS4_PT2_iSD_SD_
__PRETTY_FUNCTION__._Z39paged_attention_ll4mi_QKV_mfma16_kernelI14__hip_bfloat16hLN4vllm18Fp8KVCacheDataTypeE1ES0_Li32ELi128ELi256ELb0ELi8EL8MFMAType1EEvPKT_PKT0_S9_ifPKiSB_SB_iPKfiiiPfSE_PS4_PT2_iSD_SD_:
	.asciz	"void paged_attention_ll4mi_QKV_mfma16_kernel(const scalar_t *__restrict, const cache_t *__restrict, const cache_t *__restrict, const int, const float, const int *__restrict, const int *__restrict, const int *__restrict, const int, const float *__restrict, const int, const int, const int, float *__restrict, float *__restrict, scalar_t *__restrict, OUTT *__restrict, int, const float *, const float *) [scalar_t = __hip_bfloat16, cache_t = unsigned char, KV_DTYPE = vllm::Fp8KVCacheDataType::kFp8E4M3, OUTT = __hip_bfloat16, BLOCK_SIZE = 32, HEAD_SIZE = 128, NUM_THREADS = 256, ALIBI_ENABLED = false, GQA_RATIO = 8, MFMA_TYPE = MFMAType::Fp8]"
	.size	__PRETTY_FUNCTION__._Z39paged_attention_ll4mi_QKV_mfma16_kernelI14__hip_bfloat16hLN4vllm18Fp8KVCacheDataTypeE1ES0_Li32ELi128ELi256ELb0ELi8EL8MFMAType1EEvPKT_PKT0_S9_ifPKiSB_SB_iPKfiiiPfSE_PS4_PT2_iSD_SD_, 643

	.type	__PRETTY_FUNCTION__._Z39paged_attention_ll4mi_QKV_mfma16_kernelI14__hip_bfloat16hLN4vllm18Fp8KVCacheDataTypeE1ES0_Li32ELi128ELi256ELb0ELi9EL8MFMAType1EEvPKT_PKT0_S9_ifPKiSB_SB_iPKfiiiPfSE_PS4_PT2_iSD_SD_,@object ; @__PRETTY_FUNCTION__._Z39paged_attention_ll4mi_QKV_mfma16_kernelI14__hip_bfloat16hLN4vllm18Fp8KVCacheDataTypeE1ES0_Li32ELi128ELi256ELb0ELi9EL8MFMAType1EEvPKT_PKT0_S9_ifPKiSB_SB_iPKfiiiPfSE_PS4_PT2_iSD_SD_
__PRETTY_FUNCTION__._Z39paged_attention_ll4mi_QKV_mfma16_kernelI14__hip_bfloat16hLN4vllm18Fp8KVCacheDataTypeE1ES0_Li32ELi128ELi256ELb0ELi9EL8MFMAType1EEvPKT_PKT0_S9_ifPKiSB_SB_iPKfiiiPfSE_PS4_PT2_iSD_SD_:
	.asciz	"void paged_attention_ll4mi_QKV_mfma16_kernel(const scalar_t *__restrict, const cache_t *__restrict, const cache_t *__restrict, const int, const float, const int *__restrict, const int *__restrict, const int *__restrict, const int, const float *__restrict, const int, const int, const int, float *__restrict, float *__restrict, scalar_t *__restrict, OUTT *__restrict, int, const float *, const float *) [scalar_t = __hip_bfloat16, cache_t = unsigned char, KV_DTYPE = vllm::Fp8KVCacheDataType::kFp8E4M3, OUTT = __hip_bfloat16, BLOCK_SIZE = 32, HEAD_SIZE = 128, NUM_THREADS = 256, ALIBI_ENABLED = false, GQA_RATIO = 9, MFMA_TYPE = MFMAType::Fp8]"
	.size	__PRETTY_FUNCTION__._Z39paged_attention_ll4mi_QKV_mfma16_kernelI14__hip_bfloat16hLN4vllm18Fp8KVCacheDataTypeE1ES0_Li32ELi128ELi256ELb0ELi9EL8MFMAType1EEvPKT_PKT0_S9_ifPKiSB_SB_iPKfiiiPfSE_PS4_PT2_iSD_SD_, 643

	.type	__PRETTY_FUNCTION__._Z39paged_attention_ll4mi_QKV_mfma16_kernelI14__hip_bfloat16hLN4vllm18Fp8KVCacheDataTypeE1ES0_Li32ELi128ELi256ELb0ELi10EL8MFMAType1EEvPKT_PKT0_S9_ifPKiSB_SB_iPKfiiiPfSE_PS4_PT2_iSD_SD_,@object ; @__PRETTY_FUNCTION__._Z39paged_attention_ll4mi_QKV_mfma16_kernelI14__hip_bfloat16hLN4vllm18Fp8KVCacheDataTypeE1ES0_Li32ELi128ELi256ELb0ELi10EL8MFMAType1EEvPKT_PKT0_S9_ifPKiSB_SB_iPKfiiiPfSE_PS4_PT2_iSD_SD_
__PRETTY_FUNCTION__._Z39paged_attention_ll4mi_QKV_mfma16_kernelI14__hip_bfloat16hLN4vllm18Fp8KVCacheDataTypeE1ES0_Li32ELi128ELi256ELb0ELi10EL8MFMAType1EEvPKT_PKT0_S9_ifPKiSB_SB_iPKfiiiPfSE_PS4_PT2_iSD_SD_:
	.asciz	"void paged_attention_ll4mi_QKV_mfma16_kernel(const scalar_t *__restrict, const cache_t *__restrict, const cache_t *__restrict, const int, const float, const int *__restrict, const int *__restrict, const int *__restrict, const int, const float *__restrict, const int, const int, const int, float *__restrict, float *__restrict, scalar_t *__restrict, OUTT *__restrict, int, const float *, const float *) [scalar_t = __hip_bfloat16, cache_t = unsigned char, KV_DTYPE = vllm::Fp8KVCacheDataType::kFp8E4M3, OUTT = __hip_bfloat16, BLOCK_SIZE = 32, HEAD_SIZE = 128, NUM_THREADS = 256, ALIBI_ENABLED = false, GQA_RATIO = 10, MFMA_TYPE = MFMAType::Fp8]"
	.size	__PRETTY_FUNCTION__._Z39paged_attention_ll4mi_QKV_mfma16_kernelI14__hip_bfloat16hLN4vllm18Fp8KVCacheDataTypeE1ES0_Li32ELi128ELi256ELb0ELi10EL8MFMAType1EEvPKT_PKT0_S9_ifPKiSB_SB_iPKfiiiPfSE_PS4_PT2_iSD_SD_, 644

	.type	__PRETTY_FUNCTION__._Z39paged_attention_ll4mi_QKV_mfma16_kernelI14__hip_bfloat16hLN4vllm18Fp8KVCacheDataTypeE1ES0_Li32ELi128ELi256ELb0ELi11EL8MFMAType1EEvPKT_PKT0_S9_ifPKiSB_SB_iPKfiiiPfSE_PS4_PT2_iSD_SD_,@object ; @__PRETTY_FUNCTION__._Z39paged_attention_ll4mi_QKV_mfma16_kernelI14__hip_bfloat16hLN4vllm18Fp8KVCacheDataTypeE1ES0_Li32ELi128ELi256ELb0ELi11EL8MFMAType1EEvPKT_PKT0_S9_ifPKiSB_SB_iPKfiiiPfSE_PS4_PT2_iSD_SD_
__PRETTY_FUNCTION__._Z39paged_attention_ll4mi_QKV_mfma16_kernelI14__hip_bfloat16hLN4vllm18Fp8KVCacheDataTypeE1ES0_Li32ELi128ELi256ELb0ELi11EL8MFMAType1EEvPKT_PKT0_S9_ifPKiSB_SB_iPKfiiiPfSE_PS4_PT2_iSD_SD_:
	.asciz	"void paged_attention_ll4mi_QKV_mfma16_kernel(const scalar_t *__restrict, const cache_t *__restrict, const cache_t *__restrict, const int, const float, const int *__restrict, const int *__restrict, const int *__restrict, const int, const float *__restrict, const int, const int, const int, float *__restrict, float *__restrict, scalar_t *__restrict, OUTT *__restrict, int, const float *, const float *) [scalar_t = __hip_bfloat16, cache_t = unsigned char, KV_DTYPE = vllm::Fp8KVCacheDataType::kFp8E4M3, OUTT = __hip_bfloat16, BLOCK_SIZE = 32, HEAD_SIZE = 128, NUM_THREADS = 256, ALIBI_ENABLED = false, GQA_RATIO = 11, MFMA_TYPE = MFMAType::Fp8]"
	.size	__PRETTY_FUNCTION__._Z39paged_attention_ll4mi_QKV_mfma16_kernelI14__hip_bfloat16hLN4vllm18Fp8KVCacheDataTypeE1ES0_Li32ELi128ELi256ELb0ELi11EL8MFMAType1EEvPKT_PKT0_S9_ifPKiSB_SB_iPKfiiiPfSE_PS4_PT2_iSD_SD_, 644

	.type	__PRETTY_FUNCTION__._Z39paged_attention_ll4mi_QKV_mfma16_kernelI14__hip_bfloat16hLN4vllm18Fp8KVCacheDataTypeE1ES0_Li32ELi128ELi256ELb0ELi12EL8MFMAType1EEvPKT_PKT0_S9_ifPKiSB_SB_iPKfiiiPfSE_PS4_PT2_iSD_SD_,@object ; @__PRETTY_FUNCTION__._Z39paged_attention_ll4mi_QKV_mfma16_kernelI14__hip_bfloat16hLN4vllm18Fp8KVCacheDataTypeE1ES0_Li32ELi128ELi256ELb0ELi12EL8MFMAType1EEvPKT_PKT0_S9_ifPKiSB_SB_iPKfiiiPfSE_PS4_PT2_iSD_SD_
__PRETTY_FUNCTION__._Z39paged_attention_ll4mi_QKV_mfma16_kernelI14__hip_bfloat16hLN4vllm18Fp8KVCacheDataTypeE1ES0_Li32ELi128ELi256ELb0ELi12EL8MFMAType1EEvPKT_PKT0_S9_ifPKiSB_SB_iPKfiiiPfSE_PS4_PT2_iSD_SD_:
	.asciz	"void paged_attention_ll4mi_QKV_mfma16_kernel(const scalar_t *__restrict, const cache_t *__restrict, const cache_t *__restrict, const int, const float, const int *__restrict, const int *__restrict, const int *__restrict, const int, const float *__restrict, const int, const int, const int, float *__restrict, float *__restrict, scalar_t *__restrict, OUTT *__restrict, int, const float *, const float *) [scalar_t = __hip_bfloat16, cache_t = unsigned char, KV_DTYPE = vllm::Fp8KVCacheDataType::kFp8E4M3, OUTT = __hip_bfloat16, BLOCK_SIZE = 32, HEAD_SIZE = 128, NUM_THREADS = 256, ALIBI_ENABLED = false, GQA_RATIO = 12, MFMA_TYPE = MFMAType::Fp8]"
	.size	__PRETTY_FUNCTION__._Z39paged_attention_ll4mi_QKV_mfma16_kernelI14__hip_bfloat16hLN4vllm18Fp8KVCacheDataTypeE1ES0_Li32ELi128ELi256ELb0ELi12EL8MFMAType1EEvPKT_PKT0_S9_ifPKiSB_SB_iPKfiiiPfSE_PS4_PT2_iSD_SD_, 644

	.type	__PRETTY_FUNCTION__._Z39paged_attention_ll4mi_QKV_mfma16_kernelI14__hip_bfloat16hLN4vllm18Fp8KVCacheDataTypeE1ES0_Li32ELi128ELi256ELb0ELi13EL8MFMAType1EEvPKT_PKT0_S9_ifPKiSB_SB_iPKfiiiPfSE_PS4_PT2_iSD_SD_,@object ; @__PRETTY_FUNCTION__._Z39paged_attention_ll4mi_QKV_mfma16_kernelI14__hip_bfloat16hLN4vllm18Fp8KVCacheDataTypeE1ES0_Li32ELi128ELi256ELb0ELi13EL8MFMAType1EEvPKT_PKT0_S9_ifPKiSB_SB_iPKfiiiPfSE_PS4_PT2_iSD_SD_
__PRETTY_FUNCTION__._Z39paged_attention_ll4mi_QKV_mfma16_kernelI14__hip_bfloat16hLN4vllm18Fp8KVCacheDataTypeE1ES0_Li32ELi128ELi256ELb0ELi13EL8MFMAType1EEvPKT_PKT0_S9_ifPKiSB_SB_iPKfiiiPfSE_PS4_PT2_iSD_SD_:
	.asciz	"void paged_attention_ll4mi_QKV_mfma16_kernel(const scalar_t *__restrict, const cache_t *__restrict, const cache_t *__restrict, const int, const float, const int *__restrict, const int *__restrict, const int *__restrict, const int, const float *__restrict, const int, const int, const int, float *__restrict, float *__restrict, scalar_t *__restrict, OUTT *__restrict, int, const float *, const float *) [scalar_t = __hip_bfloat16, cache_t = unsigned char, KV_DTYPE = vllm::Fp8KVCacheDataType::kFp8E4M3, OUTT = __hip_bfloat16, BLOCK_SIZE = 32, HEAD_SIZE = 128, NUM_THREADS = 256, ALIBI_ENABLED = false, GQA_RATIO = 13, MFMA_TYPE = MFMAType::Fp8]"
	.size	__PRETTY_FUNCTION__._Z39paged_attention_ll4mi_QKV_mfma16_kernelI14__hip_bfloat16hLN4vllm18Fp8KVCacheDataTypeE1ES0_Li32ELi128ELi256ELb0ELi13EL8MFMAType1EEvPKT_PKT0_S9_ifPKiSB_SB_iPKfiiiPfSE_PS4_PT2_iSD_SD_, 644

	.type	__PRETTY_FUNCTION__._Z39paged_attention_ll4mi_QKV_mfma16_kernelI14__hip_bfloat16hLN4vllm18Fp8KVCacheDataTypeE1ES0_Li32ELi128ELi256ELb0ELi14EL8MFMAType1EEvPKT_PKT0_S9_ifPKiSB_SB_iPKfiiiPfSE_PS4_PT2_iSD_SD_,@object ; @__PRETTY_FUNCTION__._Z39paged_attention_ll4mi_QKV_mfma16_kernelI14__hip_bfloat16hLN4vllm18Fp8KVCacheDataTypeE1ES0_Li32ELi128ELi256ELb0ELi14EL8MFMAType1EEvPKT_PKT0_S9_ifPKiSB_SB_iPKfiiiPfSE_PS4_PT2_iSD_SD_
__PRETTY_FUNCTION__._Z39paged_attention_ll4mi_QKV_mfma16_kernelI14__hip_bfloat16hLN4vllm18Fp8KVCacheDataTypeE1ES0_Li32ELi128ELi256ELb0ELi14EL8MFMAType1EEvPKT_PKT0_S9_ifPKiSB_SB_iPKfiiiPfSE_PS4_PT2_iSD_SD_:
	.asciz	"void paged_attention_ll4mi_QKV_mfma16_kernel(const scalar_t *__restrict, const cache_t *__restrict, const cache_t *__restrict, const int, const float, const int *__restrict, const int *__restrict, const int *__restrict, const int, const float *__restrict, const int, const int, const int, float *__restrict, float *__restrict, scalar_t *__restrict, OUTT *__restrict, int, const float *, const float *) [scalar_t = __hip_bfloat16, cache_t = unsigned char, KV_DTYPE = vllm::Fp8KVCacheDataType::kFp8E4M3, OUTT = __hip_bfloat16, BLOCK_SIZE = 32, HEAD_SIZE = 128, NUM_THREADS = 256, ALIBI_ENABLED = false, GQA_RATIO = 14, MFMA_TYPE = MFMAType::Fp8]"
	.size	__PRETTY_FUNCTION__._Z39paged_attention_ll4mi_QKV_mfma16_kernelI14__hip_bfloat16hLN4vllm18Fp8KVCacheDataTypeE1ES0_Li32ELi128ELi256ELb0ELi14EL8MFMAType1EEvPKT_PKT0_S9_ifPKiSB_SB_iPKfiiiPfSE_PS4_PT2_iSD_SD_, 644

	.type	__PRETTY_FUNCTION__._Z39paged_attention_ll4mi_QKV_mfma16_kernelI14__hip_bfloat16hLN4vllm18Fp8KVCacheDataTypeE1ES0_Li32ELi128ELi256ELb0ELi15EL8MFMAType1EEvPKT_PKT0_S9_ifPKiSB_SB_iPKfiiiPfSE_PS4_PT2_iSD_SD_,@object ; @__PRETTY_FUNCTION__._Z39paged_attention_ll4mi_QKV_mfma16_kernelI14__hip_bfloat16hLN4vllm18Fp8KVCacheDataTypeE1ES0_Li32ELi128ELi256ELb0ELi15EL8MFMAType1EEvPKT_PKT0_S9_ifPKiSB_SB_iPKfiiiPfSE_PS4_PT2_iSD_SD_
__PRETTY_FUNCTION__._Z39paged_attention_ll4mi_QKV_mfma16_kernelI14__hip_bfloat16hLN4vllm18Fp8KVCacheDataTypeE1ES0_Li32ELi128ELi256ELb0ELi15EL8MFMAType1EEvPKT_PKT0_S9_ifPKiSB_SB_iPKfiiiPfSE_PS4_PT2_iSD_SD_:
	.asciz	"void paged_attention_ll4mi_QKV_mfma16_kernel(const scalar_t *__restrict, const cache_t *__restrict, const cache_t *__restrict, const int, const float, const int *__restrict, const int *__restrict, const int *__restrict, const int, const float *__restrict, const int, const int, const int, float *__restrict, float *__restrict, scalar_t *__restrict, OUTT *__restrict, int, const float *, const float *) [scalar_t = __hip_bfloat16, cache_t = unsigned char, KV_DTYPE = vllm::Fp8KVCacheDataType::kFp8E4M3, OUTT = __hip_bfloat16, BLOCK_SIZE = 32, HEAD_SIZE = 128, NUM_THREADS = 256, ALIBI_ENABLED = false, GQA_RATIO = 15, MFMA_TYPE = MFMAType::Fp8]"
	.size	__PRETTY_FUNCTION__._Z39paged_attention_ll4mi_QKV_mfma16_kernelI14__hip_bfloat16hLN4vllm18Fp8KVCacheDataTypeE1ES0_Li32ELi128ELi256ELb0ELi15EL8MFMAType1EEvPKT_PKT0_S9_ifPKiSB_SB_iPKfiiiPfSE_PS4_PT2_iSD_SD_, 644

	.type	__PRETTY_FUNCTION__._Z39paged_attention_ll4mi_QKV_mfma16_kernelI14__hip_bfloat16hLN4vllm18Fp8KVCacheDataTypeE1ES0_Li32ELi128ELi256ELb0ELi16EL8MFMAType1EEvPKT_PKT0_S9_ifPKiSB_SB_iPKfiiiPfSE_PS4_PT2_iSD_SD_,@object ; @__PRETTY_FUNCTION__._Z39paged_attention_ll4mi_QKV_mfma16_kernelI14__hip_bfloat16hLN4vllm18Fp8KVCacheDataTypeE1ES0_Li32ELi128ELi256ELb0ELi16EL8MFMAType1EEvPKT_PKT0_S9_ifPKiSB_SB_iPKfiiiPfSE_PS4_PT2_iSD_SD_
__PRETTY_FUNCTION__._Z39paged_attention_ll4mi_QKV_mfma16_kernelI14__hip_bfloat16hLN4vllm18Fp8KVCacheDataTypeE1ES0_Li32ELi128ELi256ELb0ELi16EL8MFMAType1EEvPKT_PKT0_S9_ifPKiSB_SB_iPKfiiiPfSE_PS4_PT2_iSD_SD_:
	.asciz	"void paged_attention_ll4mi_QKV_mfma16_kernel(const scalar_t *__restrict, const cache_t *__restrict, const cache_t *__restrict, const int, const float, const int *__restrict, const int *__restrict, const int *__restrict, const int, const float *__restrict, const int, const int, const int, float *__restrict, float *__restrict, scalar_t *__restrict, OUTT *__restrict, int, const float *, const float *) [scalar_t = __hip_bfloat16, cache_t = unsigned char, KV_DTYPE = vllm::Fp8KVCacheDataType::kFp8E4M3, OUTT = __hip_bfloat16, BLOCK_SIZE = 32, HEAD_SIZE = 128, NUM_THREADS = 256, ALIBI_ENABLED = false, GQA_RATIO = 16, MFMA_TYPE = MFMAType::Fp8]"
	.size	__PRETTY_FUNCTION__._Z39paged_attention_ll4mi_QKV_mfma16_kernelI14__hip_bfloat16hLN4vllm18Fp8KVCacheDataTypeE1ES0_Li32ELi128ELi256ELb0ELi16EL8MFMAType1EEvPKT_PKT0_S9_ifPKiSB_SB_iPKfiiiPfSE_PS4_PT2_iSD_SD_, 644

	.type	__PRETTY_FUNCTION__._Z39paged_attention_ll4mi_QKV_mfma16_kernelI14__hip_bfloat16hLN4vllm18Fp8KVCacheDataTypeE1ES0_Li32ELi128ELi256ELb0ELi1EL8MFMAType1EEvPKT_PKT0_S9_ifPKiSB_SB_iPKfiiiPfSE_PS4_PT2_iSD_SD_,@object ; @__PRETTY_FUNCTION__._Z39paged_attention_ll4mi_QKV_mfma16_kernelI14__hip_bfloat16hLN4vllm18Fp8KVCacheDataTypeE1ES0_Li32ELi128ELi256ELb0ELi1EL8MFMAType1EEvPKT_PKT0_S9_ifPKiSB_SB_iPKfiiiPfSE_PS4_PT2_iSD_SD_
__PRETTY_FUNCTION__._Z39paged_attention_ll4mi_QKV_mfma16_kernelI14__hip_bfloat16hLN4vllm18Fp8KVCacheDataTypeE1ES0_Li32ELi128ELi256ELb0ELi1EL8MFMAType1EEvPKT_PKT0_S9_ifPKiSB_SB_iPKfiiiPfSE_PS4_PT2_iSD_SD_:
	.asciz	"void paged_attention_ll4mi_QKV_mfma16_kernel(const scalar_t *__restrict, const cache_t *__restrict, const cache_t *__restrict, const int, const float, const int *__restrict, const int *__restrict, const int *__restrict, const int, const float *__restrict, const int, const int, const int, float *__restrict, float *__restrict, scalar_t *__restrict, OUTT *__restrict, int, const float *, const float *) [scalar_t = __hip_bfloat16, cache_t = unsigned char, KV_DTYPE = vllm::Fp8KVCacheDataType::kFp8E4M3, OUTT = __hip_bfloat16, BLOCK_SIZE = 32, HEAD_SIZE = 128, NUM_THREADS = 256, ALIBI_ENABLED = false, GQA_RATIO = 1, MFMA_TYPE = MFMAType::Fp8]"
	.size	__PRETTY_FUNCTION__._Z39paged_attention_ll4mi_QKV_mfma16_kernelI14__hip_bfloat16hLN4vllm18Fp8KVCacheDataTypeE1ES0_Li32ELi128ELi256ELb0ELi1EL8MFMAType1EEvPKT_PKT0_S9_ifPKiSB_SB_iPKfiiiPfSE_PS4_PT2_iSD_SD_, 643

	.type	__PRETTY_FUNCTION__._Z39paged_attention_ll4mi_QKV_mfma16_kernelI14__hip_bfloat16hLN4vllm18Fp8KVCacheDataTypeE1ES0_Li32ELi128ELi256ELb0ELi2EL8MFMAType1EEvPKT_PKT0_S9_ifPKiSB_SB_iPKfiiiPfSE_PS4_PT2_iSD_SD_,@object ; @__PRETTY_FUNCTION__._Z39paged_attention_ll4mi_QKV_mfma16_kernelI14__hip_bfloat16hLN4vllm18Fp8KVCacheDataTypeE1ES0_Li32ELi128ELi256ELb0ELi2EL8MFMAType1EEvPKT_PKT0_S9_ifPKiSB_SB_iPKfiiiPfSE_PS4_PT2_iSD_SD_
__PRETTY_FUNCTION__._Z39paged_attention_ll4mi_QKV_mfma16_kernelI14__hip_bfloat16hLN4vllm18Fp8KVCacheDataTypeE1ES0_Li32ELi128ELi256ELb0ELi2EL8MFMAType1EEvPKT_PKT0_S9_ifPKiSB_SB_iPKfiiiPfSE_PS4_PT2_iSD_SD_:
	.asciz	"void paged_attention_ll4mi_QKV_mfma16_kernel(const scalar_t *__restrict, const cache_t *__restrict, const cache_t *__restrict, const int, const float, const int *__restrict, const int *__restrict, const int *__restrict, const int, const float *__restrict, const int, const int, const int, float *__restrict, float *__restrict, scalar_t *__restrict, OUTT *__restrict, int, const float *, const float *) [scalar_t = __hip_bfloat16, cache_t = unsigned char, KV_DTYPE = vllm::Fp8KVCacheDataType::kFp8E4M3, OUTT = __hip_bfloat16, BLOCK_SIZE = 32, HEAD_SIZE = 128, NUM_THREADS = 256, ALIBI_ENABLED = false, GQA_RATIO = 2, MFMA_TYPE = MFMAType::Fp8]"
	.size	__PRETTY_FUNCTION__._Z39paged_attention_ll4mi_QKV_mfma16_kernelI14__hip_bfloat16hLN4vllm18Fp8KVCacheDataTypeE1ES0_Li32ELi128ELi256ELb0ELi2EL8MFMAType1EEvPKT_PKT0_S9_ifPKiSB_SB_iPKfiiiPfSE_PS4_PT2_iSD_SD_, 643

	.type	__PRETTY_FUNCTION__._Z39paged_attention_ll4mi_QKV_mfma16_kernelI14__hip_bfloat16hLN4vllm18Fp8KVCacheDataTypeE1ES0_Li32ELi128ELi256ELb0ELi3EL8MFMAType1EEvPKT_PKT0_S9_ifPKiSB_SB_iPKfiiiPfSE_PS4_PT2_iSD_SD_,@object ; @__PRETTY_FUNCTION__._Z39paged_attention_ll4mi_QKV_mfma16_kernelI14__hip_bfloat16hLN4vllm18Fp8KVCacheDataTypeE1ES0_Li32ELi128ELi256ELb0ELi3EL8MFMAType1EEvPKT_PKT0_S9_ifPKiSB_SB_iPKfiiiPfSE_PS4_PT2_iSD_SD_
__PRETTY_FUNCTION__._Z39paged_attention_ll4mi_QKV_mfma16_kernelI14__hip_bfloat16hLN4vllm18Fp8KVCacheDataTypeE1ES0_Li32ELi128ELi256ELb0ELi3EL8MFMAType1EEvPKT_PKT0_S9_ifPKiSB_SB_iPKfiiiPfSE_PS4_PT2_iSD_SD_:
	.asciz	"void paged_attention_ll4mi_QKV_mfma16_kernel(const scalar_t *__restrict, const cache_t *__restrict, const cache_t *__restrict, const int, const float, const int *__restrict, const int *__restrict, const int *__restrict, const int, const float *__restrict, const int, const int, const int, float *__restrict, float *__restrict, scalar_t *__restrict, OUTT *__restrict, int, const float *, const float *) [scalar_t = __hip_bfloat16, cache_t = unsigned char, KV_DTYPE = vllm::Fp8KVCacheDataType::kFp8E4M3, OUTT = __hip_bfloat16, BLOCK_SIZE = 32, HEAD_SIZE = 128, NUM_THREADS = 256, ALIBI_ENABLED = false, GQA_RATIO = 3, MFMA_TYPE = MFMAType::Fp8]"
	.size	__PRETTY_FUNCTION__._Z39paged_attention_ll4mi_QKV_mfma16_kernelI14__hip_bfloat16hLN4vllm18Fp8KVCacheDataTypeE1ES0_Li32ELi128ELi256ELb0ELi3EL8MFMAType1EEvPKT_PKT0_S9_ifPKiSB_SB_iPKfiiiPfSE_PS4_PT2_iSD_SD_, 643

	.type	__PRETTY_FUNCTION__._Z39paged_attention_ll4mi_QKV_mfma16_kernelI14__hip_bfloat16hLN4vllm18Fp8KVCacheDataTypeE1ES0_Li32ELi128ELi256ELb0ELi4EL8MFMAType1EEvPKT_PKT0_S9_ifPKiSB_SB_iPKfiiiPfSE_PS4_PT2_iSD_SD_,@object ; @__PRETTY_FUNCTION__._Z39paged_attention_ll4mi_QKV_mfma16_kernelI14__hip_bfloat16hLN4vllm18Fp8KVCacheDataTypeE1ES0_Li32ELi128ELi256ELb0ELi4EL8MFMAType1EEvPKT_PKT0_S9_ifPKiSB_SB_iPKfiiiPfSE_PS4_PT2_iSD_SD_
__PRETTY_FUNCTION__._Z39paged_attention_ll4mi_QKV_mfma16_kernelI14__hip_bfloat16hLN4vllm18Fp8KVCacheDataTypeE1ES0_Li32ELi128ELi256ELb0ELi4EL8MFMAType1EEvPKT_PKT0_S9_ifPKiSB_SB_iPKfiiiPfSE_PS4_PT2_iSD_SD_:
	.asciz	"void paged_attention_ll4mi_QKV_mfma16_kernel(const scalar_t *__restrict, const cache_t *__restrict, const cache_t *__restrict, const int, const float, const int *__restrict, const int *__restrict, const int *__restrict, const int, const float *__restrict, const int, const int, const int, float *__restrict, float *__restrict, scalar_t *__restrict, OUTT *__restrict, int, const float *, const float *) [scalar_t = __hip_bfloat16, cache_t = unsigned char, KV_DTYPE = vllm::Fp8KVCacheDataType::kFp8E4M3, OUTT = __hip_bfloat16, BLOCK_SIZE = 32, HEAD_SIZE = 128, NUM_THREADS = 256, ALIBI_ENABLED = false, GQA_RATIO = 4, MFMA_TYPE = MFMAType::Fp8]"
	.size	__PRETTY_FUNCTION__._Z39paged_attention_ll4mi_QKV_mfma16_kernelI14__hip_bfloat16hLN4vllm18Fp8KVCacheDataTypeE1ES0_Li32ELi128ELi256ELb0ELi4EL8MFMAType1EEvPKT_PKT0_S9_ifPKiSB_SB_iPKfiiiPfSE_PS4_PT2_iSD_SD_, 643

	.type	__hip_cuid_f76932cf092d1dc5,@object ; @__hip_cuid_f76932cf092d1dc5
	.section	.bss,"aw",@nobits
	.globl	__hip_cuid_f76932cf092d1dc5
__hip_cuid_f76932cf092d1dc5:
	.byte	0                               ; 0x0
	.size	__hip_cuid_f76932cf092d1dc5, 1

	.ident	"AMD clang version 19.0.0git (https://github.com/RadeonOpenCompute/llvm-project roc-6.4.0 25133 c7fe45cf4b819c5991fe208aaa96edf142730f1d)"
	.section	".note.GNU-stack","",@progbits
	.addrsig
	.addrsig_sym __hip_cuid_f76932cf092d1dc5
	.amdgpu_metadata
---
amdhsa.kernels:
  - .agpr_count:     4
    .args:
      - .actual_access:  read_only
        .address_space:  global
        .offset:         0
        .size:           8
        .value_kind:     global_buffer
      - .actual_access:  read_only
        .address_space:  global
        .offset:         8
        .size:           8
        .value_kind:     global_buffer
      - .actual_access:  read_only
        .address_space:  global
        .offset:         16
        .size:           8
        .value_kind:     global_buffer
      - .offset:         24
        .size:           4
        .value_kind:     by_value
      - .offset:         28
        .size:           4
        .value_kind:     by_value
      - .actual_access:  read_only
        .address_space:  global
        .offset:         32
        .size:           8
        .value_kind:     global_buffer
      - .actual_access:  read_only
        .address_space:  global
        .offset:         40
        .size:           8
        .value_kind:     global_buffer
      - .actual_access:  read_only
        .address_space:  global
        .offset:         48
        .size:           8
        .value_kind:     global_buffer
      - .offset:         56
        .size:           4
        .value_kind:     by_value
      - .actual_access:  read_only
        .address_space:  global
        .offset:         64
        .size:           8
        .value_kind:     global_buffer
      - .offset:         72
        .size:           4
        .value_kind:     by_value
      - .offset:         76
        .size:           4
        .value_kind:     by_value
      - .offset:         80
        .size:           4
        .value_kind:     by_value
      - .actual_access:  write_only
        .address_space:  global
        .offset:         88
        .size:           8
        .value_kind:     global_buffer
      - .actual_access:  write_only
        .address_space:  global
        .offset:         96
        .size:           8
        .value_kind:     global_buffer
      - .actual_access:  write_only
        .address_space:  global
        .offset:         104
        .size:           8
        .value_kind:     global_buffer
      - .actual_access:  read_only
        .address_space:  global
        .offset:         112
        .size:           8
        .value_kind:     global_buffer
      - .offset:         120
        .size:           4
        .value_kind:     by_value
      - .address_space:  global
        .offset:         128
        .size:           8
        .value_kind:     global_buffer
      - .address_space:  global
        .offset:         136
        .size:           8
        .value_kind:     global_buffer
      - .offset:         144
        .size:           4
        .value_kind:     hidden_block_count_x
      - .offset:         148
        .size:           4
        .value_kind:     hidden_block_count_y
      - .offset:         152
        .size:           4
        .value_kind:     hidden_block_count_z
      - .offset:         156
        .size:           2
        .value_kind:     hidden_group_size_x
      - .offset:         158
        .size:           2
        .value_kind:     hidden_group_size_y
      - .offset:         160
        .size:           2
        .value_kind:     hidden_group_size_z
      - .offset:         162
        .size:           2
        .value_kind:     hidden_remainder_x
      - .offset:         164
        .size:           2
        .value_kind:     hidden_remainder_y
      - .offset:         166
        .size:           2
        .value_kind:     hidden_remainder_z
      - .offset:         184
        .size:           8
        .value_kind:     hidden_global_offset_x
      - .offset:         192
        .size:           8
        .value_kind:     hidden_global_offset_y
      - .offset:         200
        .size:           8
        .value_kind:     hidden_global_offset_z
      - .offset:         208
        .size:           2
        .value_kind:     hidden_grid_dims
    .group_segment_fixed_size: 2720
    .kernarg_segment_align: 8
    .kernarg_segment_size: 400
    .language:       OpenCL C
    .language_version:
      - 2
      - 0
    .max_flat_workgroup_size: 256
    .name:           _Z38paged_attention_ll4mi_QKV_mfma4_kernelIDF16_DF16_LN4vllm18Fp8KVCacheDataTypeE0EDF16_Li16ELi64ELi256ELb1ELi1EEvPKT_PKT0_S7_ifPKiS9_S9_iPKfiiiPfSC_PS2_PT2_iSB_SB_
    .private_segment_fixed_size: 0
    .sgpr_count:     42
    .sgpr_spill_count: 0
    .symbol:         _Z38paged_attention_ll4mi_QKV_mfma4_kernelIDF16_DF16_LN4vllm18Fp8KVCacheDataTypeE0EDF16_Li16ELi64ELi256ELb1ELi1EEvPKT_PKT0_S7_ifPKiS9_S9_iPKfiiiPfSC_PS2_PT2_iSB_SB_.kd
    .uniform_work_group_size: 1
    .uses_dynamic_stack: false
    .vgpr_count:     72
    .vgpr_spill_count: 0
    .wavefront_size: 64
  - .agpr_count:     4
    .args:
      - .actual_access:  read_only
        .address_space:  global
        .offset:         0
        .size:           8
        .value_kind:     global_buffer
      - .actual_access:  read_only
        .address_space:  global
        .offset:         8
        .size:           8
        .value_kind:     global_buffer
      - .actual_access:  read_only
        .address_space:  global
        .offset:         16
        .size:           8
        .value_kind:     global_buffer
      - .offset:         24
        .size:           4
        .value_kind:     by_value
      - .offset:         28
        .size:           4
        .value_kind:     by_value
      - .actual_access:  read_only
        .address_space:  global
        .offset:         32
        .size:           8
        .value_kind:     global_buffer
      - .actual_access:  read_only
        .address_space:  global
        .offset:         40
        .size:           8
        .value_kind:     global_buffer
      - .actual_access:  read_only
        .address_space:  global
        .offset:         48
        .size:           8
        .value_kind:     global_buffer
      - .offset:         56
        .size:           4
        .value_kind:     by_value
      - .actual_access:  read_only
        .address_space:  global
        .offset:         64
        .size:           8
        .value_kind:     global_buffer
      - .offset:         72
        .size:           4
        .value_kind:     by_value
      - .offset:         76
        .size:           4
        .value_kind:     by_value
      - .offset:         80
        .size:           4
        .value_kind:     by_value
      - .actual_access:  write_only
        .address_space:  global
        .offset:         88
        .size:           8
        .value_kind:     global_buffer
      - .actual_access:  write_only
        .address_space:  global
        .offset:         96
        .size:           8
        .value_kind:     global_buffer
      - .actual_access:  write_only
        .address_space:  global
        .offset:         104
        .size:           8
        .value_kind:     global_buffer
      - .actual_access:  read_only
        .address_space:  global
        .offset:         112
        .size:           8
        .value_kind:     global_buffer
      - .offset:         120
        .size:           4
        .value_kind:     by_value
      - .address_space:  global
        .offset:         128
        .size:           8
        .value_kind:     global_buffer
      - .address_space:  global
        .offset:         136
        .size:           8
        .value_kind:     global_buffer
      - .offset:         144
        .size:           4
        .value_kind:     hidden_block_count_x
      - .offset:         148
        .size:           4
        .value_kind:     hidden_block_count_y
      - .offset:         152
        .size:           4
        .value_kind:     hidden_block_count_z
      - .offset:         156
        .size:           2
        .value_kind:     hidden_group_size_x
      - .offset:         158
        .size:           2
        .value_kind:     hidden_group_size_y
      - .offset:         160
        .size:           2
        .value_kind:     hidden_group_size_z
      - .offset:         162
        .size:           2
        .value_kind:     hidden_remainder_x
      - .offset:         164
        .size:           2
        .value_kind:     hidden_remainder_y
      - .offset:         166
        .size:           2
        .value_kind:     hidden_remainder_z
      - .offset:         184
        .size:           8
        .value_kind:     hidden_global_offset_x
      - .offset:         192
        .size:           8
        .value_kind:     hidden_global_offset_y
      - .offset:         200
        .size:           8
        .value_kind:     hidden_global_offset_z
      - .offset:         208
        .size:           2
        .value_kind:     hidden_grid_dims
    .group_segment_fixed_size: 2720
    .kernarg_segment_align: 8
    .kernarg_segment_size: 400
    .language:       OpenCL C
    .language_version:
      - 2
      - 0
    .max_flat_workgroup_size: 256
    .name:           _Z38paged_attention_ll4mi_QKV_mfma4_kernelIDF16_DF16_LN4vllm18Fp8KVCacheDataTypeE0EDF16_Li16ELi64ELi256ELb1ELi2EEvPKT_PKT0_S7_ifPKiS9_S9_iPKfiiiPfSC_PS2_PT2_iSB_SB_
    .private_segment_fixed_size: 0
    .sgpr_count:     42
    .sgpr_spill_count: 0
    .symbol:         _Z38paged_attention_ll4mi_QKV_mfma4_kernelIDF16_DF16_LN4vllm18Fp8KVCacheDataTypeE0EDF16_Li16ELi64ELi256ELb1ELi2EEvPKT_PKT0_S7_ifPKiS9_S9_iPKfiiiPfSC_PS2_PT2_iSB_SB_.kd
    .uniform_work_group_size: 1
    .uses_dynamic_stack: false
    .vgpr_count:     72
    .vgpr_spill_count: 0
    .wavefront_size: 64
  - .agpr_count:     4
    .args:
      - .actual_access:  read_only
        .address_space:  global
        .offset:         0
        .size:           8
        .value_kind:     global_buffer
      - .actual_access:  read_only
        .address_space:  global
        .offset:         8
        .size:           8
        .value_kind:     global_buffer
      - .actual_access:  read_only
        .address_space:  global
        .offset:         16
        .size:           8
        .value_kind:     global_buffer
      - .offset:         24
        .size:           4
        .value_kind:     by_value
      - .offset:         28
        .size:           4
        .value_kind:     by_value
      - .actual_access:  read_only
        .address_space:  global
        .offset:         32
        .size:           8
        .value_kind:     global_buffer
      - .actual_access:  read_only
        .address_space:  global
        .offset:         40
        .size:           8
        .value_kind:     global_buffer
      - .actual_access:  read_only
        .address_space:  global
        .offset:         48
        .size:           8
        .value_kind:     global_buffer
      - .offset:         56
        .size:           4
        .value_kind:     by_value
      - .actual_access:  read_only
        .address_space:  global
        .offset:         64
        .size:           8
        .value_kind:     global_buffer
      - .offset:         72
        .size:           4
        .value_kind:     by_value
      - .offset:         76
        .size:           4
        .value_kind:     by_value
      - .offset:         80
        .size:           4
        .value_kind:     by_value
      - .actual_access:  write_only
        .address_space:  global
        .offset:         88
        .size:           8
        .value_kind:     global_buffer
      - .actual_access:  write_only
        .address_space:  global
        .offset:         96
        .size:           8
        .value_kind:     global_buffer
      - .actual_access:  write_only
        .address_space:  global
        .offset:         104
        .size:           8
        .value_kind:     global_buffer
      - .actual_access:  read_only
        .address_space:  global
        .offset:         112
        .size:           8
        .value_kind:     global_buffer
      - .offset:         120
        .size:           4
        .value_kind:     by_value
      - .address_space:  global
        .offset:         128
        .size:           8
        .value_kind:     global_buffer
      - .address_space:  global
        .offset:         136
        .size:           8
        .value_kind:     global_buffer
      - .offset:         144
        .size:           4
        .value_kind:     hidden_block_count_x
      - .offset:         148
        .size:           4
        .value_kind:     hidden_block_count_y
      - .offset:         152
        .size:           4
        .value_kind:     hidden_block_count_z
      - .offset:         156
        .size:           2
        .value_kind:     hidden_group_size_x
      - .offset:         158
        .size:           2
        .value_kind:     hidden_group_size_y
      - .offset:         160
        .size:           2
        .value_kind:     hidden_group_size_z
      - .offset:         162
        .size:           2
        .value_kind:     hidden_remainder_x
      - .offset:         164
        .size:           2
        .value_kind:     hidden_remainder_y
      - .offset:         166
        .size:           2
        .value_kind:     hidden_remainder_z
      - .offset:         184
        .size:           8
        .value_kind:     hidden_global_offset_x
      - .offset:         192
        .size:           8
        .value_kind:     hidden_global_offset_y
      - .offset:         200
        .size:           8
        .value_kind:     hidden_global_offset_z
      - .offset:         208
        .size:           2
        .value_kind:     hidden_grid_dims
    .group_segment_fixed_size: 2720
    .kernarg_segment_align: 8
    .kernarg_segment_size: 400
    .language:       OpenCL C
    .language_version:
      - 2
      - 0
    .max_flat_workgroup_size: 256
    .name:           _Z38paged_attention_ll4mi_QKV_mfma4_kernelIDF16_DF16_LN4vllm18Fp8KVCacheDataTypeE0EDF16_Li16ELi64ELi256ELb1ELi3EEvPKT_PKT0_S7_ifPKiS9_S9_iPKfiiiPfSC_PS2_PT2_iSB_SB_
    .private_segment_fixed_size: 0
    .sgpr_count:     42
    .sgpr_spill_count: 0
    .symbol:         _Z38paged_attention_ll4mi_QKV_mfma4_kernelIDF16_DF16_LN4vllm18Fp8KVCacheDataTypeE0EDF16_Li16ELi64ELi256ELb1ELi3EEvPKT_PKT0_S7_ifPKiS9_S9_iPKfiiiPfSC_PS2_PT2_iSB_SB_.kd
    .uniform_work_group_size: 1
    .uses_dynamic_stack: false
    .vgpr_count:     72
    .vgpr_spill_count: 0
    .wavefront_size: 64
  - .agpr_count:     4
    .args:
      - .actual_access:  read_only
        .address_space:  global
        .offset:         0
        .size:           8
        .value_kind:     global_buffer
      - .actual_access:  read_only
        .address_space:  global
        .offset:         8
        .size:           8
        .value_kind:     global_buffer
      - .actual_access:  read_only
        .address_space:  global
        .offset:         16
        .size:           8
        .value_kind:     global_buffer
      - .offset:         24
        .size:           4
        .value_kind:     by_value
      - .offset:         28
        .size:           4
        .value_kind:     by_value
      - .actual_access:  read_only
        .address_space:  global
        .offset:         32
        .size:           8
        .value_kind:     global_buffer
      - .actual_access:  read_only
        .address_space:  global
        .offset:         40
        .size:           8
        .value_kind:     global_buffer
      - .actual_access:  read_only
        .address_space:  global
        .offset:         48
        .size:           8
        .value_kind:     global_buffer
      - .offset:         56
        .size:           4
        .value_kind:     by_value
      - .actual_access:  read_only
        .address_space:  global
        .offset:         64
        .size:           8
        .value_kind:     global_buffer
      - .offset:         72
        .size:           4
        .value_kind:     by_value
      - .offset:         76
        .size:           4
        .value_kind:     by_value
      - .offset:         80
        .size:           4
        .value_kind:     by_value
      - .actual_access:  write_only
        .address_space:  global
        .offset:         88
        .size:           8
        .value_kind:     global_buffer
      - .actual_access:  write_only
        .address_space:  global
        .offset:         96
        .size:           8
        .value_kind:     global_buffer
      - .actual_access:  write_only
        .address_space:  global
        .offset:         104
        .size:           8
        .value_kind:     global_buffer
      - .actual_access:  read_only
        .address_space:  global
        .offset:         112
        .size:           8
        .value_kind:     global_buffer
      - .offset:         120
        .size:           4
        .value_kind:     by_value
      - .address_space:  global
        .offset:         128
        .size:           8
        .value_kind:     global_buffer
      - .address_space:  global
        .offset:         136
        .size:           8
        .value_kind:     global_buffer
      - .offset:         144
        .size:           4
        .value_kind:     hidden_block_count_x
      - .offset:         148
        .size:           4
        .value_kind:     hidden_block_count_y
      - .offset:         152
        .size:           4
        .value_kind:     hidden_block_count_z
      - .offset:         156
        .size:           2
        .value_kind:     hidden_group_size_x
      - .offset:         158
        .size:           2
        .value_kind:     hidden_group_size_y
      - .offset:         160
        .size:           2
        .value_kind:     hidden_group_size_z
      - .offset:         162
        .size:           2
        .value_kind:     hidden_remainder_x
      - .offset:         164
        .size:           2
        .value_kind:     hidden_remainder_y
      - .offset:         166
        .size:           2
        .value_kind:     hidden_remainder_z
      - .offset:         184
        .size:           8
        .value_kind:     hidden_global_offset_x
      - .offset:         192
        .size:           8
        .value_kind:     hidden_global_offset_y
      - .offset:         200
        .size:           8
        .value_kind:     hidden_global_offset_z
      - .offset:         208
        .size:           2
        .value_kind:     hidden_grid_dims
    .group_segment_fixed_size: 2720
    .kernarg_segment_align: 8
    .kernarg_segment_size: 400
    .language:       OpenCL C
    .language_version:
      - 2
      - 0
    .max_flat_workgroup_size: 256
    .name:           _Z38paged_attention_ll4mi_QKV_mfma4_kernelIDF16_DF16_LN4vllm18Fp8KVCacheDataTypeE0EDF16_Li16ELi64ELi256ELb1ELi4EEvPKT_PKT0_S7_ifPKiS9_S9_iPKfiiiPfSC_PS2_PT2_iSB_SB_
    .private_segment_fixed_size: 0
    .sgpr_count:     44
    .sgpr_spill_count: 0
    .symbol:         _Z38paged_attention_ll4mi_QKV_mfma4_kernelIDF16_DF16_LN4vllm18Fp8KVCacheDataTypeE0EDF16_Li16ELi64ELi256ELb1ELi4EEvPKT_PKT0_S7_ifPKiS9_S9_iPKfiiiPfSC_PS2_PT2_iSB_SB_.kd
    .uniform_work_group_size: 1
    .uses_dynamic_stack: false
    .vgpr_count:     64
    .vgpr_spill_count: 0
    .wavefront_size: 64
  - .agpr_count:     0
    .args:
      - .actual_access:  read_only
        .address_space:  global
        .offset:         0
        .size:           8
        .value_kind:     global_buffer
      - .actual_access:  read_only
        .address_space:  global
        .offset:         8
        .size:           8
        .value_kind:     global_buffer
      - .actual_access:  read_only
        .address_space:  global
        .offset:         16
        .size:           8
        .value_kind:     global_buffer
      - .offset:         24
        .size:           4
        .value_kind:     by_value
      - .offset:         28
        .size:           4
        .value_kind:     by_value
      - .actual_access:  read_only
        .address_space:  global
        .offset:         32
        .size:           8
        .value_kind:     global_buffer
      - .actual_access:  read_only
        .address_space:  global
        .offset:         40
        .size:           8
        .value_kind:     global_buffer
      - .actual_access:  read_only
        .address_space:  global
        .offset:         48
        .size:           8
        .value_kind:     global_buffer
      - .offset:         56
        .size:           4
        .value_kind:     by_value
      - .actual_access:  read_only
        .address_space:  global
        .offset:         64
        .size:           8
        .value_kind:     global_buffer
      - .offset:         72
        .size:           4
        .value_kind:     by_value
      - .offset:         76
        .size:           4
        .value_kind:     by_value
      - .offset:         80
        .size:           4
        .value_kind:     by_value
      - .actual_access:  write_only
        .address_space:  global
        .offset:         88
        .size:           8
        .value_kind:     global_buffer
      - .actual_access:  write_only
        .address_space:  global
        .offset:         96
        .size:           8
        .value_kind:     global_buffer
      - .actual_access:  write_only
        .address_space:  global
        .offset:         104
        .size:           8
        .value_kind:     global_buffer
      - .actual_access:  read_only
        .address_space:  global
        .offset:         112
        .size:           8
        .value_kind:     global_buffer
      - .offset:         120
        .size:           4
        .value_kind:     by_value
      - .address_space:  global
        .offset:         128
        .size:           8
        .value_kind:     global_buffer
      - .address_space:  global
        .offset:         136
        .size:           8
        .value_kind:     global_buffer
      - .offset:         144
        .size:           4
        .value_kind:     hidden_block_count_x
      - .offset:         148
        .size:           4
        .value_kind:     hidden_block_count_y
      - .offset:         152
        .size:           4
        .value_kind:     hidden_block_count_z
      - .offset:         156
        .size:           2
        .value_kind:     hidden_group_size_x
      - .offset:         158
        .size:           2
        .value_kind:     hidden_group_size_y
      - .offset:         160
        .size:           2
        .value_kind:     hidden_group_size_z
      - .offset:         162
        .size:           2
        .value_kind:     hidden_remainder_x
      - .offset:         164
        .size:           2
        .value_kind:     hidden_remainder_y
      - .offset:         166
        .size:           2
        .value_kind:     hidden_remainder_z
      - .offset:         184
        .size:           8
        .value_kind:     hidden_global_offset_x
      - .offset:         192
        .size:           8
        .value_kind:     hidden_global_offset_y
      - .offset:         200
        .size:           8
        .value_kind:     hidden_global_offset_z
      - .offset:         208
        .size:           2
        .value_kind:     hidden_grid_dims
    .group_segment_fixed_size: 8192
    .kernarg_segment_align: 8
    .kernarg_segment_size: 400
    .language:       OpenCL C
    .language_version:
      - 2
      - 0
    .max_flat_workgroup_size: 256
    .name:           _Z39paged_attention_ll4mi_QKV_mfma16_kernelIDF16_DF16_LN4vllm18Fp8KVCacheDataTypeE0EDF16_Li16ELi64ELi256ELb1ELi5EL8MFMAType0EEvPKT_PKT0_S8_ifPKiSA_SA_iPKfiiiPfSD_PS3_PT2_iSC_SC_
    .private_segment_fixed_size: 0
    .sgpr_count:     52
    .sgpr_spill_count: 0
    .symbol:         _Z39paged_attention_ll4mi_QKV_mfma16_kernelIDF16_DF16_LN4vllm18Fp8KVCacheDataTypeE0EDF16_Li16ELi64ELi256ELb1ELi5EL8MFMAType0EEvPKT_PKT0_S8_ifPKiSA_SA_iPKfiiiPfSD_PS3_PT2_iSC_SC_.kd
    .uniform_work_group_size: 1
    .uses_dynamic_stack: false
    .vgpr_count:     67
    .vgpr_spill_count: 0
    .wavefront_size: 64
  - .agpr_count:     0
    .args:
      - .actual_access:  read_only
        .address_space:  global
        .offset:         0
        .size:           8
        .value_kind:     global_buffer
      - .actual_access:  read_only
        .address_space:  global
        .offset:         8
        .size:           8
        .value_kind:     global_buffer
      - .actual_access:  read_only
        .address_space:  global
        .offset:         16
        .size:           8
        .value_kind:     global_buffer
      - .offset:         24
        .size:           4
        .value_kind:     by_value
      - .offset:         28
        .size:           4
        .value_kind:     by_value
      - .actual_access:  read_only
        .address_space:  global
        .offset:         32
        .size:           8
        .value_kind:     global_buffer
      - .actual_access:  read_only
        .address_space:  global
        .offset:         40
        .size:           8
        .value_kind:     global_buffer
      - .actual_access:  read_only
        .address_space:  global
        .offset:         48
        .size:           8
        .value_kind:     global_buffer
      - .offset:         56
        .size:           4
        .value_kind:     by_value
      - .actual_access:  read_only
        .address_space:  global
        .offset:         64
        .size:           8
        .value_kind:     global_buffer
      - .offset:         72
        .size:           4
        .value_kind:     by_value
      - .offset:         76
        .size:           4
        .value_kind:     by_value
      - .offset:         80
        .size:           4
        .value_kind:     by_value
      - .actual_access:  write_only
        .address_space:  global
        .offset:         88
        .size:           8
        .value_kind:     global_buffer
      - .actual_access:  write_only
        .address_space:  global
        .offset:         96
        .size:           8
        .value_kind:     global_buffer
      - .actual_access:  write_only
        .address_space:  global
        .offset:         104
        .size:           8
        .value_kind:     global_buffer
      - .actual_access:  read_only
        .address_space:  global
        .offset:         112
        .size:           8
        .value_kind:     global_buffer
      - .offset:         120
        .size:           4
        .value_kind:     by_value
      - .address_space:  global
        .offset:         128
        .size:           8
        .value_kind:     global_buffer
      - .address_space:  global
        .offset:         136
        .size:           8
        .value_kind:     global_buffer
      - .offset:         144
        .size:           4
        .value_kind:     hidden_block_count_x
      - .offset:         148
        .size:           4
        .value_kind:     hidden_block_count_y
      - .offset:         152
        .size:           4
        .value_kind:     hidden_block_count_z
      - .offset:         156
        .size:           2
        .value_kind:     hidden_group_size_x
      - .offset:         158
        .size:           2
        .value_kind:     hidden_group_size_y
      - .offset:         160
        .size:           2
        .value_kind:     hidden_group_size_z
      - .offset:         162
        .size:           2
        .value_kind:     hidden_remainder_x
      - .offset:         164
        .size:           2
        .value_kind:     hidden_remainder_y
      - .offset:         166
        .size:           2
        .value_kind:     hidden_remainder_z
      - .offset:         184
        .size:           8
        .value_kind:     hidden_global_offset_x
      - .offset:         192
        .size:           8
        .value_kind:     hidden_global_offset_y
      - .offset:         200
        .size:           8
        .value_kind:     hidden_global_offset_z
      - .offset:         208
        .size:           2
        .value_kind:     hidden_grid_dims
    .group_segment_fixed_size: 8192
    .kernarg_segment_align: 8
    .kernarg_segment_size: 400
    .language:       OpenCL C
    .language_version:
      - 2
      - 0
    .max_flat_workgroup_size: 256
    .name:           _Z39paged_attention_ll4mi_QKV_mfma16_kernelIDF16_DF16_LN4vllm18Fp8KVCacheDataTypeE0EDF16_Li16ELi64ELi256ELb1ELi6EL8MFMAType0EEvPKT_PKT0_S8_ifPKiSA_SA_iPKfiiiPfSD_PS3_PT2_iSC_SC_
    .private_segment_fixed_size: 0
    .sgpr_count:     52
    .sgpr_spill_count: 0
    .symbol:         _Z39paged_attention_ll4mi_QKV_mfma16_kernelIDF16_DF16_LN4vllm18Fp8KVCacheDataTypeE0EDF16_Li16ELi64ELi256ELb1ELi6EL8MFMAType0EEvPKT_PKT0_S8_ifPKiSA_SA_iPKfiiiPfSD_PS3_PT2_iSC_SC_.kd
    .uniform_work_group_size: 1
    .uses_dynamic_stack: false
    .vgpr_count:     67
    .vgpr_spill_count: 0
    .wavefront_size: 64
  - .agpr_count:     0
    .args:
      - .actual_access:  read_only
        .address_space:  global
        .offset:         0
        .size:           8
        .value_kind:     global_buffer
      - .actual_access:  read_only
        .address_space:  global
        .offset:         8
        .size:           8
        .value_kind:     global_buffer
      - .actual_access:  read_only
        .address_space:  global
        .offset:         16
        .size:           8
        .value_kind:     global_buffer
      - .offset:         24
        .size:           4
        .value_kind:     by_value
      - .offset:         28
        .size:           4
        .value_kind:     by_value
      - .actual_access:  read_only
        .address_space:  global
        .offset:         32
        .size:           8
        .value_kind:     global_buffer
      - .actual_access:  read_only
        .address_space:  global
        .offset:         40
        .size:           8
        .value_kind:     global_buffer
      - .actual_access:  read_only
        .address_space:  global
        .offset:         48
        .size:           8
        .value_kind:     global_buffer
      - .offset:         56
        .size:           4
        .value_kind:     by_value
      - .actual_access:  read_only
        .address_space:  global
        .offset:         64
        .size:           8
        .value_kind:     global_buffer
      - .offset:         72
        .size:           4
        .value_kind:     by_value
      - .offset:         76
        .size:           4
        .value_kind:     by_value
      - .offset:         80
        .size:           4
        .value_kind:     by_value
      - .actual_access:  write_only
        .address_space:  global
        .offset:         88
        .size:           8
        .value_kind:     global_buffer
      - .actual_access:  write_only
        .address_space:  global
        .offset:         96
        .size:           8
        .value_kind:     global_buffer
      - .actual_access:  write_only
        .address_space:  global
        .offset:         104
        .size:           8
        .value_kind:     global_buffer
      - .actual_access:  read_only
        .address_space:  global
        .offset:         112
        .size:           8
        .value_kind:     global_buffer
      - .offset:         120
        .size:           4
        .value_kind:     by_value
      - .address_space:  global
        .offset:         128
        .size:           8
        .value_kind:     global_buffer
      - .address_space:  global
        .offset:         136
        .size:           8
        .value_kind:     global_buffer
      - .offset:         144
        .size:           4
        .value_kind:     hidden_block_count_x
      - .offset:         148
        .size:           4
        .value_kind:     hidden_block_count_y
      - .offset:         152
        .size:           4
        .value_kind:     hidden_block_count_z
      - .offset:         156
        .size:           2
        .value_kind:     hidden_group_size_x
      - .offset:         158
        .size:           2
        .value_kind:     hidden_group_size_y
      - .offset:         160
        .size:           2
        .value_kind:     hidden_group_size_z
      - .offset:         162
        .size:           2
        .value_kind:     hidden_remainder_x
      - .offset:         164
        .size:           2
        .value_kind:     hidden_remainder_y
      - .offset:         166
        .size:           2
        .value_kind:     hidden_remainder_z
      - .offset:         184
        .size:           8
        .value_kind:     hidden_global_offset_x
      - .offset:         192
        .size:           8
        .value_kind:     hidden_global_offset_y
      - .offset:         200
        .size:           8
        .value_kind:     hidden_global_offset_z
      - .offset:         208
        .size:           2
        .value_kind:     hidden_grid_dims
    .group_segment_fixed_size: 8192
    .kernarg_segment_align: 8
    .kernarg_segment_size: 400
    .language:       OpenCL C
    .language_version:
      - 2
      - 0
    .max_flat_workgroup_size: 256
    .name:           _Z39paged_attention_ll4mi_QKV_mfma16_kernelIDF16_DF16_LN4vllm18Fp8KVCacheDataTypeE0EDF16_Li16ELi64ELi256ELb1ELi7EL8MFMAType0EEvPKT_PKT0_S8_ifPKiSA_SA_iPKfiiiPfSD_PS3_PT2_iSC_SC_
    .private_segment_fixed_size: 0
    .sgpr_count:     52
    .sgpr_spill_count: 0
    .symbol:         _Z39paged_attention_ll4mi_QKV_mfma16_kernelIDF16_DF16_LN4vllm18Fp8KVCacheDataTypeE0EDF16_Li16ELi64ELi256ELb1ELi7EL8MFMAType0EEvPKT_PKT0_S8_ifPKiSA_SA_iPKfiiiPfSD_PS3_PT2_iSC_SC_.kd
    .uniform_work_group_size: 1
    .uses_dynamic_stack: false
    .vgpr_count:     67
    .vgpr_spill_count: 0
    .wavefront_size: 64
  - .agpr_count:     0
    .args:
      - .actual_access:  read_only
        .address_space:  global
        .offset:         0
        .size:           8
        .value_kind:     global_buffer
      - .actual_access:  read_only
        .address_space:  global
        .offset:         8
        .size:           8
        .value_kind:     global_buffer
      - .actual_access:  read_only
        .address_space:  global
        .offset:         16
        .size:           8
        .value_kind:     global_buffer
      - .offset:         24
        .size:           4
        .value_kind:     by_value
      - .offset:         28
        .size:           4
        .value_kind:     by_value
      - .actual_access:  read_only
        .address_space:  global
        .offset:         32
        .size:           8
        .value_kind:     global_buffer
      - .actual_access:  read_only
        .address_space:  global
        .offset:         40
        .size:           8
        .value_kind:     global_buffer
      - .actual_access:  read_only
        .address_space:  global
        .offset:         48
        .size:           8
        .value_kind:     global_buffer
      - .offset:         56
        .size:           4
        .value_kind:     by_value
      - .actual_access:  read_only
        .address_space:  global
        .offset:         64
        .size:           8
        .value_kind:     global_buffer
      - .offset:         72
        .size:           4
        .value_kind:     by_value
      - .offset:         76
        .size:           4
        .value_kind:     by_value
      - .offset:         80
        .size:           4
        .value_kind:     by_value
      - .actual_access:  write_only
        .address_space:  global
        .offset:         88
        .size:           8
        .value_kind:     global_buffer
      - .actual_access:  write_only
        .address_space:  global
        .offset:         96
        .size:           8
        .value_kind:     global_buffer
      - .actual_access:  write_only
        .address_space:  global
        .offset:         104
        .size:           8
        .value_kind:     global_buffer
      - .actual_access:  read_only
        .address_space:  global
        .offset:         112
        .size:           8
        .value_kind:     global_buffer
      - .offset:         120
        .size:           4
        .value_kind:     by_value
      - .address_space:  global
        .offset:         128
        .size:           8
        .value_kind:     global_buffer
      - .address_space:  global
        .offset:         136
        .size:           8
        .value_kind:     global_buffer
      - .offset:         144
        .size:           4
        .value_kind:     hidden_block_count_x
      - .offset:         148
        .size:           4
        .value_kind:     hidden_block_count_y
      - .offset:         152
        .size:           4
        .value_kind:     hidden_block_count_z
      - .offset:         156
        .size:           2
        .value_kind:     hidden_group_size_x
      - .offset:         158
        .size:           2
        .value_kind:     hidden_group_size_y
      - .offset:         160
        .size:           2
        .value_kind:     hidden_group_size_z
      - .offset:         162
        .size:           2
        .value_kind:     hidden_remainder_x
      - .offset:         164
        .size:           2
        .value_kind:     hidden_remainder_y
      - .offset:         166
        .size:           2
        .value_kind:     hidden_remainder_z
      - .offset:         184
        .size:           8
        .value_kind:     hidden_global_offset_x
      - .offset:         192
        .size:           8
        .value_kind:     hidden_global_offset_y
      - .offset:         200
        .size:           8
        .value_kind:     hidden_global_offset_z
      - .offset:         208
        .size:           2
        .value_kind:     hidden_grid_dims
    .group_segment_fixed_size: 8192
    .kernarg_segment_align: 8
    .kernarg_segment_size: 400
    .language:       OpenCL C
    .language_version:
      - 2
      - 0
    .max_flat_workgroup_size: 256
    .name:           _Z39paged_attention_ll4mi_QKV_mfma16_kernelIDF16_DF16_LN4vllm18Fp8KVCacheDataTypeE0EDF16_Li16ELi64ELi256ELb1ELi8EL8MFMAType0EEvPKT_PKT0_S8_ifPKiSA_SA_iPKfiiiPfSD_PS3_PT2_iSC_SC_
    .private_segment_fixed_size: 0
    .sgpr_count:     52
    .sgpr_spill_count: 0
    .symbol:         _Z39paged_attention_ll4mi_QKV_mfma16_kernelIDF16_DF16_LN4vllm18Fp8KVCacheDataTypeE0EDF16_Li16ELi64ELi256ELb1ELi8EL8MFMAType0EEvPKT_PKT0_S8_ifPKiSA_SA_iPKfiiiPfSD_PS3_PT2_iSC_SC_.kd
    .uniform_work_group_size: 1
    .uses_dynamic_stack: false
    .vgpr_count:     66
    .vgpr_spill_count: 0
    .wavefront_size: 64
  - .agpr_count:     0
    .args:
      - .actual_access:  read_only
        .address_space:  global
        .offset:         0
        .size:           8
        .value_kind:     global_buffer
      - .actual_access:  read_only
        .address_space:  global
        .offset:         8
        .size:           8
        .value_kind:     global_buffer
      - .actual_access:  read_only
        .address_space:  global
        .offset:         16
        .size:           8
        .value_kind:     global_buffer
      - .offset:         24
        .size:           4
        .value_kind:     by_value
      - .offset:         28
        .size:           4
        .value_kind:     by_value
      - .actual_access:  read_only
        .address_space:  global
        .offset:         32
        .size:           8
        .value_kind:     global_buffer
      - .actual_access:  read_only
        .address_space:  global
        .offset:         40
        .size:           8
        .value_kind:     global_buffer
      - .actual_access:  read_only
        .address_space:  global
        .offset:         48
        .size:           8
        .value_kind:     global_buffer
      - .offset:         56
        .size:           4
        .value_kind:     by_value
      - .actual_access:  read_only
        .address_space:  global
        .offset:         64
        .size:           8
        .value_kind:     global_buffer
      - .offset:         72
        .size:           4
        .value_kind:     by_value
      - .offset:         76
        .size:           4
        .value_kind:     by_value
      - .offset:         80
        .size:           4
        .value_kind:     by_value
      - .actual_access:  write_only
        .address_space:  global
        .offset:         88
        .size:           8
        .value_kind:     global_buffer
      - .actual_access:  write_only
        .address_space:  global
        .offset:         96
        .size:           8
        .value_kind:     global_buffer
      - .actual_access:  write_only
        .address_space:  global
        .offset:         104
        .size:           8
        .value_kind:     global_buffer
      - .actual_access:  read_only
        .address_space:  global
        .offset:         112
        .size:           8
        .value_kind:     global_buffer
      - .offset:         120
        .size:           4
        .value_kind:     by_value
      - .address_space:  global
        .offset:         128
        .size:           8
        .value_kind:     global_buffer
      - .address_space:  global
        .offset:         136
        .size:           8
        .value_kind:     global_buffer
      - .offset:         144
        .size:           4
        .value_kind:     hidden_block_count_x
      - .offset:         148
        .size:           4
        .value_kind:     hidden_block_count_y
      - .offset:         152
        .size:           4
        .value_kind:     hidden_block_count_z
      - .offset:         156
        .size:           2
        .value_kind:     hidden_group_size_x
      - .offset:         158
        .size:           2
        .value_kind:     hidden_group_size_y
      - .offset:         160
        .size:           2
        .value_kind:     hidden_group_size_z
      - .offset:         162
        .size:           2
        .value_kind:     hidden_remainder_x
      - .offset:         164
        .size:           2
        .value_kind:     hidden_remainder_y
      - .offset:         166
        .size:           2
        .value_kind:     hidden_remainder_z
      - .offset:         184
        .size:           8
        .value_kind:     hidden_global_offset_x
      - .offset:         192
        .size:           8
        .value_kind:     hidden_global_offset_y
      - .offset:         200
        .size:           8
        .value_kind:     hidden_global_offset_z
      - .offset:         208
        .size:           2
        .value_kind:     hidden_grid_dims
    .group_segment_fixed_size: 8192
    .kernarg_segment_align: 8
    .kernarg_segment_size: 400
    .language:       OpenCL C
    .language_version:
      - 2
      - 0
    .max_flat_workgroup_size: 256
    .name:           _Z39paged_attention_ll4mi_QKV_mfma16_kernelIDF16_DF16_LN4vllm18Fp8KVCacheDataTypeE0EDF16_Li16ELi64ELi256ELb1ELi9EL8MFMAType0EEvPKT_PKT0_S8_ifPKiSA_SA_iPKfiiiPfSD_PS3_PT2_iSC_SC_
    .private_segment_fixed_size: 0
    .sgpr_count:     52
    .sgpr_spill_count: 0
    .symbol:         _Z39paged_attention_ll4mi_QKV_mfma16_kernelIDF16_DF16_LN4vllm18Fp8KVCacheDataTypeE0EDF16_Li16ELi64ELi256ELb1ELi9EL8MFMAType0EEvPKT_PKT0_S8_ifPKiSA_SA_iPKfiiiPfSD_PS3_PT2_iSC_SC_.kd
    .uniform_work_group_size: 1
    .uses_dynamic_stack: false
    .vgpr_count:     67
    .vgpr_spill_count: 0
    .wavefront_size: 64
  - .agpr_count:     0
    .args:
      - .actual_access:  read_only
        .address_space:  global
        .offset:         0
        .size:           8
        .value_kind:     global_buffer
      - .actual_access:  read_only
        .address_space:  global
        .offset:         8
        .size:           8
        .value_kind:     global_buffer
      - .actual_access:  read_only
        .address_space:  global
        .offset:         16
        .size:           8
        .value_kind:     global_buffer
      - .offset:         24
        .size:           4
        .value_kind:     by_value
      - .offset:         28
        .size:           4
        .value_kind:     by_value
      - .actual_access:  read_only
        .address_space:  global
        .offset:         32
        .size:           8
        .value_kind:     global_buffer
      - .actual_access:  read_only
        .address_space:  global
        .offset:         40
        .size:           8
        .value_kind:     global_buffer
      - .actual_access:  read_only
        .address_space:  global
        .offset:         48
        .size:           8
        .value_kind:     global_buffer
      - .offset:         56
        .size:           4
        .value_kind:     by_value
      - .actual_access:  read_only
        .address_space:  global
        .offset:         64
        .size:           8
        .value_kind:     global_buffer
      - .offset:         72
        .size:           4
        .value_kind:     by_value
      - .offset:         76
        .size:           4
        .value_kind:     by_value
      - .offset:         80
        .size:           4
        .value_kind:     by_value
      - .actual_access:  write_only
        .address_space:  global
        .offset:         88
        .size:           8
        .value_kind:     global_buffer
      - .actual_access:  write_only
        .address_space:  global
        .offset:         96
        .size:           8
        .value_kind:     global_buffer
      - .actual_access:  write_only
        .address_space:  global
        .offset:         104
        .size:           8
        .value_kind:     global_buffer
      - .actual_access:  read_only
        .address_space:  global
        .offset:         112
        .size:           8
        .value_kind:     global_buffer
      - .offset:         120
        .size:           4
        .value_kind:     by_value
      - .address_space:  global
        .offset:         128
        .size:           8
        .value_kind:     global_buffer
      - .address_space:  global
        .offset:         136
        .size:           8
        .value_kind:     global_buffer
      - .offset:         144
        .size:           4
        .value_kind:     hidden_block_count_x
      - .offset:         148
        .size:           4
        .value_kind:     hidden_block_count_y
      - .offset:         152
        .size:           4
        .value_kind:     hidden_block_count_z
      - .offset:         156
        .size:           2
        .value_kind:     hidden_group_size_x
      - .offset:         158
        .size:           2
        .value_kind:     hidden_group_size_y
      - .offset:         160
        .size:           2
        .value_kind:     hidden_group_size_z
      - .offset:         162
        .size:           2
        .value_kind:     hidden_remainder_x
      - .offset:         164
        .size:           2
        .value_kind:     hidden_remainder_y
      - .offset:         166
        .size:           2
        .value_kind:     hidden_remainder_z
      - .offset:         184
        .size:           8
        .value_kind:     hidden_global_offset_x
      - .offset:         192
        .size:           8
        .value_kind:     hidden_global_offset_y
      - .offset:         200
        .size:           8
        .value_kind:     hidden_global_offset_z
      - .offset:         208
        .size:           2
        .value_kind:     hidden_grid_dims
    .group_segment_fixed_size: 8192
    .kernarg_segment_align: 8
    .kernarg_segment_size: 400
    .language:       OpenCL C
    .language_version:
      - 2
      - 0
    .max_flat_workgroup_size: 256
    .name:           _Z39paged_attention_ll4mi_QKV_mfma16_kernelIDF16_DF16_LN4vllm18Fp8KVCacheDataTypeE0EDF16_Li16ELi64ELi256ELb1ELi10EL8MFMAType0EEvPKT_PKT0_S8_ifPKiSA_SA_iPKfiiiPfSD_PS3_PT2_iSC_SC_
    .private_segment_fixed_size: 0
    .sgpr_count:     52
    .sgpr_spill_count: 0
    .symbol:         _Z39paged_attention_ll4mi_QKV_mfma16_kernelIDF16_DF16_LN4vllm18Fp8KVCacheDataTypeE0EDF16_Li16ELi64ELi256ELb1ELi10EL8MFMAType0EEvPKT_PKT0_S8_ifPKiSA_SA_iPKfiiiPfSD_PS3_PT2_iSC_SC_.kd
    .uniform_work_group_size: 1
    .uses_dynamic_stack: false
    .vgpr_count:     67
    .vgpr_spill_count: 0
    .wavefront_size: 64
  - .agpr_count:     0
    .args:
      - .actual_access:  read_only
        .address_space:  global
        .offset:         0
        .size:           8
        .value_kind:     global_buffer
      - .actual_access:  read_only
        .address_space:  global
        .offset:         8
        .size:           8
        .value_kind:     global_buffer
      - .actual_access:  read_only
        .address_space:  global
        .offset:         16
        .size:           8
        .value_kind:     global_buffer
      - .offset:         24
        .size:           4
        .value_kind:     by_value
      - .offset:         28
        .size:           4
        .value_kind:     by_value
      - .actual_access:  read_only
        .address_space:  global
        .offset:         32
        .size:           8
        .value_kind:     global_buffer
      - .actual_access:  read_only
        .address_space:  global
        .offset:         40
        .size:           8
        .value_kind:     global_buffer
      - .actual_access:  read_only
        .address_space:  global
        .offset:         48
        .size:           8
        .value_kind:     global_buffer
      - .offset:         56
        .size:           4
        .value_kind:     by_value
      - .actual_access:  read_only
        .address_space:  global
        .offset:         64
        .size:           8
        .value_kind:     global_buffer
      - .offset:         72
        .size:           4
        .value_kind:     by_value
      - .offset:         76
        .size:           4
        .value_kind:     by_value
      - .offset:         80
        .size:           4
        .value_kind:     by_value
      - .actual_access:  write_only
        .address_space:  global
        .offset:         88
        .size:           8
        .value_kind:     global_buffer
      - .actual_access:  write_only
        .address_space:  global
        .offset:         96
        .size:           8
        .value_kind:     global_buffer
      - .actual_access:  write_only
        .address_space:  global
        .offset:         104
        .size:           8
        .value_kind:     global_buffer
      - .actual_access:  read_only
        .address_space:  global
        .offset:         112
        .size:           8
        .value_kind:     global_buffer
      - .offset:         120
        .size:           4
        .value_kind:     by_value
      - .address_space:  global
        .offset:         128
        .size:           8
        .value_kind:     global_buffer
      - .address_space:  global
        .offset:         136
        .size:           8
        .value_kind:     global_buffer
      - .offset:         144
        .size:           4
        .value_kind:     hidden_block_count_x
      - .offset:         148
        .size:           4
        .value_kind:     hidden_block_count_y
      - .offset:         152
        .size:           4
        .value_kind:     hidden_block_count_z
      - .offset:         156
        .size:           2
        .value_kind:     hidden_group_size_x
      - .offset:         158
        .size:           2
        .value_kind:     hidden_group_size_y
      - .offset:         160
        .size:           2
        .value_kind:     hidden_group_size_z
      - .offset:         162
        .size:           2
        .value_kind:     hidden_remainder_x
      - .offset:         164
        .size:           2
        .value_kind:     hidden_remainder_y
      - .offset:         166
        .size:           2
        .value_kind:     hidden_remainder_z
      - .offset:         184
        .size:           8
        .value_kind:     hidden_global_offset_x
      - .offset:         192
        .size:           8
        .value_kind:     hidden_global_offset_y
      - .offset:         200
        .size:           8
        .value_kind:     hidden_global_offset_z
      - .offset:         208
        .size:           2
        .value_kind:     hidden_grid_dims
    .group_segment_fixed_size: 8192
    .kernarg_segment_align: 8
    .kernarg_segment_size: 400
    .language:       OpenCL C
    .language_version:
      - 2
      - 0
    .max_flat_workgroup_size: 256
    .name:           _Z39paged_attention_ll4mi_QKV_mfma16_kernelIDF16_DF16_LN4vllm18Fp8KVCacheDataTypeE0EDF16_Li16ELi64ELi256ELb1ELi11EL8MFMAType0EEvPKT_PKT0_S8_ifPKiSA_SA_iPKfiiiPfSD_PS3_PT2_iSC_SC_
    .private_segment_fixed_size: 0
    .sgpr_count:     52
    .sgpr_spill_count: 0
    .symbol:         _Z39paged_attention_ll4mi_QKV_mfma16_kernelIDF16_DF16_LN4vllm18Fp8KVCacheDataTypeE0EDF16_Li16ELi64ELi256ELb1ELi11EL8MFMAType0EEvPKT_PKT0_S8_ifPKiSA_SA_iPKfiiiPfSD_PS3_PT2_iSC_SC_.kd
    .uniform_work_group_size: 1
    .uses_dynamic_stack: false
    .vgpr_count:     67
    .vgpr_spill_count: 0
    .wavefront_size: 64
  - .agpr_count:     0
    .args:
      - .actual_access:  read_only
        .address_space:  global
        .offset:         0
        .size:           8
        .value_kind:     global_buffer
      - .actual_access:  read_only
        .address_space:  global
        .offset:         8
        .size:           8
        .value_kind:     global_buffer
      - .actual_access:  read_only
        .address_space:  global
        .offset:         16
        .size:           8
        .value_kind:     global_buffer
      - .offset:         24
        .size:           4
        .value_kind:     by_value
      - .offset:         28
        .size:           4
        .value_kind:     by_value
      - .actual_access:  read_only
        .address_space:  global
        .offset:         32
        .size:           8
        .value_kind:     global_buffer
      - .actual_access:  read_only
        .address_space:  global
        .offset:         40
        .size:           8
        .value_kind:     global_buffer
      - .actual_access:  read_only
        .address_space:  global
        .offset:         48
        .size:           8
        .value_kind:     global_buffer
      - .offset:         56
        .size:           4
        .value_kind:     by_value
      - .actual_access:  read_only
        .address_space:  global
        .offset:         64
        .size:           8
        .value_kind:     global_buffer
      - .offset:         72
        .size:           4
        .value_kind:     by_value
      - .offset:         76
        .size:           4
        .value_kind:     by_value
      - .offset:         80
        .size:           4
        .value_kind:     by_value
      - .actual_access:  write_only
        .address_space:  global
        .offset:         88
        .size:           8
        .value_kind:     global_buffer
      - .actual_access:  write_only
        .address_space:  global
        .offset:         96
        .size:           8
        .value_kind:     global_buffer
      - .actual_access:  write_only
        .address_space:  global
        .offset:         104
        .size:           8
        .value_kind:     global_buffer
      - .actual_access:  read_only
        .address_space:  global
        .offset:         112
        .size:           8
        .value_kind:     global_buffer
      - .offset:         120
        .size:           4
        .value_kind:     by_value
      - .address_space:  global
        .offset:         128
        .size:           8
        .value_kind:     global_buffer
      - .address_space:  global
        .offset:         136
        .size:           8
        .value_kind:     global_buffer
      - .offset:         144
        .size:           4
        .value_kind:     hidden_block_count_x
      - .offset:         148
        .size:           4
        .value_kind:     hidden_block_count_y
      - .offset:         152
        .size:           4
        .value_kind:     hidden_block_count_z
      - .offset:         156
        .size:           2
        .value_kind:     hidden_group_size_x
      - .offset:         158
        .size:           2
        .value_kind:     hidden_group_size_y
      - .offset:         160
        .size:           2
        .value_kind:     hidden_group_size_z
      - .offset:         162
        .size:           2
        .value_kind:     hidden_remainder_x
      - .offset:         164
        .size:           2
        .value_kind:     hidden_remainder_y
      - .offset:         166
        .size:           2
        .value_kind:     hidden_remainder_z
      - .offset:         184
        .size:           8
        .value_kind:     hidden_global_offset_x
      - .offset:         192
        .size:           8
        .value_kind:     hidden_global_offset_y
      - .offset:         200
        .size:           8
        .value_kind:     hidden_global_offset_z
      - .offset:         208
        .size:           2
        .value_kind:     hidden_grid_dims
    .group_segment_fixed_size: 8192
    .kernarg_segment_align: 8
    .kernarg_segment_size: 400
    .language:       OpenCL C
    .language_version:
      - 2
      - 0
    .max_flat_workgroup_size: 256
    .name:           _Z39paged_attention_ll4mi_QKV_mfma16_kernelIDF16_DF16_LN4vllm18Fp8KVCacheDataTypeE0EDF16_Li16ELi64ELi256ELb1ELi12EL8MFMAType0EEvPKT_PKT0_S8_ifPKiSA_SA_iPKfiiiPfSD_PS3_PT2_iSC_SC_
    .private_segment_fixed_size: 0
    .sgpr_count:     52
    .sgpr_spill_count: 0
    .symbol:         _Z39paged_attention_ll4mi_QKV_mfma16_kernelIDF16_DF16_LN4vllm18Fp8KVCacheDataTypeE0EDF16_Li16ELi64ELi256ELb1ELi12EL8MFMAType0EEvPKT_PKT0_S8_ifPKiSA_SA_iPKfiiiPfSD_PS3_PT2_iSC_SC_.kd
    .uniform_work_group_size: 1
    .uses_dynamic_stack: false
    .vgpr_count:     67
    .vgpr_spill_count: 0
    .wavefront_size: 64
  - .agpr_count:     0
    .args:
      - .actual_access:  read_only
        .address_space:  global
        .offset:         0
        .size:           8
        .value_kind:     global_buffer
      - .actual_access:  read_only
        .address_space:  global
        .offset:         8
        .size:           8
        .value_kind:     global_buffer
      - .actual_access:  read_only
        .address_space:  global
        .offset:         16
        .size:           8
        .value_kind:     global_buffer
      - .offset:         24
        .size:           4
        .value_kind:     by_value
      - .offset:         28
        .size:           4
        .value_kind:     by_value
      - .actual_access:  read_only
        .address_space:  global
        .offset:         32
        .size:           8
        .value_kind:     global_buffer
      - .actual_access:  read_only
        .address_space:  global
        .offset:         40
        .size:           8
        .value_kind:     global_buffer
      - .actual_access:  read_only
        .address_space:  global
        .offset:         48
        .size:           8
        .value_kind:     global_buffer
      - .offset:         56
        .size:           4
        .value_kind:     by_value
      - .actual_access:  read_only
        .address_space:  global
        .offset:         64
        .size:           8
        .value_kind:     global_buffer
      - .offset:         72
        .size:           4
        .value_kind:     by_value
      - .offset:         76
        .size:           4
        .value_kind:     by_value
      - .offset:         80
        .size:           4
        .value_kind:     by_value
      - .actual_access:  write_only
        .address_space:  global
        .offset:         88
        .size:           8
        .value_kind:     global_buffer
      - .actual_access:  write_only
        .address_space:  global
        .offset:         96
        .size:           8
        .value_kind:     global_buffer
      - .actual_access:  write_only
        .address_space:  global
        .offset:         104
        .size:           8
        .value_kind:     global_buffer
      - .actual_access:  read_only
        .address_space:  global
        .offset:         112
        .size:           8
        .value_kind:     global_buffer
      - .offset:         120
        .size:           4
        .value_kind:     by_value
      - .address_space:  global
        .offset:         128
        .size:           8
        .value_kind:     global_buffer
      - .address_space:  global
        .offset:         136
        .size:           8
        .value_kind:     global_buffer
      - .offset:         144
        .size:           4
        .value_kind:     hidden_block_count_x
      - .offset:         148
        .size:           4
        .value_kind:     hidden_block_count_y
      - .offset:         152
        .size:           4
        .value_kind:     hidden_block_count_z
      - .offset:         156
        .size:           2
        .value_kind:     hidden_group_size_x
      - .offset:         158
        .size:           2
        .value_kind:     hidden_group_size_y
      - .offset:         160
        .size:           2
        .value_kind:     hidden_group_size_z
      - .offset:         162
        .size:           2
        .value_kind:     hidden_remainder_x
      - .offset:         164
        .size:           2
        .value_kind:     hidden_remainder_y
      - .offset:         166
        .size:           2
        .value_kind:     hidden_remainder_z
      - .offset:         184
        .size:           8
        .value_kind:     hidden_global_offset_x
      - .offset:         192
        .size:           8
        .value_kind:     hidden_global_offset_y
      - .offset:         200
        .size:           8
        .value_kind:     hidden_global_offset_z
      - .offset:         208
        .size:           2
        .value_kind:     hidden_grid_dims
    .group_segment_fixed_size: 8192
    .kernarg_segment_align: 8
    .kernarg_segment_size: 400
    .language:       OpenCL C
    .language_version:
      - 2
      - 0
    .max_flat_workgroup_size: 256
    .name:           _Z39paged_attention_ll4mi_QKV_mfma16_kernelIDF16_DF16_LN4vllm18Fp8KVCacheDataTypeE0EDF16_Li16ELi64ELi256ELb1ELi13EL8MFMAType0EEvPKT_PKT0_S8_ifPKiSA_SA_iPKfiiiPfSD_PS3_PT2_iSC_SC_
    .private_segment_fixed_size: 0
    .sgpr_count:     52
    .sgpr_spill_count: 0
    .symbol:         _Z39paged_attention_ll4mi_QKV_mfma16_kernelIDF16_DF16_LN4vllm18Fp8KVCacheDataTypeE0EDF16_Li16ELi64ELi256ELb1ELi13EL8MFMAType0EEvPKT_PKT0_S8_ifPKiSA_SA_iPKfiiiPfSD_PS3_PT2_iSC_SC_.kd
    .uniform_work_group_size: 1
    .uses_dynamic_stack: false
    .vgpr_count:     67
    .vgpr_spill_count: 0
    .wavefront_size: 64
  - .agpr_count:     0
    .args:
      - .actual_access:  read_only
        .address_space:  global
        .offset:         0
        .size:           8
        .value_kind:     global_buffer
      - .actual_access:  read_only
        .address_space:  global
        .offset:         8
        .size:           8
        .value_kind:     global_buffer
      - .actual_access:  read_only
        .address_space:  global
        .offset:         16
        .size:           8
        .value_kind:     global_buffer
      - .offset:         24
        .size:           4
        .value_kind:     by_value
      - .offset:         28
        .size:           4
        .value_kind:     by_value
      - .actual_access:  read_only
        .address_space:  global
        .offset:         32
        .size:           8
        .value_kind:     global_buffer
      - .actual_access:  read_only
        .address_space:  global
        .offset:         40
        .size:           8
        .value_kind:     global_buffer
      - .actual_access:  read_only
        .address_space:  global
        .offset:         48
        .size:           8
        .value_kind:     global_buffer
      - .offset:         56
        .size:           4
        .value_kind:     by_value
      - .actual_access:  read_only
        .address_space:  global
        .offset:         64
        .size:           8
        .value_kind:     global_buffer
      - .offset:         72
        .size:           4
        .value_kind:     by_value
      - .offset:         76
        .size:           4
        .value_kind:     by_value
      - .offset:         80
        .size:           4
        .value_kind:     by_value
      - .actual_access:  write_only
        .address_space:  global
        .offset:         88
        .size:           8
        .value_kind:     global_buffer
      - .actual_access:  write_only
        .address_space:  global
        .offset:         96
        .size:           8
        .value_kind:     global_buffer
      - .actual_access:  write_only
        .address_space:  global
        .offset:         104
        .size:           8
        .value_kind:     global_buffer
      - .actual_access:  read_only
        .address_space:  global
        .offset:         112
        .size:           8
        .value_kind:     global_buffer
      - .offset:         120
        .size:           4
        .value_kind:     by_value
      - .address_space:  global
        .offset:         128
        .size:           8
        .value_kind:     global_buffer
      - .address_space:  global
        .offset:         136
        .size:           8
        .value_kind:     global_buffer
      - .offset:         144
        .size:           4
        .value_kind:     hidden_block_count_x
      - .offset:         148
        .size:           4
        .value_kind:     hidden_block_count_y
      - .offset:         152
        .size:           4
        .value_kind:     hidden_block_count_z
      - .offset:         156
        .size:           2
        .value_kind:     hidden_group_size_x
      - .offset:         158
        .size:           2
        .value_kind:     hidden_group_size_y
      - .offset:         160
        .size:           2
        .value_kind:     hidden_group_size_z
      - .offset:         162
        .size:           2
        .value_kind:     hidden_remainder_x
      - .offset:         164
        .size:           2
        .value_kind:     hidden_remainder_y
      - .offset:         166
        .size:           2
        .value_kind:     hidden_remainder_z
      - .offset:         184
        .size:           8
        .value_kind:     hidden_global_offset_x
      - .offset:         192
        .size:           8
        .value_kind:     hidden_global_offset_y
      - .offset:         200
        .size:           8
        .value_kind:     hidden_global_offset_z
      - .offset:         208
        .size:           2
        .value_kind:     hidden_grid_dims
    .group_segment_fixed_size: 8192
    .kernarg_segment_align: 8
    .kernarg_segment_size: 400
    .language:       OpenCL C
    .language_version:
      - 2
      - 0
    .max_flat_workgroup_size: 256
    .name:           _Z39paged_attention_ll4mi_QKV_mfma16_kernelIDF16_DF16_LN4vllm18Fp8KVCacheDataTypeE0EDF16_Li16ELi64ELi256ELb1ELi14EL8MFMAType0EEvPKT_PKT0_S8_ifPKiSA_SA_iPKfiiiPfSD_PS3_PT2_iSC_SC_
    .private_segment_fixed_size: 0
    .sgpr_count:     52
    .sgpr_spill_count: 0
    .symbol:         _Z39paged_attention_ll4mi_QKV_mfma16_kernelIDF16_DF16_LN4vllm18Fp8KVCacheDataTypeE0EDF16_Li16ELi64ELi256ELb1ELi14EL8MFMAType0EEvPKT_PKT0_S8_ifPKiSA_SA_iPKfiiiPfSD_PS3_PT2_iSC_SC_.kd
    .uniform_work_group_size: 1
    .uses_dynamic_stack: false
    .vgpr_count:     67
    .vgpr_spill_count: 0
    .wavefront_size: 64
  - .agpr_count:     0
    .args:
      - .actual_access:  read_only
        .address_space:  global
        .offset:         0
        .size:           8
        .value_kind:     global_buffer
      - .actual_access:  read_only
        .address_space:  global
        .offset:         8
        .size:           8
        .value_kind:     global_buffer
      - .actual_access:  read_only
        .address_space:  global
        .offset:         16
        .size:           8
        .value_kind:     global_buffer
      - .offset:         24
        .size:           4
        .value_kind:     by_value
      - .offset:         28
        .size:           4
        .value_kind:     by_value
      - .actual_access:  read_only
        .address_space:  global
        .offset:         32
        .size:           8
        .value_kind:     global_buffer
      - .actual_access:  read_only
        .address_space:  global
        .offset:         40
        .size:           8
        .value_kind:     global_buffer
      - .actual_access:  read_only
        .address_space:  global
        .offset:         48
        .size:           8
        .value_kind:     global_buffer
      - .offset:         56
        .size:           4
        .value_kind:     by_value
      - .actual_access:  read_only
        .address_space:  global
        .offset:         64
        .size:           8
        .value_kind:     global_buffer
      - .offset:         72
        .size:           4
        .value_kind:     by_value
      - .offset:         76
        .size:           4
        .value_kind:     by_value
      - .offset:         80
        .size:           4
        .value_kind:     by_value
      - .actual_access:  write_only
        .address_space:  global
        .offset:         88
        .size:           8
        .value_kind:     global_buffer
      - .actual_access:  write_only
        .address_space:  global
        .offset:         96
        .size:           8
        .value_kind:     global_buffer
      - .actual_access:  write_only
        .address_space:  global
        .offset:         104
        .size:           8
        .value_kind:     global_buffer
      - .actual_access:  read_only
        .address_space:  global
        .offset:         112
        .size:           8
        .value_kind:     global_buffer
      - .offset:         120
        .size:           4
        .value_kind:     by_value
      - .address_space:  global
        .offset:         128
        .size:           8
        .value_kind:     global_buffer
      - .address_space:  global
        .offset:         136
        .size:           8
        .value_kind:     global_buffer
      - .offset:         144
        .size:           4
        .value_kind:     hidden_block_count_x
      - .offset:         148
        .size:           4
        .value_kind:     hidden_block_count_y
      - .offset:         152
        .size:           4
        .value_kind:     hidden_block_count_z
      - .offset:         156
        .size:           2
        .value_kind:     hidden_group_size_x
      - .offset:         158
        .size:           2
        .value_kind:     hidden_group_size_y
      - .offset:         160
        .size:           2
        .value_kind:     hidden_group_size_z
      - .offset:         162
        .size:           2
        .value_kind:     hidden_remainder_x
      - .offset:         164
        .size:           2
        .value_kind:     hidden_remainder_y
      - .offset:         166
        .size:           2
        .value_kind:     hidden_remainder_z
      - .offset:         184
        .size:           8
        .value_kind:     hidden_global_offset_x
      - .offset:         192
        .size:           8
        .value_kind:     hidden_global_offset_y
      - .offset:         200
        .size:           8
        .value_kind:     hidden_global_offset_z
      - .offset:         208
        .size:           2
        .value_kind:     hidden_grid_dims
    .group_segment_fixed_size: 8192
    .kernarg_segment_align: 8
    .kernarg_segment_size: 400
    .language:       OpenCL C
    .language_version:
      - 2
      - 0
    .max_flat_workgroup_size: 256
    .name:           _Z39paged_attention_ll4mi_QKV_mfma16_kernelIDF16_DF16_LN4vllm18Fp8KVCacheDataTypeE0EDF16_Li16ELi64ELi256ELb1ELi15EL8MFMAType0EEvPKT_PKT0_S8_ifPKiSA_SA_iPKfiiiPfSD_PS3_PT2_iSC_SC_
    .private_segment_fixed_size: 0
    .sgpr_count:     52
    .sgpr_spill_count: 0
    .symbol:         _Z39paged_attention_ll4mi_QKV_mfma16_kernelIDF16_DF16_LN4vllm18Fp8KVCacheDataTypeE0EDF16_Li16ELi64ELi256ELb1ELi15EL8MFMAType0EEvPKT_PKT0_S8_ifPKiSA_SA_iPKfiiiPfSD_PS3_PT2_iSC_SC_.kd
    .uniform_work_group_size: 1
    .uses_dynamic_stack: false
    .vgpr_count:     67
    .vgpr_spill_count: 0
    .wavefront_size: 64
  - .agpr_count:     0
    .args:
      - .actual_access:  read_only
        .address_space:  global
        .offset:         0
        .size:           8
        .value_kind:     global_buffer
      - .actual_access:  read_only
        .address_space:  global
        .offset:         8
        .size:           8
        .value_kind:     global_buffer
      - .actual_access:  read_only
        .address_space:  global
        .offset:         16
        .size:           8
        .value_kind:     global_buffer
      - .offset:         24
        .size:           4
        .value_kind:     by_value
      - .offset:         28
        .size:           4
        .value_kind:     by_value
      - .actual_access:  read_only
        .address_space:  global
        .offset:         32
        .size:           8
        .value_kind:     global_buffer
      - .actual_access:  read_only
        .address_space:  global
        .offset:         40
        .size:           8
        .value_kind:     global_buffer
      - .actual_access:  read_only
        .address_space:  global
        .offset:         48
        .size:           8
        .value_kind:     global_buffer
      - .offset:         56
        .size:           4
        .value_kind:     by_value
      - .actual_access:  read_only
        .address_space:  global
        .offset:         64
        .size:           8
        .value_kind:     global_buffer
      - .offset:         72
        .size:           4
        .value_kind:     by_value
      - .offset:         76
        .size:           4
        .value_kind:     by_value
      - .offset:         80
        .size:           4
        .value_kind:     by_value
      - .actual_access:  write_only
        .address_space:  global
        .offset:         88
        .size:           8
        .value_kind:     global_buffer
      - .actual_access:  write_only
        .address_space:  global
        .offset:         96
        .size:           8
        .value_kind:     global_buffer
      - .actual_access:  write_only
        .address_space:  global
        .offset:         104
        .size:           8
        .value_kind:     global_buffer
      - .actual_access:  read_only
        .address_space:  global
        .offset:         112
        .size:           8
        .value_kind:     global_buffer
      - .offset:         120
        .size:           4
        .value_kind:     by_value
      - .address_space:  global
        .offset:         128
        .size:           8
        .value_kind:     global_buffer
      - .address_space:  global
        .offset:         136
        .size:           8
        .value_kind:     global_buffer
      - .offset:         144
        .size:           4
        .value_kind:     hidden_block_count_x
      - .offset:         148
        .size:           4
        .value_kind:     hidden_block_count_y
      - .offset:         152
        .size:           4
        .value_kind:     hidden_block_count_z
      - .offset:         156
        .size:           2
        .value_kind:     hidden_group_size_x
      - .offset:         158
        .size:           2
        .value_kind:     hidden_group_size_y
      - .offset:         160
        .size:           2
        .value_kind:     hidden_group_size_z
      - .offset:         162
        .size:           2
        .value_kind:     hidden_remainder_x
      - .offset:         164
        .size:           2
        .value_kind:     hidden_remainder_y
      - .offset:         166
        .size:           2
        .value_kind:     hidden_remainder_z
      - .offset:         184
        .size:           8
        .value_kind:     hidden_global_offset_x
      - .offset:         192
        .size:           8
        .value_kind:     hidden_global_offset_y
      - .offset:         200
        .size:           8
        .value_kind:     hidden_global_offset_z
      - .offset:         208
        .size:           2
        .value_kind:     hidden_grid_dims
    .group_segment_fixed_size: 8192
    .kernarg_segment_align: 8
    .kernarg_segment_size: 400
    .language:       OpenCL C
    .language_version:
      - 2
      - 0
    .max_flat_workgroup_size: 256
    .name:           _Z39paged_attention_ll4mi_QKV_mfma16_kernelIDF16_DF16_LN4vllm18Fp8KVCacheDataTypeE0EDF16_Li16ELi64ELi256ELb1ELi16EL8MFMAType0EEvPKT_PKT0_S8_ifPKiSA_SA_iPKfiiiPfSD_PS3_PT2_iSC_SC_
    .private_segment_fixed_size: 0
    .sgpr_count:     52
    .sgpr_spill_count: 0
    .symbol:         _Z39paged_attention_ll4mi_QKV_mfma16_kernelIDF16_DF16_LN4vllm18Fp8KVCacheDataTypeE0EDF16_Li16ELi64ELi256ELb1ELi16EL8MFMAType0EEvPKT_PKT0_S8_ifPKiSA_SA_iPKfiiiPfSD_PS3_PT2_iSC_SC_.kd
    .uniform_work_group_size: 1
    .uses_dynamic_stack: false
    .vgpr_count:     68
    .vgpr_spill_count: 0
    .wavefront_size: 64
  - .agpr_count:     0
    .args:
      - .actual_access:  write_only
        .address_space:  global
        .offset:         0
        .size:           8
        .value_kind:     global_buffer
      - .actual_access:  read_only
        .address_space:  global
        .offset:         8
        .size:           8
        .value_kind:     global_buffer
      - .actual_access:  read_only
        .address_space:  global
        .offset:         16
        .size:           8
        .value_kind:     global_buffer
      - .actual_access:  read_only
        .address_space:  global
        .offset:         24
        .size:           8
        .value_kind:     global_buffer
      - .actual_access:  read_only
        .address_space:  global
        .offset:         32
        .size:           8
        .value_kind:     global_buffer
      - .actual_access:  read_only
        .address_space:  global
        .offset:         40
        .size:           8
        .value_kind:     global_buffer
      - .offset:         48
        .size:           4
        .value_kind:     by_value
      - .actual_access:  read_only
        .address_space:  global
        .offset:         56
        .size:           8
        .value_kind:     global_buffer
      - .offset:         64
        .size:           4
        .value_kind:     hidden_block_count_x
      - .offset:         68
        .size:           4
        .value_kind:     hidden_block_count_y
      - .offset:         72
        .size:           4
        .value_kind:     hidden_block_count_z
      - .offset:         76
        .size:           2
        .value_kind:     hidden_group_size_x
      - .offset:         78
        .size:           2
        .value_kind:     hidden_group_size_y
      - .offset:         80
        .size:           2
        .value_kind:     hidden_group_size_z
      - .offset:         82
        .size:           2
        .value_kind:     hidden_remainder_x
      - .offset:         84
        .size:           2
        .value_kind:     hidden_remainder_y
      - .offset:         86
        .size:           2
        .value_kind:     hidden_remainder_z
      - .offset:         104
        .size:           8
        .value_kind:     hidden_global_offset_x
      - .offset:         112
        .size:           8
        .value_kind:     hidden_global_offset_y
      - .offset:         120
        .size:           8
        .value_kind:     hidden_global_offset_z
      - .offset:         128
        .size:           2
        .value_kind:     hidden_grid_dims
    .group_segment_fixed_size: 260
    .kernarg_segment_align: 8
    .kernarg_segment_size: 320
    .language:       OpenCL C
    .language_version:
      - 2
      - 0
    .max_flat_workgroup_size: 64
    .name:           _Z35paged_attention_ll4mi_reduce_kernelIDF16_DF16_Li64ELi64ELi256ELi1EEvPT0_PKfS3_PKT_PKiS8_iS3_
    .private_segment_fixed_size: 0
    .sgpr_count:     34
    .sgpr_spill_count: 0
    .symbol:         _Z35paged_attention_ll4mi_reduce_kernelIDF16_DF16_Li64ELi64ELi256ELi1EEvPT0_PKfS3_PKT_PKiS8_iS3_.kd
    .uniform_work_group_size: 1
    .uses_dynamic_stack: false
    .vgpr_count:     92
    .vgpr_spill_count: 0
    .wavefront_size: 64
  - .agpr_count:     0
    .args:
      - .actual_access:  write_only
        .address_space:  global
        .offset:         0
        .size:           8
        .value_kind:     global_buffer
      - .actual_access:  read_only
        .address_space:  global
        .offset:         8
        .size:           8
        .value_kind:     global_buffer
      - .actual_access:  read_only
        .address_space:  global
        .offset:         16
        .size:           8
        .value_kind:     global_buffer
      - .actual_access:  read_only
        .address_space:  global
        .offset:         24
        .size:           8
        .value_kind:     global_buffer
      - .actual_access:  read_only
        .address_space:  global
        .offset:         32
        .size:           8
        .value_kind:     global_buffer
      - .actual_access:  read_only
        .address_space:  global
        .offset:         40
        .size:           8
        .value_kind:     global_buffer
      - .offset:         48
        .size:           4
        .value_kind:     by_value
      - .actual_access:  read_only
        .address_space:  global
        .offset:         56
        .size:           8
        .value_kind:     global_buffer
      - .offset:         64
        .size:           4
        .value_kind:     hidden_block_count_x
      - .offset:         68
        .size:           4
        .value_kind:     hidden_block_count_y
      - .offset:         72
        .size:           4
        .value_kind:     hidden_block_count_z
      - .offset:         76
        .size:           2
        .value_kind:     hidden_group_size_x
      - .offset:         78
        .size:           2
        .value_kind:     hidden_group_size_y
      - .offset:         80
        .size:           2
        .value_kind:     hidden_group_size_z
      - .offset:         82
        .size:           2
        .value_kind:     hidden_remainder_x
      - .offset:         84
        .size:           2
        .value_kind:     hidden_remainder_y
      - .offset:         86
        .size:           2
        .value_kind:     hidden_remainder_z
      - .offset:         104
        .size:           8
        .value_kind:     hidden_global_offset_x
      - .offset:         112
        .size:           8
        .value_kind:     hidden_global_offset_y
      - .offset:         120
        .size:           8
        .value_kind:     hidden_global_offset_z
      - .offset:         128
        .size:           2
        .value_kind:     hidden_grid_dims
    .group_segment_fixed_size: 516
    .kernarg_segment_align: 8
    .kernarg_segment_size: 320
    .language:       OpenCL C
    .language_version:
      - 2
      - 0
    .max_flat_workgroup_size: 64
    .name:           _Z35paged_attention_ll4mi_reduce_kernelIDF16_DF16_Li64ELi64ELi256ELi2EEvPT0_PKfS3_PKT_PKiS8_iS3_
    .private_segment_fixed_size: 0
    .sgpr_count:     36
    .sgpr_spill_count: 0
    .symbol:         _Z35paged_attention_ll4mi_reduce_kernelIDF16_DF16_Li64ELi64ELi256ELi2EEvPT0_PKfS3_PKT_PKiS8_iS3_.kd
    .uniform_work_group_size: 1
    .uses_dynamic_stack: false
    .vgpr_count:     92
    .vgpr_spill_count: 0
    .wavefront_size: 64
  - .agpr_count:     0
    .args:
      - .actual_access:  write_only
        .address_space:  global
        .offset:         0
        .size:           8
        .value_kind:     global_buffer
      - .actual_access:  read_only
        .address_space:  global
        .offset:         8
        .size:           8
        .value_kind:     global_buffer
      - .actual_access:  read_only
        .address_space:  global
        .offset:         16
        .size:           8
        .value_kind:     global_buffer
      - .actual_access:  read_only
        .address_space:  global
        .offset:         24
        .size:           8
        .value_kind:     global_buffer
      - .actual_access:  read_only
        .address_space:  global
        .offset:         32
        .size:           8
        .value_kind:     global_buffer
      - .actual_access:  read_only
        .address_space:  global
        .offset:         40
        .size:           8
        .value_kind:     global_buffer
      - .offset:         48
        .size:           4
        .value_kind:     by_value
      - .actual_access:  read_only
        .address_space:  global
        .offset:         56
        .size:           8
        .value_kind:     global_buffer
      - .offset:         64
        .size:           4
        .value_kind:     hidden_block_count_x
      - .offset:         68
        .size:           4
        .value_kind:     hidden_block_count_y
      - .offset:         72
        .size:           4
        .value_kind:     hidden_block_count_z
      - .offset:         76
        .size:           2
        .value_kind:     hidden_group_size_x
      - .offset:         78
        .size:           2
        .value_kind:     hidden_group_size_y
      - .offset:         80
        .size:           2
        .value_kind:     hidden_group_size_z
      - .offset:         82
        .size:           2
        .value_kind:     hidden_remainder_x
      - .offset:         84
        .size:           2
        .value_kind:     hidden_remainder_y
      - .offset:         86
        .size:           2
        .value_kind:     hidden_remainder_z
      - .offset:         104
        .size:           8
        .value_kind:     hidden_global_offset_x
      - .offset:         112
        .size:           8
        .value_kind:     hidden_global_offset_y
      - .offset:         120
        .size:           8
        .value_kind:     hidden_global_offset_z
      - .offset:         128
        .size:           2
        .value_kind:     hidden_grid_dims
    .group_segment_fixed_size: 772
    .kernarg_segment_align: 8
    .kernarg_segment_size: 320
    .language:       OpenCL C
    .language_version:
      - 2
      - 0
    .max_flat_workgroup_size: 64
    .name:           _Z35paged_attention_ll4mi_reduce_kernelIDF16_DF16_Li64ELi64ELi256ELi3EEvPT0_PKfS3_PKT_PKiS8_iS3_
    .private_segment_fixed_size: 0
    .sgpr_count:     39
    .sgpr_spill_count: 0
    .symbol:         _Z35paged_attention_ll4mi_reduce_kernelIDF16_DF16_Li64ELi64ELi256ELi3EEvPT0_PKfS3_PKT_PKiS8_iS3_.kd
    .uniform_work_group_size: 1
    .uses_dynamic_stack: false
    .vgpr_count:     92
    .vgpr_spill_count: 0
    .wavefront_size: 64
  - .agpr_count:     0
    .args:
      - .actual_access:  write_only
        .address_space:  global
        .offset:         0
        .size:           8
        .value_kind:     global_buffer
      - .actual_access:  read_only
        .address_space:  global
        .offset:         8
        .size:           8
        .value_kind:     global_buffer
      - .actual_access:  read_only
        .address_space:  global
        .offset:         16
        .size:           8
        .value_kind:     global_buffer
      - .actual_access:  read_only
        .address_space:  global
        .offset:         24
        .size:           8
        .value_kind:     global_buffer
      - .actual_access:  read_only
        .address_space:  global
        .offset:         32
        .size:           8
        .value_kind:     global_buffer
      - .actual_access:  read_only
        .address_space:  global
        .offset:         40
        .size:           8
        .value_kind:     global_buffer
      - .offset:         48
        .size:           4
        .value_kind:     by_value
      - .actual_access:  read_only
        .address_space:  global
        .offset:         56
        .size:           8
        .value_kind:     global_buffer
      - .offset:         64
        .size:           4
        .value_kind:     hidden_block_count_x
      - .offset:         68
        .size:           4
        .value_kind:     hidden_block_count_y
      - .offset:         72
        .size:           4
        .value_kind:     hidden_block_count_z
      - .offset:         76
        .size:           2
        .value_kind:     hidden_group_size_x
      - .offset:         78
        .size:           2
        .value_kind:     hidden_group_size_y
      - .offset:         80
        .size:           2
        .value_kind:     hidden_group_size_z
      - .offset:         82
        .size:           2
        .value_kind:     hidden_remainder_x
      - .offset:         84
        .size:           2
        .value_kind:     hidden_remainder_y
      - .offset:         86
        .size:           2
        .value_kind:     hidden_remainder_z
      - .offset:         104
        .size:           8
        .value_kind:     hidden_global_offset_x
      - .offset:         112
        .size:           8
        .value_kind:     hidden_global_offset_y
      - .offset:         120
        .size:           8
        .value_kind:     hidden_global_offset_z
      - .offset:         128
        .size:           2
        .value_kind:     hidden_grid_dims
    .group_segment_fixed_size: 1028
    .kernarg_segment_align: 8
    .kernarg_segment_size: 320
    .language:       OpenCL C
    .language_version:
      - 2
      - 0
    .max_flat_workgroup_size: 64
    .name:           _Z35paged_attention_ll4mi_reduce_kernelIDF16_DF16_Li64ELi64ELi256ELi4EEvPT0_PKfS3_PKT_PKiS8_iS3_
    .private_segment_fixed_size: 0
    .sgpr_count:     41
    .sgpr_spill_count: 0
    .symbol:         _Z35paged_attention_ll4mi_reduce_kernelIDF16_DF16_Li64ELi64ELi256ELi4EEvPT0_PKfS3_PKT_PKiS8_iS3_.kd
    .uniform_work_group_size: 1
    .uses_dynamic_stack: false
    .vgpr_count:     92
    .vgpr_spill_count: 0
    .wavefront_size: 64
  - .agpr_count:     0
    .args:
      - .actual_access:  write_only
        .address_space:  global
        .offset:         0
        .size:           8
        .value_kind:     global_buffer
      - .actual_access:  read_only
        .address_space:  global
        .offset:         8
        .size:           8
        .value_kind:     global_buffer
      - .actual_access:  read_only
        .address_space:  global
        .offset:         16
        .size:           8
        .value_kind:     global_buffer
      - .actual_access:  read_only
        .address_space:  global
        .offset:         24
        .size:           8
        .value_kind:     global_buffer
      - .actual_access:  read_only
        .address_space:  global
        .offset:         32
        .size:           8
        .value_kind:     global_buffer
      - .actual_access:  read_only
        .address_space:  global
        .offset:         40
        .size:           8
        .value_kind:     global_buffer
      - .offset:         48
        .size:           4
        .value_kind:     by_value
      - .actual_access:  read_only
        .address_space:  global
        .offset:         56
        .size:           8
        .value_kind:     global_buffer
      - .offset:         64
        .size:           4
        .value_kind:     hidden_block_count_x
      - .offset:         68
        .size:           4
        .value_kind:     hidden_block_count_y
      - .offset:         72
        .size:           4
        .value_kind:     hidden_block_count_z
      - .offset:         76
        .size:           2
        .value_kind:     hidden_group_size_x
      - .offset:         78
        .size:           2
        .value_kind:     hidden_group_size_y
      - .offset:         80
        .size:           2
        .value_kind:     hidden_group_size_z
      - .offset:         82
        .size:           2
        .value_kind:     hidden_remainder_x
      - .offset:         84
        .size:           2
        .value_kind:     hidden_remainder_y
      - .offset:         86
        .size:           2
        .value_kind:     hidden_remainder_z
      - .offset:         104
        .size:           8
        .value_kind:     hidden_global_offset_x
      - .offset:         112
        .size:           8
        .value_kind:     hidden_global_offset_y
      - .offset:         120
        .size:           8
        .value_kind:     hidden_global_offset_z
      - .offset:         128
        .size:           2
        .value_kind:     hidden_grid_dims
    .group_segment_fixed_size: 1284
    .kernarg_segment_align: 8
    .kernarg_segment_size: 320
    .language:       OpenCL C
    .language_version:
      - 2
      - 0
    .max_flat_workgroup_size: 64
    .name:           _Z35paged_attention_ll4mi_reduce_kernelIDF16_DF16_Li64ELi64ELi256ELi5EEvPT0_PKfS3_PKT_PKiS8_iS3_
    .private_segment_fixed_size: 0
    .sgpr_count:     43
    .sgpr_spill_count: 0
    .symbol:         _Z35paged_attention_ll4mi_reduce_kernelIDF16_DF16_Li64ELi64ELi256ELi5EEvPT0_PKfS3_PKT_PKiS8_iS3_.kd
    .uniform_work_group_size: 1
    .uses_dynamic_stack: false
    .vgpr_count:     92
    .vgpr_spill_count: 0
    .wavefront_size: 64
  - .agpr_count:     0
    .args:
      - .actual_access:  write_only
        .address_space:  global
        .offset:         0
        .size:           8
        .value_kind:     global_buffer
      - .actual_access:  read_only
        .address_space:  global
        .offset:         8
        .size:           8
        .value_kind:     global_buffer
      - .actual_access:  read_only
        .address_space:  global
        .offset:         16
        .size:           8
        .value_kind:     global_buffer
      - .actual_access:  read_only
        .address_space:  global
        .offset:         24
        .size:           8
        .value_kind:     global_buffer
      - .actual_access:  read_only
        .address_space:  global
        .offset:         32
        .size:           8
        .value_kind:     global_buffer
      - .actual_access:  read_only
        .address_space:  global
        .offset:         40
        .size:           8
        .value_kind:     global_buffer
      - .offset:         48
        .size:           4
        .value_kind:     by_value
      - .actual_access:  read_only
        .address_space:  global
        .offset:         56
        .size:           8
        .value_kind:     global_buffer
      - .offset:         64
        .size:           4
        .value_kind:     hidden_block_count_x
      - .offset:         68
        .size:           4
        .value_kind:     hidden_block_count_y
      - .offset:         72
        .size:           4
        .value_kind:     hidden_block_count_z
      - .offset:         76
        .size:           2
        .value_kind:     hidden_group_size_x
      - .offset:         78
        .size:           2
        .value_kind:     hidden_group_size_y
      - .offset:         80
        .size:           2
        .value_kind:     hidden_group_size_z
      - .offset:         82
        .size:           2
        .value_kind:     hidden_remainder_x
      - .offset:         84
        .size:           2
        .value_kind:     hidden_remainder_y
      - .offset:         86
        .size:           2
        .value_kind:     hidden_remainder_z
      - .offset:         104
        .size:           8
        .value_kind:     hidden_global_offset_x
      - .offset:         112
        .size:           8
        .value_kind:     hidden_global_offset_y
      - .offset:         120
        .size:           8
        .value_kind:     hidden_global_offset_z
      - .offset:         128
        .size:           2
        .value_kind:     hidden_grid_dims
    .group_segment_fixed_size: 1540
    .kernarg_segment_align: 8
    .kernarg_segment_size: 320
    .language:       OpenCL C
    .language_version:
      - 2
      - 0
    .max_flat_workgroup_size: 64
    .name:           _Z35paged_attention_ll4mi_reduce_kernelIDF16_DF16_Li64ELi64ELi256ELi6EEvPT0_PKfS3_PKT_PKiS8_iS3_
    .private_segment_fixed_size: 0
    .sgpr_count:     45
    .sgpr_spill_count: 0
    .symbol:         _Z35paged_attention_ll4mi_reduce_kernelIDF16_DF16_Li64ELi64ELi256ELi6EEvPT0_PKfS3_PKT_PKiS8_iS3_.kd
    .uniform_work_group_size: 1
    .uses_dynamic_stack: false
    .vgpr_count:     92
    .vgpr_spill_count: 0
    .wavefront_size: 64
  - .agpr_count:     0
    .args:
      - .actual_access:  write_only
        .address_space:  global
        .offset:         0
        .size:           8
        .value_kind:     global_buffer
      - .actual_access:  read_only
        .address_space:  global
        .offset:         8
        .size:           8
        .value_kind:     global_buffer
      - .actual_access:  read_only
        .address_space:  global
        .offset:         16
        .size:           8
        .value_kind:     global_buffer
      - .actual_access:  read_only
        .address_space:  global
        .offset:         24
        .size:           8
        .value_kind:     global_buffer
      - .actual_access:  read_only
        .address_space:  global
        .offset:         32
        .size:           8
        .value_kind:     global_buffer
      - .actual_access:  read_only
        .address_space:  global
        .offset:         40
        .size:           8
        .value_kind:     global_buffer
      - .offset:         48
        .size:           4
        .value_kind:     by_value
      - .actual_access:  read_only
        .address_space:  global
        .offset:         56
        .size:           8
        .value_kind:     global_buffer
      - .offset:         64
        .size:           4
        .value_kind:     hidden_block_count_x
      - .offset:         68
        .size:           4
        .value_kind:     hidden_block_count_y
      - .offset:         72
        .size:           4
        .value_kind:     hidden_block_count_z
      - .offset:         76
        .size:           2
        .value_kind:     hidden_group_size_x
      - .offset:         78
        .size:           2
        .value_kind:     hidden_group_size_y
      - .offset:         80
        .size:           2
        .value_kind:     hidden_group_size_z
      - .offset:         82
        .size:           2
        .value_kind:     hidden_remainder_x
      - .offset:         84
        .size:           2
        .value_kind:     hidden_remainder_y
      - .offset:         86
        .size:           2
        .value_kind:     hidden_remainder_z
      - .offset:         104
        .size:           8
        .value_kind:     hidden_global_offset_x
      - .offset:         112
        .size:           8
        .value_kind:     hidden_global_offset_y
      - .offset:         120
        .size:           8
        .value_kind:     hidden_global_offset_z
      - .offset:         128
        .size:           2
        .value_kind:     hidden_grid_dims
    .group_segment_fixed_size: 1796
    .kernarg_segment_align: 8
    .kernarg_segment_size: 320
    .language:       OpenCL C
    .language_version:
      - 2
      - 0
    .max_flat_workgroup_size: 64
    .name:           _Z35paged_attention_ll4mi_reduce_kernelIDF16_DF16_Li64ELi64ELi256ELi7EEvPT0_PKfS3_PKT_PKiS8_iS3_
    .private_segment_fixed_size: 0
    .sgpr_count:     47
    .sgpr_spill_count: 0
    .symbol:         _Z35paged_attention_ll4mi_reduce_kernelIDF16_DF16_Li64ELi64ELi256ELi7EEvPT0_PKfS3_PKT_PKiS8_iS3_.kd
    .uniform_work_group_size: 1
    .uses_dynamic_stack: false
    .vgpr_count:     92
    .vgpr_spill_count: 0
    .wavefront_size: 64
  - .agpr_count:     0
    .args:
      - .actual_access:  write_only
        .address_space:  global
        .offset:         0
        .size:           8
        .value_kind:     global_buffer
      - .actual_access:  read_only
        .address_space:  global
        .offset:         8
        .size:           8
        .value_kind:     global_buffer
      - .actual_access:  read_only
        .address_space:  global
        .offset:         16
        .size:           8
        .value_kind:     global_buffer
      - .actual_access:  read_only
        .address_space:  global
        .offset:         24
        .size:           8
        .value_kind:     global_buffer
      - .actual_access:  read_only
        .address_space:  global
        .offset:         32
        .size:           8
        .value_kind:     global_buffer
      - .actual_access:  read_only
        .address_space:  global
        .offset:         40
        .size:           8
        .value_kind:     global_buffer
      - .offset:         48
        .size:           4
        .value_kind:     by_value
      - .actual_access:  read_only
        .address_space:  global
        .offset:         56
        .size:           8
        .value_kind:     global_buffer
      - .offset:         64
        .size:           4
        .value_kind:     hidden_block_count_x
      - .offset:         68
        .size:           4
        .value_kind:     hidden_block_count_y
      - .offset:         72
        .size:           4
        .value_kind:     hidden_block_count_z
      - .offset:         76
        .size:           2
        .value_kind:     hidden_group_size_x
      - .offset:         78
        .size:           2
        .value_kind:     hidden_group_size_y
      - .offset:         80
        .size:           2
        .value_kind:     hidden_group_size_z
      - .offset:         82
        .size:           2
        .value_kind:     hidden_remainder_x
      - .offset:         84
        .size:           2
        .value_kind:     hidden_remainder_y
      - .offset:         86
        .size:           2
        .value_kind:     hidden_remainder_z
      - .offset:         104
        .size:           8
        .value_kind:     hidden_global_offset_x
      - .offset:         112
        .size:           8
        .value_kind:     hidden_global_offset_y
      - .offset:         120
        .size:           8
        .value_kind:     hidden_global_offset_z
      - .offset:         128
        .size:           2
        .value_kind:     hidden_grid_dims
    .group_segment_fixed_size: 2052
    .kernarg_segment_align: 8
    .kernarg_segment_size: 320
    .language:       OpenCL C
    .language_version:
      - 2
      - 0
    .max_flat_workgroup_size: 64
    .name:           _Z35paged_attention_ll4mi_reduce_kernelIDF16_DF16_Li64ELi64ELi256ELi8EEvPT0_PKfS3_PKT_PKiS8_iS3_
    .private_segment_fixed_size: 0
    .sgpr_count:     49
    .sgpr_spill_count: 0
    .symbol:         _Z35paged_attention_ll4mi_reduce_kernelIDF16_DF16_Li64ELi64ELi256ELi8EEvPT0_PKfS3_PKT_PKiS8_iS3_.kd
    .uniform_work_group_size: 1
    .uses_dynamic_stack: false
    .vgpr_count:     92
    .vgpr_spill_count: 0
    .wavefront_size: 64
  - .agpr_count:     0
    .args:
      - .actual_access:  read_only
        .address_space:  global
        .offset:         0
        .size:           8
        .value_kind:     global_buffer
      - .actual_access:  read_only
        .address_space:  global
        .offset:         8
        .size:           8
        .value_kind:     global_buffer
      - .actual_access:  read_only
        .address_space:  global
        .offset:         16
        .size:           8
        .value_kind:     global_buffer
      - .offset:         24
        .size:           4
        .value_kind:     by_value
      - .offset:         28
        .size:           4
        .value_kind:     by_value
      - .actual_access:  read_only
        .address_space:  global
        .offset:         32
        .size:           8
        .value_kind:     global_buffer
      - .actual_access:  read_only
        .address_space:  global
        .offset:         40
        .size:           8
        .value_kind:     global_buffer
      - .actual_access:  read_only
        .address_space:  global
        .offset:         48
        .size:           8
        .value_kind:     global_buffer
      - .offset:         56
        .size:           4
        .value_kind:     by_value
      - .actual_access:  read_only
        .address_space:  global
        .offset:         64
        .size:           8
        .value_kind:     global_buffer
      - .offset:         72
        .size:           4
        .value_kind:     by_value
      - .offset:         76
        .size:           4
        .value_kind:     by_value
      - .offset:         80
        .size:           4
        .value_kind:     by_value
      - .actual_access:  write_only
        .address_space:  global
        .offset:         88
        .size:           8
        .value_kind:     global_buffer
      - .actual_access:  write_only
        .address_space:  global
        .offset:         96
        .size:           8
        .value_kind:     global_buffer
      - .actual_access:  write_only
        .address_space:  global
        .offset:         104
        .size:           8
        .value_kind:     global_buffer
      - .actual_access:  read_only
        .address_space:  global
        .offset:         112
        .size:           8
        .value_kind:     global_buffer
      - .offset:         120
        .size:           4
        .value_kind:     by_value
      - .address_space:  global
        .offset:         128
        .size:           8
        .value_kind:     global_buffer
      - .address_space:  global
        .offset:         136
        .size:           8
        .value_kind:     global_buffer
      - .offset:         144
        .size:           4
        .value_kind:     hidden_block_count_x
      - .offset:         148
        .size:           4
        .value_kind:     hidden_block_count_y
      - .offset:         152
        .size:           4
        .value_kind:     hidden_block_count_z
      - .offset:         156
        .size:           2
        .value_kind:     hidden_group_size_x
      - .offset:         158
        .size:           2
        .value_kind:     hidden_group_size_y
      - .offset:         160
        .size:           2
        .value_kind:     hidden_group_size_z
      - .offset:         162
        .size:           2
        .value_kind:     hidden_remainder_x
      - .offset:         164
        .size:           2
        .value_kind:     hidden_remainder_y
      - .offset:         166
        .size:           2
        .value_kind:     hidden_remainder_z
      - .offset:         184
        .size:           8
        .value_kind:     hidden_global_offset_x
      - .offset:         192
        .size:           8
        .value_kind:     hidden_global_offset_y
      - .offset:         200
        .size:           8
        .value_kind:     hidden_global_offset_z
      - .offset:         208
        .size:           2
        .value_kind:     hidden_grid_dims
    .group_segment_fixed_size: 8192
    .kernarg_segment_align: 8
    .kernarg_segment_size: 400
    .language:       OpenCL C
    .language_version:
      - 2
      - 0
    .max_flat_workgroup_size: 256
    .name:           _Z39paged_attention_ll4mi_QKV_mfma16_kernelIDF16_DF16_LN4vllm18Fp8KVCacheDataTypeE0EDF16_Li16ELi64ELi256ELb1ELi1EL8MFMAType0EEvPKT_PKT0_S8_ifPKiSA_SA_iPKfiiiPfSD_PS3_PT2_iSC_SC_
    .private_segment_fixed_size: 0
    .sgpr_count:     52
    .sgpr_spill_count: 0
    .symbol:         _Z39paged_attention_ll4mi_QKV_mfma16_kernelIDF16_DF16_LN4vllm18Fp8KVCacheDataTypeE0EDF16_Li16ELi64ELi256ELb1ELi1EL8MFMAType0EEvPKT_PKT0_S8_ifPKiSA_SA_iPKfiiiPfSD_PS3_PT2_iSC_SC_.kd
    .uniform_work_group_size: 1
    .uses_dynamic_stack: false
    .vgpr_count:     67
    .vgpr_spill_count: 0
    .wavefront_size: 64
  - .agpr_count:     0
    .args:
      - .actual_access:  read_only
        .address_space:  global
        .offset:         0
        .size:           8
        .value_kind:     global_buffer
      - .actual_access:  read_only
        .address_space:  global
        .offset:         8
        .size:           8
        .value_kind:     global_buffer
      - .actual_access:  read_only
        .address_space:  global
        .offset:         16
        .size:           8
        .value_kind:     global_buffer
      - .offset:         24
        .size:           4
        .value_kind:     by_value
      - .offset:         28
        .size:           4
        .value_kind:     by_value
      - .actual_access:  read_only
        .address_space:  global
        .offset:         32
        .size:           8
        .value_kind:     global_buffer
      - .actual_access:  read_only
        .address_space:  global
        .offset:         40
        .size:           8
        .value_kind:     global_buffer
      - .actual_access:  read_only
        .address_space:  global
        .offset:         48
        .size:           8
        .value_kind:     global_buffer
      - .offset:         56
        .size:           4
        .value_kind:     by_value
      - .actual_access:  read_only
        .address_space:  global
        .offset:         64
        .size:           8
        .value_kind:     global_buffer
      - .offset:         72
        .size:           4
        .value_kind:     by_value
      - .offset:         76
        .size:           4
        .value_kind:     by_value
      - .offset:         80
        .size:           4
        .value_kind:     by_value
      - .actual_access:  write_only
        .address_space:  global
        .offset:         88
        .size:           8
        .value_kind:     global_buffer
      - .actual_access:  write_only
        .address_space:  global
        .offset:         96
        .size:           8
        .value_kind:     global_buffer
      - .actual_access:  write_only
        .address_space:  global
        .offset:         104
        .size:           8
        .value_kind:     global_buffer
      - .actual_access:  read_only
        .address_space:  global
        .offset:         112
        .size:           8
        .value_kind:     global_buffer
      - .offset:         120
        .size:           4
        .value_kind:     by_value
      - .address_space:  global
        .offset:         128
        .size:           8
        .value_kind:     global_buffer
      - .address_space:  global
        .offset:         136
        .size:           8
        .value_kind:     global_buffer
      - .offset:         144
        .size:           4
        .value_kind:     hidden_block_count_x
      - .offset:         148
        .size:           4
        .value_kind:     hidden_block_count_y
      - .offset:         152
        .size:           4
        .value_kind:     hidden_block_count_z
      - .offset:         156
        .size:           2
        .value_kind:     hidden_group_size_x
      - .offset:         158
        .size:           2
        .value_kind:     hidden_group_size_y
      - .offset:         160
        .size:           2
        .value_kind:     hidden_group_size_z
      - .offset:         162
        .size:           2
        .value_kind:     hidden_remainder_x
      - .offset:         164
        .size:           2
        .value_kind:     hidden_remainder_y
      - .offset:         166
        .size:           2
        .value_kind:     hidden_remainder_z
      - .offset:         184
        .size:           8
        .value_kind:     hidden_global_offset_x
      - .offset:         192
        .size:           8
        .value_kind:     hidden_global_offset_y
      - .offset:         200
        .size:           8
        .value_kind:     hidden_global_offset_z
      - .offset:         208
        .size:           2
        .value_kind:     hidden_grid_dims
    .group_segment_fixed_size: 8192
    .kernarg_segment_align: 8
    .kernarg_segment_size: 400
    .language:       OpenCL C
    .language_version:
      - 2
      - 0
    .max_flat_workgroup_size: 256
    .name:           _Z39paged_attention_ll4mi_QKV_mfma16_kernelIDF16_DF16_LN4vllm18Fp8KVCacheDataTypeE0EDF16_Li16ELi64ELi256ELb1ELi2EL8MFMAType0EEvPKT_PKT0_S8_ifPKiSA_SA_iPKfiiiPfSD_PS3_PT2_iSC_SC_
    .private_segment_fixed_size: 0
    .sgpr_count:     52
    .sgpr_spill_count: 0
    .symbol:         _Z39paged_attention_ll4mi_QKV_mfma16_kernelIDF16_DF16_LN4vllm18Fp8KVCacheDataTypeE0EDF16_Li16ELi64ELi256ELb1ELi2EL8MFMAType0EEvPKT_PKT0_S8_ifPKiSA_SA_iPKfiiiPfSD_PS3_PT2_iSC_SC_.kd
    .uniform_work_group_size: 1
    .uses_dynamic_stack: false
    .vgpr_count:     67
    .vgpr_spill_count: 0
    .wavefront_size: 64
  - .agpr_count:     0
    .args:
      - .actual_access:  read_only
        .address_space:  global
        .offset:         0
        .size:           8
        .value_kind:     global_buffer
      - .actual_access:  read_only
        .address_space:  global
        .offset:         8
        .size:           8
        .value_kind:     global_buffer
      - .actual_access:  read_only
        .address_space:  global
        .offset:         16
        .size:           8
        .value_kind:     global_buffer
      - .offset:         24
        .size:           4
        .value_kind:     by_value
      - .offset:         28
        .size:           4
        .value_kind:     by_value
      - .actual_access:  read_only
        .address_space:  global
        .offset:         32
        .size:           8
        .value_kind:     global_buffer
      - .actual_access:  read_only
        .address_space:  global
        .offset:         40
        .size:           8
        .value_kind:     global_buffer
      - .actual_access:  read_only
        .address_space:  global
        .offset:         48
        .size:           8
        .value_kind:     global_buffer
      - .offset:         56
        .size:           4
        .value_kind:     by_value
      - .actual_access:  read_only
        .address_space:  global
        .offset:         64
        .size:           8
        .value_kind:     global_buffer
      - .offset:         72
        .size:           4
        .value_kind:     by_value
      - .offset:         76
        .size:           4
        .value_kind:     by_value
      - .offset:         80
        .size:           4
        .value_kind:     by_value
      - .actual_access:  write_only
        .address_space:  global
        .offset:         88
        .size:           8
        .value_kind:     global_buffer
      - .actual_access:  write_only
        .address_space:  global
        .offset:         96
        .size:           8
        .value_kind:     global_buffer
      - .actual_access:  write_only
        .address_space:  global
        .offset:         104
        .size:           8
        .value_kind:     global_buffer
      - .actual_access:  read_only
        .address_space:  global
        .offset:         112
        .size:           8
        .value_kind:     global_buffer
      - .offset:         120
        .size:           4
        .value_kind:     by_value
      - .address_space:  global
        .offset:         128
        .size:           8
        .value_kind:     global_buffer
      - .address_space:  global
        .offset:         136
        .size:           8
        .value_kind:     global_buffer
      - .offset:         144
        .size:           4
        .value_kind:     hidden_block_count_x
      - .offset:         148
        .size:           4
        .value_kind:     hidden_block_count_y
      - .offset:         152
        .size:           4
        .value_kind:     hidden_block_count_z
      - .offset:         156
        .size:           2
        .value_kind:     hidden_group_size_x
      - .offset:         158
        .size:           2
        .value_kind:     hidden_group_size_y
      - .offset:         160
        .size:           2
        .value_kind:     hidden_group_size_z
      - .offset:         162
        .size:           2
        .value_kind:     hidden_remainder_x
      - .offset:         164
        .size:           2
        .value_kind:     hidden_remainder_y
      - .offset:         166
        .size:           2
        .value_kind:     hidden_remainder_z
      - .offset:         184
        .size:           8
        .value_kind:     hidden_global_offset_x
      - .offset:         192
        .size:           8
        .value_kind:     hidden_global_offset_y
      - .offset:         200
        .size:           8
        .value_kind:     hidden_global_offset_z
      - .offset:         208
        .size:           2
        .value_kind:     hidden_grid_dims
    .group_segment_fixed_size: 8192
    .kernarg_segment_align: 8
    .kernarg_segment_size: 400
    .language:       OpenCL C
    .language_version:
      - 2
      - 0
    .max_flat_workgroup_size: 256
    .name:           _Z39paged_attention_ll4mi_QKV_mfma16_kernelIDF16_DF16_LN4vllm18Fp8KVCacheDataTypeE0EDF16_Li16ELi64ELi256ELb1ELi3EL8MFMAType0EEvPKT_PKT0_S8_ifPKiSA_SA_iPKfiiiPfSD_PS3_PT2_iSC_SC_
    .private_segment_fixed_size: 0
    .sgpr_count:     52
    .sgpr_spill_count: 0
    .symbol:         _Z39paged_attention_ll4mi_QKV_mfma16_kernelIDF16_DF16_LN4vllm18Fp8KVCacheDataTypeE0EDF16_Li16ELi64ELi256ELb1ELi3EL8MFMAType0EEvPKT_PKT0_S8_ifPKiSA_SA_iPKfiiiPfSD_PS3_PT2_iSC_SC_.kd
    .uniform_work_group_size: 1
    .uses_dynamic_stack: false
    .vgpr_count:     68
    .vgpr_spill_count: 0
    .wavefront_size: 64
  - .agpr_count:     0
    .args:
      - .actual_access:  read_only
        .address_space:  global
        .offset:         0
        .size:           8
        .value_kind:     global_buffer
      - .actual_access:  read_only
        .address_space:  global
        .offset:         8
        .size:           8
        .value_kind:     global_buffer
      - .actual_access:  read_only
        .address_space:  global
        .offset:         16
        .size:           8
        .value_kind:     global_buffer
      - .offset:         24
        .size:           4
        .value_kind:     by_value
      - .offset:         28
        .size:           4
        .value_kind:     by_value
      - .actual_access:  read_only
        .address_space:  global
        .offset:         32
        .size:           8
        .value_kind:     global_buffer
      - .actual_access:  read_only
        .address_space:  global
        .offset:         40
        .size:           8
        .value_kind:     global_buffer
      - .actual_access:  read_only
        .address_space:  global
        .offset:         48
        .size:           8
        .value_kind:     global_buffer
      - .offset:         56
        .size:           4
        .value_kind:     by_value
      - .actual_access:  read_only
        .address_space:  global
        .offset:         64
        .size:           8
        .value_kind:     global_buffer
      - .offset:         72
        .size:           4
        .value_kind:     by_value
      - .offset:         76
        .size:           4
        .value_kind:     by_value
      - .offset:         80
        .size:           4
        .value_kind:     by_value
      - .actual_access:  write_only
        .address_space:  global
        .offset:         88
        .size:           8
        .value_kind:     global_buffer
      - .actual_access:  write_only
        .address_space:  global
        .offset:         96
        .size:           8
        .value_kind:     global_buffer
      - .actual_access:  write_only
        .address_space:  global
        .offset:         104
        .size:           8
        .value_kind:     global_buffer
      - .actual_access:  read_only
        .address_space:  global
        .offset:         112
        .size:           8
        .value_kind:     global_buffer
      - .offset:         120
        .size:           4
        .value_kind:     by_value
      - .address_space:  global
        .offset:         128
        .size:           8
        .value_kind:     global_buffer
      - .address_space:  global
        .offset:         136
        .size:           8
        .value_kind:     global_buffer
      - .offset:         144
        .size:           4
        .value_kind:     hidden_block_count_x
      - .offset:         148
        .size:           4
        .value_kind:     hidden_block_count_y
      - .offset:         152
        .size:           4
        .value_kind:     hidden_block_count_z
      - .offset:         156
        .size:           2
        .value_kind:     hidden_group_size_x
      - .offset:         158
        .size:           2
        .value_kind:     hidden_group_size_y
      - .offset:         160
        .size:           2
        .value_kind:     hidden_group_size_z
      - .offset:         162
        .size:           2
        .value_kind:     hidden_remainder_x
      - .offset:         164
        .size:           2
        .value_kind:     hidden_remainder_y
      - .offset:         166
        .size:           2
        .value_kind:     hidden_remainder_z
      - .offset:         184
        .size:           8
        .value_kind:     hidden_global_offset_x
      - .offset:         192
        .size:           8
        .value_kind:     hidden_global_offset_y
      - .offset:         200
        .size:           8
        .value_kind:     hidden_global_offset_z
      - .offset:         208
        .size:           2
        .value_kind:     hidden_grid_dims
    .group_segment_fixed_size: 8192
    .kernarg_segment_align: 8
    .kernarg_segment_size: 400
    .language:       OpenCL C
    .language_version:
      - 2
      - 0
    .max_flat_workgroup_size: 256
    .name:           _Z39paged_attention_ll4mi_QKV_mfma16_kernelIDF16_DF16_LN4vllm18Fp8KVCacheDataTypeE0EDF16_Li16ELi64ELi256ELb1ELi4EL8MFMAType0EEvPKT_PKT0_S8_ifPKiSA_SA_iPKfiiiPfSD_PS3_PT2_iSC_SC_
    .private_segment_fixed_size: 0
    .sgpr_count:     50
    .sgpr_spill_count: 0
    .symbol:         _Z39paged_attention_ll4mi_QKV_mfma16_kernelIDF16_DF16_LN4vllm18Fp8KVCacheDataTypeE0EDF16_Li16ELi64ELi256ELb1ELi4EL8MFMAType0EEvPKT_PKT0_S8_ifPKiSA_SA_iPKfiiiPfSD_PS3_PT2_iSC_SC_.kd
    .uniform_work_group_size: 1
    .uses_dynamic_stack: false
    .vgpr_count:     68
    .vgpr_spill_count: 0
    .wavefront_size: 64
  - .agpr_count:     0
    .args:
      - .actual_access:  write_only
        .address_space:  global
        .offset:         0
        .size:           8
        .value_kind:     global_buffer
      - .actual_access:  read_only
        .address_space:  global
        .offset:         8
        .size:           8
        .value_kind:     global_buffer
      - .actual_access:  read_only
        .address_space:  global
        .offset:         16
        .size:           8
        .value_kind:     global_buffer
      - .actual_access:  read_only
        .address_space:  global
        .offset:         24
        .size:           8
        .value_kind:     global_buffer
      - .actual_access:  read_only
        .address_space:  global
        .offset:         32
        .size:           8
        .value_kind:     global_buffer
      - .actual_access:  read_only
        .address_space:  global
        .offset:         40
        .size:           8
        .value_kind:     global_buffer
      - .offset:         48
        .size:           4
        .value_kind:     by_value
      - .actual_access:  read_only
        .address_space:  global
        .offset:         56
        .size:           8
        .value_kind:     global_buffer
      - .offset:         64
        .size:           4
        .value_kind:     hidden_block_count_x
      - .offset:         68
        .size:           4
        .value_kind:     hidden_block_count_y
      - .offset:         72
        .size:           4
        .value_kind:     hidden_block_count_z
      - .offset:         76
        .size:           2
        .value_kind:     hidden_group_size_x
      - .offset:         78
        .size:           2
        .value_kind:     hidden_group_size_y
      - .offset:         80
        .size:           2
        .value_kind:     hidden_group_size_z
      - .offset:         82
        .size:           2
        .value_kind:     hidden_remainder_x
      - .offset:         84
        .size:           2
        .value_kind:     hidden_remainder_y
      - .offset:         86
        .size:           2
        .value_kind:     hidden_remainder_z
      - .offset:         104
        .size:           8
        .value_kind:     hidden_global_offset_x
      - .offset:         112
        .size:           8
        .value_kind:     hidden_global_offset_y
      - .offset:         120
        .size:           8
        .value_kind:     hidden_global_offset_z
      - .offset:         128
        .size:           2
        .value_kind:     hidden_grid_dims
    .group_segment_fixed_size: 2308
    .kernarg_segment_align: 8
    .kernarg_segment_size: 320
    .language:       OpenCL C
    .language_version:
      - 2
      - 0
    .max_flat_workgroup_size: 64
    .name:           _Z35paged_attention_ll4mi_reduce_kernelIDF16_DF16_Li64ELi64ELi256ELi9EEvPT0_PKfS3_PKT_PKiS8_iS3_
    .private_segment_fixed_size: 0
    .sgpr_count:     51
    .sgpr_spill_count: 0
    .symbol:         _Z35paged_attention_ll4mi_reduce_kernelIDF16_DF16_Li64ELi64ELi256ELi9EEvPT0_PKfS3_PKT_PKiS8_iS3_.kd
    .uniform_work_group_size: 1
    .uses_dynamic_stack: false
    .vgpr_count:     92
    .vgpr_spill_count: 0
    .wavefront_size: 64
  - .agpr_count:     0
    .args:
      - .actual_access:  write_only
        .address_space:  global
        .offset:         0
        .size:           8
        .value_kind:     global_buffer
      - .actual_access:  read_only
        .address_space:  global
        .offset:         8
        .size:           8
        .value_kind:     global_buffer
      - .actual_access:  read_only
        .address_space:  global
        .offset:         16
        .size:           8
        .value_kind:     global_buffer
      - .actual_access:  read_only
        .address_space:  global
        .offset:         24
        .size:           8
        .value_kind:     global_buffer
      - .actual_access:  read_only
        .address_space:  global
        .offset:         32
        .size:           8
        .value_kind:     global_buffer
      - .actual_access:  read_only
        .address_space:  global
        .offset:         40
        .size:           8
        .value_kind:     global_buffer
      - .offset:         48
        .size:           4
        .value_kind:     by_value
      - .actual_access:  read_only
        .address_space:  global
        .offset:         56
        .size:           8
        .value_kind:     global_buffer
      - .offset:         64
        .size:           4
        .value_kind:     hidden_block_count_x
      - .offset:         68
        .size:           4
        .value_kind:     hidden_block_count_y
      - .offset:         72
        .size:           4
        .value_kind:     hidden_block_count_z
      - .offset:         76
        .size:           2
        .value_kind:     hidden_group_size_x
      - .offset:         78
        .size:           2
        .value_kind:     hidden_group_size_y
      - .offset:         80
        .size:           2
        .value_kind:     hidden_group_size_z
      - .offset:         82
        .size:           2
        .value_kind:     hidden_remainder_x
      - .offset:         84
        .size:           2
        .value_kind:     hidden_remainder_y
      - .offset:         86
        .size:           2
        .value_kind:     hidden_remainder_z
      - .offset:         104
        .size:           8
        .value_kind:     hidden_global_offset_x
      - .offset:         112
        .size:           8
        .value_kind:     hidden_global_offset_y
      - .offset:         120
        .size:           8
        .value_kind:     hidden_global_offset_z
      - .offset:         128
        .size:           2
        .value_kind:     hidden_grid_dims
    .group_segment_fixed_size: 2564
    .kernarg_segment_align: 8
    .kernarg_segment_size: 320
    .language:       OpenCL C
    .language_version:
      - 2
      - 0
    .max_flat_workgroup_size: 64
    .name:           _Z35paged_attention_ll4mi_reduce_kernelIDF16_DF16_Li64ELi64ELi256ELi10EEvPT0_PKfS3_PKT_PKiS8_iS3_
    .private_segment_fixed_size: 0
    .sgpr_count:     53
    .sgpr_spill_count: 0
    .symbol:         _Z35paged_attention_ll4mi_reduce_kernelIDF16_DF16_Li64ELi64ELi256ELi10EEvPT0_PKfS3_PKT_PKiS8_iS3_.kd
    .uniform_work_group_size: 1
    .uses_dynamic_stack: false
    .vgpr_count:     92
    .vgpr_spill_count: 0
    .wavefront_size: 64
  - .agpr_count:     0
    .args:
      - .actual_access:  write_only
        .address_space:  global
        .offset:         0
        .size:           8
        .value_kind:     global_buffer
      - .actual_access:  read_only
        .address_space:  global
        .offset:         8
        .size:           8
        .value_kind:     global_buffer
      - .actual_access:  read_only
        .address_space:  global
        .offset:         16
        .size:           8
        .value_kind:     global_buffer
      - .actual_access:  read_only
        .address_space:  global
        .offset:         24
        .size:           8
        .value_kind:     global_buffer
      - .actual_access:  read_only
        .address_space:  global
        .offset:         32
        .size:           8
        .value_kind:     global_buffer
      - .actual_access:  read_only
        .address_space:  global
        .offset:         40
        .size:           8
        .value_kind:     global_buffer
      - .offset:         48
        .size:           4
        .value_kind:     by_value
      - .actual_access:  read_only
        .address_space:  global
        .offset:         56
        .size:           8
        .value_kind:     global_buffer
      - .offset:         64
        .size:           4
        .value_kind:     hidden_block_count_x
      - .offset:         68
        .size:           4
        .value_kind:     hidden_block_count_y
      - .offset:         72
        .size:           4
        .value_kind:     hidden_block_count_z
      - .offset:         76
        .size:           2
        .value_kind:     hidden_group_size_x
      - .offset:         78
        .size:           2
        .value_kind:     hidden_group_size_y
      - .offset:         80
        .size:           2
        .value_kind:     hidden_group_size_z
      - .offset:         82
        .size:           2
        .value_kind:     hidden_remainder_x
      - .offset:         84
        .size:           2
        .value_kind:     hidden_remainder_y
      - .offset:         86
        .size:           2
        .value_kind:     hidden_remainder_z
      - .offset:         104
        .size:           8
        .value_kind:     hidden_global_offset_x
      - .offset:         112
        .size:           8
        .value_kind:     hidden_global_offset_y
      - .offset:         120
        .size:           8
        .value_kind:     hidden_global_offset_z
      - .offset:         128
        .size:           2
        .value_kind:     hidden_grid_dims
    .group_segment_fixed_size: 2820
    .kernarg_segment_align: 8
    .kernarg_segment_size: 320
    .language:       OpenCL C
    .language_version:
      - 2
      - 0
    .max_flat_workgroup_size: 64
    .name:           _Z35paged_attention_ll4mi_reduce_kernelIDF16_DF16_Li64ELi64ELi256ELi11EEvPT0_PKfS3_PKT_PKiS8_iS3_
    .private_segment_fixed_size: 0
    .sgpr_count:     55
    .sgpr_spill_count: 0
    .symbol:         _Z35paged_attention_ll4mi_reduce_kernelIDF16_DF16_Li64ELi64ELi256ELi11EEvPT0_PKfS3_PKT_PKiS8_iS3_.kd
    .uniform_work_group_size: 1
    .uses_dynamic_stack: false
    .vgpr_count:     92
    .vgpr_spill_count: 0
    .wavefront_size: 64
  - .agpr_count:     0
    .args:
      - .actual_access:  write_only
        .address_space:  global
        .offset:         0
        .size:           8
        .value_kind:     global_buffer
      - .actual_access:  read_only
        .address_space:  global
        .offset:         8
        .size:           8
        .value_kind:     global_buffer
      - .actual_access:  read_only
        .address_space:  global
        .offset:         16
        .size:           8
        .value_kind:     global_buffer
      - .actual_access:  read_only
        .address_space:  global
        .offset:         24
        .size:           8
        .value_kind:     global_buffer
      - .actual_access:  read_only
        .address_space:  global
        .offset:         32
        .size:           8
        .value_kind:     global_buffer
      - .actual_access:  read_only
        .address_space:  global
        .offset:         40
        .size:           8
        .value_kind:     global_buffer
      - .offset:         48
        .size:           4
        .value_kind:     by_value
      - .actual_access:  read_only
        .address_space:  global
        .offset:         56
        .size:           8
        .value_kind:     global_buffer
      - .offset:         64
        .size:           4
        .value_kind:     hidden_block_count_x
      - .offset:         68
        .size:           4
        .value_kind:     hidden_block_count_y
      - .offset:         72
        .size:           4
        .value_kind:     hidden_block_count_z
      - .offset:         76
        .size:           2
        .value_kind:     hidden_group_size_x
      - .offset:         78
        .size:           2
        .value_kind:     hidden_group_size_y
      - .offset:         80
        .size:           2
        .value_kind:     hidden_group_size_z
      - .offset:         82
        .size:           2
        .value_kind:     hidden_remainder_x
      - .offset:         84
        .size:           2
        .value_kind:     hidden_remainder_y
      - .offset:         86
        .size:           2
        .value_kind:     hidden_remainder_z
      - .offset:         104
        .size:           8
        .value_kind:     hidden_global_offset_x
      - .offset:         112
        .size:           8
        .value_kind:     hidden_global_offset_y
      - .offset:         120
        .size:           8
        .value_kind:     hidden_global_offset_z
      - .offset:         128
        .size:           2
        .value_kind:     hidden_grid_dims
    .group_segment_fixed_size: 3076
    .kernarg_segment_align: 8
    .kernarg_segment_size: 320
    .language:       OpenCL C
    .language_version:
      - 2
      - 0
    .max_flat_workgroup_size: 64
    .name:           _Z35paged_attention_ll4mi_reduce_kernelIDF16_DF16_Li64ELi64ELi256ELi12EEvPT0_PKfS3_PKT_PKiS8_iS3_
    .private_segment_fixed_size: 0
    .sgpr_count:     57
    .sgpr_spill_count: 0
    .symbol:         _Z35paged_attention_ll4mi_reduce_kernelIDF16_DF16_Li64ELi64ELi256ELi12EEvPT0_PKfS3_PKT_PKiS8_iS3_.kd
    .uniform_work_group_size: 1
    .uses_dynamic_stack: false
    .vgpr_count:     92
    .vgpr_spill_count: 0
    .wavefront_size: 64
  - .agpr_count:     0
    .args:
      - .actual_access:  write_only
        .address_space:  global
        .offset:         0
        .size:           8
        .value_kind:     global_buffer
      - .actual_access:  read_only
        .address_space:  global
        .offset:         8
        .size:           8
        .value_kind:     global_buffer
      - .actual_access:  read_only
        .address_space:  global
        .offset:         16
        .size:           8
        .value_kind:     global_buffer
      - .actual_access:  read_only
        .address_space:  global
        .offset:         24
        .size:           8
        .value_kind:     global_buffer
      - .actual_access:  read_only
        .address_space:  global
        .offset:         32
        .size:           8
        .value_kind:     global_buffer
      - .actual_access:  read_only
        .address_space:  global
        .offset:         40
        .size:           8
        .value_kind:     global_buffer
      - .offset:         48
        .size:           4
        .value_kind:     by_value
      - .actual_access:  read_only
        .address_space:  global
        .offset:         56
        .size:           8
        .value_kind:     global_buffer
      - .offset:         64
        .size:           4
        .value_kind:     hidden_block_count_x
      - .offset:         68
        .size:           4
        .value_kind:     hidden_block_count_y
      - .offset:         72
        .size:           4
        .value_kind:     hidden_block_count_z
      - .offset:         76
        .size:           2
        .value_kind:     hidden_group_size_x
      - .offset:         78
        .size:           2
        .value_kind:     hidden_group_size_y
      - .offset:         80
        .size:           2
        .value_kind:     hidden_group_size_z
      - .offset:         82
        .size:           2
        .value_kind:     hidden_remainder_x
      - .offset:         84
        .size:           2
        .value_kind:     hidden_remainder_y
      - .offset:         86
        .size:           2
        .value_kind:     hidden_remainder_z
      - .offset:         104
        .size:           8
        .value_kind:     hidden_global_offset_x
      - .offset:         112
        .size:           8
        .value_kind:     hidden_global_offset_y
      - .offset:         120
        .size:           8
        .value_kind:     hidden_global_offset_z
      - .offset:         128
        .size:           2
        .value_kind:     hidden_grid_dims
    .group_segment_fixed_size: 3332
    .kernarg_segment_align: 8
    .kernarg_segment_size: 320
    .language:       OpenCL C
    .language_version:
      - 2
      - 0
    .max_flat_workgroup_size: 64
    .name:           _Z35paged_attention_ll4mi_reduce_kernelIDF16_DF16_Li64ELi64ELi256ELi13EEvPT0_PKfS3_PKT_PKiS8_iS3_
    .private_segment_fixed_size: 0
    .sgpr_count:     59
    .sgpr_spill_count: 0
    .symbol:         _Z35paged_attention_ll4mi_reduce_kernelIDF16_DF16_Li64ELi64ELi256ELi13EEvPT0_PKfS3_PKT_PKiS8_iS3_.kd
    .uniform_work_group_size: 1
    .uses_dynamic_stack: false
    .vgpr_count:     92
    .vgpr_spill_count: 0
    .wavefront_size: 64
  - .agpr_count:     0
    .args:
      - .actual_access:  write_only
        .address_space:  global
        .offset:         0
        .size:           8
        .value_kind:     global_buffer
      - .actual_access:  read_only
        .address_space:  global
        .offset:         8
        .size:           8
        .value_kind:     global_buffer
      - .actual_access:  read_only
        .address_space:  global
        .offset:         16
        .size:           8
        .value_kind:     global_buffer
      - .actual_access:  read_only
        .address_space:  global
        .offset:         24
        .size:           8
        .value_kind:     global_buffer
      - .actual_access:  read_only
        .address_space:  global
        .offset:         32
        .size:           8
        .value_kind:     global_buffer
      - .actual_access:  read_only
        .address_space:  global
        .offset:         40
        .size:           8
        .value_kind:     global_buffer
      - .offset:         48
        .size:           4
        .value_kind:     by_value
      - .actual_access:  read_only
        .address_space:  global
        .offset:         56
        .size:           8
        .value_kind:     global_buffer
      - .offset:         64
        .size:           4
        .value_kind:     hidden_block_count_x
      - .offset:         68
        .size:           4
        .value_kind:     hidden_block_count_y
      - .offset:         72
        .size:           4
        .value_kind:     hidden_block_count_z
      - .offset:         76
        .size:           2
        .value_kind:     hidden_group_size_x
      - .offset:         78
        .size:           2
        .value_kind:     hidden_group_size_y
      - .offset:         80
        .size:           2
        .value_kind:     hidden_group_size_z
      - .offset:         82
        .size:           2
        .value_kind:     hidden_remainder_x
      - .offset:         84
        .size:           2
        .value_kind:     hidden_remainder_y
      - .offset:         86
        .size:           2
        .value_kind:     hidden_remainder_z
      - .offset:         104
        .size:           8
        .value_kind:     hidden_global_offset_x
      - .offset:         112
        .size:           8
        .value_kind:     hidden_global_offset_y
      - .offset:         120
        .size:           8
        .value_kind:     hidden_global_offset_z
      - .offset:         128
        .size:           2
        .value_kind:     hidden_grid_dims
    .group_segment_fixed_size: 3588
    .kernarg_segment_align: 8
    .kernarg_segment_size: 320
    .language:       OpenCL C
    .language_version:
      - 2
      - 0
    .max_flat_workgroup_size: 64
    .name:           _Z35paged_attention_ll4mi_reduce_kernelIDF16_DF16_Li64ELi64ELi256ELi14EEvPT0_PKfS3_PKT_PKiS8_iS3_
    .private_segment_fixed_size: 0
    .sgpr_count:     61
    .sgpr_spill_count: 0
    .symbol:         _Z35paged_attention_ll4mi_reduce_kernelIDF16_DF16_Li64ELi64ELi256ELi14EEvPT0_PKfS3_PKT_PKiS8_iS3_.kd
    .uniform_work_group_size: 1
    .uses_dynamic_stack: false
    .vgpr_count:     92
    .vgpr_spill_count: 0
    .wavefront_size: 64
  - .agpr_count:     0
    .args:
      - .actual_access:  write_only
        .address_space:  global
        .offset:         0
        .size:           8
        .value_kind:     global_buffer
      - .actual_access:  read_only
        .address_space:  global
        .offset:         8
        .size:           8
        .value_kind:     global_buffer
      - .actual_access:  read_only
        .address_space:  global
        .offset:         16
        .size:           8
        .value_kind:     global_buffer
      - .actual_access:  read_only
        .address_space:  global
        .offset:         24
        .size:           8
        .value_kind:     global_buffer
      - .actual_access:  read_only
        .address_space:  global
        .offset:         32
        .size:           8
        .value_kind:     global_buffer
      - .actual_access:  read_only
        .address_space:  global
        .offset:         40
        .size:           8
        .value_kind:     global_buffer
      - .offset:         48
        .size:           4
        .value_kind:     by_value
      - .actual_access:  read_only
        .address_space:  global
        .offset:         56
        .size:           8
        .value_kind:     global_buffer
      - .offset:         64
        .size:           4
        .value_kind:     hidden_block_count_x
      - .offset:         68
        .size:           4
        .value_kind:     hidden_block_count_y
      - .offset:         72
        .size:           4
        .value_kind:     hidden_block_count_z
      - .offset:         76
        .size:           2
        .value_kind:     hidden_group_size_x
      - .offset:         78
        .size:           2
        .value_kind:     hidden_group_size_y
      - .offset:         80
        .size:           2
        .value_kind:     hidden_group_size_z
      - .offset:         82
        .size:           2
        .value_kind:     hidden_remainder_x
      - .offset:         84
        .size:           2
        .value_kind:     hidden_remainder_y
      - .offset:         86
        .size:           2
        .value_kind:     hidden_remainder_z
      - .offset:         104
        .size:           8
        .value_kind:     hidden_global_offset_x
      - .offset:         112
        .size:           8
        .value_kind:     hidden_global_offset_y
      - .offset:         120
        .size:           8
        .value_kind:     hidden_global_offset_z
      - .offset:         128
        .size:           2
        .value_kind:     hidden_grid_dims
    .group_segment_fixed_size: 3844
    .kernarg_segment_align: 8
    .kernarg_segment_size: 320
    .language:       OpenCL C
    .language_version:
      - 2
      - 0
    .max_flat_workgroup_size: 64
    .name:           _Z35paged_attention_ll4mi_reduce_kernelIDF16_DF16_Li64ELi64ELi256ELi15EEvPT0_PKfS3_PKT_PKiS8_iS3_
    .private_segment_fixed_size: 0
    .sgpr_count:     63
    .sgpr_spill_count: 0
    .symbol:         _Z35paged_attention_ll4mi_reduce_kernelIDF16_DF16_Li64ELi64ELi256ELi15EEvPT0_PKfS3_PKT_PKiS8_iS3_.kd
    .uniform_work_group_size: 1
    .uses_dynamic_stack: false
    .vgpr_count:     92
    .vgpr_spill_count: 0
    .wavefront_size: 64
  - .agpr_count:     0
    .args:
      - .actual_access:  write_only
        .address_space:  global
        .offset:         0
        .size:           8
        .value_kind:     global_buffer
      - .actual_access:  read_only
        .address_space:  global
        .offset:         8
        .size:           8
        .value_kind:     global_buffer
      - .actual_access:  read_only
        .address_space:  global
        .offset:         16
        .size:           8
        .value_kind:     global_buffer
      - .actual_access:  read_only
        .address_space:  global
        .offset:         24
        .size:           8
        .value_kind:     global_buffer
      - .actual_access:  read_only
        .address_space:  global
        .offset:         32
        .size:           8
        .value_kind:     global_buffer
      - .actual_access:  read_only
        .address_space:  global
        .offset:         40
        .size:           8
        .value_kind:     global_buffer
      - .offset:         48
        .size:           4
        .value_kind:     by_value
      - .actual_access:  read_only
        .address_space:  global
        .offset:         56
        .size:           8
        .value_kind:     global_buffer
      - .offset:         64
        .size:           4
        .value_kind:     hidden_block_count_x
      - .offset:         68
        .size:           4
        .value_kind:     hidden_block_count_y
      - .offset:         72
        .size:           4
        .value_kind:     hidden_block_count_z
      - .offset:         76
        .size:           2
        .value_kind:     hidden_group_size_x
      - .offset:         78
        .size:           2
        .value_kind:     hidden_group_size_y
      - .offset:         80
        .size:           2
        .value_kind:     hidden_group_size_z
      - .offset:         82
        .size:           2
        .value_kind:     hidden_remainder_x
      - .offset:         84
        .size:           2
        .value_kind:     hidden_remainder_y
      - .offset:         86
        .size:           2
        .value_kind:     hidden_remainder_z
      - .offset:         104
        .size:           8
        .value_kind:     hidden_global_offset_x
      - .offset:         112
        .size:           8
        .value_kind:     hidden_global_offset_y
      - .offset:         120
        .size:           8
        .value_kind:     hidden_global_offset_z
      - .offset:         128
        .size:           2
        .value_kind:     hidden_grid_dims
    .group_segment_fixed_size: 4100
    .kernarg_segment_align: 8
    .kernarg_segment_size: 320
    .language:       OpenCL C
    .language_version:
      - 2
      - 0
    .max_flat_workgroup_size: 64
    .name:           _Z35paged_attention_ll4mi_reduce_kernelIDF16_DF16_Li64ELi64ELi256ELi16EEvPT0_PKfS3_PKT_PKiS8_iS3_
    .private_segment_fixed_size: 0
    .sgpr_count:     65
    .sgpr_spill_count: 0
    .symbol:         _Z35paged_attention_ll4mi_reduce_kernelIDF16_DF16_Li64ELi64ELi256ELi16EEvPT0_PKfS3_PKT_PKiS8_iS3_.kd
    .uniform_work_group_size: 1
    .uses_dynamic_stack: false
    .vgpr_count:     92
    .vgpr_spill_count: 0
    .wavefront_size: 64
  - .agpr_count:     4
    .args:
      - .actual_access:  read_only
        .address_space:  global
        .offset:         0
        .size:           8
        .value_kind:     global_buffer
      - .actual_access:  read_only
        .address_space:  global
        .offset:         8
        .size:           8
        .value_kind:     global_buffer
      - .actual_access:  read_only
        .address_space:  global
        .offset:         16
        .size:           8
        .value_kind:     global_buffer
      - .offset:         24
        .size:           4
        .value_kind:     by_value
      - .offset:         28
        .size:           4
        .value_kind:     by_value
      - .actual_access:  read_only
        .address_space:  global
        .offset:         32
        .size:           8
        .value_kind:     global_buffer
      - .actual_access:  read_only
        .address_space:  global
        .offset:         40
        .size:           8
        .value_kind:     global_buffer
      - .actual_access:  read_only
        .address_space:  global
        .offset:         48
        .size:           8
        .value_kind:     global_buffer
      - .offset:         56
        .size:           4
        .value_kind:     by_value
      - .actual_access:  read_only
        .address_space:  global
        .offset:         64
        .size:           8
        .value_kind:     global_buffer
      - .offset:         72
        .size:           4
        .value_kind:     by_value
      - .offset:         76
        .size:           4
        .value_kind:     by_value
      - .offset:         80
        .size:           4
        .value_kind:     by_value
      - .actual_access:  write_only
        .address_space:  global
        .offset:         88
        .size:           8
        .value_kind:     global_buffer
      - .actual_access:  write_only
        .address_space:  global
        .offset:         96
        .size:           8
        .value_kind:     global_buffer
      - .actual_access:  write_only
        .address_space:  global
        .offset:         104
        .size:           8
        .value_kind:     global_buffer
      - .actual_access:  read_only
        .address_space:  global
        .offset:         112
        .size:           8
        .value_kind:     global_buffer
      - .offset:         120
        .size:           4
        .value_kind:     by_value
      - .address_space:  global
        .offset:         128
        .size:           8
        .value_kind:     global_buffer
      - .address_space:  global
        .offset:         136
        .size:           8
        .value_kind:     global_buffer
      - .offset:         144
        .size:           4
        .value_kind:     hidden_block_count_x
      - .offset:         148
        .size:           4
        .value_kind:     hidden_block_count_y
      - .offset:         152
        .size:           4
        .value_kind:     hidden_block_count_z
      - .offset:         156
        .size:           2
        .value_kind:     hidden_group_size_x
      - .offset:         158
        .size:           2
        .value_kind:     hidden_group_size_y
      - .offset:         160
        .size:           2
        .value_kind:     hidden_group_size_z
      - .offset:         162
        .size:           2
        .value_kind:     hidden_remainder_x
      - .offset:         164
        .size:           2
        .value_kind:     hidden_remainder_y
      - .offset:         166
        .size:           2
        .value_kind:     hidden_remainder_z
      - .offset:         184
        .size:           8
        .value_kind:     hidden_global_offset_x
      - .offset:         192
        .size:           8
        .value_kind:     hidden_global_offset_y
      - .offset:         200
        .size:           8
        .value_kind:     hidden_global_offset_z
      - .offset:         208
        .size:           2
        .value_kind:     hidden_grid_dims
    .group_segment_fixed_size: 2720
    .kernarg_segment_align: 8
    .kernarg_segment_size: 400
    .language:       OpenCL C
    .language_version:
      - 2
      - 0
    .max_flat_workgroup_size: 256
    .name:           _Z38paged_attention_ll4mi_QKV_mfma4_kernelIDF16_DF16_LN4vllm18Fp8KVCacheDataTypeE0EDF16_Li16ELi64ELi256ELb0ELi1EEvPKT_PKT0_S7_ifPKiS9_S9_iPKfiiiPfSC_PS2_PT2_iSB_SB_
    .private_segment_fixed_size: 0
    .sgpr_count:     42
    .sgpr_spill_count: 0
    .symbol:         _Z38paged_attention_ll4mi_QKV_mfma4_kernelIDF16_DF16_LN4vllm18Fp8KVCacheDataTypeE0EDF16_Li16ELi64ELi256ELb0ELi1EEvPKT_PKT0_S7_ifPKiS9_S9_iPKfiiiPfSC_PS2_PT2_iSB_SB_.kd
    .uniform_work_group_size: 1
    .uses_dynamic_stack: false
    .vgpr_count:     64
    .vgpr_spill_count: 0
    .wavefront_size: 64
  - .agpr_count:     4
    .args:
      - .actual_access:  read_only
        .address_space:  global
        .offset:         0
        .size:           8
        .value_kind:     global_buffer
      - .actual_access:  read_only
        .address_space:  global
        .offset:         8
        .size:           8
        .value_kind:     global_buffer
      - .actual_access:  read_only
        .address_space:  global
        .offset:         16
        .size:           8
        .value_kind:     global_buffer
      - .offset:         24
        .size:           4
        .value_kind:     by_value
      - .offset:         28
        .size:           4
        .value_kind:     by_value
      - .actual_access:  read_only
        .address_space:  global
        .offset:         32
        .size:           8
        .value_kind:     global_buffer
      - .actual_access:  read_only
        .address_space:  global
        .offset:         40
        .size:           8
        .value_kind:     global_buffer
      - .actual_access:  read_only
        .address_space:  global
        .offset:         48
        .size:           8
        .value_kind:     global_buffer
      - .offset:         56
        .size:           4
        .value_kind:     by_value
      - .actual_access:  read_only
        .address_space:  global
        .offset:         64
        .size:           8
        .value_kind:     global_buffer
      - .offset:         72
        .size:           4
        .value_kind:     by_value
      - .offset:         76
        .size:           4
        .value_kind:     by_value
      - .offset:         80
        .size:           4
        .value_kind:     by_value
      - .actual_access:  write_only
        .address_space:  global
        .offset:         88
        .size:           8
        .value_kind:     global_buffer
      - .actual_access:  write_only
        .address_space:  global
        .offset:         96
        .size:           8
        .value_kind:     global_buffer
      - .actual_access:  write_only
        .address_space:  global
        .offset:         104
        .size:           8
        .value_kind:     global_buffer
      - .actual_access:  read_only
        .address_space:  global
        .offset:         112
        .size:           8
        .value_kind:     global_buffer
      - .offset:         120
        .size:           4
        .value_kind:     by_value
      - .address_space:  global
        .offset:         128
        .size:           8
        .value_kind:     global_buffer
      - .address_space:  global
        .offset:         136
        .size:           8
        .value_kind:     global_buffer
      - .offset:         144
        .size:           4
        .value_kind:     hidden_block_count_x
      - .offset:         148
        .size:           4
        .value_kind:     hidden_block_count_y
      - .offset:         152
        .size:           4
        .value_kind:     hidden_block_count_z
      - .offset:         156
        .size:           2
        .value_kind:     hidden_group_size_x
      - .offset:         158
        .size:           2
        .value_kind:     hidden_group_size_y
      - .offset:         160
        .size:           2
        .value_kind:     hidden_group_size_z
      - .offset:         162
        .size:           2
        .value_kind:     hidden_remainder_x
      - .offset:         164
        .size:           2
        .value_kind:     hidden_remainder_y
      - .offset:         166
        .size:           2
        .value_kind:     hidden_remainder_z
      - .offset:         184
        .size:           8
        .value_kind:     hidden_global_offset_x
      - .offset:         192
        .size:           8
        .value_kind:     hidden_global_offset_y
      - .offset:         200
        .size:           8
        .value_kind:     hidden_global_offset_z
      - .offset:         208
        .size:           2
        .value_kind:     hidden_grid_dims
    .group_segment_fixed_size: 2720
    .kernarg_segment_align: 8
    .kernarg_segment_size: 400
    .language:       OpenCL C
    .language_version:
      - 2
      - 0
    .max_flat_workgroup_size: 256
    .name:           _Z38paged_attention_ll4mi_QKV_mfma4_kernelIDF16_DF16_LN4vllm18Fp8KVCacheDataTypeE0EDF16_Li16ELi64ELi256ELb0ELi2EEvPKT_PKT0_S7_ifPKiS9_S9_iPKfiiiPfSC_PS2_PT2_iSB_SB_
    .private_segment_fixed_size: 0
    .sgpr_count:     42
    .sgpr_spill_count: 0
    .symbol:         _Z38paged_attention_ll4mi_QKV_mfma4_kernelIDF16_DF16_LN4vllm18Fp8KVCacheDataTypeE0EDF16_Li16ELi64ELi256ELb0ELi2EEvPKT_PKT0_S7_ifPKiS9_S9_iPKfiiiPfSC_PS2_PT2_iSB_SB_.kd
    .uniform_work_group_size: 1
    .uses_dynamic_stack: false
    .vgpr_count:     64
    .vgpr_spill_count: 0
    .wavefront_size: 64
  - .agpr_count:     4
    .args:
      - .actual_access:  read_only
        .address_space:  global
        .offset:         0
        .size:           8
        .value_kind:     global_buffer
      - .actual_access:  read_only
        .address_space:  global
        .offset:         8
        .size:           8
        .value_kind:     global_buffer
      - .actual_access:  read_only
        .address_space:  global
        .offset:         16
        .size:           8
        .value_kind:     global_buffer
      - .offset:         24
        .size:           4
        .value_kind:     by_value
      - .offset:         28
        .size:           4
        .value_kind:     by_value
      - .actual_access:  read_only
        .address_space:  global
        .offset:         32
        .size:           8
        .value_kind:     global_buffer
      - .actual_access:  read_only
        .address_space:  global
        .offset:         40
        .size:           8
        .value_kind:     global_buffer
      - .actual_access:  read_only
        .address_space:  global
        .offset:         48
        .size:           8
        .value_kind:     global_buffer
      - .offset:         56
        .size:           4
        .value_kind:     by_value
      - .actual_access:  read_only
        .address_space:  global
        .offset:         64
        .size:           8
        .value_kind:     global_buffer
      - .offset:         72
        .size:           4
        .value_kind:     by_value
      - .offset:         76
        .size:           4
        .value_kind:     by_value
      - .offset:         80
        .size:           4
        .value_kind:     by_value
      - .actual_access:  write_only
        .address_space:  global
        .offset:         88
        .size:           8
        .value_kind:     global_buffer
      - .actual_access:  write_only
        .address_space:  global
        .offset:         96
        .size:           8
        .value_kind:     global_buffer
      - .actual_access:  write_only
        .address_space:  global
        .offset:         104
        .size:           8
        .value_kind:     global_buffer
      - .actual_access:  read_only
        .address_space:  global
        .offset:         112
        .size:           8
        .value_kind:     global_buffer
      - .offset:         120
        .size:           4
        .value_kind:     by_value
      - .address_space:  global
        .offset:         128
        .size:           8
        .value_kind:     global_buffer
      - .address_space:  global
        .offset:         136
        .size:           8
        .value_kind:     global_buffer
      - .offset:         144
        .size:           4
        .value_kind:     hidden_block_count_x
      - .offset:         148
        .size:           4
        .value_kind:     hidden_block_count_y
      - .offset:         152
        .size:           4
        .value_kind:     hidden_block_count_z
      - .offset:         156
        .size:           2
        .value_kind:     hidden_group_size_x
      - .offset:         158
        .size:           2
        .value_kind:     hidden_group_size_y
      - .offset:         160
        .size:           2
        .value_kind:     hidden_group_size_z
      - .offset:         162
        .size:           2
        .value_kind:     hidden_remainder_x
      - .offset:         164
        .size:           2
        .value_kind:     hidden_remainder_y
      - .offset:         166
        .size:           2
        .value_kind:     hidden_remainder_z
      - .offset:         184
        .size:           8
        .value_kind:     hidden_global_offset_x
      - .offset:         192
        .size:           8
        .value_kind:     hidden_global_offset_y
      - .offset:         200
        .size:           8
        .value_kind:     hidden_global_offset_z
      - .offset:         208
        .size:           2
        .value_kind:     hidden_grid_dims
    .group_segment_fixed_size: 2720
    .kernarg_segment_align: 8
    .kernarg_segment_size: 400
    .language:       OpenCL C
    .language_version:
      - 2
      - 0
    .max_flat_workgroup_size: 256
    .name:           _Z38paged_attention_ll4mi_QKV_mfma4_kernelIDF16_DF16_LN4vllm18Fp8KVCacheDataTypeE0EDF16_Li16ELi64ELi256ELb0ELi3EEvPKT_PKT0_S7_ifPKiS9_S9_iPKfiiiPfSC_PS2_PT2_iSB_SB_
    .private_segment_fixed_size: 0
    .sgpr_count:     42
    .sgpr_spill_count: 0
    .symbol:         _Z38paged_attention_ll4mi_QKV_mfma4_kernelIDF16_DF16_LN4vllm18Fp8KVCacheDataTypeE0EDF16_Li16ELi64ELi256ELb0ELi3EEvPKT_PKT0_S7_ifPKiS9_S9_iPKfiiiPfSC_PS2_PT2_iSB_SB_.kd
    .uniform_work_group_size: 1
    .uses_dynamic_stack: false
    .vgpr_count:     64
    .vgpr_spill_count: 0
    .wavefront_size: 64
  - .agpr_count:     4
    .args:
      - .actual_access:  read_only
        .address_space:  global
        .offset:         0
        .size:           8
        .value_kind:     global_buffer
      - .actual_access:  read_only
        .address_space:  global
        .offset:         8
        .size:           8
        .value_kind:     global_buffer
      - .actual_access:  read_only
        .address_space:  global
        .offset:         16
        .size:           8
        .value_kind:     global_buffer
      - .offset:         24
        .size:           4
        .value_kind:     by_value
      - .offset:         28
        .size:           4
        .value_kind:     by_value
      - .actual_access:  read_only
        .address_space:  global
        .offset:         32
        .size:           8
        .value_kind:     global_buffer
      - .actual_access:  read_only
        .address_space:  global
        .offset:         40
        .size:           8
        .value_kind:     global_buffer
      - .actual_access:  read_only
        .address_space:  global
        .offset:         48
        .size:           8
        .value_kind:     global_buffer
      - .offset:         56
        .size:           4
        .value_kind:     by_value
      - .actual_access:  read_only
        .address_space:  global
        .offset:         64
        .size:           8
        .value_kind:     global_buffer
      - .offset:         72
        .size:           4
        .value_kind:     by_value
      - .offset:         76
        .size:           4
        .value_kind:     by_value
      - .offset:         80
        .size:           4
        .value_kind:     by_value
      - .actual_access:  write_only
        .address_space:  global
        .offset:         88
        .size:           8
        .value_kind:     global_buffer
      - .actual_access:  write_only
        .address_space:  global
        .offset:         96
        .size:           8
        .value_kind:     global_buffer
      - .actual_access:  write_only
        .address_space:  global
        .offset:         104
        .size:           8
        .value_kind:     global_buffer
      - .actual_access:  read_only
        .address_space:  global
        .offset:         112
        .size:           8
        .value_kind:     global_buffer
      - .offset:         120
        .size:           4
        .value_kind:     by_value
      - .address_space:  global
        .offset:         128
        .size:           8
        .value_kind:     global_buffer
      - .address_space:  global
        .offset:         136
        .size:           8
        .value_kind:     global_buffer
      - .offset:         144
        .size:           4
        .value_kind:     hidden_block_count_x
      - .offset:         148
        .size:           4
        .value_kind:     hidden_block_count_y
      - .offset:         152
        .size:           4
        .value_kind:     hidden_block_count_z
      - .offset:         156
        .size:           2
        .value_kind:     hidden_group_size_x
      - .offset:         158
        .size:           2
        .value_kind:     hidden_group_size_y
      - .offset:         160
        .size:           2
        .value_kind:     hidden_group_size_z
      - .offset:         162
        .size:           2
        .value_kind:     hidden_remainder_x
      - .offset:         164
        .size:           2
        .value_kind:     hidden_remainder_y
      - .offset:         166
        .size:           2
        .value_kind:     hidden_remainder_z
      - .offset:         184
        .size:           8
        .value_kind:     hidden_global_offset_x
      - .offset:         192
        .size:           8
        .value_kind:     hidden_global_offset_y
      - .offset:         200
        .size:           8
        .value_kind:     hidden_global_offset_z
      - .offset:         208
        .size:           2
        .value_kind:     hidden_grid_dims
    .group_segment_fixed_size: 2720
    .kernarg_segment_align: 8
    .kernarg_segment_size: 400
    .language:       OpenCL C
    .language_version:
      - 2
      - 0
    .max_flat_workgroup_size: 256
    .name:           _Z38paged_attention_ll4mi_QKV_mfma4_kernelIDF16_DF16_LN4vllm18Fp8KVCacheDataTypeE0EDF16_Li16ELi64ELi256ELb0ELi4EEvPKT_PKT0_S7_ifPKiS9_S9_iPKfiiiPfSC_PS2_PT2_iSB_SB_
    .private_segment_fixed_size: 0
    .sgpr_count:     44
    .sgpr_spill_count: 0
    .symbol:         _Z38paged_attention_ll4mi_QKV_mfma4_kernelIDF16_DF16_LN4vllm18Fp8KVCacheDataTypeE0EDF16_Li16ELi64ELi256ELb0ELi4EEvPKT_PKT0_S7_ifPKiS9_S9_iPKfiiiPfSC_PS2_PT2_iSB_SB_.kd
    .uniform_work_group_size: 1
    .uses_dynamic_stack: false
    .vgpr_count:     64
    .vgpr_spill_count: 0
    .wavefront_size: 64
  - .agpr_count:     0
    .args:
      - .actual_access:  read_only
        .address_space:  global
        .offset:         0
        .size:           8
        .value_kind:     global_buffer
      - .actual_access:  read_only
        .address_space:  global
        .offset:         8
        .size:           8
        .value_kind:     global_buffer
      - .actual_access:  read_only
        .address_space:  global
        .offset:         16
        .size:           8
        .value_kind:     global_buffer
      - .offset:         24
        .size:           4
        .value_kind:     by_value
      - .offset:         28
        .size:           4
        .value_kind:     by_value
      - .actual_access:  read_only
        .address_space:  global
        .offset:         32
        .size:           8
        .value_kind:     global_buffer
      - .actual_access:  read_only
        .address_space:  global
        .offset:         40
        .size:           8
        .value_kind:     global_buffer
      - .actual_access:  read_only
        .address_space:  global
        .offset:         48
        .size:           8
        .value_kind:     global_buffer
      - .offset:         56
        .size:           4
        .value_kind:     by_value
      - .actual_access:  read_only
        .address_space:  global
        .offset:         64
        .size:           8
        .value_kind:     global_buffer
      - .offset:         72
        .size:           4
        .value_kind:     by_value
      - .offset:         76
        .size:           4
        .value_kind:     by_value
      - .offset:         80
        .size:           4
        .value_kind:     by_value
      - .actual_access:  write_only
        .address_space:  global
        .offset:         88
        .size:           8
        .value_kind:     global_buffer
      - .actual_access:  write_only
        .address_space:  global
        .offset:         96
        .size:           8
        .value_kind:     global_buffer
      - .actual_access:  write_only
        .address_space:  global
        .offset:         104
        .size:           8
        .value_kind:     global_buffer
      - .actual_access:  read_only
        .address_space:  global
        .offset:         112
        .size:           8
        .value_kind:     global_buffer
      - .offset:         120
        .size:           4
        .value_kind:     by_value
      - .address_space:  global
        .offset:         128
        .size:           8
        .value_kind:     global_buffer
      - .address_space:  global
        .offset:         136
        .size:           8
        .value_kind:     global_buffer
      - .offset:         144
        .size:           4
        .value_kind:     hidden_block_count_x
      - .offset:         148
        .size:           4
        .value_kind:     hidden_block_count_y
      - .offset:         152
        .size:           4
        .value_kind:     hidden_block_count_z
      - .offset:         156
        .size:           2
        .value_kind:     hidden_group_size_x
      - .offset:         158
        .size:           2
        .value_kind:     hidden_group_size_y
      - .offset:         160
        .size:           2
        .value_kind:     hidden_group_size_z
      - .offset:         162
        .size:           2
        .value_kind:     hidden_remainder_x
      - .offset:         164
        .size:           2
        .value_kind:     hidden_remainder_y
      - .offset:         166
        .size:           2
        .value_kind:     hidden_remainder_z
      - .offset:         184
        .size:           8
        .value_kind:     hidden_global_offset_x
      - .offset:         192
        .size:           8
        .value_kind:     hidden_global_offset_y
      - .offset:         200
        .size:           8
        .value_kind:     hidden_global_offset_z
      - .offset:         208
        .size:           2
        .value_kind:     hidden_grid_dims
    .group_segment_fixed_size: 8192
    .kernarg_segment_align: 8
    .kernarg_segment_size: 400
    .language:       OpenCL C
    .language_version:
      - 2
      - 0
    .max_flat_workgroup_size: 256
    .name:           _Z39paged_attention_ll4mi_QKV_mfma16_kernelIDF16_DF16_LN4vllm18Fp8KVCacheDataTypeE0EDF16_Li16ELi64ELi256ELb0ELi5EL8MFMAType0EEvPKT_PKT0_S8_ifPKiSA_SA_iPKfiiiPfSD_PS3_PT2_iSC_SC_
    .private_segment_fixed_size: 0
    .sgpr_count:     52
    .sgpr_spill_count: 0
    .symbol:         _Z39paged_attention_ll4mi_QKV_mfma16_kernelIDF16_DF16_LN4vllm18Fp8KVCacheDataTypeE0EDF16_Li16ELi64ELi256ELb0ELi5EL8MFMAType0EEvPKT_PKT0_S8_ifPKiSA_SA_iPKfiiiPfSD_PS3_PT2_iSC_SC_.kd
    .uniform_work_group_size: 1
    .uses_dynamic_stack: false
    .vgpr_count:     67
    .vgpr_spill_count: 0
    .wavefront_size: 64
  - .agpr_count:     0
    .args:
      - .actual_access:  read_only
        .address_space:  global
        .offset:         0
        .size:           8
        .value_kind:     global_buffer
      - .actual_access:  read_only
        .address_space:  global
        .offset:         8
        .size:           8
        .value_kind:     global_buffer
      - .actual_access:  read_only
        .address_space:  global
        .offset:         16
        .size:           8
        .value_kind:     global_buffer
      - .offset:         24
        .size:           4
        .value_kind:     by_value
      - .offset:         28
        .size:           4
        .value_kind:     by_value
      - .actual_access:  read_only
        .address_space:  global
        .offset:         32
        .size:           8
        .value_kind:     global_buffer
      - .actual_access:  read_only
        .address_space:  global
        .offset:         40
        .size:           8
        .value_kind:     global_buffer
      - .actual_access:  read_only
        .address_space:  global
        .offset:         48
        .size:           8
        .value_kind:     global_buffer
      - .offset:         56
        .size:           4
        .value_kind:     by_value
      - .actual_access:  read_only
        .address_space:  global
        .offset:         64
        .size:           8
        .value_kind:     global_buffer
      - .offset:         72
        .size:           4
        .value_kind:     by_value
      - .offset:         76
        .size:           4
        .value_kind:     by_value
      - .offset:         80
        .size:           4
        .value_kind:     by_value
      - .actual_access:  write_only
        .address_space:  global
        .offset:         88
        .size:           8
        .value_kind:     global_buffer
      - .actual_access:  write_only
        .address_space:  global
        .offset:         96
        .size:           8
        .value_kind:     global_buffer
      - .actual_access:  write_only
        .address_space:  global
        .offset:         104
        .size:           8
        .value_kind:     global_buffer
      - .actual_access:  read_only
        .address_space:  global
        .offset:         112
        .size:           8
        .value_kind:     global_buffer
      - .offset:         120
        .size:           4
        .value_kind:     by_value
      - .address_space:  global
        .offset:         128
        .size:           8
        .value_kind:     global_buffer
      - .address_space:  global
        .offset:         136
        .size:           8
        .value_kind:     global_buffer
      - .offset:         144
        .size:           4
        .value_kind:     hidden_block_count_x
      - .offset:         148
        .size:           4
        .value_kind:     hidden_block_count_y
      - .offset:         152
        .size:           4
        .value_kind:     hidden_block_count_z
      - .offset:         156
        .size:           2
        .value_kind:     hidden_group_size_x
      - .offset:         158
        .size:           2
        .value_kind:     hidden_group_size_y
      - .offset:         160
        .size:           2
        .value_kind:     hidden_group_size_z
      - .offset:         162
        .size:           2
        .value_kind:     hidden_remainder_x
      - .offset:         164
        .size:           2
        .value_kind:     hidden_remainder_y
      - .offset:         166
        .size:           2
        .value_kind:     hidden_remainder_z
      - .offset:         184
        .size:           8
        .value_kind:     hidden_global_offset_x
      - .offset:         192
        .size:           8
        .value_kind:     hidden_global_offset_y
      - .offset:         200
        .size:           8
        .value_kind:     hidden_global_offset_z
      - .offset:         208
        .size:           2
        .value_kind:     hidden_grid_dims
    .group_segment_fixed_size: 8192
    .kernarg_segment_align: 8
    .kernarg_segment_size: 400
    .language:       OpenCL C
    .language_version:
      - 2
      - 0
    .max_flat_workgroup_size: 256
    .name:           _Z39paged_attention_ll4mi_QKV_mfma16_kernelIDF16_DF16_LN4vllm18Fp8KVCacheDataTypeE0EDF16_Li16ELi64ELi256ELb0ELi6EL8MFMAType0EEvPKT_PKT0_S8_ifPKiSA_SA_iPKfiiiPfSD_PS3_PT2_iSC_SC_
    .private_segment_fixed_size: 0
    .sgpr_count:     52
    .sgpr_spill_count: 0
    .symbol:         _Z39paged_attention_ll4mi_QKV_mfma16_kernelIDF16_DF16_LN4vllm18Fp8KVCacheDataTypeE0EDF16_Li16ELi64ELi256ELb0ELi6EL8MFMAType0EEvPKT_PKT0_S8_ifPKiSA_SA_iPKfiiiPfSD_PS3_PT2_iSC_SC_.kd
    .uniform_work_group_size: 1
    .uses_dynamic_stack: false
    .vgpr_count:     67
    .vgpr_spill_count: 0
    .wavefront_size: 64
  - .agpr_count:     0
    .args:
      - .actual_access:  read_only
        .address_space:  global
        .offset:         0
        .size:           8
        .value_kind:     global_buffer
      - .actual_access:  read_only
        .address_space:  global
        .offset:         8
        .size:           8
        .value_kind:     global_buffer
      - .actual_access:  read_only
        .address_space:  global
        .offset:         16
        .size:           8
        .value_kind:     global_buffer
      - .offset:         24
        .size:           4
        .value_kind:     by_value
      - .offset:         28
        .size:           4
        .value_kind:     by_value
      - .actual_access:  read_only
        .address_space:  global
        .offset:         32
        .size:           8
        .value_kind:     global_buffer
      - .actual_access:  read_only
        .address_space:  global
        .offset:         40
        .size:           8
        .value_kind:     global_buffer
      - .actual_access:  read_only
        .address_space:  global
        .offset:         48
        .size:           8
        .value_kind:     global_buffer
      - .offset:         56
        .size:           4
        .value_kind:     by_value
      - .actual_access:  read_only
        .address_space:  global
        .offset:         64
        .size:           8
        .value_kind:     global_buffer
      - .offset:         72
        .size:           4
        .value_kind:     by_value
      - .offset:         76
        .size:           4
        .value_kind:     by_value
      - .offset:         80
        .size:           4
        .value_kind:     by_value
      - .actual_access:  write_only
        .address_space:  global
        .offset:         88
        .size:           8
        .value_kind:     global_buffer
      - .actual_access:  write_only
        .address_space:  global
        .offset:         96
        .size:           8
        .value_kind:     global_buffer
      - .actual_access:  write_only
        .address_space:  global
        .offset:         104
        .size:           8
        .value_kind:     global_buffer
      - .actual_access:  read_only
        .address_space:  global
        .offset:         112
        .size:           8
        .value_kind:     global_buffer
      - .offset:         120
        .size:           4
        .value_kind:     by_value
      - .address_space:  global
        .offset:         128
        .size:           8
        .value_kind:     global_buffer
      - .address_space:  global
        .offset:         136
        .size:           8
        .value_kind:     global_buffer
      - .offset:         144
        .size:           4
        .value_kind:     hidden_block_count_x
      - .offset:         148
        .size:           4
        .value_kind:     hidden_block_count_y
      - .offset:         152
        .size:           4
        .value_kind:     hidden_block_count_z
      - .offset:         156
        .size:           2
        .value_kind:     hidden_group_size_x
      - .offset:         158
        .size:           2
        .value_kind:     hidden_group_size_y
      - .offset:         160
        .size:           2
        .value_kind:     hidden_group_size_z
      - .offset:         162
        .size:           2
        .value_kind:     hidden_remainder_x
      - .offset:         164
        .size:           2
        .value_kind:     hidden_remainder_y
      - .offset:         166
        .size:           2
        .value_kind:     hidden_remainder_z
      - .offset:         184
        .size:           8
        .value_kind:     hidden_global_offset_x
      - .offset:         192
        .size:           8
        .value_kind:     hidden_global_offset_y
      - .offset:         200
        .size:           8
        .value_kind:     hidden_global_offset_z
      - .offset:         208
        .size:           2
        .value_kind:     hidden_grid_dims
    .group_segment_fixed_size: 8192
    .kernarg_segment_align: 8
    .kernarg_segment_size: 400
    .language:       OpenCL C
    .language_version:
      - 2
      - 0
    .max_flat_workgroup_size: 256
    .name:           _Z39paged_attention_ll4mi_QKV_mfma16_kernelIDF16_DF16_LN4vllm18Fp8KVCacheDataTypeE0EDF16_Li16ELi64ELi256ELb0ELi7EL8MFMAType0EEvPKT_PKT0_S8_ifPKiSA_SA_iPKfiiiPfSD_PS3_PT2_iSC_SC_
    .private_segment_fixed_size: 0
    .sgpr_count:     52
    .sgpr_spill_count: 0
    .symbol:         _Z39paged_attention_ll4mi_QKV_mfma16_kernelIDF16_DF16_LN4vllm18Fp8KVCacheDataTypeE0EDF16_Li16ELi64ELi256ELb0ELi7EL8MFMAType0EEvPKT_PKT0_S8_ifPKiSA_SA_iPKfiiiPfSD_PS3_PT2_iSC_SC_.kd
    .uniform_work_group_size: 1
    .uses_dynamic_stack: false
    .vgpr_count:     67
    .vgpr_spill_count: 0
    .wavefront_size: 64
  - .agpr_count:     0
    .args:
      - .actual_access:  read_only
        .address_space:  global
        .offset:         0
        .size:           8
        .value_kind:     global_buffer
      - .actual_access:  read_only
        .address_space:  global
        .offset:         8
        .size:           8
        .value_kind:     global_buffer
      - .actual_access:  read_only
        .address_space:  global
        .offset:         16
        .size:           8
        .value_kind:     global_buffer
      - .offset:         24
        .size:           4
        .value_kind:     by_value
      - .offset:         28
        .size:           4
        .value_kind:     by_value
      - .actual_access:  read_only
        .address_space:  global
        .offset:         32
        .size:           8
        .value_kind:     global_buffer
      - .actual_access:  read_only
        .address_space:  global
        .offset:         40
        .size:           8
        .value_kind:     global_buffer
      - .actual_access:  read_only
        .address_space:  global
        .offset:         48
        .size:           8
        .value_kind:     global_buffer
      - .offset:         56
        .size:           4
        .value_kind:     by_value
      - .actual_access:  read_only
        .address_space:  global
        .offset:         64
        .size:           8
        .value_kind:     global_buffer
      - .offset:         72
        .size:           4
        .value_kind:     by_value
      - .offset:         76
        .size:           4
        .value_kind:     by_value
      - .offset:         80
        .size:           4
        .value_kind:     by_value
      - .actual_access:  write_only
        .address_space:  global
        .offset:         88
        .size:           8
        .value_kind:     global_buffer
      - .actual_access:  write_only
        .address_space:  global
        .offset:         96
        .size:           8
        .value_kind:     global_buffer
      - .actual_access:  write_only
        .address_space:  global
        .offset:         104
        .size:           8
        .value_kind:     global_buffer
      - .actual_access:  read_only
        .address_space:  global
        .offset:         112
        .size:           8
        .value_kind:     global_buffer
      - .offset:         120
        .size:           4
        .value_kind:     by_value
      - .address_space:  global
        .offset:         128
        .size:           8
        .value_kind:     global_buffer
      - .address_space:  global
        .offset:         136
        .size:           8
        .value_kind:     global_buffer
      - .offset:         144
        .size:           4
        .value_kind:     hidden_block_count_x
      - .offset:         148
        .size:           4
        .value_kind:     hidden_block_count_y
      - .offset:         152
        .size:           4
        .value_kind:     hidden_block_count_z
      - .offset:         156
        .size:           2
        .value_kind:     hidden_group_size_x
      - .offset:         158
        .size:           2
        .value_kind:     hidden_group_size_y
      - .offset:         160
        .size:           2
        .value_kind:     hidden_group_size_z
      - .offset:         162
        .size:           2
        .value_kind:     hidden_remainder_x
      - .offset:         164
        .size:           2
        .value_kind:     hidden_remainder_y
      - .offset:         166
        .size:           2
        .value_kind:     hidden_remainder_z
      - .offset:         184
        .size:           8
        .value_kind:     hidden_global_offset_x
      - .offset:         192
        .size:           8
        .value_kind:     hidden_global_offset_y
      - .offset:         200
        .size:           8
        .value_kind:     hidden_global_offset_z
      - .offset:         208
        .size:           2
        .value_kind:     hidden_grid_dims
    .group_segment_fixed_size: 8192
    .kernarg_segment_align: 8
    .kernarg_segment_size: 400
    .language:       OpenCL C
    .language_version:
      - 2
      - 0
    .max_flat_workgroup_size: 256
    .name:           _Z39paged_attention_ll4mi_QKV_mfma16_kernelIDF16_DF16_LN4vllm18Fp8KVCacheDataTypeE0EDF16_Li16ELi64ELi256ELb0ELi8EL8MFMAType0EEvPKT_PKT0_S8_ifPKiSA_SA_iPKfiiiPfSD_PS3_PT2_iSC_SC_
    .private_segment_fixed_size: 0
    .sgpr_count:     52
    .sgpr_spill_count: 0
    .symbol:         _Z39paged_attention_ll4mi_QKV_mfma16_kernelIDF16_DF16_LN4vllm18Fp8KVCacheDataTypeE0EDF16_Li16ELi64ELi256ELb0ELi8EL8MFMAType0EEvPKT_PKT0_S8_ifPKiSA_SA_iPKfiiiPfSD_PS3_PT2_iSC_SC_.kd
    .uniform_work_group_size: 1
    .uses_dynamic_stack: false
    .vgpr_count:     66
    .vgpr_spill_count: 0
    .wavefront_size: 64
  - .agpr_count:     0
    .args:
      - .actual_access:  read_only
        .address_space:  global
        .offset:         0
        .size:           8
        .value_kind:     global_buffer
      - .actual_access:  read_only
        .address_space:  global
        .offset:         8
        .size:           8
        .value_kind:     global_buffer
      - .actual_access:  read_only
        .address_space:  global
        .offset:         16
        .size:           8
        .value_kind:     global_buffer
      - .offset:         24
        .size:           4
        .value_kind:     by_value
      - .offset:         28
        .size:           4
        .value_kind:     by_value
      - .actual_access:  read_only
        .address_space:  global
        .offset:         32
        .size:           8
        .value_kind:     global_buffer
      - .actual_access:  read_only
        .address_space:  global
        .offset:         40
        .size:           8
        .value_kind:     global_buffer
      - .actual_access:  read_only
        .address_space:  global
        .offset:         48
        .size:           8
        .value_kind:     global_buffer
      - .offset:         56
        .size:           4
        .value_kind:     by_value
      - .actual_access:  read_only
        .address_space:  global
        .offset:         64
        .size:           8
        .value_kind:     global_buffer
      - .offset:         72
        .size:           4
        .value_kind:     by_value
      - .offset:         76
        .size:           4
        .value_kind:     by_value
      - .offset:         80
        .size:           4
        .value_kind:     by_value
      - .actual_access:  write_only
        .address_space:  global
        .offset:         88
        .size:           8
        .value_kind:     global_buffer
      - .actual_access:  write_only
        .address_space:  global
        .offset:         96
        .size:           8
        .value_kind:     global_buffer
      - .actual_access:  write_only
        .address_space:  global
        .offset:         104
        .size:           8
        .value_kind:     global_buffer
      - .actual_access:  read_only
        .address_space:  global
        .offset:         112
        .size:           8
        .value_kind:     global_buffer
      - .offset:         120
        .size:           4
        .value_kind:     by_value
      - .address_space:  global
        .offset:         128
        .size:           8
        .value_kind:     global_buffer
      - .address_space:  global
        .offset:         136
        .size:           8
        .value_kind:     global_buffer
      - .offset:         144
        .size:           4
        .value_kind:     hidden_block_count_x
      - .offset:         148
        .size:           4
        .value_kind:     hidden_block_count_y
      - .offset:         152
        .size:           4
        .value_kind:     hidden_block_count_z
      - .offset:         156
        .size:           2
        .value_kind:     hidden_group_size_x
      - .offset:         158
        .size:           2
        .value_kind:     hidden_group_size_y
      - .offset:         160
        .size:           2
        .value_kind:     hidden_group_size_z
      - .offset:         162
        .size:           2
        .value_kind:     hidden_remainder_x
      - .offset:         164
        .size:           2
        .value_kind:     hidden_remainder_y
      - .offset:         166
        .size:           2
        .value_kind:     hidden_remainder_z
      - .offset:         184
        .size:           8
        .value_kind:     hidden_global_offset_x
      - .offset:         192
        .size:           8
        .value_kind:     hidden_global_offset_y
      - .offset:         200
        .size:           8
        .value_kind:     hidden_global_offset_z
      - .offset:         208
        .size:           2
        .value_kind:     hidden_grid_dims
    .group_segment_fixed_size: 8192
    .kernarg_segment_align: 8
    .kernarg_segment_size: 400
    .language:       OpenCL C
    .language_version:
      - 2
      - 0
    .max_flat_workgroup_size: 256
    .name:           _Z39paged_attention_ll4mi_QKV_mfma16_kernelIDF16_DF16_LN4vllm18Fp8KVCacheDataTypeE0EDF16_Li16ELi64ELi256ELb0ELi9EL8MFMAType0EEvPKT_PKT0_S8_ifPKiSA_SA_iPKfiiiPfSD_PS3_PT2_iSC_SC_
    .private_segment_fixed_size: 0
    .sgpr_count:     52
    .sgpr_spill_count: 0
    .symbol:         _Z39paged_attention_ll4mi_QKV_mfma16_kernelIDF16_DF16_LN4vllm18Fp8KVCacheDataTypeE0EDF16_Li16ELi64ELi256ELb0ELi9EL8MFMAType0EEvPKT_PKT0_S8_ifPKiSA_SA_iPKfiiiPfSD_PS3_PT2_iSC_SC_.kd
    .uniform_work_group_size: 1
    .uses_dynamic_stack: false
    .vgpr_count:     67
    .vgpr_spill_count: 0
    .wavefront_size: 64
  - .agpr_count:     0
    .args:
      - .actual_access:  read_only
        .address_space:  global
        .offset:         0
        .size:           8
        .value_kind:     global_buffer
      - .actual_access:  read_only
        .address_space:  global
        .offset:         8
        .size:           8
        .value_kind:     global_buffer
      - .actual_access:  read_only
        .address_space:  global
        .offset:         16
        .size:           8
        .value_kind:     global_buffer
      - .offset:         24
        .size:           4
        .value_kind:     by_value
      - .offset:         28
        .size:           4
        .value_kind:     by_value
      - .actual_access:  read_only
        .address_space:  global
        .offset:         32
        .size:           8
        .value_kind:     global_buffer
      - .actual_access:  read_only
        .address_space:  global
        .offset:         40
        .size:           8
        .value_kind:     global_buffer
      - .actual_access:  read_only
        .address_space:  global
        .offset:         48
        .size:           8
        .value_kind:     global_buffer
      - .offset:         56
        .size:           4
        .value_kind:     by_value
      - .actual_access:  read_only
        .address_space:  global
        .offset:         64
        .size:           8
        .value_kind:     global_buffer
      - .offset:         72
        .size:           4
        .value_kind:     by_value
      - .offset:         76
        .size:           4
        .value_kind:     by_value
      - .offset:         80
        .size:           4
        .value_kind:     by_value
      - .actual_access:  write_only
        .address_space:  global
        .offset:         88
        .size:           8
        .value_kind:     global_buffer
      - .actual_access:  write_only
        .address_space:  global
        .offset:         96
        .size:           8
        .value_kind:     global_buffer
      - .actual_access:  write_only
        .address_space:  global
        .offset:         104
        .size:           8
        .value_kind:     global_buffer
      - .actual_access:  read_only
        .address_space:  global
        .offset:         112
        .size:           8
        .value_kind:     global_buffer
      - .offset:         120
        .size:           4
        .value_kind:     by_value
      - .address_space:  global
        .offset:         128
        .size:           8
        .value_kind:     global_buffer
      - .address_space:  global
        .offset:         136
        .size:           8
        .value_kind:     global_buffer
      - .offset:         144
        .size:           4
        .value_kind:     hidden_block_count_x
      - .offset:         148
        .size:           4
        .value_kind:     hidden_block_count_y
      - .offset:         152
        .size:           4
        .value_kind:     hidden_block_count_z
      - .offset:         156
        .size:           2
        .value_kind:     hidden_group_size_x
      - .offset:         158
        .size:           2
        .value_kind:     hidden_group_size_y
      - .offset:         160
        .size:           2
        .value_kind:     hidden_group_size_z
      - .offset:         162
        .size:           2
        .value_kind:     hidden_remainder_x
      - .offset:         164
        .size:           2
        .value_kind:     hidden_remainder_y
      - .offset:         166
        .size:           2
        .value_kind:     hidden_remainder_z
      - .offset:         184
        .size:           8
        .value_kind:     hidden_global_offset_x
      - .offset:         192
        .size:           8
        .value_kind:     hidden_global_offset_y
      - .offset:         200
        .size:           8
        .value_kind:     hidden_global_offset_z
      - .offset:         208
        .size:           2
        .value_kind:     hidden_grid_dims
    .group_segment_fixed_size: 8192
    .kernarg_segment_align: 8
    .kernarg_segment_size: 400
    .language:       OpenCL C
    .language_version:
      - 2
      - 0
    .max_flat_workgroup_size: 256
    .name:           _Z39paged_attention_ll4mi_QKV_mfma16_kernelIDF16_DF16_LN4vllm18Fp8KVCacheDataTypeE0EDF16_Li16ELi64ELi256ELb0ELi10EL8MFMAType0EEvPKT_PKT0_S8_ifPKiSA_SA_iPKfiiiPfSD_PS3_PT2_iSC_SC_
    .private_segment_fixed_size: 0
    .sgpr_count:     52
    .sgpr_spill_count: 0
    .symbol:         _Z39paged_attention_ll4mi_QKV_mfma16_kernelIDF16_DF16_LN4vllm18Fp8KVCacheDataTypeE0EDF16_Li16ELi64ELi256ELb0ELi10EL8MFMAType0EEvPKT_PKT0_S8_ifPKiSA_SA_iPKfiiiPfSD_PS3_PT2_iSC_SC_.kd
    .uniform_work_group_size: 1
    .uses_dynamic_stack: false
    .vgpr_count:     67
    .vgpr_spill_count: 0
    .wavefront_size: 64
  - .agpr_count:     0
    .args:
      - .actual_access:  read_only
        .address_space:  global
        .offset:         0
        .size:           8
        .value_kind:     global_buffer
      - .actual_access:  read_only
        .address_space:  global
        .offset:         8
        .size:           8
        .value_kind:     global_buffer
      - .actual_access:  read_only
        .address_space:  global
        .offset:         16
        .size:           8
        .value_kind:     global_buffer
      - .offset:         24
        .size:           4
        .value_kind:     by_value
      - .offset:         28
        .size:           4
        .value_kind:     by_value
      - .actual_access:  read_only
        .address_space:  global
        .offset:         32
        .size:           8
        .value_kind:     global_buffer
      - .actual_access:  read_only
        .address_space:  global
        .offset:         40
        .size:           8
        .value_kind:     global_buffer
      - .actual_access:  read_only
        .address_space:  global
        .offset:         48
        .size:           8
        .value_kind:     global_buffer
      - .offset:         56
        .size:           4
        .value_kind:     by_value
      - .actual_access:  read_only
        .address_space:  global
        .offset:         64
        .size:           8
        .value_kind:     global_buffer
      - .offset:         72
        .size:           4
        .value_kind:     by_value
      - .offset:         76
        .size:           4
        .value_kind:     by_value
      - .offset:         80
        .size:           4
        .value_kind:     by_value
      - .actual_access:  write_only
        .address_space:  global
        .offset:         88
        .size:           8
        .value_kind:     global_buffer
      - .actual_access:  write_only
        .address_space:  global
        .offset:         96
        .size:           8
        .value_kind:     global_buffer
      - .actual_access:  write_only
        .address_space:  global
        .offset:         104
        .size:           8
        .value_kind:     global_buffer
      - .actual_access:  read_only
        .address_space:  global
        .offset:         112
        .size:           8
        .value_kind:     global_buffer
      - .offset:         120
        .size:           4
        .value_kind:     by_value
      - .address_space:  global
        .offset:         128
        .size:           8
        .value_kind:     global_buffer
      - .address_space:  global
        .offset:         136
        .size:           8
        .value_kind:     global_buffer
      - .offset:         144
        .size:           4
        .value_kind:     hidden_block_count_x
      - .offset:         148
        .size:           4
        .value_kind:     hidden_block_count_y
      - .offset:         152
        .size:           4
        .value_kind:     hidden_block_count_z
      - .offset:         156
        .size:           2
        .value_kind:     hidden_group_size_x
      - .offset:         158
        .size:           2
        .value_kind:     hidden_group_size_y
      - .offset:         160
        .size:           2
        .value_kind:     hidden_group_size_z
      - .offset:         162
        .size:           2
        .value_kind:     hidden_remainder_x
      - .offset:         164
        .size:           2
        .value_kind:     hidden_remainder_y
      - .offset:         166
        .size:           2
        .value_kind:     hidden_remainder_z
      - .offset:         184
        .size:           8
        .value_kind:     hidden_global_offset_x
      - .offset:         192
        .size:           8
        .value_kind:     hidden_global_offset_y
      - .offset:         200
        .size:           8
        .value_kind:     hidden_global_offset_z
      - .offset:         208
        .size:           2
        .value_kind:     hidden_grid_dims
    .group_segment_fixed_size: 8192
    .kernarg_segment_align: 8
    .kernarg_segment_size: 400
    .language:       OpenCL C
    .language_version:
      - 2
      - 0
    .max_flat_workgroup_size: 256
    .name:           _Z39paged_attention_ll4mi_QKV_mfma16_kernelIDF16_DF16_LN4vllm18Fp8KVCacheDataTypeE0EDF16_Li16ELi64ELi256ELb0ELi11EL8MFMAType0EEvPKT_PKT0_S8_ifPKiSA_SA_iPKfiiiPfSD_PS3_PT2_iSC_SC_
    .private_segment_fixed_size: 0
    .sgpr_count:     52
    .sgpr_spill_count: 0
    .symbol:         _Z39paged_attention_ll4mi_QKV_mfma16_kernelIDF16_DF16_LN4vllm18Fp8KVCacheDataTypeE0EDF16_Li16ELi64ELi256ELb0ELi11EL8MFMAType0EEvPKT_PKT0_S8_ifPKiSA_SA_iPKfiiiPfSD_PS3_PT2_iSC_SC_.kd
    .uniform_work_group_size: 1
    .uses_dynamic_stack: false
    .vgpr_count:     67
    .vgpr_spill_count: 0
    .wavefront_size: 64
  - .agpr_count:     0
    .args:
      - .actual_access:  read_only
        .address_space:  global
        .offset:         0
        .size:           8
        .value_kind:     global_buffer
      - .actual_access:  read_only
        .address_space:  global
        .offset:         8
        .size:           8
        .value_kind:     global_buffer
      - .actual_access:  read_only
        .address_space:  global
        .offset:         16
        .size:           8
        .value_kind:     global_buffer
      - .offset:         24
        .size:           4
        .value_kind:     by_value
      - .offset:         28
        .size:           4
        .value_kind:     by_value
      - .actual_access:  read_only
        .address_space:  global
        .offset:         32
        .size:           8
        .value_kind:     global_buffer
      - .actual_access:  read_only
        .address_space:  global
        .offset:         40
        .size:           8
        .value_kind:     global_buffer
      - .actual_access:  read_only
        .address_space:  global
        .offset:         48
        .size:           8
        .value_kind:     global_buffer
      - .offset:         56
        .size:           4
        .value_kind:     by_value
      - .actual_access:  read_only
        .address_space:  global
        .offset:         64
        .size:           8
        .value_kind:     global_buffer
      - .offset:         72
        .size:           4
        .value_kind:     by_value
      - .offset:         76
        .size:           4
        .value_kind:     by_value
      - .offset:         80
        .size:           4
        .value_kind:     by_value
      - .actual_access:  write_only
        .address_space:  global
        .offset:         88
        .size:           8
        .value_kind:     global_buffer
      - .actual_access:  write_only
        .address_space:  global
        .offset:         96
        .size:           8
        .value_kind:     global_buffer
      - .actual_access:  write_only
        .address_space:  global
        .offset:         104
        .size:           8
        .value_kind:     global_buffer
      - .actual_access:  read_only
        .address_space:  global
        .offset:         112
        .size:           8
        .value_kind:     global_buffer
      - .offset:         120
        .size:           4
        .value_kind:     by_value
      - .address_space:  global
        .offset:         128
        .size:           8
        .value_kind:     global_buffer
      - .address_space:  global
        .offset:         136
        .size:           8
        .value_kind:     global_buffer
      - .offset:         144
        .size:           4
        .value_kind:     hidden_block_count_x
      - .offset:         148
        .size:           4
        .value_kind:     hidden_block_count_y
      - .offset:         152
        .size:           4
        .value_kind:     hidden_block_count_z
      - .offset:         156
        .size:           2
        .value_kind:     hidden_group_size_x
      - .offset:         158
        .size:           2
        .value_kind:     hidden_group_size_y
      - .offset:         160
        .size:           2
        .value_kind:     hidden_group_size_z
      - .offset:         162
        .size:           2
        .value_kind:     hidden_remainder_x
      - .offset:         164
        .size:           2
        .value_kind:     hidden_remainder_y
      - .offset:         166
        .size:           2
        .value_kind:     hidden_remainder_z
      - .offset:         184
        .size:           8
        .value_kind:     hidden_global_offset_x
      - .offset:         192
        .size:           8
        .value_kind:     hidden_global_offset_y
      - .offset:         200
        .size:           8
        .value_kind:     hidden_global_offset_z
      - .offset:         208
        .size:           2
        .value_kind:     hidden_grid_dims
    .group_segment_fixed_size: 8192
    .kernarg_segment_align: 8
    .kernarg_segment_size: 400
    .language:       OpenCL C
    .language_version:
      - 2
      - 0
    .max_flat_workgroup_size: 256
    .name:           _Z39paged_attention_ll4mi_QKV_mfma16_kernelIDF16_DF16_LN4vllm18Fp8KVCacheDataTypeE0EDF16_Li16ELi64ELi256ELb0ELi12EL8MFMAType0EEvPKT_PKT0_S8_ifPKiSA_SA_iPKfiiiPfSD_PS3_PT2_iSC_SC_
    .private_segment_fixed_size: 0
    .sgpr_count:     52
    .sgpr_spill_count: 0
    .symbol:         _Z39paged_attention_ll4mi_QKV_mfma16_kernelIDF16_DF16_LN4vllm18Fp8KVCacheDataTypeE0EDF16_Li16ELi64ELi256ELb0ELi12EL8MFMAType0EEvPKT_PKT0_S8_ifPKiSA_SA_iPKfiiiPfSD_PS3_PT2_iSC_SC_.kd
    .uniform_work_group_size: 1
    .uses_dynamic_stack: false
    .vgpr_count:     67
    .vgpr_spill_count: 0
    .wavefront_size: 64
  - .agpr_count:     0
    .args:
      - .actual_access:  read_only
        .address_space:  global
        .offset:         0
        .size:           8
        .value_kind:     global_buffer
      - .actual_access:  read_only
        .address_space:  global
        .offset:         8
        .size:           8
        .value_kind:     global_buffer
      - .actual_access:  read_only
        .address_space:  global
        .offset:         16
        .size:           8
        .value_kind:     global_buffer
      - .offset:         24
        .size:           4
        .value_kind:     by_value
      - .offset:         28
        .size:           4
        .value_kind:     by_value
      - .actual_access:  read_only
        .address_space:  global
        .offset:         32
        .size:           8
        .value_kind:     global_buffer
      - .actual_access:  read_only
        .address_space:  global
        .offset:         40
        .size:           8
        .value_kind:     global_buffer
      - .actual_access:  read_only
        .address_space:  global
        .offset:         48
        .size:           8
        .value_kind:     global_buffer
      - .offset:         56
        .size:           4
        .value_kind:     by_value
      - .actual_access:  read_only
        .address_space:  global
        .offset:         64
        .size:           8
        .value_kind:     global_buffer
      - .offset:         72
        .size:           4
        .value_kind:     by_value
      - .offset:         76
        .size:           4
        .value_kind:     by_value
      - .offset:         80
        .size:           4
        .value_kind:     by_value
      - .actual_access:  write_only
        .address_space:  global
        .offset:         88
        .size:           8
        .value_kind:     global_buffer
      - .actual_access:  write_only
        .address_space:  global
        .offset:         96
        .size:           8
        .value_kind:     global_buffer
      - .actual_access:  write_only
        .address_space:  global
        .offset:         104
        .size:           8
        .value_kind:     global_buffer
      - .actual_access:  read_only
        .address_space:  global
        .offset:         112
        .size:           8
        .value_kind:     global_buffer
      - .offset:         120
        .size:           4
        .value_kind:     by_value
      - .address_space:  global
        .offset:         128
        .size:           8
        .value_kind:     global_buffer
      - .address_space:  global
        .offset:         136
        .size:           8
        .value_kind:     global_buffer
      - .offset:         144
        .size:           4
        .value_kind:     hidden_block_count_x
      - .offset:         148
        .size:           4
        .value_kind:     hidden_block_count_y
      - .offset:         152
        .size:           4
        .value_kind:     hidden_block_count_z
      - .offset:         156
        .size:           2
        .value_kind:     hidden_group_size_x
      - .offset:         158
        .size:           2
        .value_kind:     hidden_group_size_y
      - .offset:         160
        .size:           2
        .value_kind:     hidden_group_size_z
      - .offset:         162
        .size:           2
        .value_kind:     hidden_remainder_x
      - .offset:         164
        .size:           2
        .value_kind:     hidden_remainder_y
      - .offset:         166
        .size:           2
        .value_kind:     hidden_remainder_z
      - .offset:         184
        .size:           8
        .value_kind:     hidden_global_offset_x
      - .offset:         192
        .size:           8
        .value_kind:     hidden_global_offset_y
      - .offset:         200
        .size:           8
        .value_kind:     hidden_global_offset_z
      - .offset:         208
        .size:           2
        .value_kind:     hidden_grid_dims
    .group_segment_fixed_size: 8192
    .kernarg_segment_align: 8
    .kernarg_segment_size: 400
    .language:       OpenCL C
    .language_version:
      - 2
      - 0
    .max_flat_workgroup_size: 256
    .name:           _Z39paged_attention_ll4mi_QKV_mfma16_kernelIDF16_DF16_LN4vllm18Fp8KVCacheDataTypeE0EDF16_Li16ELi64ELi256ELb0ELi13EL8MFMAType0EEvPKT_PKT0_S8_ifPKiSA_SA_iPKfiiiPfSD_PS3_PT2_iSC_SC_
    .private_segment_fixed_size: 0
    .sgpr_count:     52
    .sgpr_spill_count: 0
    .symbol:         _Z39paged_attention_ll4mi_QKV_mfma16_kernelIDF16_DF16_LN4vllm18Fp8KVCacheDataTypeE0EDF16_Li16ELi64ELi256ELb0ELi13EL8MFMAType0EEvPKT_PKT0_S8_ifPKiSA_SA_iPKfiiiPfSD_PS3_PT2_iSC_SC_.kd
    .uniform_work_group_size: 1
    .uses_dynamic_stack: false
    .vgpr_count:     67
    .vgpr_spill_count: 0
    .wavefront_size: 64
  - .agpr_count:     0
    .args:
      - .actual_access:  read_only
        .address_space:  global
        .offset:         0
        .size:           8
        .value_kind:     global_buffer
      - .actual_access:  read_only
        .address_space:  global
        .offset:         8
        .size:           8
        .value_kind:     global_buffer
      - .actual_access:  read_only
        .address_space:  global
        .offset:         16
        .size:           8
        .value_kind:     global_buffer
      - .offset:         24
        .size:           4
        .value_kind:     by_value
      - .offset:         28
        .size:           4
        .value_kind:     by_value
      - .actual_access:  read_only
        .address_space:  global
        .offset:         32
        .size:           8
        .value_kind:     global_buffer
      - .actual_access:  read_only
        .address_space:  global
        .offset:         40
        .size:           8
        .value_kind:     global_buffer
      - .actual_access:  read_only
        .address_space:  global
        .offset:         48
        .size:           8
        .value_kind:     global_buffer
      - .offset:         56
        .size:           4
        .value_kind:     by_value
      - .actual_access:  read_only
        .address_space:  global
        .offset:         64
        .size:           8
        .value_kind:     global_buffer
      - .offset:         72
        .size:           4
        .value_kind:     by_value
      - .offset:         76
        .size:           4
        .value_kind:     by_value
      - .offset:         80
        .size:           4
        .value_kind:     by_value
      - .actual_access:  write_only
        .address_space:  global
        .offset:         88
        .size:           8
        .value_kind:     global_buffer
      - .actual_access:  write_only
        .address_space:  global
        .offset:         96
        .size:           8
        .value_kind:     global_buffer
      - .actual_access:  write_only
        .address_space:  global
        .offset:         104
        .size:           8
        .value_kind:     global_buffer
      - .actual_access:  read_only
        .address_space:  global
        .offset:         112
        .size:           8
        .value_kind:     global_buffer
      - .offset:         120
        .size:           4
        .value_kind:     by_value
      - .address_space:  global
        .offset:         128
        .size:           8
        .value_kind:     global_buffer
      - .address_space:  global
        .offset:         136
        .size:           8
        .value_kind:     global_buffer
      - .offset:         144
        .size:           4
        .value_kind:     hidden_block_count_x
      - .offset:         148
        .size:           4
        .value_kind:     hidden_block_count_y
      - .offset:         152
        .size:           4
        .value_kind:     hidden_block_count_z
      - .offset:         156
        .size:           2
        .value_kind:     hidden_group_size_x
      - .offset:         158
        .size:           2
        .value_kind:     hidden_group_size_y
      - .offset:         160
        .size:           2
        .value_kind:     hidden_group_size_z
      - .offset:         162
        .size:           2
        .value_kind:     hidden_remainder_x
      - .offset:         164
        .size:           2
        .value_kind:     hidden_remainder_y
      - .offset:         166
        .size:           2
        .value_kind:     hidden_remainder_z
      - .offset:         184
        .size:           8
        .value_kind:     hidden_global_offset_x
      - .offset:         192
        .size:           8
        .value_kind:     hidden_global_offset_y
      - .offset:         200
        .size:           8
        .value_kind:     hidden_global_offset_z
      - .offset:         208
        .size:           2
        .value_kind:     hidden_grid_dims
    .group_segment_fixed_size: 8192
    .kernarg_segment_align: 8
    .kernarg_segment_size: 400
    .language:       OpenCL C
    .language_version:
      - 2
      - 0
    .max_flat_workgroup_size: 256
    .name:           _Z39paged_attention_ll4mi_QKV_mfma16_kernelIDF16_DF16_LN4vllm18Fp8KVCacheDataTypeE0EDF16_Li16ELi64ELi256ELb0ELi14EL8MFMAType0EEvPKT_PKT0_S8_ifPKiSA_SA_iPKfiiiPfSD_PS3_PT2_iSC_SC_
    .private_segment_fixed_size: 0
    .sgpr_count:     52
    .sgpr_spill_count: 0
    .symbol:         _Z39paged_attention_ll4mi_QKV_mfma16_kernelIDF16_DF16_LN4vllm18Fp8KVCacheDataTypeE0EDF16_Li16ELi64ELi256ELb0ELi14EL8MFMAType0EEvPKT_PKT0_S8_ifPKiSA_SA_iPKfiiiPfSD_PS3_PT2_iSC_SC_.kd
    .uniform_work_group_size: 1
    .uses_dynamic_stack: false
    .vgpr_count:     67
    .vgpr_spill_count: 0
    .wavefront_size: 64
  - .agpr_count:     0
    .args:
      - .actual_access:  read_only
        .address_space:  global
        .offset:         0
        .size:           8
        .value_kind:     global_buffer
      - .actual_access:  read_only
        .address_space:  global
        .offset:         8
        .size:           8
        .value_kind:     global_buffer
      - .actual_access:  read_only
        .address_space:  global
        .offset:         16
        .size:           8
        .value_kind:     global_buffer
      - .offset:         24
        .size:           4
        .value_kind:     by_value
      - .offset:         28
        .size:           4
        .value_kind:     by_value
      - .actual_access:  read_only
        .address_space:  global
        .offset:         32
        .size:           8
        .value_kind:     global_buffer
      - .actual_access:  read_only
        .address_space:  global
        .offset:         40
        .size:           8
        .value_kind:     global_buffer
      - .actual_access:  read_only
        .address_space:  global
        .offset:         48
        .size:           8
        .value_kind:     global_buffer
      - .offset:         56
        .size:           4
        .value_kind:     by_value
      - .actual_access:  read_only
        .address_space:  global
        .offset:         64
        .size:           8
        .value_kind:     global_buffer
      - .offset:         72
        .size:           4
        .value_kind:     by_value
      - .offset:         76
        .size:           4
        .value_kind:     by_value
      - .offset:         80
        .size:           4
        .value_kind:     by_value
      - .actual_access:  write_only
        .address_space:  global
        .offset:         88
        .size:           8
        .value_kind:     global_buffer
      - .actual_access:  write_only
        .address_space:  global
        .offset:         96
        .size:           8
        .value_kind:     global_buffer
      - .actual_access:  write_only
        .address_space:  global
        .offset:         104
        .size:           8
        .value_kind:     global_buffer
      - .actual_access:  read_only
        .address_space:  global
        .offset:         112
        .size:           8
        .value_kind:     global_buffer
      - .offset:         120
        .size:           4
        .value_kind:     by_value
      - .address_space:  global
        .offset:         128
        .size:           8
        .value_kind:     global_buffer
      - .address_space:  global
        .offset:         136
        .size:           8
        .value_kind:     global_buffer
      - .offset:         144
        .size:           4
        .value_kind:     hidden_block_count_x
      - .offset:         148
        .size:           4
        .value_kind:     hidden_block_count_y
      - .offset:         152
        .size:           4
        .value_kind:     hidden_block_count_z
      - .offset:         156
        .size:           2
        .value_kind:     hidden_group_size_x
      - .offset:         158
        .size:           2
        .value_kind:     hidden_group_size_y
      - .offset:         160
        .size:           2
        .value_kind:     hidden_group_size_z
      - .offset:         162
        .size:           2
        .value_kind:     hidden_remainder_x
      - .offset:         164
        .size:           2
        .value_kind:     hidden_remainder_y
      - .offset:         166
        .size:           2
        .value_kind:     hidden_remainder_z
      - .offset:         184
        .size:           8
        .value_kind:     hidden_global_offset_x
      - .offset:         192
        .size:           8
        .value_kind:     hidden_global_offset_y
      - .offset:         200
        .size:           8
        .value_kind:     hidden_global_offset_z
      - .offset:         208
        .size:           2
        .value_kind:     hidden_grid_dims
    .group_segment_fixed_size: 8192
    .kernarg_segment_align: 8
    .kernarg_segment_size: 400
    .language:       OpenCL C
    .language_version:
      - 2
      - 0
    .max_flat_workgroup_size: 256
    .name:           _Z39paged_attention_ll4mi_QKV_mfma16_kernelIDF16_DF16_LN4vllm18Fp8KVCacheDataTypeE0EDF16_Li16ELi64ELi256ELb0ELi15EL8MFMAType0EEvPKT_PKT0_S8_ifPKiSA_SA_iPKfiiiPfSD_PS3_PT2_iSC_SC_
    .private_segment_fixed_size: 0
    .sgpr_count:     52
    .sgpr_spill_count: 0
    .symbol:         _Z39paged_attention_ll4mi_QKV_mfma16_kernelIDF16_DF16_LN4vllm18Fp8KVCacheDataTypeE0EDF16_Li16ELi64ELi256ELb0ELi15EL8MFMAType0EEvPKT_PKT0_S8_ifPKiSA_SA_iPKfiiiPfSD_PS3_PT2_iSC_SC_.kd
    .uniform_work_group_size: 1
    .uses_dynamic_stack: false
    .vgpr_count:     67
    .vgpr_spill_count: 0
    .wavefront_size: 64
  - .agpr_count:     0
    .args:
      - .actual_access:  read_only
        .address_space:  global
        .offset:         0
        .size:           8
        .value_kind:     global_buffer
      - .actual_access:  read_only
        .address_space:  global
        .offset:         8
        .size:           8
        .value_kind:     global_buffer
      - .actual_access:  read_only
        .address_space:  global
        .offset:         16
        .size:           8
        .value_kind:     global_buffer
      - .offset:         24
        .size:           4
        .value_kind:     by_value
      - .offset:         28
        .size:           4
        .value_kind:     by_value
      - .actual_access:  read_only
        .address_space:  global
        .offset:         32
        .size:           8
        .value_kind:     global_buffer
      - .actual_access:  read_only
        .address_space:  global
        .offset:         40
        .size:           8
        .value_kind:     global_buffer
      - .actual_access:  read_only
        .address_space:  global
        .offset:         48
        .size:           8
        .value_kind:     global_buffer
      - .offset:         56
        .size:           4
        .value_kind:     by_value
      - .actual_access:  read_only
        .address_space:  global
        .offset:         64
        .size:           8
        .value_kind:     global_buffer
      - .offset:         72
        .size:           4
        .value_kind:     by_value
      - .offset:         76
        .size:           4
        .value_kind:     by_value
      - .offset:         80
        .size:           4
        .value_kind:     by_value
      - .actual_access:  write_only
        .address_space:  global
        .offset:         88
        .size:           8
        .value_kind:     global_buffer
      - .actual_access:  write_only
        .address_space:  global
        .offset:         96
        .size:           8
        .value_kind:     global_buffer
      - .actual_access:  write_only
        .address_space:  global
        .offset:         104
        .size:           8
        .value_kind:     global_buffer
      - .actual_access:  read_only
        .address_space:  global
        .offset:         112
        .size:           8
        .value_kind:     global_buffer
      - .offset:         120
        .size:           4
        .value_kind:     by_value
      - .address_space:  global
        .offset:         128
        .size:           8
        .value_kind:     global_buffer
      - .address_space:  global
        .offset:         136
        .size:           8
        .value_kind:     global_buffer
      - .offset:         144
        .size:           4
        .value_kind:     hidden_block_count_x
      - .offset:         148
        .size:           4
        .value_kind:     hidden_block_count_y
      - .offset:         152
        .size:           4
        .value_kind:     hidden_block_count_z
      - .offset:         156
        .size:           2
        .value_kind:     hidden_group_size_x
      - .offset:         158
        .size:           2
        .value_kind:     hidden_group_size_y
      - .offset:         160
        .size:           2
        .value_kind:     hidden_group_size_z
      - .offset:         162
        .size:           2
        .value_kind:     hidden_remainder_x
      - .offset:         164
        .size:           2
        .value_kind:     hidden_remainder_y
      - .offset:         166
        .size:           2
        .value_kind:     hidden_remainder_z
      - .offset:         184
        .size:           8
        .value_kind:     hidden_global_offset_x
      - .offset:         192
        .size:           8
        .value_kind:     hidden_global_offset_y
      - .offset:         200
        .size:           8
        .value_kind:     hidden_global_offset_z
      - .offset:         208
        .size:           2
        .value_kind:     hidden_grid_dims
    .group_segment_fixed_size: 8192
    .kernarg_segment_align: 8
    .kernarg_segment_size: 400
    .language:       OpenCL C
    .language_version:
      - 2
      - 0
    .max_flat_workgroup_size: 256
    .name:           _Z39paged_attention_ll4mi_QKV_mfma16_kernelIDF16_DF16_LN4vllm18Fp8KVCacheDataTypeE0EDF16_Li16ELi64ELi256ELb0ELi16EL8MFMAType0EEvPKT_PKT0_S8_ifPKiSA_SA_iPKfiiiPfSD_PS3_PT2_iSC_SC_
    .private_segment_fixed_size: 0
    .sgpr_count:     52
    .sgpr_spill_count: 0
    .symbol:         _Z39paged_attention_ll4mi_QKV_mfma16_kernelIDF16_DF16_LN4vllm18Fp8KVCacheDataTypeE0EDF16_Li16ELi64ELi256ELb0ELi16EL8MFMAType0EEvPKT_PKT0_S8_ifPKiSA_SA_iPKfiiiPfSD_PS3_PT2_iSC_SC_.kd
    .uniform_work_group_size: 1
    .uses_dynamic_stack: false
    .vgpr_count:     67
    .vgpr_spill_count: 0
    .wavefront_size: 64
  - .agpr_count:     0
    .args:
      - .actual_access:  read_only
        .address_space:  global
        .offset:         0
        .size:           8
        .value_kind:     global_buffer
      - .actual_access:  read_only
        .address_space:  global
        .offset:         8
        .size:           8
        .value_kind:     global_buffer
      - .actual_access:  read_only
        .address_space:  global
        .offset:         16
        .size:           8
        .value_kind:     global_buffer
      - .offset:         24
        .size:           4
        .value_kind:     by_value
      - .offset:         28
        .size:           4
        .value_kind:     by_value
      - .actual_access:  read_only
        .address_space:  global
        .offset:         32
        .size:           8
        .value_kind:     global_buffer
      - .actual_access:  read_only
        .address_space:  global
        .offset:         40
        .size:           8
        .value_kind:     global_buffer
      - .actual_access:  read_only
        .address_space:  global
        .offset:         48
        .size:           8
        .value_kind:     global_buffer
      - .offset:         56
        .size:           4
        .value_kind:     by_value
      - .actual_access:  read_only
        .address_space:  global
        .offset:         64
        .size:           8
        .value_kind:     global_buffer
      - .offset:         72
        .size:           4
        .value_kind:     by_value
      - .offset:         76
        .size:           4
        .value_kind:     by_value
      - .offset:         80
        .size:           4
        .value_kind:     by_value
      - .actual_access:  write_only
        .address_space:  global
        .offset:         88
        .size:           8
        .value_kind:     global_buffer
      - .actual_access:  write_only
        .address_space:  global
        .offset:         96
        .size:           8
        .value_kind:     global_buffer
      - .actual_access:  write_only
        .address_space:  global
        .offset:         104
        .size:           8
        .value_kind:     global_buffer
      - .actual_access:  read_only
        .address_space:  global
        .offset:         112
        .size:           8
        .value_kind:     global_buffer
      - .offset:         120
        .size:           4
        .value_kind:     by_value
      - .address_space:  global
        .offset:         128
        .size:           8
        .value_kind:     global_buffer
      - .address_space:  global
        .offset:         136
        .size:           8
        .value_kind:     global_buffer
      - .offset:         144
        .size:           4
        .value_kind:     hidden_block_count_x
      - .offset:         148
        .size:           4
        .value_kind:     hidden_block_count_y
      - .offset:         152
        .size:           4
        .value_kind:     hidden_block_count_z
      - .offset:         156
        .size:           2
        .value_kind:     hidden_group_size_x
      - .offset:         158
        .size:           2
        .value_kind:     hidden_group_size_y
      - .offset:         160
        .size:           2
        .value_kind:     hidden_group_size_z
      - .offset:         162
        .size:           2
        .value_kind:     hidden_remainder_x
      - .offset:         164
        .size:           2
        .value_kind:     hidden_remainder_y
      - .offset:         166
        .size:           2
        .value_kind:     hidden_remainder_z
      - .offset:         184
        .size:           8
        .value_kind:     hidden_global_offset_x
      - .offset:         192
        .size:           8
        .value_kind:     hidden_global_offset_y
      - .offset:         200
        .size:           8
        .value_kind:     hidden_global_offset_z
      - .offset:         208
        .size:           2
        .value_kind:     hidden_grid_dims
    .group_segment_fixed_size: 8192
    .kernarg_segment_align: 8
    .kernarg_segment_size: 400
    .language:       OpenCL C
    .language_version:
      - 2
      - 0
    .max_flat_workgroup_size: 256
    .name:           _Z39paged_attention_ll4mi_QKV_mfma16_kernelIDF16_DF16_LN4vllm18Fp8KVCacheDataTypeE0EDF16_Li16ELi64ELi256ELb0ELi1EL8MFMAType0EEvPKT_PKT0_S8_ifPKiSA_SA_iPKfiiiPfSD_PS3_PT2_iSC_SC_
    .private_segment_fixed_size: 0
    .sgpr_count:     52
    .sgpr_spill_count: 0
    .symbol:         _Z39paged_attention_ll4mi_QKV_mfma16_kernelIDF16_DF16_LN4vllm18Fp8KVCacheDataTypeE0EDF16_Li16ELi64ELi256ELb0ELi1EL8MFMAType0EEvPKT_PKT0_S8_ifPKiSA_SA_iPKfiiiPfSD_PS3_PT2_iSC_SC_.kd
    .uniform_work_group_size: 1
    .uses_dynamic_stack: false
    .vgpr_count:     67
    .vgpr_spill_count: 0
    .wavefront_size: 64
  - .agpr_count:     0
    .args:
      - .actual_access:  read_only
        .address_space:  global
        .offset:         0
        .size:           8
        .value_kind:     global_buffer
      - .actual_access:  read_only
        .address_space:  global
        .offset:         8
        .size:           8
        .value_kind:     global_buffer
      - .actual_access:  read_only
        .address_space:  global
        .offset:         16
        .size:           8
        .value_kind:     global_buffer
      - .offset:         24
        .size:           4
        .value_kind:     by_value
      - .offset:         28
        .size:           4
        .value_kind:     by_value
      - .actual_access:  read_only
        .address_space:  global
        .offset:         32
        .size:           8
        .value_kind:     global_buffer
      - .actual_access:  read_only
        .address_space:  global
        .offset:         40
        .size:           8
        .value_kind:     global_buffer
      - .actual_access:  read_only
        .address_space:  global
        .offset:         48
        .size:           8
        .value_kind:     global_buffer
      - .offset:         56
        .size:           4
        .value_kind:     by_value
      - .actual_access:  read_only
        .address_space:  global
        .offset:         64
        .size:           8
        .value_kind:     global_buffer
      - .offset:         72
        .size:           4
        .value_kind:     by_value
      - .offset:         76
        .size:           4
        .value_kind:     by_value
      - .offset:         80
        .size:           4
        .value_kind:     by_value
      - .actual_access:  write_only
        .address_space:  global
        .offset:         88
        .size:           8
        .value_kind:     global_buffer
      - .actual_access:  write_only
        .address_space:  global
        .offset:         96
        .size:           8
        .value_kind:     global_buffer
      - .actual_access:  write_only
        .address_space:  global
        .offset:         104
        .size:           8
        .value_kind:     global_buffer
      - .actual_access:  read_only
        .address_space:  global
        .offset:         112
        .size:           8
        .value_kind:     global_buffer
      - .offset:         120
        .size:           4
        .value_kind:     by_value
      - .address_space:  global
        .offset:         128
        .size:           8
        .value_kind:     global_buffer
      - .address_space:  global
        .offset:         136
        .size:           8
        .value_kind:     global_buffer
      - .offset:         144
        .size:           4
        .value_kind:     hidden_block_count_x
      - .offset:         148
        .size:           4
        .value_kind:     hidden_block_count_y
      - .offset:         152
        .size:           4
        .value_kind:     hidden_block_count_z
      - .offset:         156
        .size:           2
        .value_kind:     hidden_group_size_x
      - .offset:         158
        .size:           2
        .value_kind:     hidden_group_size_y
      - .offset:         160
        .size:           2
        .value_kind:     hidden_group_size_z
      - .offset:         162
        .size:           2
        .value_kind:     hidden_remainder_x
      - .offset:         164
        .size:           2
        .value_kind:     hidden_remainder_y
      - .offset:         166
        .size:           2
        .value_kind:     hidden_remainder_z
      - .offset:         184
        .size:           8
        .value_kind:     hidden_global_offset_x
      - .offset:         192
        .size:           8
        .value_kind:     hidden_global_offset_y
      - .offset:         200
        .size:           8
        .value_kind:     hidden_global_offset_z
      - .offset:         208
        .size:           2
        .value_kind:     hidden_grid_dims
    .group_segment_fixed_size: 8192
    .kernarg_segment_align: 8
    .kernarg_segment_size: 400
    .language:       OpenCL C
    .language_version:
      - 2
      - 0
    .max_flat_workgroup_size: 256
    .name:           _Z39paged_attention_ll4mi_QKV_mfma16_kernelIDF16_DF16_LN4vllm18Fp8KVCacheDataTypeE0EDF16_Li16ELi64ELi256ELb0ELi2EL8MFMAType0EEvPKT_PKT0_S8_ifPKiSA_SA_iPKfiiiPfSD_PS3_PT2_iSC_SC_
    .private_segment_fixed_size: 0
    .sgpr_count:     52
    .sgpr_spill_count: 0
    .symbol:         _Z39paged_attention_ll4mi_QKV_mfma16_kernelIDF16_DF16_LN4vllm18Fp8KVCacheDataTypeE0EDF16_Li16ELi64ELi256ELb0ELi2EL8MFMAType0EEvPKT_PKT0_S8_ifPKiSA_SA_iPKfiiiPfSD_PS3_PT2_iSC_SC_.kd
    .uniform_work_group_size: 1
    .uses_dynamic_stack: false
    .vgpr_count:     67
    .vgpr_spill_count: 0
    .wavefront_size: 64
  - .agpr_count:     0
    .args:
      - .actual_access:  read_only
        .address_space:  global
        .offset:         0
        .size:           8
        .value_kind:     global_buffer
      - .actual_access:  read_only
        .address_space:  global
        .offset:         8
        .size:           8
        .value_kind:     global_buffer
      - .actual_access:  read_only
        .address_space:  global
        .offset:         16
        .size:           8
        .value_kind:     global_buffer
      - .offset:         24
        .size:           4
        .value_kind:     by_value
      - .offset:         28
        .size:           4
        .value_kind:     by_value
      - .actual_access:  read_only
        .address_space:  global
        .offset:         32
        .size:           8
        .value_kind:     global_buffer
      - .actual_access:  read_only
        .address_space:  global
        .offset:         40
        .size:           8
        .value_kind:     global_buffer
      - .actual_access:  read_only
        .address_space:  global
        .offset:         48
        .size:           8
        .value_kind:     global_buffer
      - .offset:         56
        .size:           4
        .value_kind:     by_value
      - .actual_access:  read_only
        .address_space:  global
        .offset:         64
        .size:           8
        .value_kind:     global_buffer
      - .offset:         72
        .size:           4
        .value_kind:     by_value
      - .offset:         76
        .size:           4
        .value_kind:     by_value
      - .offset:         80
        .size:           4
        .value_kind:     by_value
      - .actual_access:  write_only
        .address_space:  global
        .offset:         88
        .size:           8
        .value_kind:     global_buffer
      - .actual_access:  write_only
        .address_space:  global
        .offset:         96
        .size:           8
        .value_kind:     global_buffer
      - .actual_access:  write_only
        .address_space:  global
        .offset:         104
        .size:           8
        .value_kind:     global_buffer
      - .actual_access:  read_only
        .address_space:  global
        .offset:         112
        .size:           8
        .value_kind:     global_buffer
      - .offset:         120
        .size:           4
        .value_kind:     by_value
      - .address_space:  global
        .offset:         128
        .size:           8
        .value_kind:     global_buffer
      - .address_space:  global
        .offset:         136
        .size:           8
        .value_kind:     global_buffer
      - .offset:         144
        .size:           4
        .value_kind:     hidden_block_count_x
      - .offset:         148
        .size:           4
        .value_kind:     hidden_block_count_y
      - .offset:         152
        .size:           4
        .value_kind:     hidden_block_count_z
      - .offset:         156
        .size:           2
        .value_kind:     hidden_group_size_x
      - .offset:         158
        .size:           2
        .value_kind:     hidden_group_size_y
      - .offset:         160
        .size:           2
        .value_kind:     hidden_group_size_z
      - .offset:         162
        .size:           2
        .value_kind:     hidden_remainder_x
      - .offset:         164
        .size:           2
        .value_kind:     hidden_remainder_y
      - .offset:         166
        .size:           2
        .value_kind:     hidden_remainder_z
      - .offset:         184
        .size:           8
        .value_kind:     hidden_global_offset_x
      - .offset:         192
        .size:           8
        .value_kind:     hidden_global_offset_y
      - .offset:         200
        .size:           8
        .value_kind:     hidden_global_offset_z
      - .offset:         208
        .size:           2
        .value_kind:     hidden_grid_dims
    .group_segment_fixed_size: 8192
    .kernarg_segment_align: 8
    .kernarg_segment_size: 400
    .language:       OpenCL C
    .language_version:
      - 2
      - 0
    .max_flat_workgroup_size: 256
    .name:           _Z39paged_attention_ll4mi_QKV_mfma16_kernelIDF16_DF16_LN4vllm18Fp8KVCacheDataTypeE0EDF16_Li16ELi64ELi256ELb0ELi3EL8MFMAType0EEvPKT_PKT0_S8_ifPKiSA_SA_iPKfiiiPfSD_PS3_PT2_iSC_SC_
    .private_segment_fixed_size: 0
    .sgpr_count:     52
    .sgpr_spill_count: 0
    .symbol:         _Z39paged_attention_ll4mi_QKV_mfma16_kernelIDF16_DF16_LN4vllm18Fp8KVCacheDataTypeE0EDF16_Li16ELi64ELi256ELb0ELi3EL8MFMAType0EEvPKT_PKT0_S8_ifPKiSA_SA_iPKfiiiPfSD_PS3_PT2_iSC_SC_.kd
    .uniform_work_group_size: 1
    .uses_dynamic_stack: false
    .vgpr_count:     68
    .vgpr_spill_count: 0
    .wavefront_size: 64
  - .agpr_count:     0
    .args:
      - .actual_access:  read_only
        .address_space:  global
        .offset:         0
        .size:           8
        .value_kind:     global_buffer
      - .actual_access:  read_only
        .address_space:  global
        .offset:         8
        .size:           8
        .value_kind:     global_buffer
      - .actual_access:  read_only
        .address_space:  global
        .offset:         16
        .size:           8
        .value_kind:     global_buffer
      - .offset:         24
        .size:           4
        .value_kind:     by_value
      - .offset:         28
        .size:           4
        .value_kind:     by_value
      - .actual_access:  read_only
        .address_space:  global
        .offset:         32
        .size:           8
        .value_kind:     global_buffer
      - .actual_access:  read_only
        .address_space:  global
        .offset:         40
        .size:           8
        .value_kind:     global_buffer
      - .actual_access:  read_only
        .address_space:  global
        .offset:         48
        .size:           8
        .value_kind:     global_buffer
      - .offset:         56
        .size:           4
        .value_kind:     by_value
      - .actual_access:  read_only
        .address_space:  global
        .offset:         64
        .size:           8
        .value_kind:     global_buffer
      - .offset:         72
        .size:           4
        .value_kind:     by_value
      - .offset:         76
        .size:           4
        .value_kind:     by_value
      - .offset:         80
        .size:           4
        .value_kind:     by_value
      - .actual_access:  write_only
        .address_space:  global
        .offset:         88
        .size:           8
        .value_kind:     global_buffer
      - .actual_access:  write_only
        .address_space:  global
        .offset:         96
        .size:           8
        .value_kind:     global_buffer
      - .actual_access:  write_only
        .address_space:  global
        .offset:         104
        .size:           8
        .value_kind:     global_buffer
      - .actual_access:  read_only
        .address_space:  global
        .offset:         112
        .size:           8
        .value_kind:     global_buffer
      - .offset:         120
        .size:           4
        .value_kind:     by_value
      - .address_space:  global
        .offset:         128
        .size:           8
        .value_kind:     global_buffer
      - .address_space:  global
        .offset:         136
        .size:           8
        .value_kind:     global_buffer
      - .offset:         144
        .size:           4
        .value_kind:     hidden_block_count_x
      - .offset:         148
        .size:           4
        .value_kind:     hidden_block_count_y
      - .offset:         152
        .size:           4
        .value_kind:     hidden_block_count_z
      - .offset:         156
        .size:           2
        .value_kind:     hidden_group_size_x
      - .offset:         158
        .size:           2
        .value_kind:     hidden_group_size_y
      - .offset:         160
        .size:           2
        .value_kind:     hidden_group_size_z
      - .offset:         162
        .size:           2
        .value_kind:     hidden_remainder_x
      - .offset:         164
        .size:           2
        .value_kind:     hidden_remainder_y
      - .offset:         166
        .size:           2
        .value_kind:     hidden_remainder_z
      - .offset:         184
        .size:           8
        .value_kind:     hidden_global_offset_x
      - .offset:         192
        .size:           8
        .value_kind:     hidden_global_offset_y
      - .offset:         200
        .size:           8
        .value_kind:     hidden_global_offset_z
      - .offset:         208
        .size:           2
        .value_kind:     hidden_grid_dims
    .group_segment_fixed_size: 8192
    .kernarg_segment_align: 8
    .kernarg_segment_size: 400
    .language:       OpenCL C
    .language_version:
      - 2
      - 0
    .max_flat_workgroup_size: 256
    .name:           _Z39paged_attention_ll4mi_QKV_mfma16_kernelIDF16_DF16_LN4vllm18Fp8KVCacheDataTypeE0EDF16_Li16ELi64ELi256ELb0ELi4EL8MFMAType0EEvPKT_PKT0_S8_ifPKiSA_SA_iPKfiiiPfSD_PS3_PT2_iSC_SC_
    .private_segment_fixed_size: 0
    .sgpr_count:     50
    .sgpr_spill_count: 0
    .symbol:         _Z39paged_attention_ll4mi_QKV_mfma16_kernelIDF16_DF16_LN4vllm18Fp8KVCacheDataTypeE0EDF16_Li16ELi64ELi256ELb0ELi4EL8MFMAType0EEvPKT_PKT0_S8_ifPKiSA_SA_iPKfiiiPfSD_PS3_PT2_iSC_SC_.kd
    .uniform_work_group_size: 1
    .uses_dynamic_stack: false
    .vgpr_count:     68
    .vgpr_spill_count: 0
    .wavefront_size: 64
  - .agpr_count:     4
    .args:
      - .actual_access:  read_only
        .address_space:  global
        .offset:         0
        .size:           8
        .value_kind:     global_buffer
      - .actual_access:  read_only
        .address_space:  global
        .offset:         8
        .size:           8
        .value_kind:     global_buffer
      - .actual_access:  read_only
        .address_space:  global
        .offset:         16
        .size:           8
        .value_kind:     global_buffer
      - .offset:         24
        .size:           4
        .value_kind:     by_value
      - .offset:         28
        .size:           4
        .value_kind:     by_value
      - .actual_access:  read_only
        .address_space:  global
        .offset:         32
        .size:           8
        .value_kind:     global_buffer
      - .actual_access:  read_only
        .address_space:  global
        .offset:         40
        .size:           8
        .value_kind:     global_buffer
      - .actual_access:  read_only
        .address_space:  global
        .offset:         48
        .size:           8
        .value_kind:     global_buffer
      - .offset:         56
        .size:           4
        .value_kind:     by_value
      - .actual_access:  read_only
        .address_space:  global
        .offset:         64
        .size:           8
        .value_kind:     global_buffer
      - .offset:         72
        .size:           4
        .value_kind:     by_value
      - .offset:         76
        .size:           4
        .value_kind:     by_value
      - .offset:         80
        .size:           4
        .value_kind:     by_value
      - .actual_access:  write_only
        .address_space:  global
        .offset:         88
        .size:           8
        .value_kind:     global_buffer
      - .actual_access:  write_only
        .address_space:  global
        .offset:         96
        .size:           8
        .value_kind:     global_buffer
      - .actual_access:  write_only
        .address_space:  global
        .offset:         104
        .size:           8
        .value_kind:     global_buffer
      - .actual_access:  read_only
        .address_space:  global
        .offset:         112
        .size:           8
        .value_kind:     global_buffer
      - .offset:         120
        .size:           4
        .value_kind:     by_value
      - .address_space:  global
        .offset:         128
        .size:           8
        .value_kind:     global_buffer
      - .address_space:  global
        .offset:         136
        .size:           8
        .value_kind:     global_buffer
      - .offset:         144
        .size:           4
        .value_kind:     hidden_block_count_x
      - .offset:         148
        .size:           4
        .value_kind:     hidden_block_count_y
      - .offset:         152
        .size:           4
        .value_kind:     hidden_block_count_z
      - .offset:         156
        .size:           2
        .value_kind:     hidden_group_size_x
      - .offset:         158
        .size:           2
        .value_kind:     hidden_group_size_y
      - .offset:         160
        .size:           2
        .value_kind:     hidden_group_size_z
      - .offset:         162
        .size:           2
        .value_kind:     hidden_remainder_x
      - .offset:         164
        .size:           2
        .value_kind:     hidden_remainder_y
      - .offset:         166
        .size:           2
        .value_kind:     hidden_remainder_z
      - .offset:         184
        .size:           8
        .value_kind:     hidden_global_offset_x
      - .offset:         192
        .size:           8
        .value_kind:     hidden_global_offset_y
      - .offset:         200
        .size:           8
        .value_kind:     hidden_global_offset_z
      - .offset:         208
        .size:           2
        .value_kind:     hidden_grid_dims
    .group_segment_fixed_size: 2720
    .kernarg_segment_align: 8
    .kernarg_segment_size: 400
    .language:       OpenCL C
    .language_version:
      - 2
      - 0
    .max_flat_workgroup_size: 256
    .name:           _Z38paged_attention_ll4mi_QKV_mfma4_kernelIDF16_DF16_LN4vllm18Fp8KVCacheDataTypeE0EDF16_Li32ELi64ELi256ELb1ELi1EEvPKT_PKT0_S7_ifPKiS9_S9_iPKfiiiPfSC_PS2_PT2_iSB_SB_
    .private_segment_fixed_size: 0
    .sgpr_count:     42
    .sgpr_spill_count: 0
    .symbol:         _Z38paged_attention_ll4mi_QKV_mfma4_kernelIDF16_DF16_LN4vllm18Fp8KVCacheDataTypeE0EDF16_Li32ELi64ELi256ELb1ELi1EEvPKT_PKT0_S7_ifPKiS9_S9_iPKfiiiPfSC_PS2_PT2_iSB_SB_.kd
    .uniform_work_group_size: 1
    .uses_dynamic_stack: false
    .vgpr_count:     60
    .vgpr_spill_count: 0
    .wavefront_size: 64
  - .agpr_count:     4
    .args:
      - .actual_access:  read_only
        .address_space:  global
        .offset:         0
        .size:           8
        .value_kind:     global_buffer
      - .actual_access:  read_only
        .address_space:  global
        .offset:         8
        .size:           8
        .value_kind:     global_buffer
      - .actual_access:  read_only
        .address_space:  global
        .offset:         16
        .size:           8
        .value_kind:     global_buffer
      - .offset:         24
        .size:           4
        .value_kind:     by_value
      - .offset:         28
        .size:           4
        .value_kind:     by_value
      - .actual_access:  read_only
        .address_space:  global
        .offset:         32
        .size:           8
        .value_kind:     global_buffer
      - .actual_access:  read_only
        .address_space:  global
        .offset:         40
        .size:           8
        .value_kind:     global_buffer
      - .actual_access:  read_only
        .address_space:  global
        .offset:         48
        .size:           8
        .value_kind:     global_buffer
      - .offset:         56
        .size:           4
        .value_kind:     by_value
      - .actual_access:  read_only
        .address_space:  global
        .offset:         64
        .size:           8
        .value_kind:     global_buffer
      - .offset:         72
        .size:           4
        .value_kind:     by_value
      - .offset:         76
        .size:           4
        .value_kind:     by_value
      - .offset:         80
        .size:           4
        .value_kind:     by_value
      - .actual_access:  write_only
        .address_space:  global
        .offset:         88
        .size:           8
        .value_kind:     global_buffer
      - .actual_access:  write_only
        .address_space:  global
        .offset:         96
        .size:           8
        .value_kind:     global_buffer
      - .actual_access:  write_only
        .address_space:  global
        .offset:         104
        .size:           8
        .value_kind:     global_buffer
      - .actual_access:  read_only
        .address_space:  global
        .offset:         112
        .size:           8
        .value_kind:     global_buffer
      - .offset:         120
        .size:           4
        .value_kind:     by_value
      - .address_space:  global
        .offset:         128
        .size:           8
        .value_kind:     global_buffer
      - .address_space:  global
        .offset:         136
        .size:           8
        .value_kind:     global_buffer
      - .offset:         144
        .size:           4
        .value_kind:     hidden_block_count_x
      - .offset:         148
        .size:           4
        .value_kind:     hidden_block_count_y
      - .offset:         152
        .size:           4
        .value_kind:     hidden_block_count_z
      - .offset:         156
        .size:           2
        .value_kind:     hidden_group_size_x
      - .offset:         158
        .size:           2
        .value_kind:     hidden_group_size_y
      - .offset:         160
        .size:           2
        .value_kind:     hidden_group_size_z
      - .offset:         162
        .size:           2
        .value_kind:     hidden_remainder_x
      - .offset:         164
        .size:           2
        .value_kind:     hidden_remainder_y
      - .offset:         166
        .size:           2
        .value_kind:     hidden_remainder_z
      - .offset:         184
        .size:           8
        .value_kind:     hidden_global_offset_x
      - .offset:         192
        .size:           8
        .value_kind:     hidden_global_offset_y
      - .offset:         200
        .size:           8
        .value_kind:     hidden_global_offset_z
      - .offset:         208
        .size:           2
        .value_kind:     hidden_grid_dims
    .group_segment_fixed_size: 2720
    .kernarg_segment_align: 8
    .kernarg_segment_size: 400
    .language:       OpenCL C
    .language_version:
      - 2
      - 0
    .max_flat_workgroup_size: 256
    .name:           _Z38paged_attention_ll4mi_QKV_mfma4_kernelIDF16_DF16_LN4vllm18Fp8KVCacheDataTypeE0EDF16_Li32ELi64ELi256ELb1ELi2EEvPKT_PKT0_S7_ifPKiS9_S9_iPKfiiiPfSC_PS2_PT2_iSB_SB_
    .private_segment_fixed_size: 0
    .sgpr_count:     42
    .sgpr_spill_count: 0
    .symbol:         _Z38paged_attention_ll4mi_QKV_mfma4_kernelIDF16_DF16_LN4vllm18Fp8KVCacheDataTypeE0EDF16_Li32ELi64ELi256ELb1ELi2EEvPKT_PKT0_S7_ifPKiS9_S9_iPKfiiiPfSC_PS2_PT2_iSB_SB_.kd
    .uniform_work_group_size: 1
    .uses_dynamic_stack: false
    .vgpr_count:     60
    .vgpr_spill_count: 0
    .wavefront_size: 64
  - .agpr_count:     4
    .args:
      - .actual_access:  read_only
        .address_space:  global
        .offset:         0
        .size:           8
        .value_kind:     global_buffer
      - .actual_access:  read_only
        .address_space:  global
        .offset:         8
        .size:           8
        .value_kind:     global_buffer
      - .actual_access:  read_only
        .address_space:  global
        .offset:         16
        .size:           8
        .value_kind:     global_buffer
      - .offset:         24
        .size:           4
        .value_kind:     by_value
      - .offset:         28
        .size:           4
        .value_kind:     by_value
      - .actual_access:  read_only
        .address_space:  global
        .offset:         32
        .size:           8
        .value_kind:     global_buffer
      - .actual_access:  read_only
        .address_space:  global
        .offset:         40
        .size:           8
        .value_kind:     global_buffer
      - .actual_access:  read_only
        .address_space:  global
        .offset:         48
        .size:           8
        .value_kind:     global_buffer
      - .offset:         56
        .size:           4
        .value_kind:     by_value
      - .actual_access:  read_only
        .address_space:  global
        .offset:         64
        .size:           8
        .value_kind:     global_buffer
      - .offset:         72
        .size:           4
        .value_kind:     by_value
      - .offset:         76
        .size:           4
        .value_kind:     by_value
      - .offset:         80
        .size:           4
        .value_kind:     by_value
      - .actual_access:  write_only
        .address_space:  global
        .offset:         88
        .size:           8
        .value_kind:     global_buffer
      - .actual_access:  write_only
        .address_space:  global
        .offset:         96
        .size:           8
        .value_kind:     global_buffer
      - .actual_access:  write_only
        .address_space:  global
        .offset:         104
        .size:           8
        .value_kind:     global_buffer
      - .actual_access:  read_only
        .address_space:  global
        .offset:         112
        .size:           8
        .value_kind:     global_buffer
      - .offset:         120
        .size:           4
        .value_kind:     by_value
      - .address_space:  global
        .offset:         128
        .size:           8
        .value_kind:     global_buffer
      - .address_space:  global
        .offset:         136
        .size:           8
        .value_kind:     global_buffer
      - .offset:         144
        .size:           4
        .value_kind:     hidden_block_count_x
      - .offset:         148
        .size:           4
        .value_kind:     hidden_block_count_y
      - .offset:         152
        .size:           4
        .value_kind:     hidden_block_count_z
      - .offset:         156
        .size:           2
        .value_kind:     hidden_group_size_x
      - .offset:         158
        .size:           2
        .value_kind:     hidden_group_size_y
      - .offset:         160
        .size:           2
        .value_kind:     hidden_group_size_z
      - .offset:         162
        .size:           2
        .value_kind:     hidden_remainder_x
      - .offset:         164
        .size:           2
        .value_kind:     hidden_remainder_y
      - .offset:         166
        .size:           2
        .value_kind:     hidden_remainder_z
      - .offset:         184
        .size:           8
        .value_kind:     hidden_global_offset_x
      - .offset:         192
        .size:           8
        .value_kind:     hidden_global_offset_y
      - .offset:         200
        .size:           8
        .value_kind:     hidden_global_offset_z
      - .offset:         208
        .size:           2
        .value_kind:     hidden_grid_dims
    .group_segment_fixed_size: 2720
    .kernarg_segment_align: 8
    .kernarg_segment_size: 400
    .language:       OpenCL C
    .language_version:
      - 2
      - 0
    .max_flat_workgroup_size: 256
    .name:           _Z38paged_attention_ll4mi_QKV_mfma4_kernelIDF16_DF16_LN4vllm18Fp8KVCacheDataTypeE0EDF16_Li32ELi64ELi256ELb1ELi3EEvPKT_PKT0_S7_ifPKiS9_S9_iPKfiiiPfSC_PS2_PT2_iSB_SB_
    .private_segment_fixed_size: 0
    .sgpr_count:     42
    .sgpr_spill_count: 0
    .symbol:         _Z38paged_attention_ll4mi_QKV_mfma4_kernelIDF16_DF16_LN4vllm18Fp8KVCacheDataTypeE0EDF16_Li32ELi64ELi256ELb1ELi3EEvPKT_PKT0_S7_ifPKiS9_S9_iPKfiiiPfSC_PS2_PT2_iSB_SB_.kd
    .uniform_work_group_size: 1
    .uses_dynamic_stack: false
    .vgpr_count:     60
    .vgpr_spill_count: 0
    .wavefront_size: 64
  - .agpr_count:     4
    .args:
      - .actual_access:  read_only
        .address_space:  global
        .offset:         0
        .size:           8
        .value_kind:     global_buffer
      - .actual_access:  read_only
        .address_space:  global
        .offset:         8
        .size:           8
        .value_kind:     global_buffer
      - .actual_access:  read_only
        .address_space:  global
        .offset:         16
        .size:           8
        .value_kind:     global_buffer
      - .offset:         24
        .size:           4
        .value_kind:     by_value
      - .offset:         28
        .size:           4
        .value_kind:     by_value
      - .actual_access:  read_only
        .address_space:  global
        .offset:         32
        .size:           8
        .value_kind:     global_buffer
      - .actual_access:  read_only
        .address_space:  global
        .offset:         40
        .size:           8
        .value_kind:     global_buffer
      - .actual_access:  read_only
        .address_space:  global
        .offset:         48
        .size:           8
        .value_kind:     global_buffer
      - .offset:         56
        .size:           4
        .value_kind:     by_value
      - .actual_access:  read_only
        .address_space:  global
        .offset:         64
        .size:           8
        .value_kind:     global_buffer
      - .offset:         72
        .size:           4
        .value_kind:     by_value
      - .offset:         76
        .size:           4
        .value_kind:     by_value
      - .offset:         80
        .size:           4
        .value_kind:     by_value
      - .actual_access:  write_only
        .address_space:  global
        .offset:         88
        .size:           8
        .value_kind:     global_buffer
      - .actual_access:  write_only
        .address_space:  global
        .offset:         96
        .size:           8
        .value_kind:     global_buffer
      - .actual_access:  write_only
        .address_space:  global
        .offset:         104
        .size:           8
        .value_kind:     global_buffer
      - .actual_access:  read_only
        .address_space:  global
        .offset:         112
        .size:           8
        .value_kind:     global_buffer
      - .offset:         120
        .size:           4
        .value_kind:     by_value
      - .address_space:  global
        .offset:         128
        .size:           8
        .value_kind:     global_buffer
      - .address_space:  global
        .offset:         136
        .size:           8
        .value_kind:     global_buffer
      - .offset:         144
        .size:           4
        .value_kind:     hidden_block_count_x
      - .offset:         148
        .size:           4
        .value_kind:     hidden_block_count_y
      - .offset:         152
        .size:           4
        .value_kind:     hidden_block_count_z
      - .offset:         156
        .size:           2
        .value_kind:     hidden_group_size_x
      - .offset:         158
        .size:           2
        .value_kind:     hidden_group_size_y
      - .offset:         160
        .size:           2
        .value_kind:     hidden_group_size_z
      - .offset:         162
        .size:           2
        .value_kind:     hidden_remainder_x
      - .offset:         164
        .size:           2
        .value_kind:     hidden_remainder_y
      - .offset:         166
        .size:           2
        .value_kind:     hidden_remainder_z
      - .offset:         184
        .size:           8
        .value_kind:     hidden_global_offset_x
      - .offset:         192
        .size:           8
        .value_kind:     hidden_global_offset_y
      - .offset:         200
        .size:           8
        .value_kind:     hidden_global_offset_z
      - .offset:         208
        .size:           2
        .value_kind:     hidden_grid_dims
    .group_segment_fixed_size: 2720
    .kernarg_segment_align: 8
    .kernarg_segment_size: 400
    .language:       OpenCL C
    .language_version:
      - 2
      - 0
    .max_flat_workgroup_size: 256
    .name:           _Z38paged_attention_ll4mi_QKV_mfma4_kernelIDF16_DF16_LN4vllm18Fp8KVCacheDataTypeE0EDF16_Li32ELi64ELi256ELb1ELi4EEvPKT_PKT0_S7_ifPKiS9_S9_iPKfiiiPfSC_PS2_PT2_iSB_SB_
    .private_segment_fixed_size: 0
    .sgpr_count:     44
    .sgpr_spill_count: 0
    .symbol:         _Z38paged_attention_ll4mi_QKV_mfma4_kernelIDF16_DF16_LN4vllm18Fp8KVCacheDataTypeE0EDF16_Li32ELi64ELi256ELb1ELi4EEvPKT_PKT0_S7_ifPKiS9_S9_iPKfiiiPfSC_PS2_PT2_iSB_SB_.kd
    .uniform_work_group_size: 1
    .uses_dynamic_stack: false
    .vgpr_count:     68
    .vgpr_spill_count: 0
    .wavefront_size: 64
  - .agpr_count:     0
    .args:
      - .actual_access:  read_only
        .address_space:  global
        .offset:         0
        .size:           8
        .value_kind:     global_buffer
      - .actual_access:  read_only
        .address_space:  global
        .offset:         8
        .size:           8
        .value_kind:     global_buffer
      - .actual_access:  read_only
        .address_space:  global
        .offset:         16
        .size:           8
        .value_kind:     global_buffer
      - .offset:         24
        .size:           4
        .value_kind:     by_value
      - .offset:         28
        .size:           4
        .value_kind:     by_value
      - .actual_access:  read_only
        .address_space:  global
        .offset:         32
        .size:           8
        .value_kind:     global_buffer
      - .actual_access:  read_only
        .address_space:  global
        .offset:         40
        .size:           8
        .value_kind:     global_buffer
      - .actual_access:  read_only
        .address_space:  global
        .offset:         48
        .size:           8
        .value_kind:     global_buffer
      - .offset:         56
        .size:           4
        .value_kind:     by_value
      - .actual_access:  read_only
        .address_space:  global
        .offset:         64
        .size:           8
        .value_kind:     global_buffer
      - .offset:         72
        .size:           4
        .value_kind:     by_value
      - .offset:         76
        .size:           4
        .value_kind:     by_value
      - .offset:         80
        .size:           4
        .value_kind:     by_value
      - .actual_access:  write_only
        .address_space:  global
        .offset:         88
        .size:           8
        .value_kind:     global_buffer
      - .actual_access:  write_only
        .address_space:  global
        .offset:         96
        .size:           8
        .value_kind:     global_buffer
      - .actual_access:  write_only
        .address_space:  global
        .offset:         104
        .size:           8
        .value_kind:     global_buffer
      - .actual_access:  read_only
        .address_space:  global
        .offset:         112
        .size:           8
        .value_kind:     global_buffer
      - .offset:         120
        .size:           4
        .value_kind:     by_value
      - .address_space:  global
        .offset:         128
        .size:           8
        .value_kind:     global_buffer
      - .address_space:  global
        .offset:         136
        .size:           8
        .value_kind:     global_buffer
      - .offset:         144
        .size:           4
        .value_kind:     hidden_block_count_x
      - .offset:         148
        .size:           4
        .value_kind:     hidden_block_count_y
      - .offset:         152
        .size:           4
        .value_kind:     hidden_block_count_z
      - .offset:         156
        .size:           2
        .value_kind:     hidden_group_size_x
      - .offset:         158
        .size:           2
        .value_kind:     hidden_group_size_y
      - .offset:         160
        .size:           2
        .value_kind:     hidden_group_size_z
      - .offset:         162
        .size:           2
        .value_kind:     hidden_remainder_x
      - .offset:         164
        .size:           2
        .value_kind:     hidden_remainder_y
      - .offset:         166
        .size:           2
        .value_kind:     hidden_remainder_z
      - .offset:         184
        .size:           8
        .value_kind:     hidden_global_offset_x
      - .offset:         192
        .size:           8
        .value_kind:     hidden_global_offset_y
      - .offset:         200
        .size:           8
        .value_kind:     hidden_global_offset_z
      - .offset:         208
        .size:           2
        .value_kind:     hidden_grid_dims
    .group_segment_fixed_size: 8192
    .kernarg_segment_align: 8
    .kernarg_segment_size: 400
    .language:       OpenCL C
    .language_version:
      - 2
      - 0
    .max_flat_workgroup_size: 256
    .name:           _Z39paged_attention_ll4mi_QKV_mfma16_kernelIDF16_DF16_LN4vllm18Fp8KVCacheDataTypeE0EDF16_Li32ELi64ELi256ELb1ELi5EL8MFMAType0EEvPKT_PKT0_S8_ifPKiSA_SA_iPKfiiiPfSD_PS3_PT2_iSC_SC_
    .private_segment_fixed_size: 0
    .sgpr_count:     52
    .sgpr_spill_count: 0
    .symbol:         _Z39paged_attention_ll4mi_QKV_mfma16_kernelIDF16_DF16_LN4vllm18Fp8KVCacheDataTypeE0EDF16_Li32ELi64ELi256ELb1ELi5EL8MFMAType0EEvPKT_PKT0_S8_ifPKiSA_SA_iPKfiiiPfSD_PS3_PT2_iSC_SC_.kd
    .uniform_work_group_size: 1
    .uses_dynamic_stack: false
    .vgpr_count:     66
    .vgpr_spill_count: 0
    .wavefront_size: 64
  - .agpr_count:     0
    .args:
      - .actual_access:  read_only
        .address_space:  global
        .offset:         0
        .size:           8
        .value_kind:     global_buffer
      - .actual_access:  read_only
        .address_space:  global
        .offset:         8
        .size:           8
        .value_kind:     global_buffer
      - .actual_access:  read_only
        .address_space:  global
        .offset:         16
        .size:           8
        .value_kind:     global_buffer
      - .offset:         24
        .size:           4
        .value_kind:     by_value
      - .offset:         28
        .size:           4
        .value_kind:     by_value
      - .actual_access:  read_only
        .address_space:  global
        .offset:         32
        .size:           8
        .value_kind:     global_buffer
      - .actual_access:  read_only
        .address_space:  global
        .offset:         40
        .size:           8
        .value_kind:     global_buffer
      - .actual_access:  read_only
        .address_space:  global
        .offset:         48
        .size:           8
        .value_kind:     global_buffer
      - .offset:         56
        .size:           4
        .value_kind:     by_value
      - .actual_access:  read_only
        .address_space:  global
        .offset:         64
        .size:           8
        .value_kind:     global_buffer
      - .offset:         72
        .size:           4
        .value_kind:     by_value
      - .offset:         76
        .size:           4
        .value_kind:     by_value
      - .offset:         80
        .size:           4
        .value_kind:     by_value
      - .actual_access:  write_only
        .address_space:  global
        .offset:         88
        .size:           8
        .value_kind:     global_buffer
      - .actual_access:  write_only
        .address_space:  global
        .offset:         96
        .size:           8
        .value_kind:     global_buffer
      - .actual_access:  write_only
        .address_space:  global
        .offset:         104
        .size:           8
        .value_kind:     global_buffer
      - .actual_access:  read_only
        .address_space:  global
        .offset:         112
        .size:           8
        .value_kind:     global_buffer
      - .offset:         120
        .size:           4
        .value_kind:     by_value
      - .address_space:  global
        .offset:         128
        .size:           8
        .value_kind:     global_buffer
      - .address_space:  global
        .offset:         136
        .size:           8
        .value_kind:     global_buffer
      - .offset:         144
        .size:           4
        .value_kind:     hidden_block_count_x
      - .offset:         148
        .size:           4
        .value_kind:     hidden_block_count_y
      - .offset:         152
        .size:           4
        .value_kind:     hidden_block_count_z
      - .offset:         156
        .size:           2
        .value_kind:     hidden_group_size_x
      - .offset:         158
        .size:           2
        .value_kind:     hidden_group_size_y
      - .offset:         160
        .size:           2
        .value_kind:     hidden_group_size_z
      - .offset:         162
        .size:           2
        .value_kind:     hidden_remainder_x
      - .offset:         164
        .size:           2
        .value_kind:     hidden_remainder_y
      - .offset:         166
        .size:           2
        .value_kind:     hidden_remainder_z
      - .offset:         184
        .size:           8
        .value_kind:     hidden_global_offset_x
      - .offset:         192
        .size:           8
        .value_kind:     hidden_global_offset_y
      - .offset:         200
        .size:           8
        .value_kind:     hidden_global_offset_z
      - .offset:         208
        .size:           2
        .value_kind:     hidden_grid_dims
    .group_segment_fixed_size: 8192
    .kernarg_segment_align: 8
    .kernarg_segment_size: 400
    .language:       OpenCL C
    .language_version:
      - 2
      - 0
    .max_flat_workgroup_size: 256
    .name:           _Z39paged_attention_ll4mi_QKV_mfma16_kernelIDF16_DF16_LN4vllm18Fp8KVCacheDataTypeE0EDF16_Li32ELi64ELi256ELb1ELi6EL8MFMAType0EEvPKT_PKT0_S8_ifPKiSA_SA_iPKfiiiPfSD_PS3_PT2_iSC_SC_
    .private_segment_fixed_size: 0
    .sgpr_count:     52
    .sgpr_spill_count: 0
    .symbol:         _Z39paged_attention_ll4mi_QKV_mfma16_kernelIDF16_DF16_LN4vllm18Fp8KVCacheDataTypeE0EDF16_Li32ELi64ELi256ELb1ELi6EL8MFMAType0EEvPKT_PKT0_S8_ifPKiSA_SA_iPKfiiiPfSD_PS3_PT2_iSC_SC_.kd
    .uniform_work_group_size: 1
    .uses_dynamic_stack: false
    .vgpr_count:     66
    .vgpr_spill_count: 0
    .wavefront_size: 64
  - .agpr_count:     0
    .args:
      - .actual_access:  read_only
        .address_space:  global
        .offset:         0
        .size:           8
        .value_kind:     global_buffer
      - .actual_access:  read_only
        .address_space:  global
        .offset:         8
        .size:           8
        .value_kind:     global_buffer
      - .actual_access:  read_only
        .address_space:  global
        .offset:         16
        .size:           8
        .value_kind:     global_buffer
      - .offset:         24
        .size:           4
        .value_kind:     by_value
      - .offset:         28
        .size:           4
        .value_kind:     by_value
      - .actual_access:  read_only
        .address_space:  global
        .offset:         32
        .size:           8
        .value_kind:     global_buffer
      - .actual_access:  read_only
        .address_space:  global
        .offset:         40
        .size:           8
        .value_kind:     global_buffer
      - .actual_access:  read_only
        .address_space:  global
        .offset:         48
        .size:           8
        .value_kind:     global_buffer
      - .offset:         56
        .size:           4
        .value_kind:     by_value
      - .actual_access:  read_only
        .address_space:  global
        .offset:         64
        .size:           8
        .value_kind:     global_buffer
      - .offset:         72
        .size:           4
        .value_kind:     by_value
      - .offset:         76
        .size:           4
        .value_kind:     by_value
      - .offset:         80
        .size:           4
        .value_kind:     by_value
      - .actual_access:  write_only
        .address_space:  global
        .offset:         88
        .size:           8
        .value_kind:     global_buffer
      - .actual_access:  write_only
        .address_space:  global
        .offset:         96
        .size:           8
        .value_kind:     global_buffer
      - .actual_access:  write_only
        .address_space:  global
        .offset:         104
        .size:           8
        .value_kind:     global_buffer
      - .actual_access:  read_only
        .address_space:  global
        .offset:         112
        .size:           8
        .value_kind:     global_buffer
      - .offset:         120
        .size:           4
        .value_kind:     by_value
      - .address_space:  global
        .offset:         128
        .size:           8
        .value_kind:     global_buffer
      - .address_space:  global
        .offset:         136
        .size:           8
        .value_kind:     global_buffer
      - .offset:         144
        .size:           4
        .value_kind:     hidden_block_count_x
      - .offset:         148
        .size:           4
        .value_kind:     hidden_block_count_y
      - .offset:         152
        .size:           4
        .value_kind:     hidden_block_count_z
      - .offset:         156
        .size:           2
        .value_kind:     hidden_group_size_x
      - .offset:         158
        .size:           2
        .value_kind:     hidden_group_size_y
      - .offset:         160
        .size:           2
        .value_kind:     hidden_group_size_z
      - .offset:         162
        .size:           2
        .value_kind:     hidden_remainder_x
      - .offset:         164
        .size:           2
        .value_kind:     hidden_remainder_y
      - .offset:         166
        .size:           2
        .value_kind:     hidden_remainder_z
      - .offset:         184
        .size:           8
        .value_kind:     hidden_global_offset_x
      - .offset:         192
        .size:           8
        .value_kind:     hidden_global_offset_y
      - .offset:         200
        .size:           8
        .value_kind:     hidden_global_offset_z
      - .offset:         208
        .size:           2
        .value_kind:     hidden_grid_dims
    .group_segment_fixed_size: 8192
    .kernarg_segment_align: 8
    .kernarg_segment_size: 400
    .language:       OpenCL C
    .language_version:
      - 2
      - 0
    .max_flat_workgroup_size: 256
    .name:           _Z39paged_attention_ll4mi_QKV_mfma16_kernelIDF16_DF16_LN4vllm18Fp8KVCacheDataTypeE0EDF16_Li32ELi64ELi256ELb1ELi7EL8MFMAType0EEvPKT_PKT0_S8_ifPKiSA_SA_iPKfiiiPfSD_PS3_PT2_iSC_SC_
    .private_segment_fixed_size: 0
    .sgpr_count:     52
    .sgpr_spill_count: 0
    .symbol:         _Z39paged_attention_ll4mi_QKV_mfma16_kernelIDF16_DF16_LN4vllm18Fp8KVCacheDataTypeE0EDF16_Li32ELi64ELi256ELb1ELi7EL8MFMAType0EEvPKT_PKT0_S8_ifPKiSA_SA_iPKfiiiPfSD_PS3_PT2_iSC_SC_.kd
    .uniform_work_group_size: 1
    .uses_dynamic_stack: false
    .vgpr_count:     66
    .vgpr_spill_count: 0
    .wavefront_size: 64
  - .agpr_count:     0
    .args:
      - .actual_access:  read_only
        .address_space:  global
        .offset:         0
        .size:           8
        .value_kind:     global_buffer
      - .actual_access:  read_only
        .address_space:  global
        .offset:         8
        .size:           8
        .value_kind:     global_buffer
      - .actual_access:  read_only
        .address_space:  global
        .offset:         16
        .size:           8
        .value_kind:     global_buffer
      - .offset:         24
        .size:           4
        .value_kind:     by_value
      - .offset:         28
        .size:           4
        .value_kind:     by_value
      - .actual_access:  read_only
        .address_space:  global
        .offset:         32
        .size:           8
        .value_kind:     global_buffer
      - .actual_access:  read_only
        .address_space:  global
        .offset:         40
        .size:           8
        .value_kind:     global_buffer
      - .actual_access:  read_only
        .address_space:  global
        .offset:         48
        .size:           8
        .value_kind:     global_buffer
      - .offset:         56
        .size:           4
        .value_kind:     by_value
      - .actual_access:  read_only
        .address_space:  global
        .offset:         64
        .size:           8
        .value_kind:     global_buffer
      - .offset:         72
        .size:           4
        .value_kind:     by_value
      - .offset:         76
        .size:           4
        .value_kind:     by_value
      - .offset:         80
        .size:           4
        .value_kind:     by_value
      - .actual_access:  write_only
        .address_space:  global
        .offset:         88
        .size:           8
        .value_kind:     global_buffer
      - .actual_access:  write_only
        .address_space:  global
        .offset:         96
        .size:           8
        .value_kind:     global_buffer
      - .actual_access:  write_only
        .address_space:  global
        .offset:         104
        .size:           8
        .value_kind:     global_buffer
      - .actual_access:  read_only
        .address_space:  global
        .offset:         112
        .size:           8
        .value_kind:     global_buffer
      - .offset:         120
        .size:           4
        .value_kind:     by_value
      - .address_space:  global
        .offset:         128
        .size:           8
        .value_kind:     global_buffer
      - .address_space:  global
        .offset:         136
        .size:           8
        .value_kind:     global_buffer
      - .offset:         144
        .size:           4
        .value_kind:     hidden_block_count_x
      - .offset:         148
        .size:           4
        .value_kind:     hidden_block_count_y
      - .offset:         152
        .size:           4
        .value_kind:     hidden_block_count_z
      - .offset:         156
        .size:           2
        .value_kind:     hidden_group_size_x
      - .offset:         158
        .size:           2
        .value_kind:     hidden_group_size_y
      - .offset:         160
        .size:           2
        .value_kind:     hidden_group_size_z
      - .offset:         162
        .size:           2
        .value_kind:     hidden_remainder_x
      - .offset:         164
        .size:           2
        .value_kind:     hidden_remainder_y
      - .offset:         166
        .size:           2
        .value_kind:     hidden_remainder_z
      - .offset:         184
        .size:           8
        .value_kind:     hidden_global_offset_x
      - .offset:         192
        .size:           8
        .value_kind:     hidden_global_offset_y
      - .offset:         200
        .size:           8
        .value_kind:     hidden_global_offset_z
      - .offset:         208
        .size:           2
        .value_kind:     hidden_grid_dims
    .group_segment_fixed_size: 8192
    .kernarg_segment_align: 8
    .kernarg_segment_size: 400
    .language:       OpenCL C
    .language_version:
      - 2
      - 0
    .max_flat_workgroup_size: 256
    .name:           _Z39paged_attention_ll4mi_QKV_mfma16_kernelIDF16_DF16_LN4vllm18Fp8KVCacheDataTypeE0EDF16_Li32ELi64ELi256ELb1ELi8EL8MFMAType0EEvPKT_PKT0_S8_ifPKiSA_SA_iPKfiiiPfSD_PS3_PT2_iSC_SC_
    .private_segment_fixed_size: 0
    .sgpr_count:     52
    .sgpr_spill_count: 0
    .symbol:         _Z39paged_attention_ll4mi_QKV_mfma16_kernelIDF16_DF16_LN4vllm18Fp8KVCacheDataTypeE0EDF16_Li32ELi64ELi256ELb1ELi8EL8MFMAType0EEvPKT_PKT0_S8_ifPKiSA_SA_iPKfiiiPfSD_PS3_PT2_iSC_SC_.kd
    .uniform_work_group_size: 1
    .uses_dynamic_stack: false
    .vgpr_count:     66
    .vgpr_spill_count: 0
    .wavefront_size: 64
  - .agpr_count:     0
    .args:
      - .actual_access:  read_only
        .address_space:  global
        .offset:         0
        .size:           8
        .value_kind:     global_buffer
      - .actual_access:  read_only
        .address_space:  global
        .offset:         8
        .size:           8
        .value_kind:     global_buffer
      - .actual_access:  read_only
        .address_space:  global
        .offset:         16
        .size:           8
        .value_kind:     global_buffer
      - .offset:         24
        .size:           4
        .value_kind:     by_value
      - .offset:         28
        .size:           4
        .value_kind:     by_value
      - .actual_access:  read_only
        .address_space:  global
        .offset:         32
        .size:           8
        .value_kind:     global_buffer
      - .actual_access:  read_only
        .address_space:  global
        .offset:         40
        .size:           8
        .value_kind:     global_buffer
      - .actual_access:  read_only
        .address_space:  global
        .offset:         48
        .size:           8
        .value_kind:     global_buffer
      - .offset:         56
        .size:           4
        .value_kind:     by_value
      - .actual_access:  read_only
        .address_space:  global
        .offset:         64
        .size:           8
        .value_kind:     global_buffer
      - .offset:         72
        .size:           4
        .value_kind:     by_value
      - .offset:         76
        .size:           4
        .value_kind:     by_value
      - .offset:         80
        .size:           4
        .value_kind:     by_value
      - .actual_access:  write_only
        .address_space:  global
        .offset:         88
        .size:           8
        .value_kind:     global_buffer
      - .actual_access:  write_only
        .address_space:  global
        .offset:         96
        .size:           8
        .value_kind:     global_buffer
      - .actual_access:  write_only
        .address_space:  global
        .offset:         104
        .size:           8
        .value_kind:     global_buffer
      - .actual_access:  read_only
        .address_space:  global
        .offset:         112
        .size:           8
        .value_kind:     global_buffer
      - .offset:         120
        .size:           4
        .value_kind:     by_value
      - .address_space:  global
        .offset:         128
        .size:           8
        .value_kind:     global_buffer
      - .address_space:  global
        .offset:         136
        .size:           8
        .value_kind:     global_buffer
      - .offset:         144
        .size:           4
        .value_kind:     hidden_block_count_x
      - .offset:         148
        .size:           4
        .value_kind:     hidden_block_count_y
      - .offset:         152
        .size:           4
        .value_kind:     hidden_block_count_z
      - .offset:         156
        .size:           2
        .value_kind:     hidden_group_size_x
      - .offset:         158
        .size:           2
        .value_kind:     hidden_group_size_y
      - .offset:         160
        .size:           2
        .value_kind:     hidden_group_size_z
      - .offset:         162
        .size:           2
        .value_kind:     hidden_remainder_x
      - .offset:         164
        .size:           2
        .value_kind:     hidden_remainder_y
      - .offset:         166
        .size:           2
        .value_kind:     hidden_remainder_z
      - .offset:         184
        .size:           8
        .value_kind:     hidden_global_offset_x
      - .offset:         192
        .size:           8
        .value_kind:     hidden_global_offset_y
      - .offset:         200
        .size:           8
        .value_kind:     hidden_global_offset_z
      - .offset:         208
        .size:           2
        .value_kind:     hidden_grid_dims
    .group_segment_fixed_size: 8192
    .kernarg_segment_align: 8
    .kernarg_segment_size: 400
    .language:       OpenCL C
    .language_version:
      - 2
      - 0
    .max_flat_workgroup_size: 256
    .name:           _Z39paged_attention_ll4mi_QKV_mfma16_kernelIDF16_DF16_LN4vllm18Fp8KVCacheDataTypeE0EDF16_Li32ELi64ELi256ELb1ELi9EL8MFMAType0EEvPKT_PKT0_S8_ifPKiSA_SA_iPKfiiiPfSD_PS3_PT2_iSC_SC_
    .private_segment_fixed_size: 0
    .sgpr_count:     52
    .sgpr_spill_count: 0
    .symbol:         _Z39paged_attention_ll4mi_QKV_mfma16_kernelIDF16_DF16_LN4vllm18Fp8KVCacheDataTypeE0EDF16_Li32ELi64ELi256ELb1ELi9EL8MFMAType0EEvPKT_PKT0_S8_ifPKiSA_SA_iPKfiiiPfSD_PS3_PT2_iSC_SC_.kd
    .uniform_work_group_size: 1
    .uses_dynamic_stack: false
    .vgpr_count:     66
    .vgpr_spill_count: 0
    .wavefront_size: 64
  - .agpr_count:     0
    .args:
      - .actual_access:  read_only
        .address_space:  global
        .offset:         0
        .size:           8
        .value_kind:     global_buffer
      - .actual_access:  read_only
        .address_space:  global
        .offset:         8
        .size:           8
        .value_kind:     global_buffer
      - .actual_access:  read_only
        .address_space:  global
        .offset:         16
        .size:           8
        .value_kind:     global_buffer
      - .offset:         24
        .size:           4
        .value_kind:     by_value
      - .offset:         28
        .size:           4
        .value_kind:     by_value
      - .actual_access:  read_only
        .address_space:  global
        .offset:         32
        .size:           8
        .value_kind:     global_buffer
      - .actual_access:  read_only
        .address_space:  global
        .offset:         40
        .size:           8
        .value_kind:     global_buffer
      - .actual_access:  read_only
        .address_space:  global
        .offset:         48
        .size:           8
        .value_kind:     global_buffer
      - .offset:         56
        .size:           4
        .value_kind:     by_value
      - .actual_access:  read_only
        .address_space:  global
        .offset:         64
        .size:           8
        .value_kind:     global_buffer
      - .offset:         72
        .size:           4
        .value_kind:     by_value
      - .offset:         76
        .size:           4
        .value_kind:     by_value
      - .offset:         80
        .size:           4
        .value_kind:     by_value
      - .actual_access:  write_only
        .address_space:  global
        .offset:         88
        .size:           8
        .value_kind:     global_buffer
      - .actual_access:  write_only
        .address_space:  global
        .offset:         96
        .size:           8
        .value_kind:     global_buffer
      - .actual_access:  write_only
        .address_space:  global
        .offset:         104
        .size:           8
        .value_kind:     global_buffer
      - .actual_access:  read_only
        .address_space:  global
        .offset:         112
        .size:           8
        .value_kind:     global_buffer
      - .offset:         120
        .size:           4
        .value_kind:     by_value
      - .address_space:  global
        .offset:         128
        .size:           8
        .value_kind:     global_buffer
      - .address_space:  global
        .offset:         136
        .size:           8
        .value_kind:     global_buffer
      - .offset:         144
        .size:           4
        .value_kind:     hidden_block_count_x
      - .offset:         148
        .size:           4
        .value_kind:     hidden_block_count_y
      - .offset:         152
        .size:           4
        .value_kind:     hidden_block_count_z
      - .offset:         156
        .size:           2
        .value_kind:     hidden_group_size_x
      - .offset:         158
        .size:           2
        .value_kind:     hidden_group_size_y
      - .offset:         160
        .size:           2
        .value_kind:     hidden_group_size_z
      - .offset:         162
        .size:           2
        .value_kind:     hidden_remainder_x
      - .offset:         164
        .size:           2
        .value_kind:     hidden_remainder_y
      - .offset:         166
        .size:           2
        .value_kind:     hidden_remainder_z
      - .offset:         184
        .size:           8
        .value_kind:     hidden_global_offset_x
      - .offset:         192
        .size:           8
        .value_kind:     hidden_global_offset_y
      - .offset:         200
        .size:           8
        .value_kind:     hidden_global_offset_z
      - .offset:         208
        .size:           2
        .value_kind:     hidden_grid_dims
    .group_segment_fixed_size: 8192
    .kernarg_segment_align: 8
    .kernarg_segment_size: 400
    .language:       OpenCL C
    .language_version:
      - 2
      - 0
    .max_flat_workgroup_size: 256
    .name:           _Z39paged_attention_ll4mi_QKV_mfma16_kernelIDF16_DF16_LN4vllm18Fp8KVCacheDataTypeE0EDF16_Li32ELi64ELi256ELb1ELi10EL8MFMAType0EEvPKT_PKT0_S8_ifPKiSA_SA_iPKfiiiPfSD_PS3_PT2_iSC_SC_
    .private_segment_fixed_size: 0
    .sgpr_count:     52
    .sgpr_spill_count: 0
    .symbol:         _Z39paged_attention_ll4mi_QKV_mfma16_kernelIDF16_DF16_LN4vllm18Fp8KVCacheDataTypeE0EDF16_Li32ELi64ELi256ELb1ELi10EL8MFMAType0EEvPKT_PKT0_S8_ifPKiSA_SA_iPKfiiiPfSD_PS3_PT2_iSC_SC_.kd
    .uniform_work_group_size: 1
    .uses_dynamic_stack: false
    .vgpr_count:     66
    .vgpr_spill_count: 0
    .wavefront_size: 64
  - .agpr_count:     0
    .args:
      - .actual_access:  read_only
        .address_space:  global
        .offset:         0
        .size:           8
        .value_kind:     global_buffer
      - .actual_access:  read_only
        .address_space:  global
        .offset:         8
        .size:           8
        .value_kind:     global_buffer
      - .actual_access:  read_only
        .address_space:  global
        .offset:         16
        .size:           8
        .value_kind:     global_buffer
      - .offset:         24
        .size:           4
        .value_kind:     by_value
      - .offset:         28
        .size:           4
        .value_kind:     by_value
      - .actual_access:  read_only
        .address_space:  global
        .offset:         32
        .size:           8
        .value_kind:     global_buffer
      - .actual_access:  read_only
        .address_space:  global
        .offset:         40
        .size:           8
        .value_kind:     global_buffer
      - .actual_access:  read_only
        .address_space:  global
        .offset:         48
        .size:           8
        .value_kind:     global_buffer
      - .offset:         56
        .size:           4
        .value_kind:     by_value
      - .actual_access:  read_only
        .address_space:  global
        .offset:         64
        .size:           8
        .value_kind:     global_buffer
      - .offset:         72
        .size:           4
        .value_kind:     by_value
      - .offset:         76
        .size:           4
        .value_kind:     by_value
      - .offset:         80
        .size:           4
        .value_kind:     by_value
      - .actual_access:  write_only
        .address_space:  global
        .offset:         88
        .size:           8
        .value_kind:     global_buffer
      - .actual_access:  write_only
        .address_space:  global
        .offset:         96
        .size:           8
        .value_kind:     global_buffer
      - .actual_access:  write_only
        .address_space:  global
        .offset:         104
        .size:           8
        .value_kind:     global_buffer
      - .actual_access:  read_only
        .address_space:  global
        .offset:         112
        .size:           8
        .value_kind:     global_buffer
      - .offset:         120
        .size:           4
        .value_kind:     by_value
      - .address_space:  global
        .offset:         128
        .size:           8
        .value_kind:     global_buffer
      - .address_space:  global
        .offset:         136
        .size:           8
        .value_kind:     global_buffer
      - .offset:         144
        .size:           4
        .value_kind:     hidden_block_count_x
      - .offset:         148
        .size:           4
        .value_kind:     hidden_block_count_y
      - .offset:         152
        .size:           4
        .value_kind:     hidden_block_count_z
      - .offset:         156
        .size:           2
        .value_kind:     hidden_group_size_x
      - .offset:         158
        .size:           2
        .value_kind:     hidden_group_size_y
      - .offset:         160
        .size:           2
        .value_kind:     hidden_group_size_z
      - .offset:         162
        .size:           2
        .value_kind:     hidden_remainder_x
      - .offset:         164
        .size:           2
        .value_kind:     hidden_remainder_y
      - .offset:         166
        .size:           2
        .value_kind:     hidden_remainder_z
      - .offset:         184
        .size:           8
        .value_kind:     hidden_global_offset_x
      - .offset:         192
        .size:           8
        .value_kind:     hidden_global_offset_y
      - .offset:         200
        .size:           8
        .value_kind:     hidden_global_offset_z
      - .offset:         208
        .size:           2
        .value_kind:     hidden_grid_dims
    .group_segment_fixed_size: 8192
    .kernarg_segment_align: 8
    .kernarg_segment_size: 400
    .language:       OpenCL C
    .language_version:
      - 2
      - 0
    .max_flat_workgroup_size: 256
    .name:           _Z39paged_attention_ll4mi_QKV_mfma16_kernelIDF16_DF16_LN4vllm18Fp8KVCacheDataTypeE0EDF16_Li32ELi64ELi256ELb1ELi11EL8MFMAType0EEvPKT_PKT0_S8_ifPKiSA_SA_iPKfiiiPfSD_PS3_PT2_iSC_SC_
    .private_segment_fixed_size: 0
    .sgpr_count:     52
    .sgpr_spill_count: 0
    .symbol:         _Z39paged_attention_ll4mi_QKV_mfma16_kernelIDF16_DF16_LN4vllm18Fp8KVCacheDataTypeE0EDF16_Li32ELi64ELi256ELb1ELi11EL8MFMAType0EEvPKT_PKT0_S8_ifPKiSA_SA_iPKfiiiPfSD_PS3_PT2_iSC_SC_.kd
    .uniform_work_group_size: 1
    .uses_dynamic_stack: false
    .vgpr_count:     66
    .vgpr_spill_count: 0
    .wavefront_size: 64
  - .agpr_count:     0
    .args:
      - .actual_access:  read_only
        .address_space:  global
        .offset:         0
        .size:           8
        .value_kind:     global_buffer
      - .actual_access:  read_only
        .address_space:  global
        .offset:         8
        .size:           8
        .value_kind:     global_buffer
      - .actual_access:  read_only
        .address_space:  global
        .offset:         16
        .size:           8
        .value_kind:     global_buffer
      - .offset:         24
        .size:           4
        .value_kind:     by_value
      - .offset:         28
        .size:           4
        .value_kind:     by_value
      - .actual_access:  read_only
        .address_space:  global
        .offset:         32
        .size:           8
        .value_kind:     global_buffer
      - .actual_access:  read_only
        .address_space:  global
        .offset:         40
        .size:           8
        .value_kind:     global_buffer
      - .actual_access:  read_only
        .address_space:  global
        .offset:         48
        .size:           8
        .value_kind:     global_buffer
      - .offset:         56
        .size:           4
        .value_kind:     by_value
      - .actual_access:  read_only
        .address_space:  global
        .offset:         64
        .size:           8
        .value_kind:     global_buffer
      - .offset:         72
        .size:           4
        .value_kind:     by_value
      - .offset:         76
        .size:           4
        .value_kind:     by_value
      - .offset:         80
        .size:           4
        .value_kind:     by_value
      - .actual_access:  write_only
        .address_space:  global
        .offset:         88
        .size:           8
        .value_kind:     global_buffer
      - .actual_access:  write_only
        .address_space:  global
        .offset:         96
        .size:           8
        .value_kind:     global_buffer
      - .actual_access:  write_only
        .address_space:  global
        .offset:         104
        .size:           8
        .value_kind:     global_buffer
      - .actual_access:  read_only
        .address_space:  global
        .offset:         112
        .size:           8
        .value_kind:     global_buffer
      - .offset:         120
        .size:           4
        .value_kind:     by_value
      - .address_space:  global
        .offset:         128
        .size:           8
        .value_kind:     global_buffer
      - .address_space:  global
        .offset:         136
        .size:           8
        .value_kind:     global_buffer
      - .offset:         144
        .size:           4
        .value_kind:     hidden_block_count_x
      - .offset:         148
        .size:           4
        .value_kind:     hidden_block_count_y
      - .offset:         152
        .size:           4
        .value_kind:     hidden_block_count_z
      - .offset:         156
        .size:           2
        .value_kind:     hidden_group_size_x
      - .offset:         158
        .size:           2
        .value_kind:     hidden_group_size_y
      - .offset:         160
        .size:           2
        .value_kind:     hidden_group_size_z
      - .offset:         162
        .size:           2
        .value_kind:     hidden_remainder_x
      - .offset:         164
        .size:           2
        .value_kind:     hidden_remainder_y
      - .offset:         166
        .size:           2
        .value_kind:     hidden_remainder_z
      - .offset:         184
        .size:           8
        .value_kind:     hidden_global_offset_x
      - .offset:         192
        .size:           8
        .value_kind:     hidden_global_offset_y
      - .offset:         200
        .size:           8
        .value_kind:     hidden_global_offset_z
      - .offset:         208
        .size:           2
        .value_kind:     hidden_grid_dims
    .group_segment_fixed_size: 8192
    .kernarg_segment_align: 8
    .kernarg_segment_size: 400
    .language:       OpenCL C
    .language_version:
      - 2
      - 0
    .max_flat_workgroup_size: 256
    .name:           _Z39paged_attention_ll4mi_QKV_mfma16_kernelIDF16_DF16_LN4vllm18Fp8KVCacheDataTypeE0EDF16_Li32ELi64ELi256ELb1ELi12EL8MFMAType0EEvPKT_PKT0_S8_ifPKiSA_SA_iPKfiiiPfSD_PS3_PT2_iSC_SC_
    .private_segment_fixed_size: 0
    .sgpr_count:     52
    .sgpr_spill_count: 0
    .symbol:         _Z39paged_attention_ll4mi_QKV_mfma16_kernelIDF16_DF16_LN4vllm18Fp8KVCacheDataTypeE0EDF16_Li32ELi64ELi256ELb1ELi12EL8MFMAType0EEvPKT_PKT0_S8_ifPKiSA_SA_iPKfiiiPfSD_PS3_PT2_iSC_SC_.kd
    .uniform_work_group_size: 1
    .uses_dynamic_stack: false
    .vgpr_count:     66
    .vgpr_spill_count: 0
    .wavefront_size: 64
  - .agpr_count:     0
    .args:
      - .actual_access:  read_only
        .address_space:  global
        .offset:         0
        .size:           8
        .value_kind:     global_buffer
      - .actual_access:  read_only
        .address_space:  global
        .offset:         8
        .size:           8
        .value_kind:     global_buffer
      - .actual_access:  read_only
        .address_space:  global
        .offset:         16
        .size:           8
        .value_kind:     global_buffer
      - .offset:         24
        .size:           4
        .value_kind:     by_value
      - .offset:         28
        .size:           4
        .value_kind:     by_value
      - .actual_access:  read_only
        .address_space:  global
        .offset:         32
        .size:           8
        .value_kind:     global_buffer
      - .actual_access:  read_only
        .address_space:  global
        .offset:         40
        .size:           8
        .value_kind:     global_buffer
      - .actual_access:  read_only
        .address_space:  global
        .offset:         48
        .size:           8
        .value_kind:     global_buffer
      - .offset:         56
        .size:           4
        .value_kind:     by_value
      - .actual_access:  read_only
        .address_space:  global
        .offset:         64
        .size:           8
        .value_kind:     global_buffer
      - .offset:         72
        .size:           4
        .value_kind:     by_value
      - .offset:         76
        .size:           4
        .value_kind:     by_value
      - .offset:         80
        .size:           4
        .value_kind:     by_value
      - .actual_access:  write_only
        .address_space:  global
        .offset:         88
        .size:           8
        .value_kind:     global_buffer
      - .actual_access:  write_only
        .address_space:  global
        .offset:         96
        .size:           8
        .value_kind:     global_buffer
      - .actual_access:  write_only
        .address_space:  global
        .offset:         104
        .size:           8
        .value_kind:     global_buffer
      - .actual_access:  read_only
        .address_space:  global
        .offset:         112
        .size:           8
        .value_kind:     global_buffer
      - .offset:         120
        .size:           4
        .value_kind:     by_value
      - .address_space:  global
        .offset:         128
        .size:           8
        .value_kind:     global_buffer
      - .address_space:  global
        .offset:         136
        .size:           8
        .value_kind:     global_buffer
      - .offset:         144
        .size:           4
        .value_kind:     hidden_block_count_x
      - .offset:         148
        .size:           4
        .value_kind:     hidden_block_count_y
      - .offset:         152
        .size:           4
        .value_kind:     hidden_block_count_z
      - .offset:         156
        .size:           2
        .value_kind:     hidden_group_size_x
      - .offset:         158
        .size:           2
        .value_kind:     hidden_group_size_y
      - .offset:         160
        .size:           2
        .value_kind:     hidden_group_size_z
      - .offset:         162
        .size:           2
        .value_kind:     hidden_remainder_x
      - .offset:         164
        .size:           2
        .value_kind:     hidden_remainder_y
      - .offset:         166
        .size:           2
        .value_kind:     hidden_remainder_z
      - .offset:         184
        .size:           8
        .value_kind:     hidden_global_offset_x
      - .offset:         192
        .size:           8
        .value_kind:     hidden_global_offset_y
      - .offset:         200
        .size:           8
        .value_kind:     hidden_global_offset_z
      - .offset:         208
        .size:           2
        .value_kind:     hidden_grid_dims
    .group_segment_fixed_size: 8192
    .kernarg_segment_align: 8
    .kernarg_segment_size: 400
    .language:       OpenCL C
    .language_version:
      - 2
      - 0
    .max_flat_workgroup_size: 256
    .name:           _Z39paged_attention_ll4mi_QKV_mfma16_kernelIDF16_DF16_LN4vllm18Fp8KVCacheDataTypeE0EDF16_Li32ELi64ELi256ELb1ELi13EL8MFMAType0EEvPKT_PKT0_S8_ifPKiSA_SA_iPKfiiiPfSD_PS3_PT2_iSC_SC_
    .private_segment_fixed_size: 0
    .sgpr_count:     52
    .sgpr_spill_count: 0
    .symbol:         _Z39paged_attention_ll4mi_QKV_mfma16_kernelIDF16_DF16_LN4vllm18Fp8KVCacheDataTypeE0EDF16_Li32ELi64ELi256ELb1ELi13EL8MFMAType0EEvPKT_PKT0_S8_ifPKiSA_SA_iPKfiiiPfSD_PS3_PT2_iSC_SC_.kd
    .uniform_work_group_size: 1
    .uses_dynamic_stack: false
    .vgpr_count:     66
    .vgpr_spill_count: 0
    .wavefront_size: 64
  - .agpr_count:     0
    .args:
      - .actual_access:  read_only
        .address_space:  global
        .offset:         0
        .size:           8
        .value_kind:     global_buffer
      - .actual_access:  read_only
        .address_space:  global
        .offset:         8
        .size:           8
        .value_kind:     global_buffer
      - .actual_access:  read_only
        .address_space:  global
        .offset:         16
        .size:           8
        .value_kind:     global_buffer
      - .offset:         24
        .size:           4
        .value_kind:     by_value
      - .offset:         28
        .size:           4
        .value_kind:     by_value
      - .actual_access:  read_only
        .address_space:  global
        .offset:         32
        .size:           8
        .value_kind:     global_buffer
      - .actual_access:  read_only
        .address_space:  global
        .offset:         40
        .size:           8
        .value_kind:     global_buffer
      - .actual_access:  read_only
        .address_space:  global
        .offset:         48
        .size:           8
        .value_kind:     global_buffer
      - .offset:         56
        .size:           4
        .value_kind:     by_value
      - .actual_access:  read_only
        .address_space:  global
        .offset:         64
        .size:           8
        .value_kind:     global_buffer
      - .offset:         72
        .size:           4
        .value_kind:     by_value
      - .offset:         76
        .size:           4
        .value_kind:     by_value
      - .offset:         80
        .size:           4
        .value_kind:     by_value
      - .actual_access:  write_only
        .address_space:  global
        .offset:         88
        .size:           8
        .value_kind:     global_buffer
      - .actual_access:  write_only
        .address_space:  global
        .offset:         96
        .size:           8
        .value_kind:     global_buffer
      - .actual_access:  write_only
        .address_space:  global
        .offset:         104
        .size:           8
        .value_kind:     global_buffer
      - .actual_access:  read_only
        .address_space:  global
        .offset:         112
        .size:           8
        .value_kind:     global_buffer
      - .offset:         120
        .size:           4
        .value_kind:     by_value
      - .address_space:  global
        .offset:         128
        .size:           8
        .value_kind:     global_buffer
      - .address_space:  global
        .offset:         136
        .size:           8
        .value_kind:     global_buffer
      - .offset:         144
        .size:           4
        .value_kind:     hidden_block_count_x
      - .offset:         148
        .size:           4
        .value_kind:     hidden_block_count_y
      - .offset:         152
        .size:           4
        .value_kind:     hidden_block_count_z
      - .offset:         156
        .size:           2
        .value_kind:     hidden_group_size_x
      - .offset:         158
        .size:           2
        .value_kind:     hidden_group_size_y
      - .offset:         160
        .size:           2
        .value_kind:     hidden_group_size_z
      - .offset:         162
        .size:           2
        .value_kind:     hidden_remainder_x
      - .offset:         164
        .size:           2
        .value_kind:     hidden_remainder_y
      - .offset:         166
        .size:           2
        .value_kind:     hidden_remainder_z
      - .offset:         184
        .size:           8
        .value_kind:     hidden_global_offset_x
      - .offset:         192
        .size:           8
        .value_kind:     hidden_global_offset_y
      - .offset:         200
        .size:           8
        .value_kind:     hidden_global_offset_z
      - .offset:         208
        .size:           2
        .value_kind:     hidden_grid_dims
    .group_segment_fixed_size: 8192
    .kernarg_segment_align: 8
    .kernarg_segment_size: 400
    .language:       OpenCL C
    .language_version:
      - 2
      - 0
    .max_flat_workgroup_size: 256
    .name:           _Z39paged_attention_ll4mi_QKV_mfma16_kernelIDF16_DF16_LN4vllm18Fp8KVCacheDataTypeE0EDF16_Li32ELi64ELi256ELb1ELi14EL8MFMAType0EEvPKT_PKT0_S8_ifPKiSA_SA_iPKfiiiPfSD_PS3_PT2_iSC_SC_
    .private_segment_fixed_size: 0
    .sgpr_count:     52
    .sgpr_spill_count: 0
    .symbol:         _Z39paged_attention_ll4mi_QKV_mfma16_kernelIDF16_DF16_LN4vllm18Fp8KVCacheDataTypeE0EDF16_Li32ELi64ELi256ELb1ELi14EL8MFMAType0EEvPKT_PKT0_S8_ifPKiSA_SA_iPKfiiiPfSD_PS3_PT2_iSC_SC_.kd
    .uniform_work_group_size: 1
    .uses_dynamic_stack: false
    .vgpr_count:     66
    .vgpr_spill_count: 0
    .wavefront_size: 64
  - .agpr_count:     0
    .args:
      - .actual_access:  read_only
        .address_space:  global
        .offset:         0
        .size:           8
        .value_kind:     global_buffer
      - .actual_access:  read_only
        .address_space:  global
        .offset:         8
        .size:           8
        .value_kind:     global_buffer
      - .actual_access:  read_only
        .address_space:  global
        .offset:         16
        .size:           8
        .value_kind:     global_buffer
      - .offset:         24
        .size:           4
        .value_kind:     by_value
      - .offset:         28
        .size:           4
        .value_kind:     by_value
      - .actual_access:  read_only
        .address_space:  global
        .offset:         32
        .size:           8
        .value_kind:     global_buffer
      - .actual_access:  read_only
        .address_space:  global
        .offset:         40
        .size:           8
        .value_kind:     global_buffer
      - .actual_access:  read_only
        .address_space:  global
        .offset:         48
        .size:           8
        .value_kind:     global_buffer
      - .offset:         56
        .size:           4
        .value_kind:     by_value
      - .actual_access:  read_only
        .address_space:  global
        .offset:         64
        .size:           8
        .value_kind:     global_buffer
      - .offset:         72
        .size:           4
        .value_kind:     by_value
      - .offset:         76
        .size:           4
        .value_kind:     by_value
      - .offset:         80
        .size:           4
        .value_kind:     by_value
      - .actual_access:  write_only
        .address_space:  global
        .offset:         88
        .size:           8
        .value_kind:     global_buffer
      - .actual_access:  write_only
        .address_space:  global
        .offset:         96
        .size:           8
        .value_kind:     global_buffer
      - .actual_access:  write_only
        .address_space:  global
        .offset:         104
        .size:           8
        .value_kind:     global_buffer
      - .actual_access:  read_only
        .address_space:  global
        .offset:         112
        .size:           8
        .value_kind:     global_buffer
      - .offset:         120
        .size:           4
        .value_kind:     by_value
      - .address_space:  global
        .offset:         128
        .size:           8
        .value_kind:     global_buffer
      - .address_space:  global
        .offset:         136
        .size:           8
        .value_kind:     global_buffer
      - .offset:         144
        .size:           4
        .value_kind:     hidden_block_count_x
      - .offset:         148
        .size:           4
        .value_kind:     hidden_block_count_y
      - .offset:         152
        .size:           4
        .value_kind:     hidden_block_count_z
      - .offset:         156
        .size:           2
        .value_kind:     hidden_group_size_x
      - .offset:         158
        .size:           2
        .value_kind:     hidden_group_size_y
      - .offset:         160
        .size:           2
        .value_kind:     hidden_group_size_z
      - .offset:         162
        .size:           2
        .value_kind:     hidden_remainder_x
      - .offset:         164
        .size:           2
        .value_kind:     hidden_remainder_y
      - .offset:         166
        .size:           2
        .value_kind:     hidden_remainder_z
      - .offset:         184
        .size:           8
        .value_kind:     hidden_global_offset_x
      - .offset:         192
        .size:           8
        .value_kind:     hidden_global_offset_y
      - .offset:         200
        .size:           8
        .value_kind:     hidden_global_offset_z
      - .offset:         208
        .size:           2
        .value_kind:     hidden_grid_dims
    .group_segment_fixed_size: 8192
    .kernarg_segment_align: 8
    .kernarg_segment_size: 400
    .language:       OpenCL C
    .language_version:
      - 2
      - 0
    .max_flat_workgroup_size: 256
    .name:           _Z39paged_attention_ll4mi_QKV_mfma16_kernelIDF16_DF16_LN4vllm18Fp8KVCacheDataTypeE0EDF16_Li32ELi64ELi256ELb1ELi15EL8MFMAType0EEvPKT_PKT0_S8_ifPKiSA_SA_iPKfiiiPfSD_PS3_PT2_iSC_SC_
    .private_segment_fixed_size: 0
    .sgpr_count:     52
    .sgpr_spill_count: 0
    .symbol:         _Z39paged_attention_ll4mi_QKV_mfma16_kernelIDF16_DF16_LN4vllm18Fp8KVCacheDataTypeE0EDF16_Li32ELi64ELi256ELb1ELi15EL8MFMAType0EEvPKT_PKT0_S8_ifPKiSA_SA_iPKfiiiPfSD_PS3_PT2_iSC_SC_.kd
    .uniform_work_group_size: 1
    .uses_dynamic_stack: false
    .vgpr_count:     66
    .vgpr_spill_count: 0
    .wavefront_size: 64
  - .agpr_count:     0
    .args:
      - .actual_access:  read_only
        .address_space:  global
        .offset:         0
        .size:           8
        .value_kind:     global_buffer
      - .actual_access:  read_only
        .address_space:  global
        .offset:         8
        .size:           8
        .value_kind:     global_buffer
      - .actual_access:  read_only
        .address_space:  global
        .offset:         16
        .size:           8
        .value_kind:     global_buffer
      - .offset:         24
        .size:           4
        .value_kind:     by_value
      - .offset:         28
        .size:           4
        .value_kind:     by_value
      - .actual_access:  read_only
        .address_space:  global
        .offset:         32
        .size:           8
        .value_kind:     global_buffer
      - .actual_access:  read_only
        .address_space:  global
        .offset:         40
        .size:           8
        .value_kind:     global_buffer
      - .actual_access:  read_only
        .address_space:  global
        .offset:         48
        .size:           8
        .value_kind:     global_buffer
      - .offset:         56
        .size:           4
        .value_kind:     by_value
      - .actual_access:  read_only
        .address_space:  global
        .offset:         64
        .size:           8
        .value_kind:     global_buffer
      - .offset:         72
        .size:           4
        .value_kind:     by_value
      - .offset:         76
        .size:           4
        .value_kind:     by_value
      - .offset:         80
        .size:           4
        .value_kind:     by_value
      - .actual_access:  write_only
        .address_space:  global
        .offset:         88
        .size:           8
        .value_kind:     global_buffer
      - .actual_access:  write_only
        .address_space:  global
        .offset:         96
        .size:           8
        .value_kind:     global_buffer
      - .actual_access:  write_only
        .address_space:  global
        .offset:         104
        .size:           8
        .value_kind:     global_buffer
      - .actual_access:  read_only
        .address_space:  global
        .offset:         112
        .size:           8
        .value_kind:     global_buffer
      - .offset:         120
        .size:           4
        .value_kind:     by_value
      - .address_space:  global
        .offset:         128
        .size:           8
        .value_kind:     global_buffer
      - .address_space:  global
        .offset:         136
        .size:           8
        .value_kind:     global_buffer
      - .offset:         144
        .size:           4
        .value_kind:     hidden_block_count_x
      - .offset:         148
        .size:           4
        .value_kind:     hidden_block_count_y
      - .offset:         152
        .size:           4
        .value_kind:     hidden_block_count_z
      - .offset:         156
        .size:           2
        .value_kind:     hidden_group_size_x
      - .offset:         158
        .size:           2
        .value_kind:     hidden_group_size_y
      - .offset:         160
        .size:           2
        .value_kind:     hidden_group_size_z
      - .offset:         162
        .size:           2
        .value_kind:     hidden_remainder_x
      - .offset:         164
        .size:           2
        .value_kind:     hidden_remainder_y
      - .offset:         166
        .size:           2
        .value_kind:     hidden_remainder_z
      - .offset:         184
        .size:           8
        .value_kind:     hidden_global_offset_x
      - .offset:         192
        .size:           8
        .value_kind:     hidden_global_offset_y
      - .offset:         200
        .size:           8
        .value_kind:     hidden_global_offset_z
      - .offset:         208
        .size:           2
        .value_kind:     hidden_grid_dims
    .group_segment_fixed_size: 8192
    .kernarg_segment_align: 8
    .kernarg_segment_size: 400
    .language:       OpenCL C
    .language_version:
      - 2
      - 0
    .max_flat_workgroup_size: 256
    .name:           _Z39paged_attention_ll4mi_QKV_mfma16_kernelIDF16_DF16_LN4vllm18Fp8KVCacheDataTypeE0EDF16_Li32ELi64ELi256ELb1ELi16EL8MFMAType0EEvPKT_PKT0_S8_ifPKiSA_SA_iPKfiiiPfSD_PS3_PT2_iSC_SC_
    .private_segment_fixed_size: 0
    .sgpr_count:     52
    .sgpr_spill_count: 0
    .symbol:         _Z39paged_attention_ll4mi_QKV_mfma16_kernelIDF16_DF16_LN4vllm18Fp8KVCacheDataTypeE0EDF16_Li32ELi64ELi256ELb1ELi16EL8MFMAType0EEvPKT_PKT0_S8_ifPKiSA_SA_iPKfiiiPfSD_PS3_PT2_iSC_SC_.kd
    .uniform_work_group_size: 1
    .uses_dynamic_stack: false
    .vgpr_count:     69
    .vgpr_spill_count: 0
    .wavefront_size: 64
  - .agpr_count:     0
    .args:
      - .actual_access:  read_only
        .address_space:  global
        .offset:         0
        .size:           8
        .value_kind:     global_buffer
      - .actual_access:  read_only
        .address_space:  global
        .offset:         8
        .size:           8
        .value_kind:     global_buffer
      - .actual_access:  read_only
        .address_space:  global
        .offset:         16
        .size:           8
        .value_kind:     global_buffer
      - .offset:         24
        .size:           4
        .value_kind:     by_value
      - .offset:         28
        .size:           4
        .value_kind:     by_value
      - .actual_access:  read_only
        .address_space:  global
        .offset:         32
        .size:           8
        .value_kind:     global_buffer
      - .actual_access:  read_only
        .address_space:  global
        .offset:         40
        .size:           8
        .value_kind:     global_buffer
      - .actual_access:  read_only
        .address_space:  global
        .offset:         48
        .size:           8
        .value_kind:     global_buffer
      - .offset:         56
        .size:           4
        .value_kind:     by_value
      - .actual_access:  read_only
        .address_space:  global
        .offset:         64
        .size:           8
        .value_kind:     global_buffer
      - .offset:         72
        .size:           4
        .value_kind:     by_value
      - .offset:         76
        .size:           4
        .value_kind:     by_value
      - .offset:         80
        .size:           4
        .value_kind:     by_value
      - .actual_access:  write_only
        .address_space:  global
        .offset:         88
        .size:           8
        .value_kind:     global_buffer
      - .actual_access:  write_only
        .address_space:  global
        .offset:         96
        .size:           8
        .value_kind:     global_buffer
      - .actual_access:  write_only
        .address_space:  global
        .offset:         104
        .size:           8
        .value_kind:     global_buffer
      - .actual_access:  read_only
        .address_space:  global
        .offset:         112
        .size:           8
        .value_kind:     global_buffer
      - .offset:         120
        .size:           4
        .value_kind:     by_value
      - .address_space:  global
        .offset:         128
        .size:           8
        .value_kind:     global_buffer
      - .address_space:  global
        .offset:         136
        .size:           8
        .value_kind:     global_buffer
      - .offset:         144
        .size:           4
        .value_kind:     hidden_block_count_x
      - .offset:         148
        .size:           4
        .value_kind:     hidden_block_count_y
      - .offset:         152
        .size:           4
        .value_kind:     hidden_block_count_z
      - .offset:         156
        .size:           2
        .value_kind:     hidden_group_size_x
      - .offset:         158
        .size:           2
        .value_kind:     hidden_group_size_y
      - .offset:         160
        .size:           2
        .value_kind:     hidden_group_size_z
      - .offset:         162
        .size:           2
        .value_kind:     hidden_remainder_x
      - .offset:         164
        .size:           2
        .value_kind:     hidden_remainder_y
      - .offset:         166
        .size:           2
        .value_kind:     hidden_remainder_z
      - .offset:         184
        .size:           8
        .value_kind:     hidden_global_offset_x
      - .offset:         192
        .size:           8
        .value_kind:     hidden_global_offset_y
      - .offset:         200
        .size:           8
        .value_kind:     hidden_global_offset_z
      - .offset:         208
        .size:           2
        .value_kind:     hidden_grid_dims
    .group_segment_fixed_size: 8192
    .kernarg_segment_align: 8
    .kernarg_segment_size: 400
    .language:       OpenCL C
    .language_version:
      - 2
      - 0
    .max_flat_workgroup_size: 256
    .name:           _Z39paged_attention_ll4mi_QKV_mfma16_kernelIDF16_DF16_LN4vllm18Fp8KVCacheDataTypeE0EDF16_Li32ELi64ELi256ELb1ELi1EL8MFMAType0EEvPKT_PKT0_S8_ifPKiSA_SA_iPKfiiiPfSD_PS3_PT2_iSC_SC_
    .private_segment_fixed_size: 0
    .sgpr_count:     52
    .sgpr_spill_count: 0
    .symbol:         _Z39paged_attention_ll4mi_QKV_mfma16_kernelIDF16_DF16_LN4vllm18Fp8KVCacheDataTypeE0EDF16_Li32ELi64ELi256ELb1ELi1EL8MFMAType0EEvPKT_PKT0_S8_ifPKiSA_SA_iPKfiiiPfSD_PS3_PT2_iSC_SC_.kd
    .uniform_work_group_size: 1
    .uses_dynamic_stack: false
    .vgpr_count:     67
    .vgpr_spill_count: 0
    .wavefront_size: 64
  - .agpr_count:     0
    .args:
      - .actual_access:  read_only
        .address_space:  global
        .offset:         0
        .size:           8
        .value_kind:     global_buffer
      - .actual_access:  read_only
        .address_space:  global
        .offset:         8
        .size:           8
        .value_kind:     global_buffer
      - .actual_access:  read_only
        .address_space:  global
        .offset:         16
        .size:           8
        .value_kind:     global_buffer
      - .offset:         24
        .size:           4
        .value_kind:     by_value
      - .offset:         28
        .size:           4
        .value_kind:     by_value
      - .actual_access:  read_only
        .address_space:  global
        .offset:         32
        .size:           8
        .value_kind:     global_buffer
      - .actual_access:  read_only
        .address_space:  global
        .offset:         40
        .size:           8
        .value_kind:     global_buffer
      - .actual_access:  read_only
        .address_space:  global
        .offset:         48
        .size:           8
        .value_kind:     global_buffer
      - .offset:         56
        .size:           4
        .value_kind:     by_value
      - .actual_access:  read_only
        .address_space:  global
        .offset:         64
        .size:           8
        .value_kind:     global_buffer
      - .offset:         72
        .size:           4
        .value_kind:     by_value
      - .offset:         76
        .size:           4
        .value_kind:     by_value
      - .offset:         80
        .size:           4
        .value_kind:     by_value
      - .actual_access:  write_only
        .address_space:  global
        .offset:         88
        .size:           8
        .value_kind:     global_buffer
      - .actual_access:  write_only
        .address_space:  global
        .offset:         96
        .size:           8
        .value_kind:     global_buffer
      - .actual_access:  write_only
        .address_space:  global
        .offset:         104
        .size:           8
        .value_kind:     global_buffer
      - .actual_access:  read_only
        .address_space:  global
        .offset:         112
        .size:           8
        .value_kind:     global_buffer
      - .offset:         120
        .size:           4
        .value_kind:     by_value
      - .address_space:  global
        .offset:         128
        .size:           8
        .value_kind:     global_buffer
      - .address_space:  global
        .offset:         136
        .size:           8
        .value_kind:     global_buffer
      - .offset:         144
        .size:           4
        .value_kind:     hidden_block_count_x
      - .offset:         148
        .size:           4
        .value_kind:     hidden_block_count_y
      - .offset:         152
        .size:           4
        .value_kind:     hidden_block_count_z
      - .offset:         156
        .size:           2
        .value_kind:     hidden_group_size_x
      - .offset:         158
        .size:           2
        .value_kind:     hidden_group_size_y
      - .offset:         160
        .size:           2
        .value_kind:     hidden_group_size_z
      - .offset:         162
        .size:           2
        .value_kind:     hidden_remainder_x
      - .offset:         164
        .size:           2
        .value_kind:     hidden_remainder_y
      - .offset:         166
        .size:           2
        .value_kind:     hidden_remainder_z
      - .offset:         184
        .size:           8
        .value_kind:     hidden_global_offset_x
      - .offset:         192
        .size:           8
        .value_kind:     hidden_global_offset_y
      - .offset:         200
        .size:           8
        .value_kind:     hidden_global_offset_z
      - .offset:         208
        .size:           2
        .value_kind:     hidden_grid_dims
    .group_segment_fixed_size: 8192
    .kernarg_segment_align: 8
    .kernarg_segment_size: 400
    .language:       OpenCL C
    .language_version:
      - 2
      - 0
    .max_flat_workgroup_size: 256
    .name:           _Z39paged_attention_ll4mi_QKV_mfma16_kernelIDF16_DF16_LN4vllm18Fp8KVCacheDataTypeE0EDF16_Li32ELi64ELi256ELb1ELi2EL8MFMAType0EEvPKT_PKT0_S8_ifPKiSA_SA_iPKfiiiPfSD_PS3_PT2_iSC_SC_
    .private_segment_fixed_size: 0
    .sgpr_count:     52
    .sgpr_spill_count: 0
    .symbol:         _Z39paged_attention_ll4mi_QKV_mfma16_kernelIDF16_DF16_LN4vllm18Fp8KVCacheDataTypeE0EDF16_Li32ELi64ELi256ELb1ELi2EL8MFMAType0EEvPKT_PKT0_S8_ifPKiSA_SA_iPKfiiiPfSD_PS3_PT2_iSC_SC_.kd
    .uniform_work_group_size: 1
    .uses_dynamic_stack: false
    .vgpr_count:     67
    .vgpr_spill_count: 0
    .wavefront_size: 64
  - .agpr_count:     0
    .args:
      - .actual_access:  read_only
        .address_space:  global
        .offset:         0
        .size:           8
        .value_kind:     global_buffer
      - .actual_access:  read_only
        .address_space:  global
        .offset:         8
        .size:           8
        .value_kind:     global_buffer
      - .actual_access:  read_only
        .address_space:  global
        .offset:         16
        .size:           8
        .value_kind:     global_buffer
      - .offset:         24
        .size:           4
        .value_kind:     by_value
      - .offset:         28
        .size:           4
        .value_kind:     by_value
      - .actual_access:  read_only
        .address_space:  global
        .offset:         32
        .size:           8
        .value_kind:     global_buffer
      - .actual_access:  read_only
        .address_space:  global
        .offset:         40
        .size:           8
        .value_kind:     global_buffer
      - .actual_access:  read_only
        .address_space:  global
        .offset:         48
        .size:           8
        .value_kind:     global_buffer
      - .offset:         56
        .size:           4
        .value_kind:     by_value
      - .actual_access:  read_only
        .address_space:  global
        .offset:         64
        .size:           8
        .value_kind:     global_buffer
      - .offset:         72
        .size:           4
        .value_kind:     by_value
      - .offset:         76
        .size:           4
        .value_kind:     by_value
      - .offset:         80
        .size:           4
        .value_kind:     by_value
      - .actual_access:  write_only
        .address_space:  global
        .offset:         88
        .size:           8
        .value_kind:     global_buffer
      - .actual_access:  write_only
        .address_space:  global
        .offset:         96
        .size:           8
        .value_kind:     global_buffer
      - .actual_access:  write_only
        .address_space:  global
        .offset:         104
        .size:           8
        .value_kind:     global_buffer
      - .actual_access:  read_only
        .address_space:  global
        .offset:         112
        .size:           8
        .value_kind:     global_buffer
      - .offset:         120
        .size:           4
        .value_kind:     by_value
      - .address_space:  global
        .offset:         128
        .size:           8
        .value_kind:     global_buffer
      - .address_space:  global
        .offset:         136
        .size:           8
        .value_kind:     global_buffer
      - .offset:         144
        .size:           4
        .value_kind:     hidden_block_count_x
      - .offset:         148
        .size:           4
        .value_kind:     hidden_block_count_y
      - .offset:         152
        .size:           4
        .value_kind:     hidden_block_count_z
      - .offset:         156
        .size:           2
        .value_kind:     hidden_group_size_x
      - .offset:         158
        .size:           2
        .value_kind:     hidden_group_size_y
      - .offset:         160
        .size:           2
        .value_kind:     hidden_group_size_z
      - .offset:         162
        .size:           2
        .value_kind:     hidden_remainder_x
      - .offset:         164
        .size:           2
        .value_kind:     hidden_remainder_y
      - .offset:         166
        .size:           2
        .value_kind:     hidden_remainder_z
      - .offset:         184
        .size:           8
        .value_kind:     hidden_global_offset_x
      - .offset:         192
        .size:           8
        .value_kind:     hidden_global_offset_y
      - .offset:         200
        .size:           8
        .value_kind:     hidden_global_offset_z
      - .offset:         208
        .size:           2
        .value_kind:     hidden_grid_dims
    .group_segment_fixed_size: 8192
    .kernarg_segment_align: 8
    .kernarg_segment_size: 400
    .language:       OpenCL C
    .language_version:
      - 2
      - 0
    .max_flat_workgroup_size: 256
    .name:           _Z39paged_attention_ll4mi_QKV_mfma16_kernelIDF16_DF16_LN4vllm18Fp8KVCacheDataTypeE0EDF16_Li32ELi64ELi256ELb1ELi3EL8MFMAType0EEvPKT_PKT0_S8_ifPKiSA_SA_iPKfiiiPfSD_PS3_PT2_iSC_SC_
    .private_segment_fixed_size: 0
    .sgpr_count:     52
    .sgpr_spill_count: 0
    .symbol:         _Z39paged_attention_ll4mi_QKV_mfma16_kernelIDF16_DF16_LN4vllm18Fp8KVCacheDataTypeE0EDF16_Li32ELi64ELi256ELb1ELi3EL8MFMAType0EEvPKT_PKT0_S8_ifPKiSA_SA_iPKfiiiPfSD_PS3_PT2_iSC_SC_.kd
    .uniform_work_group_size: 1
    .uses_dynamic_stack: false
    .vgpr_count:     67
    .vgpr_spill_count: 0
    .wavefront_size: 64
  - .agpr_count:     0
    .args:
      - .actual_access:  read_only
        .address_space:  global
        .offset:         0
        .size:           8
        .value_kind:     global_buffer
      - .actual_access:  read_only
        .address_space:  global
        .offset:         8
        .size:           8
        .value_kind:     global_buffer
      - .actual_access:  read_only
        .address_space:  global
        .offset:         16
        .size:           8
        .value_kind:     global_buffer
      - .offset:         24
        .size:           4
        .value_kind:     by_value
      - .offset:         28
        .size:           4
        .value_kind:     by_value
      - .actual_access:  read_only
        .address_space:  global
        .offset:         32
        .size:           8
        .value_kind:     global_buffer
      - .actual_access:  read_only
        .address_space:  global
        .offset:         40
        .size:           8
        .value_kind:     global_buffer
      - .actual_access:  read_only
        .address_space:  global
        .offset:         48
        .size:           8
        .value_kind:     global_buffer
      - .offset:         56
        .size:           4
        .value_kind:     by_value
      - .actual_access:  read_only
        .address_space:  global
        .offset:         64
        .size:           8
        .value_kind:     global_buffer
      - .offset:         72
        .size:           4
        .value_kind:     by_value
      - .offset:         76
        .size:           4
        .value_kind:     by_value
      - .offset:         80
        .size:           4
        .value_kind:     by_value
      - .actual_access:  write_only
        .address_space:  global
        .offset:         88
        .size:           8
        .value_kind:     global_buffer
      - .actual_access:  write_only
        .address_space:  global
        .offset:         96
        .size:           8
        .value_kind:     global_buffer
      - .actual_access:  write_only
        .address_space:  global
        .offset:         104
        .size:           8
        .value_kind:     global_buffer
      - .actual_access:  read_only
        .address_space:  global
        .offset:         112
        .size:           8
        .value_kind:     global_buffer
      - .offset:         120
        .size:           4
        .value_kind:     by_value
      - .address_space:  global
        .offset:         128
        .size:           8
        .value_kind:     global_buffer
      - .address_space:  global
        .offset:         136
        .size:           8
        .value_kind:     global_buffer
      - .offset:         144
        .size:           4
        .value_kind:     hidden_block_count_x
      - .offset:         148
        .size:           4
        .value_kind:     hidden_block_count_y
      - .offset:         152
        .size:           4
        .value_kind:     hidden_block_count_z
      - .offset:         156
        .size:           2
        .value_kind:     hidden_group_size_x
      - .offset:         158
        .size:           2
        .value_kind:     hidden_group_size_y
      - .offset:         160
        .size:           2
        .value_kind:     hidden_group_size_z
      - .offset:         162
        .size:           2
        .value_kind:     hidden_remainder_x
      - .offset:         164
        .size:           2
        .value_kind:     hidden_remainder_y
      - .offset:         166
        .size:           2
        .value_kind:     hidden_remainder_z
      - .offset:         184
        .size:           8
        .value_kind:     hidden_global_offset_x
      - .offset:         192
        .size:           8
        .value_kind:     hidden_global_offset_y
      - .offset:         200
        .size:           8
        .value_kind:     hidden_global_offset_z
      - .offset:         208
        .size:           2
        .value_kind:     hidden_grid_dims
    .group_segment_fixed_size: 8192
    .kernarg_segment_align: 8
    .kernarg_segment_size: 400
    .language:       OpenCL C
    .language_version:
      - 2
      - 0
    .max_flat_workgroup_size: 256
    .name:           _Z39paged_attention_ll4mi_QKV_mfma16_kernelIDF16_DF16_LN4vllm18Fp8KVCacheDataTypeE0EDF16_Li32ELi64ELi256ELb1ELi4EL8MFMAType0EEvPKT_PKT0_S8_ifPKiSA_SA_iPKfiiiPfSD_PS3_PT2_iSC_SC_
    .private_segment_fixed_size: 0
    .sgpr_count:     50
    .sgpr_spill_count: 0
    .symbol:         _Z39paged_attention_ll4mi_QKV_mfma16_kernelIDF16_DF16_LN4vllm18Fp8KVCacheDataTypeE0EDF16_Li32ELi64ELi256ELb1ELi4EL8MFMAType0EEvPKT_PKT0_S8_ifPKiSA_SA_iPKfiiiPfSD_PS3_PT2_iSC_SC_.kd
    .uniform_work_group_size: 1
    .uses_dynamic_stack: false
    .vgpr_count:     68
    .vgpr_spill_count: 0
    .wavefront_size: 64
  - .agpr_count:     4
    .args:
      - .actual_access:  read_only
        .address_space:  global
        .offset:         0
        .size:           8
        .value_kind:     global_buffer
      - .actual_access:  read_only
        .address_space:  global
        .offset:         8
        .size:           8
        .value_kind:     global_buffer
      - .actual_access:  read_only
        .address_space:  global
        .offset:         16
        .size:           8
        .value_kind:     global_buffer
      - .offset:         24
        .size:           4
        .value_kind:     by_value
      - .offset:         28
        .size:           4
        .value_kind:     by_value
      - .actual_access:  read_only
        .address_space:  global
        .offset:         32
        .size:           8
        .value_kind:     global_buffer
      - .actual_access:  read_only
        .address_space:  global
        .offset:         40
        .size:           8
        .value_kind:     global_buffer
      - .actual_access:  read_only
        .address_space:  global
        .offset:         48
        .size:           8
        .value_kind:     global_buffer
      - .offset:         56
        .size:           4
        .value_kind:     by_value
      - .actual_access:  read_only
        .address_space:  global
        .offset:         64
        .size:           8
        .value_kind:     global_buffer
      - .offset:         72
        .size:           4
        .value_kind:     by_value
      - .offset:         76
        .size:           4
        .value_kind:     by_value
      - .offset:         80
        .size:           4
        .value_kind:     by_value
      - .actual_access:  write_only
        .address_space:  global
        .offset:         88
        .size:           8
        .value_kind:     global_buffer
      - .actual_access:  write_only
        .address_space:  global
        .offset:         96
        .size:           8
        .value_kind:     global_buffer
      - .actual_access:  write_only
        .address_space:  global
        .offset:         104
        .size:           8
        .value_kind:     global_buffer
      - .actual_access:  read_only
        .address_space:  global
        .offset:         112
        .size:           8
        .value_kind:     global_buffer
      - .offset:         120
        .size:           4
        .value_kind:     by_value
      - .address_space:  global
        .offset:         128
        .size:           8
        .value_kind:     global_buffer
      - .address_space:  global
        .offset:         136
        .size:           8
        .value_kind:     global_buffer
      - .offset:         144
        .size:           4
        .value_kind:     hidden_block_count_x
      - .offset:         148
        .size:           4
        .value_kind:     hidden_block_count_y
      - .offset:         152
        .size:           4
        .value_kind:     hidden_block_count_z
      - .offset:         156
        .size:           2
        .value_kind:     hidden_group_size_x
      - .offset:         158
        .size:           2
        .value_kind:     hidden_group_size_y
      - .offset:         160
        .size:           2
        .value_kind:     hidden_group_size_z
      - .offset:         162
        .size:           2
        .value_kind:     hidden_remainder_x
      - .offset:         164
        .size:           2
        .value_kind:     hidden_remainder_y
      - .offset:         166
        .size:           2
        .value_kind:     hidden_remainder_z
      - .offset:         184
        .size:           8
        .value_kind:     hidden_global_offset_x
      - .offset:         192
        .size:           8
        .value_kind:     hidden_global_offset_y
      - .offset:         200
        .size:           8
        .value_kind:     hidden_global_offset_z
      - .offset:         208
        .size:           2
        .value_kind:     hidden_grid_dims
    .group_segment_fixed_size: 2720
    .kernarg_segment_align: 8
    .kernarg_segment_size: 400
    .language:       OpenCL C
    .language_version:
      - 2
      - 0
    .max_flat_workgroup_size: 256
    .name:           _Z38paged_attention_ll4mi_QKV_mfma4_kernelIDF16_DF16_LN4vllm18Fp8KVCacheDataTypeE0EDF16_Li32ELi64ELi256ELb0ELi1EEvPKT_PKT0_S7_ifPKiS9_S9_iPKfiiiPfSC_PS2_PT2_iSB_SB_
    .private_segment_fixed_size: 0
    .sgpr_count:     42
    .sgpr_spill_count: 0
    .symbol:         _Z38paged_attention_ll4mi_QKV_mfma4_kernelIDF16_DF16_LN4vllm18Fp8KVCacheDataTypeE0EDF16_Li32ELi64ELi256ELb0ELi1EEvPKT_PKT0_S7_ifPKiS9_S9_iPKfiiiPfSC_PS2_PT2_iSB_SB_.kd
    .uniform_work_group_size: 1
    .uses_dynamic_stack: false
    .vgpr_count:     64
    .vgpr_spill_count: 0
    .wavefront_size: 64
  - .agpr_count:     4
    .args:
      - .actual_access:  read_only
        .address_space:  global
        .offset:         0
        .size:           8
        .value_kind:     global_buffer
      - .actual_access:  read_only
        .address_space:  global
        .offset:         8
        .size:           8
        .value_kind:     global_buffer
      - .actual_access:  read_only
        .address_space:  global
        .offset:         16
        .size:           8
        .value_kind:     global_buffer
      - .offset:         24
        .size:           4
        .value_kind:     by_value
      - .offset:         28
        .size:           4
        .value_kind:     by_value
      - .actual_access:  read_only
        .address_space:  global
        .offset:         32
        .size:           8
        .value_kind:     global_buffer
      - .actual_access:  read_only
        .address_space:  global
        .offset:         40
        .size:           8
        .value_kind:     global_buffer
      - .actual_access:  read_only
        .address_space:  global
        .offset:         48
        .size:           8
        .value_kind:     global_buffer
      - .offset:         56
        .size:           4
        .value_kind:     by_value
      - .actual_access:  read_only
        .address_space:  global
        .offset:         64
        .size:           8
        .value_kind:     global_buffer
      - .offset:         72
        .size:           4
        .value_kind:     by_value
      - .offset:         76
        .size:           4
        .value_kind:     by_value
      - .offset:         80
        .size:           4
        .value_kind:     by_value
      - .actual_access:  write_only
        .address_space:  global
        .offset:         88
        .size:           8
        .value_kind:     global_buffer
      - .actual_access:  write_only
        .address_space:  global
        .offset:         96
        .size:           8
        .value_kind:     global_buffer
      - .actual_access:  write_only
        .address_space:  global
        .offset:         104
        .size:           8
        .value_kind:     global_buffer
      - .actual_access:  read_only
        .address_space:  global
        .offset:         112
        .size:           8
        .value_kind:     global_buffer
      - .offset:         120
        .size:           4
        .value_kind:     by_value
      - .address_space:  global
        .offset:         128
        .size:           8
        .value_kind:     global_buffer
      - .address_space:  global
        .offset:         136
        .size:           8
        .value_kind:     global_buffer
      - .offset:         144
        .size:           4
        .value_kind:     hidden_block_count_x
      - .offset:         148
        .size:           4
        .value_kind:     hidden_block_count_y
      - .offset:         152
        .size:           4
        .value_kind:     hidden_block_count_z
      - .offset:         156
        .size:           2
        .value_kind:     hidden_group_size_x
      - .offset:         158
        .size:           2
        .value_kind:     hidden_group_size_y
      - .offset:         160
        .size:           2
        .value_kind:     hidden_group_size_z
      - .offset:         162
        .size:           2
        .value_kind:     hidden_remainder_x
      - .offset:         164
        .size:           2
        .value_kind:     hidden_remainder_y
      - .offset:         166
        .size:           2
        .value_kind:     hidden_remainder_z
      - .offset:         184
        .size:           8
        .value_kind:     hidden_global_offset_x
      - .offset:         192
        .size:           8
        .value_kind:     hidden_global_offset_y
      - .offset:         200
        .size:           8
        .value_kind:     hidden_global_offset_z
      - .offset:         208
        .size:           2
        .value_kind:     hidden_grid_dims
    .group_segment_fixed_size: 2720
    .kernarg_segment_align: 8
    .kernarg_segment_size: 400
    .language:       OpenCL C
    .language_version:
      - 2
      - 0
    .max_flat_workgroup_size: 256
    .name:           _Z38paged_attention_ll4mi_QKV_mfma4_kernelIDF16_DF16_LN4vllm18Fp8KVCacheDataTypeE0EDF16_Li32ELi64ELi256ELb0ELi2EEvPKT_PKT0_S7_ifPKiS9_S9_iPKfiiiPfSC_PS2_PT2_iSB_SB_
    .private_segment_fixed_size: 0
    .sgpr_count:     42
    .sgpr_spill_count: 0
    .symbol:         _Z38paged_attention_ll4mi_QKV_mfma4_kernelIDF16_DF16_LN4vllm18Fp8KVCacheDataTypeE0EDF16_Li32ELi64ELi256ELb0ELi2EEvPKT_PKT0_S7_ifPKiS9_S9_iPKfiiiPfSC_PS2_PT2_iSB_SB_.kd
    .uniform_work_group_size: 1
    .uses_dynamic_stack: false
    .vgpr_count:     64
    .vgpr_spill_count: 0
    .wavefront_size: 64
  - .agpr_count:     4
    .args:
      - .actual_access:  read_only
        .address_space:  global
        .offset:         0
        .size:           8
        .value_kind:     global_buffer
      - .actual_access:  read_only
        .address_space:  global
        .offset:         8
        .size:           8
        .value_kind:     global_buffer
      - .actual_access:  read_only
        .address_space:  global
        .offset:         16
        .size:           8
        .value_kind:     global_buffer
      - .offset:         24
        .size:           4
        .value_kind:     by_value
      - .offset:         28
        .size:           4
        .value_kind:     by_value
      - .actual_access:  read_only
        .address_space:  global
        .offset:         32
        .size:           8
        .value_kind:     global_buffer
      - .actual_access:  read_only
        .address_space:  global
        .offset:         40
        .size:           8
        .value_kind:     global_buffer
      - .actual_access:  read_only
        .address_space:  global
        .offset:         48
        .size:           8
        .value_kind:     global_buffer
      - .offset:         56
        .size:           4
        .value_kind:     by_value
      - .actual_access:  read_only
        .address_space:  global
        .offset:         64
        .size:           8
        .value_kind:     global_buffer
      - .offset:         72
        .size:           4
        .value_kind:     by_value
      - .offset:         76
        .size:           4
        .value_kind:     by_value
      - .offset:         80
        .size:           4
        .value_kind:     by_value
      - .actual_access:  write_only
        .address_space:  global
        .offset:         88
        .size:           8
        .value_kind:     global_buffer
      - .actual_access:  write_only
        .address_space:  global
        .offset:         96
        .size:           8
        .value_kind:     global_buffer
      - .actual_access:  write_only
        .address_space:  global
        .offset:         104
        .size:           8
        .value_kind:     global_buffer
      - .actual_access:  read_only
        .address_space:  global
        .offset:         112
        .size:           8
        .value_kind:     global_buffer
      - .offset:         120
        .size:           4
        .value_kind:     by_value
      - .address_space:  global
        .offset:         128
        .size:           8
        .value_kind:     global_buffer
      - .address_space:  global
        .offset:         136
        .size:           8
        .value_kind:     global_buffer
      - .offset:         144
        .size:           4
        .value_kind:     hidden_block_count_x
      - .offset:         148
        .size:           4
        .value_kind:     hidden_block_count_y
      - .offset:         152
        .size:           4
        .value_kind:     hidden_block_count_z
      - .offset:         156
        .size:           2
        .value_kind:     hidden_group_size_x
      - .offset:         158
        .size:           2
        .value_kind:     hidden_group_size_y
      - .offset:         160
        .size:           2
        .value_kind:     hidden_group_size_z
      - .offset:         162
        .size:           2
        .value_kind:     hidden_remainder_x
      - .offset:         164
        .size:           2
        .value_kind:     hidden_remainder_y
      - .offset:         166
        .size:           2
        .value_kind:     hidden_remainder_z
      - .offset:         184
        .size:           8
        .value_kind:     hidden_global_offset_x
      - .offset:         192
        .size:           8
        .value_kind:     hidden_global_offset_y
      - .offset:         200
        .size:           8
        .value_kind:     hidden_global_offset_z
      - .offset:         208
        .size:           2
        .value_kind:     hidden_grid_dims
    .group_segment_fixed_size: 2720
    .kernarg_segment_align: 8
    .kernarg_segment_size: 400
    .language:       OpenCL C
    .language_version:
      - 2
      - 0
    .max_flat_workgroup_size: 256
    .name:           _Z38paged_attention_ll4mi_QKV_mfma4_kernelIDF16_DF16_LN4vllm18Fp8KVCacheDataTypeE0EDF16_Li32ELi64ELi256ELb0ELi3EEvPKT_PKT0_S7_ifPKiS9_S9_iPKfiiiPfSC_PS2_PT2_iSB_SB_
    .private_segment_fixed_size: 0
    .sgpr_count:     42
    .sgpr_spill_count: 0
    .symbol:         _Z38paged_attention_ll4mi_QKV_mfma4_kernelIDF16_DF16_LN4vllm18Fp8KVCacheDataTypeE0EDF16_Li32ELi64ELi256ELb0ELi3EEvPKT_PKT0_S7_ifPKiS9_S9_iPKfiiiPfSC_PS2_PT2_iSB_SB_.kd
    .uniform_work_group_size: 1
    .uses_dynamic_stack: false
    .vgpr_count:     64
    .vgpr_spill_count: 0
    .wavefront_size: 64
  - .agpr_count:     4
    .args:
      - .actual_access:  read_only
        .address_space:  global
        .offset:         0
        .size:           8
        .value_kind:     global_buffer
      - .actual_access:  read_only
        .address_space:  global
        .offset:         8
        .size:           8
        .value_kind:     global_buffer
      - .actual_access:  read_only
        .address_space:  global
        .offset:         16
        .size:           8
        .value_kind:     global_buffer
      - .offset:         24
        .size:           4
        .value_kind:     by_value
      - .offset:         28
        .size:           4
        .value_kind:     by_value
      - .actual_access:  read_only
        .address_space:  global
        .offset:         32
        .size:           8
        .value_kind:     global_buffer
      - .actual_access:  read_only
        .address_space:  global
        .offset:         40
        .size:           8
        .value_kind:     global_buffer
      - .actual_access:  read_only
        .address_space:  global
        .offset:         48
        .size:           8
        .value_kind:     global_buffer
      - .offset:         56
        .size:           4
        .value_kind:     by_value
      - .actual_access:  read_only
        .address_space:  global
        .offset:         64
        .size:           8
        .value_kind:     global_buffer
      - .offset:         72
        .size:           4
        .value_kind:     by_value
      - .offset:         76
        .size:           4
        .value_kind:     by_value
      - .offset:         80
        .size:           4
        .value_kind:     by_value
      - .actual_access:  write_only
        .address_space:  global
        .offset:         88
        .size:           8
        .value_kind:     global_buffer
      - .actual_access:  write_only
        .address_space:  global
        .offset:         96
        .size:           8
        .value_kind:     global_buffer
      - .actual_access:  write_only
        .address_space:  global
        .offset:         104
        .size:           8
        .value_kind:     global_buffer
      - .actual_access:  read_only
        .address_space:  global
        .offset:         112
        .size:           8
        .value_kind:     global_buffer
      - .offset:         120
        .size:           4
        .value_kind:     by_value
      - .address_space:  global
        .offset:         128
        .size:           8
        .value_kind:     global_buffer
      - .address_space:  global
        .offset:         136
        .size:           8
        .value_kind:     global_buffer
      - .offset:         144
        .size:           4
        .value_kind:     hidden_block_count_x
      - .offset:         148
        .size:           4
        .value_kind:     hidden_block_count_y
      - .offset:         152
        .size:           4
        .value_kind:     hidden_block_count_z
      - .offset:         156
        .size:           2
        .value_kind:     hidden_group_size_x
      - .offset:         158
        .size:           2
        .value_kind:     hidden_group_size_y
      - .offset:         160
        .size:           2
        .value_kind:     hidden_group_size_z
      - .offset:         162
        .size:           2
        .value_kind:     hidden_remainder_x
      - .offset:         164
        .size:           2
        .value_kind:     hidden_remainder_y
      - .offset:         166
        .size:           2
        .value_kind:     hidden_remainder_z
      - .offset:         184
        .size:           8
        .value_kind:     hidden_global_offset_x
      - .offset:         192
        .size:           8
        .value_kind:     hidden_global_offset_y
      - .offset:         200
        .size:           8
        .value_kind:     hidden_global_offset_z
      - .offset:         208
        .size:           2
        .value_kind:     hidden_grid_dims
    .group_segment_fixed_size: 2720
    .kernarg_segment_align: 8
    .kernarg_segment_size: 400
    .language:       OpenCL C
    .language_version:
      - 2
      - 0
    .max_flat_workgroup_size: 256
    .name:           _Z38paged_attention_ll4mi_QKV_mfma4_kernelIDF16_DF16_LN4vllm18Fp8KVCacheDataTypeE0EDF16_Li32ELi64ELi256ELb0ELi4EEvPKT_PKT0_S7_ifPKiS9_S9_iPKfiiiPfSC_PS2_PT2_iSB_SB_
    .private_segment_fixed_size: 0
    .sgpr_count:     44
    .sgpr_spill_count: 0
    .symbol:         _Z38paged_attention_ll4mi_QKV_mfma4_kernelIDF16_DF16_LN4vllm18Fp8KVCacheDataTypeE0EDF16_Li32ELi64ELi256ELb0ELi4EEvPKT_PKT0_S7_ifPKiS9_S9_iPKfiiiPfSC_PS2_PT2_iSB_SB_.kd
    .uniform_work_group_size: 1
    .uses_dynamic_stack: false
    .vgpr_count:     64
    .vgpr_spill_count: 0
    .wavefront_size: 64
  - .agpr_count:     0
    .args:
      - .actual_access:  read_only
        .address_space:  global
        .offset:         0
        .size:           8
        .value_kind:     global_buffer
      - .actual_access:  read_only
        .address_space:  global
        .offset:         8
        .size:           8
        .value_kind:     global_buffer
      - .actual_access:  read_only
        .address_space:  global
        .offset:         16
        .size:           8
        .value_kind:     global_buffer
      - .offset:         24
        .size:           4
        .value_kind:     by_value
      - .offset:         28
        .size:           4
        .value_kind:     by_value
      - .actual_access:  read_only
        .address_space:  global
        .offset:         32
        .size:           8
        .value_kind:     global_buffer
      - .actual_access:  read_only
        .address_space:  global
        .offset:         40
        .size:           8
        .value_kind:     global_buffer
      - .actual_access:  read_only
        .address_space:  global
        .offset:         48
        .size:           8
        .value_kind:     global_buffer
      - .offset:         56
        .size:           4
        .value_kind:     by_value
      - .actual_access:  read_only
        .address_space:  global
        .offset:         64
        .size:           8
        .value_kind:     global_buffer
      - .offset:         72
        .size:           4
        .value_kind:     by_value
      - .offset:         76
        .size:           4
        .value_kind:     by_value
      - .offset:         80
        .size:           4
        .value_kind:     by_value
      - .actual_access:  write_only
        .address_space:  global
        .offset:         88
        .size:           8
        .value_kind:     global_buffer
      - .actual_access:  write_only
        .address_space:  global
        .offset:         96
        .size:           8
        .value_kind:     global_buffer
      - .actual_access:  write_only
        .address_space:  global
        .offset:         104
        .size:           8
        .value_kind:     global_buffer
      - .actual_access:  read_only
        .address_space:  global
        .offset:         112
        .size:           8
        .value_kind:     global_buffer
      - .offset:         120
        .size:           4
        .value_kind:     by_value
      - .address_space:  global
        .offset:         128
        .size:           8
        .value_kind:     global_buffer
      - .address_space:  global
        .offset:         136
        .size:           8
        .value_kind:     global_buffer
      - .offset:         144
        .size:           4
        .value_kind:     hidden_block_count_x
      - .offset:         148
        .size:           4
        .value_kind:     hidden_block_count_y
      - .offset:         152
        .size:           4
        .value_kind:     hidden_block_count_z
      - .offset:         156
        .size:           2
        .value_kind:     hidden_group_size_x
      - .offset:         158
        .size:           2
        .value_kind:     hidden_group_size_y
      - .offset:         160
        .size:           2
        .value_kind:     hidden_group_size_z
      - .offset:         162
        .size:           2
        .value_kind:     hidden_remainder_x
      - .offset:         164
        .size:           2
        .value_kind:     hidden_remainder_y
      - .offset:         166
        .size:           2
        .value_kind:     hidden_remainder_z
      - .offset:         184
        .size:           8
        .value_kind:     hidden_global_offset_x
      - .offset:         192
        .size:           8
        .value_kind:     hidden_global_offset_y
      - .offset:         200
        .size:           8
        .value_kind:     hidden_global_offset_z
      - .offset:         208
        .size:           2
        .value_kind:     hidden_grid_dims
    .group_segment_fixed_size: 8192
    .kernarg_segment_align: 8
    .kernarg_segment_size: 400
    .language:       OpenCL C
    .language_version:
      - 2
      - 0
    .max_flat_workgroup_size: 256
    .name:           _Z39paged_attention_ll4mi_QKV_mfma16_kernelIDF16_DF16_LN4vllm18Fp8KVCacheDataTypeE0EDF16_Li32ELi64ELi256ELb0ELi5EL8MFMAType0EEvPKT_PKT0_S8_ifPKiSA_SA_iPKfiiiPfSD_PS3_PT2_iSC_SC_
    .private_segment_fixed_size: 0
    .sgpr_count:     52
    .sgpr_spill_count: 0
    .symbol:         _Z39paged_attention_ll4mi_QKV_mfma16_kernelIDF16_DF16_LN4vllm18Fp8KVCacheDataTypeE0EDF16_Li32ELi64ELi256ELb0ELi5EL8MFMAType0EEvPKT_PKT0_S8_ifPKiSA_SA_iPKfiiiPfSD_PS3_PT2_iSC_SC_.kd
    .uniform_work_group_size: 1
    .uses_dynamic_stack: false
    .vgpr_count:     66
    .vgpr_spill_count: 0
    .wavefront_size: 64
  - .agpr_count:     0
    .args:
      - .actual_access:  read_only
        .address_space:  global
        .offset:         0
        .size:           8
        .value_kind:     global_buffer
      - .actual_access:  read_only
        .address_space:  global
        .offset:         8
        .size:           8
        .value_kind:     global_buffer
      - .actual_access:  read_only
        .address_space:  global
        .offset:         16
        .size:           8
        .value_kind:     global_buffer
      - .offset:         24
        .size:           4
        .value_kind:     by_value
      - .offset:         28
        .size:           4
        .value_kind:     by_value
      - .actual_access:  read_only
        .address_space:  global
        .offset:         32
        .size:           8
        .value_kind:     global_buffer
      - .actual_access:  read_only
        .address_space:  global
        .offset:         40
        .size:           8
        .value_kind:     global_buffer
      - .actual_access:  read_only
        .address_space:  global
        .offset:         48
        .size:           8
        .value_kind:     global_buffer
      - .offset:         56
        .size:           4
        .value_kind:     by_value
      - .actual_access:  read_only
        .address_space:  global
        .offset:         64
        .size:           8
        .value_kind:     global_buffer
      - .offset:         72
        .size:           4
        .value_kind:     by_value
      - .offset:         76
        .size:           4
        .value_kind:     by_value
      - .offset:         80
        .size:           4
        .value_kind:     by_value
      - .actual_access:  write_only
        .address_space:  global
        .offset:         88
        .size:           8
        .value_kind:     global_buffer
      - .actual_access:  write_only
        .address_space:  global
        .offset:         96
        .size:           8
        .value_kind:     global_buffer
      - .actual_access:  write_only
        .address_space:  global
        .offset:         104
        .size:           8
        .value_kind:     global_buffer
      - .actual_access:  read_only
        .address_space:  global
        .offset:         112
        .size:           8
        .value_kind:     global_buffer
      - .offset:         120
        .size:           4
        .value_kind:     by_value
      - .address_space:  global
        .offset:         128
        .size:           8
        .value_kind:     global_buffer
      - .address_space:  global
        .offset:         136
        .size:           8
        .value_kind:     global_buffer
      - .offset:         144
        .size:           4
        .value_kind:     hidden_block_count_x
      - .offset:         148
        .size:           4
        .value_kind:     hidden_block_count_y
      - .offset:         152
        .size:           4
        .value_kind:     hidden_block_count_z
      - .offset:         156
        .size:           2
        .value_kind:     hidden_group_size_x
      - .offset:         158
        .size:           2
        .value_kind:     hidden_group_size_y
      - .offset:         160
        .size:           2
        .value_kind:     hidden_group_size_z
      - .offset:         162
        .size:           2
        .value_kind:     hidden_remainder_x
      - .offset:         164
        .size:           2
        .value_kind:     hidden_remainder_y
      - .offset:         166
        .size:           2
        .value_kind:     hidden_remainder_z
      - .offset:         184
        .size:           8
        .value_kind:     hidden_global_offset_x
      - .offset:         192
        .size:           8
        .value_kind:     hidden_global_offset_y
      - .offset:         200
        .size:           8
        .value_kind:     hidden_global_offset_z
      - .offset:         208
        .size:           2
        .value_kind:     hidden_grid_dims
    .group_segment_fixed_size: 8192
    .kernarg_segment_align: 8
    .kernarg_segment_size: 400
    .language:       OpenCL C
    .language_version:
      - 2
      - 0
    .max_flat_workgroup_size: 256
    .name:           _Z39paged_attention_ll4mi_QKV_mfma16_kernelIDF16_DF16_LN4vllm18Fp8KVCacheDataTypeE0EDF16_Li32ELi64ELi256ELb0ELi6EL8MFMAType0EEvPKT_PKT0_S8_ifPKiSA_SA_iPKfiiiPfSD_PS3_PT2_iSC_SC_
    .private_segment_fixed_size: 0
    .sgpr_count:     52
    .sgpr_spill_count: 0
    .symbol:         _Z39paged_attention_ll4mi_QKV_mfma16_kernelIDF16_DF16_LN4vllm18Fp8KVCacheDataTypeE0EDF16_Li32ELi64ELi256ELb0ELi6EL8MFMAType0EEvPKT_PKT0_S8_ifPKiSA_SA_iPKfiiiPfSD_PS3_PT2_iSC_SC_.kd
    .uniform_work_group_size: 1
    .uses_dynamic_stack: false
    .vgpr_count:     66
    .vgpr_spill_count: 0
    .wavefront_size: 64
  - .agpr_count:     0
    .args:
      - .actual_access:  read_only
        .address_space:  global
        .offset:         0
        .size:           8
        .value_kind:     global_buffer
      - .actual_access:  read_only
        .address_space:  global
        .offset:         8
        .size:           8
        .value_kind:     global_buffer
      - .actual_access:  read_only
        .address_space:  global
        .offset:         16
        .size:           8
        .value_kind:     global_buffer
      - .offset:         24
        .size:           4
        .value_kind:     by_value
      - .offset:         28
        .size:           4
        .value_kind:     by_value
      - .actual_access:  read_only
        .address_space:  global
        .offset:         32
        .size:           8
        .value_kind:     global_buffer
      - .actual_access:  read_only
        .address_space:  global
        .offset:         40
        .size:           8
        .value_kind:     global_buffer
      - .actual_access:  read_only
        .address_space:  global
        .offset:         48
        .size:           8
        .value_kind:     global_buffer
      - .offset:         56
        .size:           4
        .value_kind:     by_value
      - .actual_access:  read_only
        .address_space:  global
        .offset:         64
        .size:           8
        .value_kind:     global_buffer
      - .offset:         72
        .size:           4
        .value_kind:     by_value
      - .offset:         76
        .size:           4
        .value_kind:     by_value
      - .offset:         80
        .size:           4
        .value_kind:     by_value
      - .actual_access:  write_only
        .address_space:  global
        .offset:         88
        .size:           8
        .value_kind:     global_buffer
      - .actual_access:  write_only
        .address_space:  global
        .offset:         96
        .size:           8
        .value_kind:     global_buffer
      - .actual_access:  write_only
        .address_space:  global
        .offset:         104
        .size:           8
        .value_kind:     global_buffer
      - .actual_access:  read_only
        .address_space:  global
        .offset:         112
        .size:           8
        .value_kind:     global_buffer
      - .offset:         120
        .size:           4
        .value_kind:     by_value
      - .address_space:  global
        .offset:         128
        .size:           8
        .value_kind:     global_buffer
      - .address_space:  global
        .offset:         136
        .size:           8
        .value_kind:     global_buffer
      - .offset:         144
        .size:           4
        .value_kind:     hidden_block_count_x
      - .offset:         148
        .size:           4
        .value_kind:     hidden_block_count_y
      - .offset:         152
        .size:           4
        .value_kind:     hidden_block_count_z
      - .offset:         156
        .size:           2
        .value_kind:     hidden_group_size_x
      - .offset:         158
        .size:           2
        .value_kind:     hidden_group_size_y
      - .offset:         160
        .size:           2
        .value_kind:     hidden_group_size_z
      - .offset:         162
        .size:           2
        .value_kind:     hidden_remainder_x
      - .offset:         164
        .size:           2
        .value_kind:     hidden_remainder_y
      - .offset:         166
        .size:           2
        .value_kind:     hidden_remainder_z
      - .offset:         184
        .size:           8
        .value_kind:     hidden_global_offset_x
      - .offset:         192
        .size:           8
        .value_kind:     hidden_global_offset_y
      - .offset:         200
        .size:           8
        .value_kind:     hidden_global_offset_z
      - .offset:         208
        .size:           2
        .value_kind:     hidden_grid_dims
    .group_segment_fixed_size: 8192
    .kernarg_segment_align: 8
    .kernarg_segment_size: 400
    .language:       OpenCL C
    .language_version:
      - 2
      - 0
    .max_flat_workgroup_size: 256
    .name:           _Z39paged_attention_ll4mi_QKV_mfma16_kernelIDF16_DF16_LN4vllm18Fp8KVCacheDataTypeE0EDF16_Li32ELi64ELi256ELb0ELi7EL8MFMAType0EEvPKT_PKT0_S8_ifPKiSA_SA_iPKfiiiPfSD_PS3_PT2_iSC_SC_
    .private_segment_fixed_size: 0
    .sgpr_count:     52
    .sgpr_spill_count: 0
    .symbol:         _Z39paged_attention_ll4mi_QKV_mfma16_kernelIDF16_DF16_LN4vllm18Fp8KVCacheDataTypeE0EDF16_Li32ELi64ELi256ELb0ELi7EL8MFMAType0EEvPKT_PKT0_S8_ifPKiSA_SA_iPKfiiiPfSD_PS3_PT2_iSC_SC_.kd
    .uniform_work_group_size: 1
    .uses_dynamic_stack: false
    .vgpr_count:     66
    .vgpr_spill_count: 0
    .wavefront_size: 64
  - .agpr_count:     0
    .args:
      - .actual_access:  read_only
        .address_space:  global
        .offset:         0
        .size:           8
        .value_kind:     global_buffer
      - .actual_access:  read_only
        .address_space:  global
        .offset:         8
        .size:           8
        .value_kind:     global_buffer
      - .actual_access:  read_only
        .address_space:  global
        .offset:         16
        .size:           8
        .value_kind:     global_buffer
      - .offset:         24
        .size:           4
        .value_kind:     by_value
      - .offset:         28
        .size:           4
        .value_kind:     by_value
      - .actual_access:  read_only
        .address_space:  global
        .offset:         32
        .size:           8
        .value_kind:     global_buffer
      - .actual_access:  read_only
        .address_space:  global
        .offset:         40
        .size:           8
        .value_kind:     global_buffer
      - .actual_access:  read_only
        .address_space:  global
        .offset:         48
        .size:           8
        .value_kind:     global_buffer
      - .offset:         56
        .size:           4
        .value_kind:     by_value
      - .actual_access:  read_only
        .address_space:  global
        .offset:         64
        .size:           8
        .value_kind:     global_buffer
      - .offset:         72
        .size:           4
        .value_kind:     by_value
      - .offset:         76
        .size:           4
        .value_kind:     by_value
      - .offset:         80
        .size:           4
        .value_kind:     by_value
      - .actual_access:  write_only
        .address_space:  global
        .offset:         88
        .size:           8
        .value_kind:     global_buffer
      - .actual_access:  write_only
        .address_space:  global
        .offset:         96
        .size:           8
        .value_kind:     global_buffer
      - .actual_access:  write_only
        .address_space:  global
        .offset:         104
        .size:           8
        .value_kind:     global_buffer
      - .actual_access:  read_only
        .address_space:  global
        .offset:         112
        .size:           8
        .value_kind:     global_buffer
      - .offset:         120
        .size:           4
        .value_kind:     by_value
      - .address_space:  global
        .offset:         128
        .size:           8
        .value_kind:     global_buffer
      - .address_space:  global
        .offset:         136
        .size:           8
        .value_kind:     global_buffer
      - .offset:         144
        .size:           4
        .value_kind:     hidden_block_count_x
      - .offset:         148
        .size:           4
        .value_kind:     hidden_block_count_y
      - .offset:         152
        .size:           4
        .value_kind:     hidden_block_count_z
      - .offset:         156
        .size:           2
        .value_kind:     hidden_group_size_x
      - .offset:         158
        .size:           2
        .value_kind:     hidden_group_size_y
      - .offset:         160
        .size:           2
        .value_kind:     hidden_group_size_z
      - .offset:         162
        .size:           2
        .value_kind:     hidden_remainder_x
      - .offset:         164
        .size:           2
        .value_kind:     hidden_remainder_y
      - .offset:         166
        .size:           2
        .value_kind:     hidden_remainder_z
      - .offset:         184
        .size:           8
        .value_kind:     hidden_global_offset_x
      - .offset:         192
        .size:           8
        .value_kind:     hidden_global_offset_y
      - .offset:         200
        .size:           8
        .value_kind:     hidden_global_offset_z
      - .offset:         208
        .size:           2
        .value_kind:     hidden_grid_dims
    .group_segment_fixed_size: 8192
    .kernarg_segment_align: 8
    .kernarg_segment_size: 400
    .language:       OpenCL C
    .language_version:
      - 2
      - 0
    .max_flat_workgroup_size: 256
    .name:           _Z39paged_attention_ll4mi_QKV_mfma16_kernelIDF16_DF16_LN4vllm18Fp8KVCacheDataTypeE0EDF16_Li32ELi64ELi256ELb0ELi8EL8MFMAType0EEvPKT_PKT0_S8_ifPKiSA_SA_iPKfiiiPfSD_PS3_PT2_iSC_SC_
    .private_segment_fixed_size: 0
    .sgpr_count:     52
    .sgpr_spill_count: 0
    .symbol:         _Z39paged_attention_ll4mi_QKV_mfma16_kernelIDF16_DF16_LN4vllm18Fp8KVCacheDataTypeE0EDF16_Li32ELi64ELi256ELb0ELi8EL8MFMAType0EEvPKT_PKT0_S8_ifPKiSA_SA_iPKfiiiPfSD_PS3_PT2_iSC_SC_.kd
    .uniform_work_group_size: 1
    .uses_dynamic_stack: false
    .vgpr_count:     66
    .vgpr_spill_count: 0
    .wavefront_size: 64
  - .agpr_count:     0
    .args:
      - .actual_access:  read_only
        .address_space:  global
        .offset:         0
        .size:           8
        .value_kind:     global_buffer
      - .actual_access:  read_only
        .address_space:  global
        .offset:         8
        .size:           8
        .value_kind:     global_buffer
      - .actual_access:  read_only
        .address_space:  global
        .offset:         16
        .size:           8
        .value_kind:     global_buffer
      - .offset:         24
        .size:           4
        .value_kind:     by_value
      - .offset:         28
        .size:           4
        .value_kind:     by_value
      - .actual_access:  read_only
        .address_space:  global
        .offset:         32
        .size:           8
        .value_kind:     global_buffer
      - .actual_access:  read_only
        .address_space:  global
        .offset:         40
        .size:           8
        .value_kind:     global_buffer
      - .actual_access:  read_only
        .address_space:  global
        .offset:         48
        .size:           8
        .value_kind:     global_buffer
      - .offset:         56
        .size:           4
        .value_kind:     by_value
      - .actual_access:  read_only
        .address_space:  global
        .offset:         64
        .size:           8
        .value_kind:     global_buffer
      - .offset:         72
        .size:           4
        .value_kind:     by_value
      - .offset:         76
        .size:           4
        .value_kind:     by_value
      - .offset:         80
        .size:           4
        .value_kind:     by_value
      - .actual_access:  write_only
        .address_space:  global
        .offset:         88
        .size:           8
        .value_kind:     global_buffer
      - .actual_access:  write_only
        .address_space:  global
        .offset:         96
        .size:           8
        .value_kind:     global_buffer
      - .actual_access:  write_only
        .address_space:  global
        .offset:         104
        .size:           8
        .value_kind:     global_buffer
      - .actual_access:  read_only
        .address_space:  global
        .offset:         112
        .size:           8
        .value_kind:     global_buffer
      - .offset:         120
        .size:           4
        .value_kind:     by_value
      - .address_space:  global
        .offset:         128
        .size:           8
        .value_kind:     global_buffer
      - .address_space:  global
        .offset:         136
        .size:           8
        .value_kind:     global_buffer
      - .offset:         144
        .size:           4
        .value_kind:     hidden_block_count_x
      - .offset:         148
        .size:           4
        .value_kind:     hidden_block_count_y
      - .offset:         152
        .size:           4
        .value_kind:     hidden_block_count_z
      - .offset:         156
        .size:           2
        .value_kind:     hidden_group_size_x
      - .offset:         158
        .size:           2
        .value_kind:     hidden_group_size_y
      - .offset:         160
        .size:           2
        .value_kind:     hidden_group_size_z
      - .offset:         162
        .size:           2
        .value_kind:     hidden_remainder_x
      - .offset:         164
        .size:           2
        .value_kind:     hidden_remainder_y
      - .offset:         166
        .size:           2
        .value_kind:     hidden_remainder_z
      - .offset:         184
        .size:           8
        .value_kind:     hidden_global_offset_x
      - .offset:         192
        .size:           8
        .value_kind:     hidden_global_offset_y
      - .offset:         200
        .size:           8
        .value_kind:     hidden_global_offset_z
      - .offset:         208
        .size:           2
        .value_kind:     hidden_grid_dims
    .group_segment_fixed_size: 8192
    .kernarg_segment_align: 8
    .kernarg_segment_size: 400
    .language:       OpenCL C
    .language_version:
      - 2
      - 0
    .max_flat_workgroup_size: 256
    .name:           _Z39paged_attention_ll4mi_QKV_mfma16_kernelIDF16_DF16_LN4vllm18Fp8KVCacheDataTypeE0EDF16_Li32ELi64ELi256ELb0ELi9EL8MFMAType0EEvPKT_PKT0_S8_ifPKiSA_SA_iPKfiiiPfSD_PS3_PT2_iSC_SC_
    .private_segment_fixed_size: 0
    .sgpr_count:     52
    .sgpr_spill_count: 0
    .symbol:         _Z39paged_attention_ll4mi_QKV_mfma16_kernelIDF16_DF16_LN4vllm18Fp8KVCacheDataTypeE0EDF16_Li32ELi64ELi256ELb0ELi9EL8MFMAType0EEvPKT_PKT0_S8_ifPKiSA_SA_iPKfiiiPfSD_PS3_PT2_iSC_SC_.kd
    .uniform_work_group_size: 1
    .uses_dynamic_stack: false
    .vgpr_count:     66
    .vgpr_spill_count: 0
    .wavefront_size: 64
  - .agpr_count:     0
    .args:
      - .actual_access:  read_only
        .address_space:  global
        .offset:         0
        .size:           8
        .value_kind:     global_buffer
      - .actual_access:  read_only
        .address_space:  global
        .offset:         8
        .size:           8
        .value_kind:     global_buffer
      - .actual_access:  read_only
        .address_space:  global
        .offset:         16
        .size:           8
        .value_kind:     global_buffer
      - .offset:         24
        .size:           4
        .value_kind:     by_value
      - .offset:         28
        .size:           4
        .value_kind:     by_value
      - .actual_access:  read_only
        .address_space:  global
        .offset:         32
        .size:           8
        .value_kind:     global_buffer
      - .actual_access:  read_only
        .address_space:  global
        .offset:         40
        .size:           8
        .value_kind:     global_buffer
      - .actual_access:  read_only
        .address_space:  global
        .offset:         48
        .size:           8
        .value_kind:     global_buffer
      - .offset:         56
        .size:           4
        .value_kind:     by_value
      - .actual_access:  read_only
        .address_space:  global
        .offset:         64
        .size:           8
        .value_kind:     global_buffer
      - .offset:         72
        .size:           4
        .value_kind:     by_value
      - .offset:         76
        .size:           4
        .value_kind:     by_value
      - .offset:         80
        .size:           4
        .value_kind:     by_value
      - .actual_access:  write_only
        .address_space:  global
        .offset:         88
        .size:           8
        .value_kind:     global_buffer
      - .actual_access:  write_only
        .address_space:  global
        .offset:         96
        .size:           8
        .value_kind:     global_buffer
      - .actual_access:  write_only
        .address_space:  global
        .offset:         104
        .size:           8
        .value_kind:     global_buffer
      - .actual_access:  read_only
        .address_space:  global
        .offset:         112
        .size:           8
        .value_kind:     global_buffer
      - .offset:         120
        .size:           4
        .value_kind:     by_value
      - .address_space:  global
        .offset:         128
        .size:           8
        .value_kind:     global_buffer
      - .address_space:  global
        .offset:         136
        .size:           8
        .value_kind:     global_buffer
      - .offset:         144
        .size:           4
        .value_kind:     hidden_block_count_x
      - .offset:         148
        .size:           4
        .value_kind:     hidden_block_count_y
      - .offset:         152
        .size:           4
        .value_kind:     hidden_block_count_z
      - .offset:         156
        .size:           2
        .value_kind:     hidden_group_size_x
      - .offset:         158
        .size:           2
        .value_kind:     hidden_group_size_y
      - .offset:         160
        .size:           2
        .value_kind:     hidden_group_size_z
      - .offset:         162
        .size:           2
        .value_kind:     hidden_remainder_x
      - .offset:         164
        .size:           2
        .value_kind:     hidden_remainder_y
      - .offset:         166
        .size:           2
        .value_kind:     hidden_remainder_z
      - .offset:         184
        .size:           8
        .value_kind:     hidden_global_offset_x
      - .offset:         192
        .size:           8
        .value_kind:     hidden_global_offset_y
      - .offset:         200
        .size:           8
        .value_kind:     hidden_global_offset_z
      - .offset:         208
        .size:           2
        .value_kind:     hidden_grid_dims
    .group_segment_fixed_size: 8192
    .kernarg_segment_align: 8
    .kernarg_segment_size: 400
    .language:       OpenCL C
    .language_version:
      - 2
      - 0
    .max_flat_workgroup_size: 256
    .name:           _Z39paged_attention_ll4mi_QKV_mfma16_kernelIDF16_DF16_LN4vllm18Fp8KVCacheDataTypeE0EDF16_Li32ELi64ELi256ELb0ELi10EL8MFMAType0EEvPKT_PKT0_S8_ifPKiSA_SA_iPKfiiiPfSD_PS3_PT2_iSC_SC_
    .private_segment_fixed_size: 0
    .sgpr_count:     52
    .sgpr_spill_count: 0
    .symbol:         _Z39paged_attention_ll4mi_QKV_mfma16_kernelIDF16_DF16_LN4vllm18Fp8KVCacheDataTypeE0EDF16_Li32ELi64ELi256ELb0ELi10EL8MFMAType0EEvPKT_PKT0_S8_ifPKiSA_SA_iPKfiiiPfSD_PS3_PT2_iSC_SC_.kd
    .uniform_work_group_size: 1
    .uses_dynamic_stack: false
    .vgpr_count:     66
    .vgpr_spill_count: 0
    .wavefront_size: 64
  - .agpr_count:     0
    .args:
      - .actual_access:  read_only
        .address_space:  global
        .offset:         0
        .size:           8
        .value_kind:     global_buffer
      - .actual_access:  read_only
        .address_space:  global
        .offset:         8
        .size:           8
        .value_kind:     global_buffer
      - .actual_access:  read_only
        .address_space:  global
        .offset:         16
        .size:           8
        .value_kind:     global_buffer
      - .offset:         24
        .size:           4
        .value_kind:     by_value
      - .offset:         28
        .size:           4
        .value_kind:     by_value
      - .actual_access:  read_only
        .address_space:  global
        .offset:         32
        .size:           8
        .value_kind:     global_buffer
      - .actual_access:  read_only
        .address_space:  global
        .offset:         40
        .size:           8
        .value_kind:     global_buffer
      - .actual_access:  read_only
        .address_space:  global
        .offset:         48
        .size:           8
        .value_kind:     global_buffer
      - .offset:         56
        .size:           4
        .value_kind:     by_value
      - .actual_access:  read_only
        .address_space:  global
        .offset:         64
        .size:           8
        .value_kind:     global_buffer
      - .offset:         72
        .size:           4
        .value_kind:     by_value
      - .offset:         76
        .size:           4
        .value_kind:     by_value
      - .offset:         80
        .size:           4
        .value_kind:     by_value
      - .actual_access:  write_only
        .address_space:  global
        .offset:         88
        .size:           8
        .value_kind:     global_buffer
      - .actual_access:  write_only
        .address_space:  global
        .offset:         96
        .size:           8
        .value_kind:     global_buffer
      - .actual_access:  write_only
        .address_space:  global
        .offset:         104
        .size:           8
        .value_kind:     global_buffer
      - .actual_access:  read_only
        .address_space:  global
        .offset:         112
        .size:           8
        .value_kind:     global_buffer
      - .offset:         120
        .size:           4
        .value_kind:     by_value
      - .address_space:  global
        .offset:         128
        .size:           8
        .value_kind:     global_buffer
      - .address_space:  global
        .offset:         136
        .size:           8
        .value_kind:     global_buffer
      - .offset:         144
        .size:           4
        .value_kind:     hidden_block_count_x
      - .offset:         148
        .size:           4
        .value_kind:     hidden_block_count_y
      - .offset:         152
        .size:           4
        .value_kind:     hidden_block_count_z
      - .offset:         156
        .size:           2
        .value_kind:     hidden_group_size_x
      - .offset:         158
        .size:           2
        .value_kind:     hidden_group_size_y
      - .offset:         160
        .size:           2
        .value_kind:     hidden_group_size_z
      - .offset:         162
        .size:           2
        .value_kind:     hidden_remainder_x
      - .offset:         164
        .size:           2
        .value_kind:     hidden_remainder_y
      - .offset:         166
        .size:           2
        .value_kind:     hidden_remainder_z
      - .offset:         184
        .size:           8
        .value_kind:     hidden_global_offset_x
      - .offset:         192
        .size:           8
        .value_kind:     hidden_global_offset_y
      - .offset:         200
        .size:           8
        .value_kind:     hidden_global_offset_z
      - .offset:         208
        .size:           2
        .value_kind:     hidden_grid_dims
    .group_segment_fixed_size: 8192
    .kernarg_segment_align: 8
    .kernarg_segment_size: 400
    .language:       OpenCL C
    .language_version:
      - 2
      - 0
    .max_flat_workgroup_size: 256
    .name:           _Z39paged_attention_ll4mi_QKV_mfma16_kernelIDF16_DF16_LN4vllm18Fp8KVCacheDataTypeE0EDF16_Li32ELi64ELi256ELb0ELi11EL8MFMAType0EEvPKT_PKT0_S8_ifPKiSA_SA_iPKfiiiPfSD_PS3_PT2_iSC_SC_
    .private_segment_fixed_size: 0
    .sgpr_count:     52
    .sgpr_spill_count: 0
    .symbol:         _Z39paged_attention_ll4mi_QKV_mfma16_kernelIDF16_DF16_LN4vllm18Fp8KVCacheDataTypeE0EDF16_Li32ELi64ELi256ELb0ELi11EL8MFMAType0EEvPKT_PKT0_S8_ifPKiSA_SA_iPKfiiiPfSD_PS3_PT2_iSC_SC_.kd
    .uniform_work_group_size: 1
    .uses_dynamic_stack: false
    .vgpr_count:     66
    .vgpr_spill_count: 0
    .wavefront_size: 64
  - .agpr_count:     0
    .args:
      - .actual_access:  read_only
        .address_space:  global
        .offset:         0
        .size:           8
        .value_kind:     global_buffer
      - .actual_access:  read_only
        .address_space:  global
        .offset:         8
        .size:           8
        .value_kind:     global_buffer
      - .actual_access:  read_only
        .address_space:  global
        .offset:         16
        .size:           8
        .value_kind:     global_buffer
      - .offset:         24
        .size:           4
        .value_kind:     by_value
      - .offset:         28
        .size:           4
        .value_kind:     by_value
      - .actual_access:  read_only
        .address_space:  global
        .offset:         32
        .size:           8
        .value_kind:     global_buffer
      - .actual_access:  read_only
        .address_space:  global
        .offset:         40
        .size:           8
        .value_kind:     global_buffer
      - .actual_access:  read_only
        .address_space:  global
        .offset:         48
        .size:           8
        .value_kind:     global_buffer
      - .offset:         56
        .size:           4
        .value_kind:     by_value
      - .actual_access:  read_only
        .address_space:  global
        .offset:         64
        .size:           8
        .value_kind:     global_buffer
      - .offset:         72
        .size:           4
        .value_kind:     by_value
      - .offset:         76
        .size:           4
        .value_kind:     by_value
      - .offset:         80
        .size:           4
        .value_kind:     by_value
      - .actual_access:  write_only
        .address_space:  global
        .offset:         88
        .size:           8
        .value_kind:     global_buffer
      - .actual_access:  write_only
        .address_space:  global
        .offset:         96
        .size:           8
        .value_kind:     global_buffer
      - .actual_access:  write_only
        .address_space:  global
        .offset:         104
        .size:           8
        .value_kind:     global_buffer
      - .actual_access:  read_only
        .address_space:  global
        .offset:         112
        .size:           8
        .value_kind:     global_buffer
      - .offset:         120
        .size:           4
        .value_kind:     by_value
      - .address_space:  global
        .offset:         128
        .size:           8
        .value_kind:     global_buffer
      - .address_space:  global
        .offset:         136
        .size:           8
        .value_kind:     global_buffer
      - .offset:         144
        .size:           4
        .value_kind:     hidden_block_count_x
      - .offset:         148
        .size:           4
        .value_kind:     hidden_block_count_y
      - .offset:         152
        .size:           4
        .value_kind:     hidden_block_count_z
      - .offset:         156
        .size:           2
        .value_kind:     hidden_group_size_x
      - .offset:         158
        .size:           2
        .value_kind:     hidden_group_size_y
      - .offset:         160
        .size:           2
        .value_kind:     hidden_group_size_z
      - .offset:         162
        .size:           2
        .value_kind:     hidden_remainder_x
      - .offset:         164
        .size:           2
        .value_kind:     hidden_remainder_y
      - .offset:         166
        .size:           2
        .value_kind:     hidden_remainder_z
      - .offset:         184
        .size:           8
        .value_kind:     hidden_global_offset_x
      - .offset:         192
        .size:           8
        .value_kind:     hidden_global_offset_y
      - .offset:         200
        .size:           8
        .value_kind:     hidden_global_offset_z
      - .offset:         208
        .size:           2
        .value_kind:     hidden_grid_dims
    .group_segment_fixed_size: 8192
    .kernarg_segment_align: 8
    .kernarg_segment_size: 400
    .language:       OpenCL C
    .language_version:
      - 2
      - 0
    .max_flat_workgroup_size: 256
    .name:           _Z39paged_attention_ll4mi_QKV_mfma16_kernelIDF16_DF16_LN4vllm18Fp8KVCacheDataTypeE0EDF16_Li32ELi64ELi256ELb0ELi12EL8MFMAType0EEvPKT_PKT0_S8_ifPKiSA_SA_iPKfiiiPfSD_PS3_PT2_iSC_SC_
    .private_segment_fixed_size: 0
    .sgpr_count:     52
    .sgpr_spill_count: 0
    .symbol:         _Z39paged_attention_ll4mi_QKV_mfma16_kernelIDF16_DF16_LN4vllm18Fp8KVCacheDataTypeE0EDF16_Li32ELi64ELi256ELb0ELi12EL8MFMAType0EEvPKT_PKT0_S8_ifPKiSA_SA_iPKfiiiPfSD_PS3_PT2_iSC_SC_.kd
    .uniform_work_group_size: 1
    .uses_dynamic_stack: false
    .vgpr_count:     66
    .vgpr_spill_count: 0
    .wavefront_size: 64
  - .agpr_count:     0
    .args:
      - .actual_access:  read_only
        .address_space:  global
        .offset:         0
        .size:           8
        .value_kind:     global_buffer
      - .actual_access:  read_only
        .address_space:  global
        .offset:         8
        .size:           8
        .value_kind:     global_buffer
      - .actual_access:  read_only
        .address_space:  global
        .offset:         16
        .size:           8
        .value_kind:     global_buffer
      - .offset:         24
        .size:           4
        .value_kind:     by_value
      - .offset:         28
        .size:           4
        .value_kind:     by_value
      - .actual_access:  read_only
        .address_space:  global
        .offset:         32
        .size:           8
        .value_kind:     global_buffer
      - .actual_access:  read_only
        .address_space:  global
        .offset:         40
        .size:           8
        .value_kind:     global_buffer
      - .actual_access:  read_only
        .address_space:  global
        .offset:         48
        .size:           8
        .value_kind:     global_buffer
      - .offset:         56
        .size:           4
        .value_kind:     by_value
      - .actual_access:  read_only
        .address_space:  global
        .offset:         64
        .size:           8
        .value_kind:     global_buffer
      - .offset:         72
        .size:           4
        .value_kind:     by_value
      - .offset:         76
        .size:           4
        .value_kind:     by_value
      - .offset:         80
        .size:           4
        .value_kind:     by_value
      - .actual_access:  write_only
        .address_space:  global
        .offset:         88
        .size:           8
        .value_kind:     global_buffer
      - .actual_access:  write_only
        .address_space:  global
        .offset:         96
        .size:           8
        .value_kind:     global_buffer
      - .actual_access:  write_only
        .address_space:  global
        .offset:         104
        .size:           8
        .value_kind:     global_buffer
      - .actual_access:  read_only
        .address_space:  global
        .offset:         112
        .size:           8
        .value_kind:     global_buffer
      - .offset:         120
        .size:           4
        .value_kind:     by_value
      - .address_space:  global
        .offset:         128
        .size:           8
        .value_kind:     global_buffer
      - .address_space:  global
        .offset:         136
        .size:           8
        .value_kind:     global_buffer
      - .offset:         144
        .size:           4
        .value_kind:     hidden_block_count_x
      - .offset:         148
        .size:           4
        .value_kind:     hidden_block_count_y
      - .offset:         152
        .size:           4
        .value_kind:     hidden_block_count_z
      - .offset:         156
        .size:           2
        .value_kind:     hidden_group_size_x
      - .offset:         158
        .size:           2
        .value_kind:     hidden_group_size_y
      - .offset:         160
        .size:           2
        .value_kind:     hidden_group_size_z
      - .offset:         162
        .size:           2
        .value_kind:     hidden_remainder_x
      - .offset:         164
        .size:           2
        .value_kind:     hidden_remainder_y
      - .offset:         166
        .size:           2
        .value_kind:     hidden_remainder_z
      - .offset:         184
        .size:           8
        .value_kind:     hidden_global_offset_x
      - .offset:         192
        .size:           8
        .value_kind:     hidden_global_offset_y
      - .offset:         200
        .size:           8
        .value_kind:     hidden_global_offset_z
      - .offset:         208
        .size:           2
        .value_kind:     hidden_grid_dims
    .group_segment_fixed_size: 8192
    .kernarg_segment_align: 8
    .kernarg_segment_size: 400
    .language:       OpenCL C
    .language_version:
      - 2
      - 0
    .max_flat_workgroup_size: 256
    .name:           _Z39paged_attention_ll4mi_QKV_mfma16_kernelIDF16_DF16_LN4vllm18Fp8KVCacheDataTypeE0EDF16_Li32ELi64ELi256ELb0ELi13EL8MFMAType0EEvPKT_PKT0_S8_ifPKiSA_SA_iPKfiiiPfSD_PS3_PT2_iSC_SC_
    .private_segment_fixed_size: 0
    .sgpr_count:     52
    .sgpr_spill_count: 0
    .symbol:         _Z39paged_attention_ll4mi_QKV_mfma16_kernelIDF16_DF16_LN4vllm18Fp8KVCacheDataTypeE0EDF16_Li32ELi64ELi256ELb0ELi13EL8MFMAType0EEvPKT_PKT0_S8_ifPKiSA_SA_iPKfiiiPfSD_PS3_PT2_iSC_SC_.kd
    .uniform_work_group_size: 1
    .uses_dynamic_stack: false
    .vgpr_count:     66
    .vgpr_spill_count: 0
    .wavefront_size: 64
  - .agpr_count:     0
    .args:
      - .actual_access:  read_only
        .address_space:  global
        .offset:         0
        .size:           8
        .value_kind:     global_buffer
      - .actual_access:  read_only
        .address_space:  global
        .offset:         8
        .size:           8
        .value_kind:     global_buffer
      - .actual_access:  read_only
        .address_space:  global
        .offset:         16
        .size:           8
        .value_kind:     global_buffer
      - .offset:         24
        .size:           4
        .value_kind:     by_value
      - .offset:         28
        .size:           4
        .value_kind:     by_value
      - .actual_access:  read_only
        .address_space:  global
        .offset:         32
        .size:           8
        .value_kind:     global_buffer
      - .actual_access:  read_only
        .address_space:  global
        .offset:         40
        .size:           8
        .value_kind:     global_buffer
      - .actual_access:  read_only
        .address_space:  global
        .offset:         48
        .size:           8
        .value_kind:     global_buffer
      - .offset:         56
        .size:           4
        .value_kind:     by_value
      - .actual_access:  read_only
        .address_space:  global
        .offset:         64
        .size:           8
        .value_kind:     global_buffer
      - .offset:         72
        .size:           4
        .value_kind:     by_value
      - .offset:         76
        .size:           4
        .value_kind:     by_value
      - .offset:         80
        .size:           4
        .value_kind:     by_value
      - .actual_access:  write_only
        .address_space:  global
        .offset:         88
        .size:           8
        .value_kind:     global_buffer
      - .actual_access:  write_only
        .address_space:  global
        .offset:         96
        .size:           8
        .value_kind:     global_buffer
      - .actual_access:  write_only
        .address_space:  global
        .offset:         104
        .size:           8
        .value_kind:     global_buffer
      - .actual_access:  read_only
        .address_space:  global
        .offset:         112
        .size:           8
        .value_kind:     global_buffer
      - .offset:         120
        .size:           4
        .value_kind:     by_value
      - .address_space:  global
        .offset:         128
        .size:           8
        .value_kind:     global_buffer
      - .address_space:  global
        .offset:         136
        .size:           8
        .value_kind:     global_buffer
      - .offset:         144
        .size:           4
        .value_kind:     hidden_block_count_x
      - .offset:         148
        .size:           4
        .value_kind:     hidden_block_count_y
      - .offset:         152
        .size:           4
        .value_kind:     hidden_block_count_z
      - .offset:         156
        .size:           2
        .value_kind:     hidden_group_size_x
      - .offset:         158
        .size:           2
        .value_kind:     hidden_group_size_y
      - .offset:         160
        .size:           2
        .value_kind:     hidden_group_size_z
      - .offset:         162
        .size:           2
        .value_kind:     hidden_remainder_x
      - .offset:         164
        .size:           2
        .value_kind:     hidden_remainder_y
      - .offset:         166
        .size:           2
        .value_kind:     hidden_remainder_z
      - .offset:         184
        .size:           8
        .value_kind:     hidden_global_offset_x
      - .offset:         192
        .size:           8
        .value_kind:     hidden_global_offset_y
      - .offset:         200
        .size:           8
        .value_kind:     hidden_global_offset_z
      - .offset:         208
        .size:           2
        .value_kind:     hidden_grid_dims
    .group_segment_fixed_size: 8192
    .kernarg_segment_align: 8
    .kernarg_segment_size: 400
    .language:       OpenCL C
    .language_version:
      - 2
      - 0
    .max_flat_workgroup_size: 256
    .name:           _Z39paged_attention_ll4mi_QKV_mfma16_kernelIDF16_DF16_LN4vllm18Fp8KVCacheDataTypeE0EDF16_Li32ELi64ELi256ELb0ELi14EL8MFMAType0EEvPKT_PKT0_S8_ifPKiSA_SA_iPKfiiiPfSD_PS3_PT2_iSC_SC_
    .private_segment_fixed_size: 0
    .sgpr_count:     52
    .sgpr_spill_count: 0
    .symbol:         _Z39paged_attention_ll4mi_QKV_mfma16_kernelIDF16_DF16_LN4vllm18Fp8KVCacheDataTypeE0EDF16_Li32ELi64ELi256ELb0ELi14EL8MFMAType0EEvPKT_PKT0_S8_ifPKiSA_SA_iPKfiiiPfSD_PS3_PT2_iSC_SC_.kd
    .uniform_work_group_size: 1
    .uses_dynamic_stack: false
    .vgpr_count:     66
    .vgpr_spill_count: 0
    .wavefront_size: 64
  - .agpr_count:     0
    .args:
      - .actual_access:  read_only
        .address_space:  global
        .offset:         0
        .size:           8
        .value_kind:     global_buffer
      - .actual_access:  read_only
        .address_space:  global
        .offset:         8
        .size:           8
        .value_kind:     global_buffer
      - .actual_access:  read_only
        .address_space:  global
        .offset:         16
        .size:           8
        .value_kind:     global_buffer
      - .offset:         24
        .size:           4
        .value_kind:     by_value
      - .offset:         28
        .size:           4
        .value_kind:     by_value
      - .actual_access:  read_only
        .address_space:  global
        .offset:         32
        .size:           8
        .value_kind:     global_buffer
      - .actual_access:  read_only
        .address_space:  global
        .offset:         40
        .size:           8
        .value_kind:     global_buffer
      - .actual_access:  read_only
        .address_space:  global
        .offset:         48
        .size:           8
        .value_kind:     global_buffer
      - .offset:         56
        .size:           4
        .value_kind:     by_value
      - .actual_access:  read_only
        .address_space:  global
        .offset:         64
        .size:           8
        .value_kind:     global_buffer
      - .offset:         72
        .size:           4
        .value_kind:     by_value
      - .offset:         76
        .size:           4
        .value_kind:     by_value
      - .offset:         80
        .size:           4
        .value_kind:     by_value
      - .actual_access:  write_only
        .address_space:  global
        .offset:         88
        .size:           8
        .value_kind:     global_buffer
      - .actual_access:  write_only
        .address_space:  global
        .offset:         96
        .size:           8
        .value_kind:     global_buffer
      - .actual_access:  write_only
        .address_space:  global
        .offset:         104
        .size:           8
        .value_kind:     global_buffer
      - .actual_access:  read_only
        .address_space:  global
        .offset:         112
        .size:           8
        .value_kind:     global_buffer
      - .offset:         120
        .size:           4
        .value_kind:     by_value
      - .address_space:  global
        .offset:         128
        .size:           8
        .value_kind:     global_buffer
      - .address_space:  global
        .offset:         136
        .size:           8
        .value_kind:     global_buffer
      - .offset:         144
        .size:           4
        .value_kind:     hidden_block_count_x
      - .offset:         148
        .size:           4
        .value_kind:     hidden_block_count_y
      - .offset:         152
        .size:           4
        .value_kind:     hidden_block_count_z
      - .offset:         156
        .size:           2
        .value_kind:     hidden_group_size_x
      - .offset:         158
        .size:           2
        .value_kind:     hidden_group_size_y
      - .offset:         160
        .size:           2
        .value_kind:     hidden_group_size_z
      - .offset:         162
        .size:           2
        .value_kind:     hidden_remainder_x
      - .offset:         164
        .size:           2
        .value_kind:     hidden_remainder_y
      - .offset:         166
        .size:           2
        .value_kind:     hidden_remainder_z
      - .offset:         184
        .size:           8
        .value_kind:     hidden_global_offset_x
      - .offset:         192
        .size:           8
        .value_kind:     hidden_global_offset_y
      - .offset:         200
        .size:           8
        .value_kind:     hidden_global_offset_z
      - .offset:         208
        .size:           2
        .value_kind:     hidden_grid_dims
    .group_segment_fixed_size: 8192
    .kernarg_segment_align: 8
    .kernarg_segment_size: 400
    .language:       OpenCL C
    .language_version:
      - 2
      - 0
    .max_flat_workgroup_size: 256
    .name:           _Z39paged_attention_ll4mi_QKV_mfma16_kernelIDF16_DF16_LN4vllm18Fp8KVCacheDataTypeE0EDF16_Li32ELi64ELi256ELb0ELi15EL8MFMAType0EEvPKT_PKT0_S8_ifPKiSA_SA_iPKfiiiPfSD_PS3_PT2_iSC_SC_
    .private_segment_fixed_size: 0
    .sgpr_count:     52
    .sgpr_spill_count: 0
    .symbol:         _Z39paged_attention_ll4mi_QKV_mfma16_kernelIDF16_DF16_LN4vllm18Fp8KVCacheDataTypeE0EDF16_Li32ELi64ELi256ELb0ELi15EL8MFMAType0EEvPKT_PKT0_S8_ifPKiSA_SA_iPKfiiiPfSD_PS3_PT2_iSC_SC_.kd
    .uniform_work_group_size: 1
    .uses_dynamic_stack: false
    .vgpr_count:     66
    .vgpr_spill_count: 0
    .wavefront_size: 64
  - .agpr_count:     0
    .args:
      - .actual_access:  read_only
        .address_space:  global
        .offset:         0
        .size:           8
        .value_kind:     global_buffer
      - .actual_access:  read_only
        .address_space:  global
        .offset:         8
        .size:           8
        .value_kind:     global_buffer
      - .actual_access:  read_only
        .address_space:  global
        .offset:         16
        .size:           8
        .value_kind:     global_buffer
      - .offset:         24
        .size:           4
        .value_kind:     by_value
      - .offset:         28
        .size:           4
        .value_kind:     by_value
      - .actual_access:  read_only
        .address_space:  global
        .offset:         32
        .size:           8
        .value_kind:     global_buffer
      - .actual_access:  read_only
        .address_space:  global
        .offset:         40
        .size:           8
        .value_kind:     global_buffer
      - .actual_access:  read_only
        .address_space:  global
        .offset:         48
        .size:           8
        .value_kind:     global_buffer
      - .offset:         56
        .size:           4
        .value_kind:     by_value
      - .actual_access:  read_only
        .address_space:  global
        .offset:         64
        .size:           8
        .value_kind:     global_buffer
      - .offset:         72
        .size:           4
        .value_kind:     by_value
      - .offset:         76
        .size:           4
        .value_kind:     by_value
      - .offset:         80
        .size:           4
        .value_kind:     by_value
      - .actual_access:  write_only
        .address_space:  global
        .offset:         88
        .size:           8
        .value_kind:     global_buffer
      - .actual_access:  write_only
        .address_space:  global
        .offset:         96
        .size:           8
        .value_kind:     global_buffer
      - .actual_access:  write_only
        .address_space:  global
        .offset:         104
        .size:           8
        .value_kind:     global_buffer
      - .actual_access:  read_only
        .address_space:  global
        .offset:         112
        .size:           8
        .value_kind:     global_buffer
      - .offset:         120
        .size:           4
        .value_kind:     by_value
      - .address_space:  global
        .offset:         128
        .size:           8
        .value_kind:     global_buffer
      - .address_space:  global
        .offset:         136
        .size:           8
        .value_kind:     global_buffer
      - .offset:         144
        .size:           4
        .value_kind:     hidden_block_count_x
      - .offset:         148
        .size:           4
        .value_kind:     hidden_block_count_y
      - .offset:         152
        .size:           4
        .value_kind:     hidden_block_count_z
      - .offset:         156
        .size:           2
        .value_kind:     hidden_group_size_x
      - .offset:         158
        .size:           2
        .value_kind:     hidden_group_size_y
      - .offset:         160
        .size:           2
        .value_kind:     hidden_group_size_z
      - .offset:         162
        .size:           2
        .value_kind:     hidden_remainder_x
      - .offset:         164
        .size:           2
        .value_kind:     hidden_remainder_y
      - .offset:         166
        .size:           2
        .value_kind:     hidden_remainder_z
      - .offset:         184
        .size:           8
        .value_kind:     hidden_global_offset_x
      - .offset:         192
        .size:           8
        .value_kind:     hidden_global_offset_y
      - .offset:         200
        .size:           8
        .value_kind:     hidden_global_offset_z
      - .offset:         208
        .size:           2
        .value_kind:     hidden_grid_dims
    .group_segment_fixed_size: 8192
    .kernarg_segment_align: 8
    .kernarg_segment_size: 400
    .language:       OpenCL C
    .language_version:
      - 2
      - 0
    .max_flat_workgroup_size: 256
    .name:           _Z39paged_attention_ll4mi_QKV_mfma16_kernelIDF16_DF16_LN4vllm18Fp8KVCacheDataTypeE0EDF16_Li32ELi64ELi256ELb0ELi16EL8MFMAType0EEvPKT_PKT0_S8_ifPKiSA_SA_iPKfiiiPfSD_PS3_PT2_iSC_SC_
    .private_segment_fixed_size: 0
    .sgpr_count:     52
    .sgpr_spill_count: 0
    .symbol:         _Z39paged_attention_ll4mi_QKV_mfma16_kernelIDF16_DF16_LN4vllm18Fp8KVCacheDataTypeE0EDF16_Li32ELi64ELi256ELb0ELi16EL8MFMAType0EEvPKT_PKT0_S8_ifPKiSA_SA_iPKfiiiPfSD_PS3_PT2_iSC_SC_.kd
    .uniform_work_group_size: 1
    .uses_dynamic_stack: false
    .vgpr_count:     67
    .vgpr_spill_count: 0
    .wavefront_size: 64
  - .agpr_count:     0
    .args:
      - .actual_access:  read_only
        .address_space:  global
        .offset:         0
        .size:           8
        .value_kind:     global_buffer
      - .actual_access:  read_only
        .address_space:  global
        .offset:         8
        .size:           8
        .value_kind:     global_buffer
      - .actual_access:  read_only
        .address_space:  global
        .offset:         16
        .size:           8
        .value_kind:     global_buffer
      - .offset:         24
        .size:           4
        .value_kind:     by_value
      - .offset:         28
        .size:           4
        .value_kind:     by_value
      - .actual_access:  read_only
        .address_space:  global
        .offset:         32
        .size:           8
        .value_kind:     global_buffer
      - .actual_access:  read_only
        .address_space:  global
        .offset:         40
        .size:           8
        .value_kind:     global_buffer
      - .actual_access:  read_only
        .address_space:  global
        .offset:         48
        .size:           8
        .value_kind:     global_buffer
      - .offset:         56
        .size:           4
        .value_kind:     by_value
      - .actual_access:  read_only
        .address_space:  global
        .offset:         64
        .size:           8
        .value_kind:     global_buffer
      - .offset:         72
        .size:           4
        .value_kind:     by_value
      - .offset:         76
        .size:           4
        .value_kind:     by_value
      - .offset:         80
        .size:           4
        .value_kind:     by_value
      - .actual_access:  write_only
        .address_space:  global
        .offset:         88
        .size:           8
        .value_kind:     global_buffer
      - .actual_access:  write_only
        .address_space:  global
        .offset:         96
        .size:           8
        .value_kind:     global_buffer
      - .actual_access:  write_only
        .address_space:  global
        .offset:         104
        .size:           8
        .value_kind:     global_buffer
      - .actual_access:  read_only
        .address_space:  global
        .offset:         112
        .size:           8
        .value_kind:     global_buffer
      - .offset:         120
        .size:           4
        .value_kind:     by_value
      - .address_space:  global
        .offset:         128
        .size:           8
        .value_kind:     global_buffer
      - .address_space:  global
        .offset:         136
        .size:           8
        .value_kind:     global_buffer
      - .offset:         144
        .size:           4
        .value_kind:     hidden_block_count_x
      - .offset:         148
        .size:           4
        .value_kind:     hidden_block_count_y
      - .offset:         152
        .size:           4
        .value_kind:     hidden_block_count_z
      - .offset:         156
        .size:           2
        .value_kind:     hidden_group_size_x
      - .offset:         158
        .size:           2
        .value_kind:     hidden_group_size_y
      - .offset:         160
        .size:           2
        .value_kind:     hidden_group_size_z
      - .offset:         162
        .size:           2
        .value_kind:     hidden_remainder_x
      - .offset:         164
        .size:           2
        .value_kind:     hidden_remainder_y
      - .offset:         166
        .size:           2
        .value_kind:     hidden_remainder_z
      - .offset:         184
        .size:           8
        .value_kind:     hidden_global_offset_x
      - .offset:         192
        .size:           8
        .value_kind:     hidden_global_offset_y
      - .offset:         200
        .size:           8
        .value_kind:     hidden_global_offset_z
      - .offset:         208
        .size:           2
        .value_kind:     hidden_grid_dims
    .group_segment_fixed_size: 8192
    .kernarg_segment_align: 8
    .kernarg_segment_size: 400
    .language:       OpenCL C
    .language_version:
      - 2
      - 0
    .max_flat_workgroup_size: 256
    .name:           _Z39paged_attention_ll4mi_QKV_mfma16_kernelIDF16_DF16_LN4vllm18Fp8KVCacheDataTypeE0EDF16_Li32ELi64ELi256ELb0ELi1EL8MFMAType0EEvPKT_PKT0_S8_ifPKiSA_SA_iPKfiiiPfSD_PS3_PT2_iSC_SC_
    .private_segment_fixed_size: 0
    .sgpr_count:     52
    .sgpr_spill_count: 0
    .symbol:         _Z39paged_attention_ll4mi_QKV_mfma16_kernelIDF16_DF16_LN4vllm18Fp8KVCacheDataTypeE0EDF16_Li32ELi64ELi256ELb0ELi1EL8MFMAType0EEvPKT_PKT0_S8_ifPKiSA_SA_iPKfiiiPfSD_PS3_PT2_iSC_SC_.kd
    .uniform_work_group_size: 1
    .uses_dynamic_stack: false
    .vgpr_count:     67
    .vgpr_spill_count: 0
    .wavefront_size: 64
  - .agpr_count:     0
    .args:
      - .actual_access:  read_only
        .address_space:  global
        .offset:         0
        .size:           8
        .value_kind:     global_buffer
      - .actual_access:  read_only
        .address_space:  global
        .offset:         8
        .size:           8
        .value_kind:     global_buffer
      - .actual_access:  read_only
        .address_space:  global
        .offset:         16
        .size:           8
        .value_kind:     global_buffer
      - .offset:         24
        .size:           4
        .value_kind:     by_value
      - .offset:         28
        .size:           4
        .value_kind:     by_value
      - .actual_access:  read_only
        .address_space:  global
        .offset:         32
        .size:           8
        .value_kind:     global_buffer
      - .actual_access:  read_only
        .address_space:  global
        .offset:         40
        .size:           8
        .value_kind:     global_buffer
      - .actual_access:  read_only
        .address_space:  global
        .offset:         48
        .size:           8
        .value_kind:     global_buffer
      - .offset:         56
        .size:           4
        .value_kind:     by_value
      - .actual_access:  read_only
        .address_space:  global
        .offset:         64
        .size:           8
        .value_kind:     global_buffer
      - .offset:         72
        .size:           4
        .value_kind:     by_value
      - .offset:         76
        .size:           4
        .value_kind:     by_value
      - .offset:         80
        .size:           4
        .value_kind:     by_value
      - .actual_access:  write_only
        .address_space:  global
        .offset:         88
        .size:           8
        .value_kind:     global_buffer
      - .actual_access:  write_only
        .address_space:  global
        .offset:         96
        .size:           8
        .value_kind:     global_buffer
      - .actual_access:  write_only
        .address_space:  global
        .offset:         104
        .size:           8
        .value_kind:     global_buffer
      - .actual_access:  read_only
        .address_space:  global
        .offset:         112
        .size:           8
        .value_kind:     global_buffer
      - .offset:         120
        .size:           4
        .value_kind:     by_value
      - .address_space:  global
        .offset:         128
        .size:           8
        .value_kind:     global_buffer
      - .address_space:  global
        .offset:         136
        .size:           8
        .value_kind:     global_buffer
      - .offset:         144
        .size:           4
        .value_kind:     hidden_block_count_x
      - .offset:         148
        .size:           4
        .value_kind:     hidden_block_count_y
      - .offset:         152
        .size:           4
        .value_kind:     hidden_block_count_z
      - .offset:         156
        .size:           2
        .value_kind:     hidden_group_size_x
      - .offset:         158
        .size:           2
        .value_kind:     hidden_group_size_y
      - .offset:         160
        .size:           2
        .value_kind:     hidden_group_size_z
      - .offset:         162
        .size:           2
        .value_kind:     hidden_remainder_x
      - .offset:         164
        .size:           2
        .value_kind:     hidden_remainder_y
      - .offset:         166
        .size:           2
        .value_kind:     hidden_remainder_z
      - .offset:         184
        .size:           8
        .value_kind:     hidden_global_offset_x
      - .offset:         192
        .size:           8
        .value_kind:     hidden_global_offset_y
      - .offset:         200
        .size:           8
        .value_kind:     hidden_global_offset_z
      - .offset:         208
        .size:           2
        .value_kind:     hidden_grid_dims
    .group_segment_fixed_size: 8192
    .kernarg_segment_align: 8
    .kernarg_segment_size: 400
    .language:       OpenCL C
    .language_version:
      - 2
      - 0
    .max_flat_workgroup_size: 256
    .name:           _Z39paged_attention_ll4mi_QKV_mfma16_kernelIDF16_DF16_LN4vllm18Fp8KVCacheDataTypeE0EDF16_Li32ELi64ELi256ELb0ELi2EL8MFMAType0EEvPKT_PKT0_S8_ifPKiSA_SA_iPKfiiiPfSD_PS3_PT2_iSC_SC_
    .private_segment_fixed_size: 0
    .sgpr_count:     52
    .sgpr_spill_count: 0
    .symbol:         _Z39paged_attention_ll4mi_QKV_mfma16_kernelIDF16_DF16_LN4vllm18Fp8KVCacheDataTypeE0EDF16_Li32ELi64ELi256ELb0ELi2EL8MFMAType0EEvPKT_PKT0_S8_ifPKiSA_SA_iPKfiiiPfSD_PS3_PT2_iSC_SC_.kd
    .uniform_work_group_size: 1
    .uses_dynamic_stack: false
    .vgpr_count:     67
    .vgpr_spill_count: 0
    .wavefront_size: 64
  - .agpr_count:     0
    .args:
      - .actual_access:  read_only
        .address_space:  global
        .offset:         0
        .size:           8
        .value_kind:     global_buffer
      - .actual_access:  read_only
        .address_space:  global
        .offset:         8
        .size:           8
        .value_kind:     global_buffer
      - .actual_access:  read_only
        .address_space:  global
        .offset:         16
        .size:           8
        .value_kind:     global_buffer
      - .offset:         24
        .size:           4
        .value_kind:     by_value
      - .offset:         28
        .size:           4
        .value_kind:     by_value
      - .actual_access:  read_only
        .address_space:  global
        .offset:         32
        .size:           8
        .value_kind:     global_buffer
      - .actual_access:  read_only
        .address_space:  global
        .offset:         40
        .size:           8
        .value_kind:     global_buffer
      - .actual_access:  read_only
        .address_space:  global
        .offset:         48
        .size:           8
        .value_kind:     global_buffer
      - .offset:         56
        .size:           4
        .value_kind:     by_value
      - .actual_access:  read_only
        .address_space:  global
        .offset:         64
        .size:           8
        .value_kind:     global_buffer
      - .offset:         72
        .size:           4
        .value_kind:     by_value
      - .offset:         76
        .size:           4
        .value_kind:     by_value
      - .offset:         80
        .size:           4
        .value_kind:     by_value
      - .actual_access:  write_only
        .address_space:  global
        .offset:         88
        .size:           8
        .value_kind:     global_buffer
      - .actual_access:  write_only
        .address_space:  global
        .offset:         96
        .size:           8
        .value_kind:     global_buffer
      - .actual_access:  write_only
        .address_space:  global
        .offset:         104
        .size:           8
        .value_kind:     global_buffer
      - .actual_access:  read_only
        .address_space:  global
        .offset:         112
        .size:           8
        .value_kind:     global_buffer
      - .offset:         120
        .size:           4
        .value_kind:     by_value
      - .address_space:  global
        .offset:         128
        .size:           8
        .value_kind:     global_buffer
      - .address_space:  global
        .offset:         136
        .size:           8
        .value_kind:     global_buffer
      - .offset:         144
        .size:           4
        .value_kind:     hidden_block_count_x
      - .offset:         148
        .size:           4
        .value_kind:     hidden_block_count_y
      - .offset:         152
        .size:           4
        .value_kind:     hidden_block_count_z
      - .offset:         156
        .size:           2
        .value_kind:     hidden_group_size_x
      - .offset:         158
        .size:           2
        .value_kind:     hidden_group_size_y
      - .offset:         160
        .size:           2
        .value_kind:     hidden_group_size_z
      - .offset:         162
        .size:           2
        .value_kind:     hidden_remainder_x
      - .offset:         164
        .size:           2
        .value_kind:     hidden_remainder_y
      - .offset:         166
        .size:           2
        .value_kind:     hidden_remainder_z
      - .offset:         184
        .size:           8
        .value_kind:     hidden_global_offset_x
      - .offset:         192
        .size:           8
        .value_kind:     hidden_global_offset_y
      - .offset:         200
        .size:           8
        .value_kind:     hidden_global_offset_z
      - .offset:         208
        .size:           2
        .value_kind:     hidden_grid_dims
    .group_segment_fixed_size: 8192
    .kernarg_segment_align: 8
    .kernarg_segment_size: 400
    .language:       OpenCL C
    .language_version:
      - 2
      - 0
    .max_flat_workgroup_size: 256
    .name:           _Z39paged_attention_ll4mi_QKV_mfma16_kernelIDF16_DF16_LN4vllm18Fp8KVCacheDataTypeE0EDF16_Li32ELi64ELi256ELb0ELi3EL8MFMAType0EEvPKT_PKT0_S8_ifPKiSA_SA_iPKfiiiPfSD_PS3_PT2_iSC_SC_
    .private_segment_fixed_size: 0
    .sgpr_count:     52
    .sgpr_spill_count: 0
    .symbol:         _Z39paged_attention_ll4mi_QKV_mfma16_kernelIDF16_DF16_LN4vllm18Fp8KVCacheDataTypeE0EDF16_Li32ELi64ELi256ELb0ELi3EL8MFMAType0EEvPKT_PKT0_S8_ifPKiSA_SA_iPKfiiiPfSD_PS3_PT2_iSC_SC_.kd
    .uniform_work_group_size: 1
    .uses_dynamic_stack: false
    .vgpr_count:     67
    .vgpr_spill_count: 0
    .wavefront_size: 64
  - .agpr_count:     0
    .args:
      - .actual_access:  read_only
        .address_space:  global
        .offset:         0
        .size:           8
        .value_kind:     global_buffer
      - .actual_access:  read_only
        .address_space:  global
        .offset:         8
        .size:           8
        .value_kind:     global_buffer
      - .actual_access:  read_only
        .address_space:  global
        .offset:         16
        .size:           8
        .value_kind:     global_buffer
      - .offset:         24
        .size:           4
        .value_kind:     by_value
      - .offset:         28
        .size:           4
        .value_kind:     by_value
      - .actual_access:  read_only
        .address_space:  global
        .offset:         32
        .size:           8
        .value_kind:     global_buffer
      - .actual_access:  read_only
        .address_space:  global
        .offset:         40
        .size:           8
        .value_kind:     global_buffer
      - .actual_access:  read_only
        .address_space:  global
        .offset:         48
        .size:           8
        .value_kind:     global_buffer
      - .offset:         56
        .size:           4
        .value_kind:     by_value
      - .actual_access:  read_only
        .address_space:  global
        .offset:         64
        .size:           8
        .value_kind:     global_buffer
      - .offset:         72
        .size:           4
        .value_kind:     by_value
      - .offset:         76
        .size:           4
        .value_kind:     by_value
      - .offset:         80
        .size:           4
        .value_kind:     by_value
      - .actual_access:  write_only
        .address_space:  global
        .offset:         88
        .size:           8
        .value_kind:     global_buffer
      - .actual_access:  write_only
        .address_space:  global
        .offset:         96
        .size:           8
        .value_kind:     global_buffer
      - .actual_access:  write_only
        .address_space:  global
        .offset:         104
        .size:           8
        .value_kind:     global_buffer
      - .actual_access:  read_only
        .address_space:  global
        .offset:         112
        .size:           8
        .value_kind:     global_buffer
      - .offset:         120
        .size:           4
        .value_kind:     by_value
      - .address_space:  global
        .offset:         128
        .size:           8
        .value_kind:     global_buffer
      - .address_space:  global
        .offset:         136
        .size:           8
        .value_kind:     global_buffer
      - .offset:         144
        .size:           4
        .value_kind:     hidden_block_count_x
      - .offset:         148
        .size:           4
        .value_kind:     hidden_block_count_y
      - .offset:         152
        .size:           4
        .value_kind:     hidden_block_count_z
      - .offset:         156
        .size:           2
        .value_kind:     hidden_group_size_x
      - .offset:         158
        .size:           2
        .value_kind:     hidden_group_size_y
      - .offset:         160
        .size:           2
        .value_kind:     hidden_group_size_z
      - .offset:         162
        .size:           2
        .value_kind:     hidden_remainder_x
      - .offset:         164
        .size:           2
        .value_kind:     hidden_remainder_y
      - .offset:         166
        .size:           2
        .value_kind:     hidden_remainder_z
      - .offset:         184
        .size:           8
        .value_kind:     hidden_global_offset_x
      - .offset:         192
        .size:           8
        .value_kind:     hidden_global_offset_y
      - .offset:         200
        .size:           8
        .value_kind:     hidden_global_offset_z
      - .offset:         208
        .size:           2
        .value_kind:     hidden_grid_dims
    .group_segment_fixed_size: 8192
    .kernarg_segment_align: 8
    .kernarg_segment_size: 400
    .language:       OpenCL C
    .language_version:
      - 2
      - 0
    .max_flat_workgroup_size: 256
    .name:           _Z39paged_attention_ll4mi_QKV_mfma16_kernelIDF16_DF16_LN4vllm18Fp8KVCacheDataTypeE0EDF16_Li32ELi64ELi256ELb0ELi4EL8MFMAType0EEvPKT_PKT0_S8_ifPKiSA_SA_iPKfiiiPfSD_PS3_PT2_iSC_SC_
    .private_segment_fixed_size: 0
    .sgpr_count:     50
    .sgpr_spill_count: 0
    .symbol:         _Z39paged_attention_ll4mi_QKV_mfma16_kernelIDF16_DF16_LN4vllm18Fp8KVCacheDataTypeE0EDF16_Li32ELi64ELi256ELb0ELi4EL8MFMAType0EEvPKT_PKT0_S8_ifPKiSA_SA_iPKfiiiPfSD_PS3_PT2_iSC_SC_.kd
    .uniform_work_group_size: 1
    .uses_dynamic_stack: false
    .vgpr_count:     68
    .vgpr_spill_count: 0
    .wavefront_size: 64
  - .agpr_count:     8
    .args:
      - .actual_access:  read_only
        .address_space:  global
        .offset:         0
        .size:           8
        .value_kind:     global_buffer
      - .actual_access:  read_only
        .address_space:  global
        .offset:         8
        .size:           8
        .value_kind:     global_buffer
      - .actual_access:  read_only
        .address_space:  global
        .offset:         16
        .size:           8
        .value_kind:     global_buffer
      - .offset:         24
        .size:           4
        .value_kind:     by_value
      - .offset:         28
        .size:           4
        .value_kind:     by_value
      - .actual_access:  read_only
        .address_space:  global
        .offset:         32
        .size:           8
        .value_kind:     global_buffer
      - .actual_access:  read_only
        .address_space:  global
        .offset:         40
        .size:           8
        .value_kind:     global_buffer
      - .actual_access:  read_only
        .address_space:  global
        .offset:         48
        .size:           8
        .value_kind:     global_buffer
      - .offset:         56
        .size:           4
        .value_kind:     by_value
      - .actual_access:  read_only
        .address_space:  global
        .offset:         64
        .size:           8
        .value_kind:     global_buffer
      - .offset:         72
        .size:           4
        .value_kind:     by_value
      - .offset:         76
        .size:           4
        .value_kind:     by_value
      - .offset:         80
        .size:           4
        .value_kind:     by_value
      - .actual_access:  write_only
        .address_space:  global
        .offset:         88
        .size:           8
        .value_kind:     global_buffer
      - .actual_access:  write_only
        .address_space:  global
        .offset:         96
        .size:           8
        .value_kind:     global_buffer
      - .actual_access:  write_only
        .address_space:  global
        .offset:         104
        .size:           8
        .value_kind:     global_buffer
      - .actual_access:  read_only
        .address_space:  global
        .offset:         112
        .size:           8
        .value_kind:     global_buffer
      - .offset:         120
        .size:           4
        .value_kind:     by_value
      - .address_space:  global
        .offset:         128
        .size:           8
        .value_kind:     global_buffer
      - .address_space:  global
        .offset:         136
        .size:           8
        .value_kind:     global_buffer
      - .offset:         144
        .size:           4
        .value_kind:     hidden_block_count_x
      - .offset:         148
        .size:           4
        .value_kind:     hidden_block_count_y
      - .offset:         152
        .size:           4
        .value_kind:     hidden_block_count_z
      - .offset:         156
        .size:           2
        .value_kind:     hidden_group_size_x
      - .offset:         158
        .size:           2
        .value_kind:     hidden_group_size_y
      - .offset:         160
        .size:           2
        .value_kind:     hidden_group_size_z
      - .offset:         162
        .size:           2
        .value_kind:     hidden_remainder_x
      - .offset:         164
        .size:           2
        .value_kind:     hidden_remainder_y
      - .offset:         166
        .size:           2
        .value_kind:     hidden_remainder_z
      - .offset:         184
        .size:           8
        .value_kind:     hidden_global_offset_x
      - .offset:         192
        .size:           8
        .value_kind:     hidden_global_offset_y
      - .offset:         200
        .size:           8
        .value_kind:     hidden_global_offset_z
      - .offset:         208
        .size:           2
        .value_kind:     hidden_grid_dims
    .group_segment_fixed_size: 5280
    .kernarg_segment_align: 8
    .kernarg_segment_size: 400
    .language:       OpenCL C
    .language_version:
      - 2
      - 0
    .max_flat_workgroup_size: 256
    .name:           _Z38paged_attention_ll4mi_QKV_mfma4_kernelIDF16_DF16_LN4vllm18Fp8KVCacheDataTypeE0EDF16_Li16ELi128ELi256ELb1ELi1EEvPKT_PKT0_S7_ifPKiS9_S9_iPKfiiiPfSC_PS2_PT2_iSB_SB_
    .private_segment_fixed_size: 0
    .sgpr_count:     42
    .sgpr_spill_count: 0
    .symbol:         _Z38paged_attention_ll4mi_QKV_mfma4_kernelIDF16_DF16_LN4vllm18Fp8KVCacheDataTypeE0EDF16_Li16ELi128ELi256ELb1ELi1EEvPKT_PKT0_S7_ifPKiS9_S9_iPKfiiiPfSC_PS2_PT2_iSB_SB_.kd
    .uniform_work_group_size: 1
    .uses_dynamic_stack: false
    .vgpr_count:     108
    .vgpr_spill_count: 0
    .wavefront_size: 64
  - .agpr_count:     8
    .args:
      - .actual_access:  read_only
        .address_space:  global
        .offset:         0
        .size:           8
        .value_kind:     global_buffer
      - .actual_access:  read_only
        .address_space:  global
        .offset:         8
        .size:           8
        .value_kind:     global_buffer
      - .actual_access:  read_only
        .address_space:  global
        .offset:         16
        .size:           8
        .value_kind:     global_buffer
      - .offset:         24
        .size:           4
        .value_kind:     by_value
      - .offset:         28
        .size:           4
        .value_kind:     by_value
      - .actual_access:  read_only
        .address_space:  global
        .offset:         32
        .size:           8
        .value_kind:     global_buffer
      - .actual_access:  read_only
        .address_space:  global
        .offset:         40
        .size:           8
        .value_kind:     global_buffer
      - .actual_access:  read_only
        .address_space:  global
        .offset:         48
        .size:           8
        .value_kind:     global_buffer
      - .offset:         56
        .size:           4
        .value_kind:     by_value
      - .actual_access:  read_only
        .address_space:  global
        .offset:         64
        .size:           8
        .value_kind:     global_buffer
      - .offset:         72
        .size:           4
        .value_kind:     by_value
      - .offset:         76
        .size:           4
        .value_kind:     by_value
      - .offset:         80
        .size:           4
        .value_kind:     by_value
      - .actual_access:  write_only
        .address_space:  global
        .offset:         88
        .size:           8
        .value_kind:     global_buffer
      - .actual_access:  write_only
        .address_space:  global
        .offset:         96
        .size:           8
        .value_kind:     global_buffer
      - .actual_access:  write_only
        .address_space:  global
        .offset:         104
        .size:           8
        .value_kind:     global_buffer
      - .actual_access:  read_only
        .address_space:  global
        .offset:         112
        .size:           8
        .value_kind:     global_buffer
      - .offset:         120
        .size:           4
        .value_kind:     by_value
      - .address_space:  global
        .offset:         128
        .size:           8
        .value_kind:     global_buffer
      - .address_space:  global
        .offset:         136
        .size:           8
        .value_kind:     global_buffer
      - .offset:         144
        .size:           4
        .value_kind:     hidden_block_count_x
      - .offset:         148
        .size:           4
        .value_kind:     hidden_block_count_y
      - .offset:         152
        .size:           4
        .value_kind:     hidden_block_count_z
      - .offset:         156
        .size:           2
        .value_kind:     hidden_group_size_x
      - .offset:         158
        .size:           2
        .value_kind:     hidden_group_size_y
      - .offset:         160
        .size:           2
        .value_kind:     hidden_group_size_z
      - .offset:         162
        .size:           2
        .value_kind:     hidden_remainder_x
      - .offset:         164
        .size:           2
        .value_kind:     hidden_remainder_y
      - .offset:         166
        .size:           2
        .value_kind:     hidden_remainder_z
      - .offset:         184
        .size:           8
        .value_kind:     hidden_global_offset_x
      - .offset:         192
        .size:           8
        .value_kind:     hidden_global_offset_y
      - .offset:         200
        .size:           8
        .value_kind:     hidden_global_offset_z
      - .offset:         208
        .size:           2
        .value_kind:     hidden_grid_dims
    .group_segment_fixed_size: 5280
    .kernarg_segment_align: 8
    .kernarg_segment_size: 400
    .language:       OpenCL C
    .language_version:
      - 2
      - 0
    .max_flat_workgroup_size: 256
    .name:           _Z38paged_attention_ll4mi_QKV_mfma4_kernelIDF16_DF16_LN4vllm18Fp8KVCacheDataTypeE0EDF16_Li16ELi128ELi256ELb1ELi2EEvPKT_PKT0_S7_ifPKiS9_S9_iPKfiiiPfSC_PS2_PT2_iSB_SB_
    .private_segment_fixed_size: 0
    .sgpr_count:     42
    .sgpr_spill_count: 0
    .symbol:         _Z38paged_attention_ll4mi_QKV_mfma4_kernelIDF16_DF16_LN4vllm18Fp8KVCacheDataTypeE0EDF16_Li16ELi128ELi256ELb1ELi2EEvPKT_PKT0_S7_ifPKiS9_S9_iPKfiiiPfSC_PS2_PT2_iSB_SB_.kd
    .uniform_work_group_size: 1
    .uses_dynamic_stack: false
    .vgpr_count:     108
    .vgpr_spill_count: 0
    .wavefront_size: 64
  - .agpr_count:     8
    .args:
      - .actual_access:  read_only
        .address_space:  global
        .offset:         0
        .size:           8
        .value_kind:     global_buffer
      - .actual_access:  read_only
        .address_space:  global
        .offset:         8
        .size:           8
        .value_kind:     global_buffer
      - .actual_access:  read_only
        .address_space:  global
        .offset:         16
        .size:           8
        .value_kind:     global_buffer
      - .offset:         24
        .size:           4
        .value_kind:     by_value
      - .offset:         28
        .size:           4
        .value_kind:     by_value
      - .actual_access:  read_only
        .address_space:  global
        .offset:         32
        .size:           8
        .value_kind:     global_buffer
      - .actual_access:  read_only
        .address_space:  global
        .offset:         40
        .size:           8
        .value_kind:     global_buffer
      - .actual_access:  read_only
        .address_space:  global
        .offset:         48
        .size:           8
        .value_kind:     global_buffer
      - .offset:         56
        .size:           4
        .value_kind:     by_value
      - .actual_access:  read_only
        .address_space:  global
        .offset:         64
        .size:           8
        .value_kind:     global_buffer
      - .offset:         72
        .size:           4
        .value_kind:     by_value
      - .offset:         76
        .size:           4
        .value_kind:     by_value
      - .offset:         80
        .size:           4
        .value_kind:     by_value
      - .actual_access:  write_only
        .address_space:  global
        .offset:         88
        .size:           8
        .value_kind:     global_buffer
      - .actual_access:  write_only
        .address_space:  global
        .offset:         96
        .size:           8
        .value_kind:     global_buffer
      - .actual_access:  write_only
        .address_space:  global
        .offset:         104
        .size:           8
        .value_kind:     global_buffer
      - .actual_access:  read_only
        .address_space:  global
        .offset:         112
        .size:           8
        .value_kind:     global_buffer
      - .offset:         120
        .size:           4
        .value_kind:     by_value
      - .address_space:  global
        .offset:         128
        .size:           8
        .value_kind:     global_buffer
      - .address_space:  global
        .offset:         136
        .size:           8
        .value_kind:     global_buffer
      - .offset:         144
        .size:           4
        .value_kind:     hidden_block_count_x
      - .offset:         148
        .size:           4
        .value_kind:     hidden_block_count_y
      - .offset:         152
        .size:           4
        .value_kind:     hidden_block_count_z
      - .offset:         156
        .size:           2
        .value_kind:     hidden_group_size_x
      - .offset:         158
        .size:           2
        .value_kind:     hidden_group_size_y
      - .offset:         160
        .size:           2
        .value_kind:     hidden_group_size_z
      - .offset:         162
        .size:           2
        .value_kind:     hidden_remainder_x
      - .offset:         164
        .size:           2
        .value_kind:     hidden_remainder_y
      - .offset:         166
        .size:           2
        .value_kind:     hidden_remainder_z
      - .offset:         184
        .size:           8
        .value_kind:     hidden_global_offset_x
      - .offset:         192
        .size:           8
        .value_kind:     hidden_global_offset_y
      - .offset:         200
        .size:           8
        .value_kind:     hidden_global_offset_z
      - .offset:         208
        .size:           2
        .value_kind:     hidden_grid_dims
    .group_segment_fixed_size: 5280
    .kernarg_segment_align: 8
    .kernarg_segment_size: 400
    .language:       OpenCL C
    .language_version:
      - 2
      - 0
    .max_flat_workgroup_size: 256
    .name:           _Z38paged_attention_ll4mi_QKV_mfma4_kernelIDF16_DF16_LN4vllm18Fp8KVCacheDataTypeE0EDF16_Li16ELi128ELi256ELb1ELi3EEvPKT_PKT0_S7_ifPKiS9_S9_iPKfiiiPfSC_PS2_PT2_iSB_SB_
    .private_segment_fixed_size: 0
    .sgpr_count:     42
    .sgpr_spill_count: 0
    .symbol:         _Z38paged_attention_ll4mi_QKV_mfma4_kernelIDF16_DF16_LN4vllm18Fp8KVCacheDataTypeE0EDF16_Li16ELi128ELi256ELb1ELi3EEvPKT_PKT0_S7_ifPKiS9_S9_iPKfiiiPfSC_PS2_PT2_iSB_SB_.kd
    .uniform_work_group_size: 1
    .uses_dynamic_stack: false
    .vgpr_count:     108
    .vgpr_spill_count: 0
    .wavefront_size: 64
  - .agpr_count:     8
    .args:
      - .actual_access:  read_only
        .address_space:  global
        .offset:         0
        .size:           8
        .value_kind:     global_buffer
      - .actual_access:  read_only
        .address_space:  global
        .offset:         8
        .size:           8
        .value_kind:     global_buffer
      - .actual_access:  read_only
        .address_space:  global
        .offset:         16
        .size:           8
        .value_kind:     global_buffer
      - .offset:         24
        .size:           4
        .value_kind:     by_value
      - .offset:         28
        .size:           4
        .value_kind:     by_value
      - .actual_access:  read_only
        .address_space:  global
        .offset:         32
        .size:           8
        .value_kind:     global_buffer
      - .actual_access:  read_only
        .address_space:  global
        .offset:         40
        .size:           8
        .value_kind:     global_buffer
      - .actual_access:  read_only
        .address_space:  global
        .offset:         48
        .size:           8
        .value_kind:     global_buffer
      - .offset:         56
        .size:           4
        .value_kind:     by_value
      - .actual_access:  read_only
        .address_space:  global
        .offset:         64
        .size:           8
        .value_kind:     global_buffer
      - .offset:         72
        .size:           4
        .value_kind:     by_value
      - .offset:         76
        .size:           4
        .value_kind:     by_value
      - .offset:         80
        .size:           4
        .value_kind:     by_value
      - .actual_access:  write_only
        .address_space:  global
        .offset:         88
        .size:           8
        .value_kind:     global_buffer
      - .actual_access:  write_only
        .address_space:  global
        .offset:         96
        .size:           8
        .value_kind:     global_buffer
      - .actual_access:  write_only
        .address_space:  global
        .offset:         104
        .size:           8
        .value_kind:     global_buffer
      - .actual_access:  read_only
        .address_space:  global
        .offset:         112
        .size:           8
        .value_kind:     global_buffer
      - .offset:         120
        .size:           4
        .value_kind:     by_value
      - .address_space:  global
        .offset:         128
        .size:           8
        .value_kind:     global_buffer
      - .address_space:  global
        .offset:         136
        .size:           8
        .value_kind:     global_buffer
      - .offset:         144
        .size:           4
        .value_kind:     hidden_block_count_x
      - .offset:         148
        .size:           4
        .value_kind:     hidden_block_count_y
      - .offset:         152
        .size:           4
        .value_kind:     hidden_block_count_z
      - .offset:         156
        .size:           2
        .value_kind:     hidden_group_size_x
      - .offset:         158
        .size:           2
        .value_kind:     hidden_group_size_y
      - .offset:         160
        .size:           2
        .value_kind:     hidden_group_size_z
      - .offset:         162
        .size:           2
        .value_kind:     hidden_remainder_x
      - .offset:         164
        .size:           2
        .value_kind:     hidden_remainder_y
      - .offset:         166
        .size:           2
        .value_kind:     hidden_remainder_z
      - .offset:         184
        .size:           8
        .value_kind:     hidden_global_offset_x
      - .offset:         192
        .size:           8
        .value_kind:     hidden_global_offset_y
      - .offset:         200
        .size:           8
        .value_kind:     hidden_global_offset_z
      - .offset:         208
        .size:           2
        .value_kind:     hidden_grid_dims
    .group_segment_fixed_size: 5280
    .kernarg_segment_align: 8
    .kernarg_segment_size: 400
    .language:       OpenCL C
    .language_version:
      - 2
      - 0
    .max_flat_workgroup_size: 256
    .name:           _Z38paged_attention_ll4mi_QKV_mfma4_kernelIDF16_DF16_LN4vllm18Fp8KVCacheDataTypeE0EDF16_Li16ELi128ELi256ELb1ELi4EEvPKT_PKT0_S7_ifPKiS9_S9_iPKfiiiPfSC_PS2_PT2_iSB_SB_
    .private_segment_fixed_size: 0
    .sgpr_count:     44
    .sgpr_spill_count: 0
    .symbol:         _Z38paged_attention_ll4mi_QKV_mfma4_kernelIDF16_DF16_LN4vllm18Fp8KVCacheDataTypeE0EDF16_Li16ELi128ELi256ELb1ELi4EEvPKT_PKT0_S7_ifPKiS9_S9_iPKfiiiPfSC_PS2_PT2_iSB_SB_.kd
    .uniform_work_group_size: 1
    .uses_dynamic_stack: false
    .vgpr_count:     112
    .vgpr_spill_count: 0
    .wavefront_size: 64
  - .agpr_count:     0
    .args:
      - .actual_access:  read_only
        .address_space:  global
        .offset:         0
        .size:           8
        .value_kind:     global_buffer
      - .actual_access:  read_only
        .address_space:  global
        .offset:         8
        .size:           8
        .value_kind:     global_buffer
      - .actual_access:  read_only
        .address_space:  global
        .offset:         16
        .size:           8
        .value_kind:     global_buffer
      - .offset:         24
        .size:           4
        .value_kind:     by_value
      - .offset:         28
        .size:           4
        .value_kind:     by_value
      - .actual_access:  read_only
        .address_space:  global
        .offset:         32
        .size:           8
        .value_kind:     global_buffer
      - .actual_access:  read_only
        .address_space:  global
        .offset:         40
        .size:           8
        .value_kind:     global_buffer
      - .actual_access:  read_only
        .address_space:  global
        .offset:         48
        .size:           8
        .value_kind:     global_buffer
      - .offset:         56
        .size:           4
        .value_kind:     by_value
      - .actual_access:  read_only
        .address_space:  global
        .offset:         64
        .size:           8
        .value_kind:     global_buffer
      - .offset:         72
        .size:           4
        .value_kind:     by_value
      - .offset:         76
        .size:           4
        .value_kind:     by_value
      - .offset:         80
        .size:           4
        .value_kind:     by_value
      - .actual_access:  write_only
        .address_space:  global
        .offset:         88
        .size:           8
        .value_kind:     global_buffer
      - .actual_access:  write_only
        .address_space:  global
        .offset:         96
        .size:           8
        .value_kind:     global_buffer
      - .actual_access:  write_only
        .address_space:  global
        .offset:         104
        .size:           8
        .value_kind:     global_buffer
      - .actual_access:  read_only
        .address_space:  global
        .offset:         112
        .size:           8
        .value_kind:     global_buffer
      - .offset:         120
        .size:           4
        .value_kind:     by_value
      - .address_space:  global
        .offset:         128
        .size:           8
        .value_kind:     global_buffer
      - .address_space:  global
        .offset:         136
        .size:           8
        .value_kind:     global_buffer
      - .offset:         144
        .size:           4
        .value_kind:     hidden_block_count_x
      - .offset:         148
        .size:           4
        .value_kind:     hidden_block_count_y
      - .offset:         152
        .size:           4
        .value_kind:     hidden_block_count_z
      - .offset:         156
        .size:           2
        .value_kind:     hidden_group_size_x
      - .offset:         158
        .size:           2
        .value_kind:     hidden_group_size_y
      - .offset:         160
        .size:           2
        .value_kind:     hidden_group_size_z
      - .offset:         162
        .size:           2
        .value_kind:     hidden_remainder_x
      - .offset:         164
        .size:           2
        .value_kind:     hidden_remainder_y
      - .offset:         166
        .size:           2
        .value_kind:     hidden_remainder_z
      - .offset:         184
        .size:           8
        .value_kind:     hidden_global_offset_x
      - .offset:         192
        .size:           8
        .value_kind:     hidden_global_offset_y
      - .offset:         200
        .size:           8
        .value_kind:     hidden_global_offset_z
      - .offset:         208
        .size:           2
        .value_kind:     hidden_grid_dims
    .group_segment_fixed_size: 8192
    .kernarg_segment_align: 8
    .kernarg_segment_size: 400
    .language:       OpenCL C
    .language_version:
      - 2
      - 0
    .max_flat_workgroup_size: 256
    .name:           _Z39paged_attention_ll4mi_QKV_mfma16_kernelIDF16_DF16_LN4vllm18Fp8KVCacheDataTypeE0EDF16_Li16ELi128ELi256ELb1ELi5EL8MFMAType0EEvPKT_PKT0_S8_ifPKiSA_SA_iPKfiiiPfSD_PS3_PT2_iSC_SC_
    .private_segment_fixed_size: 8
    .sgpr_count:     52
    .sgpr_spill_count: 0
    .symbol:         _Z39paged_attention_ll4mi_QKV_mfma16_kernelIDF16_DF16_LN4vllm18Fp8KVCacheDataTypeE0EDF16_Li16ELi128ELi256ELb1ELi5EL8MFMAType0EEvPKT_PKT0_S8_ifPKiSA_SA_iPKfiiiPfSD_PS3_PT2_iSC_SC_.kd
    .uniform_work_group_size: 1
    .uses_dynamic_stack: false
    .vgpr_count:     96
    .vgpr_spill_count: 1
    .wavefront_size: 64
  - .agpr_count:     0
    .args:
      - .actual_access:  read_only
        .address_space:  global
        .offset:         0
        .size:           8
        .value_kind:     global_buffer
      - .actual_access:  read_only
        .address_space:  global
        .offset:         8
        .size:           8
        .value_kind:     global_buffer
      - .actual_access:  read_only
        .address_space:  global
        .offset:         16
        .size:           8
        .value_kind:     global_buffer
      - .offset:         24
        .size:           4
        .value_kind:     by_value
      - .offset:         28
        .size:           4
        .value_kind:     by_value
      - .actual_access:  read_only
        .address_space:  global
        .offset:         32
        .size:           8
        .value_kind:     global_buffer
      - .actual_access:  read_only
        .address_space:  global
        .offset:         40
        .size:           8
        .value_kind:     global_buffer
      - .actual_access:  read_only
        .address_space:  global
        .offset:         48
        .size:           8
        .value_kind:     global_buffer
      - .offset:         56
        .size:           4
        .value_kind:     by_value
      - .actual_access:  read_only
        .address_space:  global
        .offset:         64
        .size:           8
        .value_kind:     global_buffer
      - .offset:         72
        .size:           4
        .value_kind:     by_value
      - .offset:         76
        .size:           4
        .value_kind:     by_value
      - .offset:         80
        .size:           4
        .value_kind:     by_value
      - .actual_access:  write_only
        .address_space:  global
        .offset:         88
        .size:           8
        .value_kind:     global_buffer
      - .actual_access:  write_only
        .address_space:  global
        .offset:         96
        .size:           8
        .value_kind:     global_buffer
      - .actual_access:  write_only
        .address_space:  global
        .offset:         104
        .size:           8
        .value_kind:     global_buffer
      - .actual_access:  read_only
        .address_space:  global
        .offset:         112
        .size:           8
        .value_kind:     global_buffer
      - .offset:         120
        .size:           4
        .value_kind:     by_value
      - .address_space:  global
        .offset:         128
        .size:           8
        .value_kind:     global_buffer
      - .address_space:  global
        .offset:         136
        .size:           8
        .value_kind:     global_buffer
      - .offset:         144
        .size:           4
        .value_kind:     hidden_block_count_x
      - .offset:         148
        .size:           4
        .value_kind:     hidden_block_count_y
      - .offset:         152
        .size:           4
        .value_kind:     hidden_block_count_z
      - .offset:         156
        .size:           2
        .value_kind:     hidden_group_size_x
      - .offset:         158
        .size:           2
        .value_kind:     hidden_group_size_y
      - .offset:         160
        .size:           2
        .value_kind:     hidden_group_size_z
      - .offset:         162
        .size:           2
        .value_kind:     hidden_remainder_x
      - .offset:         164
        .size:           2
        .value_kind:     hidden_remainder_y
      - .offset:         166
        .size:           2
        .value_kind:     hidden_remainder_z
      - .offset:         184
        .size:           8
        .value_kind:     hidden_global_offset_x
      - .offset:         192
        .size:           8
        .value_kind:     hidden_global_offset_y
      - .offset:         200
        .size:           8
        .value_kind:     hidden_global_offset_z
      - .offset:         208
        .size:           2
        .value_kind:     hidden_grid_dims
    .group_segment_fixed_size: 8192
    .kernarg_segment_align: 8
    .kernarg_segment_size: 400
    .language:       OpenCL C
    .language_version:
      - 2
      - 0
    .max_flat_workgroup_size: 256
    .name:           _Z39paged_attention_ll4mi_QKV_mfma16_kernelIDF16_DF16_LN4vllm18Fp8KVCacheDataTypeE0EDF16_Li16ELi128ELi256ELb1ELi6EL8MFMAType0EEvPKT_PKT0_S8_ifPKiSA_SA_iPKfiiiPfSD_PS3_PT2_iSC_SC_
    .private_segment_fixed_size: 8
    .sgpr_count:     52
    .sgpr_spill_count: 0
    .symbol:         _Z39paged_attention_ll4mi_QKV_mfma16_kernelIDF16_DF16_LN4vllm18Fp8KVCacheDataTypeE0EDF16_Li16ELi128ELi256ELb1ELi6EL8MFMAType0EEvPKT_PKT0_S8_ifPKiSA_SA_iPKfiiiPfSD_PS3_PT2_iSC_SC_.kd
    .uniform_work_group_size: 1
    .uses_dynamic_stack: false
    .vgpr_count:     96
    .vgpr_spill_count: 1
    .wavefront_size: 64
  - .agpr_count:     0
    .args:
      - .actual_access:  read_only
        .address_space:  global
        .offset:         0
        .size:           8
        .value_kind:     global_buffer
      - .actual_access:  read_only
        .address_space:  global
        .offset:         8
        .size:           8
        .value_kind:     global_buffer
      - .actual_access:  read_only
        .address_space:  global
        .offset:         16
        .size:           8
        .value_kind:     global_buffer
      - .offset:         24
        .size:           4
        .value_kind:     by_value
      - .offset:         28
        .size:           4
        .value_kind:     by_value
      - .actual_access:  read_only
        .address_space:  global
        .offset:         32
        .size:           8
        .value_kind:     global_buffer
      - .actual_access:  read_only
        .address_space:  global
        .offset:         40
        .size:           8
        .value_kind:     global_buffer
      - .actual_access:  read_only
        .address_space:  global
        .offset:         48
        .size:           8
        .value_kind:     global_buffer
      - .offset:         56
        .size:           4
        .value_kind:     by_value
      - .actual_access:  read_only
        .address_space:  global
        .offset:         64
        .size:           8
        .value_kind:     global_buffer
      - .offset:         72
        .size:           4
        .value_kind:     by_value
      - .offset:         76
        .size:           4
        .value_kind:     by_value
      - .offset:         80
        .size:           4
        .value_kind:     by_value
      - .actual_access:  write_only
        .address_space:  global
        .offset:         88
        .size:           8
        .value_kind:     global_buffer
      - .actual_access:  write_only
        .address_space:  global
        .offset:         96
        .size:           8
        .value_kind:     global_buffer
      - .actual_access:  write_only
        .address_space:  global
        .offset:         104
        .size:           8
        .value_kind:     global_buffer
      - .actual_access:  read_only
        .address_space:  global
        .offset:         112
        .size:           8
        .value_kind:     global_buffer
      - .offset:         120
        .size:           4
        .value_kind:     by_value
      - .address_space:  global
        .offset:         128
        .size:           8
        .value_kind:     global_buffer
      - .address_space:  global
        .offset:         136
        .size:           8
        .value_kind:     global_buffer
      - .offset:         144
        .size:           4
        .value_kind:     hidden_block_count_x
      - .offset:         148
        .size:           4
        .value_kind:     hidden_block_count_y
      - .offset:         152
        .size:           4
        .value_kind:     hidden_block_count_z
      - .offset:         156
        .size:           2
        .value_kind:     hidden_group_size_x
      - .offset:         158
        .size:           2
        .value_kind:     hidden_group_size_y
      - .offset:         160
        .size:           2
        .value_kind:     hidden_group_size_z
      - .offset:         162
        .size:           2
        .value_kind:     hidden_remainder_x
      - .offset:         164
        .size:           2
        .value_kind:     hidden_remainder_y
      - .offset:         166
        .size:           2
        .value_kind:     hidden_remainder_z
      - .offset:         184
        .size:           8
        .value_kind:     hidden_global_offset_x
      - .offset:         192
        .size:           8
        .value_kind:     hidden_global_offset_y
      - .offset:         200
        .size:           8
        .value_kind:     hidden_global_offset_z
      - .offset:         208
        .size:           2
        .value_kind:     hidden_grid_dims
    .group_segment_fixed_size: 8192
    .kernarg_segment_align: 8
    .kernarg_segment_size: 400
    .language:       OpenCL C
    .language_version:
      - 2
      - 0
    .max_flat_workgroup_size: 256
    .name:           _Z39paged_attention_ll4mi_QKV_mfma16_kernelIDF16_DF16_LN4vllm18Fp8KVCacheDataTypeE0EDF16_Li16ELi128ELi256ELb1ELi7EL8MFMAType0EEvPKT_PKT0_S8_ifPKiSA_SA_iPKfiiiPfSD_PS3_PT2_iSC_SC_
    .private_segment_fixed_size: 8
    .sgpr_count:     52
    .sgpr_spill_count: 0
    .symbol:         _Z39paged_attention_ll4mi_QKV_mfma16_kernelIDF16_DF16_LN4vllm18Fp8KVCacheDataTypeE0EDF16_Li16ELi128ELi256ELb1ELi7EL8MFMAType0EEvPKT_PKT0_S8_ifPKiSA_SA_iPKfiiiPfSD_PS3_PT2_iSC_SC_.kd
    .uniform_work_group_size: 1
    .uses_dynamic_stack: false
    .vgpr_count:     96
    .vgpr_spill_count: 1
    .wavefront_size: 64
  - .agpr_count:     0
    .args:
      - .actual_access:  read_only
        .address_space:  global
        .offset:         0
        .size:           8
        .value_kind:     global_buffer
      - .actual_access:  read_only
        .address_space:  global
        .offset:         8
        .size:           8
        .value_kind:     global_buffer
      - .actual_access:  read_only
        .address_space:  global
        .offset:         16
        .size:           8
        .value_kind:     global_buffer
      - .offset:         24
        .size:           4
        .value_kind:     by_value
      - .offset:         28
        .size:           4
        .value_kind:     by_value
      - .actual_access:  read_only
        .address_space:  global
        .offset:         32
        .size:           8
        .value_kind:     global_buffer
      - .actual_access:  read_only
        .address_space:  global
        .offset:         40
        .size:           8
        .value_kind:     global_buffer
      - .actual_access:  read_only
        .address_space:  global
        .offset:         48
        .size:           8
        .value_kind:     global_buffer
      - .offset:         56
        .size:           4
        .value_kind:     by_value
      - .actual_access:  read_only
        .address_space:  global
        .offset:         64
        .size:           8
        .value_kind:     global_buffer
      - .offset:         72
        .size:           4
        .value_kind:     by_value
      - .offset:         76
        .size:           4
        .value_kind:     by_value
      - .offset:         80
        .size:           4
        .value_kind:     by_value
      - .actual_access:  write_only
        .address_space:  global
        .offset:         88
        .size:           8
        .value_kind:     global_buffer
      - .actual_access:  write_only
        .address_space:  global
        .offset:         96
        .size:           8
        .value_kind:     global_buffer
      - .actual_access:  write_only
        .address_space:  global
        .offset:         104
        .size:           8
        .value_kind:     global_buffer
      - .actual_access:  read_only
        .address_space:  global
        .offset:         112
        .size:           8
        .value_kind:     global_buffer
      - .offset:         120
        .size:           4
        .value_kind:     by_value
      - .address_space:  global
        .offset:         128
        .size:           8
        .value_kind:     global_buffer
      - .address_space:  global
        .offset:         136
        .size:           8
        .value_kind:     global_buffer
      - .offset:         144
        .size:           4
        .value_kind:     hidden_block_count_x
      - .offset:         148
        .size:           4
        .value_kind:     hidden_block_count_y
      - .offset:         152
        .size:           4
        .value_kind:     hidden_block_count_z
      - .offset:         156
        .size:           2
        .value_kind:     hidden_group_size_x
      - .offset:         158
        .size:           2
        .value_kind:     hidden_group_size_y
      - .offset:         160
        .size:           2
        .value_kind:     hidden_group_size_z
      - .offset:         162
        .size:           2
        .value_kind:     hidden_remainder_x
      - .offset:         164
        .size:           2
        .value_kind:     hidden_remainder_y
      - .offset:         166
        .size:           2
        .value_kind:     hidden_remainder_z
      - .offset:         184
        .size:           8
        .value_kind:     hidden_global_offset_x
      - .offset:         192
        .size:           8
        .value_kind:     hidden_global_offset_y
      - .offset:         200
        .size:           8
        .value_kind:     hidden_global_offset_z
      - .offset:         208
        .size:           2
        .value_kind:     hidden_grid_dims
    .group_segment_fixed_size: 8192
    .kernarg_segment_align: 8
    .kernarg_segment_size: 400
    .language:       OpenCL C
    .language_version:
      - 2
      - 0
    .max_flat_workgroup_size: 256
    .name:           _Z39paged_attention_ll4mi_QKV_mfma16_kernelIDF16_DF16_LN4vllm18Fp8KVCacheDataTypeE0EDF16_Li16ELi128ELi256ELb1ELi8EL8MFMAType0EEvPKT_PKT0_S8_ifPKiSA_SA_iPKfiiiPfSD_PS3_PT2_iSC_SC_
    .private_segment_fixed_size: 8
    .sgpr_count:     52
    .sgpr_spill_count: 0
    .symbol:         _Z39paged_attention_ll4mi_QKV_mfma16_kernelIDF16_DF16_LN4vllm18Fp8KVCacheDataTypeE0EDF16_Li16ELi128ELi256ELb1ELi8EL8MFMAType0EEvPKT_PKT0_S8_ifPKiSA_SA_iPKfiiiPfSD_PS3_PT2_iSC_SC_.kd
    .uniform_work_group_size: 1
    .uses_dynamic_stack: false
    .vgpr_count:     96
    .vgpr_spill_count: 1
    .wavefront_size: 64
  - .agpr_count:     0
    .args:
      - .actual_access:  read_only
        .address_space:  global
        .offset:         0
        .size:           8
        .value_kind:     global_buffer
      - .actual_access:  read_only
        .address_space:  global
        .offset:         8
        .size:           8
        .value_kind:     global_buffer
      - .actual_access:  read_only
        .address_space:  global
        .offset:         16
        .size:           8
        .value_kind:     global_buffer
      - .offset:         24
        .size:           4
        .value_kind:     by_value
      - .offset:         28
        .size:           4
        .value_kind:     by_value
      - .actual_access:  read_only
        .address_space:  global
        .offset:         32
        .size:           8
        .value_kind:     global_buffer
      - .actual_access:  read_only
        .address_space:  global
        .offset:         40
        .size:           8
        .value_kind:     global_buffer
      - .actual_access:  read_only
        .address_space:  global
        .offset:         48
        .size:           8
        .value_kind:     global_buffer
      - .offset:         56
        .size:           4
        .value_kind:     by_value
      - .actual_access:  read_only
        .address_space:  global
        .offset:         64
        .size:           8
        .value_kind:     global_buffer
      - .offset:         72
        .size:           4
        .value_kind:     by_value
      - .offset:         76
        .size:           4
        .value_kind:     by_value
      - .offset:         80
        .size:           4
        .value_kind:     by_value
      - .actual_access:  write_only
        .address_space:  global
        .offset:         88
        .size:           8
        .value_kind:     global_buffer
      - .actual_access:  write_only
        .address_space:  global
        .offset:         96
        .size:           8
        .value_kind:     global_buffer
      - .actual_access:  write_only
        .address_space:  global
        .offset:         104
        .size:           8
        .value_kind:     global_buffer
      - .actual_access:  read_only
        .address_space:  global
        .offset:         112
        .size:           8
        .value_kind:     global_buffer
      - .offset:         120
        .size:           4
        .value_kind:     by_value
      - .address_space:  global
        .offset:         128
        .size:           8
        .value_kind:     global_buffer
      - .address_space:  global
        .offset:         136
        .size:           8
        .value_kind:     global_buffer
      - .offset:         144
        .size:           4
        .value_kind:     hidden_block_count_x
      - .offset:         148
        .size:           4
        .value_kind:     hidden_block_count_y
      - .offset:         152
        .size:           4
        .value_kind:     hidden_block_count_z
      - .offset:         156
        .size:           2
        .value_kind:     hidden_group_size_x
      - .offset:         158
        .size:           2
        .value_kind:     hidden_group_size_y
      - .offset:         160
        .size:           2
        .value_kind:     hidden_group_size_z
      - .offset:         162
        .size:           2
        .value_kind:     hidden_remainder_x
      - .offset:         164
        .size:           2
        .value_kind:     hidden_remainder_y
      - .offset:         166
        .size:           2
        .value_kind:     hidden_remainder_z
      - .offset:         184
        .size:           8
        .value_kind:     hidden_global_offset_x
      - .offset:         192
        .size:           8
        .value_kind:     hidden_global_offset_y
      - .offset:         200
        .size:           8
        .value_kind:     hidden_global_offset_z
      - .offset:         208
        .size:           2
        .value_kind:     hidden_grid_dims
    .group_segment_fixed_size: 8192
    .kernarg_segment_align: 8
    .kernarg_segment_size: 400
    .language:       OpenCL C
    .language_version:
      - 2
      - 0
    .max_flat_workgroup_size: 256
    .name:           _Z39paged_attention_ll4mi_QKV_mfma16_kernelIDF16_DF16_LN4vllm18Fp8KVCacheDataTypeE0EDF16_Li16ELi128ELi256ELb1ELi9EL8MFMAType0EEvPKT_PKT0_S8_ifPKiSA_SA_iPKfiiiPfSD_PS3_PT2_iSC_SC_
    .private_segment_fixed_size: 8
    .sgpr_count:     52
    .sgpr_spill_count: 0
    .symbol:         _Z39paged_attention_ll4mi_QKV_mfma16_kernelIDF16_DF16_LN4vllm18Fp8KVCacheDataTypeE0EDF16_Li16ELi128ELi256ELb1ELi9EL8MFMAType0EEvPKT_PKT0_S8_ifPKiSA_SA_iPKfiiiPfSD_PS3_PT2_iSC_SC_.kd
    .uniform_work_group_size: 1
    .uses_dynamic_stack: false
    .vgpr_count:     96
    .vgpr_spill_count: 1
    .wavefront_size: 64
  - .agpr_count:     0
    .args:
      - .actual_access:  read_only
        .address_space:  global
        .offset:         0
        .size:           8
        .value_kind:     global_buffer
      - .actual_access:  read_only
        .address_space:  global
        .offset:         8
        .size:           8
        .value_kind:     global_buffer
      - .actual_access:  read_only
        .address_space:  global
        .offset:         16
        .size:           8
        .value_kind:     global_buffer
      - .offset:         24
        .size:           4
        .value_kind:     by_value
      - .offset:         28
        .size:           4
        .value_kind:     by_value
      - .actual_access:  read_only
        .address_space:  global
        .offset:         32
        .size:           8
        .value_kind:     global_buffer
      - .actual_access:  read_only
        .address_space:  global
        .offset:         40
        .size:           8
        .value_kind:     global_buffer
      - .actual_access:  read_only
        .address_space:  global
        .offset:         48
        .size:           8
        .value_kind:     global_buffer
      - .offset:         56
        .size:           4
        .value_kind:     by_value
      - .actual_access:  read_only
        .address_space:  global
        .offset:         64
        .size:           8
        .value_kind:     global_buffer
      - .offset:         72
        .size:           4
        .value_kind:     by_value
      - .offset:         76
        .size:           4
        .value_kind:     by_value
      - .offset:         80
        .size:           4
        .value_kind:     by_value
      - .actual_access:  write_only
        .address_space:  global
        .offset:         88
        .size:           8
        .value_kind:     global_buffer
      - .actual_access:  write_only
        .address_space:  global
        .offset:         96
        .size:           8
        .value_kind:     global_buffer
      - .actual_access:  write_only
        .address_space:  global
        .offset:         104
        .size:           8
        .value_kind:     global_buffer
      - .actual_access:  read_only
        .address_space:  global
        .offset:         112
        .size:           8
        .value_kind:     global_buffer
      - .offset:         120
        .size:           4
        .value_kind:     by_value
      - .address_space:  global
        .offset:         128
        .size:           8
        .value_kind:     global_buffer
      - .address_space:  global
        .offset:         136
        .size:           8
        .value_kind:     global_buffer
      - .offset:         144
        .size:           4
        .value_kind:     hidden_block_count_x
      - .offset:         148
        .size:           4
        .value_kind:     hidden_block_count_y
      - .offset:         152
        .size:           4
        .value_kind:     hidden_block_count_z
      - .offset:         156
        .size:           2
        .value_kind:     hidden_group_size_x
      - .offset:         158
        .size:           2
        .value_kind:     hidden_group_size_y
      - .offset:         160
        .size:           2
        .value_kind:     hidden_group_size_z
      - .offset:         162
        .size:           2
        .value_kind:     hidden_remainder_x
      - .offset:         164
        .size:           2
        .value_kind:     hidden_remainder_y
      - .offset:         166
        .size:           2
        .value_kind:     hidden_remainder_z
      - .offset:         184
        .size:           8
        .value_kind:     hidden_global_offset_x
      - .offset:         192
        .size:           8
        .value_kind:     hidden_global_offset_y
      - .offset:         200
        .size:           8
        .value_kind:     hidden_global_offset_z
      - .offset:         208
        .size:           2
        .value_kind:     hidden_grid_dims
    .group_segment_fixed_size: 8192
    .kernarg_segment_align: 8
    .kernarg_segment_size: 400
    .language:       OpenCL C
    .language_version:
      - 2
      - 0
    .max_flat_workgroup_size: 256
    .name:           _Z39paged_attention_ll4mi_QKV_mfma16_kernelIDF16_DF16_LN4vllm18Fp8KVCacheDataTypeE0EDF16_Li16ELi128ELi256ELb1ELi10EL8MFMAType0EEvPKT_PKT0_S8_ifPKiSA_SA_iPKfiiiPfSD_PS3_PT2_iSC_SC_
    .private_segment_fixed_size: 8
    .sgpr_count:     52
    .sgpr_spill_count: 0
    .symbol:         _Z39paged_attention_ll4mi_QKV_mfma16_kernelIDF16_DF16_LN4vllm18Fp8KVCacheDataTypeE0EDF16_Li16ELi128ELi256ELb1ELi10EL8MFMAType0EEvPKT_PKT0_S8_ifPKiSA_SA_iPKfiiiPfSD_PS3_PT2_iSC_SC_.kd
    .uniform_work_group_size: 1
    .uses_dynamic_stack: false
    .vgpr_count:     96
    .vgpr_spill_count: 1
    .wavefront_size: 64
  - .agpr_count:     0
    .args:
      - .actual_access:  read_only
        .address_space:  global
        .offset:         0
        .size:           8
        .value_kind:     global_buffer
      - .actual_access:  read_only
        .address_space:  global
        .offset:         8
        .size:           8
        .value_kind:     global_buffer
      - .actual_access:  read_only
        .address_space:  global
        .offset:         16
        .size:           8
        .value_kind:     global_buffer
      - .offset:         24
        .size:           4
        .value_kind:     by_value
      - .offset:         28
        .size:           4
        .value_kind:     by_value
      - .actual_access:  read_only
        .address_space:  global
        .offset:         32
        .size:           8
        .value_kind:     global_buffer
      - .actual_access:  read_only
        .address_space:  global
        .offset:         40
        .size:           8
        .value_kind:     global_buffer
      - .actual_access:  read_only
        .address_space:  global
        .offset:         48
        .size:           8
        .value_kind:     global_buffer
      - .offset:         56
        .size:           4
        .value_kind:     by_value
      - .actual_access:  read_only
        .address_space:  global
        .offset:         64
        .size:           8
        .value_kind:     global_buffer
      - .offset:         72
        .size:           4
        .value_kind:     by_value
      - .offset:         76
        .size:           4
        .value_kind:     by_value
      - .offset:         80
        .size:           4
        .value_kind:     by_value
      - .actual_access:  write_only
        .address_space:  global
        .offset:         88
        .size:           8
        .value_kind:     global_buffer
      - .actual_access:  write_only
        .address_space:  global
        .offset:         96
        .size:           8
        .value_kind:     global_buffer
      - .actual_access:  write_only
        .address_space:  global
        .offset:         104
        .size:           8
        .value_kind:     global_buffer
      - .actual_access:  read_only
        .address_space:  global
        .offset:         112
        .size:           8
        .value_kind:     global_buffer
      - .offset:         120
        .size:           4
        .value_kind:     by_value
      - .address_space:  global
        .offset:         128
        .size:           8
        .value_kind:     global_buffer
      - .address_space:  global
        .offset:         136
        .size:           8
        .value_kind:     global_buffer
      - .offset:         144
        .size:           4
        .value_kind:     hidden_block_count_x
      - .offset:         148
        .size:           4
        .value_kind:     hidden_block_count_y
      - .offset:         152
        .size:           4
        .value_kind:     hidden_block_count_z
      - .offset:         156
        .size:           2
        .value_kind:     hidden_group_size_x
      - .offset:         158
        .size:           2
        .value_kind:     hidden_group_size_y
      - .offset:         160
        .size:           2
        .value_kind:     hidden_group_size_z
      - .offset:         162
        .size:           2
        .value_kind:     hidden_remainder_x
      - .offset:         164
        .size:           2
        .value_kind:     hidden_remainder_y
      - .offset:         166
        .size:           2
        .value_kind:     hidden_remainder_z
      - .offset:         184
        .size:           8
        .value_kind:     hidden_global_offset_x
      - .offset:         192
        .size:           8
        .value_kind:     hidden_global_offset_y
      - .offset:         200
        .size:           8
        .value_kind:     hidden_global_offset_z
      - .offset:         208
        .size:           2
        .value_kind:     hidden_grid_dims
    .group_segment_fixed_size: 8192
    .kernarg_segment_align: 8
    .kernarg_segment_size: 400
    .language:       OpenCL C
    .language_version:
      - 2
      - 0
    .max_flat_workgroup_size: 256
    .name:           _Z39paged_attention_ll4mi_QKV_mfma16_kernelIDF16_DF16_LN4vllm18Fp8KVCacheDataTypeE0EDF16_Li16ELi128ELi256ELb1ELi11EL8MFMAType0EEvPKT_PKT0_S8_ifPKiSA_SA_iPKfiiiPfSD_PS3_PT2_iSC_SC_
    .private_segment_fixed_size: 8
    .sgpr_count:     52
    .sgpr_spill_count: 0
    .symbol:         _Z39paged_attention_ll4mi_QKV_mfma16_kernelIDF16_DF16_LN4vllm18Fp8KVCacheDataTypeE0EDF16_Li16ELi128ELi256ELb1ELi11EL8MFMAType0EEvPKT_PKT0_S8_ifPKiSA_SA_iPKfiiiPfSD_PS3_PT2_iSC_SC_.kd
    .uniform_work_group_size: 1
    .uses_dynamic_stack: false
    .vgpr_count:     96
    .vgpr_spill_count: 1
    .wavefront_size: 64
  - .agpr_count:     0
    .args:
      - .actual_access:  read_only
        .address_space:  global
        .offset:         0
        .size:           8
        .value_kind:     global_buffer
      - .actual_access:  read_only
        .address_space:  global
        .offset:         8
        .size:           8
        .value_kind:     global_buffer
      - .actual_access:  read_only
        .address_space:  global
        .offset:         16
        .size:           8
        .value_kind:     global_buffer
      - .offset:         24
        .size:           4
        .value_kind:     by_value
      - .offset:         28
        .size:           4
        .value_kind:     by_value
      - .actual_access:  read_only
        .address_space:  global
        .offset:         32
        .size:           8
        .value_kind:     global_buffer
      - .actual_access:  read_only
        .address_space:  global
        .offset:         40
        .size:           8
        .value_kind:     global_buffer
      - .actual_access:  read_only
        .address_space:  global
        .offset:         48
        .size:           8
        .value_kind:     global_buffer
      - .offset:         56
        .size:           4
        .value_kind:     by_value
      - .actual_access:  read_only
        .address_space:  global
        .offset:         64
        .size:           8
        .value_kind:     global_buffer
      - .offset:         72
        .size:           4
        .value_kind:     by_value
      - .offset:         76
        .size:           4
        .value_kind:     by_value
      - .offset:         80
        .size:           4
        .value_kind:     by_value
      - .actual_access:  write_only
        .address_space:  global
        .offset:         88
        .size:           8
        .value_kind:     global_buffer
      - .actual_access:  write_only
        .address_space:  global
        .offset:         96
        .size:           8
        .value_kind:     global_buffer
      - .actual_access:  write_only
        .address_space:  global
        .offset:         104
        .size:           8
        .value_kind:     global_buffer
      - .actual_access:  read_only
        .address_space:  global
        .offset:         112
        .size:           8
        .value_kind:     global_buffer
      - .offset:         120
        .size:           4
        .value_kind:     by_value
      - .address_space:  global
        .offset:         128
        .size:           8
        .value_kind:     global_buffer
      - .address_space:  global
        .offset:         136
        .size:           8
        .value_kind:     global_buffer
      - .offset:         144
        .size:           4
        .value_kind:     hidden_block_count_x
      - .offset:         148
        .size:           4
        .value_kind:     hidden_block_count_y
      - .offset:         152
        .size:           4
        .value_kind:     hidden_block_count_z
      - .offset:         156
        .size:           2
        .value_kind:     hidden_group_size_x
      - .offset:         158
        .size:           2
        .value_kind:     hidden_group_size_y
      - .offset:         160
        .size:           2
        .value_kind:     hidden_group_size_z
      - .offset:         162
        .size:           2
        .value_kind:     hidden_remainder_x
      - .offset:         164
        .size:           2
        .value_kind:     hidden_remainder_y
      - .offset:         166
        .size:           2
        .value_kind:     hidden_remainder_z
      - .offset:         184
        .size:           8
        .value_kind:     hidden_global_offset_x
      - .offset:         192
        .size:           8
        .value_kind:     hidden_global_offset_y
      - .offset:         200
        .size:           8
        .value_kind:     hidden_global_offset_z
      - .offset:         208
        .size:           2
        .value_kind:     hidden_grid_dims
    .group_segment_fixed_size: 8192
    .kernarg_segment_align: 8
    .kernarg_segment_size: 400
    .language:       OpenCL C
    .language_version:
      - 2
      - 0
    .max_flat_workgroup_size: 256
    .name:           _Z39paged_attention_ll4mi_QKV_mfma16_kernelIDF16_DF16_LN4vllm18Fp8KVCacheDataTypeE0EDF16_Li16ELi128ELi256ELb1ELi12EL8MFMAType0EEvPKT_PKT0_S8_ifPKiSA_SA_iPKfiiiPfSD_PS3_PT2_iSC_SC_
    .private_segment_fixed_size: 8
    .sgpr_count:     52
    .sgpr_spill_count: 0
    .symbol:         _Z39paged_attention_ll4mi_QKV_mfma16_kernelIDF16_DF16_LN4vllm18Fp8KVCacheDataTypeE0EDF16_Li16ELi128ELi256ELb1ELi12EL8MFMAType0EEvPKT_PKT0_S8_ifPKiSA_SA_iPKfiiiPfSD_PS3_PT2_iSC_SC_.kd
    .uniform_work_group_size: 1
    .uses_dynamic_stack: false
    .vgpr_count:     96
    .vgpr_spill_count: 1
    .wavefront_size: 64
  - .agpr_count:     0
    .args:
      - .actual_access:  read_only
        .address_space:  global
        .offset:         0
        .size:           8
        .value_kind:     global_buffer
      - .actual_access:  read_only
        .address_space:  global
        .offset:         8
        .size:           8
        .value_kind:     global_buffer
      - .actual_access:  read_only
        .address_space:  global
        .offset:         16
        .size:           8
        .value_kind:     global_buffer
      - .offset:         24
        .size:           4
        .value_kind:     by_value
      - .offset:         28
        .size:           4
        .value_kind:     by_value
      - .actual_access:  read_only
        .address_space:  global
        .offset:         32
        .size:           8
        .value_kind:     global_buffer
      - .actual_access:  read_only
        .address_space:  global
        .offset:         40
        .size:           8
        .value_kind:     global_buffer
      - .actual_access:  read_only
        .address_space:  global
        .offset:         48
        .size:           8
        .value_kind:     global_buffer
      - .offset:         56
        .size:           4
        .value_kind:     by_value
      - .actual_access:  read_only
        .address_space:  global
        .offset:         64
        .size:           8
        .value_kind:     global_buffer
      - .offset:         72
        .size:           4
        .value_kind:     by_value
      - .offset:         76
        .size:           4
        .value_kind:     by_value
      - .offset:         80
        .size:           4
        .value_kind:     by_value
      - .actual_access:  write_only
        .address_space:  global
        .offset:         88
        .size:           8
        .value_kind:     global_buffer
      - .actual_access:  write_only
        .address_space:  global
        .offset:         96
        .size:           8
        .value_kind:     global_buffer
      - .actual_access:  write_only
        .address_space:  global
        .offset:         104
        .size:           8
        .value_kind:     global_buffer
      - .actual_access:  read_only
        .address_space:  global
        .offset:         112
        .size:           8
        .value_kind:     global_buffer
      - .offset:         120
        .size:           4
        .value_kind:     by_value
      - .address_space:  global
        .offset:         128
        .size:           8
        .value_kind:     global_buffer
      - .address_space:  global
        .offset:         136
        .size:           8
        .value_kind:     global_buffer
      - .offset:         144
        .size:           4
        .value_kind:     hidden_block_count_x
      - .offset:         148
        .size:           4
        .value_kind:     hidden_block_count_y
      - .offset:         152
        .size:           4
        .value_kind:     hidden_block_count_z
      - .offset:         156
        .size:           2
        .value_kind:     hidden_group_size_x
      - .offset:         158
        .size:           2
        .value_kind:     hidden_group_size_y
      - .offset:         160
        .size:           2
        .value_kind:     hidden_group_size_z
      - .offset:         162
        .size:           2
        .value_kind:     hidden_remainder_x
      - .offset:         164
        .size:           2
        .value_kind:     hidden_remainder_y
      - .offset:         166
        .size:           2
        .value_kind:     hidden_remainder_z
      - .offset:         184
        .size:           8
        .value_kind:     hidden_global_offset_x
      - .offset:         192
        .size:           8
        .value_kind:     hidden_global_offset_y
      - .offset:         200
        .size:           8
        .value_kind:     hidden_global_offset_z
      - .offset:         208
        .size:           2
        .value_kind:     hidden_grid_dims
    .group_segment_fixed_size: 8192
    .kernarg_segment_align: 8
    .kernarg_segment_size: 400
    .language:       OpenCL C
    .language_version:
      - 2
      - 0
    .max_flat_workgroup_size: 256
    .name:           _Z39paged_attention_ll4mi_QKV_mfma16_kernelIDF16_DF16_LN4vllm18Fp8KVCacheDataTypeE0EDF16_Li16ELi128ELi256ELb1ELi13EL8MFMAType0EEvPKT_PKT0_S8_ifPKiSA_SA_iPKfiiiPfSD_PS3_PT2_iSC_SC_
    .private_segment_fixed_size: 8
    .sgpr_count:     52
    .sgpr_spill_count: 0
    .symbol:         _Z39paged_attention_ll4mi_QKV_mfma16_kernelIDF16_DF16_LN4vllm18Fp8KVCacheDataTypeE0EDF16_Li16ELi128ELi256ELb1ELi13EL8MFMAType0EEvPKT_PKT0_S8_ifPKiSA_SA_iPKfiiiPfSD_PS3_PT2_iSC_SC_.kd
    .uniform_work_group_size: 1
    .uses_dynamic_stack: false
    .vgpr_count:     96
    .vgpr_spill_count: 1
    .wavefront_size: 64
  - .agpr_count:     0
    .args:
      - .actual_access:  read_only
        .address_space:  global
        .offset:         0
        .size:           8
        .value_kind:     global_buffer
      - .actual_access:  read_only
        .address_space:  global
        .offset:         8
        .size:           8
        .value_kind:     global_buffer
      - .actual_access:  read_only
        .address_space:  global
        .offset:         16
        .size:           8
        .value_kind:     global_buffer
      - .offset:         24
        .size:           4
        .value_kind:     by_value
      - .offset:         28
        .size:           4
        .value_kind:     by_value
      - .actual_access:  read_only
        .address_space:  global
        .offset:         32
        .size:           8
        .value_kind:     global_buffer
      - .actual_access:  read_only
        .address_space:  global
        .offset:         40
        .size:           8
        .value_kind:     global_buffer
      - .actual_access:  read_only
        .address_space:  global
        .offset:         48
        .size:           8
        .value_kind:     global_buffer
      - .offset:         56
        .size:           4
        .value_kind:     by_value
      - .actual_access:  read_only
        .address_space:  global
        .offset:         64
        .size:           8
        .value_kind:     global_buffer
      - .offset:         72
        .size:           4
        .value_kind:     by_value
      - .offset:         76
        .size:           4
        .value_kind:     by_value
      - .offset:         80
        .size:           4
        .value_kind:     by_value
      - .actual_access:  write_only
        .address_space:  global
        .offset:         88
        .size:           8
        .value_kind:     global_buffer
      - .actual_access:  write_only
        .address_space:  global
        .offset:         96
        .size:           8
        .value_kind:     global_buffer
      - .actual_access:  write_only
        .address_space:  global
        .offset:         104
        .size:           8
        .value_kind:     global_buffer
      - .actual_access:  read_only
        .address_space:  global
        .offset:         112
        .size:           8
        .value_kind:     global_buffer
      - .offset:         120
        .size:           4
        .value_kind:     by_value
      - .address_space:  global
        .offset:         128
        .size:           8
        .value_kind:     global_buffer
      - .address_space:  global
        .offset:         136
        .size:           8
        .value_kind:     global_buffer
      - .offset:         144
        .size:           4
        .value_kind:     hidden_block_count_x
      - .offset:         148
        .size:           4
        .value_kind:     hidden_block_count_y
      - .offset:         152
        .size:           4
        .value_kind:     hidden_block_count_z
      - .offset:         156
        .size:           2
        .value_kind:     hidden_group_size_x
      - .offset:         158
        .size:           2
        .value_kind:     hidden_group_size_y
      - .offset:         160
        .size:           2
        .value_kind:     hidden_group_size_z
      - .offset:         162
        .size:           2
        .value_kind:     hidden_remainder_x
      - .offset:         164
        .size:           2
        .value_kind:     hidden_remainder_y
      - .offset:         166
        .size:           2
        .value_kind:     hidden_remainder_z
      - .offset:         184
        .size:           8
        .value_kind:     hidden_global_offset_x
      - .offset:         192
        .size:           8
        .value_kind:     hidden_global_offset_y
      - .offset:         200
        .size:           8
        .value_kind:     hidden_global_offset_z
      - .offset:         208
        .size:           2
        .value_kind:     hidden_grid_dims
    .group_segment_fixed_size: 8192
    .kernarg_segment_align: 8
    .kernarg_segment_size: 400
    .language:       OpenCL C
    .language_version:
      - 2
      - 0
    .max_flat_workgroup_size: 256
    .name:           _Z39paged_attention_ll4mi_QKV_mfma16_kernelIDF16_DF16_LN4vllm18Fp8KVCacheDataTypeE0EDF16_Li16ELi128ELi256ELb1ELi14EL8MFMAType0EEvPKT_PKT0_S8_ifPKiSA_SA_iPKfiiiPfSD_PS3_PT2_iSC_SC_
    .private_segment_fixed_size: 8
    .sgpr_count:     52
    .sgpr_spill_count: 0
    .symbol:         _Z39paged_attention_ll4mi_QKV_mfma16_kernelIDF16_DF16_LN4vllm18Fp8KVCacheDataTypeE0EDF16_Li16ELi128ELi256ELb1ELi14EL8MFMAType0EEvPKT_PKT0_S8_ifPKiSA_SA_iPKfiiiPfSD_PS3_PT2_iSC_SC_.kd
    .uniform_work_group_size: 1
    .uses_dynamic_stack: false
    .vgpr_count:     96
    .vgpr_spill_count: 1
    .wavefront_size: 64
  - .agpr_count:     0
    .args:
      - .actual_access:  read_only
        .address_space:  global
        .offset:         0
        .size:           8
        .value_kind:     global_buffer
      - .actual_access:  read_only
        .address_space:  global
        .offset:         8
        .size:           8
        .value_kind:     global_buffer
      - .actual_access:  read_only
        .address_space:  global
        .offset:         16
        .size:           8
        .value_kind:     global_buffer
      - .offset:         24
        .size:           4
        .value_kind:     by_value
      - .offset:         28
        .size:           4
        .value_kind:     by_value
      - .actual_access:  read_only
        .address_space:  global
        .offset:         32
        .size:           8
        .value_kind:     global_buffer
      - .actual_access:  read_only
        .address_space:  global
        .offset:         40
        .size:           8
        .value_kind:     global_buffer
      - .actual_access:  read_only
        .address_space:  global
        .offset:         48
        .size:           8
        .value_kind:     global_buffer
      - .offset:         56
        .size:           4
        .value_kind:     by_value
      - .actual_access:  read_only
        .address_space:  global
        .offset:         64
        .size:           8
        .value_kind:     global_buffer
      - .offset:         72
        .size:           4
        .value_kind:     by_value
      - .offset:         76
        .size:           4
        .value_kind:     by_value
      - .offset:         80
        .size:           4
        .value_kind:     by_value
      - .actual_access:  write_only
        .address_space:  global
        .offset:         88
        .size:           8
        .value_kind:     global_buffer
      - .actual_access:  write_only
        .address_space:  global
        .offset:         96
        .size:           8
        .value_kind:     global_buffer
      - .actual_access:  write_only
        .address_space:  global
        .offset:         104
        .size:           8
        .value_kind:     global_buffer
      - .actual_access:  read_only
        .address_space:  global
        .offset:         112
        .size:           8
        .value_kind:     global_buffer
      - .offset:         120
        .size:           4
        .value_kind:     by_value
      - .address_space:  global
        .offset:         128
        .size:           8
        .value_kind:     global_buffer
      - .address_space:  global
        .offset:         136
        .size:           8
        .value_kind:     global_buffer
      - .offset:         144
        .size:           4
        .value_kind:     hidden_block_count_x
      - .offset:         148
        .size:           4
        .value_kind:     hidden_block_count_y
      - .offset:         152
        .size:           4
        .value_kind:     hidden_block_count_z
      - .offset:         156
        .size:           2
        .value_kind:     hidden_group_size_x
      - .offset:         158
        .size:           2
        .value_kind:     hidden_group_size_y
      - .offset:         160
        .size:           2
        .value_kind:     hidden_group_size_z
      - .offset:         162
        .size:           2
        .value_kind:     hidden_remainder_x
      - .offset:         164
        .size:           2
        .value_kind:     hidden_remainder_y
      - .offset:         166
        .size:           2
        .value_kind:     hidden_remainder_z
      - .offset:         184
        .size:           8
        .value_kind:     hidden_global_offset_x
      - .offset:         192
        .size:           8
        .value_kind:     hidden_global_offset_y
      - .offset:         200
        .size:           8
        .value_kind:     hidden_global_offset_z
      - .offset:         208
        .size:           2
        .value_kind:     hidden_grid_dims
    .group_segment_fixed_size: 8192
    .kernarg_segment_align: 8
    .kernarg_segment_size: 400
    .language:       OpenCL C
    .language_version:
      - 2
      - 0
    .max_flat_workgroup_size: 256
    .name:           _Z39paged_attention_ll4mi_QKV_mfma16_kernelIDF16_DF16_LN4vllm18Fp8KVCacheDataTypeE0EDF16_Li16ELi128ELi256ELb1ELi15EL8MFMAType0EEvPKT_PKT0_S8_ifPKiSA_SA_iPKfiiiPfSD_PS3_PT2_iSC_SC_
    .private_segment_fixed_size: 8
    .sgpr_count:     52
    .sgpr_spill_count: 0
    .symbol:         _Z39paged_attention_ll4mi_QKV_mfma16_kernelIDF16_DF16_LN4vllm18Fp8KVCacheDataTypeE0EDF16_Li16ELi128ELi256ELb1ELi15EL8MFMAType0EEvPKT_PKT0_S8_ifPKiSA_SA_iPKfiiiPfSD_PS3_PT2_iSC_SC_.kd
    .uniform_work_group_size: 1
    .uses_dynamic_stack: false
    .vgpr_count:     96
    .vgpr_spill_count: 1
    .wavefront_size: 64
  - .agpr_count:     0
    .args:
      - .actual_access:  read_only
        .address_space:  global
        .offset:         0
        .size:           8
        .value_kind:     global_buffer
      - .actual_access:  read_only
        .address_space:  global
        .offset:         8
        .size:           8
        .value_kind:     global_buffer
      - .actual_access:  read_only
        .address_space:  global
        .offset:         16
        .size:           8
        .value_kind:     global_buffer
      - .offset:         24
        .size:           4
        .value_kind:     by_value
      - .offset:         28
        .size:           4
        .value_kind:     by_value
      - .actual_access:  read_only
        .address_space:  global
        .offset:         32
        .size:           8
        .value_kind:     global_buffer
      - .actual_access:  read_only
        .address_space:  global
        .offset:         40
        .size:           8
        .value_kind:     global_buffer
      - .actual_access:  read_only
        .address_space:  global
        .offset:         48
        .size:           8
        .value_kind:     global_buffer
      - .offset:         56
        .size:           4
        .value_kind:     by_value
      - .actual_access:  read_only
        .address_space:  global
        .offset:         64
        .size:           8
        .value_kind:     global_buffer
      - .offset:         72
        .size:           4
        .value_kind:     by_value
      - .offset:         76
        .size:           4
        .value_kind:     by_value
      - .offset:         80
        .size:           4
        .value_kind:     by_value
      - .actual_access:  write_only
        .address_space:  global
        .offset:         88
        .size:           8
        .value_kind:     global_buffer
      - .actual_access:  write_only
        .address_space:  global
        .offset:         96
        .size:           8
        .value_kind:     global_buffer
      - .actual_access:  write_only
        .address_space:  global
        .offset:         104
        .size:           8
        .value_kind:     global_buffer
      - .actual_access:  read_only
        .address_space:  global
        .offset:         112
        .size:           8
        .value_kind:     global_buffer
      - .offset:         120
        .size:           4
        .value_kind:     by_value
      - .address_space:  global
        .offset:         128
        .size:           8
        .value_kind:     global_buffer
      - .address_space:  global
        .offset:         136
        .size:           8
        .value_kind:     global_buffer
      - .offset:         144
        .size:           4
        .value_kind:     hidden_block_count_x
      - .offset:         148
        .size:           4
        .value_kind:     hidden_block_count_y
      - .offset:         152
        .size:           4
        .value_kind:     hidden_block_count_z
      - .offset:         156
        .size:           2
        .value_kind:     hidden_group_size_x
      - .offset:         158
        .size:           2
        .value_kind:     hidden_group_size_y
      - .offset:         160
        .size:           2
        .value_kind:     hidden_group_size_z
      - .offset:         162
        .size:           2
        .value_kind:     hidden_remainder_x
      - .offset:         164
        .size:           2
        .value_kind:     hidden_remainder_y
      - .offset:         166
        .size:           2
        .value_kind:     hidden_remainder_z
      - .offset:         184
        .size:           8
        .value_kind:     hidden_global_offset_x
      - .offset:         192
        .size:           8
        .value_kind:     hidden_global_offset_y
      - .offset:         200
        .size:           8
        .value_kind:     hidden_global_offset_z
      - .offset:         208
        .size:           2
        .value_kind:     hidden_grid_dims
    .group_segment_fixed_size: 8192
    .kernarg_segment_align: 8
    .kernarg_segment_size: 400
    .language:       OpenCL C
    .language_version:
      - 2
      - 0
    .max_flat_workgroup_size: 256
    .name:           _Z39paged_attention_ll4mi_QKV_mfma16_kernelIDF16_DF16_LN4vllm18Fp8KVCacheDataTypeE0EDF16_Li16ELi128ELi256ELb1ELi16EL8MFMAType0EEvPKT_PKT0_S8_ifPKiSA_SA_iPKfiiiPfSD_PS3_PT2_iSC_SC_
    .private_segment_fixed_size: 12
    .sgpr_count:     52
    .sgpr_spill_count: 0
    .symbol:         _Z39paged_attention_ll4mi_QKV_mfma16_kernelIDF16_DF16_LN4vllm18Fp8KVCacheDataTypeE0EDF16_Li16ELi128ELi256ELb1ELi16EL8MFMAType0EEvPKT_PKT0_S8_ifPKiSA_SA_iPKfiiiPfSD_PS3_PT2_iSC_SC_.kd
    .uniform_work_group_size: 1
    .uses_dynamic_stack: false
    .vgpr_count:     96
    .vgpr_spill_count: 2
    .wavefront_size: 64
  - .agpr_count:     0
    .args:
      - .actual_access:  write_only
        .address_space:  global
        .offset:         0
        .size:           8
        .value_kind:     global_buffer
      - .actual_access:  read_only
        .address_space:  global
        .offset:         8
        .size:           8
        .value_kind:     global_buffer
      - .actual_access:  read_only
        .address_space:  global
        .offset:         16
        .size:           8
        .value_kind:     global_buffer
      - .actual_access:  read_only
        .address_space:  global
        .offset:         24
        .size:           8
        .value_kind:     global_buffer
      - .actual_access:  read_only
        .address_space:  global
        .offset:         32
        .size:           8
        .value_kind:     global_buffer
      - .actual_access:  read_only
        .address_space:  global
        .offset:         40
        .size:           8
        .value_kind:     global_buffer
      - .offset:         48
        .size:           4
        .value_kind:     by_value
      - .actual_access:  read_only
        .address_space:  global
        .offset:         56
        .size:           8
        .value_kind:     global_buffer
      - .offset:         64
        .size:           4
        .value_kind:     hidden_block_count_x
      - .offset:         68
        .size:           4
        .value_kind:     hidden_block_count_y
      - .offset:         72
        .size:           4
        .value_kind:     hidden_block_count_z
      - .offset:         76
        .size:           2
        .value_kind:     hidden_group_size_x
      - .offset:         78
        .size:           2
        .value_kind:     hidden_group_size_y
      - .offset:         80
        .size:           2
        .value_kind:     hidden_group_size_z
      - .offset:         82
        .size:           2
        .value_kind:     hidden_remainder_x
      - .offset:         84
        .size:           2
        .value_kind:     hidden_remainder_y
      - .offset:         86
        .size:           2
        .value_kind:     hidden_remainder_z
      - .offset:         104
        .size:           8
        .value_kind:     hidden_global_offset_x
      - .offset:         112
        .size:           8
        .value_kind:     hidden_global_offset_y
      - .offset:         120
        .size:           8
        .value_kind:     hidden_global_offset_z
      - .offset:         128
        .size:           2
        .value_kind:     hidden_grid_dims
    .group_segment_fixed_size: 260
    .kernarg_segment_align: 8
    .kernarg_segment_size: 320
    .language:       OpenCL C
    .language_version:
      - 2
      - 0
    .max_flat_workgroup_size: 128
    .name:           _Z35paged_attention_ll4mi_reduce_kernelIDF16_DF16_Li128ELi128ELi256ELi1EEvPT0_PKfS3_PKT_PKiS8_iS3_
    .private_segment_fixed_size: 0
    .sgpr_count:     34
    .sgpr_spill_count: 0
    .symbol:         _Z35paged_attention_ll4mi_reduce_kernelIDF16_DF16_Li128ELi128ELi256ELi1EEvPT0_PKfS3_PKT_PKiS8_iS3_.kd
    .uniform_work_group_size: 1
    .uses_dynamic_stack: false
    .vgpr_count:     92
    .vgpr_spill_count: 0
    .wavefront_size: 64
  - .agpr_count:     0
    .args:
      - .actual_access:  write_only
        .address_space:  global
        .offset:         0
        .size:           8
        .value_kind:     global_buffer
      - .actual_access:  read_only
        .address_space:  global
        .offset:         8
        .size:           8
        .value_kind:     global_buffer
      - .actual_access:  read_only
        .address_space:  global
        .offset:         16
        .size:           8
        .value_kind:     global_buffer
      - .actual_access:  read_only
        .address_space:  global
        .offset:         24
        .size:           8
        .value_kind:     global_buffer
      - .actual_access:  read_only
        .address_space:  global
        .offset:         32
        .size:           8
        .value_kind:     global_buffer
      - .actual_access:  read_only
        .address_space:  global
        .offset:         40
        .size:           8
        .value_kind:     global_buffer
      - .offset:         48
        .size:           4
        .value_kind:     by_value
      - .actual_access:  read_only
        .address_space:  global
        .offset:         56
        .size:           8
        .value_kind:     global_buffer
      - .offset:         64
        .size:           4
        .value_kind:     hidden_block_count_x
      - .offset:         68
        .size:           4
        .value_kind:     hidden_block_count_y
      - .offset:         72
        .size:           4
        .value_kind:     hidden_block_count_z
      - .offset:         76
        .size:           2
        .value_kind:     hidden_group_size_x
      - .offset:         78
        .size:           2
        .value_kind:     hidden_group_size_y
      - .offset:         80
        .size:           2
        .value_kind:     hidden_group_size_z
      - .offset:         82
        .size:           2
        .value_kind:     hidden_remainder_x
      - .offset:         84
        .size:           2
        .value_kind:     hidden_remainder_y
      - .offset:         86
        .size:           2
        .value_kind:     hidden_remainder_z
      - .offset:         104
        .size:           8
        .value_kind:     hidden_global_offset_x
      - .offset:         112
        .size:           8
        .value_kind:     hidden_global_offset_y
      - .offset:         120
        .size:           8
        .value_kind:     hidden_global_offset_z
      - .offset:         128
        .size:           2
        .value_kind:     hidden_grid_dims
    .group_segment_fixed_size: 516
    .kernarg_segment_align: 8
    .kernarg_segment_size: 320
    .language:       OpenCL C
    .language_version:
      - 2
      - 0
    .max_flat_workgroup_size: 128
    .name:           _Z35paged_attention_ll4mi_reduce_kernelIDF16_DF16_Li128ELi128ELi256ELi2EEvPT0_PKfS3_PKT_PKiS8_iS3_
    .private_segment_fixed_size: 0
    .sgpr_count:     36
    .sgpr_spill_count: 0
    .symbol:         _Z35paged_attention_ll4mi_reduce_kernelIDF16_DF16_Li128ELi128ELi256ELi2EEvPT0_PKfS3_PKT_PKiS8_iS3_.kd
    .uniform_work_group_size: 1
    .uses_dynamic_stack: false
    .vgpr_count:     92
    .vgpr_spill_count: 0
    .wavefront_size: 64
  - .agpr_count:     0
    .args:
      - .actual_access:  write_only
        .address_space:  global
        .offset:         0
        .size:           8
        .value_kind:     global_buffer
      - .actual_access:  read_only
        .address_space:  global
        .offset:         8
        .size:           8
        .value_kind:     global_buffer
      - .actual_access:  read_only
        .address_space:  global
        .offset:         16
        .size:           8
        .value_kind:     global_buffer
      - .actual_access:  read_only
        .address_space:  global
        .offset:         24
        .size:           8
        .value_kind:     global_buffer
      - .actual_access:  read_only
        .address_space:  global
        .offset:         32
        .size:           8
        .value_kind:     global_buffer
      - .actual_access:  read_only
        .address_space:  global
        .offset:         40
        .size:           8
        .value_kind:     global_buffer
      - .offset:         48
        .size:           4
        .value_kind:     by_value
      - .actual_access:  read_only
        .address_space:  global
        .offset:         56
        .size:           8
        .value_kind:     global_buffer
      - .offset:         64
        .size:           4
        .value_kind:     hidden_block_count_x
      - .offset:         68
        .size:           4
        .value_kind:     hidden_block_count_y
      - .offset:         72
        .size:           4
        .value_kind:     hidden_block_count_z
      - .offset:         76
        .size:           2
        .value_kind:     hidden_group_size_x
      - .offset:         78
        .size:           2
        .value_kind:     hidden_group_size_y
      - .offset:         80
        .size:           2
        .value_kind:     hidden_group_size_z
      - .offset:         82
        .size:           2
        .value_kind:     hidden_remainder_x
      - .offset:         84
        .size:           2
        .value_kind:     hidden_remainder_y
      - .offset:         86
        .size:           2
        .value_kind:     hidden_remainder_z
      - .offset:         104
        .size:           8
        .value_kind:     hidden_global_offset_x
      - .offset:         112
        .size:           8
        .value_kind:     hidden_global_offset_y
      - .offset:         120
        .size:           8
        .value_kind:     hidden_global_offset_z
      - .offset:         128
        .size:           2
        .value_kind:     hidden_grid_dims
    .group_segment_fixed_size: 772
    .kernarg_segment_align: 8
    .kernarg_segment_size: 320
    .language:       OpenCL C
    .language_version:
      - 2
      - 0
    .max_flat_workgroup_size: 128
    .name:           _Z35paged_attention_ll4mi_reduce_kernelIDF16_DF16_Li128ELi128ELi256ELi3EEvPT0_PKfS3_PKT_PKiS8_iS3_
    .private_segment_fixed_size: 0
    .sgpr_count:     39
    .sgpr_spill_count: 0
    .symbol:         _Z35paged_attention_ll4mi_reduce_kernelIDF16_DF16_Li128ELi128ELi256ELi3EEvPT0_PKfS3_PKT_PKiS8_iS3_.kd
    .uniform_work_group_size: 1
    .uses_dynamic_stack: false
    .vgpr_count:     92
    .vgpr_spill_count: 0
    .wavefront_size: 64
  - .agpr_count:     0
    .args:
      - .actual_access:  write_only
        .address_space:  global
        .offset:         0
        .size:           8
        .value_kind:     global_buffer
      - .actual_access:  read_only
        .address_space:  global
        .offset:         8
        .size:           8
        .value_kind:     global_buffer
      - .actual_access:  read_only
        .address_space:  global
        .offset:         16
        .size:           8
        .value_kind:     global_buffer
      - .actual_access:  read_only
        .address_space:  global
        .offset:         24
        .size:           8
        .value_kind:     global_buffer
      - .actual_access:  read_only
        .address_space:  global
        .offset:         32
        .size:           8
        .value_kind:     global_buffer
      - .actual_access:  read_only
        .address_space:  global
        .offset:         40
        .size:           8
        .value_kind:     global_buffer
      - .offset:         48
        .size:           4
        .value_kind:     by_value
      - .actual_access:  read_only
        .address_space:  global
        .offset:         56
        .size:           8
        .value_kind:     global_buffer
      - .offset:         64
        .size:           4
        .value_kind:     hidden_block_count_x
      - .offset:         68
        .size:           4
        .value_kind:     hidden_block_count_y
      - .offset:         72
        .size:           4
        .value_kind:     hidden_block_count_z
      - .offset:         76
        .size:           2
        .value_kind:     hidden_group_size_x
      - .offset:         78
        .size:           2
        .value_kind:     hidden_group_size_y
      - .offset:         80
        .size:           2
        .value_kind:     hidden_group_size_z
      - .offset:         82
        .size:           2
        .value_kind:     hidden_remainder_x
      - .offset:         84
        .size:           2
        .value_kind:     hidden_remainder_y
      - .offset:         86
        .size:           2
        .value_kind:     hidden_remainder_z
      - .offset:         104
        .size:           8
        .value_kind:     hidden_global_offset_x
      - .offset:         112
        .size:           8
        .value_kind:     hidden_global_offset_y
      - .offset:         120
        .size:           8
        .value_kind:     hidden_global_offset_z
      - .offset:         128
        .size:           2
        .value_kind:     hidden_grid_dims
    .group_segment_fixed_size: 1028
    .kernarg_segment_align: 8
    .kernarg_segment_size: 320
    .language:       OpenCL C
    .language_version:
      - 2
      - 0
    .max_flat_workgroup_size: 128
    .name:           _Z35paged_attention_ll4mi_reduce_kernelIDF16_DF16_Li128ELi128ELi256ELi4EEvPT0_PKfS3_PKT_PKiS8_iS3_
    .private_segment_fixed_size: 0
    .sgpr_count:     41
    .sgpr_spill_count: 0
    .symbol:         _Z35paged_attention_ll4mi_reduce_kernelIDF16_DF16_Li128ELi128ELi256ELi4EEvPT0_PKfS3_PKT_PKiS8_iS3_.kd
    .uniform_work_group_size: 1
    .uses_dynamic_stack: false
    .vgpr_count:     92
    .vgpr_spill_count: 0
    .wavefront_size: 64
  - .agpr_count:     0
    .args:
      - .actual_access:  write_only
        .address_space:  global
        .offset:         0
        .size:           8
        .value_kind:     global_buffer
      - .actual_access:  read_only
        .address_space:  global
        .offset:         8
        .size:           8
        .value_kind:     global_buffer
      - .actual_access:  read_only
        .address_space:  global
        .offset:         16
        .size:           8
        .value_kind:     global_buffer
      - .actual_access:  read_only
        .address_space:  global
        .offset:         24
        .size:           8
        .value_kind:     global_buffer
      - .actual_access:  read_only
        .address_space:  global
        .offset:         32
        .size:           8
        .value_kind:     global_buffer
      - .actual_access:  read_only
        .address_space:  global
        .offset:         40
        .size:           8
        .value_kind:     global_buffer
      - .offset:         48
        .size:           4
        .value_kind:     by_value
      - .actual_access:  read_only
        .address_space:  global
        .offset:         56
        .size:           8
        .value_kind:     global_buffer
      - .offset:         64
        .size:           4
        .value_kind:     hidden_block_count_x
      - .offset:         68
        .size:           4
        .value_kind:     hidden_block_count_y
      - .offset:         72
        .size:           4
        .value_kind:     hidden_block_count_z
      - .offset:         76
        .size:           2
        .value_kind:     hidden_group_size_x
      - .offset:         78
        .size:           2
        .value_kind:     hidden_group_size_y
      - .offset:         80
        .size:           2
        .value_kind:     hidden_group_size_z
      - .offset:         82
        .size:           2
        .value_kind:     hidden_remainder_x
      - .offset:         84
        .size:           2
        .value_kind:     hidden_remainder_y
      - .offset:         86
        .size:           2
        .value_kind:     hidden_remainder_z
      - .offset:         104
        .size:           8
        .value_kind:     hidden_global_offset_x
      - .offset:         112
        .size:           8
        .value_kind:     hidden_global_offset_y
      - .offset:         120
        .size:           8
        .value_kind:     hidden_global_offset_z
      - .offset:         128
        .size:           2
        .value_kind:     hidden_grid_dims
    .group_segment_fixed_size: 1284
    .kernarg_segment_align: 8
    .kernarg_segment_size: 320
    .language:       OpenCL C
    .language_version:
      - 2
      - 0
    .max_flat_workgroup_size: 128
    .name:           _Z35paged_attention_ll4mi_reduce_kernelIDF16_DF16_Li128ELi128ELi256ELi5EEvPT0_PKfS3_PKT_PKiS8_iS3_
    .private_segment_fixed_size: 0
    .sgpr_count:     43
    .sgpr_spill_count: 0
    .symbol:         _Z35paged_attention_ll4mi_reduce_kernelIDF16_DF16_Li128ELi128ELi256ELi5EEvPT0_PKfS3_PKT_PKiS8_iS3_.kd
    .uniform_work_group_size: 1
    .uses_dynamic_stack: false
    .vgpr_count:     92
    .vgpr_spill_count: 0
    .wavefront_size: 64
  - .agpr_count:     0
    .args:
      - .actual_access:  write_only
        .address_space:  global
        .offset:         0
        .size:           8
        .value_kind:     global_buffer
      - .actual_access:  read_only
        .address_space:  global
        .offset:         8
        .size:           8
        .value_kind:     global_buffer
      - .actual_access:  read_only
        .address_space:  global
        .offset:         16
        .size:           8
        .value_kind:     global_buffer
      - .actual_access:  read_only
        .address_space:  global
        .offset:         24
        .size:           8
        .value_kind:     global_buffer
      - .actual_access:  read_only
        .address_space:  global
        .offset:         32
        .size:           8
        .value_kind:     global_buffer
      - .actual_access:  read_only
        .address_space:  global
        .offset:         40
        .size:           8
        .value_kind:     global_buffer
      - .offset:         48
        .size:           4
        .value_kind:     by_value
      - .actual_access:  read_only
        .address_space:  global
        .offset:         56
        .size:           8
        .value_kind:     global_buffer
      - .offset:         64
        .size:           4
        .value_kind:     hidden_block_count_x
      - .offset:         68
        .size:           4
        .value_kind:     hidden_block_count_y
      - .offset:         72
        .size:           4
        .value_kind:     hidden_block_count_z
      - .offset:         76
        .size:           2
        .value_kind:     hidden_group_size_x
      - .offset:         78
        .size:           2
        .value_kind:     hidden_group_size_y
      - .offset:         80
        .size:           2
        .value_kind:     hidden_group_size_z
      - .offset:         82
        .size:           2
        .value_kind:     hidden_remainder_x
      - .offset:         84
        .size:           2
        .value_kind:     hidden_remainder_y
      - .offset:         86
        .size:           2
        .value_kind:     hidden_remainder_z
      - .offset:         104
        .size:           8
        .value_kind:     hidden_global_offset_x
      - .offset:         112
        .size:           8
        .value_kind:     hidden_global_offset_y
      - .offset:         120
        .size:           8
        .value_kind:     hidden_global_offset_z
      - .offset:         128
        .size:           2
        .value_kind:     hidden_grid_dims
    .group_segment_fixed_size: 1540
    .kernarg_segment_align: 8
    .kernarg_segment_size: 320
    .language:       OpenCL C
    .language_version:
      - 2
      - 0
    .max_flat_workgroup_size: 128
    .name:           _Z35paged_attention_ll4mi_reduce_kernelIDF16_DF16_Li128ELi128ELi256ELi6EEvPT0_PKfS3_PKT_PKiS8_iS3_
    .private_segment_fixed_size: 0
    .sgpr_count:     45
    .sgpr_spill_count: 0
    .symbol:         _Z35paged_attention_ll4mi_reduce_kernelIDF16_DF16_Li128ELi128ELi256ELi6EEvPT0_PKfS3_PKT_PKiS8_iS3_.kd
    .uniform_work_group_size: 1
    .uses_dynamic_stack: false
    .vgpr_count:     92
    .vgpr_spill_count: 0
    .wavefront_size: 64
  - .agpr_count:     0
    .args:
      - .actual_access:  write_only
        .address_space:  global
        .offset:         0
        .size:           8
        .value_kind:     global_buffer
      - .actual_access:  read_only
        .address_space:  global
        .offset:         8
        .size:           8
        .value_kind:     global_buffer
      - .actual_access:  read_only
        .address_space:  global
        .offset:         16
        .size:           8
        .value_kind:     global_buffer
      - .actual_access:  read_only
        .address_space:  global
        .offset:         24
        .size:           8
        .value_kind:     global_buffer
      - .actual_access:  read_only
        .address_space:  global
        .offset:         32
        .size:           8
        .value_kind:     global_buffer
      - .actual_access:  read_only
        .address_space:  global
        .offset:         40
        .size:           8
        .value_kind:     global_buffer
      - .offset:         48
        .size:           4
        .value_kind:     by_value
      - .actual_access:  read_only
        .address_space:  global
        .offset:         56
        .size:           8
        .value_kind:     global_buffer
      - .offset:         64
        .size:           4
        .value_kind:     hidden_block_count_x
      - .offset:         68
        .size:           4
        .value_kind:     hidden_block_count_y
      - .offset:         72
        .size:           4
        .value_kind:     hidden_block_count_z
      - .offset:         76
        .size:           2
        .value_kind:     hidden_group_size_x
      - .offset:         78
        .size:           2
        .value_kind:     hidden_group_size_y
      - .offset:         80
        .size:           2
        .value_kind:     hidden_group_size_z
      - .offset:         82
        .size:           2
        .value_kind:     hidden_remainder_x
      - .offset:         84
        .size:           2
        .value_kind:     hidden_remainder_y
      - .offset:         86
        .size:           2
        .value_kind:     hidden_remainder_z
      - .offset:         104
        .size:           8
        .value_kind:     hidden_global_offset_x
      - .offset:         112
        .size:           8
        .value_kind:     hidden_global_offset_y
      - .offset:         120
        .size:           8
        .value_kind:     hidden_global_offset_z
      - .offset:         128
        .size:           2
        .value_kind:     hidden_grid_dims
    .group_segment_fixed_size: 1796
    .kernarg_segment_align: 8
    .kernarg_segment_size: 320
    .language:       OpenCL C
    .language_version:
      - 2
      - 0
    .max_flat_workgroup_size: 128
    .name:           _Z35paged_attention_ll4mi_reduce_kernelIDF16_DF16_Li128ELi128ELi256ELi7EEvPT0_PKfS3_PKT_PKiS8_iS3_
    .private_segment_fixed_size: 0
    .sgpr_count:     47
    .sgpr_spill_count: 0
    .symbol:         _Z35paged_attention_ll4mi_reduce_kernelIDF16_DF16_Li128ELi128ELi256ELi7EEvPT0_PKfS3_PKT_PKiS8_iS3_.kd
    .uniform_work_group_size: 1
    .uses_dynamic_stack: false
    .vgpr_count:     92
    .vgpr_spill_count: 0
    .wavefront_size: 64
  - .agpr_count:     0
    .args:
      - .actual_access:  write_only
        .address_space:  global
        .offset:         0
        .size:           8
        .value_kind:     global_buffer
      - .actual_access:  read_only
        .address_space:  global
        .offset:         8
        .size:           8
        .value_kind:     global_buffer
      - .actual_access:  read_only
        .address_space:  global
        .offset:         16
        .size:           8
        .value_kind:     global_buffer
      - .actual_access:  read_only
        .address_space:  global
        .offset:         24
        .size:           8
        .value_kind:     global_buffer
      - .actual_access:  read_only
        .address_space:  global
        .offset:         32
        .size:           8
        .value_kind:     global_buffer
      - .actual_access:  read_only
        .address_space:  global
        .offset:         40
        .size:           8
        .value_kind:     global_buffer
      - .offset:         48
        .size:           4
        .value_kind:     by_value
      - .actual_access:  read_only
        .address_space:  global
        .offset:         56
        .size:           8
        .value_kind:     global_buffer
      - .offset:         64
        .size:           4
        .value_kind:     hidden_block_count_x
      - .offset:         68
        .size:           4
        .value_kind:     hidden_block_count_y
      - .offset:         72
        .size:           4
        .value_kind:     hidden_block_count_z
      - .offset:         76
        .size:           2
        .value_kind:     hidden_group_size_x
      - .offset:         78
        .size:           2
        .value_kind:     hidden_group_size_y
      - .offset:         80
        .size:           2
        .value_kind:     hidden_group_size_z
      - .offset:         82
        .size:           2
        .value_kind:     hidden_remainder_x
      - .offset:         84
        .size:           2
        .value_kind:     hidden_remainder_y
      - .offset:         86
        .size:           2
        .value_kind:     hidden_remainder_z
      - .offset:         104
        .size:           8
        .value_kind:     hidden_global_offset_x
      - .offset:         112
        .size:           8
        .value_kind:     hidden_global_offset_y
      - .offset:         120
        .size:           8
        .value_kind:     hidden_global_offset_z
      - .offset:         128
        .size:           2
        .value_kind:     hidden_grid_dims
    .group_segment_fixed_size: 2052
    .kernarg_segment_align: 8
    .kernarg_segment_size: 320
    .language:       OpenCL C
    .language_version:
      - 2
      - 0
    .max_flat_workgroup_size: 128
    .name:           _Z35paged_attention_ll4mi_reduce_kernelIDF16_DF16_Li128ELi128ELi256ELi8EEvPT0_PKfS3_PKT_PKiS8_iS3_
    .private_segment_fixed_size: 0
    .sgpr_count:     49
    .sgpr_spill_count: 0
    .symbol:         _Z35paged_attention_ll4mi_reduce_kernelIDF16_DF16_Li128ELi128ELi256ELi8EEvPT0_PKfS3_PKT_PKiS8_iS3_.kd
    .uniform_work_group_size: 1
    .uses_dynamic_stack: false
    .vgpr_count:     92
    .vgpr_spill_count: 0
    .wavefront_size: 64
  - .agpr_count:     0
    .args:
      - .actual_access:  read_only
        .address_space:  global
        .offset:         0
        .size:           8
        .value_kind:     global_buffer
      - .actual_access:  read_only
        .address_space:  global
        .offset:         8
        .size:           8
        .value_kind:     global_buffer
      - .actual_access:  read_only
        .address_space:  global
        .offset:         16
        .size:           8
        .value_kind:     global_buffer
      - .offset:         24
        .size:           4
        .value_kind:     by_value
      - .offset:         28
        .size:           4
        .value_kind:     by_value
      - .actual_access:  read_only
        .address_space:  global
        .offset:         32
        .size:           8
        .value_kind:     global_buffer
      - .actual_access:  read_only
        .address_space:  global
        .offset:         40
        .size:           8
        .value_kind:     global_buffer
      - .actual_access:  read_only
        .address_space:  global
        .offset:         48
        .size:           8
        .value_kind:     global_buffer
      - .offset:         56
        .size:           4
        .value_kind:     by_value
      - .actual_access:  read_only
        .address_space:  global
        .offset:         64
        .size:           8
        .value_kind:     global_buffer
      - .offset:         72
        .size:           4
        .value_kind:     by_value
      - .offset:         76
        .size:           4
        .value_kind:     by_value
      - .offset:         80
        .size:           4
        .value_kind:     by_value
      - .actual_access:  write_only
        .address_space:  global
        .offset:         88
        .size:           8
        .value_kind:     global_buffer
      - .actual_access:  write_only
        .address_space:  global
        .offset:         96
        .size:           8
        .value_kind:     global_buffer
      - .actual_access:  write_only
        .address_space:  global
        .offset:         104
        .size:           8
        .value_kind:     global_buffer
      - .actual_access:  read_only
        .address_space:  global
        .offset:         112
        .size:           8
        .value_kind:     global_buffer
      - .offset:         120
        .size:           4
        .value_kind:     by_value
      - .address_space:  global
        .offset:         128
        .size:           8
        .value_kind:     global_buffer
      - .address_space:  global
        .offset:         136
        .size:           8
        .value_kind:     global_buffer
      - .offset:         144
        .size:           4
        .value_kind:     hidden_block_count_x
      - .offset:         148
        .size:           4
        .value_kind:     hidden_block_count_y
      - .offset:         152
        .size:           4
        .value_kind:     hidden_block_count_z
      - .offset:         156
        .size:           2
        .value_kind:     hidden_group_size_x
      - .offset:         158
        .size:           2
        .value_kind:     hidden_group_size_y
      - .offset:         160
        .size:           2
        .value_kind:     hidden_group_size_z
      - .offset:         162
        .size:           2
        .value_kind:     hidden_remainder_x
      - .offset:         164
        .size:           2
        .value_kind:     hidden_remainder_y
      - .offset:         166
        .size:           2
        .value_kind:     hidden_remainder_z
      - .offset:         184
        .size:           8
        .value_kind:     hidden_global_offset_x
      - .offset:         192
        .size:           8
        .value_kind:     hidden_global_offset_y
      - .offset:         200
        .size:           8
        .value_kind:     hidden_global_offset_z
      - .offset:         208
        .size:           2
        .value_kind:     hidden_grid_dims
    .group_segment_fixed_size: 8192
    .kernarg_segment_align: 8
    .kernarg_segment_size: 400
    .language:       OpenCL C
    .language_version:
      - 2
      - 0
    .max_flat_workgroup_size: 256
    .name:           _Z39paged_attention_ll4mi_QKV_mfma16_kernelIDF16_DF16_LN4vllm18Fp8KVCacheDataTypeE0EDF16_Li16ELi128ELi256ELb1ELi1EL8MFMAType0EEvPKT_PKT0_S8_ifPKiSA_SA_iPKfiiiPfSD_PS3_PT2_iSC_SC_
    .private_segment_fixed_size: 8
    .sgpr_count:     52
    .sgpr_spill_count: 0
    .symbol:         _Z39paged_attention_ll4mi_QKV_mfma16_kernelIDF16_DF16_LN4vllm18Fp8KVCacheDataTypeE0EDF16_Li16ELi128ELi256ELb1ELi1EL8MFMAType0EEvPKT_PKT0_S8_ifPKiSA_SA_iPKfiiiPfSD_PS3_PT2_iSC_SC_.kd
    .uniform_work_group_size: 1
    .uses_dynamic_stack: false
    .vgpr_count:     96
    .vgpr_spill_count: 1
    .wavefront_size: 64
  - .agpr_count:     0
    .args:
      - .actual_access:  read_only
        .address_space:  global
        .offset:         0
        .size:           8
        .value_kind:     global_buffer
      - .actual_access:  read_only
        .address_space:  global
        .offset:         8
        .size:           8
        .value_kind:     global_buffer
      - .actual_access:  read_only
        .address_space:  global
        .offset:         16
        .size:           8
        .value_kind:     global_buffer
      - .offset:         24
        .size:           4
        .value_kind:     by_value
      - .offset:         28
        .size:           4
        .value_kind:     by_value
      - .actual_access:  read_only
        .address_space:  global
        .offset:         32
        .size:           8
        .value_kind:     global_buffer
      - .actual_access:  read_only
        .address_space:  global
        .offset:         40
        .size:           8
        .value_kind:     global_buffer
      - .actual_access:  read_only
        .address_space:  global
        .offset:         48
        .size:           8
        .value_kind:     global_buffer
      - .offset:         56
        .size:           4
        .value_kind:     by_value
      - .actual_access:  read_only
        .address_space:  global
        .offset:         64
        .size:           8
        .value_kind:     global_buffer
      - .offset:         72
        .size:           4
        .value_kind:     by_value
      - .offset:         76
        .size:           4
        .value_kind:     by_value
      - .offset:         80
        .size:           4
        .value_kind:     by_value
      - .actual_access:  write_only
        .address_space:  global
        .offset:         88
        .size:           8
        .value_kind:     global_buffer
      - .actual_access:  write_only
        .address_space:  global
        .offset:         96
        .size:           8
        .value_kind:     global_buffer
      - .actual_access:  write_only
        .address_space:  global
        .offset:         104
        .size:           8
        .value_kind:     global_buffer
      - .actual_access:  read_only
        .address_space:  global
        .offset:         112
        .size:           8
        .value_kind:     global_buffer
      - .offset:         120
        .size:           4
        .value_kind:     by_value
      - .address_space:  global
        .offset:         128
        .size:           8
        .value_kind:     global_buffer
      - .address_space:  global
        .offset:         136
        .size:           8
        .value_kind:     global_buffer
      - .offset:         144
        .size:           4
        .value_kind:     hidden_block_count_x
      - .offset:         148
        .size:           4
        .value_kind:     hidden_block_count_y
      - .offset:         152
        .size:           4
        .value_kind:     hidden_block_count_z
      - .offset:         156
        .size:           2
        .value_kind:     hidden_group_size_x
      - .offset:         158
        .size:           2
        .value_kind:     hidden_group_size_y
      - .offset:         160
        .size:           2
        .value_kind:     hidden_group_size_z
      - .offset:         162
        .size:           2
        .value_kind:     hidden_remainder_x
      - .offset:         164
        .size:           2
        .value_kind:     hidden_remainder_y
      - .offset:         166
        .size:           2
        .value_kind:     hidden_remainder_z
      - .offset:         184
        .size:           8
        .value_kind:     hidden_global_offset_x
      - .offset:         192
        .size:           8
        .value_kind:     hidden_global_offset_y
      - .offset:         200
        .size:           8
        .value_kind:     hidden_global_offset_z
      - .offset:         208
        .size:           2
        .value_kind:     hidden_grid_dims
    .group_segment_fixed_size: 8192
    .kernarg_segment_align: 8
    .kernarg_segment_size: 400
    .language:       OpenCL C
    .language_version:
      - 2
      - 0
    .max_flat_workgroup_size: 256
    .name:           _Z39paged_attention_ll4mi_QKV_mfma16_kernelIDF16_DF16_LN4vllm18Fp8KVCacheDataTypeE0EDF16_Li16ELi128ELi256ELb1ELi2EL8MFMAType0EEvPKT_PKT0_S8_ifPKiSA_SA_iPKfiiiPfSD_PS3_PT2_iSC_SC_
    .private_segment_fixed_size: 8
    .sgpr_count:     52
    .sgpr_spill_count: 0
    .symbol:         _Z39paged_attention_ll4mi_QKV_mfma16_kernelIDF16_DF16_LN4vllm18Fp8KVCacheDataTypeE0EDF16_Li16ELi128ELi256ELb1ELi2EL8MFMAType0EEvPKT_PKT0_S8_ifPKiSA_SA_iPKfiiiPfSD_PS3_PT2_iSC_SC_.kd
    .uniform_work_group_size: 1
    .uses_dynamic_stack: false
    .vgpr_count:     96
    .vgpr_spill_count: 1
    .wavefront_size: 64
  - .agpr_count:     0
    .args:
      - .actual_access:  read_only
        .address_space:  global
        .offset:         0
        .size:           8
        .value_kind:     global_buffer
      - .actual_access:  read_only
        .address_space:  global
        .offset:         8
        .size:           8
        .value_kind:     global_buffer
      - .actual_access:  read_only
        .address_space:  global
        .offset:         16
        .size:           8
        .value_kind:     global_buffer
      - .offset:         24
        .size:           4
        .value_kind:     by_value
      - .offset:         28
        .size:           4
        .value_kind:     by_value
      - .actual_access:  read_only
        .address_space:  global
        .offset:         32
        .size:           8
        .value_kind:     global_buffer
      - .actual_access:  read_only
        .address_space:  global
        .offset:         40
        .size:           8
        .value_kind:     global_buffer
      - .actual_access:  read_only
        .address_space:  global
        .offset:         48
        .size:           8
        .value_kind:     global_buffer
      - .offset:         56
        .size:           4
        .value_kind:     by_value
      - .actual_access:  read_only
        .address_space:  global
        .offset:         64
        .size:           8
        .value_kind:     global_buffer
      - .offset:         72
        .size:           4
        .value_kind:     by_value
      - .offset:         76
        .size:           4
        .value_kind:     by_value
      - .offset:         80
        .size:           4
        .value_kind:     by_value
      - .actual_access:  write_only
        .address_space:  global
        .offset:         88
        .size:           8
        .value_kind:     global_buffer
      - .actual_access:  write_only
        .address_space:  global
        .offset:         96
        .size:           8
        .value_kind:     global_buffer
      - .actual_access:  write_only
        .address_space:  global
        .offset:         104
        .size:           8
        .value_kind:     global_buffer
      - .actual_access:  read_only
        .address_space:  global
        .offset:         112
        .size:           8
        .value_kind:     global_buffer
      - .offset:         120
        .size:           4
        .value_kind:     by_value
      - .address_space:  global
        .offset:         128
        .size:           8
        .value_kind:     global_buffer
      - .address_space:  global
        .offset:         136
        .size:           8
        .value_kind:     global_buffer
      - .offset:         144
        .size:           4
        .value_kind:     hidden_block_count_x
      - .offset:         148
        .size:           4
        .value_kind:     hidden_block_count_y
      - .offset:         152
        .size:           4
        .value_kind:     hidden_block_count_z
      - .offset:         156
        .size:           2
        .value_kind:     hidden_group_size_x
      - .offset:         158
        .size:           2
        .value_kind:     hidden_group_size_y
      - .offset:         160
        .size:           2
        .value_kind:     hidden_group_size_z
      - .offset:         162
        .size:           2
        .value_kind:     hidden_remainder_x
      - .offset:         164
        .size:           2
        .value_kind:     hidden_remainder_y
      - .offset:         166
        .size:           2
        .value_kind:     hidden_remainder_z
      - .offset:         184
        .size:           8
        .value_kind:     hidden_global_offset_x
      - .offset:         192
        .size:           8
        .value_kind:     hidden_global_offset_y
      - .offset:         200
        .size:           8
        .value_kind:     hidden_global_offset_z
      - .offset:         208
        .size:           2
        .value_kind:     hidden_grid_dims
    .group_segment_fixed_size: 8192
    .kernarg_segment_align: 8
    .kernarg_segment_size: 400
    .language:       OpenCL C
    .language_version:
      - 2
      - 0
    .max_flat_workgroup_size: 256
    .name:           _Z39paged_attention_ll4mi_QKV_mfma16_kernelIDF16_DF16_LN4vllm18Fp8KVCacheDataTypeE0EDF16_Li16ELi128ELi256ELb1ELi3EL8MFMAType0EEvPKT_PKT0_S8_ifPKiSA_SA_iPKfiiiPfSD_PS3_PT2_iSC_SC_
    .private_segment_fixed_size: 12
    .sgpr_count:     52
    .sgpr_spill_count: 0
    .symbol:         _Z39paged_attention_ll4mi_QKV_mfma16_kernelIDF16_DF16_LN4vllm18Fp8KVCacheDataTypeE0EDF16_Li16ELi128ELi256ELb1ELi3EL8MFMAType0EEvPKT_PKT0_S8_ifPKiSA_SA_iPKfiiiPfSD_PS3_PT2_iSC_SC_.kd
    .uniform_work_group_size: 1
    .uses_dynamic_stack: false
    .vgpr_count:     96
    .vgpr_spill_count: 2
    .wavefront_size: 64
  - .agpr_count:     0
    .args:
      - .actual_access:  read_only
        .address_space:  global
        .offset:         0
        .size:           8
        .value_kind:     global_buffer
      - .actual_access:  read_only
        .address_space:  global
        .offset:         8
        .size:           8
        .value_kind:     global_buffer
      - .actual_access:  read_only
        .address_space:  global
        .offset:         16
        .size:           8
        .value_kind:     global_buffer
      - .offset:         24
        .size:           4
        .value_kind:     by_value
      - .offset:         28
        .size:           4
        .value_kind:     by_value
      - .actual_access:  read_only
        .address_space:  global
        .offset:         32
        .size:           8
        .value_kind:     global_buffer
      - .actual_access:  read_only
        .address_space:  global
        .offset:         40
        .size:           8
        .value_kind:     global_buffer
      - .actual_access:  read_only
        .address_space:  global
        .offset:         48
        .size:           8
        .value_kind:     global_buffer
      - .offset:         56
        .size:           4
        .value_kind:     by_value
      - .actual_access:  read_only
        .address_space:  global
        .offset:         64
        .size:           8
        .value_kind:     global_buffer
      - .offset:         72
        .size:           4
        .value_kind:     by_value
      - .offset:         76
        .size:           4
        .value_kind:     by_value
      - .offset:         80
        .size:           4
        .value_kind:     by_value
      - .actual_access:  write_only
        .address_space:  global
        .offset:         88
        .size:           8
        .value_kind:     global_buffer
      - .actual_access:  write_only
        .address_space:  global
        .offset:         96
        .size:           8
        .value_kind:     global_buffer
      - .actual_access:  write_only
        .address_space:  global
        .offset:         104
        .size:           8
        .value_kind:     global_buffer
      - .actual_access:  read_only
        .address_space:  global
        .offset:         112
        .size:           8
        .value_kind:     global_buffer
      - .offset:         120
        .size:           4
        .value_kind:     by_value
      - .address_space:  global
        .offset:         128
        .size:           8
        .value_kind:     global_buffer
      - .address_space:  global
        .offset:         136
        .size:           8
        .value_kind:     global_buffer
      - .offset:         144
        .size:           4
        .value_kind:     hidden_block_count_x
      - .offset:         148
        .size:           4
        .value_kind:     hidden_block_count_y
      - .offset:         152
        .size:           4
        .value_kind:     hidden_block_count_z
      - .offset:         156
        .size:           2
        .value_kind:     hidden_group_size_x
      - .offset:         158
        .size:           2
        .value_kind:     hidden_group_size_y
      - .offset:         160
        .size:           2
        .value_kind:     hidden_group_size_z
      - .offset:         162
        .size:           2
        .value_kind:     hidden_remainder_x
      - .offset:         164
        .size:           2
        .value_kind:     hidden_remainder_y
      - .offset:         166
        .size:           2
        .value_kind:     hidden_remainder_z
      - .offset:         184
        .size:           8
        .value_kind:     hidden_global_offset_x
      - .offset:         192
        .size:           8
        .value_kind:     hidden_global_offset_y
      - .offset:         200
        .size:           8
        .value_kind:     hidden_global_offset_z
      - .offset:         208
        .size:           2
        .value_kind:     hidden_grid_dims
    .group_segment_fixed_size: 8192
    .kernarg_segment_align: 8
    .kernarg_segment_size: 400
    .language:       OpenCL C
    .language_version:
      - 2
      - 0
    .max_flat_workgroup_size: 256
    .name:           _Z39paged_attention_ll4mi_QKV_mfma16_kernelIDF16_DF16_LN4vllm18Fp8KVCacheDataTypeE0EDF16_Li16ELi128ELi256ELb1ELi4EL8MFMAType0EEvPKT_PKT0_S8_ifPKiSA_SA_iPKfiiiPfSD_PS3_PT2_iSC_SC_
    .private_segment_fixed_size: 16
    .sgpr_count:     52
    .sgpr_spill_count: 0
    .symbol:         _Z39paged_attention_ll4mi_QKV_mfma16_kernelIDF16_DF16_LN4vllm18Fp8KVCacheDataTypeE0EDF16_Li16ELi128ELi256ELb1ELi4EL8MFMAType0EEvPKT_PKT0_S8_ifPKiSA_SA_iPKfiiiPfSD_PS3_PT2_iSC_SC_.kd
    .uniform_work_group_size: 1
    .uses_dynamic_stack: false
    .vgpr_count:     96
    .vgpr_spill_count: 3
    .wavefront_size: 64
  - .agpr_count:     0
    .args:
      - .actual_access:  write_only
        .address_space:  global
        .offset:         0
        .size:           8
        .value_kind:     global_buffer
      - .actual_access:  read_only
        .address_space:  global
        .offset:         8
        .size:           8
        .value_kind:     global_buffer
      - .actual_access:  read_only
        .address_space:  global
        .offset:         16
        .size:           8
        .value_kind:     global_buffer
      - .actual_access:  read_only
        .address_space:  global
        .offset:         24
        .size:           8
        .value_kind:     global_buffer
      - .actual_access:  read_only
        .address_space:  global
        .offset:         32
        .size:           8
        .value_kind:     global_buffer
      - .actual_access:  read_only
        .address_space:  global
        .offset:         40
        .size:           8
        .value_kind:     global_buffer
      - .offset:         48
        .size:           4
        .value_kind:     by_value
      - .actual_access:  read_only
        .address_space:  global
        .offset:         56
        .size:           8
        .value_kind:     global_buffer
      - .offset:         64
        .size:           4
        .value_kind:     hidden_block_count_x
      - .offset:         68
        .size:           4
        .value_kind:     hidden_block_count_y
      - .offset:         72
        .size:           4
        .value_kind:     hidden_block_count_z
      - .offset:         76
        .size:           2
        .value_kind:     hidden_group_size_x
      - .offset:         78
        .size:           2
        .value_kind:     hidden_group_size_y
      - .offset:         80
        .size:           2
        .value_kind:     hidden_group_size_z
      - .offset:         82
        .size:           2
        .value_kind:     hidden_remainder_x
      - .offset:         84
        .size:           2
        .value_kind:     hidden_remainder_y
      - .offset:         86
        .size:           2
        .value_kind:     hidden_remainder_z
      - .offset:         104
        .size:           8
        .value_kind:     hidden_global_offset_x
      - .offset:         112
        .size:           8
        .value_kind:     hidden_global_offset_y
      - .offset:         120
        .size:           8
        .value_kind:     hidden_global_offset_z
      - .offset:         128
        .size:           2
        .value_kind:     hidden_grid_dims
    .group_segment_fixed_size: 2308
    .kernarg_segment_align: 8
    .kernarg_segment_size: 320
    .language:       OpenCL C
    .language_version:
      - 2
      - 0
    .max_flat_workgroup_size: 128
    .name:           _Z35paged_attention_ll4mi_reduce_kernelIDF16_DF16_Li128ELi128ELi256ELi9EEvPT0_PKfS3_PKT_PKiS8_iS3_
    .private_segment_fixed_size: 0
    .sgpr_count:     51
    .sgpr_spill_count: 0
    .symbol:         _Z35paged_attention_ll4mi_reduce_kernelIDF16_DF16_Li128ELi128ELi256ELi9EEvPT0_PKfS3_PKT_PKiS8_iS3_.kd
    .uniform_work_group_size: 1
    .uses_dynamic_stack: false
    .vgpr_count:     92
    .vgpr_spill_count: 0
    .wavefront_size: 64
  - .agpr_count:     0
    .args:
      - .actual_access:  write_only
        .address_space:  global
        .offset:         0
        .size:           8
        .value_kind:     global_buffer
      - .actual_access:  read_only
        .address_space:  global
        .offset:         8
        .size:           8
        .value_kind:     global_buffer
      - .actual_access:  read_only
        .address_space:  global
        .offset:         16
        .size:           8
        .value_kind:     global_buffer
      - .actual_access:  read_only
        .address_space:  global
        .offset:         24
        .size:           8
        .value_kind:     global_buffer
      - .actual_access:  read_only
        .address_space:  global
        .offset:         32
        .size:           8
        .value_kind:     global_buffer
      - .actual_access:  read_only
        .address_space:  global
        .offset:         40
        .size:           8
        .value_kind:     global_buffer
      - .offset:         48
        .size:           4
        .value_kind:     by_value
      - .actual_access:  read_only
        .address_space:  global
        .offset:         56
        .size:           8
        .value_kind:     global_buffer
      - .offset:         64
        .size:           4
        .value_kind:     hidden_block_count_x
      - .offset:         68
        .size:           4
        .value_kind:     hidden_block_count_y
      - .offset:         72
        .size:           4
        .value_kind:     hidden_block_count_z
      - .offset:         76
        .size:           2
        .value_kind:     hidden_group_size_x
      - .offset:         78
        .size:           2
        .value_kind:     hidden_group_size_y
      - .offset:         80
        .size:           2
        .value_kind:     hidden_group_size_z
      - .offset:         82
        .size:           2
        .value_kind:     hidden_remainder_x
      - .offset:         84
        .size:           2
        .value_kind:     hidden_remainder_y
      - .offset:         86
        .size:           2
        .value_kind:     hidden_remainder_z
      - .offset:         104
        .size:           8
        .value_kind:     hidden_global_offset_x
      - .offset:         112
        .size:           8
        .value_kind:     hidden_global_offset_y
      - .offset:         120
        .size:           8
        .value_kind:     hidden_global_offset_z
      - .offset:         128
        .size:           2
        .value_kind:     hidden_grid_dims
    .group_segment_fixed_size: 2564
    .kernarg_segment_align: 8
    .kernarg_segment_size: 320
    .language:       OpenCL C
    .language_version:
      - 2
      - 0
    .max_flat_workgroup_size: 128
    .name:           _Z35paged_attention_ll4mi_reduce_kernelIDF16_DF16_Li128ELi128ELi256ELi10EEvPT0_PKfS3_PKT_PKiS8_iS3_
    .private_segment_fixed_size: 0
    .sgpr_count:     53
    .sgpr_spill_count: 0
    .symbol:         _Z35paged_attention_ll4mi_reduce_kernelIDF16_DF16_Li128ELi128ELi256ELi10EEvPT0_PKfS3_PKT_PKiS8_iS3_.kd
    .uniform_work_group_size: 1
    .uses_dynamic_stack: false
    .vgpr_count:     92
    .vgpr_spill_count: 0
    .wavefront_size: 64
  - .agpr_count:     0
    .args:
      - .actual_access:  write_only
        .address_space:  global
        .offset:         0
        .size:           8
        .value_kind:     global_buffer
      - .actual_access:  read_only
        .address_space:  global
        .offset:         8
        .size:           8
        .value_kind:     global_buffer
      - .actual_access:  read_only
        .address_space:  global
        .offset:         16
        .size:           8
        .value_kind:     global_buffer
      - .actual_access:  read_only
        .address_space:  global
        .offset:         24
        .size:           8
        .value_kind:     global_buffer
      - .actual_access:  read_only
        .address_space:  global
        .offset:         32
        .size:           8
        .value_kind:     global_buffer
      - .actual_access:  read_only
        .address_space:  global
        .offset:         40
        .size:           8
        .value_kind:     global_buffer
      - .offset:         48
        .size:           4
        .value_kind:     by_value
      - .actual_access:  read_only
        .address_space:  global
        .offset:         56
        .size:           8
        .value_kind:     global_buffer
      - .offset:         64
        .size:           4
        .value_kind:     hidden_block_count_x
      - .offset:         68
        .size:           4
        .value_kind:     hidden_block_count_y
      - .offset:         72
        .size:           4
        .value_kind:     hidden_block_count_z
      - .offset:         76
        .size:           2
        .value_kind:     hidden_group_size_x
      - .offset:         78
        .size:           2
        .value_kind:     hidden_group_size_y
      - .offset:         80
        .size:           2
        .value_kind:     hidden_group_size_z
      - .offset:         82
        .size:           2
        .value_kind:     hidden_remainder_x
      - .offset:         84
        .size:           2
        .value_kind:     hidden_remainder_y
      - .offset:         86
        .size:           2
        .value_kind:     hidden_remainder_z
      - .offset:         104
        .size:           8
        .value_kind:     hidden_global_offset_x
      - .offset:         112
        .size:           8
        .value_kind:     hidden_global_offset_y
      - .offset:         120
        .size:           8
        .value_kind:     hidden_global_offset_z
      - .offset:         128
        .size:           2
        .value_kind:     hidden_grid_dims
    .group_segment_fixed_size: 2820
    .kernarg_segment_align: 8
    .kernarg_segment_size: 320
    .language:       OpenCL C
    .language_version:
      - 2
      - 0
    .max_flat_workgroup_size: 128
    .name:           _Z35paged_attention_ll4mi_reduce_kernelIDF16_DF16_Li128ELi128ELi256ELi11EEvPT0_PKfS3_PKT_PKiS8_iS3_
    .private_segment_fixed_size: 0
    .sgpr_count:     55
    .sgpr_spill_count: 0
    .symbol:         _Z35paged_attention_ll4mi_reduce_kernelIDF16_DF16_Li128ELi128ELi256ELi11EEvPT0_PKfS3_PKT_PKiS8_iS3_.kd
    .uniform_work_group_size: 1
    .uses_dynamic_stack: false
    .vgpr_count:     92
    .vgpr_spill_count: 0
    .wavefront_size: 64
  - .agpr_count:     0
    .args:
      - .actual_access:  write_only
        .address_space:  global
        .offset:         0
        .size:           8
        .value_kind:     global_buffer
      - .actual_access:  read_only
        .address_space:  global
        .offset:         8
        .size:           8
        .value_kind:     global_buffer
      - .actual_access:  read_only
        .address_space:  global
        .offset:         16
        .size:           8
        .value_kind:     global_buffer
      - .actual_access:  read_only
        .address_space:  global
        .offset:         24
        .size:           8
        .value_kind:     global_buffer
      - .actual_access:  read_only
        .address_space:  global
        .offset:         32
        .size:           8
        .value_kind:     global_buffer
      - .actual_access:  read_only
        .address_space:  global
        .offset:         40
        .size:           8
        .value_kind:     global_buffer
      - .offset:         48
        .size:           4
        .value_kind:     by_value
      - .actual_access:  read_only
        .address_space:  global
        .offset:         56
        .size:           8
        .value_kind:     global_buffer
      - .offset:         64
        .size:           4
        .value_kind:     hidden_block_count_x
      - .offset:         68
        .size:           4
        .value_kind:     hidden_block_count_y
      - .offset:         72
        .size:           4
        .value_kind:     hidden_block_count_z
      - .offset:         76
        .size:           2
        .value_kind:     hidden_group_size_x
      - .offset:         78
        .size:           2
        .value_kind:     hidden_group_size_y
      - .offset:         80
        .size:           2
        .value_kind:     hidden_group_size_z
      - .offset:         82
        .size:           2
        .value_kind:     hidden_remainder_x
      - .offset:         84
        .size:           2
        .value_kind:     hidden_remainder_y
      - .offset:         86
        .size:           2
        .value_kind:     hidden_remainder_z
      - .offset:         104
        .size:           8
        .value_kind:     hidden_global_offset_x
      - .offset:         112
        .size:           8
        .value_kind:     hidden_global_offset_y
      - .offset:         120
        .size:           8
        .value_kind:     hidden_global_offset_z
      - .offset:         128
        .size:           2
        .value_kind:     hidden_grid_dims
    .group_segment_fixed_size: 3076
    .kernarg_segment_align: 8
    .kernarg_segment_size: 320
    .language:       OpenCL C
    .language_version:
      - 2
      - 0
    .max_flat_workgroup_size: 128
    .name:           _Z35paged_attention_ll4mi_reduce_kernelIDF16_DF16_Li128ELi128ELi256ELi12EEvPT0_PKfS3_PKT_PKiS8_iS3_
    .private_segment_fixed_size: 0
    .sgpr_count:     57
    .sgpr_spill_count: 0
    .symbol:         _Z35paged_attention_ll4mi_reduce_kernelIDF16_DF16_Li128ELi128ELi256ELi12EEvPT0_PKfS3_PKT_PKiS8_iS3_.kd
    .uniform_work_group_size: 1
    .uses_dynamic_stack: false
    .vgpr_count:     92
    .vgpr_spill_count: 0
    .wavefront_size: 64
  - .agpr_count:     0
    .args:
      - .actual_access:  write_only
        .address_space:  global
        .offset:         0
        .size:           8
        .value_kind:     global_buffer
      - .actual_access:  read_only
        .address_space:  global
        .offset:         8
        .size:           8
        .value_kind:     global_buffer
      - .actual_access:  read_only
        .address_space:  global
        .offset:         16
        .size:           8
        .value_kind:     global_buffer
      - .actual_access:  read_only
        .address_space:  global
        .offset:         24
        .size:           8
        .value_kind:     global_buffer
      - .actual_access:  read_only
        .address_space:  global
        .offset:         32
        .size:           8
        .value_kind:     global_buffer
      - .actual_access:  read_only
        .address_space:  global
        .offset:         40
        .size:           8
        .value_kind:     global_buffer
      - .offset:         48
        .size:           4
        .value_kind:     by_value
      - .actual_access:  read_only
        .address_space:  global
        .offset:         56
        .size:           8
        .value_kind:     global_buffer
      - .offset:         64
        .size:           4
        .value_kind:     hidden_block_count_x
      - .offset:         68
        .size:           4
        .value_kind:     hidden_block_count_y
      - .offset:         72
        .size:           4
        .value_kind:     hidden_block_count_z
      - .offset:         76
        .size:           2
        .value_kind:     hidden_group_size_x
      - .offset:         78
        .size:           2
        .value_kind:     hidden_group_size_y
      - .offset:         80
        .size:           2
        .value_kind:     hidden_group_size_z
      - .offset:         82
        .size:           2
        .value_kind:     hidden_remainder_x
      - .offset:         84
        .size:           2
        .value_kind:     hidden_remainder_y
      - .offset:         86
        .size:           2
        .value_kind:     hidden_remainder_z
      - .offset:         104
        .size:           8
        .value_kind:     hidden_global_offset_x
      - .offset:         112
        .size:           8
        .value_kind:     hidden_global_offset_y
      - .offset:         120
        .size:           8
        .value_kind:     hidden_global_offset_z
      - .offset:         128
        .size:           2
        .value_kind:     hidden_grid_dims
    .group_segment_fixed_size: 3332
    .kernarg_segment_align: 8
    .kernarg_segment_size: 320
    .language:       OpenCL C
    .language_version:
      - 2
      - 0
    .max_flat_workgroup_size: 128
    .name:           _Z35paged_attention_ll4mi_reduce_kernelIDF16_DF16_Li128ELi128ELi256ELi13EEvPT0_PKfS3_PKT_PKiS8_iS3_
    .private_segment_fixed_size: 0
    .sgpr_count:     59
    .sgpr_spill_count: 0
    .symbol:         _Z35paged_attention_ll4mi_reduce_kernelIDF16_DF16_Li128ELi128ELi256ELi13EEvPT0_PKfS3_PKT_PKiS8_iS3_.kd
    .uniform_work_group_size: 1
    .uses_dynamic_stack: false
    .vgpr_count:     92
    .vgpr_spill_count: 0
    .wavefront_size: 64
  - .agpr_count:     0
    .args:
      - .actual_access:  write_only
        .address_space:  global
        .offset:         0
        .size:           8
        .value_kind:     global_buffer
      - .actual_access:  read_only
        .address_space:  global
        .offset:         8
        .size:           8
        .value_kind:     global_buffer
      - .actual_access:  read_only
        .address_space:  global
        .offset:         16
        .size:           8
        .value_kind:     global_buffer
      - .actual_access:  read_only
        .address_space:  global
        .offset:         24
        .size:           8
        .value_kind:     global_buffer
      - .actual_access:  read_only
        .address_space:  global
        .offset:         32
        .size:           8
        .value_kind:     global_buffer
      - .actual_access:  read_only
        .address_space:  global
        .offset:         40
        .size:           8
        .value_kind:     global_buffer
      - .offset:         48
        .size:           4
        .value_kind:     by_value
      - .actual_access:  read_only
        .address_space:  global
        .offset:         56
        .size:           8
        .value_kind:     global_buffer
      - .offset:         64
        .size:           4
        .value_kind:     hidden_block_count_x
      - .offset:         68
        .size:           4
        .value_kind:     hidden_block_count_y
      - .offset:         72
        .size:           4
        .value_kind:     hidden_block_count_z
      - .offset:         76
        .size:           2
        .value_kind:     hidden_group_size_x
      - .offset:         78
        .size:           2
        .value_kind:     hidden_group_size_y
      - .offset:         80
        .size:           2
        .value_kind:     hidden_group_size_z
      - .offset:         82
        .size:           2
        .value_kind:     hidden_remainder_x
      - .offset:         84
        .size:           2
        .value_kind:     hidden_remainder_y
      - .offset:         86
        .size:           2
        .value_kind:     hidden_remainder_z
      - .offset:         104
        .size:           8
        .value_kind:     hidden_global_offset_x
      - .offset:         112
        .size:           8
        .value_kind:     hidden_global_offset_y
      - .offset:         120
        .size:           8
        .value_kind:     hidden_global_offset_z
      - .offset:         128
        .size:           2
        .value_kind:     hidden_grid_dims
    .group_segment_fixed_size: 3588
    .kernarg_segment_align: 8
    .kernarg_segment_size: 320
    .language:       OpenCL C
    .language_version:
      - 2
      - 0
    .max_flat_workgroup_size: 128
    .name:           _Z35paged_attention_ll4mi_reduce_kernelIDF16_DF16_Li128ELi128ELi256ELi14EEvPT0_PKfS3_PKT_PKiS8_iS3_
    .private_segment_fixed_size: 0
    .sgpr_count:     61
    .sgpr_spill_count: 0
    .symbol:         _Z35paged_attention_ll4mi_reduce_kernelIDF16_DF16_Li128ELi128ELi256ELi14EEvPT0_PKfS3_PKT_PKiS8_iS3_.kd
    .uniform_work_group_size: 1
    .uses_dynamic_stack: false
    .vgpr_count:     92
    .vgpr_spill_count: 0
    .wavefront_size: 64
  - .agpr_count:     0
    .args:
      - .actual_access:  write_only
        .address_space:  global
        .offset:         0
        .size:           8
        .value_kind:     global_buffer
      - .actual_access:  read_only
        .address_space:  global
        .offset:         8
        .size:           8
        .value_kind:     global_buffer
      - .actual_access:  read_only
        .address_space:  global
        .offset:         16
        .size:           8
        .value_kind:     global_buffer
      - .actual_access:  read_only
        .address_space:  global
        .offset:         24
        .size:           8
        .value_kind:     global_buffer
      - .actual_access:  read_only
        .address_space:  global
        .offset:         32
        .size:           8
        .value_kind:     global_buffer
      - .actual_access:  read_only
        .address_space:  global
        .offset:         40
        .size:           8
        .value_kind:     global_buffer
      - .offset:         48
        .size:           4
        .value_kind:     by_value
      - .actual_access:  read_only
        .address_space:  global
        .offset:         56
        .size:           8
        .value_kind:     global_buffer
      - .offset:         64
        .size:           4
        .value_kind:     hidden_block_count_x
      - .offset:         68
        .size:           4
        .value_kind:     hidden_block_count_y
      - .offset:         72
        .size:           4
        .value_kind:     hidden_block_count_z
      - .offset:         76
        .size:           2
        .value_kind:     hidden_group_size_x
      - .offset:         78
        .size:           2
        .value_kind:     hidden_group_size_y
      - .offset:         80
        .size:           2
        .value_kind:     hidden_group_size_z
      - .offset:         82
        .size:           2
        .value_kind:     hidden_remainder_x
      - .offset:         84
        .size:           2
        .value_kind:     hidden_remainder_y
      - .offset:         86
        .size:           2
        .value_kind:     hidden_remainder_z
      - .offset:         104
        .size:           8
        .value_kind:     hidden_global_offset_x
      - .offset:         112
        .size:           8
        .value_kind:     hidden_global_offset_y
      - .offset:         120
        .size:           8
        .value_kind:     hidden_global_offset_z
      - .offset:         128
        .size:           2
        .value_kind:     hidden_grid_dims
    .group_segment_fixed_size: 3844
    .kernarg_segment_align: 8
    .kernarg_segment_size: 320
    .language:       OpenCL C
    .language_version:
      - 2
      - 0
    .max_flat_workgroup_size: 128
    .name:           _Z35paged_attention_ll4mi_reduce_kernelIDF16_DF16_Li128ELi128ELi256ELi15EEvPT0_PKfS3_PKT_PKiS8_iS3_
    .private_segment_fixed_size: 0
    .sgpr_count:     63
    .sgpr_spill_count: 0
    .symbol:         _Z35paged_attention_ll4mi_reduce_kernelIDF16_DF16_Li128ELi128ELi256ELi15EEvPT0_PKfS3_PKT_PKiS8_iS3_.kd
    .uniform_work_group_size: 1
    .uses_dynamic_stack: false
    .vgpr_count:     92
    .vgpr_spill_count: 0
    .wavefront_size: 64
  - .agpr_count:     0
    .args:
      - .actual_access:  write_only
        .address_space:  global
        .offset:         0
        .size:           8
        .value_kind:     global_buffer
      - .actual_access:  read_only
        .address_space:  global
        .offset:         8
        .size:           8
        .value_kind:     global_buffer
      - .actual_access:  read_only
        .address_space:  global
        .offset:         16
        .size:           8
        .value_kind:     global_buffer
      - .actual_access:  read_only
        .address_space:  global
        .offset:         24
        .size:           8
        .value_kind:     global_buffer
      - .actual_access:  read_only
        .address_space:  global
        .offset:         32
        .size:           8
        .value_kind:     global_buffer
      - .actual_access:  read_only
        .address_space:  global
        .offset:         40
        .size:           8
        .value_kind:     global_buffer
      - .offset:         48
        .size:           4
        .value_kind:     by_value
      - .actual_access:  read_only
        .address_space:  global
        .offset:         56
        .size:           8
        .value_kind:     global_buffer
      - .offset:         64
        .size:           4
        .value_kind:     hidden_block_count_x
      - .offset:         68
        .size:           4
        .value_kind:     hidden_block_count_y
      - .offset:         72
        .size:           4
        .value_kind:     hidden_block_count_z
      - .offset:         76
        .size:           2
        .value_kind:     hidden_group_size_x
      - .offset:         78
        .size:           2
        .value_kind:     hidden_group_size_y
      - .offset:         80
        .size:           2
        .value_kind:     hidden_group_size_z
      - .offset:         82
        .size:           2
        .value_kind:     hidden_remainder_x
      - .offset:         84
        .size:           2
        .value_kind:     hidden_remainder_y
      - .offset:         86
        .size:           2
        .value_kind:     hidden_remainder_z
      - .offset:         104
        .size:           8
        .value_kind:     hidden_global_offset_x
      - .offset:         112
        .size:           8
        .value_kind:     hidden_global_offset_y
      - .offset:         120
        .size:           8
        .value_kind:     hidden_global_offset_z
      - .offset:         128
        .size:           2
        .value_kind:     hidden_grid_dims
    .group_segment_fixed_size: 4100
    .kernarg_segment_align: 8
    .kernarg_segment_size: 320
    .language:       OpenCL C
    .language_version:
      - 2
      - 0
    .max_flat_workgroup_size: 128
    .name:           _Z35paged_attention_ll4mi_reduce_kernelIDF16_DF16_Li128ELi128ELi256ELi16EEvPT0_PKfS3_PKT_PKiS8_iS3_
    .private_segment_fixed_size: 0
    .sgpr_count:     65
    .sgpr_spill_count: 0
    .symbol:         _Z35paged_attention_ll4mi_reduce_kernelIDF16_DF16_Li128ELi128ELi256ELi16EEvPT0_PKfS3_PKT_PKiS8_iS3_.kd
    .uniform_work_group_size: 1
    .uses_dynamic_stack: false
    .vgpr_count:     92
    .vgpr_spill_count: 0
    .wavefront_size: 64
  - .agpr_count:     8
    .args:
      - .actual_access:  read_only
        .address_space:  global
        .offset:         0
        .size:           8
        .value_kind:     global_buffer
      - .actual_access:  read_only
        .address_space:  global
        .offset:         8
        .size:           8
        .value_kind:     global_buffer
      - .actual_access:  read_only
        .address_space:  global
        .offset:         16
        .size:           8
        .value_kind:     global_buffer
      - .offset:         24
        .size:           4
        .value_kind:     by_value
      - .offset:         28
        .size:           4
        .value_kind:     by_value
      - .actual_access:  read_only
        .address_space:  global
        .offset:         32
        .size:           8
        .value_kind:     global_buffer
      - .actual_access:  read_only
        .address_space:  global
        .offset:         40
        .size:           8
        .value_kind:     global_buffer
      - .actual_access:  read_only
        .address_space:  global
        .offset:         48
        .size:           8
        .value_kind:     global_buffer
      - .offset:         56
        .size:           4
        .value_kind:     by_value
      - .actual_access:  read_only
        .address_space:  global
        .offset:         64
        .size:           8
        .value_kind:     global_buffer
      - .offset:         72
        .size:           4
        .value_kind:     by_value
      - .offset:         76
        .size:           4
        .value_kind:     by_value
      - .offset:         80
        .size:           4
        .value_kind:     by_value
      - .actual_access:  write_only
        .address_space:  global
        .offset:         88
        .size:           8
        .value_kind:     global_buffer
      - .actual_access:  write_only
        .address_space:  global
        .offset:         96
        .size:           8
        .value_kind:     global_buffer
      - .actual_access:  write_only
        .address_space:  global
        .offset:         104
        .size:           8
        .value_kind:     global_buffer
      - .actual_access:  read_only
        .address_space:  global
        .offset:         112
        .size:           8
        .value_kind:     global_buffer
      - .offset:         120
        .size:           4
        .value_kind:     by_value
      - .address_space:  global
        .offset:         128
        .size:           8
        .value_kind:     global_buffer
      - .address_space:  global
        .offset:         136
        .size:           8
        .value_kind:     global_buffer
      - .offset:         144
        .size:           4
        .value_kind:     hidden_block_count_x
      - .offset:         148
        .size:           4
        .value_kind:     hidden_block_count_y
      - .offset:         152
        .size:           4
        .value_kind:     hidden_block_count_z
      - .offset:         156
        .size:           2
        .value_kind:     hidden_group_size_x
      - .offset:         158
        .size:           2
        .value_kind:     hidden_group_size_y
      - .offset:         160
        .size:           2
        .value_kind:     hidden_group_size_z
      - .offset:         162
        .size:           2
        .value_kind:     hidden_remainder_x
      - .offset:         164
        .size:           2
        .value_kind:     hidden_remainder_y
      - .offset:         166
        .size:           2
        .value_kind:     hidden_remainder_z
      - .offset:         184
        .size:           8
        .value_kind:     hidden_global_offset_x
      - .offset:         192
        .size:           8
        .value_kind:     hidden_global_offset_y
      - .offset:         200
        .size:           8
        .value_kind:     hidden_global_offset_z
      - .offset:         208
        .size:           2
        .value_kind:     hidden_grid_dims
    .group_segment_fixed_size: 5280
    .kernarg_segment_align: 8
    .kernarg_segment_size: 400
    .language:       OpenCL C
    .language_version:
      - 2
      - 0
    .max_flat_workgroup_size: 256
    .name:           _Z38paged_attention_ll4mi_QKV_mfma4_kernelIDF16_DF16_LN4vllm18Fp8KVCacheDataTypeE0EDF16_Li16ELi128ELi256ELb0ELi1EEvPKT_PKT0_S7_ifPKiS9_S9_iPKfiiiPfSC_PS2_PT2_iSB_SB_
    .private_segment_fixed_size: 0
    .sgpr_count:     42
    .sgpr_spill_count: 0
    .symbol:         _Z38paged_attention_ll4mi_QKV_mfma4_kernelIDF16_DF16_LN4vllm18Fp8KVCacheDataTypeE0EDF16_Li16ELi128ELi256ELb0ELi1EEvPKT_PKT0_S7_ifPKiS9_S9_iPKfiiiPfSC_PS2_PT2_iSB_SB_.kd
    .uniform_work_group_size: 1
    .uses_dynamic_stack: false
    .vgpr_count:     96
    .vgpr_spill_count: 0
    .wavefront_size: 64
  - .agpr_count:     8
    .args:
      - .actual_access:  read_only
        .address_space:  global
        .offset:         0
        .size:           8
        .value_kind:     global_buffer
      - .actual_access:  read_only
        .address_space:  global
        .offset:         8
        .size:           8
        .value_kind:     global_buffer
      - .actual_access:  read_only
        .address_space:  global
        .offset:         16
        .size:           8
        .value_kind:     global_buffer
      - .offset:         24
        .size:           4
        .value_kind:     by_value
      - .offset:         28
        .size:           4
        .value_kind:     by_value
      - .actual_access:  read_only
        .address_space:  global
        .offset:         32
        .size:           8
        .value_kind:     global_buffer
      - .actual_access:  read_only
        .address_space:  global
        .offset:         40
        .size:           8
        .value_kind:     global_buffer
      - .actual_access:  read_only
        .address_space:  global
        .offset:         48
        .size:           8
        .value_kind:     global_buffer
      - .offset:         56
        .size:           4
        .value_kind:     by_value
      - .actual_access:  read_only
        .address_space:  global
        .offset:         64
        .size:           8
        .value_kind:     global_buffer
      - .offset:         72
        .size:           4
        .value_kind:     by_value
      - .offset:         76
        .size:           4
        .value_kind:     by_value
      - .offset:         80
        .size:           4
        .value_kind:     by_value
      - .actual_access:  write_only
        .address_space:  global
        .offset:         88
        .size:           8
        .value_kind:     global_buffer
      - .actual_access:  write_only
        .address_space:  global
        .offset:         96
        .size:           8
        .value_kind:     global_buffer
      - .actual_access:  write_only
        .address_space:  global
        .offset:         104
        .size:           8
        .value_kind:     global_buffer
      - .actual_access:  read_only
        .address_space:  global
        .offset:         112
        .size:           8
        .value_kind:     global_buffer
      - .offset:         120
        .size:           4
        .value_kind:     by_value
      - .address_space:  global
        .offset:         128
        .size:           8
        .value_kind:     global_buffer
      - .address_space:  global
        .offset:         136
        .size:           8
        .value_kind:     global_buffer
      - .offset:         144
        .size:           4
        .value_kind:     hidden_block_count_x
      - .offset:         148
        .size:           4
        .value_kind:     hidden_block_count_y
      - .offset:         152
        .size:           4
        .value_kind:     hidden_block_count_z
      - .offset:         156
        .size:           2
        .value_kind:     hidden_group_size_x
      - .offset:         158
        .size:           2
        .value_kind:     hidden_group_size_y
      - .offset:         160
        .size:           2
        .value_kind:     hidden_group_size_z
      - .offset:         162
        .size:           2
        .value_kind:     hidden_remainder_x
      - .offset:         164
        .size:           2
        .value_kind:     hidden_remainder_y
      - .offset:         166
        .size:           2
        .value_kind:     hidden_remainder_z
      - .offset:         184
        .size:           8
        .value_kind:     hidden_global_offset_x
      - .offset:         192
        .size:           8
        .value_kind:     hidden_global_offset_y
      - .offset:         200
        .size:           8
        .value_kind:     hidden_global_offset_z
      - .offset:         208
        .size:           2
        .value_kind:     hidden_grid_dims
    .group_segment_fixed_size: 5280
    .kernarg_segment_align: 8
    .kernarg_segment_size: 400
    .language:       OpenCL C
    .language_version:
      - 2
      - 0
    .max_flat_workgroup_size: 256
    .name:           _Z38paged_attention_ll4mi_QKV_mfma4_kernelIDF16_DF16_LN4vllm18Fp8KVCacheDataTypeE0EDF16_Li16ELi128ELi256ELb0ELi2EEvPKT_PKT0_S7_ifPKiS9_S9_iPKfiiiPfSC_PS2_PT2_iSB_SB_
    .private_segment_fixed_size: 0
    .sgpr_count:     42
    .sgpr_spill_count: 0
    .symbol:         _Z38paged_attention_ll4mi_QKV_mfma4_kernelIDF16_DF16_LN4vllm18Fp8KVCacheDataTypeE0EDF16_Li16ELi128ELi256ELb0ELi2EEvPKT_PKT0_S7_ifPKiS9_S9_iPKfiiiPfSC_PS2_PT2_iSB_SB_.kd
    .uniform_work_group_size: 1
    .uses_dynamic_stack: false
    .vgpr_count:     96
    .vgpr_spill_count: 0
    .wavefront_size: 64
  - .agpr_count:     8
    .args:
      - .actual_access:  read_only
        .address_space:  global
        .offset:         0
        .size:           8
        .value_kind:     global_buffer
      - .actual_access:  read_only
        .address_space:  global
        .offset:         8
        .size:           8
        .value_kind:     global_buffer
      - .actual_access:  read_only
        .address_space:  global
        .offset:         16
        .size:           8
        .value_kind:     global_buffer
      - .offset:         24
        .size:           4
        .value_kind:     by_value
      - .offset:         28
        .size:           4
        .value_kind:     by_value
      - .actual_access:  read_only
        .address_space:  global
        .offset:         32
        .size:           8
        .value_kind:     global_buffer
      - .actual_access:  read_only
        .address_space:  global
        .offset:         40
        .size:           8
        .value_kind:     global_buffer
      - .actual_access:  read_only
        .address_space:  global
        .offset:         48
        .size:           8
        .value_kind:     global_buffer
      - .offset:         56
        .size:           4
        .value_kind:     by_value
      - .actual_access:  read_only
        .address_space:  global
        .offset:         64
        .size:           8
        .value_kind:     global_buffer
      - .offset:         72
        .size:           4
        .value_kind:     by_value
      - .offset:         76
        .size:           4
        .value_kind:     by_value
      - .offset:         80
        .size:           4
        .value_kind:     by_value
      - .actual_access:  write_only
        .address_space:  global
        .offset:         88
        .size:           8
        .value_kind:     global_buffer
      - .actual_access:  write_only
        .address_space:  global
        .offset:         96
        .size:           8
        .value_kind:     global_buffer
      - .actual_access:  write_only
        .address_space:  global
        .offset:         104
        .size:           8
        .value_kind:     global_buffer
      - .actual_access:  read_only
        .address_space:  global
        .offset:         112
        .size:           8
        .value_kind:     global_buffer
      - .offset:         120
        .size:           4
        .value_kind:     by_value
      - .address_space:  global
        .offset:         128
        .size:           8
        .value_kind:     global_buffer
      - .address_space:  global
        .offset:         136
        .size:           8
        .value_kind:     global_buffer
      - .offset:         144
        .size:           4
        .value_kind:     hidden_block_count_x
      - .offset:         148
        .size:           4
        .value_kind:     hidden_block_count_y
      - .offset:         152
        .size:           4
        .value_kind:     hidden_block_count_z
      - .offset:         156
        .size:           2
        .value_kind:     hidden_group_size_x
      - .offset:         158
        .size:           2
        .value_kind:     hidden_group_size_y
      - .offset:         160
        .size:           2
        .value_kind:     hidden_group_size_z
      - .offset:         162
        .size:           2
        .value_kind:     hidden_remainder_x
      - .offset:         164
        .size:           2
        .value_kind:     hidden_remainder_y
      - .offset:         166
        .size:           2
        .value_kind:     hidden_remainder_z
      - .offset:         184
        .size:           8
        .value_kind:     hidden_global_offset_x
      - .offset:         192
        .size:           8
        .value_kind:     hidden_global_offset_y
      - .offset:         200
        .size:           8
        .value_kind:     hidden_global_offset_z
      - .offset:         208
        .size:           2
        .value_kind:     hidden_grid_dims
    .group_segment_fixed_size: 5280
    .kernarg_segment_align: 8
    .kernarg_segment_size: 400
    .language:       OpenCL C
    .language_version:
      - 2
      - 0
    .max_flat_workgroup_size: 256
    .name:           _Z38paged_attention_ll4mi_QKV_mfma4_kernelIDF16_DF16_LN4vllm18Fp8KVCacheDataTypeE0EDF16_Li16ELi128ELi256ELb0ELi3EEvPKT_PKT0_S7_ifPKiS9_S9_iPKfiiiPfSC_PS2_PT2_iSB_SB_
    .private_segment_fixed_size: 0
    .sgpr_count:     42
    .sgpr_spill_count: 0
    .symbol:         _Z38paged_attention_ll4mi_QKV_mfma4_kernelIDF16_DF16_LN4vllm18Fp8KVCacheDataTypeE0EDF16_Li16ELi128ELi256ELb0ELi3EEvPKT_PKT0_S7_ifPKiS9_S9_iPKfiiiPfSC_PS2_PT2_iSB_SB_.kd
    .uniform_work_group_size: 1
    .uses_dynamic_stack: false
    .vgpr_count:     100
    .vgpr_spill_count: 0
    .wavefront_size: 64
  - .agpr_count:     8
    .args:
      - .actual_access:  read_only
        .address_space:  global
        .offset:         0
        .size:           8
        .value_kind:     global_buffer
      - .actual_access:  read_only
        .address_space:  global
        .offset:         8
        .size:           8
        .value_kind:     global_buffer
      - .actual_access:  read_only
        .address_space:  global
        .offset:         16
        .size:           8
        .value_kind:     global_buffer
      - .offset:         24
        .size:           4
        .value_kind:     by_value
      - .offset:         28
        .size:           4
        .value_kind:     by_value
      - .actual_access:  read_only
        .address_space:  global
        .offset:         32
        .size:           8
        .value_kind:     global_buffer
      - .actual_access:  read_only
        .address_space:  global
        .offset:         40
        .size:           8
        .value_kind:     global_buffer
      - .actual_access:  read_only
        .address_space:  global
        .offset:         48
        .size:           8
        .value_kind:     global_buffer
      - .offset:         56
        .size:           4
        .value_kind:     by_value
      - .actual_access:  read_only
        .address_space:  global
        .offset:         64
        .size:           8
        .value_kind:     global_buffer
      - .offset:         72
        .size:           4
        .value_kind:     by_value
      - .offset:         76
        .size:           4
        .value_kind:     by_value
      - .offset:         80
        .size:           4
        .value_kind:     by_value
      - .actual_access:  write_only
        .address_space:  global
        .offset:         88
        .size:           8
        .value_kind:     global_buffer
      - .actual_access:  write_only
        .address_space:  global
        .offset:         96
        .size:           8
        .value_kind:     global_buffer
      - .actual_access:  write_only
        .address_space:  global
        .offset:         104
        .size:           8
        .value_kind:     global_buffer
      - .actual_access:  read_only
        .address_space:  global
        .offset:         112
        .size:           8
        .value_kind:     global_buffer
      - .offset:         120
        .size:           4
        .value_kind:     by_value
      - .address_space:  global
        .offset:         128
        .size:           8
        .value_kind:     global_buffer
      - .address_space:  global
        .offset:         136
        .size:           8
        .value_kind:     global_buffer
      - .offset:         144
        .size:           4
        .value_kind:     hidden_block_count_x
      - .offset:         148
        .size:           4
        .value_kind:     hidden_block_count_y
      - .offset:         152
        .size:           4
        .value_kind:     hidden_block_count_z
      - .offset:         156
        .size:           2
        .value_kind:     hidden_group_size_x
      - .offset:         158
        .size:           2
        .value_kind:     hidden_group_size_y
      - .offset:         160
        .size:           2
        .value_kind:     hidden_group_size_z
      - .offset:         162
        .size:           2
        .value_kind:     hidden_remainder_x
      - .offset:         164
        .size:           2
        .value_kind:     hidden_remainder_y
      - .offset:         166
        .size:           2
        .value_kind:     hidden_remainder_z
      - .offset:         184
        .size:           8
        .value_kind:     hidden_global_offset_x
      - .offset:         192
        .size:           8
        .value_kind:     hidden_global_offset_y
      - .offset:         200
        .size:           8
        .value_kind:     hidden_global_offset_z
      - .offset:         208
        .size:           2
        .value_kind:     hidden_grid_dims
    .group_segment_fixed_size: 5280
    .kernarg_segment_align: 8
    .kernarg_segment_size: 400
    .language:       OpenCL C
    .language_version:
      - 2
      - 0
    .max_flat_workgroup_size: 256
    .name:           _Z38paged_attention_ll4mi_QKV_mfma4_kernelIDF16_DF16_LN4vllm18Fp8KVCacheDataTypeE0EDF16_Li16ELi128ELi256ELb0ELi4EEvPKT_PKT0_S7_ifPKiS9_S9_iPKfiiiPfSC_PS2_PT2_iSB_SB_
    .private_segment_fixed_size: 0
    .sgpr_count:     42
    .sgpr_spill_count: 0
    .symbol:         _Z38paged_attention_ll4mi_QKV_mfma4_kernelIDF16_DF16_LN4vllm18Fp8KVCacheDataTypeE0EDF16_Li16ELi128ELi256ELb0ELi4EEvPKT_PKT0_S7_ifPKiS9_S9_iPKfiiiPfSC_PS2_PT2_iSB_SB_.kd
    .uniform_work_group_size: 1
    .uses_dynamic_stack: false
    .vgpr_count:     92
    .vgpr_spill_count: 0
    .wavefront_size: 64
  - .agpr_count:     0
    .args:
      - .actual_access:  read_only
        .address_space:  global
        .offset:         0
        .size:           8
        .value_kind:     global_buffer
      - .actual_access:  read_only
        .address_space:  global
        .offset:         8
        .size:           8
        .value_kind:     global_buffer
      - .actual_access:  read_only
        .address_space:  global
        .offset:         16
        .size:           8
        .value_kind:     global_buffer
      - .offset:         24
        .size:           4
        .value_kind:     by_value
      - .offset:         28
        .size:           4
        .value_kind:     by_value
      - .actual_access:  read_only
        .address_space:  global
        .offset:         32
        .size:           8
        .value_kind:     global_buffer
      - .actual_access:  read_only
        .address_space:  global
        .offset:         40
        .size:           8
        .value_kind:     global_buffer
      - .actual_access:  read_only
        .address_space:  global
        .offset:         48
        .size:           8
        .value_kind:     global_buffer
      - .offset:         56
        .size:           4
        .value_kind:     by_value
      - .actual_access:  read_only
        .address_space:  global
        .offset:         64
        .size:           8
        .value_kind:     global_buffer
      - .offset:         72
        .size:           4
        .value_kind:     by_value
      - .offset:         76
        .size:           4
        .value_kind:     by_value
      - .offset:         80
        .size:           4
        .value_kind:     by_value
      - .actual_access:  write_only
        .address_space:  global
        .offset:         88
        .size:           8
        .value_kind:     global_buffer
      - .actual_access:  write_only
        .address_space:  global
        .offset:         96
        .size:           8
        .value_kind:     global_buffer
      - .actual_access:  write_only
        .address_space:  global
        .offset:         104
        .size:           8
        .value_kind:     global_buffer
      - .actual_access:  read_only
        .address_space:  global
        .offset:         112
        .size:           8
        .value_kind:     global_buffer
      - .offset:         120
        .size:           4
        .value_kind:     by_value
      - .address_space:  global
        .offset:         128
        .size:           8
        .value_kind:     global_buffer
      - .address_space:  global
        .offset:         136
        .size:           8
        .value_kind:     global_buffer
      - .offset:         144
        .size:           4
        .value_kind:     hidden_block_count_x
      - .offset:         148
        .size:           4
        .value_kind:     hidden_block_count_y
      - .offset:         152
        .size:           4
        .value_kind:     hidden_block_count_z
      - .offset:         156
        .size:           2
        .value_kind:     hidden_group_size_x
      - .offset:         158
        .size:           2
        .value_kind:     hidden_group_size_y
      - .offset:         160
        .size:           2
        .value_kind:     hidden_group_size_z
      - .offset:         162
        .size:           2
        .value_kind:     hidden_remainder_x
      - .offset:         164
        .size:           2
        .value_kind:     hidden_remainder_y
      - .offset:         166
        .size:           2
        .value_kind:     hidden_remainder_z
      - .offset:         184
        .size:           8
        .value_kind:     hidden_global_offset_x
      - .offset:         192
        .size:           8
        .value_kind:     hidden_global_offset_y
      - .offset:         200
        .size:           8
        .value_kind:     hidden_global_offset_z
      - .offset:         208
        .size:           2
        .value_kind:     hidden_grid_dims
    .group_segment_fixed_size: 8192
    .kernarg_segment_align: 8
    .kernarg_segment_size: 400
    .language:       OpenCL C
    .language_version:
      - 2
      - 0
    .max_flat_workgroup_size: 256
    .name:           _Z39paged_attention_ll4mi_QKV_mfma16_kernelIDF16_DF16_LN4vllm18Fp8KVCacheDataTypeE0EDF16_Li16ELi128ELi256ELb0ELi5EL8MFMAType0EEvPKT_PKT0_S8_ifPKiSA_SA_iPKfiiiPfSD_PS3_PT2_iSC_SC_
    .private_segment_fixed_size: 8
    .sgpr_count:     52
    .sgpr_spill_count: 0
    .symbol:         _Z39paged_attention_ll4mi_QKV_mfma16_kernelIDF16_DF16_LN4vllm18Fp8KVCacheDataTypeE0EDF16_Li16ELi128ELi256ELb0ELi5EL8MFMAType0EEvPKT_PKT0_S8_ifPKiSA_SA_iPKfiiiPfSD_PS3_PT2_iSC_SC_.kd
    .uniform_work_group_size: 1
    .uses_dynamic_stack: false
    .vgpr_count:     96
    .vgpr_spill_count: 1
    .wavefront_size: 64
  - .agpr_count:     0
    .args:
      - .actual_access:  read_only
        .address_space:  global
        .offset:         0
        .size:           8
        .value_kind:     global_buffer
      - .actual_access:  read_only
        .address_space:  global
        .offset:         8
        .size:           8
        .value_kind:     global_buffer
      - .actual_access:  read_only
        .address_space:  global
        .offset:         16
        .size:           8
        .value_kind:     global_buffer
      - .offset:         24
        .size:           4
        .value_kind:     by_value
      - .offset:         28
        .size:           4
        .value_kind:     by_value
      - .actual_access:  read_only
        .address_space:  global
        .offset:         32
        .size:           8
        .value_kind:     global_buffer
      - .actual_access:  read_only
        .address_space:  global
        .offset:         40
        .size:           8
        .value_kind:     global_buffer
      - .actual_access:  read_only
        .address_space:  global
        .offset:         48
        .size:           8
        .value_kind:     global_buffer
      - .offset:         56
        .size:           4
        .value_kind:     by_value
      - .actual_access:  read_only
        .address_space:  global
        .offset:         64
        .size:           8
        .value_kind:     global_buffer
      - .offset:         72
        .size:           4
        .value_kind:     by_value
      - .offset:         76
        .size:           4
        .value_kind:     by_value
      - .offset:         80
        .size:           4
        .value_kind:     by_value
      - .actual_access:  write_only
        .address_space:  global
        .offset:         88
        .size:           8
        .value_kind:     global_buffer
      - .actual_access:  write_only
        .address_space:  global
        .offset:         96
        .size:           8
        .value_kind:     global_buffer
      - .actual_access:  write_only
        .address_space:  global
        .offset:         104
        .size:           8
        .value_kind:     global_buffer
      - .actual_access:  read_only
        .address_space:  global
        .offset:         112
        .size:           8
        .value_kind:     global_buffer
      - .offset:         120
        .size:           4
        .value_kind:     by_value
      - .address_space:  global
        .offset:         128
        .size:           8
        .value_kind:     global_buffer
      - .address_space:  global
        .offset:         136
        .size:           8
        .value_kind:     global_buffer
      - .offset:         144
        .size:           4
        .value_kind:     hidden_block_count_x
      - .offset:         148
        .size:           4
        .value_kind:     hidden_block_count_y
      - .offset:         152
        .size:           4
        .value_kind:     hidden_block_count_z
      - .offset:         156
        .size:           2
        .value_kind:     hidden_group_size_x
      - .offset:         158
        .size:           2
        .value_kind:     hidden_group_size_y
      - .offset:         160
        .size:           2
        .value_kind:     hidden_group_size_z
      - .offset:         162
        .size:           2
        .value_kind:     hidden_remainder_x
      - .offset:         164
        .size:           2
        .value_kind:     hidden_remainder_y
      - .offset:         166
        .size:           2
        .value_kind:     hidden_remainder_z
      - .offset:         184
        .size:           8
        .value_kind:     hidden_global_offset_x
      - .offset:         192
        .size:           8
        .value_kind:     hidden_global_offset_y
      - .offset:         200
        .size:           8
        .value_kind:     hidden_global_offset_z
      - .offset:         208
        .size:           2
        .value_kind:     hidden_grid_dims
    .group_segment_fixed_size: 8192
    .kernarg_segment_align: 8
    .kernarg_segment_size: 400
    .language:       OpenCL C
    .language_version:
      - 2
      - 0
    .max_flat_workgroup_size: 256
    .name:           _Z39paged_attention_ll4mi_QKV_mfma16_kernelIDF16_DF16_LN4vllm18Fp8KVCacheDataTypeE0EDF16_Li16ELi128ELi256ELb0ELi6EL8MFMAType0EEvPKT_PKT0_S8_ifPKiSA_SA_iPKfiiiPfSD_PS3_PT2_iSC_SC_
    .private_segment_fixed_size: 8
    .sgpr_count:     52
    .sgpr_spill_count: 0
    .symbol:         _Z39paged_attention_ll4mi_QKV_mfma16_kernelIDF16_DF16_LN4vllm18Fp8KVCacheDataTypeE0EDF16_Li16ELi128ELi256ELb0ELi6EL8MFMAType0EEvPKT_PKT0_S8_ifPKiSA_SA_iPKfiiiPfSD_PS3_PT2_iSC_SC_.kd
    .uniform_work_group_size: 1
    .uses_dynamic_stack: false
    .vgpr_count:     96
    .vgpr_spill_count: 1
    .wavefront_size: 64
  - .agpr_count:     0
    .args:
      - .actual_access:  read_only
        .address_space:  global
        .offset:         0
        .size:           8
        .value_kind:     global_buffer
      - .actual_access:  read_only
        .address_space:  global
        .offset:         8
        .size:           8
        .value_kind:     global_buffer
      - .actual_access:  read_only
        .address_space:  global
        .offset:         16
        .size:           8
        .value_kind:     global_buffer
      - .offset:         24
        .size:           4
        .value_kind:     by_value
      - .offset:         28
        .size:           4
        .value_kind:     by_value
      - .actual_access:  read_only
        .address_space:  global
        .offset:         32
        .size:           8
        .value_kind:     global_buffer
      - .actual_access:  read_only
        .address_space:  global
        .offset:         40
        .size:           8
        .value_kind:     global_buffer
      - .actual_access:  read_only
        .address_space:  global
        .offset:         48
        .size:           8
        .value_kind:     global_buffer
      - .offset:         56
        .size:           4
        .value_kind:     by_value
      - .actual_access:  read_only
        .address_space:  global
        .offset:         64
        .size:           8
        .value_kind:     global_buffer
      - .offset:         72
        .size:           4
        .value_kind:     by_value
      - .offset:         76
        .size:           4
        .value_kind:     by_value
      - .offset:         80
        .size:           4
        .value_kind:     by_value
      - .actual_access:  write_only
        .address_space:  global
        .offset:         88
        .size:           8
        .value_kind:     global_buffer
      - .actual_access:  write_only
        .address_space:  global
        .offset:         96
        .size:           8
        .value_kind:     global_buffer
      - .actual_access:  write_only
        .address_space:  global
        .offset:         104
        .size:           8
        .value_kind:     global_buffer
      - .actual_access:  read_only
        .address_space:  global
        .offset:         112
        .size:           8
        .value_kind:     global_buffer
      - .offset:         120
        .size:           4
        .value_kind:     by_value
      - .address_space:  global
        .offset:         128
        .size:           8
        .value_kind:     global_buffer
      - .address_space:  global
        .offset:         136
        .size:           8
        .value_kind:     global_buffer
      - .offset:         144
        .size:           4
        .value_kind:     hidden_block_count_x
      - .offset:         148
        .size:           4
        .value_kind:     hidden_block_count_y
      - .offset:         152
        .size:           4
        .value_kind:     hidden_block_count_z
      - .offset:         156
        .size:           2
        .value_kind:     hidden_group_size_x
      - .offset:         158
        .size:           2
        .value_kind:     hidden_group_size_y
      - .offset:         160
        .size:           2
        .value_kind:     hidden_group_size_z
      - .offset:         162
        .size:           2
        .value_kind:     hidden_remainder_x
      - .offset:         164
        .size:           2
        .value_kind:     hidden_remainder_y
      - .offset:         166
        .size:           2
        .value_kind:     hidden_remainder_z
      - .offset:         184
        .size:           8
        .value_kind:     hidden_global_offset_x
      - .offset:         192
        .size:           8
        .value_kind:     hidden_global_offset_y
      - .offset:         200
        .size:           8
        .value_kind:     hidden_global_offset_z
      - .offset:         208
        .size:           2
        .value_kind:     hidden_grid_dims
    .group_segment_fixed_size: 8192
    .kernarg_segment_align: 8
    .kernarg_segment_size: 400
    .language:       OpenCL C
    .language_version:
      - 2
      - 0
    .max_flat_workgroup_size: 256
    .name:           _Z39paged_attention_ll4mi_QKV_mfma16_kernelIDF16_DF16_LN4vllm18Fp8KVCacheDataTypeE0EDF16_Li16ELi128ELi256ELb0ELi7EL8MFMAType0EEvPKT_PKT0_S8_ifPKiSA_SA_iPKfiiiPfSD_PS3_PT2_iSC_SC_
    .private_segment_fixed_size: 8
    .sgpr_count:     52
    .sgpr_spill_count: 0
    .symbol:         _Z39paged_attention_ll4mi_QKV_mfma16_kernelIDF16_DF16_LN4vllm18Fp8KVCacheDataTypeE0EDF16_Li16ELi128ELi256ELb0ELi7EL8MFMAType0EEvPKT_PKT0_S8_ifPKiSA_SA_iPKfiiiPfSD_PS3_PT2_iSC_SC_.kd
    .uniform_work_group_size: 1
    .uses_dynamic_stack: false
    .vgpr_count:     96
    .vgpr_spill_count: 1
    .wavefront_size: 64
  - .agpr_count:     0
    .args:
      - .actual_access:  read_only
        .address_space:  global
        .offset:         0
        .size:           8
        .value_kind:     global_buffer
      - .actual_access:  read_only
        .address_space:  global
        .offset:         8
        .size:           8
        .value_kind:     global_buffer
      - .actual_access:  read_only
        .address_space:  global
        .offset:         16
        .size:           8
        .value_kind:     global_buffer
      - .offset:         24
        .size:           4
        .value_kind:     by_value
      - .offset:         28
        .size:           4
        .value_kind:     by_value
      - .actual_access:  read_only
        .address_space:  global
        .offset:         32
        .size:           8
        .value_kind:     global_buffer
      - .actual_access:  read_only
        .address_space:  global
        .offset:         40
        .size:           8
        .value_kind:     global_buffer
      - .actual_access:  read_only
        .address_space:  global
        .offset:         48
        .size:           8
        .value_kind:     global_buffer
      - .offset:         56
        .size:           4
        .value_kind:     by_value
      - .actual_access:  read_only
        .address_space:  global
        .offset:         64
        .size:           8
        .value_kind:     global_buffer
      - .offset:         72
        .size:           4
        .value_kind:     by_value
      - .offset:         76
        .size:           4
        .value_kind:     by_value
      - .offset:         80
        .size:           4
        .value_kind:     by_value
      - .actual_access:  write_only
        .address_space:  global
        .offset:         88
        .size:           8
        .value_kind:     global_buffer
      - .actual_access:  write_only
        .address_space:  global
        .offset:         96
        .size:           8
        .value_kind:     global_buffer
      - .actual_access:  write_only
        .address_space:  global
        .offset:         104
        .size:           8
        .value_kind:     global_buffer
      - .actual_access:  read_only
        .address_space:  global
        .offset:         112
        .size:           8
        .value_kind:     global_buffer
      - .offset:         120
        .size:           4
        .value_kind:     by_value
      - .address_space:  global
        .offset:         128
        .size:           8
        .value_kind:     global_buffer
      - .address_space:  global
        .offset:         136
        .size:           8
        .value_kind:     global_buffer
      - .offset:         144
        .size:           4
        .value_kind:     hidden_block_count_x
      - .offset:         148
        .size:           4
        .value_kind:     hidden_block_count_y
      - .offset:         152
        .size:           4
        .value_kind:     hidden_block_count_z
      - .offset:         156
        .size:           2
        .value_kind:     hidden_group_size_x
      - .offset:         158
        .size:           2
        .value_kind:     hidden_group_size_y
      - .offset:         160
        .size:           2
        .value_kind:     hidden_group_size_z
      - .offset:         162
        .size:           2
        .value_kind:     hidden_remainder_x
      - .offset:         164
        .size:           2
        .value_kind:     hidden_remainder_y
      - .offset:         166
        .size:           2
        .value_kind:     hidden_remainder_z
      - .offset:         184
        .size:           8
        .value_kind:     hidden_global_offset_x
      - .offset:         192
        .size:           8
        .value_kind:     hidden_global_offset_y
      - .offset:         200
        .size:           8
        .value_kind:     hidden_global_offset_z
      - .offset:         208
        .size:           2
        .value_kind:     hidden_grid_dims
    .group_segment_fixed_size: 8192
    .kernarg_segment_align: 8
    .kernarg_segment_size: 400
    .language:       OpenCL C
    .language_version:
      - 2
      - 0
    .max_flat_workgroup_size: 256
    .name:           _Z39paged_attention_ll4mi_QKV_mfma16_kernelIDF16_DF16_LN4vllm18Fp8KVCacheDataTypeE0EDF16_Li16ELi128ELi256ELb0ELi8EL8MFMAType0EEvPKT_PKT0_S8_ifPKiSA_SA_iPKfiiiPfSD_PS3_PT2_iSC_SC_
    .private_segment_fixed_size: 8
    .sgpr_count:     52
    .sgpr_spill_count: 0
    .symbol:         _Z39paged_attention_ll4mi_QKV_mfma16_kernelIDF16_DF16_LN4vllm18Fp8KVCacheDataTypeE0EDF16_Li16ELi128ELi256ELb0ELi8EL8MFMAType0EEvPKT_PKT0_S8_ifPKiSA_SA_iPKfiiiPfSD_PS3_PT2_iSC_SC_.kd
    .uniform_work_group_size: 1
    .uses_dynamic_stack: false
    .vgpr_count:     96
    .vgpr_spill_count: 1
    .wavefront_size: 64
  - .agpr_count:     0
    .args:
      - .actual_access:  read_only
        .address_space:  global
        .offset:         0
        .size:           8
        .value_kind:     global_buffer
      - .actual_access:  read_only
        .address_space:  global
        .offset:         8
        .size:           8
        .value_kind:     global_buffer
      - .actual_access:  read_only
        .address_space:  global
        .offset:         16
        .size:           8
        .value_kind:     global_buffer
      - .offset:         24
        .size:           4
        .value_kind:     by_value
      - .offset:         28
        .size:           4
        .value_kind:     by_value
      - .actual_access:  read_only
        .address_space:  global
        .offset:         32
        .size:           8
        .value_kind:     global_buffer
      - .actual_access:  read_only
        .address_space:  global
        .offset:         40
        .size:           8
        .value_kind:     global_buffer
      - .actual_access:  read_only
        .address_space:  global
        .offset:         48
        .size:           8
        .value_kind:     global_buffer
      - .offset:         56
        .size:           4
        .value_kind:     by_value
      - .actual_access:  read_only
        .address_space:  global
        .offset:         64
        .size:           8
        .value_kind:     global_buffer
      - .offset:         72
        .size:           4
        .value_kind:     by_value
      - .offset:         76
        .size:           4
        .value_kind:     by_value
      - .offset:         80
        .size:           4
        .value_kind:     by_value
      - .actual_access:  write_only
        .address_space:  global
        .offset:         88
        .size:           8
        .value_kind:     global_buffer
      - .actual_access:  write_only
        .address_space:  global
        .offset:         96
        .size:           8
        .value_kind:     global_buffer
      - .actual_access:  write_only
        .address_space:  global
        .offset:         104
        .size:           8
        .value_kind:     global_buffer
      - .actual_access:  read_only
        .address_space:  global
        .offset:         112
        .size:           8
        .value_kind:     global_buffer
      - .offset:         120
        .size:           4
        .value_kind:     by_value
      - .address_space:  global
        .offset:         128
        .size:           8
        .value_kind:     global_buffer
      - .address_space:  global
        .offset:         136
        .size:           8
        .value_kind:     global_buffer
      - .offset:         144
        .size:           4
        .value_kind:     hidden_block_count_x
      - .offset:         148
        .size:           4
        .value_kind:     hidden_block_count_y
      - .offset:         152
        .size:           4
        .value_kind:     hidden_block_count_z
      - .offset:         156
        .size:           2
        .value_kind:     hidden_group_size_x
      - .offset:         158
        .size:           2
        .value_kind:     hidden_group_size_y
      - .offset:         160
        .size:           2
        .value_kind:     hidden_group_size_z
      - .offset:         162
        .size:           2
        .value_kind:     hidden_remainder_x
      - .offset:         164
        .size:           2
        .value_kind:     hidden_remainder_y
      - .offset:         166
        .size:           2
        .value_kind:     hidden_remainder_z
      - .offset:         184
        .size:           8
        .value_kind:     hidden_global_offset_x
      - .offset:         192
        .size:           8
        .value_kind:     hidden_global_offset_y
      - .offset:         200
        .size:           8
        .value_kind:     hidden_global_offset_z
      - .offset:         208
        .size:           2
        .value_kind:     hidden_grid_dims
    .group_segment_fixed_size: 8192
    .kernarg_segment_align: 8
    .kernarg_segment_size: 400
    .language:       OpenCL C
    .language_version:
      - 2
      - 0
    .max_flat_workgroup_size: 256
    .name:           _Z39paged_attention_ll4mi_QKV_mfma16_kernelIDF16_DF16_LN4vllm18Fp8KVCacheDataTypeE0EDF16_Li16ELi128ELi256ELb0ELi9EL8MFMAType0EEvPKT_PKT0_S8_ifPKiSA_SA_iPKfiiiPfSD_PS3_PT2_iSC_SC_
    .private_segment_fixed_size: 8
    .sgpr_count:     52
    .sgpr_spill_count: 0
    .symbol:         _Z39paged_attention_ll4mi_QKV_mfma16_kernelIDF16_DF16_LN4vllm18Fp8KVCacheDataTypeE0EDF16_Li16ELi128ELi256ELb0ELi9EL8MFMAType0EEvPKT_PKT0_S8_ifPKiSA_SA_iPKfiiiPfSD_PS3_PT2_iSC_SC_.kd
    .uniform_work_group_size: 1
    .uses_dynamic_stack: false
    .vgpr_count:     96
    .vgpr_spill_count: 1
    .wavefront_size: 64
  - .agpr_count:     0
    .args:
      - .actual_access:  read_only
        .address_space:  global
        .offset:         0
        .size:           8
        .value_kind:     global_buffer
      - .actual_access:  read_only
        .address_space:  global
        .offset:         8
        .size:           8
        .value_kind:     global_buffer
      - .actual_access:  read_only
        .address_space:  global
        .offset:         16
        .size:           8
        .value_kind:     global_buffer
      - .offset:         24
        .size:           4
        .value_kind:     by_value
      - .offset:         28
        .size:           4
        .value_kind:     by_value
      - .actual_access:  read_only
        .address_space:  global
        .offset:         32
        .size:           8
        .value_kind:     global_buffer
      - .actual_access:  read_only
        .address_space:  global
        .offset:         40
        .size:           8
        .value_kind:     global_buffer
      - .actual_access:  read_only
        .address_space:  global
        .offset:         48
        .size:           8
        .value_kind:     global_buffer
      - .offset:         56
        .size:           4
        .value_kind:     by_value
      - .actual_access:  read_only
        .address_space:  global
        .offset:         64
        .size:           8
        .value_kind:     global_buffer
      - .offset:         72
        .size:           4
        .value_kind:     by_value
      - .offset:         76
        .size:           4
        .value_kind:     by_value
      - .offset:         80
        .size:           4
        .value_kind:     by_value
      - .actual_access:  write_only
        .address_space:  global
        .offset:         88
        .size:           8
        .value_kind:     global_buffer
      - .actual_access:  write_only
        .address_space:  global
        .offset:         96
        .size:           8
        .value_kind:     global_buffer
      - .actual_access:  write_only
        .address_space:  global
        .offset:         104
        .size:           8
        .value_kind:     global_buffer
      - .actual_access:  read_only
        .address_space:  global
        .offset:         112
        .size:           8
        .value_kind:     global_buffer
      - .offset:         120
        .size:           4
        .value_kind:     by_value
      - .address_space:  global
        .offset:         128
        .size:           8
        .value_kind:     global_buffer
      - .address_space:  global
        .offset:         136
        .size:           8
        .value_kind:     global_buffer
      - .offset:         144
        .size:           4
        .value_kind:     hidden_block_count_x
      - .offset:         148
        .size:           4
        .value_kind:     hidden_block_count_y
      - .offset:         152
        .size:           4
        .value_kind:     hidden_block_count_z
      - .offset:         156
        .size:           2
        .value_kind:     hidden_group_size_x
      - .offset:         158
        .size:           2
        .value_kind:     hidden_group_size_y
      - .offset:         160
        .size:           2
        .value_kind:     hidden_group_size_z
      - .offset:         162
        .size:           2
        .value_kind:     hidden_remainder_x
      - .offset:         164
        .size:           2
        .value_kind:     hidden_remainder_y
      - .offset:         166
        .size:           2
        .value_kind:     hidden_remainder_z
      - .offset:         184
        .size:           8
        .value_kind:     hidden_global_offset_x
      - .offset:         192
        .size:           8
        .value_kind:     hidden_global_offset_y
      - .offset:         200
        .size:           8
        .value_kind:     hidden_global_offset_z
      - .offset:         208
        .size:           2
        .value_kind:     hidden_grid_dims
    .group_segment_fixed_size: 8192
    .kernarg_segment_align: 8
    .kernarg_segment_size: 400
    .language:       OpenCL C
    .language_version:
      - 2
      - 0
    .max_flat_workgroup_size: 256
    .name:           _Z39paged_attention_ll4mi_QKV_mfma16_kernelIDF16_DF16_LN4vllm18Fp8KVCacheDataTypeE0EDF16_Li16ELi128ELi256ELb0ELi10EL8MFMAType0EEvPKT_PKT0_S8_ifPKiSA_SA_iPKfiiiPfSD_PS3_PT2_iSC_SC_
    .private_segment_fixed_size: 8
    .sgpr_count:     52
    .sgpr_spill_count: 0
    .symbol:         _Z39paged_attention_ll4mi_QKV_mfma16_kernelIDF16_DF16_LN4vllm18Fp8KVCacheDataTypeE0EDF16_Li16ELi128ELi256ELb0ELi10EL8MFMAType0EEvPKT_PKT0_S8_ifPKiSA_SA_iPKfiiiPfSD_PS3_PT2_iSC_SC_.kd
    .uniform_work_group_size: 1
    .uses_dynamic_stack: false
    .vgpr_count:     96
    .vgpr_spill_count: 1
    .wavefront_size: 64
  - .agpr_count:     0
    .args:
      - .actual_access:  read_only
        .address_space:  global
        .offset:         0
        .size:           8
        .value_kind:     global_buffer
      - .actual_access:  read_only
        .address_space:  global
        .offset:         8
        .size:           8
        .value_kind:     global_buffer
      - .actual_access:  read_only
        .address_space:  global
        .offset:         16
        .size:           8
        .value_kind:     global_buffer
      - .offset:         24
        .size:           4
        .value_kind:     by_value
      - .offset:         28
        .size:           4
        .value_kind:     by_value
      - .actual_access:  read_only
        .address_space:  global
        .offset:         32
        .size:           8
        .value_kind:     global_buffer
      - .actual_access:  read_only
        .address_space:  global
        .offset:         40
        .size:           8
        .value_kind:     global_buffer
      - .actual_access:  read_only
        .address_space:  global
        .offset:         48
        .size:           8
        .value_kind:     global_buffer
      - .offset:         56
        .size:           4
        .value_kind:     by_value
      - .actual_access:  read_only
        .address_space:  global
        .offset:         64
        .size:           8
        .value_kind:     global_buffer
      - .offset:         72
        .size:           4
        .value_kind:     by_value
      - .offset:         76
        .size:           4
        .value_kind:     by_value
      - .offset:         80
        .size:           4
        .value_kind:     by_value
      - .actual_access:  write_only
        .address_space:  global
        .offset:         88
        .size:           8
        .value_kind:     global_buffer
      - .actual_access:  write_only
        .address_space:  global
        .offset:         96
        .size:           8
        .value_kind:     global_buffer
      - .actual_access:  write_only
        .address_space:  global
        .offset:         104
        .size:           8
        .value_kind:     global_buffer
      - .actual_access:  read_only
        .address_space:  global
        .offset:         112
        .size:           8
        .value_kind:     global_buffer
      - .offset:         120
        .size:           4
        .value_kind:     by_value
      - .address_space:  global
        .offset:         128
        .size:           8
        .value_kind:     global_buffer
      - .address_space:  global
        .offset:         136
        .size:           8
        .value_kind:     global_buffer
      - .offset:         144
        .size:           4
        .value_kind:     hidden_block_count_x
      - .offset:         148
        .size:           4
        .value_kind:     hidden_block_count_y
      - .offset:         152
        .size:           4
        .value_kind:     hidden_block_count_z
      - .offset:         156
        .size:           2
        .value_kind:     hidden_group_size_x
      - .offset:         158
        .size:           2
        .value_kind:     hidden_group_size_y
      - .offset:         160
        .size:           2
        .value_kind:     hidden_group_size_z
      - .offset:         162
        .size:           2
        .value_kind:     hidden_remainder_x
      - .offset:         164
        .size:           2
        .value_kind:     hidden_remainder_y
      - .offset:         166
        .size:           2
        .value_kind:     hidden_remainder_z
      - .offset:         184
        .size:           8
        .value_kind:     hidden_global_offset_x
      - .offset:         192
        .size:           8
        .value_kind:     hidden_global_offset_y
      - .offset:         200
        .size:           8
        .value_kind:     hidden_global_offset_z
      - .offset:         208
        .size:           2
        .value_kind:     hidden_grid_dims
    .group_segment_fixed_size: 8192
    .kernarg_segment_align: 8
    .kernarg_segment_size: 400
    .language:       OpenCL C
    .language_version:
      - 2
      - 0
    .max_flat_workgroup_size: 256
    .name:           _Z39paged_attention_ll4mi_QKV_mfma16_kernelIDF16_DF16_LN4vllm18Fp8KVCacheDataTypeE0EDF16_Li16ELi128ELi256ELb0ELi11EL8MFMAType0EEvPKT_PKT0_S8_ifPKiSA_SA_iPKfiiiPfSD_PS3_PT2_iSC_SC_
    .private_segment_fixed_size: 8
    .sgpr_count:     52
    .sgpr_spill_count: 0
    .symbol:         _Z39paged_attention_ll4mi_QKV_mfma16_kernelIDF16_DF16_LN4vllm18Fp8KVCacheDataTypeE0EDF16_Li16ELi128ELi256ELb0ELi11EL8MFMAType0EEvPKT_PKT0_S8_ifPKiSA_SA_iPKfiiiPfSD_PS3_PT2_iSC_SC_.kd
    .uniform_work_group_size: 1
    .uses_dynamic_stack: false
    .vgpr_count:     96
    .vgpr_spill_count: 1
    .wavefront_size: 64
  - .agpr_count:     0
    .args:
      - .actual_access:  read_only
        .address_space:  global
        .offset:         0
        .size:           8
        .value_kind:     global_buffer
      - .actual_access:  read_only
        .address_space:  global
        .offset:         8
        .size:           8
        .value_kind:     global_buffer
      - .actual_access:  read_only
        .address_space:  global
        .offset:         16
        .size:           8
        .value_kind:     global_buffer
      - .offset:         24
        .size:           4
        .value_kind:     by_value
      - .offset:         28
        .size:           4
        .value_kind:     by_value
      - .actual_access:  read_only
        .address_space:  global
        .offset:         32
        .size:           8
        .value_kind:     global_buffer
      - .actual_access:  read_only
        .address_space:  global
        .offset:         40
        .size:           8
        .value_kind:     global_buffer
      - .actual_access:  read_only
        .address_space:  global
        .offset:         48
        .size:           8
        .value_kind:     global_buffer
      - .offset:         56
        .size:           4
        .value_kind:     by_value
      - .actual_access:  read_only
        .address_space:  global
        .offset:         64
        .size:           8
        .value_kind:     global_buffer
      - .offset:         72
        .size:           4
        .value_kind:     by_value
      - .offset:         76
        .size:           4
        .value_kind:     by_value
      - .offset:         80
        .size:           4
        .value_kind:     by_value
      - .actual_access:  write_only
        .address_space:  global
        .offset:         88
        .size:           8
        .value_kind:     global_buffer
      - .actual_access:  write_only
        .address_space:  global
        .offset:         96
        .size:           8
        .value_kind:     global_buffer
      - .actual_access:  write_only
        .address_space:  global
        .offset:         104
        .size:           8
        .value_kind:     global_buffer
      - .actual_access:  read_only
        .address_space:  global
        .offset:         112
        .size:           8
        .value_kind:     global_buffer
      - .offset:         120
        .size:           4
        .value_kind:     by_value
      - .address_space:  global
        .offset:         128
        .size:           8
        .value_kind:     global_buffer
      - .address_space:  global
        .offset:         136
        .size:           8
        .value_kind:     global_buffer
      - .offset:         144
        .size:           4
        .value_kind:     hidden_block_count_x
      - .offset:         148
        .size:           4
        .value_kind:     hidden_block_count_y
      - .offset:         152
        .size:           4
        .value_kind:     hidden_block_count_z
      - .offset:         156
        .size:           2
        .value_kind:     hidden_group_size_x
      - .offset:         158
        .size:           2
        .value_kind:     hidden_group_size_y
      - .offset:         160
        .size:           2
        .value_kind:     hidden_group_size_z
      - .offset:         162
        .size:           2
        .value_kind:     hidden_remainder_x
      - .offset:         164
        .size:           2
        .value_kind:     hidden_remainder_y
      - .offset:         166
        .size:           2
        .value_kind:     hidden_remainder_z
      - .offset:         184
        .size:           8
        .value_kind:     hidden_global_offset_x
      - .offset:         192
        .size:           8
        .value_kind:     hidden_global_offset_y
      - .offset:         200
        .size:           8
        .value_kind:     hidden_global_offset_z
      - .offset:         208
        .size:           2
        .value_kind:     hidden_grid_dims
    .group_segment_fixed_size: 8192
    .kernarg_segment_align: 8
    .kernarg_segment_size: 400
    .language:       OpenCL C
    .language_version:
      - 2
      - 0
    .max_flat_workgroup_size: 256
    .name:           _Z39paged_attention_ll4mi_QKV_mfma16_kernelIDF16_DF16_LN4vllm18Fp8KVCacheDataTypeE0EDF16_Li16ELi128ELi256ELb0ELi12EL8MFMAType0EEvPKT_PKT0_S8_ifPKiSA_SA_iPKfiiiPfSD_PS3_PT2_iSC_SC_
    .private_segment_fixed_size: 8
    .sgpr_count:     52
    .sgpr_spill_count: 0
    .symbol:         _Z39paged_attention_ll4mi_QKV_mfma16_kernelIDF16_DF16_LN4vllm18Fp8KVCacheDataTypeE0EDF16_Li16ELi128ELi256ELb0ELi12EL8MFMAType0EEvPKT_PKT0_S8_ifPKiSA_SA_iPKfiiiPfSD_PS3_PT2_iSC_SC_.kd
    .uniform_work_group_size: 1
    .uses_dynamic_stack: false
    .vgpr_count:     96
    .vgpr_spill_count: 1
    .wavefront_size: 64
  - .agpr_count:     0
    .args:
      - .actual_access:  read_only
        .address_space:  global
        .offset:         0
        .size:           8
        .value_kind:     global_buffer
      - .actual_access:  read_only
        .address_space:  global
        .offset:         8
        .size:           8
        .value_kind:     global_buffer
      - .actual_access:  read_only
        .address_space:  global
        .offset:         16
        .size:           8
        .value_kind:     global_buffer
      - .offset:         24
        .size:           4
        .value_kind:     by_value
      - .offset:         28
        .size:           4
        .value_kind:     by_value
      - .actual_access:  read_only
        .address_space:  global
        .offset:         32
        .size:           8
        .value_kind:     global_buffer
      - .actual_access:  read_only
        .address_space:  global
        .offset:         40
        .size:           8
        .value_kind:     global_buffer
      - .actual_access:  read_only
        .address_space:  global
        .offset:         48
        .size:           8
        .value_kind:     global_buffer
      - .offset:         56
        .size:           4
        .value_kind:     by_value
      - .actual_access:  read_only
        .address_space:  global
        .offset:         64
        .size:           8
        .value_kind:     global_buffer
      - .offset:         72
        .size:           4
        .value_kind:     by_value
      - .offset:         76
        .size:           4
        .value_kind:     by_value
      - .offset:         80
        .size:           4
        .value_kind:     by_value
      - .actual_access:  write_only
        .address_space:  global
        .offset:         88
        .size:           8
        .value_kind:     global_buffer
      - .actual_access:  write_only
        .address_space:  global
        .offset:         96
        .size:           8
        .value_kind:     global_buffer
      - .actual_access:  write_only
        .address_space:  global
        .offset:         104
        .size:           8
        .value_kind:     global_buffer
      - .actual_access:  read_only
        .address_space:  global
        .offset:         112
        .size:           8
        .value_kind:     global_buffer
      - .offset:         120
        .size:           4
        .value_kind:     by_value
      - .address_space:  global
        .offset:         128
        .size:           8
        .value_kind:     global_buffer
      - .address_space:  global
        .offset:         136
        .size:           8
        .value_kind:     global_buffer
      - .offset:         144
        .size:           4
        .value_kind:     hidden_block_count_x
      - .offset:         148
        .size:           4
        .value_kind:     hidden_block_count_y
      - .offset:         152
        .size:           4
        .value_kind:     hidden_block_count_z
      - .offset:         156
        .size:           2
        .value_kind:     hidden_group_size_x
      - .offset:         158
        .size:           2
        .value_kind:     hidden_group_size_y
      - .offset:         160
        .size:           2
        .value_kind:     hidden_group_size_z
      - .offset:         162
        .size:           2
        .value_kind:     hidden_remainder_x
      - .offset:         164
        .size:           2
        .value_kind:     hidden_remainder_y
      - .offset:         166
        .size:           2
        .value_kind:     hidden_remainder_z
      - .offset:         184
        .size:           8
        .value_kind:     hidden_global_offset_x
      - .offset:         192
        .size:           8
        .value_kind:     hidden_global_offset_y
      - .offset:         200
        .size:           8
        .value_kind:     hidden_global_offset_z
      - .offset:         208
        .size:           2
        .value_kind:     hidden_grid_dims
    .group_segment_fixed_size: 8192
    .kernarg_segment_align: 8
    .kernarg_segment_size: 400
    .language:       OpenCL C
    .language_version:
      - 2
      - 0
    .max_flat_workgroup_size: 256
    .name:           _Z39paged_attention_ll4mi_QKV_mfma16_kernelIDF16_DF16_LN4vllm18Fp8KVCacheDataTypeE0EDF16_Li16ELi128ELi256ELb0ELi13EL8MFMAType0EEvPKT_PKT0_S8_ifPKiSA_SA_iPKfiiiPfSD_PS3_PT2_iSC_SC_
    .private_segment_fixed_size: 8
    .sgpr_count:     52
    .sgpr_spill_count: 0
    .symbol:         _Z39paged_attention_ll4mi_QKV_mfma16_kernelIDF16_DF16_LN4vllm18Fp8KVCacheDataTypeE0EDF16_Li16ELi128ELi256ELb0ELi13EL8MFMAType0EEvPKT_PKT0_S8_ifPKiSA_SA_iPKfiiiPfSD_PS3_PT2_iSC_SC_.kd
    .uniform_work_group_size: 1
    .uses_dynamic_stack: false
    .vgpr_count:     96
    .vgpr_spill_count: 1
    .wavefront_size: 64
  - .agpr_count:     0
    .args:
      - .actual_access:  read_only
        .address_space:  global
        .offset:         0
        .size:           8
        .value_kind:     global_buffer
      - .actual_access:  read_only
        .address_space:  global
        .offset:         8
        .size:           8
        .value_kind:     global_buffer
      - .actual_access:  read_only
        .address_space:  global
        .offset:         16
        .size:           8
        .value_kind:     global_buffer
      - .offset:         24
        .size:           4
        .value_kind:     by_value
      - .offset:         28
        .size:           4
        .value_kind:     by_value
      - .actual_access:  read_only
        .address_space:  global
        .offset:         32
        .size:           8
        .value_kind:     global_buffer
      - .actual_access:  read_only
        .address_space:  global
        .offset:         40
        .size:           8
        .value_kind:     global_buffer
      - .actual_access:  read_only
        .address_space:  global
        .offset:         48
        .size:           8
        .value_kind:     global_buffer
      - .offset:         56
        .size:           4
        .value_kind:     by_value
      - .actual_access:  read_only
        .address_space:  global
        .offset:         64
        .size:           8
        .value_kind:     global_buffer
      - .offset:         72
        .size:           4
        .value_kind:     by_value
      - .offset:         76
        .size:           4
        .value_kind:     by_value
      - .offset:         80
        .size:           4
        .value_kind:     by_value
      - .actual_access:  write_only
        .address_space:  global
        .offset:         88
        .size:           8
        .value_kind:     global_buffer
      - .actual_access:  write_only
        .address_space:  global
        .offset:         96
        .size:           8
        .value_kind:     global_buffer
      - .actual_access:  write_only
        .address_space:  global
        .offset:         104
        .size:           8
        .value_kind:     global_buffer
      - .actual_access:  read_only
        .address_space:  global
        .offset:         112
        .size:           8
        .value_kind:     global_buffer
      - .offset:         120
        .size:           4
        .value_kind:     by_value
      - .address_space:  global
        .offset:         128
        .size:           8
        .value_kind:     global_buffer
      - .address_space:  global
        .offset:         136
        .size:           8
        .value_kind:     global_buffer
      - .offset:         144
        .size:           4
        .value_kind:     hidden_block_count_x
      - .offset:         148
        .size:           4
        .value_kind:     hidden_block_count_y
      - .offset:         152
        .size:           4
        .value_kind:     hidden_block_count_z
      - .offset:         156
        .size:           2
        .value_kind:     hidden_group_size_x
      - .offset:         158
        .size:           2
        .value_kind:     hidden_group_size_y
      - .offset:         160
        .size:           2
        .value_kind:     hidden_group_size_z
      - .offset:         162
        .size:           2
        .value_kind:     hidden_remainder_x
      - .offset:         164
        .size:           2
        .value_kind:     hidden_remainder_y
      - .offset:         166
        .size:           2
        .value_kind:     hidden_remainder_z
      - .offset:         184
        .size:           8
        .value_kind:     hidden_global_offset_x
      - .offset:         192
        .size:           8
        .value_kind:     hidden_global_offset_y
      - .offset:         200
        .size:           8
        .value_kind:     hidden_global_offset_z
      - .offset:         208
        .size:           2
        .value_kind:     hidden_grid_dims
    .group_segment_fixed_size: 8192
    .kernarg_segment_align: 8
    .kernarg_segment_size: 400
    .language:       OpenCL C
    .language_version:
      - 2
      - 0
    .max_flat_workgroup_size: 256
    .name:           _Z39paged_attention_ll4mi_QKV_mfma16_kernelIDF16_DF16_LN4vllm18Fp8KVCacheDataTypeE0EDF16_Li16ELi128ELi256ELb0ELi14EL8MFMAType0EEvPKT_PKT0_S8_ifPKiSA_SA_iPKfiiiPfSD_PS3_PT2_iSC_SC_
    .private_segment_fixed_size: 8
    .sgpr_count:     52
    .sgpr_spill_count: 0
    .symbol:         _Z39paged_attention_ll4mi_QKV_mfma16_kernelIDF16_DF16_LN4vllm18Fp8KVCacheDataTypeE0EDF16_Li16ELi128ELi256ELb0ELi14EL8MFMAType0EEvPKT_PKT0_S8_ifPKiSA_SA_iPKfiiiPfSD_PS3_PT2_iSC_SC_.kd
    .uniform_work_group_size: 1
    .uses_dynamic_stack: false
    .vgpr_count:     96
    .vgpr_spill_count: 1
    .wavefront_size: 64
  - .agpr_count:     0
    .args:
      - .actual_access:  read_only
        .address_space:  global
        .offset:         0
        .size:           8
        .value_kind:     global_buffer
      - .actual_access:  read_only
        .address_space:  global
        .offset:         8
        .size:           8
        .value_kind:     global_buffer
      - .actual_access:  read_only
        .address_space:  global
        .offset:         16
        .size:           8
        .value_kind:     global_buffer
      - .offset:         24
        .size:           4
        .value_kind:     by_value
      - .offset:         28
        .size:           4
        .value_kind:     by_value
      - .actual_access:  read_only
        .address_space:  global
        .offset:         32
        .size:           8
        .value_kind:     global_buffer
      - .actual_access:  read_only
        .address_space:  global
        .offset:         40
        .size:           8
        .value_kind:     global_buffer
      - .actual_access:  read_only
        .address_space:  global
        .offset:         48
        .size:           8
        .value_kind:     global_buffer
      - .offset:         56
        .size:           4
        .value_kind:     by_value
      - .actual_access:  read_only
        .address_space:  global
        .offset:         64
        .size:           8
        .value_kind:     global_buffer
      - .offset:         72
        .size:           4
        .value_kind:     by_value
      - .offset:         76
        .size:           4
        .value_kind:     by_value
      - .offset:         80
        .size:           4
        .value_kind:     by_value
      - .actual_access:  write_only
        .address_space:  global
        .offset:         88
        .size:           8
        .value_kind:     global_buffer
      - .actual_access:  write_only
        .address_space:  global
        .offset:         96
        .size:           8
        .value_kind:     global_buffer
      - .actual_access:  write_only
        .address_space:  global
        .offset:         104
        .size:           8
        .value_kind:     global_buffer
      - .actual_access:  read_only
        .address_space:  global
        .offset:         112
        .size:           8
        .value_kind:     global_buffer
      - .offset:         120
        .size:           4
        .value_kind:     by_value
      - .address_space:  global
        .offset:         128
        .size:           8
        .value_kind:     global_buffer
      - .address_space:  global
        .offset:         136
        .size:           8
        .value_kind:     global_buffer
      - .offset:         144
        .size:           4
        .value_kind:     hidden_block_count_x
      - .offset:         148
        .size:           4
        .value_kind:     hidden_block_count_y
      - .offset:         152
        .size:           4
        .value_kind:     hidden_block_count_z
      - .offset:         156
        .size:           2
        .value_kind:     hidden_group_size_x
      - .offset:         158
        .size:           2
        .value_kind:     hidden_group_size_y
      - .offset:         160
        .size:           2
        .value_kind:     hidden_group_size_z
      - .offset:         162
        .size:           2
        .value_kind:     hidden_remainder_x
      - .offset:         164
        .size:           2
        .value_kind:     hidden_remainder_y
      - .offset:         166
        .size:           2
        .value_kind:     hidden_remainder_z
      - .offset:         184
        .size:           8
        .value_kind:     hidden_global_offset_x
      - .offset:         192
        .size:           8
        .value_kind:     hidden_global_offset_y
      - .offset:         200
        .size:           8
        .value_kind:     hidden_global_offset_z
      - .offset:         208
        .size:           2
        .value_kind:     hidden_grid_dims
    .group_segment_fixed_size: 8192
    .kernarg_segment_align: 8
    .kernarg_segment_size: 400
    .language:       OpenCL C
    .language_version:
      - 2
      - 0
    .max_flat_workgroup_size: 256
    .name:           _Z39paged_attention_ll4mi_QKV_mfma16_kernelIDF16_DF16_LN4vllm18Fp8KVCacheDataTypeE0EDF16_Li16ELi128ELi256ELb0ELi15EL8MFMAType0EEvPKT_PKT0_S8_ifPKiSA_SA_iPKfiiiPfSD_PS3_PT2_iSC_SC_
    .private_segment_fixed_size: 8
    .sgpr_count:     52
    .sgpr_spill_count: 0
    .symbol:         _Z39paged_attention_ll4mi_QKV_mfma16_kernelIDF16_DF16_LN4vllm18Fp8KVCacheDataTypeE0EDF16_Li16ELi128ELi256ELb0ELi15EL8MFMAType0EEvPKT_PKT0_S8_ifPKiSA_SA_iPKfiiiPfSD_PS3_PT2_iSC_SC_.kd
    .uniform_work_group_size: 1
    .uses_dynamic_stack: false
    .vgpr_count:     96
    .vgpr_spill_count: 1
    .wavefront_size: 64
  - .agpr_count:     0
    .args:
      - .actual_access:  read_only
        .address_space:  global
        .offset:         0
        .size:           8
        .value_kind:     global_buffer
      - .actual_access:  read_only
        .address_space:  global
        .offset:         8
        .size:           8
        .value_kind:     global_buffer
      - .actual_access:  read_only
        .address_space:  global
        .offset:         16
        .size:           8
        .value_kind:     global_buffer
      - .offset:         24
        .size:           4
        .value_kind:     by_value
      - .offset:         28
        .size:           4
        .value_kind:     by_value
      - .actual_access:  read_only
        .address_space:  global
        .offset:         32
        .size:           8
        .value_kind:     global_buffer
      - .actual_access:  read_only
        .address_space:  global
        .offset:         40
        .size:           8
        .value_kind:     global_buffer
      - .actual_access:  read_only
        .address_space:  global
        .offset:         48
        .size:           8
        .value_kind:     global_buffer
      - .offset:         56
        .size:           4
        .value_kind:     by_value
      - .actual_access:  read_only
        .address_space:  global
        .offset:         64
        .size:           8
        .value_kind:     global_buffer
      - .offset:         72
        .size:           4
        .value_kind:     by_value
      - .offset:         76
        .size:           4
        .value_kind:     by_value
      - .offset:         80
        .size:           4
        .value_kind:     by_value
      - .actual_access:  write_only
        .address_space:  global
        .offset:         88
        .size:           8
        .value_kind:     global_buffer
      - .actual_access:  write_only
        .address_space:  global
        .offset:         96
        .size:           8
        .value_kind:     global_buffer
      - .actual_access:  write_only
        .address_space:  global
        .offset:         104
        .size:           8
        .value_kind:     global_buffer
      - .actual_access:  read_only
        .address_space:  global
        .offset:         112
        .size:           8
        .value_kind:     global_buffer
      - .offset:         120
        .size:           4
        .value_kind:     by_value
      - .address_space:  global
        .offset:         128
        .size:           8
        .value_kind:     global_buffer
      - .address_space:  global
        .offset:         136
        .size:           8
        .value_kind:     global_buffer
      - .offset:         144
        .size:           4
        .value_kind:     hidden_block_count_x
      - .offset:         148
        .size:           4
        .value_kind:     hidden_block_count_y
      - .offset:         152
        .size:           4
        .value_kind:     hidden_block_count_z
      - .offset:         156
        .size:           2
        .value_kind:     hidden_group_size_x
      - .offset:         158
        .size:           2
        .value_kind:     hidden_group_size_y
      - .offset:         160
        .size:           2
        .value_kind:     hidden_group_size_z
      - .offset:         162
        .size:           2
        .value_kind:     hidden_remainder_x
      - .offset:         164
        .size:           2
        .value_kind:     hidden_remainder_y
      - .offset:         166
        .size:           2
        .value_kind:     hidden_remainder_z
      - .offset:         184
        .size:           8
        .value_kind:     hidden_global_offset_x
      - .offset:         192
        .size:           8
        .value_kind:     hidden_global_offset_y
      - .offset:         200
        .size:           8
        .value_kind:     hidden_global_offset_z
      - .offset:         208
        .size:           2
        .value_kind:     hidden_grid_dims
    .group_segment_fixed_size: 8192
    .kernarg_segment_align: 8
    .kernarg_segment_size: 400
    .language:       OpenCL C
    .language_version:
      - 2
      - 0
    .max_flat_workgroup_size: 256
    .name:           _Z39paged_attention_ll4mi_QKV_mfma16_kernelIDF16_DF16_LN4vllm18Fp8KVCacheDataTypeE0EDF16_Li16ELi128ELi256ELb0ELi16EL8MFMAType0EEvPKT_PKT0_S8_ifPKiSA_SA_iPKfiiiPfSD_PS3_PT2_iSC_SC_
    .private_segment_fixed_size: 12
    .sgpr_count:     52
    .sgpr_spill_count: 0
    .symbol:         _Z39paged_attention_ll4mi_QKV_mfma16_kernelIDF16_DF16_LN4vllm18Fp8KVCacheDataTypeE0EDF16_Li16ELi128ELi256ELb0ELi16EL8MFMAType0EEvPKT_PKT0_S8_ifPKiSA_SA_iPKfiiiPfSD_PS3_PT2_iSC_SC_.kd
    .uniform_work_group_size: 1
    .uses_dynamic_stack: false
    .vgpr_count:     96
    .vgpr_spill_count: 2
    .wavefront_size: 64
  - .agpr_count:     0
    .args:
      - .actual_access:  read_only
        .address_space:  global
        .offset:         0
        .size:           8
        .value_kind:     global_buffer
      - .actual_access:  read_only
        .address_space:  global
        .offset:         8
        .size:           8
        .value_kind:     global_buffer
      - .actual_access:  read_only
        .address_space:  global
        .offset:         16
        .size:           8
        .value_kind:     global_buffer
      - .offset:         24
        .size:           4
        .value_kind:     by_value
      - .offset:         28
        .size:           4
        .value_kind:     by_value
      - .actual_access:  read_only
        .address_space:  global
        .offset:         32
        .size:           8
        .value_kind:     global_buffer
      - .actual_access:  read_only
        .address_space:  global
        .offset:         40
        .size:           8
        .value_kind:     global_buffer
      - .actual_access:  read_only
        .address_space:  global
        .offset:         48
        .size:           8
        .value_kind:     global_buffer
      - .offset:         56
        .size:           4
        .value_kind:     by_value
      - .actual_access:  read_only
        .address_space:  global
        .offset:         64
        .size:           8
        .value_kind:     global_buffer
      - .offset:         72
        .size:           4
        .value_kind:     by_value
      - .offset:         76
        .size:           4
        .value_kind:     by_value
      - .offset:         80
        .size:           4
        .value_kind:     by_value
      - .actual_access:  write_only
        .address_space:  global
        .offset:         88
        .size:           8
        .value_kind:     global_buffer
      - .actual_access:  write_only
        .address_space:  global
        .offset:         96
        .size:           8
        .value_kind:     global_buffer
      - .actual_access:  write_only
        .address_space:  global
        .offset:         104
        .size:           8
        .value_kind:     global_buffer
      - .actual_access:  read_only
        .address_space:  global
        .offset:         112
        .size:           8
        .value_kind:     global_buffer
      - .offset:         120
        .size:           4
        .value_kind:     by_value
      - .address_space:  global
        .offset:         128
        .size:           8
        .value_kind:     global_buffer
      - .address_space:  global
        .offset:         136
        .size:           8
        .value_kind:     global_buffer
      - .offset:         144
        .size:           4
        .value_kind:     hidden_block_count_x
      - .offset:         148
        .size:           4
        .value_kind:     hidden_block_count_y
      - .offset:         152
        .size:           4
        .value_kind:     hidden_block_count_z
      - .offset:         156
        .size:           2
        .value_kind:     hidden_group_size_x
      - .offset:         158
        .size:           2
        .value_kind:     hidden_group_size_y
      - .offset:         160
        .size:           2
        .value_kind:     hidden_group_size_z
      - .offset:         162
        .size:           2
        .value_kind:     hidden_remainder_x
      - .offset:         164
        .size:           2
        .value_kind:     hidden_remainder_y
      - .offset:         166
        .size:           2
        .value_kind:     hidden_remainder_z
      - .offset:         184
        .size:           8
        .value_kind:     hidden_global_offset_x
      - .offset:         192
        .size:           8
        .value_kind:     hidden_global_offset_y
      - .offset:         200
        .size:           8
        .value_kind:     hidden_global_offset_z
      - .offset:         208
        .size:           2
        .value_kind:     hidden_grid_dims
    .group_segment_fixed_size: 8192
    .kernarg_segment_align: 8
    .kernarg_segment_size: 400
    .language:       OpenCL C
    .language_version:
      - 2
      - 0
    .max_flat_workgroup_size: 256
    .name:           _Z39paged_attention_ll4mi_QKV_mfma16_kernelIDF16_DF16_LN4vllm18Fp8KVCacheDataTypeE0EDF16_Li16ELi128ELi256ELb0ELi1EL8MFMAType0EEvPKT_PKT0_S8_ifPKiSA_SA_iPKfiiiPfSD_PS3_PT2_iSC_SC_
    .private_segment_fixed_size: 8
    .sgpr_count:     52
    .sgpr_spill_count: 0
    .symbol:         _Z39paged_attention_ll4mi_QKV_mfma16_kernelIDF16_DF16_LN4vllm18Fp8KVCacheDataTypeE0EDF16_Li16ELi128ELi256ELb0ELi1EL8MFMAType0EEvPKT_PKT0_S8_ifPKiSA_SA_iPKfiiiPfSD_PS3_PT2_iSC_SC_.kd
    .uniform_work_group_size: 1
    .uses_dynamic_stack: false
    .vgpr_count:     96
    .vgpr_spill_count: 1
    .wavefront_size: 64
  - .agpr_count:     0
    .args:
      - .actual_access:  read_only
        .address_space:  global
        .offset:         0
        .size:           8
        .value_kind:     global_buffer
      - .actual_access:  read_only
        .address_space:  global
        .offset:         8
        .size:           8
        .value_kind:     global_buffer
      - .actual_access:  read_only
        .address_space:  global
        .offset:         16
        .size:           8
        .value_kind:     global_buffer
      - .offset:         24
        .size:           4
        .value_kind:     by_value
      - .offset:         28
        .size:           4
        .value_kind:     by_value
      - .actual_access:  read_only
        .address_space:  global
        .offset:         32
        .size:           8
        .value_kind:     global_buffer
      - .actual_access:  read_only
        .address_space:  global
        .offset:         40
        .size:           8
        .value_kind:     global_buffer
      - .actual_access:  read_only
        .address_space:  global
        .offset:         48
        .size:           8
        .value_kind:     global_buffer
      - .offset:         56
        .size:           4
        .value_kind:     by_value
      - .actual_access:  read_only
        .address_space:  global
        .offset:         64
        .size:           8
        .value_kind:     global_buffer
      - .offset:         72
        .size:           4
        .value_kind:     by_value
      - .offset:         76
        .size:           4
        .value_kind:     by_value
      - .offset:         80
        .size:           4
        .value_kind:     by_value
      - .actual_access:  write_only
        .address_space:  global
        .offset:         88
        .size:           8
        .value_kind:     global_buffer
      - .actual_access:  write_only
        .address_space:  global
        .offset:         96
        .size:           8
        .value_kind:     global_buffer
      - .actual_access:  write_only
        .address_space:  global
        .offset:         104
        .size:           8
        .value_kind:     global_buffer
      - .actual_access:  read_only
        .address_space:  global
        .offset:         112
        .size:           8
        .value_kind:     global_buffer
      - .offset:         120
        .size:           4
        .value_kind:     by_value
      - .address_space:  global
        .offset:         128
        .size:           8
        .value_kind:     global_buffer
      - .address_space:  global
        .offset:         136
        .size:           8
        .value_kind:     global_buffer
      - .offset:         144
        .size:           4
        .value_kind:     hidden_block_count_x
      - .offset:         148
        .size:           4
        .value_kind:     hidden_block_count_y
      - .offset:         152
        .size:           4
        .value_kind:     hidden_block_count_z
      - .offset:         156
        .size:           2
        .value_kind:     hidden_group_size_x
      - .offset:         158
        .size:           2
        .value_kind:     hidden_group_size_y
      - .offset:         160
        .size:           2
        .value_kind:     hidden_group_size_z
      - .offset:         162
        .size:           2
        .value_kind:     hidden_remainder_x
      - .offset:         164
        .size:           2
        .value_kind:     hidden_remainder_y
      - .offset:         166
        .size:           2
        .value_kind:     hidden_remainder_z
      - .offset:         184
        .size:           8
        .value_kind:     hidden_global_offset_x
      - .offset:         192
        .size:           8
        .value_kind:     hidden_global_offset_y
      - .offset:         200
        .size:           8
        .value_kind:     hidden_global_offset_z
      - .offset:         208
        .size:           2
        .value_kind:     hidden_grid_dims
    .group_segment_fixed_size: 8192
    .kernarg_segment_align: 8
    .kernarg_segment_size: 400
    .language:       OpenCL C
    .language_version:
      - 2
      - 0
    .max_flat_workgroup_size: 256
    .name:           _Z39paged_attention_ll4mi_QKV_mfma16_kernelIDF16_DF16_LN4vllm18Fp8KVCacheDataTypeE0EDF16_Li16ELi128ELi256ELb0ELi2EL8MFMAType0EEvPKT_PKT0_S8_ifPKiSA_SA_iPKfiiiPfSD_PS3_PT2_iSC_SC_
    .private_segment_fixed_size: 8
    .sgpr_count:     52
    .sgpr_spill_count: 0
    .symbol:         _Z39paged_attention_ll4mi_QKV_mfma16_kernelIDF16_DF16_LN4vllm18Fp8KVCacheDataTypeE0EDF16_Li16ELi128ELi256ELb0ELi2EL8MFMAType0EEvPKT_PKT0_S8_ifPKiSA_SA_iPKfiiiPfSD_PS3_PT2_iSC_SC_.kd
    .uniform_work_group_size: 1
    .uses_dynamic_stack: false
    .vgpr_count:     96
    .vgpr_spill_count: 1
    .wavefront_size: 64
  - .agpr_count:     0
    .args:
      - .actual_access:  read_only
        .address_space:  global
        .offset:         0
        .size:           8
        .value_kind:     global_buffer
      - .actual_access:  read_only
        .address_space:  global
        .offset:         8
        .size:           8
        .value_kind:     global_buffer
      - .actual_access:  read_only
        .address_space:  global
        .offset:         16
        .size:           8
        .value_kind:     global_buffer
      - .offset:         24
        .size:           4
        .value_kind:     by_value
      - .offset:         28
        .size:           4
        .value_kind:     by_value
      - .actual_access:  read_only
        .address_space:  global
        .offset:         32
        .size:           8
        .value_kind:     global_buffer
      - .actual_access:  read_only
        .address_space:  global
        .offset:         40
        .size:           8
        .value_kind:     global_buffer
      - .actual_access:  read_only
        .address_space:  global
        .offset:         48
        .size:           8
        .value_kind:     global_buffer
      - .offset:         56
        .size:           4
        .value_kind:     by_value
      - .actual_access:  read_only
        .address_space:  global
        .offset:         64
        .size:           8
        .value_kind:     global_buffer
      - .offset:         72
        .size:           4
        .value_kind:     by_value
      - .offset:         76
        .size:           4
        .value_kind:     by_value
      - .offset:         80
        .size:           4
        .value_kind:     by_value
      - .actual_access:  write_only
        .address_space:  global
        .offset:         88
        .size:           8
        .value_kind:     global_buffer
      - .actual_access:  write_only
        .address_space:  global
        .offset:         96
        .size:           8
        .value_kind:     global_buffer
      - .actual_access:  write_only
        .address_space:  global
        .offset:         104
        .size:           8
        .value_kind:     global_buffer
      - .actual_access:  read_only
        .address_space:  global
        .offset:         112
        .size:           8
        .value_kind:     global_buffer
      - .offset:         120
        .size:           4
        .value_kind:     by_value
      - .address_space:  global
        .offset:         128
        .size:           8
        .value_kind:     global_buffer
      - .address_space:  global
        .offset:         136
        .size:           8
        .value_kind:     global_buffer
      - .offset:         144
        .size:           4
        .value_kind:     hidden_block_count_x
      - .offset:         148
        .size:           4
        .value_kind:     hidden_block_count_y
      - .offset:         152
        .size:           4
        .value_kind:     hidden_block_count_z
      - .offset:         156
        .size:           2
        .value_kind:     hidden_group_size_x
      - .offset:         158
        .size:           2
        .value_kind:     hidden_group_size_y
      - .offset:         160
        .size:           2
        .value_kind:     hidden_group_size_z
      - .offset:         162
        .size:           2
        .value_kind:     hidden_remainder_x
      - .offset:         164
        .size:           2
        .value_kind:     hidden_remainder_y
      - .offset:         166
        .size:           2
        .value_kind:     hidden_remainder_z
      - .offset:         184
        .size:           8
        .value_kind:     hidden_global_offset_x
      - .offset:         192
        .size:           8
        .value_kind:     hidden_global_offset_y
      - .offset:         200
        .size:           8
        .value_kind:     hidden_global_offset_z
      - .offset:         208
        .size:           2
        .value_kind:     hidden_grid_dims
    .group_segment_fixed_size: 8192
    .kernarg_segment_align: 8
    .kernarg_segment_size: 400
    .language:       OpenCL C
    .language_version:
      - 2
      - 0
    .max_flat_workgroup_size: 256
    .name:           _Z39paged_attention_ll4mi_QKV_mfma16_kernelIDF16_DF16_LN4vllm18Fp8KVCacheDataTypeE0EDF16_Li16ELi128ELi256ELb0ELi3EL8MFMAType0EEvPKT_PKT0_S8_ifPKiSA_SA_iPKfiiiPfSD_PS3_PT2_iSC_SC_
    .private_segment_fixed_size: 12
    .sgpr_count:     52
    .sgpr_spill_count: 0
    .symbol:         _Z39paged_attention_ll4mi_QKV_mfma16_kernelIDF16_DF16_LN4vllm18Fp8KVCacheDataTypeE0EDF16_Li16ELi128ELi256ELb0ELi3EL8MFMAType0EEvPKT_PKT0_S8_ifPKiSA_SA_iPKfiiiPfSD_PS3_PT2_iSC_SC_.kd
    .uniform_work_group_size: 1
    .uses_dynamic_stack: false
    .vgpr_count:     96
    .vgpr_spill_count: 2
    .wavefront_size: 64
  - .agpr_count:     0
    .args:
      - .actual_access:  read_only
        .address_space:  global
        .offset:         0
        .size:           8
        .value_kind:     global_buffer
      - .actual_access:  read_only
        .address_space:  global
        .offset:         8
        .size:           8
        .value_kind:     global_buffer
      - .actual_access:  read_only
        .address_space:  global
        .offset:         16
        .size:           8
        .value_kind:     global_buffer
      - .offset:         24
        .size:           4
        .value_kind:     by_value
      - .offset:         28
        .size:           4
        .value_kind:     by_value
      - .actual_access:  read_only
        .address_space:  global
        .offset:         32
        .size:           8
        .value_kind:     global_buffer
      - .actual_access:  read_only
        .address_space:  global
        .offset:         40
        .size:           8
        .value_kind:     global_buffer
      - .actual_access:  read_only
        .address_space:  global
        .offset:         48
        .size:           8
        .value_kind:     global_buffer
      - .offset:         56
        .size:           4
        .value_kind:     by_value
      - .actual_access:  read_only
        .address_space:  global
        .offset:         64
        .size:           8
        .value_kind:     global_buffer
      - .offset:         72
        .size:           4
        .value_kind:     by_value
      - .offset:         76
        .size:           4
        .value_kind:     by_value
      - .offset:         80
        .size:           4
        .value_kind:     by_value
      - .actual_access:  write_only
        .address_space:  global
        .offset:         88
        .size:           8
        .value_kind:     global_buffer
      - .actual_access:  write_only
        .address_space:  global
        .offset:         96
        .size:           8
        .value_kind:     global_buffer
      - .actual_access:  write_only
        .address_space:  global
        .offset:         104
        .size:           8
        .value_kind:     global_buffer
      - .actual_access:  read_only
        .address_space:  global
        .offset:         112
        .size:           8
        .value_kind:     global_buffer
      - .offset:         120
        .size:           4
        .value_kind:     by_value
      - .address_space:  global
        .offset:         128
        .size:           8
        .value_kind:     global_buffer
      - .address_space:  global
        .offset:         136
        .size:           8
        .value_kind:     global_buffer
      - .offset:         144
        .size:           4
        .value_kind:     hidden_block_count_x
      - .offset:         148
        .size:           4
        .value_kind:     hidden_block_count_y
      - .offset:         152
        .size:           4
        .value_kind:     hidden_block_count_z
      - .offset:         156
        .size:           2
        .value_kind:     hidden_group_size_x
      - .offset:         158
        .size:           2
        .value_kind:     hidden_group_size_y
      - .offset:         160
        .size:           2
        .value_kind:     hidden_group_size_z
      - .offset:         162
        .size:           2
        .value_kind:     hidden_remainder_x
      - .offset:         164
        .size:           2
        .value_kind:     hidden_remainder_y
      - .offset:         166
        .size:           2
        .value_kind:     hidden_remainder_z
      - .offset:         184
        .size:           8
        .value_kind:     hidden_global_offset_x
      - .offset:         192
        .size:           8
        .value_kind:     hidden_global_offset_y
      - .offset:         200
        .size:           8
        .value_kind:     hidden_global_offset_z
      - .offset:         208
        .size:           2
        .value_kind:     hidden_grid_dims
    .group_segment_fixed_size: 8192
    .kernarg_segment_align: 8
    .kernarg_segment_size: 400
    .language:       OpenCL C
    .language_version:
      - 2
      - 0
    .max_flat_workgroup_size: 256
    .name:           _Z39paged_attention_ll4mi_QKV_mfma16_kernelIDF16_DF16_LN4vllm18Fp8KVCacheDataTypeE0EDF16_Li16ELi128ELi256ELb0ELi4EL8MFMAType0EEvPKT_PKT0_S8_ifPKiSA_SA_iPKfiiiPfSD_PS3_PT2_iSC_SC_
    .private_segment_fixed_size: 16
    .sgpr_count:     52
    .sgpr_spill_count: 0
    .symbol:         _Z39paged_attention_ll4mi_QKV_mfma16_kernelIDF16_DF16_LN4vllm18Fp8KVCacheDataTypeE0EDF16_Li16ELi128ELi256ELb0ELi4EL8MFMAType0EEvPKT_PKT0_S8_ifPKiSA_SA_iPKfiiiPfSD_PS3_PT2_iSC_SC_.kd
    .uniform_work_group_size: 1
    .uses_dynamic_stack: false
    .vgpr_count:     96
    .vgpr_spill_count: 3
    .wavefront_size: 64
  - .agpr_count:     8
    .args:
      - .actual_access:  read_only
        .address_space:  global
        .offset:         0
        .size:           8
        .value_kind:     global_buffer
      - .actual_access:  read_only
        .address_space:  global
        .offset:         8
        .size:           8
        .value_kind:     global_buffer
      - .actual_access:  read_only
        .address_space:  global
        .offset:         16
        .size:           8
        .value_kind:     global_buffer
      - .offset:         24
        .size:           4
        .value_kind:     by_value
      - .offset:         28
        .size:           4
        .value_kind:     by_value
      - .actual_access:  read_only
        .address_space:  global
        .offset:         32
        .size:           8
        .value_kind:     global_buffer
      - .actual_access:  read_only
        .address_space:  global
        .offset:         40
        .size:           8
        .value_kind:     global_buffer
      - .actual_access:  read_only
        .address_space:  global
        .offset:         48
        .size:           8
        .value_kind:     global_buffer
      - .offset:         56
        .size:           4
        .value_kind:     by_value
      - .actual_access:  read_only
        .address_space:  global
        .offset:         64
        .size:           8
        .value_kind:     global_buffer
      - .offset:         72
        .size:           4
        .value_kind:     by_value
      - .offset:         76
        .size:           4
        .value_kind:     by_value
      - .offset:         80
        .size:           4
        .value_kind:     by_value
      - .actual_access:  write_only
        .address_space:  global
        .offset:         88
        .size:           8
        .value_kind:     global_buffer
      - .actual_access:  write_only
        .address_space:  global
        .offset:         96
        .size:           8
        .value_kind:     global_buffer
      - .actual_access:  write_only
        .address_space:  global
        .offset:         104
        .size:           8
        .value_kind:     global_buffer
      - .actual_access:  read_only
        .address_space:  global
        .offset:         112
        .size:           8
        .value_kind:     global_buffer
      - .offset:         120
        .size:           4
        .value_kind:     by_value
      - .address_space:  global
        .offset:         128
        .size:           8
        .value_kind:     global_buffer
      - .address_space:  global
        .offset:         136
        .size:           8
        .value_kind:     global_buffer
      - .offset:         144
        .size:           4
        .value_kind:     hidden_block_count_x
      - .offset:         148
        .size:           4
        .value_kind:     hidden_block_count_y
      - .offset:         152
        .size:           4
        .value_kind:     hidden_block_count_z
      - .offset:         156
        .size:           2
        .value_kind:     hidden_group_size_x
      - .offset:         158
        .size:           2
        .value_kind:     hidden_group_size_y
      - .offset:         160
        .size:           2
        .value_kind:     hidden_group_size_z
      - .offset:         162
        .size:           2
        .value_kind:     hidden_remainder_x
      - .offset:         164
        .size:           2
        .value_kind:     hidden_remainder_y
      - .offset:         166
        .size:           2
        .value_kind:     hidden_remainder_z
      - .offset:         184
        .size:           8
        .value_kind:     hidden_global_offset_x
      - .offset:         192
        .size:           8
        .value_kind:     hidden_global_offset_y
      - .offset:         200
        .size:           8
        .value_kind:     hidden_global_offset_z
      - .offset:         208
        .size:           2
        .value_kind:     hidden_grid_dims
    .group_segment_fixed_size: 5280
    .kernarg_segment_align: 8
    .kernarg_segment_size: 400
    .language:       OpenCL C
    .language_version:
      - 2
      - 0
    .max_flat_workgroup_size: 256
    .name:           _Z38paged_attention_ll4mi_QKV_mfma4_kernelIDF16_DF16_LN4vllm18Fp8KVCacheDataTypeE0EDF16_Li32ELi128ELi256ELb1ELi1EEvPKT_PKT0_S7_ifPKiS9_S9_iPKfiiiPfSC_PS2_PT2_iSB_SB_
    .private_segment_fixed_size: 0
    .sgpr_count:     42
    .sgpr_spill_count: 0
    .symbol:         _Z38paged_attention_ll4mi_QKV_mfma4_kernelIDF16_DF16_LN4vllm18Fp8KVCacheDataTypeE0EDF16_Li32ELi128ELi256ELb1ELi1EEvPKT_PKT0_S7_ifPKiS9_S9_iPKfiiiPfSC_PS2_PT2_iSB_SB_.kd
    .uniform_work_group_size: 1
    .uses_dynamic_stack: false
    .vgpr_count:     96
    .vgpr_spill_count: 0
    .wavefront_size: 64
  - .agpr_count:     8
    .args:
      - .actual_access:  read_only
        .address_space:  global
        .offset:         0
        .size:           8
        .value_kind:     global_buffer
      - .actual_access:  read_only
        .address_space:  global
        .offset:         8
        .size:           8
        .value_kind:     global_buffer
      - .actual_access:  read_only
        .address_space:  global
        .offset:         16
        .size:           8
        .value_kind:     global_buffer
      - .offset:         24
        .size:           4
        .value_kind:     by_value
      - .offset:         28
        .size:           4
        .value_kind:     by_value
      - .actual_access:  read_only
        .address_space:  global
        .offset:         32
        .size:           8
        .value_kind:     global_buffer
      - .actual_access:  read_only
        .address_space:  global
        .offset:         40
        .size:           8
        .value_kind:     global_buffer
      - .actual_access:  read_only
        .address_space:  global
        .offset:         48
        .size:           8
        .value_kind:     global_buffer
      - .offset:         56
        .size:           4
        .value_kind:     by_value
      - .actual_access:  read_only
        .address_space:  global
        .offset:         64
        .size:           8
        .value_kind:     global_buffer
      - .offset:         72
        .size:           4
        .value_kind:     by_value
      - .offset:         76
        .size:           4
        .value_kind:     by_value
      - .offset:         80
        .size:           4
        .value_kind:     by_value
      - .actual_access:  write_only
        .address_space:  global
        .offset:         88
        .size:           8
        .value_kind:     global_buffer
      - .actual_access:  write_only
        .address_space:  global
        .offset:         96
        .size:           8
        .value_kind:     global_buffer
      - .actual_access:  write_only
        .address_space:  global
        .offset:         104
        .size:           8
        .value_kind:     global_buffer
      - .actual_access:  read_only
        .address_space:  global
        .offset:         112
        .size:           8
        .value_kind:     global_buffer
      - .offset:         120
        .size:           4
        .value_kind:     by_value
      - .address_space:  global
        .offset:         128
        .size:           8
        .value_kind:     global_buffer
      - .address_space:  global
        .offset:         136
        .size:           8
        .value_kind:     global_buffer
      - .offset:         144
        .size:           4
        .value_kind:     hidden_block_count_x
      - .offset:         148
        .size:           4
        .value_kind:     hidden_block_count_y
      - .offset:         152
        .size:           4
        .value_kind:     hidden_block_count_z
      - .offset:         156
        .size:           2
        .value_kind:     hidden_group_size_x
      - .offset:         158
        .size:           2
        .value_kind:     hidden_group_size_y
      - .offset:         160
        .size:           2
        .value_kind:     hidden_group_size_z
      - .offset:         162
        .size:           2
        .value_kind:     hidden_remainder_x
      - .offset:         164
        .size:           2
        .value_kind:     hidden_remainder_y
      - .offset:         166
        .size:           2
        .value_kind:     hidden_remainder_z
      - .offset:         184
        .size:           8
        .value_kind:     hidden_global_offset_x
      - .offset:         192
        .size:           8
        .value_kind:     hidden_global_offset_y
      - .offset:         200
        .size:           8
        .value_kind:     hidden_global_offset_z
      - .offset:         208
        .size:           2
        .value_kind:     hidden_grid_dims
    .group_segment_fixed_size: 5280
    .kernarg_segment_align: 8
    .kernarg_segment_size: 400
    .language:       OpenCL C
    .language_version:
      - 2
      - 0
    .max_flat_workgroup_size: 256
    .name:           _Z38paged_attention_ll4mi_QKV_mfma4_kernelIDF16_DF16_LN4vllm18Fp8KVCacheDataTypeE0EDF16_Li32ELi128ELi256ELb1ELi2EEvPKT_PKT0_S7_ifPKiS9_S9_iPKfiiiPfSC_PS2_PT2_iSB_SB_
    .private_segment_fixed_size: 0
    .sgpr_count:     42
    .sgpr_spill_count: 0
    .symbol:         _Z38paged_attention_ll4mi_QKV_mfma4_kernelIDF16_DF16_LN4vllm18Fp8KVCacheDataTypeE0EDF16_Li32ELi128ELi256ELb1ELi2EEvPKT_PKT0_S7_ifPKiS9_S9_iPKfiiiPfSC_PS2_PT2_iSB_SB_.kd
    .uniform_work_group_size: 1
    .uses_dynamic_stack: false
    .vgpr_count:     92
    .vgpr_spill_count: 0
    .wavefront_size: 64
  - .agpr_count:     8
    .args:
      - .actual_access:  read_only
        .address_space:  global
        .offset:         0
        .size:           8
        .value_kind:     global_buffer
      - .actual_access:  read_only
        .address_space:  global
        .offset:         8
        .size:           8
        .value_kind:     global_buffer
      - .actual_access:  read_only
        .address_space:  global
        .offset:         16
        .size:           8
        .value_kind:     global_buffer
      - .offset:         24
        .size:           4
        .value_kind:     by_value
      - .offset:         28
        .size:           4
        .value_kind:     by_value
      - .actual_access:  read_only
        .address_space:  global
        .offset:         32
        .size:           8
        .value_kind:     global_buffer
      - .actual_access:  read_only
        .address_space:  global
        .offset:         40
        .size:           8
        .value_kind:     global_buffer
      - .actual_access:  read_only
        .address_space:  global
        .offset:         48
        .size:           8
        .value_kind:     global_buffer
      - .offset:         56
        .size:           4
        .value_kind:     by_value
      - .actual_access:  read_only
        .address_space:  global
        .offset:         64
        .size:           8
        .value_kind:     global_buffer
      - .offset:         72
        .size:           4
        .value_kind:     by_value
      - .offset:         76
        .size:           4
        .value_kind:     by_value
      - .offset:         80
        .size:           4
        .value_kind:     by_value
      - .actual_access:  write_only
        .address_space:  global
        .offset:         88
        .size:           8
        .value_kind:     global_buffer
      - .actual_access:  write_only
        .address_space:  global
        .offset:         96
        .size:           8
        .value_kind:     global_buffer
      - .actual_access:  write_only
        .address_space:  global
        .offset:         104
        .size:           8
        .value_kind:     global_buffer
      - .actual_access:  read_only
        .address_space:  global
        .offset:         112
        .size:           8
        .value_kind:     global_buffer
      - .offset:         120
        .size:           4
        .value_kind:     by_value
      - .address_space:  global
        .offset:         128
        .size:           8
        .value_kind:     global_buffer
      - .address_space:  global
        .offset:         136
        .size:           8
        .value_kind:     global_buffer
      - .offset:         144
        .size:           4
        .value_kind:     hidden_block_count_x
      - .offset:         148
        .size:           4
        .value_kind:     hidden_block_count_y
      - .offset:         152
        .size:           4
        .value_kind:     hidden_block_count_z
      - .offset:         156
        .size:           2
        .value_kind:     hidden_group_size_x
      - .offset:         158
        .size:           2
        .value_kind:     hidden_group_size_y
      - .offset:         160
        .size:           2
        .value_kind:     hidden_group_size_z
      - .offset:         162
        .size:           2
        .value_kind:     hidden_remainder_x
      - .offset:         164
        .size:           2
        .value_kind:     hidden_remainder_y
      - .offset:         166
        .size:           2
        .value_kind:     hidden_remainder_z
      - .offset:         184
        .size:           8
        .value_kind:     hidden_global_offset_x
      - .offset:         192
        .size:           8
        .value_kind:     hidden_global_offset_y
      - .offset:         200
        .size:           8
        .value_kind:     hidden_global_offset_z
      - .offset:         208
        .size:           2
        .value_kind:     hidden_grid_dims
    .group_segment_fixed_size: 5280
    .kernarg_segment_align: 8
    .kernarg_segment_size: 400
    .language:       OpenCL C
    .language_version:
      - 2
      - 0
    .max_flat_workgroup_size: 256
    .name:           _Z38paged_attention_ll4mi_QKV_mfma4_kernelIDF16_DF16_LN4vllm18Fp8KVCacheDataTypeE0EDF16_Li32ELi128ELi256ELb1ELi3EEvPKT_PKT0_S7_ifPKiS9_S9_iPKfiiiPfSC_PS2_PT2_iSB_SB_
    .private_segment_fixed_size: 0
    .sgpr_count:     42
    .sgpr_spill_count: 0
    .symbol:         _Z38paged_attention_ll4mi_QKV_mfma4_kernelIDF16_DF16_LN4vllm18Fp8KVCacheDataTypeE0EDF16_Li32ELi128ELi256ELb1ELi3EEvPKT_PKT0_S7_ifPKiS9_S9_iPKfiiiPfSC_PS2_PT2_iSB_SB_.kd
    .uniform_work_group_size: 1
    .uses_dynamic_stack: false
    .vgpr_count:     96
    .vgpr_spill_count: 0
    .wavefront_size: 64
  - .agpr_count:     8
    .args:
      - .actual_access:  read_only
        .address_space:  global
        .offset:         0
        .size:           8
        .value_kind:     global_buffer
      - .actual_access:  read_only
        .address_space:  global
        .offset:         8
        .size:           8
        .value_kind:     global_buffer
      - .actual_access:  read_only
        .address_space:  global
        .offset:         16
        .size:           8
        .value_kind:     global_buffer
      - .offset:         24
        .size:           4
        .value_kind:     by_value
      - .offset:         28
        .size:           4
        .value_kind:     by_value
      - .actual_access:  read_only
        .address_space:  global
        .offset:         32
        .size:           8
        .value_kind:     global_buffer
      - .actual_access:  read_only
        .address_space:  global
        .offset:         40
        .size:           8
        .value_kind:     global_buffer
      - .actual_access:  read_only
        .address_space:  global
        .offset:         48
        .size:           8
        .value_kind:     global_buffer
      - .offset:         56
        .size:           4
        .value_kind:     by_value
      - .actual_access:  read_only
        .address_space:  global
        .offset:         64
        .size:           8
        .value_kind:     global_buffer
      - .offset:         72
        .size:           4
        .value_kind:     by_value
      - .offset:         76
        .size:           4
        .value_kind:     by_value
      - .offset:         80
        .size:           4
        .value_kind:     by_value
      - .actual_access:  write_only
        .address_space:  global
        .offset:         88
        .size:           8
        .value_kind:     global_buffer
      - .actual_access:  write_only
        .address_space:  global
        .offset:         96
        .size:           8
        .value_kind:     global_buffer
      - .actual_access:  write_only
        .address_space:  global
        .offset:         104
        .size:           8
        .value_kind:     global_buffer
      - .actual_access:  read_only
        .address_space:  global
        .offset:         112
        .size:           8
        .value_kind:     global_buffer
      - .offset:         120
        .size:           4
        .value_kind:     by_value
      - .address_space:  global
        .offset:         128
        .size:           8
        .value_kind:     global_buffer
      - .address_space:  global
        .offset:         136
        .size:           8
        .value_kind:     global_buffer
      - .offset:         144
        .size:           4
        .value_kind:     hidden_block_count_x
      - .offset:         148
        .size:           4
        .value_kind:     hidden_block_count_y
      - .offset:         152
        .size:           4
        .value_kind:     hidden_block_count_z
      - .offset:         156
        .size:           2
        .value_kind:     hidden_group_size_x
      - .offset:         158
        .size:           2
        .value_kind:     hidden_group_size_y
      - .offset:         160
        .size:           2
        .value_kind:     hidden_group_size_z
      - .offset:         162
        .size:           2
        .value_kind:     hidden_remainder_x
      - .offset:         164
        .size:           2
        .value_kind:     hidden_remainder_y
      - .offset:         166
        .size:           2
        .value_kind:     hidden_remainder_z
      - .offset:         184
        .size:           8
        .value_kind:     hidden_global_offset_x
      - .offset:         192
        .size:           8
        .value_kind:     hidden_global_offset_y
      - .offset:         200
        .size:           8
        .value_kind:     hidden_global_offset_z
      - .offset:         208
        .size:           2
        .value_kind:     hidden_grid_dims
    .group_segment_fixed_size: 5280
    .kernarg_segment_align: 8
    .kernarg_segment_size: 400
    .language:       OpenCL C
    .language_version:
      - 2
      - 0
    .max_flat_workgroup_size: 256
    .name:           _Z38paged_attention_ll4mi_QKV_mfma4_kernelIDF16_DF16_LN4vllm18Fp8KVCacheDataTypeE0EDF16_Li32ELi128ELi256ELb1ELi4EEvPKT_PKT0_S7_ifPKiS9_S9_iPKfiiiPfSC_PS2_PT2_iSB_SB_
    .private_segment_fixed_size: 0
    .sgpr_count:     44
    .sgpr_spill_count: 0
    .symbol:         _Z38paged_attention_ll4mi_QKV_mfma4_kernelIDF16_DF16_LN4vllm18Fp8KVCacheDataTypeE0EDF16_Li32ELi128ELi256ELb1ELi4EEvPKT_PKT0_S7_ifPKiS9_S9_iPKfiiiPfSC_PS2_PT2_iSB_SB_.kd
    .uniform_work_group_size: 1
    .uses_dynamic_stack: false
    .vgpr_count:     100
    .vgpr_spill_count: 0
    .wavefront_size: 64
  - .agpr_count:     0
    .args:
      - .actual_access:  read_only
        .address_space:  global
        .offset:         0
        .size:           8
        .value_kind:     global_buffer
      - .actual_access:  read_only
        .address_space:  global
        .offset:         8
        .size:           8
        .value_kind:     global_buffer
      - .actual_access:  read_only
        .address_space:  global
        .offset:         16
        .size:           8
        .value_kind:     global_buffer
      - .offset:         24
        .size:           4
        .value_kind:     by_value
      - .offset:         28
        .size:           4
        .value_kind:     by_value
      - .actual_access:  read_only
        .address_space:  global
        .offset:         32
        .size:           8
        .value_kind:     global_buffer
      - .actual_access:  read_only
        .address_space:  global
        .offset:         40
        .size:           8
        .value_kind:     global_buffer
      - .actual_access:  read_only
        .address_space:  global
        .offset:         48
        .size:           8
        .value_kind:     global_buffer
      - .offset:         56
        .size:           4
        .value_kind:     by_value
      - .actual_access:  read_only
        .address_space:  global
        .offset:         64
        .size:           8
        .value_kind:     global_buffer
      - .offset:         72
        .size:           4
        .value_kind:     by_value
      - .offset:         76
        .size:           4
        .value_kind:     by_value
      - .offset:         80
        .size:           4
        .value_kind:     by_value
      - .actual_access:  write_only
        .address_space:  global
        .offset:         88
        .size:           8
        .value_kind:     global_buffer
      - .actual_access:  write_only
        .address_space:  global
        .offset:         96
        .size:           8
        .value_kind:     global_buffer
      - .actual_access:  write_only
        .address_space:  global
        .offset:         104
        .size:           8
        .value_kind:     global_buffer
      - .actual_access:  read_only
        .address_space:  global
        .offset:         112
        .size:           8
        .value_kind:     global_buffer
      - .offset:         120
        .size:           4
        .value_kind:     by_value
      - .address_space:  global
        .offset:         128
        .size:           8
        .value_kind:     global_buffer
      - .address_space:  global
        .offset:         136
        .size:           8
        .value_kind:     global_buffer
      - .offset:         144
        .size:           4
        .value_kind:     hidden_block_count_x
      - .offset:         148
        .size:           4
        .value_kind:     hidden_block_count_y
      - .offset:         152
        .size:           4
        .value_kind:     hidden_block_count_z
      - .offset:         156
        .size:           2
        .value_kind:     hidden_group_size_x
      - .offset:         158
        .size:           2
        .value_kind:     hidden_group_size_y
      - .offset:         160
        .size:           2
        .value_kind:     hidden_group_size_z
      - .offset:         162
        .size:           2
        .value_kind:     hidden_remainder_x
      - .offset:         164
        .size:           2
        .value_kind:     hidden_remainder_y
      - .offset:         166
        .size:           2
        .value_kind:     hidden_remainder_z
      - .offset:         184
        .size:           8
        .value_kind:     hidden_global_offset_x
      - .offset:         192
        .size:           8
        .value_kind:     hidden_global_offset_y
      - .offset:         200
        .size:           8
        .value_kind:     hidden_global_offset_z
      - .offset:         208
        .size:           2
        .value_kind:     hidden_grid_dims
    .group_segment_fixed_size: 8192
    .kernarg_segment_align: 8
    .kernarg_segment_size: 400
    .language:       OpenCL C
    .language_version:
      - 2
      - 0
    .max_flat_workgroup_size: 256
    .name:           _Z39paged_attention_ll4mi_QKV_mfma16_kernelIDF16_DF16_LN4vllm18Fp8KVCacheDataTypeE0EDF16_Li32ELi128ELi256ELb1ELi5EL8MFMAType0EEvPKT_PKT0_S8_ifPKiSA_SA_iPKfiiiPfSD_PS3_PT2_iSC_SC_
    .private_segment_fixed_size: 12
    .sgpr_count:     52
    .sgpr_spill_count: 0
    .symbol:         _Z39paged_attention_ll4mi_QKV_mfma16_kernelIDF16_DF16_LN4vllm18Fp8KVCacheDataTypeE0EDF16_Li32ELi128ELi256ELb1ELi5EL8MFMAType0EEvPKT_PKT0_S8_ifPKiSA_SA_iPKfiiiPfSD_PS3_PT2_iSC_SC_.kd
    .uniform_work_group_size: 1
    .uses_dynamic_stack: false
    .vgpr_count:     96
    .vgpr_spill_count: 2
    .wavefront_size: 64
  - .agpr_count:     0
    .args:
      - .actual_access:  read_only
        .address_space:  global
        .offset:         0
        .size:           8
        .value_kind:     global_buffer
      - .actual_access:  read_only
        .address_space:  global
        .offset:         8
        .size:           8
        .value_kind:     global_buffer
      - .actual_access:  read_only
        .address_space:  global
        .offset:         16
        .size:           8
        .value_kind:     global_buffer
      - .offset:         24
        .size:           4
        .value_kind:     by_value
      - .offset:         28
        .size:           4
        .value_kind:     by_value
      - .actual_access:  read_only
        .address_space:  global
        .offset:         32
        .size:           8
        .value_kind:     global_buffer
      - .actual_access:  read_only
        .address_space:  global
        .offset:         40
        .size:           8
        .value_kind:     global_buffer
      - .actual_access:  read_only
        .address_space:  global
        .offset:         48
        .size:           8
        .value_kind:     global_buffer
      - .offset:         56
        .size:           4
        .value_kind:     by_value
      - .actual_access:  read_only
        .address_space:  global
        .offset:         64
        .size:           8
        .value_kind:     global_buffer
      - .offset:         72
        .size:           4
        .value_kind:     by_value
      - .offset:         76
        .size:           4
        .value_kind:     by_value
      - .offset:         80
        .size:           4
        .value_kind:     by_value
      - .actual_access:  write_only
        .address_space:  global
        .offset:         88
        .size:           8
        .value_kind:     global_buffer
      - .actual_access:  write_only
        .address_space:  global
        .offset:         96
        .size:           8
        .value_kind:     global_buffer
      - .actual_access:  write_only
        .address_space:  global
        .offset:         104
        .size:           8
        .value_kind:     global_buffer
      - .actual_access:  read_only
        .address_space:  global
        .offset:         112
        .size:           8
        .value_kind:     global_buffer
      - .offset:         120
        .size:           4
        .value_kind:     by_value
      - .address_space:  global
        .offset:         128
        .size:           8
        .value_kind:     global_buffer
      - .address_space:  global
        .offset:         136
        .size:           8
        .value_kind:     global_buffer
      - .offset:         144
        .size:           4
        .value_kind:     hidden_block_count_x
      - .offset:         148
        .size:           4
        .value_kind:     hidden_block_count_y
      - .offset:         152
        .size:           4
        .value_kind:     hidden_block_count_z
      - .offset:         156
        .size:           2
        .value_kind:     hidden_group_size_x
      - .offset:         158
        .size:           2
        .value_kind:     hidden_group_size_y
      - .offset:         160
        .size:           2
        .value_kind:     hidden_group_size_z
      - .offset:         162
        .size:           2
        .value_kind:     hidden_remainder_x
      - .offset:         164
        .size:           2
        .value_kind:     hidden_remainder_y
      - .offset:         166
        .size:           2
        .value_kind:     hidden_remainder_z
      - .offset:         184
        .size:           8
        .value_kind:     hidden_global_offset_x
      - .offset:         192
        .size:           8
        .value_kind:     hidden_global_offset_y
      - .offset:         200
        .size:           8
        .value_kind:     hidden_global_offset_z
      - .offset:         208
        .size:           2
        .value_kind:     hidden_grid_dims
    .group_segment_fixed_size: 8192
    .kernarg_segment_align: 8
    .kernarg_segment_size: 400
    .language:       OpenCL C
    .language_version:
      - 2
      - 0
    .max_flat_workgroup_size: 256
    .name:           _Z39paged_attention_ll4mi_QKV_mfma16_kernelIDF16_DF16_LN4vllm18Fp8KVCacheDataTypeE0EDF16_Li32ELi128ELi256ELb1ELi6EL8MFMAType0EEvPKT_PKT0_S8_ifPKiSA_SA_iPKfiiiPfSD_PS3_PT2_iSC_SC_
    .private_segment_fixed_size: 12
    .sgpr_count:     52
    .sgpr_spill_count: 0
    .symbol:         _Z39paged_attention_ll4mi_QKV_mfma16_kernelIDF16_DF16_LN4vllm18Fp8KVCacheDataTypeE0EDF16_Li32ELi128ELi256ELb1ELi6EL8MFMAType0EEvPKT_PKT0_S8_ifPKiSA_SA_iPKfiiiPfSD_PS3_PT2_iSC_SC_.kd
    .uniform_work_group_size: 1
    .uses_dynamic_stack: false
    .vgpr_count:     96
    .vgpr_spill_count: 2
    .wavefront_size: 64
  - .agpr_count:     0
    .args:
      - .actual_access:  read_only
        .address_space:  global
        .offset:         0
        .size:           8
        .value_kind:     global_buffer
      - .actual_access:  read_only
        .address_space:  global
        .offset:         8
        .size:           8
        .value_kind:     global_buffer
      - .actual_access:  read_only
        .address_space:  global
        .offset:         16
        .size:           8
        .value_kind:     global_buffer
      - .offset:         24
        .size:           4
        .value_kind:     by_value
      - .offset:         28
        .size:           4
        .value_kind:     by_value
      - .actual_access:  read_only
        .address_space:  global
        .offset:         32
        .size:           8
        .value_kind:     global_buffer
      - .actual_access:  read_only
        .address_space:  global
        .offset:         40
        .size:           8
        .value_kind:     global_buffer
      - .actual_access:  read_only
        .address_space:  global
        .offset:         48
        .size:           8
        .value_kind:     global_buffer
      - .offset:         56
        .size:           4
        .value_kind:     by_value
      - .actual_access:  read_only
        .address_space:  global
        .offset:         64
        .size:           8
        .value_kind:     global_buffer
      - .offset:         72
        .size:           4
        .value_kind:     by_value
      - .offset:         76
        .size:           4
        .value_kind:     by_value
      - .offset:         80
        .size:           4
        .value_kind:     by_value
      - .actual_access:  write_only
        .address_space:  global
        .offset:         88
        .size:           8
        .value_kind:     global_buffer
      - .actual_access:  write_only
        .address_space:  global
        .offset:         96
        .size:           8
        .value_kind:     global_buffer
      - .actual_access:  write_only
        .address_space:  global
        .offset:         104
        .size:           8
        .value_kind:     global_buffer
      - .actual_access:  read_only
        .address_space:  global
        .offset:         112
        .size:           8
        .value_kind:     global_buffer
      - .offset:         120
        .size:           4
        .value_kind:     by_value
      - .address_space:  global
        .offset:         128
        .size:           8
        .value_kind:     global_buffer
      - .address_space:  global
        .offset:         136
        .size:           8
        .value_kind:     global_buffer
      - .offset:         144
        .size:           4
        .value_kind:     hidden_block_count_x
      - .offset:         148
        .size:           4
        .value_kind:     hidden_block_count_y
      - .offset:         152
        .size:           4
        .value_kind:     hidden_block_count_z
      - .offset:         156
        .size:           2
        .value_kind:     hidden_group_size_x
      - .offset:         158
        .size:           2
        .value_kind:     hidden_group_size_y
      - .offset:         160
        .size:           2
        .value_kind:     hidden_group_size_z
      - .offset:         162
        .size:           2
        .value_kind:     hidden_remainder_x
      - .offset:         164
        .size:           2
        .value_kind:     hidden_remainder_y
      - .offset:         166
        .size:           2
        .value_kind:     hidden_remainder_z
      - .offset:         184
        .size:           8
        .value_kind:     hidden_global_offset_x
      - .offset:         192
        .size:           8
        .value_kind:     hidden_global_offset_y
      - .offset:         200
        .size:           8
        .value_kind:     hidden_global_offset_z
      - .offset:         208
        .size:           2
        .value_kind:     hidden_grid_dims
    .group_segment_fixed_size: 8192
    .kernarg_segment_align: 8
    .kernarg_segment_size: 400
    .language:       OpenCL C
    .language_version:
      - 2
      - 0
    .max_flat_workgroup_size: 256
    .name:           _Z39paged_attention_ll4mi_QKV_mfma16_kernelIDF16_DF16_LN4vllm18Fp8KVCacheDataTypeE0EDF16_Li32ELi128ELi256ELb1ELi7EL8MFMAType0EEvPKT_PKT0_S8_ifPKiSA_SA_iPKfiiiPfSD_PS3_PT2_iSC_SC_
    .private_segment_fixed_size: 12
    .sgpr_count:     52
    .sgpr_spill_count: 0
    .symbol:         _Z39paged_attention_ll4mi_QKV_mfma16_kernelIDF16_DF16_LN4vllm18Fp8KVCacheDataTypeE0EDF16_Li32ELi128ELi256ELb1ELi7EL8MFMAType0EEvPKT_PKT0_S8_ifPKiSA_SA_iPKfiiiPfSD_PS3_PT2_iSC_SC_.kd
    .uniform_work_group_size: 1
    .uses_dynamic_stack: false
    .vgpr_count:     96
    .vgpr_spill_count: 2
    .wavefront_size: 64
  - .agpr_count:     0
    .args:
      - .actual_access:  read_only
        .address_space:  global
        .offset:         0
        .size:           8
        .value_kind:     global_buffer
      - .actual_access:  read_only
        .address_space:  global
        .offset:         8
        .size:           8
        .value_kind:     global_buffer
      - .actual_access:  read_only
        .address_space:  global
        .offset:         16
        .size:           8
        .value_kind:     global_buffer
      - .offset:         24
        .size:           4
        .value_kind:     by_value
      - .offset:         28
        .size:           4
        .value_kind:     by_value
      - .actual_access:  read_only
        .address_space:  global
        .offset:         32
        .size:           8
        .value_kind:     global_buffer
      - .actual_access:  read_only
        .address_space:  global
        .offset:         40
        .size:           8
        .value_kind:     global_buffer
      - .actual_access:  read_only
        .address_space:  global
        .offset:         48
        .size:           8
        .value_kind:     global_buffer
      - .offset:         56
        .size:           4
        .value_kind:     by_value
      - .actual_access:  read_only
        .address_space:  global
        .offset:         64
        .size:           8
        .value_kind:     global_buffer
      - .offset:         72
        .size:           4
        .value_kind:     by_value
      - .offset:         76
        .size:           4
        .value_kind:     by_value
      - .offset:         80
        .size:           4
        .value_kind:     by_value
      - .actual_access:  write_only
        .address_space:  global
        .offset:         88
        .size:           8
        .value_kind:     global_buffer
      - .actual_access:  write_only
        .address_space:  global
        .offset:         96
        .size:           8
        .value_kind:     global_buffer
      - .actual_access:  write_only
        .address_space:  global
        .offset:         104
        .size:           8
        .value_kind:     global_buffer
      - .actual_access:  read_only
        .address_space:  global
        .offset:         112
        .size:           8
        .value_kind:     global_buffer
      - .offset:         120
        .size:           4
        .value_kind:     by_value
      - .address_space:  global
        .offset:         128
        .size:           8
        .value_kind:     global_buffer
      - .address_space:  global
        .offset:         136
        .size:           8
        .value_kind:     global_buffer
      - .offset:         144
        .size:           4
        .value_kind:     hidden_block_count_x
      - .offset:         148
        .size:           4
        .value_kind:     hidden_block_count_y
      - .offset:         152
        .size:           4
        .value_kind:     hidden_block_count_z
      - .offset:         156
        .size:           2
        .value_kind:     hidden_group_size_x
      - .offset:         158
        .size:           2
        .value_kind:     hidden_group_size_y
      - .offset:         160
        .size:           2
        .value_kind:     hidden_group_size_z
      - .offset:         162
        .size:           2
        .value_kind:     hidden_remainder_x
      - .offset:         164
        .size:           2
        .value_kind:     hidden_remainder_y
      - .offset:         166
        .size:           2
        .value_kind:     hidden_remainder_z
      - .offset:         184
        .size:           8
        .value_kind:     hidden_global_offset_x
      - .offset:         192
        .size:           8
        .value_kind:     hidden_global_offset_y
      - .offset:         200
        .size:           8
        .value_kind:     hidden_global_offset_z
      - .offset:         208
        .size:           2
        .value_kind:     hidden_grid_dims
    .group_segment_fixed_size: 8192
    .kernarg_segment_align: 8
    .kernarg_segment_size: 400
    .language:       OpenCL C
    .language_version:
      - 2
      - 0
    .max_flat_workgroup_size: 256
    .name:           _Z39paged_attention_ll4mi_QKV_mfma16_kernelIDF16_DF16_LN4vllm18Fp8KVCacheDataTypeE0EDF16_Li32ELi128ELi256ELb1ELi8EL8MFMAType0EEvPKT_PKT0_S8_ifPKiSA_SA_iPKfiiiPfSD_PS3_PT2_iSC_SC_
    .private_segment_fixed_size: 12
    .sgpr_count:     52
    .sgpr_spill_count: 0
    .symbol:         _Z39paged_attention_ll4mi_QKV_mfma16_kernelIDF16_DF16_LN4vllm18Fp8KVCacheDataTypeE0EDF16_Li32ELi128ELi256ELb1ELi8EL8MFMAType0EEvPKT_PKT0_S8_ifPKiSA_SA_iPKfiiiPfSD_PS3_PT2_iSC_SC_.kd
    .uniform_work_group_size: 1
    .uses_dynamic_stack: false
    .vgpr_count:     96
    .vgpr_spill_count: 2
    .wavefront_size: 64
  - .agpr_count:     0
    .args:
      - .actual_access:  read_only
        .address_space:  global
        .offset:         0
        .size:           8
        .value_kind:     global_buffer
      - .actual_access:  read_only
        .address_space:  global
        .offset:         8
        .size:           8
        .value_kind:     global_buffer
      - .actual_access:  read_only
        .address_space:  global
        .offset:         16
        .size:           8
        .value_kind:     global_buffer
      - .offset:         24
        .size:           4
        .value_kind:     by_value
      - .offset:         28
        .size:           4
        .value_kind:     by_value
      - .actual_access:  read_only
        .address_space:  global
        .offset:         32
        .size:           8
        .value_kind:     global_buffer
      - .actual_access:  read_only
        .address_space:  global
        .offset:         40
        .size:           8
        .value_kind:     global_buffer
      - .actual_access:  read_only
        .address_space:  global
        .offset:         48
        .size:           8
        .value_kind:     global_buffer
      - .offset:         56
        .size:           4
        .value_kind:     by_value
      - .actual_access:  read_only
        .address_space:  global
        .offset:         64
        .size:           8
        .value_kind:     global_buffer
      - .offset:         72
        .size:           4
        .value_kind:     by_value
      - .offset:         76
        .size:           4
        .value_kind:     by_value
      - .offset:         80
        .size:           4
        .value_kind:     by_value
      - .actual_access:  write_only
        .address_space:  global
        .offset:         88
        .size:           8
        .value_kind:     global_buffer
      - .actual_access:  write_only
        .address_space:  global
        .offset:         96
        .size:           8
        .value_kind:     global_buffer
      - .actual_access:  write_only
        .address_space:  global
        .offset:         104
        .size:           8
        .value_kind:     global_buffer
      - .actual_access:  read_only
        .address_space:  global
        .offset:         112
        .size:           8
        .value_kind:     global_buffer
      - .offset:         120
        .size:           4
        .value_kind:     by_value
      - .address_space:  global
        .offset:         128
        .size:           8
        .value_kind:     global_buffer
      - .address_space:  global
        .offset:         136
        .size:           8
        .value_kind:     global_buffer
      - .offset:         144
        .size:           4
        .value_kind:     hidden_block_count_x
      - .offset:         148
        .size:           4
        .value_kind:     hidden_block_count_y
      - .offset:         152
        .size:           4
        .value_kind:     hidden_block_count_z
      - .offset:         156
        .size:           2
        .value_kind:     hidden_group_size_x
      - .offset:         158
        .size:           2
        .value_kind:     hidden_group_size_y
      - .offset:         160
        .size:           2
        .value_kind:     hidden_group_size_z
      - .offset:         162
        .size:           2
        .value_kind:     hidden_remainder_x
      - .offset:         164
        .size:           2
        .value_kind:     hidden_remainder_y
      - .offset:         166
        .size:           2
        .value_kind:     hidden_remainder_z
      - .offset:         184
        .size:           8
        .value_kind:     hidden_global_offset_x
      - .offset:         192
        .size:           8
        .value_kind:     hidden_global_offset_y
      - .offset:         200
        .size:           8
        .value_kind:     hidden_global_offset_z
      - .offset:         208
        .size:           2
        .value_kind:     hidden_grid_dims
    .group_segment_fixed_size: 8192
    .kernarg_segment_align: 8
    .kernarg_segment_size: 400
    .language:       OpenCL C
    .language_version:
      - 2
      - 0
    .max_flat_workgroup_size: 256
    .name:           _Z39paged_attention_ll4mi_QKV_mfma16_kernelIDF16_DF16_LN4vllm18Fp8KVCacheDataTypeE0EDF16_Li32ELi128ELi256ELb1ELi9EL8MFMAType0EEvPKT_PKT0_S8_ifPKiSA_SA_iPKfiiiPfSD_PS3_PT2_iSC_SC_
    .private_segment_fixed_size: 12
    .sgpr_count:     52
    .sgpr_spill_count: 0
    .symbol:         _Z39paged_attention_ll4mi_QKV_mfma16_kernelIDF16_DF16_LN4vllm18Fp8KVCacheDataTypeE0EDF16_Li32ELi128ELi256ELb1ELi9EL8MFMAType0EEvPKT_PKT0_S8_ifPKiSA_SA_iPKfiiiPfSD_PS3_PT2_iSC_SC_.kd
    .uniform_work_group_size: 1
    .uses_dynamic_stack: false
    .vgpr_count:     96
    .vgpr_spill_count: 2
    .wavefront_size: 64
  - .agpr_count:     0
    .args:
      - .actual_access:  read_only
        .address_space:  global
        .offset:         0
        .size:           8
        .value_kind:     global_buffer
      - .actual_access:  read_only
        .address_space:  global
        .offset:         8
        .size:           8
        .value_kind:     global_buffer
      - .actual_access:  read_only
        .address_space:  global
        .offset:         16
        .size:           8
        .value_kind:     global_buffer
      - .offset:         24
        .size:           4
        .value_kind:     by_value
      - .offset:         28
        .size:           4
        .value_kind:     by_value
      - .actual_access:  read_only
        .address_space:  global
        .offset:         32
        .size:           8
        .value_kind:     global_buffer
      - .actual_access:  read_only
        .address_space:  global
        .offset:         40
        .size:           8
        .value_kind:     global_buffer
      - .actual_access:  read_only
        .address_space:  global
        .offset:         48
        .size:           8
        .value_kind:     global_buffer
      - .offset:         56
        .size:           4
        .value_kind:     by_value
      - .actual_access:  read_only
        .address_space:  global
        .offset:         64
        .size:           8
        .value_kind:     global_buffer
      - .offset:         72
        .size:           4
        .value_kind:     by_value
      - .offset:         76
        .size:           4
        .value_kind:     by_value
      - .offset:         80
        .size:           4
        .value_kind:     by_value
      - .actual_access:  write_only
        .address_space:  global
        .offset:         88
        .size:           8
        .value_kind:     global_buffer
      - .actual_access:  write_only
        .address_space:  global
        .offset:         96
        .size:           8
        .value_kind:     global_buffer
      - .actual_access:  write_only
        .address_space:  global
        .offset:         104
        .size:           8
        .value_kind:     global_buffer
      - .actual_access:  read_only
        .address_space:  global
        .offset:         112
        .size:           8
        .value_kind:     global_buffer
      - .offset:         120
        .size:           4
        .value_kind:     by_value
      - .address_space:  global
        .offset:         128
        .size:           8
        .value_kind:     global_buffer
      - .address_space:  global
        .offset:         136
        .size:           8
        .value_kind:     global_buffer
      - .offset:         144
        .size:           4
        .value_kind:     hidden_block_count_x
      - .offset:         148
        .size:           4
        .value_kind:     hidden_block_count_y
      - .offset:         152
        .size:           4
        .value_kind:     hidden_block_count_z
      - .offset:         156
        .size:           2
        .value_kind:     hidden_group_size_x
      - .offset:         158
        .size:           2
        .value_kind:     hidden_group_size_y
      - .offset:         160
        .size:           2
        .value_kind:     hidden_group_size_z
      - .offset:         162
        .size:           2
        .value_kind:     hidden_remainder_x
      - .offset:         164
        .size:           2
        .value_kind:     hidden_remainder_y
      - .offset:         166
        .size:           2
        .value_kind:     hidden_remainder_z
      - .offset:         184
        .size:           8
        .value_kind:     hidden_global_offset_x
      - .offset:         192
        .size:           8
        .value_kind:     hidden_global_offset_y
      - .offset:         200
        .size:           8
        .value_kind:     hidden_global_offset_z
      - .offset:         208
        .size:           2
        .value_kind:     hidden_grid_dims
    .group_segment_fixed_size: 8192
    .kernarg_segment_align: 8
    .kernarg_segment_size: 400
    .language:       OpenCL C
    .language_version:
      - 2
      - 0
    .max_flat_workgroup_size: 256
    .name:           _Z39paged_attention_ll4mi_QKV_mfma16_kernelIDF16_DF16_LN4vllm18Fp8KVCacheDataTypeE0EDF16_Li32ELi128ELi256ELb1ELi10EL8MFMAType0EEvPKT_PKT0_S8_ifPKiSA_SA_iPKfiiiPfSD_PS3_PT2_iSC_SC_
    .private_segment_fixed_size: 12
    .sgpr_count:     52
    .sgpr_spill_count: 0
    .symbol:         _Z39paged_attention_ll4mi_QKV_mfma16_kernelIDF16_DF16_LN4vllm18Fp8KVCacheDataTypeE0EDF16_Li32ELi128ELi256ELb1ELi10EL8MFMAType0EEvPKT_PKT0_S8_ifPKiSA_SA_iPKfiiiPfSD_PS3_PT2_iSC_SC_.kd
    .uniform_work_group_size: 1
    .uses_dynamic_stack: false
    .vgpr_count:     96
    .vgpr_spill_count: 2
    .wavefront_size: 64
  - .agpr_count:     0
    .args:
      - .actual_access:  read_only
        .address_space:  global
        .offset:         0
        .size:           8
        .value_kind:     global_buffer
      - .actual_access:  read_only
        .address_space:  global
        .offset:         8
        .size:           8
        .value_kind:     global_buffer
      - .actual_access:  read_only
        .address_space:  global
        .offset:         16
        .size:           8
        .value_kind:     global_buffer
      - .offset:         24
        .size:           4
        .value_kind:     by_value
      - .offset:         28
        .size:           4
        .value_kind:     by_value
      - .actual_access:  read_only
        .address_space:  global
        .offset:         32
        .size:           8
        .value_kind:     global_buffer
      - .actual_access:  read_only
        .address_space:  global
        .offset:         40
        .size:           8
        .value_kind:     global_buffer
      - .actual_access:  read_only
        .address_space:  global
        .offset:         48
        .size:           8
        .value_kind:     global_buffer
      - .offset:         56
        .size:           4
        .value_kind:     by_value
      - .actual_access:  read_only
        .address_space:  global
        .offset:         64
        .size:           8
        .value_kind:     global_buffer
      - .offset:         72
        .size:           4
        .value_kind:     by_value
      - .offset:         76
        .size:           4
        .value_kind:     by_value
      - .offset:         80
        .size:           4
        .value_kind:     by_value
      - .actual_access:  write_only
        .address_space:  global
        .offset:         88
        .size:           8
        .value_kind:     global_buffer
      - .actual_access:  write_only
        .address_space:  global
        .offset:         96
        .size:           8
        .value_kind:     global_buffer
      - .actual_access:  write_only
        .address_space:  global
        .offset:         104
        .size:           8
        .value_kind:     global_buffer
      - .actual_access:  read_only
        .address_space:  global
        .offset:         112
        .size:           8
        .value_kind:     global_buffer
      - .offset:         120
        .size:           4
        .value_kind:     by_value
      - .address_space:  global
        .offset:         128
        .size:           8
        .value_kind:     global_buffer
      - .address_space:  global
        .offset:         136
        .size:           8
        .value_kind:     global_buffer
      - .offset:         144
        .size:           4
        .value_kind:     hidden_block_count_x
      - .offset:         148
        .size:           4
        .value_kind:     hidden_block_count_y
      - .offset:         152
        .size:           4
        .value_kind:     hidden_block_count_z
      - .offset:         156
        .size:           2
        .value_kind:     hidden_group_size_x
      - .offset:         158
        .size:           2
        .value_kind:     hidden_group_size_y
      - .offset:         160
        .size:           2
        .value_kind:     hidden_group_size_z
      - .offset:         162
        .size:           2
        .value_kind:     hidden_remainder_x
      - .offset:         164
        .size:           2
        .value_kind:     hidden_remainder_y
      - .offset:         166
        .size:           2
        .value_kind:     hidden_remainder_z
      - .offset:         184
        .size:           8
        .value_kind:     hidden_global_offset_x
      - .offset:         192
        .size:           8
        .value_kind:     hidden_global_offset_y
      - .offset:         200
        .size:           8
        .value_kind:     hidden_global_offset_z
      - .offset:         208
        .size:           2
        .value_kind:     hidden_grid_dims
    .group_segment_fixed_size: 8192
    .kernarg_segment_align: 8
    .kernarg_segment_size: 400
    .language:       OpenCL C
    .language_version:
      - 2
      - 0
    .max_flat_workgroup_size: 256
    .name:           _Z39paged_attention_ll4mi_QKV_mfma16_kernelIDF16_DF16_LN4vllm18Fp8KVCacheDataTypeE0EDF16_Li32ELi128ELi256ELb1ELi11EL8MFMAType0EEvPKT_PKT0_S8_ifPKiSA_SA_iPKfiiiPfSD_PS3_PT2_iSC_SC_
    .private_segment_fixed_size: 12
    .sgpr_count:     52
    .sgpr_spill_count: 0
    .symbol:         _Z39paged_attention_ll4mi_QKV_mfma16_kernelIDF16_DF16_LN4vllm18Fp8KVCacheDataTypeE0EDF16_Li32ELi128ELi256ELb1ELi11EL8MFMAType0EEvPKT_PKT0_S8_ifPKiSA_SA_iPKfiiiPfSD_PS3_PT2_iSC_SC_.kd
    .uniform_work_group_size: 1
    .uses_dynamic_stack: false
    .vgpr_count:     96
    .vgpr_spill_count: 2
    .wavefront_size: 64
  - .agpr_count:     0
    .args:
      - .actual_access:  read_only
        .address_space:  global
        .offset:         0
        .size:           8
        .value_kind:     global_buffer
      - .actual_access:  read_only
        .address_space:  global
        .offset:         8
        .size:           8
        .value_kind:     global_buffer
      - .actual_access:  read_only
        .address_space:  global
        .offset:         16
        .size:           8
        .value_kind:     global_buffer
      - .offset:         24
        .size:           4
        .value_kind:     by_value
      - .offset:         28
        .size:           4
        .value_kind:     by_value
      - .actual_access:  read_only
        .address_space:  global
        .offset:         32
        .size:           8
        .value_kind:     global_buffer
      - .actual_access:  read_only
        .address_space:  global
        .offset:         40
        .size:           8
        .value_kind:     global_buffer
      - .actual_access:  read_only
        .address_space:  global
        .offset:         48
        .size:           8
        .value_kind:     global_buffer
      - .offset:         56
        .size:           4
        .value_kind:     by_value
      - .actual_access:  read_only
        .address_space:  global
        .offset:         64
        .size:           8
        .value_kind:     global_buffer
      - .offset:         72
        .size:           4
        .value_kind:     by_value
      - .offset:         76
        .size:           4
        .value_kind:     by_value
      - .offset:         80
        .size:           4
        .value_kind:     by_value
      - .actual_access:  write_only
        .address_space:  global
        .offset:         88
        .size:           8
        .value_kind:     global_buffer
      - .actual_access:  write_only
        .address_space:  global
        .offset:         96
        .size:           8
        .value_kind:     global_buffer
      - .actual_access:  write_only
        .address_space:  global
        .offset:         104
        .size:           8
        .value_kind:     global_buffer
      - .actual_access:  read_only
        .address_space:  global
        .offset:         112
        .size:           8
        .value_kind:     global_buffer
      - .offset:         120
        .size:           4
        .value_kind:     by_value
      - .address_space:  global
        .offset:         128
        .size:           8
        .value_kind:     global_buffer
      - .address_space:  global
        .offset:         136
        .size:           8
        .value_kind:     global_buffer
      - .offset:         144
        .size:           4
        .value_kind:     hidden_block_count_x
      - .offset:         148
        .size:           4
        .value_kind:     hidden_block_count_y
      - .offset:         152
        .size:           4
        .value_kind:     hidden_block_count_z
      - .offset:         156
        .size:           2
        .value_kind:     hidden_group_size_x
      - .offset:         158
        .size:           2
        .value_kind:     hidden_group_size_y
      - .offset:         160
        .size:           2
        .value_kind:     hidden_group_size_z
      - .offset:         162
        .size:           2
        .value_kind:     hidden_remainder_x
      - .offset:         164
        .size:           2
        .value_kind:     hidden_remainder_y
      - .offset:         166
        .size:           2
        .value_kind:     hidden_remainder_z
      - .offset:         184
        .size:           8
        .value_kind:     hidden_global_offset_x
      - .offset:         192
        .size:           8
        .value_kind:     hidden_global_offset_y
      - .offset:         200
        .size:           8
        .value_kind:     hidden_global_offset_z
      - .offset:         208
        .size:           2
        .value_kind:     hidden_grid_dims
    .group_segment_fixed_size: 8192
    .kernarg_segment_align: 8
    .kernarg_segment_size: 400
    .language:       OpenCL C
    .language_version:
      - 2
      - 0
    .max_flat_workgroup_size: 256
    .name:           _Z39paged_attention_ll4mi_QKV_mfma16_kernelIDF16_DF16_LN4vllm18Fp8KVCacheDataTypeE0EDF16_Li32ELi128ELi256ELb1ELi12EL8MFMAType0EEvPKT_PKT0_S8_ifPKiSA_SA_iPKfiiiPfSD_PS3_PT2_iSC_SC_
    .private_segment_fixed_size: 12
    .sgpr_count:     52
    .sgpr_spill_count: 0
    .symbol:         _Z39paged_attention_ll4mi_QKV_mfma16_kernelIDF16_DF16_LN4vllm18Fp8KVCacheDataTypeE0EDF16_Li32ELi128ELi256ELb1ELi12EL8MFMAType0EEvPKT_PKT0_S8_ifPKiSA_SA_iPKfiiiPfSD_PS3_PT2_iSC_SC_.kd
    .uniform_work_group_size: 1
    .uses_dynamic_stack: false
    .vgpr_count:     96
    .vgpr_spill_count: 2
    .wavefront_size: 64
  - .agpr_count:     0
    .args:
      - .actual_access:  read_only
        .address_space:  global
        .offset:         0
        .size:           8
        .value_kind:     global_buffer
      - .actual_access:  read_only
        .address_space:  global
        .offset:         8
        .size:           8
        .value_kind:     global_buffer
      - .actual_access:  read_only
        .address_space:  global
        .offset:         16
        .size:           8
        .value_kind:     global_buffer
      - .offset:         24
        .size:           4
        .value_kind:     by_value
      - .offset:         28
        .size:           4
        .value_kind:     by_value
      - .actual_access:  read_only
        .address_space:  global
        .offset:         32
        .size:           8
        .value_kind:     global_buffer
      - .actual_access:  read_only
        .address_space:  global
        .offset:         40
        .size:           8
        .value_kind:     global_buffer
      - .actual_access:  read_only
        .address_space:  global
        .offset:         48
        .size:           8
        .value_kind:     global_buffer
      - .offset:         56
        .size:           4
        .value_kind:     by_value
      - .actual_access:  read_only
        .address_space:  global
        .offset:         64
        .size:           8
        .value_kind:     global_buffer
      - .offset:         72
        .size:           4
        .value_kind:     by_value
      - .offset:         76
        .size:           4
        .value_kind:     by_value
      - .offset:         80
        .size:           4
        .value_kind:     by_value
      - .actual_access:  write_only
        .address_space:  global
        .offset:         88
        .size:           8
        .value_kind:     global_buffer
      - .actual_access:  write_only
        .address_space:  global
        .offset:         96
        .size:           8
        .value_kind:     global_buffer
      - .actual_access:  write_only
        .address_space:  global
        .offset:         104
        .size:           8
        .value_kind:     global_buffer
      - .actual_access:  read_only
        .address_space:  global
        .offset:         112
        .size:           8
        .value_kind:     global_buffer
      - .offset:         120
        .size:           4
        .value_kind:     by_value
      - .address_space:  global
        .offset:         128
        .size:           8
        .value_kind:     global_buffer
      - .address_space:  global
        .offset:         136
        .size:           8
        .value_kind:     global_buffer
      - .offset:         144
        .size:           4
        .value_kind:     hidden_block_count_x
      - .offset:         148
        .size:           4
        .value_kind:     hidden_block_count_y
      - .offset:         152
        .size:           4
        .value_kind:     hidden_block_count_z
      - .offset:         156
        .size:           2
        .value_kind:     hidden_group_size_x
      - .offset:         158
        .size:           2
        .value_kind:     hidden_group_size_y
      - .offset:         160
        .size:           2
        .value_kind:     hidden_group_size_z
      - .offset:         162
        .size:           2
        .value_kind:     hidden_remainder_x
      - .offset:         164
        .size:           2
        .value_kind:     hidden_remainder_y
      - .offset:         166
        .size:           2
        .value_kind:     hidden_remainder_z
      - .offset:         184
        .size:           8
        .value_kind:     hidden_global_offset_x
      - .offset:         192
        .size:           8
        .value_kind:     hidden_global_offset_y
      - .offset:         200
        .size:           8
        .value_kind:     hidden_global_offset_z
      - .offset:         208
        .size:           2
        .value_kind:     hidden_grid_dims
    .group_segment_fixed_size: 8192
    .kernarg_segment_align: 8
    .kernarg_segment_size: 400
    .language:       OpenCL C
    .language_version:
      - 2
      - 0
    .max_flat_workgroup_size: 256
    .name:           _Z39paged_attention_ll4mi_QKV_mfma16_kernelIDF16_DF16_LN4vllm18Fp8KVCacheDataTypeE0EDF16_Li32ELi128ELi256ELb1ELi13EL8MFMAType0EEvPKT_PKT0_S8_ifPKiSA_SA_iPKfiiiPfSD_PS3_PT2_iSC_SC_
    .private_segment_fixed_size: 12
    .sgpr_count:     52
    .sgpr_spill_count: 0
    .symbol:         _Z39paged_attention_ll4mi_QKV_mfma16_kernelIDF16_DF16_LN4vllm18Fp8KVCacheDataTypeE0EDF16_Li32ELi128ELi256ELb1ELi13EL8MFMAType0EEvPKT_PKT0_S8_ifPKiSA_SA_iPKfiiiPfSD_PS3_PT2_iSC_SC_.kd
    .uniform_work_group_size: 1
    .uses_dynamic_stack: false
    .vgpr_count:     96
    .vgpr_spill_count: 2
    .wavefront_size: 64
  - .agpr_count:     0
    .args:
      - .actual_access:  read_only
        .address_space:  global
        .offset:         0
        .size:           8
        .value_kind:     global_buffer
      - .actual_access:  read_only
        .address_space:  global
        .offset:         8
        .size:           8
        .value_kind:     global_buffer
      - .actual_access:  read_only
        .address_space:  global
        .offset:         16
        .size:           8
        .value_kind:     global_buffer
      - .offset:         24
        .size:           4
        .value_kind:     by_value
      - .offset:         28
        .size:           4
        .value_kind:     by_value
      - .actual_access:  read_only
        .address_space:  global
        .offset:         32
        .size:           8
        .value_kind:     global_buffer
      - .actual_access:  read_only
        .address_space:  global
        .offset:         40
        .size:           8
        .value_kind:     global_buffer
      - .actual_access:  read_only
        .address_space:  global
        .offset:         48
        .size:           8
        .value_kind:     global_buffer
      - .offset:         56
        .size:           4
        .value_kind:     by_value
      - .actual_access:  read_only
        .address_space:  global
        .offset:         64
        .size:           8
        .value_kind:     global_buffer
      - .offset:         72
        .size:           4
        .value_kind:     by_value
      - .offset:         76
        .size:           4
        .value_kind:     by_value
      - .offset:         80
        .size:           4
        .value_kind:     by_value
      - .actual_access:  write_only
        .address_space:  global
        .offset:         88
        .size:           8
        .value_kind:     global_buffer
      - .actual_access:  write_only
        .address_space:  global
        .offset:         96
        .size:           8
        .value_kind:     global_buffer
      - .actual_access:  write_only
        .address_space:  global
        .offset:         104
        .size:           8
        .value_kind:     global_buffer
      - .actual_access:  read_only
        .address_space:  global
        .offset:         112
        .size:           8
        .value_kind:     global_buffer
      - .offset:         120
        .size:           4
        .value_kind:     by_value
      - .address_space:  global
        .offset:         128
        .size:           8
        .value_kind:     global_buffer
      - .address_space:  global
        .offset:         136
        .size:           8
        .value_kind:     global_buffer
      - .offset:         144
        .size:           4
        .value_kind:     hidden_block_count_x
      - .offset:         148
        .size:           4
        .value_kind:     hidden_block_count_y
      - .offset:         152
        .size:           4
        .value_kind:     hidden_block_count_z
      - .offset:         156
        .size:           2
        .value_kind:     hidden_group_size_x
      - .offset:         158
        .size:           2
        .value_kind:     hidden_group_size_y
      - .offset:         160
        .size:           2
        .value_kind:     hidden_group_size_z
      - .offset:         162
        .size:           2
        .value_kind:     hidden_remainder_x
      - .offset:         164
        .size:           2
        .value_kind:     hidden_remainder_y
      - .offset:         166
        .size:           2
        .value_kind:     hidden_remainder_z
      - .offset:         184
        .size:           8
        .value_kind:     hidden_global_offset_x
      - .offset:         192
        .size:           8
        .value_kind:     hidden_global_offset_y
      - .offset:         200
        .size:           8
        .value_kind:     hidden_global_offset_z
      - .offset:         208
        .size:           2
        .value_kind:     hidden_grid_dims
    .group_segment_fixed_size: 8192
    .kernarg_segment_align: 8
    .kernarg_segment_size: 400
    .language:       OpenCL C
    .language_version:
      - 2
      - 0
    .max_flat_workgroup_size: 256
    .name:           _Z39paged_attention_ll4mi_QKV_mfma16_kernelIDF16_DF16_LN4vllm18Fp8KVCacheDataTypeE0EDF16_Li32ELi128ELi256ELb1ELi14EL8MFMAType0EEvPKT_PKT0_S8_ifPKiSA_SA_iPKfiiiPfSD_PS3_PT2_iSC_SC_
    .private_segment_fixed_size: 12
    .sgpr_count:     52
    .sgpr_spill_count: 0
    .symbol:         _Z39paged_attention_ll4mi_QKV_mfma16_kernelIDF16_DF16_LN4vllm18Fp8KVCacheDataTypeE0EDF16_Li32ELi128ELi256ELb1ELi14EL8MFMAType0EEvPKT_PKT0_S8_ifPKiSA_SA_iPKfiiiPfSD_PS3_PT2_iSC_SC_.kd
    .uniform_work_group_size: 1
    .uses_dynamic_stack: false
    .vgpr_count:     96
    .vgpr_spill_count: 2
    .wavefront_size: 64
  - .agpr_count:     0
    .args:
      - .actual_access:  read_only
        .address_space:  global
        .offset:         0
        .size:           8
        .value_kind:     global_buffer
      - .actual_access:  read_only
        .address_space:  global
        .offset:         8
        .size:           8
        .value_kind:     global_buffer
      - .actual_access:  read_only
        .address_space:  global
        .offset:         16
        .size:           8
        .value_kind:     global_buffer
      - .offset:         24
        .size:           4
        .value_kind:     by_value
      - .offset:         28
        .size:           4
        .value_kind:     by_value
      - .actual_access:  read_only
        .address_space:  global
        .offset:         32
        .size:           8
        .value_kind:     global_buffer
      - .actual_access:  read_only
        .address_space:  global
        .offset:         40
        .size:           8
        .value_kind:     global_buffer
      - .actual_access:  read_only
        .address_space:  global
        .offset:         48
        .size:           8
        .value_kind:     global_buffer
      - .offset:         56
        .size:           4
        .value_kind:     by_value
      - .actual_access:  read_only
        .address_space:  global
        .offset:         64
        .size:           8
        .value_kind:     global_buffer
      - .offset:         72
        .size:           4
        .value_kind:     by_value
      - .offset:         76
        .size:           4
        .value_kind:     by_value
      - .offset:         80
        .size:           4
        .value_kind:     by_value
      - .actual_access:  write_only
        .address_space:  global
        .offset:         88
        .size:           8
        .value_kind:     global_buffer
      - .actual_access:  write_only
        .address_space:  global
        .offset:         96
        .size:           8
        .value_kind:     global_buffer
      - .actual_access:  write_only
        .address_space:  global
        .offset:         104
        .size:           8
        .value_kind:     global_buffer
      - .actual_access:  read_only
        .address_space:  global
        .offset:         112
        .size:           8
        .value_kind:     global_buffer
      - .offset:         120
        .size:           4
        .value_kind:     by_value
      - .address_space:  global
        .offset:         128
        .size:           8
        .value_kind:     global_buffer
      - .address_space:  global
        .offset:         136
        .size:           8
        .value_kind:     global_buffer
      - .offset:         144
        .size:           4
        .value_kind:     hidden_block_count_x
      - .offset:         148
        .size:           4
        .value_kind:     hidden_block_count_y
      - .offset:         152
        .size:           4
        .value_kind:     hidden_block_count_z
      - .offset:         156
        .size:           2
        .value_kind:     hidden_group_size_x
      - .offset:         158
        .size:           2
        .value_kind:     hidden_group_size_y
      - .offset:         160
        .size:           2
        .value_kind:     hidden_group_size_z
      - .offset:         162
        .size:           2
        .value_kind:     hidden_remainder_x
      - .offset:         164
        .size:           2
        .value_kind:     hidden_remainder_y
      - .offset:         166
        .size:           2
        .value_kind:     hidden_remainder_z
      - .offset:         184
        .size:           8
        .value_kind:     hidden_global_offset_x
      - .offset:         192
        .size:           8
        .value_kind:     hidden_global_offset_y
      - .offset:         200
        .size:           8
        .value_kind:     hidden_global_offset_z
      - .offset:         208
        .size:           2
        .value_kind:     hidden_grid_dims
    .group_segment_fixed_size: 8192
    .kernarg_segment_align: 8
    .kernarg_segment_size: 400
    .language:       OpenCL C
    .language_version:
      - 2
      - 0
    .max_flat_workgroup_size: 256
    .name:           _Z39paged_attention_ll4mi_QKV_mfma16_kernelIDF16_DF16_LN4vllm18Fp8KVCacheDataTypeE0EDF16_Li32ELi128ELi256ELb1ELi15EL8MFMAType0EEvPKT_PKT0_S8_ifPKiSA_SA_iPKfiiiPfSD_PS3_PT2_iSC_SC_
    .private_segment_fixed_size: 12
    .sgpr_count:     52
    .sgpr_spill_count: 0
    .symbol:         _Z39paged_attention_ll4mi_QKV_mfma16_kernelIDF16_DF16_LN4vllm18Fp8KVCacheDataTypeE0EDF16_Li32ELi128ELi256ELb1ELi15EL8MFMAType0EEvPKT_PKT0_S8_ifPKiSA_SA_iPKfiiiPfSD_PS3_PT2_iSC_SC_.kd
    .uniform_work_group_size: 1
    .uses_dynamic_stack: false
    .vgpr_count:     96
    .vgpr_spill_count: 2
    .wavefront_size: 64
  - .agpr_count:     0
    .args:
      - .actual_access:  read_only
        .address_space:  global
        .offset:         0
        .size:           8
        .value_kind:     global_buffer
      - .actual_access:  read_only
        .address_space:  global
        .offset:         8
        .size:           8
        .value_kind:     global_buffer
      - .actual_access:  read_only
        .address_space:  global
        .offset:         16
        .size:           8
        .value_kind:     global_buffer
      - .offset:         24
        .size:           4
        .value_kind:     by_value
      - .offset:         28
        .size:           4
        .value_kind:     by_value
      - .actual_access:  read_only
        .address_space:  global
        .offset:         32
        .size:           8
        .value_kind:     global_buffer
      - .actual_access:  read_only
        .address_space:  global
        .offset:         40
        .size:           8
        .value_kind:     global_buffer
      - .actual_access:  read_only
        .address_space:  global
        .offset:         48
        .size:           8
        .value_kind:     global_buffer
      - .offset:         56
        .size:           4
        .value_kind:     by_value
      - .actual_access:  read_only
        .address_space:  global
        .offset:         64
        .size:           8
        .value_kind:     global_buffer
      - .offset:         72
        .size:           4
        .value_kind:     by_value
      - .offset:         76
        .size:           4
        .value_kind:     by_value
      - .offset:         80
        .size:           4
        .value_kind:     by_value
      - .actual_access:  write_only
        .address_space:  global
        .offset:         88
        .size:           8
        .value_kind:     global_buffer
      - .actual_access:  write_only
        .address_space:  global
        .offset:         96
        .size:           8
        .value_kind:     global_buffer
      - .actual_access:  write_only
        .address_space:  global
        .offset:         104
        .size:           8
        .value_kind:     global_buffer
      - .actual_access:  read_only
        .address_space:  global
        .offset:         112
        .size:           8
        .value_kind:     global_buffer
      - .offset:         120
        .size:           4
        .value_kind:     by_value
      - .address_space:  global
        .offset:         128
        .size:           8
        .value_kind:     global_buffer
      - .address_space:  global
        .offset:         136
        .size:           8
        .value_kind:     global_buffer
      - .offset:         144
        .size:           4
        .value_kind:     hidden_block_count_x
      - .offset:         148
        .size:           4
        .value_kind:     hidden_block_count_y
      - .offset:         152
        .size:           4
        .value_kind:     hidden_block_count_z
      - .offset:         156
        .size:           2
        .value_kind:     hidden_group_size_x
      - .offset:         158
        .size:           2
        .value_kind:     hidden_group_size_y
      - .offset:         160
        .size:           2
        .value_kind:     hidden_group_size_z
      - .offset:         162
        .size:           2
        .value_kind:     hidden_remainder_x
      - .offset:         164
        .size:           2
        .value_kind:     hidden_remainder_y
      - .offset:         166
        .size:           2
        .value_kind:     hidden_remainder_z
      - .offset:         184
        .size:           8
        .value_kind:     hidden_global_offset_x
      - .offset:         192
        .size:           8
        .value_kind:     hidden_global_offset_y
      - .offset:         200
        .size:           8
        .value_kind:     hidden_global_offset_z
      - .offset:         208
        .size:           2
        .value_kind:     hidden_grid_dims
    .group_segment_fixed_size: 8192
    .kernarg_segment_align: 8
    .kernarg_segment_size: 400
    .language:       OpenCL C
    .language_version:
      - 2
      - 0
    .max_flat_workgroup_size: 256
    .name:           _Z39paged_attention_ll4mi_QKV_mfma16_kernelIDF16_DF16_LN4vllm18Fp8KVCacheDataTypeE0EDF16_Li32ELi128ELi256ELb1ELi16EL8MFMAType0EEvPKT_PKT0_S8_ifPKiSA_SA_iPKfiiiPfSD_PS3_PT2_iSC_SC_
    .private_segment_fixed_size: 12
    .sgpr_count:     52
    .sgpr_spill_count: 0
    .symbol:         _Z39paged_attention_ll4mi_QKV_mfma16_kernelIDF16_DF16_LN4vllm18Fp8KVCacheDataTypeE0EDF16_Li32ELi128ELi256ELb1ELi16EL8MFMAType0EEvPKT_PKT0_S8_ifPKiSA_SA_iPKfiiiPfSD_PS3_PT2_iSC_SC_.kd
    .uniform_work_group_size: 1
    .uses_dynamic_stack: false
    .vgpr_count:     96
    .vgpr_spill_count: 2
    .wavefront_size: 64
  - .agpr_count:     0
    .args:
      - .actual_access:  read_only
        .address_space:  global
        .offset:         0
        .size:           8
        .value_kind:     global_buffer
      - .actual_access:  read_only
        .address_space:  global
        .offset:         8
        .size:           8
        .value_kind:     global_buffer
      - .actual_access:  read_only
        .address_space:  global
        .offset:         16
        .size:           8
        .value_kind:     global_buffer
      - .offset:         24
        .size:           4
        .value_kind:     by_value
      - .offset:         28
        .size:           4
        .value_kind:     by_value
      - .actual_access:  read_only
        .address_space:  global
        .offset:         32
        .size:           8
        .value_kind:     global_buffer
      - .actual_access:  read_only
        .address_space:  global
        .offset:         40
        .size:           8
        .value_kind:     global_buffer
      - .actual_access:  read_only
        .address_space:  global
        .offset:         48
        .size:           8
        .value_kind:     global_buffer
      - .offset:         56
        .size:           4
        .value_kind:     by_value
      - .actual_access:  read_only
        .address_space:  global
        .offset:         64
        .size:           8
        .value_kind:     global_buffer
      - .offset:         72
        .size:           4
        .value_kind:     by_value
      - .offset:         76
        .size:           4
        .value_kind:     by_value
      - .offset:         80
        .size:           4
        .value_kind:     by_value
      - .actual_access:  write_only
        .address_space:  global
        .offset:         88
        .size:           8
        .value_kind:     global_buffer
      - .actual_access:  write_only
        .address_space:  global
        .offset:         96
        .size:           8
        .value_kind:     global_buffer
      - .actual_access:  write_only
        .address_space:  global
        .offset:         104
        .size:           8
        .value_kind:     global_buffer
      - .actual_access:  read_only
        .address_space:  global
        .offset:         112
        .size:           8
        .value_kind:     global_buffer
      - .offset:         120
        .size:           4
        .value_kind:     by_value
      - .address_space:  global
        .offset:         128
        .size:           8
        .value_kind:     global_buffer
      - .address_space:  global
        .offset:         136
        .size:           8
        .value_kind:     global_buffer
      - .offset:         144
        .size:           4
        .value_kind:     hidden_block_count_x
      - .offset:         148
        .size:           4
        .value_kind:     hidden_block_count_y
      - .offset:         152
        .size:           4
        .value_kind:     hidden_block_count_z
      - .offset:         156
        .size:           2
        .value_kind:     hidden_group_size_x
      - .offset:         158
        .size:           2
        .value_kind:     hidden_group_size_y
      - .offset:         160
        .size:           2
        .value_kind:     hidden_group_size_z
      - .offset:         162
        .size:           2
        .value_kind:     hidden_remainder_x
      - .offset:         164
        .size:           2
        .value_kind:     hidden_remainder_y
      - .offset:         166
        .size:           2
        .value_kind:     hidden_remainder_z
      - .offset:         184
        .size:           8
        .value_kind:     hidden_global_offset_x
      - .offset:         192
        .size:           8
        .value_kind:     hidden_global_offset_y
      - .offset:         200
        .size:           8
        .value_kind:     hidden_global_offset_z
      - .offset:         208
        .size:           2
        .value_kind:     hidden_grid_dims
    .group_segment_fixed_size: 8192
    .kernarg_segment_align: 8
    .kernarg_segment_size: 400
    .language:       OpenCL C
    .language_version:
      - 2
      - 0
    .max_flat_workgroup_size: 256
    .name:           _Z39paged_attention_ll4mi_QKV_mfma16_kernelIDF16_DF16_LN4vllm18Fp8KVCacheDataTypeE0EDF16_Li32ELi128ELi256ELb1ELi1EL8MFMAType0EEvPKT_PKT0_S8_ifPKiSA_SA_iPKfiiiPfSD_PS3_PT2_iSC_SC_
    .private_segment_fixed_size: 12
    .sgpr_count:     52
    .sgpr_spill_count: 0
    .symbol:         _Z39paged_attention_ll4mi_QKV_mfma16_kernelIDF16_DF16_LN4vllm18Fp8KVCacheDataTypeE0EDF16_Li32ELi128ELi256ELb1ELi1EL8MFMAType0EEvPKT_PKT0_S8_ifPKiSA_SA_iPKfiiiPfSD_PS3_PT2_iSC_SC_.kd
    .uniform_work_group_size: 1
    .uses_dynamic_stack: false
    .vgpr_count:     96
    .vgpr_spill_count: 2
    .wavefront_size: 64
  - .agpr_count:     0
    .args:
      - .actual_access:  read_only
        .address_space:  global
        .offset:         0
        .size:           8
        .value_kind:     global_buffer
      - .actual_access:  read_only
        .address_space:  global
        .offset:         8
        .size:           8
        .value_kind:     global_buffer
      - .actual_access:  read_only
        .address_space:  global
        .offset:         16
        .size:           8
        .value_kind:     global_buffer
      - .offset:         24
        .size:           4
        .value_kind:     by_value
      - .offset:         28
        .size:           4
        .value_kind:     by_value
      - .actual_access:  read_only
        .address_space:  global
        .offset:         32
        .size:           8
        .value_kind:     global_buffer
      - .actual_access:  read_only
        .address_space:  global
        .offset:         40
        .size:           8
        .value_kind:     global_buffer
      - .actual_access:  read_only
        .address_space:  global
        .offset:         48
        .size:           8
        .value_kind:     global_buffer
      - .offset:         56
        .size:           4
        .value_kind:     by_value
      - .actual_access:  read_only
        .address_space:  global
        .offset:         64
        .size:           8
        .value_kind:     global_buffer
      - .offset:         72
        .size:           4
        .value_kind:     by_value
      - .offset:         76
        .size:           4
        .value_kind:     by_value
      - .offset:         80
        .size:           4
        .value_kind:     by_value
      - .actual_access:  write_only
        .address_space:  global
        .offset:         88
        .size:           8
        .value_kind:     global_buffer
      - .actual_access:  write_only
        .address_space:  global
        .offset:         96
        .size:           8
        .value_kind:     global_buffer
      - .actual_access:  write_only
        .address_space:  global
        .offset:         104
        .size:           8
        .value_kind:     global_buffer
      - .actual_access:  read_only
        .address_space:  global
        .offset:         112
        .size:           8
        .value_kind:     global_buffer
      - .offset:         120
        .size:           4
        .value_kind:     by_value
      - .address_space:  global
        .offset:         128
        .size:           8
        .value_kind:     global_buffer
      - .address_space:  global
        .offset:         136
        .size:           8
        .value_kind:     global_buffer
      - .offset:         144
        .size:           4
        .value_kind:     hidden_block_count_x
      - .offset:         148
        .size:           4
        .value_kind:     hidden_block_count_y
      - .offset:         152
        .size:           4
        .value_kind:     hidden_block_count_z
      - .offset:         156
        .size:           2
        .value_kind:     hidden_group_size_x
      - .offset:         158
        .size:           2
        .value_kind:     hidden_group_size_y
      - .offset:         160
        .size:           2
        .value_kind:     hidden_group_size_z
      - .offset:         162
        .size:           2
        .value_kind:     hidden_remainder_x
      - .offset:         164
        .size:           2
        .value_kind:     hidden_remainder_y
      - .offset:         166
        .size:           2
        .value_kind:     hidden_remainder_z
      - .offset:         184
        .size:           8
        .value_kind:     hidden_global_offset_x
      - .offset:         192
        .size:           8
        .value_kind:     hidden_global_offset_y
      - .offset:         200
        .size:           8
        .value_kind:     hidden_global_offset_z
      - .offset:         208
        .size:           2
        .value_kind:     hidden_grid_dims
    .group_segment_fixed_size: 8192
    .kernarg_segment_align: 8
    .kernarg_segment_size: 400
    .language:       OpenCL C
    .language_version:
      - 2
      - 0
    .max_flat_workgroup_size: 256
    .name:           _Z39paged_attention_ll4mi_QKV_mfma16_kernelIDF16_DF16_LN4vllm18Fp8KVCacheDataTypeE0EDF16_Li32ELi128ELi256ELb1ELi2EL8MFMAType0EEvPKT_PKT0_S8_ifPKiSA_SA_iPKfiiiPfSD_PS3_PT2_iSC_SC_
    .private_segment_fixed_size: 12
    .sgpr_count:     52
    .sgpr_spill_count: 0
    .symbol:         _Z39paged_attention_ll4mi_QKV_mfma16_kernelIDF16_DF16_LN4vllm18Fp8KVCacheDataTypeE0EDF16_Li32ELi128ELi256ELb1ELi2EL8MFMAType0EEvPKT_PKT0_S8_ifPKiSA_SA_iPKfiiiPfSD_PS3_PT2_iSC_SC_.kd
    .uniform_work_group_size: 1
    .uses_dynamic_stack: false
    .vgpr_count:     96
    .vgpr_spill_count: 2
    .wavefront_size: 64
  - .agpr_count:     0
    .args:
      - .actual_access:  read_only
        .address_space:  global
        .offset:         0
        .size:           8
        .value_kind:     global_buffer
      - .actual_access:  read_only
        .address_space:  global
        .offset:         8
        .size:           8
        .value_kind:     global_buffer
      - .actual_access:  read_only
        .address_space:  global
        .offset:         16
        .size:           8
        .value_kind:     global_buffer
      - .offset:         24
        .size:           4
        .value_kind:     by_value
      - .offset:         28
        .size:           4
        .value_kind:     by_value
      - .actual_access:  read_only
        .address_space:  global
        .offset:         32
        .size:           8
        .value_kind:     global_buffer
      - .actual_access:  read_only
        .address_space:  global
        .offset:         40
        .size:           8
        .value_kind:     global_buffer
      - .actual_access:  read_only
        .address_space:  global
        .offset:         48
        .size:           8
        .value_kind:     global_buffer
      - .offset:         56
        .size:           4
        .value_kind:     by_value
      - .actual_access:  read_only
        .address_space:  global
        .offset:         64
        .size:           8
        .value_kind:     global_buffer
      - .offset:         72
        .size:           4
        .value_kind:     by_value
      - .offset:         76
        .size:           4
        .value_kind:     by_value
      - .offset:         80
        .size:           4
        .value_kind:     by_value
      - .actual_access:  write_only
        .address_space:  global
        .offset:         88
        .size:           8
        .value_kind:     global_buffer
      - .actual_access:  write_only
        .address_space:  global
        .offset:         96
        .size:           8
        .value_kind:     global_buffer
      - .actual_access:  write_only
        .address_space:  global
        .offset:         104
        .size:           8
        .value_kind:     global_buffer
      - .actual_access:  read_only
        .address_space:  global
        .offset:         112
        .size:           8
        .value_kind:     global_buffer
      - .offset:         120
        .size:           4
        .value_kind:     by_value
      - .address_space:  global
        .offset:         128
        .size:           8
        .value_kind:     global_buffer
      - .address_space:  global
        .offset:         136
        .size:           8
        .value_kind:     global_buffer
      - .offset:         144
        .size:           4
        .value_kind:     hidden_block_count_x
      - .offset:         148
        .size:           4
        .value_kind:     hidden_block_count_y
      - .offset:         152
        .size:           4
        .value_kind:     hidden_block_count_z
      - .offset:         156
        .size:           2
        .value_kind:     hidden_group_size_x
      - .offset:         158
        .size:           2
        .value_kind:     hidden_group_size_y
      - .offset:         160
        .size:           2
        .value_kind:     hidden_group_size_z
      - .offset:         162
        .size:           2
        .value_kind:     hidden_remainder_x
      - .offset:         164
        .size:           2
        .value_kind:     hidden_remainder_y
      - .offset:         166
        .size:           2
        .value_kind:     hidden_remainder_z
      - .offset:         184
        .size:           8
        .value_kind:     hidden_global_offset_x
      - .offset:         192
        .size:           8
        .value_kind:     hidden_global_offset_y
      - .offset:         200
        .size:           8
        .value_kind:     hidden_global_offset_z
      - .offset:         208
        .size:           2
        .value_kind:     hidden_grid_dims
    .group_segment_fixed_size: 8192
    .kernarg_segment_align: 8
    .kernarg_segment_size: 400
    .language:       OpenCL C
    .language_version:
      - 2
      - 0
    .max_flat_workgroup_size: 256
    .name:           _Z39paged_attention_ll4mi_QKV_mfma16_kernelIDF16_DF16_LN4vllm18Fp8KVCacheDataTypeE0EDF16_Li32ELi128ELi256ELb1ELi3EL8MFMAType0EEvPKT_PKT0_S8_ifPKiSA_SA_iPKfiiiPfSD_PS3_PT2_iSC_SC_
    .private_segment_fixed_size: 16
    .sgpr_count:     52
    .sgpr_spill_count: 0
    .symbol:         _Z39paged_attention_ll4mi_QKV_mfma16_kernelIDF16_DF16_LN4vllm18Fp8KVCacheDataTypeE0EDF16_Li32ELi128ELi256ELb1ELi3EL8MFMAType0EEvPKT_PKT0_S8_ifPKiSA_SA_iPKfiiiPfSD_PS3_PT2_iSC_SC_.kd
    .uniform_work_group_size: 1
    .uses_dynamic_stack: false
    .vgpr_count:     96
    .vgpr_spill_count: 3
    .wavefront_size: 64
  - .agpr_count:     0
    .args:
      - .actual_access:  read_only
        .address_space:  global
        .offset:         0
        .size:           8
        .value_kind:     global_buffer
      - .actual_access:  read_only
        .address_space:  global
        .offset:         8
        .size:           8
        .value_kind:     global_buffer
      - .actual_access:  read_only
        .address_space:  global
        .offset:         16
        .size:           8
        .value_kind:     global_buffer
      - .offset:         24
        .size:           4
        .value_kind:     by_value
      - .offset:         28
        .size:           4
        .value_kind:     by_value
      - .actual_access:  read_only
        .address_space:  global
        .offset:         32
        .size:           8
        .value_kind:     global_buffer
      - .actual_access:  read_only
        .address_space:  global
        .offset:         40
        .size:           8
        .value_kind:     global_buffer
      - .actual_access:  read_only
        .address_space:  global
        .offset:         48
        .size:           8
        .value_kind:     global_buffer
      - .offset:         56
        .size:           4
        .value_kind:     by_value
      - .actual_access:  read_only
        .address_space:  global
        .offset:         64
        .size:           8
        .value_kind:     global_buffer
      - .offset:         72
        .size:           4
        .value_kind:     by_value
      - .offset:         76
        .size:           4
        .value_kind:     by_value
      - .offset:         80
        .size:           4
        .value_kind:     by_value
      - .actual_access:  write_only
        .address_space:  global
        .offset:         88
        .size:           8
        .value_kind:     global_buffer
      - .actual_access:  write_only
        .address_space:  global
        .offset:         96
        .size:           8
        .value_kind:     global_buffer
      - .actual_access:  write_only
        .address_space:  global
        .offset:         104
        .size:           8
        .value_kind:     global_buffer
      - .actual_access:  read_only
        .address_space:  global
        .offset:         112
        .size:           8
        .value_kind:     global_buffer
      - .offset:         120
        .size:           4
        .value_kind:     by_value
      - .address_space:  global
        .offset:         128
        .size:           8
        .value_kind:     global_buffer
      - .address_space:  global
        .offset:         136
        .size:           8
        .value_kind:     global_buffer
      - .offset:         144
        .size:           4
        .value_kind:     hidden_block_count_x
      - .offset:         148
        .size:           4
        .value_kind:     hidden_block_count_y
      - .offset:         152
        .size:           4
        .value_kind:     hidden_block_count_z
      - .offset:         156
        .size:           2
        .value_kind:     hidden_group_size_x
      - .offset:         158
        .size:           2
        .value_kind:     hidden_group_size_y
      - .offset:         160
        .size:           2
        .value_kind:     hidden_group_size_z
      - .offset:         162
        .size:           2
        .value_kind:     hidden_remainder_x
      - .offset:         164
        .size:           2
        .value_kind:     hidden_remainder_y
      - .offset:         166
        .size:           2
        .value_kind:     hidden_remainder_z
      - .offset:         184
        .size:           8
        .value_kind:     hidden_global_offset_x
      - .offset:         192
        .size:           8
        .value_kind:     hidden_global_offset_y
      - .offset:         200
        .size:           8
        .value_kind:     hidden_global_offset_z
      - .offset:         208
        .size:           2
        .value_kind:     hidden_grid_dims
    .group_segment_fixed_size: 8192
    .kernarg_segment_align: 8
    .kernarg_segment_size: 400
    .language:       OpenCL C
    .language_version:
      - 2
      - 0
    .max_flat_workgroup_size: 256
    .name:           _Z39paged_attention_ll4mi_QKV_mfma16_kernelIDF16_DF16_LN4vllm18Fp8KVCacheDataTypeE0EDF16_Li32ELi128ELi256ELb1ELi4EL8MFMAType0EEvPKT_PKT0_S8_ifPKiSA_SA_iPKfiiiPfSD_PS3_PT2_iSC_SC_
    .private_segment_fixed_size: 20
    .sgpr_count:     52
    .sgpr_spill_count: 0
    .symbol:         _Z39paged_attention_ll4mi_QKV_mfma16_kernelIDF16_DF16_LN4vllm18Fp8KVCacheDataTypeE0EDF16_Li32ELi128ELi256ELb1ELi4EL8MFMAType0EEvPKT_PKT0_S8_ifPKiSA_SA_iPKfiiiPfSD_PS3_PT2_iSC_SC_.kd
    .uniform_work_group_size: 1
    .uses_dynamic_stack: false
    .vgpr_count:     96
    .vgpr_spill_count: 4
    .wavefront_size: 64
  - .agpr_count:     8
    .args:
      - .actual_access:  read_only
        .address_space:  global
        .offset:         0
        .size:           8
        .value_kind:     global_buffer
      - .actual_access:  read_only
        .address_space:  global
        .offset:         8
        .size:           8
        .value_kind:     global_buffer
      - .actual_access:  read_only
        .address_space:  global
        .offset:         16
        .size:           8
        .value_kind:     global_buffer
      - .offset:         24
        .size:           4
        .value_kind:     by_value
      - .offset:         28
        .size:           4
        .value_kind:     by_value
      - .actual_access:  read_only
        .address_space:  global
        .offset:         32
        .size:           8
        .value_kind:     global_buffer
      - .actual_access:  read_only
        .address_space:  global
        .offset:         40
        .size:           8
        .value_kind:     global_buffer
      - .actual_access:  read_only
        .address_space:  global
        .offset:         48
        .size:           8
        .value_kind:     global_buffer
      - .offset:         56
        .size:           4
        .value_kind:     by_value
      - .actual_access:  read_only
        .address_space:  global
        .offset:         64
        .size:           8
        .value_kind:     global_buffer
      - .offset:         72
        .size:           4
        .value_kind:     by_value
      - .offset:         76
        .size:           4
        .value_kind:     by_value
      - .offset:         80
        .size:           4
        .value_kind:     by_value
      - .actual_access:  write_only
        .address_space:  global
        .offset:         88
        .size:           8
        .value_kind:     global_buffer
      - .actual_access:  write_only
        .address_space:  global
        .offset:         96
        .size:           8
        .value_kind:     global_buffer
      - .actual_access:  write_only
        .address_space:  global
        .offset:         104
        .size:           8
        .value_kind:     global_buffer
      - .actual_access:  read_only
        .address_space:  global
        .offset:         112
        .size:           8
        .value_kind:     global_buffer
      - .offset:         120
        .size:           4
        .value_kind:     by_value
      - .address_space:  global
        .offset:         128
        .size:           8
        .value_kind:     global_buffer
      - .address_space:  global
        .offset:         136
        .size:           8
        .value_kind:     global_buffer
      - .offset:         144
        .size:           4
        .value_kind:     hidden_block_count_x
      - .offset:         148
        .size:           4
        .value_kind:     hidden_block_count_y
      - .offset:         152
        .size:           4
        .value_kind:     hidden_block_count_z
      - .offset:         156
        .size:           2
        .value_kind:     hidden_group_size_x
      - .offset:         158
        .size:           2
        .value_kind:     hidden_group_size_y
      - .offset:         160
        .size:           2
        .value_kind:     hidden_group_size_z
      - .offset:         162
        .size:           2
        .value_kind:     hidden_remainder_x
      - .offset:         164
        .size:           2
        .value_kind:     hidden_remainder_y
      - .offset:         166
        .size:           2
        .value_kind:     hidden_remainder_z
      - .offset:         184
        .size:           8
        .value_kind:     hidden_global_offset_x
      - .offset:         192
        .size:           8
        .value_kind:     hidden_global_offset_y
      - .offset:         200
        .size:           8
        .value_kind:     hidden_global_offset_z
      - .offset:         208
        .size:           2
        .value_kind:     hidden_grid_dims
    .group_segment_fixed_size: 5280
    .kernarg_segment_align: 8
    .kernarg_segment_size: 400
    .language:       OpenCL C
    .language_version:
      - 2
      - 0
    .max_flat_workgroup_size: 256
    .name:           _Z38paged_attention_ll4mi_QKV_mfma4_kernelIDF16_DF16_LN4vllm18Fp8KVCacheDataTypeE0EDF16_Li32ELi128ELi256ELb0ELi1EEvPKT_PKT0_S7_ifPKiS9_S9_iPKfiiiPfSC_PS2_PT2_iSB_SB_
    .private_segment_fixed_size: 0
    .sgpr_count:     42
    .sgpr_spill_count: 0
    .symbol:         _Z38paged_attention_ll4mi_QKV_mfma4_kernelIDF16_DF16_LN4vllm18Fp8KVCacheDataTypeE0EDF16_Li32ELi128ELi256ELb0ELi1EEvPKT_PKT0_S7_ifPKiS9_S9_iPKfiiiPfSC_PS2_PT2_iSB_SB_.kd
    .uniform_work_group_size: 1
    .uses_dynamic_stack: false
    .vgpr_count:     100
    .vgpr_spill_count: 0
    .wavefront_size: 64
  - .agpr_count:     8
    .args:
      - .actual_access:  read_only
        .address_space:  global
        .offset:         0
        .size:           8
        .value_kind:     global_buffer
      - .actual_access:  read_only
        .address_space:  global
        .offset:         8
        .size:           8
        .value_kind:     global_buffer
      - .actual_access:  read_only
        .address_space:  global
        .offset:         16
        .size:           8
        .value_kind:     global_buffer
      - .offset:         24
        .size:           4
        .value_kind:     by_value
      - .offset:         28
        .size:           4
        .value_kind:     by_value
      - .actual_access:  read_only
        .address_space:  global
        .offset:         32
        .size:           8
        .value_kind:     global_buffer
      - .actual_access:  read_only
        .address_space:  global
        .offset:         40
        .size:           8
        .value_kind:     global_buffer
      - .actual_access:  read_only
        .address_space:  global
        .offset:         48
        .size:           8
        .value_kind:     global_buffer
      - .offset:         56
        .size:           4
        .value_kind:     by_value
      - .actual_access:  read_only
        .address_space:  global
        .offset:         64
        .size:           8
        .value_kind:     global_buffer
      - .offset:         72
        .size:           4
        .value_kind:     by_value
      - .offset:         76
        .size:           4
        .value_kind:     by_value
      - .offset:         80
        .size:           4
        .value_kind:     by_value
      - .actual_access:  write_only
        .address_space:  global
        .offset:         88
        .size:           8
        .value_kind:     global_buffer
      - .actual_access:  write_only
        .address_space:  global
        .offset:         96
        .size:           8
        .value_kind:     global_buffer
      - .actual_access:  write_only
        .address_space:  global
        .offset:         104
        .size:           8
        .value_kind:     global_buffer
      - .actual_access:  read_only
        .address_space:  global
        .offset:         112
        .size:           8
        .value_kind:     global_buffer
      - .offset:         120
        .size:           4
        .value_kind:     by_value
      - .address_space:  global
        .offset:         128
        .size:           8
        .value_kind:     global_buffer
      - .address_space:  global
        .offset:         136
        .size:           8
        .value_kind:     global_buffer
      - .offset:         144
        .size:           4
        .value_kind:     hidden_block_count_x
      - .offset:         148
        .size:           4
        .value_kind:     hidden_block_count_y
      - .offset:         152
        .size:           4
        .value_kind:     hidden_block_count_z
      - .offset:         156
        .size:           2
        .value_kind:     hidden_group_size_x
      - .offset:         158
        .size:           2
        .value_kind:     hidden_group_size_y
      - .offset:         160
        .size:           2
        .value_kind:     hidden_group_size_z
      - .offset:         162
        .size:           2
        .value_kind:     hidden_remainder_x
      - .offset:         164
        .size:           2
        .value_kind:     hidden_remainder_y
      - .offset:         166
        .size:           2
        .value_kind:     hidden_remainder_z
      - .offset:         184
        .size:           8
        .value_kind:     hidden_global_offset_x
      - .offset:         192
        .size:           8
        .value_kind:     hidden_global_offset_y
      - .offset:         200
        .size:           8
        .value_kind:     hidden_global_offset_z
      - .offset:         208
        .size:           2
        .value_kind:     hidden_grid_dims
    .group_segment_fixed_size: 5280
    .kernarg_segment_align: 8
    .kernarg_segment_size: 400
    .language:       OpenCL C
    .language_version:
      - 2
      - 0
    .max_flat_workgroup_size: 256
    .name:           _Z38paged_attention_ll4mi_QKV_mfma4_kernelIDF16_DF16_LN4vllm18Fp8KVCacheDataTypeE0EDF16_Li32ELi128ELi256ELb0ELi2EEvPKT_PKT0_S7_ifPKiS9_S9_iPKfiiiPfSC_PS2_PT2_iSB_SB_
    .private_segment_fixed_size: 0
    .sgpr_count:     42
    .sgpr_spill_count: 0
    .symbol:         _Z38paged_attention_ll4mi_QKV_mfma4_kernelIDF16_DF16_LN4vllm18Fp8KVCacheDataTypeE0EDF16_Li32ELi128ELi256ELb0ELi2EEvPKT_PKT0_S7_ifPKiS9_S9_iPKfiiiPfSC_PS2_PT2_iSB_SB_.kd
    .uniform_work_group_size: 1
    .uses_dynamic_stack: false
    .vgpr_count:     100
    .vgpr_spill_count: 0
    .wavefront_size: 64
  - .agpr_count:     8
    .args:
      - .actual_access:  read_only
        .address_space:  global
        .offset:         0
        .size:           8
        .value_kind:     global_buffer
      - .actual_access:  read_only
        .address_space:  global
        .offset:         8
        .size:           8
        .value_kind:     global_buffer
      - .actual_access:  read_only
        .address_space:  global
        .offset:         16
        .size:           8
        .value_kind:     global_buffer
      - .offset:         24
        .size:           4
        .value_kind:     by_value
      - .offset:         28
        .size:           4
        .value_kind:     by_value
      - .actual_access:  read_only
        .address_space:  global
        .offset:         32
        .size:           8
        .value_kind:     global_buffer
      - .actual_access:  read_only
        .address_space:  global
        .offset:         40
        .size:           8
        .value_kind:     global_buffer
      - .actual_access:  read_only
        .address_space:  global
        .offset:         48
        .size:           8
        .value_kind:     global_buffer
      - .offset:         56
        .size:           4
        .value_kind:     by_value
      - .actual_access:  read_only
        .address_space:  global
        .offset:         64
        .size:           8
        .value_kind:     global_buffer
      - .offset:         72
        .size:           4
        .value_kind:     by_value
      - .offset:         76
        .size:           4
        .value_kind:     by_value
      - .offset:         80
        .size:           4
        .value_kind:     by_value
      - .actual_access:  write_only
        .address_space:  global
        .offset:         88
        .size:           8
        .value_kind:     global_buffer
      - .actual_access:  write_only
        .address_space:  global
        .offset:         96
        .size:           8
        .value_kind:     global_buffer
      - .actual_access:  write_only
        .address_space:  global
        .offset:         104
        .size:           8
        .value_kind:     global_buffer
      - .actual_access:  read_only
        .address_space:  global
        .offset:         112
        .size:           8
        .value_kind:     global_buffer
      - .offset:         120
        .size:           4
        .value_kind:     by_value
      - .address_space:  global
        .offset:         128
        .size:           8
        .value_kind:     global_buffer
      - .address_space:  global
        .offset:         136
        .size:           8
        .value_kind:     global_buffer
      - .offset:         144
        .size:           4
        .value_kind:     hidden_block_count_x
      - .offset:         148
        .size:           4
        .value_kind:     hidden_block_count_y
      - .offset:         152
        .size:           4
        .value_kind:     hidden_block_count_z
      - .offset:         156
        .size:           2
        .value_kind:     hidden_group_size_x
      - .offset:         158
        .size:           2
        .value_kind:     hidden_group_size_y
      - .offset:         160
        .size:           2
        .value_kind:     hidden_group_size_z
      - .offset:         162
        .size:           2
        .value_kind:     hidden_remainder_x
      - .offset:         164
        .size:           2
        .value_kind:     hidden_remainder_y
      - .offset:         166
        .size:           2
        .value_kind:     hidden_remainder_z
      - .offset:         184
        .size:           8
        .value_kind:     hidden_global_offset_x
      - .offset:         192
        .size:           8
        .value_kind:     hidden_global_offset_y
      - .offset:         200
        .size:           8
        .value_kind:     hidden_global_offset_z
      - .offset:         208
        .size:           2
        .value_kind:     hidden_grid_dims
    .group_segment_fixed_size: 5280
    .kernarg_segment_align: 8
    .kernarg_segment_size: 400
    .language:       OpenCL C
    .language_version:
      - 2
      - 0
    .max_flat_workgroup_size: 256
    .name:           _Z38paged_attention_ll4mi_QKV_mfma4_kernelIDF16_DF16_LN4vllm18Fp8KVCacheDataTypeE0EDF16_Li32ELi128ELi256ELb0ELi3EEvPKT_PKT0_S7_ifPKiS9_S9_iPKfiiiPfSC_PS2_PT2_iSB_SB_
    .private_segment_fixed_size: 0
    .sgpr_count:     42
    .sgpr_spill_count: 0
    .symbol:         _Z38paged_attention_ll4mi_QKV_mfma4_kernelIDF16_DF16_LN4vllm18Fp8KVCacheDataTypeE0EDF16_Li32ELi128ELi256ELb0ELi3EEvPKT_PKT0_S7_ifPKiS9_S9_iPKfiiiPfSC_PS2_PT2_iSB_SB_.kd
    .uniform_work_group_size: 1
    .uses_dynamic_stack: false
    .vgpr_count:     100
    .vgpr_spill_count: 0
    .wavefront_size: 64
  - .agpr_count:     8
    .args:
      - .actual_access:  read_only
        .address_space:  global
        .offset:         0
        .size:           8
        .value_kind:     global_buffer
      - .actual_access:  read_only
        .address_space:  global
        .offset:         8
        .size:           8
        .value_kind:     global_buffer
      - .actual_access:  read_only
        .address_space:  global
        .offset:         16
        .size:           8
        .value_kind:     global_buffer
      - .offset:         24
        .size:           4
        .value_kind:     by_value
      - .offset:         28
        .size:           4
        .value_kind:     by_value
      - .actual_access:  read_only
        .address_space:  global
        .offset:         32
        .size:           8
        .value_kind:     global_buffer
      - .actual_access:  read_only
        .address_space:  global
        .offset:         40
        .size:           8
        .value_kind:     global_buffer
      - .actual_access:  read_only
        .address_space:  global
        .offset:         48
        .size:           8
        .value_kind:     global_buffer
      - .offset:         56
        .size:           4
        .value_kind:     by_value
      - .actual_access:  read_only
        .address_space:  global
        .offset:         64
        .size:           8
        .value_kind:     global_buffer
      - .offset:         72
        .size:           4
        .value_kind:     by_value
      - .offset:         76
        .size:           4
        .value_kind:     by_value
      - .offset:         80
        .size:           4
        .value_kind:     by_value
      - .actual_access:  write_only
        .address_space:  global
        .offset:         88
        .size:           8
        .value_kind:     global_buffer
      - .actual_access:  write_only
        .address_space:  global
        .offset:         96
        .size:           8
        .value_kind:     global_buffer
      - .actual_access:  write_only
        .address_space:  global
        .offset:         104
        .size:           8
        .value_kind:     global_buffer
      - .actual_access:  read_only
        .address_space:  global
        .offset:         112
        .size:           8
        .value_kind:     global_buffer
      - .offset:         120
        .size:           4
        .value_kind:     by_value
      - .address_space:  global
        .offset:         128
        .size:           8
        .value_kind:     global_buffer
      - .address_space:  global
        .offset:         136
        .size:           8
        .value_kind:     global_buffer
      - .offset:         144
        .size:           4
        .value_kind:     hidden_block_count_x
      - .offset:         148
        .size:           4
        .value_kind:     hidden_block_count_y
      - .offset:         152
        .size:           4
        .value_kind:     hidden_block_count_z
      - .offset:         156
        .size:           2
        .value_kind:     hidden_group_size_x
      - .offset:         158
        .size:           2
        .value_kind:     hidden_group_size_y
      - .offset:         160
        .size:           2
        .value_kind:     hidden_group_size_z
      - .offset:         162
        .size:           2
        .value_kind:     hidden_remainder_x
      - .offset:         164
        .size:           2
        .value_kind:     hidden_remainder_y
      - .offset:         166
        .size:           2
        .value_kind:     hidden_remainder_z
      - .offset:         184
        .size:           8
        .value_kind:     hidden_global_offset_x
      - .offset:         192
        .size:           8
        .value_kind:     hidden_global_offset_y
      - .offset:         200
        .size:           8
        .value_kind:     hidden_global_offset_z
      - .offset:         208
        .size:           2
        .value_kind:     hidden_grid_dims
    .group_segment_fixed_size: 5280
    .kernarg_segment_align: 8
    .kernarg_segment_size: 400
    .language:       OpenCL C
    .language_version:
      - 2
      - 0
    .max_flat_workgroup_size: 256
    .name:           _Z38paged_attention_ll4mi_QKV_mfma4_kernelIDF16_DF16_LN4vllm18Fp8KVCacheDataTypeE0EDF16_Li32ELi128ELi256ELb0ELi4EEvPKT_PKT0_S7_ifPKiS9_S9_iPKfiiiPfSC_PS2_PT2_iSB_SB_
    .private_segment_fixed_size: 0
    .sgpr_count:     42
    .sgpr_spill_count: 0
    .symbol:         _Z38paged_attention_ll4mi_QKV_mfma4_kernelIDF16_DF16_LN4vllm18Fp8KVCacheDataTypeE0EDF16_Li32ELi128ELi256ELb0ELi4EEvPKT_PKT0_S7_ifPKiS9_S9_iPKfiiiPfSC_PS2_PT2_iSB_SB_.kd
    .uniform_work_group_size: 1
    .uses_dynamic_stack: false
    .vgpr_count:     100
    .vgpr_spill_count: 0
    .wavefront_size: 64
  - .agpr_count:     0
    .args:
      - .actual_access:  read_only
        .address_space:  global
        .offset:         0
        .size:           8
        .value_kind:     global_buffer
      - .actual_access:  read_only
        .address_space:  global
        .offset:         8
        .size:           8
        .value_kind:     global_buffer
      - .actual_access:  read_only
        .address_space:  global
        .offset:         16
        .size:           8
        .value_kind:     global_buffer
      - .offset:         24
        .size:           4
        .value_kind:     by_value
      - .offset:         28
        .size:           4
        .value_kind:     by_value
      - .actual_access:  read_only
        .address_space:  global
        .offset:         32
        .size:           8
        .value_kind:     global_buffer
      - .actual_access:  read_only
        .address_space:  global
        .offset:         40
        .size:           8
        .value_kind:     global_buffer
      - .actual_access:  read_only
        .address_space:  global
        .offset:         48
        .size:           8
        .value_kind:     global_buffer
      - .offset:         56
        .size:           4
        .value_kind:     by_value
      - .actual_access:  read_only
        .address_space:  global
        .offset:         64
        .size:           8
        .value_kind:     global_buffer
      - .offset:         72
        .size:           4
        .value_kind:     by_value
      - .offset:         76
        .size:           4
        .value_kind:     by_value
      - .offset:         80
        .size:           4
        .value_kind:     by_value
      - .actual_access:  write_only
        .address_space:  global
        .offset:         88
        .size:           8
        .value_kind:     global_buffer
      - .actual_access:  write_only
        .address_space:  global
        .offset:         96
        .size:           8
        .value_kind:     global_buffer
      - .actual_access:  write_only
        .address_space:  global
        .offset:         104
        .size:           8
        .value_kind:     global_buffer
      - .actual_access:  read_only
        .address_space:  global
        .offset:         112
        .size:           8
        .value_kind:     global_buffer
      - .offset:         120
        .size:           4
        .value_kind:     by_value
      - .address_space:  global
        .offset:         128
        .size:           8
        .value_kind:     global_buffer
      - .address_space:  global
        .offset:         136
        .size:           8
        .value_kind:     global_buffer
      - .offset:         144
        .size:           4
        .value_kind:     hidden_block_count_x
      - .offset:         148
        .size:           4
        .value_kind:     hidden_block_count_y
      - .offset:         152
        .size:           4
        .value_kind:     hidden_block_count_z
      - .offset:         156
        .size:           2
        .value_kind:     hidden_group_size_x
      - .offset:         158
        .size:           2
        .value_kind:     hidden_group_size_y
      - .offset:         160
        .size:           2
        .value_kind:     hidden_group_size_z
      - .offset:         162
        .size:           2
        .value_kind:     hidden_remainder_x
      - .offset:         164
        .size:           2
        .value_kind:     hidden_remainder_y
      - .offset:         166
        .size:           2
        .value_kind:     hidden_remainder_z
      - .offset:         184
        .size:           8
        .value_kind:     hidden_global_offset_x
      - .offset:         192
        .size:           8
        .value_kind:     hidden_global_offset_y
      - .offset:         200
        .size:           8
        .value_kind:     hidden_global_offset_z
      - .offset:         208
        .size:           2
        .value_kind:     hidden_grid_dims
    .group_segment_fixed_size: 8192
    .kernarg_segment_align: 8
    .kernarg_segment_size: 400
    .language:       OpenCL C
    .language_version:
      - 2
      - 0
    .max_flat_workgroup_size: 256
    .name:           _Z39paged_attention_ll4mi_QKV_mfma16_kernelIDF16_DF16_LN4vllm18Fp8KVCacheDataTypeE0EDF16_Li32ELi128ELi256ELb0ELi5EL8MFMAType0EEvPKT_PKT0_S8_ifPKiSA_SA_iPKfiiiPfSD_PS3_PT2_iSC_SC_
    .private_segment_fixed_size: 12
    .sgpr_count:     52
    .sgpr_spill_count: 0
    .symbol:         _Z39paged_attention_ll4mi_QKV_mfma16_kernelIDF16_DF16_LN4vllm18Fp8KVCacheDataTypeE0EDF16_Li32ELi128ELi256ELb0ELi5EL8MFMAType0EEvPKT_PKT0_S8_ifPKiSA_SA_iPKfiiiPfSD_PS3_PT2_iSC_SC_.kd
    .uniform_work_group_size: 1
    .uses_dynamic_stack: false
    .vgpr_count:     96
    .vgpr_spill_count: 2
    .wavefront_size: 64
  - .agpr_count:     0
    .args:
      - .actual_access:  read_only
        .address_space:  global
        .offset:         0
        .size:           8
        .value_kind:     global_buffer
      - .actual_access:  read_only
        .address_space:  global
        .offset:         8
        .size:           8
        .value_kind:     global_buffer
      - .actual_access:  read_only
        .address_space:  global
        .offset:         16
        .size:           8
        .value_kind:     global_buffer
      - .offset:         24
        .size:           4
        .value_kind:     by_value
      - .offset:         28
        .size:           4
        .value_kind:     by_value
      - .actual_access:  read_only
        .address_space:  global
        .offset:         32
        .size:           8
        .value_kind:     global_buffer
      - .actual_access:  read_only
        .address_space:  global
        .offset:         40
        .size:           8
        .value_kind:     global_buffer
      - .actual_access:  read_only
        .address_space:  global
        .offset:         48
        .size:           8
        .value_kind:     global_buffer
      - .offset:         56
        .size:           4
        .value_kind:     by_value
      - .actual_access:  read_only
        .address_space:  global
        .offset:         64
        .size:           8
        .value_kind:     global_buffer
      - .offset:         72
        .size:           4
        .value_kind:     by_value
      - .offset:         76
        .size:           4
        .value_kind:     by_value
      - .offset:         80
        .size:           4
        .value_kind:     by_value
      - .actual_access:  write_only
        .address_space:  global
        .offset:         88
        .size:           8
        .value_kind:     global_buffer
      - .actual_access:  write_only
        .address_space:  global
        .offset:         96
        .size:           8
        .value_kind:     global_buffer
      - .actual_access:  write_only
        .address_space:  global
        .offset:         104
        .size:           8
        .value_kind:     global_buffer
      - .actual_access:  read_only
        .address_space:  global
        .offset:         112
        .size:           8
        .value_kind:     global_buffer
      - .offset:         120
        .size:           4
        .value_kind:     by_value
      - .address_space:  global
        .offset:         128
        .size:           8
        .value_kind:     global_buffer
      - .address_space:  global
        .offset:         136
        .size:           8
        .value_kind:     global_buffer
      - .offset:         144
        .size:           4
        .value_kind:     hidden_block_count_x
      - .offset:         148
        .size:           4
        .value_kind:     hidden_block_count_y
      - .offset:         152
        .size:           4
        .value_kind:     hidden_block_count_z
      - .offset:         156
        .size:           2
        .value_kind:     hidden_group_size_x
      - .offset:         158
        .size:           2
        .value_kind:     hidden_group_size_y
      - .offset:         160
        .size:           2
        .value_kind:     hidden_group_size_z
      - .offset:         162
        .size:           2
        .value_kind:     hidden_remainder_x
      - .offset:         164
        .size:           2
        .value_kind:     hidden_remainder_y
      - .offset:         166
        .size:           2
        .value_kind:     hidden_remainder_z
      - .offset:         184
        .size:           8
        .value_kind:     hidden_global_offset_x
      - .offset:         192
        .size:           8
        .value_kind:     hidden_global_offset_y
      - .offset:         200
        .size:           8
        .value_kind:     hidden_global_offset_z
      - .offset:         208
        .size:           2
        .value_kind:     hidden_grid_dims
    .group_segment_fixed_size: 8192
    .kernarg_segment_align: 8
    .kernarg_segment_size: 400
    .language:       OpenCL C
    .language_version:
      - 2
      - 0
    .max_flat_workgroup_size: 256
    .name:           _Z39paged_attention_ll4mi_QKV_mfma16_kernelIDF16_DF16_LN4vllm18Fp8KVCacheDataTypeE0EDF16_Li32ELi128ELi256ELb0ELi6EL8MFMAType0EEvPKT_PKT0_S8_ifPKiSA_SA_iPKfiiiPfSD_PS3_PT2_iSC_SC_
    .private_segment_fixed_size: 12
    .sgpr_count:     52
    .sgpr_spill_count: 0
    .symbol:         _Z39paged_attention_ll4mi_QKV_mfma16_kernelIDF16_DF16_LN4vllm18Fp8KVCacheDataTypeE0EDF16_Li32ELi128ELi256ELb0ELi6EL8MFMAType0EEvPKT_PKT0_S8_ifPKiSA_SA_iPKfiiiPfSD_PS3_PT2_iSC_SC_.kd
    .uniform_work_group_size: 1
    .uses_dynamic_stack: false
    .vgpr_count:     96
    .vgpr_spill_count: 2
    .wavefront_size: 64
  - .agpr_count:     0
    .args:
      - .actual_access:  read_only
        .address_space:  global
        .offset:         0
        .size:           8
        .value_kind:     global_buffer
      - .actual_access:  read_only
        .address_space:  global
        .offset:         8
        .size:           8
        .value_kind:     global_buffer
      - .actual_access:  read_only
        .address_space:  global
        .offset:         16
        .size:           8
        .value_kind:     global_buffer
      - .offset:         24
        .size:           4
        .value_kind:     by_value
      - .offset:         28
        .size:           4
        .value_kind:     by_value
      - .actual_access:  read_only
        .address_space:  global
        .offset:         32
        .size:           8
        .value_kind:     global_buffer
      - .actual_access:  read_only
        .address_space:  global
        .offset:         40
        .size:           8
        .value_kind:     global_buffer
      - .actual_access:  read_only
        .address_space:  global
        .offset:         48
        .size:           8
        .value_kind:     global_buffer
      - .offset:         56
        .size:           4
        .value_kind:     by_value
      - .actual_access:  read_only
        .address_space:  global
        .offset:         64
        .size:           8
        .value_kind:     global_buffer
      - .offset:         72
        .size:           4
        .value_kind:     by_value
      - .offset:         76
        .size:           4
        .value_kind:     by_value
      - .offset:         80
        .size:           4
        .value_kind:     by_value
      - .actual_access:  write_only
        .address_space:  global
        .offset:         88
        .size:           8
        .value_kind:     global_buffer
      - .actual_access:  write_only
        .address_space:  global
        .offset:         96
        .size:           8
        .value_kind:     global_buffer
      - .actual_access:  write_only
        .address_space:  global
        .offset:         104
        .size:           8
        .value_kind:     global_buffer
      - .actual_access:  read_only
        .address_space:  global
        .offset:         112
        .size:           8
        .value_kind:     global_buffer
      - .offset:         120
        .size:           4
        .value_kind:     by_value
      - .address_space:  global
        .offset:         128
        .size:           8
        .value_kind:     global_buffer
      - .address_space:  global
        .offset:         136
        .size:           8
        .value_kind:     global_buffer
      - .offset:         144
        .size:           4
        .value_kind:     hidden_block_count_x
      - .offset:         148
        .size:           4
        .value_kind:     hidden_block_count_y
      - .offset:         152
        .size:           4
        .value_kind:     hidden_block_count_z
      - .offset:         156
        .size:           2
        .value_kind:     hidden_group_size_x
      - .offset:         158
        .size:           2
        .value_kind:     hidden_group_size_y
      - .offset:         160
        .size:           2
        .value_kind:     hidden_group_size_z
      - .offset:         162
        .size:           2
        .value_kind:     hidden_remainder_x
      - .offset:         164
        .size:           2
        .value_kind:     hidden_remainder_y
      - .offset:         166
        .size:           2
        .value_kind:     hidden_remainder_z
      - .offset:         184
        .size:           8
        .value_kind:     hidden_global_offset_x
      - .offset:         192
        .size:           8
        .value_kind:     hidden_global_offset_y
      - .offset:         200
        .size:           8
        .value_kind:     hidden_global_offset_z
      - .offset:         208
        .size:           2
        .value_kind:     hidden_grid_dims
    .group_segment_fixed_size: 8192
    .kernarg_segment_align: 8
    .kernarg_segment_size: 400
    .language:       OpenCL C
    .language_version:
      - 2
      - 0
    .max_flat_workgroup_size: 256
    .name:           _Z39paged_attention_ll4mi_QKV_mfma16_kernelIDF16_DF16_LN4vllm18Fp8KVCacheDataTypeE0EDF16_Li32ELi128ELi256ELb0ELi7EL8MFMAType0EEvPKT_PKT0_S8_ifPKiSA_SA_iPKfiiiPfSD_PS3_PT2_iSC_SC_
    .private_segment_fixed_size: 12
    .sgpr_count:     52
    .sgpr_spill_count: 0
    .symbol:         _Z39paged_attention_ll4mi_QKV_mfma16_kernelIDF16_DF16_LN4vllm18Fp8KVCacheDataTypeE0EDF16_Li32ELi128ELi256ELb0ELi7EL8MFMAType0EEvPKT_PKT0_S8_ifPKiSA_SA_iPKfiiiPfSD_PS3_PT2_iSC_SC_.kd
    .uniform_work_group_size: 1
    .uses_dynamic_stack: false
    .vgpr_count:     96
    .vgpr_spill_count: 2
    .wavefront_size: 64
  - .agpr_count:     0
    .args:
      - .actual_access:  read_only
        .address_space:  global
        .offset:         0
        .size:           8
        .value_kind:     global_buffer
      - .actual_access:  read_only
        .address_space:  global
        .offset:         8
        .size:           8
        .value_kind:     global_buffer
      - .actual_access:  read_only
        .address_space:  global
        .offset:         16
        .size:           8
        .value_kind:     global_buffer
      - .offset:         24
        .size:           4
        .value_kind:     by_value
      - .offset:         28
        .size:           4
        .value_kind:     by_value
      - .actual_access:  read_only
        .address_space:  global
        .offset:         32
        .size:           8
        .value_kind:     global_buffer
      - .actual_access:  read_only
        .address_space:  global
        .offset:         40
        .size:           8
        .value_kind:     global_buffer
      - .actual_access:  read_only
        .address_space:  global
        .offset:         48
        .size:           8
        .value_kind:     global_buffer
      - .offset:         56
        .size:           4
        .value_kind:     by_value
      - .actual_access:  read_only
        .address_space:  global
        .offset:         64
        .size:           8
        .value_kind:     global_buffer
      - .offset:         72
        .size:           4
        .value_kind:     by_value
      - .offset:         76
        .size:           4
        .value_kind:     by_value
      - .offset:         80
        .size:           4
        .value_kind:     by_value
      - .actual_access:  write_only
        .address_space:  global
        .offset:         88
        .size:           8
        .value_kind:     global_buffer
      - .actual_access:  write_only
        .address_space:  global
        .offset:         96
        .size:           8
        .value_kind:     global_buffer
      - .actual_access:  write_only
        .address_space:  global
        .offset:         104
        .size:           8
        .value_kind:     global_buffer
      - .actual_access:  read_only
        .address_space:  global
        .offset:         112
        .size:           8
        .value_kind:     global_buffer
      - .offset:         120
        .size:           4
        .value_kind:     by_value
      - .address_space:  global
        .offset:         128
        .size:           8
        .value_kind:     global_buffer
      - .address_space:  global
        .offset:         136
        .size:           8
        .value_kind:     global_buffer
      - .offset:         144
        .size:           4
        .value_kind:     hidden_block_count_x
      - .offset:         148
        .size:           4
        .value_kind:     hidden_block_count_y
      - .offset:         152
        .size:           4
        .value_kind:     hidden_block_count_z
      - .offset:         156
        .size:           2
        .value_kind:     hidden_group_size_x
      - .offset:         158
        .size:           2
        .value_kind:     hidden_group_size_y
      - .offset:         160
        .size:           2
        .value_kind:     hidden_group_size_z
      - .offset:         162
        .size:           2
        .value_kind:     hidden_remainder_x
      - .offset:         164
        .size:           2
        .value_kind:     hidden_remainder_y
      - .offset:         166
        .size:           2
        .value_kind:     hidden_remainder_z
      - .offset:         184
        .size:           8
        .value_kind:     hidden_global_offset_x
      - .offset:         192
        .size:           8
        .value_kind:     hidden_global_offset_y
      - .offset:         200
        .size:           8
        .value_kind:     hidden_global_offset_z
      - .offset:         208
        .size:           2
        .value_kind:     hidden_grid_dims
    .group_segment_fixed_size: 8192
    .kernarg_segment_align: 8
    .kernarg_segment_size: 400
    .language:       OpenCL C
    .language_version:
      - 2
      - 0
    .max_flat_workgroup_size: 256
    .name:           _Z39paged_attention_ll4mi_QKV_mfma16_kernelIDF16_DF16_LN4vllm18Fp8KVCacheDataTypeE0EDF16_Li32ELi128ELi256ELb0ELi8EL8MFMAType0EEvPKT_PKT0_S8_ifPKiSA_SA_iPKfiiiPfSD_PS3_PT2_iSC_SC_
    .private_segment_fixed_size: 12
    .sgpr_count:     52
    .sgpr_spill_count: 0
    .symbol:         _Z39paged_attention_ll4mi_QKV_mfma16_kernelIDF16_DF16_LN4vllm18Fp8KVCacheDataTypeE0EDF16_Li32ELi128ELi256ELb0ELi8EL8MFMAType0EEvPKT_PKT0_S8_ifPKiSA_SA_iPKfiiiPfSD_PS3_PT2_iSC_SC_.kd
    .uniform_work_group_size: 1
    .uses_dynamic_stack: false
    .vgpr_count:     96
    .vgpr_spill_count: 2
    .wavefront_size: 64
  - .agpr_count:     0
    .args:
      - .actual_access:  read_only
        .address_space:  global
        .offset:         0
        .size:           8
        .value_kind:     global_buffer
      - .actual_access:  read_only
        .address_space:  global
        .offset:         8
        .size:           8
        .value_kind:     global_buffer
      - .actual_access:  read_only
        .address_space:  global
        .offset:         16
        .size:           8
        .value_kind:     global_buffer
      - .offset:         24
        .size:           4
        .value_kind:     by_value
      - .offset:         28
        .size:           4
        .value_kind:     by_value
      - .actual_access:  read_only
        .address_space:  global
        .offset:         32
        .size:           8
        .value_kind:     global_buffer
      - .actual_access:  read_only
        .address_space:  global
        .offset:         40
        .size:           8
        .value_kind:     global_buffer
      - .actual_access:  read_only
        .address_space:  global
        .offset:         48
        .size:           8
        .value_kind:     global_buffer
      - .offset:         56
        .size:           4
        .value_kind:     by_value
      - .actual_access:  read_only
        .address_space:  global
        .offset:         64
        .size:           8
        .value_kind:     global_buffer
      - .offset:         72
        .size:           4
        .value_kind:     by_value
      - .offset:         76
        .size:           4
        .value_kind:     by_value
      - .offset:         80
        .size:           4
        .value_kind:     by_value
      - .actual_access:  write_only
        .address_space:  global
        .offset:         88
        .size:           8
        .value_kind:     global_buffer
      - .actual_access:  write_only
        .address_space:  global
        .offset:         96
        .size:           8
        .value_kind:     global_buffer
      - .actual_access:  write_only
        .address_space:  global
        .offset:         104
        .size:           8
        .value_kind:     global_buffer
      - .actual_access:  read_only
        .address_space:  global
        .offset:         112
        .size:           8
        .value_kind:     global_buffer
      - .offset:         120
        .size:           4
        .value_kind:     by_value
      - .address_space:  global
        .offset:         128
        .size:           8
        .value_kind:     global_buffer
      - .address_space:  global
        .offset:         136
        .size:           8
        .value_kind:     global_buffer
      - .offset:         144
        .size:           4
        .value_kind:     hidden_block_count_x
      - .offset:         148
        .size:           4
        .value_kind:     hidden_block_count_y
      - .offset:         152
        .size:           4
        .value_kind:     hidden_block_count_z
      - .offset:         156
        .size:           2
        .value_kind:     hidden_group_size_x
      - .offset:         158
        .size:           2
        .value_kind:     hidden_group_size_y
      - .offset:         160
        .size:           2
        .value_kind:     hidden_group_size_z
      - .offset:         162
        .size:           2
        .value_kind:     hidden_remainder_x
      - .offset:         164
        .size:           2
        .value_kind:     hidden_remainder_y
      - .offset:         166
        .size:           2
        .value_kind:     hidden_remainder_z
      - .offset:         184
        .size:           8
        .value_kind:     hidden_global_offset_x
      - .offset:         192
        .size:           8
        .value_kind:     hidden_global_offset_y
      - .offset:         200
        .size:           8
        .value_kind:     hidden_global_offset_z
      - .offset:         208
        .size:           2
        .value_kind:     hidden_grid_dims
    .group_segment_fixed_size: 8192
    .kernarg_segment_align: 8
    .kernarg_segment_size: 400
    .language:       OpenCL C
    .language_version:
      - 2
      - 0
    .max_flat_workgroup_size: 256
    .name:           _Z39paged_attention_ll4mi_QKV_mfma16_kernelIDF16_DF16_LN4vllm18Fp8KVCacheDataTypeE0EDF16_Li32ELi128ELi256ELb0ELi9EL8MFMAType0EEvPKT_PKT0_S8_ifPKiSA_SA_iPKfiiiPfSD_PS3_PT2_iSC_SC_
    .private_segment_fixed_size: 12
    .sgpr_count:     52
    .sgpr_spill_count: 0
    .symbol:         _Z39paged_attention_ll4mi_QKV_mfma16_kernelIDF16_DF16_LN4vllm18Fp8KVCacheDataTypeE0EDF16_Li32ELi128ELi256ELb0ELi9EL8MFMAType0EEvPKT_PKT0_S8_ifPKiSA_SA_iPKfiiiPfSD_PS3_PT2_iSC_SC_.kd
    .uniform_work_group_size: 1
    .uses_dynamic_stack: false
    .vgpr_count:     96
    .vgpr_spill_count: 2
    .wavefront_size: 64
  - .agpr_count:     0
    .args:
      - .actual_access:  read_only
        .address_space:  global
        .offset:         0
        .size:           8
        .value_kind:     global_buffer
      - .actual_access:  read_only
        .address_space:  global
        .offset:         8
        .size:           8
        .value_kind:     global_buffer
      - .actual_access:  read_only
        .address_space:  global
        .offset:         16
        .size:           8
        .value_kind:     global_buffer
      - .offset:         24
        .size:           4
        .value_kind:     by_value
      - .offset:         28
        .size:           4
        .value_kind:     by_value
      - .actual_access:  read_only
        .address_space:  global
        .offset:         32
        .size:           8
        .value_kind:     global_buffer
      - .actual_access:  read_only
        .address_space:  global
        .offset:         40
        .size:           8
        .value_kind:     global_buffer
      - .actual_access:  read_only
        .address_space:  global
        .offset:         48
        .size:           8
        .value_kind:     global_buffer
      - .offset:         56
        .size:           4
        .value_kind:     by_value
      - .actual_access:  read_only
        .address_space:  global
        .offset:         64
        .size:           8
        .value_kind:     global_buffer
      - .offset:         72
        .size:           4
        .value_kind:     by_value
      - .offset:         76
        .size:           4
        .value_kind:     by_value
      - .offset:         80
        .size:           4
        .value_kind:     by_value
      - .actual_access:  write_only
        .address_space:  global
        .offset:         88
        .size:           8
        .value_kind:     global_buffer
      - .actual_access:  write_only
        .address_space:  global
        .offset:         96
        .size:           8
        .value_kind:     global_buffer
      - .actual_access:  write_only
        .address_space:  global
        .offset:         104
        .size:           8
        .value_kind:     global_buffer
      - .actual_access:  read_only
        .address_space:  global
        .offset:         112
        .size:           8
        .value_kind:     global_buffer
      - .offset:         120
        .size:           4
        .value_kind:     by_value
      - .address_space:  global
        .offset:         128
        .size:           8
        .value_kind:     global_buffer
      - .address_space:  global
        .offset:         136
        .size:           8
        .value_kind:     global_buffer
      - .offset:         144
        .size:           4
        .value_kind:     hidden_block_count_x
      - .offset:         148
        .size:           4
        .value_kind:     hidden_block_count_y
      - .offset:         152
        .size:           4
        .value_kind:     hidden_block_count_z
      - .offset:         156
        .size:           2
        .value_kind:     hidden_group_size_x
      - .offset:         158
        .size:           2
        .value_kind:     hidden_group_size_y
      - .offset:         160
        .size:           2
        .value_kind:     hidden_group_size_z
      - .offset:         162
        .size:           2
        .value_kind:     hidden_remainder_x
      - .offset:         164
        .size:           2
        .value_kind:     hidden_remainder_y
      - .offset:         166
        .size:           2
        .value_kind:     hidden_remainder_z
      - .offset:         184
        .size:           8
        .value_kind:     hidden_global_offset_x
      - .offset:         192
        .size:           8
        .value_kind:     hidden_global_offset_y
      - .offset:         200
        .size:           8
        .value_kind:     hidden_global_offset_z
      - .offset:         208
        .size:           2
        .value_kind:     hidden_grid_dims
    .group_segment_fixed_size: 8192
    .kernarg_segment_align: 8
    .kernarg_segment_size: 400
    .language:       OpenCL C
    .language_version:
      - 2
      - 0
    .max_flat_workgroup_size: 256
    .name:           _Z39paged_attention_ll4mi_QKV_mfma16_kernelIDF16_DF16_LN4vllm18Fp8KVCacheDataTypeE0EDF16_Li32ELi128ELi256ELb0ELi10EL8MFMAType0EEvPKT_PKT0_S8_ifPKiSA_SA_iPKfiiiPfSD_PS3_PT2_iSC_SC_
    .private_segment_fixed_size: 12
    .sgpr_count:     52
    .sgpr_spill_count: 0
    .symbol:         _Z39paged_attention_ll4mi_QKV_mfma16_kernelIDF16_DF16_LN4vllm18Fp8KVCacheDataTypeE0EDF16_Li32ELi128ELi256ELb0ELi10EL8MFMAType0EEvPKT_PKT0_S8_ifPKiSA_SA_iPKfiiiPfSD_PS3_PT2_iSC_SC_.kd
    .uniform_work_group_size: 1
    .uses_dynamic_stack: false
    .vgpr_count:     96
    .vgpr_spill_count: 2
    .wavefront_size: 64
  - .agpr_count:     0
    .args:
      - .actual_access:  read_only
        .address_space:  global
        .offset:         0
        .size:           8
        .value_kind:     global_buffer
      - .actual_access:  read_only
        .address_space:  global
        .offset:         8
        .size:           8
        .value_kind:     global_buffer
      - .actual_access:  read_only
        .address_space:  global
        .offset:         16
        .size:           8
        .value_kind:     global_buffer
      - .offset:         24
        .size:           4
        .value_kind:     by_value
      - .offset:         28
        .size:           4
        .value_kind:     by_value
      - .actual_access:  read_only
        .address_space:  global
        .offset:         32
        .size:           8
        .value_kind:     global_buffer
      - .actual_access:  read_only
        .address_space:  global
        .offset:         40
        .size:           8
        .value_kind:     global_buffer
      - .actual_access:  read_only
        .address_space:  global
        .offset:         48
        .size:           8
        .value_kind:     global_buffer
      - .offset:         56
        .size:           4
        .value_kind:     by_value
      - .actual_access:  read_only
        .address_space:  global
        .offset:         64
        .size:           8
        .value_kind:     global_buffer
      - .offset:         72
        .size:           4
        .value_kind:     by_value
      - .offset:         76
        .size:           4
        .value_kind:     by_value
      - .offset:         80
        .size:           4
        .value_kind:     by_value
      - .actual_access:  write_only
        .address_space:  global
        .offset:         88
        .size:           8
        .value_kind:     global_buffer
      - .actual_access:  write_only
        .address_space:  global
        .offset:         96
        .size:           8
        .value_kind:     global_buffer
      - .actual_access:  write_only
        .address_space:  global
        .offset:         104
        .size:           8
        .value_kind:     global_buffer
      - .actual_access:  read_only
        .address_space:  global
        .offset:         112
        .size:           8
        .value_kind:     global_buffer
      - .offset:         120
        .size:           4
        .value_kind:     by_value
      - .address_space:  global
        .offset:         128
        .size:           8
        .value_kind:     global_buffer
      - .address_space:  global
        .offset:         136
        .size:           8
        .value_kind:     global_buffer
      - .offset:         144
        .size:           4
        .value_kind:     hidden_block_count_x
      - .offset:         148
        .size:           4
        .value_kind:     hidden_block_count_y
      - .offset:         152
        .size:           4
        .value_kind:     hidden_block_count_z
      - .offset:         156
        .size:           2
        .value_kind:     hidden_group_size_x
      - .offset:         158
        .size:           2
        .value_kind:     hidden_group_size_y
      - .offset:         160
        .size:           2
        .value_kind:     hidden_group_size_z
      - .offset:         162
        .size:           2
        .value_kind:     hidden_remainder_x
      - .offset:         164
        .size:           2
        .value_kind:     hidden_remainder_y
      - .offset:         166
        .size:           2
        .value_kind:     hidden_remainder_z
      - .offset:         184
        .size:           8
        .value_kind:     hidden_global_offset_x
      - .offset:         192
        .size:           8
        .value_kind:     hidden_global_offset_y
      - .offset:         200
        .size:           8
        .value_kind:     hidden_global_offset_z
      - .offset:         208
        .size:           2
        .value_kind:     hidden_grid_dims
    .group_segment_fixed_size: 8192
    .kernarg_segment_align: 8
    .kernarg_segment_size: 400
    .language:       OpenCL C
    .language_version:
      - 2
      - 0
    .max_flat_workgroup_size: 256
    .name:           _Z39paged_attention_ll4mi_QKV_mfma16_kernelIDF16_DF16_LN4vllm18Fp8KVCacheDataTypeE0EDF16_Li32ELi128ELi256ELb0ELi11EL8MFMAType0EEvPKT_PKT0_S8_ifPKiSA_SA_iPKfiiiPfSD_PS3_PT2_iSC_SC_
    .private_segment_fixed_size: 12
    .sgpr_count:     52
    .sgpr_spill_count: 0
    .symbol:         _Z39paged_attention_ll4mi_QKV_mfma16_kernelIDF16_DF16_LN4vllm18Fp8KVCacheDataTypeE0EDF16_Li32ELi128ELi256ELb0ELi11EL8MFMAType0EEvPKT_PKT0_S8_ifPKiSA_SA_iPKfiiiPfSD_PS3_PT2_iSC_SC_.kd
    .uniform_work_group_size: 1
    .uses_dynamic_stack: false
    .vgpr_count:     96
    .vgpr_spill_count: 2
    .wavefront_size: 64
  - .agpr_count:     0
    .args:
      - .actual_access:  read_only
        .address_space:  global
        .offset:         0
        .size:           8
        .value_kind:     global_buffer
      - .actual_access:  read_only
        .address_space:  global
        .offset:         8
        .size:           8
        .value_kind:     global_buffer
      - .actual_access:  read_only
        .address_space:  global
        .offset:         16
        .size:           8
        .value_kind:     global_buffer
      - .offset:         24
        .size:           4
        .value_kind:     by_value
      - .offset:         28
        .size:           4
        .value_kind:     by_value
      - .actual_access:  read_only
        .address_space:  global
        .offset:         32
        .size:           8
        .value_kind:     global_buffer
      - .actual_access:  read_only
        .address_space:  global
        .offset:         40
        .size:           8
        .value_kind:     global_buffer
      - .actual_access:  read_only
        .address_space:  global
        .offset:         48
        .size:           8
        .value_kind:     global_buffer
      - .offset:         56
        .size:           4
        .value_kind:     by_value
      - .actual_access:  read_only
        .address_space:  global
        .offset:         64
        .size:           8
        .value_kind:     global_buffer
      - .offset:         72
        .size:           4
        .value_kind:     by_value
      - .offset:         76
        .size:           4
        .value_kind:     by_value
      - .offset:         80
        .size:           4
        .value_kind:     by_value
      - .actual_access:  write_only
        .address_space:  global
        .offset:         88
        .size:           8
        .value_kind:     global_buffer
      - .actual_access:  write_only
        .address_space:  global
        .offset:         96
        .size:           8
        .value_kind:     global_buffer
      - .actual_access:  write_only
        .address_space:  global
        .offset:         104
        .size:           8
        .value_kind:     global_buffer
      - .actual_access:  read_only
        .address_space:  global
        .offset:         112
        .size:           8
        .value_kind:     global_buffer
      - .offset:         120
        .size:           4
        .value_kind:     by_value
      - .address_space:  global
        .offset:         128
        .size:           8
        .value_kind:     global_buffer
      - .address_space:  global
        .offset:         136
        .size:           8
        .value_kind:     global_buffer
      - .offset:         144
        .size:           4
        .value_kind:     hidden_block_count_x
      - .offset:         148
        .size:           4
        .value_kind:     hidden_block_count_y
      - .offset:         152
        .size:           4
        .value_kind:     hidden_block_count_z
      - .offset:         156
        .size:           2
        .value_kind:     hidden_group_size_x
      - .offset:         158
        .size:           2
        .value_kind:     hidden_group_size_y
      - .offset:         160
        .size:           2
        .value_kind:     hidden_group_size_z
      - .offset:         162
        .size:           2
        .value_kind:     hidden_remainder_x
      - .offset:         164
        .size:           2
        .value_kind:     hidden_remainder_y
      - .offset:         166
        .size:           2
        .value_kind:     hidden_remainder_z
      - .offset:         184
        .size:           8
        .value_kind:     hidden_global_offset_x
      - .offset:         192
        .size:           8
        .value_kind:     hidden_global_offset_y
      - .offset:         200
        .size:           8
        .value_kind:     hidden_global_offset_z
      - .offset:         208
        .size:           2
        .value_kind:     hidden_grid_dims
    .group_segment_fixed_size: 8192
    .kernarg_segment_align: 8
    .kernarg_segment_size: 400
    .language:       OpenCL C
    .language_version:
      - 2
      - 0
    .max_flat_workgroup_size: 256
    .name:           _Z39paged_attention_ll4mi_QKV_mfma16_kernelIDF16_DF16_LN4vllm18Fp8KVCacheDataTypeE0EDF16_Li32ELi128ELi256ELb0ELi12EL8MFMAType0EEvPKT_PKT0_S8_ifPKiSA_SA_iPKfiiiPfSD_PS3_PT2_iSC_SC_
    .private_segment_fixed_size: 12
    .sgpr_count:     52
    .sgpr_spill_count: 0
    .symbol:         _Z39paged_attention_ll4mi_QKV_mfma16_kernelIDF16_DF16_LN4vllm18Fp8KVCacheDataTypeE0EDF16_Li32ELi128ELi256ELb0ELi12EL8MFMAType0EEvPKT_PKT0_S8_ifPKiSA_SA_iPKfiiiPfSD_PS3_PT2_iSC_SC_.kd
    .uniform_work_group_size: 1
    .uses_dynamic_stack: false
    .vgpr_count:     96
    .vgpr_spill_count: 2
    .wavefront_size: 64
  - .agpr_count:     0
    .args:
      - .actual_access:  read_only
        .address_space:  global
        .offset:         0
        .size:           8
        .value_kind:     global_buffer
      - .actual_access:  read_only
        .address_space:  global
        .offset:         8
        .size:           8
        .value_kind:     global_buffer
      - .actual_access:  read_only
        .address_space:  global
        .offset:         16
        .size:           8
        .value_kind:     global_buffer
      - .offset:         24
        .size:           4
        .value_kind:     by_value
      - .offset:         28
        .size:           4
        .value_kind:     by_value
      - .actual_access:  read_only
        .address_space:  global
        .offset:         32
        .size:           8
        .value_kind:     global_buffer
      - .actual_access:  read_only
        .address_space:  global
        .offset:         40
        .size:           8
        .value_kind:     global_buffer
      - .actual_access:  read_only
        .address_space:  global
        .offset:         48
        .size:           8
        .value_kind:     global_buffer
      - .offset:         56
        .size:           4
        .value_kind:     by_value
      - .actual_access:  read_only
        .address_space:  global
        .offset:         64
        .size:           8
        .value_kind:     global_buffer
      - .offset:         72
        .size:           4
        .value_kind:     by_value
      - .offset:         76
        .size:           4
        .value_kind:     by_value
      - .offset:         80
        .size:           4
        .value_kind:     by_value
      - .actual_access:  write_only
        .address_space:  global
        .offset:         88
        .size:           8
        .value_kind:     global_buffer
      - .actual_access:  write_only
        .address_space:  global
        .offset:         96
        .size:           8
        .value_kind:     global_buffer
      - .actual_access:  write_only
        .address_space:  global
        .offset:         104
        .size:           8
        .value_kind:     global_buffer
      - .actual_access:  read_only
        .address_space:  global
        .offset:         112
        .size:           8
        .value_kind:     global_buffer
      - .offset:         120
        .size:           4
        .value_kind:     by_value
      - .address_space:  global
        .offset:         128
        .size:           8
        .value_kind:     global_buffer
      - .address_space:  global
        .offset:         136
        .size:           8
        .value_kind:     global_buffer
      - .offset:         144
        .size:           4
        .value_kind:     hidden_block_count_x
      - .offset:         148
        .size:           4
        .value_kind:     hidden_block_count_y
      - .offset:         152
        .size:           4
        .value_kind:     hidden_block_count_z
      - .offset:         156
        .size:           2
        .value_kind:     hidden_group_size_x
      - .offset:         158
        .size:           2
        .value_kind:     hidden_group_size_y
      - .offset:         160
        .size:           2
        .value_kind:     hidden_group_size_z
      - .offset:         162
        .size:           2
        .value_kind:     hidden_remainder_x
      - .offset:         164
        .size:           2
        .value_kind:     hidden_remainder_y
      - .offset:         166
        .size:           2
        .value_kind:     hidden_remainder_z
      - .offset:         184
        .size:           8
        .value_kind:     hidden_global_offset_x
      - .offset:         192
        .size:           8
        .value_kind:     hidden_global_offset_y
      - .offset:         200
        .size:           8
        .value_kind:     hidden_global_offset_z
      - .offset:         208
        .size:           2
        .value_kind:     hidden_grid_dims
    .group_segment_fixed_size: 8192
    .kernarg_segment_align: 8
    .kernarg_segment_size: 400
    .language:       OpenCL C
    .language_version:
      - 2
      - 0
    .max_flat_workgroup_size: 256
    .name:           _Z39paged_attention_ll4mi_QKV_mfma16_kernelIDF16_DF16_LN4vllm18Fp8KVCacheDataTypeE0EDF16_Li32ELi128ELi256ELb0ELi13EL8MFMAType0EEvPKT_PKT0_S8_ifPKiSA_SA_iPKfiiiPfSD_PS3_PT2_iSC_SC_
    .private_segment_fixed_size: 12
    .sgpr_count:     52
    .sgpr_spill_count: 0
    .symbol:         _Z39paged_attention_ll4mi_QKV_mfma16_kernelIDF16_DF16_LN4vllm18Fp8KVCacheDataTypeE0EDF16_Li32ELi128ELi256ELb0ELi13EL8MFMAType0EEvPKT_PKT0_S8_ifPKiSA_SA_iPKfiiiPfSD_PS3_PT2_iSC_SC_.kd
    .uniform_work_group_size: 1
    .uses_dynamic_stack: false
    .vgpr_count:     96
    .vgpr_spill_count: 2
    .wavefront_size: 64
  - .agpr_count:     0
    .args:
      - .actual_access:  read_only
        .address_space:  global
        .offset:         0
        .size:           8
        .value_kind:     global_buffer
      - .actual_access:  read_only
        .address_space:  global
        .offset:         8
        .size:           8
        .value_kind:     global_buffer
      - .actual_access:  read_only
        .address_space:  global
        .offset:         16
        .size:           8
        .value_kind:     global_buffer
      - .offset:         24
        .size:           4
        .value_kind:     by_value
      - .offset:         28
        .size:           4
        .value_kind:     by_value
      - .actual_access:  read_only
        .address_space:  global
        .offset:         32
        .size:           8
        .value_kind:     global_buffer
      - .actual_access:  read_only
        .address_space:  global
        .offset:         40
        .size:           8
        .value_kind:     global_buffer
      - .actual_access:  read_only
        .address_space:  global
        .offset:         48
        .size:           8
        .value_kind:     global_buffer
      - .offset:         56
        .size:           4
        .value_kind:     by_value
      - .actual_access:  read_only
        .address_space:  global
        .offset:         64
        .size:           8
        .value_kind:     global_buffer
      - .offset:         72
        .size:           4
        .value_kind:     by_value
      - .offset:         76
        .size:           4
        .value_kind:     by_value
      - .offset:         80
        .size:           4
        .value_kind:     by_value
      - .actual_access:  write_only
        .address_space:  global
        .offset:         88
        .size:           8
        .value_kind:     global_buffer
      - .actual_access:  write_only
        .address_space:  global
        .offset:         96
        .size:           8
        .value_kind:     global_buffer
      - .actual_access:  write_only
        .address_space:  global
        .offset:         104
        .size:           8
        .value_kind:     global_buffer
      - .actual_access:  read_only
        .address_space:  global
        .offset:         112
        .size:           8
        .value_kind:     global_buffer
      - .offset:         120
        .size:           4
        .value_kind:     by_value
      - .address_space:  global
        .offset:         128
        .size:           8
        .value_kind:     global_buffer
      - .address_space:  global
        .offset:         136
        .size:           8
        .value_kind:     global_buffer
      - .offset:         144
        .size:           4
        .value_kind:     hidden_block_count_x
      - .offset:         148
        .size:           4
        .value_kind:     hidden_block_count_y
      - .offset:         152
        .size:           4
        .value_kind:     hidden_block_count_z
      - .offset:         156
        .size:           2
        .value_kind:     hidden_group_size_x
      - .offset:         158
        .size:           2
        .value_kind:     hidden_group_size_y
      - .offset:         160
        .size:           2
        .value_kind:     hidden_group_size_z
      - .offset:         162
        .size:           2
        .value_kind:     hidden_remainder_x
      - .offset:         164
        .size:           2
        .value_kind:     hidden_remainder_y
      - .offset:         166
        .size:           2
        .value_kind:     hidden_remainder_z
      - .offset:         184
        .size:           8
        .value_kind:     hidden_global_offset_x
      - .offset:         192
        .size:           8
        .value_kind:     hidden_global_offset_y
      - .offset:         200
        .size:           8
        .value_kind:     hidden_global_offset_z
      - .offset:         208
        .size:           2
        .value_kind:     hidden_grid_dims
    .group_segment_fixed_size: 8192
    .kernarg_segment_align: 8
    .kernarg_segment_size: 400
    .language:       OpenCL C
    .language_version:
      - 2
      - 0
    .max_flat_workgroup_size: 256
    .name:           _Z39paged_attention_ll4mi_QKV_mfma16_kernelIDF16_DF16_LN4vllm18Fp8KVCacheDataTypeE0EDF16_Li32ELi128ELi256ELb0ELi14EL8MFMAType0EEvPKT_PKT0_S8_ifPKiSA_SA_iPKfiiiPfSD_PS3_PT2_iSC_SC_
    .private_segment_fixed_size: 12
    .sgpr_count:     52
    .sgpr_spill_count: 0
    .symbol:         _Z39paged_attention_ll4mi_QKV_mfma16_kernelIDF16_DF16_LN4vllm18Fp8KVCacheDataTypeE0EDF16_Li32ELi128ELi256ELb0ELi14EL8MFMAType0EEvPKT_PKT0_S8_ifPKiSA_SA_iPKfiiiPfSD_PS3_PT2_iSC_SC_.kd
    .uniform_work_group_size: 1
    .uses_dynamic_stack: false
    .vgpr_count:     96
    .vgpr_spill_count: 2
    .wavefront_size: 64
  - .agpr_count:     0
    .args:
      - .actual_access:  read_only
        .address_space:  global
        .offset:         0
        .size:           8
        .value_kind:     global_buffer
      - .actual_access:  read_only
        .address_space:  global
        .offset:         8
        .size:           8
        .value_kind:     global_buffer
      - .actual_access:  read_only
        .address_space:  global
        .offset:         16
        .size:           8
        .value_kind:     global_buffer
      - .offset:         24
        .size:           4
        .value_kind:     by_value
      - .offset:         28
        .size:           4
        .value_kind:     by_value
      - .actual_access:  read_only
        .address_space:  global
        .offset:         32
        .size:           8
        .value_kind:     global_buffer
      - .actual_access:  read_only
        .address_space:  global
        .offset:         40
        .size:           8
        .value_kind:     global_buffer
      - .actual_access:  read_only
        .address_space:  global
        .offset:         48
        .size:           8
        .value_kind:     global_buffer
      - .offset:         56
        .size:           4
        .value_kind:     by_value
      - .actual_access:  read_only
        .address_space:  global
        .offset:         64
        .size:           8
        .value_kind:     global_buffer
      - .offset:         72
        .size:           4
        .value_kind:     by_value
      - .offset:         76
        .size:           4
        .value_kind:     by_value
      - .offset:         80
        .size:           4
        .value_kind:     by_value
      - .actual_access:  write_only
        .address_space:  global
        .offset:         88
        .size:           8
        .value_kind:     global_buffer
      - .actual_access:  write_only
        .address_space:  global
        .offset:         96
        .size:           8
        .value_kind:     global_buffer
      - .actual_access:  write_only
        .address_space:  global
        .offset:         104
        .size:           8
        .value_kind:     global_buffer
      - .actual_access:  read_only
        .address_space:  global
        .offset:         112
        .size:           8
        .value_kind:     global_buffer
      - .offset:         120
        .size:           4
        .value_kind:     by_value
      - .address_space:  global
        .offset:         128
        .size:           8
        .value_kind:     global_buffer
      - .address_space:  global
        .offset:         136
        .size:           8
        .value_kind:     global_buffer
      - .offset:         144
        .size:           4
        .value_kind:     hidden_block_count_x
      - .offset:         148
        .size:           4
        .value_kind:     hidden_block_count_y
      - .offset:         152
        .size:           4
        .value_kind:     hidden_block_count_z
      - .offset:         156
        .size:           2
        .value_kind:     hidden_group_size_x
      - .offset:         158
        .size:           2
        .value_kind:     hidden_group_size_y
      - .offset:         160
        .size:           2
        .value_kind:     hidden_group_size_z
      - .offset:         162
        .size:           2
        .value_kind:     hidden_remainder_x
      - .offset:         164
        .size:           2
        .value_kind:     hidden_remainder_y
      - .offset:         166
        .size:           2
        .value_kind:     hidden_remainder_z
      - .offset:         184
        .size:           8
        .value_kind:     hidden_global_offset_x
      - .offset:         192
        .size:           8
        .value_kind:     hidden_global_offset_y
      - .offset:         200
        .size:           8
        .value_kind:     hidden_global_offset_z
      - .offset:         208
        .size:           2
        .value_kind:     hidden_grid_dims
    .group_segment_fixed_size: 8192
    .kernarg_segment_align: 8
    .kernarg_segment_size: 400
    .language:       OpenCL C
    .language_version:
      - 2
      - 0
    .max_flat_workgroup_size: 256
    .name:           _Z39paged_attention_ll4mi_QKV_mfma16_kernelIDF16_DF16_LN4vllm18Fp8KVCacheDataTypeE0EDF16_Li32ELi128ELi256ELb0ELi15EL8MFMAType0EEvPKT_PKT0_S8_ifPKiSA_SA_iPKfiiiPfSD_PS3_PT2_iSC_SC_
    .private_segment_fixed_size: 12
    .sgpr_count:     52
    .sgpr_spill_count: 0
    .symbol:         _Z39paged_attention_ll4mi_QKV_mfma16_kernelIDF16_DF16_LN4vllm18Fp8KVCacheDataTypeE0EDF16_Li32ELi128ELi256ELb0ELi15EL8MFMAType0EEvPKT_PKT0_S8_ifPKiSA_SA_iPKfiiiPfSD_PS3_PT2_iSC_SC_.kd
    .uniform_work_group_size: 1
    .uses_dynamic_stack: false
    .vgpr_count:     96
    .vgpr_spill_count: 2
    .wavefront_size: 64
  - .agpr_count:     0
    .args:
      - .actual_access:  read_only
        .address_space:  global
        .offset:         0
        .size:           8
        .value_kind:     global_buffer
      - .actual_access:  read_only
        .address_space:  global
        .offset:         8
        .size:           8
        .value_kind:     global_buffer
      - .actual_access:  read_only
        .address_space:  global
        .offset:         16
        .size:           8
        .value_kind:     global_buffer
      - .offset:         24
        .size:           4
        .value_kind:     by_value
      - .offset:         28
        .size:           4
        .value_kind:     by_value
      - .actual_access:  read_only
        .address_space:  global
        .offset:         32
        .size:           8
        .value_kind:     global_buffer
      - .actual_access:  read_only
        .address_space:  global
        .offset:         40
        .size:           8
        .value_kind:     global_buffer
      - .actual_access:  read_only
        .address_space:  global
        .offset:         48
        .size:           8
        .value_kind:     global_buffer
      - .offset:         56
        .size:           4
        .value_kind:     by_value
      - .actual_access:  read_only
        .address_space:  global
        .offset:         64
        .size:           8
        .value_kind:     global_buffer
      - .offset:         72
        .size:           4
        .value_kind:     by_value
      - .offset:         76
        .size:           4
        .value_kind:     by_value
      - .offset:         80
        .size:           4
        .value_kind:     by_value
      - .actual_access:  write_only
        .address_space:  global
        .offset:         88
        .size:           8
        .value_kind:     global_buffer
      - .actual_access:  write_only
        .address_space:  global
        .offset:         96
        .size:           8
        .value_kind:     global_buffer
      - .actual_access:  write_only
        .address_space:  global
        .offset:         104
        .size:           8
        .value_kind:     global_buffer
      - .actual_access:  read_only
        .address_space:  global
        .offset:         112
        .size:           8
        .value_kind:     global_buffer
      - .offset:         120
        .size:           4
        .value_kind:     by_value
      - .address_space:  global
        .offset:         128
        .size:           8
        .value_kind:     global_buffer
      - .address_space:  global
        .offset:         136
        .size:           8
        .value_kind:     global_buffer
      - .offset:         144
        .size:           4
        .value_kind:     hidden_block_count_x
      - .offset:         148
        .size:           4
        .value_kind:     hidden_block_count_y
      - .offset:         152
        .size:           4
        .value_kind:     hidden_block_count_z
      - .offset:         156
        .size:           2
        .value_kind:     hidden_group_size_x
      - .offset:         158
        .size:           2
        .value_kind:     hidden_group_size_y
      - .offset:         160
        .size:           2
        .value_kind:     hidden_group_size_z
      - .offset:         162
        .size:           2
        .value_kind:     hidden_remainder_x
      - .offset:         164
        .size:           2
        .value_kind:     hidden_remainder_y
      - .offset:         166
        .size:           2
        .value_kind:     hidden_remainder_z
      - .offset:         184
        .size:           8
        .value_kind:     hidden_global_offset_x
      - .offset:         192
        .size:           8
        .value_kind:     hidden_global_offset_y
      - .offset:         200
        .size:           8
        .value_kind:     hidden_global_offset_z
      - .offset:         208
        .size:           2
        .value_kind:     hidden_grid_dims
    .group_segment_fixed_size: 8192
    .kernarg_segment_align: 8
    .kernarg_segment_size: 400
    .language:       OpenCL C
    .language_version:
      - 2
      - 0
    .max_flat_workgroup_size: 256
    .name:           _Z39paged_attention_ll4mi_QKV_mfma16_kernelIDF16_DF16_LN4vllm18Fp8KVCacheDataTypeE0EDF16_Li32ELi128ELi256ELb0ELi16EL8MFMAType0EEvPKT_PKT0_S8_ifPKiSA_SA_iPKfiiiPfSD_PS3_PT2_iSC_SC_
    .private_segment_fixed_size: 12
    .sgpr_count:     52
    .sgpr_spill_count: 0
    .symbol:         _Z39paged_attention_ll4mi_QKV_mfma16_kernelIDF16_DF16_LN4vllm18Fp8KVCacheDataTypeE0EDF16_Li32ELi128ELi256ELb0ELi16EL8MFMAType0EEvPKT_PKT0_S8_ifPKiSA_SA_iPKfiiiPfSD_PS3_PT2_iSC_SC_.kd
    .uniform_work_group_size: 1
    .uses_dynamic_stack: false
    .vgpr_count:     96
    .vgpr_spill_count: 2
    .wavefront_size: 64
  - .agpr_count:     0
    .args:
      - .actual_access:  read_only
        .address_space:  global
        .offset:         0
        .size:           8
        .value_kind:     global_buffer
      - .actual_access:  read_only
        .address_space:  global
        .offset:         8
        .size:           8
        .value_kind:     global_buffer
      - .actual_access:  read_only
        .address_space:  global
        .offset:         16
        .size:           8
        .value_kind:     global_buffer
      - .offset:         24
        .size:           4
        .value_kind:     by_value
      - .offset:         28
        .size:           4
        .value_kind:     by_value
      - .actual_access:  read_only
        .address_space:  global
        .offset:         32
        .size:           8
        .value_kind:     global_buffer
      - .actual_access:  read_only
        .address_space:  global
        .offset:         40
        .size:           8
        .value_kind:     global_buffer
      - .actual_access:  read_only
        .address_space:  global
        .offset:         48
        .size:           8
        .value_kind:     global_buffer
      - .offset:         56
        .size:           4
        .value_kind:     by_value
      - .actual_access:  read_only
        .address_space:  global
        .offset:         64
        .size:           8
        .value_kind:     global_buffer
      - .offset:         72
        .size:           4
        .value_kind:     by_value
      - .offset:         76
        .size:           4
        .value_kind:     by_value
      - .offset:         80
        .size:           4
        .value_kind:     by_value
      - .actual_access:  write_only
        .address_space:  global
        .offset:         88
        .size:           8
        .value_kind:     global_buffer
      - .actual_access:  write_only
        .address_space:  global
        .offset:         96
        .size:           8
        .value_kind:     global_buffer
      - .actual_access:  write_only
        .address_space:  global
        .offset:         104
        .size:           8
        .value_kind:     global_buffer
      - .actual_access:  read_only
        .address_space:  global
        .offset:         112
        .size:           8
        .value_kind:     global_buffer
      - .offset:         120
        .size:           4
        .value_kind:     by_value
      - .address_space:  global
        .offset:         128
        .size:           8
        .value_kind:     global_buffer
      - .address_space:  global
        .offset:         136
        .size:           8
        .value_kind:     global_buffer
      - .offset:         144
        .size:           4
        .value_kind:     hidden_block_count_x
      - .offset:         148
        .size:           4
        .value_kind:     hidden_block_count_y
      - .offset:         152
        .size:           4
        .value_kind:     hidden_block_count_z
      - .offset:         156
        .size:           2
        .value_kind:     hidden_group_size_x
      - .offset:         158
        .size:           2
        .value_kind:     hidden_group_size_y
      - .offset:         160
        .size:           2
        .value_kind:     hidden_group_size_z
      - .offset:         162
        .size:           2
        .value_kind:     hidden_remainder_x
      - .offset:         164
        .size:           2
        .value_kind:     hidden_remainder_y
      - .offset:         166
        .size:           2
        .value_kind:     hidden_remainder_z
      - .offset:         184
        .size:           8
        .value_kind:     hidden_global_offset_x
      - .offset:         192
        .size:           8
        .value_kind:     hidden_global_offset_y
      - .offset:         200
        .size:           8
        .value_kind:     hidden_global_offset_z
      - .offset:         208
        .size:           2
        .value_kind:     hidden_grid_dims
    .group_segment_fixed_size: 8192
    .kernarg_segment_align: 8
    .kernarg_segment_size: 400
    .language:       OpenCL C
    .language_version:
      - 2
      - 0
    .max_flat_workgroup_size: 256
    .name:           _Z39paged_attention_ll4mi_QKV_mfma16_kernelIDF16_DF16_LN4vllm18Fp8KVCacheDataTypeE0EDF16_Li32ELi128ELi256ELb0ELi1EL8MFMAType0EEvPKT_PKT0_S8_ifPKiSA_SA_iPKfiiiPfSD_PS3_PT2_iSC_SC_
    .private_segment_fixed_size: 12
    .sgpr_count:     52
    .sgpr_spill_count: 0
    .symbol:         _Z39paged_attention_ll4mi_QKV_mfma16_kernelIDF16_DF16_LN4vllm18Fp8KVCacheDataTypeE0EDF16_Li32ELi128ELi256ELb0ELi1EL8MFMAType0EEvPKT_PKT0_S8_ifPKiSA_SA_iPKfiiiPfSD_PS3_PT2_iSC_SC_.kd
    .uniform_work_group_size: 1
    .uses_dynamic_stack: false
    .vgpr_count:     96
    .vgpr_spill_count: 2
    .wavefront_size: 64
  - .agpr_count:     0
    .args:
      - .actual_access:  read_only
        .address_space:  global
        .offset:         0
        .size:           8
        .value_kind:     global_buffer
      - .actual_access:  read_only
        .address_space:  global
        .offset:         8
        .size:           8
        .value_kind:     global_buffer
      - .actual_access:  read_only
        .address_space:  global
        .offset:         16
        .size:           8
        .value_kind:     global_buffer
      - .offset:         24
        .size:           4
        .value_kind:     by_value
      - .offset:         28
        .size:           4
        .value_kind:     by_value
      - .actual_access:  read_only
        .address_space:  global
        .offset:         32
        .size:           8
        .value_kind:     global_buffer
      - .actual_access:  read_only
        .address_space:  global
        .offset:         40
        .size:           8
        .value_kind:     global_buffer
      - .actual_access:  read_only
        .address_space:  global
        .offset:         48
        .size:           8
        .value_kind:     global_buffer
      - .offset:         56
        .size:           4
        .value_kind:     by_value
      - .actual_access:  read_only
        .address_space:  global
        .offset:         64
        .size:           8
        .value_kind:     global_buffer
      - .offset:         72
        .size:           4
        .value_kind:     by_value
      - .offset:         76
        .size:           4
        .value_kind:     by_value
      - .offset:         80
        .size:           4
        .value_kind:     by_value
      - .actual_access:  write_only
        .address_space:  global
        .offset:         88
        .size:           8
        .value_kind:     global_buffer
      - .actual_access:  write_only
        .address_space:  global
        .offset:         96
        .size:           8
        .value_kind:     global_buffer
      - .actual_access:  write_only
        .address_space:  global
        .offset:         104
        .size:           8
        .value_kind:     global_buffer
      - .actual_access:  read_only
        .address_space:  global
        .offset:         112
        .size:           8
        .value_kind:     global_buffer
      - .offset:         120
        .size:           4
        .value_kind:     by_value
      - .address_space:  global
        .offset:         128
        .size:           8
        .value_kind:     global_buffer
      - .address_space:  global
        .offset:         136
        .size:           8
        .value_kind:     global_buffer
      - .offset:         144
        .size:           4
        .value_kind:     hidden_block_count_x
      - .offset:         148
        .size:           4
        .value_kind:     hidden_block_count_y
      - .offset:         152
        .size:           4
        .value_kind:     hidden_block_count_z
      - .offset:         156
        .size:           2
        .value_kind:     hidden_group_size_x
      - .offset:         158
        .size:           2
        .value_kind:     hidden_group_size_y
      - .offset:         160
        .size:           2
        .value_kind:     hidden_group_size_z
      - .offset:         162
        .size:           2
        .value_kind:     hidden_remainder_x
      - .offset:         164
        .size:           2
        .value_kind:     hidden_remainder_y
      - .offset:         166
        .size:           2
        .value_kind:     hidden_remainder_z
      - .offset:         184
        .size:           8
        .value_kind:     hidden_global_offset_x
      - .offset:         192
        .size:           8
        .value_kind:     hidden_global_offset_y
      - .offset:         200
        .size:           8
        .value_kind:     hidden_global_offset_z
      - .offset:         208
        .size:           2
        .value_kind:     hidden_grid_dims
    .group_segment_fixed_size: 8192
    .kernarg_segment_align: 8
    .kernarg_segment_size: 400
    .language:       OpenCL C
    .language_version:
      - 2
      - 0
    .max_flat_workgroup_size: 256
    .name:           _Z39paged_attention_ll4mi_QKV_mfma16_kernelIDF16_DF16_LN4vllm18Fp8KVCacheDataTypeE0EDF16_Li32ELi128ELi256ELb0ELi2EL8MFMAType0EEvPKT_PKT0_S8_ifPKiSA_SA_iPKfiiiPfSD_PS3_PT2_iSC_SC_
    .private_segment_fixed_size: 12
    .sgpr_count:     52
    .sgpr_spill_count: 0
    .symbol:         _Z39paged_attention_ll4mi_QKV_mfma16_kernelIDF16_DF16_LN4vllm18Fp8KVCacheDataTypeE0EDF16_Li32ELi128ELi256ELb0ELi2EL8MFMAType0EEvPKT_PKT0_S8_ifPKiSA_SA_iPKfiiiPfSD_PS3_PT2_iSC_SC_.kd
    .uniform_work_group_size: 1
    .uses_dynamic_stack: false
    .vgpr_count:     96
    .vgpr_spill_count: 2
    .wavefront_size: 64
  - .agpr_count:     0
    .args:
      - .actual_access:  read_only
        .address_space:  global
        .offset:         0
        .size:           8
        .value_kind:     global_buffer
      - .actual_access:  read_only
        .address_space:  global
        .offset:         8
        .size:           8
        .value_kind:     global_buffer
      - .actual_access:  read_only
        .address_space:  global
        .offset:         16
        .size:           8
        .value_kind:     global_buffer
      - .offset:         24
        .size:           4
        .value_kind:     by_value
      - .offset:         28
        .size:           4
        .value_kind:     by_value
      - .actual_access:  read_only
        .address_space:  global
        .offset:         32
        .size:           8
        .value_kind:     global_buffer
      - .actual_access:  read_only
        .address_space:  global
        .offset:         40
        .size:           8
        .value_kind:     global_buffer
      - .actual_access:  read_only
        .address_space:  global
        .offset:         48
        .size:           8
        .value_kind:     global_buffer
      - .offset:         56
        .size:           4
        .value_kind:     by_value
      - .actual_access:  read_only
        .address_space:  global
        .offset:         64
        .size:           8
        .value_kind:     global_buffer
      - .offset:         72
        .size:           4
        .value_kind:     by_value
      - .offset:         76
        .size:           4
        .value_kind:     by_value
      - .offset:         80
        .size:           4
        .value_kind:     by_value
      - .actual_access:  write_only
        .address_space:  global
        .offset:         88
        .size:           8
        .value_kind:     global_buffer
      - .actual_access:  write_only
        .address_space:  global
        .offset:         96
        .size:           8
        .value_kind:     global_buffer
      - .actual_access:  write_only
        .address_space:  global
        .offset:         104
        .size:           8
        .value_kind:     global_buffer
      - .actual_access:  read_only
        .address_space:  global
        .offset:         112
        .size:           8
        .value_kind:     global_buffer
      - .offset:         120
        .size:           4
        .value_kind:     by_value
      - .address_space:  global
        .offset:         128
        .size:           8
        .value_kind:     global_buffer
      - .address_space:  global
        .offset:         136
        .size:           8
        .value_kind:     global_buffer
      - .offset:         144
        .size:           4
        .value_kind:     hidden_block_count_x
      - .offset:         148
        .size:           4
        .value_kind:     hidden_block_count_y
      - .offset:         152
        .size:           4
        .value_kind:     hidden_block_count_z
      - .offset:         156
        .size:           2
        .value_kind:     hidden_group_size_x
      - .offset:         158
        .size:           2
        .value_kind:     hidden_group_size_y
      - .offset:         160
        .size:           2
        .value_kind:     hidden_group_size_z
      - .offset:         162
        .size:           2
        .value_kind:     hidden_remainder_x
      - .offset:         164
        .size:           2
        .value_kind:     hidden_remainder_y
      - .offset:         166
        .size:           2
        .value_kind:     hidden_remainder_z
      - .offset:         184
        .size:           8
        .value_kind:     hidden_global_offset_x
      - .offset:         192
        .size:           8
        .value_kind:     hidden_global_offset_y
      - .offset:         200
        .size:           8
        .value_kind:     hidden_global_offset_z
      - .offset:         208
        .size:           2
        .value_kind:     hidden_grid_dims
    .group_segment_fixed_size: 8192
    .kernarg_segment_align: 8
    .kernarg_segment_size: 400
    .language:       OpenCL C
    .language_version:
      - 2
      - 0
    .max_flat_workgroup_size: 256
    .name:           _Z39paged_attention_ll4mi_QKV_mfma16_kernelIDF16_DF16_LN4vllm18Fp8KVCacheDataTypeE0EDF16_Li32ELi128ELi256ELb0ELi3EL8MFMAType0EEvPKT_PKT0_S8_ifPKiSA_SA_iPKfiiiPfSD_PS3_PT2_iSC_SC_
    .private_segment_fixed_size: 16
    .sgpr_count:     52
    .sgpr_spill_count: 0
    .symbol:         _Z39paged_attention_ll4mi_QKV_mfma16_kernelIDF16_DF16_LN4vllm18Fp8KVCacheDataTypeE0EDF16_Li32ELi128ELi256ELb0ELi3EL8MFMAType0EEvPKT_PKT0_S8_ifPKiSA_SA_iPKfiiiPfSD_PS3_PT2_iSC_SC_.kd
    .uniform_work_group_size: 1
    .uses_dynamic_stack: false
    .vgpr_count:     96
    .vgpr_spill_count: 3
    .wavefront_size: 64
  - .agpr_count:     0
    .args:
      - .actual_access:  read_only
        .address_space:  global
        .offset:         0
        .size:           8
        .value_kind:     global_buffer
      - .actual_access:  read_only
        .address_space:  global
        .offset:         8
        .size:           8
        .value_kind:     global_buffer
      - .actual_access:  read_only
        .address_space:  global
        .offset:         16
        .size:           8
        .value_kind:     global_buffer
      - .offset:         24
        .size:           4
        .value_kind:     by_value
      - .offset:         28
        .size:           4
        .value_kind:     by_value
      - .actual_access:  read_only
        .address_space:  global
        .offset:         32
        .size:           8
        .value_kind:     global_buffer
      - .actual_access:  read_only
        .address_space:  global
        .offset:         40
        .size:           8
        .value_kind:     global_buffer
      - .actual_access:  read_only
        .address_space:  global
        .offset:         48
        .size:           8
        .value_kind:     global_buffer
      - .offset:         56
        .size:           4
        .value_kind:     by_value
      - .actual_access:  read_only
        .address_space:  global
        .offset:         64
        .size:           8
        .value_kind:     global_buffer
      - .offset:         72
        .size:           4
        .value_kind:     by_value
      - .offset:         76
        .size:           4
        .value_kind:     by_value
      - .offset:         80
        .size:           4
        .value_kind:     by_value
      - .actual_access:  write_only
        .address_space:  global
        .offset:         88
        .size:           8
        .value_kind:     global_buffer
      - .actual_access:  write_only
        .address_space:  global
        .offset:         96
        .size:           8
        .value_kind:     global_buffer
      - .actual_access:  write_only
        .address_space:  global
        .offset:         104
        .size:           8
        .value_kind:     global_buffer
      - .actual_access:  read_only
        .address_space:  global
        .offset:         112
        .size:           8
        .value_kind:     global_buffer
      - .offset:         120
        .size:           4
        .value_kind:     by_value
      - .address_space:  global
        .offset:         128
        .size:           8
        .value_kind:     global_buffer
      - .address_space:  global
        .offset:         136
        .size:           8
        .value_kind:     global_buffer
      - .offset:         144
        .size:           4
        .value_kind:     hidden_block_count_x
      - .offset:         148
        .size:           4
        .value_kind:     hidden_block_count_y
      - .offset:         152
        .size:           4
        .value_kind:     hidden_block_count_z
      - .offset:         156
        .size:           2
        .value_kind:     hidden_group_size_x
      - .offset:         158
        .size:           2
        .value_kind:     hidden_group_size_y
      - .offset:         160
        .size:           2
        .value_kind:     hidden_group_size_z
      - .offset:         162
        .size:           2
        .value_kind:     hidden_remainder_x
      - .offset:         164
        .size:           2
        .value_kind:     hidden_remainder_y
      - .offset:         166
        .size:           2
        .value_kind:     hidden_remainder_z
      - .offset:         184
        .size:           8
        .value_kind:     hidden_global_offset_x
      - .offset:         192
        .size:           8
        .value_kind:     hidden_global_offset_y
      - .offset:         200
        .size:           8
        .value_kind:     hidden_global_offset_z
      - .offset:         208
        .size:           2
        .value_kind:     hidden_grid_dims
    .group_segment_fixed_size: 8192
    .kernarg_segment_align: 8
    .kernarg_segment_size: 400
    .language:       OpenCL C
    .language_version:
      - 2
      - 0
    .max_flat_workgroup_size: 256
    .name:           _Z39paged_attention_ll4mi_QKV_mfma16_kernelIDF16_DF16_LN4vllm18Fp8KVCacheDataTypeE0EDF16_Li32ELi128ELi256ELb0ELi4EL8MFMAType0EEvPKT_PKT0_S8_ifPKiSA_SA_iPKfiiiPfSD_PS3_PT2_iSC_SC_
    .private_segment_fixed_size: 20
    .sgpr_count:     52
    .sgpr_spill_count: 0
    .symbol:         _Z39paged_attention_ll4mi_QKV_mfma16_kernelIDF16_DF16_LN4vllm18Fp8KVCacheDataTypeE0EDF16_Li32ELi128ELi256ELb0ELi4EL8MFMAType0EEvPKT_PKT0_S8_ifPKiSA_SA_iPKfiiiPfSD_PS3_PT2_iSC_SC_.kd
    .uniform_work_group_size: 1
    .uses_dynamic_stack: false
    .vgpr_count:     96
    .vgpr_spill_count: 4
    .wavefront_size: 64
  - .agpr_count:     4
    .args:
      - .actual_access:  read_only
        .address_space:  global
        .offset:         0
        .size:           8
        .value_kind:     global_buffer
      - .actual_access:  read_only
        .address_space:  global
        .offset:         8
        .size:           8
        .value_kind:     global_buffer
      - .actual_access:  read_only
        .address_space:  global
        .offset:         16
        .size:           8
        .value_kind:     global_buffer
      - .offset:         24
        .size:           4
        .value_kind:     by_value
      - .offset:         28
        .size:           4
        .value_kind:     by_value
      - .actual_access:  read_only
        .address_space:  global
        .offset:         32
        .size:           8
        .value_kind:     global_buffer
      - .actual_access:  read_only
        .address_space:  global
        .offset:         40
        .size:           8
        .value_kind:     global_buffer
      - .actual_access:  read_only
        .address_space:  global
        .offset:         48
        .size:           8
        .value_kind:     global_buffer
      - .offset:         56
        .size:           4
        .value_kind:     by_value
      - .actual_access:  read_only
        .address_space:  global
        .offset:         64
        .size:           8
        .value_kind:     global_buffer
      - .offset:         72
        .size:           4
        .value_kind:     by_value
      - .offset:         76
        .size:           4
        .value_kind:     by_value
      - .offset:         80
        .size:           4
        .value_kind:     by_value
      - .actual_access:  write_only
        .address_space:  global
        .offset:         88
        .size:           8
        .value_kind:     global_buffer
      - .actual_access:  write_only
        .address_space:  global
        .offset:         96
        .size:           8
        .value_kind:     global_buffer
      - .actual_access:  write_only
        .address_space:  global
        .offset:         104
        .size:           8
        .value_kind:     global_buffer
      - .actual_access:  read_only
        .address_space:  global
        .offset:         112
        .size:           8
        .value_kind:     global_buffer
      - .offset:         120
        .size:           4
        .value_kind:     by_value
      - .address_space:  global
        .offset:         128
        .size:           8
        .value_kind:     global_buffer
      - .address_space:  global
        .offset:         136
        .size:           8
        .value_kind:     global_buffer
      - .offset:         144
        .size:           4
        .value_kind:     hidden_block_count_x
      - .offset:         148
        .size:           4
        .value_kind:     hidden_block_count_y
      - .offset:         152
        .size:           4
        .value_kind:     hidden_block_count_z
      - .offset:         156
        .size:           2
        .value_kind:     hidden_group_size_x
      - .offset:         158
        .size:           2
        .value_kind:     hidden_group_size_y
      - .offset:         160
        .size:           2
        .value_kind:     hidden_group_size_z
      - .offset:         162
        .size:           2
        .value_kind:     hidden_remainder_x
      - .offset:         164
        .size:           2
        .value_kind:     hidden_remainder_y
      - .offset:         166
        .size:           2
        .value_kind:     hidden_remainder_z
      - .offset:         184
        .size:           8
        .value_kind:     hidden_global_offset_x
      - .offset:         192
        .size:           8
        .value_kind:     hidden_global_offset_y
      - .offset:         200
        .size:           8
        .value_kind:     hidden_global_offset_z
      - .offset:         208
        .size:           2
        .value_kind:     hidden_grid_dims
    .group_segment_fixed_size: 2720
    .kernarg_segment_align: 8
    .kernarg_segment_size: 400
    .language:       OpenCL C
    .language_version:
      - 2
      - 0
    .max_flat_workgroup_size: 256
    .name:           _Z38paged_attention_ll4mi_QKV_mfma4_kernelI14__hip_bfloat16S0_LN4vllm18Fp8KVCacheDataTypeE0ES0_Li16ELi64ELi256ELb1ELi1EEvPKT_PKT0_S8_ifPKiSA_SA_iPKfiiiPfSD_PS3_PT2_iSC_SC_
    .private_segment_fixed_size: 0
    .sgpr_count:     42
    .sgpr_spill_count: 0
    .symbol:         _Z38paged_attention_ll4mi_QKV_mfma4_kernelI14__hip_bfloat16S0_LN4vllm18Fp8KVCacheDataTypeE0ES0_Li16ELi64ELi256ELb1ELi1EEvPKT_PKT0_S8_ifPKiSA_SA_iPKfiiiPfSD_PS3_PT2_iSC_SC_.kd
    .uniform_work_group_size: 1
    .uses_dynamic_stack: false
    .vgpr_count:     72
    .vgpr_spill_count: 0
    .wavefront_size: 64
  - .agpr_count:     4
    .args:
      - .actual_access:  read_only
        .address_space:  global
        .offset:         0
        .size:           8
        .value_kind:     global_buffer
      - .actual_access:  read_only
        .address_space:  global
        .offset:         8
        .size:           8
        .value_kind:     global_buffer
      - .actual_access:  read_only
        .address_space:  global
        .offset:         16
        .size:           8
        .value_kind:     global_buffer
      - .offset:         24
        .size:           4
        .value_kind:     by_value
      - .offset:         28
        .size:           4
        .value_kind:     by_value
      - .actual_access:  read_only
        .address_space:  global
        .offset:         32
        .size:           8
        .value_kind:     global_buffer
      - .actual_access:  read_only
        .address_space:  global
        .offset:         40
        .size:           8
        .value_kind:     global_buffer
      - .actual_access:  read_only
        .address_space:  global
        .offset:         48
        .size:           8
        .value_kind:     global_buffer
      - .offset:         56
        .size:           4
        .value_kind:     by_value
      - .actual_access:  read_only
        .address_space:  global
        .offset:         64
        .size:           8
        .value_kind:     global_buffer
      - .offset:         72
        .size:           4
        .value_kind:     by_value
      - .offset:         76
        .size:           4
        .value_kind:     by_value
      - .offset:         80
        .size:           4
        .value_kind:     by_value
      - .actual_access:  write_only
        .address_space:  global
        .offset:         88
        .size:           8
        .value_kind:     global_buffer
      - .actual_access:  write_only
        .address_space:  global
        .offset:         96
        .size:           8
        .value_kind:     global_buffer
      - .actual_access:  write_only
        .address_space:  global
        .offset:         104
        .size:           8
        .value_kind:     global_buffer
      - .actual_access:  read_only
        .address_space:  global
        .offset:         112
        .size:           8
        .value_kind:     global_buffer
      - .offset:         120
        .size:           4
        .value_kind:     by_value
      - .address_space:  global
        .offset:         128
        .size:           8
        .value_kind:     global_buffer
      - .address_space:  global
        .offset:         136
        .size:           8
        .value_kind:     global_buffer
      - .offset:         144
        .size:           4
        .value_kind:     hidden_block_count_x
      - .offset:         148
        .size:           4
        .value_kind:     hidden_block_count_y
      - .offset:         152
        .size:           4
        .value_kind:     hidden_block_count_z
      - .offset:         156
        .size:           2
        .value_kind:     hidden_group_size_x
      - .offset:         158
        .size:           2
        .value_kind:     hidden_group_size_y
      - .offset:         160
        .size:           2
        .value_kind:     hidden_group_size_z
      - .offset:         162
        .size:           2
        .value_kind:     hidden_remainder_x
      - .offset:         164
        .size:           2
        .value_kind:     hidden_remainder_y
      - .offset:         166
        .size:           2
        .value_kind:     hidden_remainder_z
      - .offset:         184
        .size:           8
        .value_kind:     hidden_global_offset_x
      - .offset:         192
        .size:           8
        .value_kind:     hidden_global_offset_y
      - .offset:         200
        .size:           8
        .value_kind:     hidden_global_offset_z
      - .offset:         208
        .size:           2
        .value_kind:     hidden_grid_dims
    .group_segment_fixed_size: 2720
    .kernarg_segment_align: 8
    .kernarg_segment_size: 400
    .language:       OpenCL C
    .language_version:
      - 2
      - 0
    .max_flat_workgroup_size: 256
    .name:           _Z38paged_attention_ll4mi_QKV_mfma4_kernelI14__hip_bfloat16S0_LN4vllm18Fp8KVCacheDataTypeE0ES0_Li16ELi64ELi256ELb1ELi2EEvPKT_PKT0_S8_ifPKiSA_SA_iPKfiiiPfSD_PS3_PT2_iSC_SC_
    .private_segment_fixed_size: 0
    .sgpr_count:     42
    .sgpr_spill_count: 0
    .symbol:         _Z38paged_attention_ll4mi_QKV_mfma4_kernelI14__hip_bfloat16S0_LN4vllm18Fp8KVCacheDataTypeE0ES0_Li16ELi64ELi256ELb1ELi2EEvPKT_PKT0_S8_ifPKiSA_SA_iPKfiiiPfSD_PS3_PT2_iSC_SC_.kd
    .uniform_work_group_size: 1
    .uses_dynamic_stack: false
    .vgpr_count:     72
    .vgpr_spill_count: 0
    .wavefront_size: 64
  - .agpr_count:     4
    .args:
      - .actual_access:  read_only
        .address_space:  global
        .offset:         0
        .size:           8
        .value_kind:     global_buffer
      - .actual_access:  read_only
        .address_space:  global
        .offset:         8
        .size:           8
        .value_kind:     global_buffer
      - .actual_access:  read_only
        .address_space:  global
        .offset:         16
        .size:           8
        .value_kind:     global_buffer
      - .offset:         24
        .size:           4
        .value_kind:     by_value
      - .offset:         28
        .size:           4
        .value_kind:     by_value
      - .actual_access:  read_only
        .address_space:  global
        .offset:         32
        .size:           8
        .value_kind:     global_buffer
      - .actual_access:  read_only
        .address_space:  global
        .offset:         40
        .size:           8
        .value_kind:     global_buffer
      - .actual_access:  read_only
        .address_space:  global
        .offset:         48
        .size:           8
        .value_kind:     global_buffer
      - .offset:         56
        .size:           4
        .value_kind:     by_value
      - .actual_access:  read_only
        .address_space:  global
        .offset:         64
        .size:           8
        .value_kind:     global_buffer
      - .offset:         72
        .size:           4
        .value_kind:     by_value
      - .offset:         76
        .size:           4
        .value_kind:     by_value
      - .offset:         80
        .size:           4
        .value_kind:     by_value
      - .actual_access:  write_only
        .address_space:  global
        .offset:         88
        .size:           8
        .value_kind:     global_buffer
      - .actual_access:  write_only
        .address_space:  global
        .offset:         96
        .size:           8
        .value_kind:     global_buffer
      - .actual_access:  write_only
        .address_space:  global
        .offset:         104
        .size:           8
        .value_kind:     global_buffer
      - .actual_access:  read_only
        .address_space:  global
        .offset:         112
        .size:           8
        .value_kind:     global_buffer
      - .offset:         120
        .size:           4
        .value_kind:     by_value
      - .address_space:  global
        .offset:         128
        .size:           8
        .value_kind:     global_buffer
      - .address_space:  global
        .offset:         136
        .size:           8
        .value_kind:     global_buffer
      - .offset:         144
        .size:           4
        .value_kind:     hidden_block_count_x
      - .offset:         148
        .size:           4
        .value_kind:     hidden_block_count_y
      - .offset:         152
        .size:           4
        .value_kind:     hidden_block_count_z
      - .offset:         156
        .size:           2
        .value_kind:     hidden_group_size_x
      - .offset:         158
        .size:           2
        .value_kind:     hidden_group_size_y
      - .offset:         160
        .size:           2
        .value_kind:     hidden_group_size_z
      - .offset:         162
        .size:           2
        .value_kind:     hidden_remainder_x
      - .offset:         164
        .size:           2
        .value_kind:     hidden_remainder_y
      - .offset:         166
        .size:           2
        .value_kind:     hidden_remainder_z
      - .offset:         184
        .size:           8
        .value_kind:     hidden_global_offset_x
      - .offset:         192
        .size:           8
        .value_kind:     hidden_global_offset_y
      - .offset:         200
        .size:           8
        .value_kind:     hidden_global_offset_z
      - .offset:         208
        .size:           2
        .value_kind:     hidden_grid_dims
    .group_segment_fixed_size: 2720
    .kernarg_segment_align: 8
    .kernarg_segment_size: 400
    .language:       OpenCL C
    .language_version:
      - 2
      - 0
    .max_flat_workgroup_size: 256
    .name:           _Z38paged_attention_ll4mi_QKV_mfma4_kernelI14__hip_bfloat16S0_LN4vllm18Fp8KVCacheDataTypeE0ES0_Li16ELi64ELi256ELb1ELi3EEvPKT_PKT0_S8_ifPKiSA_SA_iPKfiiiPfSD_PS3_PT2_iSC_SC_
    .private_segment_fixed_size: 0
    .sgpr_count:     42
    .sgpr_spill_count: 0
    .symbol:         _Z38paged_attention_ll4mi_QKV_mfma4_kernelI14__hip_bfloat16S0_LN4vllm18Fp8KVCacheDataTypeE0ES0_Li16ELi64ELi256ELb1ELi3EEvPKT_PKT0_S8_ifPKiSA_SA_iPKfiiiPfSD_PS3_PT2_iSC_SC_.kd
    .uniform_work_group_size: 1
    .uses_dynamic_stack: false
    .vgpr_count:     72
    .vgpr_spill_count: 0
    .wavefront_size: 64
  - .agpr_count:     4
    .args:
      - .actual_access:  read_only
        .address_space:  global
        .offset:         0
        .size:           8
        .value_kind:     global_buffer
      - .actual_access:  read_only
        .address_space:  global
        .offset:         8
        .size:           8
        .value_kind:     global_buffer
      - .actual_access:  read_only
        .address_space:  global
        .offset:         16
        .size:           8
        .value_kind:     global_buffer
      - .offset:         24
        .size:           4
        .value_kind:     by_value
      - .offset:         28
        .size:           4
        .value_kind:     by_value
      - .actual_access:  read_only
        .address_space:  global
        .offset:         32
        .size:           8
        .value_kind:     global_buffer
      - .actual_access:  read_only
        .address_space:  global
        .offset:         40
        .size:           8
        .value_kind:     global_buffer
      - .actual_access:  read_only
        .address_space:  global
        .offset:         48
        .size:           8
        .value_kind:     global_buffer
      - .offset:         56
        .size:           4
        .value_kind:     by_value
      - .actual_access:  read_only
        .address_space:  global
        .offset:         64
        .size:           8
        .value_kind:     global_buffer
      - .offset:         72
        .size:           4
        .value_kind:     by_value
      - .offset:         76
        .size:           4
        .value_kind:     by_value
      - .offset:         80
        .size:           4
        .value_kind:     by_value
      - .actual_access:  write_only
        .address_space:  global
        .offset:         88
        .size:           8
        .value_kind:     global_buffer
      - .actual_access:  write_only
        .address_space:  global
        .offset:         96
        .size:           8
        .value_kind:     global_buffer
      - .actual_access:  write_only
        .address_space:  global
        .offset:         104
        .size:           8
        .value_kind:     global_buffer
      - .actual_access:  read_only
        .address_space:  global
        .offset:         112
        .size:           8
        .value_kind:     global_buffer
      - .offset:         120
        .size:           4
        .value_kind:     by_value
      - .address_space:  global
        .offset:         128
        .size:           8
        .value_kind:     global_buffer
      - .address_space:  global
        .offset:         136
        .size:           8
        .value_kind:     global_buffer
      - .offset:         144
        .size:           4
        .value_kind:     hidden_block_count_x
      - .offset:         148
        .size:           4
        .value_kind:     hidden_block_count_y
      - .offset:         152
        .size:           4
        .value_kind:     hidden_block_count_z
      - .offset:         156
        .size:           2
        .value_kind:     hidden_group_size_x
      - .offset:         158
        .size:           2
        .value_kind:     hidden_group_size_y
      - .offset:         160
        .size:           2
        .value_kind:     hidden_group_size_z
      - .offset:         162
        .size:           2
        .value_kind:     hidden_remainder_x
      - .offset:         164
        .size:           2
        .value_kind:     hidden_remainder_y
      - .offset:         166
        .size:           2
        .value_kind:     hidden_remainder_z
      - .offset:         184
        .size:           8
        .value_kind:     hidden_global_offset_x
      - .offset:         192
        .size:           8
        .value_kind:     hidden_global_offset_y
      - .offset:         200
        .size:           8
        .value_kind:     hidden_global_offset_z
      - .offset:         208
        .size:           2
        .value_kind:     hidden_grid_dims
    .group_segment_fixed_size: 2720
    .kernarg_segment_align: 8
    .kernarg_segment_size: 400
    .language:       OpenCL C
    .language_version:
      - 2
      - 0
    .max_flat_workgroup_size: 256
    .name:           _Z38paged_attention_ll4mi_QKV_mfma4_kernelI14__hip_bfloat16S0_LN4vllm18Fp8KVCacheDataTypeE0ES0_Li16ELi64ELi256ELb1ELi4EEvPKT_PKT0_S8_ifPKiSA_SA_iPKfiiiPfSD_PS3_PT2_iSC_SC_
    .private_segment_fixed_size: 0
    .sgpr_count:     44
    .sgpr_spill_count: 0
    .symbol:         _Z38paged_attention_ll4mi_QKV_mfma4_kernelI14__hip_bfloat16S0_LN4vllm18Fp8KVCacheDataTypeE0ES0_Li16ELi64ELi256ELb1ELi4EEvPKT_PKT0_S8_ifPKiSA_SA_iPKfiiiPfSD_PS3_PT2_iSC_SC_.kd
    .uniform_work_group_size: 1
    .uses_dynamic_stack: false
    .vgpr_count:     64
    .vgpr_spill_count: 0
    .wavefront_size: 64
  - .agpr_count:     0
    .args:
      - .actual_access:  read_only
        .address_space:  global
        .offset:         0
        .size:           8
        .value_kind:     global_buffer
      - .actual_access:  read_only
        .address_space:  global
        .offset:         8
        .size:           8
        .value_kind:     global_buffer
      - .actual_access:  read_only
        .address_space:  global
        .offset:         16
        .size:           8
        .value_kind:     global_buffer
      - .offset:         24
        .size:           4
        .value_kind:     by_value
      - .offset:         28
        .size:           4
        .value_kind:     by_value
      - .actual_access:  read_only
        .address_space:  global
        .offset:         32
        .size:           8
        .value_kind:     global_buffer
      - .actual_access:  read_only
        .address_space:  global
        .offset:         40
        .size:           8
        .value_kind:     global_buffer
      - .actual_access:  read_only
        .address_space:  global
        .offset:         48
        .size:           8
        .value_kind:     global_buffer
      - .offset:         56
        .size:           4
        .value_kind:     by_value
      - .actual_access:  read_only
        .address_space:  global
        .offset:         64
        .size:           8
        .value_kind:     global_buffer
      - .offset:         72
        .size:           4
        .value_kind:     by_value
      - .offset:         76
        .size:           4
        .value_kind:     by_value
      - .offset:         80
        .size:           4
        .value_kind:     by_value
      - .actual_access:  write_only
        .address_space:  global
        .offset:         88
        .size:           8
        .value_kind:     global_buffer
      - .actual_access:  write_only
        .address_space:  global
        .offset:         96
        .size:           8
        .value_kind:     global_buffer
      - .actual_access:  write_only
        .address_space:  global
        .offset:         104
        .size:           8
        .value_kind:     global_buffer
      - .actual_access:  read_only
        .address_space:  global
        .offset:         112
        .size:           8
        .value_kind:     global_buffer
      - .offset:         120
        .size:           4
        .value_kind:     by_value
      - .address_space:  global
        .offset:         128
        .size:           8
        .value_kind:     global_buffer
      - .address_space:  global
        .offset:         136
        .size:           8
        .value_kind:     global_buffer
      - .offset:         144
        .size:           4
        .value_kind:     hidden_block_count_x
      - .offset:         148
        .size:           4
        .value_kind:     hidden_block_count_y
      - .offset:         152
        .size:           4
        .value_kind:     hidden_block_count_z
      - .offset:         156
        .size:           2
        .value_kind:     hidden_group_size_x
      - .offset:         158
        .size:           2
        .value_kind:     hidden_group_size_y
      - .offset:         160
        .size:           2
        .value_kind:     hidden_group_size_z
      - .offset:         162
        .size:           2
        .value_kind:     hidden_remainder_x
      - .offset:         164
        .size:           2
        .value_kind:     hidden_remainder_y
      - .offset:         166
        .size:           2
        .value_kind:     hidden_remainder_z
      - .offset:         184
        .size:           8
        .value_kind:     hidden_global_offset_x
      - .offset:         192
        .size:           8
        .value_kind:     hidden_global_offset_y
      - .offset:         200
        .size:           8
        .value_kind:     hidden_global_offset_z
      - .offset:         208
        .size:           2
        .value_kind:     hidden_grid_dims
    .group_segment_fixed_size: 8192
    .kernarg_segment_align: 8
    .kernarg_segment_size: 400
    .language:       OpenCL C
    .language_version:
      - 2
      - 0
    .max_flat_workgroup_size: 256
    .name:           _Z39paged_attention_ll4mi_QKV_mfma16_kernelI14__hip_bfloat16S0_LN4vllm18Fp8KVCacheDataTypeE0ES0_Li16ELi64ELi256ELb1ELi5EL8MFMAType0EEvPKT_PKT0_S9_ifPKiSB_SB_iPKfiiiPfSE_PS4_PT2_iSD_SD_
    .private_segment_fixed_size: 0
    .sgpr_count:     52
    .sgpr_spill_count: 0
    .symbol:         _Z39paged_attention_ll4mi_QKV_mfma16_kernelI14__hip_bfloat16S0_LN4vllm18Fp8KVCacheDataTypeE0ES0_Li16ELi64ELi256ELb1ELi5EL8MFMAType0EEvPKT_PKT0_S9_ifPKiSB_SB_iPKfiiiPfSE_PS4_PT2_iSD_SD_.kd
    .uniform_work_group_size: 1
    .uses_dynamic_stack: false
    .vgpr_count:     67
    .vgpr_spill_count: 0
    .wavefront_size: 64
  - .agpr_count:     0
    .args:
      - .actual_access:  read_only
        .address_space:  global
        .offset:         0
        .size:           8
        .value_kind:     global_buffer
      - .actual_access:  read_only
        .address_space:  global
        .offset:         8
        .size:           8
        .value_kind:     global_buffer
      - .actual_access:  read_only
        .address_space:  global
        .offset:         16
        .size:           8
        .value_kind:     global_buffer
      - .offset:         24
        .size:           4
        .value_kind:     by_value
      - .offset:         28
        .size:           4
        .value_kind:     by_value
      - .actual_access:  read_only
        .address_space:  global
        .offset:         32
        .size:           8
        .value_kind:     global_buffer
      - .actual_access:  read_only
        .address_space:  global
        .offset:         40
        .size:           8
        .value_kind:     global_buffer
      - .actual_access:  read_only
        .address_space:  global
        .offset:         48
        .size:           8
        .value_kind:     global_buffer
      - .offset:         56
        .size:           4
        .value_kind:     by_value
      - .actual_access:  read_only
        .address_space:  global
        .offset:         64
        .size:           8
        .value_kind:     global_buffer
      - .offset:         72
        .size:           4
        .value_kind:     by_value
      - .offset:         76
        .size:           4
        .value_kind:     by_value
      - .offset:         80
        .size:           4
        .value_kind:     by_value
      - .actual_access:  write_only
        .address_space:  global
        .offset:         88
        .size:           8
        .value_kind:     global_buffer
      - .actual_access:  write_only
        .address_space:  global
        .offset:         96
        .size:           8
        .value_kind:     global_buffer
      - .actual_access:  write_only
        .address_space:  global
        .offset:         104
        .size:           8
        .value_kind:     global_buffer
      - .actual_access:  read_only
        .address_space:  global
        .offset:         112
        .size:           8
        .value_kind:     global_buffer
      - .offset:         120
        .size:           4
        .value_kind:     by_value
      - .address_space:  global
        .offset:         128
        .size:           8
        .value_kind:     global_buffer
      - .address_space:  global
        .offset:         136
        .size:           8
        .value_kind:     global_buffer
      - .offset:         144
        .size:           4
        .value_kind:     hidden_block_count_x
      - .offset:         148
        .size:           4
        .value_kind:     hidden_block_count_y
      - .offset:         152
        .size:           4
        .value_kind:     hidden_block_count_z
      - .offset:         156
        .size:           2
        .value_kind:     hidden_group_size_x
      - .offset:         158
        .size:           2
        .value_kind:     hidden_group_size_y
      - .offset:         160
        .size:           2
        .value_kind:     hidden_group_size_z
      - .offset:         162
        .size:           2
        .value_kind:     hidden_remainder_x
      - .offset:         164
        .size:           2
        .value_kind:     hidden_remainder_y
      - .offset:         166
        .size:           2
        .value_kind:     hidden_remainder_z
      - .offset:         184
        .size:           8
        .value_kind:     hidden_global_offset_x
      - .offset:         192
        .size:           8
        .value_kind:     hidden_global_offset_y
      - .offset:         200
        .size:           8
        .value_kind:     hidden_global_offset_z
      - .offset:         208
        .size:           2
        .value_kind:     hidden_grid_dims
    .group_segment_fixed_size: 8192
    .kernarg_segment_align: 8
    .kernarg_segment_size: 400
    .language:       OpenCL C
    .language_version:
      - 2
      - 0
    .max_flat_workgroup_size: 256
    .name:           _Z39paged_attention_ll4mi_QKV_mfma16_kernelI14__hip_bfloat16S0_LN4vllm18Fp8KVCacheDataTypeE0ES0_Li16ELi64ELi256ELb1ELi6EL8MFMAType0EEvPKT_PKT0_S9_ifPKiSB_SB_iPKfiiiPfSE_PS4_PT2_iSD_SD_
    .private_segment_fixed_size: 0
    .sgpr_count:     52
    .sgpr_spill_count: 0
    .symbol:         _Z39paged_attention_ll4mi_QKV_mfma16_kernelI14__hip_bfloat16S0_LN4vllm18Fp8KVCacheDataTypeE0ES0_Li16ELi64ELi256ELb1ELi6EL8MFMAType0EEvPKT_PKT0_S9_ifPKiSB_SB_iPKfiiiPfSE_PS4_PT2_iSD_SD_.kd
    .uniform_work_group_size: 1
    .uses_dynamic_stack: false
    .vgpr_count:     67
    .vgpr_spill_count: 0
    .wavefront_size: 64
  - .agpr_count:     0
    .args:
      - .actual_access:  read_only
        .address_space:  global
        .offset:         0
        .size:           8
        .value_kind:     global_buffer
      - .actual_access:  read_only
        .address_space:  global
        .offset:         8
        .size:           8
        .value_kind:     global_buffer
      - .actual_access:  read_only
        .address_space:  global
        .offset:         16
        .size:           8
        .value_kind:     global_buffer
      - .offset:         24
        .size:           4
        .value_kind:     by_value
      - .offset:         28
        .size:           4
        .value_kind:     by_value
      - .actual_access:  read_only
        .address_space:  global
        .offset:         32
        .size:           8
        .value_kind:     global_buffer
      - .actual_access:  read_only
        .address_space:  global
        .offset:         40
        .size:           8
        .value_kind:     global_buffer
      - .actual_access:  read_only
        .address_space:  global
        .offset:         48
        .size:           8
        .value_kind:     global_buffer
      - .offset:         56
        .size:           4
        .value_kind:     by_value
      - .actual_access:  read_only
        .address_space:  global
        .offset:         64
        .size:           8
        .value_kind:     global_buffer
      - .offset:         72
        .size:           4
        .value_kind:     by_value
      - .offset:         76
        .size:           4
        .value_kind:     by_value
      - .offset:         80
        .size:           4
        .value_kind:     by_value
      - .actual_access:  write_only
        .address_space:  global
        .offset:         88
        .size:           8
        .value_kind:     global_buffer
      - .actual_access:  write_only
        .address_space:  global
        .offset:         96
        .size:           8
        .value_kind:     global_buffer
      - .actual_access:  write_only
        .address_space:  global
        .offset:         104
        .size:           8
        .value_kind:     global_buffer
      - .actual_access:  read_only
        .address_space:  global
        .offset:         112
        .size:           8
        .value_kind:     global_buffer
      - .offset:         120
        .size:           4
        .value_kind:     by_value
      - .address_space:  global
        .offset:         128
        .size:           8
        .value_kind:     global_buffer
      - .address_space:  global
        .offset:         136
        .size:           8
        .value_kind:     global_buffer
      - .offset:         144
        .size:           4
        .value_kind:     hidden_block_count_x
      - .offset:         148
        .size:           4
        .value_kind:     hidden_block_count_y
      - .offset:         152
        .size:           4
        .value_kind:     hidden_block_count_z
      - .offset:         156
        .size:           2
        .value_kind:     hidden_group_size_x
      - .offset:         158
        .size:           2
        .value_kind:     hidden_group_size_y
      - .offset:         160
        .size:           2
        .value_kind:     hidden_group_size_z
      - .offset:         162
        .size:           2
        .value_kind:     hidden_remainder_x
      - .offset:         164
        .size:           2
        .value_kind:     hidden_remainder_y
      - .offset:         166
        .size:           2
        .value_kind:     hidden_remainder_z
      - .offset:         184
        .size:           8
        .value_kind:     hidden_global_offset_x
      - .offset:         192
        .size:           8
        .value_kind:     hidden_global_offset_y
      - .offset:         200
        .size:           8
        .value_kind:     hidden_global_offset_z
      - .offset:         208
        .size:           2
        .value_kind:     hidden_grid_dims
    .group_segment_fixed_size: 8192
    .kernarg_segment_align: 8
    .kernarg_segment_size: 400
    .language:       OpenCL C
    .language_version:
      - 2
      - 0
    .max_flat_workgroup_size: 256
    .name:           _Z39paged_attention_ll4mi_QKV_mfma16_kernelI14__hip_bfloat16S0_LN4vllm18Fp8KVCacheDataTypeE0ES0_Li16ELi64ELi256ELb1ELi7EL8MFMAType0EEvPKT_PKT0_S9_ifPKiSB_SB_iPKfiiiPfSE_PS4_PT2_iSD_SD_
    .private_segment_fixed_size: 0
    .sgpr_count:     52
    .sgpr_spill_count: 0
    .symbol:         _Z39paged_attention_ll4mi_QKV_mfma16_kernelI14__hip_bfloat16S0_LN4vllm18Fp8KVCacheDataTypeE0ES0_Li16ELi64ELi256ELb1ELi7EL8MFMAType0EEvPKT_PKT0_S9_ifPKiSB_SB_iPKfiiiPfSE_PS4_PT2_iSD_SD_.kd
    .uniform_work_group_size: 1
    .uses_dynamic_stack: false
    .vgpr_count:     67
    .vgpr_spill_count: 0
    .wavefront_size: 64
  - .agpr_count:     0
    .args:
      - .actual_access:  read_only
        .address_space:  global
        .offset:         0
        .size:           8
        .value_kind:     global_buffer
      - .actual_access:  read_only
        .address_space:  global
        .offset:         8
        .size:           8
        .value_kind:     global_buffer
      - .actual_access:  read_only
        .address_space:  global
        .offset:         16
        .size:           8
        .value_kind:     global_buffer
      - .offset:         24
        .size:           4
        .value_kind:     by_value
      - .offset:         28
        .size:           4
        .value_kind:     by_value
      - .actual_access:  read_only
        .address_space:  global
        .offset:         32
        .size:           8
        .value_kind:     global_buffer
      - .actual_access:  read_only
        .address_space:  global
        .offset:         40
        .size:           8
        .value_kind:     global_buffer
      - .actual_access:  read_only
        .address_space:  global
        .offset:         48
        .size:           8
        .value_kind:     global_buffer
      - .offset:         56
        .size:           4
        .value_kind:     by_value
      - .actual_access:  read_only
        .address_space:  global
        .offset:         64
        .size:           8
        .value_kind:     global_buffer
      - .offset:         72
        .size:           4
        .value_kind:     by_value
      - .offset:         76
        .size:           4
        .value_kind:     by_value
      - .offset:         80
        .size:           4
        .value_kind:     by_value
      - .actual_access:  write_only
        .address_space:  global
        .offset:         88
        .size:           8
        .value_kind:     global_buffer
      - .actual_access:  write_only
        .address_space:  global
        .offset:         96
        .size:           8
        .value_kind:     global_buffer
      - .actual_access:  write_only
        .address_space:  global
        .offset:         104
        .size:           8
        .value_kind:     global_buffer
      - .actual_access:  read_only
        .address_space:  global
        .offset:         112
        .size:           8
        .value_kind:     global_buffer
      - .offset:         120
        .size:           4
        .value_kind:     by_value
      - .address_space:  global
        .offset:         128
        .size:           8
        .value_kind:     global_buffer
      - .address_space:  global
        .offset:         136
        .size:           8
        .value_kind:     global_buffer
      - .offset:         144
        .size:           4
        .value_kind:     hidden_block_count_x
      - .offset:         148
        .size:           4
        .value_kind:     hidden_block_count_y
      - .offset:         152
        .size:           4
        .value_kind:     hidden_block_count_z
      - .offset:         156
        .size:           2
        .value_kind:     hidden_group_size_x
      - .offset:         158
        .size:           2
        .value_kind:     hidden_group_size_y
      - .offset:         160
        .size:           2
        .value_kind:     hidden_group_size_z
      - .offset:         162
        .size:           2
        .value_kind:     hidden_remainder_x
      - .offset:         164
        .size:           2
        .value_kind:     hidden_remainder_y
      - .offset:         166
        .size:           2
        .value_kind:     hidden_remainder_z
      - .offset:         184
        .size:           8
        .value_kind:     hidden_global_offset_x
      - .offset:         192
        .size:           8
        .value_kind:     hidden_global_offset_y
      - .offset:         200
        .size:           8
        .value_kind:     hidden_global_offset_z
      - .offset:         208
        .size:           2
        .value_kind:     hidden_grid_dims
    .group_segment_fixed_size: 8192
    .kernarg_segment_align: 8
    .kernarg_segment_size: 400
    .language:       OpenCL C
    .language_version:
      - 2
      - 0
    .max_flat_workgroup_size: 256
    .name:           _Z39paged_attention_ll4mi_QKV_mfma16_kernelI14__hip_bfloat16S0_LN4vllm18Fp8KVCacheDataTypeE0ES0_Li16ELi64ELi256ELb1ELi8EL8MFMAType0EEvPKT_PKT0_S9_ifPKiSB_SB_iPKfiiiPfSE_PS4_PT2_iSD_SD_
    .private_segment_fixed_size: 0
    .sgpr_count:     52
    .sgpr_spill_count: 0
    .symbol:         _Z39paged_attention_ll4mi_QKV_mfma16_kernelI14__hip_bfloat16S0_LN4vllm18Fp8KVCacheDataTypeE0ES0_Li16ELi64ELi256ELb1ELi8EL8MFMAType0EEvPKT_PKT0_S9_ifPKiSB_SB_iPKfiiiPfSE_PS4_PT2_iSD_SD_.kd
    .uniform_work_group_size: 1
    .uses_dynamic_stack: false
    .vgpr_count:     66
    .vgpr_spill_count: 0
    .wavefront_size: 64
  - .agpr_count:     0
    .args:
      - .actual_access:  read_only
        .address_space:  global
        .offset:         0
        .size:           8
        .value_kind:     global_buffer
      - .actual_access:  read_only
        .address_space:  global
        .offset:         8
        .size:           8
        .value_kind:     global_buffer
      - .actual_access:  read_only
        .address_space:  global
        .offset:         16
        .size:           8
        .value_kind:     global_buffer
      - .offset:         24
        .size:           4
        .value_kind:     by_value
      - .offset:         28
        .size:           4
        .value_kind:     by_value
      - .actual_access:  read_only
        .address_space:  global
        .offset:         32
        .size:           8
        .value_kind:     global_buffer
      - .actual_access:  read_only
        .address_space:  global
        .offset:         40
        .size:           8
        .value_kind:     global_buffer
      - .actual_access:  read_only
        .address_space:  global
        .offset:         48
        .size:           8
        .value_kind:     global_buffer
      - .offset:         56
        .size:           4
        .value_kind:     by_value
      - .actual_access:  read_only
        .address_space:  global
        .offset:         64
        .size:           8
        .value_kind:     global_buffer
      - .offset:         72
        .size:           4
        .value_kind:     by_value
      - .offset:         76
        .size:           4
        .value_kind:     by_value
      - .offset:         80
        .size:           4
        .value_kind:     by_value
      - .actual_access:  write_only
        .address_space:  global
        .offset:         88
        .size:           8
        .value_kind:     global_buffer
      - .actual_access:  write_only
        .address_space:  global
        .offset:         96
        .size:           8
        .value_kind:     global_buffer
      - .actual_access:  write_only
        .address_space:  global
        .offset:         104
        .size:           8
        .value_kind:     global_buffer
      - .actual_access:  read_only
        .address_space:  global
        .offset:         112
        .size:           8
        .value_kind:     global_buffer
      - .offset:         120
        .size:           4
        .value_kind:     by_value
      - .address_space:  global
        .offset:         128
        .size:           8
        .value_kind:     global_buffer
      - .address_space:  global
        .offset:         136
        .size:           8
        .value_kind:     global_buffer
      - .offset:         144
        .size:           4
        .value_kind:     hidden_block_count_x
      - .offset:         148
        .size:           4
        .value_kind:     hidden_block_count_y
      - .offset:         152
        .size:           4
        .value_kind:     hidden_block_count_z
      - .offset:         156
        .size:           2
        .value_kind:     hidden_group_size_x
      - .offset:         158
        .size:           2
        .value_kind:     hidden_group_size_y
      - .offset:         160
        .size:           2
        .value_kind:     hidden_group_size_z
      - .offset:         162
        .size:           2
        .value_kind:     hidden_remainder_x
      - .offset:         164
        .size:           2
        .value_kind:     hidden_remainder_y
      - .offset:         166
        .size:           2
        .value_kind:     hidden_remainder_z
      - .offset:         184
        .size:           8
        .value_kind:     hidden_global_offset_x
      - .offset:         192
        .size:           8
        .value_kind:     hidden_global_offset_y
      - .offset:         200
        .size:           8
        .value_kind:     hidden_global_offset_z
      - .offset:         208
        .size:           2
        .value_kind:     hidden_grid_dims
    .group_segment_fixed_size: 8192
    .kernarg_segment_align: 8
    .kernarg_segment_size: 400
    .language:       OpenCL C
    .language_version:
      - 2
      - 0
    .max_flat_workgroup_size: 256
    .name:           _Z39paged_attention_ll4mi_QKV_mfma16_kernelI14__hip_bfloat16S0_LN4vllm18Fp8KVCacheDataTypeE0ES0_Li16ELi64ELi256ELb1ELi9EL8MFMAType0EEvPKT_PKT0_S9_ifPKiSB_SB_iPKfiiiPfSE_PS4_PT2_iSD_SD_
    .private_segment_fixed_size: 0
    .sgpr_count:     52
    .sgpr_spill_count: 0
    .symbol:         _Z39paged_attention_ll4mi_QKV_mfma16_kernelI14__hip_bfloat16S0_LN4vllm18Fp8KVCacheDataTypeE0ES0_Li16ELi64ELi256ELb1ELi9EL8MFMAType0EEvPKT_PKT0_S9_ifPKiSB_SB_iPKfiiiPfSE_PS4_PT2_iSD_SD_.kd
    .uniform_work_group_size: 1
    .uses_dynamic_stack: false
    .vgpr_count:     67
    .vgpr_spill_count: 0
    .wavefront_size: 64
  - .agpr_count:     0
    .args:
      - .actual_access:  read_only
        .address_space:  global
        .offset:         0
        .size:           8
        .value_kind:     global_buffer
      - .actual_access:  read_only
        .address_space:  global
        .offset:         8
        .size:           8
        .value_kind:     global_buffer
      - .actual_access:  read_only
        .address_space:  global
        .offset:         16
        .size:           8
        .value_kind:     global_buffer
      - .offset:         24
        .size:           4
        .value_kind:     by_value
      - .offset:         28
        .size:           4
        .value_kind:     by_value
      - .actual_access:  read_only
        .address_space:  global
        .offset:         32
        .size:           8
        .value_kind:     global_buffer
      - .actual_access:  read_only
        .address_space:  global
        .offset:         40
        .size:           8
        .value_kind:     global_buffer
      - .actual_access:  read_only
        .address_space:  global
        .offset:         48
        .size:           8
        .value_kind:     global_buffer
      - .offset:         56
        .size:           4
        .value_kind:     by_value
      - .actual_access:  read_only
        .address_space:  global
        .offset:         64
        .size:           8
        .value_kind:     global_buffer
      - .offset:         72
        .size:           4
        .value_kind:     by_value
      - .offset:         76
        .size:           4
        .value_kind:     by_value
      - .offset:         80
        .size:           4
        .value_kind:     by_value
      - .actual_access:  write_only
        .address_space:  global
        .offset:         88
        .size:           8
        .value_kind:     global_buffer
      - .actual_access:  write_only
        .address_space:  global
        .offset:         96
        .size:           8
        .value_kind:     global_buffer
      - .actual_access:  write_only
        .address_space:  global
        .offset:         104
        .size:           8
        .value_kind:     global_buffer
      - .actual_access:  read_only
        .address_space:  global
        .offset:         112
        .size:           8
        .value_kind:     global_buffer
      - .offset:         120
        .size:           4
        .value_kind:     by_value
      - .address_space:  global
        .offset:         128
        .size:           8
        .value_kind:     global_buffer
      - .address_space:  global
        .offset:         136
        .size:           8
        .value_kind:     global_buffer
      - .offset:         144
        .size:           4
        .value_kind:     hidden_block_count_x
      - .offset:         148
        .size:           4
        .value_kind:     hidden_block_count_y
      - .offset:         152
        .size:           4
        .value_kind:     hidden_block_count_z
      - .offset:         156
        .size:           2
        .value_kind:     hidden_group_size_x
      - .offset:         158
        .size:           2
        .value_kind:     hidden_group_size_y
      - .offset:         160
        .size:           2
        .value_kind:     hidden_group_size_z
      - .offset:         162
        .size:           2
        .value_kind:     hidden_remainder_x
      - .offset:         164
        .size:           2
        .value_kind:     hidden_remainder_y
      - .offset:         166
        .size:           2
        .value_kind:     hidden_remainder_z
      - .offset:         184
        .size:           8
        .value_kind:     hidden_global_offset_x
      - .offset:         192
        .size:           8
        .value_kind:     hidden_global_offset_y
      - .offset:         200
        .size:           8
        .value_kind:     hidden_global_offset_z
      - .offset:         208
        .size:           2
        .value_kind:     hidden_grid_dims
    .group_segment_fixed_size: 8192
    .kernarg_segment_align: 8
    .kernarg_segment_size: 400
    .language:       OpenCL C
    .language_version:
      - 2
      - 0
    .max_flat_workgroup_size: 256
    .name:           _Z39paged_attention_ll4mi_QKV_mfma16_kernelI14__hip_bfloat16S0_LN4vllm18Fp8KVCacheDataTypeE0ES0_Li16ELi64ELi256ELb1ELi10EL8MFMAType0EEvPKT_PKT0_S9_ifPKiSB_SB_iPKfiiiPfSE_PS4_PT2_iSD_SD_
    .private_segment_fixed_size: 0
    .sgpr_count:     52
    .sgpr_spill_count: 0
    .symbol:         _Z39paged_attention_ll4mi_QKV_mfma16_kernelI14__hip_bfloat16S0_LN4vllm18Fp8KVCacheDataTypeE0ES0_Li16ELi64ELi256ELb1ELi10EL8MFMAType0EEvPKT_PKT0_S9_ifPKiSB_SB_iPKfiiiPfSE_PS4_PT2_iSD_SD_.kd
    .uniform_work_group_size: 1
    .uses_dynamic_stack: false
    .vgpr_count:     67
    .vgpr_spill_count: 0
    .wavefront_size: 64
  - .agpr_count:     0
    .args:
      - .actual_access:  read_only
        .address_space:  global
        .offset:         0
        .size:           8
        .value_kind:     global_buffer
      - .actual_access:  read_only
        .address_space:  global
        .offset:         8
        .size:           8
        .value_kind:     global_buffer
      - .actual_access:  read_only
        .address_space:  global
        .offset:         16
        .size:           8
        .value_kind:     global_buffer
      - .offset:         24
        .size:           4
        .value_kind:     by_value
      - .offset:         28
        .size:           4
        .value_kind:     by_value
      - .actual_access:  read_only
        .address_space:  global
        .offset:         32
        .size:           8
        .value_kind:     global_buffer
      - .actual_access:  read_only
        .address_space:  global
        .offset:         40
        .size:           8
        .value_kind:     global_buffer
      - .actual_access:  read_only
        .address_space:  global
        .offset:         48
        .size:           8
        .value_kind:     global_buffer
      - .offset:         56
        .size:           4
        .value_kind:     by_value
      - .actual_access:  read_only
        .address_space:  global
        .offset:         64
        .size:           8
        .value_kind:     global_buffer
      - .offset:         72
        .size:           4
        .value_kind:     by_value
      - .offset:         76
        .size:           4
        .value_kind:     by_value
      - .offset:         80
        .size:           4
        .value_kind:     by_value
      - .actual_access:  write_only
        .address_space:  global
        .offset:         88
        .size:           8
        .value_kind:     global_buffer
      - .actual_access:  write_only
        .address_space:  global
        .offset:         96
        .size:           8
        .value_kind:     global_buffer
      - .actual_access:  write_only
        .address_space:  global
        .offset:         104
        .size:           8
        .value_kind:     global_buffer
      - .actual_access:  read_only
        .address_space:  global
        .offset:         112
        .size:           8
        .value_kind:     global_buffer
      - .offset:         120
        .size:           4
        .value_kind:     by_value
      - .address_space:  global
        .offset:         128
        .size:           8
        .value_kind:     global_buffer
      - .address_space:  global
        .offset:         136
        .size:           8
        .value_kind:     global_buffer
      - .offset:         144
        .size:           4
        .value_kind:     hidden_block_count_x
      - .offset:         148
        .size:           4
        .value_kind:     hidden_block_count_y
      - .offset:         152
        .size:           4
        .value_kind:     hidden_block_count_z
      - .offset:         156
        .size:           2
        .value_kind:     hidden_group_size_x
      - .offset:         158
        .size:           2
        .value_kind:     hidden_group_size_y
      - .offset:         160
        .size:           2
        .value_kind:     hidden_group_size_z
      - .offset:         162
        .size:           2
        .value_kind:     hidden_remainder_x
      - .offset:         164
        .size:           2
        .value_kind:     hidden_remainder_y
      - .offset:         166
        .size:           2
        .value_kind:     hidden_remainder_z
      - .offset:         184
        .size:           8
        .value_kind:     hidden_global_offset_x
      - .offset:         192
        .size:           8
        .value_kind:     hidden_global_offset_y
      - .offset:         200
        .size:           8
        .value_kind:     hidden_global_offset_z
      - .offset:         208
        .size:           2
        .value_kind:     hidden_grid_dims
    .group_segment_fixed_size: 8192
    .kernarg_segment_align: 8
    .kernarg_segment_size: 400
    .language:       OpenCL C
    .language_version:
      - 2
      - 0
    .max_flat_workgroup_size: 256
    .name:           _Z39paged_attention_ll4mi_QKV_mfma16_kernelI14__hip_bfloat16S0_LN4vllm18Fp8KVCacheDataTypeE0ES0_Li16ELi64ELi256ELb1ELi11EL8MFMAType0EEvPKT_PKT0_S9_ifPKiSB_SB_iPKfiiiPfSE_PS4_PT2_iSD_SD_
    .private_segment_fixed_size: 0
    .sgpr_count:     52
    .sgpr_spill_count: 0
    .symbol:         _Z39paged_attention_ll4mi_QKV_mfma16_kernelI14__hip_bfloat16S0_LN4vllm18Fp8KVCacheDataTypeE0ES0_Li16ELi64ELi256ELb1ELi11EL8MFMAType0EEvPKT_PKT0_S9_ifPKiSB_SB_iPKfiiiPfSE_PS4_PT2_iSD_SD_.kd
    .uniform_work_group_size: 1
    .uses_dynamic_stack: false
    .vgpr_count:     67
    .vgpr_spill_count: 0
    .wavefront_size: 64
  - .agpr_count:     0
    .args:
      - .actual_access:  read_only
        .address_space:  global
        .offset:         0
        .size:           8
        .value_kind:     global_buffer
      - .actual_access:  read_only
        .address_space:  global
        .offset:         8
        .size:           8
        .value_kind:     global_buffer
      - .actual_access:  read_only
        .address_space:  global
        .offset:         16
        .size:           8
        .value_kind:     global_buffer
      - .offset:         24
        .size:           4
        .value_kind:     by_value
      - .offset:         28
        .size:           4
        .value_kind:     by_value
      - .actual_access:  read_only
        .address_space:  global
        .offset:         32
        .size:           8
        .value_kind:     global_buffer
      - .actual_access:  read_only
        .address_space:  global
        .offset:         40
        .size:           8
        .value_kind:     global_buffer
      - .actual_access:  read_only
        .address_space:  global
        .offset:         48
        .size:           8
        .value_kind:     global_buffer
      - .offset:         56
        .size:           4
        .value_kind:     by_value
      - .actual_access:  read_only
        .address_space:  global
        .offset:         64
        .size:           8
        .value_kind:     global_buffer
      - .offset:         72
        .size:           4
        .value_kind:     by_value
      - .offset:         76
        .size:           4
        .value_kind:     by_value
      - .offset:         80
        .size:           4
        .value_kind:     by_value
      - .actual_access:  write_only
        .address_space:  global
        .offset:         88
        .size:           8
        .value_kind:     global_buffer
      - .actual_access:  write_only
        .address_space:  global
        .offset:         96
        .size:           8
        .value_kind:     global_buffer
      - .actual_access:  write_only
        .address_space:  global
        .offset:         104
        .size:           8
        .value_kind:     global_buffer
      - .actual_access:  read_only
        .address_space:  global
        .offset:         112
        .size:           8
        .value_kind:     global_buffer
      - .offset:         120
        .size:           4
        .value_kind:     by_value
      - .address_space:  global
        .offset:         128
        .size:           8
        .value_kind:     global_buffer
      - .address_space:  global
        .offset:         136
        .size:           8
        .value_kind:     global_buffer
      - .offset:         144
        .size:           4
        .value_kind:     hidden_block_count_x
      - .offset:         148
        .size:           4
        .value_kind:     hidden_block_count_y
      - .offset:         152
        .size:           4
        .value_kind:     hidden_block_count_z
      - .offset:         156
        .size:           2
        .value_kind:     hidden_group_size_x
      - .offset:         158
        .size:           2
        .value_kind:     hidden_group_size_y
      - .offset:         160
        .size:           2
        .value_kind:     hidden_group_size_z
      - .offset:         162
        .size:           2
        .value_kind:     hidden_remainder_x
      - .offset:         164
        .size:           2
        .value_kind:     hidden_remainder_y
      - .offset:         166
        .size:           2
        .value_kind:     hidden_remainder_z
      - .offset:         184
        .size:           8
        .value_kind:     hidden_global_offset_x
      - .offset:         192
        .size:           8
        .value_kind:     hidden_global_offset_y
      - .offset:         200
        .size:           8
        .value_kind:     hidden_global_offset_z
      - .offset:         208
        .size:           2
        .value_kind:     hidden_grid_dims
    .group_segment_fixed_size: 8192
    .kernarg_segment_align: 8
    .kernarg_segment_size: 400
    .language:       OpenCL C
    .language_version:
      - 2
      - 0
    .max_flat_workgroup_size: 256
    .name:           _Z39paged_attention_ll4mi_QKV_mfma16_kernelI14__hip_bfloat16S0_LN4vllm18Fp8KVCacheDataTypeE0ES0_Li16ELi64ELi256ELb1ELi12EL8MFMAType0EEvPKT_PKT0_S9_ifPKiSB_SB_iPKfiiiPfSE_PS4_PT2_iSD_SD_
    .private_segment_fixed_size: 0
    .sgpr_count:     52
    .sgpr_spill_count: 0
    .symbol:         _Z39paged_attention_ll4mi_QKV_mfma16_kernelI14__hip_bfloat16S0_LN4vllm18Fp8KVCacheDataTypeE0ES0_Li16ELi64ELi256ELb1ELi12EL8MFMAType0EEvPKT_PKT0_S9_ifPKiSB_SB_iPKfiiiPfSE_PS4_PT2_iSD_SD_.kd
    .uniform_work_group_size: 1
    .uses_dynamic_stack: false
    .vgpr_count:     67
    .vgpr_spill_count: 0
    .wavefront_size: 64
  - .agpr_count:     0
    .args:
      - .actual_access:  read_only
        .address_space:  global
        .offset:         0
        .size:           8
        .value_kind:     global_buffer
      - .actual_access:  read_only
        .address_space:  global
        .offset:         8
        .size:           8
        .value_kind:     global_buffer
      - .actual_access:  read_only
        .address_space:  global
        .offset:         16
        .size:           8
        .value_kind:     global_buffer
      - .offset:         24
        .size:           4
        .value_kind:     by_value
      - .offset:         28
        .size:           4
        .value_kind:     by_value
      - .actual_access:  read_only
        .address_space:  global
        .offset:         32
        .size:           8
        .value_kind:     global_buffer
      - .actual_access:  read_only
        .address_space:  global
        .offset:         40
        .size:           8
        .value_kind:     global_buffer
      - .actual_access:  read_only
        .address_space:  global
        .offset:         48
        .size:           8
        .value_kind:     global_buffer
      - .offset:         56
        .size:           4
        .value_kind:     by_value
      - .actual_access:  read_only
        .address_space:  global
        .offset:         64
        .size:           8
        .value_kind:     global_buffer
      - .offset:         72
        .size:           4
        .value_kind:     by_value
      - .offset:         76
        .size:           4
        .value_kind:     by_value
      - .offset:         80
        .size:           4
        .value_kind:     by_value
      - .actual_access:  write_only
        .address_space:  global
        .offset:         88
        .size:           8
        .value_kind:     global_buffer
      - .actual_access:  write_only
        .address_space:  global
        .offset:         96
        .size:           8
        .value_kind:     global_buffer
      - .actual_access:  write_only
        .address_space:  global
        .offset:         104
        .size:           8
        .value_kind:     global_buffer
      - .actual_access:  read_only
        .address_space:  global
        .offset:         112
        .size:           8
        .value_kind:     global_buffer
      - .offset:         120
        .size:           4
        .value_kind:     by_value
      - .address_space:  global
        .offset:         128
        .size:           8
        .value_kind:     global_buffer
      - .address_space:  global
        .offset:         136
        .size:           8
        .value_kind:     global_buffer
      - .offset:         144
        .size:           4
        .value_kind:     hidden_block_count_x
      - .offset:         148
        .size:           4
        .value_kind:     hidden_block_count_y
      - .offset:         152
        .size:           4
        .value_kind:     hidden_block_count_z
      - .offset:         156
        .size:           2
        .value_kind:     hidden_group_size_x
      - .offset:         158
        .size:           2
        .value_kind:     hidden_group_size_y
      - .offset:         160
        .size:           2
        .value_kind:     hidden_group_size_z
      - .offset:         162
        .size:           2
        .value_kind:     hidden_remainder_x
      - .offset:         164
        .size:           2
        .value_kind:     hidden_remainder_y
      - .offset:         166
        .size:           2
        .value_kind:     hidden_remainder_z
      - .offset:         184
        .size:           8
        .value_kind:     hidden_global_offset_x
      - .offset:         192
        .size:           8
        .value_kind:     hidden_global_offset_y
      - .offset:         200
        .size:           8
        .value_kind:     hidden_global_offset_z
      - .offset:         208
        .size:           2
        .value_kind:     hidden_grid_dims
    .group_segment_fixed_size: 8192
    .kernarg_segment_align: 8
    .kernarg_segment_size: 400
    .language:       OpenCL C
    .language_version:
      - 2
      - 0
    .max_flat_workgroup_size: 256
    .name:           _Z39paged_attention_ll4mi_QKV_mfma16_kernelI14__hip_bfloat16S0_LN4vllm18Fp8KVCacheDataTypeE0ES0_Li16ELi64ELi256ELb1ELi13EL8MFMAType0EEvPKT_PKT0_S9_ifPKiSB_SB_iPKfiiiPfSE_PS4_PT2_iSD_SD_
    .private_segment_fixed_size: 0
    .sgpr_count:     52
    .sgpr_spill_count: 0
    .symbol:         _Z39paged_attention_ll4mi_QKV_mfma16_kernelI14__hip_bfloat16S0_LN4vllm18Fp8KVCacheDataTypeE0ES0_Li16ELi64ELi256ELb1ELi13EL8MFMAType0EEvPKT_PKT0_S9_ifPKiSB_SB_iPKfiiiPfSE_PS4_PT2_iSD_SD_.kd
    .uniform_work_group_size: 1
    .uses_dynamic_stack: false
    .vgpr_count:     67
    .vgpr_spill_count: 0
    .wavefront_size: 64
  - .agpr_count:     0
    .args:
      - .actual_access:  read_only
        .address_space:  global
        .offset:         0
        .size:           8
        .value_kind:     global_buffer
      - .actual_access:  read_only
        .address_space:  global
        .offset:         8
        .size:           8
        .value_kind:     global_buffer
      - .actual_access:  read_only
        .address_space:  global
        .offset:         16
        .size:           8
        .value_kind:     global_buffer
      - .offset:         24
        .size:           4
        .value_kind:     by_value
      - .offset:         28
        .size:           4
        .value_kind:     by_value
      - .actual_access:  read_only
        .address_space:  global
        .offset:         32
        .size:           8
        .value_kind:     global_buffer
      - .actual_access:  read_only
        .address_space:  global
        .offset:         40
        .size:           8
        .value_kind:     global_buffer
      - .actual_access:  read_only
        .address_space:  global
        .offset:         48
        .size:           8
        .value_kind:     global_buffer
      - .offset:         56
        .size:           4
        .value_kind:     by_value
      - .actual_access:  read_only
        .address_space:  global
        .offset:         64
        .size:           8
        .value_kind:     global_buffer
      - .offset:         72
        .size:           4
        .value_kind:     by_value
      - .offset:         76
        .size:           4
        .value_kind:     by_value
      - .offset:         80
        .size:           4
        .value_kind:     by_value
      - .actual_access:  write_only
        .address_space:  global
        .offset:         88
        .size:           8
        .value_kind:     global_buffer
      - .actual_access:  write_only
        .address_space:  global
        .offset:         96
        .size:           8
        .value_kind:     global_buffer
      - .actual_access:  write_only
        .address_space:  global
        .offset:         104
        .size:           8
        .value_kind:     global_buffer
      - .actual_access:  read_only
        .address_space:  global
        .offset:         112
        .size:           8
        .value_kind:     global_buffer
      - .offset:         120
        .size:           4
        .value_kind:     by_value
      - .address_space:  global
        .offset:         128
        .size:           8
        .value_kind:     global_buffer
      - .address_space:  global
        .offset:         136
        .size:           8
        .value_kind:     global_buffer
      - .offset:         144
        .size:           4
        .value_kind:     hidden_block_count_x
      - .offset:         148
        .size:           4
        .value_kind:     hidden_block_count_y
      - .offset:         152
        .size:           4
        .value_kind:     hidden_block_count_z
      - .offset:         156
        .size:           2
        .value_kind:     hidden_group_size_x
      - .offset:         158
        .size:           2
        .value_kind:     hidden_group_size_y
      - .offset:         160
        .size:           2
        .value_kind:     hidden_group_size_z
      - .offset:         162
        .size:           2
        .value_kind:     hidden_remainder_x
      - .offset:         164
        .size:           2
        .value_kind:     hidden_remainder_y
      - .offset:         166
        .size:           2
        .value_kind:     hidden_remainder_z
      - .offset:         184
        .size:           8
        .value_kind:     hidden_global_offset_x
      - .offset:         192
        .size:           8
        .value_kind:     hidden_global_offset_y
      - .offset:         200
        .size:           8
        .value_kind:     hidden_global_offset_z
      - .offset:         208
        .size:           2
        .value_kind:     hidden_grid_dims
    .group_segment_fixed_size: 8192
    .kernarg_segment_align: 8
    .kernarg_segment_size: 400
    .language:       OpenCL C
    .language_version:
      - 2
      - 0
    .max_flat_workgroup_size: 256
    .name:           _Z39paged_attention_ll4mi_QKV_mfma16_kernelI14__hip_bfloat16S0_LN4vllm18Fp8KVCacheDataTypeE0ES0_Li16ELi64ELi256ELb1ELi14EL8MFMAType0EEvPKT_PKT0_S9_ifPKiSB_SB_iPKfiiiPfSE_PS4_PT2_iSD_SD_
    .private_segment_fixed_size: 0
    .sgpr_count:     52
    .sgpr_spill_count: 0
    .symbol:         _Z39paged_attention_ll4mi_QKV_mfma16_kernelI14__hip_bfloat16S0_LN4vllm18Fp8KVCacheDataTypeE0ES0_Li16ELi64ELi256ELb1ELi14EL8MFMAType0EEvPKT_PKT0_S9_ifPKiSB_SB_iPKfiiiPfSE_PS4_PT2_iSD_SD_.kd
    .uniform_work_group_size: 1
    .uses_dynamic_stack: false
    .vgpr_count:     67
    .vgpr_spill_count: 0
    .wavefront_size: 64
  - .agpr_count:     0
    .args:
      - .actual_access:  read_only
        .address_space:  global
        .offset:         0
        .size:           8
        .value_kind:     global_buffer
      - .actual_access:  read_only
        .address_space:  global
        .offset:         8
        .size:           8
        .value_kind:     global_buffer
      - .actual_access:  read_only
        .address_space:  global
        .offset:         16
        .size:           8
        .value_kind:     global_buffer
      - .offset:         24
        .size:           4
        .value_kind:     by_value
      - .offset:         28
        .size:           4
        .value_kind:     by_value
      - .actual_access:  read_only
        .address_space:  global
        .offset:         32
        .size:           8
        .value_kind:     global_buffer
      - .actual_access:  read_only
        .address_space:  global
        .offset:         40
        .size:           8
        .value_kind:     global_buffer
      - .actual_access:  read_only
        .address_space:  global
        .offset:         48
        .size:           8
        .value_kind:     global_buffer
      - .offset:         56
        .size:           4
        .value_kind:     by_value
      - .actual_access:  read_only
        .address_space:  global
        .offset:         64
        .size:           8
        .value_kind:     global_buffer
      - .offset:         72
        .size:           4
        .value_kind:     by_value
      - .offset:         76
        .size:           4
        .value_kind:     by_value
      - .offset:         80
        .size:           4
        .value_kind:     by_value
      - .actual_access:  write_only
        .address_space:  global
        .offset:         88
        .size:           8
        .value_kind:     global_buffer
      - .actual_access:  write_only
        .address_space:  global
        .offset:         96
        .size:           8
        .value_kind:     global_buffer
      - .actual_access:  write_only
        .address_space:  global
        .offset:         104
        .size:           8
        .value_kind:     global_buffer
      - .actual_access:  read_only
        .address_space:  global
        .offset:         112
        .size:           8
        .value_kind:     global_buffer
      - .offset:         120
        .size:           4
        .value_kind:     by_value
      - .address_space:  global
        .offset:         128
        .size:           8
        .value_kind:     global_buffer
      - .address_space:  global
        .offset:         136
        .size:           8
        .value_kind:     global_buffer
      - .offset:         144
        .size:           4
        .value_kind:     hidden_block_count_x
      - .offset:         148
        .size:           4
        .value_kind:     hidden_block_count_y
      - .offset:         152
        .size:           4
        .value_kind:     hidden_block_count_z
      - .offset:         156
        .size:           2
        .value_kind:     hidden_group_size_x
      - .offset:         158
        .size:           2
        .value_kind:     hidden_group_size_y
      - .offset:         160
        .size:           2
        .value_kind:     hidden_group_size_z
      - .offset:         162
        .size:           2
        .value_kind:     hidden_remainder_x
      - .offset:         164
        .size:           2
        .value_kind:     hidden_remainder_y
      - .offset:         166
        .size:           2
        .value_kind:     hidden_remainder_z
      - .offset:         184
        .size:           8
        .value_kind:     hidden_global_offset_x
      - .offset:         192
        .size:           8
        .value_kind:     hidden_global_offset_y
      - .offset:         200
        .size:           8
        .value_kind:     hidden_global_offset_z
      - .offset:         208
        .size:           2
        .value_kind:     hidden_grid_dims
    .group_segment_fixed_size: 8192
    .kernarg_segment_align: 8
    .kernarg_segment_size: 400
    .language:       OpenCL C
    .language_version:
      - 2
      - 0
    .max_flat_workgroup_size: 256
    .name:           _Z39paged_attention_ll4mi_QKV_mfma16_kernelI14__hip_bfloat16S0_LN4vllm18Fp8KVCacheDataTypeE0ES0_Li16ELi64ELi256ELb1ELi15EL8MFMAType0EEvPKT_PKT0_S9_ifPKiSB_SB_iPKfiiiPfSE_PS4_PT2_iSD_SD_
    .private_segment_fixed_size: 0
    .sgpr_count:     52
    .sgpr_spill_count: 0
    .symbol:         _Z39paged_attention_ll4mi_QKV_mfma16_kernelI14__hip_bfloat16S0_LN4vllm18Fp8KVCacheDataTypeE0ES0_Li16ELi64ELi256ELb1ELi15EL8MFMAType0EEvPKT_PKT0_S9_ifPKiSB_SB_iPKfiiiPfSE_PS4_PT2_iSD_SD_.kd
    .uniform_work_group_size: 1
    .uses_dynamic_stack: false
    .vgpr_count:     67
    .vgpr_spill_count: 0
    .wavefront_size: 64
  - .agpr_count:     0
    .args:
      - .actual_access:  read_only
        .address_space:  global
        .offset:         0
        .size:           8
        .value_kind:     global_buffer
      - .actual_access:  read_only
        .address_space:  global
        .offset:         8
        .size:           8
        .value_kind:     global_buffer
      - .actual_access:  read_only
        .address_space:  global
        .offset:         16
        .size:           8
        .value_kind:     global_buffer
      - .offset:         24
        .size:           4
        .value_kind:     by_value
      - .offset:         28
        .size:           4
        .value_kind:     by_value
      - .actual_access:  read_only
        .address_space:  global
        .offset:         32
        .size:           8
        .value_kind:     global_buffer
      - .actual_access:  read_only
        .address_space:  global
        .offset:         40
        .size:           8
        .value_kind:     global_buffer
      - .actual_access:  read_only
        .address_space:  global
        .offset:         48
        .size:           8
        .value_kind:     global_buffer
      - .offset:         56
        .size:           4
        .value_kind:     by_value
      - .actual_access:  read_only
        .address_space:  global
        .offset:         64
        .size:           8
        .value_kind:     global_buffer
      - .offset:         72
        .size:           4
        .value_kind:     by_value
      - .offset:         76
        .size:           4
        .value_kind:     by_value
      - .offset:         80
        .size:           4
        .value_kind:     by_value
      - .actual_access:  write_only
        .address_space:  global
        .offset:         88
        .size:           8
        .value_kind:     global_buffer
      - .actual_access:  write_only
        .address_space:  global
        .offset:         96
        .size:           8
        .value_kind:     global_buffer
      - .actual_access:  write_only
        .address_space:  global
        .offset:         104
        .size:           8
        .value_kind:     global_buffer
      - .actual_access:  read_only
        .address_space:  global
        .offset:         112
        .size:           8
        .value_kind:     global_buffer
      - .offset:         120
        .size:           4
        .value_kind:     by_value
      - .address_space:  global
        .offset:         128
        .size:           8
        .value_kind:     global_buffer
      - .address_space:  global
        .offset:         136
        .size:           8
        .value_kind:     global_buffer
      - .offset:         144
        .size:           4
        .value_kind:     hidden_block_count_x
      - .offset:         148
        .size:           4
        .value_kind:     hidden_block_count_y
      - .offset:         152
        .size:           4
        .value_kind:     hidden_block_count_z
      - .offset:         156
        .size:           2
        .value_kind:     hidden_group_size_x
      - .offset:         158
        .size:           2
        .value_kind:     hidden_group_size_y
      - .offset:         160
        .size:           2
        .value_kind:     hidden_group_size_z
      - .offset:         162
        .size:           2
        .value_kind:     hidden_remainder_x
      - .offset:         164
        .size:           2
        .value_kind:     hidden_remainder_y
      - .offset:         166
        .size:           2
        .value_kind:     hidden_remainder_z
      - .offset:         184
        .size:           8
        .value_kind:     hidden_global_offset_x
      - .offset:         192
        .size:           8
        .value_kind:     hidden_global_offset_y
      - .offset:         200
        .size:           8
        .value_kind:     hidden_global_offset_z
      - .offset:         208
        .size:           2
        .value_kind:     hidden_grid_dims
    .group_segment_fixed_size: 8192
    .kernarg_segment_align: 8
    .kernarg_segment_size: 400
    .language:       OpenCL C
    .language_version:
      - 2
      - 0
    .max_flat_workgroup_size: 256
    .name:           _Z39paged_attention_ll4mi_QKV_mfma16_kernelI14__hip_bfloat16S0_LN4vllm18Fp8KVCacheDataTypeE0ES0_Li16ELi64ELi256ELb1ELi16EL8MFMAType0EEvPKT_PKT0_S9_ifPKiSB_SB_iPKfiiiPfSE_PS4_PT2_iSD_SD_
    .private_segment_fixed_size: 0
    .sgpr_count:     52
    .sgpr_spill_count: 0
    .symbol:         _Z39paged_attention_ll4mi_QKV_mfma16_kernelI14__hip_bfloat16S0_LN4vllm18Fp8KVCacheDataTypeE0ES0_Li16ELi64ELi256ELb1ELi16EL8MFMAType0EEvPKT_PKT0_S9_ifPKiSB_SB_iPKfiiiPfSE_PS4_PT2_iSD_SD_.kd
    .uniform_work_group_size: 1
    .uses_dynamic_stack: false
    .vgpr_count:     68
    .vgpr_spill_count: 0
    .wavefront_size: 64
  - .agpr_count:     0
    .args:
      - .actual_access:  write_only
        .address_space:  global
        .offset:         0
        .size:           8
        .value_kind:     global_buffer
      - .actual_access:  read_only
        .address_space:  global
        .offset:         8
        .size:           8
        .value_kind:     global_buffer
      - .actual_access:  read_only
        .address_space:  global
        .offset:         16
        .size:           8
        .value_kind:     global_buffer
      - .actual_access:  read_only
        .address_space:  global
        .offset:         24
        .size:           8
        .value_kind:     global_buffer
      - .actual_access:  read_only
        .address_space:  global
        .offset:         32
        .size:           8
        .value_kind:     global_buffer
      - .actual_access:  read_only
        .address_space:  global
        .offset:         40
        .size:           8
        .value_kind:     global_buffer
      - .offset:         48
        .size:           4
        .value_kind:     by_value
      - .actual_access:  read_only
        .address_space:  global
        .offset:         56
        .size:           8
        .value_kind:     global_buffer
      - .offset:         64
        .size:           4
        .value_kind:     hidden_block_count_x
      - .offset:         68
        .size:           4
        .value_kind:     hidden_block_count_y
      - .offset:         72
        .size:           4
        .value_kind:     hidden_block_count_z
      - .offset:         76
        .size:           2
        .value_kind:     hidden_group_size_x
      - .offset:         78
        .size:           2
        .value_kind:     hidden_group_size_y
      - .offset:         80
        .size:           2
        .value_kind:     hidden_group_size_z
      - .offset:         82
        .size:           2
        .value_kind:     hidden_remainder_x
      - .offset:         84
        .size:           2
        .value_kind:     hidden_remainder_y
      - .offset:         86
        .size:           2
        .value_kind:     hidden_remainder_z
      - .offset:         104
        .size:           8
        .value_kind:     hidden_global_offset_x
      - .offset:         112
        .size:           8
        .value_kind:     hidden_global_offset_y
      - .offset:         120
        .size:           8
        .value_kind:     hidden_global_offset_z
      - .offset:         128
        .size:           2
        .value_kind:     hidden_grid_dims
    .group_segment_fixed_size: 260
    .kernarg_segment_align: 8
    .kernarg_segment_size: 320
    .language:       OpenCL C
    .language_version:
      - 2
      - 0
    .max_flat_workgroup_size: 64
    .name:           _Z35paged_attention_ll4mi_reduce_kernelI14__hip_bfloat16S0_Li64ELi64ELi256ELi1EEvPT0_PKfS4_PKT_PKiS9_iS4_
    .private_segment_fixed_size: 0
    .sgpr_count:     34
    .sgpr_spill_count: 0
    .symbol:         _Z35paged_attention_ll4mi_reduce_kernelI14__hip_bfloat16S0_Li64ELi64ELi256ELi1EEvPT0_PKfS4_PKT_PKiS9_iS4_.kd
    .uniform_work_group_size: 1
    .uses_dynamic_stack: false
    .vgpr_count:     115
    .vgpr_spill_count: 0
    .wavefront_size: 64
  - .agpr_count:     0
    .args:
      - .actual_access:  write_only
        .address_space:  global
        .offset:         0
        .size:           8
        .value_kind:     global_buffer
      - .actual_access:  read_only
        .address_space:  global
        .offset:         8
        .size:           8
        .value_kind:     global_buffer
      - .actual_access:  read_only
        .address_space:  global
        .offset:         16
        .size:           8
        .value_kind:     global_buffer
      - .actual_access:  read_only
        .address_space:  global
        .offset:         24
        .size:           8
        .value_kind:     global_buffer
      - .actual_access:  read_only
        .address_space:  global
        .offset:         32
        .size:           8
        .value_kind:     global_buffer
      - .actual_access:  read_only
        .address_space:  global
        .offset:         40
        .size:           8
        .value_kind:     global_buffer
      - .offset:         48
        .size:           4
        .value_kind:     by_value
      - .actual_access:  read_only
        .address_space:  global
        .offset:         56
        .size:           8
        .value_kind:     global_buffer
      - .offset:         64
        .size:           4
        .value_kind:     hidden_block_count_x
      - .offset:         68
        .size:           4
        .value_kind:     hidden_block_count_y
      - .offset:         72
        .size:           4
        .value_kind:     hidden_block_count_z
      - .offset:         76
        .size:           2
        .value_kind:     hidden_group_size_x
      - .offset:         78
        .size:           2
        .value_kind:     hidden_group_size_y
      - .offset:         80
        .size:           2
        .value_kind:     hidden_group_size_z
      - .offset:         82
        .size:           2
        .value_kind:     hidden_remainder_x
      - .offset:         84
        .size:           2
        .value_kind:     hidden_remainder_y
      - .offset:         86
        .size:           2
        .value_kind:     hidden_remainder_z
      - .offset:         104
        .size:           8
        .value_kind:     hidden_global_offset_x
      - .offset:         112
        .size:           8
        .value_kind:     hidden_global_offset_y
      - .offset:         120
        .size:           8
        .value_kind:     hidden_global_offset_z
      - .offset:         128
        .size:           2
        .value_kind:     hidden_grid_dims
    .group_segment_fixed_size: 516
    .kernarg_segment_align: 8
    .kernarg_segment_size: 320
    .language:       OpenCL C
    .language_version:
      - 2
      - 0
    .max_flat_workgroup_size: 64
    .name:           _Z35paged_attention_ll4mi_reduce_kernelI14__hip_bfloat16S0_Li64ELi64ELi256ELi2EEvPT0_PKfS4_PKT_PKiS9_iS4_
    .private_segment_fixed_size: 0
    .sgpr_count:     36
    .sgpr_spill_count: 0
    .symbol:         _Z35paged_attention_ll4mi_reduce_kernelI14__hip_bfloat16S0_Li64ELi64ELi256ELi2EEvPT0_PKfS4_PKT_PKiS9_iS4_.kd
    .uniform_work_group_size: 1
    .uses_dynamic_stack: false
    .vgpr_count:     126
    .vgpr_spill_count: 0
    .wavefront_size: 64
  - .agpr_count:     0
    .args:
      - .actual_access:  write_only
        .address_space:  global
        .offset:         0
        .size:           8
        .value_kind:     global_buffer
      - .actual_access:  read_only
        .address_space:  global
        .offset:         8
        .size:           8
        .value_kind:     global_buffer
      - .actual_access:  read_only
        .address_space:  global
        .offset:         16
        .size:           8
        .value_kind:     global_buffer
      - .actual_access:  read_only
        .address_space:  global
        .offset:         24
        .size:           8
        .value_kind:     global_buffer
      - .actual_access:  read_only
        .address_space:  global
        .offset:         32
        .size:           8
        .value_kind:     global_buffer
      - .actual_access:  read_only
        .address_space:  global
        .offset:         40
        .size:           8
        .value_kind:     global_buffer
      - .offset:         48
        .size:           4
        .value_kind:     by_value
      - .actual_access:  read_only
        .address_space:  global
        .offset:         56
        .size:           8
        .value_kind:     global_buffer
      - .offset:         64
        .size:           4
        .value_kind:     hidden_block_count_x
      - .offset:         68
        .size:           4
        .value_kind:     hidden_block_count_y
      - .offset:         72
        .size:           4
        .value_kind:     hidden_block_count_z
      - .offset:         76
        .size:           2
        .value_kind:     hidden_group_size_x
      - .offset:         78
        .size:           2
        .value_kind:     hidden_group_size_y
      - .offset:         80
        .size:           2
        .value_kind:     hidden_group_size_z
      - .offset:         82
        .size:           2
        .value_kind:     hidden_remainder_x
      - .offset:         84
        .size:           2
        .value_kind:     hidden_remainder_y
      - .offset:         86
        .size:           2
        .value_kind:     hidden_remainder_z
      - .offset:         104
        .size:           8
        .value_kind:     hidden_global_offset_x
      - .offset:         112
        .size:           8
        .value_kind:     hidden_global_offset_y
      - .offset:         120
        .size:           8
        .value_kind:     hidden_global_offset_z
      - .offset:         128
        .size:           2
        .value_kind:     hidden_grid_dims
    .group_segment_fixed_size: 772
    .kernarg_segment_align: 8
    .kernarg_segment_size: 320
    .language:       OpenCL C
    .language_version:
      - 2
      - 0
    .max_flat_workgroup_size: 64
    .name:           _Z35paged_attention_ll4mi_reduce_kernelI14__hip_bfloat16S0_Li64ELi64ELi256ELi3EEvPT0_PKfS4_PKT_PKiS9_iS4_
    .private_segment_fixed_size: 0
    .sgpr_count:     39
    .sgpr_spill_count: 0
    .symbol:         _Z35paged_attention_ll4mi_reduce_kernelI14__hip_bfloat16S0_Li64ELi64ELi256ELi3EEvPT0_PKfS4_PKT_PKiS9_iS4_.kd
    .uniform_work_group_size: 1
    .uses_dynamic_stack: false
    .vgpr_count:     128
    .vgpr_spill_count: 0
    .wavefront_size: 64
  - .agpr_count:     0
    .args:
      - .actual_access:  write_only
        .address_space:  global
        .offset:         0
        .size:           8
        .value_kind:     global_buffer
      - .actual_access:  read_only
        .address_space:  global
        .offset:         8
        .size:           8
        .value_kind:     global_buffer
      - .actual_access:  read_only
        .address_space:  global
        .offset:         16
        .size:           8
        .value_kind:     global_buffer
      - .actual_access:  read_only
        .address_space:  global
        .offset:         24
        .size:           8
        .value_kind:     global_buffer
      - .actual_access:  read_only
        .address_space:  global
        .offset:         32
        .size:           8
        .value_kind:     global_buffer
      - .actual_access:  read_only
        .address_space:  global
        .offset:         40
        .size:           8
        .value_kind:     global_buffer
      - .offset:         48
        .size:           4
        .value_kind:     by_value
      - .actual_access:  read_only
        .address_space:  global
        .offset:         56
        .size:           8
        .value_kind:     global_buffer
      - .offset:         64
        .size:           4
        .value_kind:     hidden_block_count_x
      - .offset:         68
        .size:           4
        .value_kind:     hidden_block_count_y
      - .offset:         72
        .size:           4
        .value_kind:     hidden_block_count_z
      - .offset:         76
        .size:           2
        .value_kind:     hidden_group_size_x
      - .offset:         78
        .size:           2
        .value_kind:     hidden_group_size_y
      - .offset:         80
        .size:           2
        .value_kind:     hidden_group_size_z
      - .offset:         82
        .size:           2
        .value_kind:     hidden_remainder_x
      - .offset:         84
        .size:           2
        .value_kind:     hidden_remainder_y
      - .offset:         86
        .size:           2
        .value_kind:     hidden_remainder_z
      - .offset:         104
        .size:           8
        .value_kind:     hidden_global_offset_x
      - .offset:         112
        .size:           8
        .value_kind:     hidden_global_offset_y
      - .offset:         120
        .size:           8
        .value_kind:     hidden_global_offset_z
      - .offset:         128
        .size:           2
        .value_kind:     hidden_grid_dims
    .group_segment_fixed_size: 1028
    .kernarg_segment_align: 8
    .kernarg_segment_size: 320
    .language:       OpenCL C
    .language_version:
      - 2
      - 0
    .max_flat_workgroup_size: 64
    .name:           _Z35paged_attention_ll4mi_reduce_kernelI14__hip_bfloat16S0_Li64ELi64ELi256ELi4EEvPT0_PKfS4_PKT_PKiS9_iS4_
    .private_segment_fixed_size: 0
    .sgpr_count:     41
    .sgpr_spill_count: 0
    .symbol:         _Z35paged_attention_ll4mi_reduce_kernelI14__hip_bfloat16S0_Li64ELi64ELi256ELi4EEvPT0_PKfS4_PKT_PKiS9_iS4_.kd
    .uniform_work_group_size: 1
    .uses_dynamic_stack: false
    .vgpr_count:     136
    .vgpr_spill_count: 0
    .wavefront_size: 64
  - .agpr_count:     0
    .args:
      - .actual_access:  write_only
        .address_space:  global
        .offset:         0
        .size:           8
        .value_kind:     global_buffer
      - .actual_access:  read_only
        .address_space:  global
        .offset:         8
        .size:           8
        .value_kind:     global_buffer
      - .actual_access:  read_only
        .address_space:  global
        .offset:         16
        .size:           8
        .value_kind:     global_buffer
      - .actual_access:  read_only
        .address_space:  global
        .offset:         24
        .size:           8
        .value_kind:     global_buffer
      - .actual_access:  read_only
        .address_space:  global
        .offset:         32
        .size:           8
        .value_kind:     global_buffer
      - .actual_access:  read_only
        .address_space:  global
        .offset:         40
        .size:           8
        .value_kind:     global_buffer
      - .offset:         48
        .size:           4
        .value_kind:     by_value
      - .actual_access:  read_only
        .address_space:  global
        .offset:         56
        .size:           8
        .value_kind:     global_buffer
      - .offset:         64
        .size:           4
        .value_kind:     hidden_block_count_x
      - .offset:         68
        .size:           4
        .value_kind:     hidden_block_count_y
      - .offset:         72
        .size:           4
        .value_kind:     hidden_block_count_z
      - .offset:         76
        .size:           2
        .value_kind:     hidden_group_size_x
      - .offset:         78
        .size:           2
        .value_kind:     hidden_group_size_y
      - .offset:         80
        .size:           2
        .value_kind:     hidden_group_size_z
      - .offset:         82
        .size:           2
        .value_kind:     hidden_remainder_x
      - .offset:         84
        .size:           2
        .value_kind:     hidden_remainder_y
      - .offset:         86
        .size:           2
        .value_kind:     hidden_remainder_z
      - .offset:         104
        .size:           8
        .value_kind:     hidden_global_offset_x
      - .offset:         112
        .size:           8
        .value_kind:     hidden_global_offset_y
      - .offset:         120
        .size:           8
        .value_kind:     hidden_global_offset_z
      - .offset:         128
        .size:           2
        .value_kind:     hidden_grid_dims
    .group_segment_fixed_size: 1284
    .kernarg_segment_align: 8
    .kernarg_segment_size: 320
    .language:       OpenCL C
    .language_version:
      - 2
      - 0
    .max_flat_workgroup_size: 64
    .name:           _Z35paged_attention_ll4mi_reduce_kernelI14__hip_bfloat16S0_Li64ELi64ELi256ELi5EEvPT0_PKfS4_PKT_PKiS9_iS4_
    .private_segment_fixed_size: 0
    .sgpr_count:     43
    .sgpr_spill_count: 0
    .symbol:         _Z35paged_attention_ll4mi_reduce_kernelI14__hip_bfloat16S0_Li64ELi64ELi256ELi5EEvPT0_PKfS4_PKT_PKiS9_iS4_.kd
    .uniform_work_group_size: 1
    .uses_dynamic_stack: false
    .vgpr_count:     136
    .vgpr_spill_count: 0
    .wavefront_size: 64
  - .agpr_count:     0
    .args:
      - .actual_access:  write_only
        .address_space:  global
        .offset:         0
        .size:           8
        .value_kind:     global_buffer
      - .actual_access:  read_only
        .address_space:  global
        .offset:         8
        .size:           8
        .value_kind:     global_buffer
      - .actual_access:  read_only
        .address_space:  global
        .offset:         16
        .size:           8
        .value_kind:     global_buffer
      - .actual_access:  read_only
        .address_space:  global
        .offset:         24
        .size:           8
        .value_kind:     global_buffer
      - .actual_access:  read_only
        .address_space:  global
        .offset:         32
        .size:           8
        .value_kind:     global_buffer
      - .actual_access:  read_only
        .address_space:  global
        .offset:         40
        .size:           8
        .value_kind:     global_buffer
      - .offset:         48
        .size:           4
        .value_kind:     by_value
      - .actual_access:  read_only
        .address_space:  global
        .offset:         56
        .size:           8
        .value_kind:     global_buffer
      - .offset:         64
        .size:           4
        .value_kind:     hidden_block_count_x
      - .offset:         68
        .size:           4
        .value_kind:     hidden_block_count_y
      - .offset:         72
        .size:           4
        .value_kind:     hidden_block_count_z
      - .offset:         76
        .size:           2
        .value_kind:     hidden_group_size_x
      - .offset:         78
        .size:           2
        .value_kind:     hidden_group_size_y
      - .offset:         80
        .size:           2
        .value_kind:     hidden_group_size_z
      - .offset:         82
        .size:           2
        .value_kind:     hidden_remainder_x
      - .offset:         84
        .size:           2
        .value_kind:     hidden_remainder_y
      - .offset:         86
        .size:           2
        .value_kind:     hidden_remainder_z
      - .offset:         104
        .size:           8
        .value_kind:     hidden_global_offset_x
      - .offset:         112
        .size:           8
        .value_kind:     hidden_global_offset_y
      - .offset:         120
        .size:           8
        .value_kind:     hidden_global_offset_z
      - .offset:         128
        .size:           2
        .value_kind:     hidden_grid_dims
    .group_segment_fixed_size: 1540
    .kernarg_segment_align: 8
    .kernarg_segment_size: 320
    .language:       OpenCL C
    .language_version:
      - 2
      - 0
    .max_flat_workgroup_size: 64
    .name:           _Z35paged_attention_ll4mi_reduce_kernelI14__hip_bfloat16S0_Li64ELi64ELi256ELi6EEvPT0_PKfS4_PKT_PKiS9_iS4_
    .private_segment_fixed_size: 0
    .sgpr_count:     45
    .sgpr_spill_count: 0
    .symbol:         _Z35paged_attention_ll4mi_reduce_kernelI14__hip_bfloat16S0_Li64ELi64ELi256ELi6EEvPT0_PKfS4_PKT_PKiS9_iS4_.kd
    .uniform_work_group_size: 1
    .uses_dynamic_stack: false
    .vgpr_count:     136
    .vgpr_spill_count: 0
    .wavefront_size: 64
  - .agpr_count:     0
    .args:
      - .actual_access:  write_only
        .address_space:  global
        .offset:         0
        .size:           8
        .value_kind:     global_buffer
      - .actual_access:  read_only
        .address_space:  global
        .offset:         8
        .size:           8
        .value_kind:     global_buffer
      - .actual_access:  read_only
        .address_space:  global
        .offset:         16
        .size:           8
        .value_kind:     global_buffer
      - .actual_access:  read_only
        .address_space:  global
        .offset:         24
        .size:           8
        .value_kind:     global_buffer
      - .actual_access:  read_only
        .address_space:  global
        .offset:         32
        .size:           8
        .value_kind:     global_buffer
      - .actual_access:  read_only
        .address_space:  global
        .offset:         40
        .size:           8
        .value_kind:     global_buffer
      - .offset:         48
        .size:           4
        .value_kind:     by_value
      - .actual_access:  read_only
        .address_space:  global
        .offset:         56
        .size:           8
        .value_kind:     global_buffer
      - .offset:         64
        .size:           4
        .value_kind:     hidden_block_count_x
      - .offset:         68
        .size:           4
        .value_kind:     hidden_block_count_y
      - .offset:         72
        .size:           4
        .value_kind:     hidden_block_count_z
      - .offset:         76
        .size:           2
        .value_kind:     hidden_group_size_x
      - .offset:         78
        .size:           2
        .value_kind:     hidden_group_size_y
      - .offset:         80
        .size:           2
        .value_kind:     hidden_group_size_z
      - .offset:         82
        .size:           2
        .value_kind:     hidden_remainder_x
      - .offset:         84
        .size:           2
        .value_kind:     hidden_remainder_y
      - .offset:         86
        .size:           2
        .value_kind:     hidden_remainder_z
      - .offset:         104
        .size:           8
        .value_kind:     hidden_global_offset_x
      - .offset:         112
        .size:           8
        .value_kind:     hidden_global_offset_y
      - .offset:         120
        .size:           8
        .value_kind:     hidden_global_offset_z
      - .offset:         128
        .size:           2
        .value_kind:     hidden_grid_dims
    .group_segment_fixed_size: 1796
    .kernarg_segment_align: 8
    .kernarg_segment_size: 320
    .language:       OpenCL C
    .language_version:
      - 2
      - 0
    .max_flat_workgroup_size: 64
    .name:           _Z35paged_attention_ll4mi_reduce_kernelI14__hip_bfloat16S0_Li64ELi64ELi256ELi7EEvPT0_PKfS4_PKT_PKiS9_iS4_
    .private_segment_fixed_size: 0
    .sgpr_count:     47
    .sgpr_spill_count: 0
    .symbol:         _Z35paged_attention_ll4mi_reduce_kernelI14__hip_bfloat16S0_Li64ELi64ELi256ELi7EEvPT0_PKfS4_PKT_PKiS9_iS4_.kd
    .uniform_work_group_size: 1
    .uses_dynamic_stack: false
    .vgpr_count:     136
    .vgpr_spill_count: 0
    .wavefront_size: 64
  - .agpr_count:     0
    .args:
      - .actual_access:  write_only
        .address_space:  global
        .offset:         0
        .size:           8
        .value_kind:     global_buffer
      - .actual_access:  read_only
        .address_space:  global
        .offset:         8
        .size:           8
        .value_kind:     global_buffer
      - .actual_access:  read_only
        .address_space:  global
        .offset:         16
        .size:           8
        .value_kind:     global_buffer
      - .actual_access:  read_only
        .address_space:  global
        .offset:         24
        .size:           8
        .value_kind:     global_buffer
      - .actual_access:  read_only
        .address_space:  global
        .offset:         32
        .size:           8
        .value_kind:     global_buffer
      - .actual_access:  read_only
        .address_space:  global
        .offset:         40
        .size:           8
        .value_kind:     global_buffer
      - .offset:         48
        .size:           4
        .value_kind:     by_value
      - .actual_access:  read_only
        .address_space:  global
        .offset:         56
        .size:           8
        .value_kind:     global_buffer
      - .offset:         64
        .size:           4
        .value_kind:     hidden_block_count_x
      - .offset:         68
        .size:           4
        .value_kind:     hidden_block_count_y
      - .offset:         72
        .size:           4
        .value_kind:     hidden_block_count_z
      - .offset:         76
        .size:           2
        .value_kind:     hidden_group_size_x
      - .offset:         78
        .size:           2
        .value_kind:     hidden_group_size_y
      - .offset:         80
        .size:           2
        .value_kind:     hidden_group_size_z
      - .offset:         82
        .size:           2
        .value_kind:     hidden_remainder_x
      - .offset:         84
        .size:           2
        .value_kind:     hidden_remainder_y
      - .offset:         86
        .size:           2
        .value_kind:     hidden_remainder_z
      - .offset:         104
        .size:           8
        .value_kind:     hidden_global_offset_x
      - .offset:         112
        .size:           8
        .value_kind:     hidden_global_offset_y
      - .offset:         120
        .size:           8
        .value_kind:     hidden_global_offset_z
      - .offset:         128
        .size:           2
        .value_kind:     hidden_grid_dims
    .group_segment_fixed_size: 2052
    .kernarg_segment_align: 8
    .kernarg_segment_size: 320
    .language:       OpenCL C
    .language_version:
      - 2
      - 0
    .max_flat_workgroup_size: 64
    .name:           _Z35paged_attention_ll4mi_reduce_kernelI14__hip_bfloat16S0_Li64ELi64ELi256ELi8EEvPT0_PKfS4_PKT_PKiS9_iS4_
    .private_segment_fixed_size: 0
    .sgpr_count:     49
    .sgpr_spill_count: 0
    .symbol:         _Z35paged_attention_ll4mi_reduce_kernelI14__hip_bfloat16S0_Li64ELi64ELi256ELi8EEvPT0_PKfS4_PKT_PKiS9_iS4_.kd
    .uniform_work_group_size: 1
    .uses_dynamic_stack: false
    .vgpr_count:     136
    .vgpr_spill_count: 0
    .wavefront_size: 64
  - .agpr_count:     0
    .args:
      - .actual_access:  read_only
        .address_space:  global
        .offset:         0
        .size:           8
        .value_kind:     global_buffer
      - .actual_access:  read_only
        .address_space:  global
        .offset:         8
        .size:           8
        .value_kind:     global_buffer
      - .actual_access:  read_only
        .address_space:  global
        .offset:         16
        .size:           8
        .value_kind:     global_buffer
      - .offset:         24
        .size:           4
        .value_kind:     by_value
      - .offset:         28
        .size:           4
        .value_kind:     by_value
      - .actual_access:  read_only
        .address_space:  global
        .offset:         32
        .size:           8
        .value_kind:     global_buffer
      - .actual_access:  read_only
        .address_space:  global
        .offset:         40
        .size:           8
        .value_kind:     global_buffer
      - .actual_access:  read_only
        .address_space:  global
        .offset:         48
        .size:           8
        .value_kind:     global_buffer
      - .offset:         56
        .size:           4
        .value_kind:     by_value
      - .actual_access:  read_only
        .address_space:  global
        .offset:         64
        .size:           8
        .value_kind:     global_buffer
      - .offset:         72
        .size:           4
        .value_kind:     by_value
      - .offset:         76
        .size:           4
        .value_kind:     by_value
      - .offset:         80
        .size:           4
        .value_kind:     by_value
      - .actual_access:  write_only
        .address_space:  global
        .offset:         88
        .size:           8
        .value_kind:     global_buffer
      - .actual_access:  write_only
        .address_space:  global
        .offset:         96
        .size:           8
        .value_kind:     global_buffer
      - .actual_access:  write_only
        .address_space:  global
        .offset:         104
        .size:           8
        .value_kind:     global_buffer
      - .actual_access:  read_only
        .address_space:  global
        .offset:         112
        .size:           8
        .value_kind:     global_buffer
      - .offset:         120
        .size:           4
        .value_kind:     by_value
      - .address_space:  global
        .offset:         128
        .size:           8
        .value_kind:     global_buffer
      - .address_space:  global
        .offset:         136
        .size:           8
        .value_kind:     global_buffer
      - .offset:         144
        .size:           4
        .value_kind:     hidden_block_count_x
      - .offset:         148
        .size:           4
        .value_kind:     hidden_block_count_y
      - .offset:         152
        .size:           4
        .value_kind:     hidden_block_count_z
      - .offset:         156
        .size:           2
        .value_kind:     hidden_group_size_x
      - .offset:         158
        .size:           2
        .value_kind:     hidden_group_size_y
      - .offset:         160
        .size:           2
        .value_kind:     hidden_group_size_z
      - .offset:         162
        .size:           2
        .value_kind:     hidden_remainder_x
      - .offset:         164
        .size:           2
        .value_kind:     hidden_remainder_y
      - .offset:         166
        .size:           2
        .value_kind:     hidden_remainder_z
      - .offset:         184
        .size:           8
        .value_kind:     hidden_global_offset_x
      - .offset:         192
        .size:           8
        .value_kind:     hidden_global_offset_y
      - .offset:         200
        .size:           8
        .value_kind:     hidden_global_offset_z
      - .offset:         208
        .size:           2
        .value_kind:     hidden_grid_dims
    .group_segment_fixed_size: 8192
    .kernarg_segment_align: 8
    .kernarg_segment_size: 400
    .language:       OpenCL C
    .language_version:
      - 2
      - 0
    .max_flat_workgroup_size: 256
    .name:           _Z39paged_attention_ll4mi_QKV_mfma16_kernelI14__hip_bfloat16S0_LN4vllm18Fp8KVCacheDataTypeE0ES0_Li16ELi64ELi256ELb1ELi1EL8MFMAType0EEvPKT_PKT0_S9_ifPKiSB_SB_iPKfiiiPfSE_PS4_PT2_iSD_SD_
    .private_segment_fixed_size: 0
    .sgpr_count:     52
    .sgpr_spill_count: 0
    .symbol:         _Z39paged_attention_ll4mi_QKV_mfma16_kernelI14__hip_bfloat16S0_LN4vllm18Fp8KVCacheDataTypeE0ES0_Li16ELi64ELi256ELb1ELi1EL8MFMAType0EEvPKT_PKT0_S9_ifPKiSB_SB_iPKfiiiPfSE_PS4_PT2_iSD_SD_.kd
    .uniform_work_group_size: 1
    .uses_dynamic_stack: false
    .vgpr_count:     67
    .vgpr_spill_count: 0
    .wavefront_size: 64
  - .agpr_count:     0
    .args:
      - .actual_access:  read_only
        .address_space:  global
        .offset:         0
        .size:           8
        .value_kind:     global_buffer
      - .actual_access:  read_only
        .address_space:  global
        .offset:         8
        .size:           8
        .value_kind:     global_buffer
      - .actual_access:  read_only
        .address_space:  global
        .offset:         16
        .size:           8
        .value_kind:     global_buffer
      - .offset:         24
        .size:           4
        .value_kind:     by_value
      - .offset:         28
        .size:           4
        .value_kind:     by_value
      - .actual_access:  read_only
        .address_space:  global
        .offset:         32
        .size:           8
        .value_kind:     global_buffer
      - .actual_access:  read_only
        .address_space:  global
        .offset:         40
        .size:           8
        .value_kind:     global_buffer
      - .actual_access:  read_only
        .address_space:  global
        .offset:         48
        .size:           8
        .value_kind:     global_buffer
      - .offset:         56
        .size:           4
        .value_kind:     by_value
      - .actual_access:  read_only
        .address_space:  global
        .offset:         64
        .size:           8
        .value_kind:     global_buffer
      - .offset:         72
        .size:           4
        .value_kind:     by_value
      - .offset:         76
        .size:           4
        .value_kind:     by_value
      - .offset:         80
        .size:           4
        .value_kind:     by_value
      - .actual_access:  write_only
        .address_space:  global
        .offset:         88
        .size:           8
        .value_kind:     global_buffer
      - .actual_access:  write_only
        .address_space:  global
        .offset:         96
        .size:           8
        .value_kind:     global_buffer
      - .actual_access:  write_only
        .address_space:  global
        .offset:         104
        .size:           8
        .value_kind:     global_buffer
      - .actual_access:  read_only
        .address_space:  global
        .offset:         112
        .size:           8
        .value_kind:     global_buffer
      - .offset:         120
        .size:           4
        .value_kind:     by_value
      - .address_space:  global
        .offset:         128
        .size:           8
        .value_kind:     global_buffer
      - .address_space:  global
        .offset:         136
        .size:           8
        .value_kind:     global_buffer
      - .offset:         144
        .size:           4
        .value_kind:     hidden_block_count_x
      - .offset:         148
        .size:           4
        .value_kind:     hidden_block_count_y
      - .offset:         152
        .size:           4
        .value_kind:     hidden_block_count_z
      - .offset:         156
        .size:           2
        .value_kind:     hidden_group_size_x
      - .offset:         158
        .size:           2
        .value_kind:     hidden_group_size_y
      - .offset:         160
        .size:           2
        .value_kind:     hidden_group_size_z
      - .offset:         162
        .size:           2
        .value_kind:     hidden_remainder_x
      - .offset:         164
        .size:           2
        .value_kind:     hidden_remainder_y
      - .offset:         166
        .size:           2
        .value_kind:     hidden_remainder_z
      - .offset:         184
        .size:           8
        .value_kind:     hidden_global_offset_x
      - .offset:         192
        .size:           8
        .value_kind:     hidden_global_offset_y
      - .offset:         200
        .size:           8
        .value_kind:     hidden_global_offset_z
      - .offset:         208
        .size:           2
        .value_kind:     hidden_grid_dims
    .group_segment_fixed_size: 8192
    .kernarg_segment_align: 8
    .kernarg_segment_size: 400
    .language:       OpenCL C
    .language_version:
      - 2
      - 0
    .max_flat_workgroup_size: 256
    .name:           _Z39paged_attention_ll4mi_QKV_mfma16_kernelI14__hip_bfloat16S0_LN4vllm18Fp8KVCacheDataTypeE0ES0_Li16ELi64ELi256ELb1ELi2EL8MFMAType0EEvPKT_PKT0_S9_ifPKiSB_SB_iPKfiiiPfSE_PS4_PT2_iSD_SD_
    .private_segment_fixed_size: 0
    .sgpr_count:     52
    .sgpr_spill_count: 0
    .symbol:         _Z39paged_attention_ll4mi_QKV_mfma16_kernelI14__hip_bfloat16S0_LN4vllm18Fp8KVCacheDataTypeE0ES0_Li16ELi64ELi256ELb1ELi2EL8MFMAType0EEvPKT_PKT0_S9_ifPKiSB_SB_iPKfiiiPfSE_PS4_PT2_iSD_SD_.kd
    .uniform_work_group_size: 1
    .uses_dynamic_stack: false
    .vgpr_count:     67
    .vgpr_spill_count: 0
    .wavefront_size: 64
  - .agpr_count:     0
    .args:
      - .actual_access:  read_only
        .address_space:  global
        .offset:         0
        .size:           8
        .value_kind:     global_buffer
      - .actual_access:  read_only
        .address_space:  global
        .offset:         8
        .size:           8
        .value_kind:     global_buffer
      - .actual_access:  read_only
        .address_space:  global
        .offset:         16
        .size:           8
        .value_kind:     global_buffer
      - .offset:         24
        .size:           4
        .value_kind:     by_value
      - .offset:         28
        .size:           4
        .value_kind:     by_value
      - .actual_access:  read_only
        .address_space:  global
        .offset:         32
        .size:           8
        .value_kind:     global_buffer
      - .actual_access:  read_only
        .address_space:  global
        .offset:         40
        .size:           8
        .value_kind:     global_buffer
      - .actual_access:  read_only
        .address_space:  global
        .offset:         48
        .size:           8
        .value_kind:     global_buffer
      - .offset:         56
        .size:           4
        .value_kind:     by_value
      - .actual_access:  read_only
        .address_space:  global
        .offset:         64
        .size:           8
        .value_kind:     global_buffer
      - .offset:         72
        .size:           4
        .value_kind:     by_value
      - .offset:         76
        .size:           4
        .value_kind:     by_value
      - .offset:         80
        .size:           4
        .value_kind:     by_value
      - .actual_access:  write_only
        .address_space:  global
        .offset:         88
        .size:           8
        .value_kind:     global_buffer
      - .actual_access:  write_only
        .address_space:  global
        .offset:         96
        .size:           8
        .value_kind:     global_buffer
      - .actual_access:  write_only
        .address_space:  global
        .offset:         104
        .size:           8
        .value_kind:     global_buffer
      - .actual_access:  read_only
        .address_space:  global
        .offset:         112
        .size:           8
        .value_kind:     global_buffer
      - .offset:         120
        .size:           4
        .value_kind:     by_value
      - .address_space:  global
        .offset:         128
        .size:           8
        .value_kind:     global_buffer
      - .address_space:  global
        .offset:         136
        .size:           8
        .value_kind:     global_buffer
      - .offset:         144
        .size:           4
        .value_kind:     hidden_block_count_x
      - .offset:         148
        .size:           4
        .value_kind:     hidden_block_count_y
      - .offset:         152
        .size:           4
        .value_kind:     hidden_block_count_z
      - .offset:         156
        .size:           2
        .value_kind:     hidden_group_size_x
      - .offset:         158
        .size:           2
        .value_kind:     hidden_group_size_y
      - .offset:         160
        .size:           2
        .value_kind:     hidden_group_size_z
      - .offset:         162
        .size:           2
        .value_kind:     hidden_remainder_x
      - .offset:         164
        .size:           2
        .value_kind:     hidden_remainder_y
      - .offset:         166
        .size:           2
        .value_kind:     hidden_remainder_z
      - .offset:         184
        .size:           8
        .value_kind:     hidden_global_offset_x
      - .offset:         192
        .size:           8
        .value_kind:     hidden_global_offset_y
      - .offset:         200
        .size:           8
        .value_kind:     hidden_global_offset_z
      - .offset:         208
        .size:           2
        .value_kind:     hidden_grid_dims
    .group_segment_fixed_size: 8192
    .kernarg_segment_align: 8
    .kernarg_segment_size: 400
    .language:       OpenCL C
    .language_version:
      - 2
      - 0
    .max_flat_workgroup_size: 256
    .name:           _Z39paged_attention_ll4mi_QKV_mfma16_kernelI14__hip_bfloat16S0_LN4vllm18Fp8KVCacheDataTypeE0ES0_Li16ELi64ELi256ELb1ELi3EL8MFMAType0EEvPKT_PKT0_S9_ifPKiSB_SB_iPKfiiiPfSE_PS4_PT2_iSD_SD_
    .private_segment_fixed_size: 0
    .sgpr_count:     52
    .sgpr_spill_count: 0
    .symbol:         _Z39paged_attention_ll4mi_QKV_mfma16_kernelI14__hip_bfloat16S0_LN4vllm18Fp8KVCacheDataTypeE0ES0_Li16ELi64ELi256ELb1ELi3EL8MFMAType0EEvPKT_PKT0_S9_ifPKiSB_SB_iPKfiiiPfSE_PS4_PT2_iSD_SD_.kd
    .uniform_work_group_size: 1
    .uses_dynamic_stack: false
    .vgpr_count:     68
    .vgpr_spill_count: 0
    .wavefront_size: 64
  - .agpr_count:     0
    .args:
      - .actual_access:  read_only
        .address_space:  global
        .offset:         0
        .size:           8
        .value_kind:     global_buffer
      - .actual_access:  read_only
        .address_space:  global
        .offset:         8
        .size:           8
        .value_kind:     global_buffer
      - .actual_access:  read_only
        .address_space:  global
        .offset:         16
        .size:           8
        .value_kind:     global_buffer
      - .offset:         24
        .size:           4
        .value_kind:     by_value
      - .offset:         28
        .size:           4
        .value_kind:     by_value
      - .actual_access:  read_only
        .address_space:  global
        .offset:         32
        .size:           8
        .value_kind:     global_buffer
      - .actual_access:  read_only
        .address_space:  global
        .offset:         40
        .size:           8
        .value_kind:     global_buffer
      - .actual_access:  read_only
        .address_space:  global
        .offset:         48
        .size:           8
        .value_kind:     global_buffer
      - .offset:         56
        .size:           4
        .value_kind:     by_value
      - .actual_access:  read_only
        .address_space:  global
        .offset:         64
        .size:           8
        .value_kind:     global_buffer
      - .offset:         72
        .size:           4
        .value_kind:     by_value
      - .offset:         76
        .size:           4
        .value_kind:     by_value
      - .offset:         80
        .size:           4
        .value_kind:     by_value
      - .actual_access:  write_only
        .address_space:  global
        .offset:         88
        .size:           8
        .value_kind:     global_buffer
      - .actual_access:  write_only
        .address_space:  global
        .offset:         96
        .size:           8
        .value_kind:     global_buffer
      - .actual_access:  write_only
        .address_space:  global
        .offset:         104
        .size:           8
        .value_kind:     global_buffer
      - .actual_access:  read_only
        .address_space:  global
        .offset:         112
        .size:           8
        .value_kind:     global_buffer
      - .offset:         120
        .size:           4
        .value_kind:     by_value
      - .address_space:  global
        .offset:         128
        .size:           8
        .value_kind:     global_buffer
      - .address_space:  global
        .offset:         136
        .size:           8
        .value_kind:     global_buffer
      - .offset:         144
        .size:           4
        .value_kind:     hidden_block_count_x
      - .offset:         148
        .size:           4
        .value_kind:     hidden_block_count_y
      - .offset:         152
        .size:           4
        .value_kind:     hidden_block_count_z
      - .offset:         156
        .size:           2
        .value_kind:     hidden_group_size_x
      - .offset:         158
        .size:           2
        .value_kind:     hidden_group_size_y
      - .offset:         160
        .size:           2
        .value_kind:     hidden_group_size_z
      - .offset:         162
        .size:           2
        .value_kind:     hidden_remainder_x
      - .offset:         164
        .size:           2
        .value_kind:     hidden_remainder_y
      - .offset:         166
        .size:           2
        .value_kind:     hidden_remainder_z
      - .offset:         184
        .size:           8
        .value_kind:     hidden_global_offset_x
      - .offset:         192
        .size:           8
        .value_kind:     hidden_global_offset_y
      - .offset:         200
        .size:           8
        .value_kind:     hidden_global_offset_z
      - .offset:         208
        .size:           2
        .value_kind:     hidden_grid_dims
    .group_segment_fixed_size: 8192
    .kernarg_segment_align: 8
    .kernarg_segment_size: 400
    .language:       OpenCL C
    .language_version:
      - 2
      - 0
    .max_flat_workgroup_size: 256
    .name:           _Z39paged_attention_ll4mi_QKV_mfma16_kernelI14__hip_bfloat16S0_LN4vllm18Fp8KVCacheDataTypeE0ES0_Li16ELi64ELi256ELb1ELi4EL8MFMAType0EEvPKT_PKT0_S9_ifPKiSB_SB_iPKfiiiPfSE_PS4_PT2_iSD_SD_
    .private_segment_fixed_size: 0
    .sgpr_count:     50
    .sgpr_spill_count: 0
    .symbol:         _Z39paged_attention_ll4mi_QKV_mfma16_kernelI14__hip_bfloat16S0_LN4vllm18Fp8KVCacheDataTypeE0ES0_Li16ELi64ELi256ELb1ELi4EL8MFMAType0EEvPKT_PKT0_S9_ifPKiSB_SB_iPKfiiiPfSE_PS4_PT2_iSD_SD_.kd
    .uniform_work_group_size: 1
    .uses_dynamic_stack: false
    .vgpr_count:     68
    .vgpr_spill_count: 0
    .wavefront_size: 64
  - .agpr_count:     0
    .args:
      - .actual_access:  write_only
        .address_space:  global
        .offset:         0
        .size:           8
        .value_kind:     global_buffer
      - .actual_access:  read_only
        .address_space:  global
        .offset:         8
        .size:           8
        .value_kind:     global_buffer
      - .actual_access:  read_only
        .address_space:  global
        .offset:         16
        .size:           8
        .value_kind:     global_buffer
      - .actual_access:  read_only
        .address_space:  global
        .offset:         24
        .size:           8
        .value_kind:     global_buffer
      - .actual_access:  read_only
        .address_space:  global
        .offset:         32
        .size:           8
        .value_kind:     global_buffer
      - .actual_access:  read_only
        .address_space:  global
        .offset:         40
        .size:           8
        .value_kind:     global_buffer
      - .offset:         48
        .size:           4
        .value_kind:     by_value
      - .actual_access:  read_only
        .address_space:  global
        .offset:         56
        .size:           8
        .value_kind:     global_buffer
      - .offset:         64
        .size:           4
        .value_kind:     hidden_block_count_x
      - .offset:         68
        .size:           4
        .value_kind:     hidden_block_count_y
      - .offset:         72
        .size:           4
        .value_kind:     hidden_block_count_z
      - .offset:         76
        .size:           2
        .value_kind:     hidden_group_size_x
      - .offset:         78
        .size:           2
        .value_kind:     hidden_group_size_y
      - .offset:         80
        .size:           2
        .value_kind:     hidden_group_size_z
      - .offset:         82
        .size:           2
        .value_kind:     hidden_remainder_x
      - .offset:         84
        .size:           2
        .value_kind:     hidden_remainder_y
      - .offset:         86
        .size:           2
        .value_kind:     hidden_remainder_z
      - .offset:         104
        .size:           8
        .value_kind:     hidden_global_offset_x
      - .offset:         112
        .size:           8
        .value_kind:     hidden_global_offset_y
      - .offset:         120
        .size:           8
        .value_kind:     hidden_global_offset_z
      - .offset:         128
        .size:           2
        .value_kind:     hidden_grid_dims
    .group_segment_fixed_size: 2308
    .kernarg_segment_align: 8
    .kernarg_segment_size: 320
    .language:       OpenCL C
    .language_version:
      - 2
      - 0
    .max_flat_workgroup_size: 64
    .name:           _Z35paged_attention_ll4mi_reduce_kernelI14__hip_bfloat16S0_Li64ELi64ELi256ELi9EEvPT0_PKfS4_PKT_PKiS9_iS4_
    .private_segment_fixed_size: 0
    .sgpr_count:     51
    .sgpr_spill_count: 0
    .symbol:         _Z35paged_attention_ll4mi_reduce_kernelI14__hip_bfloat16S0_Li64ELi64ELi256ELi9EEvPT0_PKfS4_PKT_PKiS9_iS4_.kd
    .uniform_work_group_size: 1
    .uses_dynamic_stack: false
    .vgpr_count:     136
    .vgpr_spill_count: 0
    .wavefront_size: 64
  - .agpr_count:     0
    .args:
      - .actual_access:  write_only
        .address_space:  global
        .offset:         0
        .size:           8
        .value_kind:     global_buffer
      - .actual_access:  read_only
        .address_space:  global
        .offset:         8
        .size:           8
        .value_kind:     global_buffer
      - .actual_access:  read_only
        .address_space:  global
        .offset:         16
        .size:           8
        .value_kind:     global_buffer
      - .actual_access:  read_only
        .address_space:  global
        .offset:         24
        .size:           8
        .value_kind:     global_buffer
      - .actual_access:  read_only
        .address_space:  global
        .offset:         32
        .size:           8
        .value_kind:     global_buffer
      - .actual_access:  read_only
        .address_space:  global
        .offset:         40
        .size:           8
        .value_kind:     global_buffer
      - .offset:         48
        .size:           4
        .value_kind:     by_value
      - .actual_access:  read_only
        .address_space:  global
        .offset:         56
        .size:           8
        .value_kind:     global_buffer
      - .offset:         64
        .size:           4
        .value_kind:     hidden_block_count_x
      - .offset:         68
        .size:           4
        .value_kind:     hidden_block_count_y
      - .offset:         72
        .size:           4
        .value_kind:     hidden_block_count_z
      - .offset:         76
        .size:           2
        .value_kind:     hidden_group_size_x
      - .offset:         78
        .size:           2
        .value_kind:     hidden_group_size_y
      - .offset:         80
        .size:           2
        .value_kind:     hidden_group_size_z
      - .offset:         82
        .size:           2
        .value_kind:     hidden_remainder_x
      - .offset:         84
        .size:           2
        .value_kind:     hidden_remainder_y
      - .offset:         86
        .size:           2
        .value_kind:     hidden_remainder_z
      - .offset:         104
        .size:           8
        .value_kind:     hidden_global_offset_x
      - .offset:         112
        .size:           8
        .value_kind:     hidden_global_offset_y
      - .offset:         120
        .size:           8
        .value_kind:     hidden_global_offset_z
      - .offset:         128
        .size:           2
        .value_kind:     hidden_grid_dims
    .group_segment_fixed_size: 2564
    .kernarg_segment_align: 8
    .kernarg_segment_size: 320
    .language:       OpenCL C
    .language_version:
      - 2
      - 0
    .max_flat_workgroup_size: 64
    .name:           _Z35paged_attention_ll4mi_reduce_kernelI14__hip_bfloat16S0_Li64ELi64ELi256ELi10EEvPT0_PKfS4_PKT_PKiS9_iS4_
    .private_segment_fixed_size: 0
    .sgpr_count:     53
    .sgpr_spill_count: 0
    .symbol:         _Z35paged_attention_ll4mi_reduce_kernelI14__hip_bfloat16S0_Li64ELi64ELi256ELi10EEvPT0_PKfS4_PKT_PKiS9_iS4_.kd
    .uniform_work_group_size: 1
    .uses_dynamic_stack: false
    .vgpr_count:     136
    .vgpr_spill_count: 0
    .wavefront_size: 64
  - .agpr_count:     0
    .args:
      - .actual_access:  write_only
        .address_space:  global
        .offset:         0
        .size:           8
        .value_kind:     global_buffer
      - .actual_access:  read_only
        .address_space:  global
        .offset:         8
        .size:           8
        .value_kind:     global_buffer
      - .actual_access:  read_only
        .address_space:  global
        .offset:         16
        .size:           8
        .value_kind:     global_buffer
      - .actual_access:  read_only
        .address_space:  global
        .offset:         24
        .size:           8
        .value_kind:     global_buffer
      - .actual_access:  read_only
        .address_space:  global
        .offset:         32
        .size:           8
        .value_kind:     global_buffer
      - .actual_access:  read_only
        .address_space:  global
        .offset:         40
        .size:           8
        .value_kind:     global_buffer
      - .offset:         48
        .size:           4
        .value_kind:     by_value
      - .actual_access:  read_only
        .address_space:  global
        .offset:         56
        .size:           8
        .value_kind:     global_buffer
      - .offset:         64
        .size:           4
        .value_kind:     hidden_block_count_x
      - .offset:         68
        .size:           4
        .value_kind:     hidden_block_count_y
      - .offset:         72
        .size:           4
        .value_kind:     hidden_block_count_z
      - .offset:         76
        .size:           2
        .value_kind:     hidden_group_size_x
      - .offset:         78
        .size:           2
        .value_kind:     hidden_group_size_y
      - .offset:         80
        .size:           2
        .value_kind:     hidden_group_size_z
      - .offset:         82
        .size:           2
        .value_kind:     hidden_remainder_x
      - .offset:         84
        .size:           2
        .value_kind:     hidden_remainder_y
      - .offset:         86
        .size:           2
        .value_kind:     hidden_remainder_z
      - .offset:         104
        .size:           8
        .value_kind:     hidden_global_offset_x
      - .offset:         112
        .size:           8
        .value_kind:     hidden_global_offset_y
      - .offset:         120
        .size:           8
        .value_kind:     hidden_global_offset_z
      - .offset:         128
        .size:           2
        .value_kind:     hidden_grid_dims
    .group_segment_fixed_size: 2820
    .kernarg_segment_align: 8
    .kernarg_segment_size: 320
    .language:       OpenCL C
    .language_version:
      - 2
      - 0
    .max_flat_workgroup_size: 64
    .name:           _Z35paged_attention_ll4mi_reduce_kernelI14__hip_bfloat16S0_Li64ELi64ELi256ELi11EEvPT0_PKfS4_PKT_PKiS9_iS4_
    .private_segment_fixed_size: 0
    .sgpr_count:     55
    .sgpr_spill_count: 0
    .symbol:         _Z35paged_attention_ll4mi_reduce_kernelI14__hip_bfloat16S0_Li64ELi64ELi256ELi11EEvPT0_PKfS4_PKT_PKiS9_iS4_.kd
    .uniform_work_group_size: 1
    .uses_dynamic_stack: false
    .vgpr_count:     136
    .vgpr_spill_count: 0
    .wavefront_size: 64
  - .agpr_count:     0
    .args:
      - .actual_access:  write_only
        .address_space:  global
        .offset:         0
        .size:           8
        .value_kind:     global_buffer
      - .actual_access:  read_only
        .address_space:  global
        .offset:         8
        .size:           8
        .value_kind:     global_buffer
      - .actual_access:  read_only
        .address_space:  global
        .offset:         16
        .size:           8
        .value_kind:     global_buffer
      - .actual_access:  read_only
        .address_space:  global
        .offset:         24
        .size:           8
        .value_kind:     global_buffer
      - .actual_access:  read_only
        .address_space:  global
        .offset:         32
        .size:           8
        .value_kind:     global_buffer
      - .actual_access:  read_only
        .address_space:  global
        .offset:         40
        .size:           8
        .value_kind:     global_buffer
      - .offset:         48
        .size:           4
        .value_kind:     by_value
      - .actual_access:  read_only
        .address_space:  global
        .offset:         56
        .size:           8
        .value_kind:     global_buffer
      - .offset:         64
        .size:           4
        .value_kind:     hidden_block_count_x
      - .offset:         68
        .size:           4
        .value_kind:     hidden_block_count_y
      - .offset:         72
        .size:           4
        .value_kind:     hidden_block_count_z
      - .offset:         76
        .size:           2
        .value_kind:     hidden_group_size_x
      - .offset:         78
        .size:           2
        .value_kind:     hidden_group_size_y
      - .offset:         80
        .size:           2
        .value_kind:     hidden_group_size_z
      - .offset:         82
        .size:           2
        .value_kind:     hidden_remainder_x
      - .offset:         84
        .size:           2
        .value_kind:     hidden_remainder_y
      - .offset:         86
        .size:           2
        .value_kind:     hidden_remainder_z
      - .offset:         104
        .size:           8
        .value_kind:     hidden_global_offset_x
      - .offset:         112
        .size:           8
        .value_kind:     hidden_global_offset_y
      - .offset:         120
        .size:           8
        .value_kind:     hidden_global_offset_z
      - .offset:         128
        .size:           2
        .value_kind:     hidden_grid_dims
    .group_segment_fixed_size: 3076
    .kernarg_segment_align: 8
    .kernarg_segment_size: 320
    .language:       OpenCL C
    .language_version:
      - 2
      - 0
    .max_flat_workgroup_size: 64
    .name:           _Z35paged_attention_ll4mi_reduce_kernelI14__hip_bfloat16S0_Li64ELi64ELi256ELi12EEvPT0_PKfS4_PKT_PKiS9_iS4_
    .private_segment_fixed_size: 0
    .sgpr_count:     57
    .sgpr_spill_count: 0
    .symbol:         _Z35paged_attention_ll4mi_reduce_kernelI14__hip_bfloat16S0_Li64ELi64ELi256ELi12EEvPT0_PKfS4_PKT_PKiS9_iS4_.kd
    .uniform_work_group_size: 1
    .uses_dynamic_stack: false
    .vgpr_count:     136
    .vgpr_spill_count: 0
    .wavefront_size: 64
  - .agpr_count:     0
    .args:
      - .actual_access:  write_only
        .address_space:  global
        .offset:         0
        .size:           8
        .value_kind:     global_buffer
      - .actual_access:  read_only
        .address_space:  global
        .offset:         8
        .size:           8
        .value_kind:     global_buffer
      - .actual_access:  read_only
        .address_space:  global
        .offset:         16
        .size:           8
        .value_kind:     global_buffer
      - .actual_access:  read_only
        .address_space:  global
        .offset:         24
        .size:           8
        .value_kind:     global_buffer
      - .actual_access:  read_only
        .address_space:  global
        .offset:         32
        .size:           8
        .value_kind:     global_buffer
      - .actual_access:  read_only
        .address_space:  global
        .offset:         40
        .size:           8
        .value_kind:     global_buffer
      - .offset:         48
        .size:           4
        .value_kind:     by_value
      - .actual_access:  read_only
        .address_space:  global
        .offset:         56
        .size:           8
        .value_kind:     global_buffer
      - .offset:         64
        .size:           4
        .value_kind:     hidden_block_count_x
      - .offset:         68
        .size:           4
        .value_kind:     hidden_block_count_y
      - .offset:         72
        .size:           4
        .value_kind:     hidden_block_count_z
      - .offset:         76
        .size:           2
        .value_kind:     hidden_group_size_x
      - .offset:         78
        .size:           2
        .value_kind:     hidden_group_size_y
      - .offset:         80
        .size:           2
        .value_kind:     hidden_group_size_z
      - .offset:         82
        .size:           2
        .value_kind:     hidden_remainder_x
      - .offset:         84
        .size:           2
        .value_kind:     hidden_remainder_y
      - .offset:         86
        .size:           2
        .value_kind:     hidden_remainder_z
      - .offset:         104
        .size:           8
        .value_kind:     hidden_global_offset_x
      - .offset:         112
        .size:           8
        .value_kind:     hidden_global_offset_y
      - .offset:         120
        .size:           8
        .value_kind:     hidden_global_offset_z
      - .offset:         128
        .size:           2
        .value_kind:     hidden_grid_dims
    .group_segment_fixed_size: 3332
    .kernarg_segment_align: 8
    .kernarg_segment_size: 320
    .language:       OpenCL C
    .language_version:
      - 2
      - 0
    .max_flat_workgroup_size: 64
    .name:           _Z35paged_attention_ll4mi_reduce_kernelI14__hip_bfloat16S0_Li64ELi64ELi256ELi13EEvPT0_PKfS4_PKT_PKiS9_iS4_
    .private_segment_fixed_size: 0
    .sgpr_count:     59
    .sgpr_spill_count: 0
    .symbol:         _Z35paged_attention_ll4mi_reduce_kernelI14__hip_bfloat16S0_Li64ELi64ELi256ELi13EEvPT0_PKfS4_PKT_PKiS9_iS4_.kd
    .uniform_work_group_size: 1
    .uses_dynamic_stack: false
    .vgpr_count:     136
    .vgpr_spill_count: 0
    .wavefront_size: 64
  - .agpr_count:     0
    .args:
      - .actual_access:  write_only
        .address_space:  global
        .offset:         0
        .size:           8
        .value_kind:     global_buffer
      - .actual_access:  read_only
        .address_space:  global
        .offset:         8
        .size:           8
        .value_kind:     global_buffer
      - .actual_access:  read_only
        .address_space:  global
        .offset:         16
        .size:           8
        .value_kind:     global_buffer
      - .actual_access:  read_only
        .address_space:  global
        .offset:         24
        .size:           8
        .value_kind:     global_buffer
      - .actual_access:  read_only
        .address_space:  global
        .offset:         32
        .size:           8
        .value_kind:     global_buffer
      - .actual_access:  read_only
        .address_space:  global
        .offset:         40
        .size:           8
        .value_kind:     global_buffer
      - .offset:         48
        .size:           4
        .value_kind:     by_value
      - .actual_access:  read_only
        .address_space:  global
        .offset:         56
        .size:           8
        .value_kind:     global_buffer
      - .offset:         64
        .size:           4
        .value_kind:     hidden_block_count_x
      - .offset:         68
        .size:           4
        .value_kind:     hidden_block_count_y
      - .offset:         72
        .size:           4
        .value_kind:     hidden_block_count_z
      - .offset:         76
        .size:           2
        .value_kind:     hidden_group_size_x
      - .offset:         78
        .size:           2
        .value_kind:     hidden_group_size_y
      - .offset:         80
        .size:           2
        .value_kind:     hidden_group_size_z
      - .offset:         82
        .size:           2
        .value_kind:     hidden_remainder_x
      - .offset:         84
        .size:           2
        .value_kind:     hidden_remainder_y
      - .offset:         86
        .size:           2
        .value_kind:     hidden_remainder_z
      - .offset:         104
        .size:           8
        .value_kind:     hidden_global_offset_x
      - .offset:         112
        .size:           8
        .value_kind:     hidden_global_offset_y
      - .offset:         120
        .size:           8
        .value_kind:     hidden_global_offset_z
      - .offset:         128
        .size:           2
        .value_kind:     hidden_grid_dims
    .group_segment_fixed_size: 3588
    .kernarg_segment_align: 8
    .kernarg_segment_size: 320
    .language:       OpenCL C
    .language_version:
      - 2
      - 0
    .max_flat_workgroup_size: 64
    .name:           _Z35paged_attention_ll4mi_reduce_kernelI14__hip_bfloat16S0_Li64ELi64ELi256ELi14EEvPT0_PKfS4_PKT_PKiS9_iS4_
    .private_segment_fixed_size: 0
    .sgpr_count:     61
    .sgpr_spill_count: 0
    .symbol:         _Z35paged_attention_ll4mi_reduce_kernelI14__hip_bfloat16S0_Li64ELi64ELi256ELi14EEvPT0_PKfS4_PKT_PKiS9_iS4_.kd
    .uniform_work_group_size: 1
    .uses_dynamic_stack: false
    .vgpr_count:     136
    .vgpr_spill_count: 0
    .wavefront_size: 64
  - .agpr_count:     0
    .args:
      - .actual_access:  write_only
        .address_space:  global
        .offset:         0
        .size:           8
        .value_kind:     global_buffer
      - .actual_access:  read_only
        .address_space:  global
        .offset:         8
        .size:           8
        .value_kind:     global_buffer
      - .actual_access:  read_only
        .address_space:  global
        .offset:         16
        .size:           8
        .value_kind:     global_buffer
      - .actual_access:  read_only
        .address_space:  global
        .offset:         24
        .size:           8
        .value_kind:     global_buffer
      - .actual_access:  read_only
        .address_space:  global
        .offset:         32
        .size:           8
        .value_kind:     global_buffer
      - .actual_access:  read_only
        .address_space:  global
        .offset:         40
        .size:           8
        .value_kind:     global_buffer
      - .offset:         48
        .size:           4
        .value_kind:     by_value
      - .actual_access:  read_only
        .address_space:  global
        .offset:         56
        .size:           8
        .value_kind:     global_buffer
      - .offset:         64
        .size:           4
        .value_kind:     hidden_block_count_x
      - .offset:         68
        .size:           4
        .value_kind:     hidden_block_count_y
      - .offset:         72
        .size:           4
        .value_kind:     hidden_block_count_z
      - .offset:         76
        .size:           2
        .value_kind:     hidden_group_size_x
      - .offset:         78
        .size:           2
        .value_kind:     hidden_group_size_y
      - .offset:         80
        .size:           2
        .value_kind:     hidden_group_size_z
      - .offset:         82
        .size:           2
        .value_kind:     hidden_remainder_x
      - .offset:         84
        .size:           2
        .value_kind:     hidden_remainder_y
      - .offset:         86
        .size:           2
        .value_kind:     hidden_remainder_z
      - .offset:         104
        .size:           8
        .value_kind:     hidden_global_offset_x
      - .offset:         112
        .size:           8
        .value_kind:     hidden_global_offset_y
      - .offset:         120
        .size:           8
        .value_kind:     hidden_global_offset_z
      - .offset:         128
        .size:           2
        .value_kind:     hidden_grid_dims
    .group_segment_fixed_size: 3844
    .kernarg_segment_align: 8
    .kernarg_segment_size: 320
    .language:       OpenCL C
    .language_version:
      - 2
      - 0
    .max_flat_workgroup_size: 64
    .name:           _Z35paged_attention_ll4mi_reduce_kernelI14__hip_bfloat16S0_Li64ELi64ELi256ELi15EEvPT0_PKfS4_PKT_PKiS9_iS4_
    .private_segment_fixed_size: 0
    .sgpr_count:     63
    .sgpr_spill_count: 0
    .symbol:         _Z35paged_attention_ll4mi_reduce_kernelI14__hip_bfloat16S0_Li64ELi64ELi256ELi15EEvPT0_PKfS4_PKT_PKiS9_iS4_.kd
    .uniform_work_group_size: 1
    .uses_dynamic_stack: false
    .vgpr_count:     136
    .vgpr_spill_count: 0
    .wavefront_size: 64
  - .agpr_count:     0
    .args:
      - .actual_access:  write_only
        .address_space:  global
        .offset:         0
        .size:           8
        .value_kind:     global_buffer
      - .actual_access:  read_only
        .address_space:  global
        .offset:         8
        .size:           8
        .value_kind:     global_buffer
      - .actual_access:  read_only
        .address_space:  global
        .offset:         16
        .size:           8
        .value_kind:     global_buffer
      - .actual_access:  read_only
        .address_space:  global
        .offset:         24
        .size:           8
        .value_kind:     global_buffer
      - .actual_access:  read_only
        .address_space:  global
        .offset:         32
        .size:           8
        .value_kind:     global_buffer
      - .actual_access:  read_only
        .address_space:  global
        .offset:         40
        .size:           8
        .value_kind:     global_buffer
      - .offset:         48
        .size:           4
        .value_kind:     by_value
      - .actual_access:  read_only
        .address_space:  global
        .offset:         56
        .size:           8
        .value_kind:     global_buffer
      - .offset:         64
        .size:           4
        .value_kind:     hidden_block_count_x
      - .offset:         68
        .size:           4
        .value_kind:     hidden_block_count_y
      - .offset:         72
        .size:           4
        .value_kind:     hidden_block_count_z
      - .offset:         76
        .size:           2
        .value_kind:     hidden_group_size_x
      - .offset:         78
        .size:           2
        .value_kind:     hidden_group_size_y
      - .offset:         80
        .size:           2
        .value_kind:     hidden_group_size_z
      - .offset:         82
        .size:           2
        .value_kind:     hidden_remainder_x
      - .offset:         84
        .size:           2
        .value_kind:     hidden_remainder_y
      - .offset:         86
        .size:           2
        .value_kind:     hidden_remainder_z
      - .offset:         104
        .size:           8
        .value_kind:     hidden_global_offset_x
      - .offset:         112
        .size:           8
        .value_kind:     hidden_global_offset_y
      - .offset:         120
        .size:           8
        .value_kind:     hidden_global_offset_z
      - .offset:         128
        .size:           2
        .value_kind:     hidden_grid_dims
    .group_segment_fixed_size: 4100
    .kernarg_segment_align: 8
    .kernarg_segment_size: 320
    .language:       OpenCL C
    .language_version:
      - 2
      - 0
    .max_flat_workgroup_size: 64
    .name:           _Z35paged_attention_ll4mi_reduce_kernelI14__hip_bfloat16S0_Li64ELi64ELi256ELi16EEvPT0_PKfS4_PKT_PKiS9_iS4_
    .private_segment_fixed_size: 0
    .sgpr_count:     65
    .sgpr_spill_count: 0
    .symbol:         _Z35paged_attention_ll4mi_reduce_kernelI14__hip_bfloat16S0_Li64ELi64ELi256ELi16EEvPT0_PKfS4_PKT_PKiS9_iS4_.kd
    .uniform_work_group_size: 1
    .uses_dynamic_stack: false
    .vgpr_count:     132
    .vgpr_spill_count: 0
    .wavefront_size: 64
  - .agpr_count:     4
    .args:
      - .actual_access:  read_only
        .address_space:  global
        .offset:         0
        .size:           8
        .value_kind:     global_buffer
      - .actual_access:  read_only
        .address_space:  global
        .offset:         8
        .size:           8
        .value_kind:     global_buffer
      - .actual_access:  read_only
        .address_space:  global
        .offset:         16
        .size:           8
        .value_kind:     global_buffer
      - .offset:         24
        .size:           4
        .value_kind:     by_value
      - .offset:         28
        .size:           4
        .value_kind:     by_value
      - .actual_access:  read_only
        .address_space:  global
        .offset:         32
        .size:           8
        .value_kind:     global_buffer
      - .actual_access:  read_only
        .address_space:  global
        .offset:         40
        .size:           8
        .value_kind:     global_buffer
      - .actual_access:  read_only
        .address_space:  global
        .offset:         48
        .size:           8
        .value_kind:     global_buffer
      - .offset:         56
        .size:           4
        .value_kind:     by_value
      - .actual_access:  read_only
        .address_space:  global
        .offset:         64
        .size:           8
        .value_kind:     global_buffer
      - .offset:         72
        .size:           4
        .value_kind:     by_value
      - .offset:         76
        .size:           4
        .value_kind:     by_value
      - .offset:         80
        .size:           4
        .value_kind:     by_value
      - .actual_access:  write_only
        .address_space:  global
        .offset:         88
        .size:           8
        .value_kind:     global_buffer
      - .actual_access:  write_only
        .address_space:  global
        .offset:         96
        .size:           8
        .value_kind:     global_buffer
      - .actual_access:  write_only
        .address_space:  global
        .offset:         104
        .size:           8
        .value_kind:     global_buffer
      - .actual_access:  read_only
        .address_space:  global
        .offset:         112
        .size:           8
        .value_kind:     global_buffer
      - .offset:         120
        .size:           4
        .value_kind:     by_value
      - .address_space:  global
        .offset:         128
        .size:           8
        .value_kind:     global_buffer
      - .address_space:  global
        .offset:         136
        .size:           8
        .value_kind:     global_buffer
      - .offset:         144
        .size:           4
        .value_kind:     hidden_block_count_x
      - .offset:         148
        .size:           4
        .value_kind:     hidden_block_count_y
      - .offset:         152
        .size:           4
        .value_kind:     hidden_block_count_z
      - .offset:         156
        .size:           2
        .value_kind:     hidden_group_size_x
      - .offset:         158
        .size:           2
        .value_kind:     hidden_group_size_y
      - .offset:         160
        .size:           2
        .value_kind:     hidden_group_size_z
      - .offset:         162
        .size:           2
        .value_kind:     hidden_remainder_x
      - .offset:         164
        .size:           2
        .value_kind:     hidden_remainder_y
      - .offset:         166
        .size:           2
        .value_kind:     hidden_remainder_z
      - .offset:         184
        .size:           8
        .value_kind:     hidden_global_offset_x
      - .offset:         192
        .size:           8
        .value_kind:     hidden_global_offset_y
      - .offset:         200
        .size:           8
        .value_kind:     hidden_global_offset_z
      - .offset:         208
        .size:           2
        .value_kind:     hidden_grid_dims
    .group_segment_fixed_size: 2720
    .kernarg_segment_align: 8
    .kernarg_segment_size: 400
    .language:       OpenCL C
    .language_version:
      - 2
      - 0
    .max_flat_workgroup_size: 256
    .name:           _Z38paged_attention_ll4mi_QKV_mfma4_kernelI14__hip_bfloat16S0_LN4vllm18Fp8KVCacheDataTypeE0ES0_Li16ELi64ELi256ELb0ELi1EEvPKT_PKT0_S8_ifPKiSA_SA_iPKfiiiPfSD_PS3_PT2_iSC_SC_
    .private_segment_fixed_size: 0
    .sgpr_count:     42
    .sgpr_spill_count: 0
    .symbol:         _Z38paged_attention_ll4mi_QKV_mfma4_kernelI14__hip_bfloat16S0_LN4vllm18Fp8KVCacheDataTypeE0ES0_Li16ELi64ELi256ELb0ELi1EEvPKT_PKT0_S8_ifPKiSA_SA_iPKfiiiPfSD_PS3_PT2_iSC_SC_.kd
    .uniform_work_group_size: 1
    .uses_dynamic_stack: false
    .vgpr_count:     64
    .vgpr_spill_count: 0
    .wavefront_size: 64
  - .agpr_count:     4
    .args:
      - .actual_access:  read_only
        .address_space:  global
        .offset:         0
        .size:           8
        .value_kind:     global_buffer
      - .actual_access:  read_only
        .address_space:  global
        .offset:         8
        .size:           8
        .value_kind:     global_buffer
      - .actual_access:  read_only
        .address_space:  global
        .offset:         16
        .size:           8
        .value_kind:     global_buffer
      - .offset:         24
        .size:           4
        .value_kind:     by_value
      - .offset:         28
        .size:           4
        .value_kind:     by_value
      - .actual_access:  read_only
        .address_space:  global
        .offset:         32
        .size:           8
        .value_kind:     global_buffer
      - .actual_access:  read_only
        .address_space:  global
        .offset:         40
        .size:           8
        .value_kind:     global_buffer
      - .actual_access:  read_only
        .address_space:  global
        .offset:         48
        .size:           8
        .value_kind:     global_buffer
      - .offset:         56
        .size:           4
        .value_kind:     by_value
      - .actual_access:  read_only
        .address_space:  global
        .offset:         64
        .size:           8
        .value_kind:     global_buffer
      - .offset:         72
        .size:           4
        .value_kind:     by_value
      - .offset:         76
        .size:           4
        .value_kind:     by_value
      - .offset:         80
        .size:           4
        .value_kind:     by_value
      - .actual_access:  write_only
        .address_space:  global
        .offset:         88
        .size:           8
        .value_kind:     global_buffer
      - .actual_access:  write_only
        .address_space:  global
        .offset:         96
        .size:           8
        .value_kind:     global_buffer
      - .actual_access:  write_only
        .address_space:  global
        .offset:         104
        .size:           8
        .value_kind:     global_buffer
      - .actual_access:  read_only
        .address_space:  global
        .offset:         112
        .size:           8
        .value_kind:     global_buffer
      - .offset:         120
        .size:           4
        .value_kind:     by_value
      - .address_space:  global
        .offset:         128
        .size:           8
        .value_kind:     global_buffer
      - .address_space:  global
        .offset:         136
        .size:           8
        .value_kind:     global_buffer
      - .offset:         144
        .size:           4
        .value_kind:     hidden_block_count_x
      - .offset:         148
        .size:           4
        .value_kind:     hidden_block_count_y
      - .offset:         152
        .size:           4
        .value_kind:     hidden_block_count_z
      - .offset:         156
        .size:           2
        .value_kind:     hidden_group_size_x
      - .offset:         158
        .size:           2
        .value_kind:     hidden_group_size_y
      - .offset:         160
        .size:           2
        .value_kind:     hidden_group_size_z
      - .offset:         162
        .size:           2
        .value_kind:     hidden_remainder_x
      - .offset:         164
        .size:           2
        .value_kind:     hidden_remainder_y
      - .offset:         166
        .size:           2
        .value_kind:     hidden_remainder_z
      - .offset:         184
        .size:           8
        .value_kind:     hidden_global_offset_x
      - .offset:         192
        .size:           8
        .value_kind:     hidden_global_offset_y
      - .offset:         200
        .size:           8
        .value_kind:     hidden_global_offset_z
      - .offset:         208
        .size:           2
        .value_kind:     hidden_grid_dims
    .group_segment_fixed_size: 2720
    .kernarg_segment_align: 8
    .kernarg_segment_size: 400
    .language:       OpenCL C
    .language_version:
      - 2
      - 0
    .max_flat_workgroup_size: 256
    .name:           _Z38paged_attention_ll4mi_QKV_mfma4_kernelI14__hip_bfloat16S0_LN4vllm18Fp8KVCacheDataTypeE0ES0_Li16ELi64ELi256ELb0ELi2EEvPKT_PKT0_S8_ifPKiSA_SA_iPKfiiiPfSD_PS3_PT2_iSC_SC_
    .private_segment_fixed_size: 0
    .sgpr_count:     42
    .sgpr_spill_count: 0
    .symbol:         _Z38paged_attention_ll4mi_QKV_mfma4_kernelI14__hip_bfloat16S0_LN4vllm18Fp8KVCacheDataTypeE0ES0_Li16ELi64ELi256ELb0ELi2EEvPKT_PKT0_S8_ifPKiSA_SA_iPKfiiiPfSD_PS3_PT2_iSC_SC_.kd
    .uniform_work_group_size: 1
    .uses_dynamic_stack: false
    .vgpr_count:     64
    .vgpr_spill_count: 0
    .wavefront_size: 64
  - .agpr_count:     4
    .args:
      - .actual_access:  read_only
        .address_space:  global
        .offset:         0
        .size:           8
        .value_kind:     global_buffer
      - .actual_access:  read_only
        .address_space:  global
        .offset:         8
        .size:           8
        .value_kind:     global_buffer
      - .actual_access:  read_only
        .address_space:  global
        .offset:         16
        .size:           8
        .value_kind:     global_buffer
      - .offset:         24
        .size:           4
        .value_kind:     by_value
      - .offset:         28
        .size:           4
        .value_kind:     by_value
      - .actual_access:  read_only
        .address_space:  global
        .offset:         32
        .size:           8
        .value_kind:     global_buffer
      - .actual_access:  read_only
        .address_space:  global
        .offset:         40
        .size:           8
        .value_kind:     global_buffer
      - .actual_access:  read_only
        .address_space:  global
        .offset:         48
        .size:           8
        .value_kind:     global_buffer
      - .offset:         56
        .size:           4
        .value_kind:     by_value
      - .actual_access:  read_only
        .address_space:  global
        .offset:         64
        .size:           8
        .value_kind:     global_buffer
      - .offset:         72
        .size:           4
        .value_kind:     by_value
      - .offset:         76
        .size:           4
        .value_kind:     by_value
      - .offset:         80
        .size:           4
        .value_kind:     by_value
      - .actual_access:  write_only
        .address_space:  global
        .offset:         88
        .size:           8
        .value_kind:     global_buffer
      - .actual_access:  write_only
        .address_space:  global
        .offset:         96
        .size:           8
        .value_kind:     global_buffer
      - .actual_access:  write_only
        .address_space:  global
        .offset:         104
        .size:           8
        .value_kind:     global_buffer
      - .actual_access:  read_only
        .address_space:  global
        .offset:         112
        .size:           8
        .value_kind:     global_buffer
      - .offset:         120
        .size:           4
        .value_kind:     by_value
      - .address_space:  global
        .offset:         128
        .size:           8
        .value_kind:     global_buffer
      - .address_space:  global
        .offset:         136
        .size:           8
        .value_kind:     global_buffer
      - .offset:         144
        .size:           4
        .value_kind:     hidden_block_count_x
      - .offset:         148
        .size:           4
        .value_kind:     hidden_block_count_y
      - .offset:         152
        .size:           4
        .value_kind:     hidden_block_count_z
      - .offset:         156
        .size:           2
        .value_kind:     hidden_group_size_x
      - .offset:         158
        .size:           2
        .value_kind:     hidden_group_size_y
      - .offset:         160
        .size:           2
        .value_kind:     hidden_group_size_z
      - .offset:         162
        .size:           2
        .value_kind:     hidden_remainder_x
      - .offset:         164
        .size:           2
        .value_kind:     hidden_remainder_y
      - .offset:         166
        .size:           2
        .value_kind:     hidden_remainder_z
      - .offset:         184
        .size:           8
        .value_kind:     hidden_global_offset_x
      - .offset:         192
        .size:           8
        .value_kind:     hidden_global_offset_y
      - .offset:         200
        .size:           8
        .value_kind:     hidden_global_offset_z
      - .offset:         208
        .size:           2
        .value_kind:     hidden_grid_dims
    .group_segment_fixed_size: 2720
    .kernarg_segment_align: 8
    .kernarg_segment_size: 400
    .language:       OpenCL C
    .language_version:
      - 2
      - 0
    .max_flat_workgroup_size: 256
    .name:           _Z38paged_attention_ll4mi_QKV_mfma4_kernelI14__hip_bfloat16S0_LN4vllm18Fp8KVCacheDataTypeE0ES0_Li16ELi64ELi256ELb0ELi3EEvPKT_PKT0_S8_ifPKiSA_SA_iPKfiiiPfSD_PS3_PT2_iSC_SC_
    .private_segment_fixed_size: 0
    .sgpr_count:     42
    .sgpr_spill_count: 0
    .symbol:         _Z38paged_attention_ll4mi_QKV_mfma4_kernelI14__hip_bfloat16S0_LN4vllm18Fp8KVCacheDataTypeE0ES0_Li16ELi64ELi256ELb0ELi3EEvPKT_PKT0_S8_ifPKiSA_SA_iPKfiiiPfSD_PS3_PT2_iSC_SC_.kd
    .uniform_work_group_size: 1
    .uses_dynamic_stack: false
    .vgpr_count:     64
    .vgpr_spill_count: 0
    .wavefront_size: 64
  - .agpr_count:     4
    .args:
      - .actual_access:  read_only
        .address_space:  global
        .offset:         0
        .size:           8
        .value_kind:     global_buffer
      - .actual_access:  read_only
        .address_space:  global
        .offset:         8
        .size:           8
        .value_kind:     global_buffer
      - .actual_access:  read_only
        .address_space:  global
        .offset:         16
        .size:           8
        .value_kind:     global_buffer
      - .offset:         24
        .size:           4
        .value_kind:     by_value
      - .offset:         28
        .size:           4
        .value_kind:     by_value
      - .actual_access:  read_only
        .address_space:  global
        .offset:         32
        .size:           8
        .value_kind:     global_buffer
      - .actual_access:  read_only
        .address_space:  global
        .offset:         40
        .size:           8
        .value_kind:     global_buffer
      - .actual_access:  read_only
        .address_space:  global
        .offset:         48
        .size:           8
        .value_kind:     global_buffer
      - .offset:         56
        .size:           4
        .value_kind:     by_value
      - .actual_access:  read_only
        .address_space:  global
        .offset:         64
        .size:           8
        .value_kind:     global_buffer
      - .offset:         72
        .size:           4
        .value_kind:     by_value
      - .offset:         76
        .size:           4
        .value_kind:     by_value
      - .offset:         80
        .size:           4
        .value_kind:     by_value
      - .actual_access:  write_only
        .address_space:  global
        .offset:         88
        .size:           8
        .value_kind:     global_buffer
      - .actual_access:  write_only
        .address_space:  global
        .offset:         96
        .size:           8
        .value_kind:     global_buffer
      - .actual_access:  write_only
        .address_space:  global
        .offset:         104
        .size:           8
        .value_kind:     global_buffer
      - .actual_access:  read_only
        .address_space:  global
        .offset:         112
        .size:           8
        .value_kind:     global_buffer
      - .offset:         120
        .size:           4
        .value_kind:     by_value
      - .address_space:  global
        .offset:         128
        .size:           8
        .value_kind:     global_buffer
      - .address_space:  global
        .offset:         136
        .size:           8
        .value_kind:     global_buffer
      - .offset:         144
        .size:           4
        .value_kind:     hidden_block_count_x
      - .offset:         148
        .size:           4
        .value_kind:     hidden_block_count_y
      - .offset:         152
        .size:           4
        .value_kind:     hidden_block_count_z
      - .offset:         156
        .size:           2
        .value_kind:     hidden_group_size_x
      - .offset:         158
        .size:           2
        .value_kind:     hidden_group_size_y
      - .offset:         160
        .size:           2
        .value_kind:     hidden_group_size_z
      - .offset:         162
        .size:           2
        .value_kind:     hidden_remainder_x
      - .offset:         164
        .size:           2
        .value_kind:     hidden_remainder_y
      - .offset:         166
        .size:           2
        .value_kind:     hidden_remainder_z
      - .offset:         184
        .size:           8
        .value_kind:     hidden_global_offset_x
      - .offset:         192
        .size:           8
        .value_kind:     hidden_global_offset_y
      - .offset:         200
        .size:           8
        .value_kind:     hidden_global_offset_z
      - .offset:         208
        .size:           2
        .value_kind:     hidden_grid_dims
    .group_segment_fixed_size: 2720
    .kernarg_segment_align: 8
    .kernarg_segment_size: 400
    .language:       OpenCL C
    .language_version:
      - 2
      - 0
    .max_flat_workgroup_size: 256
    .name:           _Z38paged_attention_ll4mi_QKV_mfma4_kernelI14__hip_bfloat16S0_LN4vllm18Fp8KVCacheDataTypeE0ES0_Li16ELi64ELi256ELb0ELi4EEvPKT_PKT0_S8_ifPKiSA_SA_iPKfiiiPfSD_PS3_PT2_iSC_SC_
    .private_segment_fixed_size: 0
    .sgpr_count:     44
    .sgpr_spill_count: 0
    .symbol:         _Z38paged_attention_ll4mi_QKV_mfma4_kernelI14__hip_bfloat16S0_LN4vllm18Fp8KVCacheDataTypeE0ES0_Li16ELi64ELi256ELb0ELi4EEvPKT_PKT0_S8_ifPKiSA_SA_iPKfiiiPfSD_PS3_PT2_iSC_SC_.kd
    .uniform_work_group_size: 1
    .uses_dynamic_stack: false
    .vgpr_count:     64
    .vgpr_spill_count: 0
    .wavefront_size: 64
  - .agpr_count:     0
    .args:
      - .actual_access:  read_only
        .address_space:  global
        .offset:         0
        .size:           8
        .value_kind:     global_buffer
      - .actual_access:  read_only
        .address_space:  global
        .offset:         8
        .size:           8
        .value_kind:     global_buffer
      - .actual_access:  read_only
        .address_space:  global
        .offset:         16
        .size:           8
        .value_kind:     global_buffer
      - .offset:         24
        .size:           4
        .value_kind:     by_value
      - .offset:         28
        .size:           4
        .value_kind:     by_value
      - .actual_access:  read_only
        .address_space:  global
        .offset:         32
        .size:           8
        .value_kind:     global_buffer
      - .actual_access:  read_only
        .address_space:  global
        .offset:         40
        .size:           8
        .value_kind:     global_buffer
      - .actual_access:  read_only
        .address_space:  global
        .offset:         48
        .size:           8
        .value_kind:     global_buffer
      - .offset:         56
        .size:           4
        .value_kind:     by_value
      - .actual_access:  read_only
        .address_space:  global
        .offset:         64
        .size:           8
        .value_kind:     global_buffer
      - .offset:         72
        .size:           4
        .value_kind:     by_value
      - .offset:         76
        .size:           4
        .value_kind:     by_value
      - .offset:         80
        .size:           4
        .value_kind:     by_value
      - .actual_access:  write_only
        .address_space:  global
        .offset:         88
        .size:           8
        .value_kind:     global_buffer
      - .actual_access:  write_only
        .address_space:  global
        .offset:         96
        .size:           8
        .value_kind:     global_buffer
      - .actual_access:  write_only
        .address_space:  global
        .offset:         104
        .size:           8
        .value_kind:     global_buffer
      - .actual_access:  read_only
        .address_space:  global
        .offset:         112
        .size:           8
        .value_kind:     global_buffer
      - .offset:         120
        .size:           4
        .value_kind:     by_value
      - .address_space:  global
        .offset:         128
        .size:           8
        .value_kind:     global_buffer
      - .address_space:  global
        .offset:         136
        .size:           8
        .value_kind:     global_buffer
      - .offset:         144
        .size:           4
        .value_kind:     hidden_block_count_x
      - .offset:         148
        .size:           4
        .value_kind:     hidden_block_count_y
      - .offset:         152
        .size:           4
        .value_kind:     hidden_block_count_z
      - .offset:         156
        .size:           2
        .value_kind:     hidden_group_size_x
      - .offset:         158
        .size:           2
        .value_kind:     hidden_group_size_y
      - .offset:         160
        .size:           2
        .value_kind:     hidden_group_size_z
      - .offset:         162
        .size:           2
        .value_kind:     hidden_remainder_x
      - .offset:         164
        .size:           2
        .value_kind:     hidden_remainder_y
      - .offset:         166
        .size:           2
        .value_kind:     hidden_remainder_z
      - .offset:         184
        .size:           8
        .value_kind:     hidden_global_offset_x
      - .offset:         192
        .size:           8
        .value_kind:     hidden_global_offset_y
      - .offset:         200
        .size:           8
        .value_kind:     hidden_global_offset_z
      - .offset:         208
        .size:           2
        .value_kind:     hidden_grid_dims
    .group_segment_fixed_size: 8192
    .kernarg_segment_align: 8
    .kernarg_segment_size: 400
    .language:       OpenCL C
    .language_version:
      - 2
      - 0
    .max_flat_workgroup_size: 256
    .name:           _Z39paged_attention_ll4mi_QKV_mfma16_kernelI14__hip_bfloat16S0_LN4vllm18Fp8KVCacheDataTypeE0ES0_Li16ELi64ELi256ELb0ELi5EL8MFMAType0EEvPKT_PKT0_S9_ifPKiSB_SB_iPKfiiiPfSE_PS4_PT2_iSD_SD_
    .private_segment_fixed_size: 0
    .sgpr_count:     52
    .sgpr_spill_count: 0
    .symbol:         _Z39paged_attention_ll4mi_QKV_mfma16_kernelI14__hip_bfloat16S0_LN4vllm18Fp8KVCacheDataTypeE0ES0_Li16ELi64ELi256ELb0ELi5EL8MFMAType0EEvPKT_PKT0_S9_ifPKiSB_SB_iPKfiiiPfSE_PS4_PT2_iSD_SD_.kd
    .uniform_work_group_size: 1
    .uses_dynamic_stack: false
    .vgpr_count:     67
    .vgpr_spill_count: 0
    .wavefront_size: 64
  - .agpr_count:     0
    .args:
      - .actual_access:  read_only
        .address_space:  global
        .offset:         0
        .size:           8
        .value_kind:     global_buffer
      - .actual_access:  read_only
        .address_space:  global
        .offset:         8
        .size:           8
        .value_kind:     global_buffer
      - .actual_access:  read_only
        .address_space:  global
        .offset:         16
        .size:           8
        .value_kind:     global_buffer
      - .offset:         24
        .size:           4
        .value_kind:     by_value
      - .offset:         28
        .size:           4
        .value_kind:     by_value
      - .actual_access:  read_only
        .address_space:  global
        .offset:         32
        .size:           8
        .value_kind:     global_buffer
      - .actual_access:  read_only
        .address_space:  global
        .offset:         40
        .size:           8
        .value_kind:     global_buffer
      - .actual_access:  read_only
        .address_space:  global
        .offset:         48
        .size:           8
        .value_kind:     global_buffer
      - .offset:         56
        .size:           4
        .value_kind:     by_value
      - .actual_access:  read_only
        .address_space:  global
        .offset:         64
        .size:           8
        .value_kind:     global_buffer
      - .offset:         72
        .size:           4
        .value_kind:     by_value
      - .offset:         76
        .size:           4
        .value_kind:     by_value
      - .offset:         80
        .size:           4
        .value_kind:     by_value
      - .actual_access:  write_only
        .address_space:  global
        .offset:         88
        .size:           8
        .value_kind:     global_buffer
      - .actual_access:  write_only
        .address_space:  global
        .offset:         96
        .size:           8
        .value_kind:     global_buffer
      - .actual_access:  write_only
        .address_space:  global
        .offset:         104
        .size:           8
        .value_kind:     global_buffer
      - .actual_access:  read_only
        .address_space:  global
        .offset:         112
        .size:           8
        .value_kind:     global_buffer
      - .offset:         120
        .size:           4
        .value_kind:     by_value
      - .address_space:  global
        .offset:         128
        .size:           8
        .value_kind:     global_buffer
      - .address_space:  global
        .offset:         136
        .size:           8
        .value_kind:     global_buffer
      - .offset:         144
        .size:           4
        .value_kind:     hidden_block_count_x
      - .offset:         148
        .size:           4
        .value_kind:     hidden_block_count_y
      - .offset:         152
        .size:           4
        .value_kind:     hidden_block_count_z
      - .offset:         156
        .size:           2
        .value_kind:     hidden_group_size_x
      - .offset:         158
        .size:           2
        .value_kind:     hidden_group_size_y
      - .offset:         160
        .size:           2
        .value_kind:     hidden_group_size_z
      - .offset:         162
        .size:           2
        .value_kind:     hidden_remainder_x
      - .offset:         164
        .size:           2
        .value_kind:     hidden_remainder_y
      - .offset:         166
        .size:           2
        .value_kind:     hidden_remainder_z
      - .offset:         184
        .size:           8
        .value_kind:     hidden_global_offset_x
      - .offset:         192
        .size:           8
        .value_kind:     hidden_global_offset_y
      - .offset:         200
        .size:           8
        .value_kind:     hidden_global_offset_z
      - .offset:         208
        .size:           2
        .value_kind:     hidden_grid_dims
    .group_segment_fixed_size: 8192
    .kernarg_segment_align: 8
    .kernarg_segment_size: 400
    .language:       OpenCL C
    .language_version:
      - 2
      - 0
    .max_flat_workgroup_size: 256
    .name:           _Z39paged_attention_ll4mi_QKV_mfma16_kernelI14__hip_bfloat16S0_LN4vllm18Fp8KVCacheDataTypeE0ES0_Li16ELi64ELi256ELb0ELi6EL8MFMAType0EEvPKT_PKT0_S9_ifPKiSB_SB_iPKfiiiPfSE_PS4_PT2_iSD_SD_
    .private_segment_fixed_size: 0
    .sgpr_count:     52
    .sgpr_spill_count: 0
    .symbol:         _Z39paged_attention_ll4mi_QKV_mfma16_kernelI14__hip_bfloat16S0_LN4vllm18Fp8KVCacheDataTypeE0ES0_Li16ELi64ELi256ELb0ELi6EL8MFMAType0EEvPKT_PKT0_S9_ifPKiSB_SB_iPKfiiiPfSE_PS4_PT2_iSD_SD_.kd
    .uniform_work_group_size: 1
    .uses_dynamic_stack: false
    .vgpr_count:     67
    .vgpr_spill_count: 0
    .wavefront_size: 64
  - .agpr_count:     0
    .args:
      - .actual_access:  read_only
        .address_space:  global
        .offset:         0
        .size:           8
        .value_kind:     global_buffer
      - .actual_access:  read_only
        .address_space:  global
        .offset:         8
        .size:           8
        .value_kind:     global_buffer
      - .actual_access:  read_only
        .address_space:  global
        .offset:         16
        .size:           8
        .value_kind:     global_buffer
      - .offset:         24
        .size:           4
        .value_kind:     by_value
      - .offset:         28
        .size:           4
        .value_kind:     by_value
      - .actual_access:  read_only
        .address_space:  global
        .offset:         32
        .size:           8
        .value_kind:     global_buffer
      - .actual_access:  read_only
        .address_space:  global
        .offset:         40
        .size:           8
        .value_kind:     global_buffer
      - .actual_access:  read_only
        .address_space:  global
        .offset:         48
        .size:           8
        .value_kind:     global_buffer
      - .offset:         56
        .size:           4
        .value_kind:     by_value
      - .actual_access:  read_only
        .address_space:  global
        .offset:         64
        .size:           8
        .value_kind:     global_buffer
      - .offset:         72
        .size:           4
        .value_kind:     by_value
      - .offset:         76
        .size:           4
        .value_kind:     by_value
      - .offset:         80
        .size:           4
        .value_kind:     by_value
      - .actual_access:  write_only
        .address_space:  global
        .offset:         88
        .size:           8
        .value_kind:     global_buffer
      - .actual_access:  write_only
        .address_space:  global
        .offset:         96
        .size:           8
        .value_kind:     global_buffer
      - .actual_access:  write_only
        .address_space:  global
        .offset:         104
        .size:           8
        .value_kind:     global_buffer
      - .actual_access:  read_only
        .address_space:  global
        .offset:         112
        .size:           8
        .value_kind:     global_buffer
      - .offset:         120
        .size:           4
        .value_kind:     by_value
      - .address_space:  global
        .offset:         128
        .size:           8
        .value_kind:     global_buffer
      - .address_space:  global
        .offset:         136
        .size:           8
        .value_kind:     global_buffer
      - .offset:         144
        .size:           4
        .value_kind:     hidden_block_count_x
      - .offset:         148
        .size:           4
        .value_kind:     hidden_block_count_y
      - .offset:         152
        .size:           4
        .value_kind:     hidden_block_count_z
      - .offset:         156
        .size:           2
        .value_kind:     hidden_group_size_x
      - .offset:         158
        .size:           2
        .value_kind:     hidden_group_size_y
      - .offset:         160
        .size:           2
        .value_kind:     hidden_group_size_z
      - .offset:         162
        .size:           2
        .value_kind:     hidden_remainder_x
      - .offset:         164
        .size:           2
        .value_kind:     hidden_remainder_y
      - .offset:         166
        .size:           2
        .value_kind:     hidden_remainder_z
      - .offset:         184
        .size:           8
        .value_kind:     hidden_global_offset_x
      - .offset:         192
        .size:           8
        .value_kind:     hidden_global_offset_y
      - .offset:         200
        .size:           8
        .value_kind:     hidden_global_offset_z
      - .offset:         208
        .size:           2
        .value_kind:     hidden_grid_dims
    .group_segment_fixed_size: 8192
    .kernarg_segment_align: 8
    .kernarg_segment_size: 400
    .language:       OpenCL C
    .language_version:
      - 2
      - 0
    .max_flat_workgroup_size: 256
    .name:           _Z39paged_attention_ll4mi_QKV_mfma16_kernelI14__hip_bfloat16S0_LN4vllm18Fp8KVCacheDataTypeE0ES0_Li16ELi64ELi256ELb0ELi7EL8MFMAType0EEvPKT_PKT0_S9_ifPKiSB_SB_iPKfiiiPfSE_PS4_PT2_iSD_SD_
    .private_segment_fixed_size: 0
    .sgpr_count:     52
    .sgpr_spill_count: 0
    .symbol:         _Z39paged_attention_ll4mi_QKV_mfma16_kernelI14__hip_bfloat16S0_LN4vllm18Fp8KVCacheDataTypeE0ES0_Li16ELi64ELi256ELb0ELi7EL8MFMAType0EEvPKT_PKT0_S9_ifPKiSB_SB_iPKfiiiPfSE_PS4_PT2_iSD_SD_.kd
    .uniform_work_group_size: 1
    .uses_dynamic_stack: false
    .vgpr_count:     67
    .vgpr_spill_count: 0
    .wavefront_size: 64
  - .agpr_count:     0
    .args:
      - .actual_access:  read_only
        .address_space:  global
        .offset:         0
        .size:           8
        .value_kind:     global_buffer
      - .actual_access:  read_only
        .address_space:  global
        .offset:         8
        .size:           8
        .value_kind:     global_buffer
      - .actual_access:  read_only
        .address_space:  global
        .offset:         16
        .size:           8
        .value_kind:     global_buffer
      - .offset:         24
        .size:           4
        .value_kind:     by_value
      - .offset:         28
        .size:           4
        .value_kind:     by_value
      - .actual_access:  read_only
        .address_space:  global
        .offset:         32
        .size:           8
        .value_kind:     global_buffer
      - .actual_access:  read_only
        .address_space:  global
        .offset:         40
        .size:           8
        .value_kind:     global_buffer
      - .actual_access:  read_only
        .address_space:  global
        .offset:         48
        .size:           8
        .value_kind:     global_buffer
      - .offset:         56
        .size:           4
        .value_kind:     by_value
      - .actual_access:  read_only
        .address_space:  global
        .offset:         64
        .size:           8
        .value_kind:     global_buffer
      - .offset:         72
        .size:           4
        .value_kind:     by_value
      - .offset:         76
        .size:           4
        .value_kind:     by_value
      - .offset:         80
        .size:           4
        .value_kind:     by_value
      - .actual_access:  write_only
        .address_space:  global
        .offset:         88
        .size:           8
        .value_kind:     global_buffer
      - .actual_access:  write_only
        .address_space:  global
        .offset:         96
        .size:           8
        .value_kind:     global_buffer
      - .actual_access:  write_only
        .address_space:  global
        .offset:         104
        .size:           8
        .value_kind:     global_buffer
      - .actual_access:  read_only
        .address_space:  global
        .offset:         112
        .size:           8
        .value_kind:     global_buffer
      - .offset:         120
        .size:           4
        .value_kind:     by_value
      - .address_space:  global
        .offset:         128
        .size:           8
        .value_kind:     global_buffer
      - .address_space:  global
        .offset:         136
        .size:           8
        .value_kind:     global_buffer
      - .offset:         144
        .size:           4
        .value_kind:     hidden_block_count_x
      - .offset:         148
        .size:           4
        .value_kind:     hidden_block_count_y
      - .offset:         152
        .size:           4
        .value_kind:     hidden_block_count_z
      - .offset:         156
        .size:           2
        .value_kind:     hidden_group_size_x
      - .offset:         158
        .size:           2
        .value_kind:     hidden_group_size_y
      - .offset:         160
        .size:           2
        .value_kind:     hidden_group_size_z
      - .offset:         162
        .size:           2
        .value_kind:     hidden_remainder_x
      - .offset:         164
        .size:           2
        .value_kind:     hidden_remainder_y
      - .offset:         166
        .size:           2
        .value_kind:     hidden_remainder_z
      - .offset:         184
        .size:           8
        .value_kind:     hidden_global_offset_x
      - .offset:         192
        .size:           8
        .value_kind:     hidden_global_offset_y
      - .offset:         200
        .size:           8
        .value_kind:     hidden_global_offset_z
      - .offset:         208
        .size:           2
        .value_kind:     hidden_grid_dims
    .group_segment_fixed_size: 8192
    .kernarg_segment_align: 8
    .kernarg_segment_size: 400
    .language:       OpenCL C
    .language_version:
      - 2
      - 0
    .max_flat_workgroup_size: 256
    .name:           _Z39paged_attention_ll4mi_QKV_mfma16_kernelI14__hip_bfloat16S0_LN4vllm18Fp8KVCacheDataTypeE0ES0_Li16ELi64ELi256ELb0ELi8EL8MFMAType0EEvPKT_PKT0_S9_ifPKiSB_SB_iPKfiiiPfSE_PS4_PT2_iSD_SD_
    .private_segment_fixed_size: 0
    .sgpr_count:     52
    .sgpr_spill_count: 0
    .symbol:         _Z39paged_attention_ll4mi_QKV_mfma16_kernelI14__hip_bfloat16S0_LN4vllm18Fp8KVCacheDataTypeE0ES0_Li16ELi64ELi256ELb0ELi8EL8MFMAType0EEvPKT_PKT0_S9_ifPKiSB_SB_iPKfiiiPfSE_PS4_PT2_iSD_SD_.kd
    .uniform_work_group_size: 1
    .uses_dynamic_stack: false
    .vgpr_count:     66
    .vgpr_spill_count: 0
    .wavefront_size: 64
  - .agpr_count:     0
    .args:
      - .actual_access:  read_only
        .address_space:  global
        .offset:         0
        .size:           8
        .value_kind:     global_buffer
      - .actual_access:  read_only
        .address_space:  global
        .offset:         8
        .size:           8
        .value_kind:     global_buffer
      - .actual_access:  read_only
        .address_space:  global
        .offset:         16
        .size:           8
        .value_kind:     global_buffer
      - .offset:         24
        .size:           4
        .value_kind:     by_value
      - .offset:         28
        .size:           4
        .value_kind:     by_value
      - .actual_access:  read_only
        .address_space:  global
        .offset:         32
        .size:           8
        .value_kind:     global_buffer
      - .actual_access:  read_only
        .address_space:  global
        .offset:         40
        .size:           8
        .value_kind:     global_buffer
      - .actual_access:  read_only
        .address_space:  global
        .offset:         48
        .size:           8
        .value_kind:     global_buffer
      - .offset:         56
        .size:           4
        .value_kind:     by_value
      - .actual_access:  read_only
        .address_space:  global
        .offset:         64
        .size:           8
        .value_kind:     global_buffer
      - .offset:         72
        .size:           4
        .value_kind:     by_value
      - .offset:         76
        .size:           4
        .value_kind:     by_value
      - .offset:         80
        .size:           4
        .value_kind:     by_value
      - .actual_access:  write_only
        .address_space:  global
        .offset:         88
        .size:           8
        .value_kind:     global_buffer
      - .actual_access:  write_only
        .address_space:  global
        .offset:         96
        .size:           8
        .value_kind:     global_buffer
      - .actual_access:  write_only
        .address_space:  global
        .offset:         104
        .size:           8
        .value_kind:     global_buffer
      - .actual_access:  read_only
        .address_space:  global
        .offset:         112
        .size:           8
        .value_kind:     global_buffer
      - .offset:         120
        .size:           4
        .value_kind:     by_value
      - .address_space:  global
        .offset:         128
        .size:           8
        .value_kind:     global_buffer
      - .address_space:  global
        .offset:         136
        .size:           8
        .value_kind:     global_buffer
      - .offset:         144
        .size:           4
        .value_kind:     hidden_block_count_x
      - .offset:         148
        .size:           4
        .value_kind:     hidden_block_count_y
      - .offset:         152
        .size:           4
        .value_kind:     hidden_block_count_z
      - .offset:         156
        .size:           2
        .value_kind:     hidden_group_size_x
      - .offset:         158
        .size:           2
        .value_kind:     hidden_group_size_y
      - .offset:         160
        .size:           2
        .value_kind:     hidden_group_size_z
      - .offset:         162
        .size:           2
        .value_kind:     hidden_remainder_x
      - .offset:         164
        .size:           2
        .value_kind:     hidden_remainder_y
      - .offset:         166
        .size:           2
        .value_kind:     hidden_remainder_z
      - .offset:         184
        .size:           8
        .value_kind:     hidden_global_offset_x
      - .offset:         192
        .size:           8
        .value_kind:     hidden_global_offset_y
      - .offset:         200
        .size:           8
        .value_kind:     hidden_global_offset_z
      - .offset:         208
        .size:           2
        .value_kind:     hidden_grid_dims
    .group_segment_fixed_size: 8192
    .kernarg_segment_align: 8
    .kernarg_segment_size: 400
    .language:       OpenCL C
    .language_version:
      - 2
      - 0
    .max_flat_workgroup_size: 256
    .name:           _Z39paged_attention_ll4mi_QKV_mfma16_kernelI14__hip_bfloat16S0_LN4vllm18Fp8KVCacheDataTypeE0ES0_Li16ELi64ELi256ELb0ELi9EL8MFMAType0EEvPKT_PKT0_S9_ifPKiSB_SB_iPKfiiiPfSE_PS4_PT2_iSD_SD_
    .private_segment_fixed_size: 0
    .sgpr_count:     52
    .sgpr_spill_count: 0
    .symbol:         _Z39paged_attention_ll4mi_QKV_mfma16_kernelI14__hip_bfloat16S0_LN4vllm18Fp8KVCacheDataTypeE0ES0_Li16ELi64ELi256ELb0ELi9EL8MFMAType0EEvPKT_PKT0_S9_ifPKiSB_SB_iPKfiiiPfSE_PS4_PT2_iSD_SD_.kd
    .uniform_work_group_size: 1
    .uses_dynamic_stack: false
    .vgpr_count:     67
    .vgpr_spill_count: 0
    .wavefront_size: 64
  - .agpr_count:     0
    .args:
      - .actual_access:  read_only
        .address_space:  global
        .offset:         0
        .size:           8
        .value_kind:     global_buffer
      - .actual_access:  read_only
        .address_space:  global
        .offset:         8
        .size:           8
        .value_kind:     global_buffer
      - .actual_access:  read_only
        .address_space:  global
        .offset:         16
        .size:           8
        .value_kind:     global_buffer
      - .offset:         24
        .size:           4
        .value_kind:     by_value
      - .offset:         28
        .size:           4
        .value_kind:     by_value
      - .actual_access:  read_only
        .address_space:  global
        .offset:         32
        .size:           8
        .value_kind:     global_buffer
      - .actual_access:  read_only
        .address_space:  global
        .offset:         40
        .size:           8
        .value_kind:     global_buffer
      - .actual_access:  read_only
        .address_space:  global
        .offset:         48
        .size:           8
        .value_kind:     global_buffer
      - .offset:         56
        .size:           4
        .value_kind:     by_value
      - .actual_access:  read_only
        .address_space:  global
        .offset:         64
        .size:           8
        .value_kind:     global_buffer
      - .offset:         72
        .size:           4
        .value_kind:     by_value
      - .offset:         76
        .size:           4
        .value_kind:     by_value
      - .offset:         80
        .size:           4
        .value_kind:     by_value
      - .actual_access:  write_only
        .address_space:  global
        .offset:         88
        .size:           8
        .value_kind:     global_buffer
      - .actual_access:  write_only
        .address_space:  global
        .offset:         96
        .size:           8
        .value_kind:     global_buffer
      - .actual_access:  write_only
        .address_space:  global
        .offset:         104
        .size:           8
        .value_kind:     global_buffer
      - .actual_access:  read_only
        .address_space:  global
        .offset:         112
        .size:           8
        .value_kind:     global_buffer
      - .offset:         120
        .size:           4
        .value_kind:     by_value
      - .address_space:  global
        .offset:         128
        .size:           8
        .value_kind:     global_buffer
      - .address_space:  global
        .offset:         136
        .size:           8
        .value_kind:     global_buffer
      - .offset:         144
        .size:           4
        .value_kind:     hidden_block_count_x
      - .offset:         148
        .size:           4
        .value_kind:     hidden_block_count_y
      - .offset:         152
        .size:           4
        .value_kind:     hidden_block_count_z
      - .offset:         156
        .size:           2
        .value_kind:     hidden_group_size_x
      - .offset:         158
        .size:           2
        .value_kind:     hidden_group_size_y
      - .offset:         160
        .size:           2
        .value_kind:     hidden_group_size_z
      - .offset:         162
        .size:           2
        .value_kind:     hidden_remainder_x
      - .offset:         164
        .size:           2
        .value_kind:     hidden_remainder_y
      - .offset:         166
        .size:           2
        .value_kind:     hidden_remainder_z
      - .offset:         184
        .size:           8
        .value_kind:     hidden_global_offset_x
      - .offset:         192
        .size:           8
        .value_kind:     hidden_global_offset_y
      - .offset:         200
        .size:           8
        .value_kind:     hidden_global_offset_z
      - .offset:         208
        .size:           2
        .value_kind:     hidden_grid_dims
    .group_segment_fixed_size: 8192
    .kernarg_segment_align: 8
    .kernarg_segment_size: 400
    .language:       OpenCL C
    .language_version:
      - 2
      - 0
    .max_flat_workgroup_size: 256
    .name:           _Z39paged_attention_ll4mi_QKV_mfma16_kernelI14__hip_bfloat16S0_LN4vllm18Fp8KVCacheDataTypeE0ES0_Li16ELi64ELi256ELb0ELi10EL8MFMAType0EEvPKT_PKT0_S9_ifPKiSB_SB_iPKfiiiPfSE_PS4_PT2_iSD_SD_
    .private_segment_fixed_size: 0
    .sgpr_count:     52
    .sgpr_spill_count: 0
    .symbol:         _Z39paged_attention_ll4mi_QKV_mfma16_kernelI14__hip_bfloat16S0_LN4vllm18Fp8KVCacheDataTypeE0ES0_Li16ELi64ELi256ELb0ELi10EL8MFMAType0EEvPKT_PKT0_S9_ifPKiSB_SB_iPKfiiiPfSE_PS4_PT2_iSD_SD_.kd
    .uniform_work_group_size: 1
    .uses_dynamic_stack: false
    .vgpr_count:     67
    .vgpr_spill_count: 0
    .wavefront_size: 64
  - .agpr_count:     0
    .args:
      - .actual_access:  read_only
        .address_space:  global
        .offset:         0
        .size:           8
        .value_kind:     global_buffer
      - .actual_access:  read_only
        .address_space:  global
        .offset:         8
        .size:           8
        .value_kind:     global_buffer
      - .actual_access:  read_only
        .address_space:  global
        .offset:         16
        .size:           8
        .value_kind:     global_buffer
      - .offset:         24
        .size:           4
        .value_kind:     by_value
      - .offset:         28
        .size:           4
        .value_kind:     by_value
      - .actual_access:  read_only
        .address_space:  global
        .offset:         32
        .size:           8
        .value_kind:     global_buffer
      - .actual_access:  read_only
        .address_space:  global
        .offset:         40
        .size:           8
        .value_kind:     global_buffer
      - .actual_access:  read_only
        .address_space:  global
        .offset:         48
        .size:           8
        .value_kind:     global_buffer
      - .offset:         56
        .size:           4
        .value_kind:     by_value
      - .actual_access:  read_only
        .address_space:  global
        .offset:         64
        .size:           8
        .value_kind:     global_buffer
      - .offset:         72
        .size:           4
        .value_kind:     by_value
      - .offset:         76
        .size:           4
        .value_kind:     by_value
      - .offset:         80
        .size:           4
        .value_kind:     by_value
      - .actual_access:  write_only
        .address_space:  global
        .offset:         88
        .size:           8
        .value_kind:     global_buffer
      - .actual_access:  write_only
        .address_space:  global
        .offset:         96
        .size:           8
        .value_kind:     global_buffer
      - .actual_access:  write_only
        .address_space:  global
        .offset:         104
        .size:           8
        .value_kind:     global_buffer
      - .actual_access:  read_only
        .address_space:  global
        .offset:         112
        .size:           8
        .value_kind:     global_buffer
      - .offset:         120
        .size:           4
        .value_kind:     by_value
      - .address_space:  global
        .offset:         128
        .size:           8
        .value_kind:     global_buffer
      - .address_space:  global
        .offset:         136
        .size:           8
        .value_kind:     global_buffer
      - .offset:         144
        .size:           4
        .value_kind:     hidden_block_count_x
      - .offset:         148
        .size:           4
        .value_kind:     hidden_block_count_y
      - .offset:         152
        .size:           4
        .value_kind:     hidden_block_count_z
      - .offset:         156
        .size:           2
        .value_kind:     hidden_group_size_x
      - .offset:         158
        .size:           2
        .value_kind:     hidden_group_size_y
      - .offset:         160
        .size:           2
        .value_kind:     hidden_group_size_z
      - .offset:         162
        .size:           2
        .value_kind:     hidden_remainder_x
      - .offset:         164
        .size:           2
        .value_kind:     hidden_remainder_y
      - .offset:         166
        .size:           2
        .value_kind:     hidden_remainder_z
      - .offset:         184
        .size:           8
        .value_kind:     hidden_global_offset_x
      - .offset:         192
        .size:           8
        .value_kind:     hidden_global_offset_y
      - .offset:         200
        .size:           8
        .value_kind:     hidden_global_offset_z
      - .offset:         208
        .size:           2
        .value_kind:     hidden_grid_dims
    .group_segment_fixed_size: 8192
    .kernarg_segment_align: 8
    .kernarg_segment_size: 400
    .language:       OpenCL C
    .language_version:
      - 2
      - 0
    .max_flat_workgroup_size: 256
    .name:           _Z39paged_attention_ll4mi_QKV_mfma16_kernelI14__hip_bfloat16S0_LN4vllm18Fp8KVCacheDataTypeE0ES0_Li16ELi64ELi256ELb0ELi11EL8MFMAType0EEvPKT_PKT0_S9_ifPKiSB_SB_iPKfiiiPfSE_PS4_PT2_iSD_SD_
    .private_segment_fixed_size: 0
    .sgpr_count:     52
    .sgpr_spill_count: 0
    .symbol:         _Z39paged_attention_ll4mi_QKV_mfma16_kernelI14__hip_bfloat16S0_LN4vllm18Fp8KVCacheDataTypeE0ES0_Li16ELi64ELi256ELb0ELi11EL8MFMAType0EEvPKT_PKT0_S9_ifPKiSB_SB_iPKfiiiPfSE_PS4_PT2_iSD_SD_.kd
    .uniform_work_group_size: 1
    .uses_dynamic_stack: false
    .vgpr_count:     67
    .vgpr_spill_count: 0
    .wavefront_size: 64
  - .agpr_count:     0
    .args:
      - .actual_access:  read_only
        .address_space:  global
        .offset:         0
        .size:           8
        .value_kind:     global_buffer
      - .actual_access:  read_only
        .address_space:  global
        .offset:         8
        .size:           8
        .value_kind:     global_buffer
      - .actual_access:  read_only
        .address_space:  global
        .offset:         16
        .size:           8
        .value_kind:     global_buffer
      - .offset:         24
        .size:           4
        .value_kind:     by_value
      - .offset:         28
        .size:           4
        .value_kind:     by_value
      - .actual_access:  read_only
        .address_space:  global
        .offset:         32
        .size:           8
        .value_kind:     global_buffer
      - .actual_access:  read_only
        .address_space:  global
        .offset:         40
        .size:           8
        .value_kind:     global_buffer
      - .actual_access:  read_only
        .address_space:  global
        .offset:         48
        .size:           8
        .value_kind:     global_buffer
      - .offset:         56
        .size:           4
        .value_kind:     by_value
      - .actual_access:  read_only
        .address_space:  global
        .offset:         64
        .size:           8
        .value_kind:     global_buffer
      - .offset:         72
        .size:           4
        .value_kind:     by_value
      - .offset:         76
        .size:           4
        .value_kind:     by_value
      - .offset:         80
        .size:           4
        .value_kind:     by_value
      - .actual_access:  write_only
        .address_space:  global
        .offset:         88
        .size:           8
        .value_kind:     global_buffer
      - .actual_access:  write_only
        .address_space:  global
        .offset:         96
        .size:           8
        .value_kind:     global_buffer
      - .actual_access:  write_only
        .address_space:  global
        .offset:         104
        .size:           8
        .value_kind:     global_buffer
      - .actual_access:  read_only
        .address_space:  global
        .offset:         112
        .size:           8
        .value_kind:     global_buffer
      - .offset:         120
        .size:           4
        .value_kind:     by_value
      - .address_space:  global
        .offset:         128
        .size:           8
        .value_kind:     global_buffer
      - .address_space:  global
        .offset:         136
        .size:           8
        .value_kind:     global_buffer
      - .offset:         144
        .size:           4
        .value_kind:     hidden_block_count_x
      - .offset:         148
        .size:           4
        .value_kind:     hidden_block_count_y
      - .offset:         152
        .size:           4
        .value_kind:     hidden_block_count_z
      - .offset:         156
        .size:           2
        .value_kind:     hidden_group_size_x
      - .offset:         158
        .size:           2
        .value_kind:     hidden_group_size_y
      - .offset:         160
        .size:           2
        .value_kind:     hidden_group_size_z
      - .offset:         162
        .size:           2
        .value_kind:     hidden_remainder_x
      - .offset:         164
        .size:           2
        .value_kind:     hidden_remainder_y
      - .offset:         166
        .size:           2
        .value_kind:     hidden_remainder_z
      - .offset:         184
        .size:           8
        .value_kind:     hidden_global_offset_x
      - .offset:         192
        .size:           8
        .value_kind:     hidden_global_offset_y
      - .offset:         200
        .size:           8
        .value_kind:     hidden_global_offset_z
      - .offset:         208
        .size:           2
        .value_kind:     hidden_grid_dims
    .group_segment_fixed_size: 8192
    .kernarg_segment_align: 8
    .kernarg_segment_size: 400
    .language:       OpenCL C
    .language_version:
      - 2
      - 0
    .max_flat_workgroup_size: 256
    .name:           _Z39paged_attention_ll4mi_QKV_mfma16_kernelI14__hip_bfloat16S0_LN4vllm18Fp8KVCacheDataTypeE0ES0_Li16ELi64ELi256ELb0ELi12EL8MFMAType0EEvPKT_PKT0_S9_ifPKiSB_SB_iPKfiiiPfSE_PS4_PT2_iSD_SD_
    .private_segment_fixed_size: 0
    .sgpr_count:     52
    .sgpr_spill_count: 0
    .symbol:         _Z39paged_attention_ll4mi_QKV_mfma16_kernelI14__hip_bfloat16S0_LN4vllm18Fp8KVCacheDataTypeE0ES0_Li16ELi64ELi256ELb0ELi12EL8MFMAType0EEvPKT_PKT0_S9_ifPKiSB_SB_iPKfiiiPfSE_PS4_PT2_iSD_SD_.kd
    .uniform_work_group_size: 1
    .uses_dynamic_stack: false
    .vgpr_count:     67
    .vgpr_spill_count: 0
    .wavefront_size: 64
  - .agpr_count:     0
    .args:
      - .actual_access:  read_only
        .address_space:  global
        .offset:         0
        .size:           8
        .value_kind:     global_buffer
      - .actual_access:  read_only
        .address_space:  global
        .offset:         8
        .size:           8
        .value_kind:     global_buffer
      - .actual_access:  read_only
        .address_space:  global
        .offset:         16
        .size:           8
        .value_kind:     global_buffer
      - .offset:         24
        .size:           4
        .value_kind:     by_value
      - .offset:         28
        .size:           4
        .value_kind:     by_value
      - .actual_access:  read_only
        .address_space:  global
        .offset:         32
        .size:           8
        .value_kind:     global_buffer
      - .actual_access:  read_only
        .address_space:  global
        .offset:         40
        .size:           8
        .value_kind:     global_buffer
      - .actual_access:  read_only
        .address_space:  global
        .offset:         48
        .size:           8
        .value_kind:     global_buffer
      - .offset:         56
        .size:           4
        .value_kind:     by_value
      - .actual_access:  read_only
        .address_space:  global
        .offset:         64
        .size:           8
        .value_kind:     global_buffer
      - .offset:         72
        .size:           4
        .value_kind:     by_value
      - .offset:         76
        .size:           4
        .value_kind:     by_value
      - .offset:         80
        .size:           4
        .value_kind:     by_value
      - .actual_access:  write_only
        .address_space:  global
        .offset:         88
        .size:           8
        .value_kind:     global_buffer
      - .actual_access:  write_only
        .address_space:  global
        .offset:         96
        .size:           8
        .value_kind:     global_buffer
      - .actual_access:  write_only
        .address_space:  global
        .offset:         104
        .size:           8
        .value_kind:     global_buffer
      - .actual_access:  read_only
        .address_space:  global
        .offset:         112
        .size:           8
        .value_kind:     global_buffer
      - .offset:         120
        .size:           4
        .value_kind:     by_value
      - .address_space:  global
        .offset:         128
        .size:           8
        .value_kind:     global_buffer
      - .address_space:  global
        .offset:         136
        .size:           8
        .value_kind:     global_buffer
      - .offset:         144
        .size:           4
        .value_kind:     hidden_block_count_x
      - .offset:         148
        .size:           4
        .value_kind:     hidden_block_count_y
      - .offset:         152
        .size:           4
        .value_kind:     hidden_block_count_z
      - .offset:         156
        .size:           2
        .value_kind:     hidden_group_size_x
      - .offset:         158
        .size:           2
        .value_kind:     hidden_group_size_y
      - .offset:         160
        .size:           2
        .value_kind:     hidden_group_size_z
      - .offset:         162
        .size:           2
        .value_kind:     hidden_remainder_x
      - .offset:         164
        .size:           2
        .value_kind:     hidden_remainder_y
      - .offset:         166
        .size:           2
        .value_kind:     hidden_remainder_z
      - .offset:         184
        .size:           8
        .value_kind:     hidden_global_offset_x
      - .offset:         192
        .size:           8
        .value_kind:     hidden_global_offset_y
      - .offset:         200
        .size:           8
        .value_kind:     hidden_global_offset_z
      - .offset:         208
        .size:           2
        .value_kind:     hidden_grid_dims
    .group_segment_fixed_size: 8192
    .kernarg_segment_align: 8
    .kernarg_segment_size: 400
    .language:       OpenCL C
    .language_version:
      - 2
      - 0
    .max_flat_workgroup_size: 256
    .name:           _Z39paged_attention_ll4mi_QKV_mfma16_kernelI14__hip_bfloat16S0_LN4vllm18Fp8KVCacheDataTypeE0ES0_Li16ELi64ELi256ELb0ELi13EL8MFMAType0EEvPKT_PKT0_S9_ifPKiSB_SB_iPKfiiiPfSE_PS4_PT2_iSD_SD_
    .private_segment_fixed_size: 0
    .sgpr_count:     52
    .sgpr_spill_count: 0
    .symbol:         _Z39paged_attention_ll4mi_QKV_mfma16_kernelI14__hip_bfloat16S0_LN4vllm18Fp8KVCacheDataTypeE0ES0_Li16ELi64ELi256ELb0ELi13EL8MFMAType0EEvPKT_PKT0_S9_ifPKiSB_SB_iPKfiiiPfSE_PS4_PT2_iSD_SD_.kd
    .uniform_work_group_size: 1
    .uses_dynamic_stack: false
    .vgpr_count:     67
    .vgpr_spill_count: 0
    .wavefront_size: 64
  - .agpr_count:     0
    .args:
      - .actual_access:  read_only
        .address_space:  global
        .offset:         0
        .size:           8
        .value_kind:     global_buffer
      - .actual_access:  read_only
        .address_space:  global
        .offset:         8
        .size:           8
        .value_kind:     global_buffer
      - .actual_access:  read_only
        .address_space:  global
        .offset:         16
        .size:           8
        .value_kind:     global_buffer
      - .offset:         24
        .size:           4
        .value_kind:     by_value
      - .offset:         28
        .size:           4
        .value_kind:     by_value
      - .actual_access:  read_only
        .address_space:  global
        .offset:         32
        .size:           8
        .value_kind:     global_buffer
      - .actual_access:  read_only
        .address_space:  global
        .offset:         40
        .size:           8
        .value_kind:     global_buffer
      - .actual_access:  read_only
        .address_space:  global
        .offset:         48
        .size:           8
        .value_kind:     global_buffer
      - .offset:         56
        .size:           4
        .value_kind:     by_value
      - .actual_access:  read_only
        .address_space:  global
        .offset:         64
        .size:           8
        .value_kind:     global_buffer
      - .offset:         72
        .size:           4
        .value_kind:     by_value
      - .offset:         76
        .size:           4
        .value_kind:     by_value
      - .offset:         80
        .size:           4
        .value_kind:     by_value
      - .actual_access:  write_only
        .address_space:  global
        .offset:         88
        .size:           8
        .value_kind:     global_buffer
      - .actual_access:  write_only
        .address_space:  global
        .offset:         96
        .size:           8
        .value_kind:     global_buffer
      - .actual_access:  write_only
        .address_space:  global
        .offset:         104
        .size:           8
        .value_kind:     global_buffer
      - .actual_access:  read_only
        .address_space:  global
        .offset:         112
        .size:           8
        .value_kind:     global_buffer
      - .offset:         120
        .size:           4
        .value_kind:     by_value
      - .address_space:  global
        .offset:         128
        .size:           8
        .value_kind:     global_buffer
      - .address_space:  global
        .offset:         136
        .size:           8
        .value_kind:     global_buffer
      - .offset:         144
        .size:           4
        .value_kind:     hidden_block_count_x
      - .offset:         148
        .size:           4
        .value_kind:     hidden_block_count_y
      - .offset:         152
        .size:           4
        .value_kind:     hidden_block_count_z
      - .offset:         156
        .size:           2
        .value_kind:     hidden_group_size_x
      - .offset:         158
        .size:           2
        .value_kind:     hidden_group_size_y
      - .offset:         160
        .size:           2
        .value_kind:     hidden_group_size_z
      - .offset:         162
        .size:           2
        .value_kind:     hidden_remainder_x
      - .offset:         164
        .size:           2
        .value_kind:     hidden_remainder_y
      - .offset:         166
        .size:           2
        .value_kind:     hidden_remainder_z
      - .offset:         184
        .size:           8
        .value_kind:     hidden_global_offset_x
      - .offset:         192
        .size:           8
        .value_kind:     hidden_global_offset_y
      - .offset:         200
        .size:           8
        .value_kind:     hidden_global_offset_z
      - .offset:         208
        .size:           2
        .value_kind:     hidden_grid_dims
    .group_segment_fixed_size: 8192
    .kernarg_segment_align: 8
    .kernarg_segment_size: 400
    .language:       OpenCL C
    .language_version:
      - 2
      - 0
    .max_flat_workgroup_size: 256
    .name:           _Z39paged_attention_ll4mi_QKV_mfma16_kernelI14__hip_bfloat16S0_LN4vllm18Fp8KVCacheDataTypeE0ES0_Li16ELi64ELi256ELb0ELi14EL8MFMAType0EEvPKT_PKT0_S9_ifPKiSB_SB_iPKfiiiPfSE_PS4_PT2_iSD_SD_
    .private_segment_fixed_size: 0
    .sgpr_count:     52
    .sgpr_spill_count: 0
    .symbol:         _Z39paged_attention_ll4mi_QKV_mfma16_kernelI14__hip_bfloat16S0_LN4vllm18Fp8KVCacheDataTypeE0ES0_Li16ELi64ELi256ELb0ELi14EL8MFMAType0EEvPKT_PKT0_S9_ifPKiSB_SB_iPKfiiiPfSE_PS4_PT2_iSD_SD_.kd
    .uniform_work_group_size: 1
    .uses_dynamic_stack: false
    .vgpr_count:     67
    .vgpr_spill_count: 0
    .wavefront_size: 64
  - .agpr_count:     0
    .args:
      - .actual_access:  read_only
        .address_space:  global
        .offset:         0
        .size:           8
        .value_kind:     global_buffer
      - .actual_access:  read_only
        .address_space:  global
        .offset:         8
        .size:           8
        .value_kind:     global_buffer
      - .actual_access:  read_only
        .address_space:  global
        .offset:         16
        .size:           8
        .value_kind:     global_buffer
      - .offset:         24
        .size:           4
        .value_kind:     by_value
      - .offset:         28
        .size:           4
        .value_kind:     by_value
      - .actual_access:  read_only
        .address_space:  global
        .offset:         32
        .size:           8
        .value_kind:     global_buffer
      - .actual_access:  read_only
        .address_space:  global
        .offset:         40
        .size:           8
        .value_kind:     global_buffer
      - .actual_access:  read_only
        .address_space:  global
        .offset:         48
        .size:           8
        .value_kind:     global_buffer
      - .offset:         56
        .size:           4
        .value_kind:     by_value
      - .actual_access:  read_only
        .address_space:  global
        .offset:         64
        .size:           8
        .value_kind:     global_buffer
      - .offset:         72
        .size:           4
        .value_kind:     by_value
      - .offset:         76
        .size:           4
        .value_kind:     by_value
      - .offset:         80
        .size:           4
        .value_kind:     by_value
      - .actual_access:  write_only
        .address_space:  global
        .offset:         88
        .size:           8
        .value_kind:     global_buffer
      - .actual_access:  write_only
        .address_space:  global
        .offset:         96
        .size:           8
        .value_kind:     global_buffer
      - .actual_access:  write_only
        .address_space:  global
        .offset:         104
        .size:           8
        .value_kind:     global_buffer
      - .actual_access:  read_only
        .address_space:  global
        .offset:         112
        .size:           8
        .value_kind:     global_buffer
      - .offset:         120
        .size:           4
        .value_kind:     by_value
      - .address_space:  global
        .offset:         128
        .size:           8
        .value_kind:     global_buffer
      - .address_space:  global
        .offset:         136
        .size:           8
        .value_kind:     global_buffer
      - .offset:         144
        .size:           4
        .value_kind:     hidden_block_count_x
      - .offset:         148
        .size:           4
        .value_kind:     hidden_block_count_y
      - .offset:         152
        .size:           4
        .value_kind:     hidden_block_count_z
      - .offset:         156
        .size:           2
        .value_kind:     hidden_group_size_x
      - .offset:         158
        .size:           2
        .value_kind:     hidden_group_size_y
      - .offset:         160
        .size:           2
        .value_kind:     hidden_group_size_z
      - .offset:         162
        .size:           2
        .value_kind:     hidden_remainder_x
      - .offset:         164
        .size:           2
        .value_kind:     hidden_remainder_y
      - .offset:         166
        .size:           2
        .value_kind:     hidden_remainder_z
      - .offset:         184
        .size:           8
        .value_kind:     hidden_global_offset_x
      - .offset:         192
        .size:           8
        .value_kind:     hidden_global_offset_y
      - .offset:         200
        .size:           8
        .value_kind:     hidden_global_offset_z
      - .offset:         208
        .size:           2
        .value_kind:     hidden_grid_dims
    .group_segment_fixed_size: 8192
    .kernarg_segment_align: 8
    .kernarg_segment_size: 400
    .language:       OpenCL C
    .language_version:
      - 2
      - 0
    .max_flat_workgroup_size: 256
    .name:           _Z39paged_attention_ll4mi_QKV_mfma16_kernelI14__hip_bfloat16S0_LN4vllm18Fp8KVCacheDataTypeE0ES0_Li16ELi64ELi256ELb0ELi15EL8MFMAType0EEvPKT_PKT0_S9_ifPKiSB_SB_iPKfiiiPfSE_PS4_PT2_iSD_SD_
    .private_segment_fixed_size: 0
    .sgpr_count:     52
    .sgpr_spill_count: 0
    .symbol:         _Z39paged_attention_ll4mi_QKV_mfma16_kernelI14__hip_bfloat16S0_LN4vllm18Fp8KVCacheDataTypeE0ES0_Li16ELi64ELi256ELb0ELi15EL8MFMAType0EEvPKT_PKT0_S9_ifPKiSB_SB_iPKfiiiPfSE_PS4_PT2_iSD_SD_.kd
    .uniform_work_group_size: 1
    .uses_dynamic_stack: false
    .vgpr_count:     67
    .vgpr_spill_count: 0
    .wavefront_size: 64
  - .agpr_count:     0
    .args:
      - .actual_access:  read_only
        .address_space:  global
        .offset:         0
        .size:           8
        .value_kind:     global_buffer
      - .actual_access:  read_only
        .address_space:  global
        .offset:         8
        .size:           8
        .value_kind:     global_buffer
      - .actual_access:  read_only
        .address_space:  global
        .offset:         16
        .size:           8
        .value_kind:     global_buffer
      - .offset:         24
        .size:           4
        .value_kind:     by_value
      - .offset:         28
        .size:           4
        .value_kind:     by_value
      - .actual_access:  read_only
        .address_space:  global
        .offset:         32
        .size:           8
        .value_kind:     global_buffer
      - .actual_access:  read_only
        .address_space:  global
        .offset:         40
        .size:           8
        .value_kind:     global_buffer
      - .actual_access:  read_only
        .address_space:  global
        .offset:         48
        .size:           8
        .value_kind:     global_buffer
      - .offset:         56
        .size:           4
        .value_kind:     by_value
      - .actual_access:  read_only
        .address_space:  global
        .offset:         64
        .size:           8
        .value_kind:     global_buffer
      - .offset:         72
        .size:           4
        .value_kind:     by_value
      - .offset:         76
        .size:           4
        .value_kind:     by_value
      - .offset:         80
        .size:           4
        .value_kind:     by_value
      - .actual_access:  write_only
        .address_space:  global
        .offset:         88
        .size:           8
        .value_kind:     global_buffer
      - .actual_access:  write_only
        .address_space:  global
        .offset:         96
        .size:           8
        .value_kind:     global_buffer
      - .actual_access:  write_only
        .address_space:  global
        .offset:         104
        .size:           8
        .value_kind:     global_buffer
      - .actual_access:  read_only
        .address_space:  global
        .offset:         112
        .size:           8
        .value_kind:     global_buffer
      - .offset:         120
        .size:           4
        .value_kind:     by_value
      - .address_space:  global
        .offset:         128
        .size:           8
        .value_kind:     global_buffer
      - .address_space:  global
        .offset:         136
        .size:           8
        .value_kind:     global_buffer
      - .offset:         144
        .size:           4
        .value_kind:     hidden_block_count_x
      - .offset:         148
        .size:           4
        .value_kind:     hidden_block_count_y
      - .offset:         152
        .size:           4
        .value_kind:     hidden_block_count_z
      - .offset:         156
        .size:           2
        .value_kind:     hidden_group_size_x
      - .offset:         158
        .size:           2
        .value_kind:     hidden_group_size_y
      - .offset:         160
        .size:           2
        .value_kind:     hidden_group_size_z
      - .offset:         162
        .size:           2
        .value_kind:     hidden_remainder_x
      - .offset:         164
        .size:           2
        .value_kind:     hidden_remainder_y
      - .offset:         166
        .size:           2
        .value_kind:     hidden_remainder_z
      - .offset:         184
        .size:           8
        .value_kind:     hidden_global_offset_x
      - .offset:         192
        .size:           8
        .value_kind:     hidden_global_offset_y
      - .offset:         200
        .size:           8
        .value_kind:     hidden_global_offset_z
      - .offset:         208
        .size:           2
        .value_kind:     hidden_grid_dims
    .group_segment_fixed_size: 8192
    .kernarg_segment_align: 8
    .kernarg_segment_size: 400
    .language:       OpenCL C
    .language_version:
      - 2
      - 0
    .max_flat_workgroup_size: 256
    .name:           _Z39paged_attention_ll4mi_QKV_mfma16_kernelI14__hip_bfloat16S0_LN4vllm18Fp8KVCacheDataTypeE0ES0_Li16ELi64ELi256ELb0ELi16EL8MFMAType0EEvPKT_PKT0_S9_ifPKiSB_SB_iPKfiiiPfSE_PS4_PT2_iSD_SD_
    .private_segment_fixed_size: 0
    .sgpr_count:     52
    .sgpr_spill_count: 0
    .symbol:         _Z39paged_attention_ll4mi_QKV_mfma16_kernelI14__hip_bfloat16S0_LN4vllm18Fp8KVCacheDataTypeE0ES0_Li16ELi64ELi256ELb0ELi16EL8MFMAType0EEvPKT_PKT0_S9_ifPKiSB_SB_iPKfiiiPfSE_PS4_PT2_iSD_SD_.kd
    .uniform_work_group_size: 1
    .uses_dynamic_stack: false
    .vgpr_count:     67
    .vgpr_spill_count: 0
    .wavefront_size: 64
  - .agpr_count:     0
    .args:
      - .actual_access:  read_only
        .address_space:  global
        .offset:         0
        .size:           8
        .value_kind:     global_buffer
      - .actual_access:  read_only
        .address_space:  global
        .offset:         8
        .size:           8
        .value_kind:     global_buffer
      - .actual_access:  read_only
        .address_space:  global
        .offset:         16
        .size:           8
        .value_kind:     global_buffer
      - .offset:         24
        .size:           4
        .value_kind:     by_value
      - .offset:         28
        .size:           4
        .value_kind:     by_value
      - .actual_access:  read_only
        .address_space:  global
        .offset:         32
        .size:           8
        .value_kind:     global_buffer
      - .actual_access:  read_only
        .address_space:  global
        .offset:         40
        .size:           8
        .value_kind:     global_buffer
      - .actual_access:  read_only
        .address_space:  global
        .offset:         48
        .size:           8
        .value_kind:     global_buffer
      - .offset:         56
        .size:           4
        .value_kind:     by_value
      - .actual_access:  read_only
        .address_space:  global
        .offset:         64
        .size:           8
        .value_kind:     global_buffer
      - .offset:         72
        .size:           4
        .value_kind:     by_value
      - .offset:         76
        .size:           4
        .value_kind:     by_value
      - .offset:         80
        .size:           4
        .value_kind:     by_value
      - .actual_access:  write_only
        .address_space:  global
        .offset:         88
        .size:           8
        .value_kind:     global_buffer
      - .actual_access:  write_only
        .address_space:  global
        .offset:         96
        .size:           8
        .value_kind:     global_buffer
      - .actual_access:  write_only
        .address_space:  global
        .offset:         104
        .size:           8
        .value_kind:     global_buffer
      - .actual_access:  read_only
        .address_space:  global
        .offset:         112
        .size:           8
        .value_kind:     global_buffer
      - .offset:         120
        .size:           4
        .value_kind:     by_value
      - .address_space:  global
        .offset:         128
        .size:           8
        .value_kind:     global_buffer
      - .address_space:  global
        .offset:         136
        .size:           8
        .value_kind:     global_buffer
      - .offset:         144
        .size:           4
        .value_kind:     hidden_block_count_x
      - .offset:         148
        .size:           4
        .value_kind:     hidden_block_count_y
      - .offset:         152
        .size:           4
        .value_kind:     hidden_block_count_z
      - .offset:         156
        .size:           2
        .value_kind:     hidden_group_size_x
      - .offset:         158
        .size:           2
        .value_kind:     hidden_group_size_y
      - .offset:         160
        .size:           2
        .value_kind:     hidden_group_size_z
      - .offset:         162
        .size:           2
        .value_kind:     hidden_remainder_x
      - .offset:         164
        .size:           2
        .value_kind:     hidden_remainder_y
      - .offset:         166
        .size:           2
        .value_kind:     hidden_remainder_z
      - .offset:         184
        .size:           8
        .value_kind:     hidden_global_offset_x
      - .offset:         192
        .size:           8
        .value_kind:     hidden_global_offset_y
      - .offset:         200
        .size:           8
        .value_kind:     hidden_global_offset_z
      - .offset:         208
        .size:           2
        .value_kind:     hidden_grid_dims
    .group_segment_fixed_size: 8192
    .kernarg_segment_align: 8
    .kernarg_segment_size: 400
    .language:       OpenCL C
    .language_version:
      - 2
      - 0
    .max_flat_workgroup_size: 256
    .name:           _Z39paged_attention_ll4mi_QKV_mfma16_kernelI14__hip_bfloat16S0_LN4vllm18Fp8KVCacheDataTypeE0ES0_Li16ELi64ELi256ELb0ELi1EL8MFMAType0EEvPKT_PKT0_S9_ifPKiSB_SB_iPKfiiiPfSE_PS4_PT2_iSD_SD_
    .private_segment_fixed_size: 0
    .sgpr_count:     52
    .sgpr_spill_count: 0
    .symbol:         _Z39paged_attention_ll4mi_QKV_mfma16_kernelI14__hip_bfloat16S0_LN4vllm18Fp8KVCacheDataTypeE0ES0_Li16ELi64ELi256ELb0ELi1EL8MFMAType0EEvPKT_PKT0_S9_ifPKiSB_SB_iPKfiiiPfSE_PS4_PT2_iSD_SD_.kd
    .uniform_work_group_size: 1
    .uses_dynamic_stack: false
    .vgpr_count:     67
    .vgpr_spill_count: 0
    .wavefront_size: 64
  - .agpr_count:     0
    .args:
      - .actual_access:  read_only
        .address_space:  global
        .offset:         0
        .size:           8
        .value_kind:     global_buffer
      - .actual_access:  read_only
        .address_space:  global
        .offset:         8
        .size:           8
        .value_kind:     global_buffer
      - .actual_access:  read_only
        .address_space:  global
        .offset:         16
        .size:           8
        .value_kind:     global_buffer
      - .offset:         24
        .size:           4
        .value_kind:     by_value
      - .offset:         28
        .size:           4
        .value_kind:     by_value
      - .actual_access:  read_only
        .address_space:  global
        .offset:         32
        .size:           8
        .value_kind:     global_buffer
      - .actual_access:  read_only
        .address_space:  global
        .offset:         40
        .size:           8
        .value_kind:     global_buffer
      - .actual_access:  read_only
        .address_space:  global
        .offset:         48
        .size:           8
        .value_kind:     global_buffer
      - .offset:         56
        .size:           4
        .value_kind:     by_value
      - .actual_access:  read_only
        .address_space:  global
        .offset:         64
        .size:           8
        .value_kind:     global_buffer
      - .offset:         72
        .size:           4
        .value_kind:     by_value
      - .offset:         76
        .size:           4
        .value_kind:     by_value
      - .offset:         80
        .size:           4
        .value_kind:     by_value
      - .actual_access:  write_only
        .address_space:  global
        .offset:         88
        .size:           8
        .value_kind:     global_buffer
      - .actual_access:  write_only
        .address_space:  global
        .offset:         96
        .size:           8
        .value_kind:     global_buffer
      - .actual_access:  write_only
        .address_space:  global
        .offset:         104
        .size:           8
        .value_kind:     global_buffer
      - .actual_access:  read_only
        .address_space:  global
        .offset:         112
        .size:           8
        .value_kind:     global_buffer
      - .offset:         120
        .size:           4
        .value_kind:     by_value
      - .address_space:  global
        .offset:         128
        .size:           8
        .value_kind:     global_buffer
      - .address_space:  global
        .offset:         136
        .size:           8
        .value_kind:     global_buffer
      - .offset:         144
        .size:           4
        .value_kind:     hidden_block_count_x
      - .offset:         148
        .size:           4
        .value_kind:     hidden_block_count_y
      - .offset:         152
        .size:           4
        .value_kind:     hidden_block_count_z
      - .offset:         156
        .size:           2
        .value_kind:     hidden_group_size_x
      - .offset:         158
        .size:           2
        .value_kind:     hidden_group_size_y
      - .offset:         160
        .size:           2
        .value_kind:     hidden_group_size_z
      - .offset:         162
        .size:           2
        .value_kind:     hidden_remainder_x
      - .offset:         164
        .size:           2
        .value_kind:     hidden_remainder_y
      - .offset:         166
        .size:           2
        .value_kind:     hidden_remainder_z
      - .offset:         184
        .size:           8
        .value_kind:     hidden_global_offset_x
      - .offset:         192
        .size:           8
        .value_kind:     hidden_global_offset_y
      - .offset:         200
        .size:           8
        .value_kind:     hidden_global_offset_z
      - .offset:         208
        .size:           2
        .value_kind:     hidden_grid_dims
    .group_segment_fixed_size: 8192
    .kernarg_segment_align: 8
    .kernarg_segment_size: 400
    .language:       OpenCL C
    .language_version:
      - 2
      - 0
    .max_flat_workgroup_size: 256
    .name:           _Z39paged_attention_ll4mi_QKV_mfma16_kernelI14__hip_bfloat16S0_LN4vllm18Fp8KVCacheDataTypeE0ES0_Li16ELi64ELi256ELb0ELi2EL8MFMAType0EEvPKT_PKT0_S9_ifPKiSB_SB_iPKfiiiPfSE_PS4_PT2_iSD_SD_
    .private_segment_fixed_size: 0
    .sgpr_count:     52
    .sgpr_spill_count: 0
    .symbol:         _Z39paged_attention_ll4mi_QKV_mfma16_kernelI14__hip_bfloat16S0_LN4vllm18Fp8KVCacheDataTypeE0ES0_Li16ELi64ELi256ELb0ELi2EL8MFMAType0EEvPKT_PKT0_S9_ifPKiSB_SB_iPKfiiiPfSE_PS4_PT2_iSD_SD_.kd
    .uniform_work_group_size: 1
    .uses_dynamic_stack: false
    .vgpr_count:     67
    .vgpr_spill_count: 0
    .wavefront_size: 64
  - .agpr_count:     0
    .args:
      - .actual_access:  read_only
        .address_space:  global
        .offset:         0
        .size:           8
        .value_kind:     global_buffer
      - .actual_access:  read_only
        .address_space:  global
        .offset:         8
        .size:           8
        .value_kind:     global_buffer
      - .actual_access:  read_only
        .address_space:  global
        .offset:         16
        .size:           8
        .value_kind:     global_buffer
      - .offset:         24
        .size:           4
        .value_kind:     by_value
      - .offset:         28
        .size:           4
        .value_kind:     by_value
      - .actual_access:  read_only
        .address_space:  global
        .offset:         32
        .size:           8
        .value_kind:     global_buffer
      - .actual_access:  read_only
        .address_space:  global
        .offset:         40
        .size:           8
        .value_kind:     global_buffer
      - .actual_access:  read_only
        .address_space:  global
        .offset:         48
        .size:           8
        .value_kind:     global_buffer
      - .offset:         56
        .size:           4
        .value_kind:     by_value
      - .actual_access:  read_only
        .address_space:  global
        .offset:         64
        .size:           8
        .value_kind:     global_buffer
      - .offset:         72
        .size:           4
        .value_kind:     by_value
      - .offset:         76
        .size:           4
        .value_kind:     by_value
      - .offset:         80
        .size:           4
        .value_kind:     by_value
      - .actual_access:  write_only
        .address_space:  global
        .offset:         88
        .size:           8
        .value_kind:     global_buffer
      - .actual_access:  write_only
        .address_space:  global
        .offset:         96
        .size:           8
        .value_kind:     global_buffer
      - .actual_access:  write_only
        .address_space:  global
        .offset:         104
        .size:           8
        .value_kind:     global_buffer
      - .actual_access:  read_only
        .address_space:  global
        .offset:         112
        .size:           8
        .value_kind:     global_buffer
      - .offset:         120
        .size:           4
        .value_kind:     by_value
      - .address_space:  global
        .offset:         128
        .size:           8
        .value_kind:     global_buffer
      - .address_space:  global
        .offset:         136
        .size:           8
        .value_kind:     global_buffer
      - .offset:         144
        .size:           4
        .value_kind:     hidden_block_count_x
      - .offset:         148
        .size:           4
        .value_kind:     hidden_block_count_y
      - .offset:         152
        .size:           4
        .value_kind:     hidden_block_count_z
      - .offset:         156
        .size:           2
        .value_kind:     hidden_group_size_x
      - .offset:         158
        .size:           2
        .value_kind:     hidden_group_size_y
      - .offset:         160
        .size:           2
        .value_kind:     hidden_group_size_z
      - .offset:         162
        .size:           2
        .value_kind:     hidden_remainder_x
      - .offset:         164
        .size:           2
        .value_kind:     hidden_remainder_y
      - .offset:         166
        .size:           2
        .value_kind:     hidden_remainder_z
      - .offset:         184
        .size:           8
        .value_kind:     hidden_global_offset_x
      - .offset:         192
        .size:           8
        .value_kind:     hidden_global_offset_y
      - .offset:         200
        .size:           8
        .value_kind:     hidden_global_offset_z
      - .offset:         208
        .size:           2
        .value_kind:     hidden_grid_dims
    .group_segment_fixed_size: 8192
    .kernarg_segment_align: 8
    .kernarg_segment_size: 400
    .language:       OpenCL C
    .language_version:
      - 2
      - 0
    .max_flat_workgroup_size: 256
    .name:           _Z39paged_attention_ll4mi_QKV_mfma16_kernelI14__hip_bfloat16S0_LN4vllm18Fp8KVCacheDataTypeE0ES0_Li16ELi64ELi256ELb0ELi3EL8MFMAType0EEvPKT_PKT0_S9_ifPKiSB_SB_iPKfiiiPfSE_PS4_PT2_iSD_SD_
    .private_segment_fixed_size: 0
    .sgpr_count:     52
    .sgpr_spill_count: 0
    .symbol:         _Z39paged_attention_ll4mi_QKV_mfma16_kernelI14__hip_bfloat16S0_LN4vllm18Fp8KVCacheDataTypeE0ES0_Li16ELi64ELi256ELb0ELi3EL8MFMAType0EEvPKT_PKT0_S9_ifPKiSB_SB_iPKfiiiPfSE_PS4_PT2_iSD_SD_.kd
    .uniform_work_group_size: 1
    .uses_dynamic_stack: false
    .vgpr_count:     68
    .vgpr_spill_count: 0
    .wavefront_size: 64
  - .agpr_count:     0
    .args:
      - .actual_access:  read_only
        .address_space:  global
        .offset:         0
        .size:           8
        .value_kind:     global_buffer
      - .actual_access:  read_only
        .address_space:  global
        .offset:         8
        .size:           8
        .value_kind:     global_buffer
      - .actual_access:  read_only
        .address_space:  global
        .offset:         16
        .size:           8
        .value_kind:     global_buffer
      - .offset:         24
        .size:           4
        .value_kind:     by_value
      - .offset:         28
        .size:           4
        .value_kind:     by_value
      - .actual_access:  read_only
        .address_space:  global
        .offset:         32
        .size:           8
        .value_kind:     global_buffer
      - .actual_access:  read_only
        .address_space:  global
        .offset:         40
        .size:           8
        .value_kind:     global_buffer
      - .actual_access:  read_only
        .address_space:  global
        .offset:         48
        .size:           8
        .value_kind:     global_buffer
      - .offset:         56
        .size:           4
        .value_kind:     by_value
      - .actual_access:  read_only
        .address_space:  global
        .offset:         64
        .size:           8
        .value_kind:     global_buffer
      - .offset:         72
        .size:           4
        .value_kind:     by_value
      - .offset:         76
        .size:           4
        .value_kind:     by_value
      - .offset:         80
        .size:           4
        .value_kind:     by_value
      - .actual_access:  write_only
        .address_space:  global
        .offset:         88
        .size:           8
        .value_kind:     global_buffer
      - .actual_access:  write_only
        .address_space:  global
        .offset:         96
        .size:           8
        .value_kind:     global_buffer
      - .actual_access:  write_only
        .address_space:  global
        .offset:         104
        .size:           8
        .value_kind:     global_buffer
      - .actual_access:  read_only
        .address_space:  global
        .offset:         112
        .size:           8
        .value_kind:     global_buffer
      - .offset:         120
        .size:           4
        .value_kind:     by_value
      - .address_space:  global
        .offset:         128
        .size:           8
        .value_kind:     global_buffer
      - .address_space:  global
        .offset:         136
        .size:           8
        .value_kind:     global_buffer
      - .offset:         144
        .size:           4
        .value_kind:     hidden_block_count_x
      - .offset:         148
        .size:           4
        .value_kind:     hidden_block_count_y
      - .offset:         152
        .size:           4
        .value_kind:     hidden_block_count_z
      - .offset:         156
        .size:           2
        .value_kind:     hidden_group_size_x
      - .offset:         158
        .size:           2
        .value_kind:     hidden_group_size_y
      - .offset:         160
        .size:           2
        .value_kind:     hidden_group_size_z
      - .offset:         162
        .size:           2
        .value_kind:     hidden_remainder_x
      - .offset:         164
        .size:           2
        .value_kind:     hidden_remainder_y
      - .offset:         166
        .size:           2
        .value_kind:     hidden_remainder_z
      - .offset:         184
        .size:           8
        .value_kind:     hidden_global_offset_x
      - .offset:         192
        .size:           8
        .value_kind:     hidden_global_offset_y
      - .offset:         200
        .size:           8
        .value_kind:     hidden_global_offset_z
      - .offset:         208
        .size:           2
        .value_kind:     hidden_grid_dims
    .group_segment_fixed_size: 8192
    .kernarg_segment_align: 8
    .kernarg_segment_size: 400
    .language:       OpenCL C
    .language_version:
      - 2
      - 0
    .max_flat_workgroup_size: 256
    .name:           _Z39paged_attention_ll4mi_QKV_mfma16_kernelI14__hip_bfloat16S0_LN4vllm18Fp8KVCacheDataTypeE0ES0_Li16ELi64ELi256ELb0ELi4EL8MFMAType0EEvPKT_PKT0_S9_ifPKiSB_SB_iPKfiiiPfSE_PS4_PT2_iSD_SD_
    .private_segment_fixed_size: 0
    .sgpr_count:     50
    .sgpr_spill_count: 0
    .symbol:         _Z39paged_attention_ll4mi_QKV_mfma16_kernelI14__hip_bfloat16S0_LN4vllm18Fp8KVCacheDataTypeE0ES0_Li16ELi64ELi256ELb0ELi4EL8MFMAType0EEvPKT_PKT0_S9_ifPKiSB_SB_iPKfiiiPfSE_PS4_PT2_iSD_SD_.kd
    .uniform_work_group_size: 1
    .uses_dynamic_stack: false
    .vgpr_count:     68
    .vgpr_spill_count: 0
    .wavefront_size: 64
  - .agpr_count:     4
    .args:
      - .actual_access:  read_only
        .address_space:  global
        .offset:         0
        .size:           8
        .value_kind:     global_buffer
      - .actual_access:  read_only
        .address_space:  global
        .offset:         8
        .size:           8
        .value_kind:     global_buffer
      - .actual_access:  read_only
        .address_space:  global
        .offset:         16
        .size:           8
        .value_kind:     global_buffer
      - .offset:         24
        .size:           4
        .value_kind:     by_value
      - .offset:         28
        .size:           4
        .value_kind:     by_value
      - .actual_access:  read_only
        .address_space:  global
        .offset:         32
        .size:           8
        .value_kind:     global_buffer
      - .actual_access:  read_only
        .address_space:  global
        .offset:         40
        .size:           8
        .value_kind:     global_buffer
      - .actual_access:  read_only
        .address_space:  global
        .offset:         48
        .size:           8
        .value_kind:     global_buffer
      - .offset:         56
        .size:           4
        .value_kind:     by_value
      - .actual_access:  read_only
        .address_space:  global
        .offset:         64
        .size:           8
        .value_kind:     global_buffer
      - .offset:         72
        .size:           4
        .value_kind:     by_value
      - .offset:         76
        .size:           4
        .value_kind:     by_value
      - .offset:         80
        .size:           4
        .value_kind:     by_value
      - .actual_access:  write_only
        .address_space:  global
        .offset:         88
        .size:           8
        .value_kind:     global_buffer
      - .actual_access:  write_only
        .address_space:  global
        .offset:         96
        .size:           8
        .value_kind:     global_buffer
      - .actual_access:  write_only
        .address_space:  global
        .offset:         104
        .size:           8
        .value_kind:     global_buffer
      - .actual_access:  read_only
        .address_space:  global
        .offset:         112
        .size:           8
        .value_kind:     global_buffer
      - .offset:         120
        .size:           4
        .value_kind:     by_value
      - .address_space:  global
        .offset:         128
        .size:           8
        .value_kind:     global_buffer
      - .address_space:  global
        .offset:         136
        .size:           8
        .value_kind:     global_buffer
      - .offset:         144
        .size:           4
        .value_kind:     hidden_block_count_x
      - .offset:         148
        .size:           4
        .value_kind:     hidden_block_count_y
      - .offset:         152
        .size:           4
        .value_kind:     hidden_block_count_z
      - .offset:         156
        .size:           2
        .value_kind:     hidden_group_size_x
      - .offset:         158
        .size:           2
        .value_kind:     hidden_group_size_y
      - .offset:         160
        .size:           2
        .value_kind:     hidden_group_size_z
      - .offset:         162
        .size:           2
        .value_kind:     hidden_remainder_x
      - .offset:         164
        .size:           2
        .value_kind:     hidden_remainder_y
      - .offset:         166
        .size:           2
        .value_kind:     hidden_remainder_z
      - .offset:         184
        .size:           8
        .value_kind:     hidden_global_offset_x
      - .offset:         192
        .size:           8
        .value_kind:     hidden_global_offset_y
      - .offset:         200
        .size:           8
        .value_kind:     hidden_global_offset_z
      - .offset:         208
        .size:           2
        .value_kind:     hidden_grid_dims
    .group_segment_fixed_size: 2720
    .kernarg_segment_align: 8
    .kernarg_segment_size: 400
    .language:       OpenCL C
    .language_version:
      - 2
      - 0
    .max_flat_workgroup_size: 256
    .name:           _Z38paged_attention_ll4mi_QKV_mfma4_kernelI14__hip_bfloat16S0_LN4vllm18Fp8KVCacheDataTypeE0ES0_Li32ELi64ELi256ELb1ELi1EEvPKT_PKT0_S8_ifPKiSA_SA_iPKfiiiPfSD_PS3_PT2_iSC_SC_
    .private_segment_fixed_size: 0
    .sgpr_count:     42
    .sgpr_spill_count: 0
    .symbol:         _Z38paged_attention_ll4mi_QKV_mfma4_kernelI14__hip_bfloat16S0_LN4vllm18Fp8KVCacheDataTypeE0ES0_Li32ELi64ELi256ELb1ELi1EEvPKT_PKT0_S8_ifPKiSA_SA_iPKfiiiPfSD_PS3_PT2_iSC_SC_.kd
    .uniform_work_group_size: 1
    .uses_dynamic_stack: false
    .vgpr_count:     60
    .vgpr_spill_count: 0
    .wavefront_size: 64
  - .agpr_count:     4
    .args:
      - .actual_access:  read_only
        .address_space:  global
        .offset:         0
        .size:           8
        .value_kind:     global_buffer
      - .actual_access:  read_only
        .address_space:  global
        .offset:         8
        .size:           8
        .value_kind:     global_buffer
      - .actual_access:  read_only
        .address_space:  global
        .offset:         16
        .size:           8
        .value_kind:     global_buffer
      - .offset:         24
        .size:           4
        .value_kind:     by_value
      - .offset:         28
        .size:           4
        .value_kind:     by_value
      - .actual_access:  read_only
        .address_space:  global
        .offset:         32
        .size:           8
        .value_kind:     global_buffer
      - .actual_access:  read_only
        .address_space:  global
        .offset:         40
        .size:           8
        .value_kind:     global_buffer
      - .actual_access:  read_only
        .address_space:  global
        .offset:         48
        .size:           8
        .value_kind:     global_buffer
      - .offset:         56
        .size:           4
        .value_kind:     by_value
      - .actual_access:  read_only
        .address_space:  global
        .offset:         64
        .size:           8
        .value_kind:     global_buffer
      - .offset:         72
        .size:           4
        .value_kind:     by_value
      - .offset:         76
        .size:           4
        .value_kind:     by_value
      - .offset:         80
        .size:           4
        .value_kind:     by_value
      - .actual_access:  write_only
        .address_space:  global
        .offset:         88
        .size:           8
        .value_kind:     global_buffer
      - .actual_access:  write_only
        .address_space:  global
        .offset:         96
        .size:           8
        .value_kind:     global_buffer
      - .actual_access:  write_only
        .address_space:  global
        .offset:         104
        .size:           8
        .value_kind:     global_buffer
      - .actual_access:  read_only
        .address_space:  global
        .offset:         112
        .size:           8
        .value_kind:     global_buffer
      - .offset:         120
        .size:           4
        .value_kind:     by_value
      - .address_space:  global
        .offset:         128
        .size:           8
        .value_kind:     global_buffer
      - .address_space:  global
        .offset:         136
        .size:           8
        .value_kind:     global_buffer
      - .offset:         144
        .size:           4
        .value_kind:     hidden_block_count_x
      - .offset:         148
        .size:           4
        .value_kind:     hidden_block_count_y
      - .offset:         152
        .size:           4
        .value_kind:     hidden_block_count_z
      - .offset:         156
        .size:           2
        .value_kind:     hidden_group_size_x
      - .offset:         158
        .size:           2
        .value_kind:     hidden_group_size_y
      - .offset:         160
        .size:           2
        .value_kind:     hidden_group_size_z
      - .offset:         162
        .size:           2
        .value_kind:     hidden_remainder_x
      - .offset:         164
        .size:           2
        .value_kind:     hidden_remainder_y
      - .offset:         166
        .size:           2
        .value_kind:     hidden_remainder_z
      - .offset:         184
        .size:           8
        .value_kind:     hidden_global_offset_x
      - .offset:         192
        .size:           8
        .value_kind:     hidden_global_offset_y
      - .offset:         200
        .size:           8
        .value_kind:     hidden_global_offset_z
      - .offset:         208
        .size:           2
        .value_kind:     hidden_grid_dims
    .group_segment_fixed_size: 2720
    .kernarg_segment_align: 8
    .kernarg_segment_size: 400
    .language:       OpenCL C
    .language_version:
      - 2
      - 0
    .max_flat_workgroup_size: 256
    .name:           _Z38paged_attention_ll4mi_QKV_mfma4_kernelI14__hip_bfloat16S0_LN4vllm18Fp8KVCacheDataTypeE0ES0_Li32ELi64ELi256ELb1ELi2EEvPKT_PKT0_S8_ifPKiSA_SA_iPKfiiiPfSD_PS3_PT2_iSC_SC_
    .private_segment_fixed_size: 0
    .sgpr_count:     42
    .sgpr_spill_count: 0
    .symbol:         _Z38paged_attention_ll4mi_QKV_mfma4_kernelI14__hip_bfloat16S0_LN4vllm18Fp8KVCacheDataTypeE0ES0_Li32ELi64ELi256ELb1ELi2EEvPKT_PKT0_S8_ifPKiSA_SA_iPKfiiiPfSD_PS3_PT2_iSC_SC_.kd
    .uniform_work_group_size: 1
    .uses_dynamic_stack: false
    .vgpr_count:     60
    .vgpr_spill_count: 0
    .wavefront_size: 64
  - .agpr_count:     4
    .args:
      - .actual_access:  read_only
        .address_space:  global
        .offset:         0
        .size:           8
        .value_kind:     global_buffer
      - .actual_access:  read_only
        .address_space:  global
        .offset:         8
        .size:           8
        .value_kind:     global_buffer
      - .actual_access:  read_only
        .address_space:  global
        .offset:         16
        .size:           8
        .value_kind:     global_buffer
      - .offset:         24
        .size:           4
        .value_kind:     by_value
      - .offset:         28
        .size:           4
        .value_kind:     by_value
      - .actual_access:  read_only
        .address_space:  global
        .offset:         32
        .size:           8
        .value_kind:     global_buffer
      - .actual_access:  read_only
        .address_space:  global
        .offset:         40
        .size:           8
        .value_kind:     global_buffer
      - .actual_access:  read_only
        .address_space:  global
        .offset:         48
        .size:           8
        .value_kind:     global_buffer
      - .offset:         56
        .size:           4
        .value_kind:     by_value
      - .actual_access:  read_only
        .address_space:  global
        .offset:         64
        .size:           8
        .value_kind:     global_buffer
      - .offset:         72
        .size:           4
        .value_kind:     by_value
      - .offset:         76
        .size:           4
        .value_kind:     by_value
      - .offset:         80
        .size:           4
        .value_kind:     by_value
      - .actual_access:  write_only
        .address_space:  global
        .offset:         88
        .size:           8
        .value_kind:     global_buffer
      - .actual_access:  write_only
        .address_space:  global
        .offset:         96
        .size:           8
        .value_kind:     global_buffer
      - .actual_access:  write_only
        .address_space:  global
        .offset:         104
        .size:           8
        .value_kind:     global_buffer
      - .actual_access:  read_only
        .address_space:  global
        .offset:         112
        .size:           8
        .value_kind:     global_buffer
      - .offset:         120
        .size:           4
        .value_kind:     by_value
      - .address_space:  global
        .offset:         128
        .size:           8
        .value_kind:     global_buffer
      - .address_space:  global
        .offset:         136
        .size:           8
        .value_kind:     global_buffer
      - .offset:         144
        .size:           4
        .value_kind:     hidden_block_count_x
      - .offset:         148
        .size:           4
        .value_kind:     hidden_block_count_y
      - .offset:         152
        .size:           4
        .value_kind:     hidden_block_count_z
      - .offset:         156
        .size:           2
        .value_kind:     hidden_group_size_x
      - .offset:         158
        .size:           2
        .value_kind:     hidden_group_size_y
      - .offset:         160
        .size:           2
        .value_kind:     hidden_group_size_z
      - .offset:         162
        .size:           2
        .value_kind:     hidden_remainder_x
      - .offset:         164
        .size:           2
        .value_kind:     hidden_remainder_y
      - .offset:         166
        .size:           2
        .value_kind:     hidden_remainder_z
      - .offset:         184
        .size:           8
        .value_kind:     hidden_global_offset_x
      - .offset:         192
        .size:           8
        .value_kind:     hidden_global_offset_y
      - .offset:         200
        .size:           8
        .value_kind:     hidden_global_offset_z
      - .offset:         208
        .size:           2
        .value_kind:     hidden_grid_dims
    .group_segment_fixed_size: 2720
    .kernarg_segment_align: 8
    .kernarg_segment_size: 400
    .language:       OpenCL C
    .language_version:
      - 2
      - 0
    .max_flat_workgroup_size: 256
    .name:           _Z38paged_attention_ll4mi_QKV_mfma4_kernelI14__hip_bfloat16S0_LN4vllm18Fp8KVCacheDataTypeE0ES0_Li32ELi64ELi256ELb1ELi3EEvPKT_PKT0_S8_ifPKiSA_SA_iPKfiiiPfSD_PS3_PT2_iSC_SC_
    .private_segment_fixed_size: 0
    .sgpr_count:     42
    .sgpr_spill_count: 0
    .symbol:         _Z38paged_attention_ll4mi_QKV_mfma4_kernelI14__hip_bfloat16S0_LN4vllm18Fp8KVCacheDataTypeE0ES0_Li32ELi64ELi256ELb1ELi3EEvPKT_PKT0_S8_ifPKiSA_SA_iPKfiiiPfSD_PS3_PT2_iSC_SC_.kd
    .uniform_work_group_size: 1
    .uses_dynamic_stack: false
    .vgpr_count:     60
    .vgpr_spill_count: 0
    .wavefront_size: 64
  - .agpr_count:     4
    .args:
      - .actual_access:  read_only
        .address_space:  global
        .offset:         0
        .size:           8
        .value_kind:     global_buffer
      - .actual_access:  read_only
        .address_space:  global
        .offset:         8
        .size:           8
        .value_kind:     global_buffer
      - .actual_access:  read_only
        .address_space:  global
        .offset:         16
        .size:           8
        .value_kind:     global_buffer
      - .offset:         24
        .size:           4
        .value_kind:     by_value
      - .offset:         28
        .size:           4
        .value_kind:     by_value
      - .actual_access:  read_only
        .address_space:  global
        .offset:         32
        .size:           8
        .value_kind:     global_buffer
      - .actual_access:  read_only
        .address_space:  global
        .offset:         40
        .size:           8
        .value_kind:     global_buffer
      - .actual_access:  read_only
        .address_space:  global
        .offset:         48
        .size:           8
        .value_kind:     global_buffer
      - .offset:         56
        .size:           4
        .value_kind:     by_value
      - .actual_access:  read_only
        .address_space:  global
        .offset:         64
        .size:           8
        .value_kind:     global_buffer
      - .offset:         72
        .size:           4
        .value_kind:     by_value
      - .offset:         76
        .size:           4
        .value_kind:     by_value
      - .offset:         80
        .size:           4
        .value_kind:     by_value
      - .actual_access:  write_only
        .address_space:  global
        .offset:         88
        .size:           8
        .value_kind:     global_buffer
      - .actual_access:  write_only
        .address_space:  global
        .offset:         96
        .size:           8
        .value_kind:     global_buffer
      - .actual_access:  write_only
        .address_space:  global
        .offset:         104
        .size:           8
        .value_kind:     global_buffer
      - .actual_access:  read_only
        .address_space:  global
        .offset:         112
        .size:           8
        .value_kind:     global_buffer
      - .offset:         120
        .size:           4
        .value_kind:     by_value
      - .address_space:  global
        .offset:         128
        .size:           8
        .value_kind:     global_buffer
      - .address_space:  global
        .offset:         136
        .size:           8
        .value_kind:     global_buffer
      - .offset:         144
        .size:           4
        .value_kind:     hidden_block_count_x
      - .offset:         148
        .size:           4
        .value_kind:     hidden_block_count_y
      - .offset:         152
        .size:           4
        .value_kind:     hidden_block_count_z
      - .offset:         156
        .size:           2
        .value_kind:     hidden_group_size_x
      - .offset:         158
        .size:           2
        .value_kind:     hidden_group_size_y
      - .offset:         160
        .size:           2
        .value_kind:     hidden_group_size_z
      - .offset:         162
        .size:           2
        .value_kind:     hidden_remainder_x
      - .offset:         164
        .size:           2
        .value_kind:     hidden_remainder_y
      - .offset:         166
        .size:           2
        .value_kind:     hidden_remainder_z
      - .offset:         184
        .size:           8
        .value_kind:     hidden_global_offset_x
      - .offset:         192
        .size:           8
        .value_kind:     hidden_global_offset_y
      - .offset:         200
        .size:           8
        .value_kind:     hidden_global_offset_z
      - .offset:         208
        .size:           2
        .value_kind:     hidden_grid_dims
    .group_segment_fixed_size: 2720
    .kernarg_segment_align: 8
    .kernarg_segment_size: 400
    .language:       OpenCL C
    .language_version:
      - 2
      - 0
    .max_flat_workgroup_size: 256
    .name:           _Z38paged_attention_ll4mi_QKV_mfma4_kernelI14__hip_bfloat16S0_LN4vllm18Fp8KVCacheDataTypeE0ES0_Li32ELi64ELi256ELb1ELi4EEvPKT_PKT0_S8_ifPKiSA_SA_iPKfiiiPfSD_PS3_PT2_iSC_SC_
    .private_segment_fixed_size: 0
    .sgpr_count:     44
    .sgpr_spill_count: 0
    .symbol:         _Z38paged_attention_ll4mi_QKV_mfma4_kernelI14__hip_bfloat16S0_LN4vllm18Fp8KVCacheDataTypeE0ES0_Li32ELi64ELi256ELb1ELi4EEvPKT_PKT0_S8_ifPKiSA_SA_iPKfiiiPfSD_PS3_PT2_iSC_SC_.kd
    .uniform_work_group_size: 1
    .uses_dynamic_stack: false
    .vgpr_count:     68
    .vgpr_spill_count: 0
    .wavefront_size: 64
  - .agpr_count:     0
    .args:
      - .actual_access:  read_only
        .address_space:  global
        .offset:         0
        .size:           8
        .value_kind:     global_buffer
      - .actual_access:  read_only
        .address_space:  global
        .offset:         8
        .size:           8
        .value_kind:     global_buffer
      - .actual_access:  read_only
        .address_space:  global
        .offset:         16
        .size:           8
        .value_kind:     global_buffer
      - .offset:         24
        .size:           4
        .value_kind:     by_value
      - .offset:         28
        .size:           4
        .value_kind:     by_value
      - .actual_access:  read_only
        .address_space:  global
        .offset:         32
        .size:           8
        .value_kind:     global_buffer
      - .actual_access:  read_only
        .address_space:  global
        .offset:         40
        .size:           8
        .value_kind:     global_buffer
      - .actual_access:  read_only
        .address_space:  global
        .offset:         48
        .size:           8
        .value_kind:     global_buffer
      - .offset:         56
        .size:           4
        .value_kind:     by_value
      - .actual_access:  read_only
        .address_space:  global
        .offset:         64
        .size:           8
        .value_kind:     global_buffer
      - .offset:         72
        .size:           4
        .value_kind:     by_value
      - .offset:         76
        .size:           4
        .value_kind:     by_value
      - .offset:         80
        .size:           4
        .value_kind:     by_value
      - .actual_access:  write_only
        .address_space:  global
        .offset:         88
        .size:           8
        .value_kind:     global_buffer
      - .actual_access:  write_only
        .address_space:  global
        .offset:         96
        .size:           8
        .value_kind:     global_buffer
      - .actual_access:  write_only
        .address_space:  global
        .offset:         104
        .size:           8
        .value_kind:     global_buffer
      - .actual_access:  read_only
        .address_space:  global
        .offset:         112
        .size:           8
        .value_kind:     global_buffer
      - .offset:         120
        .size:           4
        .value_kind:     by_value
      - .address_space:  global
        .offset:         128
        .size:           8
        .value_kind:     global_buffer
      - .address_space:  global
        .offset:         136
        .size:           8
        .value_kind:     global_buffer
      - .offset:         144
        .size:           4
        .value_kind:     hidden_block_count_x
      - .offset:         148
        .size:           4
        .value_kind:     hidden_block_count_y
      - .offset:         152
        .size:           4
        .value_kind:     hidden_block_count_z
      - .offset:         156
        .size:           2
        .value_kind:     hidden_group_size_x
      - .offset:         158
        .size:           2
        .value_kind:     hidden_group_size_y
      - .offset:         160
        .size:           2
        .value_kind:     hidden_group_size_z
      - .offset:         162
        .size:           2
        .value_kind:     hidden_remainder_x
      - .offset:         164
        .size:           2
        .value_kind:     hidden_remainder_y
      - .offset:         166
        .size:           2
        .value_kind:     hidden_remainder_z
      - .offset:         184
        .size:           8
        .value_kind:     hidden_global_offset_x
      - .offset:         192
        .size:           8
        .value_kind:     hidden_global_offset_y
      - .offset:         200
        .size:           8
        .value_kind:     hidden_global_offset_z
      - .offset:         208
        .size:           2
        .value_kind:     hidden_grid_dims
    .group_segment_fixed_size: 8192
    .kernarg_segment_align: 8
    .kernarg_segment_size: 400
    .language:       OpenCL C
    .language_version:
      - 2
      - 0
    .max_flat_workgroup_size: 256
    .name:           _Z39paged_attention_ll4mi_QKV_mfma16_kernelI14__hip_bfloat16S0_LN4vllm18Fp8KVCacheDataTypeE0ES0_Li32ELi64ELi256ELb1ELi5EL8MFMAType0EEvPKT_PKT0_S9_ifPKiSB_SB_iPKfiiiPfSE_PS4_PT2_iSD_SD_
    .private_segment_fixed_size: 0
    .sgpr_count:     52
    .sgpr_spill_count: 0
    .symbol:         _Z39paged_attention_ll4mi_QKV_mfma16_kernelI14__hip_bfloat16S0_LN4vllm18Fp8KVCacheDataTypeE0ES0_Li32ELi64ELi256ELb1ELi5EL8MFMAType0EEvPKT_PKT0_S9_ifPKiSB_SB_iPKfiiiPfSE_PS4_PT2_iSD_SD_.kd
    .uniform_work_group_size: 1
    .uses_dynamic_stack: false
    .vgpr_count:     66
    .vgpr_spill_count: 0
    .wavefront_size: 64
  - .agpr_count:     0
    .args:
      - .actual_access:  read_only
        .address_space:  global
        .offset:         0
        .size:           8
        .value_kind:     global_buffer
      - .actual_access:  read_only
        .address_space:  global
        .offset:         8
        .size:           8
        .value_kind:     global_buffer
      - .actual_access:  read_only
        .address_space:  global
        .offset:         16
        .size:           8
        .value_kind:     global_buffer
      - .offset:         24
        .size:           4
        .value_kind:     by_value
      - .offset:         28
        .size:           4
        .value_kind:     by_value
      - .actual_access:  read_only
        .address_space:  global
        .offset:         32
        .size:           8
        .value_kind:     global_buffer
      - .actual_access:  read_only
        .address_space:  global
        .offset:         40
        .size:           8
        .value_kind:     global_buffer
      - .actual_access:  read_only
        .address_space:  global
        .offset:         48
        .size:           8
        .value_kind:     global_buffer
      - .offset:         56
        .size:           4
        .value_kind:     by_value
      - .actual_access:  read_only
        .address_space:  global
        .offset:         64
        .size:           8
        .value_kind:     global_buffer
      - .offset:         72
        .size:           4
        .value_kind:     by_value
      - .offset:         76
        .size:           4
        .value_kind:     by_value
      - .offset:         80
        .size:           4
        .value_kind:     by_value
      - .actual_access:  write_only
        .address_space:  global
        .offset:         88
        .size:           8
        .value_kind:     global_buffer
      - .actual_access:  write_only
        .address_space:  global
        .offset:         96
        .size:           8
        .value_kind:     global_buffer
      - .actual_access:  write_only
        .address_space:  global
        .offset:         104
        .size:           8
        .value_kind:     global_buffer
      - .actual_access:  read_only
        .address_space:  global
        .offset:         112
        .size:           8
        .value_kind:     global_buffer
      - .offset:         120
        .size:           4
        .value_kind:     by_value
      - .address_space:  global
        .offset:         128
        .size:           8
        .value_kind:     global_buffer
      - .address_space:  global
        .offset:         136
        .size:           8
        .value_kind:     global_buffer
      - .offset:         144
        .size:           4
        .value_kind:     hidden_block_count_x
      - .offset:         148
        .size:           4
        .value_kind:     hidden_block_count_y
      - .offset:         152
        .size:           4
        .value_kind:     hidden_block_count_z
      - .offset:         156
        .size:           2
        .value_kind:     hidden_group_size_x
      - .offset:         158
        .size:           2
        .value_kind:     hidden_group_size_y
      - .offset:         160
        .size:           2
        .value_kind:     hidden_group_size_z
      - .offset:         162
        .size:           2
        .value_kind:     hidden_remainder_x
      - .offset:         164
        .size:           2
        .value_kind:     hidden_remainder_y
      - .offset:         166
        .size:           2
        .value_kind:     hidden_remainder_z
      - .offset:         184
        .size:           8
        .value_kind:     hidden_global_offset_x
      - .offset:         192
        .size:           8
        .value_kind:     hidden_global_offset_y
      - .offset:         200
        .size:           8
        .value_kind:     hidden_global_offset_z
      - .offset:         208
        .size:           2
        .value_kind:     hidden_grid_dims
    .group_segment_fixed_size: 8192
    .kernarg_segment_align: 8
    .kernarg_segment_size: 400
    .language:       OpenCL C
    .language_version:
      - 2
      - 0
    .max_flat_workgroup_size: 256
    .name:           _Z39paged_attention_ll4mi_QKV_mfma16_kernelI14__hip_bfloat16S0_LN4vllm18Fp8KVCacheDataTypeE0ES0_Li32ELi64ELi256ELb1ELi6EL8MFMAType0EEvPKT_PKT0_S9_ifPKiSB_SB_iPKfiiiPfSE_PS4_PT2_iSD_SD_
    .private_segment_fixed_size: 0
    .sgpr_count:     52
    .sgpr_spill_count: 0
    .symbol:         _Z39paged_attention_ll4mi_QKV_mfma16_kernelI14__hip_bfloat16S0_LN4vllm18Fp8KVCacheDataTypeE0ES0_Li32ELi64ELi256ELb1ELi6EL8MFMAType0EEvPKT_PKT0_S9_ifPKiSB_SB_iPKfiiiPfSE_PS4_PT2_iSD_SD_.kd
    .uniform_work_group_size: 1
    .uses_dynamic_stack: false
    .vgpr_count:     66
    .vgpr_spill_count: 0
    .wavefront_size: 64
  - .agpr_count:     0
    .args:
      - .actual_access:  read_only
        .address_space:  global
        .offset:         0
        .size:           8
        .value_kind:     global_buffer
      - .actual_access:  read_only
        .address_space:  global
        .offset:         8
        .size:           8
        .value_kind:     global_buffer
      - .actual_access:  read_only
        .address_space:  global
        .offset:         16
        .size:           8
        .value_kind:     global_buffer
      - .offset:         24
        .size:           4
        .value_kind:     by_value
      - .offset:         28
        .size:           4
        .value_kind:     by_value
      - .actual_access:  read_only
        .address_space:  global
        .offset:         32
        .size:           8
        .value_kind:     global_buffer
      - .actual_access:  read_only
        .address_space:  global
        .offset:         40
        .size:           8
        .value_kind:     global_buffer
      - .actual_access:  read_only
        .address_space:  global
        .offset:         48
        .size:           8
        .value_kind:     global_buffer
      - .offset:         56
        .size:           4
        .value_kind:     by_value
      - .actual_access:  read_only
        .address_space:  global
        .offset:         64
        .size:           8
        .value_kind:     global_buffer
      - .offset:         72
        .size:           4
        .value_kind:     by_value
      - .offset:         76
        .size:           4
        .value_kind:     by_value
      - .offset:         80
        .size:           4
        .value_kind:     by_value
      - .actual_access:  write_only
        .address_space:  global
        .offset:         88
        .size:           8
        .value_kind:     global_buffer
      - .actual_access:  write_only
        .address_space:  global
        .offset:         96
        .size:           8
        .value_kind:     global_buffer
      - .actual_access:  write_only
        .address_space:  global
        .offset:         104
        .size:           8
        .value_kind:     global_buffer
      - .actual_access:  read_only
        .address_space:  global
        .offset:         112
        .size:           8
        .value_kind:     global_buffer
      - .offset:         120
        .size:           4
        .value_kind:     by_value
      - .address_space:  global
        .offset:         128
        .size:           8
        .value_kind:     global_buffer
      - .address_space:  global
        .offset:         136
        .size:           8
        .value_kind:     global_buffer
      - .offset:         144
        .size:           4
        .value_kind:     hidden_block_count_x
      - .offset:         148
        .size:           4
        .value_kind:     hidden_block_count_y
      - .offset:         152
        .size:           4
        .value_kind:     hidden_block_count_z
      - .offset:         156
        .size:           2
        .value_kind:     hidden_group_size_x
      - .offset:         158
        .size:           2
        .value_kind:     hidden_group_size_y
      - .offset:         160
        .size:           2
        .value_kind:     hidden_group_size_z
      - .offset:         162
        .size:           2
        .value_kind:     hidden_remainder_x
      - .offset:         164
        .size:           2
        .value_kind:     hidden_remainder_y
      - .offset:         166
        .size:           2
        .value_kind:     hidden_remainder_z
      - .offset:         184
        .size:           8
        .value_kind:     hidden_global_offset_x
      - .offset:         192
        .size:           8
        .value_kind:     hidden_global_offset_y
      - .offset:         200
        .size:           8
        .value_kind:     hidden_global_offset_z
      - .offset:         208
        .size:           2
        .value_kind:     hidden_grid_dims
    .group_segment_fixed_size: 8192
    .kernarg_segment_align: 8
    .kernarg_segment_size: 400
    .language:       OpenCL C
    .language_version:
      - 2
      - 0
    .max_flat_workgroup_size: 256
    .name:           _Z39paged_attention_ll4mi_QKV_mfma16_kernelI14__hip_bfloat16S0_LN4vllm18Fp8KVCacheDataTypeE0ES0_Li32ELi64ELi256ELb1ELi7EL8MFMAType0EEvPKT_PKT0_S9_ifPKiSB_SB_iPKfiiiPfSE_PS4_PT2_iSD_SD_
    .private_segment_fixed_size: 0
    .sgpr_count:     52
    .sgpr_spill_count: 0
    .symbol:         _Z39paged_attention_ll4mi_QKV_mfma16_kernelI14__hip_bfloat16S0_LN4vllm18Fp8KVCacheDataTypeE0ES0_Li32ELi64ELi256ELb1ELi7EL8MFMAType0EEvPKT_PKT0_S9_ifPKiSB_SB_iPKfiiiPfSE_PS4_PT2_iSD_SD_.kd
    .uniform_work_group_size: 1
    .uses_dynamic_stack: false
    .vgpr_count:     66
    .vgpr_spill_count: 0
    .wavefront_size: 64
  - .agpr_count:     0
    .args:
      - .actual_access:  read_only
        .address_space:  global
        .offset:         0
        .size:           8
        .value_kind:     global_buffer
      - .actual_access:  read_only
        .address_space:  global
        .offset:         8
        .size:           8
        .value_kind:     global_buffer
      - .actual_access:  read_only
        .address_space:  global
        .offset:         16
        .size:           8
        .value_kind:     global_buffer
      - .offset:         24
        .size:           4
        .value_kind:     by_value
      - .offset:         28
        .size:           4
        .value_kind:     by_value
      - .actual_access:  read_only
        .address_space:  global
        .offset:         32
        .size:           8
        .value_kind:     global_buffer
      - .actual_access:  read_only
        .address_space:  global
        .offset:         40
        .size:           8
        .value_kind:     global_buffer
      - .actual_access:  read_only
        .address_space:  global
        .offset:         48
        .size:           8
        .value_kind:     global_buffer
      - .offset:         56
        .size:           4
        .value_kind:     by_value
      - .actual_access:  read_only
        .address_space:  global
        .offset:         64
        .size:           8
        .value_kind:     global_buffer
      - .offset:         72
        .size:           4
        .value_kind:     by_value
      - .offset:         76
        .size:           4
        .value_kind:     by_value
      - .offset:         80
        .size:           4
        .value_kind:     by_value
      - .actual_access:  write_only
        .address_space:  global
        .offset:         88
        .size:           8
        .value_kind:     global_buffer
      - .actual_access:  write_only
        .address_space:  global
        .offset:         96
        .size:           8
        .value_kind:     global_buffer
      - .actual_access:  write_only
        .address_space:  global
        .offset:         104
        .size:           8
        .value_kind:     global_buffer
      - .actual_access:  read_only
        .address_space:  global
        .offset:         112
        .size:           8
        .value_kind:     global_buffer
      - .offset:         120
        .size:           4
        .value_kind:     by_value
      - .address_space:  global
        .offset:         128
        .size:           8
        .value_kind:     global_buffer
      - .address_space:  global
        .offset:         136
        .size:           8
        .value_kind:     global_buffer
      - .offset:         144
        .size:           4
        .value_kind:     hidden_block_count_x
      - .offset:         148
        .size:           4
        .value_kind:     hidden_block_count_y
      - .offset:         152
        .size:           4
        .value_kind:     hidden_block_count_z
      - .offset:         156
        .size:           2
        .value_kind:     hidden_group_size_x
      - .offset:         158
        .size:           2
        .value_kind:     hidden_group_size_y
      - .offset:         160
        .size:           2
        .value_kind:     hidden_group_size_z
      - .offset:         162
        .size:           2
        .value_kind:     hidden_remainder_x
      - .offset:         164
        .size:           2
        .value_kind:     hidden_remainder_y
      - .offset:         166
        .size:           2
        .value_kind:     hidden_remainder_z
      - .offset:         184
        .size:           8
        .value_kind:     hidden_global_offset_x
      - .offset:         192
        .size:           8
        .value_kind:     hidden_global_offset_y
      - .offset:         200
        .size:           8
        .value_kind:     hidden_global_offset_z
      - .offset:         208
        .size:           2
        .value_kind:     hidden_grid_dims
    .group_segment_fixed_size: 8192
    .kernarg_segment_align: 8
    .kernarg_segment_size: 400
    .language:       OpenCL C
    .language_version:
      - 2
      - 0
    .max_flat_workgroup_size: 256
    .name:           _Z39paged_attention_ll4mi_QKV_mfma16_kernelI14__hip_bfloat16S0_LN4vllm18Fp8KVCacheDataTypeE0ES0_Li32ELi64ELi256ELb1ELi8EL8MFMAType0EEvPKT_PKT0_S9_ifPKiSB_SB_iPKfiiiPfSE_PS4_PT2_iSD_SD_
    .private_segment_fixed_size: 0
    .sgpr_count:     52
    .sgpr_spill_count: 0
    .symbol:         _Z39paged_attention_ll4mi_QKV_mfma16_kernelI14__hip_bfloat16S0_LN4vllm18Fp8KVCacheDataTypeE0ES0_Li32ELi64ELi256ELb1ELi8EL8MFMAType0EEvPKT_PKT0_S9_ifPKiSB_SB_iPKfiiiPfSE_PS4_PT2_iSD_SD_.kd
    .uniform_work_group_size: 1
    .uses_dynamic_stack: false
    .vgpr_count:     66
    .vgpr_spill_count: 0
    .wavefront_size: 64
  - .agpr_count:     0
    .args:
      - .actual_access:  read_only
        .address_space:  global
        .offset:         0
        .size:           8
        .value_kind:     global_buffer
      - .actual_access:  read_only
        .address_space:  global
        .offset:         8
        .size:           8
        .value_kind:     global_buffer
      - .actual_access:  read_only
        .address_space:  global
        .offset:         16
        .size:           8
        .value_kind:     global_buffer
      - .offset:         24
        .size:           4
        .value_kind:     by_value
      - .offset:         28
        .size:           4
        .value_kind:     by_value
      - .actual_access:  read_only
        .address_space:  global
        .offset:         32
        .size:           8
        .value_kind:     global_buffer
      - .actual_access:  read_only
        .address_space:  global
        .offset:         40
        .size:           8
        .value_kind:     global_buffer
      - .actual_access:  read_only
        .address_space:  global
        .offset:         48
        .size:           8
        .value_kind:     global_buffer
      - .offset:         56
        .size:           4
        .value_kind:     by_value
      - .actual_access:  read_only
        .address_space:  global
        .offset:         64
        .size:           8
        .value_kind:     global_buffer
      - .offset:         72
        .size:           4
        .value_kind:     by_value
      - .offset:         76
        .size:           4
        .value_kind:     by_value
      - .offset:         80
        .size:           4
        .value_kind:     by_value
      - .actual_access:  write_only
        .address_space:  global
        .offset:         88
        .size:           8
        .value_kind:     global_buffer
      - .actual_access:  write_only
        .address_space:  global
        .offset:         96
        .size:           8
        .value_kind:     global_buffer
      - .actual_access:  write_only
        .address_space:  global
        .offset:         104
        .size:           8
        .value_kind:     global_buffer
      - .actual_access:  read_only
        .address_space:  global
        .offset:         112
        .size:           8
        .value_kind:     global_buffer
      - .offset:         120
        .size:           4
        .value_kind:     by_value
      - .address_space:  global
        .offset:         128
        .size:           8
        .value_kind:     global_buffer
      - .address_space:  global
        .offset:         136
        .size:           8
        .value_kind:     global_buffer
      - .offset:         144
        .size:           4
        .value_kind:     hidden_block_count_x
      - .offset:         148
        .size:           4
        .value_kind:     hidden_block_count_y
      - .offset:         152
        .size:           4
        .value_kind:     hidden_block_count_z
      - .offset:         156
        .size:           2
        .value_kind:     hidden_group_size_x
      - .offset:         158
        .size:           2
        .value_kind:     hidden_group_size_y
      - .offset:         160
        .size:           2
        .value_kind:     hidden_group_size_z
      - .offset:         162
        .size:           2
        .value_kind:     hidden_remainder_x
      - .offset:         164
        .size:           2
        .value_kind:     hidden_remainder_y
      - .offset:         166
        .size:           2
        .value_kind:     hidden_remainder_z
      - .offset:         184
        .size:           8
        .value_kind:     hidden_global_offset_x
      - .offset:         192
        .size:           8
        .value_kind:     hidden_global_offset_y
      - .offset:         200
        .size:           8
        .value_kind:     hidden_global_offset_z
      - .offset:         208
        .size:           2
        .value_kind:     hidden_grid_dims
    .group_segment_fixed_size: 8192
    .kernarg_segment_align: 8
    .kernarg_segment_size: 400
    .language:       OpenCL C
    .language_version:
      - 2
      - 0
    .max_flat_workgroup_size: 256
    .name:           _Z39paged_attention_ll4mi_QKV_mfma16_kernelI14__hip_bfloat16S0_LN4vllm18Fp8KVCacheDataTypeE0ES0_Li32ELi64ELi256ELb1ELi9EL8MFMAType0EEvPKT_PKT0_S9_ifPKiSB_SB_iPKfiiiPfSE_PS4_PT2_iSD_SD_
    .private_segment_fixed_size: 0
    .sgpr_count:     52
    .sgpr_spill_count: 0
    .symbol:         _Z39paged_attention_ll4mi_QKV_mfma16_kernelI14__hip_bfloat16S0_LN4vllm18Fp8KVCacheDataTypeE0ES0_Li32ELi64ELi256ELb1ELi9EL8MFMAType0EEvPKT_PKT0_S9_ifPKiSB_SB_iPKfiiiPfSE_PS4_PT2_iSD_SD_.kd
    .uniform_work_group_size: 1
    .uses_dynamic_stack: false
    .vgpr_count:     66
    .vgpr_spill_count: 0
    .wavefront_size: 64
  - .agpr_count:     0
    .args:
      - .actual_access:  read_only
        .address_space:  global
        .offset:         0
        .size:           8
        .value_kind:     global_buffer
      - .actual_access:  read_only
        .address_space:  global
        .offset:         8
        .size:           8
        .value_kind:     global_buffer
      - .actual_access:  read_only
        .address_space:  global
        .offset:         16
        .size:           8
        .value_kind:     global_buffer
      - .offset:         24
        .size:           4
        .value_kind:     by_value
      - .offset:         28
        .size:           4
        .value_kind:     by_value
      - .actual_access:  read_only
        .address_space:  global
        .offset:         32
        .size:           8
        .value_kind:     global_buffer
      - .actual_access:  read_only
        .address_space:  global
        .offset:         40
        .size:           8
        .value_kind:     global_buffer
      - .actual_access:  read_only
        .address_space:  global
        .offset:         48
        .size:           8
        .value_kind:     global_buffer
      - .offset:         56
        .size:           4
        .value_kind:     by_value
      - .actual_access:  read_only
        .address_space:  global
        .offset:         64
        .size:           8
        .value_kind:     global_buffer
      - .offset:         72
        .size:           4
        .value_kind:     by_value
      - .offset:         76
        .size:           4
        .value_kind:     by_value
      - .offset:         80
        .size:           4
        .value_kind:     by_value
      - .actual_access:  write_only
        .address_space:  global
        .offset:         88
        .size:           8
        .value_kind:     global_buffer
      - .actual_access:  write_only
        .address_space:  global
        .offset:         96
        .size:           8
        .value_kind:     global_buffer
      - .actual_access:  write_only
        .address_space:  global
        .offset:         104
        .size:           8
        .value_kind:     global_buffer
      - .actual_access:  read_only
        .address_space:  global
        .offset:         112
        .size:           8
        .value_kind:     global_buffer
      - .offset:         120
        .size:           4
        .value_kind:     by_value
      - .address_space:  global
        .offset:         128
        .size:           8
        .value_kind:     global_buffer
      - .address_space:  global
        .offset:         136
        .size:           8
        .value_kind:     global_buffer
      - .offset:         144
        .size:           4
        .value_kind:     hidden_block_count_x
      - .offset:         148
        .size:           4
        .value_kind:     hidden_block_count_y
      - .offset:         152
        .size:           4
        .value_kind:     hidden_block_count_z
      - .offset:         156
        .size:           2
        .value_kind:     hidden_group_size_x
      - .offset:         158
        .size:           2
        .value_kind:     hidden_group_size_y
      - .offset:         160
        .size:           2
        .value_kind:     hidden_group_size_z
      - .offset:         162
        .size:           2
        .value_kind:     hidden_remainder_x
      - .offset:         164
        .size:           2
        .value_kind:     hidden_remainder_y
      - .offset:         166
        .size:           2
        .value_kind:     hidden_remainder_z
      - .offset:         184
        .size:           8
        .value_kind:     hidden_global_offset_x
      - .offset:         192
        .size:           8
        .value_kind:     hidden_global_offset_y
      - .offset:         200
        .size:           8
        .value_kind:     hidden_global_offset_z
      - .offset:         208
        .size:           2
        .value_kind:     hidden_grid_dims
    .group_segment_fixed_size: 8192
    .kernarg_segment_align: 8
    .kernarg_segment_size: 400
    .language:       OpenCL C
    .language_version:
      - 2
      - 0
    .max_flat_workgroup_size: 256
    .name:           _Z39paged_attention_ll4mi_QKV_mfma16_kernelI14__hip_bfloat16S0_LN4vllm18Fp8KVCacheDataTypeE0ES0_Li32ELi64ELi256ELb1ELi10EL8MFMAType0EEvPKT_PKT0_S9_ifPKiSB_SB_iPKfiiiPfSE_PS4_PT2_iSD_SD_
    .private_segment_fixed_size: 0
    .sgpr_count:     52
    .sgpr_spill_count: 0
    .symbol:         _Z39paged_attention_ll4mi_QKV_mfma16_kernelI14__hip_bfloat16S0_LN4vllm18Fp8KVCacheDataTypeE0ES0_Li32ELi64ELi256ELb1ELi10EL8MFMAType0EEvPKT_PKT0_S9_ifPKiSB_SB_iPKfiiiPfSE_PS4_PT2_iSD_SD_.kd
    .uniform_work_group_size: 1
    .uses_dynamic_stack: false
    .vgpr_count:     66
    .vgpr_spill_count: 0
    .wavefront_size: 64
  - .agpr_count:     0
    .args:
      - .actual_access:  read_only
        .address_space:  global
        .offset:         0
        .size:           8
        .value_kind:     global_buffer
      - .actual_access:  read_only
        .address_space:  global
        .offset:         8
        .size:           8
        .value_kind:     global_buffer
      - .actual_access:  read_only
        .address_space:  global
        .offset:         16
        .size:           8
        .value_kind:     global_buffer
      - .offset:         24
        .size:           4
        .value_kind:     by_value
      - .offset:         28
        .size:           4
        .value_kind:     by_value
      - .actual_access:  read_only
        .address_space:  global
        .offset:         32
        .size:           8
        .value_kind:     global_buffer
      - .actual_access:  read_only
        .address_space:  global
        .offset:         40
        .size:           8
        .value_kind:     global_buffer
      - .actual_access:  read_only
        .address_space:  global
        .offset:         48
        .size:           8
        .value_kind:     global_buffer
      - .offset:         56
        .size:           4
        .value_kind:     by_value
      - .actual_access:  read_only
        .address_space:  global
        .offset:         64
        .size:           8
        .value_kind:     global_buffer
      - .offset:         72
        .size:           4
        .value_kind:     by_value
      - .offset:         76
        .size:           4
        .value_kind:     by_value
      - .offset:         80
        .size:           4
        .value_kind:     by_value
      - .actual_access:  write_only
        .address_space:  global
        .offset:         88
        .size:           8
        .value_kind:     global_buffer
      - .actual_access:  write_only
        .address_space:  global
        .offset:         96
        .size:           8
        .value_kind:     global_buffer
      - .actual_access:  write_only
        .address_space:  global
        .offset:         104
        .size:           8
        .value_kind:     global_buffer
      - .actual_access:  read_only
        .address_space:  global
        .offset:         112
        .size:           8
        .value_kind:     global_buffer
      - .offset:         120
        .size:           4
        .value_kind:     by_value
      - .address_space:  global
        .offset:         128
        .size:           8
        .value_kind:     global_buffer
      - .address_space:  global
        .offset:         136
        .size:           8
        .value_kind:     global_buffer
      - .offset:         144
        .size:           4
        .value_kind:     hidden_block_count_x
      - .offset:         148
        .size:           4
        .value_kind:     hidden_block_count_y
      - .offset:         152
        .size:           4
        .value_kind:     hidden_block_count_z
      - .offset:         156
        .size:           2
        .value_kind:     hidden_group_size_x
      - .offset:         158
        .size:           2
        .value_kind:     hidden_group_size_y
      - .offset:         160
        .size:           2
        .value_kind:     hidden_group_size_z
      - .offset:         162
        .size:           2
        .value_kind:     hidden_remainder_x
      - .offset:         164
        .size:           2
        .value_kind:     hidden_remainder_y
      - .offset:         166
        .size:           2
        .value_kind:     hidden_remainder_z
      - .offset:         184
        .size:           8
        .value_kind:     hidden_global_offset_x
      - .offset:         192
        .size:           8
        .value_kind:     hidden_global_offset_y
      - .offset:         200
        .size:           8
        .value_kind:     hidden_global_offset_z
      - .offset:         208
        .size:           2
        .value_kind:     hidden_grid_dims
    .group_segment_fixed_size: 8192
    .kernarg_segment_align: 8
    .kernarg_segment_size: 400
    .language:       OpenCL C
    .language_version:
      - 2
      - 0
    .max_flat_workgroup_size: 256
    .name:           _Z39paged_attention_ll4mi_QKV_mfma16_kernelI14__hip_bfloat16S0_LN4vllm18Fp8KVCacheDataTypeE0ES0_Li32ELi64ELi256ELb1ELi11EL8MFMAType0EEvPKT_PKT0_S9_ifPKiSB_SB_iPKfiiiPfSE_PS4_PT2_iSD_SD_
    .private_segment_fixed_size: 0
    .sgpr_count:     52
    .sgpr_spill_count: 0
    .symbol:         _Z39paged_attention_ll4mi_QKV_mfma16_kernelI14__hip_bfloat16S0_LN4vllm18Fp8KVCacheDataTypeE0ES0_Li32ELi64ELi256ELb1ELi11EL8MFMAType0EEvPKT_PKT0_S9_ifPKiSB_SB_iPKfiiiPfSE_PS4_PT2_iSD_SD_.kd
    .uniform_work_group_size: 1
    .uses_dynamic_stack: false
    .vgpr_count:     66
    .vgpr_spill_count: 0
    .wavefront_size: 64
  - .agpr_count:     0
    .args:
      - .actual_access:  read_only
        .address_space:  global
        .offset:         0
        .size:           8
        .value_kind:     global_buffer
      - .actual_access:  read_only
        .address_space:  global
        .offset:         8
        .size:           8
        .value_kind:     global_buffer
      - .actual_access:  read_only
        .address_space:  global
        .offset:         16
        .size:           8
        .value_kind:     global_buffer
      - .offset:         24
        .size:           4
        .value_kind:     by_value
      - .offset:         28
        .size:           4
        .value_kind:     by_value
      - .actual_access:  read_only
        .address_space:  global
        .offset:         32
        .size:           8
        .value_kind:     global_buffer
      - .actual_access:  read_only
        .address_space:  global
        .offset:         40
        .size:           8
        .value_kind:     global_buffer
      - .actual_access:  read_only
        .address_space:  global
        .offset:         48
        .size:           8
        .value_kind:     global_buffer
      - .offset:         56
        .size:           4
        .value_kind:     by_value
      - .actual_access:  read_only
        .address_space:  global
        .offset:         64
        .size:           8
        .value_kind:     global_buffer
      - .offset:         72
        .size:           4
        .value_kind:     by_value
      - .offset:         76
        .size:           4
        .value_kind:     by_value
      - .offset:         80
        .size:           4
        .value_kind:     by_value
      - .actual_access:  write_only
        .address_space:  global
        .offset:         88
        .size:           8
        .value_kind:     global_buffer
      - .actual_access:  write_only
        .address_space:  global
        .offset:         96
        .size:           8
        .value_kind:     global_buffer
      - .actual_access:  write_only
        .address_space:  global
        .offset:         104
        .size:           8
        .value_kind:     global_buffer
      - .actual_access:  read_only
        .address_space:  global
        .offset:         112
        .size:           8
        .value_kind:     global_buffer
      - .offset:         120
        .size:           4
        .value_kind:     by_value
      - .address_space:  global
        .offset:         128
        .size:           8
        .value_kind:     global_buffer
      - .address_space:  global
        .offset:         136
        .size:           8
        .value_kind:     global_buffer
      - .offset:         144
        .size:           4
        .value_kind:     hidden_block_count_x
      - .offset:         148
        .size:           4
        .value_kind:     hidden_block_count_y
      - .offset:         152
        .size:           4
        .value_kind:     hidden_block_count_z
      - .offset:         156
        .size:           2
        .value_kind:     hidden_group_size_x
      - .offset:         158
        .size:           2
        .value_kind:     hidden_group_size_y
      - .offset:         160
        .size:           2
        .value_kind:     hidden_group_size_z
      - .offset:         162
        .size:           2
        .value_kind:     hidden_remainder_x
      - .offset:         164
        .size:           2
        .value_kind:     hidden_remainder_y
      - .offset:         166
        .size:           2
        .value_kind:     hidden_remainder_z
      - .offset:         184
        .size:           8
        .value_kind:     hidden_global_offset_x
      - .offset:         192
        .size:           8
        .value_kind:     hidden_global_offset_y
      - .offset:         200
        .size:           8
        .value_kind:     hidden_global_offset_z
      - .offset:         208
        .size:           2
        .value_kind:     hidden_grid_dims
    .group_segment_fixed_size: 8192
    .kernarg_segment_align: 8
    .kernarg_segment_size: 400
    .language:       OpenCL C
    .language_version:
      - 2
      - 0
    .max_flat_workgroup_size: 256
    .name:           _Z39paged_attention_ll4mi_QKV_mfma16_kernelI14__hip_bfloat16S0_LN4vllm18Fp8KVCacheDataTypeE0ES0_Li32ELi64ELi256ELb1ELi12EL8MFMAType0EEvPKT_PKT0_S9_ifPKiSB_SB_iPKfiiiPfSE_PS4_PT2_iSD_SD_
    .private_segment_fixed_size: 0
    .sgpr_count:     52
    .sgpr_spill_count: 0
    .symbol:         _Z39paged_attention_ll4mi_QKV_mfma16_kernelI14__hip_bfloat16S0_LN4vllm18Fp8KVCacheDataTypeE0ES0_Li32ELi64ELi256ELb1ELi12EL8MFMAType0EEvPKT_PKT0_S9_ifPKiSB_SB_iPKfiiiPfSE_PS4_PT2_iSD_SD_.kd
    .uniform_work_group_size: 1
    .uses_dynamic_stack: false
    .vgpr_count:     66
    .vgpr_spill_count: 0
    .wavefront_size: 64
  - .agpr_count:     0
    .args:
      - .actual_access:  read_only
        .address_space:  global
        .offset:         0
        .size:           8
        .value_kind:     global_buffer
      - .actual_access:  read_only
        .address_space:  global
        .offset:         8
        .size:           8
        .value_kind:     global_buffer
      - .actual_access:  read_only
        .address_space:  global
        .offset:         16
        .size:           8
        .value_kind:     global_buffer
      - .offset:         24
        .size:           4
        .value_kind:     by_value
      - .offset:         28
        .size:           4
        .value_kind:     by_value
      - .actual_access:  read_only
        .address_space:  global
        .offset:         32
        .size:           8
        .value_kind:     global_buffer
      - .actual_access:  read_only
        .address_space:  global
        .offset:         40
        .size:           8
        .value_kind:     global_buffer
      - .actual_access:  read_only
        .address_space:  global
        .offset:         48
        .size:           8
        .value_kind:     global_buffer
      - .offset:         56
        .size:           4
        .value_kind:     by_value
      - .actual_access:  read_only
        .address_space:  global
        .offset:         64
        .size:           8
        .value_kind:     global_buffer
      - .offset:         72
        .size:           4
        .value_kind:     by_value
      - .offset:         76
        .size:           4
        .value_kind:     by_value
      - .offset:         80
        .size:           4
        .value_kind:     by_value
      - .actual_access:  write_only
        .address_space:  global
        .offset:         88
        .size:           8
        .value_kind:     global_buffer
      - .actual_access:  write_only
        .address_space:  global
        .offset:         96
        .size:           8
        .value_kind:     global_buffer
      - .actual_access:  write_only
        .address_space:  global
        .offset:         104
        .size:           8
        .value_kind:     global_buffer
      - .actual_access:  read_only
        .address_space:  global
        .offset:         112
        .size:           8
        .value_kind:     global_buffer
      - .offset:         120
        .size:           4
        .value_kind:     by_value
      - .address_space:  global
        .offset:         128
        .size:           8
        .value_kind:     global_buffer
      - .address_space:  global
        .offset:         136
        .size:           8
        .value_kind:     global_buffer
      - .offset:         144
        .size:           4
        .value_kind:     hidden_block_count_x
      - .offset:         148
        .size:           4
        .value_kind:     hidden_block_count_y
      - .offset:         152
        .size:           4
        .value_kind:     hidden_block_count_z
      - .offset:         156
        .size:           2
        .value_kind:     hidden_group_size_x
      - .offset:         158
        .size:           2
        .value_kind:     hidden_group_size_y
      - .offset:         160
        .size:           2
        .value_kind:     hidden_group_size_z
      - .offset:         162
        .size:           2
        .value_kind:     hidden_remainder_x
      - .offset:         164
        .size:           2
        .value_kind:     hidden_remainder_y
      - .offset:         166
        .size:           2
        .value_kind:     hidden_remainder_z
      - .offset:         184
        .size:           8
        .value_kind:     hidden_global_offset_x
      - .offset:         192
        .size:           8
        .value_kind:     hidden_global_offset_y
      - .offset:         200
        .size:           8
        .value_kind:     hidden_global_offset_z
      - .offset:         208
        .size:           2
        .value_kind:     hidden_grid_dims
    .group_segment_fixed_size: 8192
    .kernarg_segment_align: 8
    .kernarg_segment_size: 400
    .language:       OpenCL C
    .language_version:
      - 2
      - 0
    .max_flat_workgroup_size: 256
    .name:           _Z39paged_attention_ll4mi_QKV_mfma16_kernelI14__hip_bfloat16S0_LN4vllm18Fp8KVCacheDataTypeE0ES0_Li32ELi64ELi256ELb1ELi13EL8MFMAType0EEvPKT_PKT0_S9_ifPKiSB_SB_iPKfiiiPfSE_PS4_PT2_iSD_SD_
    .private_segment_fixed_size: 0
    .sgpr_count:     52
    .sgpr_spill_count: 0
    .symbol:         _Z39paged_attention_ll4mi_QKV_mfma16_kernelI14__hip_bfloat16S0_LN4vllm18Fp8KVCacheDataTypeE0ES0_Li32ELi64ELi256ELb1ELi13EL8MFMAType0EEvPKT_PKT0_S9_ifPKiSB_SB_iPKfiiiPfSE_PS4_PT2_iSD_SD_.kd
    .uniform_work_group_size: 1
    .uses_dynamic_stack: false
    .vgpr_count:     66
    .vgpr_spill_count: 0
    .wavefront_size: 64
  - .agpr_count:     0
    .args:
      - .actual_access:  read_only
        .address_space:  global
        .offset:         0
        .size:           8
        .value_kind:     global_buffer
      - .actual_access:  read_only
        .address_space:  global
        .offset:         8
        .size:           8
        .value_kind:     global_buffer
      - .actual_access:  read_only
        .address_space:  global
        .offset:         16
        .size:           8
        .value_kind:     global_buffer
      - .offset:         24
        .size:           4
        .value_kind:     by_value
      - .offset:         28
        .size:           4
        .value_kind:     by_value
      - .actual_access:  read_only
        .address_space:  global
        .offset:         32
        .size:           8
        .value_kind:     global_buffer
      - .actual_access:  read_only
        .address_space:  global
        .offset:         40
        .size:           8
        .value_kind:     global_buffer
      - .actual_access:  read_only
        .address_space:  global
        .offset:         48
        .size:           8
        .value_kind:     global_buffer
      - .offset:         56
        .size:           4
        .value_kind:     by_value
      - .actual_access:  read_only
        .address_space:  global
        .offset:         64
        .size:           8
        .value_kind:     global_buffer
      - .offset:         72
        .size:           4
        .value_kind:     by_value
      - .offset:         76
        .size:           4
        .value_kind:     by_value
      - .offset:         80
        .size:           4
        .value_kind:     by_value
      - .actual_access:  write_only
        .address_space:  global
        .offset:         88
        .size:           8
        .value_kind:     global_buffer
      - .actual_access:  write_only
        .address_space:  global
        .offset:         96
        .size:           8
        .value_kind:     global_buffer
      - .actual_access:  write_only
        .address_space:  global
        .offset:         104
        .size:           8
        .value_kind:     global_buffer
      - .actual_access:  read_only
        .address_space:  global
        .offset:         112
        .size:           8
        .value_kind:     global_buffer
      - .offset:         120
        .size:           4
        .value_kind:     by_value
      - .address_space:  global
        .offset:         128
        .size:           8
        .value_kind:     global_buffer
      - .address_space:  global
        .offset:         136
        .size:           8
        .value_kind:     global_buffer
      - .offset:         144
        .size:           4
        .value_kind:     hidden_block_count_x
      - .offset:         148
        .size:           4
        .value_kind:     hidden_block_count_y
      - .offset:         152
        .size:           4
        .value_kind:     hidden_block_count_z
      - .offset:         156
        .size:           2
        .value_kind:     hidden_group_size_x
      - .offset:         158
        .size:           2
        .value_kind:     hidden_group_size_y
      - .offset:         160
        .size:           2
        .value_kind:     hidden_group_size_z
      - .offset:         162
        .size:           2
        .value_kind:     hidden_remainder_x
      - .offset:         164
        .size:           2
        .value_kind:     hidden_remainder_y
      - .offset:         166
        .size:           2
        .value_kind:     hidden_remainder_z
      - .offset:         184
        .size:           8
        .value_kind:     hidden_global_offset_x
      - .offset:         192
        .size:           8
        .value_kind:     hidden_global_offset_y
      - .offset:         200
        .size:           8
        .value_kind:     hidden_global_offset_z
      - .offset:         208
        .size:           2
        .value_kind:     hidden_grid_dims
    .group_segment_fixed_size: 8192
    .kernarg_segment_align: 8
    .kernarg_segment_size: 400
    .language:       OpenCL C
    .language_version:
      - 2
      - 0
    .max_flat_workgroup_size: 256
    .name:           _Z39paged_attention_ll4mi_QKV_mfma16_kernelI14__hip_bfloat16S0_LN4vllm18Fp8KVCacheDataTypeE0ES0_Li32ELi64ELi256ELb1ELi14EL8MFMAType0EEvPKT_PKT0_S9_ifPKiSB_SB_iPKfiiiPfSE_PS4_PT2_iSD_SD_
    .private_segment_fixed_size: 0
    .sgpr_count:     52
    .sgpr_spill_count: 0
    .symbol:         _Z39paged_attention_ll4mi_QKV_mfma16_kernelI14__hip_bfloat16S0_LN4vllm18Fp8KVCacheDataTypeE0ES0_Li32ELi64ELi256ELb1ELi14EL8MFMAType0EEvPKT_PKT0_S9_ifPKiSB_SB_iPKfiiiPfSE_PS4_PT2_iSD_SD_.kd
    .uniform_work_group_size: 1
    .uses_dynamic_stack: false
    .vgpr_count:     66
    .vgpr_spill_count: 0
    .wavefront_size: 64
  - .agpr_count:     0
    .args:
      - .actual_access:  read_only
        .address_space:  global
        .offset:         0
        .size:           8
        .value_kind:     global_buffer
      - .actual_access:  read_only
        .address_space:  global
        .offset:         8
        .size:           8
        .value_kind:     global_buffer
      - .actual_access:  read_only
        .address_space:  global
        .offset:         16
        .size:           8
        .value_kind:     global_buffer
      - .offset:         24
        .size:           4
        .value_kind:     by_value
      - .offset:         28
        .size:           4
        .value_kind:     by_value
      - .actual_access:  read_only
        .address_space:  global
        .offset:         32
        .size:           8
        .value_kind:     global_buffer
      - .actual_access:  read_only
        .address_space:  global
        .offset:         40
        .size:           8
        .value_kind:     global_buffer
      - .actual_access:  read_only
        .address_space:  global
        .offset:         48
        .size:           8
        .value_kind:     global_buffer
      - .offset:         56
        .size:           4
        .value_kind:     by_value
      - .actual_access:  read_only
        .address_space:  global
        .offset:         64
        .size:           8
        .value_kind:     global_buffer
      - .offset:         72
        .size:           4
        .value_kind:     by_value
      - .offset:         76
        .size:           4
        .value_kind:     by_value
      - .offset:         80
        .size:           4
        .value_kind:     by_value
      - .actual_access:  write_only
        .address_space:  global
        .offset:         88
        .size:           8
        .value_kind:     global_buffer
      - .actual_access:  write_only
        .address_space:  global
        .offset:         96
        .size:           8
        .value_kind:     global_buffer
      - .actual_access:  write_only
        .address_space:  global
        .offset:         104
        .size:           8
        .value_kind:     global_buffer
      - .actual_access:  read_only
        .address_space:  global
        .offset:         112
        .size:           8
        .value_kind:     global_buffer
      - .offset:         120
        .size:           4
        .value_kind:     by_value
      - .address_space:  global
        .offset:         128
        .size:           8
        .value_kind:     global_buffer
      - .address_space:  global
        .offset:         136
        .size:           8
        .value_kind:     global_buffer
      - .offset:         144
        .size:           4
        .value_kind:     hidden_block_count_x
      - .offset:         148
        .size:           4
        .value_kind:     hidden_block_count_y
      - .offset:         152
        .size:           4
        .value_kind:     hidden_block_count_z
      - .offset:         156
        .size:           2
        .value_kind:     hidden_group_size_x
      - .offset:         158
        .size:           2
        .value_kind:     hidden_group_size_y
      - .offset:         160
        .size:           2
        .value_kind:     hidden_group_size_z
      - .offset:         162
        .size:           2
        .value_kind:     hidden_remainder_x
      - .offset:         164
        .size:           2
        .value_kind:     hidden_remainder_y
      - .offset:         166
        .size:           2
        .value_kind:     hidden_remainder_z
      - .offset:         184
        .size:           8
        .value_kind:     hidden_global_offset_x
      - .offset:         192
        .size:           8
        .value_kind:     hidden_global_offset_y
      - .offset:         200
        .size:           8
        .value_kind:     hidden_global_offset_z
      - .offset:         208
        .size:           2
        .value_kind:     hidden_grid_dims
    .group_segment_fixed_size: 8192
    .kernarg_segment_align: 8
    .kernarg_segment_size: 400
    .language:       OpenCL C
    .language_version:
      - 2
      - 0
    .max_flat_workgroup_size: 256
    .name:           _Z39paged_attention_ll4mi_QKV_mfma16_kernelI14__hip_bfloat16S0_LN4vllm18Fp8KVCacheDataTypeE0ES0_Li32ELi64ELi256ELb1ELi15EL8MFMAType0EEvPKT_PKT0_S9_ifPKiSB_SB_iPKfiiiPfSE_PS4_PT2_iSD_SD_
    .private_segment_fixed_size: 0
    .sgpr_count:     52
    .sgpr_spill_count: 0
    .symbol:         _Z39paged_attention_ll4mi_QKV_mfma16_kernelI14__hip_bfloat16S0_LN4vllm18Fp8KVCacheDataTypeE0ES0_Li32ELi64ELi256ELb1ELi15EL8MFMAType0EEvPKT_PKT0_S9_ifPKiSB_SB_iPKfiiiPfSE_PS4_PT2_iSD_SD_.kd
    .uniform_work_group_size: 1
    .uses_dynamic_stack: false
    .vgpr_count:     66
    .vgpr_spill_count: 0
    .wavefront_size: 64
  - .agpr_count:     0
    .args:
      - .actual_access:  read_only
        .address_space:  global
        .offset:         0
        .size:           8
        .value_kind:     global_buffer
      - .actual_access:  read_only
        .address_space:  global
        .offset:         8
        .size:           8
        .value_kind:     global_buffer
      - .actual_access:  read_only
        .address_space:  global
        .offset:         16
        .size:           8
        .value_kind:     global_buffer
      - .offset:         24
        .size:           4
        .value_kind:     by_value
      - .offset:         28
        .size:           4
        .value_kind:     by_value
      - .actual_access:  read_only
        .address_space:  global
        .offset:         32
        .size:           8
        .value_kind:     global_buffer
      - .actual_access:  read_only
        .address_space:  global
        .offset:         40
        .size:           8
        .value_kind:     global_buffer
      - .actual_access:  read_only
        .address_space:  global
        .offset:         48
        .size:           8
        .value_kind:     global_buffer
      - .offset:         56
        .size:           4
        .value_kind:     by_value
      - .actual_access:  read_only
        .address_space:  global
        .offset:         64
        .size:           8
        .value_kind:     global_buffer
      - .offset:         72
        .size:           4
        .value_kind:     by_value
      - .offset:         76
        .size:           4
        .value_kind:     by_value
      - .offset:         80
        .size:           4
        .value_kind:     by_value
      - .actual_access:  write_only
        .address_space:  global
        .offset:         88
        .size:           8
        .value_kind:     global_buffer
      - .actual_access:  write_only
        .address_space:  global
        .offset:         96
        .size:           8
        .value_kind:     global_buffer
      - .actual_access:  write_only
        .address_space:  global
        .offset:         104
        .size:           8
        .value_kind:     global_buffer
      - .actual_access:  read_only
        .address_space:  global
        .offset:         112
        .size:           8
        .value_kind:     global_buffer
      - .offset:         120
        .size:           4
        .value_kind:     by_value
      - .address_space:  global
        .offset:         128
        .size:           8
        .value_kind:     global_buffer
      - .address_space:  global
        .offset:         136
        .size:           8
        .value_kind:     global_buffer
      - .offset:         144
        .size:           4
        .value_kind:     hidden_block_count_x
      - .offset:         148
        .size:           4
        .value_kind:     hidden_block_count_y
      - .offset:         152
        .size:           4
        .value_kind:     hidden_block_count_z
      - .offset:         156
        .size:           2
        .value_kind:     hidden_group_size_x
      - .offset:         158
        .size:           2
        .value_kind:     hidden_group_size_y
      - .offset:         160
        .size:           2
        .value_kind:     hidden_group_size_z
      - .offset:         162
        .size:           2
        .value_kind:     hidden_remainder_x
      - .offset:         164
        .size:           2
        .value_kind:     hidden_remainder_y
      - .offset:         166
        .size:           2
        .value_kind:     hidden_remainder_z
      - .offset:         184
        .size:           8
        .value_kind:     hidden_global_offset_x
      - .offset:         192
        .size:           8
        .value_kind:     hidden_global_offset_y
      - .offset:         200
        .size:           8
        .value_kind:     hidden_global_offset_z
      - .offset:         208
        .size:           2
        .value_kind:     hidden_grid_dims
    .group_segment_fixed_size: 8192
    .kernarg_segment_align: 8
    .kernarg_segment_size: 400
    .language:       OpenCL C
    .language_version:
      - 2
      - 0
    .max_flat_workgroup_size: 256
    .name:           _Z39paged_attention_ll4mi_QKV_mfma16_kernelI14__hip_bfloat16S0_LN4vllm18Fp8KVCacheDataTypeE0ES0_Li32ELi64ELi256ELb1ELi16EL8MFMAType0EEvPKT_PKT0_S9_ifPKiSB_SB_iPKfiiiPfSE_PS4_PT2_iSD_SD_
    .private_segment_fixed_size: 0
    .sgpr_count:     52
    .sgpr_spill_count: 0
    .symbol:         _Z39paged_attention_ll4mi_QKV_mfma16_kernelI14__hip_bfloat16S0_LN4vllm18Fp8KVCacheDataTypeE0ES0_Li32ELi64ELi256ELb1ELi16EL8MFMAType0EEvPKT_PKT0_S9_ifPKiSB_SB_iPKfiiiPfSE_PS4_PT2_iSD_SD_.kd
    .uniform_work_group_size: 1
    .uses_dynamic_stack: false
    .vgpr_count:     69
    .vgpr_spill_count: 0
    .wavefront_size: 64
  - .agpr_count:     0
    .args:
      - .actual_access:  read_only
        .address_space:  global
        .offset:         0
        .size:           8
        .value_kind:     global_buffer
      - .actual_access:  read_only
        .address_space:  global
        .offset:         8
        .size:           8
        .value_kind:     global_buffer
      - .actual_access:  read_only
        .address_space:  global
        .offset:         16
        .size:           8
        .value_kind:     global_buffer
      - .offset:         24
        .size:           4
        .value_kind:     by_value
      - .offset:         28
        .size:           4
        .value_kind:     by_value
      - .actual_access:  read_only
        .address_space:  global
        .offset:         32
        .size:           8
        .value_kind:     global_buffer
      - .actual_access:  read_only
        .address_space:  global
        .offset:         40
        .size:           8
        .value_kind:     global_buffer
      - .actual_access:  read_only
        .address_space:  global
        .offset:         48
        .size:           8
        .value_kind:     global_buffer
      - .offset:         56
        .size:           4
        .value_kind:     by_value
      - .actual_access:  read_only
        .address_space:  global
        .offset:         64
        .size:           8
        .value_kind:     global_buffer
      - .offset:         72
        .size:           4
        .value_kind:     by_value
      - .offset:         76
        .size:           4
        .value_kind:     by_value
      - .offset:         80
        .size:           4
        .value_kind:     by_value
      - .actual_access:  write_only
        .address_space:  global
        .offset:         88
        .size:           8
        .value_kind:     global_buffer
      - .actual_access:  write_only
        .address_space:  global
        .offset:         96
        .size:           8
        .value_kind:     global_buffer
      - .actual_access:  write_only
        .address_space:  global
        .offset:         104
        .size:           8
        .value_kind:     global_buffer
      - .actual_access:  read_only
        .address_space:  global
        .offset:         112
        .size:           8
        .value_kind:     global_buffer
      - .offset:         120
        .size:           4
        .value_kind:     by_value
      - .address_space:  global
        .offset:         128
        .size:           8
        .value_kind:     global_buffer
      - .address_space:  global
        .offset:         136
        .size:           8
        .value_kind:     global_buffer
      - .offset:         144
        .size:           4
        .value_kind:     hidden_block_count_x
      - .offset:         148
        .size:           4
        .value_kind:     hidden_block_count_y
      - .offset:         152
        .size:           4
        .value_kind:     hidden_block_count_z
      - .offset:         156
        .size:           2
        .value_kind:     hidden_group_size_x
      - .offset:         158
        .size:           2
        .value_kind:     hidden_group_size_y
      - .offset:         160
        .size:           2
        .value_kind:     hidden_group_size_z
      - .offset:         162
        .size:           2
        .value_kind:     hidden_remainder_x
      - .offset:         164
        .size:           2
        .value_kind:     hidden_remainder_y
      - .offset:         166
        .size:           2
        .value_kind:     hidden_remainder_z
      - .offset:         184
        .size:           8
        .value_kind:     hidden_global_offset_x
      - .offset:         192
        .size:           8
        .value_kind:     hidden_global_offset_y
      - .offset:         200
        .size:           8
        .value_kind:     hidden_global_offset_z
      - .offset:         208
        .size:           2
        .value_kind:     hidden_grid_dims
    .group_segment_fixed_size: 8192
    .kernarg_segment_align: 8
    .kernarg_segment_size: 400
    .language:       OpenCL C
    .language_version:
      - 2
      - 0
    .max_flat_workgroup_size: 256
    .name:           _Z39paged_attention_ll4mi_QKV_mfma16_kernelI14__hip_bfloat16S0_LN4vllm18Fp8KVCacheDataTypeE0ES0_Li32ELi64ELi256ELb1ELi1EL8MFMAType0EEvPKT_PKT0_S9_ifPKiSB_SB_iPKfiiiPfSE_PS4_PT2_iSD_SD_
    .private_segment_fixed_size: 0
    .sgpr_count:     52
    .sgpr_spill_count: 0
    .symbol:         _Z39paged_attention_ll4mi_QKV_mfma16_kernelI14__hip_bfloat16S0_LN4vllm18Fp8KVCacheDataTypeE0ES0_Li32ELi64ELi256ELb1ELi1EL8MFMAType0EEvPKT_PKT0_S9_ifPKiSB_SB_iPKfiiiPfSE_PS4_PT2_iSD_SD_.kd
    .uniform_work_group_size: 1
    .uses_dynamic_stack: false
    .vgpr_count:     67
    .vgpr_spill_count: 0
    .wavefront_size: 64
  - .agpr_count:     0
    .args:
      - .actual_access:  read_only
        .address_space:  global
        .offset:         0
        .size:           8
        .value_kind:     global_buffer
      - .actual_access:  read_only
        .address_space:  global
        .offset:         8
        .size:           8
        .value_kind:     global_buffer
      - .actual_access:  read_only
        .address_space:  global
        .offset:         16
        .size:           8
        .value_kind:     global_buffer
      - .offset:         24
        .size:           4
        .value_kind:     by_value
      - .offset:         28
        .size:           4
        .value_kind:     by_value
      - .actual_access:  read_only
        .address_space:  global
        .offset:         32
        .size:           8
        .value_kind:     global_buffer
      - .actual_access:  read_only
        .address_space:  global
        .offset:         40
        .size:           8
        .value_kind:     global_buffer
      - .actual_access:  read_only
        .address_space:  global
        .offset:         48
        .size:           8
        .value_kind:     global_buffer
      - .offset:         56
        .size:           4
        .value_kind:     by_value
      - .actual_access:  read_only
        .address_space:  global
        .offset:         64
        .size:           8
        .value_kind:     global_buffer
      - .offset:         72
        .size:           4
        .value_kind:     by_value
      - .offset:         76
        .size:           4
        .value_kind:     by_value
      - .offset:         80
        .size:           4
        .value_kind:     by_value
      - .actual_access:  write_only
        .address_space:  global
        .offset:         88
        .size:           8
        .value_kind:     global_buffer
      - .actual_access:  write_only
        .address_space:  global
        .offset:         96
        .size:           8
        .value_kind:     global_buffer
      - .actual_access:  write_only
        .address_space:  global
        .offset:         104
        .size:           8
        .value_kind:     global_buffer
      - .actual_access:  read_only
        .address_space:  global
        .offset:         112
        .size:           8
        .value_kind:     global_buffer
      - .offset:         120
        .size:           4
        .value_kind:     by_value
      - .address_space:  global
        .offset:         128
        .size:           8
        .value_kind:     global_buffer
      - .address_space:  global
        .offset:         136
        .size:           8
        .value_kind:     global_buffer
      - .offset:         144
        .size:           4
        .value_kind:     hidden_block_count_x
      - .offset:         148
        .size:           4
        .value_kind:     hidden_block_count_y
      - .offset:         152
        .size:           4
        .value_kind:     hidden_block_count_z
      - .offset:         156
        .size:           2
        .value_kind:     hidden_group_size_x
      - .offset:         158
        .size:           2
        .value_kind:     hidden_group_size_y
      - .offset:         160
        .size:           2
        .value_kind:     hidden_group_size_z
      - .offset:         162
        .size:           2
        .value_kind:     hidden_remainder_x
      - .offset:         164
        .size:           2
        .value_kind:     hidden_remainder_y
      - .offset:         166
        .size:           2
        .value_kind:     hidden_remainder_z
      - .offset:         184
        .size:           8
        .value_kind:     hidden_global_offset_x
      - .offset:         192
        .size:           8
        .value_kind:     hidden_global_offset_y
      - .offset:         200
        .size:           8
        .value_kind:     hidden_global_offset_z
      - .offset:         208
        .size:           2
        .value_kind:     hidden_grid_dims
    .group_segment_fixed_size: 8192
    .kernarg_segment_align: 8
    .kernarg_segment_size: 400
    .language:       OpenCL C
    .language_version:
      - 2
      - 0
    .max_flat_workgroup_size: 256
    .name:           _Z39paged_attention_ll4mi_QKV_mfma16_kernelI14__hip_bfloat16S0_LN4vllm18Fp8KVCacheDataTypeE0ES0_Li32ELi64ELi256ELb1ELi2EL8MFMAType0EEvPKT_PKT0_S9_ifPKiSB_SB_iPKfiiiPfSE_PS4_PT2_iSD_SD_
    .private_segment_fixed_size: 0
    .sgpr_count:     52
    .sgpr_spill_count: 0
    .symbol:         _Z39paged_attention_ll4mi_QKV_mfma16_kernelI14__hip_bfloat16S0_LN4vllm18Fp8KVCacheDataTypeE0ES0_Li32ELi64ELi256ELb1ELi2EL8MFMAType0EEvPKT_PKT0_S9_ifPKiSB_SB_iPKfiiiPfSE_PS4_PT2_iSD_SD_.kd
    .uniform_work_group_size: 1
    .uses_dynamic_stack: false
    .vgpr_count:     67
    .vgpr_spill_count: 0
    .wavefront_size: 64
  - .agpr_count:     0
    .args:
      - .actual_access:  read_only
        .address_space:  global
        .offset:         0
        .size:           8
        .value_kind:     global_buffer
      - .actual_access:  read_only
        .address_space:  global
        .offset:         8
        .size:           8
        .value_kind:     global_buffer
      - .actual_access:  read_only
        .address_space:  global
        .offset:         16
        .size:           8
        .value_kind:     global_buffer
      - .offset:         24
        .size:           4
        .value_kind:     by_value
      - .offset:         28
        .size:           4
        .value_kind:     by_value
      - .actual_access:  read_only
        .address_space:  global
        .offset:         32
        .size:           8
        .value_kind:     global_buffer
      - .actual_access:  read_only
        .address_space:  global
        .offset:         40
        .size:           8
        .value_kind:     global_buffer
      - .actual_access:  read_only
        .address_space:  global
        .offset:         48
        .size:           8
        .value_kind:     global_buffer
      - .offset:         56
        .size:           4
        .value_kind:     by_value
      - .actual_access:  read_only
        .address_space:  global
        .offset:         64
        .size:           8
        .value_kind:     global_buffer
      - .offset:         72
        .size:           4
        .value_kind:     by_value
      - .offset:         76
        .size:           4
        .value_kind:     by_value
      - .offset:         80
        .size:           4
        .value_kind:     by_value
      - .actual_access:  write_only
        .address_space:  global
        .offset:         88
        .size:           8
        .value_kind:     global_buffer
      - .actual_access:  write_only
        .address_space:  global
        .offset:         96
        .size:           8
        .value_kind:     global_buffer
      - .actual_access:  write_only
        .address_space:  global
        .offset:         104
        .size:           8
        .value_kind:     global_buffer
      - .actual_access:  read_only
        .address_space:  global
        .offset:         112
        .size:           8
        .value_kind:     global_buffer
      - .offset:         120
        .size:           4
        .value_kind:     by_value
      - .address_space:  global
        .offset:         128
        .size:           8
        .value_kind:     global_buffer
      - .address_space:  global
        .offset:         136
        .size:           8
        .value_kind:     global_buffer
      - .offset:         144
        .size:           4
        .value_kind:     hidden_block_count_x
      - .offset:         148
        .size:           4
        .value_kind:     hidden_block_count_y
      - .offset:         152
        .size:           4
        .value_kind:     hidden_block_count_z
      - .offset:         156
        .size:           2
        .value_kind:     hidden_group_size_x
      - .offset:         158
        .size:           2
        .value_kind:     hidden_group_size_y
      - .offset:         160
        .size:           2
        .value_kind:     hidden_group_size_z
      - .offset:         162
        .size:           2
        .value_kind:     hidden_remainder_x
      - .offset:         164
        .size:           2
        .value_kind:     hidden_remainder_y
      - .offset:         166
        .size:           2
        .value_kind:     hidden_remainder_z
      - .offset:         184
        .size:           8
        .value_kind:     hidden_global_offset_x
      - .offset:         192
        .size:           8
        .value_kind:     hidden_global_offset_y
      - .offset:         200
        .size:           8
        .value_kind:     hidden_global_offset_z
      - .offset:         208
        .size:           2
        .value_kind:     hidden_grid_dims
    .group_segment_fixed_size: 8192
    .kernarg_segment_align: 8
    .kernarg_segment_size: 400
    .language:       OpenCL C
    .language_version:
      - 2
      - 0
    .max_flat_workgroup_size: 256
    .name:           _Z39paged_attention_ll4mi_QKV_mfma16_kernelI14__hip_bfloat16S0_LN4vllm18Fp8KVCacheDataTypeE0ES0_Li32ELi64ELi256ELb1ELi3EL8MFMAType0EEvPKT_PKT0_S9_ifPKiSB_SB_iPKfiiiPfSE_PS4_PT2_iSD_SD_
    .private_segment_fixed_size: 0
    .sgpr_count:     52
    .sgpr_spill_count: 0
    .symbol:         _Z39paged_attention_ll4mi_QKV_mfma16_kernelI14__hip_bfloat16S0_LN4vllm18Fp8KVCacheDataTypeE0ES0_Li32ELi64ELi256ELb1ELi3EL8MFMAType0EEvPKT_PKT0_S9_ifPKiSB_SB_iPKfiiiPfSE_PS4_PT2_iSD_SD_.kd
    .uniform_work_group_size: 1
    .uses_dynamic_stack: false
    .vgpr_count:     67
    .vgpr_spill_count: 0
    .wavefront_size: 64
  - .agpr_count:     0
    .args:
      - .actual_access:  read_only
        .address_space:  global
        .offset:         0
        .size:           8
        .value_kind:     global_buffer
      - .actual_access:  read_only
        .address_space:  global
        .offset:         8
        .size:           8
        .value_kind:     global_buffer
      - .actual_access:  read_only
        .address_space:  global
        .offset:         16
        .size:           8
        .value_kind:     global_buffer
      - .offset:         24
        .size:           4
        .value_kind:     by_value
      - .offset:         28
        .size:           4
        .value_kind:     by_value
      - .actual_access:  read_only
        .address_space:  global
        .offset:         32
        .size:           8
        .value_kind:     global_buffer
      - .actual_access:  read_only
        .address_space:  global
        .offset:         40
        .size:           8
        .value_kind:     global_buffer
      - .actual_access:  read_only
        .address_space:  global
        .offset:         48
        .size:           8
        .value_kind:     global_buffer
      - .offset:         56
        .size:           4
        .value_kind:     by_value
      - .actual_access:  read_only
        .address_space:  global
        .offset:         64
        .size:           8
        .value_kind:     global_buffer
      - .offset:         72
        .size:           4
        .value_kind:     by_value
      - .offset:         76
        .size:           4
        .value_kind:     by_value
      - .offset:         80
        .size:           4
        .value_kind:     by_value
      - .actual_access:  write_only
        .address_space:  global
        .offset:         88
        .size:           8
        .value_kind:     global_buffer
      - .actual_access:  write_only
        .address_space:  global
        .offset:         96
        .size:           8
        .value_kind:     global_buffer
      - .actual_access:  write_only
        .address_space:  global
        .offset:         104
        .size:           8
        .value_kind:     global_buffer
      - .actual_access:  read_only
        .address_space:  global
        .offset:         112
        .size:           8
        .value_kind:     global_buffer
      - .offset:         120
        .size:           4
        .value_kind:     by_value
      - .address_space:  global
        .offset:         128
        .size:           8
        .value_kind:     global_buffer
      - .address_space:  global
        .offset:         136
        .size:           8
        .value_kind:     global_buffer
      - .offset:         144
        .size:           4
        .value_kind:     hidden_block_count_x
      - .offset:         148
        .size:           4
        .value_kind:     hidden_block_count_y
      - .offset:         152
        .size:           4
        .value_kind:     hidden_block_count_z
      - .offset:         156
        .size:           2
        .value_kind:     hidden_group_size_x
      - .offset:         158
        .size:           2
        .value_kind:     hidden_group_size_y
      - .offset:         160
        .size:           2
        .value_kind:     hidden_group_size_z
      - .offset:         162
        .size:           2
        .value_kind:     hidden_remainder_x
      - .offset:         164
        .size:           2
        .value_kind:     hidden_remainder_y
      - .offset:         166
        .size:           2
        .value_kind:     hidden_remainder_z
      - .offset:         184
        .size:           8
        .value_kind:     hidden_global_offset_x
      - .offset:         192
        .size:           8
        .value_kind:     hidden_global_offset_y
      - .offset:         200
        .size:           8
        .value_kind:     hidden_global_offset_z
      - .offset:         208
        .size:           2
        .value_kind:     hidden_grid_dims
    .group_segment_fixed_size: 8192
    .kernarg_segment_align: 8
    .kernarg_segment_size: 400
    .language:       OpenCL C
    .language_version:
      - 2
      - 0
    .max_flat_workgroup_size: 256
    .name:           _Z39paged_attention_ll4mi_QKV_mfma16_kernelI14__hip_bfloat16S0_LN4vllm18Fp8KVCacheDataTypeE0ES0_Li32ELi64ELi256ELb1ELi4EL8MFMAType0EEvPKT_PKT0_S9_ifPKiSB_SB_iPKfiiiPfSE_PS4_PT2_iSD_SD_
    .private_segment_fixed_size: 0
    .sgpr_count:     50
    .sgpr_spill_count: 0
    .symbol:         _Z39paged_attention_ll4mi_QKV_mfma16_kernelI14__hip_bfloat16S0_LN4vllm18Fp8KVCacheDataTypeE0ES0_Li32ELi64ELi256ELb1ELi4EL8MFMAType0EEvPKT_PKT0_S9_ifPKiSB_SB_iPKfiiiPfSE_PS4_PT2_iSD_SD_.kd
    .uniform_work_group_size: 1
    .uses_dynamic_stack: false
    .vgpr_count:     68
    .vgpr_spill_count: 0
    .wavefront_size: 64
  - .agpr_count:     4
    .args:
      - .actual_access:  read_only
        .address_space:  global
        .offset:         0
        .size:           8
        .value_kind:     global_buffer
      - .actual_access:  read_only
        .address_space:  global
        .offset:         8
        .size:           8
        .value_kind:     global_buffer
      - .actual_access:  read_only
        .address_space:  global
        .offset:         16
        .size:           8
        .value_kind:     global_buffer
      - .offset:         24
        .size:           4
        .value_kind:     by_value
      - .offset:         28
        .size:           4
        .value_kind:     by_value
      - .actual_access:  read_only
        .address_space:  global
        .offset:         32
        .size:           8
        .value_kind:     global_buffer
      - .actual_access:  read_only
        .address_space:  global
        .offset:         40
        .size:           8
        .value_kind:     global_buffer
      - .actual_access:  read_only
        .address_space:  global
        .offset:         48
        .size:           8
        .value_kind:     global_buffer
      - .offset:         56
        .size:           4
        .value_kind:     by_value
      - .actual_access:  read_only
        .address_space:  global
        .offset:         64
        .size:           8
        .value_kind:     global_buffer
      - .offset:         72
        .size:           4
        .value_kind:     by_value
      - .offset:         76
        .size:           4
        .value_kind:     by_value
      - .offset:         80
        .size:           4
        .value_kind:     by_value
      - .actual_access:  write_only
        .address_space:  global
        .offset:         88
        .size:           8
        .value_kind:     global_buffer
      - .actual_access:  write_only
        .address_space:  global
        .offset:         96
        .size:           8
        .value_kind:     global_buffer
      - .actual_access:  write_only
        .address_space:  global
        .offset:         104
        .size:           8
        .value_kind:     global_buffer
      - .actual_access:  read_only
        .address_space:  global
        .offset:         112
        .size:           8
        .value_kind:     global_buffer
      - .offset:         120
        .size:           4
        .value_kind:     by_value
      - .address_space:  global
        .offset:         128
        .size:           8
        .value_kind:     global_buffer
      - .address_space:  global
        .offset:         136
        .size:           8
        .value_kind:     global_buffer
      - .offset:         144
        .size:           4
        .value_kind:     hidden_block_count_x
      - .offset:         148
        .size:           4
        .value_kind:     hidden_block_count_y
      - .offset:         152
        .size:           4
        .value_kind:     hidden_block_count_z
      - .offset:         156
        .size:           2
        .value_kind:     hidden_group_size_x
      - .offset:         158
        .size:           2
        .value_kind:     hidden_group_size_y
      - .offset:         160
        .size:           2
        .value_kind:     hidden_group_size_z
      - .offset:         162
        .size:           2
        .value_kind:     hidden_remainder_x
      - .offset:         164
        .size:           2
        .value_kind:     hidden_remainder_y
      - .offset:         166
        .size:           2
        .value_kind:     hidden_remainder_z
      - .offset:         184
        .size:           8
        .value_kind:     hidden_global_offset_x
      - .offset:         192
        .size:           8
        .value_kind:     hidden_global_offset_y
      - .offset:         200
        .size:           8
        .value_kind:     hidden_global_offset_z
      - .offset:         208
        .size:           2
        .value_kind:     hidden_grid_dims
    .group_segment_fixed_size: 2720
    .kernarg_segment_align: 8
    .kernarg_segment_size: 400
    .language:       OpenCL C
    .language_version:
      - 2
      - 0
    .max_flat_workgroup_size: 256
    .name:           _Z38paged_attention_ll4mi_QKV_mfma4_kernelI14__hip_bfloat16S0_LN4vllm18Fp8KVCacheDataTypeE0ES0_Li32ELi64ELi256ELb0ELi1EEvPKT_PKT0_S8_ifPKiSA_SA_iPKfiiiPfSD_PS3_PT2_iSC_SC_
    .private_segment_fixed_size: 0
    .sgpr_count:     42
    .sgpr_spill_count: 0
    .symbol:         _Z38paged_attention_ll4mi_QKV_mfma4_kernelI14__hip_bfloat16S0_LN4vllm18Fp8KVCacheDataTypeE0ES0_Li32ELi64ELi256ELb0ELi1EEvPKT_PKT0_S8_ifPKiSA_SA_iPKfiiiPfSD_PS3_PT2_iSC_SC_.kd
    .uniform_work_group_size: 1
    .uses_dynamic_stack: false
    .vgpr_count:     64
    .vgpr_spill_count: 0
    .wavefront_size: 64
  - .agpr_count:     4
    .args:
      - .actual_access:  read_only
        .address_space:  global
        .offset:         0
        .size:           8
        .value_kind:     global_buffer
      - .actual_access:  read_only
        .address_space:  global
        .offset:         8
        .size:           8
        .value_kind:     global_buffer
      - .actual_access:  read_only
        .address_space:  global
        .offset:         16
        .size:           8
        .value_kind:     global_buffer
      - .offset:         24
        .size:           4
        .value_kind:     by_value
      - .offset:         28
        .size:           4
        .value_kind:     by_value
      - .actual_access:  read_only
        .address_space:  global
        .offset:         32
        .size:           8
        .value_kind:     global_buffer
      - .actual_access:  read_only
        .address_space:  global
        .offset:         40
        .size:           8
        .value_kind:     global_buffer
      - .actual_access:  read_only
        .address_space:  global
        .offset:         48
        .size:           8
        .value_kind:     global_buffer
      - .offset:         56
        .size:           4
        .value_kind:     by_value
      - .actual_access:  read_only
        .address_space:  global
        .offset:         64
        .size:           8
        .value_kind:     global_buffer
      - .offset:         72
        .size:           4
        .value_kind:     by_value
      - .offset:         76
        .size:           4
        .value_kind:     by_value
      - .offset:         80
        .size:           4
        .value_kind:     by_value
      - .actual_access:  write_only
        .address_space:  global
        .offset:         88
        .size:           8
        .value_kind:     global_buffer
      - .actual_access:  write_only
        .address_space:  global
        .offset:         96
        .size:           8
        .value_kind:     global_buffer
      - .actual_access:  write_only
        .address_space:  global
        .offset:         104
        .size:           8
        .value_kind:     global_buffer
      - .actual_access:  read_only
        .address_space:  global
        .offset:         112
        .size:           8
        .value_kind:     global_buffer
      - .offset:         120
        .size:           4
        .value_kind:     by_value
      - .address_space:  global
        .offset:         128
        .size:           8
        .value_kind:     global_buffer
      - .address_space:  global
        .offset:         136
        .size:           8
        .value_kind:     global_buffer
      - .offset:         144
        .size:           4
        .value_kind:     hidden_block_count_x
      - .offset:         148
        .size:           4
        .value_kind:     hidden_block_count_y
      - .offset:         152
        .size:           4
        .value_kind:     hidden_block_count_z
      - .offset:         156
        .size:           2
        .value_kind:     hidden_group_size_x
      - .offset:         158
        .size:           2
        .value_kind:     hidden_group_size_y
      - .offset:         160
        .size:           2
        .value_kind:     hidden_group_size_z
      - .offset:         162
        .size:           2
        .value_kind:     hidden_remainder_x
      - .offset:         164
        .size:           2
        .value_kind:     hidden_remainder_y
      - .offset:         166
        .size:           2
        .value_kind:     hidden_remainder_z
      - .offset:         184
        .size:           8
        .value_kind:     hidden_global_offset_x
      - .offset:         192
        .size:           8
        .value_kind:     hidden_global_offset_y
      - .offset:         200
        .size:           8
        .value_kind:     hidden_global_offset_z
      - .offset:         208
        .size:           2
        .value_kind:     hidden_grid_dims
    .group_segment_fixed_size: 2720
    .kernarg_segment_align: 8
    .kernarg_segment_size: 400
    .language:       OpenCL C
    .language_version:
      - 2
      - 0
    .max_flat_workgroup_size: 256
    .name:           _Z38paged_attention_ll4mi_QKV_mfma4_kernelI14__hip_bfloat16S0_LN4vllm18Fp8KVCacheDataTypeE0ES0_Li32ELi64ELi256ELb0ELi2EEvPKT_PKT0_S8_ifPKiSA_SA_iPKfiiiPfSD_PS3_PT2_iSC_SC_
    .private_segment_fixed_size: 0
    .sgpr_count:     42
    .sgpr_spill_count: 0
    .symbol:         _Z38paged_attention_ll4mi_QKV_mfma4_kernelI14__hip_bfloat16S0_LN4vllm18Fp8KVCacheDataTypeE0ES0_Li32ELi64ELi256ELb0ELi2EEvPKT_PKT0_S8_ifPKiSA_SA_iPKfiiiPfSD_PS3_PT2_iSC_SC_.kd
    .uniform_work_group_size: 1
    .uses_dynamic_stack: false
    .vgpr_count:     64
    .vgpr_spill_count: 0
    .wavefront_size: 64
  - .agpr_count:     4
    .args:
      - .actual_access:  read_only
        .address_space:  global
        .offset:         0
        .size:           8
        .value_kind:     global_buffer
      - .actual_access:  read_only
        .address_space:  global
        .offset:         8
        .size:           8
        .value_kind:     global_buffer
      - .actual_access:  read_only
        .address_space:  global
        .offset:         16
        .size:           8
        .value_kind:     global_buffer
      - .offset:         24
        .size:           4
        .value_kind:     by_value
      - .offset:         28
        .size:           4
        .value_kind:     by_value
      - .actual_access:  read_only
        .address_space:  global
        .offset:         32
        .size:           8
        .value_kind:     global_buffer
      - .actual_access:  read_only
        .address_space:  global
        .offset:         40
        .size:           8
        .value_kind:     global_buffer
      - .actual_access:  read_only
        .address_space:  global
        .offset:         48
        .size:           8
        .value_kind:     global_buffer
      - .offset:         56
        .size:           4
        .value_kind:     by_value
      - .actual_access:  read_only
        .address_space:  global
        .offset:         64
        .size:           8
        .value_kind:     global_buffer
      - .offset:         72
        .size:           4
        .value_kind:     by_value
      - .offset:         76
        .size:           4
        .value_kind:     by_value
      - .offset:         80
        .size:           4
        .value_kind:     by_value
      - .actual_access:  write_only
        .address_space:  global
        .offset:         88
        .size:           8
        .value_kind:     global_buffer
      - .actual_access:  write_only
        .address_space:  global
        .offset:         96
        .size:           8
        .value_kind:     global_buffer
      - .actual_access:  write_only
        .address_space:  global
        .offset:         104
        .size:           8
        .value_kind:     global_buffer
      - .actual_access:  read_only
        .address_space:  global
        .offset:         112
        .size:           8
        .value_kind:     global_buffer
      - .offset:         120
        .size:           4
        .value_kind:     by_value
      - .address_space:  global
        .offset:         128
        .size:           8
        .value_kind:     global_buffer
      - .address_space:  global
        .offset:         136
        .size:           8
        .value_kind:     global_buffer
      - .offset:         144
        .size:           4
        .value_kind:     hidden_block_count_x
      - .offset:         148
        .size:           4
        .value_kind:     hidden_block_count_y
      - .offset:         152
        .size:           4
        .value_kind:     hidden_block_count_z
      - .offset:         156
        .size:           2
        .value_kind:     hidden_group_size_x
      - .offset:         158
        .size:           2
        .value_kind:     hidden_group_size_y
      - .offset:         160
        .size:           2
        .value_kind:     hidden_group_size_z
      - .offset:         162
        .size:           2
        .value_kind:     hidden_remainder_x
      - .offset:         164
        .size:           2
        .value_kind:     hidden_remainder_y
      - .offset:         166
        .size:           2
        .value_kind:     hidden_remainder_z
      - .offset:         184
        .size:           8
        .value_kind:     hidden_global_offset_x
      - .offset:         192
        .size:           8
        .value_kind:     hidden_global_offset_y
      - .offset:         200
        .size:           8
        .value_kind:     hidden_global_offset_z
      - .offset:         208
        .size:           2
        .value_kind:     hidden_grid_dims
    .group_segment_fixed_size: 2720
    .kernarg_segment_align: 8
    .kernarg_segment_size: 400
    .language:       OpenCL C
    .language_version:
      - 2
      - 0
    .max_flat_workgroup_size: 256
    .name:           _Z38paged_attention_ll4mi_QKV_mfma4_kernelI14__hip_bfloat16S0_LN4vllm18Fp8KVCacheDataTypeE0ES0_Li32ELi64ELi256ELb0ELi3EEvPKT_PKT0_S8_ifPKiSA_SA_iPKfiiiPfSD_PS3_PT2_iSC_SC_
    .private_segment_fixed_size: 0
    .sgpr_count:     42
    .sgpr_spill_count: 0
    .symbol:         _Z38paged_attention_ll4mi_QKV_mfma4_kernelI14__hip_bfloat16S0_LN4vllm18Fp8KVCacheDataTypeE0ES0_Li32ELi64ELi256ELb0ELi3EEvPKT_PKT0_S8_ifPKiSA_SA_iPKfiiiPfSD_PS3_PT2_iSC_SC_.kd
    .uniform_work_group_size: 1
    .uses_dynamic_stack: false
    .vgpr_count:     64
    .vgpr_spill_count: 0
    .wavefront_size: 64
  - .agpr_count:     4
    .args:
      - .actual_access:  read_only
        .address_space:  global
        .offset:         0
        .size:           8
        .value_kind:     global_buffer
      - .actual_access:  read_only
        .address_space:  global
        .offset:         8
        .size:           8
        .value_kind:     global_buffer
      - .actual_access:  read_only
        .address_space:  global
        .offset:         16
        .size:           8
        .value_kind:     global_buffer
      - .offset:         24
        .size:           4
        .value_kind:     by_value
      - .offset:         28
        .size:           4
        .value_kind:     by_value
      - .actual_access:  read_only
        .address_space:  global
        .offset:         32
        .size:           8
        .value_kind:     global_buffer
      - .actual_access:  read_only
        .address_space:  global
        .offset:         40
        .size:           8
        .value_kind:     global_buffer
      - .actual_access:  read_only
        .address_space:  global
        .offset:         48
        .size:           8
        .value_kind:     global_buffer
      - .offset:         56
        .size:           4
        .value_kind:     by_value
      - .actual_access:  read_only
        .address_space:  global
        .offset:         64
        .size:           8
        .value_kind:     global_buffer
      - .offset:         72
        .size:           4
        .value_kind:     by_value
      - .offset:         76
        .size:           4
        .value_kind:     by_value
      - .offset:         80
        .size:           4
        .value_kind:     by_value
      - .actual_access:  write_only
        .address_space:  global
        .offset:         88
        .size:           8
        .value_kind:     global_buffer
      - .actual_access:  write_only
        .address_space:  global
        .offset:         96
        .size:           8
        .value_kind:     global_buffer
      - .actual_access:  write_only
        .address_space:  global
        .offset:         104
        .size:           8
        .value_kind:     global_buffer
      - .actual_access:  read_only
        .address_space:  global
        .offset:         112
        .size:           8
        .value_kind:     global_buffer
      - .offset:         120
        .size:           4
        .value_kind:     by_value
      - .address_space:  global
        .offset:         128
        .size:           8
        .value_kind:     global_buffer
      - .address_space:  global
        .offset:         136
        .size:           8
        .value_kind:     global_buffer
      - .offset:         144
        .size:           4
        .value_kind:     hidden_block_count_x
      - .offset:         148
        .size:           4
        .value_kind:     hidden_block_count_y
      - .offset:         152
        .size:           4
        .value_kind:     hidden_block_count_z
      - .offset:         156
        .size:           2
        .value_kind:     hidden_group_size_x
      - .offset:         158
        .size:           2
        .value_kind:     hidden_group_size_y
      - .offset:         160
        .size:           2
        .value_kind:     hidden_group_size_z
      - .offset:         162
        .size:           2
        .value_kind:     hidden_remainder_x
      - .offset:         164
        .size:           2
        .value_kind:     hidden_remainder_y
      - .offset:         166
        .size:           2
        .value_kind:     hidden_remainder_z
      - .offset:         184
        .size:           8
        .value_kind:     hidden_global_offset_x
      - .offset:         192
        .size:           8
        .value_kind:     hidden_global_offset_y
      - .offset:         200
        .size:           8
        .value_kind:     hidden_global_offset_z
      - .offset:         208
        .size:           2
        .value_kind:     hidden_grid_dims
    .group_segment_fixed_size: 2720
    .kernarg_segment_align: 8
    .kernarg_segment_size: 400
    .language:       OpenCL C
    .language_version:
      - 2
      - 0
    .max_flat_workgroup_size: 256
    .name:           _Z38paged_attention_ll4mi_QKV_mfma4_kernelI14__hip_bfloat16S0_LN4vllm18Fp8KVCacheDataTypeE0ES0_Li32ELi64ELi256ELb0ELi4EEvPKT_PKT0_S8_ifPKiSA_SA_iPKfiiiPfSD_PS3_PT2_iSC_SC_
    .private_segment_fixed_size: 0
    .sgpr_count:     44
    .sgpr_spill_count: 0
    .symbol:         _Z38paged_attention_ll4mi_QKV_mfma4_kernelI14__hip_bfloat16S0_LN4vllm18Fp8KVCacheDataTypeE0ES0_Li32ELi64ELi256ELb0ELi4EEvPKT_PKT0_S8_ifPKiSA_SA_iPKfiiiPfSD_PS3_PT2_iSC_SC_.kd
    .uniform_work_group_size: 1
    .uses_dynamic_stack: false
    .vgpr_count:     64
    .vgpr_spill_count: 0
    .wavefront_size: 64
  - .agpr_count:     0
    .args:
      - .actual_access:  read_only
        .address_space:  global
        .offset:         0
        .size:           8
        .value_kind:     global_buffer
      - .actual_access:  read_only
        .address_space:  global
        .offset:         8
        .size:           8
        .value_kind:     global_buffer
      - .actual_access:  read_only
        .address_space:  global
        .offset:         16
        .size:           8
        .value_kind:     global_buffer
      - .offset:         24
        .size:           4
        .value_kind:     by_value
      - .offset:         28
        .size:           4
        .value_kind:     by_value
      - .actual_access:  read_only
        .address_space:  global
        .offset:         32
        .size:           8
        .value_kind:     global_buffer
      - .actual_access:  read_only
        .address_space:  global
        .offset:         40
        .size:           8
        .value_kind:     global_buffer
      - .actual_access:  read_only
        .address_space:  global
        .offset:         48
        .size:           8
        .value_kind:     global_buffer
      - .offset:         56
        .size:           4
        .value_kind:     by_value
      - .actual_access:  read_only
        .address_space:  global
        .offset:         64
        .size:           8
        .value_kind:     global_buffer
      - .offset:         72
        .size:           4
        .value_kind:     by_value
      - .offset:         76
        .size:           4
        .value_kind:     by_value
      - .offset:         80
        .size:           4
        .value_kind:     by_value
      - .actual_access:  write_only
        .address_space:  global
        .offset:         88
        .size:           8
        .value_kind:     global_buffer
      - .actual_access:  write_only
        .address_space:  global
        .offset:         96
        .size:           8
        .value_kind:     global_buffer
      - .actual_access:  write_only
        .address_space:  global
        .offset:         104
        .size:           8
        .value_kind:     global_buffer
      - .actual_access:  read_only
        .address_space:  global
        .offset:         112
        .size:           8
        .value_kind:     global_buffer
      - .offset:         120
        .size:           4
        .value_kind:     by_value
      - .address_space:  global
        .offset:         128
        .size:           8
        .value_kind:     global_buffer
      - .address_space:  global
        .offset:         136
        .size:           8
        .value_kind:     global_buffer
      - .offset:         144
        .size:           4
        .value_kind:     hidden_block_count_x
      - .offset:         148
        .size:           4
        .value_kind:     hidden_block_count_y
      - .offset:         152
        .size:           4
        .value_kind:     hidden_block_count_z
      - .offset:         156
        .size:           2
        .value_kind:     hidden_group_size_x
      - .offset:         158
        .size:           2
        .value_kind:     hidden_group_size_y
      - .offset:         160
        .size:           2
        .value_kind:     hidden_group_size_z
      - .offset:         162
        .size:           2
        .value_kind:     hidden_remainder_x
      - .offset:         164
        .size:           2
        .value_kind:     hidden_remainder_y
      - .offset:         166
        .size:           2
        .value_kind:     hidden_remainder_z
      - .offset:         184
        .size:           8
        .value_kind:     hidden_global_offset_x
      - .offset:         192
        .size:           8
        .value_kind:     hidden_global_offset_y
      - .offset:         200
        .size:           8
        .value_kind:     hidden_global_offset_z
      - .offset:         208
        .size:           2
        .value_kind:     hidden_grid_dims
    .group_segment_fixed_size: 8192
    .kernarg_segment_align: 8
    .kernarg_segment_size: 400
    .language:       OpenCL C
    .language_version:
      - 2
      - 0
    .max_flat_workgroup_size: 256
    .name:           _Z39paged_attention_ll4mi_QKV_mfma16_kernelI14__hip_bfloat16S0_LN4vllm18Fp8KVCacheDataTypeE0ES0_Li32ELi64ELi256ELb0ELi5EL8MFMAType0EEvPKT_PKT0_S9_ifPKiSB_SB_iPKfiiiPfSE_PS4_PT2_iSD_SD_
    .private_segment_fixed_size: 0
    .sgpr_count:     52
    .sgpr_spill_count: 0
    .symbol:         _Z39paged_attention_ll4mi_QKV_mfma16_kernelI14__hip_bfloat16S0_LN4vllm18Fp8KVCacheDataTypeE0ES0_Li32ELi64ELi256ELb0ELi5EL8MFMAType0EEvPKT_PKT0_S9_ifPKiSB_SB_iPKfiiiPfSE_PS4_PT2_iSD_SD_.kd
    .uniform_work_group_size: 1
    .uses_dynamic_stack: false
    .vgpr_count:     66
    .vgpr_spill_count: 0
    .wavefront_size: 64
  - .agpr_count:     0
    .args:
      - .actual_access:  read_only
        .address_space:  global
        .offset:         0
        .size:           8
        .value_kind:     global_buffer
      - .actual_access:  read_only
        .address_space:  global
        .offset:         8
        .size:           8
        .value_kind:     global_buffer
      - .actual_access:  read_only
        .address_space:  global
        .offset:         16
        .size:           8
        .value_kind:     global_buffer
      - .offset:         24
        .size:           4
        .value_kind:     by_value
      - .offset:         28
        .size:           4
        .value_kind:     by_value
      - .actual_access:  read_only
        .address_space:  global
        .offset:         32
        .size:           8
        .value_kind:     global_buffer
      - .actual_access:  read_only
        .address_space:  global
        .offset:         40
        .size:           8
        .value_kind:     global_buffer
      - .actual_access:  read_only
        .address_space:  global
        .offset:         48
        .size:           8
        .value_kind:     global_buffer
      - .offset:         56
        .size:           4
        .value_kind:     by_value
      - .actual_access:  read_only
        .address_space:  global
        .offset:         64
        .size:           8
        .value_kind:     global_buffer
      - .offset:         72
        .size:           4
        .value_kind:     by_value
      - .offset:         76
        .size:           4
        .value_kind:     by_value
      - .offset:         80
        .size:           4
        .value_kind:     by_value
      - .actual_access:  write_only
        .address_space:  global
        .offset:         88
        .size:           8
        .value_kind:     global_buffer
      - .actual_access:  write_only
        .address_space:  global
        .offset:         96
        .size:           8
        .value_kind:     global_buffer
      - .actual_access:  write_only
        .address_space:  global
        .offset:         104
        .size:           8
        .value_kind:     global_buffer
      - .actual_access:  read_only
        .address_space:  global
        .offset:         112
        .size:           8
        .value_kind:     global_buffer
      - .offset:         120
        .size:           4
        .value_kind:     by_value
      - .address_space:  global
        .offset:         128
        .size:           8
        .value_kind:     global_buffer
      - .address_space:  global
        .offset:         136
        .size:           8
        .value_kind:     global_buffer
      - .offset:         144
        .size:           4
        .value_kind:     hidden_block_count_x
      - .offset:         148
        .size:           4
        .value_kind:     hidden_block_count_y
      - .offset:         152
        .size:           4
        .value_kind:     hidden_block_count_z
      - .offset:         156
        .size:           2
        .value_kind:     hidden_group_size_x
      - .offset:         158
        .size:           2
        .value_kind:     hidden_group_size_y
      - .offset:         160
        .size:           2
        .value_kind:     hidden_group_size_z
      - .offset:         162
        .size:           2
        .value_kind:     hidden_remainder_x
      - .offset:         164
        .size:           2
        .value_kind:     hidden_remainder_y
      - .offset:         166
        .size:           2
        .value_kind:     hidden_remainder_z
      - .offset:         184
        .size:           8
        .value_kind:     hidden_global_offset_x
      - .offset:         192
        .size:           8
        .value_kind:     hidden_global_offset_y
      - .offset:         200
        .size:           8
        .value_kind:     hidden_global_offset_z
      - .offset:         208
        .size:           2
        .value_kind:     hidden_grid_dims
    .group_segment_fixed_size: 8192
    .kernarg_segment_align: 8
    .kernarg_segment_size: 400
    .language:       OpenCL C
    .language_version:
      - 2
      - 0
    .max_flat_workgroup_size: 256
    .name:           _Z39paged_attention_ll4mi_QKV_mfma16_kernelI14__hip_bfloat16S0_LN4vllm18Fp8KVCacheDataTypeE0ES0_Li32ELi64ELi256ELb0ELi6EL8MFMAType0EEvPKT_PKT0_S9_ifPKiSB_SB_iPKfiiiPfSE_PS4_PT2_iSD_SD_
    .private_segment_fixed_size: 0
    .sgpr_count:     52
    .sgpr_spill_count: 0
    .symbol:         _Z39paged_attention_ll4mi_QKV_mfma16_kernelI14__hip_bfloat16S0_LN4vllm18Fp8KVCacheDataTypeE0ES0_Li32ELi64ELi256ELb0ELi6EL8MFMAType0EEvPKT_PKT0_S9_ifPKiSB_SB_iPKfiiiPfSE_PS4_PT2_iSD_SD_.kd
    .uniform_work_group_size: 1
    .uses_dynamic_stack: false
    .vgpr_count:     66
    .vgpr_spill_count: 0
    .wavefront_size: 64
  - .agpr_count:     0
    .args:
      - .actual_access:  read_only
        .address_space:  global
        .offset:         0
        .size:           8
        .value_kind:     global_buffer
      - .actual_access:  read_only
        .address_space:  global
        .offset:         8
        .size:           8
        .value_kind:     global_buffer
      - .actual_access:  read_only
        .address_space:  global
        .offset:         16
        .size:           8
        .value_kind:     global_buffer
      - .offset:         24
        .size:           4
        .value_kind:     by_value
      - .offset:         28
        .size:           4
        .value_kind:     by_value
      - .actual_access:  read_only
        .address_space:  global
        .offset:         32
        .size:           8
        .value_kind:     global_buffer
      - .actual_access:  read_only
        .address_space:  global
        .offset:         40
        .size:           8
        .value_kind:     global_buffer
      - .actual_access:  read_only
        .address_space:  global
        .offset:         48
        .size:           8
        .value_kind:     global_buffer
      - .offset:         56
        .size:           4
        .value_kind:     by_value
      - .actual_access:  read_only
        .address_space:  global
        .offset:         64
        .size:           8
        .value_kind:     global_buffer
      - .offset:         72
        .size:           4
        .value_kind:     by_value
      - .offset:         76
        .size:           4
        .value_kind:     by_value
      - .offset:         80
        .size:           4
        .value_kind:     by_value
      - .actual_access:  write_only
        .address_space:  global
        .offset:         88
        .size:           8
        .value_kind:     global_buffer
      - .actual_access:  write_only
        .address_space:  global
        .offset:         96
        .size:           8
        .value_kind:     global_buffer
      - .actual_access:  write_only
        .address_space:  global
        .offset:         104
        .size:           8
        .value_kind:     global_buffer
      - .actual_access:  read_only
        .address_space:  global
        .offset:         112
        .size:           8
        .value_kind:     global_buffer
      - .offset:         120
        .size:           4
        .value_kind:     by_value
      - .address_space:  global
        .offset:         128
        .size:           8
        .value_kind:     global_buffer
      - .address_space:  global
        .offset:         136
        .size:           8
        .value_kind:     global_buffer
      - .offset:         144
        .size:           4
        .value_kind:     hidden_block_count_x
      - .offset:         148
        .size:           4
        .value_kind:     hidden_block_count_y
      - .offset:         152
        .size:           4
        .value_kind:     hidden_block_count_z
      - .offset:         156
        .size:           2
        .value_kind:     hidden_group_size_x
      - .offset:         158
        .size:           2
        .value_kind:     hidden_group_size_y
      - .offset:         160
        .size:           2
        .value_kind:     hidden_group_size_z
      - .offset:         162
        .size:           2
        .value_kind:     hidden_remainder_x
      - .offset:         164
        .size:           2
        .value_kind:     hidden_remainder_y
      - .offset:         166
        .size:           2
        .value_kind:     hidden_remainder_z
      - .offset:         184
        .size:           8
        .value_kind:     hidden_global_offset_x
      - .offset:         192
        .size:           8
        .value_kind:     hidden_global_offset_y
      - .offset:         200
        .size:           8
        .value_kind:     hidden_global_offset_z
      - .offset:         208
        .size:           2
        .value_kind:     hidden_grid_dims
    .group_segment_fixed_size: 8192
    .kernarg_segment_align: 8
    .kernarg_segment_size: 400
    .language:       OpenCL C
    .language_version:
      - 2
      - 0
    .max_flat_workgroup_size: 256
    .name:           _Z39paged_attention_ll4mi_QKV_mfma16_kernelI14__hip_bfloat16S0_LN4vllm18Fp8KVCacheDataTypeE0ES0_Li32ELi64ELi256ELb0ELi7EL8MFMAType0EEvPKT_PKT0_S9_ifPKiSB_SB_iPKfiiiPfSE_PS4_PT2_iSD_SD_
    .private_segment_fixed_size: 0
    .sgpr_count:     52
    .sgpr_spill_count: 0
    .symbol:         _Z39paged_attention_ll4mi_QKV_mfma16_kernelI14__hip_bfloat16S0_LN4vllm18Fp8KVCacheDataTypeE0ES0_Li32ELi64ELi256ELb0ELi7EL8MFMAType0EEvPKT_PKT0_S9_ifPKiSB_SB_iPKfiiiPfSE_PS4_PT2_iSD_SD_.kd
    .uniform_work_group_size: 1
    .uses_dynamic_stack: false
    .vgpr_count:     66
    .vgpr_spill_count: 0
    .wavefront_size: 64
  - .agpr_count:     0
    .args:
      - .actual_access:  read_only
        .address_space:  global
        .offset:         0
        .size:           8
        .value_kind:     global_buffer
      - .actual_access:  read_only
        .address_space:  global
        .offset:         8
        .size:           8
        .value_kind:     global_buffer
      - .actual_access:  read_only
        .address_space:  global
        .offset:         16
        .size:           8
        .value_kind:     global_buffer
      - .offset:         24
        .size:           4
        .value_kind:     by_value
      - .offset:         28
        .size:           4
        .value_kind:     by_value
      - .actual_access:  read_only
        .address_space:  global
        .offset:         32
        .size:           8
        .value_kind:     global_buffer
      - .actual_access:  read_only
        .address_space:  global
        .offset:         40
        .size:           8
        .value_kind:     global_buffer
      - .actual_access:  read_only
        .address_space:  global
        .offset:         48
        .size:           8
        .value_kind:     global_buffer
      - .offset:         56
        .size:           4
        .value_kind:     by_value
      - .actual_access:  read_only
        .address_space:  global
        .offset:         64
        .size:           8
        .value_kind:     global_buffer
      - .offset:         72
        .size:           4
        .value_kind:     by_value
      - .offset:         76
        .size:           4
        .value_kind:     by_value
      - .offset:         80
        .size:           4
        .value_kind:     by_value
      - .actual_access:  write_only
        .address_space:  global
        .offset:         88
        .size:           8
        .value_kind:     global_buffer
      - .actual_access:  write_only
        .address_space:  global
        .offset:         96
        .size:           8
        .value_kind:     global_buffer
      - .actual_access:  write_only
        .address_space:  global
        .offset:         104
        .size:           8
        .value_kind:     global_buffer
      - .actual_access:  read_only
        .address_space:  global
        .offset:         112
        .size:           8
        .value_kind:     global_buffer
      - .offset:         120
        .size:           4
        .value_kind:     by_value
      - .address_space:  global
        .offset:         128
        .size:           8
        .value_kind:     global_buffer
      - .address_space:  global
        .offset:         136
        .size:           8
        .value_kind:     global_buffer
      - .offset:         144
        .size:           4
        .value_kind:     hidden_block_count_x
      - .offset:         148
        .size:           4
        .value_kind:     hidden_block_count_y
      - .offset:         152
        .size:           4
        .value_kind:     hidden_block_count_z
      - .offset:         156
        .size:           2
        .value_kind:     hidden_group_size_x
      - .offset:         158
        .size:           2
        .value_kind:     hidden_group_size_y
      - .offset:         160
        .size:           2
        .value_kind:     hidden_group_size_z
      - .offset:         162
        .size:           2
        .value_kind:     hidden_remainder_x
      - .offset:         164
        .size:           2
        .value_kind:     hidden_remainder_y
      - .offset:         166
        .size:           2
        .value_kind:     hidden_remainder_z
      - .offset:         184
        .size:           8
        .value_kind:     hidden_global_offset_x
      - .offset:         192
        .size:           8
        .value_kind:     hidden_global_offset_y
      - .offset:         200
        .size:           8
        .value_kind:     hidden_global_offset_z
      - .offset:         208
        .size:           2
        .value_kind:     hidden_grid_dims
    .group_segment_fixed_size: 8192
    .kernarg_segment_align: 8
    .kernarg_segment_size: 400
    .language:       OpenCL C
    .language_version:
      - 2
      - 0
    .max_flat_workgroup_size: 256
    .name:           _Z39paged_attention_ll4mi_QKV_mfma16_kernelI14__hip_bfloat16S0_LN4vllm18Fp8KVCacheDataTypeE0ES0_Li32ELi64ELi256ELb0ELi8EL8MFMAType0EEvPKT_PKT0_S9_ifPKiSB_SB_iPKfiiiPfSE_PS4_PT2_iSD_SD_
    .private_segment_fixed_size: 0
    .sgpr_count:     52
    .sgpr_spill_count: 0
    .symbol:         _Z39paged_attention_ll4mi_QKV_mfma16_kernelI14__hip_bfloat16S0_LN4vllm18Fp8KVCacheDataTypeE0ES0_Li32ELi64ELi256ELb0ELi8EL8MFMAType0EEvPKT_PKT0_S9_ifPKiSB_SB_iPKfiiiPfSE_PS4_PT2_iSD_SD_.kd
    .uniform_work_group_size: 1
    .uses_dynamic_stack: false
    .vgpr_count:     66
    .vgpr_spill_count: 0
    .wavefront_size: 64
  - .agpr_count:     0
    .args:
      - .actual_access:  read_only
        .address_space:  global
        .offset:         0
        .size:           8
        .value_kind:     global_buffer
      - .actual_access:  read_only
        .address_space:  global
        .offset:         8
        .size:           8
        .value_kind:     global_buffer
      - .actual_access:  read_only
        .address_space:  global
        .offset:         16
        .size:           8
        .value_kind:     global_buffer
      - .offset:         24
        .size:           4
        .value_kind:     by_value
      - .offset:         28
        .size:           4
        .value_kind:     by_value
      - .actual_access:  read_only
        .address_space:  global
        .offset:         32
        .size:           8
        .value_kind:     global_buffer
      - .actual_access:  read_only
        .address_space:  global
        .offset:         40
        .size:           8
        .value_kind:     global_buffer
      - .actual_access:  read_only
        .address_space:  global
        .offset:         48
        .size:           8
        .value_kind:     global_buffer
      - .offset:         56
        .size:           4
        .value_kind:     by_value
      - .actual_access:  read_only
        .address_space:  global
        .offset:         64
        .size:           8
        .value_kind:     global_buffer
      - .offset:         72
        .size:           4
        .value_kind:     by_value
      - .offset:         76
        .size:           4
        .value_kind:     by_value
      - .offset:         80
        .size:           4
        .value_kind:     by_value
      - .actual_access:  write_only
        .address_space:  global
        .offset:         88
        .size:           8
        .value_kind:     global_buffer
      - .actual_access:  write_only
        .address_space:  global
        .offset:         96
        .size:           8
        .value_kind:     global_buffer
      - .actual_access:  write_only
        .address_space:  global
        .offset:         104
        .size:           8
        .value_kind:     global_buffer
      - .actual_access:  read_only
        .address_space:  global
        .offset:         112
        .size:           8
        .value_kind:     global_buffer
      - .offset:         120
        .size:           4
        .value_kind:     by_value
      - .address_space:  global
        .offset:         128
        .size:           8
        .value_kind:     global_buffer
      - .address_space:  global
        .offset:         136
        .size:           8
        .value_kind:     global_buffer
      - .offset:         144
        .size:           4
        .value_kind:     hidden_block_count_x
      - .offset:         148
        .size:           4
        .value_kind:     hidden_block_count_y
      - .offset:         152
        .size:           4
        .value_kind:     hidden_block_count_z
      - .offset:         156
        .size:           2
        .value_kind:     hidden_group_size_x
      - .offset:         158
        .size:           2
        .value_kind:     hidden_group_size_y
      - .offset:         160
        .size:           2
        .value_kind:     hidden_group_size_z
      - .offset:         162
        .size:           2
        .value_kind:     hidden_remainder_x
      - .offset:         164
        .size:           2
        .value_kind:     hidden_remainder_y
      - .offset:         166
        .size:           2
        .value_kind:     hidden_remainder_z
      - .offset:         184
        .size:           8
        .value_kind:     hidden_global_offset_x
      - .offset:         192
        .size:           8
        .value_kind:     hidden_global_offset_y
      - .offset:         200
        .size:           8
        .value_kind:     hidden_global_offset_z
      - .offset:         208
        .size:           2
        .value_kind:     hidden_grid_dims
    .group_segment_fixed_size: 8192
    .kernarg_segment_align: 8
    .kernarg_segment_size: 400
    .language:       OpenCL C
    .language_version:
      - 2
      - 0
    .max_flat_workgroup_size: 256
    .name:           _Z39paged_attention_ll4mi_QKV_mfma16_kernelI14__hip_bfloat16S0_LN4vllm18Fp8KVCacheDataTypeE0ES0_Li32ELi64ELi256ELb0ELi9EL8MFMAType0EEvPKT_PKT0_S9_ifPKiSB_SB_iPKfiiiPfSE_PS4_PT2_iSD_SD_
    .private_segment_fixed_size: 0
    .sgpr_count:     52
    .sgpr_spill_count: 0
    .symbol:         _Z39paged_attention_ll4mi_QKV_mfma16_kernelI14__hip_bfloat16S0_LN4vllm18Fp8KVCacheDataTypeE0ES0_Li32ELi64ELi256ELb0ELi9EL8MFMAType0EEvPKT_PKT0_S9_ifPKiSB_SB_iPKfiiiPfSE_PS4_PT2_iSD_SD_.kd
    .uniform_work_group_size: 1
    .uses_dynamic_stack: false
    .vgpr_count:     66
    .vgpr_spill_count: 0
    .wavefront_size: 64
  - .agpr_count:     0
    .args:
      - .actual_access:  read_only
        .address_space:  global
        .offset:         0
        .size:           8
        .value_kind:     global_buffer
      - .actual_access:  read_only
        .address_space:  global
        .offset:         8
        .size:           8
        .value_kind:     global_buffer
      - .actual_access:  read_only
        .address_space:  global
        .offset:         16
        .size:           8
        .value_kind:     global_buffer
      - .offset:         24
        .size:           4
        .value_kind:     by_value
      - .offset:         28
        .size:           4
        .value_kind:     by_value
      - .actual_access:  read_only
        .address_space:  global
        .offset:         32
        .size:           8
        .value_kind:     global_buffer
      - .actual_access:  read_only
        .address_space:  global
        .offset:         40
        .size:           8
        .value_kind:     global_buffer
      - .actual_access:  read_only
        .address_space:  global
        .offset:         48
        .size:           8
        .value_kind:     global_buffer
      - .offset:         56
        .size:           4
        .value_kind:     by_value
      - .actual_access:  read_only
        .address_space:  global
        .offset:         64
        .size:           8
        .value_kind:     global_buffer
      - .offset:         72
        .size:           4
        .value_kind:     by_value
      - .offset:         76
        .size:           4
        .value_kind:     by_value
      - .offset:         80
        .size:           4
        .value_kind:     by_value
      - .actual_access:  write_only
        .address_space:  global
        .offset:         88
        .size:           8
        .value_kind:     global_buffer
      - .actual_access:  write_only
        .address_space:  global
        .offset:         96
        .size:           8
        .value_kind:     global_buffer
      - .actual_access:  write_only
        .address_space:  global
        .offset:         104
        .size:           8
        .value_kind:     global_buffer
      - .actual_access:  read_only
        .address_space:  global
        .offset:         112
        .size:           8
        .value_kind:     global_buffer
      - .offset:         120
        .size:           4
        .value_kind:     by_value
      - .address_space:  global
        .offset:         128
        .size:           8
        .value_kind:     global_buffer
      - .address_space:  global
        .offset:         136
        .size:           8
        .value_kind:     global_buffer
      - .offset:         144
        .size:           4
        .value_kind:     hidden_block_count_x
      - .offset:         148
        .size:           4
        .value_kind:     hidden_block_count_y
      - .offset:         152
        .size:           4
        .value_kind:     hidden_block_count_z
      - .offset:         156
        .size:           2
        .value_kind:     hidden_group_size_x
      - .offset:         158
        .size:           2
        .value_kind:     hidden_group_size_y
      - .offset:         160
        .size:           2
        .value_kind:     hidden_group_size_z
      - .offset:         162
        .size:           2
        .value_kind:     hidden_remainder_x
      - .offset:         164
        .size:           2
        .value_kind:     hidden_remainder_y
      - .offset:         166
        .size:           2
        .value_kind:     hidden_remainder_z
      - .offset:         184
        .size:           8
        .value_kind:     hidden_global_offset_x
      - .offset:         192
        .size:           8
        .value_kind:     hidden_global_offset_y
      - .offset:         200
        .size:           8
        .value_kind:     hidden_global_offset_z
      - .offset:         208
        .size:           2
        .value_kind:     hidden_grid_dims
    .group_segment_fixed_size: 8192
    .kernarg_segment_align: 8
    .kernarg_segment_size: 400
    .language:       OpenCL C
    .language_version:
      - 2
      - 0
    .max_flat_workgroup_size: 256
    .name:           _Z39paged_attention_ll4mi_QKV_mfma16_kernelI14__hip_bfloat16S0_LN4vllm18Fp8KVCacheDataTypeE0ES0_Li32ELi64ELi256ELb0ELi10EL8MFMAType0EEvPKT_PKT0_S9_ifPKiSB_SB_iPKfiiiPfSE_PS4_PT2_iSD_SD_
    .private_segment_fixed_size: 0
    .sgpr_count:     52
    .sgpr_spill_count: 0
    .symbol:         _Z39paged_attention_ll4mi_QKV_mfma16_kernelI14__hip_bfloat16S0_LN4vllm18Fp8KVCacheDataTypeE0ES0_Li32ELi64ELi256ELb0ELi10EL8MFMAType0EEvPKT_PKT0_S9_ifPKiSB_SB_iPKfiiiPfSE_PS4_PT2_iSD_SD_.kd
    .uniform_work_group_size: 1
    .uses_dynamic_stack: false
    .vgpr_count:     66
    .vgpr_spill_count: 0
    .wavefront_size: 64
  - .agpr_count:     0
    .args:
      - .actual_access:  read_only
        .address_space:  global
        .offset:         0
        .size:           8
        .value_kind:     global_buffer
      - .actual_access:  read_only
        .address_space:  global
        .offset:         8
        .size:           8
        .value_kind:     global_buffer
      - .actual_access:  read_only
        .address_space:  global
        .offset:         16
        .size:           8
        .value_kind:     global_buffer
      - .offset:         24
        .size:           4
        .value_kind:     by_value
      - .offset:         28
        .size:           4
        .value_kind:     by_value
      - .actual_access:  read_only
        .address_space:  global
        .offset:         32
        .size:           8
        .value_kind:     global_buffer
      - .actual_access:  read_only
        .address_space:  global
        .offset:         40
        .size:           8
        .value_kind:     global_buffer
      - .actual_access:  read_only
        .address_space:  global
        .offset:         48
        .size:           8
        .value_kind:     global_buffer
      - .offset:         56
        .size:           4
        .value_kind:     by_value
      - .actual_access:  read_only
        .address_space:  global
        .offset:         64
        .size:           8
        .value_kind:     global_buffer
      - .offset:         72
        .size:           4
        .value_kind:     by_value
      - .offset:         76
        .size:           4
        .value_kind:     by_value
      - .offset:         80
        .size:           4
        .value_kind:     by_value
      - .actual_access:  write_only
        .address_space:  global
        .offset:         88
        .size:           8
        .value_kind:     global_buffer
      - .actual_access:  write_only
        .address_space:  global
        .offset:         96
        .size:           8
        .value_kind:     global_buffer
      - .actual_access:  write_only
        .address_space:  global
        .offset:         104
        .size:           8
        .value_kind:     global_buffer
      - .actual_access:  read_only
        .address_space:  global
        .offset:         112
        .size:           8
        .value_kind:     global_buffer
      - .offset:         120
        .size:           4
        .value_kind:     by_value
      - .address_space:  global
        .offset:         128
        .size:           8
        .value_kind:     global_buffer
      - .address_space:  global
        .offset:         136
        .size:           8
        .value_kind:     global_buffer
      - .offset:         144
        .size:           4
        .value_kind:     hidden_block_count_x
      - .offset:         148
        .size:           4
        .value_kind:     hidden_block_count_y
      - .offset:         152
        .size:           4
        .value_kind:     hidden_block_count_z
      - .offset:         156
        .size:           2
        .value_kind:     hidden_group_size_x
      - .offset:         158
        .size:           2
        .value_kind:     hidden_group_size_y
      - .offset:         160
        .size:           2
        .value_kind:     hidden_group_size_z
      - .offset:         162
        .size:           2
        .value_kind:     hidden_remainder_x
      - .offset:         164
        .size:           2
        .value_kind:     hidden_remainder_y
      - .offset:         166
        .size:           2
        .value_kind:     hidden_remainder_z
      - .offset:         184
        .size:           8
        .value_kind:     hidden_global_offset_x
      - .offset:         192
        .size:           8
        .value_kind:     hidden_global_offset_y
      - .offset:         200
        .size:           8
        .value_kind:     hidden_global_offset_z
      - .offset:         208
        .size:           2
        .value_kind:     hidden_grid_dims
    .group_segment_fixed_size: 8192
    .kernarg_segment_align: 8
    .kernarg_segment_size: 400
    .language:       OpenCL C
    .language_version:
      - 2
      - 0
    .max_flat_workgroup_size: 256
    .name:           _Z39paged_attention_ll4mi_QKV_mfma16_kernelI14__hip_bfloat16S0_LN4vllm18Fp8KVCacheDataTypeE0ES0_Li32ELi64ELi256ELb0ELi11EL8MFMAType0EEvPKT_PKT0_S9_ifPKiSB_SB_iPKfiiiPfSE_PS4_PT2_iSD_SD_
    .private_segment_fixed_size: 0
    .sgpr_count:     52
    .sgpr_spill_count: 0
    .symbol:         _Z39paged_attention_ll4mi_QKV_mfma16_kernelI14__hip_bfloat16S0_LN4vllm18Fp8KVCacheDataTypeE0ES0_Li32ELi64ELi256ELb0ELi11EL8MFMAType0EEvPKT_PKT0_S9_ifPKiSB_SB_iPKfiiiPfSE_PS4_PT2_iSD_SD_.kd
    .uniform_work_group_size: 1
    .uses_dynamic_stack: false
    .vgpr_count:     66
    .vgpr_spill_count: 0
    .wavefront_size: 64
  - .agpr_count:     0
    .args:
      - .actual_access:  read_only
        .address_space:  global
        .offset:         0
        .size:           8
        .value_kind:     global_buffer
      - .actual_access:  read_only
        .address_space:  global
        .offset:         8
        .size:           8
        .value_kind:     global_buffer
      - .actual_access:  read_only
        .address_space:  global
        .offset:         16
        .size:           8
        .value_kind:     global_buffer
      - .offset:         24
        .size:           4
        .value_kind:     by_value
      - .offset:         28
        .size:           4
        .value_kind:     by_value
      - .actual_access:  read_only
        .address_space:  global
        .offset:         32
        .size:           8
        .value_kind:     global_buffer
      - .actual_access:  read_only
        .address_space:  global
        .offset:         40
        .size:           8
        .value_kind:     global_buffer
      - .actual_access:  read_only
        .address_space:  global
        .offset:         48
        .size:           8
        .value_kind:     global_buffer
      - .offset:         56
        .size:           4
        .value_kind:     by_value
      - .actual_access:  read_only
        .address_space:  global
        .offset:         64
        .size:           8
        .value_kind:     global_buffer
      - .offset:         72
        .size:           4
        .value_kind:     by_value
      - .offset:         76
        .size:           4
        .value_kind:     by_value
      - .offset:         80
        .size:           4
        .value_kind:     by_value
      - .actual_access:  write_only
        .address_space:  global
        .offset:         88
        .size:           8
        .value_kind:     global_buffer
      - .actual_access:  write_only
        .address_space:  global
        .offset:         96
        .size:           8
        .value_kind:     global_buffer
      - .actual_access:  write_only
        .address_space:  global
        .offset:         104
        .size:           8
        .value_kind:     global_buffer
      - .actual_access:  read_only
        .address_space:  global
        .offset:         112
        .size:           8
        .value_kind:     global_buffer
      - .offset:         120
        .size:           4
        .value_kind:     by_value
      - .address_space:  global
        .offset:         128
        .size:           8
        .value_kind:     global_buffer
      - .address_space:  global
        .offset:         136
        .size:           8
        .value_kind:     global_buffer
      - .offset:         144
        .size:           4
        .value_kind:     hidden_block_count_x
      - .offset:         148
        .size:           4
        .value_kind:     hidden_block_count_y
      - .offset:         152
        .size:           4
        .value_kind:     hidden_block_count_z
      - .offset:         156
        .size:           2
        .value_kind:     hidden_group_size_x
      - .offset:         158
        .size:           2
        .value_kind:     hidden_group_size_y
      - .offset:         160
        .size:           2
        .value_kind:     hidden_group_size_z
      - .offset:         162
        .size:           2
        .value_kind:     hidden_remainder_x
      - .offset:         164
        .size:           2
        .value_kind:     hidden_remainder_y
      - .offset:         166
        .size:           2
        .value_kind:     hidden_remainder_z
      - .offset:         184
        .size:           8
        .value_kind:     hidden_global_offset_x
      - .offset:         192
        .size:           8
        .value_kind:     hidden_global_offset_y
      - .offset:         200
        .size:           8
        .value_kind:     hidden_global_offset_z
      - .offset:         208
        .size:           2
        .value_kind:     hidden_grid_dims
    .group_segment_fixed_size: 8192
    .kernarg_segment_align: 8
    .kernarg_segment_size: 400
    .language:       OpenCL C
    .language_version:
      - 2
      - 0
    .max_flat_workgroup_size: 256
    .name:           _Z39paged_attention_ll4mi_QKV_mfma16_kernelI14__hip_bfloat16S0_LN4vllm18Fp8KVCacheDataTypeE0ES0_Li32ELi64ELi256ELb0ELi12EL8MFMAType0EEvPKT_PKT0_S9_ifPKiSB_SB_iPKfiiiPfSE_PS4_PT2_iSD_SD_
    .private_segment_fixed_size: 0
    .sgpr_count:     52
    .sgpr_spill_count: 0
    .symbol:         _Z39paged_attention_ll4mi_QKV_mfma16_kernelI14__hip_bfloat16S0_LN4vllm18Fp8KVCacheDataTypeE0ES0_Li32ELi64ELi256ELb0ELi12EL8MFMAType0EEvPKT_PKT0_S9_ifPKiSB_SB_iPKfiiiPfSE_PS4_PT2_iSD_SD_.kd
    .uniform_work_group_size: 1
    .uses_dynamic_stack: false
    .vgpr_count:     66
    .vgpr_spill_count: 0
    .wavefront_size: 64
  - .agpr_count:     0
    .args:
      - .actual_access:  read_only
        .address_space:  global
        .offset:         0
        .size:           8
        .value_kind:     global_buffer
      - .actual_access:  read_only
        .address_space:  global
        .offset:         8
        .size:           8
        .value_kind:     global_buffer
      - .actual_access:  read_only
        .address_space:  global
        .offset:         16
        .size:           8
        .value_kind:     global_buffer
      - .offset:         24
        .size:           4
        .value_kind:     by_value
      - .offset:         28
        .size:           4
        .value_kind:     by_value
      - .actual_access:  read_only
        .address_space:  global
        .offset:         32
        .size:           8
        .value_kind:     global_buffer
      - .actual_access:  read_only
        .address_space:  global
        .offset:         40
        .size:           8
        .value_kind:     global_buffer
      - .actual_access:  read_only
        .address_space:  global
        .offset:         48
        .size:           8
        .value_kind:     global_buffer
      - .offset:         56
        .size:           4
        .value_kind:     by_value
      - .actual_access:  read_only
        .address_space:  global
        .offset:         64
        .size:           8
        .value_kind:     global_buffer
      - .offset:         72
        .size:           4
        .value_kind:     by_value
      - .offset:         76
        .size:           4
        .value_kind:     by_value
      - .offset:         80
        .size:           4
        .value_kind:     by_value
      - .actual_access:  write_only
        .address_space:  global
        .offset:         88
        .size:           8
        .value_kind:     global_buffer
      - .actual_access:  write_only
        .address_space:  global
        .offset:         96
        .size:           8
        .value_kind:     global_buffer
      - .actual_access:  write_only
        .address_space:  global
        .offset:         104
        .size:           8
        .value_kind:     global_buffer
      - .actual_access:  read_only
        .address_space:  global
        .offset:         112
        .size:           8
        .value_kind:     global_buffer
      - .offset:         120
        .size:           4
        .value_kind:     by_value
      - .address_space:  global
        .offset:         128
        .size:           8
        .value_kind:     global_buffer
      - .address_space:  global
        .offset:         136
        .size:           8
        .value_kind:     global_buffer
      - .offset:         144
        .size:           4
        .value_kind:     hidden_block_count_x
      - .offset:         148
        .size:           4
        .value_kind:     hidden_block_count_y
      - .offset:         152
        .size:           4
        .value_kind:     hidden_block_count_z
      - .offset:         156
        .size:           2
        .value_kind:     hidden_group_size_x
      - .offset:         158
        .size:           2
        .value_kind:     hidden_group_size_y
      - .offset:         160
        .size:           2
        .value_kind:     hidden_group_size_z
      - .offset:         162
        .size:           2
        .value_kind:     hidden_remainder_x
      - .offset:         164
        .size:           2
        .value_kind:     hidden_remainder_y
      - .offset:         166
        .size:           2
        .value_kind:     hidden_remainder_z
      - .offset:         184
        .size:           8
        .value_kind:     hidden_global_offset_x
      - .offset:         192
        .size:           8
        .value_kind:     hidden_global_offset_y
      - .offset:         200
        .size:           8
        .value_kind:     hidden_global_offset_z
      - .offset:         208
        .size:           2
        .value_kind:     hidden_grid_dims
    .group_segment_fixed_size: 8192
    .kernarg_segment_align: 8
    .kernarg_segment_size: 400
    .language:       OpenCL C
    .language_version:
      - 2
      - 0
    .max_flat_workgroup_size: 256
    .name:           _Z39paged_attention_ll4mi_QKV_mfma16_kernelI14__hip_bfloat16S0_LN4vllm18Fp8KVCacheDataTypeE0ES0_Li32ELi64ELi256ELb0ELi13EL8MFMAType0EEvPKT_PKT0_S9_ifPKiSB_SB_iPKfiiiPfSE_PS4_PT2_iSD_SD_
    .private_segment_fixed_size: 0
    .sgpr_count:     52
    .sgpr_spill_count: 0
    .symbol:         _Z39paged_attention_ll4mi_QKV_mfma16_kernelI14__hip_bfloat16S0_LN4vllm18Fp8KVCacheDataTypeE0ES0_Li32ELi64ELi256ELb0ELi13EL8MFMAType0EEvPKT_PKT0_S9_ifPKiSB_SB_iPKfiiiPfSE_PS4_PT2_iSD_SD_.kd
    .uniform_work_group_size: 1
    .uses_dynamic_stack: false
    .vgpr_count:     66
    .vgpr_spill_count: 0
    .wavefront_size: 64
  - .agpr_count:     0
    .args:
      - .actual_access:  read_only
        .address_space:  global
        .offset:         0
        .size:           8
        .value_kind:     global_buffer
      - .actual_access:  read_only
        .address_space:  global
        .offset:         8
        .size:           8
        .value_kind:     global_buffer
      - .actual_access:  read_only
        .address_space:  global
        .offset:         16
        .size:           8
        .value_kind:     global_buffer
      - .offset:         24
        .size:           4
        .value_kind:     by_value
      - .offset:         28
        .size:           4
        .value_kind:     by_value
      - .actual_access:  read_only
        .address_space:  global
        .offset:         32
        .size:           8
        .value_kind:     global_buffer
      - .actual_access:  read_only
        .address_space:  global
        .offset:         40
        .size:           8
        .value_kind:     global_buffer
      - .actual_access:  read_only
        .address_space:  global
        .offset:         48
        .size:           8
        .value_kind:     global_buffer
      - .offset:         56
        .size:           4
        .value_kind:     by_value
      - .actual_access:  read_only
        .address_space:  global
        .offset:         64
        .size:           8
        .value_kind:     global_buffer
      - .offset:         72
        .size:           4
        .value_kind:     by_value
      - .offset:         76
        .size:           4
        .value_kind:     by_value
      - .offset:         80
        .size:           4
        .value_kind:     by_value
      - .actual_access:  write_only
        .address_space:  global
        .offset:         88
        .size:           8
        .value_kind:     global_buffer
      - .actual_access:  write_only
        .address_space:  global
        .offset:         96
        .size:           8
        .value_kind:     global_buffer
      - .actual_access:  write_only
        .address_space:  global
        .offset:         104
        .size:           8
        .value_kind:     global_buffer
      - .actual_access:  read_only
        .address_space:  global
        .offset:         112
        .size:           8
        .value_kind:     global_buffer
      - .offset:         120
        .size:           4
        .value_kind:     by_value
      - .address_space:  global
        .offset:         128
        .size:           8
        .value_kind:     global_buffer
      - .address_space:  global
        .offset:         136
        .size:           8
        .value_kind:     global_buffer
      - .offset:         144
        .size:           4
        .value_kind:     hidden_block_count_x
      - .offset:         148
        .size:           4
        .value_kind:     hidden_block_count_y
      - .offset:         152
        .size:           4
        .value_kind:     hidden_block_count_z
      - .offset:         156
        .size:           2
        .value_kind:     hidden_group_size_x
      - .offset:         158
        .size:           2
        .value_kind:     hidden_group_size_y
      - .offset:         160
        .size:           2
        .value_kind:     hidden_group_size_z
      - .offset:         162
        .size:           2
        .value_kind:     hidden_remainder_x
      - .offset:         164
        .size:           2
        .value_kind:     hidden_remainder_y
      - .offset:         166
        .size:           2
        .value_kind:     hidden_remainder_z
      - .offset:         184
        .size:           8
        .value_kind:     hidden_global_offset_x
      - .offset:         192
        .size:           8
        .value_kind:     hidden_global_offset_y
      - .offset:         200
        .size:           8
        .value_kind:     hidden_global_offset_z
      - .offset:         208
        .size:           2
        .value_kind:     hidden_grid_dims
    .group_segment_fixed_size: 8192
    .kernarg_segment_align: 8
    .kernarg_segment_size: 400
    .language:       OpenCL C
    .language_version:
      - 2
      - 0
    .max_flat_workgroup_size: 256
    .name:           _Z39paged_attention_ll4mi_QKV_mfma16_kernelI14__hip_bfloat16S0_LN4vllm18Fp8KVCacheDataTypeE0ES0_Li32ELi64ELi256ELb0ELi14EL8MFMAType0EEvPKT_PKT0_S9_ifPKiSB_SB_iPKfiiiPfSE_PS4_PT2_iSD_SD_
    .private_segment_fixed_size: 0
    .sgpr_count:     52
    .sgpr_spill_count: 0
    .symbol:         _Z39paged_attention_ll4mi_QKV_mfma16_kernelI14__hip_bfloat16S0_LN4vllm18Fp8KVCacheDataTypeE0ES0_Li32ELi64ELi256ELb0ELi14EL8MFMAType0EEvPKT_PKT0_S9_ifPKiSB_SB_iPKfiiiPfSE_PS4_PT2_iSD_SD_.kd
    .uniform_work_group_size: 1
    .uses_dynamic_stack: false
    .vgpr_count:     66
    .vgpr_spill_count: 0
    .wavefront_size: 64
  - .agpr_count:     0
    .args:
      - .actual_access:  read_only
        .address_space:  global
        .offset:         0
        .size:           8
        .value_kind:     global_buffer
      - .actual_access:  read_only
        .address_space:  global
        .offset:         8
        .size:           8
        .value_kind:     global_buffer
      - .actual_access:  read_only
        .address_space:  global
        .offset:         16
        .size:           8
        .value_kind:     global_buffer
      - .offset:         24
        .size:           4
        .value_kind:     by_value
      - .offset:         28
        .size:           4
        .value_kind:     by_value
      - .actual_access:  read_only
        .address_space:  global
        .offset:         32
        .size:           8
        .value_kind:     global_buffer
      - .actual_access:  read_only
        .address_space:  global
        .offset:         40
        .size:           8
        .value_kind:     global_buffer
      - .actual_access:  read_only
        .address_space:  global
        .offset:         48
        .size:           8
        .value_kind:     global_buffer
      - .offset:         56
        .size:           4
        .value_kind:     by_value
      - .actual_access:  read_only
        .address_space:  global
        .offset:         64
        .size:           8
        .value_kind:     global_buffer
      - .offset:         72
        .size:           4
        .value_kind:     by_value
      - .offset:         76
        .size:           4
        .value_kind:     by_value
      - .offset:         80
        .size:           4
        .value_kind:     by_value
      - .actual_access:  write_only
        .address_space:  global
        .offset:         88
        .size:           8
        .value_kind:     global_buffer
      - .actual_access:  write_only
        .address_space:  global
        .offset:         96
        .size:           8
        .value_kind:     global_buffer
      - .actual_access:  write_only
        .address_space:  global
        .offset:         104
        .size:           8
        .value_kind:     global_buffer
      - .actual_access:  read_only
        .address_space:  global
        .offset:         112
        .size:           8
        .value_kind:     global_buffer
      - .offset:         120
        .size:           4
        .value_kind:     by_value
      - .address_space:  global
        .offset:         128
        .size:           8
        .value_kind:     global_buffer
      - .address_space:  global
        .offset:         136
        .size:           8
        .value_kind:     global_buffer
      - .offset:         144
        .size:           4
        .value_kind:     hidden_block_count_x
      - .offset:         148
        .size:           4
        .value_kind:     hidden_block_count_y
      - .offset:         152
        .size:           4
        .value_kind:     hidden_block_count_z
      - .offset:         156
        .size:           2
        .value_kind:     hidden_group_size_x
      - .offset:         158
        .size:           2
        .value_kind:     hidden_group_size_y
      - .offset:         160
        .size:           2
        .value_kind:     hidden_group_size_z
      - .offset:         162
        .size:           2
        .value_kind:     hidden_remainder_x
      - .offset:         164
        .size:           2
        .value_kind:     hidden_remainder_y
      - .offset:         166
        .size:           2
        .value_kind:     hidden_remainder_z
      - .offset:         184
        .size:           8
        .value_kind:     hidden_global_offset_x
      - .offset:         192
        .size:           8
        .value_kind:     hidden_global_offset_y
      - .offset:         200
        .size:           8
        .value_kind:     hidden_global_offset_z
      - .offset:         208
        .size:           2
        .value_kind:     hidden_grid_dims
    .group_segment_fixed_size: 8192
    .kernarg_segment_align: 8
    .kernarg_segment_size: 400
    .language:       OpenCL C
    .language_version:
      - 2
      - 0
    .max_flat_workgroup_size: 256
    .name:           _Z39paged_attention_ll4mi_QKV_mfma16_kernelI14__hip_bfloat16S0_LN4vllm18Fp8KVCacheDataTypeE0ES0_Li32ELi64ELi256ELb0ELi15EL8MFMAType0EEvPKT_PKT0_S9_ifPKiSB_SB_iPKfiiiPfSE_PS4_PT2_iSD_SD_
    .private_segment_fixed_size: 0
    .sgpr_count:     52
    .sgpr_spill_count: 0
    .symbol:         _Z39paged_attention_ll4mi_QKV_mfma16_kernelI14__hip_bfloat16S0_LN4vllm18Fp8KVCacheDataTypeE0ES0_Li32ELi64ELi256ELb0ELi15EL8MFMAType0EEvPKT_PKT0_S9_ifPKiSB_SB_iPKfiiiPfSE_PS4_PT2_iSD_SD_.kd
    .uniform_work_group_size: 1
    .uses_dynamic_stack: false
    .vgpr_count:     66
    .vgpr_spill_count: 0
    .wavefront_size: 64
  - .agpr_count:     0
    .args:
      - .actual_access:  read_only
        .address_space:  global
        .offset:         0
        .size:           8
        .value_kind:     global_buffer
      - .actual_access:  read_only
        .address_space:  global
        .offset:         8
        .size:           8
        .value_kind:     global_buffer
      - .actual_access:  read_only
        .address_space:  global
        .offset:         16
        .size:           8
        .value_kind:     global_buffer
      - .offset:         24
        .size:           4
        .value_kind:     by_value
      - .offset:         28
        .size:           4
        .value_kind:     by_value
      - .actual_access:  read_only
        .address_space:  global
        .offset:         32
        .size:           8
        .value_kind:     global_buffer
      - .actual_access:  read_only
        .address_space:  global
        .offset:         40
        .size:           8
        .value_kind:     global_buffer
      - .actual_access:  read_only
        .address_space:  global
        .offset:         48
        .size:           8
        .value_kind:     global_buffer
      - .offset:         56
        .size:           4
        .value_kind:     by_value
      - .actual_access:  read_only
        .address_space:  global
        .offset:         64
        .size:           8
        .value_kind:     global_buffer
      - .offset:         72
        .size:           4
        .value_kind:     by_value
      - .offset:         76
        .size:           4
        .value_kind:     by_value
      - .offset:         80
        .size:           4
        .value_kind:     by_value
      - .actual_access:  write_only
        .address_space:  global
        .offset:         88
        .size:           8
        .value_kind:     global_buffer
      - .actual_access:  write_only
        .address_space:  global
        .offset:         96
        .size:           8
        .value_kind:     global_buffer
      - .actual_access:  write_only
        .address_space:  global
        .offset:         104
        .size:           8
        .value_kind:     global_buffer
      - .actual_access:  read_only
        .address_space:  global
        .offset:         112
        .size:           8
        .value_kind:     global_buffer
      - .offset:         120
        .size:           4
        .value_kind:     by_value
      - .address_space:  global
        .offset:         128
        .size:           8
        .value_kind:     global_buffer
      - .address_space:  global
        .offset:         136
        .size:           8
        .value_kind:     global_buffer
      - .offset:         144
        .size:           4
        .value_kind:     hidden_block_count_x
      - .offset:         148
        .size:           4
        .value_kind:     hidden_block_count_y
      - .offset:         152
        .size:           4
        .value_kind:     hidden_block_count_z
      - .offset:         156
        .size:           2
        .value_kind:     hidden_group_size_x
      - .offset:         158
        .size:           2
        .value_kind:     hidden_group_size_y
      - .offset:         160
        .size:           2
        .value_kind:     hidden_group_size_z
      - .offset:         162
        .size:           2
        .value_kind:     hidden_remainder_x
      - .offset:         164
        .size:           2
        .value_kind:     hidden_remainder_y
      - .offset:         166
        .size:           2
        .value_kind:     hidden_remainder_z
      - .offset:         184
        .size:           8
        .value_kind:     hidden_global_offset_x
      - .offset:         192
        .size:           8
        .value_kind:     hidden_global_offset_y
      - .offset:         200
        .size:           8
        .value_kind:     hidden_global_offset_z
      - .offset:         208
        .size:           2
        .value_kind:     hidden_grid_dims
    .group_segment_fixed_size: 8192
    .kernarg_segment_align: 8
    .kernarg_segment_size: 400
    .language:       OpenCL C
    .language_version:
      - 2
      - 0
    .max_flat_workgroup_size: 256
    .name:           _Z39paged_attention_ll4mi_QKV_mfma16_kernelI14__hip_bfloat16S0_LN4vllm18Fp8KVCacheDataTypeE0ES0_Li32ELi64ELi256ELb0ELi16EL8MFMAType0EEvPKT_PKT0_S9_ifPKiSB_SB_iPKfiiiPfSE_PS4_PT2_iSD_SD_
    .private_segment_fixed_size: 0
    .sgpr_count:     52
    .sgpr_spill_count: 0
    .symbol:         _Z39paged_attention_ll4mi_QKV_mfma16_kernelI14__hip_bfloat16S0_LN4vllm18Fp8KVCacheDataTypeE0ES0_Li32ELi64ELi256ELb0ELi16EL8MFMAType0EEvPKT_PKT0_S9_ifPKiSB_SB_iPKfiiiPfSE_PS4_PT2_iSD_SD_.kd
    .uniform_work_group_size: 1
    .uses_dynamic_stack: false
    .vgpr_count:     67
    .vgpr_spill_count: 0
    .wavefront_size: 64
  - .agpr_count:     0
    .args:
      - .actual_access:  read_only
        .address_space:  global
        .offset:         0
        .size:           8
        .value_kind:     global_buffer
      - .actual_access:  read_only
        .address_space:  global
        .offset:         8
        .size:           8
        .value_kind:     global_buffer
      - .actual_access:  read_only
        .address_space:  global
        .offset:         16
        .size:           8
        .value_kind:     global_buffer
      - .offset:         24
        .size:           4
        .value_kind:     by_value
      - .offset:         28
        .size:           4
        .value_kind:     by_value
      - .actual_access:  read_only
        .address_space:  global
        .offset:         32
        .size:           8
        .value_kind:     global_buffer
      - .actual_access:  read_only
        .address_space:  global
        .offset:         40
        .size:           8
        .value_kind:     global_buffer
      - .actual_access:  read_only
        .address_space:  global
        .offset:         48
        .size:           8
        .value_kind:     global_buffer
      - .offset:         56
        .size:           4
        .value_kind:     by_value
      - .actual_access:  read_only
        .address_space:  global
        .offset:         64
        .size:           8
        .value_kind:     global_buffer
      - .offset:         72
        .size:           4
        .value_kind:     by_value
      - .offset:         76
        .size:           4
        .value_kind:     by_value
      - .offset:         80
        .size:           4
        .value_kind:     by_value
      - .actual_access:  write_only
        .address_space:  global
        .offset:         88
        .size:           8
        .value_kind:     global_buffer
      - .actual_access:  write_only
        .address_space:  global
        .offset:         96
        .size:           8
        .value_kind:     global_buffer
      - .actual_access:  write_only
        .address_space:  global
        .offset:         104
        .size:           8
        .value_kind:     global_buffer
      - .actual_access:  read_only
        .address_space:  global
        .offset:         112
        .size:           8
        .value_kind:     global_buffer
      - .offset:         120
        .size:           4
        .value_kind:     by_value
      - .address_space:  global
        .offset:         128
        .size:           8
        .value_kind:     global_buffer
      - .address_space:  global
        .offset:         136
        .size:           8
        .value_kind:     global_buffer
      - .offset:         144
        .size:           4
        .value_kind:     hidden_block_count_x
      - .offset:         148
        .size:           4
        .value_kind:     hidden_block_count_y
      - .offset:         152
        .size:           4
        .value_kind:     hidden_block_count_z
      - .offset:         156
        .size:           2
        .value_kind:     hidden_group_size_x
      - .offset:         158
        .size:           2
        .value_kind:     hidden_group_size_y
      - .offset:         160
        .size:           2
        .value_kind:     hidden_group_size_z
      - .offset:         162
        .size:           2
        .value_kind:     hidden_remainder_x
      - .offset:         164
        .size:           2
        .value_kind:     hidden_remainder_y
      - .offset:         166
        .size:           2
        .value_kind:     hidden_remainder_z
      - .offset:         184
        .size:           8
        .value_kind:     hidden_global_offset_x
      - .offset:         192
        .size:           8
        .value_kind:     hidden_global_offset_y
      - .offset:         200
        .size:           8
        .value_kind:     hidden_global_offset_z
      - .offset:         208
        .size:           2
        .value_kind:     hidden_grid_dims
    .group_segment_fixed_size: 8192
    .kernarg_segment_align: 8
    .kernarg_segment_size: 400
    .language:       OpenCL C
    .language_version:
      - 2
      - 0
    .max_flat_workgroup_size: 256
    .name:           _Z39paged_attention_ll4mi_QKV_mfma16_kernelI14__hip_bfloat16S0_LN4vllm18Fp8KVCacheDataTypeE0ES0_Li32ELi64ELi256ELb0ELi1EL8MFMAType0EEvPKT_PKT0_S9_ifPKiSB_SB_iPKfiiiPfSE_PS4_PT2_iSD_SD_
    .private_segment_fixed_size: 0
    .sgpr_count:     52
    .sgpr_spill_count: 0
    .symbol:         _Z39paged_attention_ll4mi_QKV_mfma16_kernelI14__hip_bfloat16S0_LN4vllm18Fp8KVCacheDataTypeE0ES0_Li32ELi64ELi256ELb0ELi1EL8MFMAType0EEvPKT_PKT0_S9_ifPKiSB_SB_iPKfiiiPfSE_PS4_PT2_iSD_SD_.kd
    .uniform_work_group_size: 1
    .uses_dynamic_stack: false
    .vgpr_count:     67
    .vgpr_spill_count: 0
    .wavefront_size: 64
  - .agpr_count:     0
    .args:
      - .actual_access:  read_only
        .address_space:  global
        .offset:         0
        .size:           8
        .value_kind:     global_buffer
      - .actual_access:  read_only
        .address_space:  global
        .offset:         8
        .size:           8
        .value_kind:     global_buffer
      - .actual_access:  read_only
        .address_space:  global
        .offset:         16
        .size:           8
        .value_kind:     global_buffer
      - .offset:         24
        .size:           4
        .value_kind:     by_value
      - .offset:         28
        .size:           4
        .value_kind:     by_value
      - .actual_access:  read_only
        .address_space:  global
        .offset:         32
        .size:           8
        .value_kind:     global_buffer
      - .actual_access:  read_only
        .address_space:  global
        .offset:         40
        .size:           8
        .value_kind:     global_buffer
      - .actual_access:  read_only
        .address_space:  global
        .offset:         48
        .size:           8
        .value_kind:     global_buffer
      - .offset:         56
        .size:           4
        .value_kind:     by_value
      - .actual_access:  read_only
        .address_space:  global
        .offset:         64
        .size:           8
        .value_kind:     global_buffer
      - .offset:         72
        .size:           4
        .value_kind:     by_value
      - .offset:         76
        .size:           4
        .value_kind:     by_value
      - .offset:         80
        .size:           4
        .value_kind:     by_value
      - .actual_access:  write_only
        .address_space:  global
        .offset:         88
        .size:           8
        .value_kind:     global_buffer
      - .actual_access:  write_only
        .address_space:  global
        .offset:         96
        .size:           8
        .value_kind:     global_buffer
      - .actual_access:  write_only
        .address_space:  global
        .offset:         104
        .size:           8
        .value_kind:     global_buffer
      - .actual_access:  read_only
        .address_space:  global
        .offset:         112
        .size:           8
        .value_kind:     global_buffer
      - .offset:         120
        .size:           4
        .value_kind:     by_value
      - .address_space:  global
        .offset:         128
        .size:           8
        .value_kind:     global_buffer
      - .address_space:  global
        .offset:         136
        .size:           8
        .value_kind:     global_buffer
      - .offset:         144
        .size:           4
        .value_kind:     hidden_block_count_x
      - .offset:         148
        .size:           4
        .value_kind:     hidden_block_count_y
      - .offset:         152
        .size:           4
        .value_kind:     hidden_block_count_z
      - .offset:         156
        .size:           2
        .value_kind:     hidden_group_size_x
      - .offset:         158
        .size:           2
        .value_kind:     hidden_group_size_y
      - .offset:         160
        .size:           2
        .value_kind:     hidden_group_size_z
      - .offset:         162
        .size:           2
        .value_kind:     hidden_remainder_x
      - .offset:         164
        .size:           2
        .value_kind:     hidden_remainder_y
      - .offset:         166
        .size:           2
        .value_kind:     hidden_remainder_z
      - .offset:         184
        .size:           8
        .value_kind:     hidden_global_offset_x
      - .offset:         192
        .size:           8
        .value_kind:     hidden_global_offset_y
      - .offset:         200
        .size:           8
        .value_kind:     hidden_global_offset_z
      - .offset:         208
        .size:           2
        .value_kind:     hidden_grid_dims
    .group_segment_fixed_size: 8192
    .kernarg_segment_align: 8
    .kernarg_segment_size: 400
    .language:       OpenCL C
    .language_version:
      - 2
      - 0
    .max_flat_workgroup_size: 256
    .name:           _Z39paged_attention_ll4mi_QKV_mfma16_kernelI14__hip_bfloat16S0_LN4vllm18Fp8KVCacheDataTypeE0ES0_Li32ELi64ELi256ELb0ELi2EL8MFMAType0EEvPKT_PKT0_S9_ifPKiSB_SB_iPKfiiiPfSE_PS4_PT2_iSD_SD_
    .private_segment_fixed_size: 0
    .sgpr_count:     52
    .sgpr_spill_count: 0
    .symbol:         _Z39paged_attention_ll4mi_QKV_mfma16_kernelI14__hip_bfloat16S0_LN4vllm18Fp8KVCacheDataTypeE0ES0_Li32ELi64ELi256ELb0ELi2EL8MFMAType0EEvPKT_PKT0_S9_ifPKiSB_SB_iPKfiiiPfSE_PS4_PT2_iSD_SD_.kd
    .uniform_work_group_size: 1
    .uses_dynamic_stack: false
    .vgpr_count:     67
    .vgpr_spill_count: 0
    .wavefront_size: 64
  - .agpr_count:     0
    .args:
      - .actual_access:  read_only
        .address_space:  global
        .offset:         0
        .size:           8
        .value_kind:     global_buffer
      - .actual_access:  read_only
        .address_space:  global
        .offset:         8
        .size:           8
        .value_kind:     global_buffer
      - .actual_access:  read_only
        .address_space:  global
        .offset:         16
        .size:           8
        .value_kind:     global_buffer
      - .offset:         24
        .size:           4
        .value_kind:     by_value
      - .offset:         28
        .size:           4
        .value_kind:     by_value
      - .actual_access:  read_only
        .address_space:  global
        .offset:         32
        .size:           8
        .value_kind:     global_buffer
      - .actual_access:  read_only
        .address_space:  global
        .offset:         40
        .size:           8
        .value_kind:     global_buffer
      - .actual_access:  read_only
        .address_space:  global
        .offset:         48
        .size:           8
        .value_kind:     global_buffer
      - .offset:         56
        .size:           4
        .value_kind:     by_value
      - .actual_access:  read_only
        .address_space:  global
        .offset:         64
        .size:           8
        .value_kind:     global_buffer
      - .offset:         72
        .size:           4
        .value_kind:     by_value
      - .offset:         76
        .size:           4
        .value_kind:     by_value
      - .offset:         80
        .size:           4
        .value_kind:     by_value
      - .actual_access:  write_only
        .address_space:  global
        .offset:         88
        .size:           8
        .value_kind:     global_buffer
      - .actual_access:  write_only
        .address_space:  global
        .offset:         96
        .size:           8
        .value_kind:     global_buffer
      - .actual_access:  write_only
        .address_space:  global
        .offset:         104
        .size:           8
        .value_kind:     global_buffer
      - .actual_access:  read_only
        .address_space:  global
        .offset:         112
        .size:           8
        .value_kind:     global_buffer
      - .offset:         120
        .size:           4
        .value_kind:     by_value
      - .address_space:  global
        .offset:         128
        .size:           8
        .value_kind:     global_buffer
      - .address_space:  global
        .offset:         136
        .size:           8
        .value_kind:     global_buffer
      - .offset:         144
        .size:           4
        .value_kind:     hidden_block_count_x
      - .offset:         148
        .size:           4
        .value_kind:     hidden_block_count_y
      - .offset:         152
        .size:           4
        .value_kind:     hidden_block_count_z
      - .offset:         156
        .size:           2
        .value_kind:     hidden_group_size_x
      - .offset:         158
        .size:           2
        .value_kind:     hidden_group_size_y
      - .offset:         160
        .size:           2
        .value_kind:     hidden_group_size_z
      - .offset:         162
        .size:           2
        .value_kind:     hidden_remainder_x
      - .offset:         164
        .size:           2
        .value_kind:     hidden_remainder_y
      - .offset:         166
        .size:           2
        .value_kind:     hidden_remainder_z
      - .offset:         184
        .size:           8
        .value_kind:     hidden_global_offset_x
      - .offset:         192
        .size:           8
        .value_kind:     hidden_global_offset_y
      - .offset:         200
        .size:           8
        .value_kind:     hidden_global_offset_z
      - .offset:         208
        .size:           2
        .value_kind:     hidden_grid_dims
    .group_segment_fixed_size: 8192
    .kernarg_segment_align: 8
    .kernarg_segment_size: 400
    .language:       OpenCL C
    .language_version:
      - 2
      - 0
    .max_flat_workgroup_size: 256
    .name:           _Z39paged_attention_ll4mi_QKV_mfma16_kernelI14__hip_bfloat16S0_LN4vllm18Fp8KVCacheDataTypeE0ES0_Li32ELi64ELi256ELb0ELi3EL8MFMAType0EEvPKT_PKT0_S9_ifPKiSB_SB_iPKfiiiPfSE_PS4_PT2_iSD_SD_
    .private_segment_fixed_size: 0
    .sgpr_count:     52
    .sgpr_spill_count: 0
    .symbol:         _Z39paged_attention_ll4mi_QKV_mfma16_kernelI14__hip_bfloat16S0_LN4vllm18Fp8KVCacheDataTypeE0ES0_Li32ELi64ELi256ELb0ELi3EL8MFMAType0EEvPKT_PKT0_S9_ifPKiSB_SB_iPKfiiiPfSE_PS4_PT2_iSD_SD_.kd
    .uniform_work_group_size: 1
    .uses_dynamic_stack: false
    .vgpr_count:     67
    .vgpr_spill_count: 0
    .wavefront_size: 64
  - .agpr_count:     0
    .args:
      - .actual_access:  read_only
        .address_space:  global
        .offset:         0
        .size:           8
        .value_kind:     global_buffer
      - .actual_access:  read_only
        .address_space:  global
        .offset:         8
        .size:           8
        .value_kind:     global_buffer
      - .actual_access:  read_only
        .address_space:  global
        .offset:         16
        .size:           8
        .value_kind:     global_buffer
      - .offset:         24
        .size:           4
        .value_kind:     by_value
      - .offset:         28
        .size:           4
        .value_kind:     by_value
      - .actual_access:  read_only
        .address_space:  global
        .offset:         32
        .size:           8
        .value_kind:     global_buffer
      - .actual_access:  read_only
        .address_space:  global
        .offset:         40
        .size:           8
        .value_kind:     global_buffer
      - .actual_access:  read_only
        .address_space:  global
        .offset:         48
        .size:           8
        .value_kind:     global_buffer
      - .offset:         56
        .size:           4
        .value_kind:     by_value
      - .actual_access:  read_only
        .address_space:  global
        .offset:         64
        .size:           8
        .value_kind:     global_buffer
      - .offset:         72
        .size:           4
        .value_kind:     by_value
      - .offset:         76
        .size:           4
        .value_kind:     by_value
      - .offset:         80
        .size:           4
        .value_kind:     by_value
      - .actual_access:  write_only
        .address_space:  global
        .offset:         88
        .size:           8
        .value_kind:     global_buffer
      - .actual_access:  write_only
        .address_space:  global
        .offset:         96
        .size:           8
        .value_kind:     global_buffer
      - .actual_access:  write_only
        .address_space:  global
        .offset:         104
        .size:           8
        .value_kind:     global_buffer
      - .actual_access:  read_only
        .address_space:  global
        .offset:         112
        .size:           8
        .value_kind:     global_buffer
      - .offset:         120
        .size:           4
        .value_kind:     by_value
      - .address_space:  global
        .offset:         128
        .size:           8
        .value_kind:     global_buffer
      - .address_space:  global
        .offset:         136
        .size:           8
        .value_kind:     global_buffer
      - .offset:         144
        .size:           4
        .value_kind:     hidden_block_count_x
      - .offset:         148
        .size:           4
        .value_kind:     hidden_block_count_y
      - .offset:         152
        .size:           4
        .value_kind:     hidden_block_count_z
      - .offset:         156
        .size:           2
        .value_kind:     hidden_group_size_x
      - .offset:         158
        .size:           2
        .value_kind:     hidden_group_size_y
      - .offset:         160
        .size:           2
        .value_kind:     hidden_group_size_z
      - .offset:         162
        .size:           2
        .value_kind:     hidden_remainder_x
      - .offset:         164
        .size:           2
        .value_kind:     hidden_remainder_y
      - .offset:         166
        .size:           2
        .value_kind:     hidden_remainder_z
      - .offset:         184
        .size:           8
        .value_kind:     hidden_global_offset_x
      - .offset:         192
        .size:           8
        .value_kind:     hidden_global_offset_y
      - .offset:         200
        .size:           8
        .value_kind:     hidden_global_offset_z
      - .offset:         208
        .size:           2
        .value_kind:     hidden_grid_dims
    .group_segment_fixed_size: 8192
    .kernarg_segment_align: 8
    .kernarg_segment_size: 400
    .language:       OpenCL C
    .language_version:
      - 2
      - 0
    .max_flat_workgroup_size: 256
    .name:           _Z39paged_attention_ll4mi_QKV_mfma16_kernelI14__hip_bfloat16S0_LN4vllm18Fp8KVCacheDataTypeE0ES0_Li32ELi64ELi256ELb0ELi4EL8MFMAType0EEvPKT_PKT0_S9_ifPKiSB_SB_iPKfiiiPfSE_PS4_PT2_iSD_SD_
    .private_segment_fixed_size: 0
    .sgpr_count:     50
    .sgpr_spill_count: 0
    .symbol:         _Z39paged_attention_ll4mi_QKV_mfma16_kernelI14__hip_bfloat16S0_LN4vllm18Fp8KVCacheDataTypeE0ES0_Li32ELi64ELi256ELb0ELi4EL8MFMAType0EEvPKT_PKT0_S9_ifPKiSB_SB_iPKfiiiPfSE_PS4_PT2_iSD_SD_.kd
    .uniform_work_group_size: 1
    .uses_dynamic_stack: false
    .vgpr_count:     68
    .vgpr_spill_count: 0
    .wavefront_size: 64
  - .agpr_count:     8
    .args:
      - .actual_access:  read_only
        .address_space:  global
        .offset:         0
        .size:           8
        .value_kind:     global_buffer
      - .actual_access:  read_only
        .address_space:  global
        .offset:         8
        .size:           8
        .value_kind:     global_buffer
      - .actual_access:  read_only
        .address_space:  global
        .offset:         16
        .size:           8
        .value_kind:     global_buffer
      - .offset:         24
        .size:           4
        .value_kind:     by_value
      - .offset:         28
        .size:           4
        .value_kind:     by_value
      - .actual_access:  read_only
        .address_space:  global
        .offset:         32
        .size:           8
        .value_kind:     global_buffer
      - .actual_access:  read_only
        .address_space:  global
        .offset:         40
        .size:           8
        .value_kind:     global_buffer
      - .actual_access:  read_only
        .address_space:  global
        .offset:         48
        .size:           8
        .value_kind:     global_buffer
      - .offset:         56
        .size:           4
        .value_kind:     by_value
      - .actual_access:  read_only
        .address_space:  global
        .offset:         64
        .size:           8
        .value_kind:     global_buffer
      - .offset:         72
        .size:           4
        .value_kind:     by_value
      - .offset:         76
        .size:           4
        .value_kind:     by_value
      - .offset:         80
        .size:           4
        .value_kind:     by_value
      - .actual_access:  write_only
        .address_space:  global
        .offset:         88
        .size:           8
        .value_kind:     global_buffer
      - .actual_access:  write_only
        .address_space:  global
        .offset:         96
        .size:           8
        .value_kind:     global_buffer
      - .actual_access:  write_only
        .address_space:  global
        .offset:         104
        .size:           8
        .value_kind:     global_buffer
      - .actual_access:  read_only
        .address_space:  global
        .offset:         112
        .size:           8
        .value_kind:     global_buffer
      - .offset:         120
        .size:           4
        .value_kind:     by_value
      - .address_space:  global
        .offset:         128
        .size:           8
        .value_kind:     global_buffer
      - .address_space:  global
        .offset:         136
        .size:           8
        .value_kind:     global_buffer
      - .offset:         144
        .size:           4
        .value_kind:     hidden_block_count_x
      - .offset:         148
        .size:           4
        .value_kind:     hidden_block_count_y
      - .offset:         152
        .size:           4
        .value_kind:     hidden_block_count_z
      - .offset:         156
        .size:           2
        .value_kind:     hidden_group_size_x
      - .offset:         158
        .size:           2
        .value_kind:     hidden_group_size_y
      - .offset:         160
        .size:           2
        .value_kind:     hidden_group_size_z
      - .offset:         162
        .size:           2
        .value_kind:     hidden_remainder_x
      - .offset:         164
        .size:           2
        .value_kind:     hidden_remainder_y
      - .offset:         166
        .size:           2
        .value_kind:     hidden_remainder_z
      - .offset:         184
        .size:           8
        .value_kind:     hidden_global_offset_x
      - .offset:         192
        .size:           8
        .value_kind:     hidden_global_offset_y
      - .offset:         200
        .size:           8
        .value_kind:     hidden_global_offset_z
      - .offset:         208
        .size:           2
        .value_kind:     hidden_grid_dims
    .group_segment_fixed_size: 5280
    .kernarg_segment_align: 8
    .kernarg_segment_size: 400
    .language:       OpenCL C
    .language_version:
      - 2
      - 0
    .max_flat_workgroup_size: 256
    .name:           _Z38paged_attention_ll4mi_QKV_mfma4_kernelI14__hip_bfloat16S0_LN4vllm18Fp8KVCacheDataTypeE0ES0_Li16ELi128ELi256ELb1ELi1EEvPKT_PKT0_S8_ifPKiSA_SA_iPKfiiiPfSD_PS3_PT2_iSC_SC_
    .private_segment_fixed_size: 0
    .sgpr_count:     42
    .sgpr_spill_count: 0
    .symbol:         _Z38paged_attention_ll4mi_QKV_mfma4_kernelI14__hip_bfloat16S0_LN4vllm18Fp8KVCacheDataTypeE0ES0_Li16ELi128ELi256ELb1ELi1EEvPKT_PKT0_S8_ifPKiSA_SA_iPKfiiiPfSD_PS3_PT2_iSC_SC_.kd
    .uniform_work_group_size: 1
    .uses_dynamic_stack: false
    .vgpr_count:     108
    .vgpr_spill_count: 0
    .wavefront_size: 64
  - .agpr_count:     8
    .args:
      - .actual_access:  read_only
        .address_space:  global
        .offset:         0
        .size:           8
        .value_kind:     global_buffer
      - .actual_access:  read_only
        .address_space:  global
        .offset:         8
        .size:           8
        .value_kind:     global_buffer
      - .actual_access:  read_only
        .address_space:  global
        .offset:         16
        .size:           8
        .value_kind:     global_buffer
      - .offset:         24
        .size:           4
        .value_kind:     by_value
      - .offset:         28
        .size:           4
        .value_kind:     by_value
      - .actual_access:  read_only
        .address_space:  global
        .offset:         32
        .size:           8
        .value_kind:     global_buffer
      - .actual_access:  read_only
        .address_space:  global
        .offset:         40
        .size:           8
        .value_kind:     global_buffer
      - .actual_access:  read_only
        .address_space:  global
        .offset:         48
        .size:           8
        .value_kind:     global_buffer
      - .offset:         56
        .size:           4
        .value_kind:     by_value
      - .actual_access:  read_only
        .address_space:  global
        .offset:         64
        .size:           8
        .value_kind:     global_buffer
      - .offset:         72
        .size:           4
        .value_kind:     by_value
      - .offset:         76
        .size:           4
        .value_kind:     by_value
      - .offset:         80
        .size:           4
        .value_kind:     by_value
      - .actual_access:  write_only
        .address_space:  global
        .offset:         88
        .size:           8
        .value_kind:     global_buffer
      - .actual_access:  write_only
        .address_space:  global
        .offset:         96
        .size:           8
        .value_kind:     global_buffer
      - .actual_access:  write_only
        .address_space:  global
        .offset:         104
        .size:           8
        .value_kind:     global_buffer
      - .actual_access:  read_only
        .address_space:  global
        .offset:         112
        .size:           8
        .value_kind:     global_buffer
      - .offset:         120
        .size:           4
        .value_kind:     by_value
      - .address_space:  global
        .offset:         128
        .size:           8
        .value_kind:     global_buffer
      - .address_space:  global
        .offset:         136
        .size:           8
        .value_kind:     global_buffer
      - .offset:         144
        .size:           4
        .value_kind:     hidden_block_count_x
      - .offset:         148
        .size:           4
        .value_kind:     hidden_block_count_y
      - .offset:         152
        .size:           4
        .value_kind:     hidden_block_count_z
      - .offset:         156
        .size:           2
        .value_kind:     hidden_group_size_x
      - .offset:         158
        .size:           2
        .value_kind:     hidden_group_size_y
      - .offset:         160
        .size:           2
        .value_kind:     hidden_group_size_z
      - .offset:         162
        .size:           2
        .value_kind:     hidden_remainder_x
      - .offset:         164
        .size:           2
        .value_kind:     hidden_remainder_y
      - .offset:         166
        .size:           2
        .value_kind:     hidden_remainder_z
      - .offset:         184
        .size:           8
        .value_kind:     hidden_global_offset_x
      - .offset:         192
        .size:           8
        .value_kind:     hidden_global_offset_y
      - .offset:         200
        .size:           8
        .value_kind:     hidden_global_offset_z
      - .offset:         208
        .size:           2
        .value_kind:     hidden_grid_dims
    .group_segment_fixed_size: 5280
    .kernarg_segment_align: 8
    .kernarg_segment_size: 400
    .language:       OpenCL C
    .language_version:
      - 2
      - 0
    .max_flat_workgroup_size: 256
    .name:           _Z38paged_attention_ll4mi_QKV_mfma4_kernelI14__hip_bfloat16S0_LN4vllm18Fp8KVCacheDataTypeE0ES0_Li16ELi128ELi256ELb1ELi2EEvPKT_PKT0_S8_ifPKiSA_SA_iPKfiiiPfSD_PS3_PT2_iSC_SC_
    .private_segment_fixed_size: 0
    .sgpr_count:     42
    .sgpr_spill_count: 0
    .symbol:         _Z38paged_attention_ll4mi_QKV_mfma4_kernelI14__hip_bfloat16S0_LN4vllm18Fp8KVCacheDataTypeE0ES0_Li16ELi128ELi256ELb1ELi2EEvPKT_PKT0_S8_ifPKiSA_SA_iPKfiiiPfSD_PS3_PT2_iSC_SC_.kd
    .uniform_work_group_size: 1
    .uses_dynamic_stack: false
    .vgpr_count:     108
    .vgpr_spill_count: 0
    .wavefront_size: 64
  - .agpr_count:     8
    .args:
      - .actual_access:  read_only
        .address_space:  global
        .offset:         0
        .size:           8
        .value_kind:     global_buffer
      - .actual_access:  read_only
        .address_space:  global
        .offset:         8
        .size:           8
        .value_kind:     global_buffer
      - .actual_access:  read_only
        .address_space:  global
        .offset:         16
        .size:           8
        .value_kind:     global_buffer
      - .offset:         24
        .size:           4
        .value_kind:     by_value
      - .offset:         28
        .size:           4
        .value_kind:     by_value
      - .actual_access:  read_only
        .address_space:  global
        .offset:         32
        .size:           8
        .value_kind:     global_buffer
      - .actual_access:  read_only
        .address_space:  global
        .offset:         40
        .size:           8
        .value_kind:     global_buffer
      - .actual_access:  read_only
        .address_space:  global
        .offset:         48
        .size:           8
        .value_kind:     global_buffer
      - .offset:         56
        .size:           4
        .value_kind:     by_value
      - .actual_access:  read_only
        .address_space:  global
        .offset:         64
        .size:           8
        .value_kind:     global_buffer
      - .offset:         72
        .size:           4
        .value_kind:     by_value
      - .offset:         76
        .size:           4
        .value_kind:     by_value
      - .offset:         80
        .size:           4
        .value_kind:     by_value
      - .actual_access:  write_only
        .address_space:  global
        .offset:         88
        .size:           8
        .value_kind:     global_buffer
      - .actual_access:  write_only
        .address_space:  global
        .offset:         96
        .size:           8
        .value_kind:     global_buffer
      - .actual_access:  write_only
        .address_space:  global
        .offset:         104
        .size:           8
        .value_kind:     global_buffer
      - .actual_access:  read_only
        .address_space:  global
        .offset:         112
        .size:           8
        .value_kind:     global_buffer
      - .offset:         120
        .size:           4
        .value_kind:     by_value
      - .address_space:  global
        .offset:         128
        .size:           8
        .value_kind:     global_buffer
      - .address_space:  global
        .offset:         136
        .size:           8
        .value_kind:     global_buffer
      - .offset:         144
        .size:           4
        .value_kind:     hidden_block_count_x
      - .offset:         148
        .size:           4
        .value_kind:     hidden_block_count_y
      - .offset:         152
        .size:           4
        .value_kind:     hidden_block_count_z
      - .offset:         156
        .size:           2
        .value_kind:     hidden_group_size_x
      - .offset:         158
        .size:           2
        .value_kind:     hidden_group_size_y
      - .offset:         160
        .size:           2
        .value_kind:     hidden_group_size_z
      - .offset:         162
        .size:           2
        .value_kind:     hidden_remainder_x
      - .offset:         164
        .size:           2
        .value_kind:     hidden_remainder_y
      - .offset:         166
        .size:           2
        .value_kind:     hidden_remainder_z
      - .offset:         184
        .size:           8
        .value_kind:     hidden_global_offset_x
      - .offset:         192
        .size:           8
        .value_kind:     hidden_global_offset_y
      - .offset:         200
        .size:           8
        .value_kind:     hidden_global_offset_z
      - .offset:         208
        .size:           2
        .value_kind:     hidden_grid_dims
    .group_segment_fixed_size: 5280
    .kernarg_segment_align: 8
    .kernarg_segment_size: 400
    .language:       OpenCL C
    .language_version:
      - 2
      - 0
    .max_flat_workgroup_size: 256
    .name:           _Z38paged_attention_ll4mi_QKV_mfma4_kernelI14__hip_bfloat16S0_LN4vllm18Fp8KVCacheDataTypeE0ES0_Li16ELi128ELi256ELb1ELi3EEvPKT_PKT0_S8_ifPKiSA_SA_iPKfiiiPfSD_PS3_PT2_iSC_SC_
    .private_segment_fixed_size: 0
    .sgpr_count:     42
    .sgpr_spill_count: 0
    .symbol:         _Z38paged_attention_ll4mi_QKV_mfma4_kernelI14__hip_bfloat16S0_LN4vllm18Fp8KVCacheDataTypeE0ES0_Li16ELi128ELi256ELb1ELi3EEvPKT_PKT0_S8_ifPKiSA_SA_iPKfiiiPfSD_PS3_PT2_iSC_SC_.kd
    .uniform_work_group_size: 1
    .uses_dynamic_stack: false
    .vgpr_count:     108
    .vgpr_spill_count: 0
    .wavefront_size: 64
  - .agpr_count:     8
    .args:
      - .actual_access:  read_only
        .address_space:  global
        .offset:         0
        .size:           8
        .value_kind:     global_buffer
      - .actual_access:  read_only
        .address_space:  global
        .offset:         8
        .size:           8
        .value_kind:     global_buffer
      - .actual_access:  read_only
        .address_space:  global
        .offset:         16
        .size:           8
        .value_kind:     global_buffer
      - .offset:         24
        .size:           4
        .value_kind:     by_value
      - .offset:         28
        .size:           4
        .value_kind:     by_value
      - .actual_access:  read_only
        .address_space:  global
        .offset:         32
        .size:           8
        .value_kind:     global_buffer
      - .actual_access:  read_only
        .address_space:  global
        .offset:         40
        .size:           8
        .value_kind:     global_buffer
      - .actual_access:  read_only
        .address_space:  global
        .offset:         48
        .size:           8
        .value_kind:     global_buffer
      - .offset:         56
        .size:           4
        .value_kind:     by_value
      - .actual_access:  read_only
        .address_space:  global
        .offset:         64
        .size:           8
        .value_kind:     global_buffer
      - .offset:         72
        .size:           4
        .value_kind:     by_value
      - .offset:         76
        .size:           4
        .value_kind:     by_value
      - .offset:         80
        .size:           4
        .value_kind:     by_value
      - .actual_access:  write_only
        .address_space:  global
        .offset:         88
        .size:           8
        .value_kind:     global_buffer
      - .actual_access:  write_only
        .address_space:  global
        .offset:         96
        .size:           8
        .value_kind:     global_buffer
      - .actual_access:  write_only
        .address_space:  global
        .offset:         104
        .size:           8
        .value_kind:     global_buffer
      - .actual_access:  read_only
        .address_space:  global
        .offset:         112
        .size:           8
        .value_kind:     global_buffer
      - .offset:         120
        .size:           4
        .value_kind:     by_value
      - .address_space:  global
        .offset:         128
        .size:           8
        .value_kind:     global_buffer
      - .address_space:  global
        .offset:         136
        .size:           8
        .value_kind:     global_buffer
      - .offset:         144
        .size:           4
        .value_kind:     hidden_block_count_x
      - .offset:         148
        .size:           4
        .value_kind:     hidden_block_count_y
      - .offset:         152
        .size:           4
        .value_kind:     hidden_block_count_z
      - .offset:         156
        .size:           2
        .value_kind:     hidden_group_size_x
      - .offset:         158
        .size:           2
        .value_kind:     hidden_group_size_y
      - .offset:         160
        .size:           2
        .value_kind:     hidden_group_size_z
      - .offset:         162
        .size:           2
        .value_kind:     hidden_remainder_x
      - .offset:         164
        .size:           2
        .value_kind:     hidden_remainder_y
      - .offset:         166
        .size:           2
        .value_kind:     hidden_remainder_z
      - .offset:         184
        .size:           8
        .value_kind:     hidden_global_offset_x
      - .offset:         192
        .size:           8
        .value_kind:     hidden_global_offset_y
      - .offset:         200
        .size:           8
        .value_kind:     hidden_global_offset_z
      - .offset:         208
        .size:           2
        .value_kind:     hidden_grid_dims
    .group_segment_fixed_size: 5280
    .kernarg_segment_align: 8
    .kernarg_segment_size: 400
    .language:       OpenCL C
    .language_version:
      - 2
      - 0
    .max_flat_workgroup_size: 256
    .name:           _Z38paged_attention_ll4mi_QKV_mfma4_kernelI14__hip_bfloat16S0_LN4vllm18Fp8KVCacheDataTypeE0ES0_Li16ELi128ELi256ELb1ELi4EEvPKT_PKT0_S8_ifPKiSA_SA_iPKfiiiPfSD_PS3_PT2_iSC_SC_
    .private_segment_fixed_size: 0
    .sgpr_count:     44
    .sgpr_spill_count: 0
    .symbol:         _Z38paged_attention_ll4mi_QKV_mfma4_kernelI14__hip_bfloat16S0_LN4vllm18Fp8KVCacheDataTypeE0ES0_Li16ELi128ELi256ELb1ELi4EEvPKT_PKT0_S8_ifPKiSA_SA_iPKfiiiPfSD_PS3_PT2_iSC_SC_.kd
    .uniform_work_group_size: 1
    .uses_dynamic_stack: false
    .vgpr_count:     108
    .vgpr_spill_count: 0
    .wavefront_size: 64
  - .agpr_count:     0
    .args:
      - .actual_access:  read_only
        .address_space:  global
        .offset:         0
        .size:           8
        .value_kind:     global_buffer
      - .actual_access:  read_only
        .address_space:  global
        .offset:         8
        .size:           8
        .value_kind:     global_buffer
      - .actual_access:  read_only
        .address_space:  global
        .offset:         16
        .size:           8
        .value_kind:     global_buffer
      - .offset:         24
        .size:           4
        .value_kind:     by_value
      - .offset:         28
        .size:           4
        .value_kind:     by_value
      - .actual_access:  read_only
        .address_space:  global
        .offset:         32
        .size:           8
        .value_kind:     global_buffer
      - .actual_access:  read_only
        .address_space:  global
        .offset:         40
        .size:           8
        .value_kind:     global_buffer
      - .actual_access:  read_only
        .address_space:  global
        .offset:         48
        .size:           8
        .value_kind:     global_buffer
      - .offset:         56
        .size:           4
        .value_kind:     by_value
      - .actual_access:  read_only
        .address_space:  global
        .offset:         64
        .size:           8
        .value_kind:     global_buffer
      - .offset:         72
        .size:           4
        .value_kind:     by_value
      - .offset:         76
        .size:           4
        .value_kind:     by_value
      - .offset:         80
        .size:           4
        .value_kind:     by_value
      - .actual_access:  write_only
        .address_space:  global
        .offset:         88
        .size:           8
        .value_kind:     global_buffer
      - .actual_access:  write_only
        .address_space:  global
        .offset:         96
        .size:           8
        .value_kind:     global_buffer
      - .actual_access:  write_only
        .address_space:  global
        .offset:         104
        .size:           8
        .value_kind:     global_buffer
      - .actual_access:  read_only
        .address_space:  global
        .offset:         112
        .size:           8
        .value_kind:     global_buffer
      - .offset:         120
        .size:           4
        .value_kind:     by_value
      - .address_space:  global
        .offset:         128
        .size:           8
        .value_kind:     global_buffer
      - .address_space:  global
        .offset:         136
        .size:           8
        .value_kind:     global_buffer
      - .offset:         144
        .size:           4
        .value_kind:     hidden_block_count_x
      - .offset:         148
        .size:           4
        .value_kind:     hidden_block_count_y
      - .offset:         152
        .size:           4
        .value_kind:     hidden_block_count_z
      - .offset:         156
        .size:           2
        .value_kind:     hidden_group_size_x
      - .offset:         158
        .size:           2
        .value_kind:     hidden_group_size_y
      - .offset:         160
        .size:           2
        .value_kind:     hidden_group_size_z
      - .offset:         162
        .size:           2
        .value_kind:     hidden_remainder_x
      - .offset:         164
        .size:           2
        .value_kind:     hidden_remainder_y
      - .offset:         166
        .size:           2
        .value_kind:     hidden_remainder_z
      - .offset:         184
        .size:           8
        .value_kind:     hidden_global_offset_x
      - .offset:         192
        .size:           8
        .value_kind:     hidden_global_offset_y
      - .offset:         200
        .size:           8
        .value_kind:     hidden_global_offset_z
      - .offset:         208
        .size:           2
        .value_kind:     hidden_grid_dims
    .group_segment_fixed_size: 8192
    .kernarg_segment_align: 8
    .kernarg_segment_size: 400
    .language:       OpenCL C
    .language_version:
      - 2
      - 0
    .max_flat_workgroup_size: 256
    .name:           _Z39paged_attention_ll4mi_QKV_mfma16_kernelI14__hip_bfloat16S0_LN4vllm18Fp8KVCacheDataTypeE0ES0_Li16ELi128ELi256ELb1ELi5EL8MFMAType0EEvPKT_PKT0_S9_ifPKiSB_SB_iPKfiiiPfSE_PS4_PT2_iSD_SD_
    .private_segment_fixed_size: 8
    .sgpr_count:     52
    .sgpr_spill_count: 0
    .symbol:         _Z39paged_attention_ll4mi_QKV_mfma16_kernelI14__hip_bfloat16S0_LN4vllm18Fp8KVCacheDataTypeE0ES0_Li16ELi128ELi256ELb1ELi5EL8MFMAType0EEvPKT_PKT0_S9_ifPKiSB_SB_iPKfiiiPfSE_PS4_PT2_iSD_SD_.kd
    .uniform_work_group_size: 1
    .uses_dynamic_stack: false
    .vgpr_count:     96
    .vgpr_spill_count: 1
    .wavefront_size: 64
  - .agpr_count:     0
    .args:
      - .actual_access:  read_only
        .address_space:  global
        .offset:         0
        .size:           8
        .value_kind:     global_buffer
      - .actual_access:  read_only
        .address_space:  global
        .offset:         8
        .size:           8
        .value_kind:     global_buffer
      - .actual_access:  read_only
        .address_space:  global
        .offset:         16
        .size:           8
        .value_kind:     global_buffer
      - .offset:         24
        .size:           4
        .value_kind:     by_value
      - .offset:         28
        .size:           4
        .value_kind:     by_value
      - .actual_access:  read_only
        .address_space:  global
        .offset:         32
        .size:           8
        .value_kind:     global_buffer
      - .actual_access:  read_only
        .address_space:  global
        .offset:         40
        .size:           8
        .value_kind:     global_buffer
      - .actual_access:  read_only
        .address_space:  global
        .offset:         48
        .size:           8
        .value_kind:     global_buffer
      - .offset:         56
        .size:           4
        .value_kind:     by_value
      - .actual_access:  read_only
        .address_space:  global
        .offset:         64
        .size:           8
        .value_kind:     global_buffer
      - .offset:         72
        .size:           4
        .value_kind:     by_value
      - .offset:         76
        .size:           4
        .value_kind:     by_value
      - .offset:         80
        .size:           4
        .value_kind:     by_value
      - .actual_access:  write_only
        .address_space:  global
        .offset:         88
        .size:           8
        .value_kind:     global_buffer
      - .actual_access:  write_only
        .address_space:  global
        .offset:         96
        .size:           8
        .value_kind:     global_buffer
      - .actual_access:  write_only
        .address_space:  global
        .offset:         104
        .size:           8
        .value_kind:     global_buffer
      - .actual_access:  read_only
        .address_space:  global
        .offset:         112
        .size:           8
        .value_kind:     global_buffer
      - .offset:         120
        .size:           4
        .value_kind:     by_value
      - .address_space:  global
        .offset:         128
        .size:           8
        .value_kind:     global_buffer
      - .address_space:  global
        .offset:         136
        .size:           8
        .value_kind:     global_buffer
      - .offset:         144
        .size:           4
        .value_kind:     hidden_block_count_x
      - .offset:         148
        .size:           4
        .value_kind:     hidden_block_count_y
      - .offset:         152
        .size:           4
        .value_kind:     hidden_block_count_z
      - .offset:         156
        .size:           2
        .value_kind:     hidden_group_size_x
      - .offset:         158
        .size:           2
        .value_kind:     hidden_group_size_y
      - .offset:         160
        .size:           2
        .value_kind:     hidden_group_size_z
      - .offset:         162
        .size:           2
        .value_kind:     hidden_remainder_x
      - .offset:         164
        .size:           2
        .value_kind:     hidden_remainder_y
      - .offset:         166
        .size:           2
        .value_kind:     hidden_remainder_z
      - .offset:         184
        .size:           8
        .value_kind:     hidden_global_offset_x
      - .offset:         192
        .size:           8
        .value_kind:     hidden_global_offset_y
      - .offset:         200
        .size:           8
        .value_kind:     hidden_global_offset_z
      - .offset:         208
        .size:           2
        .value_kind:     hidden_grid_dims
    .group_segment_fixed_size: 8192
    .kernarg_segment_align: 8
    .kernarg_segment_size: 400
    .language:       OpenCL C
    .language_version:
      - 2
      - 0
    .max_flat_workgroup_size: 256
    .name:           _Z39paged_attention_ll4mi_QKV_mfma16_kernelI14__hip_bfloat16S0_LN4vllm18Fp8KVCacheDataTypeE0ES0_Li16ELi128ELi256ELb1ELi6EL8MFMAType0EEvPKT_PKT0_S9_ifPKiSB_SB_iPKfiiiPfSE_PS4_PT2_iSD_SD_
    .private_segment_fixed_size: 8
    .sgpr_count:     52
    .sgpr_spill_count: 0
    .symbol:         _Z39paged_attention_ll4mi_QKV_mfma16_kernelI14__hip_bfloat16S0_LN4vllm18Fp8KVCacheDataTypeE0ES0_Li16ELi128ELi256ELb1ELi6EL8MFMAType0EEvPKT_PKT0_S9_ifPKiSB_SB_iPKfiiiPfSE_PS4_PT2_iSD_SD_.kd
    .uniform_work_group_size: 1
    .uses_dynamic_stack: false
    .vgpr_count:     96
    .vgpr_spill_count: 1
    .wavefront_size: 64
  - .agpr_count:     0
    .args:
      - .actual_access:  read_only
        .address_space:  global
        .offset:         0
        .size:           8
        .value_kind:     global_buffer
      - .actual_access:  read_only
        .address_space:  global
        .offset:         8
        .size:           8
        .value_kind:     global_buffer
      - .actual_access:  read_only
        .address_space:  global
        .offset:         16
        .size:           8
        .value_kind:     global_buffer
      - .offset:         24
        .size:           4
        .value_kind:     by_value
      - .offset:         28
        .size:           4
        .value_kind:     by_value
      - .actual_access:  read_only
        .address_space:  global
        .offset:         32
        .size:           8
        .value_kind:     global_buffer
      - .actual_access:  read_only
        .address_space:  global
        .offset:         40
        .size:           8
        .value_kind:     global_buffer
      - .actual_access:  read_only
        .address_space:  global
        .offset:         48
        .size:           8
        .value_kind:     global_buffer
      - .offset:         56
        .size:           4
        .value_kind:     by_value
      - .actual_access:  read_only
        .address_space:  global
        .offset:         64
        .size:           8
        .value_kind:     global_buffer
      - .offset:         72
        .size:           4
        .value_kind:     by_value
      - .offset:         76
        .size:           4
        .value_kind:     by_value
      - .offset:         80
        .size:           4
        .value_kind:     by_value
      - .actual_access:  write_only
        .address_space:  global
        .offset:         88
        .size:           8
        .value_kind:     global_buffer
      - .actual_access:  write_only
        .address_space:  global
        .offset:         96
        .size:           8
        .value_kind:     global_buffer
      - .actual_access:  write_only
        .address_space:  global
        .offset:         104
        .size:           8
        .value_kind:     global_buffer
      - .actual_access:  read_only
        .address_space:  global
        .offset:         112
        .size:           8
        .value_kind:     global_buffer
      - .offset:         120
        .size:           4
        .value_kind:     by_value
      - .address_space:  global
        .offset:         128
        .size:           8
        .value_kind:     global_buffer
      - .address_space:  global
        .offset:         136
        .size:           8
        .value_kind:     global_buffer
      - .offset:         144
        .size:           4
        .value_kind:     hidden_block_count_x
      - .offset:         148
        .size:           4
        .value_kind:     hidden_block_count_y
      - .offset:         152
        .size:           4
        .value_kind:     hidden_block_count_z
      - .offset:         156
        .size:           2
        .value_kind:     hidden_group_size_x
      - .offset:         158
        .size:           2
        .value_kind:     hidden_group_size_y
      - .offset:         160
        .size:           2
        .value_kind:     hidden_group_size_z
      - .offset:         162
        .size:           2
        .value_kind:     hidden_remainder_x
      - .offset:         164
        .size:           2
        .value_kind:     hidden_remainder_y
      - .offset:         166
        .size:           2
        .value_kind:     hidden_remainder_z
      - .offset:         184
        .size:           8
        .value_kind:     hidden_global_offset_x
      - .offset:         192
        .size:           8
        .value_kind:     hidden_global_offset_y
      - .offset:         200
        .size:           8
        .value_kind:     hidden_global_offset_z
      - .offset:         208
        .size:           2
        .value_kind:     hidden_grid_dims
    .group_segment_fixed_size: 8192
    .kernarg_segment_align: 8
    .kernarg_segment_size: 400
    .language:       OpenCL C
    .language_version:
      - 2
      - 0
    .max_flat_workgroup_size: 256
    .name:           _Z39paged_attention_ll4mi_QKV_mfma16_kernelI14__hip_bfloat16S0_LN4vllm18Fp8KVCacheDataTypeE0ES0_Li16ELi128ELi256ELb1ELi7EL8MFMAType0EEvPKT_PKT0_S9_ifPKiSB_SB_iPKfiiiPfSE_PS4_PT2_iSD_SD_
    .private_segment_fixed_size: 8
    .sgpr_count:     52
    .sgpr_spill_count: 0
    .symbol:         _Z39paged_attention_ll4mi_QKV_mfma16_kernelI14__hip_bfloat16S0_LN4vllm18Fp8KVCacheDataTypeE0ES0_Li16ELi128ELi256ELb1ELi7EL8MFMAType0EEvPKT_PKT0_S9_ifPKiSB_SB_iPKfiiiPfSE_PS4_PT2_iSD_SD_.kd
    .uniform_work_group_size: 1
    .uses_dynamic_stack: false
    .vgpr_count:     96
    .vgpr_spill_count: 1
    .wavefront_size: 64
  - .agpr_count:     0
    .args:
      - .actual_access:  read_only
        .address_space:  global
        .offset:         0
        .size:           8
        .value_kind:     global_buffer
      - .actual_access:  read_only
        .address_space:  global
        .offset:         8
        .size:           8
        .value_kind:     global_buffer
      - .actual_access:  read_only
        .address_space:  global
        .offset:         16
        .size:           8
        .value_kind:     global_buffer
      - .offset:         24
        .size:           4
        .value_kind:     by_value
      - .offset:         28
        .size:           4
        .value_kind:     by_value
      - .actual_access:  read_only
        .address_space:  global
        .offset:         32
        .size:           8
        .value_kind:     global_buffer
      - .actual_access:  read_only
        .address_space:  global
        .offset:         40
        .size:           8
        .value_kind:     global_buffer
      - .actual_access:  read_only
        .address_space:  global
        .offset:         48
        .size:           8
        .value_kind:     global_buffer
      - .offset:         56
        .size:           4
        .value_kind:     by_value
      - .actual_access:  read_only
        .address_space:  global
        .offset:         64
        .size:           8
        .value_kind:     global_buffer
      - .offset:         72
        .size:           4
        .value_kind:     by_value
      - .offset:         76
        .size:           4
        .value_kind:     by_value
      - .offset:         80
        .size:           4
        .value_kind:     by_value
      - .actual_access:  write_only
        .address_space:  global
        .offset:         88
        .size:           8
        .value_kind:     global_buffer
      - .actual_access:  write_only
        .address_space:  global
        .offset:         96
        .size:           8
        .value_kind:     global_buffer
      - .actual_access:  write_only
        .address_space:  global
        .offset:         104
        .size:           8
        .value_kind:     global_buffer
      - .actual_access:  read_only
        .address_space:  global
        .offset:         112
        .size:           8
        .value_kind:     global_buffer
      - .offset:         120
        .size:           4
        .value_kind:     by_value
      - .address_space:  global
        .offset:         128
        .size:           8
        .value_kind:     global_buffer
      - .address_space:  global
        .offset:         136
        .size:           8
        .value_kind:     global_buffer
      - .offset:         144
        .size:           4
        .value_kind:     hidden_block_count_x
      - .offset:         148
        .size:           4
        .value_kind:     hidden_block_count_y
      - .offset:         152
        .size:           4
        .value_kind:     hidden_block_count_z
      - .offset:         156
        .size:           2
        .value_kind:     hidden_group_size_x
      - .offset:         158
        .size:           2
        .value_kind:     hidden_group_size_y
      - .offset:         160
        .size:           2
        .value_kind:     hidden_group_size_z
      - .offset:         162
        .size:           2
        .value_kind:     hidden_remainder_x
      - .offset:         164
        .size:           2
        .value_kind:     hidden_remainder_y
      - .offset:         166
        .size:           2
        .value_kind:     hidden_remainder_z
      - .offset:         184
        .size:           8
        .value_kind:     hidden_global_offset_x
      - .offset:         192
        .size:           8
        .value_kind:     hidden_global_offset_y
      - .offset:         200
        .size:           8
        .value_kind:     hidden_global_offset_z
      - .offset:         208
        .size:           2
        .value_kind:     hidden_grid_dims
    .group_segment_fixed_size: 8192
    .kernarg_segment_align: 8
    .kernarg_segment_size: 400
    .language:       OpenCL C
    .language_version:
      - 2
      - 0
    .max_flat_workgroup_size: 256
    .name:           _Z39paged_attention_ll4mi_QKV_mfma16_kernelI14__hip_bfloat16S0_LN4vllm18Fp8KVCacheDataTypeE0ES0_Li16ELi128ELi256ELb1ELi8EL8MFMAType0EEvPKT_PKT0_S9_ifPKiSB_SB_iPKfiiiPfSE_PS4_PT2_iSD_SD_
    .private_segment_fixed_size: 8
    .sgpr_count:     52
    .sgpr_spill_count: 0
    .symbol:         _Z39paged_attention_ll4mi_QKV_mfma16_kernelI14__hip_bfloat16S0_LN4vllm18Fp8KVCacheDataTypeE0ES0_Li16ELi128ELi256ELb1ELi8EL8MFMAType0EEvPKT_PKT0_S9_ifPKiSB_SB_iPKfiiiPfSE_PS4_PT2_iSD_SD_.kd
    .uniform_work_group_size: 1
    .uses_dynamic_stack: false
    .vgpr_count:     96
    .vgpr_spill_count: 1
    .wavefront_size: 64
  - .agpr_count:     0
    .args:
      - .actual_access:  read_only
        .address_space:  global
        .offset:         0
        .size:           8
        .value_kind:     global_buffer
      - .actual_access:  read_only
        .address_space:  global
        .offset:         8
        .size:           8
        .value_kind:     global_buffer
      - .actual_access:  read_only
        .address_space:  global
        .offset:         16
        .size:           8
        .value_kind:     global_buffer
      - .offset:         24
        .size:           4
        .value_kind:     by_value
      - .offset:         28
        .size:           4
        .value_kind:     by_value
      - .actual_access:  read_only
        .address_space:  global
        .offset:         32
        .size:           8
        .value_kind:     global_buffer
      - .actual_access:  read_only
        .address_space:  global
        .offset:         40
        .size:           8
        .value_kind:     global_buffer
      - .actual_access:  read_only
        .address_space:  global
        .offset:         48
        .size:           8
        .value_kind:     global_buffer
      - .offset:         56
        .size:           4
        .value_kind:     by_value
      - .actual_access:  read_only
        .address_space:  global
        .offset:         64
        .size:           8
        .value_kind:     global_buffer
      - .offset:         72
        .size:           4
        .value_kind:     by_value
      - .offset:         76
        .size:           4
        .value_kind:     by_value
      - .offset:         80
        .size:           4
        .value_kind:     by_value
      - .actual_access:  write_only
        .address_space:  global
        .offset:         88
        .size:           8
        .value_kind:     global_buffer
      - .actual_access:  write_only
        .address_space:  global
        .offset:         96
        .size:           8
        .value_kind:     global_buffer
      - .actual_access:  write_only
        .address_space:  global
        .offset:         104
        .size:           8
        .value_kind:     global_buffer
      - .actual_access:  read_only
        .address_space:  global
        .offset:         112
        .size:           8
        .value_kind:     global_buffer
      - .offset:         120
        .size:           4
        .value_kind:     by_value
      - .address_space:  global
        .offset:         128
        .size:           8
        .value_kind:     global_buffer
      - .address_space:  global
        .offset:         136
        .size:           8
        .value_kind:     global_buffer
      - .offset:         144
        .size:           4
        .value_kind:     hidden_block_count_x
      - .offset:         148
        .size:           4
        .value_kind:     hidden_block_count_y
      - .offset:         152
        .size:           4
        .value_kind:     hidden_block_count_z
      - .offset:         156
        .size:           2
        .value_kind:     hidden_group_size_x
      - .offset:         158
        .size:           2
        .value_kind:     hidden_group_size_y
      - .offset:         160
        .size:           2
        .value_kind:     hidden_group_size_z
      - .offset:         162
        .size:           2
        .value_kind:     hidden_remainder_x
      - .offset:         164
        .size:           2
        .value_kind:     hidden_remainder_y
      - .offset:         166
        .size:           2
        .value_kind:     hidden_remainder_z
      - .offset:         184
        .size:           8
        .value_kind:     hidden_global_offset_x
      - .offset:         192
        .size:           8
        .value_kind:     hidden_global_offset_y
      - .offset:         200
        .size:           8
        .value_kind:     hidden_global_offset_z
      - .offset:         208
        .size:           2
        .value_kind:     hidden_grid_dims
    .group_segment_fixed_size: 8192
    .kernarg_segment_align: 8
    .kernarg_segment_size: 400
    .language:       OpenCL C
    .language_version:
      - 2
      - 0
    .max_flat_workgroup_size: 256
    .name:           _Z39paged_attention_ll4mi_QKV_mfma16_kernelI14__hip_bfloat16S0_LN4vllm18Fp8KVCacheDataTypeE0ES0_Li16ELi128ELi256ELb1ELi9EL8MFMAType0EEvPKT_PKT0_S9_ifPKiSB_SB_iPKfiiiPfSE_PS4_PT2_iSD_SD_
    .private_segment_fixed_size: 8
    .sgpr_count:     52
    .sgpr_spill_count: 0
    .symbol:         _Z39paged_attention_ll4mi_QKV_mfma16_kernelI14__hip_bfloat16S0_LN4vllm18Fp8KVCacheDataTypeE0ES0_Li16ELi128ELi256ELb1ELi9EL8MFMAType0EEvPKT_PKT0_S9_ifPKiSB_SB_iPKfiiiPfSE_PS4_PT2_iSD_SD_.kd
    .uniform_work_group_size: 1
    .uses_dynamic_stack: false
    .vgpr_count:     96
    .vgpr_spill_count: 1
    .wavefront_size: 64
  - .agpr_count:     0
    .args:
      - .actual_access:  read_only
        .address_space:  global
        .offset:         0
        .size:           8
        .value_kind:     global_buffer
      - .actual_access:  read_only
        .address_space:  global
        .offset:         8
        .size:           8
        .value_kind:     global_buffer
      - .actual_access:  read_only
        .address_space:  global
        .offset:         16
        .size:           8
        .value_kind:     global_buffer
      - .offset:         24
        .size:           4
        .value_kind:     by_value
      - .offset:         28
        .size:           4
        .value_kind:     by_value
      - .actual_access:  read_only
        .address_space:  global
        .offset:         32
        .size:           8
        .value_kind:     global_buffer
      - .actual_access:  read_only
        .address_space:  global
        .offset:         40
        .size:           8
        .value_kind:     global_buffer
      - .actual_access:  read_only
        .address_space:  global
        .offset:         48
        .size:           8
        .value_kind:     global_buffer
      - .offset:         56
        .size:           4
        .value_kind:     by_value
      - .actual_access:  read_only
        .address_space:  global
        .offset:         64
        .size:           8
        .value_kind:     global_buffer
      - .offset:         72
        .size:           4
        .value_kind:     by_value
      - .offset:         76
        .size:           4
        .value_kind:     by_value
      - .offset:         80
        .size:           4
        .value_kind:     by_value
      - .actual_access:  write_only
        .address_space:  global
        .offset:         88
        .size:           8
        .value_kind:     global_buffer
      - .actual_access:  write_only
        .address_space:  global
        .offset:         96
        .size:           8
        .value_kind:     global_buffer
      - .actual_access:  write_only
        .address_space:  global
        .offset:         104
        .size:           8
        .value_kind:     global_buffer
      - .actual_access:  read_only
        .address_space:  global
        .offset:         112
        .size:           8
        .value_kind:     global_buffer
      - .offset:         120
        .size:           4
        .value_kind:     by_value
      - .address_space:  global
        .offset:         128
        .size:           8
        .value_kind:     global_buffer
      - .address_space:  global
        .offset:         136
        .size:           8
        .value_kind:     global_buffer
      - .offset:         144
        .size:           4
        .value_kind:     hidden_block_count_x
      - .offset:         148
        .size:           4
        .value_kind:     hidden_block_count_y
      - .offset:         152
        .size:           4
        .value_kind:     hidden_block_count_z
      - .offset:         156
        .size:           2
        .value_kind:     hidden_group_size_x
      - .offset:         158
        .size:           2
        .value_kind:     hidden_group_size_y
      - .offset:         160
        .size:           2
        .value_kind:     hidden_group_size_z
      - .offset:         162
        .size:           2
        .value_kind:     hidden_remainder_x
      - .offset:         164
        .size:           2
        .value_kind:     hidden_remainder_y
      - .offset:         166
        .size:           2
        .value_kind:     hidden_remainder_z
      - .offset:         184
        .size:           8
        .value_kind:     hidden_global_offset_x
      - .offset:         192
        .size:           8
        .value_kind:     hidden_global_offset_y
      - .offset:         200
        .size:           8
        .value_kind:     hidden_global_offset_z
      - .offset:         208
        .size:           2
        .value_kind:     hidden_grid_dims
    .group_segment_fixed_size: 8192
    .kernarg_segment_align: 8
    .kernarg_segment_size: 400
    .language:       OpenCL C
    .language_version:
      - 2
      - 0
    .max_flat_workgroup_size: 256
    .name:           _Z39paged_attention_ll4mi_QKV_mfma16_kernelI14__hip_bfloat16S0_LN4vllm18Fp8KVCacheDataTypeE0ES0_Li16ELi128ELi256ELb1ELi10EL8MFMAType0EEvPKT_PKT0_S9_ifPKiSB_SB_iPKfiiiPfSE_PS4_PT2_iSD_SD_
    .private_segment_fixed_size: 8
    .sgpr_count:     52
    .sgpr_spill_count: 0
    .symbol:         _Z39paged_attention_ll4mi_QKV_mfma16_kernelI14__hip_bfloat16S0_LN4vllm18Fp8KVCacheDataTypeE0ES0_Li16ELi128ELi256ELb1ELi10EL8MFMAType0EEvPKT_PKT0_S9_ifPKiSB_SB_iPKfiiiPfSE_PS4_PT2_iSD_SD_.kd
    .uniform_work_group_size: 1
    .uses_dynamic_stack: false
    .vgpr_count:     96
    .vgpr_spill_count: 1
    .wavefront_size: 64
  - .agpr_count:     0
    .args:
      - .actual_access:  read_only
        .address_space:  global
        .offset:         0
        .size:           8
        .value_kind:     global_buffer
      - .actual_access:  read_only
        .address_space:  global
        .offset:         8
        .size:           8
        .value_kind:     global_buffer
      - .actual_access:  read_only
        .address_space:  global
        .offset:         16
        .size:           8
        .value_kind:     global_buffer
      - .offset:         24
        .size:           4
        .value_kind:     by_value
      - .offset:         28
        .size:           4
        .value_kind:     by_value
      - .actual_access:  read_only
        .address_space:  global
        .offset:         32
        .size:           8
        .value_kind:     global_buffer
      - .actual_access:  read_only
        .address_space:  global
        .offset:         40
        .size:           8
        .value_kind:     global_buffer
      - .actual_access:  read_only
        .address_space:  global
        .offset:         48
        .size:           8
        .value_kind:     global_buffer
      - .offset:         56
        .size:           4
        .value_kind:     by_value
      - .actual_access:  read_only
        .address_space:  global
        .offset:         64
        .size:           8
        .value_kind:     global_buffer
      - .offset:         72
        .size:           4
        .value_kind:     by_value
      - .offset:         76
        .size:           4
        .value_kind:     by_value
      - .offset:         80
        .size:           4
        .value_kind:     by_value
      - .actual_access:  write_only
        .address_space:  global
        .offset:         88
        .size:           8
        .value_kind:     global_buffer
      - .actual_access:  write_only
        .address_space:  global
        .offset:         96
        .size:           8
        .value_kind:     global_buffer
      - .actual_access:  write_only
        .address_space:  global
        .offset:         104
        .size:           8
        .value_kind:     global_buffer
      - .actual_access:  read_only
        .address_space:  global
        .offset:         112
        .size:           8
        .value_kind:     global_buffer
      - .offset:         120
        .size:           4
        .value_kind:     by_value
      - .address_space:  global
        .offset:         128
        .size:           8
        .value_kind:     global_buffer
      - .address_space:  global
        .offset:         136
        .size:           8
        .value_kind:     global_buffer
      - .offset:         144
        .size:           4
        .value_kind:     hidden_block_count_x
      - .offset:         148
        .size:           4
        .value_kind:     hidden_block_count_y
      - .offset:         152
        .size:           4
        .value_kind:     hidden_block_count_z
      - .offset:         156
        .size:           2
        .value_kind:     hidden_group_size_x
      - .offset:         158
        .size:           2
        .value_kind:     hidden_group_size_y
      - .offset:         160
        .size:           2
        .value_kind:     hidden_group_size_z
      - .offset:         162
        .size:           2
        .value_kind:     hidden_remainder_x
      - .offset:         164
        .size:           2
        .value_kind:     hidden_remainder_y
      - .offset:         166
        .size:           2
        .value_kind:     hidden_remainder_z
      - .offset:         184
        .size:           8
        .value_kind:     hidden_global_offset_x
      - .offset:         192
        .size:           8
        .value_kind:     hidden_global_offset_y
      - .offset:         200
        .size:           8
        .value_kind:     hidden_global_offset_z
      - .offset:         208
        .size:           2
        .value_kind:     hidden_grid_dims
    .group_segment_fixed_size: 8192
    .kernarg_segment_align: 8
    .kernarg_segment_size: 400
    .language:       OpenCL C
    .language_version:
      - 2
      - 0
    .max_flat_workgroup_size: 256
    .name:           _Z39paged_attention_ll4mi_QKV_mfma16_kernelI14__hip_bfloat16S0_LN4vllm18Fp8KVCacheDataTypeE0ES0_Li16ELi128ELi256ELb1ELi11EL8MFMAType0EEvPKT_PKT0_S9_ifPKiSB_SB_iPKfiiiPfSE_PS4_PT2_iSD_SD_
    .private_segment_fixed_size: 8
    .sgpr_count:     52
    .sgpr_spill_count: 0
    .symbol:         _Z39paged_attention_ll4mi_QKV_mfma16_kernelI14__hip_bfloat16S0_LN4vllm18Fp8KVCacheDataTypeE0ES0_Li16ELi128ELi256ELb1ELi11EL8MFMAType0EEvPKT_PKT0_S9_ifPKiSB_SB_iPKfiiiPfSE_PS4_PT2_iSD_SD_.kd
    .uniform_work_group_size: 1
    .uses_dynamic_stack: false
    .vgpr_count:     96
    .vgpr_spill_count: 1
    .wavefront_size: 64
  - .agpr_count:     0
    .args:
      - .actual_access:  read_only
        .address_space:  global
        .offset:         0
        .size:           8
        .value_kind:     global_buffer
      - .actual_access:  read_only
        .address_space:  global
        .offset:         8
        .size:           8
        .value_kind:     global_buffer
      - .actual_access:  read_only
        .address_space:  global
        .offset:         16
        .size:           8
        .value_kind:     global_buffer
      - .offset:         24
        .size:           4
        .value_kind:     by_value
      - .offset:         28
        .size:           4
        .value_kind:     by_value
      - .actual_access:  read_only
        .address_space:  global
        .offset:         32
        .size:           8
        .value_kind:     global_buffer
      - .actual_access:  read_only
        .address_space:  global
        .offset:         40
        .size:           8
        .value_kind:     global_buffer
      - .actual_access:  read_only
        .address_space:  global
        .offset:         48
        .size:           8
        .value_kind:     global_buffer
      - .offset:         56
        .size:           4
        .value_kind:     by_value
      - .actual_access:  read_only
        .address_space:  global
        .offset:         64
        .size:           8
        .value_kind:     global_buffer
      - .offset:         72
        .size:           4
        .value_kind:     by_value
      - .offset:         76
        .size:           4
        .value_kind:     by_value
      - .offset:         80
        .size:           4
        .value_kind:     by_value
      - .actual_access:  write_only
        .address_space:  global
        .offset:         88
        .size:           8
        .value_kind:     global_buffer
      - .actual_access:  write_only
        .address_space:  global
        .offset:         96
        .size:           8
        .value_kind:     global_buffer
      - .actual_access:  write_only
        .address_space:  global
        .offset:         104
        .size:           8
        .value_kind:     global_buffer
      - .actual_access:  read_only
        .address_space:  global
        .offset:         112
        .size:           8
        .value_kind:     global_buffer
      - .offset:         120
        .size:           4
        .value_kind:     by_value
      - .address_space:  global
        .offset:         128
        .size:           8
        .value_kind:     global_buffer
      - .address_space:  global
        .offset:         136
        .size:           8
        .value_kind:     global_buffer
      - .offset:         144
        .size:           4
        .value_kind:     hidden_block_count_x
      - .offset:         148
        .size:           4
        .value_kind:     hidden_block_count_y
      - .offset:         152
        .size:           4
        .value_kind:     hidden_block_count_z
      - .offset:         156
        .size:           2
        .value_kind:     hidden_group_size_x
      - .offset:         158
        .size:           2
        .value_kind:     hidden_group_size_y
      - .offset:         160
        .size:           2
        .value_kind:     hidden_group_size_z
      - .offset:         162
        .size:           2
        .value_kind:     hidden_remainder_x
      - .offset:         164
        .size:           2
        .value_kind:     hidden_remainder_y
      - .offset:         166
        .size:           2
        .value_kind:     hidden_remainder_z
      - .offset:         184
        .size:           8
        .value_kind:     hidden_global_offset_x
      - .offset:         192
        .size:           8
        .value_kind:     hidden_global_offset_y
      - .offset:         200
        .size:           8
        .value_kind:     hidden_global_offset_z
      - .offset:         208
        .size:           2
        .value_kind:     hidden_grid_dims
    .group_segment_fixed_size: 8192
    .kernarg_segment_align: 8
    .kernarg_segment_size: 400
    .language:       OpenCL C
    .language_version:
      - 2
      - 0
    .max_flat_workgroup_size: 256
    .name:           _Z39paged_attention_ll4mi_QKV_mfma16_kernelI14__hip_bfloat16S0_LN4vllm18Fp8KVCacheDataTypeE0ES0_Li16ELi128ELi256ELb1ELi12EL8MFMAType0EEvPKT_PKT0_S9_ifPKiSB_SB_iPKfiiiPfSE_PS4_PT2_iSD_SD_
    .private_segment_fixed_size: 8
    .sgpr_count:     52
    .sgpr_spill_count: 0
    .symbol:         _Z39paged_attention_ll4mi_QKV_mfma16_kernelI14__hip_bfloat16S0_LN4vllm18Fp8KVCacheDataTypeE0ES0_Li16ELi128ELi256ELb1ELi12EL8MFMAType0EEvPKT_PKT0_S9_ifPKiSB_SB_iPKfiiiPfSE_PS4_PT2_iSD_SD_.kd
    .uniform_work_group_size: 1
    .uses_dynamic_stack: false
    .vgpr_count:     96
    .vgpr_spill_count: 1
    .wavefront_size: 64
  - .agpr_count:     0
    .args:
      - .actual_access:  read_only
        .address_space:  global
        .offset:         0
        .size:           8
        .value_kind:     global_buffer
      - .actual_access:  read_only
        .address_space:  global
        .offset:         8
        .size:           8
        .value_kind:     global_buffer
      - .actual_access:  read_only
        .address_space:  global
        .offset:         16
        .size:           8
        .value_kind:     global_buffer
      - .offset:         24
        .size:           4
        .value_kind:     by_value
      - .offset:         28
        .size:           4
        .value_kind:     by_value
      - .actual_access:  read_only
        .address_space:  global
        .offset:         32
        .size:           8
        .value_kind:     global_buffer
      - .actual_access:  read_only
        .address_space:  global
        .offset:         40
        .size:           8
        .value_kind:     global_buffer
      - .actual_access:  read_only
        .address_space:  global
        .offset:         48
        .size:           8
        .value_kind:     global_buffer
      - .offset:         56
        .size:           4
        .value_kind:     by_value
      - .actual_access:  read_only
        .address_space:  global
        .offset:         64
        .size:           8
        .value_kind:     global_buffer
      - .offset:         72
        .size:           4
        .value_kind:     by_value
      - .offset:         76
        .size:           4
        .value_kind:     by_value
      - .offset:         80
        .size:           4
        .value_kind:     by_value
      - .actual_access:  write_only
        .address_space:  global
        .offset:         88
        .size:           8
        .value_kind:     global_buffer
      - .actual_access:  write_only
        .address_space:  global
        .offset:         96
        .size:           8
        .value_kind:     global_buffer
      - .actual_access:  write_only
        .address_space:  global
        .offset:         104
        .size:           8
        .value_kind:     global_buffer
      - .actual_access:  read_only
        .address_space:  global
        .offset:         112
        .size:           8
        .value_kind:     global_buffer
      - .offset:         120
        .size:           4
        .value_kind:     by_value
      - .address_space:  global
        .offset:         128
        .size:           8
        .value_kind:     global_buffer
      - .address_space:  global
        .offset:         136
        .size:           8
        .value_kind:     global_buffer
      - .offset:         144
        .size:           4
        .value_kind:     hidden_block_count_x
      - .offset:         148
        .size:           4
        .value_kind:     hidden_block_count_y
      - .offset:         152
        .size:           4
        .value_kind:     hidden_block_count_z
      - .offset:         156
        .size:           2
        .value_kind:     hidden_group_size_x
      - .offset:         158
        .size:           2
        .value_kind:     hidden_group_size_y
      - .offset:         160
        .size:           2
        .value_kind:     hidden_group_size_z
      - .offset:         162
        .size:           2
        .value_kind:     hidden_remainder_x
      - .offset:         164
        .size:           2
        .value_kind:     hidden_remainder_y
      - .offset:         166
        .size:           2
        .value_kind:     hidden_remainder_z
      - .offset:         184
        .size:           8
        .value_kind:     hidden_global_offset_x
      - .offset:         192
        .size:           8
        .value_kind:     hidden_global_offset_y
      - .offset:         200
        .size:           8
        .value_kind:     hidden_global_offset_z
      - .offset:         208
        .size:           2
        .value_kind:     hidden_grid_dims
    .group_segment_fixed_size: 8192
    .kernarg_segment_align: 8
    .kernarg_segment_size: 400
    .language:       OpenCL C
    .language_version:
      - 2
      - 0
    .max_flat_workgroup_size: 256
    .name:           _Z39paged_attention_ll4mi_QKV_mfma16_kernelI14__hip_bfloat16S0_LN4vllm18Fp8KVCacheDataTypeE0ES0_Li16ELi128ELi256ELb1ELi13EL8MFMAType0EEvPKT_PKT0_S9_ifPKiSB_SB_iPKfiiiPfSE_PS4_PT2_iSD_SD_
    .private_segment_fixed_size: 8
    .sgpr_count:     52
    .sgpr_spill_count: 0
    .symbol:         _Z39paged_attention_ll4mi_QKV_mfma16_kernelI14__hip_bfloat16S0_LN4vllm18Fp8KVCacheDataTypeE0ES0_Li16ELi128ELi256ELb1ELi13EL8MFMAType0EEvPKT_PKT0_S9_ifPKiSB_SB_iPKfiiiPfSE_PS4_PT2_iSD_SD_.kd
    .uniform_work_group_size: 1
    .uses_dynamic_stack: false
    .vgpr_count:     96
    .vgpr_spill_count: 1
    .wavefront_size: 64
  - .agpr_count:     0
    .args:
      - .actual_access:  read_only
        .address_space:  global
        .offset:         0
        .size:           8
        .value_kind:     global_buffer
      - .actual_access:  read_only
        .address_space:  global
        .offset:         8
        .size:           8
        .value_kind:     global_buffer
      - .actual_access:  read_only
        .address_space:  global
        .offset:         16
        .size:           8
        .value_kind:     global_buffer
      - .offset:         24
        .size:           4
        .value_kind:     by_value
      - .offset:         28
        .size:           4
        .value_kind:     by_value
      - .actual_access:  read_only
        .address_space:  global
        .offset:         32
        .size:           8
        .value_kind:     global_buffer
      - .actual_access:  read_only
        .address_space:  global
        .offset:         40
        .size:           8
        .value_kind:     global_buffer
      - .actual_access:  read_only
        .address_space:  global
        .offset:         48
        .size:           8
        .value_kind:     global_buffer
      - .offset:         56
        .size:           4
        .value_kind:     by_value
      - .actual_access:  read_only
        .address_space:  global
        .offset:         64
        .size:           8
        .value_kind:     global_buffer
      - .offset:         72
        .size:           4
        .value_kind:     by_value
      - .offset:         76
        .size:           4
        .value_kind:     by_value
      - .offset:         80
        .size:           4
        .value_kind:     by_value
      - .actual_access:  write_only
        .address_space:  global
        .offset:         88
        .size:           8
        .value_kind:     global_buffer
      - .actual_access:  write_only
        .address_space:  global
        .offset:         96
        .size:           8
        .value_kind:     global_buffer
      - .actual_access:  write_only
        .address_space:  global
        .offset:         104
        .size:           8
        .value_kind:     global_buffer
      - .actual_access:  read_only
        .address_space:  global
        .offset:         112
        .size:           8
        .value_kind:     global_buffer
      - .offset:         120
        .size:           4
        .value_kind:     by_value
      - .address_space:  global
        .offset:         128
        .size:           8
        .value_kind:     global_buffer
      - .address_space:  global
        .offset:         136
        .size:           8
        .value_kind:     global_buffer
      - .offset:         144
        .size:           4
        .value_kind:     hidden_block_count_x
      - .offset:         148
        .size:           4
        .value_kind:     hidden_block_count_y
      - .offset:         152
        .size:           4
        .value_kind:     hidden_block_count_z
      - .offset:         156
        .size:           2
        .value_kind:     hidden_group_size_x
      - .offset:         158
        .size:           2
        .value_kind:     hidden_group_size_y
      - .offset:         160
        .size:           2
        .value_kind:     hidden_group_size_z
      - .offset:         162
        .size:           2
        .value_kind:     hidden_remainder_x
      - .offset:         164
        .size:           2
        .value_kind:     hidden_remainder_y
      - .offset:         166
        .size:           2
        .value_kind:     hidden_remainder_z
      - .offset:         184
        .size:           8
        .value_kind:     hidden_global_offset_x
      - .offset:         192
        .size:           8
        .value_kind:     hidden_global_offset_y
      - .offset:         200
        .size:           8
        .value_kind:     hidden_global_offset_z
      - .offset:         208
        .size:           2
        .value_kind:     hidden_grid_dims
    .group_segment_fixed_size: 8192
    .kernarg_segment_align: 8
    .kernarg_segment_size: 400
    .language:       OpenCL C
    .language_version:
      - 2
      - 0
    .max_flat_workgroup_size: 256
    .name:           _Z39paged_attention_ll4mi_QKV_mfma16_kernelI14__hip_bfloat16S0_LN4vllm18Fp8KVCacheDataTypeE0ES0_Li16ELi128ELi256ELb1ELi14EL8MFMAType0EEvPKT_PKT0_S9_ifPKiSB_SB_iPKfiiiPfSE_PS4_PT2_iSD_SD_
    .private_segment_fixed_size: 8
    .sgpr_count:     52
    .sgpr_spill_count: 0
    .symbol:         _Z39paged_attention_ll4mi_QKV_mfma16_kernelI14__hip_bfloat16S0_LN4vllm18Fp8KVCacheDataTypeE0ES0_Li16ELi128ELi256ELb1ELi14EL8MFMAType0EEvPKT_PKT0_S9_ifPKiSB_SB_iPKfiiiPfSE_PS4_PT2_iSD_SD_.kd
    .uniform_work_group_size: 1
    .uses_dynamic_stack: false
    .vgpr_count:     96
    .vgpr_spill_count: 1
    .wavefront_size: 64
  - .agpr_count:     0
    .args:
      - .actual_access:  read_only
        .address_space:  global
        .offset:         0
        .size:           8
        .value_kind:     global_buffer
      - .actual_access:  read_only
        .address_space:  global
        .offset:         8
        .size:           8
        .value_kind:     global_buffer
      - .actual_access:  read_only
        .address_space:  global
        .offset:         16
        .size:           8
        .value_kind:     global_buffer
      - .offset:         24
        .size:           4
        .value_kind:     by_value
      - .offset:         28
        .size:           4
        .value_kind:     by_value
      - .actual_access:  read_only
        .address_space:  global
        .offset:         32
        .size:           8
        .value_kind:     global_buffer
      - .actual_access:  read_only
        .address_space:  global
        .offset:         40
        .size:           8
        .value_kind:     global_buffer
      - .actual_access:  read_only
        .address_space:  global
        .offset:         48
        .size:           8
        .value_kind:     global_buffer
      - .offset:         56
        .size:           4
        .value_kind:     by_value
      - .actual_access:  read_only
        .address_space:  global
        .offset:         64
        .size:           8
        .value_kind:     global_buffer
      - .offset:         72
        .size:           4
        .value_kind:     by_value
      - .offset:         76
        .size:           4
        .value_kind:     by_value
      - .offset:         80
        .size:           4
        .value_kind:     by_value
      - .actual_access:  write_only
        .address_space:  global
        .offset:         88
        .size:           8
        .value_kind:     global_buffer
      - .actual_access:  write_only
        .address_space:  global
        .offset:         96
        .size:           8
        .value_kind:     global_buffer
      - .actual_access:  write_only
        .address_space:  global
        .offset:         104
        .size:           8
        .value_kind:     global_buffer
      - .actual_access:  read_only
        .address_space:  global
        .offset:         112
        .size:           8
        .value_kind:     global_buffer
      - .offset:         120
        .size:           4
        .value_kind:     by_value
      - .address_space:  global
        .offset:         128
        .size:           8
        .value_kind:     global_buffer
      - .address_space:  global
        .offset:         136
        .size:           8
        .value_kind:     global_buffer
      - .offset:         144
        .size:           4
        .value_kind:     hidden_block_count_x
      - .offset:         148
        .size:           4
        .value_kind:     hidden_block_count_y
      - .offset:         152
        .size:           4
        .value_kind:     hidden_block_count_z
      - .offset:         156
        .size:           2
        .value_kind:     hidden_group_size_x
      - .offset:         158
        .size:           2
        .value_kind:     hidden_group_size_y
      - .offset:         160
        .size:           2
        .value_kind:     hidden_group_size_z
      - .offset:         162
        .size:           2
        .value_kind:     hidden_remainder_x
      - .offset:         164
        .size:           2
        .value_kind:     hidden_remainder_y
      - .offset:         166
        .size:           2
        .value_kind:     hidden_remainder_z
      - .offset:         184
        .size:           8
        .value_kind:     hidden_global_offset_x
      - .offset:         192
        .size:           8
        .value_kind:     hidden_global_offset_y
      - .offset:         200
        .size:           8
        .value_kind:     hidden_global_offset_z
      - .offset:         208
        .size:           2
        .value_kind:     hidden_grid_dims
    .group_segment_fixed_size: 8192
    .kernarg_segment_align: 8
    .kernarg_segment_size: 400
    .language:       OpenCL C
    .language_version:
      - 2
      - 0
    .max_flat_workgroup_size: 256
    .name:           _Z39paged_attention_ll4mi_QKV_mfma16_kernelI14__hip_bfloat16S0_LN4vllm18Fp8KVCacheDataTypeE0ES0_Li16ELi128ELi256ELb1ELi15EL8MFMAType0EEvPKT_PKT0_S9_ifPKiSB_SB_iPKfiiiPfSE_PS4_PT2_iSD_SD_
    .private_segment_fixed_size: 8
    .sgpr_count:     52
    .sgpr_spill_count: 0
    .symbol:         _Z39paged_attention_ll4mi_QKV_mfma16_kernelI14__hip_bfloat16S0_LN4vllm18Fp8KVCacheDataTypeE0ES0_Li16ELi128ELi256ELb1ELi15EL8MFMAType0EEvPKT_PKT0_S9_ifPKiSB_SB_iPKfiiiPfSE_PS4_PT2_iSD_SD_.kd
    .uniform_work_group_size: 1
    .uses_dynamic_stack: false
    .vgpr_count:     96
    .vgpr_spill_count: 1
    .wavefront_size: 64
  - .agpr_count:     0
    .args:
      - .actual_access:  read_only
        .address_space:  global
        .offset:         0
        .size:           8
        .value_kind:     global_buffer
      - .actual_access:  read_only
        .address_space:  global
        .offset:         8
        .size:           8
        .value_kind:     global_buffer
      - .actual_access:  read_only
        .address_space:  global
        .offset:         16
        .size:           8
        .value_kind:     global_buffer
      - .offset:         24
        .size:           4
        .value_kind:     by_value
      - .offset:         28
        .size:           4
        .value_kind:     by_value
      - .actual_access:  read_only
        .address_space:  global
        .offset:         32
        .size:           8
        .value_kind:     global_buffer
      - .actual_access:  read_only
        .address_space:  global
        .offset:         40
        .size:           8
        .value_kind:     global_buffer
      - .actual_access:  read_only
        .address_space:  global
        .offset:         48
        .size:           8
        .value_kind:     global_buffer
      - .offset:         56
        .size:           4
        .value_kind:     by_value
      - .actual_access:  read_only
        .address_space:  global
        .offset:         64
        .size:           8
        .value_kind:     global_buffer
      - .offset:         72
        .size:           4
        .value_kind:     by_value
      - .offset:         76
        .size:           4
        .value_kind:     by_value
      - .offset:         80
        .size:           4
        .value_kind:     by_value
      - .actual_access:  write_only
        .address_space:  global
        .offset:         88
        .size:           8
        .value_kind:     global_buffer
      - .actual_access:  write_only
        .address_space:  global
        .offset:         96
        .size:           8
        .value_kind:     global_buffer
      - .actual_access:  write_only
        .address_space:  global
        .offset:         104
        .size:           8
        .value_kind:     global_buffer
      - .actual_access:  read_only
        .address_space:  global
        .offset:         112
        .size:           8
        .value_kind:     global_buffer
      - .offset:         120
        .size:           4
        .value_kind:     by_value
      - .address_space:  global
        .offset:         128
        .size:           8
        .value_kind:     global_buffer
      - .address_space:  global
        .offset:         136
        .size:           8
        .value_kind:     global_buffer
      - .offset:         144
        .size:           4
        .value_kind:     hidden_block_count_x
      - .offset:         148
        .size:           4
        .value_kind:     hidden_block_count_y
      - .offset:         152
        .size:           4
        .value_kind:     hidden_block_count_z
      - .offset:         156
        .size:           2
        .value_kind:     hidden_group_size_x
      - .offset:         158
        .size:           2
        .value_kind:     hidden_group_size_y
      - .offset:         160
        .size:           2
        .value_kind:     hidden_group_size_z
      - .offset:         162
        .size:           2
        .value_kind:     hidden_remainder_x
      - .offset:         164
        .size:           2
        .value_kind:     hidden_remainder_y
      - .offset:         166
        .size:           2
        .value_kind:     hidden_remainder_z
      - .offset:         184
        .size:           8
        .value_kind:     hidden_global_offset_x
      - .offset:         192
        .size:           8
        .value_kind:     hidden_global_offset_y
      - .offset:         200
        .size:           8
        .value_kind:     hidden_global_offset_z
      - .offset:         208
        .size:           2
        .value_kind:     hidden_grid_dims
    .group_segment_fixed_size: 8192
    .kernarg_segment_align: 8
    .kernarg_segment_size: 400
    .language:       OpenCL C
    .language_version:
      - 2
      - 0
    .max_flat_workgroup_size: 256
    .name:           _Z39paged_attention_ll4mi_QKV_mfma16_kernelI14__hip_bfloat16S0_LN4vllm18Fp8KVCacheDataTypeE0ES0_Li16ELi128ELi256ELb1ELi16EL8MFMAType0EEvPKT_PKT0_S9_ifPKiSB_SB_iPKfiiiPfSE_PS4_PT2_iSD_SD_
    .private_segment_fixed_size: 12
    .sgpr_count:     52
    .sgpr_spill_count: 0
    .symbol:         _Z39paged_attention_ll4mi_QKV_mfma16_kernelI14__hip_bfloat16S0_LN4vllm18Fp8KVCacheDataTypeE0ES0_Li16ELi128ELi256ELb1ELi16EL8MFMAType0EEvPKT_PKT0_S9_ifPKiSB_SB_iPKfiiiPfSE_PS4_PT2_iSD_SD_.kd
    .uniform_work_group_size: 1
    .uses_dynamic_stack: false
    .vgpr_count:     96
    .vgpr_spill_count: 2
    .wavefront_size: 64
  - .agpr_count:     0
    .args:
      - .actual_access:  write_only
        .address_space:  global
        .offset:         0
        .size:           8
        .value_kind:     global_buffer
      - .actual_access:  read_only
        .address_space:  global
        .offset:         8
        .size:           8
        .value_kind:     global_buffer
      - .actual_access:  read_only
        .address_space:  global
        .offset:         16
        .size:           8
        .value_kind:     global_buffer
      - .actual_access:  read_only
        .address_space:  global
        .offset:         24
        .size:           8
        .value_kind:     global_buffer
      - .actual_access:  read_only
        .address_space:  global
        .offset:         32
        .size:           8
        .value_kind:     global_buffer
      - .actual_access:  read_only
        .address_space:  global
        .offset:         40
        .size:           8
        .value_kind:     global_buffer
      - .offset:         48
        .size:           4
        .value_kind:     by_value
      - .actual_access:  read_only
        .address_space:  global
        .offset:         56
        .size:           8
        .value_kind:     global_buffer
      - .offset:         64
        .size:           4
        .value_kind:     hidden_block_count_x
      - .offset:         68
        .size:           4
        .value_kind:     hidden_block_count_y
      - .offset:         72
        .size:           4
        .value_kind:     hidden_block_count_z
      - .offset:         76
        .size:           2
        .value_kind:     hidden_group_size_x
      - .offset:         78
        .size:           2
        .value_kind:     hidden_group_size_y
      - .offset:         80
        .size:           2
        .value_kind:     hidden_group_size_z
      - .offset:         82
        .size:           2
        .value_kind:     hidden_remainder_x
      - .offset:         84
        .size:           2
        .value_kind:     hidden_remainder_y
      - .offset:         86
        .size:           2
        .value_kind:     hidden_remainder_z
      - .offset:         104
        .size:           8
        .value_kind:     hidden_global_offset_x
      - .offset:         112
        .size:           8
        .value_kind:     hidden_global_offset_y
      - .offset:         120
        .size:           8
        .value_kind:     hidden_global_offset_z
      - .offset:         128
        .size:           2
        .value_kind:     hidden_grid_dims
    .group_segment_fixed_size: 260
    .kernarg_segment_align: 8
    .kernarg_segment_size: 320
    .language:       OpenCL C
    .language_version:
      - 2
      - 0
    .max_flat_workgroup_size: 128
    .name:           _Z35paged_attention_ll4mi_reduce_kernelI14__hip_bfloat16S0_Li128ELi128ELi256ELi1EEvPT0_PKfS4_PKT_PKiS9_iS4_
    .private_segment_fixed_size: 0
    .sgpr_count:     34
    .sgpr_spill_count: 0
    .symbol:         _Z35paged_attention_ll4mi_reduce_kernelI14__hip_bfloat16S0_Li128ELi128ELi256ELi1EEvPT0_PKfS4_PKT_PKiS9_iS4_.kd
    .uniform_work_group_size: 1
    .uses_dynamic_stack: false
    .vgpr_count:     115
    .vgpr_spill_count: 0
    .wavefront_size: 64
  - .agpr_count:     0
    .args:
      - .actual_access:  write_only
        .address_space:  global
        .offset:         0
        .size:           8
        .value_kind:     global_buffer
      - .actual_access:  read_only
        .address_space:  global
        .offset:         8
        .size:           8
        .value_kind:     global_buffer
      - .actual_access:  read_only
        .address_space:  global
        .offset:         16
        .size:           8
        .value_kind:     global_buffer
      - .actual_access:  read_only
        .address_space:  global
        .offset:         24
        .size:           8
        .value_kind:     global_buffer
      - .actual_access:  read_only
        .address_space:  global
        .offset:         32
        .size:           8
        .value_kind:     global_buffer
      - .actual_access:  read_only
        .address_space:  global
        .offset:         40
        .size:           8
        .value_kind:     global_buffer
      - .offset:         48
        .size:           4
        .value_kind:     by_value
      - .actual_access:  read_only
        .address_space:  global
        .offset:         56
        .size:           8
        .value_kind:     global_buffer
      - .offset:         64
        .size:           4
        .value_kind:     hidden_block_count_x
      - .offset:         68
        .size:           4
        .value_kind:     hidden_block_count_y
      - .offset:         72
        .size:           4
        .value_kind:     hidden_block_count_z
      - .offset:         76
        .size:           2
        .value_kind:     hidden_group_size_x
      - .offset:         78
        .size:           2
        .value_kind:     hidden_group_size_y
      - .offset:         80
        .size:           2
        .value_kind:     hidden_group_size_z
      - .offset:         82
        .size:           2
        .value_kind:     hidden_remainder_x
      - .offset:         84
        .size:           2
        .value_kind:     hidden_remainder_y
      - .offset:         86
        .size:           2
        .value_kind:     hidden_remainder_z
      - .offset:         104
        .size:           8
        .value_kind:     hidden_global_offset_x
      - .offset:         112
        .size:           8
        .value_kind:     hidden_global_offset_y
      - .offset:         120
        .size:           8
        .value_kind:     hidden_global_offset_z
      - .offset:         128
        .size:           2
        .value_kind:     hidden_grid_dims
    .group_segment_fixed_size: 516
    .kernarg_segment_align: 8
    .kernarg_segment_size: 320
    .language:       OpenCL C
    .language_version:
      - 2
      - 0
    .max_flat_workgroup_size: 128
    .name:           _Z35paged_attention_ll4mi_reduce_kernelI14__hip_bfloat16S0_Li128ELi128ELi256ELi2EEvPT0_PKfS4_PKT_PKiS9_iS4_
    .private_segment_fixed_size: 0
    .sgpr_count:     36
    .sgpr_spill_count: 0
    .symbol:         _Z35paged_attention_ll4mi_reduce_kernelI14__hip_bfloat16S0_Li128ELi128ELi256ELi2EEvPT0_PKfS4_PKT_PKiS9_iS4_.kd
    .uniform_work_group_size: 1
    .uses_dynamic_stack: false
    .vgpr_count:     128
    .vgpr_spill_count: 0
    .wavefront_size: 64
  - .agpr_count:     0
    .args:
      - .actual_access:  write_only
        .address_space:  global
        .offset:         0
        .size:           8
        .value_kind:     global_buffer
      - .actual_access:  read_only
        .address_space:  global
        .offset:         8
        .size:           8
        .value_kind:     global_buffer
      - .actual_access:  read_only
        .address_space:  global
        .offset:         16
        .size:           8
        .value_kind:     global_buffer
      - .actual_access:  read_only
        .address_space:  global
        .offset:         24
        .size:           8
        .value_kind:     global_buffer
      - .actual_access:  read_only
        .address_space:  global
        .offset:         32
        .size:           8
        .value_kind:     global_buffer
      - .actual_access:  read_only
        .address_space:  global
        .offset:         40
        .size:           8
        .value_kind:     global_buffer
      - .offset:         48
        .size:           4
        .value_kind:     by_value
      - .actual_access:  read_only
        .address_space:  global
        .offset:         56
        .size:           8
        .value_kind:     global_buffer
      - .offset:         64
        .size:           4
        .value_kind:     hidden_block_count_x
      - .offset:         68
        .size:           4
        .value_kind:     hidden_block_count_y
      - .offset:         72
        .size:           4
        .value_kind:     hidden_block_count_z
      - .offset:         76
        .size:           2
        .value_kind:     hidden_group_size_x
      - .offset:         78
        .size:           2
        .value_kind:     hidden_group_size_y
      - .offset:         80
        .size:           2
        .value_kind:     hidden_group_size_z
      - .offset:         82
        .size:           2
        .value_kind:     hidden_remainder_x
      - .offset:         84
        .size:           2
        .value_kind:     hidden_remainder_y
      - .offset:         86
        .size:           2
        .value_kind:     hidden_remainder_z
      - .offset:         104
        .size:           8
        .value_kind:     hidden_global_offset_x
      - .offset:         112
        .size:           8
        .value_kind:     hidden_global_offset_y
      - .offset:         120
        .size:           8
        .value_kind:     hidden_global_offset_z
      - .offset:         128
        .size:           2
        .value_kind:     hidden_grid_dims
    .group_segment_fixed_size: 772
    .kernarg_segment_align: 8
    .kernarg_segment_size: 320
    .language:       OpenCL C
    .language_version:
      - 2
      - 0
    .max_flat_workgroup_size: 128
    .name:           _Z35paged_attention_ll4mi_reduce_kernelI14__hip_bfloat16S0_Li128ELi128ELi256ELi3EEvPT0_PKfS4_PKT_PKiS9_iS4_
    .private_segment_fixed_size: 0
    .sgpr_count:     39
    .sgpr_spill_count: 0
    .symbol:         _Z35paged_attention_ll4mi_reduce_kernelI14__hip_bfloat16S0_Li128ELi128ELi256ELi3EEvPT0_PKfS4_PKT_PKiS9_iS4_.kd
    .uniform_work_group_size: 1
    .uses_dynamic_stack: false
    .vgpr_count:     128
    .vgpr_spill_count: 0
    .wavefront_size: 64
  - .agpr_count:     0
    .args:
      - .actual_access:  write_only
        .address_space:  global
        .offset:         0
        .size:           8
        .value_kind:     global_buffer
      - .actual_access:  read_only
        .address_space:  global
        .offset:         8
        .size:           8
        .value_kind:     global_buffer
      - .actual_access:  read_only
        .address_space:  global
        .offset:         16
        .size:           8
        .value_kind:     global_buffer
      - .actual_access:  read_only
        .address_space:  global
        .offset:         24
        .size:           8
        .value_kind:     global_buffer
      - .actual_access:  read_only
        .address_space:  global
        .offset:         32
        .size:           8
        .value_kind:     global_buffer
      - .actual_access:  read_only
        .address_space:  global
        .offset:         40
        .size:           8
        .value_kind:     global_buffer
      - .offset:         48
        .size:           4
        .value_kind:     by_value
      - .actual_access:  read_only
        .address_space:  global
        .offset:         56
        .size:           8
        .value_kind:     global_buffer
      - .offset:         64
        .size:           4
        .value_kind:     hidden_block_count_x
      - .offset:         68
        .size:           4
        .value_kind:     hidden_block_count_y
      - .offset:         72
        .size:           4
        .value_kind:     hidden_block_count_z
      - .offset:         76
        .size:           2
        .value_kind:     hidden_group_size_x
      - .offset:         78
        .size:           2
        .value_kind:     hidden_group_size_y
      - .offset:         80
        .size:           2
        .value_kind:     hidden_group_size_z
      - .offset:         82
        .size:           2
        .value_kind:     hidden_remainder_x
      - .offset:         84
        .size:           2
        .value_kind:     hidden_remainder_y
      - .offset:         86
        .size:           2
        .value_kind:     hidden_remainder_z
      - .offset:         104
        .size:           8
        .value_kind:     hidden_global_offset_x
      - .offset:         112
        .size:           8
        .value_kind:     hidden_global_offset_y
      - .offset:         120
        .size:           8
        .value_kind:     hidden_global_offset_z
      - .offset:         128
        .size:           2
        .value_kind:     hidden_grid_dims
    .group_segment_fixed_size: 1028
    .kernarg_segment_align: 8
    .kernarg_segment_size: 320
    .language:       OpenCL C
    .language_version:
      - 2
      - 0
    .max_flat_workgroup_size: 128
    .name:           _Z35paged_attention_ll4mi_reduce_kernelI14__hip_bfloat16S0_Li128ELi128ELi256ELi4EEvPT0_PKfS4_PKT_PKiS9_iS4_
    .private_segment_fixed_size: 0
    .sgpr_count:     41
    .sgpr_spill_count: 0
    .symbol:         _Z35paged_attention_ll4mi_reduce_kernelI14__hip_bfloat16S0_Li128ELi128ELi256ELi4EEvPT0_PKfS4_PKT_PKiS9_iS4_.kd
    .uniform_work_group_size: 1
    .uses_dynamic_stack: false
    .vgpr_count:     136
    .vgpr_spill_count: 0
    .wavefront_size: 64
  - .agpr_count:     0
    .args:
      - .actual_access:  write_only
        .address_space:  global
        .offset:         0
        .size:           8
        .value_kind:     global_buffer
      - .actual_access:  read_only
        .address_space:  global
        .offset:         8
        .size:           8
        .value_kind:     global_buffer
      - .actual_access:  read_only
        .address_space:  global
        .offset:         16
        .size:           8
        .value_kind:     global_buffer
      - .actual_access:  read_only
        .address_space:  global
        .offset:         24
        .size:           8
        .value_kind:     global_buffer
      - .actual_access:  read_only
        .address_space:  global
        .offset:         32
        .size:           8
        .value_kind:     global_buffer
      - .actual_access:  read_only
        .address_space:  global
        .offset:         40
        .size:           8
        .value_kind:     global_buffer
      - .offset:         48
        .size:           4
        .value_kind:     by_value
      - .actual_access:  read_only
        .address_space:  global
        .offset:         56
        .size:           8
        .value_kind:     global_buffer
      - .offset:         64
        .size:           4
        .value_kind:     hidden_block_count_x
      - .offset:         68
        .size:           4
        .value_kind:     hidden_block_count_y
      - .offset:         72
        .size:           4
        .value_kind:     hidden_block_count_z
      - .offset:         76
        .size:           2
        .value_kind:     hidden_group_size_x
      - .offset:         78
        .size:           2
        .value_kind:     hidden_group_size_y
      - .offset:         80
        .size:           2
        .value_kind:     hidden_group_size_z
      - .offset:         82
        .size:           2
        .value_kind:     hidden_remainder_x
      - .offset:         84
        .size:           2
        .value_kind:     hidden_remainder_y
      - .offset:         86
        .size:           2
        .value_kind:     hidden_remainder_z
      - .offset:         104
        .size:           8
        .value_kind:     hidden_global_offset_x
      - .offset:         112
        .size:           8
        .value_kind:     hidden_global_offset_y
      - .offset:         120
        .size:           8
        .value_kind:     hidden_global_offset_z
      - .offset:         128
        .size:           2
        .value_kind:     hidden_grid_dims
    .group_segment_fixed_size: 1284
    .kernarg_segment_align: 8
    .kernarg_segment_size: 320
    .language:       OpenCL C
    .language_version:
      - 2
      - 0
    .max_flat_workgroup_size: 128
    .name:           _Z35paged_attention_ll4mi_reduce_kernelI14__hip_bfloat16S0_Li128ELi128ELi256ELi5EEvPT0_PKfS4_PKT_PKiS9_iS4_
    .private_segment_fixed_size: 0
    .sgpr_count:     43
    .sgpr_spill_count: 0
    .symbol:         _Z35paged_attention_ll4mi_reduce_kernelI14__hip_bfloat16S0_Li128ELi128ELi256ELi5EEvPT0_PKfS4_PKT_PKiS9_iS4_.kd
    .uniform_work_group_size: 1
    .uses_dynamic_stack: false
    .vgpr_count:     136
    .vgpr_spill_count: 0
    .wavefront_size: 64
  - .agpr_count:     0
    .args:
      - .actual_access:  write_only
        .address_space:  global
        .offset:         0
        .size:           8
        .value_kind:     global_buffer
      - .actual_access:  read_only
        .address_space:  global
        .offset:         8
        .size:           8
        .value_kind:     global_buffer
      - .actual_access:  read_only
        .address_space:  global
        .offset:         16
        .size:           8
        .value_kind:     global_buffer
      - .actual_access:  read_only
        .address_space:  global
        .offset:         24
        .size:           8
        .value_kind:     global_buffer
      - .actual_access:  read_only
        .address_space:  global
        .offset:         32
        .size:           8
        .value_kind:     global_buffer
      - .actual_access:  read_only
        .address_space:  global
        .offset:         40
        .size:           8
        .value_kind:     global_buffer
      - .offset:         48
        .size:           4
        .value_kind:     by_value
      - .actual_access:  read_only
        .address_space:  global
        .offset:         56
        .size:           8
        .value_kind:     global_buffer
      - .offset:         64
        .size:           4
        .value_kind:     hidden_block_count_x
      - .offset:         68
        .size:           4
        .value_kind:     hidden_block_count_y
      - .offset:         72
        .size:           4
        .value_kind:     hidden_block_count_z
      - .offset:         76
        .size:           2
        .value_kind:     hidden_group_size_x
      - .offset:         78
        .size:           2
        .value_kind:     hidden_group_size_y
      - .offset:         80
        .size:           2
        .value_kind:     hidden_group_size_z
      - .offset:         82
        .size:           2
        .value_kind:     hidden_remainder_x
      - .offset:         84
        .size:           2
        .value_kind:     hidden_remainder_y
      - .offset:         86
        .size:           2
        .value_kind:     hidden_remainder_z
      - .offset:         104
        .size:           8
        .value_kind:     hidden_global_offset_x
      - .offset:         112
        .size:           8
        .value_kind:     hidden_global_offset_y
      - .offset:         120
        .size:           8
        .value_kind:     hidden_global_offset_z
      - .offset:         128
        .size:           2
        .value_kind:     hidden_grid_dims
    .group_segment_fixed_size: 1540
    .kernarg_segment_align: 8
    .kernarg_segment_size: 320
    .language:       OpenCL C
    .language_version:
      - 2
      - 0
    .max_flat_workgroup_size: 128
    .name:           _Z35paged_attention_ll4mi_reduce_kernelI14__hip_bfloat16S0_Li128ELi128ELi256ELi6EEvPT0_PKfS4_PKT_PKiS9_iS4_
    .private_segment_fixed_size: 0
    .sgpr_count:     45
    .sgpr_spill_count: 0
    .symbol:         _Z35paged_attention_ll4mi_reduce_kernelI14__hip_bfloat16S0_Li128ELi128ELi256ELi6EEvPT0_PKfS4_PKT_PKiS9_iS4_.kd
    .uniform_work_group_size: 1
    .uses_dynamic_stack: false
    .vgpr_count:     136
    .vgpr_spill_count: 0
    .wavefront_size: 64
  - .agpr_count:     0
    .args:
      - .actual_access:  write_only
        .address_space:  global
        .offset:         0
        .size:           8
        .value_kind:     global_buffer
      - .actual_access:  read_only
        .address_space:  global
        .offset:         8
        .size:           8
        .value_kind:     global_buffer
      - .actual_access:  read_only
        .address_space:  global
        .offset:         16
        .size:           8
        .value_kind:     global_buffer
      - .actual_access:  read_only
        .address_space:  global
        .offset:         24
        .size:           8
        .value_kind:     global_buffer
      - .actual_access:  read_only
        .address_space:  global
        .offset:         32
        .size:           8
        .value_kind:     global_buffer
      - .actual_access:  read_only
        .address_space:  global
        .offset:         40
        .size:           8
        .value_kind:     global_buffer
      - .offset:         48
        .size:           4
        .value_kind:     by_value
      - .actual_access:  read_only
        .address_space:  global
        .offset:         56
        .size:           8
        .value_kind:     global_buffer
      - .offset:         64
        .size:           4
        .value_kind:     hidden_block_count_x
      - .offset:         68
        .size:           4
        .value_kind:     hidden_block_count_y
      - .offset:         72
        .size:           4
        .value_kind:     hidden_block_count_z
      - .offset:         76
        .size:           2
        .value_kind:     hidden_group_size_x
      - .offset:         78
        .size:           2
        .value_kind:     hidden_group_size_y
      - .offset:         80
        .size:           2
        .value_kind:     hidden_group_size_z
      - .offset:         82
        .size:           2
        .value_kind:     hidden_remainder_x
      - .offset:         84
        .size:           2
        .value_kind:     hidden_remainder_y
      - .offset:         86
        .size:           2
        .value_kind:     hidden_remainder_z
      - .offset:         104
        .size:           8
        .value_kind:     hidden_global_offset_x
      - .offset:         112
        .size:           8
        .value_kind:     hidden_global_offset_y
      - .offset:         120
        .size:           8
        .value_kind:     hidden_global_offset_z
      - .offset:         128
        .size:           2
        .value_kind:     hidden_grid_dims
    .group_segment_fixed_size: 1796
    .kernarg_segment_align: 8
    .kernarg_segment_size: 320
    .language:       OpenCL C
    .language_version:
      - 2
      - 0
    .max_flat_workgroup_size: 128
    .name:           _Z35paged_attention_ll4mi_reduce_kernelI14__hip_bfloat16S0_Li128ELi128ELi256ELi7EEvPT0_PKfS4_PKT_PKiS9_iS4_
    .private_segment_fixed_size: 0
    .sgpr_count:     47
    .sgpr_spill_count: 0
    .symbol:         _Z35paged_attention_ll4mi_reduce_kernelI14__hip_bfloat16S0_Li128ELi128ELi256ELi7EEvPT0_PKfS4_PKT_PKiS9_iS4_.kd
    .uniform_work_group_size: 1
    .uses_dynamic_stack: false
    .vgpr_count:     136
    .vgpr_spill_count: 0
    .wavefront_size: 64
  - .agpr_count:     0
    .args:
      - .actual_access:  write_only
        .address_space:  global
        .offset:         0
        .size:           8
        .value_kind:     global_buffer
      - .actual_access:  read_only
        .address_space:  global
        .offset:         8
        .size:           8
        .value_kind:     global_buffer
      - .actual_access:  read_only
        .address_space:  global
        .offset:         16
        .size:           8
        .value_kind:     global_buffer
      - .actual_access:  read_only
        .address_space:  global
        .offset:         24
        .size:           8
        .value_kind:     global_buffer
      - .actual_access:  read_only
        .address_space:  global
        .offset:         32
        .size:           8
        .value_kind:     global_buffer
      - .actual_access:  read_only
        .address_space:  global
        .offset:         40
        .size:           8
        .value_kind:     global_buffer
      - .offset:         48
        .size:           4
        .value_kind:     by_value
      - .actual_access:  read_only
        .address_space:  global
        .offset:         56
        .size:           8
        .value_kind:     global_buffer
      - .offset:         64
        .size:           4
        .value_kind:     hidden_block_count_x
      - .offset:         68
        .size:           4
        .value_kind:     hidden_block_count_y
      - .offset:         72
        .size:           4
        .value_kind:     hidden_block_count_z
      - .offset:         76
        .size:           2
        .value_kind:     hidden_group_size_x
      - .offset:         78
        .size:           2
        .value_kind:     hidden_group_size_y
      - .offset:         80
        .size:           2
        .value_kind:     hidden_group_size_z
      - .offset:         82
        .size:           2
        .value_kind:     hidden_remainder_x
      - .offset:         84
        .size:           2
        .value_kind:     hidden_remainder_y
      - .offset:         86
        .size:           2
        .value_kind:     hidden_remainder_z
      - .offset:         104
        .size:           8
        .value_kind:     hidden_global_offset_x
      - .offset:         112
        .size:           8
        .value_kind:     hidden_global_offset_y
      - .offset:         120
        .size:           8
        .value_kind:     hidden_global_offset_z
      - .offset:         128
        .size:           2
        .value_kind:     hidden_grid_dims
    .group_segment_fixed_size: 2052
    .kernarg_segment_align: 8
    .kernarg_segment_size: 320
    .language:       OpenCL C
    .language_version:
      - 2
      - 0
    .max_flat_workgroup_size: 128
    .name:           _Z35paged_attention_ll4mi_reduce_kernelI14__hip_bfloat16S0_Li128ELi128ELi256ELi8EEvPT0_PKfS4_PKT_PKiS9_iS4_
    .private_segment_fixed_size: 0
    .sgpr_count:     49
    .sgpr_spill_count: 0
    .symbol:         _Z35paged_attention_ll4mi_reduce_kernelI14__hip_bfloat16S0_Li128ELi128ELi256ELi8EEvPT0_PKfS4_PKT_PKiS9_iS4_.kd
    .uniform_work_group_size: 1
    .uses_dynamic_stack: false
    .vgpr_count:     136
    .vgpr_spill_count: 0
    .wavefront_size: 64
  - .agpr_count:     0
    .args:
      - .actual_access:  read_only
        .address_space:  global
        .offset:         0
        .size:           8
        .value_kind:     global_buffer
      - .actual_access:  read_only
        .address_space:  global
        .offset:         8
        .size:           8
        .value_kind:     global_buffer
      - .actual_access:  read_only
        .address_space:  global
        .offset:         16
        .size:           8
        .value_kind:     global_buffer
      - .offset:         24
        .size:           4
        .value_kind:     by_value
      - .offset:         28
        .size:           4
        .value_kind:     by_value
      - .actual_access:  read_only
        .address_space:  global
        .offset:         32
        .size:           8
        .value_kind:     global_buffer
      - .actual_access:  read_only
        .address_space:  global
        .offset:         40
        .size:           8
        .value_kind:     global_buffer
      - .actual_access:  read_only
        .address_space:  global
        .offset:         48
        .size:           8
        .value_kind:     global_buffer
      - .offset:         56
        .size:           4
        .value_kind:     by_value
      - .actual_access:  read_only
        .address_space:  global
        .offset:         64
        .size:           8
        .value_kind:     global_buffer
      - .offset:         72
        .size:           4
        .value_kind:     by_value
      - .offset:         76
        .size:           4
        .value_kind:     by_value
      - .offset:         80
        .size:           4
        .value_kind:     by_value
      - .actual_access:  write_only
        .address_space:  global
        .offset:         88
        .size:           8
        .value_kind:     global_buffer
      - .actual_access:  write_only
        .address_space:  global
        .offset:         96
        .size:           8
        .value_kind:     global_buffer
      - .actual_access:  write_only
        .address_space:  global
        .offset:         104
        .size:           8
        .value_kind:     global_buffer
      - .actual_access:  read_only
        .address_space:  global
        .offset:         112
        .size:           8
        .value_kind:     global_buffer
      - .offset:         120
        .size:           4
        .value_kind:     by_value
      - .address_space:  global
        .offset:         128
        .size:           8
        .value_kind:     global_buffer
      - .address_space:  global
        .offset:         136
        .size:           8
        .value_kind:     global_buffer
      - .offset:         144
        .size:           4
        .value_kind:     hidden_block_count_x
      - .offset:         148
        .size:           4
        .value_kind:     hidden_block_count_y
      - .offset:         152
        .size:           4
        .value_kind:     hidden_block_count_z
      - .offset:         156
        .size:           2
        .value_kind:     hidden_group_size_x
      - .offset:         158
        .size:           2
        .value_kind:     hidden_group_size_y
      - .offset:         160
        .size:           2
        .value_kind:     hidden_group_size_z
      - .offset:         162
        .size:           2
        .value_kind:     hidden_remainder_x
      - .offset:         164
        .size:           2
        .value_kind:     hidden_remainder_y
      - .offset:         166
        .size:           2
        .value_kind:     hidden_remainder_z
      - .offset:         184
        .size:           8
        .value_kind:     hidden_global_offset_x
      - .offset:         192
        .size:           8
        .value_kind:     hidden_global_offset_y
      - .offset:         200
        .size:           8
        .value_kind:     hidden_global_offset_z
      - .offset:         208
        .size:           2
        .value_kind:     hidden_grid_dims
    .group_segment_fixed_size: 8192
    .kernarg_segment_align: 8
    .kernarg_segment_size: 400
    .language:       OpenCL C
    .language_version:
      - 2
      - 0
    .max_flat_workgroup_size: 256
    .name:           _Z39paged_attention_ll4mi_QKV_mfma16_kernelI14__hip_bfloat16S0_LN4vllm18Fp8KVCacheDataTypeE0ES0_Li16ELi128ELi256ELb1ELi1EL8MFMAType0EEvPKT_PKT0_S9_ifPKiSB_SB_iPKfiiiPfSE_PS4_PT2_iSD_SD_
    .private_segment_fixed_size: 8
    .sgpr_count:     52
    .sgpr_spill_count: 0
    .symbol:         _Z39paged_attention_ll4mi_QKV_mfma16_kernelI14__hip_bfloat16S0_LN4vllm18Fp8KVCacheDataTypeE0ES0_Li16ELi128ELi256ELb1ELi1EL8MFMAType0EEvPKT_PKT0_S9_ifPKiSB_SB_iPKfiiiPfSE_PS4_PT2_iSD_SD_.kd
    .uniform_work_group_size: 1
    .uses_dynamic_stack: false
    .vgpr_count:     96
    .vgpr_spill_count: 1
    .wavefront_size: 64
  - .agpr_count:     0
    .args:
      - .actual_access:  read_only
        .address_space:  global
        .offset:         0
        .size:           8
        .value_kind:     global_buffer
      - .actual_access:  read_only
        .address_space:  global
        .offset:         8
        .size:           8
        .value_kind:     global_buffer
      - .actual_access:  read_only
        .address_space:  global
        .offset:         16
        .size:           8
        .value_kind:     global_buffer
      - .offset:         24
        .size:           4
        .value_kind:     by_value
      - .offset:         28
        .size:           4
        .value_kind:     by_value
      - .actual_access:  read_only
        .address_space:  global
        .offset:         32
        .size:           8
        .value_kind:     global_buffer
      - .actual_access:  read_only
        .address_space:  global
        .offset:         40
        .size:           8
        .value_kind:     global_buffer
      - .actual_access:  read_only
        .address_space:  global
        .offset:         48
        .size:           8
        .value_kind:     global_buffer
      - .offset:         56
        .size:           4
        .value_kind:     by_value
      - .actual_access:  read_only
        .address_space:  global
        .offset:         64
        .size:           8
        .value_kind:     global_buffer
      - .offset:         72
        .size:           4
        .value_kind:     by_value
      - .offset:         76
        .size:           4
        .value_kind:     by_value
      - .offset:         80
        .size:           4
        .value_kind:     by_value
      - .actual_access:  write_only
        .address_space:  global
        .offset:         88
        .size:           8
        .value_kind:     global_buffer
      - .actual_access:  write_only
        .address_space:  global
        .offset:         96
        .size:           8
        .value_kind:     global_buffer
      - .actual_access:  write_only
        .address_space:  global
        .offset:         104
        .size:           8
        .value_kind:     global_buffer
      - .actual_access:  read_only
        .address_space:  global
        .offset:         112
        .size:           8
        .value_kind:     global_buffer
      - .offset:         120
        .size:           4
        .value_kind:     by_value
      - .address_space:  global
        .offset:         128
        .size:           8
        .value_kind:     global_buffer
      - .address_space:  global
        .offset:         136
        .size:           8
        .value_kind:     global_buffer
      - .offset:         144
        .size:           4
        .value_kind:     hidden_block_count_x
      - .offset:         148
        .size:           4
        .value_kind:     hidden_block_count_y
      - .offset:         152
        .size:           4
        .value_kind:     hidden_block_count_z
      - .offset:         156
        .size:           2
        .value_kind:     hidden_group_size_x
      - .offset:         158
        .size:           2
        .value_kind:     hidden_group_size_y
      - .offset:         160
        .size:           2
        .value_kind:     hidden_group_size_z
      - .offset:         162
        .size:           2
        .value_kind:     hidden_remainder_x
      - .offset:         164
        .size:           2
        .value_kind:     hidden_remainder_y
      - .offset:         166
        .size:           2
        .value_kind:     hidden_remainder_z
      - .offset:         184
        .size:           8
        .value_kind:     hidden_global_offset_x
      - .offset:         192
        .size:           8
        .value_kind:     hidden_global_offset_y
      - .offset:         200
        .size:           8
        .value_kind:     hidden_global_offset_z
      - .offset:         208
        .size:           2
        .value_kind:     hidden_grid_dims
    .group_segment_fixed_size: 8192
    .kernarg_segment_align: 8
    .kernarg_segment_size: 400
    .language:       OpenCL C
    .language_version:
      - 2
      - 0
    .max_flat_workgroup_size: 256
    .name:           _Z39paged_attention_ll4mi_QKV_mfma16_kernelI14__hip_bfloat16S0_LN4vllm18Fp8KVCacheDataTypeE0ES0_Li16ELi128ELi256ELb1ELi2EL8MFMAType0EEvPKT_PKT0_S9_ifPKiSB_SB_iPKfiiiPfSE_PS4_PT2_iSD_SD_
    .private_segment_fixed_size: 8
    .sgpr_count:     52
    .sgpr_spill_count: 0
    .symbol:         _Z39paged_attention_ll4mi_QKV_mfma16_kernelI14__hip_bfloat16S0_LN4vllm18Fp8KVCacheDataTypeE0ES0_Li16ELi128ELi256ELb1ELi2EL8MFMAType0EEvPKT_PKT0_S9_ifPKiSB_SB_iPKfiiiPfSE_PS4_PT2_iSD_SD_.kd
    .uniform_work_group_size: 1
    .uses_dynamic_stack: false
    .vgpr_count:     96
    .vgpr_spill_count: 1
    .wavefront_size: 64
  - .agpr_count:     0
    .args:
      - .actual_access:  read_only
        .address_space:  global
        .offset:         0
        .size:           8
        .value_kind:     global_buffer
      - .actual_access:  read_only
        .address_space:  global
        .offset:         8
        .size:           8
        .value_kind:     global_buffer
      - .actual_access:  read_only
        .address_space:  global
        .offset:         16
        .size:           8
        .value_kind:     global_buffer
      - .offset:         24
        .size:           4
        .value_kind:     by_value
      - .offset:         28
        .size:           4
        .value_kind:     by_value
      - .actual_access:  read_only
        .address_space:  global
        .offset:         32
        .size:           8
        .value_kind:     global_buffer
      - .actual_access:  read_only
        .address_space:  global
        .offset:         40
        .size:           8
        .value_kind:     global_buffer
      - .actual_access:  read_only
        .address_space:  global
        .offset:         48
        .size:           8
        .value_kind:     global_buffer
      - .offset:         56
        .size:           4
        .value_kind:     by_value
      - .actual_access:  read_only
        .address_space:  global
        .offset:         64
        .size:           8
        .value_kind:     global_buffer
      - .offset:         72
        .size:           4
        .value_kind:     by_value
      - .offset:         76
        .size:           4
        .value_kind:     by_value
      - .offset:         80
        .size:           4
        .value_kind:     by_value
      - .actual_access:  write_only
        .address_space:  global
        .offset:         88
        .size:           8
        .value_kind:     global_buffer
      - .actual_access:  write_only
        .address_space:  global
        .offset:         96
        .size:           8
        .value_kind:     global_buffer
      - .actual_access:  write_only
        .address_space:  global
        .offset:         104
        .size:           8
        .value_kind:     global_buffer
      - .actual_access:  read_only
        .address_space:  global
        .offset:         112
        .size:           8
        .value_kind:     global_buffer
      - .offset:         120
        .size:           4
        .value_kind:     by_value
      - .address_space:  global
        .offset:         128
        .size:           8
        .value_kind:     global_buffer
      - .address_space:  global
        .offset:         136
        .size:           8
        .value_kind:     global_buffer
      - .offset:         144
        .size:           4
        .value_kind:     hidden_block_count_x
      - .offset:         148
        .size:           4
        .value_kind:     hidden_block_count_y
      - .offset:         152
        .size:           4
        .value_kind:     hidden_block_count_z
      - .offset:         156
        .size:           2
        .value_kind:     hidden_group_size_x
      - .offset:         158
        .size:           2
        .value_kind:     hidden_group_size_y
      - .offset:         160
        .size:           2
        .value_kind:     hidden_group_size_z
      - .offset:         162
        .size:           2
        .value_kind:     hidden_remainder_x
      - .offset:         164
        .size:           2
        .value_kind:     hidden_remainder_y
      - .offset:         166
        .size:           2
        .value_kind:     hidden_remainder_z
      - .offset:         184
        .size:           8
        .value_kind:     hidden_global_offset_x
      - .offset:         192
        .size:           8
        .value_kind:     hidden_global_offset_y
      - .offset:         200
        .size:           8
        .value_kind:     hidden_global_offset_z
      - .offset:         208
        .size:           2
        .value_kind:     hidden_grid_dims
    .group_segment_fixed_size: 8192
    .kernarg_segment_align: 8
    .kernarg_segment_size: 400
    .language:       OpenCL C
    .language_version:
      - 2
      - 0
    .max_flat_workgroup_size: 256
    .name:           _Z39paged_attention_ll4mi_QKV_mfma16_kernelI14__hip_bfloat16S0_LN4vllm18Fp8KVCacheDataTypeE0ES0_Li16ELi128ELi256ELb1ELi3EL8MFMAType0EEvPKT_PKT0_S9_ifPKiSB_SB_iPKfiiiPfSE_PS4_PT2_iSD_SD_
    .private_segment_fixed_size: 12
    .sgpr_count:     52
    .sgpr_spill_count: 0
    .symbol:         _Z39paged_attention_ll4mi_QKV_mfma16_kernelI14__hip_bfloat16S0_LN4vllm18Fp8KVCacheDataTypeE0ES0_Li16ELi128ELi256ELb1ELi3EL8MFMAType0EEvPKT_PKT0_S9_ifPKiSB_SB_iPKfiiiPfSE_PS4_PT2_iSD_SD_.kd
    .uniform_work_group_size: 1
    .uses_dynamic_stack: false
    .vgpr_count:     96
    .vgpr_spill_count: 2
    .wavefront_size: 64
  - .agpr_count:     0
    .args:
      - .actual_access:  read_only
        .address_space:  global
        .offset:         0
        .size:           8
        .value_kind:     global_buffer
      - .actual_access:  read_only
        .address_space:  global
        .offset:         8
        .size:           8
        .value_kind:     global_buffer
      - .actual_access:  read_only
        .address_space:  global
        .offset:         16
        .size:           8
        .value_kind:     global_buffer
      - .offset:         24
        .size:           4
        .value_kind:     by_value
      - .offset:         28
        .size:           4
        .value_kind:     by_value
      - .actual_access:  read_only
        .address_space:  global
        .offset:         32
        .size:           8
        .value_kind:     global_buffer
      - .actual_access:  read_only
        .address_space:  global
        .offset:         40
        .size:           8
        .value_kind:     global_buffer
      - .actual_access:  read_only
        .address_space:  global
        .offset:         48
        .size:           8
        .value_kind:     global_buffer
      - .offset:         56
        .size:           4
        .value_kind:     by_value
      - .actual_access:  read_only
        .address_space:  global
        .offset:         64
        .size:           8
        .value_kind:     global_buffer
      - .offset:         72
        .size:           4
        .value_kind:     by_value
      - .offset:         76
        .size:           4
        .value_kind:     by_value
      - .offset:         80
        .size:           4
        .value_kind:     by_value
      - .actual_access:  write_only
        .address_space:  global
        .offset:         88
        .size:           8
        .value_kind:     global_buffer
      - .actual_access:  write_only
        .address_space:  global
        .offset:         96
        .size:           8
        .value_kind:     global_buffer
      - .actual_access:  write_only
        .address_space:  global
        .offset:         104
        .size:           8
        .value_kind:     global_buffer
      - .actual_access:  read_only
        .address_space:  global
        .offset:         112
        .size:           8
        .value_kind:     global_buffer
      - .offset:         120
        .size:           4
        .value_kind:     by_value
      - .address_space:  global
        .offset:         128
        .size:           8
        .value_kind:     global_buffer
      - .address_space:  global
        .offset:         136
        .size:           8
        .value_kind:     global_buffer
      - .offset:         144
        .size:           4
        .value_kind:     hidden_block_count_x
      - .offset:         148
        .size:           4
        .value_kind:     hidden_block_count_y
      - .offset:         152
        .size:           4
        .value_kind:     hidden_block_count_z
      - .offset:         156
        .size:           2
        .value_kind:     hidden_group_size_x
      - .offset:         158
        .size:           2
        .value_kind:     hidden_group_size_y
      - .offset:         160
        .size:           2
        .value_kind:     hidden_group_size_z
      - .offset:         162
        .size:           2
        .value_kind:     hidden_remainder_x
      - .offset:         164
        .size:           2
        .value_kind:     hidden_remainder_y
      - .offset:         166
        .size:           2
        .value_kind:     hidden_remainder_z
      - .offset:         184
        .size:           8
        .value_kind:     hidden_global_offset_x
      - .offset:         192
        .size:           8
        .value_kind:     hidden_global_offset_y
      - .offset:         200
        .size:           8
        .value_kind:     hidden_global_offset_z
      - .offset:         208
        .size:           2
        .value_kind:     hidden_grid_dims
    .group_segment_fixed_size: 8192
    .kernarg_segment_align: 8
    .kernarg_segment_size: 400
    .language:       OpenCL C
    .language_version:
      - 2
      - 0
    .max_flat_workgroup_size: 256
    .name:           _Z39paged_attention_ll4mi_QKV_mfma16_kernelI14__hip_bfloat16S0_LN4vllm18Fp8KVCacheDataTypeE0ES0_Li16ELi128ELi256ELb1ELi4EL8MFMAType0EEvPKT_PKT0_S9_ifPKiSB_SB_iPKfiiiPfSE_PS4_PT2_iSD_SD_
    .private_segment_fixed_size: 16
    .sgpr_count:     52
    .sgpr_spill_count: 0
    .symbol:         _Z39paged_attention_ll4mi_QKV_mfma16_kernelI14__hip_bfloat16S0_LN4vllm18Fp8KVCacheDataTypeE0ES0_Li16ELi128ELi256ELb1ELi4EL8MFMAType0EEvPKT_PKT0_S9_ifPKiSB_SB_iPKfiiiPfSE_PS4_PT2_iSD_SD_.kd
    .uniform_work_group_size: 1
    .uses_dynamic_stack: false
    .vgpr_count:     96
    .vgpr_spill_count: 3
    .wavefront_size: 64
  - .agpr_count:     0
    .args:
      - .actual_access:  write_only
        .address_space:  global
        .offset:         0
        .size:           8
        .value_kind:     global_buffer
      - .actual_access:  read_only
        .address_space:  global
        .offset:         8
        .size:           8
        .value_kind:     global_buffer
      - .actual_access:  read_only
        .address_space:  global
        .offset:         16
        .size:           8
        .value_kind:     global_buffer
      - .actual_access:  read_only
        .address_space:  global
        .offset:         24
        .size:           8
        .value_kind:     global_buffer
      - .actual_access:  read_only
        .address_space:  global
        .offset:         32
        .size:           8
        .value_kind:     global_buffer
      - .actual_access:  read_only
        .address_space:  global
        .offset:         40
        .size:           8
        .value_kind:     global_buffer
      - .offset:         48
        .size:           4
        .value_kind:     by_value
      - .actual_access:  read_only
        .address_space:  global
        .offset:         56
        .size:           8
        .value_kind:     global_buffer
      - .offset:         64
        .size:           4
        .value_kind:     hidden_block_count_x
      - .offset:         68
        .size:           4
        .value_kind:     hidden_block_count_y
      - .offset:         72
        .size:           4
        .value_kind:     hidden_block_count_z
      - .offset:         76
        .size:           2
        .value_kind:     hidden_group_size_x
      - .offset:         78
        .size:           2
        .value_kind:     hidden_group_size_y
      - .offset:         80
        .size:           2
        .value_kind:     hidden_group_size_z
      - .offset:         82
        .size:           2
        .value_kind:     hidden_remainder_x
      - .offset:         84
        .size:           2
        .value_kind:     hidden_remainder_y
      - .offset:         86
        .size:           2
        .value_kind:     hidden_remainder_z
      - .offset:         104
        .size:           8
        .value_kind:     hidden_global_offset_x
      - .offset:         112
        .size:           8
        .value_kind:     hidden_global_offset_y
      - .offset:         120
        .size:           8
        .value_kind:     hidden_global_offset_z
      - .offset:         128
        .size:           2
        .value_kind:     hidden_grid_dims
    .group_segment_fixed_size: 2308
    .kernarg_segment_align: 8
    .kernarg_segment_size: 320
    .language:       OpenCL C
    .language_version:
      - 2
      - 0
    .max_flat_workgroup_size: 128
    .name:           _Z35paged_attention_ll4mi_reduce_kernelI14__hip_bfloat16S0_Li128ELi128ELi256ELi9EEvPT0_PKfS4_PKT_PKiS9_iS4_
    .private_segment_fixed_size: 0
    .sgpr_count:     51
    .sgpr_spill_count: 0
    .symbol:         _Z35paged_attention_ll4mi_reduce_kernelI14__hip_bfloat16S0_Li128ELi128ELi256ELi9EEvPT0_PKfS4_PKT_PKiS9_iS4_.kd
    .uniform_work_group_size: 1
    .uses_dynamic_stack: false
    .vgpr_count:     136
    .vgpr_spill_count: 0
    .wavefront_size: 64
  - .agpr_count:     0
    .args:
      - .actual_access:  write_only
        .address_space:  global
        .offset:         0
        .size:           8
        .value_kind:     global_buffer
      - .actual_access:  read_only
        .address_space:  global
        .offset:         8
        .size:           8
        .value_kind:     global_buffer
      - .actual_access:  read_only
        .address_space:  global
        .offset:         16
        .size:           8
        .value_kind:     global_buffer
      - .actual_access:  read_only
        .address_space:  global
        .offset:         24
        .size:           8
        .value_kind:     global_buffer
      - .actual_access:  read_only
        .address_space:  global
        .offset:         32
        .size:           8
        .value_kind:     global_buffer
      - .actual_access:  read_only
        .address_space:  global
        .offset:         40
        .size:           8
        .value_kind:     global_buffer
      - .offset:         48
        .size:           4
        .value_kind:     by_value
      - .actual_access:  read_only
        .address_space:  global
        .offset:         56
        .size:           8
        .value_kind:     global_buffer
      - .offset:         64
        .size:           4
        .value_kind:     hidden_block_count_x
      - .offset:         68
        .size:           4
        .value_kind:     hidden_block_count_y
      - .offset:         72
        .size:           4
        .value_kind:     hidden_block_count_z
      - .offset:         76
        .size:           2
        .value_kind:     hidden_group_size_x
      - .offset:         78
        .size:           2
        .value_kind:     hidden_group_size_y
      - .offset:         80
        .size:           2
        .value_kind:     hidden_group_size_z
      - .offset:         82
        .size:           2
        .value_kind:     hidden_remainder_x
      - .offset:         84
        .size:           2
        .value_kind:     hidden_remainder_y
      - .offset:         86
        .size:           2
        .value_kind:     hidden_remainder_z
      - .offset:         104
        .size:           8
        .value_kind:     hidden_global_offset_x
      - .offset:         112
        .size:           8
        .value_kind:     hidden_global_offset_y
      - .offset:         120
        .size:           8
        .value_kind:     hidden_global_offset_z
      - .offset:         128
        .size:           2
        .value_kind:     hidden_grid_dims
    .group_segment_fixed_size: 2564
    .kernarg_segment_align: 8
    .kernarg_segment_size: 320
    .language:       OpenCL C
    .language_version:
      - 2
      - 0
    .max_flat_workgroup_size: 128
    .name:           _Z35paged_attention_ll4mi_reduce_kernelI14__hip_bfloat16S0_Li128ELi128ELi256ELi10EEvPT0_PKfS4_PKT_PKiS9_iS4_
    .private_segment_fixed_size: 0
    .sgpr_count:     53
    .sgpr_spill_count: 0
    .symbol:         _Z35paged_attention_ll4mi_reduce_kernelI14__hip_bfloat16S0_Li128ELi128ELi256ELi10EEvPT0_PKfS4_PKT_PKiS9_iS4_.kd
    .uniform_work_group_size: 1
    .uses_dynamic_stack: false
    .vgpr_count:     136
    .vgpr_spill_count: 0
    .wavefront_size: 64
  - .agpr_count:     0
    .args:
      - .actual_access:  write_only
        .address_space:  global
        .offset:         0
        .size:           8
        .value_kind:     global_buffer
      - .actual_access:  read_only
        .address_space:  global
        .offset:         8
        .size:           8
        .value_kind:     global_buffer
      - .actual_access:  read_only
        .address_space:  global
        .offset:         16
        .size:           8
        .value_kind:     global_buffer
      - .actual_access:  read_only
        .address_space:  global
        .offset:         24
        .size:           8
        .value_kind:     global_buffer
      - .actual_access:  read_only
        .address_space:  global
        .offset:         32
        .size:           8
        .value_kind:     global_buffer
      - .actual_access:  read_only
        .address_space:  global
        .offset:         40
        .size:           8
        .value_kind:     global_buffer
      - .offset:         48
        .size:           4
        .value_kind:     by_value
      - .actual_access:  read_only
        .address_space:  global
        .offset:         56
        .size:           8
        .value_kind:     global_buffer
      - .offset:         64
        .size:           4
        .value_kind:     hidden_block_count_x
      - .offset:         68
        .size:           4
        .value_kind:     hidden_block_count_y
      - .offset:         72
        .size:           4
        .value_kind:     hidden_block_count_z
      - .offset:         76
        .size:           2
        .value_kind:     hidden_group_size_x
      - .offset:         78
        .size:           2
        .value_kind:     hidden_group_size_y
      - .offset:         80
        .size:           2
        .value_kind:     hidden_group_size_z
      - .offset:         82
        .size:           2
        .value_kind:     hidden_remainder_x
      - .offset:         84
        .size:           2
        .value_kind:     hidden_remainder_y
      - .offset:         86
        .size:           2
        .value_kind:     hidden_remainder_z
      - .offset:         104
        .size:           8
        .value_kind:     hidden_global_offset_x
      - .offset:         112
        .size:           8
        .value_kind:     hidden_global_offset_y
      - .offset:         120
        .size:           8
        .value_kind:     hidden_global_offset_z
      - .offset:         128
        .size:           2
        .value_kind:     hidden_grid_dims
    .group_segment_fixed_size: 2820
    .kernarg_segment_align: 8
    .kernarg_segment_size: 320
    .language:       OpenCL C
    .language_version:
      - 2
      - 0
    .max_flat_workgroup_size: 128
    .name:           _Z35paged_attention_ll4mi_reduce_kernelI14__hip_bfloat16S0_Li128ELi128ELi256ELi11EEvPT0_PKfS4_PKT_PKiS9_iS4_
    .private_segment_fixed_size: 0
    .sgpr_count:     55
    .sgpr_spill_count: 0
    .symbol:         _Z35paged_attention_ll4mi_reduce_kernelI14__hip_bfloat16S0_Li128ELi128ELi256ELi11EEvPT0_PKfS4_PKT_PKiS9_iS4_.kd
    .uniform_work_group_size: 1
    .uses_dynamic_stack: false
    .vgpr_count:     136
    .vgpr_spill_count: 0
    .wavefront_size: 64
  - .agpr_count:     0
    .args:
      - .actual_access:  write_only
        .address_space:  global
        .offset:         0
        .size:           8
        .value_kind:     global_buffer
      - .actual_access:  read_only
        .address_space:  global
        .offset:         8
        .size:           8
        .value_kind:     global_buffer
      - .actual_access:  read_only
        .address_space:  global
        .offset:         16
        .size:           8
        .value_kind:     global_buffer
      - .actual_access:  read_only
        .address_space:  global
        .offset:         24
        .size:           8
        .value_kind:     global_buffer
      - .actual_access:  read_only
        .address_space:  global
        .offset:         32
        .size:           8
        .value_kind:     global_buffer
      - .actual_access:  read_only
        .address_space:  global
        .offset:         40
        .size:           8
        .value_kind:     global_buffer
      - .offset:         48
        .size:           4
        .value_kind:     by_value
      - .actual_access:  read_only
        .address_space:  global
        .offset:         56
        .size:           8
        .value_kind:     global_buffer
      - .offset:         64
        .size:           4
        .value_kind:     hidden_block_count_x
      - .offset:         68
        .size:           4
        .value_kind:     hidden_block_count_y
      - .offset:         72
        .size:           4
        .value_kind:     hidden_block_count_z
      - .offset:         76
        .size:           2
        .value_kind:     hidden_group_size_x
      - .offset:         78
        .size:           2
        .value_kind:     hidden_group_size_y
      - .offset:         80
        .size:           2
        .value_kind:     hidden_group_size_z
      - .offset:         82
        .size:           2
        .value_kind:     hidden_remainder_x
      - .offset:         84
        .size:           2
        .value_kind:     hidden_remainder_y
      - .offset:         86
        .size:           2
        .value_kind:     hidden_remainder_z
      - .offset:         104
        .size:           8
        .value_kind:     hidden_global_offset_x
      - .offset:         112
        .size:           8
        .value_kind:     hidden_global_offset_y
      - .offset:         120
        .size:           8
        .value_kind:     hidden_global_offset_z
      - .offset:         128
        .size:           2
        .value_kind:     hidden_grid_dims
    .group_segment_fixed_size: 3076
    .kernarg_segment_align: 8
    .kernarg_segment_size: 320
    .language:       OpenCL C
    .language_version:
      - 2
      - 0
    .max_flat_workgroup_size: 128
    .name:           _Z35paged_attention_ll4mi_reduce_kernelI14__hip_bfloat16S0_Li128ELi128ELi256ELi12EEvPT0_PKfS4_PKT_PKiS9_iS4_
    .private_segment_fixed_size: 0
    .sgpr_count:     57
    .sgpr_spill_count: 0
    .symbol:         _Z35paged_attention_ll4mi_reduce_kernelI14__hip_bfloat16S0_Li128ELi128ELi256ELi12EEvPT0_PKfS4_PKT_PKiS9_iS4_.kd
    .uniform_work_group_size: 1
    .uses_dynamic_stack: false
    .vgpr_count:     136
    .vgpr_spill_count: 0
    .wavefront_size: 64
  - .agpr_count:     0
    .args:
      - .actual_access:  write_only
        .address_space:  global
        .offset:         0
        .size:           8
        .value_kind:     global_buffer
      - .actual_access:  read_only
        .address_space:  global
        .offset:         8
        .size:           8
        .value_kind:     global_buffer
      - .actual_access:  read_only
        .address_space:  global
        .offset:         16
        .size:           8
        .value_kind:     global_buffer
      - .actual_access:  read_only
        .address_space:  global
        .offset:         24
        .size:           8
        .value_kind:     global_buffer
      - .actual_access:  read_only
        .address_space:  global
        .offset:         32
        .size:           8
        .value_kind:     global_buffer
      - .actual_access:  read_only
        .address_space:  global
        .offset:         40
        .size:           8
        .value_kind:     global_buffer
      - .offset:         48
        .size:           4
        .value_kind:     by_value
      - .actual_access:  read_only
        .address_space:  global
        .offset:         56
        .size:           8
        .value_kind:     global_buffer
      - .offset:         64
        .size:           4
        .value_kind:     hidden_block_count_x
      - .offset:         68
        .size:           4
        .value_kind:     hidden_block_count_y
      - .offset:         72
        .size:           4
        .value_kind:     hidden_block_count_z
      - .offset:         76
        .size:           2
        .value_kind:     hidden_group_size_x
      - .offset:         78
        .size:           2
        .value_kind:     hidden_group_size_y
      - .offset:         80
        .size:           2
        .value_kind:     hidden_group_size_z
      - .offset:         82
        .size:           2
        .value_kind:     hidden_remainder_x
      - .offset:         84
        .size:           2
        .value_kind:     hidden_remainder_y
      - .offset:         86
        .size:           2
        .value_kind:     hidden_remainder_z
      - .offset:         104
        .size:           8
        .value_kind:     hidden_global_offset_x
      - .offset:         112
        .size:           8
        .value_kind:     hidden_global_offset_y
      - .offset:         120
        .size:           8
        .value_kind:     hidden_global_offset_z
      - .offset:         128
        .size:           2
        .value_kind:     hidden_grid_dims
    .group_segment_fixed_size: 3332
    .kernarg_segment_align: 8
    .kernarg_segment_size: 320
    .language:       OpenCL C
    .language_version:
      - 2
      - 0
    .max_flat_workgroup_size: 128
    .name:           _Z35paged_attention_ll4mi_reduce_kernelI14__hip_bfloat16S0_Li128ELi128ELi256ELi13EEvPT0_PKfS4_PKT_PKiS9_iS4_
    .private_segment_fixed_size: 0
    .sgpr_count:     59
    .sgpr_spill_count: 0
    .symbol:         _Z35paged_attention_ll4mi_reduce_kernelI14__hip_bfloat16S0_Li128ELi128ELi256ELi13EEvPT0_PKfS4_PKT_PKiS9_iS4_.kd
    .uniform_work_group_size: 1
    .uses_dynamic_stack: false
    .vgpr_count:     136
    .vgpr_spill_count: 0
    .wavefront_size: 64
  - .agpr_count:     0
    .args:
      - .actual_access:  write_only
        .address_space:  global
        .offset:         0
        .size:           8
        .value_kind:     global_buffer
      - .actual_access:  read_only
        .address_space:  global
        .offset:         8
        .size:           8
        .value_kind:     global_buffer
      - .actual_access:  read_only
        .address_space:  global
        .offset:         16
        .size:           8
        .value_kind:     global_buffer
      - .actual_access:  read_only
        .address_space:  global
        .offset:         24
        .size:           8
        .value_kind:     global_buffer
      - .actual_access:  read_only
        .address_space:  global
        .offset:         32
        .size:           8
        .value_kind:     global_buffer
      - .actual_access:  read_only
        .address_space:  global
        .offset:         40
        .size:           8
        .value_kind:     global_buffer
      - .offset:         48
        .size:           4
        .value_kind:     by_value
      - .actual_access:  read_only
        .address_space:  global
        .offset:         56
        .size:           8
        .value_kind:     global_buffer
      - .offset:         64
        .size:           4
        .value_kind:     hidden_block_count_x
      - .offset:         68
        .size:           4
        .value_kind:     hidden_block_count_y
      - .offset:         72
        .size:           4
        .value_kind:     hidden_block_count_z
      - .offset:         76
        .size:           2
        .value_kind:     hidden_group_size_x
      - .offset:         78
        .size:           2
        .value_kind:     hidden_group_size_y
      - .offset:         80
        .size:           2
        .value_kind:     hidden_group_size_z
      - .offset:         82
        .size:           2
        .value_kind:     hidden_remainder_x
      - .offset:         84
        .size:           2
        .value_kind:     hidden_remainder_y
      - .offset:         86
        .size:           2
        .value_kind:     hidden_remainder_z
      - .offset:         104
        .size:           8
        .value_kind:     hidden_global_offset_x
      - .offset:         112
        .size:           8
        .value_kind:     hidden_global_offset_y
      - .offset:         120
        .size:           8
        .value_kind:     hidden_global_offset_z
      - .offset:         128
        .size:           2
        .value_kind:     hidden_grid_dims
    .group_segment_fixed_size: 3588
    .kernarg_segment_align: 8
    .kernarg_segment_size: 320
    .language:       OpenCL C
    .language_version:
      - 2
      - 0
    .max_flat_workgroup_size: 128
    .name:           _Z35paged_attention_ll4mi_reduce_kernelI14__hip_bfloat16S0_Li128ELi128ELi256ELi14EEvPT0_PKfS4_PKT_PKiS9_iS4_
    .private_segment_fixed_size: 0
    .sgpr_count:     61
    .sgpr_spill_count: 0
    .symbol:         _Z35paged_attention_ll4mi_reduce_kernelI14__hip_bfloat16S0_Li128ELi128ELi256ELi14EEvPT0_PKfS4_PKT_PKiS9_iS4_.kd
    .uniform_work_group_size: 1
    .uses_dynamic_stack: false
    .vgpr_count:     136
    .vgpr_spill_count: 0
    .wavefront_size: 64
  - .agpr_count:     0
    .args:
      - .actual_access:  write_only
        .address_space:  global
        .offset:         0
        .size:           8
        .value_kind:     global_buffer
      - .actual_access:  read_only
        .address_space:  global
        .offset:         8
        .size:           8
        .value_kind:     global_buffer
      - .actual_access:  read_only
        .address_space:  global
        .offset:         16
        .size:           8
        .value_kind:     global_buffer
      - .actual_access:  read_only
        .address_space:  global
        .offset:         24
        .size:           8
        .value_kind:     global_buffer
      - .actual_access:  read_only
        .address_space:  global
        .offset:         32
        .size:           8
        .value_kind:     global_buffer
      - .actual_access:  read_only
        .address_space:  global
        .offset:         40
        .size:           8
        .value_kind:     global_buffer
      - .offset:         48
        .size:           4
        .value_kind:     by_value
      - .actual_access:  read_only
        .address_space:  global
        .offset:         56
        .size:           8
        .value_kind:     global_buffer
      - .offset:         64
        .size:           4
        .value_kind:     hidden_block_count_x
      - .offset:         68
        .size:           4
        .value_kind:     hidden_block_count_y
      - .offset:         72
        .size:           4
        .value_kind:     hidden_block_count_z
      - .offset:         76
        .size:           2
        .value_kind:     hidden_group_size_x
      - .offset:         78
        .size:           2
        .value_kind:     hidden_group_size_y
      - .offset:         80
        .size:           2
        .value_kind:     hidden_group_size_z
      - .offset:         82
        .size:           2
        .value_kind:     hidden_remainder_x
      - .offset:         84
        .size:           2
        .value_kind:     hidden_remainder_y
      - .offset:         86
        .size:           2
        .value_kind:     hidden_remainder_z
      - .offset:         104
        .size:           8
        .value_kind:     hidden_global_offset_x
      - .offset:         112
        .size:           8
        .value_kind:     hidden_global_offset_y
      - .offset:         120
        .size:           8
        .value_kind:     hidden_global_offset_z
      - .offset:         128
        .size:           2
        .value_kind:     hidden_grid_dims
    .group_segment_fixed_size: 3844
    .kernarg_segment_align: 8
    .kernarg_segment_size: 320
    .language:       OpenCL C
    .language_version:
      - 2
      - 0
    .max_flat_workgroup_size: 128
    .name:           _Z35paged_attention_ll4mi_reduce_kernelI14__hip_bfloat16S0_Li128ELi128ELi256ELi15EEvPT0_PKfS4_PKT_PKiS9_iS4_
    .private_segment_fixed_size: 0
    .sgpr_count:     63
    .sgpr_spill_count: 0
    .symbol:         _Z35paged_attention_ll4mi_reduce_kernelI14__hip_bfloat16S0_Li128ELi128ELi256ELi15EEvPT0_PKfS4_PKT_PKiS9_iS4_.kd
    .uniform_work_group_size: 1
    .uses_dynamic_stack: false
    .vgpr_count:     136
    .vgpr_spill_count: 0
    .wavefront_size: 64
  - .agpr_count:     0
    .args:
      - .actual_access:  write_only
        .address_space:  global
        .offset:         0
        .size:           8
        .value_kind:     global_buffer
      - .actual_access:  read_only
        .address_space:  global
        .offset:         8
        .size:           8
        .value_kind:     global_buffer
      - .actual_access:  read_only
        .address_space:  global
        .offset:         16
        .size:           8
        .value_kind:     global_buffer
      - .actual_access:  read_only
        .address_space:  global
        .offset:         24
        .size:           8
        .value_kind:     global_buffer
      - .actual_access:  read_only
        .address_space:  global
        .offset:         32
        .size:           8
        .value_kind:     global_buffer
      - .actual_access:  read_only
        .address_space:  global
        .offset:         40
        .size:           8
        .value_kind:     global_buffer
      - .offset:         48
        .size:           4
        .value_kind:     by_value
      - .actual_access:  read_only
        .address_space:  global
        .offset:         56
        .size:           8
        .value_kind:     global_buffer
      - .offset:         64
        .size:           4
        .value_kind:     hidden_block_count_x
      - .offset:         68
        .size:           4
        .value_kind:     hidden_block_count_y
      - .offset:         72
        .size:           4
        .value_kind:     hidden_block_count_z
      - .offset:         76
        .size:           2
        .value_kind:     hidden_group_size_x
      - .offset:         78
        .size:           2
        .value_kind:     hidden_group_size_y
      - .offset:         80
        .size:           2
        .value_kind:     hidden_group_size_z
      - .offset:         82
        .size:           2
        .value_kind:     hidden_remainder_x
      - .offset:         84
        .size:           2
        .value_kind:     hidden_remainder_y
      - .offset:         86
        .size:           2
        .value_kind:     hidden_remainder_z
      - .offset:         104
        .size:           8
        .value_kind:     hidden_global_offset_x
      - .offset:         112
        .size:           8
        .value_kind:     hidden_global_offset_y
      - .offset:         120
        .size:           8
        .value_kind:     hidden_global_offset_z
      - .offset:         128
        .size:           2
        .value_kind:     hidden_grid_dims
    .group_segment_fixed_size: 4100
    .kernarg_segment_align: 8
    .kernarg_segment_size: 320
    .language:       OpenCL C
    .language_version:
      - 2
      - 0
    .max_flat_workgroup_size: 128
    .name:           _Z35paged_attention_ll4mi_reduce_kernelI14__hip_bfloat16S0_Li128ELi128ELi256ELi16EEvPT0_PKfS4_PKT_PKiS9_iS4_
    .private_segment_fixed_size: 0
    .sgpr_count:     65
    .sgpr_spill_count: 0
    .symbol:         _Z35paged_attention_ll4mi_reduce_kernelI14__hip_bfloat16S0_Li128ELi128ELi256ELi16EEvPT0_PKfS4_PKT_PKiS9_iS4_.kd
    .uniform_work_group_size: 1
    .uses_dynamic_stack: false
    .vgpr_count:     136
    .vgpr_spill_count: 0
    .wavefront_size: 64
  - .agpr_count:     8
    .args:
      - .actual_access:  read_only
        .address_space:  global
        .offset:         0
        .size:           8
        .value_kind:     global_buffer
      - .actual_access:  read_only
        .address_space:  global
        .offset:         8
        .size:           8
        .value_kind:     global_buffer
      - .actual_access:  read_only
        .address_space:  global
        .offset:         16
        .size:           8
        .value_kind:     global_buffer
      - .offset:         24
        .size:           4
        .value_kind:     by_value
      - .offset:         28
        .size:           4
        .value_kind:     by_value
      - .actual_access:  read_only
        .address_space:  global
        .offset:         32
        .size:           8
        .value_kind:     global_buffer
      - .actual_access:  read_only
        .address_space:  global
        .offset:         40
        .size:           8
        .value_kind:     global_buffer
      - .actual_access:  read_only
        .address_space:  global
        .offset:         48
        .size:           8
        .value_kind:     global_buffer
      - .offset:         56
        .size:           4
        .value_kind:     by_value
      - .actual_access:  read_only
        .address_space:  global
        .offset:         64
        .size:           8
        .value_kind:     global_buffer
      - .offset:         72
        .size:           4
        .value_kind:     by_value
      - .offset:         76
        .size:           4
        .value_kind:     by_value
      - .offset:         80
        .size:           4
        .value_kind:     by_value
      - .actual_access:  write_only
        .address_space:  global
        .offset:         88
        .size:           8
        .value_kind:     global_buffer
      - .actual_access:  write_only
        .address_space:  global
        .offset:         96
        .size:           8
        .value_kind:     global_buffer
      - .actual_access:  write_only
        .address_space:  global
        .offset:         104
        .size:           8
        .value_kind:     global_buffer
      - .actual_access:  read_only
        .address_space:  global
        .offset:         112
        .size:           8
        .value_kind:     global_buffer
      - .offset:         120
        .size:           4
        .value_kind:     by_value
      - .address_space:  global
        .offset:         128
        .size:           8
        .value_kind:     global_buffer
      - .address_space:  global
        .offset:         136
        .size:           8
        .value_kind:     global_buffer
      - .offset:         144
        .size:           4
        .value_kind:     hidden_block_count_x
      - .offset:         148
        .size:           4
        .value_kind:     hidden_block_count_y
      - .offset:         152
        .size:           4
        .value_kind:     hidden_block_count_z
      - .offset:         156
        .size:           2
        .value_kind:     hidden_group_size_x
      - .offset:         158
        .size:           2
        .value_kind:     hidden_group_size_y
      - .offset:         160
        .size:           2
        .value_kind:     hidden_group_size_z
      - .offset:         162
        .size:           2
        .value_kind:     hidden_remainder_x
      - .offset:         164
        .size:           2
        .value_kind:     hidden_remainder_y
      - .offset:         166
        .size:           2
        .value_kind:     hidden_remainder_z
      - .offset:         184
        .size:           8
        .value_kind:     hidden_global_offset_x
      - .offset:         192
        .size:           8
        .value_kind:     hidden_global_offset_y
      - .offset:         200
        .size:           8
        .value_kind:     hidden_global_offset_z
      - .offset:         208
        .size:           2
        .value_kind:     hidden_grid_dims
    .group_segment_fixed_size: 5280
    .kernarg_segment_align: 8
    .kernarg_segment_size: 400
    .language:       OpenCL C
    .language_version:
      - 2
      - 0
    .max_flat_workgroup_size: 256
    .name:           _Z38paged_attention_ll4mi_QKV_mfma4_kernelI14__hip_bfloat16S0_LN4vllm18Fp8KVCacheDataTypeE0ES0_Li16ELi128ELi256ELb0ELi1EEvPKT_PKT0_S8_ifPKiSA_SA_iPKfiiiPfSD_PS3_PT2_iSC_SC_
    .private_segment_fixed_size: 0
    .sgpr_count:     42
    .sgpr_spill_count: 0
    .symbol:         _Z38paged_attention_ll4mi_QKV_mfma4_kernelI14__hip_bfloat16S0_LN4vllm18Fp8KVCacheDataTypeE0ES0_Li16ELi128ELi256ELb0ELi1EEvPKT_PKT0_S8_ifPKiSA_SA_iPKfiiiPfSD_PS3_PT2_iSC_SC_.kd
    .uniform_work_group_size: 1
    .uses_dynamic_stack: false
    .vgpr_count:     96
    .vgpr_spill_count: 0
    .wavefront_size: 64
  - .agpr_count:     8
    .args:
      - .actual_access:  read_only
        .address_space:  global
        .offset:         0
        .size:           8
        .value_kind:     global_buffer
      - .actual_access:  read_only
        .address_space:  global
        .offset:         8
        .size:           8
        .value_kind:     global_buffer
      - .actual_access:  read_only
        .address_space:  global
        .offset:         16
        .size:           8
        .value_kind:     global_buffer
      - .offset:         24
        .size:           4
        .value_kind:     by_value
      - .offset:         28
        .size:           4
        .value_kind:     by_value
      - .actual_access:  read_only
        .address_space:  global
        .offset:         32
        .size:           8
        .value_kind:     global_buffer
      - .actual_access:  read_only
        .address_space:  global
        .offset:         40
        .size:           8
        .value_kind:     global_buffer
      - .actual_access:  read_only
        .address_space:  global
        .offset:         48
        .size:           8
        .value_kind:     global_buffer
      - .offset:         56
        .size:           4
        .value_kind:     by_value
      - .actual_access:  read_only
        .address_space:  global
        .offset:         64
        .size:           8
        .value_kind:     global_buffer
      - .offset:         72
        .size:           4
        .value_kind:     by_value
      - .offset:         76
        .size:           4
        .value_kind:     by_value
      - .offset:         80
        .size:           4
        .value_kind:     by_value
      - .actual_access:  write_only
        .address_space:  global
        .offset:         88
        .size:           8
        .value_kind:     global_buffer
      - .actual_access:  write_only
        .address_space:  global
        .offset:         96
        .size:           8
        .value_kind:     global_buffer
      - .actual_access:  write_only
        .address_space:  global
        .offset:         104
        .size:           8
        .value_kind:     global_buffer
      - .actual_access:  read_only
        .address_space:  global
        .offset:         112
        .size:           8
        .value_kind:     global_buffer
      - .offset:         120
        .size:           4
        .value_kind:     by_value
      - .address_space:  global
        .offset:         128
        .size:           8
        .value_kind:     global_buffer
      - .address_space:  global
        .offset:         136
        .size:           8
        .value_kind:     global_buffer
      - .offset:         144
        .size:           4
        .value_kind:     hidden_block_count_x
      - .offset:         148
        .size:           4
        .value_kind:     hidden_block_count_y
      - .offset:         152
        .size:           4
        .value_kind:     hidden_block_count_z
      - .offset:         156
        .size:           2
        .value_kind:     hidden_group_size_x
      - .offset:         158
        .size:           2
        .value_kind:     hidden_group_size_y
      - .offset:         160
        .size:           2
        .value_kind:     hidden_group_size_z
      - .offset:         162
        .size:           2
        .value_kind:     hidden_remainder_x
      - .offset:         164
        .size:           2
        .value_kind:     hidden_remainder_y
      - .offset:         166
        .size:           2
        .value_kind:     hidden_remainder_z
      - .offset:         184
        .size:           8
        .value_kind:     hidden_global_offset_x
      - .offset:         192
        .size:           8
        .value_kind:     hidden_global_offset_y
      - .offset:         200
        .size:           8
        .value_kind:     hidden_global_offset_z
      - .offset:         208
        .size:           2
        .value_kind:     hidden_grid_dims
    .group_segment_fixed_size: 5280
    .kernarg_segment_align: 8
    .kernarg_segment_size: 400
    .language:       OpenCL C
    .language_version:
      - 2
      - 0
    .max_flat_workgroup_size: 256
    .name:           _Z38paged_attention_ll4mi_QKV_mfma4_kernelI14__hip_bfloat16S0_LN4vllm18Fp8KVCacheDataTypeE0ES0_Li16ELi128ELi256ELb0ELi2EEvPKT_PKT0_S8_ifPKiSA_SA_iPKfiiiPfSD_PS3_PT2_iSC_SC_
    .private_segment_fixed_size: 0
    .sgpr_count:     42
    .sgpr_spill_count: 0
    .symbol:         _Z38paged_attention_ll4mi_QKV_mfma4_kernelI14__hip_bfloat16S0_LN4vllm18Fp8KVCacheDataTypeE0ES0_Li16ELi128ELi256ELb0ELi2EEvPKT_PKT0_S8_ifPKiSA_SA_iPKfiiiPfSD_PS3_PT2_iSC_SC_.kd
    .uniform_work_group_size: 1
    .uses_dynamic_stack: false
    .vgpr_count:     96
    .vgpr_spill_count: 0
    .wavefront_size: 64
  - .agpr_count:     8
    .args:
      - .actual_access:  read_only
        .address_space:  global
        .offset:         0
        .size:           8
        .value_kind:     global_buffer
      - .actual_access:  read_only
        .address_space:  global
        .offset:         8
        .size:           8
        .value_kind:     global_buffer
      - .actual_access:  read_only
        .address_space:  global
        .offset:         16
        .size:           8
        .value_kind:     global_buffer
      - .offset:         24
        .size:           4
        .value_kind:     by_value
      - .offset:         28
        .size:           4
        .value_kind:     by_value
      - .actual_access:  read_only
        .address_space:  global
        .offset:         32
        .size:           8
        .value_kind:     global_buffer
      - .actual_access:  read_only
        .address_space:  global
        .offset:         40
        .size:           8
        .value_kind:     global_buffer
      - .actual_access:  read_only
        .address_space:  global
        .offset:         48
        .size:           8
        .value_kind:     global_buffer
      - .offset:         56
        .size:           4
        .value_kind:     by_value
      - .actual_access:  read_only
        .address_space:  global
        .offset:         64
        .size:           8
        .value_kind:     global_buffer
      - .offset:         72
        .size:           4
        .value_kind:     by_value
      - .offset:         76
        .size:           4
        .value_kind:     by_value
      - .offset:         80
        .size:           4
        .value_kind:     by_value
      - .actual_access:  write_only
        .address_space:  global
        .offset:         88
        .size:           8
        .value_kind:     global_buffer
      - .actual_access:  write_only
        .address_space:  global
        .offset:         96
        .size:           8
        .value_kind:     global_buffer
      - .actual_access:  write_only
        .address_space:  global
        .offset:         104
        .size:           8
        .value_kind:     global_buffer
      - .actual_access:  read_only
        .address_space:  global
        .offset:         112
        .size:           8
        .value_kind:     global_buffer
      - .offset:         120
        .size:           4
        .value_kind:     by_value
      - .address_space:  global
        .offset:         128
        .size:           8
        .value_kind:     global_buffer
      - .address_space:  global
        .offset:         136
        .size:           8
        .value_kind:     global_buffer
      - .offset:         144
        .size:           4
        .value_kind:     hidden_block_count_x
      - .offset:         148
        .size:           4
        .value_kind:     hidden_block_count_y
      - .offset:         152
        .size:           4
        .value_kind:     hidden_block_count_z
      - .offset:         156
        .size:           2
        .value_kind:     hidden_group_size_x
      - .offset:         158
        .size:           2
        .value_kind:     hidden_group_size_y
      - .offset:         160
        .size:           2
        .value_kind:     hidden_group_size_z
      - .offset:         162
        .size:           2
        .value_kind:     hidden_remainder_x
      - .offset:         164
        .size:           2
        .value_kind:     hidden_remainder_y
      - .offset:         166
        .size:           2
        .value_kind:     hidden_remainder_z
      - .offset:         184
        .size:           8
        .value_kind:     hidden_global_offset_x
      - .offset:         192
        .size:           8
        .value_kind:     hidden_global_offset_y
      - .offset:         200
        .size:           8
        .value_kind:     hidden_global_offset_z
      - .offset:         208
        .size:           2
        .value_kind:     hidden_grid_dims
    .group_segment_fixed_size: 5280
    .kernarg_segment_align: 8
    .kernarg_segment_size: 400
    .language:       OpenCL C
    .language_version:
      - 2
      - 0
    .max_flat_workgroup_size: 256
    .name:           _Z38paged_attention_ll4mi_QKV_mfma4_kernelI14__hip_bfloat16S0_LN4vllm18Fp8KVCacheDataTypeE0ES0_Li16ELi128ELi256ELb0ELi3EEvPKT_PKT0_S8_ifPKiSA_SA_iPKfiiiPfSD_PS3_PT2_iSC_SC_
    .private_segment_fixed_size: 0
    .sgpr_count:     42
    .sgpr_spill_count: 0
    .symbol:         _Z38paged_attention_ll4mi_QKV_mfma4_kernelI14__hip_bfloat16S0_LN4vllm18Fp8KVCacheDataTypeE0ES0_Li16ELi128ELi256ELb0ELi3EEvPKT_PKT0_S8_ifPKiSA_SA_iPKfiiiPfSD_PS3_PT2_iSC_SC_.kd
    .uniform_work_group_size: 1
    .uses_dynamic_stack: false
    .vgpr_count:     100
    .vgpr_spill_count: 0
    .wavefront_size: 64
  - .agpr_count:     8
    .args:
      - .actual_access:  read_only
        .address_space:  global
        .offset:         0
        .size:           8
        .value_kind:     global_buffer
      - .actual_access:  read_only
        .address_space:  global
        .offset:         8
        .size:           8
        .value_kind:     global_buffer
      - .actual_access:  read_only
        .address_space:  global
        .offset:         16
        .size:           8
        .value_kind:     global_buffer
      - .offset:         24
        .size:           4
        .value_kind:     by_value
      - .offset:         28
        .size:           4
        .value_kind:     by_value
      - .actual_access:  read_only
        .address_space:  global
        .offset:         32
        .size:           8
        .value_kind:     global_buffer
      - .actual_access:  read_only
        .address_space:  global
        .offset:         40
        .size:           8
        .value_kind:     global_buffer
      - .actual_access:  read_only
        .address_space:  global
        .offset:         48
        .size:           8
        .value_kind:     global_buffer
      - .offset:         56
        .size:           4
        .value_kind:     by_value
      - .actual_access:  read_only
        .address_space:  global
        .offset:         64
        .size:           8
        .value_kind:     global_buffer
      - .offset:         72
        .size:           4
        .value_kind:     by_value
      - .offset:         76
        .size:           4
        .value_kind:     by_value
      - .offset:         80
        .size:           4
        .value_kind:     by_value
      - .actual_access:  write_only
        .address_space:  global
        .offset:         88
        .size:           8
        .value_kind:     global_buffer
      - .actual_access:  write_only
        .address_space:  global
        .offset:         96
        .size:           8
        .value_kind:     global_buffer
      - .actual_access:  write_only
        .address_space:  global
        .offset:         104
        .size:           8
        .value_kind:     global_buffer
      - .actual_access:  read_only
        .address_space:  global
        .offset:         112
        .size:           8
        .value_kind:     global_buffer
      - .offset:         120
        .size:           4
        .value_kind:     by_value
      - .address_space:  global
        .offset:         128
        .size:           8
        .value_kind:     global_buffer
      - .address_space:  global
        .offset:         136
        .size:           8
        .value_kind:     global_buffer
      - .offset:         144
        .size:           4
        .value_kind:     hidden_block_count_x
      - .offset:         148
        .size:           4
        .value_kind:     hidden_block_count_y
      - .offset:         152
        .size:           4
        .value_kind:     hidden_block_count_z
      - .offset:         156
        .size:           2
        .value_kind:     hidden_group_size_x
      - .offset:         158
        .size:           2
        .value_kind:     hidden_group_size_y
      - .offset:         160
        .size:           2
        .value_kind:     hidden_group_size_z
      - .offset:         162
        .size:           2
        .value_kind:     hidden_remainder_x
      - .offset:         164
        .size:           2
        .value_kind:     hidden_remainder_y
      - .offset:         166
        .size:           2
        .value_kind:     hidden_remainder_z
      - .offset:         184
        .size:           8
        .value_kind:     hidden_global_offset_x
      - .offset:         192
        .size:           8
        .value_kind:     hidden_global_offset_y
      - .offset:         200
        .size:           8
        .value_kind:     hidden_global_offset_z
      - .offset:         208
        .size:           2
        .value_kind:     hidden_grid_dims
    .group_segment_fixed_size: 5280
    .kernarg_segment_align: 8
    .kernarg_segment_size: 400
    .language:       OpenCL C
    .language_version:
      - 2
      - 0
    .max_flat_workgroup_size: 256
    .name:           _Z38paged_attention_ll4mi_QKV_mfma4_kernelI14__hip_bfloat16S0_LN4vllm18Fp8KVCacheDataTypeE0ES0_Li16ELi128ELi256ELb0ELi4EEvPKT_PKT0_S8_ifPKiSA_SA_iPKfiiiPfSD_PS3_PT2_iSC_SC_
    .private_segment_fixed_size: 0
    .sgpr_count:     42
    .sgpr_spill_count: 0
    .symbol:         _Z38paged_attention_ll4mi_QKV_mfma4_kernelI14__hip_bfloat16S0_LN4vllm18Fp8KVCacheDataTypeE0ES0_Li16ELi128ELi256ELb0ELi4EEvPKT_PKT0_S8_ifPKiSA_SA_iPKfiiiPfSD_PS3_PT2_iSC_SC_.kd
    .uniform_work_group_size: 1
    .uses_dynamic_stack: false
    .vgpr_count:     96
    .vgpr_spill_count: 0
    .wavefront_size: 64
  - .agpr_count:     0
    .args:
      - .actual_access:  read_only
        .address_space:  global
        .offset:         0
        .size:           8
        .value_kind:     global_buffer
      - .actual_access:  read_only
        .address_space:  global
        .offset:         8
        .size:           8
        .value_kind:     global_buffer
      - .actual_access:  read_only
        .address_space:  global
        .offset:         16
        .size:           8
        .value_kind:     global_buffer
      - .offset:         24
        .size:           4
        .value_kind:     by_value
      - .offset:         28
        .size:           4
        .value_kind:     by_value
      - .actual_access:  read_only
        .address_space:  global
        .offset:         32
        .size:           8
        .value_kind:     global_buffer
      - .actual_access:  read_only
        .address_space:  global
        .offset:         40
        .size:           8
        .value_kind:     global_buffer
      - .actual_access:  read_only
        .address_space:  global
        .offset:         48
        .size:           8
        .value_kind:     global_buffer
      - .offset:         56
        .size:           4
        .value_kind:     by_value
      - .actual_access:  read_only
        .address_space:  global
        .offset:         64
        .size:           8
        .value_kind:     global_buffer
      - .offset:         72
        .size:           4
        .value_kind:     by_value
      - .offset:         76
        .size:           4
        .value_kind:     by_value
      - .offset:         80
        .size:           4
        .value_kind:     by_value
      - .actual_access:  write_only
        .address_space:  global
        .offset:         88
        .size:           8
        .value_kind:     global_buffer
      - .actual_access:  write_only
        .address_space:  global
        .offset:         96
        .size:           8
        .value_kind:     global_buffer
      - .actual_access:  write_only
        .address_space:  global
        .offset:         104
        .size:           8
        .value_kind:     global_buffer
      - .actual_access:  read_only
        .address_space:  global
        .offset:         112
        .size:           8
        .value_kind:     global_buffer
      - .offset:         120
        .size:           4
        .value_kind:     by_value
      - .address_space:  global
        .offset:         128
        .size:           8
        .value_kind:     global_buffer
      - .address_space:  global
        .offset:         136
        .size:           8
        .value_kind:     global_buffer
      - .offset:         144
        .size:           4
        .value_kind:     hidden_block_count_x
      - .offset:         148
        .size:           4
        .value_kind:     hidden_block_count_y
      - .offset:         152
        .size:           4
        .value_kind:     hidden_block_count_z
      - .offset:         156
        .size:           2
        .value_kind:     hidden_group_size_x
      - .offset:         158
        .size:           2
        .value_kind:     hidden_group_size_y
      - .offset:         160
        .size:           2
        .value_kind:     hidden_group_size_z
      - .offset:         162
        .size:           2
        .value_kind:     hidden_remainder_x
      - .offset:         164
        .size:           2
        .value_kind:     hidden_remainder_y
      - .offset:         166
        .size:           2
        .value_kind:     hidden_remainder_z
      - .offset:         184
        .size:           8
        .value_kind:     hidden_global_offset_x
      - .offset:         192
        .size:           8
        .value_kind:     hidden_global_offset_y
      - .offset:         200
        .size:           8
        .value_kind:     hidden_global_offset_z
      - .offset:         208
        .size:           2
        .value_kind:     hidden_grid_dims
    .group_segment_fixed_size: 8192
    .kernarg_segment_align: 8
    .kernarg_segment_size: 400
    .language:       OpenCL C
    .language_version:
      - 2
      - 0
    .max_flat_workgroup_size: 256
    .name:           _Z39paged_attention_ll4mi_QKV_mfma16_kernelI14__hip_bfloat16S0_LN4vllm18Fp8KVCacheDataTypeE0ES0_Li16ELi128ELi256ELb0ELi5EL8MFMAType0EEvPKT_PKT0_S9_ifPKiSB_SB_iPKfiiiPfSE_PS4_PT2_iSD_SD_
    .private_segment_fixed_size: 8
    .sgpr_count:     52
    .sgpr_spill_count: 0
    .symbol:         _Z39paged_attention_ll4mi_QKV_mfma16_kernelI14__hip_bfloat16S0_LN4vllm18Fp8KVCacheDataTypeE0ES0_Li16ELi128ELi256ELb0ELi5EL8MFMAType0EEvPKT_PKT0_S9_ifPKiSB_SB_iPKfiiiPfSE_PS4_PT2_iSD_SD_.kd
    .uniform_work_group_size: 1
    .uses_dynamic_stack: false
    .vgpr_count:     96
    .vgpr_spill_count: 1
    .wavefront_size: 64
  - .agpr_count:     0
    .args:
      - .actual_access:  read_only
        .address_space:  global
        .offset:         0
        .size:           8
        .value_kind:     global_buffer
      - .actual_access:  read_only
        .address_space:  global
        .offset:         8
        .size:           8
        .value_kind:     global_buffer
      - .actual_access:  read_only
        .address_space:  global
        .offset:         16
        .size:           8
        .value_kind:     global_buffer
      - .offset:         24
        .size:           4
        .value_kind:     by_value
      - .offset:         28
        .size:           4
        .value_kind:     by_value
      - .actual_access:  read_only
        .address_space:  global
        .offset:         32
        .size:           8
        .value_kind:     global_buffer
      - .actual_access:  read_only
        .address_space:  global
        .offset:         40
        .size:           8
        .value_kind:     global_buffer
      - .actual_access:  read_only
        .address_space:  global
        .offset:         48
        .size:           8
        .value_kind:     global_buffer
      - .offset:         56
        .size:           4
        .value_kind:     by_value
      - .actual_access:  read_only
        .address_space:  global
        .offset:         64
        .size:           8
        .value_kind:     global_buffer
      - .offset:         72
        .size:           4
        .value_kind:     by_value
      - .offset:         76
        .size:           4
        .value_kind:     by_value
      - .offset:         80
        .size:           4
        .value_kind:     by_value
      - .actual_access:  write_only
        .address_space:  global
        .offset:         88
        .size:           8
        .value_kind:     global_buffer
      - .actual_access:  write_only
        .address_space:  global
        .offset:         96
        .size:           8
        .value_kind:     global_buffer
      - .actual_access:  write_only
        .address_space:  global
        .offset:         104
        .size:           8
        .value_kind:     global_buffer
      - .actual_access:  read_only
        .address_space:  global
        .offset:         112
        .size:           8
        .value_kind:     global_buffer
      - .offset:         120
        .size:           4
        .value_kind:     by_value
      - .address_space:  global
        .offset:         128
        .size:           8
        .value_kind:     global_buffer
      - .address_space:  global
        .offset:         136
        .size:           8
        .value_kind:     global_buffer
      - .offset:         144
        .size:           4
        .value_kind:     hidden_block_count_x
      - .offset:         148
        .size:           4
        .value_kind:     hidden_block_count_y
      - .offset:         152
        .size:           4
        .value_kind:     hidden_block_count_z
      - .offset:         156
        .size:           2
        .value_kind:     hidden_group_size_x
      - .offset:         158
        .size:           2
        .value_kind:     hidden_group_size_y
      - .offset:         160
        .size:           2
        .value_kind:     hidden_group_size_z
      - .offset:         162
        .size:           2
        .value_kind:     hidden_remainder_x
      - .offset:         164
        .size:           2
        .value_kind:     hidden_remainder_y
      - .offset:         166
        .size:           2
        .value_kind:     hidden_remainder_z
      - .offset:         184
        .size:           8
        .value_kind:     hidden_global_offset_x
      - .offset:         192
        .size:           8
        .value_kind:     hidden_global_offset_y
      - .offset:         200
        .size:           8
        .value_kind:     hidden_global_offset_z
      - .offset:         208
        .size:           2
        .value_kind:     hidden_grid_dims
    .group_segment_fixed_size: 8192
    .kernarg_segment_align: 8
    .kernarg_segment_size: 400
    .language:       OpenCL C
    .language_version:
      - 2
      - 0
    .max_flat_workgroup_size: 256
    .name:           _Z39paged_attention_ll4mi_QKV_mfma16_kernelI14__hip_bfloat16S0_LN4vllm18Fp8KVCacheDataTypeE0ES0_Li16ELi128ELi256ELb0ELi6EL8MFMAType0EEvPKT_PKT0_S9_ifPKiSB_SB_iPKfiiiPfSE_PS4_PT2_iSD_SD_
    .private_segment_fixed_size: 8
    .sgpr_count:     52
    .sgpr_spill_count: 0
    .symbol:         _Z39paged_attention_ll4mi_QKV_mfma16_kernelI14__hip_bfloat16S0_LN4vllm18Fp8KVCacheDataTypeE0ES0_Li16ELi128ELi256ELb0ELi6EL8MFMAType0EEvPKT_PKT0_S9_ifPKiSB_SB_iPKfiiiPfSE_PS4_PT2_iSD_SD_.kd
    .uniform_work_group_size: 1
    .uses_dynamic_stack: false
    .vgpr_count:     96
    .vgpr_spill_count: 1
    .wavefront_size: 64
  - .agpr_count:     0
    .args:
      - .actual_access:  read_only
        .address_space:  global
        .offset:         0
        .size:           8
        .value_kind:     global_buffer
      - .actual_access:  read_only
        .address_space:  global
        .offset:         8
        .size:           8
        .value_kind:     global_buffer
      - .actual_access:  read_only
        .address_space:  global
        .offset:         16
        .size:           8
        .value_kind:     global_buffer
      - .offset:         24
        .size:           4
        .value_kind:     by_value
      - .offset:         28
        .size:           4
        .value_kind:     by_value
      - .actual_access:  read_only
        .address_space:  global
        .offset:         32
        .size:           8
        .value_kind:     global_buffer
      - .actual_access:  read_only
        .address_space:  global
        .offset:         40
        .size:           8
        .value_kind:     global_buffer
      - .actual_access:  read_only
        .address_space:  global
        .offset:         48
        .size:           8
        .value_kind:     global_buffer
      - .offset:         56
        .size:           4
        .value_kind:     by_value
      - .actual_access:  read_only
        .address_space:  global
        .offset:         64
        .size:           8
        .value_kind:     global_buffer
      - .offset:         72
        .size:           4
        .value_kind:     by_value
      - .offset:         76
        .size:           4
        .value_kind:     by_value
      - .offset:         80
        .size:           4
        .value_kind:     by_value
      - .actual_access:  write_only
        .address_space:  global
        .offset:         88
        .size:           8
        .value_kind:     global_buffer
      - .actual_access:  write_only
        .address_space:  global
        .offset:         96
        .size:           8
        .value_kind:     global_buffer
      - .actual_access:  write_only
        .address_space:  global
        .offset:         104
        .size:           8
        .value_kind:     global_buffer
      - .actual_access:  read_only
        .address_space:  global
        .offset:         112
        .size:           8
        .value_kind:     global_buffer
      - .offset:         120
        .size:           4
        .value_kind:     by_value
      - .address_space:  global
        .offset:         128
        .size:           8
        .value_kind:     global_buffer
      - .address_space:  global
        .offset:         136
        .size:           8
        .value_kind:     global_buffer
      - .offset:         144
        .size:           4
        .value_kind:     hidden_block_count_x
      - .offset:         148
        .size:           4
        .value_kind:     hidden_block_count_y
      - .offset:         152
        .size:           4
        .value_kind:     hidden_block_count_z
      - .offset:         156
        .size:           2
        .value_kind:     hidden_group_size_x
      - .offset:         158
        .size:           2
        .value_kind:     hidden_group_size_y
      - .offset:         160
        .size:           2
        .value_kind:     hidden_group_size_z
      - .offset:         162
        .size:           2
        .value_kind:     hidden_remainder_x
      - .offset:         164
        .size:           2
        .value_kind:     hidden_remainder_y
      - .offset:         166
        .size:           2
        .value_kind:     hidden_remainder_z
      - .offset:         184
        .size:           8
        .value_kind:     hidden_global_offset_x
      - .offset:         192
        .size:           8
        .value_kind:     hidden_global_offset_y
      - .offset:         200
        .size:           8
        .value_kind:     hidden_global_offset_z
      - .offset:         208
        .size:           2
        .value_kind:     hidden_grid_dims
    .group_segment_fixed_size: 8192
    .kernarg_segment_align: 8
    .kernarg_segment_size: 400
    .language:       OpenCL C
    .language_version:
      - 2
      - 0
    .max_flat_workgroup_size: 256
    .name:           _Z39paged_attention_ll4mi_QKV_mfma16_kernelI14__hip_bfloat16S0_LN4vllm18Fp8KVCacheDataTypeE0ES0_Li16ELi128ELi256ELb0ELi7EL8MFMAType0EEvPKT_PKT0_S9_ifPKiSB_SB_iPKfiiiPfSE_PS4_PT2_iSD_SD_
    .private_segment_fixed_size: 8
    .sgpr_count:     52
    .sgpr_spill_count: 0
    .symbol:         _Z39paged_attention_ll4mi_QKV_mfma16_kernelI14__hip_bfloat16S0_LN4vllm18Fp8KVCacheDataTypeE0ES0_Li16ELi128ELi256ELb0ELi7EL8MFMAType0EEvPKT_PKT0_S9_ifPKiSB_SB_iPKfiiiPfSE_PS4_PT2_iSD_SD_.kd
    .uniform_work_group_size: 1
    .uses_dynamic_stack: false
    .vgpr_count:     96
    .vgpr_spill_count: 1
    .wavefront_size: 64
  - .agpr_count:     0
    .args:
      - .actual_access:  read_only
        .address_space:  global
        .offset:         0
        .size:           8
        .value_kind:     global_buffer
      - .actual_access:  read_only
        .address_space:  global
        .offset:         8
        .size:           8
        .value_kind:     global_buffer
      - .actual_access:  read_only
        .address_space:  global
        .offset:         16
        .size:           8
        .value_kind:     global_buffer
      - .offset:         24
        .size:           4
        .value_kind:     by_value
      - .offset:         28
        .size:           4
        .value_kind:     by_value
      - .actual_access:  read_only
        .address_space:  global
        .offset:         32
        .size:           8
        .value_kind:     global_buffer
      - .actual_access:  read_only
        .address_space:  global
        .offset:         40
        .size:           8
        .value_kind:     global_buffer
      - .actual_access:  read_only
        .address_space:  global
        .offset:         48
        .size:           8
        .value_kind:     global_buffer
      - .offset:         56
        .size:           4
        .value_kind:     by_value
      - .actual_access:  read_only
        .address_space:  global
        .offset:         64
        .size:           8
        .value_kind:     global_buffer
      - .offset:         72
        .size:           4
        .value_kind:     by_value
      - .offset:         76
        .size:           4
        .value_kind:     by_value
      - .offset:         80
        .size:           4
        .value_kind:     by_value
      - .actual_access:  write_only
        .address_space:  global
        .offset:         88
        .size:           8
        .value_kind:     global_buffer
      - .actual_access:  write_only
        .address_space:  global
        .offset:         96
        .size:           8
        .value_kind:     global_buffer
      - .actual_access:  write_only
        .address_space:  global
        .offset:         104
        .size:           8
        .value_kind:     global_buffer
      - .actual_access:  read_only
        .address_space:  global
        .offset:         112
        .size:           8
        .value_kind:     global_buffer
      - .offset:         120
        .size:           4
        .value_kind:     by_value
      - .address_space:  global
        .offset:         128
        .size:           8
        .value_kind:     global_buffer
      - .address_space:  global
        .offset:         136
        .size:           8
        .value_kind:     global_buffer
      - .offset:         144
        .size:           4
        .value_kind:     hidden_block_count_x
      - .offset:         148
        .size:           4
        .value_kind:     hidden_block_count_y
      - .offset:         152
        .size:           4
        .value_kind:     hidden_block_count_z
      - .offset:         156
        .size:           2
        .value_kind:     hidden_group_size_x
      - .offset:         158
        .size:           2
        .value_kind:     hidden_group_size_y
      - .offset:         160
        .size:           2
        .value_kind:     hidden_group_size_z
      - .offset:         162
        .size:           2
        .value_kind:     hidden_remainder_x
      - .offset:         164
        .size:           2
        .value_kind:     hidden_remainder_y
      - .offset:         166
        .size:           2
        .value_kind:     hidden_remainder_z
      - .offset:         184
        .size:           8
        .value_kind:     hidden_global_offset_x
      - .offset:         192
        .size:           8
        .value_kind:     hidden_global_offset_y
      - .offset:         200
        .size:           8
        .value_kind:     hidden_global_offset_z
      - .offset:         208
        .size:           2
        .value_kind:     hidden_grid_dims
    .group_segment_fixed_size: 8192
    .kernarg_segment_align: 8
    .kernarg_segment_size: 400
    .language:       OpenCL C
    .language_version:
      - 2
      - 0
    .max_flat_workgroup_size: 256
    .name:           _Z39paged_attention_ll4mi_QKV_mfma16_kernelI14__hip_bfloat16S0_LN4vllm18Fp8KVCacheDataTypeE0ES0_Li16ELi128ELi256ELb0ELi8EL8MFMAType0EEvPKT_PKT0_S9_ifPKiSB_SB_iPKfiiiPfSE_PS4_PT2_iSD_SD_
    .private_segment_fixed_size: 8
    .sgpr_count:     52
    .sgpr_spill_count: 0
    .symbol:         _Z39paged_attention_ll4mi_QKV_mfma16_kernelI14__hip_bfloat16S0_LN4vllm18Fp8KVCacheDataTypeE0ES0_Li16ELi128ELi256ELb0ELi8EL8MFMAType0EEvPKT_PKT0_S9_ifPKiSB_SB_iPKfiiiPfSE_PS4_PT2_iSD_SD_.kd
    .uniform_work_group_size: 1
    .uses_dynamic_stack: false
    .vgpr_count:     96
    .vgpr_spill_count: 1
    .wavefront_size: 64
  - .agpr_count:     0
    .args:
      - .actual_access:  read_only
        .address_space:  global
        .offset:         0
        .size:           8
        .value_kind:     global_buffer
      - .actual_access:  read_only
        .address_space:  global
        .offset:         8
        .size:           8
        .value_kind:     global_buffer
      - .actual_access:  read_only
        .address_space:  global
        .offset:         16
        .size:           8
        .value_kind:     global_buffer
      - .offset:         24
        .size:           4
        .value_kind:     by_value
      - .offset:         28
        .size:           4
        .value_kind:     by_value
      - .actual_access:  read_only
        .address_space:  global
        .offset:         32
        .size:           8
        .value_kind:     global_buffer
      - .actual_access:  read_only
        .address_space:  global
        .offset:         40
        .size:           8
        .value_kind:     global_buffer
      - .actual_access:  read_only
        .address_space:  global
        .offset:         48
        .size:           8
        .value_kind:     global_buffer
      - .offset:         56
        .size:           4
        .value_kind:     by_value
      - .actual_access:  read_only
        .address_space:  global
        .offset:         64
        .size:           8
        .value_kind:     global_buffer
      - .offset:         72
        .size:           4
        .value_kind:     by_value
      - .offset:         76
        .size:           4
        .value_kind:     by_value
      - .offset:         80
        .size:           4
        .value_kind:     by_value
      - .actual_access:  write_only
        .address_space:  global
        .offset:         88
        .size:           8
        .value_kind:     global_buffer
      - .actual_access:  write_only
        .address_space:  global
        .offset:         96
        .size:           8
        .value_kind:     global_buffer
      - .actual_access:  write_only
        .address_space:  global
        .offset:         104
        .size:           8
        .value_kind:     global_buffer
      - .actual_access:  read_only
        .address_space:  global
        .offset:         112
        .size:           8
        .value_kind:     global_buffer
      - .offset:         120
        .size:           4
        .value_kind:     by_value
      - .address_space:  global
        .offset:         128
        .size:           8
        .value_kind:     global_buffer
      - .address_space:  global
        .offset:         136
        .size:           8
        .value_kind:     global_buffer
      - .offset:         144
        .size:           4
        .value_kind:     hidden_block_count_x
      - .offset:         148
        .size:           4
        .value_kind:     hidden_block_count_y
      - .offset:         152
        .size:           4
        .value_kind:     hidden_block_count_z
      - .offset:         156
        .size:           2
        .value_kind:     hidden_group_size_x
      - .offset:         158
        .size:           2
        .value_kind:     hidden_group_size_y
      - .offset:         160
        .size:           2
        .value_kind:     hidden_group_size_z
      - .offset:         162
        .size:           2
        .value_kind:     hidden_remainder_x
      - .offset:         164
        .size:           2
        .value_kind:     hidden_remainder_y
      - .offset:         166
        .size:           2
        .value_kind:     hidden_remainder_z
      - .offset:         184
        .size:           8
        .value_kind:     hidden_global_offset_x
      - .offset:         192
        .size:           8
        .value_kind:     hidden_global_offset_y
      - .offset:         200
        .size:           8
        .value_kind:     hidden_global_offset_z
      - .offset:         208
        .size:           2
        .value_kind:     hidden_grid_dims
    .group_segment_fixed_size: 8192
    .kernarg_segment_align: 8
    .kernarg_segment_size: 400
    .language:       OpenCL C
    .language_version:
      - 2
      - 0
    .max_flat_workgroup_size: 256
    .name:           _Z39paged_attention_ll4mi_QKV_mfma16_kernelI14__hip_bfloat16S0_LN4vllm18Fp8KVCacheDataTypeE0ES0_Li16ELi128ELi256ELb0ELi9EL8MFMAType0EEvPKT_PKT0_S9_ifPKiSB_SB_iPKfiiiPfSE_PS4_PT2_iSD_SD_
    .private_segment_fixed_size: 8
    .sgpr_count:     52
    .sgpr_spill_count: 0
    .symbol:         _Z39paged_attention_ll4mi_QKV_mfma16_kernelI14__hip_bfloat16S0_LN4vllm18Fp8KVCacheDataTypeE0ES0_Li16ELi128ELi256ELb0ELi9EL8MFMAType0EEvPKT_PKT0_S9_ifPKiSB_SB_iPKfiiiPfSE_PS4_PT2_iSD_SD_.kd
    .uniform_work_group_size: 1
    .uses_dynamic_stack: false
    .vgpr_count:     96
    .vgpr_spill_count: 1
    .wavefront_size: 64
  - .agpr_count:     0
    .args:
      - .actual_access:  read_only
        .address_space:  global
        .offset:         0
        .size:           8
        .value_kind:     global_buffer
      - .actual_access:  read_only
        .address_space:  global
        .offset:         8
        .size:           8
        .value_kind:     global_buffer
      - .actual_access:  read_only
        .address_space:  global
        .offset:         16
        .size:           8
        .value_kind:     global_buffer
      - .offset:         24
        .size:           4
        .value_kind:     by_value
      - .offset:         28
        .size:           4
        .value_kind:     by_value
      - .actual_access:  read_only
        .address_space:  global
        .offset:         32
        .size:           8
        .value_kind:     global_buffer
      - .actual_access:  read_only
        .address_space:  global
        .offset:         40
        .size:           8
        .value_kind:     global_buffer
      - .actual_access:  read_only
        .address_space:  global
        .offset:         48
        .size:           8
        .value_kind:     global_buffer
      - .offset:         56
        .size:           4
        .value_kind:     by_value
      - .actual_access:  read_only
        .address_space:  global
        .offset:         64
        .size:           8
        .value_kind:     global_buffer
      - .offset:         72
        .size:           4
        .value_kind:     by_value
      - .offset:         76
        .size:           4
        .value_kind:     by_value
      - .offset:         80
        .size:           4
        .value_kind:     by_value
      - .actual_access:  write_only
        .address_space:  global
        .offset:         88
        .size:           8
        .value_kind:     global_buffer
      - .actual_access:  write_only
        .address_space:  global
        .offset:         96
        .size:           8
        .value_kind:     global_buffer
      - .actual_access:  write_only
        .address_space:  global
        .offset:         104
        .size:           8
        .value_kind:     global_buffer
      - .actual_access:  read_only
        .address_space:  global
        .offset:         112
        .size:           8
        .value_kind:     global_buffer
      - .offset:         120
        .size:           4
        .value_kind:     by_value
      - .address_space:  global
        .offset:         128
        .size:           8
        .value_kind:     global_buffer
      - .address_space:  global
        .offset:         136
        .size:           8
        .value_kind:     global_buffer
      - .offset:         144
        .size:           4
        .value_kind:     hidden_block_count_x
      - .offset:         148
        .size:           4
        .value_kind:     hidden_block_count_y
      - .offset:         152
        .size:           4
        .value_kind:     hidden_block_count_z
      - .offset:         156
        .size:           2
        .value_kind:     hidden_group_size_x
      - .offset:         158
        .size:           2
        .value_kind:     hidden_group_size_y
      - .offset:         160
        .size:           2
        .value_kind:     hidden_group_size_z
      - .offset:         162
        .size:           2
        .value_kind:     hidden_remainder_x
      - .offset:         164
        .size:           2
        .value_kind:     hidden_remainder_y
      - .offset:         166
        .size:           2
        .value_kind:     hidden_remainder_z
      - .offset:         184
        .size:           8
        .value_kind:     hidden_global_offset_x
      - .offset:         192
        .size:           8
        .value_kind:     hidden_global_offset_y
      - .offset:         200
        .size:           8
        .value_kind:     hidden_global_offset_z
      - .offset:         208
        .size:           2
        .value_kind:     hidden_grid_dims
    .group_segment_fixed_size: 8192
    .kernarg_segment_align: 8
    .kernarg_segment_size: 400
    .language:       OpenCL C
    .language_version:
      - 2
      - 0
    .max_flat_workgroup_size: 256
    .name:           _Z39paged_attention_ll4mi_QKV_mfma16_kernelI14__hip_bfloat16S0_LN4vllm18Fp8KVCacheDataTypeE0ES0_Li16ELi128ELi256ELb0ELi10EL8MFMAType0EEvPKT_PKT0_S9_ifPKiSB_SB_iPKfiiiPfSE_PS4_PT2_iSD_SD_
    .private_segment_fixed_size: 8
    .sgpr_count:     52
    .sgpr_spill_count: 0
    .symbol:         _Z39paged_attention_ll4mi_QKV_mfma16_kernelI14__hip_bfloat16S0_LN4vllm18Fp8KVCacheDataTypeE0ES0_Li16ELi128ELi256ELb0ELi10EL8MFMAType0EEvPKT_PKT0_S9_ifPKiSB_SB_iPKfiiiPfSE_PS4_PT2_iSD_SD_.kd
    .uniform_work_group_size: 1
    .uses_dynamic_stack: false
    .vgpr_count:     96
    .vgpr_spill_count: 1
    .wavefront_size: 64
  - .agpr_count:     0
    .args:
      - .actual_access:  read_only
        .address_space:  global
        .offset:         0
        .size:           8
        .value_kind:     global_buffer
      - .actual_access:  read_only
        .address_space:  global
        .offset:         8
        .size:           8
        .value_kind:     global_buffer
      - .actual_access:  read_only
        .address_space:  global
        .offset:         16
        .size:           8
        .value_kind:     global_buffer
      - .offset:         24
        .size:           4
        .value_kind:     by_value
      - .offset:         28
        .size:           4
        .value_kind:     by_value
      - .actual_access:  read_only
        .address_space:  global
        .offset:         32
        .size:           8
        .value_kind:     global_buffer
      - .actual_access:  read_only
        .address_space:  global
        .offset:         40
        .size:           8
        .value_kind:     global_buffer
      - .actual_access:  read_only
        .address_space:  global
        .offset:         48
        .size:           8
        .value_kind:     global_buffer
      - .offset:         56
        .size:           4
        .value_kind:     by_value
      - .actual_access:  read_only
        .address_space:  global
        .offset:         64
        .size:           8
        .value_kind:     global_buffer
      - .offset:         72
        .size:           4
        .value_kind:     by_value
      - .offset:         76
        .size:           4
        .value_kind:     by_value
      - .offset:         80
        .size:           4
        .value_kind:     by_value
      - .actual_access:  write_only
        .address_space:  global
        .offset:         88
        .size:           8
        .value_kind:     global_buffer
      - .actual_access:  write_only
        .address_space:  global
        .offset:         96
        .size:           8
        .value_kind:     global_buffer
      - .actual_access:  write_only
        .address_space:  global
        .offset:         104
        .size:           8
        .value_kind:     global_buffer
      - .actual_access:  read_only
        .address_space:  global
        .offset:         112
        .size:           8
        .value_kind:     global_buffer
      - .offset:         120
        .size:           4
        .value_kind:     by_value
      - .address_space:  global
        .offset:         128
        .size:           8
        .value_kind:     global_buffer
      - .address_space:  global
        .offset:         136
        .size:           8
        .value_kind:     global_buffer
      - .offset:         144
        .size:           4
        .value_kind:     hidden_block_count_x
      - .offset:         148
        .size:           4
        .value_kind:     hidden_block_count_y
      - .offset:         152
        .size:           4
        .value_kind:     hidden_block_count_z
      - .offset:         156
        .size:           2
        .value_kind:     hidden_group_size_x
      - .offset:         158
        .size:           2
        .value_kind:     hidden_group_size_y
      - .offset:         160
        .size:           2
        .value_kind:     hidden_group_size_z
      - .offset:         162
        .size:           2
        .value_kind:     hidden_remainder_x
      - .offset:         164
        .size:           2
        .value_kind:     hidden_remainder_y
      - .offset:         166
        .size:           2
        .value_kind:     hidden_remainder_z
      - .offset:         184
        .size:           8
        .value_kind:     hidden_global_offset_x
      - .offset:         192
        .size:           8
        .value_kind:     hidden_global_offset_y
      - .offset:         200
        .size:           8
        .value_kind:     hidden_global_offset_z
      - .offset:         208
        .size:           2
        .value_kind:     hidden_grid_dims
    .group_segment_fixed_size: 8192
    .kernarg_segment_align: 8
    .kernarg_segment_size: 400
    .language:       OpenCL C
    .language_version:
      - 2
      - 0
    .max_flat_workgroup_size: 256
    .name:           _Z39paged_attention_ll4mi_QKV_mfma16_kernelI14__hip_bfloat16S0_LN4vllm18Fp8KVCacheDataTypeE0ES0_Li16ELi128ELi256ELb0ELi11EL8MFMAType0EEvPKT_PKT0_S9_ifPKiSB_SB_iPKfiiiPfSE_PS4_PT2_iSD_SD_
    .private_segment_fixed_size: 8
    .sgpr_count:     52
    .sgpr_spill_count: 0
    .symbol:         _Z39paged_attention_ll4mi_QKV_mfma16_kernelI14__hip_bfloat16S0_LN4vllm18Fp8KVCacheDataTypeE0ES0_Li16ELi128ELi256ELb0ELi11EL8MFMAType0EEvPKT_PKT0_S9_ifPKiSB_SB_iPKfiiiPfSE_PS4_PT2_iSD_SD_.kd
    .uniform_work_group_size: 1
    .uses_dynamic_stack: false
    .vgpr_count:     96
    .vgpr_spill_count: 1
    .wavefront_size: 64
  - .agpr_count:     0
    .args:
      - .actual_access:  read_only
        .address_space:  global
        .offset:         0
        .size:           8
        .value_kind:     global_buffer
      - .actual_access:  read_only
        .address_space:  global
        .offset:         8
        .size:           8
        .value_kind:     global_buffer
      - .actual_access:  read_only
        .address_space:  global
        .offset:         16
        .size:           8
        .value_kind:     global_buffer
      - .offset:         24
        .size:           4
        .value_kind:     by_value
      - .offset:         28
        .size:           4
        .value_kind:     by_value
      - .actual_access:  read_only
        .address_space:  global
        .offset:         32
        .size:           8
        .value_kind:     global_buffer
      - .actual_access:  read_only
        .address_space:  global
        .offset:         40
        .size:           8
        .value_kind:     global_buffer
      - .actual_access:  read_only
        .address_space:  global
        .offset:         48
        .size:           8
        .value_kind:     global_buffer
      - .offset:         56
        .size:           4
        .value_kind:     by_value
      - .actual_access:  read_only
        .address_space:  global
        .offset:         64
        .size:           8
        .value_kind:     global_buffer
      - .offset:         72
        .size:           4
        .value_kind:     by_value
      - .offset:         76
        .size:           4
        .value_kind:     by_value
      - .offset:         80
        .size:           4
        .value_kind:     by_value
      - .actual_access:  write_only
        .address_space:  global
        .offset:         88
        .size:           8
        .value_kind:     global_buffer
      - .actual_access:  write_only
        .address_space:  global
        .offset:         96
        .size:           8
        .value_kind:     global_buffer
      - .actual_access:  write_only
        .address_space:  global
        .offset:         104
        .size:           8
        .value_kind:     global_buffer
      - .actual_access:  read_only
        .address_space:  global
        .offset:         112
        .size:           8
        .value_kind:     global_buffer
      - .offset:         120
        .size:           4
        .value_kind:     by_value
      - .address_space:  global
        .offset:         128
        .size:           8
        .value_kind:     global_buffer
      - .address_space:  global
        .offset:         136
        .size:           8
        .value_kind:     global_buffer
      - .offset:         144
        .size:           4
        .value_kind:     hidden_block_count_x
      - .offset:         148
        .size:           4
        .value_kind:     hidden_block_count_y
      - .offset:         152
        .size:           4
        .value_kind:     hidden_block_count_z
      - .offset:         156
        .size:           2
        .value_kind:     hidden_group_size_x
      - .offset:         158
        .size:           2
        .value_kind:     hidden_group_size_y
      - .offset:         160
        .size:           2
        .value_kind:     hidden_group_size_z
      - .offset:         162
        .size:           2
        .value_kind:     hidden_remainder_x
      - .offset:         164
        .size:           2
        .value_kind:     hidden_remainder_y
      - .offset:         166
        .size:           2
        .value_kind:     hidden_remainder_z
      - .offset:         184
        .size:           8
        .value_kind:     hidden_global_offset_x
      - .offset:         192
        .size:           8
        .value_kind:     hidden_global_offset_y
      - .offset:         200
        .size:           8
        .value_kind:     hidden_global_offset_z
      - .offset:         208
        .size:           2
        .value_kind:     hidden_grid_dims
    .group_segment_fixed_size: 8192
    .kernarg_segment_align: 8
    .kernarg_segment_size: 400
    .language:       OpenCL C
    .language_version:
      - 2
      - 0
    .max_flat_workgroup_size: 256
    .name:           _Z39paged_attention_ll4mi_QKV_mfma16_kernelI14__hip_bfloat16S0_LN4vllm18Fp8KVCacheDataTypeE0ES0_Li16ELi128ELi256ELb0ELi12EL8MFMAType0EEvPKT_PKT0_S9_ifPKiSB_SB_iPKfiiiPfSE_PS4_PT2_iSD_SD_
    .private_segment_fixed_size: 8
    .sgpr_count:     52
    .sgpr_spill_count: 0
    .symbol:         _Z39paged_attention_ll4mi_QKV_mfma16_kernelI14__hip_bfloat16S0_LN4vllm18Fp8KVCacheDataTypeE0ES0_Li16ELi128ELi256ELb0ELi12EL8MFMAType0EEvPKT_PKT0_S9_ifPKiSB_SB_iPKfiiiPfSE_PS4_PT2_iSD_SD_.kd
    .uniform_work_group_size: 1
    .uses_dynamic_stack: false
    .vgpr_count:     96
    .vgpr_spill_count: 1
    .wavefront_size: 64
  - .agpr_count:     0
    .args:
      - .actual_access:  read_only
        .address_space:  global
        .offset:         0
        .size:           8
        .value_kind:     global_buffer
      - .actual_access:  read_only
        .address_space:  global
        .offset:         8
        .size:           8
        .value_kind:     global_buffer
      - .actual_access:  read_only
        .address_space:  global
        .offset:         16
        .size:           8
        .value_kind:     global_buffer
      - .offset:         24
        .size:           4
        .value_kind:     by_value
      - .offset:         28
        .size:           4
        .value_kind:     by_value
      - .actual_access:  read_only
        .address_space:  global
        .offset:         32
        .size:           8
        .value_kind:     global_buffer
      - .actual_access:  read_only
        .address_space:  global
        .offset:         40
        .size:           8
        .value_kind:     global_buffer
      - .actual_access:  read_only
        .address_space:  global
        .offset:         48
        .size:           8
        .value_kind:     global_buffer
      - .offset:         56
        .size:           4
        .value_kind:     by_value
      - .actual_access:  read_only
        .address_space:  global
        .offset:         64
        .size:           8
        .value_kind:     global_buffer
      - .offset:         72
        .size:           4
        .value_kind:     by_value
      - .offset:         76
        .size:           4
        .value_kind:     by_value
      - .offset:         80
        .size:           4
        .value_kind:     by_value
      - .actual_access:  write_only
        .address_space:  global
        .offset:         88
        .size:           8
        .value_kind:     global_buffer
      - .actual_access:  write_only
        .address_space:  global
        .offset:         96
        .size:           8
        .value_kind:     global_buffer
      - .actual_access:  write_only
        .address_space:  global
        .offset:         104
        .size:           8
        .value_kind:     global_buffer
      - .actual_access:  read_only
        .address_space:  global
        .offset:         112
        .size:           8
        .value_kind:     global_buffer
      - .offset:         120
        .size:           4
        .value_kind:     by_value
      - .address_space:  global
        .offset:         128
        .size:           8
        .value_kind:     global_buffer
      - .address_space:  global
        .offset:         136
        .size:           8
        .value_kind:     global_buffer
      - .offset:         144
        .size:           4
        .value_kind:     hidden_block_count_x
      - .offset:         148
        .size:           4
        .value_kind:     hidden_block_count_y
      - .offset:         152
        .size:           4
        .value_kind:     hidden_block_count_z
      - .offset:         156
        .size:           2
        .value_kind:     hidden_group_size_x
      - .offset:         158
        .size:           2
        .value_kind:     hidden_group_size_y
      - .offset:         160
        .size:           2
        .value_kind:     hidden_group_size_z
      - .offset:         162
        .size:           2
        .value_kind:     hidden_remainder_x
      - .offset:         164
        .size:           2
        .value_kind:     hidden_remainder_y
      - .offset:         166
        .size:           2
        .value_kind:     hidden_remainder_z
      - .offset:         184
        .size:           8
        .value_kind:     hidden_global_offset_x
      - .offset:         192
        .size:           8
        .value_kind:     hidden_global_offset_y
      - .offset:         200
        .size:           8
        .value_kind:     hidden_global_offset_z
      - .offset:         208
        .size:           2
        .value_kind:     hidden_grid_dims
    .group_segment_fixed_size: 8192
    .kernarg_segment_align: 8
    .kernarg_segment_size: 400
    .language:       OpenCL C
    .language_version:
      - 2
      - 0
    .max_flat_workgroup_size: 256
    .name:           _Z39paged_attention_ll4mi_QKV_mfma16_kernelI14__hip_bfloat16S0_LN4vllm18Fp8KVCacheDataTypeE0ES0_Li16ELi128ELi256ELb0ELi13EL8MFMAType0EEvPKT_PKT0_S9_ifPKiSB_SB_iPKfiiiPfSE_PS4_PT2_iSD_SD_
    .private_segment_fixed_size: 8
    .sgpr_count:     52
    .sgpr_spill_count: 0
    .symbol:         _Z39paged_attention_ll4mi_QKV_mfma16_kernelI14__hip_bfloat16S0_LN4vllm18Fp8KVCacheDataTypeE0ES0_Li16ELi128ELi256ELb0ELi13EL8MFMAType0EEvPKT_PKT0_S9_ifPKiSB_SB_iPKfiiiPfSE_PS4_PT2_iSD_SD_.kd
    .uniform_work_group_size: 1
    .uses_dynamic_stack: false
    .vgpr_count:     96
    .vgpr_spill_count: 1
    .wavefront_size: 64
  - .agpr_count:     0
    .args:
      - .actual_access:  read_only
        .address_space:  global
        .offset:         0
        .size:           8
        .value_kind:     global_buffer
      - .actual_access:  read_only
        .address_space:  global
        .offset:         8
        .size:           8
        .value_kind:     global_buffer
      - .actual_access:  read_only
        .address_space:  global
        .offset:         16
        .size:           8
        .value_kind:     global_buffer
      - .offset:         24
        .size:           4
        .value_kind:     by_value
      - .offset:         28
        .size:           4
        .value_kind:     by_value
      - .actual_access:  read_only
        .address_space:  global
        .offset:         32
        .size:           8
        .value_kind:     global_buffer
      - .actual_access:  read_only
        .address_space:  global
        .offset:         40
        .size:           8
        .value_kind:     global_buffer
      - .actual_access:  read_only
        .address_space:  global
        .offset:         48
        .size:           8
        .value_kind:     global_buffer
      - .offset:         56
        .size:           4
        .value_kind:     by_value
      - .actual_access:  read_only
        .address_space:  global
        .offset:         64
        .size:           8
        .value_kind:     global_buffer
      - .offset:         72
        .size:           4
        .value_kind:     by_value
      - .offset:         76
        .size:           4
        .value_kind:     by_value
      - .offset:         80
        .size:           4
        .value_kind:     by_value
      - .actual_access:  write_only
        .address_space:  global
        .offset:         88
        .size:           8
        .value_kind:     global_buffer
      - .actual_access:  write_only
        .address_space:  global
        .offset:         96
        .size:           8
        .value_kind:     global_buffer
      - .actual_access:  write_only
        .address_space:  global
        .offset:         104
        .size:           8
        .value_kind:     global_buffer
      - .actual_access:  read_only
        .address_space:  global
        .offset:         112
        .size:           8
        .value_kind:     global_buffer
      - .offset:         120
        .size:           4
        .value_kind:     by_value
      - .address_space:  global
        .offset:         128
        .size:           8
        .value_kind:     global_buffer
      - .address_space:  global
        .offset:         136
        .size:           8
        .value_kind:     global_buffer
      - .offset:         144
        .size:           4
        .value_kind:     hidden_block_count_x
      - .offset:         148
        .size:           4
        .value_kind:     hidden_block_count_y
      - .offset:         152
        .size:           4
        .value_kind:     hidden_block_count_z
      - .offset:         156
        .size:           2
        .value_kind:     hidden_group_size_x
      - .offset:         158
        .size:           2
        .value_kind:     hidden_group_size_y
      - .offset:         160
        .size:           2
        .value_kind:     hidden_group_size_z
      - .offset:         162
        .size:           2
        .value_kind:     hidden_remainder_x
      - .offset:         164
        .size:           2
        .value_kind:     hidden_remainder_y
      - .offset:         166
        .size:           2
        .value_kind:     hidden_remainder_z
      - .offset:         184
        .size:           8
        .value_kind:     hidden_global_offset_x
      - .offset:         192
        .size:           8
        .value_kind:     hidden_global_offset_y
      - .offset:         200
        .size:           8
        .value_kind:     hidden_global_offset_z
      - .offset:         208
        .size:           2
        .value_kind:     hidden_grid_dims
    .group_segment_fixed_size: 8192
    .kernarg_segment_align: 8
    .kernarg_segment_size: 400
    .language:       OpenCL C
    .language_version:
      - 2
      - 0
    .max_flat_workgroup_size: 256
    .name:           _Z39paged_attention_ll4mi_QKV_mfma16_kernelI14__hip_bfloat16S0_LN4vllm18Fp8KVCacheDataTypeE0ES0_Li16ELi128ELi256ELb0ELi14EL8MFMAType0EEvPKT_PKT0_S9_ifPKiSB_SB_iPKfiiiPfSE_PS4_PT2_iSD_SD_
    .private_segment_fixed_size: 8
    .sgpr_count:     52
    .sgpr_spill_count: 0
    .symbol:         _Z39paged_attention_ll4mi_QKV_mfma16_kernelI14__hip_bfloat16S0_LN4vllm18Fp8KVCacheDataTypeE0ES0_Li16ELi128ELi256ELb0ELi14EL8MFMAType0EEvPKT_PKT0_S9_ifPKiSB_SB_iPKfiiiPfSE_PS4_PT2_iSD_SD_.kd
    .uniform_work_group_size: 1
    .uses_dynamic_stack: false
    .vgpr_count:     96
    .vgpr_spill_count: 1
    .wavefront_size: 64
  - .agpr_count:     0
    .args:
      - .actual_access:  read_only
        .address_space:  global
        .offset:         0
        .size:           8
        .value_kind:     global_buffer
      - .actual_access:  read_only
        .address_space:  global
        .offset:         8
        .size:           8
        .value_kind:     global_buffer
      - .actual_access:  read_only
        .address_space:  global
        .offset:         16
        .size:           8
        .value_kind:     global_buffer
      - .offset:         24
        .size:           4
        .value_kind:     by_value
      - .offset:         28
        .size:           4
        .value_kind:     by_value
      - .actual_access:  read_only
        .address_space:  global
        .offset:         32
        .size:           8
        .value_kind:     global_buffer
      - .actual_access:  read_only
        .address_space:  global
        .offset:         40
        .size:           8
        .value_kind:     global_buffer
      - .actual_access:  read_only
        .address_space:  global
        .offset:         48
        .size:           8
        .value_kind:     global_buffer
      - .offset:         56
        .size:           4
        .value_kind:     by_value
      - .actual_access:  read_only
        .address_space:  global
        .offset:         64
        .size:           8
        .value_kind:     global_buffer
      - .offset:         72
        .size:           4
        .value_kind:     by_value
      - .offset:         76
        .size:           4
        .value_kind:     by_value
      - .offset:         80
        .size:           4
        .value_kind:     by_value
      - .actual_access:  write_only
        .address_space:  global
        .offset:         88
        .size:           8
        .value_kind:     global_buffer
      - .actual_access:  write_only
        .address_space:  global
        .offset:         96
        .size:           8
        .value_kind:     global_buffer
      - .actual_access:  write_only
        .address_space:  global
        .offset:         104
        .size:           8
        .value_kind:     global_buffer
      - .actual_access:  read_only
        .address_space:  global
        .offset:         112
        .size:           8
        .value_kind:     global_buffer
      - .offset:         120
        .size:           4
        .value_kind:     by_value
      - .address_space:  global
        .offset:         128
        .size:           8
        .value_kind:     global_buffer
      - .address_space:  global
        .offset:         136
        .size:           8
        .value_kind:     global_buffer
      - .offset:         144
        .size:           4
        .value_kind:     hidden_block_count_x
      - .offset:         148
        .size:           4
        .value_kind:     hidden_block_count_y
      - .offset:         152
        .size:           4
        .value_kind:     hidden_block_count_z
      - .offset:         156
        .size:           2
        .value_kind:     hidden_group_size_x
      - .offset:         158
        .size:           2
        .value_kind:     hidden_group_size_y
      - .offset:         160
        .size:           2
        .value_kind:     hidden_group_size_z
      - .offset:         162
        .size:           2
        .value_kind:     hidden_remainder_x
      - .offset:         164
        .size:           2
        .value_kind:     hidden_remainder_y
      - .offset:         166
        .size:           2
        .value_kind:     hidden_remainder_z
      - .offset:         184
        .size:           8
        .value_kind:     hidden_global_offset_x
      - .offset:         192
        .size:           8
        .value_kind:     hidden_global_offset_y
      - .offset:         200
        .size:           8
        .value_kind:     hidden_global_offset_z
      - .offset:         208
        .size:           2
        .value_kind:     hidden_grid_dims
    .group_segment_fixed_size: 8192
    .kernarg_segment_align: 8
    .kernarg_segment_size: 400
    .language:       OpenCL C
    .language_version:
      - 2
      - 0
    .max_flat_workgroup_size: 256
    .name:           _Z39paged_attention_ll4mi_QKV_mfma16_kernelI14__hip_bfloat16S0_LN4vllm18Fp8KVCacheDataTypeE0ES0_Li16ELi128ELi256ELb0ELi15EL8MFMAType0EEvPKT_PKT0_S9_ifPKiSB_SB_iPKfiiiPfSE_PS4_PT2_iSD_SD_
    .private_segment_fixed_size: 8
    .sgpr_count:     52
    .sgpr_spill_count: 0
    .symbol:         _Z39paged_attention_ll4mi_QKV_mfma16_kernelI14__hip_bfloat16S0_LN4vllm18Fp8KVCacheDataTypeE0ES0_Li16ELi128ELi256ELb0ELi15EL8MFMAType0EEvPKT_PKT0_S9_ifPKiSB_SB_iPKfiiiPfSE_PS4_PT2_iSD_SD_.kd
    .uniform_work_group_size: 1
    .uses_dynamic_stack: false
    .vgpr_count:     96
    .vgpr_spill_count: 1
    .wavefront_size: 64
  - .agpr_count:     0
    .args:
      - .actual_access:  read_only
        .address_space:  global
        .offset:         0
        .size:           8
        .value_kind:     global_buffer
      - .actual_access:  read_only
        .address_space:  global
        .offset:         8
        .size:           8
        .value_kind:     global_buffer
      - .actual_access:  read_only
        .address_space:  global
        .offset:         16
        .size:           8
        .value_kind:     global_buffer
      - .offset:         24
        .size:           4
        .value_kind:     by_value
      - .offset:         28
        .size:           4
        .value_kind:     by_value
      - .actual_access:  read_only
        .address_space:  global
        .offset:         32
        .size:           8
        .value_kind:     global_buffer
      - .actual_access:  read_only
        .address_space:  global
        .offset:         40
        .size:           8
        .value_kind:     global_buffer
      - .actual_access:  read_only
        .address_space:  global
        .offset:         48
        .size:           8
        .value_kind:     global_buffer
      - .offset:         56
        .size:           4
        .value_kind:     by_value
      - .actual_access:  read_only
        .address_space:  global
        .offset:         64
        .size:           8
        .value_kind:     global_buffer
      - .offset:         72
        .size:           4
        .value_kind:     by_value
      - .offset:         76
        .size:           4
        .value_kind:     by_value
      - .offset:         80
        .size:           4
        .value_kind:     by_value
      - .actual_access:  write_only
        .address_space:  global
        .offset:         88
        .size:           8
        .value_kind:     global_buffer
      - .actual_access:  write_only
        .address_space:  global
        .offset:         96
        .size:           8
        .value_kind:     global_buffer
      - .actual_access:  write_only
        .address_space:  global
        .offset:         104
        .size:           8
        .value_kind:     global_buffer
      - .actual_access:  read_only
        .address_space:  global
        .offset:         112
        .size:           8
        .value_kind:     global_buffer
      - .offset:         120
        .size:           4
        .value_kind:     by_value
      - .address_space:  global
        .offset:         128
        .size:           8
        .value_kind:     global_buffer
      - .address_space:  global
        .offset:         136
        .size:           8
        .value_kind:     global_buffer
      - .offset:         144
        .size:           4
        .value_kind:     hidden_block_count_x
      - .offset:         148
        .size:           4
        .value_kind:     hidden_block_count_y
      - .offset:         152
        .size:           4
        .value_kind:     hidden_block_count_z
      - .offset:         156
        .size:           2
        .value_kind:     hidden_group_size_x
      - .offset:         158
        .size:           2
        .value_kind:     hidden_group_size_y
      - .offset:         160
        .size:           2
        .value_kind:     hidden_group_size_z
      - .offset:         162
        .size:           2
        .value_kind:     hidden_remainder_x
      - .offset:         164
        .size:           2
        .value_kind:     hidden_remainder_y
      - .offset:         166
        .size:           2
        .value_kind:     hidden_remainder_z
      - .offset:         184
        .size:           8
        .value_kind:     hidden_global_offset_x
      - .offset:         192
        .size:           8
        .value_kind:     hidden_global_offset_y
      - .offset:         200
        .size:           8
        .value_kind:     hidden_global_offset_z
      - .offset:         208
        .size:           2
        .value_kind:     hidden_grid_dims
    .group_segment_fixed_size: 8192
    .kernarg_segment_align: 8
    .kernarg_segment_size: 400
    .language:       OpenCL C
    .language_version:
      - 2
      - 0
    .max_flat_workgroup_size: 256
    .name:           _Z39paged_attention_ll4mi_QKV_mfma16_kernelI14__hip_bfloat16S0_LN4vllm18Fp8KVCacheDataTypeE0ES0_Li16ELi128ELi256ELb0ELi16EL8MFMAType0EEvPKT_PKT0_S9_ifPKiSB_SB_iPKfiiiPfSE_PS4_PT2_iSD_SD_
    .private_segment_fixed_size: 12
    .sgpr_count:     52
    .sgpr_spill_count: 0
    .symbol:         _Z39paged_attention_ll4mi_QKV_mfma16_kernelI14__hip_bfloat16S0_LN4vllm18Fp8KVCacheDataTypeE0ES0_Li16ELi128ELi256ELb0ELi16EL8MFMAType0EEvPKT_PKT0_S9_ifPKiSB_SB_iPKfiiiPfSE_PS4_PT2_iSD_SD_.kd
    .uniform_work_group_size: 1
    .uses_dynamic_stack: false
    .vgpr_count:     96
    .vgpr_spill_count: 2
    .wavefront_size: 64
  - .agpr_count:     0
    .args:
      - .actual_access:  read_only
        .address_space:  global
        .offset:         0
        .size:           8
        .value_kind:     global_buffer
      - .actual_access:  read_only
        .address_space:  global
        .offset:         8
        .size:           8
        .value_kind:     global_buffer
      - .actual_access:  read_only
        .address_space:  global
        .offset:         16
        .size:           8
        .value_kind:     global_buffer
      - .offset:         24
        .size:           4
        .value_kind:     by_value
      - .offset:         28
        .size:           4
        .value_kind:     by_value
      - .actual_access:  read_only
        .address_space:  global
        .offset:         32
        .size:           8
        .value_kind:     global_buffer
      - .actual_access:  read_only
        .address_space:  global
        .offset:         40
        .size:           8
        .value_kind:     global_buffer
      - .actual_access:  read_only
        .address_space:  global
        .offset:         48
        .size:           8
        .value_kind:     global_buffer
      - .offset:         56
        .size:           4
        .value_kind:     by_value
      - .actual_access:  read_only
        .address_space:  global
        .offset:         64
        .size:           8
        .value_kind:     global_buffer
      - .offset:         72
        .size:           4
        .value_kind:     by_value
      - .offset:         76
        .size:           4
        .value_kind:     by_value
      - .offset:         80
        .size:           4
        .value_kind:     by_value
      - .actual_access:  write_only
        .address_space:  global
        .offset:         88
        .size:           8
        .value_kind:     global_buffer
      - .actual_access:  write_only
        .address_space:  global
        .offset:         96
        .size:           8
        .value_kind:     global_buffer
      - .actual_access:  write_only
        .address_space:  global
        .offset:         104
        .size:           8
        .value_kind:     global_buffer
      - .actual_access:  read_only
        .address_space:  global
        .offset:         112
        .size:           8
        .value_kind:     global_buffer
      - .offset:         120
        .size:           4
        .value_kind:     by_value
      - .address_space:  global
        .offset:         128
        .size:           8
        .value_kind:     global_buffer
      - .address_space:  global
        .offset:         136
        .size:           8
        .value_kind:     global_buffer
      - .offset:         144
        .size:           4
        .value_kind:     hidden_block_count_x
      - .offset:         148
        .size:           4
        .value_kind:     hidden_block_count_y
      - .offset:         152
        .size:           4
        .value_kind:     hidden_block_count_z
      - .offset:         156
        .size:           2
        .value_kind:     hidden_group_size_x
      - .offset:         158
        .size:           2
        .value_kind:     hidden_group_size_y
      - .offset:         160
        .size:           2
        .value_kind:     hidden_group_size_z
      - .offset:         162
        .size:           2
        .value_kind:     hidden_remainder_x
      - .offset:         164
        .size:           2
        .value_kind:     hidden_remainder_y
      - .offset:         166
        .size:           2
        .value_kind:     hidden_remainder_z
      - .offset:         184
        .size:           8
        .value_kind:     hidden_global_offset_x
      - .offset:         192
        .size:           8
        .value_kind:     hidden_global_offset_y
      - .offset:         200
        .size:           8
        .value_kind:     hidden_global_offset_z
      - .offset:         208
        .size:           2
        .value_kind:     hidden_grid_dims
    .group_segment_fixed_size: 8192
    .kernarg_segment_align: 8
    .kernarg_segment_size: 400
    .language:       OpenCL C
    .language_version:
      - 2
      - 0
    .max_flat_workgroup_size: 256
    .name:           _Z39paged_attention_ll4mi_QKV_mfma16_kernelI14__hip_bfloat16S0_LN4vllm18Fp8KVCacheDataTypeE0ES0_Li16ELi128ELi256ELb0ELi1EL8MFMAType0EEvPKT_PKT0_S9_ifPKiSB_SB_iPKfiiiPfSE_PS4_PT2_iSD_SD_
    .private_segment_fixed_size: 8
    .sgpr_count:     52
    .sgpr_spill_count: 0
    .symbol:         _Z39paged_attention_ll4mi_QKV_mfma16_kernelI14__hip_bfloat16S0_LN4vllm18Fp8KVCacheDataTypeE0ES0_Li16ELi128ELi256ELb0ELi1EL8MFMAType0EEvPKT_PKT0_S9_ifPKiSB_SB_iPKfiiiPfSE_PS4_PT2_iSD_SD_.kd
    .uniform_work_group_size: 1
    .uses_dynamic_stack: false
    .vgpr_count:     96
    .vgpr_spill_count: 1
    .wavefront_size: 64
  - .agpr_count:     0
    .args:
      - .actual_access:  read_only
        .address_space:  global
        .offset:         0
        .size:           8
        .value_kind:     global_buffer
      - .actual_access:  read_only
        .address_space:  global
        .offset:         8
        .size:           8
        .value_kind:     global_buffer
      - .actual_access:  read_only
        .address_space:  global
        .offset:         16
        .size:           8
        .value_kind:     global_buffer
      - .offset:         24
        .size:           4
        .value_kind:     by_value
      - .offset:         28
        .size:           4
        .value_kind:     by_value
      - .actual_access:  read_only
        .address_space:  global
        .offset:         32
        .size:           8
        .value_kind:     global_buffer
      - .actual_access:  read_only
        .address_space:  global
        .offset:         40
        .size:           8
        .value_kind:     global_buffer
      - .actual_access:  read_only
        .address_space:  global
        .offset:         48
        .size:           8
        .value_kind:     global_buffer
      - .offset:         56
        .size:           4
        .value_kind:     by_value
      - .actual_access:  read_only
        .address_space:  global
        .offset:         64
        .size:           8
        .value_kind:     global_buffer
      - .offset:         72
        .size:           4
        .value_kind:     by_value
      - .offset:         76
        .size:           4
        .value_kind:     by_value
      - .offset:         80
        .size:           4
        .value_kind:     by_value
      - .actual_access:  write_only
        .address_space:  global
        .offset:         88
        .size:           8
        .value_kind:     global_buffer
      - .actual_access:  write_only
        .address_space:  global
        .offset:         96
        .size:           8
        .value_kind:     global_buffer
      - .actual_access:  write_only
        .address_space:  global
        .offset:         104
        .size:           8
        .value_kind:     global_buffer
      - .actual_access:  read_only
        .address_space:  global
        .offset:         112
        .size:           8
        .value_kind:     global_buffer
      - .offset:         120
        .size:           4
        .value_kind:     by_value
      - .address_space:  global
        .offset:         128
        .size:           8
        .value_kind:     global_buffer
      - .address_space:  global
        .offset:         136
        .size:           8
        .value_kind:     global_buffer
      - .offset:         144
        .size:           4
        .value_kind:     hidden_block_count_x
      - .offset:         148
        .size:           4
        .value_kind:     hidden_block_count_y
      - .offset:         152
        .size:           4
        .value_kind:     hidden_block_count_z
      - .offset:         156
        .size:           2
        .value_kind:     hidden_group_size_x
      - .offset:         158
        .size:           2
        .value_kind:     hidden_group_size_y
      - .offset:         160
        .size:           2
        .value_kind:     hidden_group_size_z
      - .offset:         162
        .size:           2
        .value_kind:     hidden_remainder_x
      - .offset:         164
        .size:           2
        .value_kind:     hidden_remainder_y
      - .offset:         166
        .size:           2
        .value_kind:     hidden_remainder_z
      - .offset:         184
        .size:           8
        .value_kind:     hidden_global_offset_x
      - .offset:         192
        .size:           8
        .value_kind:     hidden_global_offset_y
      - .offset:         200
        .size:           8
        .value_kind:     hidden_global_offset_z
      - .offset:         208
        .size:           2
        .value_kind:     hidden_grid_dims
    .group_segment_fixed_size: 8192
    .kernarg_segment_align: 8
    .kernarg_segment_size: 400
    .language:       OpenCL C
    .language_version:
      - 2
      - 0
    .max_flat_workgroup_size: 256
    .name:           _Z39paged_attention_ll4mi_QKV_mfma16_kernelI14__hip_bfloat16S0_LN4vllm18Fp8KVCacheDataTypeE0ES0_Li16ELi128ELi256ELb0ELi2EL8MFMAType0EEvPKT_PKT0_S9_ifPKiSB_SB_iPKfiiiPfSE_PS4_PT2_iSD_SD_
    .private_segment_fixed_size: 8
    .sgpr_count:     52
    .sgpr_spill_count: 0
    .symbol:         _Z39paged_attention_ll4mi_QKV_mfma16_kernelI14__hip_bfloat16S0_LN4vllm18Fp8KVCacheDataTypeE0ES0_Li16ELi128ELi256ELb0ELi2EL8MFMAType0EEvPKT_PKT0_S9_ifPKiSB_SB_iPKfiiiPfSE_PS4_PT2_iSD_SD_.kd
    .uniform_work_group_size: 1
    .uses_dynamic_stack: false
    .vgpr_count:     96
    .vgpr_spill_count: 1
    .wavefront_size: 64
  - .agpr_count:     0
    .args:
      - .actual_access:  read_only
        .address_space:  global
        .offset:         0
        .size:           8
        .value_kind:     global_buffer
      - .actual_access:  read_only
        .address_space:  global
        .offset:         8
        .size:           8
        .value_kind:     global_buffer
      - .actual_access:  read_only
        .address_space:  global
        .offset:         16
        .size:           8
        .value_kind:     global_buffer
      - .offset:         24
        .size:           4
        .value_kind:     by_value
      - .offset:         28
        .size:           4
        .value_kind:     by_value
      - .actual_access:  read_only
        .address_space:  global
        .offset:         32
        .size:           8
        .value_kind:     global_buffer
      - .actual_access:  read_only
        .address_space:  global
        .offset:         40
        .size:           8
        .value_kind:     global_buffer
      - .actual_access:  read_only
        .address_space:  global
        .offset:         48
        .size:           8
        .value_kind:     global_buffer
      - .offset:         56
        .size:           4
        .value_kind:     by_value
      - .actual_access:  read_only
        .address_space:  global
        .offset:         64
        .size:           8
        .value_kind:     global_buffer
      - .offset:         72
        .size:           4
        .value_kind:     by_value
      - .offset:         76
        .size:           4
        .value_kind:     by_value
      - .offset:         80
        .size:           4
        .value_kind:     by_value
      - .actual_access:  write_only
        .address_space:  global
        .offset:         88
        .size:           8
        .value_kind:     global_buffer
      - .actual_access:  write_only
        .address_space:  global
        .offset:         96
        .size:           8
        .value_kind:     global_buffer
      - .actual_access:  write_only
        .address_space:  global
        .offset:         104
        .size:           8
        .value_kind:     global_buffer
      - .actual_access:  read_only
        .address_space:  global
        .offset:         112
        .size:           8
        .value_kind:     global_buffer
      - .offset:         120
        .size:           4
        .value_kind:     by_value
      - .address_space:  global
        .offset:         128
        .size:           8
        .value_kind:     global_buffer
      - .address_space:  global
        .offset:         136
        .size:           8
        .value_kind:     global_buffer
      - .offset:         144
        .size:           4
        .value_kind:     hidden_block_count_x
      - .offset:         148
        .size:           4
        .value_kind:     hidden_block_count_y
      - .offset:         152
        .size:           4
        .value_kind:     hidden_block_count_z
      - .offset:         156
        .size:           2
        .value_kind:     hidden_group_size_x
      - .offset:         158
        .size:           2
        .value_kind:     hidden_group_size_y
      - .offset:         160
        .size:           2
        .value_kind:     hidden_group_size_z
      - .offset:         162
        .size:           2
        .value_kind:     hidden_remainder_x
      - .offset:         164
        .size:           2
        .value_kind:     hidden_remainder_y
      - .offset:         166
        .size:           2
        .value_kind:     hidden_remainder_z
      - .offset:         184
        .size:           8
        .value_kind:     hidden_global_offset_x
      - .offset:         192
        .size:           8
        .value_kind:     hidden_global_offset_y
      - .offset:         200
        .size:           8
        .value_kind:     hidden_global_offset_z
      - .offset:         208
        .size:           2
        .value_kind:     hidden_grid_dims
    .group_segment_fixed_size: 8192
    .kernarg_segment_align: 8
    .kernarg_segment_size: 400
    .language:       OpenCL C
    .language_version:
      - 2
      - 0
    .max_flat_workgroup_size: 256
    .name:           _Z39paged_attention_ll4mi_QKV_mfma16_kernelI14__hip_bfloat16S0_LN4vllm18Fp8KVCacheDataTypeE0ES0_Li16ELi128ELi256ELb0ELi3EL8MFMAType0EEvPKT_PKT0_S9_ifPKiSB_SB_iPKfiiiPfSE_PS4_PT2_iSD_SD_
    .private_segment_fixed_size: 12
    .sgpr_count:     52
    .sgpr_spill_count: 0
    .symbol:         _Z39paged_attention_ll4mi_QKV_mfma16_kernelI14__hip_bfloat16S0_LN4vllm18Fp8KVCacheDataTypeE0ES0_Li16ELi128ELi256ELb0ELi3EL8MFMAType0EEvPKT_PKT0_S9_ifPKiSB_SB_iPKfiiiPfSE_PS4_PT2_iSD_SD_.kd
    .uniform_work_group_size: 1
    .uses_dynamic_stack: false
    .vgpr_count:     96
    .vgpr_spill_count: 2
    .wavefront_size: 64
  - .agpr_count:     0
    .args:
      - .actual_access:  read_only
        .address_space:  global
        .offset:         0
        .size:           8
        .value_kind:     global_buffer
      - .actual_access:  read_only
        .address_space:  global
        .offset:         8
        .size:           8
        .value_kind:     global_buffer
      - .actual_access:  read_only
        .address_space:  global
        .offset:         16
        .size:           8
        .value_kind:     global_buffer
      - .offset:         24
        .size:           4
        .value_kind:     by_value
      - .offset:         28
        .size:           4
        .value_kind:     by_value
      - .actual_access:  read_only
        .address_space:  global
        .offset:         32
        .size:           8
        .value_kind:     global_buffer
      - .actual_access:  read_only
        .address_space:  global
        .offset:         40
        .size:           8
        .value_kind:     global_buffer
      - .actual_access:  read_only
        .address_space:  global
        .offset:         48
        .size:           8
        .value_kind:     global_buffer
      - .offset:         56
        .size:           4
        .value_kind:     by_value
      - .actual_access:  read_only
        .address_space:  global
        .offset:         64
        .size:           8
        .value_kind:     global_buffer
      - .offset:         72
        .size:           4
        .value_kind:     by_value
      - .offset:         76
        .size:           4
        .value_kind:     by_value
      - .offset:         80
        .size:           4
        .value_kind:     by_value
      - .actual_access:  write_only
        .address_space:  global
        .offset:         88
        .size:           8
        .value_kind:     global_buffer
      - .actual_access:  write_only
        .address_space:  global
        .offset:         96
        .size:           8
        .value_kind:     global_buffer
      - .actual_access:  write_only
        .address_space:  global
        .offset:         104
        .size:           8
        .value_kind:     global_buffer
      - .actual_access:  read_only
        .address_space:  global
        .offset:         112
        .size:           8
        .value_kind:     global_buffer
      - .offset:         120
        .size:           4
        .value_kind:     by_value
      - .address_space:  global
        .offset:         128
        .size:           8
        .value_kind:     global_buffer
      - .address_space:  global
        .offset:         136
        .size:           8
        .value_kind:     global_buffer
      - .offset:         144
        .size:           4
        .value_kind:     hidden_block_count_x
      - .offset:         148
        .size:           4
        .value_kind:     hidden_block_count_y
      - .offset:         152
        .size:           4
        .value_kind:     hidden_block_count_z
      - .offset:         156
        .size:           2
        .value_kind:     hidden_group_size_x
      - .offset:         158
        .size:           2
        .value_kind:     hidden_group_size_y
      - .offset:         160
        .size:           2
        .value_kind:     hidden_group_size_z
      - .offset:         162
        .size:           2
        .value_kind:     hidden_remainder_x
      - .offset:         164
        .size:           2
        .value_kind:     hidden_remainder_y
      - .offset:         166
        .size:           2
        .value_kind:     hidden_remainder_z
      - .offset:         184
        .size:           8
        .value_kind:     hidden_global_offset_x
      - .offset:         192
        .size:           8
        .value_kind:     hidden_global_offset_y
      - .offset:         200
        .size:           8
        .value_kind:     hidden_global_offset_z
      - .offset:         208
        .size:           2
        .value_kind:     hidden_grid_dims
    .group_segment_fixed_size: 8192
    .kernarg_segment_align: 8
    .kernarg_segment_size: 400
    .language:       OpenCL C
    .language_version:
      - 2
      - 0
    .max_flat_workgroup_size: 256
    .name:           _Z39paged_attention_ll4mi_QKV_mfma16_kernelI14__hip_bfloat16S0_LN4vllm18Fp8KVCacheDataTypeE0ES0_Li16ELi128ELi256ELb0ELi4EL8MFMAType0EEvPKT_PKT0_S9_ifPKiSB_SB_iPKfiiiPfSE_PS4_PT2_iSD_SD_
    .private_segment_fixed_size: 16
    .sgpr_count:     52
    .sgpr_spill_count: 0
    .symbol:         _Z39paged_attention_ll4mi_QKV_mfma16_kernelI14__hip_bfloat16S0_LN4vllm18Fp8KVCacheDataTypeE0ES0_Li16ELi128ELi256ELb0ELi4EL8MFMAType0EEvPKT_PKT0_S9_ifPKiSB_SB_iPKfiiiPfSE_PS4_PT2_iSD_SD_.kd
    .uniform_work_group_size: 1
    .uses_dynamic_stack: false
    .vgpr_count:     96
    .vgpr_spill_count: 3
    .wavefront_size: 64
  - .agpr_count:     8
    .args:
      - .actual_access:  read_only
        .address_space:  global
        .offset:         0
        .size:           8
        .value_kind:     global_buffer
      - .actual_access:  read_only
        .address_space:  global
        .offset:         8
        .size:           8
        .value_kind:     global_buffer
      - .actual_access:  read_only
        .address_space:  global
        .offset:         16
        .size:           8
        .value_kind:     global_buffer
      - .offset:         24
        .size:           4
        .value_kind:     by_value
      - .offset:         28
        .size:           4
        .value_kind:     by_value
      - .actual_access:  read_only
        .address_space:  global
        .offset:         32
        .size:           8
        .value_kind:     global_buffer
      - .actual_access:  read_only
        .address_space:  global
        .offset:         40
        .size:           8
        .value_kind:     global_buffer
      - .actual_access:  read_only
        .address_space:  global
        .offset:         48
        .size:           8
        .value_kind:     global_buffer
      - .offset:         56
        .size:           4
        .value_kind:     by_value
      - .actual_access:  read_only
        .address_space:  global
        .offset:         64
        .size:           8
        .value_kind:     global_buffer
      - .offset:         72
        .size:           4
        .value_kind:     by_value
      - .offset:         76
        .size:           4
        .value_kind:     by_value
      - .offset:         80
        .size:           4
        .value_kind:     by_value
      - .actual_access:  write_only
        .address_space:  global
        .offset:         88
        .size:           8
        .value_kind:     global_buffer
      - .actual_access:  write_only
        .address_space:  global
        .offset:         96
        .size:           8
        .value_kind:     global_buffer
      - .actual_access:  write_only
        .address_space:  global
        .offset:         104
        .size:           8
        .value_kind:     global_buffer
      - .actual_access:  read_only
        .address_space:  global
        .offset:         112
        .size:           8
        .value_kind:     global_buffer
      - .offset:         120
        .size:           4
        .value_kind:     by_value
      - .address_space:  global
        .offset:         128
        .size:           8
        .value_kind:     global_buffer
      - .address_space:  global
        .offset:         136
        .size:           8
        .value_kind:     global_buffer
      - .offset:         144
        .size:           4
        .value_kind:     hidden_block_count_x
      - .offset:         148
        .size:           4
        .value_kind:     hidden_block_count_y
      - .offset:         152
        .size:           4
        .value_kind:     hidden_block_count_z
      - .offset:         156
        .size:           2
        .value_kind:     hidden_group_size_x
      - .offset:         158
        .size:           2
        .value_kind:     hidden_group_size_y
      - .offset:         160
        .size:           2
        .value_kind:     hidden_group_size_z
      - .offset:         162
        .size:           2
        .value_kind:     hidden_remainder_x
      - .offset:         164
        .size:           2
        .value_kind:     hidden_remainder_y
      - .offset:         166
        .size:           2
        .value_kind:     hidden_remainder_z
      - .offset:         184
        .size:           8
        .value_kind:     hidden_global_offset_x
      - .offset:         192
        .size:           8
        .value_kind:     hidden_global_offset_y
      - .offset:         200
        .size:           8
        .value_kind:     hidden_global_offset_z
      - .offset:         208
        .size:           2
        .value_kind:     hidden_grid_dims
    .group_segment_fixed_size: 5280
    .kernarg_segment_align: 8
    .kernarg_segment_size: 400
    .language:       OpenCL C
    .language_version:
      - 2
      - 0
    .max_flat_workgroup_size: 256
    .name:           _Z38paged_attention_ll4mi_QKV_mfma4_kernelI14__hip_bfloat16S0_LN4vllm18Fp8KVCacheDataTypeE0ES0_Li32ELi128ELi256ELb1ELi1EEvPKT_PKT0_S8_ifPKiSA_SA_iPKfiiiPfSD_PS3_PT2_iSC_SC_
    .private_segment_fixed_size: 0
    .sgpr_count:     42
    .sgpr_spill_count: 0
    .symbol:         _Z38paged_attention_ll4mi_QKV_mfma4_kernelI14__hip_bfloat16S0_LN4vllm18Fp8KVCacheDataTypeE0ES0_Li32ELi128ELi256ELb1ELi1EEvPKT_PKT0_S8_ifPKiSA_SA_iPKfiiiPfSD_PS3_PT2_iSC_SC_.kd
    .uniform_work_group_size: 1
    .uses_dynamic_stack: false
    .vgpr_count:     92
    .vgpr_spill_count: 0
    .wavefront_size: 64
  - .agpr_count:     8
    .args:
      - .actual_access:  read_only
        .address_space:  global
        .offset:         0
        .size:           8
        .value_kind:     global_buffer
      - .actual_access:  read_only
        .address_space:  global
        .offset:         8
        .size:           8
        .value_kind:     global_buffer
      - .actual_access:  read_only
        .address_space:  global
        .offset:         16
        .size:           8
        .value_kind:     global_buffer
      - .offset:         24
        .size:           4
        .value_kind:     by_value
      - .offset:         28
        .size:           4
        .value_kind:     by_value
      - .actual_access:  read_only
        .address_space:  global
        .offset:         32
        .size:           8
        .value_kind:     global_buffer
      - .actual_access:  read_only
        .address_space:  global
        .offset:         40
        .size:           8
        .value_kind:     global_buffer
      - .actual_access:  read_only
        .address_space:  global
        .offset:         48
        .size:           8
        .value_kind:     global_buffer
      - .offset:         56
        .size:           4
        .value_kind:     by_value
      - .actual_access:  read_only
        .address_space:  global
        .offset:         64
        .size:           8
        .value_kind:     global_buffer
      - .offset:         72
        .size:           4
        .value_kind:     by_value
      - .offset:         76
        .size:           4
        .value_kind:     by_value
      - .offset:         80
        .size:           4
        .value_kind:     by_value
      - .actual_access:  write_only
        .address_space:  global
        .offset:         88
        .size:           8
        .value_kind:     global_buffer
      - .actual_access:  write_only
        .address_space:  global
        .offset:         96
        .size:           8
        .value_kind:     global_buffer
      - .actual_access:  write_only
        .address_space:  global
        .offset:         104
        .size:           8
        .value_kind:     global_buffer
      - .actual_access:  read_only
        .address_space:  global
        .offset:         112
        .size:           8
        .value_kind:     global_buffer
      - .offset:         120
        .size:           4
        .value_kind:     by_value
      - .address_space:  global
        .offset:         128
        .size:           8
        .value_kind:     global_buffer
      - .address_space:  global
        .offset:         136
        .size:           8
        .value_kind:     global_buffer
      - .offset:         144
        .size:           4
        .value_kind:     hidden_block_count_x
      - .offset:         148
        .size:           4
        .value_kind:     hidden_block_count_y
      - .offset:         152
        .size:           4
        .value_kind:     hidden_block_count_z
      - .offset:         156
        .size:           2
        .value_kind:     hidden_group_size_x
      - .offset:         158
        .size:           2
        .value_kind:     hidden_group_size_y
      - .offset:         160
        .size:           2
        .value_kind:     hidden_group_size_z
      - .offset:         162
        .size:           2
        .value_kind:     hidden_remainder_x
      - .offset:         164
        .size:           2
        .value_kind:     hidden_remainder_y
      - .offset:         166
        .size:           2
        .value_kind:     hidden_remainder_z
      - .offset:         184
        .size:           8
        .value_kind:     hidden_global_offset_x
      - .offset:         192
        .size:           8
        .value_kind:     hidden_global_offset_y
      - .offset:         200
        .size:           8
        .value_kind:     hidden_global_offset_z
      - .offset:         208
        .size:           2
        .value_kind:     hidden_grid_dims
    .group_segment_fixed_size: 5280
    .kernarg_segment_align: 8
    .kernarg_segment_size: 400
    .language:       OpenCL C
    .language_version:
      - 2
      - 0
    .max_flat_workgroup_size: 256
    .name:           _Z38paged_attention_ll4mi_QKV_mfma4_kernelI14__hip_bfloat16S0_LN4vllm18Fp8KVCacheDataTypeE0ES0_Li32ELi128ELi256ELb1ELi2EEvPKT_PKT0_S8_ifPKiSA_SA_iPKfiiiPfSD_PS3_PT2_iSC_SC_
    .private_segment_fixed_size: 0
    .sgpr_count:     42
    .sgpr_spill_count: 0
    .symbol:         _Z38paged_attention_ll4mi_QKV_mfma4_kernelI14__hip_bfloat16S0_LN4vllm18Fp8KVCacheDataTypeE0ES0_Li32ELi128ELi256ELb1ELi2EEvPKT_PKT0_S8_ifPKiSA_SA_iPKfiiiPfSD_PS3_PT2_iSC_SC_.kd
    .uniform_work_group_size: 1
    .uses_dynamic_stack: false
    .vgpr_count:     92
    .vgpr_spill_count: 0
    .wavefront_size: 64
  - .agpr_count:     8
    .args:
      - .actual_access:  read_only
        .address_space:  global
        .offset:         0
        .size:           8
        .value_kind:     global_buffer
      - .actual_access:  read_only
        .address_space:  global
        .offset:         8
        .size:           8
        .value_kind:     global_buffer
      - .actual_access:  read_only
        .address_space:  global
        .offset:         16
        .size:           8
        .value_kind:     global_buffer
      - .offset:         24
        .size:           4
        .value_kind:     by_value
      - .offset:         28
        .size:           4
        .value_kind:     by_value
      - .actual_access:  read_only
        .address_space:  global
        .offset:         32
        .size:           8
        .value_kind:     global_buffer
      - .actual_access:  read_only
        .address_space:  global
        .offset:         40
        .size:           8
        .value_kind:     global_buffer
      - .actual_access:  read_only
        .address_space:  global
        .offset:         48
        .size:           8
        .value_kind:     global_buffer
      - .offset:         56
        .size:           4
        .value_kind:     by_value
      - .actual_access:  read_only
        .address_space:  global
        .offset:         64
        .size:           8
        .value_kind:     global_buffer
      - .offset:         72
        .size:           4
        .value_kind:     by_value
      - .offset:         76
        .size:           4
        .value_kind:     by_value
      - .offset:         80
        .size:           4
        .value_kind:     by_value
      - .actual_access:  write_only
        .address_space:  global
        .offset:         88
        .size:           8
        .value_kind:     global_buffer
      - .actual_access:  write_only
        .address_space:  global
        .offset:         96
        .size:           8
        .value_kind:     global_buffer
      - .actual_access:  write_only
        .address_space:  global
        .offset:         104
        .size:           8
        .value_kind:     global_buffer
      - .actual_access:  read_only
        .address_space:  global
        .offset:         112
        .size:           8
        .value_kind:     global_buffer
      - .offset:         120
        .size:           4
        .value_kind:     by_value
      - .address_space:  global
        .offset:         128
        .size:           8
        .value_kind:     global_buffer
      - .address_space:  global
        .offset:         136
        .size:           8
        .value_kind:     global_buffer
      - .offset:         144
        .size:           4
        .value_kind:     hidden_block_count_x
      - .offset:         148
        .size:           4
        .value_kind:     hidden_block_count_y
      - .offset:         152
        .size:           4
        .value_kind:     hidden_block_count_z
      - .offset:         156
        .size:           2
        .value_kind:     hidden_group_size_x
      - .offset:         158
        .size:           2
        .value_kind:     hidden_group_size_y
      - .offset:         160
        .size:           2
        .value_kind:     hidden_group_size_z
      - .offset:         162
        .size:           2
        .value_kind:     hidden_remainder_x
      - .offset:         164
        .size:           2
        .value_kind:     hidden_remainder_y
      - .offset:         166
        .size:           2
        .value_kind:     hidden_remainder_z
      - .offset:         184
        .size:           8
        .value_kind:     hidden_global_offset_x
      - .offset:         192
        .size:           8
        .value_kind:     hidden_global_offset_y
      - .offset:         200
        .size:           8
        .value_kind:     hidden_global_offset_z
      - .offset:         208
        .size:           2
        .value_kind:     hidden_grid_dims
    .group_segment_fixed_size: 5280
    .kernarg_segment_align: 8
    .kernarg_segment_size: 400
    .language:       OpenCL C
    .language_version:
      - 2
      - 0
    .max_flat_workgroup_size: 256
    .name:           _Z38paged_attention_ll4mi_QKV_mfma4_kernelI14__hip_bfloat16S0_LN4vllm18Fp8KVCacheDataTypeE0ES0_Li32ELi128ELi256ELb1ELi3EEvPKT_PKT0_S8_ifPKiSA_SA_iPKfiiiPfSD_PS3_PT2_iSC_SC_
    .private_segment_fixed_size: 0
    .sgpr_count:     42
    .sgpr_spill_count: 0
    .symbol:         _Z38paged_attention_ll4mi_QKV_mfma4_kernelI14__hip_bfloat16S0_LN4vllm18Fp8KVCacheDataTypeE0ES0_Li32ELi128ELi256ELb1ELi3EEvPKT_PKT0_S8_ifPKiSA_SA_iPKfiiiPfSD_PS3_PT2_iSC_SC_.kd
    .uniform_work_group_size: 1
    .uses_dynamic_stack: false
    .vgpr_count:     92
    .vgpr_spill_count: 0
    .wavefront_size: 64
  - .agpr_count:     8
    .args:
      - .actual_access:  read_only
        .address_space:  global
        .offset:         0
        .size:           8
        .value_kind:     global_buffer
      - .actual_access:  read_only
        .address_space:  global
        .offset:         8
        .size:           8
        .value_kind:     global_buffer
      - .actual_access:  read_only
        .address_space:  global
        .offset:         16
        .size:           8
        .value_kind:     global_buffer
      - .offset:         24
        .size:           4
        .value_kind:     by_value
      - .offset:         28
        .size:           4
        .value_kind:     by_value
      - .actual_access:  read_only
        .address_space:  global
        .offset:         32
        .size:           8
        .value_kind:     global_buffer
      - .actual_access:  read_only
        .address_space:  global
        .offset:         40
        .size:           8
        .value_kind:     global_buffer
      - .actual_access:  read_only
        .address_space:  global
        .offset:         48
        .size:           8
        .value_kind:     global_buffer
      - .offset:         56
        .size:           4
        .value_kind:     by_value
      - .actual_access:  read_only
        .address_space:  global
        .offset:         64
        .size:           8
        .value_kind:     global_buffer
      - .offset:         72
        .size:           4
        .value_kind:     by_value
      - .offset:         76
        .size:           4
        .value_kind:     by_value
      - .offset:         80
        .size:           4
        .value_kind:     by_value
      - .actual_access:  write_only
        .address_space:  global
        .offset:         88
        .size:           8
        .value_kind:     global_buffer
      - .actual_access:  write_only
        .address_space:  global
        .offset:         96
        .size:           8
        .value_kind:     global_buffer
      - .actual_access:  write_only
        .address_space:  global
        .offset:         104
        .size:           8
        .value_kind:     global_buffer
      - .actual_access:  read_only
        .address_space:  global
        .offset:         112
        .size:           8
        .value_kind:     global_buffer
      - .offset:         120
        .size:           4
        .value_kind:     by_value
      - .address_space:  global
        .offset:         128
        .size:           8
        .value_kind:     global_buffer
      - .address_space:  global
        .offset:         136
        .size:           8
        .value_kind:     global_buffer
      - .offset:         144
        .size:           4
        .value_kind:     hidden_block_count_x
      - .offset:         148
        .size:           4
        .value_kind:     hidden_block_count_y
      - .offset:         152
        .size:           4
        .value_kind:     hidden_block_count_z
      - .offset:         156
        .size:           2
        .value_kind:     hidden_group_size_x
      - .offset:         158
        .size:           2
        .value_kind:     hidden_group_size_y
      - .offset:         160
        .size:           2
        .value_kind:     hidden_group_size_z
      - .offset:         162
        .size:           2
        .value_kind:     hidden_remainder_x
      - .offset:         164
        .size:           2
        .value_kind:     hidden_remainder_y
      - .offset:         166
        .size:           2
        .value_kind:     hidden_remainder_z
      - .offset:         184
        .size:           8
        .value_kind:     hidden_global_offset_x
      - .offset:         192
        .size:           8
        .value_kind:     hidden_global_offset_y
      - .offset:         200
        .size:           8
        .value_kind:     hidden_global_offset_z
      - .offset:         208
        .size:           2
        .value_kind:     hidden_grid_dims
    .group_segment_fixed_size: 5280
    .kernarg_segment_align: 8
    .kernarg_segment_size: 400
    .language:       OpenCL C
    .language_version:
      - 2
      - 0
    .max_flat_workgroup_size: 256
    .name:           _Z38paged_attention_ll4mi_QKV_mfma4_kernelI14__hip_bfloat16S0_LN4vllm18Fp8KVCacheDataTypeE0ES0_Li32ELi128ELi256ELb1ELi4EEvPKT_PKT0_S8_ifPKiSA_SA_iPKfiiiPfSD_PS3_PT2_iSC_SC_
    .private_segment_fixed_size: 0
    .sgpr_count:     44
    .sgpr_spill_count: 0
    .symbol:         _Z38paged_attention_ll4mi_QKV_mfma4_kernelI14__hip_bfloat16S0_LN4vllm18Fp8KVCacheDataTypeE0ES0_Li32ELi128ELi256ELb1ELi4EEvPKT_PKT0_S8_ifPKiSA_SA_iPKfiiiPfSD_PS3_PT2_iSC_SC_.kd
    .uniform_work_group_size: 1
    .uses_dynamic_stack: false
    .vgpr_count:     96
    .vgpr_spill_count: 0
    .wavefront_size: 64
  - .agpr_count:     0
    .args:
      - .actual_access:  read_only
        .address_space:  global
        .offset:         0
        .size:           8
        .value_kind:     global_buffer
      - .actual_access:  read_only
        .address_space:  global
        .offset:         8
        .size:           8
        .value_kind:     global_buffer
      - .actual_access:  read_only
        .address_space:  global
        .offset:         16
        .size:           8
        .value_kind:     global_buffer
      - .offset:         24
        .size:           4
        .value_kind:     by_value
      - .offset:         28
        .size:           4
        .value_kind:     by_value
      - .actual_access:  read_only
        .address_space:  global
        .offset:         32
        .size:           8
        .value_kind:     global_buffer
      - .actual_access:  read_only
        .address_space:  global
        .offset:         40
        .size:           8
        .value_kind:     global_buffer
      - .actual_access:  read_only
        .address_space:  global
        .offset:         48
        .size:           8
        .value_kind:     global_buffer
      - .offset:         56
        .size:           4
        .value_kind:     by_value
      - .actual_access:  read_only
        .address_space:  global
        .offset:         64
        .size:           8
        .value_kind:     global_buffer
      - .offset:         72
        .size:           4
        .value_kind:     by_value
      - .offset:         76
        .size:           4
        .value_kind:     by_value
      - .offset:         80
        .size:           4
        .value_kind:     by_value
      - .actual_access:  write_only
        .address_space:  global
        .offset:         88
        .size:           8
        .value_kind:     global_buffer
      - .actual_access:  write_only
        .address_space:  global
        .offset:         96
        .size:           8
        .value_kind:     global_buffer
      - .actual_access:  write_only
        .address_space:  global
        .offset:         104
        .size:           8
        .value_kind:     global_buffer
      - .actual_access:  read_only
        .address_space:  global
        .offset:         112
        .size:           8
        .value_kind:     global_buffer
      - .offset:         120
        .size:           4
        .value_kind:     by_value
      - .address_space:  global
        .offset:         128
        .size:           8
        .value_kind:     global_buffer
      - .address_space:  global
        .offset:         136
        .size:           8
        .value_kind:     global_buffer
      - .offset:         144
        .size:           4
        .value_kind:     hidden_block_count_x
      - .offset:         148
        .size:           4
        .value_kind:     hidden_block_count_y
      - .offset:         152
        .size:           4
        .value_kind:     hidden_block_count_z
      - .offset:         156
        .size:           2
        .value_kind:     hidden_group_size_x
      - .offset:         158
        .size:           2
        .value_kind:     hidden_group_size_y
      - .offset:         160
        .size:           2
        .value_kind:     hidden_group_size_z
      - .offset:         162
        .size:           2
        .value_kind:     hidden_remainder_x
      - .offset:         164
        .size:           2
        .value_kind:     hidden_remainder_y
      - .offset:         166
        .size:           2
        .value_kind:     hidden_remainder_z
      - .offset:         184
        .size:           8
        .value_kind:     hidden_global_offset_x
      - .offset:         192
        .size:           8
        .value_kind:     hidden_global_offset_y
      - .offset:         200
        .size:           8
        .value_kind:     hidden_global_offset_z
      - .offset:         208
        .size:           2
        .value_kind:     hidden_grid_dims
    .group_segment_fixed_size: 8192
    .kernarg_segment_align: 8
    .kernarg_segment_size: 400
    .language:       OpenCL C
    .language_version:
      - 2
      - 0
    .max_flat_workgroup_size: 256
    .name:           _Z39paged_attention_ll4mi_QKV_mfma16_kernelI14__hip_bfloat16S0_LN4vllm18Fp8KVCacheDataTypeE0ES0_Li32ELi128ELi256ELb1ELi5EL8MFMAType0EEvPKT_PKT0_S9_ifPKiSB_SB_iPKfiiiPfSE_PS4_PT2_iSD_SD_
    .private_segment_fixed_size: 12
    .sgpr_count:     52
    .sgpr_spill_count: 0
    .symbol:         _Z39paged_attention_ll4mi_QKV_mfma16_kernelI14__hip_bfloat16S0_LN4vllm18Fp8KVCacheDataTypeE0ES0_Li32ELi128ELi256ELb1ELi5EL8MFMAType0EEvPKT_PKT0_S9_ifPKiSB_SB_iPKfiiiPfSE_PS4_PT2_iSD_SD_.kd
    .uniform_work_group_size: 1
    .uses_dynamic_stack: false
    .vgpr_count:     96
    .vgpr_spill_count: 2
    .wavefront_size: 64
  - .agpr_count:     0
    .args:
      - .actual_access:  read_only
        .address_space:  global
        .offset:         0
        .size:           8
        .value_kind:     global_buffer
      - .actual_access:  read_only
        .address_space:  global
        .offset:         8
        .size:           8
        .value_kind:     global_buffer
      - .actual_access:  read_only
        .address_space:  global
        .offset:         16
        .size:           8
        .value_kind:     global_buffer
      - .offset:         24
        .size:           4
        .value_kind:     by_value
      - .offset:         28
        .size:           4
        .value_kind:     by_value
      - .actual_access:  read_only
        .address_space:  global
        .offset:         32
        .size:           8
        .value_kind:     global_buffer
      - .actual_access:  read_only
        .address_space:  global
        .offset:         40
        .size:           8
        .value_kind:     global_buffer
      - .actual_access:  read_only
        .address_space:  global
        .offset:         48
        .size:           8
        .value_kind:     global_buffer
      - .offset:         56
        .size:           4
        .value_kind:     by_value
      - .actual_access:  read_only
        .address_space:  global
        .offset:         64
        .size:           8
        .value_kind:     global_buffer
      - .offset:         72
        .size:           4
        .value_kind:     by_value
      - .offset:         76
        .size:           4
        .value_kind:     by_value
      - .offset:         80
        .size:           4
        .value_kind:     by_value
      - .actual_access:  write_only
        .address_space:  global
        .offset:         88
        .size:           8
        .value_kind:     global_buffer
      - .actual_access:  write_only
        .address_space:  global
        .offset:         96
        .size:           8
        .value_kind:     global_buffer
      - .actual_access:  write_only
        .address_space:  global
        .offset:         104
        .size:           8
        .value_kind:     global_buffer
      - .actual_access:  read_only
        .address_space:  global
        .offset:         112
        .size:           8
        .value_kind:     global_buffer
      - .offset:         120
        .size:           4
        .value_kind:     by_value
      - .address_space:  global
        .offset:         128
        .size:           8
        .value_kind:     global_buffer
      - .address_space:  global
        .offset:         136
        .size:           8
        .value_kind:     global_buffer
      - .offset:         144
        .size:           4
        .value_kind:     hidden_block_count_x
      - .offset:         148
        .size:           4
        .value_kind:     hidden_block_count_y
      - .offset:         152
        .size:           4
        .value_kind:     hidden_block_count_z
      - .offset:         156
        .size:           2
        .value_kind:     hidden_group_size_x
      - .offset:         158
        .size:           2
        .value_kind:     hidden_group_size_y
      - .offset:         160
        .size:           2
        .value_kind:     hidden_group_size_z
      - .offset:         162
        .size:           2
        .value_kind:     hidden_remainder_x
      - .offset:         164
        .size:           2
        .value_kind:     hidden_remainder_y
      - .offset:         166
        .size:           2
        .value_kind:     hidden_remainder_z
      - .offset:         184
        .size:           8
        .value_kind:     hidden_global_offset_x
      - .offset:         192
        .size:           8
        .value_kind:     hidden_global_offset_y
      - .offset:         200
        .size:           8
        .value_kind:     hidden_global_offset_z
      - .offset:         208
        .size:           2
        .value_kind:     hidden_grid_dims
    .group_segment_fixed_size: 8192
    .kernarg_segment_align: 8
    .kernarg_segment_size: 400
    .language:       OpenCL C
    .language_version:
      - 2
      - 0
    .max_flat_workgroup_size: 256
    .name:           _Z39paged_attention_ll4mi_QKV_mfma16_kernelI14__hip_bfloat16S0_LN4vllm18Fp8KVCacheDataTypeE0ES0_Li32ELi128ELi256ELb1ELi6EL8MFMAType0EEvPKT_PKT0_S9_ifPKiSB_SB_iPKfiiiPfSE_PS4_PT2_iSD_SD_
    .private_segment_fixed_size: 12
    .sgpr_count:     52
    .sgpr_spill_count: 0
    .symbol:         _Z39paged_attention_ll4mi_QKV_mfma16_kernelI14__hip_bfloat16S0_LN4vllm18Fp8KVCacheDataTypeE0ES0_Li32ELi128ELi256ELb1ELi6EL8MFMAType0EEvPKT_PKT0_S9_ifPKiSB_SB_iPKfiiiPfSE_PS4_PT2_iSD_SD_.kd
    .uniform_work_group_size: 1
    .uses_dynamic_stack: false
    .vgpr_count:     96
    .vgpr_spill_count: 2
    .wavefront_size: 64
  - .agpr_count:     0
    .args:
      - .actual_access:  read_only
        .address_space:  global
        .offset:         0
        .size:           8
        .value_kind:     global_buffer
      - .actual_access:  read_only
        .address_space:  global
        .offset:         8
        .size:           8
        .value_kind:     global_buffer
      - .actual_access:  read_only
        .address_space:  global
        .offset:         16
        .size:           8
        .value_kind:     global_buffer
      - .offset:         24
        .size:           4
        .value_kind:     by_value
      - .offset:         28
        .size:           4
        .value_kind:     by_value
      - .actual_access:  read_only
        .address_space:  global
        .offset:         32
        .size:           8
        .value_kind:     global_buffer
      - .actual_access:  read_only
        .address_space:  global
        .offset:         40
        .size:           8
        .value_kind:     global_buffer
      - .actual_access:  read_only
        .address_space:  global
        .offset:         48
        .size:           8
        .value_kind:     global_buffer
      - .offset:         56
        .size:           4
        .value_kind:     by_value
      - .actual_access:  read_only
        .address_space:  global
        .offset:         64
        .size:           8
        .value_kind:     global_buffer
      - .offset:         72
        .size:           4
        .value_kind:     by_value
      - .offset:         76
        .size:           4
        .value_kind:     by_value
      - .offset:         80
        .size:           4
        .value_kind:     by_value
      - .actual_access:  write_only
        .address_space:  global
        .offset:         88
        .size:           8
        .value_kind:     global_buffer
      - .actual_access:  write_only
        .address_space:  global
        .offset:         96
        .size:           8
        .value_kind:     global_buffer
      - .actual_access:  write_only
        .address_space:  global
        .offset:         104
        .size:           8
        .value_kind:     global_buffer
      - .actual_access:  read_only
        .address_space:  global
        .offset:         112
        .size:           8
        .value_kind:     global_buffer
      - .offset:         120
        .size:           4
        .value_kind:     by_value
      - .address_space:  global
        .offset:         128
        .size:           8
        .value_kind:     global_buffer
      - .address_space:  global
        .offset:         136
        .size:           8
        .value_kind:     global_buffer
      - .offset:         144
        .size:           4
        .value_kind:     hidden_block_count_x
      - .offset:         148
        .size:           4
        .value_kind:     hidden_block_count_y
      - .offset:         152
        .size:           4
        .value_kind:     hidden_block_count_z
      - .offset:         156
        .size:           2
        .value_kind:     hidden_group_size_x
      - .offset:         158
        .size:           2
        .value_kind:     hidden_group_size_y
      - .offset:         160
        .size:           2
        .value_kind:     hidden_group_size_z
      - .offset:         162
        .size:           2
        .value_kind:     hidden_remainder_x
      - .offset:         164
        .size:           2
        .value_kind:     hidden_remainder_y
      - .offset:         166
        .size:           2
        .value_kind:     hidden_remainder_z
      - .offset:         184
        .size:           8
        .value_kind:     hidden_global_offset_x
      - .offset:         192
        .size:           8
        .value_kind:     hidden_global_offset_y
      - .offset:         200
        .size:           8
        .value_kind:     hidden_global_offset_z
      - .offset:         208
        .size:           2
        .value_kind:     hidden_grid_dims
    .group_segment_fixed_size: 8192
    .kernarg_segment_align: 8
    .kernarg_segment_size: 400
    .language:       OpenCL C
    .language_version:
      - 2
      - 0
    .max_flat_workgroup_size: 256
    .name:           _Z39paged_attention_ll4mi_QKV_mfma16_kernelI14__hip_bfloat16S0_LN4vllm18Fp8KVCacheDataTypeE0ES0_Li32ELi128ELi256ELb1ELi7EL8MFMAType0EEvPKT_PKT0_S9_ifPKiSB_SB_iPKfiiiPfSE_PS4_PT2_iSD_SD_
    .private_segment_fixed_size: 12
    .sgpr_count:     52
    .sgpr_spill_count: 0
    .symbol:         _Z39paged_attention_ll4mi_QKV_mfma16_kernelI14__hip_bfloat16S0_LN4vllm18Fp8KVCacheDataTypeE0ES0_Li32ELi128ELi256ELb1ELi7EL8MFMAType0EEvPKT_PKT0_S9_ifPKiSB_SB_iPKfiiiPfSE_PS4_PT2_iSD_SD_.kd
    .uniform_work_group_size: 1
    .uses_dynamic_stack: false
    .vgpr_count:     96
    .vgpr_spill_count: 2
    .wavefront_size: 64
  - .agpr_count:     0
    .args:
      - .actual_access:  read_only
        .address_space:  global
        .offset:         0
        .size:           8
        .value_kind:     global_buffer
      - .actual_access:  read_only
        .address_space:  global
        .offset:         8
        .size:           8
        .value_kind:     global_buffer
      - .actual_access:  read_only
        .address_space:  global
        .offset:         16
        .size:           8
        .value_kind:     global_buffer
      - .offset:         24
        .size:           4
        .value_kind:     by_value
      - .offset:         28
        .size:           4
        .value_kind:     by_value
      - .actual_access:  read_only
        .address_space:  global
        .offset:         32
        .size:           8
        .value_kind:     global_buffer
      - .actual_access:  read_only
        .address_space:  global
        .offset:         40
        .size:           8
        .value_kind:     global_buffer
      - .actual_access:  read_only
        .address_space:  global
        .offset:         48
        .size:           8
        .value_kind:     global_buffer
      - .offset:         56
        .size:           4
        .value_kind:     by_value
      - .actual_access:  read_only
        .address_space:  global
        .offset:         64
        .size:           8
        .value_kind:     global_buffer
      - .offset:         72
        .size:           4
        .value_kind:     by_value
      - .offset:         76
        .size:           4
        .value_kind:     by_value
      - .offset:         80
        .size:           4
        .value_kind:     by_value
      - .actual_access:  write_only
        .address_space:  global
        .offset:         88
        .size:           8
        .value_kind:     global_buffer
      - .actual_access:  write_only
        .address_space:  global
        .offset:         96
        .size:           8
        .value_kind:     global_buffer
      - .actual_access:  write_only
        .address_space:  global
        .offset:         104
        .size:           8
        .value_kind:     global_buffer
      - .actual_access:  read_only
        .address_space:  global
        .offset:         112
        .size:           8
        .value_kind:     global_buffer
      - .offset:         120
        .size:           4
        .value_kind:     by_value
      - .address_space:  global
        .offset:         128
        .size:           8
        .value_kind:     global_buffer
      - .address_space:  global
        .offset:         136
        .size:           8
        .value_kind:     global_buffer
      - .offset:         144
        .size:           4
        .value_kind:     hidden_block_count_x
      - .offset:         148
        .size:           4
        .value_kind:     hidden_block_count_y
      - .offset:         152
        .size:           4
        .value_kind:     hidden_block_count_z
      - .offset:         156
        .size:           2
        .value_kind:     hidden_group_size_x
      - .offset:         158
        .size:           2
        .value_kind:     hidden_group_size_y
      - .offset:         160
        .size:           2
        .value_kind:     hidden_group_size_z
      - .offset:         162
        .size:           2
        .value_kind:     hidden_remainder_x
      - .offset:         164
        .size:           2
        .value_kind:     hidden_remainder_y
      - .offset:         166
        .size:           2
        .value_kind:     hidden_remainder_z
      - .offset:         184
        .size:           8
        .value_kind:     hidden_global_offset_x
      - .offset:         192
        .size:           8
        .value_kind:     hidden_global_offset_y
      - .offset:         200
        .size:           8
        .value_kind:     hidden_global_offset_z
      - .offset:         208
        .size:           2
        .value_kind:     hidden_grid_dims
    .group_segment_fixed_size: 8192
    .kernarg_segment_align: 8
    .kernarg_segment_size: 400
    .language:       OpenCL C
    .language_version:
      - 2
      - 0
    .max_flat_workgroup_size: 256
    .name:           _Z39paged_attention_ll4mi_QKV_mfma16_kernelI14__hip_bfloat16S0_LN4vllm18Fp8KVCacheDataTypeE0ES0_Li32ELi128ELi256ELb1ELi8EL8MFMAType0EEvPKT_PKT0_S9_ifPKiSB_SB_iPKfiiiPfSE_PS4_PT2_iSD_SD_
    .private_segment_fixed_size: 12
    .sgpr_count:     52
    .sgpr_spill_count: 0
    .symbol:         _Z39paged_attention_ll4mi_QKV_mfma16_kernelI14__hip_bfloat16S0_LN4vllm18Fp8KVCacheDataTypeE0ES0_Li32ELi128ELi256ELb1ELi8EL8MFMAType0EEvPKT_PKT0_S9_ifPKiSB_SB_iPKfiiiPfSE_PS4_PT2_iSD_SD_.kd
    .uniform_work_group_size: 1
    .uses_dynamic_stack: false
    .vgpr_count:     96
    .vgpr_spill_count: 2
    .wavefront_size: 64
  - .agpr_count:     0
    .args:
      - .actual_access:  read_only
        .address_space:  global
        .offset:         0
        .size:           8
        .value_kind:     global_buffer
      - .actual_access:  read_only
        .address_space:  global
        .offset:         8
        .size:           8
        .value_kind:     global_buffer
      - .actual_access:  read_only
        .address_space:  global
        .offset:         16
        .size:           8
        .value_kind:     global_buffer
      - .offset:         24
        .size:           4
        .value_kind:     by_value
      - .offset:         28
        .size:           4
        .value_kind:     by_value
      - .actual_access:  read_only
        .address_space:  global
        .offset:         32
        .size:           8
        .value_kind:     global_buffer
      - .actual_access:  read_only
        .address_space:  global
        .offset:         40
        .size:           8
        .value_kind:     global_buffer
      - .actual_access:  read_only
        .address_space:  global
        .offset:         48
        .size:           8
        .value_kind:     global_buffer
      - .offset:         56
        .size:           4
        .value_kind:     by_value
      - .actual_access:  read_only
        .address_space:  global
        .offset:         64
        .size:           8
        .value_kind:     global_buffer
      - .offset:         72
        .size:           4
        .value_kind:     by_value
      - .offset:         76
        .size:           4
        .value_kind:     by_value
      - .offset:         80
        .size:           4
        .value_kind:     by_value
      - .actual_access:  write_only
        .address_space:  global
        .offset:         88
        .size:           8
        .value_kind:     global_buffer
      - .actual_access:  write_only
        .address_space:  global
        .offset:         96
        .size:           8
        .value_kind:     global_buffer
      - .actual_access:  write_only
        .address_space:  global
        .offset:         104
        .size:           8
        .value_kind:     global_buffer
      - .actual_access:  read_only
        .address_space:  global
        .offset:         112
        .size:           8
        .value_kind:     global_buffer
      - .offset:         120
        .size:           4
        .value_kind:     by_value
      - .address_space:  global
        .offset:         128
        .size:           8
        .value_kind:     global_buffer
      - .address_space:  global
        .offset:         136
        .size:           8
        .value_kind:     global_buffer
      - .offset:         144
        .size:           4
        .value_kind:     hidden_block_count_x
      - .offset:         148
        .size:           4
        .value_kind:     hidden_block_count_y
      - .offset:         152
        .size:           4
        .value_kind:     hidden_block_count_z
      - .offset:         156
        .size:           2
        .value_kind:     hidden_group_size_x
      - .offset:         158
        .size:           2
        .value_kind:     hidden_group_size_y
      - .offset:         160
        .size:           2
        .value_kind:     hidden_group_size_z
      - .offset:         162
        .size:           2
        .value_kind:     hidden_remainder_x
      - .offset:         164
        .size:           2
        .value_kind:     hidden_remainder_y
      - .offset:         166
        .size:           2
        .value_kind:     hidden_remainder_z
      - .offset:         184
        .size:           8
        .value_kind:     hidden_global_offset_x
      - .offset:         192
        .size:           8
        .value_kind:     hidden_global_offset_y
      - .offset:         200
        .size:           8
        .value_kind:     hidden_global_offset_z
      - .offset:         208
        .size:           2
        .value_kind:     hidden_grid_dims
    .group_segment_fixed_size: 8192
    .kernarg_segment_align: 8
    .kernarg_segment_size: 400
    .language:       OpenCL C
    .language_version:
      - 2
      - 0
    .max_flat_workgroup_size: 256
    .name:           _Z39paged_attention_ll4mi_QKV_mfma16_kernelI14__hip_bfloat16S0_LN4vllm18Fp8KVCacheDataTypeE0ES0_Li32ELi128ELi256ELb1ELi9EL8MFMAType0EEvPKT_PKT0_S9_ifPKiSB_SB_iPKfiiiPfSE_PS4_PT2_iSD_SD_
    .private_segment_fixed_size: 12
    .sgpr_count:     52
    .sgpr_spill_count: 0
    .symbol:         _Z39paged_attention_ll4mi_QKV_mfma16_kernelI14__hip_bfloat16S0_LN4vllm18Fp8KVCacheDataTypeE0ES0_Li32ELi128ELi256ELb1ELi9EL8MFMAType0EEvPKT_PKT0_S9_ifPKiSB_SB_iPKfiiiPfSE_PS4_PT2_iSD_SD_.kd
    .uniform_work_group_size: 1
    .uses_dynamic_stack: false
    .vgpr_count:     96
    .vgpr_spill_count: 2
    .wavefront_size: 64
  - .agpr_count:     0
    .args:
      - .actual_access:  read_only
        .address_space:  global
        .offset:         0
        .size:           8
        .value_kind:     global_buffer
      - .actual_access:  read_only
        .address_space:  global
        .offset:         8
        .size:           8
        .value_kind:     global_buffer
      - .actual_access:  read_only
        .address_space:  global
        .offset:         16
        .size:           8
        .value_kind:     global_buffer
      - .offset:         24
        .size:           4
        .value_kind:     by_value
      - .offset:         28
        .size:           4
        .value_kind:     by_value
      - .actual_access:  read_only
        .address_space:  global
        .offset:         32
        .size:           8
        .value_kind:     global_buffer
      - .actual_access:  read_only
        .address_space:  global
        .offset:         40
        .size:           8
        .value_kind:     global_buffer
      - .actual_access:  read_only
        .address_space:  global
        .offset:         48
        .size:           8
        .value_kind:     global_buffer
      - .offset:         56
        .size:           4
        .value_kind:     by_value
      - .actual_access:  read_only
        .address_space:  global
        .offset:         64
        .size:           8
        .value_kind:     global_buffer
      - .offset:         72
        .size:           4
        .value_kind:     by_value
      - .offset:         76
        .size:           4
        .value_kind:     by_value
      - .offset:         80
        .size:           4
        .value_kind:     by_value
      - .actual_access:  write_only
        .address_space:  global
        .offset:         88
        .size:           8
        .value_kind:     global_buffer
      - .actual_access:  write_only
        .address_space:  global
        .offset:         96
        .size:           8
        .value_kind:     global_buffer
      - .actual_access:  write_only
        .address_space:  global
        .offset:         104
        .size:           8
        .value_kind:     global_buffer
      - .actual_access:  read_only
        .address_space:  global
        .offset:         112
        .size:           8
        .value_kind:     global_buffer
      - .offset:         120
        .size:           4
        .value_kind:     by_value
      - .address_space:  global
        .offset:         128
        .size:           8
        .value_kind:     global_buffer
      - .address_space:  global
        .offset:         136
        .size:           8
        .value_kind:     global_buffer
      - .offset:         144
        .size:           4
        .value_kind:     hidden_block_count_x
      - .offset:         148
        .size:           4
        .value_kind:     hidden_block_count_y
      - .offset:         152
        .size:           4
        .value_kind:     hidden_block_count_z
      - .offset:         156
        .size:           2
        .value_kind:     hidden_group_size_x
      - .offset:         158
        .size:           2
        .value_kind:     hidden_group_size_y
      - .offset:         160
        .size:           2
        .value_kind:     hidden_group_size_z
      - .offset:         162
        .size:           2
        .value_kind:     hidden_remainder_x
      - .offset:         164
        .size:           2
        .value_kind:     hidden_remainder_y
      - .offset:         166
        .size:           2
        .value_kind:     hidden_remainder_z
      - .offset:         184
        .size:           8
        .value_kind:     hidden_global_offset_x
      - .offset:         192
        .size:           8
        .value_kind:     hidden_global_offset_y
      - .offset:         200
        .size:           8
        .value_kind:     hidden_global_offset_z
      - .offset:         208
        .size:           2
        .value_kind:     hidden_grid_dims
    .group_segment_fixed_size: 8192
    .kernarg_segment_align: 8
    .kernarg_segment_size: 400
    .language:       OpenCL C
    .language_version:
      - 2
      - 0
    .max_flat_workgroup_size: 256
    .name:           _Z39paged_attention_ll4mi_QKV_mfma16_kernelI14__hip_bfloat16S0_LN4vllm18Fp8KVCacheDataTypeE0ES0_Li32ELi128ELi256ELb1ELi10EL8MFMAType0EEvPKT_PKT0_S9_ifPKiSB_SB_iPKfiiiPfSE_PS4_PT2_iSD_SD_
    .private_segment_fixed_size: 12
    .sgpr_count:     52
    .sgpr_spill_count: 0
    .symbol:         _Z39paged_attention_ll4mi_QKV_mfma16_kernelI14__hip_bfloat16S0_LN4vllm18Fp8KVCacheDataTypeE0ES0_Li32ELi128ELi256ELb1ELi10EL8MFMAType0EEvPKT_PKT0_S9_ifPKiSB_SB_iPKfiiiPfSE_PS4_PT2_iSD_SD_.kd
    .uniform_work_group_size: 1
    .uses_dynamic_stack: false
    .vgpr_count:     96
    .vgpr_spill_count: 2
    .wavefront_size: 64
  - .agpr_count:     0
    .args:
      - .actual_access:  read_only
        .address_space:  global
        .offset:         0
        .size:           8
        .value_kind:     global_buffer
      - .actual_access:  read_only
        .address_space:  global
        .offset:         8
        .size:           8
        .value_kind:     global_buffer
      - .actual_access:  read_only
        .address_space:  global
        .offset:         16
        .size:           8
        .value_kind:     global_buffer
      - .offset:         24
        .size:           4
        .value_kind:     by_value
      - .offset:         28
        .size:           4
        .value_kind:     by_value
      - .actual_access:  read_only
        .address_space:  global
        .offset:         32
        .size:           8
        .value_kind:     global_buffer
      - .actual_access:  read_only
        .address_space:  global
        .offset:         40
        .size:           8
        .value_kind:     global_buffer
      - .actual_access:  read_only
        .address_space:  global
        .offset:         48
        .size:           8
        .value_kind:     global_buffer
      - .offset:         56
        .size:           4
        .value_kind:     by_value
      - .actual_access:  read_only
        .address_space:  global
        .offset:         64
        .size:           8
        .value_kind:     global_buffer
      - .offset:         72
        .size:           4
        .value_kind:     by_value
      - .offset:         76
        .size:           4
        .value_kind:     by_value
      - .offset:         80
        .size:           4
        .value_kind:     by_value
      - .actual_access:  write_only
        .address_space:  global
        .offset:         88
        .size:           8
        .value_kind:     global_buffer
      - .actual_access:  write_only
        .address_space:  global
        .offset:         96
        .size:           8
        .value_kind:     global_buffer
      - .actual_access:  write_only
        .address_space:  global
        .offset:         104
        .size:           8
        .value_kind:     global_buffer
      - .actual_access:  read_only
        .address_space:  global
        .offset:         112
        .size:           8
        .value_kind:     global_buffer
      - .offset:         120
        .size:           4
        .value_kind:     by_value
      - .address_space:  global
        .offset:         128
        .size:           8
        .value_kind:     global_buffer
      - .address_space:  global
        .offset:         136
        .size:           8
        .value_kind:     global_buffer
      - .offset:         144
        .size:           4
        .value_kind:     hidden_block_count_x
      - .offset:         148
        .size:           4
        .value_kind:     hidden_block_count_y
      - .offset:         152
        .size:           4
        .value_kind:     hidden_block_count_z
      - .offset:         156
        .size:           2
        .value_kind:     hidden_group_size_x
      - .offset:         158
        .size:           2
        .value_kind:     hidden_group_size_y
      - .offset:         160
        .size:           2
        .value_kind:     hidden_group_size_z
      - .offset:         162
        .size:           2
        .value_kind:     hidden_remainder_x
      - .offset:         164
        .size:           2
        .value_kind:     hidden_remainder_y
      - .offset:         166
        .size:           2
        .value_kind:     hidden_remainder_z
      - .offset:         184
        .size:           8
        .value_kind:     hidden_global_offset_x
      - .offset:         192
        .size:           8
        .value_kind:     hidden_global_offset_y
      - .offset:         200
        .size:           8
        .value_kind:     hidden_global_offset_z
      - .offset:         208
        .size:           2
        .value_kind:     hidden_grid_dims
    .group_segment_fixed_size: 8192
    .kernarg_segment_align: 8
    .kernarg_segment_size: 400
    .language:       OpenCL C
    .language_version:
      - 2
      - 0
    .max_flat_workgroup_size: 256
    .name:           _Z39paged_attention_ll4mi_QKV_mfma16_kernelI14__hip_bfloat16S0_LN4vllm18Fp8KVCacheDataTypeE0ES0_Li32ELi128ELi256ELb1ELi11EL8MFMAType0EEvPKT_PKT0_S9_ifPKiSB_SB_iPKfiiiPfSE_PS4_PT2_iSD_SD_
    .private_segment_fixed_size: 12
    .sgpr_count:     52
    .sgpr_spill_count: 0
    .symbol:         _Z39paged_attention_ll4mi_QKV_mfma16_kernelI14__hip_bfloat16S0_LN4vllm18Fp8KVCacheDataTypeE0ES0_Li32ELi128ELi256ELb1ELi11EL8MFMAType0EEvPKT_PKT0_S9_ifPKiSB_SB_iPKfiiiPfSE_PS4_PT2_iSD_SD_.kd
    .uniform_work_group_size: 1
    .uses_dynamic_stack: false
    .vgpr_count:     96
    .vgpr_spill_count: 2
    .wavefront_size: 64
  - .agpr_count:     0
    .args:
      - .actual_access:  read_only
        .address_space:  global
        .offset:         0
        .size:           8
        .value_kind:     global_buffer
      - .actual_access:  read_only
        .address_space:  global
        .offset:         8
        .size:           8
        .value_kind:     global_buffer
      - .actual_access:  read_only
        .address_space:  global
        .offset:         16
        .size:           8
        .value_kind:     global_buffer
      - .offset:         24
        .size:           4
        .value_kind:     by_value
      - .offset:         28
        .size:           4
        .value_kind:     by_value
      - .actual_access:  read_only
        .address_space:  global
        .offset:         32
        .size:           8
        .value_kind:     global_buffer
      - .actual_access:  read_only
        .address_space:  global
        .offset:         40
        .size:           8
        .value_kind:     global_buffer
      - .actual_access:  read_only
        .address_space:  global
        .offset:         48
        .size:           8
        .value_kind:     global_buffer
      - .offset:         56
        .size:           4
        .value_kind:     by_value
      - .actual_access:  read_only
        .address_space:  global
        .offset:         64
        .size:           8
        .value_kind:     global_buffer
      - .offset:         72
        .size:           4
        .value_kind:     by_value
      - .offset:         76
        .size:           4
        .value_kind:     by_value
      - .offset:         80
        .size:           4
        .value_kind:     by_value
      - .actual_access:  write_only
        .address_space:  global
        .offset:         88
        .size:           8
        .value_kind:     global_buffer
      - .actual_access:  write_only
        .address_space:  global
        .offset:         96
        .size:           8
        .value_kind:     global_buffer
      - .actual_access:  write_only
        .address_space:  global
        .offset:         104
        .size:           8
        .value_kind:     global_buffer
      - .actual_access:  read_only
        .address_space:  global
        .offset:         112
        .size:           8
        .value_kind:     global_buffer
      - .offset:         120
        .size:           4
        .value_kind:     by_value
      - .address_space:  global
        .offset:         128
        .size:           8
        .value_kind:     global_buffer
      - .address_space:  global
        .offset:         136
        .size:           8
        .value_kind:     global_buffer
      - .offset:         144
        .size:           4
        .value_kind:     hidden_block_count_x
      - .offset:         148
        .size:           4
        .value_kind:     hidden_block_count_y
      - .offset:         152
        .size:           4
        .value_kind:     hidden_block_count_z
      - .offset:         156
        .size:           2
        .value_kind:     hidden_group_size_x
      - .offset:         158
        .size:           2
        .value_kind:     hidden_group_size_y
      - .offset:         160
        .size:           2
        .value_kind:     hidden_group_size_z
      - .offset:         162
        .size:           2
        .value_kind:     hidden_remainder_x
      - .offset:         164
        .size:           2
        .value_kind:     hidden_remainder_y
      - .offset:         166
        .size:           2
        .value_kind:     hidden_remainder_z
      - .offset:         184
        .size:           8
        .value_kind:     hidden_global_offset_x
      - .offset:         192
        .size:           8
        .value_kind:     hidden_global_offset_y
      - .offset:         200
        .size:           8
        .value_kind:     hidden_global_offset_z
      - .offset:         208
        .size:           2
        .value_kind:     hidden_grid_dims
    .group_segment_fixed_size: 8192
    .kernarg_segment_align: 8
    .kernarg_segment_size: 400
    .language:       OpenCL C
    .language_version:
      - 2
      - 0
    .max_flat_workgroup_size: 256
    .name:           _Z39paged_attention_ll4mi_QKV_mfma16_kernelI14__hip_bfloat16S0_LN4vllm18Fp8KVCacheDataTypeE0ES0_Li32ELi128ELi256ELb1ELi12EL8MFMAType0EEvPKT_PKT0_S9_ifPKiSB_SB_iPKfiiiPfSE_PS4_PT2_iSD_SD_
    .private_segment_fixed_size: 12
    .sgpr_count:     52
    .sgpr_spill_count: 0
    .symbol:         _Z39paged_attention_ll4mi_QKV_mfma16_kernelI14__hip_bfloat16S0_LN4vllm18Fp8KVCacheDataTypeE0ES0_Li32ELi128ELi256ELb1ELi12EL8MFMAType0EEvPKT_PKT0_S9_ifPKiSB_SB_iPKfiiiPfSE_PS4_PT2_iSD_SD_.kd
    .uniform_work_group_size: 1
    .uses_dynamic_stack: false
    .vgpr_count:     96
    .vgpr_spill_count: 2
    .wavefront_size: 64
  - .agpr_count:     0
    .args:
      - .actual_access:  read_only
        .address_space:  global
        .offset:         0
        .size:           8
        .value_kind:     global_buffer
      - .actual_access:  read_only
        .address_space:  global
        .offset:         8
        .size:           8
        .value_kind:     global_buffer
      - .actual_access:  read_only
        .address_space:  global
        .offset:         16
        .size:           8
        .value_kind:     global_buffer
      - .offset:         24
        .size:           4
        .value_kind:     by_value
      - .offset:         28
        .size:           4
        .value_kind:     by_value
      - .actual_access:  read_only
        .address_space:  global
        .offset:         32
        .size:           8
        .value_kind:     global_buffer
      - .actual_access:  read_only
        .address_space:  global
        .offset:         40
        .size:           8
        .value_kind:     global_buffer
      - .actual_access:  read_only
        .address_space:  global
        .offset:         48
        .size:           8
        .value_kind:     global_buffer
      - .offset:         56
        .size:           4
        .value_kind:     by_value
      - .actual_access:  read_only
        .address_space:  global
        .offset:         64
        .size:           8
        .value_kind:     global_buffer
      - .offset:         72
        .size:           4
        .value_kind:     by_value
      - .offset:         76
        .size:           4
        .value_kind:     by_value
      - .offset:         80
        .size:           4
        .value_kind:     by_value
      - .actual_access:  write_only
        .address_space:  global
        .offset:         88
        .size:           8
        .value_kind:     global_buffer
      - .actual_access:  write_only
        .address_space:  global
        .offset:         96
        .size:           8
        .value_kind:     global_buffer
      - .actual_access:  write_only
        .address_space:  global
        .offset:         104
        .size:           8
        .value_kind:     global_buffer
      - .actual_access:  read_only
        .address_space:  global
        .offset:         112
        .size:           8
        .value_kind:     global_buffer
      - .offset:         120
        .size:           4
        .value_kind:     by_value
      - .address_space:  global
        .offset:         128
        .size:           8
        .value_kind:     global_buffer
      - .address_space:  global
        .offset:         136
        .size:           8
        .value_kind:     global_buffer
      - .offset:         144
        .size:           4
        .value_kind:     hidden_block_count_x
      - .offset:         148
        .size:           4
        .value_kind:     hidden_block_count_y
      - .offset:         152
        .size:           4
        .value_kind:     hidden_block_count_z
      - .offset:         156
        .size:           2
        .value_kind:     hidden_group_size_x
      - .offset:         158
        .size:           2
        .value_kind:     hidden_group_size_y
      - .offset:         160
        .size:           2
        .value_kind:     hidden_group_size_z
      - .offset:         162
        .size:           2
        .value_kind:     hidden_remainder_x
      - .offset:         164
        .size:           2
        .value_kind:     hidden_remainder_y
      - .offset:         166
        .size:           2
        .value_kind:     hidden_remainder_z
      - .offset:         184
        .size:           8
        .value_kind:     hidden_global_offset_x
      - .offset:         192
        .size:           8
        .value_kind:     hidden_global_offset_y
      - .offset:         200
        .size:           8
        .value_kind:     hidden_global_offset_z
      - .offset:         208
        .size:           2
        .value_kind:     hidden_grid_dims
    .group_segment_fixed_size: 8192
    .kernarg_segment_align: 8
    .kernarg_segment_size: 400
    .language:       OpenCL C
    .language_version:
      - 2
      - 0
    .max_flat_workgroup_size: 256
    .name:           _Z39paged_attention_ll4mi_QKV_mfma16_kernelI14__hip_bfloat16S0_LN4vllm18Fp8KVCacheDataTypeE0ES0_Li32ELi128ELi256ELb1ELi13EL8MFMAType0EEvPKT_PKT0_S9_ifPKiSB_SB_iPKfiiiPfSE_PS4_PT2_iSD_SD_
    .private_segment_fixed_size: 12
    .sgpr_count:     52
    .sgpr_spill_count: 0
    .symbol:         _Z39paged_attention_ll4mi_QKV_mfma16_kernelI14__hip_bfloat16S0_LN4vllm18Fp8KVCacheDataTypeE0ES0_Li32ELi128ELi256ELb1ELi13EL8MFMAType0EEvPKT_PKT0_S9_ifPKiSB_SB_iPKfiiiPfSE_PS4_PT2_iSD_SD_.kd
    .uniform_work_group_size: 1
    .uses_dynamic_stack: false
    .vgpr_count:     96
    .vgpr_spill_count: 2
    .wavefront_size: 64
  - .agpr_count:     0
    .args:
      - .actual_access:  read_only
        .address_space:  global
        .offset:         0
        .size:           8
        .value_kind:     global_buffer
      - .actual_access:  read_only
        .address_space:  global
        .offset:         8
        .size:           8
        .value_kind:     global_buffer
      - .actual_access:  read_only
        .address_space:  global
        .offset:         16
        .size:           8
        .value_kind:     global_buffer
      - .offset:         24
        .size:           4
        .value_kind:     by_value
      - .offset:         28
        .size:           4
        .value_kind:     by_value
      - .actual_access:  read_only
        .address_space:  global
        .offset:         32
        .size:           8
        .value_kind:     global_buffer
      - .actual_access:  read_only
        .address_space:  global
        .offset:         40
        .size:           8
        .value_kind:     global_buffer
      - .actual_access:  read_only
        .address_space:  global
        .offset:         48
        .size:           8
        .value_kind:     global_buffer
      - .offset:         56
        .size:           4
        .value_kind:     by_value
      - .actual_access:  read_only
        .address_space:  global
        .offset:         64
        .size:           8
        .value_kind:     global_buffer
      - .offset:         72
        .size:           4
        .value_kind:     by_value
      - .offset:         76
        .size:           4
        .value_kind:     by_value
      - .offset:         80
        .size:           4
        .value_kind:     by_value
      - .actual_access:  write_only
        .address_space:  global
        .offset:         88
        .size:           8
        .value_kind:     global_buffer
      - .actual_access:  write_only
        .address_space:  global
        .offset:         96
        .size:           8
        .value_kind:     global_buffer
      - .actual_access:  write_only
        .address_space:  global
        .offset:         104
        .size:           8
        .value_kind:     global_buffer
      - .actual_access:  read_only
        .address_space:  global
        .offset:         112
        .size:           8
        .value_kind:     global_buffer
      - .offset:         120
        .size:           4
        .value_kind:     by_value
      - .address_space:  global
        .offset:         128
        .size:           8
        .value_kind:     global_buffer
      - .address_space:  global
        .offset:         136
        .size:           8
        .value_kind:     global_buffer
      - .offset:         144
        .size:           4
        .value_kind:     hidden_block_count_x
      - .offset:         148
        .size:           4
        .value_kind:     hidden_block_count_y
      - .offset:         152
        .size:           4
        .value_kind:     hidden_block_count_z
      - .offset:         156
        .size:           2
        .value_kind:     hidden_group_size_x
      - .offset:         158
        .size:           2
        .value_kind:     hidden_group_size_y
      - .offset:         160
        .size:           2
        .value_kind:     hidden_group_size_z
      - .offset:         162
        .size:           2
        .value_kind:     hidden_remainder_x
      - .offset:         164
        .size:           2
        .value_kind:     hidden_remainder_y
      - .offset:         166
        .size:           2
        .value_kind:     hidden_remainder_z
      - .offset:         184
        .size:           8
        .value_kind:     hidden_global_offset_x
      - .offset:         192
        .size:           8
        .value_kind:     hidden_global_offset_y
      - .offset:         200
        .size:           8
        .value_kind:     hidden_global_offset_z
      - .offset:         208
        .size:           2
        .value_kind:     hidden_grid_dims
    .group_segment_fixed_size: 8192
    .kernarg_segment_align: 8
    .kernarg_segment_size: 400
    .language:       OpenCL C
    .language_version:
      - 2
      - 0
    .max_flat_workgroup_size: 256
    .name:           _Z39paged_attention_ll4mi_QKV_mfma16_kernelI14__hip_bfloat16S0_LN4vllm18Fp8KVCacheDataTypeE0ES0_Li32ELi128ELi256ELb1ELi14EL8MFMAType0EEvPKT_PKT0_S9_ifPKiSB_SB_iPKfiiiPfSE_PS4_PT2_iSD_SD_
    .private_segment_fixed_size: 12
    .sgpr_count:     52
    .sgpr_spill_count: 0
    .symbol:         _Z39paged_attention_ll4mi_QKV_mfma16_kernelI14__hip_bfloat16S0_LN4vllm18Fp8KVCacheDataTypeE0ES0_Li32ELi128ELi256ELb1ELi14EL8MFMAType0EEvPKT_PKT0_S9_ifPKiSB_SB_iPKfiiiPfSE_PS4_PT2_iSD_SD_.kd
    .uniform_work_group_size: 1
    .uses_dynamic_stack: false
    .vgpr_count:     96
    .vgpr_spill_count: 2
    .wavefront_size: 64
  - .agpr_count:     0
    .args:
      - .actual_access:  read_only
        .address_space:  global
        .offset:         0
        .size:           8
        .value_kind:     global_buffer
      - .actual_access:  read_only
        .address_space:  global
        .offset:         8
        .size:           8
        .value_kind:     global_buffer
      - .actual_access:  read_only
        .address_space:  global
        .offset:         16
        .size:           8
        .value_kind:     global_buffer
      - .offset:         24
        .size:           4
        .value_kind:     by_value
      - .offset:         28
        .size:           4
        .value_kind:     by_value
      - .actual_access:  read_only
        .address_space:  global
        .offset:         32
        .size:           8
        .value_kind:     global_buffer
      - .actual_access:  read_only
        .address_space:  global
        .offset:         40
        .size:           8
        .value_kind:     global_buffer
      - .actual_access:  read_only
        .address_space:  global
        .offset:         48
        .size:           8
        .value_kind:     global_buffer
      - .offset:         56
        .size:           4
        .value_kind:     by_value
      - .actual_access:  read_only
        .address_space:  global
        .offset:         64
        .size:           8
        .value_kind:     global_buffer
      - .offset:         72
        .size:           4
        .value_kind:     by_value
      - .offset:         76
        .size:           4
        .value_kind:     by_value
      - .offset:         80
        .size:           4
        .value_kind:     by_value
      - .actual_access:  write_only
        .address_space:  global
        .offset:         88
        .size:           8
        .value_kind:     global_buffer
      - .actual_access:  write_only
        .address_space:  global
        .offset:         96
        .size:           8
        .value_kind:     global_buffer
      - .actual_access:  write_only
        .address_space:  global
        .offset:         104
        .size:           8
        .value_kind:     global_buffer
      - .actual_access:  read_only
        .address_space:  global
        .offset:         112
        .size:           8
        .value_kind:     global_buffer
      - .offset:         120
        .size:           4
        .value_kind:     by_value
      - .address_space:  global
        .offset:         128
        .size:           8
        .value_kind:     global_buffer
      - .address_space:  global
        .offset:         136
        .size:           8
        .value_kind:     global_buffer
      - .offset:         144
        .size:           4
        .value_kind:     hidden_block_count_x
      - .offset:         148
        .size:           4
        .value_kind:     hidden_block_count_y
      - .offset:         152
        .size:           4
        .value_kind:     hidden_block_count_z
      - .offset:         156
        .size:           2
        .value_kind:     hidden_group_size_x
      - .offset:         158
        .size:           2
        .value_kind:     hidden_group_size_y
      - .offset:         160
        .size:           2
        .value_kind:     hidden_group_size_z
      - .offset:         162
        .size:           2
        .value_kind:     hidden_remainder_x
      - .offset:         164
        .size:           2
        .value_kind:     hidden_remainder_y
      - .offset:         166
        .size:           2
        .value_kind:     hidden_remainder_z
      - .offset:         184
        .size:           8
        .value_kind:     hidden_global_offset_x
      - .offset:         192
        .size:           8
        .value_kind:     hidden_global_offset_y
      - .offset:         200
        .size:           8
        .value_kind:     hidden_global_offset_z
      - .offset:         208
        .size:           2
        .value_kind:     hidden_grid_dims
    .group_segment_fixed_size: 8192
    .kernarg_segment_align: 8
    .kernarg_segment_size: 400
    .language:       OpenCL C
    .language_version:
      - 2
      - 0
    .max_flat_workgroup_size: 256
    .name:           _Z39paged_attention_ll4mi_QKV_mfma16_kernelI14__hip_bfloat16S0_LN4vllm18Fp8KVCacheDataTypeE0ES0_Li32ELi128ELi256ELb1ELi15EL8MFMAType0EEvPKT_PKT0_S9_ifPKiSB_SB_iPKfiiiPfSE_PS4_PT2_iSD_SD_
    .private_segment_fixed_size: 12
    .sgpr_count:     52
    .sgpr_spill_count: 0
    .symbol:         _Z39paged_attention_ll4mi_QKV_mfma16_kernelI14__hip_bfloat16S0_LN4vllm18Fp8KVCacheDataTypeE0ES0_Li32ELi128ELi256ELb1ELi15EL8MFMAType0EEvPKT_PKT0_S9_ifPKiSB_SB_iPKfiiiPfSE_PS4_PT2_iSD_SD_.kd
    .uniform_work_group_size: 1
    .uses_dynamic_stack: false
    .vgpr_count:     96
    .vgpr_spill_count: 2
    .wavefront_size: 64
  - .agpr_count:     0
    .args:
      - .actual_access:  read_only
        .address_space:  global
        .offset:         0
        .size:           8
        .value_kind:     global_buffer
      - .actual_access:  read_only
        .address_space:  global
        .offset:         8
        .size:           8
        .value_kind:     global_buffer
      - .actual_access:  read_only
        .address_space:  global
        .offset:         16
        .size:           8
        .value_kind:     global_buffer
      - .offset:         24
        .size:           4
        .value_kind:     by_value
      - .offset:         28
        .size:           4
        .value_kind:     by_value
      - .actual_access:  read_only
        .address_space:  global
        .offset:         32
        .size:           8
        .value_kind:     global_buffer
      - .actual_access:  read_only
        .address_space:  global
        .offset:         40
        .size:           8
        .value_kind:     global_buffer
      - .actual_access:  read_only
        .address_space:  global
        .offset:         48
        .size:           8
        .value_kind:     global_buffer
      - .offset:         56
        .size:           4
        .value_kind:     by_value
      - .actual_access:  read_only
        .address_space:  global
        .offset:         64
        .size:           8
        .value_kind:     global_buffer
      - .offset:         72
        .size:           4
        .value_kind:     by_value
      - .offset:         76
        .size:           4
        .value_kind:     by_value
      - .offset:         80
        .size:           4
        .value_kind:     by_value
      - .actual_access:  write_only
        .address_space:  global
        .offset:         88
        .size:           8
        .value_kind:     global_buffer
      - .actual_access:  write_only
        .address_space:  global
        .offset:         96
        .size:           8
        .value_kind:     global_buffer
      - .actual_access:  write_only
        .address_space:  global
        .offset:         104
        .size:           8
        .value_kind:     global_buffer
      - .actual_access:  read_only
        .address_space:  global
        .offset:         112
        .size:           8
        .value_kind:     global_buffer
      - .offset:         120
        .size:           4
        .value_kind:     by_value
      - .address_space:  global
        .offset:         128
        .size:           8
        .value_kind:     global_buffer
      - .address_space:  global
        .offset:         136
        .size:           8
        .value_kind:     global_buffer
      - .offset:         144
        .size:           4
        .value_kind:     hidden_block_count_x
      - .offset:         148
        .size:           4
        .value_kind:     hidden_block_count_y
      - .offset:         152
        .size:           4
        .value_kind:     hidden_block_count_z
      - .offset:         156
        .size:           2
        .value_kind:     hidden_group_size_x
      - .offset:         158
        .size:           2
        .value_kind:     hidden_group_size_y
      - .offset:         160
        .size:           2
        .value_kind:     hidden_group_size_z
      - .offset:         162
        .size:           2
        .value_kind:     hidden_remainder_x
      - .offset:         164
        .size:           2
        .value_kind:     hidden_remainder_y
      - .offset:         166
        .size:           2
        .value_kind:     hidden_remainder_z
      - .offset:         184
        .size:           8
        .value_kind:     hidden_global_offset_x
      - .offset:         192
        .size:           8
        .value_kind:     hidden_global_offset_y
      - .offset:         200
        .size:           8
        .value_kind:     hidden_global_offset_z
      - .offset:         208
        .size:           2
        .value_kind:     hidden_grid_dims
    .group_segment_fixed_size: 8192
    .kernarg_segment_align: 8
    .kernarg_segment_size: 400
    .language:       OpenCL C
    .language_version:
      - 2
      - 0
    .max_flat_workgroup_size: 256
    .name:           _Z39paged_attention_ll4mi_QKV_mfma16_kernelI14__hip_bfloat16S0_LN4vllm18Fp8KVCacheDataTypeE0ES0_Li32ELi128ELi256ELb1ELi16EL8MFMAType0EEvPKT_PKT0_S9_ifPKiSB_SB_iPKfiiiPfSE_PS4_PT2_iSD_SD_
    .private_segment_fixed_size: 12
    .sgpr_count:     52
    .sgpr_spill_count: 0
    .symbol:         _Z39paged_attention_ll4mi_QKV_mfma16_kernelI14__hip_bfloat16S0_LN4vllm18Fp8KVCacheDataTypeE0ES0_Li32ELi128ELi256ELb1ELi16EL8MFMAType0EEvPKT_PKT0_S9_ifPKiSB_SB_iPKfiiiPfSE_PS4_PT2_iSD_SD_.kd
    .uniform_work_group_size: 1
    .uses_dynamic_stack: false
    .vgpr_count:     96
    .vgpr_spill_count: 2
    .wavefront_size: 64
  - .agpr_count:     0
    .args:
      - .actual_access:  read_only
        .address_space:  global
        .offset:         0
        .size:           8
        .value_kind:     global_buffer
      - .actual_access:  read_only
        .address_space:  global
        .offset:         8
        .size:           8
        .value_kind:     global_buffer
      - .actual_access:  read_only
        .address_space:  global
        .offset:         16
        .size:           8
        .value_kind:     global_buffer
      - .offset:         24
        .size:           4
        .value_kind:     by_value
      - .offset:         28
        .size:           4
        .value_kind:     by_value
      - .actual_access:  read_only
        .address_space:  global
        .offset:         32
        .size:           8
        .value_kind:     global_buffer
      - .actual_access:  read_only
        .address_space:  global
        .offset:         40
        .size:           8
        .value_kind:     global_buffer
      - .actual_access:  read_only
        .address_space:  global
        .offset:         48
        .size:           8
        .value_kind:     global_buffer
      - .offset:         56
        .size:           4
        .value_kind:     by_value
      - .actual_access:  read_only
        .address_space:  global
        .offset:         64
        .size:           8
        .value_kind:     global_buffer
      - .offset:         72
        .size:           4
        .value_kind:     by_value
      - .offset:         76
        .size:           4
        .value_kind:     by_value
      - .offset:         80
        .size:           4
        .value_kind:     by_value
      - .actual_access:  write_only
        .address_space:  global
        .offset:         88
        .size:           8
        .value_kind:     global_buffer
      - .actual_access:  write_only
        .address_space:  global
        .offset:         96
        .size:           8
        .value_kind:     global_buffer
      - .actual_access:  write_only
        .address_space:  global
        .offset:         104
        .size:           8
        .value_kind:     global_buffer
      - .actual_access:  read_only
        .address_space:  global
        .offset:         112
        .size:           8
        .value_kind:     global_buffer
      - .offset:         120
        .size:           4
        .value_kind:     by_value
      - .address_space:  global
        .offset:         128
        .size:           8
        .value_kind:     global_buffer
      - .address_space:  global
        .offset:         136
        .size:           8
        .value_kind:     global_buffer
      - .offset:         144
        .size:           4
        .value_kind:     hidden_block_count_x
      - .offset:         148
        .size:           4
        .value_kind:     hidden_block_count_y
      - .offset:         152
        .size:           4
        .value_kind:     hidden_block_count_z
      - .offset:         156
        .size:           2
        .value_kind:     hidden_group_size_x
      - .offset:         158
        .size:           2
        .value_kind:     hidden_group_size_y
      - .offset:         160
        .size:           2
        .value_kind:     hidden_group_size_z
      - .offset:         162
        .size:           2
        .value_kind:     hidden_remainder_x
      - .offset:         164
        .size:           2
        .value_kind:     hidden_remainder_y
      - .offset:         166
        .size:           2
        .value_kind:     hidden_remainder_z
      - .offset:         184
        .size:           8
        .value_kind:     hidden_global_offset_x
      - .offset:         192
        .size:           8
        .value_kind:     hidden_global_offset_y
      - .offset:         200
        .size:           8
        .value_kind:     hidden_global_offset_z
      - .offset:         208
        .size:           2
        .value_kind:     hidden_grid_dims
    .group_segment_fixed_size: 8192
    .kernarg_segment_align: 8
    .kernarg_segment_size: 400
    .language:       OpenCL C
    .language_version:
      - 2
      - 0
    .max_flat_workgroup_size: 256
    .name:           _Z39paged_attention_ll4mi_QKV_mfma16_kernelI14__hip_bfloat16S0_LN4vllm18Fp8KVCacheDataTypeE0ES0_Li32ELi128ELi256ELb1ELi1EL8MFMAType0EEvPKT_PKT0_S9_ifPKiSB_SB_iPKfiiiPfSE_PS4_PT2_iSD_SD_
    .private_segment_fixed_size: 12
    .sgpr_count:     52
    .sgpr_spill_count: 0
    .symbol:         _Z39paged_attention_ll4mi_QKV_mfma16_kernelI14__hip_bfloat16S0_LN4vllm18Fp8KVCacheDataTypeE0ES0_Li32ELi128ELi256ELb1ELi1EL8MFMAType0EEvPKT_PKT0_S9_ifPKiSB_SB_iPKfiiiPfSE_PS4_PT2_iSD_SD_.kd
    .uniform_work_group_size: 1
    .uses_dynamic_stack: false
    .vgpr_count:     96
    .vgpr_spill_count: 2
    .wavefront_size: 64
  - .agpr_count:     0
    .args:
      - .actual_access:  read_only
        .address_space:  global
        .offset:         0
        .size:           8
        .value_kind:     global_buffer
      - .actual_access:  read_only
        .address_space:  global
        .offset:         8
        .size:           8
        .value_kind:     global_buffer
      - .actual_access:  read_only
        .address_space:  global
        .offset:         16
        .size:           8
        .value_kind:     global_buffer
      - .offset:         24
        .size:           4
        .value_kind:     by_value
      - .offset:         28
        .size:           4
        .value_kind:     by_value
      - .actual_access:  read_only
        .address_space:  global
        .offset:         32
        .size:           8
        .value_kind:     global_buffer
      - .actual_access:  read_only
        .address_space:  global
        .offset:         40
        .size:           8
        .value_kind:     global_buffer
      - .actual_access:  read_only
        .address_space:  global
        .offset:         48
        .size:           8
        .value_kind:     global_buffer
      - .offset:         56
        .size:           4
        .value_kind:     by_value
      - .actual_access:  read_only
        .address_space:  global
        .offset:         64
        .size:           8
        .value_kind:     global_buffer
      - .offset:         72
        .size:           4
        .value_kind:     by_value
      - .offset:         76
        .size:           4
        .value_kind:     by_value
      - .offset:         80
        .size:           4
        .value_kind:     by_value
      - .actual_access:  write_only
        .address_space:  global
        .offset:         88
        .size:           8
        .value_kind:     global_buffer
      - .actual_access:  write_only
        .address_space:  global
        .offset:         96
        .size:           8
        .value_kind:     global_buffer
      - .actual_access:  write_only
        .address_space:  global
        .offset:         104
        .size:           8
        .value_kind:     global_buffer
      - .actual_access:  read_only
        .address_space:  global
        .offset:         112
        .size:           8
        .value_kind:     global_buffer
      - .offset:         120
        .size:           4
        .value_kind:     by_value
      - .address_space:  global
        .offset:         128
        .size:           8
        .value_kind:     global_buffer
      - .address_space:  global
        .offset:         136
        .size:           8
        .value_kind:     global_buffer
      - .offset:         144
        .size:           4
        .value_kind:     hidden_block_count_x
      - .offset:         148
        .size:           4
        .value_kind:     hidden_block_count_y
      - .offset:         152
        .size:           4
        .value_kind:     hidden_block_count_z
      - .offset:         156
        .size:           2
        .value_kind:     hidden_group_size_x
      - .offset:         158
        .size:           2
        .value_kind:     hidden_group_size_y
      - .offset:         160
        .size:           2
        .value_kind:     hidden_group_size_z
      - .offset:         162
        .size:           2
        .value_kind:     hidden_remainder_x
      - .offset:         164
        .size:           2
        .value_kind:     hidden_remainder_y
      - .offset:         166
        .size:           2
        .value_kind:     hidden_remainder_z
      - .offset:         184
        .size:           8
        .value_kind:     hidden_global_offset_x
      - .offset:         192
        .size:           8
        .value_kind:     hidden_global_offset_y
      - .offset:         200
        .size:           8
        .value_kind:     hidden_global_offset_z
      - .offset:         208
        .size:           2
        .value_kind:     hidden_grid_dims
    .group_segment_fixed_size: 8192
    .kernarg_segment_align: 8
    .kernarg_segment_size: 400
    .language:       OpenCL C
    .language_version:
      - 2
      - 0
    .max_flat_workgroup_size: 256
    .name:           _Z39paged_attention_ll4mi_QKV_mfma16_kernelI14__hip_bfloat16S0_LN4vllm18Fp8KVCacheDataTypeE0ES0_Li32ELi128ELi256ELb1ELi2EL8MFMAType0EEvPKT_PKT0_S9_ifPKiSB_SB_iPKfiiiPfSE_PS4_PT2_iSD_SD_
    .private_segment_fixed_size: 12
    .sgpr_count:     52
    .sgpr_spill_count: 0
    .symbol:         _Z39paged_attention_ll4mi_QKV_mfma16_kernelI14__hip_bfloat16S0_LN4vllm18Fp8KVCacheDataTypeE0ES0_Li32ELi128ELi256ELb1ELi2EL8MFMAType0EEvPKT_PKT0_S9_ifPKiSB_SB_iPKfiiiPfSE_PS4_PT2_iSD_SD_.kd
    .uniform_work_group_size: 1
    .uses_dynamic_stack: false
    .vgpr_count:     96
    .vgpr_spill_count: 2
    .wavefront_size: 64
  - .agpr_count:     0
    .args:
      - .actual_access:  read_only
        .address_space:  global
        .offset:         0
        .size:           8
        .value_kind:     global_buffer
      - .actual_access:  read_only
        .address_space:  global
        .offset:         8
        .size:           8
        .value_kind:     global_buffer
      - .actual_access:  read_only
        .address_space:  global
        .offset:         16
        .size:           8
        .value_kind:     global_buffer
      - .offset:         24
        .size:           4
        .value_kind:     by_value
      - .offset:         28
        .size:           4
        .value_kind:     by_value
      - .actual_access:  read_only
        .address_space:  global
        .offset:         32
        .size:           8
        .value_kind:     global_buffer
      - .actual_access:  read_only
        .address_space:  global
        .offset:         40
        .size:           8
        .value_kind:     global_buffer
      - .actual_access:  read_only
        .address_space:  global
        .offset:         48
        .size:           8
        .value_kind:     global_buffer
      - .offset:         56
        .size:           4
        .value_kind:     by_value
      - .actual_access:  read_only
        .address_space:  global
        .offset:         64
        .size:           8
        .value_kind:     global_buffer
      - .offset:         72
        .size:           4
        .value_kind:     by_value
      - .offset:         76
        .size:           4
        .value_kind:     by_value
      - .offset:         80
        .size:           4
        .value_kind:     by_value
      - .actual_access:  write_only
        .address_space:  global
        .offset:         88
        .size:           8
        .value_kind:     global_buffer
      - .actual_access:  write_only
        .address_space:  global
        .offset:         96
        .size:           8
        .value_kind:     global_buffer
      - .actual_access:  write_only
        .address_space:  global
        .offset:         104
        .size:           8
        .value_kind:     global_buffer
      - .actual_access:  read_only
        .address_space:  global
        .offset:         112
        .size:           8
        .value_kind:     global_buffer
      - .offset:         120
        .size:           4
        .value_kind:     by_value
      - .address_space:  global
        .offset:         128
        .size:           8
        .value_kind:     global_buffer
      - .address_space:  global
        .offset:         136
        .size:           8
        .value_kind:     global_buffer
      - .offset:         144
        .size:           4
        .value_kind:     hidden_block_count_x
      - .offset:         148
        .size:           4
        .value_kind:     hidden_block_count_y
      - .offset:         152
        .size:           4
        .value_kind:     hidden_block_count_z
      - .offset:         156
        .size:           2
        .value_kind:     hidden_group_size_x
      - .offset:         158
        .size:           2
        .value_kind:     hidden_group_size_y
      - .offset:         160
        .size:           2
        .value_kind:     hidden_group_size_z
      - .offset:         162
        .size:           2
        .value_kind:     hidden_remainder_x
      - .offset:         164
        .size:           2
        .value_kind:     hidden_remainder_y
      - .offset:         166
        .size:           2
        .value_kind:     hidden_remainder_z
      - .offset:         184
        .size:           8
        .value_kind:     hidden_global_offset_x
      - .offset:         192
        .size:           8
        .value_kind:     hidden_global_offset_y
      - .offset:         200
        .size:           8
        .value_kind:     hidden_global_offset_z
      - .offset:         208
        .size:           2
        .value_kind:     hidden_grid_dims
    .group_segment_fixed_size: 8192
    .kernarg_segment_align: 8
    .kernarg_segment_size: 400
    .language:       OpenCL C
    .language_version:
      - 2
      - 0
    .max_flat_workgroup_size: 256
    .name:           _Z39paged_attention_ll4mi_QKV_mfma16_kernelI14__hip_bfloat16S0_LN4vllm18Fp8KVCacheDataTypeE0ES0_Li32ELi128ELi256ELb1ELi3EL8MFMAType0EEvPKT_PKT0_S9_ifPKiSB_SB_iPKfiiiPfSE_PS4_PT2_iSD_SD_
    .private_segment_fixed_size: 16
    .sgpr_count:     52
    .sgpr_spill_count: 0
    .symbol:         _Z39paged_attention_ll4mi_QKV_mfma16_kernelI14__hip_bfloat16S0_LN4vllm18Fp8KVCacheDataTypeE0ES0_Li32ELi128ELi256ELb1ELi3EL8MFMAType0EEvPKT_PKT0_S9_ifPKiSB_SB_iPKfiiiPfSE_PS4_PT2_iSD_SD_.kd
    .uniform_work_group_size: 1
    .uses_dynamic_stack: false
    .vgpr_count:     96
    .vgpr_spill_count: 3
    .wavefront_size: 64
  - .agpr_count:     0
    .args:
      - .actual_access:  read_only
        .address_space:  global
        .offset:         0
        .size:           8
        .value_kind:     global_buffer
      - .actual_access:  read_only
        .address_space:  global
        .offset:         8
        .size:           8
        .value_kind:     global_buffer
      - .actual_access:  read_only
        .address_space:  global
        .offset:         16
        .size:           8
        .value_kind:     global_buffer
      - .offset:         24
        .size:           4
        .value_kind:     by_value
      - .offset:         28
        .size:           4
        .value_kind:     by_value
      - .actual_access:  read_only
        .address_space:  global
        .offset:         32
        .size:           8
        .value_kind:     global_buffer
      - .actual_access:  read_only
        .address_space:  global
        .offset:         40
        .size:           8
        .value_kind:     global_buffer
      - .actual_access:  read_only
        .address_space:  global
        .offset:         48
        .size:           8
        .value_kind:     global_buffer
      - .offset:         56
        .size:           4
        .value_kind:     by_value
      - .actual_access:  read_only
        .address_space:  global
        .offset:         64
        .size:           8
        .value_kind:     global_buffer
      - .offset:         72
        .size:           4
        .value_kind:     by_value
      - .offset:         76
        .size:           4
        .value_kind:     by_value
      - .offset:         80
        .size:           4
        .value_kind:     by_value
      - .actual_access:  write_only
        .address_space:  global
        .offset:         88
        .size:           8
        .value_kind:     global_buffer
      - .actual_access:  write_only
        .address_space:  global
        .offset:         96
        .size:           8
        .value_kind:     global_buffer
      - .actual_access:  write_only
        .address_space:  global
        .offset:         104
        .size:           8
        .value_kind:     global_buffer
      - .actual_access:  read_only
        .address_space:  global
        .offset:         112
        .size:           8
        .value_kind:     global_buffer
      - .offset:         120
        .size:           4
        .value_kind:     by_value
      - .address_space:  global
        .offset:         128
        .size:           8
        .value_kind:     global_buffer
      - .address_space:  global
        .offset:         136
        .size:           8
        .value_kind:     global_buffer
      - .offset:         144
        .size:           4
        .value_kind:     hidden_block_count_x
      - .offset:         148
        .size:           4
        .value_kind:     hidden_block_count_y
      - .offset:         152
        .size:           4
        .value_kind:     hidden_block_count_z
      - .offset:         156
        .size:           2
        .value_kind:     hidden_group_size_x
      - .offset:         158
        .size:           2
        .value_kind:     hidden_group_size_y
      - .offset:         160
        .size:           2
        .value_kind:     hidden_group_size_z
      - .offset:         162
        .size:           2
        .value_kind:     hidden_remainder_x
      - .offset:         164
        .size:           2
        .value_kind:     hidden_remainder_y
      - .offset:         166
        .size:           2
        .value_kind:     hidden_remainder_z
      - .offset:         184
        .size:           8
        .value_kind:     hidden_global_offset_x
      - .offset:         192
        .size:           8
        .value_kind:     hidden_global_offset_y
      - .offset:         200
        .size:           8
        .value_kind:     hidden_global_offset_z
      - .offset:         208
        .size:           2
        .value_kind:     hidden_grid_dims
    .group_segment_fixed_size: 8192
    .kernarg_segment_align: 8
    .kernarg_segment_size: 400
    .language:       OpenCL C
    .language_version:
      - 2
      - 0
    .max_flat_workgroup_size: 256
    .name:           _Z39paged_attention_ll4mi_QKV_mfma16_kernelI14__hip_bfloat16S0_LN4vllm18Fp8KVCacheDataTypeE0ES0_Li32ELi128ELi256ELb1ELi4EL8MFMAType0EEvPKT_PKT0_S9_ifPKiSB_SB_iPKfiiiPfSE_PS4_PT2_iSD_SD_
    .private_segment_fixed_size: 20
    .sgpr_count:     52
    .sgpr_spill_count: 0
    .symbol:         _Z39paged_attention_ll4mi_QKV_mfma16_kernelI14__hip_bfloat16S0_LN4vllm18Fp8KVCacheDataTypeE0ES0_Li32ELi128ELi256ELb1ELi4EL8MFMAType0EEvPKT_PKT0_S9_ifPKiSB_SB_iPKfiiiPfSE_PS4_PT2_iSD_SD_.kd
    .uniform_work_group_size: 1
    .uses_dynamic_stack: false
    .vgpr_count:     96
    .vgpr_spill_count: 4
    .wavefront_size: 64
  - .agpr_count:     8
    .args:
      - .actual_access:  read_only
        .address_space:  global
        .offset:         0
        .size:           8
        .value_kind:     global_buffer
      - .actual_access:  read_only
        .address_space:  global
        .offset:         8
        .size:           8
        .value_kind:     global_buffer
      - .actual_access:  read_only
        .address_space:  global
        .offset:         16
        .size:           8
        .value_kind:     global_buffer
      - .offset:         24
        .size:           4
        .value_kind:     by_value
      - .offset:         28
        .size:           4
        .value_kind:     by_value
      - .actual_access:  read_only
        .address_space:  global
        .offset:         32
        .size:           8
        .value_kind:     global_buffer
      - .actual_access:  read_only
        .address_space:  global
        .offset:         40
        .size:           8
        .value_kind:     global_buffer
      - .actual_access:  read_only
        .address_space:  global
        .offset:         48
        .size:           8
        .value_kind:     global_buffer
      - .offset:         56
        .size:           4
        .value_kind:     by_value
      - .actual_access:  read_only
        .address_space:  global
        .offset:         64
        .size:           8
        .value_kind:     global_buffer
      - .offset:         72
        .size:           4
        .value_kind:     by_value
      - .offset:         76
        .size:           4
        .value_kind:     by_value
      - .offset:         80
        .size:           4
        .value_kind:     by_value
      - .actual_access:  write_only
        .address_space:  global
        .offset:         88
        .size:           8
        .value_kind:     global_buffer
      - .actual_access:  write_only
        .address_space:  global
        .offset:         96
        .size:           8
        .value_kind:     global_buffer
      - .actual_access:  write_only
        .address_space:  global
        .offset:         104
        .size:           8
        .value_kind:     global_buffer
      - .actual_access:  read_only
        .address_space:  global
        .offset:         112
        .size:           8
        .value_kind:     global_buffer
      - .offset:         120
        .size:           4
        .value_kind:     by_value
      - .address_space:  global
        .offset:         128
        .size:           8
        .value_kind:     global_buffer
      - .address_space:  global
        .offset:         136
        .size:           8
        .value_kind:     global_buffer
      - .offset:         144
        .size:           4
        .value_kind:     hidden_block_count_x
      - .offset:         148
        .size:           4
        .value_kind:     hidden_block_count_y
      - .offset:         152
        .size:           4
        .value_kind:     hidden_block_count_z
      - .offset:         156
        .size:           2
        .value_kind:     hidden_group_size_x
      - .offset:         158
        .size:           2
        .value_kind:     hidden_group_size_y
      - .offset:         160
        .size:           2
        .value_kind:     hidden_group_size_z
      - .offset:         162
        .size:           2
        .value_kind:     hidden_remainder_x
      - .offset:         164
        .size:           2
        .value_kind:     hidden_remainder_y
      - .offset:         166
        .size:           2
        .value_kind:     hidden_remainder_z
      - .offset:         184
        .size:           8
        .value_kind:     hidden_global_offset_x
      - .offset:         192
        .size:           8
        .value_kind:     hidden_global_offset_y
      - .offset:         200
        .size:           8
        .value_kind:     hidden_global_offset_z
      - .offset:         208
        .size:           2
        .value_kind:     hidden_grid_dims
    .group_segment_fixed_size: 5280
    .kernarg_segment_align: 8
    .kernarg_segment_size: 400
    .language:       OpenCL C
    .language_version:
      - 2
      - 0
    .max_flat_workgroup_size: 256
    .name:           _Z38paged_attention_ll4mi_QKV_mfma4_kernelI14__hip_bfloat16S0_LN4vllm18Fp8KVCacheDataTypeE0ES0_Li32ELi128ELi256ELb0ELi1EEvPKT_PKT0_S8_ifPKiSA_SA_iPKfiiiPfSD_PS3_PT2_iSC_SC_
    .private_segment_fixed_size: 0
    .sgpr_count:     42
    .sgpr_spill_count: 0
    .symbol:         _Z38paged_attention_ll4mi_QKV_mfma4_kernelI14__hip_bfloat16S0_LN4vllm18Fp8KVCacheDataTypeE0ES0_Li32ELi128ELi256ELb0ELi1EEvPKT_PKT0_S8_ifPKiSA_SA_iPKfiiiPfSD_PS3_PT2_iSC_SC_.kd
    .uniform_work_group_size: 1
    .uses_dynamic_stack: false
    .vgpr_count:     96
    .vgpr_spill_count: 0
    .wavefront_size: 64
  - .agpr_count:     8
    .args:
      - .actual_access:  read_only
        .address_space:  global
        .offset:         0
        .size:           8
        .value_kind:     global_buffer
      - .actual_access:  read_only
        .address_space:  global
        .offset:         8
        .size:           8
        .value_kind:     global_buffer
      - .actual_access:  read_only
        .address_space:  global
        .offset:         16
        .size:           8
        .value_kind:     global_buffer
      - .offset:         24
        .size:           4
        .value_kind:     by_value
      - .offset:         28
        .size:           4
        .value_kind:     by_value
      - .actual_access:  read_only
        .address_space:  global
        .offset:         32
        .size:           8
        .value_kind:     global_buffer
      - .actual_access:  read_only
        .address_space:  global
        .offset:         40
        .size:           8
        .value_kind:     global_buffer
      - .actual_access:  read_only
        .address_space:  global
        .offset:         48
        .size:           8
        .value_kind:     global_buffer
      - .offset:         56
        .size:           4
        .value_kind:     by_value
      - .actual_access:  read_only
        .address_space:  global
        .offset:         64
        .size:           8
        .value_kind:     global_buffer
      - .offset:         72
        .size:           4
        .value_kind:     by_value
      - .offset:         76
        .size:           4
        .value_kind:     by_value
      - .offset:         80
        .size:           4
        .value_kind:     by_value
      - .actual_access:  write_only
        .address_space:  global
        .offset:         88
        .size:           8
        .value_kind:     global_buffer
      - .actual_access:  write_only
        .address_space:  global
        .offset:         96
        .size:           8
        .value_kind:     global_buffer
      - .actual_access:  write_only
        .address_space:  global
        .offset:         104
        .size:           8
        .value_kind:     global_buffer
      - .actual_access:  read_only
        .address_space:  global
        .offset:         112
        .size:           8
        .value_kind:     global_buffer
      - .offset:         120
        .size:           4
        .value_kind:     by_value
      - .address_space:  global
        .offset:         128
        .size:           8
        .value_kind:     global_buffer
      - .address_space:  global
        .offset:         136
        .size:           8
        .value_kind:     global_buffer
      - .offset:         144
        .size:           4
        .value_kind:     hidden_block_count_x
      - .offset:         148
        .size:           4
        .value_kind:     hidden_block_count_y
      - .offset:         152
        .size:           4
        .value_kind:     hidden_block_count_z
      - .offset:         156
        .size:           2
        .value_kind:     hidden_group_size_x
      - .offset:         158
        .size:           2
        .value_kind:     hidden_group_size_y
      - .offset:         160
        .size:           2
        .value_kind:     hidden_group_size_z
      - .offset:         162
        .size:           2
        .value_kind:     hidden_remainder_x
      - .offset:         164
        .size:           2
        .value_kind:     hidden_remainder_y
      - .offset:         166
        .size:           2
        .value_kind:     hidden_remainder_z
      - .offset:         184
        .size:           8
        .value_kind:     hidden_global_offset_x
      - .offset:         192
        .size:           8
        .value_kind:     hidden_global_offset_y
      - .offset:         200
        .size:           8
        .value_kind:     hidden_global_offset_z
      - .offset:         208
        .size:           2
        .value_kind:     hidden_grid_dims
    .group_segment_fixed_size: 5280
    .kernarg_segment_align: 8
    .kernarg_segment_size: 400
    .language:       OpenCL C
    .language_version:
      - 2
      - 0
    .max_flat_workgroup_size: 256
    .name:           _Z38paged_attention_ll4mi_QKV_mfma4_kernelI14__hip_bfloat16S0_LN4vllm18Fp8KVCacheDataTypeE0ES0_Li32ELi128ELi256ELb0ELi2EEvPKT_PKT0_S8_ifPKiSA_SA_iPKfiiiPfSD_PS3_PT2_iSC_SC_
    .private_segment_fixed_size: 0
    .sgpr_count:     42
    .sgpr_spill_count: 0
    .symbol:         _Z38paged_attention_ll4mi_QKV_mfma4_kernelI14__hip_bfloat16S0_LN4vllm18Fp8KVCacheDataTypeE0ES0_Li32ELi128ELi256ELb0ELi2EEvPKT_PKT0_S8_ifPKiSA_SA_iPKfiiiPfSD_PS3_PT2_iSC_SC_.kd
    .uniform_work_group_size: 1
    .uses_dynamic_stack: false
    .vgpr_count:     96
    .vgpr_spill_count: 0
    .wavefront_size: 64
  - .agpr_count:     8
    .args:
      - .actual_access:  read_only
        .address_space:  global
        .offset:         0
        .size:           8
        .value_kind:     global_buffer
      - .actual_access:  read_only
        .address_space:  global
        .offset:         8
        .size:           8
        .value_kind:     global_buffer
      - .actual_access:  read_only
        .address_space:  global
        .offset:         16
        .size:           8
        .value_kind:     global_buffer
      - .offset:         24
        .size:           4
        .value_kind:     by_value
      - .offset:         28
        .size:           4
        .value_kind:     by_value
      - .actual_access:  read_only
        .address_space:  global
        .offset:         32
        .size:           8
        .value_kind:     global_buffer
      - .actual_access:  read_only
        .address_space:  global
        .offset:         40
        .size:           8
        .value_kind:     global_buffer
      - .actual_access:  read_only
        .address_space:  global
        .offset:         48
        .size:           8
        .value_kind:     global_buffer
      - .offset:         56
        .size:           4
        .value_kind:     by_value
      - .actual_access:  read_only
        .address_space:  global
        .offset:         64
        .size:           8
        .value_kind:     global_buffer
      - .offset:         72
        .size:           4
        .value_kind:     by_value
      - .offset:         76
        .size:           4
        .value_kind:     by_value
      - .offset:         80
        .size:           4
        .value_kind:     by_value
      - .actual_access:  write_only
        .address_space:  global
        .offset:         88
        .size:           8
        .value_kind:     global_buffer
      - .actual_access:  write_only
        .address_space:  global
        .offset:         96
        .size:           8
        .value_kind:     global_buffer
      - .actual_access:  write_only
        .address_space:  global
        .offset:         104
        .size:           8
        .value_kind:     global_buffer
      - .actual_access:  read_only
        .address_space:  global
        .offset:         112
        .size:           8
        .value_kind:     global_buffer
      - .offset:         120
        .size:           4
        .value_kind:     by_value
      - .address_space:  global
        .offset:         128
        .size:           8
        .value_kind:     global_buffer
      - .address_space:  global
        .offset:         136
        .size:           8
        .value_kind:     global_buffer
      - .offset:         144
        .size:           4
        .value_kind:     hidden_block_count_x
      - .offset:         148
        .size:           4
        .value_kind:     hidden_block_count_y
      - .offset:         152
        .size:           4
        .value_kind:     hidden_block_count_z
      - .offset:         156
        .size:           2
        .value_kind:     hidden_group_size_x
      - .offset:         158
        .size:           2
        .value_kind:     hidden_group_size_y
      - .offset:         160
        .size:           2
        .value_kind:     hidden_group_size_z
      - .offset:         162
        .size:           2
        .value_kind:     hidden_remainder_x
      - .offset:         164
        .size:           2
        .value_kind:     hidden_remainder_y
      - .offset:         166
        .size:           2
        .value_kind:     hidden_remainder_z
      - .offset:         184
        .size:           8
        .value_kind:     hidden_global_offset_x
      - .offset:         192
        .size:           8
        .value_kind:     hidden_global_offset_y
      - .offset:         200
        .size:           8
        .value_kind:     hidden_global_offset_z
      - .offset:         208
        .size:           2
        .value_kind:     hidden_grid_dims
    .group_segment_fixed_size: 5280
    .kernarg_segment_align: 8
    .kernarg_segment_size: 400
    .language:       OpenCL C
    .language_version:
      - 2
      - 0
    .max_flat_workgroup_size: 256
    .name:           _Z38paged_attention_ll4mi_QKV_mfma4_kernelI14__hip_bfloat16S0_LN4vllm18Fp8KVCacheDataTypeE0ES0_Li32ELi128ELi256ELb0ELi3EEvPKT_PKT0_S8_ifPKiSA_SA_iPKfiiiPfSD_PS3_PT2_iSC_SC_
    .private_segment_fixed_size: 0
    .sgpr_count:     42
    .sgpr_spill_count: 0
    .symbol:         _Z38paged_attention_ll4mi_QKV_mfma4_kernelI14__hip_bfloat16S0_LN4vllm18Fp8KVCacheDataTypeE0ES0_Li32ELi128ELi256ELb0ELi3EEvPKT_PKT0_S8_ifPKiSA_SA_iPKfiiiPfSD_PS3_PT2_iSC_SC_.kd
    .uniform_work_group_size: 1
    .uses_dynamic_stack: false
    .vgpr_count:     96
    .vgpr_spill_count: 0
    .wavefront_size: 64
  - .agpr_count:     8
    .args:
      - .actual_access:  read_only
        .address_space:  global
        .offset:         0
        .size:           8
        .value_kind:     global_buffer
      - .actual_access:  read_only
        .address_space:  global
        .offset:         8
        .size:           8
        .value_kind:     global_buffer
      - .actual_access:  read_only
        .address_space:  global
        .offset:         16
        .size:           8
        .value_kind:     global_buffer
      - .offset:         24
        .size:           4
        .value_kind:     by_value
      - .offset:         28
        .size:           4
        .value_kind:     by_value
      - .actual_access:  read_only
        .address_space:  global
        .offset:         32
        .size:           8
        .value_kind:     global_buffer
      - .actual_access:  read_only
        .address_space:  global
        .offset:         40
        .size:           8
        .value_kind:     global_buffer
      - .actual_access:  read_only
        .address_space:  global
        .offset:         48
        .size:           8
        .value_kind:     global_buffer
      - .offset:         56
        .size:           4
        .value_kind:     by_value
      - .actual_access:  read_only
        .address_space:  global
        .offset:         64
        .size:           8
        .value_kind:     global_buffer
      - .offset:         72
        .size:           4
        .value_kind:     by_value
      - .offset:         76
        .size:           4
        .value_kind:     by_value
      - .offset:         80
        .size:           4
        .value_kind:     by_value
      - .actual_access:  write_only
        .address_space:  global
        .offset:         88
        .size:           8
        .value_kind:     global_buffer
      - .actual_access:  write_only
        .address_space:  global
        .offset:         96
        .size:           8
        .value_kind:     global_buffer
      - .actual_access:  write_only
        .address_space:  global
        .offset:         104
        .size:           8
        .value_kind:     global_buffer
      - .actual_access:  read_only
        .address_space:  global
        .offset:         112
        .size:           8
        .value_kind:     global_buffer
      - .offset:         120
        .size:           4
        .value_kind:     by_value
      - .address_space:  global
        .offset:         128
        .size:           8
        .value_kind:     global_buffer
      - .address_space:  global
        .offset:         136
        .size:           8
        .value_kind:     global_buffer
      - .offset:         144
        .size:           4
        .value_kind:     hidden_block_count_x
      - .offset:         148
        .size:           4
        .value_kind:     hidden_block_count_y
      - .offset:         152
        .size:           4
        .value_kind:     hidden_block_count_z
      - .offset:         156
        .size:           2
        .value_kind:     hidden_group_size_x
      - .offset:         158
        .size:           2
        .value_kind:     hidden_group_size_y
      - .offset:         160
        .size:           2
        .value_kind:     hidden_group_size_z
      - .offset:         162
        .size:           2
        .value_kind:     hidden_remainder_x
      - .offset:         164
        .size:           2
        .value_kind:     hidden_remainder_y
      - .offset:         166
        .size:           2
        .value_kind:     hidden_remainder_z
      - .offset:         184
        .size:           8
        .value_kind:     hidden_global_offset_x
      - .offset:         192
        .size:           8
        .value_kind:     hidden_global_offset_y
      - .offset:         200
        .size:           8
        .value_kind:     hidden_global_offset_z
      - .offset:         208
        .size:           2
        .value_kind:     hidden_grid_dims
    .group_segment_fixed_size: 5280
    .kernarg_segment_align: 8
    .kernarg_segment_size: 400
    .language:       OpenCL C
    .language_version:
      - 2
      - 0
    .max_flat_workgroup_size: 256
    .name:           _Z38paged_attention_ll4mi_QKV_mfma4_kernelI14__hip_bfloat16S0_LN4vllm18Fp8KVCacheDataTypeE0ES0_Li32ELi128ELi256ELb0ELi4EEvPKT_PKT0_S8_ifPKiSA_SA_iPKfiiiPfSD_PS3_PT2_iSC_SC_
    .private_segment_fixed_size: 0
    .sgpr_count:     42
    .sgpr_spill_count: 0
    .symbol:         _Z38paged_attention_ll4mi_QKV_mfma4_kernelI14__hip_bfloat16S0_LN4vllm18Fp8KVCacheDataTypeE0ES0_Li32ELi128ELi256ELb0ELi4EEvPKT_PKT0_S8_ifPKiSA_SA_iPKfiiiPfSD_PS3_PT2_iSC_SC_.kd
    .uniform_work_group_size: 1
    .uses_dynamic_stack: false
    .vgpr_count:     96
    .vgpr_spill_count: 0
    .wavefront_size: 64
  - .agpr_count:     0
    .args:
      - .actual_access:  read_only
        .address_space:  global
        .offset:         0
        .size:           8
        .value_kind:     global_buffer
      - .actual_access:  read_only
        .address_space:  global
        .offset:         8
        .size:           8
        .value_kind:     global_buffer
      - .actual_access:  read_only
        .address_space:  global
        .offset:         16
        .size:           8
        .value_kind:     global_buffer
      - .offset:         24
        .size:           4
        .value_kind:     by_value
      - .offset:         28
        .size:           4
        .value_kind:     by_value
      - .actual_access:  read_only
        .address_space:  global
        .offset:         32
        .size:           8
        .value_kind:     global_buffer
      - .actual_access:  read_only
        .address_space:  global
        .offset:         40
        .size:           8
        .value_kind:     global_buffer
      - .actual_access:  read_only
        .address_space:  global
        .offset:         48
        .size:           8
        .value_kind:     global_buffer
      - .offset:         56
        .size:           4
        .value_kind:     by_value
      - .actual_access:  read_only
        .address_space:  global
        .offset:         64
        .size:           8
        .value_kind:     global_buffer
      - .offset:         72
        .size:           4
        .value_kind:     by_value
      - .offset:         76
        .size:           4
        .value_kind:     by_value
      - .offset:         80
        .size:           4
        .value_kind:     by_value
      - .actual_access:  write_only
        .address_space:  global
        .offset:         88
        .size:           8
        .value_kind:     global_buffer
      - .actual_access:  write_only
        .address_space:  global
        .offset:         96
        .size:           8
        .value_kind:     global_buffer
      - .actual_access:  write_only
        .address_space:  global
        .offset:         104
        .size:           8
        .value_kind:     global_buffer
      - .actual_access:  read_only
        .address_space:  global
        .offset:         112
        .size:           8
        .value_kind:     global_buffer
      - .offset:         120
        .size:           4
        .value_kind:     by_value
      - .address_space:  global
        .offset:         128
        .size:           8
        .value_kind:     global_buffer
      - .address_space:  global
        .offset:         136
        .size:           8
        .value_kind:     global_buffer
      - .offset:         144
        .size:           4
        .value_kind:     hidden_block_count_x
      - .offset:         148
        .size:           4
        .value_kind:     hidden_block_count_y
      - .offset:         152
        .size:           4
        .value_kind:     hidden_block_count_z
      - .offset:         156
        .size:           2
        .value_kind:     hidden_group_size_x
      - .offset:         158
        .size:           2
        .value_kind:     hidden_group_size_y
      - .offset:         160
        .size:           2
        .value_kind:     hidden_group_size_z
      - .offset:         162
        .size:           2
        .value_kind:     hidden_remainder_x
      - .offset:         164
        .size:           2
        .value_kind:     hidden_remainder_y
      - .offset:         166
        .size:           2
        .value_kind:     hidden_remainder_z
      - .offset:         184
        .size:           8
        .value_kind:     hidden_global_offset_x
      - .offset:         192
        .size:           8
        .value_kind:     hidden_global_offset_y
      - .offset:         200
        .size:           8
        .value_kind:     hidden_global_offset_z
      - .offset:         208
        .size:           2
        .value_kind:     hidden_grid_dims
    .group_segment_fixed_size: 8192
    .kernarg_segment_align: 8
    .kernarg_segment_size: 400
    .language:       OpenCL C
    .language_version:
      - 2
      - 0
    .max_flat_workgroup_size: 256
    .name:           _Z39paged_attention_ll4mi_QKV_mfma16_kernelI14__hip_bfloat16S0_LN4vllm18Fp8KVCacheDataTypeE0ES0_Li32ELi128ELi256ELb0ELi5EL8MFMAType0EEvPKT_PKT0_S9_ifPKiSB_SB_iPKfiiiPfSE_PS4_PT2_iSD_SD_
    .private_segment_fixed_size: 12
    .sgpr_count:     52
    .sgpr_spill_count: 0
    .symbol:         _Z39paged_attention_ll4mi_QKV_mfma16_kernelI14__hip_bfloat16S0_LN4vllm18Fp8KVCacheDataTypeE0ES0_Li32ELi128ELi256ELb0ELi5EL8MFMAType0EEvPKT_PKT0_S9_ifPKiSB_SB_iPKfiiiPfSE_PS4_PT2_iSD_SD_.kd
    .uniform_work_group_size: 1
    .uses_dynamic_stack: false
    .vgpr_count:     96
    .vgpr_spill_count: 2
    .wavefront_size: 64
  - .agpr_count:     0
    .args:
      - .actual_access:  read_only
        .address_space:  global
        .offset:         0
        .size:           8
        .value_kind:     global_buffer
      - .actual_access:  read_only
        .address_space:  global
        .offset:         8
        .size:           8
        .value_kind:     global_buffer
      - .actual_access:  read_only
        .address_space:  global
        .offset:         16
        .size:           8
        .value_kind:     global_buffer
      - .offset:         24
        .size:           4
        .value_kind:     by_value
      - .offset:         28
        .size:           4
        .value_kind:     by_value
      - .actual_access:  read_only
        .address_space:  global
        .offset:         32
        .size:           8
        .value_kind:     global_buffer
      - .actual_access:  read_only
        .address_space:  global
        .offset:         40
        .size:           8
        .value_kind:     global_buffer
      - .actual_access:  read_only
        .address_space:  global
        .offset:         48
        .size:           8
        .value_kind:     global_buffer
      - .offset:         56
        .size:           4
        .value_kind:     by_value
      - .actual_access:  read_only
        .address_space:  global
        .offset:         64
        .size:           8
        .value_kind:     global_buffer
      - .offset:         72
        .size:           4
        .value_kind:     by_value
      - .offset:         76
        .size:           4
        .value_kind:     by_value
      - .offset:         80
        .size:           4
        .value_kind:     by_value
      - .actual_access:  write_only
        .address_space:  global
        .offset:         88
        .size:           8
        .value_kind:     global_buffer
      - .actual_access:  write_only
        .address_space:  global
        .offset:         96
        .size:           8
        .value_kind:     global_buffer
      - .actual_access:  write_only
        .address_space:  global
        .offset:         104
        .size:           8
        .value_kind:     global_buffer
      - .actual_access:  read_only
        .address_space:  global
        .offset:         112
        .size:           8
        .value_kind:     global_buffer
      - .offset:         120
        .size:           4
        .value_kind:     by_value
      - .address_space:  global
        .offset:         128
        .size:           8
        .value_kind:     global_buffer
      - .address_space:  global
        .offset:         136
        .size:           8
        .value_kind:     global_buffer
      - .offset:         144
        .size:           4
        .value_kind:     hidden_block_count_x
      - .offset:         148
        .size:           4
        .value_kind:     hidden_block_count_y
      - .offset:         152
        .size:           4
        .value_kind:     hidden_block_count_z
      - .offset:         156
        .size:           2
        .value_kind:     hidden_group_size_x
      - .offset:         158
        .size:           2
        .value_kind:     hidden_group_size_y
      - .offset:         160
        .size:           2
        .value_kind:     hidden_group_size_z
      - .offset:         162
        .size:           2
        .value_kind:     hidden_remainder_x
      - .offset:         164
        .size:           2
        .value_kind:     hidden_remainder_y
      - .offset:         166
        .size:           2
        .value_kind:     hidden_remainder_z
      - .offset:         184
        .size:           8
        .value_kind:     hidden_global_offset_x
      - .offset:         192
        .size:           8
        .value_kind:     hidden_global_offset_y
      - .offset:         200
        .size:           8
        .value_kind:     hidden_global_offset_z
      - .offset:         208
        .size:           2
        .value_kind:     hidden_grid_dims
    .group_segment_fixed_size: 8192
    .kernarg_segment_align: 8
    .kernarg_segment_size: 400
    .language:       OpenCL C
    .language_version:
      - 2
      - 0
    .max_flat_workgroup_size: 256
    .name:           _Z39paged_attention_ll4mi_QKV_mfma16_kernelI14__hip_bfloat16S0_LN4vllm18Fp8KVCacheDataTypeE0ES0_Li32ELi128ELi256ELb0ELi6EL8MFMAType0EEvPKT_PKT0_S9_ifPKiSB_SB_iPKfiiiPfSE_PS4_PT2_iSD_SD_
    .private_segment_fixed_size: 12
    .sgpr_count:     52
    .sgpr_spill_count: 0
    .symbol:         _Z39paged_attention_ll4mi_QKV_mfma16_kernelI14__hip_bfloat16S0_LN4vllm18Fp8KVCacheDataTypeE0ES0_Li32ELi128ELi256ELb0ELi6EL8MFMAType0EEvPKT_PKT0_S9_ifPKiSB_SB_iPKfiiiPfSE_PS4_PT2_iSD_SD_.kd
    .uniform_work_group_size: 1
    .uses_dynamic_stack: false
    .vgpr_count:     96
    .vgpr_spill_count: 2
    .wavefront_size: 64
  - .agpr_count:     0
    .args:
      - .actual_access:  read_only
        .address_space:  global
        .offset:         0
        .size:           8
        .value_kind:     global_buffer
      - .actual_access:  read_only
        .address_space:  global
        .offset:         8
        .size:           8
        .value_kind:     global_buffer
      - .actual_access:  read_only
        .address_space:  global
        .offset:         16
        .size:           8
        .value_kind:     global_buffer
      - .offset:         24
        .size:           4
        .value_kind:     by_value
      - .offset:         28
        .size:           4
        .value_kind:     by_value
      - .actual_access:  read_only
        .address_space:  global
        .offset:         32
        .size:           8
        .value_kind:     global_buffer
      - .actual_access:  read_only
        .address_space:  global
        .offset:         40
        .size:           8
        .value_kind:     global_buffer
      - .actual_access:  read_only
        .address_space:  global
        .offset:         48
        .size:           8
        .value_kind:     global_buffer
      - .offset:         56
        .size:           4
        .value_kind:     by_value
      - .actual_access:  read_only
        .address_space:  global
        .offset:         64
        .size:           8
        .value_kind:     global_buffer
      - .offset:         72
        .size:           4
        .value_kind:     by_value
      - .offset:         76
        .size:           4
        .value_kind:     by_value
      - .offset:         80
        .size:           4
        .value_kind:     by_value
      - .actual_access:  write_only
        .address_space:  global
        .offset:         88
        .size:           8
        .value_kind:     global_buffer
      - .actual_access:  write_only
        .address_space:  global
        .offset:         96
        .size:           8
        .value_kind:     global_buffer
      - .actual_access:  write_only
        .address_space:  global
        .offset:         104
        .size:           8
        .value_kind:     global_buffer
      - .actual_access:  read_only
        .address_space:  global
        .offset:         112
        .size:           8
        .value_kind:     global_buffer
      - .offset:         120
        .size:           4
        .value_kind:     by_value
      - .address_space:  global
        .offset:         128
        .size:           8
        .value_kind:     global_buffer
      - .address_space:  global
        .offset:         136
        .size:           8
        .value_kind:     global_buffer
      - .offset:         144
        .size:           4
        .value_kind:     hidden_block_count_x
      - .offset:         148
        .size:           4
        .value_kind:     hidden_block_count_y
      - .offset:         152
        .size:           4
        .value_kind:     hidden_block_count_z
      - .offset:         156
        .size:           2
        .value_kind:     hidden_group_size_x
      - .offset:         158
        .size:           2
        .value_kind:     hidden_group_size_y
      - .offset:         160
        .size:           2
        .value_kind:     hidden_group_size_z
      - .offset:         162
        .size:           2
        .value_kind:     hidden_remainder_x
      - .offset:         164
        .size:           2
        .value_kind:     hidden_remainder_y
      - .offset:         166
        .size:           2
        .value_kind:     hidden_remainder_z
      - .offset:         184
        .size:           8
        .value_kind:     hidden_global_offset_x
      - .offset:         192
        .size:           8
        .value_kind:     hidden_global_offset_y
      - .offset:         200
        .size:           8
        .value_kind:     hidden_global_offset_z
      - .offset:         208
        .size:           2
        .value_kind:     hidden_grid_dims
    .group_segment_fixed_size: 8192
    .kernarg_segment_align: 8
    .kernarg_segment_size: 400
    .language:       OpenCL C
    .language_version:
      - 2
      - 0
    .max_flat_workgroup_size: 256
    .name:           _Z39paged_attention_ll4mi_QKV_mfma16_kernelI14__hip_bfloat16S0_LN4vllm18Fp8KVCacheDataTypeE0ES0_Li32ELi128ELi256ELb0ELi7EL8MFMAType0EEvPKT_PKT0_S9_ifPKiSB_SB_iPKfiiiPfSE_PS4_PT2_iSD_SD_
    .private_segment_fixed_size: 12
    .sgpr_count:     52
    .sgpr_spill_count: 0
    .symbol:         _Z39paged_attention_ll4mi_QKV_mfma16_kernelI14__hip_bfloat16S0_LN4vllm18Fp8KVCacheDataTypeE0ES0_Li32ELi128ELi256ELb0ELi7EL8MFMAType0EEvPKT_PKT0_S9_ifPKiSB_SB_iPKfiiiPfSE_PS4_PT2_iSD_SD_.kd
    .uniform_work_group_size: 1
    .uses_dynamic_stack: false
    .vgpr_count:     96
    .vgpr_spill_count: 2
    .wavefront_size: 64
  - .agpr_count:     0
    .args:
      - .actual_access:  read_only
        .address_space:  global
        .offset:         0
        .size:           8
        .value_kind:     global_buffer
      - .actual_access:  read_only
        .address_space:  global
        .offset:         8
        .size:           8
        .value_kind:     global_buffer
      - .actual_access:  read_only
        .address_space:  global
        .offset:         16
        .size:           8
        .value_kind:     global_buffer
      - .offset:         24
        .size:           4
        .value_kind:     by_value
      - .offset:         28
        .size:           4
        .value_kind:     by_value
      - .actual_access:  read_only
        .address_space:  global
        .offset:         32
        .size:           8
        .value_kind:     global_buffer
      - .actual_access:  read_only
        .address_space:  global
        .offset:         40
        .size:           8
        .value_kind:     global_buffer
      - .actual_access:  read_only
        .address_space:  global
        .offset:         48
        .size:           8
        .value_kind:     global_buffer
      - .offset:         56
        .size:           4
        .value_kind:     by_value
      - .actual_access:  read_only
        .address_space:  global
        .offset:         64
        .size:           8
        .value_kind:     global_buffer
      - .offset:         72
        .size:           4
        .value_kind:     by_value
      - .offset:         76
        .size:           4
        .value_kind:     by_value
      - .offset:         80
        .size:           4
        .value_kind:     by_value
      - .actual_access:  write_only
        .address_space:  global
        .offset:         88
        .size:           8
        .value_kind:     global_buffer
      - .actual_access:  write_only
        .address_space:  global
        .offset:         96
        .size:           8
        .value_kind:     global_buffer
      - .actual_access:  write_only
        .address_space:  global
        .offset:         104
        .size:           8
        .value_kind:     global_buffer
      - .actual_access:  read_only
        .address_space:  global
        .offset:         112
        .size:           8
        .value_kind:     global_buffer
      - .offset:         120
        .size:           4
        .value_kind:     by_value
      - .address_space:  global
        .offset:         128
        .size:           8
        .value_kind:     global_buffer
      - .address_space:  global
        .offset:         136
        .size:           8
        .value_kind:     global_buffer
      - .offset:         144
        .size:           4
        .value_kind:     hidden_block_count_x
      - .offset:         148
        .size:           4
        .value_kind:     hidden_block_count_y
      - .offset:         152
        .size:           4
        .value_kind:     hidden_block_count_z
      - .offset:         156
        .size:           2
        .value_kind:     hidden_group_size_x
      - .offset:         158
        .size:           2
        .value_kind:     hidden_group_size_y
      - .offset:         160
        .size:           2
        .value_kind:     hidden_group_size_z
      - .offset:         162
        .size:           2
        .value_kind:     hidden_remainder_x
      - .offset:         164
        .size:           2
        .value_kind:     hidden_remainder_y
      - .offset:         166
        .size:           2
        .value_kind:     hidden_remainder_z
      - .offset:         184
        .size:           8
        .value_kind:     hidden_global_offset_x
      - .offset:         192
        .size:           8
        .value_kind:     hidden_global_offset_y
      - .offset:         200
        .size:           8
        .value_kind:     hidden_global_offset_z
      - .offset:         208
        .size:           2
        .value_kind:     hidden_grid_dims
    .group_segment_fixed_size: 8192
    .kernarg_segment_align: 8
    .kernarg_segment_size: 400
    .language:       OpenCL C
    .language_version:
      - 2
      - 0
    .max_flat_workgroup_size: 256
    .name:           _Z39paged_attention_ll4mi_QKV_mfma16_kernelI14__hip_bfloat16S0_LN4vllm18Fp8KVCacheDataTypeE0ES0_Li32ELi128ELi256ELb0ELi8EL8MFMAType0EEvPKT_PKT0_S9_ifPKiSB_SB_iPKfiiiPfSE_PS4_PT2_iSD_SD_
    .private_segment_fixed_size: 12
    .sgpr_count:     52
    .sgpr_spill_count: 0
    .symbol:         _Z39paged_attention_ll4mi_QKV_mfma16_kernelI14__hip_bfloat16S0_LN4vllm18Fp8KVCacheDataTypeE0ES0_Li32ELi128ELi256ELb0ELi8EL8MFMAType0EEvPKT_PKT0_S9_ifPKiSB_SB_iPKfiiiPfSE_PS4_PT2_iSD_SD_.kd
    .uniform_work_group_size: 1
    .uses_dynamic_stack: false
    .vgpr_count:     96
    .vgpr_spill_count: 2
    .wavefront_size: 64
  - .agpr_count:     0
    .args:
      - .actual_access:  read_only
        .address_space:  global
        .offset:         0
        .size:           8
        .value_kind:     global_buffer
      - .actual_access:  read_only
        .address_space:  global
        .offset:         8
        .size:           8
        .value_kind:     global_buffer
      - .actual_access:  read_only
        .address_space:  global
        .offset:         16
        .size:           8
        .value_kind:     global_buffer
      - .offset:         24
        .size:           4
        .value_kind:     by_value
      - .offset:         28
        .size:           4
        .value_kind:     by_value
      - .actual_access:  read_only
        .address_space:  global
        .offset:         32
        .size:           8
        .value_kind:     global_buffer
      - .actual_access:  read_only
        .address_space:  global
        .offset:         40
        .size:           8
        .value_kind:     global_buffer
      - .actual_access:  read_only
        .address_space:  global
        .offset:         48
        .size:           8
        .value_kind:     global_buffer
      - .offset:         56
        .size:           4
        .value_kind:     by_value
      - .actual_access:  read_only
        .address_space:  global
        .offset:         64
        .size:           8
        .value_kind:     global_buffer
      - .offset:         72
        .size:           4
        .value_kind:     by_value
      - .offset:         76
        .size:           4
        .value_kind:     by_value
      - .offset:         80
        .size:           4
        .value_kind:     by_value
      - .actual_access:  write_only
        .address_space:  global
        .offset:         88
        .size:           8
        .value_kind:     global_buffer
      - .actual_access:  write_only
        .address_space:  global
        .offset:         96
        .size:           8
        .value_kind:     global_buffer
      - .actual_access:  write_only
        .address_space:  global
        .offset:         104
        .size:           8
        .value_kind:     global_buffer
      - .actual_access:  read_only
        .address_space:  global
        .offset:         112
        .size:           8
        .value_kind:     global_buffer
      - .offset:         120
        .size:           4
        .value_kind:     by_value
      - .address_space:  global
        .offset:         128
        .size:           8
        .value_kind:     global_buffer
      - .address_space:  global
        .offset:         136
        .size:           8
        .value_kind:     global_buffer
      - .offset:         144
        .size:           4
        .value_kind:     hidden_block_count_x
      - .offset:         148
        .size:           4
        .value_kind:     hidden_block_count_y
      - .offset:         152
        .size:           4
        .value_kind:     hidden_block_count_z
      - .offset:         156
        .size:           2
        .value_kind:     hidden_group_size_x
      - .offset:         158
        .size:           2
        .value_kind:     hidden_group_size_y
      - .offset:         160
        .size:           2
        .value_kind:     hidden_group_size_z
      - .offset:         162
        .size:           2
        .value_kind:     hidden_remainder_x
      - .offset:         164
        .size:           2
        .value_kind:     hidden_remainder_y
      - .offset:         166
        .size:           2
        .value_kind:     hidden_remainder_z
      - .offset:         184
        .size:           8
        .value_kind:     hidden_global_offset_x
      - .offset:         192
        .size:           8
        .value_kind:     hidden_global_offset_y
      - .offset:         200
        .size:           8
        .value_kind:     hidden_global_offset_z
      - .offset:         208
        .size:           2
        .value_kind:     hidden_grid_dims
    .group_segment_fixed_size: 8192
    .kernarg_segment_align: 8
    .kernarg_segment_size: 400
    .language:       OpenCL C
    .language_version:
      - 2
      - 0
    .max_flat_workgroup_size: 256
    .name:           _Z39paged_attention_ll4mi_QKV_mfma16_kernelI14__hip_bfloat16S0_LN4vllm18Fp8KVCacheDataTypeE0ES0_Li32ELi128ELi256ELb0ELi9EL8MFMAType0EEvPKT_PKT0_S9_ifPKiSB_SB_iPKfiiiPfSE_PS4_PT2_iSD_SD_
    .private_segment_fixed_size: 12
    .sgpr_count:     52
    .sgpr_spill_count: 0
    .symbol:         _Z39paged_attention_ll4mi_QKV_mfma16_kernelI14__hip_bfloat16S0_LN4vllm18Fp8KVCacheDataTypeE0ES0_Li32ELi128ELi256ELb0ELi9EL8MFMAType0EEvPKT_PKT0_S9_ifPKiSB_SB_iPKfiiiPfSE_PS4_PT2_iSD_SD_.kd
    .uniform_work_group_size: 1
    .uses_dynamic_stack: false
    .vgpr_count:     96
    .vgpr_spill_count: 2
    .wavefront_size: 64
  - .agpr_count:     0
    .args:
      - .actual_access:  read_only
        .address_space:  global
        .offset:         0
        .size:           8
        .value_kind:     global_buffer
      - .actual_access:  read_only
        .address_space:  global
        .offset:         8
        .size:           8
        .value_kind:     global_buffer
      - .actual_access:  read_only
        .address_space:  global
        .offset:         16
        .size:           8
        .value_kind:     global_buffer
      - .offset:         24
        .size:           4
        .value_kind:     by_value
      - .offset:         28
        .size:           4
        .value_kind:     by_value
      - .actual_access:  read_only
        .address_space:  global
        .offset:         32
        .size:           8
        .value_kind:     global_buffer
      - .actual_access:  read_only
        .address_space:  global
        .offset:         40
        .size:           8
        .value_kind:     global_buffer
      - .actual_access:  read_only
        .address_space:  global
        .offset:         48
        .size:           8
        .value_kind:     global_buffer
      - .offset:         56
        .size:           4
        .value_kind:     by_value
      - .actual_access:  read_only
        .address_space:  global
        .offset:         64
        .size:           8
        .value_kind:     global_buffer
      - .offset:         72
        .size:           4
        .value_kind:     by_value
      - .offset:         76
        .size:           4
        .value_kind:     by_value
      - .offset:         80
        .size:           4
        .value_kind:     by_value
      - .actual_access:  write_only
        .address_space:  global
        .offset:         88
        .size:           8
        .value_kind:     global_buffer
      - .actual_access:  write_only
        .address_space:  global
        .offset:         96
        .size:           8
        .value_kind:     global_buffer
      - .actual_access:  write_only
        .address_space:  global
        .offset:         104
        .size:           8
        .value_kind:     global_buffer
      - .actual_access:  read_only
        .address_space:  global
        .offset:         112
        .size:           8
        .value_kind:     global_buffer
      - .offset:         120
        .size:           4
        .value_kind:     by_value
      - .address_space:  global
        .offset:         128
        .size:           8
        .value_kind:     global_buffer
      - .address_space:  global
        .offset:         136
        .size:           8
        .value_kind:     global_buffer
      - .offset:         144
        .size:           4
        .value_kind:     hidden_block_count_x
      - .offset:         148
        .size:           4
        .value_kind:     hidden_block_count_y
      - .offset:         152
        .size:           4
        .value_kind:     hidden_block_count_z
      - .offset:         156
        .size:           2
        .value_kind:     hidden_group_size_x
      - .offset:         158
        .size:           2
        .value_kind:     hidden_group_size_y
      - .offset:         160
        .size:           2
        .value_kind:     hidden_group_size_z
      - .offset:         162
        .size:           2
        .value_kind:     hidden_remainder_x
      - .offset:         164
        .size:           2
        .value_kind:     hidden_remainder_y
      - .offset:         166
        .size:           2
        .value_kind:     hidden_remainder_z
      - .offset:         184
        .size:           8
        .value_kind:     hidden_global_offset_x
      - .offset:         192
        .size:           8
        .value_kind:     hidden_global_offset_y
      - .offset:         200
        .size:           8
        .value_kind:     hidden_global_offset_z
      - .offset:         208
        .size:           2
        .value_kind:     hidden_grid_dims
    .group_segment_fixed_size: 8192
    .kernarg_segment_align: 8
    .kernarg_segment_size: 400
    .language:       OpenCL C
    .language_version:
      - 2
      - 0
    .max_flat_workgroup_size: 256
    .name:           _Z39paged_attention_ll4mi_QKV_mfma16_kernelI14__hip_bfloat16S0_LN4vllm18Fp8KVCacheDataTypeE0ES0_Li32ELi128ELi256ELb0ELi10EL8MFMAType0EEvPKT_PKT0_S9_ifPKiSB_SB_iPKfiiiPfSE_PS4_PT2_iSD_SD_
    .private_segment_fixed_size: 12
    .sgpr_count:     52
    .sgpr_spill_count: 0
    .symbol:         _Z39paged_attention_ll4mi_QKV_mfma16_kernelI14__hip_bfloat16S0_LN4vllm18Fp8KVCacheDataTypeE0ES0_Li32ELi128ELi256ELb0ELi10EL8MFMAType0EEvPKT_PKT0_S9_ifPKiSB_SB_iPKfiiiPfSE_PS4_PT2_iSD_SD_.kd
    .uniform_work_group_size: 1
    .uses_dynamic_stack: false
    .vgpr_count:     96
    .vgpr_spill_count: 2
    .wavefront_size: 64
  - .agpr_count:     0
    .args:
      - .actual_access:  read_only
        .address_space:  global
        .offset:         0
        .size:           8
        .value_kind:     global_buffer
      - .actual_access:  read_only
        .address_space:  global
        .offset:         8
        .size:           8
        .value_kind:     global_buffer
      - .actual_access:  read_only
        .address_space:  global
        .offset:         16
        .size:           8
        .value_kind:     global_buffer
      - .offset:         24
        .size:           4
        .value_kind:     by_value
      - .offset:         28
        .size:           4
        .value_kind:     by_value
      - .actual_access:  read_only
        .address_space:  global
        .offset:         32
        .size:           8
        .value_kind:     global_buffer
      - .actual_access:  read_only
        .address_space:  global
        .offset:         40
        .size:           8
        .value_kind:     global_buffer
      - .actual_access:  read_only
        .address_space:  global
        .offset:         48
        .size:           8
        .value_kind:     global_buffer
      - .offset:         56
        .size:           4
        .value_kind:     by_value
      - .actual_access:  read_only
        .address_space:  global
        .offset:         64
        .size:           8
        .value_kind:     global_buffer
      - .offset:         72
        .size:           4
        .value_kind:     by_value
      - .offset:         76
        .size:           4
        .value_kind:     by_value
      - .offset:         80
        .size:           4
        .value_kind:     by_value
      - .actual_access:  write_only
        .address_space:  global
        .offset:         88
        .size:           8
        .value_kind:     global_buffer
      - .actual_access:  write_only
        .address_space:  global
        .offset:         96
        .size:           8
        .value_kind:     global_buffer
      - .actual_access:  write_only
        .address_space:  global
        .offset:         104
        .size:           8
        .value_kind:     global_buffer
      - .actual_access:  read_only
        .address_space:  global
        .offset:         112
        .size:           8
        .value_kind:     global_buffer
      - .offset:         120
        .size:           4
        .value_kind:     by_value
      - .address_space:  global
        .offset:         128
        .size:           8
        .value_kind:     global_buffer
      - .address_space:  global
        .offset:         136
        .size:           8
        .value_kind:     global_buffer
      - .offset:         144
        .size:           4
        .value_kind:     hidden_block_count_x
      - .offset:         148
        .size:           4
        .value_kind:     hidden_block_count_y
      - .offset:         152
        .size:           4
        .value_kind:     hidden_block_count_z
      - .offset:         156
        .size:           2
        .value_kind:     hidden_group_size_x
      - .offset:         158
        .size:           2
        .value_kind:     hidden_group_size_y
      - .offset:         160
        .size:           2
        .value_kind:     hidden_group_size_z
      - .offset:         162
        .size:           2
        .value_kind:     hidden_remainder_x
      - .offset:         164
        .size:           2
        .value_kind:     hidden_remainder_y
      - .offset:         166
        .size:           2
        .value_kind:     hidden_remainder_z
      - .offset:         184
        .size:           8
        .value_kind:     hidden_global_offset_x
      - .offset:         192
        .size:           8
        .value_kind:     hidden_global_offset_y
      - .offset:         200
        .size:           8
        .value_kind:     hidden_global_offset_z
      - .offset:         208
        .size:           2
        .value_kind:     hidden_grid_dims
    .group_segment_fixed_size: 8192
    .kernarg_segment_align: 8
    .kernarg_segment_size: 400
    .language:       OpenCL C
    .language_version:
      - 2
      - 0
    .max_flat_workgroup_size: 256
    .name:           _Z39paged_attention_ll4mi_QKV_mfma16_kernelI14__hip_bfloat16S0_LN4vllm18Fp8KVCacheDataTypeE0ES0_Li32ELi128ELi256ELb0ELi11EL8MFMAType0EEvPKT_PKT0_S9_ifPKiSB_SB_iPKfiiiPfSE_PS4_PT2_iSD_SD_
    .private_segment_fixed_size: 12
    .sgpr_count:     52
    .sgpr_spill_count: 0
    .symbol:         _Z39paged_attention_ll4mi_QKV_mfma16_kernelI14__hip_bfloat16S0_LN4vllm18Fp8KVCacheDataTypeE0ES0_Li32ELi128ELi256ELb0ELi11EL8MFMAType0EEvPKT_PKT0_S9_ifPKiSB_SB_iPKfiiiPfSE_PS4_PT2_iSD_SD_.kd
    .uniform_work_group_size: 1
    .uses_dynamic_stack: false
    .vgpr_count:     96
    .vgpr_spill_count: 2
    .wavefront_size: 64
  - .agpr_count:     0
    .args:
      - .actual_access:  read_only
        .address_space:  global
        .offset:         0
        .size:           8
        .value_kind:     global_buffer
      - .actual_access:  read_only
        .address_space:  global
        .offset:         8
        .size:           8
        .value_kind:     global_buffer
      - .actual_access:  read_only
        .address_space:  global
        .offset:         16
        .size:           8
        .value_kind:     global_buffer
      - .offset:         24
        .size:           4
        .value_kind:     by_value
      - .offset:         28
        .size:           4
        .value_kind:     by_value
      - .actual_access:  read_only
        .address_space:  global
        .offset:         32
        .size:           8
        .value_kind:     global_buffer
      - .actual_access:  read_only
        .address_space:  global
        .offset:         40
        .size:           8
        .value_kind:     global_buffer
      - .actual_access:  read_only
        .address_space:  global
        .offset:         48
        .size:           8
        .value_kind:     global_buffer
      - .offset:         56
        .size:           4
        .value_kind:     by_value
      - .actual_access:  read_only
        .address_space:  global
        .offset:         64
        .size:           8
        .value_kind:     global_buffer
      - .offset:         72
        .size:           4
        .value_kind:     by_value
      - .offset:         76
        .size:           4
        .value_kind:     by_value
      - .offset:         80
        .size:           4
        .value_kind:     by_value
      - .actual_access:  write_only
        .address_space:  global
        .offset:         88
        .size:           8
        .value_kind:     global_buffer
      - .actual_access:  write_only
        .address_space:  global
        .offset:         96
        .size:           8
        .value_kind:     global_buffer
      - .actual_access:  write_only
        .address_space:  global
        .offset:         104
        .size:           8
        .value_kind:     global_buffer
      - .actual_access:  read_only
        .address_space:  global
        .offset:         112
        .size:           8
        .value_kind:     global_buffer
      - .offset:         120
        .size:           4
        .value_kind:     by_value
      - .address_space:  global
        .offset:         128
        .size:           8
        .value_kind:     global_buffer
      - .address_space:  global
        .offset:         136
        .size:           8
        .value_kind:     global_buffer
      - .offset:         144
        .size:           4
        .value_kind:     hidden_block_count_x
      - .offset:         148
        .size:           4
        .value_kind:     hidden_block_count_y
      - .offset:         152
        .size:           4
        .value_kind:     hidden_block_count_z
      - .offset:         156
        .size:           2
        .value_kind:     hidden_group_size_x
      - .offset:         158
        .size:           2
        .value_kind:     hidden_group_size_y
      - .offset:         160
        .size:           2
        .value_kind:     hidden_group_size_z
      - .offset:         162
        .size:           2
        .value_kind:     hidden_remainder_x
      - .offset:         164
        .size:           2
        .value_kind:     hidden_remainder_y
      - .offset:         166
        .size:           2
        .value_kind:     hidden_remainder_z
      - .offset:         184
        .size:           8
        .value_kind:     hidden_global_offset_x
      - .offset:         192
        .size:           8
        .value_kind:     hidden_global_offset_y
      - .offset:         200
        .size:           8
        .value_kind:     hidden_global_offset_z
      - .offset:         208
        .size:           2
        .value_kind:     hidden_grid_dims
    .group_segment_fixed_size: 8192
    .kernarg_segment_align: 8
    .kernarg_segment_size: 400
    .language:       OpenCL C
    .language_version:
      - 2
      - 0
    .max_flat_workgroup_size: 256
    .name:           _Z39paged_attention_ll4mi_QKV_mfma16_kernelI14__hip_bfloat16S0_LN4vllm18Fp8KVCacheDataTypeE0ES0_Li32ELi128ELi256ELb0ELi12EL8MFMAType0EEvPKT_PKT0_S9_ifPKiSB_SB_iPKfiiiPfSE_PS4_PT2_iSD_SD_
    .private_segment_fixed_size: 12
    .sgpr_count:     52
    .sgpr_spill_count: 0
    .symbol:         _Z39paged_attention_ll4mi_QKV_mfma16_kernelI14__hip_bfloat16S0_LN4vllm18Fp8KVCacheDataTypeE0ES0_Li32ELi128ELi256ELb0ELi12EL8MFMAType0EEvPKT_PKT0_S9_ifPKiSB_SB_iPKfiiiPfSE_PS4_PT2_iSD_SD_.kd
    .uniform_work_group_size: 1
    .uses_dynamic_stack: false
    .vgpr_count:     96
    .vgpr_spill_count: 2
    .wavefront_size: 64
  - .agpr_count:     0
    .args:
      - .actual_access:  read_only
        .address_space:  global
        .offset:         0
        .size:           8
        .value_kind:     global_buffer
      - .actual_access:  read_only
        .address_space:  global
        .offset:         8
        .size:           8
        .value_kind:     global_buffer
      - .actual_access:  read_only
        .address_space:  global
        .offset:         16
        .size:           8
        .value_kind:     global_buffer
      - .offset:         24
        .size:           4
        .value_kind:     by_value
      - .offset:         28
        .size:           4
        .value_kind:     by_value
      - .actual_access:  read_only
        .address_space:  global
        .offset:         32
        .size:           8
        .value_kind:     global_buffer
      - .actual_access:  read_only
        .address_space:  global
        .offset:         40
        .size:           8
        .value_kind:     global_buffer
      - .actual_access:  read_only
        .address_space:  global
        .offset:         48
        .size:           8
        .value_kind:     global_buffer
      - .offset:         56
        .size:           4
        .value_kind:     by_value
      - .actual_access:  read_only
        .address_space:  global
        .offset:         64
        .size:           8
        .value_kind:     global_buffer
      - .offset:         72
        .size:           4
        .value_kind:     by_value
      - .offset:         76
        .size:           4
        .value_kind:     by_value
      - .offset:         80
        .size:           4
        .value_kind:     by_value
      - .actual_access:  write_only
        .address_space:  global
        .offset:         88
        .size:           8
        .value_kind:     global_buffer
      - .actual_access:  write_only
        .address_space:  global
        .offset:         96
        .size:           8
        .value_kind:     global_buffer
      - .actual_access:  write_only
        .address_space:  global
        .offset:         104
        .size:           8
        .value_kind:     global_buffer
      - .actual_access:  read_only
        .address_space:  global
        .offset:         112
        .size:           8
        .value_kind:     global_buffer
      - .offset:         120
        .size:           4
        .value_kind:     by_value
      - .address_space:  global
        .offset:         128
        .size:           8
        .value_kind:     global_buffer
      - .address_space:  global
        .offset:         136
        .size:           8
        .value_kind:     global_buffer
      - .offset:         144
        .size:           4
        .value_kind:     hidden_block_count_x
      - .offset:         148
        .size:           4
        .value_kind:     hidden_block_count_y
      - .offset:         152
        .size:           4
        .value_kind:     hidden_block_count_z
      - .offset:         156
        .size:           2
        .value_kind:     hidden_group_size_x
      - .offset:         158
        .size:           2
        .value_kind:     hidden_group_size_y
      - .offset:         160
        .size:           2
        .value_kind:     hidden_group_size_z
      - .offset:         162
        .size:           2
        .value_kind:     hidden_remainder_x
      - .offset:         164
        .size:           2
        .value_kind:     hidden_remainder_y
      - .offset:         166
        .size:           2
        .value_kind:     hidden_remainder_z
      - .offset:         184
        .size:           8
        .value_kind:     hidden_global_offset_x
      - .offset:         192
        .size:           8
        .value_kind:     hidden_global_offset_y
      - .offset:         200
        .size:           8
        .value_kind:     hidden_global_offset_z
      - .offset:         208
        .size:           2
        .value_kind:     hidden_grid_dims
    .group_segment_fixed_size: 8192
    .kernarg_segment_align: 8
    .kernarg_segment_size: 400
    .language:       OpenCL C
    .language_version:
      - 2
      - 0
    .max_flat_workgroup_size: 256
    .name:           _Z39paged_attention_ll4mi_QKV_mfma16_kernelI14__hip_bfloat16S0_LN4vllm18Fp8KVCacheDataTypeE0ES0_Li32ELi128ELi256ELb0ELi13EL8MFMAType0EEvPKT_PKT0_S9_ifPKiSB_SB_iPKfiiiPfSE_PS4_PT2_iSD_SD_
    .private_segment_fixed_size: 12
    .sgpr_count:     52
    .sgpr_spill_count: 0
    .symbol:         _Z39paged_attention_ll4mi_QKV_mfma16_kernelI14__hip_bfloat16S0_LN4vllm18Fp8KVCacheDataTypeE0ES0_Li32ELi128ELi256ELb0ELi13EL8MFMAType0EEvPKT_PKT0_S9_ifPKiSB_SB_iPKfiiiPfSE_PS4_PT2_iSD_SD_.kd
    .uniform_work_group_size: 1
    .uses_dynamic_stack: false
    .vgpr_count:     96
    .vgpr_spill_count: 2
    .wavefront_size: 64
  - .agpr_count:     0
    .args:
      - .actual_access:  read_only
        .address_space:  global
        .offset:         0
        .size:           8
        .value_kind:     global_buffer
      - .actual_access:  read_only
        .address_space:  global
        .offset:         8
        .size:           8
        .value_kind:     global_buffer
      - .actual_access:  read_only
        .address_space:  global
        .offset:         16
        .size:           8
        .value_kind:     global_buffer
      - .offset:         24
        .size:           4
        .value_kind:     by_value
      - .offset:         28
        .size:           4
        .value_kind:     by_value
      - .actual_access:  read_only
        .address_space:  global
        .offset:         32
        .size:           8
        .value_kind:     global_buffer
      - .actual_access:  read_only
        .address_space:  global
        .offset:         40
        .size:           8
        .value_kind:     global_buffer
      - .actual_access:  read_only
        .address_space:  global
        .offset:         48
        .size:           8
        .value_kind:     global_buffer
      - .offset:         56
        .size:           4
        .value_kind:     by_value
      - .actual_access:  read_only
        .address_space:  global
        .offset:         64
        .size:           8
        .value_kind:     global_buffer
      - .offset:         72
        .size:           4
        .value_kind:     by_value
      - .offset:         76
        .size:           4
        .value_kind:     by_value
      - .offset:         80
        .size:           4
        .value_kind:     by_value
      - .actual_access:  write_only
        .address_space:  global
        .offset:         88
        .size:           8
        .value_kind:     global_buffer
      - .actual_access:  write_only
        .address_space:  global
        .offset:         96
        .size:           8
        .value_kind:     global_buffer
      - .actual_access:  write_only
        .address_space:  global
        .offset:         104
        .size:           8
        .value_kind:     global_buffer
      - .actual_access:  read_only
        .address_space:  global
        .offset:         112
        .size:           8
        .value_kind:     global_buffer
      - .offset:         120
        .size:           4
        .value_kind:     by_value
      - .address_space:  global
        .offset:         128
        .size:           8
        .value_kind:     global_buffer
      - .address_space:  global
        .offset:         136
        .size:           8
        .value_kind:     global_buffer
      - .offset:         144
        .size:           4
        .value_kind:     hidden_block_count_x
      - .offset:         148
        .size:           4
        .value_kind:     hidden_block_count_y
      - .offset:         152
        .size:           4
        .value_kind:     hidden_block_count_z
      - .offset:         156
        .size:           2
        .value_kind:     hidden_group_size_x
      - .offset:         158
        .size:           2
        .value_kind:     hidden_group_size_y
      - .offset:         160
        .size:           2
        .value_kind:     hidden_group_size_z
      - .offset:         162
        .size:           2
        .value_kind:     hidden_remainder_x
      - .offset:         164
        .size:           2
        .value_kind:     hidden_remainder_y
      - .offset:         166
        .size:           2
        .value_kind:     hidden_remainder_z
      - .offset:         184
        .size:           8
        .value_kind:     hidden_global_offset_x
      - .offset:         192
        .size:           8
        .value_kind:     hidden_global_offset_y
      - .offset:         200
        .size:           8
        .value_kind:     hidden_global_offset_z
      - .offset:         208
        .size:           2
        .value_kind:     hidden_grid_dims
    .group_segment_fixed_size: 8192
    .kernarg_segment_align: 8
    .kernarg_segment_size: 400
    .language:       OpenCL C
    .language_version:
      - 2
      - 0
    .max_flat_workgroup_size: 256
    .name:           _Z39paged_attention_ll4mi_QKV_mfma16_kernelI14__hip_bfloat16S0_LN4vllm18Fp8KVCacheDataTypeE0ES0_Li32ELi128ELi256ELb0ELi14EL8MFMAType0EEvPKT_PKT0_S9_ifPKiSB_SB_iPKfiiiPfSE_PS4_PT2_iSD_SD_
    .private_segment_fixed_size: 12
    .sgpr_count:     52
    .sgpr_spill_count: 0
    .symbol:         _Z39paged_attention_ll4mi_QKV_mfma16_kernelI14__hip_bfloat16S0_LN4vllm18Fp8KVCacheDataTypeE0ES0_Li32ELi128ELi256ELb0ELi14EL8MFMAType0EEvPKT_PKT0_S9_ifPKiSB_SB_iPKfiiiPfSE_PS4_PT2_iSD_SD_.kd
    .uniform_work_group_size: 1
    .uses_dynamic_stack: false
    .vgpr_count:     96
    .vgpr_spill_count: 2
    .wavefront_size: 64
  - .agpr_count:     0
    .args:
      - .actual_access:  read_only
        .address_space:  global
        .offset:         0
        .size:           8
        .value_kind:     global_buffer
      - .actual_access:  read_only
        .address_space:  global
        .offset:         8
        .size:           8
        .value_kind:     global_buffer
      - .actual_access:  read_only
        .address_space:  global
        .offset:         16
        .size:           8
        .value_kind:     global_buffer
      - .offset:         24
        .size:           4
        .value_kind:     by_value
      - .offset:         28
        .size:           4
        .value_kind:     by_value
      - .actual_access:  read_only
        .address_space:  global
        .offset:         32
        .size:           8
        .value_kind:     global_buffer
      - .actual_access:  read_only
        .address_space:  global
        .offset:         40
        .size:           8
        .value_kind:     global_buffer
      - .actual_access:  read_only
        .address_space:  global
        .offset:         48
        .size:           8
        .value_kind:     global_buffer
      - .offset:         56
        .size:           4
        .value_kind:     by_value
      - .actual_access:  read_only
        .address_space:  global
        .offset:         64
        .size:           8
        .value_kind:     global_buffer
      - .offset:         72
        .size:           4
        .value_kind:     by_value
      - .offset:         76
        .size:           4
        .value_kind:     by_value
      - .offset:         80
        .size:           4
        .value_kind:     by_value
      - .actual_access:  write_only
        .address_space:  global
        .offset:         88
        .size:           8
        .value_kind:     global_buffer
      - .actual_access:  write_only
        .address_space:  global
        .offset:         96
        .size:           8
        .value_kind:     global_buffer
      - .actual_access:  write_only
        .address_space:  global
        .offset:         104
        .size:           8
        .value_kind:     global_buffer
      - .actual_access:  read_only
        .address_space:  global
        .offset:         112
        .size:           8
        .value_kind:     global_buffer
      - .offset:         120
        .size:           4
        .value_kind:     by_value
      - .address_space:  global
        .offset:         128
        .size:           8
        .value_kind:     global_buffer
      - .address_space:  global
        .offset:         136
        .size:           8
        .value_kind:     global_buffer
      - .offset:         144
        .size:           4
        .value_kind:     hidden_block_count_x
      - .offset:         148
        .size:           4
        .value_kind:     hidden_block_count_y
      - .offset:         152
        .size:           4
        .value_kind:     hidden_block_count_z
      - .offset:         156
        .size:           2
        .value_kind:     hidden_group_size_x
      - .offset:         158
        .size:           2
        .value_kind:     hidden_group_size_y
      - .offset:         160
        .size:           2
        .value_kind:     hidden_group_size_z
      - .offset:         162
        .size:           2
        .value_kind:     hidden_remainder_x
      - .offset:         164
        .size:           2
        .value_kind:     hidden_remainder_y
      - .offset:         166
        .size:           2
        .value_kind:     hidden_remainder_z
      - .offset:         184
        .size:           8
        .value_kind:     hidden_global_offset_x
      - .offset:         192
        .size:           8
        .value_kind:     hidden_global_offset_y
      - .offset:         200
        .size:           8
        .value_kind:     hidden_global_offset_z
      - .offset:         208
        .size:           2
        .value_kind:     hidden_grid_dims
    .group_segment_fixed_size: 8192
    .kernarg_segment_align: 8
    .kernarg_segment_size: 400
    .language:       OpenCL C
    .language_version:
      - 2
      - 0
    .max_flat_workgroup_size: 256
    .name:           _Z39paged_attention_ll4mi_QKV_mfma16_kernelI14__hip_bfloat16S0_LN4vllm18Fp8KVCacheDataTypeE0ES0_Li32ELi128ELi256ELb0ELi15EL8MFMAType0EEvPKT_PKT0_S9_ifPKiSB_SB_iPKfiiiPfSE_PS4_PT2_iSD_SD_
    .private_segment_fixed_size: 12
    .sgpr_count:     52
    .sgpr_spill_count: 0
    .symbol:         _Z39paged_attention_ll4mi_QKV_mfma16_kernelI14__hip_bfloat16S0_LN4vllm18Fp8KVCacheDataTypeE0ES0_Li32ELi128ELi256ELb0ELi15EL8MFMAType0EEvPKT_PKT0_S9_ifPKiSB_SB_iPKfiiiPfSE_PS4_PT2_iSD_SD_.kd
    .uniform_work_group_size: 1
    .uses_dynamic_stack: false
    .vgpr_count:     96
    .vgpr_spill_count: 2
    .wavefront_size: 64
  - .agpr_count:     0
    .args:
      - .actual_access:  read_only
        .address_space:  global
        .offset:         0
        .size:           8
        .value_kind:     global_buffer
      - .actual_access:  read_only
        .address_space:  global
        .offset:         8
        .size:           8
        .value_kind:     global_buffer
      - .actual_access:  read_only
        .address_space:  global
        .offset:         16
        .size:           8
        .value_kind:     global_buffer
      - .offset:         24
        .size:           4
        .value_kind:     by_value
      - .offset:         28
        .size:           4
        .value_kind:     by_value
      - .actual_access:  read_only
        .address_space:  global
        .offset:         32
        .size:           8
        .value_kind:     global_buffer
      - .actual_access:  read_only
        .address_space:  global
        .offset:         40
        .size:           8
        .value_kind:     global_buffer
      - .actual_access:  read_only
        .address_space:  global
        .offset:         48
        .size:           8
        .value_kind:     global_buffer
      - .offset:         56
        .size:           4
        .value_kind:     by_value
      - .actual_access:  read_only
        .address_space:  global
        .offset:         64
        .size:           8
        .value_kind:     global_buffer
      - .offset:         72
        .size:           4
        .value_kind:     by_value
      - .offset:         76
        .size:           4
        .value_kind:     by_value
      - .offset:         80
        .size:           4
        .value_kind:     by_value
      - .actual_access:  write_only
        .address_space:  global
        .offset:         88
        .size:           8
        .value_kind:     global_buffer
      - .actual_access:  write_only
        .address_space:  global
        .offset:         96
        .size:           8
        .value_kind:     global_buffer
      - .actual_access:  write_only
        .address_space:  global
        .offset:         104
        .size:           8
        .value_kind:     global_buffer
      - .actual_access:  read_only
        .address_space:  global
        .offset:         112
        .size:           8
        .value_kind:     global_buffer
      - .offset:         120
        .size:           4
        .value_kind:     by_value
      - .address_space:  global
        .offset:         128
        .size:           8
        .value_kind:     global_buffer
      - .address_space:  global
        .offset:         136
        .size:           8
        .value_kind:     global_buffer
      - .offset:         144
        .size:           4
        .value_kind:     hidden_block_count_x
      - .offset:         148
        .size:           4
        .value_kind:     hidden_block_count_y
      - .offset:         152
        .size:           4
        .value_kind:     hidden_block_count_z
      - .offset:         156
        .size:           2
        .value_kind:     hidden_group_size_x
      - .offset:         158
        .size:           2
        .value_kind:     hidden_group_size_y
      - .offset:         160
        .size:           2
        .value_kind:     hidden_group_size_z
      - .offset:         162
        .size:           2
        .value_kind:     hidden_remainder_x
      - .offset:         164
        .size:           2
        .value_kind:     hidden_remainder_y
      - .offset:         166
        .size:           2
        .value_kind:     hidden_remainder_z
      - .offset:         184
        .size:           8
        .value_kind:     hidden_global_offset_x
      - .offset:         192
        .size:           8
        .value_kind:     hidden_global_offset_y
      - .offset:         200
        .size:           8
        .value_kind:     hidden_global_offset_z
      - .offset:         208
        .size:           2
        .value_kind:     hidden_grid_dims
    .group_segment_fixed_size: 8192
    .kernarg_segment_align: 8
    .kernarg_segment_size: 400
    .language:       OpenCL C
    .language_version:
      - 2
      - 0
    .max_flat_workgroup_size: 256
    .name:           _Z39paged_attention_ll4mi_QKV_mfma16_kernelI14__hip_bfloat16S0_LN4vllm18Fp8KVCacheDataTypeE0ES0_Li32ELi128ELi256ELb0ELi16EL8MFMAType0EEvPKT_PKT0_S9_ifPKiSB_SB_iPKfiiiPfSE_PS4_PT2_iSD_SD_
    .private_segment_fixed_size: 12
    .sgpr_count:     52
    .sgpr_spill_count: 0
    .symbol:         _Z39paged_attention_ll4mi_QKV_mfma16_kernelI14__hip_bfloat16S0_LN4vllm18Fp8KVCacheDataTypeE0ES0_Li32ELi128ELi256ELb0ELi16EL8MFMAType0EEvPKT_PKT0_S9_ifPKiSB_SB_iPKfiiiPfSE_PS4_PT2_iSD_SD_.kd
    .uniform_work_group_size: 1
    .uses_dynamic_stack: false
    .vgpr_count:     96
    .vgpr_spill_count: 2
    .wavefront_size: 64
  - .agpr_count:     0
    .args:
      - .actual_access:  read_only
        .address_space:  global
        .offset:         0
        .size:           8
        .value_kind:     global_buffer
      - .actual_access:  read_only
        .address_space:  global
        .offset:         8
        .size:           8
        .value_kind:     global_buffer
      - .actual_access:  read_only
        .address_space:  global
        .offset:         16
        .size:           8
        .value_kind:     global_buffer
      - .offset:         24
        .size:           4
        .value_kind:     by_value
      - .offset:         28
        .size:           4
        .value_kind:     by_value
      - .actual_access:  read_only
        .address_space:  global
        .offset:         32
        .size:           8
        .value_kind:     global_buffer
      - .actual_access:  read_only
        .address_space:  global
        .offset:         40
        .size:           8
        .value_kind:     global_buffer
      - .actual_access:  read_only
        .address_space:  global
        .offset:         48
        .size:           8
        .value_kind:     global_buffer
      - .offset:         56
        .size:           4
        .value_kind:     by_value
      - .actual_access:  read_only
        .address_space:  global
        .offset:         64
        .size:           8
        .value_kind:     global_buffer
      - .offset:         72
        .size:           4
        .value_kind:     by_value
      - .offset:         76
        .size:           4
        .value_kind:     by_value
      - .offset:         80
        .size:           4
        .value_kind:     by_value
      - .actual_access:  write_only
        .address_space:  global
        .offset:         88
        .size:           8
        .value_kind:     global_buffer
      - .actual_access:  write_only
        .address_space:  global
        .offset:         96
        .size:           8
        .value_kind:     global_buffer
      - .actual_access:  write_only
        .address_space:  global
        .offset:         104
        .size:           8
        .value_kind:     global_buffer
      - .actual_access:  read_only
        .address_space:  global
        .offset:         112
        .size:           8
        .value_kind:     global_buffer
      - .offset:         120
        .size:           4
        .value_kind:     by_value
      - .address_space:  global
        .offset:         128
        .size:           8
        .value_kind:     global_buffer
      - .address_space:  global
        .offset:         136
        .size:           8
        .value_kind:     global_buffer
      - .offset:         144
        .size:           4
        .value_kind:     hidden_block_count_x
      - .offset:         148
        .size:           4
        .value_kind:     hidden_block_count_y
      - .offset:         152
        .size:           4
        .value_kind:     hidden_block_count_z
      - .offset:         156
        .size:           2
        .value_kind:     hidden_group_size_x
      - .offset:         158
        .size:           2
        .value_kind:     hidden_group_size_y
      - .offset:         160
        .size:           2
        .value_kind:     hidden_group_size_z
      - .offset:         162
        .size:           2
        .value_kind:     hidden_remainder_x
      - .offset:         164
        .size:           2
        .value_kind:     hidden_remainder_y
      - .offset:         166
        .size:           2
        .value_kind:     hidden_remainder_z
      - .offset:         184
        .size:           8
        .value_kind:     hidden_global_offset_x
      - .offset:         192
        .size:           8
        .value_kind:     hidden_global_offset_y
      - .offset:         200
        .size:           8
        .value_kind:     hidden_global_offset_z
      - .offset:         208
        .size:           2
        .value_kind:     hidden_grid_dims
    .group_segment_fixed_size: 8192
    .kernarg_segment_align: 8
    .kernarg_segment_size: 400
    .language:       OpenCL C
    .language_version:
      - 2
      - 0
    .max_flat_workgroup_size: 256
    .name:           _Z39paged_attention_ll4mi_QKV_mfma16_kernelI14__hip_bfloat16S0_LN4vllm18Fp8KVCacheDataTypeE0ES0_Li32ELi128ELi256ELb0ELi1EL8MFMAType0EEvPKT_PKT0_S9_ifPKiSB_SB_iPKfiiiPfSE_PS4_PT2_iSD_SD_
    .private_segment_fixed_size: 12
    .sgpr_count:     52
    .sgpr_spill_count: 0
    .symbol:         _Z39paged_attention_ll4mi_QKV_mfma16_kernelI14__hip_bfloat16S0_LN4vllm18Fp8KVCacheDataTypeE0ES0_Li32ELi128ELi256ELb0ELi1EL8MFMAType0EEvPKT_PKT0_S9_ifPKiSB_SB_iPKfiiiPfSE_PS4_PT2_iSD_SD_.kd
    .uniform_work_group_size: 1
    .uses_dynamic_stack: false
    .vgpr_count:     96
    .vgpr_spill_count: 2
    .wavefront_size: 64
  - .agpr_count:     0
    .args:
      - .actual_access:  read_only
        .address_space:  global
        .offset:         0
        .size:           8
        .value_kind:     global_buffer
      - .actual_access:  read_only
        .address_space:  global
        .offset:         8
        .size:           8
        .value_kind:     global_buffer
      - .actual_access:  read_only
        .address_space:  global
        .offset:         16
        .size:           8
        .value_kind:     global_buffer
      - .offset:         24
        .size:           4
        .value_kind:     by_value
      - .offset:         28
        .size:           4
        .value_kind:     by_value
      - .actual_access:  read_only
        .address_space:  global
        .offset:         32
        .size:           8
        .value_kind:     global_buffer
      - .actual_access:  read_only
        .address_space:  global
        .offset:         40
        .size:           8
        .value_kind:     global_buffer
      - .actual_access:  read_only
        .address_space:  global
        .offset:         48
        .size:           8
        .value_kind:     global_buffer
      - .offset:         56
        .size:           4
        .value_kind:     by_value
      - .actual_access:  read_only
        .address_space:  global
        .offset:         64
        .size:           8
        .value_kind:     global_buffer
      - .offset:         72
        .size:           4
        .value_kind:     by_value
      - .offset:         76
        .size:           4
        .value_kind:     by_value
      - .offset:         80
        .size:           4
        .value_kind:     by_value
      - .actual_access:  write_only
        .address_space:  global
        .offset:         88
        .size:           8
        .value_kind:     global_buffer
      - .actual_access:  write_only
        .address_space:  global
        .offset:         96
        .size:           8
        .value_kind:     global_buffer
      - .actual_access:  write_only
        .address_space:  global
        .offset:         104
        .size:           8
        .value_kind:     global_buffer
      - .actual_access:  read_only
        .address_space:  global
        .offset:         112
        .size:           8
        .value_kind:     global_buffer
      - .offset:         120
        .size:           4
        .value_kind:     by_value
      - .address_space:  global
        .offset:         128
        .size:           8
        .value_kind:     global_buffer
      - .address_space:  global
        .offset:         136
        .size:           8
        .value_kind:     global_buffer
      - .offset:         144
        .size:           4
        .value_kind:     hidden_block_count_x
      - .offset:         148
        .size:           4
        .value_kind:     hidden_block_count_y
      - .offset:         152
        .size:           4
        .value_kind:     hidden_block_count_z
      - .offset:         156
        .size:           2
        .value_kind:     hidden_group_size_x
      - .offset:         158
        .size:           2
        .value_kind:     hidden_group_size_y
      - .offset:         160
        .size:           2
        .value_kind:     hidden_group_size_z
      - .offset:         162
        .size:           2
        .value_kind:     hidden_remainder_x
      - .offset:         164
        .size:           2
        .value_kind:     hidden_remainder_y
      - .offset:         166
        .size:           2
        .value_kind:     hidden_remainder_z
      - .offset:         184
        .size:           8
        .value_kind:     hidden_global_offset_x
      - .offset:         192
        .size:           8
        .value_kind:     hidden_global_offset_y
      - .offset:         200
        .size:           8
        .value_kind:     hidden_global_offset_z
      - .offset:         208
        .size:           2
        .value_kind:     hidden_grid_dims
    .group_segment_fixed_size: 8192
    .kernarg_segment_align: 8
    .kernarg_segment_size: 400
    .language:       OpenCL C
    .language_version:
      - 2
      - 0
    .max_flat_workgroup_size: 256
    .name:           _Z39paged_attention_ll4mi_QKV_mfma16_kernelI14__hip_bfloat16S0_LN4vllm18Fp8KVCacheDataTypeE0ES0_Li32ELi128ELi256ELb0ELi2EL8MFMAType0EEvPKT_PKT0_S9_ifPKiSB_SB_iPKfiiiPfSE_PS4_PT2_iSD_SD_
    .private_segment_fixed_size: 12
    .sgpr_count:     52
    .sgpr_spill_count: 0
    .symbol:         _Z39paged_attention_ll4mi_QKV_mfma16_kernelI14__hip_bfloat16S0_LN4vllm18Fp8KVCacheDataTypeE0ES0_Li32ELi128ELi256ELb0ELi2EL8MFMAType0EEvPKT_PKT0_S9_ifPKiSB_SB_iPKfiiiPfSE_PS4_PT2_iSD_SD_.kd
    .uniform_work_group_size: 1
    .uses_dynamic_stack: false
    .vgpr_count:     96
    .vgpr_spill_count: 2
    .wavefront_size: 64
  - .agpr_count:     0
    .args:
      - .actual_access:  read_only
        .address_space:  global
        .offset:         0
        .size:           8
        .value_kind:     global_buffer
      - .actual_access:  read_only
        .address_space:  global
        .offset:         8
        .size:           8
        .value_kind:     global_buffer
      - .actual_access:  read_only
        .address_space:  global
        .offset:         16
        .size:           8
        .value_kind:     global_buffer
      - .offset:         24
        .size:           4
        .value_kind:     by_value
      - .offset:         28
        .size:           4
        .value_kind:     by_value
      - .actual_access:  read_only
        .address_space:  global
        .offset:         32
        .size:           8
        .value_kind:     global_buffer
      - .actual_access:  read_only
        .address_space:  global
        .offset:         40
        .size:           8
        .value_kind:     global_buffer
      - .actual_access:  read_only
        .address_space:  global
        .offset:         48
        .size:           8
        .value_kind:     global_buffer
      - .offset:         56
        .size:           4
        .value_kind:     by_value
      - .actual_access:  read_only
        .address_space:  global
        .offset:         64
        .size:           8
        .value_kind:     global_buffer
      - .offset:         72
        .size:           4
        .value_kind:     by_value
      - .offset:         76
        .size:           4
        .value_kind:     by_value
      - .offset:         80
        .size:           4
        .value_kind:     by_value
      - .actual_access:  write_only
        .address_space:  global
        .offset:         88
        .size:           8
        .value_kind:     global_buffer
      - .actual_access:  write_only
        .address_space:  global
        .offset:         96
        .size:           8
        .value_kind:     global_buffer
      - .actual_access:  write_only
        .address_space:  global
        .offset:         104
        .size:           8
        .value_kind:     global_buffer
      - .actual_access:  read_only
        .address_space:  global
        .offset:         112
        .size:           8
        .value_kind:     global_buffer
      - .offset:         120
        .size:           4
        .value_kind:     by_value
      - .address_space:  global
        .offset:         128
        .size:           8
        .value_kind:     global_buffer
      - .address_space:  global
        .offset:         136
        .size:           8
        .value_kind:     global_buffer
      - .offset:         144
        .size:           4
        .value_kind:     hidden_block_count_x
      - .offset:         148
        .size:           4
        .value_kind:     hidden_block_count_y
      - .offset:         152
        .size:           4
        .value_kind:     hidden_block_count_z
      - .offset:         156
        .size:           2
        .value_kind:     hidden_group_size_x
      - .offset:         158
        .size:           2
        .value_kind:     hidden_group_size_y
      - .offset:         160
        .size:           2
        .value_kind:     hidden_group_size_z
      - .offset:         162
        .size:           2
        .value_kind:     hidden_remainder_x
      - .offset:         164
        .size:           2
        .value_kind:     hidden_remainder_y
      - .offset:         166
        .size:           2
        .value_kind:     hidden_remainder_z
      - .offset:         184
        .size:           8
        .value_kind:     hidden_global_offset_x
      - .offset:         192
        .size:           8
        .value_kind:     hidden_global_offset_y
      - .offset:         200
        .size:           8
        .value_kind:     hidden_global_offset_z
      - .offset:         208
        .size:           2
        .value_kind:     hidden_grid_dims
    .group_segment_fixed_size: 8192
    .kernarg_segment_align: 8
    .kernarg_segment_size: 400
    .language:       OpenCL C
    .language_version:
      - 2
      - 0
    .max_flat_workgroup_size: 256
    .name:           _Z39paged_attention_ll4mi_QKV_mfma16_kernelI14__hip_bfloat16S0_LN4vllm18Fp8KVCacheDataTypeE0ES0_Li32ELi128ELi256ELb0ELi3EL8MFMAType0EEvPKT_PKT0_S9_ifPKiSB_SB_iPKfiiiPfSE_PS4_PT2_iSD_SD_
    .private_segment_fixed_size: 16
    .sgpr_count:     52
    .sgpr_spill_count: 0
    .symbol:         _Z39paged_attention_ll4mi_QKV_mfma16_kernelI14__hip_bfloat16S0_LN4vllm18Fp8KVCacheDataTypeE0ES0_Li32ELi128ELi256ELb0ELi3EL8MFMAType0EEvPKT_PKT0_S9_ifPKiSB_SB_iPKfiiiPfSE_PS4_PT2_iSD_SD_.kd
    .uniform_work_group_size: 1
    .uses_dynamic_stack: false
    .vgpr_count:     96
    .vgpr_spill_count: 3
    .wavefront_size: 64
  - .agpr_count:     0
    .args:
      - .actual_access:  read_only
        .address_space:  global
        .offset:         0
        .size:           8
        .value_kind:     global_buffer
      - .actual_access:  read_only
        .address_space:  global
        .offset:         8
        .size:           8
        .value_kind:     global_buffer
      - .actual_access:  read_only
        .address_space:  global
        .offset:         16
        .size:           8
        .value_kind:     global_buffer
      - .offset:         24
        .size:           4
        .value_kind:     by_value
      - .offset:         28
        .size:           4
        .value_kind:     by_value
      - .actual_access:  read_only
        .address_space:  global
        .offset:         32
        .size:           8
        .value_kind:     global_buffer
      - .actual_access:  read_only
        .address_space:  global
        .offset:         40
        .size:           8
        .value_kind:     global_buffer
      - .actual_access:  read_only
        .address_space:  global
        .offset:         48
        .size:           8
        .value_kind:     global_buffer
      - .offset:         56
        .size:           4
        .value_kind:     by_value
      - .actual_access:  read_only
        .address_space:  global
        .offset:         64
        .size:           8
        .value_kind:     global_buffer
      - .offset:         72
        .size:           4
        .value_kind:     by_value
      - .offset:         76
        .size:           4
        .value_kind:     by_value
      - .offset:         80
        .size:           4
        .value_kind:     by_value
      - .actual_access:  write_only
        .address_space:  global
        .offset:         88
        .size:           8
        .value_kind:     global_buffer
      - .actual_access:  write_only
        .address_space:  global
        .offset:         96
        .size:           8
        .value_kind:     global_buffer
      - .actual_access:  write_only
        .address_space:  global
        .offset:         104
        .size:           8
        .value_kind:     global_buffer
      - .actual_access:  read_only
        .address_space:  global
        .offset:         112
        .size:           8
        .value_kind:     global_buffer
      - .offset:         120
        .size:           4
        .value_kind:     by_value
      - .address_space:  global
        .offset:         128
        .size:           8
        .value_kind:     global_buffer
      - .address_space:  global
        .offset:         136
        .size:           8
        .value_kind:     global_buffer
      - .offset:         144
        .size:           4
        .value_kind:     hidden_block_count_x
      - .offset:         148
        .size:           4
        .value_kind:     hidden_block_count_y
      - .offset:         152
        .size:           4
        .value_kind:     hidden_block_count_z
      - .offset:         156
        .size:           2
        .value_kind:     hidden_group_size_x
      - .offset:         158
        .size:           2
        .value_kind:     hidden_group_size_y
      - .offset:         160
        .size:           2
        .value_kind:     hidden_group_size_z
      - .offset:         162
        .size:           2
        .value_kind:     hidden_remainder_x
      - .offset:         164
        .size:           2
        .value_kind:     hidden_remainder_y
      - .offset:         166
        .size:           2
        .value_kind:     hidden_remainder_z
      - .offset:         184
        .size:           8
        .value_kind:     hidden_global_offset_x
      - .offset:         192
        .size:           8
        .value_kind:     hidden_global_offset_y
      - .offset:         200
        .size:           8
        .value_kind:     hidden_global_offset_z
      - .offset:         208
        .size:           2
        .value_kind:     hidden_grid_dims
    .group_segment_fixed_size: 8192
    .kernarg_segment_align: 8
    .kernarg_segment_size: 400
    .language:       OpenCL C
    .language_version:
      - 2
      - 0
    .max_flat_workgroup_size: 256
    .name:           _Z39paged_attention_ll4mi_QKV_mfma16_kernelI14__hip_bfloat16S0_LN4vllm18Fp8KVCacheDataTypeE0ES0_Li32ELi128ELi256ELb0ELi4EL8MFMAType0EEvPKT_PKT0_S9_ifPKiSB_SB_iPKfiiiPfSE_PS4_PT2_iSD_SD_
    .private_segment_fixed_size: 20
    .sgpr_count:     52
    .sgpr_spill_count: 0
    .symbol:         _Z39paged_attention_ll4mi_QKV_mfma16_kernelI14__hip_bfloat16S0_LN4vllm18Fp8KVCacheDataTypeE0ES0_Li32ELi128ELi256ELb0ELi4EL8MFMAType0EEvPKT_PKT0_S9_ifPKiSB_SB_iPKfiiiPfSE_PS4_PT2_iSD_SD_.kd
    .uniform_work_group_size: 1
    .uses_dynamic_stack: false
    .vgpr_count:     96
    .vgpr_spill_count: 4
    .wavefront_size: 64
  - .agpr_count:     4
    .args:
      - .actual_access:  read_only
        .address_space:  global
        .offset:         0
        .size:           8
        .value_kind:     global_buffer
      - .actual_access:  read_only
        .address_space:  global
        .offset:         8
        .size:           8
        .value_kind:     global_buffer
      - .actual_access:  read_only
        .address_space:  global
        .offset:         16
        .size:           8
        .value_kind:     global_buffer
      - .offset:         24
        .size:           4
        .value_kind:     by_value
      - .offset:         28
        .size:           4
        .value_kind:     by_value
      - .actual_access:  read_only
        .address_space:  global
        .offset:         32
        .size:           8
        .value_kind:     global_buffer
      - .actual_access:  read_only
        .address_space:  global
        .offset:         40
        .size:           8
        .value_kind:     global_buffer
      - .actual_access:  read_only
        .address_space:  global
        .offset:         48
        .size:           8
        .value_kind:     global_buffer
      - .offset:         56
        .size:           4
        .value_kind:     by_value
      - .actual_access:  read_only
        .address_space:  global
        .offset:         64
        .size:           8
        .value_kind:     global_buffer
      - .offset:         72
        .size:           4
        .value_kind:     by_value
      - .offset:         76
        .size:           4
        .value_kind:     by_value
      - .offset:         80
        .size:           4
        .value_kind:     by_value
      - .actual_access:  write_only
        .address_space:  global
        .offset:         88
        .size:           8
        .value_kind:     global_buffer
      - .actual_access:  write_only
        .address_space:  global
        .offset:         96
        .size:           8
        .value_kind:     global_buffer
      - .actual_access:  write_only
        .address_space:  global
        .offset:         104
        .size:           8
        .value_kind:     global_buffer
      - .actual_access:  read_only
        .address_space:  global
        .offset:         112
        .size:           8
        .value_kind:     global_buffer
      - .offset:         120
        .size:           4
        .value_kind:     by_value
      - .address_space:  global
        .offset:         128
        .size:           8
        .value_kind:     global_buffer
      - .address_space:  global
        .offset:         136
        .size:           8
        .value_kind:     global_buffer
      - .offset:         144
        .size:           4
        .value_kind:     hidden_block_count_x
      - .offset:         148
        .size:           4
        .value_kind:     hidden_block_count_y
      - .offset:         152
        .size:           4
        .value_kind:     hidden_block_count_z
      - .offset:         156
        .size:           2
        .value_kind:     hidden_group_size_x
      - .offset:         158
        .size:           2
        .value_kind:     hidden_group_size_y
      - .offset:         160
        .size:           2
        .value_kind:     hidden_group_size_z
      - .offset:         162
        .size:           2
        .value_kind:     hidden_remainder_x
      - .offset:         164
        .size:           2
        .value_kind:     hidden_remainder_y
      - .offset:         166
        .size:           2
        .value_kind:     hidden_remainder_z
      - .offset:         184
        .size:           8
        .value_kind:     hidden_global_offset_x
      - .offset:         192
        .size:           8
        .value_kind:     hidden_global_offset_y
      - .offset:         200
        .size:           8
        .value_kind:     hidden_global_offset_z
      - .offset:         208
        .size:           2
        .value_kind:     hidden_grid_dims
    .group_segment_fixed_size: 2720
    .kernarg_segment_align: 8
    .kernarg_segment_size: 400
    .language:       OpenCL C
    .language_version:
      - 2
      - 0
    .max_flat_workgroup_size: 256
    .name:           _Z38paged_attention_ll4mi_QKV_mfma4_kernelIDF16_hLN4vllm18Fp8KVCacheDataTypeE1EDF16_Li16ELi64ELi256ELb1ELi1EEvPKT_PKT0_S7_ifPKiS9_S9_iPKfiiiPfSC_PS2_PT2_iSB_SB_
    .private_segment_fixed_size: 0
    .sgpr_count:     46
    .sgpr_spill_count: 0
    .symbol:         _Z38paged_attention_ll4mi_QKV_mfma4_kernelIDF16_hLN4vllm18Fp8KVCacheDataTypeE1EDF16_Li16ELi64ELi256ELb1ELi1EEvPKT_PKT0_S7_ifPKiS9_S9_iPKfiiiPfSC_PS2_PT2_iSB_SB_.kd
    .uniform_work_group_size: 1
    .uses_dynamic_stack: false
    .vgpr_count:     60
    .vgpr_spill_count: 0
    .wavefront_size: 64
  - .agpr_count:     4
    .args:
      - .actual_access:  read_only
        .address_space:  global
        .offset:         0
        .size:           8
        .value_kind:     global_buffer
      - .actual_access:  read_only
        .address_space:  global
        .offset:         8
        .size:           8
        .value_kind:     global_buffer
      - .actual_access:  read_only
        .address_space:  global
        .offset:         16
        .size:           8
        .value_kind:     global_buffer
      - .offset:         24
        .size:           4
        .value_kind:     by_value
      - .offset:         28
        .size:           4
        .value_kind:     by_value
      - .actual_access:  read_only
        .address_space:  global
        .offset:         32
        .size:           8
        .value_kind:     global_buffer
      - .actual_access:  read_only
        .address_space:  global
        .offset:         40
        .size:           8
        .value_kind:     global_buffer
      - .actual_access:  read_only
        .address_space:  global
        .offset:         48
        .size:           8
        .value_kind:     global_buffer
      - .offset:         56
        .size:           4
        .value_kind:     by_value
      - .actual_access:  read_only
        .address_space:  global
        .offset:         64
        .size:           8
        .value_kind:     global_buffer
      - .offset:         72
        .size:           4
        .value_kind:     by_value
      - .offset:         76
        .size:           4
        .value_kind:     by_value
      - .offset:         80
        .size:           4
        .value_kind:     by_value
      - .actual_access:  write_only
        .address_space:  global
        .offset:         88
        .size:           8
        .value_kind:     global_buffer
      - .actual_access:  write_only
        .address_space:  global
        .offset:         96
        .size:           8
        .value_kind:     global_buffer
      - .actual_access:  write_only
        .address_space:  global
        .offset:         104
        .size:           8
        .value_kind:     global_buffer
      - .actual_access:  read_only
        .address_space:  global
        .offset:         112
        .size:           8
        .value_kind:     global_buffer
      - .offset:         120
        .size:           4
        .value_kind:     by_value
      - .address_space:  global
        .offset:         128
        .size:           8
        .value_kind:     global_buffer
      - .address_space:  global
        .offset:         136
        .size:           8
        .value_kind:     global_buffer
      - .offset:         144
        .size:           4
        .value_kind:     hidden_block_count_x
      - .offset:         148
        .size:           4
        .value_kind:     hidden_block_count_y
      - .offset:         152
        .size:           4
        .value_kind:     hidden_block_count_z
      - .offset:         156
        .size:           2
        .value_kind:     hidden_group_size_x
      - .offset:         158
        .size:           2
        .value_kind:     hidden_group_size_y
      - .offset:         160
        .size:           2
        .value_kind:     hidden_group_size_z
      - .offset:         162
        .size:           2
        .value_kind:     hidden_remainder_x
      - .offset:         164
        .size:           2
        .value_kind:     hidden_remainder_y
      - .offset:         166
        .size:           2
        .value_kind:     hidden_remainder_z
      - .offset:         184
        .size:           8
        .value_kind:     hidden_global_offset_x
      - .offset:         192
        .size:           8
        .value_kind:     hidden_global_offset_y
      - .offset:         200
        .size:           8
        .value_kind:     hidden_global_offset_z
      - .offset:         208
        .size:           2
        .value_kind:     hidden_grid_dims
    .group_segment_fixed_size: 2720
    .kernarg_segment_align: 8
    .kernarg_segment_size: 400
    .language:       OpenCL C
    .language_version:
      - 2
      - 0
    .max_flat_workgroup_size: 256
    .name:           _Z38paged_attention_ll4mi_QKV_mfma4_kernelIDF16_hLN4vllm18Fp8KVCacheDataTypeE1EDF16_Li16ELi64ELi256ELb1ELi2EEvPKT_PKT0_S7_ifPKiS9_S9_iPKfiiiPfSC_PS2_PT2_iSB_SB_
    .private_segment_fixed_size: 0
    .sgpr_count:     48
    .sgpr_spill_count: 0
    .symbol:         _Z38paged_attention_ll4mi_QKV_mfma4_kernelIDF16_hLN4vllm18Fp8KVCacheDataTypeE1EDF16_Li16ELi64ELi256ELb1ELi2EEvPKT_PKT0_S7_ifPKiS9_S9_iPKfiiiPfSC_PS2_PT2_iSB_SB_.kd
    .uniform_work_group_size: 1
    .uses_dynamic_stack: false
    .vgpr_count:     60
    .vgpr_spill_count: 0
    .wavefront_size: 64
  - .agpr_count:     4
    .args:
      - .actual_access:  read_only
        .address_space:  global
        .offset:         0
        .size:           8
        .value_kind:     global_buffer
      - .actual_access:  read_only
        .address_space:  global
        .offset:         8
        .size:           8
        .value_kind:     global_buffer
      - .actual_access:  read_only
        .address_space:  global
        .offset:         16
        .size:           8
        .value_kind:     global_buffer
      - .offset:         24
        .size:           4
        .value_kind:     by_value
      - .offset:         28
        .size:           4
        .value_kind:     by_value
      - .actual_access:  read_only
        .address_space:  global
        .offset:         32
        .size:           8
        .value_kind:     global_buffer
      - .actual_access:  read_only
        .address_space:  global
        .offset:         40
        .size:           8
        .value_kind:     global_buffer
      - .actual_access:  read_only
        .address_space:  global
        .offset:         48
        .size:           8
        .value_kind:     global_buffer
      - .offset:         56
        .size:           4
        .value_kind:     by_value
      - .actual_access:  read_only
        .address_space:  global
        .offset:         64
        .size:           8
        .value_kind:     global_buffer
      - .offset:         72
        .size:           4
        .value_kind:     by_value
      - .offset:         76
        .size:           4
        .value_kind:     by_value
      - .offset:         80
        .size:           4
        .value_kind:     by_value
      - .actual_access:  write_only
        .address_space:  global
        .offset:         88
        .size:           8
        .value_kind:     global_buffer
      - .actual_access:  write_only
        .address_space:  global
        .offset:         96
        .size:           8
        .value_kind:     global_buffer
      - .actual_access:  write_only
        .address_space:  global
        .offset:         104
        .size:           8
        .value_kind:     global_buffer
      - .actual_access:  read_only
        .address_space:  global
        .offset:         112
        .size:           8
        .value_kind:     global_buffer
      - .offset:         120
        .size:           4
        .value_kind:     by_value
      - .address_space:  global
        .offset:         128
        .size:           8
        .value_kind:     global_buffer
      - .address_space:  global
        .offset:         136
        .size:           8
        .value_kind:     global_buffer
      - .offset:         144
        .size:           4
        .value_kind:     hidden_block_count_x
      - .offset:         148
        .size:           4
        .value_kind:     hidden_block_count_y
      - .offset:         152
        .size:           4
        .value_kind:     hidden_block_count_z
      - .offset:         156
        .size:           2
        .value_kind:     hidden_group_size_x
      - .offset:         158
        .size:           2
        .value_kind:     hidden_group_size_y
      - .offset:         160
        .size:           2
        .value_kind:     hidden_group_size_z
      - .offset:         162
        .size:           2
        .value_kind:     hidden_remainder_x
      - .offset:         164
        .size:           2
        .value_kind:     hidden_remainder_y
      - .offset:         166
        .size:           2
        .value_kind:     hidden_remainder_z
      - .offset:         184
        .size:           8
        .value_kind:     hidden_global_offset_x
      - .offset:         192
        .size:           8
        .value_kind:     hidden_global_offset_y
      - .offset:         200
        .size:           8
        .value_kind:     hidden_global_offset_z
      - .offset:         208
        .size:           2
        .value_kind:     hidden_grid_dims
    .group_segment_fixed_size: 2720
    .kernarg_segment_align: 8
    .kernarg_segment_size: 400
    .language:       OpenCL C
    .language_version:
      - 2
      - 0
    .max_flat_workgroup_size: 256
    .name:           _Z38paged_attention_ll4mi_QKV_mfma4_kernelIDF16_hLN4vllm18Fp8KVCacheDataTypeE1EDF16_Li16ELi64ELi256ELb1ELi3EEvPKT_PKT0_S7_ifPKiS9_S9_iPKfiiiPfSC_PS2_PT2_iSB_SB_
    .private_segment_fixed_size: 0
    .sgpr_count:     50
    .sgpr_spill_count: 0
    .symbol:         _Z38paged_attention_ll4mi_QKV_mfma4_kernelIDF16_hLN4vllm18Fp8KVCacheDataTypeE1EDF16_Li16ELi64ELi256ELb1ELi3EEvPKT_PKT0_S7_ifPKiS9_S9_iPKfiiiPfSC_PS2_PT2_iSB_SB_.kd
    .uniform_work_group_size: 1
    .uses_dynamic_stack: false
    .vgpr_count:     60
    .vgpr_spill_count: 0
    .wavefront_size: 64
  - .agpr_count:     4
    .args:
      - .actual_access:  read_only
        .address_space:  global
        .offset:         0
        .size:           8
        .value_kind:     global_buffer
      - .actual_access:  read_only
        .address_space:  global
        .offset:         8
        .size:           8
        .value_kind:     global_buffer
      - .actual_access:  read_only
        .address_space:  global
        .offset:         16
        .size:           8
        .value_kind:     global_buffer
      - .offset:         24
        .size:           4
        .value_kind:     by_value
      - .offset:         28
        .size:           4
        .value_kind:     by_value
      - .actual_access:  read_only
        .address_space:  global
        .offset:         32
        .size:           8
        .value_kind:     global_buffer
      - .actual_access:  read_only
        .address_space:  global
        .offset:         40
        .size:           8
        .value_kind:     global_buffer
      - .actual_access:  read_only
        .address_space:  global
        .offset:         48
        .size:           8
        .value_kind:     global_buffer
      - .offset:         56
        .size:           4
        .value_kind:     by_value
      - .actual_access:  read_only
        .address_space:  global
        .offset:         64
        .size:           8
        .value_kind:     global_buffer
      - .offset:         72
        .size:           4
        .value_kind:     by_value
      - .offset:         76
        .size:           4
        .value_kind:     by_value
      - .offset:         80
        .size:           4
        .value_kind:     by_value
      - .actual_access:  write_only
        .address_space:  global
        .offset:         88
        .size:           8
        .value_kind:     global_buffer
      - .actual_access:  write_only
        .address_space:  global
        .offset:         96
        .size:           8
        .value_kind:     global_buffer
      - .actual_access:  write_only
        .address_space:  global
        .offset:         104
        .size:           8
        .value_kind:     global_buffer
      - .actual_access:  read_only
        .address_space:  global
        .offset:         112
        .size:           8
        .value_kind:     global_buffer
      - .offset:         120
        .size:           4
        .value_kind:     by_value
      - .address_space:  global
        .offset:         128
        .size:           8
        .value_kind:     global_buffer
      - .address_space:  global
        .offset:         136
        .size:           8
        .value_kind:     global_buffer
      - .offset:         144
        .size:           4
        .value_kind:     hidden_block_count_x
      - .offset:         148
        .size:           4
        .value_kind:     hidden_block_count_y
      - .offset:         152
        .size:           4
        .value_kind:     hidden_block_count_z
      - .offset:         156
        .size:           2
        .value_kind:     hidden_group_size_x
      - .offset:         158
        .size:           2
        .value_kind:     hidden_group_size_y
      - .offset:         160
        .size:           2
        .value_kind:     hidden_group_size_z
      - .offset:         162
        .size:           2
        .value_kind:     hidden_remainder_x
      - .offset:         164
        .size:           2
        .value_kind:     hidden_remainder_y
      - .offset:         166
        .size:           2
        .value_kind:     hidden_remainder_z
      - .offset:         184
        .size:           8
        .value_kind:     hidden_global_offset_x
      - .offset:         192
        .size:           8
        .value_kind:     hidden_global_offset_y
      - .offset:         200
        .size:           8
        .value_kind:     hidden_global_offset_z
      - .offset:         208
        .size:           2
        .value_kind:     hidden_grid_dims
    .group_segment_fixed_size: 2720
    .kernarg_segment_align: 8
    .kernarg_segment_size: 400
    .language:       OpenCL C
    .language_version:
      - 2
      - 0
    .max_flat_workgroup_size: 256
    .name:           _Z38paged_attention_ll4mi_QKV_mfma4_kernelIDF16_hLN4vllm18Fp8KVCacheDataTypeE1EDF16_Li16ELi64ELi256ELb1ELi4EEvPKT_PKT0_S7_ifPKiS9_S9_iPKfiiiPfSC_PS2_PT2_iSB_SB_
    .private_segment_fixed_size: 0
    .sgpr_count:     49
    .sgpr_spill_count: 0
    .symbol:         _Z38paged_attention_ll4mi_QKV_mfma4_kernelIDF16_hLN4vllm18Fp8KVCacheDataTypeE1EDF16_Li16ELi64ELi256ELb1ELi4EEvPKT_PKT0_S7_ifPKiS9_S9_iPKfiiiPfSC_PS2_PT2_iSB_SB_.kd
    .uniform_work_group_size: 1
    .uses_dynamic_stack: false
    .vgpr_count:     64
    .vgpr_spill_count: 0
    .wavefront_size: 64
  - .agpr_count:     1
    .args:
      - .actual_access:  read_only
        .address_space:  global
        .offset:         0
        .size:           8
        .value_kind:     global_buffer
      - .actual_access:  read_only
        .address_space:  global
        .offset:         8
        .size:           8
        .value_kind:     global_buffer
      - .actual_access:  read_only
        .address_space:  global
        .offset:         16
        .size:           8
        .value_kind:     global_buffer
      - .offset:         24
        .size:           4
        .value_kind:     by_value
      - .offset:         28
        .size:           4
        .value_kind:     by_value
      - .actual_access:  read_only
        .address_space:  global
        .offset:         32
        .size:           8
        .value_kind:     global_buffer
      - .actual_access:  read_only
        .address_space:  global
        .offset:         40
        .size:           8
        .value_kind:     global_buffer
      - .actual_access:  read_only
        .address_space:  global
        .offset:         48
        .size:           8
        .value_kind:     global_buffer
      - .offset:         56
        .size:           4
        .value_kind:     by_value
      - .actual_access:  read_only
        .address_space:  global
        .offset:         64
        .size:           8
        .value_kind:     global_buffer
      - .offset:         72
        .size:           4
        .value_kind:     by_value
      - .offset:         76
        .size:           4
        .value_kind:     by_value
      - .offset:         80
        .size:           4
        .value_kind:     by_value
      - .actual_access:  read_only
        .address_space:  global
        .offset:         88
        .size:           8
        .value_kind:     global_buffer
      - .actual_access:  read_only
        .address_space:  global
        .offset:         96
        .size:           8
        .value_kind:     global_buffer
      - .actual_access:  read_only
        .address_space:  global
        .offset:         104
        .size:           8
        .value_kind:     global_buffer
      - .actual_access:  read_only
        .address_space:  global
        .offset:         112
        .size:           8
        .value_kind:     global_buffer
      - .offset:         120
        .size:           4
        .value_kind:     by_value
      - .address_space:  global
        .offset:         128
        .size:           8
        .value_kind:     global_buffer
      - .address_space:  global
        .offset:         136
        .size:           8
        .value_kind:     global_buffer
      - .offset:         144
        .size:           4
        .value_kind:     hidden_block_count_x
      - .offset:         148
        .size:           4
        .value_kind:     hidden_block_count_y
      - .offset:         152
        .size:           4
        .value_kind:     hidden_block_count_z
      - .offset:         156
        .size:           2
        .value_kind:     hidden_group_size_x
      - .offset:         158
        .size:           2
        .value_kind:     hidden_group_size_y
      - .offset:         160
        .size:           2
        .value_kind:     hidden_group_size_z
      - .offset:         162
        .size:           2
        .value_kind:     hidden_remainder_x
      - .offset:         164
        .size:           2
        .value_kind:     hidden_remainder_y
      - .offset:         166
        .size:           2
        .value_kind:     hidden_remainder_z
      - .offset:         184
        .size:           8
        .value_kind:     hidden_global_offset_x
      - .offset:         192
        .size:           8
        .value_kind:     hidden_global_offset_y
      - .offset:         200
        .size:           8
        .value_kind:     hidden_global_offset_z
      - .offset:         208
        .size:           2
        .value_kind:     hidden_grid_dims
      - .offset:         224
        .size:           8
        .value_kind:     hidden_hostcall_buffer
    .group_segment_fixed_size: 8192
    .kernarg_segment_align: 8
    .kernarg_segment_size: 400
    .language:       OpenCL C
    .language_version:
      - 2
      - 0
    .max_flat_workgroup_size: 256
    .name:           _Z39paged_attention_ll4mi_QKV_mfma16_kernelIDF16_hLN4vllm18Fp8KVCacheDataTypeE1EDF16_Li16ELi64ELi256ELb1ELi5EL8MFMAType1EEvPKT_PKT0_S8_ifPKiSA_SA_iPKfiiiPfSD_PS3_PT2_iSC_SC_
    .private_segment_fixed_size: 64
    .sgpr_count:     40
    .sgpr_spill_count: 0
    .symbol:         _Z39paged_attention_ll4mi_QKV_mfma16_kernelIDF16_hLN4vllm18Fp8KVCacheDataTypeE1EDF16_Li16ELi64ELi256ELb1ELi5EL8MFMAType1EEvPKT_PKT0_S8_ifPKiSA_SA_iPKfiiiPfSD_PS3_PT2_iSC_SC_.kd
    .uniform_work_group_size: 1
    .uses_dynamic_stack: false
    .vgpr_count:     45
    .vgpr_spill_count: 0
    .wavefront_size: 64
  - .agpr_count:     1
    .args:
      - .actual_access:  read_only
        .address_space:  global
        .offset:         0
        .size:           8
        .value_kind:     global_buffer
      - .actual_access:  read_only
        .address_space:  global
        .offset:         8
        .size:           8
        .value_kind:     global_buffer
      - .actual_access:  read_only
        .address_space:  global
        .offset:         16
        .size:           8
        .value_kind:     global_buffer
      - .offset:         24
        .size:           4
        .value_kind:     by_value
      - .offset:         28
        .size:           4
        .value_kind:     by_value
      - .actual_access:  read_only
        .address_space:  global
        .offset:         32
        .size:           8
        .value_kind:     global_buffer
      - .actual_access:  read_only
        .address_space:  global
        .offset:         40
        .size:           8
        .value_kind:     global_buffer
      - .actual_access:  read_only
        .address_space:  global
        .offset:         48
        .size:           8
        .value_kind:     global_buffer
      - .offset:         56
        .size:           4
        .value_kind:     by_value
      - .actual_access:  read_only
        .address_space:  global
        .offset:         64
        .size:           8
        .value_kind:     global_buffer
      - .offset:         72
        .size:           4
        .value_kind:     by_value
      - .offset:         76
        .size:           4
        .value_kind:     by_value
      - .offset:         80
        .size:           4
        .value_kind:     by_value
      - .actual_access:  read_only
        .address_space:  global
        .offset:         88
        .size:           8
        .value_kind:     global_buffer
      - .actual_access:  read_only
        .address_space:  global
        .offset:         96
        .size:           8
        .value_kind:     global_buffer
      - .actual_access:  read_only
        .address_space:  global
        .offset:         104
        .size:           8
        .value_kind:     global_buffer
      - .actual_access:  read_only
        .address_space:  global
        .offset:         112
        .size:           8
        .value_kind:     global_buffer
      - .offset:         120
        .size:           4
        .value_kind:     by_value
      - .address_space:  global
        .offset:         128
        .size:           8
        .value_kind:     global_buffer
      - .address_space:  global
        .offset:         136
        .size:           8
        .value_kind:     global_buffer
      - .offset:         144
        .size:           4
        .value_kind:     hidden_block_count_x
      - .offset:         148
        .size:           4
        .value_kind:     hidden_block_count_y
      - .offset:         152
        .size:           4
        .value_kind:     hidden_block_count_z
      - .offset:         156
        .size:           2
        .value_kind:     hidden_group_size_x
      - .offset:         158
        .size:           2
        .value_kind:     hidden_group_size_y
      - .offset:         160
        .size:           2
        .value_kind:     hidden_group_size_z
      - .offset:         162
        .size:           2
        .value_kind:     hidden_remainder_x
      - .offset:         164
        .size:           2
        .value_kind:     hidden_remainder_y
      - .offset:         166
        .size:           2
        .value_kind:     hidden_remainder_z
      - .offset:         184
        .size:           8
        .value_kind:     hidden_global_offset_x
      - .offset:         192
        .size:           8
        .value_kind:     hidden_global_offset_y
      - .offset:         200
        .size:           8
        .value_kind:     hidden_global_offset_z
      - .offset:         208
        .size:           2
        .value_kind:     hidden_grid_dims
      - .offset:         224
        .size:           8
        .value_kind:     hidden_hostcall_buffer
    .group_segment_fixed_size: 8192
    .kernarg_segment_align: 8
    .kernarg_segment_size: 400
    .language:       OpenCL C
    .language_version:
      - 2
      - 0
    .max_flat_workgroup_size: 256
    .name:           _Z39paged_attention_ll4mi_QKV_mfma16_kernelIDF16_hLN4vllm18Fp8KVCacheDataTypeE1EDF16_Li16ELi64ELi256ELb1ELi6EL8MFMAType1EEvPKT_PKT0_S8_ifPKiSA_SA_iPKfiiiPfSD_PS3_PT2_iSC_SC_
    .private_segment_fixed_size: 64
    .sgpr_count:     40
    .sgpr_spill_count: 0
    .symbol:         _Z39paged_attention_ll4mi_QKV_mfma16_kernelIDF16_hLN4vllm18Fp8KVCacheDataTypeE1EDF16_Li16ELi64ELi256ELb1ELi6EL8MFMAType1EEvPKT_PKT0_S8_ifPKiSA_SA_iPKfiiiPfSD_PS3_PT2_iSC_SC_.kd
    .uniform_work_group_size: 1
    .uses_dynamic_stack: false
    .vgpr_count:     45
    .vgpr_spill_count: 0
    .wavefront_size: 64
  - .agpr_count:     1
    .args:
      - .actual_access:  read_only
        .address_space:  global
        .offset:         0
        .size:           8
        .value_kind:     global_buffer
      - .actual_access:  read_only
        .address_space:  global
        .offset:         8
        .size:           8
        .value_kind:     global_buffer
      - .actual_access:  read_only
        .address_space:  global
        .offset:         16
        .size:           8
        .value_kind:     global_buffer
      - .offset:         24
        .size:           4
        .value_kind:     by_value
      - .offset:         28
        .size:           4
        .value_kind:     by_value
      - .actual_access:  read_only
        .address_space:  global
        .offset:         32
        .size:           8
        .value_kind:     global_buffer
      - .actual_access:  read_only
        .address_space:  global
        .offset:         40
        .size:           8
        .value_kind:     global_buffer
      - .actual_access:  read_only
        .address_space:  global
        .offset:         48
        .size:           8
        .value_kind:     global_buffer
      - .offset:         56
        .size:           4
        .value_kind:     by_value
      - .actual_access:  read_only
        .address_space:  global
        .offset:         64
        .size:           8
        .value_kind:     global_buffer
      - .offset:         72
        .size:           4
        .value_kind:     by_value
      - .offset:         76
        .size:           4
        .value_kind:     by_value
      - .offset:         80
        .size:           4
        .value_kind:     by_value
      - .actual_access:  read_only
        .address_space:  global
        .offset:         88
        .size:           8
        .value_kind:     global_buffer
      - .actual_access:  read_only
        .address_space:  global
        .offset:         96
        .size:           8
        .value_kind:     global_buffer
      - .actual_access:  read_only
        .address_space:  global
        .offset:         104
        .size:           8
        .value_kind:     global_buffer
      - .actual_access:  read_only
        .address_space:  global
        .offset:         112
        .size:           8
        .value_kind:     global_buffer
      - .offset:         120
        .size:           4
        .value_kind:     by_value
      - .address_space:  global
        .offset:         128
        .size:           8
        .value_kind:     global_buffer
      - .address_space:  global
        .offset:         136
        .size:           8
        .value_kind:     global_buffer
      - .offset:         144
        .size:           4
        .value_kind:     hidden_block_count_x
      - .offset:         148
        .size:           4
        .value_kind:     hidden_block_count_y
      - .offset:         152
        .size:           4
        .value_kind:     hidden_block_count_z
      - .offset:         156
        .size:           2
        .value_kind:     hidden_group_size_x
      - .offset:         158
        .size:           2
        .value_kind:     hidden_group_size_y
      - .offset:         160
        .size:           2
        .value_kind:     hidden_group_size_z
      - .offset:         162
        .size:           2
        .value_kind:     hidden_remainder_x
      - .offset:         164
        .size:           2
        .value_kind:     hidden_remainder_y
      - .offset:         166
        .size:           2
        .value_kind:     hidden_remainder_z
      - .offset:         184
        .size:           8
        .value_kind:     hidden_global_offset_x
      - .offset:         192
        .size:           8
        .value_kind:     hidden_global_offset_y
      - .offset:         200
        .size:           8
        .value_kind:     hidden_global_offset_z
      - .offset:         208
        .size:           2
        .value_kind:     hidden_grid_dims
      - .offset:         224
        .size:           8
        .value_kind:     hidden_hostcall_buffer
    .group_segment_fixed_size: 8192
    .kernarg_segment_align: 8
    .kernarg_segment_size: 400
    .language:       OpenCL C
    .language_version:
      - 2
      - 0
    .max_flat_workgroup_size: 256
    .name:           _Z39paged_attention_ll4mi_QKV_mfma16_kernelIDF16_hLN4vllm18Fp8KVCacheDataTypeE1EDF16_Li16ELi64ELi256ELb1ELi7EL8MFMAType1EEvPKT_PKT0_S8_ifPKiSA_SA_iPKfiiiPfSD_PS3_PT2_iSC_SC_
    .private_segment_fixed_size: 64
    .sgpr_count:     40
    .sgpr_spill_count: 0
    .symbol:         _Z39paged_attention_ll4mi_QKV_mfma16_kernelIDF16_hLN4vllm18Fp8KVCacheDataTypeE1EDF16_Li16ELi64ELi256ELb1ELi7EL8MFMAType1EEvPKT_PKT0_S8_ifPKiSA_SA_iPKfiiiPfSD_PS3_PT2_iSC_SC_.kd
    .uniform_work_group_size: 1
    .uses_dynamic_stack: false
    .vgpr_count:     45
    .vgpr_spill_count: 0
    .wavefront_size: 64
  - .agpr_count:     1
    .args:
      - .actual_access:  read_only
        .address_space:  global
        .offset:         0
        .size:           8
        .value_kind:     global_buffer
      - .actual_access:  read_only
        .address_space:  global
        .offset:         8
        .size:           8
        .value_kind:     global_buffer
      - .actual_access:  read_only
        .address_space:  global
        .offset:         16
        .size:           8
        .value_kind:     global_buffer
      - .offset:         24
        .size:           4
        .value_kind:     by_value
      - .offset:         28
        .size:           4
        .value_kind:     by_value
      - .actual_access:  read_only
        .address_space:  global
        .offset:         32
        .size:           8
        .value_kind:     global_buffer
      - .actual_access:  read_only
        .address_space:  global
        .offset:         40
        .size:           8
        .value_kind:     global_buffer
      - .actual_access:  read_only
        .address_space:  global
        .offset:         48
        .size:           8
        .value_kind:     global_buffer
      - .offset:         56
        .size:           4
        .value_kind:     by_value
      - .actual_access:  read_only
        .address_space:  global
        .offset:         64
        .size:           8
        .value_kind:     global_buffer
      - .offset:         72
        .size:           4
        .value_kind:     by_value
      - .offset:         76
        .size:           4
        .value_kind:     by_value
      - .offset:         80
        .size:           4
        .value_kind:     by_value
      - .actual_access:  read_only
        .address_space:  global
        .offset:         88
        .size:           8
        .value_kind:     global_buffer
      - .actual_access:  read_only
        .address_space:  global
        .offset:         96
        .size:           8
        .value_kind:     global_buffer
      - .actual_access:  read_only
        .address_space:  global
        .offset:         104
        .size:           8
        .value_kind:     global_buffer
      - .actual_access:  read_only
        .address_space:  global
        .offset:         112
        .size:           8
        .value_kind:     global_buffer
      - .offset:         120
        .size:           4
        .value_kind:     by_value
      - .address_space:  global
        .offset:         128
        .size:           8
        .value_kind:     global_buffer
      - .address_space:  global
        .offset:         136
        .size:           8
        .value_kind:     global_buffer
      - .offset:         144
        .size:           4
        .value_kind:     hidden_block_count_x
      - .offset:         148
        .size:           4
        .value_kind:     hidden_block_count_y
      - .offset:         152
        .size:           4
        .value_kind:     hidden_block_count_z
      - .offset:         156
        .size:           2
        .value_kind:     hidden_group_size_x
      - .offset:         158
        .size:           2
        .value_kind:     hidden_group_size_y
      - .offset:         160
        .size:           2
        .value_kind:     hidden_group_size_z
      - .offset:         162
        .size:           2
        .value_kind:     hidden_remainder_x
      - .offset:         164
        .size:           2
        .value_kind:     hidden_remainder_y
      - .offset:         166
        .size:           2
        .value_kind:     hidden_remainder_z
      - .offset:         184
        .size:           8
        .value_kind:     hidden_global_offset_x
      - .offset:         192
        .size:           8
        .value_kind:     hidden_global_offset_y
      - .offset:         200
        .size:           8
        .value_kind:     hidden_global_offset_z
      - .offset:         208
        .size:           2
        .value_kind:     hidden_grid_dims
      - .offset:         224
        .size:           8
        .value_kind:     hidden_hostcall_buffer
    .group_segment_fixed_size: 8192
    .kernarg_segment_align: 8
    .kernarg_segment_size: 400
    .language:       OpenCL C
    .language_version:
      - 2
      - 0
    .max_flat_workgroup_size: 256
    .name:           _Z39paged_attention_ll4mi_QKV_mfma16_kernelIDF16_hLN4vllm18Fp8KVCacheDataTypeE1EDF16_Li16ELi64ELi256ELb1ELi8EL8MFMAType1EEvPKT_PKT0_S8_ifPKiSA_SA_iPKfiiiPfSD_PS3_PT2_iSC_SC_
    .private_segment_fixed_size: 64
    .sgpr_count:     40
    .sgpr_spill_count: 0
    .symbol:         _Z39paged_attention_ll4mi_QKV_mfma16_kernelIDF16_hLN4vllm18Fp8KVCacheDataTypeE1EDF16_Li16ELi64ELi256ELb1ELi8EL8MFMAType1EEvPKT_PKT0_S8_ifPKiSA_SA_iPKfiiiPfSD_PS3_PT2_iSC_SC_.kd
    .uniform_work_group_size: 1
    .uses_dynamic_stack: false
    .vgpr_count:     45
    .vgpr_spill_count: 0
    .wavefront_size: 64
  - .agpr_count:     1
    .args:
      - .actual_access:  read_only
        .address_space:  global
        .offset:         0
        .size:           8
        .value_kind:     global_buffer
      - .actual_access:  read_only
        .address_space:  global
        .offset:         8
        .size:           8
        .value_kind:     global_buffer
      - .actual_access:  read_only
        .address_space:  global
        .offset:         16
        .size:           8
        .value_kind:     global_buffer
      - .offset:         24
        .size:           4
        .value_kind:     by_value
      - .offset:         28
        .size:           4
        .value_kind:     by_value
      - .actual_access:  read_only
        .address_space:  global
        .offset:         32
        .size:           8
        .value_kind:     global_buffer
      - .actual_access:  read_only
        .address_space:  global
        .offset:         40
        .size:           8
        .value_kind:     global_buffer
      - .actual_access:  read_only
        .address_space:  global
        .offset:         48
        .size:           8
        .value_kind:     global_buffer
      - .offset:         56
        .size:           4
        .value_kind:     by_value
      - .actual_access:  read_only
        .address_space:  global
        .offset:         64
        .size:           8
        .value_kind:     global_buffer
      - .offset:         72
        .size:           4
        .value_kind:     by_value
      - .offset:         76
        .size:           4
        .value_kind:     by_value
      - .offset:         80
        .size:           4
        .value_kind:     by_value
      - .actual_access:  read_only
        .address_space:  global
        .offset:         88
        .size:           8
        .value_kind:     global_buffer
      - .actual_access:  read_only
        .address_space:  global
        .offset:         96
        .size:           8
        .value_kind:     global_buffer
      - .actual_access:  read_only
        .address_space:  global
        .offset:         104
        .size:           8
        .value_kind:     global_buffer
      - .actual_access:  read_only
        .address_space:  global
        .offset:         112
        .size:           8
        .value_kind:     global_buffer
      - .offset:         120
        .size:           4
        .value_kind:     by_value
      - .address_space:  global
        .offset:         128
        .size:           8
        .value_kind:     global_buffer
      - .address_space:  global
        .offset:         136
        .size:           8
        .value_kind:     global_buffer
      - .offset:         144
        .size:           4
        .value_kind:     hidden_block_count_x
      - .offset:         148
        .size:           4
        .value_kind:     hidden_block_count_y
      - .offset:         152
        .size:           4
        .value_kind:     hidden_block_count_z
      - .offset:         156
        .size:           2
        .value_kind:     hidden_group_size_x
      - .offset:         158
        .size:           2
        .value_kind:     hidden_group_size_y
      - .offset:         160
        .size:           2
        .value_kind:     hidden_group_size_z
      - .offset:         162
        .size:           2
        .value_kind:     hidden_remainder_x
      - .offset:         164
        .size:           2
        .value_kind:     hidden_remainder_y
      - .offset:         166
        .size:           2
        .value_kind:     hidden_remainder_z
      - .offset:         184
        .size:           8
        .value_kind:     hidden_global_offset_x
      - .offset:         192
        .size:           8
        .value_kind:     hidden_global_offset_y
      - .offset:         200
        .size:           8
        .value_kind:     hidden_global_offset_z
      - .offset:         208
        .size:           2
        .value_kind:     hidden_grid_dims
      - .offset:         224
        .size:           8
        .value_kind:     hidden_hostcall_buffer
    .group_segment_fixed_size: 8192
    .kernarg_segment_align: 8
    .kernarg_segment_size: 400
    .language:       OpenCL C
    .language_version:
      - 2
      - 0
    .max_flat_workgroup_size: 256
    .name:           _Z39paged_attention_ll4mi_QKV_mfma16_kernelIDF16_hLN4vllm18Fp8KVCacheDataTypeE1EDF16_Li16ELi64ELi256ELb1ELi9EL8MFMAType1EEvPKT_PKT0_S8_ifPKiSA_SA_iPKfiiiPfSD_PS3_PT2_iSC_SC_
    .private_segment_fixed_size: 64
    .sgpr_count:     40
    .sgpr_spill_count: 0
    .symbol:         _Z39paged_attention_ll4mi_QKV_mfma16_kernelIDF16_hLN4vllm18Fp8KVCacheDataTypeE1EDF16_Li16ELi64ELi256ELb1ELi9EL8MFMAType1EEvPKT_PKT0_S8_ifPKiSA_SA_iPKfiiiPfSD_PS3_PT2_iSC_SC_.kd
    .uniform_work_group_size: 1
    .uses_dynamic_stack: false
    .vgpr_count:     45
    .vgpr_spill_count: 0
    .wavefront_size: 64
  - .agpr_count:     1
    .args:
      - .actual_access:  read_only
        .address_space:  global
        .offset:         0
        .size:           8
        .value_kind:     global_buffer
      - .actual_access:  read_only
        .address_space:  global
        .offset:         8
        .size:           8
        .value_kind:     global_buffer
      - .actual_access:  read_only
        .address_space:  global
        .offset:         16
        .size:           8
        .value_kind:     global_buffer
      - .offset:         24
        .size:           4
        .value_kind:     by_value
      - .offset:         28
        .size:           4
        .value_kind:     by_value
      - .actual_access:  read_only
        .address_space:  global
        .offset:         32
        .size:           8
        .value_kind:     global_buffer
      - .actual_access:  read_only
        .address_space:  global
        .offset:         40
        .size:           8
        .value_kind:     global_buffer
      - .actual_access:  read_only
        .address_space:  global
        .offset:         48
        .size:           8
        .value_kind:     global_buffer
      - .offset:         56
        .size:           4
        .value_kind:     by_value
      - .actual_access:  read_only
        .address_space:  global
        .offset:         64
        .size:           8
        .value_kind:     global_buffer
      - .offset:         72
        .size:           4
        .value_kind:     by_value
      - .offset:         76
        .size:           4
        .value_kind:     by_value
      - .offset:         80
        .size:           4
        .value_kind:     by_value
      - .actual_access:  read_only
        .address_space:  global
        .offset:         88
        .size:           8
        .value_kind:     global_buffer
      - .actual_access:  read_only
        .address_space:  global
        .offset:         96
        .size:           8
        .value_kind:     global_buffer
      - .actual_access:  read_only
        .address_space:  global
        .offset:         104
        .size:           8
        .value_kind:     global_buffer
      - .actual_access:  read_only
        .address_space:  global
        .offset:         112
        .size:           8
        .value_kind:     global_buffer
      - .offset:         120
        .size:           4
        .value_kind:     by_value
      - .address_space:  global
        .offset:         128
        .size:           8
        .value_kind:     global_buffer
      - .address_space:  global
        .offset:         136
        .size:           8
        .value_kind:     global_buffer
      - .offset:         144
        .size:           4
        .value_kind:     hidden_block_count_x
      - .offset:         148
        .size:           4
        .value_kind:     hidden_block_count_y
      - .offset:         152
        .size:           4
        .value_kind:     hidden_block_count_z
      - .offset:         156
        .size:           2
        .value_kind:     hidden_group_size_x
      - .offset:         158
        .size:           2
        .value_kind:     hidden_group_size_y
      - .offset:         160
        .size:           2
        .value_kind:     hidden_group_size_z
      - .offset:         162
        .size:           2
        .value_kind:     hidden_remainder_x
      - .offset:         164
        .size:           2
        .value_kind:     hidden_remainder_y
      - .offset:         166
        .size:           2
        .value_kind:     hidden_remainder_z
      - .offset:         184
        .size:           8
        .value_kind:     hidden_global_offset_x
      - .offset:         192
        .size:           8
        .value_kind:     hidden_global_offset_y
      - .offset:         200
        .size:           8
        .value_kind:     hidden_global_offset_z
      - .offset:         208
        .size:           2
        .value_kind:     hidden_grid_dims
      - .offset:         224
        .size:           8
        .value_kind:     hidden_hostcall_buffer
    .group_segment_fixed_size: 8192
    .kernarg_segment_align: 8
    .kernarg_segment_size: 400
    .language:       OpenCL C
    .language_version:
      - 2
      - 0
    .max_flat_workgroup_size: 256
    .name:           _Z39paged_attention_ll4mi_QKV_mfma16_kernelIDF16_hLN4vllm18Fp8KVCacheDataTypeE1EDF16_Li16ELi64ELi256ELb1ELi10EL8MFMAType1EEvPKT_PKT0_S8_ifPKiSA_SA_iPKfiiiPfSD_PS3_PT2_iSC_SC_
    .private_segment_fixed_size: 64
    .sgpr_count:     40
    .sgpr_spill_count: 0
    .symbol:         _Z39paged_attention_ll4mi_QKV_mfma16_kernelIDF16_hLN4vllm18Fp8KVCacheDataTypeE1EDF16_Li16ELi64ELi256ELb1ELi10EL8MFMAType1EEvPKT_PKT0_S8_ifPKiSA_SA_iPKfiiiPfSD_PS3_PT2_iSC_SC_.kd
    .uniform_work_group_size: 1
    .uses_dynamic_stack: false
    .vgpr_count:     45
    .vgpr_spill_count: 0
    .wavefront_size: 64
  - .agpr_count:     1
    .args:
      - .actual_access:  read_only
        .address_space:  global
        .offset:         0
        .size:           8
        .value_kind:     global_buffer
      - .actual_access:  read_only
        .address_space:  global
        .offset:         8
        .size:           8
        .value_kind:     global_buffer
      - .actual_access:  read_only
        .address_space:  global
        .offset:         16
        .size:           8
        .value_kind:     global_buffer
      - .offset:         24
        .size:           4
        .value_kind:     by_value
      - .offset:         28
        .size:           4
        .value_kind:     by_value
      - .actual_access:  read_only
        .address_space:  global
        .offset:         32
        .size:           8
        .value_kind:     global_buffer
      - .actual_access:  read_only
        .address_space:  global
        .offset:         40
        .size:           8
        .value_kind:     global_buffer
      - .actual_access:  read_only
        .address_space:  global
        .offset:         48
        .size:           8
        .value_kind:     global_buffer
      - .offset:         56
        .size:           4
        .value_kind:     by_value
      - .actual_access:  read_only
        .address_space:  global
        .offset:         64
        .size:           8
        .value_kind:     global_buffer
      - .offset:         72
        .size:           4
        .value_kind:     by_value
      - .offset:         76
        .size:           4
        .value_kind:     by_value
      - .offset:         80
        .size:           4
        .value_kind:     by_value
      - .actual_access:  read_only
        .address_space:  global
        .offset:         88
        .size:           8
        .value_kind:     global_buffer
      - .actual_access:  read_only
        .address_space:  global
        .offset:         96
        .size:           8
        .value_kind:     global_buffer
      - .actual_access:  read_only
        .address_space:  global
        .offset:         104
        .size:           8
        .value_kind:     global_buffer
      - .actual_access:  read_only
        .address_space:  global
        .offset:         112
        .size:           8
        .value_kind:     global_buffer
      - .offset:         120
        .size:           4
        .value_kind:     by_value
      - .address_space:  global
        .offset:         128
        .size:           8
        .value_kind:     global_buffer
      - .address_space:  global
        .offset:         136
        .size:           8
        .value_kind:     global_buffer
      - .offset:         144
        .size:           4
        .value_kind:     hidden_block_count_x
      - .offset:         148
        .size:           4
        .value_kind:     hidden_block_count_y
      - .offset:         152
        .size:           4
        .value_kind:     hidden_block_count_z
      - .offset:         156
        .size:           2
        .value_kind:     hidden_group_size_x
      - .offset:         158
        .size:           2
        .value_kind:     hidden_group_size_y
      - .offset:         160
        .size:           2
        .value_kind:     hidden_group_size_z
      - .offset:         162
        .size:           2
        .value_kind:     hidden_remainder_x
      - .offset:         164
        .size:           2
        .value_kind:     hidden_remainder_y
      - .offset:         166
        .size:           2
        .value_kind:     hidden_remainder_z
      - .offset:         184
        .size:           8
        .value_kind:     hidden_global_offset_x
      - .offset:         192
        .size:           8
        .value_kind:     hidden_global_offset_y
      - .offset:         200
        .size:           8
        .value_kind:     hidden_global_offset_z
      - .offset:         208
        .size:           2
        .value_kind:     hidden_grid_dims
      - .offset:         224
        .size:           8
        .value_kind:     hidden_hostcall_buffer
    .group_segment_fixed_size: 8192
    .kernarg_segment_align: 8
    .kernarg_segment_size: 400
    .language:       OpenCL C
    .language_version:
      - 2
      - 0
    .max_flat_workgroup_size: 256
    .name:           _Z39paged_attention_ll4mi_QKV_mfma16_kernelIDF16_hLN4vllm18Fp8KVCacheDataTypeE1EDF16_Li16ELi64ELi256ELb1ELi11EL8MFMAType1EEvPKT_PKT0_S8_ifPKiSA_SA_iPKfiiiPfSD_PS3_PT2_iSC_SC_
    .private_segment_fixed_size: 64
    .sgpr_count:     40
    .sgpr_spill_count: 0
    .symbol:         _Z39paged_attention_ll4mi_QKV_mfma16_kernelIDF16_hLN4vllm18Fp8KVCacheDataTypeE1EDF16_Li16ELi64ELi256ELb1ELi11EL8MFMAType1EEvPKT_PKT0_S8_ifPKiSA_SA_iPKfiiiPfSD_PS3_PT2_iSC_SC_.kd
    .uniform_work_group_size: 1
    .uses_dynamic_stack: false
    .vgpr_count:     45
    .vgpr_spill_count: 0
    .wavefront_size: 64
  - .agpr_count:     1
    .args:
      - .actual_access:  read_only
        .address_space:  global
        .offset:         0
        .size:           8
        .value_kind:     global_buffer
      - .actual_access:  read_only
        .address_space:  global
        .offset:         8
        .size:           8
        .value_kind:     global_buffer
      - .actual_access:  read_only
        .address_space:  global
        .offset:         16
        .size:           8
        .value_kind:     global_buffer
      - .offset:         24
        .size:           4
        .value_kind:     by_value
      - .offset:         28
        .size:           4
        .value_kind:     by_value
      - .actual_access:  read_only
        .address_space:  global
        .offset:         32
        .size:           8
        .value_kind:     global_buffer
      - .actual_access:  read_only
        .address_space:  global
        .offset:         40
        .size:           8
        .value_kind:     global_buffer
      - .actual_access:  read_only
        .address_space:  global
        .offset:         48
        .size:           8
        .value_kind:     global_buffer
      - .offset:         56
        .size:           4
        .value_kind:     by_value
      - .actual_access:  read_only
        .address_space:  global
        .offset:         64
        .size:           8
        .value_kind:     global_buffer
      - .offset:         72
        .size:           4
        .value_kind:     by_value
      - .offset:         76
        .size:           4
        .value_kind:     by_value
      - .offset:         80
        .size:           4
        .value_kind:     by_value
      - .actual_access:  read_only
        .address_space:  global
        .offset:         88
        .size:           8
        .value_kind:     global_buffer
      - .actual_access:  read_only
        .address_space:  global
        .offset:         96
        .size:           8
        .value_kind:     global_buffer
      - .actual_access:  read_only
        .address_space:  global
        .offset:         104
        .size:           8
        .value_kind:     global_buffer
      - .actual_access:  read_only
        .address_space:  global
        .offset:         112
        .size:           8
        .value_kind:     global_buffer
      - .offset:         120
        .size:           4
        .value_kind:     by_value
      - .address_space:  global
        .offset:         128
        .size:           8
        .value_kind:     global_buffer
      - .address_space:  global
        .offset:         136
        .size:           8
        .value_kind:     global_buffer
      - .offset:         144
        .size:           4
        .value_kind:     hidden_block_count_x
      - .offset:         148
        .size:           4
        .value_kind:     hidden_block_count_y
      - .offset:         152
        .size:           4
        .value_kind:     hidden_block_count_z
      - .offset:         156
        .size:           2
        .value_kind:     hidden_group_size_x
      - .offset:         158
        .size:           2
        .value_kind:     hidden_group_size_y
      - .offset:         160
        .size:           2
        .value_kind:     hidden_group_size_z
      - .offset:         162
        .size:           2
        .value_kind:     hidden_remainder_x
      - .offset:         164
        .size:           2
        .value_kind:     hidden_remainder_y
      - .offset:         166
        .size:           2
        .value_kind:     hidden_remainder_z
      - .offset:         184
        .size:           8
        .value_kind:     hidden_global_offset_x
      - .offset:         192
        .size:           8
        .value_kind:     hidden_global_offset_y
      - .offset:         200
        .size:           8
        .value_kind:     hidden_global_offset_z
      - .offset:         208
        .size:           2
        .value_kind:     hidden_grid_dims
      - .offset:         224
        .size:           8
        .value_kind:     hidden_hostcall_buffer
    .group_segment_fixed_size: 8192
    .kernarg_segment_align: 8
    .kernarg_segment_size: 400
    .language:       OpenCL C
    .language_version:
      - 2
      - 0
    .max_flat_workgroup_size: 256
    .name:           _Z39paged_attention_ll4mi_QKV_mfma16_kernelIDF16_hLN4vllm18Fp8KVCacheDataTypeE1EDF16_Li16ELi64ELi256ELb1ELi12EL8MFMAType1EEvPKT_PKT0_S8_ifPKiSA_SA_iPKfiiiPfSD_PS3_PT2_iSC_SC_
    .private_segment_fixed_size: 64
    .sgpr_count:     40
    .sgpr_spill_count: 0
    .symbol:         _Z39paged_attention_ll4mi_QKV_mfma16_kernelIDF16_hLN4vllm18Fp8KVCacheDataTypeE1EDF16_Li16ELi64ELi256ELb1ELi12EL8MFMAType1EEvPKT_PKT0_S8_ifPKiSA_SA_iPKfiiiPfSD_PS3_PT2_iSC_SC_.kd
    .uniform_work_group_size: 1
    .uses_dynamic_stack: false
    .vgpr_count:     45
    .vgpr_spill_count: 0
    .wavefront_size: 64
  - .agpr_count:     1
    .args:
      - .actual_access:  read_only
        .address_space:  global
        .offset:         0
        .size:           8
        .value_kind:     global_buffer
      - .actual_access:  read_only
        .address_space:  global
        .offset:         8
        .size:           8
        .value_kind:     global_buffer
      - .actual_access:  read_only
        .address_space:  global
        .offset:         16
        .size:           8
        .value_kind:     global_buffer
      - .offset:         24
        .size:           4
        .value_kind:     by_value
      - .offset:         28
        .size:           4
        .value_kind:     by_value
      - .actual_access:  read_only
        .address_space:  global
        .offset:         32
        .size:           8
        .value_kind:     global_buffer
      - .actual_access:  read_only
        .address_space:  global
        .offset:         40
        .size:           8
        .value_kind:     global_buffer
      - .actual_access:  read_only
        .address_space:  global
        .offset:         48
        .size:           8
        .value_kind:     global_buffer
      - .offset:         56
        .size:           4
        .value_kind:     by_value
      - .actual_access:  read_only
        .address_space:  global
        .offset:         64
        .size:           8
        .value_kind:     global_buffer
      - .offset:         72
        .size:           4
        .value_kind:     by_value
      - .offset:         76
        .size:           4
        .value_kind:     by_value
      - .offset:         80
        .size:           4
        .value_kind:     by_value
      - .actual_access:  read_only
        .address_space:  global
        .offset:         88
        .size:           8
        .value_kind:     global_buffer
      - .actual_access:  read_only
        .address_space:  global
        .offset:         96
        .size:           8
        .value_kind:     global_buffer
      - .actual_access:  read_only
        .address_space:  global
        .offset:         104
        .size:           8
        .value_kind:     global_buffer
      - .actual_access:  read_only
        .address_space:  global
        .offset:         112
        .size:           8
        .value_kind:     global_buffer
      - .offset:         120
        .size:           4
        .value_kind:     by_value
      - .address_space:  global
        .offset:         128
        .size:           8
        .value_kind:     global_buffer
      - .address_space:  global
        .offset:         136
        .size:           8
        .value_kind:     global_buffer
      - .offset:         144
        .size:           4
        .value_kind:     hidden_block_count_x
      - .offset:         148
        .size:           4
        .value_kind:     hidden_block_count_y
      - .offset:         152
        .size:           4
        .value_kind:     hidden_block_count_z
      - .offset:         156
        .size:           2
        .value_kind:     hidden_group_size_x
      - .offset:         158
        .size:           2
        .value_kind:     hidden_group_size_y
      - .offset:         160
        .size:           2
        .value_kind:     hidden_group_size_z
      - .offset:         162
        .size:           2
        .value_kind:     hidden_remainder_x
      - .offset:         164
        .size:           2
        .value_kind:     hidden_remainder_y
      - .offset:         166
        .size:           2
        .value_kind:     hidden_remainder_z
      - .offset:         184
        .size:           8
        .value_kind:     hidden_global_offset_x
      - .offset:         192
        .size:           8
        .value_kind:     hidden_global_offset_y
      - .offset:         200
        .size:           8
        .value_kind:     hidden_global_offset_z
      - .offset:         208
        .size:           2
        .value_kind:     hidden_grid_dims
      - .offset:         224
        .size:           8
        .value_kind:     hidden_hostcall_buffer
    .group_segment_fixed_size: 8192
    .kernarg_segment_align: 8
    .kernarg_segment_size: 400
    .language:       OpenCL C
    .language_version:
      - 2
      - 0
    .max_flat_workgroup_size: 256
    .name:           _Z39paged_attention_ll4mi_QKV_mfma16_kernelIDF16_hLN4vllm18Fp8KVCacheDataTypeE1EDF16_Li16ELi64ELi256ELb1ELi13EL8MFMAType1EEvPKT_PKT0_S8_ifPKiSA_SA_iPKfiiiPfSD_PS3_PT2_iSC_SC_
    .private_segment_fixed_size: 64
    .sgpr_count:     40
    .sgpr_spill_count: 0
    .symbol:         _Z39paged_attention_ll4mi_QKV_mfma16_kernelIDF16_hLN4vllm18Fp8KVCacheDataTypeE1EDF16_Li16ELi64ELi256ELb1ELi13EL8MFMAType1EEvPKT_PKT0_S8_ifPKiSA_SA_iPKfiiiPfSD_PS3_PT2_iSC_SC_.kd
    .uniform_work_group_size: 1
    .uses_dynamic_stack: false
    .vgpr_count:     45
    .vgpr_spill_count: 0
    .wavefront_size: 64
  - .agpr_count:     1
    .args:
      - .actual_access:  read_only
        .address_space:  global
        .offset:         0
        .size:           8
        .value_kind:     global_buffer
      - .actual_access:  read_only
        .address_space:  global
        .offset:         8
        .size:           8
        .value_kind:     global_buffer
      - .actual_access:  read_only
        .address_space:  global
        .offset:         16
        .size:           8
        .value_kind:     global_buffer
      - .offset:         24
        .size:           4
        .value_kind:     by_value
      - .offset:         28
        .size:           4
        .value_kind:     by_value
      - .actual_access:  read_only
        .address_space:  global
        .offset:         32
        .size:           8
        .value_kind:     global_buffer
      - .actual_access:  read_only
        .address_space:  global
        .offset:         40
        .size:           8
        .value_kind:     global_buffer
      - .actual_access:  read_only
        .address_space:  global
        .offset:         48
        .size:           8
        .value_kind:     global_buffer
      - .offset:         56
        .size:           4
        .value_kind:     by_value
      - .actual_access:  read_only
        .address_space:  global
        .offset:         64
        .size:           8
        .value_kind:     global_buffer
      - .offset:         72
        .size:           4
        .value_kind:     by_value
      - .offset:         76
        .size:           4
        .value_kind:     by_value
      - .offset:         80
        .size:           4
        .value_kind:     by_value
      - .actual_access:  read_only
        .address_space:  global
        .offset:         88
        .size:           8
        .value_kind:     global_buffer
      - .actual_access:  read_only
        .address_space:  global
        .offset:         96
        .size:           8
        .value_kind:     global_buffer
      - .actual_access:  read_only
        .address_space:  global
        .offset:         104
        .size:           8
        .value_kind:     global_buffer
      - .actual_access:  read_only
        .address_space:  global
        .offset:         112
        .size:           8
        .value_kind:     global_buffer
      - .offset:         120
        .size:           4
        .value_kind:     by_value
      - .address_space:  global
        .offset:         128
        .size:           8
        .value_kind:     global_buffer
      - .address_space:  global
        .offset:         136
        .size:           8
        .value_kind:     global_buffer
      - .offset:         144
        .size:           4
        .value_kind:     hidden_block_count_x
      - .offset:         148
        .size:           4
        .value_kind:     hidden_block_count_y
      - .offset:         152
        .size:           4
        .value_kind:     hidden_block_count_z
      - .offset:         156
        .size:           2
        .value_kind:     hidden_group_size_x
      - .offset:         158
        .size:           2
        .value_kind:     hidden_group_size_y
      - .offset:         160
        .size:           2
        .value_kind:     hidden_group_size_z
      - .offset:         162
        .size:           2
        .value_kind:     hidden_remainder_x
      - .offset:         164
        .size:           2
        .value_kind:     hidden_remainder_y
      - .offset:         166
        .size:           2
        .value_kind:     hidden_remainder_z
      - .offset:         184
        .size:           8
        .value_kind:     hidden_global_offset_x
      - .offset:         192
        .size:           8
        .value_kind:     hidden_global_offset_y
      - .offset:         200
        .size:           8
        .value_kind:     hidden_global_offset_z
      - .offset:         208
        .size:           2
        .value_kind:     hidden_grid_dims
      - .offset:         224
        .size:           8
        .value_kind:     hidden_hostcall_buffer
    .group_segment_fixed_size: 8192
    .kernarg_segment_align: 8
    .kernarg_segment_size: 400
    .language:       OpenCL C
    .language_version:
      - 2
      - 0
    .max_flat_workgroup_size: 256
    .name:           _Z39paged_attention_ll4mi_QKV_mfma16_kernelIDF16_hLN4vllm18Fp8KVCacheDataTypeE1EDF16_Li16ELi64ELi256ELb1ELi14EL8MFMAType1EEvPKT_PKT0_S8_ifPKiSA_SA_iPKfiiiPfSD_PS3_PT2_iSC_SC_
    .private_segment_fixed_size: 64
    .sgpr_count:     40
    .sgpr_spill_count: 0
    .symbol:         _Z39paged_attention_ll4mi_QKV_mfma16_kernelIDF16_hLN4vllm18Fp8KVCacheDataTypeE1EDF16_Li16ELi64ELi256ELb1ELi14EL8MFMAType1EEvPKT_PKT0_S8_ifPKiSA_SA_iPKfiiiPfSD_PS3_PT2_iSC_SC_.kd
    .uniform_work_group_size: 1
    .uses_dynamic_stack: false
    .vgpr_count:     45
    .vgpr_spill_count: 0
    .wavefront_size: 64
  - .agpr_count:     1
    .args:
      - .actual_access:  read_only
        .address_space:  global
        .offset:         0
        .size:           8
        .value_kind:     global_buffer
      - .actual_access:  read_only
        .address_space:  global
        .offset:         8
        .size:           8
        .value_kind:     global_buffer
      - .actual_access:  read_only
        .address_space:  global
        .offset:         16
        .size:           8
        .value_kind:     global_buffer
      - .offset:         24
        .size:           4
        .value_kind:     by_value
      - .offset:         28
        .size:           4
        .value_kind:     by_value
      - .actual_access:  read_only
        .address_space:  global
        .offset:         32
        .size:           8
        .value_kind:     global_buffer
      - .actual_access:  read_only
        .address_space:  global
        .offset:         40
        .size:           8
        .value_kind:     global_buffer
      - .actual_access:  read_only
        .address_space:  global
        .offset:         48
        .size:           8
        .value_kind:     global_buffer
      - .offset:         56
        .size:           4
        .value_kind:     by_value
      - .actual_access:  read_only
        .address_space:  global
        .offset:         64
        .size:           8
        .value_kind:     global_buffer
      - .offset:         72
        .size:           4
        .value_kind:     by_value
      - .offset:         76
        .size:           4
        .value_kind:     by_value
      - .offset:         80
        .size:           4
        .value_kind:     by_value
      - .actual_access:  read_only
        .address_space:  global
        .offset:         88
        .size:           8
        .value_kind:     global_buffer
      - .actual_access:  read_only
        .address_space:  global
        .offset:         96
        .size:           8
        .value_kind:     global_buffer
      - .actual_access:  read_only
        .address_space:  global
        .offset:         104
        .size:           8
        .value_kind:     global_buffer
      - .actual_access:  read_only
        .address_space:  global
        .offset:         112
        .size:           8
        .value_kind:     global_buffer
      - .offset:         120
        .size:           4
        .value_kind:     by_value
      - .address_space:  global
        .offset:         128
        .size:           8
        .value_kind:     global_buffer
      - .address_space:  global
        .offset:         136
        .size:           8
        .value_kind:     global_buffer
      - .offset:         144
        .size:           4
        .value_kind:     hidden_block_count_x
      - .offset:         148
        .size:           4
        .value_kind:     hidden_block_count_y
      - .offset:         152
        .size:           4
        .value_kind:     hidden_block_count_z
      - .offset:         156
        .size:           2
        .value_kind:     hidden_group_size_x
      - .offset:         158
        .size:           2
        .value_kind:     hidden_group_size_y
      - .offset:         160
        .size:           2
        .value_kind:     hidden_group_size_z
      - .offset:         162
        .size:           2
        .value_kind:     hidden_remainder_x
      - .offset:         164
        .size:           2
        .value_kind:     hidden_remainder_y
      - .offset:         166
        .size:           2
        .value_kind:     hidden_remainder_z
      - .offset:         184
        .size:           8
        .value_kind:     hidden_global_offset_x
      - .offset:         192
        .size:           8
        .value_kind:     hidden_global_offset_y
      - .offset:         200
        .size:           8
        .value_kind:     hidden_global_offset_z
      - .offset:         208
        .size:           2
        .value_kind:     hidden_grid_dims
      - .offset:         224
        .size:           8
        .value_kind:     hidden_hostcall_buffer
    .group_segment_fixed_size: 8192
    .kernarg_segment_align: 8
    .kernarg_segment_size: 400
    .language:       OpenCL C
    .language_version:
      - 2
      - 0
    .max_flat_workgroup_size: 256
    .name:           _Z39paged_attention_ll4mi_QKV_mfma16_kernelIDF16_hLN4vllm18Fp8KVCacheDataTypeE1EDF16_Li16ELi64ELi256ELb1ELi15EL8MFMAType1EEvPKT_PKT0_S8_ifPKiSA_SA_iPKfiiiPfSD_PS3_PT2_iSC_SC_
    .private_segment_fixed_size: 64
    .sgpr_count:     40
    .sgpr_spill_count: 0
    .symbol:         _Z39paged_attention_ll4mi_QKV_mfma16_kernelIDF16_hLN4vllm18Fp8KVCacheDataTypeE1EDF16_Li16ELi64ELi256ELb1ELi15EL8MFMAType1EEvPKT_PKT0_S8_ifPKiSA_SA_iPKfiiiPfSD_PS3_PT2_iSC_SC_.kd
    .uniform_work_group_size: 1
    .uses_dynamic_stack: false
    .vgpr_count:     45
    .vgpr_spill_count: 0
    .wavefront_size: 64
  - .agpr_count:     1
    .args:
      - .actual_access:  read_only
        .address_space:  global
        .offset:         0
        .size:           8
        .value_kind:     global_buffer
      - .actual_access:  read_only
        .address_space:  global
        .offset:         8
        .size:           8
        .value_kind:     global_buffer
      - .actual_access:  read_only
        .address_space:  global
        .offset:         16
        .size:           8
        .value_kind:     global_buffer
      - .offset:         24
        .size:           4
        .value_kind:     by_value
      - .offset:         28
        .size:           4
        .value_kind:     by_value
      - .actual_access:  read_only
        .address_space:  global
        .offset:         32
        .size:           8
        .value_kind:     global_buffer
      - .actual_access:  read_only
        .address_space:  global
        .offset:         40
        .size:           8
        .value_kind:     global_buffer
      - .actual_access:  read_only
        .address_space:  global
        .offset:         48
        .size:           8
        .value_kind:     global_buffer
      - .offset:         56
        .size:           4
        .value_kind:     by_value
      - .actual_access:  read_only
        .address_space:  global
        .offset:         64
        .size:           8
        .value_kind:     global_buffer
      - .offset:         72
        .size:           4
        .value_kind:     by_value
      - .offset:         76
        .size:           4
        .value_kind:     by_value
      - .offset:         80
        .size:           4
        .value_kind:     by_value
      - .actual_access:  read_only
        .address_space:  global
        .offset:         88
        .size:           8
        .value_kind:     global_buffer
      - .actual_access:  read_only
        .address_space:  global
        .offset:         96
        .size:           8
        .value_kind:     global_buffer
      - .actual_access:  read_only
        .address_space:  global
        .offset:         104
        .size:           8
        .value_kind:     global_buffer
      - .actual_access:  read_only
        .address_space:  global
        .offset:         112
        .size:           8
        .value_kind:     global_buffer
      - .offset:         120
        .size:           4
        .value_kind:     by_value
      - .address_space:  global
        .offset:         128
        .size:           8
        .value_kind:     global_buffer
      - .address_space:  global
        .offset:         136
        .size:           8
        .value_kind:     global_buffer
      - .offset:         144
        .size:           4
        .value_kind:     hidden_block_count_x
      - .offset:         148
        .size:           4
        .value_kind:     hidden_block_count_y
      - .offset:         152
        .size:           4
        .value_kind:     hidden_block_count_z
      - .offset:         156
        .size:           2
        .value_kind:     hidden_group_size_x
      - .offset:         158
        .size:           2
        .value_kind:     hidden_group_size_y
      - .offset:         160
        .size:           2
        .value_kind:     hidden_group_size_z
      - .offset:         162
        .size:           2
        .value_kind:     hidden_remainder_x
      - .offset:         164
        .size:           2
        .value_kind:     hidden_remainder_y
      - .offset:         166
        .size:           2
        .value_kind:     hidden_remainder_z
      - .offset:         184
        .size:           8
        .value_kind:     hidden_global_offset_x
      - .offset:         192
        .size:           8
        .value_kind:     hidden_global_offset_y
      - .offset:         200
        .size:           8
        .value_kind:     hidden_global_offset_z
      - .offset:         208
        .size:           2
        .value_kind:     hidden_grid_dims
      - .offset:         224
        .size:           8
        .value_kind:     hidden_hostcall_buffer
    .group_segment_fixed_size: 8192
    .kernarg_segment_align: 8
    .kernarg_segment_size: 400
    .language:       OpenCL C
    .language_version:
      - 2
      - 0
    .max_flat_workgroup_size: 256
    .name:           _Z39paged_attention_ll4mi_QKV_mfma16_kernelIDF16_hLN4vllm18Fp8KVCacheDataTypeE1EDF16_Li16ELi64ELi256ELb1ELi16EL8MFMAType1EEvPKT_PKT0_S8_ifPKiSA_SA_iPKfiiiPfSD_PS3_PT2_iSC_SC_
    .private_segment_fixed_size: 64
    .sgpr_count:     40
    .sgpr_spill_count: 0
    .symbol:         _Z39paged_attention_ll4mi_QKV_mfma16_kernelIDF16_hLN4vllm18Fp8KVCacheDataTypeE1EDF16_Li16ELi64ELi256ELb1ELi16EL8MFMAType1EEvPKT_PKT0_S8_ifPKiSA_SA_iPKfiiiPfSD_PS3_PT2_iSC_SC_.kd
    .uniform_work_group_size: 1
    .uses_dynamic_stack: false
    .vgpr_count:     45
    .vgpr_spill_count: 0
    .wavefront_size: 64
  - .agpr_count:     1
    .args:
      - .actual_access:  read_only
        .address_space:  global
        .offset:         0
        .size:           8
        .value_kind:     global_buffer
      - .actual_access:  read_only
        .address_space:  global
        .offset:         8
        .size:           8
        .value_kind:     global_buffer
      - .actual_access:  read_only
        .address_space:  global
        .offset:         16
        .size:           8
        .value_kind:     global_buffer
      - .offset:         24
        .size:           4
        .value_kind:     by_value
      - .offset:         28
        .size:           4
        .value_kind:     by_value
      - .actual_access:  read_only
        .address_space:  global
        .offset:         32
        .size:           8
        .value_kind:     global_buffer
      - .actual_access:  read_only
        .address_space:  global
        .offset:         40
        .size:           8
        .value_kind:     global_buffer
      - .actual_access:  read_only
        .address_space:  global
        .offset:         48
        .size:           8
        .value_kind:     global_buffer
      - .offset:         56
        .size:           4
        .value_kind:     by_value
      - .actual_access:  read_only
        .address_space:  global
        .offset:         64
        .size:           8
        .value_kind:     global_buffer
      - .offset:         72
        .size:           4
        .value_kind:     by_value
      - .offset:         76
        .size:           4
        .value_kind:     by_value
      - .offset:         80
        .size:           4
        .value_kind:     by_value
      - .actual_access:  read_only
        .address_space:  global
        .offset:         88
        .size:           8
        .value_kind:     global_buffer
      - .actual_access:  read_only
        .address_space:  global
        .offset:         96
        .size:           8
        .value_kind:     global_buffer
      - .actual_access:  read_only
        .address_space:  global
        .offset:         104
        .size:           8
        .value_kind:     global_buffer
      - .actual_access:  read_only
        .address_space:  global
        .offset:         112
        .size:           8
        .value_kind:     global_buffer
      - .offset:         120
        .size:           4
        .value_kind:     by_value
      - .address_space:  global
        .offset:         128
        .size:           8
        .value_kind:     global_buffer
      - .address_space:  global
        .offset:         136
        .size:           8
        .value_kind:     global_buffer
      - .offset:         144
        .size:           4
        .value_kind:     hidden_block_count_x
      - .offset:         148
        .size:           4
        .value_kind:     hidden_block_count_y
      - .offset:         152
        .size:           4
        .value_kind:     hidden_block_count_z
      - .offset:         156
        .size:           2
        .value_kind:     hidden_group_size_x
      - .offset:         158
        .size:           2
        .value_kind:     hidden_group_size_y
      - .offset:         160
        .size:           2
        .value_kind:     hidden_group_size_z
      - .offset:         162
        .size:           2
        .value_kind:     hidden_remainder_x
      - .offset:         164
        .size:           2
        .value_kind:     hidden_remainder_y
      - .offset:         166
        .size:           2
        .value_kind:     hidden_remainder_z
      - .offset:         184
        .size:           8
        .value_kind:     hidden_global_offset_x
      - .offset:         192
        .size:           8
        .value_kind:     hidden_global_offset_y
      - .offset:         200
        .size:           8
        .value_kind:     hidden_global_offset_z
      - .offset:         208
        .size:           2
        .value_kind:     hidden_grid_dims
      - .offset:         224
        .size:           8
        .value_kind:     hidden_hostcall_buffer
    .group_segment_fixed_size: 8192
    .kernarg_segment_align: 8
    .kernarg_segment_size: 400
    .language:       OpenCL C
    .language_version:
      - 2
      - 0
    .max_flat_workgroup_size: 256
    .name:           _Z39paged_attention_ll4mi_QKV_mfma16_kernelIDF16_hLN4vllm18Fp8KVCacheDataTypeE1EDF16_Li16ELi64ELi256ELb1ELi1EL8MFMAType1EEvPKT_PKT0_S8_ifPKiSA_SA_iPKfiiiPfSD_PS3_PT2_iSC_SC_
    .private_segment_fixed_size: 64
    .sgpr_count:     40
    .sgpr_spill_count: 0
    .symbol:         _Z39paged_attention_ll4mi_QKV_mfma16_kernelIDF16_hLN4vllm18Fp8KVCacheDataTypeE1EDF16_Li16ELi64ELi256ELb1ELi1EL8MFMAType1EEvPKT_PKT0_S8_ifPKiSA_SA_iPKfiiiPfSD_PS3_PT2_iSC_SC_.kd
    .uniform_work_group_size: 1
    .uses_dynamic_stack: false
    .vgpr_count:     45
    .vgpr_spill_count: 0
    .wavefront_size: 64
  - .agpr_count:     1
    .args:
      - .actual_access:  read_only
        .address_space:  global
        .offset:         0
        .size:           8
        .value_kind:     global_buffer
      - .actual_access:  read_only
        .address_space:  global
        .offset:         8
        .size:           8
        .value_kind:     global_buffer
      - .actual_access:  read_only
        .address_space:  global
        .offset:         16
        .size:           8
        .value_kind:     global_buffer
      - .offset:         24
        .size:           4
        .value_kind:     by_value
      - .offset:         28
        .size:           4
        .value_kind:     by_value
      - .actual_access:  read_only
        .address_space:  global
        .offset:         32
        .size:           8
        .value_kind:     global_buffer
      - .actual_access:  read_only
        .address_space:  global
        .offset:         40
        .size:           8
        .value_kind:     global_buffer
      - .actual_access:  read_only
        .address_space:  global
        .offset:         48
        .size:           8
        .value_kind:     global_buffer
      - .offset:         56
        .size:           4
        .value_kind:     by_value
      - .actual_access:  read_only
        .address_space:  global
        .offset:         64
        .size:           8
        .value_kind:     global_buffer
      - .offset:         72
        .size:           4
        .value_kind:     by_value
      - .offset:         76
        .size:           4
        .value_kind:     by_value
      - .offset:         80
        .size:           4
        .value_kind:     by_value
      - .actual_access:  read_only
        .address_space:  global
        .offset:         88
        .size:           8
        .value_kind:     global_buffer
      - .actual_access:  read_only
        .address_space:  global
        .offset:         96
        .size:           8
        .value_kind:     global_buffer
      - .actual_access:  read_only
        .address_space:  global
        .offset:         104
        .size:           8
        .value_kind:     global_buffer
      - .actual_access:  read_only
        .address_space:  global
        .offset:         112
        .size:           8
        .value_kind:     global_buffer
      - .offset:         120
        .size:           4
        .value_kind:     by_value
      - .address_space:  global
        .offset:         128
        .size:           8
        .value_kind:     global_buffer
      - .address_space:  global
        .offset:         136
        .size:           8
        .value_kind:     global_buffer
      - .offset:         144
        .size:           4
        .value_kind:     hidden_block_count_x
      - .offset:         148
        .size:           4
        .value_kind:     hidden_block_count_y
      - .offset:         152
        .size:           4
        .value_kind:     hidden_block_count_z
      - .offset:         156
        .size:           2
        .value_kind:     hidden_group_size_x
      - .offset:         158
        .size:           2
        .value_kind:     hidden_group_size_y
      - .offset:         160
        .size:           2
        .value_kind:     hidden_group_size_z
      - .offset:         162
        .size:           2
        .value_kind:     hidden_remainder_x
      - .offset:         164
        .size:           2
        .value_kind:     hidden_remainder_y
      - .offset:         166
        .size:           2
        .value_kind:     hidden_remainder_z
      - .offset:         184
        .size:           8
        .value_kind:     hidden_global_offset_x
      - .offset:         192
        .size:           8
        .value_kind:     hidden_global_offset_y
      - .offset:         200
        .size:           8
        .value_kind:     hidden_global_offset_z
      - .offset:         208
        .size:           2
        .value_kind:     hidden_grid_dims
      - .offset:         224
        .size:           8
        .value_kind:     hidden_hostcall_buffer
    .group_segment_fixed_size: 8192
    .kernarg_segment_align: 8
    .kernarg_segment_size: 400
    .language:       OpenCL C
    .language_version:
      - 2
      - 0
    .max_flat_workgroup_size: 256
    .name:           _Z39paged_attention_ll4mi_QKV_mfma16_kernelIDF16_hLN4vllm18Fp8KVCacheDataTypeE1EDF16_Li16ELi64ELi256ELb1ELi2EL8MFMAType1EEvPKT_PKT0_S8_ifPKiSA_SA_iPKfiiiPfSD_PS3_PT2_iSC_SC_
    .private_segment_fixed_size: 64
    .sgpr_count:     40
    .sgpr_spill_count: 0
    .symbol:         _Z39paged_attention_ll4mi_QKV_mfma16_kernelIDF16_hLN4vllm18Fp8KVCacheDataTypeE1EDF16_Li16ELi64ELi256ELb1ELi2EL8MFMAType1EEvPKT_PKT0_S8_ifPKiSA_SA_iPKfiiiPfSD_PS3_PT2_iSC_SC_.kd
    .uniform_work_group_size: 1
    .uses_dynamic_stack: false
    .vgpr_count:     45
    .vgpr_spill_count: 0
    .wavefront_size: 64
  - .agpr_count:     1
    .args:
      - .actual_access:  read_only
        .address_space:  global
        .offset:         0
        .size:           8
        .value_kind:     global_buffer
      - .actual_access:  read_only
        .address_space:  global
        .offset:         8
        .size:           8
        .value_kind:     global_buffer
      - .actual_access:  read_only
        .address_space:  global
        .offset:         16
        .size:           8
        .value_kind:     global_buffer
      - .offset:         24
        .size:           4
        .value_kind:     by_value
      - .offset:         28
        .size:           4
        .value_kind:     by_value
      - .actual_access:  read_only
        .address_space:  global
        .offset:         32
        .size:           8
        .value_kind:     global_buffer
      - .actual_access:  read_only
        .address_space:  global
        .offset:         40
        .size:           8
        .value_kind:     global_buffer
      - .actual_access:  read_only
        .address_space:  global
        .offset:         48
        .size:           8
        .value_kind:     global_buffer
      - .offset:         56
        .size:           4
        .value_kind:     by_value
      - .actual_access:  read_only
        .address_space:  global
        .offset:         64
        .size:           8
        .value_kind:     global_buffer
      - .offset:         72
        .size:           4
        .value_kind:     by_value
      - .offset:         76
        .size:           4
        .value_kind:     by_value
      - .offset:         80
        .size:           4
        .value_kind:     by_value
      - .actual_access:  read_only
        .address_space:  global
        .offset:         88
        .size:           8
        .value_kind:     global_buffer
      - .actual_access:  read_only
        .address_space:  global
        .offset:         96
        .size:           8
        .value_kind:     global_buffer
      - .actual_access:  read_only
        .address_space:  global
        .offset:         104
        .size:           8
        .value_kind:     global_buffer
      - .actual_access:  read_only
        .address_space:  global
        .offset:         112
        .size:           8
        .value_kind:     global_buffer
      - .offset:         120
        .size:           4
        .value_kind:     by_value
      - .address_space:  global
        .offset:         128
        .size:           8
        .value_kind:     global_buffer
      - .address_space:  global
        .offset:         136
        .size:           8
        .value_kind:     global_buffer
      - .offset:         144
        .size:           4
        .value_kind:     hidden_block_count_x
      - .offset:         148
        .size:           4
        .value_kind:     hidden_block_count_y
      - .offset:         152
        .size:           4
        .value_kind:     hidden_block_count_z
      - .offset:         156
        .size:           2
        .value_kind:     hidden_group_size_x
      - .offset:         158
        .size:           2
        .value_kind:     hidden_group_size_y
      - .offset:         160
        .size:           2
        .value_kind:     hidden_group_size_z
      - .offset:         162
        .size:           2
        .value_kind:     hidden_remainder_x
      - .offset:         164
        .size:           2
        .value_kind:     hidden_remainder_y
      - .offset:         166
        .size:           2
        .value_kind:     hidden_remainder_z
      - .offset:         184
        .size:           8
        .value_kind:     hidden_global_offset_x
      - .offset:         192
        .size:           8
        .value_kind:     hidden_global_offset_y
      - .offset:         200
        .size:           8
        .value_kind:     hidden_global_offset_z
      - .offset:         208
        .size:           2
        .value_kind:     hidden_grid_dims
      - .offset:         224
        .size:           8
        .value_kind:     hidden_hostcall_buffer
    .group_segment_fixed_size: 8192
    .kernarg_segment_align: 8
    .kernarg_segment_size: 400
    .language:       OpenCL C
    .language_version:
      - 2
      - 0
    .max_flat_workgroup_size: 256
    .name:           _Z39paged_attention_ll4mi_QKV_mfma16_kernelIDF16_hLN4vllm18Fp8KVCacheDataTypeE1EDF16_Li16ELi64ELi256ELb1ELi3EL8MFMAType1EEvPKT_PKT0_S8_ifPKiSA_SA_iPKfiiiPfSD_PS3_PT2_iSC_SC_
    .private_segment_fixed_size: 64
    .sgpr_count:     40
    .sgpr_spill_count: 0
    .symbol:         _Z39paged_attention_ll4mi_QKV_mfma16_kernelIDF16_hLN4vllm18Fp8KVCacheDataTypeE1EDF16_Li16ELi64ELi256ELb1ELi3EL8MFMAType1EEvPKT_PKT0_S8_ifPKiSA_SA_iPKfiiiPfSD_PS3_PT2_iSC_SC_.kd
    .uniform_work_group_size: 1
    .uses_dynamic_stack: false
    .vgpr_count:     45
    .vgpr_spill_count: 0
    .wavefront_size: 64
  - .agpr_count:     1
    .args:
      - .actual_access:  read_only
        .address_space:  global
        .offset:         0
        .size:           8
        .value_kind:     global_buffer
      - .actual_access:  read_only
        .address_space:  global
        .offset:         8
        .size:           8
        .value_kind:     global_buffer
      - .actual_access:  read_only
        .address_space:  global
        .offset:         16
        .size:           8
        .value_kind:     global_buffer
      - .offset:         24
        .size:           4
        .value_kind:     by_value
      - .offset:         28
        .size:           4
        .value_kind:     by_value
      - .actual_access:  read_only
        .address_space:  global
        .offset:         32
        .size:           8
        .value_kind:     global_buffer
      - .actual_access:  read_only
        .address_space:  global
        .offset:         40
        .size:           8
        .value_kind:     global_buffer
      - .actual_access:  read_only
        .address_space:  global
        .offset:         48
        .size:           8
        .value_kind:     global_buffer
      - .offset:         56
        .size:           4
        .value_kind:     by_value
      - .actual_access:  read_only
        .address_space:  global
        .offset:         64
        .size:           8
        .value_kind:     global_buffer
      - .offset:         72
        .size:           4
        .value_kind:     by_value
      - .offset:         76
        .size:           4
        .value_kind:     by_value
      - .offset:         80
        .size:           4
        .value_kind:     by_value
      - .actual_access:  read_only
        .address_space:  global
        .offset:         88
        .size:           8
        .value_kind:     global_buffer
      - .actual_access:  read_only
        .address_space:  global
        .offset:         96
        .size:           8
        .value_kind:     global_buffer
      - .actual_access:  read_only
        .address_space:  global
        .offset:         104
        .size:           8
        .value_kind:     global_buffer
      - .actual_access:  read_only
        .address_space:  global
        .offset:         112
        .size:           8
        .value_kind:     global_buffer
      - .offset:         120
        .size:           4
        .value_kind:     by_value
      - .address_space:  global
        .offset:         128
        .size:           8
        .value_kind:     global_buffer
      - .address_space:  global
        .offset:         136
        .size:           8
        .value_kind:     global_buffer
      - .offset:         144
        .size:           4
        .value_kind:     hidden_block_count_x
      - .offset:         148
        .size:           4
        .value_kind:     hidden_block_count_y
      - .offset:         152
        .size:           4
        .value_kind:     hidden_block_count_z
      - .offset:         156
        .size:           2
        .value_kind:     hidden_group_size_x
      - .offset:         158
        .size:           2
        .value_kind:     hidden_group_size_y
      - .offset:         160
        .size:           2
        .value_kind:     hidden_group_size_z
      - .offset:         162
        .size:           2
        .value_kind:     hidden_remainder_x
      - .offset:         164
        .size:           2
        .value_kind:     hidden_remainder_y
      - .offset:         166
        .size:           2
        .value_kind:     hidden_remainder_z
      - .offset:         184
        .size:           8
        .value_kind:     hidden_global_offset_x
      - .offset:         192
        .size:           8
        .value_kind:     hidden_global_offset_y
      - .offset:         200
        .size:           8
        .value_kind:     hidden_global_offset_z
      - .offset:         208
        .size:           2
        .value_kind:     hidden_grid_dims
      - .offset:         224
        .size:           8
        .value_kind:     hidden_hostcall_buffer
    .group_segment_fixed_size: 8192
    .kernarg_segment_align: 8
    .kernarg_segment_size: 400
    .language:       OpenCL C
    .language_version:
      - 2
      - 0
    .max_flat_workgroup_size: 256
    .name:           _Z39paged_attention_ll4mi_QKV_mfma16_kernelIDF16_hLN4vllm18Fp8KVCacheDataTypeE1EDF16_Li16ELi64ELi256ELb1ELi4EL8MFMAType1EEvPKT_PKT0_S8_ifPKiSA_SA_iPKfiiiPfSD_PS3_PT2_iSC_SC_
    .private_segment_fixed_size: 64
    .sgpr_count:     40
    .sgpr_spill_count: 0
    .symbol:         _Z39paged_attention_ll4mi_QKV_mfma16_kernelIDF16_hLN4vllm18Fp8KVCacheDataTypeE1EDF16_Li16ELi64ELi256ELb1ELi4EL8MFMAType1EEvPKT_PKT0_S8_ifPKiSA_SA_iPKfiiiPfSD_PS3_PT2_iSC_SC_.kd
    .uniform_work_group_size: 1
    .uses_dynamic_stack: false
    .vgpr_count:     45
    .vgpr_spill_count: 0
    .wavefront_size: 64
  - .agpr_count:     4
    .args:
      - .actual_access:  read_only
        .address_space:  global
        .offset:         0
        .size:           8
        .value_kind:     global_buffer
      - .actual_access:  read_only
        .address_space:  global
        .offset:         8
        .size:           8
        .value_kind:     global_buffer
      - .actual_access:  read_only
        .address_space:  global
        .offset:         16
        .size:           8
        .value_kind:     global_buffer
      - .offset:         24
        .size:           4
        .value_kind:     by_value
      - .offset:         28
        .size:           4
        .value_kind:     by_value
      - .actual_access:  read_only
        .address_space:  global
        .offset:         32
        .size:           8
        .value_kind:     global_buffer
      - .actual_access:  read_only
        .address_space:  global
        .offset:         40
        .size:           8
        .value_kind:     global_buffer
      - .actual_access:  read_only
        .address_space:  global
        .offset:         48
        .size:           8
        .value_kind:     global_buffer
      - .offset:         56
        .size:           4
        .value_kind:     by_value
      - .actual_access:  read_only
        .address_space:  global
        .offset:         64
        .size:           8
        .value_kind:     global_buffer
      - .offset:         72
        .size:           4
        .value_kind:     by_value
      - .offset:         76
        .size:           4
        .value_kind:     by_value
      - .offset:         80
        .size:           4
        .value_kind:     by_value
      - .actual_access:  write_only
        .address_space:  global
        .offset:         88
        .size:           8
        .value_kind:     global_buffer
      - .actual_access:  write_only
        .address_space:  global
        .offset:         96
        .size:           8
        .value_kind:     global_buffer
      - .actual_access:  write_only
        .address_space:  global
        .offset:         104
        .size:           8
        .value_kind:     global_buffer
      - .actual_access:  read_only
        .address_space:  global
        .offset:         112
        .size:           8
        .value_kind:     global_buffer
      - .offset:         120
        .size:           4
        .value_kind:     by_value
      - .address_space:  global
        .offset:         128
        .size:           8
        .value_kind:     global_buffer
      - .address_space:  global
        .offset:         136
        .size:           8
        .value_kind:     global_buffer
      - .offset:         144
        .size:           4
        .value_kind:     hidden_block_count_x
      - .offset:         148
        .size:           4
        .value_kind:     hidden_block_count_y
      - .offset:         152
        .size:           4
        .value_kind:     hidden_block_count_z
      - .offset:         156
        .size:           2
        .value_kind:     hidden_group_size_x
      - .offset:         158
        .size:           2
        .value_kind:     hidden_group_size_y
      - .offset:         160
        .size:           2
        .value_kind:     hidden_group_size_z
      - .offset:         162
        .size:           2
        .value_kind:     hidden_remainder_x
      - .offset:         164
        .size:           2
        .value_kind:     hidden_remainder_y
      - .offset:         166
        .size:           2
        .value_kind:     hidden_remainder_z
      - .offset:         184
        .size:           8
        .value_kind:     hidden_global_offset_x
      - .offset:         192
        .size:           8
        .value_kind:     hidden_global_offset_y
      - .offset:         200
        .size:           8
        .value_kind:     hidden_global_offset_z
      - .offset:         208
        .size:           2
        .value_kind:     hidden_grid_dims
    .group_segment_fixed_size: 2720
    .kernarg_segment_align: 8
    .kernarg_segment_size: 400
    .language:       OpenCL C
    .language_version:
      - 2
      - 0
    .max_flat_workgroup_size: 256
    .name:           _Z38paged_attention_ll4mi_QKV_mfma4_kernelIDF16_hLN4vllm18Fp8KVCacheDataTypeE1EDF16_Li16ELi64ELi256ELb0ELi1EEvPKT_PKT0_S7_ifPKiS9_S9_iPKfiiiPfSC_PS2_PT2_iSB_SB_
    .private_segment_fixed_size: 0
    .sgpr_count:     46
    .sgpr_spill_count: 0
    .symbol:         _Z38paged_attention_ll4mi_QKV_mfma4_kernelIDF16_hLN4vllm18Fp8KVCacheDataTypeE1EDF16_Li16ELi64ELi256ELb0ELi1EEvPKT_PKT0_S7_ifPKiS9_S9_iPKfiiiPfSC_PS2_PT2_iSB_SB_.kd
    .uniform_work_group_size: 1
    .uses_dynamic_stack: false
    .vgpr_count:     60
    .vgpr_spill_count: 0
    .wavefront_size: 64
  - .agpr_count:     4
    .args:
      - .actual_access:  read_only
        .address_space:  global
        .offset:         0
        .size:           8
        .value_kind:     global_buffer
      - .actual_access:  read_only
        .address_space:  global
        .offset:         8
        .size:           8
        .value_kind:     global_buffer
      - .actual_access:  read_only
        .address_space:  global
        .offset:         16
        .size:           8
        .value_kind:     global_buffer
      - .offset:         24
        .size:           4
        .value_kind:     by_value
      - .offset:         28
        .size:           4
        .value_kind:     by_value
      - .actual_access:  read_only
        .address_space:  global
        .offset:         32
        .size:           8
        .value_kind:     global_buffer
      - .actual_access:  read_only
        .address_space:  global
        .offset:         40
        .size:           8
        .value_kind:     global_buffer
      - .actual_access:  read_only
        .address_space:  global
        .offset:         48
        .size:           8
        .value_kind:     global_buffer
      - .offset:         56
        .size:           4
        .value_kind:     by_value
      - .actual_access:  read_only
        .address_space:  global
        .offset:         64
        .size:           8
        .value_kind:     global_buffer
      - .offset:         72
        .size:           4
        .value_kind:     by_value
      - .offset:         76
        .size:           4
        .value_kind:     by_value
      - .offset:         80
        .size:           4
        .value_kind:     by_value
      - .actual_access:  write_only
        .address_space:  global
        .offset:         88
        .size:           8
        .value_kind:     global_buffer
      - .actual_access:  write_only
        .address_space:  global
        .offset:         96
        .size:           8
        .value_kind:     global_buffer
      - .actual_access:  write_only
        .address_space:  global
        .offset:         104
        .size:           8
        .value_kind:     global_buffer
      - .actual_access:  read_only
        .address_space:  global
        .offset:         112
        .size:           8
        .value_kind:     global_buffer
      - .offset:         120
        .size:           4
        .value_kind:     by_value
      - .address_space:  global
        .offset:         128
        .size:           8
        .value_kind:     global_buffer
      - .address_space:  global
        .offset:         136
        .size:           8
        .value_kind:     global_buffer
      - .offset:         144
        .size:           4
        .value_kind:     hidden_block_count_x
      - .offset:         148
        .size:           4
        .value_kind:     hidden_block_count_y
      - .offset:         152
        .size:           4
        .value_kind:     hidden_block_count_z
      - .offset:         156
        .size:           2
        .value_kind:     hidden_group_size_x
      - .offset:         158
        .size:           2
        .value_kind:     hidden_group_size_y
      - .offset:         160
        .size:           2
        .value_kind:     hidden_group_size_z
      - .offset:         162
        .size:           2
        .value_kind:     hidden_remainder_x
      - .offset:         164
        .size:           2
        .value_kind:     hidden_remainder_y
      - .offset:         166
        .size:           2
        .value_kind:     hidden_remainder_z
      - .offset:         184
        .size:           8
        .value_kind:     hidden_global_offset_x
      - .offset:         192
        .size:           8
        .value_kind:     hidden_global_offset_y
      - .offset:         200
        .size:           8
        .value_kind:     hidden_global_offset_z
      - .offset:         208
        .size:           2
        .value_kind:     hidden_grid_dims
    .group_segment_fixed_size: 2720
    .kernarg_segment_align: 8
    .kernarg_segment_size: 400
    .language:       OpenCL C
    .language_version:
      - 2
      - 0
    .max_flat_workgroup_size: 256
    .name:           _Z38paged_attention_ll4mi_QKV_mfma4_kernelIDF16_hLN4vllm18Fp8KVCacheDataTypeE1EDF16_Li16ELi64ELi256ELb0ELi2EEvPKT_PKT0_S7_ifPKiS9_S9_iPKfiiiPfSC_PS2_PT2_iSB_SB_
    .private_segment_fixed_size: 0
    .sgpr_count:     46
    .sgpr_spill_count: 0
    .symbol:         _Z38paged_attention_ll4mi_QKV_mfma4_kernelIDF16_hLN4vllm18Fp8KVCacheDataTypeE1EDF16_Li16ELi64ELi256ELb0ELi2EEvPKT_PKT0_S7_ifPKiS9_S9_iPKfiiiPfSC_PS2_PT2_iSB_SB_.kd
    .uniform_work_group_size: 1
    .uses_dynamic_stack: false
    .vgpr_count:     60
    .vgpr_spill_count: 0
    .wavefront_size: 64
  - .agpr_count:     4
    .args:
      - .actual_access:  read_only
        .address_space:  global
        .offset:         0
        .size:           8
        .value_kind:     global_buffer
      - .actual_access:  read_only
        .address_space:  global
        .offset:         8
        .size:           8
        .value_kind:     global_buffer
      - .actual_access:  read_only
        .address_space:  global
        .offset:         16
        .size:           8
        .value_kind:     global_buffer
      - .offset:         24
        .size:           4
        .value_kind:     by_value
      - .offset:         28
        .size:           4
        .value_kind:     by_value
      - .actual_access:  read_only
        .address_space:  global
        .offset:         32
        .size:           8
        .value_kind:     global_buffer
      - .actual_access:  read_only
        .address_space:  global
        .offset:         40
        .size:           8
        .value_kind:     global_buffer
      - .actual_access:  read_only
        .address_space:  global
        .offset:         48
        .size:           8
        .value_kind:     global_buffer
      - .offset:         56
        .size:           4
        .value_kind:     by_value
      - .actual_access:  read_only
        .address_space:  global
        .offset:         64
        .size:           8
        .value_kind:     global_buffer
      - .offset:         72
        .size:           4
        .value_kind:     by_value
      - .offset:         76
        .size:           4
        .value_kind:     by_value
      - .offset:         80
        .size:           4
        .value_kind:     by_value
      - .actual_access:  write_only
        .address_space:  global
        .offset:         88
        .size:           8
        .value_kind:     global_buffer
      - .actual_access:  write_only
        .address_space:  global
        .offset:         96
        .size:           8
        .value_kind:     global_buffer
      - .actual_access:  write_only
        .address_space:  global
        .offset:         104
        .size:           8
        .value_kind:     global_buffer
      - .actual_access:  read_only
        .address_space:  global
        .offset:         112
        .size:           8
        .value_kind:     global_buffer
      - .offset:         120
        .size:           4
        .value_kind:     by_value
      - .address_space:  global
        .offset:         128
        .size:           8
        .value_kind:     global_buffer
      - .address_space:  global
        .offset:         136
        .size:           8
        .value_kind:     global_buffer
      - .offset:         144
        .size:           4
        .value_kind:     hidden_block_count_x
      - .offset:         148
        .size:           4
        .value_kind:     hidden_block_count_y
      - .offset:         152
        .size:           4
        .value_kind:     hidden_block_count_z
      - .offset:         156
        .size:           2
        .value_kind:     hidden_group_size_x
      - .offset:         158
        .size:           2
        .value_kind:     hidden_group_size_y
      - .offset:         160
        .size:           2
        .value_kind:     hidden_group_size_z
      - .offset:         162
        .size:           2
        .value_kind:     hidden_remainder_x
      - .offset:         164
        .size:           2
        .value_kind:     hidden_remainder_y
      - .offset:         166
        .size:           2
        .value_kind:     hidden_remainder_z
      - .offset:         184
        .size:           8
        .value_kind:     hidden_global_offset_x
      - .offset:         192
        .size:           8
        .value_kind:     hidden_global_offset_y
      - .offset:         200
        .size:           8
        .value_kind:     hidden_global_offset_z
      - .offset:         208
        .size:           2
        .value_kind:     hidden_grid_dims
    .group_segment_fixed_size: 2720
    .kernarg_segment_align: 8
    .kernarg_segment_size: 400
    .language:       OpenCL C
    .language_version:
      - 2
      - 0
    .max_flat_workgroup_size: 256
    .name:           _Z38paged_attention_ll4mi_QKV_mfma4_kernelIDF16_hLN4vllm18Fp8KVCacheDataTypeE1EDF16_Li16ELi64ELi256ELb0ELi3EEvPKT_PKT0_S7_ifPKiS9_S9_iPKfiiiPfSC_PS2_PT2_iSB_SB_
    .private_segment_fixed_size: 0
    .sgpr_count:     46
    .sgpr_spill_count: 0
    .symbol:         _Z38paged_attention_ll4mi_QKV_mfma4_kernelIDF16_hLN4vllm18Fp8KVCacheDataTypeE1EDF16_Li16ELi64ELi256ELb0ELi3EEvPKT_PKT0_S7_ifPKiS9_S9_iPKfiiiPfSC_PS2_PT2_iSB_SB_.kd
    .uniform_work_group_size: 1
    .uses_dynamic_stack: false
    .vgpr_count:     60
    .vgpr_spill_count: 0
    .wavefront_size: 64
  - .agpr_count:     4
    .args:
      - .actual_access:  read_only
        .address_space:  global
        .offset:         0
        .size:           8
        .value_kind:     global_buffer
      - .actual_access:  read_only
        .address_space:  global
        .offset:         8
        .size:           8
        .value_kind:     global_buffer
      - .actual_access:  read_only
        .address_space:  global
        .offset:         16
        .size:           8
        .value_kind:     global_buffer
      - .offset:         24
        .size:           4
        .value_kind:     by_value
      - .offset:         28
        .size:           4
        .value_kind:     by_value
      - .actual_access:  read_only
        .address_space:  global
        .offset:         32
        .size:           8
        .value_kind:     global_buffer
      - .actual_access:  read_only
        .address_space:  global
        .offset:         40
        .size:           8
        .value_kind:     global_buffer
      - .actual_access:  read_only
        .address_space:  global
        .offset:         48
        .size:           8
        .value_kind:     global_buffer
      - .offset:         56
        .size:           4
        .value_kind:     by_value
      - .actual_access:  read_only
        .address_space:  global
        .offset:         64
        .size:           8
        .value_kind:     global_buffer
      - .offset:         72
        .size:           4
        .value_kind:     by_value
      - .offset:         76
        .size:           4
        .value_kind:     by_value
      - .offset:         80
        .size:           4
        .value_kind:     by_value
      - .actual_access:  write_only
        .address_space:  global
        .offset:         88
        .size:           8
        .value_kind:     global_buffer
      - .actual_access:  write_only
        .address_space:  global
        .offset:         96
        .size:           8
        .value_kind:     global_buffer
      - .actual_access:  write_only
        .address_space:  global
        .offset:         104
        .size:           8
        .value_kind:     global_buffer
      - .actual_access:  read_only
        .address_space:  global
        .offset:         112
        .size:           8
        .value_kind:     global_buffer
      - .offset:         120
        .size:           4
        .value_kind:     by_value
      - .address_space:  global
        .offset:         128
        .size:           8
        .value_kind:     global_buffer
      - .address_space:  global
        .offset:         136
        .size:           8
        .value_kind:     global_buffer
      - .offset:         144
        .size:           4
        .value_kind:     hidden_block_count_x
      - .offset:         148
        .size:           4
        .value_kind:     hidden_block_count_y
      - .offset:         152
        .size:           4
        .value_kind:     hidden_block_count_z
      - .offset:         156
        .size:           2
        .value_kind:     hidden_group_size_x
      - .offset:         158
        .size:           2
        .value_kind:     hidden_group_size_y
      - .offset:         160
        .size:           2
        .value_kind:     hidden_group_size_z
      - .offset:         162
        .size:           2
        .value_kind:     hidden_remainder_x
      - .offset:         164
        .size:           2
        .value_kind:     hidden_remainder_y
      - .offset:         166
        .size:           2
        .value_kind:     hidden_remainder_z
      - .offset:         184
        .size:           8
        .value_kind:     hidden_global_offset_x
      - .offset:         192
        .size:           8
        .value_kind:     hidden_global_offset_y
      - .offset:         200
        .size:           8
        .value_kind:     hidden_global_offset_z
      - .offset:         208
        .size:           2
        .value_kind:     hidden_grid_dims
    .group_segment_fixed_size: 2720
    .kernarg_segment_align: 8
    .kernarg_segment_size: 400
    .language:       OpenCL C
    .language_version:
      - 2
      - 0
    .max_flat_workgroup_size: 256
    .name:           _Z38paged_attention_ll4mi_QKV_mfma4_kernelIDF16_hLN4vllm18Fp8KVCacheDataTypeE1EDF16_Li16ELi64ELi256ELb0ELi4EEvPKT_PKT0_S7_ifPKiS9_S9_iPKfiiiPfSC_PS2_PT2_iSB_SB_
    .private_segment_fixed_size: 0
    .sgpr_count:     48
    .sgpr_spill_count: 0
    .symbol:         _Z38paged_attention_ll4mi_QKV_mfma4_kernelIDF16_hLN4vllm18Fp8KVCacheDataTypeE1EDF16_Li16ELi64ELi256ELb0ELi4EEvPKT_PKT0_S7_ifPKiS9_S9_iPKfiiiPfSC_PS2_PT2_iSB_SB_.kd
    .uniform_work_group_size: 1
    .uses_dynamic_stack: false
    .vgpr_count:     60
    .vgpr_spill_count: 0
    .wavefront_size: 64
  - .agpr_count:     1
    .args:
      - .actual_access:  read_only
        .address_space:  global
        .offset:         0
        .size:           8
        .value_kind:     global_buffer
      - .actual_access:  read_only
        .address_space:  global
        .offset:         8
        .size:           8
        .value_kind:     global_buffer
      - .actual_access:  read_only
        .address_space:  global
        .offset:         16
        .size:           8
        .value_kind:     global_buffer
      - .offset:         24
        .size:           4
        .value_kind:     by_value
      - .offset:         28
        .size:           4
        .value_kind:     by_value
      - .actual_access:  read_only
        .address_space:  global
        .offset:         32
        .size:           8
        .value_kind:     global_buffer
      - .actual_access:  read_only
        .address_space:  global
        .offset:         40
        .size:           8
        .value_kind:     global_buffer
      - .actual_access:  read_only
        .address_space:  global
        .offset:         48
        .size:           8
        .value_kind:     global_buffer
      - .offset:         56
        .size:           4
        .value_kind:     by_value
      - .actual_access:  read_only
        .address_space:  global
        .offset:         64
        .size:           8
        .value_kind:     global_buffer
      - .offset:         72
        .size:           4
        .value_kind:     by_value
      - .offset:         76
        .size:           4
        .value_kind:     by_value
      - .offset:         80
        .size:           4
        .value_kind:     by_value
      - .actual_access:  read_only
        .address_space:  global
        .offset:         88
        .size:           8
        .value_kind:     global_buffer
      - .actual_access:  read_only
        .address_space:  global
        .offset:         96
        .size:           8
        .value_kind:     global_buffer
      - .actual_access:  read_only
        .address_space:  global
        .offset:         104
        .size:           8
        .value_kind:     global_buffer
      - .actual_access:  read_only
        .address_space:  global
        .offset:         112
        .size:           8
        .value_kind:     global_buffer
      - .offset:         120
        .size:           4
        .value_kind:     by_value
      - .address_space:  global
        .offset:         128
        .size:           8
        .value_kind:     global_buffer
      - .address_space:  global
        .offset:         136
        .size:           8
        .value_kind:     global_buffer
      - .offset:         144
        .size:           4
        .value_kind:     hidden_block_count_x
      - .offset:         148
        .size:           4
        .value_kind:     hidden_block_count_y
      - .offset:         152
        .size:           4
        .value_kind:     hidden_block_count_z
      - .offset:         156
        .size:           2
        .value_kind:     hidden_group_size_x
      - .offset:         158
        .size:           2
        .value_kind:     hidden_group_size_y
      - .offset:         160
        .size:           2
        .value_kind:     hidden_group_size_z
      - .offset:         162
        .size:           2
        .value_kind:     hidden_remainder_x
      - .offset:         164
        .size:           2
        .value_kind:     hidden_remainder_y
      - .offset:         166
        .size:           2
        .value_kind:     hidden_remainder_z
      - .offset:         184
        .size:           8
        .value_kind:     hidden_global_offset_x
      - .offset:         192
        .size:           8
        .value_kind:     hidden_global_offset_y
      - .offset:         200
        .size:           8
        .value_kind:     hidden_global_offset_z
      - .offset:         208
        .size:           2
        .value_kind:     hidden_grid_dims
      - .offset:         224
        .size:           8
        .value_kind:     hidden_hostcall_buffer
    .group_segment_fixed_size: 8192
    .kernarg_segment_align: 8
    .kernarg_segment_size: 400
    .language:       OpenCL C
    .language_version:
      - 2
      - 0
    .max_flat_workgroup_size: 256
    .name:           _Z39paged_attention_ll4mi_QKV_mfma16_kernelIDF16_hLN4vllm18Fp8KVCacheDataTypeE1EDF16_Li16ELi64ELi256ELb0ELi5EL8MFMAType1EEvPKT_PKT0_S8_ifPKiSA_SA_iPKfiiiPfSD_PS3_PT2_iSC_SC_
    .private_segment_fixed_size: 64
    .sgpr_count:     40
    .sgpr_spill_count: 0
    .symbol:         _Z39paged_attention_ll4mi_QKV_mfma16_kernelIDF16_hLN4vllm18Fp8KVCacheDataTypeE1EDF16_Li16ELi64ELi256ELb0ELi5EL8MFMAType1EEvPKT_PKT0_S8_ifPKiSA_SA_iPKfiiiPfSD_PS3_PT2_iSC_SC_.kd
    .uniform_work_group_size: 1
    .uses_dynamic_stack: false
    .vgpr_count:     45
    .vgpr_spill_count: 0
    .wavefront_size: 64
  - .agpr_count:     1
    .args:
      - .actual_access:  read_only
        .address_space:  global
        .offset:         0
        .size:           8
        .value_kind:     global_buffer
      - .actual_access:  read_only
        .address_space:  global
        .offset:         8
        .size:           8
        .value_kind:     global_buffer
      - .actual_access:  read_only
        .address_space:  global
        .offset:         16
        .size:           8
        .value_kind:     global_buffer
      - .offset:         24
        .size:           4
        .value_kind:     by_value
      - .offset:         28
        .size:           4
        .value_kind:     by_value
      - .actual_access:  read_only
        .address_space:  global
        .offset:         32
        .size:           8
        .value_kind:     global_buffer
      - .actual_access:  read_only
        .address_space:  global
        .offset:         40
        .size:           8
        .value_kind:     global_buffer
      - .actual_access:  read_only
        .address_space:  global
        .offset:         48
        .size:           8
        .value_kind:     global_buffer
      - .offset:         56
        .size:           4
        .value_kind:     by_value
      - .actual_access:  read_only
        .address_space:  global
        .offset:         64
        .size:           8
        .value_kind:     global_buffer
      - .offset:         72
        .size:           4
        .value_kind:     by_value
      - .offset:         76
        .size:           4
        .value_kind:     by_value
      - .offset:         80
        .size:           4
        .value_kind:     by_value
      - .actual_access:  read_only
        .address_space:  global
        .offset:         88
        .size:           8
        .value_kind:     global_buffer
      - .actual_access:  read_only
        .address_space:  global
        .offset:         96
        .size:           8
        .value_kind:     global_buffer
      - .actual_access:  read_only
        .address_space:  global
        .offset:         104
        .size:           8
        .value_kind:     global_buffer
      - .actual_access:  read_only
        .address_space:  global
        .offset:         112
        .size:           8
        .value_kind:     global_buffer
      - .offset:         120
        .size:           4
        .value_kind:     by_value
      - .address_space:  global
        .offset:         128
        .size:           8
        .value_kind:     global_buffer
      - .address_space:  global
        .offset:         136
        .size:           8
        .value_kind:     global_buffer
      - .offset:         144
        .size:           4
        .value_kind:     hidden_block_count_x
      - .offset:         148
        .size:           4
        .value_kind:     hidden_block_count_y
      - .offset:         152
        .size:           4
        .value_kind:     hidden_block_count_z
      - .offset:         156
        .size:           2
        .value_kind:     hidden_group_size_x
      - .offset:         158
        .size:           2
        .value_kind:     hidden_group_size_y
      - .offset:         160
        .size:           2
        .value_kind:     hidden_group_size_z
      - .offset:         162
        .size:           2
        .value_kind:     hidden_remainder_x
      - .offset:         164
        .size:           2
        .value_kind:     hidden_remainder_y
      - .offset:         166
        .size:           2
        .value_kind:     hidden_remainder_z
      - .offset:         184
        .size:           8
        .value_kind:     hidden_global_offset_x
      - .offset:         192
        .size:           8
        .value_kind:     hidden_global_offset_y
      - .offset:         200
        .size:           8
        .value_kind:     hidden_global_offset_z
      - .offset:         208
        .size:           2
        .value_kind:     hidden_grid_dims
      - .offset:         224
        .size:           8
        .value_kind:     hidden_hostcall_buffer
    .group_segment_fixed_size: 8192
    .kernarg_segment_align: 8
    .kernarg_segment_size: 400
    .language:       OpenCL C
    .language_version:
      - 2
      - 0
    .max_flat_workgroup_size: 256
    .name:           _Z39paged_attention_ll4mi_QKV_mfma16_kernelIDF16_hLN4vllm18Fp8KVCacheDataTypeE1EDF16_Li16ELi64ELi256ELb0ELi6EL8MFMAType1EEvPKT_PKT0_S8_ifPKiSA_SA_iPKfiiiPfSD_PS3_PT2_iSC_SC_
    .private_segment_fixed_size: 64
    .sgpr_count:     40
    .sgpr_spill_count: 0
    .symbol:         _Z39paged_attention_ll4mi_QKV_mfma16_kernelIDF16_hLN4vllm18Fp8KVCacheDataTypeE1EDF16_Li16ELi64ELi256ELb0ELi6EL8MFMAType1EEvPKT_PKT0_S8_ifPKiSA_SA_iPKfiiiPfSD_PS3_PT2_iSC_SC_.kd
    .uniform_work_group_size: 1
    .uses_dynamic_stack: false
    .vgpr_count:     45
    .vgpr_spill_count: 0
    .wavefront_size: 64
  - .agpr_count:     1
    .args:
      - .actual_access:  read_only
        .address_space:  global
        .offset:         0
        .size:           8
        .value_kind:     global_buffer
      - .actual_access:  read_only
        .address_space:  global
        .offset:         8
        .size:           8
        .value_kind:     global_buffer
      - .actual_access:  read_only
        .address_space:  global
        .offset:         16
        .size:           8
        .value_kind:     global_buffer
      - .offset:         24
        .size:           4
        .value_kind:     by_value
      - .offset:         28
        .size:           4
        .value_kind:     by_value
      - .actual_access:  read_only
        .address_space:  global
        .offset:         32
        .size:           8
        .value_kind:     global_buffer
      - .actual_access:  read_only
        .address_space:  global
        .offset:         40
        .size:           8
        .value_kind:     global_buffer
      - .actual_access:  read_only
        .address_space:  global
        .offset:         48
        .size:           8
        .value_kind:     global_buffer
      - .offset:         56
        .size:           4
        .value_kind:     by_value
      - .actual_access:  read_only
        .address_space:  global
        .offset:         64
        .size:           8
        .value_kind:     global_buffer
      - .offset:         72
        .size:           4
        .value_kind:     by_value
      - .offset:         76
        .size:           4
        .value_kind:     by_value
      - .offset:         80
        .size:           4
        .value_kind:     by_value
      - .actual_access:  read_only
        .address_space:  global
        .offset:         88
        .size:           8
        .value_kind:     global_buffer
      - .actual_access:  read_only
        .address_space:  global
        .offset:         96
        .size:           8
        .value_kind:     global_buffer
      - .actual_access:  read_only
        .address_space:  global
        .offset:         104
        .size:           8
        .value_kind:     global_buffer
      - .actual_access:  read_only
        .address_space:  global
        .offset:         112
        .size:           8
        .value_kind:     global_buffer
      - .offset:         120
        .size:           4
        .value_kind:     by_value
      - .address_space:  global
        .offset:         128
        .size:           8
        .value_kind:     global_buffer
      - .address_space:  global
        .offset:         136
        .size:           8
        .value_kind:     global_buffer
      - .offset:         144
        .size:           4
        .value_kind:     hidden_block_count_x
      - .offset:         148
        .size:           4
        .value_kind:     hidden_block_count_y
      - .offset:         152
        .size:           4
        .value_kind:     hidden_block_count_z
      - .offset:         156
        .size:           2
        .value_kind:     hidden_group_size_x
      - .offset:         158
        .size:           2
        .value_kind:     hidden_group_size_y
      - .offset:         160
        .size:           2
        .value_kind:     hidden_group_size_z
      - .offset:         162
        .size:           2
        .value_kind:     hidden_remainder_x
      - .offset:         164
        .size:           2
        .value_kind:     hidden_remainder_y
      - .offset:         166
        .size:           2
        .value_kind:     hidden_remainder_z
      - .offset:         184
        .size:           8
        .value_kind:     hidden_global_offset_x
      - .offset:         192
        .size:           8
        .value_kind:     hidden_global_offset_y
      - .offset:         200
        .size:           8
        .value_kind:     hidden_global_offset_z
      - .offset:         208
        .size:           2
        .value_kind:     hidden_grid_dims
      - .offset:         224
        .size:           8
        .value_kind:     hidden_hostcall_buffer
    .group_segment_fixed_size: 8192
    .kernarg_segment_align: 8
    .kernarg_segment_size: 400
    .language:       OpenCL C
    .language_version:
      - 2
      - 0
    .max_flat_workgroup_size: 256
    .name:           _Z39paged_attention_ll4mi_QKV_mfma16_kernelIDF16_hLN4vllm18Fp8KVCacheDataTypeE1EDF16_Li16ELi64ELi256ELb0ELi7EL8MFMAType1EEvPKT_PKT0_S8_ifPKiSA_SA_iPKfiiiPfSD_PS3_PT2_iSC_SC_
    .private_segment_fixed_size: 64
    .sgpr_count:     40
    .sgpr_spill_count: 0
    .symbol:         _Z39paged_attention_ll4mi_QKV_mfma16_kernelIDF16_hLN4vllm18Fp8KVCacheDataTypeE1EDF16_Li16ELi64ELi256ELb0ELi7EL8MFMAType1EEvPKT_PKT0_S8_ifPKiSA_SA_iPKfiiiPfSD_PS3_PT2_iSC_SC_.kd
    .uniform_work_group_size: 1
    .uses_dynamic_stack: false
    .vgpr_count:     45
    .vgpr_spill_count: 0
    .wavefront_size: 64
  - .agpr_count:     1
    .args:
      - .actual_access:  read_only
        .address_space:  global
        .offset:         0
        .size:           8
        .value_kind:     global_buffer
      - .actual_access:  read_only
        .address_space:  global
        .offset:         8
        .size:           8
        .value_kind:     global_buffer
      - .actual_access:  read_only
        .address_space:  global
        .offset:         16
        .size:           8
        .value_kind:     global_buffer
      - .offset:         24
        .size:           4
        .value_kind:     by_value
      - .offset:         28
        .size:           4
        .value_kind:     by_value
      - .actual_access:  read_only
        .address_space:  global
        .offset:         32
        .size:           8
        .value_kind:     global_buffer
      - .actual_access:  read_only
        .address_space:  global
        .offset:         40
        .size:           8
        .value_kind:     global_buffer
      - .actual_access:  read_only
        .address_space:  global
        .offset:         48
        .size:           8
        .value_kind:     global_buffer
      - .offset:         56
        .size:           4
        .value_kind:     by_value
      - .actual_access:  read_only
        .address_space:  global
        .offset:         64
        .size:           8
        .value_kind:     global_buffer
      - .offset:         72
        .size:           4
        .value_kind:     by_value
      - .offset:         76
        .size:           4
        .value_kind:     by_value
      - .offset:         80
        .size:           4
        .value_kind:     by_value
      - .actual_access:  read_only
        .address_space:  global
        .offset:         88
        .size:           8
        .value_kind:     global_buffer
      - .actual_access:  read_only
        .address_space:  global
        .offset:         96
        .size:           8
        .value_kind:     global_buffer
      - .actual_access:  read_only
        .address_space:  global
        .offset:         104
        .size:           8
        .value_kind:     global_buffer
      - .actual_access:  read_only
        .address_space:  global
        .offset:         112
        .size:           8
        .value_kind:     global_buffer
      - .offset:         120
        .size:           4
        .value_kind:     by_value
      - .address_space:  global
        .offset:         128
        .size:           8
        .value_kind:     global_buffer
      - .address_space:  global
        .offset:         136
        .size:           8
        .value_kind:     global_buffer
      - .offset:         144
        .size:           4
        .value_kind:     hidden_block_count_x
      - .offset:         148
        .size:           4
        .value_kind:     hidden_block_count_y
      - .offset:         152
        .size:           4
        .value_kind:     hidden_block_count_z
      - .offset:         156
        .size:           2
        .value_kind:     hidden_group_size_x
      - .offset:         158
        .size:           2
        .value_kind:     hidden_group_size_y
      - .offset:         160
        .size:           2
        .value_kind:     hidden_group_size_z
      - .offset:         162
        .size:           2
        .value_kind:     hidden_remainder_x
      - .offset:         164
        .size:           2
        .value_kind:     hidden_remainder_y
      - .offset:         166
        .size:           2
        .value_kind:     hidden_remainder_z
      - .offset:         184
        .size:           8
        .value_kind:     hidden_global_offset_x
      - .offset:         192
        .size:           8
        .value_kind:     hidden_global_offset_y
      - .offset:         200
        .size:           8
        .value_kind:     hidden_global_offset_z
      - .offset:         208
        .size:           2
        .value_kind:     hidden_grid_dims
      - .offset:         224
        .size:           8
        .value_kind:     hidden_hostcall_buffer
    .group_segment_fixed_size: 8192
    .kernarg_segment_align: 8
    .kernarg_segment_size: 400
    .language:       OpenCL C
    .language_version:
      - 2
      - 0
    .max_flat_workgroup_size: 256
    .name:           _Z39paged_attention_ll4mi_QKV_mfma16_kernelIDF16_hLN4vllm18Fp8KVCacheDataTypeE1EDF16_Li16ELi64ELi256ELb0ELi8EL8MFMAType1EEvPKT_PKT0_S8_ifPKiSA_SA_iPKfiiiPfSD_PS3_PT2_iSC_SC_
    .private_segment_fixed_size: 64
    .sgpr_count:     40
    .sgpr_spill_count: 0
    .symbol:         _Z39paged_attention_ll4mi_QKV_mfma16_kernelIDF16_hLN4vllm18Fp8KVCacheDataTypeE1EDF16_Li16ELi64ELi256ELb0ELi8EL8MFMAType1EEvPKT_PKT0_S8_ifPKiSA_SA_iPKfiiiPfSD_PS3_PT2_iSC_SC_.kd
    .uniform_work_group_size: 1
    .uses_dynamic_stack: false
    .vgpr_count:     45
    .vgpr_spill_count: 0
    .wavefront_size: 64
  - .agpr_count:     1
    .args:
      - .actual_access:  read_only
        .address_space:  global
        .offset:         0
        .size:           8
        .value_kind:     global_buffer
      - .actual_access:  read_only
        .address_space:  global
        .offset:         8
        .size:           8
        .value_kind:     global_buffer
      - .actual_access:  read_only
        .address_space:  global
        .offset:         16
        .size:           8
        .value_kind:     global_buffer
      - .offset:         24
        .size:           4
        .value_kind:     by_value
      - .offset:         28
        .size:           4
        .value_kind:     by_value
      - .actual_access:  read_only
        .address_space:  global
        .offset:         32
        .size:           8
        .value_kind:     global_buffer
      - .actual_access:  read_only
        .address_space:  global
        .offset:         40
        .size:           8
        .value_kind:     global_buffer
      - .actual_access:  read_only
        .address_space:  global
        .offset:         48
        .size:           8
        .value_kind:     global_buffer
      - .offset:         56
        .size:           4
        .value_kind:     by_value
      - .actual_access:  read_only
        .address_space:  global
        .offset:         64
        .size:           8
        .value_kind:     global_buffer
      - .offset:         72
        .size:           4
        .value_kind:     by_value
      - .offset:         76
        .size:           4
        .value_kind:     by_value
      - .offset:         80
        .size:           4
        .value_kind:     by_value
      - .actual_access:  read_only
        .address_space:  global
        .offset:         88
        .size:           8
        .value_kind:     global_buffer
      - .actual_access:  read_only
        .address_space:  global
        .offset:         96
        .size:           8
        .value_kind:     global_buffer
      - .actual_access:  read_only
        .address_space:  global
        .offset:         104
        .size:           8
        .value_kind:     global_buffer
      - .actual_access:  read_only
        .address_space:  global
        .offset:         112
        .size:           8
        .value_kind:     global_buffer
      - .offset:         120
        .size:           4
        .value_kind:     by_value
      - .address_space:  global
        .offset:         128
        .size:           8
        .value_kind:     global_buffer
      - .address_space:  global
        .offset:         136
        .size:           8
        .value_kind:     global_buffer
      - .offset:         144
        .size:           4
        .value_kind:     hidden_block_count_x
      - .offset:         148
        .size:           4
        .value_kind:     hidden_block_count_y
      - .offset:         152
        .size:           4
        .value_kind:     hidden_block_count_z
      - .offset:         156
        .size:           2
        .value_kind:     hidden_group_size_x
      - .offset:         158
        .size:           2
        .value_kind:     hidden_group_size_y
      - .offset:         160
        .size:           2
        .value_kind:     hidden_group_size_z
      - .offset:         162
        .size:           2
        .value_kind:     hidden_remainder_x
      - .offset:         164
        .size:           2
        .value_kind:     hidden_remainder_y
      - .offset:         166
        .size:           2
        .value_kind:     hidden_remainder_z
      - .offset:         184
        .size:           8
        .value_kind:     hidden_global_offset_x
      - .offset:         192
        .size:           8
        .value_kind:     hidden_global_offset_y
      - .offset:         200
        .size:           8
        .value_kind:     hidden_global_offset_z
      - .offset:         208
        .size:           2
        .value_kind:     hidden_grid_dims
      - .offset:         224
        .size:           8
        .value_kind:     hidden_hostcall_buffer
    .group_segment_fixed_size: 8192
    .kernarg_segment_align: 8
    .kernarg_segment_size: 400
    .language:       OpenCL C
    .language_version:
      - 2
      - 0
    .max_flat_workgroup_size: 256
    .name:           _Z39paged_attention_ll4mi_QKV_mfma16_kernelIDF16_hLN4vllm18Fp8KVCacheDataTypeE1EDF16_Li16ELi64ELi256ELb0ELi9EL8MFMAType1EEvPKT_PKT0_S8_ifPKiSA_SA_iPKfiiiPfSD_PS3_PT2_iSC_SC_
    .private_segment_fixed_size: 64
    .sgpr_count:     40
    .sgpr_spill_count: 0
    .symbol:         _Z39paged_attention_ll4mi_QKV_mfma16_kernelIDF16_hLN4vllm18Fp8KVCacheDataTypeE1EDF16_Li16ELi64ELi256ELb0ELi9EL8MFMAType1EEvPKT_PKT0_S8_ifPKiSA_SA_iPKfiiiPfSD_PS3_PT2_iSC_SC_.kd
    .uniform_work_group_size: 1
    .uses_dynamic_stack: false
    .vgpr_count:     45
    .vgpr_spill_count: 0
    .wavefront_size: 64
  - .agpr_count:     1
    .args:
      - .actual_access:  read_only
        .address_space:  global
        .offset:         0
        .size:           8
        .value_kind:     global_buffer
      - .actual_access:  read_only
        .address_space:  global
        .offset:         8
        .size:           8
        .value_kind:     global_buffer
      - .actual_access:  read_only
        .address_space:  global
        .offset:         16
        .size:           8
        .value_kind:     global_buffer
      - .offset:         24
        .size:           4
        .value_kind:     by_value
      - .offset:         28
        .size:           4
        .value_kind:     by_value
      - .actual_access:  read_only
        .address_space:  global
        .offset:         32
        .size:           8
        .value_kind:     global_buffer
      - .actual_access:  read_only
        .address_space:  global
        .offset:         40
        .size:           8
        .value_kind:     global_buffer
      - .actual_access:  read_only
        .address_space:  global
        .offset:         48
        .size:           8
        .value_kind:     global_buffer
      - .offset:         56
        .size:           4
        .value_kind:     by_value
      - .actual_access:  read_only
        .address_space:  global
        .offset:         64
        .size:           8
        .value_kind:     global_buffer
      - .offset:         72
        .size:           4
        .value_kind:     by_value
      - .offset:         76
        .size:           4
        .value_kind:     by_value
      - .offset:         80
        .size:           4
        .value_kind:     by_value
      - .actual_access:  read_only
        .address_space:  global
        .offset:         88
        .size:           8
        .value_kind:     global_buffer
      - .actual_access:  read_only
        .address_space:  global
        .offset:         96
        .size:           8
        .value_kind:     global_buffer
      - .actual_access:  read_only
        .address_space:  global
        .offset:         104
        .size:           8
        .value_kind:     global_buffer
      - .actual_access:  read_only
        .address_space:  global
        .offset:         112
        .size:           8
        .value_kind:     global_buffer
      - .offset:         120
        .size:           4
        .value_kind:     by_value
      - .address_space:  global
        .offset:         128
        .size:           8
        .value_kind:     global_buffer
      - .address_space:  global
        .offset:         136
        .size:           8
        .value_kind:     global_buffer
      - .offset:         144
        .size:           4
        .value_kind:     hidden_block_count_x
      - .offset:         148
        .size:           4
        .value_kind:     hidden_block_count_y
      - .offset:         152
        .size:           4
        .value_kind:     hidden_block_count_z
      - .offset:         156
        .size:           2
        .value_kind:     hidden_group_size_x
      - .offset:         158
        .size:           2
        .value_kind:     hidden_group_size_y
      - .offset:         160
        .size:           2
        .value_kind:     hidden_group_size_z
      - .offset:         162
        .size:           2
        .value_kind:     hidden_remainder_x
      - .offset:         164
        .size:           2
        .value_kind:     hidden_remainder_y
      - .offset:         166
        .size:           2
        .value_kind:     hidden_remainder_z
      - .offset:         184
        .size:           8
        .value_kind:     hidden_global_offset_x
      - .offset:         192
        .size:           8
        .value_kind:     hidden_global_offset_y
      - .offset:         200
        .size:           8
        .value_kind:     hidden_global_offset_z
      - .offset:         208
        .size:           2
        .value_kind:     hidden_grid_dims
      - .offset:         224
        .size:           8
        .value_kind:     hidden_hostcall_buffer
    .group_segment_fixed_size: 8192
    .kernarg_segment_align: 8
    .kernarg_segment_size: 400
    .language:       OpenCL C
    .language_version:
      - 2
      - 0
    .max_flat_workgroup_size: 256
    .name:           _Z39paged_attention_ll4mi_QKV_mfma16_kernelIDF16_hLN4vllm18Fp8KVCacheDataTypeE1EDF16_Li16ELi64ELi256ELb0ELi10EL8MFMAType1EEvPKT_PKT0_S8_ifPKiSA_SA_iPKfiiiPfSD_PS3_PT2_iSC_SC_
    .private_segment_fixed_size: 64
    .sgpr_count:     40
    .sgpr_spill_count: 0
    .symbol:         _Z39paged_attention_ll4mi_QKV_mfma16_kernelIDF16_hLN4vllm18Fp8KVCacheDataTypeE1EDF16_Li16ELi64ELi256ELb0ELi10EL8MFMAType1EEvPKT_PKT0_S8_ifPKiSA_SA_iPKfiiiPfSD_PS3_PT2_iSC_SC_.kd
    .uniform_work_group_size: 1
    .uses_dynamic_stack: false
    .vgpr_count:     45
    .vgpr_spill_count: 0
    .wavefront_size: 64
  - .agpr_count:     1
    .args:
      - .actual_access:  read_only
        .address_space:  global
        .offset:         0
        .size:           8
        .value_kind:     global_buffer
      - .actual_access:  read_only
        .address_space:  global
        .offset:         8
        .size:           8
        .value_kind:     global_buffer
      - .actual_access:  read_only
        .address_space:  global
        .offset:         16
        .size:           8
        .value_kind:     global_buffer
      - .offset:         24
        .size:           4
        .value_kind:     by_value
      - .offset:         28
        .size:           4
        .value_kind:     by_value
      - .actual_access:  read_only
        .address_space:  global
        .offset:         32
        .size:           8
        .value_kind:     global_buffer
      - .actual_access:  read_only
        .address_space:  global
        .offset:         40
        .size:           8
        .value_kind:     global_buffer
      - .actual_access:  read_only
        .address_space:  global
        .offset:         48
        .size:           8
        .value_kind:     global_buffer
      - .offset:         56
        .size:           4
        .value_kind:     by_value
      - .actual_access:  read_only
        .address_space:  global
        .offset:         64
        .size:           8
        .value_kind:     global_buffer
      - .offset:         72
        .size:           4
        .value_kind:     by_value
      - .offset:         76
        .size:           4
        .value_kind:     by_value
      - .offset:         80
        .size:           4
        .value_kind:     by_value
      - .actual_access:  read_only
        .address_space:  global
        .offset:         88
        .size:           8
        .value_kind:     global_buffer
      - .actual_access:  read_only
        .address_space:  global
        .offset:         96
        .size:           8
        .value_kind:     global_buffer
      - .actual_access:  read_only
        .address_space:  global
        .offset:         104
        .size:           8
        .value_kind:     global_buffer
      - .actual_access:  read_only
        .address_space:  global
        .offset:         112
        .size:           8
        .value_kind:     global_buffer
      - .offset:         120
        .size:           4
        .value_kind:     by_value
      - .address_space:  global
        .offset:         128
        .size:           8
        .value_kind:     global_buffer
      - .address_space:  global
        .offset:         136
        .size:           8
        .value_kind:     global_buffer
      - .offset:         144
        .size:           4
        .value_kind:     hidden_block_count_x
      - .offset:         148
        .size:           4
        .value_kind:     hidden_block_count_y
      - .offset:         152
        .size:           4
        .value_kind:     hidden_block_count_z
      - .offset:         156
        .size:           2
        .value_kind:     hidden_group_size_x
      - .offset:         158
        .size:           2
        .value_kind:     hidden_group_size_y
      - .offset:         160
        .size:           2
        .value_kind:     hidden_group_size_z
      - .offset:         162
        .size:           2
        .value_kind:     hidden_remainder_x
      - .offset:         164
        .size:           2
        .value_kind:     hidden_remainder_y
      - .offset:         166
        .size:           2
        .value_kind:     hidden_remainder_z
      - .offset:         184
        .size:           8
        .value_kind:     hidden_global_offset_x
      - .offset:         192
        .size:           8
        .value_kind:     hidden_global_offset_y
      - .offset:         200
        .size:           8
        .value_kind:     hidden_global_offset_z
      - .offset:         208
        .size:           2
        .value_kind:     hidden_grid_dims
      - .offset:         224
        .size:           8
        .value_kind:     hidden_hostcall_buffer
    .group_segment_fixed_size: 8192
    .kernarg_segment_align: 8
    .kernarg_segment_size: 400
    .language:       OpenCL C
    .language_version:
      - 2
      - 0
    .max_flat_workgroup_size: 256
    .name:           _Z39paged_attention_ll4mi_QKV_mfma16_kernelIDF16_hLN4vllm18Fp8KVCacheDataTypeE1EDF16_Li16ELi64ELi256ELb0ELi11EL8MFMAType1EEvPKT_PKT0_S8_ifPKiSA_SA_iPKfiiiPfSD_PS3_PT2_iSC_SC_
    .private_segment_fixed_size: 64
    .sgpr_count:     40
    .sgpr_spill_count: 0
    .symbol:         _Z39paged_attention_ll4mi_QKV_mfma16_kernelIDF16_hLN4vllm18Fp8KVCacheDataTypeE1EDF16_Li16ELi64ELi256ELb0ELi11EL8MFMAType1EEvPKT_PKT0_S8_ifPKiSA_SA_iPKfiiiPfSD_PS3_PT2_iSC_SC_.kd
    .uniform_work_group_size: 1
    .uses_dynamic_stack: false
    .vgpr_count:     45
    .vgpr_spill_count: 0
    .wavefront_size: 64
  - .agpr_count:     1
    .args:
      - .actual_access:  read_only
        .address_space:  global
        .offset:         0
        .size:           8
        .value_kind:     global_buffer
      - .actual_access:  read_only
        .address_space:  global
        .offset:         8
        .size:           8
        .value_kind:     global_buffer
      - .actual_access:  read_only
        .address_space:  global
        .offset:         16
        .size:           8
        .value_kind:     global_buffer
      - .offset:         24
        .size:           4
        .value_kind:     by_value
      - .offset:         28
        .size:           4
        .value_kind:     by_value
      - .actual_access:  read_only
        .address_space:  global
        .offset:         32
        .size:           8
        .value_kind:     global_buffer
      - .actual_access:  read_only
        .address_space:  global
        .offset:         40
        .size:           8
        .value_kind:     global_buffer
      - .actual_access:  read_only
        .address_space:  global
        .offset:         48
        .size:           8
        .value_kind:     global_buffer
      - .offset:         56
        .size:           4
        .value_kind:     by_value
      - .actual_access:  read_only
        .address_space:  global
        .offset:         64
        .size:           8
        .value_kind:     global_buffer
      - .offset:         72
        .size:           4
        .value_kind:     by_value
      - .offset:         76
        .size:           4
        .value_kind:     by_value
      - .offset:         80
        .size:           4
        .value_kind:     by_value
      - .actual_access:  read_only
        .address_space:  global
        .offset:         88
        .size:           8
        .value_kind:     global_buffer
      - .actual_access:  read_only
        .address_space:  global
        .offset:         96
        .size:           8
        .value_kind:     global_buffer
      - .actual_access:  read_only
        .address_space:  global
        .offset:         104
        .size:           8
        .value_kind:     global_buffer
      - .actual_access:  read_only
        .address_space:  global
        .offset:         112
        .size:           8
        .value_kind:     global_buffer
      - .offset:         120
        .size:           4
        .value_kind:     by_value
      - .address_space:  global
        .offset:         128
        .size:           8
        .value_kind:     global_buffer
      - .address_space:  global
        .offset:         136
        .size:           8
        .value_kind:     global_buffer
      - .offset:         144
        .size:           4
        .value_kind:     hidden_block_count_x
      - .offset:         148
        .size:           4
        .value_kind:     hidden_block_count_y
      - .offset:         152
        .size:           4
        .value_kind:     hidden_block_count_z
      - .offset:         156
        .size:           2
        .value_kind:     hidden_group_size_x
      - .offset:         158
        .size:           2
        .value_kind:     hidden_group_size_y
      - .offset:         160
        .size:           2
        .value_kind:     hidden_group_size_z
      - .offset:         162
        .size:           2
        .value_kind:     hidden_remainder_x
      - .offset:         164
        .size:           2
        .value_kind:     hidden_remainder_y
      - .offset:         166
        .size:           2
        .value_kind:     hidden_remainder_z
      - .offset:         184
        .size:           8
        .value_kind:     hidden_global_offset_x
      - .offset:         192
        .size:           8
        .value_kind:     hidden_global_offset_y
      - .offset:         200
        .size:           8
        .value_kind:     hidden_global_offset_z
      - .offset:         208
        .size:           2
        .value_kind:     hidden_grid_dims
      - .offset:         224
        .size:           8
        .value_kind:     hidden_hostcall_buffer
    .group_segment_fixed_size: 8192
    .kernarg_segment_align: 8
    .kernarg_segment_size: 400
    .language:       OpenCL C
    .language_version:
      - 2
      - 0
    .max_flat_workgroup_size: 256
    .name:           _Z39paged_attention_ll4mi_QKV_mfma16_kernelIDF16_hLN4vllm18Fp8KVCacheDataTypeE1EDF16_Li16ELi64ELi256ELb0ELi12EL8MFMAType1EEvPKT_PKT0_S8_ifPKiSA_SA_iPKfiiiPfSD_PS3_PT2_iSC_SC_
    .private_segment_fixed_size: 64
    .sgpr_count:     40
    .sgpr_spill_count: 0
    .symbol:         _Z39paged_attention_ll4mi_QKV_mfma16_kernelIDF16_hLN4vllm18Fp8KVCacheDataTypeE1EDF16_Li16ELi64ELi256ELb0ELi12EL8MFMAType1EEvPKT_PKT0_S8_ifPKiSA_SA_iPKfiiiPfSD_PS3_PT2_iSC_SC_.kd
    .uniform_work_group_size: 1
    .uses_dynamic_stack: false
    .vgpr_count:     45
    .vgpr_spill_count: 0
    .wavefront_size: 64
  - .agpr_count:     1
    .args:
      - .actual_access:  read_only
        .address_space:  global
        .offset:         0
        .size:           8
        .value_kind:     global_buffer
      - .actual_access:  read_only
        .address_space:  global
        .offset:         8
        .size:           8
        .value_kind:     global_buffer
      - .actual_access:  read_only
        .address_space:  global
        .offset:         16
        .size:           8
        .value_kind:     global_buffer
      - .offset:         24
        .size:           4
        .value_kind:     by_value
      - .offset:         28
        .size:           4
        .value_kind:     by_value
      - .actual_access:  read_only
        .address_space:  global
        .offset:         32
        .size:           8
        .value_kind:     global_buffer
      - .actual_access:  read_only
        .address_space:  global
        .offset:         40
        .size:           8
        .value_kind:     global_buffer
      - .actual_access:  read_only
        .address_space:  global
        .offset:         48
        .size:           8
        .value_kind:     global_buffer
      - .offset:         56
        .size:           4
        .value_kind:     by_value
      - .actual_access:  read_only
        .address_space:  global
        .offset:         64
        .size:           8
        .value_kind:     global_buffer
      - .offset:         72
        .size:           4
        .value_kind:     by_value
      - .offset:         76
        .size:           4
        .value_kind:     by_value
      - .offset:         80
        .size:           4
        .value_kind:     by_value
      - .actual_access:  read_only
        .address_space:  global
        .offset:         88
        .size:           8
        .value_kind:     global_buffer
      - .actual_access:  read_only
        .address_space:  global
        .offset:         96
        .size:           8
        .value_kind:     global_buffer
      - .actual_access:  read_only
        .address_space:  global
        .offset:         104
        .size:           8
        .value_kind:     global_buffer
      - .actual_access:  read_only
        .address_space:  global
        .offset:         112
        .size:           8
        .value_kind:     global_buffer
      - .offset:         120
        .size:           4
        .value_kind:     by_value
      - .address_space:  global
        .offset:         128
        .size:           8
        .value_kind:     global_buffer
      - .address_space:  global
        .offset:         136
        .size:           8
        .value_kind:     global_buffer
      - .offset:         144
        .size:           4
        .value_kind:     hidden_block_count_x
      - .offset:         148
        .size:           4
        .value_kind:     hidden_block_count_y
      - .offset:         152
        .size:           4
        .value_kind:     hidden_block_count_z
      - .offset:         156
        .size:           2
        .value_kind:     hidden_group_size_x
      - .offset:         158
        .size:           2
        .value_kind:     hidden_group_size_y
      - .offset:         160
        .size:           2
        .value_kind:     hidden_group_size_z
      - .offset:         162
        .size:           2
        .value_kind:     hidden_remainder_x
      - .offset:         164
        .size:           2
        .value_kind:     hidden_remainder_y
      - .offset:         166
        .size:           2
        .value_kind:     hidden_remainder_z
      - .offset:         184
        .size:           8
        .value_kind:     hidden_global_offset_x
      - .offset:         192
        .size:           8
        .value_kind:     hidden_global_offset_y
      - .offset:         200
        .size:           8
        .value_kind:     hidden_global_offset_z
      - .offset:         208
        .size:           2
        .value_kind:     hidden_grid_dims
      - .offset:         224
        .size:           8
        .value_kind:     hidden_hostcall_buffer
    .group_segment_fixed_size: 8192
    .kernarg_segment_align: 8
    .kernarg_segment_size: 400
    .language:       OpenCL C
    .language_version:
      - 2
      - 0
    .max_flat_workgroup_size: 256
    .name:           _Z39paged_attention_ll4mi_QKV_mfma16_kernelIDF16_hLN4vllm18Fp8KVCacheDataTypeE1EDF16_Li16ELi64ELi256ELb0ELi13EL8MFMAType1EEvPKT_PKT0_S8_ifPKiSA_SA_iPKfiiiPfSD_PS3_PT2_iSC_SC_
    .private_segment_fixed_size: 64
    .sgpr_count:     40
    .sgpr_spill_count: 0
    .symbol:         _Z39paged_attention_ll4mi_QKV_mfma16_kernelIDF16_hLN4vllm18Fp8KVCacheDataTypeE1EDF16_Li16ELi64ELi256ELb0ELi13EL8MFMAType1EEvPKT_PKT0_S8_ifPKiSA_SA_iPKfiiiPfSD_PS3_PT2_iSC_SC_.kd
    .uniform_work_group_size: 1
    .uses_dynamic_stack: false
    .vgpr_count:     45
    .vgpr_spill_count: 0
    .wavefront_size: 64
  - .agpr_count:     1
    .args:
      - .actual_access:  read_only
        .address_space:  global
        .offset:         0
        .size:           8
        .value_kind:     global_buffer
      - .actual_access:  read_only
        .address_space:  global
        .offset:         8
        .size:           8
        .value_kind:     global_buffer
      - .actual_access:  read_only
        .address_space:  global
        .offset:         16
        .size:           8
        .value_kind:     global_buffer
      - .offset:         24
        .size:           4
        .value_kind:     by_value
      - .offset:         28
        .size:           4
        .value_kind:     by_value
      - .actual_access:  read_only
        .address_space:  global
        .offset:         32
        .size:           8
        .value_kind:     global_buffer
      - .actual_access:  read_only
        .address_space:  global
        .offset:         40
        .size:           8
        .value_kind:     global_buffer
      - .actual_access:  read_only
        .address_space:  global
        .offset:         48
        .size:           8
        .value_kind:     global_buffer
      - .offset:         56
        .size:           4
        .value_kind:     by_value
      - .actual_access:  read_only
        .address_space:  global
        .offset:         64
        .size:           8
        .value_kind:     global_buffer
      - .offset:         72
        .size:           4
        .value_kind:     by_value
      - .offset:         76
        .size:           4
        .value_kind:     by_value
      - .offset:         80
        .size:           4
        .value_kind:     by_value
      - .actual_access:  read_only
        .address_space:  global
        .offset:         88
        .size:           8
        .value_kind:     global_buffer
      - .actual_access:  read_only
        .address_space:  global
        .offset:         96
        .size:           8
        .value_kind:     global_buffer
      - .actual_access:  read_only
        .address_space:  global
        .offset:         104
        .size:           8
        .value_kind:     global_buffer
      - .actual_access:  read_only
        .address_space:  global
        .offset:         112
        .size:           8
        .value_kind:     global_buffer
      - .offset:         120
        .size:           4
        .value_kind:     by_value
      - .address_space:  global
        .offset:         128
        .size:           8
        .value_kind:     global_buffer
      - .address_space:  global
        .offset:         136
        .size:           8
        .value_kind:     global_buffer
      - .offset:         144
        .size:           4
        .value_kind:     hidden_block_count_x
      - .offset:         148
        .size:           4
        .value_kind:     hidden_block_count_y
      - .offset:         152
        .size:           4
        .value_kind:     hidden_block_count_z
      - .offset:         156
        .size:           2
        .value_kind:     hidden_group_size_x
      - .offset:         158
        .size:           2
        .value_kind:     hidden_group_size_y
      - .offset:         160
        .size:           2
        .value_kind:     hidden_group_size_z
      - .offset:         162
        .size:           2
        .value_kind:     hidden_remainder_x
      - .offset:         164
        .size:           2
        .value_kind:     hidden_remainder_y
      - .offset:         166
        .size:           2
        .value_kind:     hidden_remainder_z
      - .offset:         184
        .size:           8
        .value_kind:     hidden_global_offset_x
      - .offset:         192
        .size:           8
        .value_kind:     hidden_global_offset_y
      - .offset:         200
        .size:           8
        .value_kind:     hidden_global_offset_z
      - .offset:         208
        .size:           2
        .value_kind:     hidden_grid_dims
      - .offset:         224
        .size:           8
        .value_kind:     hidden_hostcall_buffer
    .group_segment_fixed_size: 8192
    .kernarg_segment_align: 8
    .kernarg_segment_size: 400
    .language:       OpenCL C
    .language_version:
      - 2
      - 0
    .max_flat_workgroup_size: 256
    .name:           _Z39paged_attention_ll4mi_QKV_mfma16_kernelIDF16_hLN4vllm18Fp8KVCacheDataTypeE1EDF16_Li16ELi64ELi256ELb0ELi14EL8MFMAType1EEvPKT_PKT0_S8_ifPKiSA_SA_iPKfiiiPfSD_PS3_PT2_iSC_SC_
    .private_segment_fixed_size: 64
    .sgpr_count:     40
    .sgpr_spill_count: 0
    .symbol:         _Z39paged_attention_ll4mi_QKV_mfma16_kernelIDF16_hLN4vllm18Fp8KVCacheDataTypeE1EDF16_Li16ELi64ELi256ELb0ELi14EL8MFMAType1EEvPKT_PKT0_S8_ifPKiSA_SA_iPKfiiiPfSD_PS3_PT2_iSC_SC_.kd
    .uniform_work_group_size: 1
    .uses_dynamic_stack: false
    .vgpr_count:     45
    .vgpr_spill_count: 0
    .wavefront_size: 64
  - .agpr_count:     1
    .args:
      - .actual_access:  read_only
        .address_space:  global
        .offset:         0
        .size:           8
        .value_kind:     global_buffer
      - .actual_access:  read_only
        .address_space:  global
        .offset:         8
        .size:           8
        .value_kind:     global_buffer
      - .actual_access:  read_only
        .address_space:  global
        .offset:         16
        .size:           8
        .value_kind:     global_buffer
      - .offset:         24
        .size:           4
        .value_kind:     by_value
      - .offset:         28
        .size:           4
        .value_kind:     by_value
      - .actual_access:  read_only
        .address_space:  global
        .offset:         32
        .size:           8
        .value_kind:     global_buffer
      - .actual_access:  read_only
        .address_space:  global
        .offset:         40
        .size:           8
        .value_kind:     global_buffer
      - .actual_access:  read_only
        .address_space:  global
        .offset:         48
        .size:           8
        .value_kind:     global_buffer
      - .offset:         56
        .size:           4
        .value_kind:     by_value
      - .actual_access:  read_only
        .address_space:  global
        .offset:         64
        .size:           8
        .value_kind:     global_buffer
      - .offset:         72
        .size:           4
        .value_kind:     by_value
      - .offset:         76
        .size:           4
        .value_kind:     by_value
      - .offset:         80
        .size:           4
        .value_kind:     by_value
      - .actual_access:  read_only
        .address_space:  global
        .offset:         88
        .size:           8
        .value_kind:     global_buffer
      - .actual_access:  read_only
        .address_space:  global
        .offset:         96
        .size:           8
        .value_kind:     global_buffer
      - .actual_access:  read_only
        .address_space:  global
        .offset:         104
        .size:           8
        .value_kind:     global_buffer
      - .actual_access:  read_only
        .address_space:  global
        .offset:         112
        .size:           8
        .value_kind:     global_buffer
      - .offset:         120
        .size:           4
        .value_kind:     by_value
      - .address_space:  global
        .offset:         128
        .size:           8
        .value_kind:     global_buffer
      - .address_space:  global
        .offset:         136
        .size:           8
        .value_kind:     global_buffer
      - .offset:         144
        .size:           4
        .value_kind:     hidden_block_count_x
      - .offset:         148
        .size:           4
        .value_kind:     hidden_block_count_y
      - .offset:         152
        .size:           4
        .value_kind:     hidden_block_count_z
      - .offset:         156
        .size:           2
        .value_kind:     hidden_group_size_x
      - .offset:         158
        .size:           2
        .value_kind:     hidden_group_size_y
      - .offset:         160
        .size:           2
        .value_kind:     hidden_group_size_z
      - .offset:         162
        .size:           2
        .value_kind:     hidden_remainder_x
      - .offset:         164
        .size:           2
        .value_kind:     hidden_remainder_y
      - .offset:         166
        .size:           2
        .value_kind:     hidden_remainder_z
      - .offset:         184
        .size:           8
        .value_kind:     hidden_global_offset_x
      - .offset:         192
        .size:           8
        .value_kind:     hidden_global_offset_y
      - .offset:         200
        .size:           8
        .value_kind:     hidden_global_offset_z
      - .offset:         208
        .size:           2
        .value_kind:     hidden_grid_dims
      - .offset:         224
        .size:           8
        .value_kind:     hidden_hostcall_buffer
    .group_segment_fixed_size: 8192
    .kernarg_segment_align: 8
    .kernarg_segment_size: 400
    .language:       OpenCL C
    .language_version:
      - 2
      - 0
    .max_flat_workgroup_size: 256
    .name:           _Z39paged_attention_ll4mi_QKV_mfma16_kernelIDF16_hLN4vllm18Fp8KVCacheDataTypeE1EDF16_Li16ELi64ELi256ELb0ELi15EL8MFMAType1EEvPKT_PKT0_S8_ifPKiSA_SA_iPKfiiiPfSD_PS3_PT2_iSC_SC_
    .private_segment_fixed_size: 64
    .sgpr_count:     40
    .sgpr_spill_count: 0
    .symbol:         _Z39paged_attention_ll4mi_QKV_mfma16_kernelIDF16_hLN4vllm18Fp8KVCacheDataTypeE1EDF16_Li16ELi64ELi256ELb0ELi15EL8MFMAType1EEvPKT_PKT0_S8_ifPKiSA_SA_iPKfiiiPfSD_PS3_PT2_iSC_SC_.kd
    .uniform_work_group_size: 1
    .uses_dynamic_stack: false
    .vgpr_count:     45
    .vgpr_spill_count: 0
    .wavefront_size: 64
  - .agpr_count:     1
    .args:
      - .actual_access:  read_only
        .address_space:  global
        .offset:         0
        .size:           8
        .value_kind:     global_buffer
      - .actual_access:  read_only
        .address_space:  global
        .offset:         8
        .size:           8
        .value_kind:     global_buffer
      - .actual_access:  read_only
        .address_space:  global
        .offset:         16
        .size:           8
        .value_kind:     global_buffer
      - .offset:         24
        .size:           4
        .value_kind:     by_value
      - .offset:         28
        .size:           4
        .value_kind:     by_value
      - .actual_access:  read_only
        .address_space:  global
        .offset:         32
        .size:           8
        .value_kind:     global_buffer
      - .actual_access:  read_only
        .address_space:  global
        .offset:         40
        .size:           8
        .value_kind:     global_buffer
      - .actual_access:  read_only
        .address_space:  global
        .offset:         48
        .size:           8
        .value_kind:     global_buffer
      - .offset:         56
        .size:           4
        .value_kind:     by_value
      - .actual_access:  read_only
        .address_space:  global
        .offset:         64
        .size:           8
        .value_kind:     global_buffer
      - .offset:         72
        .size:           4
        .value_kind:     by_value
      - .offset:         76
        .size:           4
        .value_kind:     by_value
      - .offset:         80
        .size:           4
        .value_kind:     by_value
      - .actual_access:  read_only
        .address_space:  global
        .offset:         88
        .size:           8
        .value_kind:     global_buffer
      - .actual_access:  read_only
        .address_space:  global
        .offset:         96
        .size:           8
        .value_kind:     global_buffer
      - .actual_access:  read_only
        .address_space:  global
        .offset:         104
        .size:           8
        .value_kind:     global_buffer
      - .actual_access:  read_only
        .address_space:  global
        .offset:         112
        .size:           8
        .value_kind:     global_buffer
      - .offset:         120
        .size:           4
        .value_kind:     by_value
      - .address_space:  global
        .offset:         128
        .size:           8
        .value_kind:     global_buffer
      - .address_space:  global
        .offset:         136
        .size:           8
        .value_kind:     global_buffer
      - .offset:         144
        .size:           4
        .value_kind:     hidden_block_count_x
      - .offset:         148
        .size:           4
        .value_kind:     hidden_block_count_y
      - .offset:         152
        .size:           4
        .value_kind:     hidden_block_count_z
      - .offset:         156
        .size:           2
        .value_kind:     hidden_group_size_x
      - .offset:         158
        .size:           2
        .value_kind:     hidden_group_size_y
      - .offset:         160
        .size:           2
        .value_kind:     hidden_group_size_z
      - .offset:         162
        .size:           2
        .value_kind:     hidden_remainder_x
      - .offset:         164
        .size:           2
        .value_kind:     hidden_remainder_y
      - .offset:         166
        .size:           2
        .value_kind:     hidden_remainder_z
      - .offset:         184
        .size:           8
        .value_kind:     hidden_global_offset_x
      - .offset:         192
        .size:           8
        .value_kind:     hidden_global_offset_y
      - .offset:         200
        .size:           8
        .value_kind:     hidden_global_offset_z
      - .offset:         208
        .size:           2
        .value_kind:     hidden_grid_dims
      - .offset:         224
        .size:           8
        .value_kind:     hidden_hostcall_buffer
    .group_segment_fixed_size: 8192
    .kernarg_segment_align: 8
    .kernarg_segment_size: 400
    .language:       OpenCL C
    .language_version:
      - 2
      - 0
    .max_flat_workgroup_size: 256
    .name:           _Z39paged_attention_ll4mi_QKV_mfma16_kernelIDF16_hLN4vllm18Fp8KVCacheDataTypeE1EDF16_Li16ELi64ELi256ELb0ELi16EL8MFMAType1EEvPKT_PKT0_S8_ifPKiSA_SA_iPKfiiiPfSD_PS3_PT2_iSC_SC_
    .private_segment_fixed_size: 64
    .sgpr_count:     40
    .sgpr_spill_count: 0
    .symbol:         _Z39paged_attention_ll4mi_QKV_mfma16_kernelIDF16_hLN4vllm18Fp8KVCacheDataTypeE1EDF16_Li16ELi64ELi256ELb0ELi16EL8MFMAType1EEvPKT_PKT0_S8_ifPKiSA_SA_iPKfiiiPfSD_PS3_PT2_iSC_SC_.kd
    .uniform_work_group_size: 1
    .uses_dynamic_stack: false
    .vgpr_count:     45
    .vgpr_spill_count: 0
    .wavefront_size: 64
  - .agpr_count:     1
    .args:
      - .actual_access:  read_only
        .address_space:  global
        .offset:         0
        .size:           8
        .value_kind:     global_buffer
      - .actual_access:  read_only
        .address_space:  global
        .offset:         8
        .size:           8
        .value_kind:     global_buffer
      - .actual_access:  read_only
        .address_space:  global
        .offset:         16
        .size:           8
        .value_kind:     global_buffer
      - .offset:         24
        .size:           4
        .value_kind:     by_value
      - .offset:         28
        .size:           4
        .value_kind:     by_value
      - .actual_access:  read_only
        .address_space:  global
        .offset:         32
        .size:           8
        .value_kind:     global_buffer
      - .actual_access:  read_only
        .address_space:  global
        .offset:         40
        .size:           8
        .value_kind:     global_buffer
      - .actual_access:  read_only
        .address_space:  global
        .offset:         48
        .size:           8
        .value_kind:     global_buffer
      - .offset:         56
        .size:           4
        .value_kind:     by_value
      - .actual_access:  read_only
        .address_space:  global
        .offset:         64
        .size:           8
        .value_kind:     global_buffer
      - .offset:         72
        .size:           4
        .value_kind:     by_value
      - .offset:         76
        .size:           4
        .value_kind:     by_value
      - .offset:         80
        .size:           4
        .value_kind:     by_value
      - .actual_access:  read_only
        .address_space:  global
        .offset:         88
        .size:           8
        .value_kind:     global_buffer
      - .actual_access:  read_only
        .address_space:  global
        .offset:         96
        .size:           8
        .value_kind:     global_buffer
      - .actual_access:  read_only
        .address_space:  global
        .offset:         104
        .size:           8
        .value_kind:     global_buffer
      - .actual_access:  read_only
        .address_space:  global
        .offset:         112
        .size:           8
        .value_kind:     global_buffer
      - .offset:         120
        .size:           4
        .value_kind:     by_value
      - .address_space:  global
        .offset:         128
        .size:           8
        .value_kind:     global_buffer
      - .address_space:  global
        .offset:         136
        .size:           8
        .value_kind:     global_buffer
      - .offset:         144
        .size:           4
        .value_kind:     hidden_block_count_x
      - .offset:         148
        .size:           4
        .value_kind:     hidden_block_count_y
      - .offset:         152
        .size:           4
        .value_kind:     hidden_block_count_z
      - .offset:         156
        .size:           2
        .value_kind:     hidden_group_size_x
      - .offset:         158
        .size:           2
        .value_kind:     hidden_group_size_y
      - .offset:         160
        .size:           2
        .value_kind:     hidden_group_size_z
      - .offset:         162
        .size:           2
        .value_kind:     hidden_remainder_x
      - .offset:         164
        .size:           2
        .value_kind:     hidden_remainder_y
      - .offset:         166
        .size:           2
        .value_kind:     hidden_remainder_z
      - .offset:         184
        .size:           8
        .value_kind:     hidden_global_offset_x
      - .offset:         192
        .size:           8
        .value_kind:     hidden_global_offset_y
      - .offset:         200
        .size:           8
        .value_kind:     hidden_global_offset_z
      - .offset:         208
        .size:           2
        .value_kind:     hidden_grid_dims
      - .offset:         224
        .size:           8
        .value_kind:     hidden_hostcall_buffer
    .group_segment_fixed_size: 8192
    .kernarg_segment_align: 8
    .kernarg_segment_size: 400
    .language:       OpenCL C
    .language_version:
      - 2
      - 0
    .max_flat_workgroup_size: 256
    .name:           _Z39paged_attention_ll4mi_QKV_mfma16_kernelIDF16_hLN4vllm18Fp8KVCacheDataTypeE1EDF16_Li16ELi64ELi256ELb0ELi1EL8MFMAType1EEvPKT_PKT0_S8_ifPKiSA_SA_iPKfiiiPfSD_PS3_PT2_iSC_SC_
    .private_segment_fixed_size: 64
    .sgpr_count:     40
    .sgpr_spill_count: 0
    .symbol:         _Z39paged_attention_ll4mi_QKV_mfma16_kernelIDF16_hLN4vllm18Fp8KVCacheDataTypeE1EDF16_Li16ELi64ELi256ELb0ELi1EL8MFMAType1EEvPKT_PKT0_S8_ifPKiSA_SA_iPKfiiiPfSD_PS3_PT2_iSC_SC_.kd
    .uniform_work_group_size: 1
    .uses_dynamic_stack: false
    .vgpr_count:     45
    .vgpr_spill_count: 0
    .wavefront_size: 64
  - .agpr_count:     1
    .args:
      - .actual_access:  read_only
        .address_space:  global
        .offset:         0
        .size:           8
        .value_kind:     global_buffer
      - .actual_access:  read_only
        .address_space:  global
        .offset:         8
        .size:           8
        .value_kind:     global_buffer
      - .actual_access:  read_only
        .address_space:  global
        .offset:         16
        .size:           8
        .value_kind:     global_buffer
      - .offset:         24
        .size:           4
        .value_kind:     by_value
      - .offset:         28
        .size:           4
        .value_kind:     by_value
      - .actual_access:  read_only
        .address_space:  global
        .offset:         32
        .size:           8
        .value_kind:     global_buffer
      - .actual_access:  read_only
        .address_space:  global
        .offset:         40
        .size:           8
        .value_kind:     global_buffer
      - .actual_access:  read_only
        .address_space:  global
        .offset:         48
        .size:           8
        .value_kind:     global_buffer
      - .offset:         56
        .size:           4
        .value_kind:     by_value
      - .actual_access:  read_only
        .address_space:  global
        .offset:         64
        .size:           8
        .value_kind:     global_buffer
      - .offset:         72
        .size:           4
        .value_kind:     by_value
      - .offset:         76
        .size:           4
        .value_kind:     by_value
      - .offset:         80
        .size:           4
        .value_kind:     by_value
      - .actual_access:  read_only
        .address_space:  global
        .offset:         88
        .size:           8
        .value_kind:     global_buffer
      - .actual_access:  read_only
        .address_space:  global
        .offset:         96
        .size:           8
        .value_kind:     global_buffer
      - .actual_access:  read_only
        .address_space:  global
        .offset:         104
        .size:           8
        .value_kind:     global_buffer
      - .actual_access:  read_only
        .address_space:  global
        .offset:         112
        .size:           8
        .value_kind:     global_buffer
      - .offset:         120
        .size:           4
        .value_kind:     by_value
      - .address_space:  global
        .offset:         128
        .size:           8
        .value_kind:     global_buffer
      - .address_space:  global
        .offset:         136
        .size:           8
        .value_kind:     global_buffer
      - .offset:         144
        .size:           4
        .value_kind:     hidden_block_count_x
      - .offset:         148
        .size:           4
        .value_kind:     hidden_block_count_y
      - .offset:         152
        .size:           4
        .value_kind:     hidden_block_count_z
      - .offset:         156
        .size:           2
        .value_kind:     hidden_group_size_x
      - .offset:         158
        .size:           2
        .value_kind:     hidden_group_size_y
      - .offset:         160
        .size:           2
        .value_kind:     hidden_group_size_z
      - .offset:         162
        .size:           2
        .value_kind:     hidden_remainder_x
      - .offset:         164
        .size:           2
        .value_kind:     hidden_remainder_y
      - .offset:         166
        .size:           2
        .value_kind:     hidden_remainder_z
      - .offset:         184
        .size:           8
        .value_kind:     hidden_global_offset_x
      - .offset:         192
        .size:           8
        .value_kind:     hidden_global_offset_y
      - .offset:         200
        .size:           8
        .value_kind:     hidden_global_offset_z
      - .offset:         208
        .size:           2
        .value_kind:     hidden_grid_dims
      - .offset:         224
        .size:           8
        .value_kind:     hidden_hostcall_buffer
    .group_segment_fixed_size: 8192
    .kernarg_segment_align: 8
    .kernarg_segment_size: 400
    .language:       OpenCL C
    .language_version:
      - 2
      - 0
    .max_flat_workgroup_size: 256
    .name:           _Z39paged_attention_ll4mi_QKV_mfma16_kernelIDF16_hLN4vllm18Fp8KVCacheDataTypeE1EDF16_Li16ELi64ELi256ELb0ELi2EL8MFMAType1EEvPKT_PKT0_S8_ifPKiSA_SA_iPKfiiiPfSD_PS3_PT2_iSC_SC_
    .private_segment_fixed_size: 64
    .sgpr_count:     40
    .sgpr_spill_count: 0
    .symbol:         _Z39paged_attention_ll4mi_QKV_mfma16_kernelIDF16_hLN4vllm18Fp8KVCacheDataTypeE1EDF16_Li16ELi64ELi256ELb0ELi2EL8MFMAType1EEvPKT_PKT0_S8_ifPKiSA_SA_iPKfiiiPfSD_PS3_PT2_iSC_SC_.kd
    .uniform_work_group_size: 1
    .uses_dynamic_stack: false
    .vgpr_count:     45
    .vgpr_spill_count: 0
    .wavefront_size: 64
  - .agpr_count:     1
    .args:
      - .actual_access:  read_only
        .address_space:  global
        .offset:         0
        .size:           8
        .value_kind:     global_buffer
      - .actual_access:  read_only
        .address_space:  global
        .offset:         8
        .size:           8
        .value_kind:     global_buffer
      - .actual_access:  read_only
        .address_space:  global
        .offset:         16
        .size:           8
        .value_kind:     global_buffer
      - .offset:         24
        .size:           4
        .value_kind:     by_value
      - .offset:         28
        .size:           4
        .value_kind:     by_value
      - .actual_access:  read_only
        .address_space:  global
        .offset:         32
        .size:           8
        .value_kind:     global_buffer
      - .actual_access:  read_only
        .address_space:  global
        .offset:         40
        .size:           8
        .value_kind:     global_buffer
      - .actual_access:  read_only
        .address_space:  global
        .offset:         48
        .size:           8
        .value_kind:     global_buffer
      - .offset:         56
        .size:           4
        .value_kind:     by_value
      - .actual_access:  read_only
        .address_space:  global
        .offset:         64
        .size:           8
        .value_kind:     global_buffer
      - .offset:         72
        .size:           4
        .value_kind:     by_value
      - .offset:         76
        .size:           4
        .value_kind:     by_value
      - .offset:         80
        .size:           4
        .value_kind:     by_value
      - .actual_access:  read_only
        .address_space:  global
        .offset:         88
        .size:           8
        .value_kind:     global_buffer
      - .actual_access:  read_only
        .address_space:  global
        .offset:         96
        .size:           8
        .value_kind:     global_buffer
      - .actual_access:  read_only
        .address_space:  global
        .offset:         104
        .size:           8
        .value_kind:     global_buffer
      - .actual_access:  read_only
        .address_space:  global
        .offset:         112
        .size:           8
        .value_kind:     global_buffer
      - .offset:         120
        .size:           4
        .value_kind:     by_value
      - .address_space:  global
        .offset:         128
        .size:           8
        .value_kind:     global_buffer
      - .address_space:  global
        .offset:         136
        .size:           8
        .value_kind:     global_buffer
      - .offset:         144
        .size:           4
        .value_kind:     hidden_block_count_x
      - .offset:         148
        .size:           4
        .value_kind:     hidden_block_count_y
      - .offset:         152
        .size:           4
        .value_kind:     hidden_block_count_z
      - .offset:         156
        .size:           2
        .value_kind:     hidden_group_size_x
      - .offset:         158
        .size:           2
        .value_kind:     hidden_group_size_y
      - .offset:         160
        .size:           2
        .value_kind:     hidden_group_size_z
      - .offset:         162
        .size:           2
        .value_kind:     hidden_remainder_x
      - .offset:         164
        .size:           2
        .value_kind:     hidden_remainder_y
      - .offset:         166
        .size:           2
        .value_kind:     hidden_remainder_z
      - .offset:         184
        .size:           8
        .value_kind:     hidden_global_offset_x
      - .offset:         192
        .size:           8
        .value_kind:     hidden_global_offset_y
      - .offset:         200
        .size:           8
        .value_kind:     hidden_global_offset_z
      - .offset:         208
        .size:           2
        .value_kind:     hidden_grid_dims
      - .offset:         224
        .size:           8
        .value_kind:     hidden_hostcall_buffer
    .group_segment_fixed_size: 8192
    .kernarg_segment_align: 8
    .kernarg_segment_size: 400
    .language:       OpenCL C
    .language_version:
      - 2
      - 0
    .max_flat_workgroup_size: 256
    .name:           _Z39paged_attention_ll4mi_QKV_mfma16_kernelIDF16_hLN4vllm18Fp8KVCacheDataTypeE1EDF16_Li16ELi64ELi256ELb0ELi3EL8MFMAType1EEvPKT_PKT0_S8_ifPKiSA_SA_iPKfiiiPfSD_PS3_PT2_iSC_SC_
    .private_segment_fixed_size: 64
    .sgpr_count:     40
    .sgpr_spill_count: 0
    .symbol:         _Z39paged_attention_ll4mi_QKV_mfma16_kernelIDF16_hLN4vllm18Fp8KVCacheDataTypeE1EDF16_Li16ELi64ELi256ELb0ELi3EL8MFMAType1EEvPKT_PKT0_S8_ifPKiSA_SA_iPKfiiiPfSD_PS3_PT2_iSC_SC_.kd
    .uniform_work_group_size: 1
    .uses_dynamic_stack: false
    .vgpr_count:     45
    .vgpr_spill_count: 0
    .wavefront_size: 64
  - .agpr_count:     1
    .args:
      - .actual_access:  read_only
        .address_space:  global
        .offset:         0
        .size:           8
        .value_kind:     global_buffer
      - .actual_access:  read_only
        .address_space:  global
        .offset:         8
        .size:           8
        .value_kind:     global_buffer
      - .actual_access:  read_only
        .address_space:  global
        .offset:         16
        .size:           8
        .value_kind:     global_buffer
      - .offset:         24
        .size:           4
        .value_kind:     by_value
      - .offset:         28
        .size:           4
        .value_kind:     by_value
      - .actual_access:  read_only
        .address_space:  global
        .offset:         32
        .size:           8
        .value_kind:     global_buffer
      - .actual_access:  read_only
        .address_space:  global
        .offset:         40
        .size:           8
        .value_kind:     global_buffer
      - .actual_access:  read_only
        .address_space:  global
        .offset:         48
        .size:           8
        .value_kind:     global_buffer
      - .offset:         56
        .size:           4
        .value_kind:     by_value
      - .actual_access:  read_only
        .address_space:  global
        .offset:         64
        .size:           8
        .value_kind:     global_buffer
      - .offset:         72
        .size:           4
        .value_kind:     by_value
      - .offset:         76
        .size:           4
        .value_kind:     by_value
      - .offset:         80
        .size:           4
        .value_kind:     by_value
      - .actual_access:  read_only
        .address_space:  global
        .offset:         88
        .size:           8
        .value_kind:     global_buffer
      - .actual_access:  read_only
        .address_space:  global
        .offset:         96
        .size:           8
        .value_kind:     global_buffer
      - .actual_access:  read_only
        .address_space:  global
        .offset:         104
        .size:           8
        .value_kind:     global_buffer
      - .actual_access:  read_only
        .address_space:  global
        .offset:         112
        .size:           8
        .value_kind:     global_buffer
      - .offset:         120
        .size:           4
        .value_kind:     by_value
      - .address_space:  global
        .offset:         128
        .size:           8
        .value_kind:     global_buffer
      - .address_space:  global
        .offset:         136
        .size:           8
        .value_kind:     global_buffer
      - .offset:         144
        .size:           4
        .value_kind:     hidden_block_count_x
      - .offset:         148
        .size:           4
        .value_kind:     hidden_block_count_y
      - .offset:         152
        .size:           4
        .value_kind:     hidden_block_count_z
      - .offset:         156
        .size:           2
        .value_kind:     hidden_group_size_x
      - .offset:         158
        .size:           2
        .value_kind:     hidden_group_size_y
      - .offset:         160
        .size:           2
        .value_kind:     hidden_group_size_z
      - .offset:         162
        .size:           2
        .value_kind:     hidden_remainder_x
      - .offset:         164
        .size:           2
        .value_kind:     hidden_remainder_y
      - .offset:         166
        .size:           2
        .value_kind:     hidden_remainder_z
      - .offset:         184
        .size:           8
        .value_kind:     hidden_global_offset_x
      - .offset:         192
        .size:           8
        .value_kind:     hidden_global_offset_y
      - .offset:         200
        .size:           8
        .value_kind:     hidden_global_offset_z
      - .offset:         208
        .size:           2
        .value_kind:     hidden_grid_dims
      - .offset:         224
        .size:           8
        .value_kind:     hidden_hostcall_buffer
    .group_segment_fixed_size: 8192
    .kernarg_segment_align: 8
    .kernarg_segment_size: 400
    .language:       OpenCL C
    .language_version:
      - 2
      - 0
    .max_flat_workgroup_size: 256
    .name:           _Z39paged_attention_ll4mi_QKV_mfma16_kernelIDF16_hLN4vllm18Fp8KVCacheDataTypeE1EDF16_Li16ELi64ELi256ELb0ELi4EL8MFMAType1EEvPKT_PKT0_S8_ifPKiSA_SA_iPKfiiiPfSD_PS3_PT2_iSC_SC_
    .private_segment_fixed_size: 64
    .sgpr_count:     40
    .sgpr_spill_count: 0
    .symbol:         _Z39paged_attention_ll4mi_QKV_mfma16_kernelIDF16_hLN4vllm18Fp8KVCacheDataTypeE1EDF16_Li16ELi64ELi256ELb0ELi4EL8MFMAType1EEvPKT_PKT0_S8_ifPKiSA_SA_iPKfiiiPfSD_PS3_PT2_iSC_SC_.kd
    .uniform_work_group_size: 1
    .uses_dynamic_stack: false
    .vgpr_count:     45
    .vgpr_spill_count: 0
    .wavefront_size: 64
  - .agpr_count:     4
    .args:
      - .actual_access:  read_only
        .address_space:  global
        .offset:         0
        .size:           8
        .value_kind:     global_buffer
      - .actual_access:  read_only
        .address_space:  global
        .offset:         8
        .size:           8
        .value_kind:     global_buffer
      - .actual_access:  read_only
        .address_space:  global
        .offset:         16
        .size:           8
        .value_kind:     global_buffer
      - .offset:         24
        .size:           4
        .value_kind:     by_value
      - .offset:         28
        .size:           4
        .value_kind:     by_value
      - .actual_access:  read_only
        .address_space:  global
        .offset:         32
        .size:           8
        .value_kind:     global_buffer
      - .actual_access:  read_only
        .address_space:  global
        .offset:         40
        .size:           8
        .value_kind:     global_buffer
      - .actual_access:  read_only
        .address_space:  global
        .offset:         48
        .size:           8
        .value_kind:     global_buffer
      - .offset:         56
        .size:           4
        .value_kind:     by_value
      - .actual_access:  read_only
        .address_space:  global
        .offset:         64
        .size:           8
        .value_kind:     global_buffer
      - .offset:         72
        .size:           4
        .value_kind:     by_value
      - .offset:         76
        .size:           4
        .value_kind:     by_value
      - .offset:         80
        .size:           4
        .value_kind:     by_value
      - .actual_access:  write_only
        .address_space:  global
        .offset:         88
        .size:           8
        .value_kind:     global_buffer
      - .actual_access:  write_only
        .address_space:  global
        .offset:         96
        .size:           8
        .value_kind:     global_buffer
      - .actual_access:  write_only
        .address_space:  global
        .offset:         104
        .size:           8
        .value_kind:     global_buffer
      - .actual_access:  read_only
        .address_space:  global
        .offset:         112
        .size:           8
        .value_kind:     global_buffer
      - .offset:         120
        .size:           4
        .value_kind:     by_value
      - .address_space:  global
        .offset:         128
        .size:           8
        .value_kind:     global_buffer
      - .address_space:  global
        .offset:         136
        .size:           8
        .value_kind:     global_buffer
      - .offset:         144
        .size:           4
        .value_kind:     hidden_block_count_x
      - .offset:         148
        .size:           4
        .value_kind:     hidden_block_count_y
      - .offset:         152
        .size:           4
        .value_kind:     hidden_block_count_z
      - .offset:         156
        .size:           2
        .value_kind:     hidden_group_size_x
      - .offset:         158
        .size:           2
        .value_kind:     hidden_group_size_y
      - .offset:         160
        .size:           2
        .value_kind:     hidden_group_size_z
      - .offset:         162
        .size:           2
        .value_kind:     hidden_remainder_x
      - .offset:         164
        .size:           2
        .value_kind:     hidden_remainder_y
      - .offset:         166
        .size:           2
        .value_kind:     hidden_remainder_z
      - .offset:         184
        .size:           8
        .value_kind:     hidden_global_offset_x
      - .offset:         192
        .size:           8
        .value_kind:     hidden_global_offset_y
      - .offset:         200
        .size:           8
        .value_kind:     hidden_global_offset_z
      - .offset:         208
        .size:           2
        .value_kind:     hidden_grid_dims
    .group_segment_fixed_size: 2720
    .kernarg_segment_align: 8
    .kernarg_segment_size: 400
    .language:       OpenCL C
    .language_version:
      - 2
      - 0
    .max_flat_workgroup_size: 256
    .name:           _Z38paged_attention_ll4mi_QKV_mfma4_kernelIDF16_hLN4vllm18Fp8KVCacheDataTypeE1EDF16_Li32ELi64ELi256ELb1ELi1EEvPKT_PKT0_S7_ifPKiS9_S9_iPKfiiiPfSC_PS2_PT2_iSB_SB_
    .private_segment_fixed_size: 0
    .sgpr_count:     46
    .sgpr_spill_count: 0
    .symbol:         _Z38paged_attention_ll4mi_QKV_mfma4_kernelIDF16_hLN4vllm18Fp8KVCacheDataTypeE1EDF16_Li32ELi64ELi256ELb1ELi1EEvPKT_PKT0_S7_ifPKiS9_S9_iPKfiiiPfSC_PS2_PT2_iSB_SB_.kd
    .uniform_work_group_size: 1
    .uses_dynamic_stack: false
    .vgpr_count:     60
    .vgpr_spill_count: 0
    .wavefront_size: 64
  - .agpr_count:     4
    .args:
      - .actual_access:  read_only
        .address_space:  global
        .offset:         0
        .size:           8
        .value_kind:     global_buffer
      - .actual_access:  read_only
        .address_space:  global
        .offset:         8
        .size:           8
        .value_kind:     global_buffer
      - .actual_access:  read_only
        .address_space:  global
        .offset:         16
        .size:           8
        .value_kind:     global_buffer
      - .offset:         24
        .size:           4
        .value_kind:     by_value
      - .offset:         28
        .size:           4
        .value_kind:     by_value
      - .actual_access:  read_only
        .address_space:  global
        .offset:         32
        .size:           8
        .value_kind:     global_buffer
      - .actual_access:  read_only
        .address_space:  global
        .offset:         40
        .size:           8
        .value_kind:     global_buffer
      - .actual_access:  read_only
        .address_space:  global
        .offset:         48
        .size:           8
        .value_kind:     global_buffer
      - .offset:         56
        .size:           4
        .value_kind:     by_value
      - .actual_access:  read_only
        .address_space:  global
        .offset:         64
        .size:           8
        .value_kind:     global_buffer
      - .offset:         72
        .size:           4
        .value_kind:     by_value
      - .offset:         76
        .size:           4
        .value_kind:     by_value
      - .offset:         80
        .size:           4
        .value_kind:     by_value
      - .actual_access:  write_only
        .address_space:  global
        .offset:         88
        .size:           8
        .value_kind:     global_buffer
      - .actual_access:  write_only
        .address_space:  global
        .offset:         96
        .size:           8
        .value_kind:     global_buffer
      - .actual_access:  write_only
        .address_space:  global
        .offset:         104
        .size:           8
        .value_kind:     global_buffer
      - .actual_access:  read_only
        .address_space:  global
        .offset:         112
        .size:           8
        .value_kind:     global_buffer
      - .offset:         120
        .size:           4
        .value_kind:     by_value
      - .address_space:  global
        .offset:         128
        .size:           8
        .value_kind:     global_buffer
      - .address_space:  global
        .offset:         136
        .size:           8
        .value_kind:     global_buffer
      - .offset:         144
        .size:           4
        .value_kind:     hidden_block_count_x
      - .offset:         148
        .size:           4
        .value_kind:     hidden_block_count_y
      - .offset:         152
        .size:           4
        .value_kind:     hidden_block_count_z
      - .offset:         156
        .size:           2
        .value_kind:     hidden_group_size_x
      - .offset:         158
        .size:           2
        .value_kind:     hidden_group_size_y
      - .offset:         160
        .size:           2
        .value_kind:     hidden_group_size_z
      - .offset:         162
        .size:           2
        .value_kind:     hidden_remainder_x
      - .offset:         164
        .size:           2
        .value_kind:     hidden_remainder_y
      - .offset:         166
        .size:           2
        .value_kind:     hidden_remainder_z
      - .offset:         184
        .size:           8
        .value_kind:     hidden_global_offset_x
      - .offset:         192
        .size:           8
        .value_kind:     hidden_global_offset_y
      - .offset:         200
        .size:           8
        .value_kind:     hidden_global_offset_z
      - .offset:         208
        .size:           2
        .value_kind:     hidden_grid_dims
    .group_segment_fixed_size: 2720
    .kernarg_segment_align: 8
    .kernarg_segment_size: 400
    .language:       OpenCL C
    .language_version:
      - 2
      - 0
    .max_flat_workgroup_size: 256
    .name:           _Z38paged_attention_ll4mi_QKV_mfma4_kernelIDF16_hLN4vllm18Fp8KVCacheDataTypeE1EDF16_Li32ELi64ELi256ELb1ELi2EEvPKT_PKT0_S7_ifPKiS9_S9_iPKfiiiPfSC_PS2_PT2_iSB_SB_
    .private_segment_fixed_size: 0
    .sgpr_count:     48
    .sgpr_spill_count: 0
    .symbol:         _Z38paged_attention_ll4mi_QKV_mfma4_kernelIDF16_hLN4vllm18Fp8KVCacheDataTypeE1EDF16_Li32ELi64ELi256ELb1ELi2EEvPKT_PKT0_S7_ifPKiS9_S9_iPKfiiiPfSC_PS2_PT2_iSB_SB_.kd
    .uniform_work_group_size: 1
    .uses_dynamic_stack: false
    .vgpr_count:     60
    .vgpr_spill_count: 0
    .wavefront_size: 64
  - .agpr_count:     4
    .args:
      - .actual_access:  read_only
        .address_space:  global
        .offset:         0
        .size:           8
        .value_kind:     global_buffer
      - .actual_access:  read_only
        .address_space:  global
        .offset:         8
        .size:           8
        .value_kind:     global_buffer
      - .actual_access:  read_only
        .address_space:  global
        .offset:         16
        .size:           8
        .value_kind:     global_buffer
      - .offset:         24
        .size:           4
        .value_kind:     by_value
      - .offset:         28
        .size:           4
        .value_kind:     by_value
      - .actual_access:  read_only
        .address_space:  global
        .offset:         32
        .size:           8
        .value_kind:     global_buffer
      - .actual_access:  read_only
        .address_space:  global
        .offset:         40
        .size:           8
        .value_kind:     global_buffer
      - .actual_access:  read_only
        .address_space:  global
        .offset:         48
        .size:           8
        .value_kind:     global_buffer
      - .offset:         56
        .size:           4
        .value_kind:     by_value
      - .actual_access:  read_only
        .address_space:  global
        .offset:         64
        .size:           8
        .value_kind:     global_buffer
      - .offset:         72
        .size:           4
        .value_kind:     by_value
      - .offset:         76
        .size:           4
        .value_kind:     by_value
      - .offset:         80
        .size:           4
        .value_kind:     by_value
      - .actual_access:  write_only
        .address_space:  global
        .offset:         88
        .size:           8
        .value_kind:     global_buffer
      - .actual_access:  write_only
        .address_space:  global
        .offset:         96
        .size:           8
        .value_kind:     global_buffer
      - .actual_access:  write_only
        .address_space:  global
        .offset:         104
        .size:           8
        .value_kind:     global_buffer
      - .actual_access:  read_only
        .address_space:  global
        .offset:         112
        .size:           8
        .value_kind:     global_buffer
      - .offset:         120
        .size:           4
        .value_kind:     by_value
      - .address_space:  global
        .offset:         128
        .size:           8
        .value_kind:     global_buffer
      - .address_space:  global
        .offset:         136
        .size:           8
        .value_kind:     global_buffer
      - .offset:         144
        .size:           4
        .value_kind:     hidden_block_count_x
      - .offset:         148
        .size:           4
        .value_kind:     hidden_block_count_y
      - .offset:         152
        .size:           4
        .value_kind:     hidden_block_count_z
      - .offset:         156
        .size:           2
        .value_kind:     hidden_group_size_x
      - .offset:         158
        .size:           2
        .value_kind:     hidden_group_size_y
      - .offset:         160
        .size:           2
        .value_kind:     hidden_group_size_z
      - .offset:         162
        .size:           2
        .value_kind:     hidden_remainder_x
      - .offset:         164
        .size:           2
        .value_kind:     hidden_remainder_y
      - .offset:         166
        .size:           2
        .value_kind:     hidden_remainder_z
      - .offset:         184
        .size:           8
        .value_kind:     hidden_global_offset_x
      - .offset:         192
        .size:           8
        .value_kind:     hidden_global_offset_y
      - .offset:         200
        .size:           8
        .value_kind:     hidden_global_offset_z
      - .offset:         208
        .size:           2
        .value_kind:     hidden_grid_dims
    .group_segment_fixed_size: 2720
    .kernarg_segment_align: 8
    .kernarg_segment_size: 400
    .language:       OpenCL C
    .language_version:
      - 2
      - 0
    .max_flat_workgroup_size: 256
    .name:           _Z38paged_attention_ll4mi_QKV_mfma4_kernelIDF16_hLN4vllm18Fp8KVCacheDataTypeE1EDF16_Li32ELi64ELi256ELb1ELi3EEvPKT_PKT0_S7_ifPKiS9_S9_iPKfiiiPfSC_PS2_PT2_iSB_SB_
    .private_segment_fixed_size: 0
    .sgpr_count:     50
    .sgpr_spill_count: 0
    .symbol:         _Z38paged_attention_ll4mi_QKV_mfma4_kernelIDF16_hLN4vllm18Fp8KVCacheDataTypeE1EDF16_Li32ELi64ELi256ELb1ELi3EEvPKT_PKT0_S7_ifPKiS9_S9_iPKfiiiPfSC_PS2_PT2_iSB_SB_.kd
    .uniform_work_group_size: 1
    .uses_dynamic_stack: false
    .vgpr_count:     60
    .vgpr_spill_count: 0
    .wavefront_size: 64
  - .agpr_count:     4
    .args:
      - .actual_access:  read_only
        .address_space:  global
        .offset:         0
        .size:           8
        .value_kind:     global_buffer
      - .actual_access:  read_only
        .address_space:  global
        .offset:         8
        .size:           8
        .value_kind:     global_buffer
      - .actual_access:  read_only
        .address_space:  global
        .offset:         16
        .size:           8
        .value_kind:     global_buffer
      - .offset:         24
        .size:           4
        .value_kind:     by_value
      - .offset:         28
        .size:           4
        .value_kind:     by_value
      - .actual_access:  read_only
        .address_space:  global
        .offset:         32
        .size:           8
        .value_kind:     global_buffer
      - .actual_access:  read_only
        .address_space:  global
        .offset:         40
        .size:           8
        .value_kind:     global_buffer
      - .actual_access:  read_only
        .address_space:  global
        .offset:         48
        .size:           8
        .value_kind:     global_buffer
      - .offset:         56
        .size:           4
        .value_kind:     by_value
      - .actual_access:  read_only
        .address_space:  global
        .offset:         64
        .size:           8
        .value_kind:     global_buffer
      - .offset:         72
        .size:           4
        .value_kind:     by_value
      - .offset:         76
        .size:           4
        .value_kind:     by_value
      - .offset:         80
        .size:           4
        .value_kind:     by_value
      - .actual_access:  write_only
        .address_space:  global
        .offset:         88
        .size:           8
        .value_kind:     global_buffer
      - .actual_access:  write_only
        .address_space:  global
        .offset:         96
        .size:           8
        .value_kind:     global_buffer
      - .actual_access:  write_only
        .address_space:  global
        .offset:         104
        .size:           8
        .value_kind:     global_buffer
      - .actual_access:  read_only
        .address_space:  global
        .offset:         112
        .size:           8
        .value_kind:     global_buffer
      - .offset:         120
        .size:           4
        .value_kind:     by_value
      - .address_space:  global
        .offset:         128
        .size:           8
        .value_kind:     global_buffer
      - .address_space:  global
        .offset:         136
        .size:           8
        .value_kind:     global_buffer
      - .offset:         144
        .size:           4
        .value_kind:     hidden_block_count_x
      - .offset:         148
        .size:           4
        .value_kind:     hidden_block_count_y
      - .offset:         152
        .size:           4
        .value_kind:     hidden_block_count_z
      - .offset:         156
        .size:           2
        .value_kind:     hidden_group_size_x
      - .offset:         158
        .size:           2
        .value_kind:     hidden_group_size_y
      - .offset:         160
        .size:           2
        .value_kind:     hidden_group_size_z
      - .offset:         162
        .size:           2
        .value_kind:     hidden_remainder_x
      - .offset:         164
        .size:           2
        .value_kind:     hidden_remainder_y
      - .offset:         166
        .size:           2
        .value_kind:     hidden_remainder_z
      - .offset:         184
        .size:           8
        .value_kind:     hidden_global_offset_x
      - .offset:         192
        .size:           8
        .value_kind:     hidden_global_offset_y
      - .offset:         200
        .size:           8
        .value_kind:     hidden_global_offset_z
      - .offset:         208
        .size:           2
        .value_kind:     hidden_grid_dims
    .group_segment_fixed_size: 2720
    .kernarg_segment_align: 8
    .kernarg_segment_size: 400
    .language:       OpenCL C
    .language_version:
      - 2
      - 0
    .max_flat_workgroup_size: 256
    .name:           _Z38paged_attention_ll4mi_QKV_mfma4_kernelIDF16_hLN4vllm18Fp8KVCacheDataTypeE1EDF16_Li32ELi64ELi256ELb1ELi4EEvPKT_PKT0_S7_ifPKiS9_S9_iPKfiiiPfSC_PS2_PT2_iSB_SB_
    .private_segment_fixed_size: 0
    .sgpr_count:     49
    .sgpr_spill_count: 0
    .symbol:         _Z38paged_attention_ll4mi_QKV_mfma4_kernelIDF16_hLN4vllm18Fp8KVCacheDataTypeE1EDF16_Li32ELi64ELi256ELb1ELi4EEvPKT_PKT0_S7_ifPKiS9_S9_iPKfiiiPfSC_PS2_PT2_iSB_SB_.kd
    .uniform_work_group_size: 1
    .uses_dynamic_stack: false
    .vgpr_count:     64
    .vgpr_spill_count: 0
    .wavefront_size: 64
  - .agpr_count:     1
    .args:
      - .actual_access:  read_only
        .address_space:  global
        .offset:         0
        .size:           8
        .value_kind:     global_buffer
      - .actual_access:  read_only
        .address_space:  global
        .offset:         8
        .size:           8
        .value_kind:     global_buffer
      - .actual_access:  read_only
        .address_space:  global
        .offset:         16
        .size:           8
        .value_kind:     global_buffer
      - .offset:         24
        .size:           4
        .value_kind:     by_value
      - .offset:         28
        .size:           4
        .value_kind:     by_value
      - .actual_access:  read_only
        .address_space:  global
        .offset:         32
        .size:           8
        .value_kind:     global_buffer
      - .actual_access:  read_only
        .address_space:  global
        .offset:         40
        .size:           8
        .value_kind:     global_buffer
      - .actual_access:  read_only
        .address_space:  global
        .offset:         48
        .size:           8
        .value_kind:     global_buffer
      - .offset:         56
        .size:           4
        .value_kind:     by_value
      - .actual_access:  read_only
        .address_space:  global
        .offset:         64
        .size:           8
        .value_kind:     global_buffer
      - .offset:         72
        .size:           4
        .value_kind:     by_value
      - .offset:         76
        .size:           4
        .value_kind:     by_value
      - .offset:         80
        .size:           4
        .value_kind:     by_value
      - .actual_access:  read_only
        .address_space:  global
        .offset:         88
        .size:           8
        .value_kind:     global_buffer
      - .actual_access:  read_only
        .address_space:  global
        .offset:         96
        .size:           8
        .value_kind:     global_buffer
      - .actual_access:  read_only
        .address_space:  global
        .offset:         104
        .size:           8
        .value_kind:     global_buffer
      - .actual_access:  read_only
        .address_space:  global
        .offset:         112
        .size:           8
        .value_kind:     global_buffer
      - .offset:         120
        .size:           4
        .value_kind:     by_value
      - .address_space:  global
        .offset:         128
        .size:           8
        .value_kind:     global_buffer
      - .address_space:  global
        .offset:         136
        .size:           8
        .value_kind:     global_buffer
      - .offset:         144
        .size:           4
        .value_kind:     hidden_block_count_x
      - .offset:         148
        .size:           4
        .value_kind:     hidden_block_count_y
      - .offset:         152
        .size:           4
        .value_kind:     hidden_block_count_z
      - .offset:         156
        .size:           2
        .value_kind:     hidden_group_size_x
      - .offset:         158
        .size:           2
        .value_kind:     hidden_group_size_y
      - .offset:         160
        .size:           2
        .value_kind:     hidden_group_size_z
      - .offset:         162
        .size:           2
        .value_kind:     hidden_remainder_x
      - .offset:         164
        .size:           2
        .value_kind:     hidden_remainder_y
      - .offset:         166
        .size:           2
        .value_kind:     hidden_remainder_z
      - .offset:         184
        .size:           8
        .value_kind:     hidden_global_offset_x
      - .offset:         192
        .size:           8
        .value_kind:     hidden_global_offset_y
      - .offset:         200
        .size:           8
        .value_kind:     hidden_global_offset_z
      - .offset:         208
        .size:           2
        .value_kind:     hidden_grid_dims
      - .offset:         224
        .size:           8
        .value_kind:     hidden_hostcall_buffer
    .group_segment_fixed_size: 8192
    .kernarg_segment_align: 8
    .kernarg_segment_size: 400
    .language:       OpenCL C
    .language_version:
      - 2
      - 0
    .max_flat_workgroup_size: 256
    .name:           _Z39paged_attention_ll4mi_QKV_mfma16_kernelIDF16_hLN4vllm18Fp8KVCacheDataTypeE1EDF16_Li32ELi64ELi256ELb1ELi5EL8MFMAType1EEvPKT_PKT0_S8_ifPKiSA_SA_iPKfiiiPfSD_PS3_PT2_iSC_SC_
    .private_segment_fixed_size: 64
    .sgpr_count:     40
    .sgpr_spill_count: 0
    .symbol:         _Z39paged_attention_ll4mi_QKV_mfma16_kernelIDF16_hLN4vllm18Fp8KVCacheDataTypeE1EDF16_Li32ELi64ELi256ELb1ELi5EL8MFMAType1EEvPKT_PKT0_S8_ifPKiSA_SA_iPKfiiiPfSD_PS3_PT2_iSC_SC_.kd
    .uniform_work_group_size: 1
    .uses_dynamic_stack: false
    .vgpr_count:     45
    .vgpr_spill_count: 0
    .wavefront_size: 64
  - .agpr_count:     1
    .args:
      - .actual_access:  read_only
        .address_space:  global
        .offset:         0
        .size:           8
        .value_kind:     global_buffer
      - .actual_access:  read_only
        .address_space:  global
        .offset:         8
        .size:           8
        .value_kind:     global_buffer
      - .actual_access:  read_only
        .address_space:  global
        .offset:         16
        .size:           8
        .value_kind:     global_buffer
      - .offset:         24
        .size:           4
        .value_kind:     by_value
      - .offset:         28
        .size:           4
        .value_kind:     by_value
      - .actual_access:  read_only
        .address_space:  global
        .offset:         32
        .size:           8
        .value_kind:     global_buffer
      - .actual_access:  read_only
        .address_space:  global
        .offset:         40
        .size:           8
        .value_kind:     global_buffer
      - .actual_access:  read_only
        .address_space:  global
        .offset:         48
        .size:           8
        .value_kind:     global_buffer
      - .offset:         56
        .size:           4
        .value_kind:     by_value
      - .actual_access:  read_only
        .address_space:  global
        .offset:         64
        .size:           8
        .value_kind:     global_buffer
      - .offset:         72
        .size:           4
        .value_kind:     by_value
      - .offset:         76
        .size:           4
        .value_kind:     by_value
      - .offset:         80
        .size:           4
        .value_kind:     by_value
      - .actual_access:  read_only
        .address_space:  global
        .offset:         88
        .size:           8
        .value_kind:     global_buffer
      - .actual_access:  read_only
        .address_space:  global
        .offset:         96
        .size:           8
        .value_kind:     global_buffer
      - .actual_access:  read_only
        .address_space:  global
        .offset:         104
        .size:           8
        .value_kind:     global_buffer
      - .actual_access:  read_only
        .address_space:  global
        .offset:         112
        .size:           8
        .value_kind:     global_buffer
      - .offset:         120
        .size:           4
        .value_kind:     by_value
      - .address_space:  global
        .offset:         128
        .size:           8
        .value_kind:     global_buffer
      - .address_space:  global
        .offset:         136
        .size:           8
        .value_kind:     global_buffer
      - .offset:         144
        .size:           4
        .value_kind:     hidden_block_count_x
      - .offset:         148
        .size:           4
        .value_kind:     hidden_block_count_y
      - .offset:         152
        .size:           4
        .value_kind:     hidden_block_count_z
      - .offset:         156
        .size:           2
        .value_kind:     hidden_group_size_x
      - .offset:         158
        .size:           2
        .value_kind:     hidden_group_size_y
      - .offset:         160
        .size:           2
        .value_kind:     hidden_group_size_z
      - .offset:         162
        .size:           2
        .value_kind:     hidden_remainder_x
      - .offset:         164
        .size:           2
        .value_kind:     hidden_remainder_y
      - .offset:         166
        .size:           2
        .value_kind:     hidden_remainder_z
      - .offset:         184
        .size:           8
        .value_kind:     hidden_global_offset_x
      - .offset:         192
        .size:           8
        .value_kind:     hidden_global_offset_y
      - .offset:         200
        .size:           8
        .value_kind:     hidden_global_offset_z
      - .offset:         208
        .size:           2
        .value_kind:     hidden_grid_dims
      - .offset:         224
        .size:           8
        .value_kind:     hidden_hostcall_buffer
    .group_segment_fixed_size: 8192
    .kernarg_segment_align: 8
    .kernarg_segment_size: 400
    .language:       OpenCL C
    .language_version:
      - 2
      - 0
    .max_flat_workgroup_size: 256
    .name:           _Z39paged_attention_ll4mi_QKV_mfma16_kernelIDF16_hLN4vllm18Fp8KVCacheDataTypeE1EDF16_Li32ELi64ELi256ELb1ELi6EL8MFMAType1EEvPKT_PKT0_S8_ifPKiSA_SA_iPKfiiiPfSD_PS3_PT2_iSC_SC_
    .private_segment_fixed_size: 64
    .sgpr_count:     40
    .sgpr_spill_count: 0
    .symbol:         _Z39paged_attention_ll4mi_QKV_mfma16_kernelIDF16_hLN4vllm18Fp8KVCacheDataTypeE1EDF16_Li32ELi64ELi256ELb1ELi6EL8MFMAType1EEvPKT_PKT0_S8_ifPKiSA_SA_iPKfiiiPfSD_PS3_PT2_iSC_SC_.kd
    .uniform_work_group_size: 1
    .uses_dynamic_stack: false
    .vgpr_count:     45
    .vgpr_spill_count: 0
    .wavefront_size: 64
  - .agpr_count:     1
    .args:
      - .actual_access:  read_only
        .address_space:  global
        .offset:         0
        .size:           8
        .value_kind:     global_buffer
      - .actual_access:  read_only
        .address_space:  global
        .offset:         8
        .size:           8
        .value_kind:     global_buffer
      - .actual_access:  read_only
        .address_space:  global
        .offset:         16
        .size:           8
        .value_kind:     global_buffer
      - .offset:         24
        .size:           4
        .value_kind:     by_value
      - .offset:         28
        .size:           4
        .value_kind:     by_value
      - .actual_access:  read_only
        .address_space:  global
        .offset:         32
        .size:           8
        .value_kind:     global_buffer
      - .actual_access:  read_only
        .address_space:  global
        .offset:         40
        .size:           8
        .value_kind:     global_buffer
      - .actual_access:  read_only
        .address_space:  global
        .offset:         48
        .size:           8
        .value_kind:     global_buffer
      - .offset:         56
        .size:           4
        .value_kind:     by_value
      - .actual_access:  read_only
        .address_space:  global
        .offset:         64
        .size:           8
        .value_kind:     global_buffer
      - .offset:         72
        .size:           4
        .value_kind:     by_value
      - .offset:         76
        .size:           4
        .value_kind:     by_value
      - .offset:         80
        .size:           4
        .value_kind:     by_value
      - .actual_access:  read_only
        .address_space:  global
        .offset:         88
        .size:           8
        .value_kind:     global_buffer
      - .actual_access:  read_only
        .address_space:  global
        .offset:         96
        .size:           8
        .value_kind:     global_buffer
      - .actual_access:  read_only
        .address_space:  global
        .offset:         104
        .size:           8
        .value_kind:     global_buffer
      - .actual_access:  read_only
        .address_space:  global
        .offset:         112
        .size:           8
        .value_kind:     global_buffer
      - .offset:         120
        .size:           4
        .value_kind:     by_value
      - .address_space:  global
        .offset:         128
        .size:           8
        .value_kind:     global_buffer
      - .address_space:  global
        .offset:         136
        .size:           8
        .value_kind:     global_buffer
      - .offset:         144
        .size:           4
        .value_kind:     hidden_block_count_x
      - .offset:         148
        .size:           4
        .value_kind:     hidden_block_count_y
      - .offset:         152
        .size:           4
        .value_kind:     hidden_block_count_z
      - .offset:         156
        .size:           2
        .value_kind:     hidden_group_size_x
      - .offset:         158
        .size:           2
        .value_kind:     hidden_group_size_y
      - .offset:         160
        .size:           2
        .value_kind:     hidden_group_size_z
      - .offset:         162
        .size:           2
        .value_kind:     hidden_remainder_x
      - .offset:         164
        .size:           2
        .value_kind:     hidden_remainder_y
      - .offset:         166
        .size:           2
        .value_kind:     hidden_remainder_z
      - .offset:         184
        .size:           8
        .value_kind:     hidden_global_offset_x
      - .offset:         192
        .size:           8
        .value_kind:     hidden_global_offset_y
      - .offset:         200
        .size:           8
        .value_kind:     hidden_global_offset_z
      - .offset:         208
        .size:           2
        .value_kind:     hidden_grid_dims
      - .offset:         224
        .size:           8
        .value_kind:     hidden_hostcall_buffer
    .group_segment_fixed_size: 8192
    .kernarg_segment_align: 8
    .kernarg_segment_size: 400
    .language:       OpenCL C
    .language_version:
      - 2
      - 0
    .max_flat_workgroup_size: 256
    .name:           _Z39paged_attention_ll4mi_QKV_mfma16_kernelIDF16_hLN4vllm18Fp8KVCacheDataTypeE1EDF16_Li32ELi64ELi256ELb1ELi7EL8MFMAType1EEvPKT_PKT0_S8_ifPKiSA_SA_iPKfiiiPfSD_PS3_PT2_iSC_SC_
    .private_segment_fixed_size: 64
    .sgpr_count:     40
    .sgpr_spill_count: 0
    .symbol:         _Z39paged_attention_ll4mi_QKV_mfma16_kernelIDF16_hLN4vllm18Fp8KVCacheDataTypeE1EDF16_Li32ELi64ELi256ELb1ELi7EL8MFMAType1EEvPKT_PKT0_S8_ifPKiSA_SA_iPKfiiiPfSD_PS3_PT2_iSC_SC_.kd
    .uniform_work_group_size: 1
    .uses_dynamic_stack: false
    .vgpr_count:     45
    .vgpr_spill_count: 0
    .wavefront_size: 64
  - .agpr_count:     1
    .args:
      - .actual_access:  read_only
        .address_space:  global
        .offset:         0
        .size:           8
        .value_kind:     global_buffer
      - .actual_access:  read_only
        .address_space:  global
        .offset:         8
        .size:           8
        .value_kind:     global_buffer
      - .actual_access:  read_only
        .address_space:  global
        .offset:         16
        .size:           8
        .value_kind:     global_buffer
      - .offset:         24
        .size:           4
        .value_kind:     by_value
      - .offset:         28
        .size:           4
        .value_kind:     by_value
      - .actual_access:  read_only
        .address_space:  global
        .offset:         32
        .size:           8
        .value_kind:     global_buffer
      - .actual_access:  read_only
        .address_space:  global
        .offset:         40
        .size:           8
        .value_kind:     global_buffer
      - .actual_access:  read_only
        .address_space:  global
        .offset:         48
        .size:           8
        .value_kind:     global_buffer
      - .offset:         56
        .size:           4
        .value_kind:     by_value
      - .actual_access:  read_only
        .address_space:  global
        .offset:         64
        .size:           8
        .value_kind:     global_buffer
      - .offset:         72
        .size:           4
        .value_kind:     by_value
      - .offset:         76
        .size:           4
        .value_kind:     by_value
      - .offset:         80
        .size:           4
        .value_kind:     by_value
      - .actual_access:  read_only
        .address_space:  global
        .offset:         88
        .size:           8
        .value_kind:     global_buffer
      - .actual_access:  read_only
        .address_space:  global
        .offset:         96
        .size:           8
        .value_kind:     global_buffer
      - .actual_access:  read_only
        .address_space:  global
        .offset:         104
        .size:           8
        .value_kind:     global_buffer
      - .actual_access:  read_only
        .address_space:  global
        .offset:         112
        .size:           8
        .value_kind:     global_buffer
      - .offset:         120
        .size:           4
        .value_kind:     by_value
      - .address_space:  global
        .offset:         128
        .size:           8
        .value_kind:     global_buffer
      - .address_space:  global
        .offset:         136
        .size:           8
        .value_kind:     global_buffer
      - .offset:         144
        .size:           4
        .value_kind:     hidden_block_count_x
      - .offset:         148
        .size:           4
        .value_kind:     hidden_block_count_y
      - .offset:         152
        .size:           4
        .value_kind:     hidden_block_count_z
      - .offset:         156
        .size:           2
        .value_kind:     hidden_group_size_x
      - .offset:         158
        .size:           2
        .value_kind:     hidden_group_size_y
      - .offset:         160
        .size:           2
        .value_kind:     hidden_group_size_z
      - .offset:         162
        .size:           2
        .value_kind:     hidden_remainder_x
      - .offset:         164
        .size:           2
        .value_kind:     hidden_remainder_y
      - .offset:         166
        .size:           2
        .value_kind:     hidden_remainder_z
      - .offset:         184
        .size:           8
        .value_kind:     hidden_global_offset_x
      - .offset:         192
        .size:           8
        .value_kind:     hidden_global_offset_y
      - .offset:         200
        .size:           8
        .value_kind:     hidden_global_offset_z
      - .offset:         208
        .size:           2
        .value_kind:     hidden_grid_dims
      - .offset:         224
        .size:           8
        .value_kind:     hidden_hostcall_buffer
    .group_segment_fixed_size: 8192
    .kernarg_segment_align: 8
    .kernarg_segment_size: 400
    .language:       OpenCL C
    .language_version:
      - 2
      - 0
    .max_flat_workgroup_size: 256
    .name:           _Z39paged_attention_ll4mi_QKV_mfma16_kernelIDF16_hLN4vllm18Fp8KVCacheDataTypeE1EDF16_Li32ELi64ELi256ELb1ELi8EL8MFMAType1EEvPKT_PKT0_S8_ifPKiSA_SA_iPKfiiiPfSD_PS3_PT2_iSC_SC_
    .private_segment_fixed_size: 64
    .sgpr_count:     40
    .sgpr_spill_count: 0
    .symbol:         _Z39paged_attention_ll4mi_QKV_mfma16_kernelIDF16_hLN4vllm18Fp8KVCacheDataTypeE1EDF16_Li32ELi64ELi256ELb1ELi8EL8MFMAType1EEvPKT_PKT0_S8_ifPKiSA_SA_iPKfiiiPfSD_PS3_PT2_iSC_SC_.kd
    .uniform_work_group_size: 1
    .uses_dynamic_stack: false
    .vgpr_count:     45
    .vgpr_spill_count: 0
    .wavefront_size: 64
  - .agpr_count:     1
    .args:
      - .actual_access:  read_only
        .address_space:  global
        .offset:         0
        .size:           8
        .value_kind:     global_buffer
      - .actual_access:  read_only
        .address_space:  global
        .offset:         8
        .size:           8
        .value_kind:     global_buffer
      - .actual_access:  read_only
        .address_space:  global
        .offset:         16
        .size:           8
        .value_kind:     global_buffer
      - .offset:         24
        .size:           4
        .value_kind:     by_value
      - .offset:         28
        .size:           4
        .value_kind:     by_value
      - .actual_access:  read_only
        .address_space:  global
        .offset:         32
        .size:           8
        .value_kind:     global_buffer
      - .actual_access:  read_only
        .address_space:  global
        .offset:         40
        .size:           8
        .value_kind:     global_buffer
      - .actual_access:  read_only
        .address_space:  global
        .offset:         48
        .size:           8
        .value_kind:     global_buffer
      - .offset:         56
        .size:           4
        .value_kind:     by_value
      - .actual_access:  read_only
        .address_space:  global
        .offset:         64
        .size:           8
        .value_kind:     global_buffer
      - .offset:         72
        .size:           4
        .value_kind:     by_value
      - .offset:         76
        .size:           4
        .value_kind:     by_value
      - .offset:         80
        .size:           4
        .value_kind:     by_value
      - .actual_access:  read_only
        .address_space:  global
        .offset:         88
        .size:           8
        .value_kind:     global_buffer
      - .actual_access:  read_only
        .address_space:  global
        .offset:         96
        .size:           8
        .value_kind:     global_buffer
      - .actual_access:  read_only
        .address_space:  global
        .offset:         104
        .size:           8
        .value_kind:     global_buffer
      - .actual_access:  read_only
        .address_space:  global
        .offset:         112
        .size:           8
        .value_kind:     global_buffer
      - .offset:         120
        .size:           4
        .value_kind:     by_value
      - .address_space:  global
        .offset:         128
        .size:           8
        .value_kind:     global_buffer
      - .address_space:  global
        .offset:         136
        .size:           8
        .value_kind:     global_buffer
      - .offset:         144
        .size:           4
        .value_kind:     hidden_block_count_x
      - .offset:         148
        .size:           4
        .value_kind:     hidden_block_count_y
      - .offset:         152
        .size:           4
        .value_kind:     hidden_block_count_z
      - .offset:         156
        .size:           2
        .value_kind:     hidden_group_size_x
      - .offset:         158
        .size:           2
        .value_kind:     hidden_group_size_y
      - .offset:         160
        .size:           2
        .value_kind:     hidden_group_size_z
      - .offset:         162
        .size:           2
        .value_kind:     hidden_remainder_x
      - .offset:         164
        .size:           2
        .value_kind:     hidden_remainder_y
      - .offset:         166
        .size:           2
        .value_kind:     hidden_remainder_z
      - .offset:         184
        .size:           8
        .value_kind:     hidden_global_offset_x
      - .offset:         192
        .size:           8
        .value_kind:     hidden_global_offset_y
      - .offset:         200
        .size:           8
        .value_kind:     hidden_global_offset_z
      - .offset:         208
        .size:           2
        .value_kind:     hidden_grid_dims
      - .offset:         224
        .size:           8
        .value_kind:     hidden_hostcall_buffer
    .group_segment_fixed_size: 8192
    .kernarg_segment_align: 8
    .kernarg_segment_size: 400
    .language:       OpenCL C
    .language_version:
      - 2
      - 0
    .max_flat_workgroup_size: 256
    .name:           _Z39paged_attention_ll4mi_QKV_mfma16_kernelIDF16_hLN4vllm18Fp8KVCacheDataTypeE1EDF16_Li32ELi64ELi256ELb1ELi9EL8MFMAType1EEvPKT_PKT0_S8_ifPKiSA_SA_iPKfiiiPfSD_PS3_PT2_iSC_SC_
    .private_segment_fixed_size: 64
    .sgpr_count:     40
    .sgpr_spill_count: 0
    .symbol:         _Z39paged_attention_ll4mi_QKV_mfma16_kernelIDF16_hLN4vllm18Fp8KVCacheDataTypeE1EDF16_Li32ELi64ELi256ELb1ELi9EL8MFMAType1EEvPKT_PKT0_S8_ifPKiSA_SA_iPKfiiiPfSD_PS3_PT2_iSC_SC_.kd
    .uniform_work_group_size: 1
    .uses_dynamic_stack: false
    .vgpr_count:     45
    .vgpr_spill_count: 0
    .wavefront_size: 64
  - .agpr_count:     1
    .args:
      - .actual_access:  read_only
        .address_space:  global
        .offset:         0
        .size:           8
        .value_kind:     global_buffer
      - .actual_access:  read_only
        .address_space:  global
        .offset:         8
        .size:           8
        .value_kind:     global_buffer
      - .actual_access:  read_only
        .address_space:  global
        .offset:         16
        .size:           8
        .value_kind:     global_buffer
      - .offset:         24
        .size:           4
        .value_kind:     by_value
      - .offset:         28
        .size:           4
        .value_kind:     by_value
      - .actual_access:  read_only
        .address_space:  global
        .offset:         32
        .size:           8
        .value_kind:     global_buffer
      - .actual_access:  read_only
        .address_space:  global
        .offset:         40
        .size:           8
        .value_kind:     global_buffer
      - .actual_access:  read_only
        .address_space:  global
        .offset:         48
        .size:           8
        .value_kind:     global_buffer
      - .offset:         56
        .size:           4
        .value_kind:     by_value
      - .actual_access:  read_only
        .address_space:  global
        .offset:         64
        .size:           8
        .value_kind:     global_buffer
      - .offset:         72
        .size:           4
        .value_kind:     by_value
      - .offset:         76
        .size:           4
        .value_kind:     by_value
      - .offset:         80
        .size:           4
        .value_kind:     by_value
      - .actual_access:  read_only
        .address_space:  global
        .offset:         88
        .size:           8
        .value_kind:     global_buffer
      - .actual_access:  read_only
        .address_space:  global
        .offset:         96
        .size:           8
        .value_kind:     global_buffer
      - .actual_access:  read_only
        .address_space:  global
        .offset:         104
        .size:           8
        .value_kind:     global_buffer
      - .actual_access:  read_only
        .address_space:  global
        .offset:         112
        .size:           8
        .value_kind:     global_buffer
      - .offset:         120
        .size:           4
        .value_kind:     by_value
      - .address_space:  global
        .offset:         128
        .size:           8
        .value_kind:     global_buffer
      - .address_space:  global
        .offset:         136
        .size:           8
        .value_kind:     global_buffer
      - .offset:         144
        .size:           4
        .value_kind:     hidden_block_count_x
      - .offset:         148
        .size:           4
        .value_kind:     hidden_block_count_y
      - .offset:         152
        .size:           4
        .value_kind:     hidden_block_count_z
      - .offset:         156
        .size:           2
        .value_kind:     hidden_group_size_x
      - .offset:         158
        .size:           2
        .value_kind:     hidden_group_size_y
      - .offset:         160
        .size:           2
        .value_kind:     hidden_group_size_z
      - .offset:         162
        .size:           2
        .value_kind:     hidden_remainder_x
      - .offset:         164
        .size:           2
        .value_kind:     hidden_remainder_y
      - .offset:         166
        .size:           2
        .value_kind:     hidden_remainder_z
      - .offset:         184
        .size:           8
        .value_kind:     hidden_global_offset_x
      - .offset:         192
        .size:           8
        .value_kind:     hidden_global_offset_y
      - .offset:         200
        .size:           8
        .value_kind:     hidden_global_offset_z
      - .offset:         208
        .size:           2
        .value_kind:     hidden_grid_dims
      - .offset:         224
        .size:           8
        .value_kind:     hidden_hostcall_buffer
    .group_segment_fixed_size: 8192
    .kernarg_segment_align: 8
    .kernarg_segment_size: 400
    .language:       OpenCL C
    .language_version:
      - 2
      - 0
    .max_flat_workgroup_size: 256
    .name:           _Z39paged_attention_ll4mi_QKV_mfma16_kernelIDF16_hLN4vllm18Fp8KVCacheDataTypeE1EDF16_Li32ELi64ELi256ELb1ELi10EL8MFMAType1EEvPKT_PKT0_S8_ifPKiSA_SA_iPKfiiiPfSD_PS3_PT2_iSC_SC_
    .private_segment_fixed_size: 64
    .sgpr_count:     40
    .sgpr_spill_count: 0
    .symbol:         _Z39paged_attention_ll4mi_QKV_mfma16_kernelIDF16_hLN4vllm18Fp8KVCacheDataTypeE1EDF16_Li32ELi64ELi256ELb1ELi10EL8MFMAType1EEvPKT_PKT0_S8_ifPKiSA_SA_iPKfiiiPfSD_PS3_PT2_iSC_SC_.kd
    .uniform_work_group_size: 1
    .uses_dynamic_stack: false
    .vgpr_count:     45
    .vgpr_spill_count: 0
    .wavefront_size: 64
  - .agpr_count:     1
    .args:
      - .actual_access:  read_only
        .address_space:  global
        .offset:         0
        .size:           8
        .value_kind:     global_buffer
      - .actual_access:  read_only
        .address_space:  global
        .offset:         8
        .size:           8
        .value_kind:     global_buffer
      - .actual_access:  read_only
        .address_space:  global
        .offset:         16
        .size:           8
        .value_kind:     global_buffer
      - .offset:         24
        .size:           4
        .value_kind:     by_value
      - .offset:         28
        .size:           4
        .value_kind:     by_value
      - .actual_access:  read_only
        .address_space:  global
        .offset:         32
        .size:           8
        .value_kind:     global_buffer
      - .actual_access:  read_only
        .address_space:  global
        .offset:         40
        .size:           8
        .value_kind:     global_buffer
      - .actual_access:  read_only
        .address_space:  global
        .offset:         48
        .size:           8
        .value_kind:     global_buffer
      - .offset:         56
        .size:           4
        .value_kind:     by_value
      - .actual_access:  read_only
        .address_space:  global
        .offset:         64
        .size:           8
        .value_kind:     global_buffer
      - .offset:         72
        .size:           4
        .value_kind:     by_value
      - .offset:         76
        .size:           4
        .value_kind:     by_value
      - .offset:         80
        .size:           4
        .value_kind:     by_value
      - .actual_access:  read_only
        .address_space:  global
        .offset:         88
        .size:           8
        .value_kind:     global_buffer
      - .actual_access:  read_only
        .address_space:  global
        .offset:         96
        .size:           8
        .value_kind:     global_buffer
      - .actual_access:  read_only
        .address_space:  global
        .offset:         104
        .size:           8
        .value_kind:     global_buffer
      - .actual_access:  read_only
        .address_space:  global
        .offset:         112
        .size:           8
        .value_kind:     global_buffer
      - .offset:         120
        .size:           4
        .value_kind:     by_value
      - .address_space:  global
        .offset:         128
        .size:           8
        .value_kind:     global_buffer
      - .address_space:  global
        .offset:         136
        .size:           8
        .value_kind:     global_buffer
      - .offset:         144
        .size:           4
        .value_kind:     hidden_block_count_x
      - .offset:         148
        .size:           4
        .value_kind:     hidden_block_count_y
      - .offset:         152
        .size:           4
        .value_kind:     hidden_block_count_z
      - .offset:         156
        .size:           2
        .value_kind:     hidden_group_size_x
      - .offset:         158
        .size:           2
        .value_kind:     hidden_group_size_y
      - .offset:         160
        .size:           2
        .value_kind:     hidden_group_size_z
      - .offset:         162
        .size:           2
        .value_kind:     hidden_remainder_x
      - .offset:         164
        .size:           2
        .value_kind:     hidden_remainder_y
      - .offset:         166
        .size:           2
        .value_kind:     hidden_remainder_z
      - .offset:         184
        .size:           8
        .value_kind:     hidden_global_offset_x
      - .offset:         192
        .size:           8
        .value_kind:     hidden_global_offset_y
      - .offset:         200
        .size:           8
        .value_kind:     hidden_global_offset_z
      - .offset:         208
        .size:           2
        .value_kind:     hidden_grid_dims
      - .offset:         224
        .size:           8
        .value_kind:     hidden_hostcall_buffer
    .group_segment_fixed_size: 8192
    .kernarg_segment_align: 8
    .kernarg_segment_size: 400
    .language:       OpenCL C
    .language_version:
      - 2
      - 0
    .max_flat_workgroup_size: 256
    .name:           _Z39paged_attention_ll4mi_QKV_mfma16_kernelIDF16_hLN4vllm18Fp8KVCacheDataTypeE1EDF16_Li32ELi64ELi256ELb1ELi11EL8MFMAType1EEvPKT_PKT0_S8_ifPKiSA_SA_iPKfiiiPfSD_PS3_PT2_iSC_SC_
    .private_segment_fixed_size: 64
    .sgpr_count:     40
    .sgpr_spill_count: 0
    .symbol:         _Z39paged_attention_ll4mi_QKV_mfma16_kernelIDF16_hLN4vllm18Fp8KVCacheDataTypeE1EDF16_Li32ELi64ELi256ELb1ELi11EL8MFMAType1EEvPKT_PKT0_S8_ifPKiSA_SA_iPKfiiiPfSD_PS3_PT2_iSC_SC_.kd
    .uniform_work_group_size: 1
    .uses_dynamic_stack: false
    .vgpr_count:     45
    .vgpr_spill_count: 0
    .wavefront_size: 64
  - .agpr_count:     1
    .args:
      - .actual_access:  read_only
        .address_space:  global
        .offset:         0
        .size:           8
        .value_kind:     global_buffer
      - .actual_access:  read_only
        .address_space:  global
        .offset:         8
        .size:           8
        .value_kind:     global_buffer
      - .actual_access:  read_only
        .address_space:  global
        .offset:         16
        .size:           8
        .value_kind:     global_buffer
      - .offset:         24
        .size:           4
        .value_kind:     by_value
      - .offset:         28
        .size:           4
        .value_kind:     by_value
      - .actual_access:  read_only
        .address_space:  global
        .offset:         32
        .size:           8
        .value_kind:     global_buffer
      - .actual_access:  read_only
        .address_space:  global
        .offset:         40
        .size:           8
        .value_kind:     global_buffer
      - .actual_access:  read_only
        .address_space:  global
        .offset:         48
        .size:           8
        .value_kind:     global_buffer
      - .offset:         56
        .size:           4
        .value_kind:     by_value
      - .actual_access:  read_only
        .address_space:  global
        .offset:         64
        .size:           8
        .value_kind:     global_buffer
      - .offset:         72
        .size:           4
        .value_kind:     by_value
      - .offset:         76
        .size:           4
        .value_kind:     by_value
      - .offset:         80
        .size:           4
        .value_kind:     by_value
      - .actual_access:  read_only
        .address_space:  global
        .offset:         88
        .size:           8
        .value_kind:     global_buffer
      - .actual_access:  read_only
        .address_space:  global
        .offset:         96
        .size:           8
        .value_kind:     global_buffer
      - .actual_access:  read_only
        .address_space:  global
        .offset:         104
        .size:           8
        .value_kind:     global_buffer
      - .actual_access:  read_only
        .address_space:  global
        .offset:         112
        .size:           8
        .value_kind:     global_buffer
      - .offset:         120
        .size:           4
        .value_kind:     by_value
      - .address_space:  global
        .offset:         128
        .size:           8
        .value_kind:     global_buffer
      - .address_space:  global
        .offset:         136
        .size:           8
        .value_kind:     global_buffer
      - .offset:         144
        .size:           4
        .value_kind:     hidden_block_count_x
      - .offset:         148
        .size:           4
        .value_kind:     hidden_block_count_y
      - .offset:         152
        .size:           4
        .value_kind:     hidden_block_count_z
      - .offset:         156
        .size:           2
        .value_kind:     hidden_group_size_x
      - .offset:         158
        .size:           2
        .value_kind:     hidden_group_size_y
      - .offset:         160
        .size:           2
        .value_kind:     hidden_group_size_z
      - .offset:         162
        .size:           2
        .value_kind:     hidden_remainder_x
      - .offset:         164
        .size:           2
        .value_kind:     hidden_remainder_y
      - .offset:         166
        .size:           2
        .value_kind:     hidden_remainder_z
      - .offset:         184
        .size:           8
        .value_kind:     hidden_global_offset_x
      - .offset:         192
        .size:           8
        .value_kind:     hidden_global_offset_y
      - .offset:         200
        .size:           8
        .value_kind:     hidden_global_offset_z
      - .offset:         208
        .size:           2
        .value_kind:     hidden_grid_dims
      - .offset:         224
        .size:           8
        .value_kind:     hidden_hostcall_buffer
    .group_segment_fixed_size: 8192
    .kernarg_segment_align: 8
    .kernarg_segment_size: 400
    .language:       OpenCL C
    .language_version:
      - 2
      - 0
    .max_flat_workgroup_size: 256
    .name:           _Z39paged_attention_ll4mi_QKV_mfma16_kernelIDF16_hLN4vllm18Fp8KVCacheDataTypeE1EDF16_Li32ELi64ELi256ELb1ELi12EL8MFMAType1EEvPKT_PKT0_S8_ifPKiSA_SA_iPKfiiiPfSD_PS3_PT2_iSC_SC_
    .private_segment_fixed_size: 64
    .sgpr_count:     40
    .sgpr_spill_count: 0
    .symbol:         _Z39paged_attention_ll4mi_QKV_mfma16_kernelIDF16_hLN4vllm18Fp8KVCacheDataTypeE1EDF16_Li32ELi64ELi256ELb1ELi12EL8MFMAType1EEvPKT_PKT0_S8_ifPKiSA_SA_iPKfiiiPfSD_PS3_PT2_iSC_SC_.kd
    .uniform_work_group_size: 1
    .uses_dynamic_stack: false
    .vgpr_count:     45
    .vgpr_spill_count: 0
    .wavefront_size: 64
  - .agpr_count:     1
    .args:
      - .actual_access:  read_only
        .address_space:  global
        .offset:         0
        .size:           8
        .value_kind:     global_buffer
      - .actual_access:  read_only
        .address_space:  global
        .offset:         8
        .size:           8
        .value_kind:     global_buffer
      - .actual_access:  read_only
        .address_space:  global
        .offset:         16
        .size:           8
        .value_kind:     global_buffer
      - .offset:         24
        .size:           4
        .value_kind:     by_value
      - .offset:         28
        .size:           4
        .value_kind:     by_value
      - .actual_access:  read_only
        .address_space:  global
        .offset:         32
        .size:           8
        .value_kind:     global_buffer
      - .actual_access:  read_only
        .address_space:  global
        .offset:         40
        .size:           8
        .value_kind:     global_buffer
      - .actual_access:  read_only
        .address_space:  global
        .offset:         48
        .size:           8
        .value_kind:     global_buffer
      - .offset:         56
        .size:           4
        .value_kind:     by_value
      - .actual_access:  read_only
        .address_space:  global
        .offset:         64
        .size:           8
        .value_kind:     global_buffer
      - .offset:         72
        .size:           4
        .value_kind:     by_value
      - .offset:         76
        .size:           4
        .value_kind:     by_value
      - .offset:         80
        .size:           4
        .value_kind:     by_value
      - .actual_access:  read_only
        .address_space:  global
        .offset:         88
        .size:           8
        .value_kind:     global_buffer
      - .actual_access:  read_only
        .address_space:  global
        .offset:         96
        .size:           8
        .value_kind:     global_buffer
      - .actual_access:  read_only
        .address_space:  global
        .offset:         104
        .size:           8
        .value_kind:     global_buffer
      - .actual_access:  read_only
        .address_space:  global
        .offset:         112
        .size:           8
        .value_kind:     global_buffer
      - .offset:         120
        .size:           4
        .value_kind:     by_value
      - .address_space:  global
        .offset:         128
        .size:           8
        .value_kind:     global_buffer
      - .address_space:  global
        .offset:         136
        .size:           8
        .value_kind:     global_buffer
      - .offset:         144
        .size:           4
        .value_kind:     hidden_block_count_x
      - .offset:         148
        .size:           4
        .value_kind:     hidden_block_count_y
      - .offset:         152
        .size:           4
        .value_kind:     hidden_block_count_z
      - .offset:         156
        .size:           2
        .value_kind:     hidden_group_size_x
      - .offset:         158
        .size:           2
        .value_kind:     hidden_group_size_y
      - .offset:         160
        .size:           2
        .value_kind:     hidden_group_size_z
      - .offset:         162
        .size:           2
        .value_kind:     hidden_remainder_x
      - .offset:         164
        .size:           2
        .value_kind:     hidden_remainder_y
      - .offset:         166
        .size:           2
        .value_kind:     hidden_remainder_z
      - .offset:         184
        .size:           8
        .value_kind:     hidden_global_offset_x
      - .offset:         192
        .size:           8
        .value_kind:     hidden_global_offset_y
      - .offset:         200
        .size:           8
        .value_kind:     hidden_global_offset_z
      - .offset:         208
        .size:           2
        .value_kind:     hidden_grid_dims
      - .offset:         224
        .size:           8
        .value_kind:     hidden_hostcall_buffer
    .group_segment_fixed_size: 8192
    .kernarg_segment_align: 8
    .kernarg_segment_size: 400
    .language:       OpenCL C
    .language_version:
      - 2
      - 0
    .max_flat_workgroup_size: 256
    .name:           _Z39paged_attention_ll4mi_QKV_mfma16_kernelIDF16_hLN4vllm18Fp8KVCacheDataTypeE1EDF16_Li32ELi64ELi256ELb1ELi13EL8MFMAType1EEvPKT_PKT0_S8_ifPKiSA_SA_iPKfiiiPfSD_PS3_PT2_iSC_SC_
    .private_segment_fixed_size: 64
    .sgpr_count:     40
    .sgpr_spill_count: 0
    .symbol:         _Z39paged_attention_ll4mi_QKV_mfma16_kernelIDF16_hLN4vllm18Fp8KVCacheDataTypeE1EDF16_Li32ELi64ELi256ELb1ELi13EL8MFMAType1EEvPKT_PKT0_S8_ifPKiSA_SA_iPKfiiiPfSD_PS3_PT2_iSC_SC_.kd
    .uniform_work_group_size: 1
    .uses_dynamic_stack: false
    .vgpr_count:     45
    .vgpr_spill_count: 0
    .wavefront_size: 64
  - .agpr_count:     1
    .args:
      - .actual_access:  read_only
        .address_space:  global
        .offset:         0
        .size:           8
        .value_kind:     global_buffer
      - .actual_access:  read_only
        .address_space:  global
        .offset:         8
        .size:           8
        .value_kind:     global_buffer
      - .actual_access:  read_only
        .address_space:  global
        .offset:         16
        .size:           8
        .value_kind:     global_buffer
      - .offset:         24
        .size:           4
        .value_kind:     by_value
      - .offset:         28
        .size:           4
        .value_kind:     by_value
      - .actual_access:  read_only
        .address_space:  global
        .offset:         32
        .size:           8
        .value_kind:     global_buffer
      - .actual_access:  read_only
        .address_space:  global
        .offset:         40
        .size:           8
        .value_kind:     global_buffer
      - .actual_access:  read_only
        .address_space:  global
        .offset:         48
        .size:           8
        .value_kind:     global_buffer
      - .offset:         56
        .size:           4
        .value_kind:     by_value
      - .actual_access:  read_only
        .address_space:  global
        .offset:         64
        .size:           8
        .value_kind:     global_buffer
      - .offset:         72
        .size:           4
        .value_kind:     by_value
      - .offset:         76
        .size:           4
        .value_kind:     by_value
      - .offset:         80
        .size:           4
        .value_kind:     by_value
      - .actual_access:  read_only
        .address_space:  global
        .offset:         88
        .size:           8
        .value_kind:     global_buffer
      - .actual_access:  read_only
        .address_space:  global
        .offset:         96
        .size:           8
        .value_kind:     global_buffer
      - .actual_access:  read_only
        .address_space:  global
        .offset:         104
        .size:           8
        .value_kind:     global_buffer
      - .actual_access:  read_only
        .address_space:  global
        .offset:         112
        .size:           8
        .value_kind:     global_buffer
      - .offset:         120
        .size:           4
        .value_kind:     by_value
      - .address_space:  global
        .offset:         128
        .size:           8
        .value_kind:     global_buffer
      - .address_space:  global
        .offset:         136
        .size:           8
        .value_kind:     global_buffer
      - .offset:         144
        .size:           4
        .value_kind:     hidden_block_count_x
      - .offset:         148
        .size:           4
        .value_kind:     hidden_block_count_y
      - .offset:         152
        .size:           4
        .value_kind:     hidden_block_count_z
      - .offset:         156
        .size:           2
        .value_kind:     hidden_group_size_x
      - .offset:         158
        .size:           2
        .value_kind:     hidden_group_size_y
      - .offset:         160
        .size:           2
        .value_kind:     hidden_group_size_z
      - .offset:         162
        .size:           2
        .value_kind:     hidden_remainder_x
      - .offset:         164
        .size:           2
        .value_kind:     hidden_remainder_y
      - .offset:         166
        .size:           2
        .value_kind:     hidden_remainder_z
      - .offset:         184
        .size:           8
        .value_kind:     hidden_global_offset_x
      - .offset:         192
        .size:           8
        .value_kind:     hidden_global_offset_y
      - .offset:         200
        .size:           8
        .value_kind:     hidden_global_offset_z
      - .offset:         208
        .size:           2
        .value_kind:     hidden_grid_dims
      - .offset:         224
        .size:           8
        .value_kind:     hidden_hostcall_buffer
    .group_segment_fixed_size: 8192
    .kernarg_segment_align: 8
    .kernarg_segment_size: 400
    .language:       OpenCL C
    .language_version:
      - 2
      - 0
    .max_flat_workgroup_size: 256
    .name:           _Z39paged_attention_ll4mi_QKV_mfma16_kernelIDF16_hLN4vllm18Fp8KVCacheDataTypeE1EDF16_Li32ELi64ELi256ELb1ELi14EL8MFMAType1EEvPKT_PKT0_S8_ifPKiSA_SA_iPKfiiiPfSD_PS3_PT2_iSC_SC_
    .private_segment_fixed_size: 64
    .sgpr_count:     40
    .sgpr_spill_count: 0
    .symbol:         _Z39paged_attention_ll4mi_QKV_mfma16_kernelIDF16_hLN4vllm18Fp8KVCacheDataTypeE1EDF16_Li32ELi64ELi256ELb1ELi14EL8MFMAType1EEvPKT_PKT0_S8_ifPKiSA_SA_iPKfiiiPfSD_PS3_PT2_iSC_SC_.kd
    .uniform_work_group_size: 1
    .uses_dynamic_stack: false
    .vgpr_count:     45
    .vgpr_spill_count: 0
    .wavefront_size: 64
  - .agpr_count:     1
    .args:
      - .actual_access:  read_only
        .address_space:  global
        .offset:         0
        .size:           8
        .value_kind:     global_buffer
      - .actual_access:  read_only
        .address_space:  global
        .offset:         8
        .size:           8
        .value_kind:     global_buffer
      - .actual_access:  read_only
        .address_space:  global
        .offset:         16
        .size:           8
        .value_kind:     global_buffer
      - .offset:         24
        .size:           4
        .value_kind:     by_value
      - .offset:         28
        .size:           4
        .value_kind:     by_value
      - .actual_access:  read_only
        .address_space:  global
        .offset:         32
        .size:           8
        .value_kind:     global_buffer
      - .actual_access:  read_only
        .address_space:  global
        .offset:         40
        .size:           8
        .value_kind:     global_buffer
      - .actual_access:  read_only
        .address_space:  global
        .offset:         48
        .size:           8
        .value_kind:     global_buffer
      - .offset:         56
        .size:           4
        .value_kind:     by_value
      - .actual_access:  read_only
        .address_space:  global
        .offset:         64
        .size:           8
        .value_kind:     global_buffer
      - .offset:         72
        .size:           4
        .value_kind:     by_value
      - .offset:         76
        .size:           4
        .value_kind:     by_value
      - .offset:         80
        .size:           4
        .value_kind:     by_value
      - .actual_access:  read_only
        .address_space:  global
        .offset:         88
        .size:           8
        .value_kind:     global_buffer
      - .actual_access:  read_only
        .address_space:  global
        .offset:         96
        .size:           8
        .value_kind:     global_buffer
      - .actual_access:  read_only
        .address_space:  global
        .offset:         104
        .size:           8
        .value_kind:     global_buffer
      - .actual_access:  read_only
        .address_space:  global
        .offset:         112
        .size:           8
        .value_kind:     global_buffer
      - .offset:         120
        .size:           4
        .value_kind:     by_value
      - .address_space:  global
        .offset:         128
        .size:           8
        .value_kind:     global_buffer
      - .address_space:  global
        .offset:         136
        .size:           8
        .value_kind:     global_buffer
      - .offset:         144
        .size:           4
        .value_kind:     hidden_block_count_x
      - .offset:         148
        .size:           4
        .value_kind:     hidden_block_count_y
      - .offset:         152
        .size:           4
        .value_kind:     hidden_block_count_z
      - .offset:         156
        .size:           2
        .value_kind:     hidden_group_size_x
      - .offset:         158
        .size:           2
        .value_kind:     hidden_group_size_y
      - .offset:         160
        .size:           2
        .value_kind:     hidden_group_size_z
      - .offset:         162
        .size:           2
        .value_kind:     hidden_remainder_x
      - .offset:         164
        .size:           2
        .value_kind:     hidden_remainder_y
      - .offset:         166
        .size:           2
        .value_kind:     hidden_remainder_z
      - .offset:         184
        .size:           8
        .value_kind:     hidden_global_offset_x
      - .offset:         192
        .size:           8
        .value_kind:     hidden_global_offset_y
      - .offset:         200
        .size:           8
        .value_kind:     hidden_global_offset_z
      - .offset:         208
        .size:           2
        .value_kind:     hidden_grid_dims
      - .offset:         224
        .size:           8
        .value_kind:     hidden_hostcall_buffer
    .group_segment_fixed_size: 8192
    .kernarg_segment_align: 8
    .kernarg_segment_size: 400
    .language:       OpenCL C
    .language_version:
      - 2
      - 0
    .max_flat_workgroup_size: 256
    .name:           _Z39paged_attention_ll4mi_QKV_mfma16_kernelIDF16_hLN4vllm18Fp8KVCacheDataTypeE1EDF16_Li32ELi64ELi256ELb1ELi15EL8MFMAType1EEvPKT_PKT0_S8_ifPKiSA_SA_iPKfiiiPfSD_PS3_PT2_iSC_SC_
    .private_segment_fixed_size: 64
    .sgpr_count:     40
    .sgpr_spill_count: 0
    .symbol:         _Z39paged_attention_ll4mi_QKV_mfma16_kernelIDF16_hLN4vllm18Fp8KVCacheDataTypeE1EDF16_Li32ELi64ELi256ELb1ELi15EL8MFMAType1EEvPKT_PKT0_S8_ifPKiSA_SA_iPKfiiiPfSD_PS3_PT2_iSC_SC_.kd
    .uniform_work_group_size: 1
    .uses_dynamic_stack: false
    .vgpr_count:     45
    .vgpr_spill_count: 0
    .wavefront_size: 64
  - .agpr_count:     1
    .args:
      - .actual_access:  read_only
        .address_space:  global
        .offset:         0
        .size:           8
        .value_kind:     global_buffer
      - .actual_access:  read_only
        .address_space:  global
        .offset:         8
        .size:           8
        .value_kind:     global_buffer
      - .actual_access:  read_only
        .address_space:  global
        .offset:         16
        .size:           8
        .value_kind:     global_buffer
      - .offset:         24
        .size:           4
        .value_kind:     by_value
      - .offset:         28
        .size:           4
        .value_kind:     by_value
      - .actual_access:  read_only
        .address_space:  global
        .offset:         32
        .size:           8
        .value_kind:     global_buffer
      - .actual_access:  read_only
        .address_space:  global
        .offset:         40
        .size:           8
        .value_kind:     global_buffer
      - .actual_access:  read_only
        .address_space:  global
        .offset:         48
        .size:           8
        .value_kind:     global_buffer
      - .offset:         56
        .size:           4
        .value_kind:     by_value
      - .actual_access:  read_only
        .address_space:  global
        .offset:         64
        .size:           8
        .value_kind:     global_buffer
      - .offset:         72
        .size:           4
        .value_kind:     by_value
      - .offset:         76
        .size:           4
        .value_kind:     by_value
      - .offset:         80
        .size:           4
        .value_kind:     by_value
      - .actual_access:  read_only
        .address_space:  global
        .offset:         88
        .size:           8
        .value_kind:     global_buffer
      - .actual_access:  read_only
        .address_space:  global
        .offset:         96
        .size:           8
        .value_kind:     global_buffer
      - .actual_access:  read_only
        .address_space:  global
        .offset:         104
        .size:           8
        .value_kind:     global_buffer
      - .actual_access:  read_only
        .address_space:  global
        .offset:         112
        .size:           8
        .value_kind:     global_buffer
      - .offset:         120
        .size:           4
        .value_kind:     by_value
      - .address_space:  global
        .offset:         128
        .size:           8
        .value_kind:     global_buffer
      - .address_space:  global
        .offset:         136
        .size:           8
        .value_kind:     global_buffer
      - .offset:         144
        .size:           4
        .value_kind:     hidden_block_count_x
      - .offset:         148
        .size:           4
        .value_kind:     hidden_block_count_y
      - .offset:         152
        .size:           4
        .value_kind:     hidden_block_count_z
      - .offset:         156
        .size:           2
        .value_kind:     hidden_group_size_x
      - .offset:         158
        .size:           2
        .value_kind:     hidden_group_size_y
      - .offset:         160
        .size:           2
        .value_kind:     hidden_group_size_z
      - .offset:         162
        .size:           2
        .value_kind:     hidden_remainder_x
      - .offset:         164
        .size:           2
        .value_kind:     hidden_remainder_y
      - .offset:         166
        .size:           2
        .value_kind:     hidden_remainder_z
      - .offset:         184
        .size:           8
        .value_kind:     hidden_global_offset_x
      - .offset:         192
        .size:           8
        .value_kind:     hidden_global_offset_y
      - .offset:         200
        .size:           8
        .value_kind:     hidden_global_offset_z
      - .offset:         208
        .size:           2
        .value_kind:     hidden_grid_dims
      - .offset:         224
        .size:           8
        .value_kind:     hidden_hostcall_buffer
    .group_segment_fixed_size: 8192
    .kernarg_segment_align: 8
    .kernarg_segment_size: 400
    .language:       OpenCL C
    .language_version:
      - 2
      - 0
    .max_flat_workgroup_size: 256
    .name:           _Z39paged_attention_ll4mi_QKV_mfma16_kernelIDF16_hLN4vllm18Fp8KVCacheDataTypeE1EDF16_Li32ELi64ELi256ELb1ELi16EL8MFMAType1EEvPKT_PKT0_S8_ifPKiSA_SA_iPKfiiiPfSD_PS3_PT2_iSC_SC_
    .private_segment_fixed_size: 64
    .sgpr_count:     40
    .sgpr_spill_count: 0
    .symbol:         _Z39paged_attention_ll4mi_QKV_mfma16_kernelIDF16_hLN4vllm18Fp8KVCacheDataTypeE1EDF16_Li32ELi64ELi256ELb1ELi16EL8MFMAType1EEvPKT_PKT0_S8_ifPKiSA_SA_iPKfiiiPfSD_PS3_PT2_iSC_SC_.kd
    .uniform_work_group_size: 1
    .uses_dynamic_stack: false
    .vgpr_count:     45
    .vgpr_spill_count: 0
    .wavefront_size: 64
  - .agpr_count:     1
    .args:
      - .actual_access:  read_only
        .address_space:  global
        .offset:         0
        .size:           8
        .value_kind:     global_buffer
      - .actual_access:  read_only
        .address_space:  global
        .offset:         8
        .size:           8
        .value_kind:     global_buffer
      - .actual_access:  read_only
        .address_space:  global
        .offset:         16
        .size:           8
        .value_kind:     global_buffer
      - .offset:         24
        .size:           4
        .value_kind:     by_value
      - .offset:         28
        .size:           4
        .value_kind:     by_value
      - .actual_access:  read_only
        .address_space:  global
        .offset:         32
        .size:           8
        .value_kind:     global_buffer
      - .actual_access:  read_only
        .address_space:  global
        .offset:         40
        .size:           8
        .value_kind:     global_buffer
      - .actual_access:  read_only
        .address_space:  global
        .offset:         48
        .size:           8
        .value_kind:     global_buffer
      - .offset:         56
        .size:           4
        .value_kind:     by_value
      - .actual_access:  read_only
        .address_space:  global
        .offset:         64
        .size:           8
        .value_kind:     global_buffer
      - .offset:         72
        .size:           4
        .value_kind:     by_value
      - .offset:         76
        .size:           4
        .value_kind:     by_value
      - .offset:         80
        .size:           4
        .value_kind:     by_value
      - .actual_access:  read_only
        .address_space:  global
        .offset:         88
        .size:           8
        .value_kind:     global_buffer
      - .actual_access:  read_only
        .address_space:  global
        .offset:         96
        .size:           8
        .value_kind:     global_buffer
      - .actual_access:  read_only
        .address_space:  global
        .offset:         104
        .size:           8
        .value_kind:     global_buffer
      - .actual_access:  read_only
        .address_space:  global
        .offset:         112
        .size:           8
        .value_kind:     global_buffer
      - .offset:         120
        .size:           4
        .value_kind:     by_value
      - .address_space:  global
        .offset:         128
        .size:           8
        .value_kind:     global_buffer
      - .address_space:  global
        .offset:         136
        .size:           8
        .value_kind:     global_buffer
      - .offset:         144
        .size:           4
        .value_kind:     hidden_block_count_x
      - .offset:         148
        .size:           4
        .value_kind:     hidden_block_count_y
      - .offset:         152
        .size:           4
        .value_kind:     hidden_block_count_z
      - .offset:         156
        .size:           2
        .value_kind:     hidden_group_size_x
      - .offset:         158
        .size:           2
        .value_kind:     hidden_group_size_y
      - .offset:         160
        .size:           2
        .value_kind:     hidden_group_size_z
      - .offset:         162
        .size:           2
        .value_kind:     hidden_remainder_x
      - .offset:         164
        .size:           2
        .value_kind:     hidden_remainder_y
      - .offset:         166
        .size:           2
        .value_kind:     hidden_remainder_z
      - .offset:         184
        .size:           8
        .value_kind:     hidden_global_offset_x
      - .offset:         192
        .size:           8
        .value_kind:     hidden_global_offset_y
      - .offset:         200
        .size:           8
        .value_kind:     hidden_global_offset_z
      - .offset:         208
        .size:           2
        .value_kind:     hidden_grid_dims
      - .offset:         224
        .size:           8
        .value_kind:     hidden_hostcall_buffer
    .group_segment_fixed_size: 8192
    .kernarg_segment_align: 8
    .kernarg_segment_size: 400
    .language:       OpenCL C
    .language_version:
      - 2
      - 0
    .max_flat_workgroup_size: 256
    .name:           _Z39paged_attention_ll4mi_QKV_mfma16_kernelIDF16_hLN4vllm18Fp8KVCacheDataTypeE1EDF16_Li32ELi64ELi256ELb1ELi1EL8MFMAType1EEvPKT_PKT0_S8_ifPKiSA_SA_iPKfiiiPfSD_PS3_PT2_iSC_SC_
    .private_segment_fixed_size: 64
    .sgpr_count:     40
    .sgpr_spill_count: 0
    .symbol:         _Z39paged_attention_ll4mi_QKV_mfma16_kernelIDF16_hLN4vllm18Fp8KVCacheDataTypeE1EDF16_Li32ELi64ELi256ELb1ELi1EL8MFMAType1EEvPKT_PKT0_S8_ifPKiSA_SA_iPKfiiiPfSD_PS3_PT2_iSC_SC_.kd
    .uniform_work_group_size: 1
    .uses_dynamic_stack: false
    .vgpr_count:     45
    .vgpr_spill_count: 0
    .wavefront_size: 64
  - .agpr_count:     1
    .args:
      - .actual_access:  read_only
        .address_space:  global
        .offset:         0
        .size:           8
        .value_kind:     global_buffer
      - .actual_access:  read_only
        .address_space:  global
        .offset:         8
        .size:           8
        .value_kind:     global_buffer
      - .actual_access:  read_only
        .address_space:  global
        .offset:         16
        .size:           8
        .value_kind:     global_buffer
      - .offset:         24
        .size:           4
        .value_kind:     by_value
      - .offset:         28
        .size:           4
        .value_kind:     by_value
      - .actual_access:  read_only
        .address_space:  global
        .offset:         32
        .size:           8
        .value_kind:     global_buffer
      - .actual_access:  read_only
        .address_space:  global
        .offset:         40
        .size:           8
        .value_kind:     global_buffer
      - .actual_access:  read_only
        .address_space:  global
        .offset:         48
        .size:           8
        .value_kind:     global_buffer
      - .offset:         56
        .size:           4
        .value_kind:     by_value
      - .actual_access:  read_only
        .address_space:  global
        .offset:         64
        .size:           8
        .value_kind:     global_buffer
      - .offset:         72
        .size:           4
        .value_kind:     by_value
      - .offset:         76
        .size:           4
        .value_kind:     by_value
      - .offset:         80
        .size:           4
        .value_kind:     by_value
      - .actual_access:  read_only
        .address_space:  global
        .offset:         88
        .size:           8
        .value_kind:     global_buffer
      - .actual_access:  read_only
        .address_space:  global
        .offset:         96
        .size:           8
        .value_kind:     global_buffer
      - .actual_access:  read_only
        .address_space:  global
        .offset:         104
        .size:           8
        .value_kind:     global_buffer
      - .actual_access:  read_only
        .address_space:  global
        .offset:         112
        .size:           8
        .value_kind:     global_buffer
      - .offset:         120
        .size:           4
        .value_kind:     by_value
      - .address_space:  global
        .offset:         128
        .size:           8
        .value_kind:     global_buffer
      - .address_space:  global
        .offset:         136
        .size:           8
        .value_kind:     global_buffer
      - .offset:         144
        .size:           4
        .value_kind:     hidden_block_count_x
      - .offset:         148
        .size:           4
        .value_kind:     hidden_block_count_y
      - .offset:         152
        .size:           4
        .value_kind:     hidden_block_count_z
      - .offset:         156
        .size:           2
        .value_kind:     hidden_group_size_x
      - .offset:         158
        .size:           2
        .value_kind:     hidden_group_size_y
      - .offset:         160
        .size:           2
        .value_kind:     hidden_group_size_z
      - .offset:         162
        .size:           2
        .value_kind:     hidden_remainder_x
      - .offset:         164
        .size:           2
        .value_kind:     hidden_remainder_y
      - .offset:         166
        .size:           2
        .value_kind:     hidden_remainder_z
      - .offset:         184
        .size:           8
        .value_kind:     hidden_global_offset_x
      - .offset:         192
        .size:           8
        .value_kind:     hidden_global_offset_y
      - .offset:         200
        .size:           8
        .value_kind:     hidden_global_offset_z
      - .offset:         208
        .size:           2
        .value_kind:     hidden_grid_dims
      - .offset:         224
        .size:           8
        .value_kind:     hidden_hostcall_buffer
    .group_segment_fixed_size: 8192
    .kernarg_segment_align: 8
    .kernarg_segment_size: 400
    .language:       OpenCL C
    .language_version:
      - 2
      - 0
    .max_flat_workgroup_size: 256
    .name:           _Z39paged_attention_ll4mi_QKV_mfma16_kernelIDF16_hLN4vllm18Fp8KVCacheDataTypeE1EDF16_Li32ELi64ELi256ELb1ELi2EL8MFMAType1EEvPKT_PKT0_S8_ifPKiSA_SA_iPKfiiiPfSD_PS3_PT2_iSC_SC_
    .private_segment_fixed_size: 64
    .sgpr_count:     40
    .sgpr_spill_count: 0
    .symbol:         _Z39paged_attention_ll4mi_QKV_mfma16_kernelIDF16_hLN4vllm18Fp8KVCacheDataTypeE1EDF16_Li32ELi64ELi256ELb1ELi2EL8MFMAType1EEvPKT_PKT0_S8_ifPKiSA_SA_iPKfiiiPfSD_PS3_PT2_iSC_SC_.kd
    .uniform_work_group_size: 1
    .uses_dynamic_stack: false
    .vgpr_count:     45
    .vgpr_spill_count: 0
    .wavefront_size: 64
  - .agpr_count:     1
    .args:
      - .actual_access:  read_only
        .address_space:  global
        .offset:         0
        .size:           8
        .value_kind:     global_buffer
      - .actual_access:  read_only
        .address_space:  global
        .offset:         8
        .size:           8
        .value_kind:     global_buffer
      - .actual_access:  read_only
        .address_space:  global
        .offset:         16
        .size:           8
        .value_kind:     global_buffer
      - .offset:         24
        .size:           4
        .value_kind:     by_value
      - .offset:         28
        .size:           4
        .value_kind:     by_value
      - .actual_access:  read_only
        .address_space:  global
        .offset:         32
        .size:           8
        .value_kind:     global_buffer
      - .actual_access:  read_only
        .address_space:  global
        .offset:         40
        .size:           8
        .value_kind:     global_buffer
      - .actual_access:  read_only
        .address_space:  global
        .offset:         48
        .size:           8
        .value_kind:     global_buffer
      - .offset:         56
        .size:           4
        .value_kind:     by_value
      - .actual_access:  read_only
        .address_space:  global
        .offset:         64
        .size:           8
        .value_kind:     global_buffer
      - .offset:         72
        .size:           4
        .value_kind:     by_value
      - .offset:         76
        .size:           4
        .value_kind:     by_value
      - .offset:         80
        .size:           4
        .value_kind:     by_value
      - .actual_access:  read_only
        .address_space:  global
        .offset:         88
        .size:           8
        .value_kind:     global_buffer
      - .actual_access:  read_only
        .address_space:  global
        .offset:         96
        .size:           8
        .value_kind:     global_buffer
      - .actual_access:  read_only
        .address_space:  global
        .offset:         104
        .size:           8
        .value_kind:     global_buffer
      - .actual_access:  read_only
        .address_space:  global
        .offset:         112
        .size:           8
        .value_kind:     global_buffer
      - .offset:         120
        .size:           4
        .value_kind:     by_value
      - .address_space:  global
        .offset:         128
        .size:           8
        .value_kind:     global_buffer
      - .address_space:  global
        .offset:         136
        .size:           8
        .value_kind:     global_buffer
      - .offset:         144
        .size:           4
        .value_kind:     hidden_block_count_x
      - .offset:         148
        .size:           4
        .value_kind:     hidden_block_count_y
      - .offset:         152
        .size:           4
        .value_kind:     hidden_block_count_z
      - .offset:         156
        .size:           2
        .value_kind:     hidden_group_size_x
      - .offset:         158
        .size:           2
        .value_kind:     hidden_group_size_y
      - .offset:         160
        .size:           2
        .value_kind:     hidden_group_size_z
      - .offset:         162
        .size:           2
        .value_kind:     hidden_remainder_x
      - .offset:         164
        .size:           2
        .value_kind:     hidden_remainder_y
      - .offset:         166
        .size:           2
        .value_kind:     hidden_remainder_z
      - .offset:         184
        .size:           8
        .value_kind:     hidden_global_offset_x
      - .offset:         192
        .size:           8
        .value_kind:     hidden_global_offset_y
      - .offset:         200
        .size:           8
        .value_kind:     hidden_global_offset_z
      - .offset:         208
        .size:           2
        .value_kind:     hidden_grid_dims
      - .offset:         224
        .size:           8
        .value_kind:     hidden_hostcall_buffer
    .group_segment_fixed_size: 8192
    .kernarg_segment_align: 8
    .kernarg_segment_size: 400
    .language:       OpenCL C
    .language_version:
      - 2
      - 0
    .max_flat_workgroup_size: 256
    .name:           _Z39paged_attention_ll4mi_QKV_mfma16_kernelIDF16_hLN4vllm18Fp8KVCacheDataTypeE1EDF16_Li32ELi64ELi256ELb1ELi3EL8MFMAType1EEvPKT_PKT0_S8_ifPKiSA_SA_iPKfiiiPfSD_PS3_PT2_iSC_SC_
    .private_segment_fixed_size: 64
    .sgpr_count:     40
    .sgpr_spill_count: 0
    .symbol:         _Z39paged_attention_ll4mi_QKV_mfma16_kernelIDF16_hLN4vllm18Fp8KVCacheDataTypeE1EDF16_Li32ELi64ELi256ELb1ELi3EL8MFMAType1EEvPKT_PKT0_S8_ifPKiSA_SA_iPKfiiiPfSD_PS3_PT2_iSC_SC_.kd
    .uniform_work_group_size: 1
    .uses_dynamic_stack: false
    .vgpr_count:     45
    .vgpr_spill_count: 0
    .wavefront_size: 64
  - .agpr_count:     1
    .args:
      - .actual_access:  read_only
        .address_space:  global
        .offset:         0
        .size:           8
        .value_kind:     global_buffer
      - .actual_access:  read_only
        .address_space:  global
        .offset:         8
        .size:           8
        .value_kind:     global_buffer
      - .actual_access:  read_only
        .address_space:  global
        .offset:         16
        .size:           8
        .value_kind:     global_buffer
      - .offset:         24
        .size:           4
        .value_kind:     by_value
      - .offset:         28
        .size:           4
        .value_kind:     by_value
      - .actual_access:  read_only
        .address_space:  global
        .offset:         32
        .size:           8
        .value_kind:     global_buffer
      - .actual_access:  read_only
        .address_space:  global
        .offset:         40
        .size:           8
        .value_kind:     global_buffer
      - .actual_access:  read_only
        .address_space:  global
        .offset:         48
        .size:           8
        .value_kind:     global_buffer
      - .offset:         56
        .size:           4
        .value_kind:     by_value
      - .actual_access:  read_only
        .address_space:  global
        .offset:         64
        .size:           8
        .value_kind:     global_buffer
      - .offset:         72
        .size:           4
        .value_kind:     by_value
      - .offset:         76
        .size:           4
        .value_kind:     by_value
      - .offset:         80
        .size:           4
        .value_kind:     by_value
      - .actual_access:  read_only
        .address_space:  global
        .offset:         88
        .size:           8
        .value_kind:     global_buffer
      - .actual_access:  read_only
        .address_space:  global
        .offset:         96
        .size:           8
        .value_kind:     global_buffer
      - .actual_access:  read_only
        .address_space:  global
        .offset:         104
        .size:           8
        .value_kind:     global_buffer
      - .actual_access:  read_only
        .address_space:  global
        .offset:         112
        .size:           8
        .value_kind:     global_buffer
      - .offset:         120
        .size:           4
        .value_kind:     by_value
      - .address_space:  global
        .offset:         128
        .size:           8
        .value_kind:     global_buffer
      - .address_space:  global
        .offset:         136
        .size:           8
        .value_kind:     global_buffer
      - .offset:         144
        .size:           4
        .value_kind:     hidden_block_count_x
      - .offset:         148
        .size:           4
        .value_kind:     hidden_block_count_y
      - .offset:         152
        .size:           4
        .value_kind:     hidden_block_count_z
      - .offset:         156
        .size:           2
        .value_kind:     hidden_group_size_x
      - .offset:         158
        .size:           2
        .value_kind:     hidden_group_size_y
      - .offset:         160
        .size:           2
        .value_kind:     hidden_group_size_z
      - .offset:         162
        .size:           2
        .value_kind:     hidden_remainder_x
      - .offset:         164
        .size:           2
        .value_kind:     hidden_remainder_y
      - .offset:         166
        .size:           2
        .value_kind:     hidden_remainder_z
      - .offset:         184
        .size:           8
        .value_kind:     hidden_global_offset_x
      - .offset:         192
        .size:           8
        .value_kind:     hidden_global_offset_y
      - .offset:         200
        .size:           8
        .value_kind:     hidden_global_offset_z
      - .offset:         208
        .size:           2
        .value_kind:     hidden_grid_dims
      - .offset:         224
        .size:           8
        .value_kind:     hidden_hostcall_buffer
    .group_segment_fixed_size: 8192
    .kernarg_segment_align: 8
    .kernarg_segment_size: 400
    .language:       OpenCL C
    .language_version:
      - 2
      - 0
    .max_flat_workgroup_size: 256
    .name:           _Z39paged_attention_ll4mi_QKV_mfma16_kernelIDF16_hLN4vllm18Fp8KVCacheDataTypeE1EDF16_Li32ELi64ELi256ELb1ELi4EL8MFMAType1EEvPKT_PKT0_S8_ifPKiSA_SA_iPKfiiiPfSD_PS3_PT2_iSC_SC_
    .private_segment_fixed_size: 64
    .sgpr_count:     40
    .sgpr_spill_count: 0
    .symbol:         _Z39paged_attention_ll4mi_QKV_mfma16_kernelIDF16_hLN4vllm18Fp8KVCacheDataTypeE1EDF16_Li32ELi64ELi256ELb1ELi4EL8MFMAType1EEvPKT_PKT0_S8_ifPKiSA_SA_iPKfiiiPfSD_PS3_PT2_iSC_SC_.kd
    .uniform_work_group_size: 1
    .uses_dynamic_stack: false
    .vgpr_count:     45
    .vgpr_spill_count: 0
    .wavefront_size: 64
  - .agpr_count:     4
    .args:
      - .actual_access:  read_only
        .address_space:  global
        .offset:         0
        .size:           8
        .value_kind:     global_buffer
      - .actual_access:  read_only
        .address_space:  global
        .offset:         8
        .size:           8
        .value_kind:     global_buffer
      - .actual_access:  read_only
        .address_space:  global
        .offset:         16
        .size:           8
        .value_kind:     global_buffer
      - .offset:         24
        .size:           4
        .value_kind:     by_value
      - .offset:         28
        .size:           4
        .value_kind:     by_value
      - .actual_access:  read_only
        .address_space:  global
        .offset:         32
        .size:           8
        .value_kind:     global_buffer
      - .actual_access:  read_only
        .address_space:  global
        .offset:         40
        .size:           8
        .value_kind:     global_buffer
      - .actual_access:  read_only
        .address_space:  global
        .offset:         48
        .size:           8
        .value_kind:     global_buffer
      - .offset:         56
        .size:           4
        .value_kind:     by_value
      - .actual_access:  read_only
        .address_space:  global
        .offset:         64
        .size:           8
        .value_kind:     global_buffer
      - .offset:         72
        .size:           4
        .value_kind:     by_value
      - .offset:         76
        .size:           4
        .value_kind:     by_value
      - .offset:         80
        .size:           4
        .value_kind:     by_value
      - .actual_access:  write_only
        .address_space:  global
        .offset:         88
        .size:           8
        .value_kind:     global_buffer
      - .actual_access:  write_only
        .address_space:  global
        .offset:         96
        .size:           8
        .value_kind:     global_buffer
      - .actual_access:  write_only
        .address_space:  global
        .offset:         104
        .size:           8
        .value_kind:     global_buffer
      - .actual_access:  read_only
        .address_space:  global
        .offset:         112
        .size:           8
        .value_kind:     global_buffer
      - .offset:         120
        .size:           4
        .value_kind:     by_value
      - .address_space:  global
        .offset:         128
        .size:           8
        .value_kind:     global_buffer
      - .address_space:  global
        .offset:         136
        .size:           8
        .value_kind:     global_buffer
      - .offset:         144
        .size:           4
        .value_kind:     hidden_block_count_x
      - .offset:         148
        .size:           4
        .value_kind:     hidden_block_count_y
      - .offset:         152
        .size:           4
        .value_kind:     hidden_block_count_z
      - .offset:         156
        .size:           2
        .value_kind:     hidden_group_size_x
      - .offset:         158
        .size:           2
        .value_kind:     hidden_group_size_y
      - .offset:         160
        .size:           2
        .value_kind:     hidden_group_size_z
      - .offset:         162
        .size:           2
        .value_kind:     hidden_remainder_x
      - .offset:         164
        .size:           2
        .value_kind:     hidden_remainder_y
      - .offset:         166
        .size:           2
        .value_kind:     hidden_remainder_z
      - .offset:         184
        .size:           8
        .value_kind:     hidden_global_offset_x
      - .offset:         192
        .size:           8
        .value_kind:     hidden_global_offset_y
      - .offset:         200
        .size:           8
        .value_kind:     hidden_global_offset_z
      - .offset:         208
        .size:           2
        .value_kind:     hidden_grid_dims
    .group_segment_fixed_size: 2720
    .kernarg_segment_align: 8
    .kernarg_segment_size: 400
    .language:       OpenCL C
    .language_version:
      - 2
      - 0
    .max_flat_workgroup_size: 256
    .name:           _Z38paged_attention_ll4mi_QKV_mfma4_kernelIDF16_hLN4vllm18Fp8KVCacheDataTypeE1EDF16_Li32ELi64ELi256ELb0ELi1EEvPKT_PKT0_S7_ifPKiS9_S9_iPKfiiiPfSC_PS2_PT2_iSB_SB_
    .private_segment_fixed_size: 0
    .sgpr_count:     46
    .sgpr_spill_count: 0
    .symbol:         _Z38paged_attention_ll4mi_QKV_mfma4_kernelIDF16_hLN4vllm18Fp8KVCacheDataTypeE1EDF16_Li32ELi64ELi256ELb0ELi1EEvPKT_PKT0_S7_ifPKiS9_S9_iPKfiiiPfSC_PS2_PT2_iSB_SB_.kd
    .uniform_work_group_size: 1
    .uses_dynamic_stack: false
    .vgpr_count:     60
    .vgpr_spill_count: 0
    .wavefront_size: 64
  - .agpr_count:     4
    .args:
      - .actual_access:  read_only
        .address_space:  global
        .offset:         0
        .size:           8
        .value_kind:     global_buffer
      - .actual_access:  read_only
        .address_space:  global
        .offset:         8
        .size:           8
        .value_kind:     global_buffer
      - .actual_access:  read_only
        .address_space:  global
        .offset:         16
        .size:           8
        .value_kind:     global_buffer
      - .offset:         24
        .size:           4
        .value_kind:     by_value
      - .offset:         28
        .size:           4
        .value_kind:     by_value
      - .actual_access:  read_only
        .address_space:  global
        .offset:         32
        .size:           8
        .value_kind:     global_buffer
      - .actual_access:  read_only
        .address_space:  global
        .offset:         40
        .size:           8
        .value_kind:     global_buffer
      - .actual_access:  read_only
        .address_space:  global
        .offset:         48
        .size:           8
        .value_kind:     global_buffer
      - .offset:         56
        .size:           4
        .value_kind:     by_value
      - .actual_access:  read_only
        .address_space:  global
        .offset:         64
        .size:           8
        .value_kind:     global_buffer
      - .offset:         72
        .size:           4
        .value_kind:     by_value
      - .offset:         76
        .size:           4
        .value_kind:     by_value
      - .offset:         80
        .size:           4
        .value_kind:     by_value
      - .actual_access:  write_only
        .address_space:  global
        .offset:         88
        .size:           8
        .value_kind:     global_buffer
      - .actual_access:  write_only
        .address_space:  global
        .offset:         96
        .size:           8
        .value_kind:     global_buffer
      - .actual_access:  write_only
        .address_space:  global
        .offset:         104
        .size:           8
        .value_kind:     global_buffer
      - .actual_access:  read_only
        .address_space:  global
        .offset:         112
        .size:           8
        .value_kind:     global_buffer
      - .offset:         120
        .size:           4
        .value_kind:     by_value
      - .address_space:  global
        .offset:         128
        .size:           8
        .value_kind:     global_buffer
      - .address_space:  global
        .offset:         136
        .size:           8
        .value_kind:     global_buffer
      - .offset:         144
        .size:           4
        .value_kind:     hidden_block_count_x
      - .offset:         148
        .size:           4
        .value_kind:     hidden_block_count_y
      - .offset:         152
        .size:           4
        .value_kind:     hidden_block_count_z
      - .offset:         156
        .size:           2
        .value_kind:     hidden_group_size_x
      - .offset:         158
        .size:           2
        .value_kind:     hidden_group_size_y
      - .offset:         160
        .size:           2
        .value_kind:     hidden_group_size_z
      - .offset:         162
        .size:           2
        .value_kind:     hidden_remainder_x
      - .offset:         164
        .size:           2
        .value_kind:     hidden_remainder_y
      - .offset:         166
        .size:           2
        .value_kind:     hidden_remainder_z
      - .offset:         184
        .size:           8
        .value_kind:     hidden_global_offset_x
      - .offset:         192
        .size:           8
        .value_kind:     hidden_global_offset_y
      - .offset:         200
        .size:           8
        .value_kind:     hidden_global_offset_z
      - .offset:         208
        .size:           2
        .value_kind:     hidden_grid_dims
    .group_segment_fixed_size: 2720
    .kernarg_segment_align: 8
    .kernarg_segment_size: 400
    .language:       OpenCL C
    .language_version:
      - 2
      - 0
    .max_flat_workgroup_size: 256
    .name:           _Z38paged_attention_ll4mi_QKV_mfma4_kernelIDF16_hLN4vllm18Fp8KVCacheDataTypeE1EDF16_Li32ELi64ELi256ELb0ELi2EEvPKT_PKT0_S7_ifPKiS9_S9_iPKfiiiPfSC_PS2_PT2_iSB_SB_
    .private_segment_fixed_size: 0
    .sgpr_count:     46
    .sgpr_spill_count: 0
    .symbol:         _Z38paged_attention_ll4mi_QKV_mfma4_kernelIDF16_hLN4vllm18Fp8KVCacheDataTypeE1EDF16_Li32ELi64ELi256ELb0ELi2EEvPKT_PKT0_S7_ifPKiS9_S9_iPKfiiiPfSC_PS2_PT2_iSB_SB_.kd
    .uniform_work_group_size: 1
    .uses_dynamic_stack: false
    .vgpr_count:     60
    .vgpr_spill_count: 0
    .wavefront_size: 64
  - .agpr_count:     4
    .args:
      - .actual_access:  read_only
        .address_space:  global
        .offset:         0
        .size:           8
        .value_kind:     global_buffer
      - .actual_access:  read_only
        .address_space:  global
        .offset:         8
        .size:           8
        .value_kind:     global_buffer
      - .actual_access:  read_only
        .address_space:  global
        .offset:         16
        .size:           8
        .value_kind:     global_buffer
      - .offset:         24
        .size:           4
        .value_kind:     by_value
      - .offset:         28
        .size:           4
        .value_kind:     by_value
      - .actual_access:  read_only
        .address_space:  global
        .offset:         32
        .size:           8
        .value_kind:     global_buffer
      - .actual_access:  read_only
        .address_space:  global
        .offset:         40
        .size:           8
        .value_kind:     global_buffer
      - .actual_access:  read_only
        .address_space:  global
        .offset:         48
        .size:           8
        .value_kind:     global_buffer
      - .offset:         56
        .size:           4
        .value_kind:     by_value
      - .actual_access:  read_only
        .address_space:  global
        .offset:         64
        .size:           8
        .value_kind:     global_buffer
      - .offset:         72
        .size:           4
        .value_kind:     by_value
      - .offset:         76
        .size:           4
        .value_kind:     by_value
      - .offset:         80
        .size:           4
        .value_kind:     by_value
      - .actual_access:  write_only
        .address_space:  global
        .offset:         88
        .size:           8
        .value_kind:     global_buffer
      - .actual_access:  write_only
        .address_space:  global
        .offset:         96
        .size:           8
        .value_kind:     global_buffer
      - .actual_access:  write_only
        .address_space:  global
        .offset:         104
        .size:           8
        .value_kind:     global_buffer
      - .actual_access:  read_only
        .address_space:  global
        .offset:         112
        .size:           8
        .value_kind:     global_buffer
      - .offset:         120
        .size:           4
        .value_kind:     by_value
      - .address_space:  global
        .offset:         128
        .size:           8
        .value_kind:     global_buffer
      - .address_space:  global
        .offset:         136
        .size:           8
        .value_kind:     global_buffer
      - .offset:         144
        .size:           4
        .value_kind:     hidden_block_count_x
      - .offset:         148
        .size:           4
        .value_kind:     hidden_block_count_y
      - .offset:         152
        .size:           4
        .value_kind:     hidden_block_count_z
      - .offset:         156
        .size:           2
        .value_kind:     hidden_group_size_x
      - .offset:         158
        .size:           2
        .value_kind:     hidden_group_size_y
      - .offset:         160
        .size:           2
        .value_kind:     hidden_group_size_z
      - .offset:         162
        .size:           2
        .value_kind:     hidden_remainder_x
      - .offset:         164
        .size:           2
        .value_kind:     hidden_remainder_y
      - .offset:         166
        .size:           2
        .value_kind:     hidden_remainder_z
      - .offset:         184
        .size:           8
        .value_kind:     hidden_global_offset_x
      - .offset:         192
        .size:           8
        .value_kind:     hidden_global_offset_y
      - .offset:         200
        .size:           8
        .value_kind:     hidden_global_offset_z
      - .offset:         208
        .size:           2
        .value_kind:     hidden_grid_dims
    .group_segment_fixed_size: 2720
    .kernarg_segment_align: 8
    .kernarg_segment_size: 400
    .language:       OpenCL C
    .language_version:
      - 2
      - 0
    .max_flat_workgroup_size: 256
    .name:           _Z38paged_attention_ll4mi_QKV_mfma4_kernelIDF16_hLN4vllm18Fp8KVCacheDataTypeE1EDF16_Li32ELi64ELi256ELb0ELi3EEvPKT_PKT0_S7_ifPKiS9_S9_iPKfiiiPfSC_PS2_PT2_iSB_SB_
    .private_segment_fixed_size: 0
    .sgpr_count:     46
    .sgpr_spill_count: 0
    .symbol:         _Z38paged_attention_ll4mi_QKV_mfma4_kernelIDF16_hLN4vllm18Fp8KVCacheDataTypeE1EDF16_Li32ELi64ELi256ELb0ELi3EEvPKT_PKT0_S7_ifPKiS9_S9_iPKfiiiPfSC_PS2_PT2_iSB_SB_.kd
    .uniform_work_group_size: 1
    .uses_dynamic_stack: false
    .vgpr_count:     60
    .vgpr_spill_count: 0
    .wavefront_size: 64
  - .agpr_count:     4
    .args:
      - .actual_access:  read_only
        .address_space:  global
        .offset:         0
        .size:           8
        .value_kind:     global_buffer
      - .actual_access:  read_only
        .address_space:  global
        .offset:         8
        .size:           8
        .value_kind:     global_buffer
      - .actual_access:  read_only
        .address_space:  global
        .offset:         16
        .size:           8
        .value_kind:     global_buffer
      - .offset:         24
        .size:           4
        .value_kind:     by_value
      - .offset:         28
        .size:           4
        .value_kind:     by_value
      - .actual_access:  read_only
        .address_space:  global
        .offset:         32
        .size:           8
        .value_kind:     global_buffer
      - .actual_access:  read_only
        .address_space:  global
        .offset:         40
        .size:           8
        .value_kind:     global_buffer
      - .actual_access:  read_only
        .address_space:  global
        .offset:         48
        .size:           8
        .value_kind:     global_buffer
      - .offset:         56
        .size:           4
        .value_kind:     by_value
      - .actual_access:  read_only
        .address_space:  global
        .offset:         64
        .size:           8
        .value_kind:     global_buffer
      - .offset:         72
        .size:           4
        .value_kind:     by_value
      - .offset:         76
        .size:           4
        .value_kind:     by_value
      - .offset:         80
        .size:           4
        .value_kind:     by_value
      - .actual_access:  write_only
        .address_space:  global
        .offset:         88
        .size:           8
        .value_kind:     global_buffer
      - .actual_access:  write_only
        .address_space:  global
        .offset:         96
        .size:           8
        .value_kind:     global_buffer
      - .actual_access:  write_only
        .address_space:  global
        .offset:         104
        .size:           8
        .value_kind:     global_buffer
      - .actual_access:  read_only
        .address_space:  global
        .offset:         112
        .size:           8
        .value_kind:     global_buffer
      - .offset:         120
        .size:           4
        .value_kind:     by_value
      - .address_space:  global
        .offset:         128
        .size:           8
        .value_kind:     global_buffer
      - .address_space:  global
        .offset:         136
        .size:           8
        .value_kind:     global_buffer
      - .offset:         144
        .size:           4
        .value_kind:     hidden_block_count_x
      - .offset:         148
        .size:           4
        .value_kind:     hidden_block_count_y
      - .offset:         152
        .size:           4
        .value_kind:     hidden_block_count_z
      - .offset:         156
        .size:           2
        .value_kind:     hidden_group_size_x
      - .offset:         158
        .size:           2
        .value_kind:     hidden_group_size_y
      - .offset:         160
        .size:           2
        .value_kind:     hidden_group_size_z
      - .offset:         162
        .size:           2
        .value_kind:     hidden_remainder_x
      - .offset:         164
        .size:           2
        .value_kind:     hidden_remainder_y
      - .offset:         166
        .size:           2
        .value_kind:     hidden_remainder_z
      - .offset:         184
        .size:           8
        .value_kind:     hidden_global_offset_x
      - .offset:         192
        .size:           8
        .value_kind:     hidden_global_offset_y
      - .offset:         200
        .size:           8
        .value_kind:     hidden_global_offset_z
      - .offset:         208
        .size:           2
        .value_kind:     hidden_grid_dims
    .group_segment_fixed_size: 2720
    .kernarg_segment_align: 8
    .kernarg_segment_size: 400
    .language:       OpenCL C
    .language_version:
      - 2
      - 0
    .max_flat_workgroup_size: 256
    .name:           _Z38paged_attention_ll4mi_QKV_mfma4_kernelIDF16_hLN4vllm18Fp8KVCacheDataTypeE1EDF16_Li32ELi64ELi256ELb0ELi4EEvPKT_PKT0_S7_ifPKiS9_S9_iPKfiiiPfSC_PS2_PT2_iSB_SB_
    .private_segment_fixed_size: 0
    .sgpr_count:     48
    .sgpr_spill_count: 0
    .symbol:         _Z38paged_attention_ll4mi_QKV_mfma4_kernelIDF16_hLN4vllm18Fp8KVCacheDataTypeE1EDF16_Li32ELi64ELi256ELb0ELi4EEvPKT_PKT0_S7_ifPKiS9_S9_iPKfiiiPfSC_PS2_PT2_iSB_SB_.kd
    .uniform_work_group_size: 1
    .uses_dynamic_stack: false
    .vgpr_count:     60
    .vgpr_spill_count: 0
    .wavefront_size: 64
  - .agpr_count:     1
    .args:
      - .actual_access:  read_only
        .address_space:  global
        .offset:         0
        .size:           8
        .value_kind:     global_buffer
      - .actual_access:  read_only
        .address_space:  global
        .offset:         8
        .size:           8
        .value_kind:     global_buffer
      - .actual_access:  read_only
        .address_space:  global
        .offset:         16
        .size:           8
        .value_kind:     global_buffer
      - .offset:         24
        .size:           4
        .value_kind:     by_value
      - .offset:         28
        .size:           4
        .value_kind:     by_value
      - .actual_access:  read_only
        .address_space:  global
        .offset:         32
        .size:           8
        .value_kind:     global_buffer
      - .actual_access:  read_only
        .address_space:  global
        .offset:         40
        .size:           8
        .value_kind:     global_buffer
      - .actual_access:  read_only
        .address_space:  global
        .offset:         48
        .size:           8
        .value_kind:     global_buffer
      - .offset:         56
        .size:           4
        .value_kind:     by_value
      - .actual_access:  read_only
        .address_space:  global
        .offset:         64
        .size:           8
        .value_kind:     global_buffer
      - .offset:         72
        .size:           4
        .value_kind:     by_value
      - .offset:         76
        .size:           4
        .value_kind:     by_value
      - .offset:         80
        .size:           4
        .value_kind:     by_value
      - .actual_access:  read_only
        .address_space:  global
        .offset:         88
        .size:           8
        .value_kind:     global_buffer
      - .actual_access:  read_only
        .address_space:  global
        .offset:         96
        .size:           8
        .value_kind:     global_buffer
      - .actual_access:  read_only
        .address_space:  global
        .offset:         104
        .size:           8
        .value_kind:     global_buffer
      - .actual_access:  read_only
        .address_space:  global
        .offset:         112
        .size:           8
        .value_kind:     global_buffer
      - .offset:         120
        .size:           4
        .value_kind:     by_value
      - .address_space:  global
        .offset:         128
        .size:           8
        .value_kind:     global_buffer
      - .address_space:  global
        .offset:         136
        .size:           8
        .value_kind:     global_buffer
      - .offset:         144
        .size:           4
        .value_kind:     hidden_block_count_x
      - .offset:         148
        .size:           4
        .value_kind:     hidden_block_count_y
      - .offset:         152
        .size:           4
        .value_kind:     hidden_block_count_z
      - .offset:         156
        .size:           2
        .value_kind:     hidden_group_size_x
      - .offset:         158
        .size:           2
        .value_kind:     hidden_group_size_y
      - .offset:         160
        .size:           2
        .value_kind:     hidden_group_size_z
      - .offset:         162
        .size:           2
        .value_kind:     hidden_remainder_x
      - .offset:         164
        .size:           2
        .value_kind:     hidden_remainder_y
      - .offset:         166
        .size:           2
        .value_kind:     hidden_remainder_z
      - .offset:         184
        .size:           8
        .value_kind:     hidden_global_offset_x
      - .offset:         192
        .size:           8
        .value_kind:     hidden_global_offset_y
      - .offset:         200
        .size:           8
        .value_kind:     hidden_global_offset_z
      - .offset:         208
        .size:           2
        .value_kind:     hidden_grid_dims
      - .offset:         224
        .size:           8
        .value_kind:     hidden_hostcall_buffer
    .group_segment_fixed_size: 8192
    .kernarg_segment_align: 8
    .kernarg_segment_size: 400
    .language:       OpenCL C
    .language_version:
      - 2
      - 0
    .max_flat_workgroup_size: 256
    .name:           _Z39paged_attention_ll4mi_QKV_mfma16_kernelIDF16_hLN4vllm18Fp8KVCacheDataTypeE1EDF16_Li32ELi64ELi256ELb0ELi5EL8MFMAType1EEvPKT_PKT0_S8_ifPKiSA_SA_iPKfiiiPfSD_PS3_PT2_iSC_SC_
    .private_segment_fixed_size: 64
    .sgpr_count:     40
    .sgpr_spill_count: 0
    .symbol:         _Z39paged_attention_ll4mi_QKV_mfma16_kernelIDF16_hLN4vllm18Fp8KVCacheDataTypeE1EDF16_Li32ELi64ELi256ELb0ELi5EL8MFMAType1EEvPKT_PKT0_S8_ifPKiSA_SA_iPKfiiiPfSD_PS3_PT2_iSC_SC_.kd
    .uniform_work_group_size: 1
    .uses_dynamic_stack: false
    .vgpr_count:     45
    .vgpr_spill_count: 0
    .wavefront_size: 64
  - .agpr_count:     1
    .args:
      - .actual_access:  read_only
        .address_space:  global
        .offset:         0
        .size:           8
        .value_kind:     global_buffer
      - .actual_access:  read_only
        .address_space:  global
        .offset:         8
        .size:           8
        .value_kind:     global_buffer
      - .actual_access:  read_only
        .address_space:  global
        .offset:         16
        .size:           8
        .value_kind:     global_buffer
      - .offset:         24
        .size:           4
        .value_kind:     by_value
      - .offset:         28
        .size:           4
        .value_kind:     by_value
      - .actual_access:  read_only
        .address_space:  global
        .offset:         32
        .size:           8
        .value_kind:     global_buffer
      - .actual_access:  read_only
        .address_space:  global
        .offset:         40
        .size:           8
        .value_kind:     global_buffer
      - .actual_access:  read_only
        .address_space:  global
        .offset:         48
        .size:           8
        .value_kind:     global_buffer
      - .offset:         56
        .size:           4
        .value_kind:     by_value
      - .actual_access:  read_only
        .address_space:  global
        .offset:         64
        .size:           8
        .value_kind:     global_buffer
      - .offset:         72
        .size:           4
        .value_kind:     by_value
      - .offset:         76
        .size:           4
        .value_kind:     by_value
      - .offset:         80
        .size:           4
        .value_kind:     by_value
      - .actual_access:  read_only
        .address_space:  global
        .offset:         88
        .size:           8
        .value_kind:     global_buffer
      - .actual_access:  read_only
        .address_space:  global
        .offset:         96
        .size:           8
        .value_kind:     global_buffer
      - .actual_access:  read_only
        .address_space:  global
        .offset:         104
        .size:           8
        .value_kind:     global_buffer
      - .actual_access:  read_only
        .address_space:  global
        .offset:         112
        .size:           8
        .value_kind:     global_buffer
      - .offset:         120
        .size:           4
        .value_kind:     by_value
      - .address_space:  global
        .offset:         128
        .size:           8
        .value_kind:     global_buffer
      - .address_space:  global
        .offset:         136
        .size:           8
        .value_kind:     global_buffer
      - .offset:         144
        .size:           4
        .value_kind:     hidden_block_count_x
      - .offset:         148
        .size:           4
        .value_kind:     hidden_block_count_y
      - .offset:         152
        .size:           4
        .value_kind:     hidden_block_count_z
      - .offset:         156
        .size:           2
        .value_kind:     hidden_group_size_x
      - .offset:         158
        .size:           2
        .value_kind:     hidden_group_size_y
      - .offset:         160
        .size:           2
        .value_kind:     hidden_group_size_z
      - .offset:         162
        .size:           2
        .value_kind:     hidden_remainder_x
      - .offset:         164
        .size:           2
        .value_kind:     hidden_remainder_y
      - .offset:         166
        .size:           2
        .value_kind:     hidden_remainder_z
      - .offset:         184
        .size:           8
        .value_kind:     hidden_global_offset_x
      - .offset:         192
        .size:           8
        .value_kind:     hidden_global_offset_y
      - .offset:         200
        .size:           8
        .value_kind:     hidden_global_offset_z
      - .offset:         208
        .size:           2
        .value_kind:     hidden_grid_dims
      - .offset:         224
        .size:           8
        .value_kind:     hidden_hostcall_buffer
    .group_segment_fixed_size: 8192
    .kernarg_segment_align: 8
    .kernarg_segment_size: 400
    .language:       OpenCL C
    .language_version:
      - 2
      - 0
    .max_flat_workgroup_size: 256
    .name:           _Z39paged_attention_ll4mi_QKV_mfma16_kernelIDF16_hLN4vllm18Fp8KVCacheDataTypeE1EDF16_Li32ELi64ELi256ELb0ELi6EL8MFMAType1EEvPKT_PKT0_S8_ifPKiSA_SA_iPKfiiiPfSD_PS3_PT2_iSC_SC_
    .private_segment_fixed_size: 64
    .sgpr_count:     40
    .sgpr_spill_count: 0
    .symbol:         _Z39paged_attention_ll4mi_QKV_mfma16_kernelIDF16_hLN4vllm18Fp8KVCacheDataTypeE1EDF16_Li32ELi64ELi256ELb0ELi6EL8MFMAType1EEvPKT_PKT0_S8_ifPKiSA_SA_iPKfiiiPfSD_PS3_PT2_iSC_SC_.kd
    .uniform_work_group_size: 1
    .uses_dynamic_stack: false
    .vgpr_count:     45
    .vgpr_spill_count: 0
    .wavefront_size: 64
  - .agpr_count:     1
    .args:
      - .actual_access:  read_only
        .address_space:  global
        .offset:         0
        .size:           8
        .value_kind:     global_buffer
      - .actual_access:  read_only
        .address_space:  global
        .offset:         8
        .size:           8
        .value_kind:     global_buffer
      - .actual_access:  read_only
        .address_space:  global
        .offset:         16
        .size:           8
        .value_kind:     global_buffer
      - .offset:         24
        .size:           4
        .value_kind:     by_value
      - .offset:         28
        .size:           4
        .value_kind:     by_value
      - .actual_access:  read_only
        .address_space:  global
        .offset:         32
        .size:           8
        .value_kind:     global_buffer
      - .actual_access:  read_only
        .address_space:  global
        .offset:         40
        .size:           8
        .value_kind:     global_buffer
      - .actual_access:  read_only
        .address_space:  global
        .offset:         48
        .size:           8
        .value_kind:     global_buffer
      - .offset:         56
        .size:           4
        .value_kind:     by_value
      - .actual_access:  read_only
        .address_space:  global
        .offset:         64
        .size:           8
        .value_kind:     global_buffer
      - .offset:         72
        .size:           4
        .value_kind:     by_value
      - .offset:         76
        .size:           4
        .value_kind:     by_value
      - .offset:         80
        .size:           4
        .value_kind:     by_value
      - .actual_access:  read_only
        .address_space:  global
        .offset:         88
        .size:           8
        .value_kind:     global_buffer
      - .actual_access:  read_only
        .address_space:  global
        .offset:         96
        .size:           8
        .value_kind:     global_buffer
      - .actual_access:  read_only
        .address_space:  global
        .offset:         104
        .size:           8
        .value_kind:     global_buffer
      - .actual_access:  read_only
        .address_space:  global
        .offset:         112
        .size:           8
        .value_kind:     global_buffer
      - .offset:         120
        .size:           4
        .value_kind:     by_value
      - .address_space:  global
        .offset:         128
        .size:           8
        .value_kind:     global_buffer
      - .address_space:  global
        .offset:         136
        .size:           8
        .value_kind:     global_buffer
      - .offset:         144
        .size:           4
        .value_kind:     hidden_block_count_x
      - .offset:         148
        .size:           4
        .value_kind:     hidden_block_count_y
      - .offset:         152
        .size:           4
        .value_kind:     hidden_block_count_z
      - .offset:         156
        .size:           2
        .value_kind:     hidden_group_size_x
      - .offset:         158
        .size:           2
        .value_kind:     hidden_group_size_y
      - .offset:         160
        .size:           2
        .value_kind:     hidden_group_size_z
      - .offset:         162
        .size:           2
        .value_kind:     hidden_remainder_x
      - .offset:         164
        .size:           2
        .value_kind:     hidden_remainder_y
      - .offset:         166
        .size:           2
        .value_kind:     hidden_remainder_z
      - .offset:         184
        .size:           8
        .value_kind:     hidden_global_offset_x
      - .offset:         192
        .size:           8
        .value_kind:     hidden_global_offset_y
      - .offset:         200
        .size:           8
        .value_kind:     hidden_global_offset_z
      - .offset:         208
        .size:           2
        .value_kind:     hidden_grid_dims
      - .offset:         224
        .size:           8
        .value_kind:     hidden_hostcall_buffer
    .group_segment_fixed_size: 8192
    .kernarg_segment_align: 8
    .kernarg_segment_size: 400
    .language:       OpenCL C
    .language_version:
      - 2
      - 0
    .max_flat_workgroup_size: 256
    .name:           _Z39paged_attention_ll4mi_QKV_mfma16_kernelIDF16_hLN4vllm18Fp8KVCacheDataTypeE1EDF16_Li32ELi64ELi256ELb0ELi7EL8MFMAType1EEvPKT_PKT0_S8_ifPKiSA_SA_iPKfiiiPfSD_PS3_PT2_iSC_SC_
    .private_segment_fixed_size: 64
    .sgpr_count:     40
    .sgpr_spill_count: 0
    .symbol:         _Z39paged_attention_ll4mi_QKV_mfma16_kernelIDF16_hLN4vllm18Fp8KVCacheDataTypeE1EDF16_Li32ELi64ELi256ELb0ELi7EL8MFMAType1EEvPKT_PKT0_S8_ifPKiSA_SA_iPKfiiiPfSD_PS3_PT2_iSC_SC_.kd
    .uniform_work_group_size: 1
    .uses_dynamic_stack: false
    .vgpr_count:     45
    .vgpr_spill_count: 0
    .wavefront_size: 64
  - .agpr_count:     1
    .args:
      - .actual_access:  read_only
        .address_space:  global
        .offset:         0
        .size:           8
        .value_kind:     global_buffer
      - .actual_access:  read_only
        .address_space:  global
        .offset:         8
        .size:           8
        .value_kind:     global_buffer
      - .actual_access:  read_only
        .address_space:  global
        .offset:         16
        .size:           8
        .value_kind:     global_buffer
      - .offset:         24
        .size:           4
        .value_kind:     by_value
      - .offset:         28
        .size:           4
        .value_kind:     by_value
      - .actual_access:  read_only
        .address_space:  global
        .offset:         32
        .size:           8
        .value_kind:     global_buffer
      - .actual_access:  read_only
        .address_space:  global
        .offset:         40
        .size:           8
        .value_kind:     global_buffer
      - .actual_access:  read_only
        .address_space:  global
        .offset:         48
        .size:           8
        .value_kind:     global_buffer
      - .offset:         56
        .size:           4
        .value_kind:     by_value
      - .actual_access:  read_only
        .address_space:  global
        .offset:         64
        .size:           8
        .value_kind:     global_buffer
      - .offset:         72
        .size:           4
        .value_kind:     by_value
      - .offset:         76
        .size:           4
        .value_kind:     by_value
      - .offset:         80
        .size:           4
        .value_kind:     by_value
      - .actual_access:  read_only
        .address_space:  global
        .offset:         88
        .size:           8
        .value_kind:     global_buffer
      - .actual_access:  read_only
        .address_space:  global
        .offset:         96
        .size:           8
        .value_kind:     global_buffer
      - .actual_access:  read_only
        .address_space:  global
        .offset:         104
        .size:           8
        .value_kind:     global_buffer
      - .actual_access:  read_only
        .address_space:  global
        .offset:         112
        .size:           8
        .value_kind:     global_buffer
      - .offset:         120
        .size:           4
        .value_kind:     by_value
      - .address_space:  global
        .offset:         128
        .size:           8
        .value_kind:     global_buffer
      - .address_space:  global
        .offset:         136
        .size:           8
        .value_kind:     global_buffer
      - .offset:         144
        .size:           4
        .value_kind:     hidden_block_count_x
      - .offset:         148
        .size:           4
        .value_kind:     hidden_block_count_y
      - .offset:         152
        .size:           4
        .value_kind:     hidden_block_count_z
      - .offset:         156
        .size:           2
        .value_kind:     hidden_group_size_x
      - .offset:         158
        .size:           2
        .value_kind:     hidden_group_size_y
      - .offset:         160
        .size:           2
        .value_kind:     hidden_group_size_z
      - .offset:         162
        .size:           2
        .value_kind:     hidden_remainder_x
      - .offset:         164
        .size:           2
        .value_kind:     hidden_remainder_y
      - .offset:         166
        .size:           2
        .value_kind:     hidden_remainder_z
      - .offset:         184
        .size:           8
        .value_kind:     hidden_global_offset_x
      - .offset:         192
        .size:           8
        .value_kind:     hidden_global_offset_y
      - .offset:         200
        .size:           8
        .value_kind:     hidden_global_offset_z
      - .offset:         208
        .size:           2
        .value_kind:     hidden_grid_dims
      - .offset:         224
        .size:           8
        .value_kind:     hidden_hostcall_buffer
    .group_segment_fixed_size: 8192
    .kernarg_segment_align: 8
    .kernarg_segment_size: 400
    .language:       OpenCL C
    .language_version:
      - 2
      - 0
    .max_flat_workgroup_size: 256
    .name:           _Z39paged_attention_ll4mi_QKV_mfma16_kernelIDF16_hLN4vllm18Fp8KVCacheDataTypeE1EDF16_Li32ELi64ELi256ELb0ELi8EL8MFMAType1EEvPKT_PKT0_S8_ifPKiSA_SA_iPKfiiiPfSD_PS3_PT2_iSC_SC_
    .private_segment_fixed_size: 64
    .sgpr_count:     40
    .sgpr_spill_count: 0
    .symbol:         _Z39paged_attention_ll4mi_QKV_mfma16_kernelIDF16_hLN4vllm18Fp8KVCacheDataTypeE1EDF16_Li32ELi64ELi256ELb0ELi8EL8MFMAType1EEvPKT_PKT0_S8_ifPKiSA_SA_iPKfiiiPfSD_PS3_PT2_iSC_SC_.kd
    .uniform_work_group_size: 1
    .uses_dynamic_stack: false
    .vgpr_count:     45
    .vgpr_spill_count: 0
    .wavefront_size: 64
  - .agpr_count:     1
    .args:
      - .actual_access:  read_only
        .address_space:  global
        .offset:         0
        .size:           8
        .value_kind:     global_buffer
      - .actual_access:  read_only
        .address_space:  global
        .offset:         8
        .size:           8
        .value_kind:     global_buffer
      - .actual_access:  read_only
        .address_space:  global
        .offset:         16
        .size:           8
        .value_kind:     global_buffer
      - .offset:         24
        .size:           4
        .value_kind:     by_value
      - .offset:         28
        .size:           4
        .value_kind:     by_value
      - .actual_access:  read_only
        .address_space:  global
        .offset:         32
        .size:           8
        .value_kind:     global_buffer
      - .actual_access:  read_only
        .address_space:  global
        .offset:         40
        .size:           8
        .value_kind:     global_buffer
      - .actual_access:  read_only
        .address_space:  global
        .offset:         48
        .size:           8
        .value_kind:     global_buffer
      - .offset:         56
        .size:           4
        .value_kind:     by_value
      - .actual_access:  read_only
        .address_space:  global
        .offset:         64
        .size:           8
        .value_kind:     global_buffer
      - .offset:         72
        .size:           4
        .value_kind:     by_value
      - .offset:         76
        .size:           4
        .value_kind:     by_value
      - .offset:         80
        .size:           4
        .value_kind:     by_value
      - .actual_access:  read_only
        .address_space:  global
        .offset:         88
        .size:           8
        .value_kind:     global_buffer
      - .actual_access:  read_only
        .address_space:  global
        .offset:         96
        .size:           8
        .value_kind:     global_buffer
      - .actual_access:  read_only
        .address_space:  global
        .offset:         104
        .size:           8
        .value_kind:     global_buffer
      - .actual_access:  read_only
        .address_space:  global
        .offset:         112
        .size:           8
        .value_kind:     global_buffer
      - .offset:         120
        .size:           4
        .value_kind:     by_value
      - .address_space:  global
        .offset:         128
        .size:           8
        .value_kind:     global_buffer
      - .address_space:  global
        .offset:         136
        .size:           8
        .value_kind:     global_buffer
      - .offset:         144
        .size:           4
        .value_kind:     hidden_block_count_x
      - .offset:         148
        .size:           4
        .value_kind:     hidden_block_count_y
      - .offset:         152
        .size:           4
        .value_kind:     hidden_block_count_z
      - .offset:         156
        .size:           2
        .value_kind:     hidden_group_size_x
      - .offset:         158
        .size:           2
        .value_kind:     hidden_group_size_y
      - .offset:         160
        .size:           2
        .value_kind:     hidden_group_size_z
      - .offset:         162
        .size:           2
        .value_kind:     hidden_remainder_x
      - .offset:         164
        .size:           2
        .value_kind:     hidden_remainder_y
      - .offset:         166
        .size:           2
        .value_kind:     hidden_remainder_z
      - .offset:         184
        .size:           8
        .value_kind:     hidden_global_offset_x
      - .offset:         192
        .size:           8
        .value_kind:     hidden_global_offset_y
      - .offset:         200
        .size:           8
        .value_kind:     hidden_global_offset_z
      - .offset:         208
        .size:           2
        .value_kind:     hidden_grid_dims
      - .offset:         224
        .size:           8
        .value_kind:     hidden_hostcall_buffer
    .group_segment_fixed_size: 8192
    .kernarg_segment_align: 8
    .kernarg_segment_size: 400
    .language:       OpenCL C
    .language_version:
      - 2
      - 0
    .max_flat_workgroup_size: 256
    .name:           _Z39paged_attention_ll4mi_QKV_mfma16_kernelIDF16_hLN4vllm18Fp8KVCacheDataTypeE1EDF16_Li32ELi64ELi256ELb0ELi9EL8MFMAType1EEvPKT_PKT0_S8_ifPKiSA_SA_iPKfiiiPfSD_PS3_PT2_iSC_SC_
    .private_segment_fixed_size: 64
    .sgpr_count:     40
    .sgpr_spill_count: 0
    .symbol:         _Z39paged_attention_ll4mi_QKV_mfma16_kernelIDF16_hLN4vllm18Fp8KVCacheDataTypeE1EDF16_Li32ELi64ELi256ELb0ELi9EL8MFMAType1EEvPKT_PKT0_S8_ifPKiSA_SA_iPKfiiiPfSD_PS3_PT2_iSC_SC_.kd
    .uniform_work_group_size: 1
    .uses_dynamic_stack: false
    .vgpr_count:     45
    .vgpr_spill_count: 0
    .wavefront_size: 64
  - .agpr_count:     1
    .args:
      - .actual_access:  read_only
        .address_space:  global
        .offset:         0
        .size:           8
        .value_kind:     global_buffer
      - .actual_access:  read_only
        .address_space:  global
        .offset:         8
        .size:           8
        .value_kind:     global_buffer
      - .actual_access:  read_only
        .address_space:  global
        .offset:         16
        .size:           8
        .value_kind:     global_buffer
      - .offset:         24
        .size:           4
        .value_kind:     by_value
      - .offset:         28
        .size:           4
        .value_kind:     by_value
      - .actual_access:  read_only
        .address_space:  global
        .offset:         32
        .size:           8
        .value_kind:     global_buffer
      - .actual_access:  read_only
        .address_space:  global
        .offset:         40
        .size:           8
        .value_kind:     global_buffer
      - .actual_access:  read_only
        .address_space:  global
        .offset:         48
        .size:           8
        .value_kind:     global_buffer
      - .offset:         56
        .size:           4
        .value_kind:     by_value
      - .actual_access:  read_only
        .address_space:  global
        .offset:         64
        .size:           8
        .value_kind:     global_buffer
      - .offset:         72
        .size:           4
        .value_kind:     by_value
      - .offset:         76
        .size:           4
        .value_kind:     by_value
      - .offset:         80
        .size:           4
        .value_kind:     by_value
      - .actual_access:  read_only
        .address_space:  global
        .offset:         88
        .size:           8
        .value_kind:     global_buffer
      - .actual_access:  read_only
        .address_space:  global
        .offset:         96
        .size:           8
        .value_kind:     global_buffer
      - .actual_access:  read_only
        .address_space:  global
        .offset:         104
        .size:           8
        .value_kind:     global_buffer
      - .actual_access:  read_only
        .address_space:  global
        .offset:         112
        .size:           8
        .value_kind:     global_buffer
      - .offset:         120
        .size:           4
        .value_kind:     by_value
      - .address_space:  global
        .offset:         128
        .size:           8
        .value_kind:     global_buffer
      - .address_space:  global
        .offset:         136
        .size:           8
        .value_kind:     global_buffer
      - .offset:         144
        .size:           4
        .value_kind:     hidden_block_count_x
      - .offset:         148
        .size:           4
        .value_kind:     hidden_block_count_y
      - .offset:         152
        .size:           4
        .value_kind:     hidden_block_count_z
      - .offset:         156
        .size:           2
        .value_kind:     hidden_group_size_x
      - .offset:         158
        .size:           2
        .value_kind:     hidden_group_size_y
      - .offset:         160
        .size:           2
        .value_kind:     hidden_group_size_z
      - .offset:         162
        .size:           2
        .value_kind:     hidden_remainder_x
      - .offset:         164
        .size:           2
        .value_kind:     hidden_remainder_y
      - .offset:         166
        .size:           2
        .value_kind:     hidden_remainder_z
      - .offset:         184
        .size:           8
        .value_kind:     hidden_global_offset_x
      - .offset:         192
        .size:           8
        .value_kind:     hidden_global_offset_y
      - .offset:         200
        .size:           8
        .value_kind:     hidden_global_offset_z
      - .offset:         208
        .size:           2
        .value_kind:     hidden_grid_dims
      - .offset:         224
        .size:           8
        .value_kind:     hidden_hostcall_buffer
    .group_segment_fixed_size: 8192
    .kernarg_segment_align: 8
    .kernarg_segment_size: 400
    .language:       OpenCL C
    .language_version:
      - 2
      - 0
    .max_flat_workgroup_size: 256
    .name:           _Z39paged_attention_ll4mi_QKV_mfma16_kernelIDF16_hLN4vllm18Fp8KVCacheDataTypeE1EDF16_Li32ELi64ELi256ELb0ELi10EL8MFMAType1EEvPKT_PKT0_S8_ifPKiSA_SA_iPKfiiiPfSD_PS3_PT2_iSC_SC_
    .private_segment_fixed_size: 64
    .sgpr_count:     40
    .sgpr_spill_count: 0
    .symbol:         _Z39paged_attention_ll4mi_QKV_mfma16_kernelIDF16_hLN4vllm18Fp8KVCacheDataTypeE1EDF16_Li32ELi64ELi256ELb0ELi10EL8MFMAType1EEvPKT_PKT0_S8_ifPKiSA_SA_iPKfiiiPfSD_PS3_PT2_iSC_SC_.kd
    .uniform_work_group_size: 1
    .uses_dynamic_stack: false
    .vgpr_count:     45
    .vgpr_spill_count: 0
    .wavefront_size: 64
  - .agpr_count:     1
    .args:
      - .actual_access:  read_only
        .address_space:  global
        .offset:         0
        .size:           8
        .value_kind:     global_buffer
      - .actual_access:  read_only
        .address_space:  global
        .offset:         8
        .size:           8
        .value_kind:     global_buffer
      - .actual_access:  read_only
        .address_space:  global
        .offset:         16
        .size:           8
        .value_kind:     global_buffer
      - .offset:         24
        .size:           4
        .value_kind:     by_value
      - .offset:         28
        .size:           4
        .value_kind:     by_value
      - .actual_access:  read_only
        .address_space:  global
        .offset:         32
        .size:           8
        .value_kind:     global_buffer
      - .actual_access:  read_only
        .address_space:  global
        .offset:         40
        .size:           8
        .value_kind:     global_buffer
      - .actual_access:  read_only
        .address_space:  global
        .offset:         48
        .size:           8
        .value_kind:     global_buffer
      - .offset:         56
        .size:           4
        .value_kind:     by_value
      - .actual_access:  read_only
        .address_space:  global
        .offset:         64
        .size:           8
        .value_kind:     global_buffer
      - .offset:         72
        .size:           4
        .value_kind:     by_value
      - .offset:         76
        .size:           4
        .value_kind:     by_value
      - .offset:         80
        .size:           4
        .value_kind:     by_value
      - .actual_access:  read_only
        .address_space:  global
        .offset:         88
        .size:           8
        .value_kind:     global_buffer
      - .actual_access:  read_only
        .address_space:  global
        .offset:         96
        .size:           8
        .value_kind:     global_buffer
      - .actual_access:  read_only
        .address_space:  global
        .offset:         104
        .size:           8
        .value_kind:     global_buffer
      - .actual_access:  read_only
        .address_space:  global
        .offset:         112
        .size:           8
        .value_kind:     global_buffer
      - .offset:         120
        .size:           4
        .value_kind:     by_value
      - .address_space:  global
        .offset:         128
        .size:           8
        .value_kind:     global_buffer
      - .address_space:  global
        .offset:         136
        .size:           8
        .value_kind:     global_buffer
      - .offset:         144
        .size:           4
        .value_kind:     hidden_block_count_x
      - .offset:         148
        .size:           4
        .value_kind:     hidden_block_count_y
      - .offset:         152
        .size:           4
        .value_kind:     hidden_block_count_z
      - .offset:         156
        .size:           2
        .value_kind:     hidden_group_size_x
      - .offset:         158
        .size:           2
        .value_kind:     hidden_group_size_y
      - .offset:         160
        .size:           2
        .value_kind:     hidden_group_size_z
      - .offset:         162
        .size:           2
        .value_kind:     hidden_remainder_x
      - .offset:         164
        .size:           2
        .value_kind:     hidden_remainder_y
      - .offset:         166
        .size:           2
        .value_kind:     hidden_remainder_z
      - .offset:         184
        .size:           8
        .value_kind:     hidden_global_offset_x
      - .offset:         192
        .size:           8
        .value_kind:     hidden_global_offset_y
      - .offset:         200
        .size:           8
        .value_kind:     hidden_global_offset_z
      - .offset:         208
        .size:           2
        .value_kind:     hidden_grid_dims
      - .offset:         224
        .size:           8
        .value_kind:     hidden_hostcall_buffer
    .group_segment_fixed_size: 8192
    .kernarg_segment_align: 8
    .kernarg_segment_size: 400
    .language:       OpenCL C
    .language_version:
      - 2
      - 0
    .max_flat_workgroup_size: 256
    .name:           _Z39paged_attention_ll4mi_QKV_mfma16_kernelIDF16_hLN4vllm18Fp8KVCacheDataTypeE1EDF16_Li32ELi64ELi256ELb0ELi11EL8MFMAType1EEvPKT_PKT0_S8_ifPKiSA_SA_iPKfiiiPfSD_PS3_PT2_iSC_SC_
    .private_segment_fixed_size: 64
    .sgpr_count:     40
    .sgpr_spill_count: 0
    .symbol:         _Z39paged_attention_ll4mi_QKV_mfma16_kernelIDF16_hLN4vllm18Fp8KVCacheDataTypeE1EDF16_Li32ELi64ELi256ELb0ELi11EL8MFMAType1EEvPKT_PKT0_S8_ifPKiSA_SA_iPKfiiiPfSD_PS3_PT2_iSC_SC_.kd
    .uniform_work_group_size: 1
    .uses_dynamic_stack: false
    .vgpr_count:     45
    .vgpr_spill_count: 0
    .wavefront_size: 64
  - .agpr_count:     1
    .args:
      - .actual_access:  read_only
        .address_space:  global
        .offset:         0
        .size:           8
        .value_kind:     global_buffer
      - .actual_access:  read_only
        .address_space:  global
        .offset:         8
        .size:           8
        .value_kind:     global_buffer
      - .actual_access:  read_only
        .address_space:  global
        .offset:         16
        .size:           8
        .value_kind:     global_buffer
      - .offset:         24
        .size:           4
        .value_kind:     by_value
      - .offset:         28
        .size:           4
        .value_kind:     by_value
      - .actual_access:  read_only
        .address_space:  global
        .offset:         32
        .size:           8
        .value_kind:     global_buffer
      - .actual_access:  read_only
        .address_space:  global
        .offset:         40
        .size:           8
        .value_kind:     global_buffer
      - .actual_access:  read_only
        .address_space:  global
        .offset:         48
        .size:           8
        .value_kind:     global_buffer
      - .offset:         56
        .size:           4
        .value_kind:     by_value
      - .actual_access:  read_only
        .address_space:  global
        .offset:         64
        .size:           8
        .value_kind:     global_buffer
      - .offset:         72
        .size:           4
        .value_kind:     by_value
      - .offset:         76
        .size:           4
        .value_kind:     by_value
      - .offset:         80
        .size:           4
        .value_kind:     by_value
      - .actual_access:  read_only
        .address_space:  global
        .offset:         88
        .size:           8
        .value_kind:     global_buffer
      - .actual_access:  read_only
        .address_space:  global
        .offset:         96
        .size:           8
        .value_kind:     global_buffer
      - .actual_access:  read_only
        .address_space:  global
        .offset:         104
        .size:           8
        .value_kind:     global_buffer
      - .actual_access:  read_only
        .address_space:  global
        .offset:         112
        .size:           8
        .value_kind:     global_buffer
      - .offset:         120
        .size:           4
        .value_kind:     by_value
      - .address_space:  global
        .offset:         128
        .size:           8
        .value_kind:     global_buffer
      - .address_space:  global
        .offset:         136
        .size:           8
        .value_kind:     global_buffer
      - .offset:         144
        .size:           4
        .value_kind:     hidden_block_count_x
      - .offset:         148
        .size:           4
        .value_kind:     hidden_block_count_y
      - .offset:         152
        .size:           4
        .value_kind:     hidden_block_count_z
      - .offset:         156
        .size:           2
        .value_kind:     hidden_group_size_x
      - .offset:         158
        .size:           2
        .value_kind:     hidden_group_size_y
      - .offset:         160
        .size:           2
        .value_kind:     hidden_group_size_z
      - .offset:         162
        .size:           2
        .value_kind:     hidden_remainder_x
      - .offset:         164
        .size:           2
        .value_kind:     hidden_remainder_y
      - .offset:         166
        .size:           2
        .value_kind:     hidden_remainder_z
      - .offset:         184
        .size:           8
        .value_kind:     hidden_global_offset_x
      - .offset:         192
        .size:           8
        .value_kind:     hidden_global_offset_y
      - .offset:         200
        .size:           8
        .value_kind:     hidden_global_offset_z
      - .offset:         208
        .size:           2
        .value_kind:     hidden_grid_dims
      - .offset:         224
        .size:           8
        .value_kind:     hidden_hostcall_buffer
    .group_segment_fixed_size: 8192
    .kernarg_segment_align: 8
    .kernarg_segment_size: 400
    .language:       OpenCL C
    .language_version:
      - 2
      - 0
    .max_flat_workgroup_size: 256
    .name:           _Z39paged_attention_ll4mi_QKV_mfma16_kernelIDF16_hLN4vllm18Fp8KVCacheDataTypeE1EDF16_Li32ELi64ELi256ELb0ELi12EL8MFMAType1EEvPKT_PKT0_S8_ifPKiSA_SA_iPKfiiiPfSD_PS3_PT2_iSC_SC_
    .private_segment_fixed_size: 64
    .sgpr_count:     40
    .sgpr_spill_count: 0
    .symbol:         _Z39paged_attention_ll4mi_QKV_mfma16_kernelIDF16_hLN4vllm18Fp8KVCacheDataTypeE1EDF16_Li32ELi64ELi256ELb0ELi12EL8MFMAType1EEvPKT_PKT0_S8_ifPKiSA_SA_iPKfiiiPfSD_PS3_PT2_iSC_SC_.kd
    .uniform_work_group_size: 1
    .uses_dynamic_stack: false
    .vgpr_count:     45
    .vgpr_spill_count: 0
    .wavefront_size: 64
  - .agpr_count:     1
    .args:
      - .actual_access:  read_only
        .address_space:  global
        .offset:         0
        .size:           8
        .value_kind:     global_buffer
      - .actual_access:  read_only
        .address_space:  global
        .offset:         8
        .size:           8
        .value_kind:     global_buffer
      - .actual_access:  read_only
        .address_space:  global
        .offset:         16
        .size:           8
        .value_kind:     global_buffer
      - .offset:         24
        .size:           4
        .value_kind:     by_value
      - .offset:         28
        .size:           4
        .value_kind:     by_value
      - .actual_access:  read_only
        .address_space:  global
        .offset:         32
        .size:           8
        .value_kind:     global_buffer
      - .actual_access:  read_only
        .address_space:  global
        .offset:         40
        .size:           8
        .value_kind:     global_buffer
      - .actual_access:  read_only
        .address_space:  global
        .offset:         48
        .size:           8
        .value_kind:     global_buffer
      - .offset:         56
        .size:           4
        .value_kind:     by_value
      - .actual_access:  read_only
        .address_space:  global
        .offset:         64
        .size:           8
        .value_kind:     global_buffer
      - .offset:         72
        .size:           4
        .value_kind:     by_value
      - .offset:         76
        .size:           4
        .value_kind:     by_value
      - .offset:         80
        .size:           4
        .value_kind:     by_value
      - .actual_access:  read_only
        .address_space:  global
        .offset:         88
        .size:           8
        .value_kind:     global_buffer
      - .actual_access:  read_only
        .address_space:  global
        .offset:         96
        .size:           8
        .value_kind:     global_buffer
      - .actual_access:  read_only
        .address_space:  global
        .offset:         104
        .size:           8
        .value_kind:     global_buffer
      - .actual_access:  read_only
        .address_space:  global
        .offset:         112
        .size:           8
        .value_kind:     global_buffer
      - .offset:         120
        .size:           4
        .value_kind:     by_value
      - .address_space:  global
        .offset:         128
        .size:           8
        .value_kind:     global_buffer
      - .address_space:  global
        .offset:         136
        .size:           8
        .value_kind:     global_buffer
      - .offset:         144
        .size:           4
        .value_kind:     hidden_block_count_x
      - .offset:         148
        .size:           4
        .value_kind:     hidden_block_count_y
      - .offset:         152
        .size:           4
        .value_kind:     hidden_block_count_z
      - .offset:         156
        .size:           2
        .value_kind:     hidden_group_size_x
      - .offset:         158
        .size:           2
        .value_kind:     hidden_group_size_y
      - .offset:         160
        .size:           2
        .value_kind:     hidden_group_size_z
      - .offset:         162
        .size:           2
        .value_kind:     hidden_remainder_x
      - .offset:         164
        .size:           2
        .value_kind:     hidden_remainder_y
      - .offset:         166
        .size:           2
        .value_kind:     hidden_remainder_z
      - .offset:         184
        .size:           8
        .value_kind:     hidden_global_offset_x
      - .offset:         192
        .size:           8
        .value_kind:     hidden_global_offset_y
      - .offset:         200
        .size:           8
        .value_kind:     hidden_global_offset_z
      - .offset:         208
        .size:           2
        .value_kind:     hidden_grid_dims
      - .offset:         224
        .size:           8
        .value_kind:     hidden_hostcall_buffer
    .group_segment_fixed_size: 8192
    .kernarg_segment_align: 8
    .kernarg_segment_size: 400
    .language:       OpenCL C
    .language_version:
      - 2
      - 0
    .max_flat_workgroup_size: 256
    .name:           _Z39paged_attention_ll4mi_QKV_mfma16_kernelIDF16_hLN4vllm18Fp8KVCacheDataTypeE1EDF16_Li32ELi64ELi256ELb0ELi13EL8MFMAType1EEvPKT_PKT0_S8_ifPKiSA_SA_iPKfiiiPfSD_PS3_PT2_iSC_SC_
    .private_segment_fixed_size: 64
    .sgpr_count:     40
    .sgpr_spill_count: 0
    .symbol:         _Z39paged_attention_ll4mi_QKV_mfma16_kernelIDF16_hLN4vllm18Fp8KVCacheDataTypeE1EDF16_Li32ELi64ELi256ELb0ELi13EL8MFMAType1EEvPKT_PKT0_S8_ifPKiSA_SA_iPKfiiiPfSD_PS3_PT2_iSC_SC_.kd
    .uniform_work_group_size: 1
    .uses_dynamic_stack: false
    .vgpr_count:     45
    .vgpr_spill_count: 0
    .wavefront_size: 64
  - .agpr_count:     1
    .args:
      - .actual_access:  read_only
        .address_space:  global
        .offset:         0
        .size:           8
        .value_kind:     global_buffer
      - .actual_access:  read_only
        .address_space:  global
        .offset:         8
        .size:           8
        .value_kind:     global_buffer
      - .actual_access:  read_only
        .address_space:  global
        .offset:         16
        .size:           8
        .value_kind:     global_buffer
      - .offset:         24
        .size:           4
        .value_kind:     by_value
      - .offset:         28
        .size:           4
        .value_kind:     by_value
      - .actual_access:  read_only
        .address_space:  global
        .offset:         32
        .size:           8
        .value_kind:     global_buffer
      - .actual_access:  read_only
        .address_space:  global
        .offset:         40
        .size:           8
        .value_kind:     global_buffer
      - .actual_access:  read_only
        .address_space:  global
        .offset:         48
        .size:           8
        .value_kind:     global_buffer
      - .offset:         56
        .size:           4
        .value_kind:     by_value
      - .actual_access:  read_only
        .address_space:  global
        .offset:         64
        .size:           8
        .value_kind:     global_buffer
      - .offset:         72
        .size:           4
        .value_kind:     by_value
      - .offset:         76
        .size:           4
        .value_kind:     by_value
      - .offset:         80
        .size:           4
        .value_kind:     by_value
      - .actual_access:  read_only
        .address_space:  global
        .offset:         88
        .size:           8
        .value_kind:     global_buffer
      - .actual_access:  read_only
        .address_space:  global
        .offset:         96
        .size:           8
        .value_kind:     global_buffer
      - .actual_access:  read_only
        .address_space:  global
        .offset:         104
        .size:           8
        .value_kind:     global_buffer
      - .actual_access:  read_only
        .address_space:  global
        .offset:         112
        .size:           8
        .value_kind:     global_buffer
      - .offset:         120
        .size:           4
        .value_kind:     by_value
      - .address_space:  global
        .offset:         128
        .size:           8
        .value_kind:     global_buffer
      - .address_space:  global
        .offset:         136
        .size:           8
        .value_kind:     global_buffer
      - .offset:         144
        .size:           4
        .value_kind:     hidden_block_count_x
      - .offset:         148
        .size:           4
        .value_kind:     hidden_block_count_y
      - .offset:         152
        .size:           4
        .value_kind:     hidden_block_count_z
      - .offset:         156
        .size:           2
        .value_kind:     hidden_group_size_x
      - .offset:         158
        .size:           2
        .value_kind:     hidden_group_size_y
      - .offset:         160
        .size:           2
        .value_kind:     hidden_group_size_z
      - .offset:         162
        .size:           2
        .value_kind:     hidden_remainder_x
      - .offset:         164
        .size:           2
        .value_kind:     hidden_remainder_y
      - .offset:         166
        .size:           2
        .value_kind:     hidden_remainder_z
      - .offset:         184
        .size:           8
        .value_kind:     hidden_global_offset_x
      - .offset:         192
        .size:           8
        .value_kind:     hidden_global_offset_y
      - .offset:         200
        .size:           8
        .value_kind:     hidden_global_offset_z
      - .offset:         208
        .size:           2
        .value_kind:     hidden_grid_dims
      - .offset:         224
        .size:           8
        .value_kind:     hidden_hostcall_buffer
    .group_segment_fixed_size: 8192
    .kernarg_segment_align: 8
    .kernarg_segment_size: 400
    .language:       OpenCL C
    .language_version:
      - 2
      - 0
    .max_flat_workgroup_size: 256
    .name:           _Z39paged_attention_ll4mi_QKV_mfma16_kernelIDF16_hLN4vllm18Fp8KVCacheDataTypeE1EDF16_Li32ELi64ELi256ELb0ELi14EL8MFMAType1EEvPKT_PKT0_S8_ifPKiSA_SA_iPKfiiiPfSD_PS3_PT2_iSC_SC_
    .private_segment_fixed_size: 64
    .sgpr_count:     40
    .sgpr_spill_count: 0
    .symbol:         _Z39paged_attention_ll4mi_QKV_mfma16_kernelIDF16_hLN4vllm18Fp8KVCacheDataTypeE1EDF16_Li32ELi64ELi256ELb0ELi14EL8MFMAType1EEvPKT_PKT0_S8_ifPKiSA_SA_iPKfiiiPfSD_PS3_PT2_iSC_SC_.kd
    .uniform_work_group_size: 1
    .uses_dynamic_stack: false
    .vgpr_count:     45
    .vgpr_spill_count: 0
    .wavefront_size: 64
  - .agpr_count:     1
    .args:
      - .actual_access:  read_only
        .address_space:  global
        .offset:         0
        .size:           8
        .value_kind:     global_buffer
      - .actual_access:  read_only
        .address_space:  global
        .offset:         8
        .size:           8
        .value_kind:     global_buffer
      - .actual_access:  read_only
        .address_space:  global
        .offset:         16
        .size:           8
        .value_kind:     global_buffer
      - .offset:         24
        .size:           4
        .value_kind:     by_value
      - .offset:         28
        .size:           4
        .value_kind:     by_value
      - .actual_access:  read_only
        .address_space:  global
        .offset:         32
        .size:           8
        .value_kind:     global_buffer
      - .actual_access:  read_only
        .address_space:  global
        .offset:         40
        .size:           8
        .value_kind:     global_buffer
      - .actual_access:  read_only
        .address_space:  global
        .offset:         48
        .size:           8
        .value_kind:     global_buffer
      - .offset:         56
        .size:           4
        .value_kind:     by_value
      - .actual_access:  read_only
        .address_space:  global
        .offset:         64
        .size:           8
        .value_kind:     global_buffer
      - .offset:         72
        .size:           4
        .value_kind:     by_value
      - .offset:         76
        .size:           4
        .value_kind:     by_value
      - .offset:         80
        .size:           4
        .value_kind:     by_value
      - .actual_access:  read_only
        .address_space:  global
        .offset:         88
        .size:           8
        .value_kind:     global_buffer
      - .actual_access:  read_only
        .address_space:  global
        .offset:         96
        .size:           8
        .value_kind:     global_buffer
      - .actual_access:  read_only
        .address_space:  global
        .offset:         104
        .size:           8
        .value_kind:     global_buffer
      - .actual_access:  read_only
        .address_space:  global
        .offset:         112
        .size:           8
        .value_kind:     global_buffer
      - .offset:         120
        .size:           4
        .value_kind:     by_value
      - .address_space:  global
        .offset:         128
        .size:           8
        .value_kind:     global_buffer
      - .address_space:  global
        .offset:         136
        .size:           8
        .value_kind:     global_buffer
      - .offset:         144
        .size:           4
        .value_kind:     hidden_block_count_x
      - .offset:         148
        .size:           4
        .value_kind:     hidden_block_count_y
      - .offset:         152
        .size:           4
        .value_kind:     hidden_block_count_z
      - .offset:         156
        .size:           2
        .value_kind:     hidden_group_size_x
      - .offset:         158
        .size:           2
        .value_kind:     hidden_group_size_y
      - .offset:         160
        .size:           2
        .value_kind:     hidden_group_size_z
      - .offset:         162
        .size:           2
        .value_kind:     hidden_remainder_x
      - .offset:         164
        .size:           2
        .value_kind:     hidden_remainder_y
      - .offset:         166
        .size:           2
        .value_kind:     hidden_remainder_z
      - .offset:         184
        .size:           8
        .value_kind:     hidden_global_offset_x
      - .offset:         192
        .size:           8
        .value_kind:     hidden_global_offset_y
      - .offset:         200
        .size:           8
        .value_kind:     hidden_global_offset_z
      - .offset:         208
        .size:           2
        .value_kind:     hidden_grid_dims
      - .offset:         224
        .size:           8
        .value_kind:     hidden_hostcall_buffer
    .group_segment_fixed_size: 8192
    .kernarg_segment_align: 8
    .kernarg_segment_size: 400
    .language:       OpenCL C
    .language_version:
      - 2
      - 0
    .max_flat_workgroup_size: 256
    .name:           _Z39paged_attention_ll4mi_QKV_mfma16_kernelIDF16_hLN4vllm18Fp8KVCacheDataTypeE1EDF16_Li32ELi64ELi256ELb0ELi15EL8MFMAType1EEvPKT_PKT0_S8_ifPKiSA_SA_iPKfiiiPfSD_PS3_PT2_iSC_SC_
    .private_segment_fixed_size: 64
    .sgpr_count:     40
    .sgpr_spill_count: 0
    .symbol:         _Z39paged_attention_ll4mi_QKV_mfma16_kernelIDF16_hLN4vllm18Fp8KVCacheDataTypeE1EDF16_Li32ELi64ELi256ELb0ELi15EL8MFMAType1EEvPKT_PKT0_S8_ifPKiSA_SA_iPKfiiiPfSD_PS3_PT2_iSC_SC_.kd
    .uniform_work_group_size: 1
    .uses_dynamic_stack: false
    .vgpr_count:     45
    .vgpr_spill_count: 0
    .wavefront_size: 64
  - .agpr_count:     1
    .args:
      - .actual_access:  read_only
        .address_space:  global
        .offset:         0
        .size:           8
        .value_kind:     global_buffer
      - .actual_access:  read_only
        .address_space:  global
        .offset:         8
        .size:           8
        .value_kind:     global_buffer
      - .actual_access:  read_only
        .address_space:  global
        .offset:         16
        .size:           8
        .value_kind:     global_buffer
      - .offset:         24
        .size:           4
        .value_kind:     by_value
      - .offset:         28
        .size:           4
        .value_kind:     by_value
      - .actual_access:  read_only
        .address_space:  global
        .offset:         32
        .size:           8
        .value_kind:     global_buffer
      - .actual_access:  read_only
        .address_space:  global
        .offset:         40
        .size:           8
        .value_kind:     global_buffer
      - .actual_access:  read_only
        .address_space:  global
        .offset:         48
        .size:           8
        .value_kind:     global_buffer
      - .offset:         56
        .size:           4
        .value_kind:     by_value
      - .actual_access:  read_only
        .address_space:  global
        .offset:         64
        .size:           8
        .value_kind:     global_buffer
      - .offset:         72
        .size:           4
        .value_kind:     by_value
      - .offset:         76
        .size:           4
        .value_kind:     by_value
      - .offset:         80
        .size:           4
        .value_kind:     by_value
      - .actual_access:  read_only
        .address_space:  global
        .offset:         88
        .size:           8
        .value_kind:     global_buffer
      - .actual_access:  read_only
        .address_space:  global
        .offset:         96
        .size:           8
        .value_kind:     global_buffer
      - .actual_access:  read_only
        .address_space:  global
        .offset:         104
        .size:           8
        .value_kind:     global_buffer
      - .actual_access:  read_only
        .address_space:  global
        .offset:         112
        .size:           8
        .value_kind:     global_buffer
      - .offset:         120
        .size:           4
        .value_kind:     by_value
      - .address_space:  global
        .offset:         128
        .size:           8
        .value_kind:     global_buffer
      - .address_space:  global
        .offset:         136
        .size:           8
        .value_kind:     global_buffer
      - .offset:         144
        .size:           4
        .value_kind:     hidden_block_count_x
      - .offset:         148
        .size:           4
        .value_kind:     hidden_block_count_y
      - .offset:         152
        .size:           4
        .value_kind:     hidden_block_count_z
      - .offset:         156
        .size:           2
        .value_kind:     hidden_group_size_x
      - .offset:         158
        .size:           2
        .value_kind:     hidden_group_size_y
      - .offset:         160
        .size:           2
        .value_kind:     hidden_group_size_z
      - .offset:         162
        .size:           2
        .value_kind:     hidden_remainder_x
      - .offset:         164
        .size:           2
        .value_kind:     hidden_remainder_y
      - .offset:         166
        .size:           2
        .value_kind:     hidden_remainder_z
      - .offset:         184
        .size:           8
        .value_kind:     hidden_global_offset_x
      - .offset:         192
        .size:           8
        .value_kind:     hidden_global_offset_y
      - .offset:         200
        .size:           8
        .value_kind:     hidden_global_offset_z
      - .offset:         208
        .size:           2
        .value_kind:     hidden_grid_dims
      - .offset:         224
        .size:           8
        .value_kind:     hidden_hostcall_buffer
    .group_segment_fixed_size: 8192
    .kernarg_segment_align: 8
    .kernarg_segment_size: 400
    .language:       OpenCL C
    .language_version:
      - 2
      - 0
    .max_flat_workgroup_size: 256
    .name:           _Z39paged_attention_ll4mi_QKV_mfma16_kernelIDF16_hLN4vllm18Fp8KVCacheDataTypeE1EDF16_Li32ELi64ELi256ELb0ELi16EL8MFMAType1EEvPKT_PKT0_S8_ifPKiSA_SA_iPKfiiiPfSD_PS3_PT2_iSC_SC_
    .private_segment_fixed_size: 64
    .sgpr_count:     40
    .sgpr_spill_count: 0
    .symbol:         _Z39paged_attention_ll4mi_QKV_mfma16_kernelIDF16_hLN4vllm18Fp8KVCacheDataTypeE1EDF16_Li32ELi64ELi256ELb0ELi16EL8MFMAType1EEvPKT_PKT0_S8_ifPKiSA_SA_iPKfiiiPfSD_PS3_PT2_iSC_SC_.kd
    .uniform_work_group_size: 1
    .uses_dynamic_stack: false
    .vgpr_count:     45
    .vgpr_spill_count: 0
    .wavefront_size: 64
  - .agpr_count:     1
    .args:
      - .actual_access:  read_only
        .address_space:  global
        .offset:         0
        .size:           8
        .value_kind:     global_buffer
      - .actual_access:  read_only
        .address_space:  global
        .offset:         8
        .size:           8
        .value_kind:     global_buffer
      - .actual_access:  read_only
        .address_space:  global
        .offset:         16
        .size:           8
        .value_kind:     global_buffer
      - .offset:         24
        .size:           4
        .value_kind:     by_value
      - .offset:         28
        .size:           4
        .value_kind:     by_value
      - .actual_access:  read_only
        .address_space:  global
        .offset:         32
        .size:           8
        .value_kind:     global_buffer
      - .actual_access:  read_only
        .address_space:  global
        .offset:         40
        .size:           8
        .value_kind:     global_buffer
      - .actual_access:  read_only
        .address_space:  global
        .offset:         48
        .size:           8
        .value_kind:     global_buffer
      - .offset:         56
        .size:           4
        .value_kind:     by_value
      - .actual_access:  read_only
        .address_space:  global
        .offset:         64
        .size:           8
        .value_kind:     global_buffer
      - .offset:         72
        .size:           4
        .value_kind:     by_value
      - .offset:         76
        .size:           4
        .value_kind:     by_value
      - .offset:         80
        .size:           4
        .value_kind:     by_value
      - .actual_access:  read_only
        .address_space:  global
        .offset:         88
        .size:           8
        .value_kind:     global_buffer
      - .actual_access:  read_only
        .address_space:  global
        .offset:         96
        .size:           8
        .value_kind:     global_buffer
      - .actual_access:  read_only
        .address_space:  global
        .offset:         104
        .size:           8
        .value_kind:     global_buffer
      - .actual_access:  read_only
        .address_space:  global
        .offset:         112
        .size:           8
        .value_kind:     global_buffer
      - .offset:         120
        .size:           4
        .value_kind:     by_value
      - .address_space:  global
        .offset:         128
        .size:           8
        .value_kind:     global_buffer
      - .address_space:  global
        .offset:         136
        .size:           8
        .value_kind:     global_buffer
      - .offset:         144
        .size:           4
        .value_kind:     hidden_block_count_x
      - .offset:         148
        .size:           4
        .value_kind:     hidden_block_count_y
      - .offset:         152
        .size:           4
        .value_kind:     hidden_block_count_z
      - .offset:         156
        .size:           2
        .value_kind:     hidden_group_size_x
      - .offset:         158
        .size:           2
        .value_kind:     hidden_group_size_y
      - .offset:         160
        .size:           2
        .value_kind:     hidden_group_size_z
      - .offset:         162
        .size:           2
        .value_kind:     hidden_remainder_x
      - .offset:         164
        .size:           2
        .value_kind:     hidden_remainder_y
      - .offset:         166
        .size:           2
        .value_kind:     hidden_remainder_z
      - .offset:         184
        .size:           8
        .value_kind:     hidden_global_offset_x
      - .offset:         192
        .size:           8
        .value_kind:     hidden_global_offset_y
      - .offset:         200
        .size:           8
        .value_kind:     hidden_global_offset_z
      - .offset:         208
        .size:           2
        .value_kind:     hidden_grid_dims
      - .offset:         224
        .size:           8
        .value_kind:     hidden_hostcall_buffer
    .group_segment_fixed_size: 8192
    .kernarg_segment_align: 8
    .kernarg_segment_size: 400
    .language:       OpenCL C
    .language_version:
      - 2
      - 0
    .max_flat_workgroup_size: 256
    .name:           _Z39paged_attention_ll4mi_QKV_mfma16_kernelIDF16_hLN4vllm18Fp8KVCacheDataTypeE1EDF16_Li32ELi64ELi256ELb0ELi1EL8MFMAType1EEvPKT_PKT0_S8_ifPKiSA_SA_iPKfiiiPfSD_PS3_PT2_iSC_SC_
    .private_segment_fixed_size: 64
    .sgpr_count:     40
    .sgpr_spill_count: 0
    .symbol:         _Z39paged_attention_ll4mi_QKV_mfma16_kernelIDF16_hLN4vllm18Fp8KVCacheDataTypeE1EDF16_Li32ELi64ELi256ELb0ELi1EL8MFMAType1EEvPKT_PKT0_S8_ifPKiSA_SA_iPKfiiiPfSD_PS3_PT2_iSC_SC_.kd
    .uniform_work_group_size: 1
    .uses_dynamic_stack: false
    .vgpr_count:     45
    .vgpr_spill_count: 0
    .wavefront_size: 64
  - .agpr_count:     1
    .args:
      - .actual_access:  read_only
        .address_space:  global
        .offset:         0
        .size:           8
        .value_kind:     global_buffer
      - .actual_access:  read_only
        .address_space:  global
        .offset:         8
        .size:           8
        .value_kind:     global_buffer
      - .actual_access:  read_only
        .address_space:  global
        .offset:         16
        .size:           8
        .value_kind:     global_buffer
      - .offset:         24
        .size:           4
        .value_kind:     by_value
      - .offset:         28
        .size:           4
        .value_kind:     by_value
      - .actual_access:  read_only
        .address_space:  global
        .offset:         32
        .size:           8
        .value_kind:     global_buffer
      - .actual_access:  read_only
        .address_space:  global
        .offset:         40
        .size:           8
        .value_kind:     global_buffer
      - .actual_access:  read_only
        .address_space:  global
        .offset:         48
        .size:           8
        .value_kind:     global_buffer
      - .offset:         56
        .size:           4
        .value_kind:     by_value
      - .actual_access:  read_only
        .address_space:  global
        .offset:         64
        .size:           8
        .value_kind:     global_buffer
      - .offset:         72
        .size:           4
        .value_kind:     by_value
      - .offset:         76
        .size:           4
        .value_kind:     by_value
      - .offset:         80
        .size:           4
        .value_kind:     by_value
      - .actual_access:  read_only
        .address_space:  global
        .offset:         88
        .size:           8
        .value_kind:     global_buffer
      - .actual_access:  read_only
        .address_space:  global
        .offset:         96
        .size:           8
        .value_kind:     global_buffer
      - .actual_access:  read_only
        .address_space:  global
        .offset:         104
        .size:           8
        .value_kind:     global_buffer
      - .actual_access:  read_only
        .address_space:  global
        .offset:         112
        .size:           8
        .value_kind:     global_buffer
      - .offset:         120
        .size:           4
        .value_kind:     by_value
      - .address_space:  global
        .offset:         128
        .size:           8
        .value_kind:     global_buffer
      - .address_space:  global
        .offset:         136
        .size:           8
        .value_kind:     global_buffer
      - .offset:         144
        .size:           4
        .value_kind:     hidden_block_count_x
      - .offset:         148
        .size:           4
        .value_kind:     hidden_block_count_y
      - .offset:         152
        .size:           4
        .value_kind:     hidden_block_count_z
      - .offset:         156
        .size:           2
        .value_kind:     hidden_group_size_x
      - .offset:         158
        .size:           2
        .value_kind:     hidden_group_size_y
      - .offset:         160
        .size:           2
        .value_kind:     hidden_group_size_z
      - .offset:         162
        .size:           2
        .value_kind:     hidden_remainder_x
      - .offset:         164
        .size:           2
        .value_kind:     hidden_remainder_y
      - .offset:         166
        .size:           2
        .value_kind:     hidden_remainder_z
      - .offset:         184
        .size:           8
        .value_kind:     hidden_global_offset_x
      - .offset:         192
        .size:           8
        .value_kind:     hidden_global_offset_y
      - .offset:         200
        .size:           8
        .value_kind:     hidden_global_offset_z
      - .offset:         208
        .size:           2
        .value_kind:     hidden_grid_dims
      - .offset:         224
        .size:           8
        .value_kind:     hidden_hostcall_buffer
    .group_segment_fixed_size: 8192
    .kernarg_segment_align: 8
    .kernarg_segment_size: 400
    .language:       OpenCL C
    .language_version:
      - 2
      - 0
    .max_flat_workgroup_size: 256
    .name:           _Z39paged_attention_ll4mi_QKV_mfma16_kernelIDF16_hLN4vllm18Fp8KVCacheDataTypeE1EDF16_Li32ELi64ELi256ELb0ELi2EL8MFMAType1EEvPKT_PKT0_S8_ifPKiSA_SA_iPKfiiiPfSD_PS3_PT2_iSC_SC_
    .private_segment_fixed_size: 64
    .sgpr_count:     40
    .sgpr_spill_count: 0
    .symbol:         _Z39paged_attention_ll4mi_QKV_mfma16_kernelIDF16_hLN4vllm18Fp8KVCacheDataTypeE1EDF16_Li32ELi64ELi256ELb0ELi2EL8MFMAType1EEvPKT_PKT0_S8_ifPKiSA_SA_iPKfiiiPfSD_PS3_PT2_iSC_SC_.kd
    .uniform_work_group_size: 1
    .uses_dynamic_stack: false
    .vgpr_count:     45
    .vgpr_spill_count: 0
    .wavefront_size: 64
  - .agpr_count:     1
    .args:
      - .actual_access:  read_only
        .address_space:  global
        .offset:         0
        .size:           8
        .value_kind:     global_buffer
      - .actual_access:  read_only
        .address_space:  global
        .offset:         8
        .size:           8
        .value_kind:     global_buffer
      - .actual_access:  read_only
        .address_space:  global
        .offset:         16
        .size:           8
        .value_kind:     global_buffer
      - .offset:         24
        .size:           4
        .value_kind:     by_value
      - .offset:         28
        .size:           4
        .value_kind:     by_value
      - .actual_access:  read_only
        .address_space:  global
        .offset:         32
        .size:           8
        .value_kind:     global_buffer
      - .actual_access:  read_only
        .address_space:  global
        .offset:         40
        .size:           8
        .value_kind:     global_buffer
      - .actual_access:  read_only
        .address_space:  global
        .offset:         48
        .size:           8
        .value_kind:     global_buffer
      - .offset:         56
        .size:           4
        .value_kind:     by_value
      - .actual_access:  read_only
        .address_space:  global
        .offset:         64
        .size:           8
        .value_kind:     global_buffer
      - .offset:         72
        .size:           4
        .value_kind:     by_value
      - .offset:         76
        .size:           4
        .value_kind:     by_value
      - .offset:         80
        .size:           4
        .value_kind:     by_value
      - .actual_access:  read_only
        .address_space:  global
        .offset:         88
        .size:           8
        .value_kind:     global_buffer
      - .actual_access:  read_only
        .address_space:  global
        .offset:         96
        .size:           8
        .value_kind:     global_buffer
      - .actual_access:  read_only
        .address_space:  global
        .offset:         104
        .size:           8
        .value_kind:     global_buffer
      - .actual_access:  read_only
        .address_space:  global
        .offset:         112
        .size:           8
        .value_kind:     global_buffer
      - .offset:         120
        .size:           4
        .value_kind:     by_value
      - .address_space:  global
        .offset:         128
        .size:           8
        .value_kind:     global_buffer
      - .address_space:  global
        .offset:         136
        .size:           8
        .value_kind:     global_buffer
      - .offset:         144
        .size:           4
        .value_kind:     hidden_block_count_x
      - .offset:         148
        .size:           4
        .value_kind:     hidden_block_count_y
      - .offset:         152
        .size:           4
        .value_kind:     hidden_block_count_z
      - .offset:         156
        .size:           2
        .value_kind:     hidden_group_size_x
      - .offset:         158
        .size:           2
        .value_kind:     hidden_group_size_y
      - .offset:         160
        .size:           2
        .value_kind:     hidden_group_size_z
      - .offset:         162
        .size:           2
        .value_kind:     hidden_remainder_x
      - .offset:         164
        .size:           2
        .value_kind:     hidden_remainder_y
      - .offset:         166
        .size:           2
        .value_kind:     hidden_remainder_z
      - .offset:         184
        .size:           8
        .value_kind:     hidden_global_offset_x
      - .offset:         192
        .size:           8
        .value_kind:     hidden_global_offset_y
      - .offset:         200
        .size:           8
        .value_kind:     hidden_global_offset_z
      - .offset:         208
        .size:           2
        .value_kind:     hidden_grid_dims
      - .offset:         224
        .size:           8
        .value_kind:     hidden_hostcall_buffer
    .group_segment_fixed_size: 8192
    .kernarg_segment_align: 8
    .kernarg_segment_size: 400
    .language:       OpenCL C
    .language_version:
      - 2
      - 0
    .max_flat_workgroup_size: 256
    .name:           _Z39paged_attention_ll4mi_QKV_mfma16_kernelIDF16_hLN4vllm18Fp8KVCacheDataTypeE1EDF16_Li32ELi64ELi256ELb0ELi3EL8MFMAType1EEvPKT_PKT0_S8_ifPKiSA_SA_iPKfiiiPfSD_PS3_PT2_iSC_SC_
    .private_segment_fixed_size: 64
    .sgpr_count:     40
    .sgpr_spill_count: 0
    .symbol:         _Z39paged_attention_ll4mi_QKV_mfma16_kernelIDF16_hLN4vllm18Fp8KVCacheDataTypeE1EDF16_Li32ELi64ELi256ELb0ELi3EL8MFMAType1EEvPKT_PKT0_S8_ifPKiSA_SA_iPKfiiiPfSD_PS3_PT2_iSC_SC_.kd
    .uniform_work_group_size: 1
    .uses_dynamic_stack: false
    .vgpr_count:     45
    .vgpr_spill_count: 0
    .wavefront_size: 64
  - .agpr_count:     1
    .args:
      - .actual_access:  read_only
        .address_space:  global
        .offset:         0
        .size:           8
        .value_kind:     global_buffer
      - .actual_access:  read_only
        .address_space:  global
        .offset:         8
        .size:           8
        .value_kind:     global_buffer
      - .actual_access:  read_only
        .address_space:  global
        .offset:         16
        .size:           8
        .value_kind:     global_buffer
      - .offset:         24
        .size:           4
        .value_kind:     by_value
      - .offset:         28
        .size:           4
        .value_kind:     by_value
      - .actual_access:  read_only
        .address_space:  global
        .offset:         32
        .size:           8
        .value_kind:     global_buffer
      - .actual_access:  read_only
        .address_space:  global
        .offset:         40
        .size:           8
        .value_kind:     global_buffer
      - .actual_access:  read_only
        .address_space:  global
        .offset:         48
        .size:           8
        .value_kind:     global_buffer
      - .offset:         56
        .size:           4
        .value_kind:     by_value
      - .actual_access:  read_only
        .address_space:  global
        .offset:         64
        .size:           8
        .value_kind:     global_buffer
      - .offset:         72
        .size:           4
        .value_kind:     by_value
      - .offset:         76
        .size:           4
        .value_kind:     by_value
      - .offset:         80
        .size:           4
        .value_kind:     by_value
      - .actual_access:  read_only
        .address_space:  global
        .offset:         88
        .size:           8
        .value_kind:     global_buffer
      - .actual_access:  read_only
        .address_space:  global
        .offset:         96
        .size:           8
        .value_kind:     global_buffer
      - .actual_access:  read_only
        .address_space:  global
        .offset:         104
        .size:           8
        .value_kind:     global_buffer
      - .actual_access:  read_only
        .address_space:  global
        .offset:         112
        .size:           8
        .value_kind:     global_buffer
      - .offset:         120
        .size:           4
        .value_kind:     by_value
      - .address_space:  global
        .offset:         128
        .size:           8
        .value_kind:     global_buffer
      - .address_space:  global
        .offset:         136
        .size:           8
        .value_kind:     global_buffer
      - .offset:         144
        .size:           4
        .value_kind:     hidden_block_count_x
      - .offset:         148
        .size:           4
        .value_kind:     hidden_block_count_y
      - .offset:         152
        .size:           4
        .value_kind:     hidden_block_count_z
      - .offset:         156
        .size:           2
        .value_kind:     hidden_group_size_x
      - .offset:         158
        .size:           2
        .value_kind:     hidden_group_size_y
      - .offset:         160
        .size:           2
        .value_kind:     hidden_group_size_z
      - .offset:         162
        .size:           2
        .value_kind:     hidden_remainder_x
      - .offset:         164
        .size:           2
        .value_kind:     hidden_remainder_y
      - .offset:         166
        .size:           2
        .value_kind:     hidden_remainder_z
      - .offset:         184
        .size:           8
        .value_kind:     hidden_global_offset_x
      - .offset:         192
        .size:           8
        .value_kind:     hidden_global_offset_y
      - .offset:         200
        .size:           8
        .value_kind:     hidden_global_offset_z
      - .offset:         208
        .size:           2
        .value_kind:     hidden_grid_dims
      - .offset:         224
        .size:           8
        .value_kind:     hidden_hostcall_buffer
    .group_segment_fixed_size: 8192
    .kernarg_segment_align: 8
    .kernarg_segment_size: 400
    .language:       OpenCL C
    .language_version:
      - 2
      - 0
    .max_flat_workgroup_size: 256
    .name:           _Z39paged_attention_ll4mi_QKV_mfma16_kernelIDF16_hLN4vllm18Fp8KVCacheDataTypeE1EDF16_Li32ELi64ELi256ELb0ELi4EL8MFMAType1EEvPKT_PKT0_S8_ifPKiSA_SA_iPKfiiiPfSD_PS3_PT2_iSC_SC_
    .private_segment_fixed_size: 64
    .sgpr_count:     40
    .sgpr_spill_count: 0
    .symbol:         _Z39paged_attention_ll4mi_QKV_mfma16_kernelIDF16_hLN4vllm18Fp8KVCacheDataTypeE1EDF16_Li32ELi64ELi256ELb0ELi4EL8MFMAType1EEvPKT_PKT0_S8_ifPKiSA_SA_iPKfiiiPfSD_PS3_PT2_iSC_SC_.kd
    .uniform_work_group_size: 1
    .uses_dynamic_stack: false
    .vgpr_count:     45
    .vgpr_spill_count: 0
    .wavefront_size: 64
  - .agpr_count:     4
    .args:
      - .actual_access:  read_only
        .address_space:  global
        .offset:         0
        .size:           8
        .value_kind:     global_buffer
      - .actual_access:  read_only
        .address_space:  global
        .offset:         8
        .size:           8
        .value_kind:     global_buffer
      - .actual_access:  read_only
        .address_space:  global
        .offset:         16
        .size:           8
        .value_kind:     global_buffer
      - .offset:         24
        .size:           4
        .value_kind:     by_value
      - .offset:         28
        .size:           4
        .value_kind:     by_value
      - .actual_access:  read_only
        .address_space:  global
        .offset:         32
        .size:           8
        .value_kind:     global_buffer
      - .actual_access:  read_only
        .address_space:  global
        .offset:         40
        .size:           8
        .value_kind:     global_buffer
      - .actual_access:  read_only
        .address_space:  global
        .offset:         48
        .size:           8
        .value_kind:     global_buffer
      - .offset:         56
        .size:           4
        .value_kind:     by_value
      - .actual_access:  read_only
        .address_space:  global
        .offset:         64
        .size:           8
        .value_kind:     global_buffer
      - .offset:         72
        .size:           4
        .value_kind:     by_value
      - .offset:         76
        .size:           4
        .value_kind:     by_value
      - .offset:         80
        .size:           4
        .value_kind:     by_value
      - .actual_access:  write_only
        .address_space:  global
        .offset:         88
        .size:           8
        .value_kind:     global_buffer
      - .actual_access:  write_only
        .address_space:  global
        .offset:         96
        .size:           8
        .value_kind:     global_buffer
      - .actual_access:  write_only
        .address_space:  global
        .offset:         104
        .size:           8
        .value_kind:     global_buffer
      - .actual_access:  read_only
        .address_space:  global
        .offset:         112
        .size:           8
        .value_kind:     global_buffer
      - .offset:         120
        .size:           4
        .value_kind:     by_value
      - .address_space:  global
        .offset:         128
        .size:           8
        .value_kind:     global_buffer
      - .address_space:  global
        .offset:         136
        .size:           8
        .value_kind:     global_buffer
      - .offset:         144
        .size:           4
        .value_kind:     hidden_block_count_x
      - .offset:         148
        .size:           4
        .value_kind:     hidden_block_count_y
      - .offset:         152
        .size:           4
        .value_kind:     hidden_block_count_z
      - .offset:         156
        .size:           2
        .value_kind:     hidden_group_size_x
      - .offset:         158
        .size:           2
        .value_kind:     hidden_group_size_y
      - .offset:         160
        .size:           2
        .value_kind:     hidden_group_size_z
      - .offset:         162
        .size:           2
        .value_kind:     hidden_remainder_x
      - .offset:         164
        .size:           2
        .value_kind:     hidden_remainder_y
      - .offset:         166
        .size:           2
        .value_kind:     hidden_remainder_z
      - .offset:         184
        .size:           8
        .value_kind:     hidden_global_offset_x
      - .offset:         192
        .size:           8
        .value_kind:     hidden_global_offset_y
      - .offset:         200
        .size:           8
        .value_kind:     hidden_global_offset_z
      - .offset:         208
        .size:           2
        .value_kind:     hidden_grid_dims
    .group_segment_fixed_size: 5280
    .kernarg_segment_align: 8
    .kernarg_segment_size: 400
    .language:       OpenCL C
    .language_version:
      - 2
      - 0
    .max_flat_workgroup_size: 256
    .name:           _Z38paged_attention_ll4mi_QKV_mfma4_kernelIDF16_hLN4vllm18Fp8KVCacheDataTypeE1EDF16_Li16ELi128ELi256ELb1ELi1EEvPKT_PKT0_S7_ifPKiS9_S9_iPKfiiiPfSC_PS2_PT2_iSB_SB_
    .private_segment_fixed_size: 144
    .sgpr_count:     50
    .sgpr_spill_count: 0
    .symbol:         _Z38paged_attention_ll4mi_QKV_mfma4_kernelIDF16_hLN4vllm18Fp8KVCacheDataTypeE1EDF16_Li16ELi128ELi256ELb1ELi1EEvPKT_PKT0_S7_ifPKiS9_S9_iPKfiiiPfSC_PS2_PT2_iSB_SB_.kd
    .uniform_work_group_size: 1
    .uses_dynamic_stack: false
    .vgpr_count:     84
    .vgpr_spill_count: 0
    .wavefront_size: 64
  - .agpr_count:     4
    .args:
      - .actual_access:  read_only
        .address_space:  global
        .offset:         0
        .size:           8
        .value_kind:     global_buffer
      - .actual_access:  read_only
        .address_space:  global
        .offset:         8
        .size:           8
        .value_kind:     global_buffer
      - .actual_access:  read_only
        .address_space:  global
        .offset:         16
        .size:           8
        .value_kind:     global_buffer
      - .offset:         24
        .size:           4
        .value_kind:     by_value
      - .offset:         28
        .size:           4
        .value_kind:     by_value
      - .actual_access:  read_only
        .address_space:  global
        .offset:         32
        .size:           8
        .value_kind:     global_buffer
      - .actual_access:  read_only
        .address_space:  global
        .offset:         40
        .size:           8
        .value_kind:     global_buffer
      - .actual_access:  read_only
        .address_space:  global
        .offset:         48
        .size:           8
        .value_kind:     global_buffer
      - .offset:         56
        .size:           4
        .value_kind:     by_value
      - .actual_access:  read_only
        .address_space:  global
        .offset:         64
        .size:           8
        .value_kind:     global_buffer
      - .offset:         72
        .size:           4
        .value_kind:     by_value
      - .offset:         76
        .size:           4
        .value_kind:     by_value
      - .offset:         80
        .size:           4
        .value_kind:     by_value
      - .actual_access:  write_only
        .address_space:  global
        .offset:         88
        .size:           8
        .value_kind:     global_buffer
      - .actual_access:  write_only
        .address_space:  global
        .offset:         96
        .size:           8
        .value_kind:     global_buffer
      - .actual_access:  write_only
        .address_space:  global
        .offset:         104
        .size:           8
        .value_kind:     global_buffer
      - .actual_access:  read_only
        .address_space:  global
        .offset:         112
        .size:           8
        .value_kind:     global_buffer
      - .offset:         120
        .size:           4
        .value_kind:     by_value
      - .address_space:  global
        .offset:         128
        .size:           8
        .value_kind:     global_buffer
      - .address_space:  global
        .offset:         136
        .size:           8
        .value_kind:     global_buffer
      - .offset:         144
        .size:           4
        .value_kind:     hidden_block_count_x
      - .offset:         148
        .size:           4
        .value_kind:     hidden_block_count_y
      - .offset:         152
        .size:           4
        .value_kind:     hidden_block_count_z
      - .offset:         156
        .size:           2
        .value_kind:     hidden_group_size_x
      - .offset:         158
        .size:           2
        .value_kind:     hidden_group_size_y
      - .offset:         160
        .size:           2
        .value_kind:     hidden_group_size_z
      - .offset:         162
        .size:           2
        .value_kind:     hidden_remainder_x
      - .offset:         164
        .size:           2
        .value_kind:     hidden_remainder_y
      - .offset:         166
        .size:           2
        .value_kind:     hidden_remainder_z
      - .offset:         184
        .size:           8
        .value_kind:     hidden_global_offset_x
      - .offset:         192
        .size:           8
        .value_kind:     hidden_global_offset_y
      - .offset:         200
        .size:           8
        .value_kind:     hidden_global_offset_z
      - .offset:         208
        .size:           2
        .value_kind:     hidden_grid_dims
    .group_segment_fixed_size: 5280
    .kernarg_segment_align: 8
    .kernarg_segment_size: 400
    .language:       OpenCL C
    .language_version:
      - 2
      - 0
    .max_flat_workgroup_size: 256
    .name:           _Z38paged_attention_ll4mi_QKV_mfma4_kernelIDF16_hLN4vllm18Fp8KVCacheDataTypeE1EDF16_Li16ELi128ELi256ELb1ELi2EEvPKT_PKT0_S7_ifPKiS9_S9_iPKfiiiPfSC_PS2_PT2_iSB_SB_
    .private_segment_fixed_size: 144
    .sgpr_count:     52
    .sgpr_spill_count: 0
    .symbol:         _Z38paged_attention_ll4mi_QKV_mfma4_kernelIDF16_hLN4vllm18Fp8KVCacheDataTypeE1EDF16_Li16ELi128ELi256ELb1ELi2EEvPKT_PKT0_S7_ifPKiS9_S9_iPKfiiiPfSC_PS2_PT2_iSB_SB_.kd
    .uniform_work_group_size: 1
    .uses_dynamic_stack: false
    .vgpr_count:     84
    .vgpr_spill_count: 0
    .wavefront_size: 64
  - .agpr_count:     4
    .args:
      - .actual_access:  read_only
        .address_space:  global
        .offset:         0
        .size:           8
        .value_kind:     global_buffer
      - .actual_access:  read_only
        .address_space:  global
        .offset:         8
        .size:           8
        .value_kind:     global_buffer
      - .actual_access:  read_only
        .address_space:  global
        .offset:         16
        .size:           8
        .value_kind:     global_buffer
      - .offset:         24
        .size:           4
        .value_kind:     by_value
      - .offset:         28
        .size:           4
        .value_kind:     by_value
      - .actual_access:  read_only
        .address_space:  global
        .offset:         32
        .size:           8
        .value_kind:     global_buffer
      - .actual_access:  read_only
        .address_space:  global
        .offset:         40
        .size:           8
        .value_kind:     global_buffer
      - .actual_access:  read_only
        .address_space:  global
        .offset:         48
        .size:           8
        .value_kind:     global_buffer
      - .offset:         56
        .size:           4
        .value_kind:     by_value
      - .actual_access:  read_only
        .address_space:  global
        .offset:         64
        .size:           8
        .value_kind:     global_buffer
      - .offset:         72
        .size:           4
        .value_kind:     by_value
      - .offset:         76
        .size:           4
        .value_kind:     by_value
      - .offset:         80
        .size:           4
        .value_kind:     by_value
      - .actual_access:  write_only
        .address_space:  global
        .offset:         88
        .size:           8
        .value_kind:     global_buffer
      - .actual_access:  write_only
        .address_space:  global
        .offset:         96
        .size:           8
        .value_kind:     global_buffer
      - .actual_access:  write_only
        .address_space:  global
        .offset:         104
        .size:           8
        .value_kind:     global_buffer
      - .actual_access:  read_only
        .address_space:  global
        .offset:         112
        .size:           8
        .value_kind:     global_buffer
      - .offset:         120
        .size:           4
        .value_kind:     by_value
      - .address_space:  global
        .offset:         128
        .size:           8
        .value_kind:     global_buffer
      - .address_space:  global
        .offset:         136
        .size:           8
        .value_kind:     global_buffer
      - .offset:         144
        .size:           4
        .value_kind:     hidden_block_count_x
      - .offset:         148
        .size:           4
        .value_kind:     hidden_block_count_y
      - .offset:         152
        .size:           4
        .value_kind:     hidden_block_count_z
      - .offset:         156
        .size:           2
        .value_kind:     hidden_group_size_x
      - .offset:         158
        .size:           2
        .value_kind:     hidden_group_size_y
      - .offset:         160
        .size:           2
        .value_kind:     hidden_group_size_z
      - .offset:         162
        .size:           2
        .value_kind:     hidden_remainder_x
      - .offset:         164
        .size:           2
        .value_kind:     hidden_remainder_y
      - .offset:         166
        .size:           2
        .value_kind:     hidden_remainder_z
      - .offset:         184
        .size:           8
        .value_kind:     hidden_global_offset_x
      - .offset:         192
        .size:           8
        .value_kind:     hidden_global_offset_y
      - .offset:         200
        .size:           8
        .value_kind:     hidden_global_offset_z
      - .offset:         208
        .size:           2
        .value_kind:     hidden_grid_dims
    .group_segment_fixed_size: 5280
    .kernarg_segment_align: 8
    .kernarg_segment_size: 400
    .language:       OpenCL C
    .language_version:
      - 2
      - 0
    .max_flat_workgroup_size: 256
    .name:           _Z38paged_attention_ll4mi_QKV_mfma4_kernelIDF16_hLN4vllm18Fp8KVCacheDataTypeE1EDF16_Li16ELi128ELi256ELb1ELi3EEvPKT_PKT0_S7_ifPKiS9_S9_iPKfiiiPfSC_PS2_PT2_iSB_SB_
    .private_segment_fixed_size: 144
    .sgpr_count:     54
    .sgpr_spill_count: 0
    .symbol:         _Z38paged_attention_ll4mi_QKV_mfma4_kernelIDF16_hLN4vllm18Fp8KVCacheDataTypeE1EDF16_Li16ELi128ELi256ELb1ELi3EEvPKT_PKT0_S7_ifPKiS9_S9_iPKfiiiPfSC_PS2_PT2_iSB_SB_.kd
    .uniform_work_group_size: 1
    .uses_dynamic_stack: false
    .vgpr_count:     84
    .vgpr_spill_count: 0
    .wavefront_size: 64
  - .agpr_count:     4
    .args:
      - .actual_access:  read_only
        .address_space:  global
        .offset:         0
        .size:           8
        .value_kind:     global_buffer
      - .actual_access:  read_only
        .address_space:  global
        .offset:         8
        .size:           8
        .value_kind:     global_buffer
      - .actual_access:  read_only
        .address_space:  global
        .offset:         16
        .size:           8
        .value_kind:     global_buffer
      - .offset:         24
        .size:           4
        .value_kind:     by_value
      - .offset:         28
        .size:           4
        .value_kind:     by_value
      - .actual_access:  read_only
        .address_space:  global
        .offset:         32
        .size:           8
        .value_kind:     global_buffer
      - .actual_access:  read_only
        .address_space:  global
        .offset:         40
        .size:           8
        .value_kind:     global_buffer
      - .actual_access:  read_only
        .address_space:  global
        .offset:         48
        .size:           8
        .value_kind:     global_buffer
      - .offset:         56
        .size:           4
        .value_kind:     by_value
      - .actual_access:  read_only
        .address_space:  global
        .offset:         64
        .size:           8
        .value_kind:     global_buffer
      - .offset:         72
        .size:           4
        .value_kind:     by_value
      - .offset:         76
        .size:           4
        .value_kind:     by_value
      - .offset:         80
        .size:           4
        .value_kind:     by_value
      - .actual_access:  write_only
        .address_space:  global
        .offset:         88
        .size:           8
        .value_kind:     global_buffer
      - .actual_access:  write_only
        .address_space:  global
        .offset:         96
        .size:           8
        .value_kind:     global_buffer
      - .actual_access:  write_only
        .address_space:  global
        .offset:         104
        .size:           8
        .value_kind:     global_buffer
      - .actual_access:  read_only
        .address_space:  global
        .offset:         112
        .size:           8
        .value_kind:     global_buffer
      - .offset:         120
        .size:           4
        .value_kind:     by_value
      - .address_space:  global
        .offset:         128
        .size:           8
        .value_kind:     global_buffer
      - .address_space:  global
        .offset:         136
        .size:           8
        .value_kind:     global_buffer
      - .offset:         144
        .size:           4
        .value_kind:     hidden_block_count_x
      - .offset:         148
        .size:           4
        .value_kind:     hidden_block_count_y
      - .offset:         152
        .size:           4
        .value_kind:     hidden_block_count_z
      - .offset:         156
        .size:           2
        .value_kind:     hidden_group_size_x
      - .offset:         158
        .size:           2
        .value_kind:     hidden_group_size_y
      - .offset:         160
        .size:           2
        .value_kind:     hidden_group_size_z
      - .offset:         162
        .size:           2
        .value_kind:     hidden_remainder_x
      - .offset:         164
        .size:           2
        .value_kind:     hidden_remainder_y
      - .offset:         166
        .size:           2
        .value_kind:     hidden_remainder_z
      - .offset:         184
        .size:           8
        .value_kind:     hidden_global_offset_x
      - .offset:         192
        .size:           8
        .value_kind:     hidden_global_offset_y
      - .offset:         200
        .size:           8
        .value_kind:     hidden_global_offset_z
      - .offset:         208
        .size:           2
        .value_kind:     hidden_grid_dims
    .group_segment_fixed_size: 5280
    .kernarg_segment_align: 8
    .kernarg_segment_size: 400
    .language:       OpenCL C
    .language_version:
      - 2
      - 0
    .max_flat_workgroup_size: 256
    .name:           _Z38paged_attention_ll4mi_QKV_mfma4_kernelIDF16_hLN4vllm18Fp8KVCacheDataTypeE1EDF16_Li16ELi128ELi256ELb1ELi4EEvPKT_PKT0_S7_ifPKiS9_S9_iPKfiiiPfSC_PS2_PT2_iSB_SB_
    .private_segment_fixed_size: 144
    .sgpr_count:     53
    .sgpr_spill_count: 0
    .symbol:         _Z38paged_attention_ll4mi_QKV_mfma4_kernelIDF16_hLN4vllm18Fp8KVCacheDataTypeE1EDF16_Li16ELi128ELi256ELb1ELi4EEvPKT_PKT0_S7_ifPKiS9_S9_iPKfiiiPfSC_PS2_PT2_iSB_SB_.kd
    .uniform_work_group_size: 1
    .uses_dynamic_stack: false
    .vgpr_count:     76
    .vgpr_spill_count: 0
    .wavefront_size: 64
  - .agpr_count:     1
    .args:
      - .actual_access:  read_only
        .address_space:  global
        .offset:         0
        .size:           8
        .value_kind:     global_buffer
      - .actual_access:  read_only
        .address_space:  global
        .offset:         8
        .size:           8
        .value_kind:     global_buffer
      - .actual_access:  read_only
        .address_space:  global
        .offset:         16
        .size:           8
        .value_kind:     global_buffer
      - .offset:         24
        .size:           4
        .value_kind:     by_value
      - .offset:         28
        .size:           4
        .value_kind:     by_value
      - .actual_access:  read_only
        .address_space:  global
        .offset:         32
        .size:           8
        .value_kind:     global_buffer
      - .actual_access:  read_only
        .address_space:  global
        .offset:         40
        .size:           8
        .value_kind:     global_buffer
      - .actual_access:  read_only
        .address_space:  global
        .offset:         48
        .size:           8
        .value_kind:     global_buffer
      - .offset:         56
        .size:           4
        .value_kind:     by_value
      - .actual_access:  read_only
        .address_space:  global
        .offset:         64
        .size:           8
        .value_kind:     global_buffer
      - .offset:         72
        .size:           4
        .value_kind:     by_value
      - .offset:         76
        .size:           4
        .value_kind:     by_value
      - .offset:         80
        .size:           4
        .value_kind:     by_value
      - .actual_access:  read_only
        .address_space:  global
        .offset:         88
        .size:           8
        .value_kind:     global_buffer
      - .actual_access:  read_only
        .address_space:  global
        .offset:         96
        .size:           8
        .value_kind:     global_buffer
      - .actual_access:  read_only
        .address_space:  global
        .offset:         104
        .size:           8
        .value_kind:     global_buffer
      - .actual_access:  read_only
        .address_space:  global
        .offset:         112
        .size:           8
        .value_kind:     global_buffer
      - .offset:         120
        .size:           4
        .value_kind:     by_value
      - .address_space:  global
        .offset:         128
        .size:           8
        .value_kind:     global_buffer
      - .address_space:  global
        .offset:         136
        .size:           8
        .value_kind:     global_buffer
      - .offset:         144
        .size:           4
        .value_kind:     hidden_block_count_x
      - .offset:         148
        .size:           4
        .value_kind:     hidden_block_count_y
      - .offset:         152
        .size:           4
        .value_kind:     hidden_block_count_z
      - .offset:         156
        .size:           2
        .value_kind:     hidden_group_size_x
      - .offset:         158
        .size:           2
        .value_kind:     hidden_group_size_y
      - .offset:         160
        .size:           2
        .value_kind:     hidden_group_size_z
      - .offset:         162
        .size:           2
        .value_kind:     hidden_remainder_x
      - .offset:         164
        .size:           2
        .value_kind:     hidden_remainder_y
      - .offset:         166
        .size:           2
        .value_kind:     hidden_remainder_z
      - .offset:         184
        .size:           8
        .value_kind:     hidden_global_offset_x
      - .offset:         192
        .size:           8
        .value_kind:     hidden_global_offset_y
      - .offset:         200
        .size:           8
        .value_kind:     hidden_global_offset_z
      - .offset:         208
        .size:           2
        .value_kind:     hidden_grid_dims
      - .offset:         224
        .size:           8
        .value_kind:     hidden_hostcall_buffer
    .group_segment_fixed_size: 8192
    .kernarg_segment_align: 8
    .kernarg_segment_size: 400
    .language:       OpenCL C
    .language_version:
      - 2
      - 0
    .max_flat_workgroup_size: 256
    .name:           _Z39paged_attention_ll4mi_QKV_mfma16_kernelIDF16_hLN4vllm18Fp8KVCacheDataTypeE1EDF16_Li16ELi128ELi256ELb1ELi5EL8MFMAType1EEvPKT_PKT0_S8_ifPKiSA_SA_iPKfiiiPfSD_PS3_PT2_iSC_SC_
    .private_segment_fixed_size: 64
    .sgpr_count:     40
    .sgpr_spill_count: 0
    .symbol:         _Z39paged_attention_ll4mi_QKV_mfma16_kernelIDF16_hLN4vllm18Fp8KVCacheDataTypeE1EDF16_Li16ELi128ELi256ELb1ELi5EL8MFMAType1EEvPKT_PKT0_S8_ifPKiSA_SA_iPKfiiiPfSD_PS3_PT2_iSC_SC_.kd
    .uniform_work_group_size: 1
    .uses_dynamic_stack: false
    .vgpr_count:     45
    .vgpr_spill_count: 0
    .wavefront_size: 64
  - .agpr_count:     1
    .args:
      - .actual_access:  read_only
        .address_space:  global
        .offset:         0
        .size:           8
        .value_kind:     global_buffer
      - .actual_access:  read_only
        .address_space:  global
        .offset:         8
        .size:           8
        .value_kind:     global_buffer
      - .actual_access:  read_only
        .address_space:  global
        .offset:         16
        .size:           8
        .value_kind:     global_buffer
      - .offset:         24
        .size:           4
        .value_kind:     by_value
      - .offset:         28
        .size:           4
        .value_kind:     by_value
      - .actual_access:  read_only
        .address_space:  global
        .offset:         32
        .size:           8
        .value_kind:     global_buffer
      - .actual_access:  read_only
        .address_space:  global
        .offset:         40
        .size:           8
        .value_kind:     global_buffer
      - .actual_access:  read_only
        .address_space:  global
        .offset:         48
        .size:           8
        .value_kind:     global_buffer
      - .offset:         56
        .size:           4
        .value_kind:     by_value
      - .actual_access:  read_only
        .address_space:  global
        .offset:         64
        .size:           8
        .value_kind:     global_buffer
      - .offset:         72
        .size:           4
        .value_kind:     by_value
      - .offset:         76
        .size:           4
        .value_kind:     by_value
      - .offset:         80
        .size:           4
        .value_kind:     by_value
      - .actual_access:  read_only
        .address_space:  global
        .offset:         88
        .size:           8
        .value_kind:     global_buffer
      - .actual_access:  read_only
        .address_space:  global
        .offset:         96
        .size:           8
        .value_kind:     global_buffer
      - .actual_access:  read_only
        .address_space:  global
        .offset:         104
        .size:           8
        .value_kind:     global_buffer
      - .actual_access:  read_only
        .address_space:  global
        .offset:         112
        .size:           8
        .value_kind:     global_buffer
      - .offset:         120
        .size:           4
        .value_kind:     by_value
      - .address_space:  global
        .offset:         128
        .size:           8
        .value_kind:     global_buffer
      - .address_space:  global
        .offset:         136
        .size:           8
        .value_kind:     global_buffer
      - .offset:         144
        .size:           4
        .value_kind:     hidden_block_count_x
      - .offset:         148
        .size:           4
        .value_kind:     hidden_block_count_y
      - .offset:         152
        .size:           4
        .value_kind:     hidden_block_count_z
      - .offset:         156
        .size:           2
        .value_kind:     hidden_group_size_x
      - .offset:         158
        .size:           2
        .value_kind:     hidden_group_size_y
      - .offset:         160
        .size:           2
        .value_kind:     hidden_group_size_z
      - .offset:         162
        .size:           2
        .value_kind:     hidden_remainder_x
      - .offset:         164
        .size:           2
        .value_kind:     hidden_remainder_y
      - .offset:         166
        .size:           2
        .value_kind:     hidden_remainder_z
      - .offset:         184
        .size:           8
        .value_kind:     hidden_global_offset_x
      - .offset:         192
        .size:           8
        .value_kind:     hidden_global_offset_y
      - .offset:         200
        .size:           8
        .value_kind:     hidden_global_offset_z
      - .offset:         208
        .size:           2
        .value_kind:     hidden_grid_dims
      - .offset:         224
        .size:           8
        .value_kind:     hidden_hostcall_buffer
    .group_segment_fixed_size: 8192
    .kernarg_segment_align: 8
    .kernarg_segment_size: 400
    .language:       OpenCL C
    .language_version:
      - 2
      - 0
    .max_flat_workgroup_size: 256
    .name:           _Z39paged_attention_ll4mi_QKV_mfma16_kernelIDF16_hLN4vllm18Fp8KVCacheDataTypeE1EDF16_Li16ELi128ELi256ELb1ELi6EL8MFMAType1EEvPKT_PKT0_S8_ifPKiSA_SA_iPKfiiiPfSD_PS3_PT2_iSC_SC_
    .private_segment_fixed_size: 64
    .sgpr_count:     40
    .sgpr_spill_count: 0
    .symbol:         _Z39paged_attention_ll4mi_QKV_mfma16_kernelIDF16_hLN4vllm18Fp8KVCacheDataTypeE1EDF16_Li16ELi128ELi256ELb1ELi6EL8MFMAType1EEvPKT_PKT0_S8_ifPKiSA_SA_iPKfiiiPfSD_PS3_PT2_iSC_SC_.kd
    .uniform_work_group_size: 1
    .uses_dynamic_stack: false
    .vgpr_count:     45
    .vgpr_spill_count: 0
    .wavefront_size: 64
  - .agpr_count:     1
    .args:
      - .actual_access:  read_only
        .address_space:  global
        .offset:         0
        .size:           8
        .value_kind:     global_buffer
      - .actual_access:  read_only
        .address_space:  global
        .offset:         8
        .size:           8
        .value_kind:     global_buffer
      - .actual_access:  read_only
        .address_space:  global
        .offset:         16
        .size:           8
        .value_kind:     global_buffer
      - .offset:         24
        .size:           4
        .value_kind:     by_value
      - .offset:         28
        .size:           4
        .value_kind:     by_value
      - .actual_access:  read_only
        .address_space:  global
        .offset:         32
        .size:           8
        .value_kind:     global_buffer
      - .actual_access:  read_only
        .address_space:  global
        .offset:         40
        .size:           8
        .value_kind:     global_buffer
      - .actual_access:  read_only
        .address_space:  global
        .offset:         48
        .size:           8
        .value_kind:     global_buffer
      - .offset:         56
        .size:           4
        .value_kind:     by_value
      - .actual_access:  read_only
        .address_space:  global
        .offset:         64
        .size:           8
        .value_kind:     global_buffer
      - .offset:         72
        .size:           4
        .value_kind:     by_value
      - .offset:         76
        .size:           4
        .value_kind:     by_value
      - .offset:         80
        .size:           4
        .value_kind:     by_value
      - .actual_access:  read_only
        .address_space:  global
        .offset:         88
        .size:           8
        .value_kind:     global_buffer
      - .actual_access:  read_only
        .address_space:  global
        .offset:         96
        .size:           8
        .value_kind:     global_buffer
      - .actual_access:  read_only
        .address_space:  global
        .offset:         104
        .size:           8
        .value_kind:     global_buffer
      - .actual_access:  read_only
        .address_space:  global
        .offset:         112
        .size:           8
        .value_kind:     global_buffer
      - .offset:         120
        .size:           4
        .value_kind:     by_value
      - .address_space:  global
        .offset:         128
        .size:           8
        .value_kind:     global_buffer
      - .address_space:  global
        .offset:         136
        .size:           8
        .value_kind:     global_buffer
      - .offset:         144
        .size:           4
        .value_kind:     hidden_block_count_x
      - .offset:         148
        .size:           4
        .value_kind:     hidden_block_count_y
      - .offset:         152
        .size:           4
        .value_kind:     hidden_block_count_z
      - .offset:         156
        .size:           2
        .value_kind:     hidden_group_size_x
      - .offset:         158
        .size:           2
        .value_kind:     hidden_group_size_y
      - .offset:         160
        .size:           2
        .value_kind:     hidden_group_size_z
      - .offset:         162
        .size:           2
        .value_kind:     hidden_remainder_x
      - .offset:         164
        .size:           2
        .value_kind:     hidden_remainder_y
      - .offset:         166
        .size:           2
        .value_kind:     hidden_remainder_z
      - .offset:         184
        .size:           8
        .value_kind:     hidden_global_offset_x
      - .offset:         192
        .size:           8
        .value_kind:     hidden_global_offset_y
      - .offset:         200
        .size:           8
        .value_kind:     hidden_global_offset_z
      - .offset:         208
        .size:           2
        .value_kind:     hidden_grid_dims
      - .offset:         224
        .size:           8
        .value_kind:     hidden_hostcall_buffer
    .group_segment_fixed_size: 8192
    .kernarg_segment_align: 8
    .kernarg_segment_size: 400
    .language:       OpenCL C
    .language_version:
      - 2
      - 0
    .max_flat_workgroup_size: 256
    .name:           _Z39paged_attention_ll4mi_QKV_mfma16_kernelIDF16_hLN4vllm18Fp8KVCacheDataTypeE1EDF16_Li16ELi128ELi256ELb1ELi7EL8MFMAType1EEvPKT_PKT0_S8_ifPKiSA_SA_iPKfiiiPfSD_PS3_PT2_iSC_SC_
    .private_segment_fixed_size: 64
    .sgpr_count:     40
    .sgpr_spill_count: 0
    .symbol:         _Z39paged_attention_ll4mi_QKV_mfma16_kernelIDF16_hLN4vllm18Fp8KVCacheDataTypeE1EDF16_Li16ELi128ELi256ELb1ELi7EL8MFMAType1EEvPKT_PKT0_S8_ifPKiSA_SA_iPKfiiiPfSD_PS3_PT2_iSC_SC_.kd
    .uniform_work_group_size: 1
    .uses_dynamic_stack: false
    .vgpr_count:     45
    .vgpr_spill_count: 0
    .wavefront_size: 64
  - .agpr_count:     1
    .args:
      - .actual_access:  read_only
        .address_space:  global
        .offset:         0
        .size:           8
        .value_kind:     global_buffer
      - .actual_access:  read_only
        .address_space:  global
        .offset:         8
        .size:           8
        .value_kind:     global_buffer
      - .actual_access:  read_only
        .address_space:  global
        .offset:         16
        .size:           8
        .value_kind:     global_buffer
      - .offset:         24
        .size:           4
        .value_kind:     by_value
      - .offset:         28
        .size:           4
        .value_kind:     by_value
      - .actual_access:  read_only
        .address_space:  global
        .offset:         32
        .size:           8
        .value_kind:     global_buffer
      - .actual_access:  read_only
        .address_space:  global
        .offset:         40
        .size:           8
        .value_kind:     global_buffer
      - .actual_access:  read_only
        .address_space:  global
        .offset:         48
        .size:           8
        .value_kind:     global_buffer
      - .offset:         56
        .size:           4
        .value_kind:     by_value
      - .actual_access:  read_only
        .address_space:  global
        .offset:         64
        .size:           8
        .value_kind:     global_buffer
      - .offset:         72
        .size:           4
        .value_kind:     by_value
      - .offset:         76
        .size:           4
        .value_kind:     by_value
      - .offset:         80
        .size:           4
        .value_kind:     by_value
      - .actual_access:  read_only
        .address_space:  global
        .offset:         88
        .size:           8
        .value_kind:     global_buffer
      - .actual_access:  read_only
        .address_space:  global
        .offset:         96
        .size:           8
        .value_kind:     global_buffer
      - .actual_access:  read_only
        .address_space:  global
        .offset:         104
        .size:           8
        .value_kind:     global_buffer
      - .actual_access:  read_only
        .address_space:  global
        .offset:         112
        .size:           8
        .value_kind:     global_buffer
      - .offset:         120
        .size:           4
        .value_kind:     by_value
      - .address_space:  global
        .offset:         128
        .size:           8
        .value_kind:     global_buffer
      - .address_space:  global
        .offset:         136
        .size:           8
        .value_kind:     global_buffer
      - .offset:         144
        .size:           4
        .value_kind:     hidden_block_count_x
      - .offset:         148
        .size:           4
        .value_kind:     hidden_block_count_y
      - .offset:         152
        .size:           4
        .value_kind:     hidden_block_count_z
      - .offset:         156
        .size:           2
        .value_kind:     hidden_group_size_x
      - .offset:         158
        .size:           2
        .value_kind:     hidden_group_size_y
      - .offset:         160
        .size:           2
        .value_kind:     hidden_group_size_z
      - .offset:         162
        .size:           2
        .value_kind:     hidden_remainder_x
      - .offset:         164
        .size:           2
        .value_kind:     hidden_remainder_y
      - .offset:         166
        .size:           2
        .value_kind:     hidden_remainder_z
      - .offset:         184
        .size:           8
        .value_kind:     hidden_global_offset_x
      - .offset:         192
        .size:           8
        .value_kind:     hidden_global_offset_y
      - .offset:         200
        .size:           8
        .value_kind:     hidden_global_offset_z
      - .offset:         208
        .size:           2
        .value_kind:     hidden_grid_dims
      - .offset:         224
        .size:           8
        .value_kind:     hidden_hostcall_buffer
    .group_segment_fixed_size: 8192
    .kernarg_segment_align: 8
    .kernarg_segment_size: 400
    .language:       OpenCL C
    .language_version:
      - 2
      - 0
    .max_flat_workgroup_size: 256
    .name:           _Z39paged_attention_ll4mi_QKV_mfma16_kernelIDF16_hLN4vllm18Fp8KVCacheDataTypeE1EDF16_Li16ELi128ELi256ELb1ELi8EL8MFMAType1EEvPKT_PKT0_S8_ifPKiSA_SA_iPKfiiiPfSD_PS3_PT2_iSC_SC_
    .private_segment_fixed_size: 64
    .sgpr_count:     40
    .sgpr_spill_count: 0
    .symbol:         _Z39paged_attention_ll4mi_QKV_mfma16_kernelIDF16_hLN4vllm18Fp8KVCacheDataTypeE1EDF16_Li16ELi128ELi256ELb1ELi8EL8MFMAType1EEvPKT_PKT0_S8_ifPKiSA_SA_iPKfiiiPfSD_PS3_PT2_iSC_SC_.kd
    .uniform_work_group_size: 1
    .uses_dynamic_stack: false
    .vgpr_count:     45
    .vgpr_spill_count: 0
    .wavefront_size: 64
  - .agpr_count:     1
    .args:
      - .actual_access:  read_only
        .address_space:  global
        .offset:         0
        .size:           8
        .value_kind:     global_buffer
      - .actual_access:  read_only
        .address_space:  global
        .offset:         8
        .size:           8
        .value_kind:     global_buffer
      - .actual_access:  read_only
        .address_space:  global
        .offset:         16
        .size:           8
        .value_kind:     global_buffer
      - .offset:         24
        .size:           4
        .value_kind:     by_value
      - .offset:         28
        .size:           4
        .value_kind:     by_value
      - .actual_access:  read_only
        .address_space:  global
        .offset:         32
        .size:           8
        .value_kind:     global_buffer
      - .actual_access:  read_only
        .address_space:  global
        .offset:         40
        .size:           8
        .value_kind:     global_buffer
      - .actual_access:  read_only
        .address_space:  global
        .offset:         48
        .size:           8
        .value_kind:     global_buffer
      - .offset:         56
        .size:           4
        .value_kind:     by_value
      - .actual_access:  read_only
        .address_space:  global
        .offset:         64
        .size:           8
        .value_kind:     global_buffer
      - .offset:         72
        .size:           4
        .value_kind:     by_value
      - .offset:         76
        .size:           4
        .value_kind:     by_value
      - .offset:         80
        .size:           4
        .value_kind:     by_value
      - .actual_access:  read_only
        .address_space:  global
        .offset:         88
        .size:           8
        .value_kind:     global_buffer
      - .actual_access:  read_only
        .address_space:  global
        .offset:         96
        .size:           8
        .value_kind:     global_buffer
      - .actual_access:  read_only
        .address_space:  global
        .offset:         104
        .size:           8
        .value_kind:     global_buffer
      - .actual_access:  read_only
        .address_space:  global
        .offset:         112
        .size:           8
        .value_kind:     global_buffer
      - .offset:         120
        .size:           4
        .value_kind:     by_value
      - .address_space:  global
        .offset:         128
        .size:           8
        .value_kind:     global_buffer
      - .address_space:  global
        .offset:         136
        .size:           8
        .value_kind:     global_buffer
      - .offset:         144
        .size:           4
        .value_kind:     hidden_block_count_x
      - .offset:         148
        .size:           4
        .value_kind:     hidden_block_count_y
      - .offset:         152
        .size:           4
        .value_kind:     hidden_block_count_z
      - .offset:         156
        .size:           2
        .value_kind:     hidden_group_size_x
      - .offset:         158
        .size:           2
        .value_kind:     hidden_group_size_y
      - .offset:         160
        .size:           2
        .value_kind:     hidden_group_size_z
      - .offset:         162
        .size:           2
        .value_kind:     hidden_remainder_x
      - .offset:         164
        .size:           2
        .value_kind:     hidden_remainder_y
      - .offset:         166
        .size:           2
        .value_kind:     hidden_remainder_z
      - .offset:         184
        .size:           8
        .value_kind:     hidden_global_offset_x
      - .offset:         192
        .size:           8
        .value_kind:     hidden_global_offset_y
      - .offset:         200
        .size:           8
        .value_kind:     hidden_global_offset_z
      - .offset:         208
        .size:           2
        .value_kind:     hidden_grid_dims
      - .offset:         224
        .size:           8
        .value_kind:     hidden_hostcall_buffer
    .group_segment_fixed_size: 8192
    .kernarg_segment_align: 8
    .kernarg_segment_size: 400
    .language:       OpenCL C
    .language_version:
      - 2
      - 0
    .max_flat_workgroup_size: 256
    .name:           _Z39paged_attention_ll4mi_QKV_mfma16_kernelIDF16_hLN4vllm18Fp8KVCacheDataTypeE1EDF16_Li16ELi128ELi256ELb1ELi9EL8MFMAType1EEvPKT_PKT0_S8_ifPKiSA_SA_iPKfiiiPfSD_PS3_PT2_iSC_SC_
    .private_segment_fixed_size: 64
    .sgpr_count:     40
    .sgpr_spill_count: 0
    .symbol:         _Z39paged_attention_ll4mi_QKV_mfma16_kernelIDF16_hLN4vllm18Fp8KVCacheDataTypeE1EDF16_Li16ELi128ELi256ELb1ELi9EL8MFMAType1EEvPKT_PKT0_S8_ifPKiSA_SA_iPKfiiiPfSD_PS3_PT2_iSC_SC_.kd
    .uniform_work_group_size: 1
    .uses_dynamic_stack: false
    .vgpr_count:     45
    .vgpr_spill_count: 0
    .wavefront_size: 64
  - .agpr_count:     1
    .args:
      - .actual_access:  read_only
        .address_space:  global
        .offset:         0
        .size:           8
        .value_kind:     global_buffer
      - .actual_access:  read_only
        .address_space:  global
        .offset:         8
        .size:           8
        .value_kind:     global_buffer
      - .actual_access:  read_only
        .address_space:  global
        .offset:         16
        .size:           8
        .value_kind:     global_buffer
      - .offset:         24
        .size:           4
        .value_kind:     by_value
      - .offset:         28
        .size:           4
        .value_kind:     by_value
      - .actual_access:  read_only
        .address_space:  global
        .offset:         32
        .size:           8
        .value_kind:     global_buffer
      - .actual_access:  read_only
        .address_space:  global
        .offset:         40
        .size:           8
        .value_kind:     global_buffer
      - .actual_access:  read_only
        .address_space:  global
        .offset:         48
        .size:           8
        .value_kind:     global_buffer
      - .offset:         56
        .size:           4
        .value_kind:     by_value
      - .actual_access:  read_only
        .address_space:  global
        .offset:         64
        .size:           8
        .value_kind:     global_buffer
      - .offset:         72
        .size:           4
        .value_kind:     by_value
      - .offset:         76
        .size:           4
        .value_kind:     by_value
      - .offset:         80
        .size:           4
        .value_kind:     by_value
      - .actual_access:  read_only
        .address_space:  global
        .offset:         88
        .size:           8
        .value_kind:     global_buffer
      - .actual_access:  read_only
        .address_space:  global
        .offset:         96
        .size:           8
        .value_kind:     global_buffer
      - .actual_access:  read_only
        .address_space:  global
        .offset:         104
        .size:           8
        .value_kind:     global_buffer
      - .actual_access:  read_only
        .address_space:  global
        .offset:         112
        .size:           8
        .value_kind:     global_buffer
      - .offset:         120
        .size:           4
        .value_kind:     by_value
      - .address_space:  global
        .offset:         128
        .size:           8
        .value_kind:     global_buffer
      - .address_space:  global
        .offset:         136
        .size:           8
        .value_kind:     global_buffer
      - .offset:         144
        .size:           4
        .value_kind:     hidden_block_count_x
      - .offset:         148
        .size:           4
        .value_kind:     hidden_block_count_y
      - .offset:         152
        .size:           4
        .value_kind:     hidden_block_count_z
      - .offset:         156
        .size:           2
        .value_kind:     hidden_group_size_x
      - .offset:         158
        .size:           2
        .value_kind:     hidden_group_size_y
      - .offset:         160
        .size:           2
        .value_kind:     hidden_group_size_z
      - .offset:         162
        .size:           2
        .value_kind:     hidden_remainder_x
      - .offset:         164
        .size:           2
        .value_kind:     hidden_remainder_y
      - .offset:         166
        .size:           2
        .value_kind:     hidden_remainder_z
      - .offset:         184
        .size:           8
        .value_kind:     hidden_global_offset_x
      - .offset:         192
        .size:           8
        .value_kind:     hidden_global_offset_y
      - .offset:         200
        .size:           8
        .value_kind:     hidden_global_offset_z
      - .offset:         208
        .size:           2
        .value_kind:     hidden_grid_dims
      - .offset:         224
        .size:           8
        .value_kind:     hidden_hostcall_buffer
    .group_segment_fixed_size: 8192
    .kernarg_segment_align: 8
    .kernarg_segment_size: 400
    .language:       OpenCL C
    .language_version:
      - 2
      - 0
    .max_flat_workgroup_size: 256
    .name:           _Z39paged_attention_ll4mi_QKV_mfma16_kernelIDF16_hLN4vllm18Fp8KVCacheDataTypeE1EDF16_Li16ELi128ELi256ELb1ELi10EL8MFMAType1EEvPKT_PKT0_S8_ifPKiSA_SA_iPKfiiiPfSD_PS3_PT2_iSC_SC_
    .private_segment_fixed_size: 64
    .sgpr_count:     40
    .sgpr_spill_count: 0
    .symbol:         _Z39paged_attention_ll4mi_QKV_mfma16_kernelIDF16_hLN4vllm18Fp8KVCacheDataTypeE1EDF16_Li16ELi128ELi256ELb1ELi10EL8MFMAType1EEvPKT_PKT0_S8_ifPKiSA_SA_iPKfiiiPfSD_PS3_PT2_iSC_SC_.kd
    .uniform_work_group_size: 1
    .uses_dynamic_stack: false
    .vgpr_count:     45
    .vgpr_spill_count: 0
    .wavefront_size: 64
  - .agpr_count:     1
    .args:
      - .actual_access:  read_only
        .address_space:  global
        .offset:         0
        .size:           8
        .value_kind:     global_buffer
      - .actual_access:  read_only
        .address_space:  global
        .offset:         8
        .size:           8
        .value_kind:     global_buffer
      - .actual_access:  read_only
        .address_space:  global
        .offset:         16
        .size:           8
        .value_kind:     global_buffer
      - .offset:         24
        .size:           4
        .value_kind:     by_value
      - .offset:         28
        .size:           4
        .value_kind:     by_value
      - .actual_access:  read_only
        .address_space:  global
        .offset:         32
        .size:           8
        .value_kind:     global_buffer
      - .actual_access:  read_only
        .address_space:  global
        .offset:         40
        .size:           8
        .value_kind:     global_buffer
      - .actual_access:  read_only
        .address_space:  global
        .offset:         48
        .size:           8
        .value_kind:     global_buffer
      - .offset:         56
        .size:           4
        .value_kind:     by_value
      - .actual_access:  read_only
        .address_space:  global
        .offset:         64
        .size:           8
        .value_kind:     global_buffer
      - .offset:         72
        .size:           4
        .value_kind:     by_value
      - .offset:         76
        .size:           4
        .value_kind:     by_value
      - .offset:         80
        .size:           4
        .value_kind:     by_value
      - .actual_access:  read_only
        .address_space:  global
        .offset:         88
        .size:           8
        .value_kind:     global_buffer
      - .actual_access:  read_only
        .address_space:  global
        .offset:         96
        .size:           8
        .value_kind:     global_buffer
      - .actual_access:  read_only
        .address_space:  global
        .offset:         104
        .size:           8
        .value_kind:     global_buffer
      - .actual_access:  read_only
        .address_space:  global
        .offset:         112
        .size:           8
        .value_kind:     global_buffer
      - .offset:         120
        .size:           4
        .value_kind:     by_value
      - .address_space:  global
        .offset:         128
        .size:           8
        .value_kind:     global_buffer
      - .address_space:  global
        .offset:         136
        .size:           8
        .value_kind:     global_buffer
      - .offset:         144
        .size:           4
        .value_kind:     hidden_block_count_x
      - .offset:         148
        .size:           4
        .value_kind:     hidden_block_count_y
      - .offset:         152
        .size:           4
        .value_kind:     hidden_block_count_z
      - .offset:         156
        .size:           2
        .value_kind:     hidden_group_size_x
      - .offset:         158
        .size:           2
        .value_kind:     hidden_group_size_y
      - .offset:         160
        .size:           2
        .value_kind:     hidden_group_size_z
      - .offset:         162
        .size:           2
        .value_kind:     hidden_remainder_x
      - .offset:         164
        .size:           2
        .value_kind:     hidden_remainder_y
      - .offset:         166
        .size:           2
        .value_kind:     hidden_remainder_z
      - .offset:         184
        .size:           8
        .value_kind:     hidden_global_offset_x
      - .offset:         192
        .size:           8
        .value_kind:     hidden_global_offset_y
      - .offset:         200
        .size:           8
        .value_kind:     hidden_global_offset_z
      - .offset:         208
        .size:           2
        .value_kind:     hidden_grid_dims
      - .offset:         224
        .size:           8
        .value_kind:     hidden_hostcall_buffer
    .group_segment_fixed_size: 8192
    .kernarg_segment_align: 8
    .kernarg_segment_size: 400
    .language:       OpenCL C
    .language_version:
      - 2
      - 0
    .max_flat_workgroup_size: 256
    .name:           _Z39paged_attention_ll4mi_QKV_mfma16_kernelIDF16_hLN4vllm18Fp8KVCacheDataTypeE1EDF16_Li16ELi128ELi256ELb1ELi11EL8MFMAType1EEvPKT_PKT0_S8_ifPKiSA_SA_iPKfiiiPfSD_PS3_PT2_iSC_SC_
    .private_segment_fixed_size: 64
    .sgpr_count:     40
    .sgpr_spill_count: 0
    .symbol:         _Z39paged_attention_ll4mi_QKV_mfma16_kernelIDF16_hLN4vllm18Fp8KVCacheDataTypeE1EDF16_Li16ELi128ELi256ELb1ELi11EL8MFMAType1EEvPKT_PKT0_S8_ifPKiSA_SA_iPKfiiiPfSD_PS3_PT2_iSC_SC_.kd
    .uniform_work_group_size: 1
    .uses_dynamic_stack: false
    .vgpr_count:     45
    .vgpr_spill_count: 0
    .wavefront_size: 64
  - .agpr_count:     1
    .args:
      - .actual_access:  read_only
        .address_space:  global
        .offset:         0
        .size:           8
        .value_kind:     global_buffer
      - .actual_access:  read_only
        .address_space:  global
        .offset:         8
        .size:           8
        .value_kind:     global_buffer
      - .actual_access:  read_only
        .address_space:  global
        .offset:         16
        .size:           8
        .value_kind:     global_buffer
      - .offset:         24
        .size:           4
        .value_kind:     by_value
      - .offset:         28
        .size:           4
        .value_kind:     by_value
      - .actual_access:  read_only
        .address_space:  global
        .offset:         32
        .size:           8
        .value_kind:     global_buffer
      - .actual_access:  read_only
        .address_space:  global
        .offset:         40
        .size:           8
        .value_kind:     global_buffer
      - .actual_access:  read_only
        .address_space:  global
        .offset:         48
        .size:           8
        .value_kind:     global_buffer
      - .offset:         56
        .size:           4
        .value_kind:     by_value
      - .actual_access:  read_only
        .address_space:  global
        .offset:         64
        .size:           8
        .value_kind:     global_buffer
      - .offset:         72
        .size:           4
        .value_kind:     by_value
      - .offset:         76
        .size:           4
        .value_kind:     by_value
      - .offset:         80
        .size:           4
        .value_kind:     by_value
      - .actual_access:  read_only
        .address_space:  global
        .offset:         88
        .size:           8
        .value_kind:     global_buffer
      - .actual_access:  read_only
        .address_space:  global
        .offset:         96
        .size:           8
        .value_kind:     global_buffer
      - .actual_access:  read_only
        .address_space:  global
        .offset:         104
        .size:           8
        .value_kind:     global_buffer
      - .actual_access:  read_only
        .address_space:  global
        .offset:         112
        .size:           8
        .value_kind:     global_buffer
      - .offset:         120
        .size:           4
        .value_kind:     by_value
      - .address_space:  global
        .offset:         128
        .size:           8
        .value_kind:     global_buffer
      - .address_space:  global
        .offset:         136
        .size:           8
        .value_kind:     global_buffer
      - .offset:         144
        .size:           4
        .value_kind:     hidden_block_count_x
      - .offset:         148
        .size:           4
        .value_kind:     hidden_block_count_y
      - .offset:         152
        .size:           4
        .value_kind:     hidden_block_count_z
      - .offset:         156
        .size:           2
        .value_kind:     hidden_group_size_x
      - .offset:         158
        .size:           2
        .value_kind:     hidden_group_size_y
      - .offset:         160
        .size:           2
        .value_kind:     hidden_group_size_z
      - .offset:         162
        .size:           2
        .value_kind:     hidden_remainder_x
      - .offset:         164
        .size:           2
        .value_kind:     hidden_remainder_y
      - .offset:         166
        .size:           2
        .value_kind:     hidden_remainder_z
      - .offset:         184
        .size:           8
        .value_kind:     hidden_global_offset_x
      - .offset:         192
        .size:           8
        .value_kind:     hidden_global_offset_y
      - .offset:         200
        .size:           8
        .value_kind:     hidden_global_offset_z
      - .offset:         208
        .size:           2
        .value_kind:     hidden_grid_dims
      - .offset:         224
        .size:           8
        .value_kind:     hidden_hostcall_buffer
    .group_segment_fixed_size: 8192
    .kernarg_segment_align: 8
    .kernarg_segment_size: 400
    .language:       OpenCL C
    .language_version:
      - 2
      - 0
    .max_flat_workgroup_size: 256
    .name:           _Z39paged_attention_ll4mi_QKV_mfma16_kernelIDF16_hLN4vllm18Fp8KVCacheDataTypeE1EDF16_Li16ELi128ELi256ELb1ELi12EL8MFMAType1EEvPKT_PKT0_S8_ifPKiSA_SA_iPKfiiiPfSD_PS3_PT2_iSC_SC_
    .private_segment_fixed_size: 64
    .sgpr_count:     40
    .sgpr_spill_count: 0
    .symbol:         _Z39paged_attention_ll4mi_QKV_mfma16_kernelIDF16_hLN4vllm18Fp8KVCacheDataTypeE1EDF16_Li16ELi128ELi256ELb1ELi12EL8MFMAType1EEvPKT_PKT0_S8_ifPKiSA_SA_iPKfiiiPfSD_PS3_PT2_iSC_SC_.kd
    .uniform_work_group_size: 1
    .uses_dynamic_stack: false
    .vgpr_count:     45
    .vgpr_spill_count: 0
    .wavefront_size: 64
  - .agpr_count:     1
    .args:
      - .actual_access:  read_only
        .address_space:  global
        .offset:         0
        .size:           8
        .value_kind:     global_buffer
      - .actual_access:  read_only
        .address_space:  global
        .offset:         8
        .size:           8
        .value_kind:     global_buffer
      - .actual_access:  read_only
        .address_space:  global
        .offset:         16
        .size:           8
        .value_kind:     global_buffer
      - .offset:         24
        .size:           4
        .value_kind:     by_value
      - .offset:         28
        .size:           4
        .value_kind:     by_value
      - .actual_access:  read_only
        .address_space:  global
        .offset:         32
        .size:           8
        .value_kind:     global_buffer
      - .actual_access:  read_only
        .address_space:  global
        .offset:         40
        .size:           8
        .value_kind:     global_buffer
      - .actual_access:  read_only
        .address_space:  global
        .offset:         48
        .size:           8
        .value_kind:     global_buffer
      - .offset:         56
        .size:           4
        .value_kind:     by_value
      - .actual_access:  read_only
        .address_space:  global
        .offset:         64
        .size:           8
        .value_kind:     global_buffer
      - .offset:         72
        .size:           4
        .value_kind:     by_value
      - .offset:         76
        .size:           4
        .value_kind:     by_value
      - .offset:         80
        .size:           4
        .value_kind:     by_value
      - .actual_access:  read_only
        .address_space:  global
        .offset:         88
        .size:           8
        .value_kind:     global_buffer
      - .actual_access:  read_only
        .address_space:  global
        .offset:         96
        .size:           8
        .value_kind:     global_buffer
      - .actual_access:  read_only
        .address_space:  global
        .offset:         104
        .size:           8
        .value_kind:     global_buffer
      - .actual_access:  read_only
        .address_space:  global
        .offset:         112
        .size:           8
        .value_kind:     global_buffer
      - .offset:         120
        .size:           4
        .value_kind:     by_value
      - .address_space:  global
        .offset:         128
        .size:           8
        .value_kind:     global_buffer
      - .address_space:  global
        .offset:         136
        .size:           8
        .value_kind:     global_buffer
      - .offset:         144
        .size:           4
        .value_kind:     hidden_block_count_x
      - .offset:         148
        .size:           4
        .value_kind:     hidden_block_count_y
      - .offset:         152
        .size:           4
        .value_kind:     hidden_block_count_z
      - .offset:         156
        .size:           2
        .value_kind:     hidden_group_size_x
      - .offset:         158
        .size:           2
        .value_kind:     hidden_group_size_y
      - .offset:         160
        .size:           2
        .value_kind:     hidden_group_size_z
      - .offset:         162
        .size:           2
        .value_kind:     hidden_remainder_x
      - .offset:         164
        .size:           2
        .value_kind:     hidden_remainder_y
      - .offset:         166
        .size:           2
        .value_kind:     hidden_remainder_z
      - .offset:         184
        .size:           8
        .value_kind:     hidden_global_offset_x
      - .offset:         192
        .size:           8
        .value_kind:     hidden_global_offset_y
      - .offset:         200
        .size:           8
        .value_kind:     hidden_global_offset_z
      - .offset:         208
        .size:           2
        .value_kind:     hidden_grid_dims
      - .offset:         224
        .size:           8
        .value_kind:     hidden_hostcall_buffer
    .group_segment_fixed_size: 8192
    .kernarg_segment_align: 8
    .kernarg_segment_size: 400
    .language:       OpenCL C
    .language_version:
      - 2
      - 0
    .max_flat_workgroup_size: 256
    .name:           _Z39paged_attention_ll4mi_QKV_mfma16_kernelIDF16_hLN4vllm18Fp8KVCacheDataTypeE1EDF16_Li16ELi128ELi256ELb1ELi13EL8MFMAType1EEvPKT_PKT0_S8_ifPKiSA_SA_iPKfiiiPfSD_PS3_PT2_iSC_SC_
    .private_segment_fixed_size: 64
    .sgpr_count:     40
    .sgpr_spill_count: 0
    .symbol:         _Z39paged_attention_ll4mi_QKV_mfma16_kernelIDF16_hLN4vllm18Fp8KVCacheDataTypeE1EDF16_Li16ELi128ELi256ELb1ELi13EL8MFMAType1EEvPKT_PKT0_S8_ifPKiSA_SA_iPKfiiiPfSD_PS3_PT2_iSC_SC_.kd
    .uniform_work_group_size: 1
    .uses_dynamic_stack: false
    .vgpr_count:     45
    .vgpr_spill_count: 0
    .wavefront_size: 64
  - .agpr_count:     1
    .args:
      - .actual_access:  read_only
        .address_space:  global
        .offset:         0
        .size:           8
        .value_kind:     global_buffer
      - .actual_access:  read_only
        .address_space:  global
        .offset:         8
        .size:           8
        .value_kind:     global_buffer
      - .actual_access:  read_only
        .address_space:  global
        .offset:         16
        .size:           8
        .value_kind:     global_buffer
      - .offset:         24
        .size:           4
        .value_kind:     by_value
      - .offset:         28
        .size:           4
        .value_kind:     by_value
      - .actual_access:  read_only
        .address_space:  global
        .offset:         32
        .size:           8
        .value_kind:     global_buffer
      - .actual_access:  read_only
        .address_space:  global
        .offset:         40
        .size:           8
        .value_kind:     global_buffer
      - .actual_access:  read_only
        .address_space:  global
        .offset:         48
        .size:           8
        .value_kind:     global_buffer
      - .offset:         56
        .size:           4
        .value_kind:     by_value
      - .actual_access:  read_only
        .address_space:  global
        .offset:         64
        .size:           8
        .value_kind:     global_buffer
      - .offset:         72
        .size:           4
        .value_kind:     by_value
      - .offset:         76
        .size:           4
        .value_kind:     by_value
      - .offset:         80
        .size:           4
        .value_kind:     by_value
      - .actual_access:  read_only
        .address_space:  global
        .offset:         88
        .size:           8
        .value_kind:     global_buffer
      - .actual_access:  read_only
        .address_space:  global
        .offset:         96
        .size:           8
        .value_kind:     global_buffer
      - .actual_access:  read_only
        .address_space:  global
        .offset:         104
        .size:           8
        .value_kind:     global_buffer
      - .actual_access:  read_only
        .address_space:  global
        .offset:         112
        .size:           8
        .value_kind:     global_buffer
      - .offset:         120
        .size:           4
        .value_kind:     by_value
      - .address_space:  global
        .offset:         128
        .size:           8
        .value_kind:     global_buffer
      - .address_space:  global
        .offset:         136
        .size:           8
        .value_kind:     global_buffer
      - .offset:         144
        .size:           4
        .value_kind:     hidden_block_count_x
      - .offset:         148
        .size:           4
        .value_kind:     hidden_block_count_y
      - .offset:         152
        .size:           4
        .value_kind:     hidden_block_count_z
      - .offset:         156
        .size:           2
        .value_kind:     hidden_group_size_x
      - .offset:         158
        .size:           2
        .value_kind:     hidden_group_size_y
      - .offset:         160
        .size:           2
        .value_kind:     hidden_group_size_z
      - .offset:         162
        .size:           2
        .value_kind:     hidden_remainder_x
      - .offset:         164
        .size:           2
        .value_kind:     hidden_remainder_y
      - .offset:         166
        .size:           2
        .value_kind:     hidden_remainder_z
      - .offset:         184
        .size:           8
        .value_kind:     hidden_global_offset_x
      - .offset:         192
        .size:           8
        .value_kind:     hidden_global_offset_y
      - .offset:         200
        .size:           8
        .value_kind:     hidden_global_offset_z
      - .offset:         208
        .size:           2
        .value_kind:     hidden_grid_dims
      - .offset:         224
        .size:           8
        .value_kind:     hidden_hostcall_buffer
    .group_segment_fixed_size: 8192
    .kernarg_segment_align: 8
    .kernarg_segment_size: 400
    .language:       OpenCL C
    .language_version:
      - 2
      - 0
    .max_flat_workgroup_size: 256
    .name:           _Z39paged_attention_ll4mi_QKV_mfma16_kernelIDF16_hLN4vllm18Fp8KVCacheDataTypeE1EDF16_Li16ELi128ELi256ELb1ELi14EL8MFMAType1EEvPKT_PKT0_S8_ifPKiSA_SA_iPKfiiiPfSD_PS3_PT2_iSC_SC_
    .private_segment_fixed_size: 64
    .sgpr_count:     40
    .sgpr_spill_count: 0
    .symbol:         _Z39paged_attention_ll4mi_QKV_mfma16_kernelIDF16_hLN4vllm18Fp8KVCacheDataTypeE1EDF16_Li16ELi128ELi256ELb1ELi14EL8MFMAType1EEvPKT_PKT0_S8_ifPKiSA_SA_iPKfiiiPfSD_PS3_PT2_iSC_SC_.kd
    .uniform_work_group_size: 1
    .uses_dynamic_stack: false
    .vgpr_count:     45
    .vgpr_spill_count: 0
    .wavefront_size: 64
  - .agpr_count:     1
    .args:
      - .actual_access:  read_only
        .address_space:  global
        .offset:         0
        .size:           8
        .value_kind:     global_buffer
      - .actual_access:  read_only
        .address_space:  global
        .offset:         8
        .size:           8
        .value_kind:     global_buffer
      - .actual_access:  read_only
        .address_space:  global
        .offset:         16
        .size:           8
        .value_kind:     global_buffer
      - .offset:         24
        .size:           4
        .value_kind:     by_value
      - .offset:         28
        .size:           4
        .value_kind:     by_value
      - .actual_access:  read_only
        .address_space:  global
        .offset:         32
        .size:           8
        .value_kind:     global_buffer
      - .actual_access:  read_only
        .address_space:  global
        .offset:         40
        .size:           8
        .value_kind:     global_buffer
      - .actual_access:  read_only
        .address_space:  global
        .offset:         48
        .size:           8
        .value_kind:     global_buffer
      - .offset:         56
        .size:           4
        .value_kind:     by_value
      - .actual_access:  read_only
        .address_space:  global
        .offset:         64
        .size:           8
        .value_kind:     global_buffer
      - .offset:         72
        .size:           4
        .value_kind:     by_value
      - .offset:         76
        .size:           4
        .value_kind:     by_value
      - .offset:         80
        .size:           4
        .value_kind:     by_value
      - .actual_access:  read_only
        .address_space:  global
        .offset:         88
        .size:           8
        .value_kind:     global_buffer
      - .actual_access:  read_only
        .address_space:  global
        .offset:         96
        .size:           8
        .value_kind:     global_buffer
      - .actual_access:  read_only
        .address_space:  global
        .offset:         104
        .size:           8
        .value_kind:     global_buffer
      - .actual_access:  read_only
        .address_space:  global
        .offset:         112
        .size:           8
        .value_kind:     global_buffer
      - .offset:         120
        .size:           4
        .value_kind:     by_value
      - .address_space:  global
        .offset:         128
        .size:           8
        .value_kind:     global_buffer
      - .address_space:  global
        .offset:         136
        .size:           8
        .value_kind:     global_buffer
      - .offset:         144
        .size:           4
        .value_kind:     hidden_block_count_x
      - .offset:         148
        .size:           4
        .value_kind:     hidden_block_count_y
      - .offset:         152
        .size:           4
        .value_kind:     hidden_block_count_z
      - .offset:         156
        .size:           2
        .value_kind:     hidden_group_size_x
      - .offset:         158
        .size:           2
        .value_kind:     hidden_group_size_y
      - .offset:         160
        .size:           2
        .value_kind:     hidden_group_size_z
      - .offset:         162
        .size:           2
        .value_kind:     hidden_remainder_x
      - .offset:         164
        .size:           2
        .value_kind:     hidden_remainder_y
      - .offset:         166
        .size:           2
        .value_kind:     hidden_remainder_z
      - .offset:         184
        .size:           8
        .value_kind:     hidden_global_offset_x
      - .offset:         192
        .size:           8
        .value_kind:     hidden_global_offset_y
      - .offset:         200
        .size:           8
        .value_kind:     hidden_global_offset_z
      - .offset:         208
        .size:           2
        .value_kind:     hidden_grid_dims
      - .offset:         224
        .size:           8
        .value_kind:     hidden_hostcall_buffer
    .group_segment_fixed_size: 8192
    .kernarg_segment_align: 8
    .kernarg_segment_size: 400
    .language:       OpenCL C
    .language_version:
      - 2
      - 0
    .max_flat_workgroup_size: 256
    .name:           _Z39paged_attention_ll4mi_QKV_mfma16_kernelIDF16_hLN4vllm18Fp8KVCacheDataTypeE1EDF16_Li16ELi128ELi256ELb1ELi15EL8MFMAType1EEvPKT_PKT0_S8_ifPKiSA_SA_iPKfiiiPfSD_PS3_PT2_iSC_SC_
    .private_segment_fixed_size: 64
    .sgpr_count:     40
    .sgpr_spill_count: 0
    .symbol:         _Z39paged_attention_ll4mi_QKV_mfma16_kernelIDF16_hLN4vllm18Fp8KVCacheDataTypeE1EDF16_Li16ELi128ELi256ELb1ELi15EL8MFMAType1EEvPKT_PKT0_S8_ifPKiSA_SA_iPKfiiiPfSD_PS3_PT2_iSC_SC_.kd
    .uniform_work_group_size: 1
    .uses_dynamic_stack: false
    .vgpr_count:     45
    .vgpr_spill_count: 0
    .wavefront_size: 64
  - .agpr_count:     1
    .args:
      - .actual_access:  read_only
        .address_space:  global
        .offset:         0
        .size:           8
        .value_kind:     global_buffer
      - .actual_access:  read_only
        .address_space:  global
        .offset:         8
        .size:           8
        .value_kind:     global_buffer
      - .actual_access:  read_only
        .address_space:  global
        .offset:         16
        .size:           8
        .value_kind:     global_buffer
      - .offset:         24
        .size:           4
        .value_kind:     by_value
      - .offset:         28
        .size:           4
        .value_kind:     by_value
      - .actual_access:  read_only
        .address_space:  global
        .offset:         32
        .size:           8
        .value_kind:     global_buffer
      - .actual_access:  read_only
        .address_space:  global
        .offset:         40
        .size:           8
        .value_kind:     global_buffer
      - .actual_access:  read_only
        .address_space:  global
        .offset:         48
        .size:           8
        .value_kind:     global_buffer
      - .offset:         56
        .size:           4
        .value_kind:     by_value
      - .actual_access:  read_only
        .address_space:  global
        .offset:         64
        .size:           8
        .value_kind:     global_buffer
      - .offset:         72
        .size:           4
        .value_kind:     by_value
      - .offset:         76
        .size:           4
        .value_kind:     by_value
      - .offset:         80
        .size:           4
        .value_kind:     by_value
      - .actual_access:  read_only
        .address_space:  global
        .offset:         88
        .size:           8
        .value_kind:     global_buffer
      - .actual_access:  read_only
        .address_space:  global
        .offset:         96
        .size:           8
        .value_kind:     global_buffer
      - .actual_access:  read_only
        .address_space:  global
        .offset:         104
        .size:           8
        .value_kind:     global_buffer
      - .actual_access:  read_only
        .address_space:  global
        .offset:         112
        .size:           8
        .value_kind:     global_buffer
      - .offset:         120
        .size:           4
        .value_kind:     by_value
      - .address_space:  global
        .offset:         128
        .size:           8
        .value_kind:     global_buffer
      - .address_space:  global
        .offset:         136
        .size:           8
        .value_kind:     global_buffer
      - .offset:         144
        .size:           4
        .value_kind:     hidden_block_count_x
      - .offset:         148
        .size:           4
        .value_kind:     hidden_block_count_y
      - .offset:         152
        .size:           4
        .value_kind:     hidden_block_count_z
      - .offset:         156
        .size:           2
        .value_kind:     hidden_group_size_x
      - .offset:         158
        .size:           2
        .value_kind:     hidden_group_size_y
      - .offset:         160
        .size:           2
        .value_kind:     hidden_group_size_z
      - .offset:         162
        .size:           2
        .value_kind:     hidden_remainder_x
      - .offset:         164
        .size:           2
        .value_kind:     hidden_remainder_y
      - .offset:         166
        .size:           2
        .value_kind:     hidden_remainder_z
      - .offset:         184
        .size:           8
        .value_kind:     hidden_global_offset_x
      - .offset:         192
        .size:           8
        .value_kind:     hidden_global_offset_y
      - .offset:         200
        .size:           8
        .value_kind:     hidden_global_offset_z
      - .offset:         208
        .size:           2
        .value_kind:     hidden_grid_dims
      - .offset:         224
        .size:           8
        .value_kind:     hidden_hostcall_buffer
    .group_segment_fixed_size: 8192
    .kernarg_segment_align: 8
    .kernarg_segment_size: 400
    .language:       OpenCL C
    .language_version:
      - 2
      - 0
    .max_flat_workgroup_size: 256
    .name:           _Z39paged_attention_ll4mi_QKV_mfma16_kernelIDF16_hLN4vllm18Fp8KVCacheDataTypeE1EDF16_Li16ELi128ELi256ELb1ELi16EL8MFMAType1EEvPKT_PKT0_S8_ifPKiSA_SA_iPKfiiiPfSD_PS3_PT2_iSC_SC_
    .private_segment_fixed_size: 64
    .sgpr_count:     40
    .sgpr_spill_count: 0
    .symbol:         _Z39paged_attention_ll4mi_QKV_mfma16_kernelIDF16_hLN4vllm18Fp8KVCacheDataTypeE1EDF16_Li16ELi128ELi256ELb1ELi16EL8MFMAType1EEvPKT_PKT0_S8_ifPKiSA_SA_iPKfiiiPfSD_PS3_PT2_iSC_SC_.kd
    .uniform_work_group_size: 1
    .uses_dynamic_stack: false
    .vgpr_count:     45
    .vgpr_spill_count: 0
    .wavefront_size: 64
  - .agpr_count:     1
    .args:
      - .actual_access:  read_only
        .address_space:  global
        .offset:         0
        .size:           8
        .value_kind:     global_buffer
      - .actual_access:  read_only
        .address_space:  global
        .offset:         8
        .size:           8
        .value_kind:     global_buffer
      - .actual_access:  read_only
        .address_space:  global
        .offset:         16
        .size:           8
        .value_kind:     global_buffer
      - .offset:         24
        .size:           4
        .value_kind:     by_value
      - .offset:         28
        .size:           4
        .value_kind:     by_value
      - .actual_access:  read_only
        .address_space:  global
        .offset:         32
        .size:           8
        .value_kind:     global_buffer
      - .actual_access:  read_only
        .address_space:  global
        .offset:         40
        .size:           8
        .value_kind:     global_buffer
      - .actual_access:  read_only
        .address_space:  global
        .offset:         48
        .size:           8
        .value_kind:     global_buffer
      - .offset:         56
        .size:           4
        .value_kind:     by_value
      - .actual_access:  read_only
        .address_space:  global
        .offset:         64
        .size:           8
        .value_kind:     global_buffer
      - .offset:         72
        .size:           4
        .value_kind:     by_value
      - .offset:         76
        .size:           4
        .value_kind:     by_value
      - .offset:         80
        .size:           4
        .value_kind:     by_value
      - .actual_access:  read_only
        .address_space:  global
        .offset:         88
        .size:           8
        .value_kind:     global_buffer
      - .actual_access:  read_only
        .address_space:  global
        .offset:         96
        .size:           8
        .value_kind:     global_buffer
      - .actual_access:  read_only
        .address_space:  global
        .offset:         104
        .size:           8
        .value_kind:     global_buffer
      - .actual_access:  read_only
        .address_space:  global
        .offset:         112
        .size:           8
        .value_kind:     global_buffer
      - .offset:         120
        .size:           4
        .value_kind:     by_value
      - .address_space:  global
        .offset:         128
        .size:           8
        .value_kind:     global_buffer
      - .address_space:  global
        .offset:         136
        .size:           8
        .value_kind:     global_buffer
      - .offset:         144
        .size:           4
        .value_kind:     hidden_block_count_x
      - .offset:         148
        .size:           4
        .value_kind:     hidden_block_count_y
      - .offset:         152
        .size:           4
        .value_kind:     hidden_block_count_z
      - .offset:         156
        .size:           2
        .value_kind:     hidden_group_size_x
      - .offset:         158
        .size:           2
        .value_kind:     hidden_group_size_y
      - .offset:         160
        .size:           2
        .value_kind:     hidden_group_size_z
      - .offset:         162
        .size:           2
        .value_kind:     hidden_remainder_x
      - .offset:         164
        .size:           2
        .value_kind:     hidden_remainder_y
      - .offset:         166
        .size:           2
        .value_kind:     hidden_remainder_z
      - .offset:         184
        .size:           8
        .value_kind:     hidden_global_offset_x
      - .offset:         192
        .size:           8
        .value_kind:     hidden_global_offset_y
      - .offset:         200
        .size:           8
        .value_kind:     hidden_global_offset_z
      - .offset:         208
        .size:           2
        .value_kind:     hidden_grid_dims
      - .offset:         224
        .size:           8
        .value_kind:     hidden_hostcall_buffer
    .group_segment_fixed_size: 8192
    .kernarg_segment_align: 8
    .kernarg_segment_size: 400
    .language:       OpenCL C
    .language_version:
      - 2
      - 0
    .max_flat_workgroup_size: 256
    .name:           _Z39paged_attention_ll4mi_QKV_mfma16_kernelIDF16_hLN4vllm18Fp8KVCacheDataTypeE1EDF16_Li16ELi128ELi256ELb1ELi1EL8MFMAType1EEvPKT_PKT0_S8_ifPKiSA_SA_iPKfiiiPfSD_PS3_PT2_iSC_SC_
    .private_segment_fixed_size: 64
    .sgpr_count:     40
    .sgpr_spill_count: 0
    .symbol:         _Z39paged_attention_ll4mi_QKV_mfma16_kernelIDF16_hLN4vllm18Fp8KVCacheDataTypeE1EDF16_Li16ELi128ELi256ELb1ELi1EL8MFMAType1EEvPKT_PKT0_S8_ifPKiSA_SA_iPKfiiiPfSD_PS3_PT2_iSC_SC_.kd
    .uniform_work_group_size: 1
    .uses_dynamic_stack: false
    .vgpr_count:     45
    .vgpr_spill_count: 0
    .wavefront_size: 64
  - .agpr_count:     1
    .args:
      - .actual_access:  read_only
        .address_space:  global
        .offset:         0
        .size:           8
        .value_kind:     global_buffer
      - .actual_access:  read_only
        .address_space:  global
        .offset:         8
        .size:           8
        .value_kind:     global_buffer
      - .actual_access:  read_only
        .address_space:  global
        .offset:         16
        .size:           8
        .value_kind:     global_buffer
      - .offset:         24
        .size:           4
        .value_kind:     by_value
      - .offset:         28
        .size:           4
        .value_kind:     by_value
      - .actual_access:  read_only
        .address_space:  global
        .offset:         32
        .size:           8
        .value_kind:     global_buffer
      - .actual_access:  read_only
        .address_space:  global
        .offset:         40
        .size:           8
        .value_kind:     global_buffer
      - .actual_access:  read_only
        .address_space:  global
        .offset:         48
        .size:           8
        .value_kind:     global_buffer
      - .offset:         56
        .size:           4
        .value_kind:     by_value
      - .actual_access:  read_only
        .address_space:  global
        .offset:         64
        .size:           8
        .value_kind:     global_buffer
      - .offset:         72
        .size:           4
        .value_kind:     by_value
      - .offset:         76
        .size:           4
        .value_kind:     by_value
      - .offset:         80
        .size:           4
        .value_kind:     by_value
      - .actual_access:  read_only
        .address_space:  global
        .offset:         88
        .size:           8
        .value_kind:     global_buffer
      - .actual_access:  read_only
        .address_space:  global
        .offset:         96
        .size:           8
        .value_kind:     global_buffer
      - .actual_access:  read_only
        .address_space:  global
        .offset:         104
        .size:           8
        .value_kind:     global_buffer
      - .actual_access:  read_only
        .address_space:  global
        .offset:         112
        .size:           8
        .value_kind:     global_buffer
      - .offset:         120
        .size:           4
        .value_kind:     by_value
      - .address_space:  global
        .offset:         128
        .size:           8
        .value_kind:     global_buffer
      - .address_space:  global
        .offset:         136
        .size:           8
        .value_kind:     global_buffer
      - .offset:         144
        .size:           4
        .value_kind:     hidden_block_count_x
      - .offset:         148
        .size:           4
        .value_kind:     hidden_block_count_y
      - .offset:         152
        .size:           4
        .value_kind:     hidden_block_count_z
      - .offset:         156
        .size:           2
        .value_kind:     hidden_group_size_x
      - .offset:         158
        .size:           2
        .value_kind:     hidden_group_size_y
      - .offset:         160
        .size:           2
        .value_kind:     hidden_group_size_z
      - .offset:         162
        .size:           2
        .value_kind:     hidden_remainder_x
      - .offset:         164
        .size:           2
        .value_kind:     hidden_remainder_y
      - .offset:         166
        .size:           2
        .value_kind:     hidden_remainder_z
      - .offset:         184
        .size:           8
        .value_kind:     hidden_global_offset_x
      - .offset:         192
        .size:           8
        .value_kind:     hidden_global_offset_y
      - .offset:         200
        .size:           8
        .value_kind:     hidden_global_offset_z
      - .offset:         208
        .size:           2
        .value_kind:     hidden_grid_dims
      - .offset:         224
        .size:           8
        .value_kind:     hidden_hostcall_buffer
    .group_segment_fixed_size: 8192
    .kernarg_segment_align: 8
    .kernarg_segment_size: 400
    .language:       OpenCL C
    .language_version:
      - 2
      - 0
    .max_flat_workgroup_size: 256
    .name:           _Z39paged_attention_ll4mi_QKV_mfma16_kernelIDF16_hLN4vllm18Fp8KVCacheDataTypeE1EDF16_Li16ELi128ELi256ELb1ELi2EL8MFMAType1EEvPKT_PKT0_S8_ifPKiSA_SA_iPKfiiiPfSD_PS3_PT2_iSC_SC_
    .private_segment_fixed_size: 64
    .sgpr_count:     40
    .sgpr_spill_count: 0
    .symbol:         _Z39paged_attention_ll4mi_QKV_mfma16_kernelIDF16_hLN4vllm18Fp8KVCacheDataTypeE1EDF16_Li16ELi128ELi256ELb1ELi2EL8MFMAType1EEvPKT_PKT0_S8_ifPKiSA_SA_iPKfiiiPfSD_PS3_PT2_iSC_SC_.kd
    .uniform_work_group_size: 1
    .uses_dynamic_stack: false
    .vgpr_count:     45
    .vgpr_spill_count: 0
    .wavefront_size: 64
  - .agpr_count:     1
    .args:
      - .actual_access:  read_only
        .address_space:  global
        .offset:         0
        .size:           8
        .value_kind:     global_buffer
      - .actual_access:  read_only
        .address_space:  global
        .offset:         8
        .size:           8
        .value_kind:     global_buffer
      - .actual_access:  read_only
        .address_space:  global
        .offset:         16
        .size:           8
        .value_kind:     global_buffer
      - .offset:         24
        .size:           4
        .value_kind:     by_value
      - .offset:         28
        .size:           4
        .value_kind:     by_value
      - .actual_access:  read_only
        .address_space:  global
        .offset:         32
        .size:           8
        .value_kind:     global_buffer
      - .actual_access:  read_only
        .address_space:  global
        .offset:         40
        .size:           8
        .value_kind:     global_buffer
      - .actual_access:  read_only
        .address_space:  global
        .offset:         48
        .size:           8
        .value_kind:     global_buffer
      - .offset:         56
        .size:           4
        .value_kind:     by_value
      - .actual_access:  read_only
        .address_space:  global
        .offset:         64
        .size:           8
        .value_kind:     global_buffer
      - .offset:         72
        .size:           4
        .value_kind:     by_value
      - .offset:         76
        .size:           4
        .value_kind:     by_value
      - .offset:         80
        .size:           4
        .value_kind:     by_value
      - .actual_access:  read_only
        .address_space:  global
        .offset:         88
        .size:           8
        .value_kind:     global_buffer
      - .actual_access:  read_only
        .address_space:  global
        .offset:         96
        .size:           8
        .value_kind:     global_buffer
      - .actual_access:  read_only
        .address_space:  global
        .offset:         104
        .size:           8
        .value_kind:     global_buffer
      - .actual_access:  read_only
        .address_space:  global
        .offset:         112
        .size:           8
        .value_kind:     global_buffer
      - .offset:         120
        .size:           4
        .value_kind:     by_value
      - .address_space:  global
        .offset:         128
        .size:           8
        .value_kind:     global_buffer
      - .address_space:  global
        .offset:         136
        .size:           8
        .value_kind:     global_buffer
      - .offset:         144
        .size:           4
        .value_kind:     hidden_block_count_x
      - .offset:         148
        .size:           4
        .value_kind:     hidden_block_count_y
      - .offset:         152
        .size:           4
        .value_kind:     hidden_block_count_z
      - .offset:         156
        .size:           2
        .value_kind:     hidden_group_size_x
      - .offset:         158
        .size:           2
        .value_kind:     hidden_group_size_y
      - .offset:         160
        .size:           2
        .value_kind:     hidden_group_size_z
      - .offset:         162
        .size:           2
        .value_kind:     hidden_remainder_x
      - .offset:         164
        .size:           2
        .value_kind:     hidden_remainder_y
      - .offset:         166
        .size:           2
        .value_kind:     hidden_remainder_z
      - .offset:         184
        .size:           8
        .value_kind:     hidden_global_offset_x
      - .offset:         192
        .size:           8
        .value_kind:     hidden_global_offset_y
      - .offset:         200
        .size:           8
        .value_kind:     hidden_global_offset_z
      - .offset:         208
        .size:           2
        .value_kind:     hidden_grid_dims
      - .offset:         224
        .size:           8
        .value_kind:     hidden_hostcall_buffer
    .group_segment_fixed_size: 8192
    .kernarg_segment_align: 8
    .kernarg_segment_size: 400
    .language:       OpenCL C
    .language_version:
      - 2
      - 0
    .max_flat_workgroup_size: 256
    .name:           _Z39paged_attention_ll4mi_QKV_mfma16_kernelIDF16_hLN4vllm18Fp8KVCacheDataTypeE1EDF16_Li16ELi128ELi256ELb1ELi3EL8MFMAType1EEvPKT_PKT0_S8_ifPKiSA_SA_iPKfiiiPfSD_PS3_PT2_iSC_SC_
    .private_segment_fixed_size: 64
    .sgpr_count:     40
    .sgpr_spill_count: 0
    .symbol:         _Z39paged_attention_ll4mi_QKV_mfma16_kernelIDF16_hLN4vllm18Fp8KVCacheDataTypeE1EDF16_Li16ELi128ELi256ELb1ELi3EL8MFMAType1EEvPKT_PKT0_S8_ifPKiSA_SA_iPKfiiiPfSD_PS3_PT2_iSC_SC_.kd
    .uniform_work_group_size: 1
    .uses_dynamic_stack: false
    .vgpr_count:     45
    .vgpr_spill_count: 0
    .wavefront_size: 64
  - .agpr_count:     1
    .args:
      - .actual_access:  read_only
        .address_space:  global
        .offset:         0
        .size:           8
        .value_kind:     global_buffer
      - .actual_access:  read_only
        .address_space:  global
        .offset:         8
        .size:           8
        .value_kind:     global_buffer
      - .actual_access:  read_only
        .address_space:  global
        .offset:         16
        .size:           8
        .value_kind:     global_buffer
      - .offset:         24
        .size:           4
        .value_kind:     by_value
      - .offset:         28
        .size:           4
        .value_kind:     by_value
      - .actual_access:  read_only
        .address_space:  global
        .offset:         32
        .size:           8
        .value_kind:     global_buffer
      - .actual_access:  read_only
        .address_space:  global
        .offset:         40
        .size:           8
        .value_kind:     global_buffer
      - .actual_access:  read_only
        .address_space:  global
        .offset:         48
        .size:           8
        .value_kind:     global_buffer
      - .offset:         56
        .size:           4
        .value_kind:     by_value
      - .actual_access:  read_only
        .address_space:  global
        .offset:         64
        .size:           8
        .value_kind:     global_buffer
      - .offset:         72
        .size:           4
        .value_kind:     by_value
      - .offset:         76
        .size:           4
        .value_kind:     by_value
      - .offset:         80
        .size:           4
        .value_kind:     by_value
      - .actual_access:  read_only
        .address_space:  global
        .offset:         88
        .size:           8
        .value_kind:     global_buffer
      - .actual_access:  read_only
        .address_space:  global
        .offset:         96
        .size:           8
        .value_kind:     global_buffer
      - .actual_access:  read_only
        .address_space:  global
        .offset:         104
        .size:           8
        .value_kind:     global_buffer
      - .actual_access:  read_only
        .address_space:  global
        .offset:         112
        .size:           8
        .value_kind:     global_buffer
      - .offset:         120
        .size:           4
        .value_kind:     by_value
      - .address_space:  global
        .offset:         128
        .size:           8
        .value_kind:     global_buffer
      - .address_space:  global
        .offset:         136
        .size:           8
        .value_kind:     global_buffer
      - .offset:         144
        .size:           4
        .value_kind:     hidden_block_count_x
      - .offset:         148
        .size:           4
        .value_kind:     hidden_block_count_y
      - .offset:         152
        .size:           4
        .value_kind:     hidden_block_count_z
      - .offset:         156
        .size:           2
        .value_kind:     hidden_group_size_x
      - .offset:         158
        .size:           2
        .value_kind:     hidden_group_size_y
      - .offset:         160
        .size:           2
        .value_kind:     hidden_group_size_z
      - .offset:         162
        .size:           2
        .value_kind:     hidden_remainder_x
      - .offset:         164
        .size:           2
        .value_kind:     hidden_remainder_y
      - .offset:         166
        .size:           2
        .value_kind:     hidden_remainder_z
      - .offset:         184
        .size:           8
        .value_kind:     hidden_global_offset_x
      - .offset:         192
        .size:           8
        .value_kind:     hidden_global_offset_y
      - .offset:         200
        .size:           8
        .value_kind:     hidden_global_offset_z
      - .offset:         208
        .size:           2
        .value_kind:     hidden_grid_dims
      - .offset:         224
        .size:           8
        .value_kind:     hidden_hostcall_buffer
    .group_segment_fixed_size: 8192
    .kernarg_segment_align: 8
    .kernarg_segment_size: 400
    .language:       OpenCL C
    .language_version:
      - 2
      - 0
    .max_flat_workgroup_size: 256
    .name:           _Z39paged_attention_ll4mi_QKV_mfma16_kernelIDF16_hLN4vllm18Fp8KVCacheDataTypeE1EDF16_Li16ELi128ELi256ELb1ELi4EL8MFMAType1EEvPKT_PKT0_S8_ifPKiSA_SA_iPKfiiiPfSD_PS3_PT2_iSC_SC_
    .private_segment_fixed_size: 64
    .sgpr_count:     40
    .sgpr_spill_count: 0
    .symbol:         _Z39paged_attention_ll4mi_QKV_mfma16_kernelIDF16_hLN4vllm18Fp8KVCacheDataTypeE1EDF16_Li16ELi128ELi256ELb1ELi4EL8MFMAType1EEvPKT_PKT0_S8_ifPKiSA_SA_iPKfiiiPfSD_PS3_PT2_iSC_SC_.kd
    .uniform_work_group_size: 1
    .uses_dynamic_stack: false
    .vgpr_count:     45
    .vgpr_spill_count: 0
    .wavefront_size: 64
  - .agpr_count:     4
    .args:
      - .actual_access:  read_only
        .address_space:  global
        .offset:         0
        .size:           8
        .value_kind:     global_buffer
      - .actual_access:  read_only
        .address_space:  global
        .offset:         8
        .size:           8
        .value_kind:     global_buffer
      - .actual_access:  read_only
        .address_space:  global
        .offset:         16
        .size:           8
        .value_kind:     global_buffer
      - .offset:         24
        .size:           4
        .value_kind:     by_value
      - .offset:         28
        .size:           4
        .value_kind:     by_value
      - .actual_access:  read_only
        .address_space:  global
        .offset:         32
        .size:           8
        .value_kind:     global_buffer
      - .actual_access:  read_only
        .address_space:  global
        .offset:         40
        .size:           8
        .value_kind:     global_buffer
      - .actual_access:  read_only
        .address_space:  global
        .offset:         48
        .size:           8
        .value_kind:     global_buffer
      - .offset:         56
        .size:           4
        .value_kind:     by_value
      - .actual_access:  read_only
        .address_space:  global
        .offset:         64
        .size:           8
        .value_kind:     global_buffer
      - .offset:         72
        .size:           4
        .value_kind:     by_value
      - .offset:         76
        .size:           4
        .value_kind:     by_value
      - .offset:         80
        .size:           4
        .value_kind:     by_value
      - .actual_access:  write_only
        .address_space:  global
        .offset:         88
        .size:           8
        .value_kind:     global_buffer
      - .actual_access:  write_only
        .address_space:  global
        .offset:         96
        .size:           8
        .value_kind:     global_buffer
      - .actual_access:  write_only
        .address_space:  global
        .offset:         104
        .size:           8
        .value_kind:     global_buffer
      - .actual_access:  read_only
        .address_space:  global
        .offset:         112
        .size:           8
        .value_kind:     global_buffer
      - .offset:         120
        .size:           4
        .value_kind:     by_value
      - .address_space:  global
        .offset:         128
        .size:           8
        .value_kind:     global_buffer
      - .address_space:  global
        .offset:         136
        .size:           8
        .value_kind:     global_buffer
      - .offset:         144
        .size:           4
        .value_kind:     hidden_block_count_x
      - .offset:         148
        .size:           4
        .value_kind:     hidden_block_count_y
      - .offset:         152
        .size:           4
        .value_kind:     hidden_block_count_z
      - .offset:         156
        .size:           2
        .value_kind:     hidden_group_size_x
      - .offset:         158
        .size:           2
        .value_kind:     hidden_group_size_y
      - .offset:         160
        .size:           2
        .value_kind:     hidden_group_size_z
      - .offset:         162
        .size:           2
        .value_kind:     hidden_remainder_x
      - .offset:         164
        .size:           2
        .value_kind:     hidden_remainder_y
      - .offset:         166
        .size:           2
        .value_kind:     hidden_remainder_z
      - .offset:         184
        .size:           8
        .value_kind:     hidden_global_offset_x
      - .offset:         192
        .size:           8
        .value_kind:     hidden_global_offset_y
      - .offset:         200
        .size:           8
        .value_kind:     hidden_global_offset_z
      - .offset:         208
        .size:           2
        .value_kind:     hidden_grid_dims
    .group_segment_fixed_size: 5280
    .kernarg_segment_align: 8
    .kernarg_segment_size: 400
    .language:       OpenCL C
    .language_version:
      - 2
      - 0
    .max_flat_workgroup_size: 256
    .name:           _Z38paged_attention_ll4mi_QKV_mfma4_kernelIDF16_hLN4vllm18Fp8KVCacheDataTypeE1EDF16_Li16ELi128ELi256ELb0ELi1EEvPKT_PKT0_S7_ifPKiS9_S9_iPKfiiiPfSC_PS2_PT2_iSB_SB_
    .private_segment_fixed_size: 144
    .sgpr_count:     50
    .sgpr_spill_count: 0
    .symbol:         _Z38paged_attention_ll4mi_QKV_mfma4_kernelIDF16_hLN4vllm18Fp8KVCacheDataTypeE1EDF16_Li16ELi128ELi256ELb0ELi1EEvPKT_PKT0_S7_ifPKiS9_S9_iPKfiiiPfSC_PS2_PT2_iSB_SB_.kd
    .uniform_work_group_size: 1
    .uses_dynamic_stack: false
    .vgpr_count:     72
    .vgpr_spill_count: 0
    .wavefront_size: 64
  - .agpr_count:     4
    .args:
      - .actual_access:  read_only
        .address_space:  global
        .offset:         0
        .size:           8
        .value_kind:     global_buffer
      - .actual_access:  read_only
        .address_space:  global
        .offset:         8
        .size:           8
        .value_kind:     global_buffer
      - .actual_access:  read_only
        .address_space:  global
        .offset:         16
        .size:           8
        .value_kind:     global_buffer
      - .offset:         24
        .size:           4
        .value_kind:     by_value
      - .offset:         28
        .size:           4
        .value_kind:     by_value
      - .actual_access:  read_only
        .address_space:  global
        .offset:         32
        .size:           8
        .value_kind:     global_buffer
      - .actual_access:  read_only
        .address_space:  global
        .offset:         40
        .size:           8
        .value_kind:     global_buffer
      - .actual_access:  read_only
        .address_space:  global
        .offset:         48
        .size:           8
        .value_kind:     global_buffer
      - .offset:         56
        .size:           4
        .value_kind:     by_value
      - .actual_access:  read_only
        .address_space:  global
        .offset:         64
        .size:           8
        .value_kind:     global_buffer
      - .offset:         72
        .size:           4
        .value_kind:     by_value
      - .offset:         76
        .size:           4
        .value_kind:     by_value
      - .offset:         80
        .size:           4
        .value_kind:     by_value
      - .actual_access:  write_only
        .address_space:  global
        .offset:         88
        .size:           8
        .value_kind:     global_buffer
      - .actual_access:  write_only
        .address_space:  global
        .offset:         96
        .size:           8
        .value_kind:     global_buffer
      - .actual_access:  write_only
        .address_space:  global
        .offset:         104
        .size:           8
        .value_kind:     global_buffer
      - .actual_access:  read_only
        .address_space:  global
        .offset:         112
        .size:           8
        .value_kind:     global_buffer
      - .offset:         120
        .size:           4
        .value_kind:     by_value
      - .address_space:  global
        .offset:         128
        .size:           8
        .value_kind:     global_buffer
      - .address_space:  global
        .offset:         136
        .size:           8
        .value_kind:     global_buffer
      - .offset:         144
        .size:           4
        .value_kind:     hidden_block_count_x
      - .offset:         148
        .size:           4
        .value_kind:     hidden_block_count_y
      - .offset:         152
        .size:           4
        .value_kind:     hidden_block_count_z
      - .offset:         156
        .size:           2
        .value_kind:     hidden_group_size_x
      - .offset:         158
        .size:           2
        .value_kind:     hidden_group_size_y
      - .offset:         160
        .size:           2
        .value_kind:     hidden_group_size_z
      - .offset:         162
        .size:           2
        .value_kind:     hidden_remainder_x
      - .offset:         164
        .size:           2
        .value_kind:     hidden_remainder_y
      - .offset:         166
        .size:           2
        .value_kind:     hidden_remainder_z
      - .offset:         184
        .size:           8
        .value_kind:     hidden_global_offset_x
      - .offset:         192
        .size:           8
        .value_kind:     hidden_global_offset_y
      - .offset:         200
        .size:           8
        .value_kind:     hidden_global_offset_z
      - .offset:         208
        .size:           2
        .value_kind:     hidden_grid_dims
    .group_segment_fixed_size: 5280
    .kernarg_segment_align: 8
    .kernarg_segment_size: 400
    .language:       OpenCL C
    .language_version:
      - 2
      - 0
    .max_flat_workgroup_size: 256
    .name:           _Z38paged_attention_ll4mi_QKV_mfma4_kernelIDF16_hLN4vllm18Fp8KVCacheDataTypeE1EDF16_Li16ELi128ELi256ELb0ELi2EEvPKT_PKT0_S7_ifPKiS9_S9_iPKfiiiPfSC_PS2_PT2_iSB_SB_
    .private_segment_fixed_size: 144
    .sgpr_count:     50
    .sgpr_spill_count: 0
    .symbol:         _Z38paged_attention_ll4mi_QKV_mfma4_kernelIDF16_hLN4vllm18Fp8KVCacheDataTypeE1EDF16_Li16ELi128ELi256ELb0ELi2EEvPKT_PKT0_S7_ifPKiS9_S9_iPKfiiiPfSC_PS2_PT2_iSB_SB_.kd
    .uniform_work_group_size: 1
    .uses_dynamic_stack: false
    .vgpr_count:     72
    .vgpr_spill_count: 0
    .wavefront_size: 64
  - .agpr_count:     4
    .args:
      - .actual_access:  read_only
        .address_space:  global
        .offset:         0
        .size:           8
        .value_kind:     global_buffer
      - .actual_access:  read_only
        .address_space:  global
        .offset:         8
        .size:           8
        .value_kind:     global_buffer
      - .actual_access:  read_only
        .address_space:  global
        .offset:         16
        .size:           8
        .value_kind:     global_buffer
      - .offset:         24
        .size:           4
        .value_kind:     by_value
      - .offset:         28
        .size:           4
        .value_kind:     by_value
      - .actual_access:  read_only
        .address_space:  global
        .offset:         32
        .size:           8
        .value_kind:     global_buffer
      - .actual_access:  read_only
        .address_space:  global
        .offset:         40
        .size:           8
        .value_kind:     global_buffer
      - .actual_access:  read_only
        .address_space:  global
        .offset:         48
        .size:           8
        .value_kind:     global_buffer
      - .offset:         56
        .size:           4
        .value_kind:     by_value
      - .actual_access:  read_only
        .address_space:  global
        .offset:         64
        .size:           8
        .value_kind:     global_buffer
      - .offset:         72
        .size:           4
        .value_kind:     by_value
      - .offset:         76
        .size:           4
        .value_kind:     by_value
      - .offset:         80
        .size:           4
        .value_kind:     by_value
      - .actual_access:  write_only
        .address_space:  global
        .offset:         88
        .size:           8
        .value_kind:     global_buffer
      - .actual_access:  write_only
        .address_space:  global
        .offset:         96
        .size:           8
        .value_kind:     global_buffer
      - .actual_access:  write_only
        .address_space:  global
        .offset:         104
        .size:           8
        .value_kind:     global_buffer
      - .actual_access:  read_only
        .address_space:  global
        .offset:         112
        .size:           8
        .value_kind:     global_buffer
      - .offset:         120
        .size:           4
        .value_kind:     by_value
      - .address_space:  global
        .offset:         128
        .size:           8
        .value_kind:     global_buffer
      - .address_space:  global
        .offset:         136
        .size:           8
        .value_kind:     global_buffer
      - .offset:         144
        .size:           4
        .value_kind:     hidden_block_count_x
      - .offset:         148
        .size:           4
        .value_kind:     hidden_block_count_y
      - .offset:         152
        .size:           4
        .value_kind:     hidden_block_count_z
      - .offset:         156
        .size:           2
        .value_kind:     hidden_group_size_x
      - .offset:         158
        .size:           2
        .value_kind:     hidden_group_size_y
      - .offset:         160
        .size:           2
        .value_kind:     hidden_group_size_z
      - .offset:         162
        .size:           2
        .value_kind:     hidden_remainder_x
      - .offset:         164
        .size:           2
        .value_kind:     hidden_remainder_y
      - .offset:         166
        .size:           2
        .value_kind:     hidden_remainder_z
      - .offset:         184
        .size:           8
        .value_kind:     hidden_global_offset_x
      - .offset:         192
        .size:           8
        .value_kind:     hidden_global_offset_y
      - .offset:         200
        .size:           8
        .value_kind:     hidden_global_offset_z
      - .offset:         208
        .size:           2
        .value_kind:     hidden_grid_dims
    .group_segment_fixed_size: 5280
    .kernarg_segment_align: 8
    .kernarg_segment_size: 400
    .language:       OpenCL C
    .language_version:
      - 2
      - 0
    .max_flat_workgroup_size: 256
    .name:           _Z38paged_attention_ll4mi_QKV_mfma4_kernelIDF16_hLN4vllm18Fp8KVCacheDataTypeE1EDF16_Li16ELi128ELi256ELb0ELi3EEvPKT_PKT0_S7_ifPKiS9_S9_iPKfiiiPfSC_PS2_PT2_iSB_SB_
    .private_segment_fixed_size: 144
    .sgpr_count:     50
    .sgpr_spill_count: 0
    .symbol:         _Z38paged_attention_ll4mi_QKV_mfma4_kernelIDF16_hLN4vllm18Fp8KVCacheDataTypeE1EDF16_Li16ELi128ELi256ELb0ELi3EEvPKT_PKT0_S7_ifPKiS9_S9_iPKfiiiPfSC_PS2_PT2_iSB_SB_.kd
    .uniform_work_group_size: 1
    .uses_dynamic_stack: false
    .vgpr_count:     72
    .vgpr_spill_count: 0
    .wavefront_size: 64
  - .agpr_count:     4
    .args:
      - .actual_access:  read_only
        .address_space:  global
        .offset:         0
        .size:           8
        .value_kind:     global_buffer
      - .actual_access:  read_only
        .address_space:  global
        .offset:         8
        .size:           8
        .value_kind:     global_buffer
      - .actual_access:  read_only
        .address_space:  global
        .offset:         16
        .size:           8
        .value_kind:     global_buffer
      - .offset:         24
        .size:           4
        .value_kind:     by_value
      - .offset:         28
        .size:           4
        .value_kind:     by_value
      - .actual_access:  read_only
        .address_space:  global
        .offset:         32
        .size:           8
        .value_kind:     global_buffer
      - .actual_access:  read_only
        .address_space:  global
        .offset:         40
        .size:           8
        .value_kind:     global_buffer
      - .actual_access:  read_only
        .address_space:  global
        .offset:         48
        .size:           8
        .value_kind:     global_buffer
      - .offset:         56
        .size:           4
        .value_kind:     by_value
      - .actual_access:  read_only
        .address_space:  global
        .offset:         64
        .size:           8
        .value_kind:     global_buffer
      - .offset:         72
        .size:           4
        .value_kind:     by_value
      - .offset:         76
        .size:           4
        .value_kind:     by_value
      - .offset:         80
        .size:           4
        .value_kind:     by_value
      - .actual_access:  write_only
        .address_space:  global
        .offset:         88
        .size:           8
        .value_kind:     global_buffer
      - .actual_access:  write_only
        .address_space:  global
        .offset:         96
        .size:           8
        .value_kind:     global_buffer
      - .actual_access:  write_only
        .address_space:  global
        .offset:         104
        .size:           8
        .value_kind:     global_buffer
      - .actual_access:  read_only
        .address_space:  global
        .offset:         112
        .size:           8
        .value_kind:     global_buffer
      - .offset:         120
        .size:           4
        .value_kind:     by_value
      - .address_space:  global
        .offset:         128
        .size:           8
        .value_kind:     global_buffer
      - .address_space:  global
        .offset:         136
        .size:           8
        .value_kind:     global_buffer
      - .offset:         144
        .size:           4
        .value_kind:     hidden_block_count_x
      - .offset:         148
        .size:           4
        .value_kind:     hidden_block_count_y
      - .offset:         152
        .size:           4
        .value_kind:     hidden_block_count_z
      - .offset:         156
        .size:           2
        .value_kind:     hidden_group_size_x
      - .offset:         158
        .size:           2
        .value_kind:     hidden_group_size_y
      - .offset:         160
        .size:           2
        .value_kind:     hidden_group_size_z
      - .offset:         162
        .size:           2
        .value_kind:     hidden_remainder_x
      - .offset:         164
        .size:           2
        .value_kind:     hidden_remainder_y
      - .offset:         166
        .size:           2
        .value_kind:     hidden_remainder_z
      - .offset:         184
        .size:           8
        .value_kind:     hidden_global_offset_x
      - .offset:         192
        .size:           8
        .value_kind:     hidden_global_offset_y
      - .offset:         200
        .size:           8
        .value_kind:     hidden_global_offset_z
      - .offset:         208
        .size:           2
        .value_kind:     hidden_grid_dims
    .group_segment_fixed_size: 5280
    .kernarg_segment_align: 8
    .kernarg_segment_size: 400
    .language:       OpenCL C
    .language_version:
      - 2
      - 0
    .max_flat_workgroup_size: 256
    .name:           _Z38paged_attention_ll4mi_QKV_mfma4_kernelIDF16_hLN4vllm18Fp8KVCacheDataTypeE1EDF16_Li16ELi128ELi256ELb0ELi4EEvPKT_PKT0_S7_ifPKiS9_S9_iPKfiiiPfSC_PS2_PT2_iSB_SB_
    .private_segment_fixed_size: 144
    .sgpr_count:     50
    .sgpr_spill_count: 0
    .symbol:         _Z38paged_attention_ll4mi_QKV_mfma4_kernelIDF16_hLN4vllm18Fp8KVCacheDataTypeE1EDF16_Li16ELi128ELi256ELb0ELi4EEvPKT_PKT0_S7_ifPKiS9_S9_iPKfiiiPfSC_PS2_PT2_iSB_SB_.kd
    .uniform_work_group_size: 1
    .uses_dynamic_stack: false
    .vgpr_count:     72
    .vgpr_spill_count: 0
    .wavefront_size: 64
  - .agpr_count:     1
    .args:
      - .actual_access:  read_only
        .address_space:  global
        .offset:         0
        .size:           8
        .value_kind:     global_buffer
      - .actual_access:  read_only
        .address_space:  global
        .offset:         8
        .size:           8
        .value_kind:     global_buffer
      - .actual_access:  read_only
        .address_space:  global
        .offset:         16
        .size:           8
        .value_kind:     global_buffer
      - .offset:         24
        .size:           4
        .value_kind:     by_value
      - .offset:         28
        .size:           4
        .value_kind:     by_value
      - .actual_access:  read_only
        .address_space:  global
        .offset:         32
        .size:           8
        .value_kind:     global_buffer
      - .actual_access:  read_only
        .address_space:  global
        .offset:         40
        .size:           8
        .value_kind:     global_buffer
      - .actual_access:  read_only
        .address_space:  global
        .offset:         48
        .size:           8
        .value_kind:     global_buffer
      - .offset:         56
        .size:           4
        .value_kind:     by_value
      - .actual_access:  read_only
        .address_space:  global
        .offset:         64
        .size:           8
        .value_kind:     global_buffer
      - .offset:         72
        .size:           4
        .value_kind:     by_value
      - .offset:         76
        .size:           4
        .value_kind:     by_value
      - .offset:         80
        .size:           4
        .value_kind:     by_value
      - .actual_access:  read_only
        .address_space:  global
        .offset:         88
        .size:           8
        .value_kind:     global_buffer
      - .actual_access:  read_only
        .address_space:  global
        .offset:         96
        .size:           8
        .value_kind:     global_buffer
      - .actual_access:  read_only
        .address_space:  global
        .offset:         104
        .size:           8
        .value_kind:     global_buffer
      - .actual_access:  read_only
        .address_space:  global
        .offset:         112
        .size:           8
        .value_kind:     global_buffer
      - .offset:         120
        .size:           4
        .value_kind:     by_value
      - .address_space:  global
        .offset:         128
        .size:           8
        .value_kind:     global_buffer
      - .address_space:  global
        .offset:         136
        .size:           8
        .value_kind:     global_buffer
      - .offset:         144
        .size:           4
        .value_kind:     hidden_block_count_x
      - .offset:         148
        .size:           4
        .value_kind:     hidden_block_count_y
      - .offset:         152
        .size:           4
        .value_kind:     hidden_block_count_z
      - .offset:         156
        .size:           2
        .value_kind:     hidden_group_size_x
      - .offset:         158
        .size:           2
        .value_kind:     hidden_group_size_y
      - .offset:         160
        .size:           2
        .value_kind:     hidden_group_size_z
      - .offset:         162
        .size:           2
        .value_kind:     hidden_remainder_x
      - .offset:         164
        .size:           2
        .value_kind:     hidden_remainder_y
      - .offset:         166
        .size:           2
        .value_kind:     hidden_remainder_z
      - .offset:         184
        .size:           8
        .value_kind:     hidden_global_offset_x
      - .offset:         192
        .size:           8
        .value_kind:     hidden_global_offset_y
      - .offset:         200
        .size:           8
        .value_kind:     hidden_global_offset_z
      - .offset:         208
        .size:           2
        .value_kind:     hidden_grid_dims
      - .offset:         224
        .size:           8
        .value_kind:     hidden_hostcall_buffer
    .group_segment_fixed_size: 8192
    .kernarg_segment_align: 8
    .kernarg_segment_size: 400
    .language:       OpenCL C
    .language_version:
      - 2
      - 0
    .max_flat_workgroup_size: 256
    .name:           _Z39paged_attention_ll4mi_QKV_mfma16_kernelIDF16_hLN4vllm18Fp8KVCacheDataTypeE1EDF16_Li16ELi128ELi256ELb0ELi5EL8MFMAType1EEvPKT_PKT0_S8_ifPKiSA_SA_iPKfiiiPfSD_PS3_PT2_iSC_SC_
    .private_segment_fixed_size: 64
    .sgpr_count:     40
    .sgpr_spill_count: 0
    .symbol:         _Z39paged_attention_ll4mi_QKV_mfma16_kernelIDF16_hLN4vllm18Fp8KVCacheDataTypeE1EDF16_Li16ELi128ELi256ELb0ELi5EL8MFMAType1EEvPKT_PKT0_S8_ifPKiSA_SA_iPKfiiiPfSD_PS3_PT2_iSC_SC_.kd
    .uniform_work_group_size: 1
    .uses_dynamic_stack: false
    .vgpr_count:     45
    .vgpr_spill_count: 0
    .wavefront_size: 64
  - .agpr_count:     1
    .args:
      - .actual_access:  read_only
        .address_space:  global
        .offset:         0
        .size:           8
        .value_kind:     global_buffer
      - .actual_access:  read_only
        .address_space:  global
        .offset:         8
        .size:           8
        .value_kind:     global_buffer
      - .actual_access:  read_only
        .address_space:  global
        .offset:         16
        .size:           8
        .value_kind:     global_buffer
      - .offset:         24
        .size:           4
        .value_kind:     by_value
      - .offset:         28
        .size:           4
        .value_kind:     by_value
      - .actual_access:  read_only
        .address_space:  global
        .offset:         32
        .size:           8
        .value_kind:     global_buffer
      - .actual_access:  read_only
        .address_space:  global
        .offset:         40
        .size:           8
        .value_kind:     global_buffer
      - .actual_access:  read_only
        .address_space:  global
        .offset:         48
        .size:           8
        .value_kind:     global_buffer
      - .offset:         56
        .size:           4
        .value_kind:     by_value
      - .actual_access:  read_only
        .address_space:  global
        .offset:         64
        .size:           8
        .value_kind:     global_buffer
      - .offset:         72
        .size:           4
        .value_kind:     by_value
      - .offset:         76
        .size:           4
        .value_kind:     by_value
      - .offset:         80
        .size:           4
        .value_kind:     by_value
      - .actual_access:  read_only
        .address_space:  global
        .offset:         88
        .size:           8
        .value_kind:     global_buffer
      - .actual_access:  read_only
        .address_space:  global
        .offset:         96
        .size:           8
        .value_kind:     global_buffer
      - .actual_access:  read_only
        .address_space:  global
        .offset:         104
        .size:           8
        .value_kind:     global_buffer
      - .actual_access:  read_only
        .address_space:  global
        .offset:         112
        .size:           8
        .value_kind:     global_buffer
      - .offset:         120
        .size:           4
        .value_kind:     by_value
      - .address_space:  global
        .offset:         128
        .size:           8
        .value_kind:     global_buffer
      - .address_space:  global
        .offset:         136
        .size:           8
        .value_kind:     global_buffer
      - .offset:         144
        .size:           4
        .value_kind:     hidden_block_count_x
      - .offset:         148
        .size:           4
        .value_kind:     hidden_block_count_y
      - .offset:         152
        .size:           4
        .value_kind:     hidden_block_count_z
      - .offset:         156
        .size:           2
        .value_kind:     hidden_group_size_x
      - .offset:         158
        .size:           2
        .value_kind:     hidden_group_size_y
      - .offset:         160
        .size:           2
        .value_kind:     hidden_group_size_z
      - .offset:         162
        .size:           2
        .value_kind:     hidden_remainder_x
      - .offset:         164
        .size:           2
        .value_kind:     hidden_remainder_y
      - .offset:         166
        .size:           2
        .value_kind:     hidden_remainder_z
      - .offset:         184
        .size:           8
        .value_kind:     hidden_global_offset_x
      - .offset:         192
        .size:           8
        .value_kind:     hidden_global_offset_y
      - .offset:         200
        .size:           8
        .value_kind:     hidden_global_offset_z
      - .offset:         208
        .size:           2
        .value_kind:     hidden_grid_dims
      - .offset:         224
        .size:           8
        .value_kind:     hidden_hostcall_buffer
    .group_segment_fixed_size: 8192
    .kernarg_segment_align: 8
    .kernarg_segment_size: 400
    .language:       OpenCL C
    .language_version:
      - 2
      - 0
    .max_flat_workgroup_size: 256
    .name:           _Z39paged_attention_ll4mi_QKV_mfma16_kernelIDF16_hLN4vllm18Fp8KVCacheDataTypeE1EDF16_Li16ELi128ELi256ELb0ELi6EL8MFMAType1EEvPKT_PKT0_S8_ifPKiSA_SA_iPKfiiiPfSD_PS3_PT2_iSC_SC_
    .private_segment_fixed_size: 64
    .sgpr_count:     40
    .sgpr_spill_count: 0
    .symbol:         _Z39paged_attention_ll4mi_QKV_mfma16_kernelIDF16_hLN4vllm18Fp8KVCacheDataTypeE1EDF16_Li16ELi128ELi256ELb0ELi6EL8MFMAType1EEvPKT_PKT0_S8_ifPKiSA_SA_iPKfiiiPfSD_PS3_PT2_iSC_SC_.kd
    .uniform_work_group_size: 1
    .uses_dynamic_stack: false
    .vgpr_count:     45
    .vgpr_spill_count: 0
    .wavefront_size: 64
  - .agpr_count:     1
    .args:
      - .actual_access:  read_only
        .address_space:  global
        .offset:         0
        .size:           8
        .value_kind:     global_buffer
      - .actual_access:  read_only
        .address_space:  global
        .offset:         8
        .size:           8
        .value_kind:     global_buffer
      - .actual_access:  read_only
        .address_space:  global
        .offset:         16
        .size:           8
        .value_kind:     global_buffer
      - .offset:         24
        .size:           4
        .value_kind:     by_value
      - .offset:         28
        .size:           4
        .value_kind:     by_value
      - .actual_access:  read_only
        .address_space:  global
        .offset:         32
        .size:           8
        .value_kind:     global_buffer
      - .actual_access:  read_only
        .address_space:  global
        .offset:         40
        .size:           8
        .value_kind:     global_buffer
      - .actual_access:  read_only
        .address_space:  global
        .offset:         48
        .size:           8
        .value_kind:     global_buffer
      - .offset:         56
        .size:           4
        .value_kind:     by_value
      - .actual_access:  read_only
        .address_space:  global
        .offset:         64
        .size:           8
        .value_kind:     global_buffer
      - .offset:         72
        .size:           4
        .value_kind:     by_value
      - .offset:         76
        .size:           4
        .value_kind:     by_value
      - .offset:         80
        .size:           4
        .value_kind:     by_value
      - .actual_access:  read_only
        .address_space:  global
        .offset:         88
        .size:           8
        .value_kind:     global_buffer
      - .actual_access:  read_only
        .address_space:  global
        .offset:         96
        .size:           8
        .value_kind:     global_buffer
      - .actual_access:  read_only
        .address_space:  global
        .offset:         104
        .size:           8
        .value_kind:     global_buffer
      - .actual_access:  read_only
        .address_space:  global
        .offset:         112
        .size:           8
        .value_kind:     global_buffer
      - .offset:         120
        .size:           4
        .value_kind:     by_value
      - .address_space:  global
        .offset:         128
        .size:           8
        .value_kind:     global_buffer
      - .address_space:  global
        .offset:         136
        .size:           8
        .value_kind:     global_buffer
      - .offset:         144
        .size:           4
        .value_kind:     hidden_block_count_x
      - .offset:         148
        .size:           4
        .value_kind:     hidden_block_count_y
      - .offset:         152
        .size:           4
        .value_kind:     hidden_block_count_z
      - .offset:         156
        .size:           2
        .value_kind:     hidden_group_size_x
      - .offset:         158
        .size:           2
        .value_kind:     hidden_group_size_y
      - .offset:         160
        .size:           2
        .value_kind:     hidden_group_size_z
      - .offset:         162
        .size:           2
        .value_kind:     hidden_remainder_x
      - .offset:         164
        .size:           2
        .value_kind:     hidden_remainder_y
      - .offset:         166
        .size:           2
        .value_kind:     hidden_remainder_z
      - .offset:         184
        .size:           8
        .value_kind:     hidden_global_offset_x
      - .offset:         192
        .size:           8
        .value_kind:     hidden_global_offset_y
      - .offset:         200
        .size:           8
        .value_kind:     hidden_global_offset_z
      - .offset:         208
        .size:           2
        .value_kind:     hidden_grid_dims
      - .offset:         224
        .size:           8
        .value_kind:     hidden_hostcall_buffer
    .group_segment_fixed_size: 8192
    .kernarg_segment_align: 8
    .kernarg_segment_size: 400
    .language:       OpenCL C
    .language_version:
      - 2
      - 0
    .max_flat_workgroup_size: 256
    .name:           _Z39paged_attention_ll4mi_QKV_mfma16_kernelIDF16_hLN4vllm18Fp8KVCacheDataTypeE1EDF16_Li16ELi128ELi256ELb0ELi7EL8MFMAType1EEvPKT_PKT0_S8_ifPKiSA_SA_iPKfiiiPfSD_PS3_PT2_iSC_SC_
    .private_segment_fixed_size: 64
    .sgpr_count:     40
    .sgpr_spill_count: 0
    .symbol:         _Z39paged_attention_ll4mi_QKV_mfma16_kernelIDF16_hLN4vllm18Fp8KVCacheDataTypeE1EDF16_Li16ELi128ELi256ELb0ELi7EL8MFMAType1EEvPKT_PKT0_S8_ifPKiSA_SA_iPKfiiiPfSD_PS3_PT2_iSC_SC_.kd
    .uniform_work_group_size: 1
    .uses_dynamic_stack: false
    .vgpr_count:     45
    .vgpr_spill_count: 0
    .wavefront_size: 64
  - .agpr_count:     1
    .args:
      - .actual_access:  read_only
        .address_space:  global
        .offset:         0
        .size:           8
        .value_kind:     global_buffer
      - .actual_access:  read_only
        .address_space:  global
        .offset:         8
        .size:           8
        .value_kind:     global_buffer
      - .actual_access:  read_only
        .address_space:  global
        .offset:         16
        .size:           8
        .value_kind:     global_buffer
      - .offset:         24
        .size:           4
        .value_kind:     by_value
      - .offset:         28
        .size:           4
        .value_kind:     by_value
      - .actual_access:  read_only
        .address_space:  global
        .offset:         32
        .size:           8
        .value_kind:     global_buffer
      - .actual_access:  read_only
        .address_space:  global
        .offset:         40
        .size:           8
        .value_kind:     global_buffer
      - .actual_access:  read_only
        .address_space:  global
        .offset:         48
        .size:           8
        .value_kind:     global_buffer
      - .offset:         56
        .size:           4
        .value_kind:     by_value
      - .actual_access:  read_only
        .address_space:  global
        .offset:         64
        .size:           8
        .value_kind:     global_buffer
      - .offset:         72
        .size:           4
        .value_kind:     by_value
      - .offset:         76
        .size:           4
        .value_kind:     by_value
      - .offset:         80
        .size:           4
        .value_kind:     by_value
      - .actual_access:  read_only
        .address_space:  global
        .offset:         88
        .size:           8
        .value_kind:     global_buffer
      - .actual_access:  read_only
        .address_space:  global
        .offset:         96
        .size:           8
        .value_kind:     global_buffer
      - .actual_access:  read_only
        .address_space:  global
        .offset:         104
        .size:           8
        .value_kind:     global_buffer
      - .actual_access:  read_only
        .address_space:  global
        .offset:         112
        .size:           8
        .value_kind:     global_buffer
      - .offset:         120
        .size:           4
        .value_kind:     by_value
      - .address_space:  global
        .offset:         128
        .size:           8
        .value_kind:     global_buffer
      - .address_space:  global
        .offset:         136
        .size:           8
        .value_kind:     global_buffer
      - .offset:         144
        .size:           4
        .value_kind:     hidden_block_count_x
      - .offset:         148
        .size:           4
        .value_kind:     hidden_block_count_y
      - .offset:         152
        .size:           4
        .value_kind:     hidden_block_count_z
      - .offset:         156
        .size:           2
        .value_kind:     hidden_group_size_x
      - .offset:         158
        .size:           2
        .value_kind:     hidden_group_size_y
      - .offset:         160
        .size:           2
        .value_kind:     hidden_group_size_z
      - .offset:         162
        .size:           2
        .value_kind:     hidden_remainder_x
      - .offset:         164
        .size:           2
        .value_kind:     hidden_remainder_y
      - .offset:         166
        .size:           2
        .value_kind:     hidden_remainder_z
      - .offset:         184
        .size:           8
        .value_kind:     hidden_global_offset_x
      - .offset:         192
        .size:           8
        .value_kind:     hidden_global_offset_y
      - .offset:         200
        .size:           8
        .value_kind:     hidden_global_offset_z
      - .offset:         208
        .size:           2
        .value_kind:     hidden_grid_dims
      - .offset:         224
        .size:           8
        .value_kind:     hidden_hostcall_buffer
    .group_segment_fixed_size: 8192
    .kernarg_segment_align: 8
    .kernarg_segment_size: 400
    .language:       OpenCL C
    .language_version:
      - 2
      - 0
    .max_flat_workgroup_size: 256
    .name:           _Z39paged_attention_ll4mi_QKV_mfma16_kernelIDF16_hLN4vllm18Fp8KVCacheDataTypeE1EDF16_Li16ELi128ELi256ELb0ELi8EL8MFMAType1EEvPKT_PKT0_S8_ifPKiSA_SA_iPKfiiiPfSD_PS3_PT2_iSC_SC_
    .private_segment_fixed_size: 64
    .sgpr_count:     40
    .sgpr_spill_count: 0
    .symbol:         _Z39paged_attention_ll4mi_QKV_mfma16_kernelIDF16_hLN4vllm18Fp8KVCacheDataTypeE1EDF16_Li16ELi128ELi256ELb0ELi8EL8MFMAType1EEvPKT_PKT0_S8_ifPKiSA_SA_iPKfiiiPfSD_PS3_PT2_iSC_SC_.kd
    .uniform_work_group_size: 1
    .uses_dynamic_stack: false
    .vgpr_count:     45
    .vgpr_spill_count: 0
    .wavefront_size: 64
  - .agpr_count:     1
    .args:
      - .actual_access:  read_only
        .address_space:  global
        .offset:         0
        .size:           8
        .value_kind:     global_buffer
      - .actual_access:  read_only
        .address_space:  global
        .offset:         8
        .size:           8
        .value_kind:     global_buffer
      - .actual_access:  read_only
        .address_space:  global
        .offset:         16
        .size:           8
        .value_kind:     global_buffer
      - .offset:         24
        .size:           4
        .value_kind:     by_value
      - .offset:         28
        .size:           4
        .value_kind:     by_value
      - .actual_access:  read_only
        .address_space:  global
        .offset:         32
        .size:           8
        .value_kind:     global_buffer
      - .actual_access:  read_only
        .address_space:  global
        .offset:         40
        .size:           8
        .value_kind:     global_buffer
      - .actual_access:  read_only
        .address_space:  global
        .offset:         48
        .size:           8
        .value_kind:     global_buffer
      - .offset:         56
        .size:           4
        .value_kind:     by_value
      - .actual_access:  read_only
        .address_space:  global
        .offset:         64
        .size:           8
        .value_kind:     global_buffer
      - .offset:         72
        .size:           4
        .value_kind:     by_value
      - .offset:         76
        .size:           4
        .value_kind:     by_value
      - .offset:         80
        .size:           4
        .value_kind:     by_value
      - .actual_access:  read_only
        .address_space:  global
        .offset:         88
        .size:           8
        .value_kind:     global_buffer
      - .actual_access:  read_only
        .address_space:  global
        .offset:         96
        .size:           8
        .value_kind:     global_buffer
      - .actual_access:  read_only
        .address_space:  global
        .offset:         104
        .size:           8
        .value_kind:     global_buffer
      - .actual_access:  read_only
        .address_space:  global
        .offset:         112
        .size:           8
        .value_kind:     global_buffer
      - .offset:         120
        .size:           4
        .value_kind:     by_value
      - .address_space:  global
        .offset:         128
        .size:           8
        .value_kind:     global_buffer
      - .address_space:  global
        .offset:         136
        .size:           8
        .value_kind:     global_buffer
      - .offset:         144
        .size:           4
        .value_kind:     hidden_block_count_x
      - .offset:         148
        .size:           4
        .value_kind:     hidden_block_count_y
      - .offset:         152
        .size:           4
        .value_kind:     hidden_block_count_z
      - .offset:         156
        .size:           2
        .value_kind:     hidden_group_size_x
      - .offset:         158
        .size:           2
        .value_kind:     hidden_group_size_y
      - .offset:         160
        .size:           2
        .value_kind:     hidden_group_size_z
      - .offset:         162
        .size:           2
        .value_kind:     hidden_remainder_x
      - .offset:         164
        .size:           2
        .value_kind:     hidden_remainder_y
      - .offset:         166
        .size:           2
        .value_kind:     hidden_remainder_z
      - .offset:         184
        .size:           8
        .value_kind:     hidden_global_offset_x
      - .offset:         192
        .size:           8
        .value_kind:     hidden_global_offset_y
      - .offset:         200
        .size:           8
        .value_kind:     hidden_global_offset_z
      - .offset:         208
        .size:           2
        .value_kind:     hidden_grid_dims
      - .offset:         224
        .size:           8
        .value_kind:     hidden_hostcall_buffer
    .group_segment_fixed_size: 8192
    .kernarg_segment_align: 8
    .kernarg_segment_size: 400
    .language:       OpenCL C
    .language_version:
      - 2
      - 0
    .max_flat_workgroup_size: 256
    .name:           _Z39paged_attention_ll4mi_QKV_mfma16_kernelIDF16_hLN4vllm18Fp8KVCacheDataTypeE1EDF16_Li16ELi128ELi256ELb0ELi9EL8MFMAType1EEvPKT_PKT0_S8_ifPKiSA_SA_iPKfiiiPfSD_PS3_PT2_iSC_SC_
    .private_segment_fixed_size: 64
    .sgpr_count:     40
    .sgpr_spill_count: 0
    .symbol:         _Z39paged_attention_ll4mi_QKV_mfma16_kernelIDF16_hLN4vllm18Fp8KVCacheDataTypeE1EDF16_Li16ELi128ELi256ELb0ELi9EL8MFMAType1EEvPKT_PKT0_S8_ifPKiSA_SA_iPKfiiiPfSD_PS3_PT2_iSC_SC_.kd
    .uniform_work_group_size: 1
    .uses_dynamic_stack: false
    .vgpr_count:     45
    .vgpr_spill_count: 0
    .wavefront_size: 64
  - .agpr_count:     1
    .args:
      - .actual_access:  read_only
        .address_space:  global
        .offset:         0
        .size:           8
        .value_kind:     global_buffer
      - .actual_access:  read_only
        .address_space:  global
        .offset:         8
        .size:           8
        .value_kind:     global_buffer
      - .actual_access:  read_only
        .address_space:  global
        .offset:         16
        .size:           8
        .value_kind:     global_buffer
      - .offset:         24
        .size:           4
        .value_kind:     by_value
      - .offset:         28
        .size:           4
        .value_kind:     by_value
      - .actual_access:  read_only
        .address_space:  global
        .offset:         32
        .size:           8
        .value_kind:     global_buffer
      - .actual_access:  read_only
        .address_space:  global
        .offset:         40
        .size:           8
        .value_kind:     global_buffer
      - .actual_access:  read_only
        .address_space:  global
        .offset:         48
        .size:           8
        .value_kind:     global_buffer
      - .offset:         56
        .size:           4
        .value_kind:     by_value
      - .actual_access:  read_only
        .address_space:  global
        .offset:         64
        .size:           8
        .value_kind:     global_buffer
      - .offset:         72
        .size:           4
        .value_kind:     by_value
      - .offset:         76
        .size:           4
        .value_kind:     by_value
      - .offset:         80
        .size:           4
        .value_kind:     by_value
      - .actual_access:  read_only
        .address_space:  global
        .offset:         88
        .size:           8
        .value_kind:     global_buffer
      - .actual_access:  read_only
        .address_space:  global
        .offset:         96
        .size:           8
        .value_kind:     global_buffer
      - .actual_access:  read_only
        .address_space:  global
        .offset:         104
        .size:           8
        .value_kind:     global_buffer
      - .actual_access:  read_only
        .address_space:  global
        .offset:         112
        .size:           8
        .value_kind:     global_buffer
      - .offset:         120
        .size:           4
        .value_kind:     by_value
      - .address_space:  global
        .offset:         128
        .size:           8
        .value_kind:     global_buffer
      - .address_space:  global
        .offset:         136
        .size:           8
        .value_kind:     global_buffer
      - .offset:         144
        .size:           4
        .value_kind:     hidden_block_count_x
      - .offset:         148
        .size:           4
        .value_kind:     hidden_block_count_y
      - .offset:         152
        .size:           4
        .value_kind:     hidden_block_count_z
      - .offset:         156
        .size:           2
        .value_kind:     hidden_group_size_x
      - .offset:         158
        .size:           2
        .value_kind:     hidden_group_size_y
      - .offset:         160
        .size:           2
        .value_kind:     hidden_group_size_z
      - .offset:         162
        .size:           2
        .value_kind:     hidden_remainder_x
      - .offset:         164
        .size:           2
        .value_kind:     hidden_remainder_y
      - .offset:         166
        .size:           2
        .value_kind:     hidden_remainder_z
      - .offset:         184
        .size:           8
        .value_kind:     hidden_global_offset_x
      - .offset:         192
        .size:           8
        .value_kind:     hidden_global_offset_y
      - .offset:         200
        .size:           8
        .value_kind:     hidden_global_offset_z
      - .offset:         208
        .size:           2
        .value_kind:     hidden_grid_dims
      - .offset:         224
        .size:           8
        .value_kind:     hidden_hostcall_buffer
    .group_segment_fixed_size: 8192
    .kernarg_segment_align: 8
    .kernarg_segment_size: 400
    .language:       OpenCL C
    .language_version:
      - 2
      - 0
    .max_flat_workgroup_size: 256
    .name:           _Z39paged_attention_ll4mi_QKV_mfma16_kernelIDF16_hLN4vllm18Fp8KVCacheDataTypeE1EDF16_Li16ELi128ELi256ELb0ELi10EL8MFMAType1EEvPKT_PKT0_S8_ifPKiSA_SA_iPKfiiiPfSD_PS3_PT2_iSC_SC_
    .private_segment_fixed_size: 64
    .sgpr_count:     40
    .sgpr_spill_count: 0
    .symbol:         _Z39paged_attention_ll4mi_QKV_mfma16_kernelIDF16_hLN4vllm18Fp8KVCacheDataTypeE1EDF16_Li16ELi128ELi256ELb0ELi10EL8MFMAType1EEvPKT_PKT0_S8_ifPKiSA_SA_iPKfiiiPfSD_PS3_PT2_iSC_SC_.kd
    .uniform_work_group_size: 1
    .uses_dynamic_stack: false
    .vgpr_count:     45
    .vgpr_spill_count: 0
    .wavefront_size: 64
  - .agpr_count:     1
    .args:
      - .actual_access:  read_only
        .address_space:  global
        .offset:         0
        .size:           8
        .value_kind:     global_buffer
      - .actual_access:  read_only
        .address_space:  global
        .offset:         8
        .size:           8
        .value_kind:     global_buffer
      - .actual_access:  read_only
        .address_space:  global
        .offset:         16
        .size:           8
        .value_kind:     global_buffer
      - .offset:         24
        .size:           4
        .value_kind:     by_value
      - .offset:         28
        .size:           4
        .value_kind:     by_value
      - .actual_access:  read_only
        .address_space:  global
        .offset:         32
        .size:           8
        .value_kind:     global_buffer
      - .actual_access:  read_only
        .address_space:  global
        .offset:         40
        .size:           8
        .value_kind:     global_buffer
      - .actual_access:  read_only
        .address_space:  global
        .offset:         48
        .size:           8
        .value_kind:     global_buffer
      - .offset:         56
        .size:           4
        .value_kind:     by_value
      - .actual_access:  read_only
        .address_space:  global
        .offset:         64
        .size:           8
        .value_kind:     global_buffer
      - .offset:         72
        .size:           4
        .value_kind:     by_value
      - .offset:         76
        .size:           4
        .value_kind:     by_value
      - .offset:         80
        .size:           4
        .value_kind:     by_value
      - .actual_access:  read_only
        .address_space:  global
        .offset:         88
        .size:           8
        .value_kind:     global_buffer
      - .actual_access:  read_only
        .address_space:  global
        .offset:         96
        .size:           8
        .value_kind:     global_buffer
      - .actual_access:  read_only
        .address_space:  global
        .offset:         104
        .size:           8
        .value_kind:     global_buffer
      - .actual_access:  read_only
        .address_space:  global
        .offset:         112
        .size:           8
        .value_kind:     global_buffer
      - .offset:         120
        .size:           4
        .value_kind:     by_value
      - .address_space:  global
        .offset:         128
        .size:           8
        .value_kind:     global_buffer
      - .address_space:  global
        .offset:         136
        .size:           8
        .value_kind:     global_buffer
      - .offset:         144
        .size:           4
        .value_kind:     hidden_block_count_x
      - .offset:         148
        .size:           4
        .value_kind:     hidden_block_count_y
      - .offset:         152
        .size:           4
        .value_kind:     hidden_block_count_z
      - .offset:         156
        .size:           2
        .value_kind:     hidden_group_size_x
      - .offset:         158
        .size:           2
        .value_kind:     hidden_group_size_y
      - .offset:         160
        .size:           2
        .value_kind:     hidden_group_size_z
      - .offset:         162
        .size:           2
        .value_kind:     hidden_remainder_x
      - .offset:         164
        .size:           2
        .value_kind:     hidden_remainder_y
      - .offset:         166
        .size:           2
        .value_kind:     hidden_remainder_z
      - .offset:         184
        .size:           8
        .value_kind:     hidden_global_offset_x
      - .offset:         192
        .size:           8
        .value_kind:     hidden_global_offset_y
      - .offset:         200
        .size:           8
        .value_kind:     hidden_global_offset_z
      - .offset:         208
        .size:           2
        .value_kind:     hidden_grid_dims
      - .offset:         224
        .size:           8
        .value_kind:     hidden_hostcall_buffer
    .group_segment_fixed_size: 8192
    .kernarg_segment_align: 8
    .kernarg_segment_size: 400
    .language:       OpenCL C
    .language_version:
      - 2
      - 0
    .max_flat_workgroup_size: 256
    .name:           _Z39paged_attention_ll4mi_QKV_mfma16_kernelIDF16_hLN4vllm18Fp8KVCacheDataTypeE1EDF16_Li16ELi128ELi256ELb0ELi11EL8MFMAType1EEvPKT_PKT0_S8_ifPKiSA_SA_iPKfiiiPfSD_PS3_PT2_iSC_SC_
    .private_segment_fixed_size: 64
    .sgpr_count:     40
    .sgpr_spill_count: 0
    .symbol:         _Z39paged_attention_ll4mi_QKV_mfma16_kernelIDF16_hLN4vllm18Fp8KVCacheDataTypeE1EDF16_Li16ELi128ELi256ELb0ELi11EL8MFMAType1EEvPKT_PKT0_S8_ifPKiSA_SA_iPKfiiiPfSD_PS3_PT2_iSC_SC_.kd
    .uniform_work_group_size: 1
    .uses_dynamic_stack: false
    .vgpr_count:     45
    .vgpr_spill_count: 0
    .wavefront_size: 64
  - .agpr_count:     1
    .args:
      - .actual_access:  read_only
        .address_space:  global
        .offset:         0
        .size:           8
        .value_kind:     global_buffer
      - .actual_access:  read_only
        .address_space:  global
        .offset:         8
        .size:           8
        .value_kind:     global_buffer
      - .actual_access:  read_only
        .address_space:  global
        .offset:         16
        .size:           8
        .value_kind:     global_buffer
      - .offset:         24
        .size:           4
        .value_kind:     by_value
      - .offset:         28
        .size:           4
        .value_kind:     by_value
      - .actual_access:  read_only
        .address_space:  global
        .offset:         32
        .size:           8
        .value_kind:     global_buffer
      - .actual_access:  read_only
        .address_space:  global
        .offset:         40
        .size:           8
        .value_kind:     global_buffer
      - .actual_access:  read_only
        .address_space:  global
        .offset:         48
        .size:           8
        .value_kind:     global_buffer
      - .offset:         56
        .size:           4
        .value_kind:     by_value
      - .actual_access:  read_only
        .address_space:  global
        .offset:         64
        .size:           8
        .value_kind:     global_buffer
      - .offset:         72
        .size:           4
        .value_kind:     by_value
      - .offset:         76
        .size:           4
        .value_kind:     by_value
      - .offset:         80
        .size:           4
        .value_kind:     by_value
      - .actual_access:  read_only
        .address_space:  global
        .offset:         88
        .size:           8
        .value_kind:     global_buffer
      - .actual_access:  read_only
        .address_space:  global
        .offset:         96
        .size:           8
        .value_kind:     global_buffer
      - .actual_access:  read_only
        .address_space:  global
        .offset:         104
        .size:           8
        .value_kind:     global_buffer
      - .actual_access:  read_only
        .address_space:  global
        .offset:         112
        .size:           8
        .value_kind:     global_buffer
      - .offset:         120
        .size:           4
        .value_kind:     by_value
      - .address_space:  global
        .offset:         128
        .size:           8
        .value_kind:     global_buffer
      - .address_space:  global
        .offset:         136
        .size:           8
        .value_kind:     global_buffer
      - .offset:         144
        .size:           4
        .value_kind:     hidden_block_count_x
      - .offset:         148
        .size:           4
        .value_kind:     hidden_block_count_y
      - .offset:         152
        .size:           4
        .value_kind:     hidden_block_count_z
      - .offset:         156
        .size:           2
        .value_kind:     hidden_group_size_x
      - .offset:         158
        .size:           2
        .value_kind:     hidden_group_size_y
      - .offset:         160
        .size:           2
        .value_kind:     hidden_group_size_z
      - .offset:         162
        .size:           2
        .value_kind:     hidden_remainder_x
      - .offset:         164
        .size:           2
        .value_kind:     hidden_remainder_y
      - .offset:         166
        .size:           2
        .value_kind:     hidden_remainder_z
      - .offset:         184
        .size:           8
        .value_kind:     hidden_global_offset_x
      - .offset:         192
        .size:           8
        .value_kind:     hidden_global_offset_y
      - .offset:         200
        .size:           8
        .value_kind:     hidden_global_offset_z
      - .offset:         208
        .size:           2
        .value_kind:     hidden_grid_dims
      - .offset:         224
        .size:           8
        .value_kind:     hidden_hostcall_buffer
    .group_segment_fixed_size: 8192
    .kernarg_segment_align: 8
    .kernarg_segment_size: 400
    .language:       OpenCL C
    .language_version:
      - 2
      - 0
    .max_flat_workgroup_size: 256
    .name:           _Z39paged_attention_ll4mi_QKV_mfma16_kernelIDF16_hLN4vllm18Fp8KVCacheDataTypeE1EDF16_Li16ELi128ELi256ELb0ELi12EL8MFMAType1EEvPKT_PKT0_S8_ifPKiSA_SA_iPKfiiiPfSD_PS3_PT2_iSC_SC_
    .private_segment_fixed_size: 64
    .sgpr_count:     40
    .sgpr_spill_count: 0
    .symbol:         _Z39paged_attention_ll4mi_QKV_mfma16_kernelIDF16_hLN4vllm18Fp8KVCacheDataTypeE1EDF16_Li16ELi128ELi256ELb0ELi12EL8MFMAType1EEvPKT_PKT0_S8_ifPKiSA_SA_iPKfiiiPfSD_PS3_PT2_iSC_SC_.kd
    .uniform_work_group_size: 1
    .uses_dynamic_stack: false
    .vgpr_count:     45
    .vgpr_spill_count: 0
    .wavefront_size: 64
  - .agpr_count:     1
    .args:
      - .actual_access:  read_only
        .address_space:  global
        .offset:         0
        .size:           8
        .value_kind:     global_buffer
      - .actual_access:  read_only
        .address_space:  global
        .offset:         8
        .size:           8
        .value_kind:     global_buffer
      - .actual_access:  read_only
        .address_space:  global
        .offset:         16
        .size:           8
        .value_kind:     global_buffer
      - .offset:         24
        .size:           4
        .value_kind:     by_value
      - .offset:         28
        .size:           4
        .value_kind:     by_value
      - .actual_access:  read_only
        .address_space:  global
        .offset:         32
        .size:           8
        .value_kind:     global_buffer
      - .actual_access:  read_only
        .address_space:  global
        .offset:         40
        .size:           8
        .value_kind:     global_buffer
      - .actual_access:  read_only
        .address_space:  global
        .offset:         48
        .size:           8
        .value_kind:     global_buffer
      - .offset:         56
        .size:           4
        .value_kind:     by_value
      - .actual_access:  read_only
        .address_space:  global
        .offset:         64
        .size:           8
        .value_kind:     global_buffer
      - .offset:         72
        .size:           4
        .value_kind:     by_value
      - .offset:         76
        .size:           4
        .value_kind:     by_value
      - .offset:         80
        .size:           4
        .value_kind:     by_value
      - .actual_access:  read_only
        .address_space:  global
        .offset:         88
        .size:           8
        .value_kind:     global_buffer
      - .actual_access:  read_only
        .address_space:  global
        .offset:         96
        .size:           8
        .value_kind:     global_buffer
      - .actual_access:  read_only
        .address_space:  global
        .offset:         104
        .size:           8
        .value_kind:     global_buffer
      - .actual_access:  read_only
        .address_space:  global
        .offset:         112
        .size:           8
        .value_kind:     global_buffer
      - .offset:         120
        .size:           4
        .value_kind:     by_value
      - .address_space:  global
        .offset:         128
        .size:           8
        .value_kind:     global_buffer
      - .address_space:  global
        .offset:         136
        .size:           8
        .value_kind:     global_buffer
      - .offset:         144
        .size:           4
        .value_kind:     hidden_block_count_x
      - .offset:         148
        .size:           4
        .value_kind:     hidden_block_count_y
      - .offset:         152
        .size:           4
        .value_kind:     hidden_block_count_z
      - .offset:         156
        .size:           2
        .value_kind:     hidden_group_size_x
      - .offset:         158
        .size:           2
        .value_kind:     hidden_group_size_y
      - .offset:         160
        .size:           2
        .value_kind:     hidden_group_size_z
      - .offset:         162
        .size:           2
        .value_kind:     hidden_remainder_x
      - .offset:         164
        .size:           2
        .value_kind:     hidden_remainder_y
      - .offset:         166
        .size:           2
        .value_kind:     hidden_remainder_z
      - .offset:         184
        .size:           8
        .value_kind:     hidden_global_offset_x
      - .offset:         192
        .size:           8
        .value_kind:     hidden_global_offset_y
      - .offset:         200
        .size:           8
        .value_kind:     hidden_global_offset_z
      - .offset:         208
        .size:           2
        .value_kind:     hidden_grid_dims
      - .offset:         224
        .size:           8
        .value_kind:     hidden_hostcall_buffer
    .group_segment_fixed_size: 8192
    .kernarg_segment_align: 8
    .kernarg_segment_size: 400
    .language:       OpenCL C
    .language_version:
      - 2
      - 0
    .max_flat_workgroup_size: 256
    .name:           _Z39paged_attention_ll4mi_QKV_mfma16_kernelIDF16_hLN4vllm18Fp8KVCacheDataTypeE1EDF16_Li16ELi128ELi256ELb0ELi13EL8MFMAType1EEvPKT_PKT0_S8_ifPKiSA_SA_iPKfiiiPfSD_PS3_PT2_iSC_SC_
    .private_segment_fixed_size: 64
    .sgpr_count:     40
    .sgpr_spill_count: 0
    .symbol:         _Z39paged_attention_ll4mi_QKV_mfma16_kernelIDF16_hLN4vllm18Fp8KVCacheDataTypeE1EDF16_Li16ELi128ELi256ELb0ELi13EL8MFMAType1EEvPKT_PKT0_S8_ifPKiSA_SA_iPKfiiiPfSD_PS3_PT2_iSC_SC_.kd
    .uniform_work_group_size: 1
    .uses_dynamic_stack: false
    .vgpr_count:     45
    .vgpr_spill_count: 0
    .wavefront_size: 64
  - .agpr_count:     1
    .args:
      - .actual_access:  read_only
        .address_space:  global
        .offset:         0
        .size:           8
        .value_kind:     global_buffer
      - .actual_access:  read_only
        .address_space:  global
        .offset:         8
        .size:           8
        .value_kind:     global_buffer
      - .actual_access:  read_only
        .address_space:  global
        .offset:         16
        .size:           8
        .value_kind:     global_buffer
      - .offset:         24
        .size:           4
        .value_kind:     by_value
      - .offset:         28
        .size:           4
        .value_kind:     by_value
      - .actual_access:  read_only
        .address_space:  global
        .offset:         32
        .size:           8
        .value_kind:     global_buffer
      - .actual_access:  read_only
        .address_space:  global
        .offset:         40
        .size:           8
        .value_kind:     global_buffer
      - .actual_access:  read_only
        .address_space:  global
        .offset:         48
        .size:           8
        .value_kind:     global_buffer
      - .offset:         56
        .size:           4
        .value_kind:     by_value
      - .actual_access:  read_only
        .address_space:  global
        .offset:         64
        .size:           8
        .value_kind:     global_buffer
      - .offset:         72
        .size:           4
        .value_kind:     by_value
      - .offset:         76
        .size:           4
        .value_kind:     by_value
      - .offset:         80
        .size:           4
        .value_kind:     by_value
      - .actual_access:  read_only
        .address_space:  global
        .offset:         88
        .size:           8
        .value_kind:     global_buffer
      - .actual_access:  read_only
        .address_space:  global
        .offset:         96
        .size:           8
        .value_kind:     global_buffer
      - .actual_access:  read_only
        .address_space:  global
        .offset:         104
        .size:           8
        .value_kind:     global_buffer
      - .actual_access:  read_only
        .address_space:  global
        .offset:         112
        .size:           8
        .value_kind:     global_buffer
      - .offset:         120
        .size:           4
        .value_kind:     by_value
      - .address_space:  global
        .offset:         128
        .size:           8
        .value_kind:     global_buffer
      - .address_space:  global
        .offset:         136
        .size:           8
        .value_kind:     global_buffer
      - .offset:         144
        .size:           4
        .value_kind:     hidden_block_count_x
      - .offset:         148
        .size:           4
        .value_kind:     hidden_block_count_y
      - .offset:         152
        .size:           4
        .value_kind:     hidden_block_count_z
      - .offset:         156
        .size:           2
        .value_kind:     hidden_group_size_x
      - .offset:         158
        .size:           2
        .value_kind:     hidden_group_size_y
      - .offset:         160
        .size:           2
        .value_kind:     hidden_group_size_z
      - .offset:         162
        .size:           2
        .value_kind:     hidden_remainder_x
      - .offset:         164
        .size:           2
        .value_kind:     hidden_remainder_y
      - .offset:         166
        .size:           2
        .value_kind:     hidden_remainder_z
      - .offset:         184
        .size:           8
        .value_kind:     hidden_global_offset_x
      - .offset:         192
        .size:           8
        .value_kind:     hidden_global_offset_y
      - .offset:         200
        .size:           8
        .value_kind:     hidden_global_offset_z
      - .offset:         208
        .size:           2
        .value_kind:     hidden_grid_dims
      - .offset:         224
        .size:           8
        .value_kind:     hidden_hostcall_buffer
    .group_segment_fixed_size: 8192
    .kernarg_segment_align: 8
    .kernarg_segment_size: 400
    .language:       OpenCL C
    .language_version:
      - 2
      - 0
    .max_flat_workgroup_size: 256
    .name:           _Z39paged_attention_ll4mi_QKV_mfma16_kernelIDF16_hLN4vllm18Fp8KVCacheDataTypeE1EDF16_Li16ELi128ELi256ELb0ELi14EL8MFMAType1EEvPKT_PKT0_S8_ifPKiSA_SA_iPKfiiiPfSD_PS3_PT2_iSC_SC_
    .private_segment_fixed_size: 64
    .sgpr_count:     40
    .sgpr_spill_count: 0
    .symbol:         _Z39paged_attention_ll4mi_QKV_mfma16_kernelIDF16_hLN4vllm18Fp8KVCacheDataTypeE1EDF16_Li16ELi128ELi256ELb0ELi14EL8MFMAType1EEvPKT_PKT0_S8_ifPKiSA_SA_iPKfiiiPfSD_PS3_PT2_iSC_SC_.kd
    .uniform_work_group_size: 1
    .uses_dynamic_stack: false
    .vgpr_count:     45
    .vgpr_spill_count: 0
    .wavefront_size: 64
  - .agpr_count:     1
    .args:
      - .actual_access:  read_only
        .address_space:  global
        .offset:         0
        .size:           8
        .value_kind:     global_buffer
      - .actual_access:  read_only
        .address_space:  global
        .offset:         8
        .size:           8
        .value_kind:     global_buffer
      - .actual_access:  read_only
        .address_space:  global
        .offset:         16
        .size:           8
        .value_kind:     global_buffer
      - .offset:         24
        .size:           4
        .value_kind:     by_value
      - .offset:         28
        .size:           4
        .value_kind:     by_value
      - .actual_access:  read_only
        .address_space:  global
        .offset:         32
        .size:           8
        .value_kind:     global_buffer
      - .actual_access:  read_only
        .address_space:  global
        .offset:         40
        .size:           8
        .value_kind:     global_buffer
      - .actual_access:  read_only
        .address_space:  global
        .offset:         48
        .size:           8
        .value_kind:     global_buffer
      - .offset:         56
        .size:           4
        .value_kind:     by_value
      - .actual_access:  read_only
        .address_space:  global
        .offset:         64
        .size:           8
        .value_kind:     global_buffer
      - .offset:         72
        .size:           4
        .value_kind:     by_value
      - .offset:         76
        .size:           4
        .value_kind:     by_value
      - .offset:         80
        .size:           4
        .value_kind:     by_value
      - .actual_access:  read_only
        .address_space:  global
        .offset:         88
        .size:           8
        .value_kind:     global_buffer
      - .actual_access:  read_only
        .address_space:  global
        .offset:         96
        .size:           8
        .value_kind:     global_buffer
      - .actual_access:  read_only
        .address_space:  global
        .offset:         104
        .size:           8
        .value_kind:     global_buffer
      - .actual_access:  read_only
        .address_space:  global
        .offset:         112
        .size:           8
        .value_kind:     global_buffer
      - .offset:         120
        .size:           4
        .value_kind:     by_value
      - .address_space:  global
        .offset:         128
        .size:           8
        .value_kind:     global_buffer
      - .address_space:  global
        .offset:         136
        .size:           8
        .value_kind:     global_buffer
      - .offset:         144
        .size:           4
        .value_kind:     hidden_block_count_x
      - .offset:         148
        .size:           4
        .value_kind:     hidden_block_count_y
      - .offset:         152
        .size:           4
        .value_kind:     hidden_block_count_z
      - .offset:         156
        .size:           2
        .value_kind:     hidden_group_size_x
      - .offset:         158
        .size:           2
        .value_kind:     hidden_group_size_y
      - .offset:         160
        .size:           2
        .value_kind:     hidden_group_size_z
      - .offset:         162
        .size:           2
        .value_kind:     hidden_remainder_x
      - .offset:         164
        .size:           2
        .value_kind:     hidden_remainder_y
      - .offset:         166
        .size:           2
        .value_kind:     hidden_remainder_z
      - .offset:         184
        .size:           8
        .value_kind:     hidden_global_offset_x
      - .offset:         192
        .size:           8
        .value_kind:     hidden_global_offset_y
      - .offset:         200
        .size:           8
        .value_kind:     hidden_global_offset_z
      - .offset:         208
        .size:           2
        .value_kind:     hidden_grid_dims
      - .offset:         224
        .size:           8
        .value_kind:     hidden_hostcall_buffer
    .group_segment_fixed_size: 8192
    .kernarg_segment_align: 8
    .kernarg_segment_size: 400
    .language:       OpenCL C
    .language_version:
      - 2
      - 0
    .max_flat_workgroup_size: 256
    .name:           _Z39paged_attention_ll4mi_QKV_mfma16_kernelIDF16_hLN4vllm18Fp8KVCacheDataTypeE1EDF16_Li16ELi128ELi256ELb0ELi15EL8MFMAType1EEvPKT_PKT0_S8_ifPKiSA_SA_iPKfiiiPfSD_PS3_PT2_iSC_SC_
    .private_segment_fixed_size: 64
    .sgpr_count:     40
    .sgpr_spill_count: 0
    .symbol:         _Z39paged_attention_ll4mi_QKV_mfma16_kernelIDF16_hLN4vllm18Fp8KVCacheDataTypeE1EDF16_Li16ELi128ELi256ELb0ELi15EL8MFMAType1EEvPKT_PKT0_S8_ifPKiSA_SA_iPKfiiiPfSD_PS3_PT2_iSC_SC_.kd
    .uniform_work_group_size: 1
    .uses_dynamic_stack: false
    .vgpr_count:     45
    .vgpr_spill_count: 0
    .wavefront_size: 64
  - .agpr_count:     1
    .args:
      - .actual_access:  read_only
        .address_space:  global
        .offset:         0
        .size:           8
        .value_kind:     global_buffer
      - .actual_access:  read_only
        .address_space:  global
        .offset:         8
        .size:           8
        .value_kind:     global_buffer
      - .actual_access:  read_only
        .address_space:  global
        .offset:         16
        .size:           8
        .value_kind:     global_buffer
      - .offset:         24
        .size:           4
        .value_kind:     by_value
      - .offset:         28
        .size:           4
        .value_kind:     by_value
      - .actual_access:  read_only
        .address_space:  global
        .offset:         32
        .size:           8
        .value_kind:     global_buffer
      - .actual_access:  read_only
        .address_space:  global
        .offset:         40
        .size:           8
        .value_kind:     global_buffer
      - .actual_access:  read_only
        .address_space:  global
        .offset:         48
        .size:           8
        .value_kind:     global_buffer
      - .offset:         56
        .size:           4
        .value_kind:     by_value
      - .actual_access:  read_only
        .address_space:  global
        .offset:         64
        .size:           8
        .value_kind:     global_buffer
      - .offset:         72
        .size:           4
        .value_kind:     by_value
      - .offset:         76
        .size:           4
        .value_kind:     by_value
      - .offset:         80
        .size:           4
        .value_kind:     by_value
      - .actual_access:  read_only
        .address_space:  global
        .offset:         88
        .size:           8
        .value_kind:     global_buffer
      - .actual_access:  read_only
        .address_space:  global
        .offset:         96
        .size:           8
        .value_kind:     global_buffer
      - .actual_access:  read_only
        .address_space:  global
        .offset:         104
        .size:           8
        .value_kind:     global_buffer
      - .actual_access:  read_only
        .address_space:  global
        .offset:         112
        .size:           8
        .value_kind:     global_buffer
      - .offset:         120
        .size:           4
        .value_kind:     by_value
      - .address_space:  global
        .offset:         128
        .size:           8
        .value_kind:     global_buffer
      - .address_space:  global
        .offset:         136
        .size:           8
        .value_kind:     global_buffer
      - .offset:         144
        .size:           4
        .value_kind:     hidden_block_count_x
      - .offset:         148
        .size:           4
        .value_kind:     hidden_block_count_y
      - .offset:         152
        .size:           4
        .value_kind:     hidden_block_count_z
      - .offset:         156
        .size:           2
        .value_kind:     hidden_group_size_x
      - .offset:         158
        .size:           2
        .value_kind:     hidden_group_size_y
      - .offset:         160
        .size:           2
        .value_kind:     hidden_group_size_z
      - .offset:         162
        .size:           2
        .value_kind:     hidden_remainder_x
      - .offset:         164
        .size:           2
        .value_kind:     hidden_remainder_y
      - .offset:         166
        .size:           2
        .value_kind:     hidden_remainder_z
      - .offset:         184
        .size:           8
        .value_kind:     hidden_global_offset_x
      - .offset:         192
        .size:           8
        .value_kind:     hidden_global_offset_y
      - .offset:         200
        .size:           8
        .value_kind:     hidden_global_offset_z
      - .offset:         208
        .size:           2
        .value_kind:     hidden_grid_dims
      - .offset:         224
        .size:           8
        .value_kind:     hidden_hostcall_buffer
    .group_segment_fixed_size: 8192
    .kernarg_segment_align: 8
    .kernarg_segment_size: 400
    .language:       OpenCL C
    .language_version:
      - 2
      - 0
    .max_flat_workgroup_size: 256
    .name:           _Z39paged_attention_ll4mi_QKV_mfma16_kernelIDF16_hLN4vllm18Fp8KVCacheDataTypeE1EDF16_Li16ELi128ELi256ELb0ELi16EL8MFMAType1EEvPKT_PKT0_S8_ifPKiSA_SA_iPKfiiiPfSD_PS3_PT2_iSC_SC_
    .private_segment_fixed_size: 64
    .sgpr_count:     40
    .sgpr_spill_count: 0
    .symbol:         _Z39paged_attention_ll4mi_QKV_mfma16_kernelIDF16_hLN4vllm18Fp8KVCacheDataTypeE1EDF16_Li16ELi128ELi256ELb0ELi16EL8MFMAType1EEvPKT_PKT0_S8_ifPKiSA_SA_iPKfiiiPfSD_PS3_PT2_iSC_SC_.kd
    .uniform_work_group_size: 1
    .uses_dynamic_stack: false
    .vgpr_count:     45
    .vgpr_spill_count: 0
    .wavefront_size: 64
  - .agpr_count:     1
    .args:
      - .actual_access:  read_only
        .address_space:  global
        .offset:         0
        .size:           8
        .value_kind:     global_buffer
      - .actual_access:  read_only
        .address_space:  global
        .offset:         8
        .size:           8
        .value_kind:     global_buffer
      - .actual_access:  read_only
        .address_space:  global
        .offset:         16
        .size:           8
        .value_kind:     global_buffer
      - .offset:         24
        .size:           4
        .value_kind:     by_value
      - .offset:         28
        .size:           4
        .value_kind:     by_value
      - .actual_access:  read_only
        .address_space:  global
        .offset:         32
        .size:           8
        .value_kind:     global_buffer
      - .actual_access:  read_only
        .address_space:  global
        .offset:         40
        .size:           8
        .value_kind:     global_buffer
      - .actual_access:  read_only
        .address_space:  global
        .offset:         48
        .size:           8
        .value_kind:     global_buffer
      - .offset:         56
        .size:           4
        .value_kind:     by_value
      - .actual_access:  read_only
        .address_space:  global
        .offset:         64
        .size:           8
        .value_kind:     global_buffer
      - .offset:         72
        .size:           4
        .value_kind:     by_value
      - .offset:         76
        .size:           4
        .value_kind:     by_value
      - .offset:         80
        .size:           4
        .value_kind:     by_value
      - .actual_access:  read_only
        .address_space:  global
        .offset:         88
        .size:           8
        .value_kind:     global_buffer
      - .actual_access:  read_only
        .address_space:  global
        .offset:         96
        .size:           8
        .value_kind:     global_buffer
      - .actual_access:  read_only
        .address_space:  global
        .offset:         104
        .size:           8
        .value_kind:     global_buffer
      - .actual_access:  read_only
        .address_space:  global
        .offset:         112
        .size:           8
        .value_kind:     global_buffer
      - .offset:         120
        .size:           4
        .value_kind:     by_value
      - .address_space:  global
        .offset:         128
        .size:           8
        .value_kind:     global_buffer
      - .address_space:  global
        .offset:         136
        .size:           8
        .value_kind:     global_buffer
      - .offset:         144
        .size:           4
        .value_kind:     hidden_block_count_x
      - .offset:         148
        .size:           4
        .value_kind:     hidden_block_count_y
      - .offset:         152
        .size:           4
        .value_kind:     hidden_block_count_z
      - .offset:         156
        .size:           2
        .value_kind:     hidden_group_size_x
      - .offset:         158
        .size:           2
        .value_kind:     hidden_group_size_y
      - .offset:         160
        .size:           2
        .value_kind:     hidden_group_size_z
      - .offset:         162
        .size:           2
        .value_kind:     hidden_remainder_x
      - .offset:         164
        .size:           2
        .value_kind:     hidden_remainder_y
      - .offset:         166
        .size:           2
        .value_kind:     hidden_remainder_z
      - .offset:         184
        .size:           8
        .value_kind:     hidden_global_offset_x
      - .offset:         192
        .size:           8
        .value_kind:     hidden_global_offset_y
      - .offset:         200
        .size:           8
        .value_kind:     hidden_global_offset_z
      - .offset:         208
        .size:           2
        .value_kind:     hidden_grid_dims
      - .offset:         224
        .size:           8
        .value_kind:     hidden_hostcall_buffer
    .group_segment_fixed_size: 8192
    .kernarg_segment_align: 8
    .kernarg_segment_size: 400
    .language:       OpenCL C
    .language_version:
      - 2
      - 0
    .max_flat_workgroup_size: 256
    .name:           _Z39paged_attention_ll4mi_QKV_mfma16_kernelIDF16_hLN4vllm18Fp8KVCacheDataTypeE1EDF16_Li16ELi128ELi256ELb0ELi1EL8MFMAType1EEvPKT_PKT0_S8_ifPKiSA_SA_iPKfiiiPfSD_PS3_PT2_iSC_SC_
    .private_segment_fixed_size: 64
    .sgpr_count:     40
    .sgpr_spill_count: 0
    .symbol:         _Z39paged_attention_ll4mi_QKV_mfma16_kernelIDF16_hLN4vllm18Fp8KVCacheDataTypeE1EDF16_Li16ELi128ELi256ELb0ELi1EL8MFMAType1EEvPKT_PKT0_S8_ifPKiSA_SA_iPKfiiiPfSD_PS3_PT2_iSC_SC_.kd
    .uniform_work_group_size: 1
    .uses_dynamic_stack: false
    .vgpr_count:     45
    .vgpr_spill_count: 0
    .wavefront_size: 64
  - .agpr_count:     1
    .args:
      - .actual_access:  read_only
        .address_space:  global
        .offset:         0
        .size:           8
        .value_kind:     global_buffer
      - .actual_access:  read_only
        .address_space:  global
        .offset:         8
        .size:           8
        .value_kind:     global_buffer
      - .actual_access:  read_only
        .address_space:  global
        .offset:         16
        .size:           8
        .value_kind:     global_buffer
      - .offset:         24
        .size:           4
        .value_kind:     by_value
      - .offset:         28
        .size:           4
        .value_kind:     by_value
      - .actual_access:  read_only
        .address_space:  global
        .offset:         32
        .size:           8
        .value_kind:     global_buffer
      - .actual_access:  read_only
        .address_space:  global
        .offset:         40
        .size:           8
        .value_kind:     global_buffer
      - .actual_access:  read_only
        .address_space:  global
        .offset:         48
        .size:           8
        .value_kind:     global_buffer
      - .offset:         56
        .size:           4
        .value_kind:     by_value
      - .actual_access:  read_only
        .address_space:  global
        .offset:         64
        .size:           8
        .value_kind:     global_buffer
      - .offset:         72
        .size:           4
        .value_kind:     by_value
      - .offset:         76
        .size:           4
        .value_kind:     by_value
      - .offset:         80
        .size:           4
        .value_kind:     by_value
      - .actual_access:  read_only
        .address_space:  global
        .offset:         88
        .size:           8
        .value_kind:     global_buffer
      - .actual_access:  read_only
        .address_space:  global
        .offset:         96
        .size:           8
        .value_kind:     global_buffer
      - .actual_access:  read_only
        .address_space:  global
        .offset:         104
        .size:           8
        .value_kind:     global_buffer
      - .actual_access:  read_only
        .address_space:  global
        .offset:         112
        .size:           8
        .value_kind:     global_buffer
      - .offset:         120
        .size:           4
        .value_kind:     by_value
      - .address_space:  global
        .offset:         128
        .size:           8
        .value_kind:     global_buffer
      - .address_space:  global
        .offset:         136
        .size:           8
        .value_kind:     global_buffer
      - .offset:         144
        .size:           4
        .value_kind:     hidden_block_count_x
      - .offset:         148
        .size:           4
        .value_kind:     hidden_block_count_y
      - .offset:         152
        .size:           4
        .value_kind:     hidden_block_count_z
      - .offset:         156
        .size:           2
        .value_kind:     hidden_group_size_x
      - .offset:         158
        .size:           2
        .value_kind:     hidden_group_size_y
      - .offset:         160
        .size:           2
        .value_kind:     hidden_group_size_z
      - .offset:         162
        .size:           2
        .value_kind:     hidden_remainder_x
      - .offset:         164
        .size:           2
        .value_kind:     hidden_remainder_y
      - .offset:         166
        .size:           2
        .value_kind:     hidden_remainder_z
      - .offset:         184
        .size:           8
        .value_kind:     hidden_global_offset_x
      - .offset:         192
        .size:           8
        .value_kind:     hidden_global_offset_y
      - .offset:         200
        .size:           8
        .value_kind:     hidden_global_offset_z
      - .offset:         208
        .size:           2
        .value_kind:     hidden_grid_dims
      - .offset:         224
        .size:           8
        .value_kind:     hidden_hostcall_buffer
    .group_segment_fixed_size: 8192
    .kernarg_segment_align: 8
    .kernarg_segment_size: 400
    .language:       OpenCL C
    .language_version:
      - 2
      - 0
    .max_flat_workgroup_size: 256
    .name:           _Z39paged_attention_ll4mi_QKV_mfma16_kernelIDF16_hLN4vllm18Fp8KVCacheDataTypeE1EDF16_Li16ELi128ELi256ELb0ELi2EL8MFMAType1EEvPKT_PKT0_S8_ifPKiSA_SA_iPKfiiiPfSD_PS3_PT2_iSC_SC_
    .private_segment_fixed_size: 64
    .sgpr_count:     40
    .sgpr_spill_count: 0
    .symbol:         _Z39paged_attention_ll4mi_QKV_mfma16_kernelIDF16_hLN4vllm18Fp8KVCacheDataTypeE1EDF16_Li16ELi128ELi256ELb0ELi2EL8MFMAType1EEvPKT_PKT0_S8_ifPKiSA_SA_iPKfiiiPfSD_PS3_PT2_iSC_SC_.kd
    .uniform_work_group_size: 1
    .uses_dynamic_stack: false
    .vgpr_count:     45
    .vgpr_spill_count: 0
    .wavefront_size: 64
  - .agpr_count:     1
    .args:
      - .actual_access:  read_only
        .address_space:  global
        .offset:         0
        .size:           8
        .value_kind:     global_buffer
      - .actual_access:  read_only
        .address_space:  global
        .offset:         8
        .size:           8
        .value_kind:     global_buffer
      - .actual_access:  read_only
        .address_space:  global
        .offset:         16
        .size:           8
        .value_kind:     global_buffer
      - .offset:         24
        .size:           4
        .value_kind:     by_value
      - .offset:         28
        .size:           4
        .value_kind:     by_value
      - .actual_access:  read_only
        .address_space:  global
        .offset:         32
        .size:           8
        .value_kind:     global_buffer
      - .actual_access:  read_only
        .address_space:  global
        .offset:         40
        .size:           8
        .value_kind:     global_buffer
      - .actual_access:  read_only
        .address_space:  global
        .offset:         48
        .size:           8
        .value_kind:     global_buffer
      - .offset:         56
        .size:           4
        .value_kind:     by_value
      - .actual_access:  read_only
        .address_space:  global
        .offset:         64
        .size:           8
        .value_kind:     global_buffer
      - .offset:         72
        .size:           4
        .value_kind:     by_value
      - .offset:         76
        .size:           4
        .value_kind:     by_value
      - .offset:         80
        .size:           4
        .value_kind:     by_value
      - .actual_access:  read_only
        .address_space:  global
        .offset:         88
        .size:           8
        .value_kind:     global_buffer
      - .actual_access:  read_only
        .address_space:  global
        .offset:         96
        .size:           8
        .value_kind:     global_buffer
      - .actual_access:  read_only
        .address_space:  global
        .offset:         104
        .size:           8
        .value_kind:     global_buffer
      - .actual_access:  read_only
        .address_space:  global
        .offset:         112
        .size:           8
        .value_kind:     global_buffer
      - .offset:         120
        .size:           4
        .value_kind:     by_value
      - .address_space:  global
        .offset:         128
        .size:           8
        .value_kind:     global_buffer
      - .address_space:  global
        .offset:         136
        .size:           8
        .value_kind:     global_buffer
      - .offset:         144
        .size:           4
        .value_kind:     hidden_block_count_x
      - .offset:         148
        .size:           4
        .value_kind:     hidden_block_count_y
      - .offset:         152
        .size:           4
        .value_kind:     hidden_block_count_z
      - .offset:         156
        .size:           2
        .value_kind:     hidden_group_size_x
      - .offset:         158
        .size:           2
        .value_kind:     hidden_group_size_y
      - .offset:         160
        .size:           2
        .value_kind:     hidden_group_size_z
      - .offset:         162
        .size:           2
        .value_kind:     hidden_remainder_x
      - .offset:         164
        .size:           2
        .value_kind:     hidden_remainder_y
      - .offset:         166
        .size:           2
        .value_kind:     hidden_remainder_z
      - .offset:         184
        .size:           8
        .value_kind:     hidden_global_offset_x
      - .offset:         192
        .size:           8
        .value_kind:     hidden_global_offset_y
      - .offset:         200
        .size:           8
        .value_kind:     hidden_global_offset_z
      - .offset:         208
        .size:           2
        .value_kind:     hidden_grid_dims
      - .offset:         224
        .size:           8
        .value_kind:     hidden_hostcall_buffer
    .group_segment_fixed_size: 8192
    .kernarg_segment_align: 8
    .kernarg_segment_size: 400
    .language:       OpenCL C
    .language_version:
      - 2
      - 0
    .max_flat_workgroup_size: 256
    .name:           _Z39paged_attention_ll4mi_QKV_mfma16_kernelIDF16_hLN4vllm18Fp8KVCacheDataTypeE1EDF16_Li16ELi128ELi256ELb0ELi3EL8MFMAType1EEvPKT_PKT0_S8_ifPKiSA_SA_iPKfiiiPfSD_PS3_PT2_iSC_SC_
    .private_segment_fixed_size: 64
    .sgpr_count:     40
    .sgpr_spill_count: 0
    .symbol:         _Z39paged_attention_ll4mi_QKV_mfma16_kernelIDF16_hLN4vllm18Fp8KVCacheDataTypeE1EDF16_Li16ELi128ELi256ELb0ELi3EL8MFMAType1EEvPKT_PKT0_S8_ifPKiSA_SA_iPKfiiiPfSD_PS3_PT2_iSC_SC_.kd
    .uniform_work_group_size: 1
    .uses_dynamic_stack: false
    .vgpr_count:     45
    .vgpr_spill_count: 0
    .wavefront_size: 64
  - .agpr_count:     1
    .args:
      - .actual_access:  read_only
        .address_space:  global
        .offset:         0
        .size:           8
        .value_kind:     global_buffer
      - .actual_access:  read_only
        .address_space:  global
        .offset:         8
        .size:           8
        .value_kind:     global_buffer
      - .actual_access:  read_only
        .address_space:  global
        .offset:         16
        .size:           8
        .value_kind:     global_buffer
      - .offset:         24
        .size:           4
        .value_kind:     by_value
      - .offset:         28
        .size:           4
        .value_kind:     by_value
      - .actual_access:  read_only
        .address_space:  global
        .offset:         32
        .size:           8
        .value_kind:     global_buffer
      - .actual_access:  read_only
        .address_space:  global
        .offset:         40
        .size:           8
        .value_kind:     global_buffer
      - .actual_access:  read_only
        .address_space:  global
        .offset:         48
        .size:           8
        .value_kind:     global_buffer
      - .offset:         56
        .size:           4
        .value_kind:     by_value
      - .actual_access:  read_only
        .address_space:  global
        .offset:         64
        .size:           8
        .value_kind:     global_buffer
      - .offset:         72
        .size:           4
        .value_kind:     by_value
      - .offset:         76
        .size:           4
        .value_kind:     by_value
      - .offset:         80
        .size:           4
        .value_kind:     by_value
      - .actual_access:  read_only
        .address_space:  global
        .offset:         88
        .size:           8
        .value_kind:     global_buffer
      - .actual_access:  read_only
        .address_space:  global
        .offset:         96
        .size:           8
        .value_kind:     global_buffer
      - .actual_access:  read_only
        .address_space:  global
        .offset:         104
        .size:           8
        .value_kind:     global_buffer
      - .actual_access:  read_only
        .address_space:  global
        .offset:         112
        .size:           8
        .value_kind:     global_buffer
      - .offset:         120
        .size:           4
        .value_kind:     by_value
      - .address_space:  global
        .offset:         128
        .size:           8
        .value_kind:     global_buffer
      - .address_space:  global
        .offset:         136
        .size:           8
        .value_kind:     global_buffer
      - .offset:         144
        .size:           4
        .value_kind:     hidden_block_count_x
      - .offset:         148
        .size:           4
        .value_kind:     hidden_block_count_y
      - .offset:         152
        .size:           4
        .value_kind:     hidden_block_count_z
      - .offset:         156
        .size:           2
        .value_kind:     hidden_group_size_x
      - .offset:         158
        .size:           2
        .value_kind:     hidden_group_size_y
      - .offset:         160
        .size:           2
        .value_kind:     hidden_group_size_z
      - .offset:         162
        .size:           2
        .value_kind:     hidden_remainder_x
      - .offset:         164
        .size:           2
        .value_kind:     hidden_remainder_y
      - .offset:         166
        .size:           2
        .value_kind:     hidden_remainder_z
      - .offset:         184
        .size:           8
        .value_kind:     hidden_global_offset_x
      - .offset:         192
        .size:           8
        .value_kind:     hidden_global_offset_y
      - .offset:         200
        .size:           8
        .value_kind:     hidden_global_offset_z
      - .offset:         208
        .size:           2
        .value_kind:     hidden_grid_dims
      - .offset:         224
        .size:           8
        .value_kind:     hidden_hostcall_buffer
    .group_segment_fixed_size: 8192
    .kernarg_segment_align: 8
    .kernarg_segment_size: 400
    .language:       OpenCL C
    .language_version:
      - 2
      - 0
    .max_flat_workgroup_size: 256
    .name:           _Z39paged_attention_ll4mi_QKV_mfma16_kernelIDF16_hLN4vllm18Fp8KVCacheDataTypeE1EDF16_Li16ELi128ELi256ELb0ELi4EL8MFMAType1EEvPKT_PKT0_S8_ifPKiSA_SA_iPKfiiiPfSD_PS3_PT2_iSC_SC_
    .private_segment_fixed_size: 64
    .sgpr_count:     40
    .sgpr_spill_count: 0
    .symbol:         _Z39paged_attention_ll4mi_QKV_mfma16_kernelIDF16_hLN4vllm18Fp8KVCacheDataTypeE1EDF16_Li16ELi128ELi256ELb0ELi4EL8MFMAType1EEvPKT_PKT0_S8_ifPKiSA_SA_iPKfiiiPfSD_PS3_PT2_iSC_SC_.kd
    .uniform_work_group_size: 1
    .uses_dynamic_stack: false
    .vgpr_count:     45
    .vgpr_spill_count: 0
    .wavefront_size: 64
  - .agpr_count:     4
    .args:
      - .actual_access:  read_only
        .address_space:  global
        .offset:         0
        .size:           8
        .value_kind:     global_buffer
      - .actual_access:  read_only
        .address_space:  global
        .offset:         8
        .size:           8
        .value_kind:     global_buffer
      - .actual_access:  read_only
        .address_space:  global
        .offset:         16
        .size:           8
        .value_kind:     global_buffer
      - .offset:         24
        .size:           4
        .value_kind:     by_value
      - .offset:         28
        .size:           4
        .value_kind:     by_value
      - .actual_access:  read_only
        .address_space:  global
        .offset:         32
        .size:           8
        .value_kind:     global_buffer
      - .actual_access:  read_only
        .address_space:  global
        .offset:         40
        .size:           8
        .value_kind:     global_buffer
      - .actual_access:  read_only
        .address_space:  global
        .offset:         48
        .size:           8
        .value_kind:     global_buffer
      - .offset:         56
        .size:           4
        .value_kind:     by_value
      - .actual_access:  read_only
        .address_space:  global
        .offset:         64
        .size:           8
        .value_kind:     global_buffer
      - .offset:         72
        .size:           4
        .value_kind:     by_value
      - .offset:         76
        .size:           4
        .value_kind:     by_value
      - .offset:         80
        .size:           4
        .value_kind:     by_value
      - .actual_access:  write_only
        .address_space:  global
        .offset:         88
        .size:           8
        .value_kind:     global_buffer
      - .actual_access:  write_only
        .address_space:  global
        .offset:         96
        .size:           8
        .value_kind:     global_buffer
      - .actual_access:  write_only
        .address_space:  global
        .offset:         104
        .size:           8
        .value_kind:     global_buffer
      - .actual_access:  read_only
        .address_space:  global
        .offset:         112
        .size:           8
        .value_kind:     global_buffer
      - .offset:         120
        .size:           4
        .value_kind:     by_value
      - .address_space:  global
        .offset:         128
        .size:           8
        .value_kind:     global_buffer
      - .address_space:  global
        .offset:         136
        .size:           8
        .value_kind:     global_buffer
      - .offset:         144
        .size:           4
        .value_kind:     hidden_block_count_x
      - .offset:         148
        .size:           4
        .value_kind:     hidden_block_count_y
      - .offset:         152
        .size:           4
        .value_kind:     hidden_block_count_z
      - .offset:         156
        .size:           2
        .value_kind:     hidden_group_size_x
      - .offset:         158
        .size:           2
        .value_kind:     hidden_group_size_y
      - .offset:         160
        .size:           2
        .value_kind:     hidden_group_size_z
      - .offset:         162
        .size:           2
        .value_kind:     hidden_remainder_x
      - .offset:         164
        .size:           2
        .value_kind:     hidden_remainder_y
      - .offset:         166
        .size:           2
        .value_kind:     hidden_remainder_z
      - .offset:         184
        .size:           8
        .value_kind:     hidden_global_offset_x
      - .offset:         192
        .size:           8
        .value_kind:     hidden_global_offset_y
      - .offset:         200
        .size:           8
        .value_kind:     hidden_global_offset_z
      - .offset:         208
        .size:           2
        .value_kind:     hidden_grid_dims
    .group_segment_fixed_size: 5280
    .kernarg_segment_align: 8
    .kernarg_segment_size: 400
    .language:       OpenCL C
    .language_version:
      - 2
      - 0
    .max_flat_workgroup_size: 256
    .name:           _Z38paged_attention_ll4mi_QKV_mfma4_kernelIDF16_hLN4vllm18Fp8KVCacheDataTypeE1EDF16_Li32ELi128ELi256ELb1ELi1EEvPKT_PKT0_S7_ifPKiS9_S9_iPKfiiiPfSC_PS2_PT2_iSB_SB_
    .private_segment_fixed_size: 144
    .sgpr_count:     50
    .sgpr_spill_count: 0
    .symbol:         _Z38paged_attention_ll4mi_QKV_mfma4_kernelIDF16_hLN4vllm18Fp8KVCacheDataTypeE1EDF16_Li32ELi128ELi256ELb1ELi1EEvPKT_PKT0_S7_ifPKiS9_S9_iPKfiiiPfSC_PS2_PT2_iSB_SB_.kd
    .uniform_work_group_size: 1
    .uses_dynamic_stack: false
    .vgpr_count:     84
    .vgpr_spill_count: 0
    .wavefront_size: 64
  - .agpr_count:     4
    .args:
      - .actual_access:  read_only
        .address_space:  global
        .offset:         0
        .size:           8
        .value_kind:     global_buffer
      - .actual_access:  read_only
        .address_space:  global
        .offset:         8
        .size:           8
        .value_kind:     global_buffer
      - .actual_access:  read_only
        .address_space:  global
        .offset:         16
        .size:           8
        .value_kind:     global_buffer
      - .offset:         24
        .size:           4
        .value_kind:     by_value
      - .offset:         28
        .size:           4
        .value_kind:     by_value
      - .actual_access:  read_only
        .address_space:  global
        .offset:         32
        .size:           8
        .value_kind:     global_buffer
      - .actual_access:  read_only
        .address_space:  global
        .offset:         40
        .size:           8
        .value_kind:     global_buffer
      - .actual_access:  read_only
        .address_space:  global
        .offset:         48
        .size:           8
        .value_kind:     global_buffer
      - .offset:         56
        .size:           4
        .value_kind:     by_value
      - .actual_access:  read_only
        .address_space:  global
        .offset:         64
        .size:           8
        .value_kind:     global_buffer
      - .offset:         72
        .size:           4
        .value_kind:     by_value
      - .offset:         76
        .size:           4
        .value_kind:     by_value
      - .offset:         80
        .size:           4
        .value_kind:     by_value
      - .actual_access:  write_only
        .address_space:  global
        .offset:         88
        .size:           8
        .value_kind:     global_buffer
      - .actual_access:  write_only
        .address_space:  global
        .offset:         96
        .size:           8
        .value_kind:     global_buffer
      - .actual_access:  write_only
        .address_space:  global
        .offset:         104
        .size:           8
        .value_kind:     global_buffer
      - .actual_access:  read_only
        .address_space:  global
        .offset:         112
        .size:           8
        .value_kind:     global_buffer
      - .offset:         120
        .size:           4
        .value_kind:     by_value
      - .address_space:  global
        .offset:         128
        .size:           8
        .value_kind:     global_buffer
      - .address_space:  global
        .offset:         136
        .size:           8
        .value_kind:     global_buffer
      - .offset:         144
        .size:           4
        .value_kind:     hidden_block_count_x
      - .offset:         148
        .size:           4
        .value_kind:     hidden_block_count_y
      - .offset:         152
        .size:           4
        .value_kind:     hidden_block_count_z
      - .offset:         156
        .size:           2
        .value_kind:     hidden_group_size_x
      - .offset:         158
        .size:           2
        .value_kind:     hidden_group_size_y
      - .offset:         160
        .size:           2
        .value_kind:     hidden_group_size_z
      - .offset:         162
        .size:           2
        .value_kind:     hidden_remainder_x
      - .offset:         164
        .size:           2
        .value_kind:     hidden_remainder_y
      - .offset:         166
        .size:           2
        .value_kind:     hidden_remainder_z
      - .offset:         184
        .size:           8
        .value_kind:     hidden_global_offset_x
      - .offset:         192
        .size:           8
        .value_kind:     hidden_global_offset_y
      - .offset:         200
        .size:           8
        .value_kind:     hidden_global_offset_z
      - .offset:         208
        .size:           2
        .value_kind:     hidden_grid_dims
    .group_segment_fixed_size: 5280
    .kernarg_segment_align: 8
    .kernarg_segment_size: 400
    .language:       OpenCL C
    .language_version:
      - 2
      - 0
    .max_flat_workgroup_size: 256
    .name:           _Z38paged_attention_ll4mi_QKV_mfma4_kernelIDF16_hLN4vllm18Fp8KVCacheDataTypeE1EDF16_Li32ELi128ELi256ELb1ELi2EEvPKT_PKT0_S7_ifPKiS9_S9_iPKfiiiPfSC_PS2_PT2_iSB_SB_
    .private_segment_fixed_size: 144
    .sgpr_count:     52
    .sgpr_spill_count: 0
    .symbol:         _Z38paged_attention_ll4mi_QKV_mfma4_kernelIDF16_hLN4vllm18Fp8KVCacheDataTypeE1EDF16_Li32ELi128ELi256ELb1ELi2EEvPKT_PKT0_S7_ifPKiS9_S9_iPKfiiiPfSC_PS2_PT2_iSB_SB_.kd
    .uniform_work_group_size: 1
    .uses_dynamic_stack: false
    .vgpr_count:     84
    .vgpr_spill_count: 0
    .wavefront_size: 64
  - .agpr_count:     4
    .args:
      - .actual_access:  read_only
        .address_space:  global
        .offset:         0
        .size:           8
        .value_kind:     global_buffer
      - .actual_access:  read_only
        .address_space:  global
        .offset:         8
        .size:           8
        .value_kind:     global_buffer
      - .actual_access:  read_only
        .address_space:  global
        .offset:         16
        .size:           8
        .value_kind:     global_buffer
      - .offset:         24
        .size:           4
        .value_kind:     by_value
      - .offset:         28
        .size:           4
        .value_kind:     by_value
      - .actual_access:  read_only
        .address_space:  global
        .offset:         32
        .size:           8
        .value_kind:     global_buffer
      - .actual_access:  read_only
        .address_space:  global
        .offset:         40
        .size:           8
        .value_kind:     global_buffer
      - .actual_access:  read_only
        .address_space:  global
        .offset:         48
        .size:           8
        .value_kind:     global_buffer
      - .offset:         56
        .size:           4
        .value_kind:     by_value
      - .actual_access:  read_only
        .address_space:  global
        .offset:         64
        .size:           8
        .value_kind:     global_buffer
      - .offset:         72
        .size:           4
        .value_kind:     by_value
      - .offset:         76
        .size:           4
        .value_kind:     by_value
      - .offset:         80
        .size:           4
        .value_kind:     by_value
      - .actual_access:  write_only
        .address_space:  global
        .offset:         88
        .size:           8
        .value_kind:     global_buffer
      - .actual_access:  write_only
        .address_space:  global
        .offset:         96
        .size:           8
        .value_kind:     global_buffer
      - .actual_access:  write_only
        .address_space:  global
        .offset:         104
        .size:           8
        .value_kind:     global_buffer
      - .actual_access:  read_only
        .address_space:  global
        .offset:         112
        .size:           8
        .value_kind:     global_buffer
      - .offset:         120
        .size:           4
        .value_kind:     by_value
      - .address_space:  global
        .offset:         128
        .size:           8
        .value_kind:     global_buffer
      - .address_space:  global
        .offset:         136
        .size:           8
        .value_kind:     global_buffer
      - .offset:         144
        .size:           4
        .value_kind:     hidden_block_count_x
      - .offset:         148
        .size:           4
        .value_kind:     hidden_block_count_y
      - .offset:         152
        .size:           4
        .value_kind:     hidden_block_count_z
      - .offset:         156
        .size:           2
        .value_kind:     hidden_group_size_x
      - .offset:         158
        .size:           2
        .value_kind:     hidden_group_size_y
      - .offset:         160
        .size:           2
        .value_kind:     hidden_group_size_z
      - .offset:         162
        .size:           2
        .value_kind:     hidden_remainder_x
      - .offset:         164
        .size:           2
        .value_kind:     hidden_remainder_y
      - .offset:         166
        .size:           2
        .value_kind:     hidden_remainder_z
      - .offset:         184
        .size:           8
        .value_kind:     hidden_global_offset_x
      - .offset:         192
        .size:           8
        .value_kind:     hidden_global_offset_y
      - .offset:         200
        .size:           8
        .value_kind:     hidden_global_offset_z
      - .offset:         208
        .size:           2
        .value_kind:     hidden_grid_dims
    .group_segment_fixed_size: 5280
    .kernarg_segment_align: 8
    .kernarg_segment_size: 400
    .language:       OpenCL C
    .language_version:
      - 2
      - 0
    .max_flat_workgroup_size: 256
    .name:           _Z38paged_attention_ll4mi_QKV_mfma4_kernelIDF16_hLN4vllm18Fp8KVCacheDataTypeE1EDF16_Li32ELi128ELi256ELb1ELi3EEvPKT_PKT0_S7_ifPKiS9_S9_iPKfiiiPfSC_PS2_PT2_iSB_SB_
    .private_segment_fixed_size: 144
    .sgpr_count:     54
    .sgpr_spill_count: 0
    .symbol:         _Z38paged_attention_ll4mi_QKV_mfma4_kernelIDF16_hLN4vllm18Fp8KVCacheDataTypeE1EDF16_Li32ELi128ELi256ELb1ELi3EEvPKT_PKT0_S7_ifPKiS9_S9_iPKfiiiPfSC_PS2_PT2_iSB_SB_.kd
    .uniform_work_group_size: 1
    .uses_dynamic_stack: false
    .vgpr_count:     84
    .vgpr_spill_count: 0
    .wavefront_size: 64
  - .agpr_count:     4
    .args:
      - .actual_access:  read_only
        .address_space:  global
        .offset:         0
        .size:           8
        .value_kind:     global_buffer
      - .actual_access:  read_only
        .address_space:  global
        .offset:         8
        .size:           8
        .value_kind:     global_buffer
      - .actual_access:  read_only
        .address_space:  global
        .offset:         16
        .size:           8
        .value_kind:     global_buffer
      - .offset:         24
        .size:           4
        .value_kind:     by_value
      - .offset:         28
        .size:           4
        .value_kind:     by_value
      - .actual_access:  read_only
        .address_space:  global
        .offset:         32
        .size:           8
        .value_kind:     global_buffer
      - .actual_access:  read_only
        .address_space:  global
        .offset:         40
        .size:           8
        .value_kind:     global_buffer
      - .actual_access:  read_only
        .address_space:  global
        .offset:         48
        .size:           8
        .value_kind:     global_buffer
      - .offset:         56
        .size:           4
        .value_kind:     by_value
      - .actual_access:  read_only
        .address_space:  global
        .offset:         64
        .size:           8
        .value_kind:     global_buffer
      - .offset:         72
        .size:           4
        .value_kind:     by_value
      - .offset:         76
        .size:           4
        .value_kind:     by_value
      - .offset:         80
        .size:           4
        .value_kind:     by_value
      - .actual_access:  write_only
        .address_space:  global
        .offset:         88
        .size:           8
        .value_kind:     global_buffer
      - .actual_access:  write_only
        .address_space:  global
        .offset:         96
        .size:           8
        .value_kind:     global_buffer
      - .actual_access:  write_only
        .address_space:  global
        .offset:         104
        .size:           8
        .value_kind:     global_buffer
      - .actual_access:  read_only
        .address_space:  global
        .offset:         112
        .size:           8
        .value_kind:     global_buffer
      - .offset:         120
        .size:           4
        .value_kind:     by_value
      - .address_space:  global
        .offset:         128
        .size:           8
        .value_kind:     global_buffer
      - .address_space:  global
        .offset:         136
        .size:           8
        .value_kind:     global_buffer
      - .offset:         144
        .size:           4
        .value_kind:     hidden_block_count_x
      - .offset:         148
        .size:           4
        .value_kind:     hidden_block_count_y
      - .offset:         152
        .size:           4
        .value_kind:     hidden_block_count_z
      - .offset:         156
        .size:           2
        .value_kind:     hidden_group_size_x
      - .offset:         158
        .size:           2
        .value_kind:     hidden_group_size_y
      - .offset:         160
        .size:           2
        .value_kind:     hidden_group_size_z
      - .offset:         162
        .size:           2
        .value_kind:     hidden_remainder_x
      - .offset:         164
        .size:           2
        .value_kind:     hidden_remainder_y
      - .offset:         166
        .size:           2
        .value_kind:     hidden_remainder_z
      - .offset:         184
        .size:           8
        .value_kind:     hidden_global_offset_x
      - .offset:         192
        .size:           8
        .value_kind:     hidden_global_offset_y
      - .offset:         200
        .size:           8
        .value_kind:     hidden_global_offset_z
      - .offset:         208
        .size:           2
        .value_kind:     hidden_grid_dims
    .group_segment_fixed_size: 5280
    .kernarg_segment_align: 8
    .kernarg_segment_size: 400
    .language:       OpenCL C
    .language_version:
      - 2
      - 0
    .max_flat_workgroup_size: 256
    .name:           _Z38paged_attention_ll4mi_QKV_mfma4_kernelIDF16_hLN4vllm18Fp8KVCacheDataTypeE1EDF16_Li32ELi128ELi256ELb1ELi4EEvPKT_PKT0_S7_ifPKiS9_S9_iPKfiiiPfSC_PS2_PT2_iSB_SB_
    .private_segment_fixed_size: 144
    .sgpr_count:     53
    .sgpr_spill_count: 0
    .symbol:         _Z38paged_attention_ll4mi_QKV_mfma4_kernelIDF16_hLN4vllm18Fp8KVCacheDataTypeE1EDF16_Li32ELi128ELi256ELb1ELi4EEvPKT_PKT0_S7_ifPKiS9_S9_iPKfiiiPfSC_PS2_PT2_iSB_SB_.kd
    .uniform_work_group_size: 1
    .uses_dynamic_stack: false
    .vgpr_count:     72
    .vgpr_spill_count: 0
    .wavefront_size: 64
  - .agpr_count:     1
    .args:
      - .actual_access:  read_only
        .address_space:  global
        .offset:         0
        .size:           8
        .value_kind:     global_buffer
      - .actual_access:  read_only
        .address_space:  global
        .offset:         8
        .size:           8
        .value_kind:     global_buffer
      - .actual_access:  read_only
        .address_space:  global
        .offset:         16
        .size:           8
        .value_kind:     global_buffer
      - .offset:         24
        .size:           4
        .value_kind:     by_value
      - .offset:         28
        .size:           4
        .value_kind:     by_value
      - .actual_access:  read_only
        .address_space:  global
        .offset:         32
        .size:           8
        .value_kind:     global_buffer
      - .actual_access:  read_only
        .address_space:  global
        .offset:         40
        .size:           8
        .value_kind:     global_buffer
      - .actual_access:  read_only
        .address_space:  global
        .offset:         48
        .size:           8
        .value_kind:     global_buffer
      - .offset:         56
        .size:           4
        .value_kind:     by_value
      - .actual_access:  read_only
        .address_space:  global
        .offset:         64
        .size:           8
        .value_kind:     global_buffer
      - .offset:         72
        .size:           4
        .value_kind:     by_value
      - .offset:         76
        .size:           4
        .value_kind:     by_value
      - .offset:         80
        .size:           4
        .value_kind:     by_value
      - .actual_access:  read_only
        .address_space:  global
        .offset:         88
        .size:           8
        .value_kind:     global_buffer
      - .actual_access:  read_only
        .address_space:  global
        .offset:         96
        .size:           8
        .value_kind:     global_buffer
      - .actual_access:  read_only
        .address_space:  global
        .offset:         104
        .size:           8
        .value_kind:     global_buffer
      - .actual_access:  read_only
        .address_space:  global
        .offset:         112
        .size:           8
        .value_kind:     global_buffer
      - .offset:         120
        .size:           4
        .value_kind:     by_value
      - .address_space:  global
        .offset:         128
        .size:           8
        .value_kind:     global_buffer
      - .address_space:  global
        .offset:         136
        .size:           8
        .value_kind:     global_buffer
      - .offset:         144
        .size:           4
        .value_kind:     hidden_block_count_x
      - .offset:         148
        .size:           4
        .value_kind:     hidden_block_count_y
      - .offset:         152
        .size:           4
        .value_kind:     hidden_block_count_z
      - .offset:         156
        .size:           2
        .value_kind:     hidden_group_size_x
      - .offset:         158
        .size:           2
        .value_kind:     hidden_group_size_y
      - .offset:         160
        .size:           2
        .value_kind:     hidden_group_size_z
      - .offset:         162
        .size:           2
        .value_kind:     hidden_remainder_x
      - .offset:         164
        .size:           2
        .value_kind:     hidden_remainder_y
      - .offset:         166
        .size:           2
        .value_kind:     hidden_remainder_z
      - .offset:         184
        .size:           8
        .value_kind:     hidden_global_offset_x
      - .offset:         192
        .size:           8
        .value_kind:     hidden_global_offset_y
      - .offset:         200
        .size:           8
        .value_kind:     hidden_global_offset_z
      - .offset:         208
        .size:           2
        .value_kind:     hidden_grid_dims
      - .offset:         224
        .size:           8
        .value_kind:     hidden_hostcall_buffer
    .group_segment_fixed_size: 8192
    .kernarg_segment_align: 8
    .kernarg_segment_size: 400
    .language:       OpenCL C
    .language_version:
      - 2
      - 0
    .max_flat_workgroup_size: 256
    .name:           _Z39paged_attention_ll4mi_QKV_mfma16_kernelIDF16_hLN4vllm18Fp8KVCacheDataTypeE1EDF16_Li32ELi128ELi256ELb1ELi5EL8MFMAType1EEvPKT_PKT0_S8_ifPKiSA_SA_iPKfiiiPfSD_PS3_PT2_iSC_SC_
    .private_segment_fixed_size: 64
    .sgpr_count:     40
    .sgpr_spill_count: 0
    .symbol:         _Z39paged_attention_ll4mi_QKV_mfma16_kernelIDF16_hLN4vllm18Fp8KVCacheDataTypeE1EDF16_Li32ELi128ELi256ELb1ELi5EL8MFMAType1EEvPKT_PKT0_S8_ifPKiSA_SA_iPKfiiiPfSD_PS3_PT2_iSC_SC_.kd
    .uniform_work_group_size: 1
    .uses_dynamic_stack: false
    .vgpr_count:     45
    .vgpr_spill_count: 0
    .wavefront_size: 64
  - .agpr_count:     1
    .args:
      - .actual_access:  read_only
        .address_space:  global
        .offset:         0
        .size:           8
        .value_kind:     global_buffer
      - .actual_access:  read_only
        .address_space:  global
        .offset:         8
        .size:           8
        .value_kind:     global_buffer
      - .actual_access:  read_only
        .address_space:  global
        .offset:         16
        .size:           8
        .value_kind:     global_buffer
      - .offset:         24
        .size:           4
        .value_kind:     by_value
      - .offset:         28
        .size:           4
        .value_kind:     by_value
      - .actual_access:  read_only
        .address_space:  global
        .offset:         32
        .size:           8
        .value_kind:     global_buffer
      - .actual_access:  read_only
        .address_space:  global
        .offset:         40
        .size:           8
        .value_kind:     global_buffer
      - .actual_access:  read_only
        .address_space:  global
        .offset:         48
        .size:           8
        .value_kind:     global_buffer
      - .offset:         56
        .size:           4
        .value_kind:     by_value
      - .actual_access:  read_only
        .address_space:  global
        .offset:         64
        .size:           8
        .value_kind:     global_buffer
      - .offset:         72
        .size:           4
        .value_kind:     by_value
      - .offset:         76
        .size:           4
        .value_kind:     by_value
      - .offset:         80
        .size:           4
        .value_kind:     by_value
      - .actual_access:  read_only
        .address_space:  global
        .offset:         88
        .size:           8
        .value_kind:     global_buffer
      - .actual_access:  read_only
        .address_space:  global
        .offset:         96
        .size:           8
        .value_kind:     global_buffer
      - .actual_access:  read_only
        .address_space:  global
        .offset:         104
        .size:           8
        .value_kind:     global_buffer
      - .actual_access:  read_only
        .address_space:  global
        .offset:         112
        .size:           8
        .value_kind:     global_buffer
      - .offset:         120
        .size:           4
        .value_kind:     by_value
      - .address_space:  global
        .offset:         128
        .size:           8
        .value_kind:     global_buffer
      - .address_space:  global
        .offset:         136
        .size:           8
        .value_kind:     global_buffer
      - .offset:         144
        .size:           4
        .value_kind:     hidden_block_count_x
      - .offset:         148
        .size:           4
        .value_kind:     hidden_block_count_y
      - .offset:         152
        .size:           4
        .value_kind:     hidden_block_count_z
      - .offset:         156
        .size:           2
        .value_kind:     hidden_group_size_x
      - .offset:         158
        .size:           2
        .value_kind:     hidden_group_size_y
      - .offset:         160
        .size:           2
        .value_kind:     hidden_group_size_z
      - .offset:         162
        .size:           2
        .value_kind:     hidden_remainder_x
      - .offset:         164
        .size:           2
        .value_kind:     hidden_remainder_y
      - .offset:         166
        .size:           2
        .value_kind:     hidden_remainder_z
      - .offset:         184
        .size:           8
        .value_kind:     hidden_global_offset_x
      - .offset:         192
        .size:           8
        .value_kind:     hidden_global_offset_y
      - .offset:         200
        .size:           8
        .value_kind:     hidden_global_offset_z
      - .offset:         208
        .size:           2
        .value_kind:     hidden_grid_dims
      - .offset:         224
        .size:           8
        .value_kind:     hidden_hostcall_buffer
    .group_segment_fixed_size: 8192
    .kernarg_segment_align: 8
    .kernarg_segment_size: 400
    .language:       OpenCL C
    .language_version:
      - 2
      - 0
    .max_flat_workgroup_size: 256
    .name:           _Z39paged_attention_ll4mi_QKV_mfma16_kernelIDF16_hLN4vllm18Fp8KVCacheDataTypeE1EDF16_Li32ELi128ELi256ELb1ELi6EL8MFMAType1EEvPKT_PKT0_S8_ifPKiSA_SA_iPKfiiiPfSD_PS3_PT2_iSC_SC_
    .private_segment_fixed_size: 64
    .sgpr_count:     40
    .sgpr_spill_count: 0
    .symbol:         _Z39paged_attention_ll4mi_QKV_mfma16_kernelIDF16_hLN4vllm18Fp8KVCacheDataTypeE1EDF16_Li32ELi128ELi256ELb1ELi6EL8MFMAType1EEvPKT_PKT0_S8_ifPKiSA_SA_iPKfiiiPfSD_PS3_PT2_iSC_SC_.kd
    .uniform_work_group_size: 1
    .uses_dynamic_stack: false
    .vgpr_count:     45
    .vgpr_spill_count: 0
    .wavefront_size: 64
  - .agpr_count:     1
    .args:
      - .actual_access:  read_only
        .address_space:  global
        .offset:         0
        .size:           8
        .value_kind:     global_buffer
      - .actual_access:  read_only
        .address_space:  global
        .offset:         8
        .size:           8
        .value_kind:     global_buffer
      - .actual_access:  read_only
        .address_space:  global
        .offset:         16
        .size:           8
        .value_kind:     global_buffer
      - .offset:         24
        .size:           4
        .value_kind:     by_value
      - .offset:         28
        .size:           4
        .value_kind:     by_value
      - .actual_access:  read_only
        .address_space:  global
        .offset:         32
        .size:           8
        .value_kind:     global_buffer
      - .actual_access:  read_only
        .address_space:  global
        .offset:         40
        .size:           8
        .value_kind:     global_buffer
      - .actual_access:  read_only
        .address_space:  global
        .offset:         48
        .size:           8
        .value_kind:     global_buffer
      - .offset:         56
        .size:           4
        .value_kind:     by_value
      - .actual_access:  read_only
        .address_space:  global
        .offset:         64
        .size:           8
        .value_kind:     global_buffer
      - .offset:         72
        .size:           4
        .value_kind:     by_value
      - .offset:         76
        .size:           4
        .value_kind:     by_value
      - .offset:         80
        .size:           4
        .value_kind:     by_value
      - .actual_access:  read_only
        .address_space:  global
        .offset:         88
        .size:           8
        .value_kind:     global_buffer
      - .actual_access:  read_only
        .address_space:  global
        .offset:         96
        .size:           8
        .value_kind:     global_buffer
      - .actual_access:  read_only
        .address_space:  global
        .offset:         104
        .size:           8
        .value_kind:     global_buffer
      - .actual_access:  read_only
        .address_space:  global
        .offset:         112
        .size:           8
        .value_kind:     global_buffer
      - .offset:         120
        .size:           4
        .value_kind:     by_value
      - .address_space:  global
        .offset:         128
        .size:           8
        .value_kind:     global_buffer
      - .address_space:  global
        .offset:         136
        .size:           8
        .value_kind:     global_buffer
      - .offset:         144
        .size:           4
        .value_kind:     hidden_block_count_x
      - .offset:         148
        .size:           4
        .value_kind:     hidden_block_count_y
      - .offset:         152
        .size:           4
        .value_kind:     hidden_block_count_z
      - .offset:         156
        .size:           2
        .value_kind:     hidden_group_size_x
      - .offset:         158
        .size:           2
        .value_kind:     hidden_group_size_y
      - .offset:         160
        .size:           2
        .value_kind:     hidden_group_size_z
      - .offset:         162
        .size:           2
        .value_kind:     hidden_remainder_x
      - .offset:         164
        .size:           2
        .value_kind:     hidden_remainder_y
      - .offset:         166
        .size:           2
        .value_kind:     hidden_remainder_z
      - .offset:         184
        .size:           8
        .value_kind:     hidden_global_offset_x
      - .offset:         192
        .size:           8
        .value_kind:     hidden_global_offset_y
      - .offset:         200
        .size:           8
        .value_kind:     hidden_global_offset_z
      - .offset:         208
        .size:           2
        .value_kind:     hidden_grid_dims
      - .offset:         224
        .size:           8
        .value_kind:     hidden_hostcall_buffer
    .group_segment_fixed_size: 8192
    .kernarg_segment_align: 8
    .kernarg_segment_size: 400
    .language:       OpenCL C
    .language_version:
      - 2
      - 0
    .max_flat_workgroup_size: 256
    .name:           _Z39paged_attention_ll4mi_QKV_mfma16_kernelIDF16_hLN4vllm18Fp8KVCacheDataTypeE1EDF16_Li32ELi128ELi256ELb1ELi7EL8MFMAType1EEvPKT_PKT0_S8_ifPKiSA_SA_iPKfiiiPfSD_PS3_PT2_iSC_SC_
    .private_segment_fixed_size: 64
    .sgpr_count:     40
    .sgpr_spill_count: 0
    .symbol:         _Z39paged_attention_ll4mi_QKV_mfma16_kernelIDF16_hLN4vllm18Fp8KVCacheDataTypeE1EDF16_Li32ELi128ELi256ELb1ELi7EL8MFMAType1EEvPKT_PKT0_S8_ifPKiSA_SA_iPKfiiiPfSD_PS3_PT2_iSC_SC_.kd
    .uniform_work_group_size: 1
    .uses_dynamic_stack: false
    .vgpr_count:     45
    .vgpr_spill_count: 0
    .wavefront_size: 64
  - .agpr_count:     1
    .args:
      - .actual_access:  read_only
        .address_space:  global
        .offset:         0
        .size:           8
        .value_kind:     global_buffer
      - .actual_access:  read_only
        .address_space:  global
        .offset:         8
        .size:           8
        .value_kind:     global_buffer
      - .actual_access:  read_only
        .address_space:  global
        .offset:         16
        .size:           8
        .value_kind:     global_buffer
      - .offset:         24
        .size:           4
        .value_kind:     by_value
      - .offset:         28
        .size:           4
        .value_kind:     by_value
      - .actual_access:  read_only
        .address_space:  global
        .offset:         32
        .size:           8
        .value_kind:     global_buffer
      - .actual_access:  read_only
        .address_space:  global
        .offset:         40
        .size:           8
        .value_kind:     global_buffer
      - .actual_access:  read_only
        .address_space:  global
        .offset:         48
        .size:           8
        .value_kind:     global_buffer
      - .offset:         56
        .size:           4
        .value_kind:     by_value
      - .actual_access:  read_only
        .address_space:  global
        .offset:         64
        .size:           8
        .value_kind:     global_buffer
      - .offset:         72
        .size:           4
        .value_kind:     by_value
      - .offset:         76
        .size:           4
        .value_kind:     by_value
      - .offset:         80
        .size:           4
        .value_kind:     by_value
      - .actual_access:  read_only
        .address_space:  global
        .offset:         88
        .size:           8
        .value_kind:     global_buffer
      - .actual_access:  read_only
        .address_space:  global
        .offset:         96
        .size:           8
        .value_kind:     global_buffer
      - .actual_access:  read_only
        .address_space:  global
        .offset:         104
        .size:           8
        .value_kind:     global_buffer
      - .actual_access:  read_only
        .address_space:  global
        .offset:         112
        .size:           8
        .value_kind:     global_buffer
      - .offset:         120
        .size:           4
        .value_kind:     by_value
      - .address_space:  global
        .offset:         128
        .size:           8
        .value_kind:     global_buffer
      - .address_space:  global
        .offset:         136
        .size:           8
        .value_kind:     global_buffer
      - .offset:         144
        .size:           4
        .value_kind:     hidden_block_count_x
      - .offset:         148
        .size:           4
        .value_kind:     hidden_block_count_y
      - .offset:         152
        .size:           4
        .value_kind:     hidden_block_count_z
      - .offset:         156
        .size:           2
        .value_kind:     hidden_group_size_x
      - .offset:         158
        .size:           2
        .value_kind:     hidden_group_size_y
      - .offset:         160
        .size:           2
        .value_kind:     hidden_group_size_z
      - .offset:         162
        .size:           2
        .value_kind:     hidden_remainder_x
      - .offset:         164
        .size:           2
        .value_kind:     hidden_remainder_y
      - .offset:         166
        .size:           2
        .value_kind:     hidden_remainder_z
      - .offset:         184
        .size:           8
        .value_kind:     hidden_global_offset_x
      - .offset:         192
        .size:           8
        .value_kind:     hidden_global_offset_y
      - .offset:         200
        .size:           8
        .value_kind:     hidden_global_offset_z
      - .offset:         208
        .size:           2
        .value_kind:     hidden_grid_dims
      - .offset:         224
        .size:           8
        .value_kind:     hidden_hostcall_buffer
    .group_segment_fixed_size: 8192
    .kernarg_segment_align: 8
    .kernarg_segment_size: 400
    .language:       OpenCL C
    .language_version:
      - 2
      - 0
    .max_flat_workgroup_size: 256
    .name:           _Z39paged_attention_ll4mi_QKV_mfma16_kernelIDF16_hLN4vllm18Fp8KVCacheDataTypeE1EDF16_Li32ELi128ELi256ELb1ELi8EL8MFMAType1EEvPKT_PKT0_S8_ifPKiSA_SA_iPKfiiiPfSD_PS3_PT2_iSC_SC_
    .private_segment_fixed_size: 64
    .sgpr_count:     40
    .sgpr_spill_count: 0
    .symbol:         _Z39paged_attention_ll4mi_QKV_mfma16_kernelIDF16_hLN4vllm18Fp8KVCacheDataTypeE1EDF16_Li32ELi128ELi256ELb1ELi8EL8MFMAType1EEvPKT_PKT0_S8_ifPKiSA_SA_iPKfiiiPfSD_PS3_PT2_iSC_SC_.kd
    .uniform_work_group_size: 1
    .uses_dynamic_stack: false
    .vgpr_count:     45
    .vgpr_spill_count: 0
    .wavefront_size: 64
  - .agpr_count:     1
    .args:
      - .actual_access:  read_only
        .address_space:  global
        .offset:         0
        .size:           8
        .value_kind:     global_buffer
      - .actual_access:  read_only
        .address_space:  global
        .offset:         8
        .size:           8
        .value_kind:     global_buffer
      - .actual_access:  read_only
        .address_space:  global
        .offset:         16
        .size:           8
        .value_kind:     global_buffer
      - .offset:         24
        .size:           4
        .value_kind:     by_value
      - .offset:         28
        .size:           4
        .value_kind:     by_value
      - .actual_access:  read_only
        .address_space:  global
        .offset:         32
        .size:           8
        .value_kind:     global_buffer
      - .actual_access:  read_only
        .address_space:  global
        .offset:         40
        .size:           8
        .value_kind:     global_buffer
      - .actual_access:  read_only
        .address_space:  global
        .offset:         48
        .size:           8
        .value_kind:     global_buffer
      - .offset:         56
        .size:           4
        .value_kind:     by_value
      - .actual_access:  read_only
        .address_space:  global
        .offset:         64
        .size:           8
        .value_kind:     global_buffer
      - .offset:         72
        .size:           4
        .value_kind:     by_value
      - .offset:         76
        .size:           4
        .value_kind:     by_value
      - .offset:         80
        .size:           4
        .value_kind:     by_value
      - .actual_access:  read_only
        .address_space:  global
        .offset:         88
        .size:           8
        .value_kind:     global_buffer
      - .actual_access:  read_only
        .address_space:  global
        .offset:         96
        .size:           8
        .value_kind:     global_buffer
      - .actual_access:  read_only
        .address_space:  global
        .offset:         104
        .size:           8
        .value_kind:     global_buffer
      - .actual_access:  read_only
        .address_space:  global
        .offset:         112
        .size:           8
        .value_kind:     global_buffer
      - .offset:         120
        .size:           4
        .value_kind:     by_value
      - .address_space:  global
        .offset:         128
        .size:           8
        .value_kind:     global_buffer
      - .address_space:  global
        .offset:         136
        .size:           8
        .value_kind:     global_buffer
      - .offset:         144
        .size:           4
        .value_kind:     hidden_block_count_x
      - .offset:         148
        .size:           4
        .value_kind:     hidden_block_count_y
      - .offset:         152
        .size:           4
        .value_kind:     hidden_block_count_z
      - .offset:         156
        .size:           2
        .value_kind:     hidden_group_size_x
      - .offset:         158
        .size:           2
        .value_kind:     hidden_group_size_y
      - .offset:         160
        .size:           2
        .value_kind:     hidden_group_size_z
      - .offset:         162
        .size:           2
        .value_kind:     hidden_remainder_x
      - .offset:         164
        .size:           2
        .value_kind:     hidden_remainder_y
      - .offset:         166
        .size:           2
        .value_kind:     hidden_remainder_z
      - .offset:         184
        .size:           8
        .value_kind:     hidden_global_offset_x
      - .offset:         192
        .size:           8
        .value_kind:     hidden_global_offset_y
      - .offset:         200
        .size:           8
        .value_kind:     hidden_global_offset_z
      - .offset:         208
        .size:           2
        .value_kind:     hidden_grid_dims
      - .offset:         224
        .size:           8
        .value_kind:     hidden_hostcall_buffer
    .group_segment_fixed_size: 8192
    .kernarg_segment_align: 8
    .kernarg_segment_size: 400
    .language:       OpenCL C
    .language_version:
      - 2
      - 0
    .max_flat_workgroup_size: 256
    .name:           _Z39paged_attention_ll4mi_QKV_mfma16_kernelIDF16_hLN4vllm18Fp8KVCacheDataTypeE1EDF16_Li32ELi128ELi256ELb1ELi9EL8MFMAType1EEvPKT_PKT0_S8_ifPKiSA_SA_iPKfiiiPfSD_PS3_PT2_iSC_SC_
    .private_segment_fixed_size: 64
    .sgpr_count:     40
    .sgpr_spill_count: 0
    .symbol:         _Z39paged_attention_ll4mi_QKV_mfma16_kernelIDF16_hLN4vllm18Fp8KVCacheDataTypeE1EDF16_Li32ELi128ELi256ELb1ELi9EL8MFMAType1EEvPKT_PKT0_S8_ifPKiSA_SA_iPKfiiiPfSD_PS3_PT2_iSC_SC_.kd
    .uniform_work_group_size: 1
    .uses_dynamic_stack: false
    .vgpr_count:     45
    .vgpr_spill_count: 0
    .wavefront_size: 64
  - .agpr_count:     1
    .args:
      - .actual_access:  read_only
        .address_space:  global
        .offset:         0
        .size:           8
        .value_kind:     global_buffer
      - .actual_access:  read_only
        .address_space:  global
        .offset:         8
        .size:           8
        .value_kind:     global_buffer
      - .actual_access:  read_only
        .address_space:  global
        .offset:         16
        .size:           8
        .value_kind:     global_buffer
      - .offset:         24
        .size:           4
        .value_kind:     by_value
      - .offset:         28
        .size:           4
        .value_kind:     by_value
      - .actual_access:  read_only
        .address_space:  global
        .offset:         32
        .size:           8
        .value_kind:     global_buffer
      - .actual_access:  read_only
        .address_space:  global
        .offset:         40
        .size:           8
        .value_kind:     global_buffer
      - .actual_access:  read_only
        .address_space:  global
        .offset:         48
        .size:           8
        .value_kind:     global_buffer
      - .offset:         56
        .size:           4
        .value_kind:     by_value
      - .actual_access:  read_only
        .address_space:  global
        .offset:         64
        .size:           8
        .value_kind:     global_buffer
      - .offset:         72
        .size:           4
        .value_kind:     by_value
      - .offset:         76
        .size:           4
        .value_kind:     by_value
      - .offset:         80
        .size:           4
        .value_kind:     by_value
      - .actual_access:  read_only
        .address_space:  global
        .offset:         88
        .size:           8
        .value_kind:     global_buffer
      - .actual_access:  read_only
        .address_space:  global
        .offset:         96
        .size:           8
        .value_kind:     global_buffer
      - .actual_access:  read_only
        .address_space:  global
        .offset:         104
        .size:           8
        .value_kind:     global_buffer
      - .actual_access:  read_only
        .address_space:  global
        .offset:         112
        .size:           8
        .value_kind:     global_buffer
      - .offset:         120
        .size:           4
        .value_kind:     by_value
      - .address_space:  global
        .offset:         128
        .size:           8
        .value_kind:     global_buffer
      - .address_space:  global
        .offset:         136
        .size:           8
        .value_kind:     global_buffer
      - .offset:         144
        .size:           4
        .value_kind:     hidden_block_count_x
      - .offset:         148
        .size:           4
        .value_kind:     hidden_block_count_y
      - .offset:         152
        .size:           4
        .value_kind:     hidden_block_count_z
      - .offset:         156
        .size:           2
        .value_kind:     hidden_group_size_x
      - .offset:         158
        .size:           2
        .value_kind:     hidden_group_size_y
      - .offset:         160
        .size:           2
        .value_kind:     hidden_group_size_z
      - .offset:         162
        .size:           2
        .value_kind:     hidden_remainder_x
      - .offset:         164
        .size:           2
        .value_kind:     hidden_remainder_y
      - .offset:         166
        .size:           2
        .value_kind:     hidden_remainder_z
      - .offset:         184
        .size:           8
        .value_kind:     hidden_global_offset_x
      - .offset:         192
        .size:           8
        .value_kind:     hidden_global_offset_y
      - .offset:         200
        .size:           8
        .value_kind:     hidden_global_offset_z
      - .offset:         208
        .size:           2
        .value_kind:     hidden_grid_dims
      - .offset:         224
        .size:           8
        .value_kind:     hidden_hostcall_buffer
    .group_segment_fixed_size: 8192
    .kernarg_segment_align: 8
    .kernarg_segment_size: 400
    .language:       OpenCL C
    .language_version:
      - 2
      - 0
    .max_flat_workgroup_size: 256
    .name:           _Z39paged_attention_ll4mi_QKV_mfma16_kernelIDF16_hLN4vllm18Fp8KVCacheDataTypeE1EDF16_Li32ELi128ELi256ELb1ELi10EL8MFMAType1EEvPKT_PKT0_S8_ifPKiSA_SA_iPKfiiiPfSD_PS3_PT2_iSC_SC_
    .private_segment_fixed_size: 64
    .sgpr_count:     40
    .sgpr_spill_count: 0
    .symbol:         _Z39paged_attention_ll4mi_QKV_mfma16_kernelIDF16_hLN4vllm18Fp8KVCacheDataTypeE1EDF16_Li32ELi128ELi256ELb1ELi10EL8MFMAType1EEvPKT_PKT0_S8_ifPKiSA_SA_iPKfiiiPfSD_PS3_PT2_iSC_SC_.kd
    .uniform_work_group_size: 1
    .uses_dynamic_stack: false
    .vgpr_count:     45
    .vgpr_spill_count: 0
    .wavefront_size: 64
  - .agpr_count:     1
    .args:
      - .actual_access:  read_only
        .address_space:  global
        .offset:         0
        .size:           8
        .value_kind:     global_buffer
      - .actual_access:  read_only
        .address_space:  global
        .offset:         8
        .size:           8
        .value_kind:     global_buffer
      - .actual_access:  read_only
        .address_space:  global
        .offset:         16
        .size:           8
        .value_kind:     global_buffer
      - .offset:         24
        .size:           4
        .value_kind:     by_value
      - .offset:         28
        .size:           4
        .value_kind:     by_value
      - .actual_access:  read_only
        .address_space:  global
        .offset:         32
        .size:           8
        .value_kind:     global_buffer
      - .actual_access:  read_only
        .address_space:  global
        .offset:         40
        .size:           8
        .value_kind:     global_buffer
      - .actual_access:  read_only
        .address_space:  global
        .offset:         48
        .size:           8
        .value_kind:     global_buffer
      - .offset:         56
        .size:           4
        .value_kind:     by_value
      - .actual_access:  read_only
        .address_space:  global
        .offset:         64
        .size:           8
        .value_kind:     global_buffer
      - .offset:         72
        .size:           4
        .value_kind:     by_value
      - .offset:         76
        .size:           4
        .value_kind:     by_value
      - .offset:         80
        .size:           4
        .value_kind:     by_value
      - .actual_access:  read_only
        .address_space:  global
        .offset:         88
        .size:           8
        .value_kind:     global_buffer
      - .actual_access:  read_only
        .address_space:  global
        .offset:         96
        .size:           8
        .value_kind:     global_buffer
      - .actual_access:  read_only
        .address_space:  global
        .offset:         104
        .size:           8
        .value_kind:     global_buffer
      - .actual_access:  read_only
        .address_space:  global
        .offset:         112
        .size:           8
        .value_kind:     global_buffer
      - .offset:         120
        .size:           4
        .value_kind:     by_value
      - .address_space:  global
        .offset:         128
        .size:           8
        .value_kind:     global_buffer
      - .address_space:  global
        .offset:         136
        .size:           8
        .value_kind:     global_buffer
      - .offset:         144
        .size:           4
        .value_kind:     hidden_block_count_x
      - .offset:         148
        .size:           4
        .value_kind:     hidden_block_count_y
      - .offset:         152
        .size:           4
        .value_kind:     hidden_block_count_z
      - .offset:         156
        .size:           2
        .value_kind:     hidden_group_size_x
      - .offset:         158
        .size:           2
        .value_kind:     hidden_group_size_y
      - .offset:         160
        .size:           2
        .value_kind:     hidden_group_size_z
      - .offset:         162
        .size:           2
        .value_kind:     hidden_remainder_x
      - .offset:         164
        .size:           2
        .value_kind:     hidden_remainder_y
      - .offset:         166
        .size:           2
        .value_kind:     hidden_remainder_z
      - .offset:         184
        .size:           8
        .value_kind:     hidden_global_offset_x
      - .offset:         192
        .size:           8
        .value_kind:     hidden_global_offset_y
      - .offset:         200
        .size:           8
        .value_kind:     hidden_global_offset_z
      - .offset:         208
        .size:           2
        .value_kind:     hidden_grid_dims
      - .offset:         224
        .size:           8
        .value_kind:     hidden_hostcall_buffer
    .group_segment_fixed_size: 8192
    .kernarg_segment_align: 8
    .kernarg_segment_size: 400
    .language:       OpenCL C
    .language_version:
      - 2
      - 0
    .max_flat_workgroup_size: 256
    .name:           _Z39paged_attention_ll4mi_QKV_mfma16_kernelIDF16_hLN4vllm18Fp8KVCacheDataTypeE1EDF16_Li32ELi128ELi256ELb1ELi11EL8MFMAType1EEvPKT_PKT0_S8_ifPKiSA_SA_iPKfiiiPfSD_PS3_PT2_iSC_SC_
    .private_segment_fixed_size: 64
    .sgpr_count:     40
    .sgpr_spill_count: 0
    .symbol:         _Z39paged_attention_ll4mi_QKV_mfma16_kernelIDF16_hLN4vllm18Fp8KVCacheDataTypeE1EDF16_Li32ELi128ELi256ELb1ELi11EL8MFMAType1EEvPKT_PKT0_S8_ifPKiSA_SA_iPKfiiiPfSD_PS3_PT2_iSC_SC_.kd
    .uniform_work_group_size: 1
    .uses_dynamic_stack: false
    .vgpr_count:     45
    .vgpr_spill_count: 0
    .wavefront_size: 64
  - .agpr_count:     1
    .args:
      - .actual_access:  read_only
        .address_space:  global
        .offset:         0
        .size:           8
        .value_kind:     global_buffer
      - .actual_access:  read_only
        .address_space:  global
        .offset:         8
        .size:           8
        .value_kind:     global_buffer
      - .actual_access:  read_only
        .address_space:  global
        .offset:         16
        .size:           8
        .value_kind:     global_buffer
      - .offset:         24
        .size:           4
        .value_kind:     by_value
      - .offset:         28
        .size:           4
        .value_kind:     by_value
      - .actual_access:  read_only
        .address_space:  global
        .offset:         32
        .size:           8
        .value_kind:     global_buffer
      - .actual_access:  read_only
        .address_space:  global
        .offset:         40
        .size:           8
        .value_kind:     global_buffer
      - .actual_access:  read_only
        .address_space:  global
        .offset:         48
        .size:           8
        .value_kind:     global_buffer
      - .offset:         56
        .size:           4
        .value_kind:     by_value
      - .actual_access:  read_only
        .address_space:  global
        .offset:         64
        .size:           8
        .value_kind:     global_buffer
      - .offset:         72
        .size:           4
        .value_kind:     by_value
      - .offset:         76
        .size:           4
        .value_kind:     by_value
      - .offset:         80
        .size:           4
        .value_kind:     by_value
      - .actual_access:  read_only
        .address_space:  global
        .offset:         88
        .size:           8
        .value_kind:     global_buffer
      - .actual_access:  read_only
        .address_space:  global
        .offset:         96
        .size:           8
        .value_kind:     global_buffer
      - .actual_access:  read_only
        .address_space:  global
        .offset:         104
        .size:           8
        .value_kind:     global_buffer
      - .actual_access:  read_only
        .address_space:  global
        .offset:         112
        .size:           8
        .value_kind:     global_buffer
      - .offset:         120
        .size:           4
        .value_kind:     by_value
      - .address_space:  global
        .offset:         128
        .size:           8
        .value_kind:     global_buffer
      - .address_space:  global
        .offset:         136
        .size:           8
        .value_kind:     global_buffer
      - .offset:         144
        .size:           4
        .value_kind:     hidden_block_count_x
      - .offset:         148
        .size:           4
        .value_kind:     hidden_block_count_y
      - .offset:         152
        .size:           4
        .value_kind:     hidden_block_count_z
      - .offset:         156
        .size:           2
        .value_kind:     hidden_group_size_x
      - .offset:         158
        .size:           2
        .value_kind:     hidden_group_size_y
      - .offset:         160
        .size:           2
        .value_kind:     hidden_group_size_z
      - .offset:         162
        .size:           2
        .value_kind:     hidden_remainder_x
      - .offset:         164
        .size:           2
        .value_kind:     hidden_remainder_y
      - .offset:         166
        .size:           2
        .value_kind:     hidden_remainder_z
      - .offset:         184
        .size:           8
        .value_kind:     hidden_global_offset_x
      - .offset:         192
        .size:           8
        .value_kind:     hidden_global_offset_y
      - .offset:         200
        .size:           8
        .value_kind:     hidden_global_offset_z
      - .offset:         208
        .size:           2
        .value_kind:     hidden_grid_dims
      - .offset:         224
        .size:           8
        .value_kind:     hidden_hostcall_buffer
    .group_segment_fixed_size: 8192
    .kernarg_segment_align: 8
    .kernarg_segment_size: 400
    .language:       OpenCL C
    .language_version:
      - 2
      - 0
    .max_flat_workgroup_size: 256
    .name:           _Z39paged_attention_ll4mi_QKV_mfma16_kernelIDF16_hLN4vllm18Fp8KVCacheDataTypeE1EDF16_Li32ELi128ELi256ELb1ELi12EL8MFMAType1EEvPKT_PKT0_S8_ifPKiSA_SA_iPKfiiiPfSD_PS3_PT2_iSC_SC_
    .private_segment_fixed_size: 64
    .sgpr_count:     40
    .sgpr_spill_count: 0
    .symbol:         _Z39paged_attention_ll4mi_QKV_mfma16_kernelIDF16_hLN4vllm18Fp8KVCacheDataTypeE1EDF16_Li32ELi128ELi256ELb1ELi12EL8MFMAType1EEvPKT_PKT0_S8_ifPKiSA_SA_iPKfiiiPfSD_PS3_PT2_iSC_SC_.kd
    .uniform_work_group_size: 1
    .uses_dynamic_stack: false
    .vgpr_count:     45
    .vgpr_spill_count: 0
    .wavefront_size: 64
  - .agpr_count:     1
    .args:
      - .actual_access:  read_only
        .address_space:  global
        .offset:         0
        .size:           8
        .value_kind:     global_buffer
      - .actual_access:  read_only
        .address_space:  global
        .offset:         8
        .size:           8
        .value_kind:     global_buffer
      - .actual_access:  read_only
        .address_space:  global
        .offset:         16
        .size:           8
        .value_kind:     global_buffer
      - .offset:         24
        .size:           4
        .value_kind:     by_value
      - .offset:         28
        .size:           4
        .value_kind:     by_value
      - .actual_access:  read_only
        .address_space:  global
        .offset:         32
        .size:           8
        .value_kind:     global_buffer
      - .actual_access:  read_only
        .address_space:  global
        .offset:         40
        .size:           8
        .value_kind:     global_buffer
      - .actual_access:  read_only
        .address_space:  global
        .offset:         48
        .size:           8
        .value_kind:     global_buffer
      - .offset:         56
        .size:           4
        .value_kind:     by_value
      - .actual_access:  read_only
        .address_space:  global
        .offset:         64
        .size:           8
        .value_kind:     global_buffer
      - .offset:         72
        .size:           4
        .value_kind:     by_value
      - .offset:         76
        .size:           4
        .value_kind:     by_value
      - .offset:         80
        .size:           4
        .value_kind:     by_value
      - .actual_access:  read_only
        .address_space:  global
        .offset:         88
        .size:           8
        .value_kind:     global_buffer
      - .actual_access:  read_only
        .address_space:  global
        .offset:         96
        .size:           8
        .value_kind:     global_buffer
      - .actual_access:  read_only
        .address_space:  global
        .offset:         104
        .size:           8
        .value_kind:     global_buffer
      - .actual_access:  read_only
        .address_space:  global
        .offset:         112
        .size:           8
        .value_kind:     global_buffer
      - .offset:         120
        .size:           4
        .value_kind:     by_value
      - .address_space:  global
        .offset:         128
        .size:           8
        .value_kind:     global_buffer
      - .address_space:  global
        .offset:         136
        .size:           8
        .value_kind:     global_buffer
      - .offset:         144
        .size:           4
        .value_kind:     hidden_block_count_x
      - .offset:         148
        .size:           4
        .value_kind:     hidden_block_count_y
      - .offset:         152
        .size:           4
        .value_kind:     hidden_block_count_z
      - .offset:         156
        .size:           2
        .value_kind:     hidden_group_size_x
      - .offset:         158
        .size:           2
        .value_kind:     hidden_group_size_y
      - .offset:         160
        .size:           2
        .value_kind:     hidden_group_size_z
      - .offset:         162
        .size:           2
        .value_kind:     hidden_remainder_x
      - .offset:         164
        .size:           2
        .value_kind:     hidden_remainder_y
      - .offset:         166
        .size:           2
        .value_kind:     hidden_remainder_z
      - .offset:         184
        .size:           8
        .value_kind:     hidden_global_offset_x
      - .offset:         192
        .size:           8
        .value_kind:     hidden_global_offset_y
      - .offset:         200
        .size:           8
        .value_kind:     hidden_global_offset_z
      - .offset:         208
        .size:           2
        .value_kind:     hidden_grid_dims
      - .offset:         224
        .size:           8
        .value_kind:     hidden_hostcall_buffer
    .group_segment_fixed_size: 8192
    .kernarg_segment_align: 8
    .kernarg_segment_size: 400
    .language:       OpenCL C
    .language_version:
      - 2
      - 0
    .max_flat_workgroup_size: 256
    .name:           _Z39paged_attention_ll4mi_QKV_mfma16_kernelIDF16_hLN4vllm18Fp8KVCacheDataTypeE1EDF16_Li32ELi128ELi256ELb1ELi13EL8MFMAType1EEvPKT_PKT0_S8_ifPKiSA_SA_iPKfiiiPfSD_PS3_PT2_iSC_SC_
    .private_segment_fixed_size: 64
    .sgpr_count:     40
    .sgpr_spill_count: 0
    .symbol:         _Z39paged_attention_ll4mi_QKV_mfma16_kernelIDF16_hLN4vllm18Fp8KVCacheDataTypeE1EDF16_Li32ELi128ELi256ELb1ELi13EL8MFMAType1EEvPKT_PKT0_S8_ifPKiSA_SA_iPKfiiiPfSD_PS3_PT2_iSC_SC_.kd
    .uniform_work_group_size: 1
    .uses_dynamic_stack: false
    .vgpr_count:     45
    .vgpr_spill_count: 0
    .wavefront_size: 64
  - .agpr_count:     1
    .args:
      - .actual_access:  read_only
        .address_space:  global
        .offset:         0
        .size:           8
        .value_kind:     global_buffer
      - .actual_access:  read_only
        .address_space:  global
        .offset:         8
        .size:           8
        .value_kind:     global_buffer
      - .actual_access:  read_only
        .address_space:  global
        .offset:         16
        .size:           8
        .value_kind:     global_buffer
      - .offset:         24
        .size:           4
        .value_kind:     by_value
      - .offset:         28
        .size:           4
        .value_kind:     by_value
      - .actual_access:  read_only
        .address_space:  global
        .offset:         32
        .size:           8
        .value_kind:     global_buffer
      - .actual_access:  read_only
        .address_space:  global
        .offset:         40
        .size:           8
        .value_kind:     global_buffer
      - .actual_access:  read_only
        .address_space:  global
        .offset:         48
        .size:           8
        .value_kind:     global_buffer
      - .offset:         56
        .size:           4
        .value_kind:     by_value
      - .actual_access:  read_only
        .address_space:  global
        .offset:         64
        .size:           8
        .value_kind:     global_buffer
      - .offset:         72
        .size:           4
        .value_kind:     by_value
      - .offset:         76
        .size:           4
        .value_kind:     by_value
      - .offset:         80
        .size:           4
        .value_kind:     by_value
      - .actual_access:  read_only
        .address_space:  global
        .offset:         88
        .size:           8
        .value_kind:     global_buffer
      - .actual_access:  read_only
        .address_space:  global
        .offset:         96
        .size:           8
        .value_kind:     global_buffer
      - .actual_access:  read_only
        .address_space:  global
        .offset:         104
        .size:           8
        .value_kind:     global_buffer
      - .actual_access:  read_only
        .address_space:  global
        .offset:         112
        .size:           8
        .value_kind:     global_buffer
      - .offset:         120
        .size:           4
        .value_kind:     by_value
      - .address_space:  global
        .offset:         128
        .size:           8
        .value_kind:     global_buffer
      - .address_space:  global
        .offset:         136
        .size:           8
        .value_kind:     global_buffer
      - .offset:         144
        .size:           4
        .value_kind:     hidden_block_count_x
      - .offset:         148
        .size:           4
        .value_kind:     hidden_block_count_y
      - .offset:         152
        .size:           4
        .value_kind:     hidden_block_count_z
      - .offset:         156
        .size:           2
        .value_kind:     hidden_group_size_x
      - .offset:         158
        .size:           2
        .value_kind:     hidden_group_size_y
      - .offset:         160
        .size:           2
        .value_kind:     hidden_group_size_z
      - .offset:         162
        .size:           2
        .value_kind:     hidden_remainder_x
      - .offset:         164
        .size:           2
        .value_kind:     hidden_remainder_y
      - .offset:         166
        .size:           2
        .value_kind:     hidden_remainder_z
      - .offset:         184
        .size:           8
        .value_kind:     hidden_global_offset_x
      - .offset:         192
        .size:           8
        .value_kind:     hidden_global_offset_y
      - .offset:         200
        .size:           8
        .value_kind:     hidden_global_offset_z
      - .offset:         208
        .size:           2
        .value_kind:     hidden_grid_dims
      - .offset:         224
        .size:           8
        .value_kind:     hidden_hostcall_buffer
    .group_segment_fixed_size: 8192
    .kernarg_segment_align: 8
    .kernarg_segment_size: 400
    .language:       OpenCL C
    .language_version:
      - 2
      - 0
    .max_flat_workgroup_size: 256
    .name:           _Z39paged_attention_ll4mi_QKV_mfma16_kernelIDF16_hLN4vllm18Fp8KVCacheDataTypeE1EDF16_Li32ELi128ELi256ELb1ELi14EL8MFMAType1EEvPKT_PKT0_S8_ifPKiSA_SA_iPKfiiiPfSD_PS3_PT2_iSC_SC_
    .private_segment_fixed_size: 64
    .sgpr_count:     40
    .sgpr_spill_count: 0
    .symbol:         _Z39paged_attention_ll4mi_QKV_mfma16_kernelIDF16_hLN4vllm18Fp8KVCacheDataTypeE1EDF16_Li32ELi128ELi256ELb1ELi14EL8MFMAType1EEvPKT_PKT0_S8_ifPKiSA_SA_iPKfiiiPfSD_PS3_PT2_iSC_SC_.kd
    .uniform_work_group_size: 1
    .uses_dynamic_stack: false
    .vgpr_count:     45
    .vgpr_spill_count: 0
    .wavefront_size: 64
  - .agpr_count:     1
    .args:
      - .actual_access:  read_only
        .address_space:  global
        .offset:         0
        .size:           8
        .value_kind:     global_buffer
      - .actual_access:  read_only
        .address_space:  global
        .offset:         8
        .size:           8
        .value_kind:     global_buffer
      - .actual_access:  read_only
        .address_space:  global
        .offset:         16
        .size:           8
        .value_kind:     global_buffer
      - .offset:         24
        .size:           4
        .value_kind:     by_value
      - .offset:         28
        .size:           4
        .value_kind:     by_value
      - .actual_access:  read_only
        .address_space:  global
        .offset:         32
        .size:           8
        .value_kind:     global_buffer
      - .actual_access:  read_only
        .address_space:  global
        .offset:         40
        .size:           8
        .value_kind:     global_buffer
      - .actual_access:  read_only
        .address_space:  global
        .offset:         48
        .size:           8
        .value_kind:     global_buffer
      - .offset:         56
        .size:           4
        .value_kind:     by_value
      - .actual_access:  read_only
        .address_space:  global
        .offset:         64
        .size:           8
        .value_kind:     global_buffer
      - .offset:         72
        .size:           4
        .value_kind:     by_value
      - .offset:         76
        .size:           4
        .value_kind:     by_value
      - .offset:         80
        .size:           4
        .value_kind:     by_value
      - .actual_access:  read_only
        .address_space:  global
        .offset:         88
        .size:           8
        .value_kind:     global_buffer
      - .actual_access:  read_only
        .address_space:  global
        .offset:         96
        .size:           8
        .value_kind:     global_buffer
      - .actual_access:  read_only
        .address_space:  global
        .offset:         104
        .size:           8
        .value_kind:     global_buffer
      - .actual_access:  read_only
        .address_space:  global
        .offset:         112
        .size:           8
        .value_kind:     global_buffer
      - .offset:         120
        .size:           4
        .value_kind:     by_value
      - .address_space:  global
        .offset:         128
        .size:           8
        .value_kind:     global_buffer
      - .address_space:  global
        .offset:         136
        .size:           8
        .value_kind:     global_buffer
      - .offset:         144
        .size:           4
        .value_kind:     hidden_block_count_x
      - .offset:         148
        .size:           4
        .value_kind:     hidden_block_count_y
      - .offset:         152
        .size:           4
        .value_kind:     hidden_block_count_z
      - .offset:         156
        .size:           2
        .value_kind:     hidden_group_size_x
      - .offset:         158
        .size:           2
        .value_kind:     hidden_group_size_y
      - .offset:         160
        .size:           2
        .value_kind:     hidden_group_size_z
      - .offset:         162
        .size:           2
        .value_kind:     hidden_remainder_x
      - .offset:         164
        .size:           2
        .value_kind:     hidden_remainder_y
      - .offset:         166
        .size:           2
        .value_kind:     hidden_remainder_z
      - .offset:         184
        .size:           8
        .value_kind:     hidden_global_offset_x
      - .offset:         192
        .size:           8
        .value_kind:     hidden_global_offset_y
      - .offset:         200
        .size:           8
        .value_kind:     hidden_global_offset_z
      - .offset:         208
        .size:           2
        .value_kind:     hidden_grid_dims
      - .offset:         224
        .size:           8
        .value_kind:     hidden_hostcall_buffer
    .group_segment_fixed_size: 8192
    .kernarg_segment_align: 8
    .kernarg_segment_size: 400
    .language:       OpenCL C
    .language_version:
      - 2
      - 0
    .max_flat_workgroup_size: 256
    .name:           _Z39paged_attention_ll4mi_QKV_mfma16_kernelIDF16_hLN4vllm18Fp8KVCacheDataTypeE1EDF16_Li32ELi128ELi256ELb1ELi15EL8MFMAType1EEvPKT_PKT0_S8_ifPKiSA_SA_iPKfiiiPfSD_PS3_PT2_iSC_SC_
    .private_segment_fixed_size: 64
    .sgpr_count:     40
    .sgpr_spill_count: 0
    .symbol:         _Z39paged_attention_ll4mi_QKV_mfma16_kernelIDF16_hLN4vllm18Fp8KVCacheDataTypeE1EDF16_Li32ELi128ELi256ELb1ELi15EL8MFMAType1EEvPKT_PKT0_S8_ifPKiSA_SA_iPKfiiiPfSD_PS3_PT2_iSC_SC_.kd
    .uniform_work_group_size: 1
    .uses_dynamic_stack: false
    .vgpr_count:     45
    .vgpr_spill_count: 0
    .wavefront_size: 64
  - .agpr_count:     1
    .args:
      - .actual_access:  read_only
        .address_space:  global
        .offset:         0
        .size:           8
        .value_kind:     global_buffer
      - .actual_access:  read_only
        .address_space:  global
        .offset:         8
        .size:           8
        .value_kind:     global_buffer
      - .actual_access:  read_only
        .address_space:  global
        .offset:         16
        .size:           8
        .value_kind:     global_buffer
      - .offset:         24
        .size:           4
        .value_kind:     by_value
      - .offset:         28
        .size:           4
        .value_kind:     by_value
      - .actual_access:  read_only
        .address_space:  global
        .offset:         32
        .size:           8
        .value_kind:     global_buffer
      - .actual_access:  read_only
        .address_space:  global
        .offset:         40
        .size:           8
        .value_kind:     global_buffer
      - .actual_access:  read_only
        .address_space:  global
        .offset:         48
        .size:           8
        .value_kind:     global_buffer
      - .offset:         56
        .size:           4
        .value_kind:     by_value
      - .actual_access:  read_only
        .address_space:  global
        .offset:         64
        .size:           8
        .value_kind:     global_buffer
      - .offset:         72
        .size:           4
        .value_kind:     by_value
      - .offset:         76
        .size:           4
        .value_kind:     by_value
      - .offset:         80
        .size:           4
        .value_kind:     by_value
      - .actual_access:  read_only
        .address_space:  global
        .offset:         88
        .size:           8
        .value_kind:     global_buffer
      - .actual_access:  read_only
        .address_space:  global
        .offset:         96
        .size:           8
        .value_kind:     global_buffer
      - .actual_access:  read_only
        .address_space:  global
        .offset:         104
        .size:           8
        .value_kind:     global_buffer
      - .actual_access:  read_only
        .address_space:  global
        .offset:         112
        .size:           8
        .value_kind:     global_buffer
      - .offset:         120
        .size:           4
        .value_kind:     by_value
      - .address_space:  global
        .offset:         128
        .size:           8
        .value_kind:     global_buffer
      - .address_space:  global
        .offset:         136
        .size:           8
        .value_kind:     global_buffer
      - .offset:         144
        .size:           4
        .value_kind:     hidden_block_count_x
      - .offset:         148
        .size:           4
        .value_kind:     hidden_block_count_y
      - .offset:         152
        .size:           4
        .value_kind:     hidden_block_count_z
      - .offset:         156
        .size:           2
        .value_kind:     hidden_group_size_x
      - .offset:         158
        .size:           2
        .value_kind:     hidden_group_size_y
      - .offset:         160
        .size:           2
        .value_kind:     hidden_group_size_z
      - .offset:         162
        .size:           2
        .value_kind:     hidden_remainder_x
      - .offset:         164
        .size:           2
        .value_kind:     hidden_remainder_y
      - .offset:         166
        .size:           2
        .value_kind:     hidden_remainder_z
      - .offset:         184
        .size:           8
        .value_kind:     hidden_global_offset_x
      - .offset:         192
        .size:           8
        .value_kind:     hidden_global_offset_y
      - .offset:         200
        .size:           8
        .value_kind:     hidden_global_offset_z
      - .offset:         208
        .size:           2
        .value_kind:     hidden_grid_dims
      - .offset:         224
        .size:           8
        .value_kind:     hidden_hostcall_buffer
    .group_segment_fixed_size: 8192
    .kernarg_segment_align: 8
    .kernarg_segment_size: 400
    .language:       OpenCL C
    .language_version:
      - 2
      - 0
    .max_flat_workgroup_size: 256
    .name:           _Z39paged_attention_ll4mi_QKV_mfma16_kernelIDF16_hLN4vllm18Fp8KVCacheDataTypeE1EDF16_Li32ELi128ELi256ELb1ELi16EL8MFMAType1EEvPKT_PKT0_S8_ifPKiSA_SA_iPKfiiiPfSD_PS3_PT2_iSC_SC_
    .private_segment_fixed_size: 64
    .sgpr_count:     40
    .sgpr_spill_count: 0
    .symbol:         _Z39paged_attention_ll4mi_QKV_mfma16_kernelIDF16_hLN4vllm18Fp8KVCacheDataTypeE1EDF16_Li32ELi128ELi256ELb1ELi16EL8MFMAType1EEvPKT_PKT0_S8_ifPKiSA_SA_iPKfiiiPfSD_PS3_PT2_iSC_SC_.kd
    .uniform_work_group_size: 1
    .uses_dynamic_stack: false
    .vgpr_count:     45
    .vgpr_spill_count: 0
    .wavefront_size: 64
  - .agpr_count:     1
    .args:
      - .actual_access:  read_only
        .address_space:  global
        .offset:         0
        .size:           8
        .value_kind:     global_buffer
      - .actual_access:  read_only
        .address_space:  global
        .offset:         8
        .size:           8
        .value_kind:     global_buffer
      - .actual_access:  read_only
        .address_space:  global
        .offset:         16
        .size:           8
        .value_kind:     global_buffer
      - .offset:         24
        .size:           4
        .value_kind:     by_value
      - .offset:         28
        .size:           4
        .value_kind:     by_value
      - .actual_access:  read_only
        .address_space:  global
        .offset:         32
        .size:           8
        .value_kind:     global_buffer
      - .actual_access:  read_only
        .address_space:  global
        .offset:         40
        .size:           8
        .value_kind:     global_buffer
      - .actual_access:  read_only
        .address_space:  global
        .offset:         48
        .size:           8
        .value_kind:     global_buffer
      - .offset:         56
        .size:           4
        .value_kind:     by_value
      - .actual_access:  read_only
        .address_space:  global
        .offset:         64
        .size:           8
        .value_kind:     global_buffer
      - .offset:         72
        .size:           4
        .value_kind:     by_value
      - .offset:         76
        .size:           4
        .value_kind:     by_value
      - .offset:         80
        .size:           4
        .value_kind:     by_value
      - .actual_access:  read_only
        .address_space:  global
        .offset:         88
        .size:           8
        .value_kind:     global_buffer
      - .actual_access:  read_only
        .address_space:  global
        .offset:         96
        .size:           8
        .value_kind:     global_buffer
      - .actual_access:  read_only
        .address_space:  global
        .offset:         104
        .size:           8
        .value_kind:     global_buffer
      - .actual_access:  read_only
        .address_space:  global
        .offset:         112
        .size:           8
        .value_kind:     global_buffer
      - .offset:         120
        .size:           4
        .value_kind:     by_value
      - .address_space:  global
        .offset:         128
        .size:           8
        .value_kind:     global_buffer
      - .address_space:  global
        .offset:         136
        .size:           8
        .value_kind:     global_buffer
      - .offset:         144
        .size:           4
        .value_kind:     hidden_block_count_x
      - .offset:         148
        .size:           4
        .value_kind:     hidden_block_count_y
      - .offset:         152
        .size:           4
        .value_kind:     hidden_block_count_z
      - .offset:         156
        .size:           2
        .value_kind:     hidden_group_size_x
      - .offset:         158
        .size:           2
        .value_kind:     hidden_group_size_y
      - .offset:         160
        .size:           2
        .value_kind:     hidden_group_size_z
      - .offset:         162
        .size:           2
        .value_kind:     hidden_remainder_x
      - .offset:         164
        .size:           2
        .value_kind:     hidden_remainder_y
      - .offset:         166
        .size:           2
        .value_kind:     hidden_remainder_z
      - .offset:         184
        .size:           8
        .value_kind:     hidden_global_offset_x
      - .offset:         192
        .size:           8
        .value_kind:     hidden_global_offset_y
      - .offset:         200
        .size:           8
        .value_kind:     hidden_global_offset_z
      - .offset:         208
        .size:           2
        .value_kind:     hidden_grid_dims
      - .offset:         224
        .size:           8
        .value_kind:     hidden_hostcall_buffer
    .group_segment_fixed_size: 8192
    .kernarg_segment_align: 8
    .kernarg_segment_size: 400
    .language:       OpenCL C
    .language_version:
      - 2
      - 0
    .max_flat_workgroup_size: 256
    .name:           _Z39paged_attention_ll4mi_QKV_mfma16_kernelIDF16_hLN4vllm18Fp8KVCacheDataTypeE1EDF16_Li32ELi128ELi256ELb1ELi1EL8MFMAType1EEvPKT_PKT0_S8_ifPKiSA_SA_iPKfiiiPfSD_PS3_PT2_iSC_SC_
    .private_segment_fixed_size: 64
    .sgpr_count:     40
    .sgpr_spill_count: 0
    .symbol:         _Z39paged_attention_ll4mi_QKV_mfma16_kernelIDF16_hLN4vllm18Fp8KVCacheDataTypeE1EDF16_Li32ELi128ELi256ELb1ELi1EL8MFMAType1EEvPKT_PKT0_S8_ifPKiSA_SA_iPKfiiiPfSD_PS3_PT2_iSC_SC_.kd
    .uniform_work_group_size: 1
    .uses_dynamic_stack: false
    .vgpr_count:     45
    .vgpr_spill_count: 0
    .wavefront_size: 64
  - .agpr_count:     1
    .args:
      - .actual_access:  read_only
        .address_space:  global
        .offset:         0
        .size:           8
        .value_kind:     global_buffer
      - .actual_access:  read_only
        .address_space:  global
        .offset:         8
        .size:           8
        .value_kind:     global_buffer
      - .actual_access:  read_only
        .address_space:  global
        .offset:         16
        .size:           8
        .value_kind:     global_buffer
      - .offset:         24
        .size:           4
        .value_kind:     by_value
      - .offset:         28
        .size:           4
        .value_kind:     by_value
      - .actual_access:  read_only
        .address_space:  global
        .offset:         32
        .size:           8
        .value_kind:     global_buffer
      - .actual_access:  read_only
        .address_space:  global
        .offset:         40
        .size:           8
        .value_kind:     global_buffer
      - .actual_access:  read_only
        .address_space:  global
        .offset:         48
        .size:           8
        .value_kind:     global_buffer
      - .offset:         56
        .size:           4
        .value_kind:     by_value
      - .actual_access:  read_only
        .address_space:  global
        .offset:         64
        .size:           8
        .value_kind:     global_buffer
      - .offset:         72
        .size:           4
        .value_kind:     by_value
      - .offset:         76
        .size:           4
        .value_kind:     by_value
      - .offset:         80
        .size:           4
        .value_kind:     by_value
      - .actual_access:  read_only
        .address_space:  global
        .offset:         88
        .size:           8
        .value_kind:     global_buffer
      - .actual_access:  read_only
        .address_space:  global
        .offset:         96
        .size:           8
        .value_kind:     global_buffer
      - .actual_access:  read_only
        .address_space:  global
        .offset:         104
        .size:           8
        .value_kind:     global_buffer
      - .actual_access:  read_only
        .address_space:  global
        .offset:         112
        .size:           8
        .value_kind:     global_buffer
      - .offset:         120
        .size:           4
        .value_kind:     by_value
      - .address_space:  global
        .offset:         128
        .size:           8
        .value_kind:     global_buffer
      - .address_space:  global
        .offset:         136
        .size:           8
        .value_kind:     global_buffer
      - .offset:         144
        .size:           4
        .value_kind:     hidden_block_count_x
      - .offset:         148
        .size:           4
        .value_kind:     hidden_block_count_y
      - .offset:         152
        .size:           4
        .value_kind:     hidden_block_count_z
      - .offset:         156
        .size:           2
        .value_kind:     hidden_group_size_x
      - .offset:         158
        .size:           2
        .value_kind:     hidden_group_size_y
      - .offset:         160
        .size:           2
        .value_kind:     hidden_group_size_z
      - .offset:         162
        .size:           2
        .value_kind:     hidden_remainder_x
      - .offset:         164
        .size:           2
        .value_kind:     hidden_remainder_y
      - .offset:         166
        .size:           2
        .value_kind:     hidden_remainder_z
      - .offset:         184
        .size:           8
        .value_kind:     hidden_global_offset_x
      - .offset:         192
        .size:           8
        .value_kind:     hidden_global_offset_y
      - .offset:         200
        .size:           8
        .value_kind:     hidden_global_offset_z
      - .offset:         208
        .size:           2
        .value_kind:     hidden_grid_dims
      - .offset:         224
        .size:           8
        .value_kind:     hidden_hostcall_buffer
    .group_segment_fixed_size: 8192
    .kernarg_segment_align: 8
    .kernarg_segment_size: 400
    .language:       OpenCL C
    .language_version:
      - 2
      - 0
    .max_flat_workgroup_size: 256
    .name:           _Z39paged_attention_ll4mi_QKV_mfma16_kernelIDF16_hLN4vllm18Fp8KVCacheDataTypeE1EDF16_Li32ELi128ELi256ELb1ELi2EL8MFMAType1EEvPKT_PKT0_S8_ifPKiSA_SA_iPKfiiiPfSD_PS3_PT2_iSC_SC_
    .private_segment_fixed_size: 64
    .sgpr_count:     40
    .sgpr_spill_count: 0
    .symbol:         _Z39paged_attention_ll4mi_QKV_mfma16_kernelIDF16_hLN4vllm18Fp8KVCacheDataTypeE1EDF16_Li32ELi128ELi256ELb1ELi2EL8MFMAType1EEvPKT_PKT0_S8_ifPKiSA_SA_iPKfiiiPfSD_PS3_PT2_iSC_SC_.kd
    .uniform_work_group_size: 1
    .uses_dynamic_stack: false
    .vgpr_count:     45
    .vgpr_spill_count: 0
    .wavefront_size: 64
  - .agpr_count:     1
    .args:
      - .actual_access:  read_only
        .address_space:  global
        .offset:         0
        .size:           8
        .value_kind:     global_buffer
      - .actual_access:  read_only
        .address_space:  global
        .offset:         8
        .size:           8
        .value_kind:     global_buffer
      - .actual_access:  read_only
        .address_space:  global
        .offset:         16
        .size:           8
        .value_kind:     global_buffer
      - .offset:         24
        .size:           4
        .value_kind:     by_value
      - .offset:         28
        .size:           4
        .value_kind:     by_value
      - .actual_access:  read_only
        .address_space:  global
        .offset:         32
        .size:           8
        .value_kind:     global_buffer
      - .actual_access:  read_only
        .address_space:  global
        .offset:         40
        .size:           8
        .value_kind:     global_buffer
      - .actual_access:  read_only
        .address_space:  global
        .offset:         48
        .size:           8
        .value_kind:     global_buffer
      - .offset:         56
        .size:           4
        .value_kind:     by_value
      - .actual_access:  read_only
        .address_space:  global
        .offset:         64
        .size:           8
        .value_kind:     global_buffer
      - .offset:         72
        .size:           4
        .value_kind:     by_value
      - .offset:         76
        .size:           4
        .value_kind:     by_value
      - .offset:         80
        .size:           4
        .value_kind:     by_value
      - .actual_access:  read_only
        .address_space:  global
        .offset:         88
        .size:           8
        .value_kind:     global_buffer
      - .actual_access:  read_only
        .address_space:  global
        .offset:         96
        .size:           8
        .value_kind:     global_buffer
      - .actual_access:  read_only
        .address_space:  global
        .offset:         104
        .size:           8
        .value_kind:     global_buffer
      - .actual_access:  read_only
        .address_space:  global
        .offset:         112
        .size:           8
        .value_kind:     global_buffer
      - .offset:         120
        .size:           4
        .value_kind:     by_value
      - .address_space:  global
        .offset:         128
        .size:           8
        .value_kind:     global_buffer
      - .address_space:  global
        .offset:         136
        .size:           8
        .value_kind:     global_buffer
      - .offset:         144
        .size:           4
        .value_kind:     hidden_block_count_x
      - .offset:         148
        .size:           4
        .value_kind:     hidden_block_count_y
      - .offset:         152
        .size:           4
        .value_kind:     hidden_block_count_z
      - .offset:         156
        .size:           2
        .value_kind:     hidden_group_size_x
      - .offset:         158
        .size:           2
        .value_kind:     hidden_group_size_y
      - .offset:         160
        .size:           2
        .value_kind:     hidden_group_size_z
      - .offset:         162
        .size:           2
        .value_kind:     hidden_remainder_x
      - .offset:         164
        .size:           2
        .value_kind:     hidden_remainder_y
      - .offset:         166
        .size:           2
        .value_kind:     hidden_remainder_z
      - .offset:         184
        .size:           8
        .value_kind:     hidden_global_offset_x
      - .offset:         192
        .size:           8
        .value_kind:     hidden_global_offset_y
      - .offset:         200
        .size:           8
        .value_kind:     hidden_global_offset_z
      - .offset:         208
        .size:           2
        .value_kind:     hidden_grid_dims
      - .offset:         224
        .size:           8
        .value_kind:     hidden_hostcall_buffer
    .group_segment_fixed_size: 8192
    .kernarg_segment_align: 8
    .kernarg_segment_size: 400
    .language:       OpenCL C
    .language_version:
      - 2
      - 0
    .max_flat_workgroup_size: 256
    .name:           _Z39paged_attention_ll4mi_QKV_mfma16_kernelIDF16_hLN4vllm18Fp8KVCacheDataTypeE1EDF16_Li32ELi128ELi256ELb1ELi3EL8MFMAType1EEvPKT_PKT0_S8_ifPKiSA_SA_iPKfiiiPfSD_PS3_PT2_iSC_SC_
    .private_segment_fixed_size: 64
    .sgpr_count:     40
    .sgpr_spill_count: 0
    .symbol:         _Z39paged_attention_ll4mi_QKV_mfma16_kernelIDF16_hLN4vllm18Fp8KVCacheDataTypeE1EDF16_Li32ELi128ELi256ELb1ELi3EL8MFMAType1EEvPKT_PKT0_S8_ifPKiSA_SA_iPKfiiiPfSD_PS3_PT2_iSC_SC_.kd
    .uniform_work_group_size: 1
    .uses_dynamic_stack: false
    .vgpr_count:     45
    .vgpr_spill_count: 0
    .wavefront_size: 64
  - .agpr_count:     1
    .args:
      - .actual_access:  read_only
        .address_space:  global
        .offset:         0
        .size:           8
        .value_kind:     global_buffer
      - .actual_access:  read_only
        .address_space:  global
        .offset:         8
        .size:           8
        .value_kind:     global_buffer
      - .actual_access:  read_only
        .address_space:  global
        .offset:         16
        .size:           8
        .value_kind:     global_buffer
      - .offset:         24
        .size:           4
        .value_kind:     by_value
      - .offset:         28
        .size:           4
        .value_kind:     by_value
      - .actual_access:  read_only
        .address_space:  global
        .offset:         32
        .size:           8
        .value_kind:     global_buffer
      - .actual_access:  read_only
        .address_space:  global
        .offset:         40
        .size:           8
        .value_kind:     global_buffer
      - .actual_access:  read_only
        .address_space:  global
        .offset:         48
        .size:           8
        .value_kind:     global_buffer
      - .offset:         56
        .size:           4
        .value_kind:     by_value
      - .actual_access:  read_only
        .address_space:  global
        .offset:         64
        .size:           8
        .value_kind:     global_buffer
      - .offset:         72
        .size:           4
        .value_kind:     by_value
      - .offset:         76
        .size:           4
        .value_kind:     by_value
      - .offset:         80
        .size:           4
        .value_kind:     by_value
      - .actual_access:  read_only
        .address_space:  global
        .offset:         88
        .size:           8
        .value_kind:     global_buffer
      - .actual_access:  read_only
        .address_space:  global
        .offset:         96
        .size:           8
        .value_kind:     global_buffer
      - .actual_access:  read_only
        .address_space:  global
        .offset:         104
        .size:           8
        .value_kind:     global_buffer
      - .actual_access:  read_only
        .address_space:  global
        .offset:         112
        .size:           8
        .value_kind:     global_buffer
      - .offset:         120
        .size:           4
        .value_kind:     by_value
      - .address_space:  global
        .offset:         128
        .size:           8
        .value_kind:     global_buffer
      - .address_space:  global
        .offset:         136
        .size:           8
        .value_kind:     global_buffer
      - .offset:         144
        .size:           4
        .value_kind:     hidden_block_count_x
      - .offset:         148
        .size:           4
        .value_kind:     hidden_block_count_y
      - .offset:         152
        .size:           4
        .value_kind:     hidden_block_count_z
      - .offset:         156
        .size:           2
        .value_kind:     hidden_group_size_x
      - .offset:         158
        .size:           2
        .value_kind:     hidden_group_size_y
      - .offset:         160
        .size:           2
        .value_kind:     hidden_group_size_z
      - .offset:         162
        .size:           2
        .value_kind:     hidden_remainder_x
      - .offset:         164
        .size:           2
        .value_kind:     hidden_remainder_y
      - .offset:         166
        .size:           2
        .value_kind:     hidden_remainder_z
      - .offset:         184
        .size:           8
        .value_kind:     hidden_global_offset_x
      - .offset:         192
        .size:           8
        .value_kind:     hidden_global_offset_y
      - .offset:         200
        .size:           8
        .value_kind:     hidden_global_offset_z
      - .offset:         208
        .size:           2
        .value_kind:     hidden_grid_dims
      - .offset:         224
        .size:           8
        .value_kind:     hidden_hostcall_buffer
    .group_segment_fixed_size: 8192
    .kernarg_segment_align: 8
    .kernarg_segment_size: 400
    .language:       OpenCL C
    .language_version:
      - 2
      - 0
    .max_flat_workgroup_size: 256
    .name:           _Z39paged_attention_ll4mi_QKV_mfma16_kernelIDF16_hLN4vllm18Fp8KVCacheDataTypeE1EDF16_Li32ELi128ELi256ELb1ELi4EL8MFMAType1EEvPKT_PKT0_S8_ifPKiSA_SA_iPKfiiiPfSD_PS3_PT2_iSC_SC_
    .private_segment_fixed_size: 64
    .sgpr_count:     40
    .sgpr_spill_count: 0
    .symbol:         _Z39paged_attention_ll4mi_QKV_mfma16_kernelIDF16_hLN4vllm18Fp8KVCacheDataTypeE1EDF16_Li32ELi128ELi256ELb1ELi4EL8MFMAType1EEvPKT_PKT0_S8_ifPKiSA_SA_iPKfiiiPfSD_PS3_PT2_iSC_SC_.kd
    .uniform_work_group_size: 1
    .uses_dynamic_stack: false
    .vgpr_count:     45
    .vgpr_spill_count: 0
    .wavefront_size: 64
  - .agpr_count:     4
    .args:
      - .actual_access:  read_only
        .address_space:  global
        .offset:         0
        .size:           8
        .value_kind:     global_buffer
      - .actual_access:  read_only
        .address_space:  global
        .offset:         8
        .size:           8
        .value_kind:     global_buffer
      - .actual_access:  read_only
        .address_space:  global
        .offset:         16
        .size:           8
        .value_kind:     global_buffer
      - .offset:         24
        .size:           4
        .value_kind:     by_value
      - .offset:         28
        .size:           4
        .value_kind:     by_value
      - .actual_access:  read_only
        .address_space:  global
        .offset:         32
        .size:           8
        .value_kind:     global_buffer
      - .actual_access:  read_only
        .address_space:  global
        .offset:         40
        .size:           8
        .value_kind:     global_buffer
      - .actual_access:  read_only
        .address_space:  global
        .offset:         48
        .size:           8
        .value_kind:     global_buffer
      - .offset:         56
        .size:           4
        .value_kind:     by_value
      - .actual_access:  read_only
        .address_space:  global
        .offset:         64
        .size:           8
        .value_kind:     global_buffer
      - .offset:         72
        .size:           4
        .value_kind:     by_value
      - .offset:         76
        .size:           4
        .value_kind:     by_value
      - .offset:         80
        .size:           4
        .value_kind:     by_value
      - .actual_access:  write_only
        .address_space:  global
        .offset:         88
        .size:           8
        .value_kind:     global_buffer
      - .actual_access:  write_only
        .address_space:  global
        .offset:         96
        .size:           8
        .value_kind:     global_buffer
      - .actual_access:  write_only
        .address_space:  global
        .offset:         104
        .size:           8
        .value_kind:     global_buffer
      - .actual_access:  read_only
        .address_space:  global
        .offset:         112
        .size:           8
        .value_kind:     global_buffer
      - .offset:         120
        .size:           4
        .value_kind:     by_value
      - .address_space:  global
        .offset:         128
        .size:           8
        .value_kind:     global_buffer
      - .address_space:  global
        .offset:         136
        .size:           8
        .value_kind:     global_buffer
      - .offset:         144
        .size:           4
        .value_kind:     hidden_block_count_x
      - .offset:         148
        .size:           4
        .value_kind:     hidden_block_count_y
      - .offset:         152
        .size:           4
        .value_kind:     hidden_block_count_z
      - .offset:         156
        .size:           2
        .value_kind:     hidden_group_size_x
      - .offset:         158
        .size:           2
        .value_kind:     hidden_group_size_y
      - .offset:         160
        .size:           2
        .value_kind:     hidden_group_size_z
      - .offset:         162
        .size:           2
        .value_kind:     hidden_remainder_x
      - .offset:         164
        .size:           2
        .value_kind:     hidden_remainder_y
      - .offset:         166
        .size:           2
        .value_kind:     hidden_remainder_z
      - .offset:         184
        .size:           8
        .value_kind:     hidden_global_offset_x
      - .offset:         192
        .size:           8
        .value_kind:     hidden_global_offset_y
      - .offset:         200
        .size:           8
        .value_kind:     hidden_global_offset_z
      - .offset:         208
        .size:           2
        .value_kind:     hidden_grid_dims
    .group_segment_fixed_size: 5280
    .kernarg_segment_align: 8
    .kernarg_segment_size: 400
    .language:       OpenCL C
    .language_version:
      - 2
      - 0
    .max_flat_workgroup_size: 256
    .name:           _Z38paged_attention_ll4mi_QKV_mfma4_kernelIDF16_hLN4vllm18Fp8KVCacheDataTypeE1EDF16_Li32ELi128ELi256ELb0ELi1EEvPKT_PKT0_S7_ifPKiS9_S9_iPKfiiiPfSC_PS2_PT2_iSB_SB_
    .private_segment_fixed_size: 144
    .sgpr_count:     50
    .sgpr_spill_count: 0
    .symbol:         _Z38paged_attention_ll4mi_QKV_mfma4_kernelIDF16_hLN4vllm18Fp8KVCacheDataTypeE1EDF16_Li32ELi128ELi256ELb0ELi1EEvPKT_PKT0_S7_ifPKiS9_S9_iPKfiiiPfSC_PS2_PT2_iSB_SB_.kd
    .uniform_work_group_size: 1
    .uses_dynamic_stack: false
    .vgpr_count:     80
    .vgpr_spill_count: 0
    .wavefront_size: 64
  - .agpr_count:     4
    .args:
      - .actual_access:  read_only
        .address_space:  global
        .offset:         0
        .size:           8
        .value_kind:     global_buffer
      - .actual_access:  read_only
        .address_space:  global
        .offset:         8
        .size:           8
        .value_kind:     global_buffer
      - .actual_access:  read_only
        .address_space:  global
        .offset:         16
        .size:           8
        .value_kind:     global_buffer
      - .offset:         24
        .size:           4
        .value_kind:     by_value
      - .offset:         28
        .size:           4
        .value_kind:     by_value
      - .actual_access:  read_only
        .address_space:  global
        .offset:         32
        .size:           8
        .value_kind:     global_buffer
      - .actual_access:  read_only
        .address_space:  global
        .offset:         40
        .size:           8
        .value_kind:     global_buffer
      - .actual_access:  read_only
        .address_space:  global
        .offset:         48
        .size:           8
        .value_kind:     global_buffer
      - .offset:         56
        .size:           4
        .value_kind:     by_value
      - .actual_access:  read_only
        .address_space:  global
        .offset:         64
        .size:           8
        .value_kind:     global_buffer
      - .offset:         72
        .size:           4
        .value_kind:     by_value
      - .offset:         76
        .size:           4
        .value_kind:     by_value
      - .offset:         80
        .size:           4
        .value_kind:     by_value
      - .actual_access:  write_only
        .address_space:  global
        .offset:         88
        .size:           8
        .value_kind:     global_buffer
      - .actual_access:  write_only
        .address_space:  global
        .offset:         96
        .size:           8
        .value_kind:     global_buffer
      - .actual_access:  write_only
        .address_space:  global
        .offset:         104
        .size:           8
        .value_kind:     global_buffer
      - .actual_access:  read_only
        .address_space:  global
        .offset:         112
        .size:           8
        .value_kind:     global_buffer
      - .offset:         120
        .size:           4
        .value_kind:     by_value
      - .address_space:  global
        .offset:         128
        .size:           8
        .value_kind:     global_buffer
      - .address_space:  global
        .offset:         136
        .size:           8
        .value_kind:     global_buffer
      - .offset:         144
        .size:           4
        .value_kind:     hidden_block_count_x
      - .offset:         148
        .size:           4
        .value_kind:     hidden_block_count_y
      - .offset:         152
        .size:           4
        .value_kind:     hidden_block_count_z
      - .offset:         156
        .size:           2
        .value_kind:     hidden_group_size_x
      - .offset:         158
        .size:           2
        .value_kind:     hidden_group_size_y
      - .offset:         160
        .size:           2
        .value_kind:     hidden_group_size_z
      - .offset:         162
        .size:           2
        .value_kind:     hidden_remainder_x
      - .offset:         164
        .size:           2
        .value_kind:     hidden_remainder_y
      - .offset:         166
        .size:           2
        .value_kind:     hidden_remainder_z
      - .offset:         184
        .size:           8
        .value_kind:     hidden_global_offset_x
      - .offset:         192
        .size:           8
        .value_kind:     hidden_global_offset_y
      - .offset:         200
        .size:           8
        .value_kind:     hidden_global_offset_z
      - .offset:         208
        .size:           2
        .value_kind:     hidden_grid_dims
    .group_segment_fixed_size: 5280
    .kernarg_segment_align: 8
    .kernarg_segment_size: 400
    .language:       OpenCL C
    .language_version:
      - 2
      - 0
    .max_flat_workgroup_size: 256
    .name:           _Z38paged_attention_ll4mi_QKV_mfma4_kernelIDF16_hLN4vllm18Fp8KVCacheDataTypeE1EDF16_Li32ELi128ELi256ELb0ELi2EEvPKT_PKT0_S7_ifPKiS9_S9_iPKfiiiPfSC_PS2_PT2_iSB_SB_
    .private_segment_fixed_size: 144
    .sgpr_count:     50
    .sgpr_spill_count: 0
    .symbol:         _Z38paged_attention_ll4mi_QKV_mfma4_kernelIDF16_hLN4vllm18Fp8KVCacheDataTypeE1EDF16_Li32ELi128ELi256ELb0ELi2EEvPKT_PKT0_S7_ifPKiS9_S9_iPKfiiiPfSC_PS2_PT2_iSB_SB_.kd
    .uniform_work_group_size: 1
    .uses_dynamic_stack: false
    .vgpr_count:     80
    .vgpr_spill_count: 0
    .wavefront_size: 64
  - .agpr_count:     4
    .args:
      - .actual_access:  read_only
        .address_space:  global
        .offset:         0
        .size:           8
        .value_kind:     global_buffer
      - .actual_access:  read_only
        .address_space:  global
        .offset:         8
        .size:           8
        .value_kind:     global_buffer
      - .actual_access:  read_only
        .address_space:  global
        .offset:         16
        .size:           8
        .value_kind:     global_buffer
      - .offset:         24
        .size:           4
        .value_kind:     by_value
      - .offset:         28
        .size:           4
        .value_kind:     by_value
      - .actual_access:  read_only
        .address_space:  global
        .offset:         32
        .size:           8
        .value_kind:     global_buffer
      - .actual_access:  read_only
        .address_space:  global
        .offset:         40
        .size:           8
        .value_kind:     global_buffer
      - .actual_access:  read_only
        .address_space:  global
        .offset:         48
        .size:           8
        .value_kind:     global_buffer
      - .offset:         56
        .size:           4
        .value_kind:     by_value
      - .actual_access:  read_only
        .address_space:  global
        .offset:         64
        .size:           8
        .value_kind:     global_buffer
      - .offset:         72
        .size:           4
        .value_kind:     by_value
      - .offset:         76
        .size:           4
        .value_kind:     by_value
      - .offset:         80
        .size:           4
        .value_kind:     by_value
      - .actual_access:  write_only
        .address_space:  global
        .offset:         88
        .size:           8
        .value_kind:     global_buffer
      - .actual_access:  write_only
        .address_space:  global
        .offset:         96
        .size:           8
        .value_kind:     global_buffer
      - .actual_access:  write_only
        .address_space:  global
        .offset:         104
        .size:           8
        .value_kind:     global_buffer
      - .actual_access:  read_only
        .address_space:  global
        .offset:         112
        .size:           8
        .value_kind:     global_buffer
      - .offset:         120
        .size:           4
        .value_kind:     by_value
      - .address_space:  global
        .offset:         128
        .size:           8
        .value_kind:     global_buffer
      - .address_space:  global
        .offset:         136
        .size:           8
        .value_kind:     global_buffer
      - .offset:         144
        .size:           4
        .value_kind:     hidden_block_count_x
      - .offset:         148
        .size:           4
        .value_kind:     hidden_block_count_y
      - .offset:         152
        .size:           4
        .value_kind:     hidden_block_count_z
      - .offset:         156
        .size:           2
        .value_kind:     hidden_group_size_x
      - .offset:         158
        .size:           2
        .value_kind:     hidden_group_size_y
      - .offset:         160
        .size:           2
        .value_kind:     hidden_group_size_z
      - .offset:         162
        .size:           2
        .value_kind:     hidden_remainder_x
      - .offset:         164
        .size:           2
        .value_kind:     hidden_remainder_y
      - .offset:         166
        .size:           2
        .value_kind:     hidden_remainder_z
      - .offset:         184
        .size:           8
        .value_kind:     hidden_global_offset_x
      - .offset:         192
        .size:           8
        .value_kind:     hidden_global_offset_y
      - .offset:         200
        .size:           8
        .value_kind:     hidden_global_offset_z
      - .offset:         208
        .size:           2
        .value_kind:     hidden_grid_dims
    .group_segment_fixed_size: 5280
    .kernarg_segment_align: 8
    .kernarg_segment_size: 400
    .language:       OpenCL C
    .language_version:
      - 2
      - 0
    .max_flat_workgroup_size: 256
    .name:           _Z38paged_attention_ll4mi_QKV_mfma4_kernelIDF16_hLN4vllm18Fp8KVCacheDataTypeE1EDF16_Li32ELi128ELi256ELb0ELi3EEvPKT_PKT0_S7_ifPKiS9_S9_iPKfiiiPfSC_PS2_PT2_iSB_SB_
    .private_segment_fixed_size: 144
    .sgpr_count:     50
    .sgpr_spill_count: 0
    .symbol:         _Z38paged_attention_ll4mi_QKV_mfma4_kernelIDF16_hLN4vllm18Fp8KVCacheDataTypeE1EDF16_Li32ELi128ELi256ELb0ELi3EEvPKT_PKT0_S7_ifPKiS9_S9_iPKfiiiPfSC_PS2_PT2_iSB_SB_.kd
    .uniform_work_group_size: 1
    .uses_dynamic_stack: false
    .vgpr_count:     80
    .vgpr_spill_count: 0
    .wavefront_size: 64
  - .agpr_count:     4
    .args:
      - .actual_access:  read_only
        .address_space:  global
        .offset:         0
        .size:           8
        .value_kind:     global_buffer
      - .actual_access:  read_only
        .address_space:  global
        .offset:         8
        .size:           8
        .value_kind:     global_buffer
      - .actual_access:  read_only
        .address_space:  global
        .offset:         16
        .size:           8
        .value_kind:     global_buffer
      - .offset:         24
        .size:           4
        .value_kind:     by_value
      - .offset:         28
        .size:           4
        .value_kind:     by_value
      - .actual_access:  read_only
        .address_space:  global
        .offset:         32
        .size:           8
        .value_kind:     global_buffer
      - .actual_access:  read_only
        .address_space:  global
        .offset:         40
        .size:           8
        .value_kind:     global_buffer
      - .actual_access:  read_only
        .address_space:  global
        .offset:         48
        .size:           8
        .value_kind:     global_buffer
      - .offset:         56
        .size:           4
        .value_kind:     by_value
      - .actual_access:  read_only
        .address_space:  global
        .offset:         64
        .size:           8
        .value_kind:     global_buffer
      - .offset:         72
        .size:           4
        .value_kind:     by_value
      - .offset:         76
        .size:           4
        .value_kind:     by_value
      - .offset:         80
        .size:           4
        .value_kind:     by_value
      - .actual_access:  write_only
        .address_space:  global
        .offset:         88
        .size:           8
        .value_kind:     global_buffer
      - .actual_access:  write_only
        .address_space:  global
        .offset:         96
        .size:           8
        .value_kind:     global_buffer
      - .actual_access:  write_only
        .address_space:  global
        .offset:         104
        .size:           8
        .value_kind:     global_buffer
      - .actual_access:  read_only
        .address_space:  global
        .offset:         112
        .size:           8
        .value_kind:     global_buffer
      - .offset:         120
        .size:           4
        .value_kind:     by_value
      - .address_space:  global
        .offset:         128
        .size:           8
        .value_kind:     global_buffer
      - .address_space:  global
        .offset:         136
        .size:           8
        .value_kind:     global_buffer
      - .offset:         144
        .size:           4
        .value_kind:     hidden_block_count_x
      - .offset:         148
        .size:           4
        .value_kind:     hidden_block_count_y
      - .offset:         152
        .size:           4
        .value_kind:     hidden_block_count_z
      - .offset:         156
        .size:           2
        .value_kind:     hidden_group_size_x
      - .offset:         158
        .size:           2
        .value_kind:     hidden_group_size_y
      - .offset:         160
        .size:           2
        .value_kind:     hidden_group_size_z
      - .offset:         162
        .size:           2
        .value_kind:     hidden_remainder_x
      - .offset:         164
        .size:           2
        .value_kind:     hidden_remainder_y
      - .offset:         166
        .size:           2
        .value_kind:     hidden_remainder_z
      - .offset:         184
        .size:           8
        .value_kind:     hidden_global_offset_x
      - .offset:         192
        .size:           8
        .value_kind:     hidden_global_offset_y
      - .offset:         200
        .size:           8
        .value_kind:     hidden_global_offset_z
      - .offset:         208
        .size:           2
        .value_kind:     hidden_grid_dims
    .group_segment_fixed_size: 5280
    .kernarg_segment_align: 8
    .kernarg_segment_size: 400
    .language:       OpenCL C
    .language_version:
      - 2
      - 0
    .max_flat_workgroup_size: 256
    .name:           _Z38paged_attention_ll4mi_QKV_mfma4_kernelIDF16_hLN4vllm18Fp8KVCacheDataTypeE1EDF16_Li32ELi128ELi256ELb0ELi4EEvPKT_PKT0_S7_ifPKiS9_S9_iPKfiiiPfSC_PS2_PT2_iSB_SB_
    .private_segment_fixed_size: 144
    .sgpr_count:     50
    .sgpr_spill_count: 0
    .symbol:         _Z38paged_attention_ll4mi_QKV_mfma4_kernelIDF16_hLN4vllm18Fp8KVCacheDataTypeE1EDF16_Li32ELi128ELi256ELb0ELi4EEvPKT_PKT0_S7_ifPKiS9_S9_iPKfiiiPfSC_PS2_PT2_iSB_SB_.kd
    .uniform_work_group_size: 1
    .uses_dynamic_stack: false
    .vgpr_count:     72
    .vgpr_spill_count: 0
    .wavefront_size: 64
  - .agpr_count:     1
    .args:
      - .actual_access:  read_only
        .address_space:  global
        .offset:         0
        .size:           8
        .value_kind:     global_buffer
      - .actual_access:  read_only
        .address_space:  global
        .offset:         8
        .size:           8
        .value_kind:     global_buffer
      - .actual_access:  read_only
        .address_space:  global
        .offset:         16
        .size:           8
        .value_kind:     global_buffer
      - .offset:         24
        .size:           4
        .value_kind:     by_value
      - .offset:         28
        .size:           4
        .value_kind:     by_value
      - .actual_access:  read_only
        .address_space:  global
        .offset:         32
        .size:           8
        .value_kind:     global_buffer
      - .actual_access:  read_only
        .address_space:  global
        .offset:         40
        .size:           8
        .value_kind:     global_buffer
      - .actual_access:  read_only
        .address_space:  global
        .offset:         48
        .size:           8
        .value_kind:     global_buffer
      - .offset:         56
        .size:           4
        .value_kind:     by_value
      - .actual_access:  read_only
        .address_space:  global
        .offset:         64
        .size:           8
        .value_kind:     global_buffer
      - .offset:         72
        .size:           4
        .value_kind:     by_value
      - .offset:         76
        .size:           4
        .value_kind:     by_value
      - .offset:         80
        .size:           4
        .value_kind:     by_value
      - .actual_access:  read_only
        .address_space:  global
        .offset:         88
        .size:           8
        .value_kind:     global_buffer
      - .actual_access:  read_only
        .address_space:  global
        .offset:         96
        .size:           8
        .value_kind:     global_buffer
      - .actual_access:  read_only
        .address_space:  global
        .offset:         104
        .size:           8
        .value_kind:     global_buffer
      - .actual_access:  read_only
        .address_space:  global
        .offset:         112
        .size:           8
        .value_kind:     global_buffer
      - .offset:         120
        .size:           4
        .value_kind:     by_value
      - .address_space:  global
        .offset:         128
        .size:           8
        .value_kind:     global_buffer
      - .address_space:  global
        .offset:         136
        .size:           8
        .value_kind:     global_buffer
      - .offset:         144
        .size:           4
        .value_kind:     hidden_block_count_x
      - .offset:         148
        .size:           4
        .value_kind:     hidden_block_count_y
      - .offset:         152
        .size:           4
        .value_kind:     hidden_block_count_z
      - .offset:         156
        .size:           2
        .value_kind:     hidden_group_size_x
      - .offset:         158
        .size:           2
        .value_kind:     hidden_group_size_y
      - .offset:         160
        .size:           2
        .value_kind:     hidden_group_size_z
      - .offset:         162
        .size:           2
        .value_kind:     hidden_remainder_x
      - .offset:         164
        .size:           2
        .value_kind:     hidden_remainder_y
      - .offset:         166
        .size:           2
        .value_kind:     hidden_remainder_z
      - .offset:         184
        .size:           8
        .value_kind:     hidden_global_offset_x
      - .offset:         192
        .size:           8
        .value_kind:     hidden_global_offset_y
      - .offset:         200
        .size:           8
        .value_kind:     hidden_global_offset_z
      - .offset:         208
        .size:           2
        .value_kind:     hidden_grid_dims
      - .offset:         224
        .size:           8
        .value_kind:     hidden_hostcall_buffer
    .group_segment_fixed_size: 8192
    .kernarg_segment_align: 8
    .kernarg_segment_size: 400
    .language:       OpenCL C
    .language_version:
      - 2
      - 0
    .max_flat_workgroup_size: 256
    .name:           _Z39paged_attention_ll4mi_QKV_mfma16_kernelIDF16_hLN4vllm18Fp8KVCacheDataTypeE1EDF16_Li32ELi128ELi256ELb0ELi5EL8MFMAType1EEvPKT_PKT0_S8_ifPKiSA_SA_iPKfiiiPfSD_PS3_PT2_iSC_SC_
    .private_segment_fixed_size: 64
    .sgpr_count:     40
    .sgpr_spill_count: 0
    .symbol:         _Z39paged_attention_ll4mi_QKV_mfma16_kernelIDF16_hLN4vllm18Fp8KVCacheDataTypeE1EDF16_Li32ELi128ELi256ELb0ELi5EL8MFMAType1EEvPKT_PKT0_S8_ifPKiSA_SA_iPKfiiiPfSD_PS3_PT2_iSC_SC_.kd
    .uniform_work_group_size: 1
    .uses_dynamic_stack: false
    .vgpr_count:     45
    .vgpr_spill_count: 0
    .wavefront_size: 64
  - .agpr_count:     1
    .args:
      - .actual_access:  read_only
        .address_space:  global
        .offset:         0
        .size:           8
        .value_kind:     global_buffer
      - .actual_access:  read_only
        .address_space:  global
        .offset:         8
        .size:           8
        .value_kind:     global_buffer
      - .actual_access:  read_only
        .address_space:  global
        .offset:         16
        .size:           8
        .value_kind:     global_buffer
      - .offset:         24
        .size:           4
        .value_kind:     by_value
      - .offset:         28
        .size:           4
        .value_kind:     by_value
      - .actual_access:  read_only
        .address_space:  global
        .offset:         32
        .size:           8
        .value_kind:     global_buffer
      - .actual_access:  read_only
        .address_space:  global
        .offset:         40
        .size:           8
        .value_kind:     global_buffer
      - .actual_access:  read_only
        .address_space:  global
        .offset:         48
        .size:           8
        .value_kind:     global_buffer
      - .offset:         56
        .size:           4
        .value_kind:     by_value
      - .actual_access:  read_only
        .address_space:  global
        .offset:         64
        .size:           8
        .value_kind:     global_buffer
      - .offset:         72
        .size:           4
        .value_kind:     by_value
      - .offset:         76
        .size:           4
        .value_kind:     by_value
      - .offset:         80
        .size:           4
        .value_kind:     by_value
      - .actual_access:  read_only
        .address_space:  global
        .offset:         88
        .size:           8
        .value_kind:     global_buffer
      - .actual_access:  read_only
        .address_space:  global
        .offset:         96
        .size:           8
        .value_kind:     global_buffer
      - .actual_access:  read_only
        .address_space:  global
        .offset:         104
        .size:           8
        .value_kind:     global_buffer
      - .actual_access:  read_only
        .address_space:  global
        .offset:         112
        .size:           8
        .value_kind:     global_buffer
      - .offset:         120
        .size:           4
        .value_kind:     by_value
      - .address_space:  global
        .offset:         128
        .size:           8
        .value_kind:     global_buffer
      - .address_space:  global
        .offset:         136
        .size:           8
        .value_kind:     global_buffer
      - .offset:         144
        .size:           4
        .value_kind:     hidden_block_count_x
      - .offset:         148
        .size:           4
        .value_kind:     hidden_block_count_y
      - .offset:         152
        .size:           4
        .value_kind:     hidden_block_count_z
      - .offset:         156
        .size:           2
        .value_kind:     hidden_group_size_x
      - .offset:         158
        .size:           2
        .value_kind:     hidden_group_size_y
      - .offset:         160
        .size:           2
        .value_kind:     hidden_group_size_z
      - .offset:         162
        .size:           2
        .value_kind:     hidden_remainder_x
      - .offset:         164
        .size:           2
        .value_kind:     hidden_remainder_y
      - .offset:         166
        .size:           2
        .value_kind:     hidden_remainder_z
      - .offset:         184
        .size:           8
        .value_kind:     hidden_global_offset_x
      - .offset:         192
        .size:           8
        .value_kind:     hidden_global_offset_y
      - .offset:         200
        .size:           8
        .value_kind:     hidden_global_offset_z
      - .offset:         208
        .size:           2
        .value_kind:     hidden_grid_dims
      - .offset:         224
        .size:           8
        .value_kind:     hidden_hostcall_buffer
    .group_segment_fixed_size: 8192
    .kernarg_segment_align: 8
    .kernarg_segment_size: 400
    .language:       OpenCL C
    .language_version:
      - 2
      - 0
    .max_flat_workgroup_size: 256
    .name:           _Z39paged_attention_ll4mi_QKV_mfma16_kernelIDF16_hLN4vllm18Fp8KVCacheDataTypeE1EDF16_Li32ELi128ELi256ELb0ELi6EL8MFMAType1EEvPKT_PKT0_S8_ifPKiSA_SA_iPKfiiiPfSD_PS3_PT2_iSC_SC_
    .private_segment_fixed_size: 64
    .sgpr_count:     40
    .sgpr_spill_count: 0
    .symbol:         _Z39paged_attention_ll4mi_QKV_mfma16_kernelIDF16_hLN4vllm18Fp8KVCacheDataTypeE1EDF16_Li32ELi128ELi256ELb0ELi6EL8MFMAType1EEvPKT_PKT0_S8_ifPKiSA_SA_iPKfiiiPfSD_PS3_PT2_iSC_SC_.kd
    .uniform_work_group_size: 1
    .uses_dynamic_stack: false
    .vgpr_count:     45
    .vgpr_spill_count: 0
    .wavefront_size: 64
  - .agpr_count:     1
    .args:
      - .actual_access:  read_only
        .address_space:  global
        .offset:         0
        .size:           8
        .value_kind:     global_buffer
      - .actual_access:  read_only
        .address_space:  global
        .offset:         8
        .size:           8
        .value_kind:     global_buffer
      - .actual_access:  read_only
        .address_space:  global
        .offset:         16
        .size:           8
        .value_kind:     global_buffer
      - .offset:         24
        .size:           4
        .value_kind:     by_value
      - .offset:         28
        .size:           4
        .value_kind:     by_value
      - .actual_access:  read_only
        .address_space:  global
        .offset:         32
        .size:           8
        .value_kind:     global_buffer
      - .actual_access:  read_only
        .address_space:  global
        .offset:         40
        .size:           8
        .value_kind:     global_buffer
      - .actual_access:  read_only
        .address_space:  global
        .offset:         48
        .size:           8
        .value_kind:     global_buffer
      - .offset:         56
        .size:           4
        .value_kind:     by_value
      - .actual_access:  read_only
        .address_space:  global
        .offset:         64
        .size:           8
        .value_kind:     global_buffer
      - .offset:         72
        .size:           4
        .value_kind:     by_value
      - .offset:         76
        .size:           4
        .value_kind:     by_value
      - .offset:         80
        .size:           4
        .value_kind:     by_value
      - .actual_access:  read_only
        .address_space:  global
        .offset:         88
        .size:           8
        .value_kind:     global_buffer
      - .actual_access:  read_only
        .address_space:  global
        .offset:         96
        .size:           8
        .value_kind:     global_buffer
      - .actual_access:  read_only
        .address_space:  global
        .offset:         104
        .size:           8
        .value_kind:     global_buffer
      - .actual_access:  read_only
        .address_space:  global
        .offset:         112
        .size:           8
        .value_kind:     global_buffer
      - .offset:         120
        .size:           4
        .value_kind:     by_value
      - .address_space:  global
        .offset:         128
        .size:           8
        .value_kind:     global_buffer
      - .address_space:  global
        .offset:         136
        .size:           8
        .value_kind:     global_buffer
      - .offset:         144
        .size:           4
        .value_kind:     hidden_block_count_x
      - .offset:         148
        .size:           4
        .value_kind:     hidden_block_count_y
      - .offset:         152
        .size:           4
        .value_kind:     hidden_block_count_z
      - .offset:         156
        .size:           2
        .value_kind:     hidden_group_size_x
      - .offset:         158
        .size:           2
        .value_kind:     hidden_group_size_y
      - .offset:         160
        .size:           2
        .value_kind:     hidden_group_size_z
      - .offset:         162
        .size:           2
        .value_kind:     hidden_remainder_x
      - .offset:         164
        .size:           2
        .value_kind:     hidden_remainder_y
      - .offset:         166
        .size:           2
        .value_kind:     hidden_remainder_z
      - .offset:         184
        .size:           8
        .value_kind:     hidden_global_offset_x
      - .offset:         192
        .size:           8
        .value_kind:     hidden_global_offset_y
      - .offset:         200
        .size:           8
        .value_kind:     hidden_global_offset_z
      - .offset:         208
        .size:           2
        .value_kind:     hidden_grid_dims
      - .offset:         224
        .size:           8
        .value_kind:     hidden_hostcall_buffer
    .group_segment_fixed_size: 8192
    .kernarg_segment_align: 8
    .kernarg_segment_size: 400
    .language:       OpenCL C
    .language_version:
      - 2
      - 0
    .max_flat_workgroup_size: 256
    .name:           _Z39paged_attention_ll4mi_QKV_mfma16_kernelIDF16_hLN4vllm18Fp8KVCacheDataTypeE1EDF16_Li32ELi128ELi256ELb0ELi7EL8MFMAType1EEvPKT_PKT0_S8_ifPKiSA_SA_iPKfiiiPfSD_PS3_PT2_iSC_SC_
    .private_segment_fixed_size: 64
    .sgpr_count:     40
    .sgpr_spill_count: 0
    .symbol:         _Z39paged_attention_ll4mi_QKV_mfma16_kernelIDF16_hLN4vllm18Fp8KVCacheDataTypeE1EDF16_Li32ELi128ELi256ELb0ELi7EL8MFMAType1EEvPKT_PKT0_S8_ifPKiSA_SA_iPKfiiiPfSD_PS3_PT2_iSC_SC_.kd
    .uniform_work_group_size: 1
    .uses_dynamic_stack: false
    .vgpr_count:     45
    .vgpr_spill_count: 0
    .wavefront_size: 64
  - .agpr_count:     1
    .args:
      - .actual_access:  read_only
        .address_space:  global
        .offset:         0
        .size:           8
        .value_kind:     global_buffer
      - .actual_access:  read_only
        .address_space:  global
        .offset:         8
        .size:           8
        .value_kind:     global_buffer
      - .actual_access:  read_only
        .address_space:  global
        .offset:         16
        .size:           8
        .value_kind:     global_buffer
      - .offset:         24
        .size:           4
        .value_kind:     by_value
      - .offset:         28
        .size:           4
        .value_kind:     by_value
      - .actual_access:  read_only
        .address_space:  global
        .offset:         32
        .size:           8
        .value_kind:     global_buffer
      - .actual_access:  read_only
        .address_space:  global
        .offset:         40
        .size:           8
        .value_kind:     global_buffer
      - .actual_access:  read_only
        .address_space:  global
        .offset:         48
        .size:           8
        .value_kind:     global_buffer
      - .offset:         56
        .size:           4
        .value_kind:     by_value
      - .actual_access:  read_only
        .address_space:  global
        .offset:         64
        .size:           8
        .value_kind:     global_buffer
      - .offset:         72
        .size:           4
        .value_kind:     by_value
      - .offset:         76
        .size:           4
        .value_kind:     by_value
      - .offset:         80
        .size:           4
        .value_kind:     by_value
      - .actual_access:  read_only
        .address_space:  global
        .offset:         88
        .size:           8
        .value_kind:     global_buffer
      - .actual_access:  read_only
        .address_space:  global
        .offset:         96
        .size:           8
        .value_kind:     global_buffer
      - .actual_access:  read_only
        .address_space:  global
        .offset:         104
        .size:           8
        .value_kind:     global_buffer
      - .actual_access:  read_only
        .address_space:  global
        .offset:         112
        .size:           8
        .value_kind:     global_buffer
      - .offset:         120
        .size:           4
        .value_kind:     by_value
      - .address_space:  global
        .offset:         128
        .size:           8
        .value_kind:     global_buffer
      - .address_space:  global
        .offset:         136
        .size:           8
        .value_kind:     global_buffer
      - .offset:         144
        .size:           4
        .value_kind:     hidden_block_count_x
      - .offset:         148
        .size:           4
        .value_kind:     hidden_block_count_y
      - .offset:         152
        .size:           4
        .value_kind:     hidden_block_count_z
      - .offset:         156
        .size:           2
        .value_kind:     hidden_group_size_x
      - .offset:         158
        .size:           2
        .value_kind:     hidden_group_size_y
      - .offset:         160
        .size:           2
        .value_kind:     hidden_group_size_z
      - .offset:         162
        .size:           2
        .value_kind:     hidden_remainder_x
      - .offset:         164
        .size:           2
        .value_kind:     hidden_remainder_y
      - .offset:         166
        .size:           2
        .value_kind:     hidden_remainder_z
      - .offset:         184
        .size:           8
        .value_kind:     hidden_global_offset_x
      - .offset:         192
        .size:           8
        .value_kind:     hidden_global_offset_y
      - .offset:         200
        .size:           8
        .value_kind:     hidden_global_offset_z
      - .offset:         208
        .size:           2
        .value_kind:     hidden_grid_dims
      - .offset:         224
        .size:           8
        .value_kind:     hidden_hostcall_buffer
    .group_segment_fixed_size: 8192
    .kernarg_segment_align: 8
    .kernarg_segment_size: 400
    .language:       OpenCL C
    .language_version:
      - 2
      - 0
    .max_flat_workgroup_size: 256
    .name:           _Z39paged_attention_ll4mi_QKV_mfma16_kernelIDF16_hLN4vllm18Fp8KVCacheDataTypeE1EDF16_Li32ELi128ELi256ELb0ELi8EL8MFMAType1EEvPKT_PKT0_S8_ifPKiSA_SA_iPKfiiiPfSD_PS3_PT2_iSC_SC_
    .private_segment_fixed_size: 64
    .sgpr_count:     40
    .sgpr_spill_count: 0
    .symbol:         _Z39paged_attention_ll4mi_QKV_mfma16_kernelIDF16_hLN4vllm18Fp8KVCacheDataTypeE1EDF16_Li32ELi128ELi256ELb0ELi8EL8MFMAType1EEvPKT_PKT0_S8_ifPKiSA_SA_iPKfiiiPfSD_PS3_PT2_iSC_SC_.kd
    .uniform_work_group_size: 1
    .uses_dynamic_stack: false
    .vgpr_count:     45
    .vgpr_spill_count: 0
    .wavefront_size: 64
  - .agpr_count:     1
    .args:
      - .actual_access:  read_only
        .address_space:  global
        .offset:         0
        .size:           8
        .value_kind:     global_buffer
      - .actual_access:  read_only
        .address_space:  global
        .offset:         8
        .size:           8
        .value_kind:     global_buffer
      - .actual_access:  read_only
        .address_space:  global
        .offset:         16
        .size:           8
        .value_kind:     global_buffer
      - .offset:         24
        .size:           4
        .value_kind:     by_value
      - .offset:         28
        .size:           4
        .value_kind:     by_value
      - .actual_access:  read_only
        .address_space:  global
        .offset:         32
        .size:           8
        .value_kind:     global_buffer
      - .actual_access:  read_only
        .address_space:  global
        .offset:         40
        .size:           8
        .value_kind:     global_buffer
      - .actual_access:  read_only
        .address_space:  global
        .offset:         48
        .size:           8
        .value_kind:     global_buffer
      - .offset:         56
        .size:           4
        .value_kind:     by_value
      - .actual_access:  read_only
        .address_space:  global
        .offset:         64
        .size:           8
        .value_kind:     global_buffer
      - .offset:         72
        .size:           4
        .value_kind:     by_value
      - .offset:         76
        .size:           4
        .value_kind:     by_value
      - .offset:         80
        .size:           4
        .value_kind:     by_value
      - .actual_access:  read_only
        .address_space:  global
        .offset:         88
        .size:           8
        .value_kind:     global_buffer
      - .actual_access:  read_only
        .address_space:  global
        .offset:         96
        .size:           8
        .value_kind:     global_buffer
      - .actual_access:  read_only
        .address_space:  global
        .offset:         104
        .size:           8
        .value_kind:     global_buffer
      - .actual_access:  read_only
        .address_space:  global
        .offset:         112
        .size:           8
        .value_kind:     global_buffer
      - .offset:         120
        .size:           4
        .value_kind:     by_value
      - .address_space:  global
        .offset:         128
        .size:           8
        .value_kind:     global_buffer
      - .address_space:  global
        .offset:         136
        .size:           8
        .value_kind:     global_buffer
      - .offset:         144
        .size:           4
        .value_kind:     hidden_block_count_x
      - .offset:         148
        .size:           4
        .value_kind:     hidden_block_count_y
      - .offset:         152
        .size:           4
        .value_kind:     hidden_block_count_z
      - .offset:         156
        .size:           2
        .value_kind:     hidden_group_size_x
      - .offset:         158
        .size:           2
        .value_kind:     hidden_group_size_y
      - .offset:         160
        .size:           2
        .value_kind:     hidden_group_size_z
      - .offset:         162
        .size:           2
        .value_kind:     hidden_remainder_x
      - .offset:         164
        .size:           2
        .value_kind:     hidden_remainder_y
      - .offset:         166
        .size:           2
        .value_kind:     hidden_remainder_z
      - .offset:         184
        .size:           8
        .value_kind:     hidden_global_offset_x
      - .offset:         192
        .size:           8
        .value_kind:     hidden_global_offset_y
      - .offset:         200
        .size:           8
        .value_kind:     hidden_global_offset_z
      - .offset:         208
        .size:           2
        .value_kind:     hidden_grid_dims
      - .offset:         224
        .size:           8
        .value_kind:     hidden_hostcall_buffer
    .group_segment_fixed_size: 8192
    .kernarg_segment_align: 8
    .kernarg_segment_size: 400
    .language:       OpenCL C
    .language_version:
      - 2
      - 0
    .max_flat_workgroup_size: 256
    .name:           _Z39paged_attention_ll4mi_QKV_mfma16_kernelIDF16_hLN4vllm18Fp8KVCacheDataTypeE1EDF16_Li32ELi128ELi256ELb0ELi9EL8MFMAType1EEvPKT_PKT0_S8_ifPKiSA_SA_iPKfiiiPfSD_PS3_PT2_iSC_SC_
    .private_segment_fixed_size: 64
    .sgpr_count:     40
    .sgpr_spill_count: 0
    .symbol:         _Z39paged_attention_ll4mi_QKV_mfma16_kernelIDF16_hLN4vllm18Fp8KVCacheDataTypeE1EDF16_Li32ELi128ELi256ELb0ELi9EL8MFMAType1EEvPKT_PKT0_S8_ifPKiSA_SA_iPKfiiiPfSD_PS3_PT2_iSC_SC_.kd
    .uniform_work_group_size: 1
    .uses_dynamic_stack: false
    .vgpr_count:     45
    .vgpr_spill_count: 0
    .wavefront_size: 64
  - .agpr_count:     1
    .args:
      - .actual_access:  read_only
        .address_space:  global
        .offset:         0
        .size:           8
        .value_kind:     global_buffer
      - .actual_access:  read_only
        .address_space:  global
        .offset:         8
        .size:           8
        .value_kind:     global_buffer
      - .actual_access:  read_only
        .address_space:  global
        .offset:         16
        .size:           8
        .value_kind:     global_buffer
      - .offset:         24
        .size:           4
        .value_kind:     by_value
      - .offset:         28
        .size:           4
        .value_kind:     by_value
      - .actual_access:  read_only
        .address_space:  global
        .offset:         32
        .size:           8
        .value_kind:     global_buffer
      - .actual_access:  read_only
        .address_space:  global
        .offset:         40
        .size:           8
        .value_kind:     global_buffer
      - .actual_access:  read_only
        .address_space:  global
        .offset:         48
        .size:           8
        .value_kind:     global_buffer
      - .offset:         56
        .size:           4
        .value_kind:     by_value
      - .actual_access:  read_only
        .address_space:  global
        .offset:         64
        .size:           8
        .value_kind:     global_buffer
      - .offset:         72
        .size:           4
        .value_kind:     by_value
      - .offset:         76
        .size:           4
        .value_kind:     by_value
      - .offset:         80
        .size:           4
        .value_kind:     by_value
      - .actual_access:  read_only
        .address_space:  global
        .offset:         88
        .size:           8
        .value_kind:     global_buffer
      - .actual_access:  read_only
        .address_space:  global
        .offset:         96
        .size:           8
        .value_kind:     global_buffer
      - .actual_access:  read_only
        .address_space:  global
        .offset:         104
        .size:           8
        .value_kind:     global_buffer
      - .actual_access:  read_only
        .address_space:  global
        .offset:         112
        .size:           8
        .value_kind:     global_buffer
      - .offset:         120
        .size:           4
        .value_kind:     by_value
      - .address_space:  global
        .offset:         128
        .size:           8
        .value_kind:     global_buffer
      - .address_space:  global
        .offset:         136
        .size:           8
        .value_kind:     global_buffer
      - .offset:         144
        .size:           4
        .value_kind:     hidden_block_count_x
      - .offset:         148
        .size:           4
        .value_kind:     hidden_block_count_y
      - .offset:         152
        .size:           4
        .value_kind:     hidden_block_count_z
      - .offset:         156
        .size:           2
        .value_kind:     hidden_group_size_x
      - .offset:         158
        .size:           2
        .value_kind:     hidden_group_size_y
      - .offset:         160
        .size:           2
        .value_kind:     hidden_group_size_z
      - .offset:         162
        .size:           2
        .value_kind:     hidden_remainder_x
      - .offset:         164
        .size:           2
        .value_kind:     hidden_remainder_y
      - .offset:         166
        .size:           2
        .value_kind:     hidden_remainder_z
      - .offset:         184
        .size:           8
        .value_kind:     hidden_global_offset_x
      - .offset:         192
        .size:           8
        .value_kind:     hidden_global_offset_y
      - .offset:         200
        .size:           8
        .value_kind:     hidden_global_offset_z
      - .offset:         208
        .size:           2
        .value_kind:     hidden_grid_dims
      - .offset:         224
        .size:           8
        .value_kind:     hidden_hostcall_buffer
    .group_segment_fixed_size: 8192
    .kernarg_segment_align: 8
    .kernarg_segment_size: 400
    .language:       OpenCL C
    .language_version:
      - 2
      - 0
    .max_flat_workgroup_size: 256
    .name:           _Z39paged_attention_ll4mi_QKV_mfma16_kernelIDF16_hLN4vllm18Fp8KVCacheDataTypeE1EDF16_Li32ELi128ELi256ELb0ELi10EL8MFMAType1EEvPKT_PKT0_S8_ifPKiSA_SA_iPKfiiiPfSD_PS3_PT2_iSC_SC_
    .private_segment_fixed_size: 64
    .sgpr_count:     40
    .sgpr_spill_count: 0
    .symbol:         _Z39paged_attention_ll4mi_QKV_mfma16_kernelIDF16_hLN4vllm18Fp8KVCacheDataTypeE1EDF16_Li32ELi128ELi256ELb0ELi10EL8MFMAType1EEvPKT_PKT0_S8_ifPKiSA_SA_iPKfiiiPfSD_PS3_PT2_iSC_SC_.kd
    .uniform_work_group_size: 1
    .uses_dynamic_stack: false
    .vgpr_count:     45
    .vgpr_spill_count: 0
    .wavefront_size: 64
  - .agpr_count:     1
    .args:
      - .actual_access:  read_only
        .address_space:  global
        .offset:         0
        .size:           8
        .value_kind:     global_buffer
      - .actual_access:  read_only
        .address_space:  global
        .offset:         8
        .size:           8
        .value_kind:     global_buffer
      - .actual_access:  read_only
        .address_space:  global
        .offset:         16
        .size:           8
        .value_kind:     global_buffer
      - .offset:         24
        .size:           4
        .value_kind:     by_value
      - .offset:         28
        .size:           4
        .value_kind:     by_value
      - .actual_access:  read_only
        .address_space:  global
        .offset:         32
        .size:           8
        .value_kind:     global_buffer
      - .actual_access:  read_only
        .address_space:  global
        .offset:         40
        .size:           8
        .value_kind:     global_buffer
      - .actual_access:  read_only
        .address_space:  global
        .offset:         48
        .size:           8
        .value_kind:     global_buffer
      - .offset:         56
        .size:           4
        .value_kind:     by_value
      - .actual_access:  read_only
        .address_space:  global
        .offset:         64
        .size:           8
        .value_kind:     global_buffer
      - .offset:         72
        .size:           4
        .value_kind:     by_value
      - .offset:         76
        .size:           4
        .value_kind:     by_value
      - .offset:         80
        .size:           4
        .value_kind:     by_value
      - .actual_access:  read_only
        .address_space:  global
        .offset:         88
        .size:           8
        .value_kind:     global_buffer
      - .actual_access:  read_only
        .address_space:  global
        .offset:         96
        .size:           8
        .value_kind:     global_buffer
      - .actual_access:  read_only
        .address_space:  global
        .offset:         104
        .size:           8
        .value_kind:     global_buffer
      - .actual_access:  read_only
        .address_space:  global
        .offset:         112
        .size:           8
        .value_kind:     global_buffer
      - .offset:         120
        .size:           4
        .value_kind:     by_value
      - .address_space:  global
        .offset:         128
        .size:           8
        .value_kind:     global_buffer
      - .address_space:  global
        .offset:         136
        .size:           8
        .value_kind:     global_buffer
      - .offset:         144
        .size:           4
        .value_kind:     hidden_block_count_x
      - .offset:         148
        .size:           4
        .value_kind:     hidden_block_count_y
      - .offset:         152
        .size:           4
        .value_kind:     hidden_block_count_z
      - .offset:         156
        .size:           2
        .value_kind:     hidden_group_size_x
      - .offset:         158
        .size:           2
        .value_kind:     hidden_group_size_y
      - .offset:         160
        .size:           2
        .value_kind:     hidden_group_size_z
      - .offset:         162
        .size:           2
        .value_kind:     hidden_remainder_x
      - .offset:         164
        .size:           2
        .value_kind:     hidden_remainder_y
      - .offset:         166
        .size:           2
        .value_kind:     hidden_remainder_z
      - .offset:         184
        .size:           8
        .value_kind:     hidden_global_offset_x
      - .offset:         192
        .size:           8
        .value_kind:     hidden_global_offset_y
      - .offset:         200
        .size:           8
        .value_kind:     hidden_global_offset_z
      - .offset:         208
        .size:           2
        .value_kind:     hidden_grid_dims
      - .offset:         224
        .size:           8
        .value_kind:     hidden_hostcall_buffer
    .group_segment_fixed_size: 8192
    .kernarg_segment_align: 8
    .kernarg_segment_size: 400
    .language:       OpenCL C
    .language_version:
      - 2
      - 0
    .max_flat_workgroup_size: 256
    .name:           _Z39paged_attention_ll4mi_QKV_mfma16_kernelIDF16_hLN4vllm18Fp8KVCacheDataTypeE1EDF16_Li32ELi128ELi256ELb0ELi11EL8MFMAType1EEvPKT_PKT0_S8_ifPKiSA_SA_iPKfiiiPfSD_PS3_PT2_iSC_SC_
    .private_segment_fixed_size: 64
    .sgpr_count:     40
    .sgpr_spill_count: 0
    .symbol:         _Z39paged_attention_ll4mi_QKV_mfma16_kernelIDF16_hLN4vllm18Fp8KVCacheDataTypeE1EDF16_Li32ELi128ELi256ELb0ELi11EL8MFMAType1EEvPKT_PKT0_S8_ifPKiSA_SA_iPKfiiiPfSD_PS3_PT2_iSC_SC_.kd
    .uniform_work_group_size: 1
    .uses_dynamic_stack: false
    .vgpr_count:     45
    .vgpr_spill_count: 0
    .wavefront_size: 64
  - .agpr_count:     1
    .args:
      - .actual_access:  read_only
        .address_space:  global
        .offset:         0
        .size:           8
        .value_kind:     global_buffer
      - .actual_access:  read_only
        .address_space:  global
        .offset:         8
        .size:           8
        .value_kind:     global_buffer
      - .actual_access:  read_only
        .address_space:  global
        .offset:         16
        .size:           8
        .value_kind:     global_buffer
      - .offset:         24
        .size:           4
        .value_kind:     by_value
      - .offset:         28
        .size:           4
        .value_kind:     by_value
      - .actual_access:  read_only
        .address_space:  global
        .offset:         32
        .size:           8
        .value_kind:     global_buffer
      - .actual_access:  read_only
        .address_space:  global
        .offset:         40
        .size:           8
        .value_kind:     global_buffer
      - .actual_access:  read_only
        .address_space:  global
        .offset:         48
        .size:           8
        .value_kind:     global_buffer
      - .offset:         56
        .size:           4
        .value_kind:     by_value
      - .actual_access:  read_only
        .address_space:  global
        .offset:         64
        .size:           8
        .value_kind:     global_buffer
      - .offset:         72
        .size:           4
        .value_kind:     by_value
      - .offset:         76
        .size:           4
        .value_kind:     by_value
      - .offset:         80
        .size:           4
        .value_kind:     by_value
      - .actual_access:  read_only
        .address_space:  global
        .offset:         88
        .size:           8
        .value_kind:     global_buffer
      - .actual_access:  read_only
        .address_space:  global
        .offset:         96
        .size:           8
        .value_kind:     global_buffer
      - .actual_access:  read_only
        .address_space:  global
        .offset:         104
        .size:           8
        .value_kind:     global_buffer
      - .actual_access:  read_only
        .address_space:  global
        .offset:         112
        .size:           8
        .value_kind:     global_buffer
      - .offset:         120
        .size:           4
        .value_kind:     by_value
      - .address_space:  global
        .offset:         128
        .size:           8
        .value_kind:     global_buffer
      - .address_space:  global
        .offset:         136
        .size:           8
        .value_kind:     global_buffer
      - .offset:         144
        .size:           4
        .value_kind:     hidden_block_count_x
      - .offset:         148
        .size:           4
        .value_kind:     hidden_block_count_y
      - .offset:         152
        .size:           4
        .value_kind:     hidden_block_count_z
      - .offset:         156
        .size:           2
        .value_kind:     hidden_group_size_x
      - .offset:         158
        .size:           2
        .value_kind:     hidden_group_size_y
      - .offset:         160
        .size:           2
        .value_kind:     hidden_group_size_z
      - .offset:         162
        .size:           2
        .value_kind:     hidden_remainder_x
      - .offset:         164
        .size:           2
        .value_kind:     hidden_remainder_y
      - .offset:         166
        .size:           2
        .value_kind:     hidden_remainder_z
      - .offset:         184
        .size:           8
        .value_kind:     hidden_global_offset_x
      - .offset:         192
        .size:           8
        .value_kind:     hidden_global_offset_y
      - .offset:         200
        .size:           8
        .value_kind:     hidden_global_offset_z
      - .offset:         208
        .size:           2
        .value_kind:     hidden_grid_dims
      - .offset:         224
        .size:           8
        .value_kind:     hidden_hostcall_buffer
    .group_segment_fixed_size: 8192
    .kernarg_segment_align: 8
    .kernarg_segment_size: 400
    .language:       OpenCL C
    .language_version:
      - 2
      - 0
    .max_flat_workgroup_size: 256
    .name:           _Z39paged_attention_ll4mi_QKV_mfma16_kernelIDF16_hLN4vllm18Fp8KVCacheDataTypeE1EDF16_Li32ELi128ELi256ELb0ELi12EL8MFMAType1EEvPKT_PKT0_S8_ifPKiSA_SA_iPKfiiiPfSD_PS3_PT2_iSC_SC_
    .private_segment_fixed_size: 64
    .sgpr_count:     40
    .sgpr_spill_count: 0
    .symbol:         _Z39paged_attention_ll4mi_QKV_mfma16_kernelIDF16_hLN4vllm18Fp8KVCacheDataTypeE1EDF16_Li32ELi128ELi256ELb0ELi12EL8MFMAType1EEvPKT_PKT0_S8_ifPKiSA_SA_iPKfiiiPfSD_PS3_PT2_iSC_SC_.kd
    .uniform_work_group_size: 1
    .uses_dynamic_stack: false
    .vgpr_count:     45
    .vgpr_spill_count: 0
    .wavefront_size: 64
  - .agpr_count:     1
    .args:
      - .actual_access:  read_only
        .address_space:  global
        .offset:         0
        .size:           8
        .value_kind:     global_buffer
      - .actual_access:  read_only
        .address_space:  global
        .offset:         8
        .size:           8
        .value_kind:     global_buffer
      - .actual_access:  read_only
        .address_space:  global
        .offset:         16
        .size:           8
        .value_kind:     global_buffer
      - .offset:         24
        .size:           4
        .value_kind:     by_value
      - .offset:         28
        .size:           4
        .value_kind:     by_value
      - .actual_access:  read_only
        .address_space:  global
        .offset:         32
        .size:           8
        .value_kind:     global_buffer
      - .actual_access:  read_only
        .address_space:  global
        .offset:         40
        .size:           8
        .value_kind:     global_buffer
      - .actual_access:  read_only
        .address_space:  global
        .offset:         48
        .size:           8
        .value_kind:     global_buffer
      - .offset:         56
        .size:           4
        .value_kind:     by_value
      - .actual_access:  read_only
        .address_space:  global
        .offset:         64
        .size:           8
        .value_kind:     global_buffer
      - .offset:         72
        .size:           4
        .value_kind:     by_value
      - .offset:         76
        .size:           4
        .value_kind:     by_value
      - .offset:         80
        .size:           4
        .value_kind:     by_value
      - .actual_access:  read_only
        .address_space:  global
        .offset:         88
        .size:           8
        .value_kind:     global_buffer
      - .actual_access:  read_only
        .address_space:  global
        .offset:         96
        .size:           8
        .value_kind:     global_buffer
      - .actual_access:  read_only
        .address_space:  global
        .offset:         104
        .size:           8
        .value_kind:     global_buffer
      - .actual_access:  read_only
        .address_space:  global
        .offset:         112
        .size:           8
        .value_kind:     global_buffer
      - .offset:         120
        .size:           4
        .value_kind:     by_value
      - .address_space:  global
        .offset:         128
        .size:           8
        .value_kind:     global_buffer
      - .address_space:  global
        .offset:         136
        .size:           8
        .value_kind:     global_buffer
      - .offset:         144
        .size:           4
        .value_kind:     hidden_block_count_x
      - .offset:         148
        .size:           4
        .value_kind:     hidden_block_count_y
      - .offset:         152
        .size:           4
        .value_kind:     hidden_block_count_z
      - .offset:         156
        .size:           2
        .value_kind:     hidden_group_size_x
      - .offset:         158
        .size:           2
        .value_kind:     hidden_group_size_y
      - .offset:         160
        .size:           2
        .value_kind:     hidden_group_size_z
      - .offset:         162
        .size:           2
        .value_kind:     hidden_remainder_x
      - .offset:         164
        .size:           2
        .value_kind:     hidden_remainder_y
      - .offset:         166
        .size:           2
        .value_kind:     hidden_remainder_z
      - .offset:         184
        .size:           8
        .value_kind:     hidden_global_offset_x
      - .offset:         192
        .size:           8
        .value_kind:     hidden_global_offset_y
      - .offset:         200
        .size:           8
        .value_kind:     hidden_global_offset_z
      - .offset:         208
        .size:           2
        .value_kind:     hidden_grid_dims
      - .offset:         224
        .size:           8
        .value_kind:     hidden_hostcall_buffer
    .group_segment_fixed_size: 8192
    .kernarg_segment_align: 8
    .kernarg_segment_size: 400
    .language:       OpenCL C
    .language_version:
      - 2
      - 0
    .max_flat_workgroup_size: 256
    .name:           _Z39paged_attention_ll4mi_QKV_mfma16_kernelIDF16_hLN4vllm18Fp8KVCacheDataTypeE1EDF16_Li32ELi128ELi256ELb0ELi13EL8MFMAType1EEvPKT_PKT0_S8_ifPKiSA_SA_iPKfiiiPfSD_PS3_PT2_iSC_SC_
    .private_segment_fixed_size: 64
    .sgpr_count:     40
    .sgpr_spill_count: 0
    .symbol:         _Z39paged_attention_ll4mi_QKV_mfma16_kernelIDF16_hLN4vllm18Fp8KVCacheDataTypeE1EDF16_Li32ELi128ELi256ELb0ELi13EL8MFMAType1EEvPKT_PKT0_S8_ifPKiSA_SA_iPKfiiiPfSD_PS3_PT2_iSC_SC_.kd
    .uniform_work_group_size: 1
    .uses_dynamic_stack: false
    .vgpr_count:     45
    .vgpr_spill_count: 0
    .wavefront_size: 64
  - .agpr_count:     1
    .args:
      - .actual_access:  read_only
        .address_space:  global
        .offset:         0
        .size:           8
        .value_kind:     global_buffer
      - .actual_access:  read_only
        .address_space:  global
        .offset:         8
        .size:           8
        .value_kind:     global_buffer
      - .actual_access:  read_only
        .address_space:  global
        .offset:         16
        .size:           8
        .value_kind:     global_buffer
      - .offset:         24
        .size:           4
        .value_kind:     by_value
      - .offset:         28
        .size:           4
        .value_kind:     by_value
      - .actual_access:  read_only
        .address_space:  global
        .offset:         32
        .size:           8
        .value_kind:     global_buffer
      - .actual_access:  read_only
        .address_space:  global
        .offset:         40
        .size:           8
        .value_kind:     global_buffer
      - .actual_access:  read_only
        .address_space:  global
        .offset:         48
        .size:           8
        .value_kind:     global_buffer
      - .offset:         56
        .size:           4
        .value_kind:     by_value
      - .actual_access:  read_only
        .address_space:  global
        .offset:         64
        .size:           8
        .value_kind:     global_buffer
      - .offset:         72
        .size:           4
        .value_kind:     by_value
      - .offset:         76
        .size:           4
        .value_kind:     by_value
      - .offset:         80
        .size:           4
        .value_kind:     by_value
      - .actual_access:  read_only
        .address_space:  global
        .offset:         88
        .size:           8
        .value_kind:     global_buffer
      - .actual_access:  read_only
        .address_space:  global
        .offset:         96
        .size:           8
        .value_kind:     global_buffer
      - .actual_access:  read_only
        .address_space:  global
        .offset:         104
        .size:           8
        .value_kind:     global_buffer
      - .actual_access:  read_only
        .address_space:  global
        .offset:         112
        .size:           8
        .value_kind:     global_buffer
      - .offset:         120
        .size:           4
        .value_kind:     by_value
      - .address_space:  global
        .offset:         128
        .size:           8
        .value_kind:     global_buffer
      - .address_space:  global
        .offset:         136
        .size:           8
        .value_kind:     global_buffer
      - .offset:         144
        .size:           4
        .value_kind:     hidden_block_count_x
      - .offset:         148
        .size:           4
        .value_kind:     hidden_block_count_y
      - .offset:         152
        .size:           4
        .value_kind:     hidden_block_count_z
      - .offset:         156
        .size:           2
        .value_kind:     hidden_group_size_x
      - .offset:         158
        .size:           2
        .value_kind:     hidden_group_size_y
      - .offset:         160
        .size:           2
        .value_kind:     hidden_group_size_z
      - .offset:         162
        .size:           2
        .value_kind:     hidden_remainder_x
      - .offset:         164
        .size:           2
        .value_kind:     hidden_remainder_y
      - .offset:         166
        .size:           2
        .value_kind:     hidden_remainder_z
      - .offset:         184
        .size:           8
        .value_kind:     hidden_global_offset_x
      - .offset:         192
        .size:           8
        .value_kind:     hidden_global_offset_y
      - .offset:         200
        .size:           8
        .value_kind:     hidden_global_offset_z
      - .offset:         208
        .size:           2
        .value_kind:     hidden_grid_dims
      - .offset:         224
        .size:           8
        .value_kind:     hidden_hostcall_buffer
    .group_segment_fixed_size: 8192
    .kernarg_segment_align: 8
    .kernarg_segment_size: 400
    .language:       OpenCL C
    .language_version:
      - 2
      - 0
    .max_flat_workgroup_size: 256
    .name:           _Z39paged_attention_ll4mi_QKV_mfma16_kernelIDF16_hLN4vllm18Fp8KVCacheDataTypeE1EDF16_Li32ELi128ELi256ELb0ELi14EL8MFMAType1EEvPKT_PKT0_S8_ifPKiSA_SA_iPKfiiiPfSD_PS3_PT2_iSC_SC_
    .private_segment_fixed_size: 64
    .sgpr_count:     40
    .sgpr_spill_count: 0
    .symbol:         _Z39paged_attention_ll4mi_QKV_mfma16_kernelIDF16_hLN4vllm18Fp8KVCacheDataTypeE1EDF16_Li32ELi128ELi256ELb0ELi14EL8MFMAType1EEvPKT_PKT0_S8_ifPKiSA_SA_iPKfiiiPfSD_PS3_PT2_iSC_SC_.kd
    .uniform_work_group_size: 1
    .uses_dynamic_stack: false
    .vgpr_count:     45
    .vgpr_spill_count: 0
    .wavefront_size: 64
  - .agpr_count:     1
    .args:
      - .actual_access:  read_only
        .address_space:  global
        .offset:         0
        .size:           8
        .value_kind:     global_buffer
      - .actual_access:  read_only
        .address_space:  global
        .offset:         8
        .size:           8
        .value_kind:     global_buffer
      - .actual_access:  read_only
        .address_space:  global
        .offset:         16
        .size:           8
        .value_kind:     global_buffer
      - .offset:         24
        .size:           4
        .value_kind:     by_value
      - .offset:         28
        .size:           4
        .value_kind:     by_value
      - .actual_access:  read_only
        .address_space:  global
        .offset:         32
        .size:           8
        .value_kind:     global_buffer
      - .actual_access:  read_only
        .address_space:  global
        .offset:         40
        .size:           8
        .value_kind:     global_buffer
      - .actual_access:  read_only
        .address_space:  global
        .offset:         48
        .size:           8
        .value_kind:     global_buffer
      - .offset:         56
        .size:           4
        .value_kind:     by_value
      - .actual_access:  read_only
        .address_space:  global
        .offset:         64
        .size:           8
        .value_kind:     global_buffer
      - .offset:         72
        .size:           4
        .value_kind:     by_value
      - .offset:         76
        .size:           4
        .value_kind:     by_value
      - .offset:         80
        .size:           4
        .value_kind:     by_value
      - .actual_access:  read_only
        .address_space:  global
        .offset:         88
        .size:           8
        .value_kind:     global_buffer
      - .actual_access:  read_only
        .address_space:  global
        .offset:         96
        .size:           8
        .value_kind:     global_buffer
      - .actual_access:  read_only
        .address_space:  global
        .offset:         104
        .size:           8
        .value_kind:     global_buffer
      - .actual_access:  read_only
        .address_space:  global
        .offset:         112
        .size:           8
        .value_kind:     global_buffer
      - .offset:         120
        .size:           4
        .value_kind:     by_value
      - .address_space:  global
        .offset:         128
        .size:           8
        .value_kind:     global_buffer
      - .address_space:  global
        .offset:         136
        .size:           8
        .value_kind:     global_buffer
      - .offset:         144
        .size:           4
        .value_kind:     hidden_block_count_x
      - .offset:         148
        .size:           4
        .value_kind:     hidden_block_count_y
      - .offset:         152
        .size:           4
        .value_kind:     hidden_block_count_z
      - .offset:         156
        .size:           2
        .value_kind:     hidden_group_size_x
      - .offset:         158
        .size:           2
        .value_kind:     hidden_group_size_y
      - .offset:         160
        .size:           2
        .value_kind:     hidden_group_size_z
      - .offset:         162
        .size:           2
        .value_kind:     hidden_remainder_x
      - .offset:         164
        .size:           2
        .value_kind:     hidden_remainder_y
      - .offset:         166
        .size:           2
        .value_kind:     hidden_remainder_z
      - .offset:         184
        .size:           8
        .value_kind:     hidden_global_offset_x
      - .offset:         192
        .size:           8
        .value_kind:     hidden_global_offset_y
      - .offset:         200
        .size:           8
        .value_kind:     hidden_global_offset_z
      - .offset:         208
        .size:           2
        .value_kind:     hidden_grid_dims
      - .offset:         224
        .size:           8
        .value_kind:     hidden_hostcall_buffer
    .group_segment_fixed_size: 8192
    .kernarg_segment_align: 8
    .kernarg_segment_size: 400
    .language:       OpenCL C
    .language_version:
      - 2
      - 0
    .max_flat_workgroup_size: 256
    .name:           _Z39paged_attention_ll4mi_QKV_mfma16_kernelIDF16_hLN4vllm18Fp8KVCacheDataTypeE1EDF16_Li32ELi128ELi256ELb0ELi15EL8MFMAType1EEvPKT_PKT0_S8_ifPKiSA_SA_iPKfiiiPfSD_PS3_PT2_iSC_SC_
    .private_segment_fixed_size: 64
    .sgpr_count:     40
    .sgpr_spill_count: 0
    .symbol:         _Z39paged_attention_ll4mi_QKV_mfma16_kernelIDF16_hLN4vllm18Fp8KVCacheDataTypeE1EDF16_Li32ELi128ELi256ELb0ELi15EL8MFMAType1EEvPKT_PKT0_S8_ifPKiSA_SA_iPKfiiiPfSD_PS3_PT2_iSC_SC_.kd
    .uniform_work_group_size: 1
    .uses_dynamic_stack: false
    .vgpr_count:     45
    .vgpr_spill_count: 0
    .wavefront_size: 64
  - .agpr_count:     1
    .args:
      - .actual_access:  read_only
        .address_space:  global
        .offset:         0
        .size:           8
        .value_kind:     global_buffer
      - .actual_access:  read_only
        .address_space:  global
        .offset:         8
        .size:           8
        .value_kind:     global_buffer
      - .actual_access:  read_only
        .address_space:  global
        .offset:         16
        .size:           8
        .value_kind:     global_buffer
      - .offset:         24
        .size:           4
        .value_kind:     by_value
      - .offset:         28
        .size:           4
        .value_kind:     by_value
      - .actual_access:  read_only
        .address_space:  global
        .offset:         32
        .size:           8
        .value_kind:     global_buffer
      - .actual_access:  read_only
        .address_space:  global
        .offset:         40
        .size:           8
        .value_kind:     global_buffer
      - .actual_access:  read_only
        .address_space:  global
        .offset:         48
        .size:           8
        .value_kind:     global_buffer
      - .offset:         56
        .size:           4
        .value_kind:     by_value
      - .actual_access:  read_only
        .address_space:  global
        .offset:         64
        .size:           8
        .value_kind:     global_buffer
      - .offset:         72
        .size:           4
        .value_kind:     by_value
      - .offset:         76
        .size:           4
        .value_kind:     by_value
      - .offset:         80
        .size:           4
        .value_kind:     by_value
      - .actual_access:  read_only
        .address_space:  global
        .offset:         88
        .size:           8
        .value_kind:     global_buffer
      - .actual_access:  read_only
        .address_space:  global
        .offset:         96
        .size:           8
        .value_kind:     global_buffer
      - .actual_access:  read_only
        .address_space:  global
        .offset:         104
        .size:           8
        .value_kind:     global_buffer
      - .actual_access:  read_only
        .address_space:  global
        .offset:         112
        .size:           8
        .value_kind:     global_buffer
      - .offset:         120
        .size:           4
        .value_kind:     by_value
      - .address_space:  global
        .offset:         128
        .size:           8
        .value_kind:     global_buffer
      - .address_space:  global
        .offset:         136
        .size:           8
        .value_kind:     global_buffer
      - .offset:         144
        .size:           4
        .value_kind:     hidden_block_count_x
      - .offset:         148
        .size:           4
        .value_kind:     hidden_block_count_y
      - .offset:         152
        .size:           4
        .value_kind:     hidden_block_count_z
      - .offset:         156
        .size:           2
        .value_kind:     hidden_group_size_x
      - .offset:         158
        .size:           2
        .value_kind:     hidden_group_size_y
      - .offset:         160
        .size:           2
        .value_kind:     hidden_group_size_z
      - .offset:         162
        .size:           2
        .value_kind:     hidden_remainder_x
      - .offset:         164
        .size:           2
        .value_kind:     hidden_remainder_y
      - .offset:         166
        .size:           2
        .value_kind:     hidden_remainder_z
      - .offset:         184
        .size:           8
        .value_kind:     hidden_global_offset_x
      - .offset:         192
        .size:           8
        .value_kind:     hidden_global_offset_y
      - .offset:         200
        .size:           8
        .value_kind:     hidden_global_offset_z
      - .offset:         208
        .size:           2
        .value_kind:     hidden_grid_dims
      - .offset:         224
        .size:           8
        .value_kind:     hidden_hostcall_buffer
    .group_segment_fixed_size: 8192
    .kernarg_segment_align: 8
    .kernarg_segment_size: 400
    .language:       OpenCL C
    .language_version:
      - 2
      - 0
    .max_flat_workgroup_size: 256
    .name:           _Z39paged_attention_ll4mi_QKV_mfma16_kernelIDF16_hLN4vllm18Fp8KVCacheDataTypeE1EDF16_Li32ELi128ELi256ELb0ELi16EL8MFMAType1EEvPKT_PKT0_S8_ifPKiSA_SA_iPKfiiiPfSD_PS3_PT2_iSC_SC_
    .private_segment_fixed_size: 64
    .sgpr_count:     40
    .sgpr_spill_count: 0
    .symbol:         _Z39paged_attention_ll4mi_QKV_mfma16_kernelIDF16_hLN4vllm18Fp8KVCacheDataTypeE1EDF16_Li32ELi128ELi256ELb0ELi16EL8MFMAType1EEvPKT_PKT0_S8_ifPKiSA_SA_iPKfiiiPfSD_PS3_PT2_iSC_SC_.kd
    .uniform_work_group_size: 1
    .uses_dynamic_stack: false
    .vgpr_count:     45
    .vgpr_spill_count: 0
    .wavefront_size: 64
  - .agpr_count:     1
    .args:
      - .actual_access:  read_only
        .address_space:  global
        .offset:         0
        .size:           8
        .value_kind:     global_buffer
      - .actual_access:  read_only
        .address_space:  global
        .offset:         8
        .size:           8
        .value_kind:     global_buffer
      - .actual_access:  read_only
        .address_space:  global
        .offset:         16
        .size:           8
        .value_kind:     global_buffer
      - .offset:         24
        .size:           4
        .value_kind:     by_value
      - .offset:         28
        .size:           4
        .value_kind:     by_value
      - .actual_access:  read_only
        .address_space:  global
        .offset:         32
        .size:           8
        .value_kind:     global_buffer
      - .actual_access:  read_only
        .address_space:  global
        .offset:         40
        .size:           8
        .value_kind:     global_buffer
      - .actual_access:  read_only
        .address_space:  global
        .offset:         48
        .size:           8
        .value_kind:     global_buffer
      - .offset:         56
        .size:           4
        .value_kind:     by_value
      - .actual_access:  read_only
        .address_space:  global
        .offset:         64
        .size:           8
        .value_kind:     global_buffer
      - .offset:         72
        .size:           4
        .value_kind:     by_value
      - .offset:         76
        .size:           4
        .value_kind:     by_value
      - .offset:         80
        .size:           4
        .value_kind:     by_value
      - .actual_access:  read_only
        .address_space:  global
        .offset:         88
        .size:           8
        .value_kind:     global_buffer
      - .actual_access:  read_only
        .address_space:  global
        .offset:         96
        .size:           8
        .value_kind:     global_buffer
      - .actual_access:  read_only
        .address_space:  global
        .offset:         104
        .size:           8
        .value_kind:     global_buffer
      - .actual_access:  read_only
        .address_space:  global
        .offset:         112
        .size:           8
        .value_kind:     global_buffer
      - .offset:         120
        .size:           4
        .value_kind:     by_value
      - .address_space:  global
        .offset:         128
        .size:           8
        .value_kind:     global_buffer
      - .address_space:  global
        .offset:         136
        .size:           8
        .value_kind:     global_buffer
      - .offset:         144
        .size:           4
        .value_kind:     hidden_block_count_x
      - .offset:         148
        .size:           4
        .value_kind:     hidden_block_count_y
      - .offset:         152
        .size:           4
        .value_kind:     hidden_block_count_z
      - .offset:         156
        .size:           2
        .value_kind:     hidden_group_size_x
      - .offset:         158
        .size:           2
        .value_kind:     hidden_group_size_y
      - .offset:         160
        .size:           2
        .value_kind:     hidden_group_size_z
      - .offset:         162
        .size:           2
        .value_kind:     hidden_remainder_x
      - .offset:         164
        .size:           2
        .value_kind:     hidden_remainder_y
      - .offset:         166
        .size:           2
        .value_kind:     hidden_remainder_z
      - .offset:         184
        .size:           8
        .value_kind:     hidden_global_offset_x
      - .offset:         192
        .size:           8
        .value_kind:     hidden_global_offset_y
      - .offset:         200
        .size:           8
        .value_kind:     hidden_global_offset_z
      - .offset:         208
        .size:           2
        .value_kind:     hidden_grid_dims
      - .offset:         224
        .size:           8
        .value_kind:     hidden_hostcall_buffer
    .group_segment_fixed_size: 8192
    .kernarg_segment_align: 8
    .kernarg_segment_size: 400
    .language:       OpenCL C
    .language_version:
      - 2
      - 0
    .max_flat_workgroup_size: 256
    .name:           _Z39paged_attention_ll4mi_QKV_mfma16_kernelIDF16_hLN4vllm18Fp8KVCacheDataTypeE1EDF16_Li32ELi128ELi256ELb0ELi1EL8MFMAType1EEvPKT_PKT0_S8_ifPKiSA_SA_iPKfiiiPfSD_PS3_PT2_iSC_SC_
    .private_segment_fixed_size: 64
    .sgpr_count:     40
    .sgpr_spill_count: 0
    .symbol:         _Z39paged_attention_ll4mi_QKV_mfma16_kernelIDF16_hLN4vllm18Fp8KVCacheDataTypeE1EDF16_Li32ELi128ELi256ELb0ELi1EL8MFMAType1EEvPKT_PKT0_S8_ifPKiSA_SA_iPKfiiiPfSD_PS3_PT2_iSC_SC_.kd
    .uniform_work_group_size: 1
    .uses_dynamic_stack: false
    .vgpr_count:     45
    .vgpr_spill_count: 0
    .wavefront_size: 64
  - .agpr_count:     1
    .args:
      - .actual_access:  read_only
        .address_space:  global
        .offset:         0
        .size:           8
        .value_kind:     global_buffer
      - .actual_access:  read_only
        .address_space:  global
        .offset:         8
        .size:           8
        .value_kind:     global_buffer
      - .actual_access:  read_only
        .address_space:  global
        .offset:         16
        .size:           8
        .value_kind:     global_buffer
      - .offset:         24
        .size:           4
        .value_kind:     by_value
      - .offset:         28
        .size:           4
        .value_kind:     by_value
      - .actual_access:  read_only
        .address_space:  global
        .offset:         32
        .size:           8
        .value_kind:     global_buffer
      - .actual_access:  read_only
        .address_space:  global
        .offset:         40
        .size:           8
        .value_kind:     global_buffer
      - .actual_access:  read_only
        .address_space:  global
        .offset:         48
        .size:           8
        .value_kind:     global_buffer
      - .offset:         56
        .size:           4
        .value_kind:     by_value
      - .actual_access:  read_only
        .address_space:  global
        .offset:         64
        .size:           8
        .value_kind:     global_buffer
      - .offset:         72
        .size:           4
        .value_kind:     by_value
      - .offset:         76
        .size:           4
        .value_kind:     by_value
      - .offset:         80
        .size:           4
        .value_kind:     by_value
      - .actual_access:  read_only
        .address_space:  global
        .offset:         88
        .size:           8
        .value_kind:     global_buffer
      - .actual_access:  read_only
        .address_space:  global
        .offset:         96
        .size:           8
        .value_kind:     global_buffer
      - .actual_access:  read_only
        .address_space:  global
        .offset:         104
        .size:           8
        .value_kind:     global_buffer
      - .actual_access:  read_only
        .address_space:  global
        .offset:         112
        .size:           8
        .value_kind:     global_buffer
      - .offset:         120
        .size:           4
        .value_kind:     by_value
      - .address_space:  global
        .offset:         128
        .size:           8
        .value_kind:     global_buffer
      - .address_space:  global
        .offset:         136
        .size:           8
        .value_kind:     global_buffer
      - .offset:         144
        .size:           4
        .value_kind:     hidden_block_count_x
      - .offset:         148
        .size:           4
        .value_kind:     hidden_block_count_y
      - .offset:         152
        .size:           4
        .value_kind:     hidden_block_count_z
      - .offset:         156
        .size:           2
        .value_kind:     hidden_group_size_x
      - .offset:         158
        .size:           2
        .value_kind:     hidden_group_size_y
      - .offset:         160
        .size:           2
        .value_kind:     hidden_group_size_z
      - .offset:         162
        .size:           2
        .value_kind:     hidden_remainder_x
      - .offset:         164
        .size:           2
        .value_kind:     hidden_remainder_y
      - .offset:         166
        .size:           2
        .value_kind:     hidden_remainder_z
      - .offset:         184
        .size:           8
        .value_kind:     hidden_global_offset_x
      - .offset:         192
        .size:           8
        .value_kind:     hidden_global_offset_y
      - .offset:         200
        .size:           8
        .value_kind:     hidden_global_offset_z
      - .offset:         208
        .size:           2
        .value_kind:     hidden_grid_dims
      - .offset:         224
        .size:           8
        .value_kind:     hidden_hostcall_buffer
    .group_segment_fixed_size: 8192
    .kernarg_segment_align: 8
    .kernarg_segment_size: 400
    .language:       OpenCL C
    .language_version:
      - 2
      - 0
    .max_flat_workgroup_size: 256
    .name:           _Z39paged_attention_ll4mi_QKV_mfma16_kernelIDF16_hLN4vllm18Fp8KVCacheDataTypeE1EDF16_Li32ELi128ELi256ELb0ELi2EL8MFMAType1EEvPKT_PKT0_S8_ifPKiSA_SA_iPKfiiiPfSD_PS3_PT2_iSC_SC_
    .private_segment_fixed_size: 64
    .sgpr_count:     40
    .sgpr_spill_count: 0
    .symbol:         _Z39paged_attention_ll4mi_QKV_mfma16_kernelIDF16_hLN4vllm18Fp8KVCacheDataTypeE1EDF16_Li32ELi128ELi256ELb0ELi2EL8MFMAType1EEvPKT_PKT0_S8_ifPKiSA_SA_iPKfiiiPfSD_PS3_PT2_iSC_SC_.kd
    .uniform_work_group_size: 1
    .uses_dynamic_stack: false
    .vgpr_count:     45
    .vgpr_spill_count: 0
    .wavefront_size: 64
  - .agpr_count:     1
    .args:
      - .actual_access:  read_only
        .address_space:  global
        .offset:         0
        .size:           8
        .value_kind:     global_buffer
      - .actual_access:  read_only
        .address_space:  global
        .offset:         8
        .size:           8
        .value_kind:     global_buffer
      - .actual_access:  read_only
        .address_space:  global
        .offset:         16
        .size:           8
        .value_kind:     global_buffer
      - .offset:         24
        .size:           4
        .value_kind:     by_value
      - .offset:         28
        .size:           4
        .value_kind:     by_value
      - .actual_access:  read_only
        .address_space:  global
        .offset:         32
        .size:           8
        .value_kind:     global_buffer
      - .actual_access:  read_only
        .address_space:  global
        .offset:         40
        .size:           8
        .value_kind:     global_buffer
      - .actual_access:  read_only
        .address_space:  global
        .offset:         48
        .size:           8
        .value_kind:     global_buffer
      - .offset:         56
        .size:           4
        .value_kind:     by_value
      - .actual_access:  read_only
        .address_space:  global
        .offset:         64
        .size:           8
        .value_kind:     global_buffer
      - .offset:         72
        .size:           4
        .value_kind:     by_value
      - .offset:         76
        .size:           4
        .value_kind:     by_value
      - .offset:         80
        .size:           4
        .value_kind:     by_value
      - .actual_access:  read_only
        .address_space:  global
        .offset:         88
        .size:           8
        .value_kind:     global_buffer
      - .actual_access:  read_only
        .address_space:  global
        .offset:         96
        .size:           8
        .value_kind:     global_buffer
      - .actual_access:  read_only
        .address_space:  global
        .offset:         104
        .size:           8
        .value_kind:     global_buffer
      - .actual_access:  read_only
        .address_space:  global
        .offset:         112
        .size:           8
        .value_kind:     global_buffer
      - .offset:         120
        .size:           4
        .value_kind:     by_value
      - .address_space:  global
        .offset:         128
        .size:           8
        .value_kind:     global_buffer
      - .address_space:  global
        .offset:         136
        .size:           8
        .value_kind:     global_buffer
      - .offset:         144
        .size:           4
        .value_kind:     hidden_block_count_x
      - .offset:         148
        .size:           4
        .value_kind:     hidden_block_count_y
      - .offset:         152
        .size:           4
        .value_kind:     hidden_block_count_z
      - .offset:         156
        .size:           2
        .value_kind:     hidden_group_size_x
      - .offset:         158
        .size:           2
        .value_kind:     hidden_group_size_y
      - .offset:         160
        .size:           2
        .value_kind:     hidden_group_size_z
      - .offset:         162
        .size:           2
        .value_kind:     hidden_remainder_x
      - .offset:         164
        .size:           2
        .value_kind:     hidden_remainder_y
      - .offset:         166
        .size:           2
        .value_kind:     hidden_remainder_z
      - .offset:         184
        .size:           8
        .value_kind:     hidden_global_offset_x
      - .offset:         192
        .size:           8
        .value_kind:     hidden_global_offset_y
      - .offset:         200
        .size:           8
        .value_kind:     hidden_global_offset_z
      - .offset:         208
        .size:           2
        .value_kind:     hidden_grid_dims
      - .offset:         224
        .size:           8
        .value_kind:     hidden_hostcall_buffer
    .group_segment_fixed_size: 8192
    .kernarg_segment_align: 8
    .kernarg_segment_size: 400
    .language:       OpenCL C
    .language_version:
      - 2
      - 0
    .max_flat_workgroup_size: 256
    .name:           _Z39paged_attention_ll4mi_QKV_mfma16_kernelIDF16_hLN4vllm18Fp8KVCacheDataTypeE1EDF16_Li32ELi128ELi256ELb0ELi3EL8MFMAType1EEvPKT_PKT0_S8_ifPKiSA_SA_iPKfiiiPfSD_PS3_PT2_iSC_SC_
    .private_segment_fixed_size: 64
    .sgpr_count:     40
    .sgpr_spill_count: 0
    .symbol:         _Z39paged_attention_ll4mi_QKV_mfma16_kernelIDF16_hLN4vllm18Fp8KVCacheDataTypeE1EDF16_Li32ELi128ELi256ELb0ELi3EL8MFMAType1EEvPKT_PKT0_S8_ifPKiSA_SA_iPKfiiiPfSD_PS3_PT2_iSC_SC_.kd
    .uniform_work_group_size: 1
    .uses_dynamic_stack: false
    .vgpr_count:     45
    .vgpr_spill_count: 0
    .wavefront_size: 64
  - .agpr_count:     1
    .args:
      - .actual_access:  read_only
        .address_space:  global
        .offset:         0
        .size:           8
        .value_kind:     global_buffer
      - .actual_access:  read_only
        .address_space:  global
        .offset:         8
        .size:           8
        .value_kind:     global_buffer
      - .actual_access:  read_only
        .address_space:  global
        .offset:         16
        .size:           8
        .value_kind:     global_buffer
      - .offset:         24
        .size:           4
        .value_kind:     by_value
      - .offset:         28
        .size:           4
        .value_kind:     by_value
      - .actual_access:  read_only
        .address_space:  global
        .offset:         32
        .size:           8
        .value_kind:     global_buffer
      - .actual_access:  read_only
        .address_space:  global
        .offset:         40
        .size:           8
        .value_kind:     global_buffer
      - .actual_access:  read_only
        .address_space:  global
        .offset:         48
        .size:           8
        .value_kind:     global_buffer
      - .offset:         56
        .size:           4
        .value_kind:     by_value
      - .actual_access:  read_only
        .address_space:  global
        .offset:         64
        .size:           8
        .value_kind:     global_buffer
      - .offset:         72
        .size:           4
        .value_kind:     by_value
      - .offset:         76
        .size:           4
        .value_kind:     by_value
      - .offset:         80
        .size:           4
        .value_kind:     by_value
      - .actual_access:  read_only
        .address_space:  global
        .offset:         88
        .size:           8
        .value_kind:     global_buffer
      - .actual_access:  read_only
        .address_space:  global
        .offset:         96
        .size:           8
        .value_kind:     global_buffer
      - .actual_access:  read_only
        .address_space:  global
        .offset:         104
        .size:           8
        .value_kind:     global_buffer
      - .actual_access:  read_only
        .address_space:  global
        .offset:         112
        .size:           8
        .value_kind:     global_buffer
      - .offset:         120
        .size:           4
        .value_kind:     by_value
      - .address_space:  global
        .offset:         128
        .size:           8
        .value_kind:     global_buffer
      - .address_space:  global
        .offset:         136
        .size:           8
        .value_kind:     global_buffer
      - .offset:         144
        .size:           4
        .value_kind:     hidden_block_count_x
      - .offset:         148
        .size:           4
        .value_kind:     hidden_block_count_y
      - .offset:         152
        .size:           4
        .value_kind:     hidden_block_count_z
      - .offset:         156
        .size:           2
        .value_kind:     hidden_group_size_x
      - .offset:         158
        .size:           2
        .value_kind:     hidden_group_size_y
      - .offset:         160
        .size:           2
        .value_kind:     hidden_group_size_z
      - .offset:         162
        .size:           2
        .value_kind:     hidden_remainder_x
      - .offset:         164
        .size:           2
        .value_kind:     hidden_remainder_y
      - .offset:         166
        .size:           2
        .value_kind:     hidden_remainder_z
      - .offset:         184
        .size:           8
        .value_kind:     hidden_global_offset_x
      - .offset:         192
        .size:           8
        .value_kind:     hidden_global_offset_y
      - .offset:         200
        .size:           8
        .value_kind:     hidden_global_offset_z
      - .offset:         208
        .size:           2
        .value_kind:     hidden_grid_dims
      - .offset:         224
        .size:           8
        .value_kind:     hidden_hostcall_buffer
    .group_segment_fixed_size: 8192
    .kernarg_segment_align: 8
    .kernarg_segment_size: 400
    .language:       OpenCL C
    .language_version:
      - 2
      - 0
    .max_flat_workgroup_size: 256
    .name:           _Z39paged_attention_ll4mi_QKV_mfma16_kernelIDF16_hLN4vllm18Fp8KVCacheDataTypeE1EDF16_Li32ELi128ELi256ELb0ELi4EL8MFMAType1EEvPKT_PKT0_S8_ifPKiSA_SA_iPKfiiiPfSD_PS3_PT2_iSC_SC_
    .private_segment_fixed_size: 64
    .sgpr_count:     40
    .sgpr_spill_count: 0
    .symbol:         _Z39paged_attention_ll4mi_QKV_mfma16_kernelIDF16_hLN4vllm18Fp8KVCacheDataTypeE1EDF16_Li32ELi128ELi256ELb0ELi4EL8MFMAType1EEvPKT_PKT0_S8_ifPKiSA_SA_iPKfiiiPfSD_PS3_PT2_iSC_SC_.kd
    .uniform_work_group_size: 1
    .uses_dynamic_stack: false
    .vgpr_count:     45
    .vgpr_spill_count: 0
    .wavefront_size: 64
  - .agpr_count:     0
    .args:
      - .actual_access:  read_only
        .address_space:  global
        .offset:         0
        .size:           8
        .value_kind:     global_buffer
      - .actual_access:  read_only
        .address_space:  global
        .offset:         8
        .size:           8
        .value_kind:     global_buffer
      - .actual_access:  read_only
        .address_space:  global
        .offset:         16
        .size:           8
        .value_kind:     global_buffer
      - .offset:         24
        .size:           4
        .value_kind:     by_value
      - .offset:         28
        .size:           4
        .value_kind:     by_value
      - .actual_access:  read_only
        .address_space:  global
        .offset:         32
        .size:           8
        .value_kind:     global_buffer
      - .actual_access:  read_only
        .address_space:  global
        .offset:         40
        .size:           8
        .value_kind:     global_buffer
      - .actual_access:  read_only
        .address_space:  global
        .offset:         48
        .size:           8
        .value_kind:     global_buffer
      - .offset:         56
        .size:           4
        .value_kind:     by_value
      - .actual_access:  read_only
        .address_space:  global
        .offset:         64
        .size:           8
        .value_kind:     global_buffer
      - .offset:         72
        .size:           4
        .value_kind:     by_value
      - .offset:         76
        .size:           4
        .value_kind:     by_value
      - .offset:         80
        .size:           4
        .value_kind:     by_value
      - .actual_access:  write_only
        .address_space:  global
        .offset:         88
        .size:           8
        .value_kind:     global_buffer
      - .actual_access:  write_only
        .address_space:  global
        .offset:         96
        .size:           8
        .value_kind:     global_buffer
      - .actual_access:  write_only
        .address_space:  global
        .offset:         104
        .size:           8
        .value_kind:     global_buffer
      - .actual_access:  read_only
        .address_space:  global
        .offset:         112
        .size:           8
        .value_kind:     global_buffer
      - .offset:         120
        .size:           4
        .value_kind:     by_value
      - .address_space:  global
        .offset:         128
        .size:           8
        .value_kind:     global_buffer
      - .address_space:  global
        .offset:         136
        .size:           8
        .value_kind:     global_buffer
      - .offset:         144
        .size:           4
        .value_kind:     hidden_block_count_x
      - .offset:         148
        .size:           4
        .value_kind:     hidden_block_count_y
      - .offset:         152
        .size:           4
        .value_kind:     hidden_block_count_z
      - .offset:         156
        .size:           2
        .value_kind:     hidden_group_size_x
      - .offset:         158
        .size:           2
        .value_kind:     hidden_group_size_y
      - .offset:         160
        .size:           2
        .value_kind:     hidden_group_size_z
      - .offset:         162
        .size:           2
        .value_kind:     hidden_remainder_x
      - .offset:         164
        .size:           2
        .value_kind:     hidden_remainder_y
      - .offset:         166
        .size:           2
        .value_kind:     hidden_remainder_z
      - .offset:         184
        .size:           8
        .value_kind:     hidden_global_offset_x
      - .offset:         192
        .size:           8
        .value_kind:     hidden_global_offset_y
      - .offset:         200
        .size:           8
        .value_kind:     hidden_global_offset_z
      - .offset:         208
        .size:           2
        .value_kind:     hidden_grid_dims
    .group_segment_fixed_size: 8192
    .kernarg_segment_align: 8
    .kernarg_segment_size: 400
    .language:       OpenCL C
    .language_version:
      - 2
      - 0
    .max_flat_workgroup_size: 256
    .name:           _Z39paged_attention_ll4mi_QKV_mfma16_kernelIDF16_hLN4vllm18Fp8KVCacheDataTypeE1EDF16_Li16ELi64ELi256ELb1ELi5EL8MFMAType0EEvPKT_PKT0_S8_ifPKiSA_SA_iPKfiiiPfSD_PS3_PT2_iSC_SC_
    .private_segment_fixed_size: 0
    .sgpr_count:     51
    .sgpr_spill_count: 0
    .symbol:         _Z39paged_attention_ll4mi_QKV_mfma16_kernelIDF16_hLN4vllm18Fp8KVCacheDataTypeE1EDF16_Li16ELi64ELi256ELb1ELi5EL8MFMAType0EEvPKT_PKT0_S8_ifPKiSA_SA_iPKfiiiPfSD_PS3_PT2_iSC_SC_.kd
    .uniform_work_group_size: 1
    .uses_dynamic_stack: false
    .vgpr_count:     62
    .vgpr_spill_count: 0
    .wavefront_size: 64
  - .agpr_count:     0
    .args:
      - .actual_access:  read_only
        .address_space:  global
        .offset:         0
        .size:           8
        .value_kind:     global_buffer
      - .actual_access:  read_only
        .address_space:  global
        .offset:         8
        .size:           8
        .value_kind:     global_buffer
      - .actual_access:  read_only
        .address_space:  global
        .offset:         16
        .size:           8
        .value_kind:     global_buffer
      - .offset:         24
        .size:           4
        .value_kind:     by_value
      - .offset:         28
        .size:           4
        .value_kind:     by_value
      - .actual_access:  read_only
        .address_space:  global
        .offset:         32
        .size:           8
        .value_kind:     global_buffer
      - .actual_access:  read_only
        .address_space:  global
        .offset:         40
        .size:           8
        .value_kind:     global_buffer
      - .actual_access:  read_only
        .address_space:  global
        .offset:         48
        .size:           8
        .value_kind:     global_buffer
      - .offset:         56
        .size:           4
        .value_kind:     by_value
      - .actual_access:  read_only
        .address_space:  global
        .offset:         64
        .size:           8
        .value_kind:     global_buffer
      - .offset:         72
        .size:           4
        .value_kind:     by_value
      - .offset:         76
        .size:           4
        .value_kind:     by_value
      - .offset:         80
        .size:           4
        .value_kind:     by_value
      - .actual_access:  write_only
        .address_space:  global
        .offset:         88
        .size:           8
        .value_kind:     global_buffer
      - .actual_access:  write_only
        .address_space:  global
        .offset:         96
        .size:           8
        .value_kind:     global_buffer
      - .actual_access:  write_only
        .address_space:  global
        .offset:         104
        .size:           8
        .value_kind:     global_buffer
      - .actual_access:  read_only
        .address_space:  global
        .offset:         112
        .size:           8
        .value_kind:     global_buffer
      - .offset:         120
        .size:           4
        .value_kind:     by_value
      - .address_space:  global
        .offset:         128
        .size:           8
        .value_kind:     global_buffer
      - .address_space:  global
        .offset:         136
        .size:           8
        .value_kind:     global_buffer
      - .offset:         144
        .size:           4
        .value_kind:     hidden_block_count_x
      - .offset:         148
        .size:           4
        .value_kind:     hidden_block_count_y
      - .offset:         152
        .size:           4
        .value_kind:     hidden_block_count_z
      - .offset:         156
        .size:           2
        .value_kind:     hidden_group_size_x
      - .offset:         158
        .size:           2
        .value_kind:     hidden_group_size_y
      - .offset:         160
        .size:           2
        .value_kind:     hidden_group_size_z
      - .offset:         162
        .size:           2
        .value_kind:     hidden_remainder_x
      - .offset:         164
        .size:           2
        .value_kind:     hidden_remainder_y
      - .offset:         166
        .size:           2
        .value_kind:     hidden_remainder_z
      - .offset:         184
        .size:           8
        .value_kind:     hidden_global_offset_x
      - .offset:         192
        .size:           8
        .value_kind:     hidden_global_offset_y
      - .offset:         200
        .size:           8
        .value_kind:     hidden_global_offset_z
      - .offset:         208
        .size:           2
        .value_kind:     hidden_grid_dims
    .group_segment_fixed_size: 8192
    .kernarg_segment_align: 8
    .kernarg_segment_size: 400
    .language:       OpenCL C
    .language_version:
      - 2
      - 0
    .max_flat_workgroup_size: 256
    .name:           _Z39paged_attention_ll4mi_QKV_mfma16_kernelIDF16_hLN4vllm18Fp8KVCacheDataTypeE1EDF16_Li16ELi64ELi256ELb1ELi6EL8MFMAType0EEvPKT_PKT0_S8_ifPKiSA_SA_iPKfiiiPfSD_PS3_PT2_iSC_SC_
    .private_segment_fixed_size: 0
    .sgpr_count:     51
    .sgpr_spill_count: 0
    .symbol:         _Z39paged_attention_ll4mi_QKV_mfma16_kernelIDF16_hLN4vllm18Fp8KVCacheDataTypeE1EDF16_Li16ELi64ELi256ELb1ELi6EL8MFMAType0EEvPKT_PKT0_S8_ifPKiSA_SA_iPKfiiiPfSD_PS3_PT2_iSC_SC_.kd
    .uniform_work_group_size: 1
    .uses_dynamic_stack: false
    .vgpr_count:     62
    .vgpr_spill_count: 0
    .wavefront_size: 64
  - .agpr_count:     0
    .args:
      - .actual_access:  read_only
        .address_space:  global
        .offset:         0
        .size:           8
        .value_kind:     global_buffer
      - .actual_access:  read_only
        .address_space:  global
        .offset:         8
        .size:           8
        .value_kind:     global_buffer
      - .actual_access:  read_only
        .address_space:  global
        .offset:         16
        .size:           8
        .value_kind:     global_buffer
      - .offset:         24
        .size:           4
        .value_kind:     by_value
      - .offset:         28
        .size:           4
        .value_kind:     by_value
      - .actual_access:  read_only
        .address_space:  global
        .offset:         32
        .size:           8
        .value_kind:     global_buffer
      - .actual_access:  read_only
        .address_space:  global
        .offset:         40
        .size:           8
        .value_kind:     global_buffer
      - .actual_access:  read_only
        .address_space:  global
        .offset:         48
        .size:           8
        .value_kind:     global_buffer
      - .offset:         56
        .size:           4
        .value_kind:     by_value
      - .actual_access:  read_only
        .address_space:  global
        .offset:         64
        .size:           8
        .value_kind:     global_buffer
      - .offset:         72
        .size:           4
        .value_kind:     by_value
      - .offset:         76
        .size:           4
        .value_kind:     by_value
      - .offset:         80
        .size:           4
        .value_kind:     by_value
      - .actual_access:  write_only
        .address_space:  global
        .offset:         88
        .size:           8
        .value_kind:     global_buffer
      - .actual_access:  write_only
        .address_space:  global
        .offset:         96
        .size:           8
        .value_kind:     global_buffer
      - .actual_access:  write_only
        .address_space:  global
        .offset:         104
        .size:           8
        .value_kind:     global_buffer
      - .actual_access:  read_only
        .address_space:  global
        .offset:         112
        .size:           8
        .value_kind:     global_buffer
      - .offset:         120
        .size:           4
        .value_kind:     by_value
      - .address_space:  global
        .offset:         128
        .size:           8
        .value_kind:     global_buffer
      - .address_space:  global
        .offset:         136
        .size:           8
        .value_kind:     global_buffer
      - .offset:         144
        .size:           4
        .value_kind:     hidden_block_count_x
      - .offset:         148
        .size:           4
        .value_kind:     hidden_block_count_y
      - .offset:         152
        .size:           4
        .value_kind:     hidden_block_count_z
      - .offset:         156
        .size:           2
        .value_kind:     hidden_group_size_x
      - .offset:         158
        .size:           2
        .value_kind:     hidden_group_size_y
      - .offset:         160
        .size:           2
        .value_kind:     hidden_group_size_z
      - .offset:         162
        .size:           2
        .value_kind:     hidden_remainder_x
      - .offset:         164
        .size:           2
        .value_kind:     hidden_remainder_y
      - .offset:         166
        .size:           2
        .value_kind:     hidden_remainder_z
      - .offset:         184
        .size:           8
        .value_kind:     hidden_global_offset_x
      - .offset:         192
        .size:           8
        .value_kind:     hidden_global_offset_y
      - .offset:         200
        .size:           8
        .value_kind:     hidden_global_offset_z
      - .offset:         208
        .size:           2
        .value_kind:     hidden_grid_dims
    .group_segment_fixed_size: 8192
    .kernarg_segment_align: 8
    .kernarg_segment_size: 400
    .language:       OpenCL C
    .language_version:
      - 2
      - 0
    .max_flat_workgroup_size: 256
    .name:           _Z39paged_attention_ll4mi_QKV_mfma16_kernelIDF16_hLN4vllm18Fp8KVCacheDataTypeE1EDF16_Li16ELi64ELi256ELb1ELi7EL8MFMAType0EEvPKT_PKT0_S8_ifPKiSA_SA_iPKfiiiPfSD_PS3_PT2_iSC_SC_
    .private_segment_fixed_size: 0
    .sgpr_count:     51
    .sgpr_spill_count: 0
    .symbol:         _Z39paged_attention_ll4mi_QKV_mfma16_kernelIDF16_hLN4vllm18Fp8KVCacheDataTypeE1EDF16_Li16ELi64ELi256ELb1ELi7EL8MFMAType0EEvPKT_PKT0_S8_ifPKiSA_SA_iPKfiiiPfSD_PS3_PT2_iSC_SC_.kd
    .uniform_work_group_size: 1
    .uses_dynamic_stack: false
    .vgpr_count:     62
    .vgpr_spill_count: 0
    .wavefront_size: 64
  - .agpr_count:     0
    .args:
      - .actual_access:  read_only
        .address_space:  global
        .offset:         0
        .size:           8
        .value_kind:     global_buffer
      - .actual_access:  read_only
        .address_space:  global
        .offset:         8
        .size:           8
        .value_kind:     global_buffer
      - .actual_access:  read_only
        .address_space:  global
        .offset:         16
        .size:           8
        .value_kind:     global_buffer
      - .offset:         24
        .size:           4
        .value_kind:     by_value
      - .offset:         28
        .size:           4
        .value_kind:     by_value
      - .actual_access:  read_only
        .address_space:  global
        .offset:         32
        .size:           8
        .value_kind:     global_buffer
      - .actual_access:  read_only
        .address_space:  global
        .offset:         40
        .size:           8
        .value_kind:     global_buffer
      - .actual_access:  read_only
        .address_space:  global
        .offset:         48
        .size:           8
        .value_kind:     global_buffer
      - .offset:         56
        .size:           4
        .value_kind:     by_value
      - .actual_access:  read_only
        .address_space:  global
        .offset:         64
        .size:           8
        .value_kind:     global_buffer
      - .offset:         72
        .size:           4
        .value_kind:     by_value
      - .offset:         76
        .size:           4
        .value_kind:     by_value
      - .offset:         80
        .size:           4
        .value_kind:     by_value
      - .actual_access:  write_only
        .address_space:  global
        .offset:         88
        .size:           8
        .value_kind:     global_buffer
      - .actual_access:  write_only
        .address_space:  global
        .offset:         96
        .size:           8
        .value_kind:     global_buffer
      - .actual_access:  write_only
        .address_space:  global
        .offset:         104
        .size:           8
        .value_kind:     global_buffer
      - .actual_access:  read_only
        .address_space:  global
        .offset:         112
        .size:           8
        .value_kind:     global_buffer
      - .offset:         120
        .size:           4
        .value_kind:     by_value
      - .address_space:  global
        .offset:         128
        .size:           8
        .value_kind:     global_buffer
      - .address_space:  global
        .offset:         136
        .size:           8
        .value_kind:     global_buffer
      - .offset:         144
        .size:           4
        .value_kind:     hidden_block_count_x
      - .offset:         148
        .size:           4
        .value_kind:     hidden_block_count_y
      - .offset:         152
        .size:           4
        .value_kind:     hidden_block_count_z
      - .offset:         156
        .size:           2
        .value_kind:     hidden_group_size_x
      - .offset:         158
        .size:           2
        .value_kind:     hidden_group_size_y
      - .offset:         160
        .size:           2
        .value_kind:     hidden_group_size_z
      - .offset:         162
        .size:           2
        .value_kind:     hidden_remainder_x
      - .offset:         164
        .size:           2
        .value_kind:     hidden_remainder_y
      - .offset:         166
        .size:           2
        .value_kind:     hidden_remainder_z
      - .offset:         184
        .size:           8
        .value_kind:     hidden_global_offset_x
      - .offset:         192
        .size:           8
        .value_kind:     hidden_global_offset_y
      - .offset:         200
        .size:           8
        .value_kind:     hidden_global_offset_z
      - .offset:         208
        .size:           2
        .value_kind:     hidden_grid_dims
    .group_segment_fixed_size: 8192
    .kernarg_segment_align: 8
    .kernarg_segment_size: 400
    .language:       OpenCL C
    .language_version:
      - 2
      - 0
    .max_flat_workgroup_size: 256
    .name:           _Z39paged_attention_ll4mi_QKV_mfma16_kernelIDF16_hLN4vllm18Fp8KVCacheDataTypeE1EDF16_Li16ELi64ELi256ELb1ELi8EL8MFMAType0EEvPKT_PKT0_S8_ifPKiSA_SA_iPKfiiiPfSD_PS3_PT2_iSC_SC_
    .private_segment_fixed_size: 0
    .sgpr_count:     51
    .sgpr_spill_count: 0
    .symbol:         _Z39paged_attention_ll4mi_QKV_mfma16_kernelIDF16_hLN4vllm18Fp8KVCacheDataTypeE1EDF16_Li16ELi64ELi256ELb1ELi8EL8MFMAType0EEvPKT_PKT0_S8_ifPKiSA_SA_iPKfiiiPfSD_PS3_PT2_iSC_SC_.kd
    .uniform_work_group_size: 1
    .uses_dynamic_stack: false
    .vgpr_count:     62
    .vgpr_spill_count: 0
    .wavefront_size: 64
  - .agpr_count:     0
    .args:
      - .actual_access:  read_only
        .address_space:  global
        .offset:         0
        .size:           8
        .value_kind:     global_buffer
      - .actual_access:  read_only
        .address_space:  global
        .offset:         8
        .size:           8
        .value_kind:     global_buffer
      - .actual_access:  read_only
        .address_space:  global
        .offset:         16
        .size:           8
        .value_kind:     global_buffer
      - .offset:         24
        .size:           4
        .value_kind:     by_value
      - .offset:         28
        .size:           4
        .value_kind:     by_value
      - .actual_access:  read_only
        .address_space:  global
        .offset:         32
        .size:           8
        .value_kind:     global_buffer
      - .actual_access:  read_only
        .address_space:  global
        .offset:         40
        .size:           8
        .value_kind:     global_buffer
      - .actual_access:  read_only
        .address_space:  global
        .offset:         48
        .size:           8
        .value_kind:     global_buffer
      - .offset:         56
        .size:           4
        .value_kind:     by_value
      - .actual_access:  read_only
        .address_space:  global
        .offset:         64
        .size:           8
        .value_kind:     global_buffer
      - .offset:         72
        .size:           4
        .value_kind:     by_value
      - .offset:         76
        .size:           4
        .value_kind:     by_value
      - .offset:         80
        .size:           4
        .value_kind:     by_value
      - .actual_access:  write_only
        .address_space:  global
        .offset:         88
        .size:           8
        .value_kind:     global_buffer
      - .actual_access:  write_only
        .address_space:  global
        .offset:         96
        .size:           8
        .value_kind:     global_buffer
      - .actual_access:  write_only
        .address_space:  global
        .offset:         104
        .size:           8
        .value_kind:     global_buffer
      - .actual_access:  read_only
        .address_space:  global
        .offset:         112
        .size:           8
        .value_kind:     global_buffer
      - .offset:         120
        .size:           4
        .value_kind:     by_value
      - .address_space:  global
        .offset:         128
        .size:           8
        .value_kind:     global_buffer
      - .address_space:  global
        .offset:         136
        .size:           8
        .value_kind:     global_buffer
      - .offset:         144
        .size:           4
        .value_kind:     hidden_block_count_x
      - .offset:         148
        .size:           4
        .value_kind:     hidden_block_count_y
      - .offset:         152
        .size:           4
        .value_kind:     hidden_block_count_z
      - .offset:         156
        .size:           2
        .value_kind:     hidden_group_size_x
      - .offset:         158
        .size:           2
        .value_kind:     hidden_group_size_y
      - .offset:         160
        .size:           2
        .value_kind:     hidden_group_size_z
      - .offset:         162
        .size:           2
        .value_kind:     hidden_remainder_x
      - .offset:         164
        .size:           2
        .value_kind:     hidden_remainder_y
      - .offset:         166
        .size:           2
        .value_kind:     hidden_remainder_z
      - .offset:         184
        .size:           8
        .value_kind:     hidden_global_offset_x
      - .offset:         192
        .size:           8
        .value_kind:     hidden_global_offset_y
      - .offset:         200
        .size:           8
        .value_kind:     hidden_global_offset_z
      - .offset:         208
        .size:           2
        .value_kind:     hidden_grid_dims
    .group_segment_fixed_size: 8192
    .kernarg_segment_align: 8
    .kernarg_segment_size: 400
    .language:       OpenCL C
    .language_version:
      - 2
      - 0
    .max_flat_workgroup_size: 256
    .name:           _Z39paged_attention_ll4mi_QKV_mfma16_kernelIDF16_hLN4vllm18Fp8KVCacheDataTypeE1EDF16_Li16ELi64ELi256ELb1ELi9EL8MFMAType0EEvPKT_PKT0_S8_ifPKiSA_SA_iPKfiiiPfSD_PS3_PT2_iSC_SC_
    .private_segment_fixed_size: 0
    .sgpr_count:     51
    .sgpr_spill_count: 0
    .symbol:         _Z39paged_attention_ll4mi_QKV_mfma16_kernelIDF16_hLN4vllm18Fp8KVCacheDataTypeE1EDF16_Li16ELi64ELi256ELb1ELi9EL8MFMAType0EEvPKT_PKT0_S8_ifPKiSA_SA_iPKfiiiPfSD_PS3_PT2_iSC_SC_.kd
    .uniform_work_group_size: 1
    .uses_dynamic_stack: false
    .vgpr_count:     62
    .vgpr_spill_count: 0
    .wavefront_size: 64
  - .agpr_count:     0
    .args:
      - .actual_access:  read_only
        .address_space:  global
        .offset:         0
        .size:           8
        .value_kind:     global_buffer
      - .actual_access:  read_only
        .address_space:  global
        .offset:         8
        .size:           8
        .value_kind:     global_buffer
      - .actual_access:  read_only
        .address_space:  global
        .offset:         16
        .size:           8
        .value_kind:     global_buffer
      - .offset:         24
        .size:           4
        .value_kind:     by_value
      - .offset:         28
        .size:           4
        .value_kind:     by_value
      - .actual_access:  read_only
        .address_space:  global
        .offset:         32
        .size:           8
        .value_kind:     global_buffer
      - .actual_access:  read_only
        .address_space:  global
        .offset:         40
        .size:           8
        .value_kind:     global_buffer
      - .actual_access:  read_only
        .address_space:  global
        .offset:         48
        .size:           8
        .value_kind:     global_buffer
      - .offset:         56
        .size:           4
        .value_kind:     by_value
      - .actual_access:  read_only
        .address_space:  global
        .offset:         64
        .size:           8
        .value_kind:     global_buffer
      - .offset:         72
        .size:           4
        .value_kind:     by_value
      - .offset:         76
        .size:           4
        .value_kind:     by_value
      - .offset:         80
        .size:           4
        .value_kind:     by_value
      - .actual_access:  write_only
        .address_space:  global
        .offset:         88
        .size:           8
        .value_kind:     global_buffer
      - .actual_access:  write_only
        .address_space:  global
        .offset:         96
        .size:           8
        .value_kind:     global_buffer
      - .actual_access:  write_only
        .address_space:  global
        .offset:         104
        .size:           8
        .value_kind:     global_buffer
      - .actual_access:  read_only
        .address_space:  global
        .offset:         112
        .size:           8
        .value_kind:     global_buffer
      - .offset:         120
        .size:           4
        .value_kind:     by_value
      - .address_space:  global
        .offset:         128
        .size:           8
        .value_kind:     global_buffer
      - .address_space:  global
        .offset:         136
        .size:           8
        .value_kind:     global_buffer
      - .offset:         144
        .size:           4
        .value_kind:     hidden_block_count_x
      - .offset:         148
        .size:           4
        .value_kind:     hidden_block_count_y
      - .offset:         152
        .size:           4
        .value_kind:     hidden_block_count_z
      - .offset:         156
        .size:           2
        .value_kind:     hidden_group_size_x
      - .offset:         158
        .size:           2
        .value_kind:     hidden_group_size_y
      - .offset:         160
        .size:           2
        .value_kind:     hidden_group_size_z
      - .offset:         162
        .size:           2
        .value_kind:     hidden_remainder_x
      - .offset:         164
        .size:           2
        .value_kind:     hidden_remainder_y
      - .offset:         166
        .size:           2
        .value_kind:     hidden_remainder_z
      - .offset:         184
        .size:           8
        .value_kind:     hidden_global_offset_x
      - .offset:         192
        .size:           8
        .value_kind:     hidden_global_offset_y
      - .offset:         200
        .size:           8
        .value_kind:     hidden_global_offset_z
      - .offset:         208
        .size:           2
        .value_kind:     hidden_grid_dims
    .group_segment_fixed_size: 8192
    .kernarg_segment_align: 8
    .kernarg_segment_size: 400
    .language:       OpenCL C
    .language_version:
      - 2
      - 0
    .max_flat_workgroup_size: 256
    .name:           _Z39paged_attention_ll4mi_QKV_mfma16_kernelIDF16_hLN4vllm18Fp8KVCacheDataTypeE1EDF16_Li16ELi64ELi256ELb1ELi10EL8MFMAType0EEvPKT_PKT0_S8_ifPKiSA_SA_iPKfiiiPfSD_PS3_PT2_iSC_SC_
    .private_segment_fixed_size: 0
    .sgpr_count:     51
    .sgpr_spill_count: 0
    .symbol:         _Z39paged_attention_ll4mi_QKV_mfma16_kernelIDF16_hLN4vllm18Fp8KVCacheDataTypeE1EDF16_Li16ELi64ELi256ELb1ELi10EL8MFMAType0EEvPKT_PKT0_S8_ifPKiSA_SA_iPKfiiiPfSD_PS3_PT2_iSC_SC_.kd
    .uniform_work_group_size: 1
    .uses_dynamic_stack: false
    .vgpr_count:     62
    .vgpr_spill_count: 0
    .wavefront_size: 64
  - .agpr_count:     0
    .args:
      - .actual_access:  read_only
        .address_space:  global
        .offset:         0
        .size:           8
        .value_kind:     global_buffer
      - .actual_access:  read_only
        .address_space:  global
        .offset:         8
        .size:           8
        .value_kind:     global_buffer
      - .actual_access:  read_only
        .address_space:  global
        .offset:         16
        .size:           8
        .value_kind:     global_buffer
      - .offset:         24
        .size:           4
        .value_kind:     by_value
      - .offset:         28
        .size:           4
        .value_kind:     by_value
      - .actual_access:  read_only
        .address_space:  global
        .offset:         32
        .size:           8
        .value_kind:     global_buffer
      - .actual_access:  read_only
        .address_space:  global
        .offset:         40
        .size:           8
        .value_kind:     global_buffer
      - .actual_access:  read_only
        .address_space:  global
        .offset:         48
        .size:           8
        .value_kind:     global_buffer
      - .offset:         56
        .size:           4
        .value_kind:     by_value
      - .actual_access:  read_only
        .address_space:  global
        .offset:         64
        .size:           8
        .value_kind:     global_buffer
      - .offset:         72
        .size:           4
        .value_kind:     by_value
      - .offset:         76
        .size:           4
        .value_kind:     by_value
      - .offset:         80
        .size:           4
        .value_kind:     by_value
      - .actual_access:  write_only
        .address_space:  global
        .offset:         88
        .size:           8
        .value_kind:     global_buffer
      - .actual_access:  write_only
        .address_space:  global
        .offset:         96
        .size:           8
        .value_kind:     global_buffer
      - .actual_access:  write_only
        .address_space:  global
        .offset:         104
        .size:           8
        .value_kind:     global_buffer
      - .actual_access:  read_only
        .address_space:  global
        .offset:         112
        .size:           8
        .value_kind:     global_buffer
      - .offset:         120
        .size:           4
        .value_kind:     by_value
      - .address_space:  global
        .offset:         128
        .size:           8
        .value_kind:     global_buffer
      - .address_space:  global
        .offset:         136
        .size:           8
        .value_kind:     global_buffer
      - .offset:         144
        .size:           4
        .value_kind:     hidden_block_count_x
      - .offset:         148
        .size:           4
        .value_kind:     hidden_block_count_y
      - .offset:         152
        .size:           4
        .value_kind:     hidden_block_count_z
      - .offset:         156
        .size:           2
        .value_kind:     hidden_group_size_x
      - .offset:         158
        .size:           2
        .value_kind:     hidden_group_size_y
      - .offset:         160
        .size:           2
        .value_kind:     hidden_group_size_z
      - .offset:         162
        .size:           2
        .value_kind:     hidden_remainder_x
      - .offset:         164
        .size:           2
        .value_kind:     hidden_remainder_y
      - .offset:         166
        .size:           2
        .value_kind:     hidden_remainder_z
      - .offset:         184
        .size:           8
        .value_kind:     hidden_global_offset_x
      - .offset:         192
        .size:           8
        .value_kind:     hidden_global_offset_y
      - .offset:         200
        .size:           8
        .value_kind:     hidden_global_offset_z
      - .offset:         208
        .size:           2
        .value_kind:     hidden_grid_dims
    .group_segment_fixed_size: 8192
    .kernarg_segment_align: 8
    .kernarg_segment_size: 400
    .language:       OpenCL C
    .language_version:
      - 2
      - 0
    .max_flat_workgroup_size: 256
    .name:           _Z39paged_attention_ll4mi_QKV_mfma16_kernelIDF16_hLN4vllm18Fp8KVCacheDataTypeE1EDF16_Li16ELi64ELi256ELb1ELi11EL8MFMAType0EEvPKT_PKT0_S8_ifPKiSA_SA_iPKfiiiPfSD_PS3_PT2_iSC_SC_
    .private_segment_fixed_size: 0
    .sgpr_count:     51
    .sgpr_spill_count: 0
    .symbol:         _Z39paged_attention_ll4mi_QKV_mfma16_kernelIDF16_hLN4vllm18Fp8KVCacheDataTypeE1EDF16_Li16ELi64ELi256ELb1ELi11EL8MFMAType0EEvPKT_PKT0_S8_ifPKiSA_SA_iPKfiiiPfSD_PS3_PT2_iSC_SC_.kd
    .uniform_work_group_size: 1
    .uses_dynamic_stack: false
    .vgpr_count:     62
    .vgpr_spill_count: 0
    .wavefront_size: 64
  - .agpr_count:     0
    .args:
      - .actual_access:  read_only
        .address_space:  global
        .offset:         0
        .size:           8
        .value_kind:     global_buffer
      - .actual_access:  read_only
        .address_space:  global
        .offset:         8
        .size:           8
        .value_kind:     global_buffer
      - .actual_access:  read_only
        .address_space:  global
        .offset:         16
        .size:           8
        .value_kind:     global_buffer
      - .offset:         24
        .size:           4
        .value_kind:     by_value
      - .offset:         28
        .size:           4
        .value_kind:     by_value
      - .actual_access:  read_only
        .address_space:  global
        .offset:         32
        .size:           8
        .value_kind:     global_buffer
      - .actual_access:  read_only
        .address_space:  global
        .offset:         40
        .size:           8
        .value_kind:     global_buffer
      - .actual_access:  read_only
        .address_space:  global
        .offset:         48
        .size:           8
        .value_kind:     global_buffer
      - .offset:         56
        .size:           4
        .value_kind:     by_value
      - .actual_access:  read_only
        .address_space:  global
        .offset:         64
        .size:           8
        .value_kind:     global_buffer
      - .offset:         72
        .size:           4
        .value_kind:     by_value
      - .offset:         76
        .size:           4
        .value_kind:     by_value
      - .offset:         80
        .size:           4
        .value_kind:     by_value
      - .actual_access:  write_only
        .address_space:  global
        .offset:         88
        .size:           8
        .value_kind:     global_buffer
      - .actual_access:  write_only
        .address_space:  global
        .offset:         96
        .size:           8
        .value_kind:     global_buffer
      - .actual_access:  write_only
        .address_space:  global
        .offset:         104
        .size:           8
        .value_kind:     global_buffer
      - .actual_access:  read_only
        .address_space:  global
        .offset:         112
        .size:           8
        .value_kind:     global_buffer
      - .offset:         120
        .size:           4
        .value_kind:     by_value
      - .address_space:  global
        .offset:         128
        .size:           8
        .value_kind:     global_buffer
      - .address_space:  global
        .offset:         136
        .size:           8
        .value_kind:     global_buffer
      - .offset:         144
        .size:           4
        .value_kind:     hidden_block_count_x
      - .offset:         148
        .size:           4
        .value_kind:     hidden_block_count_y
      - .offset:         152
        .size:           4
        .value_kind:     hidden_block_count_z
      - .offset:         156
        .size:           2
        .value_kind:     hidden_group_size_x
      - .offset:         158
        .size:           2
        .value_kind:     hidden_group_size_y
      - .offset:         160
        .size:           2
        .value_kind:     hidden_group_size_z
      - .offset:         162
        .size:           2
        .value_kind:     hidden_remainder_x
      - .offset:         164
        .size:           2
        .value_kind:     hidden_remainder_y
      - .offset:         166
        .size:           2
        .value_kind:     hidden_remainder_z
      - .offset:         184
        .size:           8
        .value_kind:     hidden_global_offset_x
      - .offset:         192
        .size:           8
        .value_kind:     hidden_global_offset_y
      - .offset:         200
        .size:           8
        .value_kind:     hidden_global_offset_z
      - .offset:         208
        .size:           2
        .value_kind:     hidden_grid_dims
    .group_segment_fixed_size: 8192
    .kernarg_segment_align: 8
    .kernarg_segment_size: 400
    .language:       OpenCL C
    .language_version:
      - 2
      - 0
    .max_flat_workgroup_size: 256
    .name:           _Z39paged_attention_ll4mi_QKV_mfma16_kernelIDF16_hLN4vllm18Fp8KVCacheDataTypeE1EDF16_Li16ELi64ELi256ELb1ELi12EL8MFMAType0EEvPKT_PKT0_S8_ifPKiSA_SA_iPKfiiiPfSD_PS3_PT2_iSC_SC_
    .private_segment_fixed_size: 0
    .sgpr_count:     51
    .sgpr_spill_count: 0
    .symbol:         _Z39paged_attention_ll4mi_QKV_mfma16_kernelIDF16_hLN4vllm18Fp8KVCacheDataTypeE1EDF16_Li16ELi64ELi256ELb1ELi12EL8MFMAType0EEvPKT_PKT0_S8_ifPKiSA_SA_iPKfiiiPfSD_PS3_PT2_iSC_SC_.kd
    .uniform_work_group_size: 1
    .uses_dynamic_stack: false
    .vgpr_count:     62
    .vgpr_spill_count: 0
    .wavefront_size: 64
  - .agpr_count:     0
    .args:
      - .actual_access:  read_only
        .address_space:  global
        .offset:         0
        .size:           8
        .value_kind:     global_buffer
      - .actual_access:  read_only
        .address_space:  global
        .offset:         8
        .size:           8
        .value_kind:     global_buffer
      - .actual_access:  read_only
        .address_space:  global
        .offset:         16
        .size:           8
        .value_kind:     global_buffer
      - .offset:         24
        .size:           4
        .value_kind:     by_value
      - .offset:         28
        .size:           4
        .value_kind:     by_value
      - .actual_access:  read_only
        .address_space:  global
        .offset:         32
        .size:           8
        .value_kind:     global_buffer
      - .actual_access:  read_only
        .address_space:  global
        .offset:         40
        .size:           8
        .value_kind:     global_buffer
      - .actual_access:  read_only
        .address_space:  global
        .offset:         48
        .size:           8
        .value_kind:     global_buffer
      - .offset:         56
        .size:           4
        .value_kind:     by_value
      - .actual_access:  read_only
        .address_space:  global
        .offset:         64
        .size:           8
        .value_kind:     global_buffer
      - .offset:         72
        .size:           4
        .value_kind:     by_value
      - .offset:         76
        .size:           4
        .value_kind:     by_value
      - .offset:         80
        .size:           4
        .value_kind:     by_value
      - .actual_access:  write_only
        .address_space:  global
        .offset:         88
        .size:           8
        .value_kind:     global_buffer
      - .actual_access:  write_only
        .address_space:  global
        .offset:         96
        .size:           8
        .value_kind:     global_buffer
      - .actual_access:  write_only
        .address_space:  global
        .offset:         104
        .size:           8
        .value_kind:     global_buffer
      - .actual_access:  read_only
        .address_space:  global
        .offset:         112
        .size:           8
        .value_kind:     global_buffer
      - .offset:         120
        .size:           4
        .value_kind:     by_value
      - .address_space:  global
        .offset:         128
        .size:           8
        .value_kind:     global_buffer
      - .address_space:  global
        .offset:         136
        .size:           8
        .value_kind:     global_buffer
      - .offset:         144
        .size:           4
        .value_kind:     hidden_block_count_x
      - .offset:         148
        .size:           4
        .value_kind:     hidden_block_count_y
      - .offset:         152
        .size:           4
        .value_kind:     hidden_block_count_z
      - .offset:         156
        .size:           2
        .value_kind:     hidden_group_size_x
      - .offset:         158
        .size:           2
        .value_kind:     hidden_group_size_y
      - .offset:         160
        .size:           2
        .value_kind:     hidden_group_size_z
      - .offset:         162
        .size:           2
        .value_kind:     hidden_remainder_x
      - .offset:         164
        .size:           2
        .value_kind:     hidden_remainder_y
      - .offset:         166
        .size:           2
        .value_kind:     hidden_remainder_z
      - .offset:         184
        .size:           8
        .value_kind:     hidden_global_offset_x
      - .offset:         192
        .size:           8
        .value_kind:     hidden_global_offset_y
      - .offset:         200
        .size:           8
        .value_kind:     hidden_global_offset_z
      - .offset:         208
        .size:           2
        .value_kind:     hidden_grid_dims
    .group_segment_fixed_size: 8192
    .kernarg_segment_align: 8
    .kernarg_segment_size: 400
    .language:       OpenCL C
    .language_version:
      - 2
      - 0
    .max_flat_workgroup_size: 256
    .name:           _Z39paged_attention_ll4mi_QKV_mfma16_kernelIDF16_hLN4vllm18Fp8KVCacheDataTypeE1EDF16_Li16ELi64ELi256ELb1ELi13EL8MFMAType0EEvPKT_PKT0_S8_ifPKiSA_SA_iPKfiiiPfSD_PS3_PT2_iSC_SC_
    .private_segment_fixed_size: 0
    .sgpr_count:     51
    .sgpr_spill_count: 0
    .symbol:         _Z39paged_attention_ll4mi_QKV_mfma16_kernelIDF16_hLN4vllm18Fp8KVCacheDataTypeE1EDF16_Li16ELi64ELi256ELb1ELi13EL8MFMAType0EEvPKT_PKT0_S8_ifPKiSA_SA_iPKfiiiPfSD_PS3_PT2_iSC_SC_.kd
    .uniform_work_group_size: 1
    .uses_dynamic_stack: false
    .vgpr_count:     62
    .vgpr_spill_count: 0
    .wavefront_size: 64
  - .agpr_count:     0
    .args:
      - .actual_access:  read_only
        .address_space:  global
        .offset:         0
        .size:           8
        .value_kind:     global_buffer
      - .actual_access:  read_only
        .address_space:  global
        .offset:         8
        .size:           8
        .value_kind:     global_buffer
      - .actual_access:  read_only
        .address_space:  global
        .offset:         16
        .size:           8
        .value_kind:     global_buffer
      - .offset:         24
        .size:           4
        .value_kind:     by_value
      - .offset:         28
        .size:           4
        .value_kind:     by_value
      - .actual_access:  read_only
        .address_space:  global
        .offset:         32
        .size:           8
        .value_kind:     global_buffer
      - .actual_access:  read_only
        .address_space:  global
        .offset:         40
        .size:           8
        .value_kind:     global_buffer
      - .actual_access:  read_only
        .address_space:  global
        .offset:         48
        .size:           8
        .value_kind:     global_buffer
      - .offset:         56
        .size:           4
        .value_kind:     by_value
      - .actual_access:  read_only
        .address_space:  global
        .offset:         64
        .size:           8
        .value_kind:     global_buffer
      - .offset:         72
        .size:           4
        .value_kind:     by_value
      - .offset:         76
        .size:           4
        .value_kind:     by_value
      - .offset:         80
        .size:           4
        .value_kind:     by_value
      - .actual_access:  write_only
        .address_space:  global
        .offset:         88
        .size:           8
        .value_kind:     global_buffer
      - .actual_access:  write_only
        .address_space:  global
        .offset:         96
        .size:           8
        .value_kind:     global_buffer
      - .actual_access:  write_only
        .address_space:  global
        .offset:         104
        .size:           8
        .value_kind:     global_buffer
      - .actual_access:  read_only
        .address_space:  global
        .offset:         112
        .size:           8
        .value_kind:     global_buffer
      - .offset:         120
        .size:           4
        .value_kind:     by_value
      - .address_space:  global
        .offset:         128
        .size:           8
        .value_kind:     global_buffer
      - .address_space:  global
        .offset:         136
        .size:           8
        .value_kind:     global_buffer
      - .offset:         144
        .size:           4
        .value_kind:     hidden_block_count_x
      - .offset:         148
        .size:           4
        .value_kind:     hidden_block_count_y
      - .offset:         152
        .size:           4
        .value_kind:     hidden_block_count_z
      - .offset:         156
        .size:           2
        .value_kind:     hidden_group_size_x
      - .offset:         158
        .size:           2
        .value_kind:     hidden_group_size_y
      - .offset:         160
        .size:           2
        .value_kind:     hidden_group_size_z
      - .offset:         162
        .size:           2
        .value_kind:     hidden_remainder_x
      - .offset:         164
        .size:           2
        .value_kind:     hidden_remainder_y
      - .offset:         166
        .size:           2
        .value_kind:     hidden_remainder_z
      - .offset:         184
        .size:           8
        .value_kind:     hidden_global_offset_x
      - .offset:         192
        .size:           8
        .value_kind:     hidden_global_offset_y
      - .offset:         200
        .size:           8
        .value_kind:     hidden_global_offset_z
      - .offset:         208
        .size:           2
        .value_kind:     hidden_grid_dims
    .group_segment_fixed_size: 8192
    .kernarg_segment_align: 8
    .kernarg_segment_size: 400
    .language:       OpenCL C
    .language_version:
      - 2
      - 0
    .max_flat_workgroup_size: 256
    .name:           _Z39paged_attention_ll4mi_QKV_mfma16_kernelIDF16_hLN4vllm18Fp8KVCacheDataTypeE1EDF16_Li16ELi64ELi256ELb1ELi14EL8MFMAType0EEvPKT_PKT0_S8_ifPKiSA_SA_iPKfiiiPfSD_PS3_PT2_iSC_SC_
    .private_segment_fixed_size: 0
    .sgpr_count:     51
    .sgpr_spill_count: 0
    .symbol:         _Z39paged_attention_ll4mi_QKV_mfma16_kernelIDF16_hLN4vllm18Fp8KVCacheDataTypeE1EDF16_Li16ELi64ELi256ELb1ELi14EL8MFMAType0EEvPKT_PKT0_S8_ifPKiSA_SA_iPKfiiiPfSD_PS3_PT2_iSC_SC_.kd
    .uniform_work_group_size: 1
    .uses_dynamic_stack: false
    .vgpr_count:     62
    .vgpr_spill_count: 0
    .wavefront_size: 64
  - .agpr_count:     0
    .args:
      - .actual_access:  read_only
        .address_space:  global
        .offset:         0
        .size:           8
        .value_kind:     global_buffer
      - .actual_access:  read_only
        .address_space:  global
        .offset:         8
        .size:           8
        .value_kind:     global_buffer
      - .actual_access:  read_only
        .address_space:  global
        .offset:         16
        .size:           8
        .value_kind:     global_buffer
      - .offset:         24
        .size:           4
        .value_kind:     by_value
      - .offset:         28
        .size:           4
        .value_kind:     by_value
      - .actual_access:  read_only
        .address_space:  global
        .offset:         32
        .size:           8
        .value_kind:     global_buffer
      - .actual_access:  read_only
        .address_space:  global
        .offset:         40
        .size:           8
        .value_kind:     global_buffer
      - .actual_access:  read_only
        .address_space:  global
        .offset:         48
        .size:           8
        .value_kind:     global_buffer
      - .offset:         56
        .size:           4
        .value_kind:     by_value
      - .actual_access:  read_only
        .address_space:  global
        .offset:         64
        .size:           8
        .value_kind:     global_buffer
      - .offset:         72
        .size:           4
        .value_kind:     by_value
      - .offset:         76
        .size:           4
        .value_kind:     by_value
      - .offset:         80
        .size:           4
        .value_kind:     by_value
      - .actual_access:  write_only
        .address_space:  global
        .offset:         88
        .size:           8
        .value_kind:     global_buffer
      - .actual_access:  write_only
        .address_space:  global
        .offset:         96
        .size:           8
        .value_kind:     global_buffer
      - .actual_access:  write_only
        .address_space:  global
        .offset:         104
        .size:           8
        .value_kind:     global_buffer
      - .actual_access:  read_only
        .address_space:  global
        .offset:         112
        .size:           8
        .value_kind:     global_buffer
      - .offset:         120
        .size:           4
        .value_kind:     by_value
      - .address_space:  global
        .offset:         128
        .size:           8
        .value_kind:     global_buffer
      - .address_space:  global
        .offset:         136
        .size:           8
        .value_kind:     global_buffer
      - .offset:         144
        .size:           4
        .value_kind:     hidden_block_count_x
      - .offset:         148
        .size:           4
        .value_kind:     hidden_block_count_y
      - .offset:         152
        .size:           4
        .value_kind:     hidden_block_count_z
      - .offset:         156
        .size:           2
        .value_kind:     hidden_group_size_x
      - .offset:         158
        .size:           2
        .value_kind:     hidden_group_size_y
      - .offset:         160
        .size:           2
        .value_kind:     hidden_group_size_z
      - .offset:         162
        .size:           2
        .value_kind:     hidden_remainder_x
      - .offset:         164
        .size:           2
        .value_kind:     hidden_remainder_y
      - .offset:         166
        .size:           2
        .value_kind:     hidden_remainder_z
      - .offset:         184
        .size:           8
        .value_kind:     hidden_global_offset_x
      - .offset:         192
        .size:           8
        .value_kind:     hidden_global_offset_y
      - .offset:         200
        .size:           8
        .value_kind:     hidden_global_offset_z
      - .offset:         208
        .size:           2
        .value_kind:     hidden_grid_dims
    .group_segment_fixed_size: 8192
    .kernarg_segment_align: 8
    .kernarg_segment_size: 400
    .language:       OpenCL C
    .language_version:
      - 2
      - 0
    .max_flat_workgroup_size: 256
    .name:           _Z39paged_attention_ll4mi_QKV_mfma16_kernelIDF16_hLN4vllm18Fp8KVCacheDataTypeE1EDF16_Li16ELi64ELi256ELb1ELi15EL8MFMAType0EEvPKT_PKT0_S8_ifPKiSA_SA_iPKfiiiPfSD_PS3_PT2_iSC_SC_
    .private_segment_fixed_size: 0
    .sgpr_count:     51
    .sgpr_spill_count: 0
    .symbol:         _Z39paged_attention_ll4mi_QKV_mfma16_kernelIDF16_hLN4vllm18Fp8KVCacheDataTypeE1EDF16_Li16ELi64ELi256ELb1ELi15EL8MFMAType0EEvPKT_PKT0_S8_ifPKiSA_SA_iPKfiiiPfSD_PS3_PT2_iSC_SC_.kd
    .uniform_work_group_size: 1
    .uses_dynamic_stack: false
    .vgpr_count:     62
    .vgpr_spill_count: 0
    .wavefront_size: 64
  - .agpr_count:     0
    .args:
      - .actual_access:  read_only
        .address_space:  global
        .offset:         0
        .size:           8
        .value_kind:     global_buffer
      - .actual_access:  read_only
        .address_space:  global
        .offset:         8
        .size:           8
        .value_kind:     global_buffer
      - .actual_access:  read_only
        .address_space:  global
        .offset:         16
        .size:           8
        .value_kind:     global_buffer
      - .offset:         24
        .size:           4
        .value_kind:     by_value
      - .offset:         28
        .size:           4
        .value_kind:     by_value
      - .actual_access:  read_only
        .address_space:  global
        .offset:         32
        .size:           8
        .value_kind:     global_buffer
      - .actual_access:  read_only
        .address_space:  global
        .offset:         40
        .size:           8
        .value_kind:     global_buffer
      - .actual_access:  read_only
        .address_space:  global
        .offset:         48
        .size:           8
        .value_kind:     global_buffer
      - .offset:         56
        .size:           4
        .value_kind:     by_value
      - .actual_access:  read_only
        .address_space:  global
        .offset:         64
        .size:           8
        .value_kind:     global_buffer
      - .offset:         72
        .size:           4
        .value_kind:     by_value
      - .offset:         76
        .size:           4
        .value_kind:     by_value
      - .offset:         80
        .size:           4
        .value_kind:     by_value
      - .actual_access:  write_only
        .address_space:  global
        .offset:         88
        .size:           8
        .value_kind:     global_buffer
      - .actual_access:  write_only
        .address_space:  global
        .offset:         96
        .size:           8
        .value_kind:     global_buffer
      - .actual_access:  write_only
        .address_space:  global
        .offset:         104
        .size:           8
        .value_kind:     global_buffer
      - .actual_access:  read_only
        .address_space:  global
        .offset:         112
        .size:           8
        .value_kind:     global_buffer
      - .offset:         120
        .size:           4
        .value_kind:     by_value
      - .address_space:  global
        .offset:         128
        .size:           8
        .value_kind:     global_buffer
      - .address_space:  global
        .offset:         136
        .size:           8
        .value_kind:     global_buffer
      - .offset:         144
        .size:           4
        .value_kind:     hidden_block_count_x
      - .offset:         148
        .size:           4
        .value_kind:     hidden_block_count_y
      - .offset:         152
        .size:           4
        .value_kind:     hidden_block_count_z
      - .offset:         156
        .size:           2
        .value_kind:     hidden_group_size_x
      - .offset:         158
        .size:           2
        .value_kind:     hidden_group_size_y
      - .offset:         160
        .size:           2
        .value_kind:     hidden_group_size_z
      - .offset:         162
        .size:           2
        .value_kind:     hidden_remainder_x
      - .offset:         164
        .size:           2
        .value_kind:     hidden_remainder_y
      - .offset:         166
        .size:           2
        .value_kind:     hidden_remainder_z
      - .offset:         184
        .size:           8
        .value_kind:     hidden_global_offset_x
      - .offset:         192
        .size:           8
        .value_kind:     hidden_global_offset_y
      - .offset:         200
        .size:           8
        .value_kind:     hidden_global_offset_z
      - .offset:         208
        .size:           2
        .value_kind:     hidden_grid_dims
    .group_segment_fixed_size: 8192
    .kernarg_segment_align: 8
    .kernarg_segment_size: 400
    .language:       OpenCL C
    .language_version:
      - 2
      - 0
    .max_flat_workgroup_size: 256
    .name:           _Z39paged_attention_ll4mi_QKV_mfma16_kernelIDF16_hLN4vllm18Fp8KVCacheDataTypeE1EDF16_Li16ELi64ELi256ELb1ELi16EL8MFMAType0EEvPKT_PKT0_S8_ifPKiSA_SA_iPKfiiiPfSD_PS3_PT2_iSC_SC_
    .private_segment_fixed_size: 0
    .sgpr_count:     51
    .sgpr_spill_count: 0
    .symbol:         _Z39paged_attention_ll4mi_QKV_mfma16_kernelIDF16_hLN4vllm18Fp8KVCacheDataTypeE1EDF16_Li16ELi64ELi256ELb1ELi16EL8MFMAType0EEvPKT_PKT0_S8_ifPKiSA_SA_iPKfiiiPfSD_PS3_PT2_iSC_SC_.kd
    .uniform_work_group_size: 1
    .uses_dynamic_stack: false
    .vgpr_count:     65
    .vgpr_spill_count: 0
    .wavefront_size: 64
  - .agpr_count:     0
    .args:
      - .actual_access:  read_only
        .address_space:  global
        .offset:         0
        .size:           8
        .value_kind:     global_buffer
      - .actual_access:  read_only
        .address_space:  global
        .offset:         8
        .size:           8
        .value_kind:     global_buffer
      - .actual_access:  read_only
        .address_space:  global
        .offset:         16
        .size:           8
        .value_kind:     global_buffer
      - .offset:         24
        .size:           4
        .value_kind:     by_value
      - .offset:         28
        .size:           4
        .value_kind:     by_value
      - .actual_access:  read_only
        .address_space:  global
        .offset:         32
        .size:           8
        .value_kind:     global_buffer
      - .actual_access:  read_only
        .address_space:  global
        .offset:         40
        .size:           8
        .value_kind:     global_buffer
      - .actual_access:  read_only
        .address_space:  global
        .offset:         48
        .size:           8
        .value_kind:     global_buffer
      - .offset:         56
        .size:           4
        .value_kind:     by_value
      - .actual_access:  read_only
        .address_space:  global
        .offset:         64
        .size:           8
        .value_kind:     global_buffer
      - .offset:         72
        .size:           4
        .value_kind:     by_value
      - .offset:         76
        .size:           4
        .value_kind:     by_value
      - .offset:         80
        .size:           4
        .value_kind:     by_value
      - .actual_access:  write_only
        .address_space:  global
        .offset:         88
        .size:           8
        .value_kind:     global_buffer
      - .actual_access:  write_only
        .address_space:  global
        .offset:         96
        .size:           8
        .value_kind:     global_buffer
      - .actual_access:  write_only
        .address_space:  global
        .offset:         104
        .size:           8
        .value_kind:     global_buffer
      - .actual_access:  read_only
        .address_space:  global
        .offset:         112
        .size:           8
        .value_kind:     global_buffer
      - .offset:         120
        .size:           4
        .value_kind:     by_value
      - .address_space:  global
        .offset:         128
        .size:           8
        .value_kind:     global_buffer
      - .address_space:  global
        .offset:         136
        .size:           8
        .value_kind:     global_buffer
      - .offset:         144
        .size:           4
        .value_kind:     hidden_block_count_x
      - .offset:         148
        .size:           4
        .value_kind:     hidden_block_count_y
      - .offset:         152
        .size:           4
        .value_kind:     hidden_block_count_z
      - .offset:         156
        .size:           2
        .value_kind:     hidden_group_size_x
      - .offset:         158
        .size:           2
        .value_kind:     hidden_group_size_y
      - .offset:         160
        .size:           2
        .value_kind:     hidden_group_size_z
      - .offset:         162
        .size:           2
        .value_kind:     hidden_remainder_x
      - .offset:         164
        .size:           2
        .value_kind:     hidden_remainder_y
      - .offset:         166
        .size:           2
        .value_kind:     hidden_remainder_z
      - .offset:         184
        .size:           8
        .value_kind:     hidden_global_offset_x
      - .offset:         192
        .size:           8
        .value_kind:     hidden_global_offset_y
      - .offset:         200
        .size:           8
        .value_kind:     hidden_global_offset_z
      - .offset:         208
        .size:           2
        .value_kind:     hidden_grid_dims
    .group_segment_fixed_size: 8192
    .kernarg_segment_align: 8
    .kernarg_segment_size: 400
    .language:       OpenCL C
    .language_version:
      - 2
      - 0
    .max_flat_workgroup_size: 256
    .name:           _Z39paged_attention_ll4mi_QKV_mfma16_kernelIDF16_hLN4vllm18Fp8KVCacheDataTypeE1EDF16_Li16ELi64ELi256ELb1ELi1EL8MFMAType0EEvPKT_PKT0_S8_ifPKiSA_SA_iPKfiiiPfSD_PS3_PT2_iSC_SC_
    .private_segment_fixed_size: 0
    .sgpr_count:     54
    .sgpr_spill_count: 0
    .symbol:         _Z39paged_attention_ll4mi_QKV_mfma16_kernelIDF16_hLN4vllm18Fp8KVCacheDataTypeE1EDF16_Li16ELi64ELi256ELb1ELi1EL8MFMAType0EEvPKT_PKT0_S8_ifPKiSA_SA_iPKfiiiPfSD_PS3_PT2_iSC_SC_.kd
    .uniform_work_group_size: 1
    .uses_dynamic_stack: false
    .vgpr_count:     62
    .vgpr_spill_count: 0
    .wavefront_size: 64
  - .agpr_count:     0
    .args:
      - .actual_access:  read_only
        .address_space:  global
        .offset:         0
        .size:           8
        .value_kind:     global_buffer
      - .actual_access:  read_only
        .address_space:  global
        .offset:         8
        .size:           8
        .value_kind:     global_buffer
      - .actual_access:  read_only
        .address_space:  global
        .offset:         16
        .size:           8
        .value_kind:     global_buffer
      - .offset:         24
        .size:           4
        .value_kind:     by_value
      - .offset:         28
        .size:           4
        .value_kind:     by_value
      - .actual_access:  read_only
        .address_space:  global
        .offset:         32
        .size:           8
        .value_kind:     global_buffer
      - .actual_access:  read_only
        .address_space:  global
        .offset:         40
        .size:           8
        .value_kind:     global_buffer
      - .actual_access:  read_only
        .address_space:  global
        .offset:         48
        .size:           8
        .value_kind:     global_buffer
      - .offset:         56
        .size:           4
        .value_kind:     by_value
      - .actual_access:  read_only
        .address_space:  global
        .offset:         64
        .size:           8
        .value_kind:     global_buffer
      - .offset:         72
        .size:           4
        .value_kind:     by_value
      - .offset:         76
        .size:           4
        .value_kind:     by_value
      - .offset:         80
        .size:           4
        .value_kind:     by_value
      - .actual_access:  write_only
        .address_space:  global
        .offset:         88
        .size:           8
        .value_kind:     global_buffer
      - .actual_access:  write_only
        .address_space:  global
        .offset:         96
        .size:           8
        .value_kind:     global_buffer
      - .actual_access:  write_only
        .address_space:  global
        .offset:         104
        .size:           8
        .value_kind:     global_buffer
      - .actual_access:  read_only
        .address_space:  global
        .offset:         112
        .size:           8
        .value_kind:     global_buffer
      - .offset:         120
        .size:           4
        .value_kind:     by_value
      - .address_space:  global
        .offset:         128
        .size:           8
        .value_kind:     global_buffer
      - .address_space:  global
        .offset:         136
        .size:           8
        .value_kind:     global_buffer
      - .offset:         144
        .size:           4
        .value_kind:     hidden_block_count_x
      - .offset:         148
        .size:           4
        .value_kind:     hidden_block_count_y
      - .offset:         152
        .size:           4
        .value_kind:     hidden_block_count_z
      - .offset:         156
        .size:           2
        .value_kind:     hidden_group_size_x
      - .offset:         158
        .size:           2
        .value_kind:     hidden_group_size_y
      - .offset:         160
        .size:           2
        .value_kind:     hidden_group_size_z
      - .offset:         162
        .size:           2
        .value_kind:     hidden_remainder_x
      - .offset:         164
        .size:           2
        .value_kind:     hidden_remainder_y
      - .offset:         166
        .size:           2
        .value_kind:     hidden_remainder_z
      - .offset:         184
        .size:           8
        .value_kind:     hidden_global_offset_x
      - .offset:         192
        .size:           8
        .value_kind:     hidden_global_offset_y
      - .offset:         200
        .size:           8
        .value_kind:     hidden_global_offset_z
      - .offset:         208
        .size:           2
        .value_kind:     hidden_grid_dims
    .group_segment_fixed_size: 8192
    .kernarg_segment_align: 8
    .kernarg_segment_size: 400
    .language:       OpenCL C
    .language_version:
      - 2
      - 0
    .max_flat_workgroup_size: 256
    .name:           _Z39paged_attention_ll4mi_QKV_mfma16_kernelIDF16_hLN4vllm18Fp8KVCacheDataTypeE1EDF16_Li16ELi64ELi256ELb1ELi2EL8MFMAType0EEvPKT_PKT0_S8_ifPKiSA_SA_iPKfiiiPfSD_PS3_PT2_iSC_SC_
    .private_segment_fixed_size: 0
    .sgpr_count:     51
    .sgpr_spill_count: 0
    .symbol:         _Z39paged_attention_ll4mi_QKV_mfma16_kernelIDF16_hLN4vllm18Fp8KVCacheDataTypeE1EDF16_Li16ELi64ELi256ELb1ELi2EL8MFMAType0EEvPKT_PKT0_S8_ifPKiSA_SA_iPKfiiiPfSD_PS3_PT2_iSC_SC_.kd
    .uniform_work_group_size: 1
    .uses_dynamic_stack: false
    .vgpr_count:     62
    .vgpr_spill_count: 0
    .wavefront_size: 64
  - .agpr_count:     0
    .args:
      - .actual_access:  read_only
        .address_space:  global
        .offset:         0
        .size:           8
        .value_kind:     global_buffer
      - .actual_access:  read_only
        .address_space:  global
        .offset:         8
        .size:           8
        .value_kind:     global_buffer
      - .actual_access:  read_only
        .address_space:  global
        .offset:         16
        .size:           8
        .value_kind:     global_buffer
      - .offset:         24
        .size:           4
        .value_kind:     by_value
      - .offset:         28
        .size:           4
        .value_kind:     by_value
      - .actual_access:  read_only
        .address_space:  global
        .offset:         32
        .size:           8
        .value_kind:     global_buffer
      - .actual_access:  read_only
        .address_space:  global
        .offset:         40
        .size:           8
        .value_kind:     global_buffer
      - .actual_access:  read_only
        .address_space:  global
        .offset:         48
        .size:           8
        .value_kind:     global_buffer
      - .offset:         56
        .size:           4
        .value_kind:     by_value
      - .actual_access:  read_only
        .address_space:  global
        .offset:         64
        .size:           8
        .value_kind:     global_buffer
      - .offset:         72
        .size:           4
        .value_kind:     by_value
      - .offset:         76
        .size:           4
        .value_kind:     by_value
      - .offset:         80
        .size:           4
        .value_kind:     by_value
      - .actual_access:  write_only
        .address_space:  global
        .offset:         88
        .size:           8
        .value_kind:     global_buffer
      - .actual_access:  write_only
        .address_space:  global
        .offset:         96
        .size:           8
        .value_kind:     global_buffer
      - .actual_access:  write_only
        .address_space:  global
        .offset:         104
        .size:           8
        .value_kind:     global_buffer
      - .actual_access:  read_only
        .address_space:  global
        .offset:         112
        .size:           8
        .value_kind:     global_buffer
      - .offset:         120
        .size:           4
        .value_kind:     by_value
      - .address_space:  global
        .offset:         128
        .size:           8
        .value_kind:     global_buffer
      - .address_space:  global
        .offset:         136
        .size:           8
        .value_kind:     global_buffer
      - .offset:         144
        .size:           4
        .value_kind:     hidden_block_count_x
      - .offset:         148
        .size:           4
        .value_kind:     hidden_block_count_y
      - .offset:         152
        .size:           4
        .value_kind:     hidden_block_count_z
      - .offset:         156
        .size:           2
        .value_kind:     hidden_group_size_x
      - .offset:         158
        .size:           2
        .value_kind:     hidden_group_size_y
      - .offset:         160
        .size:           2
        .value_kind:     hidden_group_size_z
      - .offset:         162
        .size:           2
        .value_kind:     hidden_remainder_x
      - .offset:         164
        .size:           2
        .value_kind:     hidden_remainder_y
      - .offset:         166
        .size:           2
        .value_kind:     hidden_remainder_z
      - .offset:         184
        .size:           8
        .value_kind:     hidden_global_offset_x
      - .offset:         192
        .size:           8
        .value_kind:     hidden_global_offset_y
      - .offset:         200
        .size:           8
        .value_kind:     hidden_global_offset_z
      - .offset:         208
        .size:           2
        .value_kind:     hidden_grid_dims
    .group_segment_fixed_size: 8192
    .kernarg_segment_align: 8
    .kernarg_segment_size: 400
    .language:       OpenCL C
    .language_version:
      - 2
      - 0
    .max_flat_workgroup_size: 256
    .name:           _Z39paged_attention_ll4mi_QKV_mfma16_kernelIDF16_hLN4vllm18Fp8KVCacheDataTypeE1EDF16_Li16ELi64ELi256ELb1ELi3EL8MFMAType0EEvPKT_PKT0_S8_ifPKiSA_SA_iPKfiiiPfSD_PS3_PT2_iSC_SC_
    .private_segment_fixed_size: 0
    .sgpr_count:     51
    .sgpr_spill_count: 0
    .symbol:         _Z39paged_attention_ll4mi_QKV_mfma16_kernelIDF16_hLN4vllm18Fp8KVCacheDataTypeE1EDF16_Li16ELi64ELi256ELb1ELi3EL8MFMAType0EEvPKT_PKT0_S8_ifPKiSA_SA_iPKfiiiPfSD_PS3_PT2_iSC_SC_.kd
    .uniform_work_group_size: 1
    .uses_dynamic_stack: false
    .vgpr_count:     63
    .vgpr_spill_count: 0
    .wavefront_size: 64
  - .agpr_count:     0
    .args:
      - .actual_access:  read_only
        .address_space:  global
        .offset:         0
        .size:           8
        .value_kind:     global_buffer
      - .actual_access:  read_only
        .address_space:  global
        .offset:         8
        .size:           8
        .value_kind:     global_buffer
      - .actual_access:  read_only
        .address_space:  global
        .offset:         16
        .size:           8
        .value_kind:     global_buffer
      - .offset:         24
        .size:           4
        .value_kind:     by_value
      - .offset:         28
        .size:           4
        .value_kind:     by_value
      - .actual_access:  read_only
        .address_space:  global
        .offset:         32
        .size:           8
        .value_kind:     global_buffer
      - .actual_access:  read_only
        .address_space:  global
        .offset:         40
        .size:           8
        .value_kind:     global_buffer
      - .actual_access:  read_only
        .address_space:  global
        .offset:         48
        .size:           8
        .value_kind:     global_buffer
      - .offset:         56
        .size:           4
        .value_kind:     by_value
      - .actual_access:  read_only
        .address_space:  global
        .offset:         64
        .size:           8
        .value_kind:     global_buffer
      - .offset:         72
        .size:           4
        .value_kind:     by_value
      - .offset:         76
        .size:           4
        .value_kind:     by_value
      - .offset:         80
        .size:           4
        .value_kind:     by_value
      - .actual_access:  write_only
        .address_space:  global
        .offset:         88
        .size:           8
        .value_kind:     global_buffer
      - .actual_access:  write_only
        .address_space:  global
        .offset:         96
        .size:           8
        .value_kind:     global_buffer
      - .actual_access:  write_only
        .address_space:  global
        .offset:         104
        .size:           8
        .value_kind:     global_buffer
      - .actual_access:  read_only
        .address_space:  global
        .offset:         112
        .size:           8
        .value_kind:     global_buffer
      - .offset:         120
        .size:           4
        .value_kind:     by_value
      - .address_space:  global
        .offset:         128
        .size:           8
        .value_kind:     global_buffer
      - .address_space:  global
        .offset:         136
        .size:           8
        .value_kind:     global_buffer
      - .offset:         144
        .size:           4
        .value_kind:     hidden_block_count_x
      - .offset:         148
        .size:           4
        .value_kind:     hidden_block_count_y
      - .offset:         152
        .size:           4
        .value_kind:     hidden_block_count_z
      - .offset:         156
        .size:           2
        .value_kind:     hidden_group_size_x
      - .offset:         158
        .size:           2
        .value_kind:     hidden_group_size_y
      - .offset:         160
        .size:           2
        .value_kind:     hidden_group_size_z
      - .offset:         162
        .size:           2
        .value_kind:     hidden_remainder_x
      - .offset:         164
        .size:           2
        .value_kind:     hidden_remainder_y
      - .offset:         166
        .size:           2
        .value_kind:     hidden_remainder_z
      - .offset:         184
        .size:           8
        .value_kind:     hidden_global_offset_x
      - .offset:         192
        .size:           8
        .value_kind:     hidden_global_offset_y
      - .offset:         200
        .size:           8
        .value_kind:     hidden_global_offset_z
      - .offset:         208
        .size:           2
        .value_kind:     hidden_grid_dims
    .group_segment_fixed_size: 8192
    .kernarg_segment_align: 8
    .kernarg_segment_size: 400
    .language:       OpenCL C
    .language_version:
      - 2
      - 0
    .max_flat_workgroup_size: 256
    .name:           _Z39paged_attention_ll4mi_QKV_mfma16_kernelIDF16_hLN4vllm18Fp8KVCacheDataTypeE1EDF16_Li16ELi64ELi256ELb1ELi4EL8MFMAType0EEvPKT_PKT0_S8_ifPKiSA_SA_iPKfiiiPfSD_PS3_PT2_iSC_SC_
    .private_segment_fixed_size: 0
    .sgpr_count:     52
    .sgpr_spill_count: 0
    .symbol:         _Z39paged_attention_ll4mi_QKV_mfma16_kernelIDF16_hLN4vllm18Fp8KVCacheDataTypeE1EDF16_Li16ELi64ELi256ELb1ELi4EL8MFMAType0EEvPKT_PKT0_S8_ifPKiSA_SA_iPKfiiiPfSD_PS3_PT2_iSC_SC_.kd
    .uniform_work_group_size: 1
    .uses_dynamic_stack: false
    .vgpr_count:     64
    .vgpr_spill_count: 0
    .wavefront_size: 64
  - .agpr_count:     0
    .args:
      - .actual_access:  read_only
        .address_space:  global
        .offset:         0
        .size:           8
        .value_kind:     global_buffer
      - .actual_access:  read_only
        .address_space:  global
        .offset:         8
        .size:           8
        .value_kind:     global_buffer
      - .actual_access:  read_only
        .address_space:  global
        .offset:         16
        .size:           8
        .value_kind:     global_buffer
      - .offset:         24
        .size:           4
        .value_kind:     by_value
      - .offset:         28
        .size:           4
        .value_kind:     by_value
      - .actual_access:  read_only
        .address_space:  global
        .offset:         32
        .size:           8
        .value_kind:     global_buffer
      - .actual_access:  read_only
        .address_space:  global
        .offset:         40
        .size:           8
        .value_kind:     global_buffer
      - .actual_access:  read_only
        .address_space:  global
        .offset:         48
        .size:           8
        .value_kind:     global_buffer
      - .offset:         56
        .size:           4
        .value_kind:     by_value
      - .actual_access:  read_only
        .address_space:  global
        .offset:         64
        .size:           8
        .value_kind:     global_buffer
      - .offset:         72
        .size:           4
        .value_kind:     by_value
      - .offset:         76
        .size:           4
        .value_kind:     by_value
      - .offset:         80
        .size:           4
        .value_kind:     by_value
      - .actual_access:  write_only
        .address_space:  global
        .offset:         88
        .size:           8
        .value_kind:     global_buffer
      - .actual_access:  write_only
        .address_space:  global
        .offset:         96
        .size:           8
        .value_kind:     global_buffer
      - .actual_access:  write_only
        .address_space:  global
        .offset:         104
        .size:           8
        .value_kind:     global_buffer
      - .actual_access:  read_only
        .address_space:  global
        .offset:         112
        .size:           8
        .value_kind:     global_buffer
      - .offset:         120
        .size:           4
        .value_kind:     by_value
      - .address_space:  global
        .offset:         128
        .size:           8
        .value_kind:     global_buffer
      - .address_space:  global
        .offset:         136
        .size:           8
        .value_kind:     global_buffer
      - .offset:         144
        .size:           4
        .value_kind:     hidden_block_count_x
      - .offset:         148
        .size:           4
        .value_kind:     hidden_block_count_y
      - .offset:         152
        .size:           4
        .value_kind:     hidden_block_count_z
      - .offset:         156
        .size:           2
        .value_kind:     hidden_group_size_x
      - .offset:         158
        .size:           2
        .value_kind:     hidden_group_size_y
      - .offset:         160
        .size:           2
        .value_kind:     hidden_group_size_z
      - .offset:         162
        .size:           2
        .value_kind:     hidden_remainder_x
      - .offset:         164
        .size:           2
        .value_kind:     hidden_remainder_y
      - .offset:         166
        .size:           2
        .value_kind:     hidden_remainder_z
      - .offset:         184
        .size:           8
        .value_kind:     hidden_global_offset_x
      - .offset:         192
        .size:           8
        .value_kind:     hidden_global_offset_y
      - .offset:         200
        .size:           8
        .value_kind:     hidden_global_offset_z
      - .offset:         208
        .size:           2
        .value_kind:     hidden_grid_dims
    .group_segment_fixed_size: 8192
    .kernarg_segment_align: 8
    .kernarg_segment_size: 400
    .language:       OpenCL C
    .language_version:
      - 2
      - 0
    .max_flat_workgroup_size: 256
    .name:           _Z39paged_attention_ll4mi_QKV_mfma16_kernelIDF16_hLN4vllm18Fp8KVCacheDataTypeE1EDF16_Li16ELi64ELi256ELb0ELi5EL8MFMAType0EEvPKT_PKT0_S8_ifPKiSA_SA_iPKfiiiPfSD_PS3_PT2_iSC_SC_
    .private_segment_fixed_size: 0
    .sgpr_count:     51
    .sgpr_spill_count: 0
    .symbol:         _Z39paged_attention_ll4mi_QKV_mfma16_kernelIDF16_hLN4vllm18Fp8KVCacheDataTypeE1EDF16_Li16ELi64ELi256ELb0ELi5EL8MFMAType0EEvPKT_PKT0_S8_ifPKiSA_SA_iPKfiiiPfSD_PS3_PT2_iSC_SC_.kd
    .uniform_work_group_size: 1
    .uses_dynamic_stack: false
    .vgpr_count:     61
    .vgpr_spill_count: 0
    .wavefront_size: 64
  - .agpr_count:     0
    .args:
      - .actual_access:  read_only
        .address_space:  global
        .offset:         0
        .size:           8
        .value_kind:     global_buffer
      - .actual_access:  read_only
        .address_space:  global
        .offset:         8
        .size:           8
        .value_kind:     global_buffer
      - .actual_access:  read_only
        .address_space:  global
        .offset:         16
        .size:           8
        .value_kind:     global_buffer
      - .offset:         24
        .size:           4
        .value_kind:     by_value
      - .offset:         28
        .size:           4
        .value_kind:     by_value
      - .actual_access:  read_only
        .address_space:  global
        .offset:         32
        .size:           8
        .value_kind:     global_buffer
      - .actual_access:  read_only
        .address_space:  global
        .offset:         40
        .size:           8
        .value_kind:     global_buffer
      - .actual_access:  read_only
        .address_space:  global
        .offset:         48
        .size:           8
        .value_kind:     global_buffer
      - .offset:         56
        .size:           4
        .value_kind:     by_value
      - .actual_access:  read_only
        .address_space:  global
        .offset:         64
        .size:           8
        .value_kind:     global_buffer
      - .offset:         72
        .size:           4
        .value_kind:     by_value
      - .offset:         76
        .size:           4
        .value_kind:     by_value
      - .offset:         80
        .size:           4
        .value_kind:     by_value
      - .actual_access:  write_only
        .address_space:  global
        .offset:         88
        .size:           8
        .value_kind:     global_buffer
      - .actual_access:  write_only
        .address_space:  global
        .offset:         96
        .size:           8
        .value_kind:     global_buffer
      - .actual_access:  write_only
        .address_space:  global
        .offset:         104
        .size:           8
        .value_kind:     global_buffer
      - .actual_access:  read_only
        .address_space:  global
        .offset:         112
        .size:           8
        .value_kind:     global_buffer
      - .offset:         120
        .size:           4
        .value_kind:     by_value
      - .address_space:  global
        .offset:         128
        .size:           8
        .value_kind:     global_buffer
      - .address_space:  global
        .offset:         136
        .size:           8
        .value_kind:     global_buffer
      - .offset:         144
        .size:           4
        .value_kind:     hidden_block_count_x
      - .offset:         148
        .size:           4
        .value_kind:     hidden_block_count_y
      - .offset:         152
        .size:           4
        .value_kind:     hidden_block_count_z
      - .offset:         156
        .size:           2
        .value_kind:     hidden_group_size_x
      - .offset:         158
        .size:           2
        .value_kind:     hidden_group_size_y
      - .offset:         160
        .size:           2
        .value_kind:     hidden_group_size_z
      - .offset:         162
        .size:           2
        .value_kind:     hidden_remainder_x
      - .offset:         164
        .size:           2
        .value_kind:     hidden_remainder_y
      - .offset:         166
        .size:           2
        .value_kind:     hidden_remainder_z
      - .offset:         184
        .size:           8
        .value_kind:     hidden_global_offset_x
      - .offset:         192
        .size:           8
        .value_kind:     hidden_global_offset_y
      - .offset:         200
        .size:           8
        .value_kind:     hidden_global_offset_z
      - .offset:         208
        .size:           2
        .value_kind:     hidden_grid_dims
    .group_segment_fixed_size: 8192
    .kernarg_segment_align: 8
    .kernarg_segment_size: 400
    .language:       OpenCL C
    .language_version:
      - 2
      - 0
    .max_flat_workgroup_size: 256
    .name:           _Z39paged_attention_ll4mi_QKV_mfma16_kernelIDF16_hLN4vllm18Fp8KVCacheDataTypeE1EDF16_Li16ELi64ELi256ELb0ELi6EL8MFMAType0EEvPKT_PKT0_S8_ifPKiSA_SA_iPKfiiiPfSD_PS3_PT2_iSC_SC_
    .private_segment_fixed_size: 0
    .sgpr_count:     51
    .sgpr_spill_count: 0
    .symbol:         _Z39paged_attention_ll4mi_QKV_mfma16_kernelIDF16_hLN4vllm18Fp8KVCacheDataTypeE1EDF16_Li16ELi64ELi256ELb0ELi6EL8MFMAType0EEvPKT_PKT0_S8_ifPKiSA_SA_iPKfiiiPfSD_PS3_PT2_iSC_SC_.kd
    .uniform_work_group_size: 1
    .uses_dynamic_stack: false
    .vgpr_count:     61
    .vgpr_spill_count: 0
    .wavefront_size: 64
  - .agpr_count:     0
    .args:
      - .actual_access:  read_only
        .address_space:  global
        .offset:         0
        .size:           8
        .value_kind:     global_buffer
      - .actual_access:  read_only
        .address_space:  global
        .offset:         8
        .size:           8
        .value_kind:     global_buffer
      - .actual_access:  read_only
        .address_space:  global
        .offset:         16
        .size:           8
        .value_kind:     global_buffer
      - .offset:         24
        .size:           4
        .value_kind:     by_value
      - .offset:         28
        .size:           4
        .value_kind:     by_value
      - .actual_access:  read_only
        .address_space:  global
        .offset:         32
        .size:           8
        .value_kind:     global_buffer
      - .actual_access:  read_only
        .address_space:  global
        .offset:         40
        .size:           8
        .value_kind:     global_buffer
      - .actual_access:  read_only
        .address_space:  global
        .offset:         48
        .size:           8
        .value_kind:     global_buffer
      - .offset:         56
        .size:           4
        .value_kind:     by_value
      - .actual_access:  read_only
        .address_space:  global
        .offset:         64
        .size:           8
        .value_kind:     global_buffer
      - .offset:         72
        .size:           4
        .value_kind:     by_value
      - .offset:         76
        .size:           4
        .value_kind:     by_value
      - .offset:         80
        .size:           4
        .value_kind:     by_value
      - .actual_access:  write_only
        .address_space:  global
        .offset:         88
        .size:           8
        .value_kind:     global_buffer
      - .actual_access:  write_only
        .address_space:  global
        .offset:         96
        .size:           8
        .value_kind:     global_buffer
      - .actual_access:  write_only
        .address_space:  global
        .offset:         104
        .size:           8
        .value_kind:     global_buffer
      - .actual_access:  read_only
        .address_space:  global
        .offset:         112
        .size:           8
        .value_kind:     global_buffer
      - .offset:         120
        .size:           4
        .value_kind:     by_value
      - .address_space:  global
        .offset:         128
        .size:           8
        .value_kind:     global_buffer
      - .address_space:  global
        .offset:         136
        .size:           8
        .value_kind:     global_buffer
      - .offset:         144
        .size:           4
        .value_kind:     hidden_block_count_x
      - .offset:         148
        .size:           4
        .value_kind:     hidden_block_count_y
      - .offset:         152
        .size:           4
        .value_kind:     hidden_block_count_z
      - .offset:         156
        .size:           2
        .value_kind:     hidden_group_size_x
      - .offset:         158
        .size:           2
        .value_kind:     hidden_group_size_y
      - .offset:         160
        .size:           2
        .value_kind:     hidden_group_size_z
      - .offset:         162
        .size:           2
        .value_kind:     hidden_remainder_x
      - .offset:         164
        .size:           2
        .value_kind:     hidden_remainder_y
      - .offset:         166
        .size:           2
        .value_kind:     hidden_remainder_z
      - .offset:         184
        .size:           8
        .value_kind:     hidden_global_offset_x
      - .offset:         192
        .size:           8
        .value_kind:     hidden_global_offset_y
      - .offset:         200
        .size:           8
        .value_kind:     hidden_global_offset_z
      - .offset:         208
        .size:           2
        .value_kind:     hidden_grid_dims
    .group_segment_fixed_size: 8192
    .kernarg_segment_align: 8
    .kernarg_segment_size: 400
    .language:       OpenCL C
    .language_version:
      - 2
      - 0
    .max_flat_workgroup_size: 256
    .name:           _Z39paged_attention_ll4mi_QKV_mfma16_kernelIDF16_hLN4vllm18Fp8KVCacheDataTypeE1EDF16_Li16ELi64ELi256ELb0ELi7EL8MFMAType0EEvPKT_PKT0_S8_ifPKiSA_SA_iPKfiiiPfSD_PS3_PT2_iSC_SC_
    .private_segment_fixed_size: 0
    .sgpr_count:     51
    .sgpr_spill_count: 0
    .symbol:         _Z39paged_attention_ll4mi_QKV_mfma16_kernelIDF16_hLN4vllm18Fp8KVCacheDataTypeE1EDF16_Li16ELi64ELi256ELb0ELi7EL8MFMAType0EEvPKT_PKT0_S8_ifPKiSA_SA_iPKfiiiPfSD_PS3_PT2_iSC_SC_.kd
    .uniform_work_group_size: 1
    .uses_dynamic_stack: false
    .vgpr_count:     61
    .vgpr_spill_count: 0
    .wavefront_size: 64
  - .agpr_count:     0
    .args:
      - .actual_access:  read_only
        .address_space:  global
        .offset:         0
        .size:           8
        .value_kind:     global_buffer
      - .actual_access:  read_only
        .address_space:  global
        .offset:         8
        .size:           8
        .value_kind:     global_buffer
      - .actual_access:  read_only
        .address_space:  global
        .offset:         16
        .size:           8
        .value_kind:     global_buffer
      - .offset:         24
        .size:           4
        .value_kind:     by_value
      - .offset:         28
        .size:           4
        .value_kind:     by_value
      - .actual_access:  read_only
        .address_space:  global
        .offset:         32
        .size:           8
        .value_kind:     global_buffer
      - .actual_access:  read_only
        .address_space:  global
        .offset:         40
        .size:           8
        .value_kind:     global_buffer
      - .actual_access:  read_only
        .address_space:  global
        .offset:         48
        .size:           8
        .value_kind:     global_buffer
      - .offset:         56
        .size:           4
        .value_kind:     by_value
      - .actual_access:  read_only
        .address_space:  global
        .offset:         64
        .size:           8
        .value_kind:     global_buffer
      - .offset:         72
        .size:           4
        .value_kind:     by_value
      - .offset:         76
        .size:           4
        .value_kind:     by_value
      - .offset:         80
        .size:           4
        .value_kind:     by_value
      - .actual_access:  write_only
        .address_space:  global
        .offset:         88
        .size:           8
        .value_kind:     global_buffer
      - .actual_access:  write_only
        .address_space:  global
        .offset:         96
        .size:           8
        .value_kind:     global_buffer
      - .actual_access:  write_only
        .address_space:  global
        .offset:         104
        .size:           8
        .value_kind:     global_buffer
      - .actual_access:  read_only
        .address_space:  global
        .offset:         112
        .size:           8
        .value_kind:     global_buffer
      - .offset:         120
        .size:           4
        .value_kind:     by_value
      - .address_space:  global
        .offset:         128
        .size:           8
        .value_kind:     global_buffer
      - .address_space:  global
        .offset:         136
        .size:           8
        .value_kind:     global_buffer
      - .offset:         144
        .size:           4
        .value_kind:     hidden_block_count_x
      - .offset:         148
        .size:           4
        .value_kind:     hidden_block_count_y
      - .offset:         152
        .size:           4
        .value_kind:     hidden_block_count_z
      - .offset:         156
        .size:           2
        .value_kind:     hidden_group_size_x
      - .offset:         158
        .size:           2
        .value_kind:     hidden_group_size_y
      - .offset:         160
        .size:           2
        .value_kind:     hidden_group_size_z
      - .offset:         162
        .size:           2
        .value_kind:     hidden_remainder_x
      - .offset:         164
        .size:           2
        .value_kind:     hidden_remainder_y
      - .offset:         166
        .size:           2
        .value_kind:     hidden_remainder_z
      - .offset:         184
        .size:           8
        .value_kind:     hidden_global_offset_x
      - .offset:         192
        .size:           8
        .value_kind:     hidden_global_offset_y
      - .offset:         200
        .size:           8
        .value_kind:     hidden_global_offset_z
      - .offset:         208
        .size:           2
        .value_kind:     hidden_grid_dims
    .group_segment_fixed_size: 8192
    .kernarg_segment_align: 8
    .kernarg_segment_size: 400
    .language:       OpenCL C
    .language_version:
      - 2
      - 0
    .max_flat_workgroup_size: 256
    .name:           _Z39paged_attention_ll4mi_QKV_mfma16_kernelIDF16_hLN4vllm18Fp8KVCacheDataTypeE1EDF16_Li16ELi64ELi256ELb0ELi8EL8MFMAType0EEvPKT_PKT0_S8_ifPKiSA_SA_iPKfiiiPfSD_PS3_PT2_iSC_SC_
    .private_segment_fixed_size: 0
    .sgpr_count:     51
    .sgpr_spill_count: 0
    .symbol:         _Z39paged_attention_ll4mi_QKV_mfma16_kernelIDF16_hLN4vllm18Fp8KVCacheDataTypeE1EDF16_Li16ELi64ELi256ELb0ELi8EL8MFMAType0EEvPKT_PKT0_S8_ifPKiSA_SA_iPKfiiiPfSD_PS3_PT2_iSC_SC_.kd
    .uniform_work_group_size: 1
    .uses_dynamic_stack: false
    .vgpr_count:     61
    .vgpr_spill_count: 0
    .wavefront_size: 64
  - .agpr_count:     0
    .args:
      - .actual_access:  read_only
        .address_space:  global
        .offset:         0
        .size:           8
        .value_kind:     global_buffer
      - .actual_access:  read_only
        .address_space:  global
        .offset:         8
        .size:           8
        .value_kind:     global_buffer
      - .actual_access:  read_only
        .address_space:  global
        .offset:         16
        .size:           8
        .value_kind:     global_buffer
      - .offset:         24
        .size:           4
        .value_kind:     by_value
      - .offset:         28
        .size:           4
        .value_kind:     by_value
      - .actual_access:  read_only
        .address_space:  global
        .offset:         32
        .size:           8
        .value_kind:     global_buffer
      - .actual_access:  read_only
        .address_space:  global
        .offset:         40
        .size:           8
        .value_kind:     global_buffer
      - .actual_access:  read_only
        .address_space:  global
        .offset:         48
        .size:           8
        .value_kind:     global_buffer
      - .offset:         56
        .size:           4
        .value_kind:     by_value
      - .actual_access:  read_only
        .address_space:  global
        .offset:         64
        .size:           8
        .value_kind:     global_buffer
      - .offset:         72
        .size:           4
        .value_kind:     by_value
      - .offset:         76
        .size:           4
        .value_kind:     by_value
      - .offset:         80
        .size:           4
        .value_kind:     by_value
      - .actual_access:  write_only
        .address_space:  global
        .offset:         88
        .size:           8
        .value_kind:     global_buffer
      - .actual_access:  write_only
        .address_space:  global
        .offset:         96
        .size:           8
        .value_kind:     global_buffer
      - .actual_access:  write_only
        .address_space:  global
        .offset:         104
        .size:           8
        .value_kind:     global_buffer
      - .actual_access:  read_only
        .address_space:  global
        .offset:         112
        .size:           8
        .value_kind:     global_buffer
      - .offset:         120
        .size:           4
        .value_kind:     by_value
      - .address_space:  global
        .offset:         128
        .size:           8
        .value_kind:     global_buffer
      - .address_space:  global
        .offset:         136
        .size:           8
        .value_kind:     global_buffer
      - .offset:         144
        .size:           4
        .value_kind:     hidden_block_count_x
      - .offset:         148
        .size:           4
        .value_kind:     hidden_block_count_y
      - .offset:         152
        .size:           4
        .value_kind:     hidden_block_count_z
      - .offset:         156
        .size:           2
        .value_kind:     hidden_group_size_x
      - .offset:         158
        .size:           2
        .value_kind:     hidden_group_size_y
      - .offset:         160
        .size:           2
        .value_kind:     hidden_group_size_z
      - .offset:         162
        .size:           2
        .value_kind:     hidden_remainder_x
      - .offset:         164
        .size:           2
        .value_kind:     hidden_remainder_y
      - .offset:         166
        .size:           2
        .value_kind:     hidden_remainder_z
      - .offset:         184
        .size:           8
        .value_kind:     hidden_global_offset_x
      - .offset:         192
        .size:           8
        .value_kind:     hidden_global_offset_y
      - .offset:         200
        .size:           8
        .value_kind:     hidden_global_offset_z
      - .offset:         208
        .size:           2
        .value_kind:     hidden_grid_dims
    .group_segment_fixed_size: 8192
    .kernarg_segment_align: 8
    .kernarg_segment_size: 400
    .language:       OpenCL C
    .language_version:
      - 2
      - 0
    .max_flat_workgroup_size: 256
    .name:           _Z39paged_attention_ll4mi_QKV_mfma16_kernelIDF16_hLN4vllm18Fp8KVCacheDataTypeE1EDF16_Li16ELi64ELi256ELb0ELi9EL8MFMAType0EEvPKT_PKT0_S8_ifPKiSA_SA_iPKfiiiPfSD_PS3_PT2_iSC_SC_
    .private_segment_fixed_size: 0
    .sgpr_count:     51
    .sgpr_spill_count: 0
    .symbol:         _Z39paged_attention_ll4mi_QKV_mfma16_kernelIDF16_hLN4vllm18Fp8KVCacheDataTypeE1EDF16_Li16ELi64ELi256ELb0ELi9EL8MFMAType0EEvPKT_PKT0_S8_ifPKiSA_SA_iPKfiiiPfSD_PS3_PT2_iSC_SC_.kd
    .uniform_work_group_size: 1
    .uses_dynamic_stack: false
    .vgpr_count:     61
    .vgpr_spill_count: 0
    .wavefront_size: 64
  - .agpr_count:     0
    .args:
      - .actual_access:  read_only
        .address_space:  global
        .offset:         0
        .size:           8
        .value_kind:     global_buffer
      - .actual_access:  read_only
        .address_space:  global
        .offset:         8
        .size:           8
        .value_kind:     global_buffer
      - .actual_access:  read_only
        .address_space:  global
        .offset:         16
        .size:           8
        .value_kind:     global_buffer
      - .offset:         24
        .size:           4
        .value_kind:     by_value
      - .offset:         28
        .size:           4
        .value_kind:     by_value
      - .actual_access:  read_only
        .address_space:  global
        .offset:         32
        .size:           8
        .value_kind:     global_buffer
      - .actual_access:  read_only
        .address_space:  global
        .offset:         40
        .size:           8
        .value_kind:     global_buffer
      - .actual_access:  read_only
        .address_space:  global
        .offset:         48
        .size:           8
        .value_kind:     global_buffer
      - .offset:         56
        .size:           4
        .value_kind:     by_value
      - .actual_access:  read_only
        .address_space:  global
        .offset:         64
        .size:           8
        .value_kind:     global_buffer
      - .offset:         72
        .size:           4
        .value_kind:     by_value
      - .offset:         76
        .size:           4
        .value_kind:     by_value
      - .offset:         80
        .size:           4
        .value_kind:     by_value
      - .actual_access:  write_only
        .address_space:  global
        .offset:         88
        .size:           8
        .value_kind:     global_buffer
      - .actual_access:  write_only
        .address_space:  global
        .offset:         96
        .size:           8
        .value_kind:     global_buffer
      - .actual_access:  write_only
        .address_space:  global
        .offset:         104
        .size:           8
        .value_kind:     global_buffer
      - .actual_access:  read_only
        .address_space:  global
        .offset:         112
        .size:           8
        .value_kind:     global_buffer
      - .offset:         120
        .size:           4
        .value_kind:     by_value
      - .address_space:  global
        .offset:         128
        .size:           8
        .value_kind:     global_buffer
      - .address_space:  global
        .offset:         136
        .size:           8
        .value_kind:     global_buffer
      - .offset:         144
        .size:           4
        .value_kind:     hidden_block_count_x
      - .offset:         148
        .size:           4
        .value_kind:     hidden_block_count_y
      - .offset:         152
        .size:           4
        .value_kind:     hidden_block_count_z
      - .offset:         156
        .size:           2
        .value_kind:     hidden_group_size_x
      - .offset:         158
        .size:           2
        .value_kind:     hidden_group_size_y
      - .offset:         160
        .size:           2
        .value_kind:     hidden_group_size_z
      - .offset:         162
        .size:           2
        .value_kind:     hidden_remainder_x
      - .offset:         164
        .size:           2
        .value_kind:     hidden_remainder_y
      - .offset:         166
        .size:           2
        .value_kind:     hidden_remainder_z
      - .offset:         184
        .size:           8
        .value_kind:     hidden_global_offset_x
      - .offset:         192
        .size:           8
        .value_kind:     hidden_global_offset_y
      - .offset:         200
        .size:           8
        .value_kind:     hidden_global_offset_z
      - .offset:         208
        .size:           2
        .value_kind:     hidden_grid_dims
    .group_segment_fixed_size: 8192
    .kernarg_segment_align: 8
    .kernarg_segment_size: 400
    .language:       OpenCL C
    .language_version:
      - 2
      - 0
    .max_flat_workgroup_size: 256
    .name:           _Z39paged_attention_ll4mi_QKV_mfma16_kernelIDF16_hLN4vllm18Fp8KVCacheDataTypeE1EDF16_Li16ELi64ELi256ELb0ELi10EL8MFMAType0EEvPKT_PKT0_S8_ifPKiSA_SA_iPKfiiiPfSD_PS3_PT2_iSC_SC_
    .private_segment_fixed_size: 0
    .sgpr_count:     51
    .sgpr_spill_count: 0
    .symbol:         _Z39paged_attention_ll4mi_QKV_mfma16_kernelIDF16_hLN4vllm18Fp8KVCacheDataTypeE1EDF16_Li16ELi64ELi256ELb0ELi10EL8MFMAType0EEvPKT_PKT0_S8_ifPKiSA_SA_iPKfiiiPfSD_PS3_PT2_iSC_SC_.kd
    .uniform_work_group_size: 1
    .uses_dynamic_stack: false
    .vgpr_count:     61
    .vgpr_spill_count: 0
    .wavefront_size: 64
  - .agpr_count:     0
    .args:
      - .actual_access:  read_only
        .address_space:  global
        .offset:         0
        .size:           8
        .value_kind:     global_buffer
      - .actual_access:  read_only
        .address_space:  global
        .offset:         8
        .size:           8
        .value_kind:     global_buffer
      - .actual_access:  read_only
        .address_space:  global
        .offset:         16
        .size:           8
        .value_kind:     global_buffer
      - .offset:         24
        .size:           4
        .value_kind:     by_value
      - .offset:         28
        .size:           4
        .value_kind:     by_value
      - .actual_access:  read_only
        .address_space:  global
        .offset:         32
        .size:           8
        .value_kind:     global_buffer
      - .actual_access:  read_only
        .address_space:  global
        .offset:         40
        .size:           8
        .value_kind:     global_buffer
      - .actual_access:  read_only
        .address_space:  global
        .offset:         48
        .size:           8
        .value_kind:     global_buffer
      - .offset:         56
        .size:           4
        .value_kind:     by_value
      - .actual_access:  read_only
        .address_space:  global
        .offset:         64
        .size:           8
        .value_kind:     global_buffer
      - .offset:         72
        .size:           4
        .value_kind:     by_value
      - .offset:         76
        .size:           4
        .value_kind:     by_value
      - .offset:         80
        .size:           4
        .value_kind:     by_value
      - .actual_access:  write_only
        .address_space:  global
        .offset:         88
        .size:           8
        .value_kind:     global_buffer
      - .actual_access:  write_only
        .address_space:  global
        .offset:         96
        .size:           8
        .value_kind:     global_buffer
      - .actual_access:  write_only
        .address_space:  global
        .offset:         104
        .size:           8
        .value_kind:     global_buffer
      - .actual_access:  read_only
        .address_space:  global
        .offset:         112
        .size:           8
        .value_kind:     global_buffer
      - .offset:         120
        .size:           4
        .value_kind:     by_value
      - .address_space:  global
        .offset:         128
        .size:           8
        .value_kind:     global_buffer
      - .address_space:  global
        .offset:         136
        .size:           8
        .value_kind:     global_buffer
      - .offset:         144
        .size:           4
        .value_kind:     hidden_block_count_x
      - .offset:         148
        .size:           4
        .value_kind:     hidden_block_count_y
      - .offset:         152
        .size:           4
        .value_kind:     hidden_block_count_z
      - .offset:         156
        .size:           2
        .value_kind:     hidden_group_size_x
      - .offset:         158
        .size:           2
        .value_kind:     hidden_group_size_y
      - .offset:         160
        .size:           2
        .value_kind:     hidden_group_size_z
      - .offset:         162
        .size:           2
        .value_kind:     hidden_remainder_x
      - .offset:         164
        .size:           2
        .value_kind:     hidden_remainder_y
      - .offset:         166
        .size:           2
        .value_kind:     hidden_remainder_z
      - .offset:         184
        .size:           8
        .value_kind:     hidden_global_offset_x
      - .offset:         192
        .size:           8
        .value_kind:     hidden_global_offset_y
      - .offset:         200
        .size:           8
        .value_kind:     hidden_global_offset_z
      - .offset:         208
        .size:           2
        .value_kind:     hidden_grid_dims
    .group_segment_fixed_size: 8192
    .kernarg_segment_align: 8
    .kernarg_segment_size: 400
    .language:       OpenCL C
    .language_version:
      - 2
      - 0
    .max_flat_workgroup_size: 256
    .name:           _Z39paged_attention_ll4mi_QKV_mfma16_kernelIDF16_hLN4vllm18Fp8KVCacheDataTypeE1EDF16_Li16ELi64ELi256ELb0ELi11EL8MFMAType0EEvPKT_PKT0_S8_ifPKiSA_SA_iPKfiiiPfSD_PS3_PT2_iSC_SC_
    .private_segment_fixed_size: 0
    .sgpr_count:     51
    .sgpr_spill_count: 0
    .symbol:         _Z39paged_attention_ll4mi_QKV_mfma16_kernelIDF16_hLN4vllm18Fp8KVCacheDataTypeE1EDF16_Li16ELi64ELi256ELb0ELi11EL8MFMAType0EEvPKT_PKT0_S8_ifPKiSA_SA_iPKfiiiPfSD_PS3_PT2_iSC_SC_.kd
    .uniform_work_group_size: 1
    .uses_dynamic_stack: false
    .vgpr_count:     61
    .vgpr_spill_count: 0
    .wavefront_size: 64
  - .agpr_count:     0
    .args:
      - .actual_access:  read_only
        .address_space:  global
        .offset:         0
        .size:           8
        .value_kind:     global_buffer
      - .actual_access:  read_only
        .address_space:  global
        .offset:         8
        .size:           8
        .value_kind:     global_buffer
      - .actual_access:  read_only
        .address_space:  global
        .offset:         16
        .size:           8
        .value_kind:     global_buffer
      - .offset:         24
        .size:           4
        .value_kind:     by_value
      - .offset:         28
        .size:           4
        .value_kind:     by_value
      - .actual_access:  read_only
        .address_space:  global
        .offset:         32
        .size:           8
        .value_kind:     global_buffer
      - .actual_access:  read_only
        .address_space:  global
        .offset:         40
        .size:           8
        .value_kind:     global_buffer
      - .actual_access:  read_only
        .address_space:  global
        .offset:         48
        .size:           8
        .value_kind:     global_buffer
      - .offset:         56
        .size:           4
        .value_kind:     by_value
      - .actual_access:  read_only
        .address_space:  global
        .offset:         64
        .size:           8
        .value_kind:     global_buffer
      - .offset:         72
        .size:           4
        .value_kind:     by_value
      - .offset:         76
        .size:           4
        .value_kind:     by_value
      - .offset:         80
        .size:           4
        .value_kind:     by_value
      - .actual_access:  write_only
        .address_space:  global
        .offset:         88
        .size:           8
        .value_kind:     global_buffer
      - .actual_access:  write_only
        .address_space:  global
        .offset:         96
        .size:           8
        .value_kind:     global_buffer
      - .actual_access:  write_only
        .address_space:  global
        .offset:         104
        .size:           8
        .value_kind:     global_buffer
      - .actual_access:  read_only
        .address_space:  global
        .offset:         112
        .size:           8
        .value_kind:     global_buffer
      - .offset:         120
        .size:           4
        .value_kind:     by_value
      - .address_space:  global
        .offset:         128
        .size:           8
        .value_kind:     global_buffer
      - .address_space:  global
        .offset:         136
        .size:           8
        .value_kind:     global_buffer
      - .offset:         144
        .size:           4
        .value_kind:     hidden_block_count_x
      - .offset:         148
        .size:           4
        .value_kind:     hidden_block_count_y
      - .offset:         152
        .size:           4
        .value_kind:     hidden_block_count_z
      - .offset:         156
        .size:           2
        .value_kind:     hidden_group_size_x
      - .offset:         158
        .size:           2
        .value_kind:     hidden_group_size_y
      - .offset:         160
        .size:           2
        .value_kind:     hidden_group_size_z
      - .offset:         162
        .size:           2
        .value_kind:     hidden_remainder_x
      - .offset:         164
        .size:           2
        .value_kind:     hidden_remainder_y
      - .offset:         166
        .size:           2
        .value_kind:     hidden_remainder_z
      - .offset:         184
        .size:           8
        .value_kind:     hidden_global_offset_x
      - .offset:         192
        .size:           8
        .value_kind:     hidden_global_offset_y
      - .offset:         200
        .size:           8
        .value_kind:     hidden_global_offset_z
      - .offset:         208
        .size:           2
        .value_kind:     hidden_grid_dims
    .group_segment_fixed_size: 8192
    .kernarg_segment_align: 8
    .kernarg_segment_size: 400
    .language:       OpenCL C
    .language_version:
      - 2
      - 0
    .max_flat_workgroup_size: 256
    .name:           _Z39paged_attention_ll4mi_QKV_mfma16_kernelIDF16_hLN4vllm18Fp8KVCacheDataTypeE1EDF16_Li16ELi64ELi256ELb0ELi12EL8MFMAType0EEvPKT_PKT0_S8_ifPKiSA_SA_iPKfiiiPfSD_PS3_PT2_iSC_SC_
    .private_segment_fixed_size: 0
    .sgpr_count:     51
    .sgpr_spill_count: 0
    .symbol:         _Z39paged_attention_ll4mi_QKV_mfma16_kernelIDF16_hLN4vllm18Fp8KVCacheDataTypeE1EDF16_Li16ELi64ELi256ELb0ELi12EL8MFMAType0EEvPKT_PKT0_S8_ifPKiSA_SA_iPKfiiiPfSD_PS3_PT2_iSC_SC_.kd
    .uniform_work_group_size: 1
    .uses_dynamic_stack: false
    .vgpr_count:     61
    .vgpr_spill_count: 0
    .wavefront_size: 64
  - .agpr_count:     0
    .args:
      - .actual_access:  read_only
        .address_space:  global
        .offset:         0
        .size:           8
        .value_kind:     global_buffer
      - .actual_access:  read_only
        .address_space:  global
        .offset:         8
        .size:           8
        .value_kind:     global_buffer
      - .actual_access:  read_only
        .address_space:  global
        .offset:         16
        .size:           8
        .value_kind:     global_buffer
      - .offset:         24
        .size:           4
        .value_kind:     by_value
      - .offset:         28
        .size:           4
        .value_kind:     by_value
      - .actual_access:  read_only
        .address_space:  global
        .offset:         32
        .size:           8
        .value_kind:     global_buffer
      - .actual_access:  read_only
        .address_space:  global
        .offset:         40
        .size:           8
        .value_kind:     global_buffer
      - .actual_access:  read_only
        .address_space:  global
        .offset:         48
        .size:           8
        .value_kind:     global_buffer
      - .offset:         56
        .size:           4
        .value_kind:     by_value
      - .actual_access:  read_only
        .address_space:  global
        .offset:         64
        .size:           8
        .value_kind:     global_buffer
      - .offset:         72
        .size:           4
        .value_kind:     by_value
      - .offset:         76
        .size:           4
        .value_kind:     by_value
      - .offset:         80
        .size:           4
        .value_kind:     by_value
      - .actual_access:  write_only
        .address_space:  global
        .offset:         88
        .size:           8
        .value_kind:     global_buffer
      - .actual_access:  write_only
        .address_space:  global
        .offset:         96
        .size:           8
        .value_kind:     global_buffer
      - .actual_access:  write_only
        .address_space:  global
        .offset:         104
        .size:           8
        .value_kind:     global_buffer
      - .actual_access:  read_only
        .address_space:  global
        .offset:         112
        .size:           8
        .value_kind:     global_buffer
      - .offset:         120
        .size:           4
        .value_kind:     by_value
      - .address_space:  global
        .offset:         128
        .size:           8
        .value_kind:     global_buffer
      - .address_space:  global
        .offset:         136
        .size:           8
        .value_kind:     global_buffer
      - .offset:         144
        .size:           4
        .value_kind:     hidden_block_count_x
      - .offset:         148
        .size:           4
        .value_kind:     hidden_block_count_y
      - .offset:         152
        .size:           4
        .value_kind:     hidden_block_count_z
      - .offset:         156
        .size:           2
        .value_kind:     hidden_group_size_x
      - .offset:         158
        .size:           2
        .value_kind:     hidden_group_size_y
      - .offset:         160
        .size:           2
        .value_kind:     hidden_group_size_z
      - .offset:         162
        .size:           2
        .value_kind:     hidden_remainder_x
      - .offset:         164
        .size:           2
        .value_kind:     hidden_remainder_y
      - .offset:         166
        .size:           2
        .value_kind:     hidden_remainder_z
      - .offset:         184
        .size:           8
        .value_kind:     hidden_global_offset_x
      - .offset:         192
        .size:           8
        .value_kind:     hidden_global_offset_y
      - .offset:         200
        .size:           8
        .value_kind:     hidden_global_offset_z
      - .offset:         208
        .size:           2
        .value_kind:     hidden_grid_dims
    .group_segment_fixed_size: 8192
    .kernarg_segment_align: 8
    .kernarg_segment_size: 400
    .language:       OpenCL C
    .language_version:
      - 2
      - 0
    .max_flat_workgroup_size: 256
    .name:           _Z39paged_attention_ll4mi_QKV_mfma16_kernelIDF16_hLN4vllm18Fp8KVCacheDataTypeE1EDF16_Li16ELi64ELi256ELb0ELi13EL8MFMAType0EEvPKT_PKT0_S8_ifPKiSA_SA_iPKfiiiPfSD_PS3_PT2_iSC_SC_
    .private_segment_fixed_size: 0
    .sgpr_count:     51
    .sgpr_spill_count: 0
    .symbol:         _Z39paged_attention_ll4mi_QKV_mfma16_kernelIDF16_hLN4vllm18Fp8KVCacheDataTypeE1EDF16_Li16ELi64ELi256ELb0ELi13EL8MFMAType0EEvPKT_PKT0_S8_ifPKiSA_SA_iPKfiiiPfSD_PS3_PT2_iSC_SC_.kd
    .uniform_work_group_size: 1
    .uses_dynamic_stack: false
    .vgpr_count:     61
    .vgpr_spill_count: 0
    .wavefront_size: 64
  - .agpr_count:     0
    .args:
      - .actual_access:  read_only
        .address_space:  global
        .offset:         0
        .size:           8
        .value_kind:     global_buffer
      - .actual_access:  read_only
        .address_space:  global
        .offset:         8
        .size:           8
        .value_kind:     global_buffer
      - .actual_access:  read_only
        .address_space:  global
        .offset:         16
        .size:           8
        .value_kind:     global_buffer
      - .offset:         24
        .size:           4
        .value_kind:     by_value
      - .offset:         28
        .size:           4
        .value_kind:     by_value
      - .actual_access:  read_only
        .address_space:  global
        .offset:         32
        .size:           8
        .value_kind:     global_buffer
      - .actual_access:  read_only
        .address_space:  global
        .offset:         40
        .size:           8
        .value_kind:     global_buffer
      - .actual_access:  read_only
        .address_space:  global
        .offset:         48
        .size:           8
        .value_kind:     global_buffer
      - .offset:         56
        .size:           4
        .value_kind:     by_value
      - .actual_access:  read_only
        .address_space:  global
        .offset:         64
        .size:           8
        .value_kind:     global_buffer
      - .offset:         72
        .size:           4
        .value_kind:     by_value
      - .offset:         76
        .size:           4
        .value_kind:     by_value
      - .offset:         80
        .size:           4
        .value_kind:     by_value
      - .actual_access:  write_only
        .address_space:  global
        .offset:         88
        .size:           8
        .value_kind:     global_buffer
      - .actual_access:  write_only
        .address_space:  global
        .offset:         96
        .size:           8
        .value_kind:     global_buffer
      - .actual_access:  write_only
        .address_space:  global
        .offset:         104
        .size:           8
        .value_kind:     global_buffer
      - .actual_access:  read_only
        .address_space:  global
        .offset:         112
        .size:           8
        .value_kind:     global_buffer
      - .offset:         120
        .size:           4
        .value_kind:     by_value
      - .address_space:  global
        .offset:         128
        .size:           8
        .value_kind:     global_buffer
      - .address_space:  global
        .offset:         136
        .size:           8
        .value_kind:     global_buffer
      - .offset:         144
        .size:           4
        .value_kind:     hidden_block_count_x
      - .offset:         148
        .size:           4
        .value_kind:     hidden_block_count_y
      - .offset:         152
        .size:           4
        .value_kind:     hidden_block_count_z
      - .offset:         156
        .size:           2
        .value_kind:     hidden_group_size_x
      - .offset:         158
        .size:           2
        .value_kind:     hidden_group_size_y
      - .offset:         160
        .size:           2
        .value_kind:     hidden_group_size_z
      - .offset:         162
        .size:           2
        .value_kind:     hidden_remainder_x
      - .offset:         164
        .size:           2
        .value_kind:     hidden_remainder_y
      - .offset:         166
        .size:           2
        .value_kind:     hidden_remainder_z
      - .offset:         184
        .size:           8
        .value_kind:     hidden_global_offset_x
      - .offset:         192
        .size:           8
        .value_kind:     hidden_global_offset_y
      - .offset:         200
        .size:           8
        .value_kind:     hidden_global_offset_z
      - .offset:         208
        .size:           2
        .value_kind:     hidden_grid_dims
    .group_segment_fixed_size: 8192
    .kernarg_segment_align: 8
    .kernarg_segment_size: 400
    .language:       OpenCL C
    .language_version:
      - 2
      - 0
    .max_flat_workgroup_size: 256
    .name:           _Z39paged_attention_ll4mi_QKV_mfma16_kernelIDF16_hLN4vllm18Fp8KVCacheDataTypeE1EDF16_Li16ELi64ELi256ELb0ELi14EL8MFMAType0EEvPKT_PKT0_S8_ifPKiSA_SA_iPKfiiiPfSD_PS3_PT2_iSC_SC_
    .private_segment_fixed_size: 0
    .sgpr_count:     51
    .sgpr_spill_count: 0
    .symbol:         _Z39paged_attention_ll4mi_QKV_mfma16_kernelIDF16_hLN4vllm18Fp8KVCacheDataTypeE1EDF16_Li16ELi64ELi256ELb0ELi14EL8MFMAType0EEvPKT_PKT0_S8_ifPKiSA_SA_iPKfiiiPfSD_PS3_PT2_iSC_SC_.kd
    .uniform_work_group_size: 1
    .uses_dynamic_stack: false
    .vgpr_count:     61
    .vgpr_spill_count: 0
    .wavefront_size: 64
  - .agpr_count:     0
    .args:
      - .actual_access:  read_only
        .address_space:  global
        .offset:         0
        .size:           8
        .value_kind:     global_buffer
      - .actual_access:  read_only
        .address_space:  global
        .offset:         8
        .size:           8
        .value_kind:     global_buffer
      - .actual_access:  read_only
        .address_space:  global
        .offset:         16
        .size:           8
        .value_kind:     global_buffer
      - .offset:         24
        .size:           4
        .value_kind:     by_value
      - .offset:         28
        .size:           4
        .value_kind:     by_value
      - .actual_access:  read_only
        .address_space:  global
        .offset:         32
        .size:           8
        .value_kind:     global_buffer
      - .actual_access:  read_only
        .address_space:  global
        .offset:         40
        .size:           8
        .value_kind:     global_buffer
      - .actual_access:  read_only
        .address_space:  global
        .offset:         48
        .size:           8
        .value_kind:     global_buffer
      - .offset:         56
        .size:           4
        .value_kind:     by_value
      - .actual_access:  read_only
        .address_space:  global
        .offset:         64
        .size:           8
        .value_kind:     global_buffer
      - .offset:         72
        .size:           4
        .value_kind:     by_value
      - .offset:         76
        .size:           4
        .value_kind:     by_value
      - .offset:         80
        .size:           4
        .value_kind:     by_value
      - .actual_access:  write_only
        .address_space:  global
        .offset:         88
        .size:           8
        .value_kind:     global_buffer
      - .actual_access:  write_only
        .address_space:  global
        .offset:         96
        .size:           8
        .value_kind:     global_buffer
      - .actual_access:  write_only
        .address_space:  global
        .offset:         104
        .size:           8
        .value_kind:     global_buffer
      - .actual_access:  read_only
        .address_space:  global
        .offset:         112
        .size:           8
        .value_kind:     global_buffer
      - .offset:         120
        .size:           4
        .value_kind:     by_value
      - .address_space:  global
        .offset:         128
        .size:           8
        .value_kind:     global_buffer
      - .address_space:  global
        .offset:         136
        .size:           8
        .value_kind:     global_buffer
      - .offset:         144
        .size:           4
        .value_kind:     hidden_block_count_x
      - .offset:         148
        .size:           4
        .value_kind:     hidden_block_count_y
      - .offset:         152
        .size:           4
        .value_kind:     hidden_block_count_z
      - .offset:         156
        .size:           2
        .value_kind:     hidden_group_size_x
      - .offset:         158
        .size:           2
        .value_kind:     hidden_group_size_y
      - .offset:         160
        .size:           2
        .value_kind:     hidden_group_size_z
      - .offset:         162
        .size:           2
        .value_kind:     hidden_remainder_x
      - .offset:         164
        .size:           2
        .value_kind:     hidden_remainder_y
      - .offset:         166
        .size:           2
        .value_kind:     hidden_remainder_z
      - .offset:         184
        .size:           8
        .value_kind:     hidden_global_offset_x
      - .offset:         192
        .size:           8
        .value_kind:     hidden_global_offset_y
      - .offset:         200
        .size:           8
        .value_kind:     hidden_global_offset_z
      - .offset:         208
        .size:           2
        .value_kind:     hidden_grid_dims
    .group_segment_fixed_size: 8192
    .kernarg_segment_align: 8
    .kernarg_segment_size: 400
    .language:       OpenCL C
    .language_version:
      - 2
      - 0
    .max_flat_workgroup_size: 256
    .name:           _Z39paged_attention_ll4mi_QKV_mfma16_kernelIDF16_hLN4vllm18Fp8KVCacheDataTypeE1EDF16_Li16ELi64ELi256ELb0ELi15EL8MFMAType0EEvPKT_PKT0_S8_ifPKiSA_SA_iPKfiiiPfSD_PS3_PT2_iSC_SC_
    .private_segment_fixed_size: 0
    .sgpr_count:     51
    .sgpr_spill_count: 0
    .symbol:         _Z39paged_attention_ll4mi_QKV_mfma16_kernelIDF16_hLN4vllm18Fp8KVCacheDataTypeE1EDF16_Li16ELi64ELi256ELb0ELi15EL8MFMAType0EEvPKT_PKT0_S8_ifPKiSA_SA_iPKfiiiPfSD_PS3_PT2_iSC_SC_.kd
    .uniform_work_group_size: 1
    .uses_dynamic_stack: false
    .vgpr_count:     61
    .vgpr_spill_count: 0
    .wavefront_size: 64
  - .agpr_count:     0
    .args:
      - .actual_access:  read_only
        .address_space:  global
        .offset:         0
        .size:           8
        .value_kind:     global_buffer
      - .actual_access:  read_only
        .address_space:  global
        .offset:         8
        .size:           8
        .value_kind:     global_buffer
      - .actual_access:  read_only
        .address_space:  global
        .offset:         16
        .size:           8
        .value_kind:     global_buffer
      - .offset:         24
        .size:           4
        .value_kind:     by_value
      - .offset:         28
        .size:           4
        .value_kind:     by_value
      - .actual_access:  read_only
        .address_space:  global
        .offset:         32
        .size:           8
        .value_kind:     global_buffer
      - .actual_access:  read_only
        .address_space:  global
        .offset:         40
        .size:           8
        .value_kind:     global_buffer
      - .actual_access:  read_only
        .address_space:  global
        .offset:         48
        .size:           8
        .value_kind:     global_buffer
      - .offset:         56
        .size:           4
        .value_kind:     by_value
      - .actual_access:  read_only
        .address_space:  global
        .offset:         64
        .size:           8
        .value_kind:     global_buffer
      - .offset:         72
        .size:           4
        .value_kind:     by_value
      - .offset:         76
        .size:           4
        .value_kind:     by_value
      - .offset:         80
        .size:           4
        .value_kind:     by_value
      - .actual_access:  write_only
        .address_space:  global
        .offset:         88
        .size:           8
        .value_kind:     global_buffer
      - .actual_access:  write_only
        .address_space:  global
        .offset:         96
        .size:           8
        .value_kind:     global_buffer
      - .actual_access:  write_only
        .address_space:  global
        .offset:         104
        .size:           8
        .value_kind:     global_buffer
      - .actual_access:  read_only
        .address_space:  global
        .offset:         112
        .size:           8
        .value_kind:     global_buffer
      - .offset:         120
        .size:           4
        .value_kind:     by_value
      - .address_space:  global
        .offset:         128
        .size:           8
        .value_kind:     global_buffer
      - .address_space:  global
        .offset:         136
        .size:           8
        .value_kind:     global_buffer
      - .offset:         144
        .size:           4
        .value_kind:     hidden_block_count_x
      - .offset:         148
        .size:           4
        .value_kind:     hidden_block_count_y
      - .offset:         152
        .size:           4
        .value_kind:     hidden_block_count_z
      - .offset:         156
        .size:           2
        .value_kind:     hidden_group_size_x
      - .offset:         158
        .size:           2
        .value_kind:     hidden_group_size_y
      - .offset:         160
        .size:           2
        .value_kind:     hidden_group_size_z
      - .offset:         162
        .size:           2
        .value_kind:     hidden_remainder_x
      - .offset:         164
        .size:           2
        .value_kind:     hidden_remainder_y
      - .offset:         166
        .size:           2
        .value_kind:     hidden_remainder_z
      - .offset:         184
        .size:           8
        .value_kind:     hidden_global_offset_x
      - .offset:         192
        .size:           8
        .value_kind:     hidden_global_offset_y
      - .offset:         200
        .size:           8
        .value_kind:     hidden_global_offset_z
      - .offset:         208
        .size:           2
        .value_kind:     hidden_grid_dims
    .group_segment_fixed_size: 8192
    .kernarg_segment_align: 8
    .kernarg_segment_size: 400
    .language:       OpenCL C
    .language_version:
      - 2
      - 0
    .max_flat_workgroup_size: 256
    .name:           _Z39paged_attention_ll4mi_QKV_mfma16_kernelIDF16_hLN4vllm18Fp8KVCacheDataTypeE1EDF16_Li16ELi64ELi256ELb0ELi16EL8MFMAType0EEvPKT_PKT0_S8_ifPKiSA_SA_iPKfiiiPfSD_PS3_PT2_iSC_SC_
    .private_segment_fixed_size: 0
    .sgpr_count:     51
    .sgpr_spill_count: 0
    .symbol:         _Z39paged_attention_ll4mi_QKV_mfma16_kernelIDF16_hLN4vllm18Fp8KVCacheDataTypeE1EDF16_Li16ELi64ELi256ELb0ELi16EL8MFMAType0EEvPKT_PKT0_S8_ifPKiSA_SA_iPKfiiiPfSD_PS3_PT2_iSC_SC_.kd
    .uniform_work_group_size: 1
    .uses_dynamic_stack: false
    .vgpr_count:     63
    .vgpr_spill_count: 0
    .wavefront_size: 64
  - .agpr_count:     0
    .args:
      - .actual_access:  read_only
        .address_space:  global
        .offset:         0
        .size:           8
        .value_kind:     global_buffer
      - .actual_access:  read_only
        .address_space:  global
        .offset:         8
        .size:           8
        .value_kind:     global_buffer
      - .actual_access:  read_only
        .address_space:  global
        .offset:         16
        .size:           8
        .value_kind:     global_buffer
      - .offset:         24
        .size:           4
        .value_kind:     by_value
      - .offset:         28
        .size:           4
        .value_kind:     by_value
      - .actual_access:  read_only
        .address_space:  global
        .offset:         32
        .size:           8
        .value_kind:     global_buffer
      - .actual_access:  read_only
        .address_space:  global
        .offset:         40
        .size:           8
        .value_kind:     global_buffer
      - .actual_access:  read_only
        .address_space:  global
        .offset:         48
        .size:           8
        .value_kind:     global_buffer
      - .offset:         56
        .size:           4
        .value_kind:     by_value
      - .actual_access:  read_only
        .address_space:  global
        .offset:         64
        .size:           8
        .value_kind:     global_buffer
      - .offset:         72
        .size:           4
        .value_kind:     by_value
      - .offset:         76
        .size:           4
        .value_kind:     by_value
      - .offset:         80
        .size:           4
        .value_kind:     by_value
      - .actual_access:  write_only
        .address_space:  global
        .offset:         88
        .size:           8
        .value_kind:     global_buffer
      - .actual_access:  write_only
        .address_space:  global
        .offset:         96
        .size:           8
        .value_kind:     global_buffer
      - .actual_access:  write_only
        .address_space:  global
        .offset:         104
        .size:           8
        .value_kind:     global_buffer
      - .actual_access:  read_only
        .address_space:  global
        .offset:         112
        .size:           8
        .value_kind:     global_buffer
      - .offset:         120
        .size:           4
        .value_kind:     by_value
      - .address_space:  global
        .offset:         128
        .size:           8
        .value_kind:     global_buffer
      - .address_space:  global
        .offset:         136
        .size:           8
        .value_kind:     global_buffer
      - .offset:         144
        .size:           4
        .value_kind:     hidden_block_count_x
      - .offset:         148
        .size:           4
        .value_kind:     hidden_block_count_y
      - .offset:         152
        .size:           4
        .value_kind:     hidden_block_count_z
      - .offset:         156
        .size:           2
        .value_kind:     hidden_group_size_x
      - .offset:         158
        .size:           2
        .value_kind:     hidden_group_size_y
      - .offset:         160
        .size:           2
        .value_kind:     hidden_group_size_z
      - .offset:         162
        .size:           2
        .value_kind:     hidden_remainder_x
      - .offset:         164
        .size:           2
        .value_kind:     hidden_remainder_y
      - .offset:         166
        .size:           2
        .value_kind:     hidden_remainder_z
      - .offset:         184
        .size:           8
        .value_kind:     hidden_global_offset_x
      - .offset:         192
        .size:           8
        .value_kind:     hidden_global_offset_y
      - .offset:         200
        .size:           8
        .value_kind:     hidden_global_offset_z
      - .offset:         208
        .size:           2
        .value_kind:     hidden_grid_dims
    .group_segment_fixed_size: 8192
    .kernarg_segment_align: 8
    .kernarg_segment_size: 400
    .language:       OpenCL C
    .language_version:
      - 2
      - 0
    .max_flat_workgroup_size: 256
    .name:           _Z39paged_attention_ll4mi_QKV_mfma16_kernelIDF16_hLN4vllm18Fp8KVCacheDataTypeE1EDF16_Li16ELi64ELi256ELb0ELi1EL8MFMAType0EEvPKT_PKT0_S8_ifPKiSA_SA_iPKfiiiPfSD_PS3_PT2_iSC_SC_
    .private_segment_fixed_size: 0
    .sgpr_count:     51
    .sgpr_spill_count: 0
    .symbol:         _Z39paged_attention_ll4mi_QKV_mfma16_kernelIDF16_hLN4vllm18Fp8KVCacheDataTypeE1EDF16_Li16ELi64ELi256ELb0ELi1EL8MFMAType0EEvPKT_PKT0_S8_ifPKiSA_SA_iPKfiiiPfSD_PS3_PT2_iSC_SC_.kd
    .uniform_work_group_size: 1
    .uses_dynamic_stack: false
    .vgpr_count:     61
    .vgpr_spill_count: 0
    .wavefront_size: 64
  - .agpr_count:     0
    .args:
      - .actual_access:  read_only
        .address_space:  global
        .offset:         0
        .size:           8
        .value_kind:     global_buffer
      - .actual_access:  read_only
        .address_space:  global
        .offset:         8
        .size:           8
        .value_kind:     global_buffer
      - .actual_access:  read_only
        .address_space:  global
        .offset:         16
        .size:           8
        .value_kind:     global_buffer
      - .offset:         24
        .size:           4
        .value_kind:     by_value
      - .offset:         28
        .size:           4
        .value_kind:     by_value
      - .actual_access:  read_only
        .address_space:  global
        .offset:         32
        .size:           8
        .value_kind:     global_buffer
      - .actual_access:  read_only
        .address_space:  global
        .offset:         40
        .size:           8
        .value_kind:     global_buffer
      - .actual_access:  read_only
        .address_space:  global
        .offset:         48
        .size:           8
        .value_kind:     global_buffer
      - .offset:         56
        .size:           4
        .value_kind:     by_value
      - .actual_access:  read_only
        .address_space:  global
        .offset:         64
        .size:           8
        .value_kind:     global_buffer
      - .offset:         72
        .size:           4
        .value_kind:     by_value
      - .offset:         76
        .size:           4
        .value_kind:     by_value
      - .offset:         80
        .size:           4
        .value_kind:     by_value
      - .actual_access:  write_only
        .address_space:  global
        .offset:         88
        .size:           8
        .value_kind:     global_buffer
      - .actual_access:  write_only
        .address_space:  global
        .offset:         96
        .size:           8
        .value_kind:     global_buffer
      - .actual_access:  write_only
        .address_space:  global
        .offset:         104
        .size:           8
        .value_kind:     global_buffer
      - .actual_access:  read_only
        .address_space:  global
        .offset:         112
        .size:           8
        .value_kind:     global_buffer
      - .offset:         120
        .size:           4
        .value_kind:     by_value
      - .address_space:  global
        .offset:         128
        .size:           8
        .value_kind:     global_buffer
      - .address_space:  global
        .offset:         136
        .size:           8
        .value_kind:     global_buffer
      - .offset:         144
        .size:           4
        .value_kind:     hidden_block_count_x
      - .offset:         148
        .size:           4
        .value_kind:     hidden_block_count_y
      - .offset:         152
        .size:           4
        .value_kind:     hidden_block_count_z
      - .offset:         156
        .size:           2
        .value_kind:     hidden_group_size_x
      - .offset:         158
        .size:           2
        .value_kind:     hidden_group_size_y
      - .offset:         160
        .size:           2
        .value_kind:     hidden_group_size_z
      - .offset:         162
        .size:           2
        .value_kind:     hidden_remainder_x
      - .offset:         164
        .size:           2
        .value_kind:     hidden_remainder_y
      - .offset:         166
        .size:           2
        .value_kind:     hidden_remainder_z
      - .offset:         184
        .size:           8
        .value_kind:     hidden_global_offset_x
      - .offset:         192
        .size:           8
        .value_kind:     hidden_global_offset_y
      - .offset:         200
        .size:           8
        .value_kind:     hidden_global_offset_z
      - .offset:         208
        .size:           2
        .value_kind:     hidden_grid_dims
    .group_segment_fixed_size: 8192
    .kernarg_segment_align: 8
    .kernarg_segment_size: 400
    .language:       OpenCL C
    .language_version:
      - 2
      - 0
    .max_flat_workgroup_size: 256
    .name:           _Z39paged_attention_ll4mi_QKV_mfma16_kernelIDF16_hLN4vllm18Fp8KVCacheDataTypeE1EDF16_Li16ELi64ELi256ELb0ELi2EL8MFMAType0EEvPKT_PKT0_S8_ifPKiSA_SA_iPKfiiiPfSD_PS3_PT2_iSC_SC_
    .private_segment_fixed_size: 0
    .sgpr_count:     51
    .sgpr_spill_count: 0
    .symbol:         _Z39paged_attention_ll4mi_QKV_mfma16_kernelIDF16_hLN4vllm18Fp8KVCacheDataTypeE1EDF16_Li16ELi64ELi256ELb0ELi2EL8MFMAType0EEvPKT_PKT0_S8_ifPKiSA_SA_iPKfiiiPfSD_PS3_PT2_iSC_SC_.kd
    .uniform_work_group_size: 1
    .uses_dynamic_stack: false
    .vgpr_count:     61
    .vgpr_spill_count: 0
    .wavefront_size: 64
  - .agpr_count:     0
    .args:
      - .actual_access:  read_only
        .address_space:  global
        .offset:         0
        .size:           8
        .value_kind:     global_buffer
      - .actual_access:  read_only
        .address_space:  global
        .offset:         8
        .size:           8
        .value_kind:     global_buffer
      - .actual_access:  read_only
        .address_space:  global
        .offset:         16
        .size:           8
        .value_kind:     global_buffer
      - .offset:         24
        .size:           4
        .value_kind:     by_value
      - .offset:         28
        .size:           4
        .value_kind:     by_value
      - .actual_access:  read_only
        .address_space:  global
        .offset:         32
        .size:           8
        .value_kind:     global_buffer
      - .actual_access:  read_only
        .address_space:  global
        .offset:         40
        .size:           8
        .value_kind:     global_buffer
      - .actual_access:  read_only
        .address_space:  global
        .offset:         48
        .size:           8
        .value_kind:     global_buffer
      - .offset:         56
        .size:           4
        .value_kind:     by_value
      - .actual_access:  read_only
        .address_space:  global
        .offset:         64
        .size:           8
        .value_kind:     global_buffer
      - .offset:         72
        .size:           4
        .value_kind:     by_value
      - .offset:         76
        .size:           4
        .value_kind:     by_value
      - .offset:         80
        .size:           4
        .value_kind:     by_value
      - .actual_access:  write_only
        .address_space:  global
        .offset:         88
        .size:           8
        .value_kind:     global_buffer
      - .actual_access:  write_only
        .address_space:  global
        .offset:         96
        .size:           8
        .value_kind:     global_buffer
      - .actual_access:  write_only
        .address_space:  global
        .offset:         104
        .size:           8
        .value_kind:     global_buffer
      - .actual_access:  read_only
        .address_space:  global
        .offset:         112
        .size:           8
        .value_kind:     global_buffer
      - .offset:         120
        .size:           4
        .value_kind:     by_value
      - .address_space:  global
        .offset:         128
        .size:           8
        .value_kind:     global_buffer
      - .address_space:  global
        .offset:         136
        .size:           8
        .value_kind:     global_buffer
      - .offset:         144
        .size:           4
        .value_kind:     hidden_block_count_x
      - .offset:         148
        .size:           4
        .value_kind:     hidden_block_count_y
      - .offset:         152
        .size:           4
        .value_kind:     hidden_block_count_z
      - .offset:         156
        .size:           2
        .value_kind:     hidden_group_size_x
      - .offset:         158
        .size:           2
        .value_kind:     hidden_group_size_y
      - .offset:         160
        .size:           2
        .value_kind:     hidden_group_size_z
      - .offset:         162
        .size:           2
        .value_kind:     hidden_remainder_x
      - .offset:         164
        .size:           2
        .value_kind:     hidden_remainder_y
      - .offset:         166
        .size:           2
        .value_kind:     hidden_remainder_z
      - .offset:         184
        .size:           8
        .value_kind:     hidden_global_offset_x
      - .offset:         192
        .size:           8
        .value_kind:     hidden_global_offset_y
      - .offset:         200
        .size:           8
        .value_kind:     hidden_global_offset_z
      - .offset:         208
        .size:           2
        .value_kind:     hidden_grid_dims
    .group_segment_fixed_size: 8192
    .kernarg_segment_align: 8
    .kernarg_segment_size: 400
    .language:       OpenCL C
    .language_version:
      - 2
      - 0
    .max_flat_workgroup_size: 256
    .name:           _Z39paged_attention_ll4mi_QKV_mfma16_kernelIDF16_hLN4vllm18Fp8KVCacheDataTypeE1EDF16_Li16ELi64ELi256ELb0ELi3EL8MFMAType0EEvPKT_PKT0_S8_ifPKiSA_SA_iPKfiiiPfSD_PS3_PT2_iSC_SC_
    .private_segment_fixed_size: 0
    .sgpr_count:     51
    .sgpr_spill_count: 0
    .symbol:         _Z39paged_attention_ll4mi_QKV_mfma16_kernelIDF16_hLN4vllm18Fp8KVCacheDataTypeE1EDF16_Li16ELi64ELi256ELb0ELi3EL8MFMAType0EEvPKT_PKT0_S8_ifPKiSA_SA_iPKfiiiPfSD_PS3_PT2_iSC_SC_.kd
    .uniform_work_group_size: 1
    .uses_dynamic_stack: false
    .vgpr_count:     62
    .vgpr_spill_count: 0
    .wavefront_size: 64
  - .agpr_count:     0
    .args:
      - .actual_access:  read_only
        .address_space:  global
        .offset:         0
        .size:           8
        .value_kind:     global_buffer
      - .actual_access:  read_only
        .address_space:  global
        .offset:         8
        .size:           8
        .value_kind:     global_buffer
      - .actual_access:  read_only
        .address_space:  global
        .offset:         16
        .size:           8
        .value_kind:     global_buffer
      - .offset:         24
        .size:           4
        .value_kind:     by_value
      - .offset:         28
        .size:           4
        .value_kind:     by_value
      - .actual_access:  read_only
        .address_space:  global
        .offset:         32
        .size:           8
        .value_kind:     global_buffer
      - .actual_access:  read_only
        .address_space:  global
        .offset:         40
        .size:           8
        .value_kind:     global_buffer
      - .actual_access:  read_only
        .address_space:  global
        .offset:         48
        .size:           8
        .value_kind:     global_buffer
      - .offset:         56
        .size:           4
        .value_kind:     by_value
      - .actual_access:  read_only
        .address_space:  global
        .offset:         64
        .size:           8
        .value_kind:     global_buffer
      - .offset:         72
        .size:           4
        .value_kind:     by_value
      - .offset:         76
        .size:           4
        .value_kind:     by_value
      - .offset:         80
        .size:           4
        .value_kind:     by_value
      - .actual_access:  write_only
        .address_space:  global
        .offset:         88
        .size:           8
        .value_kind:     global_buffer
      - .actual_access:  write_only
        .address_space:  global
        .offset:         96
        .size:           8
        .value_kind:     global_buffer
      - .actual_access:  write_only
        .address_space:  global
        .offset:         104
        .size:           8
        .value_kind:     global_buffer
      - .actual_access:  read_only
        .address_space:  global
        .offset:         112
        .size:           8
        .value_kind:     global_buffer
      - .offset:         120
        .size:           4
        .value_kind:     by_value
      - .address_space:  global
        .offset:         128
        .size:           8
        .value_kind:     global_buffer
      - .address_space:  global
        .offset:         136
        .size:           8
        .value_kind:     global_buffer
      - .offset:         144
        .size:           4
        .value_kind:     hidden_block_count_x
      - .offset:         148
        .size:           4
        .value_kind:     hidden_block_count_y
      - .offset:         152
        .size:           4
        .value_kind:     hidden_block_count_z
      - .offset:         156
        .size:           2
        .value_kind:     hidden_group_size_x
      - .offset:         158
        .size:           2
        .value_kind:     hidden_group_size_y
      - .offset:         160
        .size:           2
        .value_kind:     hidden_group_size_z
      - .offset:         162
        .size:           2
        .value_kind:     hidden_remainder_x
      - .offset:         164
        .size:           2
        .value_kind:     hidden_remainder_y
      - .offset:         166
        .size:           2
        .value_kind:     hidden_remainder_z
      - .offset:         184
        .size:           8
        .value_kind:     hidden_global_offset_x
      - .offset:         192
        .size:           8
        .value_kind:     hidden_global_offset_y
      - .offset:         200
        .size:           8
        .value_kind:     hidden_global_offset_z
      - .offset:         208
        .size:           2
        .value_kind:     hidden_grid_dims
    .group_segment_fixed_size: 8192
    .kernarg_segment_align: 8
    .kernarg_segment_size: 400
    .language:       OpenCL C
    .language_version:
      - 2
      - 0
    .max_flat_workgroup_size: 256
    .name:           _Z39paged_attention_ll4mi_QKV_mfma16_kernelIDF16_hLN4vllm18Fp8KVCacheDataTypeE1EDF16_Li16ELi64ELi256ELb0ELi4EL8MFMAType0EEvPKT_PKT0_S8_ifPKiSA_SA_iPKfiiiPfSD_PS3_PT2_iSC_SC_
    .private_segment_fixed_size: 0
    .sgpr_count:     52
    .sgpr_spill_count: 0
    .symbol:         _Z39paged_attention_ll4mi_QKV_mfma16_kernelIDF16_hLN4vllm18Fp8KVCacheDataTypeE1EDF16_Li16ELi64ELi256ELb0ELi4EL8MFMAType0EEvPKT_PKT0_S8_ifPKiSA_SA_iPKfiiiPfSD_PS3_PT2_iSC_SC_.kd
    .uniform_work_group_size: 1
    .uses_dynamic_stack: false
    .vgpr_count:     63
    .vgpr_spill_count: 0
    .wavefront_size: 64
  - .agpr_count:     0
    .args:
      - .actual_access:  read_only
        .address_space:  global
        .offset:         0
        .size:           8
        .value_kind:     global_buffer
      - .actual_access:  read_only
        .address_space:  global
        .offset:         8
        .size:           8
        .value_kind:     global_buffer
      - .actual_access:  read_only
        .address_space:  global
        .offset:         16
        .size:           8
        .value_kind:     global_buffer
      - .offset:         24
        .size:           4
        .value_kind:     by_value
      - .offset:         28
        .size:           4
        .value_kind:     by_value
      - .actual_access:  read_only
        .address_space:  global
        .offset:         32
        .size:           8
        .value_kind:     global_buffer
      - .actual_access:  read_only
        .address_space:  global
        .offset:         40
        .size:           8
        .value_kind:     global_buffer
      - .actual_access:  read_only
        .address_space:  global
        .offset:         48
        .size:           8
        .value_kind:     global_buffer
      - .offset:         56
        .size:           4
        .value_kind:     by_value
      - .actual_access:  read_only
        .address_space:  global
        .offset:         64
        .size:           8
        .value_kind:     global_buffer
      - .offset:         72
        .size:           4
        .value_kind:     by_value
      - .offset:         76
        .size:           4
        .value_kind:     by_value
      - .offset:         80
        .size:           4
        .value_kind:     by_value
      - .actual_access:  write_only
        .address_space:  global
        .offset:         88
        .size:           8
        .value_kind:     global_buffer
      - .actual_access:  write_only
        .address_space:  global
        .offset:         96
        .size:           8
        .value_kind:     global_buffer
      - .actual_access:  write_only
        .address_space:  global
        .offset:         104
        .size:           8
        .value_kind:     global_buffer
      - .actual_access:  read_only
        .address_space:  global
        .offset:         112
        .size:           8
        .value_kind:     global_buffer
      - .offset:         120
        .size:           4
        .value_kind:     by_value
      - .address_space:  global
        .offset:         128
        .size:           8
        .value_kind:     global_buffer
      - .address_space:  global
        .offset:         136
        .size:           8
        .value_kind:     global_buffer
      - .offset:         144
        .size:           4
        .value_kind:     hidden_block_count_x
      - .offset:         148
        .size:           4
        .value_kind:     hidden_block_count_y
      - .offset:         152
        .size:           4
        .value_kind:     hidden_block_count_z
      - .offset:         156
        .size:           2
        .value_kind:     hidden_group_size_x
      - .offset:         158
        .size:           2
        .value_kind:     hidden_group_size_y
      - .offset:         160
        .size:           2
        .value_kind:     hidden_group_size_z
      - .offset:         162
        .size:           2
        .value_kind:     hidden_remainder_x
      - .offset:         164
        .size:           2
        .value_kind:     hidden_remainder_y
      - .offset:         166
        .size:           2
        .value_kind:     hidden_remainder_z
      - .offset:         184
        .size:           8
        .value_kind:     hidden_global_offset_x
      - .offset:         192
        .size:           8
        .value_kind:     hidden_global_offset_y
      - .offset:         200
        .size:           8
        .value_kind:     hidden_global_offset_z
      - .offset:         208
        .size:           2
        .value_kind:     hidden_grid_dims
    .group_segment_fixed_size: 8192
    .kernarg_segment_align: 8
    .kernarg_segment_size: 400
    .language:       OpenCL C
    .language_version:
      - 2
      - 0
    .max_flat_workgroup_size: 256
    .name:           _Z39paged_attention_ll4mi_QKV_mfma16_kernelIDF16_hLN4vllm18Fp8KVCacheDataTypeE1EDF16_Li32ELi64ELi256ELb1ELi5EL8MFMAType0EEvPKT_PKT0_S8_ifPKiSA_SA_iPKfiiiPfSD_PS3_PT2_iSC_SC_
    .private_segment_fixed_size: 0
    .sgpr_count:     51
    .sgpr_spill_count: 0
    .symbol:         _Z39paged_attention_ll4mi_QKV_mfma16_kernelIDF16_hLN4vllm18Fp8KVCacheDataTypeE1EDF16_Li32ELi64ELi256ELb1ELi5EL8MFMAType0EEvPKT_PKT0_S8_ifPKiSA_SA_iPKfiiiPfSD_PS3_PT2_iSC_SC_.kd
    .uniform_work_group_size: 1
    .uses_dynamic_stack: false
    .vgpr_count:     63
    .vgpr_spill_count: 0
    .wavefront_size: 64
  - .agpr_count:     0
    .args:
      - .actual_access:  read_only
        .address_space:  global
        .offset:         0
        .size:           8
        .value_kind:     global_buffer
      - .actual_access:  read_only
        .address_space:  global
        .offset:         8
        .size:           8
        .value_kind:     global_buffer
      - .actual_access:  read_only
        .address_space:  global
        .offset:         16
        .size:           8
        .value_kind:     global_buffer
      - .offset:         24
        .size:           4
        .value_kind:     by_value
      - .offset:         28
        .size:           4
        .value_kind:     by_value
      - .actual_access:  read_only
        .address_space:  global
        .offset:         32
        .size:           8
        .value_kind:     global_buffer
      - .actual_access:  read_only
        .address_space:  global
        .offset:         40
        .size:           8
        .value_kind:     global_buffer
      - .actual_access:  read_only
        .address_space:  global
        .offset:         48
        .size:           8
        .value_kind:     global_buffer
      - .offset:         56
        .size:           4
        .value_kind:     by_value
      - .actual_access:  read_only
        .address_space:  global
        .offset:         64
        .size:           8
        .value_kind:     global_buffer
      - .offset:         72
        .size:           4
        .value_kind:     by_value
      - .offset:         76
        .size:           4
        .value_kind:     by_value
      - .offset:         80
        .size:           4
        .value_kind:     by_value
      - .actual_access:  write_only
        .address_space:  global
        .offset:         88
        .size:           8
        .value_kind:     global_buffer
      - .actual_access:  write_only
        .address_space:  global
        .offset:         96
        .size:           8
        .value_kind:     global_buffer
      - .actual_access:  write_only
        .address_space:  global
        .offset:         104
        .size:           8
        .value_kind:     global_buffer
      - .actual_access:  read_only
        .address_space:  global
        .offset:         112
        .size:           8
        .value_kind:     global_buffer
      - .offset:         120
        .size:           4
        .value_kind:     by_value
      - .address_space:  global
        .offset:         128
        .size:           8
        .value_kind:     global_buffer
      - .address_space:  global
        .offset:         136
        .size:           8
        .value_kind:     global_buffer
      - .offset:         144
        .size:           4
        .value_kind:     hidden_block_count_x
      - .offset:         148
        .size:           4
        .value_kind:     hidden_block_count_y
      - .offset:         152
        .size:           4
        .value_kind:     hidden_block_count_z
      - .offset:         156
        .size:           2
        .value_kind:     hidden_group_size_x
      - .offset:         158
        .size:           2
        .value_kind:     hidden_group_size_y
      - .offset:         160
        .size:           2
        .value_kind:     hidden_group_size_z
      - .offset:         162
        .size:           2
        .value_kind:     hidden_remainder_x
      - .offset:         164
        .size:           2
        .value_kind:     hidden_remainder_y
      - .offset:         166
        .size:           2
        .value_kind:     hidden_remainder_z
      - .offset:         184
        .size:           8
        .value_kind:     hidden_global_offset_x
      - .offset:         192
        .size:           8
        .value_kind:     hidden_global_offset_y
      - .offset:         200
        .size:           8
        .value_kind:     hidden_global_offset_z
      - .offset:         208
        .size:           2
        .value_kind:     hidden_grid_dims
    .group_segment_fixed_size: 8192
    .kernarg_segment_align: 8
    .kernarg_segment_size: 400
    .language:       OpenCL C
    .language_version:
      - 2
      - 0
    .max_flat_workgroup_size: 256
    .name:           _Z39paged_attention_ll4mi_QKV_mfma16_kernelIDF16_hLN4vllm18Fp8KVCacheDataTypeE1EDF16_Li32ELi64ELi256ELb1ELi6EL8MFMAType0EEvPKT_PKT0_S8_ifPKiSA_SA_iPKfiiiPfSD_PS3_PT2_iSC_SC_
    .private_segment_fixed_size: 0
    .sgpr_count:     51
    .sgpr_spill_count: 0
    .symbol:         _Z39paged_attention_ll4mi_QKV_mfma16_kernelIDF16_hLN4vllm18Fp8KVCacheDataTypeE1EDF16_Li32ELi64ELi256ELb1ELi6EL8MFMAType0EEvPKT_PKT0_S8_ifPKiSA_SA_iPKfiiiPfSD_PS3_PT2_iSC_SC_.kd
    .uniform_work_group_size: 1
    .uses_dynamic_stack: false
    .vgpr_count:     63
    .vgpr_spill_count: 0
    .wavefront_size: 64
  - .agpr_count:     0
    .args:
      - .actual_access:  read_only
        .address_space:  global
        .offset:         0
        .size:           8
        .value_kind:     global_buffer
      - .actual_access:  read_only
        .address_space:  global
        .offset:         8
        .size:           8
        .value_kind:     global_buffer
      - .actual_access:  read_only
        .address_space:  global
        .offset:         16
        .size:           8
        .value_kind:     global_buffer
      - .offset:         24
        .size:           4
        .value_kind:     by_value
      - .offset:         28
        .size:           4
        .value_kind:     by_value
      - .actual_access:  read_only
        .address_space:  global
        .offset:         32
        .size:           8
        .value_kind:     global_buffer
      - .actual_access:  read_only
        .address_space:  global
        .offset:         40
        .size:           8
        .value_kind:     global_buffer
      - .actual_access:  read_only
        .address_space:  global
        .offset:         48
        .size:           8
        .value_kind:     global_buffer
      - .offset:         56
        .size:           4
        .value_kind:     by_value
      - .actual_access:  read_only
        .address_space:  global
        .offset:         64
        .size:           8
        .value_kind:     global_buffer
      - .offset:         72
        .size:           4
        .value_kind:     by_value
      - .offset:         76
        .size:           4
        .value_kind:     by_value
      - .offset:         80
        .size:           4
        .value_kind:     by_value
      - .actual_access:  write_only
        .address_space:  global
        .offset:         88
        .size:           8
        .value_kind:     global_buffer
      - .actual_access:  write_only
        .address_space:  global
        .offset:         96
        .size:           8
        .value_kind:     global_buffer
      - .actual_access:  write_only
        .address_space:  global
        .offset:         104
        .size:           8
        .value_kind:     global_buffer
      - .actual_access:  read_only
        .address_space:  global
        .offset:         112
        .size:           8
        .value_kind:     global_buffer
      - .offset:         120
        .size:           4
        .value_kind:     by_value
      - .address_space:  global
        .offset:         128
        .size:           8
        .value_kind:     global_buffer
      - .address_space:  global
        .offset:         136
        .size:           8
        .value_kind:     global_buffer
      - .offset:         144
        .size:           4
        .value_kind:     hidden_block_count_x
      - .offset:         148
        .size:           4
        .value_kind:     hidden_block_count_y
      - .offset:         152
        .size:           4
        .value_kind:     hidden_block_count_z
      - .offset:         156
        .size:           2
        .value_kind:     hidden_group_size_x
      - .offset:         158
        .size:           2
        .value_kind:     hidden_group_size_y
      - .offset:         160
        .size:           2
        .value_kind:     hidden_group_size_z
      - .offset:         162
        .size:           2
        .value_kind:     hidden_remainder_x
      - .offset:         164
        .size:           2
        .value_kind:     hidden_remainder_y
      - .offset:         166
        .size:           2
        .value_kind:     hidden_remainder_z
      - .offset:         184
        .size:           8
        .value_kind:     hidden_global_offset_x
      - .offset:         192
        .size:           8
        .value_kind:     hidden_global_offset_y
      - .offset:         200
        .size:           8
        .value_kind:     hidden_global_offset_z
      - .offset:         208
        .size:           2
        .value_kind:     hidden_grid_dims
    .group_segment_fixed_size: 8192
    .kernarg_segment_align: 8
    .kernarg_segment_size: 400
    .language:       OpenCL C
    .language_version:
      - 2
      - 0
    .max_flat_workgroup_size: 256
    .name:           _Z39paged_attention_ll4mi_QKV_mfma16_kernelIDF16_hLN4vllm18Fp8KVCacheDataTypeE1EDF16_Li32ELi64ELi256ELb1ELi7EL8MFMAType0EEvPKT_PKT0_S8_ifPKiSA_SA_iPKfiiiPfSD_PS3_PT2_iSC_SC_
    .private_segment_fixed_size: 0
    .sgpr_count:     51
    .sgpr_spill_count: 0
    .symbol:         _Z39paged_attention_ll4mi_QKV_mfma16_kernelIDF16_hLN4vllm18Fp8KVCacheDataTypeE1EDF16_Li32ELi64ELi256ELb1ELi7EL8MFMAType0EEvPKT_PKT0_S8_ifPKiSA_SA_iPKfiiiPfSD_PS3_PT2_iSC_SC_.kd
    .uniform_work_group_size: 1
    .uses_dynamic_stack: false
    .vgpr_count:     63
    .vgpr_spill_count: 0
    .wavefront_size: 64
  - .agpr_count:     0
    .args:
      - .actual_access:  read_only
        .address_space:  global
        .offset:         0
        .size:           8
        .value_kind:     global_buffer
      - .actual_access:  read_only
        .address_space:  global
        .offset:         8
        .size:           8
        .value_kind:     global_buffer
      - .actual_access:  read_only
        .address_space:  global
        .offset:         16
        .size:           8
        .value_kind:     global_buffer
      - .offset:         24
        .size:           4
        .value_kind:     by_value
      - .offset:         28
        .size:           4
        .value_kind:     by_value
      - .actual_access:  read_only
        .address_space:  global
        .offset:         32
        .size:           8
        .value_kind:     global_buffer
      - .actual_access:  read_only
        .address_space:  global
        .offset:         40
        .size:           8
        .value_kind:     global_buffer
      - .actual_access:  read_only
        .address_space:  global
        .offset:         48
        .size:           8
        .value_kind:     global_buffer
      - .offset:         56
        .size:           4
        .value_kind:     by_value
      - .actual_access:  read_only
        .address_space:  global
        .offset:         64
        .size:           8
        .value_kind:     global_buffer
      - .offset:         72
        .size:           4
        .value_kind:     by_value
      - .offset:         76
        .size:           4
        .value_kind:     by_value
      - .offset:         80
        .size:           4
        .value_kind:     by_value
      - .actual_access:  write_only
        .address_space:  global
        .offset:         88
        .size:           8
        .value_kind:     global_buffer
      - .actual_access:  write_only
        .address_space:  global
        .offset:         96
        .size:           8
        .value_kind:     global_buffer
      - .actual_access:  write_only
        .address_space:  global
        .offset:         104
        .size:           8
        .value_kind:     global_buffer
      - .actual_access:  read_only
        .address_space:  global
        .offset:         112
        .size:           8
        .value_kind:     global_buffer
      - .offset:         120
        .size:           4
        .value_kind:     by_value
      - .address_space:  global
        .offset:         128
        .size:           8
        .value_kind:     global_buffer
      - .address_space:  global
        .offset:         136
        .size:           8
        .value_kind:     global_buffer
      - .offset:         144
        .size:           4
        .value_kind:     hidden_block_count_x
      - .offset:         148
        .size:           4
        .value_kind:     hidden_block_count_y
      - .offset:         152
        .size:           4
        .value_kind:     hidden_block_count_z
      - .offset:         156
        .size:           2
        .value_kind:     hidden_group_size_x
      - .offset:         158
        .size:           2
        .value_kind:     hidden_group_size_y
      - .offset:         160
        .size:           2
        .value_kind:     hidden_group_size_z
      - .offset:         162
        .size:           2
        .value_kind:     hidden_remainder_x
      - .offset:         164
        .size:           2
        .value_kind:     hidden_remainder_y
      - .offset:         166
        .size:           2
        .value_kind:     hidden_remainder_z
      - .offset:         184
        .size:           8
        .value_kind:     hidden_global_offset_x
      - .offset:         192
        .size:           8
        .value_kind:     hidden_global_offset_y
      - .offset:         200
        .size:           8
        .value_kind:     hidden_global_offset_z
      - .offset:         208
        .size:           2
        .value_kind:     hidden_grid_dims
    .group_segment_fixed_size: 8192
    .kernarg_segment_align: 8
    .kernarg_segment_size: 400
    .language:       OpenCL C
    .language_version:
      - 2
      - 0
    .max_flat_workgroup_size: 256
    .name:           _Z39paged_attention_ll4mi_QKV_mfma16_kernelIDF16_hLN4vllm18Fp8KVCacheDataTypeE1EDF16_Li32ELi64ELi256ELb1ELi8EL8MFMAType0EEvPKT_PKT0_S8_ifPKiSA_SA_iPKfiiiPfSD_PS3_PT2_iSC_SC_
    .private_segment_fixed_size: 0
    .sgpr_count:     51
    .sgpr_spill_count: 0
    .symbol:         _Z39paged_attention_ll4mi_QKV_mfma16_kernelIDF16_hLN4vllm18Fp8KVCacheDataTypeE1EDF16_Li32ELi64ELi256ELb1ELi8EL8MFMAType0EEvPKT_PKT0_S8_ifPKiSA_SA_iPKfiiiPfSD_PS3_PT2_iSC_SC_.kd
    .uniform_work_group_size: 1
    .uses_dynamic_stack: false
    .vgpr_count:     63
    .vgpr_spill_count: 0
    .wavefront_size: 64
  - .agpr_count:     0
    .args:
      - .actual_access:  read_only
        .address_space:  global
        .offset:         0
        .size:           8
        .value_kind:     global_buffer
      - .actual_access:  read_only
        .address_space:  global
        .offset:         8
        .size:           8
        .value_kind:     global_buffer
      - .actual_access:  read_only
        .address_space:  global
        .offset:         16
        .size:           8
        .value_kind:     global_buffer
      - .offset:         24
        .size:           4
        .value_kind:     by_value
      - .offset:         28
        .size:           4
        .value_kind:     by_value
      - .actual_access:  read_only
        .address_space:  global
        .offset:         32
        .size:           8
        .value_kind:     global_buffer
      - .actual_access:  read_only
        .address_space:  global
        .offset:         40
        .size:           8
        .value_kind:     global_buffer
      - .actual_access:  read_only
        .address_space:  global
        .offset:         48
        .size:           8
        .value_kind:     global_buffer
      - .offset:         56
        .size:           4
        .value_kind:     by_value
      - .actual_access:  read_only
        .address_space:  global
        .offset:         64
        .size:           8
        .value_kind:     global_buffer
      - .offset:         72
        .size:           4
        .value_kind:     by_value
      - .offset:         76
        .size:           4
        .value_kind:     by_value
      - .offset:         80
        .size:           4
        .value_kind:     by_value
      - .actual_access:  write_only
        .address_space:  global
        .offset:         88
        .size:           8
        .value_kind:     global_buffer
      - .actual_access:  write_only
        .address_space:  global
        .offset:         96
        .size:           8
        .value_kind:     global_buffer
      - .actual_access:  write_only
        .address_space:  global
        .offset:         104
        .size:           8
        .value_kind:     global_buffer
      - .actual_access:  read_only
        .address_space:  global
        .offset:         112
        .size:           8
        .value_kind:     global_buffer
      - .offset:         120
        .size:           4
        .value_kind:     by_value
      - .address_space:  global
        .offset:         128
        .size:           8
        .value_kind:     global_buffer
      - .address_space:  global
        .offset:         136
        .size:           8
        .value_kind:     global_buffer
      - .offset:         144
        .size:           4
        .value_kind:     hidden_block_count_x
      - .offset:         148
        .size:           4
        .value_kind:     hidden_block_count_y
      - .offset:         152
        .size:           4
        .value_kind:     hidden_block_count_z
      - .offset:         156
        .size:           2
        .value_kind:     hidden_group_size_x
      - .offset:         158
        .size:           2
        .value_kind:     hidden_group_size_y
      - .offset:         160
        .size:           2
        .value_kind:     hidden_group_size_z
      - .offset:         162
        .size:           2
        .value_kind:     hidden_remainder_x
      - .offset:         164
        .size:           2
        .value_kind:     hidden_remainder_y
      - .offset:         166
        .size:           2
        .value_kind:     hidden_remainder_z
      - .offset:         184
        .size:           8
        .value_kind:     hidden_global_offset_x
      - .offset:         192
        .size:           8
        .value_kind:     hidden_global_offset_y
      - .offset:         200
        .size:           8
        .value_kind:     hidden_global_offset_z
      - .offset:         208
        .size:           2
        .value_kind:     hidden_grid_dims
    .group_segment_fixed_size: 8192
    .kernarg_segment_align: 8
    .kernarg_segment_size: 400
    .language:       OpenCL C
    .language_version:
      - 2
      - 0
    .max_flat_workgroup_size: 256
    .name:           _Z39paged_attention_ll4mi_QKV_mfma16_kernelIDF16_hLN4vllm18Fp8KVCacheDataTypeE1EDF16_Li32ELi64ELi256ELb1ELi9EL8MFMAType0EEvPKT_PKT0_S8_ifPKiSA_SA_iPKfiiiPfSD_PS3_PT2_iSC_SC_
    .private_segment_fixed_size: 0
    .sgpr_count:     51
    .sgpr_spill_count: 0
    .symbol:         _Z39paged_attention_ll4mi_QKV_mfma16_kernelIDF16_hLN4vllm18Fp8KVCacheDataTypeE1EDF16_Li32ELi64ELi256ELb1ELi9EL8MFMAType0EEvPKT_PKT0_S8_ifPKiSA_SA_iPKfiiiPfSD_PS3_PT2_iSC_SC_.kd
    .uniform_work_group_size: 1
    .uses_dynamic_stack: false
    .vgpr_count:     63
    .vgpr_spill_count: 0
    .wavefront_size: 64
  - .agpr_count:     0
    .args:
      - .actual_access:  read_only
        .address_space:  global
        .offset:         0
        .size:           8
        .value_kind:     global_buffer
      - .actual_access:  read_only
        .address_space:  global
        .offset:         8
        .size:           8
        .value_kind:     global_buffer
      - .actual_access:  read_only
        .address_space:  global
        .offset:         16
        .size:           8
        .value_kind:     global_buffer
      - .offset:         24
        .size:           4
        .value_kind:     by_value
      - .offset:         28
        .size:           4
        .value_kind:     by_value
      - .actual_access:  read_only
        .address_space:  global
        .offset:         32
        .size:           8
        .value_kind:     global_buffer
      - .actual_access:  read_only
        .address_space:  global
        .offset:         40
        .size:           8
        .value_kind:     global_buffer
      - .actual_access:  read_only
        .address_space:  global
        .offset:         48
        .size:           8
        .value_kind:     global_buffer
      - .offset:         56
        .size:           4
        .value_kind:     by_value
      - .actual_access:  read_only
        .address_space:  global
        .offset:         64
        .size:           8
        .value_kind:     global_buffer
      - .offset:         72
        .size:           4
        .value_kind:     by_value
      - .offset:         76
        .size:           4
        .value_kind:     by_value
      - .offset:         80
        .size:           4
        .value_kind:     by_value
      - .actual_access:  write_only
        .address_space:  global
        .offset:         88
        .size:           8
        .value_kind:     global_buffer
      - .actual_access:  write_only
        .address_space:  global
        .offset:         96
        .size:           8
        .value_kind:     global_buffer
      - .actual_access:  write_only
        .address_space:  global
        .offset:         104
        .size:           8
        .value_kind:     global_buffer
      - .actual_access:  read_only
        .address_space:  global
        .offset:         112
        .size:           8
        .value_kind:     global_buffer
      - .offset:         120
        .size:           4
        .value_kind:     by_value
      - .address_space:  global
        .offset:         128
        .size:           8
        .value_kind:     global_buffer
      - .address_space:  global
        .offset:         136
        .size:           8
        .value_kind:     global_buffer
      - .offset:         144
        .size:           4
        .value_kind:     hidden_block_count_x
      - .offset:         148
        .size:           4
        .value_kind:     hidden_block_count_y
      - .offset:         152
        .size:           4
        .value_kind:     hidden_block_count_z
      - .offset:         156
        .size:           2
        .value_kind:     hidden_group_size_x
      - .offset:         158
        .size:           2
        .value_kind:     hidden_group_size_y
      - .offset:         160
        .size:           2
        .value_kind:     hidden_group_size_z
      - .offset:         162
        .size:           2
        .value_kind:     hidden_remainder_x
      - .offset:         164
        .size:           2
        .value_kind:     hidden_remainder_y
      - .offset:         166
        .size:           2
        .value_kind:     hidden_remainder_z
      - .offset:         184
        .size:           8
        .value_kind:     hidden_global_offset_x
      - .offset:         192
        .size:           8
        .value_kind:     hidden_global_offset_y
      - .offset:         200
        .size:           8
        .value_kind:     hidden_global_offset_z
      - .offset:         208
        .size:           2
        .value_kind:     hidden_grid_dims
    .group_segment_fixed_size: 8192
    .kernarg_segment_align: 8
    .kernarg_segment_size: 400
    .language:       OpenCL C
    .language_version:
      - 2
      - 0
    .max_flat_workgroup_size: 256
    .name:           _Z39paged_attention_ll4mi_QKV_mfma16_kernelIDF16_hLN4vllm18Fp8KVCacheDataTypeE1EDF16_Li32ELi64ELi256ELb1ELi10EL8MFMAType0EEvPKT_PKT0_S8_ifPKiSA_SA_iPKfiiiPfSD_PS3_PT2_iSC_SC_
    .private_segment_fixed_size: 0
    .sgpr_count:     51
    .sgpr_spill_count: 0
    .symbol:         _Z39paged_attention_ll4mi_QKV_mfma16_kernelIDF16_hLN4vllm18Fp8KVCacheDataTypeE1EDF16_Li32ELi64ELi256ELb1ELi10EL8MFMAType0EEvPKT_PKT0_S8_ifPKiSA_SA_iPKfiiiPfSD_PS3_PT2_iSC_SC_.kd
    .uniform_work_group_size: 1
    .uses_dynamic_stack: false
    .vgpr_count:     63
    .vgpr_spill_count: 0
    .wavefront_size: 64
  - .agpr_count:     0
    .args:
      - .actual_access:  read_only
        .address_space:  global
        .offset:         0
        .size:           8
        .value_kind:     global_buffer
      - .actual_access:  read_only
        .address_space:  global
        .offset:         8
        .size:           8
        .value_kind:     global_buffer
      - .actual_access:  read_only
        .address_space:  global
        .offset:         16
        .size:           8
        .value_kind:     global_buffer
      - .offset:         24
        .size:           4
        .value_kind:     by_value
      - .offset:         28
        .size:           4
        .value_kind:     by_value
      - .actual_access:  read_only
        .address_space:  global
        .offset:         32
        .size:           8
        .value_kind:     global_buffer
      - .actual_access:  read_only
        .address_space:  global
        .offset:         40
        .size:           8
        .value_kind:     global_buffer
      - .actual_access:  read_only
        .address_space:  global
        .offset:         48
        .size:           8
        .value_kind:     global_buffer
      - .offset:         56
        .size:           4
        .value_kind:     by_value
      - .actual_access:  read_only
        .address_space:  global
        .offset:         64
        .size:           8
        .value_kind:     global_buffer
      - .offset:         72
        .size:           4
        .value_kind:     by_value
      - .offset:         76
        .size:           4
        .value_kind:     by_value
      - .offset:         80
        .size:           4
        .value_kind:     by_value
      - .actual_access:  write_only
        .address_space:  global
        .offset:         88
        .size:           8
        .value_kind:     global_buffer
      - .actual_access:  write_only
        .address_space:  global
        .offset:         96
        .size:           8
        .value_kind:     global_buffer
      - .actual_access:  write_only
        .address_space:  global
        .offset:         104
        .size:           8
        .value_kind:     global_buffer
      - .actual_access:  read_only
        .address_space:  global
        .offset:         112
        .size:           8
        .value_kind:     global_buffer
      - .offset:         120
        .size:           4
        .value_kind:     by_value
      - .address_space:  global
        .offset:         128
        .size:           8
        .value_kind:     global_buffer
      - .address_space:  global
        .offset:         136
        .size:           8
        .value_kind:     global_buffer
      - .offset:         144
        .size:           4
        .value_kind:     hidden_block_count_x
      - .offset:         148
        .size:           4
        .value_kind:     hidden_block_count_y
      - .offset:         152
        .size:           4
        .value_kind:     hidden_block_count_z
      - .offset:         156
        .size:           2
        .value_kind:     hidden_group_size_x
      - .offset:         158
        .size:           2
        .value_kind:     hidden_group_size_y
      - .offset:         160
        .size:           2
        .value_kind:     hidden_group_size_z
      - .offset:         162
        .size:           2
        .value_kind:     hidden_remainder_x
      - .offset:         164
        .size:           2
        .value_kind:     hidden_remainder_y
      - .offset:         166
        .size:           2
        .value_kind:     hidden_remainder_z
      - .offset:         184
        .size:           8
        .value_kind:     hidden_global_offset_x
      - .offset:         192
        .size:           8
        .value_kind:     hidden_global_offset_y
      - .offset:         200
        .size:           8
        .value_kind:     hidden_global_offset_z
      - .offset:         208
        .size:           2
        .value_kind:     hidden_grid_dims
    .group_segment_fixed_size: 8192
    .kernarg_segment_align: 8
    .kernarg_segment_size: 400
    .language:       OpenCL C
    .language_version:
      - 2
      - 0
    .max_flat_workgroup_size: 256
    .name:           _Z39paged_attention_ll4mi_QKV_mfma16_kernelIDF16_hLN4vllm18Fp8KVCacheDataTypeE1EDF16_Li32ELi64ELi256ELb1ELi11EL8MFMAType0EEvPKT_PKT0_S8_ifPKiSA_SA_iPKfiiiPfSD_PS3_PT2_iSC_SC_
    .private_segment_fixed_size: 0
    .sgpr_count:     51
    .sgpr_spill_count: 0
    .symbol:         _Z39paged_attention_ll4mi_QKV_mfma16_kernelIDF16_hLN4vllm18Fp8KVCacheDataTypeE1EDF16_Li32ELi64ELi256ELb1ELi11EL8MFMAType0EEvPKT_PKT0_S8_ifPKiSA_SA_iPKfiiiPfSD_PS3_PT2_iSC_SC_.kd
    .uniform_work_group_size: 1
    .uses_dynamic_stack: false
    .vgpr_count:     63
    .vgpr_spill_count: 0
    .wavefront_size: 64
  - .agpr_count:     0
    .args:
      - .actual_access:  read_only
        .address_space:  global
        .offset:         0
        .size:           8
        .value_kind:     global_buffer
      - .actual_access:  read_only
        .address_space:  global
        .offset:         8
        .size:           8
        .value_kind:     global_buffer
      - .actual_access:  read_only
        .address_space:  global
        .offset:         16
        .size:           8
        .value_kind:     global_buffer
      - .offset:         24
        .size:           4
        .value_kind:     by_value
      - .offset:         28
        .size:           4
        .value_kind:     by_value
      - .actual_access:  read_only
        .address_space:  global
        .offset:         32
        .size:           8
        .value_kind:     global_buffer
      - .actual_access:  read_only
        .address_space:  global
        .offset:         40
        .size:           8
        .value_kind:     global_buffer
      - .actual_access:  read_only
        .address_space:  global
        .offset:         48
        .size:           8
        .value_kind:     global_buffer
      - .offset:         56
        .size:           4
        .value_kind:     by_value
      - .actual_access:  read_only
        .address_space:  global
        .offset:         64
        .size:           8
        .value_kind:     global_buffer
      - .offset:         72
        .size:           4
        .value_kind:     by_value
      - .offset:         76
        .size:           4
        .value_kind:     by_value
      - .offset:         80
        .size:           4
        .value_kind:     by_value
      - .actual_access:  write_only
        .address_space:  global
        .offset:         88
        .size:           8
        .value_kind:     global_buffer
      - .actual_access:  write_only
        .address_space:  global
        .offset:         96
        .size:           8
        .value_kind:     global_buffer
      - .actual_access:  write_only
        .address_space:  global
        .offset:         104
        .size:           8
        .value_kind:     global_buffer
      - .actual_access:  read_only
        .address_space:  global
        .offset:         112
        .size:           8
        .value_kind:     global_buffer
      - .offset:         120
        .size:           4
        .value_kind:     by_value
      - .address_space:  global
        .offset:         128
        .size:           8
        .value_kind:     global_buffer
      - .address_space:  global
        .offset:         136
        .size:           8
        .value_kind:     global_buffer
      - .offset:         144
        .size:           4
        .value_kind:     hidden_block_count_x
      - .offset:         148
        .size:           4
        .value_kind:     hidden_block_count_y
      - .offset:         152
        .size:           4
        .value_kind:     hidden_block_count_z
      - .offset:         156
        .size:           2
        .value_kind:     hidden_group_size_x
      - .offset:         158
        .size:           2
        .value_kind:     hidden_group_size_y
      - .offset:         160
        .size:           2
        .value_kind:     hidden_group_size_z
      - .offset:         162
        .size:           2
        .value_kind:     hidden_remainder_x
      - .offset:         164
        .size:           2
        .value_kind:     hidden_remainder_y
      - .offset:         166
        .size:           2
        .value_kind:     hidden_remainder_z
      - .offset:         184
        .size:           8
        .value_kind:     hidden_global_offset_x
      - .offset:         192
        .size:           8
        .value_kind:     hidden_global_offset_y
      - .offset:         200
        .size:           8
        .value_kind:     hidden_global_offset_z
      - .offset:         208
        .size:           2
        .value_kind:     hidden_grid_dims
    .group_segment_fixed_size: 8192
    .kernarg_segment_align: 8
    .kernarg_segment_size: 400
    .language:       OpenCL C
    .language_version:
      - 2
      - 0
    .max_flat_workgroup_size: 256
    .name:           _Z39paged_attention_ll4mi_QKV_mfma16_kernelIDF16_hLN4vllm18Fp8KVCacheDataTypeE1EDF16_Li32ELi64ELi256ELb1ELi12EL8MFMAType0EEvPKT_PKT0_S8_ifPKiSA_SA_iPKfiiiPfSD_PS3_PT2_iSC_SC_
    .private_segment_fixed_size: 0
    .sgpr_count:     51
    .sgpr_spill_count: 0
    .symbol:         _Z39paged_attention_ll4mi_QKV_mfma16_kernelIDF16_hLN4vllm18Fp8KVCacheDataTypeE1EDF16_Li32ELi64ELi256ELb1ELi12EL8MFMAType0EEvPKT_PKT0_S8_ifPKiSA_SA_iPKfiiiPfSD_PS3_PT2_iSC_SC_.kd
    .uniform_work_group_size: 1
    .uses_dynamic_stack: false
    .vgpr_count:     63
    .vgpr_spill_count: 0
    .wavefront_size: 64
  - .agpr_count:     0
    .args:
      - .actual_access:  read_only
        .address_space:  global
        .offset:         0
        .size:           8
        .value_kind:     global_buffer
      - .actual_access:  read_only
        .address_space:  global
        .offset:         8
        .size:           8
        .value_kind:     global_buffer
      - .actual_access:  read_only
        .address_space:  global
        .offset:         16
        .size:           8
        .value_kind:     global_buffer
      - .offset:         24
        .size:           4
        .value_kind:     by_value
      - .offset:         28
        .size:           4
        .value_kind:     by_value
      - .actual_access:  read_only
        .address_space:  global
        .offset:         32
        .size:           8
        .value_kind:     global_buffer
      - .actual_access:  read_only
        .address_space:  global
        .offset:         40
        .size:           8
        .value_kind:     global_buffer
      - .actual_access:  read_only
        .address_space:  global
        .offset:         48
        .size:           8
        .value_kind:     global_buffer
      - .offset:         56
        .size:           4
        .value_kind:     by_value
      - .actual_access:  read_only
        .address_space:  global
        .offset:         64
        .size:           8
        .value_kind:     global_buffer
      - .offset:         72
        .size:           4
        .value_kind:     by_value
      - .offset:         76
        .size:           4
        .value_kind:     by_value
      - .offset:         80
        .size:           4
        .value_kind:     by_value
      - .actual_access:  write_only
        .address_space:  global
        .offset:         88
        .size:           8
        .value_kind:     global_buffer
      - .actual_access:  write_only
        .address_space:  global
        .offset:         96
        .size:           8
        .value_kind:     global_buffer
      - .actual_access:  write_only
        .address_space:  global
        .offset:         104
        .size:           8
        .value_kind:     global_buffer
      - .actual_access:  read_only
        .address_space:  global
        .offset:         112
        .size:           8
        .value_kind:     global_buffer
      - .offset:         120
        .size:           4
        .value_kind:     by_value
      - .address_space:  global
        .offset:         128
        .size:           8
        .value_kind:     global_buffer
      - .address_space:  global
        .offset:         136
        .size:           8
        .value_kind:     global_buffer
      - .offset:         144
        .size:           4
        .value_kind:     hidden_block_count_x
      - .offset:         148
        .size:           4
        .value_kind:     hidden_block_count_y
      - .offset:         152
        .size:           4
        .value_kind:     hidden_block_count_z
      - .offset:         156
        .size:           2
        .value_kind:     hidden_group_size_x
      - .offset:         158
        .size:           2
        .value_kind:     hidden_group_size_y
      - .offset:         160
        .size:           2
        .value_kind:     hidden_group_size_z
      - .offset:         162
        .size:           2
        .value_kind:     hidden_remainder_x
      - .offset:         164
        .size:           2
        .value_kind:     hidden_remainder_y
      - .offset:         166
        .size:           2
        .value_kind:     hidden_remainder_z
      - .offset:         184
        .size:           8
        .value_kind:     hidden_global_offset_x
      - .offset:         192
        .size:           8
        .value_kind:     hidden_global_offset_y
      - .offset:         200
        .size:           8
        .value_kind:     hidden_global_offset_z
      - .offset:         208
        .size:           2
        .value_kind:     hidden_grid_dims
    .group_segment_fixed_size: 8192
    .kernarg_segment_align: 8
    .kernarg_segment_size: 400
    .language:       OpenCL C
    .language_version:
      - 2
      - 0
    .max_flat_workgroup_size: 256
    .name:           _Z39paged_attention_ll4mi_QKV_mfma16_kernelIDF16_hLN4vllm18Fp8KVCacheDataTypeE1EDF16_Li32ELi64ELi256ELb1ELi13EL8MFMAType0EEvPKT_PKT0_S8_ifPKiSA_SA_iPKfiiiPfSD_PS3_PT2_iSC_SC_
    .private_segment_fixed_size: 0
    .sgpr_count:     51
    .sgpr_spill_count: 0
    .symbol:         _Z39paged_attention_ll4mi_QKV_mfma16_kernelIDF16_hLN4vllm18Fp8KVCacheDataTypeE1EDF16_Li32ELi64ELi256ELb1ELi13EL8MFMAType0EEvPKT_PKT0_S8_ifPKiSA_SA_iPKfiiiPfSD_PS3_PT2_iSC_SC_.kd
    .uniform_work_group_size: 1
    .uses_dynamic_stack: false
    .vgpr_count:     63
    .vgpr_spill_count: 0
    .wavefront_size: 64
  - .agpr_count:     0
    .args:
      - .actual_access:  read_only
        .address_space:  global
        .offset:         0
        .size:           8
        .value_kind:     global_buffer
      - .actual_access:  read_only
        .address_space:  global
        .offset:         8
        .size:           8
        .value_kind:     global_buffer
      - .actual_access:  read_only
        .address_space:  global
        .offset:         16
        .size:           8
        .value_kind:     global_buffer
      - .offset:         24
        .size:           4
        .value_kind:     by_value
      - .offset:         28
        .size:           4
        .value_kind:     by_value
      - .actual_access:  read_only
        .address_space:  global
        .offset:         32
        .size:           8
        .value_kind:     global_buffer
      - .actual_access:  read_only
        .address_space:  global
        .offset:         40
        .size:           8
        .value_kind:     global_buffer
      - .actual_access:  read_only
        .address_space:  global
        .offset:         48
        .size:           8
        .value_kind:     global_buffer
      - .offset:         56
        .size:           4
        .value_kind:     by_value
      - .actual_access:  read_only
        .address_space:  global
        .offset:         64
        .size:           8
        .value_kind:     global_buffer
      - .offset:         72
        .size:           4
        .value_kind:     by_value
      - .offset:         76
        .size:           4
        .value_kind:     by_value
      - .offset:         80
        .size:           4
        .value_kind:     by_value
      - .actual_access:  write_only
        .address_space:  global
        .offset:         88
        .size:           8
        .value_kind:     global_buffer
      - .actual_access:  write_only
        .address_space:  global
        .offset:         96
        .size:           8
        .value_kind:     global_buffer
      - .actual_access:  write_only
        .address_space:  global
        .offset:         104
        .size:           8
        .value_kind:     global_buffer
      - .actual_access:  read_only
        .address_space:  global
        .offset:         112
        .size:           8
        .value_kind:     global_buffer
      - .offset:         120
        .size:           4
        .value_kind:     by_value
      - .address_space:  global
        .offset:         128
        .size:           8
        .value_kind:     global_buffer
      - .address_space:  global
        .offset:         136
        .size:           8
        .value_kind:     global_buffer
      - .offset:         144
        .size:           4
        .value_kind:     hidden_block_count_x
      - .offset:         148
        .size:           4
        .value_kind:     hidden_block_count_y
      - .offset:         152
        .size:           4
        .value_kind:     hidden_block_count_z
      - .offset:         156
        .size:           2
        .value_kind:     hidden_group_size_x
      - .offset:         158
        .size:           2
        .value_kind:     hidden_group_size_y
      - .offset:         160
        .size:           2
        .value_kind:     hidden_group_size_z
      - .offset:         162
        .size:           2
        .value_kind:     hidden_remainder_x
      - .offset:         164
        .size:           2
        .value_kind:     hidden_remainder_y
      - .offset:         166
        .size:           2
        .value_kind:     hidden_remainder_z
      - .offset:         184
        .size:           8
        .value_kind:     hidden_global_offset_x
      - .offset:         192
        .size:           8
        .value_kind:     hidden_global_offset_y
      - .offset:         200
        .size:           8
        .value_kind:     hidden_global_offset_z
      - .offset:         208
        .size:           2
        .value_kind:     hidden_grid_dims
    .group_segment_fixed_size: 8192
    .kernarg_segment_align: 8
    .kernarg_segment_size: 400
    .language:       OpenCL C
    .language_version:
      - 2
      - 0
    .max_flat_workgroup_size: 256
    .name:           _Z39paged_attention_ll4mi_QKV_mfma16_kernelIDF16_hLN4vllm18Fp8KVCacheDataTypeE1EDF16_Li32ELi64ELi256ELb1ELi14EL8MFMAType0EEvPKT_PKT0_S8_ifPKiSA_SA_iPKfiiiPfSD_PS3_PT2_iSC_SC_
    .private_segment_fixed_size: 0
    .sgpr_count:     51
    .sgpr_spill_count: 0
    .symbol:         _Z39paged_attention_ll4mi_QKV_mfma16_kernelIDF16_hLN4vllm18Fp8KVCacheDataTypeE1EDF16_Li32ELi64ELi256ELb1ELi14EL8MFMAType0EEvPKT_PKT0_S8_ifPKiSA_SA_iPKfiiiPfSD_PS3_PT2_iSC_SC_.kd
    .uniform_work_group_size: 1
    .uses_dynamic_stack: false
    .vgpr_count:     63
    .vgpr_spill_count: 0
    .wavefront_size: 64
  - .agpr_count:     0
    .args:
      - .actual_access:  read_only
        .address_space:  global
        .offset:         0
        .size:           8
        .value_kind:     global_buffer
      - .actual_access:  read_only
        .address_space:  global
        .offset:         8
        .size:           8
        .value_kind:     global_buffer
      - .actual_access:  read_only
        .address_space:  global
        .offset:         16
        .size:           8
        .value_kind:     global_buffer
      - .offset:         24
        .size:           4
        .value_kind:     by_value
      - .offset:         28
        .size:           4
        .value_kind:     by_value
      - .actual_access:  read_only
        .address_space:  global
        .offset:         32
        .size:           8
        .value_kind:     global_buffer
      - .actual_access:  read_only
        .address_space:  global
        .offset:         40
        .size:           8
        .value_kind:     global_buffer
      - .actual_access:  read_only
        .address_space:  global
        .offset:         48
        .size:           8
        .value_kind:     global_buffer
      - .offset:         56
        .size:           4
        .value_kind:     by_value
      - .actual_access:  read_only
        .address_space:  global
        .offset:         64
        .size:           8
        .value_kind:     global_buffer
      - .offset:         72
        .size:           4
        .value_kind:     by_value
      - .offset:         76
        .size:           4
        .value_kind:     by_value
      - .offset:         80
        .size:           4
        .value_kind:     by_value
      - .actual_access:  write_only
        .address_space:  global
        .offset:         88
        .size:           8
        .value_kind:     global_buffer
      - .actual_access:  write_only
        .address_space:  global
        .offset:         96
        .size:           8
        .value_kind:     global_buffer
      - .actual_access:  write_only
        .address_space:  global
        .offset:         104
        .size:           8
        .value_kind:     global_buffer
      - .actual_access:  read_only
        .address_space:  global
        .offset:         112
        .size:           8
        .value_kind:     global_buffer
      - .offset:         120
        .size:           4
        .value_kind:     by_value
      - .address_space:  global
        .offset:         128
        .size:           8
        .value_kind:     global_buffer
      - .address_space:  global
        .offset:         136
        .size:           8
        .value_kind:     global_buffer
      - .offset:         144
        .size:           4
        .value_kind:     hidden_block_count_x
      - .offset:         148
        .size:           4
        .value_kind:     hidden_block_count_y
      - .offset:         152
        .size:           4
        .value_kind:     hidden_block_count_z
      - .offset:         156
        .size:           2
        .value_kind:     hidden_group_size_x
      - .offset:         158
        .size:           2
        .value_kind:     hidden_group_size_y
      - .offset:         160
        .size:           2
        .value_kind:     hidden_group_size_z
      - .offset:         162
        .size:           2
        .value_kind:     hidden_remainder_x
      - .offset:         164
        .size:           2
        .value_kind:     hidden_remainder_y
      - .offset:         166
        .size:           2
        .value_kind:     hidden_remainder_z
      - .offset:         184
        .size:           8
        .value_kind:     hidden_global_offset_x
      - .offset:         192
        .size:           8
        .value_kind:     hidden_global_offset_y
      - .offset:         200
        .size:           8
        .value_kind:     hidden_global_offset_z
      - .offset:         208
        .size:           2
        .value_kind:     hidden_grid_dims
    .group_segment_fixed_size: 8192
    .kernarg_segment_align: 8
    .kernarg_segment_size: 400
    .language:       OpenCL C
    .language_version:
      - 2
      - 0
    .max_flat_workgroup_size: 256
    .name:           _Z39paged_attention_ll4mi_QKV_mfma16_kernelIDF16_hLN4vllm18Fp8KVCacheDataTypeE1EDF16_Li32ELi64ELi256ELb1ELi15EL8MFMAType0EEvPKT_PKT0_S8_ifPKiSA_SA_iPKfiiiPfSD_PS3_PT2_iSC_SC_
    .private_segment_fixed_size: 0
    .sgpr_count:     51
    .sgpr_spill_count: 0
    .symbol:         _Z39paged_attention_ll4mi_QKV_mfma16_kernelIDF16_hLN4vllm18Fp8KVCacheDataTypeE1EDF16_Li32ELi64ELi256ELb1ELi15EL8MFMAType0EEvPKT_PKT0_S8_ifPKiSA_SA_iPKfiiiPfSD_PS3_PT2_iSC_SC_.kd
    .uniform_work_group_size: 1
    .uses_dynamic_stack: false
    .vgpr_count:     63
    .vgpr_spill_count: 0
    .wavefront_size: 64
  - .agpr_count:     0
    .args:
      - .actual_access:  read_only
        .address_space:  global
        .offset:         0
        .size:           8
        .value_kind:     global_buffer
      - .actual_access:  read_only
        .address_space:  global
        .offset:         8
        .size:           8
        .value_kind:     global_buffer
      - .actual_access:  read_only
        .address_space:  global
        .offset:         16
        .size:           8
        .value_kind:     global_buffer
      - .offset:         24
        .size:           4
        .value_kind:     by_value
      - .offset:         28
        .size:           4
        .value_kind:     by_value
      - .actual_access:  read_only
        .address_space:  global
        .offset:         32
        .size:           8
        .value_kind:     global_buffer
      - .actual_access:  read_only
        .address_space:  global
        .offset:         40
        .size:           8
        .value_kind:     global_buffer
      - .actual_access:  read_only
        .address_space:  global
        .offset:         48
        .size:           8
        .value_kind:     global_buffer
      - .offset:         56
        .size:           4
        .value_kind:     by_value
      - .actual_access:  read_only
        .address_space:  global
        .offset:         64
        .size:           8
        .value_kind:     global_buffer
      - .offset:         72
        .size:           4
        .value_kind:     by_value
      - .offset:         76
        .size:           4
        .value_kind:     by_value
      - .offset:         80
        .size:           4
        .value_kind:     by_value
      - .actual_access:  write_only
        .address_space:  global
        .offset:         88
        .size:           8
        .value_kind:     global_buffer
      - .actual_access:  write_only
        .address_space:  global
        .offset:         96
        .size:           8
        .value_kind:     global_buffer
      - .actual_access:  write_only
        .address_space:  global
        .offset:         104
        .size:           8
        .value_kind:     global_buffer
      - .actual_access:  read_only
        .address_space:  global
        .offset:         112
        .size:           8
        .value_kind:     global_buffer
      - .offset:         120
        .size:           4
        .value_kind:     by_value
      - .address_space:  global
        .offset:         128
        .size:           8
        .value_kind:     global_buffer
      - .address_space:  global
        .offset:         136
        .size:           8
        .value_kind:     global_buffer
      - .offset:         144
        .size:           4
        .value_kind:     hidden_block_count_x
      - .offset:         148
        .size:           4
        .value_kind:     hidden_block_count_y
      - .offset:         152
        .size:           4
        .value_kind:     hidden_block_count_z
      - .offset:         156
        .size:           2
        .value_kind:     hidden_group_size_x
      - .offset:         158
        .size:           2
        .value_kind:     hidden_group_size_y
      - .offset:         160
        .size:           2
        .value_kind:     hidden_group_size_z
      - .offset:         162
        .size:           2
        .value_kind:     hidden_remainder_x
      - .offset:         164
        .size:           2
        .value_kind:     hidden_remainder_y
      - .offset:         166
        .size:           2
        .value_kind:     hidden_remainder_z
      - .offset:         184
        .size:           8
        .value_kind:     hidden_global_offset_x
      - .offset:         192
        .size:           8
        .value_kind:     hidden_global_offset_y
      - .offset:         200
        .size:           8
        .value_kind:     hidden_global_offset_z
      - .offset:         208
        .size:           2
        .value_kind:     hidden_grid_dims
    .group_segment_fixed_size: 8192
    .kernarg_segment_align: 8
    .kernarg_segment_size: 400
    .language:       OpenCL C
    .language_version:
      - 2
      - 0
    .max_flat_workgroup_size: 256
    .name:           _Z39paged_attention_ll4mi_QKV_mfma16_kernelIDF16_hLN4vllm18Fp8KVCacheDataTypeE1EDF16_Li32ELi64ELi256ELb1ELi16EL8MFMAType0EEvPKT_PKT0_S8_ifPKiSA_SA_iPKfiiiPfSD_PS3_PT2_iSC_SC_
    .private_segment_fixed_size: 0
    .sgpr_count:     51
    .sgpr_spill_count: 0
    .symbol:         _Z39paged_attention_ll4mi_QKV_mfma16_kernelIDF16_hLN4vllm18Fp8KVCacheDataTypeE1EDF16_Li32ELi64ELi256ELb1ELi16EL8MFMAType0EEvPKT_PKT0_S8_ifPKiSA_SA_iPKfiiiPfSD_PS3_PT2_iSC_SC_.kd
    .uniform_work_group_size: 1
    .uses_dynamic_stack: false
    .vgpr_count:     65
    .vgpr_spill_count: 0
    .wavefront_size: 64
  - .agpr_count:     0
    .args:
      - .actual_access:  read_only
        .address_space:  global
        .offset:         0
        .size:           8
        .value_kind:     global_buffer
      - .actual_access:  read_only
        .address_space:  global
        .offset:         8
        .size:           8
        .value_kind:     global_buffer
      - .actual_access:  read_only
        .address_space:  global
        .offset:         16
        .size:           8
        .value_kind:     global_buffer
      - .offset:         24
        .size:           4
        .value_kind:     by_value
      - .offset:         28
        .size:           4
        .value_kind:     by_value
      - .actual_access:  read_only
        .address_space:  global
        .offset:         32
        .size:           8
        .value_kind:     global_buffer
      - .actual_access:  read_only
        .address_space:  global
        .offset:         40
        .size:           8
        .value_kind:     global_buffer
      - .actual_access:  read_only
        .address_space:  global
        .offset:         48
        .size:           8
        .value_kind:     global_buffer
      - .offset:         56
        .size:           4
        .value_kind:     by_value
      - .actual_access:  read_only
        .address_space:  global
        .offset:         64
        .size:           8
        .value_kind:     global_buffer
      - .offset:         72
        .size:           4
        .value_kind:     by_value
      - .offset:         76
        .size:           4
        .value_kind:     by_value
      - .offset:         80
        .size:           4
        .value_kind:     by_value
      - .actual_access:  write_only
        .address_space:  global
        .offset:         88
        .size:           8
        .value_kind:     global_buffer
      - .actual_access:  write_only
        .address_space:  global
        .offset:         96
        .size:           8
        .value_kind:     global_buffer
      - .actual_access:  write_only
        .address_space:  global
        .offset:         104
        .size:           8
        .value_kind:     global_buffer
      - .actual_access:  read_only
        .address_space:  global
        .offset:         112
        .size:           8
        .value_kind:     global_buffer
      - .offset:         120
        .size:           4
        .value_kind:     by_value
      - .address_space:  global
        .offset:         128
        .size:           8
        .value_kind:     global_buffer
      - .address_space:  global
        .offset:         136
        .size:           8
        .value_kind:     global_buffer
      - .offset:         144
        .size:           4
        .value_kind:     hidden_block_count_x
      - .offset:         148
        .size:           4
        .value_kind:     hidden_block_count_y
      - .offset:         152
        .size:           4
        .value_kind:     hidden_block_count_z
      - .offset:         156
        .size:           2
        .value_kind:     hidden_group_size_x
      - .offset:         158
        .size:           2
        .value_kind:     hidden_group_size_y
      - .offset:         160
        .size:           2
        .value_kind:     hidden_group_size_z
      - .offset:         162
        .size:           2
        .value_kind:     hidden_remainder_x
      - .offset:         164
        .size:           2
        .value_kind:     hidden_remainder_y
      - .offset:         166
        .size:           2
        .value_kind:     hidden_remainder_z
      - .offset:         184
        .size:           8
        .value_kind:     hidden_global_offset_x
      - .offset:         192
        .size:           8
        .value_kind:     hidden_global_offset_y
      - .offset:         200
        .size:           8
        .value_kind:     hidden_global_offset_z
      - .offset:         208
        .size:           2
        .value_kind:     hidden_grid_dims
    .group_segment_fixed_size: 8192
    .kernarg_segment_align: 8
    .kernarg_segment_size: 400
    .language:       OpenCL C
    .language_version:
      - 2
      - 0
    .max_flat_workgroup_size: 256
    .name:           _Z39paged_attention_ll4mi_QKV_mfma16_kernelIDF16_hLN4vllm18Fp8KVCacheDataTypeE1EDF16_Li32ELi64ELi256ELb1ELi1EL8MFMAType0EEvPKT_PKT0_S8_ifPKiSA_SA_iPKfiiiPfSD_PS3_PT2_iSC_SC_
    .private_segment_fixed_size: 0
    .sgpr_count:     54
    .sgpr_spill_count: 0
    .symbol:         _Z39paged_attention_ll4mi_QKV_mfma16_kernelIDF16_hLN4vllm18Fp8KVCacheDataTypeE1EDF16_Li32ELi64ELi256ELb1ELi1EL8MFMAType0EEvPKT_PKT0_S8_ifPKiSA_SA_iPKfiiiPfSD_PS3_PT2_iSC_SC_.kd
    .uniform_work_group_size: 1
    .uses_dynamic_stack: false
    .vgpr_count:     63
    .vgpr_spill_count: 0
    .wavefront_size: 64
  - .agpr_count:     0
    .args:
      - .actual_access:  read_only
        .address_space:  global
        .offset:         0
        .size:           8
        .value_kind:     global_buffer
      - .actual_access:  read_only
        .address_space:  global
        .offset:         8
        .size:           8
        .value_kind:     global_buffer
      - .actual_access:  read_only
        .address_space:  global
        .offset:         16
        .size:           8
        .value_kind:     global_buffer
      - .offset:         24
        .size:           4
        .value_kind:     by_value
      - .offset:         28
        .size:           4
        .value_kind:     by_value
      - .actual_access:  read_only
        .address_space:  global
        .offset:         32
        .size:           8
        .value_kind:     global_buffer
      - .actual_access:  read_only
        .address_space:  global
        .offset:         40
        .size:           8
        .value_kind:     global_buffer
      - .actual_access:  read_only
        .address_space:  global
        .offset:         48
        .size:           8
        .value_kind:     global_buffer
      - .offset:         56
        .size:           4
        .value_kind:     by_value
      - .actual_access:  read_only
        .address_space:  global
        .offset:         64
        .size:           8
        .value_kind:     global_buffer
      - .offset:         72
        .size:           4
        .value_kind:     by_value
      - .offset:         76
        .size:           4
        .value_kind:     by_value
      - .offset:         80
        .size:           4
        .value_kind:     by_value
      - .actual_access:  write_only
        .address_space:  global
        .offset:         88
        .size:           8
        .value_kind:     global_buffer
      - .actual_access:  write_only
        .address_space:  global
        .offset:         96
        .size:           8
        .value_kind:     global_buffer
      - .actual_access:  write_only
        .address_space:  global
        .offset:         104
        .size:           8
        .value_kind:     global_buffer
      - .actual_access:  read_only
        .address_space:  global
        .offset:         112
        .size:           8
        .value_kind:     global_buffer
      - .offset:         120
        .size:           4
        .value_kind:     by_value
      - .address_space:  global
        .offset:         128
        .size:           8
        .value_kind:     global_buffer
      - .address_space:  global
        .offset:         136
        .size:           8
        .value_kind:     global_buffer
      - .offset:         144
        .size:           4
        .value_kind:     hidden_block_count_x
      - .offset:         148
        .size:           4
        .value_kind:     hidden_block_count_y
      - .offset:         152
        .size:           4
        .value_kind:     hidden_block_count_z
      - .offset:         156
        .size:           2
        .value_kind:     hidden_group_size_x
      - .offset:         158
        .size:           2
        .value_kind:     hidden_group_size_y
      - .offset:         160
        .size:           2
        .value_kind:     hidden_group_size_z
      - .offset:         162
        .size:           2
        .value_kind:     hidden_remainder_x
      - .offset:         164
        .size:           2
        .value_kind:     hidden_remainder_y
      - .offset:         166
        .size:           2
        .value_kind:     hidden_remainder_z
      - .offset:         184
        .size:           8
        .value_kind:     hidden_global_offset_x
      - .offset:         192
        .size:           8
        .value_kind:     hidden_global_offset_y
      - .offset:         200
        .size:           8
        .value_kind:     hidden_global_offset_z
      - .offset:         208
        .size:           2
        .value_kind:     hidden_grid_dims
    .group_segment_fixed_size: 8192
    .kernarg_segment_align: 8
    .kernarg_segment_size: 400
    .language:       OpenCL C
    .language_version:
      - 2
      - 0
    .max_flat_workgroup_size: 256
    .name:           _Z39paged_attention_ll4mi_QKV_mfma16_kernelIDF16_hLN4vllm18Fp8KVCacheDataTypeE1EDF16_Li32ELi64ELi256ELb1ELi2EL8MFMAType0EEvPKT_PKT0_S8_ifPKiSA_SA_iPKfiiiPfSD_PS3_PT2_iSC_SC_
    .private_segment_fixed_size: 0
    .sgpr_count:     51
    .sgpr_spill_count: 0
    .symbol:         _Z39paged_attention_ll4mi_QKV_mfma16_kernelIDF16_hLN4vllm18Fp8KVCacheDataTypeE1EDF16_Li32ELi64ELi256ELb1ELi2EL8MFMAType0EEvPKT_PKT0_S8_ifPKiSA_SA_iPKfiiiPfSD_PS3_PT2_iSC_SC_.kd
    .uniform_work_group_size: 1
    .uses_dynamic_stack: false
    .vgpr_count:     63
    .vgpr_spill_count: 0
    .wavefront_size: 64
  - .agpr_count:     0
    .args:
      - .actual_access:  read_only
        .address_space:  global
        .offset:         0
        .size:           8
        .value_kind:     global_buffer
      - .actual_access:  read_only
        .address_space:  global
        .offset:         8
        .size:           8
        .value_kind:     global_buffer
      - .actual_access:  read_only
        .address_space:  global
        .offset:         16
        .size:           8
        .value_kind:     global_buffer
      - .offset:         24
        .size:           4
        .value_kind:     by_value
      - .offset:         28
        .size:           4
        .value_kind:     by_value
      - .actual_access:  read_only
        .address_space:  global
        .offset:         32
        .size:           8
        .value_kind:     global_buffer
      - .actual_access:  read_only
        .address_space:  global
        .offset:         40
        .size:           8
        .value_kind:     global_buffer
      - .actual_access:  read_only
        .address_space:  global
        .offset:         48
        .size:           8
        .value_kind:     global_buffer
      - .offset:         56
        .size:           4
        .value_kind:     by_value
      - .actual_access:  read_only
        .address_space:  global
        .offset:         64
        .size:           8
        .value_kind:     global_buffer
      - .offset:         72
        .size:           4
        .value_kind:     by_value
      - .offset:         76
        .size:           4
        .value_kind:     by_value
      - .offset:         80
        .size:           4
        .value_kind:     by_value
      - .actual_access:  write_only
        .address_space:  global
        .offset:         88
        .size:           8
        .value_kind:     global_buffer
      - .actual_access:  write_only
        .address_space:  global
        .offset:         96
        .size:           8
        .value_kind:     global_buffer
      - .actual_access:  write_only
        .address_space:  global
        .offset:         104
        .size:           8
        .value_kind:     global_buffer
      - .actual_access:  read_only
        .address_space:  global
        .offset:         112
        .size:           8
        .value_kind:     global_buffer
      - .offset:         120
        .size:           4
        .value_kind:     by_value
      - .address_space:  global
        .offset:         128
        .size:           8
        .value_kind:     global_buffer
      - .address_space:  global
        .offset:         136
        .size:           8
        .value_kind:     global_buffer
      - .offset:         144
        .size:           4
        .value_kind:     hidden_block_count_x
      - .offset:         148
        .size:           4
        .value_kind:     hidden_block_count_y
      - .offset:         152
        .size:           4
        .value_kind:     hidden_block_count_z
      - .offset:         156
        .size:           2
        .value_kind:     hidden_group_size_x
      - .offset:         158
        .size:           2
        .value_kind:     hidden_group_size_y
      - .offset:         160
        .size:           2
        .value_kind:     hidden_group_size_z
      - .offset:         162
        .size:           2
        .value_kind:     hidden_remainder_x
      - .offset:         164
        .size:           2
        .value_kind:     hidden_remainder_y
      - .offset:         166
        .size:           2
        .value_kind:     hidden_remainder_z
      - .offset:         184
        .size:           8
        .value_kind:     hidden_global_offset_x
      - .offset:         192
        .size:           8
        .value_kind:     hidden_global_offset_y
      - .offset:         200
        .size:           8
        .value_kind:     hidden_global_offset_z
      - .offset:         208
        .size:           2
        .value_kind:     hidden_grid_dims
    .group_segment_fixed_size: 8192
    .kernarg_segment_align: 8
    .kernarg_segment_size: 400
    .language:       OpenCL C
    .language_version:
      - 2
      - 0
    .max_flat_workgroup_size: 256
    .name:           _Z39paged_attention_ll4mi_QKV_mfma16_kernelIDF16_hLN4vllm18Fp8KVCacheDataTypeE1EDF16_Li32ELi64ELi256ELb1ELi3EL8MFMAType0EEvPKT_PKT0_S8_ifPKiSA_SA_iPKfiiiPfSD_PS3_PT2_iSC_SC_
    .private_segment_fixed_size: 0
    .sgpr_count:     51
    .sgpr_spill_count: 0
    .symbol:         _Z39paged_attention_ll4mi_QKV_mfma16_kernelIDF16_hLN4vllm18Fp8KVCacheDataTypeE1EDF16_Li32ELi64ELi256ELb1ELi3EL8MFMAType0EEvPKT_PKT0_S8_ifPKiSA_SA_iPKfiiiPfSD_PS3_PT2_iSC_SC_.kd
    .uniform_work_group_size: 1
    .uses_dynamic_stack: false
    .vgpr_count:     64
    .vgpr_spill_count: 0
    .wavefront_size: 64
  - .agpr_count:     0
    .args:
      - .actual_access:  read_only
        .address_space:  global
        .offset:         0
        .size:           8
        .value_kind:     global_buffer
      - .actual_access:  read_only
        .address_space:  global
        .offset:         8
        .size:           8
        .value_kind:     global_buffer
      - .actual_access:  read_only
        .address_space:  global
        .offset:         16
        .size:           8
        .value_kind:     global_buffer
      - .offset:         24
        .size:           4
        .value_kind:     by_value
      - .offset:         28
        .size:           4
        .value_kind:     by_value
      - .actual_access:  read_only
        .address_space:  global
        .offset:         32
        .size:           8
        .value_kind:     global_buffer
      - .actual_access:  read_only
        .address_space:  global
        .offset:         40
        .size:           8
        .value_kind:     global_buffer
      - .actual_access:  read_only
        .address_space:  global
        .offset:         48
        .size:           8
        .value_kind:     global_buffer
      - .offset:         56
        .size:           4
        .value_kind:     by_value
      - .actual_access:  read_only
        .address_space:  global
        .offset:         64
        .size:           8
        .value_kind:     global_buffer
      - .offset:         72
        .size:           4
        .value_kind:     by_value
      - .offset:         76
        .size:           4
        .value_kind:     by_value
      - .offset:         80
        .size:           4
        .value_kind:     by_value
      - .actual_access:  write_only
        .address_space:  global
        .offset:         88
        .size:           8
        .value_kind:     global_buffer
      - .actual_access:  write_only
        .address_space:  global
        .offset:         96
        .size:           8
        .value_kind:     global_buffer
      - .actual_access:  write_only
        .address_space:  global
        .offset:         104
        .size:           8
        .value_kind:     global_buffer
      - .actual_access:  read_only
        .address_space:  global
        .offset:         112
        .size:           8
        .value_kind:     global_buffer
      - .offset:         120
        .size:           4
        .value_kind:     by_value
      - .address_space:  global
        .offset:         128
        .size:           8
        .value_kind:     global_buffer
      - .address_space:  global
        .offset:         136
        .size:           8
        .value_kind:     global_buffer
      - .offset:         144
        .size:           4
        .value_kind:     hidden_block_count_x
      - .offset:         148
        .size:           4
        .value_kind:     hidden_block_count_y
      - .offset:         152
        .size:           4
        .value_kind:     hidden_block_count_z
      - .offset:         156
        .size:           2
        .value_kind:     hidden_group_size_x
      - .offset:         158
        .size:           2
        .value_kind:     hidden_group_size_y
      - .offset:         160
        .size:           2
        .value_kind:     hidden_group_size_z
      - .offset:         162
        .size:           2
        .value_kind:     hidden_remainder_x
      - .offset:         164
        .size:           2
        .value_kind:     hidden_remainder_y
      - .offset:         166
        .size:           2
        .value_kind:     hidden_remainder_z
      - .offset:         184
        .size:           8
        .value_kind:     hidden_global_offset_x
      - .offset:         192
        .size:           8
        .value_kind:     hidden_global_offset_y
      - .offset:         200
        .size:           8
        .value_kind:     hidden_global_offset_z
      - .offset:         208
        .size:           2
        .value_kind:     hidden_grid_dims
    .group_segment_fixed_size: 8192
    .kernarg_segment_align: 8
    .kernarg_segment_size: 400
    .language:       OpenCL C
    .language_version:
      - 2
      - 0
    .max_flat_workgroup_size: 256
    .name:           _Z39paged_attention_ll4mi_QKV_mfma16_kernelIDF16_hLN4vllm18Fp8KVCacheDataTypeE1EDF16_Li32ELi64ELi256ELb1ELi4EL8MFMAType0EEvPKT_PKT0_S8_ifPKiSA_SA_iPKfiiiPfSD_PS3_PT2_iSC_SC_
    .private_segment_fixed_size: 0
    .sgpr_count:     52
    .sgpr_spill_count: 0
    .symbol:         _Z39paged_attention_ll4mi_QKV_mfma16_kernelIDF16_hLN4vllm18Fp8KVCacheDataTypeE1EDF16_Li32ELi64ELi256ELb1ELi4EL8MFMAType0EEvPKT_PKT0_S8_ifPKiSA_SA_iPKfiiiPfSD_PS3_PT2_iSC_SC_.kd
    .uniform_work_group_size: 1
    .uses_dynamic_stack: false
    .vgpr_count:     65
    .vgpr_spill_count: 0
    .wavefront_size: 64
  - .agpr_count:     0
    .args:
      - .actual_access:  read_only
        .address_space:  global
        .offset:         0
        .size:           8
        .value_kind:     global_buffer
      - .actual_access:  read_only
        .address_space:  global
        .offset:         8
        .size:           8
        .value_kind:     global_buffer
      - .actual_access:  read_only
        .address_space:  global
        .offset:         16
        .size:           8
        .value_kind:     global_buffer
      - .offset:         24
        .size:           4
        .value_kind:     by_value
      - .offset:         28
        .size:           4
        .value_kind:     by_value
      - .actual_access:  read_only
        .address_space:  global
        .offset:         32
        .size:           8
        .value_kind:     global_buffer
      - .actual_access:  read_only
        .address_space:  global
        .offset:         40
        .size:           8
        .value_kind:     global_buffer
      - .actual_access:  read_only
        .address_space:  global
        .offset:         48
        .size:           8
        .value_kind:     global_buffer
      - .offset:         56
        .size:           4
        .value_kind:     by_value
      - .actual_access:  read_only
        .address_space:  global
        .offset:         64
        .size:           8
        .value_kind:     global_buffer
      - .offset:         72
        .size:           4
        .value_kind:     by_value
      - .offset:         76
        .size:           4
        .value_kind:     by_value
      - .offset:         80
        .size:           4
        .value_kind:     by_value
      - .actual_access:  write_only
        .address_space:  global
        .offset:         88
        .size:           8
        .value_kind:     global_buffer
      - .actual_access:  write_only
        .address_space:  global
        .offset:         96
        .size:           8
        .value_kind:     global_buffer
      - .actual_access:  write_only
        .address_space:  global
        .offset:         104
        .size:           8
        .value_kind:     global_buffer
      - .actual_access:  read_only
        .address_space:  global
        .offset:         112
        .size:           8
        .value_kind:     global_buffer
      - .offset:         120
        .size:           4
        .value_kind:     by_value
      - .address_space:  global
        .offset:         128
        .size:           8
        .value_kind:     global_buffer
      - .address_space:  global
        .offset:         136
        .size:           8
        .value_kind:     global_buffer
      - .offset:         144
        .size:           4
        .value_kind:     hidden_block_count_x
      - .offset:         148
        .size:           4
        .value_kind:     hidden_block_count_y
      - .offset:         152
        .size:           4
        .value_kind:     hidden_block_count_z
      - .offset:         156
        .size:           2
        .value_kind:     hidden_group_size_x
      - .offset:         158
        .size:           2
        .value_kind:     hidden_group_size_y
      - .offset:         160
        .size:           2
        .value_kind:     hidden_group_size_z
      - .offset:         162
        .size:           2
        .value_kind:     hidden_remainder_x
      - .offset:         164
        .size:           2
        .value_kind:     hidden_remainder_y
      - .offset:         166
        .size:           2
        .value_kind:     hidden_remainder_z
      - .offset:         184
        .size:           8
        .value_kind:     hidden_global_offset_x
      - .offset:         192
        .size:           8
        .value_kind:     hidden_global_offset_y
      - .offset:         200
        .size:           8
        .value_kind:     hidden_global_offset_z
      - .offset:         208
        .size:           2
        .value_kind:     hidden_grid_dims
    .group_segment_fixed_size: 8192
    .kernarg_segment_align: 8
    .kernarg_segment_size: 400
    .language:       OpenCL C
    .language_version:
      - 2
      - 0
    .max_flat_workgroup_size: 256
    .name:           _Z39paged_attention_ll4mi_QKV_mfma16_kernelIDF16_hLN4vllm18Fp8KVCacheDataTypeE1EDF16_Li32ELi64ELi256ELb0ELi5EL8MFMAType0EEvPKT_PKT0_S8_ifPKiSA_SA_iPKfiiiPfSD_PS3_PT2_iSC_SC_
    .private_segment_fixed_size: 0
    .sgpr_count:     51
    .sgpr_spill_count: 0
    .symbol:         _Z39paged_attention_ll4mi_QKV_mfma16_kernelIDF16_hLN4vllm18Fp8KVCacheDataTypeE1EDF16_Li32ELi64ELi256ELb0ELi5EL8MFMAType0EEvPKT_PKT0_S8_ifPKiSA_SA_iPKfiiiPfSD_PS3_PT2_iSC_SC_.kd
    .uniform_work_group_size: 1
    .uses_dynamic_stack: false
    .vgpr_count:     62
    .vgpr_spill_count: 0
    .wavefront_size: 64
  - .agpr_count:     0
    .args:
      - .actual_access:  read_only
        .address_space:  global
        .offset:         0
        .size:           8
        .value_kind:     global_buffer
      - .actual_access:  read_only
        .address_space:  global
        .offset:         8
        .size:           8
        .value_kind:     global_buffer
      - .actual_access:  read_only
        .address_space:  global
        .offset:         16
        .size:           8
        .value_kind:     global_buffer
      - .offset:         24
        .size:           4
        .value_kind:     by_value
      - .offset:         28
        .size:           4
        .value_kind:     by_value
      - .actual_access:  read_only
        .address_space:  global
        .offset:         32
        .size:           8
        .value_kind:     global_buffer
      - .actual_access:  read_only
        .address_space:  global
        .offset:         40
        .size:           8
        .value_kind:     global_buffer
      - .actual_access:  read_only
        .address_space:  global
        .offset:         48
        .size:           8
        .value_kind:     global_buffer
      - .offset:         56
        .size:           4
        .value_kind:     by_value
      - .actual_access:  read_only
        .address_space:  global
        .offset:         64
        .size:           8
        .value_kind:     global_buffer
      - .offset:         72
        .size:           4
        .value_kind:     by_value
      - .offset:         76
        .size:           4
        .value_kind:     by_value
      - .offset:         80
        .size:           4
        .value_kind:     by_value
      - .actual_access:  write_only
        .address_space:  global
        .offset:         88
        .size:           8
        .value_kind:     global_buffer
      - .actual_access:  write_only
        .address_space:  global
        .offset:         96
        .size:           8
        .value_kind:     global_buffer
      - .actual_access:  write_only
        .address_space:  global
        .offset:         104
        .size:           8
        .value_kind:     global_buffer
      - .actual_access:  read_only
        .address_space:  global
        .offset:         112
        .size:           8
        .value_kind:     global_buffer
      - .offset:         120
        .size:           4
        .value_kind:     by_value
      - .address_space:  global
        .offset:         128
        .size:           8
        .value_kind:     global_buffer
      - .address_space:  global
        .offset:         136
        .size:           8
        .value_kind:     global_buffer
      - .offset:         144
        .size:           4
        .value_kind:     hidden_block_count_x
      - .offset:         148
        .size:           4
        .value_kind:     hidden_block_count_y
      - .offset:         152
        .size:           4
        .value_kind:     hidden_block_count_z
      - .offset:         156
        .size:           2
        .value_kind:     hidden_group_size_x
      - .offset:         158
        .size:           2
        .value_kind:     hidden_group_size_y
      - .offset:         160
        .size:           2
        .value_kind:     hidden_group_size_z
      - .offset:         162
        .size:           2
        .value_kind:     hidden_remainder_x
      - .offset:         164
        .size:           2
        .value_kind:     hidden_remainder_y
      - .offset:         166
        .size:           2
        .value_kind:     hidden_remainder_z
      - .offset:         184
        .size:           8
        .value_kind:     hidden_global_offset_x
      - .offset:         192
        .size:           8
        .value_kind:     hidden_global_offset_y
      - .offset:         200
        .size:           8
        .value_kind:     hidden_global_offset_z
      - .offset:         208
        .size:           2
        .value_kind:     hidden_grid_dims
    .group_segment_fixed_size: 8192
    .kernarg_segment_align: 8
    .kernarg_segment_size: 400
    .language:       OpenCL C
    .language_version:
      - 2
      - 0
    .max_flat_workgroup_size: 256
    .name:           _Z39paged_attention_ll4mi_QKV_mfma16_kernelIDF16_hLN4vllm18Fp8KVCacheDataTypeE1EDF16_Li32ELi64ELi256ELb0ELi6EL8MFMAType0EEvPKT_PKT0_S8_ifPKiSA_SA_iPKfiiiPfSD_PS3_PT2_iSC_SC_
    .private_segment_fixed_size: 0
    .sgpr_count:     51
    .sgpr_spill_count: 0
    .symbol:         _Z39paged_attention_ll4mi_QKV_mfma16_kernelIDF16_hLN4vllm18Fp8KVCacheDataTypeE1EDF16_Li32ELi64ELi256ELb0ELi6EL8MFMAType0EEvPKT_PKT0_S8_ifPKiSA_SA_iPKfiiiPfSD_PS3_PT2_iSC_SC_.kd
    .uniform_work_group_size: 1
    .uses_dynamic_stack: false
    .vgpr_count:     62
    .vgpr_spill_count: 0
    .wavefront_size: 64
  - .agpr_count:     0
    .args:
      - .actual_access:  read_only
        .address_space:  global
        .offset:         0
        .size:           8
        .value_kind:     global_buffer
      - .actual_access:  read_only
        .address_space:  global
        .offset:         8
        .size:           8
        .value_kind:     global_buffer
      - .actual_access:  read_only
        .address_space:  global
        .offset:         16
        .size:           8
        .value_kind:     global_buffer
      - .offset:         24
        .size:           4
        .value_kind:     by_value
      - .offset:         28
        .size:           4
        .value_kind:     by_value
      - .actual_access:  read_only
        .address_space:  global
        .offset:         32
        .size:           8
        .value_kind:     global_buffer
      - .actual_access:  read_only
        .address_space:  global
        .offset:         40
        .size:           8
        .value_kind:     global_buffer
      - .actual_access:  read_only
        .address_space:  global
        .offset:         48
        .size:           8
        .value_kind:     global_buffer
      - .offset:         56
        .size:           4
        .value_kind:     by_value
      - .actual_access:  read_only
        .address_space:  global
        .offset:         64
        .size:           8
        .value_kind:     global_buffer
      - .offset:         72
        .size:           4
        .value_kind:     by_value
      - .offset:         76
        .size:           4
        .value_kind:     by_value
      - .offset:         80
        .size:           4
        .value_kind:     by_value
      - .actual_access:  write_only
        .address_space:  global
        .offset:         88
        .size:           8
        .value_kind:     global_buffer
      - .actual_access:  write_only
        .address_space:  global
        .offset:         96
        .size:           8
        .value_kind:     global_buffer
      - .actual_access:  write_only
        .address_space:  global
        .offset:         104
        .size:           8
        .value_kind:     global_buffer
      - .actual_access:  read_only
        .address_space:  global
        .offset:         112
        .size:           8
        .value_kind:     global_buffer
      - .offset:         120
        .size:           4
        .value_kind:     by_value
      - .address_space:  global
        .offset:         128
        .size:           8
        .value_kind:     global_buffer
      - .address_space:  global
        .offset:         136
        .size:           8
        .value_kind:     global_buffer
      - .offset:         144
        .size:           4
        .value_kind:     hidden_block_count_x
      - .offset:         148
        .size:           4
        .value_kind:     hidden_block_count_y
      - .offset:         152
        .size:           4
        .value_kind:     hidden_block_count_z
      - .offset:         156
        .size:           2
        .value_kind:     hidden_group_size_x
      - .offset:         158
        .size:           2
        .value_kind:     hidden_group_size_y
      - .offset:         160
        .size:           2
        .value_kind:     hidden_group_size_z
      - .offset:         162
        .size:           2
        .value_kind:     hidden_remainder_x
      - .offset:         164
        .size:           2
        .value_kind:     hidden_remainder_y
      - .offset:         166
        .size:           2
        .value_kind:     hidden_remainder_z
      - .offset:         184
        .size:           8
        .value_kind:     hidden_global_offset_x
      - .offset:         192
        .size:           8
        .value_kind:     hidden_global_offset_y
      - .offset:         200
        .size:           8
        .value_kind:     hidden_global_offset_z
      - .offset:         208
        .size:           2
        .value_kind:     hidden_grid_dims
    .group_segment_fixed_size: 8192
    .kernarg_segment_align: 8
    .kernarg_segment_size: 400
    .language:       OpenCL C
    .language_version:
      - 2
      - 0
    .max_flat_workgroup_size: 256
    .name:           _Z39paged_attention_ll4mi_QKV_mfma16_kernelIDF16_hLN4vllm18Fp8KVCacheDataTypeE1EDF16_Li32ELi64ELi256ELb0ELi7EL8MFMAType0EEvPKT_PKT0_S8_ifPKiSA_SA_iPKfiiiPfSD_PS3_PT2_iSC_SC_
    .private_segment_fixed_size: 0
    .sgpr_count:     51
    .sgpr_spill_count: 0
    .symbol:         _Z39paged_attention_ll4mi_QKV_mfma16_kernelIDF16_hLN4vllm18Fp8KVCacheDataTypeE1EDF16_Li32ELi64ELi256ELb0ELi7EL8MFMAType0EEvPKT_PKT0_S8_ifPKiSA_SA_iPKfiiiPfSD_PS3_PT2_iSC_SC_.kd
    .uniform_work_group_size: 1
    .uses_dynamic_stack: false
    .vgpr_count:     62
    .vgpr_spill_count: 0
    .wavefront_size: 64
  - .agpr_count:     0
    .args:
      - .actual_access:  read_only
        .address_space:  global
        .offset:         0
        .size:           8
        .value_kind:     global_buffer
      - .actual_access:  read_only
        .address_space:  global
        .offset:         8
        .size:           8
        .value_kind:     global_buffer
      - .actual_access:  read_only
        .address_space:  global
        .offset:         16
        .size:           8
        .value_kind:     global_buffer
      - .offset:         24
        .size:           4
        .value_kind:     by_value
      - .offset:         28
        .size:           4
        .value_kind:     by_value
      - .actual_access:  read_only
        .address_space:  global
        .offset:         32
        .size:           8
        .value_kind:     global_buffer
      - .actual_access:  read_only
        .address_space:  global
        .offset:         40
        .size:           8
        .value_kind:     global_buffer
      - .actual_access:  read_only
        .address_space:  global
        .offset:         48
        .size:           8
        .value_kind:     global_buffer
      - .offset:         56
        .size:           4
        .value_kind:     by_value
      - .actual_access:  read_only
        .address_space:  global
        .offset:         64
        .size:           8
        .value_kind:     global_buffer
      - .offset:         72
        .size:           4
        .value_kind:     by_value
      - .offset:         76
        .size:           4
        .value_kind:     by_value
      - .offset:         80
        .size:           4
        .value_kind:     by_value
      - .actual_access:  write_only
        .address_space:  global
        .offset:         88
        .size:           8
        .value_kind:     global_buffer
      - .actual_access:  write_only
        .address_space:  global
        .offset:         96
        .size:           8
        .value_kind:     global_buffer
      - .actual_access:  write_only
        .address_space:  global
        .offset:         104
        .size:           8
        .value_kind:     global_buffer
      - .actual_access:  read_only
        .address_space:  global
        .offset:         112
        .size:           8
        .value_kind:     global_buffer
      - .offset:         120
        .size:           4
        .value_kind:     by_value
      - .address_space:  global
        .offset:         128
        .size:           8
        .value_kind:     global_buffer
      - .address_space:  global
        .offset:         136
        .size:           8
        .value_kind:     global_buffer
      - .offset:         144
        .size:           4
        .value_kind:     hidden_block_count_x
      - .offset:         148
        .size:           4
        .value_kind:     hidden_block_count_y
      - .offset:         152
        .size:           4
        .value_kind:     hidden_block_count_z
      - .offset:         156
        .size:           2
        .value_kind:     hidden_group_size_x
      - .offset:         158
        .size:           2
        .value_kind:     hidden_group_size_y
      - .offset:         160
        .size:           2
        .value_kind:     hidden_group_size_z
      - .offset:         162
        .size:           2
        .value_kind:     hidden_remainder_x
      - .offset:         164
        .size:           2
        .value_kind:     hidden_remainder_y
      - .offset:         166
        .size:           2
        .value_kind:     hidden_remainder_z
      - .offset:         184
        .size:           8
        .value_kind:     hidden_global_offset_x
      - .offset:         192
        .size:           8
        .value_kind:     hidden_global_offset_y
      - .offset:         200
        .size:           8
        .value_kind:     hidden_global_offset_z
      - .offset:         208
        .size:           2
        .value_kind:     hidden_grid_dims
    .group_segment_fixed_size: 8192
    .kernarg_segment_align: 8
    .kernarg_segment_size: 400
    .language:       OpenCL C
    .language_version:
      - 2
      - 0
    .max_flat_workgroup_size: 256
    .name:           _Z39paged_attention_ll4mi_QKV_mfma16_kernelIDF16_hLN4vllm18Fp8KVCacheDataTypeE1EDF16_Li32ELi64ELi256ELb0ELi8EL8MFMAType0EEvPKT_PKT0_S8_ifPKiSA_SA_iPKfiiiPfSD_PS3_PT2_iSC_SC_
    .private_segment_fixed_size: 0
    .sgpr_count:     51
    .sgpr_spill_count: 0
    .symbol:         _Z39paged_attention_ll4mi_QKV_mfma16_kernelIDF16_hLN4vllm18Fp8KVCacheDataTypeE1EDF16_Li32ELi64ELi256ELb0ELi8EL8MFMAType0EEvPKT_PKT0_S8_ifPKiSA_SA_iPKfiiiPfSD_PS3_PT2_iSC_SC_.kd
    .uniform_work_group_size: 1
    .uses_dynamic_stack: false
    .vgpr_count:     62
    .vgpr_spill_count: 0
    .wavefront_size: 64
  - .agpr_count:     0
    .args:
      - .actual_access:  read_only
        .address_space:  global
        .offset:         0
        .size:           8
        .value_kind:     global_buffer
      - .actual_access:  read_only
        .address_space:  global
        .offset:         8
        .size:           8
        .value_kind:     global_buffer
      - .actual_access:  read_only
        .address_space:  global
        .offset:         16
        .size:           8
        .value_kind:     global_buffer
      - .offset:         24
        .size:           4
        .value_kind:     by_value
      - .offset:         28
        .size:           4
        .value_kind:     by_value
      - .actual_access:  read_only
        .address_space:  global
        .offset:         32
        .size:           8
        .value_kind:     global_buffer
      - .actual_access:  read_only
        .address_space:  global
        .offset:         40
        .size:           8
        .value_kind:     global_buffer
      - .actual_access:  read_only
        .address_space:  global
        .offset:         48
        .size:           8
        .value_kind:     global_buffer
      - .offset:         56
        .size:           4
        .value_kind:     by_value
      - .actual_access:  read_only
        .address_space:  global
        .offset:         64
        .size:           8
        .value_kind:     global_buffer
      - .offset:         72
        .size:           4
        .value_kind:     by_value
      - .offset:         76
        .size:           4
        .value_kind:     by_value
      - .offset:         80
        .size:           4
        .value_kind:     by_value
      - .actual_access:  write_only
        .address_space:  global
        .offset:         88
        .size:           8
        .value_kind:     global_buffer
      - .actual_access:  write_only
        .address_space:  global
        .offset:         96
        .size:           8
        .value_kind:     global_buffer
      - .actual_access:  write_only
        .address_space:  global
        .offset:         104
        .size:           8
        .value_kind:     global_buffer
      - .actual_access:  read_only
        .address_space:  global
        .offset:         112
        .size:           8
        .value_kind:     global_buffer
      - .offset:         120
        .size:           4
        .value_kind:     by_value
      - .address_space:  global
        .offset:         128
        .size:           8
        .value_kind:     global_buffer
      - .address_space:  global
        .offset:         136
        .size:           8
        .value_kind:     global_buffer
      - .offset:         144
        .size:           4
        .value_kind:     hidden_block_count_x
      - .offset:         148
        .size:           4
        .value_kind:     hidden_block_count_y
      - .offset:         152
        .size:           4
        .value_kind:     hidden_block_count_z
      - .offset:         156
        .size:           2
        .value_kind:     hidden_group_size_x
      - .offset:         158
        .size:           2
        .value_kind:     hidden_group_size_y
      - .offset:         160
        .size:           2
        .value_kind:     hidden_group_size_z
      - .offset:         162
        .size:           2
        .value_kind:     hidden_remainder_x
      - .offset:         164
        .size:           2
        .value_kind:     hidden_remainder_y
      - .offset:         166
        .size:           2
        .value_kind:     hidden_remainder_z
      - .offset:         184
        .size:           8
        .value_kind:     hidden_global_offset_x
      - .offset:         192
        .size:           8
        .value_kind:     hidden_global_offset_y
      - .offset:         200
        .size:           8
        .value_kind:     hidden_global_offset_z
      - .offset:         208
        .size:           2
        .value_kind:     hidden_grid_dims
    .group_segment_fixed_size: 8192
    .kernarg_segment_align: 8
    .kernarg_segment_size: 400
    .language:       OpenCL C
    .language_version:
      - 2
      - 0
    .max_flat_workgroup_size: 256
    .name:           _Z39paged_attention_ll4mi_QKV_mfma16_kernelIDF16_hLN4vllm18Fp8KVCacheDataTypeE1EDF16_Li32ELi64ELi256ELb0ELi9EL8MFMAType0EEvPKT_PKT0_S8_ifPKiSA_SA_iPKfiiiPfSD_PS3_PT2_iSC_SC_
    .private_segment_fixed_size: 0
    .sgpr_count:     51
    .sgpr_spill_count: 0
    .symbol:         _Z39paged_attention_ll4mi_QKV_mfma16_kernelIDF16_hLN4vllm18Fp8KVCacheDataTypeE1EDF16_Li32ELi64ELi256ELb0ELi9EL8MFMAType0EEvPKT_PKT0_S8_ifPKiSA_SA_iPKfiiiPfSD_PS3_PT2_iSC_SC_.kd
    .uniform_work_group_size: 1
    .uses_dynamic_stack: false
    .vgpr_count:     62
    .vgpr_spill_count: 0
    .wavefront_size: 64
  - .agpr_count:     0
    .args:
      - .actual_access:  read_only
        .address_space:  global
        .offset:         0
        .size:           8
        .value_kind:     global_buffer
      - .actual_access:  read_only
        .address_space:  global
        .offset:         8
        .size:           8
        .value_kind:     global_buffer
      - .actual_access:  read_only
        .address_space:  global
        .offset:         16
        .size:           8
        .value_kind:     global_buffer
      - .offset:         24
        .size:           4
        .value_kind:     by_value
      - .offset:         28
        .size:           4
        .value_kind:     by_value
      - .actual_access:  read_only
        .address_space:  global
        .offset:         32
        .size:           8
        .value_kind:     global_buffer
      - .actual_access:  read_only
        .address_space:  global
        .offset:         40
        .size:           8
        .value_kind:     global_buffer
      - .actual_access:  read_only
        .address_space:  global
        .offset:         48
        .size:           8
        .value_kind:     global_buffer
      - .offset:         56
        .size:           4
        .value_kind:     by_value
      - .actual_access:  read_only
        .address_space:  global
        .offset:         64
        .size:           8
        .value_kind:     global_buffer
      - .offset:         72
        .size:           4
        .value_kind:     by_value
      - .offset:         76
        .size:           4
        .value_kind:     by_value
      - .offset:         80
        .size:           4
        .value_kind:     by_value
      - .actual_access:  write_only
        .address_space:  global
        .offset:         88
        .size:           8
        .value_kind:     global_buffer
      - .actual_access:  write_only
        .address_space:  global
        .offset:         96
        .size:           8
        .value_kind:     global_buffer
      - .actual_access:  write_only
        .address_space:  global
        .offset:         104
        .size:           8
        .value_kind:     global_buffer
      - .actual_access:  read_only
        .address_space:  global
        .offset:         112
        .size:           8
        .value_kind:     global_buffer
      - .offset:         120
        .size:           4
        .value_kind:     by_value
      - .address_space:  global
        .offset:         128
        .size:           8
        .value_kind:     global_buffer
      - .address_space:  global
        .offset:         136
        .size:           8
        .value_kind:     global_buffer
      - .offset:         144
        .size:           4
        .value_kind:     hidden_block_count_x
      - .offset:         148
        .size:           4
        .value_kind:     hidden_block_count_y
      - .offset:         152
        .size:           4
        .value_kind:     hidden_block_count_z
      - .offset:         156
        .size:           2
        .value_kind:     hidden_group_size_x
      - .offset:         158
        .size:           2
        .value_kind:     hidden_group_size_y
      - .offset:         160
        .size:           2
        .value_kind:     hidden_group_size_z
      - .offset:         162
        .size:           2
        .value_kind:     hidden_remainder_x
      - .offset:         164
        .size:           2
        .value_kind:     hidden_remainder_y
      - .offset:         166
        .size:           2
        .value_kind:     hidden_remainder_z
      - .offset:         184
        .size:           8
        .value_kind:     hidden_global_offset_x
      - .offset:         192
        .size:           8
        .value_kind:     hidden_global_offset_y
      - .offset:         200
        .size:           8
        .value_kind:     hidden_global_offset_z
      - .offset:         208
        .size:           2
        .value_kind:     hidden_grid_dims
    .group_segment_fixed_size: 8192
    .kernarg_segment_align: 8
    .kernarg_segment_size: 400
    .language:       OpenCL C
    .language_version:
      - 2
      - 0
    .max_flat_workgroup_size: 256
    .name:           _Z39paged_attention_ll4mi_QKV_mfma16_kernelIDF16_hLN4vllm18Fp8KVCacheDataTypeE1EDF16_Li32ELi64ELi256ELb0ELi10EL8MFMAType0EEvPKT_PKT0_S8_ifPKiSA_SA_iPKfiiiPfSD_PS3_PT2_iSC_SC_
    .private_segment_fixed_size: 0
    .sgpr_count:     51
    .sgpr_spill_count: 0
    .symbol:         _Z39paged_attention_ll4mi_QKV_mfma16_kernelIDF16_hLN4vllm18Fp8KVCacheDataTypeE1EDF16_Li32ELi64ELi256ELb0ELi10EL8MFMAType0EEvPKT_PKT0_S8_ifPKiSA_SA_iPKfiiiPfSD_PS3_PT2_iSC_SC_.kd
    .uniform_work_group_size: 1
    .uses_dynamic_stack: false
    .vgpr_count:     62
    .vgpr_spill_count: 0
    .wavefront_size: 64
  - .agpr_count:     0
    .args:
      - .actual_access:  read_only
        .address_space:  global
        .offset:         0
        .size:           8
        .value_kind:     global_buffer
      - .actual_access:  read_only
        .address_space:  global
        .offset:         8
        .size:           8
        .value_kind:     global_buffer
      - .actual_access:  read_only
        .address_space:  global
        .offset:         16
        .size:           8
        .value_kind:     global_buffer
      - .offset:         24
        .size:           4
        .value_kind:     by_value
      - .offset:         28
        .size:           4
        .value_kind:     by_value
      - .actual_access:  read_only
        .address_space:  global
        .offset:         32
        .size:           8
        .value_kind:     global_buffer
      - .actual_access:  read_only
        .address_space:  global
        .offset:         40
        .size:           8
        .value_kind:     global_buffer
      - .actual_access:  read_only
        .address_space:  global
        .offset:         48
        .size:           8
        .value_kind:     global_buffer
      - .offset:         56
        .size:           4
        .value_kind:     by_value
      - .actual_access:  read_only
        .address_space:  global
        .offset:         64
        .size:           8
        .value_kind:     global_buffer
      - .offset:         72
        .size:           4
        .value_kind:     by_value
      - .offset:         76
        .size:           4
        .value_kind:     by_value
      - .offset:         80
        .size:           4
        .value_kind:     by_value
      - .actual_access:  write_only
        .address_space:  global
        .offset:         88
        .size:           8
        .value_kind:     global_buffer
      - .actual_access:  write_only
        .address_space:  global
        .offset:         96
        .size:           8
        .value_kind:     global_buffer
      - .actual_access:  write_only
        .address_space:  global
        .offset:         104
        .size:           8
        .value_kind:     global_buffer
      - .actual_access:  read_only
        .address_space:  global
        .offset:         112
        .size:           8
        .value_kind:     global_buffer
      - .offset:         120
        .size:           4
        .value_kind:     by_value
      - .address_space:  global
        .offset:         128
        .size:           8
        .value_kind:     global_buffer
      - .address_space:  global
        .offset:         136
        .size:           8
        .value_kind:     global_buffer
      - .offset:         144
        .size:           4
        .value_kind:     hidden_block_count_x
      - .offset:         148
        .size:           4
        .value_kind:     hidden_block_count_y
      - .offset:         152
        .size:           4
        .value_kind:     hidden_block_count_z
      - .offset:         156
        .size:           2
        .value_kind:     hidden_group_size_x
      - .offset:         158
        .size:           2
        .value_kind:     hidden_group_size_y
      - .offset:         160
        .size:           2
        .value_kind:     hidden_group_size_z
      - .offset:         162
        .size:           2
        .value_kind:     hidden_remainder_x
      - .offset:         164
        .size:           2
        .value_kind:     hidden_remainder_y
      - .offset:         166
        .size:           2
        .value_kind:     hidden_remainder_z
      - .offset:         184
        .size:           8
        .value_kind:     hidden_global_offset_x
      - .offset:         192
        .size:           8
        .value_kind:     hidden_global_offset_y
      - .offset:         200
        .size:           8
        .value_kind:     hidden_global_offset_z
      - .offset:         208
        .size:           2
        .value_kind:     hidden_grid_dims
    .group_segment_fixed_size: 8192
    .kernarg_segment_align: 8
    .kernarg_segment_size: 400
    .language:       OpenCL C
    .language_version:
      - 2
      - 0
    .max_flat_workgroup_size: 256
    .name:           _Z39paged_attention_ll4mi_QKV_mfma16_kernelIDF16_hLN4vllm18Fp8KVCacheDataTypeE1EDF16_Li32ELi64ELi256ELb0ELi11EL8MFMAType0EEvPKT_PKT0_S8_ifPKiSA_SA_iPKfiiiPfSD_PS3_PT2_iSC_SC_
    .private_segment_fixed_size: 0
    .sgpr_count:     51
    .sgpr_spill_count: 0
    .symbol:         _Z39paged_attention_ll4mi_QKV_mfma16_kernelIDF16_hLN4vllm18Fp8KVCacheDataTypeE1EDF16_Li32ELi64ELi256ELb0ELi11EL8MFMAType0EEvPKT_PKT0_S8_ifPKiSA_SA_iPKfiiiPfSD_PS3_PT2_iSC_SC_.kd
    .uniform_work_group_size: 1
    .uses_dynamic_stack: false
    .vgpr_count:     62
    .vgpr_spill_count: 0
    .wavefront_size: 64
  - .agpr_count:     0
    .args:
      - .actual_access:  read_only
        .address_space:  global
        .offset:         0
        .size:           8
        .value_kind:     global_buffer
      - .actual_access:  read_only
        .address_space:  global
        .offset:         8
        .size:           8
        .value_kind:     global_buffer
      - .actual_access:  read_only
        .address_space:  global
        .offset:         16
        .size:           8
        .value_kind:     global_buffer
      - .offset:         24
        .size:           4
        .value_kind:     by_value
      - .offset:         28
        .size:           4
        .value_kind:     by_value
      - .actual_access:  read_only
        .address_space:  global
        .offset:         32
        .size:           8
        .value_kind:     global_buffer
      - .actual_access:  read_only
        .address_space:  global
        .offset:         40
        .size:           8
        .value_kind:     global_buffer
      - .actual_access:  read_only
        .address_space:  global
        .offset:         48
        .size:           8
        .value_kind:     global_buffer
      - .offset:         56
        .size:           4
        .value_kind:     by_value
      - .actual_access:  read_only
        .address_space:  global
        .offset:         64
        .size:           8
        .value_kind:     global_buffer
      - .offset:         72
        .size:           4
        .value_kind:     by_value
      - .offset:         76
        .size:           4
        .value_kind:     by_value
      - .offset:         80
        .size:           4
        .value_kind:     by_value
      - .actual_access:  write_only
        .address_space:  global
        .offset:         88
        .size:           8
        .value_kind:     global_buffer
      - .actual_access:  write_only
        .address_space:  global
        .offset:         96
        .size:           8
        .value_kind:     global_buffer
      - .actual_access:  write_only
        .address_space:  global
        .offset:         104
        .size:           8
        .value_kind:     global_buffer
      - .actual_access:  read_only
        .address_space:  global
        .offset:         112
        .size:           8
        .value_kind:     global_buffer
      - .offset:         120
        .size:           4
        .value_kind:     by_value
      - .address_space:  global
        .offset:         128
        .size:           8
        .value_kind:     global_buffer
      - .address_space:  global
        .offset:         136
        .size:           8
        .value_kind:     global_buffer
      - .offset:         144
        .size:           4
        .value_kind:     hidden_block_count_x
      - .offset:         148
        .size:           4
        .value_kind:     hidden_block_count_y
      - .offset:         152
        .size:           4
        .value_kind:     hidden_block_count_z
      - .offset:         156
        .size:           2
        .value_kind:     hidden_group_size_x
      - .offset:         158
        .size:           2
        .value_kind:     hidden_group_size_y
      - .offset:         160
        .size:           2
        .value_kind:     hidden_group_size_z
      - .offset:         162
        .size:           2
        .value_kind:     hidden_remainder_x
      - .offset:         164
        .size:           2
        .value_kind:     hidden_remainder_y
      - .offset:         166
        .size:           2
        .value_kind:     hidden_remainder_z
      - .offset:         184
        .size:           8
        .value_kind:     hidden_global_offset_x
      - .offset:         192
        .size:           8
        .value_kind:     hidden_global_offset_y
      - .offset:         200
        .size:           8
        .value_kind:     hidden_global_offset_z
      - .offset:         208
        .size:           2
        .value_kind:     hidden_grid_dims
    .group_segment_fixed_size: 8192
    .kernarg_segment_align: 8
    .kernarg_segment_size: 400
    .language:       OpenCL C
    .language_version:
      - 2
      - 0
    .max_flat_workgroup_size: 256
    .name:           _Z39paged_attention_ll4mi_QKV_mfma16_kernelIDF16_hLN4vllm18Fp8KVCacheDataTypeE1EDF16_Li32ELi64ELi256ELb0ELi12EL8MFMAType0EEvPKT_PKT0_S8_ifPKiSA_SA_iPKfiiiPfSD_PS3_PT2_iSC_SC_
    .private_segment_fixed_size: 0
    .sgpr_count:     51
    .sgpr_spill_count: 0
    .symbol:         _Z39paged_attention_ll4mi_QKV_mfma16_kernelIDF16_hLN4vllm18Fp8KVCacheDataTypeE1EDF16_Li32ELi64ELi256ELb0ELi12EL8MFMAType0EEvPKT_PKT0_S8_ifPKiSA_SA_iPKfiiiPfSD_PS3_PT2_iSC_SC_.kd
    .uniform_work_group_size: 1
    .uses_dynamic_stack: false
    .vgpr_count:     62
    .vgpr_spill_count: 0
    .wavefront_size: 64
  - .agpr_count:     0
    .args:
      - .actual_access:  read_only
        .address_space:  global
        .offset:         0
        .size:           8
        .value_kind:     global_buffer
      - .actual_access:  read_only
        .address_space:  global
        .offset:         8
        .size:           8
        .value_kind:     global_buffer
      - .actual_access:  read_only
        .address_space:  global
        .offset:         16
        .size:           8
        .value_kind:     global_buffer
      - .offset:         24
        .size:           4
        .value_kind:     by_value
      - .offset:         28
        .size:           4
        .value_kind:     by_value
      - .actual_access:  read_only
        .address_space:  global
        .offset:         32
        .size:           8
        .value_kind:     global_buffer
      - .actual_access:  read_only
        .address_space:  global
        .offset:         40
        .size:           8
        .value_kind:     global_buffer
      - .actual_access:  read_only
        .address_space:  global
        .offset:         48
        .size:           8
        .value_kind:     global_buffer
      - .offset:         56
        .size:           4
        .value_kind:     by_value
      - .actual_access:  read_only
        .address_space:  global
        .offset:         64
        .size:           8
        .value_kind:     global_buffer
      - .offset:         72
        .size:           4
        .value_kind:     by_value
      - .offset:         76
        .size:           4
        .value_kind:     by_value
      - .offset:         80
        .size:           4
        .value_kind:     by_value
      - .actual_access:  write_only
        .address_space:  global
        .offset:         88
        .size:           8
        .value_kind:     global_buffer
      - .actual_access:  write_only
        .address_space:  global
        .offset:         96
        .size:           8
        .value_kind:     global_buffer
      - .actual_access:  write_only
        .address_space:  global
        .offset:         104
        .size:           8
        .value_kind:     global_buffer
      - .actual_access:  read_only
        .address_space:  global
        .offset:         112
        .size:           8
        .value_kind:     global_buffer
      - .offset:         120
        .size:           4
        .value_kind:     by_value
      - .address_space:  global
        .offset:         128
        .size:           8
        .value_kind:     global_buffer
      - .address_space:  global
        .offset:         136
        .size:           8
        .value_kind:     global_buffer
      - .offset:         144
        .size:           4
        .value_kind:     hidden_block_count_x
      - .offset:         148
        .size:           4
        .value_kind:     hidden_block_count_y
      - .offset:         152
        .size:           4
        .value_kind:     hidden_block_count_z
      - .offset:         156
        .size:           2
        .value_kind:     hidden_group_size_x
      - .offset:         158
        .size:           2
        .value_kind:     hidden_group_size_y
      - .offset:         160
        .size:           2
        .value_kind:     hidden_group_size_z
      - .offset:         162
        .size:           2
        .value_kind:     hidden_remainder_x
      - .offset:         164
        .size:           2
        .value_kind:     hidden_remainder_y
      - .offset:         166
        .size:           2
        .value_kind:     hidden_remainder_z
      - .offset:         184
        .size:           8
        .value_kind:     hidden_global_offset_x
      - .offset:         192
        .size:           8
        .value_kind:     hidden_global_offset_y
      - .offset:         200
        .size:           8
        .value_kind:     hidden_global_offset_z
      - .offset:         208
        .size:           2
        .value_kind:     hidden_grid_dims
    .group_segment_fixed_size: 8192
    .kernarg_segment_align: 8
    .kernarg_segment_size: 400
    .language:       OpenCL C
    .language_version:
      - 2
      - 0
    .max_flat_workgroup_size: 256
    .name:           _Z39paged_attention_ll4mi_QKV_mfma16_kernelIDF16_hLN4vllm18Fp8KVCacheDataTypeE1EDF16_Li32ELi64ELi256ELb0ELi13EL8MFMAType0EEvPKT_PKT0_S8_ifPKiSA_SA_iPKfiiiPfSD_PS3_PT2_iSC_SC_
    .private_segment_fixed_size: 0
    .sgpr_count:     51
    .sgpr_spill_count: 0
    .symbol:         _Z39paged_attention_ll4mi_QKV_mfma16_kernelIDF16_hLN4vllm18Fp8KVCacheDataTypeE1EDF16_Li32ELi64ELi256ELb0ELi13EL8MFMAType0EEvPKT_PKT0_S8_ifPKiSA_SA_iPKfiiiPfSD_PS3_PT2_iSC_SC_.kd
    .uniform_work_group_size: 1
    .uses_dynamic_stack: false
    .vgpr_count:     62
    .vgpr_spill_count: 0
    .wavefront_size: 64
  - .agpr_count:     0
    .args:
      - .actual_access:  read_only
        .address_space:  global
        .offset:         0
        .size:           8
        .value_kind:     global_buffer
      - .actual_access:  read_only
        .address_space:  global
        .offset:         8
        .size:           8
        .value_kind:     global_buffer
      - .actual_access:  read_only
        .address_space:  global
        .offset:         16
        .size:           8
        .value_kind:     global_buffer
      - .offset:         24
        .size:           4
        .value_kind:     by_value
      - .offset:         28
        .size:           4
        .value_kind:     by_value
      - .actual_access:  read_only
        .address_space:  global
        .offset:         32
        .size:           8
        .value_kind:     global_buffer
      - .actual_access:  read_only
        .address_space:  global
        .offset:         40
        .size:           8
        .value_kind:     global_buffer
      - .actual_access:  read_only
        .address_space:  global
        .offset:         48
        .size:           8
        .value_kind:     global_buffer
      - .offset:         56
        .size:           4
        .value_kind:     by_value
      - .actual_access:  read_only
        .address_space:  global
        .offset:         64
        .size:           8
        .value_kind:     global_buffer
      - .offset:         72
        .size:           4
        .value_kind:     by_value
      - .offset:         76
        .size:           4
        .value_kind:     by_value
      - .offset:         80
        .size:           4
        .value_kind:     by_value
      - .actual_access:  write_only
        .address_space:  global
        .offset:         88
        .size:           8
        .value_kind:     global_buffer
      - .actual_access:  write_only
        .address_space:  global
        .offset:         96
        .size:           8
        .value_kind:     global_buffer
      - .actual_access:  write_only
        .address_space:  global
        .offset:         104
        .size:           8
        .value_kind:     global_buffer
      - .actual_access:  read_only
        .address_space:  global
        .offset:         112
        .size:           8
        .value_kind:     global_buffer
      - .offset:         120
        .size:           4
        .value_kind:     by_value
      - .address_space:  global
        .offset:         128
        .size:           8
        .value_kind:     global_buffer
      - .address_space:  global
        .offset:         136
        .size:           8
        .value_kind:     global_buffer
      - .offset:         144
        .size:           4
        .value_kind:     hidden_block_count_x
      - .offset:         148
        .size:           4
        .value_kind:     hidden_block_count_y
      - .offset:         152
        .size:           4
        .value_kind:     hidden_block_count_z
      - .offset:         156
        .size:           2
        .value_kind:     hidden_group_size_x
      - .offset:         158
        .size:           2
        .value_kind:     hidden_group_size_y
      - .offset:         160
        .size:           2
        .value_kind:     hidden_group_size_z
      - .offset:         162
        .size:           2
        .value_kind:     hidden_remainder_x
      - .offset:         164
        .size:           2
        .value_kind:     hidden_remainder_y
      - .offset:         166
        .size:           2
        .value_kind:     hidden_remainder_z
      - .offset:         184
        .size:           8
        .value_kind:     hidden_global_offset_x
      - .offset:         192
        .size:           8
        .value_kind:     hidden_global_offset_y
      - .offset:         200
        .size:           8
        .value_kind:     hidden_global_offset_z
      - .offset:         208
        .size:           2
        .value_kind:     hidden_grid_dims
    .group_segment_fixed_size: 8192
    .kernarg_segment_align: 8
    .kernarg_segment_size: 400
    .language:       OpenCL C
    .language_version:
      - 2
      - 0
    .max_flat_workgroup_size: 256
    .name:           _Z39paged_attention_ll4mi_QKV_mfma16_kernelIDF16_hLN4vllm18Fp8KVCacheDataTypeE1EDF16_Li32ELi64ELi256ELb0ELi14EL8MFMAType0EEvPKT_PKT0_S8_ifPKiSA_SA_iPKfiiiPfSD_PS3_PT2_iSC_SC_
    .private_segment_fixed_size: 0
    .sgpr_count:     51
    .sgpr_spill_count: 0
    .symbol:         _Z39paged_attention_ll4mi_QKV_mfma16_kernelIDF16_hLN4vllm18Fp8KVCacheDataTypeE1EDF16_Li32ELi64ELi256ELb0ELi14EL8MFMAType0EEvPKT_PKT0_S8_ifPKiSA_SA_iPKfiiiPfSD_PS3_PT2_iSC_SC_.kd
    .uniform_work_group_size: 1
    .uses_dynamic_stack: false
    .vgpr_count:     62
    .vgpr_spill_count: 0
    .wavefront_size: 64
  - .agpr_count:     0
    .args:
      - .actual_access:  read_only
        .address_space:  global
        .offset:         0
        .size:           8
        .value_kind:     global_buffer
      - .actual_access:  read_only
        .address_space:  global
        .offset:         8
        .size:           8
        .value_kind:     global_buffer
      - .actual_access:  read_only
        .address_space:  global
        .offset:         16
        .size:           8
        .value_kind:     global_buffer
      - .offset:         24
        .size:           4
        .value_kind:     by_value
      - .offset:         28
        .size:           4
        .value_kind:     by_value
      - .actual_access:  read_only
        .address_space:  global
        .offset:         32
        .size:           8
        .value_kind:     global_buffer
      - .actual_access:  read_only
        .address_space:  global
        .offset:         40
        .size:           8
        .value_kind:     global_buffer
      - .actual_access:  read_only
        .address_space:  global
        .offset:         48
        .size:           8
        .value_kind:     global_buffer
      - .offset:         56
        .size:           4
        .value_kind:     by_value
      - .actual_access:  read_only
        .address_space:  global
        .offset:         64
        .size:           8
        .value_kind:     global_buffer
      - .offset:         72
        .size:           4
        .value_kind:     by_value
      - .offset:         76
        .size:           4
        .value_kind:     by_value
      - .offset:         80
        .size:           4
        .value_kind:     by_value
      - .actual_access:  write_only
        .address_space:  global
        .offset:         88
        .size:           8
        .value_kind:     global_buffer
      - .actual_access:  write_only
        .address_space:  global
        .offset:         96
        .size:           8
        .value_kind:     global_buffer
      - .actual_access:  write_only
        .address_space:  global
        .offset:         104
        .size:           8
        .value_kind:     global_buffer
      - .actual_access:  read_only
        .address_space:  global
        .offset:         112
        .size:           8
        .value_kind:     global_buffer
      - .offset:         120
        .size:           4
        .value_kind:     by_value
      - .address_space:  global
        .offset:         128
        .size:           8
        .value_kind:     global_buffer
      - .address_space:  global
        .offset:         136
        .size:           8
        .value_kind:     global_buffer
      - .offset:         144
        .size:           4
        .value_kind:     hidden_block_count_x
      - .offset:         148
        .size:           4
        .value_kind:     hidden_block_count_y
      - .offset:         152
        .size:           4
        .value_kind:     hidden_block_count_z
      - .offset:         156
        .size:           2
        .value_kind:     hidden_group_size_x
      - .offset:         158
        .size:           2
        .value_kind:     hidden_group_size_y
      - .offset:         160
        .size:           2
        .value_kind:     hidden_group_size_z
      - .offset:         162
        .size:           2
        .value_kind:     hidden_remainder_x
      - .offset:         164
        .size:           2
        .value_kind:     hidden_remainder_y
      - .offset:         166
        .size:           2
        .value_kind:     hidden_remainder_z
      - .offset:         184
        .size:           8
        .value_kind:     hidden_global_offset_x
      - .offset:         192
        .size:           8
        .value_kind:     hidden_global_offset_y
      - .offset:         200
        .size:           8
        .value_kind:     hidden_global_offset_z
      - .offset:         208
        .size:           2
        .value_kind:     hidden_grid_dims
    .group_segment_fixed_size: 8192
    .kernarg_segment_align: 8
    .kernarg_segment_size: 400
    .language:       OpenCL C
    .language_version:
      - 2
      - 0
    .max_flat_workgroup_size: 256
    .name:           _Z39paged_attention_ll4mi_QKV_mfma16_kernelIDF16_hLN4vllm18Fp8KVCacheDataTypeE1EDF16_Li32ELi64ELi256ELb0ELi15EL8MFMAType0EEvPKT_PKT0_S8_ifPKiSA_SA_iPKfiiiPfSD_PS3_PT2_iSC_SC_
    .private_segment_fixed_size: 0
    .sgpr_count:     51
    .sgpr_spill_count: 0
    .symbol:         _Z39paged_attention_ll4mi_QKV_mfma16_kernelIDF16_hLN4vllm18Fp8KVCacheDataTypeE1EDF16_Li32ELi64ELi256ELb0ELi15EL8MFMAType0EEvPKT_PKT0_S8_ifPKiSA_SA_iPKfiiiPfSD_PS3_PT2_iSC_SC_.kd
    .uniform_work_group_size: 1
    .uses_dynamic_stack: false
    .vgpr_count:     62
    .vgpr_spill_count: 0
    .wavefront_size: 64
  - .agpr_count:     0
    .args:
      - .actual_access:  read_only
        .address_space:  global
        .offset:         0
        .size:           8
        .value_kind:     global_buffer
      - .actual_access:  read_only
        .address_space:  global
        .offset:         8
        .size:           8
        .value_kind:     global_buffer
      - .actual_access:  read_only
        .address_space:  global
        .offset:         16
        .size:           8
        .value_kind:     global_buffer
      - .offset:         24
        .size:           4
        .value_kind:     by_value
      - .offset:         28
        .size:           4
        .value_kind:     by_value
      - .actual_access:  read_only
        .address_space:  global
        .offset:         32
        .size:           8
        .value_kind:     global_buffer
      - .actual_access:  read_only
        .address_space:  global
        .offset:         40
        .size:           8
        .value_kind:     global_buffer
      - .actual_access:  read_only
        .address_space:  global
        .offset:         48
        .size:           8
        .value_kind:     global_buffer
      - .offset:         56
        .size:           4
        .value_kind:     by_value
      - .actual_access:  read_only
        .address_space:  global
        .offset:         64
        .size:           8
        .value_kind:     global_buffer
      - .offset:         72
        .size:           4
        .value_kind:     by_value
      - .offset:         76
        .size:           4
        .value_kind:     by_value
      - .offset:         80
        .size:           4
        .value_kind:     by_value
      - .actual_access:  write_only
        .address_space:  global
        .offset:         88
        .size:           8
        .value_kind:     global_buffer
      - .actual_access:  write_only
        .address_space:  global
        .offset:         96
        .size:           8
        .value_kind:     global_buffer
      - .actual_access:  write_only
        .address_space:  global
        .offset:         104
        .size:           8
        .value_kind:     global_buffer
      - .actual_access:  read_only
        .address_space:  global
        .offset:         112
        .size:           8
        .value_kind:     global_buffer
      - .offset:         120
        .size:           4
        .value_kind:     by_value
      - .address_space:  global
        .offset:         128
        .size:           8
        .value_kind:     global_buffer
      - .address_space:  global
        .offset:         136
        .size:           8
        .value_kind:     global_buffer
      - .offset:         144
        .size:           4
        .value_kind:     hidden_block_count_x
      - .offset:         148
        .size:           4
        .value_kind:     hidden_block_count_y
      - .offset:         152
        .size:           4
        .value_kind:     hidden_block_count_z
      - .offset:         156
        .size:           2
        .value_kind:     hidden_group_size_x
      - .offset:         158
        .size:           2
        .value_kind:     hidden_group_size_y
      - .offset:         160
        .size:           2
        .value_kind:     hidden_group_size_z
      - .offset:         162
        .size:           2
        .value_kind:     hidden_remainder_x
      - .offset:         164
        .size:           2
        .value_kind:     hidden_remainder_y
      - .offset:         166
        .size:           2
        .value_kind:     hidden_remainder_z
      - .offset:         184
        .size:           8
        .value_kind:     hidden_global_offset_x
      - .offset:         192
        .size:           8
        .value_kind:     hidden_global_offset_y
      - .offset:         200
        .size:           8
        .value_kind:     hidden_global_offset_z
      - .offset:         208
        .size:           2
        .value_kind:     hidden_grid_dims
    .group_segment_fixed_size: 8192
    .kernarg_segment_align: 8
    .kernarg_segment_size: 400
    .language:       OpenCL C
    .language_version:
      - 2
      - 0
    .max_flat_workgroup_size: 256
    .name:           _Z39paged_attention_ll4mi_QKV_mfma16_kernelIDF16_hLN4vllm18Fp8KVCacheDataTypeE1EDF16_Li32ELi64ELi256ELb0ELi16EL8MFMAType0EEvPKT_PKT0_S8_ifPKiSA_SA_iPKfiiiPfSD_PS3_PT2_iSC_SC_
    .private_segment_fixed_size: 0
    .sgpr_count:     51
    .sgpr_spill_count: 0
    .symbol:         _Z39paged_attention_ll4mi_QKV_mfma16_kernelIDF16_hLN4vllm18Fp8KVCacheDataTypeE1EDF16_Li32ELi64ELi256ELb0ELi16EL8MFMAType0EEvPKT_PKT0_S8_ifPKiSA_SA_iPKfiiiPfSD_PS3_PT2_iSC_SC_.kd
    .uniform_work_group_size: 1
    .uses_dynamic_stack: false
    .vgpr_count:     63
    .vgpr_spill_count: 0
    .wavefront_size: 64
  - .agpr_count:     0
    .args:
      - .actual_access:  read_only
        .address_space:  global
        .offset:         0
        .size:           8
        .value_kind:     global_buffer
      - .actual_access:  read_only
        .address_space:  global
        .offset:         8
        .size:           8
        .value_kind:     global_buffer
      - .actual_access:  read_only
        .address_space:  global
        .offset:         16
        .size:           8
        .value_kind:     global_buffer
      - .offset:         24
        .size:           4
        .value_kind:     by_value
      - .offset:         28
        .size:           4
        .value_kind:     by_value
      - .actual_access:  read_only
        .address_space:  global
        .offset:         32
        .size:           8
        .value_kind:     global_buffer
      - .actual_access:  read_only
        .address_space:  global
        .offset:         40
        .size:           8
        .value_kind:     global_buffer
      - .actual_access:  read_only
        .address_space:  global
        .offset:         48
        .size:           8
        .value_kind:     global_buffer
      - .offset:         56
        .size:           4
        .value_kind:     by_value
      - .actual_access:  read_only
        .address_space:  global
        .offset:         64
        .size:           8
        .value_kind:     global_buffer
      - .offset:         72
        .size:           4
        .value_kind:     by_value
      - .offset:         76
        .size:           4
        .value_kind:     by_value
      - .offset:         80
        .size:           4
        .value_kind:     by_value
      - .actual_access:  write_only
        .address_space:  global
        .offset:         88
        .size:           8
        .value_kind:     global_buffer
      - .actual_access:  write_only
        .address_space:  global
        .offset:         96
        .size:           8
        .value_kind:     global_buffer
      - .actual_access:  write_only
        .address_space:  global
        .offset:         104
        .size:           8
        .value_kind:     global_buffer
      - .actual_access:  read_only
        .address_space:  global
        .offset:         112
        .size:           8
        .value_kind:     global_buffer
      - .offset:         120
        .size:           4
        .value_kind:     by_value
      - .address_space:  global
        .offset:         128
        .size:           8
        .value_kind:     global_buffer
      - .address_space:  global
        .offset:         136
        .size:           8
        .value_kind:     global_buffer
      - .offset:         144
        .size:           4
        .value_kind:     hidden_block_count_x
      - .offset:         148
        .size:           4
        .value_kind:     hidden_block_count_y
      - .offset:         152
        .size:           4
        .value_kind:     hidden_block_count_z
      - .offset:         156
        .size:           2
        .value_kind:     hidden_group_size_x
      - .offset:         158
        .size:           2
        .value_kind:     hidden_group_size_y
      - .offset:         160
        .size:           2
        .value_kind:     hidden_group_size_z
      - .offset:         162
        .size:           2
        .value_kind:     hidden_remainder_x
      - .offset:         164
        .size:           2
        .value_kind:     hidden_remainder_y
      - .offset:         166
        .size:           2
        .value_kind:     hidden_remainder_z
      - .offset:         184
        .size:           8
        .value_kind:     hidden_global_offset_x
      - .offset:         192
        .size:           8
        .value_kind:     hidden_global_offset_y
      - .offset:         200
        .size:           8
        .value_kind:     hidden_global_offset_z
      - .offset:         208
        .size:           2
        .value_kind:     hidden_grid_dims
    .group_segment_fixed_size: 8192
    .kernarg_segment_align: 8
    .kernarg_segment_size: 400
    .language:       OpenCL C
    .language_version:
      - 2
      - 0
    .max_flat_workgroup_size: 256
    .name:           _Z39paged_attention_ll4mi_QKV_mfma16_kernelIDF16_hLN4vllm18Fp8KVCacheDataTypeE1EDF16_Li32ELi64ELi256ELb0ELi1EL8MFMAType0EEvPKT_PKT0_S8_ifPKiSA_SA_iPKfiiiPfSD_PS3_PT2_iSC_SC_
    .private_segment_fixed_size: 0
    .sgpr_count:     51
    .sgpr_spill_count: 0
    .symbol:         _Z39paged_attention_ll4mi_QKV_mfma16_kernelIDF16_hLN4vllm18Fp8KVCacheDataTypeE1EDF16_Li32ELi64ELi256ELb0ELi1EL8MFMAType0EEvPKT_PKT0_S8_ifPKiSA_SA_iPKfiiiPfSD_PS3_PT2_iSC_SC_.kd
    .uniform_work_group_size: 1
    .uses_dynamic_stack: false
    .vgpr_count:     62
    .vgpr_spill_count: 0
    .wavefront_size: 64
  - .agpr_count:     0
    .args:
      - .actual_access:  read_only
        .address_space:  global
        .offset:         0
        .size:           8
        .value_kind:     global_buffer
      - .actual_access:  read_only
        .address_space:  global
        .offset:         8
        .size:           8
        .value_kind:     global_buffer
      - .actual_access:  read_only
        .address_space:  global
        .offset:         16
        .size:           8
        .value_kind:     global_buffer
      - .offset:         24
        .size:           4
        .value_kind:     by_value
      - .offset:         28
        .size:           4
        .value_kind:     by_value
      - .actual_access:  read_only
        .address_space:  global
        .offset:         32
        .size:           8
        .value_kind:     global_buffer
      - .actual_access:  read_only
        .address_space:  global
        .offset:         40
        .size:           8
        .value_kind:     global_buffer
      - .actual_access:  read_only
        .address_space:  global
        .offset:         48
        .size:           8
        .value_kind:     global_buffer
      - .offset:         56
        .size:           4
        .value_kind:     by_value
      - .actual_access:  read_only
        .address_space:  global
        .offset:         64
        .size:           8
        .value_kind:     global_buffer
      - .offset:         72
        .size:           4
        .value_kind:     by_value
      - .offset:         76
        .size:           4
        .value_kind:     by_value
      - .offset:         80
        .size:           4
        .value_kind:     by_value
      - .actual_access:  write_only
        .address_space:  global
        .offset:         88
        .size:           8
        .value_kind:     global_buffer
      - .actual_access:  write_only
        .address_space:  global
        .offset:         96
        .size:           8
        .value_kind:     global_buffer
      - .actual_access:  write_only
        .address_space:  global
        .offset:         104
        .size:           8
        .value_kind:     global_buffer
      - .actual_access:  read_only
        .address_space:  global
        .offset:         112
        .size:           8
        .value_kind:     global_buffer
      - .offset:         120
        .size:           4
        .value_kind:     by_value
      - .address_space:  global
        .offset:         128
        .size:           8
        .value_kind:     global_buffer
      - .address_space:  global
        .offset:         136
        .size:           8
        .value_kind:     global_buffer
      - .offset:         144
        .size:           4
        .value_kind:     hidden_block_count_x
      - .offset:         148
        .size:           4
        .value_kind:     hidden_block_count_y
      - .offset:         152
        .size:           4
        .value_kind:     hidden_block_count_z
      - .offset:         156
        .size:           2
        .value_kind:     hidden_group_size_x
      - .offset:         158
        .size:           2
        .value_kind:     hidden_group_size_y
      - .offset:         160
        .size:           2
        .value_kind:     hidden_group_size_z
      - .offset:         162
        .size:           2
        .value_kind:     hidden_remainder_x
      - .offset:         164
        .size:           2
        .value_kind:     hidden_remainder_y
      - .offset:         166
        .size:           2
        .value_kind:     hidden_remainder_z
      - .offset:         184
        .size:           8
        .value_kind:     hidden_global_offset_x
      - .offset:         192
        .size:           8
        .value_kind:     hidden_global_offset_y
      - .offset:         200
        .size:           8
        .value_kind:     hidden_global_offset_z
      - .offset:         208
        .size:           2
        .value_kind:     hidden_grid_dims
    .group_segment_fixed_size: 8192
    .kernarg_segment_align: 8
    .kernarg_segment_size: 400
    .language:       OpenCL C
    .language_version:
      - 2
      - 0
    .max_flat_workgroup_size: 256
    .name:           _Z39paged_attention_ll4mi_QKV_mfma16_kernelIDF16_hLN4vllm18Fp8KVCacheDataTypeE1EDF16_Li32ELi64ELi256ELb0ELi2EL8MFMAType0EEvPKT_PKT0_S8_ifPKiSA_SA_iPKfiiiPfSD_PS3_PT2_iSC_SC_
    .private_segment_fixed_size: 0
    .sgpr_count:     51
    .sgpr_spill_count: 0
    .symbol:         _Z39paged_attention_ll4mi_QKV_mfma16_kernelIDF16_hLN4vllm18Fp8KVCacheDataTypeE1EDF16_Li32ELi64ELi256ELb0ELi2EL8MFMAType0EEvPKT_PKT0_S8_ifPKiSA_SA_iPKfiiiPfSD_PS3_PT2_iSC_SC_.kd
    .uniform_work_group_size: 1
    .uses_dynamic_stack: false
    .vgpr_count:     62
    .vgpr_spill_count: 0
    .wavefront_size: 64
  - .agpr_count:     0
    .args:
      - .actual_access:  read_only
        .address_space:  global
        .offset:         0
        .size:           8
        .value_kind:     global_buffer
      - .actual_access:  read_only
        .address_space:  global
        .offset:         8
        .size:           8
        .value_kind:     global_buffer
      - .actual_access:  read_only
        .address_space:  global
        .offset:         16
        .size:           8
        .value_kind:     global_buffer
      - .offset:         24
        .size:           4
        .value_kind:     by_value
      - .offset:         28
        .size:           4
        .value_kind:     by_value
      - .actual_access:  read_only
        .address_space:  global
        .offset:         32
        .size:           8
        .value_kind:     global_buffer
      - .actual_access:  read_only
        .address_space:  global
        .offset:         40
        .size:           8
        .value_kind:     global_buffer
      - .actual_access:  read_only
        .address_space:  global
        .offset:         48
        .size:           8
        .value_kind:     global_buffer
      - .offset:         56
        .size:           4
        .value_kind:     by_value
      - .actual_access:  read_only
        .address_space:  global
        .offset:         64
        .size:           8
        .value_kind:     global_buffer
      - .offset:         72
        .size:           4
        .value_kind:     by_value
      - .offset:         76
        .size:           4
        .value_kind:     by_value
      - .offset:         80
        .size:           4
        .value_kind:     by_value
      - .actual_access:  write_only
        .address_space:  global
        .offset:         88
        .size:           8
        .value_kind:     global_buffer
      - .actual_access:  write_only
        .address_space:  global
        .offset:         96
        .size:           8
        .value_kind:     global_buffer
      - .actual_access:  write_only
        .address_space:  global
        .offset:         104
        .size:           8
        .value_kind:     global_buffer
      - .actual_access:  read_only
        .address_space:  global
        .offset:         112
        .size:           8
        .value_kind:     global_buffer
      - .offset:         120
        .size:           4
        .value_kind:     by_value
      - .address_space:  global
        .offset:         128
        .size:           8
        .value_kind:     global_buffer
      - .address_space:  global
        .offset:         136
        .size:           8
        .value_kind:     global_buffer
      - .offset:         144
        .size:           4
        .value_kind:     hidden_block_count_x
      - .offset:         148
        .size:           4
        .value_kind:     hidden_block_count_y
      - .offset:         152
        .size:           4
        .value_kind:     hidden_block_count_z
      - .offset:         156
        .size:           2
        .value_kind:     hidden_group_size_x
      - .offset:         158
        .size:           2
        .value_kind:     hidden_group_size_y
      - .offset:         160
        .size:           2
        .value_kind:     hidden_group_size_z
      - .offset:         162
        .size:           2
        .value_kind:     hidden_remainder_x
      - .offset:         164
        .size:           2
        .value_kind:     hidden_remainder_y
      - .offset:         166
        .size:           2
        .value_kind:     hidden_remainder_z
      - .offset:         184
        .size:           8
        .value_kind:     hidden_global_offset_x
      - .offset:         192
        .size:           8
        .value_kind:     hidden_global_offset_y
      - .offset:         200
        .size:           8
        .value_kind:     hidden_global_offset_z
      - .offset:         208
        .size:           2
        .value_kind:     hidden_grid_dims
    .group_segment_fixed_size: 8192
    .kernarg_segment_align: 8
    .kernarg_segment_size: 400
    .language:       OpenCL C
    .language_version:
      - 2
      - 0
    .max_flat_workgroup_size: 256
    .name:           _Z39paged_attention_ll4mi_QKV_mfma16_kernelIDF16_hLN4vllm18Fp8KVCacheDataTypeE1EDF16_Li32ELi64ELi256ELb0ELi3EL8MFMAType0EEvPKT_PKT0_S8_ifPKiSA_SA_iPKfiiiPfSD_PS3_PT2_iSC_SC_
    .private_segment_fixed_size: 0
    .sgpr_count:     51
    .sgpr_spill_count: 0
    .symbol:         _Z39paged_attention_ll4mi_QKV_mfma16_kernelIDF16_hLN4vllm18Fp8KVCacheDataTypeE1EDF16_Li32ELi64ELi256ELb0ELi3EL8MFMAType0EEvPKT_PKT0_S8_ifPKiSA_SA_iPKfiiiPfSD_PS3_PT2_iSC_SC_.kd
    .uniform_work_group_size: 1
    .uses_dynamic_stack: false
    .vgpr_count:     63
    .vgpr_spill_count: 0
    .wavefront_size: 64
  - .agpr_count:     0
    .args:
      - .actual_access:  read_only
        .address_space:  global
        .offset:         0
        .size:           8
        .value_kind:     global_buffer
      - .actual_access:  read_only
        .address_space:  global
        .offset:         8
        .size:           8
        .value_kind:     global_buffer
      - .actual_access:  read_only
        .address_space:  global
        .offset:         16
        .size:           8
        .value_kind:     global_buffer
      - .offset:         24
        .size:           4
        .value_kind:     by_value
      - .offset:         28
        .size:           4
        .value_kind:     by_value
      - .actual_access:  read_only
        .address_space:  global
        .offset:         32
        .size:           8
        .value_kind:     global_buffer
      - .actual_access:  read_only
        .address_space:  global
        .offset:         40
        .size:           8
        .value_kind:     global_buffer
      - .actual_access:  read_only
        .address_space:  global
        .offset:         48
        .size:           8
        .value_kind:     global_buffer
      - .offset:         56
        .size:           4
        .value_kind:     by_value
      - .actual_access:  read_only
        .address_space:  global
        .offset:         64
        .size:           8
        .value_kind:     global_buffer
      - .offset:         72
        .size:           4
        .value_kind:     by_value
      - .offset:         76
        .size:           4
        .value_kind:     by_value
      - .offset:         80
        .size:           4
        .value_kind:     by_value
      - .actual_access:  write_only
        .address_space:  global
        .offset:         88
        .size:           8
        .value_kind:     global_buffer
      - .actual_access:  write_only
        .address_space:  global
        .offset:         96
        .size:           8
        .value_kind:     global_buffer
      - .actual_access:  write_only
        .address_space:  global
        .offset:         104
        .size:           8
        .value_kind:     global_buffer
      - .actual_access:  read_only
        .address_space:  global
        .offset:         112
        .size:           8
        .value_kind:     global_buffer
      - .offset:         120
        .size:           4
        .value_kind:     by_value
      - .address_space:  global
        .offset:         128
        .size:           8
        .value_kind:     global_buffer
      - .address_space:  global
        .offset:         136
        .size:           8
        .value_kind:     global_buffer
      - .offset:         144
        .size:           4
        .value_kind:     hidden_block_count_x
      - .offset:         148
        .size:           4
        .value_kind:     hidden_block_count_y
      - .offset:         152
        .size:           4
        .value_kind:     hidden_block_count_z
      - .offset:         156
        .size:           2
        .value_kind:     hidden_group_size_x
      - .offset:         158
        .size:           2
        .value_kind:     hidden_group_size_y
      - .offset:         160
        .size:           2
        .value_kind:     hidden_group_size_z
      - .offset:         162
        .size:           2
        .value_kind:     hidden_remainder_x
      - .offset:         164
        .size:           2
        .value_kind:     hidden_remainder_y
      - .offset:         166
        .size:           2
        .value_kind:     hidden_remainder_z
      - .offset:         184
        .size:           8
        .value_kind:     hidden_global_offset_x
      - .offset:         192
        .size:           8
        .value_kind:     hidden_global_offset_y
      - .offset:         200
        .size:           8
        .value_kind:     hidden_global_offset_z
      - .offset:         208
        .size:           2
        .value_kind:     hidden_grid_dims
    .group_segment_fixed_size: 8192
    .kernarg_segment_align: 8
    .kernarg_segment_size: 400
    .language:       OpenCL C
    .language_version:
      - 2
      - 0
    .max_flat_workgroup_size: 256
    .name:           _Z39paged_attention_ll4mi_QKV_mfma16_kernelIDF16_hLN4vllm18Fp8KVCacheDataTypeE1EDF16_Li32ELi64ELi256ELb0ELi4EL8MFMAType0EEvPKT_PKT0_S8_ifPKiSA_SA_iPKfiiiPfSD_PS3_PT2_iSC_SC_
    .private_segment_fixed_size: 0
    .sgpr_count:     52
    .sgpr_spill_count: 0
    .symbol:         _Z39paged_attention_ll4mi_QKV_mfma16_kernelIDF16_hLN4vllm18Fp8KVCacheDataTypeE1EDF16_Li32ELi64ELi256ELb0ELi4EL8MFMAType0EEvPKT_PKT0_S8_ifPKiSA_SA_iPKfiiiPfSD_PS3_PT2_iSC_SC_.kd
    .uniform_work_group_size: 1
    .uses_dynamic_stack: false
    .vgpr_count:     64
    .vgpr_spill_count: 0
    .wavefront_size: 64
  - .agpr_count:     0
    .args:
      - .actual_access:  read_only
        .address_space:  global
        .offset:         0
        .size:           8
        .value_kind:     global_buffer
      - .actual_access:  read_only
        .address_space:  global
        .offset:         8
        .size:           8
        .value_kind:     global_buffer
      - .actual_access:  read_only
        .address_space:  global
        .offset:         16
        .size:           8
        .value_kind:     global_buffer
      - .offset:         24
        .size:           4
        .value_kind:     by_value
      - .offset:         28
        .size:           4
        .value_kind:     by_value
      - .actual_access:  read_only
        .address_space:  global
        .offset:         32
        .size:           8
        .value_kind:     global_buffer
      - .actual_access:  read_only
        .address_space:  global
        .offset:         40
        .size:           8
        .value_kind:     global_buffer
      - .actual_access:  read_only
        .address_space:  global
        .offset:         48
        .size:           8
        .value_kind:     global_buffer
      - .offset:         56
        .size:           4
        .value_kind:     by_value
      - .actual_access:  read_only
        .address_space:  global
        .offset:         64
        .size:           8
        .value_kind:     global_buffer
      - .offset:         72
        .size:           4
        .value_kind:     by_value
      - .offset:         76
        .size:           4
        .value_kind:     by_value
      - .offset:         80
        .size:           4
        .value_kind:     by_value
      - .actual_access:  write_only
        .address_space:  global
        .offset:         88
        .size:           8
        .value_kind:     global_buffer
      - .actual_access:  write_only
        .address_space:  global
        .offset:         96
        .size:           8
        .value_kind:     global_buffer
      - .actual_access:  write_only
        .address_space:  global
        .offset:         104
        .size:           8
        .value_kind:     global_buffer
      - .actual_access:  read_only
        .address_space:  global
        .offset:         112
        .size:           8
        .value_kind:     global_buffer
      - .offset:         120
        .size:           4
        .value_kind:     by_value
      - .address_space:  global
        .offset:         128
        .size:           8
        .value_kind:     global_buffer
      - .address_space:  global
        .offset:         136
        .size:           8
        .value_kind:     global_buffer
      - .offset:         144
        .size:           4
        .value_kind:     hidden_block_count_x
      - .offset:         148
        .size:           4
        .value_kind:     hidden_block_count_y
      - .offset:         152
        .size:           4
        .value_kind:     hidden_block_count_z
      - .offset:         156
        .size:           2
        .value_kind:     hidden_group_size_x
      - .offset:         158
        .size:           2
        .value_kind:     hidden_group_size_y
      - .offset:         160
        .size:           2
        .value_kind:     hidden_group_size_z
      - .offset:         162
        .size:           2
        .value_kind:     hidden_remainder_x
      - .offset:         164
        .size:           2
        .value_kind:     hidden_remainder_y
      - .offset:         166
        .size:           2
        .value_kind:     hidden_remainder_z
      - .offset:         184
        .size:           8
        .value_kind:     hidden_global_offset_x
      - .offset:         192
        .size:           8
        .value_kind:     hidden_global_offset_y
      - .offset:         200
        .size:           8
        .value_kind:     hidden_global_offset_z
      - .offset:         208
        .size:           2
        .value_kind:     hidden_grid_dims
    .group_segment_fixed_size: 8192
    .kernarg_segment_align: 8
    .kernarg_segment_size: 400
    .language:       OpenCL C
    .language_version:
      - 2
      - 0
    .max_flat_workgroup_size: 256
    .name:           _Z39paged_attention_ll4mi_QKV_mfma16_kernelIDF16_hLN4vllm18Fp8KVCacheDataTypeE1EDF16_Li16ELi128ELi256ELb1ELi5EL8MFMAType0EEvPKT_PKT0_S8_ifPKiSA_SA_iPKfiiiPfSD_PS3_PT2_iSC_SC_
    .private_segment_fixed_size: 352
    .sgpr_count:     57
    .sgpr_spill_count: 0
    .symbol:         _Z39paged_attention_ll4mi_QKV_mfma16_kernelIDF16_hLN4vllm18Fp8KVCacheDataTypeE1EDF16_Li16ELi128ELi256ELb1ELi5EL8MFMAType0EEvPKT_PKT0_S8_ifPKiSA_SA_iPKfiiiPfSD_PS3_PT2_iSC_SC_.kd
    .uniform_work_group_size: 1
    .uses_dynamic_stack: false
    .vgpr_count:     80
    .vgpr_spill_count: 0
    .wavefront_size: 64
  - .agpr_count:     0
    .args:
      - .actual_access:  read_only
        .address_space:  global
        .offset:         0
        .size:           8
        .value_kind:     global_buffer
      - .actual_access:  read_only
        .address_space:  global
        .offset:         8
        .size:           8
        .value_kind:     global_buffer
      - .actual_access:  read_only
        .address_space:  global
        .offset:         16
        .size:           8
        .value_kind:     global_buffer
      - .offset:         24
        .size:           4
        .value_kind:     by_value
      - .offset:         28
        .size:           4
        .value_kind:     by_value
      - .actual_access:  read_only
        .address_space:  global
        .offset:         32
        .size:           8
        .value_kind:     global_buffer
      - .actual_access:  read_only
        .address_space:  global
        .offset:         40
        .size:           8
        .value_kind:     global_buffer
      - .actual_access:  read_only
        .address_space:  global
        .offset:         48
        .size:           8
        .value_kind:     global_buffer
      - .offset:         56
        .size:           4
        .value_kind:     by_value
      - .actual_access:  read_only
        .address_space:  global
        .offset:         64
        .size:           8
        .value_kind:     global_buffer
      - .offset:         72
        .size:           4
        .value_kind:     by_value
      - .offset:         76
        .size:           4
        .value_kind:     by_value
      - .offset:         80
        .size:           4
        .value_kind:     by_value
      - .actual_access:  write_only
        .address_space:  global
        .offset:         88
        .size:           8
        .value_kind:     global_buffer
      - .actual_access:  write_only
        .address_space:  global
        .offset:         96
        .size:           8
        .value_kind:     global_buffer
      - .actual_access:  write_only
        .address_space:  global
        .offset:         104
        .size:           8
        .value_kind:     global_buffer
      - .actual_access:  read_only
        .address_space:  global
        .offset:         112
        .size:           8
        .value_kind:     global_buffer
      - .offset:         120
        .size:           4
        .value_kind:     by_value
      - .address_space:  global
        .offset:         128
        .size:           8
        .value_kind:     global_buffer
      - .address_space:  global
        .offset:         136
        .size:           8
        .value_kind:     global_buffer
      - .offset:         144
        .size:           4
        .value_kind:     hidden_block_count_x
      - .offset:         148
        .size:           4
        .value_kind:     hidden_block_count_y
      - .offset:         152
        .size:           4
        .value_kind:     hidden_block_count_z
      - .offset:         156
        .size:           2
        .value_kind:     hidden_group_size_x
      - .offset:         158
        .size:           2
        .value_kind:     hidden_group_size_y
      - .offset:         160
        .size:           2
        .value_kind:     hidden_group_size_z
      - .offset:         162
        .size:           2
        .value_kind:     hidden_remainder_x
      - .offset:         164
        .size:           2
        .value_kind:     hidden_remainder_y
      - .offset:         166
        .size:           2
        .value_kind:     hidden_remainder_z
      - .offset:         184
        .size:           8
        .value_kind:     hidden_global_offset_x
      - .offset:         192
        .size:           8
        .value_kind:     hidden_global_offset_y
      - .offset:         200
        .size:           8
        .value_kind:     hidden_global_offset_z
      - .offset:         208
        .size:           2
        .value_kind:     hidden_grid_dims
    .group_segment_fixed_size: 8192
    .kernarg_segment_align: 8
    .kernarg_segment_size: 400
    .language:       OpenCL C
    .language_version:
      - 2
      - 0
    .max_flat_workgroup_size: 256
    .name:           _Z39paged_attention_ll4mi_QKV_mfma16_kernelIDF16_hLN4vllm18Fp8KVCacheDataTypeE1EDF16_Li16ELi128ELi256ELb1ELi6EL8MFMAType0EEvPKT_PKT0_S8_ifPKiSA_SA_iPKfiiiPfSD_PS3_PT2_iSC_SC_
    .private_segment_fixed_size: 352
    .sgpr_count:     57
    .sgpr_spill_count: 0
    .symbol:         _Z39paged_attention_ll4mi_QKV_mfma16_kernelIDF16_hLN4vllm18Fp8KVCacheDataTypeE1EDF16_Li16ELi128ELi256ELb1ELi6EL8MFMAType0EEvPKT_PKT0_S8_ifPKiSA_SA_iPKfiiiPfSD_PS3_PT2_iSC_SC_.kd
    .uniform_work_group_size: 1
    .uses_dynamic_stack: false
    .vgpr_count:     80
    .vgpr_spill_count: 0
    .wavefront_size: 64
  - .agpr_count:     0
    .args:
      - .actual_access:  read_only
        .address_space:  global
        .offset:         0
        .size:           8
        .value_kind:     global_buffer
      - .actual_access:  read_only
        .address_space:  global
        .offset:         8
        .size:           8
        .value_kind:     global_buffer
      - .actual_access:  read_only
        .address_space:  global
        .offset:         16
        .size:           8
        .value_kind:     global_buffer
      - .offset:         24
        .size:           4
        .value_kind:     by_value
      - .offset:         28
        .size:           4
        .value_kind:     by_value
      - .actual_access:  read_only
        .address_space:  global
        .offset:         32
        .size:           8
        .value_kind:     global_buffer
      - .actual_access:  read_only
        .address_space:  global
        .offset:         40
        .size:           8
        .value_kind:     global_buffer
      - .actual_access:  read_only
        .address_space:  global
        .offset:         48
        .size:           8
        .value_kind:     global_buffer
      - .offset:         56
        .size:           4
        .value_kind:     by_value
      - .actual_access:  read_only
        .address_space:  global
        .offset:         64
        .size:           8
        .value_kind:     global_buffer
      - .offset:         72
        .size:           4
        .value_kind:     by_value
      - .offset:         76
        .size:           4
        .value_kind:     by_value
      - .offset:         80
        .size:           4
        .value_kind:     by_value
      - .actual_access:  write_only
        .address_space:  global
        .offset:         88
        .size:           8
        .value_kind:     global_buffer
      - .actual_access:  write_only
        .address_space:  global
        .offset:         96
        .size:           8
        .value_kind:     global_buffer
      - .actual_access:  write_only
        .address_space:  global
        .offset:         104
        .size:           8
        .value_kind:     global_buffer
      - .actual_access:  read_only
        .address_space:  global
        .offset:         112
        .size:           8
        .value_kind:     global_buffer
      - .offset:         120
        .size:           4
        .value_kind:     by_value
      - .address_space:  global
        .offset:         128
        .size:           8
        .value_kind:     global_buffer
      - .address_space:  global
        .offset:         136
        .size:           8
        .value_kind:     global_buffer
      - .offset:         144
        .size:           4
        .value_kind:     hidden_block_count_x
      - .offset:         148
        .size:           4
        .value_kind:     hidden_block_count_y
      - .offset:         152
        .size:           4
        .value_kind:     hidden_block_count_z
      - .offset:         156
        .size:           2
        .value_kind:     hidden_group_size_x
      - .offset:         158
        .size:           2
        .value_kind:     hidden_group_size_y
      - .offset:         160
        .size:           2
        .value_kind:     hidden_group_size_z
      - .offset:         162
        .size:           2
        .value_kind:     hidden_remainder_x
      - .offset:         164
        .size:           2
        .value_kind:     hidden_remainder_y
      - .offset:         166
        .size:           2
        .value_kind:     hidden_remainder_z
      - .offset:         184
        .size:           8
        .value_kind:     hidden_global_offset_x
      - .offset:         192
        .size:           8
        .value_kind:     hidden_global_offset_y
      - .offset:         200
        .size:           8
        .value_kind:     hidden_global_offset_z
      - .offset:         208
        .size:           2
        .value_kind:     hidden_grid_dims
    .group_segment_fixed_size: 8192
    .kernarg_segment_align: 8
    .kernarg_segment_size: 400
    .language:       OpenCL C
    .language_version:
      - 2
      - 0
    .max_flat_workgroup_size: 256
    .name:           _Z39paged_attention_ll4mi_QKV_mfma16_kernelIDF16_hLN4vllm18Fp8KVCacheDataTypeE1EDF16_Li16ELi128ELi256ELb1ELi7EL8MFMAType0EEvPKT_PKT0_S8_ifPKiSA_SA_iPKfiiiPfSD_PS3_PT2_iSC_SC_
    .private_segment_fixed_size: 352
    .sgpr_count:     57
    .sgpr_spill_count: 0
    .symbol:         _Z39paged_attention_ll4mi_QKV_mfma16_kernelIDF16_hLN4vllm18Fp8KVCacheDataTypeE1EDF16_Li16ELi128ELi256ELb1ELi7EL8MFMAType0EEvPKT_PKT0_S8_ifPKiSA_SA_iPKfiiiPfSD_PS3_PT2_iSC_SC_.kd
    .uniform_work_group_size: 1
    .uses_dynamic_stack: false
    .vgpr_count:     80
    .vgpr_spill_count: 0
    .wavefront_size: 64
  - .agpr_count:     0
    .args:
      - .actual_access:  read_only
        .address_space:  global
        .offset:         0
        .size:           8
        .value_kind:     global_buffer
      - .actual_access:  read_only
        .address_space:  global
        .offset:         8
        .size:           8
        .value_kind:     global_buffer
      - .actual_access:  read_only
        .address_space:  global
        .offset:         16
        .size:           8
        .value_kind:     global_buffer
      - .offset:         24
        .size:           4
        .value_kind:     by_value
      - .offset:         28
        .size:           4
        .value_kind:     by_value
      - .actual_access:  read_only
        .address_space:  global
        .offset:         32
        .size:           8
        .value_kind:     global_buffer
      - .actual_access:  read_only
        .address_space:  global
        .offset:         40
        .size:           8
        .value_kind:     global_buffer
      - .actual_access:  read_only
        .address_space:  global
        .offset:         48
        .size:           8
        .value_kind:     global_buffer
      - .offset:         56
        .size:           4
        .value_kind:     by_value
      - .actual_access:  read_only
        .address_space:  global
        .offset:         64
        .size:           8
        .value_kind:     global_buffer
      - .offset:         72
        .size:           4
        .value_kind:     by_value
      - .offset:         76
        .size:           4
        .value_kind:     by_value
      - .offset:         80
        .size:           4
        .value_kind:     by_value
      - .actual_access:  write_only
        .address_space:  global
        .offset:         88
        .size:           8
        .value_kind:     global_buffer
      - .actual_access:  write_only
        .address_space:  global
        .offset:         96
        .size:           8
        .value_kind:     global_buffer
      - .actual_access:  write_only
        .address_space:  global
        .offset:         104
        .size:           8
        .value_kind:     global_buffer
      - .actual_access:  read_only
        .address_space:  global
        .offset:         112
        .size:           8
        .value_kind:     global_buffer
      - .offset:         120
        .size:           4
        .value_kind:     by_value
      - .address_space:  global
        .offset:         128
        .size:           8
        .value_kind:     global_buffer
      - .address_space:  global
        .offset:         136
        .size:           8
        .value_kind:     global_buffer
      - .offset:         144
        .size:           4
        .value_kind:     hidden_block_count_x
      - .offset:         148
        .size:           4
        .value_kind:     hidden_block_count_y
      - .offset:         152
        .size:           4
        .value_kind:     hidden_block_count_z
      - .offset:         156
        .size:           2
        .value_kind:     hidden_group_size_x
      - .offset:         158
        .size:           2
        .value_kind:     hidden_group_size_y
      - .offset:         160
        .size:           2
        .value_kind:     hidden_group_size_z
      - .offset:         162
        .size:           2
        .value_kind:     hidden_remainder_x
      - .offset:         164
        .size:           2
        .value_kind:     hidden_remainder_y
      - .offset:         166
        .size:           2
        .value_kind:     hidden_remainder_z
      - .offset:         184
        .size:           8
        .value_kind:     hidden_global_offset_x
      - .offset:         192
        .size:           8
        .value_kind:     hidden_global_offset_y
      - .offset:         200
        .size:           8
        .value_kind:     hidden_global_offset_z
      - .offset:         208
        .size:           2
        .value_kind:     hidden_grid_dims
    .group_segment_fixed_size: 8192
    .kernarg_segment_align: 8
    .kernarg_segment_size: 400
    .language:       OpenCL C
    .language_version:
      - 2
      - 0
    .max_flat_workgroup_size: 256
    .name:           _Z39paged_attention_ll4mi_QKV_mfma16_kernelIDF16_hLN4vllm18Fp8KVCacheDataTypeE1EDF16_Li16ELi128ELi256ELb1ELi8EL8MFMAType0EEvPKT_PKT0_S8_ifPKiSA_SA_iPKfiiiPfSD_PS3_PT2_iSC_SC_
    .private_segment_fixed_size: 352
    .sgpr_count:     57
    .sgpr_spill_count: 0
    .symbol:         _Z39paged_attention_ll4mi_QKV_mfma16_kernelIDF16_hLN4vllm18Fp8KVCacheDataTypeE1EDF16_Li16ELi128ELi256ELb1ELi8EL8MFMAType0EEvPKT_PKT0_S8_ifPKiSA_SA_iPKfiiiPfSD_PS3_PT2_iSC_SC_.kd
    .uniform_work_group_size: 1
    .uses_dynamic_stack: false
    .vgpr_count:     80
    .vgpr_spill_count: 0
    .wavefront_size: 64
  - .agpr_count:     0
    .args:
      - .actual_access:  read_only
        .address_space:  global
        .offset:         0
        .size:           8
        .value_kind:     global_buffer
      - .actual_access:  read_only
        .address_space:  global
        .offset:         8
        .size:           8
        .value_kind:     global_buffer
      - .actual_access:  read_only
        .address_space:  global
        .offset:         16
        .size:           8
        .value_kind:     global_buffer
      - .offset:         24
        .size:           4
        .value_kind:     by_value
      - .offset:         28
        .size:           4
        .value_kind:     by_value
      - .actual_access:  read_only
        .address_space:  global
        .offset:         32
        .size:           8
        .value_kind:     global_buffer
      - .actual_access:  read_only
        .address_space:  global
        .offset:         40
        .size:           8
        .value_kind:     global_buffer
      - .actual_access:  read_only
        .address_space:  global
        .offset:         48
        .size:           8
        .value_kind:     global_buffer
      - .offset:         56
        .size:           4
        .value_kind:     by_value
      - .actual_access:  read_only
        .address_space:  global
        .offset:         64
        .size:           8
        .value_kind:     global_buffer
      - .offset:         72
        .size:           4
        .value_kind:     by_value
      - .offset:         76
        .size:           4
        .value_kind:     by_value
      - .offset:         80
        .size:           4
        .value_kind:     by_value
      - .actual_access:  write_only
        .address_space:  global
        .offset:         88
        .size:           8
        .value_kind:     global_buffer
      - .actual_access:  write_only
        .address_space:  global
        .offset:         96
        .size:           8
        .value_kind:     global_buffer
      - .actual_access:  write_only
        .address_space:  global
        .offset:         104
        .size:           8
        .value_kind:     global_buffer
      - .actual_access:  read_only
        .address_space:  global
        .offset:         112
        .size:           8
        .value_kind:     global_buffer
      - .offset:         120
        .size:           4
        .value_kind:     by_value
      - .address_space:  global
        .offset:         128
        .size:           8
        .value_kind:     global_buffer
      - .address_space:  global
        .offset:         136
        .size:           8
        .value_kind:     global_buffer
      - .offset:         144
        .size:           4
        .value_kind:     hidden_block_count_x
      - .offset:         148
        .size:           4
        .value_kind:     hidden_block_count_y
      - .offset:         152
        .size:           4
        .value_kind:     hidden_block_count_z
      - .offset:         156
        .size:           2
        .value_kind:     hidden_group_size_x
      - .offset:         158
        .size:           2
        .value_kind:     hidden_group_size_y
      - .offset:         160
        .size:           2
        .value_kind:     hidden_group_size_z
      - .offset:         162
        .size:           2
        .value_kind:     hidden_remainder_x
      - .offset:         164
        .size:           2
        .value_kind:     hidden_remainder_y
      - .offset:         166
        .size:           2
        .value_kind:     hidden_remainder_z
      - .offset:         184
        .size:           8
        .value_kind:     hidden_global_offset_x
      - .offset:         192
        .size:           8
        .value_kind:     hidden_global_offset_y
      - .offset:         200
        .size:           8
        .value_kind:     hidden_global_offset_z
      - .offset:         208
        .size:           2
        .value_kind:     hidden_grid_dims
    .group_segment_fixed_size: 8192
    .kernarg_segment_align: 8
    .kernarg_segment_size: 400
    .language:       OpenCL C
    .language_version:
      - 2
      - 0
    .max_flat_workgroup_size: 256
    .name:           _Z39paged_attention_ll4mi_QKV_mfma16_kernelIDF16_hLN4vllm18Fp8KVCacheDataTypeE1EDF16_Li16ELi128ELi256ELb1ELi9EL8MFMAType0EEvPKT_PKT0_S8_ifPKiSA_SA_iPKfiiiPfSD_PS3_PT2_iSC_SC_
    .private_segment_fixed_size: 352
    .sgpr_count:     57
    .sgpr_spill_count: 0
    .symbol:         _Z39paged_attention_ll4mi_QKV_mfma16_kernelIDF16_hLN4vllm18Fp8KVCacheDataTypeE1EDF16_Li16ELi128ELi256ELb1ELi9EL8MFMAType0EEvPKT_PKT0_S8_ifPKiSA_SA_iPKfiiiPfSD_PS3_PT2_iSC_SC_.kd
    .uniform_work_group_size: 1
    .uses_dynamic_stack: false
    .vgpr_count:     80
    .vgpr_spill_count: 0
    .wavefront_size: 64
  - .agpr_count:     0
    .args:
      - .actual_access:  read_only
        .address_space:  global
        .offset:         0
        .size:           8
        .value_kind:     global_buffer
      - .actual_access:  read_only
        .address_space:  global
        .offset:         8
        .size:           8
        .value_kind:     global_buffer
      - .actual_access:  read_only
        .address_space:  global
        .offset:         16
        .size:           8
        .value_kind:     global_buffer
      - .offset:         24
        .size:           4
        .value_kind:     by_value
      - .offset:         28
        .size:           4
        .value_kind:     by_value
      - .actual_access:  read_only
        .address_space:  global
        .offset:         32
        .size:           8
        .value_kind:     global_buffer
      - .actual_access:  read_only
        .address_space:  global
        .offset:         40
        .size:           8
        .value_kind:     global_buffer
      - .actual_access:  read_only
        .address_space:  global
        .offset:         48
        .size:           8
        .value_kind:     global_buffer
      - .offset:         56
        .size:           4
        .value_kind:     by_value
      - .actual_access:  read_only
        .address_space:  global
        .offset:         64
        .size:           8
        .value_kind:     global_buffer
      - .offset:         72
        .size:           4
        .value_kind:     by_value
      - .offset:         76
        .size:           4
        .value_kind:     by_value
      - .offset:         80
        .size:           4
        .value_kind:     by_value
      - .actual_access:  write_only
        .address_space:  global
        .offset:         88
        .size:           8
        .value_kind:     global_buffer
      - .actual_access:  write_only
        .address_space:  global
        .offset:         96
        .size:           8
        .value_kind:     global_buffer
      - .actual_access:  write_only
        .address_space:  global
        .offset:         104
        .size:           8
        .value_kind:     global_buffer
      - .actual_access:  read_only
        .address_space:  global
        .offset:         112
        .size:           8
        .value_kind:     global_buffer
      - .offset:         120
        .size:           4
        .value_kind:     by_value
      - .address_space:  global
        .offset:         128
        .size:           8
        .value_kind:     global_buffer
      - .address_space:  global
        .offset:         136
        .size:           8
        .value_kind:     global_buffer
      - .offset:         144
        .size:           4
        .value_kind:     hidden_block_count_x
      - .offset:         148
        .size:           4
        .value_kind:     hidden_block_count_y
      - .offset:         152
        .size:           4
        .value_kind:     hidden_block_count_z
      - .offset:         156
        .size:           2
        .value_kind:     hidden_group_size_x
      - .offset:         158
        .size:           2
        .value_kind:     hidden_group_size_y
      - .offset:         160
        .size:           2
        .value_kind:     hidden_group_size_z
      - .offset:         162
        .size:           2
        .value_kind:     hidden_remainder_x
      - .offset:         164
        .size:           2
        .value_kind:     hidden_remainder_y
      - .offset:         166
        .size:           2
        .value_kind:     hidden_remainder_z
      - .offset:         184
        .size:           8
        .value_kind:     hidden_global_offset_x
      - .offset:         192
        .size:           8
        .value_kind:     hidden_global_offset_y
      - .offset:         200
        .size:           8
        .value_kind:     hidden_global_offset_z
      - .offset:         208
        .size:           2
        .value_kind:     hidden_grid_dims
    .group_segment_fixed_size: 8192
    .kernarg_segment_align: 8
    .kernarg_segment_size: 400
    .language:       OpenCL C
    .language_version:
      - 2
      - 0
    .max_flat_workgroup_size: 256
    .name:           _Z39paged_attention_ll4mi_QKV_mfma16_kernelIDF16_hLN4vllm18Fp8KVCacheDataTypeE1EDF16_Li16ELi128ELi256ELb1ELi10EL8MFMAType0EEvPKT_PKT0_S8_ifPKiSA_SA_iPKfiiiPfSD_PS3_PT2_iSC_SC_
    .private_segment_fixed_size: 352
    .sgpr_count:     57
    .sgpr_spill_count: 0
    .symbol:         _Z39paged_attention_ll4mi_QKV_mfma16_kernelIDF16_hLN4vllm18Fp8KVCacheDataTypeE1EDF16_Li16ELi128ELi256ELb1ELi10EL8MFMAType0EEvPKT_PKT0_S8_ifPKiSA_SA_iPKfiiiPfSD_PS3_PT2_iSC_SC_.kd
    .uniform_work_group_size: 1
    .uses_dynamic_stack: false
    .vgpr_count:     80
    .vgpr_spill_count: 0
    .wavefront_size: 64
  - .agpr_count:     0
    .args:
      - .actual_access:  read_only
        .address_space:  global
        .offset:         0
        .size:           8
        .value_kind:     global_buffer
      - .actual_access:  read_only
        .address_space:  global
        .offset:         8
        .size:           8
        .value_kind:     global_buffer
      - .actual_access:  read_only
        .address_space:  global
        .offset:         16
        .size:           8
        .value_kind:     global_buffer
      - .offset:         24
        .size:           4
        .value_kind:     by_value
      - .offset:         28
        .size:           4
        .value_kind:     by_value
      - .actual_access:  read_only
        .address_space:  global
        .offset:         32
        .size:           8
        .value_kind:     global_buffer
      - .actual_access:  read_only
        .address_space:  global
        .offset:         40
        .size:           8
        .value_kind:     global_buffer
      - .actual_access:  read_only
        .address_space:  global
        .offset:         48
        .size:           8
        .value_kind:     global_buffer
      - .offset:         56
        .size:           4
        .value_kind:     by_value
      - .actual_access:  read_only
        .address_space:  global
        .offset:         64
        .size:           8
        .value_kind:     global_buffer
      - .offset:         72
        .size:           4
        .value_kind:     by_value
      - .offset:         76
        .size:           4
        .value_kind:     by_value
      - .offset:         80
        .size:           4
        .value_kind:     by_value
      - .actual_access:  write_only
        .address_space:  global
        .offset:         88
        .size:           8
        .value_kind:     global_buffer
      - .actual_access:  write_only
        .address_space:  global
        .offset:         96
        .size:           8
        .value_kind:     global_buffer
      - .actual_access:  write_only
        .address_space:  global
        .offset:         104
        .size:           8
        .value_kind:     global_buffer
      - .actual_access:  read_only
        .address_space:  global
        .offset:         112
        .size:           8
        .value_kind:     global_buffer
      - .offset:         120
        .size:           4
        .value_kind:     by_value
      - .address_space:  global
        .offset:         128
        .size:           8
        .value_kind:     global_buffer
      - .address_space:  global
        .offset:         136
        .size:           8
        .value_kind:     global_buffer
      - .offset:         144
        .size:           4
        .value_kind:     hidden_block_count_x
      - .offset:         148
        .size:           4
        .value_kind:     hidden_block_count_y
      - .offset:         152
        .size:           4
        .value_kind:     hidden_block_count_z
      - .offset:         156
        .size:           2
        .value_kind:     hidden_group_size_x
      - .offset:         158
        .size:           2
        .value_kind:     hidden_group_size_y
      - .offset:         160
        .size:           2
        .value_kind:     hidden_group_size_z
      - .offset:         162
        .size:           2
        .value_kind:     hidden_remainder_x
      - .offset:         164
        .size:           2
        .value_kind:     hidden_remainder_y
      - .offset:         166
        .size:           2
        .value_kind:     hidden_remainder_z
      - .offset:         184
        .size:           8
        .value_kind:     hidden_global_offset_x
      - .offset:         192
        .size:           8
        .value_kind:     hidden_global_offset_y
      - .offset:         200
        .size:           8
        .value_kind:     hidden_global_offset_z
      - .offset:         208
        .size:           2
        .value_kind:     hidden_grid_dims
    .group_segment_fixed_size: 8192
    .kernarg_segment_align: 8
    .kernarg_segment_size: 400
    .language:       OpenCL C
    .language_version:
      - 2
      - 0
    .max_flat_workgroup_size: 256
    .name:           _Z39paged_attention_ll4mi_QKV_mfma16_kernelIDF16_hLN4vllm18Fp8KVCacheDataTypeE1EDF16_Li16ELi128ELi256ELb1ELi11EL8MFMAType0EEvPKT_PKT0_S8_ifPKiSA_SA_iPKfiiiPfSD_PS3_PT2_iSC_SC_
    .private_segment_fixed_size: 352
    .sgpr_count:     57
    .sgpr_spill_count: 0
    .symbol:         _Z39paged_attention_ll4mi_QKV_mfma16_kernelIDF16_hLN4vllm18Fp8KVCacheDataTypeE1EDF16_Li16ELi128ELi256ELb1ELi11EL8MFMAType0EEvPKT_PKT0_S8_ifPKiSA_SA_iPKfiiiPfSD_PS3_PT2_iSC_SC_.kd
    .uniform_work_group_size: 1
    .uses_dynamic_stack: false
    .vgpr_count:     80
    .vgpr_spill_count: 0
    .wavefront_size: 64
  - .agpr_count:     0
    .args:
      - .actual_access:  read_only
        .address_space:  global
        .offset:         0
        .size:           8
        .value_kind:     global_buffer
      - .actual_access:  read_only
        .address_space:  global
        .offset:         8
        .size:           8
        .value_kind:     global_buffer
      - .actual_access:  read_only
        .address_space:  global
        .offset:         16
        .size:           8
        .value_kind:     global_buffer
      - .offset:         24
        .size:           4
        .value_kind:     by_value
      - .offset:         28
        .size:           4
        .value_kind:     by_value
      - .actual_access:  read_only
        .address_space:  global
        .offset:         32
        .size:           8
        .value_kind:     global_buffer
      - .actual_access:  read_only
        .address_space:  global
        .offset:         40
        .size:           8
        .value_kind:     global_buffer
      - .actual_access:  read_only
        .address_space:  global
        .offset:         48
        .size:           8
        .value_kind:     global_buffer
      - .offset:         56
        .size:           4
        .value_kind:     by_value
      - .actual_access:  read_only
        .address_space:  global
        .offset:         64
        .size:           8
        .value_kind:     global_buffer
      - .offset:         72
        .size:           4
        .value_kind:     by_value
      - .offset:         76
        .size:           4
        .value_kind:     by_value
      - .offset:         80
        .size:           4
        .value_kind:     by_value
      - .actual_access:  write_only
        .address_space:  global
        .offset:         88
        .size:           8
        .value_kind:     global_buffer
      - .actual_access:  write_only
        .address_space:  global
        .offset:         96
        .size:           8
        .value_kind:     global_buffer
      - .actual_access:  write_only
        .address_space:  global
        .offset:         104
        .size:           8
        .value_kind:     global_buffer
      - .actual_access:  read_only
        .address_space:  global
        .offset:         112
        .size:           8
        .value_kind:     global_buffer
      - .offset:         120
        .size:           4
        .value_kind:     by_value
      - .address_space:  global
        .offset:         128
        .size:           8
        .value_kind:     global_buffer
      - .address_space:  global
        .offset:         136
        .size:           8
        .value_kind:     global_buffer
      - .offset:         144
        .size:           4
        .value_kind:     hidden_block_count_x
      - .offset:         148
        .size:           4
        .value_kind:     hidden_block_count_y
      - .offset:         152
        .size:           4
        .value_kind:     hidden_block_count_z
      - .offset:         156
        .size:           2
        .value_kind:     hidden_group_size_x
      - .offset:         158
        .size:           2
        .value_kind:     hidden_group_size_y
      - .offset:         160
        .size:           2
        .value_kind:     hidden_group_size_z
      - .offset:         162
        .size:           2
        .value_kind:     hidden_remainder_x
      - .offset:         164
        .size:           2
        .value_kind:     hidden_remainder_y
      - .offset:         166
        .size:           2
        .value_kind:     hidden_remainder_z
      - .offset:         184
        .size:           8
        .value_kind:     hidden_global_offset_x
      - .offset:         192
        .size:           8
        .value_kind:     hidden_global_offset_y
      - .offset:         200
        .size:           8
        .value_kind:     hidden_global_offset_z
      - .offset:         208
        .size:           2
        .value_kind:     hidden_grid_dims
    .group_segment_fixed_size: 8192
    .kernarg_segment_align: 8
    .kernarg_segment_size: 400
    .language:       OpenCL C
    .language_version:
      - 2
      - 0
    .max_flat_workgroup_size: 256
    .name:           _Z39paged_attention_ll4mi_QKV_mfma16_kernelIDF16_hLN4vllm18Fp8KVCacheDataTypeE1EDF16_Li16ELi128ELi256ELb1ELi12EL8MFMAType0EEvPKT_PKT0_S8_ifPKiSA_SA_iPKfiiiPfSD_PS3_PT2_iSC_SC_
    .private_segment_fixed_size: 352
    .sgpr_count:     57
    .sgpr_spill_count: 0
    .symbol:         _Z39paged_attention_ll4mi_QKV_mfma16_kernelIDF16_hLN4vllm18Fp8KVCacheDataTypeE1EDF16_Li16ELi128ELi256ELb1ELi12EL8MFMAType0EEvPKT_PKT0_S8_ifPKiSA_SA_iPKfiiiPfSD_PS3_PT2_iSC_SC_.kd
    .uniform_work_group_size: 1
    .uses_dynamic_stack: false
    .vgpr_count:     80
    .vgpr_spill_count: 0
    .wavefront_size: 64
  - .agpr_count:     0
    .args:
      - .actual_access:  read_only
        .address_space:  global
        .offset:         0
        .size:           8
        .value_kind:     global_buffer
      - .actual_access:  read_only
        .address_space:  global
        .offset:         8
        .size:           8
        .value_kind:     global_buffer
      - .actual_access:  read_only
        .address_space:  global
        .offset:         16
        .size:           8
        .value_kind:     global_buffer
      - .offset:         24
        .size:           4
        .value_kind:     by_value
      - .offset:         28
        .size:           4
        .value_kind:     by_value
      - .actual_access:  read_only
        .address_space:  global
        .offset:         32
        .size:           8
        .value_kind:     global_buffer
      - .actual_access:  read_only
        .address_space:  global
        .offset:         40
        .size:           8
        .value_kind:     global_buffer
      - .actual_access:  read_only
        .address_space:  global
        .offset:         48
        .size:           8
        .value_kind:     global_buffer
      - .offset:         56
        .size:           4
        .value_kind:     by_value
      - .actual_access:  read_only
        .address_space:  global
        .offset:         64
        .size:           8
        .value_kind:     global_buffer
      - .offset:         72
        .size:           4
        .value_kind:     by_value
      - .offset:         76
        .size:           4
        .value_kind:     by_value
      - .offset:         80
        .size:           4
        .value_kind:     by_value
      - .actual_access:  write_only
        .address_space:  global
        .offset:         88
        .size:           8
        .value_kind:     global_buffer
      - .actual_access:  write_only
        .address_space:  global
        .offset:         96
        .size:           8
        .value_kind:     global_buffer
      - .actual_access:  write_only
        .address_space:  global
        .offset:         104
        .size:           8
        .value_kind:     global_buffer
      - .actual_access:  read_only
        .address_space:  global
        .offset:         112
        .size:           8
        .value_kind:     global_buffer
      - .offset:         120
        .size:           4
        .value_kind:     by_value
      - .address_space:  global
        .offset:         128
        .size:           8
        .value_kind:     global_buffer
      - .address_space:  global
        .offset:         136
        .size:           8
        .value_kind:     global_buffer
      - .offset:         144
        .size:           4
        .value_kind:     hidden_block_count_x
      - .offset:         148
        .size:           4
        .value_kind:     hidden_block_count_y
      - .offset:         152
        .size:           4
        .value_kind:     hidden_block_count_z
      - .offset:         156
        .size:           2
        .value_kind:     hidden_group_size_x
      - .offset:         158
        .size:           2
        .value_kind:     hidden_group_size_y
      - .offset:         160
        .size:           2
        .value_kind:     hidden_group_size_z
      - .offset:         162
        .size:           2
        .value_kind:     hidden_remainder_x
      - .offset:         164
        .size:           2
        .value_kind:     hidden_remainder_y
      - .offset:         166
        .size:           2
        .value_kind:     hidden_remainder_z
      - .offset:         184
        .size:           8
        .value_kind:     hidden_global_offset_x
      - .offset:         192
        .size:           8
        .value_kind:     hidden_global_offset_y
      - .offset:         200
        .size:           8
        .value_kind:     hidden_global_offset_z
      - .offset:         208
        .size:           2
        .value_kind:     hidden_grid_dims
    .group_segment_fixed_size: 8192
    .kernarg_segment_align: 8
    .kernarg_segment_size: 400
    .language:       OpenCL C
    .language_version:
      - 2
      - 0
    .max_flat_workgroup_size: 256
    .name:           _Z39paged_attention_ll4mi_QKV_mfma16_kernelIDF16_hLN4vllm18Fp8KVCacheDataTypeE1EDF16_Li16ELi128ELi256ELb1ELi13EL8MFMAType0EEvPKT_PKT0_S8_ifPKiSA_SA_iPKfiiiPfSD_PS3_PT2_iSC_SC_
    .private_segment_fixed_size: 352
    .sgpr_count:     57
    .sgpr_spill_count: 0
    .symbol:         _Z39paged_attention_ll4mi_QKV_mfma16_kernelIDF16_hLN4vllm18Fp8KVCacheDataTypeE1EDF16_Li16ELi128ELi256ELb1ELi13EL8MFMAType0EEvPKT_PKT0_S8_ifPKiSA_SA_iPKfiiiPfSD_PS3_PT2_iSC_SC_.kd
    .uniform_work_group_size: 1
    .uses_dynamic_stack: false
    .vgpr_count:     80
    .vgpr_spill_count: 0
    .wavefront_size: 64
  - .agpr_count:     0
    .args:
      - .actual_access:  read_only
        .address_space:  global
        .offset:         0
        .size:           8
        .value_kind:     global_buffer
      - .actual_access:  read_only
        .address_space:  global
        .offset:         8
        .size:           8
        .value_kind:     global_buffer
      - .actual_access:  read_only
        .address_space:  global
        .offset:         16
        .size:           8
        .value_kind:     global_buffer
      - .offset:         24
        .size:           4
        .value_kind:     by_value
      - .offset:         28
        .size:           4
        .value_kind:     by_value
      - .actual_access:  read_only
        .address_space:  global
        .offset:         32
        .size:           8
        .value_kind:     global_buffer
      - .actual_access:  read_only
        .address_space:  global
        .offset:         40
        .size:           8
        .value_kind:     global_buffer
      - .actual_access:  read_only
        .address_space:  global
        .offset:         48
        .size:           8
        .value_kind:     global_buffer
      - .offset:         56
        .size:           4
        .value_kind:     by_value
      - .actual_access:  read_only
        .address_space:  global
        .offset:         64
        .size:           8
        .value_kind:     global_buffer
      - .offset:         72
        .size:           4
        .value_kind:     by_value
      - .offset:         76
        .size:           4
        .value_kind:     by_value
      - .offset:         80
        .size:           4
        .value_kind:     by_value
      - .actual_access:  write_only
        .address_space:  global
        .offset:         88
        .size:           8
        .value_kind:     global_buffer
      - .actual_access:  write_only
        .address_space:  global
        .offset:         96
        .size:           8
        .value_kind:     global_buffer
      - .actual_access:  write_only
        .address_space:  global
        .offset:         104
        .size:           8
        .value_kind:     global_buffer
      - .actual_access:  read_only
        .address_space:  global
        .offset:         112
        .size:           8
        .value_kind:     global_buffer
      - .offset:         120
        .size:           4
        .value_kind:     by_value
      - .address_space:  global
        .offset:         128
        .size:           8
        .value_kind:     global_buffer
      - .address_space:  global
        .offset:         136
        .size:           8
        .value_kind:     global_buffer
      - .offset:         144
        .size:           4
        .value_kind:     hidden_block_count_x
      - .offset:         148
        .size:           4
        .value_kind:     hidden_block_count_y
      - .offset:         152
        .size:           4
        .value_kind:     hidden_block_count_z
      - .offset:         156
        .size:           2
        .value_kind:     hidden_group_size_x
      - .offset:         158
        .size:           2
        .value_kind:     hidden_group_size_y
      - .offset:         160
        .size:           2
        .value_kind:     hidden_group_size_z
      - .offset:         162
        .size:           2
        .value_kind:     hidden_remainder_x
      - .offset:         164
        .size:           2
        .value_kind:     hidden_remainder_y
      - .offset:         166
        .size:           2
        .value_kind:     hidden_remainder_z
      - .offset:         184
        .size:           8
        .value_kind:     hidden_global_offset_x
      - .offset:         192
        .size:           8
        .value_kind:     hidden_global_offset_y
      - .offset:         200
        .size:           8
        .value_kind:     hidden_global_offset_z
      - .offset:         208
        .size:           2
        .value_kind:     hidden_grid_dims
    .group_segment_fixed_size: 8192
    .kernarg_segment_align: 8
    .kernarg_segment_size: 400
    .language:       OpenCL C
    .language_version:
      - 2
      - 0
    .max_flat_workgroup_size: 256
    .name:           _Z39paged_attention_ll4mi_QKV_mfma16_kernelIDF16_hLN4vllm18Fp8KVCacheDataTypeE1EDF16_Li16ELi128ELi256ELb1ELi14EL8MFMAType0EEvPKT_PKT0_S8_ifPKiSA_SA_iPKfiiiPfSD_PS3_PT2_iSC_SC_
    .private_segment_fixed_size: 352
    .sgpr_count:     57
    .sgpr_spill_count: 0
    .symbol:         _Z39paged_attention_ll4mi_QKV_mfma16_kernelIDF16_hLN4vllm18Fp8KVCacheDataTypeE1EDF16_Li16ELi128ELi256ELb1ELi14EL8MFMAType0EEvPKT_PKT0_S8_ifPKiSA_SA_iPKfiiiPfSD_PS3_PT2_iSC_SC_.kd
    .uniform_work_group_size: 1
    .uses_dynamic_stack: false
    .vgpr_count:     80
    .vgpr_spill_count: 0
    .wavefront_size: 64
  - .agpr_count:     0
    .args:
      - .actual_access:  read_only
        .address_space:  global
        .offset:         0
        .size:           8
        .value_kind:     global_buffer
      - .actual_access:  read_only
        .address_space:  global
        .offset:         8
        .size:           8
        .value_kind:     global_buffer
      - .actual_access:  read_only
        .address_space:  global
        .offset:         16
        .size:           8
        .value_kind:     global_buffer
      - .offset:         24
        .size:           4
        .value_kind:     by_value
      - .offset:         28
        .size:           4
        .value_kind:     by_value
      - .actual_access:  read_only
        .address_space:  global
        .offset:         32
        .size:           8
        .value_kind:     global_buffer
      - .actual_access:  read_only
        .address_space:  global
        .offset:         40
        .size:           8
        .value_kind:     global_buffer
      - .actual_access:  read_only
        .address_space:  global
        .offset:         48
        .size:           8
        .value_kind:     global_buffer
      - .offset:         56
        .size:           4
        .value_kind:     by_value
      - .actual_access:  read_only
        .address_space:  global
        .offset:         64
        .size:           8
        .value_kind:     global_buffer
      - .offset:         72
        .size:           4
        .value_kind:     by_value
      - .offset:         76
        .size:           4
        .value_kind:     by_value
      - .offset:         80
        .size:           4
        .value_kind:     by_value
      - .actual_access:  write_only
        .address_space:  global
        .offset:         88
        .size:           8
        .value_kind:     global_buffer
      - .actual_access:  write_only
        .address_space:  global
        .offset:         96
        .size:           8
        .value_kind:     global_buffer
      - .actual_access:  write_only
        .address_space:  global
        .offset:         104
        .size:           8
        .value_kind:     global_buffer
      - .actual_access:  read_only
        .address_space:  global
        .offset:         112
        .size:           8
        .value_kind:     global_buffer
      - .offset:         120
        .size:           4
        .value_kind:     by_value
      - .address_space:  global
        .offset:         128
        .size:           8
        .value_kind:     global_buffer
      - .address_space:  global
        .offset:         136
        .size:           8
        .value_kind:     global_buffer
      - .offset:         144
        .size:           4
        .value_kind:     hidden_block_count_x
      - .offset:         148
        .size:           4
        .value_kind:     hidden_block_count_y
      - .offset:         152
        .size:           4
        .value_kind:     hidden_block_count_z
      - .offset:         156
        .size:           2
        .value_kind:     hidden_group_size_x
      - .offset:         158
        .size:           2
        .value_kind:     hidden_group_size_y
      - .offset:         160
        .size:           2
        .value_kind:     hidden_group_size_z
      - .offset:         162
        .size:           2
        .value_kind:     hidden_remainder_x
      - .offset:         164
        .size:           2
        .value_kind:     hidden_remainder_y
      - .offset:         166
        .size:           2
        .value_kind:     hidden_remainder_z
      - .offset:         184
        .size:           8
        .value_kind:     hidden_global_offset_x
      - .offset:         192
        .size:           8
        .value_kind:     hidden_global_offset_y
      - .offset:         200
        .size:           8
        .value_kind:     hidden_global_offset_z
      - .offset:         208
        .size:           2
        .value_kind:     hidden_grid_dims
    .group_segment_fixed_size: 8192
    .kernarg_segment_align: 8
    .kernarg_segment_size: 400
    .language:       OpenCL C
    .language_version:
      - 2
      - 0
    .max_flat_workgroup_size: 256
    .name:           _Z39paged_attention_ll4mi_QKV_mfma16_kernelIDF16_hLN4vllm18Fp8KVCacheDataTypeE1EDF16_Li16ELi128ELi256ELb1ELi15EL8MFMAType0EEvPKT_PKT0_S8_ifPKiSA_SA_iPKfiiiPfSD_PS3_PT2_iSC_SC_
    .private_segment_fixed_size: 352
    .sgpr_count:     57
    .sgpr_spill_count: 0
    .symbol:         _Z39paged_attention_ll4mi_QKV_mfma16_kernelIDF16_hLN4vllm18Fp8KVCacheDataTypeE1EDF16_Li16ELi128ELi256ELb1ELi15EL8MFMAType0EEvPKT_PKT0_S8_ifPKiSA_SA_iPKfiiiPfSD_PS3_PT2_iSC_SC_.kd
    .uniform_work_group_size: 1
    .uses_dynamic_stack: false
    .vgpr_count:     80
    .vgpr_spill_count: 0
    .wavefront_size: 64
  - .agpr_count:     0
    .args:
      - .actual_access:  read_only
        .address_space:  global
        .offset:         0
        .size:           8
        .value_kind:     global_buffer
      - .actual_access:  read_only
        .address_space:  global
        .offset:         8
        .size:           8
        .value_kind:     global_buffer
      - .actual_access:  read_only
        .address_space:  global
        .offset:         16
        .size:           8
        .value_kind:     global_buffer
      - .offset:         24
        .size:           4
        .value_kind:     by_value
      - .offset:         28
        .size:           4
        .value_kind:     by_value
      - .actual_access:  read_only
        .address_space:  global
        .offset:         32
        .size:           8
        .value_kind:     global_buffer
      - .actual_access:  read_only
        .address_space:  global
        .offset:         40
        .size:           8
        .value_kind:     global_buffer
      - .actual_access:  read_only
        .address_space:  global
        .offset:         48
        .size:           8
        .value_kind:     global_buffer
      - .offset:         56
        .size:           4
        .value_kind:     by_value
      - .actual_access:  read_only
        .address_space:  global
        .offset:         64
        .size:           8
        .value_kind:     global_buffer
      - .offset:         72
        .size:           4
        .value_kind:     by_value
      - .offset:         76
        .size:           4
        .value_kind:     by_value
      - .offset:         80
        .size:           4
        .value_kind:     by_value
      - .actual_access:  write_only
        .address_space:  global
        .offset:         88
        .size:           8
        .value_kind:     global_buffer
      - .actual_access:  write_only
        .address_space:  global
        .offset:         96
        .size:           8
        .value_kind:     global_buffer
      - .actual_access:  write_only
        .address_space:  global
        .offset:         104
        .size:           8
        .value_kind:     global_buffer
      - .actual_access:  read_only
        .address_space:  global
        .offset:         112
        .size:           8
        .value_kind:     global_buffer
      - .offset:         120
        .size:           4
        .value_kind:     by_value
      - .address_space:  global
        .offset:         128
        .size:           8
        .value_kind:     global_buffer
      - .address_space:  global
        .offset:         136
        .size:           8
        .value_kind:     global_buffer
      - .offset:         144
        .size:           4
        .value_kind:     hidden_block_count_x
      - .offset:         148
        .size:           4
        .value_kind:     hidden_block_count_y
      - .offset:         152
        .size:           4
        .value_kind:     hidden_block_count_z
      - .offset:         156
        .size:           2
        .value_kind:     hidden_group_size_x
      - .offset:         158
        .size:           2
        .value_kind:     hidden_group_size_y
      - .offset:         160
        .size:           2
        .value_kind:     hidden_group_size_z
      - .offset:         162
        .size:           2
        .value_kind:     hidden_remainder_x
      - .offset:         164
        .size:           2
        .value_kind:     hidden_remainder_y
      - .offset:         166
        .size:           2
        .value_kind:     hidden_remainder_z
      - .offset:         184
        .size:           8
        .value_kind:     hidden_global_offset_x
      - .offset:         192
        .size:           8
        .value_kind:     hidden_global_offset_y
      - .offset:         200
        .size:           8
        .value_kind:     hidden_global_offset_z
      - .offset:         208
        .size:           2
        .value_kind:     hidden_grid_dims
    .group_segment_fixed_size: 8192
    .kernarg_segment_align: 8
    .kernarg_segment_size: 400
    .language:       OpenCL C
    .language_version:
      - 2
      - 0
    .max_flat_workgroup_size: 256
    .name:           _Z39paged_attention_ll4mi_QKV_mfma16_kernelIDF16_hLN4vllm18Fp8KVCacheDataTypeE1EDF16_Li16ELi128ELi256ELb1ELi16EL8MFMAType0EEvPKT_PKT0_S8_ifPKiSA_SA_iPKfiiiPfSD_PS3_PT2_iSC_SC_
    .private_segment_fixed_size: 352
    .sgpr_count:     57
    .sgpr_spill_count: 0
    .symbol:         _Z39paged_attention_ll4mi_QKV_mfma16_kernelIDF16_hLN4vllm18Fp8KVCacheDataTypeE1EDF16_Li16ELi128ELi256ELb1ELi16EL8MFMAType0EEvPKT_PKT0_S8_ifPKiSA_SA_iPKfiiiPfSD_PS3_PT2_iSC_SC_.kd
    .uniform_work_group_size: 1
    .uses_dynamic_stack: false
    .vgpr_count:     78
    .vgpr_spill_count: 0
    .wavefront_size: 64
  - .agpr_count:     0
    .args:
      - .actual_access:  read_only
        .address_space:  global
        .offset:         0
        .size:           8
        .value_kind:     global_buffer
      - .actual_access:  read_only
        .address_space:  global
        .offset:         8
        .size:           8
        .value_kind:     global_buffer
      - .actual_access:  read_only
        .address_space:  global
        .offset:         16
        .size:           8
        .value_kind:     global_buffer
      - .offset:         24
        .size:           4
        .value_kind:     by_value
      - .offset:         28
        .size:           4
        .value_kind:     by_value
      - .actual_access:  read_only
        .address_space:  global
        .offset:         32
        .size:           8
        .value_kind:     global_buffer
      - .actual_access:  read_only
        .address_space:  global
        .offset:         40
        .size:           8
        .value_kind:     global_buffer
      - .actual_access:  read_only
        .address_space:  global
        .offset:         48
        .size:           8
        .value_kind:     global_buffer
      - .offset:         56
        .size:           4
        .value_kind:     by_value
      - .actual_access:  read_only
        .address_space:  global
        .offset:         64
        .size:           8
        .value_kind:     global_buffer
      - .offset:         72
        .size:           4
        .value_kind:     by_value
      - .offset:         76
        .size:           4
        .value_kind:     by_value
      - .offset:         80
        .size:           4
        .value_kind:     by_value
      - .actual_access:  write_only
        .address_space:  global
        .offset:         88
        .size:           8
        .value_kind:     global_buffer
      - .actual_access:  write_only
        .address_space:  global
        .offset:         96
        .size:           8
        .value_kind:     global_buffer
      - .actual_access:  write_only
        .address_space:  global
        .offset:         104
        .size:           8
        .value_kind:     global_buffer
      - .actual_access:  read_only
        .address_space:  global
        .offset:         112
        .size:           8
        .value_kind:     global_buffer
      - .offset:         120
        .size:           4
        .value_kind:     by_value
      - .address_space:  global
        .offset:         128
        .size:           8
        .value_kind:     global_buffer
      - .address_space:  global
        .offset:         136
        .size:           8
        .value_kind:     global_buffer
      - .offset:         144
        .size:           4
        .value_kind:     hidden_block_count_x
      - .offset:         148
        .size:           4
        .value_kind:     hidden_block_count_y
      - .offset:         152
        .size:           4
        .value_kind:     hidden_block_count_z
      - .offset:         156
        .size:           2
        .value_kind:     hidden_group_size_x
      - .offset:         158
        .size:           2
        .value_kind:     hidden_group_size_y
      - .offset:         160
        .size:           2
        .value_kind:     hidden_group_size_z
      - .offset:         162
        .size:           2
        .value_kind:     hidden_remainder_x
      - .offset:         164
        .size:           2
        .value_kind:     hidden_remainder_y
      - .offset:         166
        .size:           2
        .value_kind:     hidden_remainder_z
      - .offset:         184
        .size:           8
        .value_kind:     hidden_global_offset_x
      - .offset:         192
        .size:           8
        .value_kind:     hidden_global_offset_y
      - .offset:         200
        .size:           8
        .value_kind:     hidden_global_offset_z
      - .offset:         208
        .size:           2
        .value_kind:     hidden_grid_dims
    .group_segment_fixed_size: 8192
    .kernarg_segment_align: 8
    .kernarg_segment_size: 400
    .language:       OpenCL C
    .language_version:
      - 2
      - 0
    .max_flat_workgroup_size: 256
    .name:           _Z39paged_attention_ll4mi_QKV_mfma16_kernelIDF16_hLN4vllm18Fp8KVCacheDataTypeE1EDF16_Li16ELi128ELi256ELb1ELi1EL8MFMAType0EEvPKT_PKT0_S8_ifPKiSA_SA_iPKfiiiPfSD_PS3_PT2_iSC_SC_
    .private_segment_fixed_size: 352
    .sgpr_count:     60
    .sgpr_spill_count: 0
    .symbol:         _Z39paged_attention_ll4mi_QKV_mfma16_kernelIDF16_hLN4vllm18Fp8KVCacheDataTypeE1EDF16_Li16ELi128ELi256ELb1ELi1EL8MFMAType0EEvPKT_PKT0_S8_ifPKiSA_SA_iPKfiiiPfSD_PS3_PT2_iSC_SC_.kd
    .uniform_work_group_size: 1
    .uses_dynamic_stack: false
    .vgpr_count:     80
    .vgpr_spill_count: 0
    .wavefront_size: 64
  - .agpr_count:     0
    .args:
      - .actual_access:  read_only
        .address_space:  global
        .offset:         0
        .size:           8
        .value_kind:     global_buffer
      - .actual_access:  read_only
        .address_space:  global
        .offset:         8
        .size:           8
        .value_kind:     global_buffer
      - .actual_access:  read_only
        .address_space:  global
        .offset:         16
        .size:           8
        .value_kind:     global_buffer
      - .offset:         24
        .size:           4
        .value_kind:     by_value
      - .offset:         28
        .size:           4
        .value_kind:     by_value
      - .actual_access:  read_only
        .address_space:  global
        .offset:         32
        .size:           8
        .value_kind:     global_buffer
      - .actual_access:  read_only
        .address_space:  global
        .offset:         40
        .size:           8
        .value_kind:     global_buffer
      - .actual_access:  read_only
        .address_space:  global
        .offset:         48
        .size:           8
        .value_kind:     global_buffer
      - .offset:         56
        .size:           4
        .value_kind:     by_value
      - .actual_access:  read_only
        .address_space:  global
        .offset:         64
        .size:           8
        .value_kind:     global_buffer
      - .offset:         72
        .size:           4
        .value_kind:     by_value
      - .offset:         76
        .size:           4
        .value_kind:     by_value
      - .offset:         80
        .size:           4
        .value_kind:     by_value
      - .actual_access:  write_only
        .address_space:  global
        .offset:         88
        .size:           8
        .value_kind:     global_buffer
      - .actual_access:  write_only
        .address_space:  global
        .offset:         96
        .size:           8
        .value_kind:     global_buffer
      - .actual_access:  write_only
        .address_space:  global
        .offset:         104
        .size:           8
        .value_kind:     global_buffer
      - .actual_access:  read_only
        .address_space:  global
        .offset:         112
        .size:           8
        .value_kind:     global_buffer
      - .offset:         120
        .size:           4
        .value_kind:     by_value
      - .address_space:  global
        .offset:         128
        .size:           8
        .value_kind:     global_buffer
      - .address_space:  global
        .offset:         136
        .size:           8
        .value_kind:     global_buffer
      - .offset:         144
        .size:           4
        .value_kind:     hidden_block_count_x
      - .offset:         148
        .size:           4
        .value_kind:     hidden_block_count_y
      - .offset:         152
        .size:           4
        .value_kind:     hidden_block_count_z
      - .offset:         156
        .size:           2
        .value_kind:     hidden_group_size_x
      - .offset:         158
        .size:           2
        .value_kind:     hidden_group_size_y
      - .offset:         160
        .size:           2
        .value_kind:     hidden_group_size_z
      - .offset:         162
        .size:           2
        .value_kind:     hidden_remainder_x
      - .offset:         164
        .size:           2
        .value_kind:     hidden_remainder_y
      - .offset:         166
        .size:           2
        .value_kind:     hidden_remainder_z
      - .offset:         184
        .size:           8
        .value_kind:     hidden_global_offset_x
      - .offset:         192
        .size:           8
        .value_kind:     hidden_global_offset_y
      - .offset:         200
        .size:           8
        .value_kind:     hidden_global_offset_z
      - .offset:         208
        .size:           2
        .value_kind:     hidden_grid_dims
    .group_segment_fixed_size: 8192
    .kernarg_segment_align: 8
    .kernarg_segment_size: 400
    .language:       OpenCL C
    .language_version:
      - 2
      - 0
    .max_flat_workgroup_size: 256
    .name:           _Z39paged_attention_ll4mi_QKV_mfma16_kernelIDF16_hLN4vllm18Fp8KVCacheDataTypeE1EDF16_Li16ELi128ELi256ELb1ELi2EL8MFMAType0EEvPKT_PKT0_S8_ifPKiSA_SA_iPKfiiiPfSD_PS3_PT2_iSC_SC_
    .private_segment_fixed_size: 352
    .sgpr_count:     57
    .sgpr_spill_count: 0
    .symbol:         _Z39paged_attention_ll4mi_QKV_mfma16_kernelIDF16_hLN4vllm18Fp8KVCacheDataTypeE1EDF16_Li16ELi128ELi256ELb1ELi2EL8MFMAType0EEvPKT_PKT0_S8_ifPKiSA_SA_iPKfiiiPfSD_PS3_PT2_iSC_SC_.kd
    .uniform_work_group_size: 1
    .uses_dynamic_stack: false
    .vgpr_count:     82
    .vgpr_spill_count: 0
    .wavefront_size: 64
  - .agpr_count:     0
    .args:
      - .actual_access:  read_only
        .address_space:  global
        .offset:         0
        .size:           8
        .value_kind:     global_buffer
      - .actual_access:  read_only
        .address_space:  global
        .offset:         8
        .size:           8
        .value_kind:     global_buffer
      - .actual_access:  read_only
        .address_space:  global
        .offset:         16
        .size:           8
        .value_kind:     global_buffer
      - .offset:         24
        .size:           4
        .value_kind:     by_value
      - .offset:         28
        .size:           4
        .value_kind:     by_value
      - .actual_access:  read_only
        .address_space:  global
        .offset:         32
        .size:           8
        .value_kind:     global_buffer
      - .actual_access:  read_only
        .address_space:  global
        .offset:         40
        .size:           8
        .value_kind:     global_buffer
      - .actual_access:  read_only
        .address_space:  global
        .offset:         48
        .size:           8
        .value_kind:     global_buffer
      - .offset:         56
        .size:           4
        .value_kind:     by_value
      - .actual_access:  read_only
        .address_space:  global
        .offset:         64
        .size:           8
        .value_kind:     global_buffer
      - .offset:         72
        .size:           4
        .value_kind:     by_value
      - .offset:         76
        .size:           4
        .value_kind:     by_value
      - .offset:         80
        .size:           4
        .value_kind:     by_value
      - .actual_access:  write_only
        .address_space:  global
        .offset:         88
        .size:           8
        .value_kind:     global_buffer
      - .actual_access:  write_only
        .address_space:  global
        .offset:         96
        .size:           8
        .value_kind:     global_buffer
      - .actual_access:  write_only
        .address_space:  global
        .offset:         104
        .size:           8
        .value_kind:     global_buffer
      - .actual_access:  read_only
        .address_space:  global
        .offset:         112
        .size:           8
        .value_kind:     global_buffer
      - .offset:         120
        .size:           4
        .value_kind:     by_value
      - .address_space:  global
        .offset:         128
        .size:           8
        .value_kind:     global_buffer
      - .address_space:  global
        .offset:         136
        .size:           8
        .value_kind:     global_buffer
      - .offset:         144
        .size:           4
        .value_kind:     hidden_block_count_x
      - .offset:         148
        .size:           4
        .value_kind:     hidden_block_count_y
      - .offset:         152
        .size:           4
        .value_kind:     hidden_block_count_z
      - .offset:         156
        .size:           2
        .value_kind:     hidden_group_size_x
      - .offset:         158
        .size:           2
        .value_kind:     hidden_group_size_y
      - .offset:         160
        .size:           2
        .value_kind:     hidden_group_size_z
      - .offset:         162
        .size:           2
        .value_kind:     hidden_remainder_x
      - .offset:         164
        .size:           2
        .value_kind:     hidden_remainder_y
      - .offset:         166
        .size:           2
        .value_kind:     hidden_remainder_z
      - .offset:         184
        .size:           8
        .value_kind:     hidden_global_offset_x
      - .offset:         192
        .size:           8
        .value_kind:     hidden_global_offset_y
      - .offset:         200
        .size:           8
        .value_kind:     hidden_global_offset_z
      - .offset:         208
        .size:           2
        .value_kind:     hidden_grid_dims
    .group_segment_fixed_size: 8192
    .kernarg_segment_align: 8
    .kernarg_segment_size: 400
    .language:       OpenCL C
    .language_version:
      - 2
      - 0
    .max_flat_workgroup_size: 256
    .name:           _Z39paged_attention_ll4mi_QKV_mfma16_kernelIDF16_hLN4vllm18Fp8KVCacheDataTypeE1EDF16_Li16ELi128ELi256ELb1ELi3EL8MFMAType0EEvPKT_PKT0_S8_ifPKiSA_SA_iPKfiiiPfSD_PS3_PT2_iSC_SC_
    .private_segment_fixed_size: 352
    .sgpr_count:     57
    .sgpr_spill_count: 0
    .symbol:         _Z39paged_attention_ll4mi_QKV_mfma16_kernelIDF16_hLN4vllm18Fp8KVCacheDataTypeE1EDF16_Li16ELi128ELi256ELb1ELi3EL8MFMAType0EEvPKT_PKT0_S8_ifPKiSA_SA_iPKfiiiPfSD_PS3_PT2_iSC_SC_.kd
    .uniform_work_group_size: 1
    .uses_dynamic_stack: false
    .vgpr_count:     82
    .vgpr_spill_count: 0
    .wavefront_size: 64
  - .agpr_count:     0
    .args:
      - .actual_access:  read_only
        .address_space:  global
        .offset:         0
        .size:           8
        .value_kind:     global_buffer
      - .actual_access:  read_only
        .address_space:  global
        .offset:         8
        .size:           8
        .value_kind:     global_buffer
      - .actual_access:  read_only
        .address_space:  global
        .offset:         16
        .size:           8
        .value_kind:     global_buffer
      - .offset:         24
        .size:           4
        .value_kind:     by_value
      - .offset:         28
        .size:           4
        .value_kind:     by_value
      - .actual_access:  read_only
        .address_space:  global
        .offset:         32
        .size:           8
        .value_kind:     global_buffer
      - .actual_access:  read_only
        .address_space:  global
        .offset:         40
        .size:           8
        .value_kind:     global_buffer
      - .actual_access:  read_only
        .address_space:  global
        .offset:         48
        .size:           8
        .value_kind:     global_buffer
      - .offset:         56
        .size:           4
        .value_kind:     by_value
      - .actual_access:  read_only
        .address_space:  global
        .offset:         64
        .size:           8
        .value_kind:     global_buffer
      - .offset:         72
        .size:           4
        .value_kind:     by_value
      - .offset:         76
        .size:           4
        .value_kind:     by_value
      - .offset:         80
        .size:           4
        .value_kind:     by_value
      - .actual_access:  write_only
        .address_space:  global
        .offset:         88
        .size:           8
        .value_kind:     global_buffer
      - .actual_access:  write_only
        .address_space:  global
        .offset:         96
        .size:           8
        .value_kind:     global_buffer
      - .actual_access:  write_only
        .address_space:  global
        .offset:         104
        .size:           8
        .value_kind:     global_buffer
      - .actual_access:  read_only
        .address_space:  global
        .offset:         112
        .size:           8
        .value_kind:     global_buffer
      - .offset:         120
        .size:           4
        .value_kind:     by_value
      - .address_space:  global
        .offset:         128
        .size:           8
        .value_kind:     global_buffer
      - .address_space:  global
        .offset:         136
        .size:           8
        .value_kind:     global_buffer
      - .offset:         144
        .size:           4
        .value_kind:     hidden_block_count_x
      - .offset:         148
        .size:           4
        .value_kind:     hidden_block_count_y
      - .offset:         152
        .size:           4
        .value_kind:     hidden_block_count_z
      - .offset:         156
        .size:           2
        .value_kind:     hidden_group_size_x
      - .offset:         158
        .size:           2
        .value_kind:     hidden_group_size_y
      - .offset:         160
        .size:           2
        .value_kind:     hidden_group_size_z
      - .offset:         162
        .size:           2
        .value_kind:     hidden_remainder_x
      - .offset:         164
        .size:           2
        .value_kind:     hidden_remainder_y
      - .offset:         166
        .size:           2
        .value_kind:     hidden_remainder_z
      - .offset:         184
        .size:           8
        .value_kind:     hidden_global_offset_x
      - .offset:         192
        .size:           8
        .value_kind:     hidden_global_offset_y
      - .offset:         200
        .size:           8
        .value_kind:     hidden_global_offset_z
      - .offset:         208
        .size:           2
        .value_kind:     hidden_grid_dims
    .group_segment_fixed_size: 8192
    .kernarg_segment_align: 8
    .kernarg_segment_size: 400
    .language:       OpenCL C
    .language_version:
      - 2
      - 0
    .max_flat_workgroup_size: 256
    .name:           _Z39paged_attention_ll4mi_QKV_mfma16_kernelIDF16_hLN4vllm18Fp8KVCacheDataTypeE1EDF16_Li16ELi128ELi256ELb1ELi4EL8MFMAType0EEvPKT_PKT0_S8_ifPKiSA_SA_iPKfiiiPfSD_PS3_PT2_iSC_SC_
    .private_segment_fixed_size: 352
    .sgpr_count:     60
    .sgpr_spill_count: 0
    .symbol:         _Z39paged_attention_ll4mi_QKV_mfma16_kernelIDF16_hLN4vllm18Fp8KVCacheDataTypeE1EDF16_Li16ELi128ELi256ELb1ELi4EL8MFMAType0EEvPKT_PKT0_S8_ifPKiSA_SA_iPKfiiiPfSD_PS3_PT2_iSC_SC_.kd
    .uniform_work_group_size: 1
    .uses_dynamic_stack: false
    .vgpr_count:     82
    .vgpr_spill_count: 0
    .wavefront_size: 64
  - .agpr_count:     0
    .args:
      - .actual_access:  read_only
        .address_space:  global
        .offset:         0
        .size:           8
        .value_kind:     global_buffer
      - .actual_access:  read_only
        .address_space:  global
        .offset:         8
        .size:           8
        .value_kind:     global_buffer
      - .actual_access:  read_only
        .address_space:  global
        .offset:         16
        .size:           8
        .value_kind:     global_buffer
      - .offset:         24
        .size:           4
        .value_kind:     by_value
      - .offset:         28
        .size:           4
        .value_kind:     by_value
      - .actual_access:  read_only
        .address_space:  global
        .offset:         32
        .size:           8
        .value_kind:     global_buffer
      - .actual_access:  read_only
        .address_space:  global
        .offset:         40
        .size:           8
        .value_kind:     global_buffer
      - .actual_access:  read_only
        .address_space:  global
        .offset:         48
        .size:           8
        .value_kind:     global_buffer
      - .offset:         56
        .size:           4
        .value_kind:     by_value
      - .actual_access:  read_only
        .address_space:  global
        .offset:         64
        .size:           8
        .value_kind:     global_buffer
      - .offset:         72
        .size:           4
        .value_kind:     by_value
      - .offset:         76
        .size:           4
        .value_kind:     by_value
      - .offset:         80
        .size:           4
        .value_kind:     by_value
      - .actual_access:  write_only
        .address_space:  global
        .offset:         88
        .size:           8
        .value_kind:     global_buffer
      - .actual_access:  write_only
        .address_space:  global
        .offset:         96
        .size:           8
        .value_kind:     global_buffer
      - .actual_access:  write_only
        .address_space:  global
        .offset:         104
        .size:           8
        .value_kind:     global_buffer
      - .actual_access:  read_only
        .address_space:  global
        .offset:         112
        .size:           8
        .value_kind:     global_buffer
      - .offset:         120
        .size:           4
        .value_kind:     by_value
      - .address_space:  global
        .offset:         128
        .size:           8
        .value_kind:     global_buffer
      - .address_space:  global
        .offset:         136
        .size:           8
        .value_kind:     global_buffer
      - .offset:         144
        .size:           4
        .value_kind:     hidden_block_count_x
      - .offset:         148
        .size:           4
        .value_kind:     hidden_block_count_y
      - .offset:         152
        .size:           4
        .value_kind:     hidden_block_count_z
      - .offset:         156
        .size:           2
        .value_kind:     hidden_group_size_x
      - .offset:         158
        .size:           2
        .value_kind:     hidden_group_size_y
      - .offset:         160
        .size:           2
        .value_kind:     hidden_group_size_z
      - .offset:         162
        .size:           2
        .value_kind:     hidden_remainder_x
      - .offset:         164
        .size:           2
        .value_kind:     hidden_remainder_y
      - .offset:         166
        .size:           2
        .value_kind:     hidden_remainder_z
      - .offset:         184
        .size:           8
        .value_kind:     hidden_global_offset_x
      - .offset:         192
        .size:           8
        .value_kind:     hidden_global_offset_y
      - .offset:         200
        .size:           8
        .value_kind:     hidden_global_offset_z
      - .offset:         208
        .size:           2
        .value_kind:     hidden_grid_dims
    .group_segment_fixed_size: 8192
    .kernarg_segment_align: 8
    .kernarg_segment_size: 400
    .language:       OpenCL C
    .language_version:
      - 2
      - 0
    .max_flat_workgroup_size: 256
    .name:           _Z39paged_attention_ll4mi_QKV_mfma16_kernelIDF16_hLN4vllm18Fp8KVCacheDataTypeE1EDF16_Li16ELi128ELi256ELb0ELi5EL8MFMAType0EEvPKT_PKT0_S8_ifPKiSA_SA_iPKfiiiPfSD_PS3_PT2_iSC_SC_
    .private_segment_fixed_size: 352
    .sgpr_count:     57
    .sgpr_spill_count: 0
    .symbol:         _Z39paged_attention_ll4mi_QKV_mfma16_kernelIDF16_hLN4vllm18Fp8KVCacheDataTypeE1EDF16_Li16ELi128ELi256ELb0ELi5EL8MFMAType0EEvPKT_PKT0_S8_ifPKiSA_SA_iPKfiiiPfSD_PS3_PT2_iSC_SC_.kd
    .uniform_work_group_size: 1
    .uses_dynamic_stack: false
    .vgpr_count:     76
    .vgpr_spill_count: 0
    .wavefront_size: 64
  - .agpr_count:     0
    .args:
      - .actual_access:  read_only
        .address_space:  global
        .offset:         0
        .size:           8
        .value_kind:     global_buffer
      - .actual_access:  read_only
        .address_space:  global
        .offset:         8
        .size:           8
        .value_kind:     global_buffer
      - .actual_access:  read_only
        .address_space:  global
        .offset:         16
        .size:           8
        .value_kind:     global_buffer
      - .offset:         24
        .size:           4
        .value_kind:     by_value
      - .offset:         28
        .size:           4
        .value_kind:     by_value
      - .actual_access:  read_only
        .address_space:  global
        .offset:         32
        .size:           8
        .value_kind:     global_buffer
      - .actual_access:  read_only
        .address_space:  global
        .offset:         40
        .size:           8
        .value_kind:     global_buffer
      - .actual_access:  read_only
        .address_space:  global
        .offset:         48
        .size:           8
        .value_kind:     global_buffer
      - .offset:         56
        .size:           4
        .value_kind:     by_value
      - .actual_access:  read_only
        .address_space:  global
        .offset:         64
        .size:           8
        .value_kind:     global_buffer
      - .offset:         72
        .size:           4
        .value_kind:     by_value
      - .offset:         76
        .size:           4
        .value_kind:     by_value
      - .offset:         80
        .size:           4
        .value_kind:     by_value
      - .actual_access:  write_only
        .address_space:  global
        .offset:         88
        .size:           8
        .value_kind:     global_buffer
      - .actual_access:  write_only
        .address_space:  global
        .offset:         96
        .size:           8
        .value_kind:     global_buffer
      - .actual_access:  write_only
        .address_space:  global
        .offset:         104
        .size:           8
        .value_kind:     global_buffer
      - .actual_access:  read_only
        .address_space:  global
        .offset:         112
        .size:           8
        .value_kind:     global_buffer
      - .offset:         120
        .size:           4
        .value_kind:     by_value
      - .address_space:  global
        .offset:         128
        .size:           8
        .value_kind:     global_buffer
      - .address_space:  global
        .offset:         136
        .size:           8
        .value_kind:     global_buffer
      - .offset:         144
        .size:           4
        .value_kind:     hidden_block_count_x
      - .offset:         148
        .size:           4
        .value_kind:     hidden_block_count_y
      - .offset:         152
        .size:           4
        .value_kind:     hidden_block_count_z
      - .offset:         156
        .size:           2
        .value_kind:     hidden_group_size_x
      - .offset:         158
        .size:           2
        .value_kind:     hidden_group_size_y
      - .offset:         160
        .size:           2
        .value_kind:     hidden_group_size_z
      - .offset:         162
        .size:           2
        .value_kind:     hidden_remainder_x
      - .offset:         164
        .size:           2
        .value_kind:     hidden_remainder_y
      - .offset:         166
        .size:           2
        .value_kind:     hidden_remainder_z
      - .offset:         184
        .size:           8
        .value_kind:     hidden_global_offset_x
      - .offset:         192
        .size:           8
        .value_kind:     hidden_global_offset_y
      - .offset:         200
        .size:           8
        .value_kind:     hidden_global_offset_z
      - .offset:         208
        .size:           2
        .value_kind:     hidden_grid_dims
    .group_segment_fixed_size: 8192
    .kernarg_segment_align: 8
    .kernarg_segment_size: 400
    .language:       OpenCL C
    .language_version:
      - 2
      - 0
    .max_flat_workgroup_size: 256
    .name:           _Z39paged_attention_ll4mi_QKV_mfma16_kernelIDF16_hLN4vllm18Fp8KVCacheDataTypeE1EDF16_Li16ELi128ELi256ELb0ELi6EL8MFMAType0EEvPKT_PKT0_S8_ifPKiSA_SA_iPKfiiiPfSD_PS3_PT2_iSC_SC_
    .private_segment_fixed_size: 352
    .sgpr_count:     57
    .sgpr_spill_count: 0
    .symbol:         _Z39paged_attention_ll4mi_QKV_mfma16_kernelIDF16_hLN4vllm18Fp8KVCacheDataTypeE1EDF16_Li16ELi128ELi256ELb0ELi6EL8MFMAType0EEvPKT_PKT0_S8_ifPKiSA_SA_iPKfiiiPfSD_PS3_PT2_iSC_SC_.kd
    .uniform_work_group_size: 1
    .uses_dynamic_stack: false
    .vgpr_count:     76
    .vgpr_spill_count: 0
    .wavefront_size: 64
  - .agpr_count:     0
    .args:
      - .actual_access:  read_only
        .address_space:  global
        .offset:         0
        .size:           8
        .value_kind:     global_buffer
      - .actual_access:  read_only
        .address_space:  global
        .offset:         8
        .size:           8
        .value_kind:     global_buffer
      - .actual_access:  read_only
        .address_space:  global
        .offset:         16
        .size:           8
        .value_kind:     global_buffer
      - .offset:         24
        .size:           4
        .value_kind:     by_value
      - .offset:         28
        .size:           4
        .value_kind:     by_value
      - .actual_access:  read_only
        .address_space:  global
        .offset:         32
        .size:           8
        .value_kind:     global_buffer
      - .actual_access:  read_only
        .address_space:  global
        .offset:         40
        .size:           8
        .value_kind:     global_buffer
      - .actual_access:  read_only
        .address_space:  global
        .offset:         48
        .size:           8
        .value_kind:     global_buffer
      - .offset:         56
        .size:           4
        .value_kind:     by_value
      - .actual_access:  read_only
        .address_space:  global
        .offset:         64
        .size:           8
        .value_kind:     global_buffer
      - .offset:         72
        .size:           4
        .value_kind:     by_value
      - .offset:         76
        .size:           4
        .value_kind:     by_value
      - .offset:         80
        .size:           4
        .value_kind:     by_value
      - .actual_access:  write_only
        .address_space:  global
        .offset:         88
        .size:           8
        .value_kind:     global_buffer
      - .actual_access:  write_only
        .address_space:  global
        .offset:         96
        .size:           8
        .value_kind:     global_buffer
      - .actual_access:  write_only
        .address_space:  global
        .offset:         104
        .size:           8
        .value_kind:     global_buffer
      - .actual_access:  read_only
        .address_space:  global
        .offset:         112
        .size:           8
        .value_kind:     global_buffer
      - .offset:         120
        .size:           4
        .value_kind:     by_value
      - .address_space:  global
        .offset:         128
        .size:           8
        .value_kind:     global_buffer
      - .address_space:  global
        .offset:         136
        .size:           8
        .value_kind:     global_buffer
      - .offset:         144
        .size:           4
        .value_kind:     hidden_block_count_x
      - .offset:         148
        .size:           4
        .value_kind:     hidden_block_count_y
      - .offset:         152
        .size:           4
        .value_kind:     hidden_block_count_z
      - .offset:         156
        .size:           2
        .value_kind:     hidden_group_size_x
      - .offset:         158
        .size:           2
        .value_kind:     hidden_group_size_y
      - .offset:         160
        .size:           2
        .value_kind:     hidden_group_size_z
      - .offset:         162
        .size:           2
        .value_kind:     hidden_remainder_x
      - .offset:         164
        .size:           2
        .value_kind:     hidden_remainder_y
      - .offset:         166
        .size:           2
        .value_kind:     hidden_remainder_z
      - .offset:         184
        .size:           8
        .value_kind:     hidden_global_offset_x
      - .offset:         192
        .size:           8
        .value_kind:     hidden_global_offset_y
      - .offset:         200
        .size:           8
        .value_kind:     hidden_global_offset_z
      - .offset:         208
        .size:           2
        .value_kind:     hidden_grid_dims
    .group_segment_fixed_size: 8192
    .kernarg_segment_align: 8
    .kernarg_segment_size: 400
    .language:       OpenCL C
    .language_version:
      - 2
      - 0
    .max_flat_workgroup_size: 256
    .name:           _Z39paged_attention_ll4mi_QKV_mfma16_kernelIDF16_hLN4vllm18Fp8KVCacheDataTypeE1EDF16_Li16ELi128ELi256ELb0ELi7EL8MFMAType0EEvPKT_PKT0_S8_ifPKiSA_SA_iPKfiiiPfSD_PS3_PT2_iSC_SC_
    .private_segment_fixed_size: 352
    .sgpr_count:     57
    .sgpr_spill_count: 0
    .symbol:         _Z39paged_attention_ll4mi_QKV_mfma16_kernelIDF16_hLN4vllm18Fp8KVCacheDataTypeE1EDF16_Li16ELi128ELi256ELb0ELi7EL8MFMAType0EEvPKT_PKT0_S8_ifPKiSA_SA_iPKfiiiPfSD_PS3_PT2_iSC_SC_.kd
    .uniform_work_group_size: 1
    .uses_dynamic_stack: false
    .vgpr_count:     76
    .vgpr_spill_count: 0
    .wavefront_size: 64
  - .agpr_count:     0
    .args:
      - .actual_access:  read_only
        .address_space:  global
        .offset:         0
        .size:           8
        .value_kind:     global_buffer
      - .actual_access:  read_only
        .address_space:  global
        .offset:         8
        .size:           8
        .value_kind:     global_buffer
      - .actual_access:  read_only
        .address_space:  global
        .offset:         16
        .size:           8
        .value_kind:     global_buffer
      - .offset:         24
        .size:           4
        .value_kind:     by_value
      - .offset:         28
        .size:           4
        .value_kind:     by_value
      - .actual_access:  read_only
        .address_space:  global
        .offset:         32
        .size:           8
        .value_kind:     global_buffer
      - .actual_access:  read_only
        .address_space:  global
        .offset:         40
        .size:           8
        .value_kind:     global_buffer
      - .actual_access:  read_only
        .address_space:  global
        .offset:         48
        .size:           8
        .value_kind:     global_buffer
      - .offset:         56
        .size:           4
        .value_kind:     by_value
      - .actual_access:  read_only
        .address_space:  global
        .offset:         64
        .size:           8
        .value_kind:     global_buffer
      - .offset:         72
        .size:           4
        .value_kind:     by_value
      - .offset:         76
        .size:           4
        .value_kind:     by_value
      - .offset:         80
        .size:           4
        .value_kind:     by_value
      - .actual_access:  write_only
        .address_space:  global
        .offset:         88
        .size:           8
        .value_kind:     global_buffer
      - .actual_access:  write_only
        .address_space:  global
        .offset:         96
        .size:           8
        .value_kind:     global_buffer
      - .actual_access:  write_only
        .address_space:  global
        .offset:         104
        .size:           8
        .value_kind:     global_buffer
      - .actual_access:  read_only
        .address_space:  global
        .offset:         112
        .size:           8
        .value_kind:     global_buffer
      - .offset:         120
        .size:           4
        .value_kind:     by_value
      - .address_space:  global
        .offset:         128
        .size:           8
        .value_kind:     global_buffer
      - .address_space:  global
        .offset:         136
        .size:           8
        .value_kind:     global_buffer
      - .offset:         144
        .size:           4
        .value_kind:     hidden_block_count_x
      - .offset:         148
        .size:           4
        .value_kind:     hidden_block_count_y
      - .offset:         152
        .size:           4
        .value_kind:     hidden_block_count_z
      - .offset:         156
        .size:           2
        .value_kind:     hidden_group_size_x
      - .offset:         158
        .size:           2
        .value_kind:     hidden_group_size_y
      - .offset:         160
        .size:           2
        .value_kind:     hidden_group_size_z
      - .offset:         162
        .size:           2
        .value_kind:     hidden_remainder_x
      - .offset:         164
        .size:           2
        .value_kind:     hidden_remainder_y
      - .offset:         166
        .size:           2
        .value_kind:     hidden_remainder_z
      - .offset:         184
        .size:           8
        .value_kind:     hidden_global_offset_x
      - .offset:         192
        .size:           8
        .value_kind:     hidden_global_offset_y
      - .offset:         200
        .size:           8
        .value_kind:     hidden_global_offset_z
      - .offset:         208
        .size:           2
        .value_kind:     hidden_grid_dims
    .group_segment_fixed_size: 8192
    .kernarg_segment_align: 8
    .kernarg_segment_size: 400
    .language:       OpenCL C
    .language_version:
      - 2
      - 0
    .max_flat_workgroup_size: 256
    .name:           _Z39paged_attention_ll4mi_QKV_mfma16_kernelIDF16_hLN4vllm18Fp8KVCacheDataTypeE1EDF16_Li16ELi128ELi256ELb0ELi8EL8MFMAType0EEvPKT_PKT0_S8_ifPKiSA_SA_iPKfiiiPfSD_PS3_PT2_iSC_SC_
    .private_segment_fixed_size: 352
    .sgpr_count:     57
    .sgpr_spill_count: 0
    .symbol:         _Z39paged_attention_ll4mi_QKV_mfma16_kernelIDF16_hLN4vllm18Fp8KVCacheDataTypeE1EDF16_Li16ELi128ELi256ELb0ELi8EL8MFMAType0EEvPKT_PKT0_S8_ifPKiSA_SA_iPKfiiiPfSD_PS3_PT2_iSC_SC_.kd
    .uniform_work_group_size: 1
    .uses_dynamic_stack: false
    .vgpr_count:     80
    .vgpr_spill_count: 0
    .wavefront_size: 64
  - .agpr_count:     0
    .args:
      - .actual_access:  read_only
        .address_space:  global
        .offset:         0
        .size:           8
        .value_kind:     global_buffer
      - .actual_access:  read_only
        .address_space:  global
        .offset:         8
        .size:           8
        .value_kind:     global_buffer
      - .actual_access:  read_only
        .address_space:  global
        .offset:         16
        .size:           8
        .value_kind:     global_buffer
      - .offset:         24
        .size:           4
        .value_kind:     by_value
      - .offset:         28
        .size:           4
        .value_kind:     by_value
      - .actual_access:  read_only
        .address_space:  global
        .offset:         32
        .size:           8
        .value_kind:     global_buffer
      - .actual_access:  read_only
        .address_space:  global
        .offset:         40
        .size:           8
        .value_kind:     global_buffer
      - .actual_access:  read_only
        .address_space:  global
        .offset:         48
        .size:           8
        .value_kind:     global_buffer
      - .offset:         56
        .size:           4
        .value_kind:     by_value
      - .actual_access:  read_only
        .address_space:  global
        .offset:         64
        .size:           8
        .value_kind:     global_buffer
      - .offset:         72
        .size:           4
        .value_kind:     by_value
      - .offset:         76
        .size:           4
        .value_kind:     by_value
      - .offset:         80
        .size:           4
        .value_kind:     by_value
      - .actual_access:  write_only
        .address_space:  global
        .offset:         88
        .size:           8
        .value_kind:     global_buffer
      - .actual_access:  write_only
        .address_space:  global
        .offset:         96
        .size:           8
        .value_kind:     global_buffer
      - .actual_access:  write_only
        .address_space:  global
        .offset:         104
        .size:           8
        .value_kind:     global_buffer
      - .actual_access:  read_only
        .address_space:  global
        .offset:         112
        .size:           8
        .value_kind:     global_buffer
      - .offset:         120
        .size:           4
        .value_kind:     by_value
      - .address_space:  global
        .offset:         128
        .size:           8
        .value_kind:     global_buffer
      - .address_space:  global
        .offset:         136
        .size:           8
        .value_kind:     global_buffer
      - .offset:         144
        .size:           4
        .value_kind:     hidden_block_count_x
      - .offset:         148
        .size:           4
        .value_kind:     hidden_block_count_y
      - .offset:         152
        .size:           4
        .value_kind:     hidden_block_count_z
      - .offset:         156
        .size:           2
        .value_kind:     hidden_group_size_x
      - .offset:         158
        .size:           2
        .value_kind:     hidden_group_size_y
      - .offset:         160
        .size:           2
        .value_kind:     hidden_group_size_z
      - .offset:         162
        .size:           2
        .value_kind:     hidden_remainder_x
      - .offset:         164
        .size:           2
        .value_kind:     hidden_remainder_y
      - .offset:         166
        .size:           2
        .value_kind:     hidden_remainder_z
      - .offset:         184
        .size:           8
        .value_kind:     hidden_global_offset_x
      - .offset:         192
        .size:           8
        .value_kind:     hidden_global_offset_y
      - .offset:         200
        .size:           8
        .value_kind:     hidden_global_offset_z
      - .offset:         208
        .size:           2
        .value_kind:     hidden_grid_dims
    .group_segment_fixed_size: 8192
    .kernarg_segment_align: 8
    .kernarg_segment_size: 400
    .language:       OpenCL C
    .language_version:
      - 2
      - 0
    .max_flat_workgroup_size: 256
    .name:           _Z39paged_attention_ll4mi_QKV_mfma16_kernelIDF16_hLN4vllm18Fp8KVCacheDataTypeE1EDF16_Li16ELi128ELi256ELb0ELi9EL8MFMAType0EEvPKT_PKT0_S8_ifPKiSA_SA_iPKfiiiPfSD_PS3_PT2_iSC_SC_
    .private_segment_fixed_size: 352
    .sgpr_count:     57
    .sgpr_spill_count: 0
    .symbol:         _Z39paged_attention_ll4mi_QKV_mfma16_kernelIDF16_hLN4vllm18Fp8KVCacheDataTypeE1EDF16_Li16ELi128ELi256ELb0ELi9EL8MFMAType0EEvPKT_PKT0_S8_ifPKiSA_SA_iPKfiiiPfSD_PS3_PT2_iSC_SC_.kd
    .uniform_work_group_size: 1
    .uses_dynamic_stack: false
    .vgpr_count:     76
    .vgpr_spill_count: 0
    .wavefront_size: 64
  - .agpr_count:     0
    .args:
      - .actual_access:  read_only
        .address_space:  global
        .offset:         0
        .size:           8
        .value_kind:     global_buffer
      - .actual_access:  read_only
        .address_space:  global
        .offset:         8
        .size:           8
        .value_kind:     global_buffer
      - .actual_access:  read_only
        .address_space:  global
        .offset:         16
        .size:           8
        .value_kind:     global_buffer
      - .offset:         24
        .size:           4
        .value_kind:     by_value
      - .offset:         28
        .size:           4
        .value_kind:     by_value
      - .actual_access:  read_only
        .address_space:  global
        .offset:         32
        .size:           8
        .value_kind:     global_buffer
      - .actual_access:  read_only
        .address_space:  global
        .offset:         40
        .size:           8
        .value_kind:     global_buffer
      - .actual_access:  read_only
        .address_space:  global
        .offset:         48
        .size:           8
        .value_kind:     global_buffer
      - .offset:         56
        .size:           4
        .value_kind:     by_value
      - .actual_access:  read_only
        .address_space:  global
        .offset:         64
        .size:           8
        .value_kind:     global_buffer
      - .offset:         72
        .size:           4
        .value_kind:     by_value
      - .offset:         76
        .size:           4
        .value_kind:     by_value
      - .offset:         80
        .size:           4
        .value_kind:     by_value
      - .actual_access:  write_only
        .address_space:  global
        .offset:         88
        .size:           8
        .value_kind:     global_buffer
      - .actual_access:  write_only
        .address_space:  global
        .offset:         96
        .size:           8
        .value_kind:     global_buffer
      - .actual_access:  write_only
        .address_space:  global
        .offset:         104
        .size:           8
        .value_kind:     global_buffer
      - .actual_access:  read_only
        .address_space:  global
        .offset:         112
        .size:           8
        .value_kind:     global_buffer
      - .offset:         120
        .size:           4
        .value_kind:     by_value
      - .address_space:  global
        .offset:         128
        .size:           8
        .value_kind:     global_buffer
      - .address_space:  global
        .offset:         136
        .size:           8
        .value_kind:     global_buffer
      - .offset:         144
        .size:           4
        .value_kind:     hidden_block_count_x
      - .offset:         148
        .size:           4
        .value_kind:     hidden_block_count_y
      - .offset:         152
        .size:           4
        .value_kind:     hidden_block_count_z
      - .offset:         156
        .size:           2
        .value_kind:     hidden_group_size_x
      - .offset:         158
        .size:           2
        .value_kind:     hidden_group_size_y
      - .offset:         160
        .size:           2
        .value_kind:     hidden_group_size_z
      - .offset:         162
        .size:           2
        .value_kind:     hidden_remainder_x
      - .offset:         164
        .size:           2
        .value_kind:     hidden_remainder_y
      - .offset:         166
        .size:           2
        .value_kind:     hidden_remainder_z
      - .offset:         184
        .size:           8
        .value_kind:     hidden_global_offset_x
      - .offset:         192
        .size:           8
        .value_kind:     hidden_global_offset_y
      - .offset:         200
        .size:           8
        .value_kind:     hidden_global_offset_z
      - .offset:         208
        .size:           2
        .value_kind:     hidden_grid_dims
    .group_segment_fixed_size: 8192
    .kernarg_segment_align: 8
    .kernarg_segment_size: 400
    .language:       OpenCL C
    .language_version:
      - 2
      - 0
    .max_flat_workgroup_size: 256
    .name:           _Z39paged_attention_ll4mi_QKV_mfma16_kernelIDF16_hLN4vllm18Fp8KVCacheDataTypeE1EDF16_Li16ELi128ELi256ELb0ELi10EL8MFMAType0EEvPKT_PKT0_S8_ifPKiSA_SA_iPKfiiiPfSD_PS3_PT2_iSC_SC_
    .private_segment_fixed_size: 352
    .sgpr_count:     57
    .sgpr_spill_count: 0
    .symbol:         _Z39paged_attention_ll4mi_QKV_mfma16_kernelIDF16_hLN4vllm18Fp8KVCacheDataTypeE1EDF16_Li16ELi128ELi256ELb0ELi10EL8MFMAType0EEvPKT_PKT0_S8_ifPKiSA_SA_iPKfiiiPfSD_PS3_PT2_iSC_SC_.kd
    .uniform_work_group_size: 1
    .uses_dynamic_stack: false
    .vgpr_count:     76
    .vgpr_spill_count: 0
    .wavefront_size: 64
  - .agpr_count:     0
    .args:
      - .actual_access:  read_only
        .address_space:  global
        .offset:         0
        .size:           8
        .value_kind:     global_buffer
      - .actual_access:  read_only
        .address_space:  global
        .offset:         8
        .size:           8
        .value_kind:     global_buffer
      - .actual_access:  read_only
        .address_space:  global
        .offset:         16
        .size:           8
        .value_kind:     global_buffer
      - .offset:         24
        .size:           4
        .value_kind:     by_value
      - .offset:         28
        .size:           4
        .value_kind:     by_value
      - .actual_access:  read_only
        .address_space:  global
        .offset:         32
        .size:           8
        .value_kind:     global_buffer
      - .actual_access:  read_only
        .address_space:  global
        .offset:         40
        .size:           8
        .value_kind:     global_buffer
      - .actual_access:  read_only
        .address_space:  global
        .offset:         48
        .size:           8
        .value_kind:     global_buffer
      - .offset:         56
        .size:           4
        .value_kind:     by_value
      - .actual_access:  read_only
        .address_space:  global
        .offset:         64
        .size:           8
        .value_kind:     global_buffer
      - .offset:         72
        .size:           4
        .value_kind:     by_value
      - .offset:         76
        .size:           4
        .value_kind:     by_value
      - .offset:         80
        .size:           4
        .value_kind:     by_value
      - .actual_access:  write_only
        .address_space:  global
        .offset:         88
        .size:           8
        .value_kind:     global_buffer
      - .actual_access:  write_only
        .address_space:  global
        .offset:         96
        .size:           8
        .value_kind:     global_buffer
      - .actual_access:  write_only
        .address_space:  global
        .offset:         104
        .size:           8
        .value_kind:     global_buffer
      - .actual_access:  read_only
        .address_space:  global
        .offset:         112
        .size:           8
        .value_kind:     global_buffer
      - .offset:         120
        .size:           4
        .value_kind:     by_value
      - .address_space:  global
        .offset:         128
        .size:           8
        .value_kind:     global_buffer
      - .address_space:  global
        .offset:         136
        .size:           8
        .value_kind:     global_buffer
      - .offset:         144
        .size:           4
        .value_kind:     hidden_block_count_x
      - .offset:         148
        .size:           4
        .value_kind:     hidden_block_count_y
      - .offset:         152
        .size:           4
        .value_kind:     hidden_block_count_z
      - .offset:         156
        .size:           2
        .value_kind:     hidden_group_size_x
      - .offset:         158
        .size:           2
        .value_kind:     hidden_group_size_y
      - .offset:         160
        .size:           2
        .value_kind:     hidden_group_size_z
      - .offset:         162
        .size:           2
        .value_kind:     hidden_remainder_x
      - .offset:         164
        .size:           2
        .value_kind:     hidden_remainder_y
      - .offset:         166
        .size:           2
        .value_kind:     hidden_remainder_z
      - .offset:         184
        .size:           8
        .value_kind:     hidden_global_offset_x
      - .offset:         192
        .size:           8
        .value_kind:     hidden_global_offset_y
      - .offset:         200
        .size:           8
        .value_kind:     hidden_global_offset_z
      - .offset:         208
        .size:           2
        .value_kind:     hidden_grid_dims
    .group_segment_fixed_size: 8192
    .kernarg_segment_align: 8
    .kernarg_segment_size: 400
    .language:       OpenCL C
    .language_version:
      - 2
      - 0
    .max_flat_workgroup_size: 256
    .name:           _Z39paged_attention_ll4mi_QKV_mfma16_kernelIDF16_hLN4vllm18Fp8KVCacheDataTypeE1EDF16_Li16ELi128ELi256ELb0ELi11EL8MFMAType0EEvPKT_PKT0_S8_ifPKiSA_SA_iPKfiiiPfSD_PS3_PT2_iSC_SC_
    .private_segment_fixed_size: 352
    .sgpr_count:     57
    .sgpr_spill_count: 0
    .symbol:         _Z39paged_attention_ll4mi_QKV_mfma16_kernelIDF16_hLN4vllm18Fp8KVCacheDataTypeE1EDF16_Li16ELi128ELi256ELb0ELi11EL8MFMAType0EEvPKT_PKT0_S8_ifPKiSA_SA_iPKfiiiPfSD_PS3_PT2_iSC_SC_.kd
    .uniform_work_group_size: 1
    .uses_dynamic_stack: false
    .vgpr_count:     76
    .vgpr_spill_count: 0
    .wavefront_size: 64
  - .agpr_count:     0
    .args:
      - .actual_access:  read_only
        .address_space:  global
        .offset:         0
        .size:           8
        .value_kind:     global_buffer
      - .actual_access:  read_only
        .address_space:  global
        .offset:         8
        .size:           8
        .value_kind:     global_buffer
      - .actual_access:  read_only
        .address_space:  global
        .offset:         16
        .size:           8
        .value_kind:     global_buffer
      - .offset:         24
        .size:           4
        .value_kind:     by_value
      - .offset:         28
        .size:           4
        .value_kind:     by_value
      - .actual_access:  read_only
        .address_space:  global
        .offset:         32
        .size:           8
        .value_kind:     global_buffer
      - .actual_access:  read_only
        .address_space:  global
        .offset:         40
        .size:           8
        .value_kind:     global_buffer
      - .actual_access:  read_only
        .address_space:  global
        .offset:         48
        .size:           8
        .value_kind:     global_buffer
      - .offset:         56
        .size:           4
        .value_kind:     by_value
      - .actual_access:  read_only
        .address_space:  global
        .offset:         64
        .size:           8
        .value_kind:     global_buffer
      - .offset:         72
        .size:           4
        .value_kind:     by_value
      - .offset:         76
        .size:           4
        .value_kind:     by_value
      - .offset:         80
        .size:           4
        .value_kind:     by_value
      - .actual_access:  write_only
        .address_space:  global
        .offset:         88
        .size:           8
        .value_kind:     global_buffer
      - .actual_access:  write_only
        .address_space:  global
        .offset:         96
        .size:           8
        .value_kind:     global_buffer
      - .actual_access:  write_only
        .address_space:  global
        .offset:         104
        .size:           8
        .value_kind:     global_buffer
      - .actual_access:  read_only
        .address_space:  global
        .offset:         112
        .size:           8
        .value_kind:     global_buffer
      - .offset:         120
        .size:           4
        .value_kind:     by_value
      - .address_space:  global
        .offset:         128
        .size:           8
        .value_kind:     global_buffer
      - .address_space:  global
        .offset:         136
        .size:           8
        .value_kind:     global_buffer
      - .offset:         144
        .size:           4
        .value_kind:     hidden_block_count_x
      - .offset:         148
        .size:           4
        .value_kind:     hidden_block_count_y
      - .offset:         152
        .size:           4
        .value_kind:     hidden_block_count_z
      - .offset:         156
        .size:           2
        .value_kind:     hidden_group_size_x
      - .offset:         158
        .size:           2
        .value_kind:     hidden_group_size_y
      - .offset:         160
        .size:           2
        .value_kind:     hidden_group_size_z
      - .offset:         162
        .size:           2
        .value_kind:     hidden_remainder_x
      - .offset:         164
        .size:           2
        .value_kind:     hidden_remainder_y
      - .offset:         166
        .size:           2
        .value_kind:     hidden_remainder_z
      - .offset:         184
        .size:           8
        .value_kind:     hidden_global_offset_x
      - .offset:         192
        .size:           8
        .value_kind:     hidden_global_offset_y
      - .offset:         200
        .size:           8
        .value_kind:     hidden_global_offset_z
      - .offset:         208
        .size:           2
        .value_kind:     hidden_grid_dims
    .group_segment_fixed_size: 8192
    .kernarg_segment_align: 8
    .kernarg_segment_size: 400
    .language:       OpenCL C
    .language_version:
      - 2
      - 0
    .max_flat_workgroup_size: 256
    .name:           _Z39paged_attention_ll4mi_QKV_mfma16_kernelIDF16_hLN4vllm18Fp8KVCacheDataTypeE1EDF16_Li16ELi128ELi256ELb0ELi12EL8MFMAType0EEvPKT_PKT0_S8_ifPKiSA_SA_iPKfiiiPfSD_PS3_PT2_iSC_SC_
    .private_segment_fixed_size: 352
    .sgpr_count:     57
    .sgpr_spill_count: 0
    .symbol:         _Z39paged_attention_ll4mi_QKV_mfma16_kernelIDF16_hLN4vllm18Fp8KVCacheDataTypeE1EDF16_Li16ELi128ELi256ELb0ELi12EL8MFMAType0EEvPKT_PKT0_S8_ifPKiSA_SA_iPKfiiiPfSD_PS3_PT2_iSC_SC_.kd
    .uniform_work_group_size: 1
    .uses_dynamic_stack: false
    .vgpr_count:     76
    .vgpr_spill_count: 0
    .wavefront_size: 64
  - .agpr_count:     0
    .args:
      - .actual_access:  read_only
        .address_space:  global
        .offset:         0
        .size:           8
        .value_kind:     global_buffer
      - .actual_access:  read_only
        .address_space:  global
        .offset:         8
        .size:           8
        .value_kind:     global_buffer
      - .actual_access:  read_only
        .address_space:  global
        .offset:         16
        .size:           8
        .value_kind:     global_buffer
      - .offset:         24
        .size:           4
        .value_kind:     by_value
      - .offset:         28
        .size:           4
        .value_kind:     by_value
      - .actual_access:  read_only
        .address_space:  global
        .offset:         32
        .size:           8
        .value_kind:     global_buffer
      - .actual_access:  read_only
        .address_space:  global
        .offset:         40
        .size:           8
        .value_kind:     global_buffer
      - .actual_access:  read_only
        .address_space:  global
        .offset:         48
        .size:           8
        .value_kind:     global_buffer
      - .offset:         56
        .size:           4
        .value_kind:     by_value
      - .actual_access:  read_only
        .address_space:  global
        .offset:         64
        .size:           8
        .value_kind:     global_buffer
      - .offset:         72
        .size:           4
        .value_kind:     by_value
      - .offset:         76
        .size:           4
        .value_kind:     by_value
      - .offset:         80
        .size:           4
        .value_kind:     by_value
      - .actual_access:  write_only
        .address_space:  global
        .offset:         88
        .size:           8
        .value_kind:     global_buffer
      - .actual_access:  write_only
        .address_space:  global
        .offset:         96
        .size:           8
        .value_kind:     global_buffer
      - .actual_access:  write_only
        .address_space:  global
        .offset:         104
        .size:           8
        .value_kind:     global_buffer
      - .actual_access:  read_only
        .address_space:  global
        .offset:         112
        .size:           8
        .value_kind:     global_buffer
      - .offset:         120
        .size:           4
        .value_kind:     by_value
      - .address_space:  global
        .offset:         128
        .size:           8
        .value_kind:     global_buffer
      - .address_space:  global
        .offset:         136
        .size:           8
        .value_kind:     global_buffer
      - .offset:         144
        .size:           4
        .value_kind:     hidden_block_count_x
      - .offset:         148
        .size:           4
        .value_kind:     hidden_block_count_y
      - .offset:         152
        .size:           4
        .value_kind:     hidden_block_count_z
      - .offset:         156
        .size:           2
        .value_kind:     hidden_group_size_x
      - .offset:         158
        .size:           2
        .value_kind:     hidden_group_size_y
      - .offset:         160
        .size:           2
        .value_kind:     hidden_group_size_z
      - .offset:         162
        .size:           2
        .value_kind:     hidden_remainder_x
      - .offset:         164
        .size:           2
        .value_kind:     hidden_remainder_y
      - .offset:         166
        .size:           2
        .value_kind:     hidden_remainder_z
      - .offset:         184
        .size:           8
        .value_kind:     hidden_global_offset_x
      - .offset:         192
        .size:           8
        .value_kind:     hidden_global_offset_y
      - .offset:         200
        .size:           8
        .value_kind:     hidden_global_offset_z
      - .offset:         208
        .size:           2
        .value_kind:     hidden_grid_dims
    .group_segment_fixed_size: 8192
    .kernarg_segment_align: 8
    .kernarg_segment_size: 400
    .language:       OpenCL C
    .language_version:
      - 2
      - 0
    .max_flat_workgroup_size: 256
    .name:           _Z39paged_attention_ll4mi_QKV_mfma16_kernelIDF16_hLN4vllm18Fp8KVCacheDataTypeE1EDF16_Li16ELi128ELi256ELb0ELi13EL8MFMAType0EEvPKT_PKT0_S8_ifPKiSA_SA_iPKfiiiPfSD_PS3_PT2_iSC_SC_
    .private_segment_fixed_size: 352
    .sgpr_count:     57
    .sgpr_spill_count: 0
    .symbol:         _Z39paged_attention_ll4mi_QKV_mfma16_kernelIDF16_hLN4vllm18Fp8KVCacheDataTypeE1EDF16_Li16ELi128ELi256ELb0ELi13EL8MFMAType0EEvPKT_PKT0_S8_ifPKiSA_SA_iPKfiiiPfSD_PS3_PT2_iSC_SC_.kd
    .uniform_work_group_size: 1
    .uses_dynamic_stack: false
    .vgpr_count:     76
    .vgpr_spill_count: 0
    .wavefront_size: 64
  - .agpr_count:     0
    .args:
      - .actual_access:  read_only
        .address_space:  global
        .offset:         0
        .size:           8
        .value_kind:     global_buffer
      - .actual_access:  read_only
        .address_space:  global
        .offset:         8
        .size:           8
        .value_kind:     global_buffer
      - .actual_access:  read_only
        .address_space:  global
        .offset:         16
        .size:           8
        .value_kind:     global_buffer
      - .offset:         24
        .size:           4
        .value_kind:     by_value
      - .offset:         28
        .size:           4
        .value_kind:     by_value
      - .actual_access:  read_only
        .address_space:  global
        .offset:         32
        .size:           8
        .value_kind:     global_buffer
      - .actual_access:  read_only
        .address_space:  global
        .offset:         40
        .size:           8
        .value_kind:     global_buffer
      - .actual_access:  read_only
        .address_space:  global
        .offset:         48
        .size:           8
        .value_kind:     global_buffer
      - .offset:         56
        .size:           4
        .value_kind:     by_value
      - .actual_access:  read_only
        .address_space:  global
        .offset:         64
        .size:           8
        .value_kind:     global_buffer
      - .offset:         72
        .size:           4
        .value_kind:     by_value
      - .offset:         76
        .size:           4
        .value_kind:     by_value
      - .offset:         80
        .size:           4
        .value_kind:     by_value
      - .actual_access:  write_only
        .address_space:  global
        .offset:         88
        .size:           8
        .value_kind:     global_buffer
      - .actual_access:  write_only
        .address_space:  global
        .offset:         96
        .size:           8
        .value_kind:     global_buffer
      - .actual_access:  write_only
        .address_space:  global
        .offset:         104
        .size:           8
        .value_kind:     global_buffer
      - .actual_access:  read_only
        .address_space:  global
        .offset:         112
        .size:           8
        .value_kind:     global_buffer
      - .offset:         120
        .size:           4
        .value_kind:     by_value
      - .address_space:  global
        .offset:         128
        .size:           8
        .value_kind:     global_buffer
      - .address_space:  global
        .offset:         136
        .size:           8
        .value_kind:     global_buffer
      - .offset:         144
        .size:           4
        .value_kind:     hidden_block_count_x
      - .offset:         148
        .size:           4
        .value_kind:     hidden_block_count_y
      - .offset:         152
        .size:           4
        .value_kind:     hidden_block_count_z
      - .offset:         156
        .size:           2
        .value_kind:     hidden_group_size_x
      - .offset:         158
        .size:           2
        .value_kind:     hidden_group_size_y
      - .offset:         160
        .size:           2
        .value_kind:     hidden_group_size_z
      - .offset:         162
        .size:           2
        .value_kind:     hidden_remainder_x
      - .offset:         164
        .size:           2
        .value_kind:     hidden_remainder_y
      - .offset:         166
        .size:           2
        .value_kind:     hidden_remainder_z
      - .offset:         184
        .size:           8
        .value_kind:     hidden_global_offset_x
      - .offset:         192
        .size:           8
        .value_kind:     hidden_global_offset_y
      - .offset:         200
        .size:           8
        .value_kind:     hidden_global_offset_z
      - .offset:         208
        .size:           2
        .value_kind:     hidden_grid_dims
    .group_segment_fixed_size: 8192
    .kernarg_segment_align: 8
    .kernarg_segment_size: 400
    .language:       OpenCL C
    .language_version:
      - 2
      - 0
    .max_flat_workgroup_size: 256
    .name:           _Z39paged_attention_ll4mi_QKV_mfma16_kernelIDF16_hLN4vllm18Fp8KVCacheDataTypeE1EDF16_Li16ELi128ELi256ELb0ELi14EL8MFMAType0EEvPKT_PKT0_S8_ifPKiSA_SA_iPKfiiiPfSD_PS3_PT2_iSC_SC_
    .private_segment_fixed_size: 352
    .sgpr_count:     57
    .sgpr_spill_count: 0
    .symbol:         _Z39paged_attention_ll4mi_QKV_mfma16_kernelIDF16_hLN4vllm18Fp8KVCacheDataTypeE1EDF16_Li16ELi128ELi256ELb0ELi14EL8MFMAType0EEvPKT_PKT0_S8_ifPKiSA_SA_iPKfiiiPfSD_PS3_PT2_iSC_SC_.kd
    .uniform_work_group_size: 1
    .uses_dynamic_stack: false
    .vgpr_count:     76
    .vgpr_spill_count: 0
    .wavefront_size: 64
  - .agpr_count:     0
    .args:
      - .actual_access:  read_only
        .address_space:  global
        .offset:         0
        .size:           8
        .value_kind:     global_buffer
      - .actual_access:  read_only
        .address_space:  global
        .offset:         8
        .size:           8
        .value_kind:     global_buffer
      - .actual_access:  read_only
        .address_space:  global
        .offset:         16
        .size:           8
        .value_kind:     global_buffer
      - .offset:         24
        .size:           4
        .value_kind:     by_value
      - .offset:         28
        .size:           4
        .value_kind:     by_value
      - .actual_access:  read_only
        .address_space:  global
        .offset:         32
        .size:           8
        .value_kind:     global_buffer
      - .actual_access:  read_only
        .address_space:  global
        .offset:         40
        .size:           8
        .value_kind:     global_buffer
      - .actual_access:  read_only
        .address_space:  global
        .offset:         48
        .size:           8
        .value_kind:     global_buffer
      - .offset:         56
        .size:           4
        .value_kind:     by_value
      - .actual_access:  read_only
        .address_space:  global
        .offset:         64
        .size:           8
        .value_kind:     global_buffer
      - .offset:         72
        .size:           4
        .value_kind:     by_value
      - .offset:         76
        .size:           4
        .value_kind:     by_value
      - .offset:         80
        .size:           4
        .value_kind:     by_value
      - .actual_access:  write_only
        .address_space:  global
        .offset:         88
        .size:           8
        .value_kind:     global_buffer
      - .actual_access:  write_only
        .address_space:  global
        .offset:         96
        .size:           8
        .value_kind:     global_buffer
      - .actual_access:  write_only
        .address_space:  global
        .offset:         104
        .size:           8
        .value_kind:     global_buffer
      - .actual_access:  read_only
        .address_space:  global
        .offset:         112
        .size:           8
        .value_kind:     global_buffer
      - .offset:         120
        .size:           4
        .value_kind:     by_value
      - .address_space:  global
        .offset:         128
        .size:           8
        .value_kind:     global_buffer
      - .address_space:  global
        .offset:         136
        .size:           8
        .value_kind:     global_buffer
      - .offset:         144
        .size:           4
        .value_kind:     hidden_block_count_x
      - .offset:         148
        .size:           4
        .value_kind:     hidden_block_count_y
      - .offset:         152
        .size:           4
        .value_kind:     hidden_block_count_z
      - .offset:         156
        .size:           2
        .value_kind:     hidden_group_size_x
      - .offset:         158
        .size:           2
        .value_kind:     hidden_group_size_y
      - .offset:         160
        .size:           2
        .value_kind:     hidden_group_size_z
      - .offset:         162
        .size:           2
        .value_kind:     hidden_remainder_x
      - .offset:         164
        .size:           2
        .value_kind:     hidden_remainder_y
      - .offset:         166
        .size:           2
        .value_kind:     hidden_remainder_z
      - .offset:         184
        .size:           8
        .value_kind:     hidden_global_offset_x
      - .offset:         192
        .size:           8
        .value_kind:     hidden_global_offset_y
      - .offset:         200
        .size:           8
        .value_kind:     hidden_global_offset_z
      - .offset:         208
        .size:           2
        .value_kind:     hidden_grid_dims
    .group_segment_fixed_size: 8192
    .kernarg_segment_align: 8
    .kernarg_segment_size: 400
    .language:       OpenCL C
    .language_version:
      - 2
      - 0
    .max_flat_workgroup_size: 256
    .name:           _Z39paged_attention_ll4mi_QKV_mfma16_kernelIDF16_hLN4vllm18Fp8KVCacheDataTypeE1EDF16_Li16ELi128ELi256ELb0ELi15EL8MFMAType0EEvPKT_PKT0_S8_ifPKiSA_SA_iPKfiiiPfSD_PS3_PT2_iSC_SC_
    .private_segment_fixed_size: 352
    .sgpr_count:     57
    .sgpr_spill_count: 0
    .symbol:         _Z39paged_attention_ll4mi_QKV_mfma16_kernelIDF16_hLN4vllm18Fp8KVCacheDataTypeE1EDF16_Li16ELi128ELi256ELb0ELi15EL8MFMAType0EEvPKT_PKT0_S8_ifPKiSA_SA_iPKfiiiPfSD_PS3_PT2_iSC_SC_.kd
    .uniform_work_group_size: 1
    .uses_dynamic_stack: false
    .vgpr_count:     78
    .vgpr_spill_count: 0
    .wavefront_size: 64
  - .agpr_count:     0
    .args:
      - .actual_access:  read_only
        .address_space:  global
        .offset:         0
        .size:           8
        .value_kind:     global_buffer
      - .actual_access:  read_only
        .address_space:  global
        .offset:         8
        .size:           8
        .value_kind:     global_buffer
      - .actual_access:  read_only
        .address_space:  global
        .offset:         16
        .size:           8
        .value_kind:     global_buffer
      - .offset:         24
        .size:           4
        .value_kind:     by_value
      - .offset:         28
        .size:           4
        .value_kind:     by_value
      - .actual_access:  read_only
        .address_space:  global
        .offset:         32
        .size:           8
        .value_kind:     global_buffer
      - .actual_access:  read_only
        .address_space:  global
        .offset:         40
        .size:           8
        .value_kind:     global_buffer
      - .actual_access:  read_only
        .address_space:  global
        .offset:         48
        .size:           8
        .value_kind:     global_buffer
      - .offset:         56
        .size:           4
        .value_kind:     by_value
      - .actual_access:  read_only
        .address_space:  global
        .offset:         64
        .size:           8
        .value_kind:     global_buffer
      - .offset:         72
        .size:           4
        .value_kind:     by_value
      - .offset:         76
        .size:           4
        .value_kind:     by_value
      - .offset:         80
        .size:           4
        .value_kind:     by_value
      - .actual_access:  write_only
        .address_space:  global
        .offset:         88
        .size:           8
        .value_kind:     global_buffer
      - .actual_access:  write_only
        .address_space:  global
        .offset:         96
        .size:           8
        .value_kind:     global_buffer
      - .actual_access:  write_only
        .address_space:  global
        .offset:         104
        .size:           8
        .value_kind:     global_buffer
      - .actual_access:  read_only
        .address_space:  global
        .offset:         112
        .size:           8
        .value_kind:     global_buffer
      - .offset:         120
        .size:           4
        .value_kind:     by_value
      - .address_space:  global
        .offset:         128
        .size:           8
        .value_kind:     global_buffer
      - .address_space:  global
        .offset:         136
        .size:           8
        .value_kind:     global_buffer
      - .offset:         144
        .size:           4
        .value_kind:     hidden_block_count_x
      - .offset:         148
        .size:           4
        .value_kind:     hidden_block_count_y
      - .offset:         152
        .size:           4
        .value_kind:     hidden_block_count_z
      - .offset:         156
        .size:           2
        .value_kind:     hidden_group_size_x
      - .offset:         158
        .size:           2
        .value_kind:     hidden_group_size_y
      - .offset:         160
        .size:           2
        .value_kind:     hidden_group_size_z
      - .offset:         162
        .size:           2
        .value_kind:     hidden_remainder_x
      - .offset:         164
        .size:           2
        .value_kind:     hidden_remainder_y
      - .offset:         166
        .size:           2
        .value_kind:     hidden_remainder_z
      - .offset:         184
        .size:           8
        .value_kind:     hidden_global_offset_x
      - .offset:         192
        .size:           8
        .value_kind:     hidden_global_offset_y
      - .offset:         200
        .size:           8
        .value_kind:     hidden_global_offset_z
      - .offset:         208
        .size:           2
        .value_kind:     hidden_grid_dims
    .group_segment_fixed_size: 8192
    .kernarg_segment_align: 8
    .kernarg_segment_size: 400
    .language:       OpenCL C
    .language_version:
      - 2
      - 0
    .max_flat_workgroup_size: 256
    .name:           _Z39paged_attention_ll4mi_QKV_mfma16_kernelIDF16_hLN4vllm18Fp8KVCacheDataTypeE1EDF16_Li16ELi128ELi256ELb0ELi16EL8MFMAType0EEvPKT_PKT0_S8_ifPKiSA_SA_iPKfiiiPfSD_PS3_PT2_iSC_SC_
    .private_segment_fixed_size: 352
    .sgpr_count:     57
    .sgpr_spill_count: 0
    .symbol:         _Z39paged_attention_ll4mi_QKV_mfma16_kernelIDF16_hLN4vllm18Fp8KVCacheDataTypeE1EDF16_Li16ELi128ELi256ELb0ELi16EL8MFMAType0EEvPKT_PKT0_S8_ifPKiSA_SA_iPKfiiiPfSD_PS3_PT2_iSC_SC_.kd
    .uniform_work_group_size: 1
    .uses_dynamic_stack: false
    .vgpr_count:     80
    .vgpr_spill_count: 0
    .wavefront_size: 64
  - .agpr_count:     0
    .args:
      - .actual_access:  read_only
        .address_space:  global
        .offset:         0
        .size:           8
        .value_kind:     global_buffer
      - .actual_access:  read_only
        .address_space:  global
        .offset:         8
        .size:           8
        .value_kind:     global_buffer
      - .actual_access:  read_only
        .address_space:  global
        .offset:         16
        .size:           8
        .value_kind:     global_buffer
      - .offset:         24
        .size:           4
        .value_kind:     by_value
      - .offset:         28
        .size:           4
        .value_kind:     by_value
      - .actual_access:  read_only
        .address_space:  global
        .offset:         32
        .size:           8
        .value_kind:     global_buffer
      - .actual_access:  read_only
        .address_space:  global
        .offset:         40
        .size:           8
        .value_kind:     global_buffer
      - .actual_access:  read_only
        .address_space:  global
        .offset:         48
        .size:           8
        .value_kind:     global_buffer
      - .offset:         56
        .size:           4
        .value_kind:     by_value
      - .actual_access:  read_only
        .address_space:  global
        .offset:         64
        .size:           8
        .value_kind:     global_buffer
      - .offset:         72
        .size:           4
        .value_kind:     by_value
      - .offset:         76
        .size:           4
        .value_kind:     by_value
      - .offset:         80
        .size:           4
        .value_kind:     by_value
      - .actual_access:  write_only
        .address_space:  global
        .offset:         88
        .size:           8
        .value_kind:     global_buffer
      - .actual_access:  write_only
        .address_space:  global
        .offset:         96
        .size:           8
        .value_kind:     global_buffer
      - .actual_access:  write_only
        .address_space:  global
        .offset:         104
        .size:           8
        .value_kind:     global_buffer
      - .actual_access:  read_only
        .address_space:  global
        .offset:         112
        .size:           8
        .value_kind:     global_buffer
      - .offset:         120
        .size:           4
        .value_kind:     by_value
      - .address_space:  global
        .offset:         128
        .size:           8
        .value_kind:     global_buffer
      - .address_space:  global
        .offset:         136
        .size:           8
        .value_kind:     global_buffer
      - .offset:         144
        .size:           4
        .value_kind:     hidden_block_count_x
      - .offset:         148
        .size:           4
        .value_kind:     hidden_block_count_y
      - .offset:         152
        .size:           4
        .value_kind:     hidden_block_count_z
      - .offset:         156
        .size:           2
        .value_kind:     hidden_group_size_x
      - .offset:         158
        .size:           2
        .value_kind:     hidden_group_size_y
      - .offset:         160
        .size:           2
        .value_kind:     hidden_group_size_z
      - .offset:         162
        .size:           2
        .value_kind:     hidden_remainder_x
      - .offset:         164
        .size:           2
        .value_kind:     hidden_remainder_y
      - .offset:         166
        .size:           2
        .value_kind:     hidden_remainder_z
      - .offset:         184
        .size:           8
        .value_kind:     hidden_global_offset_x
      - .offset:         192
        .size:           8
        .value_kind:     hidden_global_offset_y
      - .offset:         200
        .size:           8
        .value_kind:     hidden_global_offset_z
      - .offset:         208
        .size:           2
        .value_kind:     hidden_grid_dims
    .group_segment_fixed_size: 8192
    .kernarg_segment_align: 8
    .kernarg_segment_size: 400
    .language:       OpenCL C
    .language_version:
      - 2
      - 0
    .max_flat_workgroup_size: 256
    .name:           _Z39paged_attention_ll4mi_QKV_mfma16_kernelIDF16_hLN4vllm18Fp8KVCacheDataTypeE1EDF16_Li16ELi128ELi256ELb0ELi1EL8MFMAType0EEvPKT_PKT0_S8_ifPKiSA_SA_iPKfiiiPfSD_PS3_PT2_iSC_SC_
    .private_segment_fixed_size: 352
    .sgpr_count:     57
    .sgpr_spill_count: 0
    .symbol:         _Z39paged_attention_ll4mi_QKV_mfma16_kernelIDF16_hLN4vllm18Fp8KVCacheDataTypeE1EDF16_Li16ELi128ELi256ELb0ELi1EL8MFMAType0EEvPKT_PKT0_S8_ifPKiSA_SA_iPKfiiiPfSD_PS3_PT2_iSC_SC_.kd
    .uniform_work_group_size: 1
    .uses_dynamic_stack: false
    .vgpr_count:     80
    .vgpr_spill_count: 0
    .wavefront_size: 64
  - .agpr_count:     0
    .args:
      - .actual_access:  read_only
        .address_space:  global
        .offset:         0
        .size:           8
        .value_kind:     global_buffer
      - .actual_access:  read_only
        .address_space:  global
        .offset:         8
        .size:           8
        .value_kind:     global_buffer
      - .actual_access:  read_only
        .address_space:  global
        .offset:         16
        .size:           8
        .value_kind:     global_buffer
      - .offset:         24
        .size:           4
        .value_kind:     by_value
      - .offset:         28
        .size:           4
        .value_kind:     by_value
      - .actual_access:  read_only
        .address_space:  global
        .offset:         32
        .size:           8
        .value_kind:     global_buffer
      - .actual_access:  read_only
        .address_space:  global
        .offset:         40
        .size:           8
        .value_kind:     global_buffer
      - .actual_access:  read_only
        .address_space:  global
        .offset:         48
        .size:           8
        .value_kind:     global_buffer
      - .offset:         56
        .size:           4
        .value_kind:     by_value
      - .actual_access:  read_only
        .address_space:  global
        .offset:         64
        .size:           8
        .value_kind:     global_buffer
      - .offset:         72
        .size:           4
        .value_kind:     by_value
      - .offset:         76
        .size:           4
        .value_kind:     by_value
      - .offset:         80
        .size:           4
        .value_kind:     by_value
      - .actual_access:  write_only
        .address_space:  global
        .offset:         88
        .size:           8
        .value_kind:     global_buffer
      - .actual_access:  write_only
        .address_space:  global
        .offset:         96
        .size:           8
        .value_kind:     global_buffer
      - .actual_access:  write_only
        .address_space:  global
        .offset:         104
        .size:           8
        .value_kind:     global_buffer
      - .actual_access:  read_only
        .address_space:  global
        .offset:         112
        .size:           8
        .value_kind:     global_buffer
      - .offset:         120
        .size:           4
        .value_kind:     by_value
      - .address_space:  global
        .offset:         128
        .size:           8
        .value_kind:     global_buffer
      - .address_space:  global
        .offset:         136
        .size:           8
        .value_kind:     global_buffer
      - .offset:         144
        .size:           4
        .value_kind:     hidden_block_count_x
      - .offset:         148
        .size:           4
        .value_kind:     hidden_block_count_y
      - .offset:         152
        .size:           4
        .value_kind:     hidden_block_count_z
      - .offset:         156
        .size:           2
        .value_kind:     hidden_group_size_x
      - .offset:         158
        .size:           2
        .value_kind:     hidden_group_size_y
      - .offset:         160
        .size:           2
        .value_kind:     hidden_group_size_z
      - .offset:         162
        .size:           2
        .value_kind:     hidden_remainder_x
      - .offset:         164
        .size:           2
        .value_kind:     hidden_remainder_y
      - .offset:         166
        .size:           2
        .value_kind:     hidden_remainder_z
      - .offset:         184
        .size:           8
        .value_kind:     hidden_global_offset_x
      - .offset:         192
        .size:           8
        .value_kind:     hidden_global_offset_y
      - .offset:         200
        .size:           8
        .value_kind:     hidden_global_offset_z
      - .offset:         208
        .size:           2
        .value_kind:     hidden_grid_dims
    .group_segment_fixed_size: 8192
    .kernarg_segment_align: 8
    .kernarg_segment_size: 400
    .language:       OpenCL C
    .language_version:
      - 2
      - 0
    .max_flat_workgroup_size: 256
    .name:           _Z39paged_attention_ll4mi_QKV_mfma16_kernelIDF16_hLN4vllm18Fp8KVCacheDataTypeE1EDF16_Li16ELi128ELi256ELb0ELi2EL8MFMAType0EEvPKT_PKT0_S8_ifPKiSA_SA_iPKfiiiPfSD_PS3_PT2_iSC_SC_
    .private_segment_fixed_size: 352
    .sgpr_count:     57
    .sgpr_spill_count: 0
    .symbol:         _Z39paged_attention_ll4mi_QKV_mfma16_kernelIDF16_hLN4vllm18Fp8KVCacheDataTypeE1EDF16_Li16ELi128ELi256ELb0ELi2EL8MFMAType0EEvPKT_PKT0_S8_ifPKiSA_SA_iPKfiiiPfSD_PS3_PT2_iSC_SC_.kd
    .uniform_work_group_size: 1
    .uses_dynamic_stack: false
    .vgpr_count:     80
    .vgpr_spill_count: 0
    .wavefront_size: 64
  - .agpr_count:     0
    .args:
      - .actual_access:  read_only
        .address_space:  global
        .offset:         0
        .size:           8
        .value_kind:     global_buffer
      - .actual_access:  read_only
        .address_space:  global
        .offset:         8
        .size:           8
        .value_kind:     global_buffer
      - .actual_access:  read_only
        .address_space:  global
        .offset:         16
        .size:           8
        .value_kind:     global_buffer
      - .offset:         24
        .size:           4
        .value_kind:     by_value
      - .offset:         28
        .size:           4
        .value_kind:     by_value
      - .actual_access:  read_only
        .address_space:  global
        .offset:         32
        .size:           8
        .value_kind:     global_buffer
      - .actual_access:  read_only
        .address_space:  global
        .offset:         40
        .size:           8
        .value_kind:     global_buffer
      - .actual_access:  read_only
        .address_space:  global
        .offset:         48
        .size:           8
        .value_kind:     global_buffer
      - .offset:         56
        .size:           4
        .value_kind:     by_value
      - .actual_access:  read_only
        .address_space:  global
        .offset:         64
        .size:           8
        .value_kind:     global_buffer
      - .offset:         72
        .size:           4
        .value_kind:     by_value
      - .offset:         76
        .size:           4
        .value_kind:     by_value
      - .offset:         80
        .size:           4
        .value_kind:     by_value
      - .actual_access:  write_only
        .address_space:  global
        .offset:         88
        .size:           8
        .value_kind:     global_buffer
      - .actual_access:  write_only
        .address_space:  global
        .offset:         96
        .size:           8
        .value_kind:     global_buffer
      - .actual_access:  write_only
        .address_space:  global
        .offset:         104
        .size:           8
        .value_kind:     global_buffer
      - .actual_access:  read_only
        .address_space:  global
        .offset:         112
        .size:           8
        .value_kind:     global_buffer
      - .offset:         120
        .size:           4
        .value_kind:     by_value
      - .address_space:  global
        .offset:         128
        .size:           8
        .value_kind:     global_buffer
      - .address_space:  global
        .offset:         136
        .size:           8
        .value_kind:     global_buffer
      - .offset:         144
        .size:           4
        .value_kind:     hidden_block_count_x
      - .offset:         148
        .size:           4
        .value_kind:     hidden_block_count_y
      - .offset:         152
        .size:           4
        .value_kind:     hidden_block_count_z
      - .offset:         156
        .size:           2
        .value_kind:     hidden_group_size_x
      - .offset:         158
        .size:           2
        .value_kind:     hidden_group_size_y
      - .offset:         160
        .size:           2
        .value_kind:     hidden_group_size_z
      - .offset:         162
        .size:           2
        .value_kind:     hidden_remainder_x
      - .offset:         164
        .size:           2
        .value_kind:     hidden_remainder_y
      - .offset:         166
        .size:           2
        .value_kind:     hidden_remainder_z
      - .offset:         184
        .size:           8
        .value_kind:     hidden_global_offset_x
      - .offset:         192
        .size:           8
        .value_kind:     hidden_global_offset_y
      - .offset:         200
        .size:           8
        .value_kind:     hidden_global_offset_z
      - .offset:         208
        .size:           2
        .value_kind:     hidden_grid_dims
    .group_segment_fixed_size: 8192
    .kernarg_segment_align: 8
    .kernarg_segment_size: 400
    .language:       OpenCL C
    .language_version:
      - 2
      - 0
    .max_flat_workgroup_size: 256
    .name:           _Z39paged_attention_ll4mi_QKV_mfma16_kernelIDF16_hLN4vllm18Fp8KVCacheDataTypeE1EDF16_Li16ELi128ELi256ELb0ELi3EL8MFMAType0EEvPKT_PKT0_S8_ifPKiSA_SA_iPKfiiiPfSD_PS3_PT2_iSC_SC_
    .private_segment_fixed_size: 352
    .sgpr_count:     57
    .sgpr_spill_count: 0
    .symbol:         _Z39paged_attention_ll4mi_QKV_mfma16_kernelIDF16_hLN4vllm18Fp8KVCacheDataTypeE1EDF16_Li16ELi128ELi256ELb0ELi3EL8MFMAType0EEvPKT_PKT0_S8_ifPKiSA_SA_iPKfiiiPfSD_PS3_PT2_iSC_SC_.kd
    .uniform_work_group_size: 1
    .uses_dynamic_stack: false
    .vgpr_count:     76
    .vgpr_spill_count: 0
    .wavefront_size: 64
  - .agpr_count:     0
    .args:
      - .actual_access:  read_only
        .address_space:  global
        .offset:         0
        .size:           8
        .value_kind:     global_buffer
      - .actual_access:  read_only
        .address_space:  global
        .offset:         8
        .size:           8
        .value_kind:     global_buffer
      - .actual_access:  read_only
        .address_space:  global
        .offset:         16
        .size:           8
        .value_kind:     global_buffer
      - .offset:         24
        .size:           4
        .value_kind:     by_value
      - .offset:         28
        .size:           4
        .value_kind:     by_value
      - .actual_access:  read_only
        .address_space:  global
        .offset:         32
        .size:           8
        .value_kind:     global_buffer
      - .actual_access:  read_only
        .address_space:  global
        .offset:         40
        .size:           8
        .value_kind:     global_buffer
      - .actual_access:  read_only
        .address_space:  global
        .offset:         48
        .size:           8
        .value_kind:     global_buffer
      - .offset:         56
        .size:           4
        .value_kind:     by_value
      - .actual_access:  read_only
        .address_space:  global
        .offset:         64
        .size:           8
        .value_kind:     global_buffer
      - .offset:         72
        .size:           4
        .value_kind:     by_value
      - .offset:         76
        .size:           4
        .value_kind:     by_value
      - .offset:         80
        .size:           4
        .value_kind:     by_value
      - .actual_access:  write_only
        .address_space:  global
        .offset:         88
        .size:           8
        .value_kind:     global_buffer
      - .actual_access:  write_only
        .address_space:  global
        .offset:         96
        .size:           8
        .value_kind:     global_buffer
      - .actual_access:  write_only
        .address_space:  global
        .offset:         104
        .size:           8
        .value_kind:     global_buffer
      - .actual_access:  read_only
        .address_space:  global
        .offset:         112
        .size:           8
        .value_kind:     global_buffer
      - .offset:         120
        .size:           4
        .value_kind:     by_value
      - .address_space:  global
        .offset:         128
        .size:           8
        .value_kind:     global_buffer
      - .address_space:  global
        .offset:         136
        .size:           8
        .value_kind:     global_buffer
      - .offset:         144
        .size:           4
        .value_kind:     hidden_block_count_x
      - .offset:         148
        .size:           4
        .value_kind:     hidden_block_count_y
      - .offset:         152
        .size:           4
        .value_kind:     hidden_block_count_z
      - .offset:         156
        .size:           2
        .value_kind:     hidden_group_size_x
      - .offset:         158
        .size:           2
        .value_kind:     hidden_group_size_y
      - .offset:         160
        .size:           2
        .value_kind:     hidden_group_size_z
      - .offset:         162
        .size:           2
        .value_kind:     hidden_remainder_x
      - .offset:         164
        .size:           2
        .value_kind:     hidden_remainder_y
      - .offset:         166
        .size:           2
        .value_kind:     hidden_remainder_z
      - .offset:         184
        .size:           8
        .value_kind:     hidden_global_offset_x
      - .offset:         192
        .size:           8
        .value_kind:     hidden_global_offset_y
      - .offset:         200
        .size:           8
        .value_kind:     hidden_global_offset_z
      - .offset:         208
        .size:           2
        .value_kind:     hidden_grid_dims
    .group_segment_fixed_size: 8192
    .kernarg_segment_align: 8
    .kernarg_segment_size: 400
    .language:       OpenCL C
    .language_version:
      - 2
      - 0
    .max_flat_workgroup_size: 256
    .name:           _Z39paged_attention_ll4mi_QKV_mfma16_kernelIDF16_hLN4vllm18Fp8KVCacheDataTypeE1EDF16_Li16ELi128ELi256ELb0ELi4EL8MFMAType0EEvPKT_PKT0_S8_ifPKiSA_SA_iPKfiiiPfSD_PS3_PT2_iSC_SC_
    .private_segment_fixed_size: 352
    .sgpr_count:     60
    .sgpr_spill_count: 0
    .symbol:         _Z39paged_attention_ll4mi_QKV_mfma16_kernelIDF16_hLN4vllm18Fp8KVCacheDataTypeE1EDF16_Li16ELi128ELi256ELb0ELi4EL8MFMAType0EEvPKT_PKT0_S8_ifPKiSA_SA_iPKfiiiPfSD_PS3_PT2_iSC_SC_.kd
    .uniform_work_group_size: 1
    .uses_dynamic_stack: false
    .vgpr_count:     80
    .vgpr_spill_count: 0
    .wavefront_size: 64
  - .agpr_count:     0
    .args:
      - .actual_access:  read_only
        .address_space:  global
        .offset:         0
        .size:           8
        .value_kind:     global_buffer
      - .actual_access:  read_only
        .address_space:  global
        .offset:         8
        .size:           8
        .value_kind:     global_buffer
      - .actual_access:  read_only
        .address_space:  global
        .offset:         16
        .size:           8
        .value_kind:     global_buffer
      - .offset:         24
        .size:           4
        .value_kind:     by_value
      - .offset:         28
        .size:           4
        .value_kind:     by_value
      - .actual_access:  read_only
        .address_space:  global
        .offset:         32
        .size:           8
        .value_kind:     global_buffer
      - .actual_access:  read_only
        .address_space:  global
        .offset:         40
        .size:           8
        .value_kind:     global_buffer
      - .actual_access:  read_only
        .address_space:  global
        .offset:         48
        .size:           8
        .value_kind:     global_buffer
      - .offset:         56
        .size:           4
        .value_kind:     by_value
      - .actual_access:  read_only
        .address_space:  global
        .offset:         64
        .size:           8
        .value_kind:     global_buffer
      - .offset:         72
        .size:           4
        .value_kind:     by_value
      - .offset:         76
        .size:           4
        .value_kind:     by_value
      - .offset:         80
        .size:           4
        .value_kind:     by_value
      - .actual_access:  write_only
        .address_space:  global
        .offset:         88
        .size:           8
        .value_kind:     global_buffer
      - .actual_access:  write_only
        .address_space:  global
        .offset:         96
        .size:           8
        .value_kind:     global_buffer
      - .actual_access:  write_only
        .address_space:  global
        .offset:         104
        .size:           8
        .value_kind:     global_buffer
      - .actual_access:  read_only
        .address_space:  global
        .offset:         112
        .size:           8
        .value_kind:     global_buffer
      - .offset:         120
        .size:           4
        .value_kind:     by_value
      - .address_space:  global
        .offset:         128
        .size:           8
        .value_kind:     global_buffer
      - .address_space:  global
        .offset:         136
        .size:           8
        .value_kind:     global_buffer
      - .offset:         144
        .size:           4
        .value_kind:     hidden_block_count_x
      - .offset:         148
        .size:           4
        .value_kind:     hidden_block_count_y
      - .offset:         152
        .size:           4
        .value_kind:     hidden_block_count_z
      - .offset:         156
        .size:           2
        .value_kind:     hidden_group_size_x
      - .offset:         158
        .size:           2
        .value_kind:     hidden_group_size_y
      - .offset:         160
        .size:           2
        .value_kind:     hidden_group_size_z
      - .offset:         162
        .size:           2
        .value_kind:     hidden_remainder_x
      - .offset:         164
        .size:           2
        .value_kind:     hidden_remainder_y
      - .offset:         166
        .size:           2
        .value_kind:     hidden_remainder_z
      - .offset:         184
        .size:           8
        .value_kind:     hidden_global_offset_x
      - .offset:         192
        .size:           8
        .value_kind:     hidden_global_offset_y
      - .offset:         200
        .size:           8
        .value_kind:     hidden_global_offset_z
      - .offset:         208
        .size:           2
        .value_kind:     hidden_grid_dims
    .group_segment_fixed_size: 8192
    .kernarg_segment_align: 8
    .kernarg_segment_size: 400
    .language:       OpenCL C
    .language_version:
      - 2
      - 0
    .max_flat_workgroup_size: 256
    .name:           _Z39paged_attention_ll4mi_QKV_mfma16_kernelIDF16_hLN4vllm18Fp8KVCacheDataTypeE1EDF16_Li32ELi128ELi256ELb1ELi5EL8MFMAType0EEvPKT_PKT0_S8_ifPKiSA_SA_iPKfiiiPfSD_PS3_PT2_iSC_SC_
    .private_segment_fixed_size: 352
    .sgpr_count:     57
    .sgpr_spill_count: 0
    .symbol:         _Z39paged_attention_ll4mi_QKV_mfma16_kernelIDF16_hLN4vllm18Fp8KVCacheDataTypeE1EDF16_Li32ELi128ELi256ELb1ELi5EL8MFMAType0EEvPKT_PKT0_S8_ifPKiSA_SA_iPKfiiiPfSD_PS3_PT2_iSC_SC_.kd
    .uniform_work_group_size: 1
    .uses_dynamic_stack: false
    .vgpr_count:     80
    .vgpr_spill_count: 0
    .wavefront_size: 64
  - .agpr_count:     0
    .args:
      - .actual_access:  read_only
        .address_space:  global
        .offset:         0
        .size:           8
        .value_kind:     global_buffer
      - .actual_access:  read_only
        .address_space:  global
        .offset:         8
        .size:           8
        .value_kind:     global_buffer
      - .actual_access:  read_only
        .address_space:  global
        .offset:         16
        .size:           8
        .value_kind:     global_buffer
      - .offset:         24
        .size:           4
        .value_kind:     by_value
      - .offset:         28
        .size:           4
        .value_kind:     by_value
      - .actual_access:  read_only
        .address_space:  global
        .offset:         32
        .size:           8
        .value_kind:     global_buffer
      - .actual_access:  read_only
        .address_space:  global
        .offset:         40
        .size:           8
        .value_kind:     global_buffer
      - .actual_access:  read_only
        .address_space:  global
        .offset:         48
        .size:           8
        .value_kind:     global_buffer
      - .offset:         56
        .size:           4
        .value_kind:     by_value
      - .actual_access:  read_only
        .address_space:  global
        .offset:         64
        .size:           8
        .value_kind:     global_buffer
      - .offset:         72
        .size:           4
        .value_kind:     by_value
      - .offset:         76
        .size:           4
        .value_kind:     by_value
      - .offset:         80
        .size:           4
        .value_kind:     by_value
      - .actual_access:  write_only
        .address_space:  global
        .offset:         88
        .size:           8
        .value_kind:     global_buffer
      - .actual_access:  write_only
        .address_space:  global
        .offset:         96
        .size:           8
        .value_kind:     global_buffer
      - .actual_access:  write_only
        .address_space:  global
        .offset:         104
        .size:           8
        .value_kind:     global_buffer
      - .actual_access:  read_only
        .address_space:  global
        .offset:         112
        .size:           8
        .value_kind:     global_buffer
      - .offset:         120
        .size:           4
        .value_kind:     by_value
      - .address_space:  global
        .offset:         128
        .size:           8
        .value_kind:     global_buffer
      - .address_space:  global
        .offset:         136
        .size:           8
        .value_kind:     global_buffer
      - .offset:         144
        .size:           4
        .value_kind:     hidden_block_count_x
      - .offset:         148
        .size:           4
        .value_kind:     hidden_block_count_y
      - .offset:         152
        .size:           4
        .value_kind:     hidden_block_count_z
      - .offset:         156
        .size:           2
        .value_kind:     hidden_group_size_x
      - .offset:         158
        .size:           2
        .value_kind:     hidden_group_size_y
      - .offset:         160
        .size:           2
        .value_kind:     hidden_group_size_z
      - .offset:         162
        .size:           2
        .value_kind:     hidden_remainder_x
      - .offset:         164
        .size:           2
        .value_kind:     hidden_remainder_y
      - .offset:         166
        .size:           2
        .value_kind:     hidden_remainder_z
      - .offset:         184
        .size:           8
        .value_kind:     hidden_global_offset_x
      - .offset:         192
        .size:           8
        .value_kind:     hidden_global_offset_y
      - .offset:         200
        .size:           8
        .value_kind:     hidden_global_offset_z
      - .offset:         208
        .size:           2
        .value_kind:     hidden_grid_dims
    .group_segment_fixed_size: 8192
    .kernarg_segment_align: 8
    .kernarg_segment_size: 400
    .language:       OpenCL C
    .language_version:
      - 2
      - 0
    .max_flat_workgroup_size: 256
    .name:           _Z39paged_attention_ll4mi_QKV_mfma16_kernelIDF16_hLN4vllm18Fp8KVCacheDataTypeE1EDF16_Li32ELi128ELi256ELb1ELi6EL8MFMAType0EEvPKT_PKT0_S8_ifPKiSA_SA_iPKfiiiPfSD_PS3_PT2_iSC_SC_
    .private_segment_fixed_size: 352
    .sgpr_count:     57
    .sgpr_spill_count: 0
    .symbol:         _Z39paged_attention_ll4mi_QKV_mfma16_kernelIDF16_hLN4vllm18Fp8KVCacheDataTypeE1EDF16_Li32ELi128ELi256ELb1ELi6EL8MFMAType0EEvPKT_PKT0_S8_ifPKiSA_SA_iPKfiiiPfSD_PS3_PT2_iSC_SC_.kd
    .uniform_work_group_size: 1
    .uses_dynamic_stack: false
    .vgpr_count:     80
    .vgpr_spill_count: 0
    .wavefront_size: 64
  - .agpr_count:     0
    .args:
      - .actual_access:  read_only
        .address_space:  global
        .offset:         0
        .size:           8
        .value_kind:     global_buffer
      - .actual_access:  read_only
        .address_space:  global
        .offset:         8
        .size:           8
        .value_kind:     global_buffer
      - .actual_access:  read_only
        .address_space:  global
        .offset:         16
        .size:           8
        .value_kind:     global_buffer
      - .offset:         24
        .size:           4
        .value_kind:     by_value
      - .offset:         28
        .size:           4
        .value_kind:     by_value
      - .actual_access:  read_only
        .address_space:  global
        .offset:         32
        .size:           8
        .value_kind:     global_buffer
      - .actual_access:  read_only
        .address_space:  global
        .offset:         40
        .size:           8
        .value_kind:     global_buffer
      - .actual_access:  read_only
        .address_space:  global
        .offset:         48
        .size:           8
        .value_kind:     global_buffer
      - .offset:         56
        .size:           4
        .value_kind:     by_value
      - .actual_access:  read_only
        .address_space:  global
        .offset:         64
        .size:           8
        .value_kind:     global_buffer
      - .offset:         72
        .size:           4
        .value_kind:     by_value
      - .offset:         76
        .size:           4
        .value_kind:     by_value
      - .offset:         80
        .size:           4
        .value_kind:     by_value
      - .actual_access:  write_only
        .address_space:  global
        .offset:         88
        .size:           8
        .value_kind:     global_buffer
      - .actual_access:  write_only
        .address_space:  global
        .offset:         96
        .size:           8
        .value_kind:     global_buffer
      - .actual_access:  write_only
        .address_space:  global
        .offset:         104
        .size:           8
        .value_kind:     global_buffer
      - .actual_access:  read_only
        .address_space:  global
        .offset:         112
        .size:           8
        .value_kind:     global_buffer
      - .offset:         120
        .size:           4
        .value_kind:     by_value
      - .address_space:  global
        .offset:         128
        .size:           8
        .value_kind:     global_buffer
      - .address_space:  global
        .offset:         136
        .size:           8
        .value_kind:     global_buffer
      - .offset:         144
        .size:           4
        .value_kind:     hidden_block_count_x
      - .offset:         148
        .size:           4
        .value_kind:     hidden_block_count_y
      - .offset:         152
        .size:           4
        .value_kind:     hidden_block_count_z
      - .offset:         156
        .size:           2
        .value_kind:     hidden_group_size_x
      - .offset:         158
        .size:           2
        .value_kind:     hidden_group_size_y
      - .offset:         160
        .size:           2
        .value_kind:     hidden_group_size_z
      - .offset:         162
        .size:           2
        .value_kind:     hidden_remainder_x
      - .offset:         164
        .size:           2
        .value_kind:     hidden_remainder_y
      - .offset:         166
        .size:           2
        .value_kind:     hidden_remainder_z
      - .offset:         184
        .size:           8
        .value_kind:     hidden_global_offset_x
      - .offset:         192
        .size:           8
        .value_kind:     hidden_global_offset_y
      - .offset:         200
        .size:           8
        .value_kind:     hidden_global_offset_z
      - .offset:         208
        .size:           2
        .value_kind:     hidden_grid_dims
    .group_segment_fixed_size: 8192
    .kernarg_segment_align: 8
    .kernarg_segment_size: 400
    .language:       OpenCL C
    .language_version:
      - 2
      - 0
    .max_flat_workgroup_size: 256
    .name:           _Z39paged_attention_ll4mi_QKV_mfma16_kernelIDF16_hLN4vllm18Fp8KVCacheDataTypeE1EDF16_Li32ELi128ELi256ELb1ELi7EL8MFMAType0EEvPKT_PKT0_S8_ifPKiSA_SA_iPKfiiiPfSD_PS3_PT2_iSC_SC_
    .private_segment_fixed_size: 352
    .sgpr_count:     57
    .sgpr_spill_count: 0
    .symbol:         _Z39paged_attention_ll4mi_QKV_mfma16_kernelIDF16_hLN4vllm18Fp8KVCacheDataTypeE1EDF16_Li32ELi128ELi256ELb1ELi7EL8MFMAType0EEvPKT_PKT0_S8_ifPKiSA_SA_iPKfiiiPfSD_PS3_PT2_iSC_SC_.kd
    .uniform_work_group_size: 1
    .uses_dynamic_stack: false
    .vgpr_count:     80
    .vgpr_spill_count: 0
    .wavefront_size: 64
  - .agpr_count:     0
    .args:
      - .actual_access:  read_only
        .address_space:  global
        .offset:         0
        .size:           8
        .value_kind:     global_buffer
      - .actual_access:  read_only
        .address_space:  global
        .offset:         8
        .size:           8
        .value_kind:     global_buffer
      - .actual_access:  read_only
        .address_space:  global
        .offset:         16
        .size:           8
        .value_kind:     global_buffer
      - .offset:         24
        .size:           4
        .value_kind:     by_value
      - .offset:         28
        .size:           4
        .value_kind:     by_value
      - .actual_access:  read_only
        .address_space:  global
        .offset:         32
        .size:           8
        .value_kind:     global_buffer
      - .actual_access:  read_only
        .address_space:  global
        .offset:         40
        .size:           8
        .value_kind:     global_buffer
      - .actual_access:  read_only
        .address_space:  global
        .offset:         48
        .size:           8
        .value_kind:     global_buffer
      - .offset:         56
        .size:           4
        .value_kind:     by_value
      - .actual_access:  read_only
        .address_space:  global
        .offset:         64
        .size:           8
        .value_kind:     global_buffer
      - .offset:         72
        .size:           4
        .value_kind:     by_value
      - .offset:         76
        .size:           4
        .value_kind:     by_value
      - .offset:         80
        .size:           4
        .value_kind:     by_value
      - .actual_access:  write_only
        .address_space:  global
        .offset:         88
        .size:           8
        .value_kind:     global_buffer
      - .actual_access:  write_only
        .address_space:  global
        .offset:         96
        .size:           8
        .value_kind:     global_buffer
      - .actual_access:  write_only
        .address_space:  global
        .offset:         104
        .size:           8
        .value_kind:     global_buffer
      - .actual_access:  read_only
        .address_space:  global
        .offset:         112
        .size:           8
        .value_kind:     global_buffer
      - .offset:         120
        .size:           4
        .value_kind:     by_value
      - .address_space:  global
        .offset:         128
        .size:           8
        .value_kind:     global_buffer
      - .address_space:  global
        .offset:         136
        .size:           8
        .value_kind:     global_buffer
      - .offset:         144
        .size:           4
        .value_kind:     hidden_block_count_x
      - .offset:         148
        .size:           4
        .value_kind:     hidden_block_count_y
      - .offset:         152
        .size:           4
        .value_kind:     hidden_block_count_z
      - .offset:         156
        .size:           2
        .value_kind:     hidden_group_size_x
      - .offset:         158
        .size:           2
        .value_kind:     hidden_group_size_y
      - .offset:         160
        .size:           2
        .value_kind:     hidden_group_size_z
      - .offset:         162
        .size:           2
        .value_kind:     hidden_remainder_x
      - .offset:         164
        .size:           2
        .value_kind:     hidden_remainder_y
      - .offset:         166
        .size:           2
        .value_kind:     hidden_remainder_z
      - .offset:         184
        .size:           8
        .value_kind:     hidden_global_offset_x
      - .offset:         192
        .size:           8
        .value_kind:     hidden_global_offset_y
      - .offset:         200
        .size:           8
        .value_kind:     hidden_global_offset_z
      - .offset:         208
        .size:           2
        .value_kind:     hidden_grid_dims
    .group_segment_fixed_size: 8192
    .kernarg_segment_align: 8
    .kernarg_segment_size: 400
    .language:       OpenCL C
    .language_version:
      - 2
      - 0
    .max_flat_workgroup_size: 256
    .name:           _Z39paged_attention_ll4mi_QKV_mfma16_kernelIDF16_hLN4vllm18Fp8KVCacheDataTypeE1EDF16_Li32ELi128ELi256ELb1ELi8EL8MFMAType0EEvPKT_PKT0_S8_ifPKiSA_SA_iPKfiiiPfSD_PS3_PT2_iSC_SC_
    .private_segment_fixed_size: 352
    .sgpr_count:     57
    .sgpr_spill_count: 0
    .symbol:         _Z39paged_attention_ll4mi_QKV_mfma16_kernelIDF16_hLN4vllm18Fp8KVCacheDataTypeE1EDF16_Li32ELi128ELi256ELb1ELi8EL8MFMAType0EEvPKT_PKT0_S8_ifPKiSA_SA_iPKfiiiPfSD_PS3_PT2_iSC_SC_.kd
    .uniform_work_group_size: 1
    .uses_dynamic_stack: false
    .vgpr_count:     80
    .vgpr_spill_count: 0
    .wavefront_size: 64
  - .agpr_count:     0
    .args:
      - .actual_access:  read_only
        .address_space:  global
        .offset:         0
        .size:           8
        .value_kind:     global_buffer
      - .actual_access:  read_only
        .address_space:  global
        .offset:         8
        .size:           8
        .value_kind:     global_buffer
      - .actual_access:  read_only
        .address_space:  global
        .offset:         16
        .size:           8
        .value_kind:     global_buffer
      - .offset:         24
        .size:           4
        .value_kind:     by_value
      - .offset:         28
        .size:           4
        .value_kind:     by_value
      - .actual_access:  read_only
        .address_space:  global
        .offset:         32
        .size:           8
        .value_kind:     global_buffer
      - .actual_access:  read_only
        .address_space:  global
        .offset:         40
        .size:           8
        .value_kind:     global_buffer
      - .actual_access:  read_only
        .address_space:  global
        .offset:         48
        .size:           8
        .value_kind:     global_buffer
      - .offset:         56
        .size:           4
        .value_kind:     by_value
      - .actual_access:  read_only
        .address_space:  global
        .offset:         64
        .size:           8
        .value_kind:     global_buffer
      - .offset:         72
        .size:           4
        .value_kind:     by_value
      - .offset:         76
        .size:           4
        .value_kind:     by_value
      - .offset:         80
        .size:           4
        .value_kind:     by_value
      - .actual_access:  write_only
        .address_space:  global
        .offset:         88
        .size:           8
        .value_kind:     global_buffer
      - .actual_access:  write_only
        .address_space:  global
        .offset:         96
        .size:           8
        .value_kind:     global_buffer
      - .actual_access:  write_only
        .address_space:  global
        .offset:         104
        .size:           8
        .value_kind:     global_buffer
      - .actual_access:  read_only
        .address_space:  global
        .offset:         112
        .size:           8
        .value_kind:     global_buffer
      - .offset:         120
        .size:           4
        .value_kind:     by_value
      - .address_space:  global
        .offset:         128
        .size:           8
        .value_kind:     global_buffer
      - .address_space:  global
        .offset:         136
        .size:           8
        .value_kind:     global_buffer
      - .offset:         144
        .size:           4
        .value_kind:     hidden_block_count_x
      - .offset:         148
        .size:           4
        .value_kind:     hidden_block_count_y
      - .offset:         152
        .size:           4
        .value_kind:     hidden_block_count_z
      - .offset:         156
        .size:           2
        .value_kind:     hidden_group_size_x
      - .offset:         158
        .size:           2
        .value_kind:     hidden_group_size_y
      - .offset:         160
        .size:           2
        .value_kind:     hidden_group_size_z
      - .offset:         162
        .size:           2
        .value_kind:     hidden_remainder_x
      - .offset:         164
        .size:           2
        .value_kind:     hidden_remainder_y
      - .offset:         166
        .size:           2
        .value_kind:     hidden_remainder_z
      - .offset:         184
        .size:           8
        .value_kind:     hidden_global_offset_x
      - .offset:         192
        .size:           8
        .value_kind:     hidden_global_offset_y
      - .offset:         200
        .size:           8
        .value_kind:     hidden_global_offset_z
      - .offset:         208
        .size:           2
        .value_kind:     hidden_grid_dims
    .group_segment_fixed_size: 8192
    .kernarg_segment_align: 8
    .kernarg_segment_size: 400
    .language:       OpenCL C
    .language_version:
      - 2
      - 0
    .max_flat_workgroup_size: 256
    .name:           _Z39paged_attention_ll4mi_QKV_mfma16_kernelIDF16_hLN4vllm18Fp8KVCacheDataTypeE1EDF16_Li32ELi128ELi256ELb1ELi9EL8MFMAType0EEvPKT_PKT0_S8_ifPKiSA_SA_iPKfiiiPfSD_PS3_PT2_iSC_SC_
    .private_segment_fixed_size: 352
    .sgpr_count:     57
    .sgpr_spill_count: 0
    .symbol:         _Z39paged_attention_ll4mi_QKV_mfma16_kernelIDF16_hLN4vllm18Fp8KVCacheDataTypeE1EDF16_Li32ELi128ELi256ELb1ELi9EL8MFMAType0EEvPKT_PKT0_S8_ifPKiSA_SA_iPKfiiiPfSD_PS3_PT2_iSC_SC_.kd
    .uniform_work_group_size: 1
    .uses_dynamic_stack: false
    .vgpr_count:     80
    .vgpr_spill_count: 0
    .wavefront_size: 64
  - .agpr_count:     0
    .args:
      - .actual_access:  read_only
        .address_space:  global
        .offset:         0
        .size:           8
        .value_kind:     global_buffer
      - .actual_access:  read_only
        .address_space:  global
        .offset:         8
        .size:           8
        .value_kind:     global_buffer
      - .actual_access:  read_only
        .address_space:  global
        .offset:         16
        .size:           8
        .value_kind:     global_buffer
      - .offset:         24
        .size:           4
        .value_kind:     by_value
      - .offset:         28
        .size:           4
        .value_kind:     by_value
      - .actual_access:  read_only
        .address_space:  global
        .offset:         32
        .size:           8
        .value_kind:     global_buffer
      - .actual_access:  read_only
        .address_space:  global
        .offset:         40
        .size:           8
        .value_kind:     global_buffer
      - .actual_access:  read_only
        .address_space:  global
        .offset:         48
        .size:           8
        .value_kind:     global_buffer
      - .offset:         56
        .size:           4
        .value_kind:     by_value
      - .actual_access:  read_only
        .address_space:  global
        .offset:         64
        .size:           8
        .value_kind:     global_buffer
      - .offset:         72
        .size:           4
        .value_kind:     by_value
      - .offset:         76
        .size:           4
        .value_kind:     by_value
      - .offset:         80
        .size:           4
        .value_kind:     by_value
      - .actual_access:  write_only
        .address_space:  global
        .offset:         88
        .size:           8
        .value_kind:     global_buffer
      - .actual_access:  write_only
        .address_space:  global
        .offset:         96
        .size:           8
        .value_kind:     global_buffer
      - .actual_access:  write_only
        .address_space:  global
        .offset:         104
        .size:           8
        .value_kind:     global_buffer
      - .actual_access:  read_only
        .address_space:  global
        .offset:         112
        .size:           8
        .value_kind:     global_buffer
      - .offset:         120
        .size:           4
        .value_kind:     by_value
      - .address_space:  global
        .offset:         128
        .size:           8
        .value_kind:     global_buffer
      - .address_space:  global
        .offset:         136
        .size:           8
        .value_kind:     global_buffer
      - .offset:         144
        .size:           4
        .value_kind:     hidden_block_count_x
      - .offset:         148
        .size:           4
        .value_kind:     hidden_block_count_y
      - .offset:         152
        .size:           4
        .value_kind:     hidden_block_count_z
      - .offset:         156
        .size:           2
        .value_kind:     hidden_group_size_x
      - .offset:         158
        .size:           2
        .value_kind:     hidden_group_size_y
      - .offset:         160
        .size:           2
        .value_kind:     hidden_group_size_z
      - .offset:         162
        .size:           2
        .value_kind:     hidden_remainder_x
      - .offset:         164
        .size:           2
        .value_kind:     hidden_remainder_y
      - .offset:         166
        .size:           2
        .value_kind:     hidden_remainder_z
      - .offset:         184
        .size:           8
        .value_kind:     hidden_global_offset_x
      - .offset:         192
        .size:           8
        .value_kind:     hidden_global_offset_y
      - .offset:         200
        .size:           8
        .value_kind:     hidden_global_offset_z
      - .offset:         208
        .size:           2
        .value_kind:     hidden_grid_dims
    .group_segment_fixed_size: 8192
    .kernarg_segment_align: 8
    .kernarg_segment_size: 400
    .language:       OpenCL C
    .language_version:
      - 2
      - 0
    .max_flat_workgroup_size: 256
    .name:           _Z39paged_attention_ll4mi_QKV_mfma16_kernelIDF16_hLN4vllm18Fp8KVCacheDataTypeE1EDF16_Li32ELi128ELi256ELb1ELi10EL8MFMAType0EEvPKT_PKT0_S8_ifPKiSA_SA_iPKfiiiPfSD_PS3_PT2_iSC_SC_
    .private_segment_fixed_size: 352
    .sgpr_count:     57
    .sgpr_spill_count: 0
    .symbol:         _Z39paged_attention_ll4mi_QKV_mfma16_kernelIDF16_hLN4vllm18Fp8KVCacheDataTypeE1EDF16_Li32ELi128ELi256ELb1ELi10EL8MFMAType0EEvPKT_PKT0_S8_ifPKiSA_SA_iPKfiiiPfSD_PS3_PT2_iSC_SC_.kd
    .uniform_work_group_size: 1
    .uses_dynamic_stack: false
    .vgpr_count:     80
    .vgpr_spill_count: 0
    .wavefront_size: 64
  - .agpr_count:     0
    .args:
      - .actual_access:  read_only
        .address_space:  global
        .offset:         0
        .size:           8
        .value_kind:     global_buffer
      - .actual_access:  read_only
        .address_space:  global
        .offset:         8
        .size:           8
        .value_kind:     global_buffer
      - .actual_access:  read_only
        .address_space:  global
        .offset:         16
        .size:           8
        .value_kind:     global_buffer
      - .offset:         24
        .size:           4
        .value_kind:     by_value
      - .offset:         28
        .size:           4
        .value_kind:     by_value
      - .actual_access:  read_only
        .address_space:  global
        .offset:         32
        .size:           8
        .value_kind:     global_buffer
      - .actual_access:  read_only
        .address_space:  global
        .offset:         40
        .size:           8
        .value_kind:     global_buffer
      - .actual_access:  read_only
        .address_space:  global
        .offset:         48
        .size:           8
        .value_kind:     global_buffer
      - .offset:         56
        .size:           4
        .value_kind:     by_value
      - .actual_access:  read_only
        .address_space:  global
        .offset:         64
        .size:           8
        .value_kind:     global_buffer
      - .offset:         72
        .size:           4
        .value_kind:     by_value
      - .offset:         76
        .size:           4
        .value_kind:     by_value
      - .offset:         80
        .size:           4
        .value_kind:     by_value
      - .actual_access:  write_only
        .address_space:  global
        .offset:         88
        .size:           8
        .value_kind:     global_buffer
      - .actual_access:  write_only
        .address_space:  global
        .offset:         96
        .size:           8
        .value_kind:     global_buffer
      - .actual_access:  write_only
        .address_space:  global
        .offset:         104
        .size:           8
        .value_kind:     global_buffer
      - .actual_access:  read_only
        .address_space:  global
        .offset:         112
        .size:           8
        .value_kind:     global_buffer
      - .offset:         120
        .size:           4
        .value_kind:     by_value
      - .address_space:  global
        .offset:         128
        .size:           8
        .value_kind:     global_buffer
      - .address_space:  global
        .offset:         136
        .size:           8
        .value_kind:     global_buffer
      - .offset:         144
        .size:           4
        .value_kind:     hidden_block_count_x
      - .offset:         148
        .size:           4
        .value_kind:     hidden_block_count_y
      - .offset:         152
        .size:           4
        .value_kind:     hidden_block_count_z
      - .offset:         156
        .size:           2
        .value_kind:     hidden_group_size_x
      - .offset:         158
        .size:           2
        .value_kind:     hidden_group_size_y
      - .offset:         160
        .size:           2
        .value_kind:     hidden_group_size_z
      - .offset:         162
        .size:           2
        .value_kind:     hidden_remainder_x
      - .offset:         164
        .size:           2
        .value_kind:     hidden_remainder_y
      - .offset:         166
        .size:           2
        .value_kind:     hidden_remainder_z
      - .offset:         184
        .size:           8
        .value_kind:     hidden_global_offset_x
      - .offset:         192
        .size:           8
        .value_kind:     hidden_global_offset_y
      - .offset:         200
        .size:           8
        .value_kind:     hidden_global_offset_z
      - .offset:         208
        .size:           2
        .value_kind:     hidden_grid_dims
    .group_segment_fixed_size: 8192
    .kernarg_segment_align: 8
    .kernarg_segment_size: 400
    .language:       OpenCL C
    .language_version:
      - 2
      - 0
    .max_flat_workgroup_size: 256
    .name:           _Z39paged_attention_ll4mi_QKV_mfma16_kernelIDF16_hLN4vllm18Fp8KVCacheDataTypeE1EDF16_Li32ELi128ELi256ELb1ELi11EL8MFMAType0EEvPKT_PKT0_S8_ifPKiSA_SA_iPKfiiiPfSD_PS3_PT2_iSC_SC_
    .private_segment_fixed_size: 352
    .sgpr_count:     57
    .sgpr_spill_count: 0
    .symbol:         _Z39paged_attention_ll4mi_QKV_mfma16_kernelIDF16_hLN4vllm18Fp8KVCacheDataTypeE1EDF16_Li32ELi128ELi256ELb1ELi11EL8MFMAType0EEvPKT_PKT0_S8_ifPKiSA_SA_iPKfiiiPfSD_PS3_PT2_iSC_SC_.kd
    .uniform_work_group_size: 1
    .uses_dynamic_stack: false
    .vgpr_count:     80
    .vgpr_spill_count: 0
    .wavefront_size: 64
  - .agpr_count:     0
    .args:
      - .actual_access:  read_only
        .address_space:  global
        .offset:         0
        .size:           8
        .value_kind:     global_buffer
      - .actual_access:  read_only
        .address_space:  global
        .offset:         8
        .size:           8
        .value_kind:     global_buffer
      - .actual_access:  read_only
        .address_space:  global
        .offset:         16
        .size:           8
        .value_kind:     global_buffer
      - .offset:         24
        .size:           4
        .value_kind:     by_value
      - .offset:         28
        .size:           4
        .value_kind:     by_value
      - .actual_access:  read_only
        .address_space:  global
        .offset:         32
        .size:           8
        .value_kind:     global_buffer
      - .actual_access:  read_only
        .address_space:  global
        .offset:         40
        .size:           8
        .value_kind:     global_buffer
      - .actual_access:  read_only
        .address_space:  global
        .offset:         48
        .size:           8
        .value_kind:     global_buffer
      - .offset:         56
        .size:           4
        .value_kind:     by_value
      - .actual_access:  read_only
        .address_space:  global
        .offset:         64
        .size:           8
        .value_kind:     global_buffer
      - .offset:         72
        .size:           4
        .value_kind:     by_value
      - .offset:         76
        .size:           4
        .value_kind:     by_value
      - .offset:         80
        .size:           4
        .value_kind:     by_value
      - .actual_access:  write_only
        .address_space:  global
        .offset:         88
        .size:           8
        .value_kind:     global_buffer
      - .actual_access:  write_only
        .address_space:  global
        .offset:         96
        .size:           8
        .value_kind:     global_buffer
      - .actual_access:  write_only
        .address_space:  global
        .offset:         104
        .size:           8
        .value_kind:     global_buffer
      - .actual_access:  read_only
        .address_space:  global
        .offset:         112
        .size:           8
        .value_kind:     global_buffer
      - .offset:         120
        .size:           4
        .value_kind:     by_value
      - .address_space:  global
        .offset:         128
        .size:           8
        .value_kind:     global_buffer
      - .address_space:  global
        .offset:         136
        .size:           8
        .value_kind:     global_buffer
      - .offset:         144
        .size:           4
        .value_kind:     hidden_block_count_x
      - .offset:         148
        .size:           4
        .value_kind:     hidden_block_count_y
      - .offset:         152
        .size:           4
        .value_kind:     hidden_block_count_z
      - .offset:         156
        .size:           2
        .value_kind:     hidden_group_size_x
      - .offset:         158
        .size:           2
        .value_kind:     hidden_group_size_y
      - .offset:         160
        .size:           2
        .value_kind:     hidden_group_size_z
      - .offset:         162
        .size:           2
        .value_kind:     hidden_remainder_x
      - .offset:         164
        .size:           2
        .value_kind:     hidden_remainder_y
      - .offset:         166
        .size:           2
        .value_kind:     hidden_remainder_z
      - .offset:         184
        .size:           8
        .value_kind:     hidden_global_offset_x
      - .offset:         192
        .size:           8
        .value_kind:     hidden_global_offset_y
      - .offset:         200
        .size:           8
        .value_kind:     hidden_global_offset_z
      - .offset:         208
        .size:           2
        .value_kind:     hidden_grid_dims
    .group_segment_fixed_size: 8192
    .kernarg_segment_align: 8
    .kernarg_segment_size: 400
    .language:       OpenCL C
    .language_version:
      - 2
      - 0
    .max_flat_workgroup_size: 256
    .name:           _Z39paged_attention_ll4mi_QKV_mfma16_kernelIDF16_hLN4vllm18Fp8KVCacheDataTypeE1EDF16_Li32ELi128ELi256ELb1ELi12EL8MFMAType0EEvPKT_PKT0_S8_ifPKiSA_SA_iPKfiiiPfSD_PS3_PT2_iSC_SC_
    .private_segment_fixed_size: 352
    .sgpr_count:     57
    .sgpr_spill_count: 0
    .symbol:         _Z39paged_attention_ll4mi_QKV_mfma16_kernelIDF16_hLN4vllm18Fp8KVCacheDataTypeE1EDF16_Li32ELi128ELi256ELb1ELi12EL8MFMAType0EEvPKT_PKT0_S8_ifPKiSA_SA_iPKfiiiPfSD_PS3_PT2_iSC_SC_.kd
    .uniform_work_group_size: 1
    .uses_dynamic_stack: false
    .vgpr_count:     80
    .vgpr_spill_count: 0
    .wavefront_size: 64
  - .agpr_count:     0
    .args:
      - .actual_access:  read_only
        .address_space:  global
        .offset:         0
        .size:           8
        .value_kind:     global_buffer
      - .actual_access:  read_only
        .address_space:  global
        .offset:         8
        .size:           8
        .value_kind:     global_buffer
      - .actual_access:  read_only
        .address_space:  global
        .offset:         16
        .size:           8
        .value_kind:     global_buffer
      - .offset:         24
        .size:           4
        .value_kind:     by_value
      - .offset:         28
        .size:           4
        .value_kind:     by_value
      - .actual_access:  read_only
        .address_space:  global
        .offset:         32
        .size:           8
        .value_kind:     global_buffer
      - .actual_access:  read_only
        .address_space:  global
        .offset:         40
        .size:           8
        .value_kind:     global_buffer
      - .actual_access:  read_only
        .address_space:  global
        .offset:         48
        .size:           8
        .value_kind:     global_buffer
      - .offset:         56
        .size:           4
        .value_kind:     by_value
      - .actual_access:  read_only
        .address_space:  global
        .offset:         64
        .size:           8
        .value_kind:     global_buffer
      - .offset:         72
        .size:           4
        .value_kind:     by_value
      - .offset:         76
        .size:           4
        .value_kind:     by_value
      - .offset:         80
        .size:           4
        .value_kind:     by_value
      - .actual_access:  write_only
        .address_space:  global
        .offset:         88
        .size:           8
        .value_kind:     global_buffer
      - .actual_access:  write_only
        .address_space:  global
        .offset:         96
        .size:           8
        .value_kind:     global_buffer
      - .actual_access:  write_only
        .address_space:  global
        .offset:         104
        .size:           8
        .value_kind:     global_buffer
      - .actual_access:  read_only
        .address_space:  global
        .offset:         112
        .size:           8
        .value_kind:     global_buffer
      - .offset:         120
        .size:           4
        .value_kind:     by_value
      - .address_space:  global
        .offset:         128
        .size:           8
        .value_kind:     global_buffer
      - .address_space:  global
        .offset:         136
        .size:           8
        .value_kind:     global_buffer
      - .offset:         144
        .size:           4
        .value_kind:     hidden_block_count_x
      - .offset:         148
        .size:           4
        .value_kind:     hidden_block_count_y
      - .offset:         152
        .size:           4
        .value_kind:     hidden_block_count_z
      - .offset:         156
        .size:           2
        .value_kind:     hidden_group_size_x
      - .offset:         158
        .size:           2
        .value_kind:     hidden_group_size_y
      - .offset:         160
        .size:           2
        .value_kind:     hidden_group_size_z
      - .offset:         162
        .size:           2
        .value_kind:     hidden_remainder_x
      - .offset:         164
        .size:           2
        .value_kind:     hidden_remainder_y
      - .offset:         166
        .size:           2
        .value_kind:     hidden_remainder_z
      - .offset:         184
        .size:           8
        .value_kind:     hidden_global_offset_x
      - .offset:         192
        .size:           8
        .value_kind:     hidden_global_offset_y
      - .offset:         200
        .size:           8
        .value_kind:     hidden_global_offset_z
      - .offset:         208
        .size:           2
        .value_kind:     hidden_grid_dims
    .group_segment_fixed_size: 8192
    .kernarg_segment_align: 8
    .kernarg_segment_size: 400
    .language:       OpenCL C
    .language_version:
      - 2
      - 0
    .max_flat_workgroup_size: 256
    .name:           _Z39paged_attention_ll4mi_QKV_mfma16_kernelIDF16_hLN4vllm18Fp8KVCacheDataTypeE1EDF16_Li32ELi128ELi256ELb1ELi13EL8MFMAType0EEvPKT_PKT0_S8_ifPKiSA_SA_iPKfiiiPfSD_PS3_PT2_iSC_SC_
    .private_segment_fixed_size: 352
    .sgpr_count:     57
    .sgpr_spill_count: 0
    .symbol:         _Z39paged_attention_ll4mi_QKV_mfma16_kernelIDF16_hLN4vllm18Fp8KVCacheDataTypeE1EDF16_Li32ELi128ELi256ELb1ELi13EL8MFMAType0EEvPKT_PKT0_S8_ifPKiSA_SA_iPKfiiiPfSD_PS3_PT2_iSC_SC_.kd
    .uniform_work_group_size: 1
    .uses_dynamic_stack: false
    .vgpr_count:     80
    .vgpr_spill_count: 0
    .wavefront_size: 64
  - .agpr_count:     0
    .args:
      - .actual_access:  read_only
        .address_space:  global
        .offset:         0
        .size:           8
        .value_kind:     global_buffer
      - .actual_access:  read_only
        .address_space:  global
        .offset:         8
        .size:           8
        .value_kind:     global_buffer
      - .actual_access:  read_only
        .address_space:  global
        .offset:         16
        .size:           8
        .value_kind:     global_buffer
      - .offset:         24
        .size:           4
        .value_kind:     by_value
      - .offset:         28
        .size:           4
        .value_kind:     by_value
      - .actual_access:  read_only
        .address_space:  global
        .offset:         32
        .size:           8
        .value_kind:     global_buffer
      - .actual_access:  read_only
        .address_space:  global
        .offset:         40
        .size:           8
        .value_kind:     global_buffer
      - .actual_access:  read_only
        .address_space:  global
        .offset:         48
        .size:           8
        .value_kind:     global_buffer
      - .offset:         56
        .size:           4
        .value_kind:     by_value
      - .actual_access:  read_only
        .address_space:  global
        .offset:         64
        .size:           8
        .value_kind:     global_buffer
      - .offset:         72
        .size:           4
        .value_kind:     by_value
      - .offset:         76
        .size:           4
        .value_kind:     by_value
      - .offset:         80
        .size:           4
        .value_kind:     by_value
      - .actual_access:  write_only
        .address_space:  global
        .offset:         88
        .size:           8
        .value_kind:     global_buffer
      - .actual_access:  write_only
        .address_space:  global
        .offset:         96
        .size:           8
        .value_kind:     global_buffer
      - .actual_access:  write_only
        .address_space:  global
        .offset:         104
        .size:           8
        .value_kind:     global_buffer
      - .actual_access:  read_only
        .address_space:  global
        .offset:         112
        .size:           8
        .value_kind:     global_buffer
      - .offset:         120
        .size:           4
        .value_kind:     by_value
      - .address_space:  global
        .offset:         128
        .size:           8
        .value_kind:     global_buffer
      - .address_space:  global
        .offset:         136
        .size:           8
        .value_kind:     global_buffer
      - .offset:         144
        .size:           4
        .value_kind:     hidden_block_count_x
      - .offset:         148
        .size:           4
        .value_kind:     hidden_block_count_y
      - .offset:         152
        .size:           4
        .value_kind:     hidden_block_count_z
      - .offset:         156
        .size:           2
        .value_kind:     hidden_group_size_x
      - .offset:         158
        .size:           2
        .value_kind:     hidden_group_size_y
      - .offset:         160
        .size:           2
        .value_kind:     hidden_group_size_z
      - .offset:         162
        .size:           2
        .value_kind:     hidden_remainder_x
      - .offset:         164
        .size:           2
        .value_kind:     hidden_remainder_y
      - .offset:         166
        .size:           2
        .value_kind:     hidden_remainder_z
      - .offset:         184
        .size:           8
        .value_kind:     hidden_global_offset_x
      - .offset:         192
        .size:           8
        .value_kind:     hidden_global_offset_y
      - .offset:         200
        .size:           8
        .value_kind:     hidden_global_offset_z
      - .offset:         208
        .size:           2
        .value_kind:     hidden_grid_dims
    .group_segment_fixed_size: 8192
    .kernarg_segment_align: 8
    .kernarg_segment_size: 400
    .language:       OpenCL C
    .language_version:
      - 2
      - 0
    .max_flat_workgroup_size: 256
    .name:           _Z39paged_attention_ll4mi_QKV_mfma16_kernelIDF16_hLN4vllm18Fp8KVCacheDataTypeE1EDF16_Li32ELi128ELi256ELb1ELi14EL8MFMAType0EEvPKT_PKT0_S8_ifPKiSA_SA_iPKfiiiPfSD_PS3_PT2_iSC_SC_
    .private_segment_fixed_size: 352
    .sgpr_count:     57
    .sgpr_spill_count: 0
    .symbol:         _Z39paged_attention_ll4mi_QKV_mfma16_kernelIDF16_hLN4vllm18Fp8KVCacheDataTypeE1EDF16_Li32ELi128ELi256ELb1ELi14EL8MFMAType0EEvPKT_PKT0_S8_ifPKiSA_SA_iPKfiiiPfSD_PS3_PT2_iSC_SC_.kd
    .uniform_work_group_size: 1
    .uses_dynamic_stack: false
    .vgpr_count:     80
    .vgpr_spill_count: 0
    .wavefront_size: 64
  - .agpr_count:     0
    .args:
      - .actual_access:  read_only
        .address_space:  global
        .offset:         0
        .size:           8
        .value_kind:     global_buffer
      - .actual_access:  read_only
        .address_space:  global
        .offset:         8
        .size:           8
        .value_kind:     global_buffer
      - .actual_access:  read_only
        .address_space:  global
        .offset:         16
        .size:           8
        .value_kind:     global_buffer
      - .offset:         24
        .size:           4
        .value_kind:     by_value
      - .offset:         28
        .size:           4
        .value_kind:     by_value
      - .actual_access:  read_only
        .address_space:  global
        .offset:         32
        .size:           8
        .value_kind:     global_buffer
      - .actual_access:  read_only
        .address_space:  global
        .offset:         40
        .size:           8
        .value_kind:     global_buffer
      - .actual_access:  read_only
        .address_space:  global
        .offset:         48
        .size:           8
        .value_kind:     global_buffer
      - .offset:         56
        .size:           4
        .value_kind:     by_value
      - .actual_access:  read_only
        .address_space:  global
        .offset:         64
        .size:           8
        .value_kind:     global_buffer
      - .offset:         72
        .size:           4
        .value_kind:     by_value
      - .offset:         76
        .size:           4
        .value_kind:     by_value
      - .offset:         80
        .size:           4
        .value_kind:     by_value
      - .actual_access:  write_only
        .address_space:  global
        .offset:         88
        .size:           8
        .value_kind:     global_buffer
      - .actual_access:  write_only
        .address_space:  global
        .offset:         96
        .size:           8
        .value_kind:     global_buffer
      - .actual_access:  write_only
        .address_space:  global
        .offset:         104
        .size:           8
        .value_kind:     global_buffer
      - .actual_access:  read_only
        .address_space:  global
        .offset:         112
        .size:           8
        .value_kind:     global_buffer
      - .offset:         120
        .size:           4
        .value_kind:     by_value
      - .address_space:  global
        .offset:         128
        .size:           8
        .value_kind:     global_buffer
      - .address_space:  global
        .offset:         136
        .size:           8
        .value_kind:     global_buffer
      - .offset:         144
        .size:           4
        .value_kind:     hidden_block_count_x
      - .offset:         148
        .size:           4
        .value_kind:     hidden_block_count_y
      - .offset:         152
        .size:           4
        .value_kind:     hidden_block_count_z
      - .offset:         156
        .size:           2
        .value_kind:     hidden_group_size_x
      - .offset:         158
        .size:           2
        .value_kind:     hidden_group_size_y
      - .offset:         160
        .size:           2
        .value_kind:     hidden_group_size_z
      - .offset:         162
        .size:           2
        .value_kind:     hidden_remainder_x
      - .offset:         164
        .size:           2
        .value_kind:     hidden_remainder_y
      - .offset:         166
        .size:           2
        .value_kind:     hidden_remainder_z
      - .offset:         184
        .size:           8
        .value_kind:     hidden_global_offset_x
      - .offset:         192
        .size:           8
        .value_kind:     hidden_global_offset_y
      - .offset:         200
        .size:           8
        .value_kind:     hidden_global_offset_z
      - .offset:         208
        .size:           2
        .value_kind:     hidden_grid_dims
    .group_segment_fixed_size: 8192
    .kernarg_segment_align: 8
    .kernarg_segment_size: 400
    .language:       OpenCL C
    .language_version:
      - 2
      - 0
    .max_flat_workgroup_size: 256
    .name:           _Z39paged_attention_ll4mi_QKV_mfma16_kernelIDF16_hLN4vllm18Fp8KVCacheDataTypeE1EDF16_Li32ELi128ELi256ELb1ELi15EL8MFMAType0EEvPKT_PKT0_S8_ifPKiSA_SA_iPKfiiiPfSD_PS3_PT2_iSC_SC_
    .private_segment_fixed_size: 352
    .sgpr_count:     57
    .sgpr_spill_count: 0
    .symbol:         _Z39paged_attention_ll4mi_QKV_mfma16_kernelIDF16_hLN4vllm18Fp8KVCacheDataTypeE1EDF16_Li32ELi128ELi256ELb1ELi15EL8MFMAType0EEvPKT_PKT0_S8_ifPKiSA_SA_iPKfiiiPfSD_PS3_PT2_iSC_SC_.kd
    .uniform_work_group_size: 1
    .uses_dynamic_stack: false
    .vgpr_count:     80
    .vgpr_spill_count: 0
    .wavefront_size: 64
  - .agpr_count:     0
    .args:
      - .actual_access:  read_only
        .address_space:  global
        .offset:         0
        .size:           8
        .value_kind:     global_buffer
      - .actual_access:  read_only
        .address_space:  global
        .offset:         8
        .size:           8
        .value_kind:     global_buffer
      - .actual_access:  read_only
        .address_space:  global
        .offset:         16
        .size:           8
        .value_kind:     global_buffer
      - .offset:         24
        .size:           4
        .value_kind:     by_value
      - .offset:         28
        .size:           4
        .value_kind:     by_value
      - .actual_access:  read_only
        .address_space:  global
        .offset:         32
        .size:           8
        .value_kind:     global_buffer
      - .actual_access:  read_only
        .address_space:  global
        .offset:         40
        .size:           8
        .value_kind:     global_buffer
      - .actual_access:  read_only
        .address_space:  global
        .offset:         48
        .size:           8
        .value_kind:     global_buffer
      - .offset:         56
        .size:           4
        .value_kind:     by_value
      - .actual_access:  read_only
        .address_space:  global
        .offset:         64
        .size:           8
        .value_kind:     global_buffer
      - .offset:         72
        .size:           4
        .value_kind:     by_value
      - .offset:         76
        .size:           4
        .value_kind:     by_value
      - .offset:         80
        .size:           4
        .value_kind:     by_value
      - .actual_access:  write_only
        .address_space:  global
        .offset:         88
        .size:           8
        .value_kind:     global_buffer
      - .actual_access:  write_only
        .address_space:  global
        .offset:         96
        .size:           8
        .value_kind:     global_buffer
      - .actual_access:  write_only
        .address_space:  global
        .offset:         104
        .size:           8
        .value_kind:     global_buffer
      - .actual_access:  read_only
        .address_space:  global
        .offset:         112
        .size:           8
        .value_kind:     global_buffer
      - .offset:         120
        .size:           4
        .value_kind:     by_value
      - .address_space:  global
        .offset:         128
        .size:           8
        .value_kind:     global_buffer
      - .address_space:  global
        .offset:         136
        .size:           8
        .value_kind:     global_buffer
      - .offset:         144
        .size:           4
        .value_kind:     hidden_block_count_x
      - .offset:         148
        .size:           4
        .value_kind:     hidden_block_count_y
      - .offset:         152
        .size:           4
        .value_kind:     hidden_block_count_z
      - .offset:         156
        .size:           2
        .value_kind:     hidden_group_size_x
      - .offset:         158
        .size:           2
        .value_kind:     hidden_group_size_y
      - .offset:         160
        .size:           2
        .value_kind:     hidden_group_size_z
      - .offset:         162
        .size:           2
        .value_kind:     hidden_remainder_x
      - .offset:         164
        .size:           2
        .value_kind:     hidden_remainder_y
      - .offset:         166
        .size:           2
        .value_kind:     hidden_remainder_z
      - .offset:         184
        .size:           8
        .value_kind:     hidden_global_offset_x
      - .offset:         192
        .size:           8
        .value_kind:     hidden_global_offset_y
      - .offset:         200
        .size:           8
        .value_kind:     hidden_global_offset_z
      - .offset:         208
        .size:           2
        .value_kind:     hidden_grid_dims
    .group_segment_fixed_size: 8192
    .kernarg_segment_align: 8
    .kernarg_segment_size: 400
    .language:       OpenCL C
    .language_version:
      - 2
      - 0
    .max_flat_workgroup_size: 256
    .name:           _Z39paged_attention_ll4mi_QKV_mfma16_kernelIDF16_hLN4vllm18Fp8KVCacheDataTypeE1EDF16_Li32ELi128ELi256ELb1ELi16EL8MFMAType0EEvPKT_PKT0_S8_ifPKiSA_SA_iPKfiiiPfSD_PS3_PT2_iSC_SC_
    .private_segment_fixed_size: 352
    .sgpr_count:     57
    .sgpr_spill_count: 0
    .symbol:         _Z39paged_attention_ll4mi_QKV_mfma16_kernelIDF16_hLN4vllm18Fp8KVCacheDataTypeE1EDF16_Li32ELi128ELi256ELb1ELi16EL8MFMAType0EEvPKT_PKT0_S8_ifPKiSA_SA_iPKfiiiPfSD_PS3_PT2_iSC_SC_.kd
    .uniform_work_group_size: 1
    .uses_dynamic_stack: false
    .vgpr_count:     76
    .vgpr_spill_count: 0
    .wavefront_size: 64
  - .agpr_count:     0
    .args:
      - .actual_access:  read_only
        .address_space:  global
        .offset:         0
        .size:           8
        .value_kind:     global_buffer
      - .actual_access:  read_only
        .address_space:  global
        .offset:         8
        .size:           8
        .value_kind:     global_buffer
      - .actual_access:  read_only
        .address_space:  global
        .offset:         16
        .size:           8
        .value_kind:     global_buffer
      - .offset:         24
        .size:           4
        .value_kind:     by_value
      - .offset:         28
        .size:           4
        .value_kind:     by_value
      - .actual_access:  read_only
        .address_space:  global
        .offset:         32
        .size:           8
        .value_kind:     global_buffer
      - .actual_access:  read_only
        .address_space:  global
        .offset:         40
        .size:           8
        .value_kind:     global_buffer
      - .actual_access:  read_only
        .address_space:  global
        .offset:         48
        .size:           8
        .value_kind:     global_buffer
      - .offset:         56
        .size:           4
        .value_kind:     by_value
      - .actual_access:  read_only
        .address_space:  global
        .offset:         64
        .size:           8
        .value_kind:     global_buffer
      - .offset:         72
        .size:           4
        .value_kind:     by_value
      - .offset:         76
        .size:           4
        .value_kind:     by_value
      - .offset:         80
        .size:           4
        .value_kind:     by_value
      - .actual_access:  write_only
        .address_space:  global
        .offset:         88
        .size:           8
        .value_kind:     global_buffer
      - .actual_access:  write_only
        .address_space:  global
        .offset:         96
        .size:           8
        .value_kind:     global_buffer
      - .actual_access:  write_only
        .address_space:  global
        .offset:         104
        .size:           8
        .value_kind:     global_buffer
      - .actual_access:  read_only
        .address_space:  global
        .offset:         112
        .size:           8
        .value_kind:     global_buffer
      - .offset:         120
        .size:           4
        .value_kind:     by_value
      - .address_space:  global
        .offset:         128
        .size:           8
        .value_kind:     global_buffer
      - .address_space:  global
        .offset:         136
        .size:           8
        .value_kind:     global_buffer
      - .offset:         144
        .size:           4
        .value_kind:     hidden_block_count_x
      - .offset:         148
        .size:           4
        .value_kind:     hidden_block_count_y
      - .offset:         152
        .size:           4
        .value_kind:     hidden_block_count_z
      - .offset:         156
        .size:           2
        .value_kind:     hidden_group_size_x
      - .offset:         158
        .size:           2
        .value_kind:     hidden_group_size_y
      - .offset:         160
        .size:           2
        .value_kind:     hidden_group_size_z
      - .offset:         162
        .size:           2
        .value_kind:     hidden_remainder_x
      - .offset:         164
        .size:           2
        .value_kind:     hidden_remainder_y
      - .offset:         166
        .size:           2
        .value_kind:     hidden_remainder_z
      - .offset:         184
        .size:           8
        .value_kind:     hidden_global_offset_x
      - .offset:         192
        .size:           8
        .value_kind:     hidden_global_offset_y
      - .offset:         200
        .size:           8
        .value_kind:     hidden_global_offset_z
      - .offset:         208
        .size:           2
        .value_kind:     hidden_grid_dims
    .group_segment_fixed_size: 8192
    .kernarg_segment_align: 8
    .kernarg_segment_size: 400
    .language:       OpenCL C
    .language_version:
      - 2
      - 0
    .max_flat_workgroup_size: 256
    .name:           _Z39paged_attention_ll4mi_QKV_mfma16_kernelIDF16_hLN4vllm18Fp8KVCacheDataTypeE1EDF16_Li32ELi128ELi256ELb1ELi1EL8MFMAType0EEvPKT_PKT0_S8_ifPKiSA_SA_iPKfiiiPfSD_PS3_PT2_iSC_SC_
    .private_segment_fixed_size: 352
    .sgpr_count:     60
    .sgpr_spill_count: 0
    .symbol:         _Z39paged_attention_ll4mi_QKV_mfma16_kernelIDF16_hLN4vllm18Fp8KVCacheDataTypeE1EDF16_Li32ELi128ELi256ELb1ELi1EL8MFMAType0EEvPKT_PKT0_S8_ifPKiSA_SA_iPKfiiiPfSD_PS3_PT2_iSC_SC_.kd
    .uniform_work_group_size: 1
    .uses_dynamic_stack: false
    .vgpr_count:     80
    .vgpr_spill_count: 0
    .wavefront_size: 64
  - .agpr_count:     0
    .args:
      - .actual_access:  read_only
        .address_space:  global
        .offset:         0
        .size:           8
        .value_kind:     global_buffer
      - .actual_access:  read_only
        .address_space:  global
        .offset:         8
        .size:           8
        .value_kind:     global_buffer
      - .actual_access:  read_only
        .address_space:  global
        .offset:         16
        .size:           8
        .value_kind:     global_buffer
      - .offset:         24
        .size:           4
        .value_kind:     by_value
      - .offset:         28
        .size:           4
        .value_kind:     by_value
      - .actual_access:  read_only
        .address_space:  global
        .offset:         32
        .size:           8
        .value_kind:     global_buffer
      - .actual_access:  read_only
        .address_space:  global
        .offset:         40
        .size:           8
        .value_kind:     global_buffer
      - .actual_access:  read_only
        .address_space:  global
        .offset:         48
        .size:           8
        .value_kind:     global_buffer
      - .offset:         56
        .size:           4
        .value_kind:     by_value
      - .actual_access:  read_only
        .address_space:  global
        .offset:         64
        .size:           8
        .value_kind:     global_buffer
      - .offset:         72
        .size:           4
        .value_kind:     by_value
      - .offset:         76
        .size:           4
        .value_kind:     by_value
      - .offset:         80
        .size:           4
        .value_kind:     by_value
      - .actual_access:  write_only
        .address_space:  global
        .offset:         88
        .size:           8
        .value_kind:     global_buffer
      - .actual_access:  write_only
        .address_space:  global
        .offset:         96
        .size:           8
        .value_kind:     global_buffer
      - .actual_access:  write_only
        .address_space:  global
        .offset:         104
        .size:           8
        .value_kind:     global_buffer
      - .actual_access:  read_only
        .address_space:  global
        .offset:         112
        .size:           8
        .value_kind:     global_buffer
      - .offset:         120
        .size:           4
        .value_kind:     by_value
      - .address_space:  global
        .offset:         128
        .size:           8
        .value_kind:     global_buffer
      - .address_space:  global
        .offset:         136
        .size:           8
        .value_kind:     global_buffer
      - .offset:         144
        .size:           4
        .value_kind:     hidden_block_count_x
      - .offset:         148
        .size:           4
        .value_kind:     hidden_block_count_y
      - .offset:         152
        .size:           4
        .value_kind:     hidden_block_count_z
      - .offset:         156
        .size:           2
        .value_kind:     hidden_group_size_x
      - .offset:         158
        .size:           2
        .value_kind:     hidden_group_size_y
      - .offset:         160
        .size:           2
        .value_kind:     hidden_group_size_z
      - .offset:         162
        .size:           2
        .value_kind:     hidden_remainder_x
      - .offset:         164
        .size:           2
        .value_kind:     hidden_remainder_y
      - .offset:         166
        .size:           2
        .value_kind:     hidden_remainder_z
      - .offset:         184
        .size:           8
        .value_kind:     hidden_global_offset_x
      - .offset:         192
        .size:           8
        .value_kind:     hidden_global_offset_y
      - .offset:         200
        .size:           8
        .value_kind:     hidden_global_offset_z
      - .offset:         208
        .size:           2
        .value_kind:     hidden_grid_dims
    .group_segment_fixed_size: 8192
    .kernarg_segment_align: 8
    .kernarg_segment_size: 400
    .language:       OpenCL C
    .language_version:
      - 2
      - 0
    .max_flat_workgroup_size: 256
    .name:           _Z39paged_attention_ll4mi_QKV_mfma16_kernelIDF16_hLN4vllm18Fp8KVCacheDataTypeE1EDF16_Li32ELi128ELi256ELb1ELi2EL8MFMAType0EEvPKT_PKT0_S8_ifPKiSA_SA_iPKfiiiPfSD_PS3_PT2_iSC_SC_
    .private_segment_fixed_size: 352
    .sgpr_count:     57
    .sgpr_spill_count: 0
    .symbol:         _Z39paged_attention_ll4mi_QKV_mfma16_kernelIDF16_hLN4vllm18Fp8KVCacheDataTypeE1EDF16_Li32ELi128ELi256ELb1ELi2EL8MFMAType0EEvPKT_PKT0_S8_ifPKiSA_SA_iPKfiiiPfSD_PS3_PT2_iSC_SC_.kd
    .uniform_work_group_size: 1
    .uses_dynamic_stack: false
    .vgpr_count:     82
    .vgpr_spill_count: 0
    .wavefront_size: 64
  - .agpr_count:     0
    .args:
      - .actual_access:  read_only
        .address_space:  global
        .offset:         0
        .size:           8
        .value_kind:     global_buffer
      - .actual_access:  read_only
        .address_space:  global
        .offset:         8
        .size:           8
        .value_kind:     global_buffer
      - .actual_access:  read_only
        .address_space:  global
        .offset:         16
        .size:           8
        .value_kind:     global_buffer
      - .offset:         24
        .size:           4
        .value_kind:     by_value
      - .offset:         28
        .size:           4
        .value_kind:     by_value
      - .actual_access:  read_only
        .address_space:  global
        .offset:         32
        .size:           8
        .value_kind:     global_buffer
      - .actual_access:  read_only
        .address_space:  global
        .offset:         40
        .size:           8
        .value_kind:     global_buffer
      - .actual_access:  read_only
        .address_space:  global
        .offset:         48
        .size:           8
        .value_kind:     global_buffer
      - .offset:         56
        .size:           4
        .value_kind:     by_value
      - .actual_access:  read_only
        .address_space:  global
        .offset:         64
        .size:           8
        .value_kind:     global_buffer
      - .offset:         72
        .size:           4
        .value_kind:     by_value
      - .offset:         76
        .size:           4
        .value_kind:     by_value
      - .offset:         80
        .size:           4
        .value_kind:     by_value
      - .actual_access:  write_only
        .address_space:  global
        .offset:         88
        .size:           8
        .value_kind:     global_buffer
      - .actual_access:  write_only
        .address_space:  global
        .offset:         96
        .size:           8
        .value_kind:     global_buffer
      - .actual_access:  write_only
        .address_space:  global
        .offset:         104
        .size:           8
        .value_kind:     global_buffer
      - .actual_access:  read_only
        .address_space:  global
        .offset:         112
        .size:           8
        .value_kind:     global_buffer
      - .offset:         120
        .size:           4
        .value_kind:     by_value
      - .address_space:  global
        .offset:         128
        .size:           8
        .value_kind:     global_buffer
      - .address_space:  global
        .offset:         136
        .size:           8
        .value_kind:     global_buffer
      - .offset:         144
        .size:           4
        .value_kind:     hidden_block_count_x
      - .offset:         148
        .size:           4
        .value_kind:     hidden_block_count_y
      - .offset:         152
        .size:           4
        .value_kind:     hidden_block_count_z
      - .offset:         156
        .size:           2
        .value_kind:     hidden_group_size_x
      - .offset:         158
        .size:           2
        .value_kind:     hidden_group_size_y
      - .offset:         160
        .size:           2
        .value_kind:     hidden_group_size_z
      - .offset:         162
        .size:           2
        .value_kind:     hidden_remainder_x
      - .offset:         164
        .size:           2
        .value_kind:     hidden_remainder_y
      - .offset:         166
        .size:           2
        .value_kind:     hidden_remainder_z
      - .offset:         184
        .size:           8
        .value_kind:     hidden_global_offset_x
      - .offset:         192
        .size:           8
        .value_kind:     hidden_global_offset_y
      - .offset:         200
        .size:           8
        .value_kind:     hidden_global_offset_z
      - .offset:         208
        .size:           2
        .value_kind:     hidden_grid_dims
    .group_segment_fixed_size: 8192
    .kernarg_segment_align: 8
    .kernarg_segment_size: 400
    .language:       OpenCL C
    .language_version:
      - 2
      - 0
    .max_flat_workgroup_size: 256
    .name:           _Z39paged_attention_ll4mi_QKV_mfma16_kernelIDF16_hLN4vllm18Fp8KVCacheDataTypeE1EDF16_Li32ELi128ELi256ELb1ELi3EL8MFMAType0EEvPKT_PKT0_S8_ifPKiSA_SA_iPKfiiiPfSD_PS3_PT2_iSC_SC_
    .private_segment_fixed_size: 352
    .sgpr_count:     57
    .sgpr_spill_count: 0
    .symbol:         _Z39paged_attention_ll4mi_QKV_mfma16_kernelIDF16_hLN4vllm18Fp8KVCacheDataTypeE1EDF16_Li32ELi128ELi256ELb1ELi3EL8MFMAType0EEvPKT_PKT0_S8_ifPKiSA_SA_iPKfiiiPfSD_PS3_PT2_iSC_SC_.kd
    .uniform_work_group_size: 1
    .uses_dynamic_stack: false
    .vgpr_count:     82
    .vgpr_spill_count: 0
    .wavefront_size: 64
  - .agpr_count:     0
    .args:
      - .actual_access:  read_only
        .address_space:  global
        .offset:         0
        .size:           8
        .value_kind:     global_buffer
      - .actual_access:  read_only
        .address_space:  global
        .offset:         8
        .size:           8
        .value_kind:     global_buffer
      - .actual_access:  read_only
        .address_space:  global
        .offset:         16
        .size:           8
        .value_kind:     global_buffer
      - .offset:         24
        .size:           4
        .value_kind:     by_value
      - .offset:         28
        .size:           4
        .value_kind:     by_value
      - .actual_access:  read_only
        .address_space:  global
        .offset:         32
        .size:           8
        .value_kind:     global_buffer
      - .actual_access:  read_only
        .address_space:  global
        .offset:         40
        .size:           8
        .value_kind:     global_buffer
      - .actual_access:  read_only
        .address_space:  global
        .offset:         48
        .size:           8
        .value_kind:     global_buffer
      - .offset:         56
        .size:           4
        .value_kind:     by_value
      - .actual_access:  read_only
        .address_space:  global
        .offset:         64
        .size:           8
        .value_kind:     global_buffer
      - .offset:         72
        .size:           4
        .value_kind:     by_value
      - .offset:         76
        .size:           4
        .value_kind:     by_value
      - .offset:         80
        .size:           4
        .value_kind:     by_value
      - .actual_access:  write_only
        .address_space:  global
        .offset:         88
        .size:           8
        .value_kind:     global_buffer
      - .actual_access:  write_only
        .address_space:  global
        .offset:         96
        .size:           8
        .value_kind:     global_buffer
      - .actual_access:  write_only
        .address_space:  global
        .offset:         104
        .size:           8
        .value_kind:     global_buffer
      - .actual_access:  read_only
        .address_space:  global
        .offset:         112
        .size:           8
        .value_kind:     global_buffer
      - .offset:         120
        .size:           4
        .value_kind:     by_value
      - .address_space:  global
        .offset:         128
        .size:           8
        .value_kind:     global_buffer
      - .address_space:  global
        .offset:         136
        .size:           8
        .value_kind:     global_buffer
      - .offset:         144
        .size:           4
        .value_kind:     hidden_block_count_x
      - .offset:         148
        .size:           4
        .value_kind:     hidden_block_count_y
      - .offset:         152
        .size:           4
        .value_kind:     hidden_block_count_z
      - .offset:         156
        .size:           2
        .value_kind:     hidden_group_size_x
      - .offset:         158
        .size:           2
        .value_kind:     hidden_group_size_y
      - .offset:         160
        .size:           2
        .value_kind:     hidden_group_size_z
      - .offset:         162
        .size:           2
        .value_kind:     hidden_remainder_x
      - .offset:         164
        .size:           2
        .value_kind:     hidden_remainder_y
      - .offset:         166
        .size:           2
        .value_kind:     hidden_remainder_z
      - .offset:         184
        .size:           8
        .value_kind:     hidden_global_offset_x
      - .offset:         192
        .size:           8
        .value_kind:     hidden_global_offset_y
      - .offset:         200
        .size:           8
        .value_kind:     hidden_global_offset_z
      - .offset:         208
        .size:           2
        .value_kind:     hidden_grid_dims
    .group_segment_fixed_size: 8192
    .kernarg_segment_align: 8
    .kernarg_segment_size: 400
    .language:       OpenCL C
    .language_version:
      - 2
      - 0
    .max_flat_workgroup_size: 256
    .name:           _Z39paged_attention_ll4mi_QKV_mfma16_kernelIDF16_hLN4vllm18Fp8KVCacheDataTypeE1EDF16_Li32ELi128ELi256ELb1ELi4EL8MFMAType0EEvPKT_PKT0_S8_ifPKiSA_SA_iPKfiiiPfSD_PS3_PT2_iSC_SC_
    .private_segment_fixed_size: 352
    .sgpr_count:     60
    .sgpr_spill_count: 0
    .symbol:         _Z39paged_attention_ll4mi_QKV_mfma16_kernelIDF16_hLN4vllm18Fp8KVCacheDataTypeE1EDF16_Li32ELi128ELi256ELb1ELi4EL8MFMAType0EEvPKT_PKT0_S8_ifPKiSA_SA_iPKfiiiPfSD_PS3_PT2_iSC_SC_.kd
    .uniform_work_group_size: 1
    .uses_dynamic_stack: false
    .vgpr_count:     82
    .vgpr_spill_count: 0
    .wavefront_size: 64
  - .agpr_count:     0
    .args:
      - .actual_access:  read_only
        .address_space:  global
        .offset:         0
        .size:           8
        .value_kind:     global_buffer
      - .actual_access:  read_only
        .address_space:  global
        .offset:         8
        .size:           8
        .value_kind:     global_buffer
      - .actual_access:  read_only
        .address_space:  global
        .offset:         16
        .size:           8
        .value_kind:     global_buffer
      - .offset:         24
        .size:           4
        .value_kind:     by_value
      - .offset:         28
        .size:           4
        .value_kind:     by_value
      - .actual_access:  read_only
        .address_space:  global
        .offset:         32
        .size:           8
        .value_kind:     global_buffer
      - .actual_access:  read_only
        .address_space:  global
        .offset:         40
        .size:           8
        .value_kind:     global_buffer
      - .actual_access:  read_only
        .address_space:  global
        .offset:         48
        .size:           8
        .value_kind:     global_buffer
      - .offset:         56
        .size:           4
        .value_kind:     by_value
      - .actual_access:  read_only
        .address_space:  global
        .offset:         64
        .size:           8
        .value_kind:     global_buffer
      - .offset:         72
        .size:           4
        .value_kind:     by_value
      - .offset:         76
        .size:           4
        .value_kind:     by_value
      - .offset:         80
        .size:           4
        .value_kind:     by_value
      - .actual_access:  write_only
        .address_space:  global
        .offset:         88
        .size:           8
        .value_kind:     global_buffer
      - .actual_access:  write_only
        .address_space:  global
        .offset:         96
        .size:           8
        .value_kind:     global_buffer
      - .actual_access:  write_only
        .address_space:  global
        .offset:         104
        .size:           8
        .value_kind:     global_buffer
      - .actual_access:  read_only
        .address_space:  global
        .offset:         112
        .size:           8
        .value_kind:     global_buffer
      - .offset:         120
        .size:           4
        .value_kind:     by_value
      - .address_space:  global
        .offset:         128
        .size:           8
        .value_kind:     global_buffer
      - .address_space:  global
        .offset:         136
        .size:           8
        .value_kind:     global_buffer
      - .offset:         144
        .size:           4
        .value_kind:     hidden_block_count_x
      - .offset:         148
        .size:           4
        .value_kind:     hidden_block_count_y
      - .offset:         152
        .size:           4
        .value_kind:     hidden_block_count_z
      - .offset:         156
        .size:           2
        .value_kind:     hidden_group_size_x
      - .offset:         158
        .size:           2
        .value_kind:     hidden_group_size_y
      - .offset:         160
        .size:           2
        .value_kind:     hidden_group_size_z
      - .offset:         162
        .size:           2
        .value_kind:     hidden_remainder_x
      - .offset:         164
        .size:           2
        .value_kind:     hidden_remainder_y
      - .offset:         166
        .size:           2
        .value_kind:     hidden_remainder_z
      - .offset:         184
        .size:           8
        .value_kind:     hidden_global_offset_x
      - .offset:         192
        .size:           8
        .value_kind:     hidden_global_offset_y
      - .offset:         200
        .size:           8
        .value_kind:     hidden_global_offset_z
      - .offset:         208
        .size:           2
        .value_kind:     hidden_grid_dims
    .group_segment_fixed_size: 8192
    .kernarg_segment_align: 8
    .kernarg_segment_size: 400
    .language:       OpenCL C
    .language_version:
      - 2
      - 0
    .max_flat_workgroup_size: 256
    .name:           _Z39paged_attention_ll4mi_QKV_mfma16_kernelIDF16_hLN4vllm18Fp8KVCacheDataTypeE1EDF16_Li32ELi128ELi256ELb0ELi5EL8MFMAType0EEvPKT_PKT0_S8_ifPKiSA_SA_iPKfiiiPfSD_PS3_PT2_iSC_SC_
    .private_segment_fixed_size: 352
    .sgpr_count:     57
    .sgpr_spill_count: 0
    .symbol:         _Z39paged_attention_ll4mi_QKV_mfma16_kernelIDF16_hLN4vllm18Fp8KVCacheDataTypeE1EDF16_Li32ELi128ELi256ELb0ELi5EL8MFMAType0EEvPKT_PKT0_S8_ifPKiSA_SA_iPKfiiiPfSD_PS3_PT2_iSC_SC_.kd
    .uniform_work_group_size: 1
    .uses_dynamic_stack: false
    .vgpr_count:     78
    .vgpr_spill_count: 0
    .wavefront_size: 64
  - .agpr_count:     0
    .args:
      - .actual_access:  read_only
        .address_space:  global
        .offset:         0
        .size:           8
        .value_kind:     global_buffer
      - .actual_access:  read_only
        .address_space:  global
        .offset:         8
        .size:           8
        .value_kind:     global_buffer
      - .actual_access:  read_only
        .address_space:  global
        .offset:         16
        .size:           8
        .value_kind:     global_buffer
      - .offset:         24
        .size:           4
        .value_kind:     by_value
      - .offset:         28
        .size:           4
        .value_kind:     by_value
      - .actual_access:  read_only
        .address_space:  global
        .offset:         32
        .size:           8
        .value_kind:     global_buffer
      - .actual_access:  read_only
        .address_space:  global
        .offset:         40
        .size:           8
        .value_kind:     global_buffer
      - .actual_access:  read_only
        .address_space:  global
        .offset:         48
        .size:           8
        .value_kind:     global_buffer
      - .offset:         56
        .size:           4
        .value_kind:     by_value
      - .actual_access:  read_only
        .address_space:  global
        .offset:         64
        .size:           8
        .value_kind:     global_buffer
      - .offset:         72
        .size:           4
        .value_kind:     by_value
      - .offset:         76
        .size:           4
        .value_kind:     by_value
      - .offset:         80
        .size:           4
        .value_kind:     by_value
      - .actual_access:  write_only
        .address_space:  global
        .offset:         88
        .size:           8
        .value_kind:     global_buffer
      - .actual_access:  write_only
        .address_space:  global
        .offset:         96
        .size:           8
        .value_kind:     global_buffer
      - .actual_access:  write_only
        .address_space:  global
        .offset:         104
        .size:           8
        .value_kind:     global_buffer
      - .actual_access:  read_only
        .address_space:  global
        .offset:         112
        .size:           8
        .value_kind:     global_buffer
      - .offset:         120
        .size:           4
        .value_kind:     by_value
      - .address_space:  global
        .offset:         128
        .size:           8
        .value_kind:     global_buffer
      - .address_space:  global
        .offset:         136
        .size:           8
        .value_kind:     global_buffer
      - .offset:         144
        .size:           4
        .value_kind:     hidden_block_count_x
      - .offset:         148
        .size:           4
        .value_kind:     hidden_block_count_y
      - .offset:         152
        .size:           4
        .value_kind:     hidden_block_count_z
      - .offset:         156
        .size:           2
        .value_kind:     hidden_group_size_x
      - .offset:         158
        .size:           2
        .value_kind:     hidden_group_size_y
      - .offset:         160
        .size:           2
        .value_kind:     hidden_group_size_z
      - .offset:         162
        .size:           2
        .value_kind:     hidden_remainder_x
      - .offset:         164
        .size:           2
        .value_kind:     hidden_remainder_y
      - .offset:         166
        .size:           2
        .value_kind:     hidden_remainder_z
      - .offset:         184
        .size:           8
        .value_kind:     hidden_global_offset_x
      - .offset:         192
        .size:           8
        .value_kind:     hidden_global_offset_y
      - .offset:         200
        .size:           8
        .value_kind:     hidden_global_offset_z
      - .offset:         208
        .size:           2
        .value_kind:     hidden_grid_dims
    .group_segment_fixed_size: 8192
    .kernarg_segment_align: 8
    .kernarg_segment_size: 400
    .language:       OpenCL C
    .language_version:
      - 2
      - 0
    .max_flat_workgroup_size: 256
    .name:           _Z39paged_attention_ll4mi_QKV_mfma16_kernelIDF16_hLN4vllm18Fp8KVCacheDataTypeE1EDF16_Li32ELi128ELi256ELb0ELi6EL8MFMAType0EEvPKT_PKT0_S8_ifPKiSA_SA_iPKfiiiPfSD_PS3_PT2_iSC_SC_
    .private_segment_fixed_size: 352
    .sgpr_count:     57
    .sgpr_spill_count: 0
    .symbol:         _Z39paged_attention_ll4mi_QKV_mfma16_kernelIDF16_hLN4vllm18Fp8KVCacheDataTypeE1EDF16_Li32ELi128ELi256ELb0ELi6EL8MFMAType0EEvPKT_PKT0_S8_ifPKiSA_SA_iPKfiiiPfSD_PS3_PT2_iSC_SC_.kd
    .uniform_work_group_size: 1
    .uses_dynamic_stack: false
    .vgpr_count:     78
    .vgpr_spill_count: 0
    .wavefront_size: 64
  - .agpr_count:     0
    .args:
      - .actual_access:  read_only
        .address_space:  global
        .offset:         0
        .size:           8
        .value_kind:     global_buffer
      - .actual_access:  read_only
        .address_space:  global
        .offset:         8
        .size:           8
        .value_kind:     global_buffer
      - .actual_access:  read_only
        .address_space:  global
        .offset:         16
        .size:           8
        .value_kind:     global_buffer
      - .offset:         24
        .size:           4
        .value_kind:     by_value
      - .offset:         28
        .size:           4
        .value_kind:     by_value
      - .actual_access:  read_only
        .address_space:  global
        .offset:         32
        .size:           8
        .value_kind:     global_buffer
      - .actual_access:  read_only
        .address_space:  global
        .offset:         40
        .size:           8
        .value_kind:     global_buffer
      - .actual_access:  read_only
        .address_space:  global
        .offset:         48
        .size:           8
        .value_kind:     global_buffer
      - .offset:         56
        .size:           4
        .value_kind:     by_value
      - .actual_access:  read_only
        .address_space:  global
        .offset:         64
        .size:           8
        .value_kind:     global_buffer
      - .offset:         72
        .size:           4
        .value_kind:     by_value
      - .offset:         76
        .size:           4
        .value_kind:     by_value
      - .offset:         80
        .size:           4
        .value_kind:     by_value
      - .actual_access:  write_only
        .address_space:  global
        .offset:         88
        .size:           8
        .value_kind:     global_buffer
      - .actual_access:  write_only
        .address_space:  global
        .offset:         96
        .size:           8
        .value_kind:     global_buffer
      - .actual_access:  write_only
        .address_space:  global
        .offset:         104
        .size:           8
        .value_kind:     global_buffer
      - .actual_access:  read_only
        .address_space:  global
        .offset:         112
        .size:           8
        .value_kind:     global_buffer
      - .offset:         120
        .size:           4
        .value_kind:     by_value
      - .address_space:  global
        .offset:         128
        .size:           8
        .value_kind:     global_buffer
      - .address_space:  global
        .offset:         136
        .size:           8
        .value_kind:     global_buffer
      - .offset:         144
        .size:           4
        .value_kind:     hidden_block_count_x
      - .offset:         148
        .size:           4
        .value_kind:     hidden_block_count_y
      - .offset:         152
        .size:           4
        .value_kind:     hidden_block_count_z
      - .offset:         156
        .size:           2
        .value_kind:     hidden_group_size_x
      - .offset:         158
        .size:           2
        .value_kind:     hidden_group_size_y
      - .offset:         160
        .size:           2
        .value_kind:     hidden_group_size_z
      - .offset:         162
        .size:           2
        .value_kind:     hidden_remainder_x
      - .offset:         164
        .size:           2
        .value_kind:     hidden_remainder_y
      - .offset:         166
        .size:           2
        .value_kind:     hidden_remainder_z
      - .offset:         184
        .size:           8
        .value_kind:     hidden_global_offset_x
      - .offset:         192
        .size:           8
        .value_kind:     hidden_global_offset_y
      - .offset:         200
        .size:           8
        .value_kind:     hidden_global_offset_z
      - .offset:         208
        .size:           2
        .value_kind:     hidden_grid_dims
    .group_segment_fixed_size: 8192
    .kernarg_segment_align: 8
    .kernarg_segment_size: 400
    .language:       OpenCL C
    .language_version:
      - 2
      - 0
    .max_flat_workgroup_size: 256
    .name:           _Z39paged_attention_ll4mi_QKV_mfma16_kernelIDF16_hLN4vllm18Fp8KVCacheDataTypeE1EDF16_Li32ELi128ELi256ELb0ELi7EL8MFMAType0EEvPKT_PKT0_S8_ifPKiSA_SA_iPKfiiiPfSD_PS3_PT2_iSC_SC_
    .private_segment_fixed_size: 352
    .sgpr_count:     57
    .sgpr_spill_count: 0
    .symbol:         _Z39paged_attention_ll4mi_QKV_mfma16_kernelIDF16_hLN4vllm18Fp8KVCacheDataTypeE1EDF16_Li32ELi128ELi256ELb0ELi7EL8MFMAType0EEvPKT_PKT0_S8_ifPKiSA_SA_iPKfiiiPfSD_PS3_PT2_iSC_SC_.kd
    .uniform_work_group_size: 1
    .uses_dynamic_stack: false
    .vgpr_count:     78
    .vgpr_spill_count: 0
    .wavefront_size: 64
  - .agpr_count:     0
    .args:
      - .actual_access:  read_only
        .address_space:  global
        .offset:         0
        .size:           8
        .value_kind:     global_buffer
      - .actual_access:  read_only
        .address_space:  global
        .offset:         8
        .size:           8
        .value_kind:     global_buffer
      - .actual_access:  read_only
        .address_space:  global
        .offset:         16
        .size:           8
        .value_kind:     global_buffer
      - .offset:         24
        .size:           4
        .value_kind:     by_value
      - .offset:         28
        .size:           4
        .value_kind:     by_value
      - .actual_access:  read_only
        .address_space:  global
        .offset:         32
        .size:           8
        .value_kind:     global_buffer
      - .actual_access:  read_only
        .address_space:  global
        .offset:         40
        .size:           8
        .value_kind:     global_buffer
      - .actual_access:  read_only
        .address_space:  global
        .offset:         48
        .size:           8
        .value_kind:     global_buffer
      - .offset:         56
        .size:           4
        .value_kind:     by_value
      - .actual_access:  read_only
        .address_space:  global
        .offset:         64
        .size:           8
        .value_kind:     global_buffer
      - .offset:         72
        .size:           4
        .value_kind:     by_value
      - .offset:         76
        .size:           4
        .value_kind:     by_value
      - .offset:         80
        .size:           4
        .value_kind:     by_value
      - .actual_access:  write_only
        .address_space:  global
        .offset:         88
        .size:           8
        .value_kind:     global_buffer
      - .actual_access:  write_only
        .address_space:  global
        .offset:         96
        .size:           8
        .value_kind:     global_buffer
      - .actual_access:  write_only
        .address_space:  global
        .offset:         104
        .size:           8
        .value_kind:     global_buffer
      - .actual_access:  read_only
        .address_space:  global
        .offset:         112
        .size:           8
        .value_kind:     global_buffer
      - .offset:         120
        .size:           4
        .value_kind:     by_value
      - .address_space:  global
        .offset:         128
        .size:           8
        .value_kind:     global_buffer
      - .address_space:  global
        .offset:         136
        .size:           8
        .value_kind:     global_buffer
      - .offset:         144
        .size:           4
        .value_kind:     hidden_block_count_x
      - .offset:         148
        .size:           4
        .value_kind:     hidden_block_count_y
      - .offset:         152
        .size:           4
        .value_kind:     hidden_block_count_z
      - .offset:         156
        .size:           2
        .value_kind:     hidden_group_size_x
      - .offset:         158
        .size:           2
        .value_kind:     hidden_group_size_y
      - .offset:         160
        .size:           2
        .value_kind:     hidden_group_size_z
      - .offset:         162
        .size:           2
        .value_kind:     hidden_remainder_x
      - .offset:         164
        .size:           2
        .value_kind:     hidden_remainder_y
      - .offset:         166
        .size:           2
        .value_kind:     hidden_remainder_z
      - .offset:         184
        .size:           8
        .value_kind:     hidden_global_offset_x
      - .offset:         192
        .size:           8
        .value_kind:     hidden_global_offset_y
      - .offset:         200
        .size:           8
        .value_kind:     hidden_global_offset_z
      - .offset:         208
        .size:           2
        .value_kind:     hidden_grid_dims
    .group_segment_fixed_size: 8192
    .kernarg_segment_align: 8
    .kernarg_segment_size: 400
    .language:       OpenCL C
    .language_version:
      - 2
      - 0
    .max_flat_workgroup_size: 256
    .name:           _Z39paged_attention_ll4mi_QKV_mfma16_kernelIDF16_hLN4vllm18Fp8KVCacheDataTypeE1EDF16_Li32ELi128ELi256ELb0ELi8EL8MFMAType0EEvPKT_PKT0_S8_ifPKiSA_SA_iPKfiiiPfSD_PS3_PT2_iSC_SC_
    .private_segment_fixed_size: 352
    .sgpr_count:     57
    .sgpr_spill_count: 0
    .symbol:         _Z39paged_attention_ll4mi_QKV_mfma16_kernelIDF16_hLN4vllm18Fp8KVCacheDataTypeE1EDF16_Li32ELi128ELi256ELb0ELi8EL8MFMAType0EEvPKT_PKT0_S8_ifPKiSA_SA_iPKfiiiPfSD_PS3_PT2_iSC_SC_.kd
    .uniform_work_group_size: 1
    .uses_dynamic_stack: false
    .vgpr_count:     80
    .vgpr_spill_count: 0
    .wavefront_size: 64
  - .agpr_count:     0
    .args:
      - .actual_access:  read_only
        .address_space:  global
        .offset:         0
        .size:           8
        .value_kind:     global_buffer
      - .actual_access:  read_only
        .address_space:  global
        .offset:         8
        .size:           8
        .value_kind:     global_buffer
      - .actual_access:  read_only
        .address_space:  global
        .offset:         16
        .size:           8
        .value_kind:     global_buffer
      - .offset:         24
        .size:           4
        .value_kind:     by_value
      - .offset:         28
        .size:           4
        .value_kind:     by_value
      - .actual_access:  read_only
        .address_space:  global
        .offset:         32
        .size:           8
        .value_kind:     global_buffer
      - .actual_access:  read_only
        .address_space:  global
        .offset:         40
        .size:           8
        .value_kind:     global_buffer
      - .actual_access:  read_only
        .address_space:  global
        .offset:         48
        .size:           8
        .value_kind:     global_buffer
      - .offset:         56
        .size:           4
        .value_kind:     by_value
      - .actual_access:  read_only
        .address_space:  global
        .offset:         64
        .size:           8
        .value_kind:     global_buffer
      - .offset:         72
        .size:           4
        .value_kind:     by_value
      - .offset:         76
        .size:           4
        .value_kind:     by_value
      - .offset:         80
        .size:           4
        .value_kind:     by_value
      - .actual_access:  write_only
        .address_space:  global
        .offset:         88
        .size:           8
        .value_kind:     global_buffer
      - .actual_access:  write_only
        .address_space:  global
        .offset:         96
        .size:           8
        .value_kind:     global_buffer
      - .actual_access:  write_only
        .address_space:  global
        .offset:         104
        .size:           8
        .value_kind:     global_buffer
      - .actual_access:  read_only
        .address_space:  global
        .offset:         112
        .size:           8
        .value_kind:     global_buffer
      - .offset:         120
        .size:           4
        .value_kind:     by_value
      - .address_space:  global
        .offset:         128
        .size:           8
        .value_kind:     global_buffer
      - .address_space:  global
        .offset:         136
        .size:           8
        .value_kind:     global_buffer
      - .offset:         144
        .size:           4
        .value_kind:     hidden_block_count_x
      - .offset:         148
        .size:           4
        .value_kind:     hidden_block_count_y
      - .offset:         152
        .size:           4
        .value_kind:     hidden_block_count_z
      - .offset:         156
        .size:           2
        .value_kind:     hidden_group_size_x
      - .offset:         158
        .size:           2
        .value_kind:     hidden_group_size_y
      - .offset:         160
        .size:           2
        .value_kind:     hidden_group_size_z
      - .offset:         162
        .size:           2
        .value_kind:     hidden_remainder_x
      - .offset:         164
        .size:           2
        .value_kind:     hidden_remainder_y
      - .offset:         166
        .size:           2
        .value_kind:     hidden_remainder_z
      - .offset:         184
        .size:           8
        .value_kind:     hidden_global_offset_x
      - .offset:         192
        .size:           8
        .value_kind:     hidden_global_offset_y
      - .offset:         200
        .size:           8
        .value_kind:     hidden_global_offset_z
      - .offset:         208
        .size:           2
        .value_kind:     hidden_grid_dims
    .group_segment_fixed_size: 8192
    .kernarg_segment_align: 8
    .kernarg_segment_size: 400
    .language:       OpenCL C
    .language_version:
      - 2
      - 0
    .max_flat_workgroup_size: 256
    .name:           _Z39paged_attention_ll4mi_QKV_mfma16_kernelIDF16_hLN4vllm18Fp8KVCacheDataTypeE1EDF16_Li32ELi128ELi256ELb0ELi9EL8MFMAType0EEvPKT_PKT0_S8_ifPKiSA_SA_iPKfiiiPfSD_PS3_PT2_iSC_SC_
    .private_segment_fixed_size: 352
    .sgpr_count:     57
    .sgpr_spill_count: 0
    .symbol:         _Z39paged_attention_ll4mi_QKV_mfma16_kernelIDF16_hLN4vllm18Fp8KVCacheDataTypeE1EDF16_Li32ELi128ELi256ELb0ELi9EL8MFMAType0EEvPKT_PKT0_S8_ifPKiSA_SA_iPKfiiiPfSD_PS3_PT2_iSC_SC_.kd
    .uniform_work_group_size: 1
    .uses_dynamic_stack: false
    .vgpr_count:     78
    .vgpr_spill_count: 0
    .wavefront_size: 64
  - .agpr_count:     0
    .args:
      - .actual_access:  read_only
        .address_space:  global
        .offset:         0
        .size:           8
        .value_kind:     global_buffer
      - .actual_access:  read_only
        .address_space:  global
        .offset:         8
        .size:           8
        .value_kind:     global_buffer
      - .actual_access:  read_only
        .address_space:  global
        .offset:         16
        .size:           8
        .value_kind:     global_buffer
      - .offset:         24
        .size:           4
        .value_kind:     by_value
      - .offset:         28
        .size:           4
        .value_kind:     by_value
      - .actual_access:  read_only
        .address_space:  global
        .offset:         32
        .size:           8
        .value_kind:     global_buffer
      - .actual_access:  read_only
        .address_space:  global
        .offset:         40
        .size:           8
        .value_kind:     global_buffer
      - .actual_access:  read_only
        .address_space:  global
        .offset:         48
        .size:           8
        .value_kind:     global_buffer
      - .offset:         56
        .size:           4
        .value_kind:     by_value
      - .actual_access:  read_only
        .address_space:  global
        .offset:         64
        .size:           8
        .value_kind:     global_buffer
      - .offset:         72
        .size:           4
        .value_kind:     by_value
      - .offset:         76
        .size:           4
        .value_kind:     by_value
      - .offset:         80
        .size:           4
        .value_kind:     by_value
      - .actual_access:  write_only
        .address_space:  global
        .offset:         88
        .size:           8
        .value_kind:     global_buffer
      - .actual_access:  write_only
        .address_space:  global
        .offset:         96
        .size:           8
        .value_kind:     global_buffer
      - .actual_access:  write_only
        .address_space:  global
        .offset:         104
        .size:           8
        .value_kind:     global_buffer
      - .actual_access:  read_only
        .address_space:  global
        .offset:         112
        .size:           8
        .value_kind:     global_buffer
      - .offset:         120
        .size:           4
        .value_kind:     by_value
      - .address_space:  global
        .offset:         128
        .size:           8
        .value_kind:     global_buffer
      - .address_space:  global
        .offset:         136
        .size:           8
        .value_kind:     global_buffer
      - .offset:         144
        .size:           4
        .value_kind:     hidden_block_count_x
      - .offset:         148
        .size:           4
        .value_kind:     hidden_block_count_y
      - .offset:         152
        .size:           4
        .value_kind:     hidden_block_count_z
      - .offset:         156
        .size:           2
        .value_kind:     hidden_group_size_x
      - .offset:         158
        .size:           2
        .value_kind:     hidden_group_size_y
      - .offset:         160
        .size:           2
        .value_kind:     hidden_group_size_z
      - .offset:         162
        .size:           2
        .value_kind:     hidden_remainder_x
      - .offset:         164
        .size:           2
        .value_kind:     hidden_remainder_y
      - .offset:         166
        .size:           2
        .value_kind:     hidden_remainder_z
      - .offset:         184
        .size:           8
        .value_kind:     hidden_global_offset_x
      - .offset:         192
        .size:           8
        .value_kind:     hidden_global_offset_y
      - .offset:         200
        .size:           8
        .value_kind:     hidden_global_offset_z
      - .offset:         208
        .size:           2
        .value_kind:     hidden_grid_dims
    .group_segment_fixed_size: 8192
    .kernarg_segment_align: 8
    .kernarg_segment_size: 400
    .language:       OpenCL C
    .language_version:
      - 2
      - 0
    .max_flat_workgroup_size: 256
    .name:           _Z39paged_attention_ll4mi_QKV_mfma16_kernelIDF16_hLN4vllm18Fp8KVCacheDataTypeE1EDF16_Li32ELi128ELi256ELb0ELi10EL8MFMAType0EEvPKT_PKT0_S8_ifPKiSA_SA_iPKfiiiPfSD_PS3_PT2_iSC_SC_
    .private_segment_fixed_size: 352
    .sgpr_count:     57
    .sgpr_spill_count: 0
    .symbol:         _Z39paged_attention_ll4mi_QKV_mfma16_kernelIDF16_hLN4vllm18Fp8KVCacheDataTypeE1EDF16_Li32ELi128ELi256ELb0ELi10EL8MFMAType0EEvPKT_PKT0_S8_ifPKiSA_SA_iPKfiiiPfSD_PS3_PT2_iSC_SC_.kd
    .uniform_work_group_size: 1
    .uses_dynamic_stack: false
    .vgpr_count:     78
    .vgpr_spill_count: 0
    .wavefront_size: 64
  - .agpr_count:     0
    .args:
      - .actual_access:  read_only
        .address_space:  global
        .offset:         0
        .size:           8
        .value_kind:     global_buffer
      - .actual_access:  read_only
        .address_space:  global
        .offset:         8
        .size:           8
        .value_kind:     global_buffer
      - .actual_access:  read_only
        .address_space:  global
        .offset:         16
        .size:           8
        .value_kind:     global_buffer
      - .offset:         24
        .size:           4
        .value_kind:     by_value
      - .offset:         28
        .size:           4
        .value_kind:     by_value
      - .actual_access:  read_only
        .address_space:  global
        .offset:         32
        .size:           8
        .value_kind:     global_buffer
      - .actual_access:  read_only
        .address_space:  global
        .offset:         40
        .size:           8
        .value_kind:     global_buffer
      - .actual_access:  read_only
        .address_space:  global
        .offset:         48
        .size:           8
        .value_kind:     global_buffer
      - .offset:         56
        .size:           4
        .value_kind:     by_value
      - .actual_access:  read_only
        .address_space:  global
        .offset:         64
        .size:           8
        .value_kind:     global_buffer
      - .offset:         72
        .size:           4
        .value_kind:     by_value
      - .offset:         76
        .size:           4
        .value_kind:     by_value
      - .offset:         80
        .size:           4
        .value_kind:     by_value
      - .actual_access:  write_only
        .address_space:  global
        .offset:         88
        .size:           8
        .value_kind:     global_buffer
      - .actual_access:  write_only
        .address_space:  global
        .offset:         96
        .size:           8
        .value_kind:     global_buffer
      - .actual_access:  write_only
        .address_space:  global
        .offset:         104
        .size:           8
        .value_kind:     global_buffer
      - .actual_access:  read_only
        .address_space:  global
        .offset:         112
        .size:           8
        .value_kind:     global_buffer
      - .offset:         120
        .size:           4
        .value_kind:     by_value
      - .address_space:  global
        .offset:         128
        .size:           8
        .value_kind:     global_buffer
      - .address_space:  global
        .offset:         136
        .size:           8
        .value_kind:     global_buffer
      - .offset:         144
        .size:           4
        .value_kind:     hidden_block_count_x
      - .offset:         148
        .size:           4
        .value_kind:     hidden_block_count_y
      - .offset:         152
        .size:           4
        .value_kind:     hidden_block_count_z
      - .offset:         156
        .size:           2
        .value_kind:     hidden_group_size_x
      - .offset:         158
        .size:           2
        .value_kind:     hidden_group_size_y
      - .offset:         160
        .size:           2
        .value_kind:     hidden_group_size_z
      - .offset:         162
        .size:           2
        .value_kind:     hidden_remainder_x
      - .offset:         164
        .size:           2
        .value_kind:     hidden_remainder_y
      - .offset:         166
        .size:           2
        .value_kind:     hidden_remainder_z
      - .offset:         184
        .size:           8
        .value_kind:     hidden_global_offset_x
      - .offset:         192
        .size:           8
        .value_kind:     hidden_global_offset_y
      - .offset:         200
        .size:           8
        .value_kind:     hidden_global_offset_z
      - .offset:         208
        .size:           2
        .value_kind:     hidden_grid_dims
    .group_segment_fixed_size: 8192
    .kernarg_segment_align: 8
    .kernarg_segment_size: 400
    .language:       OpenCL C
    .language_version:
      - 2
      - 0
    .max_flat_workgroup_size: 256
    .name:           _Z39paged_attention_ll4mi_QKV_mfma16_kernelIDF16_hLN4vllm18Fp8KVCacheDataTypeE1EDF16_Li32ELi128ELi256ELb0ELi11EL8MFMAType0EEvPKT_PKT0_S8_ifPKiSA_SA_iPKfiiiPfSD_PS3_PT2_iSC_SC_
    .private_segment_fixed_size: 352
    .sgpr_count:     57
    .sgpr_spill_count: 0
    .symbol:         _Z39paged_attention_ll4mi_QKV_mfma16_kernelIDF16_hLN4vllm18Fp8KVCacheDataTypeE1EDF16_Li32ELi128ELi256ELb0ELi11EL8MFMAType0EEvPKT_PKT0_S8_ifPKiSA_SA_iPKfiiiPfSD_PS3_PT2_iSC_SC_.kd
    .uniform_work_group_size: 1
    .uses_dynamic_stack: false
    .vgpr_count:     78
    .vgpr_spill_count: 0
    .wavefront_size: 64
  - .agpr_count:     0
    .args:
      - .actual_access:  read_only
        .address_space:  global
        .offset:         0
        .size:           8
        .value_kind:     global_buffer
      - .actual_access:  read_only
        .address_space:  global
        .offset:         8
        .size:           8
        .value_kind:     global_buffer
      - .actual_access:  read_only
        .address_space:  global
        .offset:         16
        .size:           8
        .value_kind:     global_buffer
      - .offset:         24
        .size:           4
        .value_kind:     by_value
      - .offset:         28
        .size:           4
        .value_kind:     by_value
      - .actual_access:  read_only
        .address_space:  global
        .offset:         32
        .size:           8
        .value_kind:     global_buffer
      - .actual_access:  read_only
        .address_space:  global
        .offset:         40
        .size:           8
        .value_kind:     global_buffer
      - .actual_access:  read_only
        .address_space:  global
        .offset:         48
        .size:           8
        .value_kind:     global_buffer
      - .offset:         56
        .size:           4
        .value_kind:     by_value
      - .actual_access:  read_only
        .address_space:  global
        .offset:         64
        .size:           8
        .value_kind:     global_buffer
      - .offset:         72
        .size:           4
        .value_kind:     by_value
      - .offset:         76
        .size:           4
        .value_kind:     by_value
      - .offset:         80
        .size:           4
        .value_kind:     by_value
      - .actual_access:  write_only
        .address_space:  global
        .offset:         88
        .size:           8
        .value_kind:     global_buffer
      - .actual_access:  write_only
        .address_space:  global
        .offset:         96
        .size:           8
        .value_kind:     global_buffer
      - .actual_access:  write_only
        .address_space:  global
        .offset:         104
        .size:           8
        .value_kind:     global_buffer
      - .actual_access:  read_only
        .address_space:  global
        .offset:         112
        .size:           8
        .value_kind:     global_buffer
      - .offset:         120
        .size:           4
        .value_kind:     by_value
      - .address_space:  global
        .offset:         128
        .size:           8
        .value_kind:     global_buffer
      - .address_space:  global
        .offset:         136
        .size:           8
        .value_kind:     global_buffer
      - .offset:         144
        .size:           4
        .value_kind:     hidden_block_count_x
      - .offset:         148
        .size:           4
        .value_kind:     hidden_block_count_y
      - .offset:         152
        .size:           4
        .value_kind:     hidden_block_count_z
      - .offset:         156
        .size:           2
        .value_kind:     hidden_group_size_x
      - .offset:         158
        .size:           2
        .value_kind:     hidden_group_size_y
      - .offset:         160
        .size:           2
        .value_kind:     hidden_group_size_z
      - .offset:         162
        .size:           2
        .value_kind:     hidden_remainder_x
      - .offset:         164
        .size:           2
        .value_kind:     hidden_remainder_y
      - .offset:         166
        .size:           2
        .value_kind:     hidden_remainder_z
      - .offset:         184
        .size:           8
        .value_kind:     hidden_global_offset_x
      - .offset:         192
        .size:           8
        .value_kind:     hidden_global_offset_y
      - .offset:         200
        .size:           8
        .value_kind:     hidden_global_offset_z
      - .offset:         208
        .size:           2
        .value_kind:     hidden_grid_dims
    .group_segment_fixed_size: 8192
    .kernarg_segment_align: 8
    .kernarg_segment_size: 400
    .language:       OpenCL C
    .language_version:
      - 2
      - 0
    .max_flat_workgroup_size: 256
    .name:           _Z39paged_attention_ll4mi_QKV_mfma16_kernelIDF16_hLN4vllm18Fp8KVCacheDataTypeE1EDF16_Li32ELi128ELi256ELb0ELi12EL8MFMAType0EEvPKT_PKT0_S8_ifPKiSA_SA_iPKfiiiPfSD_PS3_PT2_iSC_SC_
    .private_segment_fixed_size: 352
    .sgpr_count:     57
    .sgpr_spill_count: 0
    .symbol:         _Z39paged_attention_ll4mi_QKV_mfma16_kernelIDF16_hLN4vllm18Fp8KVCacheDataTypeE1EDF16_Li32ELi128ELi256ELb0ELi12EL8MFMAType0EEvPKT_PKT0_S8_ifPKiSA_SA_iPKfiiiPfSD_PS3_PT2_iSC_SC_.kd
    .uniform_work_group_size: 1
    .uses_dynamic_stack: false
    .vgpr_count:     78
    .vgpr_spill_count: 0
    .wavefront_size: 64
  - .agpr_count:     0
    .args:
      - .actual_access:  read_only
        .address_space:  global
        .offset:         0
        .size:           8
        .value_kind:     global_buffer
      - .actual_access:  read_only
        .address_space:  global
        .offset:         8
        .size:           8
        .value_kind:     global_buffer
      - .actual_access:  read_only
        .address_space:  global
        .offset:         16
        .size:           8
        .value_kind:     global_buffer
      - .offset:         24
        .size:           4
        .value_kind:     by_value
      - .offset:         28
        .size:           4
        .value_kind:     by_value
      - .actual_access:  read_only
        .address_space:  global
        .offset:         32
        .size:           8
        .value_kind:     global_buffer
      - .actual_access:  read_only
        .address_space:  global
        .offset:         40
        .size:           8
        .value_kind:     global_buffer
      - .actual_access:  read_only
        .address_space:  global
        .offset:         48
        .size:           8
        .value_kind:     global_buffer
      - .offset:         56
        .size:           4
        .value_kind:     by_value
      - .actual_access:  read_only
        .address_space:  global
        .offset:         64
        .size:           8
        .value_kind:     global_buffer
      - .offset:         72
        .size:           4
        .value_kind:     by_value
      - .offset:         76
        .size:           4
        .value_kind:     by_value
      - .offset:         80
        .size:           4
        .value_kind:     by_value
      - .actual_access:  write_only
        .address_space:  global
        .offset:         88
        .size:           8
        .value_kind:     global_buffer
      - .actual_access:  write_only
        .address_space:  global
        .offset:         96
        .size:           8
        .value_kind:     global_buffer
      - .actual_access:  write_only
        .address_space:  global
        .offset:         104
        .size:           8
        .value_kind:     global_buffer
      - .actual_access:  read_only
        .address_space:  global
        .offset:         112
        .size:           8
        .value_kind:     global_buffer
      - .offset:         120
        .size:           4
        .value_kind:     by_value
      - .address_space:  global
        .offset:         128
        .size:           8
        .value_kind:     global_buffer
      - .address_space:  global
        .offset:         136
        .size:           8
        .value_kind:     global_buffer
      - .offset:         144
        .size:           4
        .value_kind:     hidden_block_count_x
      - .offset:         148
        .size:           4
        .value_kind:     hidden_block_count_y
      - .offset:         152
        .size:           4
        .value_kind:     hidden_block_count_z
      - .offset:         156
        .size:           2
        .value_kind:     hidden_group_size_x
      - .offset:         158
        .size:           2
        .value_kind:     hidden_group_size_y
      - .offset:         160
        .size:           2
        .value_kind:     hidden_group_size_z
      - .offset:         162
        .size:           2
        .value_kind:     hidden_remainder_x
      - .offset:         164
        .size:           2
        .value_kind:     hidden_remainder_y
      - .offset:         166
        .size:           2
        .value_kind:     hidden_remainder_z
      - .offset:         184
        .size:           8
        .value_kind:     hidden_global_offset_x
      - .offset:         192
        .size:           8
        .value_kind:     hidden_global_offset_y
      - .offset:         200
        .size:           8
        .value_kind:     hidden_global_offset_z
      - .offset:         208
        .size:           2
        .value_kind:     hidden_grid_dims
    .group_segment_fixed_size: 8192
    .kernarg_segment_align: 8
    .kernarg_segment_size: 400
    .language:       OpenCL C
    .language_version:
      - 2
      - 0
    .max_flat_workgroup_size: 256
    .name:           _Z39paged_attention_ll4mi_QKV_mfma16_kernelIDF16_hLN4vllm18Fp8KVCacheDataTypeE1EDF16_Li32ELi128ELi256ELb0ELi13EL8MFMAType0EEvPKT_PKT0_S8_ifPKiSA_SA_iPKfiiiPfSD_PS3_PT2_iSC_SC_
    .private_segment_fixed_size: 352
    .sgpr_count:     57
    .sgpr_spill_count: 0
    .symbol:         _Z39paged_attention_ll4mi_QKV_mfma16_kernelIDF16_hLN4vllm18Fp8KVCacheDataTypeE1EDF16_Li32ELi128ELi256ELb0ELi13EL8MFMAType0EEvPKT_PKT0_S8_ifPKiSA_SA_iPKfiiiPfSD_PS3_PT2_iSC_SC_.kd
    .uniform_work_group_size: 1
    .uses_dynamic_stack: false
    .vgpr_count:     78
    .vgpr_spill_count: 0
    .wavefront_size: 64
  - .agpr_count:     0
    .args:
      - .actual_access:  read_only
        .address_space:  global
        .offset:         0
        .size:           8
        .value_kind:     global_buffer
      - .actual_access:  read_only
        .address_space:  global
        .offset:         8
        .size:           8
        .value_kind:     global_buffer
      - .actual_access:  read_only
        .address_space:  global
        .offset:         16
        .size:           8
        .value_kind:     global_buffer
      - .offset:         24
        .size:           4
        .value_kind:     by_value
      - .offset:         28
        .size:           4
        .value_kind:     by_value
      - .actual_access:  read_only
        .address_space:  global
        .offset:         32
        .size:           8
        .value_kind:     global_buffer
      - .actual_access:  read_only
        .address_space:  global
        .offset:         40
        .size:           8
        .value_kind:     global_buffer
      - .actual_access:  read_only
        .address_space:  global
        .offset:         48
        .size:           8
        .value_kind:     global_buffer
      - .offset:         56
        .size:           4
        .value_kind:     by_value
      - .actual_access:  read_only
        .address_space:  global
        .offset:         64
        .size:           8
        .value_kind:     global_buffer
      - .offset:         72
        .size:           4
        .value_kind:     by_value
      - .offset:         76
        .size:           4
        .value_kind:     by_value
      - .offset:         80
        .size:           4
        .value_kind:     by_value
      - .actual_access:  write_only
        .address_space:  global
        .offset:         88
        .size:           8
        .value_kind:     global_buffer
      - .actual_access:  write_only
        .address_space:  global
        .offset:         96
        .size:           8
        .value_kind:     global_buffer
      - .actual_access:  write_only
        .address_space:  global
        .offset:         104
        .size:           8
        .value_kind:     global_buffer
      - .actual_access:  read_only
        .address_space:  global
        .offset:         112
        .size:           8
        .value_kind:     global_buffer
      - .offset:         120
        .size:           4
        .value_kind:     by_value
      - .address_space:  global
        .offset:         128
        .size:           8
        .value_kind:     global_buffer
      - .address_space:  global
        .offset:         136
        .size:           8
        .value_kind:     global_buffer
      - .offset:         144
        .size:           4
        .value_kind:     hidden_block_count_x
      - .offset:         148
        .size:           4
        .value_kind:     hidden_block_count_y
      - .offset:         152
        .size:           4
        .value_kind:     hidden_block_count_z
      - .offset:         156
        .size:           2
        .value_kind:     hidden_group_size_x
      - .offset:         158
        .size:           2
        .value_kind:     hidden_group_size_y
      - .offset:         160
        .size:           2
        .value_kind:     hidden_group_size_z
      - .offset:         162
        .size:           2
        .value_kind:     hidden_remainder_x
      - .offset:         164
        .size:           2
        .value_kind:     hidden_remainder_y
      - .offset:         166
        .size:           2
        .value_kind:     hidden_remainder_z
      - .offset:         184
        .size:           8
        .value_kind:     hidden_global_offset_x
      - .offset:         192
        .size:           8
        .value_kind:     hidden_global_offset_y
      - .offset:         200
        .size:           8
        .value_kind:     hidden_global_offset_z
      - .offset:         208
        .size:           2
        .value_kind:     hidden_grid_dims
    .group_segment_fixed_size: 8192
    .kernarg_segment_align: 8
    .kernarg_segment_size: 400
    .language:       OpenCL C
    .language_version:
      - 2
      - 0
    .max_flat_workgroup_size: 256
    .name:           _Z39paged_attention_ll4mi_QKV_mfma16_kernelIDF16_hLN4vllm18Fp8KVCacheDataTypeE1EDF16_Li32ELi128ELi256ELb0ELi14EL8MFMAType0EEvPKT_PKT0_S8_ifPKiSA_SA_iPKfiiiPfSD_PS3_PT2_iSC_SC_
    .private_segment_fixed_size: 352
    .sgpr_count:     57
    .sgpr_spill_count: 0
    .symbol:         _Z39paged_attention_ll4mi_QKV_mfma16_kernelIDF16_hLN4vllm18Fp8KVCacheDataTypeE1EDF16_Li32ELi128ELi256ELb0ELi14EL8MFMAType0EEvPKT_PKT0_S8_ifPKiSA_SA_iPKfiiiPfSD_PS3_PT2_iSC_SC_.kd
    .uniform_work_group_size: 1
    .uses_dynamic_stack: false
    .vgpr_count:     78
    .vgpr_spill_count: 0
    .wavefront_size: 64
  - .agpr_count:     0
    .args:
      - .actual_access:  read_only
        .address_space:  global
        .offset:         0
        .size:           8
        .value_kind:     global_buffer
      - .actual_access:  read_only
        .address_space:  global
        .offset:         8
        .size:           8
        .value_kind:     global_buffer
      - .actual_access:  read_only
        .address_space:  global
        .offset:         16
        .size:           8
        .value_kind:     global_buffer
      - .offset:         24
        .size:           4
        .value_kind:     by_value
      - .offset:         28
        .size:           4
        .value_kind:     by_value
      - .actual_access:  read_only
        .address_space:  global
        .offset:         32
        .size:           8
        .value_kind:     global_buffer
      - .actual_access:  read_only
        .address_space:  global
        .offset:         40
        .size:           8
        .value_kind:     global_buffer
      - .actual_access:  read_only
        .address_space:  global
        .offset:         48
        .size:           8
        .value_kind:     global_buffer
      - .offset:         56
        .size:           4
        .value_kind:     by_value
      - .actual_access:  read_only
        .address_space:  global
        .offset:         64
        .size:           8
        .value_kind:     global_buffer
      - .offset:         72
        .size:           4
        .value_kind:     by_value
      - .offset:         76
        .size:           4
        .value_kind:     by_value
      - .offset:         80
        .size:           4
        .value_kind:     by_value
      - .actual_access:  write_only
        .address_space:  global
        .offset:         88
        .size:           8
        .value_kind:     global_buffer
      - .actual_access:  write_only
        .address_space:  global
        .offset:         96
        .size:           8
        .value_kind:     global_buffer
      - .actual_access:  write_only
        .address_space:  global
        .offset:         104
        .size:           8
        .value_kind:     global_buffer
      - .actual_access:  read_only
        .address_space:  global
        .offset:         112
        .size:           8
        .value_kind:     global_buffer
      - .offset:         120
        .size:           4
        .value_kind:     by_value
      - .address_space:  global
        .offset:         128
        .size:           8
        .value_kind:     global_buffer
      - .address_space:  global
        .offset:         136
        .size:           8
        .value_kind:     global_buffer
      - .offset:         144
        .size:           4
        .value_kind:     hidden_block_count_x
      - .offset:         148
        .size:           4
        .value_kind:     hidden_block_count_y
      - .offset:         152
        .size:           4
        .value_kind:     hidden_block_count_z
      - .offset:         156
        .size:           2
        .value_kind:     hidden_group_size_x
      - .offset:         158
        .size:           2
        .value_kind:     hidden_group_size_y
      - .offset:         160
        .size:           2
        .value_kind:     hidden_group_size_z
      - .offset:         162
        .size:           2
        .value_kind:     hidden_remainder_x
      - .offset:         164
        .size:           2
        .value_kind:     hidden_remainder_y
      - .offset:         166
        .size:           2
        .value_kind:     hidden_remainder_z
      - .offset:         184
        .size:           8
        .value_kind:     hidden_global_offset_x
      - .offset:         192
        .size:           8
        .value_kind:     hidden_global_offset_y
      - .offset:         200
        .size:           8
        .value_kind:     hidden_global_offset_z
      - .offset:         208
        .size:           2
        .value_kind:     hidden_grid_dims
    .group_segment_fixed_size: 8192
    .kernarg_segment_align: 8
    .kernarg_segment_size: 400
    .language:       OpenCL C
    .language_version:
      - 2
      - 0
    .max_flat_workgroup_size: 256
    .name:           _Z39paged_attention_ll4mi_QKV_mfma16_kernelIDF16_hLN4vllm18Fp8KVCacheDataTypeE1EDF16_Li32ELi128ELi256ELb0ELi15EL8MFMAType0EEvPKT_PKT0_S8_ifPKiSA_SA_iPKfiiiPfSD_PS3_PT2_iSC_SC_
    .private_segment_fixed_size: 352
    .sgpr_count:     57
    .sgpr_spill_count: 0
    .symbol:         _Z39paged_attention_ll4mi_QKV_mfma16_kernelIDF16_hLN4vllm18Fp8KVCacheDataTypeE1EDF16_Li32ELi128ELi256ELb0ELi15EL8MFMAType0EEvPKT_PKT0_S8_ifPKiSA_SA_iPKfiiiPfSD_PS3_PT2_iSC_SC_.kd
    .uniform_work_group_size: 1
    .uses_dynamic_stack: false
    .vgpr_count:     78
    .vgpr_spill_count: 0
    .wavefront_size: 64
  - .agpr_count:     0
    .args:
      - .actual_access:  read_only
        .address_space:  global
        .offset:         0
        .size:           8
        .value_kind:     global_buffer
      - .actual_access:  read_only
        .address_space:  global
        .offset:         8
        .size:           8
        .value_kind:     global_buffer
      - .actual_access:  read_only
        .address_space:  global
        .offset:         16
        .size:           8
        .value_kind:     global_buffer
      - .offset:         24
        .size:           4
        .value_kind:     by_value
      - .offset:         28
        .size:           4
        .value_kind:     by_value
      - .actual_access:  read_only
        .address_space:  global
        .offset:         32
        .size:           8
        .value_kind:     global_buffer
      - .actual_access:  read_only
        .address_space:  global
        .offset:         40
        .size:           8
        .value_kind:     global_buffer
      - .actual_access:  read_only
        .address_space:  global
        .offset:         48
        .size:           8
        .value_kind:     global_buffer
      - .offset:         56
        .size:           4
        .value_kind:     by_value
      - .actual_access:  read_only
        .address_space:  global
        .offset:         64
        .size:           8
        .value_kind:     global_buffer
      - .offset:         72
        .size:           4
        .value_kind:     by_value
      - .offset:         76
        .size:           4
        .value_kind:     by_value
      - .offset:         80
        .size:           4
        .value_kind:     by_value
      - .actual_access:  write_only
        .address_space:  global
        .offset:         88
        .size:           8
        .value_kind:     global_buffer
      - .actual_access:  write_only
        .address_space:  global
        .offset:         96
        .size:           8
        .value_kind:     global_buffer
      - .actual_access:  write_only
        .address_space:  global
        .offset:         104
        .size:           8
        .value_kind:     global_buffer
      - .actual_access:  read_only
        .address_space:  global
        .offset:         112
        .size:           8
        .value_kind:     global_buffer
      - .offset:         120
        .size:           4
        .value_kind:     by_value
      - .address_space:  global
        .offset:         128
        .size:           8
        .value_kind:     global_buffer
      - .address_space:  global
        .offset:         136
        .size:           8
        .value_kind:     global_buffer
      - .offset:         144
        .size:           4
        .value_kind:     hidden_block_count_x
      - .offset:         148
        .size:           4
        .value_kind:     hidden_block_count_y
      - .offset:         152
        .size:           4
        .value_kind:     hidden_block_count_z
      - .offset:         156
        .size:           2
        .value_kind:     hidden_group_size_x
      - .offset:         158
        .size:           2
        .value_kind:     hidden_group_size_y
      - .offset:         160
        .size:           2
        .value_kind:     hidden_group_size_z
      - .offset:         162
        .size:           2
        .value_kind:     hidden_remainder_x
      - .offset:         164
        .size:           2
        .value_kind:     hidden_remainder_y
      - .offset:         166
        .size:           2
        .value_kind:     hidden_remainder_z
      - .offset:         184
        .size:           8
        .value_kind:     hidden_global_offset_x
      - .offset:         192
        .size:           8
        .value_kind:     hidden_global_offset_y
      - .offset:         200
        .size:           8
        .value_kind:     hidden_global_offset_z
      - .offset:         208
        .size:           2
        .value_kind:     hidden_grid_dims
    .group_segment_fixed_size: 8192
    .kernarg_segment_align: 8
    .kernarg_segment_size: 400
    .language:       OpenCL C
    .language_version:
      - 2
      - 0
    .max_flat_workgroup_size: 256
    .name:           _Z39paged_attention_ll4mi_QKV_mfma16_kernelIDF16_hLN4vllm18Fp8KVCacheDataTypeE1EDF16_Li32ELi128ELi256ELb0ELi16EL8MFMAType0EEvPKT_PKT0_S8_ifPKiSA_SA_iPKfiiiPfSD_PS3_PT2_iSC_SC_
    .private_segment_fixed_size: 352
    .sgpr_count:     57
    .sgpr_spill_count: 0
    .symbol:         _Z39paged_attention_ll4mi_QKV_mfma16_kernelIDF16_hLN4vllm18Fp8KVCacheDataTypeE1EDF16_Li32ELi128ELi256ELb0ELi16EL8MFMAType0EEvPKT_PKT0_S8_ifPKiSA_SA_iPKfiiiPfSD_PS3_PT2_iSC_SC_.kd
    .uniform_work_group_size: 1
    .uses_dynamic_stack: false
    .vgpr_count:     80
    .vgpr_spill_count: 0
    .wavefront_size: 64
  - .agpr_count:     0
    .args:
      - .actual_access:  read_only
        .address_space:  global
        .offset:         0
        .size:           8
        .value_kind:     global_buffer
      - .actual_access:  read_only
        .address_space:  global
        .offset:         8
        .size:           8
        .value_kind:     global_buffer
      - .actual_access:  read_only
        .address_space:  global
        .offset:         16
        .size:           8
        .value_kind:     global_buffer
      - .offset:         24
        .size:           4
        .value_kind:     by_value
      - .offset:         28
        .size:           4
        .value_kind:     by_value
      - .actual_access:  read_only
        .address_space:  global
        .offset:         32
        .size:           8
        .value_kind:     global_buffer
      - .actual_access:  read_only
        .address_space:  global
        .offset:         40
        .size:           8
        .value_kind:     global_buffer
      - .actual_access:  read_only
        .address_space:  global
        .offset:         48
        .size:           8
        .value_kind:     global_buffer
      - .offset:         56
        .size:           4
        .value_kind:     by_value
      - .actual_access:  read_only
        .address_space:  global
        .offset:         64
        .size:           8
        .value_kind:     global_buffer
      - .offset:         72
        .size:           4
        .value_kind:     by_value
      - .offset:         76
        .size:           4
        .value_kind:     by_value
      - .offset:         80
        .size:           4
        .value_kind:     by_value
      - .actual_access:  write_only
        .address_space:  global
        .offset:         88
        .size:           8
        .value_kind:     global_buffer
      - .actual_access:  write_only
        .address_space:  global
        .offset:         96
        .size:           8
        .value_kind:     global_buffer
      - .actual_access:  write_only
        .address_space:  global
        .offset:         104
        .size:           8
        .value_kind:     global_buffer
      - .actual_access:  read_only
        .address_space:  global
        .offset:         112
        .size:           8
        .value_kind:     global_buffer
      - .offset:         120
        .size:           4
        .value_kind:     by_value
      - .address_space:  global
        .offset:         128
        .size:           8
        .value_kind:     global_buffer
      - .address_space:  global
        .offset:         136
        .size:           8
        .value_kind:     global_buffer
      - .offset:         144
        .size:           4
        .value_kind:     hidden_block_count_x
      - .offset:         148
        .size:           4
        .value_kind:     hidden_block_count_y
      - .offset:         152
        .size:           4
        .value_kind:     hidden_block_count_z
      - .offset:         156
        .size:           2
        .value_kind:     hidden_group_size_x
      - .offset:         158
        .size:           2
        .value_kind:     hidden_group_size_y
      - .offset:         160
        .size:           2
        .value_kind:     hidden_group_size_z
      - .offset:         162
        .size:           2
        .value_kind:     hidden_remainder_x
      - .offset:         164
        .size:           2
        .value_kind:     hidden_remainder_y
      - .offset:         166
        .size:           2
        .value_kind:     hidden_remainder_z
      - .offset:         184
        .size:           8
        .value_kind:     hidden_global_offset_x
      - .offset:         192
        .size:           8
        .value_kind:     hidden_global_offset_y
      - .offset:         200
        .size:           8
        .value_kind:     hidden_global_offset_z
      - .offset:         208
        .size:           2
        .value_kind:     hidden_grid_dims
    .group_segment_fixed_size: 8192
    .kernarg_segment_align: 8
    .kernarg_segment_size: 400
    .language:       OpenCL C
    .language_version:
      - 2
      - 0
    .max_flat_workgroup_size: 256
    .name:           _Z39paged_attention_ll4mi_QKV_mfma16_kernelIDF16_hLN4vllm18Fp8KVCacheDataTypeE1EDF16_Li32ELi128ELi256ELb0ELi1EL8MFMAType0EEvPKT_PKT0_S8_ifPKiSA_SA_iPKfiiiPfSD_PS3_PT2_iSC_SC_
    .private_segment_fixed_size: 352
    .sgpr_count:     57
    .sgpr_spill_count: 0
    .symbol:         _Z39paged_attention_ll4mi_QKV_mfma16_kernelIDF16_hLN4vllm18Fp8KVCacheDataTypeE1EDF16_Li32ELi128ELi256ELb0ELi1EL8MFMAType0EEvPKT_PKT0_S8_ifPKiSA_SA_iPKfiiiPfSD_PS3_PT2_iSC_SC_.kd
    .uniform_work_group_size: 1
    .uses_dynamic_stack: false
    .vgpr_count:     80
    .vgpr_spill_count: 0
    .wavefront_size: 64
  - .agpr_count:     0
    .args:
      - .actual_access:  read_only
        .address_space:  global
        .offset:         0
        .size:           8
        .value_kind:     global_buffer
      - .actual_access:  read_only
        .address_space:  global
        .offset:         8
        .size:           8
        .value_kind:     global_buffer
      - .actual_access:  read_only
        .address_space:  global
        .offset:         16
        .size:           8
        .value_kind:     global_buffer
      - .offset:         24
        .size:           4
        .value_kind:     by_value
      - .offset:         28
        .size:           4
        .value_kind:     by_value
      - .actual_access:  read_only
        .address_space:  global
        .offset:         32
        .size:           8
        .value_kind:     global_buffer
      - .actual_access:  read_only
        .address_space:  global
        .offset:         40
        .size:           8
        .value_kind:     global_buffer
      - .actual_access:  read_only
        .address_space:  global
        .offset:         48
        .size:           8
        .value_kind:     global_buffer
      - .offset:         56
        .size:           4
        .value_kind:     by_value
      - .actual_access:  read_only
        .address_space:  global
        .offset:         64
        .size:           8
        .value_kind:     global_buffer
      - .offset:         72
        .size:           4
        .value_kind:     by_value
      - .offset:         76
        .size:           4
        .value_kind:     by_value
      - .offset:         80
        .size:           4
        .value_kind:     by_value
      - .actual_access:  write_only
        .address_space:  global
        .offset:         88
        .size:           8
        .value_kind:     global_buffer
      - .actual_access:  write_only
        .address_space:  global
        .offset:         96
        .size:           8
        .value_kind:     global_buffer
      - .actual_access:  write_only
        .address_space:  global
        .offset:         104
        .size:           8
        .value_kind:     global_buffer
      - .actual_access:  read_only
        .address_space:  global
        .offset:         112
        .size:           8
        .value_kind:     global_buffer
      - .offset:         120
        .size:           4
        .value_kind:     by_value
      - .address_space:  global
        .offset:         128
        .size:           8
        .value_kind:     global_buffer
      - .address_space:  global
        .offset:         136
        .size:           8
        .value_kind:     global_buffer
      - .offset:         144
        .size:           4
        .value_kind:     hidden_block_count_x
      - .offset:         148
        .size:           4
        .value_kind:     hidden_block_count_y
      - .offset:         152
        .size:           4
        .value_kind:     hidden_block_count_z
      - .offset:         156
        .size:           2
        .value_kind:     hidden_group_size_x
      - .offset:         158
        .size:           2
        .value_kind:     hidden_group_size_y
      - .offset:         160
        .size:           2
        .value_kind:     hidden_group_size_z
      - .offset:         162
        .size:           2
        .value_kind:     hidden_remainder_x
      - .offset:         164
        .size:           2
        .value_kind:     hidden_remainder_y
      - .offset:         166
        .size:           2
        .value_kind:     hidden_remainder_z
      - .offset:         184
        .size:           8
        .value_kind:     hidden_global_offset_x
      - .offset:         192
        .size:           8
        .value_kind:     hidden_global_offset_y
      - .offset:         200
        .size:           8
        .value_kind:     hidden_global_offset_z
      - .offset:         208
        .size:           2
        .value_kind:     hidden_grid_dims
    .group_segment_fixed_size: 8192
    .kernarg_segment_align: 8
    .kernarg_segment_size: 400
    .language:       OpenCL C
    .language_version:
      - 2
      - 0
    .max_flat_workgroup_size: 256
    .name:           _Z39paged_attention_ll4mi_QKV_mfma16_kernelIDF16_hLN4vllm18Fp8KVCacheDataTypeE1EDF16_Li32ELi128ELi256ELb0ELi2EL8MFMAType0EEvPKT_PKT0_S8_ifPKiSA_SA_iPKfiiiPfSD_PS3_PT2_iSC_SC_
    .private_segment_fixed_size: 352
    .sgpr_count:     57
    .sgpr_spill_count: 0
    .symbol:         _Z39paged_attention_ll4mi_QKV_mfma16_kernelIDF16_hLN4vllm18Fp8KVCacheDataTypeE1EDF16_Li32ELi128ELi256ELb0ELi2EL8MFMAType0EEvPKT_PKT0_S8_ifPKiSA_SA_iPKfiiiPfSD_PS3_PT2_iSC_SC_.kd
    .uniform_work_group_size: 1
    .uses_dynamic_stack: false
    .vgpr_count:     80
    .vgpr_spill_count: 0
    .wavefront_size: 64
  - .agpr_count:     0
    .args:
      - .actual_access:  read_only
        .address_space:  global
        .offset:         0
        .size:           8
        .value_kind:     global_buffer
      - .actual_access:  read_only
        .address_space:  global
        .offset:         8
        .size:           8
        .value_kind:     global_buffer
      - .actual_access:  read_only
        .address_space:  global
        .offset:         16
        .size:           8
        .value_kind:     global_buffer
      - .offset:         24
        .size:           4
        .value_kind:     by_value
      - .offset:         28
        .size:           4
        .value_kind:     by_value
      - .actual_access:  read_only
        .address_space:  global
        .offset:         32
        .size:           8
        .value_kind:     global_buffer
      - .actual_access:  read_only
        .address_space:  global
        .offset:         40
        .size:           8
        .value_kind:     global_buffer
      - .actual_access:  read_only
        .address_space:  global
        .offset:         48
        .size:           8
        .value_kind:     global_buffer
      - .offset:         56
        .size:           4
        .value_kind:     by_value
      - .actual_access:  read_only
        .address_space:  global
        .offset:         64
        .size:           8
        .value_kind:     global_buffer
      - .offset:         72
        .size:           4
        .value_kind:     by_value
      - .offset:         76
        .size:           4
        .value_kind:     by_value
      - .offset:         80
        .size:           4
        .value_kind:     by_value
      - .actual_access:  write_only
        .address_space:  global
        .offset:         88
        .size:           8
        .value_kind:     global_buffer
      - .actual_access:  write_only
        .address_space:  global
        .offset:         96
        .size:           8
        .value_kind:     global_buffer
      - .actual_access:  write_only
        .address_space:  global
        .offset:         104
        .size:           8
        .value_kind:     global_buffer
      - .actual_access:  read_only
        .address_space:  global
        .offset:         112
        .size:           8
        .value_kind:     global_buffer
      - .offset:         120
        .size:           4
        .value_kind:     by_value
      - .address_space:  global
        .offset:         128
        .size:           8
        .value_kind:     global_buffer
      - .address_space:  global
        .offset:         136
        .size:           8
        .value_kind:     global_buffer
      - .offset:         144
        .size:           4
        .value_kind:     hidden_block_count_x
      - .offset:         148
        .size:           4
        .value_kind:     hidden_block_count_y
      - .offset:         152
        .size:           4
        .value_kind:     hidden_block_count_z
      - .offset:         156
        .size:           2
        .value_kind:     hidden_group_size_x
      - .offset:         158
        .size:           2
        .value_kind:     hidden_group_size_y
      - .offset:         160
        .size:           2
        .value_kind:     hidden_group_size_z
      - .offset:         162
        .size:           2
        .value_kind:     hidden_remainder_x
      - .offset:         164
        .size:           2
        .value_kind:     hidden_remainder_y
      - .offset:         166
        .size:           2
        .value_kind:     hidden_remainder_z
      - .offset:         184
        .size:           8
        .value_kind:     hidden_global_offset_x
      - .offset:         192
        .size:           8
        .value_kind:     hidden_global_offset_y
      - .offset:         200
        .size:           8
        .value_kind:     hidden_global_offset_z
      - .offset:         208
        .size:           2
        .value_kind:     hidden_grid_dims
    .group_segment_fixed_size: 8192
    .kernarg_segment_align: 8
    .kernarg_segment_size: 400
    .language:       OpenCL C
    .language_version:
      - 2
      - 0
    .max_flat_workgroup_size: 256
    .name:           _Z39paged_attention_ll4mi_QKV_mfma16_kernelIDF16_hLN4vllm18Fp8KVCacheDataTypeE1EDF16_Li32ELi128ELi256ELb0ELi3EL8MFMAType0EEvPKT_PKT0_S8_ifPKiSA_SA_iPKfiiiPfSD_PS3_PT2_iSC_SC_
    .private_segment_fixed_size: 352
    .sgpr_count:     57
    .sgpr_spill_count: 0
    .symbol:         _Z39paged_attention_ll4mi_QKV_mfma16_kernelIDF16_hLN4vllm18Fp8KVCacheDataTypeE1EDF16_Li32ELi128ELi256ELb0ELi3EL8MFMAType0EEvPKT_PKT0_S8_ifPKiSA_SA_iPKfiiiPfSD_PS3_PT2_iSC_SC_.kd
    .uniform_work_group_size: 1
    .uses_dynamic_stack: false
    .vgpr_count:     78
    .vgpr_spill_count: 0
    .wavefront_size: 64
  - .agpr_count:     0
    .args:
      - .actual_access:  read_only
        .address_space:  global
        .offset:         0
        .size:           8
        .value_kind:     global_buffer
      - .actual_access:  read_only
        .address_space:  global
        .offset:         8
        .size:           8
        .value_kind:     global_buffer
      - .actual_access:  read_only
        .address_space:  global
        .offset:         16
        .size:           8
        .value_kind:     global_buffer
      - .offset:         24
        .size:           4
        .value_kind:     by_value
      - .offset:         28
        .size:           4
        .value_kind:     by_value
      - .actual_access:  read_only
        .address_space:  global
        .offset:         32
        .size:           8
        .value_kind:     global_buffer
      - .actual_access:  read_only
        .address_space:  global
        .offset:         40
        .size:           8
        .value_kind:     global_buffer
      - .actual_access:  read_only
        .address_space:  global
        .offset:         48
        .size:           8
        .value_kind:     global_buffer
      - .offset:         56
        .size:           4
        .value_kind:     by_value
      - .actual_access:  read_only
        .address_space:  global
        .offset:         64
        .size:           8
        .value_kind:     global_buffer
      - .offset:         72
        .size:           4
        .value_kind:     by_value
      - .offset:         76
        .size:           4
        .value_kind:     by_value
      - .offset:         80
        .size:           4
        .value_kind:     by_value
      - .actual_access:  write_only
        .address_space:  global
        .offset:         88
        .size:           8
        .value_kind:     global_buffer
      - .actual_access:  write_only
        .address_space:  global
        .offset:         96
        .size:           8
        .value_kind:     global_buffer
      - .actual_access:  write_only
        .address_space:  global
        .offset:         104
        .size:           8
        .value_kind:     global_buffer
      - .actual_access:  read_only
        .address_space:  global
        .offset:         112
        .size:           8
        .value_kind:     global_buffer
      - .offset:         120
        .size:           4
        .value_kind:     by_value
      - .address_space:  global
        .offset:         128
        .size:           8
        .value_kind:     global_buffer
      - .address_space:  global
        .offset:         136
        .size:           8
        .value_kind:     global_buffer
      - .offset:         144
        .size:           4
        .value_kind:     hidden_block_count_x
      - .offset:         148
        .size:           4
        .value_kind:     hidden_block_count_y
      - .offset:         152
        .size:           4
        .value_kind:     hidden_block_count_z
      - .offset:         156
        .size:           2
        .value_kind:     hidden_group_size_x
      - .offset:         158
        .size:           2
        .value_kind:     hidden_group_size_y
      - .offset:         160
        .size:           2
        .value_kind:     hidden_group_size_z
      - .offset:         162
        .size:           2
        .value_kind:     hidden_remainder_x
      - .offset:         164
        .size:           2
        .value_kind:     hidden_remainder_y
      - .offset:         166
        .size:           2
        .value_kind:     hidden_remainder_z
      - .offset:         184
        .size:           8
        .value_kind:     hidden_global_offset_x
      - .offset:         192
        .size:           8
        .value_kind:     hidden_global_offset_y
      - .offset:         200
        .size:           8
        .value_kind:     hidden_global_offset_z
      - .offset:         208
        .size:           2
        .value_kind:     hidden_grid_dims
    .group_segment_fixed_size: 8192
    .kernarg_segment_align: 8
    .kernarg_segment_size: 400
    .language:       OpenCL C
    .language_version:
      - 2
      - 0
    .max_flat_workgroup_size: 256
    .name:           _Z39paged_attention_ll4mi_QKV_mfma16_kernelIDF16_hLN4vllm18Fp8KVCacheDataTypeE1EDF16_Li32ELi128ELi256ELb0ELi4EL8MFMAType0EEvPKT_PKT0_S8_ifPKiSA_SA_iPKfiiiPfSD_PS3_PT2_iSC_SC_
    .private_segment_fixed_size: 352
    .sgpr_count:     60
    .sgpr_spill_count: 0
    .symbol:         _Z39paged_attention_ll4mi_QKV_mfma16_kernelIDF16_hLN4vllm18Fp8KVCacheDataTypeE1EDF16_Li32ELi128ELi256ELb0ELi4EL8MFMAType0EEvPKT_PKT0_S8_ifPKiSA_SA_iPKfiiiPfSD_PS3_PT2_iSC_SC_.kd
    .uniform_work_group_size: 1
    .uses_dynamic_stack: false
    .vgpr_count:     82
    .vgpr_spill_count: 0
    .wavefront_size: 64
  - .agpr_count:     4
    .args:
      - .actual_access:  read_only
        .address_space:  global
        .offset:         0
        .size:           8
        .value_kind:     global_buffer
      - .actual_access:  read_only
        .address_space:  global
        .offset:         8
        .size:           8
        .value_kind:     global_buffer
      - .actual_access:  read_only
        .address_space:  global
        .offset:         16
        .size:           8
        .value_kind:     global_buffer
      - .offset:         24
        .size:           4
        .value_kind:     by_value
      - .offset:         28
        .size:           4
        .value_kind:     by_value
      - .actual_access:  read_only
        .address_space:  global
        .offset:         32
        .size:           8
        .value_kind:     global_buffer
      - .actual_access:  read_only
        .address_space:  global
        .offset:         40
        .size:           8
        .value_kind:     global_buffer
      - .actual_access:  read_only
        .address_space:  global
        .offset:         48
        .size:           8
        .value_kind:     global_buffer
      - .offset:         56
        .size:           4
        .value_kind:     by_value
      - .actual_access:  read_only
        .address_space:  global
        .offset:         64
        .size:           8
        .value_kind:     global_buffer
      - .offset:         72
        .size:           4
        .value_kind:     by_value
      - .offset:         76
        .size:           4
        .value_kind:     by_value
      - .offset:         80
        .size:           4
        .value_kind:     by_value
      - .actual_access:  write_only
        .address_space:  global
        .offset:         88
        .size:           8
        .value_kind:     global_buffer
      - .actual_access:  write_only
        .address_space:  global
        .offset:         96
        .size:           8
        .value_kind:     global_buffer
      - .actual_access:  write_only
        .address_space:  global
        .offset:         104
        .size:           8
        .value_kind:     global_buffer
      - .actual_access:  read_only
        .address_space:  global
        .offset:         112
        .size:           8
        .value_kind:     global_buffer
      - .offset:         120
        .size:           4
        .value_kind:     by_value
      - .address_space:  global
        .offset:         128
        .size:           8
        .value_kind:     global_buffer
      - .address_space:  global
        .offset:         136
        .size:           8
        .value_kind:     global_buffer
      - .offset:         144
        .size:           4
        .value_kind:     hidden_block_count_x
      - .offset:         148
        .size:           4
        .value_kind:     hidden_block_count_y
      - .offset:         152
        .size:           4
        .value_kind:     hidden_block_count_z
      - .offset:         156
        .size:           2
        .value_kind:     hidden_group_size_x
      - .offset:         158
        .size:           2
        .value_kind:     hidden_group_size_y
      - .offset:         160
        .size:           2
        .value_kind:     hidden_group_size_z
      - .offset:         162
        .size:           2
        .value_kind:     hidden_remainder_x
      - .offset:         164
        .size:           2
        .value_kind:     hidden_remainder_y
      - .offset:         166
        .size:           2
        .value_kind:     hidden_remainder_z
      - .offset:         184
        .size:           8
        .value_kind:     hidden_global_offset_x
      - .offset:         192
        .size:           8
        .value_kind:     hidden_global_offset_y
      - .offset:         200
        .size:           8
        .value_kind:     hidden_global_offset_z
      - .offset:         208
        .size:           2
        .value_kind:     hidden_grid_dims
    .group_segment_fixed_size: 2720
    .kernarg_segment_align: 8
    .kernarg_segment_size: 400
    .language:       OpenCL C
    .language_version:
      - 2
      - 0
    .max_flat_workgroup_size: 256
    .name:           _Z38paged_attention_ll4mi_QKV_mfma4_kernelI14__hip_bfloat16hLN4vllm18Fp8KVCacheDataTypeE1ES0_Li16ELi64ELi256ELb1ELi1EEvPKT_PKT0_S8_ifPKiSA_SA_iPKfiiiPfSD_PS3_PT2_iSC_SC_
    .private_segment_fixed_size: 0
    .sgpr_count:     46
    .sgpr_spill_count: 0
    .symbol:         _Z38paged_attention_ll4mi_QKV_mfma4_kernelI14__hip_bfloat16hLN4vllm18Fp8KVCacheDataTypeE1ES0_Li16ELi64ELi256ELb1ELi1EEvPKT_PKT0_S8_ifPKiSA_SA_iPKfiiiPfSD_PS3_PT2_iSC_SC_.kd
    .uniform_work_group_size: 1
    .uses_dynamic_stack: false
    .vgpr_count:     60
    .vgpr_spill_count: 0
    .wavefront_size: 64
  - .agpr_count:     4
    .args:
      - .actual_access:  read_only
        .address_space:  global
        .offset:         0
        .size:           8
        .value_kind:     global_buffer
      - .actual_access:  read_only
        .address_space:  global
        .offset:         8
        .size:           8
        .value_kind:     global_buffer
      - .actual_access:  read_only
        .address_space:  global
        .offset:         16
        .size:           8
        .value_kind:     global_buffer
      - .offset:         24
        .size:           4
        .value_kind:     by_value
      - .offset:         28
        .size:           4
        .value_kind:     by_value
      - .actual_access:  read_only
        .address_space:  global
        .offset:         32
        .size:           8
        .value_kind:     global_buffer
      - .actual_access:  read_only
        .address_space:  global
        .offset:         40
        .size:           8
        .value_kind:     global_buffer
      - .actual_access:  read_only
        .address_space:  global
        .offset:         48
        .size:           8
        .value_kind:     global_buffer
      - .offset:         56
        .size:           4
        .value_kind:     by_value
      - .actual_access:  read_only
        .address_space:  global
        .offset:         64
        .size:           8
        .value_kind:     global_buffer
      - .offset:         72
        .size:           4
        .value_kind:     by_value
      - .offset:         76
        .size:           4
        .value_kind:     by_value
      - .offset:         80
        .size:           4
        .value_kind:     by_value
      - .actual_access:  write_only
        .address_space:  global
        .offset:         88
        .size:           8
        .value_kind:     global_buffer
      - .actual_access:  write_only
        .address_space:  global
        .offset:         96
        .size:           8
        .value_kind:     global_buffer
      - .actual_access:  write_only
        .address_space:  global
        .offset:         104
        .size:           8
        .value_kind:     global_buffer
      - .actual_access:  read_only
        .address_space:  global
        .offset:         112
        .size:           8
        .value_kind:     global_buffer
      - .offset:         120
        .size:           4
        .value_kind:     by_value
      - .address_space:  global
        .offset:         128
        .size:           8
        .value_kind:     global_buffer
      - .address_space:  global
        .offset:         136
        .size:           8
        .value_kind:     global_buffer
      - .offset:         144
        .size:           4
        .value_kind:     hidden_block_count_x
      - .offset:         148
        .size:           4
        .value_kind:     hidden_block_count_y
      - .offset:         152
        .size:           4
        .value_kind:     hidden_block_count_z
      - .offset:         156
        .size:           2
        .value_kind:     hidden_group_size_x
      - .offset:         158
        .size:           2
        .value_kind:     hidden_group_size_y
      - .offset:         160
        .size:           2
        .value_kind:     hidden_group_size_z
      - .offset:         162
        .size:           2
        .value_kind:     hidden_remainder_x
      - .offset:         164
        .size:           2
        .value_kind:     hidden_remainder_y
      - .offset:         166
        .size:           2
        .value_kind:     hidden_remainder_z
      - .offset:         184
        .size:           8
        .value_kind:     hidden_global_offset_x
      - .offset:         192
        .size:           8
        .value_kind:     hidden_global_offset_y
      - .offset:         200
        .size:           8
        .value_kind:     hidden_global_offset_z
      - .offset:         208
        .size:           2
        .value_kind:     hidden_grid_dims
    .group_segment_fixed_size: 2720
    .kernarg_segment_align: 8
    .kernarg_segment_size: 400
    .language:       OpenCL C
    .language_version:
      - 2
      - 0
    .max_flat_workgroup_size: 256
    .name:           _Z38paged_attention_ll4mi_QKV_mfma4_kernelI14__hip_bfloat16hLN4vllm18Fp8KVCacheDataTypeE1ES0_Li16ELi64ELi256ELb1ELi2EEvPKT_PKT0_S8_ifPKiSA_SA_iPKfiiiPfSD_PS3_PT2_iSC_SC_
    .private_segment_fixed_size: 0
    .sgpr_count:     48
    .sgpr_spill_count: 0
    .symbol:         _Z38paged_attention_ll4mi_QKV_mfma4_kernelI14__hip_bfloat16hLN4vllm18Fp8KVCacheDataTypeE1ES0_Li16ELi64ELi256ELb1ELi2EEvPKT_PKT0_S8_ifPKiSA_SA_iPKfiiiPfSD_PS3_PT2_iSC_SC_.kd
    .uniform_work_group_size: 1
    .uses_dynamic_stack: false
    .vgpr_count:     60
    .vgpr_spill_count: 0
    .wavefront_size: 64
  - .agpr_count:     4
    .args:
      - .actual_access:  read_only
        .address_space:  global
        .offset:         0
        .size:           8
        .value_kind:     global_buffer
      - .actual_access:  read_only
        .address_space:  global
        .offset:         8
        .size:           8
        .value_kind:     global_buffer
      - .actual_access:  read_only
        .address_space:  global
        .offset:         16
        .size:           8
        .value_kind:     global_buffer
      - .offset:         24
        .size:           4
        .value_kind:     by_value
      - .offset:         28
        .size:           4
        .value_kind:     by_value
      - .actual_access:  read_only
        .address_space:  global
        .offset:         32
        .size:           8
        .value_kind:     global_buffer
      - .actual_access:  read_only
        .address_space:  global
        .offset:         40
        .size:           8
        .value_kind:     global_buffer
      - .actual_access:  read_only
        .address_space:  global
        .offset:         48
        .size:           8
        .value_kind:     global_buffer
      - .offset:         56
        .size:           4
        .value_kind:     by_value
      - .actual_access:  read_only
        .address_space:  global
        .offset:         64
        .size:           8
        .value_kind:     global_buffer
      - .offset:         72
        .size:           4
        .value_kind:     by_value
      - .offset:         76
        .size:           4
        .value_kind:     by_value
      - .offset:         80
        .size:           4
        .value_kind:     by_value
      - .actual_access:  write_only
        .address_space:  global
        .offset:         88
        .size:           8
        .value_kind:     global_buffer
      - .actual_access:  write_only
        .address_space:  global
        .offset:         96
        .size:           8
        .value_kind:     global_buffer
      - .actual_access:  write_only
        .address_space:  global
        .offset:         104
        .size:           8
        .value_kind:     global_buffer
      - .actual_access:  read_only
        .address_space:  global
        .offset:         112
        .size:           8
        .value_kind:     global_buffer
      - .offset:         120
        .size:           4
        .value_kind:     by_value
      - .address_space:  global
        .offset:         128
        .size:           8
        .value_kind:     global_buffer
      - .address_space:  global
        .offset:         136
        .size:           8
        .value_kind:     global_buffer
      - .offset:         144
        .size:           4
        .value_kind:     hidden_block_count_x
      - .offset:         148
        .size:           4
        .value_kind:     hidden_block_count_y
      - .offset:         152
        .size:           4
        .value_kind:     hidden_block_count_z
      - .offset:         156
        .size:           2
        .value_kind:     hidden_group_size_x
      - .offset:         158
        .size:           2
        .value_kind:     hidden_group_size_y
      - .offset:         160
        .size:           2
        .value_kind:     hidden_group_size_z
      - .offset:         162
        .size:           2
        .value_kind:     hidden_remainder_x
      - .offset:         164
        .size:           2
        .value_kind:     hidden_remainder_y
      - .offset:         166
        .size:           2
        .value_kind:     hidden_remainder_z
      - .offset:         184
        .size:           8
        .value_kind:     hidden_global_offset_x
      - .offset:         192
        .size:           8
        .value_kind:     hidden_global_offset_y
      - .offset:         200
        .size:           8
        .value_kind:     hidden_global_offset_z
      - .offset:         208
        .size:           2
        .value_kind:     hidden_grid_dims
    .group_segment_fixed_size: 2720
    .kernarg_segment_align: 8
    .kernarg_segment_size: 400
    .language:       OpenCL C
    .language_version:
      - 2
      - 0
    .max_flat_workgroup_size: 256
    .name:           _Z38paged_attention_ll4mi_QKV_mfma4_kernelI14__hip_bfloat16hLN4vllm18Fp8KVCacheDataTypeE1ES0_Li16ELi64ELi256ELb1ELi3EEvPKT_PKT0_S8_ifPKiSA_SA_iPKfiiiPfSD_PS3_PT2_iSC_SC_
    .private_segment_fixed_size: 0
    .sgpr_count:     50
    .sgpr_spill_count: 0
    .symbol:         _Z38paged_attention_ll4mi_QKV_mfma4_kernelI14__hip_bfloat16hLN4vllm18Fp8KVCacheDataTypeE1ES0_Li16ELi64ELi256ELb1ELi3EEvPKT_PKT0_S8_ifPKiSA_SA_iPKfiiiPfSD_PS3_PT2_iSC_SC_.kd
    .uniform_work_group_size: 1
    .uses_dynamic_stack: false
    .vgpr_count:     60
    .vgpr_spill_count: 0
    .wavefront_size: 64
  - .agpr_count:     4
    .args:
      - .actual_access:  read_only
        .address_space:  global
        .offset:         0
        .size:           8
        .value_kind:     global_buffer
      - .actual_access:  read_only
        .address_space:  global
        .offset:         8
        .size:           8
        .value_kind:     global_buffer
      - .actual_access:  read_only
        .address_space:  global
        .offset:         16
        .size:           8
        .value_kind:     global_buffer
      - .offset:         24
        .size:           4
        .value_kind:     by_value
      - .offset:         28
        .size:           4
        .value_kind:     by_value
      - .actual_access:  read_only
        .address_space:  global
        .offset:         32
        .size:           8
        .value_kind:     global_buffer
      - .actual_access:  read_only
        .address_space:  global
        .offset:         40
        .size:           8
        .value_kind:     global_buffer
      - .actual_access:  read_only
        .address_space:  global
        .offset:         48
        .size:           8
        .value_kind:     global_buffer
      - .offset:         56
        .size:           4
        .value_kind:     by_value
      - .actual_access:  read_only
        .address_space:  global
        .offset:         64
        .size:           8
        .value_kind:     global_buffer
      - .offset:         72
        .size:           4
        .value_kind:     by_value
      - .offset:         76
        .size:           4
        .value_kind:     by_value
      - .offset:         80
        .size:           4
        .value_kind:     by_value
      - .actual_access:  write_only
        .address_space:  global
        .offset:         88
        .size:           8
        .value_kind:     global_buffer
      - .actual_access:  write_only
        .address_space:  global
        .offset:         96
        .size:           8
        .value_kind:     global_buffer
      - .actual_access:  write_only
        .address_space:  global
        .offset:         104
        .size:           8
        .value_kind:     global_buffer
      - .actual_access:  read_only
        .address_space:  global
        .offset:         112
        .size:           8
        .value_kind:     global_buffer
      - .offset:         120
        .size:           4
        .value_kind:     by_value
      - .address_space:  global
        .offset:         128
        .size:           8
        .value_kind:     global_buffer
      - .address_space:  global
        .offset:         136
        .size:           8
        .value_kind:     global_buffer
      - .offset:         144
        .size:           4
        .value_kind:     hidden_block_count_x
      - .offset:         148
        .size:           4
        .value_kind:     hidden_block_count_y
      - .offset:         152
        .size:           4
        .value_kind:     hidden_block_count_z
      - .offset:         156
        .size:           2
        .value_kind:     hidden_group_size_x
      - .offset:         158
        .size:           2
        .value_kind:     hidden_group_size_y
      - .offset:         160
        .size:           2
        .value_kind:     hidden_group_size_z
      - .offset:         162
        .size:           2
        .value_kind:     hidden_remainder_x
      - .offset:         164
        .size:           2
        .value_kind:     hidden_remainder_y
      - .offset:         166
        .size:           2
        .value_kind:     hidden_remainder_z
      - .offset:         184
        .size:           8
        .value_kind:     hidden_global_offset_x
      - .offset:         192
        .size:           8
        .value_kind:     hidden_global_offset_y
      - .offset:         200
        .size:           8
        .value_kind:     hidden_global_offset_z
      - .offset:         208
        .size:           2
        .value_kind:     hidden_grid_dims
    .group_segment_fixed_size: 2720
    .kernarg_segment_align: 8
    .kernarg_segment_size: 400
    .language:       OpenCL C
    .language_version:
      - 2
      - 0
    .max_flat_workgroup_size: 256
    .name:           _Z38paged_attention_ll4mi_QKV_mfma4_kernelI14__hip_bfloat16hLN4vllm18Fp8KVCacheDataTypeE1ES0_Li16ELi64ELi256ELb1ELi4EEvPKT_PKT0_S8_ifPKiSA_SA_iPKfiiiPfSD_PS3_PT2_iSC_SC_
    .private_segment_fixed_size: 0
    .sgpr_count:     49
    .sgpr_spill_count: 0
    .symbol:         _Z38paged_attention_ll4mi_QKV_mfma4_kernelI14__hip_bfloat16hLN4vllm18Fp8KVCacheDataTypeE1ES0_Li16ELi64ELi256ELb1ELi4EEvPKT_PKT0_S8_ifPKiSA_SA_iPKfiiiPfSD_PS3_PT2_iSC_SC_.kd
    .uniform_work_group_size: 1
    .uses_dynamic_stack: false
    .vgpr_count:     64
    .vgpr_spill_count: 0
    .wavefront_size: 64
  - .agpr_count:     1
    .args:
      - .actual_access:  read_only
        .address_space:  global
        .offset:         0
        .size:           8
        .value_kind:     global_buffer
      - .actual_access:  read_only
        .address_space:  global
        .offset:         8
        .size:           8
        .value_kind:     global_buffer
      - .actual_access:  read_only
        .address_space:  global
        .offset:         16
        .size:           8
        .value_kind:     global_buffer
      - .offset:         24
        .size:           4
        .value_kind:     by_value
      - .offset:         28
        .size:           4
        .value_kind:     by_value
      - .actual_access:  read_only
        .address_space:  global
        .offset:         32
        .size:           8
        .value_kind:     global_buffer
      - .actual_access:  read_only
        .address_space:  global
        .offset:         40
        .size:           8
        .value_kind:     global_buffer
      - .actual_access:  read_only
        .address_space:  global
        .offset:         48
        .size:           8
        .value_kind:     global_buffer
      - .offset:         56
        .size:           4
        .value_kind:     by_value
      - .actual_access:  read_only
        .address_space:  global
        .offset:         64
        .size:           8
        .value_kind:     global_buffer
      - .offset:         72
        .size:           4
        .value_kind:     by_value
      - .offset:         76
        .size:           4
        .value_kind:     by_value
      - .offset:         80
        .size:           4
        .value_kind:     by_value
      - .actual_access:  read_only
        .address_space:  global
        .offset:         88
        .size:           8
        .value_kind:     global_buffer
      - .actual_access:  read_only
        .address_space:  global
        .offset:         96
        .size:           8
        .value_kind:     global_buffer
      - .actual_access:  read_only
        .address_space:  global
        .offset:         104
        .size:           8
        .value_kind:     global_buffer
      - .actual_access:  read_only
        .address_space:  global
        .offset:         112
        .size:           8
        .value_kind:     global_buffer
      - .offset:         120
        .size:           4
        .value_kind:     by_value
      - .address_space:  global
        .offset:         128
        .size:           8
        .value_kind:     global_buffer
      - .address_space:  global
        .offset:         136
        .size:           8
        .value_kind:     global_buffer
      - .offset:         144
        .size:           4
        .value_kind:     hidden_block_count_x
      - .offset:         148
        .size:           4
        .value_kind:     hidden_block_count_y
      - .offset:         152
        .size:           4
        .value_kind:     hidden_block_count_z
      - .offset:         156
        .size:           2
        .value_kind:     hidden_group_size_x
      - .offset:         158
        .size:           2
        .value_kind:     hidden_group_size_y
      - .offset:         160
        .size:           2
        .value_kind:     hidden_group_size_z
      - .offset:         162
        .size:           2
        .value_kind:     hidden_remainder_x
      - .offset:         164
        .size:           2
        .value_kind:     hidden_remainder_y
      - .offset:         166
        .size:           2
        .value_kind:     hidden_remainder_z
      - .offset:         184
        .size:           8
        .value_kind:     hidden_global_offset_x
      - .offset:         192
        .size:           8
        .value_kind:     hidden_global_offset_y
      - .offset:         200
        .size:           8
        .value_kind:     hidden_global_offset_z
      - .offset:         208
        .size:           2
        .value_kind:     hidden_grid_dims
      - .offset:         224
        .size:           8
        .value_kind:     hidden_hostcall_buffer
    .group_segment_fixed_size: 8192
    .kernarg_segment_align: 8
    .kernarg_segment_size: 400
    .language:       OpenCL C
    .language_version:
      - 2
      - 0
    .max_flat_workgroup_size: 256
    .name:           _Z39paged_attention_ll4mi_QKV_mfma16_kernelI14__hip_bfloat16hLN4vllm18Fp8KVCacheDataTypeE1ES0_Li16ELi64ELi256ELb1ELi5EL8MFMAType1EEvPKT_PKT0_S9_ifPKiSB_SB_iPKfiiiPfSE_PS4_PT2_iSD_SD_
    .private_segment_fixed_size: 64
    .sgpr_count:     40
    .sgpr_spill_count: 0
    .symbol:         _Z39paged_attention_ll4mi_QKV_mfma16_kernelI14__hip_bfloat16hLN4vllm18Fp8KVCacheDataTypeE1ES0_Li16ELi64ELi256ELb1ELi5EL8MFMAType1EEvPKT_PKT0_S9_ifPKiSB_SB_iPKfiiiPfSE_PS4_PT2_iSD_SD_.kd
    .uniform_work_group_size: 1
    .uses_dynamic_stack: false
    .vgpr_count:     45
    .vgpr_spill_count: 0
    .wavefront_size: 64
  - .agpr_count:     1
    .args:
      - .actual_access:  read_only
        .address_space:  global
        .offset:         0
        .size:           8
        .value_kind:     global_buffer
      - .actual_access:  read_only
        .address_space:  global
        .offset:         8
        .size:           8
        .value_kind:     global_buffer
      - .actual_access:  read_only
        .address_space:  global
        .offset:         16
        .size:           8
        .value_kind:     global_buffer
      - .offset:         24
        .size:           4
        .value_kind:     by_value
      - .offset:         28
        .size:           4
        .value_kind:     by_value
      - .actual_access:  read_only
        .address_space:  global
        .offset:         32
        .size:           8
        .value_kind:     global_buffer
      - .actual_access:  read_only
        .address_space:  global
        .offset:         40
        .size:           8
        .value_kind:     global_buffer
      - .actual_access:  read_only
        .address_space:  global
        .offset:         48
        .size:           8
        .value_kind:     global_buffer
      - .offset:         56
        .size:           4
        .value_kind:     by_value
      - .actual_access:  read_only
        .address_space:  global
        .offset:         64
        .size:           8
        .value_kind:     global_buffer
      - .offset:         72
        .size:           4
        .value_kind:     by_value
      - .offset:         76
        .size:           4
        .value_kind:     by_value
      - .offset:         80
        .size:           4
        .value_kind:     by_value
      - .actual_access:  read_only
        .address_space:  global
        .offset:         88
        .size:           8
        .value_kind:     global_buffer
      - .actual_access:  read_only
        .address_space:  global
        .offset:         96
        .size:           8
        .value_kind:     global_buffer
      - .actual_access:  read_only
        .address_space:  global
        .offset:         104
        .size:           8
        .value_kind:     global_buffer
      - .actual_access:  read_only
        .address_space:  global
        .offset:         112
        .size:           8
        .value_kind:     global_buffer
      - .offset:         120
        .size:           4
        .value_kind:     by_value
      - .address_space:  global
        .offset:         128
        .size:           8
        .value_kind:     global_buffer
      - .address_space:  global
        .offset:         136
        .size:           8
        .value_kind:     global_buffer
      - .offset:         144
        .size:           4
        .value_kind:     hidden_block_count_x
      - .offset:         148
        .size:           4
        .value_kind:     hidden_block_count_y
      - .offset:         152
        .size:           4
        .value_kind:     hidden_block_count_z
      - .offset:         156
        .size:           2
        .value_kind:     hidden_group_size_x
      - .offset:         158
        .size:           2
        .value_kind:     hidden_group_size_y
      - .offset:         160
        .size:           2
        .value_kind:     hidden_group_size_z
      - .offset:         162
        .size:           2
        .value_kind:     hidden_remainder_x
      - .offset:         164
        .size:           2
        .value_kind:     hidden_remainder_y
      - .offset:         166
        .size:           2
        .value_kind:     hidden_remainder_z
      - .offset:         184
        .size:           8
        .value_kind:     hidden_global_offset_x
      - .offset:         192
        .size:           8
        .value_kind:     hidden_global_offset_y
      - .offset:         200
        .size:           8
        .value_kind:     hidden_global_offset_z
      - .offset:         208
        .size:           2
        .value_kind:     hidden_grid_dims
      - .offset:         224
        .size:           8
        .value_kind:     hidden_hostcall_buffer
    .group_segment_fixed_size: 8192
    .kernarg_segment_align: 8
    .kernarg_segment_size: 400
    .language:       OpenCL C
    .language_version:
      - 2
      - 0
    .max_flat_workgroup_size: 256
    .name:           _Z39paged_attention_ll4mi_QKV_mfma16_kernelI14__hip_bfloat16hLN4vllm18Fp8KVCacheDataTypeE1ES0_Li16ELi64ELi256ELb1ELi6EL8MFMAType1EEvPKT_PKT0_S9_ifPKiSB_SB_iPKfiiiPfSE_PS4_PT2_iSD_SD_
    .private_segment_fixed_size: 64
    .sgpr_count:     40
    .sgpr_spill_count: 0
    .symbol:         _Z39paged_attention_ll4mi_QKV_mfma16_kernelI14__hip_bfloat16hLN4vllm18Fp8KVCacheDataTypeE1ES0_Li16ELi64ELi256ELb1ELi6EL8MFMAType1EEvPKT_PKT0_S9_ifPKiSB_SB_iPKfiiiPfSE_PS4_PT2_iSD_SD_.kd
    .uniform_work_group_size: 1
    .uses_dynamic_stack: false
    .vgpr_count:     45
    .vgpr_spill_count: 0
    .wavefront_size: 64
  - .agpr_count:     1
    .args:
      - .actual_access:  read_only
        .address_space:  global
        .offset:         0
        .size:           8
        .value_kind:     global_buffer
      - .actual_access:  read_only
        .address_space:  global
        .offset:         8
        .size:           8
        .value_kind:     global_buffer
      - .actual_access:  read_only
        .address_space:  global
        .offset:         16
        .size:           8
        .value_kind:     global_buffer
      - .offset:         24
        .size:           4
        .value_kind:     by_value
      - .offset:         28
        .size:           4
        .value_kind:     by_value
      - .actual_access:  read_only
        .address_space:  global
        .offset:         32
        .size:           8
        .value_kind:     global_buffer
      - .actual_access:  read_only
        .address_space:  global
        .offset:         40
        .size:           8
        .value_kind:     global_buffer
      - .actual_access:  read_only
        .address_space:  global
        .offset:         48
        .size:           8
        .value_kind:     global_buffer
      - .offset:         56
        .size:           4
        .value_kind:     by_value
      - .actual_access:  read_only
        .address_space:  global
        .offset:         64
        .size:           8
        .value_kind:     global_buffer
      - .offset:         72
        .size:           4
        .value_kind:     by_value
      - .offset:         76
        .size:           4
        .value_kind:     by_value
      - .offset:         80
        .size:           4
        .value_kind:     by_value
      - .actual_access:  read_only
        .address_space:  global
        .offset:         88
        .size:           8
        .value_kind:     global_buffer
      - .actual_access:  read_only
        .address_space:  global
        .offset:         96
        .size:           8
        .value_kind:     global_buffer
      - .actual_access:  read_only
        .address_space:  global
        .offset:         104
        .size:           8
        .value_kind:     global_buffer
      - .actual_access:  read_only
        .address_space:  global
        .offset:         112
        .size:           8
        .value_kind:     global_buffer
      - .offset:         120
        .size:           4
        .value_kind:     by_value
      - .address_space:  global
        .offset:         128
        .size:           8
        .value_kind:     global_buffer
      - .address_space:  global
        .offset:         136
        .size:           8
        .value_kind:     global_buffer
      - .offset:         144
        .size:           4
        .value_kind:     hidden_block_count_x
      - .offset:         148
        .size:           4
        .value_kind:     hidden_block_count_y
      - .offset:         152
        .size:           4
        .value_kind:     hidden_block_count_z
      - .offset:         156
        .size:           2
        .value_kind:     hidden_group_size_x
      - .offset:         158
        .size:           2
        .value_kind:     hidden_group_size_y
      - .offset:         160
        .size:           2
        .value_kind:     hidden_group_size_z
      - .offset:         162
        .size:           2
        .value_kind:     hidden_remainder_x
      - .offset:         164
        .size:           2
        .value_kind:     hidden_remainder_y
      - .offset:         166
        .size:           2
        .value_kind:     hidden_remainder_z
      - .offset:         184
        .size:           8
        .value_kind:     hidden_global_offset_x
      - .offset:         192
        .size:           8
        .value_kind:     hidden_global_offset_y
      - .offset:         200
        .size:           8
        .value_kind:     hidden_global_offset_z
      - .offset:         208
        .size:           2
        .value_kind:     hidden_grid_dims
      - .offset:         224
        .size:           8
        .value_kind:     hidden_hostcall_buffer
    .group_segment_fixed_size: 8192
    .kernarg_segment_align: 8
    .kernarg_segment_size: 400
    .language:       OpenCL C
    .language_version:
      - 2
      - 0
    .max_flat_workgroup_size: 256
    .name:           _Z39paged_attention_ll4mi_QKV_mfma16_kernelI14__hip_bfloat16hLN4vllm18Fp8KVCacheDataTypeE1ES0_Li16ELi64ELi256ELb1ELi7EL8MFMAType1EEvPKT_PKT0_S9_ifPKiSB_SB_iPKfiiiPfSE_PS4_PT2_iSD_SD_
    .private_segment_fixed_size: 64
    .sgpr_count:     40
    .sgpr_spill_count: 0
    .symbol:         _Z39paged_attention_ll4mi_QKV_mfma16_kernelI14__hip_bfloat16hLN4vllm18Fp8KVCacheDataTypeE1ES0_Li16ELi64ELi256ELb1ELi7EL8MFMAType1EEvPKT_PKT0_S9_ifPKiSB_SB_iPKfiiiPfSE_PS4_PT2_iSD_SD_.kd
    .uniform_work_group_size: 1
    .uses_dynamic_stack: false
    .vgpr_count:     45
    .vgpr_spill_count: 0
    .wavefront_size: 64
  - .agpr_count:     1
    .args:
      - .actual_access:  read_only
        .address_space:  global
        .offset:         0
        .size:           8
        .value_kind:     global_buffer
      - .actual_access:  read_only
        .address_space:  global
        .offset:         8
        .size:           8
        .value_kind:     global_buffer
      - .actual_access:  read_only
        .address_space:  global
        .offset:         16
        .size:           8
        .value_kind:     global_buffer
      - .offset:         24
        .size:           4
        .value_kind:     by_value
      - .offset:         28
        .size:           4
        .value_kind:     by_value
      - .actual_access:  read_only
        .address_space:  global
        .offset:         32
        .size:           8
        .value_kind:     global_buffer
      - .actual_access:  read_only
        .address_space:  global
        .offset:         40
        .size:           8
        .value_kind:     global_buffer
      - .actual_access:  read_only
        .address_space:  global
        .offset:         48
        .size:           8
        .value_kind:     global_buffer
      - .offset:         56
        .size:           4
        .value_kind:     by_value
      - .actual_access:  read_only
        .address_space:  global
        .offset:         64
        .size:           8
        .value_kind:     global_buffer
      - .offset:         72
        .size:           4
        .value_kind:     by_value
      - .offset:         76
        .size:           4
        .value_kind:     by_value
      - .offset:         80
        .size:           4
        .value_kind:     by_value
      - .actual_access:  read_only
        .address_space:  global
        .offset:         88
        .size:           8
        .value_kind:     global_buffer
      - .actual_access:  read_only
        .address_space:  global
        .offset:         96
        .size:           8
        .value_kind:     global_buffer
      - .actual_access:  read_only
        .address_space:  global
        .offset:         104
        .size:           8
        .value_kind:     global_buffer
      - .actual_access:  read_only
        .address_space:  global
        .offset:         112
        .size:           8
        .value_kind:     global_buffer
      - .offset:         120
        .size:           4
        .value_kind:     by_value
      - .address_space:  global
        .offset:         128
        .size:           8
        .value_kind:     global_buffer
      - .address_space:  global
        .offset:         136
        .size:           8
        .value_kind:     global_buffer
      - .offset:         144
        .size:           4
        .value_kind:     hidden_block_count_x
      - .offset:         148
        .size:           4
        .value_kind:     hidden_block_count_y
      - .offset:         152
        .size:           4
        .value_kind:     hidden_block_count_z
      - .offset:         156
        .size:           2
        .value_kind:     hidden_group_size_x
      - .offset:         158
        .size:           2
        .value_kind:     hidden_group_size_y
      - .offset:         160
        .size:           2
        .value_kind:     hidden_group_size_z
      - .offset:         162
        .size:           2
        .value_kind:     hidden_remainder_x
      - .offset:         164
        .size:           2
        .value_kind:     hidden_remainder_y
      - .offset:         166
        .size:           2
        .value_kind:     hidden_remainder_z
      - .offset:         184
        .size:           8
        .value_kind:     hidden_global_offset_x
      - .offset:         192
        .size:           8
        .value_kind:     hidden_global_offset_y
      - .offset:         200
        .size:           8
        .value_kind:     hidden_global_offset_z
      - .offset:         208
        .size:           2
        .value_kind:     hidden_grid_dims
      - .offset:         224
        .size:           8
        .value_kind:     hidden_hostcall_buffer
    .group_segment_fixed_size: 8192
    .kernarg_segment_align: 8
    .kernarg_segment_size: 400
    .language:       OpenCL C
    .language_version:
      - 2
      - 0
    .max_flat_workgroup_size: 256
    .name:           _Z39paged_attention_ll4mi_QKV_mfma16_kernelI14__hip_bfloat16hLN4vllm18Fp8KVCacheDataTypeE1ES0_Li16ELi64ELi256ELb1ELi8EL8MFMAType1EEvPKT_PKT0_S9_ifPKiSB_SB_iPKfiiiPfSE_PS4_PT2_iSD_SD_
    .private_segment_fixed_size: 64
    .sgpr_count:     40
    .sgpr_spill_count: 0
    .symbol:         _Z39paged_attention_ll4mi_QKV_mfma16_kernelI14__hip_bfloat16hLN4vllm18Fp8KVCacheDataTypeE1ES0_Li16ELi64ELi256ELb1ELi8EL8MFMAType1EEvPKT_PKT0_S9_ifPKiSB_SB_iPKfiiiPfSE_PS4_PT2_iSD_SD_.kd
    .uniform_work_group_size: 1
    .uses_dynamic_stack: false
    .vgpr_count:     45
    .vgpr_spill_count: 0
    .wavefront_size: 64
  - .agpr_count:     1
    .args:
      - .actual_access:  read_only
        .address_space:  global
        .offset:         0
        .size:           8
        .value_kind:     global_buffer
      - .actual_access:  read_only
        .address_space:  global
        .offset:         8
        .size:           8
        .value_kind:     global_buffer
      - .actual_access:  read_only
        .address_space:  global
        .offset:         16
        .size:           8
        .value_kind:     global_buffer
      - .offset:         24
        .size:           4
        .value_kind:     by_value
      - .offset:         28
        .size:           4
        .value_kind:     by_value
      - .actual_access:  read_only
        .address_space:  global
        .offset:         32
        .size:           8
        .value_kind:     global_buffer
      - .actual_access:  read_only
        .address_space:  global
        .offset:         40
        .size:           8
        .value_kind:     global_buffer
      - .actual_access:  read_only
        .address_space:  global
        .offset:         48
        .size:           8
        .value_kind:     global_buffer
      - .offset:         56
        .size:           4
        .value_kind:     by_value
      - .actual_access:  read_only
        .address_space:  global
        .offset:         64
        .size:           8
        .value_kind:     global_buffer
      - .offset:         72
        .size:           4
        .value_kind:     by_value
      - .offset:         76
        .size:           4
        .value_kind:     by_value
      - .offset:         80
        .size:           4
        .value_kind:     by_value
      - .actual_access:  read_only
        .address_space:  global
        .offset:         88
        .size:           8
        .value_kind:     global_buffer
      - .actual_access:  read_only
        .address_space:  global
        .offset:         96
        .size:           8
        .value_kind:     global_buffer
      - .actual_access:  read_only
        .address_space:  global
        .offset:         104
        .size:           8
        .value_kind:     global_buffer
      - .actual_access:  read_only
        .address_space:  global
        .offset:         112
        .size:           8
        .value_kind:     global_buffer
      - .offset:         120
        .size:           4
        .value_kind:     by_value
      - .address_space:  global
        .offset:         128
        .size:           8
        .value_kind:     global_buffer
      - .address_space:  global
        .offset:         136
        .size:           8
        .value_kind:     global_buffer
      - .offset:         144
        .size:           4
        .value_kind:     hidden_block_count_x
      - .offset:         148
        .size:           4
        .value_kind:     hidden_block_count_y
      - .offset:         152
        .size:           4
        .value_kind:     hidden_block_count_z
      - .offset:         156
        .size:           2
        .value_kind:     hidden_group_size_x
      - .offset:         158
        .size:           2
        .value_kind:     hidden_group_size_y
      - .offset:         160
        .size:           2
        .value_kind:     hidden_group_size_z
      - .offset:         162
        .size:           2
        .value_kind:     hidden_remainder_x
      - .offset:         164
        .size:           2
        .value_kind:     hidden_remainder_y
      - .offset:         166
        .size:           2
        .value_kind:     hidden_remainder_z
      - .offset:         184
        .size:           8
        .value_kind:     hidden_global_offset_x
      - .offset:         192
        .size:           8
        .value_kind:     hidden_global_offset_y
      - .offset:         200
        .size:           8
        .value_kind:     hidden_global_offset_z
      - .offset:         208
        .size:           2
        .value_kind:     hidden_grid_dims
      - .offset:         224
        .size:           8
        .value_kind:     hidden_hostcall_buffer
    .group_segment_fixed_size: 8192
    .kernarg_segment_align: 8
    .kernarg_segment_size: 400
    .language:       OpenCL C
    .language_version:
      - 2
      - 0
    .max_flat_workgroup_size: 256
    .name:           _Z39paged_attention_ll4mi_QKV_mfma16_kernelI14__hip_bfloat16hLN4vllm18Fp8KVCacheDataTypeE1ES0_Li16ELi64ELi256ELb1ELi9EL8MFMAType1EEvPKT_PKT0_S9_ifPKiSB_SB_iPKfiiiPfSE_PS4_PT2_iSD_SD_
    .private_segment_fixed_size: 64
    .sgpr_count:     40
    .sgpr_spill_count: 0
    .symbol:         _Z39paged_attention_ll4mi_QKV_mfma16_kernelI14__hip_bfloat16hLN4vllm18Fp8KVCacheDataTypeE1ES0_Li16ELi64ELi256ELb1ELi9EL8MFMAType1EEvPKT_PKT0_S9_ifPKiSB_SB_iPKfiiiPfSE_PS4_PT2_iSD_SD_.kd
    .uniform_work_group_size: 1
    .uses_dynamic_stack: false
    .vgpr_count:     45
    .vgpr_spill_count: 0
    .wavefront_size: 64
  - .agpr_count:     1
    .args:
      - .actual_access:  read_only
        .address_space:  global
        .offset:         0
        .size:           8
        .value_kind:     global_buffer
      - .actual_access:  read_only
        .address_space:  global
        .offset:         8
        .size:           8
        .value_kind:     global_buffer
      - .actual_access:  read_only
        .address_space:  global
        .offset:         16
        .size:           8
        .value_kind:     global_buffer
      - .offset:         24
        .size:           4
        .value_kind:     by_value
      - .offset:         28
        .size:           4
        .value_kind:     by_value
      - .actual_access:  read_only
        .address_space:  global
        .offset:         32
        .size:           8
        .value_kind:     global_buffer
      - .actual_access:  read_only
        .address_space:  global
        .offset:         40
        .size:           8
        .value_kind:     global_buffer
      - .actual_access:  read_only
        .address_space:  global
        .offset:         48
        .size:           8
        .value_kind:     global_buffer
      - .offset:         56
        .size:           4
        .value_kind:     by_value
      - .actual_access:  read_only
        .address_space:  global
        .offset:         64
        .size:           8
        .value_kind:     global_buffer
      - .offset:         72
        .size:           4
        .value_kind:     by_value
      - .offset:         76
        .size:           4
        .value_kind:     by_value
      - .offset:         80
        .size:           4
        .value_kind:     by_value
      - .actual_access:  read_only
        .address_space:  global
        .offset:         88
        .size:           8
        .value_kind:     global_buffer
      - .actual_access:  read_only
        .address_space:  global
        .offset:         96
        .size:           8
        .value_kind:     global_buffer
      - .actual_access:  read_only
        .address_space:  global
        .offset:         104
        .size:           8
        .value_kind:     global_buffer
      - .actual_access:  read_only
        .address_space:  global
        .offset:         112
        .size:           8
        .value_kind:     global_buffer
      - .offset:         120
        .size:           4
        .value_kind:     by_value
      - .address_space:  global
        .offset:         128
        .size:           8
        .value_kind:     global_buffer
      - .address_space:  global
        .offset:         136
        .size:           8
        .value_kind:     global_buffer
      - .offset:         144
        .size:           4
        .value_kind:     hidden_block_count_x
      - .offset:         148
        .size:           4
        .value_kind:     hidden_block_count_y
      - .offset:         152
        .size:           4
        .value_kind:     hidden_block_count_z
      - .offset:         156
        .size:           2
        .value_kind:     hidden_group_size_x
      - .offset:         158
        .size:           2
        .value_kind:     hidden_group_size_y
      - .offset:         160
        .size:           2
        .value_kind:     hidden_group_size_z
      - .offset:         162
        .size:           2
        .value_kind:     hidden_remainder_x
      - .offset:         164
        .size:           2
        .value_kind:     hidden_remainder_y
      - .offset:         166
        .size:           2
        .value_kind:     hidden_remainder_z
      - .offset:         184
        .size:           8
        .value_kind:     hidden_global_offset_x
      - .offset:         192
        .size:           8
        .value_kind:     hidden_global_offset_y
      - .offset:         200
        .size:           8
        .value_kind:     hidden_global_offset_z
      - .offset:         208
        .size:           2
        .value_kind:     hidden_grid_dims
      - .offset:         224
        .size:           8
        .value_kind:     hidden_hostcall_buffer
    .group_segment_fixed_size: 8192
    .kernarg_segment_align: 8
    .kernarg_segment_size: 400
    .language:       OpenCL C
    .language_version:
      - 2
      - 0
    .max_flat_workgroup_size: 256
    .name:           _Z39paged_attention_ll4mi_QKV_mfma16_kernelI14__hip_bfloat16hLN4vllm18Fp8KVCacheDataTypeE1ES0_Li16ELi64ELi256ELb1ELi10EL8MFMAType1EEvPKT_PKT0_S9_ifPKiSB_SB_iPKfiiiPfSE_PS4_PT2_iSD_SD_
    .private_segment_fixed_size: 64
    .sgpr_count:     40
    .sgpr_spill_count: 0
    .symbol:         _Z39paged_attention_ll4mi_QKV_mfma16_kernelI14__hip_bfloat16hLN4vllm18Fp8KVCacheDataTypeE1ES0_Li16ELi64ELi256ELb1ELi10EL8MFMAType1EEvPKT_PKT0_S9_ifPKiSB_SB_iPKfiiiPfSE_PS4_PT2_iSD_SD_.kd
    .uniform_work_group_size: 1
    .uses_dynamic_stack: false
    .vgpr_count:     45
    .vgpr_spill_count: 0
    .wavefront_size: 64
  - .agpr_count:     1
    .args:
      - .actual_access:  read_only
        .address_space:  global
        .offset:         0
        .size:           8
        .value_kind:     global_buffer
      - .actual_access:  read_only
        .address_space:  global
        .offset:         8
        .size:           8
        .value_kind:     global_buffer
      - .actual_access:  read_only
        .address_space:  global
        .offset:         16
        .size:           8
        .value_kind:     global_buffer
      - .offset:         24
        .size:           4
        .value_kind:     by_value
      - .offset:         28
        .size:           4
        .value_kind:     by_value
      - .actual_access:  read_only
        .address_space:  global
        .offset:         32
        .size:           8
        .value_kind:     global_buffer
      - .actual_access:  read_only
        .address_space:  global
        .offset:         40
        .size:           8
        .value_kind:     global_buffer
      - .actual_access:  read_only
        .address_space:  global
        .offset:         48
        .size:           8
        .value_kind:     global_buffer
      - .offset:         56
        .size:           4
        .value_kind:     by_value
      - .actual_access:  read_only
        .address_space:  global
        .offset:         64
        .size:           8
        .value_kind:     global_buffer
      - .offset:         72
        .size:           4
        .value_kind:     by_value
      - .offset:         76
        .size:           4
        .value_kind:     by_value
      - .offset:         80
        .size:           4
        .value_kind:     by_value
      - .actual_access:  read_only
        .address_space:  global
        .offset:         88
        .size:           8
        .value_kind:     global_buffer
      - .actual_access:  read_only
        .address_space:  global
        .offset:         96
        .size:           8
        .value_kind:     global_buffer
      - .actual_access:  read_only
        .address_space:  global
        .offset:         104
        .size:           8
        .value_kind:     global_buffer
      - .actual_access:  read_only
        .address_space:  global
        .offset:         112
        .size:           8
        .value_kind:     global_buffer
      - .offset:         120
        .size:           4
        .value_kind:     by_value
      - .address_space:  global
        .offset:         128
        .size:           8
        .value_kind:     global_buffer
      - .address_space:  global
        .offset:         136
        .size:           8
        .value_kind:     global_buffer
      - .offset:         144
        .size:           4
        .value_kind:     hidden_block_count_x
      - .offset:         148
        .size:           4
        .value_kind:     hidden_block_count_y
      - .offset:         152
        .size:           4
        .value_kind:     hidden_block_count_z
      - .offset:         156
        .size:           2
        .value_kind:     hidden_group_size_x
      - .offset:         158
        .size:           2
        .value_kind:     hidden_group_size_y
      - .offset:         160
        .size:           2
        .value_kind:     hidden_group_size_z
      - .offset:         162
        .size:           2
        .value_kind:     hidden_remainder_x
      - .offset:         164
        .size:           2
        .value_kind:     hidden_remainder_y
      - .offset:         166
        .size:           2
        .value_kind:     hidden_remainder_z
      - .offset:         184
        .size:           8
        .value_kind:     hidden_global_offset_x
      - .offset:         192
        .size:           8
        .value_kind:     hidden_global_offset_y
      - .offset:         200
        .size:           8
        .value_kind:     hidden_global_offset_z
      - .offset:         208
        .size:           2
        .value_kind:     hidden_grid_dims
      - .offset:         224
        .size:           8
        .value_kind:     hidden_hostcall_buffer
    .group_segment_fixed_size: 8192
    .kernarg_segment_align: 8
    .kernarg_segment_size: 400
    .language:       OpenCL C
    .language_version:
      - 2
      - 0
    .max_flat_workgroup_size: 256
    .name:           _Z39paged_attention_ll4mi_QKV_mfma16_kernelI14__hip_bfloat16hLN4vllm18Fp8KVCacheDataTypeE1ES0_Li16ELi64ELi256ELb1ELi11EL8MFMAType1EEvPKT_PKT0_S9_ifPKiSB_SB_iPKfiiiPfSE_PS4_PT2_iSD_SD_
    .private_segment_fixed_size: 64
    .sgpr_count:     40
    .sgpr_spill_count: 0
    .symbol:         _Z39paged_attention_ll4mi_QKV_mfma16_kernelI14__hip_bfloat16hLN4vllm18Fp8KVCacheDataTypeE1ES0_Li16ELi64ELi256ELb1ELi11EL8MFMAType1EEvPKT_PKT0_S9_ifPKiSB_SB_iPKfiiiPfSE_PS4_PT2_iSD_SD_.kd
    .uniform_work_group_size: 1
    .uses_dynamic_stack: false
    .vgpr_count:     45
    .vgpr_spill_count: 0
    .wavefront_size: 64
  - .agpr_count:     1
    .args:
      - .actual_access:  read_only
        .address_space:  global
        .offset:         0
        .size:           8
        .value_kind:     global_buffer
      - .actual_access:  read_only
        .address_space:  global
        .offset:         8
        .size:           8
        .value_kind:     global_buffer
      - .actual_access:  read_only
        .address_space:  global
        .offset:         16
        .size:           8
        .value_kind:     global_buffer
      - .offset:         24
        .size:           4
        .value_kind:     by_value
      - .offset:         28
        .size:           4
        .value_kind:     by_value
      - .actual_access:  read_only
        .address_space:  global
        .offset:         32
        .size:           8
        .value_kind:     global_buffer
      - .actual_access:  read_only
        .address_space:  global
        .offset:         40
        .size:           8
        .value_kind:     global_buffer
      - .actual_access:  read_only
        .address_space:  global
        .offset:         48
        .size:           8
        .value_kind:     global_buffer
      - .offset:         56
        .size:           4
        .value_kind:     by_value
      - .actual_access:  read_only
        .address_space:  global
        .offset:         64
        .size:           8
        .value_kind:     global_buffer
      - .offset:         72
        .size:           4
        .value_kind:     by_value
      - .offset:         76
        .size:           4
        .value_kind:     by_value
      - .offset:         80
        .size:           4
        .value_kind:     by_value
      - .actual_access:  read_only
        .address_space:  global
        .offset:         88
        .size:           8
        .value_kind:     global_buffer
      - .actual_access:  read_only
        .address_space:  global
        .offset:         96
        .size:           8
        .value_kind:     global_buffer
      - .actual_access:  read_only
        .address_space:  global
        .offset:         104
        .size:           8
        .value_kind:     global_buffer
      - .actual_access:  read_only
        .address_space:  global
        .offset:         112
        .size:           8
        .value_kind:     global_buffer
      - .offset:         120
        .size:           4
        .value_kind:     by_value
      - .address_space:  global
        .offset:         128
        .size:           8
        .value_kind:     global_buffer
      - .address_space:  global
        .offset:         136
        .size:           8
        .value_kind:     global_buffer
      - .offset:         144
        .size:           4
        .value_kind:     hidden_block_count_x
      - .offset:         148
        .size:           4
        .value_kind:     hidden_block_count_y
      - .offset:         152
        .size:           4
        .value_kind:     hidden_block_count_z
      - .offset:         156
        .size:           2
        .value_kind:     hidden_group_size_x
      - .offset:         158
        .size:           2
        .value_kind:     hidden_group_size_y
      - .offset:         160
        .size:           2
        .value_kind:     hidden_group_size_z
      - .offset:         162
        .size:           2
        .value_kind:     hidden_remainder_x
      - .offset:         164
        .size:           2
        .value_kind:     hidden_remainder_y
      - .offset:         166
        .size:           2
        .value_kind:     hidden_remainder_z
      - .offset:         184
        .size:           8
        .value_kind:     hidden_global_offset_x
      - .offset:         192
        .size:           8
        .value_kind:     hidden_global_offset_y
      - .offset:         200
        .size:           8
        .value_kind:     hidden_global_offset_z
      - .offset:         208
        .size:           2
        .value_kind:     hidden_grid_dims
      - .offset:         224
        .size:           8
        .value_kind:     hidden_hostcall_buffer
    .group_segment_fixed_size: 8192
    .kernarg_segment_align: 8
    .kernarg_segment_size: 400
    .language:       OpenCL C
    .language_version:
      - 2
      - 0
    .max_flat_workgroup_size: 256
    .name:           _Z39paged_attention_ll4mi_QKV_mfma16_kernelI14__hip_bfloat16hLN4vllm18Fp8KVCacheDataTypeE1ES0_Li16ELi64ELi256ELb1ELi12EL8MFMAType1EEvPKT_PKT0_S9_ifPKiSB_SB_iPKfiiiPfSE_PS4_PT2_iSD_SD_
    .private_segment_fixed_size: 64
    .sgpr_count:     40
    .sgpr_spill_count: 0
    .symbol:         _Z39paged_attention_ll4mi_QKV_mfma16_kernelI14__hip_bfloat16hLN4vllm18Fp8KVCacheDataTypeE1ES0_Li16ELi64ELi256ELb1ELi12EL8MFMAType1EEvPKT_PKT0_S9_ifPKiSB_SB_iPKfiiiPfSE_PS4_PT2_iSD_SD_.kd
    .uniform_work_group_size: 1
    .uses_dynamic_stack: false
    .vgpr_count:     45
    .vgpr_spill_count: 0
    .wavefront_size: 64
  - .agpr_count:     1
    .args:
      - .actual_access:  read_only
        .address_space:  global
        .offset:         0
        .size:           8
        .value_kind:     global_buffer
      - .actual_access:  read_only
        .address_space:  global
        .offset:         8
        .size:           8
        .value_kind:     global_buffer
      - .actual_access:  read_only
        .address_space:  global
        .offset:         16
        .size:           8
        .value_kind:     global_buffer
      - .offset:         24
        .size:           4
        .value_kind:     by_value
      - .offset:         28
        .size:           4
        .value_kind:     by_value
      - .actual_access:  read_only
        .address_space:  global
        .offset:         32
        .size:           8
        .value_kind:     global_buffer
      - .actual_access:  read_only
        .address_space:  global
        .offset:         40
        .size:           8
        .value_kind:     global_buffer
      - .actual_access:  read_only
        .address_space:  global
        .offset:         48
        .size:           8
        .value_kind:     global_buffer
      - .offset:         56
        .size:           4
        .value_kind:     by_value
      - .actual_access:  read_only
        .address_space:  global
        .offset:         64
        .size:           8
        .value_kind:     global_buffer
      - .offset:         72
        .size:           4
        .value_kind:     by_value
      - .offset:         76
        .size:           4
        .value_kind:     by_value
      - .offset:         80
        .size:           4
        .value_kind:     by_value
      - .actual_access:  read_only
        .address_space:  global
        .offset:         88
        .size:           8
        .value_kind:     global_buffer
      - .actual_access:  read_only
        .address_space:  global
        .offset:         96
        .size:           8
        .value_kind:     global_buffer
      - .actual_access:  read_only
        .address_space:  global
        .offset:         104
        .size:           8
        .value_kind:     global_buffer
      - .actual_access:  read_only
        .address_space:  global
        .offset:         112
        .size:           8
        .value_kind:     global_buffer
      - .offset:         120
        .size:           4
        .value_kind:     by_value
      - .address_space:  global
        .offset:         128
        .size:           8
        .value_kind:     global_buffer
      - .address_space:  global
        .offset:         136
        .size:           8
        .value_kind:     global_buffer
      - .offset:         144
        .size:           4
        .value_kind:     hidden_block_count_x
      - .offset:         148
        .size:           4
        .value_kind:     hidden_block_count_y
      - .offset:         152
        .size:           4
        .value_kind:     hidden_block_count_z
      - .offset:         156
        .size:           2
        .value_kind:     hidden_group_size_x
      - .offset:         158
        .size:           2
        .value_kind:     hidden_group_size_y
      - .offset:         160
        .size:           2
        .value_kind:     hidden_group_size_z
      - .offset:         162
        .size:           2
        .value_kind:     hidden_remainder_x
      - .offset:         164
        .size:           2
        .value_kind:     hidden_remainder_y
      - .offset:         166
        .size:           2
        .value_kind:     hidden_remainder_z
      - .offset:         184
        .size:           8
        .value_kind:     hidden_global_offset_x
      - .offset:         192
        .size:           8
        .value_kind:     hidden_global_offset_y
      - .offset:         200
        .size:           8
        .value_kind:     hidden_global_offset_z
      - .offset:         208
        .size:           2
        .value_kind:     hidden_grid_dims
      - .offset:         224
        .size:           8
        .value_kind:     hidden_hostcall_buffer
    .group_segment_fixed_size: 8192
    .kernarg_segment_align: 8
    .kernarg_segment_size: 400
    .language:       OpenCL C
    .language_version:
      - 2
      - 0
    .max_flat_workgroup_size: 256
    .name:           _Z39paged_attention_ll4mi_QKV_mfma16_kernelI14__hip_bfloat16hLN4vllm18Fp8KVCacheDataTypeE1ES0_Li16ELi64ELi256ELb1ELi13EL8MFMAType1EEvPKT_PKT0_S9_ifPKiSB_SB_iPKfiiiPfSE_PS4_PT2_iSD_SD_
    .private_segment_fixed_size: 64
    .sgpr_count:     40
    .sgpr_spill_count: 0
    .symbol:         _Z39paged_attention_ll4mi_QKV_mfma16_kernelI14__hip_bfloat16hLN4vllm18Fp8KVCacheDataTypeE1ES0_Li16ELi64ELi256ELb1ELi13EL8MFMAType1EEvPKT_PKT0_S9_ifPKiSB_SB_iPKfiiiPfSE_PS4_PT2_iSD_SD_.kd
    .uniform_work_group_size: 1
    .uses_dynamic_stack: false
    .vgpr_count:     45
    .vgpr_spill_count: 0
    .wavefront_size: 64
  - .agpr_count:     1
    .args:
      - .actual_access:  read_only
        .address_space:  global
        .offset:         0
        .size:           8
        .value_kind:     global_buffer
      - .actual_access:  read_only
        .address_space:  global
        .offset:         8
        .size:           8
        .value_kind:     global_buffer
      - .actual_access:  read_only
        .address_space:  global
        .offset:         16
        .size:           8
        .value_kind:     global_buffer
      - .offset:         24
        .size:           4
        .value_kind:     by_value
      - .offset:         28
        .size:           4
        .value_kind:     by_value
      - .actual_access:  read_only
        .address_space:  global
        .offset:         32
        .size:           8
        .value_kind:     global_buffer
      - .actual_access:  read_only
        .address_space:  global
        .offset:         40
        .size:           8
        .value_kind:     global_buffer
      - .actual_access:  read_only
        .address_space:  global
        .offset:         48
        .size:           8
        .value_kind:     global_buffer
      - .offset:         56
        .size:           4
        .value_kind:     by_value
      - .actual_access:  read_only
        .address_space:  global
        .offset:         64
        .size:           8
        .value_kind:     global_buffer
      - .offset:         72
        .size:           4
        .value_kind:     by_value
      - .offset:         76
        .size:           4
        .value_kind:     by_value
      - .offset:         80
        .size:           4
        .value_kind:     by_value
      - .actual_access:  read_only
        .address_space:  global
        .offset:         88
        .size:           8
        .value_kind:     global_buffer
      - .actual_access:  read_only
        .address_space:  global
        .offset:         96
        .size:           8
        .value_kind:     global_buffer
      - .actual_access:  read_only
        .address_space:  global
        .offset:         104
        .size:           8
        .value_kind:     global_buffer
      - .actual_access:  read_only
        .address_space:  global
        .offset:         112
        .size:           8
        .value_kind:     global_buffer
      - .offset:         120
        .size:           4
        .value_kind:     by_value
      - .address_space:  global
        .offset:         128
        .size:           8
        .value_kind:     global_buffer
      - .address_space:  global
        .offset:         136
        .size:           8
        .value_kind:     global_buffer
      - .offset:         144
        .size:           4
        .value_kind:     hidden_block_count_x
      - .offset:         148
        .size:           4
        .value_kind:     hidden_block_count_y
      - .offset:         152
        .size:           4
        .value_kind:     hidden_block_count_z
      - .offset:         156
        .size:           2
        .value_kind:     hidden_group_size_x
      - .offset:         158
        .size:           2
        .value_kind:     hidden_group_size_y
      - .offset:         160
        .size:           2
        .value_kind:     hidden_group_size_z
      - .offset:         162
        .size:           2
        .value_kind:     hidden_remainder_x
      - .offset:         164
        .size:           2
        .value_kind:     hidden_remainder_y
      - .offset:         166
        .size:           2
        .value_kind:     hidden_remainder_z
      - .offset:         184
        .size:           8
        .value_kind:     hidden_global_offset_x
      - .offset:         192
        .size:           8
        .value_kind:     hidden_global_offset_y
      - .offset:         200
        .size:           8
        .value_kind:     hidden_global_offset_z
      - .offset:         208
        .size:           2
        .value_kind:     hidden_grid_dims
      - .offset:         224
        .size:           8
        .value_kind:     hidden_hostcall_buffer
    .group_segment_fixed_size: 8192
    .kernarg_segment_align: 8
    .kernarg_segment_size: 400
    .language:       OpenCL C
    .language_version:
      - 2
      - 0
    .max_flat_workgroup_size: 256
    .name:           _Z39paged_attention_ll4mi_QKV_mfma16_kernelI14__hip_bfloat16hLN4vllm18Fp8KVCacheDataTypeE1ES0_Li16ELi64ELi256ELb1ELi14EL8MFMAType1EEvPKT_PKT0_S9_ifPKiSB_SB_iPKfiiiPfSE_PS4_PT2_iSD_SD_
    .private_segment_fixed_size: 64
    .sgpr_count:     40
    .sgpr_spill_count: 0
    .symbol:         _Z39paged_attention_ll4mi_QKV_mfma16_kernelI14__hip_bfloat16hLN4vllm18Fp8KVCacheDataTypeE1ES0_Li16ELi64ELi256ELb1ELi14EL8MFMAType1EEvPKT_PKT0_S9_ifPKiSB_SB_iPKfiiiPfSE_PS4_PT2_iSD_SD_.kd
    .uniform_work_group_size: 1
    .uses_dynamic_stack: false
    .vgpr_count:     45
    .vgpr_spill_count: 0
    .wavefront_size: 64
  - .agpr_count:     1
    .args:
      - .actual_access:  read_only
        .address_space:  global
        .offset:         0
        .size:           8
        .value_kind:     global_buffer
      - .actual_access:  read_only
        .address_space:  global
        .offset:         8
        .size:           8
        .value_kind:     global_buffer
      - .actual_access:  read_only
        .address_space:  global
        .offset:         16
        .size:           8
        .value_kind:     global_buffer
      - .offset:         24
        .size:           4
        .value_kind:     by_value
      - .offset:         28
        .size:           4
        .value_kind:     by_value
      - .actual_access:  read_only
        .address_space:  global
        .offset:         32
        .size:           8
        .value_kind:     global_buffer
      - .actual_access:  read_only
        .address_space:  global
        .offset:         40
        .size:           8
        .value_kind:     global_buffer
      - .actual_access:  read_only
        .address_space:  global
        .offset:         48
        .size:           8
        .value_kind:     global_buffer
      - .offset:         56
        .size:           4
        .value_kind:     by_value
      - .actual_access:  read_only
        .address_space:  global
        .offset:         64
        .size:           8
        .value_kind:     global_buffer
      - .offset:         72
        .size:           4
        .value_kind:     by_value
      - .offset:         76
        .size:           4
        .value_kind:     by_value
      - .offset:         80
        .size:           4
        .value_kind:     by_value
      - .actual_access:  read_only
        .address_space:  global
        .offset:         88
        .size:           8
        .value_kind:     global_buffer
      - .actual_access:  read_only
        .address_space:  global
        .offset:         96
        .size:           8
        .value_kind:     global_buffer
      - .actual_access:  read_only
        .address_space:  global
        .offset:         104
        .size:           8
        .value_kind:     global_buffer
      - .actual_access:  read_only
        .address_space:  global
        .offset:         112
        .size:           8
        .value_kind:     global_buffer
      - .offset:         120
        .size:           4
        .value_kind:     by_value
      - .address_space:  global
        .offset:         128
        .size:           8
        .value_kind:     global_buffer
      - .address_space:  global
        .offset:         136
        .size:           8
        .value_kind:     global_buffer
      - .offset:         144
        .size:           4
        .value_kind:     hidden_block_count_x
      - .offset:         148
        .size:           4
        .value_kind:     hidden_block_count_y
      - .offset:         152
        .size:           4
        .value_kind:     hidden_block_count_z
      - .offset:         156
        .size:           2
        .value_kind:     hidden_group_size_x
      - .offset:         158
        .size:           2
        .value_kind:     hidden_group_size_y
      - .offset:         160
        .size:           2
        .value_kind:     hidden_group_size_z
      - .offset:         162
        .size:           2
        .value_kind:     hidden_remainder_x
      - .offset:         164
        .size:           2
        .value_kind:     hidden_remainder_y
      - .offset:         166
        .size:           2
        .value_kind:     hidden_remainder_z
      - .offset:         184
        .size:           8
        .value_kind:     hidden_global_offset_x
      - .offset:         192
        .size:           8
        .value_kind:     hidden_global_offset_y
      - .offset:         200
        .size:           8
        .value_kind:     hidden_global_offset_z
      - .offset:         208
        .size:           2
        .value_kind:     hidden_grid_dims
      - .offset:         224
        .size:           8
        .value_kind:     hidden_hostcall_buffer
    .group_segment_fixed_size: 8192
    .kernarg_segment_align: 8
    .kernarg_segment_size: 400
    .language:       OpenCL C
    .language_version:
      - 2
      - 0
    .max_flat_workgroup_size: 256
    .name:           _Z39paged_attention_ll4mi_QKV_mfma16_kernelI14__hip_bfloat16hLN4vllm18Fp8KVCacheDataTypeE1ES0_Li16ELi64ELi256ELb1ELi15EL8MFMAType1EEvPKT_PKT0_S9_ifPKiSB_SB_iPKfiiiPfSE_PS4_PT2_iSD_SD_
    .private_segment_fixed_size: 64
    .sgpr_count:     40
    .sgpr_spill_count: 0
    .symbol:         _Z39paged_attention_ll4mi_QKV_mfma16_kernelI14__hip_bfloat16hLN4vllm18Fp8KVCacheDataTypeE1ES0_Li16ELi64ELi256ELb1ELi15EL8MFMAType1EEvPKT_PKT0_S9_ifPKiSB_SB_iPKfiiiPfSE_PS4_PT2_iSD_SD_.kd
    .uniform_work_group_size: 1
    .uses_dynamic_stack: false
    .vgpr_count:     45
    .vgpr_spill_count: 0
    .wavefront_size: 64
  - .agpr_count:     1
    .args:
      - .actual_access:  read_only
        .address_space:  global
        .offset:         0
        .size:           8
        .value_kind:     global_buffer
      - .actual_access:  read_only
        .address_space:  global
        .offset:         8
        .size:           8
        .value_kind:     global_buffer
      - .actual_access:  read_only
        .address_space:  global
        .offset:         16
        .size:           8
        .value_kind:     global_buffer
      - .offset:         24
        .size:           4
        .value_kind:     by_value
      - .offset:         28
        .size:           4
        .value_kind:     by_value
      - .actual_access:  read_only
        .address_space:  global
        .offset:         32
        .size:           8
        .value_kind:     global_buffer
      - .actual_access:  read_only
        .address_space:  global
        .offset:         40
        .size:           8
        .value_kind:     global_buffer
      - .actual_access:  read_only
        .address_space:  global
        .offset:         48
        .size:           8
        .value_kind:     global_buffer
      - .offset:         56
        .size:           4
        .value_kind:     by_value
      - .actual_access:  read_only
        .address_space:  global
        .offset:         64
        .size:           8
        .value_kind:     global_buffer
      - .offset:         72
        .size:           4
        .value_kind:     by_value
      - .offset:         76
        .size:           4
        .value_kind:     by_value
      - .offset:         80
        .size:           4
        .value_kind:     by_value
      - .actual_access:  read_only
        .address_space:  global
        .offset:         88
        .size:           8
        .value_kind:     global_buffer
      - .actual_access:  read_only
        .address_space:  global
        .offset:         96
        .size:           8
        .value_kind:     global_buffer
      - .actual_access:  read_only
        .address_space:  global
        .offset:         104
        .size:           8
        .value_kind:     global_buffer
      - .actual_access:  read_only
        .address_space:  global
        .offset:         112
        .size:           8
        .value_kind:     global_buffer
      - .offset:         120
        .size:           4
        .value_kind:     by_value
      - .address_space:  global
        .offset:         128
        .size:           8
        .value_kind:     global_buffer
      - .address_space:  global
        .offset:         136
        .size:           8
        .value_kind:     global_buffer
      - .offset:         144
        .size:           4
        .value_kind:     hidden_block_count_x
      - .offset:         148
        .size:           4
        .value_kind:     hidden_block_count_y
      - .offset:         152
        .size:           4
        .value_kind:     hidden_block_count_z
      - .offset:         156
        .size:           2
        .value_kind:     hidden_group_size_x
      - .offset:         158
        .size:           2
        .value_kind:     hidden_group_size_y
      - .offset:         160
        .size:           2
        .value_kind:     hidden_group_size_z
      - .offset:         162
        .size:           2
        .value_kind:     hidden_remainder_x
      - .offset:         164
        .size:           2
        .value_kind:     hidden_remainder_y
      - .offset:         166
        .size:           2
        .value_kind:     hidden_remainder_z
      - .offset:         184
        .size:           8
        .value_kind:     hidden_global_offset_x
      - .offset:         192
        .size:           8
        .value_kind:     hidden_global_offset_y
      - .offset:         200
        .size:           8
        .value_kind:     hidden_global_offset_z
      - .offset:         208
        .size:           2
        .value_kind:     hidden_grid_dims
      - .offset:         224
        .size:           8
        .value_kind:     hidden_hostcall_buffer
    .group_segment_fixed_size: 8192
    .kernarg_segment_align: 8
    .kernarg_segment_size: 400
    .language:       OpenCL C
    .language_version:
      - 2
      - 0
    .max_flat_workgroup_size: 256
    .name:           _Z39paged_attention_ll4mi_QKV_mfma16_kernelI14__hip_bfloat16hLN4vllm18Fp8KVCacheDataTypeE1ES0_Li16ELi64ELi256ELb1ELi16EL8MFMAType1EEvPKT_PKT0_S9_ifPKiSB_SB_iPKfiiiPfSE_PS4_PT2_iSD_SD_
    .private_segment_fixed_size: 64
    .sgpr_count:     40
    .sgpr_spill_count: 0
    .symbol:         _Z39paged_attention_ll4mi_QKV_mfma16_kernelI14__hip_bfloat16hLN4vllm18Fp8KVCacheDataTypeE1ES0_Li16ELi64ELi256ELb1ELi16EL8MFMAType1EEvPKT_PKT0_S9_ifPKiSB_SB_iPKfiiiPfSE_PS4_PT2_iSD_SD_.kd
    .uniform_work_group_size: 1
    .uses_dynamic_stack: false
    .vgpr_count:     45
    .vgpr_spill_count: 0
    .wavefront_size: 64
  - .agpr_count:     1
    .args:
      - .actual_access:  read_only
        .address_space:  global
        .offset:         0
        .size:           8
        .value_kind:     global_buffer
      - .actual_access:  read_only
        .address_space:  global
        .offset:         8
        .size:           8
        .value_kind:     global_buffer
      - .actual_access:  read_only
        .address_space:  global
        .offset:         16
        .size:           8
        .value_kind:     global_buffer
      - .offset:         24
        .size:           4
        .value_kind:     by_value
      - .offset:         28
        .size:           4
        .value_kind:     by_value
      - .actual_access:  read_only
        .address_space:  global
        .offset:         32
        .size:           8
        .value_kind:     global_buffer
      - .actual_access:  read_only
        .address_space:  global
        .offset:         40
        .size:           8
        .value_kind:     global_buffer
      - .actual_access:  read_only
        .address_space:  global
        .offset:         48
        .size:           8
        .value_kind:     global_buffer
      - .offset:         56
        .size:           4
        .value_kind:     by_value
      - .actual_access:  read_only
        .address_space:  global
        .offset:         64
        .size:           8
        .value_kind:     global_buffer
      - .offset:         72
        .size:           4
        .value_kind:     by_value
      - .offset:         76
        .size:           4
        .value_kind:     by_value
      - .offset:         80
        .size:           4
        .value_kind:     by_value
      - .actual_access:  read_only
        .address_space:  global
        .offset:         88
        .size:           8
        .value_kind:     global_buffer
      - .actual_access:  read_only
        .address_space:  global
        .offset:         96
        .size:           8
        .value_kind:     global_buffer
      - .actual_access:  read_only
        .address_space:  global
        .offset:         104
        .size:           8
        .value_kind:     global_buffer
      - .actual_access:  read_only
        .address_space:  global
        .offset:         112
        .size:           8
        .value_kind:     global_buffer
      - .offset:         120
        .size:           4
        .value_kind:     by_value
      - .address_space:  global
        .offset:         128
        .size:           8
        .value_kind:     global_buffer
      - .address_space:  global
        .offset:         136
        .size:           8
        .value_kind:     global_buffer
      - .offset:         144
        .size:           4
        .value_kind:     hidden_block_count_x
      - .offset:         148
        .size:           4
        .value_kind:     hidden_block_count_y
      - .offset:         152
        .size:           4
        .value_kind:     hidden_block_count_z
      - .offset:         156
        .size:           2
        .value_kind:     hidden_group_size_x
      - .offset:         158
        .size:           2
        .value_kind:     hidden_group_size_y
      - .offset:         160
        .size:           2
        .value_kind:     hidden_group_size_z
      - .offset:         162
        .size:           2
        .value_kind:     hidden_remainder_x
      - .offset:         164
        .size:           2
        .value_kind:     hidden_remainder_y
      - .offset:         166
        .size:           2
        .value_kind:     hidden_remainder_z
      - .offset:         184
        .size:           8
        .value_kind:     hidden_global_offset_x
      - .offset:         192
        .size:           8
        .value_kind:     hidden_global_offset_y
      - .offset:         200
        .size:           8
        .value_kind:     hidden_global_offset_z
      - .offset:         208
        .size:           2
        .value_kind:     hidden_grid_dims
      - .offset:         224
        .size:           8
        .value_kind:     hidden_hostcall_buffer
    .group_segment_fixed_size: 8192
    .kernarg_segment_align: 8
    .kernarg_segment_size: 400
    .language:       OpenCL C
    .language_version:
      - 2
      - 0
    .max_flat_workgroup_size: 256
    .name:           _Z39paged_attention_ll4mi_QKV_mfma16_kernelI14__hip_bfloat16hLN4vllm18Fp8KVCacheDataTypeE1ES0_Li16ELi64ELi256ELb1ELi1EL8MFMAType1EEvPKT_PKT0_S9_ifPKiSB_SB_iPKfiiiPfSE_PS4_PT2_iSD_SD_
    .private_segment_fixed_size: 64
    .sgpr_count:     40
    .sgpr_spill_count: 0
    .symbol:         _Z39paged_attention_ll4mi_QKV_mfma16_kernelI14__hip_bfloat16hLN4vllm18Fp8KVCacheDataTypeE1ES0_Li16ELi64ELi256ELb1ELi1EL8MFMAType1EEvPKT_PKT0_S9_ifPKiSB_SB_iPKfiiiPfSE_PS4_PT2_iSD_SD_.kd
    .uniform_work_group_size: 1
    .uses_dynamic_stack: false
    .vgpr_count:     45
    .vgpr_spill_count: 0
    .wavefront_size: 64
  - .agpr_count:     1
    .args:
      - .actual_access:  read_only
        .address_space:  global
        .offset:         0
        .size:           8
        .value_kind:     global_buffer
      - .actual_access:  read_only
        .address_space:  global
        .offset:         8
        .size:           8
        .value_kind:     global_buffer
      - .actual_access:  read_only
        .address_space:  global
        .offset:         16
        .size:           8
        .value_kind:     global_buffer
      - .offset:         24
        .size:           4
        .value_kind:     by_value
      - .offset:         28
        .size:           4
        .value_kind:     by_value
      - .actual_access:  read_only
        .address_space:  global
        .offset:         32
        .size:           8
        .value_kind:     global_buffer
      - .actual_access:  read_only
        .address_space:  global
        .offset:         40
        .size:           8
        .value_kind:     global_buffer
      - .actual_access:  read_only
        .address_space:  global
        .offset:         48
        .size:           8
        .value_kind:     global_buffer
      - .offset:         56
        .size:           4
        .value_kind:     by_value
      - .actual_access:  read_only
        .address_space:  global
        .offset:         64
        .size:           8
        .value_kind:     global_buffer
      - .offset:         72
        .size:           4
        .value_kind:     by_value
      - .offset:         76
        .size:           4
        .value_kind:     by_value
      - .offset:         80
        .size:           4
        .value_kind:     by_value
      - .actual_access:  read_only
        .address_space:  global
        .offset:         88
        .size:           8
        .value_kind:     global_buffer
      - .actual_access:  read_only
        .address_space:  global
        .offset:         96
        .size:           8
        .value_kind:     global_buffer
      - .actual_access:  read_only
        .address_space:  global
        .offset:         104
        .size:           8
        .value_kind:     global_buffer
      - .actual_access:  read_only
        .address_space:  global
        .offset:         112
        .size:           8
        .value_kind:     global_buffer
      - .offset:         120
        .size:           4
        .value_kind:     by_value
      - .address_space:  global
        .offset:         128
        .size:           8
        .value_kind:     global_buffer
      - .address_space:  global
        .offset:         136
        .size:           8
        .value_kind:     global_buffer
      - .offset:         144
        .size:           4
        .value_kind:     hidden_block_count_x
      - .offset:         148
        .size:           4
        .value_kind:     hidden_block_count_y
      - .offset:         152
        .size:           4
        .value_kind:     hidden_block_count_z
      - .offset:         156
        .size:           2
        .value_kind:     hidden_group_size_x
      - .offset:         158
        .size:           2
        .value_kind:     hidden_group_size_y
      - .offset:         160
        .size:           2
        .value_kind:     hidden_group_size_z
      - .offset:         162
        .size:           2
        .value_kind:     hidden_remainder_x
      - .offset:         164
        .size:           2
        .value_kind:     hidden_remainder_y
      - .offset:         166
        .size:           2
        .value_kind:     hidden_remainder_z
      - .offset:         184
        .size:           8
        .value_kind:     hidden_global_offset_x
      - .offset:         192
        .size:           8
        .value_kind:     hidden_global_offset_y
      - .offset:         200
        .size:           8
        .value_kind:     hidden_global_offset_z
      - .offset:         208
        .size:           2
        .value_kind:     hidden_grid_dims
      - .offset:         224
        .size:           8
        .value_kind:     hidden_hostcall_buffer
    .group_segment_fixed_size: 8192
    .kernarg_segment_align: 8
    .kernarg_segment_size: 400
    .language:       OpenCL C
    .language_version:
      - 2
      - 0
    .max_flat_workgroup_size: 256
    .name:           _Z39paged_attention_ll4mi_QKV_mfma16_kernelI14__hip_bfloat16hLN4vllm18Fp8KVCacheDataTypeE1ES0_Li16ELi64ELi256ELb1ELi2EL8MFMAType1EEvPKT_PKT0_S9_ifPKiSB_SB_iPKfiiiPfSE_PS4_PT2_iSD_SD_
    .private_segment_fixed_size: 64
    .sgpr_count:     40
    .sgpr_spill_count: 0
    .symbol:         _Z39paged_attention_ll4mi_QKV_mfma16_kernelI14__hip_bfloat16hLN4vllm18Fp8KVCacheDataTypeE1ES0_Li16ELi64ELi256ELb1ELi2EL8MFMAType1EEvPKT_PKT0_S9_ifPKiSB_SB_iPKfiiiPfSE_PS4_PT2_iSD_SD_.kd
    .uniform_work_group_size: 1
    .uses_dynamic_stack: false
    .vgpr_count:     45
    .vgpr_spill_count: 0
    .wavefront_size: 64
  - .agpr_count:     1
    .args:
      - .actual_access:  read_only
        .address_space:  global
        .offset:         0
        .size:           8
        .value_kind:     global_buffer
      - .actual_access:  read_only
        .address_space:  global
        .offset:         8
        .size:           8
        .value_kind:     global_buffer
      - .actual_access:  read_only
        .address_space:  global
        .offset:         16
        .size:           8
        .value_kind:     global_buffer
      - .offset:         24
        .size:           4
        .value_kind:     by_value
      - .offset:         28
        .size:           4
        .value_kind:     by_value
      - .actual_access:  read_only
        .address_space:  global
        .offset:         32
        .size:           8
        .value_kind:     global_buffer
      - .actual_access:  read_only
        .address_space:  global
        .offset:         40
        .size:           8
        .value_kind:     global_buffer
      - .actual_access:  read_only
        .address_space:  global
        .offset:         48
        .size:           8
        .value_kind:     global_buffer
      - .offset:         56
        .size:           4
        .value_kind:     by_value
      - .actual_access:  read_only
        .address_space:  global
        .offset:         64
        .size:           8
        .value_kind:     global_buffer
      - .offset:         72
        .size:           4
        .value_kind:     by_value
      - .offset:         76
        .size:           4
        .value_kind:     by_value
      - .offset:         80
        .size:           4
        .value_kind:     by_value
      - .actual_access:  read_only
        .address_space:  global
        .offset:         88
        .size:           8
        .value_kind:     global_buffer
      - .actual_access:  read_only
        .address_space:  global
        .offset:         96
        .size:           8
        .value_kind:     global_buffer
      - .actual_access:  read_only
        .address_space:  global
        .offset:         104
        .size:           8
        .value_kind:     global_buffer
      - .actual_access:  read_only
        .address_space:  global
        .offset:         112
        .size:           8
        .value_kind:     global_buffer
      - .offset:         120
        .size:           4
        .value_kind:     by_value
      - .address_space:  global
        .offset:         128
        .size:           8
        .value_kind:     global_buffer
      - .address_space:  global
        .offset:         136
        .size:           8
        .value_kind:     global_buffer
      - .offset:         144
        .size:           4
        .value_kind:     hidden_block_count_x
      - .offset:         148
        .size:           4
        .value_kind:     hidden_block_count_y
      - .offset:         152
        .size:           4
        .value_kind:     hidden_block_count_z
      - .offset:         156
        .size:           2
        .value_kind:     hidden_group_size_x
      - .offset:         158
        .size:           2
        .value_kind:     hidden_group_size_y
      - .offset:         160
        .size:           2
        .value_kind:     hidden_group_size_z
      - .offset:         162
        .size:           2
        .value_kind:     hidden_remainder_x
      - .offset:         164
        .size:           2
        .value_kind:     hidden_remainder_y
      - .offset:         166
        .size:           2
        .value_kind:     hidden_remainder_z
      - .offset:         184
        .size:           8
        .value_kind:     hidden_global_offset_x
      - .offset:         192
        .size:           8
        .value_kind:     hidden_global_offset_y
      - .offset:         200
        .size:           8
        .value_kind:     hidden_global_offset_z
      - .offset:         208
        .size:           2
        .value_kind:     hidden_grid_dims
      - .offset:         224
        .size:           8
        .value_kind:     hidden_hostcall_buffer
    .group_segment_fixed_size: 8192
    .kernarg_segment_align: 8
    .kernarg_segment_size: 400
    .language:       OpenCL C
    .language_version:
      - 2
      - 0
    .max_flat_workgroup_size: 256
    .name:           _Z39paged_attention_ll4mi_QKV_mfma16_kernelI14__hip_bfloat16hLN4vllm18Fp8KVCacheDataTypeE1ES0_Li16ELi64ELi256ELb1ELi3EL8MFMAType1EEvPKT_PKT0_S9_ifPKiSB_SB_iPKfiiiPfSE_PS4_PT2_iSD_SD_
    .private_segment_fixed_size: 64
    .sgpr_count:     40
    .sgpr_spill_count: 0
    .symbol:         _Z39paged_attention_ll4mi_QKV_mfma16_kernelI14__hip_bfloat16hLN4vllm18Fp8KVCacheDataTypeE1ES0_Li16ELi64ELi256ELb1ELi3EL8MFMAType1EEvPKT_PKT0_S9_ifPKiSB_SB_iPKfiiiPfSE_PS4_PT2_iSD_SD_.kd
    .uniform_work_group_size: 1
    .uses_dynamic_stack: false
    .vgpr_count:     45
    .vgpr_spill_count: 0
    .wavefront_size: 64
  - .agpr_count:     1
    .args:
      - .actual_access:  read_only
        .address_space:  global
        .offset:         0
        .size:           8
        .value_kind:     global_buffer
      - .actual_access:  read_only
        .address_space:  global
        .offset:         8
        .size:           8
        .value_kind:     global_buffer
      - .actual_access:  read_only
        .address_space:  global
        .offset:         16
        .size:           8
        .value_kind:     global_buffer
      - .offset:         24
        .size:           4
        .value_kind:     by_value
      - .offset:         28
        .size:           4
        .value_kind:     by_value
      - .actual_access:  read_only
        .address_space:  global
        .offset:         32
        .size:           8
        .value_kind:     global_buffer
      - .actual_access:  read_only
        .address_space:  global
        .offset:         40
        .size:           8
        .value_kind:     global_buffer
      - .actual_access:  read_only
        .address_space:  global
        .offset:         48
        .size:           8
        .value_kind:     global_buffer
      - .offset:         56
        .size:           4
        .value_kind:     by_value
      - .actual_access:  read_only
        .address_space:  global
        .offset:         64
        .size:           8
        .value_kind:     global_buffer
      - .offset:         72
        .size:           4
        .value_kind:     by_value
      - .offset:         76
        .size:           4
        .value_kind:     by_value
      - .offset:         80
        .size:           4
        .value_kind:     by_value
      - .actual_access:  read_only
        .address_space:  global
        .offset:         88
        .size:           8
        .value_kind:     global_buffer
      - .actual_access:  read_only
        .address_space:  global
        .offset:         96
        .size:           8
        .value_kind:     global_buffer
      - .actual_access:  read_only
        .address_space:  global
        .offset:         104
        .size:           8
        .value_kind:     global_buffer
      - .actual_access:  read_only
        .address_space:  global
        .offset:         112
        .size:           8
        .value_kind:     global_buffer
      - .offset:         120
        .size:           4
        .value_kind:     by_value
      - .address_space:  global
        .offset:         128
        .size:           8
        .value_kind:     global_buffer
      - .address_space:  global
        .offset:         136
        .size:           8
        .value_kind:     global_buffer
      - .offset:         144
        .size:           4
        .value_kind:     hidden_block_count_x
      - .offset:         148
        .size:           4
        .value_kind:     hidden_block_count_y
      - .offset:         152
        .size:           4
        .value_kind:     hidden_block_count_z
      - .offset:         156
        .size:           2
        .value_kind:     hidden_group_size_x
      - .offset:         158
        .size:           2
        .value_kind:     hidden_group_size_y
      - .offset:         160
        .size:           2
        .value_kind:     hidden_group_size_z
      - .offset:         162
        .size:           2
        .value_kind:     hidden_remainder_x
      - .offset:         164
        .size:           2
        .value_kind:     hidden_remainder_y
      - .offset:         166
        .size:           2
        .value_kind:     hidden_remainder_z
      - .offset:         184
        .size:           8
        .value_kind:     hidden_global_offset_x
      - .offset:         192
        .size:           8
        .value_kind:     hidden_global_offset_y
      - .offset:         200
        .size:           8
        .value_kind:     hidden_global_offset_z
      - .offset:         208
        .size:           2
        .value_kind:     hidden_grid_dims
      - .offset:         224
        .size:           8
        .value_kind:     hidden_hostcall_buffer
    .group_segment_fixed_size: 8192
    .kernarg_segment_align: 8
    .kernarg_segment_size: 400
    .language:       OpenCL C
    .language_version:
      - 2
      - 0
    .max_flat_workgroup_size: 256
    .name:           _Z39paged_attention_ll4mi_QKV_mfma16_kernelI14__hip_bfloat16hLN4vllm18Fp8KVCacheDataTypeE1ES0_Li16ELi64ELi256ELb1ELi4EL8MFMAType1EEvPKT_PKT0_S9_ifPKiSB_SB_iPKfiiiPfSE_PS4_PT2_iSD_SD_
    .private_segment_fixed_size: 64
    .sgpr_count:     40
    .sgpr_spill_count: 0
    .symbol:         _Z39paged_attention_ll4mi_QKV_mfma16_kernelI14__hip_bfloat16hLN4vllm18Fp8KVCacheDataTypeE1ES0_Li16ELi64ELi256ELb1ELi4EL8MFMAType1EEvPKT_PKT0_S9_ifPKiSB_SB_iPKfiiiPfSE_PS4_PT2_iSD_SD_.kd
    .uniform_work_group_size: 1
    .uses_dynamic_stack: false
    .vgpr_count:     45
    .vgpr_spill_count: 0
    .wavefront_size: 64
  - .agpr_count:     4
    .args:
      - .actual_access:  read_only
        .address_space:  global
        .offset:         0
        .size:           8
        .value_kind:     global_buffer
      - .actual_access:  read_only
        .address_space:  global
        .offset:         8
        .size:           8
        .value_kind:     global_buffer
      - .actual_access:  read_only
        .address_space:  global
        .offset:         16
        .size:           8
        .value_kind:     global_buffer
      - .offset:         24
        .size:           4
        .value_kind:     by_value
      - .offset:         28
        .size:           4
        .value_kind:     by_value
      - .actual_access:  read_only
        .address_space:  global
        .offset:         32
        .size:           8
        .value_kind:     global_buffer
      - .actual_access:  read_only
        .address_space:  global
        .offset:         40
        .size:           8
        .value_kind:     global_buffer
      - .actual_access:  read_only
        .address_space:  global
        .offset:         48
        .size:           8
        .value_kind:     global_buffer
      - .offset:         56
        .size:           4
        .value_kind:     by_value
      - .actual_access:  read_only
        .address_space:  global
        .offset:         64
        .size:           8
        .value_kind:     global_buffer
      - .offset:         72
        .size:           4
        .value_kind:     by_value
      - .offset:         76
        .size:           4
        .value_kind:     by_value
      - .offset:         80
        .size:           4
        .value_kind:     by_value
      - .actual_access:  write_only
        .address_space:  global
        .offset:         88
        .size:           8
        .value_kind:     global_buffer
      - .actual_access:  write_only
        .address_space:  global
        .offset:         96
        .size:           8
        .value_kind:     global_buffer
      - .actual_access:  write_only
        .address_space:  global
        .offset:         104
        .size:           8
        .value_kind:     global_buffer
      - .actual_access:  read_only
        .address_space:  global
        .offset:         112
        .size:           8
        .value_kind:     global_buffer
      - .offset:         120
        .size:           4
        .value_kind:     by_value
      - .address_space:  global
        .offset:         128
        .size:           8
        .value_kind:     global_buffer
      - .address_space:  global
        .offset:         136
        .size:           8
        .value_kind:     global_buffer
      - .offset:         144
        .size:           4
        .value_kind:     hidden_block_count_x
      - .offset:         148
        .size:           4
        .value_kind:     hidden_block_count_y
      - .offset:         152
        .size:           4
        .value_kind:     hidden_block_count_z
      - .offset:         156
        .size:           2
        .value_kind:     hidden_group_size_x
      - .offset:         158
        .size:           2
        .value_kind:     hidden_group_size_y
      - .offset:         160
        .size:           2
        .value_kind:     hidden_group_size_z
      - .offset:         162
        .size:           2
        .value_kind:     hidden_remainder_x
      - .offset:         164
        .size:           2
        .value_kind:     hidden_remainder_y
      - .offset:         166
        .size:           2
        .value_kind:     hidden_remainder_z
      - .offset:         184
        .size:           8
        .value_kind:     hidden_global_offset_x
      - .offset:         192
        .size:           8
        .value_kind:     hidden_global_offset_y
      - .offset:         200
        .size:           8
        .value_kind:     hidden_global_offset_z
      - .offset:         208
        .size:           2
        .value_kind:     hidden_grid_dims
    .group_segment_fixed_size: 2720
    .kernarg_segment_align: 8
    .kernarg_segment_size: 400
    .language:       OpenCL C
    .language_version:
      - 2
      - 0
    .max_flat_workgroup_size: 256
    .name:           _Z38paged_attention_ll4mi_QKV_mfma4_kernelI14__hip_bfloat16hLN4vllm18Fp8KVCacheDataTypeE1ES0_Li16ELi64ELi256ELb0ELi1EEvPKT_PKT0_S8_ifPKiSA_SA_iPKfiiiPfSD_PS3_PT2_iSC_SC_
    .private_segment_fixed_size: 0
    .sgpr_count:     46
    .sgpr_spill_count: 0
    .symbol:         _Z38paged_attention_ll4mi_QKV_mfma4_kernelI14__hip_bfloat16hLN4vllm18Fp8KVCacheDataTypeE1ES0_Li16ELi64ELi256ELb0ELi1EEvPKT_PKT0_S8_ifPKiSA_SA_iPKfiiiPfSD_PS3_PT2_iSC_SC_.kd
    .uniform_work_group_size: 1
    .uses_dynamic_stack: false
    .vgpr_count:     60
    .vgpr_spill_count: 0
    .wavefront_size: 64
  - .agpr_count:     4
    .args:
      - .actual_access:  read_only
        .address_space:  global
        .offset:         0
        .size:           8
        .value_kind:     global_buffer
      - .actual_access:  read_only
        .address_space:  global
        .offset:         8
        .size:           8
        .value_kind:     global_buffer
      - .actual_access:  read_only
        .address_space:  global
        .offset:         16
        .size:           8
        .value_kind:     global_buffer
      - .offset:         24
        .size:           4
        .value_kind:     by_value
      - .offset:         28
        .size:           4
        .value_kind:     by_value
      - .actual_access:  read_only
        .address_space:  global
        .offset:         32
        .size:           8
        .value_kind:     global_buffer
      - .actual_access:  read_only
        .address_space:  global
        .offset:         40
        .size:           8
        .value_kind:     global_buffer
      - .actual_access:  read_only
        .address_space:  global
        .offset:         48
        .size:           8
        .value_kind:     global_buffer
      - .offset:         56
        .size:           4
        .value_kind:     by_value
      - .actual_access:  read_only
        .address_space:  global
        .offset:         64
        .size:           8
        .value_kind:     global_buffer
      - .offset:         72
        .size:           4
        .value_kind:     by_value
      - .offset:         76
        .size:           4
        .value_kind:     by_value
      - .offset:         80
        .size:           4
        .value_kind:     by_value
      - .actual_access:  write_only
        .address_space:  global
        .offset:         88
        .size:           8
        .value_kind:     global_buffer
      - .actual_access:  write_only
        .address_space:  global
        .offset:         96
        .size:           8
        .value_kind:     global_buffer
      - .actual_access:  write_only
        .address_space:  global
        .offset:         104
        .size:           8
        .value_kind:     global_buffer
      - .actual_access:  read_only
        .address_space:  global
        .offset:         112
        .size:           8
        .value_kind:     global_buffer
      - .offset:         120
        .size:           4
        .value_kind:     by_value
      - .address_space:  global
        .offset:         128
        .size:           8
        .value_kind:     global_buffer
      - .address_space:  global
        .offset:         136
        .size:           8
        .value_kind:     global_buffer
      - .offset:         144
        .size:           4
        .value_kind:     hidden_block_count_x
      - .offset:         148
        .size:           4
        .value_kind:     hidden_block_count_y
      - .offset:         152
        .size:           4
        .value_kind:     hidden_block_count_z
      - .offset:         156
        .size:           2
        .value_kind:     hidden_group_size_x
      - .offset:         158
        .size:           2
        .value_kind:     hidden_group_size_y
      - .offset:         160
        .size:           2
        .value_kind:     hidden_group_size_z
      - .offset:         162
        .size:           2
        .value_kind:     hidden_remainder_x
      - .offset:         164
        .size:           2
        .value_kind:     hidden_remainder_y
      - .offset:         166
        .size:           2
        .value_kind:     hidden_remainder_z
      - .offset:         184
        .size:           8
        .value_kind:     hidden_global_offset_x
      - .offset:         192
        .size:           8
        .value_kind:     hidden_global_offset_y
      - .offset:         200
        .size:           8
        .value_kind:     hidden_global_offset_z
      - .offset:         208
        .size:           2
        .value_kind:     hidden_grid_dims
    .group_segment_fixed_size: 2720
    .kernarg_segment_align: 8
    .kernarg_segment_size: 400
    .language:       OpenCL C
    .language_version:
      - 2
      - 0
    .max_flat_workgroup_size: 256
    .name:           _Z38paged_attention_ll4mi_QKV_mfma4_kernelI14__hip_bfloat16hLN4vllm18Fp8KVCacheDataTypeE1ES0_Li16ELi64ELi256ELb0ELi2EEvPKT_PKT0_S8_ifPKiSA_SA_iPKfiiiPfSD_PS3_PT2_iSC_SC_
    .private_segment_fixed_size: 0
    .sgpr_count:     46
    .sgpr_spill_count: 0
    .symbol:         _Z38paged_attention_ll4mi_QKV_mfma4_kernelI14__hip_bfloat16hLN4vllm18Fp8KVCacheDataTypeE1ES0_Li16ELi64ELi256ELb0ELi2EEvPKT_PKT0_S8_ifPKiSA_SA_iPKfiiiPfSD_PS3_PT2_iSC_SC_.kd
    .uniform_work_group_size: 1
    .uses_dynamic_stack: false
    .vgpr_count:     60
    .vgpr_spill_count: 0
    .wavefront_size: 64
  - .agpr_count:     4
    .args:
      - .actual_access:  read_only
        .address_space:  global
        .offset:         0
        .size:           8
        .value_kind:     global_buffer
      - .actual_access:  read_only
        .address_space:  global
        .offset:         8
        .size:           8
        .value_kind:     global_buffer
      - .actual_access:  read_only
        .address_space:  global
        .offset:         16
        .size:           8
        .value_kind:     global_buffer
      - .offset:         24
        .size:           4
        .value_kind:     by_value
      - .offset:         28
        .size:           4
        .value_kind:     by_value
      - .actual_access:  read_only
        .address_space:  global
        .offset:         32
        .size:           8
        .value_kind:     global_buffer
      - .actual_access:  read_only
        .address_space:  global
        .offset:         40
        .size:           8
        .value_kind:     global_buffer
      - .actual_access:  read_only
        .address_space:  global
        .offset:         48
        .size:           8
        .value_kind:     global_buffer
      - .offset:         56
        .size:           4
        .value_kind:     by_value
      - .actual_access:  read_only
        .address_space:  global
        .offset:         64
        .size:           8
        .value_kind:     global_buffer
      - .offset:         72
        .size:           4
        .value_kind:     by_value
      - .offset:         76
        .size:           4
        .value_kind:     by_value
      - .offset:         80
        .size:           4
        .value_kind:     by_value
      - .actual_access:  write_only
        .address_space:  global
        .offset:         88
        .size:           8
        .value_kind:     global_buffer
      - .actual_access:  write_only
        .address_space:  global
        .offset:         96
        .size:           8
        .value_kind:     global_buffer
      - .actual_access:  write_only
        .address_space:  global
        .offset:         104
        .size:           8
        .value_kind:     global_buffer
      - .actual_access:  read_only
        .address_space:  global
        .offset:         112
        .size:           8
        .value_kind:     global_buffer
      - .offset:         120
        .size:           4
        .value_kind:     by_value
      - .address_space:  global
        .offset:         128
        .size:           8
        .value_kind:     global_buffer
      - .address_space:  global
        .offset:         136
        .size:           8
        .value_kind:     global_buffer
      - .offset:         144
        .size:           4
        .value_kind:     hidden_block_count_x
      - .offset:         148
        .size:           4
        .value_kind:     hidden_block_count_y
      - .offset:         152
        .size:           4
        .value_kind:     hidden_block_count_z
      - .offset:         156
        .size:           2
        .value_kind:     hidden_group_size_x
      - .offset:         158
        .size:           2
        .value_kind:     hidden_group_size_y
      - .offset:         160
        .size:           2
        .value_kind:     hidden_group_size_z
      - .offset:         162
        .size:           2
        .value_kind:     hidden_remainder_x
      - .offset:         164
        .size:           2
        .value_kind:     hidden_remainder_y
      - .offset:         166
        .size:           2
        .value_kind:     hidden_remainder_z
      - .offset:         184
        .size:           8
        .value_kind:     hidden_global_offset_x
      - .offset:         192
        .size:           8
        .value_kind:     hidden_global_offset_y
      - .offset:         200
        .size:           8
        .value_kind:     hidden_global_offset_z
      - .offset:         208
        .size:           2
        .value_kind:     hidden_grid_dims
    .group_segment_fixed_size: 2720
    .kernarg_segment_align: 8
    .kernarg_segment_size: 400
    .language:       OpenCL C
    .language_version:
      - 2
      - 0
    .max_flat_workgroup_size: 256
    .name:           _Z38paged_attention_ll4mi_QKV_mfma4_kernelI14__hip_bfloat16hLN4vllm18Fp8KVCacheDataTypeE1ES0_Li16ELi64ELi256ELb0ELi3EEvPKT_PKT0_S8_ifPKiSA_SA_iPKfiiiPfSD_PS3_PT2_iSC_SC_
    .private_segment_fixed_size: 0
    .sgpr_count:     46
    .sgpr_spill_count: 0
    .symbol:         _Z38paged_attention_ll4mi_QKV_mfma4_kernelI14__hip_bfloat16hLN4vllm18Fp8KVCacheDataTypeE1ES0_Li16ELi64ELi256ELb0ELi3EEvPKT_PKT0_S8_ifPKiSA_SA_iPKfiiiPfSD_PS3_PT2_iSC_SC_.kd
    .uniform_work_group_size: 1
    .uses_dynamic_stack: false
    .vgpr_count:     60
    .vgpr_spill_count: 0
    .wavefront_size: 64
  - .agpr_count:     4
    .args:
      - .actual_access:  read_only
        .address_space:  global
        .offset:         0
        .size:           8
        .value_kind:     global_buffer
      - .actual_access:  read_only
        .address_space:  global
        .offset:         8
        .size:           8
        .value_kind:     global_buffer
      - .actual_access:  read_only
        .address_space:  global
        .offset:         16
        .size:           8
        .value_kind:     global_buffer
      - .offset:         24
        .size:           4
        .value_kind:     by_value
      - .offset:         28
        .size:           4
        .value_kind:     by_value
      - .actual_access:  read_only
        .address_space:  global
        .offset:         32
        .size:           8
        .value_kind:     global_buffer
      - .actual_access:  read_only
        .address_space:  global
        .offset:         40
        .size:           8
        .value_kind:     global_buffer
      - .actual_access:  read_only
        .address_space:  global
        .offset:         48
        .size:           8
        .value_kind:     global_buffer
      - .offset:         56
        .size:           4
        .value_kind:     by_value
      - .actual_access:  read_only
        .address_space:  global
        .offset:         64
        .size:           8
        .value_kind:     global_buffer
      - .offset:         72
        .size:           4
        .value_kind:     by_value
      - .offset:         76
        .size:           4
        .value_kind:     by_value
      - .offset:         80
        .size:           4
        .value_kind:     by_value
      - .actual_access:  write_only
        .address_space:  global
        .offset:         88
        .size:           8
        .value_kind:     global_buffer
      - .actual_access:  write_only
        .address_space:  global
        .offset:         96
        .size:           8
        .value_kind:     global_buffer
      - .actual_access:  write_only
        .address_space:  global
        .offset:         104
        .size:           8
        .value_kind:     global_buffer
      - .actual_access:  read_only
        .address_space:  global
        .offset:         112
        .size:           8
        .value_kind:     global_buffer
      - .offset:         120
        .size:           4
        .value_kind:     by_value
      - .address_space:  global
        .offset:         128
        .size:           8
        .value_kind:     global_buffer
      - .address_space:  global
        .offset:         136
        .size:           8
        .value_kind:     global_buffer
      - .offset:         144
        .size:           4
        .value_kind:     hidden_block_count_x
      - .offset:         148
        .size:           4
        .value_kind:     hidden_block_count_y
      - .offset:         152
        .size:           4
        .value_kind:     hidden_block_count_z
      - .offset:         156
        .size:           2
        .value_kind:     hidden_group_size_x
      - .offset:         158
        .size:           2
        .value_kind:     hidden_group_size_y
      - .offset:         160
        .size:           2
        .value_kind:     hidden_group_size_z
      - .offset:         162
        .size:           2
        .value_kind:     hidden_remainder_x
      - .offset:         164
        .size:           2
        .value_kind:     hidden_remainder_y
      - .offset:         166
        .size:           2
        .value_kind:     hidden_remainder_z
      - .offset:         184
        .size:           8
        .value_kind:     hidden_global_offset_x
      - .offset:         192
        .size:           8
        .value_kind:     hidden_global_offset_y
      - .offset:         200
        .size:           8
        .value_kind:     hidden_global_offset_z
      - .offset:         208
        .size:           2
        .value_kind:     hidden_grid_dims
    .group_segment_fixed_size: 2720
    .kernarg_segment_align: 8
    .kernarg_segment_size: 400
    .language:       OpenCL C
    .language_version:
      - 2
      - 0
    .max_flat_workgroup_size: 256
    .name:           _Z38paged_attention_ll4mi_QKV_mfma4_kernelI14__hip_bfloat16hLN4vllm18Fp8KVCacheDataTypeE1ES0_Li16ELi64ELi256ELb0ELi4EEvPKT_PKT0_S8_ifPKiSA_SA_iPKfiiiPfSD_PS3_PT2_iSC_SC_
    .private_segment_fixed_size: 0
    .sgpr_count:     48
    .sgpr_spill_count: 0
    .symbol:         _Z38paged_attention_ll4mi_QKV_mfma4_kernelI14__hip_bfloat16hLN4vllm18Fp8KVCacheDataTypeE1ES0_Li16ELi64ELi256ELb0ELi4EEvPKT_PKT0_S8_ifPKiSA_SA_iPKfiiiPfSD_PS3_PT2_iSC_SC_.kd
    .uniform_work_group_size: 1
    .uses_dynamic_stack: false
    .vgpr_count:     60
    .vgpr_spill_count: 0
    .wavefront_size: 64
  - .agpr_count:     1
    .args:
      - .actual_access:  read_only
        .address_space:  global
        .offset:         0
        .size:           8
        .value_kind:     global_buffer
      - .actual_access:  read_only
        .address_space:  global
        .offset:         8
        .size:           8
        .value_kind:     global_buffer
      - .actual_access:  read_only
        .address_space:  global
        .offset:         16
        .size:           8
        .value_kind:     global_buffer
      - .offset:         24
        .size:           4
        .value_kind:     by_value
      - .offset:         28
        .size:           4
        .value_kind:     by_value
      - .actual_access:  read_only
        .address_space:  global
        .offset:         32
        .size:           8
        .value_kind:     global_buffer
      - .actual_access:  read_only
        .address_space:  global
        .offset:         40
        .size:           8
        .value_kind:     global_buffer
      - .actual_access:  read_only
        .address_space:  global
        .offset:         48
        .size:           8
        .value_kind:     global_buffer
      - .offset:         56
        .size:           4
        .value_kind:     by_value
      - .actual_access:  read_only
        .address_space:  global
        .offset:         64
        .size:           8
        .value_kind:     global_buffer
      - .offset:         72
        .size:           4
        .value_kind:     by_value
      - .offset:         76
        .size:           4
        .value_kind:     by_value
      - .offset:         80
        .size:           4
        .value_kind:     by_value
      - .actual_access:  read_only
        .address_space:  global
        .offset:         88
        .size:           8
        .value_kind:     global_buffer
      - .actual_access:  read_only
        .address_space:  global
        .offset:         96
        .size:           8
        .value_kind:     global_buffer
      - .actual_access:  read_only
        .address_space:  global
        .offset:         104
        .size:           8
        .value_kind:     global_buffer
      - .actual_access:  read_only
        .address_space:  global
        .offset:         112
        .size:           8
        .value_kind:     global_buffer
      - .offset:         120
        .size:           4
        .value_kind:     by_value
      - .address_space:  global
        .offset:         128
        .size:           8
        .value_kind:     global_buffer
      - .address_space:  global
        .offset:         136
        .size:           8
        .value_kind:     global_buffer
      - .offset:         144
        .size:           4
        .value_kind:     hidden_block_count_x
      - .offset:         148
        .size:           4
        .value_kind:     hidden_block_count_y
      - .offset:         152
        .size:           4
        .value_kind:     hidden_block_count_z
      - .offset:         156
        .size:           2
        .value_kind:     hidden_group_size_x
      - .offset:         158
        .size:           2
        .value_kind:     hidden_group_size_y
      - .offset:         160
        .size:           2
        .value_kind:     hidden_group_size_z
      - .offset:         162
        .size:           2
        .value_kind:     hidden_remainder_x
      - .offset:         164
        .size:           2
        .value_kind:     hidden_remainder_y
      - .offset:         166
        .size:           2
        .value_kind:     hidden_remainder_z
      - .offset:         184
        .size:           8
        .value_kind:     hidden_global_offset_x
      - .offset:         192
        .size:           8
        .value_kind:     hidden_global_offset_y
      - .offset:         200
        .size:           8
        .value_kind:     hidden_global_offset_z
      - .offset:         208
        .size:           2
        .value_kind:     hidden_grid_dims
      - .offset:         224
        .size:           8
        .value_kind:     hidden_hostcall_buffer
    .group_segment_fixed_size: 8192
    .kernarg_segment_align: 8
    .kernarg_segment_size: 400
    .language:       OpenCL C
    .language_version:
      - 2
      - 0
    .max_flat_workgroup_size: 256
    .name:           _Z39paged_attention_ll4mi_QKV_mfma16_kernelI14__hip_bfloat16hLN4vllm18Fp8KVCacheDataTypeE1ES0_Li16ELi64ELi256ELb0ELi5EL8MFMAType1EEvPKT_PKT0_S9_ifPKiSB_SB_iPKfiiiPfSE_PS4_PT2_iSD_SD_
    .private_segment_fixed_size: 64
    .sgpr_count:     40
    .sgpr_spill_count: 0
    .symbol:         _Z39paged_attention_ll4mi_QKV_mfma16_kernelI14__hip_bfloat16hLN4vllm18Fp8KVCacheDataTypeE1ES0_Li16ELi64ELi256ELb0ELi5EL8MFMAType1EEvPKT_PKT0_S9_ifPKiSB_SB_iPKfiiiPfSE_PS4_PT2_iSD_SD_.kd
    .uniform_work_group_size: 1
    .uses_dynamic_stack: false
    .vgpr_count:     45
    .vgpr_spill_count: 0
    .wavefront_size: 64
  - .agpr_count:     1
    .args:
      - .actual_access:  read_only
        .address_space:  global
        .offset:         0
        .size:           8
        .value_kind:     global_buffer
      - .actual_access:  read_only
        .address_space:  global
        .offset:         8
        .size:           8
        .value_kind:     global_buffer
      - .actual_access:  read_only
        .address_space:  global
        .offset:         16
        .size:           8
        .value_kind:     global_buffer
      - .offset:         24
        .size:           4
        .value_kind:     by_value
      - .offset:         28
        .size:           4
        .value_kind:     by_value
      - .actual_access:  read_only
        .address_space:  global
        .offset:         32
        .size:           8
        .value_kind:     global_buffer
      - .actual_access:  read_only
        .address_space:  global
        .offset:         40
        .size:           8
        .value_kind:     global_buffer
      - .actual_access:  read_only
        .address_space:  global
        .offset:         48
        .size:           8
        .value_kind:     global_buffer
      - .offset:         56
        .size:           4
        .value_kind:     by_value
      - .actual_access:  read_only
        .address_space:  global
        .offset:         64
        .size:           8
        .value_kind:     global_buffer
      - .offset:         72
        .size:           4
        .value_kind:     by_value
      - .offset:         76
        .size:           4
        .value_kind:     by_value
      - .offset:         80
        .size:           4
        .value_kind:     by_value
      - .actual_access:  read_only
        .address_space:  global
        .offset:         88
        .size:           8
        .value_kind:     global_buffer
      - .actual_access:  read_only
        .address_space:  global
        .offset:         96
        .size:           8
        .value_kind:     global_buffer
      - .actual_access:  read_only
        .address_space:  global
        .offset:         104
        .size:           8
        .value_kind:     global_buffer
      - .actual_access:  read_only
        .address_space:  global
        .offset:         112
        .size:           8
        .value_kind:     global_buffer
      - .offset:         120
        .size:           4
        .value_kind:     by_value
      - .address_space:  global
        .offset:         128
        .size:           8
        .value_kind:     global_buffer
      - .address_space:  global
        .offset:         136
        .size:           8
        .value_kind:     global_buffer
      - .offset:         144
        .size:           4
        .value_kind:     hidden_block_count_x
      - .offset:         148
        .size:           4
        .value_kind:     hidden_block_count_y
      - .offset:         152
        .size:           4
        .value_kind:     hidden_block_count_z
      - .offset:         156
        .size:           2
        .value_kind:     hidden_group_size_x
      - .offset:         158
        .size:           2
        .value_kind:     hidden_group_size_y
      - .offset:         160
        .size:           2
        .value_kind:     hidden_group_size_z
      - .offset:         162
        .size:           2
        .value_kind:     hidden_remainder_x
      - .offset:         164
        .size:           2
        .value_kind:     hidden_remainder_y
      - .offset:         166
        .size:           2
        .value_kind:     hidden_remainder_z
      - .offset:         184
        .size:           8
        .value_kind:     hidden_global_offset_x
      - .offset:         192
        .size:           8
        .value_kind:     hidden_global_offset_y
      - .offset:         200
        .size:           8
        .value_kind:     hidden_global_offset_z
      - .offset:         208
        .size:           2
        .value_kind:     hidden_grid_dims
      - .offset:         224
        .size:           8
        .value_kind:     hidden_hostcall_buffer
    .group_segment_fixed_size: 8192
    .kernarg_segment_align: 8
    .kernarg_segment_size: 400
    .language:       OpenCL C
    .language_version:
      - 2
      - 0
    .max_flat_workgroup_size: 256
    .name:           _Z39paged_attention_ll4mi_QKV_mfma16_kernelI14__hip_bfloat16hLN4vllm18Fp8KVCacheDataTypeE1ES0_Li16ELi64ELi256ELb0ELi6EL8MFMAType1EEvPKT_PKT0_S9_ifPKiSB_SB_iPKfiiiPfSE_PS4_PT2_iSD_SD_
    .private_segment_fixed_size: 64
    .sgpr_count:     40
    .sgpr_spill_count: 0
    .symbol:         _Z39paged_attention_ll4mi_QKV_mfma16_kernelI14__hip_bfloat16hLN4vllm18Fp8KVCacheDataTypeE1ES0_Li16ELi64ELi256ELb0ELi6EL8MFMAType1EEvPKT_PKT0_S9_ifPKiSB_SB_iPKfiiiPfSE_PS4_PT2_iSD_SD_.kd
    .uniform_work_group_size: 1
    .uses_dynamic_stack: false
    .vgpr_count:     45
    .vgpr_spill_count: 0
    .wavefront_size: 64
  - .agpr_count:     1
    .args:
      - .actual_access:  read_only
        .address_space:  global
        .offset:         0
        .size:           8
        .value_kind:     global_buffer
      - .actual_access:  read_only
        .address_space:  global
        .offset:         8
        .size:           8
        .value_kind:     global_buffer
      - .actual_access:  read_only
        .address_space:  global
        .offset:         16
        .size:           8
        .value_kind:     global_buffer
      - .offset:         24
        .size:           4
        .value_kind:     by_value
      - .offset:         28
        .size:           4
        .value_kind:     by_value
      - .actual_access:  read_only
        .address_space:  global
        .offset:         32
        .size:           8
        .value_kind:     global_buffer
      - .actual_access:  read_only
        .address_space:  global
        .offset:         40
        .size:           8
        .value_kind:     global_buffer
      - .actual_access:  read_only
        .address_space:  global
        .offset:         48
        .size:           8
        .value_kind:     global_buffer
      - .offset:         56
        .size:           4
        .value_kind:     by_value
      - .actual_access:  read_only
        .address_space:  global
        .offset:         64
        .size:           8
        .value_kind:     global_buffer
      - .offset:         72
        .size:           4
        .value_kind:     by_value
      - .offset:         76
        .size:           4
        .value_kind:     by_value
      - .offset:         80
        .size:           4
        .value_kind:     by_value
      - .actual_access:  read_only
        .address_space:  global
        .offset:         88
        .size:           8
        .value_kind:     global_buffer
      - .actual_access:  read_only
        .address_space:  global
        .offset:         96
        .size:           8
        .value_kind:     global_buffer
      - .actual_access:  read_only
        .address_space:  global
        .offset:         104
        .size:           8
        .value_kind:     global_buffer
      - .actual_access:  read_only
        .address_space:  global
        .offset:         112
        .size:           8
        .value_kind:     global_buffer
      - .offset:         120
        .size:           4
        .value_kind:     by_value
      - .address_space:  global
        .offset:         128
        .size:           8
        .value_kind:     global_buffer
      - .address_space:  global
        .offset:         136
        .size:           8
        .value_kind:     global_buffer
      - .offset:         144
        .size:           4
        .value_kind:     hidden_block_count_x
      - .offset:         148
        .size:           4
        .value_kind:     hidden_block_count_y
      - .offset:         152
        .size:           4
        .value_kind:     hidden_block_count_z
      - .offset:         156
        .size:           2
        .value_kind:     hidden_group_size_x
      - .offset:         158
        .size:           2
        .value_kind:     hidden_group_size_y
      - .offset:         160
        .size:           2
        .value_kind:     hidden_group_size_z
      - .offset:         162
        .size:           2
        .value_kind:     hidden_remainder_x
      - .offset:         164
        .size:           2
        .value_kind:     hidden_remainder_y
      - .offset:         166
        .size:           2
        .value_kind:     hidden_remainder_z
      - .offset:         184
        .size:           8
        .value_kind:     hidden_global_offset_x
      - .offset:         192
        .size:           8
        .value_kind:     hidden_global_offset_y
      - .offset:         200
        .size:           8
        .value_kind:     hidden_global_offset_z
      - .offset:         208
        .size:           2
        .value_kind:     hidden_grid_dims
      - .offset:         224
        .size:           8
        .value_kind:     hidden_hostcall_buffer
    .group_segment_fixed_size: 8192
    .kernarg_segment_align: 8
    .kernarg_segment_size: 400
    .language:       OpenCL C
    .language_version:
      - 2
      - 0
    .max_flat_workgroup_size: 256
    .name:           _Z39paged_attention_ll4mi_QKV_mfma16_kernelI14__hip_bfloat16hLN4vllm18Fp8KVCacheDataTypeE1ES0_Li16ELi64ELi256ELb0ELi7EL8MFMAType1EEvPKT_PKT0_S9_ifPKiSB_SB_iPKfiiiPfSE_PS4_PT2_iSD_SD_
    .private_segment_fixed_size: 64
    .sgpr_count:     40
    .sgpr_spill_count: 0
    .symbol:         _Z39paged_attention_ll4mi_QKV_mfma16_kernelI14__hip_bfloat16hLN4vllm18Fp8KVCacheDataTypeE1ES0_Li16ELi64ELi256ELb0ELi7EL8MFMAType1EEvPKT_PKT0_S9_ifPKiSB_SB_iPKfiiiPfSE_PS4_PT2_iSD_SD_.kd
    .uniform_work_group_size: 1
    .uses_dynamic_stack: false
    .vgpr_count:     45
    .vgpr_spill_count: 0
    .wavefront_size: 64
  - .agpr_count:     1
    .args:
      - .actual_access:  read_only
        .address_space:  global
        .offset:         0
        .size:           8
        .value_kind:     global_buffer
      - .actual_access:  read_only
        .address_space:  global
        .offset:         8
        .size:           8
        .value_kind:     global_buffer
      - .actual_access:  read_only
        .address_space:  global
        .offset:         16
        .size:           8
        .value_kind:     global_buffer
      - .offset:         24
        .size:           4
        .value_kind:     by_value
      - .offset:         28
        .size:           4
        .value_kind:     by_value
      - .actual_access:  read_only
        .address_space:  global
        .offset:         32
        .size:           8
        .value_kind:     global_buffer
      - .actual_access:  read_only
        .address_space:  global
        .offset:         40
        .size:           8
        .value_kind:     global_buffer
      - .actual_access:  read_only
        .address_space:  global
        .offset:         48
        .size:           8
        .value_kind:     global_buffer
      - .offset:         56
        .size:           4
        .value_kind:     by_value
      - .actual_access:  read_only
        .address_space:  global
        .offset:         64
        .size:           8
        .value_kind:     global_buffer
      - .offset:         72
        .size:           4
        .value_kind:     by_value
      - .offset:         76
        .size:           4
        .value_kind:     by_value
      - .offset:         80
        .size:           4
        .value_kind:     by_value
      - .actual_access:  read_only
        .address_space:  global
        .offset:         88
        .size:           8
        .value_kind:     global_buffer
      - .actual_access:  read_only
        .address_space:  global
        .offset:         96
        .size:           8
        .value_kind:     global_buffer
      - .actual_access:  read_only
        .address_space:  global
        .offset:         104
        .size:           8
        .value_kind:     global_buffer
      - .actual_access:  read_only
        .address_space:  global
        .offset:         112
        .size:           8
        .value_kind:     global_buffer
      - .offset:         120
        .size:           4
        .value_kind:     by_value
      - .address_space:  global
        .offset:         128
        .size:           8
        .value_kind:     global_buffer
      - .address_space:  global
        .offset:         136
        .size:           8
        .value_kind:     global_buffer
      - .offset:         144
        .size:           4
        .value_kind:     hidden_block_count_x
      - .offset:         148
        .size:           4
        .value_kind:     hidden_block_count_y
      - .offset:         152
        .size:           4
        .value_kind:     hidden_block_count_z
      - .offset:         156
        .size:           2
        .value_kind:     hidden_group_size_x
      - .offset:         158
        .size:           2
        .value_kind:     hidden_group_size_y
      - .offset:         160
        .size:           2
        .value_kind:     hidden_group_size_z
      - .offset:         162
        .size:           2
        .value_kind:     hidden_remainder_x
      - .offset:         164
        .size:           2
        .value_kind:     hidden_remainder_y
      - .offset:         166
        .size:           2
        .value_kind:     hidden_remainder_z
      - .offset:         184
        .size:           8
        .value_kind:     hidden_global_offset_x
      - .offset:         192
        .size:           8
        .value_kind:     hidden_global_offset_y
      - .offset:         200
        .size:           8
        .value_kind:     hidden_global_offset_z
      - .offset:         208
        .size:           2
        .value_kind:     hidden_grid_dims
      - .offset:         224
        .size:           8
        .value_kind:     hidden_hostcall_buffer
    .group_segment_fixed_size: 8192
    .kernarg_segment_align: 8
    .kernarg_segment_size: 400
    .language:       OpenCL C
    .language_version:
      - 2
      - 0
    .max_flat_workgroup_size: 256
    .name:           _Z39paged_attention_ll4mi_QKV_mfma16_kernelI14__hip_bfloat16hLN4vllm18Fp8KVCacheDataTypeE1ES0_Li16ELi64ELi256ELb0ELi8EL8MFMAType1EEvPKT_PKT0_S9_ifPKiSB_SB_iPKfiiiPfSE_PS4_PT2_iSD_SD_
    .private_segment_fixed_size: 64
    .sgpr_count:     40
    .sgpr_spill_count: 0
    .symbol:         _Z39paged_attention_ll4mi_QKV_mfma16_kernelI14__hip_bfloat16hLN4vllm18Fp8KVCacheDataTypeE1ES0_Li16ELi64ELi256ELb0ELi8EL8MFMAType1EEvPKT_PKT0_S9_ifPKiSB_SB_iPKfiiiPfSE_PS4_PT2_iSD_SD_.kd
    .uniform_work_group_size: 1
    .uses_dynamic_stack: false
    .vgpr_count:     45
    .vgpr_spill_count: 0
    .wavefront_size: 64
  - .agpr_count:     1
    .args:
      - .actual_access:  read_only
        .address_space:  global
        .offset:         0
        .size:           8
        .value_kind:     global_buffer
      - .actual_access:  read_only
        .address_space:  global
        .offset:         8
        .size:           8
        .value_kind:     global_buffer
      - .actual_access:  read_only
        .address_space:  global
        .offset:         16
        .size:           8
        .value_kind:     global_buffer
      - .offset:         24
        .size:           4
        .value_kind:     by_value
      - .offset:         28
        .size:           4
        .value_kind:     by_value
      - .actual_access:  read_only
        .address_space:  global
        .offset:         32
        .size:           8
        .value_kind:     global_buffer
      - .actual_access:  read_only
        .address_space:  global
        .offset:         40
        .size:           8
        .value_kind:     global_buffer
      - .actual_access:  read_only
        .address_space:  global
        .offset:         48
        .size:           8
        .value_kind:     global_buffer
      - .offset:         56
        .size:           4
        .value_kind:     by_value
      - .actual_access:  read_only
        .address_space:  global
        .offset:         64
        .size:           8
        .value_kind:     global_buffer
      - .offset:         72
        .size:           4
        .value_kind:     by_value
      - .offset:         76
        .size:           4
        .value_kind:     by_value
      - .offset:         80
        .size:           4
        .value_kind:     by_value
      - .actual_access:  read_only
        .address_space:  global
        .offset:         88
        .size:           8
        .value_kind:     global_buffer
      - .actual_access:  read_only
        .address_space:  global
        .offset:         96
        .size:           8
        .value_kind:     global_buffer
      - .actual_access:  read_only
        .address_space:  global
        .offset:         104
        .size:           8
        .value_kind:     global_buffer
      - .actual_access:  read_only
        .address_space:  global
        .offset:         112
        .size:           8
        .value_kind:     global_buffer
      - .offset:         120
        .size:           4
        .value_kind:     by_value
      - .address_space:  global
        .offset:         128
        .size:           8
        .value_kind:     global_buffer
      - .address_space:  global
        .offset:         136
        .size:           8
        .value_kind:     global_buffer
      - .offset:         144
        .size:           4
        .value_kind:     hidden_block_count_x
      - .offset:         148
        .size:           4
        .value_kind:     hidden_block_count_y
      - .offset:         152
        .size:           4
        .value_kind:     hidden_block_count_z
      - .offset:         156
        .size:           2
        .value_kind:     hidden_group_size_x
      - .offset:         158
        .size:           2
        .value_kind:     hidden_group_size_y
      - .offset:         160
        .size:           2
        .value_kind:     hidden_group_size_z
      - .offset:         162
        .size:           2
        .value_kind:     hidden_remainder_x
      - .offset:         164
        .size:           2
        .value_kind:     hidden_remainder_y
      - .offset:         166
        .size:           2
        .value_kind:     hidden_remainder_z
      - .offset:         184
        .size:           8
        .value_kind:     hidden_global_offset_x
      - .offset:         192
        .size:           8
        .value_kind:     hidden_global_offset_y
      - .offset:         200
        .size:           8
        .value_kind:     hidden_global_offset_z
      - .offset:         208
        .size:           2
        .value_kind:     hidden_grid_dims
      - .offset:         224
        .size:           8
        .value_kind:     hidden_hostcall_buffer
    .group_segment_fixed_size: 8192
    .kernarg_segment_align: 8
    .kernarg_segment_size: 400
    .language:       OpenCL C
    .language_version:
      - 2
      - 0
    .max_flat_workgroup_size: 256
    .name:           _Z39paged_attention_ll4mi_QKV_mfma16_kernelI14__hip_bfloat16hLN4vllm18Fp8KVCacheDataTypeE1ES0_Li16ELi64ELi256ELb0ELi9EL8MFMAType1EEvPKT_PKT0_S9_ifPKiSB_SB_iPKfiiiPfSE_PS4_PT2_iSD_SD_
    .private_segment_fixed_size: 64
    .sgpr_count:     40
    .sgpr_spill_count: 0
    .symbol:         _Z39paged_attention_ll4mi_QKV_mfma16_kernelI14__hip_bfloat16hLN4vllm18Fp8KVCacheDataTypeE1ES0_Li16ELi64ELi256ELb0ELi9EL8MFMAType1EEvPKT_PKT0_S9_ifPKiSB_SB_iPKfiiiPfSE_PS4_PT2_iSD_SD_.kd
    .uniform_work_group_size: 1
    .uses_dynamic_stack: false
    .vgpr_count:     45
    .vgpr_spill_count: 0
    .wavefront_size: 64
  - .agpr_count:     1
    .args:
      - .actual_access:  read_only
        .address_space:  global
        .offset:         0
        .size:           8
        .value_kind:     global_buffer
      - .actual_access:  read_only
        .address_space:  global
        .offset:         8
        .size:           8
        .value_kind:     global_buffer
      - .actual_access:  read_only
        .address_space:  global
        .offset:         16
        .size:           8
        .value_kind:     global_buffer
      - .offset:         24
        .size:           4
        .value_kind:     by_value
      - .offset:         28
        .size:           4
        .value_kind:     by_value
      - .actual_access:  read_only
        .address_space:  global
        .offset:         32
        .size:           8
        .value_kind:     global_buffer
      - .actual_access:  read_only
        .address_space:  global
        .offset:         40
        .size:           8
        .value_kind:     global_buffer
      - .actual_access:  read_only
        .address_space:  global
        .offset:         48
        .size:           8
        .value_kind:     global_buffer
      - .offset:         56
        .size:           4
        .value_kind:     by_value
      - .actual_access:  read_only
        .address_space:  global
        .offset:         64
        .size:           8
        .value_kind:     global_buffer
      - .offset:         72
        .size:           4
        .value_kind:     by_value
      - .offset:         76
        .size:           4
        .value_kind:     by_value
      - .offset:         80
        .size:           4
        .value_kind:     by_value
      - .actual_access:  read_only
        .address_space:  global
        .offset:         88
        .size:           8
        .value_kind:     global_buffer
      - .actual_access:  read_only
        .address_space:  global
        .offset:         96
        .size:           8
        .value_kind:     global_buffer
      - .actual_access:  read_only
        .address_space:  global
        .offset:         104
        .size:           8
        .value_kind:     global_buffer
      - .actual_access:  read_only
        .address_space:  global
        .offset:         112
        .size:           8
        .value_kind:     global_buffer
      - .offset:         120
        .size:           4
        .value_kind:     by_value
      - .address_space:  global
        .offset:         128
        .size:           8
        .value_kind:     global_buffer
      - .address_space:  global
        .offset:         136
        .size:           8
        .value_kind:     global_buffer
      - .offset:         144
        .size:           4
        .value_kind:     hidden_block_count_x
      - .offset:         148
        .size:           4
        .value_kind:     hidden_block_count_y
      - .offset:         152
        .size:           4
        .value_kind:     hidden_block_count_z
      - .offset:         156
        .size:           2
        .value_kind:     hidden_group_size_x
      - .offset:         158
        .size:           2
        .value_kind:     hidden_group_size_y
      - .offset:         160
        .size:           2
        .value_kind:     hidden_group_size_z
      - .offset:         162
        .size:           2
        .value_kind:     hidden_remainder_x
      - .offset:         164
        .size:           2
        .value_kind:     hidden_remainder_y
      - .offset:         166
        .size:           2
        .value_kind:     hidden_remainder_z
      - .offset:         184
        .size:           8
        .value_kind:     hidden_global_offset_x
      - .offset:         192
        .size:           8
        .value_kind:     hidden_global_offset_y
      - .offset:         200
        .size:           8
        .value_kind:     hidden_global_offset_z
      - .offset:         208
        .size:           2
        .value_kind:     hidden_grid_dims
      - .offset:         224
        .size:           8
        .value_kind:     hidden_hostcall_buffer
    .group_segment_fixed_size: 8192
    .kernarg_segment_align: 8
    .kernarg_segment_size: 400
    .language:       OpenCL C
    .language_version:
      - 2
      - 0
    .max_flat_workgroup_size: 256
    .name:           _Z39paged_attention_ll4mi_QKV_mfma16_kernelI14__hip_bfloat16hLN4vllm18Fp8KVCacheDataTypeE1ES0_Li16ELi64ELi256ELb0ELi10EL8MFMAType1EEvPKT_PKT0_S9_ifPKiSB_SB_iPKfiiiPfSE_PS4_PT2_iSD_SD_
    .private_segment_fixed_size: 64
    .sgpr_count:     40
    .sgpr_spill_count: 0
    .symbol:         _Z39paged_attention_ll4mi_QKV_mfma16_kernelI14__hip_bfloat16hLN4vllm18Fp8KVCacheDataTypeE1ES0_Li16ELi64ELi256ELb0ELi10EL8MFMAType1EEvPKT_PKT0_S9_ifPKiSB_SB_iPKfiiiPfSE_PS4_PT2_iSD_SD_.kd
    .uniform_work_group_size: 1
    .uses_dynamic_stack: false
    .vgpr_count:     45
    .vgpr_spill_count: 0
    .wavefront_size: 64
  - .agpr_count:     1
    .args:
      - .actual_access:  read_only
        .address_space:  global
        .offset:         0
        .size:           8
        .value_kind:     global_buffer
      - .actual_access:  read_only
        .address_space:  global
        .offset:         8
        .size:           8
        .value_kind:     global_buffer
      - .actual_access:  read_only
        .address_space:  global
        .offset:         16
        .size:           8
        .value_kind:     global_buffer
      - .offset:         24
        .size:           4
        .value_kind:     by_value
      - .offset:         28
        .size:           4
        .value_kind:     by_value
      - .actual_access:  read_only
        .address_space:  global
        .offset:         32
        .size:           8
        .value_kind:     global_buffer
      - .actual_access:  read_only
        .address_space:  global
        .offset:         40
        .size:           8
        .value_kind:     global_buffer
      - .actual_access:  read_only
        .address_space:  global
        .offset:         48
        .size:           8
        .value_kind:     global_buffer
      - .offset:         56
        .size:           4
        .value_kind:     by_value
      - .actual_access:  read_only
        .address_space:  global
        .offset:         64
        .size:           8
        .value_kind:     global_buffer
      - .offset:         72
        .size:           4
        .value_kind:     by_value
      - .offset:         76
        .size:           4
        .value_kind:     by_value
      - .offset:         80
        .size:           4
        .value_kind:     by_value
      - .actual_access:  read_only
        .address_space:  global
        .offset:         88
        .size:           8
        .value_kind:     global_buffer
      - .actual_access:  read_only
        .address_space:  global
        .offset:         96
        .size:           8
        .value_kind:     global_buffer
      - .actual_access:  read_only
        .address_space:  global
        .offset:         104
        .size:           8
        .value_kind:     global_buffer
      - .actual_access:  read_only
        .address_space:  global
        .offset:         112
        .size:           8
        .value_kind:     global_buffer
      - .offset:         120
        .size:           4
        .value_kind:     by_value
      - .address_space:  global
        .offset:         128
        .size:           8
        .value_kind:     global_buffer
      - .address_space:  global
        .offset:         136
        .size:           8
        .value_kind:     global_buffer
      - .offset:         144
        .size:           4
        .value_kind:     hidden_block_count_x
      - .offset:         148
        .size:           4
        .value_kind:     hidden_block_count_y
      - .offset:         152
        .size:           4
        .value_kind:     hidden_block_count_z
      - .offset:         156
        .size:           2
        .value_kind:     hidden_group_size_x
      - .offset:         158
        .size:           2
        .value_kind:     hidden_group_size_y
      - .offset:         160
        .size:           2
        .value_kind:     hidden_group_size_z
      - .offset:         162
        .size:           2
        .value_kind:     hidden_remainder_x
      - .offset:         164
        .size:           2
        .value_kind:     hidden_remainder_y
      - .offset:         166
        .size:           2
        .value_kind:     hidden_remainder_z
      - .offset:         184
        .size:           8
        .value_kind:     hidden_global_offset_x
      - .offset:         192
        .size:           8
        .value_kind:     hidden_global_offset_y
      - .offset:         200
        .size:           8
        .value_kind:     hidden_global_offset_z
      - .offset:         208
        .size:           2
        .value_kind:     hidden_grid_dims
      - .offset:         224
        .size:           8
        .value_kind:     hidden_hostcall_buffer
    .group_segment_fixed_size: 8192
    .kernarg_segment_align: 8
    .kernarg_segment_size: 400
    .language:       OpenCL C
    .language_version:
      - 2
      - 0
    .max_flat_workgroup_size: 256
    .name:           _Z39paged_attention_ll4mi_QKV_mfma16_kernelI14__hip_bfloat16hLN4vllm18Fp8KVCacheDataTypeE1ES0_Li16ELi64ELi256ELb0ELi11EL8MFMAType1EEvPKT_PKT0_S9_ifPKiSB_SB_iPKfiiiPfSE_PS4_PT2_iSD_SD_
    .private_segment_fixed_size: 64
    .sgpr_count:     40
    .sgpr_spill_count: 0
    .symbol:         _Z39paged_attention_ll4mi_QKV_mfma16_kernelI14__hip_bfloat16hLN4vllm18Fp8KVCacheDataTypeE1ES0_Li16ELi64ELi256ELb0ELi11EL8MFMAType1EEvPKT_PKT0_S9_ifPKiSB_SB_iPKfiiiPfSE_PS4_PT2_iSD_SD_.kd
    .uniform_work_group_size: 1
    .uses_dynamic_stack: false
    .vgpr_count:     45
    .vgpr_spill_count: 0
    .wavefront_size: 64
  - .agpr_count:     1
    .args:
      - .actual_access:  read_only
        .address_space:  global
        .offset:         0
        .size:           8
        .value_kind:     global_buffer
      - .actual_access:  read_only
        .address_space:  global
        .offset:         8
        .size:           8
        .value_kind:     global_buffer
      - .actual_access:  read_only
        .address_space:  global
        .offset:         16
        .size:           8
        .value_kind:     global_buffer
      - .offset:         24
        .size:           4
        .value_kind:     by_value
      - .offset:         28
        .size:           4
        .value_kind:     by_value
      - .actual_access:  read_only
        .address_space:  global
        .offset:         32
        .size:           8
        .value_kind:     global_buffer
      - .actual_access:  read_only
        .address_space:  global
        .offset:         40
        .size:           8
        .value_kind:     global_buffer
      - .actual_access:  read_only
        .address_space:  global
        .offset:         48
        .size:           8
        .value_kind:     global_buffer
      - .offset:         56
        .size:           4
        .value_kind:     by_value
      - .actual_access:  read_only
        .address_space:  global
        .offset:         64
        .size:           8
        .value_kind:     global_buffer
      - .offset:         72
        .size:           4
        .value_kind:     by_value
      - .offset:         76
        .size:           4
        .value_kind:     by_value
      - .offset:         80
        .size:           4
        .value_kind:     by_value
      - .actual_access:  read_only
        .address_space:  global
        .offset:         88
        .size:           8
        .value_kind:     global_buffer
      - .actual_access:  read_only
        .address_space:  global
        .offset:         96
        .size:           8
        .value_kind:     global_buffer
      - .actual_access:  read_only
        .address_space:  global
        .offset:         104
        .size:           8
        .value_kind:     global_buffer
      - .actual_access:  read_only
        .address_space:  global
        .offset:         112
        .size:           8
        .value_kind:     global_buffer
      - .offset:         120
        .size:           4
        .value_kind:     by_value
      - .address_space:  global
        .offset:         128
        .size:           8
        .value_kind:     global_buffer
      - .address_space:  global
        .offset:         136
        .size:           8
        .value_kind:     global_buffer
      - .offset:         144
        .size:           4
        .value_kind:     hidden_block_count_x
      - .offset:         148
        .size:           4
        .value_kind:     hidden_block_count_y
      - .offset:         152
        .size:           4
        .value_kind:     hidden_block_count_z
      - .offset:         156
        .size:           2
        .value_kind:     hidden_group_size_x
      - .offset:         158
        .size:           2
        .value_kind:     hidden_group_size_y
      - .offset:         160
        .size:           2
        .value_kind:     hidden_group_size_z
      - .offset:         162
        .size:           2
        .value_kind:     hidden_remainder_x
      - .offset:         164
        .size:           2
        .value_kind:     hidden_remainder_y
      - .offset:         166
        .size:           2
        .value_kind:     hidden_remainder_z
      - .offset:         184
        .size:           8
        .value_kind:     hidden_global_offset_x
      - .offset:         192
        .size:           8
        .value_kind:     hidden_global_offset_y
      - .offset:         200
        .size:           8
        .value_kind:     hidden_global_offset_z
      - .offset:         208
        .size:           2
        .value_kind:     hidden_grid_dims
      - .offset:         224
        .size:           8
        .value_kind:     hidden_hostcall_buffer
    .group_segment_fixed_size: 8192
    .kernarg_segment_align: 8
    .kernarg_segment_size: 400
    .language:       OpenCL C
    .language_version:
      - 2
      - 0
    .max_flat_workgroup_size: 256
    .name:           _Z39paged_attention_ll4mi_QKV_mfma16_kernelI14__hip_bfloat16hLN4vllm18Fp8KVCacheDataTypeE1ES0_Li16ELi64ELi256ELb0ELi12EL8MFMAType1EEvPKT_PKT0_S9_ifPKiSB_SB_iPKfiiiPfSE_PS4_PT2_iSD_SD_
    .private_segment_fixed_size: 64
    .sgpr_count:     40
    .sgpr_spill_count: 0
    .symbol:         _Z39paged_attention_ll4mi_QKV_mfma16_kernelI14__hip_bfloat16hLN4vllm18Fp8KVCacheDataTypeE1ES0_Li16ELi64ELi256ELb0ELi12EL8MFMAType1EEvPKT_PKT0_S9_ifPKiSB_SB_iPKfiiiPfSE_PS4_PT2_iSD_SD_.kd
    .uniform_work_group_size: 1
    .uses_dynamic_stack: false
    .vgpr_count:     45
    .vgpr_spill_count: 0
    .wavefront_size: 64
  - .agpr_count:     1
    .args:
      - .actual_access:  read_only
        .address_space:  global
        .offset:         0
        .size:           8
        .value_kind:     global_buffer
      - .actual_access:  read_only
        .address_space:  global
        .offset:         8
        .size:           8
        .value_kind:     global_buffer
      - .actual_access:  read_only
        .address_space:  global
        .offset:         16
        .size:           8
        .value_kind:     global_buffer
      - .offset:         24
        .size:           4
        .value_kind:     by_value
      - .offset:         28
        .size:           4
        .value_kind:     by_value
      - .actual_access:  read_only
        .address_space:  global
        .offset:         32
        .size:           8
        .value_kind:     global_buffer
      - .actual_access:  read_only
        .address_space:  global
        .offset:         40
        .size:           8
        .value_kind:     global_buffer
      - .actual_access:  read_only
        .address_space:  global
        .offset:         48
        .size:           8
        .value_kind:     global_buffer
      - .offset:         56
        .size:           4
        .value_kind:     by_value
      - .actual_access:  read_only
        .address_space:  global
        .offset:         64
        .size:           8
        .value_kind:     global_buffer
      - .offset:         72
        .size:           4
        .value_kind:     by_value
      - .offset:         76
        .size:           4
        .value_kind:     by_value
      - .offset:         80
        .size:           4
        .value_kind:     by_value
      - .actual_access:  read_only
        .address_space:  global
        .offset:         88
        .size:           8
        .value_kind:     global_buffer
      - .actual_access:  read_only
        .address_space:  global
        .offset:         96
        .size:           8
        .value_kind:     global_buffer
      - .actual_access:  read_only
        .address_space:  global
        .offset:         104
        .size:           8
        .value_kind:     global_buffer
      - .actual_access:  read_only
        .address_space:  global
        .offset:         112
        .size:           8
        .value_kind:     global_buffer
      - .offset:         120
        .size:           4
        .value_kind:     by_value
      - .address_space:  global
        .offset:         128
        .size:           8
        .value_kind:     global_buffer
      - .address_space:  global
        .offset:         136
        .size:           8
        .value_kind:     global_buffer
      - .offset:         144
        .size:           4
        .value_kind:     hidden_block_count_x
      - .offset:         148
        .size:           4
        .value_kind:     hidden_block_count_y
      - .offset:         152
        .size:           4
        .value_kind:     hidden_block_count_z
      - .offset:         156
        .size:           2
        .value_kind:     hidden_group_size_x
      - .offset:         158
        .size:           2
        .value_kind:     hidden_group_size_y
      - .offset:         160
        .size:           2
        .value_kind:     hidden_group_size_z
      - .offset:         162
        .size:           2
        .value_kind:     hidden_remainder_x
      - .offset:         164
        .size:           2
        .value_kind:     hidden_remainder_y
      - .offset:         166
        .size:           2
        .value_kind:     hidden_remainder_z
      - .offset:         184
        .size:           8
        .value_kind:     hidden_global_offset_x
      - .offset:         192
        .size:           8
        .value_kind:     hidden_global_offset_y
      - .offset:         200
        .size:           8
        .value_kind:     hidden_global_offset_z
      - .offset:         208
        .size:           2
        .value_kind:     hidden_grid_dims
      - .offset:         224
        .size:           8
        .value_kind:     hidden_hostcall_buffer
    .group_segment_fixed_size: 8192
    .kernarg_segment_align: 8
    .kernarg_segment_size: 400
    .language:       OpenCL C
    .language_version:
      - 2
      - 0
    .max_flat_workgroup_size: 256
    .name:           _Z39paged_attention_ll4mi_QKV_mfma16_kernelI14__hip_bfloat16hLN4vllm18Fp8KVCacheDataTypeE1ES0_Li16ELi64ELi256ELb0ELi13EL8MFMAType1EEvPKT_PKT0_S9_ifPKiSB_SB_iPKfiiiPfSE_PS4_PT2_iSD_SD_
    .private_segment_fixed_size: 64
    .sgpr_count:     40
    .sgpr_spill_count: 0
    .symbol:         _Z39paged_attention_ll4mi_QKV_mfma16_kernelI14__hip_bfloat16hLN4vllm18Fp8KVCacheDataTypeE1ES0_Li16ELi64ELi256ELb0ELi13EL8MFMAType1EEvPKT_PKT0_S9_ifPKiSB_SB_iPKfiiiPfSE_PS4_PT2_iSD_SD_.kd
    .uniform_work_group_size: 1
    .uses_dynamic_stack: false
    .vgpr_count:     45
    .vgpr_spill_count: 0
    .wavefront_size: 64
  - .agpr_count:     1
    .args:
      - .actual_access:  read_only
        .address_space:  global
        .offset:         0
        .size:           8
        .value_kind:     global_buffer
      - .actual_access:  read_only
        .address_space:  global
        .offset:         8
        .size:           8
        .value_kind:     global_buffer
      - .actual_access:  read_only
        .address_space:  global
        .offset:         16
        .size:           8
        .value_kind:     global_buffer
      - .offset:         24
        .size:           4
        .value_kind:     by_value
      - .offset:         28
        .size:           4
        .value_kind:     by_value
      - .actual_access:  read_only
        .address_space:  global
        .offset:         32
        .size:           8
        .value_kind:     global_buffer
      - .actual_access:  read_only
        .address_space:  global
        .offset:         40
        .size:           8
        .value_kind:     global_buffer
      - .actual_access:  read_only
        .address_space:  global
        .offset:         48
        .size:           8
        .value_kind:     global_buffer
      - .offset:         56
        .size:           4
        .value_kind:     by_value
      - .actual_access:  read_only
        .address_space:  global
        .offset:         64
        .size:           8
        .value_kind:     global_buffer
      - .offset:         72
        .size:           4
        .value_kind:     by_value
      - .offset:         76
        .size:           4
        .value_kind:     by_value
      - .offset:         80
        .size:           4
        .value_kind:     by_value
      - .actual_access:  read_only
        .address_space:  global
        .offset:         88
        .size:           8
        .value_kind:     global_buffer
      - .actual_access:  read_only
        .address_space:  global
        .offset:         96
        .size:           8
        .value_kind:     global_buffer
      - .actual_access:  read_only
        .address_space:  global
        .offset:         104
        .size:           8
        .value_kind:     global_buffer
      - .actual_access:  read_only
        .address_space:  global
        .offset:         112
        .size:           8
        .value_kind:     global_buffer
      - .offset:         120
        .size:           4
        .value_kind:     by_value
      - .address_space:  global
        .offset:         128
        .size:           8
        .value_kind:     global_buffer
      - .address_space:  global
        .offset:         136
        .size:           8
        .value_kind:     global_buffer
      - .offset:         144
        .size:           4
        .value_kind:     hidden_block_count_x
      - .offset:         148
        .size:           4
        .value_kind:     hidden_block_count_y
      - .offset:         152
        .size:           4
        .value_kind:     hidden_block_count_z
      - .offset:         156
        .size:           2
        .value_kind:     hidden_group_size_x
      - .offset:         158
        .size:           2
        .value_kind:     hidden_group_size_y
      - .offset:         160
        .size:           2
        .value_kind:     hidden_group_size_z
      - .offset:         162
        .size:           2
        .value_kind:     hidden_remainder_x
      - .offset:         164
        .size:           2
        .value_kind:     hidden_remainder_y
      - .offset:         166
        .size:           2
        .value_kind:     hidden_remainder_z
      - .offset:         184
        .size:           8
        .value_kind:     hidden_global_offset_x
      - .offset:         192
        .size:           8
        .value_kind:     hidden_global_offset_y
      - .offset:         200
        .size:           8
        .value_kind:     hidden_global_offset_z
      - .offset:         208
        .size:           2
        .value_kind:     hidden_grid_dims
      - .offset:         224
        .size:           8
        .value_kind:     hidden_hostcall_buffer
    .group_segment_fixed_size: 8192
    .kernarg_segment_align: 8
    .kernarg_segment_size: 400
    .language:       OpenCL C
    .language_version:
      - 2
      - 0
    .max_flat_workgroup_size: 256
    .name:           _Z39paged_attention_ll4mi_QKV_mfma16_kernelI14__hip_bfloat16hLN4vllm18Fp8KVCacheDataTypeE1ES0_Li16ELi64ELi256ELb0ELi14EL8MFMAType1EEvPKT_PKT0_S9_ifPKiSB_SB_iPKfiiiPfSE_PS4_PT2_iSD_SD_
    .private_segment_fixed_size: 64
    .sgpr_count:     40
    .sgpr_spill_count: 0
    .symbol:         _Z39paged_attention_ll4mi_QKV_mfma16_kernelI14__hip_bfloat16hLN4vllm18Fp8KVCacheDataTypeE1ES0_Li16ELi64ELi256ELb0ELi14EL8MFMAType1EEvPKT_PKT0_S9_ifPKiSB_SB_iPKfiiiPfSE_PS4_PT2_iSD_SD_.kd
    .uniform_work_group_size: 1
    .uses_dynamic_stack: false
    .vgpr_count:     45
    .vgpr_spill_count: 0
    .wavefront_size: 64
  - .agpr_count:     1
    .args:
      - .actual_access:  read_only
        .address_space:  global
        .offset:         0
        .size:           8
        .value_kind:     global_buffer
      - .actual_access:  read_only
        .address_space:  global
        .offset:         8
        .size:           8
        .value_kind:     global_buffer
      - .actual_access:  read_only
        .address_space:  global
        .offset:         16
        .size:           8
        .value_kind:     global_buffer
      - .offset:         24
        .size:           4
        .value_kind:     by_value
      - .offset:         28
        .size:           4
        .value_kind:     by_value
      - .actual_access:  read_only
        .address_space:  global
        .offset:         32
        .size:           8
        .value_kind:     global_buffer
      - .actual_access:  read_only
        .address_space:  global
        .offset:         40
        .size:           8
        .value_kind:     global_buffer
      - .actual_access:  read_only
        .address_space:  global
        .offset:         48
        .size:           8
        .value_kind:     global_buffer
      - .offset:         56
        .size:           4
        .value_kind:     by_value
      - .actual_access:  read_only
        .address_space:  global
        .offset:         64
        .size:           8
        .value_kind:     global_buffer
      - .offset:         72
        .size:           4
        .value_kind:     by_value
      - .offset:         76
        .size:           4
        .value_kind:     by_value
      - .offset:         80
        .size:           4
        .value_kind:     by_value
      - .actual_access:  read_only
        .address_space:  global
        .offset:         88
        .size:           8
        .value_kind:     global_buffer
      - .actual_access:  read_only
        .address_space:  global
        .offset:         96
        .size:           8
        .value_kind:     global_buffer
      - .actual_access:  read_only
        .address_space:  global
        .offset:         104
        .size:           8
        .value_kind:     global_buffer
      - .actual_access:  read_only
        .address_space:  global
        .offset:         112
        .size:           8
        .value_kind:     global_buffer
      - .offset:         120
        .size:           4
        .value_kind:     by_value
      - .address_space:  global
        .offset:         128
        .size:           8
        .value_kind:     global_buffer
      - .address_space:  global
        .offset:         136
        .size:           8
        .value_kind:     global_buffer
      - .offset:         144
        .size:           4
        .value_kind:     hidden_block_count_x
      - .offset:         148
        .size:           4
        .value_kind:     hidden_block_count_y
      - .offset:         152
        .size:           4
        .value_kind:     hidden_block_count_z
      - .offset:         156
        .size:           2
        .value_kind:     hidden_group_size_x
      - .offset:         158
        .size:           2
        .value_kind:     hidden_group_size_y
      - .offset:         160
        .size:           2
        .value_kind:     hidden_group_size_z
      - .offset:         162
        .size:           2
        .value_kind:     hidden_remainder_x
      - .offset:         164
        .size:           2
        .value_kind:     hidden_remainder_y
      - .offset:         166
        .size:           2
        .value_kind:     hidden_remainder_z
      - .offset:         184
        .size:           8
        .value_kind:     hidden_global_offset_x
      - .offset:         192
        .size:           8
        .value_kind:     hidden_global_offset_y
      - .offset:         200
        .size:           8
        .value_kind:     hidden_global_offset_z
      - .offset:         208
        .size:           2
        .value_kind:     hidden_grid_dims
      - .offset:         224
        .size:           8
        .value_kind:     hidden_hostcall_buffer
    .group_segment_fixed_size: 8192
    .kernarg_segment_align: 8
    .kernarg_segment_size: 400
    .language:       OpenCL C
    .language_version:
      - 2
      - 0
    .max_flat_workgroup_size: 256
    .name:           _Z39paged_attention_ll4mi_QKV_mfma16_kernelI14__hip_bfloat16hLN4vllm18Fp8KVCacheDataTypeE1ES0_Li16ELi64ELi256ELb0ELi15EL8MFMAType1EEvPKT_PKT0_S9_ifPKiSB_SB_iPKfiiiPfSE_PS4_PT2_iSD_SD_
    .private_segment_fixed_size: 64
    .sgpr_count:     40
    .sgpr_spill_count: 0
    .symbol:         _Z39paged_attention_ll4mi_QKV_mfma16_kernelI14__hip_bfloat16hLN4vllm18Fp8KVCacheDataTypeE1ES0_Li16ELi64ELi256ELb0ELi15EL8MFMAType1EEvPKT_PKT0_S9_ifPKiSB_SB_iPKfiiiPfSE_PS4_PT2_iSD_SD_.kd
    .uniform_work_group_size: 1
    .uses_dynamic_stack: false
    .vgpr_count:     45
    .vgpr_spill_count: 0
    .wavefront_size: 64
  - .agpr_count:     1
    .args:
      - .actual_access:  read_only
        .address_space:  global
        .offset:         0
        .size:           8
        .value_kind:     global_buffer
      - .actual_access:  read_only
        .address_space:  global
        .offset:         8
        .size:           8
        .value_kind:     global_buffer
      - .actual_access:  read_only
        .address_space:  global
        .offset:         16
        .size:           8
        .value_kind:     global_buffer
      - .offset:         24
        .size:           4
        .value_kind:     by_value
      - .offset:         28
        .size:           4
        .value_kind:     by_value
      - .actual_access:  read_only
        .address_space:  global
        .offset:         32
        .size:           8
        .value_kind:     global_buffer
      - .actual_access:  read_only
        .address_space:  global
        .offset:         40
        .size:           8
        .value_kind:     global_buffer
      - .actual_access:  read_only
        .address_space:  global
        .offset:         48
        .size:           8
        .value_kind:     global_buffer
      - .offset:         56
        .size:           4
        .value_kind:     by_value
      - .actual_access:  read_only
        .address_space:  global
        .offset:         64
        .size:           8
        .value_kind:     global_buffer
      - .offset:         72
        .size:           4
        .value_kind:     by_value
      - .offset:         76
        .size:           4
        .value_kind:     by_value
      - .offset:         80
        .size:           4
        .value_kind:     by_value
      - .actual_access:  read_only
        .address_space:  global
        .offset:         88
        .size:           8
        .value_kind:     global_buffer
      - .actual_access:  read_only
        .address_space:  global
        .offset:         96
        .size:           8
        .value_kind:     global_buffer
      - .actual_access:  read_only
        .address_space:  global
        .offset:         104
        .size:           8
        .value_kind:     global_buffer
      - .actual_access:  read_only
        .address_space:  global
        .offset:         112
        .size:           8
        .value_kind:     global_buffer
      - .offset:         120
        .size:           4
        .value_kind:     by_value
      - .address_space:  global
        .offset:         128
        .size:           8
        .value_kind:     global_buffer
      - .address_space:  global
        .offset:         136
        .size:           8
        .value_kind:     global_buffer
      - .offset:         144
        .size:           4
        .value_kind:     hidden_block_count_x
      - .offset:         148
        .size:           4
        .value_kind:     hidden_block_count_y
      - .offset:         152
        .size:           4
        .value_kind:     hidden_block_count_z
      - .offset:         156
        .size:           2
        .value_kind:     hidden_group_size_x
      - .offset:         158
        .size:           2
        .value_kind:     hidden_group_size_y
      - .offset:         160
        .size:           2
        .value_kind:     hidden_group_size_z
      - .offset:         162
        .size:           2
        .value_kind:     hidden_remainder_x
      - .offset:         164
        .size:           2
        .value_kind:     hidden_remainder_y
      - .offset:         166
        .size:           2
        .value_kind:     hidden_remainder_z
      - .offset:         184
        .size:           8
        .value_kind:     hidden_global_offset_x
      - .offset:         192
        .size:           8
        .value_kind:     hidden_global_offset_y
      - .offset:         200
        .size:           8
        .value_kind:     hidden_global_offset_z
      - .offset:         208
        .size:           2
        .value_kind:     hidden_grid_dims
      - .offset:         224
        .size:           8
        .value_kind:     hidden_hostcall_buffer
    .group_segment_fixed_size: 8192
    .kernarg_segment_align: 8
    .kernarg_segment_size: 400
    .language:       OpenCL C
    .language_version:
      - 2
      - 0
    .max_flat_workgroup_size: 256
    .name:           _Z39paged_attention_ll4mi_QKV_mfma16_kernelI14__hip_bfloat16hLN4vllm18Fp8KVCacheDataTypeE1ES0_Li16ELi64ELi256ELb0ELi16EL8MFMAType1EEvPKT_PKT0_S9_ifPKiSB_SB_iPKfiiiPfSE_PS4_PT2_iSD_SD_
    .private_segment_fixed_size: 64
    .sgpr_count:     40
    .sgpr_spill_count: 0
    .symbol:         _Z39paged_attention_ll4mi_QKV_mfma16_kernelI14__hip_bfloat16hLN4vllm18Fp8KVCacheDataTypeE1ES0_Li16ELi64ELi256ELb0ELi16EL8MFMAType1EEvPKT_PKT0_S9_ifPKiSB_SB_iPKfiiiPfSE_PS4_PT2_iSD_SD_.kd
    .uniform_work_group_size: 1
    .uses_dynamic_stack: false
    .vgpr_count:     45
    .vgpr_spill_count: 0
    .wavefront_size: 64
  - .agpr_count:     1
    .args:
      - .actual_access:  read_only
        .address_space:  global
        .offset:         0
        .size:           8
        .value_kind:     global_buffer
      - .actual_access:  read_only
        .address_space:  global
        .offset:         8
        .size:           8
        .value_kind:     global_buffer
      - .actual_access:  read_only
        .address_space:  global
        .offset:         16
        .size:           8
        .value_kind:     global_buffer
      - .offset:         24
        .size:           4
        .value_kind:     by_value
      - .offset:         28
        .size:           4
        .value_kind:     by_value
      - .actual_access:  read_only
        .address_space:  global
        .offset:         32
        .size:           8
        .value_kind:     global_buffer
      - .actual_access:  read_only
        .address_space:  global
        .offset:         40
        .size:           8
        .value_kind:     global_buffer
      - .actual_access:  read_only
        .address_space:  global
        .offset:         48
        .size:           8
        .value_kind:     global_buffer
      - .offset:         56
        .size:           4
        .value_kind:     by_value
      - .actual_access:  read_only
        .address_space:  global
        .offset:         64
        .size:           8
        .value_kind:     global_buffer
      - .offset:         72
        .size:           4
        .value_kind:     by_value
      - .offset:         76
        .size:           4
        .value_kind:     by_value
      - .offset:         80
        .size:           4
        .value_kind:     by_value
      - .actual_access:  read_only
        .address_space:  global
        .offset:         88
        .size:           8
        .value_kind:     global_buffer
      - .actual_access:  read_only
        .address_space:  global
        .offset:         96
        .size:           8
        .value_kind:     global_buffer
      - .actual_access:  read_only
        .address_space:  global
        .offset:         104
        .size:           8
        .value_kind:     global_buffer
      - .actual_access:  read_only
        .address_space:  global
        .offset:         112
        .size:           8
        .value_kind:     global_buffer
      - .offset:         120
        .size:           4
        .value_kind:     by_value
      - .address_space:  global
        .offset:         128
        .size:           8
        .value_kind:     global_buffer
      - .address_space:  global
        .offset:         136
        .size:           8
        .value_kind:     global_buffer
      - .offset:         144
        .size:           4
        .value_kind:     hidden_block_count_x
      - .offset:         148
        .size:           4
        .value_kind:     hidden_block_count_y
      - .offset:         152
        .size:           4
        .value_kind:     hidden_block_count_z
      - .offset:         156
        .size:           2
        .value_kind:     hidden_group_size_x
      - .offset:         158
        .size:           2
        .value_kind:     hidden_group_size_y
      - .offset:         160
        .size:           2
        .value_kind:     hidden_group_size_z
      - .offset:         162
        .size:           2
        .value_kind:     hidden_remainder_x
      - .offset:         164
        .size:           2
        .value_kind:     hidden_remainder_y
      - .offset:         166
        .size:           2
        .value_kind:     hidden_remainder_z
      - .offset:         184
        .size:           8
        .value_kind:     hidden_global_offset_x
      - .offset:         192
        .size:           8
        .value_kind:     hidden_global_offset_y
      - .offset:         200
        .size:           8
        .value_kind:     hidden_global_offset_z
      - .offset:         208
        .size:           2
        .value_kind:     hidden_grid_dims
      - .offset:         224
        .size:           8
        .value_kind:     hidden_hostcall_buffer
    .group_segment_fixed_size: 8192
    .kernarg_segment_align: 8
    .kernarg_segment_size: 400
    .language:       OpenCL C
    .language_version:
      - 2
      - 0
    .max_flat_workgroup_size: 256
    .name:           _Z39paged_attention_ll4mi_QKV_mfma16_kernelI14__hip_bfloat16hLN4vllm18Fp8KVCacheDataTypeE1ES0_Li16ELi64ELi256ELb0ELi1EL8MFMAType1EEvPKT_PKT0_S9_ifPKiSB_SB_iPKfiiiPfSE_PS4_PT2_iSD_SD_
    .private_segment_fixed_size: 64
    .sgpr_count:     40
    .sgpr_spill_count: 0
    .symbol:         _Z39paged_attention_ll4mi_QKV_mfma16_kernelI14__hip_bfloat16hLN4vllm18Fp8KVCacheDataTypeE1ES0_Li16ELi64ELi256ELb0ELi1EL8MFMAType1EEvPKT_PKT0_S9_ifPKiSB_SB_iPKfiiiPfSE_PS4_PT2_iSD_SD_.kd
    .uniform_work_group_size: 1
    .uses_dynamic_stack: false
    .vgpr_count:     45
    .vgpr_spill_count: 0
    .wavefront_size: 64
  - .agpr_count:     1
    .args:
      - .actual_access:  read_only
        .address_space:  global
        .offset:         0
        .size:           8
        .value_kind:     global_buffer
      - .actual_access:  read_only
        .address_space:  global
        .offset:         8
        .size:           8
        .value_kind:     global_buffer
      - .actual_access:  read_only
        .address_space:  global
        .offset:         16
        .size:           8
        .value_kind:     global_buffer
      - .offset:         24
        .size:           4
        .value_kind:     by_value
      - .offset:         28
        .size:           4
        .value_kind:     by_value
      - .actual_access:  read_only
        .address_space:  global
        .offset:         32
        .size:           8
        .value_kind:     global_buffer
      - .actual_access:  read_only
        .address_space:  global
        .offset:         40
        .size:           8
        .value_kind:     global_buffer
      - .actual_access:  read_only
        .address_space:  global
        .offset:         48
        .size:           8
        .value_kind:     global_buffer
      - .offset:         56
        .size:           4
        .value_kind:     by_value
      - .actual_access:  read_only
        .address_space:  global
        .offset:         64
        .size:           8
        .value_kind:     global_buffer
      - .offset:         72
        .size:           4
        .value_kind:     by_value
      - .offset:         76
        .size:           4
        .value_kind:     by_value
      - .offset:         80
        .size:           4
        .value_kind:     by_value
      - .actual_access:  read_only
        .address_space:  global
        .offset:         88
        .size:           8
        .value_kind:     global_buffer
      - .actual_access:  read_only
        .address_space:  global
        .offset:         96
        .size:           8
        .value_kind:     global_buffer
      - .actual_access:  read_only
        .address_space:  global
        .offset:         104
        .size:           8
        .value_kind:     global_buffer
      - .actual_access:  read_only
        .address_space:  global
        .offset:         112
        .size:           8
        .value_kind:     global_buffer
      - .offset:         120
        .size:           4
        .value_kind:     by_value
      - .address_space:  global
        .offset:         128
        .size:           8
        .value_kind:     global_buffer
      - .address_space:  global
        .offset:         136
        .size:           8
        .value_kind:     global_buffer
      - .offset:         144
        .size:           4
        .value_kind:     hidden_block_count_x
      - .offset:         148
        .size:           4
        .value_kind:     hidden_block_count_y
      - .offset:         152
        .size:           4
        .value_kind:     hidden_block_count_z
      - .offset:         156
        .size:           2
        .value_kind:     hidden_group_size_x
      - .offset:         158
        .size:           2
        .value_kind:     hidden_group_size_y
      - .offset:         160
        .size:           2
        .value_kind:     hidden_group_size_z
      - .offset:         162
        .size:           2
        .value_kind:     hidden_remainder_x
      - .offset:         164
        .size:           2
        .value_kind:     hidden_remainder_y
      - .offset:         166
        .size:           2
        .value_kind:     hidden_remainder_z
      - .offset:         184
        .size:           8
        .value_kind:     hidden_global_offset_x
      - .offset:         192
        .size:           8
        .value_kind:     hidden_global_offset_y
      - .offset:         200
        .size:           8
        .value_kind:     hidden_global_offset_z
      - .offset:         208
        .size:           2
        .value_kind:     hidden_grid_dims
      - .offset:         224
        .size:           8
        .value_kind:     hidden_hostcall_buffer
    .group_segment_fixed_size: 8192
    .kernarg_segment_align: 8
    .kernarg_segment_size: 400
    .language:       OpenCL C
    .language_version:
      - 2
      - 0
    .max_flat_workgroup_size: 256
    .name:           _Z39paged_attention_ll4mi_QKV_mfma16_kernelI14__hip_bfloat16hLN4vllm18Fp8KVCacheDataTypeE1ES0_Li16ELi64ELi256ELb0ELi2EL8MFMAType1EEvPKT_PKT0_S9_ifPKiSB_SB_iPKfiiiPfSE_PS4_PT2_iSD_SD_
    .private_segment_fixed_size: 64
    .sgpr_count:     40
    .sgpr_spill_count: 0
    .symbol:         _Z39paged_attention_ll4mi_QKV_mfma16_kernelI14__hip_bfloat16hLN4vllm18Fp8KVCacheDataTypeE1ES0_Li16ELi64ELi256ELb0ELi2EL8MFMAType1EEvPKT_PKT0_S9_ifPKiSB_SB_iPKfiiiPfSE_PS4_PT2_iSD_SD_.kd
    .uniform_work_group_size: 1
    .uses_dynamic_stack: false
    .vgpr_count:     45
    .vgpr_spill_count: 0
    .wavefront_size: 64
  - .agpr_count:     1
    .args:
      - .actual_access:  read_only
        .address_space:  global
        .offset:         0
        .size:           8
        .value_kind:     global_buffer
      - .actual_access:  read_only
        .address_space:  global
        .offset:         8
        .size:           8
        .value_kind:     global_buffer
      - .actual_access:  read_only
        .address_space:  global
        .offset:         16
        .size:           8
        .value_kind:     global_buffer
      - .offset:         24
        .size:           4
        .value_kind:     by_value
      - .offset:         28
        .size:           4
        .value_kind:     by_value
      - .actual_access:  read_only
        .address_space:  global
        .offset:         32
        .size:           8
        .value_kind:     global_buffer
      - .actual_access:  read_only
        .address_space:  global
        .offset:         40
        .size:           8
        .value_kind:     global_buffer
      - .actual_access:  read_only
        .address_space:  global
        .offset:         48
        .size:           8
        .value_kind:     global_buffer
      - .offset:         56
        .size:           4
        .value_kind:     by_value
      - .actual_access:  read_only
        .address_space:  global
        .offset:         64
        .size:           8
        .value_kind:     global_buffer
      - .offset:         72
        .size:           4
        .value_kind:     by_value
      - .offset:         76
        .size:           4
        .value_kind:     by_value
      - .offset:         80
        .size:           4
        .value_kind:     by_value
      - .actual_access:  read_only
        .address_space:  global
        .offset:         88
        .size:           8
        .value_kind:     global_buffer
      - .actual_access:  read_only
        .address_space:  global
        .offset:         96
        .size:           8
        .value_kind:     global_buffer
      - .actual_access:  read_only
        .address_space:  global
        .offset:         104
        .size:           8
        .value_kind:     global_buffer
      - .actual_access:  read_only
        .address_space:  global
        .offset:         112
        .size:           8
        .value_kind:     global_buffer
      - .offset:         120
        .size:           4
        .value_kind:     by_value
      - .address_space:  global
        .offset:         128
        .size:           8
        .value_kind:     global_buffer
      - .address_space:  global
        .offset:         136
        .size:           8
        .value_kind:     global_buffer
      - .offset:         144
        .size:           4
        .value_kind:     hidden_block_count_x
      - .offset:         148
        .size:           4
        .value_kind:     hidden_block_count_y
      - .offset:         152
        .size:           4
        .value_kind:     hidden_block_count_z
      - .offset:         156
        .size:           2
        .value_kind:     hidden_group_size_x
      - .offset:         158
        .size:           2
        .value_kind:     hidden_group_size_y
      - .offset:         160
        .size:           2
        .value_kind:     hidden_group_size_z
      - .offset:         162
        .size:           2
        .value_kind:     hidden_remainder_x
      - .offset:         164
        .size:           2
        .value_kind:     hidden_remainder_y
      - .offset:         166
        .size:           2
        .value_kind:     hidden_remainder_z
      - .offset:         184
        .size:           8
        .value_kind:     hidden_global_offset_x
      - .offset:         192
        .size:           8
        .value_kind:     hidden_global_offset_y
      - .offset:         200
        .size:           8
        .value_kind:     hidden_global_offset_z
      - .offset:         208
        .size:           2
        .value_kind:     hidden_grid_dims
      - .offset:         224
        .size:           8
        .value_kind:     hidden_hostcall_buffer
    .group_segment_fixed_size: 8192
    .kernarg_segment_align: 8
    .kernarg_segment_size: 400
    .language:       OpenCL C
    .language_version:
      - 2
      - 0
    .max_flat_workgroup_size: 256
    .name:           _Z39paged_attention_ll4mi_QKV_mfma16_kernelI14__hip_bfloat16hLN4vllm18Fp8KVCacheDataTypeE1ES0_Li16ELi64ELi256ELb0ELi3EL8MFMAType1EEvPKT_PKT0_S9_ifPKiSB_SB_iPKfiiiPfSE_PS4_PT2_iSD_SD_
    .private_segment_fixed_size: 64
    .sgpr_count:     40
    .sgpr_spill_count: 0
    .symbol:         _Z39paged_attention_ll4mi_QKV_mfma16_kernelI14__hip_bfloat16hLN4vllm18Fp8KVCacheDataTypeE1ES0_Li16ELi64ELi256ELb0ELi3EL8MFMAType1EEvPKT_PKT0_S9_ifPKiSB_SB_iPKfiiiPfSE_PS4_PT2_iSD_SD_.kd
    .uniform_work_group_size: 1
    .uses_dynamic_stack: false
    .vgpr_count:     45
    .vgpr_spill_count: 0
    .wavefront_size: 64
  - .agpr_count:     1
    .args:
      - .actual_access:  read_only
        .address_space:  global
        .offset:         0
        .size:           8
        .value_kind:     global_buffer
      - .actual_access:  read_only
        .address_space:  global
        .offset:         8
        .size:           8
        .value_kind:     global_buffer
      - .actual_access:  read_only
        .address_space:  global
        .offset:         16
        .size:           8
        .value_kind:     global_buffer
      - .offset:         24
        .size:           4
        .value_kind:     by_value
      - .offset:         28
        .size:           4
        .value_kind:     by_value
      - .actual_access:  read_only
        .address_space:  global
        .offset:         32
        .size:           8
        .value_kind:     global_buffer
      - .actual_access:  read_only
        .address_space:  global
        .offset:         40
        .size:           8
        .value_kind:     global_buffer
      - .actual_access:  read_only
        .address_space:  global
        .offset:         48
        .size:           8
        .value_kind:     global_buffer
      - .offset:         56
        .size:           4
        .value_kind:     by_value
      - .actual_access:  read_only
        .address_space:  global
        .offset:         64
        .size:           8
        .value_kind:     global_buffer
      - .offset:         72
        .size:           4
        .value_kind:     by_value
      - .offset:         76
        .size:           4
        .value_kind:     by_value
      - .offset:         80
        .size:           4
        .value_kind:     by_value
      - .actual_access:  read_only
        .address_space:  global
        .offset:         88
        .size:           8
        .value_kind:     global_buffer
      - .actual_access:  read_only
        .address_space:  global
        .offset:         96
        .size:           8
        .value_kind:     global_buffer
      - .actual_access:  read_only
        .address_space:  global
        .offset:         104
        .size:           8
        .value_kind:     global_buffer
      - .actual_access:  read_only
        .address_space:  global
        .offset:         112
        .size:           8
        .value_kind:     global_buffer
      - .offset:         120
        .size:           4
        .value_kind:     by_value
      - .address_space:  global
        .offset:         128
        .size:           8
        .value_kind:     global_buffer
      - .address_space:  global
        .offset:         136
        .size:           8
        .value_kind:     global_buffer
      - .offset:         144
        .size:           4
        .value_kind:     hidden_block_count_x
      - .offset:         148
        .size:           4
        .value_kind:     hidden_block_count_y
      - .offset:         152
        .size:           4
        .value_kind:     hidden_block_count_z
      - .offset:         156
        .size:           2
        .value_kind:     hidden_group_size_x
      - .offset:         158
        .size:           2
        .value_kind:     hidden_group_size_y
      - .offset:         160
        .size:           2
        .value_kind:     hidden_group_size_z
      - .offset:         162
        .size:           2
        .value_kind:     hidden_remainder_x
      - .offset:         164
        .size:           2
        .value_kind:     hidden_remainder_y
      - .offset:         166
        .size:           2
        .value_kind:     hidden_remainder_z
      - .offset:         184
        .size:           8
        .value_kind:     hidden_global_offset_x
      - .offset:         192
        .size:           8
        .value_kind:     hidden_global_offset_y
      - .offset:         200
        .size:           8
        .value_kind:     hidden_global_offset_z
      - .offset:         208
        .size:           2
        .value_kind:     hidden_grid_dims
      - .offset:         224
        .size:           8
        .value_kind:     hidden_hostcall_buffer
    .group_segment_fixed_size: 8192
    .kernarg_segment_align: 8
    .kernarg_segment_size: 400
    .language:       OpenCL C
    .language_version:
      - 2
      - 0
    .max_flat_workgroup_size: 256
    .name:           _Z39paged_attention_ll4mi_QKV_mfma16_kernelI14__hip_bfloat16hLN4vllm18Fp8KVCacheDataTypeE1ES0_Li16ELi64ELi256ELb0ELi4EL8MFMAType1EEvPKT_PKT0_S9_ifPKiSB_SB_iPKfiiiPfSE_PS4_PT2_iSD_SD_
    .private_segment_fixed_size: 64
    .sgpr_count:     40
    .sgpr_spill_count: 0
    .symbol:         _Z39paged_attention_ll4mi_QKV_mfma16_kernelI14__hip_bfloat16hLN4vllm18Fp8KVCacheDataTypeE1ES0_Li16ELi64ELi256ELb0ELi4EL8MFMAType1EEvPKT_PKT0_S9_ifPKiSB_SB_iPKfiiiPfSE_PS4_PT2_iSD_SD_.kd
    .uniform_work_group_size: 1
    .uses_dynamic_stack: false
    .vgpr_count:     45
    .vgpr_spill_count: 0
    .wavefront_size: 64
  - .agpr_count:     4
    .args:
      - .actual_access:  read_only
        .address_space:  global
        .offset:         0
        .size:           8
        .value_kind:     global_buffer
      - .actual_access:  read_only
        .address_space:  global
        .offset:         8
        .size:           8
        .value_kind:     global_buffer
      - .actual_access:  read_only
        .address_space:  global
        .offset:         16
        .size:           8
        .value_kind:     global_buffer
      - .offset:         24
        .size:           4
        .value_kind:     by_value
      - .offset:         28
        .size:           4
        .value_kind:     by_value
      - .actual_access:  read_only
        .address_space:  global
        .offset:         32
        .size:           8
        .value_kind:     global_buffer
      - .actual_access:  read_only
        .address_space:  global
        .offset:         40
        .size:           8
        .value_kind:     global_buffer
      - .actual_access:  read_only
        .address_space:  global
        .offset:         48
        .size:           8
        .value_kind:     global_buffer
      - .offset:         56
        .size:           4
        .value_kind:     by_value
      - .actual_access:  read_only
        .address_space:  global
        .offset:         64
        .size:           8
        .value_kind:     global_buffer
      - .offset:         72
        .size:           4
        .value_kind:     by_value
      - .offset:         76
        .size:           4
        .value_kind:     by_value
      - .offset:         80
        .size:           4
        .value_kind:     by_value
      - .actual_access:  write_only
        .address_space:  global
        .offset:         88
        .size:           8
        .value_kind:     global_buffer
      - .actual_access:  write_only
        .address_space:  global
        .offset:         96
        .size:           8
        .value_kind:     global_buffer
      - .actual_access:  write_only
        .address_space:  global
        .offset:         104
        .size:           8
        .value_kind:     global_buffer
      - .actual_access:  read_only
        .address_space:  global
        .offset:         112
        .size:           8
        .value_kind:     global_buffer
      - .offset:         120
        .size:           4
        .value_kind:     by_value
      - .address_space:  global
        .offset:         128
        .size:           8
        .value_kind:     global_buffer
      - .address_space:  global
        .offset:         136
        .size:           8
        .value_kind:     global_buffer
      - .offset:         144
        .size:           4
        .value_kind:     hidden_block_count_x
      - .offset:         148
        .size:           4
        .value_kind:     hidden_block_count_y
      - .offset:         152
        .size:           4
        .value_kind:     hidden_block_count_z
      - .offset:         156
        .size:           2
        .value_kind:     hidden_group_size_x
      - .offset:         158
        .size:           2
        .value_kind:     hidden_group_size_y
      - .offset:         160
        .size:           2
        .value_kind:     hidden_group_size_z
      - .offset:         162
        .size:           2
        .value_kind:     hidden_remainder_x
      - .offset:         164
        .size:           2
        .value_kind:     hidden_remainder_y
      - .offset:         166
        .size:           2
        .value_kind:     hidden_remainder_z
      - .offset:         184
        .size:           8
        .value_kind:     hidden_global_offset_x
      - .offset:         192
        .size:           8
        .value_kind:     hidden_global_offset_y
      - .offset:         200
        .size:           8
        .value_kind:     hidden_global_offset_z
      - .offset:         208
        .size:           2
        .value_kind:     hidden_grid_dims
    .group_segment_fixed_size: 2720
    .kernarg_segment_align: 8
    .kernarg_segment_size: 400
    .language:       OpenCL C
    .language_version:
      - 2
      - 0
    .max_flat_workgroup_size: 256
    .name:           _Z38paged_attention_ll4mi_QKV_mfma4_kernelI14__hip_bfloat16hLN4vllm18Fp8KVCacheDataTypeE1ES0_Li32ELi64ELi256ELb1ELi1EEvPKT_PKT0_S8_ifPKiSA_SA_iPKfiiiPfSD_PS3_PT2_iSC_SC_
    .private_segment_fixed_size: 0
    .sgpr_count:     46
    .sgpr_spill_count: 0
    .symbol:         _Z38paged_attention_ll4mi_QKV_mfma4_kernelI14__hip_bfloat16hLN4vllm18Fp8KVCacheDataTypeE1ES0_Li32ELi64ELi256ELb1ELi1EEvPKT_PKT0_S8_ifPKiSA_SA_iPKfiiiPfSD_PS3_PT2_iSC_SC_.kd
    .uniform_work_group_size: 1
    .uses_dynamic_stack: false
    .vgpr_count:     60
    .vgpr_spill_count: 0
    .wavefront_size: 64
  - .agpr_count:     4
    .args:
      - .actual_access:  read_only
        .address_space:  global
        .offset:         0
        .size:           8
        .value_kind:     global_buffer
      - .actual_access:  read_only
        .address_space:  global
        .offset:         8
        .size:           8
        .value_kind:     global_buffer
      - .actual_access:  read_only
        .address_space:  global
        .offset:         16
        .size:           8
        .value_kind:     global_buffer
      - .offset:         24
        .size:           4
        .value_kind:     by_value
      - .offset:         28
        .size:           4
        .value_kind:     by_value
      - .actual_access:  read_only
        .address_space:  global
        .offset:         32
        .size:           8
        .value_kind:     global_buffer
      - .actual_access:  read_only
        .address_space:  global
        .offset:         40
        .size:           8
        .value_kind:     global_buffer
      - .actual_access:  read_only
        .address_space:  global
        .offset:         48
        .size:           8
        .value_kind:     global_buffer
      - .offset:         56
        .size:           4
        .value_kind:     by_value
      - .actual_access:  read_only
        .address_space:  global
        .offset:         64
        .size:           8
        .value_kind:     global_buffer
      - .offset:         72
        .size:           4
        .value_kind:     by_value
      - .offset:         76
        .size:           4
        .value_kind:     by_value
      - .offset:         80
        .size:           4
        .value_kind:     by_value
      - .actual_access:  write_only
        .address_space:  global
        .offset:         88
        .size:           8
        .value_kind:     global_buffer
      - .actual_access:  write_only
        .address_space:  global
        .offset:         96
        .size:           8
        .value_kind:     global_buffer
      - .actual_access:  write_only
        .address_space:  global
        .offset:         104
        .size:           8
        .value_kind:     global_buffer
      - .actual_access:  read_only
        .address_space:  global
        .offset:         112
        .size:           8
        .value_kind:     global_buffer
      - .offset:         120
        .size:           4
        .value_kind:     by_value
      - .address_space:  global
        .offset:         128
        .size:           8
        .value_kind:     global_buffer
      - .address_space:  global
        .offset:         136
        .size:           8
        .value_kind:     global_buffer
      - .offset:         144
        .size:           4
        .value_kind:     hidden_block_count_x
      - .offset:         148
        .size:           4
        .value_kind:     hidden_block_count_y
      - .offset:         152
        .size:           4
        .value_kind:     hidden_block_count_z
      - .offset:         156
        .size:           2
        .value_kind:     hidden_group_size_x
      - .offset:         158
        .size:           2
        .value_kind:     hidden_group_size_y
      - .offset:         160
        .size:           2
        .value_kind:     hidden_group_size_z
      - .offset:         162
        .size:           2
        .value_kind:     hidden_remainder_x
      - .offset:         164
        .size:           2
        .value_kind:     hidden_remainder_y
      - .offset:         166
        .size:           2
        .value_kind:     hidden_remainder_z
      - .offset:         184
        .size:           8
        .value_kind:     hidden_global_offset_x
      - .offset:         192
        .size:           8
        .value_kind:     hidden_global_offset_y
      - .offset:         200
        .size:           8
        .value_kind:     hidden_global_offset_z
      - .offset:         208
        .size:           2
        .value_kind:     hidden_grid_dims
    .group_segment_fixed_size: 2720
    .kernarg_segment_align: 8
    .kernarg_segment_size: 400
    .language:       OpenCL C
    .language_version:
      - 2
      - 0
    .max_flat_workgroup_size: 256
    .name:           _Z38paged_attention_ll4mi_QKV_mfma4_kernelI14__hip_bfloat16hLN4vllm18Fp8KVCacheDataTypeE1ES0_Li32ELi64ELi256ELb1ELi2EEvPKT_PKT0_S8_ifPKiSA_SA_iPKfiiiPfSD_PS3_PT2_iSC_SC_
    .private_segment_fixed_size: 0
    .sgpr_count:     48
    .sgpr_spill_count: 0
    .symbol:         _Z38paged_attention_ll4mi_QKV_mfma4_kernelI14__hip_bfloat16hLN4vllm18Fp8KVCacheDataTypeE1ES0_Li32ELi64ELi256ELb1ELi2EEvPKT_PKT0_S8_ifPKiSA_SA_iPKfiiiPfSD_PS3_PT2_iSC_SC_.kd
    .uniform_work_group_size: 1
    .uses_dynamic_stack: false
    .vgpr_count:     60
    .vgpr_spill_count: 0
    .wavefront_size: 64
  - .agpr_count:     4
    .args:
      - .actual_access:  read_only
        .address_space:  global
        .offset:         0
        .size:           8
        .value_kind:     global_buffer
      - .actual_access:  read_only
        .address_space:  global
        .offset:         8
        .size:           8
        .value_kind:     global_buffer
      - .actual_access:  read_only
        .address_space:  global
        .offset:         16
        .size:           8
        .value_kind:     global_buffer
      - .offset:         24
        .size:           4
        .value_kind:     by_value
      - .offset:         28
        .size:           4
        .value_kind:     by_value
      - .actual_access:  read_only
        .address_space:  global
        .offset:         32
        .size:           8
        .value_kind:     global_buffer
      - .actual_access:  read_only
        .address_space:  global
        .offset:         40
        .size:           8
        .value_kind:     global_buffer
      - .actual_access:  read_only
        .address_space:  global
        .offset:         48
        .size:           8
        .value_kind:     global_buffer
      - .offset:         56
        .size:           4
        .value_kind:     by_value
      - .actual_access:  read_only
        .address_space:  global
        .offset:         64
        .size:           8
        .value_kind:     global_buffer
      - .offset:         72
        .size:           4
        .value_kind:     by_value
      - .offset:         76
        .size:           4
        .value_kind:     by_value
      - .offset:         80
        .size:           4
        .value_kind:     by_value
      - .actual_access:  write_only
        .address_space:  global
        .offset:         88
        .size:           8
        .value_kind:     global_buffer
      - .actual_access:  write_only
        .address_space:  global
        .offset:         96
        .size:           8
        .value_kind:     global_buffer
      - .actual_access:  write_only
        .address_space:  global
        .offset:         104
        .size:           8
        .value_kind:     global_buffer
      - .actual_access:  read_only
        .address_space:  global
        .offset:         112
        .size:           8
        .value_kind:     global_buffer
      - .offset:         120
        .size:           4
        .value_kind:     by_value
      - .address_space:  global
        .offset:         128
        .size:           8
        .value_kind:     global_buffer
      - .address_space:  global
        .offset:         136
        .size:           8
        .value_kind:     global_buffer
      - .offset:         144
        .size:           4
        .value_kind:     hidden_block_count_x
      - .offset:         148
        .size:           4
        .value_kind:     hidden_block_count_y
      - .offset:         152
        .size:           4
        .value_kind:     hidden_block_count_z
      - .offset:         156
        .size:           2
        .value_kind:     hidden_group_size_x
      - .offset:         158
        .size:           2
        .value_kind:     hidden_group_size_y
      - .offset:         160
        .size:           2
        .value_kind:     hidden_group_size_z
      - .offset:         162
        .size:           2
        .value_kind:     hidden_remainder_x
      - .offset:         164
        .size:           2
        .value_kind:     hidden_remainder_y
      - .offset:         166
        .size:           2
        .value_kind:     hidden_remainder_z
      - .offset:         184
        .size:           8
        .value_kind:     hidden_global_offset_x
      - .offset:         192
        .size:           8
        .value_kind:     hidden_global_offset_y
      - .offset:         200
        .size:           8
        .value_kind:     hidden_global_offset_z
      - .offset:         208
        .size:           2
        .value_kind:     hidden_grid_dims
    .group_segment_fixed_size: 2720
    .kernarg_segment_align: 8
    .kernarg_segment_size: 400
    .language:       OpenCL C
    .language_version:
      - 2
      - 0
    .max_flat_workgroup_size: 256
    .name:           _Z38paged_attention_ll4mi_QKV_mfma4_kernelI14__hip_bfloat16hLN4vllm18Fp8KVCacheDataTypeE1ES0_Li32ELi64ELi256ELb1ELi3EEvPKT_PKT0_S8_ifPKiSA_SA_iPKfiiiPfSD_PS3_PT2_iSC_SC_
    .private_segment_fixed_size: 0
    .sgpr_count:     50
    .sgpr_spill_count: 0
    .symbol:         _Z38paged_attention_ll4mi_QKV_mfma4_kernelI14__hip_bfloat16hLN4vllm18Fp8KVCacheDataTypeE1ES0_Li32ELi64ELi256ELb1ELi3EEvPKT_PKT0_S8_ifPKiSA_SA_iPKfiiiPfSD_PS3_PT2_iSC_SC_.kd
    .uniform_work_group_size: 1
    .uses_dynamic_stack: false
    .vgpr_count:     60
    .vgpr_spill_count: 0
    .wavefront_size: 64
  - .agpr_count:     4
    .args:
      - .actual_access:  read_only
        .address_space:  global
        .offset:         0
        .size:           8
        .value_kind:     global_buffer
      - .actual_access:  read_only
        .address_space:  global
        .offset:         8
        .size:           8
        .value_kind:     global_buffer
      - .actual_access:  read_only
        .address_space:  global
        .offset:         16
        .size:           8
        .value_kind:     global_buffer
      - .offset:         24
        .size:           4
        .value_kind:     by_value
      - .offset:         28
        .size:           4
        .value_kind:     by_value
      - .actual_access:  read_only
        .address_space:  global
        .offset:         32
        .size:           8
        .value_kind:     global_buffer
      - .actual_access:  read_only
        .address_space:  global
        .offset:         40
        .size:           8
        .value_kind:     global_buffer
      - .actual_access:  read_only
        .address_space:  global
        .offset:         48
        .size:           8
        .value_kind:     global_buffer
      - .offset:         56
        .size:           4
        .value_kind:     by_value
      - .actual_access:  read_only
        .address_space:  global
        .offset:         64
        .size:           8
        .value_kind:     global_buffer
      - .offset:         72
        .size:           4
        .value_kind:     by_value
      - .offset:         76
        .size:           4
        .value_kind:     by_value
      - .offset:         80
        .size:           4
        .value_kind:     by_value
      - .actual_access:  write_only
        .address_space:  global
        .offset:         88
        .size:           8
        .value_kind:     global_buffer
      - .actual_access:  write_only
        .address_space:  global
        .offset:         96
        .size:           8
        .value_kind:     global_buffer
      - .actual_access:  write_only
        .address_space:  global
        .offset:         104
        .size:           8
        .value_kind:     global_buffer
      - .actual_access:  read_only
        .address_space:  global
        .offset:         112
        .size:           8
        .value_kind:     global_buffer
      - .offset:         120
        .size:           4
        .value_kind:     by_value
      - .address_space:  global
        .offset:         128
        .size:           8
        .value_kind:     global_buffer
      - .address_space:  global
        .offset:         136
        .size:           8
        .value_kind:     global_buffer
      - .offset:         144
        .size:           4
        .value_kind:     hidden_block_count_x
      - .offset:         148
        .size:           4
        .value_kind:     hidden_block_count_y
      - .offset:         152
        .size:           4
        .value_kind:     hidden_block_count_z
      - .offset:         156
        .size:           2
        .value_kind:     hidden_group_size_x
      - .offset:         158
        .size:           2
        .value_kind:     hidden_group_size_y
      - .offset:         160
        .size:           2
        .value_kind:     hidden_group_size_z
      - .offset:         162
        .size:           2
        .value_kind:     hidden_remainder_x
      - .offset:         164
        .size:           2
        .value_kind:     hidden_remainder_y
      - .offset:         166
        .size:           2
        .value_kind:     hidden_remainder_z
      - .offset:         184
        .size:           8
        .value_kind:     hidden_global_offset_x
      - .offset:         192
        .size:           8
        .value_kind:     hidden_global_offset_y
      - .offset:         200
        .size:           8
        .value_kind:     hidden_global_offset_z
      - .offset:         208
        .size:           2
        .value_kind:     hidden_grid_dims
    .group_segment_fixed_size: 2720
    .kernarg_segment_align: 8
    .kernarg_segment_size: 400
    .language:       OpenCL C
    .language_version:
      - 2
      - 0
    .max_flat_workgroup_size: 256
    .name:           _Z38paged_attention_ll4mi_QKV_mfma4_kernelI14__hip_bfloat16hLN4vllm18Fp8KVCacheDataTypeE1ES0_Li32ELi64ELi256ELb1ELi4EEvPKT_PKT0_S8_ifPKiSA_SA_iPKfiiiPfSD_PS3_PT2_iSC_SC_
    .private_segment_fixed_size: 0
    .sgpr_count:     49
    .sgpr_spill_count: 0
    .symbol:         _Z38paged_attention_ll4mi_QKV_mfma4_kernelI14__hip_bfloat16hLN4vllm18Fp8KVCacheDataTypeE1ES0_Li32ELi64ELi256ELb1ELi4EEvPKT_PKT0_S8_ifPKiSA_SA_iPKfiiiPfSD_PS3_PT2_iSC_SC_.kd
    .uniform_work_group_size: 1
    .uses_dynamic_stack: false
    .vgpr_count:     64
    .vgpr_spill_count: 0
    .wavefront_size: 64
  - .agpr_count:     1
    .args:
      - .actual_access:  read_only
        .address_space:  global
        .offset:         0
        .size:           8
        .value_kind:     global_buffer
      - .actual_access:  read_only
        .address_space:  global
        .offset:         8
        .size:           8
        .value_kind:     global_buffer
      - .actual_access:  read_only
        .address_space:  global
        .offset:         16
        .size:           8
        .value_kind:     global_buffer
      - .offset:         24
        .size:           4
        .value_kind:     by_value
      - .offset:         28
        .size:           4
        .value_kind:     by_value
      - .actual_access:  read_only
        .address_space:  global
        .offset:         32
        .size:           8
        .value_kind:     global_buffer
      - .actual_access:  read_only
        .address_space:  global
        .offset:         40
        .size:           8
        .value_kind:     global_buffer
      - .actual_access:  read_only
        .address_space:  global
        .offset:         48
        .size:           8
        .value_kind:     global_buffer
      - .offset:         56
        .size:           4
        .value_kind:     by_value
      - .actual_access:  read_only
        .address_space:  global
        .offset:         64
        .size:           8
        .value_kind:     global_buffer
      - .offset:         72
        .size:           4
        .value_kind:     by_value
      - .offset:         76
        .size:           4
        .value_kind:     by_value
      - .offset:         80
        .size:           4
        .value_kind:     by_value
      - .actual_access:  read_only
        .address_space:  global
        .offset:         88
        .size:           8
        .value_kind:     global_buffer
      - .actual_access:  read_only
        .address_space:  global
        .offset:         96
        .size:           8
        .value_kind:     global_buffer
      - .actual_access:  read_only
        .address_space:  global
        .offset:         104
        .size:           8
        .value_kind:     global_buffer
      - .actual_access:  read_only
        .address_space:  global
        .offset:         112
        .size:           8
        .value_kind:     global_buffer
      - .offset:         120
        .size:           4
        .value_kind:     by_value
      - .address_space:  global
        .offset:         128
        .size:           8
        .value_kind:     global_buffer
      - .address_space:  global
        .offset:         136
        .size:           8
        .value_kind:     global_buffer
      - .offset:         144
        .size:           4
        .value_kind:     hidden_block_count_x
      - .offset:         148
        .size:           4
        .value_kind:     hidden_block_count_y
      - .offset:         152
        .size:           4
        .value_kind:     hidden_block_count_z
      - .offset:         156
        .size:           2
        .value_kind:     hidden_group_size_x
      - .offset:         158
        .size:           2
        .value_kind:     hidden_group_size_y
      - .offset:         160
        .size:           2
        .value_kind:     hidden_group_size_z
      - .offset:         162
        .size:           2
        .value_kind:     hidden_remainder_x
      - .offset:         164
        .size:           2
        .value_kind:     hidden_remainder_y
      - .offset:         166
        .size:           2
        .value_kind:     hidden_remainder_z
      - .offset:         184
        .size:           8
        .value_kind:     hidden_global_offset_x
      - .offset:         192
        .size:           8
        .value_kind:     hidden_global_offset_y
      - .offset:         200
        .size:           8
        .value_kind:     hidden_global_offset_z
      - .offset:         208
        .size:           2
        .value_kind:     hidden_grid_dims
      - .offset:         224
        .size:           8
        .value_kind:     hidden_hostcall_buffer
    .group_segment_fixed_size: 8192
    .kernarg_segment_align: 8
    .kernarg_segment_size: 400
    .language:       OpenCL C
    .language_version:
      - 2
      - 0
    .max_flat_workgroup_size: 256
    .name:           _Z39paged_attention_ll4mi_QKV_mfma16_kernelI14__hip_bfloat16hLN4vllm18Fp8KVCacheDataTypeE1ES0_Li32ELi64ELi256ELb1ELi5EL8MFMAType1EEvPKT_PKT0_S9_ifPKiSB_SB_iPKfiiiPfSE_PS4_PT2_iSD_SD_
    .private_segment_fixed_size: 64
    .sgpr_count:     40
    .sgpr_spill_count: 0
    .symbol:         _Z39paged_attention_ll4mi_QKV_mfma16_kernelI14__hip_bfloat16hLN4vllm18Fp8KVCacheDataTypeE1ES0_Li32ELi64ELi256ELb1ELi5EL8MFMAType1EEvPKT_PKT0_S9_ifPKiSB_SB_iPKfiiiPfSE_PS4_PT2_iSD_SD_.kd
    .uniform_work_group_size: 1
    .uses_dynamic_stack: false
    .vgpr_count:     45
    .vgpr_spill_count: 0
    .wavefront_size: 64
  - .agpr_count:     1
    .args:
      - .actual_access:  read_only
        .address_space:  global
        .offset:         0
        .size:           8
        .value_kind:     global_buffer
      - .actual_access:  read_only
        .address_space:  global
        .offset:         8
        .size:           8
        .value_kind:     global_buffer
      - .actual_access:  read_only
        .address_space:  global
        .offset:         16
        .size:           8
        .value_kind:     global_buffer
      - .offset:         24
        .size:           4
        .value_kind:     by_value
      - .offset:         28
        .size:           4
        .value_kind:     by_value
      - .actual_access:  read_only
        .address_space:  global
        .offset:         32
        .size:           8
        .value_kind:     global_buffer
      - .actual_access:  read_only
        .address_space:  global
        .offset:         40
        .size:           8
        .value_kind:     global_buffer
      - .actual_access:  read_only
        .address_space:  global
        .offset:         48
        .size:           8
        .value_kind:     global_buffer
      - .offset:         56
        .size:           4
        .value_kind:     by_value
      - .actual_access:  read_only
        .address_space:  global
        .offset:         64
        .size:           8
        .value_kind:     global_buffer
      - .offset:         72
        .size:           4
        .value_kind:     by_value
      - .offset:         76
        .size:           4
        .value_kind:     by_value
      - .offset:         80
        .size:           4
        .value_kind:     by_value
      - .actual_access:  read_only
        .address_space:  global
        .offset:         88
        .size:           8
        .value_kind:     global_buffer
      - .actual_access:  read_only
        .address_space:  global
        .offset:         96
        .size:           8
        .value_kind:     global_buffer
      - .actual_access:  read_only
        .address_space:  global
        .offset:         104
        .size:           8
        .value_kind:     global_buffer
      - .actual_access:  read_only
        .address_space:  global
        .offset:         112
        .size:           8
        .value_kind:     global_buffer
      - .offset:         120
        .size:           4
        .value_kind:     by_value
      - .address_space:  global
        .offset:         128
        .size:           8
        .value_kind:     global_buffer
      - .address_space:  global
        .offset:         136
        .size:           8
        .value_kind:     global_buffer
      - .offset:         144
        .size:           4
        .value_kind:     hidden_block_count_x
      - .offset:         148
        .size:           4
        .value_kind:     hidden_block_count_y
      - .offset:         152
        .size:           4
        .value_kind:     hidden_block_count_z
      - .offset:         156
        .size:           2
        .value_kind:     hidden_group_size_x
      - .offset:         158
        .size:           2
        .value_kind:     hidden_group_size_y
      - .offset:         160
        .size:           2
        .value_kind:     hidden_group_size_z
      - .offset:         162
        .size:           2
        .value_kind:     hidden_remainder_x
      - .offset:         164
        .size:           2
        .value_kind:     hidden_remainder_y
      - .offset:         166
        .size:           2
        .value_kind:     hidden_remainder_z
      - .offset:         184
        .size:           8
        .value_kind:     hidden_global_offset_x
      - .offset:         192
        .size:           8
        .value_kind:     hidden_global_offset_y
      - .offset:         200
        .size:           8
        .value_kind:     hidden_global_offset_z
      - .offset:         208
        .size:           2
        .value_kind:     hidden_grid_dims
      - .offset:         224
        .size:           8
        .value_kind:     hidden_hostcall_buffer
    .group_segment_fixed_size: 8192
    .kernarg_segment_align: 8
    .kernarg_segment_size: 400
    .language:       OpenCL C
    .language_version:
      - 2
      - 0
    .max_flat_workgroup_size: 256
    .name:           _Z39paged_attention_ll4mi_QKV_mfma16_kernelI14__hip_bfloat16hLN4vllm18Fp8KVCacheDataTypeE1ES0_Li32ELi64ELi256ELb1ELi6EL8MFMAType1EEvPKT_PKT0_S9_ifPKiSB_SB_iPKfiiiPfSE_PS4_PT2_iSD_SD_
    .private_segment_fixed_size: 64
    .sgpr_count:     40
    .sgpr_spill_count: 0
    .symbol:         _Z39paged_attention_ll4mi_QKV_mfma16_kernelI14__hip_bfloat16hLN4vllm18Fp8KVCacheDataTypeE1ES0_Li32ELi64ELi256ELb1ELi6EL8MFMAType1EEvPKT_PKT0_S9_ifPKiSB_SB_iPKfiiiPfSE_PS4_PT2_iSD_SD_.kd
    .uniform_work_group_size: 1
    .uses_dynamic_stack: false
    .vgpr_count:     45
    .vgpr_spill_count: 0
    .wavefront_size: 64
  - .agpr_count:     1
    .args:
      - .actual_access:  read_only
        .address_space:  global
        .offset:         0
        .size:           8
        .value_kind:     global_buffer
      - .actual_access:  read_only
        .address_space:  global
        .offset:         8
        .size:           8
        .value_kind:     global_buffer
      - .actual_access:  read_only
        .address_space:  global
        .offset:         16
        .size:           8
        .value_kind:     global_buffer
      - .offset:         24
        .size:           4
        .value_kind:     by_value
      - .offset:         28
        .size:           4
        .value_kind:     by_value
      - .actual_access:  read_only
        .address_space:  global
        .offset:         32
        .size:           8
        .value_kind:     global_buffer
      - .actual_access:  read_only
        .address_space:  global
        .offset:         40
        .size:           8
        .value_kind:     global_buffer
      - .actual_access:  read_only
        .address_space:  global
        .offset:         48
        .size:           8
        .value_kind:     global_buffer
      - .offset:         56
        .size:           4
        .value_kind:     by_value
      - .actual_access:  read_only
        .address_space:  global
        .offset:         64
        .size:           8
        .value_kind:     global_buffer
      - .offset:         72
        .size:           4
        .value_kind:     by_value
      - .offset:         76
        .size:           4
        .value_kind:     by_value
      - .offset:         80
        .size:           4
        .value_kind:     by_value
      - .actual_access:  read_only
        .address_space:  global
        .offset:         88
        .size:           8
        .value_kind:     global_buffer
      - .actual_access:  read_only
        .address_space:  global
        .offset:         96
        .size:           8
        .value_kind:     global_buffer
      - .actual_access:  read_only
        .address_space:  global
        .offset:         104
        .size:           8
        .value_kind:     global_buffer
      - .actual_access:  read_only
        .address_space:  global
        .offset:         112
        .size:           8
        .value_kind:     global_buffer
      - .offset:         120
        .size:           4
        .value_kind:     by_value
      - .address_space:  global
        .offset:         128
        .size:           8
        .value_kind:     global_buffer
      - .address_space:  global
        .offset:         136
        .size:           8
        .value_kind:     global_buffer
      - .offset:         144
        .size:           4
        .value_kind:     hidden_block_count_x
      - .offset:         148
        .size:           4
        .value_kind:     hidden_block_count_y
      - .offset:         152
        .size:           4
        .value_kind:     hidden_block_count_z
      - .offset:         156
        .size:           2
        .value_kind:     hidden_group_size_x
      - .offset:         158
        .size:           2
        .value_kind:     hidden_group_size_y
      - .offset:         160
        .size:           2
        .value_kind:     hidden_group_size_z
      - .offset:         162
        .size:           2
        .value_kind:     hidden_remainder_x
      - .offset:         164
        .size:           2
        .value_kind:     hidden_remainder_y
      - .offset:         166
        .size:           2
        .value_kind:     hidden_remainder_z
      - .offset:         184
        .size:           8
        .value_kind:     hidden_global_offset_x
      - .offset:         192
        .size:           8
        .value_kind:     hidden_global_offset_y
      - .offset:         200
        .size:           8
        .value_kind:     hidden_global_offset_z
      - .offset:         208
        .size:           2
        .value_kind:     hidden_grid_dims
      - .offset:         224
        .size:           8
        .value_kind:     hidden_hostcall_buffer
    .group_segment_fixed_size: 8192
    .kernarg_segment_align: 8
    .kernarg_segment_size: 400
    .language:       OpenCL C
    .language_version:
      - 2
      - 0
    .max_flat_workgroup_size: 256
    .name:           _Z39paged_attention_ll4mi_QKV_mfma16_kernelI14__hip_bfloat16hLN4vllm18Fp8KVCacheDataTypeE1ES0_Li32ELi64ELi256ELb1ELi7EL8MFMAType1EEvPKT_PKT0_S9_ifPKiSB_SB_iPKfiiiPfSE_PS4_PT2_iSD_SD_
    .private_segment_fixed_size: 64
    .sgpr_count:     40
    .sgpr_spill_count: 0
    .symbol:         _Z39paged_attention_ll4mi_QKV_mfma16_kernelI14__hip_bfloat16hLN4vllm18Fp8KVCacheDataTypeE1ES0_Li32ELi64ELi256ELb1ELi7EL8MFMAType1EEvPKT_PKT0_S9_ifPKiSB_SB_iPKfiiiPfSE_PS4_PT2_iSD_SD_.kd
    .uniform_work_group_size: 1
    .uses_dynamic_stack: false
    .vgpr_count:     45
    .vgpr_spill_count: 0
    .wavefront_size: 64
  - .agpr_count:     1
    .args:
      - .actual_access:  read_only
        .address_space:  global
        .offset:         0
        .size:           8
        .value_kind:     global_buffer
      - .actual_access:  read_only
        .address_space:  global
        .offset:         8
        .size:           8
        .value_kind:     global_buffer
      - .actual_access:  read_only
        .address_space:  global
        .offset:         16
        .size:           8
        .value_kind:     global_buffer
      - .offset:         24
        .size:           4
        .value_kind:     by_value
      - .offset:         28
        .size:           4
        .value_kind:     by_value
      - .actual_access:  read_only
        .address_space:  global
        .offset:         32
        .size:           8
        .value_kind:     global_buffer
      - .actual_access:  read_only
        .address_space:  global
        .offset:         40
        .size:           8
        .value_kind:     global_buffer
      - .actual_access:  read_only
        .address_space:  global
        .offset:         48
        .size:           8
        .value_kind:     global_buffer
      - .offset:         56
        .size:           4
        .value_kind:     by_value
      - .actual_access:  read_only
        .address_space:  global
        .offset:         64
        .size:           8
        .value_kind:     global_buffer
      - .offset:         72
        .size:           4
        .value_kind:     by_value
      - .offset:         76
        .size:           4
        .value_kind:     by_value
      - .offset:         80
        .size:           4
        .value_kind:     by_value
      - .actual_access:  read_only
        .address_space:  global
        .offset:         88
        .size:           8
        .value_kind:     global_buffer
      - .actual_access:  read_only
        .address_space:  global
        .offset:         96
        .size:           8
        .value_kind:     global_buffer
      - .actual_access:  read_only
        .address_space:  global
        .offset:         104
        .size:           8
        .value_kind:     global_buffer
      - .actual_access:  read_only
        .address_space:  global
        .offset:         112
        .size:           8
        .value_kind:     global_buffer
      - .offset:         120
        .size:           4
        .value_kind:     by_value
      - .address_space:  global
        .offset:         128
        .size:           8
        .value_kind:     global_buffer
      - .address_space:  global
        .offset:         136
        .size:           8
        .value_kind:     global_buffer
      - .offset:         144
        .size:           4
        .value_kind:     hidden_block_count_x
      - .offset:         148
        .size:           4
        .value_kind:     hidden_block_count_y
      - .offset:         152
        .size:           4
        .value_kind:     hidden_block_count_z
      - .offset:         156
        .size:           2
        .value_kind:     hidden_group_size_x
      - .offset:         158
        .size:           2
        .value_kind:     hidden_group_size_y
      - .offset:         160
        .size:           2
        .value_kind:     hidden_group_size_z
      - .offset:         162
        .size:           2
        .value_kind:     hidden_remainder_x
      - .offset:         164
        .size:           2
        .value_kind:     hidden_remainder_y
      - .offset:         166
        .size:           2
        .value_kind:     hidden_remainder_z
      - .offset:         184
        .size:           8
        .value_kind:     hidden_global_offset_x
      - .offset:         192
        .size:           8
        .value_kind:     hidden_global_offset_y
      - .offset:         200
        .size:           8
        .value_kind:     hidden_global_offset_z
      - .offset:         208
        .size:           2
        .value_kind:     hidden_grid_dims
      - .offset:         224
        .size:           8
        .value_kind:     hidden_hostcall_buffer
    .group_segment_fixed_size: 8192
    .kernarg_segment_align: 8
    .kernarg_segment_size: 400
    .language:       OpenCL C
    .language_version:
      - 2
      - 0
    .max_flat_workgroup_size: 256
    .name:           _Z39paged_attention_ll4mi_QKV_mfma16_kernelI14__hip_bfloat16hLN4vllm18Fp8KVCacheDataTypeE1ES0_Li32ELi64ELi256ELb1ELi8EL8MFMAType1EEvPKT_PKT0_S9_ifPKiSB_SB_iPKfiiiPfSE_PS4_PT2_iSD_SD_
    .private_segment_fixed_size: 64
    .sgpr_count:     40
    .sgpr_spill_count: 0
    .symbol:         _Z39paged_attention_ll4mi_QKV_mfma16_kernelI14__hip_bfloat16hLN4vllm18Fp8KVCacheDataTypeE1ES0_Li32ELi64ELi256ELb1ELi8EL8MFMAType1EEvPKT_PKT0_S9_ifPKiSB_SB_iPKfiiiPfSE_PS4_PT2_iSD_SD_.kd
    .uniform_work_group_size: 1
    .uses_dynamic_stack: false
    .vgpr_count:     45
    .vgpr_spill_count: 0
    .wavefront_size: 64
  - .agpr_count:     1
    .args:
      - .actual_access:  read_only
        .address_space:  global
        .offset:         0
        .size:           8
        .value_kind:     global_buffer
      - .actual_access:  read_only
        .address_space:  global
        .offset:         8
        .size:           8
        .value_kind:     global_buffer
      - .actual_access:  read_only
        .address_space:  global
        .offset:         16
        .size:           8
        .value_kind:     global_buffer
      - .offset:         24
        .size:           4
        .value_kind:     by_value
      - .offset:         28
        .size:           4
        .value_kind:     by_value
      - .actual_access:  read_only
        .address_space:  global
        .offset:         32
        .size:           8
        .value_kind:     global_buffer
      - .actual_access:  read_only
        .address_space:  global
        .offset:         40
        .size:           8
        .value_kind:     global_buffer
      - .actual_access:  read_only
        .address_space:  global
        .offset:         48
        .size:           8
        .value_kind:     global_buffer
      - .offset:         56
        .size:           4
        .value_kind:     by_value
      - .actual_access:  read_only
        .address_space:  global
        .offset:         64
        .size:           8
        .value_kind:     global_buffer
      - .offset:         72
        .size:           4
        .value_kind:     by_value
      - .offset:         76
        .size:           4
        .value_kind:     by_value
      - .offset:         80
        .size:           4
        .value_kind:     by_value
      - .actual_access:  read_only
        .address_space:  global
        .offset:         88
        .size:           8
        .value_kind:     global_buffer
      - .actual_access:  read_only
        .address_space:  global
        .offset:         96
        .size:           8
        .value_kind:     global_buffer
      - .actual_access:  read_only
        .address_space:  global
        .offset:         104
        .size:           8
        .value_kind:     global_buffer
      - .actual_access:  read_only
        .address_space:  global
        .offset:         112
        .size:           8
        .value_kind:     global_buffer
      - .offset:         120
        .size:           4
        .value_kind:     by_value
      - .address_space:  global
        .offset:         128
        .size:           8
        .value_kind:     global_buffer
      - .address_space:  global
        .offset:         136
        .size:           8
        .value_kind:     global_buffer
      - .offset:         144
        .size:           4
        .value_kind:     hidden_block_count_x
      - .offset:         148
        .size:           4
        .value_kind:     hidden_block_count_y
      - .offset:         152
        .size:           4
        .value_kind:     hidden_block_count_z
      - .offset:         156
        .size:           2
        .value_kind:     hidden_group_size_x
      - .offset:         158
        .size:           2
        .value_kind:     hidden_group_size_y
      - .offset:         160
        .size:           2
        .value_kind:     hidden_group_size_z
      - .offset:         162
        .size:           2
        .value_kind:     hidden_remainder_x
      - .offset:         164
        .size:           2
        .value_kind:     hidden_remainder_y
      - .offset:         166
        .size:           2
        .value_kind:     hidden_remainder_z
      - .offset:         184
        .size:           8
        .value_kind:     hidden_global_offset_x
      - .offset:         192
        .size:           8
        .value_kind:     hidden_global_offset_y
      - .offset:         200
        .size:           8
        .value_kind:     hidden_global_offset_z
      - .offset:         208
        .size:           2
        .value_kind:     hidden_grid_dims
      - .offset:         224
        .size:           8
        .value_kind:     hidden_hostcall_buffer
    .group_segment_fixed_size: 8192
    .kernarg_segment_align: 8
    .kernarg_segment_size: 400
    .language:       OpenCL C
    .language_version:
      - 2
      - 0
    .max_flat_workgroup_size: 256
    .name:           _Z39paged_attention_ll4mi_QKV_mfma16_kernelI14__hip_bfloat16hLN4vllm18Fp8KVCacheDataTypeE1ES0_Li32ELi64ELi256ELb1ELi9EL8MFMAType1EEvPKT_PKT0_S9_ifPKiSB_SB_iPKfiiiPfSE_PS4_PT2_iSD_SD_
    .private_segment_fixed_size: 64
    .sgpr_count:     40
    .sgpr_spill_count: 0
    .symbol:         _Z39paged_attention_ll4mi_QKV_mfma16_kernelI14__hip_bfloat16hLN4vllm18Fp8KVCacheDataTypeE1ES0_Li32ELi64ELi256ELb1ELi9EL8MFMAType1EEvPKT_PKT0_S9_ifPKiSB_SB_iPKfiiiPfSE_PS4_PT2_iSD_SD_.kd
    .uniform_work_group_size: 1
    .uses_dynamic_stack: false
    .vgpr_count:     45
    .vgpr_spill_count: 0
    .wavefront_size: 64
  - .agpr_count:     1
    .args:
      - .actual_access:  read_only
        .address_space:  global
        .offset:         0
        .size:           8
        .value_kind:     global_buffer
      - .actual_access:  read_only
        .address_space:  global
        .offset:         8
        .size:           8
        .value_kind:     global_buffer
      - .actual_access:  read_only
        .address_space:  global
        .offset:         16
        .size:           8
        .value_kind:     global_buffer
      - .offset:         24
        .size:           4
        .value_kind:     by_value
      - .offset:         28
        .size:           4
        .value_kind:     by_value
      - .actual_access:  read_only
        .address_space:  global
        .offset:         32
        .size:           8
        .value_kind:     global_buffer
      - .actual_access:  read_only
        .address_space:  global
        .offset:         40
        .size:           8
        .value_kind:     global_buffer
      - .actual_access:  read_only
        .address_space:  global
        .offset:         48
        .size:           8
        .value_kind:     global_buffer
      - .offset:         56
        .size:           4
        .value_kind:     by_value
      - .actual_access:  read_only
        .address_space:  global
        .offset:         64
        .size:           8
        .value_kind:     global_buffer
      - .offset:         72
        .size:           4
        .value_kind:     by_value
      - .offset:         76
        .size:           4
        .value_kind:     by_value
      - .offset:         80
        .size:           4
        .value_kind:     by_value
      - .actual_access:  read_only
        .address_space:  global
        .offset:         88
        .size:           8
        .value_kind:     global_buffer
      - .actual_access:  read_only
        .address_space:  global
        .offset:         96
        .size:           8
        .value_kind:     global_buffer
      - .actual_access:  read_only
        .address_space:  global
        .offset:         104
        .size:           8
        .value_kind:     global_buffer
      - .actual_access:  read_only
        .address_space:  global
        .offset:         112
        .size:           8
        .value_kind:     global_buffer
      - .offset:         120
        .size:           4
        .value_kind:     by_value
      - .address_space:  global
        .offset:         128
        .size:           8
        .value_kind:     global_buffer
      - .address_space:  global
        .offset:         136
        .size:           8
        .value_kind:     global_buffer
      - .offset:         144
        .size:           4
        .value_kind:     hidden_block_count_x
      - .offset:         148
        .size:           4
        .value_kind:     hidden_block_count_y
      - .offset:         152
        .size:           4
        .value_kind:     hidden_block_count_z
      - .offset:         156
        .size:           2
        .value_kind:     hidden_group_size_x
      - .offset:         158
        .size:           2
        .value_kind:     hidden_group_size_y
      - .offset:         160
        .size:           2
        .value_kind:     hidden_group_size_z
      - .offset:         162
        .size:           2
        .value_kind:     hidden_remainder_x
      - .offset:         164
        .size:           2
        .value_kind:     hidden_remainder_y
      - .offset:         166
        .size:           2
        .value_kind:     hidden_remainder_z
      - .offset:         184
        .size:           8
        .value_kind:     hidden_global_offset_x
      - .offset:         192
        .size:           8
        .value_kind:     hidden_global_offset_y
      - .offset:         200
        .size:           8
        .value_kind:     hidden_global_offset_z
      - .offset:         208
        .size:           2
        .value_kind:     hidden_grid_dims
      - .offset:         224
        .size:           8
        .value_kind:     hidden_hostcall_buffer
    .group_segment_fixed_size: 8192
    .kernarg_segment_align: 8
    .kernarg_segment_size: 400
    .language:       OpenCL C
    .language_version:
      - 2
      - 0
    .max_flat_workgroup_size: 256
    .name:           _Z39paged_attention_ll4mi_QKV_mfma16_kernelI14__hip_bfloat16hLN4vllm18Fp8KVCacheDataTypeE1ES0_Li32ELi64ELi256ELb1ELi10EL8MFMAType1EEvPKT_PKT0_S9_ifPKiSB_SB_iPKfiiiPfSE_PS4_PT2_iSD_SD_
    .private_segment_fixed_size: 64
    .sgpr_count:     40
    .sgpr_spill_count: 0
    .symbol:         _Z39paged_attention_ll4mi_QKV_mfma16_kernelI14__hip_bfloat16hLN4vllm18Fp8KVCacheDataTypeE1ES0_Li32ELi64ELi256ELb1ELi10EL8MFMAType1EEvPKT_PKT0_S9_ifPKiSB_SB_iPKfiiiPfSE_PS4_PT2_iSD_SD_.kd
    .uniform_work_group_size: 1
    .uses_dynamic_stack: false
    .vgpr_count:     45
    .vgpr_spill_count: 0
    .wavefront_size: 64
  - .agpr_count:     1
    .args:
      - .actual_access:  read_only
        .address_space:  global
        .offset:         0
        .size:           8
        .value_kind:     global_buffer
      - .actual_access:  read_only
        .address_space:  global
        .offset:         8
        .size:           8
        .value_kind:     global_buffer
      - .actual_access:  read_only
        .address_space:  global
        .offset:         16
        .size:           8
        .value_kind:     global_buffer
      - .offset:         24
        .size:           4
        .value_kind:     by_value
      - .offset:         28
        .size:           4
        .value_kind:     by_value
      - .actual_access:  read_only
        .address_space:  global
        .offset:         32
        .size:           8
        .value_kind:     global_buffer
      - .actual_access:  read_only
        .address_space:  global
        .offset:         40
        .size:           8
        .value_kind:     global_buffer
      - .actual_access:  read_only
        .address_space:  global
        .offset:         48
        .size:           8
        .value_kind:     global_buffer
      - .offset:         56
        .size:           4
        .value_kind:     by_value
      - .actual_access:  read_only
        .address_space:  global
        .offset:         64
        .size:           8
        .value_kind:     global_buffer
      - .offset:         72
        .size:           4
        .value_kind:     by_value
      - .offset:         76
        .size:           4
        .value_kind:     by_value
      - .offset:         80
        .size:           4
        .value_kind:     by_value
      - .actual_access:  read_only
        .address_space:  global
        .offset:         88
        .size:           8
        .value_kind:     global_buffer
      - .actual_access:  read_only
        .address_space:  global
        .offset:         96
        .size:           8
        .value_kind:     global_buffer
      - .actual_access:  read_only
        .address_space:  global
        .offset:         104
        .size:           8
        .value_kind:     global_buffer
      - .actual_access:  read_only
        .address_space:  global
        .offset:         112
        .size:           8
        .value_kind:     global_buffer
      - .offset:         120
        .size:           4
        .value_kind:     by_value
      - .address_space:  global
        .offset:         128
        .size:           8
        .value_kind:     global_buffer
      - .address_space:  global
        .offset:         136
        .size:           8
        .value_kind:     global_buffer
      - .offset:         144
        .size:           4
        .value_kind:     hidden_block_count_x
      - .offset:         148
        .size:           4
        .value_kind:     hidden_block_count_y
      - .offset:         152
        .size:           4
        .value_kind:     hidden_block_count_z
      - .offset:         156
        .size:           2
        .value_kind:     hidden_group_size_x
      - .offset:         158
        .size:           2
        .value_kind:     hidden_group_size_y
      - .offset:         160
        .size:           2
        .value_kind:     hidden_group_size_z
      - .offset:         162
        .size:           2
        .value_kind:     hidden_remainder_x
      - .offset:         164
        .size:           2
        .value_kind:     hidden_remainder_y
      - .offset:         166
        .size:           2
        .value_kind:     hidden_remainder_z
      - .offset:         184
        .size:           8
        .value_kind:     hidden_global_offset_x
      - .offset:         192
        .size:           8
        .value_kind:     hidden_global_offset_y
      - .offset:         200
        .size:           8
        .value_kind:     hidden_global_offset_z
      - .offset:         208
        .size:           2
        .value_kind:     hidden_grid_dims
      - .offset:         224
        .size:           8
        .value_kind:     hidden_hostcall_buffer
    .group_segment_fixed_size: 8192
    .kernarg_segment_align: 8
    .kernarg_segment_size: 400
    .language:       OpenCL C
    .language_version:
      - 2
      - 0
    .max_flat_workgroup_size: 256
    .name:           _Z39paged_attention_ll4mi_QKV_mfma16_kernelI14__hip_bfloat16hLN4vllm18Fp8KVCacheDataTypeE1ES0_Li32ELi64ELi256ELb1ELi11EL8MFMAType1EEvPKT_PKT0_S9_ifPKiSB_SB_iPKfiiiPfSE_PS4_PT2_iSD_SD_
    .private_segment_fixed_size: 64
    .sgpr_count:     40
    .sgpr_spill_count: 0
    .symbol:         _Z39paged_attention_ll4mi_QKV_mfma16_kernelI14__hip_bfloat16hLN4vllm18Fp8KVCacheDataTypeE1ES0_Li32ELi64ELi256ELb1ELi11EL8MFMAType1EEvPKT_PKT0_S9_ifPKiSB_SB_iPKfiiiPfSE_PS4_PT2_iSD_SD_.kd
    .uniform_work_group_size: 1
    .uses_dynamic_stack: false
    .vgpr_count:     45
    .vgpr_spill_count: 0
    .wavefront_size: 64
  - .agpr_count:     1
    .args:
      - .actual_access:  read_only
        .address_space:  global
        .offset:         0
        .size:           8
        .value_kind:     global_buffer
      - .actual_access:  read_only
        .address_space:  global
        .offset:         8
        .size:           8
        .value_kind:     global_buffer
      - .actual_access:  read_only
        .address_space:  global
        .offset:         16
        .size:           8
        .value_kind:     global_buffer
      - .offset:         24
        .size:           4
        .value_kind:     by_value
      - .offset:         28
        .size:           4
        .value_kind:     by_value
      - .actual_access:  read_only
        .address_space:  global
        .offset:         32
        .size:           8
        .value_kind:     global_buffer
      - .actual_access:  read_only
        .address_space:  global
        .offset:         40
        .size:           8
        .value_kind:     global_buffer
      - .actual_access:  read_only
        .address_space:  global
        .offset:         48
        .size:           8
        .value_kind:     global_buffer
      - .offset:         56
        .size:           4
        .value_kind:     by_value
      - .actual_access:  read_only
        .address_space:  global
        .offset:         64
        .size:           8
        .value_kind:     global_buffer
      - .offset:         72
        .size:           4
        .value_kind:     by_value
      - .offset:         76
        .size:           4
        .value_kind:     by_value
      - .offset:         80
        .size:           4
        .value_kind:     by_value
      - .actual_access:  read_only
        .address_space:  global
        .offset:         88
        .size:           8
        .value_kind:     global_buffer
      - .actual_access:  read_only
        .address_space:  global
        .offset:         96
        .size:           8
        .value_kind:     global_buffer
      - .actual_access:  read_only
        .address_space:  global
        .offset:         104
        .size:           8
        .value_kind:     global_buffer
      - .actual_access:  read_only
        .address_space:  global
        .offset:         112
        .size:           8
        .value_kind:     global_buffer
      - .offset:         120
        .size:           4
        .value_kind:     by_value
      - .address_space:  global
        .offset:         128
        .size:           8
        .value_kind:     global_buffer
      - .address_space:  global
        .offset:         136
        .size:           8
        .value_kind:     global_buffer
      - .offset:         144
        .size:           4
        .value_kind:     hidden_block_count_x
      - .offset:         148
        .size:           4
        .value_kind:     hidden_block_count_y
      - .offset:         152
        .size:           4
        .value_kind:     hidden_block_count_z
      - .offset:         156
        .size:           2
        .value_kind:     hidden_group_size_x
      - .offset:         158
        .size:           2
        .value_kind:     hidden_group_size_y
      - .offset:         160
        .size:           2
        .value_kind:     hidden_group_size_z
      - .offset:         162
        .size:           2
        .value_kind:     hidden_remainder_x
      - .offset:         164
        .size:           2
        .value_kind:     hidden_remainder_y
      - .offset:         166
        .size:           2
        .value_kind:     hidden_remainder_z
      - .offset:         184
        .size:           8
        .value_kind:     hidden_global_offset_x
      - .offset:         192
        .size:           8
        .value_kind:     hidden_global_offset_y
      - .offset:         200
        .size:           8
        .value_kind:     hidden_global_offset_z
      - .offset:         208
        .size:           2
        .value_kind:     hidden_grid_dims
      - .offset:         224
        .size:           8
        .value_kind:     hidden_hostcall_buffer
    .group_segment_fixed_size: 8192
    .kernarg_segment_align: 8
    .kernarg_segment_size: 400
    .language:       OpenCL C
    .language_version:
      - 2
      - 0
    .max_flat_workgroup_size: 256
    .name:           _Z39paged_attention_ll4mi_QKV_mfma16_kernelI14__hip_bfloat16hLN4vllm18Fp8KVCacheDataTypeE1ES0_Li32ELi64ELi256ELb1ELi12EL8MFMAType1EEvPKT_PKT0_S9_ifPKiSB_SB_iPKfiiiPfSE_PS4_PT2_iSD_SD_
    .private_segment_fixed_size: 64
    .sgpr_count:     40
    .sgpr_spill_count: 0
    .symbol:         _Z39paged_attention_ll4mi_QKV_mfma16_kernelI14__hip_bfloat16hLN4vllm18Fp8KVCacheDataTypeE1ES0_Li32ELi64ELi256ELb1ELi12EL8MFMAType1EEvPKT_PKT0_S9_ifPKiSB_SB_iPKfiiiPfSE_PS4_PT2_iSD_SD_.kd
    .uniform_work_group_size: 1
    .uses_dynamic_stack: false
    .vgpr_count:     45
    .vgpr_spill_count: 0
    .wavefront_size: 64
  - .agpr_count:     1
    .args:
      - .actual_access:  read_only
        .address_space:  global
        .offset:         0
        .size:           8
        .value_kind:     global_buffer
      - .actual_access:  read_only
        .address_space:  global
        .offset:         8
        .size:           8
        .value_kind:     global_buffer
      - .actual_access:  read_only
        .address_space:  global
        .offset:         16
        .size:           8
        .value_kind:     global_buffer
      - .offset:         24
        .size:           4
        .value_kind:     by_value
      - .offset:         28
        .size:           4
        .value_kind:     by_value
      - .actual_access:  read_only
        .address_space:  global
        .offset:         32
        .size:           8
        .value_kind:     global_buffer
      - .actual_access:  read_only
        .address_space:  global
        .offset:         40
        .size:           8
        .value_kind:     global_buffer
      - .actual_access:  read_only
        .address_space:  global
        .offset:         48
        .size:           8
        .value_kind:     global_buffer
      - .offset:         56
        .size:           4
        .value_kind:     by_value
      - .actual_access:  read_only
        .address_space:  global
        .offset:         64
        .size:           8
        .value_kind:     global_buffer
      - .offset:         72
        .size:           4
        .value_kind:     by_value
      - .offset:         76
        .size:           4
        .value_kind:     by_value
      - .offset:         80
        .size:           4
        .value_kind:     by_value
      - .actual_access:  read_only
        .address_space:  global
        .offset:         88
        .size:           8
        .value_kind:     global_buffer
      - .actual_access:  read_only
        .address_space:  global
        .offset:         96
        .size:           8
        .value_kind:     global_buffer
      - .actual_access:  read_only
        .address_space:  global
        .offset:         104
        .size:           8
        .value_kind:     global_buffer
      - .actual_access:  read_only
        .address_space:  global
        .offset:         112
        .size:           8
        .value_kind:     global_buffer
      - .offset:         120
        .size:           4
        .value_kind:     by_value
      - .address_space:  global
        .offset:         128
        .size:           8
        .value_kind:     global_buffer
      - .address_space:  global
        .offset:         136
        .size:           8
        .value_kind:     global_buffer
      - .offset:         144
        .size:           4
        .value_kind:     hidden_block_count_x
      - .offset:         148
        .size:           4
        .value_kind:     hidden_block_count_y
      - .offset:         152
        .size:           4
        .value_kind:     hidden_block_count_z
      - .offset:         156
        .size:           2
        .value_kind:     hidden_group_size_x
      - .offset:         158
        .size:           2
        .value_kind:     hidden_group_size_y
      - .offset:         160
        .size:           2
        .value_kind:     hidden_group_size_z
      - .offset:         162
        .size:           2
        .value_kind:     hidden_remainder_x
      - .offset:         164
        .size:           2
        .value_kind:     hidden_remainder_y
      - .offset:         166
        .size:           2
        .value_kind:     hidden_remainder_z
      - .offset:         184
        .size:           8
        .value_kind:     hidden_global_offset_x
      - .offset:         192
        .size:           8
        .value_kind:     hidden_global_offset_y
      - .offset:         200
        .size:           8
        .value_kind:     hidden_global_offset_z
      - .offset:         208
        .size:           2
        .value_kind:     hidden_grid_dims
      - .offset:         224
        .size:           8
        .value_kind:     hidden_hostcall_buffer
    .group_segment_fixed_size: 8192
    .kernarg_segment_align: 8
    .kernarg_segment_size: 400
    .language:       OpenCL C
    .language_version:
      - 2
      - 0
    .max_flat_workgroup_size: 256
    .name:           _Z39paged_attention_ll4mi_QKV_mfma16_kernelI14__hip_bfloat16hLN4vllm18Fp8KVCacheDataTypeE1ES0_Li32ELi64ELi256ELb1ELi13EL8MFMAType1EEvPKT_PKT0_S9_ifPKiSB_SB_iPKfiiiPfSE_PS4_PT2_iSD_SD_
    .private_segment_fixed_size: 64
    .sgpr_count:     40
    .sgpr_spill_count: 0
    .symbol:         _Z39paged_attention_ll4mi_QKV_mfma16_kernelI14__hip_bfloat16hLN4vllm18Fp8KVCacheDataTypeE1ES0_Li32ELi64ELi256ELb1ELi13EL8MFMAType1EEvPKT_PKT0_S9_ifPKiSB_SB_iPKfiiiPfSE_PS4_PT2_iSD_SD_.kd
    .uniform_work_group_size: 1
    .uses_dynamic_stack: false
    .vgpr_count:     45
    .vgpr_spill_count: 0
    .wavefront_size: 64
  - .agpr_count:     1
    .args:
      - .actual_access:  read_only
        .address_space:  global
        .offset:         0
        .size:           8
        .value_kind:     global_buffer
      - .actual_access:  read_only
        .address_space:  global
        .offset:         8
        .size:           8
        .value_kind:     global_buffer
      - .actual_access:  read_only
        .address_space:  global
        .offset:         16
        .size:           8
        .value_kind:     global_buffer
      - .offset:         24
        .size:           4
        .value_kind:     by_value
      - .offset:         28
        .size:           4
        .value_kind:     by_value
      - .actual_access:  read_only
        .address_space:  global
        .offset:         32
        .size:           8
        .value_kind:     global_buffer
      - .actual_access:  read_only
        .address_space:  global
        .offset:         40
        .size:           8
        .value_kind:     global_buffer
      - .actual_access:  read_only
        .address_space:  global
        .offset:         48
        .size:           8
        .value_kind:     global_buffer
      - .offset:         56
        .size:           4
        .value_kind:     by_value
      - .actual_access:  read_only
        .address_space:  global
        .offset:         64
        .size:           8
        .value_kind:     global_buffer
      - .offset:         72
        .size:           4
        .value_kind:     by_value
      - .offset:         76
        .size:           4
        .value_kind:     by_value
      - .offset:         80
        .size:           4
        .value_kind:     by_value
      - .actual_access:  read_only
        .address_space:  global
        .offset:         88
        .size:           8
        .value_kind:     global_buffer
      - .actual_access:  read_only
        .address_space:  global
        .offset:         96
        .size:           8
        .value_kind:     global_buffer
      - .actual_access:  read_only
        .address_space:  global
        .offset:         104
        .size:           8
        .value_kind:     global_buffer
      - .actual_access:  read_only
        .address_space:  global
        .offset:         112
        .size:           8
        .value_kind:     global_buffer
      - .offset:         120
        .size:           4
        .value_kind:     by_value
      - .address_space:  global
        .offset:         128
        .size:           8
        .value_kind:     global_buffer
      - .address_space:  global
        .offset:         136
        .size:           8
        .value_kind:     global_buffer
      - .offset:         144
        .size:           4
        .value_kind:     hidden_block_count_x
      - .offset:         148
        .size:           4
        .value_kind:     hidden_block_count_y
      - .offset:         152
        .size:           4
        .value_kind:     hidden_block_count_z
      - .offset:         156
        .size:           2
        .value_kind:     hidden_group_size_x
      - .offset:         158
        .size:           2
        .value_kind:     hidden_group_size_y
      - .offset:         160
        .size:           2
        .value_kind:     hidden_group_size_z
      - .offset:         162
        .size:           2
        .value_kind:     hidden_remainder_x
      - .offset:         164
        .size:           2
        .value_kind:     hidden_remainder_y
      - .offset:         166
        .size:           2
        .value_kind:     hidden_remainder_z
      - .offset:         184
        .size:           8
        .value_kind:     hidden_global_offset_x
      - .offset:         192
        .size:           8
        .value_kind:     hidden_global_offset_y
      - .offset:         200
        .size:           8
        .value_kind:     hidden_global_offset_z
      - .offset:         208
        .size:           2
        .value_kind:     hidden_grid_dims
      - .offset:         224
        .size:           8
        .value_kind:     hidden_hostcall_buffer
    .group_segment_fixed_size: 8192
    .kernarg_segment_align: 8
    .kernarg_segment_size: 400
    .language:       OpenCL C
    .language_version:
      - 2
      - 0
    .max_flat_workgroup_size: 256
    .name:           _Z39paged_attention_ll4mi_QKV_mfma16_kernelI14__hip_bfloat16hLN4vllm18Fp8KVCacheDataTypeE1ES0_Li32ELi64ELi256ELb1ELi14EL8MFMAType1EEvPKT_PKT0_S9_ifPKiSB_SB_iPKfiiiPfSE_PS4_PT2_iSD_SD_
    .private_segment_fixed_size: 64
    .sgpr_count:     40
    .sgpr_spill_count: 0
    .symbol:         _Z39paged_attention_ll4mi_QKV_mfma16_kernelI14__hip_bfloat16hLN4vllm18Fp8KVCacheDataTypeE1ES0_Li32ELi64ELi256ELb1ELi14EL8MFMAType1EEvPKT_PKT0_S9_ifPKiSB_SB_iPKfiiiPfSE_PS4_PT2_iSD_SD_.kd
    .uniform_work_group_size: 1
    .uses_dynamic_stack: false
    .vgpr_count:     45
    .vgpr_spill_count: 0
    .wavefront_size: 64
  - .agpr_count:     1
    .args:
      - .actual_access:  read_only
        .address_space:  global
        .offset:         0
        .size:           8
        .value_kind:     global_buffer
      - .actual_access:  read_only
        .address_space:  global
        .offset:         8
        .size:           8
        .value_kind:     global_buffer
      - .actual_access:  read_only
        .address_space:  global
        .offset:         16
        .size:           8
        .value_kind:     global_buffer
      - .offset:         24
        .size:           4
        .value_kind:     by_value
      - .offset:         28
        .size:           4
        .value_kind:     by_value
      - .actual_access:  read_only
        .address_space:  global
        .offset:         32
        .size:           8
        .value_kind:     global_buffer
      - .actual_access:  read_only
        .address_space:  global
        .offset:         40
        .size:           8
        .value_kind:     global_buffer
      - .actual_access:  read_only
        .address_space:  global
        .offset:         48
        .size:           8
        .value_kind:     global_buffer
      - .offset:         56
        .size:           4
        .value_kind:     by_value
      - .actual_access:  read_only
        .address_space:  global
        .offset:         64
        .size:           8
        .value_kind:     global_buffer
      - .offset:         72
        .size:           4
        .value_kind:     by_value
      - .offset:         76
        .size:           4
        .value_kind:     by_value
      - .offset:         80
        .size:           4
        .value_kind:     by_value
      - .actual_access:  read_only
        .address_space:  global
        .offset:         88
        .size:           8
        .value_kind:     global_buffer
      - .actual_access:  read_only
        .address_space:  global
        .offset:         96
        .size:           8
        .value_kind:     global_buffer
      - .actual_access:  read_only
        .address_space:  global
        .offset:         104
        .size:           8
        .value_kind:     global_buffer
      - .actual_access:  read_only
        .address_space:  global
        .offset:         112
        .size:           8
        .value_kind:     global_buffer
      - .offset:         120
        .size:           4
        .value_kind:     by_value
      - .address_space:  global
        .offset:         128
        .size:           8
        .value_kind:     global_buffer
      - .address_space:  global
        .offset:         136
        .size:           8
        .value_kind:     global_buffer
      - .offset:         144
        .size:           4
        .value_kind:     hidden_block_count_x
      - .offset:         148
        .size:           4
        .value_kind:     hidden_block_count_y
      - .offset:         152
        .size:           4
        .value_kind:     hidden_block_count_z
      - .offset:         156
        .size:           2
        .value_kind:     hidden_group_size_x
      - .offset:         158
        .size:           2
        .value_kind:     hidden_group_size_y
      - .offset:         160
        .size:           2
        .value_kind:     hidden_group_size_z
      - .offset:         162
        .size:           2
        .value_kind:     hidden_remainder_x
      - .offset:         164
        .size:           2
        .value_kind:     hidden_remainder_y
      - .offset:         166
        .size:           2
        .value_kind:     hidden_remainder_z
      - .offset:         184
        .size:           8
        .value_kind:     hidden_global_offset_x
      - .offset:         192
        .size:           8
        .value_kind:     hidden_global_offset_y
      - .offset:         200
        .size:           8
        .value_kind:     hidden_global_offset_z
      - .offset:         208
        .size:           2
        .value_kind:     hidden_grid_dims
      - .offset:         224
        .size:           8
        .value_kind:     hidden_hostcall_buffer
    .group_segment_fixed_size: 8192
    .kernarg_segment_align: 8
    .kernarg_segment_size: 400
    .language:       OpenCL C
    .language_version:
      - 2
      - 0
    .max_flat_workgroup_size: 256
    .name:           _Z39paged_attention_ll4mi_QKV_mfma16_kernelI14__hip_bfloat16hLN4vllm18Fp8KVCacheDataTypeE1ES0_Li32ELi64ELi256ELb1ELi15EL8MFMAType1EEvPKT_PKT0_S9_ifPKiSB_SB_iPKfiiiPfSE_PS4_PT2_iSD_SD_
    .private_segment_fixed_size: 64
    .sgpr_count:     40
    .sgpr_spill_count: 0
    .symbol:         _Z39paged_attention_ll4mi_QKV_mfma16_kernelI14__hip_bfloat16hLN4vllm18Fp8KVCacheDataTypeE1ES0_Li32ELi64ELi256ELb1ELi15EL8MFMAType1EEvPKT_PKT0_S9_ifPKiSB_SB_iPKfiiiPfSE_PS4_PT2_iSD_SD_.kd
    .uniform_work_group_size: 1
    .uses_dynamic_stack: false
    .vgpr_count:     45
    .vgpr_spill_count: 0
    .wavefront_size: 64
  - .agpr_count:     1
    .args:
      - .actual_access:  read_only
        .address_space:  global
        .offset:         0
        .size:           8
        .value_kind:     global_buffer
      - .actual_access:  read_only
        .address_space:  global
        .offset:         8
        .size:           8
        .value_kind:     global_buffer
      - .actual_access:  read_only
        .address_space:  global
        .offset:         16
        .size:           8
        .value_kind:     global_buffer
      - .offset:         24
        .size:           4
        .value_kind:     by_value
      - .offset:         28
        .size:           4
        .value_kind:     by_value
      - .actual_access:  read_only
        .address_space:  global
        .offset:         32
        .size:           8
        .value_kind:     global_buffer
      - .actual_access:  read_only
        .address_space:  global
        .offset:         40
        .size:           8
        .value_kind:     global_buffer
      - .actual_access:  read_only
        .address_space:  global
        .offset:         48
        .size:           8
        .value_kind:     global_buffer
      - .offset:         56
        .size:           4
        .value_kind:     by_value
      - .actual_access:  read_only
        .address_space:  global
        .offset:         64
        .size:           8
        .value_kind:     global_buffer
      - .offset:         72
        .size:           4
        .value_kind:     by_value
      - .offset:         76
        .size:           4
        .value_kind:     by_value
      - .offset:         80
        .size:           4
        .value_kind:     by_value
      - .actual_access:  read_only
        .address_space:  global
        .offset:         88
        .size:           8
        .value_kind:     global_buffer
      - .actual_access:  read_only
        .address_space:  global
        .offset:         96
        .size:           8
        .value_kind:     global_buffer
      - .actual_access:  read_only
        .address_space:  global
        .offset:         104
        .size:           8
        .value_kind:     global_buffer
      - .actual_access:  read_only
        .address_space:  global
        .offset:         112
        .size:           8
        .value_kind:     global_buffer
      - .offset:         120
        .size:           4
        .value_kind:     by_value
      - .address_space:  global
        .offset:         128
        .size:           8
        .value_kind:     global_buffer
      - .address_space:  global
        .offset:         136
        .size:           8
        .value_kind:     global_buffer
      - .offset:         144
        .size:           4
        .value_kind:     hidden_block_count_x
      - .offset:         148
        .size:           4
        .value_kind:     hidden_block_count_y
      - .offset:         152
        .size:           4
        .value_kind:     hidden_block_count_z
      - .offset:         156
        .size:           2
        .value_kind:     hidden_group_size_x
      - .offset:         158
        .size:           2
        .value_kind:     hidden_group_size_y
      - .offset:         160
        .size:           2
        .value_kind:     hidden_group_size_z
      - .offset:         162
        .size:           2
        .value_kind:     hidden_remainder_x
      - .offset:         164
        .size:           2
        .value_kind:     hidden_remainder_y
      - .offset:         166
        .size:           2
        .value_kind:     hidden_remainder_z
      - .offset:         184
        .size:           8
        .value_kind:     hidden_global_offset_x
      - .offset:         192
        .size:           8
        .value_kind:     hidden_global_offset_y
      - .offset:         200
        .size:           8
        .value_kind:     hidden_global_offset_z
      - .offset:         208
        .size:           2
        .value_kind:     hidden_grid_dims
      - .offset:         224
        .size:           8
        .value_kind:     hidden_hostcall_buffer
    .group_segment_fixed_size: 8192
    .kernarg_segment_align: 8
    .kernarg_segment_size: 400
    .language:       OpenCL C
    .language_version:
      - 2
      - 0
    .max_flat_workgroup_size: 256
    .name:           _Z39paged_attention_ll4mi_QKV_mfma16_kernelI14__hip_bfloat16hLN4vllm18Fp8KVCacheDataTypeE1ES0_Li32ELi64ELi256ELb1ELi16EL8MFMAType1EEvPKT_PKT0_S9_ifPKiSB_SB_iPKfiiiPfSE_PS4_PT2_iSD_SD_
    .private_segment_fixed_size: 64
    .sgpr_count:     40
    .sgpr_spill_count: 0
    .symbol:         _Z39paged_attention_ll4mi_QKV_mfma16_kernelI14__hip_bfloat16hLN4vllm18Fp8KVCacheDataTypeE1ES0_Li32ELi64ELi256ELb1ELi16EL8MFMAType1EEvPKT_PKT0_S9_ifPKiSB_SB_iPKfiiiPfSE_PS4_PT2_iSD_SD_.kd
    .uniform_work_group_size: 1
    .uses_dynamic_stack: false
    .vgpr_count:     45
    .vgpr_spill_count: 0
    .wavefront_size: 64
  - .agpr_count:     1
    .args:
      - .actual_access:  read_only
        .address_space:  global
        .offset:         0
        .size:           8
        .value_kind:     global_buffer
      - .actual_access:  read_only
        .address_space:  global
        .offset:         8
        .size:           8
        .value_kind:     global_buffer
      - .actual_access:  read_only
        .address_space:  global
        .offset:         16
        .size:           8
        .value_kind:     global_buffer
      - .offset:         24
        .size:           4
        .value_kind:     by_value
      - .offset:         28
        .size:           4
        .value_kind:     by_value
      - .actual_access:  read_only
        .address_space:  global
        .offset:         32
        .size:           8
        .value_kind:     global_buffer
      - .actual_access:  read_only
        .address_space:  global
        .offset:         40
        .size:           8
        .value_kind:     global_buffer
      - .actual_access:  read_only
        .address_space:  global
        .offset:         48
        .size:           8
        .value_kind:     global_buffer
      - .offset:         56
        .size:           4
        .value_kind:     by_value
      - .actual_access:  read_only
        .address_space:  global
        .offset:         64
        .size:           8
        .value_kind:     global_buffer
      - .offset:         72
        .size:           4
        .value_kind:     by_value
      - .offset:         76
        .size:           4
        .value_kind:     by_value
      - .offset:         80
        .size:           4
        .value_kind:     by_value
      - .actual_access:  read_only
        .address_space:  global
        .offset:         88
        .size:           8
        .value_kind:     global_buffer
      - .actual_access:  read_only
        .address_space:  global
        .offset:         96
        .size:           8
        .value_kind:     global_buffer
      - .actual_access:  read_only
        .address_space:  global
        .offset:         104
        .size:           8
        .value_kind:     global_buffer
      - .actual_access:  read_only
        .address_space:  global
        .offset:         112
        .size:           8
        .value_kind:     global_buffer
      - .offset:         120
        .size:           4
        .value_kind:     by_value
      - .address_space:  global
        .offset:         128
        .size:           8
        .value_kind:     global_buffer
      - .address_space:  global
        .offset:         136
        .size:           8
        .value_kind:     global_buffer
      - .offset:         144
        .size:           4
        .value_kind:     hidden_block_count_x
      - .offset:         148
        .size:           4
        .value_kind:     hidden_block_count_y
      - .offset:         152
        .size:           4
        .value_kind:     hidden_block_count_z
      - .offset:         156
        .size:           2
        .value_kind:     hidden_group_size_x
      - .offset:         158
        .size:           2
        .value_kind:     hidden_group_size_y
      - .offset:         160
        .size:           2
        .value_kind:     hidden_group_size_z
      - .offset:         162
        .size:           2
        .value_kind:     hidden_remainder_x
      - .offset:         164
        .size:           2
        .value_kind:     hidden_remainder_y
      - .offset:         166
        .size:           2
        .value_kind:     hidden_remainder_z
      - .offset:         184
        .size:           8
        .value_kind:     hidden_global_offset_x
      - .offset:         192
        .size:           8
        .value_kind:     hidden_global_offset_y
      - .offset:         200
        .size:           8
        .value_kind:     hidden_global_offset_z
      - .offset:         208
        .size:           2
        .value_kind:     hidden_grid_dims
      - .offset:         224
        .size:           8
        .value_kind:     hidden_hostcall_buffer
    .group_segment_fixed_size: 8192
    .kernarg_segment_align: 8
    .kernarg_segment_size: 400
    .language:       OpenCL C
    .language_version:
      - 2
      - 0
    .max_flat_workgroup_size: 256
    .name:           _Z39paged_attention_ll4mi_QKV_mfma16_kernelI14__hip_bfloat16hLN4vllm18Fp8KVCacheDataTypeE1ES0_Li32ELi64ELi256ELb1ELi1EL8MFMAType1EEvPKT_PKT0_S9_ifPKiSB_SB_iPKfiiiPfSE_PS4_PT2_iSD_SD_
    .private_segment_fixed_size: 64
    .sgpr_count:     40
    .sgpr_spill_count: 0
    .symbol:         _Z39paged_attention_ll4mi_QKV_mfma16_kernelI14__hip_bfloat16hLN4vllm18Fp8KVCacheDataTypeE1ES0_Li32ELi64ELi256ELb1ELi1EL8MFMAType1EEvPKT_PKT0_S9_ifPKiSB_SB_iPKfiiiPfSE_PS4_PT2_iSD_SD_.kd
    .uniform_work_group_size: 1
    .uses_dynamic_stack: false
    .vgpr_count:     45
    .vgpr_spill_count: 0
    .wavefront_size: 64
  - .agpr_count:     1
    .args:
      - .actual_access:  read_only
        .address_space:  global
        .offset:         0
        .size:           8
        .value_kind:     global_buffer
      - .actual_access:  read_only
        .address_space:  global
        .offset:         8
        .size:           8
        .value_kind:     global_buffer
      - .actual_access:  read_only
        .address_space:  global
        .offset:         16
        .size:           8
        .value_kind:     global_buffer
      - .offset:         24
        .size:           4
        .value_kind:     by_value
      - .offset:         28
        .size:           4
        .value_kind:     by_value
      - .actual_access:  read_only
        .address_space:  global
        .offset:         32
        .size:           8
        .value_kind:     global_buffer
      - .actual_access:  read_only
        .address_space:  global
        .offset:         40
        .size:           8
        .value_kind:     global_buffer
      - .actual_access:  read_only
        .address_space:  global
        .offset:         48
        .size:           8
        .value_kind:     global_buffer
      - .offset:         56
        .size:           4
        .value_kind:     by_value
      - .actual_access:  read_only
        .address_space:  global
        .offset:         64
        .size:           8
        .value_kind:     global_buffer
      - .offset:         72
        .size:           4
        .value_kind:     by_value
      - .offset:         76
        .size:           4
        .value_kind:     by_value
      - .offset:         80
        .size:           4
        .value_kind:     by_value
      - .actual_access:  read_only
        .address_space:  global
        .offset:         88
        .size:           8
        .value_kind:     global_buffer
      - .actual_access:  read_only
        .address_space:  global
        .offset:         96
        .size:           8
        .value_kind:     global_buffer
      - .actual_access:  read_only
        .address_space:  global
        .offset:         104
        .size:           8
        .value_kind:     global_buffer
      - .actual_access:  read_only
        .address_space:  global
        .offset:         112
        .size:           8
        .value_kind:     global_buffer
      - .offset:         120
        .size:           4
        .value_kind:     by_value
      - .address_space:  global
        .offset:         128
        .size:           8
        .value_kind:     global_buffer
      - .address_space:  global
        .offset:         136
        .size:           8
        .value_kind:     global_buffer
      - .offset:         144
        .size:           4
        .value_kind:     hidden_block_count_x
      - .offset:         148
        .size:           4
        .value_kind:     hidden_block_count_y
      - .offset:         152
        .size:           4
        .value_kind:     hidden_block_count_z
      - .offset:         156
        .size:           2
        .value_kind:     hidden_group_size_x
      - .offset:         158
        .size:           2
        .value_kind:     hidden_group_size_y
      - .offset:         160
        .size:           2
        .value_kind:     hidden_group_size_z
      - .offset:         162
        .size:           2
        .value_kind:     hidden_remainder_x
      - .offset:         164
        .size:           2
        .value_kind:     hidden_remainder_y
      - .offset:         166
        .size:           2
        .value_kind:     hidden_remainder_z
      - .offset:         184
        .size:           8
        .value_kind:     hidden_global_offset_x
      - .offset:         192
        .size:           8
        .value_kind:     hidden_global_offset_y
      - .offset:         200
        .size:           8
        .value_kind:     hidden_global_offset_z
      - .offset:         208
        .size:           2
        .value_kind:     hidden_grid_dims
      - .offset:         224
        .size:           8
        .value_kind:     hidden_hostcall_buffer
    .group_segment_fixed_size: 8192
    .kernarg_segment_align: 8
    .kernarg_segment_size: 400
    .language:       OpenCL C
    .language_version:
      - 2
      - 0
    .max_flat_workgroup_size: 256
    .name:           _Z39paged_attention_ll4mi_QKV_mfma16_kernelI14__hip_bfloat16hLN4vllm18Fp8KVCacheDataTypeE1ES0_Li32ELi64ELi256ELb1ELi2EL8MFMAType1EEvPKT_PKT0_S9_ifPKiSB_SB_iPKfiiiPfSE_PS4_PT2_iSD_SD_
    .private_segment_fixed_size: 64
    .sgpr_count:     40
    .sgpr_spill_count: 0
    .symbol:         _Z39paged_attention_ll4mi_QKV_mfma16_kernelI14__hip_bfloat16hLN4vllm18Fp8KVCacheDataTypeE1ES0_Li32ELi64ELi256ELb1ELi2EL8MFMAType1EEvPKT_PKT0_S9_ifPKiSB_SB_iPKfiiiPfSE_PS4_PT2_iSD_SD_.kd
    .uniform_work_group_size: 1
    .uses_dynamic_stack: false
    .vgpr_count:     45
    .vgpr_spill_count: 0
    .wavefront_size: 64
  - .agpr_count:     1
    .args:
      - .actual_access:  read_only
        .address_space:  global
        .offset:         0
        .size:           8
        .value_kind:     global_buffer
      - .actual_access:  read_only
        .address_space:  global
        .offset:         8
        .size:           8
        .value_kind:     global_buffer
      - .actual_access:  read_only
        .address_space:  global
        .offset:         16
        .size:           8
        .value_kind:     global_buffer
      - .offset:         24
        .size:           4
        .value_kind:     by_value
      - .offset:         28
        .size:           4
        .value_kind:     by_value
      - .actual_access:  read_only
        .address_space:  global
        .offset:         32
        .size:           8
        .value_kind:     global_buffer
      - .actual_access:  read_only
        .address_space:  global
        .offset:         40
        .size:           8
        .value_kind:     global_buffer
      - .actual_access:  read_only
        .address_space:  global
        .offset:         48
        .size:           8
        .value_kind:     global_buffer
      - .offset:         56
        .size:           4
        .value_kind:     by_value
      - .actual_access:  read_only
        .address_space:  global
        .offset:         64
        .size:           8
        .value_kind:     global_buffer
      - .offset:         72
        .size:           4
        .value_kind:     by_value
      - .offset:         76
        .size:           4
        .value_kind:     by_value
      - .offset:         80
        .size:           4
        .value_kind:     by_value
      - .actual_access:  read_only
        .address_space:  global
        .offset:         88
        .size:           8
        .value_kind:     global_buffer
      - .actual_access:  read_only
        .address_space:  global
        .offset:         96
        .size:           8
        .value_kind:     global_buffer
      - .actual_access:  read_only
        .address_space:  global
        .offset:         104
        .size:           8
        .value_kind:     global_buffer
      - .actual_access:  read_only
        .address_space:  global
        .offset:         112
        .size:           8
        .value_kind:     global_buffer
      - .offset:         120
        .size:           4
        .value_kind:     by_value
      - .address_space:  global
        .offset:         128
        .size:           8
        .value_kind:     global_buffer
      - .address_space:  global
        .offset:         136
        .size:           8
        .value_kind:     global_buffer
      - .offset:         144
        .size:           4
        .value_kind:     hidden_block_count_x
      - .offset:         148
        .size:           4
        .value_kind:     hidden_block_count_y
      - .offset:         152
        .size:           4
        .value_kind:     hidden_block_count_z
      - .offset:         156
        .size:           2
        .value_kind:     hidden_group_size_x
      - .offset:         158
        .size:           2
        .value_kind:     hidden_group_size_y
      - .offset:         160
        .size:           2
        .value_kind:     hidden_group_size_z
      - .offset:         162
        .size:           2
        .value_kind:     hidden_remainder_x
      - .offset:         164
        .size:           2
        .value_kind:     hidden_remainder_y
      - .offset:         166
        .size:           2
        .value_kind:     hidden_remainder_z
      - .offset:         184
        .size:           8
        .value_kind:     hidden_global_offset_x
      - .offset:         192
        .size:           8
        .value_kind:     hidden_global_offset_y
      - .offset:         200
        .size:           8
        .value_kind:     hidden_global_offset_z
      - .offset:         208
        .size:           2
        .value_kind:     hidden_grid_dims
      - .offset:         224
        .size:           8
        .value_kind:     hidden_hostcall_buffer
    .group_segment_fixed_size: 8192
    .kernarg_segment_align: 8
    .kernarg_segment_size: 400
    .language:       OpenCL C
    .language_version:
      - 2
      - 0
    .max_flat_workgroup_size: 256
    .name:           _Z39paged_attention_ll4mi_QKV_mfma16_kernelI14__hip_bfloat16hLN4vllm18Fp8KVCacheDataTypeE1ES0_Li32ELi64ELi256ELb1ELi3EL8MFMAType1EEvPKT_PKT0_S9_ifPKiSB_SB_iPKfiiiPfSE_PS4_PT2_iSD_SD_
    .private_segment_fixed_size: 64
    .sgpr_count:     40
    .sgpr_spill_count: 0
    .symbol:         _Z39paged_attention_ll4mi_QKV_mfma16_kernelI14__hip_bfloat16hLN4vllm18Fp8KVCacheDataTypeE1ES0_Li32ELi64ELi256ELb1ELi3EL8MFMAType1EEvPKT_PKT0_S9_ifPKiSB_SB_iPKfiiiPfSE_PS4_PT2_iSD_SD_.kd
    .uniform_work_group_size: 1
    .uses_dynamic_stack: false
    .vgpr_count:     45
    .vgpr_spill_count: 0
    .wavefront_size: 64
  - .agpr_count:     1
    .args:
      - .actual_access:  read_only
        .address_space:  global
        .offset:         0
        .size:           8
        .value_kind:     global_buffer
      - .actual_access:  read_only
        .address_space:  global
        .offset:         8
        .size:           8
        .value_kind:     global_buffer
      - .actual_access:  read_only
        .address_space:  global
        .offset:         16
        .size:           8
        .value_kind:     global_buffer
      - .offset:         24
        .size:           4
        .value_kind:     by_value
      - .offset:         28
        .size:           4
        .value_kind:     by_value
      - .actual_access:  read_only
        .address_space:  global
        .offset:         32
        .size:           8
        .value_kind:     global_buffer
      - .actual_access:  read_only
        .address_space:  global
        .offset:         40
        .size:           8
        .value_kind:     global_buffer
      - .actual_access:  read_only
        .address_space:  global
        .offset:         48
        .size:           8
        .value_kind:     global_buffer
      - .offset:         56
        .size:           4
        .value_kind:     by_value
      - .actual_access:  read_only
        .address_space:  global
        .offset:         64
        .size:           8
        .value_kind:     global_buffer
      - .offset:         72
        .size:           4
        .value_kind:     by_value
      - .offset:         76
        .size:           4
        .value_kind:     by_value
      - .offset:         80
        .size:           4
        .value_kind:     by_value
      - .actual_access:  read_only
        .address_space:  global
        .offset:         88
        .size:           8
        .value_kind:     global_buffer
      - .actual_access:  read_only
        .address_space:  global
        .offset:         96
        .size:           8
        .value_kind:     global_buffer
      - .actual_access:  read_only
        .address_space:  global
        .offset:         104
        .size:           8
        .value_kind:     global_buffer
      - .actual_access:  read_only
        .address_space:  global
        .offset:         112
        .size:           8
        .value_kind:     global_buffer
      - .offset:         120
        .size:           4
        .value_kind:     by_value
      - .address_space:  global
        .offset:         128
        .size:           8
        .value_kind:     global_buffer
      - .address_space:  global
        .offset:         136
        .size:           8
        .value_kind:     global_buffer
      - .offset:         144
        .size:           4
        .value_kind:     hidden_block_count_x
      - .offset:         148
        .size:           4
        .value_kind:     hidden_block_count_y
      - .offset:         152
        .size:           4
        .value_kind:     hidden_block_count_z
      - .offset:         156
        .size:           2
        .value_kind:     hidden_group_size_x
      - .offset:         158
        .size:           2
        .value_kind:     hidden_group_size_y
      - .offset:         160
        .size:           2
        .value_kind:     hidden_group_size_z
      - .offset:         162
        .size:           2
        .value_kind:     hidden_remainder_x
      - .offset:         164
        .size:           2
        .value_kind:     hidden_remainder_y
      - .offset:         166
        .size:           2
        .value_kind:     hidden_remainder_z
      - .offset:         184
        .size:           8
        .value_kind:     hidden_global_offset_x
      - .offset:         192
        .size:           8
        .value_kind:     hidden_global_offset_y
      - .offset:         200
        .size:           8
        .value_kind:     hidden_global_offset_z
      - .offset:         208
        .size:           2
        .value_kind:     hidden_grid_dims
      - .offset:         224
        .size:           8
        .value_kind:     hidden_hostcall_buffer
    .group_segment_fixed_size: 8192
    .kernarg_segment_align: 8
    .kernarg_segment_size: 400
    .language:       OpenCL C
    .language_version:
      - 2
      - 0
    .max_flat_workgroup_size: 256
    .name:           _Z39paged_attention_ll4mi_QKV_mfma16_kernelI14__hip_bfloat16hLN4vllm18Fp8KVCacheDataTypeE1ES0_Li32ELi64ELi256ELb1ELi4EL8MFMAType1EEvPKT_PKT0_S9_ifPKiSB_SB_iPKfiiiPfSE_PS4_PT2_iSD_SD_
    .private_segment_fixed_size: 64
    .sgpr_count:     40
    .sgpr_spill_count: 0
    .symbol:         _Z39paged_attention_ll4mi_QKV_mfma16_kernelI14__hip_bfloat16hLN4vllm18Fp8KVCacheDataTypeE1ES0_Li32ELi64ELi256ELb1ELi4EL8MFMAType1EEvPKT_PKT0_S9_ifPKiSB_SB_iPKfiiiPfSE_PS4_PT2_iSD_SD_.kd
    .uniform_work_group_size: 1
    .uses_dynamic_stack: false
    .vgpr_count:     45
    .vgpr_spill_count: 0
    .wavefront_size: 64
  - .agpr_count:     4
    .args:
      - .actual_access:  read_only
        .address_space:  global
        .offset:         0
        .size:           8
        .value_kind:     global_buffer
      - .actual_access:  read_only
        .address_space:  global
        .offset:         8
        .size:           8
        .value_kind:     global_buffer
      - .actual_access:  read_only
        .address_space:  global
        .offset:         16
        .size:           8
        .value_kind:     global_buffer
      - .offset:         24
        .size:           4
        .value_kind:     by_value
      - .offset:         28
        .size:           4
        .value_kind:     by_value
      - .actual_access:  read_only
        .address_space:  global
        .offset:         32
        .size:           8
        .value_kind:     global_buffer
      - .actual_access:  read_only
        .address_space:  global
        .offset:         40
        .size:           8
        .value_kind:     global_buffer
      - .actual_access:  read_only
        .address_space:  global
        .offset:         48
        .size:           8
        .value_kind:     global_buffer
      - .offset:         56
        .size:           4
        .value_kind:     by_value
      - .actual_access:  read_only
        .address_space:  global
        .offset:         64
        .size:           8
        .value_kind:     global_buffer
      - .offset:         72
        .size:           4
        .value_kind:     by_value
      - .offset:         76
        .size:           4
        .value_kind:     by_value
      - .offset:         80
        .size:           4
        .value_kind:     by_value
      - .actual_access:  write_only
        .address_space:  global
        .offset:         88
        .size:           8
        .value_kind:     global_buffer
      - .actual_access:  write_only
        .address_space:  global
        .offset:         96
        .size:           8
        .value_kind:     global_buffer
      - .actual_access:  write_only
        .address_space:  global
        .offset:         104
        .size:           8
        .value_kind:     global_buffer
      - .actual_access:  read_only
        .address_space:  global
        .offset:         112
        .size:           8
        .value_kind:     global_buffer
      - .offset:         120
        .size:           4
        .value_kind:     by_value
      - .address_space:  global
        .offset:         128
        .size:           8
        .value_kind:     global_buffer
      - .address_space:  global
        .offset:         136
        .size:           8
        .value_kind:     global_buffer
      - .offset:         144
        .size:           4
        .value_kind:     hidden_block_count_x
      - .offset:         148
        .size:           4
        .value_kind:     hidden_block_count_y
      - .offset:         152
        .size:           4
        .value_kind:     hidden_block_count_z
      - .offset:         156
        .size:           2
        .value_kind:     hidden_group_size_x
      - .offset:         158
        .size:           2
        .value_kind:     hidden_group_size_y
      - .offset:         160
        .size:           2
        .value_kind:     hidden_group_size_z
      - .offset:         162
        .size:           2
        .value_kind:     hidden_remainder_x
      - .offset:         164
        .size:           2
        .value_kind:     hidden_remainder_y
      - .offset:         166
        .size:           2
        .value_kind:     hidden_remainder_z
      - .offset:         184
        .size:           8
        .value_kind:     hidden_global_offset_x
      - .offset:         192
        .size:           8
        .value_kind:     hidden_global_offset_y
      - .offset:         200
        .size:           8
        .value_kind:     hidden_global_offset_z
      - .offset:         208
        .size:           2
        .value_kind:     hidden_grid_dims
    .group_segment_fixed_size: 2720
    .kernarg_segment_align: 8
    .kernarg_segment_size: 400
    .language:       OpenCL C
    .language_version:
      - 2
      - 0
    .max_flat_workgroup_size: 256
    .name:           _Z38paged_attention_ll4mi_QKV_mfma4_kernelI14__hip_bfloat16hLN4vllm18Fp8KVCacheDataTypeE1ES0_Li32ELi64ELi256ELb0ELi1EEvPKT_PKT0_S8_ifPKiSA_SA_iPKfiiiPfSD_PS3_PT2_iSC_SC_
    .private_segment_fixed_size: 0
    .sgpr_count:     46
    .sgpr_spill_count: 0
    .symbol:         _Z38paged_attention_ll4mi_QKV_mfma4_kernelI14__hip_bfloat16hLN4vllm18Fp8KVCacheDataTypeE1ES0_Li32ELi64ELi256ELb0ELi1EEvPKT_PKT0_S8_ifPKiSA_SA_iPKfiiiPfSD_PS3_PT2_iSC_SC_.kd
    .uniform_work_group_size: 1
    .uses_dynamic_stack: false
    .vgpr_count:     60
    .vgpr_spill_count: 0
    .wavefront_size: 64
  - .agpr_count:     4
    .args:
      - .actual_access:  read_only
        .address_space:  global
        .offset:         0
        .size:           8
        .value_kind:     global_buffer
      - .actual_access:  read_only
        .address_space:  global
        .offset:         8
        .size:           8
        .value_kind:     global_buffer
      - .actual_access:  read_only
        .address_space:  global
        .offset:         16
        .size:           8
        .value_kind:     global_buffer
      - .offset:         24
        .size:           4
        .value_kind:     by_value
      - .offset:         28
        .size:           4
        .value_kind:     by_value
      - .actual_access:  read_only
        .address_space:  global
        .offset:         32
        .size:           8
        .value_kind:     global_buffer
      - .actual_access:  read_only
        .address_space:  global
        .offset:         40
        .size:           8
        .value_kind:     global_buffer
      - .actual_access:  read_only
        .address_space:  global
        .offset:         48
        .size:           8
        .value_kind:     global_buffer
      - .offset:         56
        .size:           4
        .value_kind:     by_value
      - .actual_access:  read_only
        .address_space:  global
        .offset:         64
        .size:           8
        .value_kind:     global_buffer
      - .offset:         72
        .size:           4
        .value_kind:     by_value
      - .offset:         76
        .size:           4
        .value_kind:     by_value
      - .offset:         80
        .size:           4
        .value_kind:     by_value
      - .actual_access:  write_only
        .address_space:  global
        .offset:         88
        .size:           8
        .value_kind:     global_buffer
      - .actual_access:  write_only
        .address_space:  global
        .offset:         96
        .size:           8
        .value_kind:     global_buffer
      - .actual_access:  write_only
        .address_space:  global
        .offset:         104
        .size:           8
        .value_kind:     global_buffer
      - .actual_access:  read_only
        .address_space:  global
        .offset:         112
        .size:           8
        .value_kind:     global_buffer
      - .offset:         120
        .size:           4
        .value_kind:     by_value
      - .address_space:  global
        .offset:         128
        .size:           8
        .value_kind:     global_buffer
      - .address_space:  global
        .offset:         136
        .size:           8
        .value_kind:     global_buffer
      - .offset:         144
        .size:           4
        .value_kind:     hidden_block_count_x
      - .offset:         148
        .size:           4
        .value_kind:     hidden_block_count_y
      - .offset:         152
        .size:           4
        .value_kind:     hidden_block_count_z
      - .offset:         156
        .size:           2
        .value_kind:     hidden_group_size_x
      - .offset:         158
        .size:           2
        .value_kind:     hidden_group_size_y
      - .offset:         160
        .size:           2
        .value_kind:     hidden_group_size_z
      - .offset:         162
        .size:           2
        .value_kind:     hidden_remainder_x
      - .offset:         164
        .size:           2
        .value_kind:     hidden_remainder_y
      - .offset:         166
        .size:           2
        .value_kind:     hidden_remainder_z
      - .offset:         184
        .size:           8
        .value_kind:     hidden_global_offset_x
      - .offset:         192
        .size:           8
        .value_kind:     hidden_global_offset_y
      - .offset:         200
        .size:           8
        .value_kind:     hidden_global_offset_z
      - .offset:         208
        .size:           2
        .value_kind:     hidden_grid_dims
    .group_segment_fixed_size: 2720
    .kernarg_segment_align: 8
    .kernarg_segment_size: 400
    .language:       OpenCL C
    .language_version:
      - 2
      - 0
    .max_flat_workgroup_size: 256
    .name:           _Z38paged_attention_ll4mi_QKV_mfma4_kernelI14__hip_bfloat16hLN4vllm18Fp8KVCacheDataTypeE1ES0_Li32ELi64ELi256ELb0ELi2EEvPKT_PKT0_S8_ifPKiSA_SA_iPKfiiiPfSD_PS3_PT2_iSC_SC_
    .private_segment_fixed_size: 0
    .sgpr_count:     46
    .sgpr_spill_count: 0
    .symbol:         _Z38paged_attention_ll4mi_QKV_mfma4_kernelI14__hip_bfloat16hLN4vllm18Fp8KVCacheDataTypeE1ES0_Li32ELi64ELi256ELb0ELi2EEvPKT_PKT0_S8_ifPKiSA_SA_iPKfiiiPfSD_PS3_PT2_iSC_SC_.kd
    .uniform_work_group_size: 1
    .uses_dynamic_stack: false
    .vgpr_count:     60
    .vgpr_spill_count: 0
    .wavefront_size: 64
  - .agpr_count:     4
    .args:
      - .actual_access:  read_only
        .address_space:  global
        .offset:         0
        .size:           8
        .value_kind:     global_buffer
      - .actual_access:  read_only
        .address_space:  global
        .offset:         8
        .size:           8
        .value_kind:     global_buffer
      - .actual_access:  read_only
        .address_space:  global
        .offset:         16
        .size:           8
        .value_kind:     global_buffer
      - .offset:         24
        .size:           4
        .value_kind:     by_value
      - .offset:         28
        .size:           4
        .value_kind:     by_value
      - .actual_access:  read_only
        .address_space:  global
        .offset:         32
        .size:           8
        .value_kind:     global_buffer
      - .actual_access:  read_only
        .address_space:  global
        .offset:         40
        .size:           8
        .value_kind:     global_buffer
      - .actual_access:  read_only
        .address_space:  global
        .offset:         48
        .size:           8
        .value_kind:     global_buffer
      - .offset:         56
        .size:           4
        .value_kind:     by_value
      - .actual_access:  read_only
        .address_space:  global
        .offset:         64
        .size:           8
        .value_kind:     global_buffer
      - .offset:         72
        .size:           4
        .value_kind:     by_value
      - .offset:         76
        .size:           4
        .value_kind:     by_value
      - .offset:         80
        .size:           4
        .value_kind:     by_value
      - .actual_access:  write_only
        .address_space:  global
        .offset:         88
        .size:           8
        .value_kind:     global_buffer
      - .actual_access:  write_only
        .address_space:  global
        .offset:         96
        .size:           8
        .value_kind:     global_buffer
      - .actual_access:  write_only
        .address_space:  global
        .offset:         104
        .size:           8
        .value_kind:     global_buffer
      - .actual_access:  read_only
        .address_space:  global
        .offset:         112
        .size:           8
        .value_kind:     global_buffer
      - .offset:         120
        .size:           4
        .value_kind:     by_value
      - .address_space:  global
        .offset:         128
        .size:           8
        .value_kind:     global_buffer
      - .address_space:  global
        .offset:         136
        .size:           8
        .value_kind:     global_buffer
      - .offset:         144
        .size:           4
        .value_kind:     hidden_block_count_x
      - .offset:         148
        .size:           4
        .value_kind:     hidden_block_count_y
      - .offset:         152
        .size:           4
        .value_kind:     hidden_block_count_z
      - .offset:         156
        .size:           2
        .value_kind:     hidden_group_size_x
      - .offset:         158
        .size:           2
        .value_kind:     hidden_group_size_y
      - .offset:         160
        .size:           2
        .value_kind:     hidden_group_size_z
      - .offset:         162
        .size:           2
        .value_kind:     hidden_remainder_x
      - .offset:         164
        .size:           2
        .value_kind:     hidden_remainder_y
      - .offset:         166
        .size:           2
        .value_kind:     hidden_remainder_z
      - .offset:         184
        .size:           8
        .value_kind:     hidden_global_offset_x
      - .offset:         192
        .size:           8
        .value_kind:     hidden_global_offset_y
      - .offset:         200
        .size:           8
        .value_kind:     hidden_global_offset_z
      - .offset:         208
        .size:           2
        .value_kind:     hidden_grid_dims
    .group_segment_fixed_size: 2720
    .kernarg_segment_align: 8
    .kernarg_segment_size: 400
    .language:       OpenCL C
    .language_version:
      - 2
      - 0
    .max_flat_workgroup_size: 256
    .name:           _Z38paged_attention_ll4mi_QKV_mfma4_kernelI14__hip_bfloat16hLN4vllm18Fp8KVCacheDataTypeE1ES0_Li32ELi64ELi256ELb0ELi3EEvPKT_PKT0_S8_ifPKiSA_SA_iPKfiiiPfSD_PS3_PT2_iSC_SC_
    .private_segment_fixed_size: 0
    .sgpr_count:     46
    .sgpr_spill_count: 0
    .symbol:         _Z38paged_attention_ll4mi_QKV_mfma4_kernelI14__hip_bfloat16hLN4vllm18Fp8KVCacheDataTypeE1ES0_Li32ELi64ELi256ELb0ELi3EEvPKT_PKT0_S8_ifPKiSA_SA_iPKfiiiPfSD_PS3_PT2_iSC_SC_.kd
    .uniform_work_group_size: 1
    .uses_dynamic_stack: false
    .vgpr_count:     60
    .vgpr_spill_count: 0
    .wavefront_size: 64
  - .agpr_count:     4
    .args:
      - .actual_access:  read_only
        .address_space:  global
        .offset:         0
        .size:           8
        .value_kind:     global_buffer
      - .actual_access:  read_only
        .address_space:  global
        .offset:         8
        .size:           8
        .value_kind:     global_buffer
      - .actual_access:  read_only
        .address_space:  global
        .offset:         16
        .size:           8
        .value_kind:     global_buffer
      - .offset:         24
        .size:           4
        .value_kind:     by_value
      - .offset:         28
        .size:           4
        .value_kind:     by_value
      - .actual_access:  read_only
        .address_space:  global
        .offset:         32
        .size:           8
        .value_kind:     global_buffer
      - .actual_access:  read_only
        .address_space:  global
        .offset:         40
        .size:           8
        .value_kind:     global_buffer
      - .actual_access:  read_only
        .address_space:  global
        .offset:         48
        .size:           8
        .value_kind:     global_buffer
      - .offset:         56
        .size:           4
        .value_kind:     by_value
      - .actual_access:  read_only
        .address_space:  global
        .offset:         64
        .size:           8
        .value_kind:     global_buffer
      - .offset:         72
        .size:           4
        .value_kind:     by_value
      - .offset:         76
        .size:           4
        .value_kind:     by_value
      - .offset:         80
        .size:           4
        .value_kind:     by_value
      - .actual_access:  write_only
        .address_space:  global
        .offset:         88
        .size:           8
        .value_kind:     global_buffer
      - .actual_access:  write_only
        .address_space:  global
        .offset:         96
        .size:           8
        .value_kind:     global_buffer
      - .actual_access:  write_only
        .address_space:  global
        .offset:         104
        .size:           8
        .value_kind:     global_buffer
      - .actual_access:  read_only
        .address_space:  global
        .offset:         112
        .size:           8
        .value_kind:     global_buffer
      - .offset:         120
        .size:           4
        .value_kind:     by_value
      - .address_space:  global
        .offset:         128
        .size:           8
        .value_kind:     global_buffer
      - .address_space:  global
        .offset:         136
        .size:           8
        .value_kind:     global_buffer
      - .offset:         144
        .size:           4
        .value_kind:     hidden_block_count_x
      - .offset:         148
        .size:           4
        .value_kind:     hidden_block_count_y
      - .offset:         152
        .size:           4
        .value_kind:     hidden_block_count_z
      - .offset:         156
        .size:           2
        .value_kind:     hidden_group_size_x
      - .offset:         158
        .size:           2
        .value_kind:     hidden_group_size_y
      - .offset:         160
        .size:           2
        .value_kind:     hidden_group_size_z
      - .offset:         162
        .size:           2
        .value_kind:     hidden_remainder_x
      - .offset:         164
        .size:           2
        .value_kind:     hidden_remainder_y
      - .offset:         166
        .size:           2
        .value_kind:     hidden_remainder_z
      - .offset:         184
        .size:           8
        .value_kind:     hidden_global_offset_x
      - .offset:         192
        .size:           8
        .value_kind:     hidden_global_offset_y
      - .offset:         200
        .size:           8
        .value_kind:     hidden_global_offset_z
      - .offset:         208
        .size:           2
        .value_kind:     hidden_grid_dims
    .group_segment_fixed_size: 2720
    .kernarg_segment_align: 8
    .kernarg_segment_size: 400
    .language:       OpenCL C
    .language_version:
      - 2
      - 0
    .max_flat_workgroup_size: 256
    .name:           _Z38paged_attention_ll4mi_QKV_mfma4_kernelI14__hip_bfloat16hLN4vllm18Fp8KVCacheDataTypeE1ES0_Li32ELi64ELi256ELb0ELi4EEvPKT_PKT0_S8_ifPKiSA_SA_iPKfiiiPfSD_PS3_PT2_iSC_SC_
    .private_segment_fixed_size: 0
    .sgpr_count:     48
    .sgpr_spill_count: 0
    .symbol:         _Z38paged_attention_ll4mi_QKV_mfma4_kernelI14__hip_bfloat16hLN4vllm18Fp8KVCacheDataTypeE1ES0_Li32ELi64ELi256ELb0ELi4EEvPKT_PKT0_S8_ifPKiSA_SA_iPKfiiiPfSD_PS3_PT2_iSC_SC_.kd
    .uniform_work_group_size: 1
    .uses_dynamic_stack: false
    .vgpr_count:     60
    .vgpr_spill_count: 0
    .wavefront_size: 64
  - .agpr_count:     1
    .args:
      - .actual_access:  read_only
        .address_space:  global
        .offset:         0
        .size:           8
        .value_kind:     global_buffer
      - .actual_access:  read_only
        .address_space:  global
        .offset:         8
        .size:           8
        .value_kind:     global_buffer
      - .actual_access:  read_only
        .address_space:  global
        .offset:         16
        .size:           8
        .value_kind:     global_buffer
      - .offset:         24
        .size:           4
        .value_kind:     by_value
      - .offset:         28
        .size:           4
        .value_kind:     by_value
      - .actual_access:  read_only
        .address_space:  global
        .offset:         32
        .size:           8
        .value_kind:     global_buffer
      - .actual_access:  read_only
        .address_space:  global
        .offset:         40
        .size:           8
        .value_kind:     global_buffer
      - .actual_access:  read_only
        .address_space:  global
        .offset:         48
        .size:           8
        .value_kind:     global_buffer
      - .offset:         56
        .size:           4
        .value_kind:     by_value
      - .actual_access:  read_only
        .address_space:  global
        .offset:         64
        .size:           8
        .value_kind:     global_buffer
      - .offset:         72
        .size:           4
        .value_kind:     by_value
      - .offset:         76
        .size:           4
        .value_kind:     by_value
      - .offset:         80
        .size:           4
        .value_kind:     by_value
      - .actual_access:  read_only
        .address_space:  global
        .offset:         88
        .size:           8
        .value_kind:     global_buffer
      - .actual_access:  read_only
        .address_space:  global
        .offset:         96
        .size:           8
        .value_kind:     global_buffer
      - .actual_access:  read_only
        .address_space:  global
        .offset:         104
        .size:           8
        .value_kind:     global_buffer
      - .actual_access:  read_only
        .address_space:  global
        .offset:         112
        .size:           8
        .value_kind:     global_buffer
      - .offset:         120
        .size:           4
        .value_kind:     by_value
      - .address_space:  global
        .offset:         128
        .size:           8
        .value_kind:     global_buffer
      - .address_space:  global
        .offset:         136
        .size:           8
        .value_kind:     global_buffer
      - .offset:         144
        .size:           4
        .value_kind:     hidden_block_count_x
      - .offset:         148
        .size:           4
        .value_kind:     hidden_block_count_y
      - .offset:         152
        .size:           4
        .value_kind:     hidden_block_count_z
      - .offset:         156
        .size:           2
        .value_kind:     hidden_group_size_x
      - .offset:         158
        .size:           2
        .value_kind:     hidden_group_size_y
      - .offset:         160
        .size:           2
        .value_kind:     hidden_group_size_z
      - .offset:         162
        .size:           2
        .value_kind:     hidden_remainder_x
      - .offset:         164
        .size:           2
        .value_kind:     hidden_remainder_y
      - .offset:         166
        .size:           2
        .value_kind:     hidden_remainder_z
      - .offset:         184
        .size:           8
        .value_kind:     hidden_global_offset_x
      - .offset:         192
        .size:           8
        .value_kind:     hidden_global_offset_y
      - .offset:         200
        .size:           8
        .value_kind:     hidden_global_offset_z
      - .offset:         208
        .size:           2
        .value_kind:     hidden_grid_dims
      - .offset:         224
        .size:           8
        .value_kind:     hidden_hostcall_buffer
    .group_segment_fixed_size: 8192
    .kernarg_segment_align: 8
    .kernarg_segment_size: 400
    .language:       OpenCL C
    .language_version:
      - 2
      - 0
    .max_flat_workgroup_size: 256
    .name:           _Z39paged_attention_ll4mi_QKV_mfma16_kernelI14__hip_bfloat16hLN4vllm18Fp8KVCacheDataTypeE1ES0_Li32ELi64ELi256ELb0ELi5EL8MFMAType1EEvPKT_PKT0_S9_ifPKiSB_SB_iPKfiiiPfSE_PS4_PT2_iSD_SD_
    .private_segment_fixed_size: 64
    .sgpr_count:     40
    .sgpr_spill_count: 0
    .symbol:         _Z39paged_attention_ll4mi_QKV_mfma16_kernelI14__hip_bfloat16hLN4vllm18Fp8KVCacheDataTypeE1ES0_Li32ELi64ELi256ELb0ELi5EL8MFMAType1EEvPKT_PKT0_S9_ifPKiSB_SB_iPKfiiiPfSE_PS4_PT2_iSD_SD_.kd
    .uniform_work_group_size: 1
    .uses_dynamic_stack: false
    .vgpr_count:     45
    .vgpr_spill_count: 0
    .wavefront_size: 64
  - .agpr_count:     1
    .args:
      - .actual_access:  read_only
        .address_space:  global
        .offset:         0
        .size:           8
        .value_kind:     global_buffer
      - .actual_access:  read_only
        .address_space:  global
        .offset:         8
        .size:           8
        .value_kind:     global_buffer
      - .actual_access:  read_only
        .address_space:  global
        .offset:         16
        .size:           8
        .value_kind:     global_buffer
      - .offset:         24
        .size:           4
        .value_kind:     by_value
      - .offset:         28
        .size:           4
        .value_kind:     by_value
      - .actual_access:  read_only
        .address_space:  global
        .offset:         32
        .size:           8
        .value_kind:     global_buffer
      - .actual_access:  read_only
        .address_space:  global
        .offset:         40
        .size:           8
        .value_kind:     global_buffer
      - .actual_access:  read_only
        .address_space:  global
        .offset:         48
        .size:           8
        .value_kind:     global_buffer
      - .offset:         56
        .size:           4
        .value_kind:     by_value
      - .actual_access:  read_only
        .address_space:  global
        .offset:         64
        .size:           8
        .value_kind:     global_buffer
      - .offset:         72
        .size:           4
        .value_kind:     by_value
      - .offset:         76
        .size:           4
        .value_kind:     by_value
      - .offset:         80
        .size:           4
        .value_kind:     by_value
      - .actual_access:  read_only
        .address_space:  global
        .offset:         88
        .size:           8
        .value_kind:     global_buffer
      - .actual_access:  read_only
        .address_space:  global
        .offset:         96
        .size:           8
        .value_kind:     global_buffer
      - .actual_access:  read_only
        .address_space:  global
        .offset:         104
        .size:           8
        .value_kind:     global_buffer
      - .actual_access:  read_only
        .address_space:  global
        .offset:         112
        .size:           8
        .value_kind:     global_buffer
      - .offset:         120
        .size:           4
        .value_kind:     by_value
      - .address_space:  global
        .offset:         128
        .size:           8
        .value_kind:     global_buffer
      - .address_space:  global
        .offset:         136
        .size:           8
        .value_kind:     global_buffer
      - .offset:         144
        .size:           4
        .value_kind:     hidden_block_count_x
      - .offset:         148
        .size:           4
        .value_kind:     hidden_block_count_y
      - .offset:         152
        .size:           4
        .value_kind:     hidden_block_count_z
      - .offset:         156
        .size:           2
        .value_kind:     hidden_group_size_x
      - .offset:         158
        .size:           2
        .value_kind:     hidden_group_size_y
      - .offset:         160
        .size:           2
        .value_kind:     hidden_group_size_z
      - .offset:         162
        .size:           2
        .value_kind:     hidden_remainder_x
      - .offset:         164
        .size:           2
        .value_kind:     hidden_remainder_y
      - .offset:         166
        .size:           2
        .value_kind:     hidden_remainder_z
      - .offset:         184
        .size:           8
        .value_kind:     hidden_global_offset_x
      - .offset:         192
        .size:           8
        .value_kind:     hidden_global_offset_y
      - .offset:         200
        .size:           8
        .value_kind:     hidden_global_offset_z
      - .offset:         208
        .size:           2
        .value_kind:     hidden_grid_dims
      - .offset:         224
        .size:           8
        .value_kind:     hidden_hostcall_buffer
    .group_segment_fixed_size: 8192
    .kernarg_segment_align: 8
    .kernarg_segment_size: 400
    .language:       OpenCL C
    .language_version:
      - 2
      - 0
    .max_flat_workgroup_size: 256
    .name:           _Z39paged_attention_ll4mi_QKV_mfma16_kernelI14__hip_bfloat16hLN4vllm18Fp8KVCacheDataTypeE1ES0_Li32ELi64ELi256ELb0ELi6EL8MFMAType1EEvPKT_PKT0_S9_ifPKiSB_SB_iPKfiiiPfSE_PS4_PT2_iSD_SD_
    .private_segment_fixed_size: 64
    .sgpr_count:     40
    .sgpr_spill_count: 0
    .symbol:         _Z39paged_attention_ll4mi_QKV_mfma16_kernelI14__hip_bfloat16hLN4vllm18Fp8KVCacheDataTypeE1ES0_Li32ELi64ELi256ELb0ELi6EL8MFMAType1EEvPKT_PKT0_S9_ifPKiSB_SB_iPKfiiiPfSE_PS4_PT2_iSD_SD_.kd
    .uniform_work_group_size: 1
    .uses_dynamic_stack: false
    .vgpr_count:     45
    .vgpr_spill_count: 0
    .wavefront_size: 64
  - .agpr_count:     1
    .args:
      - .actual_access:  read_only
        .address_space:  global
        .offset:         0
        .size:           8
        .value_kind:     global_buffer
      - .actual_access:  read_only
        .address_space:  global
        .offset:         8
        .size:           8
        .value_kind:     global_buffer
      - .actual_access:  read_only
        .address_space:  global
        .offset:         16
        .size:           8
        .value_kind:     global_buffer
      - .offset:         24
        .size:           4
        .value_kind:     by_value
      - .offset:         28
        .size:           4
        .value_kind:     by_value
      - .actual_access:  read_only
        .address_space:  global
        .offset:         32
        .size:           8
        .value_kind:     global_buffer
      - .actual_access:  read_only
        .address_space:  global
        .offset:         40
        .size:           8
        .value_kind:     global_buffer
      - .actual_access:  read_only
        .address_space:  global
        .offset:         48
        .size:           8
        .value_kind:     global_buffer
      - .offset:         56
        .size:           4
        .value_kind:     by_value
      - .actual_access:  read_only
        .address_space:  global
        .offset:         64
        .size:           8
        .value_kind:     global_buffer
      - .offset:         72
        .size:           4
        .value_kind:     by_value
      - .offset:         76
        .size:           4
        .value_kind:     by_value
      - .offset:         80
        .size:           4
        .value_kind:     by_value
      - .actual_access:  read_only
        .address_space:  global
        .offset:         88
        .size:           8
        .value_kind:     global_buffer
      - .actual_access:  read_only
        .address_space:  global
        .offset:         96
        .size:           8
        .value_kind:     global_buffer
      - .actual_access:  read_only
        .address_space:  global
        .offset:         104
        .size:           8
        .value_kind:     global_buffer
      - .actual_access:  read_only
        .address_space:  global
        .offset:         112
        .size:           8
        .value_kind:     global_buffer
      - .offset:         120
        .size:           4
        .value_kind:     by_value
      - .address_space:  global
        .offset:         128
        .size:           8
        .value_kind:     global_buffer
      - .address_space:  global
        .offset:         136
        .size:           8
        .value_kind:     global_buffer
      - .offset:         144
        .size:           4
        .value_kind:     hidden_block_count_x
      - .offset:         148
        .size:           4
        .value_kind:     hidden_block_count_y
      - .offset:         152
        .size:           4
        .value_kind:     hidden_block_count_z
      - .offset:         156
        .size:           2
        .value_kind:     hidden_group_size_x
      - .offset:         158
        .size:           2
        .value_kind:     hidden_group_size_y
      - .offset:         160
        .size:           2
        .value_kind:     hidden_group_size_z
      - .offset:         162
        .size:           2
        .value_kind:     hidden_remainder_x
      - .offset:         164
        .size:           2
        .value_kind:     hidden_remainder_y
      - .offset:         166
        .size:           2
        .value_kind:     hidden_remainder_z
      - .offset:         184
        .size:           8
        .value_kind:     hidden_global_offset_x
      - .offset:         192
        .size:           8
        .value_kind:     hidden_global_offset_y
      - .offset:         200
        .size:           8
        .value_kind:     hidden_global_offset_z
      - .offset:         208
        .size:           2
        .value_kind:     hidden_grid_dims
      - .offset:         224
        .size:           8
        .value_kind:     hidden_hostcall_buffer
    .group_segment_fixed_size: 8192
    .kernarg_segment_align: 8
    .kernarg_segment_size: 400
    .language:       OpenCL C
    .language_version:
      - 2
      - 0
    .max_flat_workgroup_size: 256
    .name:           _Z39paged_attention_ll4mi_QKV_mfma16_kernelI14__hip_bfloat16hLN4vllm18Fp8KVCacheDataTypeE1ES0_Li32ELi64ELi256ELb0ELi7EL8MFMAType1EEvPKT_PKT0_S9_ifPKiSB_SB_iPKfiiiPfSE_PS4_PT2_iSD_SD_
    .private_segment_fixed_size: 64
    .sgpr_count:     40
    .sgpr_spill_count: 0
    .symbol:         _Z39paged_attention_ll4mi_QKV_mfma16_kernelI14__hip_bfloat16hLN4vllm18Fp8KVCacheDataTypeE1ES0_Li32ELi64ELi256ELb0ELi7EL8MFMAType1EEvPKT_PKT0_S9_ifPKiSB_SB_iPKfiiiPfSE_PS4_PT2_iSD_SD_.kd
    .uniform_work_group_size: 1
    .uses_dynamic_stack: false
    .vgpr_count:     45
    .vgpr_spill_count: 0
    .wavefront_size: 64
  - .agpr_count:     1
    .args:
      - .actual_access:  read_only
        .address_space:  global
        .offset:         0
        .size:           8
        .value_kind:     global_buffer
      - .actual_access:  read_only
        .address_space:  global
        .offset:         8
        .size:           8
        .value_kind:     global_buffer
      - .actual_access:  read_only
        .address_space:  global
        .offset:         16
        .size:           8
        .value_kind:     global_buffer
      - .offset:         24
        .size:           4
        .value_kind:     by_value
      - .offset:         28
        .size:           4
        .value_kind:     by_value
      - .actual_access:  read_only
        .address_space:  global
        .offset:         32
        .size:           8
        .value_kind:     global_buffer
      - .actual_access:  read_only
        .address_space:  global
        .offset:         40
        .size:           8
        .value_kind:     global_buffer
      - .actual_access:  read_only
        .address_space:  global
        .offset:         48
        .size:           8
        .value_kind:     global_buffer
      - .offset:         56
        .size:           4
        .value_kind:     by_value
      - .actual_access:  read_only
        .address_space:  global
        .offset:         64
        .size:           8
        .value_kind:     global_buffer
      - .offset:         72
        .size:           4
        .value_kind:     by_value
      - .offset:         76
        .size:           4
        .value_kind:     by_value
      - .offset:         80
        .size:           4
        .value_kind:     by_value
      - .actual_access:  read_only
        .address_space:  global
        .offset:         88
        .size:           8
        .value_kind:     global_buffer
      - .actual_access:  read_only
        .address_space:  global
        .offset:         96
        .size:           8
        .value_kind:     global_buffer
      - .actual_access:  read_only
        .address_space:  global
        .offset:         104
        .size:           8
        .value_kind:     global_buffer
      - .actual_access:  read_only
        .address_space:  global
        .offset:         112
        .size:           8
        .value_kind:     global_buffer
      - .offset:         120
        .size:           4
        .value_kind:     by_value
      - .address_space:  global
        .offset:         128
        .size:           8
        .value_kind:     global_buffer
      - .address_space:  global
        .offset:         136
        .size:           8
        .value_kind:     global_buffer
      - .offset:         144
        .size:           4
        .value_kind:     hidden_block_count_x
      - .offset:         148
        .size:           4
        .value_kind:     hidden_block_count_y
      - .offset:         152
        .size:           4
        .value_kind:     hidden_block_count_z
      - .offset:         156
        .size:           2
        .value_kind:     hidden_group_size_x
      - .offset:         158
        .size:           2
        .value_kind:     hidden_group_size_y
      - .offset:         160
        .size:           2
        .value_kind:     hidden_group_size_z
      - .offset:         162
        .size:           2
        .value_kind:     hidden_remainder_x
      - .offset:         164
        .size:           2
        .value_kind:     hidden_remainder_y
      - .offset:         166
        .size:           2
        .value_kind:     hidden_remainder_z
      - .offset:         184
        .size:           8
        .value_kind:     hidden_global_offset_x
      - .offset:         192
        .size:           8
        .value_kind:     hidden_global_offset_y
      - .offset:         200
        .size:           8
        .value_kind:     hidden_global_offset_z
      - .offset:         208
        .size:           2
        .value_kind:     hidden_grid_dims
      - .offset:         224
        .size:           8
        .value_kind:     hidden_hostcall_buffer
    .group_segment_fixed_size: 8192
    .kernarg_segment_align: 8
    .kernarg_segment_size: 400
    .language:       OpenCL C
    .language_version:
      - 2
      - 0
    .max_flat_workgroup_size: 256
    .name:           _Z39paged_attention_ll4mi_QKV_mfma16_kernelI14__hip_bfloat16hLN4vllm18Fp8KVCacheDataTypeE1ES0_Li32ELi64ELi256ELb0ELi8EL8MFMAType1EEvPKT_PKT0_S9_ifPKiSB_SB_iPKfiiiPfSE_PS4_PT2_iSD_SD_
    .private_segment_fixed_size: 64
    .sgpr_count:     40
    .sgpr_spill_count: 0
    .symbol:         _Z39paged_attention_ll4mi_QKV_mfma16_kernelI14__hip_bfloat16hLN4vllm18Fp8KVCacheDataTypeE1ES0_Li32ELi64ELi256ELb0ELi8EL8MFMAType1EEvPKT_PKT0_S9_ifPKiSB_SB_iPKfiiiPfSE_PS4_PT2_iSD_SD_.kd
    .uniform_work_group_size: 1
    .uses_dynamic_stack: false
    .vgpr_count:     45
    .vgpr_spill_count: 0
    .wavefront_size: 64
  - .agpr_count:     1
    .args:
      - .actual_access:  read_only
        .address_space:  global
        .offset:         0
        .size:           8
        .value_kind:     global_buffer
      - .actual_access:  read_only
        .address_space:  global
        .offset:         8
        .size:           8
        .value_kind:     global_buffer
      - .actual_access:  read_only
        .address_space:  global
        .offset:         16
        .size:           8
        .value_kind:     global_buffer
      - .offset:         24
        .size:           4
        .value_kind:     by_value
      - .offset:         28
        .size:           4
        .value_kind:     by_value
      - .actual_access:  read_only
        .address_space:  global
        .offset:         32
        .size:           8
        .value_kind:     global_buffer
      - .actual_access:  read_only
        .address_space:  global
        .offset:         40
        .size:           8
        .value_kind:     global_buffer
      - .actual_access:  read_only
        .address_space:  global
        .offset:         48
        .size:           8
        .value_kind:     global_buffer
      - .offset:         56
        .size:           4
        .value_kind:     by_value
      - .actual_access:  read_only
        .address_space:  global
        .offset:         64
        .size:           8
        .value_kind:     global_buffer
      - .offset:         72
        .size:           4
        .value_kind:     by_value
      - .offset:         76
        .size:           4
        .value_kind:     by_value
      - .offset:         80
        .size:           4
        .value_kind:     by_value
      - .actual_access:  read_only
        .address_space:  global
        .offset:         88
        .size:           8
        .value_kind:     global_buffer
      - .actual_access:  read_only
        .address_space:  global
        .offset:         96
        .size:           8
        .value_kind:     global_buffer
      - .actual_access:  read_only
        .address_space:  global
        .offset:         104
        .size:           8
        .value_kind:     global_buffer
      - .actual_access:  read_only
        .address_space:  global
        .offset:         112
        .size:           8
        .value_kind:     global_buffer
      - .offset:         120
        .size:           4
        .value_kind:     by_value
      - .address_space:  global
        .offset:         128
        .size:           8
        .value_kind:     global_buffer
      - .address_space:  global
        .offset:         136
        .size:           8
        .value_kind:     global_buffer
      - .offset:         144
        .size:           4
        .value_kind:     hidden_block_count_x
      - .offset:         148
        .size:           4
        .value_kind:     hidden_block_count_y
      - .offset:         152
        .size:           4
        .value_kind:     hidden_block_count_z
      - .offset:         156
        .size:           2
        .value_kind:     hidden_group_size_x
      - .offset:         158
        .size:           2
        .value_kind:     hidden_group_size_y
      - .offset:         160
        .size:           2
        .value_kind:     hidden_group_size_z
      - .offset:         162
        .size:           2
        .value_kind:     hidden_remainder_x
      - .offset:         164
        .size:           2
        .value_kind:     hidden_remainder_y
      - .offset:         166
        .size:           2
        .value_kind:     hidden_remainder_z
      - .offset:         184
        .size:           8
        .value_kind:     hidden_global_offset_x
      - .offset:         192
        .size:           8
        .value_kind:     hidden_global_offset_y
      - .offset:         200
        .size:           8
        .value_kind:     hidden_global_offset_z
      - .offset:         208
        .size:           2
        .value_kind:     hidden_grid_dims
      - .offset:         224
        .size:           8
        .value_kind:     hidden_hostcall_buffer
    .group_segment_fixed_size: 8192
    .kernarg_segment_align: 8
    .kernarg_segment_size: 400
    .language:       OpenCL C
    .language_version:
      - 2
      - 0
    .max_flat_workgroup_size: 256
    .name:           _Z39paged_attention_ll4mi_QKV_mfma16_kernelI14__hip_bfloat16hLN4vllm18Fp8KVCacheDataTypeE1ES0_Li32ELi64ELi256ELb0ELi9EL8MFMAType1EEvPKT_PKT0_S9_ifPKiSB_SB_iPKfiiiPfSE_PS4_PT2_iSD_SD_
    .private_segment_fixed_size: 64
    .sgpr_count:     40
    .sgpr_spill_count: 0
    .symbol:         _Z39paged_attention_ll4mi_QKV_mfma16_kernelI14__hip_bfloat16hLN4vllm18Fp8KVCacheDataTypeE1ES0_Li32ELi64ELi256ELb0ELi9EL8MFMAType1EEvPKT_PKT0_S9_ifPKiSB_SB_iPKfiiiPfSE_PS4_PT2_iSD_SD_.kd
    .uniform_work_group_size: 1
    .uses_dynamic_stack: false
    .vgpr_count:     45
    .vgpr_spill_count: 0
    .wavefront_size: 64
  - .agpr_count:     1
    .args:
      - .actual_access:  read_only
        .address_space:  global
        .offset:         0
        .size:           8
        .value_kind:     global_buffer
      - .actual_access:  read_only
        .address_space:  global
        .offset:         8
        .size:           8
        .value_kind:     global_buffer
      - .actual_access:  read_only
        .address_space:  global
        .offset:         16
        .size:           8
        .value_kind:     global_buffer
      - .offset:         24
        .size:           4
        .value_kind:     by_value
      - .offset:         28
        .size:           4
        .value_kind:     by_value
      - .actual_access:  read_only
        .address_space:  global
        .offset:         32
        .size:           8
        .value_kind:     global_buffer
      - .actual_access:  read_only
        .address_space:  global
        .offset:         40
        .size:           8
        .value_kind:     global_buffer
      - .actual_access:  read_only
        .address_space:  global
        .offset:         48
        .size:           8
        .value_kind:     global_buffer
      - .offset:         56
        .size:           4
        .value_kind:     by_value
      - .actual_access:  read_only
        .address_space:  global
        .offset:         64
        .size:           8
        .value_kind:     global_buffer
      - .offset:         72
        .size:           4
        .value_kind:     by_value
      - .offset:         76
        .size:           4
        .value_kind:     by_value
      - .offset:         80
        .size:           4
        .value_kind:     by_value
      - .actual_access:  read_only
        .address_space:  global
        .offset:         88
        .size:           8
        .value_kind:     global_buffer
      - .actual_access:  read_only
        .address_space:  global
        .offset:         96
        .size:           8
        .value_kind:     global_buffer
      - .actual_access:  read_only
        .address_space:  global
        .offset:         104
        .size:           8
        .value_kind:     global_buffer
      - .actual_access:  read_only
        .address_space:  global
        .offset:         112
        .size:           8
        .value_kind:     global_buffer
      - .offset:         120
        .size:           4
        .value_kind:     by_value
      - .address_space:  global
        .offset:         128
        .size:           8
        .value_kind:     global_buffer
      - .address_space:  global
        .offset:         136
        .size:           8
        .value_kind:     global_buffer
      - .offset:         144
        .size:           4
        .value_kind:     hidden_block_count_x
      - .offset:         148
        .size:           4
        .value_kind:     hidden_block_count_y
      - .offset:         152
        .size:           4
        .value_kind:     hidden_block_count_z
      - .offset:         156
        .size:           2
        .value_kind:     hidden_group_size_x
      - .offset:         158
        .size:           2
        .value_kind:     hidden_group_size_y
      - .offset:         160
        .size:           2
        .value_kind:     hidden_group_size_z
      - .offset:         162
        .size:           2
        .value_kind:     hidden_remainder_x
      - .offset:         164
        .size:           2
        .value_kind:     hidden_remainder_y
      - .offset:         166
        .size:           2
        .value_kind:     hidden_remainder_z
      - .offset:         184
        .size:           8
        .value_kind:     hidden_global_offset_x
      - .offset:         192
        .size:           8
        .value_kind:     hidden_global_offset_y
      - .offset:         200
        .size:           8
        .value_kind:     hidden_global_offset_z
      - .offset:         208
        .size:           2
        .value_kind:     hidden_grid_dims
      - .offset:         224
        .size:           8
        .value_kind:     hidden_hostcall_buffer
    .group_segment_fixed_size: 8192
    .kernarg_segment_align: 8
    .kernarg_segment_size: 400
    .language:       OpenCL C
    .language_version:
      - 2
      - 0
    .max_flat_workgroup_size: 256
    .name:           _Z39paged_attention_ll4mi_QKV_mfma16_kernelI14__hip_bfloat16hLN4vllm18Fp8KVCacheDataTypeE1ES0_Li32ELi64ELi256ELb0ELi10EL8MFMAType1EEvPKT_PKT0_S9_ifPKiSB_SB_iPKfiiiPfSE_PS4_PT2_iSD_SD_
    .private_segment_fixed_size: 64
    .sgpr_count:     40
    .sgpr_spill_count: 0
    .symbol:         _Z39paged_attention_ll4mi_QKV_mfma16_kernelI14__hip_bfloat16hLN4vllm18Fp8KVCacheDataTypeE1ES0_Li32ELi64ELi256ELb0ELi10EL8MFMAType1EEvPKT_PKT0_S9_ifPKiSB_SB_iPKfiiiPfSE_PS4_PT2_iSD_SD_.kd
    .uniform_work_group_size: 1
    .uses_dynamic_stack: false
    .vgpr_count:     45
    .vgpr_spill_count: 0
    .wavefront_size: 64
  - .agpr_count:     1
    .args:
      - .actual_access:  read_only
        .address_space:  global
        .offset:         0
        .size:           8
        .value_kind:     global_buffer
      - .actual_access:  read_only
        .address_space:  global
        .offset:         8
        .size:           8
        .value_kind:     global_buffer
      - .actual_access:  read_only
        .address_space:  global
        .offset:         16
        .size:           8
        .value_kind:     global_buffer
      - .offset:         24
        .size:           4
        .value_kind:     by_value
      - .offset:         28
        .size:           4
        .value_kind:     by_value
      - .actual_access:  read_only
        .address_space:  global
        .offset:         32
        .size:           8
        .value_kind:     global_buffer
      - .actual_access:  read_only
        .address_space:  global
        .offset:         40
        .size:           8
        .value_kind:     global_buffer
      - .actual_access:  read_only
        .address_space:  global
        .offset:         48
        .size:           8
        .value_kind:     global_buffer
      - .offset:         56
        .size:           4
        .value_kind:     by_value
      - .actual_access:  read_only
        .address_space:  global
        .offset:         64
        .size:           8
        .value_kind:     global_buffer
      - .offset:         72
        .size:           4
        .value_kind:     by_value
      - .offset:         76
        .size:           4
        .value_kind:     by_value
      - .offset:         80
        .size:           4
        .value_kind:     by_value
      - .actual_access:  read_only
        .address_space:  global
        .offset:         88
        .size:           8
        .value_kind:     global_buffer
      - .actual_access:  read_only
        .address_space:  global
        .offset:         96
        .size:           8
        .value_kind:     global_buffer
      - .actual_access:  read_only
        .address_space:  global
        .offset:         104
        .size:           8
        .value_kind:     global_buffer
      - .actual_access:  read_only
        .address_space:  global
        .offset:         112
        .size:           8
        .value_kind:     global_buffer
      - .offset:         120
        .size:           4
        .value_kind:     by_value
      - .address_space:  global
        .offset:         128
        .size:           8
        .value_kind:     global_buffer
      - .address_space:  global
        .offset:         136
        .size:           8
        .value_kind:     global_buffer
      - .offset:         144
        .size:           4
        .value_kind:     hidden_block_count_x
      - .offset:         148
        .size:           4
        .value_kind:     hidden_block_count_y
      - .offset:         152
        .size:           4
        .value_kind:     hidden_block_count_z
      - .offset:         156
        .size:           2
        .value_kind:     hidden_group_size_x
      - .offset:         158
        .size:           2
        .value_kind:     hidden_group_size_y
      - .offset:         160
        .size:           2
        .value_kind:     hidden_group_size_z
      - .offset:         162
        .size:           2
        .value_kind:     hidden_remainder_x
      - .offset:         164
        .size:           2
        .value_kind:     hidden_remainder_y
      - .offset:         166
        .size:           2
        .value_kind:     hidden_remainder_z
      - .offset:         184
        .size:           8
        .value_kind:     hidden_global_offset_x
      - .offset:         192
        .size:           8
        .value_kind:     hidden_global_offset_y
      - .offset:         200
        .size:           8
        .value_kind:     hidden_global_offset_z
      - .offset:         208
        .size:           2
        .value_kind:     hidden_grid_dims
      - .offset:         224
        .size:           8
        .value_kind:     hidden_hostcall_buffer
    .group_segment_fixed_size: 8192
    .kernarg_segment_align: 8
    .kernarg_segment_size: 400
    .language:       OpenCL C
    .language_version:
      - 2
      - 0
    .max_flat_workgroup_size: 256
    .name:           _Z39paged_attention_ll4mi_QKV_mfma16_kernelI14__hip_bfloat16hLN4vllm18Fp8KVCacheDataTypeE1ES0_Li32ELi64ELi256ELb0ELi11EL8MFMAType1EEvPKT_PKT0_S9_ifPKiSB_SB_iPKfiiiPfSE_PS4_PT2_iSD_SD_
    .private_segment_fixed_size: 64
    .sgpr_count:     40
    .sgpr_spill_count: 0
    .symbol:         _Z39paged_attention_ll4mi_QKV_mfma16_kernelI14__hip_bfloat16hLN4vllm18Fp8KVCacheDataTypeE1ES0_Li32ELi64ELi256ELb0ELi11EL8MFMAType1EEvPKT_PKT0_S9_ifPKiSB_SB_iPKfiiiPfSE_PS4_PT2_iSD_SD_.kd
    .uniform_work_group_size: 1
    .uses_dynamic_stack: false
    .vgpr_count:     45
    .vgpr_spill_count: 0
    .wavefront_size: 64
  - .agpr_count:     1
    .args:
      - .actual_access:  read_only
        .address_space:  global
        .offset:         0
        .size:           8
        .value_kind:     global_buffer
      - .actual_access:  read_only
        .address_space:  global
        .offset:         8
        .size:           8
        .value_kind:     global_buffer
      - .actual_access:  read_only
        .address_space:  global
        .offset:         16
        .size:           8
        .value_kind:     global_buffer
      - .offset:         24
        .size:           4
        .value_kind:     by_value
      - .offset:         28
        .size:           4
        .value_kind:     by_value
      - .actual_access:  read_only
        .address_space:  global
        .offset:         32
        .size:           8
        .value_kind:     global_buffer
      - .actual_access:  read_only
        .address_space:  global
        .offset:         40
        .size:           8
        .value_kind:     global_buffer
      - .actual_access:  read_only
        .address_space:  global
        .offset:         48
        .size:           8
        .value_kind:     global_buffer
      - .offset:         56
        .size:           4
        .value_kind:     by_value
      - .actual_access:  read_only
        .address_space:  global
        .offset:         64
        .size:           8
        .value_kind:     global_buffer
      - .offset:         72
        .size:           4
        .value_kind:     by_value
      - .offset:         76
        .size:           4
        .value_kind:     by_value
      - .offset:         80
        .size:           4
        .value_kind:     by_value
      - .actual_access:  read_only
        .address_space:  global
        .offset:         88
        .size:           8
        .value_kind:     global_buffer
      - .actual_access:  read_only
        .address_space:  global
        .offset:         96
        .size:           8
        .value_kind:     global_buffer
      - .actual_access:  read_only
        .address_space:  global
        .offset:         104
        .size:           8
        .value_kind:     global_buffer
      - .actual_access:  read_only
        .address_space:  global
        .offset:         112
        .size:           8
        .value_kind:     global_buffer
      - .offset:         120
        .size:           4
        .value_kind:     by_value
      - .address_space:  global
        .offset:         128
        .size:           8
        .value_kind:     global_buffer
      - .address_space:  global
        .offset:         136
        .size:           8
        .value_kind:     global_buffer
      - .offset:         144
        .size:           4
        .value_kind:     hidden_block_count_x
      - .offset:         148
        .size:           4
        .value_kind:     hidden_block_count_y
      - .offset:         152
        .size:           4
        .value_kind:     hidden_block_count_z
      - .offset:         156
        .size:           2
        .value_kind:     hidden_group_size_x
      - .offset:         158
        .size:           2
        .value_kind:     hidden_group_size_y
      - .offset:         160
        .size:           2
        .value_kind:     hidden_group_size_z
      - .offset:         162
        .size:           2
        .value_kind:     hidden_remainder_x
      - .offset:         164
        .size:           2
        .value_kind:     hidden_remainder_y
      - .offset:         166
        .size:           2
        .value_kind:     hidden_remainder_z
      - .offset:         184
        .size:           8
        .value_kind:     hidden_global_offset_x
      - .offset:         192
        .size:           8
        .value_kind:     hidden_global_offset_y
      - .offset:         200
        .size:           8
        .value_kind:     hidden_global_offset_z
      - .offset:         208
        .size:           2
        .value_kind:     hidden_grid_dims
      - .offset:         224
        .size:           8
        .value_kind:     hidden_hostcall_buffer
    .group_segment_fixed_size: 8192
    .kernarg_segment_align: 8
    .kernarg_segment_size: 400
    .language:       OpenCL C
    .language_version:
      - 2
      - 0
    .max_flat_workgroup_size: 256
    .name:           _Z39paged_attention_ll4mi_QKV_mfma16_kernelI14__hip_bfloat16hLN4vllm18Fp8KVCacheDataTypeE1ES0_Li32ELi64ELi256ELb0ELi12EL8MFMAType1EEvPKT_PKT0_S9_ifPKiSB_SB_iPKfiiiPfSE_PS4_PT2_iSD_SD_
    .private_segment_fixed_size: 64
    .sgpr_count:     40
    .sgpr_spill_count: 0
    .symbol:         _Z39paged_attention_ll4mi_QKV_mfma16_kernelI14__hip_bfloat16hLN4vllm18Fp8KVCacheDataTypeE1ES0_Li32ELi64ELi256ELb0ELi12EL8MFMAType1EEvPKT_PKT0_S9_ifPKiSB_SB_iPKfiiiPfSE_PS4_PT2_iSD_SD_.kd
    .uniform_work_group_size: 1
    .uses_dynamic_stack: false
    .vgpr_count:     45
    .vgpr_spill_count: 0
    .wavefront_size: 64
  - .agpr_count:     1
    .args:
      - .actual_access:  read_only
        .address_space:  global
        .offset:         0
        .size:           8
        .value_kind:     global_buffer
      - .actual_access:  read_only
        .address_space:  global
        .offset:         8
        .size:           8
        .value_kind:     global_buffer
      - .actual_access:  read_only
        .address_space:  global
        .offset:         16
        .size:           8
        .value_kind:     global_buffer
      - .offset:         24
        .size:           4
        .value_kind:     by_value
      - .offset:         28
        .size:           4
        .value_kind:     by_value
      - .actual_access:  read_only
        .address_space:  global
        .offset:         32
        .size:           8
        .value_kind:     global_buffer
      - .actual_access:  read_only
        .address_space:  global
        .offset:         40
        .size:           8
        .value_kind:     global_buffer
      - .actual_access:  read_only
        .address_space:  global
        .offset:         48
        .size:           8
        .value_kind:     global_buffer
      - .offset:         56
        .size:           4
        .value_kind:     by_value
      - .actual_access:  read_only
        .address_space:  global
        .offset:         64
        .size:           8
        .value_kind:     global_buffer
      - .offset:         72
        .size:           4
        .value_kind:     by_value
      - .offset:         76
        .size:           4
        .value_kind:     by_value
      - .offset:         80
        .size:           4
        .value_kind:     by_value
      - .actual_access:  read_only
        .address_space:  global
        .offset:         88
        .size:           8
        .value_kind:     global_buffer
      - .actual_access:  read_only
        .address_space:  global
        .offset:         96
        .size:           8
        .value_kind:     global_buffer
      - .actual_access:  read_only
        .address_space:  global
        .offset:         104
        .size:           8
        .value_kind:     global_buffer
      - .actual_access:  read_only
        .address_space:  global
        .offset:         112
        .size:           8
        .value_kind:     global_buffer
      - .offset:         120
        .size:           4
        .value_kind:     by_value
      - .address_space:  global
        .offset:         128
        .size:           8
        .value_kind:     global_buffer
      - .address_space:  global
        .offset:         136
        .size:           8
        .value_kind:     global_buffer
      - .offset:         144
        .size:           4
        .value_kind:     hidden_block_count_x
      - .offset:         148
        .size:           4
        .value_kind:     hidden_block_count_y
      - .offset:         152
        .size:           4
        .value_kind:     hidden_block_count_z
      - .offset:         156
        .size:           2
        .value_kind:     hidden_group_size_x
      - .offset:         158
        .size:           2
        .value_kind:     hidden_group_size_y
      - .offset:         160
        .size:           2
        .value_kind:     hidden_group_size_z
      - .offset:         162
        .size:           2
        .value_kind:     hidden_remainder_x
      - .offset:         164
        .size:           2
        .value_kind:     hidden_remainder_y
      - .offset:         166
        .size:           2
        .value_kind:     hidden_remainder_z
      - .offset:         184
        .size:           8
        .value_kind:     hidden_global_offset_x
      - .offset:         192
        .size:           8
        .value_kind:     hidden_global_offset_y
      - .offset:         200
        .size:           8
        .value_kind:     hidden_global_offset_z
      - .offset:         208
        .size:           2
        .value_kind:     hidden_grid_dims
      - .offset:         224
        .size:           8
        .value_kind:     hidden_hostcall_buffer
    .group_segment_fixed_size: 8192
    .kernarg_segment_align: 8
    .kernarg_segment_size: 400
    .language:       OpenCL C
    .language_version:
      - 2
      - 0
    .max_flat_workgroup_size: 256
    .name:           _Z39paged_attention_ll4mi_QKV_mfma16_kernelI14__hip_bfloat16hLN4vllm18Fp8KVCacheDataTypeE1ES0_Li32ELi64ELi256ELb0ELi13EL8MFMAType1EEvPKT_PKT0_S9_ifPKiSB_SB_iPKfiiiPfSE_PS4_PT2_iSD_SD_
    .private_segment_fixed_size: 64
    .sgpr_count:     40
    .sgpr_spill_count: 0
    .symbol:         _Z39paged_attention_ll4mi_QKV_mfma16_kernelI14__hip_bfloat16hLN4vllm18Fp8KVCacheDataTypeE1ES0_Li32ELi64ELi256ELb0ELi13EL8MFMAType1EEvPKT_PKT0_S9_ifPKiSB_SB_iPKfiiiPfSE_PS4_PT2_iSD_SD_.kd
    .uniform_work_group_size: 1
    .uses_dynamic_stack: false
    .vgpr_count:     45
    .vgpr_spill_count: 0
    .wavefront_size: 64
  - .agpr_count:     1
    .args:
      - .actual_access:  read_only
        .address_space:  global
        .offset:         0
        .size:           8
        .value_kind:     global_buffer
      - .actual_access:  read_only
        .address_space:  global
        .offset:         8
        .size:           8
        .value_kind:     global_buffer
      - .actual_access:  read_only
        .address_space:  global
        .offset:         16
        .size:           8
        .value_kind:     global_buffer
      - .offset:         24
        .size:           4
        .value_kind:     by_value
      - .offset:         28
        .size:           4
        .value_kind:     by_value
      - .actual_access:  read_only
        .address_space:  global
        .offset:         32
        .size:           8
        .value_kind:     global_buffer
      - .actual_access:  read_only
        .address_space:  global
        .offset:         40
        .size:           8
        .value_kind:     global_buffer
      - .actual_access:  read_only
        .address_space:  global
        .offset:         48
        .size:           8
        .value_kind:     global_buffer
      - .offset:         56
        .size:           4
        .value_kind:     by_value
      - .actual_access:  read_only
        .address_space:  global
        .offset:         64
        .size:           8
        .value_kind:     global_buffer
      - .offset:         72
        .size:           4
        .value_kind:     by_value
      - .offset:         76
        .size:           4
        .value_kind:     by_value
      - .offset:         80
        .size:           4
        .value_kind:     by_value
      - .actual_access:  read_only
        .address_space:  global
        .offset:         88
        .size:           8
        .value_kind:     global_buffer
      - .actual_access:  read_only
        .address_space:  global
        .offset:         96
        .size:           8
        .value_kind:     global_buffer
      - .actual_access:  read_only
        .address_space:  global
        .offset:         104
        .size:           8
        .value_kind:     global_buffer
      - .actual_access:  read_only
        .address_space:  global
        .offset:         112
        .size:           8
        .value_kind:     global_buffer
      - .offset:         120
        .size:           4
        .value_kind:     by_value
      - .address_space:  global
        .offset:         128
        .size:           8
        .value_kind:     global_buffer
      - .address_space:  global
        .offset:         136
        .size:           8
        .value_kind:     global_buffer
      - .offset:         144
        .size:           4
        .value_kind:     hidden_block_count_x
      - .offset:         148
        .size:           4
        .value_kind:     hidden_block_count_y
      - .offset:         152
        .size:           4
        .value_kind:     hidden_block_count_z
      - .offset:         156
        .size:           2
        .value_kind:     hidden_group_size_x
      - .offset:         158
        .size:           2
        .value_kind:     hidden_group_size_y
      - .offset:         160
        .size:           2
        .value_kind:     hidden_group_size_z
      - .offset:         162
        .size:           2
        .value_kind:     hidden_remainder_x
      - .offset:         164
        .size:           2
        .value_kind:     hidden_remainder_y
      - .offset:         166
        .size:           2
        .value_kind:     hidden_remainder_z
      - .offset:         184
        .size:           8
        .value_kind:     hidden_global_offset_x
      - .offset:         192
        .size:           8
        .value_kind:     hidden_global_offset_y
      - .offset:         200
        .size:           8
        .value_kind:     hidden_global_offset_z
      - .offset:         208
        .size:           2
        .value_kind:     hidden_grid_dims
      - .offset:         224
        .size:           8
        .value_kind:     hidden_hostcall_buffer
    .group_segment_fixed_size: 8192
    .kernarg_segment_align: 8
    .kernarg_segment_size: 400
    .language:       OpenCL C
    .language_version:
      - 2
      - 0
    .max_flat_workgroup_size: 256
    .name:           _Z39paged_attention_ll4mi_QKV_mfma16_kernelI14__hip_bfloat16hLN4vllm18Fp8KVCacheDataTypeE1ES0_Li32ELi64ELi256ELb0ELi14EL8MFMAType1EEvPKT_PKT0_S9_ifPKiSB_SB_iPKfiiiPfSE_PS4_PT2_iSD_SD_
    .private_segment_fixed_size: 64
    .sgpr_count:     40
    .sgpr_spill_count: 0
    .symbol:         _Z39paged_attention_ll4mi_QKV_mfma16_kernelI14__hip_bfloat16hLN4vllm18Fp8KVCacheDataTypeE1ES0_Li32ELi64ELi256ELb0ELi14EL8MFMAType1EEvPKT_PKT0_S9_ifPKiSB_SB_iPKfiiiPfSE_PS4_PT2_iSD_SD_.kd
    .uniform_work_group_size: 1
    .uses_dynamic_stack: false
    .vgpr_count:     45
    .vgpr_spill_count: 0
    .wavefront_size: 64
  - .agpr_count:     1
    .args:
      - .actual_access:  read_only
        .address_space:  global
        .offset:         0
        .size:           8
        .value_kind:     global_buffer
      - .actual_access:  read_only
        .address_space:  global
        .offset:         8
        .size:           8
        .value_kind:     global_buffer
      - .actual_access:  read_only
        .address_space:  global
        .offset:         16
        .size:           8
        .value_kind:     global_buffer
      - .offset:         24
        .size:           4
        .value_kind:     by_value
      - .offset:         28
        .size:           4
        .value_kind:     by_value
      - .actual_access:  read_only
        .address_space:  global
        .offset:         32
        .size:           8
        .value_kind:     global_buffer
      - .actual_access:  read_only
        .address_space:  global
        .offset:         40
        .size:           8
        .value_kind:     global_buffer
      - .actual_access:  read_only
        .address_space:  global
        .offset:         48
        .size:           8
        .value_kind:     global_buffer
      - .offset:         56
        .size:           4
        .value_kind:     by_value
      - .actual_access:  read_only
        .address_space:  global
        .offset:         64
        .size:           8
        .value_kind:     global_buffer
      - .offset:         72
        .size:           4
        .value_kind:     by_value
      - .offset:         76
        .size:           4
        .value_kind:     by_value
      - .offset:         80
        .size:           4
        .value_kind:     by_value
      - .actual_access:  read_only
        .address_space:  global
        .offset:         88
        .size:           8
        .value_kind:     global_buffer
      - .actual_access:  read_only
        .address_space:  global
        .offset:         96
        .size:           8
        .value_kind:     global_buffer
      - .actual_access:  read_only
        .address_space:  global
        .offset:         104
        .size:           8
        .value_kind:     global_buffer
      - .actual_access:  read_only
        .address_space:  global
        .offset:         112
        .size:           8
        .value_kind:     global_buffer
      - .offset:         120
        .size:           4
        .value_kind:     by_value
      - .address_space:  global
        .offset:         128
        .size:           8
        .value_kind:     global_buffer
      - .address_space:  global
        .offset:         136
        .size:           8
        .value_kind:     global_buffer
      - .offset:         144
        .size:           4
        .value_kind:     hidden_block_count_x
      - .offset:         148
        .size:           4
        .value_kind:     hidden_block_count_y
      - .offset:         152
        .size:           4
        .value_kind:     hidden_block_count_z
      - .offset:         156
        .size:           2
        .value_kind:     hidden_group_size_x
      - .offset:         158
        .size:           2
        .value_kind:     hidden_group_size_y
      - .offset:         160
        .size:           2
        .value_kind:     hidden_group_size_z
      - .offset:         162
        .size:           2
        .value_kind:     hidden_remainder_x
      - .offset:         164
        .size:           2
        .value_kind:     hidden_remainder_y
      - .offset:         166
        .size:           2
        .value_kind:     hidden_remainder_z
      - .offset:         184
        .size:           8
        .value_kind:     hidden_global_offset_x
      - .offset:         192
        .size:           8
        .value_kind:     hidden_global_offset_y
      - .offset:         200
        .size:           8
        .value_kind:     hidden_global_offset_z
      - .offset:         208
        .size:           2
        .value_kind:     hidden_grid_dims
      - .offset:         224
        .size:           8
        .value_kind:     hidden_hostcall_buffer
    .group_segment_fixed_size: 8192
    .kernarg_segment_align: 8
    .kernarg_segment_size: 400
    .language:       OpenCL C
    .language_version:
      - 2
      - 0
    .max_flat_workgroup_size: 256
    .name:           _Z39paged_attention_ll4mi_QKV_mfma16_kernelI14__hip_bfloat16hLN4vllm18Fp8KVCacheDataTypeE1ES0_Li32ELi64ELi256ELb0ELi15EL8MFMAType1EEvPKT_PKT0_S9_ifPKiSB_SB_iPKfiiiPfSE_PS4_PT2_iSD_SD_
    .private_segment_fixed_size: 64
    .sgpr_count:     40
    .sgpr_spill_count: 0
    .symbol:         _Z39paged_attention_ll4mi_QKV_mfma16_kernelI14__hip_bfloat16hLN4vllm18Fp8KVCacheDataTypeE1ES0_Li32ELi64ELi256ELb0ELi15EL8MFMAType1EEvPKT_PKT0_S9_ifPKiSB_SB_iPKfiiiPfSE_PS4_PT2_iSD_SD_.kd
    .uniform_work_group_size: 1
    .uses_dynamic_stack: false
    .vgpr_count:     45
    .vgpr_spill_count: 0
    .wavefront_size: 64
  - .agpr_count:     1
    .args:
      - .actual_access:  read_only
        .address_space:  global
        .offset:         0
        .size:           8
        .value_kind:     global_buffer
      - .actual_access:  read_only
        .address_space:  global
        .offset:         8
        .size:           8
        .value_kind:     global_buffer
      - .actual_access:  read_only
        .address_space:  global
        .offset:         16
        .size:           8
        .value_kind:     global_buffer
      - .offset:         24
        .size:           4
        .value_kind:     by_value
      - .offset:         28
        .size:           4
        .value_kind:     by_value
      - .actual_access:  read_only
        .address_space:  global
        .offset:         32
        .size:           8
        .value_kind:     global_buffer
      - .actual_access:  read_only
        .address_space:  global
        .offset:         40
        .size:           8
        .value_kind:     global_buffer
      - .actual_access:  read_only
        .address_space:  global
        .offset:         48
        .size:           8
        .value_kind:     global_buffer
      - .offset:         56
        .size:           4
        .value_kind:     by_value
      - .actual_access:  read_only
        .address_space:  global
        .offset:         64
        .size:           8
        .value_kind:     global_buffer
      - .offset:         72
        .size:           4
        .value_kind:     by_value
      - .offset:         76
        .size:           4
        .value_kind:     by_value
      - .offset:         80
        .size:           4
        .value_kind:     by_value
      - .actual_access:  read_only
        .address_space:  global
        .offset:         88
        .size:           8
        .value_kind:     global_buffer
      - .actual_access:  read_only
        .address_space:  global
        .offset:         96
        .size:           8
        .value_kind:     global_buffer
      - .actual_access:  read_only
        .address_space:  global
        .offset:         104
        .size:           8
        .value_kind:     global_buffer
      - .actual_access:  read_only
        .address_space:  global
        .offset:         112
        .size:           8
        .value_kind:     global_buffer
      - .offset:         120
        .size:           4
        .value_kind:     by_value
      - .address_space:  global
        .offset:         128
        .size:           8
        .value_kind:     global_buffer
      - .address_space:  global
        .offset:         136
        .size:           8
        .value_kind:     global_buffer
      - .offset:         144
        .size:           4
        .value_kind:     hidden_block_count_x
      - .offset:         148
        .size:           4
        .value_kind:     hidden_block_count_y
      - .offset:         152
        .size:           4
        .value_kind:     hidden_block_count_z
      - .offset:         156
        .size:           2
        .value_kind:     hidden_group_size_x
      - .offset:         158
        .size:           2
        .value_kind:     hidden_group_size_y
      - .offset:         160
        .size:           2
        .value_kind:     hidden_group_size_z
      - .offset:         162
        .size:           2
        .value_kind:     hidden_remainder_x
      - .offset:         164
        .size:           2
        .value_kind:     hidden_remainder_y
      - .offset:         166
        .size:           2
        .value_kind:     hidden_remainder_z
      - .offset:         184
        .size:           8
        .value_kind:     hidden_global_offset_x
      - .offset:         192
        .size:           8
        .value_kind:     hidden_global_offset_y
      - .offset:         200
        .size:           8
        .value_kind:     hidden_global_offset_z
      - .offset:         208
        .size:           2
        .value_kind:     hidden_grid_dims
      - .offset:         224
        .size:           8
        .value_kind:     hidden_hostcall_buffer
    .group_segment_fixed_size: 8192
    .kernarg_segment_align: 8
    .kernarg_segment_size: 400
    .language:       OpenCL C
    .language_version:
      - 2
      - 0
    .max_flat_workgroup_size: 256
    .name:           _Z39paged_attention_ll4mi_QKV_mfma16_kernelI14__hip_bfloat16hLN4vllm18Fp8KVCacheDataTypeE1ES0_Li32ELi64ELi256ELb0ELi16EL8MFMAType1EEvPKT_PKT0_S9_ifPKiSB_SB_iPKfiiiPfSE_PS4_PT2_iSD_SD_
    .private_segment_fixed_size: 64
    .sgpr_count:     40
    .sgpr_spill_count: 0
    .symbol:         _Z39paged_attention_ll4mi_QKV_mfma16_kernelI14__hip_bfloat16hLN4vllm18Fp8KVCacheDataTypeE1ES0_Li32ELi64ELi256ELb0ELi16EL8MFMAType1EEvPKT_PKT0_S9_ifPKiSB_SB_iPKfiiiPfSE_PS4_PT2_iSD_SD_.kd
    .uniform_work_group_size: 1
    .uses_dynamic_stack: false
    .vgpr_count:     45
    .vgpr_spill_count: 0
    .wavefront_size: 64
  - .agpr_count:     1
    .args:
      - .actual_access:  read_only
        .address_space:  global
        .offset:         0
        .size:           8
        .value_kind:     global_buffer
      - .actual_access:  read_only
        .address_space:  global
        .offset:         8
        .size:           8
        .value_kind:     global_buffer
      - .actual_access:  read_only
        .address_space:  global
        .offset:         16
        .size:           8
        .value_kind:     global_buffer
      - .offset:         24
        .size:           4
        .value_kind:     by_value
      - .offset:         28
        .size:           4
        .value_kind:     by_value
      - .actual_access:  read_only
        .address_space:  global
        .offset:         32
        .size:           8
        .value_kind:     global_buffer
      - .actual_access:  read_only
        .address_space:  global
        .offset:         40
        .size:           8
        .value_kind:     global_buffer
      - .actual_access:  read_only
        .address_space:  global
        .offset:         48
        .size:           8
        .value_kind:     global_buffer
      - .offset:         56
        .size:           4
        .value_kind:     by_value
      - .actual_access:  read_only
        .address_space:  global
        .offset:         64
        .size:           8
        .value_kind:     global_buffer
      - .offset:         72
        .size:           4
        .value_kind:     by_value
      - .offset:         76
        .size:           4
        .value_kind:     by_value
      - .offset:         80
        .size:           4
        .value_kind:     by_value
      - .actual_access:  read_only
        .address_space:  global
        .offset:         88
        .size:           8
        .value_kind:     global_buffer
      - .actual_access:  read_only
        .address_space:  global
        .offset:         96
        .size:           8
        .value_kind:     global_buffer
      - .actual_access:  read_only
        .address_space:  global
        .offset:         104
        .size:           8
        .value_kind:     global_buffer
      - .actual_access:  read_only
        .address_space:  global
        .offset:         112
        .size:           8
        .value_kind:     global_buffer
      - .offset:         120
        .size:           4
        .value_kind:     by_value
      - .address_space:  global
        .offset:         128
        .size:           8
        .value_kind:     global_buffer
      - .address_space:  global
        .offset:         136
        .size:           8
        .value_kind:     global_buffer
      - .offset:         144
        .size:           4
        .value_kind:     hidden_block_count_x
      - .offset:         148
        .size:           4
        .value_kind:     hidden_block_count_y
      - .offset:         152
        .size:           4
        .value_kind:     hidden_block_count_z
      - .offset:         156
        .size:           2
        .value_kind:     hidden_group_size_x
      - .offset:         158
        .size:           2
        .value_kind:     hidden_group_size_y
      - .offset:         160
        .size:           2
        .value_kind:     hidden_group_size_z
      - .offset:         162
        .size:           2
        .value_kind:     hidden_remainder_x
      - .offset:         164
        .size:           2
        .value_kind:     hidden_remainder_y
      - .offset:         166
        .size:           2
        .value_kind:     hidden_remainder_z
      - .offset:         184
        .size:           8
        .value_kind:     hidden_global_offset_x
      - .offset:         192
        .size:           8
        .value_kind:     hidden_global_offset_y
      - .offset:         200
        .size:           8
        .value_kind:     hidden_global_offset_z
      - .offset:         208
        .size:           2
        .value_kind:     hidden_grid_dims
      - .offset:         224
        .size:           8
        .value_kind:     hidden_hostcall_buffer
    .group_segment_fixed_size: 8192
    .kernarg_segment_align: 8
    .kernarg_segment_size: 400
    .language:       OpenCL C
    .language_version:
      - 2
      - 0
    .max_flat_workgroup_size: 256
    .name:           _Z39paged_attention_ll4mi_QKV_mfma16_kernelI14__hip_bfloat16hLN4vllm18Fp8KVCacheDataTypeE1ES0_Li32ELi64ELi256ELb0ELi1EL8MFMAType1EEvPKT_PKT0_S9_ifPKiSB_SB_iPKfiiiPfSE_PS4_PT2_iSD_SD_
    .private_segment_fixed_size: 64
    .sgpr_count:     40
    .sgpr_spill_count: 0
    .symbol:         _Z39paged_attention_ll4mi_QKV_mfma16_kernelI14__hip_bfloat16hLN4vllm18Fp8KVCacheDataTypeE1ES0_Li32ELi64ELi256ELb0ELi1EL8MFMAType1EEvPKT_PKT0_S9_ifPKiSB_SB_iPKfiiiPfSE_PS4_PT2_iSD_SD_.kd
    .uniform_work_group_size: 1
    .uses_dynamic_stack: false
    .vgpr_count:     45
    .vgpr_spill_count: 0
    .wavefront_size: 64
  - .agpr_count:     1
    .args:
      - .actual_access:  read_only
        .address_space:  global
        .offset:         0
        .size:           8
        .value_kind:     global_buffer
      - .actual_access:  read_only
        .address_space:  global
        .offset:         8
        .size:           8
        .value_kind:     global_buffer
      - .actual_access:  read_only
        .address_space:  global
        .offset:         16
        .size:           8
        .value_kind:     global_buffer
      - .offset:         24
        .size:           4
        .value_kind:     by_value
      - .offset:         28
        .size:           4
        .value_kind:     by_value
      - .actual_access:  read_only
        .address_space:  global
        .offset:         32
        .size:           8
        .value_kind:     global_buffer
      - .actual_access:  read_only
        .address_space:  global
        .offset:         40
        .size:           8
        .value_kind:     global_buffer
      - .actual_access:  read_only
        .address_space:  global
        .offset:         48
        .size:           8
        .value_kind:     global_buffer
      - .offset:         56
        .size:           4
        .value_kind:     by_value
      - .actual_access:  read_only
        .address_space:  global
        .offset:         64
        .size:           8
        .value_kind:     global_buffer
      - .offset:         72
        .size:           4
        .value_kind:     by_value
      - .offset:         76
        .size:           4
        .value_kind:     by_value
      - .offset:         80
        .size:           4
        .value_kind:     by_value
      - .actual_access:  read_only
        .address_space:  global
        .offset:         88
        .size:           8
        .value_kind:     global_buffer
      - .actual_access:  read_only
        .address_space:  global
        .offset:         96
        .size:           8
        .value_kind:     global_buffer
      - .actual_access:  read_only
        .address_space:  global
        .offset:         104
        .size:           8
        .value_kind:     global_buffer
      - .actual_access:  read_only
        .address_space:  global
        .offset:         112
        .size:           8
        .value_kind:     global_buffer
      - .offset:         120
        .size:           4
        .value_kind:     by_value
      - .address_space:  global
        .offset:         128
        .size:           8
        .value_kind:     global_buffer
      - .address_space:  global
        .offset:         136
        .size:           8
        .value_kind:     global_buffer
      - .offset:         144
        .size:           4
        .value_kind:     hidden_block_count_x
      - .offset:         148
        .size:           4
        .value_kind:     hidden_block_count_y
      - .offset:         152
        .size:           4
        .value_kind:     hidden_block_count_z
      - .offset:         156
        .size:           2
        .value_kind:     hidden_group_size_x
      - .offset:         158
        .size:           2
        .value_kind:     hidden_group_size_y
      - .offset:         160
        .size:           2
        .value_kind:     hidden_group_size_z
      - .offset:         162
        .size:           2
        .value_kind:     hidden_remainder_x
      - .offset:         164
        .size:           2
        .value_kind:     hidden_remainder_y
      - .offset:         166
        .size:           2
        .value_kind:     hidden_remainder_z
      - .offset:         184
        .size:           8
        .value_kind:     hidden_global_offset_x
      - .offset:         192
        .size:           8
        .value_kind:     hidden_global_offset_y
      - .offset:         200
        .size:           8
        .value_kind:     hidden_global_offset_z
      - .offset:         208
        .size:           2
        .value_kind:     hidden_grid_dims
      - .offset:         224
        .size:           8
        .value_kind:     hidden_hostcall_buffer
    .group_segment_fixed_size: 8192
    .kernarg_segment_align: 8
    .kernarg_segment_size: 400
    .language:       OpenCL C
    .language_version:
      - 2
      - 0
    .max_flat_workgroup_size: 256
    .name:           _Z39paged_attention_ll4mi_QKV_mfma16_kernelI14__hip_bfloat16hLN4vllm18Fp8KVCacheDataTypeE1ES0_Li32ELi64ELi256ELb0ELi2EL8MFMAType1EEvPKT_PKT0_S9_ifPKiSB_SB_iPKfiiiPfSE_PS4_PT2_iSD_SD_
    .private_segment_fixed_size: 64
    .sgpr_count:     40
    .sgpr_spill_count: 0
    .symbol:         _Z39paged_attention_ll4mi_QKV_mfma16_kernelI14__hip_bfloat16hLN4vllm18Fp8KVCacheDataTypeE1ES0_Li32ELi64ELi256ELb0ELi2EL8MFMAType1EEvPKT_PKT0_S9_ifPKiSB_SB_iPKfiiiPfSE_PS4_PT2_iSD_SD_.kd
    .uniform_work_group_size: 1
    .uses_dynamic_stack: false
    .vgpr_count:     45
    .vgpr_spill_count: 0
    .wavefront_size: 64
  - .agpr_count:     1
    .args:
      - .actual_access:  read_only
        .address_space:  global
        .offset:         0
        .size:           8
        .value_kind:     global_buffer
      - .actual_access:  read_only
        .address_space:  global
        .offset:         8
        .size:           8
        .value_kind:     global_buffer
      - .actual_access:  read_only
        .address_space:  global
        .offset:         16
        .size:           8
        .value_kind:     global_buffer
      - .offset:         24
        .size:           4
        .value_kind:     by_value
      - .offset:         28
        .size:           4
        .value_kind:     by_value
      - .actual_access:  read_only
        .address_space:  global
        .offset:         32
        .size:           8
        .value_kind:     global_buffer
      - .actual_access:  read_only
        .address_space:  global
        .offset:         40
        .size:           8
        .value_kind:     global_buffer
      - .actual_access:  read_only
        .address_space:  global
        .offset:         48
        .size:           8
        .value_kind:     global_buffer
      - .offset:         56
        .size:           4
        .value_kind:     by_value
      - .actual_access:  read_only
        .address_space:  global
        .offset:         64
        .size:           8
        .value_kind:     global_buffer
      - .offset:         72
        .size:           4
        .value_kind:     by_value
      - .offset:         76
        .size:           4
        .value_kind:     by_value
      - .offset:         80
        .size:           4
        .value_kind:     by_value
      - .actual_access:  read_only
        .address_space:  global
        .offset:         88
        .size:           8
        .value_kind:     global_buffer
      - .actual_access:  read_only
        .address_space:  global
        .offset:         96
        .size:           8
        .value_kind:     global_buffer
      - .actual_access:  read_only
        .address_space:  global
        .offset:         104
        .size:           8
        .value_kind:     global_buffer
      - .actual_access:  read_only
        .address_space:  global
        .offset:         112
        .size:           8
        .value_kind:     global_buffer
      - .offset:         120
        .size:           4
        .value_kind:     by_value
      - .address_space:  global
        .offset:         128
        .size:           8
        .value_kind:     global_buffer
      - .address_space:  global
        .offset:         136
        .size:           8
        .value_kind:     global_buffer
      - .offset:         144
        .size:           4
        .value_kind:     hidden_block_count_x
      - .offset:         148
        .size:           4
        .value_kind:     hidden_block_count_y
      - .offset:         152
        .size:           4
        .value_kind:     hidden_block_count_z
      - .offset:         156
        .size:           2
        .value_kind:     hidden_group_size_x
      - .offset:         158
        .size:           2
        .value_kind:     hidden_group_size_y
      - .offset:         160
        .size:           2
        .value_kind:     hidden_group_size_z
      - .offset:         162
        .size:           2
        .value_kind:     hidden_remainder_x
      - .offset:         164
        .size:           2
        .value_kind:     hidden_remainder_y
      - .offset:         166
        .size:           2
        .value_kind:     hidden_remainder_z
      - .offset:         184
        .size:           8
        .value_kind:     hidden_global_offset_x
      - .offset:         192
        .size:           8
        .value_kind:     hidden_global_offset_y
      - .offset:         200
        .size:           8
        .value_kind:     hidden_global_offset_z
      - .offset:         208
        .size:           2
        .value_kind:     hidden_grid_dims
      - .offset:         224
        .size:           8
        .value_kind:     hidden_hostcall_buffer
    .group_segment_fixed_size: 8192
    .kernarg_segment_align: 8
    .kernarg_segment_size: 400
    .language:       OpenCL C
    .language_version:
      - 2
      - 0
    .max_flat_workgroup_size: 256
    .name:           _Z39paged_attention_ll4mi_QKV_mfma16_kernelI14__hip_bfloat16hLN4vllm18Fp8KVCacheDataTypeE1ES0_Li32ELi64ELi256ELb0ELi3EL8MFMAType1EEvPKT_PKT0_S9_ifPKiSB_SB_iPKfiiiPfSE_PS4_PT2_iSD_SD_
    .private_segment_fixed_size: 64
    .sgpr_count:     40
    .sgpr_spill_count: 0
    .symbol:         _Z39paged_attention_ll4mi_QKV_mfma16_kernelI14__hip_bfloat16hLN4vllm18Fp8KVCacheDataTypeE1ES0_Li32ELi64ELi256ELb0ELi3EL8MFMAType1EEvPKT_PKT0_S9_ifPKiSB_SB_iPKfiiiPfSE_PS4_PT2_iSD_SD_.kd
    .uniform_work_group_size: 1
    .uses_dynamic_stack: false
    .vgpr_count:     45
    .vgpr_spill_count: 0
    .wavefront_size: 64
  - .agpr_count:     1
    .args:
      - .actual_access:  read_only
        .address_space:  global
        .offset:         0
        .size:           8
        .value_kind:     global_buffer
      - .actual_access:  read_only
        .address_space:  global
        .offset:         8
        .size:           8
        .value_kind:     global_buffer
      - .actual_access:  read_only
        .address_space:  global
        .offset:         16
        .size:           8
        .value_kind:     global_buffer
      - .offset:         24
        .size:           4
        .value_kind:     by_value
      - .offset:         28
        .size:           4
        .value_kind:     by_value
      - .actual_access:  read_only
        .address_space:  global
        .offset:         32
        .size:           8
        .value_kind:     global_buffer
      - .actual_access:  read_only
        .address_space:  global
        .offset:         40
        .size:           8
        .value_kind:     global_buffer
      - .actual_access:  read_only
        .address_space:  global
        .offset:         48
        .size:           8
        .value_kind:     global_buffer
      - .offset:         56
        .size:           4
        .value_kind:     by_value
      - .actual_access:  read_only
        .address_space:  global
        .offset:         64
        .size:           8
        .value_kind:     global_buffer
      - .offset:         72
        .size:           4
        .value_kind:     by_value
      - .offset:         76
        .size:           4
        .value_kind:     by_value
      - .offset:         80
        .size:           4
        .value_kind:     by_value
      - .actual_access:  read_only
        .address_space:  global
        .offset:         88
        .size:           8
        .value_kind:     global_buffer
      - .actual_access:  read_only
        .address_space:  global
        .offset:         96
        .size:           8
        .value_kind:     global_buffer
      - .actual_access:  read_only
        .address_space:  global
        .offset:         104
        .size:           8
        .value_kind:     global_buffer
      - .actual_access:  read_only
        .address_space:  global
        .offset:         112
        .size:           8
        .value_kind:     global_buffer
      - .offset:         120
        .size:           4
        .value_kind:     by_value
      - .address_space:  global
        .offset:         128
        .size:           8
        .value_kind:     global_buffer
      - .address_space:  global
        .offset:         136
        .size:           8
        .value_kind:     global_buffer
      - .offset:         144
        .size:           4
        .value_kind:     hidden_block_count_x
      - .offset:         148
        .size:           4
        .value_kind:     hidden_block_count_y
      - .offset:         152
        .size:           4
        .value_kind:     hidden_block_count_z
      - .offset:         156
        .size:           2
        .value_kind:     hidden_group_size_x
      - .offset:         158
        .size:           2
        .value_kind:     hidden_group_size_y
      - .offset:         160
        .size:           2
        .value_kind:     hidden_group_size_z
      - .offset:         162
        .size:           2
        .value_kind:     hidden_remainder_x
      - .offset:         164
        .size:           2
        .value_kind:     hidden_remainder_y
      - .offset:         166
        .size:           2
        .value_kind:     hidden_remainder_z
      - .offset:         184
        .size:           8
        .value_kind:     hidden_global_offset_x
      - .offset:         192
        .size:           8
        .value_kind:     hidden_global_offset_y
      - .offset:         200
        .size:           8
        .value_kind:     hidden_global_offset_z
      - .offset:         208
        .size:           2
        .value_kind:     hidden_grid_dims
      - .offset:         224
        .size:           8
        .value_kind:     hidden_hostcall_buffer
    .group_segment_fixed_size: 8192
    .kernarg_segment_align: 8
    .kernarg_segment_size: 400
    .language:       OpenCL C
    .language_version:
      - 2
      - 0
    .max_flat_workgroup_size: 256
    .name:           _Z39paged_attention_ll4mi_QKV_mfma16_kernelI14__hip_bfloat16hLN4vllm18Fp8KVCacheDataTypeE1ES0_Li32ELi64ELi256ELb0ELi4EL8MFMAType1EEvPKT_PKT0_S9_ifPKiSB_SB_iPKfiiiPfSE_PS4_PT2_iSD_SD_
    .private_segment_fixed_size: 64
    .sgpr_count:     40
    .sgpr_spill_count: 0
    .symbol:         _Z39paged_attention_ll4mi_QKV_mfma16_kernelI14__hip_bfloat16hLN4vllm18Fp8KVCacheDataTypeE1ES0_Li32ELi64ELi256ELb0ELi4EL8MFMAType1EEvPKT_PKT0_S9_ifPKiSB_SB_iPKfiiiPfSE_PS4_PT2_iSD_SD_.kd
    .uniform_work_group_size: 1
    .uses_dynamic_stack: false
    .vgpr_count:     45
    .vgpr_spill_count: 0
    .wavefront_size: 64
  - .agpr_count:     4
    .args:
      - .actual_access:  read_only
        .address_space:  global
        .offset:         0
        .size:           8
        .value_kind:     global_buffer
      - .actual_access:  read_only
        .address_space:  global
        .offset:         8
        .size:           8
        .value_kind:     global_buffer
      - .actual_access:  read_only
        .address_space:  global
        .offset:         16
        .size:           8
        .value_kind:     global_buffer
      - .offset:         24
        .size:           4
        .value_kind:     by_value
      - .offset:         28
        .size:           4
        .value_kind:     by_value
      - .actual_access:  read_only
        .address_space:  global
        .offset:         32
        .size:           8
        .value_kind:     global_buffer
      - .actual_access:  read_only
        .address_space:  global
        .offset:         40
        .size:           8
        .value_kind:     global_buffer
      - .actual_access:  read_only
        .address_space:  global
        .offset:         48
        .size:           8
        .value_kind:     global_buffer
      - .offset:         56
        .size:           4
        .value_kind:     by_value
      - .actual_access:  read_only
        .address_space:  global
        .offset:         64
        .size:           8
        .value_kind:     global_buffer
      - .offset:         72
        .size:           4
        .value_kind:     by_value
      - .offset:         76
        .size:           4
        .value_kind:     by_value
      - .offset:         80
        .size:           4
        .value_kind:     by_value
      - .actual_access:  write_only
        .address_space:  global
        .offset:         88
        .size:           8
        .value_kind:     global_buffer
      - .actual_access:  write_only
        .address_space:  global
        .offset:         96
        .size:           8
        .value_kind:     global_buffer
      - .actual_access:  write_only
        .address_space:  global
        .offset:         104
        .size:           8
        .value_kind:     global_buffer
      - .actual_access:  read_only
        .address_space:  global
        .offset:         112
        .size:           8
        .value_kind:     global_buffer
      - .offset:         120
        .size:           4
        .value_kind:     by_value
      - .address_space:  global
        .offset:         128
        .size:           8
        .value_kind:     global_buffer
      - .address_space:  global
        .offset:         136
        .size:           8
        .value_kind:     global_buffer
      - .offset:         144
        .size:           4
        .value_kind:     hidden_block_count_x
      - .offset:         148
        .size:           4
        .value_kind:     hidden_block_count_y
      - .offset:         152
        .size:           4
        .value_kind:     hidden_block_count_z
      - .offset:         156
        .size:           2
        .value_kind:     hidden_group_size_x
      - .offset:         158
        .size:           2
        .value_kind:     hidden_group_size_y
      - .offset:         160
        .size:           2
        .value_kind:     hidden_group_size_z
      - .offset:         162
        .size:           2
        .value_kind:     hidden_remainder_x
      - .offset:         164
        .size:           2
        .value_kind:     hidden_remainder_y
      - .offset:         166
        .size:           2
        .value_kind:     hidden_remainder_z
      - .offset:         184
        .size:           8
        .value_kind:     hidden_global_offset_x
      - .offset:         192
        .size:           8
        .value_kind:     hidden_global_offset_y
      - .offset:         200
        .size:           8
        .value_kind:     hidden_global_offset_z
      - .offset:         208
        .size:           2
        .value_kind:     hidden_grid_dims
    .group_segment_fixed_size: 5280
    .kernarg_segment_align: 8
    .kernarg_segment_size: 400
    .language:       OpenCL C
    .language_version:
      - 2
      - 0
    .max_flat_workgroup_size: 256
    .name:           _Z38paged_attention_ll4mi_QKV_mfma4_kernelI14__hip_bfloat16hLN4vllm18Fp8KVCacheDataTypeE1ES0_Li16ELi128ELi256ELb1ELi1EEvPKT_PKT0_S8_ifPKiSA_SA_iPKfiiiPfSD_PS3_PT2_iSC_SC_
    .private_segment_fixed_size: 144
    .sgpr_count:     50
    .sgpr_spill_count: 0
    .symbol:         _Z38paged_attention_ll4mi_QKV_mfma4_kernelI14__hip_bfloat16hLN4vllm18Fp8KVCacheDataTypeE1ES0_Li16ELi128ELi256ELb1ELi1EEvPKT_PKT0_S8_ifPKiSA_SA_iPKfiiiPfSD_PS3_PT2_iSC_SC_.kd
    .uniform_work_group_size: 1
    .uses_dynamic_stack: false
    .vgpr_count:     84
    .vgpr_spill_count: 0
    .wavefront_size: 64
  - .agpr_count:     4
    .args:
      - .actual_access:  read_only
        .address_space:  global
        .offset:         0
        .size:           8
        .value_kind:     global_buffer
      - .actual_access:  read_only
        .address_space:  global
        .offset:         8
        .size:           8
        .value_kind:     global_buffer
      - .actual_access:  read_only
        .address_space:  global
        .offset:         16
        .size:           8
        .value_kind:     global_buffer
      - .offset:         24
        .size:           4
        .value_kind:     by_value
      - .offset:         28
        .size:           4
        .value_kind:     by_value
      - .actual_access:  read_only
        .address_space:  global
        .offset:         32
        .size:           8
        .value_kind:     global_buffer
      - .actual_access:  read_only
        .address_space:  global
        .offset:         40
        .size:           8
        .value_kind:     global_buffer
      - .actual_access:  read_only
        .address_space:  global
        .offset:         48
        .size:           8
        .value_kind:     global_buffer
      - .offset:         56
        .size:           4
        .value_kind:     by_value
      - .actual_access:  read_only
        .address_space:  global
        .offset:         64
        .size:           8
        .value_kind:     global_buffer
      - .offset:         72
        .size:           4
        .value_kind:     by_value
      - .offset:         76
        .size:           4
        .value_kind:     by_value
      - .offset:         80
        .size:           4
        .value_kind:     by_value
      - .actual_access:  write_only
        .address_space:  global
        .offset:         88
        .size:           8
        .value_kind:     global_buffer
      - .actual_access:  write_only
        .address_space:  global
        .offset:         96
        .size:           8
        .value_kind:     global_buffer
      - .actual_access:  write_only
        .address_space:  global
        .offset:         104
        .size:           8
        .value_kind:     global_buffer
      - .actual_access:  read_only
        .address_space:  global
        .offset:         112
        .size:           8
        .value_kind:     global_buffer
      - .offset:         120
        .size:           4
        .value_kind:     by_value
      - .address_space:  global
        .offset:         128
        .size:           8
        .value_kind:     global_buffer
      - .address_space:  global
        .offset:         136
        .size:           8
        .value_kind:     global_buffer
      - .offset:         144
        .size:           4
        .value_kind:     hidden_block_count_x
      - .offset:         148
        .size:           4
        .value_kind:     hidden_block_count_y
      - .offset:         152
        .size:           4
        .value_kind:     hidden_block_count_z
      - .offset:         156
        .size:           2
        .value_kind:     hidden_group_size_x
      - .offset:         158
        .size:           2
        .value_kind:     hidden_group_size_y
      - .offset:         160
        .size:           2
        .value_kind:     hidden_group_size_z
      - .offset:         162
        .size:           2
        .value_kind:     hidden_remainder_x
      - .offset:         164
        .size:           2
        .value_kind:     hidden_remainder_y
      - .offset:         166
        .size:           2
        .value_kind:     hidden_remainder_z
      - .offset:         184
        .size:           8
        .value_kind:     hidden_global_offset_x
      - .offset:         192
        .size:           8
        .value_kind:     hidden_global_offset_y
      - .offset:         200
        .size:           8
        .value_kind:     hidden_global_offset_z
      - .offset:         208
        .size:           2
        .value_kind:     hidden_grid_dims
    .group_segment_fixed_size: 5280
    .kernarg_segment_align: 8
    .kernarg_segment_size: 400
    .language:       OpenCL C
    .language_version:
      - 2
      - 0
    .max_flat_workgroup_size: 256
    .name:           _Z38paged_attention_ll4mi_QKV_mfma4_kernelI14__hip_bfloat16hLN4vllm18Fp8KVCacheDataTypeE1ES0_Li16ELi128ELi256ELb1ELi2EEvPKT_PKT0_S8_ifPKiSA_SA_iPKfiiiPfSD_PS3_PT2_iSC_SC_
    .private_segment_fixed_size: 144
    .sgpr_count:     52
    .sgpr_spill_count: 0
    .symbol:         _Z38paged_attention_ll4mi_QKV_mfma4_kernelI14__hip_bfloat16hLN4vllm18Fp8KVCacheDataTypeE1ES0_Li16ELi128ELi256ELb1ELi2EEvPKT_PKT0_S8_ifPKiSA_SA_iPKfiiiPfSD_PS3_PT2_iSC_SC_.kd
    .uniform_work_group_size: 1
    .uses_dynamic_stack: false
    .vgpr_count:     84
    .vgpr_spill_count: 0
    .wavefront_size: 64
  - .agpr_count:     4
    .args:
      - .actual_access:  read_only
        .address_space:  global
        .offset:         0
        .size:           8
        .value_kind:     global_buffer
      - .actual_access:  read_only
        .address_space:  global
        .offset:         8
        .size:           8
        .value_kind:     global_buffer
      - .actual_access:  read_only
        .address_space:  global
        .offset:         16
        .size:           8
        .value_kind:     global_buffer
      - .offset:         24
        .size:           4
        .value_kind:     by_value
      - .offset:         28
        .size:           4
        .value_kind:     by_value
      - .actual_access:  read_only
        .address_space:  global
        .offset:         32
        .size:           8
        .value_kind:     global_buffer
      - .actual_access:  read_only
        .address_space:  global
        .offset:         40
        .size:           8
        .value_kind:     global_buffer
      - .actual_access:  read_only
        .address_space:  global
        .offset:         48
        .size:           8
        .value_kind:     global_buffer
      - .offset:         56
        .size:           4
        .value_kind:     by_value
      - .actual_access:  read_only
        .address_space:  global
        .offset:         64
        .size:           8
        .value_kind:     global_buffer
      - .offset:         72
        .size:           4
        .value_kind:     by_value
      - .offset:         76
        .size:           4
        .value_kind:     by_value
      - .offset:         80
        .size:           4
        .value_kind:     by_value
      - .actual_access:  write_only
        .address_space:  global
        .offset:         88
        .size:           8
        .value_kind:     global_buffer
      - .actual_access:  write_only
        .address_space:  global
        .offset:         96
        .size:           8
        .value_kind:     global_buffer
      - .actual_access:  write_only
        .address_space:  global
        .offset:         104
        .size:           8
        .value_kind:     global_buffer
      - .actual_access:  read_only
        .address_space:  global
        .offset:         112
        .size:           8
        .value_kind:     global_buffer
      - .offset:         120
        .size:           4
        .value_kind:     by_value
      - .address_space:  global
        .offset:         128
        .size:           8
        .value_kind:     global_buffer
      - .address_space:  global
        .offset:         136
        .size:           8
        .value_kind:     global_buffer
      - .offset:         144
        .size:           4
        .value_kind:     hidden_block_count_x
      - .offset:         148
        .size:           4
        .value_kind:     hidden_block_count_y
      - .offset:         152
        .size:           4
        .value_kind:     hidden_block_count_z
      - .offset:         156
        .size:           2
        .value_kind:     hidden_group_size_x
      - .offset:         158
        .size:           2
        .value_kind:     hidden_group_size_y
      - .offset:         160
        .size:           2
        .value_kind:     hidden_group_size_z
      - .offset:         162
        .size:           2
        .value_kind:     hidden_remainder_x
      - .offset:         164
        .size:           2
        .value_kind:     hidden_remainder_y
      - .offset:         166
        .size:           2
        .value_kind:     hidden_remainder_z
      - .offset:         184
        .size:           8
        .value_kind:     hidden_global_offset_x
      - .offset:         192
        .size:           8
        .value_kind:     hidden_global_offset_y
      - .offset:         200
        .size:           8
        .value_kind:     hidden_global_offset_z
      - .offset:         208
        .size:           2
        .value_kind:     hidden_grid_dims
    .group_segment_fixed_size: 5280
    .kernarg_segment_align: 8
    .kernarg_segment_size: 400
    .language:       OpenCL C
    .language_version:
      - 2
      - 0
    .max_flat_workgroup_size: 256
    .name:           _Z38paged_attention_ll4mi_QKV_mfma4_kernelI14__hip_bfloat16hLN4vllm18Fp8KVCacheDataTypeE1ES0_Li16ELi128ELi256ELb1ELi3EEvPKT_PKT0_S8_ifPKiSA_SA_iPKfiiiPfSD_PS3_PT2_iSC_SC_
    .private_segment_fixed_size: 144
    .sgpr_count:     54
    .sgpr_spill_count: 0
    .symbol:         _Z38paged_attention_ll4mi_QKV_mfma4_kernelI14__hip_bfloat16hLN4vllm18Fp8KVCacheDataTypeE1ES0_Li16ELi128ELi256ELb1ELi3EEvPKT_PKT0_S8_ifPKiSA_SA_iPKfiiiPfSD_PS3_PT2_iSC_SC_.kd
    .uniform_work_group_size: 1
    .uses_dynamic_stack: false
    .vgpr_count:     84
    .vgpr_spill_count: 0
    .wavefront_size: 64
  - .agpr_count:     4
    .args:
      - .actual_access:  read_only
        .address_space:  global
        .offset:         0
        .size:           8
        .value_kind:     global_buffer
      - .actual_access:  read_only
        .address_space:  global
        .offset:         8
        .size:           8
        .value_kind:     global_buffer
      - .actual_access:  read_only
        .address_space:  global
        .offset:         16
        .size:           8
        .value_kind:     global_buffer
      - .offset:         24
        .size:           4
        .value_kind:     by_value
      - .offset:         28
        .size:           4
        .value_kind:     by_value
      - .actual_access:  read_only
        .address_space:  global
        .offset:         32
        .size:           8
        .value_kind:     global_buffer
      - .actual_access:  read_only
        .address_space:  global
        .offset:         40
        .size:           8
        .value_kind:     global_buffer
      - .actual_access:  read_only
        .address_space:  global
        .offset:         48
        .size:           8
        .value_kind:     global_buffer
      - .offset:         56
        .size:           4
        .value_kind:     by_value
      - .actual_access:  read_only
        .address_space:  global
        .offset:         64
        .size:           8
        .value_kind:     global_buffer
      - .offset:         72
        .size:           4
        .value_kind:     by_value
      - .offset:         76
        .size:           4
        .value_kind:     by_value
      - .offset:         80
        .size:           4
        .value_kind:     by_value
      - .actual_access:  write_only
        .address_space:  global
        .offset:         88
        .size:           8
        .value_kind:     global_buffer
      - .actual_access:  write_only
        .address_space:  global
        .offset:         96
        .size:           8
        .value_kind:     global_buffer
      - .actual_access:  write_only
        .address_space:  global
        .offset:         104
        .size:           8
        .value_kind:     global_buffer
      - .actual_access:  read_only
        .address_space:  global
        .offset:         112
        .size:           8
        .value_kind:     global_buffer
      - .offset:         120
        .size:           4
        .value_kind:     by_value
      - .address_space:  global
        .offset:         128
        .size:           8
        .value_kind:     global_buffer
      - .address_space:  global
        .offset:         136
        .size:           8
        .value_kind:     global_buffer
      - .offset:         144
        .size:           4
        .value_kind:     hidden_block_count_x
      - .offset:         148
        .size:           4
        .value_kind:     hidden_block_count_y
      - .offset:         152
        .size:           4
        .value_kind:     hidden_block_count_z
      - .offset:         156
        .size:           2
        .value_kind:     hidden_group_size_x
      - .offset:         158
        .size:           2
        .value_kind:     hidden_group_size_y
      - .offset:         160
        .size:           2
        .value_kind:     hidden_group_size_z
      - .offset:         162
        .size:           2
        .value_kind:     hidden_remainder_x
      - .offset:         164
        .size:           2
        .value_kind:     hidden_remainder_y
      - .offset:         166
        .size:           2
        .value_kind:     hidden_remainder_z
      - .offset:         184
        .size:           8
        .value_kind:     hidden_global_offset_x
      - .offset:         192
        .size:           8
        .value_kind:     hidden_global_offset_y
      - .offset:         200
        .size:           8
        .value_kind:     hidden_global_offset_z
      - .offset:         208
        .size:           2
        .value_kind:     hidden_grid_dims
    .group_segment_fixed_size: 5280
    .kernarg_segment_align: 8
    .kernarg_segment_size: 400
    .language:       OpenCL C
    .language_version:
      - 2
      - 0
    .max_flat_workgroup_size: 256
    .name:           _Z38paged_attention_ll4mi_QKV_mfma4_kernelI14__hip_bfloat16hLN4vllm18Fp8KVCacheDataTypeE1ES0_Li16ELi128ELi256ELb1ELi4EEvPKT_PKT0_S8_ifPKiSA_SA_iPKfiiiPfSD_PS3_PT2_iSC_SC_
    .private_segment_fixed_size: 144
    .sgpr_count:     53
    .sgpr_spill_count: 0
    .symbol:         _Z38paged_attention_ll4mi_QKV_mfma4_kernelI14__hip_bfloat16hLN4vllm18Fp8KVCacheDataTypeE1ES0_Li16ELi128ELi256ELb1ELi4EEvPKT_PKT0_S8_ifPKiSA_SA_iPKfiiiPfSD_PS3_PT2_iSC_SC_.kd
    .uniform_work_group_size: 1
    .uses_dynamic_stack: false
    .vgpr_count:     76
    .vgpr_spill_count: 0
    .wavefront_size: 64
  - .agpr_count:     1
    .args:
      - .actual_access:  read_only
        .address_space:  global
        .offset:         0
        .size:           8
        .value_kind:     global_buffer
      - .actual_access:  read_only
        .address_space:  global
        .offset:         8
        .size:           8
        .value_kind:     global_buffer
      - .actual_access:  read_only
        .address_space:  global
        .offset:         16
        .size:           8
        .value_kind:     global_buffer
      - .offset:         24
        .size:           4
        .value_kind:     by_value
      - .offset:         28
        .size:           4
        .value_kind:     by_value
      - .actual_access:  read_only
        .address_space:  global
        .offset:         32
        .size:           8
        .value_kind:     global_buffer
      - .actual_access:  read_only
        .address_space:  global
        .offset:         40
        .size:           8
        .value_kind:     global_buffer
      - .actual_access:  read_only
        .address_space:  global
        .offset:         48
        .size:           8
        .value_kind:     global_buffer
      - .offset:         56
        .size:           4
        .value_kind:     by_value
      - .actual_access:  read_only
        .address_space:  global
        .offset:         64
        .size:           8
        .value_kind:     global_buffer
      - .offset:         72
        .size:           4
        .value_kind:     by_value
      - .offset:         76
        .size:           4
        .value_kind:     by_value
      - .offset:         80
        .size:           4
        .value_kind:     by_value
      - .actual_access:  read_only
        .address_space:  global
        .offset:         88
        .size:           8
        .value_kind:     global_buffer
      - .actual_access:  read_only
        .address_space:  global
        .offset:         96
        .size:           8
        .value_kind:     global_buffer
      - .actual_access:  read_only
        .address_space:  global
        .offset:         104
        .size:           8
        .value_kind:     global_buffer
      - .actual_access:  read_only
        .address_space:  global
        .offset:         112
        .size:           8
        .value_kind:     global_buffer
      - .offset:         120
        .size:           4
        .value_kind:     by_value
      - .address_space:  global
        .offset:         128
        .size:           8
        .value_kind:     global_buffer
      - .address_space:  global
        .offset:         136
        .size:           8
        .value_kind:     global_buffer
      - .offset:         144
        .size:           4
        .value_kind:     hidden_block_count_x
      - .offset:         148
        .size:           4
        .value_kind:     hidden_block_count_y
      - .offset:         152
        .size:           4
        .value_kind:     hidden_block_count_z
      - .offset:         156
        .size:           2
        .value_kind:     hidden_group_size_x
      - .offset:         158
        .size:           2
        .value_kind:     hidden_group_size_y
      - .offset:         160
        .size:           2
        .value_kind:     hidden_group_size_z
      - .offset:         162
        .size:           2
        .value_kind:     hidden_remainder_x
      - .offset:         164
        .size:           2
        .value_kind:     hidden_remainder_y
      - .offset:         166
        .size:           2
        .value_kind:     hidden_remainder_z
      - .offset:         184
        .size:           8
        .value_kind:     hidden_global_offset_x
      - .offset:         192
        .size:           8
        .value_kind:     hidden_global_offset_y
      - .offset:         200
        .size:           8
        .value_kind:     hidden_global_offset_z
      - .offset:         208
        .size:           2
        .value_kind:     hidden_grid_dims
      - .offset:         224
        .size:           8
        .value_kind:     hidden_hostcall_buffer
    .group_segment_fixed_size: 8192
    .kernarg_segment_align: 8
    .kernarg_segment_size: 400
    .language:       OpenCL C
    .language_version:
      - 2
      - 0
    .max_flat_workgroup_size: 256
    .name:           _Z39paged_attention_ll4mi_QKV_mfma16_kernelI14__hip_bfloat16hLN4vllm18Fp8KVCacheDataTypeE1ES0_Li16ELi128ELi256ELb1ELi5EL8MFMAType1EEvPKT_PKT0_S9_ifPKiSB_SB_iPKfiiiPfSE_PS4_PT2_iSD_SD_
    .private_segment_fixed_size: 64
    .sgpr_count:     40
    .sgpr_spill_count: 0
    .symbol:         _Z39paged_attention_ll4mi_QKV_mfma16_kernelI14__hip_bfloat16hLN4vllm18Fp8KVCacheDataTypeE1ES0_Li16ELi128ELi256ELb1ELi5EL8MFMAType1EEvPKT_PKT0_S9_ifPKiSB_SB_iPKfiiiPfSE_PS4_PT2_iSD_SD_.kd
    .uniform_work_group_size: 1
    .uses_dynamic_stack: false
    .vgpr_count:     45
    .vgpr_spill_count: 0
    .wavefront_size: 64
  - .agpr_count:     1
    .args:
      - .actual_access:  read_only
        .address_space:  global
        .offset:         0
        .size:           8
        .value_kind:     global_buffer
      - .actual_access:  read_only
        .address_space:  global
        .offset:         8
        .size:           8
        .value_kind:     global_buffer
      - .actual_access:  read_only
        .address_space:  global
        .offset:         16
        .size:           8
        .value_kind:     global_buffer
      - .offset:         24
        .size:           4
        .value_kind:     by_value
      - .offset:         28
        .size:           4
        .value_kind:     by_value
      - .actual_access:  read_only
        .address_space:  global
        .offset:         32
        .size:           8
        .value_kind:     global_buffer
      - .actual_access:  read_only
        .address_space:  global
        .offset:         40
        .size:           8
        .value_kind:     global_buffer
      - .actual_access:  read_only
        .address_space:  global
        .offset:         48
        .size:           8
        .value_kind:     global_buffer
      - .offset:         56
        .size:           4
        .value_kind:     by_value
      - .actual_access:  read_only
        .address_space:  global
        .offset:         64
        .size:           8
        .value_kind:     global_buffer
      - .offset:         72
        .size:           4
        .value_kind:     by_value
      - .offset:         76
        .size:           4
        .value_kind:     by_value
      - .offset:         80
        .size:           4
        .value_kind:     by_value
      - .actual_access:  read_only
        .address_space:  global
        .offset:         88
        .size:           8
        .value_kind:     global_buffer
      - .actual_access:  read_only
        .address_space:  global
        .offset:         96
        .size:           8
        .value_kind:     global_buffer
      - .actual_access:  read_only
        .address_space:  global
        .offset:         104
        .size:           8
        .value_kind:     global_buffer
      - .actual_access:  read_only
        .address_space:  global
        .offset:         112
        .size:           8
        .value_kind:     global_buffer
      - .offset:         120
        .size:           4
        .value_kind:     by_value
      - .address_space:  global
        .offset:         128
        .size:           8
        .value_kind:     global_buffer
      - .address_space:  global
        .offset:         136
        .size:           8
        .value_kind:     global_buffer
      - .offset:         144
        .size:           4
        .value_kind:     hidden_block_count_x
      - .offset:         148
        .size:           4
        .value_kind:     hidden_block_count_y
      - .offset:         152
        .size:           4
        .value_kind:     hidden_block_count_z
      - .offset:         156
        .size:           2
        .value_kind:     hidden_group_size_x
      - .offset:         158
        .size:           2
        .value_kind:     hidden_group_size_y
      - .offset:         160
        .size:           2
        .value_kind:     hidden_group_size_z
      - .offset:         162
        .size:           2
        .value_kind:     hidden_remainder_x
      - .offset:         164
        .size:           2
        .value_kind:     hidden_remainder_y
      - .offset:         166
        .size:           2
        .value_kind:     hidden_remainder_z
      - .offset:         184
        .size:           8
        .value_kind:     hidden_global_offset_x
      - .offset:         192
        .size:           8
        .value_kind:     hidden_global_offset_y
      - .offset:         200
        .size:           8
        .value_kind:     hidden_global_offset_z
      - .offset:         208
        .size:           2
        .value_kind:     hidden_grid_dims
      - .offset:         224
        .size:           8
        .value_kind:     hidden_hostcall_buffer
    .group_segment_fixed_size: 8192
    .kernarg_segment_align: 8
    .kernarg_segment_size: 400
    .language:       OpenCL C
    .language_version:
      - 2
      - 0
    .max_flat_workgroup_size: 256
    .name:           _Z39paged_attention_ll4mi_QKV_mfma16_kernelI14__hip_bfloat16hLN4vllm18Fp8KVCacheDataTypeE1ES0_Li16ELi128ELi256ELb1ELi6EL8MFMAType1EEvPKT_PKT0_S9_ifPKiSB_SB_iPKfiiiPfSE_PS4_PT2_iSD_SD_
    .private_segment_fixed_size: 64
    .sgpr_count:     40
    .sgpr_spill_count: 0
    .symbol:         _Z39paged_attention_ll4mi_QKV_mfma16_kernelI14__hip_bfloat16hLN4vllm18Fp8KVCacheDataTypeE1ES0_Li16ELi128ELi256ELb1ELi6EL8MFMAType1EEvPKT_PKT0_S9_ifPKiSB_SB_iPKfiiiPfSE_PS4_PT2_iSD_SD_.kd
    .uniform_work_group_size: 1
    .uses_dynamic_stack: false
    .vgpr_count:     45
    .vgpr_spill_count: 0
    .wavefront_size: 64
  - .agpr_count:     1
    .args:
      - .actual_access:  read_only
        .address_space:  global
        .offset:         0
        .size:           8
        .value_kind:     global_buffer
      - .actual_access:  read_only
        .address_space:  global
        .offset:         8
        .size:           8
        .value_kind:     global_buffer
      - .actual_access:  read_only
        .address_space:  global
        .offset:         16
        .size:           8
        .value_kind:     global_buffer
      - .offset:         24
        .size:           4
        .value_kind:     by_value
      - .offset:         28
        .size:           4
        .value_kind:     by_value
      - .actual_access:  read_only
        .address_space:  global
        .offset:         32
        .size:           8
        .value_kind:     global_buffer
      - .actual_access:  read_only
        .address_space:  global
        .offset:         40
        .size:           8
        .value_kind:     global_buffer
      - .actual_access:  read_only
        .address_space:  global
        .offset:         48
        .size:           8
        .value_kind:     global_buffer
      - .offset:         56
        .size:           4
        .value_kind:     by_value
      - .actual_access:  read_only
        .address_space:  global
        .offset:         64
        .size:           8
        .value_kind:     global_buffer
      - .offset:         72
        .size:           4
        .value_kind:     by_value
      - .offset:         76
        .size:           4
        .value_kind:     by_value
      - .offset:         80
        .size:           4
        .value_kind:     by_value
      - .actual_access:  read_only
        .address_space:  global
        .offset:         88
        .size:           8
        .value_kind:     global_buffer
      - .actual_access:  read_only
        .address_space:  global
        .offset:         96
        .size:           8
        .value_kind:     global_buffer
      - .actual_access:  read_only
        .address_space:  global
        .offset:         104
        .size:           8
        .value_kind:     global_buffer
      - .actual_access:  read_only
        .address_space:  global
        .offset:         112
        .size:           8
        .value_kind:     global_buffer
      - .offset:         120
        .size:           4
        .value_kind:     by_value
      - .address_space:  global
        .offset:         128
        .size:           8
        .value_kind:     global_buffer
      - .address_space:  global
        .offset:         136
        .size:           8
        .value_kind:     global_buffer
      - .offset:         144
        .size:           4
        .value_kind:     hidden_block_count_x
      - .offset:         148
        .size:           4
        .value_kind:     hidden_block_count_y
      - .offset:         152
        .size:           4
        .value_kind:     hidden_block_count_z
      - .offset:         156
        .size:           2
        .value_kind:     hidden_group_size_x
      - .offset:         158
        .size:           2
        .value_kind:     hidden_group_size_y
      - .offset:         160
        .size:           2
        .value_kind:     hidden_group_size_z
      - .offset:         162
        .size:           2
        .value_kind:     hidden_remainder_x
      - .offset:         164
        .size:           2
        .value_kind:     hidden_remainder_y
      - .offset:         166
        .size:           2
        .value_kind:     hidden_remainder_z
      - .offset:         184
        .size:           8
        .value_kind:     hidden_global_offset_x
      - .offset:         192
        .size:           8
        .value_kind:     hidden_global_offset_y
      - .offset:         200
        .size:           8
        .value_kind:     hidden_global_offset_z
      - .offset:         208
        .size:           2
        .value_kind:     hidden_grid_dims
      - .offset:         224
        .size:           8
        .value_kind:     hidden_hostcall_buffer
    .group_segment_fixed_size: 8192
    .kernarg_segment_align: 8
    .kernarg_segment_size: 400
    .language:       OpenCL C
    .language_version:
      - 2
      - 0
    .max_flat_workgroup_size: 256
    .name:           _Z39paged_attention_ll4mi_QKV_mfma16_kernelI14__hip_bfloat16hLN4vllm18Fp8KVCacheDataTypeE1ES0_Li16ELi128ELi256ELb1ELi7EL8MFMAType1EEvPKT_PKT0_S9_ifPKiSB_SB_iPKfiiiPfSE_PS4_PT2_iSD_SD_
    .private_segment_fixed_size: 64
    .sgpr_count:     40
    .sgpr_spill_count: 0
    .symbol:         _Z39paged_attention_ll4mi_QKV_mfma16_kernelI14__hip_bfloat16hLN4vllm18Fp8KVCacheDataTypeE1ES0_Li16ELi128ELi256ELb1ELi7EL8MFMAType1EEvPKT_PKT0_S9_ifPKiSB_SB_iPKfiiiPfSE_PS4_PT2_iSD_SD_.kd
    .uniform_work_group_size: 1
    .uses_dynamic_stack: false
    .vgpr_count:     45
    .vgpr_spill_count: 0
    .wavefront_size: 64
  - .agpr_count:     1
    .args:
      - .actual_access:  read_only
        .address_space:  global
        .offset:         0
        .size:           8
        .value_kind:     global_buffer
      - .actual_access:  read_only
        .address_space:  global
        .offset:         8
        .size:           8
        .value_kind:     global_buffer
      - .actual_access:  read_only
        .address_space:  global
        .offset:         16
        .size:           8
        .value_kind:     global_buffer
      - .offset:         24
        .size:           4
        .value_kind:     by_value
      - .offset:         28
        .size:           4
        .value_kind:     by_value
      - .actual_access:  read_only
        .address_space:  global
        .offset:         32
        .size:           8
        .value_kind:     global_buffer
      - .actual_access:  read_only
        .address_space:  global
        .offset:         40
        .size:           8
        .value_kind:     global_buffer
      - .actual_access:  read_only
        .address_space:  global
        .offset:         48
        .size:           8
        .value_kind:     global_buffer
      - .offset:         56
        .size:           4
        .value_kind:     by_value
      - .actual_access:  read_only
        .address_space:  global
        .offset:         64
        .size:           8
        .value_kind:     global_buffer
      - .offset:         72
        .size:           4
        .value_kind:     by_value
      - .offset:         76
        .size:           4
        .value_kind:     by_value
      - .offset:         80
        .size:           4
        .value_kind:     by_value
      - .actual_access:  read_only
        .address_space:  global
        .offset:         88
        .size:           8
        .value_kind:     global_buffer
      - .actual_access:  read_only
        .address_space:  global
        .offset:         96
        .size:           8
        .value_kind:     global_buffer
      - .actual_access:  read_only
        .address_space:  global
        .offset:         104
        .size:           8
        .value_kind:     global_buffer
      - .actual_access:  read_only
        .address_space:  global
        .offset:         112
        .size:           8
        .value_kind:     global_buffer
      - .offset:         120
        .size:           4
        .value_kind:     by_value
      - .address_space:  global
        .offset:         128
        .size:           8
        .value_kind:     global_buffer
      - .address_space:  global
        .offset:         136
        .size:           8
        .value_kind:     global_buffer
      - .offset:         144
        .size:           4
        .value_kind:     hidden_block_count_x
      - .offset:         148
        .size:           4
        .value_kind:     hidden_block_count_y
      - .offset:         152
        .size:           4
        .value_kind:     hidden_block_count_z
      - .offset:         156
        .size:           2
        .value_kind:     hidden_group_size_x
      - .offset:         158
        .size:           2
        .value_kind:     hidden_group_size_y
      - .offset:         160
        .size:           2
        .value_kind:     hidden_group_size_z
      - .offset:         162
        .size:           2
        .value_kind:     hidden_remainder_x
      - .offset:         164
        .size:           2
        .value_kind:     hidden_remainder_y
      - .offset:         166
        .size:           2
        .value_kind:     hidden_remainder_z
      - .offset:         184
        .size:           8
        .value_kind:     hidden_global_offset_x
      - .offset:         192
        .size:           8
        .value_kind:     hidden_global_offset_y
      - .offset:         200
        .size:           8
        .value_kind:     hidden_global_offset_z
      - .offset:         208
        .size:           2
        .value_kind:     hidden_grid_dims
      - .offset:         224
        .size:           8
        .value_kind:     hidden_hostcall_buffer
    .group_segment_fixed_size: 8192
    .kernarg_segment_align: 8
    .kernarg_segment_size: 400
    .language:       OpenCL C
    .language_version:
      - 2
      - 0
    .max_flat_workgroup_size: 256
    .name:           _Z39paged_attention_ll4mi_QKV_mfma16_kernelI14__hip_bfloat16hLN4vllm18Fp8KVCacheDataTypeE1ES0_Li16ELi128ELi256ELb1ELi8EL8MFMAType1EEvPKT_PKT0_S9_ifPKiSB_SB_iPKfiiiPfSE_PS4_PT2_iSD_SD_
    .private_segment_fixed_size: 64
    .sgpr_count:     40
    .sgpr_spill_count: 0
    .symbol:         _Z39paged_attention_ll4mi_QKV_mfma16_kernelI14__hip_bfloat16hLN4vllm18Fp8KVCacheDataTypeE1ES0_Li16ELi128ELi256ELb1ELi8EL8MFMAType1EEvPKT_PKT0_S9_ifPKiSB_SB_iPKfiiiPfSE_PS4_PT2_iSD_SD_.kd
    .uniform_work_group_size: 1
    .uses_dynamic_stack: false
    .vgpr_count:     45
    .vgpr_spill_count: 0
    .wavefront_size: 64
  - .agpr_count:     1
    .args:
      - .actual_access:  read_only
        .address_space:  global
        .offset:         0
        .size:           8
        .value_kind:     global_buffer
      - .actual_access:  read_only
        .address_space:  global
        .offset:         8
        .size:           8
        .value_kind:     global_buffer
      - .actual_access:  read_only
        .address_space:  global
        .offset:         16
        .size:           8
        .value_kind:     global_buffer
      - .offset:         24
        .size:           4
        .value_kind:     by_value
      - .offset:         28
        .size:           4
        .value_kind:     by_value
      - .actual_access:  read_only
        .address_space:  global
        .offset:         32
        .size:           8
        .value_kind:     global_buffer
      - .actual_access:  read_only
        .address_space:  global
        .offset:         40
        .size:           8
        .value_kind:     global_buffer
      - .actual_access:  read_only
        .address_space:  global
        .offset:         48
        .size:           8
        .value_kind:     global_buffer
      - .offset:         56
        .size:           4
        .value_kind:     by_value
      - .actual_access:  read_only
        .address_space:  global
        .offset:         64
        .size:           8
        .value_kind:     global_buffer
      - .offset:         72
        .size:           4
        .value_kind:     by_value
      - .offset:         76
        .size:           4
        .value_kind:     by_value
      - .offset:         80
        .size:           4
        .value_kind:     by_value
      - .actual_access:  read_only
        .address_space:  global
        .offset:         88
        .size:           8
        .value_kind:     global_buffer
      - .actual_access:  read_only
        .address_space:  global
        .offset:         96
        .size:           8
        .value_kind:     global_buffer
      - .actual_access:  read_only
        .address_space:  global
        .offset:         104
        .size:           8
        .value_kind:     global_buffer
      - .actual_access:  read_only
        .address_space:  global
        .offset:         112
        .size:           8
        .value_kind:     global_buffer
      - .offset:         120
        .size:           4
        .value_kind:     by_value
      - .address_space:  global
        .offset:         128
        .size:           8
        .value_kind:     global_buffer
      - .address_space:  global
        .offset:         136
        .size:           8
        .value_kind:     global_buffer
      - .offset:         144
        .size:           4
        .value_kind:     hidden_block_count_x
      - .offset:         148
        .size:           4
        .value_kind:     hidden_block_count_y
      - .offset:         152
        .size:           4
        .value_kind:     hidden_block_count_z
      - .offset:         156
        .size:           2
        .value_kind:     hidden_group_size_x
      - .offset:         158
        .size:           2
        .value_kind:     hidden_group_size_y
      - .offset:         160
        .size:           2
        .value_kind:     hidden_group_size_z
      - .offset:         162
        .size:           2
        .value_kind:     hidden_remainder_x
      - .offset:         164
        .size:           2
        .value_kind:     hidden_remainder_y
      - .offset:         166
        .size:           2
        .value_kind:     hidden_remainder_z
      - .offset:         184
        .size:           8
        .value_kind:     hidden_global_offset_x
      - .offset:         192
        .size:           8
        .value_kind:     hidden_global_offset_y
      - .offset:         200
        .size:           8
        .value_kind:     hidden_global_offset_z
      - .offset:         208
        .size:           2
        .value_kind:     hidden_grid_dims
      - .offset:         224
        .size:           8
        .value_kind:     hidden_hostcall_buffer
    .group_segment_fixed_size: 8192
    .kernarg_segment_align: 8
    .kernarg_segment_size: 400
    .language:       OpenCL C
    .language_version:
      - 2
      - 0
    .max_flat_workgroup_size: 256
    .name:           _Z39paged_attention_ll4mi_QKV_mfma16_kernelI14__hip_bfloat16hLN4vllm18Fp8KVCacheDataTypeE1ES0_Li16ELi128ELi256ELb1ELi9EL8MFMAType1EEvPKT_PKT0_S9_ifPKiSB_SB_iPKfiiiPfSE_PS4_PT2_iSD_SD_
    .private_segment_fixed_size: 64
    .sgpr_count:     40
    .sgpr_spill_count: 0
    .symbol:         _Z39paged_attention_ll4mi_QKV_mfma16_kernelI14__hip_bfloat16hLN4vllm18Fp8KVCacheDataTypeE1ES0_Li16ELi128ELi256ELb1ELi9EL8MFMAType1EEvPKT_PKT0_S9_ifPKiSB_SB_iPKfiiiPfSE_PS4_PT2_iSD_SD_.kd
    .uniform_work_group_size: 1
    .uses_dynamic_stack: false
    .vgpr_count:     45
    .vgpr_spill_count: 0
    .wavefront_size: 64
  - .agpr_count:     1
    .args:
      - .actual_access:  read_only
        .address_space:  global
        .offset:         0
        .size:           8
        .value_kind:     global_buffer
      - .actual_access:  read_only
        .address_space:  global
        .offset:         8
        .size:           8
        .value_kind:     global_buffer
      - .actual_access:  read_only
        .address_space:  global
        .offset:         16
        .size:           8
        .value_kind:     global_buffer
      - .offset:         24
        .size:           4
        .value_kind:     by_value
      - .offset:         28
        .size:           4
        .value_kind:     by_value
      - .actual_access:  read_only
        .address_space:  global
        .offset:         32
        .size:           8
        .value_kind:     global_buffer
      - .actual_access:  read_only
        .address_space:  global
        .offset:         40
        .size:           8
        .value_kind:     global_buffer
      - .actual_access:  read_only
        .address_space:  global
        .offset:         48
        .size:           8
        .value_kind:     global_buffer
      - .offset:         56
        .size:           4
        .value_kind:     by_value
      - .actual_access:  read_only
        .address_space:  global
        .offset:         64
        .size:           8
        .value_kind:     global_buffer
      - .offset:         72
        .size:           4
        .value_kind:     by_value
      - .offset:         76
        .size:           4
        .value_kind:     by_value
      - .offset:         80
        .size:           4
        .value_kind:     by_value
      - .actual_access:  read_only
        .address_space:  global
        .offset:         88
        .size:           8
        .value_kind:     global_buffer
      - .actual_access:  read_only
        .address_space:  global
        .offset:         96
        .size:           8
        .value_kind:     global_buffer
      - .actual_access:  read_only
        .address_space:  global
        .offset:         104
        .size:           8
        .value_kind:     global_buffer
      - .actual_access:  read_only
        .address_space:  global
        .offset:         112
        .size:           8
        .value_kind:     global_buffer
      - .offset:         120
        .size:           4
        .value_kind:     by_value
      - .address_space:  global
        .offset:         128
        .size:           8
        .value_kind:     global_buffer
      - .address_space:  global
        .offset:         136
        .size:           8
        .value_kind:     global_buffer
      - .offset:         144
        .size:           4
        .value_kind:     hidden_block_count_x
      - .offset:         148
        .size:           4
        .value_kind:     hidden_block_count_y
      - .offset:         152
        .size:           4
        .value_kind:     hidden_block_count_z
      - .offset:         156
        .size:           2
        .value_kind:     hidden_group_size_x
      - .offset:         158
        .size:           2
        .value_kind:     hidden_group_size_y
      - .offset:         160
        .size:           2
        .value_kind:     hidden_group_size_z
      - .offset:         162
        .size:           2
        .value_kind:     hidden_remainder_x
      - .offset:         164
        .size:           2
        .value_kind:     hidden_remainder_y
      - .offset:         166
        .size:           2
        .value_kind:     hidden_remainder_z
      - .offset:         184
        .size:           8
        .value_kind:     hidden_global_offset_x
      - .offset:         192
        .size:           8
        .value_kind:     hidden_global_offset_y
      - .offset:         200
        .size:           8
        .value_kind:     hidden_global_offset_z
      - .offset:         208
        .size:           2
        .value_kind:     hidden_grid_dims
      - .offset:         224
        .size:           8
        .value_kind:     hidden_hostcall_buffer
    .group_segment_fixed_size: 8192
    .kernarg_segment_align: 8
    .kernarg_segment_size: 400
    .language:       OpenCL C
    .language_version:
      - 2
      - 0
    .max_flat_workgroup_size: 256
    .name:           _Z39paged_attention_ll4mi_QKV_mfma16_kernelI14__hip_bfloat16hLN4vllm18Fp8KVCacheDataTypeE1ES0_Li16ELi128ELi256ELb1ELi10EL8MFMAType1EEvPKT_PKT0_S9_ifPKiSB_SB_iPKfiiiPfSE_PS4_PT2_iSD_SD_
    .private_segment_fixed_size: 64
    .sgpr_count:     40
    .sgpr_spill_count: 0
    .symbol:         _Z39paged_attention_ll4mi_QKV_mfma16_kernelI14__hip_bfloat16hLN4vllm18Fp8KVCacheDataTypeE1ES0_Li16ELi128ELi256ELb1ELi10EL8MFMAType1EEvPKT_PKT0_S9_ifPKiSB_SB_iPKfiiiPfSE_PS4_PT2_iSD_SD_.kd
    .uniform_work_group_size: 1
    .uses_dynamic_stack: false
    .vgpr_count:     45
    .vgpr_spill_count: 0
    .wavefront_size: 64
  - .agpr_count:     1
    .args:
      - .actual_access:  read_only
        .address_space:  global
        .offset:         0
        .size:           8
        .value_kind:     global_buffer
      - .actual_access:  read_only
        .address_space:  global
        .offset:         8
        .size:           8
        .value_kind:     global_buffer
      - .actual_access:  read_only
        .address_space:  global
        .offset:         16
        .size:           8
        .value_kind:     global_buffer
      - .offset:         24
        .size:           4
        .value_kind:     by_value
      - .offset:         28
        .size:           4
        .value_kind:     by_value
      - .actual_access:  read_only
        .address_space:  global
        .offset:         32
        .size:           8
        .value_kind:     global_buffer
      - .actual_access:  read_only
        .address_space:  global
        .offset:         40
        .size:           8
        .value_kind:     global_buffer
      - .actual_access:  read_only
        .address_space:  global
        .offset:         48
        .size:           8
        .value_kind:     global_buffer
      - .offset:         56
        .size:           4
        .value_kind:     by_value
      - .actual_access:  read_only
        .address_space:  global
        .offset:         64
        .size:           8
        .value_kind:     global_buffer
      - .offset:         72
        .size:           4
        .value_kind:     by_value
      - .offset:         76
        .size:           4
        .value_kind:     by_value
      - .offset:         80
        .size:           4
        .value_kind:     by_value
      - .actual_access:  read_only
        .address_space:  global
        .offset:         88
        .size:           8
        .value_kind:     global_buffer
      - .actual_access:  read_only
        .address_space:  global
        .offset:         96
        .size:           8
        .value_kind:     global_buffer
      - .actual_access:  read_only
        .address_space:  global
        .offset:         104
        .size:           8
        .value_kind:     global_buffer
      - .actual_access:  read_only
        .address_space:  global
        .offset:         112
        .size:           8
        .value_kind:     global_buffer
      - .offset:         120
        .size:           4
        .value_kind:     by_value
      - .address_space:  global
        .offset:         128
        .size:           8
        .value_kind:     global_buffer
      - .address_space:  global
        .offset:         136
        .size:           8
        .value_kind:     global_buffer
      - .offset:         144
        .size:           4
        .value_kind:     hidden_block_count_x
      - .offset:         148
        .size:           4
        .value_kind:     hidden_block_count_y
      - .offset:         152
        .size:           4
        .value_kind:     hidden_block_count_z
      - .offset:         156
        .size:           2
        .value_kind:     hidden_group_size_x
      - .offset:         158
        .size:           2
        .value_kind:     hidden_group_size_y
      - .offset:         160
        .size:           2
        .value_kind:     hidden_group_size_z
      - .offset:         162
        .size:           2
        .value_kind:     hidden_remainder_x
      - .offset:         164
        .size:           2
        .value_kind:     hidden_remainder_y
      - .offset:         166
        .size:           2
        .value_kind:     hidden_remainder_z
      - .offset:         184
        .size:           8
        .value_kind:     hidden_global_offset_x
      - .offset:         192
        .size:           8
        .value_kind:     hidden_global_offset_y
      - .offset:         200
        .size:           8
        .value_kind:     hidden_global_offset_z
      - .offset:         208
        .size:           2
        .value_kind:     hidden_grid_dims
      - .offset:         224
        .size:           8
        .value_kind:     hidden_hostcall_buffer
    .group_segment_fixed_size: 8192
    .kernarg_segment_align: 8
    .kernarg_segment_size: 400
    .language:       OpenCL C
    .language_version:
      - 2
      - 0
    .max_flat_workgroup_size: 256
    .name:           _Z39paged_attention_ll4mi_QKV_mfma16_kernelI14__hip_bfloat16hLN4vllm18Fp8KVCacheDataTypeE1ES0_Li16ELi128ELi256ELb1ELi11EL8MFMAType1EEvPKT_PKT0_S9_ifPKiSB_SB_iPKfiiiPfSE_PS4_PT2_iSD_SD_
    .private_segment_fixed_size: 64
    .sgpr_count:     40
    .sgpr_spill_count: 0
    .symbol:         _Z39paged_attention_ll4mi_QKV_mfma16_kernelI14__hip_bfloat16hLN4vllm18Fp8KVCacheDataTypeE1ES0_Li16ELi128ELi256ELb1ELi11EL8MFMAType1EEvPKT_PKT0_S9_ifPKiSB_SB_iPKfiiiPfSE_PS4_PT2_iSD_SD_.kd
    .uniform_work_group_size: 1
    .uses_dynamic_stack: false
    .vgpr_count:     45
    .vgpr_spill_count: 0
    .wavefront_size: 64
  - .agpr_count:     1
    .args:
      - .actual_access:  read_only
        .address_space:  global
        .offset:         0
        .size:           8
        .value_kind:     global_buffer
      - .actual_access:  read_only
        .address_space:  global
        .offset:         8
        .size:           8
        .value_kind:     global_buffer
      - .actual_access:  read_only
        .address_space:  global
        .offset:         16
        .size:           8
        .value_kind:     global_buffer
      - .offset:         24
        .size:           4
        .value_kind:     by_value
      - .offset:         28
        .size:           4
        .value_kind:     by_value
      - .actual_access:  read_only
        .address_space:  global
        .offset:         32
        .size:           8
        .value_kind:     global_buffer
      - .actual_access:  read_only
        .address_space:  global
        .offset:         40
        .size:           8
        .value_kind:     global_buffer
      - .actual_access:  read_only
        .address_space:  global
        .offset:         48
        .size:           8
        .value_kind:     global_buffer
      - .offset:         56
        .size:           4
        .value_kind:     by_value
      - .actual_access:  read_only
        .address_space:  global
        .offset:         64
        .size:           8
        .value_kind:     global_buffer
      - .offset:         72
        .size:           4
        .value_kind:     by_value
      - .offset:         76
        .size:           4
        .value_kind:     by_value
      - .offset:         80
        .size:           4
        .value_kind:     by_value
      - .actual_access:  read_only
        .address_space:  global
        .offset:         88
        .size:           8
        .value_kind:     global_buffer
      - .actual_access:  read_only
        .address_space:  global
        .offset:         96
        .size:           8
        .value_kind:     global_buffer
      - .actual_access:  read_only
        .address_space:  global
        .offset:         104
        .size:           8
        .value_kind:     global_buffer
      - .actual_access:  read_only
        .address_space:  global
        .offset:         112
        .size:           8
        .value_kind:     global_buffer
      - .offset:         120
        .size:           4
        .value_kind:     by_value
      - .address_space:  global
        .offset:         128
        .size:           8
        .value_kind:     global_buffer
      - .address_space:  global
        .offset:         136
        .size:           8
        .value_kind:     global_buffer
      - .offset:         144
        .size:           4
        .value_kind:     hidden_block_count_x
      - .offset:         148
        .size:           4
        .value_kind:     hidden_block_count_y
      - .offset:         152
        .size:           4
        .value_kind:     hidden_block_count_z
      - .offset:         156
        .size:           2
        .value_kind:     hidden_group_size_x
      - .offset:         158
        .size:           2
        .value_kind:     hidden_group_size_y
      - .offset:         160
        .size:           2
        .value_kind:     hidden_group_size_z
      - .offset:         162
        .size:           2
        .value_kind:     hidden_remainder_x
      - .offset:         164
        .size:           2
        .value_kind:     hidden_remainder_y
      - .offset:         166
        .size:           2
        .value_kind:     hidden_remainder_z
      - .offset:         184
        .size:           8
        .value_kind:     hidden_global_offset_x
      - .offset:         192
        .size:           8
        .value_kind:     hidden_global_offset_y
      - .offset:         200
        .size:           8
        .value_kind:     hidden_global_offset_z
      - .offset:         208
        .size:           2
        .value_kind:     hidden_grid_dims
      - .offset:         224
        .size:           8
        .value_kind:     hidden_hostcall_buffer
    .group_segment_fixed_size: 8192
    .kernarg_segment_align: 8
    .kernarg_segment_size: 400
    .language:       OpenCL C
    .language_version:
      - 2
      - 0
    .max_flat_workgroup_size: 256
    .name:           _Z39paged_attention_ll4mi_QKV_mfma16_kernelI14__hip_bfloat16hLN4vllm18Fp8KVCacheDataTypeE1ES0_Li16ELi128ELi256ELb1ELi12EL8MFMAType1EEvPKT_PKT0_S9_ifPKiSB_SB_iPKfiiiPfSE_PS4_PT2_iSD_SD_
    .private_segment_fixed_size: 64
    .sgpr_count:     40
    .sgpr_spill_count: 0
    .symbol:         _Z39paged_attention_ll4mi_QKV_mfma16_kernelI14__hip_bfloat16hLN4vllm18Fp8KVCacheDataTypeE1ES0_Li16ELi128ELi256ELb1ELi12EL8MFMAType1EEvPKT_PKT0_S9_ifPKiSB_SB_iPKfiiiPfSE_PS4_PT2_iSD_SD_.kd
    .uniform_work_group_size: 1
    .uses_dynamic_stack: false
    .vgpr_count:     45
    .vgpr_spill_count: 0
    .wavefront_size: 64
  - .agpr_count:     1
    .args:
      - .actual_access:  read_only
        .address_space:  global
        .offset:         0
        .size:           8
        .value_kind:     global_buffer
      - .actual_access:  read_only
        .address_space:  global
        .offset:         8
        .size:           8
        .value_kind:     global_buffer
      - .actual_access:  read_only
        .address_space:  global
        .offset:         16
        .size:           8
        .value_kind:     global_buffer
      - .offset:         24
        .size:           4
        .value_kind:     by_value
      - .offset:         28
        .size:           4
        .value_kind:     by_value
      - .actual_access:  read_only
        .address_space:  global
        .offset:         32
        .size:           8
        .value_kind:     global_buffer
      - .actual_access:  read_only
        .address_space:  global
        .offset:         40
        .size:           8
        .value_kind:     global_buffer
      - .actual_access:  read_only
        .address_space:  global
        .offset:         48
        .size:           8
        .value_kind:     global_buffer
      - .offset:         56
        .size:           4
        .value_kind:     by_value
      - .actual_access:  read_only
        .address_space:  global
        .offset:         64
        .size:           8
        .value_kind:     global_buffer
      - .offset:         72
        .size:           4
        .value_kind:     by_value
      - .offset:         76
        .size:           4
        .value_kind:     by_value
      - .offset:         80
        .size:           4
        .value_kind:     by_value
      - .actual_access:  read_only
        .address_space:  global
        .offset:         88
        .size:           8
        .value_kind:     global_buffer
      - .actual_access:  read_only
        .address_space:  global
        .offset:         96
        .size:           8
        .value_kind:     global_buffer
      - .actual_access:  read_only
        .address_space:  global
        .offset:         104
        .size:           8
        .value_kind:     global_buffer
      - .actual_access:  read_only
        .address_space:  global
        .offset:         112
        .size:           8
        .value_kind:     global_buffer
      - .offset:         120
        .size:           4
        .value_kind:     by_value
      - .address_space:  global
        .offset:         128
        .size:           8
        .value_kind:     global_buffer
      - .address_space:  global
        .offset:         136
        .size:           8
        .value_kind:     global_buffer
      - .offset:         144
        .size:           4
        .value_kind:     hidden_block_count_x
      - .offset:         148
        .size:           4
        .value_kind:     hidden_block_count_y
      - .offset:         152
        .size:           4
        .value_kind:     hidden_block_count_z
      - .offset:         156
        .size:           2
        .value_kind:     hidden_group_size_x
      - .offset:         158
        .size:           2
        .value_kind:     hidden_group_size_y
      - .offset:         160
        .size:           2
        .value_kind:     hidden_group_size_z
      - .offset:         162
        .size:           2
        .value_kind:     hidden_remainder_x
      - .offset:         164
        .size:           2
        .value_kind:     hidden_remainder_y
      - .offset:         166
        .size:           2
        .value_kind:     hidden_remainder_z
      - .offset:         184
        .size:           8
        .value_kind:     hidden_global_offset_x
      - .offset:         192
        .size:           8
        .value_kind:     hidden_global_offset_y
      - .offset:         200
        .size:           8
        .value_kind:     hidden_global_offset_z
      - .offset:         208
        .size:           2
        .value_kind:     hidden_grid_dims
      - .offset:         224
        .size:           8
        .value_kind:     hidden_hostcall_buffer
    .group_segment_fixed_size: 8192
    .kernarg_segment_align: 8
    .kernarg_segment_size: 400
    .language:       OpenCL C
    .language_version:
      - 2
      - 0
    .max_flat_workgroup_size: 256
    .name:           _Z39paged_attention_ll4mi_QKV_mfma16_kernelI14__hip_bfloat16hLN4vllm18Fp8KVCacheDataTypeE1ES0_Li16ELi128ELi256ELb1ELi13EL8MFMAType1EEvPKT_PKT0_S9_ifPKiSB_SB_iPKfiiiPfSE_PS4_PT2_iSD_SD_
    .private_segment_fixed_size: 64
    .sgpr_count:     40
    .sgpr_spill_count: 0
    .symbol:         _Z39paged_attention_ll4mi_QKV_mfma16_kernelI14__hip_bfloat16hLN4vllm18Fp8KVCacheDataTypeE1ES0_Li16ELi128ELi256ELb1ELi13EL8MFMAType1EEvPKT_PKT0_S9_ifPKiSB_SB_iPKfiiiPfSE_PS4_PT2_iSD_SD_.kd
    .uniform_work_group_size: 1
    .uses_dynamic_stack: false
    .vgpr_count:     45
    .vgpr_spill_count: 0
    .wavefront_size: 64
  - .agpr_count:     1
    .args:
      - .actual_access:  read_only
        .address_space:  global
        .offset:         0
        .size:           8
        .value_kind:     global_buffer
      - .actual_access:  read_only
        .address_space:  global
        .offset:         8
        .size:           8
        .value_kind:     global_buffer
      - .actual_access:  read_only
        .address_space:  global
        .offset:         16
        .size:           8
        .value_kind:     global_buffer
      - .offset:         24
        .size:           4
        .value_kind:     by_value
      - .offset:         28
        .size:           4
        .value_kind:     by_value
      - .actual_access:  read_only
        .address_space:  global
        .offset:         32
        .size:           8
        .value_kind:     global_buffer
      - .actual_access:  read_only
        .address_space:  global
        .offset:         40
        .size:           8
        .value_kind:     global_buffer
      - .actual_access:  read_only
        .address_space:  global
        .offset:         48
        .size:           8
        .value_kind:     global_buffer
      - .offset:         56
        .size:           4
        .value_kind:     by_value
      - .actual_access:  read_only
        .address_space:  global
        .offset:         64
        .size:           8
        .value_kind:     global_buffer
      - .offset:         72
        .size:           4
        .value_kind:     by_value
      - .offset:         76
        .size:           4
        .value_kind:     by_value
      - .offset:         80
        .size:           4
        .value_kind:     by_value
      - .actual_access:  read_only
        .address_space:  global
        .offset:         88
        .size:           8
        .value_kind:     global_buffer
      - .actual_access:  read_only
        .address_space:  global
        .offset:         96
        .size:           8
        .value_kind:     global_buffer
      - .actual_access:  read_only
        .address_space:  global
        .offset:         104
        .size:           8
        .value_kind:     global_buffer
      - .actual_access:  read_only
        .address_space:  global
        .offset:         112
        .size:           8
        .value_kind:     global_buffer
      - .offset:         120
        .size:           4
        .value_kind:     by_value
      - .address_space:  global
        .offset:         128
        .size:           8
        .value_kind:     global_buffer
      - .address_space:  global
        .offset:         136
        .size:           8
        .value_kind:     global_buffer
      - .offset:         144
        .size:           4
        .value_kind:     hidden_block_count_x
      - .offset:         148
        .size:           4
        .value_kind:     hidden_block_count_y
      - .offset:         152
        .size:           4
        .value_kind:     hidden_block_count_z
      - .offset:         156
        .size:           2
        .value_kind:     hidden_group_size_x
      - .offset:         158
        .size:           2
        .value_kind:     hidden_group_size_y
      - .offset:         160
        .size:           2
        .value_kind:     hidden_group_size_z
      - .offset:         162
        .size:           2
        .value_kind:     hidden_remainder_x
      - .offset:         164
        .size:           2
        .value_kind:     hidden_remainder_y
      - .offset:         166
        .size:           2
        .value_kind:     hidden_remainder_z
      - .offset:         184
        .size:           8
        .value_kind:     hidden_global_offset_x
      - .offset:         192
        .size:           8
        .value_kind:     hidden_global_offset_y
      - .offset:         200
        .size:           8
        .value_kind:     hidden_global_offset_z
      - .offset:         208
        .size:           2
        .value_kind:     hidden_grid_dims
      - .offset:         224
        .size:           8
        .value_kind:     hidden_hostcall_buffer
    .group_segment_fixed_size: 8192
    .kernarg_segment_align: 8
    .kernarg_segment_size: 400
    .language:       OpenCL C
    .language_version:
      - 2
      - 0
    .max_flat_workgroup_size: 256
    .name:           _Z39paged_attention_ll4mi_QKV_mfma16_kernelI14__hip_bfloat16hLN4vllm18Fp8KVCacheDataTypeE1ES0_Li16ELi128ELi256ELb1ELi14EL8MFMAType1EEvPKT_PKT0_S9_ifPKiSB_SB_iPKfiiiPfSE_PS4_PT2_iSD_SD_
    .private_segment_fixed_size: 64
    .sgpr_count:     40
    .sgpr_spill_count: 0
    .symbol:         _Z39paged_attention_ll4mi_QKV_mfma16_kernelI14__hip_bfloat16hLN4vllm18Fp8KVCacheDataTypeE1ES0_Li16ELi128ELi256ELb1ELi14EL8MFMAType1EEvPKT_PKT0_S9_ifPKiSB_SB_iPKfiiiPfSE_PS4_PT2_iSD_SD_.kd
    .uniform_work_group_size: 1
    .uses_dynamic_stack: false
    .vgpr_count:     45
    .vgpr_spill_count: 0
    .wavefront_size: 64
  - .agpr_count:     1
    .args:
      - .actual_access:  read_only
        .address_space:  global
        .offset:         0
        .size:           8
        .value_kind:     global_buffer
      - .actual_access:  read_only
        .address_space:  global
        .offset:         8
        .size:           8
        .value_kind:     global_buffer
      - .actual_access:  read_only
        .address_space:  global
        .offset:         16
        .size:           8
        .value_kind:     global_buffer
      - .offset:         24
        .size:           4
        .value_kind:     by_value
      - .offset:         28
        .size:           4
        .value_kind:     by_value
      - .actual_access:  read_only
        .address_space:  global
        .offset:         32
        .size:           8
        .value_kind:     global_buffer
      - .actual_access:  read_only
        .address_space:  global
        .offset:         40
        .size:           8
        .value_kind:     global_buffer
      - .actual_access:  read_only
        .address_space:  global
        .offset:         48
        .size:           8
        .value_kind:     global_buffer
      - .offset:         56
        .size:           4
        .value_kind:     by_value
      - .actual_access:  read_only
        .address_space:  global
        .offset:         64
        .size:           8
        .value_kind:     global_buffer
      - .offset:         72
        .size:           4
        .value_kind:     by_value
      - .offset:         76
        .size:           4
        .value_kind:     by_value
      - .offset:         80
        .size:           4
        .value_kind:     by_value
      - .actual_access:  read_only
        .address_space:  global
        .offset:         88
        .size:           8
        .value_kind:     global_buffer
      - .actual_access:  read_only
        .address_space:  global
        .offset:         96
        .size:           8
        .value_kind:     global_buffer
      - .actual_access:  read_only
        .address_space:  global
        .offset:         104
        .size:           8
        .value_kind:     global_buffer
      - .actual_access:  read_only
        .address_space:  global
        .offset:         112
        .size:           8
        .value_kind:     global_buffer
      - .offset:         120
        .size:           4
        .value_kind:     by_value
      - .address_space:  global
        .offset:         128
        .size:           8
        .value_kind:     global_buffer
      - .address_space:  global
        .offset:         136
        .size:           8
        .value_kind:     global_buffer
      - .offset:         144
        .size:           4
        .value_kind:     hidden_block_count_x
      - .offset:         148
        .size:           4
        .value_kind:     hidden_block_count_y
      - .offset:         152
        .size:           4
        .value_kind:     hidden_block_count_z
      - .offset:         156
        .size:           2
        .value_kind:     hidden_group_size_x
      - .offset:         158
        .size:           2
        .value_kind:     hidden_group_size_y
      - .offset:         160
        .size:           2
        .value_kind:     hidden_group_size_z
      - .offset:         162
        .size:           2
        .value_kind:     hidden_remainder_x
      - .offset:         164
        .size:           2
        .value_kind:     hidden_remainder_y
      - .offset:         166
        .size:           2
        .value_kind:     hidden_remainder_z
      - .offset:         184
        .size:           8
        .value_kind:     hidden_global_offset_x
      - .offset:         192
        .size:           8
        .value_kind:     hidden_global_offset_y
      - .offset:         200
        .size:           8
        .value_kind:     hidden_global_offset_z
      - .offset:         208
        .size:           2
        .value_kind:     hidden_grid_dims
      - .offset:         224
        .size:           8
        .value_kind:     hidden_hostcall_buffer
    .group_segment_fixed_size: 8192
    .kernarg_segment_align: 8
    .kernarg_segment_size: 400
    .language:       OpenCL C
    .language_version:
      - 2
      - 0
    .max_flat_workgroup_size: 256
    .name:           _Z39paged_attention_ll4mi_QKV_mfma16_kernelI14__hip_bfloat16hLN4vllm18Fp8KVCacheDataTypeE1ES0_Li16ELi128ELi256ELb1ELi15EL8MFMAType1EEvPKT_PKT0_S9_ifPKiSB_SB_iPKfiiiPfSE_PS4_PT2_iSD_SD_
    .private_segment_fixed_size: 64
    .sgpr_count:     40
    .sgpr_spill_count: 0
    .symbol:         _Z39paged_attention_ll4mi_QKV_mfma16_kernelI14__hip_bfloat16hLN4vllm18Fp8KVCacheDataTypeE1ES0_Li16ELi128ELi256ELb1ELi15EL8MFMAType1EEvPKT_PKT0_S9_ifPKiSB_SB_iPKfiiiPfSE_PS4_PT2_iSD_SD_.kd
    .uniform_work_group_size: 1
    .uses_dynamic_stack: false
    .vgpr_count:     45
    .vgpr_spill_count: 0
    .wavefront_size: 64
  - .agpr_count:     1
    .args:
      - .actual_access:  read_only
        .address_space:  global
        .offset:         0
        .size:           8
        .value_kind:     global_buffer
      - .actual_access:  read_only
        .address_space:  global
        .offset:         8
        .size:           8
        .value_kind:     global_buffer
      - .actual_access:  read_only
        .address_space:  global
        .offset:         16
        .size:           8
        .value_kind:     global_buffer
      - .offset:         24
        .size:           4
        .value_kind:     by_value
      - .offset:         28
        .size:           4
        .value_kind:     by_value
      - .actual_access:  read_only
        .address_space:  global
        .offset:         32
        .size:           8
        .value_kind:     global_buffer
      - .actual_access:  read_only
        .address_space:  global
        .offset:         40
        .size:           8
        .value_kind:     global_buffer
      - .actual_access:  read_only
        .address_space:  global
        .offset:         48
        .size:           8
        .value_kind:     global_buffer
      - .offset:         56
        .size:           4
        .value_kind:     by_value
      - .actual_access:  read_only
        .address_space:  global
        .offset:         64
        .size:           8
        .value_kind:     global_buffer
      - .offset:         72
        .size:           4
        .value_kind:     by_value
      - .offset:         76
        .size:           4
        .value_kind:     by_value
      - .offset:         80
        .size:           4
        .value_kind:     by_value
      - .actual_access:  read_only
        .address_space:  global
        .offset:         88
        .size:           8
        .value_kind:     global_buffer
      - .actual_access:  read_only
        .address_space:  global
        .offset:         96
        .size:           8
        .value_kind:     global_buffer
      - .actual_access:  read_only
        .address_space:  global
        .offset:         104
        .size:           8
        .value_kind:     global_buffer
      - .actual_access:  read_only
        .address_space:  global
        .offset:         112
        .size:           8
        .value_kind:     global_buffer
      - .offset:         120
        .size:           4
        .value_kind:     by_value
      - .address_space:  global
        .offset:         128
        .size:           8
        .value_kind:     global_buffer
      - .address_space:  global
        .offset:         136
        .size:           8
        .value_kind:     global_buffer
      - .offset:         144
        .size:           4
        .value_kind:     hidden_block_count_x
      - .offset:         148
        .size:           4
        .value_kind:     hidden_block_count_y
      - .offset:         152
        .size:           4
        .value_kind:     hidden_block_count_z
      - .offset:         156
        .size:           2
        .value_kind:     hidden_group_size_x
      - .offset:         158
        .size:           2
        .value_kind:     hidden_group_size_y
      - .offset:         160
        .size:           2
        .value_kind:     hidden_group_size_z
      - .offset:         162
        .size:           2
        .value_kind:     hidden_remainder_x
      - .offset:         164
        .size:           2
        .value_kind:     hidden_remainder_y
      - .offset:         166
        .size:           2
        .value_kind:     hidden_remainder_z
      - .offset:         184
        .size:           8
        .value_kind:     hidden_global_offset_x
      - .offset:         192
        .size:           8
        .value_kind:     hidden_global_offset_y
      - .offset:         200
        .size:           8
        .value_kind:     hidden_global_offset_z
      - .offset:         208
        .size:           2
        .value_kind:     hidden_grid_dims
      - .offset:         224
        .size:           8
        .value_kind:     hidden_hostcall_buffer
    .group_segment_fixed_size: 8192
    .kernarg_segment_align: 8
    .kernarg_segment_size: 400
    .language:       OpenCL C
    .language_version:
      - 2
      - 0
    .max_flat_workgroup_size: 256
    .name:           _Z39paged_attention_ll4mi_QKV_mfma16_kernelI14__hip_bfloat16hLN4vllm18Fp8KVCacheDataTypeE1ES0_Li16ELi128ELi256ELb1ELi16EL8MFMAType1EEvPKT_PKT0_S9_ifPKiSB_SB_iPKfiiiPfSE_PS4_PT2_iSD_SD_
    .private_segment_fixed_size: 64
    .sgpr_count:     40
    .sgpr_spill_count: 0
    .symbol:         _Z39paged_attention_ll4mi_QKV_mfma16_kernelI14__hip_bfloat16hLN4vllm18Fp8KVCacheDataTypeE1ES0_Li16ELi128ELi256ELb1ELi16EL8MFMAType1EEvPKT_PKT0_S9_ifPKiSB_SB_iPKfiiiPfSE_PS4_PT2_iSD_SD_.kd
    .uniform_work_group_size: 1
    .uses_dynamic_stack: false
    .vgpr_count:     45
    .vgpr_spill_count: 0
    .wavefront_size: 64
  - .agpr_count:     1
    .args:
      - .actual_access:  read_only
        .address_space:  global
        .offset:         0
        .size:           8
        .value_kind:     global_buffer
      - .actual_access:  read_only
        .address_space:  global
        .offset:         8
        .size:           8
        .value_kind:     global_buffer
      - .actual_access:  read_only
        .address_space:  global
        .offset:         16
        .size:           8
        .value_kind:     global_buffer
      - .offset:         24
        .size:           4
        .value_kind:     by_value
      - .offset:         28
        .size:           4
        .value_kind:     by_value
      - .actual_access:  read_only
        .address_space:  global
        .offset:         32
        .size:           8
        .value_kind:     global_buffer
      - .actual_access:  read_only
        .address_space:  global
        .offset:         40
        .size:           8
        .value_kind:     global_buffer
      - .actual_access:  read_only
        .address_space:  global
        .offset:         48
        .size:           8
        .value_kind:     global_buffer
      - .offset:         56
        .size:           4
        .value_kind:     by_value
      - .actual_access:  read_only
        .address_space:  global
        .offset:         64
        .size:           8
        .value_kind:     global_buffer
      - .offset:         72
        .size:           4
        .value_kind:     by_value
      - .offset:         76
        .size:           4
        .value_kind:     by_value
      - .offset:         80
        .size:           4
        .value_kind:     by_value
      - .actual_access:  read_only
        .address_space:  global
        .offset:         88
        .size:           8
        .value_kind:     global_buffer
      - .actual_access:  read_only
        .address_space:  global
        .offset:         96
        .size:           8
        .value_kind:     global_buffer
      - .actual_access:  read_only
        .address_space:  global
        .offset:         104
        .size:           8
        .value_kind:     global_buffer
      - .actual_access:  read_only
        .address_space:  global
        .offset:         112
        .size:           8
        .value_kind:     global_buffer
      - .offset:         120
        .size:           4
        .value_kind:     by_value
      - .address_space:  global
        .offset:         128
        .size:           8
        .value_kind:     global_buffer
      - .address_space:  global
        .offset:         136
        .size:           8
        .value_kind:     global_buffer
      - .offset:         144
        .size:           4
        .value_kind:     hidden_block_count_x
      - .offset:         148
        .size:           4
        .value_kind:     hidden_block_count_y
      - .offset:         152
        .size:           4
        .value_kind:     hidden_block_count_z
      - .offset:         156
        .size:           2
        .value_kind:     hidden_group_size_x
      - .offset:         158
        .size:           2
        .value_kind:     hidden_group_size_y
      - .offset:         160
        .size:           2
        .value_kind:     hidden_group_size_z
      - .offset:         162
        .size:           2
        .value_kind:     hidden_remainder_x
      - .offset:         164
        .size:           2
        .value_kind:     hidden_remainder_y
      - .offset:         166
        .size:           2
        .value_kind:     hidden_remainder_z
      - .offset:         184
        .size:           8
        .value_kind:     hidden_global_offset_x
      - .offset:         192
        .size:           8
        .value_kind:     hidden_global_offset_y
      - .offset:         200
        .size:           8
        .value_kind:     hidden_global_offset_z
      - .offset:         208
        .size:           2
        .value_kind:     hidden_grid_dims
      - .offset:         224
        .size:           8
        .value_kind:     hidden_hostcall_buffer
    .group_segment_fixed_size: 8192
    .kernarg_segment_align: 8
    .kernarg_segment_size: 400
    .language:       OpenCL C
    .language_version:
      - 2
      - 0
    .max_flat_workgroup_size: 256
    .name:           _Z39paged_attention_ll4mi_QKV_mfma16_kernelI14__hip_bfloat16hLN4vllm18Fp8KVCacheDataTypeE1ES0_Li16ELi128ELi256ELb1ELi1EL8MFMAType1EEvPKT_PKT0_S9_ifPKiSB_SB_iPKfiiiPfSE_PS4_PT2_iSD_SD_
    .private_segment_fixed_size: 64
    .sgpr_count:     40
    .sgpr_spill_count: 0
    .symbol:         _Z39paged_attention_ll4mi_QKV_mfma16_kernelI14__hip_bfloat16hLN4vllm18Fp8KVCacheDataTypeE1ES0_Li16ELi128ELi256ELb1ELi1EL8MFMAType1EEvPKT_PKT0_S9_ifPKiSB_SB_iPKfiiiPfSE_PS4_PT2_iSD_SD_.kd
    .uniform_work_group_size: 1
    .uses_dynamic_stack: false
    .vgpr_count:     45
    .vgpr_spill_count: 0
    .wavefront_size: 64
  - .agpr_count:     1
    .args:
      - .actual_access:  read_only
        .address_space:  global
        .offset:         0
        .size:           8
        .value_kind:     global_buffer
      - .actual_access:  read_only
        .address_space:  global
        .offset:         8
        .size:           8
        .value_kind:     global_buffer
      - .actual_access:  read_only
        .address_space:  global
        .offset:         16
        .size:           8
        .value_kind:     global_buffer
      - .offset:         24
        .size:           4
        .value_kind:     by_value
      - .offset:         28
        .size:           4
        .value_kind:     by_value
      - .actual_access:  read_only
        .address_space:  global
        .offset:         32
        .size:           8
        .value_kind:     global_buffer
      - .actual_access:  read_only
        .address_space:  global
        .offset:         40
        .size:           8
        .value_kind:     global_buffer
      - .actual_access:  read_only
        .address_space:  global
        .offset:         48
        .size:           8
        .value_kind:     global_buffer
      - .offset:         56
        .size:           4
        .value_kind:     by_value
      - .actual_access:  read_only
        .address_space:  global
        .offset:         64
        .size:           8
        .value_kind:     global_buffer
      - .offset:         72
        .size:           4
        .value_kind:     by_value
      - .offset:         76
        .size:           4
        .value_kind:     by_value
      - .offset:         80
        .size:           4
        .value_kind:     by_value
      - .actual_access:  read_only
        .address_space:  global
        .offset:         88
        .size:           8
        .value_kind:     global_buffer
      - .actual_access:  read_only
        .address_space:  global
        .offset:         96
        .size:           8
        .value_kind:     global_buffer
      - .actual_access:  read_only
        .address_space:  global
        .offset:         104
        .size:           8
        .value_kind:     global_buffer
      - .actual_access:  read_only
        .address_space:  global
        .offset:         112
        .size:           8
        .value_kind:     global_buffer
      - .offset:         120
        .size:           4
        .value_kind:     by_value
      - .address_space:  global
        .offset:         128
        .size:           8
        .value_kind:     global_buffer
      - .address_space:  global
        .offset:         136
        .size:           8
        .value_kind:     global_buffer
      - .offset:         144
        .size:           4
        .value_kind:     hidden_block_count_x
      - .offset:         148
        .size:           4
        .value_kind:     hidden_block_count_y
      - .offset:         152
        .size:           4
        .value_kind:     hidden_block_count_z
      - .offset:         156
        .size:           2
        .value_kind:     hidden_group_size_x
      - .offset:         158
        .size:           2
        .value_kind:     hidden_group_size_y
      - .offset:         160
        .size:           2
        .value_kind:     hidden_group_size_z
      - .offset:         162
        .size:           2
        .value_kind:     hidden_remainder_x
      - .offset:         164
        .size:           2
        .value_kind:     hidden_remainder_y
      - .offset:         166
        .size:           2
        .value_kind:     hidden_remainder_z
      - .offset:         184
        .size:           8
        .value_kind:     hidden_global_offset_x
      - .offset:         192
        .size:           8
        .value_kind:     hidden_global_offset_y
      - .offset:         200
        .size:           8
        .value_kind:     hidden_global_offset_z
      - .offset:         208
        .size:           2
        .value_kind:     hidden_grid_dims
      - .offset:         224
        .size:           8
        .value_kind:     hidden_hostcall_buffer
    .group_segment_fixed_size: 8192
    .kernarg_segment_align: 8
    .kernarg_segment_size: 400
    .language:       OpenCL C
    .language_version:
      - 2
      - 0
    .max_flat_workgroup_size: 256
    .name:           _Z39paged_attention_ll4mi_QKV_mfma16_kernelI14__hip_bfloat16hLN4vllm18Fp8KVCacheDataTypeE1ES0_Li16ELi128ELi256ELb1ELi2EL8MFMAType1EEvPKT_PKT0_S9_ifPKiSB_SB_iPKfiiiPfSE_PS4_PT2_iSD_SD_
    .private_segment_fixed_size: 64
    .sgpr_count:     40
    .sgpr_spill_count: 0
    .symbol:         _Z39paged_attention_ll4mi_QKV_mfma16_kernelI14__hip_bfloat16hLN4vllm18Fp8KVCacheDataTypeE1ES0_Li16ELi128ELi256ELb1ELi2EL8MFMAType1EEvPKT_PKT0_S9_ifPKiSB_SB_iPKfiiiPfSE_PS4_PT2_iSD_SD_.kd
    .uniform_work_group_size: 1
    .uses_dynamic_stack: false
    .vgpr_count:     45
    .vgpr_spill_count: 0
    .wavefront_size: 64
  - .agpr_count:     1
    .args:
      - .actual_access:  read_only
        .address_space:  global
        .offset:         0
        .size:           8
        .value_kind:     global_buffer
      - .actual_access:  read_only
        .address_space:  global
        .offset:         8
        .size:           8
        .value_kind:     global_buffer
      - .actual_access:  read_only
        .address_space:  global
        .offset:         16
        .size:           8
        .value_kind:     global_buffer
      - .offset:         24
        .size:           4
        .value_kind:     by_value
      - .offset:         28
        .size:           4
        .value_kind:     by_value
      - .actual_access:  read_only
        .address_space:  global
        .offset:         32
        .size:           8
        .value_kind:     global_buffer
      - .actual_access:  read_only
        .address_space:  global
        .offset:         40
        .size:           8
        .value_kind:     global_buffer
      - .actual_access:  read_only
        .address_space:  global
        .offset:         48
        .size:           8
        .value_kind:     global_buffer
      - .offset:         56
        .size:           4
        .value_kind:     by_value
      - .actual_access:  read_only
        .address_space:  global
        .offset:         64
        .size:           8
        .value_kind:     global_buffer
      - .offset:         72
        .size:           4
        .value_kind:     by_value
      - .offset:         76
        .size:           4
        .value_kind:     by_value
      - .offset:         80
        .size:           4
        .value_kind:     by_value
      - .actual_access:  read_only
        .address_space:  global
        .offset:         88
        .size:           8
        .value_kind:     global_buffer
      - .actual_access:  read_only
        .address_space:  global
        .offset:         96
        .size:           8
        .value_kind:     global_buffer
      - .actual_access:  read_only
        .address_space:  global
        .offset:         104
        .size:           8
        .value_kind:     global_buffer
      - .actual_access:  read_only
        .address_space:  global
        .offset:         112
        .size:           8
        .value_kind:     global_buffer
      - .offset:         120
        .size:           4
        .value_kind:     by_value
      - .address_space:  global
        .offset:         128
        .size:           8
        .value_kind:     global_buffer
      - .address_space:  global
        .offset:         136
        .size:           8
        .value_kind:     global_buffer
      - .offset:         144
        .size:           4
        .value_kind:     hidden_block_count_x
      - .offset:         148
        .size:           4
        .value_kind:     hidden_block_count_y
      - .offset:         152
        .size:           4
        .value_kind:     hidden_block_count_z
      - .offset:         156
        .size:           2
        .value_kind:     hidden_group_size_x
      - .offset:         158
        .size:           2
        .value_kind:     hidden_group_size_y
      - .offset:         160
        .size:           2
        .value_kind:     hidden_group_size_z
      - .offset:         162
        .size:           2
        .value_kind:     hidden_remainder_x
      - .offset:         164
        .size:           2
        .value_kind:     hidden_remainder_y
      - .offset:         166
        .size:           2
        .value_kind:     hidden_remainder_z
      - .offset:         184
        .size:           8
        .value_kind:     hidden_global_offset_x
      - .offset:         192
        .size:           8
        .value_kind:     hidden_global_offset_y
      - .offset:         200
        .size:           8
        .value_kind:     hidden_global_offset_z
      - .offset:         208
        .size:           2
        .value_kind:     hidden_grid_dims
      - .offset:         224
        .size:           8
        .value_kind:     hidden_hostcall_buffer
    .group_segment_fixed_size: 8192
    .kernarg_segment_align: 8
    .kernarg_segment_size: 400
    .language:       OpenCL C
    .language_version:
      - 2
      - 0
    .max_flat_workgroup_size: 256
    .name:           _Z39paged_attention_ll4mi_QKV_mfma16_kernelI14__hip_bfloat16hLN4vllm18Fp8KVCacheDataTypeE1ES0_Li16ELi128ELi256ELb1ELi3EL8MFMAType1EEvPKT_PKT0_S9_ifPKiSB_SB_iPKfiiiPfSE_PS4_PT2_iSD_SD_
    .private_segment_fixed_size: 64
    .sgpr_count:     40
    .sgpr_spill_count: 0
    .symbol:         _Z39paged_attention_ll4mi_QKV_mfma16_kernelI14__hip_bfloat16hLN4vllm18Fp8KVCacheDataTypeE1ES0_Li16ELi128ELi256ELb1ELi3EL8MFMAType1EEvPKT_PKT0_S9_ifPKiSB_SB_iPKfiiiPfSE_PS4_PT2_iSD_SD_.kd
    .uniform_work_group_size: 1
    .uses_dynamic_stack: false
    .vgpr_count:     45
    .vgpr_spill_count: 0
    .wavefront_size: 64
  - .agpr_count:     1
    .args:
      - .actual_access:  read_only
        .address_space:  global
        .offset:         0
        .size:           8
        .value_kind:     global_buffer
      - .actual_access:  read_only
        .address_space:  global
        .offset:         8
        .size:           8
        .value_kind:     global_buffer
      - .actual_access:  read_only
        .address_space:  global
        .offset:         16
        .size:           8
        .value_kind:     global_buffer
      - .offset:         24
        .size:           4
        .value_kind:     by_value
      - .offset:         28
        .size:           4
        .value_kind:     by_value
      - .actual_access:  read_only
        .address_space:  global
        .offset:         32
        .size:           8
        .value_kind:     global_buffer
      - .actual_access:  read_only
        .address_space:  global
        .offset:         40
        .size:           8
        .value_kind:     global_buffer
      - .actual_access:  read_only
        .address_space:  global
        .offset:         48
        .size:           8
        .value_kind:     global_buffer
      - .offset:         56
        .size:           4
        .value_kind:     by_value
      - .actual_access:  read_only
        .address_space:  global
        .offset:         64
        .size:           8
        .value_kind:     global_buffer
      - .offset:         72
        .size:           4
        .value_kind:     by_value
      - .offset:         76
        .size:           4
        .value_kind:     by_value
      - .offset:         80
        .size:           4
        .value_kind:     by_value
      - .actual_access:  read_only
        .address_space:  global
        .offset:         88
        .size:           8
        .value_kind:     global_buffer
      - .actual_access:  read_only
        .address_space:  global
        .offset:         96
        .size:           8
        .value_kind:     global_buffer
      - .actual_access:  read_only
        .address_space:  global
        .offset:         104
        .size:           8
        .value_kind:     global_buffer
      - .actual_access:  read_only
        .address_space:  global
        .offset:         112
        .size:           8
        .value_kind:     global_buffer
      - .offset:         120
        .size:           4
        .value_kind:     by_value
      - .address_space:  global
        .offset:         128
        .size:           8
        .value_kind:     global_buffer
      - .address_space:  global
        .offset:         136
        .size:           8
        .value_kind:     global_buffer
      - .offset:         144
        .size:           4
        .value_kind:     hidden_block_count_x
      - .offset:         148
        .size:           4
        .value_kind:     hidden_block_count_y
      - .offset:         152
        .size:           4
        .value_kind:     hidden_block_count_z
      - .offset:         156
        .size:           2
        .value_kind:     hidden_group_size_x
      - .offset:         158
        .size:           2
        .value_kind:     hidden_group_size_y
      - .offset:         160
        .size:           2
        .value_kind:     hidden_group_size_z
      - .offset:         162
        .size:           2
        .value_kind:     hidden_remainder_x
      - .offset:         164
        .size:           2
        .value_kind:     hidden_remainder_y
      - .offset:         166
        .size:           2
        .value_kind:     hidden_remainder_z
      - .offset:         184
        .size:           8
        .value_kind:     hidden_global_offset_x
      - .offset:         192
        .size:           8
        .value_kind:     hidden_global_offset_y
      - .offset:         200
        .size:           8
        .value_kind:     hidden_global_offset_z
      - .offset:         208
        .size:           2
        .value_kind:     hidden_grid_dims
      - .offset:         224
        .size:           8
        .value_kind:     hidden_hostcall_buffer
    .group_segment_fixed_size: 8192
    .kernarg_segment_align: 8
    .kernarg_segment_size: 400
    .language:       OpenCL C
    .language_version:
      - 2
      - 0
    .max_flat_workgroup_size: 256
    .name:           _Z39paged_attention_ll4mi_QKV_mfma16_kernelI14__hip_bfloat16hLN4vllm18Fp8KVCacheDataTypeE1ES0_Li16ELi128ELi256ELb1ELi4EL8MFMAType1EEvPKT_PKT0_S9_ifPKiSB_SB_iPKfiiiPfSE_PS4_PT2_iSD_SD_
    .private_segment_fixed_size: 64
    .sgpr_count:     40
    .sgpr_spill_count: 0
    .symbol:         _Z39paged_attention_ll4mi_QKV_mfma16_kernelI14__hip_bfloat16hLN4vllm18Fp8KVCacheDataTypeE1ES0_Li16ELi128ELi256ELb1ELi4EL8MFMAType1EEvPKT_PKT0_S9_ifPKiSB_SB_iPKfiiiPfSE_PS4_PT2_iSD_SD_.kd
    .uniform_work_group_size: 1
    .uses_dynamic_stack: false
    .vgpr_count:     45
    .vgpr_spill_count: 0
    .wavefront_size: 64
  - .agpr_count:     4
    .args:
      - .actual_access:  read_only
        .address_space:  global
        .offset:         0
        .size:           8
        .value_kind:     global_buffer
      - .actual_access:  read_only
        .address_space:  global
        .offset:         8
        .size:           8
        .value_kind:     global_buffer
      - .actual_access:  read_only
        .address_space:  global
        .offset:         16
        .size:           8
        .value_kind:     global_buffer
      - .offset:         24
        .size:           4
        .value_kind:     by_value
      - .offset:         28
        .size:           4
        .value_kind:     by_value
      - .actual_access:  read_only
        .address_space:  global
        .offset:         32
        .size:           8
        .value_kind:     global_buffer
      - .actual_access:  read_only
        .address_space:  global
        .offset:         40
        .size:           8
        .value_kind:     global_buffer
      - .actual_access:  read_only
        .address_space:  global
        .offset:         48
        .size:           8
        .value_kind:     global_buffer
      - .offset:         56
        .size:           4
        .value_kind:     by_value
      - .actual_access:  read_only
        .address_space:  global
        .offset:         64
        .size:           8
        .value_kind:     global_buffer
      - .offset:         72
        .size:           4
        .value_kind:     by_value
      - .offset:         76
        .size:           4
        .value_kind:     by_value
      - .offset:         80
        .size:           4
        .value_kind:     by_value
      - .actual_access:  write_only
        .address_space:  global
        .offset:         88
        .size:           8
        .value_kind:     global_buffer
      - .actual_access:  write_only
        .address_space:  global
        .offset:         96
        .size:           8
        .value_kind:     global_buffer
      - .actual_access:  write_only
        .address_space:  global
        .offset:         104
        .size:           8
        .value_kind:     global_buffer
      - .actual_access:  read_only
        .address_space:  global
        .offset:         112
        .size:           8
        .value_kind:     global_buffer
      - .offset:         120
        .size:           4
        .value_kind:     by_value
      - .address_space:  global
        .offset:         128
        .size:           8
        .value_kind:     global_buffer
      - .address_space:  global
        .offset:         136
        .size:           8
        .value_kind:     global_buffer
      - .offset:         144
        .size:           4
        .value_kind:     hidden_block_count_x
      - .offset:         148
        .size:           4
        .value_kind:     hidden_block_count_y
      - .offset:         152
        .size:           4
        .value_kind:     hidden_block_count_z
      - .offset:         156
        .size:           2
        .value_kind:     hidden_group_size_x
      - .offset:         158
        .size:           2
        .value_kind:     hidden_group_size_y
      - .offset:         160
        .size:           2
        .value_kind:     hidden_group_size_z
      - .offset:         162
        .size:           2
        .value_kind:     hidden_remainder_x
      - .offset:         164
        .size:           2
        .value_kind:     hidden_remainder_y
      - .offset:         166
        .size:           2
        .value_kind:     hidden_remainder_z
      - .offset:         184
        .size:           8
        .value_kind:     hidden_global_offset_x
      - .offset:         192
        .size:           8
        .value_kind:     hidden_global_offset_y
      - .offset:         200
        .size:           8
        .value_kind:     hidden_global_offset_z
      - .offset:         208
        .size:           2
        .value_kind:     hidden_grid_dims
    .group_segment_fixed_size: 5280
    .kernarg_segment_align: 8
    .kernarg_segment_size: 400
    .language:       OpenCL C
    .language_version:
      - 2
      - 0
    .max_flat_workgroup_size: 256
    .name:           _Z38paged_attention_ll4mi_QKV_mfma4_kernelI14__hip_bfloat16hLN4vllm18Fp8KVCacheDataTypeE1ES0_Li16ELi128ELi256ELb0ELi1EEvPKT_PKT0_S8_ifPKiSA_SA_iPKfiiiPfSD_PS3_PT2_iSC_SC_
    .private_segment_fixed_size: 144
    .sgpr_count:     50
    .sgpr_spill_count: 0
    .symbol:         _Z38paged_attention_ll4mi_QKV_mfma4_kernelI14__hip_bfloat16hLN4vllm18Fp8KVCacheDataTypeE1ES0_Li16ELi128ELi256ELb0ELi1EEvPKT_PKT0_S8_ifPKiSA_SA_iPKfiiiPfSD_PS3_PT2_iSC_SC_.kd
    .uniform_work_group_size: 1
    .uses_dynamic_stack: false
    .vgpr_count:     72
    .vgpr_spill_count: 0
    .wavefront_size: 64
  - .agpr_count:     4
    .args:
      - .actual_access:  read_only
        .address_space:  global
        .offset:         0
        .size:           8
        .value_kind:     global_buffer
      - .actual_access:  read_only
        .address_space:  global
        .offset:         8
        .size:           8
        .value_kind:     global_buffer
      - .actual_access:  read_only
        .address_space:  global
        .offset:         16
        .size:           8
        .value_kind:     global_buffer
      - .offset:         24
        .size:           4
        .value_kind:     by_value
      - .offset:         28
        .size:           4
        .value_kind:     by_value
      - .actual_access:  read_only
        .address_space:  global
        .offset:         32
        .size:           8
        .value_kind:     global_buffer
      - .actual_access:  read_only
        .address_space:  global
        .offset:         40
        .size:           8
        .value_kind:     global_buffer
      - .actual_access:  read_only
        .address_space:  global
        .offset:         48
        .size:           8
        .value_kind:     global_buffer
      - .offset:         56
        .size:           4
        .value_kind:     by_value
      - .actual_access:  read_only
        .address_space:  global
        .offset:         64
        .size:           8
        .value_kind:     global_buffer
      - .offset:         72
        .size:           4
        .value_kind:     by_value
      - .offset:         76
        .size:           4
        .value_kind:     by_value
      - .offset:         80
        .size:           4
        .value_kind:     by_value
      - .actual_access:  write_only
        .address_space:  global
        .offset:         88
        .size:           8
        .value_kind:     global_buffer
      - .actual_access:  write_only
        .address_space:  global
        .offset:         96
        .size:           8
        .value_kind:     global_buffer
      - .actual_access:  write_only
        .address_space:  global
        .offset:         104
        .size:           8
        .value_kind:     global_buffer
      - .actual_access:  read_only
        .address_space:  global
        .offset:         112
        .size:           8
        .value_kind:     global_buffer
      - .offset:         120
        .size:           4
        .value_kind:     by_value
      - .address_space:  global
        .offset:         128
        .size:           8
        .value_kind:     global_buffer
      - .address_space:  global
        .offset:         136
        .size:           8
        .value_kind:     global_buffer
      - .offset:         144
        .size:           4
        .value_kind:     hidden_block_count_x
      - .offset:         148
        .size:           4
        .value_kind:     hidden_block_count_y
      - .offset:         152
        .size:           4
        .value_kind:     hidden_block_count_z
      - .offset:         156
        .size:           2
        .value_kind:     hidden_group_size_x
      - .offset:         158
        .size:           2
        .value_kind:     hidden_group_size_y
      - .offset:         160
        .size:           2
        .value_kind:     hidden_group_size_z
      - .offset:         162
        .size:           2
        .value_kind:     hidden_remainder_x
      - .offset:         164
        .size:           2
        .value_kind:     hidden_remainder_y
      - .offset:         166
        .size:           2
        .value_kind:     hidden_remainder_z
      - .offset:         184
        .size:           8
        .value_kind:     hidden_global_offset_x
      - .offset:         192
        .size:           8
        .value_kind:     hidden_global_offset_y
      - .offset:         200
        .size:           8
        .value_kind:     hidden_global_offset_z
      - .offset:         208
        .size:           2
        .value_kind:     hidden_grid_dims
    .group_segment_fixed_size: 5280
    .kernarg_segment_align: 8
    .kernarg_segment_size: 400
    .language:       OpenCL C
    .language_version:
      - 2
      - 0
    .max_flat_workgroup_size: 256
    .name:           _Z38paged_attention_ll4mi_QKV_mfma4_kernelI14__hip_bfloat16hLN4vllm18Fp8KVCacheDataTypeE1ES0_Li16ELi128ELi256ELb0ELi2EEvPKT_PKT0_S8_ifPKiSA_SA_iPKfiiiPfSD_PS3_PT2_iSC_SC_
    .private_segment_fixed_size: 144
    .sgpr_count:     50
    .sgpr_spill_count: 0
    .symbol:         _Z38paged_attention_ll4mi_QKV_mfma4_kernelI14__hip_bfloat16hLN4vllm18Fp8KVCacheDataTypeE1ES0_Li16ELi128ELi256ELb0ELi2EEvPKT_PKT0_S8_ifPKiSA_SA_iPKfiiiPfSD_PS3_PT2_iSC_SC_.kd
    .uniform_work_group_size: 1
    .uses_dynamic_stack: false
    .vgpr_count:     72
    .vgpr_spill_count: 0
    .wavefront_size: 64
  - .agpr_count:     4
    .args:
      - .actual_access:  read_only
        .address_space:  global
        .offset:         0
        .size:           8
        .value_kind:     global_buffer
      - .actual_access:  read_only
        .address_space:  global
        .offset:         8
        .size:           8
        .value_kind:     global_buffer
      - .actual_access:  read_only
        .address_space:  global
        .offset:         16
        .size:           8
        .value_kind:     global_buffer
      - .offset:         24
        .size:           4
        .value_kind:     by_value
      - .offset:         28
        .size:           4
        .value_kind:     by_value
      - .actual_access:  read_only
        .address_space:  global
        .offset:         32
        .size:           8
        .value_kind:     global_buffer
      - .actual_access:  read_only
        .address_space:  global
        .offset:         40
        .size:           8
        .value_kind:     global_buffer
      - .actual_access:  read_only
        .address_space:  global
        .offset:         48
        .size:           8
        .value_kind:     global_buffer
      - .offset:         56
        .size:           4
        .value_kind:     by_value
      - .actual_access:  read_only
        .address_space:  global
        .offset:         64
        .size:           8
        .value_kind:     global_buffer
      - .offset:         72
        .size:           4
        .value_kind:     by_value
      - .offset:         76
        .size:           4
        .value_kind:     by_value
      - .offset:         80
        .size:           4
        .value_kind:     by_value
      - .actual_access:  write_only
        .address_space:  global
        .offset:         88
        .size:           8
        .value_kind:     global_buffer
      - .actual_access:  write_only
        .address_space:  global
        .offset:         96
        .size:           8
        .value_kind:     global_buffer
      - .actual_access:  write_only
        .address_space:  global
        .offset:         104
        .size:           8
        .value_kind:     global_buffer
      - .actual_access:  read_only
        .address_space:  global
        .offset:         112
        .size:           8
        .value_kind:     global_buffer
      - .offset:         120
        .size:           4
        .value_kind:     by_value
      - .address_space:  global
        .offset:         128
        .size:           8
        .value_kind:     global_buffer
      - .address_space:  global
        .offset:         136
        .size:           8
        .value_kind:     global_buffer
      - .offset:         144
        .size:           4
        .value_kind:     hidden_block_count_x
      - .offset:         148
        .size:           4
        .value_kind:     hidden_block_count_y
      - .offset:         152
        .size:           4
        .value_kind:     hidden_block_count_z
      - .offset:         156
        .size:           2
        .value_kind:     hidden_group_size_x
      - .offset:         158
        .size:           2
        .value_kind:     hidden_group_size_y
      - .offset:         160
        .size:           2
        .value_kind:     hidden_group_size_z
      - .offset:         162
        .size:           2
        .value_kind:     hidden_remainder_x
      - .offset:         164
        .size:           2
        .value_kind:     hidden_remainder_y
      - .offset:         166
        .size:           2
        .value_kind:     hidden_remainder_z
      - .offset:         184
        .size:           8
        .value_kind:     hidden_global_offset_x
      - .offset:         192
        .size:           8
        .value_kind:     hidden_global_offset_y
      - .offset:         200
        .size:           8
        .value_kind:     hidden_global_offset_z
      - .offset:         208
        .size:           2
        .value_kind:     hidden_grid_dims
    .group_segment_fixed_size: 5280
    .kernarg_segment_align: 8
    .kernarg_segment_size: 400
    .language:       OpenCL C
    .language_version:
      - 2
      - 0
    .max_flat_workgroup_size: 256
    .name:           _Z38paged_attention_ll4mi_QKV_mfma4_kernelI14__hip_bfloat16hLN4vllm18Fp8KVCacheDataTypeE1ES0_Li16ELi128ELi256ELb0ELi3EEvPKT_PKT0_S8_ifPKiSA_SA_iPKfiiiPfSD_PS3_PT2_iSC_SC_
    .private_segment_fixed_size: 144
    .sgpr_count:     50
    .sgpr_spill_count: 0
    .symbol:         _Z38paged_attention_ll4mi_QKV_mfma4_kernelI14__hip_bfloat16hLN4vllm18Fp8KVCacheDataTypeE1ES0_Li16ELi128ELi256ELb0ELi3EEvPKT_PKT0_S8_ifPKiSA_SA_iPKfiiiPfSD_PS3_PT2_iSC_SC_.kd
    .uniform_work_group_size: 1
    .uses_dynamic_stack: false
    .vgpr_count:     72
    .vgpr_spill_count: 0
    .wavefront_size: 64
  - .agpr_count:     4
    .args:
      - .actual_access:  read_only
        .address_space:  global
        .offset:         0
        .size:           8
        .value_kind:     global_buffer
      - .actual_access:  read_only
        .address_space:  global
        .offset:         8
        .size:           8
        .value_kind:     global_buffer
      - .actual_access:  read_only
        .address_space:  global
        .offset:         16
        .size:           8
        .value_kind:     global_buffer
      - .offset:         24
        .size:           4
        .value_kind:     by_value
      - .offset:         28
        .size:           4
        .value_kind:     by_value
      - .actual_access:  read_only
        .address_space:  global
        .offset:         32
        .size:           8
        .value_kind:     global_buffer
      - .actual_access:  read_only
        .address_space:  global
        .offset:         40
        .size:           8
        .value_kind:     global_buffer
      - .actual_access:  read_only
        .address_space:  global
        .offset:         48
        .size:           8
        .value_kind:     global_buffer
      - .offset:         56
        .size:           4
        .value_kind:     by_value
      - .actual_access:  read_only
        .address_space:  global
        .offset:         64
        .size:           8
        .value_kind:     global_buffer
      - .offset:         72
        .size:           4
        .value_kind:     by_value
      - .offset:         76
        .size:           4
        .value_kind:     by_value
      - .offset:         80
        .size:           4
        .value_kind:     by_value
      - .actual_access:  write_only
        .address_space:  global
        .offset:         88
        .size:           8
        .value_kind:     global_buffer
      - .actual_access:  write_only
        .address_space:  global
        .offset:         96
        .size:           8
        .value_kind:     global_buffer
      - .actual_access:  write_only
        .address_space:  global
        .offset:         104
        .size:           8
        .value_kind:     global_buffer
      - .actual_access:  read_only
        .address_space:  global
        .offset:         112
        .size:           8
        .value_kind:     global_buffer
      - .offset:         120
        .size:           4
        .value_kind:     by_value
      - .address_space:  global
        .offset:         128
        .size:           8
        .value_kind:     global_buffer
      - .address_space:  global
        .offset:         136
        .size:           8
        .value_kind:     global_buffer
      - .offset:         144
        .size:           4
        .value_kind:     hidden_block_count_x
      - .offset:         148
        .size:           4
        .value_kind:     hidden_block_count_y
      - .offset:         152
        .size:           4
        .value_kind:     hidden_block_count_z
      - .offset:         156
        .size:           2
        .value_kind:     hidden_group_size_x
      - .offset:         158
        .size:           2
        .value_kind:     hidden_group_size_y
      - .offset:         160
        .size:           2
        .value_kind:     hidden_group_size_z
      - .offset:         162
        .size:           2
        .value_kind:     hidden_remainder_x
      - .offset:         164
        .size:           2
        .value_kind:     hidden_remainder_y
      - .offset:         166
        .size:           2
        .value_kind:     hidden_remainder_z
      - .offset:         184
        .size:           8
        .value_kind:     hidden_global_offset_x
      - .offset:         192
        .size:           8
        .value_kind:     hidden_global_offset_y
      - .offset:         200
        .size:           8
        .value_kind:     hidden_global_offset_z
      - .offset:         208
        .size:           2
        .value_kind:     hidden_grid_dims
    .group_segment_fixed_size: 5280
    .kernarg_segment_align: 8
    .kernarg_segment_size: 400
    .language:       OpenCL C
    .language_version:
      - 2
      - 0
    .max_flat_workgroup_size: 256
    .name:           _Z38paged_attention_ll4mi_QKV_mfma4_kernelI14__hip_bfloat16hLN4vllm18Fp8KVCacheDataTypeE1ES0_Li16ELi128ELi256ELb0ELi4EEvPKT_PKT0_S8_ifPKiSA_SA_iPKfiiiPfSD_PS3_PT2_iSC_SC_
    .private_segment_fixed_size: 144
    .sgpr_count:     50
    .sgpr_spill_count: 0
    .symbol:         _Z38paged_attention_ll4mi_QKV_mfma4_kernelI14__hip_bfloat16hLN4vllm18Fp8KVCacheDataTypeE1ES0_Li16ELi128ELi256ELb0ELi4EEvPKT_PKT0_S8_ifPKiSA_SA_iPKfiiiPfSD_PS3_PT2_iSC_SC_.kd
    .uniform_work_group_size: 1
    .uses_dynamic_stack: false
    .vgpr_count:     72
    .vgpr_spill_count: 0
    .wavefront_size: 64
  - .agpr_count:     1
    .args:
      - .actual_access:  read_only
        .address_space:  global
        .offset:         0
        .size:           8
        .value_kind:     global_buffer
      - .actual_access:  read_only
        .address_space:  global
        .offset:         8
        .size:           8
        .value_kind:     global_buffer
      - .actual_access:  read_only
        .address_space:  global
        .offset:         16
        .size:           8
        .value_kind:     global_buffer
      - .offset:         24
        .size:           4
        .value_kind:     by_value
      - .offset:         28
        .size:           4
        .value_kind:     by_value
      - .actual_access:  read_only
        .address_space:  global
        .offset:         32
        .size:           8
        .value_kind:     global_buffer
      - .actual_access:  read_only
        .address_space:  global
        .offset:         40
        .size:           8
        .value_kind:     global_buffer
      - .actual_access:  read_only
        .address_space:  global
        .offset:         48
        .size:           8
        .value_kind:     global_buffer
      - .offset:         56
        .size:           4
        .value_kind:     by_value
      - .actual_access:  read_only
        .address_space:  global
        .offset:         64
        .size:           8
        .value_kind:     global_buffer
      - .offset:         72
        .size:           4
        .value_kind:     by_value
      - .offset:         76
        .size:           4
        .value_kind:     by_value
      - .offset:         80
        .size:           4
        .value_kind:     by_value
      - .actual_access:  read_only
        .address_space:  global
        .offset:         88
        .size:           8
        .value_kind:     global_buffer
      - .actual_access:  read_only
        .address_space:  global
        .offset:         96
        .size:           8
        .value_kind:     global_buffer
      - .actual_access:  read_only
        .address_space:  global
        .offset:         104
        .size:           8
        .value_kind:     global_buffer
      - .actual_access:  read_only
        .address_space:  global
        .offset:         112
        .size:           8
        .value_kind:     global_buffer
      - .offset:         120
        .size:           4
        .value_kind:     by_value
      - .address_space:  global
        .offset:         128
        .size:           8
        .value_kind:     global_buffer
      - .address_space:  global
        .offset:         136
        .size:           8
        .value_kind:     global_buffer
      - .offset:         144
        .size:           4
        .value_kind:     hidden_block_count_x
      - .offset:         148
        .size:           4
        .value_kind:     hidden_block_count_y
      - .offset:         152
        .size:           4
        .value_kind:     hidden_block_count_z
      - .offset:         156
        .size:           2
        .value_kind:     hidden_group_size_x
      - .offset:         158
        .size:           2
        .value_kind:     hidden_group_size_y
      - .offset:         160
        .size:           2
        .value_kind:     hidden_group_size_z
      - .offset:         162
        .size:           2
        .value_kind:     hidden_remainder_x
      - .offset:         164
        .size:           2
        .value_kind:     hidden_remainder_y
      - .offset:         166
        .size:           2
        .value_kind:     hidden_remainder_z
      - .offset:         184
        .size:           8
        .value_kind:     hidden_global_offset_x
      - .offset:         192
        .size:           8
        .value_kind:     hidden_global_offset_y
      - .offset:         200
        .size:           8
        .value_kind:     hidden_global_offset_z
      - .offset:         208
        .size:           2
        .value_kind:     hidden_grid_dims
      - .offset:         224
        .size:           8
        .value_kind:     hidden_hostcall_buffer
    .group_segment_fixed_size: 8192
    .kernarg_segment_align: 8
    .kernarg_segment_size: 400
    .language:       OpenCL C
    .language_version:
      - 2
      - 0
    .max_flat_workgroup_size: 256
    .name:           _Z39paged_attention_ll4mi_QKV_mfma16_kernelI14__hip_bfloat16hLN4vllm18Fp8KVCacheDataTypeE1ES0_Li16ELi128ELi256ELb0ELi5EL8MFMAType1EEvPKT_PKT0_S9_ifPKiSB_SB_iPKfiiiPfSE_PS4_PT2_iSD_SD_
    .private_segment_fixed_size: 64
    .sgpr_count:     40
    .sgpr_spill_count: 0
    .symbol:         _Z39paged_attention_ll4mi_QKV_mfma16_kernelI14__hip_bfloat16hLN4vllm18Fp8KVCacheDataTypeE1ES0_Li16ELi128ELi256ELb0ELi5EL8MFMAType1EEvPKT_PKT0_S9_ifPKiSB_SB_iPKfiiiPfSE_PS4_PT2_iSD_SD_.kd
    .uniform_work_group_size: 1
    .uses_dynamic_stack: false
    .vgpr_count:     45
    .vgpr_spill_count: 0
    .wavefront_size: 64
  - .agpr_count:     1
    .args:
      - .actual_access:  read_only
        .address_space:  global
        .offset:         0
        .size:           8
        .value_kind:     global_buffer
      - .actual_access:  read_only
        .address_space:  global
        .offset:         8
        .size:           8
        .value_kind:     global_buffer
      - .actual_access:  read_only
        .address_space:  global
        .offset:         16
        .size:           8
        .value_kind:     global_buffer
      - .offset:         24
        .size:           4
        .value_kind:     by_value
      - .offset:         28
        .size:           4
        .value_kind:     by_value
      - .actual_access:  read_only
        .address_space:  global
        .offset:         32
        .size:           8
        .value_kind:     global_buffer
      - .actual_access:  read_only
        .address_space:  global
        .offset:         40
        .size:           8
        .value_kind:     global_buffer
      - .actual_access:  read_only
        .address_space:  global
        .offset:         48
        .size:           8
        .value_kind:     global_buffer
      - .offset:         56
        .size:           4
        .value_kind:     by_value
      - .actual_access:  read_only
        .address_space:  global
        .offset:         64
        .size:           8
        .value_kind:     global_buffer
      - .offset:         72
        .size:           4
        .value_kind:     by_value
      - .offset:         76
        .size:           4
        .value_kind:     by_value
      - .offset:         80
        .size:           4
        .value_kind:     by_value
      - .actual_access:  read_only
        .address_space:  global
        .offset:         88
        .size:           8
        .value_kind:     global_buffer
      - .actual_access:  read_only
        .address_space:  global
        .offset:         96
        .size:           8
        .value_kind:     global_buffer
      - .actual_access:  read_only
        .address_space:  global
        .offset:         104
        .size:           8
        .value_kind:     global_buffer
      - .actual_access:  read_only
        .address_space:  global
        .offset:         112
        .size:           8
        .value_kind:     global_buffer
      - .offset:         120
        .size:           4
        .value_kind:     by_value
      - .address_space:  global
        .offset:         128
        .size:           8
        .value_kind:     global_buffer
      - .address_space:  global
        .offset:         136
        .size:           8
        .value_kind:     global_buffer
      - .offset:         144
        .size:           4
        .value_kind:     hidden_block_count_x
      - .offset:         148
        .size:           4
        .value_kind:     hidden_block_count_y
      - .offset:         152
        .size:           4
        .value_kind:     hidden_block_count_z
      - .offset:         156
        .size:           2
        .value_kind:     hidden_group_size_x
      - .offset:         158
        .size:           2
        .value_kind:     hidden_group_size_y
      - .offset:         160
        .size:           2
        .value_kind:     hidden_group_size_z
      - .offset:         162
        .size:           2
        .value_kind:     hidden_remainder_x
      - .offset:         164
        .size:           2
        .value_kind:     hidden_remainder_y
      - .offset:         166
        .size:           2
        .value_kind:     hidden_remainder_z
      - .offset:         184
        .size:           8
        .value_kind:     hidden_global_offset_x
      - .offset:         192
        .size:           8
        .value_kind:     hidden_global_offset_y
      - .offset:         200
        .size:           8
        .value_kind:     hidden_global_offset_z
      - .offset:         208
        .size:           2
        .value_kind:     hidden_grid_dims
      - .offset:         224
        .size:           8
        .value_kind:     hidden_hostcall_buffer
    .group_segment_fixed_size: 8192
    .kernarg_segment_align: 8
    .kernarg_segment_size: 400
    .language:       OpenCL C
    .language_version:
      - 2
      - 0
    .max_flat_workgroup_size: 256
    .name:           _Z39paged_attention_ll4mi_QKV_mfma16_kernelI14__hip_bfloat16hLN4vllm18Fp8KVCacheDataTypeE1ES0_Li16ELi128ELi256ELb0ELi6EL8MFMAType1EEvPKT_PKT0_S9_ifPKiSB_SB_iPKfiiiPfSE_PS4_PT2_iSD_SD_
    .private_segment_fixed_size: 64
    .sgpr_count:     40
    .sgpr_spill_count: 0
    .symbol:         _Z39paged_attention_ll4mi_QKV_mfma16_kernelI14__hip_bfloat16hLN4vllm18Fp8KVCacheDataTypeE1ES0_Li16ELi128ELi256ELb0ELi6EL8MFMAType1EEvPKT_PKT0_S9_ifPKiSB_SB_iPKfiiiPfSE_PS4_PT2_iSD_SD_.kd
    .uniform_work_group_size: 1
    .uses_dynamic_stack: false
    .vgpr_count:     45
    .vgpr_spill_count: 0
    .wavefront_size: 64
  - .agpr_count:     1
    .args:
      - .actual_access:  read_only
        .address_space:  global
        .offset:         0
        .size:           8
        .value_kind:     global_buffer
      - .actual_access:  read_only
        .address_space:  global
        .offset:         8
        .size:           8
        .value_kind:     global_buffer
      - .actual_access:  read_only
        .address_space:  global
        .offset:         16
        .size:           8
        .value_kind:     global_buffer
      - .offset:         24
        .size:           4
        .value_kind:     by_value
      - .offset:         28
        .size:           4
        .value_kind:     by_value
      - .actual_access:  read_only
        .address_space:  global
        .offset:         32
        .size:           8
        .value_kind:     global_buffer
      - .actual_access:  read_only
        .address_space:  global
        .offset:         40
        .size:           8
        .value_kind:     global_buffer
      - .actual_access:  read_only
        .address_space:  global
        .offset:         48
        .size:           8
        .value_kind:     global_buffer
      - .offset:         56
        .size:           4
        .value_kind:     by_value
      - .actual_access:  read_only
        .address_space:  global
        .offset:         64
        .size:           8
        .value_kind:     global_buffer
      - .offset:         72
        .size:           4
        .value_kind:     by_value
      - .offset:         76
        .size:           4
        .value_kind:     by_value
      - .offset:         80
        .size:           4
        .value_kind:     by_value
      - .actual_access:  read_only
        .address_space:  global
        .offset:         88
        .size:           8
        .value_kind:     global_buffer
      - .actual_access:  read_only
        .address_space:  global
        .offset:         96
        .size:           8
        .value_kind:     global_buffer
      - .actual_access:  read_only
        .address_space:  global
        .offset:         104
        .size:           8
        .value_kind:     global_buffer
      - .actual_access:  read_only
        .address_space:  global
        .offset:         112
        .size:           8
        .value_kind:     global_buffer
      - .offset:         120
        .size:           4
        .value_kind:     by_value
      - .address_space:  global
        .offset:         128
        .size:           8
        .value_kind:     global_buffer
      - .address_space:  global
        .offset:         136
        .size:           8
        .value_kind:     global_buffer
      - .offset:         144
        .size:           4
        .value_kind:     hidden_block_count_x
      - .offset:         148
        .size:           4
        .value_kind:     hidden_block_count_y
      - .offset:         152
        .size:           4
        .value_kind:     hidden_block_count_z
      - .offset:         156
        .size:           2
        .value_kind:     hidden_group_size_x
      - .offset:         158
        .size:           2
        .value_kind:     hidden_group_size_y
      - .offset:         160
        .size:           2
        .value_kind:     hidden_group_size_z
      - .offset:         162
        .size:           2
        .value_kind:     hidden_remainder_x
      - .offset:         164
        .size:           2
        .value_kind:     hidden_remainder_y
      - .offset:         166
        .size:           2
        .value_kind:     hidden_remainder_z
      - .offset:         184
        .size:           8
        .value_kind:     hidden_global_offset_x
      - .offset:         192
        .size:           8
        .value_kind:     hidden_global_offset_y
      - .offset:         200
        .size:           8
        .value_kind:     hidden_global_offset_z
      - .offset:         208
        .size:           2
        .value_kind:     hidden_grid_dims
      - .offset:         224
        .size:           8
        .value_kind:     hidden_hostcall_buffer
    .group_segment_fixed_size: 8192
    .kernarg_segment_align: 8
    .kernarg_segment_size: 400
    .language:       OpenCL C
    .language_version:
      - 2
      - 0
    .max_flat_workgroup_size: 256
    .name:           _Z39paged_attention_ll4mi_QKV_mfma16_kernelI14__hip_bfloat16hLN4vllm18Fp8KVCacheDataTypeE1ES0_Li16ELi128ELi256ELb0ELi7EL8MFMAType1EEvPKT_PKT0_S9_ifPKiSB_SB_iPKfiiiPfSE_PS4_PT2_iSD_SD_
    .private_segment_fixed_size: 64
    .sgpr_count:     40
    .sgpr_spill_count: 0
    .symbol:         _Z39paged_attention_ll4mi_QKV_mfma16_kernelI14__hip_bfloat16hLN4vllm18Fp8KVCacheDataTypeE1ES0_Li16ELi128ELi256ELb0ELi7EL8MFMAType1EEvPKT_PKT0_S9_ifPKiSB_SB_iPKfiiiPfSE_PS4_PT2_iSD_SD_.kd
    .uniform_work_group_size: 1
    .uses_dynamic_stack: false
    .vgpr_count:     45
    .vgpr_spill_count: 0
    .wavefront_size: 64
  - .agpr_count:     1
    .args:
      - .actual_access:  read_only
        .address_space:  global
        .offset:         0
        .size:           8
        .value_kind:     global_buffer
      - .actual_access:  read_only
        .address_space:  global
        .offset:         8
        .size:           8
        .value_kind:     global_buffer
      - .actual_access:  read_only
        .address_space:  global
        .offset:         16
        .size:           8
        .value_kind:     global_buffer
      - .offset:         24
        .size:           4
        .value_kind:     by_value
      - .offset:         28
        .size:           4
        .value_kind:     by_value
      - .actual_access:  read_only
        .address_space:  global
        .offset:         32
        .size:           8
        .value_kind:     global_buffer
      - .actual_access:  read_only
        .address_space:  global
        .offset:         40
        .size:           8
        .value_kind:     global_buffer
      - .actual_access:  read_only
        .address_space:  global
        .offset:         48
        .size:           8
        .value_kind:     global_buffer
      - .offset:         56
        .size:           4
        .value_kind:     by_value
      - .actual_access:  read_only
        .address_space:  global
        .offset:         64
        .size:           8
        .value_kind:     global_buffer
      - .offset:         72
        .size:           4
        .value_kind:     by_value
      - .offset:         76
        .size:           4
        .value_kind:     by_value
      - .offset:         80
        .size:           4
        .value_kind:     by_value
      - .actual_access:  read_only
        .address_space:  global
        .offset:         88
        .size:           8
        .value_kind:     global_buffer
      - .actual_access:  read_only
        .address_space:  global
        .offset:         96
        .size:           8
        .value_kind:     global_buffer
      - .actual_access:  read_only
        .address_space:  global
        .offset:         104
        .size:           8
        .value_kind:     global_buffer
      - .actual_access:  read_only
        .address_space:  global
        .offset:         112
        .size:           8
        .value_kind:     global_buffer
      - .offset:         120
        .size:           4
        .value_kind:     by_value
      - .address_space:  global
        .offset:         128
        .size:           8
        .value_kind:     global_buffer
      - .address_space:  global
        .offset:         136
        .size:           8
        .value_kind:     global_buffer
      - .offset:         144
        .size:           4
        .value_kind:     hidden_block_count_x
      - .offset:         148
        .size:           4
        .value_kind:     hidden_block_count_y
      - .offset:         152
        .size:           4
        .value_kind:     hidden_block_count_z
      - .offset:         156
        .size:           2
        .value_kind:     hidden_group_size_x
      - .offset:         158
        .size:           2
        .value_kind:     hidden_group_size_y
      - .offset:         160
        .size:           2
        .value_kind:     hidden_group_size_z
      - .offset:         162
        .size:           2
        .value_kind:     hidden_remainder_x
      - .offset:         164
        .size:           2
        .value_kind:     hidden_remainder_y
      - .offset:         166
        .size:           2
        .value_kind:     hidden_remainder_z
      - .offset:         184
        .size:           8
        .value_kind:     hidden_global_offset_x
      - .offset:         192
        .size:           8
        .value_kind:     hidden_global_offset_y
      - .offset:         200
        .size:           8
        .value_kind:     hidden_global_offset_z
      - .offset:         208
        .size:           2
        .value_kind:     hidden_grid_dims
      - .offset:         224
        .size:           8
        .value_kind:     hidden_hostcall_buffer
    .group_segment_fixed_size: 8192
    .kernarg_segment_align: 8
    .kernarg_segment_size: 400
    .language:       OpenCL C
    .language_version:
      - 2
      - 0
    .max_flat_workgroup_size: 256
    .name:           _Z39paged_attention_ll4mi_QKV_mfma16_kernelI14__hip_bfloat16hLN4vllm18Fp8KVCacheDataTypeE1ES0_Li16ELi128ELi256ELb0ELi8EL8MFMAType1EEvPKT_PKT0_S9_ifPKiSB_SB_iPKfiiiPfSE_PS4_PT2_iSD_SD_
    .private_segment_fixed_size: 64
    .sgpr_count:     40
    .sgpr_spill_count: 0
    .symbol:         _Z39paged_attention_ll4mi_QKV_mfma16_kernelI14__hip_bfloat16hLN4vllm18Fp8KVCacheDataTypeE1ES0_Li16ELi128ELi256ELb0ELi8EL8MFMAType1EEvPKT_PKT0_S9_ifPKiSB_SB_iPKfiiiPfSE_PS4_PT2_iSD_SD_.kd
    .uniform_work_group_size: 1
    .uses_dynamic_stack: false
    .vgpr_count:     45
    .vgpr_spill_count: 0
    .wavefront_size: 64
  - .agpr_count:     1
    .args:
      - .actual_access:  read_only
        .address_space:  global
        .offset:         0
        .size:           8
        .value_kind:     global_buffer
      - .actual_access:  read_only
        .address_space:  global
        .offset:         8
        .size:           8
        .value_kind:     global_buffer
      - .actual_access:  read_only
        .address_space:  global
        .offset:         16
        .size:           8
        .value_kind:     global_buffer
      - .offset:         24
        .size:           4
        .value_kind:     by_value
      - .offset:         28
        .size:           4
        .value_kind:     by_value
      - .actual_access:  read_only
        .address_space:  global
        .offset:         32
        .size:           8
        .value_kind:     global_buffer
      - .actual_access:  read_only
        .address_space:  global
        .offset:         40
        .size:           8
        .value_kind:     global_buffer
      - .actual_access:  read_only
        .address_space:  global
        .offset:         48
        .size:           8
        .value_kind:     global_buffer
      - .offset:         56
        .size:           4
        .value_kind:     by_value
      - .actual_access:  read_only
        .address_space:  global
        .offset:         64
        .size:           8
        .value_kind:     global_buffer
      - .offset:         72
        .size:           4
        .value_kind:     by_value
      - .offset:         76
        .size:           4
        .value_kind:     by_value
      - .offset:         80
        .size:           4
        .value_kind:     by_value
      - .actual_access:  read_only
        .address_space:  global
        .offset:         88
        .size:           8
        .value_kind:     global_buffer
      - .actual_access:  read_only
        .address_space:  global
        .offset:         96
        .size:           8
        .value_kind:     global_buffer
      - .actual_access:  read_only
        .address_space:  global
        .offset:         104
        .size:           8
        .value_kind:     global_buffer
      - .actual_access:  read_only
        .address_space:  global
        .offset:         112
        .size:           8
        .value_kind:     global_buffer
      - .offset:         120
        .size:           4
        .value_kind:     by_value
      - .address_space:  global
        .offset:         128
        .size:           8
        .value_kind:     global_buffer
      - .address_space:  global
        .offset:         136
        .size:           8
        .value_kind:     global_buffer
      - .offset:         144
        .size:           4
        .value_kind:     hidden_block_count_x
      - .offset:         148
        .size:           4
        .value_kind:     hidden_block_count_y
      - .offset:         152
        .size:           4
        .value_kind:     hidden_block_count_z
      - .offset:         156
        .size:           2
        .value_kind:     hidden_group_size_x
      - .offset:         158
        .size:           2
        .value_kind:     hidden_group_size_y
      - .offset:         160
        .size:           2
        .value_kind:     hidden_group_size_z
      - .offset:         162
        .size:           2
        .value_kind:     hidden_remainder_x
      - .offset:         164
        .size:           2
        .value_kind:     hidden_remainder_y
      - .offset:         166
        .size:           2
        .value_kind:     hidden_remainder_z
      - .offset:         184
        .size:           8
        .value_kind:     hidden_global_offset_x
      - .offset:         192
        .size:           8
        .value_kind:     hidden_global_offset_y
      - .offset:         200
        .size:           8
        .value_kind:     hidden_global_offset_z
      - .offset:         208
        .size:           2
        .value_kind:     hidden_grid_dims
      - .offset:         224
        .size:           8
        .value_kind:     hidden_hostcall_buffer
    .group_segment_fixed_size: 8192
    .kernarg_segment_align: 8
    .kernarg_segment_size: 400
    .language:       OpenCL C
    .language_version:
      - 2
      - 0
    .max_flat_workgroup_size: 256
    .name:           _Z39paged_attention_ll4mi_QKV_mfma16_kernelI14__hip_bfloat16hLN4vllm18Fp8KVCacheDataTypeE1ES0_Li16ELi128ELi256ELb0ELi9EL8MFMAType1EEvPKT_PKT0_S9_ifPKiSB_SB_iPKfiiiPfSE_PS4_PT2_iSD_SD_
    .private_segment_fixed_size: 64
    .sgpr_count:     40
    .sgpr_spill_count: 0
    .symbol:         _Z39paged_attention_ll4mi_QKV_mfma16_kernelI14__hip_bfloat16hLN4vllm18Fp8KVCacheDataTypeE1ES0_Li16ELi128ELi256ELb0ELi9EL8MFMAType1EEvPKT_PKT0_S9_ifPKiSB_SB_iPKfiiiPfSE_PS4_PT2_iSD_SD_.kd
    .uniform_work_group_size: 1
    .uses_dynamic_stack: false
    .vgpr_count:     45
    .vgpr_spill_count: 0
    .wavefront_size: 64
  - .agpr_count:     1
    .args:
      - .actual_access:  read_only
        .address_space:  global
        .offset:         0
        .size:           8
        .value_kind:     global_buffer
      - .actual_access:  read_only
        .address_space:  global
        .offset:         8
        .size:           8
        .value_kind:     global_buffer
      - .actual_access:  read_only
        .address_space:  global
        .offset:         16
        .size:           8
        .value_kind:     global_buffer
      - .offset:         24
        .size:           4
        .value_kind:     by_value
      - .offset:         28
        .size:           4
        .value_kind:     by_value
      - .actual_access:  read_only
        .address_space:  global
        .offset:         32
        .size:           8
        .value_kind:     global_buffer
      - .actual_access:  read_only
        .address_space:  global
        .offset:         40
        .size:           8
        .value_kind:     global_buffer
      - .actual_access:  read_only
        .address_space:  global
        .offset:         48
        .size:           8
        .value_kind:     global_buffer
      - .offset:         56
        .size:           4
        .value_kind:     by_value
      - .actual_access:  read_only
        .address_space:  global
        .offset:         64
        .size:           8
        .value_kind:     global_buffer
      - .offset:         72
        .size:           4
        .value_kind:     by_value
      - .offset:         76
        .size:           4
        .value_kind:     by_value
      - .offset:         80
        .size:           4
        .value_kind:     by_value
      - .actual_access:  read_only
        .address_space:  global
        .offset:         88
        .size:           8
        .value_kind:     global_buffer
      - .actual_access:  read_only
        .address_space:  global
        .offset:         96
        .size:           8
        .value_kind:     global_buffer
      - .actual_access:  read_only
        .address_space:  global
        .offset:         104
        .size:           8
        .value_kind:     global_buffer
      - .actual_access:  read_only
        .address_space:  global
        .offset:         112
        .size:           8
        .value_kind:     global_buffer
      - .offset:         120
        .size:           4
        .value_kind:     by_value
      - .address_space:  global
        .offset:         128
        .size:           8
        .value_kind:     global_buffer
      - .address_space:  global
        .offset:         136
        .size:           8
        .value_kind:     global_buffer
      - .offset:         144
        .size:           4
        .value_kind:     hidden_block_count_x
      - .offset:         148
        .size:           4
        .value_kind:     hidden_block_count_y
      - .offset:         152
        .size:           4
        .value_kind:     hidden_block_count_z
      - .offset:         156
        .size:           2
        .value_kind:     hidden_group_size_x
      - .offset:         158
        .size:           2
        .value_kind:     hidden_group_size_y
      - .offset:         160
        .size:           2
        .value_kind:     hidden_group_size_z
      - .offset:         162
        .size:           2
        .value_kind:     hidden_remainder_x
      - .offset:         164
        .size:           2
        .value_kind:     hidden_remainder_y
      - .offset:         166
        .size:           2
        .value_kind:     hidden_remainder_z
      - .offset:         184
        .size:           8
        .value_kind:     hidden_global_offset_x
      - .offset:         192
        .size:           8
        .value_kind:     hidden_global_offset_y
      - .offset:         200
        .size:           8
        .value_kind:     hidden_global_offset_z
      - .offset:         208
        .size:           2
        .value_kind:     hidden_grid_dims
      - .offset:         224
        .size:           8
        .value_kind:     hidden_hostcall_buffer
    .group_segment_fixed_size: 8192
    .kernarg_segment_align: 8
    .kernarg_segment_size: 400
    .language:       OpenCL C
    .language_version:
      - 2
      - 0
    .max_flat_workgroup_size: 256
    .name:           _Z39paged_attention_ll4mi_QKV_mfma16_kernelI14__hip_bfloat16hLN4vllm18Fp8KVCacheDataTypeE1ES0_Li16ELi128ELi256ELb0ELi10EL8MFMAType1EEvPKT_PKT0_S9_ifPKiSB_SB_iPKfiiiPfSE_PS4_PT2_iSD_SD_
    .private_segment_fixed_size: 64
    .sgpr_count:     40
    .sgpr_spill_count: 0
    .symbol:         _Z39paged_attention_ll4mi_QKV_mfma16_kernelI14__hip_bfloat16hLN4vllm18Fp8KVCacheDataTypeE1ES0_Li16ELi128ELi256ELb0ELi10EL8MFMAType1EEvPKT_PKT0_S9_ifPKiSB_SB_iPKfiiiPfSE_PS4_PT2_iSD_SD_.kd
    .uniform_work_group_size: 1
    .uses_dynamic_stack: false
    .vgpr_count:     45
    .vgpr_spill_count: 0
    .wavefront_size: 64
  - .agpr_count:     1
    .args:
      - .actual_access:  read_only
        .address_space:  global
        .offset:         0
        .size:           8
        .value_kind:     global_buffer
      - .actual_access:  read_only
        .address_space:  global
        .offset:         8
        .size:           8
        .value_kind:     global_buffer
      - .actual_access:  read_only
        .address_space:  global
        .offset:         16
        .size:           8
        .value_kind:     global_buffer
      - .offset:         24
        .size:           4
        .value_kind:     by_value
      - .offset:         28
        .size:           4
        .value_kind:     by_value
      - .actual_access:  read_only
        .address_space:  global
        .offset:         32
        .size:           8
        .value_kind:     global_buffer
      - .actual_access:  read_only
        .address_space:  global
        .offset:         40
        .size:           8
        .value_kind:     global_buffer
      - .actual_access:  read_only
        .address_space:  global
        .offset:         48
        .size:           8
        .value_kind:     global_buffer
      - .offset:         56
        .size:           4
        .value_kind:     by_value
      - .actual_access:  read_only
        .address_space:  global
        .offset:         64
        .size:           8
        .value_kind:     global_buffer
      - .offset:         72
        .size:           4
        .value_kind:     by_value
      - .offset:         76
        .size:           4
        .value_kind:     by_value
      - .offset:         80
        .size:           4
        .value_kind:     by_value
      - .actual_access:  read_only
        .address_space:  global
        .offset:         88
        .size:           8
        .value_kind:     global_buffer
      - .actual_access:  read_only
        .address_space:  global
        .offset:         96
        .size:           8
        .value_kind:     global_buffer
      - .actual_access:  read_only
        .address_space:  global
        .offset:         104
        .size:           8
        .value_kind:     global_buffer
      - .actual_access:  read_only
        .address_space:  global
        .offset:         112
        .size:           8
        .value_kind:     global_buffer
      - .offset:         120
        .size:           4
        .value_kind:     by_value
      - .address_space:  global
        .offset:         128
        .size:           8
        .value_kind:     global_buffer
      - .address_space:  global
        .offset:         136
        .size:           8
        .value_kind:     global_buffer
      - .offset:         144
        .size:           4
        .value_kind:     hidden_block_count_x
      - .offset:         148
        .size:           4
        .value_kind:     hidden_block_count_y
      - .offset:         152
        .size:           4
        .value_kind:     hidden_block_count_z
      - .offset:         156
        .size:           2
        .value_kind:     hidden_group_size_x
      - .offset:         158
        .size:           2
        .value_kind:     hidden_group_size_y
      - .offset:         160
        .size:           2
        .value_kind:     hidden_group_size_z
      - .offset:         162
        .size:           2
        .value_kind:     hidden_remainder_x
      - .offset:         164
        .size:           2
        .value_kind:     hidden_remainder_y
      - .offset:         166
        .size:           2
        .value_kind:     hidden_remainder_z
      - .offset:         184
        .size:           8
        .value_kind:     hidden_global_offset_x
      - .offset:         192
        .size:           8
        .value_kind:     hidden_global_offset_y
      - .offset:         200
        .size:           8
        .value_kind:     hidden_global_offset_z
      - .offset:         208
        .size:           2
        .value_kind:     hidden_grid_dims
      - .offset:         224
        .size:           8
        .value_kind:     hidden_hostcall_buffer
    .group_segment_fixed_size: 8192
    .kernarg_segment_align: 8
    .kernarg_segment_size: 400
    .language:       OpenCL C
    .language_version:
      - 2
      - 0
    .max_flat_workgroup_size: 256
    .name:           _Z39paged_attention_ll4mi_QKV_mfma16_kernelI14__hip_bfloat16hLN4vllm18Fp8KVCacheDataTypeE1ES0_Li16ELi128ELi256ELb0ELi11EL8MFMAType1EEvPKT_PKT0_S9_ifPKiSB_SB_iPKfiiiPfSE_PS4_PT2_iSD_SD_
    .private_segment_fixed_size: 64
    .sgpr_count:     40
    .sgpr_spill_count: 0
    .symbol:         _Z39paged_attention_ll4mi_QKV_mfma16_kernelI14__hip_bfloat16hLN4vllm18Fp8KVCacheDataTypeE1ES0_Li16ELi128ELi256ELb0ELi11EL8MFMAType1EEvPKT_PKT0_S9_ifPKiSB_SB_iPKfiiiPfSE_PS4_PT2_iSD_SD_.kd
    .uniform_work_group_size: 1
    .uses_dynamic_stack: false
    .vgpr_count:     45
    .vgpr_spill_count: 0
    .wavefront_size: 64
  - .agpr_count:     1
    .args:
      - .actual_access:  read_only
        .address_space:  global
        .offset:         0
        .size:           8
        .value_kind:     global_buffer
      - .actual_access:  read_only
        .address_space:  global
        .offset:         8
        .size:           8
        .value_kind:     global_buffer
      - .actual_access:  read_only
        .address_space:  global
        .offset:         16
        .size:           8
        .value_kind:     global_buffer
      - .offset:         24
        .size:           4
        .value_kind:     by_value
      - .offset:         28
        .size:           4
        .value_kind:     by_value
      - .actual_access:  read_only
        .address_space:  global
        .offset:         32
        .size:           8
        .value_kind:     global_buffer
      - .actual_access:  read_only
        .address_space:  global
        .offset:         40
        .size:           8
        .value_kind:     global_buffer
      - .actual_access:  read_only
        .address_space:  global
        .offset:         48
        .size:           8
        .value_kind:     global_buffer
      - .offset:         56
        .size:           4
        .value_kind:     by_value
      - .actual_access:  read_only
        .address_space:  global
        .offset:         64
        .size:           8
        .value_kind:     global_buffer
      - .offset:         72
        .size:           4
        .value_kind:     by_value
      - .offset:         76
        .size:           4
        .value_kind:     by_value
      - .offset:         80
        .size:           4
        .value_kind:     by_value
      - .actual_access:  read_only
        .address_space:  global
        .offset:         88
        .size:           8
        .value_kind:     global_buffer
      - .actual_access:  read_only
        .address_space:  global
        .offset:         96
        .size:           8
        .value_kind:     global_buffer
      - .actual_access:  read_only
        .address_space:  global
        .offset:         104
        .size:           8
        .value_kind:     global_buffer
      - .actual_access:  read_only
        .address_space:  global
        .offset:         112
        .size:           8
        .value_kind:     global_buffer
      - .offset:         120
        .size:           4
        .value_kind:     by_value
      - .address_space:  global
        .offset:         128
        .size:           8
        .value_kind:     global_buffer
      - .address_space:  global
        .offset:         136
        .size:           8
        .value_kind:     global_buffer
      - .offset:         144
        .size:           4
        .value_kind:     hidden_block_count_x
      - .offset:         148
        .size:           4
        .value_kind:     hidden_block_count_y
      - .offset:         152
        .size:           4
        .value_kind:     hidden_block_count_z
      - .offset:         156
        .size:           2
        .value_kind:     hidden_group_size_x
      - .offset:         158
        .size:           2
        .value_kind:     hidden_group_size_y
      - .offset:         160
        .size:           2
        .value_kind:     hidden_group_size_z
      - .offset:         162
        .size:           2
        .value_kind:     hidden_remainder_x
      - .offset:         164
        .size:           2
        .value_kind:     hidden_remainder_y
      - .offset:         166
        .size:           2
        .value_kind:     hidden_remainder_z
      - .offset:         184
        .size:           8
        .value_kind:     hidden_global_offset_x
      - .offset:         192
        .size:           8
        .value_kind:     hidden_global_offset_y
      - .offset:         200
        .size:           8
        .value_kind:     hidden_global_offset_z
      - .offset:         208
        .size:           2
        .value_kind:     hidden_grid_dims
      - .offset:         224
        .size:           8
        .value_kind:     hidden_hostcall_buffer
    .group_segment_fixed_size: 8192
    .kernarg_segment_align: 8
    .kernarg_segment_size: 400
    .language:       OpenCL C
    .language_version:
      - 2
      - 0
    .max_flat_workgroup_size: 256
    .name:           _Z39paged_attention_ll4mi_QKV_mfma16_kernelI14__hip_bfloat16hLN4vllm18Fp8KVCacheDataTypeE1ES0_Li16ELi128ELi256ELb0ELi12EL8MFMAType1EEvPKT_PKT0_S9_ifPKiSB_SB_iPKfiiiPfSE_PS4_PT2_iSD_SD_
    .private_segment_fixed_size: 64
    .sgpr_count:     40
    .sgpr_spill_count: 0
    .symbol:         _Z39paged_attention_ll4mi_QKV_mfma16_kernelI14__hip_bfloat16hLN4vllm18Fp8KVCacheDataTypeE1ES0_Li16ELi128ELi256ELb0ELi12EL8MFMAType1EEvPKT_PKT0_S9_ifPKiSB_SB_iPKfiiiPfSE_PS4_PT2_iSD_SD_.kd
    .uniform_work_group_size: 1
    .uses_dynamic_stack: false
    .vgpr_count:     45
    .vgpr_spill_count: 0
    .wavefront_size: 64
  - .agpr_count:     1
    .args:
      - .actual_access:  read_only
        .address_space:  global
        .offset:         0
        .size:           8
        .value_kind:     global_buffer
      - .actual_access:  read_only
        .address_space:  global
        .offset:         8
        .size:           8
        .value_kind:     global_buffer
      - .actual_access:  read_only
        .address_space:  global
        .offset:         16
        .size:           8
        .value_kind:     global_buffer
      - .offset:         24
        .size:           4
        .value_kind:     by_value
      - .offset:         28
        .size:           4
        .value_kind:     by_value
      - .actual_access:  read_only
        .address_space:  global
        .offset:         32
        .size:           8
        .value_kind:     global_buffer
      - .actual_access:  read_only
        .address_space:  global
        .offset:         40
        .size:           8
        .value_kind:     global_buffer
      - .actual_access:  read_only
        .address_space:  global
        .offset:         48
        .size:           8
        .value_kind:     global_buffer
      - .offset:         56
        .size:           4
        .value_kind:     by_value
      - .actual_access:  read_only
        .address_space:  global
        .offset:         64
        .size:           8
        .value_kind:     global_buffer
      - .offset:         72
        .size:           4
        .value_kind:     by_value
      - .offset:         76
        .size:           4
        .value_kind:     by_value
      - .offset:         80
        .size:           4
        .value_kind:     by_value
      - .actual_access:  read_only
        .address_space:  global
        .offset:         88
        .size:           8
        .value_kind:     global_buffer
      - .actual_access:  read_only
        .address_space:  global
        .offset:         96
        .size:           8
        .value_kind:     global_buffer
      - .actual_access:  read_only
        .address_space:  global
        .offset:         104
        .size:           8
        .value_kind:     global_buffer
      - .actual_access:  read_only
        .address_space:  global
        .offset:         112
        .size:           8
        .value_kind:     global_buffer
      - .offset:         120
        .size:           4
        .value_kind:     by_value
      - .address_space:  global
        .offset:         128
        .size:           8
        .value_kind:     global_buffer
      - .address_space:  global
        .offset:         136
        .size:           8
        .value_kind:     global_buffer
      - .offset:         144
        .size:           4
        .value_kind:     hidden_block_count_x
      - .offset:         148
        .size:           4
        .value_kind:     hidden_block_count_y
      - .offset:         152
        .size:           4
        .value_kind:     hidden_block_count_z
      - .offset:         156
        .size:           2
        .value_kind:     hidden_group_size_x
      - .offset:         158
        .size:           2
        .value_kind:     hidden_group_size_y
      - .offset:         160
        .size:           2
        .value_kind:     hidden_group_size_z
      - .offset:         162
        .size:           2
        .value_kind:     hidden_remainder_x
      - .offset:         164
        .size:           2
        .value_kind:     hidden_remainder_y
      - .offset:         166
        .size:           2
        .value_kind:     hidden_remainder_z
      - .offset:         184
        .size:           8
        .value_kind:     hidden_global_offset_x
      - .offset:         192
        .size:           8
        .value_kind:     hidden_global_offset_y
      - .offset:         200
        .size:           8
        .value_kind:     hidden_global_offset_z
      - .offset:         208
        .size:           2
        .value_kind:     hidden_grid_dims
      - .offset:         224
        .size:           8
        .value_kind:     hidden_hostcall_buffer
    .group_segment_fixed_size: 8192
    .kernarg_segment_align: 8
    .kernarg_segment_size: 400
    .language:       OpenCL C
    .language_version:
      - 2
      - 0
    .max_flat_workgroup_size: 256
    .name:           _Z39paged_attention_ll4mi_QKV_mfma16_kernelI14__hip_bfloat16hLN4vllm18Fp8KVCacheDataTypeE1ES0_Li16ELi128ELi256ELb0ELi13EL8MFMAType1EEvPKT_PKT0_S9_ifPKiSB_SB_iPKfiiiPfSE_PS4_PT2_iSD_SD_
    .private_segment_fixed_size: 64
    .sgpr_count:     40
    .sgpr_spill_count: 0
    .symbol:         _Z39paged_attention_ll4mi_QKV_mfma16_kernelI14__hip_bfloat16hLN4vllm18Fp8KVCacheDataTypeE1ES0_Li16ELi128ELi256ELb0ELi13EL8MFMAType1EEvPKT_PKT0_S9_ifPKiSB_SB_iPKfiiiPfSE_PS4_PT2_iSD_SD_.kd
    .uniform_work_group_size: 1
    .uses_dynamic_stack: false
    .vgpr_count:     45
    .vgpr_spill_count: 0
    .wavefront_size: 64
  - .agpr_count:     1
    .args:
      - .actual_access:  read_only
        .address_space:  global
        .offset:         0
        .size:           8
        .value_kind:     global_buffer
      - .actual_access:  read_only
        .address_space:  global
        .offset:         8
        .size:           8
        .value_kind:     global_buffer
      - .actual_access:  read_only
        .address_space:  global
        .offset:         16
        .size:           8
        .value_kind:     global_buffer
      - .offset:         24
        .size:           4
        .value_kind:     by_value
      - .offset:         28
        .size:           4
        .value_kind:     by_value
      - .actual_access:  read_only
        .address_space:  global
        .offset:         32
        .size:           8
        .value_kind:     global_buffer
      - .actual_access:  read_only
        .address_space:  global
        .offset:         40
        .size:           8
        .value_kind:     global_buffer
      - .actual_access:  read_only
        .address_space:  global
        .offset:         48
        .size:           8
        .value_kind:     global_buffer
      - .offset:         56
        .size:           4
        .value_kind:     by_value
      - .actual_access:  read_only
        .address_space:  global
        .offset:         64
        .size:           8
        .value_kind:     global_buffer
      - .offset:         72
        .size:           4
        .value_kind:     by_value
      - .offset:         76
        .size:           4
        .value_kind:     by_value
      - .offset:         80
        .size:           4
        .value_kind:     by_value
      - .actual_access:  read_only
        .address_space:  global
        .offset:         88
        .size:           8
        .value_kind:     global_buffer
      - .actual_access:  read_only
        .address_space:  global
        .offset:         96
        .size:           8
        .value_kind:     global_buffer
      - .actual_access:  read_only
        .address_space:  global
        .offset:         104
        .size:           8
        .value_kind:     global_buffer
      - .actual_access:  read_only
        .address_space:  global
        .offset:         112
        .size:           8
        .value_kind:     global_buffer
      - .offset:         120
        .size:           4
        .value_kind:     by_value
      - .address_space:  global
        .offset:         128
        .size:           8
        .value_kind:     global_buffer
      - .address_space:  global
        .offset:         136
        .size:           8
        .value_kind:     global_buffer
      - .offset:         144
        .size:           4
        .value_kind:     hidden_block_count_x
      - .offset:         148
        .size:           4
        .value_kind:     hidden_block_count_y
      - .offset:         152
        .size:           4
        .value_kind:     hidden_block_count_z
      - .offset:         156
        .size:           2
        .value_kind:     hidden_group_size_x
      - .offset:         158
        .size:           2
        .value_kind:     hidden_group_size_y
      - .offset:         160
        .size:           2
        .value_kind:     hidden_group_size_z
      - .offset:         162
        .size:           2
        .value_kind:     hidden_remainder_x
      - .offset:         164
        .size:           2
        .value_kind:     hidden_remainder_y
      - .offset:         166
        .size:           2
        .value_kind:     hidden_remainder_z
      - .offset:         184
        .size:           8
        .value_kind:     hidden_global_offset_x
      - .offset:         192
        .size:           8
        .value_kind:     hidden_global_offset_y
      - .offset:         200
        .size:           8
        .value_kind:     hidden_global_offset_z
      - .offset:         208
        .size:           2
        .value_kind:     hidden_grid_dims
      - .offset:         224
        .size:           8
        .value_kind:     hidden_hostcall_buffer
    .group_segment_fixed_size: 8192
    .kernarg_segment_align: 8
    .kernarg_segment_size: 400
    .language:       OpenCL C
    .language_version:
      - 2
      - 0
    .max_flat_workgroup_size: 256
    .name:           _Z39paged_attention_ll4mi_QKV_mfma16_kernelI14__hip_bfloat16hLN4vllm18Fp8KVCacheDataTypeE1ES0_Li16ELi128ELi256ELb0ELi14EL8MFMAType1EEvPKT_PKT0_S9_ifPKiSB_SB_iPKfiiiPfSE_PS4_PT2_iSD_SD_
    .private_segment_fixed_size: 64
    .sgpr_count:     40
    .sgpr_spill_count: 0
    .symbol:         _Z39paged_attention_ll4mi_QKV_mfma16_kernelI14__hip_bfloat16hLN4vllm18Fp8KVCacheDataTypeE1ES0_Li16ELi128ELi256ELb0ELi14EL8MFMAType1EEvPKT_PKT0_S9_ifPKiSB_SB_iPKfiiiPfSE_PS4_PT2_iSD_SD_.kd
    .uniform_work_group_size: 1
    .uses_dynamic_stack: false
    .vgpr_count:     45
    .vgpr_spill_count: 0
    .wavefront_size: 64
  - .agpr_count:     1
    .args:
      - .actual_access:  read_only
        .address_space:  global
        .offset:         0
        .size:           8
        .value_kind:     global_buffer
      - .actual_access:  read_only
        .address_space:  global
        .offset:         8
        .size:           8
        .value_kind:     global_buffer
      - .actual_access:  read_only
        .address_space:  global
        .offset:         16
        .size:           8
        .value_kind:     global_buffer
      - .offset:         24
        .size:           4
        .value_kind:     by_value
      - .offset:         28
        .size:           4
        .value_kind:     by_value
      - .actual_access:  read_only
        .address_space:  global
        .offset:         32
        .size:           8
        .value_kind:     global_buffer
      - .actual_access:  read_only
        .address_space:  global
        .offset:         40
        .size:           8
        .value_kind:     global_buffer
      - .actual_access:  read_only
        .address_space:  global
        .offset:         48
        .size:           8
        .value_kind:     global_buffer
      - .offset:         56
        .size:           4
        .value_kind:     by_value
      - .actual_access:  read_only
        .address_space:  global
        .offset:         64
        .size:           8
        .value_kind:     global_buffer
      - .offset:         72
        .size:           4
        .value_kind:     by_value
      - .offset:         76
        .size:           4
        .value_kind:     by_value
      - .offset:         80
        .size:           4
        .value_kind:     by_value
      - .actual_access:  read_only
        .address_space:  global
        .offset:         88
        .size:           8
        .value_kind:     global_buffer
      - .actual_access:  read_only
        .address_space:  global
        .offset:         96
        .size:           8
        .value_kind:     global_buffer
      - .actual_access:  read_only
        .address_space:  global
        .offset:         104
        .size:           8
        .value_kind:     global_buffer
      - .actual_access:  read_only
        .address_space:  global
        .offset:         112
        .size:           8
        .value_kind:     global_buffer
      - .offset:         120
        .size:           4
        .value_kind:     by_value
      - .address_space:  global
        .offset:         128
        .size:           8
        .value_kind:     global_buffer
      - .address_space:  global
        .offset:         136
        .size:           8
        .value_kind:     global_buffer
      - .offset:         144
        .size:           4
        .value_kind:     hidden_block_count_x
      - .offset:         148
        .size:           4
        .value_kind:     hidden_block_count_y
      - .offset:         152
        .size:           4
        .value_kind:     hidden_block_count_z
      - .offset:         156
        .size:           2
        .value_kind:     hidden_group_size_x
      - .offset:         158
        .size:           2
        .value_kind:     hidden_group_size_y
      - .offset:         160
        .size:           2
        .value_kind:     hidden_group_size_z
      - .offset:         162
        .size:           2
        .value_kind:     hidden_remainder_x
      - .offset:         164
        .size:           2
        .value_kind:     hidden_remainder_y
      - .offset:         166
        .size:           2
        .value_kind:     hidden_remainder_z
      - .offset:         184
        .size:           8
        .value_kind:     hidden_global_offset_x
      - .offset:         192
        .size:           8
        .value_kind:     hidden_global_offset_y
      - .offset:         200
        .size:           8
        .value_kind:     hidden_global_offset_z
      - .offset:         208
        .size:           2
        .value_kind:     hidden_grid_dims
      - .offset:         224
        .size:           8
        .value_kind:     hidden_hostcall_buffer
    .group_segment_fixed_size: 8192
    .kernarg_segment_align: 8
    .kernarg_segment_size: 400
    .language:       OpenCL C
    .language_version:
      - 2
      - 0
    .max_flat_workgroup_size: 256
    .name:           _Z39paged_attention_ll4mi_QKV_mfma16_kernelI14__hip_bfloat16hLN4vllm18Fp8KVCacheDataTypeE1ES0_Li16ELi128ELi256ELb0ELi15EL8MFMAType1EEvPKT_PKT0_S9_ifPKiSB_SB_iPKfiiiPfSE_PS4_PT2_iSD_SD_
    .private_segment_fixed_size: 64
    .sgpr_count:     40
    .sgpr_spill_count: 0
    .symbol:         _Z39paged_attention_ll4mi_QKV_mfma16_kernelI14__hip_bfloat16hLN4vllm18Fp8KVCacheDataTypeE1ES0_Li16ELi128ELi256ELb0ELi15EL8MFMAType1EEvPKT_PKT0_S9_ifPKiSB_SB_iPKfiiiPfSE_PS4_PT2_iSD_SD_.kd
    .uniform_work_group_size: 1
    .uses_dynamic_stack: false
    .vgpr_count:     45
    .vgpr_spill_count: 0
    .wavefront_size: 64
  - .agpr_count:     1
    .args:
      - .actual_access:  read_only
        .address_space:  global
        .offset:         0
        .size:           8
        .value_kind:     global_buffer
      - .actual_access:  read_only
        .address_space:  global
        .offset:         8
        .size:           8
        .value_kind:     global_buffer
      - .actual_access:  read_only
        .address_space:  global
        .offset:         16
        .size:           8
        .value_kind:     global_buffer
      - .offset:         24
        .size:           4
        .value_kind:     by_value
      - .offset:         28
        .size:           4
        .value_kind:     by_value
      - .actual_access:  read_only
        .address_space:  global
        .offset:         32
        .size:           8
        .value_kind:     global_buffer
      - .actual_access:  read_only
        .address_space:  global
        .offset:         40
        .size:           8
        .value_kind:     global_buffer
      - .actual_access:  read_only
        .address_space:  global
        .offset:         48
        .size:           8
        .value_kind:     global_buffer
      - .offset:         56
        .size:           4
        .value_kind:     by_value
      - .actual_access:  read_only
        .address_space:  global
        .offset:         64
        .size:           8
        .value_kind:     global_buffer
      - .offset:         72
        .size:           4
        .value_kind:     by_value
      - .offset:         76
        .size:           4
        .value_kind:     by_value
      - .offset:         80
        .size:           4
        .value_kind:     by_value
      - .actual_access:  read_only
        .address_space:  global
        .offset:         88
        .size:           8
        .value_kind:     global_buffer
      - .actual_access:  read_only
        .address_space:  global
        .offset:         96
        .size:           8
        .value_kind:     global_buffer
      - .actual_access:  read_only
        .address_space:  global
        .offset:         104
        .size:           8
        .value_kind:     global_buffer
      - .actual_access:  read_only
        .address_space:  global
        .offset:         112
        .size:           8
        .value_kind:     global_buffer
      - .offset:         120
        .size:           4
        .value_kind:     by_value
      - .address_space:  global
        .offset:         128
        .size:           8
        .value_kind:     global_buffer
      - .address_space:  global
        .offset:         136
        .size:           8
        .value_kind:     global_buffer
      - .offset:         144
        .size:           4
        .value_kind:     hidden_block_count_x
      - .offset:         148
        .size:           4
        .value_kind:     hidden_block_count_y
      - .offset:         152
        .size:           4
        .value_kind:     hidden_block_count_z
      - .offset:         156
        .size:           2
        .value_kind:     hidden_group_size_x
      - .offset:         158
        .size:           2
        .value_kind:     hidden_group_size_y
      - .offset:         160
        .size:           2
        .value_kind:     hidden_group_size_z
      - .offset:         162
        .size:           2
        .value_kind:     hidden_remainder_x
      - .offset:         164
        .size:           2
        .value_kind:     hidden_remainder_y
      - .offset:         166
        .size:           2
        .value_kind:     hidden_remainder_z
      - .offset:         184
        .size:           8
        .value_kind:     hidden_global_offset_x
      - .offset:         192
        .size:           8
        .value_kind:     hidden_global_offset_y
      - .offset:         200
        .size:           8
        .value_kind:     hidden_global_offset_z
      - .offset:         208
        .size:           2
        .value_kind:     hidden_grid_dims
      - .offset:         224
        .size:           8
        .value_kind:     hidden_hostcall_buffer
    .group_segment_fixed_size: 8192
    .kernarg_segment_align: 8
    .kernarg_segment_size: 400
    .language:       OpenCL C
    .language_version:
      - 2
      - 0
    .max_flat_workgroup_size: 256
    .name:           _Z39paged_attention_ll4mi_QKV_mfma16_kernelI14__hip_bfloat16hLN4vllm18Fp8KVCacheDataTypeE1ES0_Li16ELi128ELi256ELb0ELi16EL8MFMAType1EEvPKT_PKT0_S9_ifPKiSB_SB_iPKfiiiPfSE_PS4_PT2_iSD_SD_
    .private_segment_fixed_size: 64
    .sgpr_count:     40
    .sgpr_spill_count: 0
    .symbol:         _Z39paged_attention_ll4mi_QKV_mfma16_kernelI14__hip_bfloat16hLN4vllm18Fp8KVCacheDataTypeE1ES0_Li16ELi128ELi256ELb0ELi16EL8MFMAType1EEvPKT_PKT0_S9_ifPKiSB_SB_iPKfiiiPfSE_PS4_PT2_iSD_SD_.kd
    .uniform_work_group_size: 1
    .uses_dynamic_stack: false
    .vgpr_count:     45
    .vgpr_spill_count: 0
    .wavefront_size: 64
  - .agpr_count:     1
    .args:
      - .actual_access:  read_only
        .address_space:  global
        .offset:         0
        .size:           8
        .value_kind:     global_buffer
      - .actual_access:  read_only
        .address_space:  global
        .offset:         8
        .size:           8
        .value_kind:     global_buffer
      - .actual_access:  read_only
        .address_space:  global
        .offset:         16
        .size:           8
        .value_kind:     global_buffer
      - .offset:         24
        .size:           4
        .value_kind:     by_value
      - .offset:         28
        .size:           4
        .value_kind:     by_value
      - .actual_access:  read_only
        .address_space:  global
        .offset:         32
        .size:           8
        .value_kind:     global_buffer
      - .actual_access:  read_only
        .address_space:  global
        .offset:         40
        .size:           8
        .value_kind:     global_buffer
      - .actual_access:  read_only
        .address_space:  global
        .offset:         48
        .size:           8
        .value_kind:     global_buffer
      - .offset:         56
        .size:           4
        .value_kind:     by_value
      - .actual_access:  read_only
        .address_space:  global
        .offset:         64
        .size:           8
        .value_kind:     global_buffer
      - .offset:         72
        .size:           4
        .value_kind:     by_value
      - .offset:         76
        .size:           4
        .value_kind:     by_value
      - .offset:         80
        .size:           4
        .value_kind:     by_value
      - .actual_access:  read_only
        .address_space:  global
        .offset:         88
        .size:           8
        .value_kind:     global_buffer
      - .actual_access:  read_only
        .address_space:  global
        .offset:         96
        .size:           8
        .value_kind:     global_buffer
      - .actual_access:  read_only
        .address_space:  global
        .offset:         104
        .size:           8
        .value_kind:     global_buffer
      - .actual_access:  read_only
        .address_space:  global
        .offset:         112
        .size:           8
        .value_kind:     global_buffer
      - .offset:         120
        .size:           4
        .value_kind:     by_value
      - .address_space:  global
        .offset:         128
        .size:           8
        .value_kind:     global_buffer
      - .address_space:  global
        .offset:         136
        .size:           8
        .value_kind:     global_buffer
      - .offset:         144
        .size:           4
        .value_kind:     hidden_block_count_x
      - .offset:         148
        .size:           4
        .value_kind:     hidden_block_count_y
      - .offset:         152
        .size:           4
        .value_kind:     hidden_block_count_z
      - .offset:         156
        .size:           2
        .value_kind:     hidden_group_size_x
      - .offset:         158
        .size:           2
        .value_kind:     hidden_group_size_y
      - .offset:         160
        .size:           2
        .value_kind:     hidden_group_size_z
      - .offset:         162
        .size:           2
        .value_kind:     hidden_remainder_x
      - .offset:         164
        .size:           2
        .value_kind:     hidden_remainder_y
      - .offset:         166
        .size:           2
        .value_kind:     hidden_remainder_z
      - .offset:         184
        .size:           8
        .value_kind:     hidden_global_offset_x
      - .offset:         192
        .size:           8
        .value_kind:     hidden_global_offset_y
      - .offset:         200
        .size:           8
        .value_kind:     hidden_global_offset_z
      - .offset:         208
        .size:           2
        .value_kind:     hidden_grid_dims
      - .offset:         224
        .size:           8
        .value_kind:     hidden_hostcall_buffer
    .group_segment_fixed_size: 8192
    .kernarg_segment_align: 8
    .kernarg_segment_size: 400
    .language:       OpenCL C
    .language_version:
      - 2
      - 0
    .max_flat_workgroup_size: 256
    .name:           _Z39paged_attention_ll4mi_QKV_mfma16_kernelI14__hip_bfloat16hLN4vllm18Fp8KVCacheDataTypeE1ES0_Li16ELi128ELi256ELb0ELi1EL8MFMAType1EEvPKT_PKT0_S9_ifPKiSB_SB_iPKfiiiPfSE_PS4_PT2_iSD_SD_
    .private_segment_fixed_size: 64
    .sgpr_count:     40
    .sgpr_spill_count: 0
    .symbol:         _Z39paged_attention_ll4mi_QKV_mfma16_kernelI14__hip_bfloat16hLN4vllm18Fp8KVCacheDataTypeE1ES0_Li16ELi128ELi256ELb0ELi1EL8MFMAType1EEvPKT_PKT0_S9_ifPKiSB_SB_iPKfiiiPfSE_PS4_PT2_iSD_SD_.kd
    .uniform_work_group_size: 1
    .uses_dynamic_stack: false
    .vgpr_count:     45
    .vgpr_spill_count: 0
    .wavefront_size: 64
  - .agpr_count:     1
    .args:
      - .actual_access:  read_only
        .address_space:  global
        .offset:         0
        .size:           8
        .value_kind:     global_buffer
      - .actual_access:  read_only
        .address_space:  global
        .offset:         8
        .size:           8
        .value_kind:     global_buffer
      - .actual_access:  read_only
        .address_space:  global
        .offset:         16
        .size:           8
        .value_kind:     global_buffer
      - .offset:         24
        .size:           4
        .value_kind:     by_value
      - .offset:         28
        .size:           4
        .value_kind:     by_value
      - .actual_access:  read_only
        .address_space:  global
        .offset:         32
        .size:           8
        .value_kind:     global_buffer
      - .actual_access:  read_only
        .address_space:  global
        .offset:         40
        .size:           8
        .value_kind:     global_buffer
      - .actual_access:  read_only
        .address_space:  global
        .offset:         48
        .size:           8
        .value_kind:     global_buffer
      - .offset:         56
        .size:           4
        .value_kind:     by_value
      - .actual_access:  read_only
        .address_space:  global
        .offset:         64
        .size:           8
        .value_kind:     global_buffer
      - .offset:         72
        .size:           4
        .value_kind:     by_value
      - .offset:         76
        .size:           4
        .value_kind:     by_value
      - .offset:         80
        .size:           4
        .value_kind:     by_value
      - .actual_access:  read_only
        .address_space:  global
        .offset:         88
        .size:           8
        .value_kind:     global_buffer
      - .actual_access:  read_only
        .address_space:  global
        .offset:         96
        .size:           8
        .value_kind:     global_buffer
      - .actual_access:  read_only
        .address_space:  global
        .offset:         104
        .size:           8
        .value_kind:     global_buffer
      - .actual_access:  read_only
        .address_space:  global
        .offset:         112
        .size:           8
        .value_kind:     global_buffer
      - .offset:         120
        .size:           4
        .value_kind:     by_value
      - .address_space:  global
        .offset:         128
        .size:           8
        .value_kind:     global_buffer
      - .address_space:  global
        .offset:         136
        .size:           8
        .value_kind:     global_buffer
      - .offset:         144
        .size:           4
        .value_kind:     hidden_block_count_x
      - .offset:         148
        .size:           4
        .value_kind:     hidden_block_count_y
      - .offset:         152
        .size:           4
        .value_kind:     hidden_block_count_z
      - .offset:         156
        .size:           2
        .value_kind:     hidden_group_size_x
      - .offset:         158
        .size:           2
        .value_kind:     hidden_group_size_y
      - .offset:         160
        .size:           2
        .value_kind:     hidden_group_size_z
      - .offset:         162
        .size:           2
        .value_kind:     hidden_remainder_x
      - .offset:         164
        .size:           2
        .value_kind:     hidden_remainder_y
      - .offset:         166
        .size:           2
        .value_kind:     hidden_remainder_z
      - .offset:         184
        .size:           8
        .value_kind:     hidden_global_offset_x
      - .offset:         192
        .size:           8
        .value_kind:     hidden_global_offset_y
      - .offset:         200
        .size:           8
        .value_kind:     hidden_global_offset_z
      - .offset:         208
        .size:           2
        .value_kind:     hidden_grid_dims
      - .offset:         224
        .size:           8
        .value_kind:     hidden_hostcall_buffer
    .group_segment_fixed_size: 8192
    .kernarg_segment_align: 8
    .kernarg_segment_size: 400
    .language:       OpenCL C
    .language_version:
      - 2
      - 0
    .max_flat_workgroup_size: 256
    .name:           _Z39paged_attention_ll4mi_QKV_mfma16_kernelI14__hip_bfloat16hLN4vllm18Fp8KVCacheDataTypeE1ES0_Li16ELi128ELi256ELb0ELi2EL8MFMAType1EEvPKT_PKT0_S9_ifPKiSB_SB_iPKfiiiPfSE_PS4_PT2_iSD_SD_
    .private_segment_fixed_size: 64
    .sgpr_count:     40
    .sgpr_spill_count: 0
    .symbol:         _Z39paged_attention_ll4mi_QKV_mfma16_kernelI14__hip_bfloat16hLN4vllm18Fp8KVCacheDataTypeE1ES0_Li16ELi128ELi256ELb0ELi2EL8MFMAType1EEvPKT_PKT0_S9_ifPKiSB_SB_iPKfiiiPfSE_PS4_PT2_iSD_SD_.kd
    .uniform_work_group_size: 1
    .uses_dynamic_stack: false
    .vgpr_count:     45
    .vgpr_spill_count: 0
    .wavefront_size: 64
  - .agpr_count:     1
    .args:
      - .actual_access:  read_only
        .address_space:  global
        .offset:         0
        .size:           8
        .value_kind:     global_buffer
      - .actual_access:  read_only
        .address_space:  global
        .offset:         8
        .size:           8
        .value_kind:     global_buffer
      - .actual_access:  read_only
        .address_space:  global
        .offset:         16
        .size:           8
        .value_kind:     global_buffer
      - .offset:         24
        .size:           4
        .value_kind:     by_value
      - .offset:         28
        .size:           4
        .value_kind:     by_value
      - .actual_access:  read_only
        .address_space:  global
        .offset:         32
        .size:           8
        .value_kind:     global_buffer
      - .actual_access:  read_only
        .address_space:  global
        .offset:         40
        .size:           8
        .value_kind:     global_buffer
      - .actual_access:  read_only
        .address_space:  global
        .offset:         48
        .size:           8
        .value_kind:     global_buffer
      - .offset:         56
        .size:           4
        .value_kind:     by_value
      - .actual_access:  read_only
        .address_space:  global
        .offset:         64
        .size:           8
        .value_kind:     global_buffer
      - .offset:         72
        .size:           4
        .value_kind:     by_value
      - .offset:         76
        .size:           4
        .value_kind:     by_value
      - .offset:         80
        .size:           4
        .value_kind:     by_value
      - .actual_access:  read_only
        .address_space:  global
        .offset:         88
        .size:           8
        .value_kind:     global_buffer
      - .actual_access:  read_only
        .address_space:  global
        .offset:         96
        .size:           8
        .value_kind:     global_buffer
      - .actual_access:  read_only
        .address_space:  global
        .offset:         104
        .size:           8
        .value_kind:     global_buffer
      - .actual_access:  read_only
        .address_space:  global
        .offset:         112
        .size:           8
        .value_kind:     global_buffer
      - .offset:         120
        .size:           4
        .value_kind:     by_value
      - .address_space:  global
        .offset:         128
        .size:           8
        .value_kind:     global_buffer
      - .address_space:  global
        .offset:         136
        .size:           8
        .value_kind:     global_buffer
      - .offset:         144
        .size:           4
        .value_kind:     hidden_block_count_x
      - .offset:         148
        .size:           4
        .value_kind:     hidden_block_count_y
      - .offset:         152
        .size:           4
        .value_kind:     hidden_block_count_z
      - .offset:         156
        .size:           2
        .value_kind:     hidden_group_size_x
      - .offset:         158
        .size:           2
        .value_kind:     hidden_group_size_y
      - .offset:         160
        .size:           2
        .value_kind:     hidden_group_size_z
      - .offset:         162
        .size:           2
        .value_kind:     hidden_remainder_x
      - .offset:         164
        .size:           2
        .value_kind:     hidden_remainder_y
      - .offset:         166
        .size:           2
        .value_kind:     hidden_remainder_z
      - .offset:         184
        .size:           8
        .value_kind:     hidden_global_offset_x
      - .offset:         192
        .size:           8
        .value_kind:     hidden_global_offset_y
      - .offset:         200
        .size:           8
        .value_kind:     hidden_global_offset_z
      - .offset:         208
        .size:           2
        .value_kind:     hidden_grid_dims
      - .offset:         224
        .size:           8
        .value_kind:     hidden_hostcall_buffer
    .group_segment_fixed_size: 8192
    .kernarg_segment_align: 8
    .kernarg_segment_size: 400
    .language:       OpenCL C
    .language_version:
      - 2
      - 0
    .max_flat_workgroup_size: 256
    .name:           _Z39paged_attention_ll4mi_QKV_mfma16_kernelI14__hip_bfloat16hLN4vllm18Fp8KVCacheDataTypeE1ES0_Li16ELi128ELi256ELb0ELi3EL8MFMAType1EEvPKT_PKT0_S9_ifPKiSB_SB_iPKfiiiPfSE_PS4_PT2_iSD_SD_
    .private_segment_fixed_size: 64
    .sgpr_count:     40
    .sgpr_spill_count: 0
    .symbol:         _Z39paged_attention_ll4mi_QKV_mfma16_kernelI14__hip_bfloat16hLN4vllm18Fp8KVCacheDataTypeE1ES0_Li16ELi128ELi256ELb0ELi3EL8MFMAType1EEvPKT_PKT0_S9_ifPKiSB_SB_iPKfiiiPfSE_PS4_PT2_iSD_SD_.kd
    .uniform_work_group_size: 1
    .uses_dynamic_stack: false
    .vgpr_count:     45
    .vgpr_spill_count: 0
    .wavefront_size: 64
  - .agpr_count:     1
    .args:
      - .actual_access:  read_only
        .address_space:  global
        .offset:         0
        .size:           8
        .value_kind:     global_buffer
      - .actual_access:  read_only
        .address_space:  global
        .offset:         8
        .size:           8
        .value_kind:     global_buffer
      - .actual_access:  read_only
        .address_space:  global
        .offset:         16
        .size:           8
        .value_kind:     global_buffer
      - .offset:         24
        .size:           4
        .value_kind:     by_value
      - .offset:         28
        .size:           4
        .value_kind:     by_value
      - .actual_access:  read_only
        .address_space:  global
        .offset:         32
        .size:           8
        .value_kind:     global_buffer
      - .actual_access:  read_only
        .address_space:  global
        .offset:         40
        .size:           8
        .value_kind:     global_buffer
      - .actual_access:  read_only
        .address_space:  global
        .offset:         48
        .size:           8
        .value_kind:     global_buffer
      - .offset:         56
        .size:           4
        .value_kind:     by_value
      - .actual_access:  read_only
        .address_space:  global
        .offset:         64
        .size:           8
        .value_kind:     global_buffer
      - .offset:         72
        .size:           4
        .value_kind:     by_value
      - .offset:         76
        .size:           4
        .value_kind:     by_value
      - .offset:         80
        .size:           4
        .value_kind:     by_value
      - .actual_access:  read_only
        .address_space:  global
        .offset:         88
        .size:           8
        .value_kind:     global_buffer
      - .actual_access:  read_only
        .address_space:  global
        .offset:         96
        .size:           8
        .value_kind:     global_buffer
      - .actual_access:  read_only
        .address_space:  global
        .offset:         104
        .size:           8
        .value_kind:     global_buffer
      - .actual_access:  read_only
        .address_space:  global
        .offset:         112
        .size:           8
        .value_kind:     global_buffer
      - .offset:         120
        .size:           4
        .value_kind:     by_value
      - .address_space:  global
        .offset:         128
        .size:           8
        .value_kind:     global_buffer
      - .address_space:  global
        .offset:         136
        .size:           8
        .value_kind:     global_buffer
      - .offset:         144
        .size:           4
        .value_kind:     hidden_block_count_x
      - .offset:         148
        .size:           4
        .value_kind:     hidden_block_count_y
      - .offset:         152
        .size:           4
        .value_kind:     hidden_block_count_z
      - .offset:         156
        .size:           2
        .value_kind:     hidden_group_size_x
      - .offset:         158
        .size:           2
        .value_kind:     hidden_group_size_y
      - .offset:         160
        .size:           2
        .value_kind:     hidden_group_size_z
      - .offset:         162
        .size:           2
        .value_kind:     hidden_remainder_x
      - .offset:         164
        .size:           2
        .value_kind:     hidden_remainder_y
      - .offset:         166
        .size:           2
        .value_kind:     hidden_remainder_z
      - .offset:         184
        .size:           8
        .value_kind:     hidden_global_offset_x
      - .offset:         192
        .size:           8
        .value_kind:     hidden_global_offset_y
      - .offset:         200
        .size:           8
        .value_kind:     hidden_global_offset_z
      - .offset:         208
        .size:           2
        .value_kind:     hidden_grid_dims
      - .offset:         224
        .size:           8
        .value_kind:     hidden_hostcall_buffer
    .group_segment_fixed_size: 8192
    .kernarg_segment_align: 8
    .kernarg_segment_size: 400
    .language:       OpenCL C
    .language_version:
      - 2
      - 0
    .max_flat_workgroup_size: 256
    .name:           _Z39paged_attention_ll4mi_QKV_mfma16_kernelI14__hip_bfloat16hLN4vllm18Fp8KVCacheDataTypeE1ES0_Li16ELi128ELi256ELb0ELi4EL8MFMAType1EEvPKT_PKT0_S9_ifPKiSB_SB_iPKfiiiPfSE_PS4_PT2_iSD_SD_
    .private_segment_fixed_size: 64
    .sgpr_count:     40
    .sgpr_spill_count: 0
    .symbol:         _Z39paged_attention_ll4mi_QKV_mfma16_kernelI14__hip_bfloat16hLN4vllm18Fp8KVCacheDataTypeE1ES0_Li16ELi128ELi256ELb0ELi4EL8MFMAType1EEvPKT_PKT0_S9_ifPKiSB_SB_iPKfiiiPfSE_PS4_PT2_iSD_SD_.kd
    .uniform_work_group_size: 1
    .uses_dynamic_stack: false
    .vgpr_count:     45
    .vgpr_spill_count: 0
    .wavefront_size: 64
  - .agpr_count:     4
    .args:
      - .actual_access:  read_only
        .address_space:  global
        .offset:         0
        .size:           8
        .value_kind:     global_buffer
      - .actual_access:  read_only
        .address_space:  global
        .offset:         8
        .size:           8
        .value_kind:     global_buffer
      - .actual_access:  read_only
        .address_space:  global
        .offset:         16
        .size:           8
        .value_kind:     global_buffer
      - .offset:         24
        .size:           4
        .value_kind:     by_value
      - .offset:         28
        .size:           4
        .value_kind:     by_value
      - .actual_access:  read_only
        .address_space:  global
        .offset:         32
        .size:           8
        .value_kind:     global_buffer
      - .actual_access:  read_only
        .address_space:  global
        .offset:         40
        .size:           8
        .value_kind:     global_buffer
      - .actual_access:  read_only
        .address_space:  global
        .offset:         48
        .size:           8
        .value_kind:     global_buffer
      - .offset:         56
        .size:           4
        .value_kind:     by_value
      - .actual_access:  read_only
        .address_space:  global
        .offset:         64
        .size:           8
        .value_kind:     global_buffer
      - .offset:         72
        .size:           4
        .value_kind:     by_value
      - .offset:         76
        .size:           4
        .value_kind:     by_value
      - .offset:         80
        .size:           4
        .value_kind:     by_value
      - .actual_access:  write_only
        .address_space:  global
        .offset:         88
        .size:           8
        .value_kind:     global_buffer
      - .actual_access:  write_only
        .address_space:  global
        .offset:         96
        .size:           8
        .value_kind:     global_buffer
      - .actual_access:  write_only
        .address_space:  global
        .offset:         104
        .size:           8
        .value_kind:     global_buffer
      - .actual_access:  read_only
        .address_space:  global
        .offset:         112
        .size:           8
        .value_kind:     global_buffer
      - .offset:         120
        .size:           4
        .value_kind:     by_value
      - .address_space:  global
        .offset:         128
        .size:           8
        .value_kind:     global_buffer
      - .address_space:  global
        .offset:         136
        .size:           8
        .value_kind:     global_buffer
      - .offset:         144
        .size:           4
        .value_kind:     hidden_block_count_x
      - .offset:         148
        .size:           4
        .value_kind:     hidden_block_count_y
      - .offset:         152
        .size:           4
        .value_kind:     hidden_block_count_z
      - .offset:         156
        .size:           2
        .value_kind:     hidden_group_size_x
      - .offset:         158
        .size:           2
        .value_kind:     hidden_group_size_y
      - .offset:         160
        .size:           2
        .value_kind:     hidden_group_size_z
      - .offset:         162
        .size:           2
        .value_kind:     hidden_remainder_x
      - .offset:         164
        .size:           2
        .value_kind:     hidden_remainder_y
      - .offset:         166
        .size:           2
        .value_kind:     hidden_remainder_z
      - .offset:         184
        .size:           8
        .value_kind:     hidden_global_offset_x
      - .offset:         192
        .size:           8
        .value_kind:     hidden_global_offset_y
      - .offset:         200
        .size:           8
        .value_kind:     hidden_global_offset_z
      - .offset:         208
        .size:           2
        .value_kind:     hidden_grid_dims
    .group_segment_fixed_size: 5280
    .kernarg_segment_align: 8
    .kernarg_segment_size: 400
    .language:       OpenCL C
    .language_version:
      - 2
      - 0
    .max_flat_workgroup_size: 256
    .name:           _Z38paged_attention_ll4mi_QKV_mfma4_kernelI14__hip_bfloat16hLN4vllm18Fp8KVCacheDataTypeE1ES0_Li32ELi128ELi256ELb1ELi1EEvPKT_PKT0_S8_ifPKiSA_SA_iPKfiiiPfSD_PS3_PT2_iSC_SC_
    .private_segment_fixed_size: 144
    .sgpr_count:     50
    .sgpr_spill_count: 0
    .symbol:         _Z38paged_attention_ll4mi_QKV_mfma4_kernelI14__hip_bfloat16hLN4vllm18Fp8KVCacheDataTypeE1ES0_Li32ELi128ELi256ELb1ELi1EEvPKT_PKT0_S8_ifPKiSA_SA_iPKfiiiPfSD_PS3_PT2_iSC_SC_.kd
    .uniform_work_group_size: 1
    .uses_dynamic_stack: false
    .vgpr_count:     84
    .vgpr_spill_count: 0
    .wavefront_size: 64
  - .agpr_count:     4
    .args:
      - .actual_access:  read_only
        .address_space:  global
        .offset:         0
        .size:           8
        .value_kind:     global_buffer
      - .actual_access:  read_only
        .address_space:  global
        .offset:         8
        .size:           8
        .value_kind:     global_buffer
      - .actual_access:  read_only
        .address_space:  global
        .offset:         16
        .size:           8
        .value_kind:     global_buffer
      - .offset:         24
        .size:           4
        .value_kind:     by_value
      - .offset:         28
        .size:           4
        .value_kind:     by_value
      - .actual_access:  read_only
        .address_space:  global
        .offset:         32
        .size:           8
        .value_kind:     global_buffer
      - .actual_access:  read_only
        .address_space:  global
        .offset:         40
        .size:           8
        .value_kind:     global_buffer
      - .actual_access:  read_only
        .address_space:  global
        .offset:         48
        .size:           8
        .value_kind:     global_buffer
      - .offset:         56
        .size:           4
        .value_kind:     by_value
      - .actual_access:  read_only
        .address_space:  global
        .offset:         64
        .size:           8
        .value_kind:     global_buffer
      - .offset:         72
        .size:           4
        .value_kind:     by_value
      - .offset:         76
        .size:           4
        .value_kind:     by_value
      - .offset:         80
        .size:           4
        .value_kind:     by_value
      - .actual_access:  write_only
        .address_space:  global
        .offset:         88
        .size:           8
        .value_kind:     global_buffer
      - .actual_access:  write_only
        .address_space:  global
        .offset:         96
        .size:           8
        .value_kind:     global_buffer
      - .actual_access:  write_only
        .address_space:  global
        .offset:         104
        .size:           8
        .value_kind:     global_buffer
      - .actual_access:  read_only
        .address_space:  global
        .offset:         112
        .size:           8
        .value_kind:     global_buffer
      - .offset:         120
        .size:           4
        .value_kind:     by_value
      - .address_space:  global
        .offset:         128
        .size:           8
        .value_kind:     global_buffer
      - .address_space:  global
        .offset:         136
        .size:           8
        .value_kind:     global_buffer
      - .offset:         144
        .size:           4
        .value_kind:     hidden_block_count_x
      - .offset:         148
        .size:           4
        .value_kind:     hidden_block_count_y
      - .offset:         152
        .size:           4
        .value_kind:     hidden_block_count_z
      - .offset:         156
        .size:           2
        .value_kind:     hidden_group_size_x
      - .offset:         158
        .size:           2
        .value_kind:     hidden_group_size_y
      - .offset:         160
        .size:           2
        .value_kind:     hidden_group_size_z
      - .offset:         162
        .size:           2
        .value_kind:     hidden_remainder_x
      - .offset:         164
        .size:           2
        .value_kind:     hidden_remainder_y
      - .offset:         166
        .size:           2
        .value_kind:     hidden_remainder_z
      - .offset:         184
        .size:           8
        .value_kind:     hidden_global_offset_x
      - .offset:         192
        .size:           8
        .value_kind:     hidden_global_offset_y
      - .offset:         200
        .size:           8
        .value_kind:     hidden_global_offset_z
      - .offset:         208
        .size:           2
        .value_kind:     hidden_grid_dims
    .group_segment_fixed_size: 5280
    .kernarg_segment_align: 8
    .kernarg_segment_size: 400
    .language:       OpenCL C
    .language_version:
      - 2
      - 0
    .max_flat_workgroup_size: 256
    .name:           _Z38paged_attention_ll4mi_QKV_mfma4_kernelI14__hip_bfloat16hLN4vllm18Fp8KVCacheDataTypeE1ES0_Li32ELi128ELi256ELb1ELi2EEvPKT_PKT0_S8_ifPKiSA_SA_iPKfiiiPfSD_PS3_PT2_iSC_SC_
    .private_segment_fixed_size: 144
    .sgpr_count:     52
    .sgpr_spill_count: 0
    .symbol:         _Z38paged_attention_ll4mi_QKV_mfma4_kernelI14__hip_bfloat16hLN4vllm18Fp8KVCacheDataTypeE1ES0_Li32ELi128ELi256ELb1ELi2EEvPKT_PKT0_S8_ifPKiSA_SA_iPKfiiiPfSD_PS3_PT2_iSC_SC_.kd
    .uniform_work_group_size: 1
    .uses_dynamic_stack: false
    .vgpr_count:     84
    .vgpr_spill_count: 0
    .wavefront_size: 64
  - .agpr_count:     4
    .args:
      - .actual_access:  read_only
        .address_space:  global
        .offset:         0
        .size:           8
        .value_kind:     global_buffer
      - .actual_access:  read_only
        .address_space:  global
        .offset:         8
        .size:           8
        .value_kind:     global_buffer
      - .actual_access:  read_only
        .address_space:  global
        .offset:         16
        .size:           8
        .value_kind:     global_buffer
      - .offset:         24
        .size:           4
        .value_kind:     by_value
      - .offset:         28
        .size:           4
        .value_kind:     by_value
      - .actual_access:  read_only
        .address_space:  global
        .offset:         32
        .size:           8
        .value_kind:     global_buffer
      - .actual_access:  read_only
        .address_space:  global
        .offset:         40
        .size:           8
        .value_kind:     global_buffer
      - .actual_access:  read_only
        .address_space:  global
        .offset:         48
        .size:           8
        .value_kind:     global_buffer
      - .offset:         56
        .size:           4
        .value_kind:     by_value
      - .actual_access:  read_only
        .address_space:  global
        .offset:         64
        .size:           8
        .value_kind:     global_buffer
      - .offset:         72
        .size:           4
        .value_kind:     by_value
      - .offset:         76
        .size:           4
        .value_kind:     by_value
      - .offset:         80
        .size:           4
        .value_kind:     by_value
      - .actual_access:  write_only
        .address_space:  global
        .offset:         88
        .size:           8
        .value_kind:     global_buffer
      - .actual_access:  write_only
        .address_space:  global
        .offset:         96
        .size:           8
        .value_kind:     global_buffer
      - .actual_access:  write_only
        .address_space:  global
        .offset:         104
        .size:           8
        .value_kind:     global_buffer
      - .actual_access:  read_only
        .address_space:  global
        .offset:         112
        .size:           8
        .value_kind:     global_buffer
      - .offset:         120
        .size:           4
        .value_kind:     by_value
      - .address_space:  global
        .offset:         128
        .size:           8
        .value_kind:     global_buffer
      - .address_space:  global
        .offset:         136
        .size:           8
        .value_kind:     global_buffer
      - .offset:         144
        .size:           4
        .value_kind:     hidden_block_count_x
      - .offset:         148
        .size:           4
        .value_kind:     hidden_block_count_y
      - .offset:         152
        .size:           4
        .value_kind:     hidden_block_count_z
      - .offset:         156
        .size:           2
        .value_kind:     hidden_group_size_x
      - .offset:         158
        .size:           2
        .value_kind:     hidden_group_size_y
      - .offset:         160
        .size:           2
        .value_kind:     hidden_group_size_z
      - .offset:         162
        .size:           2
        .value_kind:     hidden_remainder_x
      - .offset:         164
        .size:           2
        .value_kind:     hidden_remainder_y
      - .offset:         166
        .size:           2
        .value_kind:     hidden_remainder_z
      - .offset:         184
        .size:           8
        .value_kind:     hidden_global_offset_x
      - .offset:         192
        .size:           8
        .value_kind:     hidden_global_offset_y
      - .offset:         200
        .size:           8
        .value_kind:     hidden_global_offset_z
      - .offset:         208
        .size:           2
        .value_kind:     hidden_grid_dims
    .group_segment_fixed_size: 5280
    .kernarg_segment_align: 8
    .kernarg_segment_size: 400
    .language:       OpenCL C
    .language_version:
      - 2
      - 0
    .max_flat_workgroup_size: 256
    .name:           _Z38paged_attention_ll4mi_QKV_mfma4_kernelI14__hip_bfloat16hLN4vllm18Fp8KVCacheDataTypeE1ES0_Li32ELi128ELi256ELb1ELi3EEvPKT_PKT0_S8_ifPKiSA_SA_iPKfiiiPfSD_PS3_PT2_iSC_SC_
    .private_segment_fixed_size: 144
    .sgpr_count:     54
    .sgpr_spill_count: 0
    .symbol:         _Z38paged_attention_ll4mi_QKV_mfma4_kernelI14__hip_bfloat16hLN4vllm18Fp8KVCacheDataTypeE1ES0_Li32ELi128ELi256ELb1ELi3EEvPKT_PKT0_S8_ifPKiSA_SA_iPKfiiiPfSD_PS3_PT2_iSC_SC_.kd
    .uniform_work_group_size: 1
    .uses_dynamic_stack: false
    .vgpr_count:     84
    .vgpr_spill_count: 0
    .wavefront_size: 64
  - .agpr_count:     4
    .args:
      - .actual_access:  read_only
        .address_space:  global
        .offset:         0
        .size:           8
        .value_kind:     global_buffer
      - .actual_access:  read_only
        .address_space:  global
        .offset:         8
        .size:           8
        .value_kind:     global_buffer
      - .actual_access:  read_only
        .address_space:  global
        .offset:         16
        .size:           8
        .value_kind:     global_buffer
      - .offset:         24
        .size:           4
        .value_kind:     by_value
      - .offset:         28
        .size:           4
        .value_kind:     by_value
      - .actual_access:  read_only
        .address_space:  global
        .offset:         32
        .size:           8
        .value_kind:     global_buffer
      - .actual_access:  read_only
        .address_space:  global
        .offset:         40
        .size:           8
        .value_kind:     global_buffer
      - .actual_access:  read_only
        .address_space:  global
        .offset:         48
        .size:           8
        .value_kind:     global_buffer
      - .offset:         56
        .size:           4
        .value_kind:     by_value
      - .actual_access:  read_only
        .address_space:  global
        .offset:         64
        .size:           8
        .value_kind:     global_buffer
      - .offset:         72
        .size:           4
        .value_kind:     by_value
      - .offset:         76
        .size:           4
        .value_kind:     by_value
      - .offset:         80
        .size:           4
        .value_kind:     by_value
      - .actual_access:  write_only
        .address_space:  global
        .offset:         88
        .size:           8
        .value_kind:     global_buffer
      - .actual_access:  write_only
        .address_space:  global
        .offset:         96
        .size:           8
        .value_kind:     global_buffer
      - .actual_access:  write_only
        .address_space:  global
        .offset:         104
        .size:           8
        .value_kind:     global_buffer
      - .actual_access:  read_only
        .address_space:  global
        .offset:         112
        .size:           8
        .value_kind:     global_buffer
      - .offset:         120
        .size:           4
        .value_kind:     by_value
      - .address_space:  global
        .offset:         128
        .size:           8
        .value_kind:     global_buffer
      - .address_space:  global
        .offset:         136
        .size:           8
        .value_kind:     global_buffer
      - .offset:         144
        .size:           4
        .value_kind:     hidden_block_count_x
      - .offset:         148
        .size:           4
        .value_kind:     hidden_block_count_y
      - .offset:         152
        .size:           4
        .value_kind:     hidden_block_count_z
      - .offset:         156
        .size:           2
        .value_kind:     hidden_group_size_x
      - .offset:         158
        .size:           2
        .value_kind:     hidden_group_size_y
      - .offset:         160
        .size:           2
        .value_kind:     hidden_group_size_z
      - .offset:         162
        .size:           2
        .value_kind:     hidden_remainder_x
      - .offset:         164
        .size:           2
        .value_kind:     hidden_remainder_y
      - .offset:         166
        .size:           2
        .value_kind:     hidden_remainder_z
      - .offset:         184
        .size:           8
        .value_kind:     hidden_global_offset_x
      - .offset:         192
        .size:           8
        .value_kind:     hidden_global_offset_y
      - .offset:         200
        .size:           8
        .value_kind:     hidden_global_offset_z
      - .offset:         208
        .size:           2
        .value_kind:     hidden_grid_dims
    .group_segment_fixed_size: 5280
    .kernarg_segment_align: 8
    .kernarg_segment_size: 400
    .language:       OpenCL C
    .language_version:
      - 2
      - 0
    .max_flat_workgroup_size: 256
    .name:           _Z38paged_attention_ll4mi_QKV_mfma4_kernelI14__hip_bfloat16hLN4vllm18Fp8KVCacheDataTypeE1ES0_Li32ELi128ELi256ELb1ELi4EEvPKT_PKT0_S8_ifPKiSA_SA_iPKfiiiPfSD_PS3_PT2_iSC_SC_
    .private_segment_fixed_size: 144
    .sgpr_count:     53
    .sgpr_spill_count: 0
    .symbol:         _Z38paged_attention_ll4mi_QKV_mfma4_kernelI14__hip_bfloat16hLN4vllm18Fp8KVCacheDataTypeE1ES0_Li32ELi128ELi256ELb1ELi4EEvPKT_PKT0_S8_ifPKiSA_SA_iPKfiiiPfSD_PS3_PT2_iSC_SC_.kd
    .uniform_work_group_size: 1
    .uses_dynamic_stack: false
    .vgpr_count:     72
    .vgpr_spill_count: 0
    .wavefront_size: 64
  - .agpr_count:     1
    .args:
      - .actual_access:  read_only
        .address_space:  global
        .offset:         0
        .size:           8
        .value_kind:     global_buffer
      - .actual_access:  read_only
        .address_space:  global
        .offset:         8
        .size:           8
        .value_kind:     global_buffer
      - .actual_access:  read_only
        .address_space:  global
        .offset:         16
        .size:           8
        .value_kind:     global_buffer
      - .offset:         24
        .size:           4
        .value_kind:     by_value
      - .offset:         28
        .size:           4
        .value_kind:     by_value
      - .actual_access:  read_only
        .address_space:  global
        .offset:         32
        .size:           8
        .value_kind:     global_buffer
      - .actual_access:  read_only
        .address_space:  global
        .offset:         40
        .size:           8
        .value_kind:     global_buffer
      - .actual_access:  read_only
        .address_space:  global
        .offset:         48
        .size:           8
        .value_kind:     global_buffer
      - .offset:         56
        .size:           4
        .value_kind:     by_value
      - .actual_access:  read_only
        .address_space:  global
        .offset:         64
        .size:           8
        .value_kind:     global_buffer
      - .offset:         72
        .size:           4
        .value_kind:     by_value
      - .offset:         76
        .size:           4
        .value_kind:     by_value
      - .offset:         80
        .size:           4
        .value_kind:     by_value
      - .actual_access:  read_only
        .address_space:  global
        .offset:         88
        .size:           8
        .value_kind:     global_buffer
      - .actual_access:  read_only
        .address_space:  global
        .offset:         96
        .size:           8
        .value_kind:     global_buffer
      - .actual_access:  read_only
        .address_space:  global
        .offset:         104
        .size:           8
        .value_kind:     global_buffer
      - .actual_access:  read_only
        .address_space:  global
        .offset:         112
        .size:           8
        .value_kind:     global_buffer
      - .offset:         120
        .size:           4
        .value_kind:     by_value
      - .address_space:  global
        .offset:         128
        .size:           8
        .value_kind:     global_buffer
      - .address_space:  global
        .offset:         136
        .size:           8
        .value_kind:     global_buffer
      - .offset:         144
        .size:           4
        .value_kind:     hidden_block_count_x
      - .offset:         148
        .size:           4
        .value_kind:     hidden_block_count_y
      - .offset:         152
        .size:           4
        .value_kind:     hidden_block_count_z
      - .offset:         156
        .size:           2
        .value_kind:     hidden_group_size_x
      - .offset:         158
        .size:           2
        .value_kind:     hidden_group_size_y
      - .offset:         160
        .size:           2
        .value_kind:     hidden_group_size_z
      - .offset:         162
        .size:           2
        .value_kind:     hidden_remainder_x
      - .offset:         164
        .size:           2
        .value_kind:     hidden_remainder_y
      - .offset:         166
        .size:           2
        .value_kind:     hidden_remainder_z
      - .offset:         184
        .size:           8
        .value_kind:     hidden_global_offset_x
      - .offset:         192
        .size:           8
        .value_kind:     hidden_global_offset_y
      - .offset:         200
        .size:           8
        .value_kind:     hidden_global_offset_z
      - .offset:         208
        .size:           2
        .value_kind:     hidden_grid_dims
      - .offset:         224
        .size:           8
        .value_kind:     hidden_hostcall_buffer
    .group_segment_fixed_size: 8192
    .kernarg_segment_align: 8
    .kernarg_segment_size: 400
    .language:       OpenCL C
    .language_version:
      - 2
      - 0
    .max_flat_workgroup_size: 256
    .name:           _Z39paged_attention_ll4mi_QKV_mfma16_kernelI14__hip_bfloat16hLN4vllm18Fp8KVCacheDataTypeE1ES0_Li32ELi128ELi256ELb1ELi5EL8MFMAType1EEvPKT_PKT0_S9_ifPKiSB_SB_iPKfiiiPfSE_PS4_PT2_iSD_SD_
    .private_segment_fixed_size: 64
    .sgpr_count:     40
    .sgpr_spill_count: 0
    .symbol:         _Z39paged_attention_ll4mi_QKV_mfma16_kernelI14__hip_bfloat16hLN4vllm18Fp8KVCacheDataTypeE1ES0_Li32ELi128ELi256ELb1ELi5EL8MFMAType1EEvPKT_PKT0_S9_ifPKiSB_SB_iPKfiiiPfSE_PS4_PT2_iSD_SD_.kd
    .uniform_work_group_size: 1
    .uses_dynamic_stack: false
    .vgpr_count:     45
    .vgpr_spill_count: 0
    .wavefront_size: 64
  - .agpr_count:     1
    .args:
      - .actual_access:  read_only
        .address_space:  global
        .offset:         0
        .size:           8
        .value_kind:     global_buffer
      - .actual_access:  read_only
        .address_space:  global
        .offset:         8
        .size:           8
        .value_kind:     global_buffer
      - .actual_access:  read_only
        .address_space:  global
        .offset:         16
        .size:           8
        .value_kind:     global_buffer
      - .offset:         24
        .size:           4
        .value_kind:     by_value
      - .offset:         28
        .size:           4
        .value_kind:     by_value
      - .actual_access:  read_only
        .address_space:  global
        .offset:         32
        .size:           8
        .value_kind:     global_buffer
      - .actual_access:  read_only
        .address_space:  global
        .offset:         40
        .size:           8
        .value_kind:     global_buffer
      - .actual_access:  read_only
        .address_space:  global
        .offset:         48
        .size:           8
        .value_kind:     global_buffer
      - .offset:         56
        .size:           4
        .value_kind:     by_value
      - .actual_access:  read_only
        .address_space:  global
        .offset:         64
        .size:           8
        .value_kind:     global_buffer
      - .offset:         72
        .size:           4
        .value_kind:     by_value
      - .offset:         76
        .size:           4
        .value_kind:     by_value
      - .offset:         80
        .size:           4
        .value_kind:     by_value
      - .actual_access:  read_only
        .address_space:  global
        .offset:         88
        .size:           8
        .value_kind:     global_buffer
      - .actual_access:  read_only
        .address_space:  global
        .offset:         96
        .size:           8
        .value_kind:     global_buffer
      - .actual_access:  read_only
        .address_space:  global
        .offset:         104
        .size:           8
        .value_kind:     global_buffer
      - .actual_access:  read_only
        .address_space:  global
        .offset:         112
        .size:           8
        .value_kind:     global_buffer
      - .offset:         120
        .size:           4
        .value_kind:     by_value
      - .address_space:  global
        .offset:         128
        .size:           8
        .value_kind:     global_buffer
      - .address_space:  global
        .offset:         136
        .size:           8
        .value_kind:     global_buffer
      - .offset:         144
        .size:           4
        .value_kind:     hidden_block_count_x
      - .offset:         148
        .size:           4
        .value_kind:     hidden_block_count_y
      - .offset:         152
        .size:           4
        .value_kind:     hidden_block_count_z
      - .offset:         156
        .size:           2
        .value_kind:     hidden_group_size_x
      - .offset:         158
        .size:           2
        .value_kind:     hidden_group_size_y
      - .offset:         160
        .size:           2
        .value_kind:     hidden_group_size_z
      - .offset:         162
        .size:           2
        .value_kind:     hidden_remainder_x
      - .offset:         164
        .size:           2
        .value_kind:     hidden_remainder_y
      - .offset:         166
        .size:           2
        .value_kind:     hidden_remainder_z
      - .offset:         184
        .size:           8
        .value_kind:     hidden_global_offset_x
      - .offset:         192
        .size:           8
        .value_kind:     hidden_global_offset_y
      - .offset:         200
        .size:           8
        .value_kind:     hidden_global_offset_z
      - .offset:         208
        .size:           2
        .value_kind:     hidden_grid_dims
      - .offset:         224
        .size:           8
        .value_kind:     hidden_hostcall_buffer
    .group_segment_fixed_size: 8192
    .kernarg_segment_align: 8
    .kernarg_segment_size: 400
    .language:       OpenCL C
    .language_version:
      - 2
      - 0
    .max_flat_workgroup_size: 256
    .name:           _Z39paged_attention_ll4mi_QKV_mfma16_kernelI14__hip_bfloat16hLN4vllm18Fp8KVCacheDataTypeE1ES0_Li32ELi128ELi256ELb1ELi6EL8MFMAType1EEvPKT_PKT0_S9_ifPKiSB_SB_iPKfiiiPfSE_PS4_PT2_iSD_SD_
    .private_segment_fixed_size: 64
    .sgpr_count:     40
    .sgpr_spill_count: 0
    .symbol:         _Z39paged_attention_ll4mi_QKV_mfma16_kernelI14__hip_bfloat16hLN4vllm18Fp8KVCacheDataTypeE1ES0_Li32ELi128ELi256ELb1ELi6EL8MFMAType1EEvPKT_PKT0_S9_ifPKiSB_SB_iPKfiiiPfSE_PS4_PT2_iSD_SD_.kd
    .uniform_work_group_size: 1
    .uses_dynamic_stack: false
    .vgpr_count:     45
    .vgpr_spill_count: 0
    .wavefront_size: 64
  - .agpr_count:     1
    .args:
      - .actual_access:  read_only
        .address_space:  global
        .offset:         0
        .size:           8
        .value_kind:     global_buffer
      - .actual_access:  read_only
        .address_space:  global
        .offset:         8
        .size:           8
        .value_kind:     global_buffer
      - .actual_access:  read_only
        .address_space:  global
        .offset:         16
        .size:           8
        .value_kind:     global_buffer
      - .offset:         24
        .size:           4
        .value_kind:     by_value
      - .offset:         28
        .size:           4
        .value_kind:     by_value
      - .actual_access:  read_only
        .address_space:  global
        .offset:         32
        .size:           8
        .value_kind:     global_buffer
      - .actual_access:  read_only
        .address_space:  global
        .offset:         40
        .size:           8
        .value_kind:     global_buffer
      - .actual_access:  read_only
        .address_space:  global
        .offset:         48
        .size:           8
        .value_kind:     global_buffer
      - .offset:         56
        .size:           4
        .value_kind:     by_value
      - .actual_access:  read_only
        .address_space:  global
        .offset:         64
        .size:           8
        .value_kind:     global_buffer
      - .offset:         72
        .size:           4
        .value_kind:     by_value
      - .offset:         76
        .size:           4
        .value_kind:     by_value
      - .offset:         80
        .size:           4
        .value_kind:     by_value
      - .actual_access:  read_only
        .address_space:  global
        .offset:         88
        .size:           8
        .value_kind:     global_buffer
      - .actual_access:  read_only
        .address_space:  global
        .offset:         96
        .size:           8
        .value_kind:     global_buffer
      - .actual_access:  read_only
        .address_space:  global
        .offset:         104
        .size:           8
        .value_kind:     global_buffer
      - .actual_access:  read_only
        .address_space:  global
        .offset:         112
        .size:           8
        .value_kind:     global_buffer
      - .offset:         120
        .size:           4
        .value_kind:     by_value
      - .address_space:  global
        .offset:         128
        .size:           8
        .value_kind:     global_buffer
      - .address_space:  global
        .offset:         136
        .size:           8
        .value_kind:     global_buffer
      - .offset:         144
        .size:           4
        .value_kind:     hidden_block_count_x
      - .offset:         148
        .size:           4
        .value_kind:     hidden_block_count_y
      - .offset:         152
        .size:           4
        .value_kind:     hidden_block_count_z
      - .offset:         156
        .size:           2
        .value_kind:     hidden_group_size_x
      - .offset:         158
        .size:           2
        .value_kind:     hidden_group_size_y
      - .offset:         160
        .size:           2
        .value_kind:     hidden_group_size_z
      - .offset:         162
        .size:           2
        .value_kind:     hidden_remainder_x
      - .offset:         164
        .size:           2
        .value_kind:     hidden_remainder_y
      - .offset:         166
        .size:           2
        .value_kind:     hidden_remainder_z
      - .offset:         184
        .size:           8
        .value_kind:     hidden_global_offset_x
      - .offset:         192
        .size:           8
        .value_kind:     hidden_global_offset_y
      - .offset:         200
        .size:           8
        .value_kind:     hidden_global_offset_z
      - .offset:         208
        .size:           2
        .value_kind:     hidden_grid_dims
      - .offset:         224
        .size:           8
        .value_kind:     hidden_hostcall_buffer
    .group_segment_fixed_size: 8192
    .kernarg_segment_align: 8
    .kernarg_segment_size: 400
    .language:       OpenCL C
    .language_version:
      - 2
      - 0
    .max_flat_workgroup_size: 256
    .name:           _Z39paged_attention_ll4mi_QKV_mfma16_kernelI14__hip_bfloat16hLN4vllm18Fp8KVCacheDataTypeE1ES0_Li32ELi128ELi256ELb1ELi7EL8MFMAType1EEvPKT_PKT0_S9_ifPKiSB_SB_iPKfiiiPfSE_PS4_PT2_iSD_SD_
    .private_segment_fixed_size: 64
    .sgpr_count:     40
    .sgpr_spill_count: 0
    .symbol:         _Z39paged_attention_ll4mi_QKV_mfma16_kernelI14__hip_bfloat16hLN4vllm18Fp8KVCacheDataTypeE1ES0_Li32ELi128ELi256ELb1ELi7EL8MFMAType1EEvPKT_PKT0_S9_ifPKiSB_SB_iPKfiiiPfSE_PS4_PT2_iSD_SD_.kd
    .uniform_work_group_size: 1
    .uses_dynamic_stack: false
    .vgpr_count:     45
    .vgpr_spill_count: 0
    .wavefront_size: 64
  - .agpr_count:     1
    .args:
      - .actual_access:  read_only
        .address_space:  global
        .offset:         0
        .size:           8
        .value_kind:     global_buffer
      - .actual_access:  read_only
        .address_space:  global
        .offset:         8
        .size:           8
        .value_kind:     global_buffer
      - .actual_access:  read_only
        .address_space:  global
        .offset:         16
        .size:           8
        .value_kind:     global_buffer
      - .offset:         24
        .size:           4
        .value_kind:     by_value
      - .offset:         28
        .size:           4
        .value_kind:     by_value
      - .actual_access:  read_only
        .address_space:  global
        .offset:         32
        .size:           8
        .value_kind:     global_buffer
      - .actual_access:  read_only
        .address_space:  global
        .offset:         40
        .size:           8
        .value_kind:     global_buffer
      - .actual_access:  read_only
        .address_space:  global
        .offset:         48
        .size:           8
        .value_kind:     global_buffer
      - .offset:         56
        .size:           4
        .value_kind:     by_value
      - .actual_access:  read_only
        .address_space:  global
        .offset:         64
        .size:           8
        .value_kind:     global_buffer
      - .offset:         72
        .size:           4
        .value_kind:     by_value
      - .offset:         76
        .size:           4
        .value_kind:     by_value
      - .offset:         80
        .size:           4
        .value_kind:     by_value
      - .actual_access:  read_only
        .address_space:  global
        .offset:         88
        .size:           8
        .value_kind:     global_buffer
      - .actual_access:  read_only
        .address_space:  global
        .offset:         96
        .size:           8
        .value_kind:     global_buffer
      - .actual_access:  read_only
        .address_space:  global
        .offset:         104
        .size:           8
        .value_kind:     global_buffer
      - .actual_access:  read_only
        .address_space:  global
        .offset:         112
        .size:           8
        .value_kind:     global_buffer
      - .offset:         120
        .size:           4
        .value_kind:     by_value
      - .address_space:  global
        .offset:         128
        .size:           8
        .value_kind:     global_buffer
      - .address_space:  global
        .offset:         136
        .size:           8
        .value_kind:     global_buffer
      - .offset:         144
        .size:           4
        .value_kind:     hidden_block_count_x
      - .offset:         148
        .size:           4
        .value_kind:     hidden_block_count_y
      - .offset:         152
        .size:           4
        .value_kind:     hidden_block_count_z
      - .offset:         156
        .size:           2
        .value_kind:     hidden_group_size_x
      - .offset:         158
        .size:           2
        .value_kind:     hidden_group_size_y
      - .offset:         160
        .size:           2
        .value_kind:     hidden_group_size_z
      - .offset:         162
        .size:           2
        .value_kind:     hidden_remainder_x
      - .offset:         164
        .size:           2
        .value_kind:     hidden_remainder_y
      - .offset:         166
        .size:           2
        .value_kind:     hidden_remainder_z
      - .offset:         184
        .size:           8
        .value_kind:     hidden_global_offset_x
      - .offset:         192
        .size:           8
        .value_kind:     hidden_global_offset_y
      - .offset:         200
        .size:           8
        .value_kind:     hidden_global_offset_z
      - .offset:         208
        .size:           2
        .value_kind:     hidden_grid_dims
      - .offset:         224
        .size:           8
        .value_kind:     hidden_hostcall_buffer
    .group_segment_fixed_size: 8192
    .kernarg_segment_align: 8
    .kernarg_segment_size: 400
    .language:       OpenCL C
    .language_version:
      - 2
      - 0
    .max_flat_workgroup_size: 256
    .name:           _Z39paged_attention_ll4mi_QKV_mfma16_kernelI14__hip_bfloat16hLN4vllm18Fp8KVCacheDataTypeE1ES0_Li32ELi128ELi256ELb1ELi8EL8MFMAType1EEvPKT_PKT0_S9_ifPKiSB_SB_iPKfiiiPfSE_PS4_PT2_iSD_SD_
    .private_segment_fixed_size: 64
    .sgpr_count:     40
    .sgpr_spill_count: 0
    .symbol:         _Z39paged_attention_ll4mi_QKV_mfma16_kernelI14__hip_bfloat16hLN4vllm18Fp8KVCacheDataTypeE1ES0_Li32ELi128ELi256ELb1ELi8EL8MFMAType1EEvPKT_PKT0_S9_ifPKiSB_SB_iPKfiiiPfSE_PS4_PT2_iSD_SD_.kd
    .uniform_work_group_size: 1
    .uses_dynamic_stack: false
    .vgpr_count:     45
    .vgpr_spill_count: 0
    .wavefront_size: 64
  - .agpr_count:     1
    .args:
      - .actual_access:  read_only
        .address_space:  global
        .offset:         0
        .size:           8
        .value_kind:     global_buffer
      - .actual_access:  read_only
        .address_space:  global
        .offset:         8
        .size:           8
        .value_kind:     global_buffer
      - .actual_access:  read_only
        .address_space:  global
        .offset:         16
        .size:           8
        .value_kind:     global_buffer
      - .offset:         24
        .size:           4
        .value_kind:     by_value
      - .offset:         28
        .size:           4
        .value_kind:     by_value
      - .actual_access:  read_only
        .address_space:  global
        .offset:         32
        .size:           8
        .value_kind:     global_buffer
      - .actual_access:  read_only
        .address_space:  global
        .offset:         40
        .size:           8
        .value_kind:     global_buffer
      - .actual_access:  read_only
        .address_space:  global
        .offset:         48
        .size:           8
        .value_kind:     global_buffer
      - .offset:         56
        .size:           4
        .value_kind:     by_value
      - .actual_access:  read_only
        .address_space:  global
        .offset:         64
        .size:           8
        .value_kind:     global_buffer
      - .offset:         72
        .size:           4
        .value_kind:     by_value
      - .offset:         76
        .size:           4
        .value_kind:     by_value
      - .offset:         80
        .size:           4
        .value_kind:     by_value
      - .actual_access:  read_only
        .address_space:  global
        .offset:         88
        .size:           8
        .value_kind:     global_buffer
      - .actual_access:  read_only
        .address_space:  global
        .offset:         96
        .size:           8
        .value_kind:     global_buffer
      - .actual_access:  read_only
        .address_space:  global
        .offset:         104
        .size:           8
        .value_kind:     global_buffer
      - .actual_access:  read_only
        .address_space:  global
        .offset:         112
        .size:           8
        .value_kind:     global_buffer
      - .offset:         120
        .size:           4
        .value_kind:     by_value
      - .address_space:  global
        .offset:         128
        .size:           8
        .value_kind:     global_buffer
      - .address_space:  global
        .offset:         136
        .size:           8
        .value_kind:     global_buffer
      - .offset:         144
        .size:           4
        .value_kind:     hidden_block_count_x
      - .offset:         148
        .size:           4
        .value_kind:     hidden_block_count_y
      - .offset:         152
        .size:           4
        .value_kind:     hidden_block_count_z
      - .offset:         156
        .size:           2
        .value_kind:     hidden_group_size_x
      - .offset:         158
        .size:           2
        .value_kind:     hidden_group_size_y
      - .offset:         160
        .size:           2
        .value_kind:     hidden_group_size_z
      - .offset:         162
        .size:           2
        .value_kind:     hidden_remainder_x
      - .offset:         164
        .size:           2
        .value_kind:     hidden_remainder_y
      - .offset:         166
        .size:           2
        .value_kind:     hidden_remainder_z
      - .offset:         184
        .size:           8
        .value_kind:     hidden_global_offset_x
      - .offset:         192
        .size:           8
        .value_kind:     hidden_global_offset_y
      - .offset:         200
        .size:           8
        .value_kind:     hidden_global_offset_z
      - .offset:         208
        .size:           2
        .value_kind:     hidden_grid_dims
      - .offset:         224
        .size:           8
        .value_kind:     hidden_hostcall_buffer
    .group_segment_fixed_size: 8192
    .kernarg_segment_align: 8
    .kernarg_segment_size: 400
    .language:       OpenCL C
    .language_version:
      - 2
      - 0
    .max_flat_workgroup_size: 256
    .name:           _Z39paged_attention_ll4mi_QKV_mfma16_kernelI14__hip_bfloat16hLN4vllm18Fp8KVCacheDataTypeE1ES0_Li32ELi128ELi256ELb1ELi9EL8MFMAType1EEvPKT_PKT0_S9_ifPKiSB_SB_iPKfiiiPfSE_PS4_PT2_iSD_SD_
    .private_segment_fixed_size: 64
    .sgpr_count:     40
    .sgpr_spill_count: 0
    .symbol:         _Z39paged_attention_ll4mi_QKV_mfma16_kernelI14__hip_bfloat16hLN4vllm18Fp8KVCacheDataTypeE1ES0_Li32ELi128ELi256ELb1ELi9EL8MFMAType1EEvPKT_PKT0_S9_ifPKiSB_SB_iPKfiiiPfSE_PS4_PT2_iSD_SD_.kd
    .uniform_work_group_size: 1
    .uses_dynamic_stack: false
    .vgpr_count:     45
    .vgpr_spill_count: 0
    .wavefront_size: 64
  - .agpr_count:     1
    .args:
      - .actual_access:  read_only
        .address_space:  global
        .offset:         0
        .size:           8
        .value_kind:     global_buffer
      - .actual_access:  read_only
        .address_space:  global
        .offset:         8
        .size:           8
        .value_kind:     global_buffer
      - .actual_access:  read_only
        .address_space:  global
        .offset:         16
        .size:           8
        .value_kind:     global_buffer
      - .offset:         24
        .size:           4
        .value_kind:     by_value
      - .offset:         28
        .size:           4
        .value_kind:     by_value
      - .actual_access:  read_only
        .address_space:  global
        .offset:         32
        .size:           8
        .value_kind:     global_buffer
      - .actual_access:  read_only
        .address_space:  global
        .offset:         40
        .size:           8
        .value_kind:     global_buffer
      - .actual_access:  read_only
        .address_space:  global
        .offset:         48
        .size:           8
        .value_kind:     global_buffer
      - .offset:         56
        .size:           4
        .value_kind:     by_value
      - .actual_access:  read_only
        .address_space:  global
        .offset:         64
        .size:           8
        .value_kind:     global_buffer
      - .offset:         72
        .size:           4
        .value_kind:     by_value
      - .offset:         76
        .size:           4
        .value_kind:     by_value
      - .offset:         80
        .size:           4
        .value_kind:     by_value
      - .actual_access:  read_only
        .address_space:  global
        .offset:         88
        .size:           8
        .value_kind:     global_buffer
      - .actual_access:  read_only
        .address_space:  global
        .offset:         96
        .size:           8
        .value_kind:     global_buffer
      - .actual_access:  read_only
        .address_space:  global
        .offset:         104
        .size:           8
        .value_kind:     global_buffer
      - .actual_access:  read_only
        .address_space:  global
        .offset:         112
        .size:           8
        .value_kind:     global_buffer
      - .offset:         120
        .size:           4
        .value_kind:     by_value
      - .address_space:  global
        .offset:         128
        .size:           8
        .value_kind:     global_buffer
      - .address_space:  global
        .offset:         136
        .size:           8
        .value_kind:     global_buffer
      - .offset:         144
        .size:           4
        .value_kind:     hidden_block_count_x
      - .offset:         148
        .size:           4
        .value_kind:     hidden_block_count_y
      - .offset:         152
        .size:           4
        .value_kind:     hidden_block_count_z
      - .offset:         156
        .size:           2
        .value_kind:     hidden_group_size_x
      - .offset:         158
        .size:           2
        .value_kind:     hidden_group_size_y
      - .offset:         160
        .size:           2
        .value_kind:     hidden_group_size_z
      - .offset:         162
        .size:           2
        .value_kind:     hidden_remainder_x
      - .offset:         164
        .size:           2
        .value_kind:     hidden_remainder_y
      - .offset:         166
        .size:           2
        .value_kind:     hidden_remainder_z
      - .offset:         184
        .size:           8
        .value_kind:     hidden_global_offset_x
      - .offset:         192
        .size:           8
        .value_kind:     hidden_global_offset_y
      - .offset:         200
        .size:           8
        .value_kind:     hidden_global_offset_z
      - .offset:         208
        .size:           2
        .value_kind:     hidden_grid_dims
      - .offset:         224
        .size:           8
        .value_kind:     hidden_hostcall_buffer
    .group_segment_fixed_size: 8192
    .kernarg_segment_align: 8
    .kernarg_segment_size: 400
    .language:       OpenCL C
    .language_version:
      - 2
      - 0
    .max_flat_workgroup_size: 256
    .name:           _Z39paged_attention_ll4mi_QKV_mfma16_kernelI14__hip_bfloat16hLN4vllm18Fp8KVCacheDataTypeE1ES0_Li32ELi128ELi256ELb1ELi10EL8MFMAType1EEvPKT_PKT0_S9_ifPKiSB_SB_iPKfiiiPfSE_PS4_PT2_iSD_SD_
    .private_segment_fixed_size: 64
    .sgpr_count:     40
    .sgpr_spill_count: 0
    .symbol:         _Z39paged_attention_ll4mi_QKV_mfma16_kernelI14__hip_bfloat16hLN4vllm18Fp8KVCacheDataTypeE1ES0_Li32ELi128ELi256ELb1ELi10EL8MFMAType1EEvPKT_PKT0_S9_ifPKiSB_SB_iPKfiiiPfSE_PS4_PT2_iSD_SD_.kd
    .uniform_work_group_size: 1
    .uses_dynamic_stack: false
    .vgpr_count:     45
    .vgpr_spill_count: 0
    .wavefront_size: 64
  - .agpr_count:     1
    .args:
      - .actual_access:  read_only
        .address_space:  global
        .offset:         0
        .size:           8
        .value_kind:     global_buffer
      - .actual_access:  read_only
        .address_space:  global
        .offset:         8
        .size:           8
        .value_kind:     global_buffer
      - .actual_access:  read_only
        .address_space:  global
        .offset:         16
        .size:           8
        .value_kind:     global_buffer
      - .offset:         24
        .size:           4
        .value_kind:     by_value
      - .offset:         28
        .size:           4
        .value_kind:     by_value
      - .actual_access:  read_only
        .address_space:  global
        .offset:         32
        .size:           8
        .value_kind:     global_buffer
      - .actual_access:  read_only
        .address_space:  global
        .offset:         40
        .size:           8
        .value_kind:     global_buffer
      - .actual_access:  read_only
        .address_space:  global
        .offset:         48
        .size:           8
        .value_kind:     global_buffer
      - .offset:         56
        .size:           4
        .value_kind:     by_value
      - .actual_access:  read_only
        .address_space:  global
        .offset:         64
        .size:           8
        .value_kind:     global_buffer
      - .offset:         72
        .size:           4
        .value_kind:     by_value
      - .offset:         76
        .size:           4
        .value_kind:     by_value
      - .offset:         80
        .size:           4
        .value_kind:     by_value
      - .actual_access:  read_only
        .address_space:  global
        .offset:         88
        .size:           8
        .value_kind:     global_buffer
      - .actual_access:  read_only
        .address_space:  global
        .offset:         96
        .size:           8
        .value_kind:     global_buffer
      - .actual_access:  read_only
        .address_space:  global
        .offset:         104
        .size:           8
        .value_kind:     global_buffer
      - .actual_access:  read_only
        .address_space:  global
        .offset:         112
        .size:           8
        .value_kind:     global_buffer
      - .offset:         120
        .size:           4
        .value_kind:     by_value
      - .address_space:  global
        .offset:         128
        .size:           8
        .value_kind:     global_buffer
      - .address_space:  global
        .offset:         136
        .size:           8
        .value_kind:     global_buffer
      - .offset:         144
        .size:           4
        .value_kind:     hidden_block_count_x
      - .offset:         148
        .size:           4
        .value_kind:     hidden_block_count_y
      - .offset:         152
        .size:           4
        .value_kind:     hidden_block_count_z
      - .offset:         156
        .size:           2
        .value_kind:     hidden_group_size_x
      - .offset:         158
        .size:           2
        .value_kind:     hidden_group_size_y
      - .offset:         160
        .size:           2
        .value_kind:     hidden_group_size_z
      - .offset:         162
        .size:           2
        .value_kind:     hidden_remainder_x
      - .offset:         164
        .size:           2
        .value_kind:     hidden_remainder_y
      - .offset:         166
        .size:           2
        .value_kind:     hidden_remainder_z
      - .offset:         184
        .size:           8
        .value_kind:     hidden_global_offset_x
      - .offset:         192
        .size:           8
        .value_kind:     hidden_global_offset_y
      - .offset:         200
        .size:           8
        .value_kind:     hidden_global_offset_z
      - .offset:         208
        .size:           2
        .value_kind:     hidden_grid_dims
      - .offset:         224
        .size:           8
        .value_kind:     hidden_hostcall_buffer
    .group_segment_fixed_size: 8192
    .kernarg_segment_align: 8
    .kernarg_segment_size: 400
    .language:       OpenCL C
    .language_version:
      - 2
      - 0
    .max_flat_workgroup_size: 256
    .name:           _Z39paged_attention_ll4mi_QKV_mfma16_kernelI14__hip_bfloat16hLN4vllm18Fp8KVCacheDataTypeE1ES0_Li32ELi128ELi256ELb1ELi11EL8MFMAType1EEvPKT_PKT0_S9_ifPKiSB_SB_iPKfiiiPfSE_PS4_PT2_iSD_SD_
    .private_segment_fixed_size: 64
    .sgpr_count:     40
    .sgpr_spill_count: 0
    .symbol:         _Z39paged_attention_ll4mi_QKV_mfma16_kernelI14__hip_bfloat16hLN4vllm18Fp8KVCacheDataTypeE1ES0_Li32ELi128ELi256ELb1ELi11EL8MFMAType1EEvPKT_PKT0_S9_ifPKiSB_SB_iPKfiiiPfSE_PS4_PT2_iSD_SD_.kd
    .uniform_work_group_size: 1
    .uses_dynamic_stack: false
    .vgpr_count:     45
    .vgpr_spill_count: 0
    .wavefront_size: 64
  - .agpr_count:     1
    .args:
      - .actual_access:  read_only
        .address_space:  global
        .offset:         0
        .size:           8
        .value_kind:     global_buffer
      - .actual_access:  read_only
        .address_space:  global
        .offset:         8
        .size:           8
        .value_kind:     global_buffer
      - .actual_access:  read_only
        .address_space:  global
        .offset:         16
        .size:           8
        .value_kind:     global_buffer
      - .offset:         24
        .size:           4
        .value_kind:     by_value
      - .offset:         28
        .size:           4
        .value_kind:     by_value
      - .actual_access:  read_only
        .address_space:  global
        .offset:         32
        .size:           8
        .value_kind:     global_buffer
      - .actual_access:  read_only
        .address_space:  global
        .offset:         40
        .size:           8
        .value_kind:     global_buffer
      - .actual_access:  read_only
        .address_space:  global
        .offset:         48
        .size:           8
        .value_kind:     global_buffer
      - .offset:         56
        .size:           4
        .value_kind:     by_value
      - .actual_access:  read_only
        .address_space:  global
        .offset:         64
        .size:           8
        .value_kind:     global_buffer
      - .offset:         72
        .size:           4
        .value_kind:     by_value
      - .offset:         76
        .size:           4
        .value_kind:     by_value
      - .offset:         80
        .size:           4
        .value_kind:     by_value
      - .actual_access:  read_only
        .address_space:  global
        .offset:         88
        .size:           8
        .value_kind:     global_buffer
      - .actual_access:  read_only
        .address_space:  global
        .offset:         96
        .size:           8
        .value_kind:     global_buffer
      - .actual_access:  read_only
        .address_space:  global
        .offset:         104
        .size:           8
        .value_kind:     global_buffer
      - .actual_access:  read_only
        .address_space:  global
        .offset:         112
        .size:           8
        .value_kind:     global_buffer
      - .offset:         120
        .size:           4
        .value_kind:     by_value
      - .address_space:  global
        .offset:         128
        .size:           8
        .value_kind:     global_buffer
      - .address_space:  global
        .offset:         136
        .size:           8
        .value_kind:     global_buffer
      - .offset:         144
        .size:           4
        .value_kind:     hidden_block_count_x
      - .offset:         148
        .size:           4
        .value_kind:     hidden_block_count_y
      - .offset:         152
        .size:           4
        .value_kind:     hidden_block_count_z
      - .offset:         156
        .size:           2
        .value_kind:     hidden_group_size_x
      - .offset:         158
        .size:           2
        .value_kind:     hidden_group_size_y
      - .offset:         160
        .size:           2
        .value_kind:     hidden_group_size_z
      - .offset:         162
        .size:           2
        .value_kind:     hidden_remainder_x
      - .offset:         164
        .size:           2
        .value_kind:     hidden_remainder_y
      - .offset:         166
        .size:           2
        .value_kind:     hidden_remainder_z
      - .offset:         184
        .size:           8
        .value_kind:     hidden_global_offset_x
      - .offset:         192
        .size:           8
        .value_kind:     hidden_global_offset_y
      - .offset:         200
        .size:           8
        .value_kind:     hidden_global_offset_z
      - .offset:         208
        .size:           2
        .value_kind:     hidden_grid_dims
      - .offset:         224
        .size:           8
        .value_kind:     hidden_hostcall_buffer
    .group_segment_fixed_size: 8192
    .kernarg_segment_align: 8
    .kernarg_segment_size: 400
    .language:       OpenCL C
    .language_version:
      - 2
      - 0
    .max_flat_workgroup_size: 256
    .name:           _Z39paged_attention_ll4mi_QKV_mfma16_kernelI14__hip_bfloat16hLN4vllm18Fp8KVCacheDataTypeE1ES0_Li32ELi128ELi256ELb1ELi12EL8MFMAType1EEvPKT_PKT0_S9_ifPKiSB_SB_iPKfiiiPfSE_PS4_PT2_iSD_SD_
    .private_segment_fixed_size: 64
    .sgpr_count:     40
    .sgpr_spill_count: 0
    .symbol:         _Z39paged_attention_ll4mi_QKV_mfma16_kernelI14__hip_bfloat16hLN4vllm18Fp8KVCacheDataTypeE1ES0_Li32ELi128ELi256ELb1ELi12EL8MFMAType1EEvPKT_PKT0_S9_ifPKiSB_SB_iPKfiiiPfSE_PS4_PT2_iSD_SD_.kd
    .uniform_work_group_size: 1
    .uses_dynamic_stack: false
    .vgpr_count:     45
    .vgpr_spill_count: 0
    .wavefront_size: 64
  - .agpr_count:     1
    .args:
      - .actual_access:  read_only
        .address_space:  global
        .offset:         0
        .size:           8
        .value_kind:     global_buffer
      - .actual_access:  read_only
        .address_space:  global
        .offset:         8
        .size:           8
        .value_kind:     global_buffer
      - .actual_access:  read_only
        .address_space:  global
        .offset:         16
        .size:           8
        .value_kind:     global_buffer
      - .offset:         24
        .size:           4
        .value_kind:     by_value
      - .offset:         28
        .size:           4
        .value_kind:     by_value
      - .actual_access:  read_only
        .address_space:  global
        .offset:         32
        .size:           8
        .value_kind:     global_buffer
      - .actual_access:  read_only
        .address_space:  global
        .offset:         40
        .size:           8
        .value_kind:     global_buffer
      - .actual_access:  read_only
        .address_space:  global
        .offset:         48
        .size:           8
        .value_kind:     global_buffer
      - .offset:         56
        .size:           4
        .value_kind:     by_value
      - .actual_access:  read_only
        .address_space:  global
        .offset:         64
        .size:           8
        .value_kind:     global_buffer
      - .offset:         72
        .size:           4
        .value_kind:     by_value
      - .offset:         76
        .size:           4
        .value_kind:     by_value
      - .offset:         80
        .size:           4
        .value_kind:     by_value
      - .actual_access:  read_only
        .address_space:  global
        .offset:         88
        .size:           8
        .value_kind:     global_buffer
      - .actual_access:  read_only
        .address_space:  global
        .offset:         96
        .size:           8
        .value_kind:     global_buffer
      - .actual_access:  read_only
        .address_space:  global
        .offset:         104
        .size:           8
        .value_kind:     global_buffer
      - .actual_access:  read_only
        .address_space:  global
        .offset:         112
        .size:           8
        .value_kind:     global_buffer
      - .offset:         120
        .size:           4
        .value_kind:     by_value
      - .address_space:  global
        .offset:         128
        .size:           8
        .value_kind:     global_buffer
      - .address_space:  global
        .offset:         136
        .size:           8
        .value_kind:     global_buffer
      - .offset:         144
        .size:           4
        .value_kind:     hidden_block_count_x
      - .offset:         148
        .size:           4
        .value_kind:     hidden_block_count_y
      - .offset:         152
        .size:           4
        .value_kind:     hidden_block_count_z
      - .offset:         156
        .size:           2
        .value_kind:     hidden_group_size_x
      - .offset:         158
        .size:           2
        .value_kind:     hidden_group_size_y
      - .offset:         160
        .size:           2
        .value_kind:     hidden_group_size_z
      - .offset:         162
        .size:           2
        .value_kind:     hidden_remainder_x
      - .offset:         164
        .size:           2
        .value_kind:     hidden_remainder_y
      - .offset:         166
        .size:           2
        .value_kind:     hidden_remainder_z
      - .offset:         184
        .size:           8
        .value_kind:     hidden_global_offset_x
      - .offset:         192
        .size:           8
        .value_kind:     hidden_global_offset_y
      - .offset:         200
        .size:           8
        .value_kind:     hidden_global_offset_z
      - .offset:         208
        .size:           2
        .value_kind:     hidden_grid_dims
      - .offset:         224
        .size:           8
        .value_kind:     hidden_hostcall_buffer
    .group_segment_fixed_size: 8192
    .kernarg_segment_align: 8
    .kernarg_segment_size: 400
    .language:       OpenCL C
    .language_version:
      - 2
      - 0
    .max_flat_workgroup_size: 256
    .name:           _Z39paged_attention_ll4mi_QKV_mfma16_kernelI14__hip_bfloat16hLN4vllm18Fp8KVCacheDataTypeE1ES0_Li32ELi128ELi256ELb1ELi13EL8MFMAType1EEvPKT_PKT0_S9_ifPKiSB_SB_iPKfiiiPfSE_PS4_PT2_iSD_SD_
    .private_segment_fixed_size: 64
    .sgpr_count:     40
    .sgpr_spill_count: 0
    .symbol:         _Z39paged_attention_ll4mi_QKV_mfma16_kernelI14__hip_bfloat16hLN4vllm18Fp8KVCacheDataTypeE1ES0_Li32ELi128ELi256ELb1ELi13EL8MFMAType1EEvPKT_PKT0_S9_ifPKiSB_SB_iPKfiiiPfSE_PS4_PT2_iSD_SD_.kd
    .uniform_work_group_size: 1
    .uses_dynamic_stack: false
    .vgpr_count:     45
    .vgpr_spill_count: 0
    .wavefront_size: 64
  - .agpr_count:     1
    .args:
      - .actual_access:  read_only
        .address_space:  global
        .offset:         0
        .size:           8
        .value_kind:     global_buffer
      - .actual_access:  read_only
        .address_space:  global
        .offset:         8
        .size:           8
        .value_kind:     global_buffer
      - .actual_access:  read_only
        .address_space:  global
        .offset:         16
        .size:           8
        .value_kind:     global_buffer
      - .offset:         24
        .size:           4
        .value_kind:     by_value
      - .offset:         28
        .size:           4
        .value_kind:     by_value
      - .actual_access:  read_only
        .address_space:  global
        .offset:         32
        .size:           8
        .value_kind:     global_buffer
      - .actual_access:  read_only
        .address_space:  global
        .offset:         40
        .size:           8
        .value_kind:     global_buffer
      - .actual_access:  read_only
        .address_space:  global
        .offset:         48
        .size:           8
        .value_kind:     global_buffer
      - .offset:         56
        .size:           4
        .value_kind:     by_value
      - .actual_access:  read_only
        .address_space:  global
        .offset:         64
        .size:           8
        .value_kind:     global_buffer
      - .offset:         72
        .size:           4
        .value_kind:     by_value
      - .offset:         76
        .size:           4
        .value_kind:     by_value
      - .offset:         80
        .size:           4
        .value_kind:     by_value
      - .actual_access:  read_only
        .address_space:  global
        .offset:         88
        .size:           8
        .value_kind:     global_buffer
      - .actual_access:  read_only
        .address_space:  global
        .offset:         96
        .size:           8
        .value_kind:     global_buffer
      - .actual_access:  read_only
        .address_space:  global
        .offset:         104
        .size:           8
        .value_kind:     global_buffer
      - .actual_access:  read_only
        .address_space:  global
        .offset:         112
        .size:           8
        .value_kind:     global_buffer
      - .offset:         120
        .size:           4
        .value_kind:     by_value
      - .address_space:  global
        .offset:         128
        .size:           8
        .value_kind:     global_buffer
      - .address_space:  global
        .offset:         136
        .size:           8
        .value_kind:     global_buffer
      - .offset:         144
        .size:           4
        .value_kind:     hidden_block_count_x
      - .offset:         148
        .size:           4
        .value_kind:     hidden_block_count_y
      - .offset:         152
        .size:           4
        .value_kind:     hidden_block_count_z
      - .offset:         156
        .size:           2
        .value_kind:     hidden_group_size_x
      - .offset:         158
        .size:           2
        .value_kind:     hidden_group_size_y
      - .offset:         160
        .size:           2
        .value_kind:     hidden_group_size_z
      - .offset:         162
        .size:           2
        .value_kind:     hidden_remainder_x
      - .offset:         164
        .size:           2
        .value_kind:     hidden_remainder_y
      - .offset:         166
        .size:           2
        .value_kind:     hidden_remainder_z
      - .offset:         184
        .size:           8
        .value_kind:     hidden_global_offset_x
      - .offset:         192
        .size:           8
        .value_kind:     hidden_global_offset_y
      - .offset:         200
        .size:           8
        .value_kind:     hidden_global_offset_z
      - .offset:         208
        .size:           2
        .value_kind:     hidden_grid_dims
      - .offset:         224
        .size:           8
        .value_kind:     hidden_hostcall_buffer
    .group_segment_fixed_size: 8192
    .kernarg_segment_align: 8
    .kernarg_segment_size: 400
    .language:       OpenCL C
    .language_version:
      - 2
      - 0
    .max_flat_workgroup_size: 256
    .name:           _Z39paged_attention_ll4mi_QKV_mfma16_kernelI14__hip_bfloat16hLN4vllm18Fp8KVCacheDataTypeE1ES0_Li32ELi128ELi256ELb1ELi14EL8MFMAType1EEvPKT_PKT0_S9_ifPKiSB_SB_iPKfiiiPfSE_PS4_PT2_iSD_SD_
    .private_segment_fixed_size: 64
    .sgpr_count:     40
    .sgpr_spill_count: 0
    .symbol:         _Z39paged_attention_ll4mi_QKV_mfma16_kernelI14__hip_bfloat16hLN4vllm18Fp8KVCacheDataTypeE1ES0_Li32ELi128ELi256ELb1ELi14EL8MFMAType1EEvPKT_PKT0_S9_ifPKiSB_SB_iPKfiiiPfSE_PS4_PT2_iSD_SD_.kd
    .uniform_work_group_size: 1
    .uses_dynamic_stack: false
    .vgpr_count:     45
    .vgpr_spill_count: 0
    .wavefront_size: 64
  - .agpr_count:     1
    .args:
      - .actual_access:  read_only
        .address_space:  global
        .offset:         0
        .size:           8
        .value_kind:     global_buffer
      - .actual_access:  read_only
        .address_space:  global
        .offset:         8
        .size:           8
        .value_kind:     global_buffer
      - .actual_access:  read_only
        .address_space:  global
        .offset:         16
        .size:           8
        .value_kind:     global_buffer
      - .offset:         24
        .size:           4
        .value_kind:     by_value
      - .offset:         28
        .size:           4
        .value_kind:     by_value
      - .actual_access:  read_only
        .address_space:  global
        .offset:         32
        .size:           8
        .value_kind:     global_buffer
      - .actual_access:  read_only
        .address_space:  global
        .offset:         40
        .size:           8
        .value_kind:     global_buffer
      - .actual_access:  read_only
        .address_space:  global
        .offset:         48
        .size:           8
        .value_kind:     global_buffer
      - .offset:         56
        .size:           4
        .value_kind:     by_value
      - .actual_access:  read_only
        .address_space:  global
        .offset:         64
        .size:           8
        .value_kind:     global_buffer
      - .offset:         72
        .size:           4
        .value_kind:     by_value
      - .offset:         76
        .size:           4
        .value_kind:     by_value
      - .offset:         80
        .size:           4
        .value_kind:     by_value
      - .actual_access:  read_only
        .address_space:  global
        .offset:         88
        .size:           8
        .value_kind:     global_buffer
      - .actual_access:  read_only
        .address_space:  global
        .offset:         96
        .size:           8
        .value_kind:     global_buffer
      - .actual_access:  read_only
        .address_space:  global
        .offset:         104
        .size:           8
        .value_kind:     global_buffer
      - .actual_access:  read_only
        .address_space:  global
        .offset:         112
        .size:           8
        .value_kind:     global_buffer
      - .offset:         120
        .size:           4
        .value_kind:     by_value
      - .address_space:  global
        .offset:         128
        .size:           8
        .value_kind:     global_buffer
      - .address_space:  global
        .offset:         136
        .size:           8
        .value_kind:     global_buffer
      - .offset:         144
        .size:           4
        .value_kind:     hidden_block_count_x
      - .offset:         148
        .size:           4
        .value_kind:     hidden_block_count_y
      - .offset:         152
        .size:           4
        .value_kind:     hidden_block_count_z
      - .offset:         156
        .size:           2
        .value_kind:     hidden_group_size_x
      - .offset:         158
        .size:           2
        .value_kind:     hidden_group_size_y
      - .offset:         160
        .size:           2
        .value_kind:     hidden_group_size_z
      - .offset:         162
        .size:           2
        .value_kind:     hidden_remainder_x
      - .offset:         164
        .size:           2
        .value_kind:     hidden_remainder_y
      - .offset:         166
        .size:           2
        .value_kind:     hidden_remainder_z
      - .offset:         184
        .size:           8
        .value_kind:     hidden_global_offset_x
      - .offset:         192
        .size:           8
        .value_kind:     hidden_global_offset_y
      - .offset:         200
        .size:           8
        .value_kind:     hidden_global_offset_z
      - .offset:         208
        .size:           2
        .value_kind:     hidden_grid_dims
      - .offset:         224
        .size:           8
        .value_kind:     hidden_hostcall_buffer
    .group_segment_fixed_size: 8192
    .kernarg_segment_align: 8
    .kernarg_segment_size: 400
    .language:       OpenCL C
    .language_version:
      - 2
      - 0
    .max_flat_workgroup_size: 256
    .name:           _Z39paged_attention_ll4mi_QKV_mfma16_kernelI14__hip_bfloat16hLN4vllm18Fp8KVCacheDataTypeE1ES0_Li32ELi128ELi256ELb1ELi15EL8MFMAType1EEvPKT_PKT0_S9_ifPKiSB_SB_iPKfiiiPfSE_PS4_PT2_iSD_SD_
    .private_segment_fixed_size: 64
    .sgpr_count:     40
    .sgpr_spill_count: 0
    .symbol:         _Z39paged_attention_ll4mi_QKV_mfma16_kernelI14__hip_bfloat16hLN4vllm18Fp8KVCacheDataTypeE1ES0_Li32ELi128ELi256ELb1ELi15EL8MFMAType1EEvPKT_PKT0_S9_ifPKiSB_SB_iPKfiiiPfSE_PS4_PT2_iSD_SD_.kd
    .uniform_work_group_size: 1
    .uses_dynamic_stack: false
    .vgpr_count:     45
    .vgpr_spill_count: 0
    .wavefront_size: 64
  - .agpr_count:     1
    .args:
      - .actual_access:  read_only
        .address_space:  global
        .offset:         0
        .size:           8
        .value_kind:     global_buffer
      - .actual_access:  read_only
        .address_space:  global
        .offset:         8
        .size:           8
        .value_kind:     global_buffer
      - .actual_access:  read_only
        .address_space:  global
        .offset:         16
        .size:           8
        .value_kind:     global_buffer
      - .offset:         24
        .size:           4
        .value_kind:     by_value
      - .offset:         28
        .size:           4
        .value_kind:     by_value
      - .actual_access:  read_only
        .address_space:  global
        .offset:         32
        .size:           8
        .value_kind:     global_buffer
      - .actual_access:  read_only
        .address_space:  global
        .offset:         40
        .size:           8
        .value_kind:     global_buffer
      - .actual_access:  read_only
        .address_space:  global
        .offset:         48
        .size:           8
        .value_kind:     global_buffer
      - .offset:         56
        .size:           4
        .value_kind:     by_value
      - .actual_access:  read_only
        .address_space:  global
        .offset:         64
        .size:           8
        .value_kind:     global_buffer
      - .offset:         72
        .size:           4
        .value_kind:     by_value
      - .offset:         76
        .size:           4
        .value_kind:     by_value
      - .offset:         80
        .size:           4
        .value_kind:     by_value
      - .actual_access:  read_only
        .address_space:  global
        .offset:         88
        .size:           8
        .value_kind:     global_buffer
      - .actual_access:  read_only
        .address_space:  global
        .offset:         96
        .size:           8
        .value_kind:     global_buffer
      - .actual_access:  read_only
        .address_space:  global
        .offset:         104
        .size:           8
        .value_kind:     global_buffer
      - .actual_access:  read_only
        .address_space:  global
        .offset:         112
        .size:           8
        .value_kind:     global_buffer
      - .offset:         120
        .size:           4
        .value_kind:     by_value
      - .address_space:  global
        .offset:         128
        .size:           8
        .value_kind:     global_buffer
      - .address_space:  global
        .offset:         136
        .size:           8
        .value_kind:     global_buffer
      - .offset:         144
        .size:           4
        .value_kind:     hidden_block_count_x
      - .offset:         148
        .size:           4
        .value_kind:     hidden_block_count_y
      - .offset:         152
        .size:           4
        .value_kind:     hidden_block_count_z
      - .offset:         156
        .size:           2
        .value_kind:     hidden_group_size_x
      - .offset:         158
        .size:           2
        .value_kind:     hidden_group_size_y
      - .offset:         160
        .size:           2
        .value_kind:     hidden_group_size_z
      - .offset:         162
        .size:           2
        .value_kind:     hidden_remainder_x
      - .offset:         164
        .size:           2
        .value_kind:     hidden_remainder_y
      - .offset:         166
        .size:           2
        .value_kind:     hidden_remainder_z
      - .offset:         184
        .size:           8
        .value_kind:     hidden_global_offset_x
      - .offset:         192
        .size:           8
        .value_kind:     hidden_global_offset_y
      - .offset:         200
        .size:           8
        .value_kind:     hidden_global_offset_z
      - .offset:         208
        .size:           2
        .value_kind:     hidden_grid_dims
      - .offset:         224
        .size:           8
        .value_kind:     hidden_hostcall_buffer
    .group_segment_fixed_size: 8192
    .kernarg_segment_align: 8
    .kernarg_segment_size: 400
    .language:       OpenCL C
    .language_version:
      - 2
      - 0
    .max_flat_workgroup_size: 256
    .name:           _Z39paged_attention_ll4mi_QKV_mfma16_kernelI14__hip_bfloat16hLN4vllm18Fp8KVCacheDataTypeE1ES0_Li32ELi128ELi256ELb1ELi16EL8MFMAType1EEvPKT_PKT0_S9_ifPKiSB_SB_iPKfiiiPfSE_PS4_PT2_iSD_SD_
    .private_segment_fixed_size: 64
    .sgpr_count:     40
    .sgpr_spill_count: 0
    .symbol:         _Z39paged_attention_ll4mi_QKV_mfma16_kernelI14__hip_bfloat16hLN4vllm18Fp8KVCacheDataTypeE1ES0_Li32ELi128ELi256ELb1ELi16EL8MFMAType1EEvPKT_PKT0_S9_ifPKiSB_SB_iPKfiiiPfSE_PS4_PT2_iSD_SD_.kd
    .uniform_work_group_size: 1
    .uses_dynamic_stack: false
    .vgpr_count:     45
    .vgpr_spill_count: 0
    .wavefront_size: 64
  - .agpr_count:     1
    .args:
      - .actual_access:  read_only
        .address_space:  global
        .offset:         0
        .size:           8
        .value_kind:     global_buffer
      - .actual_access:  read_only
        .address_space:  global
        .offset:         8
        .size:           8
        .value_kind:     global_buffer
      - .actual_access:  read_only
        .address_space:  global
        .offset:         16
        .size:           8
        .value_kind:     global_buffer
      - .offset:         24
        .size:           4
        .value_kind:     by_value
      - .offset:         28
        .size:           4
        .value_kind:     by_value
      - .actual_access:  read_only
        .address_space:  global
        .offset:         32
        .size:           8
        .value_kind:     global_buffer
      - .actual_access:  read_only
        .address_space:  global
        .offset:         40
        .size:           8
        .value_kind:     global_buffer
      - .actual_access:  read_only
        .address_space:  global
        .offset:         48
        .size:           8
        .value_kind:     global_buffer
      - .offset:         56
        .size:           4
        .value_kind:     by_value
      - .actual_access:  read_only
        .address_space:  global
        .offset:         64
        .size:           8
        .value_kind:     global_buffer
      - .offset:         72
        .size:           4
        .value_kind:     by_value
      - .offset:         76
        .size:           4
        .value_kind:     by_value
      - .offset:         80
        .size:           4
        .value_kind:     by_value
      - .actual_access:  read_only
        .address_space:  global
        .offset:         88
        .size:           8
        .value_kind:     global_buffer
      - .actual_access:  read_only
        .address_space:  global
        .offset:         96
        .size:           8
        .value_kind:     global_buffer
      - .actual_access:  read_only
        .address_space:  global
        .offset:         104
        .size:           8
        .value_kind:     global_buffer
      - .actual_access:  read_only
        .address_space:  global
        .offset:         112
        .size:           8
        .value_kind:     global_buffer
      - .offset:         120
        .size:           4
        .value_kind:     by_value
      - .address_space:  global
        .offset:         128
        .size:           8
        .value_kind:     global_buffer
      - .address_space:  global
        .offset:         136
        .size:           8
        .value_kind:     global_buffer
      - .offset:         144
        .size:           4
        .value_kind:     hidden_block_count_x
      - .offset:         148
        .size:           4
        .value_kind:     hidden_block_count_y
      - .offset:         152
        .size:           4
        .value_kind:     hidden_block_count_z
      - .offset:         156
        .size:           2
        .value_kind:     hidden_group_size_x
      - .offset:         158
        .size:           2
        .value_kind:     hidden_group_size_y
      - .offset:         160
        .size:           2
        .value_kind:     hidden_group_size_z
      - .offset:         162
        .size:           2
        .value_kind:     hidden_remainder_x
      - .offset:         164
        .size:           2
        .value_kind:     hidden_remainder_y
      - .offset:         166
        .size:           2
        .value_kind:     hidden_remainder_z
      - .offset:         184
        .size:           8
        .value_kind:     hidden_global_offset_x
      - .offset:         192
        .size:           8
        .value_kind:     hidden_global_offset_y
      - .offset:         200
        .size:           8
        .value_kind:     hidden_global_offset_z
      - .offset:         208
        .size:           2
        .value_kind:     hidden_grid_dims
      - .offset:         224
        .size:           8
        .value_kind:     hidden_hostcall_buffer
    .group_segment_fixed_size: 8192
    .kernarg_segment_align: 8
    .kernarg_segment_size: 400
    .language:       OpenCL C
    .language_version:
      - 2
      - 0
    .max_flat_workgroup_size: 256
    .name:           _Z39paged_attention_ll4mi_QKV_mfma16_kernelI14__hip_bfloat16hLN4vllm18Fp8KVCacheDataTypeE1ES0_Li32ELi128ELi256ELb1ELi1EL8MFMAType1EEvPKT_PKT0_S9_ifPKiSB_SB_iPKfiiiPfSE_PS4_PT2_iSD_SD_
    .private_segment_fixed_size: 64
    .sgpr_count:     40
    .sgpr_spill_count: 0
    .symbol:         _Z39paged_attention_ll4mi_QKV_mfma16_kernelI14__hip_bfloat16hLN4vllm18Fp8KVCacheDataTypeE1ES0_Li32ELi128ELi256ELb1ELi1EL8MFMAType1EEvPKT_PKT0_S9_ifPKiSB_SB_iPKfiiiPfSE_PS4_PT2_iSD_SD_.kd
    .uniform_work_group_size: 1
    .uses_dynamic_stack: false
    .vgpr_count:     45
    .vgpr_spill_count: 0
    .wavefront_size: 64
  - .agpr_count:     1
    .args:
      - .actual_access:  read_only
        .address_space:  global
        .offset:         0
        .size:           8
        .value_kind:     global_buffer
      - .actual_access:  read_only
        .address_space:  global
        .offset:         8
        .size:           8
        .value_kind:     global_buffer
      - .actual_access:  read_only
        .address_space:  global
        .offset:         16
        .size:           8
        .value_kind:     global_buffer
      - .offset:         24
        .size:           4
        .value_kind:     by_value
      - .offset:         28
        .size:           4
        .value_kind:     by_value
      - .actual_access:  read_only
        .address_space:  global
        .offset:         32
        .size:           8
        .value_kind:     global_buffer
      - .actual_access:  read_only
        .address_space:  global
        .offset:         40
        .size:           8
        .value_kind:     global_buffer
      - .actual_access:  read_only
        .address_space:  global
        .offset:         48
        .size:           8
        .value_kind:     global_buffer
      - .offset:         56
        .size:           4
        .value_kind:     by_value
      - .actual_access:  read_only
        .address_space:  global
        .offset:         64
        .size:           8
        .value_kind:     global_buffer
      - .offset:         72
        .size:           4
        .value_kind:     by_value
      - .offset:         76
        .size:           4
        .value_kind:     by_value
      - .offset:         80
        .size:           4
        .value_kind:     by_value
      - .actual_access:  read_only
        .address_space:  global
        .offset:         88
        .size:           8
        .value_kind:     global_buffer
      - .actual_access:  read_only
        .address_space:  global
        .offset:         96
        .size:           8
        .value_kind:     global_buffer
      - .actual_access:  read_only
        .address_space:  global
        .offset:         104
        .size:           8
        .value_kind:     global_buffer
      - .actual_access:  read_only
        .address_space:  global
        .offset:         112
        .size:           8
        .value_kind:     global_buffer
      - .offset:         120
        .size:           4
        .value_kind:     by_value
      - .address_space:  global
        .offset:         128
        .size:           8
        .value_kind:     global_buffer
      - .address_space:  global
        .offset:         136
        .size:           8
        .value_kind:     global_buffer
      - .offset:         144
        .size:           4
        .value_kind:     hidden_block_count_x
      - .offset:         148
        .size:           4
        .value_kind:     hidden_block_count_y
      - .offset:         152
        .size:           4
        .value_kind:     hidden_block_count_z
      - .offset:         156
        .size:           2
        .value_kind:     hidden_group_size_x
      - .offset:         158
        .size:           2
        .value_kind:     hidden_group_size_y
      - .offset:         160
        .size:           2
        .value_kind:     hidden_group_size_z
      - .offset:         162
        .size:           2
        .value_kind:     hidden_remainder_x
      - .offset:         164
        .size:           2
        .value_kind:     hidden_remainder_y
      - .offset:         166
        .size:           2
        .value_kind:     hidden_remainder_z
      - .offset:         184
        .size:           8
        .value_kind:     hidden_global_offset_x
      - .offset:         192
        .size:           8
        .value_kind:     hidden_global_offset_y
      - .offset:         200
        .size:           8
        .value_kind:     hidden_global_offset_z
      - .offset:         208
        .size:           2
        .value_kind:     hidden_grid_dims
      - .offset:         224
        .size:           8
        .value_kind:     hidden_hostcall_buffer
    .group_segment_fixed_size: 8192
    .kernarg_segment_align: 8
    .kernarg_segment_size: 400
    .language:       OpenCL C
    .language_version:
      - 2
      - 0
    .max_flat_workgroup_size: 256
    .name:           _Z39paged_attention_ll4mi_QKV_mfma16_kernelI14__hip_bfloat16hLN4vllm18Fp8KVCacheDataTypeE1ES0_Li32ELi128ELi256ELb1ELi2EL8MFMAType1EEvPKT_PKT0_S9_ifPKiSB_SB_iPKfiiiPfSE_PS4_PT2_iSD_SD_
    .private_segment_fixed_size: 64
    .sgpr_count:     40
    .sgpr_spill_count: 0
    .symbol:         _Z39paged_attention_ll4mi_QKV_mfma16_kernelI14__hip_bfloat16hLN4vllm18Fp8KVCacheDataTypeE1ES0_Li32ELi128ELi256ELb1ELi2EL8MFMAType1EEvPKT_PKT0_S9_ifPKiSB_SB_iPKfiiiPfSE_PS4_PT2_iSD_SD_.kd
    .uniform_work_group_size: 1
    .uses_dynamic_stack: false
    .vgpr_count:     45
    .vgpr_spill_count: 0
    .wavefront_size: 64
  - .agpr_count:     1
    .args:
      - .actual_access:  read_only
        .address_space:  global
        .offset:         0
        .size:           8
        .value_kind:     global_buffer
      - .actual_access:  read_only
        .address_space:  global
        .offset:         8
        .size:           8
        .value_kind:     global_buffer
      - .actual_access:  read_only
        .address_space:  global
        .offset:         16
        .size:           8
        .value_kind:     global_buffer
      - .offset:         24
        .size:           4
        .value_kind:     by_value
      - .offset:         28
        .size:           4
        .value_kind:     by_value
      - .actual_access:  read_only
        .address_space:  global
        .offset:         32
        .size:           8
        .value_kind:     global_buffer
      - .actual_access:  read_only
        .address_space:  global
        .offset:         40
        .size:           8
        .value_kind:     global_buffer
      - .actual_access:  read_only
        .address_space:  global
        .offset:         48
        .size:           8
        .value_kind:     global_buffer
      - .offset:         56
        .size:           4
        .value_kind:     by_value
      - .actual_access:  read_only
        .address_space:  global
        .offset:         64
        .size:           8
        .value_kind:     global_buffer
      - .offset:         72
        .size:           4
        .value_kind:     by_value
      - .offset:         76
        .size:           4
        .value_kind:     by_value
      - .offset:         80
        .size:           4
        .value_kind:     by_value
      - .actual_access:  read_only
        .address_space:  global
        .offset:         88
        .size:           8
        .value_kind:     global_buffer
      - .actual_access:  read_only
        .address_space:  global
        .offset:         96
        .size:           8
        .value_kind:     global_buffer
      - .actual_access:  read_only
        .address_space:  global
        .offset:         104
        .size:           8
        .value_kind:     global_buffer
      - .actual_access:  read_only
        .address_space:  global
        .offset:         112
        .size:           8
        .value_kind:     global_buffer
      - .offset:         120
        .size:           4
        .value_kind:     by_value
      - .address_space:  global
        .offset:         128
        .size:           8
        .value_kind:     global_buffer
      - .address_space:  global
        .offset:         136
        .size:           8
        .value_kind:     global_buffer
      - .offset:         144
        .size:           4
        .value_kind:     hidden_block_count_x
      - .offset:         148
        .size:           4
        .value_kind:     hidden_block_count_y
      - .offset:         152
        .size:           4
        .value_kind:     hidden_block_count_z
      - .offset:         156
        .size:           2
        .value_kind:     hidden_group_size_x
      - .offset:         158
        .size:           2
        .value_kind:     hidden_group_size_y
      - .offset:         160
        .size:           2
        .value_kind:     hidden_group_size_z
      - .offset:         162
        .size:           2
        .value_kind:     hidden_remainder_x
      - .offset:         164
        .size:           2
        .value_kind:     hidden_remainder_y
      - .offset:         166
        .size:           2
        .value_kind:     hidden_remainder_z
      - .offset:         184
        .size:           8
        .value_kind:     hidden_global_offset_x
      - .offset:         192
        .size:           8
        .value_kind:     hidden_global_offset_y
      - .offset:         200
        .size:           8
        .value_kind:     hidden_global_offset_z
      - .offset:         208
        .size:           2
        .value_kind:     hidden_grid_dims
      - .offset:         224
        .size:           8
        .value_kind:     hidden_hostcall_buffer
    .group_segment_fixed_size: 8192
    .kernarg_segment_align: 8
    .kernarg_segment_size: 400
    .language:       OpenCL C
    .language_version:
      - 2
      - 0
    .max_flat_workgroup_size: 256
    .name:           _Z39paged_attention_ll4mi_QKV_mfma16_kernelI14__hip_bfloat16hLN4vllm18Fp8KVCacheDataTypeE1ES0_Li32ELi128ELi256ELb1ELi3EL8MFMAType1EEvPKT_PKT0_S9_ifPKiSB_SB_iPKfiiiPfSE_PS4_PT2_iSD_SD_
    .private_segment_fixed_size: 64
    .sgpr_count:     40
    .sgpr_spill_count: 0
    .symbol:         _Z39paged_attention_ll4mi_QKV_mfma16_kernelI14__hip_bfloat16hLN4vllm18Fp8KVCacheDataTypeE1ES0_Li32ELi128ELi256ELb1ELi3EL8MFMAType1EEvPKT_PKT0_S9_ifPKiSB_SB_iPKfiiiPfSE_PS4_PT2_iSD_SD_.kd
    .uniform_work_group_size: 1
    .uses_dynamic_stack: false
    .vgpr_count:     45
    .vgpr_spill_count: 0
    .wavefront_size: 64
  - .agpr_count:     1
    .args:
      - .actual_access:  read_only
        .address_space:  global
        .offset:         0
        .size:           8
        .value_kind:     global_buffer
      - .actual_access:  read_only
        .address_space:  global
        .offset:         8
        .size:           8
        .value_kind:     global_buffer
      - .actual_access:  read_only
        .address_space:  global
        .offset:         16
        .size:           8
        .value_kind:     global_buffer
      - .offset:         24
        .size:           4
        .value_kind:     by_value
      - .offset:         28
        .size:           4
        .value_kind:     by_value
      - .actual_access:  read_only
        .address_space:  global
        .offset:         32
        .size:           8
        .value_kind:     global_buffer
      - .actual_access:  read_only
        .address_space:  global
        .offset:         40
        .size:           8
        .value_kind:     global_buffer
      - .actual_access:  read_only
        .address_space:  global
        .offset:         48
        .size:           8
        .value_kind:     global_buffer
      - .offset:         56
        .size:           4
        .value_kind:     by_value
      - .actual_access:  read_only
        .address_space:  global
        .offset:         64
        .size:           8
        .value_kind:     global_buffer
      - .offset:         72
        .size:           4
        .value_kind:     by_value
      - .offset:         76
        .size:           4
        .value_kind:     by_value
      - .offset:         80
        .size:           4
        .value_kind:     by_value
      - .actual_access:  read_only
        .address_space:  global
        .offset:         88
        .size:           8
        .value_kind:     global_buffer
      - .actual_access:  read_only
        .address_space:  global
        .offset:         96
        .size:           8
        .value_kind:     global_buffer
      - .actual_access:  read_only
        .address_space:  global
        .offset:         104
        .size:           8
        .value_kind:     global_buffer
      - .actual_access:  read_only
        .address_space:  global
        .offset:         112
        .size:           8
        .value_kind:     global_buffer
      - .offset:         120
        .size:           4
        .value_kind:     by_value
      - .address_space:  global
        .offset:         128
        .size:           8
        .value_kind:     global_buffer
      - .address_space:  global
        .offset:         136
        .size:           8
        .value_kind:     global_buffer
      - .offset:         144
        .size:           4
        .value_kind:     hidden_block_count_x
      - .offset:         148
        .size:           4
        .value_kind:     hidden_block_count_y
      - .offset:         152
        .size:           4
        .value_kind:     hidden_block_count_z
      - .offset:         156
        .size:           2
        .value_kind:     hidden_group_size_x
      - .offset:         158
        .size:           2
        .value_kind:     hidden_group_size_y
      - .offset:         160
        .size:           2
        .value_kind:     hidden_group_size_z
      - .offset:         162
        .size:           2
        .value_kind:     hidden_remainder_x
      - .offset:         164
        .size:           2
        .value_kind:     hidden_remainder_y
      - .offset:         166
        .size:           2
        .value_kind:     hidden_remainder_z
      - .offset:         184
        .size:           8
        .value_kind:     hidden_global_offset_x
      - .offset:         192
        .size:           8
        .value_kind:     hidden_global_offset_y
      - .offset:         200
        .size:           8
        .value_kind:     hidden_global_offset_z
      - .offset:         208
        .size:           2
        .value_kind:     hidden_grid_dims
      - .offset:         224
        .size:           8
        .value_kind:     hidden_hostcall_buffer
    .group_segment_fixed_size: 8192
    .kernarg_segment_align: 8
    .kernarg_segment_size: 400
    .language:       OpenCL C
    .language_version:
      - 2
      - 0
    .max_flat_workgroup_size: 256
    .name:           _Z39paged_attention_ll4mi_QKV_mfma16_kernelI14__hip_bfloat16hLN4vllm18Fp8KVCacheDataTypeE1ES0_Li32ELi128ELi256ELb1ELi4EL8MFMAType1EEvPKT_PKT0_S9_ifPKiSB_SB_iPKfiiiPfSE_PS4_PT2_iSD_SD_
    .private_segment_fixed_size: 64
    .sgpr_count:     40
    .sgpr_spill_count: 0
    .symbol:         _Z39paged_attention_ll4mi_QKV_mfma16_kernelI14__hip_bfloat16hLN4vllm18Fp8KVCacheDataTypeE1ES0_Li32ELi128ELi256ELb1ELi4EL8MFMAType1EEvPKT_PKT0_S9_ifPKiSB_SB_iPKfiiiPfSE_PS4_PT2_iSD_SD_.kd
    .uniform_work_group_size: 1
    .uses_dynamic_stack: false
    .vgpr_count:     45
    .vgpr_spill_count: 0
    .wavefront_size: 64
  - .agpr_count:     4
    .args:
      - .actual_access:  read_only
        .address_space:  global
        .offset:         0
        .size:           8
        .value_kind:     global_buffer
      - .actual_access:  read_only
        .address_space:  global
        .offset:         8
        .size:           8
        .value_kind:     global_buffer
      - .actual_access:  read_only
        .address_space:  global
        .offset:         16
        .size:           8
        .value_kind:     global_buffer
      - .offset:         24
        .size:           4
        .value_kind:     by_value
      - .offset:         28
        .size:           4
        .value_kind:     by_value
      - .actual_access:  read_only
        .address_space:  global
        .offset:         32
        .size:           8
        .value_kind:     global_buffer
      - .actual_access:  read_only
        .address_space:  global
        .offset:         40
        .size:           8
        .value_kind:     global_buffer
      - .actual_access:  read_only
        .address_space:  global
        .offset:         48
        .size:           8
        .value_kind:     global_buffer
      - .offset:         56
        .size:           4
        .value_kind:     by_value
      - .actual_access:  read_only
        .address_space:  global
        .offset:         64
        .size:           8
        .value_kind:     global_buffer
      - .offset:         72
        .size:           4
        .value_kind:     by_value
      - .offset:         76
        .size:           4
        .value_kind:     by_value
      - .offset:         80
        .size:           4
        .value_kind:     by_value
      - .actual_access:  write_only
        .address_space:  global
        .offset:         88
        .size:           8
        .value_kind:     global_buffer
      - .actual_access:  write_only
        .address_space:  global
        .offset:         96
        .size:           8
        .value_kind:     global_buffer
      - .actual_access:  write_only
        .address_space:  global
        .offset:         104
        .size:           8
        .value_kind:     global_buffer
      - .actual_access:  read_only
        .address_space:  global
        .offset:         112
        .size:           8
        .value_kind:     global_buffer
      - .offset:         120
        .size:           4
        .value_kind:     by_value
      - .address_space:  global
        .offset:         128
        .size:           8
        .value_kind:     global_buffer
      - .address_space:  global
        .offset:         136
        .size:           8
        .value_kind:     global_buffer
      - .offset:         144
        .size:           4
        .value_kind:     hidden_block_count_x
      - .offset:         148
        .size:           4
        .value_kind:     hidden_block_count_y
      - .offset:         152
        .size:           4
        .value_kind:     hidden_block_count_z
      - .offset:         156
        .size:           2
        .value_kind:     hidden_group_size_x
      - .offset:         158
        .size:           2
        .value_kind:     hidden_group_size_y
      - .offset:         160
        .size:           2
        .value_kind:     hidden_group_size_z
      - .offset:         162
        .size:           2
        .value_kind:     hidden_remainder_x
      - .offset:         164
        .size:           2
        .value_kind:     hidden_remainder_y
      - .offset:         166
        .size:           2
        .value_kind:     hidden_remainder_z
      - .offset:         184
        .size:           8
        .value_kind:     hidden_global_offset_x
      - .offset:         192
        .size:           8
        .value_kind:     hidden_global_offset_y
      - .offset:         200
        .size:           8
        .value_kind:     hidden_global_offset_z
      - .offset:         208
        .size:           2
        .value_kind:     hidden_grid_dims
    .group_segment_fixed_size: 5280
    .kernarg_segment_align: 8
    .kernarg_segment_size: 400
    .language:       OpenCL C
    .language_version:
      - 2
      - 0
    .max_flat_workgroup_size: 256
    .name:           _Z38paged_attention_ll4mi_QKV_mfma4_kernelI14__hip_bfloat16hLN4vllm18Fp8KVCacheDataTypeE1ES0_Li32ELi128ELi256ELb0ELi1EEvPKT_PKT0_S8_ifPKiSA_SA_iPKfiiiPfSD_PS3_PT2_iSC_SC_
    .private_segment_fixed_size: 144
    .sgpr_count:     50
    .sgpr_spill_count: 0
    .symbol:         _Z38paged_attention_ll4mi_QKV_mfma4_kernelI14__hip_bfloat16hLN4vllm18Fp8KVCacheDataTypeE1ES0_Li32ELi128ELi256ELb0ELi1EEvPKT_PKT0_S8_ifPKiSA_SA_iPKfiiiPfSD_PS3_PT2_iSC_SC_.kd
    .uniform_work_group_size: 1
    .uses_dynamic_stack: false
    .vgpr_count:     80
    .vgpr_spill_count: 0
    .wavefront_size: 64
  - .agpr_count:     4
    .args:
      - .actual_access:  read_only
        .address_space:  global
        .offset:         0
        .size:           8
        .value_kind:     global_buffer
      - .actual_access:  read_only
        .address_space:  global
        .offset:         8
        .size:           8
        .value_kind:     global_buffer
      - .actual_access:  read_only
        .address_space:  global
        .offset:         16
        .size:           8
        .value_kind:     global_buffer
      - .offset:         24
        .size:           4
        .value_kind:     by_value
      - .offset:         28
        .size:           4
        .value_kind:     by_value
      - .actual_access:  read_only
        .address_space:  global
        .offset:         32
        .size:           8
        .value_kind:     global_buffer
      - .actual_access:  read_only
        .address_space:  global
        .offset:         40
        .size:           8
        .value_kind:     global_buffer
      - .actual_access:  read_only
        .address_space:  global
        .offset:         48
        .size:           8
        .value_kind:     global_buffer
      - .offset:         56
        .size:           4
        .value_kind:     by_value
      - .actual_access:  read_only
        .address_space:  global
        .offset:         64
        .size:           8
        .value_kind:     global_buffer
      - .offset:         72
        .size:           4
        .value_kind:     by_value
      - .offset:         76
        .size:           4
        .value_kind:     by_value
      - .offset:         80
        .size:           4
        .value_kind:     by_value
      - .actual_access:  write_only
        .address_space:  global
        .offset:         88
        .size:           8
        .value_kind:     global_buffer
      - .actual_access:  write_only
        .address_space:  global
        .offset:         96
        .size:           8
        .value_kind:     global_buffer
      - .actual_access:  write_only
        .address_space:  global
        .offset:         104
        .size:           8
        .value_kind:     global_buffer
      - .actual_access:  read_only
        .address_space:  global
        .offset:         112
        .size:           8
        .value_kind:     global_buffer
      - .offset:         120
        .size:           4
        .value_kind:     by_value
      - .address_space:  global
        .offset:         128
        .size:           8
        .value_kind:     global_buffer
      - .address_space:  global
        .offset:         136
        .size:           8
        .value_kind:     global_buffer
      - .offset:         144
        .size:           4
        .value_kind:     hidden_block_count_x
      - .offset:         148
        .size:           4
        .value_kind:     hidden_block_count_y
      - .offset:         152
        .size:           4
        .value_kind:     hidden_block_count_z
      - .offset:         156
        .size:           2
        .value_kind:     hidden_group_size_x
      - .offset:         158
        .size:           2
        .value_kind:     hidden_group_size_y
      - .offset:         160
        .size:           2
        .value_kind:     hidden_group_size_z
      - .offset:         162
        .size:           2
        .value_kind:     hidden_remainder_x
      - .offset:         164
        .size:           2
        .value_kind:     hidden_remainder_y
      - .offset:         166
        .size:           2
        .value_kind:     hidden_remainder_z
      - .offset:         184
        .size:           8
        .value_kind:     hidden_global_offset_x
      - .offset:         192
        .size:           8
        .value_kind:     hidden_global_offset_y
      - .offset:         200
        .size:           8
        .value_kind:     hidden_global_offset_z
      - .offset:         208
        .size:           2
        .value_kind:     hidden_grid_dims
    .group_segment_fixed_size: 5280
    .kernarg_segment_align: 8
    .kernarg_segment_size: 400
    .language:       OpenCL C
    .language_version:
      - 2
      - 0
    .max_flat_workgroup_size: 256
    .name:           _Z38paged_attention_ll4mi_QKV_mfma4_kernelI14__hip_bfloat16hLN4vllm18Fp8KVCacheDataTypeE1ES0_Li32ELi128ELi256ELb0ELi2EEvPKT_PKT0_S8_ifPKiSA_SA_iPKfiiiPfSD_PS3_PT2_iSC_SC_
    .private_segment_fixed_size: 144
    .sgpr_count:     50
    .sgpr_spill_count: 0
    .symbol:         _Z38paged_attention_ll4mi_QKV_mfma4_kernelI14__hip_bfloat16hLN4vllm18Fp8KVCacheDataTypeE1ES0_Li32ELi128ELi256ELb0ELi2EEvPKT_PKT0_S8_ifPKiSA_SA_iPKfiiiPfSD_PS3_PT2_iSC_SC_.kd
    .uniform_work_group_size: 1
    .uses_dynamic_stack: false
    .vgpr_count:     80
    .vgpr_spill_count: 0
    .wavefront_size: 64
  - .agpr_count:     4
    .args:
      - .actual_access:  read_only
        .address_space:  global
        .offset:         0
        .size:           8
        .value_kind:     global_buffer
      - .actual_access:  read_only
        .address_space:  global
        .offset:         8
        .size:           8
        .value_kind:     global_buffer
      - .actual_access:  read_only
        .address_space:  global
        .offset:         16
        .size:           8
        .value_kind:     global_buffer
      - .offset:         24
        .size:           4
        .value_kind:     by_value
      - .offset:         28
        .size:           4
        .value_kind:     by_value
      - .actual_access:  read_only
        .address_space:  global
        .offset:         32
        .size:           8
        .value_kind:     global_buffer
      - .actual_access:  read_only
        .address_space:  global
        .offset:         40
        .size:           8
        .value_kind:     global_buffer
      - .actual_access:  read_only
        .address_space:  global
        .offset:         48
        .size:           8
        .value_kind:     global_buffer
      - .offset:         56
        .size:           4
        .value_kind:     by_value
      - .actual_access:  read_only
        .address_space:  global
        .offset:         64
        .size:           8
        .value_kind:     global_buffer
      - .offset:         72
        .size:           4
        .value_kind:     by_value
      - .offset:         76
        .size:           4
        .value_kind:     by_value
      - .offset:         80
        .size:           4
        .value_kind:     by_value
      - .actual_access:  write_only
        .address_space:  global
        .offset:         88
        .size:           8
        .value_kind:     global_buffer
      - .actual_access:  write_only
        .address_space:  global
        .offset:         96
        .size:           8
        .value_kind:     global_buffer
      - .actual_access:  write_only
        .address_space:  global
        .offset:         104
        .size:           8
        .value_kind:     global_buffer
      - .actual_access:  read_only
        .address_space:  global
        .offset:         112
        .size:           8
        .value_kind:     global_buffer
      - .offset:         120
        .size:           4
        .value_kind:     by_value
      - .address_space:  global
        .offset:         128
        .size:           8
        .value_kind:     global_buffer
      - .address_space:  global
        .offset:         136
        .size:           8
        .value_kind:     global_buffer
      - .offset:         144
        .size:           4
        .value_kind:     hidden_block_count_x
      - .offset:         148
        .size:           4
        .value_kind:     hidden_block_count_y
      - .offset:         152
        .size:           4
        .value_kind:     hidden_block_count_z
      - .offset:         156
        .size:           2
        .value_kind:     hidden_group_size_x
      - .offset:         158
        .size:           2
        .value_kind:     hidden_group_size_y
      - .offset:         160
        .size:           2
        .value_kind:     hidden_group_size_z
      - .offset:         162
        .size:           2
        .value_kind:     hidden_remainder_x
      - .offset:         164
        .size:           2
        .value_kind:     hidden_remainder_y
      - .offset:         166
        .size:           2
        .value_kind:     hidden_remainder_z
      - .offset:         184
        .size:           8
        .value_kind:     hidden_global_offset_x
      - .offset:         192
        .size:           8
        .value_kind:     hidden_global_offset_y
      - .offset:         200
        .size:           8
        .value_kind:     hidden_global_offset_z
      - .offset:         208
        .size:           2
        .value_kind:     hidden_grid_dims
    .group_segment_fixed_size: 5280
    .kernarg_segment_align: 8
    .kernarg_segment_size: 400
    .language:       OpenCL C
    .language_version:
      - 2
      - 0
    .max_flat_workgroup_size: 256
    .name:           _Z38paged_attention_ll4mi_QKV_mfma4_kernelI14__hip_bfloat16hLN4vllm18Fp8KVCacheDataTypeE1ES0_Li32ELi128ELi256ELb0ELi3EEvPKT_PKT0_S8_ifPKiSA_SA_iPKfiiiPfSD_PS3_PT2_iSC_SC_
    .private_segment_fixed_size: 144
    .sgpr_count:     50
    .sgpr_spill_count: 0
    .symbol:         _Z38paged_attention_ll4mi_QKV_mfma4_kernelI14__hip_bfloat16hLN4vllm18Fp8KVCacheDataTypeE1ES0_Li32ELi128ELi256ELb0ELi3EEvPKT_PKT0_S8_ifPKiSA_SA_iPKfiiiPfSD_PS3_PT2_iSC_SC_.kd
    .uniform_work_group_size: 1
    .uses_dynamic_stack: false
    .vgpr_count:     80
    .vgpr_spill_count: 0
    .wavefront_size: 64
  - .agpr_count:     4
    .args:
      - .actual_access:  read_only
        .address_space:  global
        .offset:         0
        .size:           8
        .value_kind:     global_buffer
      - .actual_access:  read_only
        .address_space:  global
        .offset:         8
        .size:           8
        .value_kind:     global_buffer
      - .actual_access:  read_only
        .address_space:  global
        .offset:         16
        .size:           8
        .value_kind:     global_buffer
      - .offset:         24
        .size:           4
        .value_kind:     by_value
      - .offset:         28
        .size:           4
        .value_kind:     by_value
      - .actual_access:  read_only
        .address_space:  global
        .offset:         32
        .size:           8
        .value_kind:     global_buffer
      - .actual_access:  read_only
        .address_space:  global
        .offset:         40
        .size:           8
        .value_kind:     global_buffer
      - .actual_access:  read_only
        .address_space:  global
        .offset:         48
        .size:           8
        .value_kind:     global_buffer
      - .offset:         56
        .size:           4
        .value_kind:     by_value
      - .actual_access:  read_only
        .address_space:  global
        .offset:         64
        .size:           8
        .value_kind:     global_buffer
      - .offset:         72
        .size:           4
        .value_kind:     by_value
      - .offset:         76
        .size:           4
        .value_kind:     by_value
      - .offset:         80
        .size:           4
        .value_kind:     by_value
      - .actual_access:  write_only
        .address_space:  global
        .offset:         88
        .size:           8
        .value_kind:     global_buffer
      - .actual_access:  write_only
        .address_space:  global
        .offset:         96
        .size:           8
        .value_kind:     global_buffer
      - .actual_access:  write_only
        .address_space:  global
        .offset:         104
        .size:           8
        .value_kind:     global_buffer
      - .actual_access:  read_only
        .address_space:  global
        .offset:         112
        .size:           8
        .value_kind:     global_buffer
      - .offset:         120
        .size:           4
        .value_kind:     by_value
      - .address_space:  global
        .offset:         128
        .size:           8
        .value_kind:     global_buffer
      - .address_space:  global
        .offset:         136
        .size:           8
        .value_kind:     global_buffer
      - .offset:         144
        .size:           4
        .value_kind:     hidden_block_count_x
      - .offset:         148
        .size:           4
        .value_kind:     hidden_block_count_y
      - .offset:         152
        .size:           4
        .value_kind:     hidden_block_count_z
      - .offset:         156
        .size:           2
        .value_kind:     hidden_group_size_x
      - .offset:         158
        .size:           2
        .value_kind:     hidden_group_size_y
      - .offset:         160
        .size:           2
        .value_kind:     hidden_group_size_z
      - .offset:         162
        .size:           2
        .value_kind:     hidden_remainder_x
      - .offset:         164
        .size:           2
        .value_kind:     hidden_remainder_y
      - .offset:         166
        .size:           2
        .value_kind:     hidden_remainder_z
      - .offset:         184
        .size:           8
        .value_kind:     hidden_global_offset_x
      - .offset:         192
        .size:           8
        .value_kind:     hidden_global_offset_y
      - .offset:         200
        .size:           8
        .value_kind:     hidden_global_offset_z
      - .offset:         208
        .size:           2
        .value_kind:     hidden_grid_dims
    .group_segment_fixed_size: 5280
    .kernarg_segment_align: 8
    .kernarg_segment_size: 400
    .language:       OpenCL C
    .language_version:
      - 2
      - 0
    .max_flat_workgroup_size: 256
    .name:           _Z38paged_attention_ll4mi_QKV_mfma4_kernelI14__hip_bfloat16hLN4vllm18Fp8KVCacheDataTypeE1ES0_Li32ELi128ELi256ELb0ELi4EEvPKT_PKT0_S8_ifPKiSA_SA_iPKfiiiPfSD_PS3_PT2_iSC_SC_
    .private_segment_fixed_size: 144
    .sgpr_count:     50
    .sgpr_spill_count: 0
    .symbol:         _Z38paged_attention_ll4mi_QKV_mfma4_kernelI14__hip_bfloat16hLN4vllm18Fp8KVCacheDataTypeE1ES0_Li32ELi128ELi256ELb0ELi4EEvPKT_PKT0_S8_ifPKiSA_SA_iPKfiiiPfSD_PS3_PT2_iSC_SC_.kd
    .uniform_work_group_size: 1
    .uses_dynamic_stack: false
    .vgpr_count:     72
    .vgpr_spill_count: 0
    .wavefront_size: 64
  - .agpr_count:     1
    .args:
      - .actual_access:  read_only
        .address_space:  global
        .offset:         0
        .size:           8
        .value_kind:     global_buffer
      - .actual_access:  read_only
        .address_space:  global
        .offset:         8
        .size:           8
        .value_kind:     global_buffer
      - .actual_access:  read_only
        .address_space:  global
        .offset:         16
        .size:           8
        .value_kind:     global_buffer
      - .offset:         24
        .size:           4
        .value_kind:     by_value
      - .offset:         28
        .size:           4
        .value_kind:     by_value
      - .actual_access:  read_only
        .address_space:  global
        .offset:         32
        .size:           8
        .value_kind:     global_buffer
      - .actual_access:  read_only
        .address_space:  global
        .offset:         40
        .size:           8
        .value_kind:     global_buffer
      - .actual_access:  read_only
        .address_space:  global
        .offset:         48
        .size:           8
        .value_kind:     global_buffer
      - .offset:         56
        .size:           4
        .value_kind:     by_value
      - .actual_access:  read_only
        .address_space:  global
        .offset:         64
        .size:           8
        .value_kind:     global_buffer
      - .offset:         72
        .size:           4
        .value_kind:     by_value
      - .offset:         76
        .size:           4
        .value_kind:     by_value
      - .offset:         80
        .size:           4
        .value_kind:     by_value
      - .actual_access:  read_only
        .address_space:  global
        .offset:         88
        .size:           8
        .value_kind:     global_buffer
      - .actual_access:  read_only
        .address_space:  global
        .offset:         96
        .size:           8
        .value_kind:     global_buffer
      - .actual_access:  read_only
        .address_space:  global
        .offset:         104
        .size:           8
        .value_kind:     global_buffer
      - .actual_access:  read_only
        .address_space:  global
        .offset:         112
        .size:           8
        .value_kind:     global_buffer
      - .offset:         120
        .size:           4
        .value_kind:     by_value
      - .address_space:  global
        .offset:         128
        .size:           8
        .value_kind:     global_buffer
      - .address_space:  global
        .offset:         136
        .size:           8
        .value_kind:     global_buffer
      - .offset:         144
        .size:           4
        .value_kind:     hidden_block_count_x
      - .offset:         148
        .size:           4
        .value_kind:     hidden_block_count_y
      - .offset:         152
        .size:           4
        .value_kind:     hidden_block_count_z
      - .offset:         156
        .size:           2
        .value_kind:     hidden_group_size_x
      - .offset:         158
        .size:           2
        .value_kind:     hidden_group_size_y
      - .offset:         160
        .size:           2
        .value_kind:     hidden_group_size_z
      - .offset:         162
        .size:           2
        .value_kind:     hidden_remainder_x
      - .offset:         164
        .size:           2
        .value_kind:     hidden_remainder_y
      - .offset:         166
        .size:           2
        .value_kind:     hidden_remainder_z
      - .offset:         184
        .size:           8
        .value_kind:     hidden_global_offset_x
      - .offset:         192
        .size:           8
        .value_kind:     hidden_global_offset_y
      - .offset:         200
        .size:           8
        .value_kind:     hidden_global_offset_z
      - .offset:         208
        .size:           2
        .value_kind:     hidden_grid_dims
      - .offset:         224
        .size:           8
        .value_kind:     hidden_hostcall_buffer
    .group_segment_fixed_size: 8192
    .kernarg_segment_align: 8
    .kernarg_segment_size: 400
    .language:       OpenCL C
    .language_version:
      - 2
      - 0
    .max_flat_workgroup_size: 256
    .name:           _Z39paged_attention_ll4mi_QKV_mfma16_kernelI14__hip_bfloat16hLN4vllm18Fp8KVCacheDataTypeE1ES0_Li32ELi128ELi256ELb0ELi5EL8MFMAType1EEvPKT_PKT0_S9_ifPKiSB_SB_iPKfiiiPfSE_PS4_PT2_iSD_SD_
    .private_segment_fixed_size: 64
    .sgpr_count:     40
    .sgpr_spill_count: 0
    .symbol:         _Z39paged_attention_ll4mi_QKV_mfma16_kernelI14__hip_bfloat16hLN4vllm18Fp8KVCacheDataTypeE1ES0_Li32ELi128ELi256ELb0ELi5EL8MFMAType1EEvPKT_PKT0_S9_ifPKiSB_SB_iPKfiiiPfSE_PS4_PT2_iSD_SD_.kd
    .uniform_work_group_size: 1
    .uses_dynamic_stack: false
    .vgpr_count:     45
    .vgpr_spill_count: 0
    .wavefront_size: 64
  - .agpr_count:     1
    .args:
      - .actual_access:  read_only
        .address_space:  global
        .offset:         0
        .size:           8
        .value_kind:     global_buffer
      - .actual_access:  read_only
        .address_space:  global
        .offset:         8
        .size:           8
        .value_kind:     global_buffer
      - .actual_access:  read_only
        .address_space:  global
        .offset:         16
        .size:           8
        .value_kind:     global_buffer
      - .offset:         24
        .size:           4
        .value_kind:     by_value
      - .offset:         28
        .size:           4
        .value_kind:     by_value
      - .actual_access:  read_only
        .address_space:  global
        .offset:         32
        .size:           8
        .value_kind:     global_buffer
      - .actual_access:  read_only
        .address_space:  global
        .offset:         40
        .size:           8
        .value_kind:     global_buffer
      - .actual_access:  read_only
        .address_space:  global
        .offset:         48
        .size:           8
        .value_kind:     global_buffer
      - .offset:         56
        .size:           4
        .value_kind:     by_value
      - .actual_access:  read_only
        .address_space:  global
        .offset:         64
        .size:           8
        .value_kind:     global_buffer
      - .offset:         72
        .size:           4
        .value_kind:     by_value
      - .offset:         76
        .size:           4
        .value_kind:     by_value
      - .offset:         80
        .size:           4
        .value_kind:     by_value
      - .actual_access:  read_only
        .address_space:  global
        .offset:         88
        .size:           8
        .value_kind:     global_buffer
      - .actual_access:  read_only
        .address_space:  global
        .offset:         96
        .size:           8
        .value_kind:     global_buffer
      - .actual_access:  read_only
        .address_space:  global
        .offset:         104
        .size:           8
        .value_kind:     global_buffer
      - .actual_access:  read_only
        .address_space:  global
        .offset:         112
        .size:           8
        .value_kind:     global_buffer
      - .offset:         120
        .size:           4
        .value_kind:     by_value
      - .address_space:  global
        .offset:         128
        .size:           8
        .value_kind:     global_buffer
      - .address_space:  global
        .offset:         136
        .size:           8
        .value_kind:     global_buffer
      - .offset:         144
        .size:           4
        .value_kind:     hidden_block_count_x
      - .offset:         148
        .size:           4
        .value_kind:     hidden_block_count_y
      - .offset:         152
        .size:           4
        .value_kind:     hidden_block_count_z
      - .offset:         156
        .size:           2
        .value_kind:     hidden_group_size_x
      - .offset:         158
        .size:           2
        .value_kind:     hidden_group_size_y
      - .offset:         160
        .size:           2
        .value_kind:     hidden_group_size_z
      - .offset:         162
        .size:           2
        .value_kind:     hidden_remainder_x
      - .offset:         164
        .size:           2
        .value_kind:     hidden_remainder_y
      - .offset:         166
        .size:           2
        .value_kind:     hidden_remainder_z
      - .offset:         184
        .size:           8
        .value_kind:     hidden_global_offset_x
      - .offset:         192
        .size:           8
        .value_kind:     hidden_global_offset_y
      - .offset:         200
        .size:           8
        .value_kind:     hidden_global_offset_z
      - .offset:         208
        .size:           2
        .value_kind:     hidden_grid_dims
      - .offset:         224
        .size:           8
        .value_kind:     hidden_hostcall_buffer
    .group_segment_fixed_size: 8192
    .kernarg_segment_align: 8
    .kernarg_segment_size: 400
    .language:       OpenCL C
    .language_version:
      - 2
      - 0
    .max_flat_workgroup_size: 256
    .name:           _Z39paged_attention_ll4mi_QKV_mfma16_kernelI14__hip_bfloat16hLN4vllm18Fp8KVCacheDataTypeE1ES0_Li32ELi128ELi256ELb0ELi6EL8MFMAType1EEvPKT_PKT0_S9_ifPKiSB_SB_iPKfiiiPfSE_PS4_PT2_iSD_SD_
    .private_segment_fixed_size: 64
    .sgpr_count:     40
    .sgpr_spill_count: 0
    .symbol:         _Z39paged_attention_ll4mi_QKV_mfma16_kernelI14__hip_bfloat16hLN4vllm18Fp8KVCacheDataTypeE1ES0_Li32ELi128ELi256ELb0ELi6EL8MFMAType1EEvPKT_PKT0_S9_ifPKiSB_SB_iPKfiiiPfSE_PS4_PT2_iSD_SD_.kd
    .uniform_work_group_size: 1
    .uses_dynamic_stack: false
    .vgpr_count:     45
    .vgpr_spill_count: 0
    .wavefront_size: 64
  - .agpr_count:     1
    .args:
      - .actual_access:  read_only
        .address_space:  global
        .offset:         0
        .size:           8
        .value_kind:     global_buffer
      - .actual_access:  read_only
        .address_space:  global
        .offset:         8
        .size:           8
        .value_kind:     global_buffer
      - .actual_access:  read_only
        .address_space:  global
        .offset:         16
        .size:           8
        .value_kind:     global_buffer
      - .offset:         24
        .size:           4
        .value_kind:     by_value
      - .offset:         28
        .size:           4
        .value_kind:     by_value
      - .actual_access:  read_only
        .address_space:  global
        .offset:         32
        .size:           8
        .value_kind:     global_buffer
      - .actual_access:  read_only
        .address_space:  global
        .offset:         40
        .size:           8
        .value_kind:     global_buffer
      - .actual_access:  read_only
        .address_space:  global
        .offset:         48
        .size:           8
        .value_kind:     global_buffer
      - .offset:         56
        .size:           4
        .value_kind:     by_value
      - .actual_access:  read_only
        .address_space:  global
        .offset:         64
        .size:           8
        .value_kind:     global_buffer
      - .offset:         72
        .size:           4
        .value_kind:     by_value
      - .offset:         76
        .size:           4
        .value_kind:     by_value
      - .offset:         80
        .size:           4
        .value_kind:     by_value
      - .actual_access:  read_only
        .address_space:  global
        .offset:         88
        .size:           8
        .value_kind:     global_buffer
      - .actual_access:  read_only
        .address_space:  global
        .offset:         96
        .size:           8
        .value_kind:     global_buffer
      - .actual_access:  read_only
        .address_space:  global
        .offset:         104
        .size:           8
        .value_kind:     global_buffer
      - .actual_access:  read_only
        .address_space:  global
        .offset:         112
        .size:           8
        .value_kind:     global_buffer
      - .offset:         120
        .size:           4
        .value_kind:     by_value
      - .address_space:  global
        .offset:         128
        .size:           8
        .value_kind:     global_buffer
      - .address_space:  global
        .offset:         136
        .size:           8
        .value_kind:     global_buffer
      - .offset:         144
        .size:           4
        .value_kind:     hidden_block_count_x
      - .offset:         148
        .size:           4
        .value_kind:     hidden_block_count_y
      - .offset:         152
        .size:           4
        .value_kind:     hidden_block_count_z
      - .offset:         156
        .size:           2
        .value_kind:     hidden_group_size_x
      - .offset:         158
        .size:           2
        .value_kind:     hidden_group_size_y
      - .offset:         160
        .size:           2
        .value_kind:     hidden_group_size_z
      - .offset:         162
        .size:           2
        .value_kind:     hidden_remainder_x
      - .offset:         164
        .size:           2
        .value_kind:     hidden_remainder_y
      - .offset:         166
        .size:           2
        .value_kind:     hidden_remainder_z
      - .offset:         184
        .size:           8
        .value_kind:     hidden_global_offset_x
      - .offset:         192
        .size:           8
        .value_kind:     hidden_global_offset_y
      - .offset:         200
        .size:           8
        .value_kind:     hidden_global_offset_z
      - .offset:         208
        .size:           2
        .value_kind:     hidden_grid_dims
      - .offset:         224
        .size:           8
        .value_kind:     hidden_hostcall_buffer
    .group_segment_fixed_size: 8192
    .kernarg_segment_align: 8
    .kernarg_segment_size: 400
    .language:       OpenCL C
    .language_version:
      - 2
      - 0
    .max_flat_workgroup_size: 256
    .name:           _Z39paged_attention_ll4mi_QKV_mfma16_kernelI14__hip_bfloat16hLN4vllm18Fp8KVCacheDataTypeE1ES0_Li32ELi128ELi256ELb0ELi7EL8MFMAType1EEvPKT_PKT0_S9_ifPKiSB_SB_iPKfiiiPfSE_PS4_PT2_iSD_SD_
    .private_segment_fixed_size: 64
    .sgpr_count:     40
    .sgpr_spill_count: 0
    .symbol:         _Z39paged_attention_ll4mi_QKV_mfma16_kernelI14__hip_bfloat16hLN4vllm18Fp8KVCacheDataTypeE1ES0_Li32ELi128ELi256ELb0ELi7EL8MFMAType1EEvPKT_PKT0_S9_ifPKiSB_SB_iPKfiiiPfSE_PS4_PT2_iSD_SD_.kd
    .uniform_work_group_size: 1
    .uses_dynamic_stack: false
    .vgpr_count:     45
    .vgpr_spill_count: 0
    .wavefront_size: 64
  - .agpr_count:     1
    .args:
      - .actual_access:  read_only
        .address_space:  global
        .offset:         0
        .size:           8
        .value_kind:     global_buffer
      - .actual_access:  read_only
        .address_space:  global
        .offset:         8
        .size:           8
        .value_kind:     global_buffer
      - .actual_access:  read_only
        .address_space:  global
        .offset:         16
        .size:           8
        .value_kind:     global_buffer
      - .offset:         24
        .size:           4
        .value_kind:     by_value
      - .offset:         28
        .size:           4
        .value_kind:     by_value
      - .actual_access:  read_only
        .address_space:  global
        .offset:         32
        .size:           8
        .value_kind:     global_buffer
      - .actual_access:  read_only
        .address_space:  global
        .offset:         40
        .size:           8
        .value_kind:     global_buffer
      - .actual_access:  read_only
        .address_space:  global
        .offset:         48
        .size:           8
        .value_kind:     global_buffer
      - .offset:         56
        .size:           4
        .value_kind:     by_value
      - .actual_access:  read_only
        .address_space:  global
        .offset:         64
        .size:           8
        .value_kind:     global_buffer
      - .offset:         72
        .size:           4
        .value_kind:     by_value
      - .offset:         76
        .size:           4
        .value_kind:     by_value
      - .offset:         80
        .size:           4
        .value_kind:     by_value
      - .actual_access:  read_only
        .address_space:  global
        .offset:         88
        .size:           8
        .value_kind:     global_buffer
      - .actual_access:  read_only
        .address_space:  global
        .offset:         96
        .size:           8
        .value_kind:     global_buffer
      - .actual_access:  read_only
        .address_space:  global
        .offset:         104
        .size:           8
        .value_kind:     global_buffer
      - .actual_access:  read_only
        .address_space:  global
        .offset:         112
        .size:           8
        .value_kind:     global_buffer
      - .offset:         120
        .size:           4
        .value_kind:     by_value
      - .address_space:  global
        .offset:         128
        .size:           8
        .value_kind:     global_buffer
      - .address_space:  global
        .offset:         136
        .size:           8
        .value_kind:     global_buffer
      - .offset:         144
        .size:           4
        .value_kind:     hidden_block_count_x
      - .offset:         148
        .size:           4
        .value_kind:     hidden_block_count_y
      - .offset:         152
        .size:           4
        .value_kind:     hidden_block_count_z
      - .offset:         156
        .size:           2
        .value_kind:     hidden_group_size_x
      - .offset:         158
        .size:           2
        .value_kind:     hidden_group_size_y
      - .offset:         160
        .size:           2
        .value_kind:     hidden_group_size_z
      - .offset:         162
        .size:           2
        .value_kind:     hidden_remainder_x
      - .offset:         164
        .size:           2
        .value_kind:     hidden_remainder_y
      - .offset:         166
        .size:           2
        .value_kind:     hidden_remainder_z
      - .offset:         184
        .size:           8
        .value_kind:     hidden_global_offset_x
      - .offset:         192
        .size:           8
        .value_kind:     hidden_global_offset_y
      - .offset:         200
        .size:           8
        .value_kind:     hidden_global_offset_z
      - .offset:         208
        .size:           2
        .value_kind:     hidden_grid_dims
      - .offset:         224
        .size:           8
        .value_kind:     hidden_hostcall_buffer
    .group_segment_fixed_size: 8192
    .kernarg_segment_align: 8
    .kernarg_segment_size: 400
    .language:       OpenCL C
    .language_version:
      - 2
      - 0
    .max_flat_workgroup_size: 256
    .name:           _Z39paged_attention_ll4mi_QKV_mfma16_kernelI14__hip_bfloat16hLN4vllm18Fp8KVCacheDataTypeE1ES0_Li32ELi128ELi256ELb0ELi8EL8MFMAType1EEvPKT_PKT0_S9_ifPKiSB_SB_iPKfiiiPfSE_PS4_PT2_iSD_SD_
    .private_segment_fixed_size: 64
    .sgpr_count:     40
    .sgpr_spill_count: 0
    .symbol:         _Z39paged_attention_ll4mi_QKV_mfma16_kernelI14__hip_bfloat16hLN4vllm18Fp8KVCacheDataTypeE1ES0_Li32ELi128ELi256ELb0ELi8EL8MFMAType1EEvPKT_PKT0_S9_ifPKiSB_SB_iPKfiiiPfSE_PS4_PT2_iSD_SD_.kd
    .uniform_work_group_size: 1
    .uses_dynamic_stack: false
    .vgpr_count:     45
    .vgpr_spill_count: 0
    .wavefront_size: 64
  - .agpr_count:     1
    .args:
      - .actual_access:  read_only
        .address_space:  global
        .offset:         0
        .size:           8
        .value_kind:     global_buffer
      - .actual_access:  read_only
        .address_space:  global
        .offset:         8
        .size:           8
        .value_kind:     global_buffer
      - .actual_access:  read_only
        .address_space:  global
        .offset:         16
        .size:           8
        .value_kind:     global_buffer
      - .offset:         24
        .size:           4
        .value_kind:     by_value
      - .offset:         28
        .size:           4
        .value_kind:     by_value
      - .actual_access:  read_only
        .address_space:  global
        .offset:         32
        .size:           8
        .value_kind:     global_buffer
      - .actual_access:  read_only
        .address_space:  global
        .offset:         40
        .size:           8
        .value_kind:     global_buffer
      - .actual_access:  read_only
        .address_space:  global
        .offset:         48
        .size:           8
        .value_kind:     global_buffer
      - .offset:         56
        .size:           4
        .value_kind:     by_value
      - .actual_access:  read_only
        .address_space:  global
        .offset:         64
        .size:           8
        .value_kind:     global_buffer
      - .offset:         72
        .size:           4
        .value_kind:     by_value
      - .offset:         76
        .size:           4
        .value_kind:     by_value
      - .offset:         80
        .size:           4
        .value_kind:     by_value
      - .actual_access:  read_only
        .address_space:  global
        .offset:         88
        .size:           8
        .value_kind:     global_buffer
      - .actual_access:  read_only
        .address_space:  global
        .offset:         96
        .size:           8
        .value_kind:     global_buffer
      - .actual_access:  read_only
        .address_space:  global
        .offset:         104
        .size:           8
        .value_kind:     global_buffer
      - .actual_access:  read_only
        .address_space:  global
        .offset:         112
        .size:           8
        .value_kind:     global_buffer
      - .offset:         120
        .size:           4
        .value_kind:     by_value
      - .address_space:  global
        .offset:         128
        .size:           8
        .value_kind:     global_buffer
      - .address_space:  global
        .offset:         136
        .size:           8
        .value_kind:     global_buffer
      - .offset:         144
        .size:           4
        .value_kind:     hidden_block_count_x
      - .offset:         148
        .size:           4
        .value_kind:     hidden_block_count_y
      - .offset:         152
        .size:           4
        .value_kind:     hidden_block_count_z
      - .offset:         156
        .size:           2
        .value_kind:     hidden_group_size_x
      - .offset:         158
        .size:           2
        .value_kind:     hidden_group_size_y
      - .offset:         160
        .size:           2
        .value_kind:     hidden_group_size_z
      - .offset:         162
        .size:           2
        .value_kind:     hidden_remainder_x
      - .offset:         164
        .size:           2
        .value_kind:     hidden_remainder_y
      - .offset:         166
        .size:           2
        .value_kind:     hidden_remainder_z
      - .offset:         184
        .size:           8
        .value_kind:     hidden_global_offset_x
      - .offset:         192
        .size:           8
        .value_kind:     hidden_global_offset_y
      - .offset:         200
        .size:           8
        .value_kind:     hidden_global_offset_z
      - .offset:         208
        .size:           2
        .value_kind:     hidden_grid_dims
      - .offset:         224
        .size:           8
        .value_kind:     hidden_hostcall_buffer
    .group_segment_fixed_size: 8192
    .kernarg_segment_align: 8
    .kernarg_segment_size: 400
    .language:       OpenCL C
    .language_version:
      - 2
      - 0
    .max_flat_workgroup_size: 256
    .name:           _Z39paged_attention_ll4mi_QKV_mfma16_kernelI14__hip_bfloat16hLN4vllm18Fp8KVCacheDataTypeE1ES0_Li32ELi128ELi256ELb0ELi9EL8MFMAType1EEvPKT_PKT0_S9_ifPKiSB_SB_iPKfiiiPfSE_PS4_PT2_iSD_SD_
    .private_segment_fixed_size: 64
    .sgpr_count:     40
    .sgpr_spill_count: 0
    .symbol:         _Z39paged_attention_ll4mi_QKV_mfma16_kernelI14__hip_bfloat16hLN4vllm18Fp8KVCacheDataTypeE1ES0_Li32ELi128ELi256ELb0ELi9EL8MFMAType1EEvPKT_PKT0_S9_ifPKiSB_SB_iPKfiiiPfSE_PS4_PT2_iSD_SD_.kd
    .uniform_work_group_size: 1
    .uses_dynamic_stack: false
    .vgpr_count:     45
    .vgpr_spill_count: 0
    .wavefront_size: 64
  - .agpr_count:     1
    .args:
      - .actual_access:  read_only
        .address_space:  global
        .offset:         0
        .size:           8
        .value_kind:     global_buffer
      - .actual_access:  read_only
        .address_space:  global
        .offset:         8
        .size:           8
        .value_kind:     global_buffer
      - .actual_access:  read_only
        .address_space:  global
        .offset:         16
        .size:           8
        .value_kind:     global_buffer
      - .offset:         24
        .size:           4
        .value_kind:     by_value
      - .offset:         28
        .size:           4
        .value_kind:     by_value
      - .actual_access:  read_only
        .address_space:  global
        .offset:         32
        .size:           8
        .value_kind:     global_buffer
      - .actual_access:  read_only
        .address_space:  global
        .offset:         40
        .size:           8
        .value_kind:     global_buffer
      - .actual_access:  read_only
        .address_space:  global
        .offset:         48
        .size:           8
        .value_kind:     global_buffer
      - .offset:         56
        .size:           4
        .value_kind:     by_value
      - .actual_access:  read_only
        .address_space:  global
        .offset:         64
        .size:           8
        .value_kind:     global_buffer
      - .offset:         72
        .size:           4
        .value_kind:     by_value
      - .offset:         76
        .size:           4
        .value_kind:     by_value
      - .offset:         80
        .size:           4
        .value_kind:     by_value
      - .actual_access:  read_only
        .address_space:  global
        .offset:         88
        .size:           8
        .value_kind:     global_buffer
      - .actual_access:  read_only
        .address_space:  global
        .offset:         96
        .size:           8
        .value_kind:     global_buffer
      - .actual_access:  read_only
        .address_space:  global
        .offset:         104
        .size:           8
        .value_kind:     global_buffer
      - .actual_access:  read_only
        .address_space:  global
        .offset:         112
        .size:           8
        .value_kind:     global_buffer
      - .offset:         120
        .size:           4
        .value_kind:     by_value
      - .address_space:  global
        .offset:         128
        .size:           8
        .value_kind:     global_buffer
      - .address_space:  global
        .offset:         136
        .size:           8
        .value_kind:     global_buffer
      - .offset:         144
        .size:           4
        .value_kind:     hidden_block_count_x
      - .offset:         148
        .size:           4
        .value_kind:     hidden_block_count_y
      - .offset:         152
        .size:           4
        .value_kind:     hidden_block_count_z
      - .offset:         156
        .size:           2
        .value_kind:     hidden_group_size_x
      - .offset:         158
        .size:           2
        .value_kind:     hidden_group_size_y
      - .offset:         160
        .size:           2
        .value_kind:     hidden_group_size_z
      - .offset:         162
        .size:           2
        .value_kind:     hidden_remainder_x
      - .offset:         164
        .size:           2
        .value_kind:     hidden_remainder_y
      - .offset:         166
        .size:           2
        .value_kind:     hidden_remainder_z
      - .offset:         184
        .size:           8
        .value_kind:     hidden_global_offset_x
      - .offset:         192
        .size:           8
        .value_kind:     hidden_global_offset_y
      - .offset:         200
        .size:           8
        .value_kind:     hidden_global_offset_z
      - .offset:         208
        .size:           2
        .value_kind:     hidden_grid_dims
      - .offset:         224
        .size:           8
        .value_kind:     hidden_hostcall_buffer
    .group_segment_fixed_size: 8192
    .kernarg_segment_align: 8
    .kernarg_segment_size: 400
    .language:       OpenCL C
    .language_version:
      - 2
      - 0
    .max_flat_workgroup_size: 256
    .name:           _Z39paged_attention_ll4mi_QKV_mfma16_kernelI14__hip_bfloat16hLN4vllm18Fp8KVCacheDataTypeE1ES0_Li32ELi128ELi256ELb0ELi10EL8MFMAType1EEvPKT_PKT0_S9_ifPKiSB_SB_iPKfiiiPfSE_PS4_PT2_iSD_SD_
    .private_segment_fixed_size: 64
    .sgpr_count:     40
    .sgpr_spill_count: 0
    .symbol:         _Z39paged_attention_ll4mi_QKV_mfma16_kernelI14__hip_bfloat16hLN4vllm18Fp8KVCacheDataTypeE1ES0_Li32ELi128ELi256ELb0ELi10EL8MFMAType1EEvPKT_PKT0_S9_ifPKiSB_SB_iPKfiiiPfSE_PS4_PT2_iSD_SD_.kd
    .uniform_work_group_size: 1
    .uses_dynamic_stack: false
    .vgpr_count:     45
    .vgpr_spill_count: 0
    .wavefront_size: 64
  - .agpr_count:     1
    .args:
      - .actual_access:  read_only
        .address_space:  global
        .offset:         0
        .size:           8
        .value_kind:     global_buffer
      - .actual_access:  read_only
        .address_space:  global
        .offset:         8
        .size:           8
        .value_kind:     global_buffer
      - .actual_access:  read_only
        .address_space:  global
        .offset:         16
        .size:           8
        .value_kind:     global_buffer
      - .offset:         24
        .size:           4
        .value_kind:     by_value
      - .offset:         28
        .size:           4
        .value_kind:     by_value
      - .actual_access:  read_only
        .address_space:  global
        .offset:         32
        .size:           8
        .value_kind:     global_buffer
      - .actual_access:  read_only
        .address_space:  global
        .offset:         40
        .size:           8
        .value_kind:     global_buffer
      - .actual_access:  read_only
        .address_space:  global
        .offset:         48
        .size:           8
        .value_kind:     global_buffer
      - .offset:         56
        .size:           4
        .value_kind:     by_value
      - .actual_access:  read_only
        .address_space:  global
        .offset:         64
        .size:           8
        .value_kind:     global_buffer
      - .offset:         72
        .size:           4
        .value_kind:     by_value
      - .offset:         76
        .size:           4
        .value_kind:     by_value
      - .offset:         80
        .size:           4
        .value_kind:     by_value
      - .actual_access:  read_only
        .address_space:  global
        .offset:         88
        .size:           8
        .value_kind:     global_buffer
      - .actual_access:  read_only
        .address_space:  global
        .offset:         96
        .size:           8
        .value_kind:     global_buffer
      - .actual_access:  read_only
        .address_space:  global
        .offset:         104
        .size:           8
        .value_kind:     global_buffer
      - .actual_access:  read_only
        .address_space:  global
        .offset:         112
        .size:           8
        .value_kind:     global_buffer
      - .offset:         120
        .size:           4
        .value_kind:     by_value
      - .address_space:  global
        .offset:         128
        .size:           8
        .value_kind:     global_buffer
      - .address_space:  global
        .offset:         136
        .size:           8
        .value_kind:     global_buffer
      - .offset:         144
        .size:           4
        .value_kind:     hidden_block_count_x
      - .offset:         148
        .size:           4
        .value_kind:     hidden_block_count_y
      - .offset:         152
        .size:           4
        .value_kind:     hidden_block_count_z
      - .offset:         156
        .size:           2
        .value_kind:     hidden_group_size_x
      - .offset:         158
        .size:           2
        .value_kind:     hidden_group_size_y
      - .offset:         160
        .size:           2
        .value_kind:     hidden_group_size_z
      - .offset:         162
        .size:           2
        .value_kind:     hidden_remainder_x
      - .offset:         164
        .size:           2
        .value_kind:     hidden_remainder_y
      - .offset:         166
        .size:           2
        .value_kind:     hidden_remainder_z
      - .offset:         184
        .size:           8
        .value_kind:     hidden_global_offset_x
      - .offset:         192
        .size:           8
        .value_kind:     hidden_global_offset_y
      - .offset:         200
        .size:           8
        .value_kind:     hidden_global_offset_z
      - .offset:         208
        .size:           2
        .value_kind:     hidden_grid_dims
      - .offset:         224
        .size:           8
        .value_kind:     hidden_hostcall_buffer
    .group_segment_fixed_size: 8192
    .kernarg_segment_align: 8
    .kernarg_segment_size: 400
    .language:       OpenCL C
    .language_version:
      - 2
      - 0
    .max_flat_workgroup_size: 256
    .name:           _Z39paged_attention_ll4mi_QKV_mfma16_kernelI14__hip_bfloat16hLN4vllm18Fp8KVCacheDataTypeE1ES0_Li32ELi128ELi256ELb0ELi11EL8MFMAType1EEvPKT_PKT0_S9_ifPKiSB_SB_iPKfiiiPfSE_PS4_PT2_iSD_SD_
    .private_segment_fixed_size: 64
    .sgpr_count:     40
    .sgpr_spill_count: 0
    .symbol:         _Z39paged_attention_ll4mi_QKV_mfma16_kernelI14__hip_bfloat16hLN4vllm18Fp8KVCacheDataTypeE1ES0_Li32ELi128ELi256ELb0ELi11EL8MFMAType1EEvPKT_PKT0_S9_ifPKiSB_SB_iPKfiiiPfSE_PS4_PT2_iSD_SD_.kd
    .uniform_work_group_size: 1
    .uses_dynamic_stack: false
    .vgpr_count:     45
    .vgpr_spill_count: 0
    .wavefront_size: 64
  - .agpr_count:     1
    .args:
      - .actual_access:  read_only
        .address_space:  global
        .offset:         0
        .size:           8
        .value_kind:     global_buffer
      - .actual_access:  read_only
        .address_space:  global
        .offset:         8
        .size:           8
        .value_kind:     global_buffer
      - .actual_access:  read_only
        .address_space:  global
        .offset:         16
        .size:           8
        .value_kind:     global_buffer
      - .offset:         24
        .size:           4
        .value_kind:     by_value
      - .offset:         28
        .size:           4
        .value_kind:     by_value
      - .actual_access:  read_only
        .address_space:  global
        .offset:         32
        .size:           8
        .value_kind:     global_buffer
      - .actual_access:  read_only
        .address_space:  global
        .offset:         40
        .size:           8
        .value_kind:     global_buffer
      - .actual_access:  read_only
        .address_space:  global
        .offset:         48
        .size:           8
        .value_kind:     global_buffer
      - .offset:         56
        .size:           4
        .value_kind:     by_value
      - .actual_access:  read_only
        .address_space:  global
        .offset:         64
        .size:           8
        .value_kind:     global_buffer
      - .offset:         72
        .size:           4
        .value_kind:     by_value
      - .offset:         76
        .size:           4
        .value_kind:     by_value
      - .offset:         80
        .size:           4
        .value_kind:     by_value
      - .actual_access:  read_only
        .address_space:  global
        .offset:         88
        .size:           8
        .value_kind:     global_buffer
      - .actual_access:  read_only
        .address_space:  global
        .offset:         96
        .size:           8
        .value_kind:     global_buffer
      - .actual_access:  read_only
        .address_space:  global
        .offset:         104
        .size:           8
        .value_kind:     global_buffer
      - .actual_access:  read_only
        .address_space:  global
        .offset:         112
        .size:           8
        .value_kind:     global_buffer
      - .offset:         120
        .size:           4
        .value_kind:     by_value
      - .address_space:  global
        .offset:         128
        .size:           8
        .value_kind:     global_buffer
      - .address_space:  global
        .offset:         136
        .size:           8
        .value_kind:     global_buffer
      - .offset:         144
        .size:           4
        .value_kind:     hidden_block_count_x
      - .offset:         148
        .size:           4
        .value_kind:     hidden_block_count_y
      - .offset:         152
        .size:           4
        .value_kind:     hidden_block_count_z
      - .offset:         156
        .size:           2
        .value_kind:     hidden_group_size_x
      - .offset:         158
        .size:           2
        .value_kind:     hidden_group_size_y
      - .offset:         160
        .size:           2
        .value_kind:     hidden_group_size_z
      - .offset:         162
        .size:           2
        .value_kind:     hidden_remainder_x
      - .offset:         164
        .size:           2
        .value_kind:     hidden_remainder_y
      - .offset:         166
        .size:           2
        .value_kind:     hidden_remainder_z
      - .offset:         184
        .size:           8
        .value_kind:     hidden_global_offset_x
      - .offset:         192
        .size:           8
        .value_kind:     hidden_global_offset_y
      - .offset:         200
        .size:           8
        .value_kind:     hidden_global_offset_z
      - .offset:         208
        .size:           2
        .value_kind:     hidden_grid_dims
      - .offset:         224
        .size:           8
        .value_kind:     hidden_hostcall_buffer
    .group_segment_fixed_size: 8192
    .kernarg_segment_align: 8
    .kernarg_segment_size: 400
    .language:       OpenCL C
    .language_version:
      - 2
      - 0
    .max_flat_workgroup_size: 256
    .name:           _Z39paged_attention_ll4mi_QKV_mfma16_kernelI14__hip_bfloat16hLN4vllm18Fp8KVCacheDataTypeE1ES0_Li32ELi128ELi256ELb0ELi12EL8MFMAType1EEvPKT_PKT0_S9_ifPKiSB_SB_iPKfiiiPfSE_PS4_PT2_iSD_SD_
    .private_segment_fixed_size: 64
    .sgpr_count:     40
    .sgpr_spill_count: 0
    .symbol:         _Z39paged_attention_ll4mi_QKV_mfma16_kernelI14__hip_bfloat16hLN4vllm18Fp8KVCacheDataTypeE1ES0_Li32ELi128ELi256ELb0ELi12EL8MFMAType1EEvPKT_PKT0_S9_ifPKiSB_SB_iPKfiiiPfSE_PS4_PT2_iSD_SD_.kd
    .uniform_work_group_size: 1
    .uses_dynamic_stack: false
    .vgpr_count:     45
    .vgpr_spill_count: 0
    .wavefront_size: 64
  - .agpr_count:     1
    .args:
      - .actual_access:  read_only
        .address_space:  global
        .offset:         0
        .size:           8
        .value_kind:     global_buffer
      - .actual_access:  read_only
        .address_space:  global
        .offset:         8
        .size:           8
        .value_kind:     global_buffer
      - .actual_access:  read_only
        .address_space:  global
        .offset:         16
        .size:           8
        .value_kind:     global_buffer
      - .offset:         24
        .size:           4
        .value_kind:     by_value
      - .offset:         28
        .size:           4
        .value_kind:     by_value
      - .actual_access:  read_only
        .address_space:  global
        .offset:         32
        .size:           8
        .value_kind:     global_buffer
      - .actual_access:  read_only
        .address_space:  global
        .offset:         40
        .size:           8
        .value_kind:     global_buffer
      - .actual_access:  read_only
        .address_space:  global
        .offset:         48
        .size:           8
        .value_kind:     global_buffer
      - .offset:         56
        .size:           4
        .value_kind:     by_value
      - .actual_access:  read_only
        .address_space:  global
        .offset:         64
        .size:           8
        .value_kind:     global_buffer
      - .offset:         72
        .size:           4
        .value_kind:     by_value
      - .offset:         76
        .size:           4
        .value_kind:     by_value
      - .offset:         80
        .size:           4
        .value_kind:     by_value
      - .actual_access:  read_only
        .address_space:  global
        .offset:         88
        .size:           8
        .value_kind:     global_buffer
      - .actual_access:  read_only
        .address_space:  global
        .offset:         96
        .size:           8
        .value_kind:     global_buffer
      - .actual_access:  read_only
        .address_space:  global
        .offset:         104
        .size:           8
        .value_kind:     global_buffer
      - .actual_access:  read_only
        .address_space:  global
        .offset:         112
        .size:           8
        .value_kind:     global_buffer
      - .offset:         120
        .size:           4
        .value_kind:     by_value
      - .address_space:  global
        .offset:         128
        .size:           8
        .value_kind:     global_buffer
      - .address_space:  global
        .offset:         136
        .size:           8
        .value_kind:     global_buffer
      - .offset:         144
        .size:           4
        .value_kind:     hidden_block_count_x
      - .offset:         148
        .size:           4
        .value_kind:     hidden_block_count_y
      - .offset:         152
        .size:           4
        .value_kind:     hidden_block_count_z
      - .offset:         156
        .size:           2
        .value_kind:     hidden_group_size_x
      - .offset:         158
        .size:           2
        .value_kind:     hidden_group_size_y
      - .offset:         160
        .size:           2
        .value_kind:     hidden_group_size_z
      - .offset:         162
        .size:           2
        .value_kind:     hidden_remainder_x
      - .offset:         164
        .size:           2
        .value_kind:     hidden_remainder_y
      - .offset:         166
        .size:           2
        .value_kind:     hidden_remainder_z
      - .offset:         184
        .size:           8
        .value_kind:     hidden_global_offset_x
      - .offset:         192
        .size:           8
        .value_kind:     hidden_global_offset_y
      - .offset:         200
        .size:           8
        .value_kind:     hidden_global_offset_z
      - .offset:         208
        .size:           2
        .value_kind:     hidden_grid_dims
      - .offset:         224
        .size:           8
        .value_kind:     hidden_hostcall_buffer
    .group_segment_fixed_size: 8192
    .kernarg_segment_align: 8
    .kernarg_segment_size: 400
    .language:       OpenCL C
    .language_version:
      - 2
      - 0
    .max_flat_workgroup_size: 256
    .name:           _Z39paged_attention_ll4mi_QKV_mfma16_kernelI14__hip_bfloat16hLN4vllm18Fp8KVCacheDataTypeE1ES0_Li32ELi128ELi256ELb0ELi13EL8MFMAType1EEvPKT_PKT0_S9_ifPKiSB_SB_iPKfiiiPfSE_PS4_PT2_iSD_SD_
    .private_segment_fixed_size: 64
    .sgpr_count:     40
    .sgpr_spill_count: 0
    .symbol:         _Z39paged_attention_ll4mi_QKV_mfma16_kernelI14__hip_bfloat16hLN4vllm18Fp8KVCacheDataTypeE1ES0_Li32ELi128ELi256ELb0ELi13EL8MFMAType1EEvPKT_PKT0_S9_ifPKiSB_SB_iPKfiiiPfSE_PS4_PT2_iSD_SD_.kd
    .uniform_work_group_size: 1
    .uses_dynamic_stack: false
    .vgpr_count:     45
    .vgpr_spill_count: 0
    .wavefront_size: 64
  - .agpr_count:     1
    .args:
      - .actual_access:  read_only
        .address_space:  global
        .offset:         0
        .size:           8
        .value_kind:     global_buffer
      - .actual_access:  read_only
        .address_space:  global
        .offset:         8
        .size:           8
        .value_kind:     global_buffer
      - .actual_access:  read_only
        .address_space:  global
        .offset:         16
        .size:           8
        .value_kind:     global_buffer
      - .offset:         24
        .size:           4
        .value_kind:     by_value
      - .offset:         28
        .size:           4
        .value_kind:     by_value
      - .actual_access:  read_only
        .address_space:  global
        .offset:         32
        .size:           8
        .value_kind:     global_buffer
      - .actual_access:  read_only
        .address_space:  global
        .offset:         40
        .size:           8
        .value_kind:     global_buffer
      - .actual_access:  read_only
        .address_space:  global
        .offset:         48
        .size:           8
        .value_kind:     global_buffer
      - .offset:         56
        .size:           4
        .value_kind:     by_value
      - .actual_access:  read_only
        .address_space:  global
        .offset:         64
        .size:           8
        .value_kind:     global_buffer
      - .offset:         72
        .size:           4
        .value_kind:     by_value
      - .offset:         76
        .size:           4
        .value_kind:     by_value
      - .offset:         80
        .size:           4
        .value_kind:     by_value
      - .actual_access:  read_only
        .address_space:  global
        .offset:         88
        .size:           8
        .value_kind:     global_buffer
      - .actual_access:  read_only
        .address_space:  global
        .offset:         96
        .size:           8
        .value_kind:     global_buffer
      - .actual_access:  read_only
        .address_space:  global
        .offset:         104
        .size:           8
        .value_kind:     global_buffer
      - .actual_access:  read_only
        .address_space:  global
        .offset:         112
        .size:           8
        .value_kind:     global_buffer
      - .offset:         120
        .size:           4
        .value_kind:     by_value
      - .address_space:  global
        .offset:         128
        .size:           8
        .value_kind:     global_buffer
      - .address_space:  global
        .offset:         136
        .size:           8
        .value_kind:     global_buffer
      - .offset:         144
        .size:           4
        .value_kind:     hidden_block_count_x
      - .offset:         148
        .size:           4
        .value_kind:     hidden_block_count_y
      - .offset:         152
        .size:           4
        .value_kind:     hidden_block_count_z
      - .offset:         156
        .size:           2
        .value_kind:     hidden_group_size_x
      - .offset:         158
        .size:           2
        .value_kind:     hidden_group_size_y
      - .offset:         160
        .size:           2
        .value_kind:     hidden_group_size_z
      - .offset:         162
        .size:           2
        .value_kind:     hidden_remainder_x
      - .offset:         164
        .size:           2
        .value_kind:     hidden_remainder_y
      - .offset:         166
        .size:           2
        .value_kind:     hidden_remainder_z
      - .offset:         184
        .size:           8
        .value_kind:     hidden_global_offset_x
      - .offset:         192
        .size:           8
        .value_kind:     hidden_global_offset_y
      - .offset:         200
        .size:           8
        .value_kind:     hidden_global_offset_z
      - .offset:         208
        .size:           2
        .value_kind:     hidden_grid_dims
      - .offset:         224
        .size:           8
        .value_kind:     hidden_hostcall_buffer
    .group_segment_fixed_size: 8192
    .kernarg_segment_align: 8
    .kernarg_segment_size: 400
    .language:       OpenCL C
    .language_version:
      - 2
      - 0
    .max_flat_workgroup_size: 256
    .name:           _Z39paged_attention_ll4mi_QKV_mfma16_kernelI14__hip_bfloat16hLN4vllm18Fp8KVCacheDataTypeE1ES0_Li32ELi128ELi256ELb0ELi14EL8MFMAType1EEvPKT_PKT0_S9_ifPKiSB_SB_iPKfiiiPfSE_PS4_PT2_iSD_SD_
    .private_segment_fixed_size: 64
    .sgpr_count:     40
    .sgpr_spill_count: 0
    .symbol:         _Z39paged_attention_ll4mi_QKV_mfma16_kernelI14__hip_bfloat16hLN4vllm18Fp8KVCacheDataTypeE1ES0_Li32ELi128ELi256ELb0ELi14EL8MFMAType1EEvPKT_PKT0_S9_ifPKiSB_SB_iPKfiiiPfSE_PS4_PT2_iSD_SD_.kd
    .uniform_work_group_size: 1
    .uses_dynamic_stack: false
    .vgpr_count:     45
    .vgpr_spill_count: 0
    .wavefront_size: 64
  - .agpr_count:     1
    .args:
      - .actual_access:  read_only
        .address_space:  global
        .offset:         0
        .size:           8
        .value_kind:     global_buffer
      - .actual_access:  read_only
        .address_space:  global
        .offset:         8
        .size:           8
        .value_kind:     global_buffer
      - .actual_access:  read_only
        .address_space:  global
        .offset:         16
        .size:           8
        .value_kind:     global_buffer
      - .offset:         24
        .size:           4
        .value_kind:     by_value
      - .offset:         28
        .size:           4
        .value_kind:     by_value
      - .actual_access:  read_only
        .address_space:  global
        .offset:         32
        .size:           8
        .value_kind:     global_buffer
      - .actual_access:  read_only
        .address_space:  global
        .offset:         40
        .size:           8
        .value_kind:     global_buffer
      - .actual_access:  read_only
        .address_space:  global
        .offset:         48
        .size:           8
        .value_kind:     global_buffer
      - .offset:         56
        .size:           4
        .value_kind:     by_value
      - .actual_access:  read_only
        .address_space:  global
        .offset:         64
        .size:           8
        .value_kind:     global_buffer
      - .offset:         72
        .size:           4
        .value_kind:     by_value
      - .offset:         76
        .size:           4
        .value_kind:     by_value
      - .offset:         80
        .size:           4
        .value_kind:     by_value
      - .actual_access:  read_only
        .address_space:  global
        .offset:         88
        .size:           8
        .value_kind:     global_buffer
      - .actual_access:  read_only
        .address_space:  global
        .offset:         96
        .size:           8
        .value_kind:     global_buffer
      - .actual_access:  read_only
        .address_space:  global
        .offset:         104
        .size:           8
        .value_kind:     global_buffer
      - .actual_access:  read_only
        .address_space:  global
        .offset:         112
        .size:           8
        .value_kind:     global_buffer
      - .offset:         120
        .size:           4
        .value_kind:     by_value
      - .address_space:  global
        .offset:         128
        .size:           8
        .value_kind:     global_buffer
      - .address_space:  global
        .offset:         136
        .size:           8
        .value_kind:     global_buffer
      - .offset:         144
        .size:           4
        .value_kind:     hidden_block_count_x
      - .offset:         148
        .size:           4
        .value_kind:     hidden_block_count_y
      - .offset:         152
        .size:           4
        .value_kind:     hidden_block_count_z
      - .offset:         156
        .size:           2
        .value_kind:     hidden_group_size_x
      - .offset:         158
        .size:           2
        .value_kind:     hidden_group_size_y
      - .offset:         160
        .size:           2
        .value_kind:     hidden_group_size_z
      - .offset:         162
        .size:           2
        .value_kind:     hidden_remainder_x
      - .offset:         164
        .size:           2
        .value_kind:     hidden_remainder_y
      - .offset:         166
        .size:           2
        .value_kind:     hidden_remainder_z
      - .offset:         184
        .size:           8
        .value_kind:     hidden_global_offset_x
      - .offset:         192
        .size:           8
        .value_kind:     hidden_global_offset_y
      - .offset:         200
        .size:           8
        .value_kind:     hidden_global_offset_z
      - .offset:         208
        .size:           2
        .value_kind:     hidden_grid_dims
      - .offset:         224
        .size:           8
        .value_kind:     hidden_hostcall_buffer
    .group_segment_fixed_size: 8192
    .kernarg_segment_align: 8
    .kernarg_segment_size: 400
    .language:       OpenCL C
    .language_version:
      - 2
      - 0
    .max_flat_workgroup_size: 256
    .name:           _Z39paged_attention_ll4mi_QKV_mfma16_kernelI14__hip_bfloat16hLN4vllm18Fp8KVCacheDataTypeE1ES0_Li32ELi128ELi256ELb0ELi15EL8MFMAType1EEvPKT_PKT0_S9_ifPKiSB_SB_iPKfiiiPfSE_PS4_PT2_iSD_SD_
    .private_segment_fixed_size: 64
    .sgpr_count:     40
    .sgpr_spill_count: 0
    .symbol:         _Z39paged_attention_ll4mi_QKV_mfma16_kernelI14__hip_bfloat16hLN4vllm18Fp8KVCacheDataTypeE1ES0_Li32ELi128ELi256ELb0ELi15EL8MFMAType1EEvPKT_PKT0_S9_ifPKiSB_SB_iPKfiiiPfSE_PS4_PT2_iSD_SD_.kd
    .uniform_work_group_size: 1
    .uses_dynamic_stack: false
    .vgpr_count:     45
    .vgpr_spill_count: 0
    .wavefront_size: 64
  - .agpr_count:     1
    .args:
      - .actual_access:  read_only
        .address_space:  global
        .offset:         0
        .size:           8
        .value_kind:     global_buffer
      - .actual_access:  read_only
        .address_space:  global
        .offset:         8
        .size:           8
        .value_kind:     global_buffer
      - .actual_access:  read_only
        .address_space:  global
        .offset:         16
        .size:           8
        .value_kind:     global_buffer
      - .offset:         24
        .size:           4
        .value_kind:     by_value
      - .offset:         28
        .size:           4
        .value_kind:     by_value
      - .actual_access:  read_only
        .address_space:  global
        .offset:         32
        .size:           8
        .value_kind:     global_buffer
      - .actual_access:  read_only
        .address_space:  global
        .offset:         40
        .size:           8
        .value_kind:     global_buffer
      - .actual_access:  read_only
        .address_space:  global
        .offset:         48
        .size:           8
        .value_kind:     global_buffer
      - .offset:         56
        .size:           4
        .value_kind:     by_value
      - .actual_access:  read_only
        .address_space:  global
        .offset:         64
        .size:           8
        .value_kind:     global_buffer
      - .offset:         72
        .size:           4
        .value_kind:     by_value
      - .offset:         76
        .size:           4
        .value_kind:     by_value
      - .offset:         80
        .size:           4
        .value_kind:     by_value
      - .actual_access:  read_only
        .address_space:  global
        .offset:         88
        .size:           8
        .value_kind:     global_buffer
      - .actual_access:  read_only
        .address_space:  global
        .offset:         96
        .size:           8
        .value_kind:     global_buffer
      - .actual_access:  read_only
        .address_space:  global
        .offset:         104
        .size:           8
        .value_kind:     global_buffer
      - .actual_access:  read_only
        .address_space:  global
        .offset:         112
        .size:           8
        .value_kind:     global_buffer
      - .offset:         120
        .size:           4
        .value_kind:     by_value
      - .address_space:  global
        .offset:         128
        .size:           8
        .value_kind:     global_buffer
      - .address_space:  global
        .offset:         136
        .size:           8
        .value_kind:     global_buffer
      - .offset:         144
        .size:           4
        .value_kind:     hidden_block_count_x
      - .offset:         148
        .size:           4
        .value_kind:     hidden_block_count_y
      - .offset:         152
        .size:           4
        .value_kind:     hidden_block_count_z
      - .offset:         156
        .size:           2
        .value_kind:     hidden_group_size_x
      - .offset:         158
        .size:           2
        .value_kind:     hidden_group_size_y
      - .offset:         160
        .size:           2
        .value_kind:     hidden_group_size_z
      - .offset:         162
        .size:           2
        .value_kind:     hidden_remainder_x
      - .offset:         164
        .size:           2
        .value_kind:     hidden_remainder_y
      - .offset:         166
        .size:           2
        .value_kind:     hidden_remainder_z
      - .offset:         184
        .size:           8
        .value_kind:     hidden_global_offset_x
      - .offset:         192
        .size:           8
        .value_kind:     hidden_global_offset_y
      - .offset:         200
        .size:           8
        .value_kind:     hidden_global_offset_z
      - .offset:         208
        .size:           2
        .value_kind:     hidden_grid_dims
      - .offset:         224
        .size:           8
        .value_kind:     hidden_hostcall_buffer
    .group_segment_fixed_size: 8192
    .kernarg_segment_align: 8
    .kernarg_segment_size: 400
    .language:       OpenCL C
    .language_version:
      - 2
      - 0
    .max_flat_workgroup_size: 256
    .name:           _Z39paged_attention_ll4mi_QKV_mfma16_kernelI14__hip_bfloat16hLN4vllm18Fp8KVCacheDataTypeE1ES0_Li32ELi128ELi256ELb0ELi16EL8MFMAType1EEvPKT_PKT0_S9_ifPKiSB_SB_iPKfiiiPfSE_PS4_PT2_iSD_SD_
    .private_segment_fixed_size: 64
    .sgpr_count:     40
    .sgpr_spill_count: 0
    .symbol:         _Z39paged_attention_ll4mi_QKV_mfma16_kernelI14__hip_bfloat16hLN4vllm18Fp8KVCacheDataTypeE1ES0_Li32ELi128ELi256ELb0ELi16EL8MFMAType1EEvPKT_PKT0_S9_ifPKiSB_SB_iPKfiiiPfSE_PS4_PT2_iSD_SD_.kd
    .uniform_work_group_size: 1
    .uses_dynamic_stack: false
    .vgpr_count:     45
    .vgpr_spill_count: 0
    .wavefront_size: 64
  - .agpr_count:     1
    .args:
      - .actual_access:  read_only
        .address_space:  global
        .offset:         0
        .size:           8
        .value_kind:     global_buffer
      - .actual_access:  read_only
        .address_space:  global
        .offset:         8
        .size:           8
        .value_kind:     global_buffer
      - .actual_access:  read_only
        .address_space:  global
        .offset:         16
        .size:           8
        .value_kind:     global_buffer
      - .offset:         24
        .size:           4
        .value_kind:     by_value
      - .offset:         28
        .size:           4
        .value_kind:     by_value
      - .actual_access:  read_only
        .address_space:  global
        .offset:         32
        .size:           8
        .value_kind:     global_buffer
      - .actual_access:  read_only
        .address_space:  global
        .offset:         40
        .size:           8
        .value_kind:     global_buffer
      - .actual_access:  read_only
        .address_space:  global
        .offset:         48
        .size:           8
        .value_kind:     global_buffer
      - .offset:         56
        .size:           4
        .value_kind:     by_value
      - .actual_access:  read_only
        .address_space:  global
        .offset:         64
        .size:           8
        .value_kind:     global_buffer
      - .offset:         72
        .size:           4
        .value_kind:     by_value
      - .offset:         76
        .size:           4
        .value_kind:     by_value
      - .offset:         80
        .size:           4
        .value_kind:     by_value
      - .actual_access:  read_only
        .address_space:  global
        .offset:         88
        .size:           8
        .value_kind:     global_buffer
      - .actual_access:  read_only
        .address_space:  global
        .offset:         96
        .size:           8
        .value_kind:     global_buffer
      - .actual_access:  read_only
        .address_space:  global
        .offset:         104
        .size:           8
        .value_kind:     global_buffer
      - .actual_access:  read_only
        .address_space:  global
        .offset:         112
        .size:           8
        .value_kind:     global_buffer
      - .offset:         120
        .size:           4
        .value_kind:     by_value
      - .address_space:  global
        .offset:         128
        .size:           8
        .value_kind:     global_buffer
      - .address_space:  global
        .offset:         136
        .size:           8
        .value_kind:     global_buffer
      - .offset:         144
        .size:           4
        .value_kind:     hidden_block_count_x
      - .offset:         148
        .size:           4
        .value_kind:     hidden_block_count_y
      - .offset:         152
        .size:           4
        .value_kind:     hidden_block_count_z
      - .offset:         156
        .size:           2
        .value_kind:     hidden_group_size_x
      - .offset:         158
        .size:           2
        .value_kind:     hidden_group_size_y
      - .offset:         160
        .size:           2
        .value_kind:     hidden_group_size_z
      - .offset:         162
        .size:           2
        .value_kind:     hidden_remainder_x
      - .offset:         164
        .size:           2
        .value_kind:     hidden_remainder_y
      - .offset:         166
        .size:           2
        .value_kind:     hidden_remainder_z
      - .offset:         184
        .size:           8
        .value_kind:     hidden_global_offset_x
      - .offset:         192
        .size:           8
        .value_kind:     hidden_global_offset_y
      - .offset:         200
        .size:           8
        .value_kind:     hidden_global_offset_z
      - .offset:         208
        .size:           2
        .value_kind:     hidden_grid_dims
      - .offset:         224
        .size:           8
        .value_kind:     hidden_hostcall_buffer
    .group_segment_fixed_size: 8192
    .kernarg_segment_align: 8
    .kernarg_segment_size: 400
    .language:       OpenCL C
    .language_version:
      - 2
      - 0
    .max_flat_workgroup_size: 256
    .name:           _Z39paged_attention_ll4mi_QKV_mfma16_kernelI14__hip_bfloat16hLN4vllm18Fp8KVCacheDataTypeE1ES0_Li32ELi128ELi256ELb0ELi1EL8MFMAType1EEvPKT_PKT0_S9_ifPKiSB_SB_iPKfiiiPfSE_PS4_PT2_iSD_SD_
    .private_segment_fixed_size: 64
    .sgpr_count:     40
    .sgpr_spill_count: 0
    .symbol:         _Z39paged_attention_ll4mi_QKV_mfma16_kernelI14__hip_bfloat16hLN4vllm18Fp8KVCacheDataTypeE1ES0_Li32ELi128ELi256ELb0ELi1EL8MFMAType1EEvPKT_PKT0_S9_ifPKiSB_SB_iPKfiiiPfSE_PS4_PT2_iSD_SD_.kd
    .uniform_work_group_size: 1
    .uses_dynamic_stack: false
    .vgpr_count:     45
    .vgpr_spill_count: 0
    .wavefront_size: 64
  - .agpr_count:     1
    .args:
      - .actual_access:  read_only
        .address_space:  global
        .offset:         0
        .size:           8
        .value_kind:     global_buffer
      - .actual_access:  read_only
        .address_space:  global
        .offset:         8
        .size:           8
        .value_kind:     global_buffer
      - .actual_access:  read_only
        .address_space:  global
        .offset:         16
        .size:           8
        .value_kind:     global_buffer
      - .offset:         24
        .size:           4
        .value_kind:     by_value
      - .offset:         28
        .size:           4
        .value_kind:     by_value
      - .actual_access:  read_only
        .address_space:  global
        .offset:         32
        .size:           8
        .value_kind:     global_buffer
      - .actual_access:  read_only
        .address_space:  global
        .offset:         40
        .size:           8
        .value_kind:     global_buffer
      - .actual_access:  read_only
        .address_space:  global
        .offset:         48
        .size:           8
        .value_kind:     global_buffer
      - .offset:         56
        .size:           4
        .value_kind:     by_value
      - .actual_access:  read_only
        .address_space:  global
        .offset:         64
        .size:           8
        .value_kind:     global_buffer
      - .offset:         72
        .size:           4
        .value_kind:     by_value
      - .offset:         76
        .size:           4
        .value_kind:     by_value
      - .offset:         80
        .size:           4
        .value_kind:     by_value
      - .actual_access:  read_only
        .address_space:  global
        .offset:         88
        .size:           8
        .value_kind:     global_buffer
      - .actual_access:  read_only
        .address_space:  global
        .offset:         96
        .size:           8
        .value_kind:     global_buffer
      - .actual_access:  read_only
        .address_space:  global
        .offset:         104
        .size:           8
        .value_kind:     global_buffer
      - .actual_access:  read_only
        .address_space:  global
        .offset:         112
        .size:           8
        .value_kind:     global_buffer
      - .offset:         120
        .size:           4
        .value_kind:     by_value
      - .address_space:  global
        .offset:         128
        .size:           8
        .value_kind:     global_buffer
      - .address_space:  global
        .offset:         136
        .size:           8
        .value_kind:     global_buffer
      - .offset:         144
        .size:           4
        .value_kind:     hidden_block_count_x
      - .offset:         148
        .size:           4
        .value_kind:     hidden_block_count_y
      - .offset:         152
        .size:           4
        .value_kind:     hidden_block_count_z
      - .offset:         156
        .size:           2
        .value_kind:     hidden_group_size_x
      - .offset:         158
        .size:           2
        .value_kind:     hidden_group_size_y
      - .offset:         160
        .size:           2
        .value_kind:     hidden_group_size_z
      - .offset:         162
        .size:           2
        .value_kind:     hidden_remainder_x
      - .offset:         164
        .size:           2
        .value_kind:     hidden_remainder_y
      - .offset:         166
        .size:           2
        .value_kind:     hidden_remainder_z
      - .offset:         184
        .size:           8
        .value_kind:     hidden_global_offset_x
      - .offset:         192
        .size:           8
        .value_kind:     hidden_global_offset_y
      - .offset:         200
        .size:           8
        .value_kind:     hidden_global_offset_z
      - .offset:         208
        .size:           2
        .value_kind:     hidden_grid_dims
      - .offset:         224
        .size:           8
        .value_kind:     hidden_hostcall_buffer
    .group_segment_fixed_size: 8192
    .kernarg_segment_align: 8
    .kernarg_segment_size: 400
    .language:       OpenCL C
    .language_version:
      - 2
      - 0
    .max_flat_workgroup_size: 256
    .name:           _Z39paged_attention_ll4mi_QKV_mfma16_kernelI14__hip_bfloat16hLN4vllm18Fp8KVCacheDataTypeE1ES0_Li32ELi128ELi256ELb0ELi2EL8MFMAType1EEvPKT_PKT0_S9_ifPKiSB_SB_iPKfiiiPfSE_PS4_PT2_iSD_SD_
    .private_segment_fixed_size: 64
    .sgpr_count:     40
    .sgpr_spill_count: 0
    .symbol:         _Z39paged_attention_ll4mi_QKV_mfma16_kernelI14__hip_bfloat16hLN4vllm18Fp8KVCacheDataTypeE1ES0_Li32ELi128ELi256ELb0ELi2EL8MFMAType1EEvPKT_PKT0_S9_ifPKiSB_SB_iPKfiiiPfSE_PS4_PT2_iSD_SD_.kd
    .uniform_work_group_size: 1
    .uses_dynamic_stack: false
    .vgpr_count:     45
    .vgpr_spill_count: 0
    .wavefront_size: 64
  - .agpr_count:     1
    .args:
      - .actual_access:  read_only
        .address_space:  global
        .offset:         0
        .size:           8
        .value_kind:     global_buffer
      - .actual_access:  read_only
        .address_space:  global
        .offset:         8
        .size:           8
        .value_kind:     global_buffer
      - .actual_access:  read_only
        .address_space:  global
        .offset:         16
        .size:           8
        .value_kind:     global_buffer
      - .offset:         24
        .size:           4
        .value_kind:     by_value
      - .offset:         28
        .size:           4
        .value_kind:     by_value
      - .actual_access:  read_only
        .address_space:  global
        .offset:         32
        .size:           8
        .value_kind:     global_buffer
      - .actual_access:  read_only
        .address_space:  global
        .offset:         40
        .size:           8
        .value_kind:     global_buffer
      - .actual_access:  read_only
        .address_space:  global
        .offset:         48
        .size:           8
        .value_kind:     global_buffer
      - .offset:         56
        .size:           4
        .value_kind:     by_value
      - .actual_access:  read_only
        .address_space:  global
        .offset:         64
        .size:           8
        .value_kind:     global_buffer
      - .offset:         72
        .size:           4
        .value_kind:     by_value
      - .offset:         76
        .size:           4
        .value_kind:     by_value
      - .offset:         80
        .size:           4
        .value_kind:     by_value
      - .actual_access:  read_only
        .address_space:  global
        .offset:         88
        .size:           8
        .value_kind:     global_buffer
      - .actual_access:  read_only
        .address_space:  global
        .offset:         96
        .size:           8
        .value_kind:     global_buffer
      - .actual_access:  read_only
        .address_space:  global
        .offset:         104
        .size:           8
        .value_kind:     global_buffer
      - .actual_access:  read_only
        .address_space:  global
        .offset:         112
        .size:           8
        .value_kind:     global_buffer
      - .offset:         120
        .size:           4
        .value_kind:     by_value
      - .address_space:  global
        .offset:         128
        .size:           8
        .value_kind:     global_buffer
      - .address_space:  global
        .offset:         136
        .size:           8
        .value_kind:     global_buffer
      - .offset:         144
        .size:           4
        .value_kind:     hidden_block_count_x
      - .offset:         148
        .size:           4
        .value_kind:     hidden_block_count_y
      - .offset:         152
        .size:           4
        .value_kind:     hidden_block_count_z
      - .offset:         156
        .size:           2
        .value_kind:     hidden_group_size_x
      - .offset:         158
        .size:           2
        .value_kind:     hidden_group_size_y
      - .offset:         160
        .size:           2
        .value_kind:     hidden_group_size_z
      - .offset:         162
        .size:           2
        .value_kind:     hidden_remainder_x
      - .offset:         164
        .size:           2
        .value_kind:     hidden_remainder_y
      - .offset:         166
        .size:           2
        .value_kind:     hidden_remainder_z
      - .offset:         184
        .size:           8
        .value_kind:     hidden_global_offset_x
      - .offset:         192
        .size:           8
        .value_kind:     hidden_global_offset_y
      - .offset:         200
        .size:           8
        .value_kind:     hidden_global_offset_z
      - .offset:         208
        .size:           2
        .value_kind:     hidden_grid_dims
      - .offset:         224
        .size:           8
        .value_kind:     hidden_hostcall_buffer
    .group_segment_fixed_size: 8192
    .kernarg_segment_align: 8
    .kernarg_segment_size: 400
    .language:       OpenCL C
    .language_version:
      - 2
      - 0
    .max_flat_workgroup_size: 256
    .name:           _Z39paged_attention_ll4mi_QKV_mfma16_kernelI14__hip_bfloat16hLN4vllm18Fp8KVCacheDataTypeE1ES0_Li32ELi128ELi256ELb0ELi3EL8MFMAType1EEvPKT_PKT0_S9_ifPKiSB_SB_iPKfiiiPfSE_PS4_PT2_iSD_SD_
    .private_segment_fixed_size: 64
    .sgpr_count:     40
    .sgpr_spill_count: 0
    .symbol:         _Z39paged_attention_ll4mi_QKV_mfma16_kernelI14__hip_bfloat16hLN4vllm18Fp8KVCacheDataTypeE1ES0_Li32ELi128ELi256ELb0ELi3EL8MFMAType1EEvPKT_PKT0_S9_ifPKiSB_SB_iPKfiiiPfSE_PS4_PT2_iSD_SD_.kd
    .uniform_work_group_size: 1
    .uses_dynamic_stack: false
    .vgpr_count:     45
    .vgpr_spill_count: 0
    .wavefront_size: 64
  - .agpr_count:     1
    .args:
      - .actual_access:  read_only
        .address_space:  global
        .offset:         0
        .size:           8
        .value_kind:     global_buffer
      - .actual_access:  read_only
        .address_space:  global
        .offset:         8
        .size:           8
        .value_kind:     global_buffer
      - .actual_access:  read_only
        .address_space:  global
        .offset:         16
        .size:           8
        .value_kind:     global_buffer
      - .offset:         24
        .size:           4
        .value_kind:     by_value
      - .offset:         28
        .size:           4
        .value_kind:     by_value
      - .actual_access:  read_only
        .address_space:  global
        .offset:         32
        .size:           8
        .value_kind:     global_buffer
      - .actual_access:  read_only
        .address_space:  global
        .offset:         40
        .size:           8
        .value_kind:     global_buffer
      - .actual_access:  read_only
        .address_space:  global
        .offset:         48
        .size:           8
        .value_kind:     global_buffer
      - .offset:         56
        .size:           4
        .value_kind:     by_value
      - .actual_access:  read_only
        .address_space:  global
        .offset:         64
        .size:           8
        .value_kind:     global_buffer
      - .offset:         72
        .size:           4
        .value_kind:     by_value
      - .offset:         76
        .size:           4
        .value_kind:     by_value
      - .offset:         80
        .size:           4
        .value_kind:     by_value
      - .actual_access:  read_only
        .address_space:  global
        .offset:         88
        .size:           8
        .value_kind:     global_buffer
      - .actual_access:  read_only
        .address_space:  global
        .offset:         96
        .size:           8
        .value_kind:     global_buffer
      - .actual_access:  read_only
        .address_space:  global
        .offset:         104
        .size:           8
        .value_kind:     global_buffer
      - .actual_access:  read_only
        .address_space:  global
        .offset:         112
        .size:           8
        .value_kind:     global_buffer
      - .offset:         120
        .size:           4
        .value_kind:     by_value
      - .address_space:  global
        .offset:         128
        .size:           8
        .value_kind:     global_buffer
      - .address_space:  global
        .offset:         136
        .size:           8
        .value_kind:     global_buffer
      - .offset:         144
        .size:           4
        .value_kind:     hidden_block_count_x
      - .offset:         148
        .size:           4
        .value_kind:     hidden_block_count_y
      - .offset:         152
        .size:           4
        .value_kind:     hidden_block_count_z
      - .offset:         156
        .size:           2
        .value_kind:     hidden_group_size_x
      - .offset:         158
        .size:           2
        .value_kind:     hidden_group_size_y
      - .offset:         160
        .size:           2
        .value_kind:     hidden_group_size_z
      - .offset:         162
        .size:           2
        .value_kind:     hidden_remainder_x
      - .offset:         164
        .size:           2
        .value_kind:     hidden_remainder_y
      - .offset:         166
        .size:           2
        .value_kind:     hidden_remainder_z
      - .offset:         184
        .size:           8
        .value_kind:     hidden_global_offset_x
      - .offset:         192
        .size:           8
        .value_kind:     hidden_global_offset_y
      - .offset:         200
        .size:           8
        .value_kind:     hidden_global_offset_z
      - .offset:         208
        .size:           2
        .value_kind:     hidden_grid_dims
      - .offset:         224
        .size:           8
        .value_kind:     hidden_hostcall_buffer
    .group_segment_fixed_size: 8192
    .kernarg_segment_align: 8
    .kernarg_segment_size: 400
    .language:       OpenCL C
    .language_version:
      - 2
      - 0
    .max_flat_workgroup_size: 256
    .name:           _Z39paged_attention_ll4mi_QKV_mfma16_kernelI14__hip_bfloat16hLN4vllm18Fp8KVCacheDataTypeE1ES0_Li32ELi128ELi256ELb0ELi4EL8MFMAType1EEvPKT_PKT0_S9_ifPKiSB_SB_iPKfiiiPfSE_PS4_PT2_iSD_SD_
    .private_segment_fixed_size: 64
    .sgpr_count:     40
    .sgpr_spill_count: 0
    .symbol:         _Z39paged_attention_ll4mi_QKV_mfma16_kernelI14__hip_bfloat16hLN4vllm18Fp8KVCacheDataTypeE1ES0_Li32ELi128ELi256ELb0ELi4EL8MFMAType1EEvPKT_PKT0_S9_ifPKiSB_SB_iPKfiiiPfSE_PS4_PT2_iSD_SD_.kd
    .uniform_work_group_size: 1
    .uses_dynamic_stack: false
    .vgpr_count:     45
    .vgpr_spill_count: 0
    .wavefront_size: 64
  - .agpr_count:     0
    .args:
      - .actual_access:  read_only
        .address_space:  global
        .offset:         0
        .size:           8
        .value_kind:     global_buffer
      - .actual_access:  read_only
        .address_space:  global
        .offset:         8
        .size:           8
        .value_kind:     global_buffer
      - .actual_access:  read_only
        .address_space:  global
        .offset:         16
        .size:           8
        .value_kind:     global_buffer
      - .offset:         24
        .size:           4
        .value_kind:     by_value
      - .offset:         28
        .size:           4
        .value_kind:     by_value
      - .actual_access:  read_only
        .address_space:  global
        .offset:         32
        .size:           8
        .value_kind:     global_buffer
      - .actual_access:  read_only
        .address_space:  global
        .offset:         40
        .size:           8
        .value_kind:     global_buffer
      - .actual_access:  read_only
        .address_space:  global
        .offset:         48
        .size:           8
        .value_kind:     global_buffer
      - .offset:         56
        .size:           4
        .value_kind:     by_value
      - .actual_access:  read_only
        .address_space:  global
        .offset:         64
        .size:           8
        .value_kind:     global_buffer
      - .offset:         72
        .size:           4
        .value_kind:     by_value
      - .offset:         76
        .size:           4
        .value_kind:     by_value
      - .offset:         80
        .size:           4
        .value_kind:     by_value
      - .actual_access:  write_only
        .address_space:  global
        .offset:         88
        .size:           8
        .value_kind:     global_buffer
      - .actual_access:  write_only
        .address_space:  global
        .offset:         96
        .size:           8
        .value_kind:     global_buffer
      - .actual_access:  write_only
        .address_space:  global
        .offset:         104
        .size:           8
        .value_kind:     global_buffer
      - .actual_access:  read_only
        .address_space:  global
        .offset:         112
        .size:           8
        .value_kind:     global_buffer
      - .offset:         120
        .size:           4
        .value_kind:     by_value
      - .address_space:  global
        .offset:         128
        .size:           8
        .value_kind:     global_buffer
      - .address_space:  global
        .offset:         136
        .size:           8
        .value_kind:     global_buffer
      - .offset:         144
        .size:           4
        .value_kind:     hidden_block_count_x
      - .offset:         148
        .size:           4
        .value_kind:     hidden_block_count_y
      - .offset:         152
        .size:           4
        .value_kind:     hidden_block_count_z
      - .offset:         156
        .size:           2
        .value_kind:     hidden_group_size_x
      - .offset:         158
        .size:           2
        .value_kind:     hidden_group_size_y
      - .offset:         160
        .size:           2
        .value_kind:     hidden_group_size_z
      - .offset:         162
        .size:           2
        .value_kind:     hidden_remainder_x
      - .offset:         164
        .size:           2
        .value_kind:     hidden_remainder_y
      - .offset:         166
        .size:           2
        .value_kind:     hidden_remainder_z
      - .offset:         184
        .size:           8
        .value_kind:     hidden_global_offset_x
      - .offset:         192
        .size:           8
        .value_kind:     hidden_global_offset_y
      - .offset:         200
        .size:           8
        .value_kind:     hidden_global_offset_z
      - .offset:         208
        .size:           2
        .value_kind:     hidden_grid_dims
    .group_segment_fixed_size: 8192
    .kernarg_segment_align: 8
    .kernarg_segment_size: 400
    .language:       OpenCL C
    .language_version:
      - 2
      - 0
    .max_flat_workgroup_size: 256
    .name:           _Z39paged_attention_ll4mi_QKV_mfma16_kernelI14__hip_bfloat16hLN4vllm18Fp8KVCacheDataTypeE1ES0_Li16ELi64ELi256ELb1ELi5EL8MFMAType0EEvPKT_PKT0_S9_ifPKiSB_SB_iPKfiiiPfSE_PS4_PT2_iSD_SD_
    .private_segment_fixed_size: 0
    .sgpr_count:     51
    .sgpr_spill_count: 0
    .symbol:         _Z39paged_attention_ll4mi_QKV_mfma16_kernelI14__hip_bfloat16hLN4vllm18Fp8KVCacheDataTypeE1ES0_Li16ELi64ELi256ELb1ELi5EL8MFMAType0EEvPKT_PKT0_S9_ifPKiSB_SB_iPKfiiiPfSE_PS4_PT2_iSD_SD_.kd
    .uniform_work_group_size: 1
    .uses_dynamic_stack: false
    .vgpr_count:     62
    .vgpr_spill_count: 0
    .wavefront_size: 64
  - .agpr_count:     0
    .args:
      - .actual_access:  read_only
        .address_space:  global
        .offset:         0
        .size:           8
        .value_kind:     global_buffer
      - .actual_access:  read_only
        .address_space:  global
        .offset:         8
        .size:           8
        .value_kind:     global_buffer
      - .actual_access:  read_only
        .address_space:  global
        .offset:         16
        .size:           8
        .value_kind:     global_buffer
      - .offset:         24
        .size:           4
        .value_kind:     by_value
      - .offset:         28
        .size:           4
        .value_kind:     by_value
      - .actual_access:  read_only
        .address_space:  global
        .offset:         32
        .size:           8
        .value_kind:     global_buffer
      - .actual_access:  read_only
        .address_space:  global
        .offset:         40
        .size:           8
        .value_kind:     global_buffer
      - .actual_access:  read_only
        .address_space:  global
        .offset:         48
        .size:           8
        .value_kind:     global_buffer
      - .offset:         56
        .size:           4
        .value_kind:     by_value
      - .actual_access:  read_only
        .address_space:  global
        .offset:         64
        .size:           8
        .value_kind:     global_buffer
      - .offset:         72
        .size:           4
        .value_kind:     by_value
      - .offset:         76
        .size:           4
        .value_kind:     by_value
      - .offset:         80
        .size:           4
        .value_kind:     by_value
      - .actual_access:  write_only
        .address_space:  global
        .offset:         88
        .size:           8
        .value_kind:     global_buffer
      - .actual_access:  write_only
        .address_space:  global
        .offset:         96
        .size:           8
        .value_kind:     global_buffer
      - .actual_access:  write_only
        .address_space:  global
        .offset:         104
        .size:           8
        .value_kind:     global_buffer
      - .actual_access:  read_only
        .address_space:  global
        .offset:         112
        .size:           8
        .value_kind:     global_buffer
      - .offset:         120
        .size:           4
        .value_kind:     by_value
      - .address_space:  global
        .offset:         128
        .size:           8
        .value_kind:     global_buffer
      - .address_space:  global
        .offset:         136
        .size:           8
        .value_kind:     global_buffer
      - .offset:         144
        .size:           4
        .value_kind:     hidden_block_count_x
      - .offset:         148
        .size:           4
        .value_kind:     hidden_block_count_y
      - .offset:         152
        .size:           4
        .value_kind:     hidden_block_count_z
      - .offset:         156
        .size:           2
        .value_kind:     hidden_group_size_x
      - .offset:         158
        .size:           2
        .value_kind:     hidden_group_size_y
      - .offset:         160
        .size:           2
        .value_kind:     hidden_group_size_z
      - .offset:         162
        .size:           2
        .value_kind:     hidden_remainder_x
      - .offset:         164
        .size:           2
        .value_kind:     hidden_remainder_y
      - .offset:         166
        .size:           2
        .value_kind:     hidden_remainder_z
      - .offset:         184
        .size:           8
        .value_kind:     hidden_global_offset_x
      - .offset:         192
        .size:           8
        .value_kind:     hidden_global_offset_y
      - .offset:         200
        .size:           8
        .value_kind:     hidden_global_offset_z
      - .offset:         208
        .size:           2
        .value_kind:     hidden_grid_dims
    .group_segment_fixed_size: 8192
    .kernarg_segment_align: 8
    .kernarg_segment_size: 400
    .language:       OpenCL C
    .language_version:
      - 2
      - 0
    .max_flat_workgroup_size: 256
    .name:           _Z39paged_attention_ll4mi_QKV_mfma16_kernelI14__hip_bfloat16hLN4vllm18Fp8KVCacheDataTypeE1ES0_Li16ELi64ELi256ELb1ELi6EL8MFMAType0EEvPKT_PKT0_S9_ifPKiSB_SB_iPKfiiiPfSE_PS4_PT2_iSD_SD_
    .private_segment_fixed_size: 0
    .sgpr_count:     51
    .sgpr_spill_count: 0
    .symbol:         _Z39paged_attention_ll4mi_QKV_mfma16_kernelI14__hip_bfloat16hLN4vllm18Fp8KVCacheDataTypeE1ES0_Li16ELi64ELi256ELb1ELi6EL8MFMAType0EEvPKT_PKT0_S9_ifPKiSB_SB_iPKfiiiPfSE_PS4_PT2_iSD_SD_.kd
    .uniform_work_group_size: 1
    .uses_dynamic_stack: false
    .vgpr_count:     62
    .vgpr_spill_count: 0
    .wavefront_size: 64
  - .agpr_count:     0
    .args:
      - .actual_access:  read_only
        .address_space:  global
        .offset:         0
        .size:           8
        .value_kind:     global_buffer
      - .actual_access:  read_only
        .address_space:  global
        .offset:         8
        .size:           8
        .value_kind:     global_buffer
      - .actual_access:  read_only
        .address_space:  global
        .offset:         16
        .size:           8
        .value_kind:     global_buffer
      - .offset:         24
        .size:           4
        .value_kind:     by_value
      - .offset:         28
        .size:           4
        .value_kind:     by_value
      - .actual_access:  read_only
        .address_space:  global
        .offset:         32
        .size:           8
        .value_kind:     global_buffer
      - .actual_access:  read_only
        .address_space:  global
        .offset:         40
        .size:           8
        .value_kind:     global_buffer
      - .actual_access:  read_only
        .address_space:  global
        .offset:         48
        .size:           8
        .value_kind:     global_buffer
      - .offset:         56
        .size:           4
        .value_kind:     by_value
      - .actual_access:  read_only
        .address_space:  global
        .offset:         64
        .size:           8
        .value_kind:     global_buffer
      - .offset:         72
        .size:           4
        .value_kind:     by_value
      - .offset:         76
        .size:           4
        .value_kind:     by_value
      - .offset:         80
        .size:           4
        .value_kind:     by_value
      - .actual_access:  write_only
        .address_space:  global
        .offset:         88
        .size:           8
        .value_kind:     global_buffer
      - .actual_access:  write_only
        .address_space:  global
        .offset:         96
        .size:           8
        .value_kind:     global_buffer
      - .actual_access:  write_only
        .address_space:  global
        .offset:         104
        .size:           8
        .value_kind:     global_buffer
      - .actual_access:  read_only
        .address_space:  global
        .offset:         112
        .size:           8
        .value_kind:     global_buffer
      - .offset:         120
        .size:           4
        .value_kind:     by_value
      - .address_space:  global
        .offset:         128
        .size:           8
        .value_kind:     global_buffer
      - .address_space:  global
        .offset:         136
        .size:           8
        .value_kind:     global_buffer
      - .offset:         144
        .size:           4
        .value_kind:     hidden_block_count_x
      - .offset:         148
        .size:           4
        .value_kind:     hidden_block_count_y
      - .offset:         152
        .size:           4
        .value_kind:     hidden_block_count_z
      - .offset:         156
        .size:           2
        .value_kind:     hidden_group_size_x
      - .offset:         158
        .size:           2
        .value_kind:     hidden_group_size_y
      - .offset:         160
        .size:           2
        .value_kind:     hidden_group_size_z
      - .offset:         162
        .size:           2
        .value_kind:     hidden_remainder_x
      - .offset:         164
        .size:           2
        .value_kind:     hidden_remainder_y
      - .offset:         166
        .size:           2
        .value_kind:     hidden_remainder_z
      - .offset:         184
        .size:           8
        .value_kind:     hidden_global_offset_x
      - .offset:         192
        .size:           8
        .value_kind:     hidden_global_offset_y
      - .offset:         200
        .size:           8
        .value_kind:     hidden_global_offset_z
      - .offset:         208
        .size:           2
        .value_kind:     hidden_grid_dims
    .group_segment_fixed_size: 8192
    .kernarg_segment_align: 8
    .kernarg_segment_size: 400
    .language:       OpenCL C
    .language_version:
      - 2
      - 0
    .max_flat_workgroup_size: 256
    .name:           _Z39paged_attention_ll4mi_QKV_mfma16_kernelI14__hip_bfloat16hLN4vllm18Fp8KVCacheDataTypeE1ES0_Li16ELi64ELi256ELb1ELi7EL8MFMAType0EEvPKT_PKT0_S9_ifPKiSB_SB_iPKfiiiPfSE_PS4_PT2_iSD_SD_
    .private_segment_fixed_size: 0
    .sgpr_count:     51
    .sgpr_spill_count: 0
    .symbol:         _Z39paged_attention_ll4mi_QKV_mfma16_kernelI14__hip_bfloat16hLN4vllm18Fp8KVCacheDataTypeE1ES0_Li16ELi64ELi256ELb1ELi7EL8MFMAType0EEvPKT_PKT0_S9_ifPKiSB_SB_iPKfiiiPfSE_PS4_PT2_iSD_SD_.kd
    .uniform_work_group_size: 1
    .uses_dynamic_stack: false
    .vgpr_count:     62
    .vgpr_spill_count: 0
    .wavefront_size: 64
  - .agpr_count:     0
    .args:
      - .actual_access:  read_only
        .address_space:  global
        .offset:         0
        .size:           8
        .value_kind:     global_buffer
      - .actual_access:  read_only
        .address_space:  global
        .offset:         8
        .size:           8
        .value_kind:     global_buffer
      - .actual_access:  read_only
        .address_space:  global
        .offset:         16
        .size:           8
        .value_kind:     global_buffer
      - .offset:         24
        .size:           4
        .value_kind:     by_value
      - .offset:         28
        .size:           4
        .value_kind:     by_value
      - .actual_access:  read_only
        .address_space:  global
        .offset:         32
        .size:           8
        .value_kind:     global_buffer
      - .actual_access:  read_only
        .address_space:  global
        .offset:         40
        .size:           8
        .value_kind:     global_buffer
      - .actual_access:  read_only
        .address_space:  global
        .offset:         48
        .size:           8
        .value_kind:     global_buffer
      - .offset:         56
        .size:           4
        .value_kind:     by_value
      - .actual_access:  read_only
        .address_space:  global
        .offset:         64
        .size:           8
        .value_kind:     global_buffer
      - .offset:         72
        .size:           4
        .value_kind:     by_value
      - .offset:         76
        .size:           4
        .value_kind:     by_value
      - .offset:         80
        .size:           4
        .value_kind:     by_value
      - .actual_access:  write_only
        .address_space:  global
        .offset:         88
        .size:           8
        .value_kind:     global_buffer
      - .actual_access:  write_only
        .address_space:  global
        .offset:         96
        .size:           8
        .value_kind:     global_buffer
      - .actual_access:  write_only
        .address_space:  global
        .offset:         104
        .size:           8
        .value_kind:     global_buffer
      - .actual_access:  read_only
        .address_space:  global
        .offset:         112
        .size:           8
        .value_kind:     global_buffer
      - .offset:         120
        .size:           4
        .value_kind:     by_value
      - .address_space:  global
        .offset:         128
        .size:           8
        .value_kind:     global_buffer
      - .address_space:  global
        .offset:         136
        .size:           8
        .value_kind:     global_buffer
      - .offset:         144
        .size:           4
        .value_kind:     hidden_block_count_x
      - .offset:         148
        .size:           4
        .value_kind:     hidden_block_count_y
      - .offset:         152
        .size:           4
        .value_kind:     hidden_block_count_z
      - .offset:         156
        .size:           2
        .value_kind:     hidden_group_size_x
      - .offset:         158
        .size:           2
        .value_kind:     hidden_group_size_y
      - .offset:         160
        .size:           2
        .value_kind:     hidden_group_size_z
      - .offset:         162
        .size:           2
        .value_kind:     hidden_remainder_x
      - .offset:         164
        .size:           2
        .value_kind:     hidden_remainder_y
      - .offset:         166
        .size:           2
        .value_kind:     hidden_remainder_z
      - .offset:         184
        .size:           8
        .value_kind:     hidden_global_offset_x
      - .offset:         192
        .size:           8
        .value_kind:     hidden_global_offset_y
      - .offset:         200
        .size:           8
        .value_kind:     hidden_global_offset_z
      - .offset:         208
        .size:           2
        .value_kind:     hidden_grid_dims
    .group_segment_fixed_size: 8192
    .kernarg_segment_align: 8
    .kernarg_segment_size: 400
    .language:       OpenCL C
    .language_version:
      - 2
      - 0
    .max_flat_workgroup_size: 256
    .name:           _Z39paged_attention_ll4mi_QKV_mfma16_kernelI14__hip_bfloat16hLN4vllm18Fp8KVCacheDataTypeE1ES0_Li16ELi64ELi256ELb1ELi8EL8MFMAType0EEvPKT_PKT0_S9_ifPKiSB_SB_iPKfiiiPfSE_PS4_PT2_iSD_SD_
    .private_segment_fixed_size: 0
    .sgpr_count:     51
    .sgpr_spill_count: 0
    .symbol:         _Z39paged_attention_ll4mi_QKV_mfma16_kernelI14__hip_bfloat16hLN4vllm18Fp8KVCacheDataTypeE1ES0_Li16ELi64ELi256ELb1ELi8EL8MFMAType0EEvPKT_PKT0_S9_ifPKiSB_SB_iPKfiiiPfSE_PS4_PT2_iSD_SD_.kd
    .uniform_work_group_size: 1
    .uses_dynamic_stack: false
    .vgpr_count:     62
    .vgpr_spill_count: 0
    .wavefront_size: 64
  - .agpr_count:     0
    .args:
      - .actual_access:  read_only
        .address_space:  global
        .offset:         0
        .size:           8
        .value_kind:     global_buffer
      - .actual_access:  read_only
        .address_space:  global
        .offset:         8
        .size:           8
        .value_kind:     global_buffer
      - .actual_access:  read_only
        .address_space:  global
        .offset:         16
        .size:           8
        .value_kind:     global_buffer
      - .offset:         24
        .size:           4
        .value_kind:     by_value
      - .offset:         28
        .size:           4
        .value_kind:     by_value
      - .actual_access:  read_only
        .address_space:  global
        .offset:         32
        .size:           8
        .value_kind:     global_buffer
      - .actual_access:  read_only
        .address_space:  global
        .offset:         40
        .size:           8
        .value_kind:     global_buffer
      - .actual_access:  read_only
        .address_space:  global
        .offset:         48
        .size:           8
        .value_kind:     global_buffer
      - .offset:         56
        .size:           4
        .value_kind:     by_value
      - .actual_access:  read_only
        .address_space:  global
        .offset:         64
        .size:           8
        .value_kind:     global_buffer
      - .offset:         72
        .size:           4
        .value_kind:     by_value
      - .offset:         76
        .size:           4
        .value_kind:     by_value
      - .offset:         80
        .size:           4
        .value_kind:     by_value
      - .actual_access:  write_only
        .address_space:  global
        .offset:         88
        .size:           8
        .value_kind:     global_buffer
      - .actual_access:  write_only
        .address_space:  global
        .offset:         96
        .size:           8
        .value_kind:     global_buffer
      - .actual_access:  write_only
        .address_space:  global
        .offset:         104
        .size:           8
        .value_kind:     global_buffer
      - .actual_access:  read_only
        .address_space:  global
        .offset:         112
        .size:           8
        .value_kind:     global_buffer
      - .offset:         120
        .size:           4
        .value_kind:     by_value
      - .address_space:  global
        .offset:         128
        .size:           8
        .value_kind:     global_buffer
      - .address_space:  global
        .offset:         136
        .size:           8
        .value_kind:     global_buffer
      - .offset:         144
        .size:           4
        .value_kind:     hidden_block_count_x
      - .offset:         148
        .size:           4
        .value_kind:     hidden_block_count_y
      - .offset:         152
        .size:           4
        .value_kind:     hidden_block_count_z
      - .offset:         156
        .size:           2
        .value_kind:     hidden_group_size_x
      - .offset:         158
        .size:           2
        .value_kind:     hidden_group_size_y
      - .offset:         160
        .size:           2
        .value_kind:     hidden_group_size_z
      - .offset:         162
        .size:           2
        .value_kind:     hidden_remainder_x
      - .offset:         164
        .size:           2
        .value_kind:     hidden_remainder_y
      - .offset:         166
        .size:           2
        .value_kind:     hidden_remainder_z
      - .offset:         184
        .size:           8
        .value_kind:     hidden_global_offset_x
      - .offset:         192
        .size:           8
        .value_kind:     hidden_global_offset_y
      - .offset:         200
        .size:           8
        .value_kind:     hidden_global_offset_z
      - .offset:         208
        .size:           2
        .value_kind:     hidden_grid_dims
    .group_segment_fixed_size: 8192
    .kernarg_segment_align: 8
    .kernarg_segment_size: 400
    .language:       OpenCL C
    .language_version:
      - 2
      - 0
    .max_flat_workgroup_size: 256
    .name:           _Z39paged_attention_ll4mi_QKV_mfma16_kernelI14__hip_bfloat16hLN4vllm18Fp8KVCacheDataTypeE1ES0_Li16ELi64ELi256ELb1ELi9EL8MFMAType0EEvPKT_PKT0_S9_ifPKiSB_SB_iPKfiiiPfSE_PS4_PT2_iSD_SD_
    .private_segment_fixed_size: 0
    .sgpr_count:     51
    .sgpr_spill_count: 0
    .symbol:         _Z39paged_attention_ll4mi_QKV_mfma16_kernelI14__hip_bfloat16hLN4vllm18Fp8KVCacheDataTypeE1ES0_Li16ELi64ELi256ELb1ELi9EL8MFMAType0EEvPKT_PKT0_S9_ifPKiSB_SB_iPKfiiiPfSE_PS4_PT2_iSD_SD_.kd
    .uniform_work_group_size: 1
    .uses_dynamic_stack: false
    .vgpr_count:     62
    .vgpr_spill_count: 0
    .wavefront_size: 64
  - .agpr_count:     0
    .args:
      - .actual_access:  read_only
        .address_space:  global
        .offset:         0
        .size:           8
        .value_kind:     global_buffer
      - .actual_access:  read_only
        .address_space:  global
        .offset:         8
        .size:           8
        .value_kind:     global_buffer
      - .actual_access:  read_only
        .address_space:  global
        .offset:         16
        .size:           8
        .value_kind:     global_buffer
      - .offset:         24
        .size:           4
        .value_kind:     by_value
      - .offset:         28
        .size:           4
        .value_kind:     by_value
      - .actual_access:  read_only
        .address_space:  global
        .offset:         32
        .size:           8
        .value_kind:     global_buffer
      - .actual_access:  read_only
        .address_space:  global
        .offset:         40
        .size:           8
        .value_kind:     global_buffer
      - .actual_access:  read_only
        .address_space:  global
        .offset:         48
        .size:           8
        .value_kind:     global_buffer
      - .offset:         56
        .size:           4
        .value_kind:     by_value
      - .actual_access:  read_only
        .address_space:  global
        .offset:         64
        .size:           8
        .value_kind:     global_buffer
      - .offset:         72
        .size:           4
        .value_kind:     by_value
      - .offset:         76
        .size:           4
        .value_kind:     by_value
      - .offset:         80
        .size:           4
        .value_kind:     by_value
      - .actual_access:  write_only
        .address_space:  global
        .offset:         88
        .size:           8
        .value_kind:     global_buffer
      - .actual_access:  write_only
        .address_space:  global
        .offset:         96
        .size:           8
        .value_kind:     global_buffer
      - .actual_access:  write_only
        .address_space:  global
        .offset:         104
        .size:           8
        .value_kind:     global_buffer
      - .actual_access:  read_only
        .address_space:  global
        .offset:         112
        .size:           8
        .value_kind:     global_buffer
      - .offset:         120
        .size:           4
        .value_kind:     by_value
      - .address_space:  global
        .offset:         128
        .size:           8
        .value_kind:     global_buffer
      - .address_space:  global
        .offset:         136
        .size:           8
        .value_kind:     global_buffer
      - .offset:         144
        .size:           4
        .value_kind:     hidden_block_count_x
      - .offset:         148
        .size:           4
        .value_kind:     hidden_block_count_y
      - .offset:         152
        .size:           4
        .value_kind:     hidden_block_count_z
      - .offset:         156
        .size:           2
        .value_kind:     hidden_group_size_x
      - .offset:         158
        .size:           2
        .value_kind:     hidden_group_size_y
      - .offset:         160
        .size:           2
        .value_kind:     hidden_group_size_z
      - .offset:         162
        .size:           2
        .value_kind:     hidden_remainder_x
      - .offset:         164
        .size:           2
        .value_kind:     hidden_remainder_y
      - .offset:         166
        .size:           2
        .value_kind:     hidden_remainder_z
      - .offset:         184
        .size:           8
        .value_kind:     hidden_global_offset_x
      - .offset:         192
        .size:           8
        .value_kind:     hidden_global_offset_y
      - .offset:         200
        .size:           8
        .value_kind:     hidden_global_offset_z
      - .offset:         208
        .size:           2
        .value_kind:     hidden_grid_dims
    .group_segment_fixed_size: 8192
    .kernarg_segment_align: 8
    .kernarg_segment_size: 400
    .language:       OpenCL C
    .language_version:
      - 2
      - 0
    .max_flat_workgroup_size: 256
    .name:           _Z39paged_attention_ll4mi_QKV_mfma16_kernelI14__hip_bfloat16hLN4vllm18Fp8KVCacheDataTypeE1ES0_Li16ELi64ELi256ELb1ELi10EL8MFMAType0EEvPKT_PKT0_S9_ifPKiSB_SB_iPKfiiiPfSE_PS4_PT2_iSD_SD_
    .private_segment_fixed_size: 0
    .sgpr_count:     51
    .sgpr_spill_count: 0
    .symbol:         _Z39paged_attention_ll4mi_QKV_mfma16_kernelI14__hip_bfloat16hLN4vllm18Fp8KVCacheDataTypeE1ES0_Li16ELi64ELi256ELb1ELi10EL8MFMAType0EEvPKT_PKT0_S9_ifPKiSB_SB_iPKfiiiPfSE_PS4_PT2_iSD_SD_.kd
    .uniform_work_group_size: 1
    .uses_dynamic_stack: false
    .vgpr_count:     62
    .vgpr_spill_count: 0
    .wavefront_size: 64
  - .agpr_count:     0
    .args:
      - .actual_access:  read_only
        .address_space:  global
        .offset:         0
        .size:           8
        .value_kind:     global_buffer
      - .actual_access:  read_only
        .address_space:  global
        .offset:         8
        .size:           8
        .value_kind:     global_buffer
      - .actual_access:  read_only
        .address_space:  global
        .offset:         16
        .size:           8
        .value_kind:     global_buffer
      - .offset:         24
        .size:           4
        .value_kind:     by_value
      - .offset:         28
        .size:           4
        .value_kind:     by_value
      - .actual_access:  read_only
        .address_space:  global
        .offset:         32
        .size:           8
        .value_kind:     global_buffer
      - .actual_access:  read_only
        .address_space:  global
        .offset:         40
        .size:           8
        .value_kind:     global_buffer
      - .actual_access:  read_only
        .address_space:  global
        .offset:         48
        .size:           8
        .value_kind:     global_buffer
      - .offset:         56
        .size:           4
        .value_kind:     by_value
      - .actual_access:  read_only
        .address_space:  global
        .offset:         64
        .size:           8
        .value_kind:     global_buffer
      - .offset:         72
        .size:           4
        .value_kind:     by_value
      - .offset:         76
        .size:           4
        .value_kind:     by_value
      - .offset:         80
        .size:           4
        .value_kind:     by_value
      - .actual_access:  write_only
        .address_space:  global
        .offset:         88
        .size:           8
        .value_kind:     global_buffer
      - .actual_access:  write_only
        .address_space:  global
        .offset:         96
        .size:           8
        .value_kind:     global_buffer
      - .actual_access:  write_only
        .address_space:  global
        .offset:         104
        .size:           8
        .value_kind:     global_buffer
      - .actual_access:  read_only
        .address_space:  global
        .offset:         112
        .size:           8
        .value_kind:     global_buffer
      - .offset:         120
        .size:           4
        .value_kind:     by_value
      - .address_space:  global
        .offset:         128
        .size:           8
        .value_kind:     global_buffer
      - .address_space:  global
        .offset:         136
        .size:           8
        .value_kind:     global_buffer
      - .offset:         144
        .size:           4
        .value_kind:     hidden_block_count_x
      - .offset:         148
        .size:           4
        .value_kind:     hidden_block_count_y
      - .offset:         152
        .size:           4
        .value_kind:     hidden_block_count_z
      - .offset:         156
        .size:           2
        .value_kind:     hidden_group_size_x
      - .offset:         158
        .size:           2
        .value_kind:     hidden_group_size_y
      - .offset:         160
        .size:           2
        .value_kind:     hidden_group_size_z
      - .offset:         162
        .size:           2
        .value_kind:     hidden_remainder_x
      - .offset:         164
        .size:           2
        .value_kind:     hidden_remainder_y
      - .offset:         166
        .size:           2
        .value_kind:     hidden_remainder_z
      - .offset:         184
        .size:           8
        .value_kind:     hidden_global_offset_x
      - .offset:         192
        .size:           8
        .value_kind:     hidden_global_offset_y
      - .offset:         200
        .size:           8
        .value_kind:     hidden_global_offset_z
      - .offset:         208
        .size:           2
        .value_kind:     hidden_grid_dims
    .group_segment_fixed_size: 8192
    .kernarg_segment_align: 8
    .kernarg_segment_size: 400
    .language:       OpenCL C
    .language_version:
      - 2
      - 0
    .max_flat_workgroup_size: 256
    .name:           _Z39paged_attention_ll4mi_QKV_mfma16_kernelI14__hip_bfloat16hLN4vllm18Fp8KVCacheDataTypeE1ES0_Li16ELi64ELi256ELb1ELi11EL8MFMAType0EEvPKT_PKT0_S9_ifPKiSB_SB_iPKfiiiPfSE_PS4_PT2_iSD_SD_
    .private_segment_fixed_size: 0
    .sgpr_count:     51
    .sgpr_spill_count: 0
    .symbol:         _Z39paged_attention_ll4mi_QKV_mfma16_kernelI14__hip_bfloat16hLN4vllm18Fp8KVCacheDataTypeE1ES0_Li16ELi64ELi256ELb1ELi11EL8MFMAType0EEvPKT_PKT0_S9_ifPKiSB_SB_iPKfiiiPfSE_PS4_PT2_iSD_SD_.kd
    .uniform_work_group_size: 1
    .uses_dynamic_stack: false
    .vgpr_count:     62
    .vgpr_spill_count: 0
    .wavefront_size: 64
  - .agpr_count:     0
    .args:
      - .actual_access:  read_only
        .address_space:  global
        .offset:         0
        .size:           8
        .value_kind:     global_buffer
      - .actual_access:  read_only
        .address_space:  global
        .offset:         8
        .size:           8
        .value_kind:     global_buffer
      - .actual_access:  read_only
        .address_space:  global
        .offset:         16
        .size:           8
        .value_kind:     global_buffer
      - .offset:         24
        .size:           4
        .value_kind:     by_value
      - .offset:         28
        .size:           4
        .value_kind:     by_value
      - .actual_access:  read_only
        .address_space:  global
        .offset:         32
        .size:           8
        .value_kind:     global_buffer
      - .actual_access:  read_only
        .address_space:  global
        .offset:         40
        .size:           8
        .value_kind:     global_buffer
      - .actual_access:  read_only
        .address_space:  global
        .offset:         48
        .size:           8
        .value_kind:     global_buffer
      - .offset:         56
        .size:           4
        .value_kind:     by_value
      - .actual_access:  read_only
        .address_space:  global
        .offset:         64
        .size:           8
        .value_kind:     global_buffer
      - .offset:         72
        .size:           4
        .value_kind:     by_value
      - .offset:         76
        .size:           4
        .value_kind:     by_value
      - .offset:         80
        .size:           4
        .value_kind:     by_value
      - .actual_access:  write_only
        .address_space:  global
        .offset:         88
        .size:           8
        .value_kind:     global_buffer
      - .actual_access:  write_only
        .address_space:  global
        .offset:         96
        .size:           8
        .value_kind:     global_buffer
      - .actual_access:  write_only
        .address_space:  global
        .offset:         104
        .size:           8
        .value_kind:     global_buffer
      - .actual_access:  read_only
        .address_space:  global
        .offset:         112
        .size:           8
        .value_kind:     global_buffer
      - .offset:         120
        .size:           4
        .value_kind:     by_value
      - .address_space:  global
        .offset:         128
        .size:           8
        .value_kind:     global_buffer
      - .address_space:  global
        .offset:         136
        .size:           8
        .value_kind:     global_buffer
      - .offset:         144
        .size:           4
        .value_kind:     hidden_block_count_x
      - .offset:         148
        .size:           4
        .value_kind:     hidden_block_count_y
      - .offset:         152
        .size:           4
        .value_kind:     hidden_block_count_z
      - .offset:         156
        .size:           2
        .value_kind:     hidden_group_size_x
      - .offset:         158
        .size:           2
        .value_kind:     hidden_group_size_y
      - .offset:         160
        .size:           2
        .value_kind:     hidden_group_size_z
      - .offset:         162
        .size:           2
        .value_kind:     hidden_remainder_x
      - .offset:         164
        .size:           2
        .value_kind:     hidden_remainder_y
      - .offset:         166
        .size:           2
        .value_kind:     hidden_remainder_z
      - .offset:         184
        .size:           8
        .value_kind:     hidden_global_offset_x
      - .offset:         192
        .size:           8
        .value_kind:     hidden_global_offset_y
      - .offset:         200
        .size:           8
        .value_kind:     hidden_global_offset_z
      - .offset:         208
        .size:           2
        .value_kind:     hidden_grid_dims
    .group_segment_fixed_size: 8192
    .kernarg_segment_align: 8
    .kernarg_segment_size: 400
    .language:       OpenCL C
    .language_version:
      - 2
      - 0
    .max_flat_workgroup_size: 256
    .name:           _Z39paged_attention_ll4mi_QKV_mfma16_kernelI14__hip_bfloat16hLN4vllm18Fp8KVCacheDataTypeE1ES0_Li16ELi64ELi256ELb1ELi12EL8MFMAType0EEvPKT_PKT0_S9_ifPKiSB_SB_iPKfiiiPfSE_PS4_PT2_iSD_SD_
    .private_segment_fixed_size: 0
    .sgpr_count:     51
    .sgpr_spill_count: 0
    .symbol:         _Z39paged_attention_ll4mi_QKV_mfma16_kernelI14__hip_bfloat16hLN4vllm18Fp8KVCacheDataTypeE1ES0_Li16ELi64ELi256ELb1ELi12EL8MFMAType0EEvPKT_PKT0_S9_ifPKiSB_SB_iPKfiiiPfSE_PS4_PT2_iSD_SD_.kd
    .uniform_work_group_size: 1
    .uses_dynamic_stack: false
    .vgpr_count:     62
    .vgpr_spill_count: 0
    .wavefront_size: 64
  - .agpr_count:     0
    .args:
      - .actual_access:  read_only
        .address_space:  global
        .offset:         0
        .size:           8
        .value_kind:     global_buffer
      - .actual_access:  read_only
        .address_space:  global
        .offset:         8
        .size:           8
        .value_kind:     global_buffer
      - .actual_access:  read_only
        .address_space:  global
        .offset:         16
        .size:           8
        .value_kind:     global_buffer
      - .offset:         24
        .size:           4
        .value_kind:     by_value
      - .offset:         28
        .size:           4
        .value_kind:     by_value
      - .actual_access:  read_only
        .address_space:  global
        .offset:         32
        .size:           8
        .value_kind:     global_buffer
      - .actual_access:  read_only
        .address_space:  global
        .offset:         40
        .size:           8
        .value_kind:     global_buffer
      - .actual_access:  read_only
        .address_space:  global
        .offset:         48
        .size:           8
        .value_kind:     global_buffer
      - .offset:         56
        .size:           4
        .value_kind:     by_value
      - .actual_access:  read_only
        .address_space:  global
        .offset:         64
        .size:           8
        .value_kind:     global_buffer
      - .offset:         72
        .size:           4
        .value_kind:     by_value
      - .offset:         76
        .size:           4
        .value_kind:     by_value
      - .offset:         80
        .size:           4
        .value_kind:     by_value
      - .actual_access:  write_only
        .address_space:  global
        .offset:         88
        .size:           8
        .value_kind:     global_buffer
      - .actual_access:  write_only
        .address_space:  global
        .offset:         96
        .size:           8
        .value_kind:     global_buffer
      - .actual_access:  write_only
        .address_space:  global
        .offset:         104
        .size:           8
        .value_kind:     global_buffer
      - .actual_access:  read_only
        .address_space:  global
        .offset:         112
        .size:           8
        .value_kind:     global_buffer
      - .offset:         120
        .size:           4
        .value_kind:     by_value
      - .address_space:  global
        .offset:         128
        .size:           8
        .value_kind:     global_buffer
      - .address_space:  global
        .offset:         136
        .size:           8
        .value_kind:     global_buffer
      - .offset:         144
        .size:           4
        .value_kind:     hidden_block_count_x
      - .offset:         148
        .size:           4
        .value_kind:     hidden_block_count_y
      - .offset:         152
        .size:           4
        .value_kind:     hidden_block_count_z
      - .offset:         156
        .size:           2
        .value_kind:     hidden_group_size_x
      - .offset:         158
        .size:           2
        .value_kind:     hidden_group_size_y
      - .offset:         160
        .size:           2
        .value_kind:     hidden_group_size_z
      - .offset:         162
        .size:           2
        .value_kind:     hidden_remainder_x
      - .offset:         164
        .size:           2
        .value_kind:     hidden_remainder_y
      - .offset:         166
        .size:           2
        .value_kind:     hidden_remainder_z
      - .offset:         184
        .size:           8
        .value_kind:     hidden_global_offset_x
      - .offset:         192
        .size:           8
        .value_kind:     hidden_global_offset_y
      - .offset:         200
        .size:           8
        .value_kind:     hidden_global_offset_z
      - .offset:         208
        .size:           2
        .value_kind:     hidden_grid_dims
    .group_segment_fixed_size: 8192
    .kernarg_segment_align: 8
    .kernarg_segment_size: 400
    .language:       OpenCL C
    .language_version:
      - 2
      - 0
    .max_flat_workgroup_size: 256
    .name:           _Z39paged_attention_ll4mi_QKV_mfma16_kernelI14__hip_bfloat16hLN4vllm18Fp8KVCacheDataTypeE1ES0_Li16ELi64ELi256ELb1ELi13EL8MFMAType0EEvPKT_PKT0_S9_ifPKiSB_SB_iPKfiiiPfSE_PS4_PT2_iSD_SD_
    .private_segment_fixed_size: 0
    .sgpr_count:     51
    .sgpr_spill_count: 0
    .symbol:         _Z39paged_attention_ll4mi_QKV_mfma16_kernelI14__hip_bfloat16hLN4vllm18Fp8KVCacheDataTypeE1ES0_Li16ELi64ELi256ELb1ELi13EL8MFMAType0EEvPKT_PKT0_S9_ifPKiSB_SB_iPKfiiiPfSE_PS4_PT2_iSD_SD_.kd
    .uniform_work_group_size: 1
    .uses_dynamic_stack: false
    .vgpr_count:     62
    .vgpr_spill_count: 0
    .wavefront_size: 64
  - .agpr_count:     0
    .args:
      - .actual_access:  read_only
        .address_space:  global
        .offset:         0
        .size:           8
        .value_kind:     global_buffer
      - .actual_access:  read_only
        .address_space:  global
        .offset:         8
        .size:           8
        .value_kind:     global_buffer
      - .actual_access:  read_only
        .address_space:  global
        .offset:         16
        .size:           8
        .value_kind:     global_buffer
      - .offset:         24
        .size:           4
        .value_kind:     by_value
      - .offset:         28
        .size:           4
        .value_kind:     by_value
      - .actual_access:  read_only
        .address_space:  global
        .offset:         32
        .size:           8
        .value_kind:     global_buffer
      - .actual_access:  read_only
        .address_space:  global
        .offset:         40
        .size:           8
        .value_kind:     global_buffer
      - .actual_access:  read_only
        .address_space:  global
        .offset:         48
        .size:           8
        .value_kind:     global_buffer
      - .offset:         56
        .size:           4
        .value_kind:     by_value
      - .actual_access:  read_only
        .address_space:  global
        .offset:         64
        .size:           8
        .value_kind:     global_buffer
      - .offset:         72
        .size:           4
        .value_kind:     by_value
      - .offset:         76
        .size:           4
        .value_kind:     by_value
      - .offset:         80
        .size:           4
        .value_kind:     by_value
      - .actual_access:  write_only
        .address_space:  global
        .offset:         88
        .size:           8
        .value_kind:     global_buffer
      - .actual_access:  write_only
        .address_space:  global
        .offset:         96
        .size:           8
        .value_kind:     global_buffer
      - .actual_access:  write_only
        .address_space:  global
        .offset:         104
        .size:           8
        .value_kind:     global_buffer
      - .actual_access:  read_only
        .address_space:  global
        .offset:         112
        .size:           8
        .value_kind:     global_buffer
      - .offset:         120
        .size:           4
        .value_kind:     by_value
      - .address_space:  global
        .offset:         128
        .size:           8
        .value_kind:     global_buffer
      - .address_space:  global
        .offset:         136
        .size:           8
        .value_kind:     global_buffer
      - .offset:         144
        .size:           4
        .value_kind:     hidden_block_count_x
      - .offset:         148
        .size:           4
        .value_kind:     hidden_block_count_y
      - .offset:         152
        .size:           4
        .value_kind:     hidden_block_count_z
      - .offset:         156
        .size:           2
        .value_kind:     hidden_group_size_x
      - .offset:         158
        .size:           2
        .value_kind:     hidden_group_size_y
      - .offset:         160
        .size:           2
        .value_kind:     hidden_group_size_z
      - .offset:         162
        .size:           2
        .value_kind:     hidden_remainder_x
      - .offset:         164
        .size:           2
        .value_kind:     hidden_remainder_y
      - .offset:         166
        .size:           2
        .value_kind:     hidden_remainder_z
      - .offset:         184
        .size:           8
        .value_kind:     hidden_global_offset_x
      - .offset:         192
        .size:           8
        .value_kind:     hidden_global_offset_y
      - .offset:         200
        .size:           8
        .value_kind:     hidden_global_offset_z
      - .offset:         208
        .size:           2
        .value_kind:     hidden_grid_dims
    .group_segment_fixed_size: 8192
    .kernarg_segment_align: 8
    .kernarg_segment_size: 400
    .language:       OpenCL C
    .language_version:
      - 2
      - 0
    .max_flat_workgroup_size: 256
    .name:           _Z39paged_attention_ll4mi_QKV_mfma16_kernelI14__hip_bfloat16hLN4vllm18Fp8KVCacheDataTypeE1ES0_Li16ELi64ELi256ELb1ELi14EL8MFMAType0EEvPKT_PKT0_S9_ifPKiSB_SB_iPKfiiiPfSE_PS4_PT2_iSD_SD_
    .private_segment_fixed_size: 0
    .sgpr_count:     51
    .sgpr_spill_count: 0
    .symbol:         _Z39paged_attention_ll4mi_QKV_mfma16_kernelI14__hip_bfloat16hLN4vllm18Fp8KVCacheDataTypeE1ES0_Li16ELi64ELi256ELb1ELi14EL8MFMAType0EEvPKT_PKT0_S9_ifPKiSB_SB_iPKfiiiPfSE_PS4_PT2_iSD_SD_.kd
    .uniform_work_group_size: 1
    .uses_dynamic_stack: false
    .vgpr_count:     62
    .vgpr_spill_count: 0
    .wavefront_size: 64
  - .agpr_count:     0
    .args:
      - .actual_access:  read_only
        .address_space:  global
        .offset:         0
        .size:           8
        .value_kind:     global_buffer
      - .actual_access:  read_only
        .address_space:  global
        .offset:         8
        .size:           8
        .value_kind:     global_buffer
      - .actual_access:  read_only
        .address_space:  global
        .offset:         16
        .size:           8
        .value_kind:     global_buffer
      - .offset:         24
        .size:           4
        .value_kind:     by_value
      - .offset:         28
        .size:           4
        .value_kind:     by_value
      - .actual_access:  read_only
        .address_space:  global
        .offset:         32
        .size:           8
        .value_kind:     global_buffer
      - .actual_access:  read_only
        .address_space:  global
        .offset:         40
        .size:           8
        .value_kind:     global_buffer
      - .actual_access:  read_only
        .address_space:  global
        .offset:         48
        .size:           8
        .value_kind:     global_buffer
      - .offset:         56
        .size:           4
        .value_kind:     by_value
      - .actual_access:  read_only
        .address_space:  global
        .offset:         64
        .size:           8
        .value_kind:     global_buffer
      - .offset:         72
        .size:           4
        .value_kind:     by_value
      - .offset:         76
        .size:           4
        .value_kind:     by_value
      - .offset:         80
        .size:           4
        .value_kind:     by_value
      - .actual_access:  write_only
        .address_space:  global
        .offset:         88
        .size:           8
        .value_kind:     global_buffer
      - .actual_access:  write_only
        .address_space:  global
        .offset:         96
        .size:           8
        .value_kind:     global_buffer
      - .actual_access:  write_only
        .address_space:  global
        .offset:         104
        .size:           8
        .value_kind:     global_buffer
      - .actual_access:  read_only
        .address_space:  global
        .offset:         112
        .size:           8
        .value_kind:     global_buffer
      - .offset:         120
        .size:           4
        .value_kind:     by_value
      - .address_space:  global
        .offset:         128
        .size:           8
        .value_kind:     global_buffer
      - .address_space:  global
        .offset:         136
        .size:           8
        .value_kind:     global_buffer
      - .offset:         144
        .size:           4
        .value_kind:     hidden_block_count_x
      - .offset:         148
        .size:           4
        .value_kind:     hidden_block_count_y
      - .offset:         152
        .size:           4
        .value_kind:     hidden_block_count_z
      - .offset:         156
        .size:           2
        .value_kind:     hidden_group_size_x
      - .offset:         158
        .size:           2
        .value_kind:     hidden_group_size_y
      - .offset:         160
        .size:           2
        .value_kind:     hidden_group_size_z
      - .offset:         162
        .size:           2
        .value_kind:     hidden_remainder_x
      - .offset:         164
        .size:           2
        .value_kind:     hidden_remainder_y
      - .offset:         166
        .size:           2
        .value_kind:     hidden_remainder_z
      - .offset:         184
        .size:           8
        .value_kind:     hidden_global_offset_x
      - .offset:         192
        .size:           8
        .value_kind:     hidden_global_offset_y
      - .offset:         200
        .size:           8
        .value_kind:     hidden_global_offset_z
      - .offset:         208
        .size:           2
        .value_kind:     hidden_grid_dims
    .group_segment_fixed_size: 8192
    .kernarg_segment_align: 8
    .kernarg_segment_size: 400
    .language:       OpenCL C
    .language_version:
      - 2
      - 0
    .max_flat_workgroup_size: 256
    .name:           _Z39paged_attention_ll4mi_QKV_mfma16_kernelI14__hip_bfloat16hLN4vllm18Fp8KVCacheDataTypeE1ES0_Li16ELi64ELi256ELb1ELi15EL8MFMAType0EEvPKT_PKT0_S9_ifPKiSB_SB_iPKfiiiPfSE_PS4_PT2_iSD_SD_
    .private_segment_fixed_size: 0
    .sgpr_count:     51
    .sgpr_spill_count: 0
    .symbol:         _Z39paged_attention_ll4mi_QKV_mfma16_kernelI14__hip_bfloat16hLN4vllm18Fp8KVCacheDataTypeE1ES0_Li16ELi64ELi256ELb1ELi15EL8MFMAType0EEvPKT_PKT0_S9_ifPKiSB_SB_iPKfiiiPfSE_PS4_PT2_iSD_SD_.kd
    .uniform_work_group_size: 1
    .uses_dynamic_stack: false
    .vgpr_count:     62
    .vgpr_spill_count: 0
    .wavefront_size: 64
  - .agpr_count:     0
    .args:
      - .actual_access:  read_only
        .address_space:  global
        .offset:         0
        .size:           8
        .value_kind:     global_buffer
      - .actual_access:  read_only
        .address_space:  global
        .offset:         8
        .size:           8
        .value_kind:     global_buffer
      - .actual_access:  read_only
        .address_space:  global
        .offset:         16
        .size:           8
        .value_kind:     global_buffer
      - .offset:         24
        .size:           4
        .value_kind:     by_value
      - .offset:         28
        .size:           4
        .value_kind:     by_value
      - .actual_access:  read_only
        .address_space:  global
        .offset:         32
        .size:           8
        .value_kind:     global_buffer
      - .actual_access:  read_only
        .address_space:  global
        .offset:         40
        .size:           8
        .value_kind:     global_buffer
      - .actual_access:  read_only
        .address_space:  global
        .offset:         48
        .size:           8
        .value_kind:     global_buffer
      - .offset:         56
        .size:           4
        .value_kind:     by_value
      - .actual_access:  read_only
        .address_space:  global
        .offset:         64
        .size:           8
        .value_kind:     global_buffer
      - .offset:         72
        .size:           4
        .value_kind:     by_value
      - .offset:         76
        .size:           4
        .value_kind:     by_value
      - .offset:         80
        .size:           4
        .value_kind:     by_value
      - .actual_access:  write_only
        .address_space:  global
        .offset:         88
        .size:           8
        .value_kind:     global_buffer
      - .actual_access:  write_only
        .address_space:  global
        .offset:         96
        .size:           8
        .value_kind:     global_buffer
      - .actual_access:  write_only
        .address_space:  global
        .offset:         104
        .size:           8
        .value_kind:     global_buffer
      - .actual_access:  read_only
        .address_space:  global
        .offset:         112
        .size:           8
        .value_kind:     global_buffer
      - .offset:         120
        .size:           4
        .value_kind:     by_value
      - .address_space:  global
        .offset:         128
        .size:           8
        .value_kind:     global_buffer
      - .address_space:  global
        .offset:         136
        .size:           8
        .value_kind:     global_buffer
      - .offset:         144
        .size:           4
        .value_kind:     hidden_block_count_x
      - .offset:         148
        .size:           4
        .value_kind:     hidden_block_count_y
      - .offset:         152
        .size:           4
        .value_kind:     hidden_block_count_z
      - .offset:         156
        .size:           2
        .value_kind:     hidden_group_size_x
      - .offset:         158
        .size:           2
        .value_kind:     hidden_group_size_y
      - .offset:         160
        .size:           2
        .value_kind:     hidden_group_size_z
      - .offset:         162
        .size:           2
        .value_kind:     hidden_remainder_x
      - .offset:         164
        .size:           2
        .value_kind:     hidden_remainder_y
      - .offset:         166
        .size:           2
        .value_kind:     hidden_remainder_z
      - .offset:         184
        .size:           8
        .value_kind:     hidden_global_offset_x
      - .offset:         192
        .size:           8
        .value_kind:     hidden_global_offset_y
      - .offset:         200
        .size:           8
        .value_kind:     hidden_global_offset_z
      - .offset:         208
        .size:           2
        .value_kind:     hidden_grid_dims
    .group_segment_fixed_size: 8192
    .kernarg_segment_align: 8
    .kernarg_segment_size: 400
    .language:       OpenCL C
    .language_version:
      - 2
      - 0
    .max_flat_workgroup_size: 256
    .name:           _Z39paged_attention_ll4mi_QKV_mfma16_kernelI14__hip_bfloat16hLN4vllm18Fp8KVCacheDataTypeE1ES0_Li16ELi64ELi256ELb1ELi16EL8MFMAType0EEvPKT_PKT0_S9_ifPKiSB_SB_iPKfiiiPfSE_PS4_PT2_iSD_SD_
    .private_segment_fixed_size: 0
    .sgpr_count:     51
    .sgpr_spill_count: 0
    .symbol:         _Z39paged_attention_ll4mi_QKV_mfma16_kernelI14__hip_bfloat16hLN4vllm18Fp8KVCacheDataTypeE1ES0_Li16ELi64ELi256ELb1ELi16EL8MFMAType0EEvPKT_PKT0_S9_ifPKiSB_SB_iPKfiiiPfSE_PS4_PT2_iSD_SD_.kd
    .uniform_work_group_size: 1
    .uses_dynamic_stack: false
    .vgpr_count:     65
    .vgpr_spill_count: 0
    .wavefront_size: 64
  - .agpr_count:     0
    .args:
      - .actual_access:  read_only
        .address_space:  global
        .offset:         0
        .size:           8
        .value_kind:     global_buffer
      - .actual_access:  read_only
        .address_space:  global
        .offset:         8
        .size:           8
        .value_kind:     global_buffer
      - .actual_access:  read_only
        .address_space:  global
        .offset:         16
        .size:           8
        .value_kind:     global_buffer
      - .offset:         24
        .size:           4
        .value_kind:     by_value
      - .offset:         28
        .size:           4
        .value_kind:     by_value
      - .actual_access:  read_only
        .address_space:  global
        .offset:         32
        .size:           8
        .value_kind:     global_buffer
      - .actual_access:  read_only
        .address_space:  global
        .offset:         40
        .size:           8
        .value_kind:     global_buffer
      - .actual_access:  read_only
        .address_space:  global
        .offset:         48
        .size:           8
        .value_kind:     global_buffer
      - .offset:         56
        .size:           4
        .value_kind:     by_value
      - .actual_access:  read_only
        .address_space:  global
        .offset:         64
        .size:           8
        .value_kind:     global_buffer
      - .offset:         72
        .size:           4
        .value_kind:     by_value
      - .offset:         76
        .size:           4
        .value_kind:     by_value
      - .offset:         80
        .size:           4
        .value_kind:     by_value
      - .actual_access:  write_only
        .address_space:  global
        .offset:         88
        .size:           8
        .value_kind:     global_buffer
      - .actual_access:  write_only
        .address_space:  global
        .offset:         96
        .size:           8
        .value_kind:     global_buffer
      - .actual_access:  write_only
        .address_space:  global
        .offset:         104
        .size:           8
        .value_kind:     global_buffer
      - .actual_access:  read_only
        .address_space:  global
        .offset:         112
        .size:           8
        .value_kind:     global_buffer
      - .offset:         120
        .size:           4
        .value_kind:     by_value
      - .address_space:  global
        .offset:         128
        .size:           8
        .value_kind:     global_buffer
      - .address_space:  global
        .offset:         136
        .size:           8
        .value_kind:     global_buffer
      - .offset:         144
        .size:           4
        .value_kind:     hidden_block_count_x
      - .offset:         148
        .size:           4
        .value_kind:     hidden_block_count_y
      - .offset:         152
        .size:           4
        .value_kind:     hidden_block_count_z
      - .offset:         156
        .size:           2
        .value_kind:     hidden_group_size_x
      - .offset:         158
        .size:           2
        .value_kind:     hidden_group_size_y
      - .offset:         160
        .size:           2
        .value_kind:     hidden_group_size_z
      - .offset:         162
        .size:           2
        .value_kind:     hidden_remainder_x
      - .offset:         164
        .size:           2
        .value_kind:     hidden_remainder_y
      - .offset:         166
        .size:           2
        .value_kind:     hidden_remainder_z
      - .offset:         184
        .size:           8
        .value_kind:     hidden_global_offset_x
      - .offset:         192
        .size:           8
        .value_kind:     hidden_global_offset_y
      - .offset:         200
        .size:           8
        .value_kind:     hidden_global_offset_z
      - .offset:         208
        .size:           2
        .value_kind:     hidden_grid_dims
    .group_segment_fixed_size: 8192
    .kernarg_segment_align: 8
    .kernarg_segment_size: 400
    .language:       OpenCL C
    .language_version:
      - 2
      - 0
    .max_flat_workgroup_size: 256
    .name:           _Z39paged_attention_ll4mi_QKV_mfma16_kernelI14__hip_bfloat16hLN4vllm18Fp8KVCacheDataTypeE1ES0_Li16ELi64ELi256ELb1ELi1EL8MFMAType0EEvPKT_PKT0_S9_ifPKiSB_SB_iPKfiiiPfSE_PS4_PT2_iSD_SD_
    .private_segment_fixed_size: 0
    .sgpr_count:     54
    .sgpr_spill_count: 0
    .symbol:         _Z39paged_attention_ll4mi_QKV_mfma16_kernelI14__hip_bfloat16hLN4vllm18Fp8KVCacheDataTypeE1ES0_Li16ELi64ELi256ELb1ELi1EL8MFMAType0EEvPKT_PKT0_S9_ifPKiSB_SB_iPKfiiiPfSE_PS4_PT2_iSD_SD_.kd
    .uniform_work_group_size: 1
    .uses_dynamic_stack: false
    .vgpr_count:     62
    .vgpr_spill_count: 0
    .wavefront_size: 64
  - .agpr_count:     0
    .args:
      - .actual_access:  read_only
        .address_space:  global
        .offset:         0
        .size:           8
        .value_kind:     global_buffer
      - .actual_access:  read_only
        .address_space:  global
        .offset:         8
        .size:           8
        .value_kind:     global_buffer
      - .actual_access:  read_only
        .address_space:  global
        .offset:         16
        .size:           8
        .value_kind:     global_buffer
      - .offset:         24
        .size:           4
        .value_kind:     by_value
      - .offset:         28
        .size:           4
        .value_kind:     by_value
      - .actual_access:  read_only
        .address_space:  global
        .offset:         32
        .size:           8
        .value_kind:     global_buffer
      - .actual_access:  read_only
        .address_space:  global
        .offset:         40
        .size:           8
        .value_kind:     global_buffer
      - .actual_access:  read_only
        .address_space:  global
        .offset:         48
        .size:           8
        .value_kind:     global_buffer
      - .offset:         56
        .size:           4
        .value_kind:     by_value
      - .actual_access:  read_only
        .address_space:  global
        .offset:         64
        .size:           8
        .value_kind:     global_buffer
      - .offset:         72
        .size:           4
        .value_kind:     by_value
      - .offset:         76
        .size:           4
        .value_kind:     by_value
      - .offset:         80
        .size:           4
        .value_kind:     by_value
      - .actual_access:  write_only
        .address_space:  global
        .offset:         88
        .size:           8
        .value_kind:     global_buffer
      - .actual_access:  write_only
        .address_space:  global
        .offset:         96
        .size:           8
        .value_kind:     global_buffer
      - .actual_access:  write_only
        .address_space:  global
        .offset:         104
        .size:           8
        .value_kind:     global_buffer
      - .actual_access:  read_only
        .address_space:  global
        .offset:         112
        .size:           8
        .value_kind:     global_buffer
      - .offset:         120
        .size:           4
        .value_kind:     by_value
      - .address_space:  global
        .offset:         128
        .size:           8
        .value_kind:     global_buffer
      - .address_space:  global
        .offset:         136
        .size:           8
        .value_kind:     global_buffer
      - .offset:         144
        .size:           4
        .value_kind:     hidden_block_count_x
      - .offset:         148
        .size:           4
        .value_kind:     hidden_block_count_y
      - .offset:         152
        .size:           4
        .value_kind:     hidden_block_count_z
      - .offset:         156
        .size:           2
        .value_kind:     hidden_group_size_x
      - .offset:         158
        .size:           2
        .value_kind:     hidden_group_size_y
      - .offset:         160
        .size:           2
        .value_kind:     hidden_group_size_z
      - .offset:         162
        .size:           2
        .value_kind:     hidden_remainder_x
      - .offset:         164
        .size:           2
        .value_kind:     hidden_remainder_y
      - .offset:         166
        .size:           2
        .value_kind:     hidden_remainder_z
      - .offset:         184
        .size:           8
        .value_kind:     hidden_global_offset_x
      - .offset:         192
        .size:           8
        .value_kind:     hidden_global_offset_y
      - .offset:         200
        .size:           8
        .value_kind:     hidden_global_offset_z
      - .offset:         208
        .size:           2
        .value_kind:     hidden_grid_dims
    .group_segment_fixed_size: 8192
    .kernarg_segment_align: 8
    .kernarg_segment_size: 400
    .language:       OpenCL C
    .language_version:
      - 2
      - 0
    .max_flat_workgroup_size: 256
    .name:           _Z39paged_attention_ll4mi_QKV_mfma16_kernelI14__hip_bfloat16hLN4vllm18Fp8KVCacheDataTypeE1ES0_Li16ELi64ELi256ELb1ELi2EL8MFMAType0EEvPKT_PKT0_S9_ifPKiSB_SB_iPKfiiiPfSE_PS4_PT2_iSD_SD_
    .private_segment_fixed_size: 0
    .sgpr_count:     51
    .sgpr_spill_count: 0
    .symbol:         _Z39paged_attention_ll4mi_QKV_mfma16_kernelI14__hip_bfloat16hLN4vllm18Fp8KVCacheDataTypeE1ES0_Li16ELi64ELi256ELb1ELi2EL8MFMAType0EEvPKT_PKT0_S9_ifPKiSB_SB_iPKfiiiPfSE_PS4_PT2_iSD_SD_.kd
    .uniform_work_group_size: 1
    .uses_dynamic_stack: false
    .vgpr_count:     62
    .vgpr_spill_count: 0
    .wavefront_size: 64
  - .agpr_count:     0
    .args:
      - .actual_access:  read_only
        .address_space:  global
        .offset:         0
        .size:           8
        .value_kind:     global_buffer
      - .actual_access:  read_only
        .address_space:  global
        .offset:         8
        .size:           8
        .value_kind:     global_buffer
      - .actual_access:  read_only
        .address_space:  global
        .offset:         16
        .size:           8
        .value_kind:     global_buffer
      - .offset:         24
        .size:           4
        .value_kind:     by_value
      - .offset:         28
        .size:           4
        .value_kind:     by_value
      - .actual_access:  read_only
        .address_space:  global
        .offset:         32
        .size:           8
        .value_kind:     global_buffer
      - .actual_access:  read_only
        .address_space:  global
        .offset:         40
        .size:           8
        .value_kind:     global_buffer
      - .actual_access:  read_only
        .address_space:  global
        .offset:         48
        .size:           8
        .value_kind:     global_buffer
      - .offset:         56
        .size:           4
        .value_kind:     by_value
      - .actual_access:  read_only
        .address_space:  global
        .offset:         64
        .size:           8
        .value_kind:     global_buffer
      - .offset:         72
        .size:           4
        .value_kind:     by_value
      - .offset:         76
        .size:           4
        .value_kind:     by_value
      - .offset:         80
        .size:           4
        .value_kind:     by_value
      - .actual_access:  write_only
        .address_space:  global
        .offset:         88
        .size:           8
        .value_kind:     global_buffer
      - .actual_access:  write_only
        .address_space:  global
        .offset:         96
        .size:           8
        .value_kind:     global_buffer
      - .actual_access:  write_only
        .address_space:  global
        .offset:         104
        .size:           8
        .value_kind:     global_buffer
      - .actual_access:  read_only
        .address_space:  global
        .offset:         112
        .size:           8
        .value_kind:     global_buffer
      - .offset:         120
        .size:           4
        .value_kind:     by_value
      - .address_space:  global
        .offset:         128
        .size:           8
        .value_kind:     global_buffer
      - .address_space:  global
        .offset:         136
        .size:           8
        .value_kind:     global_buffer
      - .offset:         144
        .size:           4
        .value_kind:     hidden_block_count_x
      - .offset:         148
        .size:           4
        .value_kind:     hidden_block_count_y
      - .offset:         152
        .size:           4
        .value_kind:     hidden_block_count_z
      - .offset:         156
        .size:           2
        .value_kind:     hidden_group_size_x
      - .offset:         158
        .size:           2
        .value_kind:     hidden_group_size_y
      - .offset:         160
        .size:           2
        .value_kind:     hidden_group_size_z
      - .offset:         162
        .size:           2
        .value_kind:     hidden_remainder_x
      - .offset:         164
        .size:           2
        .value_kind:     hidden_remainder_y
      - .offset:         166
        .size:           2
        .value_kind:     hidden_remainder_z
      - .offset:         184
        .size:           8
        .value_kind:     hidden_global_offset_x
      - .offset:         192
        .size:           8
        .value_kind:     hidden_global_offset_y
      - .offset:         200
        .size:           8
        .value_kind:     hidden_global_offset_z
      - .offset:         208
        .size:           2
        .value_kind:     hidden_grid_dims
    .group_segment_fixed_size: 8192
    .kernarg_segment_align: 8
    .kernarg_segment_size: 400
    .language:       OpenCL C
    .language_version:
      - 2
      - 0
    .max_flat_workgroup_size: 256
    .name:           _Z39paged_attention_ll4mi_QKV_mfma16_kernelI14__hip_bfloat16hLN4vllm18Fp8KVCacheDataTypeE1ES0_Li16ELi64ELi256ELb1ELi3EL8MFMAType0EEvPKT_PKT0_S9_ifPKiSB_SB_iPKfiiiPfSE_PS4_PT2_iSD_SD_
    .private_segment_fixed_size: 0
    .sgpr_count:     51
    .sgpr_spill_count: 0
    .symbol:         _Z39paged_attention_ll4mi_QKV_mfma16_kernelI14__hip_bfloat16hLN4vllm18Fp8KVCacheDataTypeE1ES0_Li16ELi64ELi256ELb1ELi3EL8MFMAType0EEvPKT_PKT0_S9_ifPKiSB_SB_iPKfiiiPfSE_PS4_PT2_iSD_SD_.kd
    .uniform_work_group_size: 1
    .uses_dynamic_stack: false
    .vgpr_count:     63
    .vgpr_spill_count: 0
    .wavefront_size: 64
  - .agpr_count:     0
    .args:
      - .actual_access:  read_only
        .address_space:  global
        .offset:         0
        .size:           8
        .value_kind:     global_buffer
      - .actual_access:  read_only
        .address_space:  global
        .offset:         8
        .size:           8
        .value_kind:     global_buffer
      - .actual_access:  read_only
        .address_space:  global
        .offset:         16
        .size:           8
        .value_kind:     global_buffer
      - .offset:         24
        .size:           4
        .value_kind:     by_value
      - .offset:         28
        .size:           4
        .value_kind:     by_value
      - .actual_access:  read_only
        .address_space:  global
        .offset:         32
        .size:           8
        .value_kind:     global_buffer
      - .actual_access:  read_only
        .address_space:  global
        .offset:         40
        .size:           8
        .value_kind:     global_buffer
      - .actual_access:  read_only
        .address_space:  global
        .offset:         48
        .size:           8
        .value_kind:     global_buffer
      - .offset:         56
        .size:           4
        .value_kind:     by_value
      - .actual_access:  read_only
        .address_space:  global
        .offset:         64
        .size:           8
        .value_kind:     global_buffer
      - .offset:         72
        .size:           4
        .value_kind:     by_value
      - .offset:         76
        .size:           4
        .value_kind:     by_value
      - .offset:         80
        .size:           4
        .value_kind:     by_value
      - .actual_access:  write_only
        .address_space:  global
        .offset:         88
        .size:           8
        .value_kind:     global_buffer
      - .actual_access:  write_only
        .address_space:  global
        .offset:         96
        .size:           8
        .value_kind:     global_buffer
      - .actual_access:  write_only
        .address_space:  global
        .offset:         104
        .size:           8
        .value_kind:     global_buffer
      - .actual_access:  read_only
        .address_space:  global
        .offset:         112
        .size:           8
        .value_kind:     global_buffer
      - .offset:         120
        .size:           4
        .value_kind:     by_value
      - .address_space:  global
        .offset:         128
        .size:           8
        .value_kind:     global_buffer
      - .address_space:  global
        .offset:         136
        .size:           8
        .value_kind:     global_buffer
      - .offset:         144
        .size:           4
        .value_kind:     hidden_block_count_x
      - .offset:         148
        .size:           4
        .value_kind:     hidden_block_count_y
      - .offset:         152
        .size:           4
        .value_kind:     hidden_block_count_z
      - .offset:         156
        .size:           2
        .value_kind:     hidden_group_size_x
      - .offset:         158
        .size:           2
        .value_kind:     hidden_group_size_y
      - .offset:         160
        .size:           2
        .value_kind:     hidden_group_size_z
      - .offset:         162
        .size:           2
        .value_kind:     hidden_remainder_x
      - .offset:         164
        .size:           2
        .value_kind:     hidden_remainder_y
      - .offset:         166
        .size:           2
        .value_kind:     hidden_remainder_z
      - .offset:         184
        .size:           8
        .value_kind:     hidden_global_offset_x
      - .offset:         192
        .size:           8
        .value_kind:     hidden_global_offset_y
      - .offset:         200
        .size:           8
        .value_kind:     hidden_global_offset_z
      - .offset:         208
        .size:           2
        .value_kind:     hidden_grid_dims
    .group_segment_fixed_size: 8192
    .kernarg_segment_align: 8
    .kernarg_segment_size: 400
    .language:       OpenCL C
    .language_version:
      - 2
      - 0
    .max_flat_workgroup_size: 256
    .name:           _Z39paged_attention_ll4mi_QKV_mfma16_kernelI14__hip_bfloat16hLN4vllm18Fp8KVCacheDataTypeE1ES0_Li16ELi64ELi256ELb1ELi4EL8MFMAType0EEvPKT_PKT0_S9_ifPKiSB_SB_iPKfiiiPfSE_PS4_PT2_iSD_SD_
    .private_segment_fixed_size: 0
    .sgpr_count:     52
    .sgpr_spill_count: 0
    .symbol:         _Z39paged_attention_ll4mi_QKV_mfma16_kernelI14__hip_bfloat16hLN4vllm18Fp8KVCacheDataTypeE1ES0_Li16ELi64ELi256ELb1ELi4EL8MFMAType0EEvPKT_PKT0_S9_ifPKiSB_SB_iPKfiiiPfSE_PS4_PT2_iSD_SD_.kd
    .uniform_work_group_size: 1
    .uses_dynamic_stack: false
    .vgpr_count:     64
    .vgpr_spill_count: 0
    .wavefront_size: 64
  - .agpr_count:     0
    .args:
      - .actual_access:  read_only
        .address_space:  global
        .offset:         0
        .size:           8
        .value_kind:     global_buffer
      - .actual_access:  read_only
        .address_space:  global
        .offset:         8
        .size:           8
        .value_kind:     global_buffer
      - .actual_access:  read_only
        .address_space:  global
        .offset:         16
        .size:           8
        .value_kind:     global_buffer
      - .offset:         24
        .size:           4
        .value_kind:     by_value
      - .offset:         28
        .size:           4
        .value_kind:     by_value
      - .actual_access:  read_only
        .address_space:  global
        .offset:         32
        .size:           8
        .value_kind:     global_buffer
      - .actual_access:  read_only
        .address_space:  global
        .offset:         40
        .size:           8
        .value_kind:     global_buffer
      - .actual_access:  read_only
        .address_space:  global
        .offset:         48
        .size:           8
        .value_kind:     global_buffer
      - .offset:         56
        .size:           4
        .value_kind:     by_value
      - .actual_access:  read_only
        .address_space:  global
        .offset:         64
        .size:           8
        .value_kind:     global_buffer
      - .offset:         72
        .size:           4
        .value_kind:     by_value
      - .offset:         76
        .size:           4
        .value_kind:     by_value
      - .offset:         80
        .size:           4
        .value_kind:     by_value
      - .actual_access:  write_only
        .address_space:  global
        .offset:         88
        .size:           8
        .value_kind:     global_buffer
      - .actual_access:  write_only
        .address_space:  global
        .offset:         96
        .size:           8
        .value_kind:     global_buffer
      - .actual_access:  write_only
        .address_space:  global
        .offset:         104
        .size:           8
        .value_kind:     global_buffer
      - .actual_access:  read_only
        .address_space:  global
        .offset:         112
        .size:           8
        .value_kind:     global_buffer
      - .offset:         120
        .size:           4
        .value_kind:     by_value
      - .address_space:  global
        .offset:         128
        .size:           8
        .value_kind:     global_buffer
      - .address_space:  global
        .offset:         136
        .size:           8
        .value_kind:     global_buffer
      - .offset:         144
        .size:           4
        .value_kind:     hidden_block_count_x
      - .offset:         148
        .size:           4
        .value_kind:     hidden_block_count_y
      - .offset:         152
        .size:           4
        .value_kind:     hidden_block_count_z
      - .offset:         156
        .size:           2
        .value_kind:     hidden_group_size_x
      - .offset:         158
        .size:           2
        .value_kind:     hidden_group_size_y
      - .offset:         160
        .size:           2
        .value_kind:     hidden_group_size_z
      - .offset:         162
        .size:           2
        .value_kind:     hidden_remainder_x
      - .offset:         164
        .size:           2
        .value_kind:     hidden_remainder_y
      - .offset:         166
        .size:           2
        .value_kind:     hidden_remainder_z
      - .offset:         184
        .size:           8
        .value_kind:     hidden_global_offset_x
      - .offset:         192
        .size:           8
        .value_kind:     hidden_global_offset_y
      - .offset:         200
        .size:           8
        .value_kind:     hidden_global_offset_z
      - .offset:         208
        .size:           2
        .value_kind:     hidden_grid_dims
    .group_segment_fixed_size: 8192
    .kernarg_segment_align: 8
    .kernarg_segment_size: 400
    .language:       OpenCL C
    .language_version:
      - 2
      - 0
    .max_flat_workgroup_size: 256
    .name:           _Z39paged_attention_ll4mi_QKV_mfma16_kernelI14__hip_bfloat16hLN4vllm18Fp8KVCacheDataTypeE1ES0_Li16ELi64ELi256ELb0ELi5EL8MFMAType0EEvPKT_PKT0_S9_ifPKiSB_SB_iPKfiiiPfSE_PS4_PT2_iSD_SD_
    .private_segment_fixed_size: 0
    .sgpr_count:     51
    .sgpr_spill_count: 0
    .symbol:         _Z39paged_attention_ll4mi_QKV_mfma16_kernelI14__hip_bfloat16hLN4vllm18Fp8KVCacheDataTypeE1ES0_Li16ELi64ELi256ELb0ELi5EL8MFMAType0EEvPKT_PKT0_S9_ifPKiSB_SB_iPKfiiiPfSE_PS4_PT2_iSD_SD_.kd
    .uniform_work_group_size: 1
    .uses_dynamic_stack: false
    .vgpr_count:     61
    .vgpr_spill_count: 0
    .wavefront_size: 64
  - .agpr_count:     0
    .args:
      - .actual_access:  read_only
        .address_space:  global
        .offset:         0
        .size:           8
        .value_kind:     global_buffer
      - .actual_access:  read_only
        .address_space:  global
        .offset:         8
        .size:           8
        .value_kind:     global_buffer
      - .actual_access:  read_only
        .address_space:  global
        .offset:         16
        .size:           8
        .value_kind:     global_buffer
      - .offset:         24
        .size:           4
        .value_kind:     by_value
      - .offset:         28
        .size:           4
        .value_kind:     by_value
      - .actual_access:  read_only
        .address_space:  global
        .offset:         32
        .size:           8
        .value_kind:     global_buffer
      - .actual_access:  read_only
        .address_space:  global
        .offset:         40
        .size:           8
        .value_kind:     global_buffer
      - .actual_access:  read_only
        .address_space:  global
        .offset:         48
        .size:           8
        .value_kind:     global_buffer
      - .offset:         56
        .size:           4
        .value_kind:     by_value
      - .actual_access:  read_only
        .address_space:  global
        .offset:         64
        .size:           8
        .value_kind:     global_buffer
      - .offset:         72
        .size:           4
        .value_kind:     by_value
      - .offset:         76
        .size:           4
        .value_kind:     by_value
      - .offset:         80
        .size:           4
        .value_kind:     by_value
      - .actual_access:  write_only
        .address_space:  global
        .offset:         88
        .size:           8
        .value_kind:     global_buffer
      - .actual_access:  write_only
        .address_space:  global
        .offset:         96
        .size:           8
        .value_kind:     global_buffer
      - .actual_access:  write_only
        .address_space:  global
        .offset:         104
        .size:           8
        .value_kind:     global_buffer
      - .actual_access:  read_only
        .address_space:  global
        .offset:         112
        .size:           8
        .value_kind:     global_buffer
      - .offset:         120
        .size:           4
        .value_kind:     by_value
      - .address_space:  global
        .offset:         128
        .size:           8
        .value_kind:     global_buffer
      - .address_space:  global
        .offset:         136
        .size:           8
        .value_kind:     global_buffer
      - .offset:         144
        .size:           4
        .value_kind:     hidden_block_count_x
      - .offset:         148
        .size:           4
        .value_kind:     hidden_block_count_y
      - .offset:         152
        .size:           4
        .value_kind:     hidden_block_count_z
      - .offset:         156
        .size:           2
        .value_kind:     hidden_group_size_x
      - .offset:         158
        .size:           2
        .value_kind:     hidden_group_size_y
      - .offset:         160
        .size:           2
        .value_kind:     hidden_group_size_z
      - .offset:         162
        .size:           2
        .value_kind:     hidden_remainder_x
      - .offset:         164
        .size:           2
        .value_kind:     hidden_remainder_y
      - .offset:         166
        .size:           2
        .value_kind:     hidden_remainder_z
      - .offset:         184
        .size:           8
        .value_kind:     hidden_global_offset_x
      - .offset:         192
        .size:           8
        .value_kind:     hidden_global_offset_y
      - .offset:         200
        .size:           8
        .value_kind:     hidden_global_offset_z
      - .offset:         208
        .size:           2
        .value_kind:     hidden_grid_dims
    .group_segment_fixed_size: 8192
    .kernarg_segment_align: 8
    .kernarg_segment_size: 400
    .language:       OpenCL C
    .language_version:
      - 2
      - 0
    .max_flat_workgroup_size: 256
    .name:           _Z39paged_attention_ll4mi_QKV_mfma16_kernelI14__hip_bfloat16hLN4vllm18Fp8KVCacheDataTypeE1ES0_Li16ELi64ELi256ELb0ELi6EL8MFMAType0EEvPKT_PKT0_S9_ifPKiSB_SB_iPKfiiiPfSE_PS4_PT2_iSD_SD_
    .private_segment_fixed_size: 0
    .sgpr_count:     51
    .sgpr_spill_count: 0
    .symbol:         _Z39paged_attention_ll4mi_QKV_mfma16_kernelI14__hip_bfloat16hLN4vllm18Fp8KVCacheDataTypeE1ES0_Li16ELi64ELi256ELb0ELi6EL8MFMAType0EEvPKT_PKT0_S9_ifPKiSB_SB_iPKfiiiPfSE_PS4_PT2_iSD_SD_.kd
    .uniform_work_group_size: 1
    .uses_dynamic_stack: false
    .vgpr_count:     61
    .vgpr_spill_count: 0
    .wavefront_size: 64
  - .agpr_count:     0
    .args:
      - .actual_access:  read_only
        .address_space:  global
        .offset:         0
        .size:           8
        .value_kind:     global_buffer
      - .actual_access:  read_only
        .address_space:  global
        .offset:         8
        .size:           8
        .value_kind:     global_buffer
      - .actual_access:  read_only
        .address_space:  global
        .offset:         16
        .size:           8
        .value_kind:     global_buffer
      - .offset:         24
        .size:           4
        .value_kind:     by_value
      - .offset:         28
        .size:           4
        .value_kind:     by_value
      - .actual_access:  read_only
        .address_space:  global
        .offset:         32
        .size:           8
        .value_kind:     global_buffer
      - .actual_access:  read_only
        .address_space:  global
        .offset:         40
        .size:           8
        .value_kind:     global_buffer
      - .actual_access:  read_only
        .address_space:  global
        .offset:         48
        .size:           8
        .value_kind:     global_buffer
      - .offset:         56
        .size:           4
        .value_kind:     by_value
      - .actual_access:  read_only
        .address_space:  global
        .offset:         64
        .size:           8
        .value_kind:     global_buffer
      - .offset:         72
        .size:           4
        .value_kind:     by_value
      - .offset:         76
        .size:           4
        .value_kind:     by_value
      - .offset:         80
        .size:           4
        .value_kind:     by_value
      - .actual_access:  write_only
        .address_space:  global
        .offset:         88
        .size:           8
        .value_kind:     global_buffer
      - .actual_access:  write_only
        .address_space:  global
        .offset:         96
        .size:           8
        .value_kind:     global_buffer
      - .actual_access:  write_only
        .address_space:  global
        .offset:         104
        .size:           8
        .value_kind:     global_buffer
      - .actual_access:  read_only
        .address_space:  global
        .offset:         112
        .size:           8
        .value_kind:     global_buffer
      - .offset:         120
        .size:           4
        .value_kind:     by_value
      - .address_space:  global
        .offset:         128
        .size:           8
        .value_kind:     global_buffer
      - .address_space:  global
        .offset:         136
        .size:           8
        .value_kind:     global_buffer
      - .offset:         144
        .size:           4
        .value_kind:     hidden_block_count_x
      - .offset:         148
        .size:           4
        .value_kind:     hidden_block_count_y
      - .offset:         152
        .size:           4
        .value_kind:     hidden_block_count_z
      - .offset:         156
        .size:           2
        .value_kind:     hidden_group_size_x
      - .offset:         158
        .size:           2
        .value_kind:     hidden_group_size_y
      - .offset:         160
        .size:           2
        .value_kind:     hidden_group_size_z
      - .offset:         162
        .size:           2
        .value_kind:     hidden_remainder_x
      - .offset:         164
        .size:           2
        .value_kind:     hidden_remainder_y
      - .offset:         166
        .size:           2
        .value_kind:     hidden_remainder_z
      - .offset:         184
        .size:           8
        .value_kind:     hidden_global_offset_x
      - .offset:         192
        .size:           8
        .value_kind:     hidden_global_offset_y
      - .offset:         200
        .size:           8
        .value_kind:     hidden_global_offset_z
      - .offset:         208
        .size:           2
        .value_kind:     hidden_grid_dims
    .group_segment_fixed_size: 8192
    .kernarg_segment_align: 8
    .kernarg_segment_size: 400
    .language:       OpenCL C
    .language_version:
      - 2
      - 0
    .max_flat_workgroup_size: 256
    .name:           _Z39paged_attention_ll4mi_QKV_mfma16_kernelI14__hip_bfloat16hLN4vllm18Fp8KVCacheDataTypeE1ES0_Li16ELi64ELi256ELb0ELi7EL8MFMAType0EEvPKT_PKT0_S9_ifPKiSB_SB_iPKfiiiPfSE_PS4_PT2_iSD_SD_
    .private_segment_fixed_size: 0
    .sgpr_count:     51
    .sgpr_spill_count: 0
    .symbol:         _Z39paged_attention_ll4mi_QKV_mfma16_kernelI14__hip_bfloat16hLN4vllm18Fp8KVCacheDataTypeE1ES0_Li16ELi64ELi256ELb0ELi7EL8MFMAType0EEvPKT_PKT0_S9_ifPKiSB_SB_iPKfiiiPfSE_PS4_PT2_iSD_SD_.kd
    .uniform_work_group_size: 1
    .uses_dynamic_stack: false
    .vgpr_count:     61
    .vgpr_spill_count: 0
    .wavefront_size: 64
  - .agpr_count:     0
    .args:
      - .actual_access:  read_only
        .address_space:  global
        .offset:         0
        .size:           8
        .value_kind:     global_buffer
      - .actual_access:  read_only
        .address_space:  global
        .offset:         8
        .size:           8
        .value_kind:     global_buffer
      - .actual_access:  read_only
        .address_space:  global
        .offset:         16
        .size:           8
        .value_kind:     global_buffer
      - .offset:         24
        .size:           4
        .value_kind:     by_value
      - .offset:         28
        .size:           4
        .value_kind:     by_value
      - .actual_access:  read_only
        .address_space:  global
        .offset:         32
        .size:           8
        .value_kind:     global_buffer
      - .actual_access:  read_only
        .address_space:  global
        .offset:         40
        .size:           8
        .value_kind:     global_buffer
      - .actual_access:  read_only
        .address_space:  global
        .offset:         48
        .size:           8
        .value_kind:     global_buffer
      - .offset:         56
        .size:           4
        .value_kind:     by_value
      - .actual_access:  read_only
        .address_space:  global
        .offset:         64
        .size:           8
        .value_kind:     global_buffer
      - .offset:         72
        .size:           4
        .value_kind:     by_value
      - .offset:         76
        .size:           4
        .value_kind:     by_value
      - .offset:         80
        .size:           4
        .value_kind:     by_value
      - .actual_access:  write_only
        .address_space:  global
        .offset:         88
        .size:           8
        .value_kind:     global_buffer
      - .actual_access:  write_only
        .address_space:  global
        .offset:         96
        .size:           8
        .value_kind:     global_buffer
      - .actual_access:  write_only
        .address_space:  global
        .offset:         104
        .size:           8
        .value_kind:     global_buffer
      - .actual_access:  read_only
        .address_space:  global
        .offset:         112
        .size:           8
        .value_kind:     global_buffer
      - .offset:         120
        .size:           4
        .value_kind:     by_value
      - .address_space:  global
        .offset:         128
        .size:           8
        .value_kind:     global_buffer
      - .address_space:  global
        .offset:         136
        .size:           8
        .value_kind:     global_buffer
      - .offset:         144
        .size:           4
        .value_kind:     hidden_block_count_x
      - .offset:         148
        .size:           4
        .value_kind:     hidden_block_count_y
      - .offset:         152
        .size:           4
        .value_kind:     hidden_block_count_z
      - .offset:         156
        .size:           2
        .value_kind:     hidden_group_size_x
      - .offset:         158
        .size:           2
        .value_kind:     hidden_group_size_y
      - .offset:         160
        .size:           2
        .value_kind:     hidden_group_size_z
      - .offset:         162
        .size:           2
        .value_kind:     hidden_remainder_x
      - .offset:         164
        .size:           2
        .value_kind:     hidden_remainder_y
      - .offset:         166
        .size:           2
        .value_kind:     hidden_remainder_z
      - .offset:         184
        .size:           8
        .value_kind:     hidden_global_offset_x
      - .offset:         192
        .size:           8
        .value_kind:     hidden_global_offset_y
      - .offset:         200
        .size:           8
        .value_kind:     hidden_global_offset_z
      - .offset:         208
        .size:           2
        .value_kind:     hidden_grid_dims
    .group_segment_fixed_size: 8192
    .kernarg_segment_align: 8
    .kernarg_segment_size: 400
    .language:       OpenCL C
    .language_version:
      - 2
      - 0
    .max_flat_workgroup_size: 256
    .name:           _Z39paged_attention_ll4mi_QKV_mfma16_kernelI14__hip_bfloat16hLN4vllm18Fp8KVCacheDataTypeE1ES0_Li16ELi64ELi256ELb0ELi8EL8MFMAType0EEvPKT_PKT0_S9_ifPKiSB_SB_iPKfiiiPfSE_PS4_PT2_iSD_SD_
    .private_segment_fixed_size: 0
    .sgpr_count:     51
    .sgpr_spill_count: 0
    .symbol:         _Z39paged_attention_ll4mi_QKV_mfma16_kernelI14__hip_bfloat16hLN4vllm18Fp8KVCacheDataTypeE1ES0_Li16ELi64ELi256ELb0ELi8EL8MFMAType0EEvPKT_PKT0_S9_ifPKiSB_SB_iPKfiiiPfSE_PS4_PT2_iSD_SD_.kd
    .uniform_work_group_size: 1
    .uses_dynamic_stack: false
    .vgpr_count:     61
    .vgpr_spill_count: 0
    .wavefront_size: 64
  - .agpr_count:     0
    .args:
      - .actual_access:  read_only
        .address_space:  global
        .offset:         0
        .size:           8
        .value_kind:     global_buffer
      - .actual_access:  read_only
        .address_space:  global
        .offset:         8
        .size:           8
        .value_kind:     global_buffer
      - .actual_access:  read_only
        .address_space:  global
        .offset:         16
        .size:           8
        .value_kind:     global_buffer
      - .offset:         24
        .size:           4
        .value_kind:     by_value
      - .offset:         28
        .size:           4
        .value_kind:     by_value
      - .actual_access:  read_only
        .address_space:  global
        .offset:         32
        .size:           8
        .value_kind:     global_buffer
      - .actual_access:  read_only
        .address_space:  global
        .offset:         40
        .size:           8
        .value_kind:     global_buffer
      - .actual_access:  read_only
        .address_space:  global
        .offset:         48
        .size:           8
        .value_kind:     global_buffer
      - .offset:         56
        .size:           4
        .value_kind:     by_value
      - .actual_access:  read_only
        .address_space:  global
        .offset:         64
        .size:           8
        .value_kind:     global_buffer
      - .offset:         72
        .size:           4
        .value_kind:     by_value
      - .offset:         76
        .size:           4
        .value_kind:     by_value
      - .offset:         80
        .size:           4
        .value_kind:     by_value
      - .actual_access:  write_only
        .address_space:  global
        .offset:         88
        .size:           8
        .value_kind:     global_buffer
      - .actual_access:  write_only
        .address_space:  global
        .offset:         96
        .size:           8
        .value_kind:     global_buffer
      - .actual_access:  write_only
        .address_space:  global
        .offset:         104
        .size:           8
        .value_kind:     global_buffer
      - .actual_access:  read_only
        .address_space:  global
        .offset:         112
        .size:           8
        .value_kind:     global_buffer
      - .offset:         120
        .size:           4
        .value_kind:     by_value
      - .address_space:  global
        .offset:         128
        .size:           8
        .value_kind:     global_buffer
      - .address_space:  global
        .offset:         136
        .size:           8
        .value_kind:     global_buffer
      - .offset:         144
        .size:           4
        .value_kind:     hidden_block_count_x
      - .offset:         148
        .size:           4
        .value_kind:     hidden_block_count_y
      - .offset:         152
        .size:           4
        .value_kind:     hidden_block_count_z
      - .offset:         156
        .size:           2
        .value_kind:     hidden_group_size_x
      - .offset:         158
        .size:           2
        .value_kind:     hidden_group_size_y
      - .offset:         160
        .size:           2
        .value_kind:     hidden_group_size_z
      - .offset:         162
        .size:           2
        .value_kind:     hidden_remainder_x
      - .offset:         164
        .size:           2
        .value_kind:     hidden_remainder_y
      - .offset:         166
        .size:           2
        .value_kind:     hidden_remainder_z
      - .offset:         184
        .size:           8
        .value_kind:     hidden_global_offset_x
      - .offset:         192
        .size:           8
        .value_kind:     hidden_global_offset_y
      - .offset:         200
        .size:           8
        .value_kind:     hidden_global_offset_z
      - .offset:         208
        .size:           2
        .value_kind:     hidden_grid_dims
    .group_segment_fixed_size: 8192
    .kernarg_segment_align: 8
    .kernarg_segment_size: 400
    .language:       OpenCL C
    .language_version:
      - 2
      - 0
    .max_flat_workgroup_size: 256
    .name:           _Z39paged_attention_ll4mi_QKV_mfma16_kernelI14__hip_bfloat16hLN4vllm18Fp8KVCacheDataTypeE1ES0_Li16ELi64ELi256ELb0ELi9EL8MFMAType0EEvPKT_PKT0_S9_ifPKiSB_SB_iPKfiiiPfSE_PS4_PT2_iSD_SD_
    .private_segment_fixed_size: 0
    .sgpr_count:     51
    .sgpr_spill_count: 0
    .symbol:         _Z39paged_attention_ll4mi_QKV_mfma16_kernelI14__hip_bfloat16hLN4vllm18Fp8KVCacheDataTypeE1ES0_Li16ELi64ELi256ELb0ELi9EL8MFMAType0EEvPKT_PKT0_S9_ifPKiSB_SB_iPKfiiiPfSE_PS4_PT2_iSD_SD_.kd
    .uniform_work_group_size: 1
    .uses_dynamic_stack: false
    .vgpr_count:     61
    .vgpr_spill_count: 0
    .wavefront_size: 64
  - .agpr_count:     0
    .args:
      - .actual_access:  read_only
        .address_space:  global
        .offset:         0
        .size:           8
        .value_kind:     global_buffer
      - .actual_access:  read_only
        .address_space:  global
        .offset:         8
        .size:           8
        .value_kind:     global_buffer
      - .actual_access:  read_only
        .address_space:  global
        .offset:         16
        .size:           8
        .value_kind:     global_buffer
      - .offset:         24
        .size:           4
        .value_kind:     by_value
      - .offset:         28
        .size:           4
        .value_kind:     by_value
      - .actual_access:  read_only
        .address_space:  global
        .offset:         32
        .size:           8
        .value_kind:     global_buffer
      - .actual_access:  read_only
        .address_space:  global
        .offset:         40
        .size:           8
        .value_kind:     global_buffer
      - .actual_access:  read_only
        .address_space:  global
        .offset:         48
        .size:           8
        .value_kind:     global_buffer
      - .offset:         56
        .size:           4
        .value_kind:     by_value
      - .actual_access:  read_only
        .address_space:  global
        .offset:         64
        .size:           8
        .value_kind:     global_buffer
      - .offset:         72
        .size:           4
        .value_kind:     by_value
      - .offset:         76
        .size:           4
        .value_kind:     by_value
      - .offset:         80
        .size:           4
        .value_kind:     by_value
      - .actual_access:  write_only
        .address_space:  global
        .offset:         88
        .size:           8
        .value_kind:     global_buffer
      - .actual_access:  write_only
        .address_space:  global
        .offset:         96
        .size:           8
        .value_kind:     global_buffer
      - .actual_access:  write_only
        .address_space:  global
        .offset:         104
        .size:           8
        .value_kind:     global_buffer
      - .actual_access:  read_only
        .address_space:  global
        .offset:         112
        .size:           8
        .value_kind:     global_buffer
      - .offset:         120
        .size:           4
        .value_kind:     by_value
      - .address_space:  global
        .offset:         128
        .size:           8
        .value_kind:     global_buffer
      - .address_space:  global
        .offset:         136
        .size:           8
        .value_kind:     global_buffer
      - .offset:         144
        .size:           4
        .value_kind:     hidden_block_count_x
      - .offset:         148
        .size:           4
        .value_kind:     hidden_block_count_y
      - .offset:         152
        .size:           4
        .value_kind:     hidden_block_count_z
      - .offset:         156
        .size:           2
        .value_kind:     hidden_group_size_x
      - .offset:         158
        .size:           2
        .value_kind:     hidden_group_size_y
      - .offset:         160
        .size:           2
        .value_kind:     hidden_group_size_z
      - .offset:         162
        .size:           2
        .value_kind:     hidden_remainder_x
      - .offset:         164
        .size:           2
        .value_kind:     hidden_remainder_y
      - .offset:         166
        .size:           2
        .value_kind:     hidden_remainder_z
      - .offset:         184
        .size:           8
        .value_kind:     hidden_global_offset_x
      - .offset:         192
        .size:           8
        .value_kind:     hidden_global_offset_y
      - .offset:         200
        .size:           8
        .value_kind:     hidden_global_offset_z
      - .offset:         208
        .size:           2
        .value_kind:     hidden_grid_dims
    .group_segment_fixed_size: 8192
    .kernarg_segment_align: 8
    .kernarg_segment_size: 400
    .language:       OpenCL C
    .language_version:
      - 2
      - 0
    .max_flat_workgroup_size: 256
    .name:           _Z39paged_attention_ll4mi_QKV_mfma16_kernelI14__hip_bfloat16hLN4vllm18Fp8KVCacheDataTypeE1ES0_Li16ELi64ELi256ELb0ELi10EL8MFMAType0EEvPKT_PKT0_S9_ifPKiSB_SB_iPKfiiiPfSE_PS4_PT2_iSD_SD_
    .private_segment_fixed_size: 0
    .sgpr_count:     51
    .sgpr_spill_count: 0
    .symbol:         _Z39paged_attention_ll4mi_QKV_mfma16_kernelI14__hip_bfloat16hLN4vllm18Fp8KVCacheDataTypeE1ES0_Li16ELi64ELi256ELb0ELi10EL8MFMAType0EEvPKT_PKT0_S9_ifPKiSB_SB_iPKfiiiPfSE_PS4_PT2_iSD_SD_.kd
    .uniform_work_group_size: 1
    .uses_dynamic_stack: false
    .vgpr_count:     61
    .vgpr_spill_count: 0
    .wavefront_size: 64
  - .agpr_count:     0
    .args:
      - .actual_access:  read_only
        .address_space:  global
        .offset:         0
        .size:           8
        .value_kind:     global_buffer
      - .actual_access:  read_only
        .address_space:  global
        .offset:         8
        .size:           8
        .value_kind:     global_buffer
      - .actual_access:  read_only
        .address_space:  global
        .offset:         16
        .size:           8
        .value_kind:     global_buffer
      - .offset:         24
        .size:           4
        .value_kind:     by_value
      - .offset:         28
        .size:           4
        .value_kind:     by_value
      - .actual_access:  read_only
        .address_space:  global
        .offset:         32
        .size:           8
        .value_kind:     global_buffer
      - .actual_access:  read_only
        .address_space:  global
        .offset:         40
        .size:           8
        .value_kind:     global_buffer
      - .actual_access:  read_only
        .address_space:  global
        .offset:         48
        .size:           8
        .value_kind:     global_buffer
      - .offset:         56
        .size:           4
        .value_kind:     by_value
      - .actual_access:  read_only
        .address_space:  global
        .offset:         64
        .size:           8
        .value_kind:     global_buffer
      - .offset:         72
        .size:           4
        .value_kind:     by_value
      - .offset:         76
        .size:           4
        .value_kind:     by_value
      - .offset:         80
        .size:           4
        .value_kind:     by_value
      - .actual_access:  write_only
        .address_space:  global
        .offset:         88
        .size:           8
        .value_kind:     global_buffer
      - .actual_access:  write_only
        .address_space:  global
        .offset:         96
        .size:           8
        .value_kind:     global_buffer
      - .actual_access:  write_only
        .address_space:  global
        .offset:         104
        .size:           8
        .value_kind:     global_buffer
      - .actual_access:  read_only
        .address_space:  global
        .offset:         112
        .size:           8
        .value_kind:     global_buffer
      - .offset:         120
        .size:           4
        .value_kind:     by_value
      - .address_space:  global
        .offset:         128
        .size:           8
        .value_kind:     global_buffer
      - .address_space:  global
        .offset:         136
        .size:           8
        .value_kind:     global_buffer
      - .offset:         144
        .size:           4
        .value_kind:     hidden_block_count_x
      - .offset:         148
        .size:           4
        .value_kind:     hidden_block_count_y
      - .offset:         152
        .size:           4
        .value_kind:     hidden_block_count_z
      - .offset:         156
        .size:           2
        .value_kind:     hidden_group_size_x
      - .offset:         158
        .size:           2
        .value_kind:     hidden_group_size_y
      - .offset:         160
        .size:           2
        .value_kind:     hidden_group_size_z
      - .offset:         162
        .size:           2
        .value_kind:     hidden_remainder_x
      - .offset:         164
        .size:           2
        .value_kind:     hidden_remainder_y
      - .offset:         166
        .size:           2
        .value_kind:     hidden_remainder_z
      - .offset:         184
        .size:           8
        .value_kind:     hidden_global_offset_x
      - .offset:         192
        .size:           8
        .value_kind:     hidden_global_offset_y
      - .offset:         200
        .size:           8
        .value_kind:     hidden_global_offset_z
      - .offset:         208
        .size:           2
        .value_kind:     hidden_grid_dims
    .group_segment_fixed_size: 8192
    .kernarg_segment_align: 8
    .kernarg_segment_size: 400
    .language:       OpenCL C
    .language_version:
      - 2
      - 0
    .max_flat_workgroup_size: 256
    .name:           _Z39paged_attention_ll4mi_QKV_mfma16_kernelI14__hip_bfloat16hLN4vllm18Fp8KVCacheDataTypeE1ES0_Li16ELi64ELi256ELb0ELi11EL8MFMAType0EEvPKT_PKT0_S9_ifPKiSB_SB_iPKfiiiPfSE_PS4_PT2_iSD_SD_
    .private_segment_fixed_size: 0
    .sgpr_count:     51
    .sgpr_spill_count: 0
    .symbol:         _Z39paged_attention_ll4mi_QKV_mfma16_kernelI14__hip_bfloat16hLN4vllm18Fp8KVCacheDataTypeE1ES0_Li16ELi64ELi256ELb0ELi11EL8MFMAType0EEvPKT_PKT0_S9_ifPKiSB_SB_iPKfiiiPfSE_PS4_PT2_iSD_SD_.kd
    .uniform_work_group_size: 1
    .uses_dynamic_stack: false
    .vgpr_count:     61
    .vgpr_spill_count: 0
    .wavefront_size: 64
  - .agpr_count:     0
    .args:
      - .actual_access:  read_only
        .address_space:  global
        .offset:         0
        .size:           8
        .value_kind:     global_buffer
      - .actual_access:  read_only
        .address_space:  global
        .offset:         8
        .size:           8
        .value_kind:     global_buffer
      - .actual_access:  read_only
        .address_space:  global
        .offset:         16
        .size:           8
        .value_kind:     global_buffer
      - .offset:         24
        .size:           4
        .value_kind:     by_value
      - .offset:         28
        .size:           4
        .value_kind:     by_value
      - .actual_access:  read_only
        .address_space:  global
        .offset:         32
        .size:           8
        .value_kind:     global_buffer
      - .actual_access:  read_only
        .address_space:  global
        .offset:         40
        .size:           8
        .value_kind:     global_buffer
      - .actual_access:  read_only
        .address_space:  global
        .offset:         48
        .size:           8
        .value_kind:     global_buffer
      - .offset:         56
        .size:           4
        .value_kind:     by_value
      - .actual_access:  read_only
        .address_space:  global
        .offset:         64
        .size:           8
        .value_kind:     global_buffer
      - .offset:         72
        .size:           4
        .value_kind:     by_value
      - .offset:         76
        .size:           4
        .value_kind:     by_value
      - .offset:         80
        .size:           4
        .value_kind:     by_value
      - .actual_access:  write_only
        .address_space:  global
        .offset:         88
        .size:           8
        .value_kind:     global_buffer
      - .actual_access:  write_only
        .address_space:  global
        .offset:         96
        .size:           8
        .value_kind:     global_buffer
      - .actual_access:  write_only
        .address_space:  global
        .offset:         104
        .size:           8
        .value_kind:     global_buffer
      - .actual_access:  read_only
        .address_space:  global
        .offset:         112
        .size:           8
        .value_kind:     global_buffer
      - .offset:         120
        .size:           4
        .value_kind:     by_value
      - .address_space:  global
        .offset:         128
        .size:           8
        .value_kind:     global_buffer
      - .address_space:  global
        .offset:         136
        .size:           8
        .value_kind:     global_buffer
      - .offset:         144
        .size:           4
        .value_kind:     hidden_block_count_x
      - .offset:         148
        .size:           4
        .value_kind:     hidden_block_count_y
      - .offset:         152
        .size:           4
        .value_kind:     hidden_block_count_z
      - .offset:         156
        .size:           2
        .value_kind:     hidden_group_size_x
      - .offset:         158
        .size:           2
        .value_kind:     hidden_group_size_y
      - .offset:         160
        .size:           2
        .value_kind:     hidden_group_size_z
      - .offset:         162
        .size:           2
        .value_kind:     hidden_remainder_x
      - .offset:         164
        .size:           2
        .value_kind:     hidden_remainder_y
      - .offset:         166
        .size:           2
        .value_kind:     hidden_remainder_z
      - .offset:         184
        .size:           8
        .value_kind:     hidden_global_offset_x
      - .offset:         192
        .size:           8
        .value_kind:     hidden_global_offset_y
      - .offset:         200
        .size:           8
        .value_kind:     hidden_global_offset_z
      - .offset:         208
        .size:           2
        .value_kind:     hidden_grid_dims
    .group_segment_fixed_size: 8192
    .kernarg_segment_align: 8
    .kernarg_segment_size: 400
    .language:       OpenCL C
    .language_version:
      - 2
      - 0
    .max_flat_workgroup_size: 256
    .name:           _Z39paged_attention_ll4mi_QKV_mfma16_kernelI14__hip_bfloat16hLN4vllm18Fp8KVCacheDataTypeE1ES0_Li16ELi64ELi256ELb0ELi12EL8MFMAType0EEvPKT_PKT0_S9_ifPKiSB_SB_iPKfiiiPfSE_PS4_PT2_iSD_SD_
    .private_segment_fixed_size: 0
    .sgpr_count:     51
    .sgpr_spill_count: 0
    .symbol:         _Z39paged_attention_ll4mi_QKV_mfma16_kernelI14__hip_bfloat16hLN4vllm18Fp8KVCacheDataTypeE1ES0_Li16ELi64ELi256ELb0ELi12EL8MFMAType0EEvPKT_PKT0_S9_ifPKiSB_SB_iPKfiiiPfSE_PS4_PT2_iSD_SD_.kd
    .uniform_work_group_size: 1
    .uses_dynamic_stack: false
    .vgpr_count:     61
    .vgpr_spill_count: 0
    .wavefront_size: 64
  - .agpr_count:     0
    .args:
      - .actual_access:  read_only
        .address_space:  global
        .offset:         0
        .size:           8
        .value_kind:     global_buffer
      - .actual_access:  read_only
        .address_space:  global
        .offset:         8
        .size:           8
        .value_kind:     global_buffer
      - .actual_access:  read_only
        .address_space:  global
        .offset:         16
        .size:           8
        .value_kind:     global_buffer
      - .offset:         24
        .size:           4
        .value_kind:     by_value
      - .offset:         28
        .size:           4
        .value_kind:     by_value
      - .actual_access:  read_only
        .address_space:  global
        .offset:         32
        .size:           8
        .value_kind:     global_buffer
      - .actual_access:  read_only
        .address_space:  global
        .offset:         40
        .size:           8
        .value_kind:     global_buffer
      - .actual_access:  read_only
        .address_space:  global
        .offset:         48
        .size:           8
        .value_kind:     global_buffer
      - .offset:         56
        .size:           4
        .value_kind:     by_value
      - .actual_access:  read_only
        .address_space:  global
        .offset:         64
        .size:           8
        .value_kind:     global_buffer
      - .offset:         72
        .size:           4
        .value_kind:     by_value
      - .offset:         76
        .size:           4
        .value_kind:     by_value
      - .offset:         80
        .size:           4
        .value_kind:     by_value
      - .actual_access:  write_only
        .address_space:  global
        .offset:         88
        .size:           8
        .value_kind:     global_buffer
      - .actual_access:  write_only
        .address_space:  global
        .offset:         96
        .size:           8
        .value_kind:     global_buffer
      - .actual_access:  write_only
        .address_space:  global
        .offset:         104
        .size:           8
        .value_kind:     global_buffer
      - .actual_access:  read_only
        .address_space:  global
        .offset:         112
        .size:           8
        .value_kind:     global_buffer
      - .offset:         120
        .size:           4
        .value_kind:     by_value
      - .address_space:  global
        .offset:         128
        .size:           8
        .value_kind:     global_buffer
      - .address_space:  global
        .offset:         136
        .size:           8
        .value_kind:     global_buffer
      - .offset:         144
        .size:           4
        .value_kind:     hidden_block_count_x
      - .offset:         148
        .size:           4
        .value_kind:     hidden_block_count_y
      - .offset:         152
        .size:           4
        .value_kind:     hidden_block_count_z
      - .offset:         156
        .size:           2
        .value_kind:     hidden_group_size_x
      - .offset:         158
        .size:           2
        .value_kind:     hidden_group_size_y
      - .offset:         160
        .size:           2
        .value_kind:     hidden_group_size_z
      - .offset:         162
        .size:           2
        .value_kind:     hidden_remainder_x
      - .offset:         164
        .size:           2
        .value_kind:     hidden_remainder_y
      - .offset:         166
        .size:           2
        .value_kind:     hidden_remainder_z
      - .offset:         184
        .size:           8
        .value_kind:     hidden_global_offset_x
      - .offset:         192
        .size:           8
        .value_kind:     hidden_global_offset_y
      - .offset:         200
        .size:           8
        .value_kind:     hidden_global_offset_z
      - .offset:         208
        .size:           2
        .value_kind:     hidden_grid_dims
    .group_segment_fixed_size: 8192
    .kernarg_segment_align: 8
    .kernarg_segment_size: 400
    .language:       OpenCL C
    .language_version:
      - 2
      - 0
    .max_flat_workgroup_size: 256
    .name:           _Z39paged_attention_ll4mi_QKV_mfma16_kernelI14__hip_bfloat16hLN4vllm18Fp8KVCacheDataTypeE1ES0_Li16ELi64ELi256ELb0ELi13EL8MFMAType0EEvPKT_PKT0_S9_ifPKiSB_SB_iPKfiiiPfSE_PS4_PT2_iSD_SD_
    .private_segment_fixed_size: 0
    .sgpr_count:     51
    .sgpr_spill_count: 0
    .symbol:         _Z39paged_attention_ll4mi_QKV_mfma16_kernelI14__hip_bfloat16hLN4vllm18Fp8KVCacheDataTypeE1ES0_Li16ELi64ELi256ELb0ELi13EL8MFMAType0EEvPKT_PKT0_S9_ifPKiSB_SB_iPKfiiiPfSE_PS4_PT2_iSD_SD_.kd
    .uniform_work_group_size: 1
    .uses_dynamic_stack: false
    .vgpr_count:     61
    .vgpr_spill_count: 0
    .wavefront_size: 64
  - .agpr_count:     0
    .args:
      - .actual_access:  read_only
        .address_space:  global
        .offset:         0
        .size:           8
        .value_kind:     global_buffer
      - .actual_access:  read_only
        .address_space:  global
        .offset:         8
        .size:           8
        .value_kind:     global_buffer
      - .actual_access:  read_only
        .address_space:  global
        .offset:         16
        .size:           8
        .value_kind:     global_buffer
      - .offset:         24
        .size:           4
        .value_kind:     by_value
      - .offset:         28
        .size:           4
        .value_kind:     by_value
      - .actual_access:  read_only
        .address_space:  global
        .offset:         32
        .size:           8
        .value_kind:     global_buffer
      - .actual_access:  read_only
        .address_space:  global
        .offset:         40
        .size:           8
        .value_kind:     global_buffer
      - .actual_access:  read_only
        .address_space:  global
        .offset:         48
        .size:           8
        .value_kind:     global_buffer
      - .offset:         56
        .size:           4
        .value_kind:     by_value
      - .actual_access:  read_only
        .address_space:  global
        .offset:         64
        .size:           8
        .value_kind:     global_buffer
      - .offset:         72
        .size:           4
        .value_kind:     by_value
      - .offset:         76
        .size:           4
        .value_kind:     by_value
      - .offset:         80
        .size:           4
        .value_kind:     by_value
      - .actual_access:  write_only
        .address_space:  global
        .offset:         88
        .size:           8
        .value_kind:     global_buffer
      - .actual_access:  write_only
        .address_space:  global
        .offset:         96
        .size:           8
        .value_kind:     global_buffer
      - .actual_access:  write_only
        .address_space:  global
        .offset:         104
        .size:           8
        .value_kind:     global_buffer
      - .actual_access:  read_only
        .address_space:  global
        .offset:         112
        .size:           8
        .value_kind:     global_buffer
      - .offset:         120
        .size:           4
        .value_kind:     by_value
      - .address_space:  global
        .offset:         128
        .size:           8
        .value_kind:     global_buffer
      - .address_space:  global
        .offset:         136
        .size:           8
        .value_kind:     global_buffer
      - .offset:         144
        .size:           4
        .value_kind:     hidden_block_count_x
      - .offset:         148
        .size:           4
        .value_kind:     hidden_block_count_y
      - .offset:         152
        .size:           4
        .value_kind:     hidden_block_count_z
      - .offset:         156
        .size:           2
        .value_kind:     hidden_group_size_x
      - .offset:         158
        .size:           2
        .value_kind:     hidden_group_size_y
      - .offset:         160
        .size:           2
        .value_kind:     hidden_group_size_z
      - .offset:         162
        .size:           2
        .value_kind:     hidden_remainder_x
      - .offset:         164
        .size:           2
        .value_kind:     hidden_remainder_y
      - .offset:         166
        .size:           2
        .value_kind:     hidden_remainder_z
      - .offset:         184
        .size:           8
        .value_kind:     hidden_global_offset_x
      - .offset:         192
        .size:           8
        .value_kind:     hidden_global_offset_y
      - .offset:         200
        .size:           8
        .value_kind:     hidden_global_offset_z
      - .offset:         208
        .size:           2
        .value_kind:     hidden_grid_dims
    .group_segment_fixed_size: 8192
    .kernarg_segment_align: 8
    .kernarg_segment_size: 400
    .language:       OpenCL C
    .language_version:
      - 2
      - 0
    .max_flat_workgroup_size: 256
    .name:           _Z39paged_attention_ll4mi_QKV_mfma16_kernelI14__hip_bfloat16hLN4vllm18Fp8KVCacheDataTypeE1ES0_Li16ELi64ELi256ELb0ELi14EL8MFMAType0EEvPKT_PKT0_S9_ifPKiSB_SB_iPKfiiiPfSE_PS4_PT2_iSD_SD_
    .private_segment_fixed_size: 0
    .sgpr_count:     51
    .sgpr_spill_count: 0
    .symbol:         _Z39paged_attention_ll4mi_QKV_mfma16_kernelI14__hip_bfloat16hLN4vllm18Fp8KVCacheDataTypeE1ES0_Li16ELi64ELi256ELb0ELi14EL8MFMAType0EEvPKT_PKT0_S9_ifPKiSB_SB_iPKfiiiPfSE_PS4_PT2_iSD_SD_.kd
    .uniform_work_group_size: 1
    .uses_dynamic_stack: false
    .vgpr_count:     61
    .vgpr_spill_count: 0
    .wavefront_size: 64
  - .agpr_count:     0
    .args:
      - .actual_access:  read_only
        .address_space:  global
        .offset:         0
        .size:           8
        .value_kind:     global_buffer
      - .actual_access:  read_only
        .address_space:  global
        .offset:         8
        .size:           8
        .value_kind:     global_buffer
      - .actual_access:  read_only
        .address_space:  global
        .offset:         16
        .size:           8
        .value_kind:     global_buffer
      - .offset:         24
        .size:           4
        .value_kind:     by_value
      - .offset:         28
        .size:           4
        .value_kind:     by_value
      - .actual_access:  read_only
        .address_space:  global
        .offset:         32
        .size:           8
        .value_kind:     global_buffer
      - .actual_access:  read_only
        .address_space:  global
        .offset:         40
        .size:           8
        .value_kind:     global_buffer
      - .actual_access:  read_only
        .address_space:  global
        .offset:         48
        .size:           8
        .value_kind:     global_buffer
      - .offset:         56
        .size:           4
        .value_kind:     by_value
      - .actual_access:  read_only
        .address_space:  global
        .offset:         64
        .size:           8
        .value_kind:     global_buffer
      - .offset:         72
        .size:           4
        .value_kind:     by_value
      - .offset:         76
        .size:           4
        .value_kind:     by_value
      - .offset:         80
        .size:           4
        .value_kind:     by_value
      - .actual_access:  write_only
        .address_space:  global
        .offset:         88
        .size:           8
        .value_kind:     global_buffer
      - .actual_access:  write_only
        .address_space:  global
        .offset:         96
        .size:           8
        .value_kind:     global_buffer
      - .actual_access:  write_only
        .address_space:  global
        .offset:         104
        .size:           8
        .value_kind:     global_buffer
      - .actual_access:  read_only
        .address_space:  global
        .offset:         112
        .size:           8
        .value_kind:     global_buffer
      - .offset:         120
        .size:           4
        .value_kind:     by_value
      - .address_space:  global
        .offset:         128
        .size:           8
        .value_kind:     global_buffer
      - .address_space:  global
        .offset:         136
        .size:           8
        .value_kind:     global_buffer
      - .offset:         144
        .size:           4
        .value_kind:     hidden_block_count_x
      - .offset:         148
        .size:           4
        .value_kind:     hidden_block_count_y
      - .offset:         152
        .size:           4
        .value_kind:     hidden_block_count_z
      - .offset:         156
        .size:           2
        .value_kind:     hidden_group_size_x
      - .offset:         158
        .size:           2
        .value_kind:     hidden_group_size_y
      - .offset:         160
        .size:           2
        .value_kind:     hidden_group_size_z
      - .offset:         162
        .size:           2
        .value_kind:     hidden_remainder_x
      - .offset:         164
        .size:           2
        .value_kind:     hidden_remainder_y
      - .offset:         166
        .size:           2
        .value_kind:     hidden_remainder_z
      - .offset:         184
        .size:           8
        .value_kind:     hidden_global_offset_x
      - .offset:         192
        .size:           8
        .value_kind:     hidden_global_offset_y
      - .offset:         200
        .size:           8
        .value_kind:     hidden_global_offset_z
      - .offset:         208
        .size:           2
        .value_kind:     hidden_grid_dims
    .group_segment_fixed_size: 8192
    .kernarg_segment_align: 8
    .kernarg_segment_size: 400
    .language:       OpenCL C
    .language_version:
      - 2
      - 0
    .max_flat_workgroup_size: 256
    .name:           _Z39paged_attention_ll4mi_QKV_mfma16_kernelI14__hip_bfloat16hLN4vllm18Fp8KVCacheDataTypeE1ES0_Li16ELi64ELi256ELb0ELi15EL8MFMAType0EEvPKT_PKT0_S9_ifPKiSB_SB_iPKfiiiPfSE_PS4_PT2_iSD_SD_
    .private_segment_fixed_size: 0
    .sgpr_count:     51
    .sgpr_spill_count: 0
    .symbol:         _Z39paged_attention_ll4mi_QKV_mfma16_kernelI14__hip_bfloat16hLN4vllm18Fp8KVCacheDataTypeE1ES0_Li16ELi64ELi256ELb0ELi15EL8MFMAType0EEvPKT_PKT0_S9_ifPKiSB_SB_iPKfiiiPfSE_PS4_PT2_iSD_SD_.kd
    .uniform_work_group_size: 1
    .uses_dynamic_stack: false
    .vgpr_count:     61
    .vgpr_spill_count: 0
    .wavefront_size: 64
  - .agpr_count:     0
    .args:
      - .actual_access:  read_only
        .address_space:  global
        .offset:         0
        .size:           8
        .value_kind:     global_buffer
      - .actual_access:  read_only
        .address_space:  global
        .offset:         8
        .size:           8
        .value_kind:     global_buffer
      - .actual_access:  read_only
        .address_space:  global
        .offset:         16
        .size:           8
        .value_kind:     global_buffer
      - .offset:         24
        .size:           4
        .value_kind:     by_value
      - .offset:         28
        .size:           4
        .value_kind:     by_value
      - .actual_access:  read_only
        .address_space:  global
        .offset:         32
        .size:           8
        .value_kind:     global_buffer
      - .actual_access:  read_only
        .address_space:  global
        .offset:         40
        .size:           8
        .value_kind:     global_buffer
      - .actual_access:  read_only
        .address_space:  global
        .offset:         48
        .size:           8
        .value_kind:     global_buffer
      - .offset:         56
        .size:           4
        .value_kind:     by_value
      - .actual_access:  read_only
        .address_space:  global
        .offset:         64
        .size:           8
        .value_kind:     global_buffer
      - .offset:         72
        .size:           4
        .value_kind:     by_value
      - .offset:         76
        .size:           4
        .value_kind:     by_value
      - .offset:         80
        .size:           4
        .value_kind:     by_value
      - .actual_access:  write_only
        .address_space:  global
        .offset:         88
        .size:           8
        .value_kind:     global_buffer
      - .actual_access:  write_only
        .address_space:  global
        .offset:         96
        .size:           8
        .value_kind:     global_buffer
      - .actual_access:  write_only
        .address_space:  global
        .offset:         104
        .size:           8
        .value_kind:     global_buffer
      - .actual_access:  read_only
        .address_space:  global
        .offset:         112
        .size:           8
        .value_kind:     global_buffer
      - .offset:         120
        .size:           4
        .value_kind:     by_value
      - .address_space:  global
        .offset:         128
        .size:           8
        .value_kind:     global_buffer
      - .address_space:  global
        .offset:         136
        .size:           8
        .value_kind:     global_buffer
      - .offset:         144
        .size:           4
        .value_kind:     hidden_block_count_x
      - .offset:         148
        .size:           4
        .value_kind:     hidden_block_count_y
      - .offset:         152
        .size:           4
        .value_kind:     hidden_block_count_z
      - .offset:         156
        .size:           2
        .value_kind:     hidden_group_size_x
      - .offset:         158
        .size:           2
        .value_kind:     hidden_group_size_y
      - .offset:         160
        .size:           2
        .value_kind:     hidden_group_size_z
      - .offset:         162
        .size:           2
        .value_kind:     hidden_remainder_x
      - .offset:         164
        .size:           2
        .value_kind:     hidden_remainder_y
      - .offset:         166
        .size:           2
        .value_kind:     hidden_remainder_z
      - .offset:         184
        .size:           8
        .value_kind:     hidden_global_offset_x
      - .offset:         192
        .size:           8
        .value_kind:     hidden_global_offset_y
      - .offset:         200
        .size:           8
        .value_kind:     hidden_global_offset_z
      - .offset:         208
        .size:           2
        .value_kind:     hidden_grid_dims
    .group_segment_fixed_size: 8192
    .kernarg_segment_align: 8
    .kernarg_segment_size: 400
    .language:       OpenCL C
    .language_version:
      - 2
      - 0
    .max_flat_workgroup_size: 256
    .name:           _Z39paged_attention_ll4mi_QKV_mfma16_kernelI14__hip_bfloat16hLN4vllm18Fp8KVCacheDataTypeE1ES0_Li16ELi64ELi256ELb0ELi16EL8MFMAType0EEvPKT_PKT0_S9_ifPKiSB_SB_iPKfiiiPfSE_PS4_PT2_iSD_SD_
    .private_segment_fixed_size: 0
    .sgpr_count:     51
    .sgpr_spill_count: 0
    .symbol:         _Z39paged_attention_ll4mi_QKV_mfma16_kernelI14__hip_bfloat16hLN4vllm18Fp8KVCacheDataTypeE1ES0_Li16ELi64ELi256ELb0ELi16EL8MFMAType0EEvPKT_PKT0_S9_ifPKiSB_SB_iPKfiiiPfSE_PS4_PT2_iSD_SD_.kd
    .uniform_work_group_size: 1
    .uses_dynamic_stack: false
    .vgpr_count:     63
    .vgpr_spill_count: 0
    .wavefront_size: 64
  - .agpr_count:     0
    .args:
      - .actual_access:  read_only
        .address_space:  global
        .offset:         0
        .size:           8
        .value_kind:     global_buffer
      - .actual_access:  read_only
        .address_space:  global
        .offset:         8
        .size:           8
        .value_kind:     global_buffer
      - .actual_access:  read_only
        .address_space:  global
        .offset:         16
        .size:           8
        .value_kind:     global_buffer
      - .offset:         24
        .size:           4
        .value_kind:     by_value
      - .offset:         28
        .size:           4
        .value_kind:     by_value
      - .actual_access:  read_only
        .address_space:  global
        .offset:         32
        .size:           8
        .value_kind:     global_buffer
      - .actual_access:  read_only
        .address_space:  global
        .offset:         40
        .size:           8
        .value_kind:     global_buffer
      - .actual_access:  read_only
        .address_space:  global
        .offset:         48
        .size:           8
        .value_kind:     global_buffer
      - .offset:         56
        .size:           4
        .value_kind:     by_value
      - .actual_access:  read_only
        .address_space:  global
        .offset:         64
        .size:           8
        .value_kind:     global_buffer
      - .offset:         72
        .size:           4
        .value_kind:     by_value
      - .offset:         76
        .size:           4
        .value_kind:     by_value
      - .offset:         80
        .size:           4
        .value_kind:     by_value
      - .actual_access:  write_only
        .address_space:  global
        .offset:         88
        .size:           8
        .value_kind:     global_buffer
      - .actual_access:  write_only
        .address_space:  global
        .offset:         96
        .size:           8
        .value_kind:     global_buffer
      - .actual_access:  write_only
        .address_space:  global
        .offset:         104
        .size:           8
        .value_kind:     global_buffer
      - .actual_access:  read_only
        .address_space:  global
        .offset:         112
        .size:           8
        .value_kind:     global_buffer
      - .offset:         120
        .size:           4
        .value_kind:     by_value
      - .address_space:  global
        .offset:         128
        .size:           8
        .value_kind:     global_buffer
      - .address_space:  global
        .offset:         136
        .size:           8
        .value_kind:     global_buffer
      - .offset:         144
        .size:           4
        .value_kind:     hidden_block_count_x
      - .offset:         148
        .size:           4
        .value_kind:     hidden_block_count_y
      - .offset:         152
        .size:           4
        .value_kind:     hidden_block_count_z
      - .offset:         156
        .size:           2
        .value_kind:     hidden_group_size_x
      - .offset:         158
        .size:           2
        .value_kind:     hidden_group_size_y
      - .offset:         160
        .size:           2
        .value_kind:     hidden_group_size_z
      - .offset:         162
        .size:           2
        .value_kind:     hidden_remainder_x
      - .offset:         164
        .size:           2
        .value_kind:     hidden_remainder_y
      - .offset:         166
        .size:           2
        .value_kind:     hidden_remainder_z
      - .offset:         184
        .size:           8
        .value_kind:     hidden_global_offset_x
      - .offset:         192
        .size:           8
        .value_kind:     hidden_global_offset_y
      - .offset:         200
        .size:           8
        .value_kind:     hidden_global_offset_z
      - .offset:         208
        .size:           2
        .value_kind:     hidden_grid_dims
    .group_segment_fixed_size: 8192
    .kernarg_segment_align: 8
    .kernarg_segment_size: 400
    .language:       OpenCL C
    .language_version:
      - 2
      - 0
    .max_flat_workgroup_size: 256
    .name:           _Z39paged_attention_ll4mi_QKV_mfma16_kernelI14__hip_bfloat16hLN4vllm18Fp8KVCacheDataTypeE1ES0_Li16ELi64ELi256ELb0ELi1EL8MFMAType0EEvPKT_PKT0_S9_ifPKiSB_SB_iPKfiiiPfSE_PS4_PT2_iSD_SD_
    .private_segment_fixed_size: 0
    .sgpr_count:     51
    .sgpr_spill_count: 0
    .symbol:         _Z39paged_attention_ll4mi_QKV_mfma16_kernelI14__hip_bfloat16hLN4vllm18Fp8KVCacheDataTypeE1ES0_Li16ELi64ELi256ELb0ELi1EL8MFMAType0EEvPKT_PKT0_S9_ifPKiSB_SB_iPKfiiiPfSE_PS4_PT2_iSD_SD_.kd
    .uniform_work_group_size: 1
    .uses_dynamic_stack: false
    .vgpr_count:     61
    .vgpr_spill_count: 0
    .wavefront_size: 64
  - .agpr_count:     0
    .args:
      - .actual_access:  read_only
        .address_space:  global
        .offset:         0
        .size:           8
        .value_kind:     global_buffer
      - .actual_access:  read_only
        .address_space:  global
        .offset:         8
        .size:           8
        .value_kind:     global_buffer
      - .actual_access:  read_only
        .address_space:  global
        .offset:         16
        .size:           8
        .value_kind:     global_buffer
      - .offset:         24
        .size:           4
        .value_kind:     by_value
      - .offset:         28
        .size:           4
        .value_kind:     by_value
      - .actual_access:  read_only
        .address_space:  global
        .offset:         32
        .size:           8
        .value_kind:     global_buffer
      - .actual_access:  read_only
        .address_space:  global
        .offset:         40
        .size:           8
        .value_kind:     global_buffer
      - .actual_access:  read_only
        .address_space:  global
        .offset:         48
        .size:           8
        .value_kind:     global_buffer
      - .offset:         56
        .size:           4
        .value_kind:     by_value
      - .actual_access:  read_only
        .address_space:  global
        .offset:         64
        .size:           8
        .value_kind:     global_buffer
      - .offset:         72
        .size:           4
        .value_kind:     by_value
      - .offset:         76
        .size:           4
        .value_kind:     by_value
      - .offset:         80
        .size:           4
        .value_kind:     by_value
      - .actual_access:  write_only
        .address_space:  global
        .offset:         88
        .size:           8
        .value_kind:     global_buffer
      - .actual_access:  write_only
        .address_space:  global
        .offset:         96
        .size:           8
        .value_kind:     global_buffer
      - .actual_access:  write_only
        .address_space:  global
        .offset:         104
        .size:           8
        .value_kind:     global_buffer
      - .actual_access:  read_only
        .address_space:  global
        .offset:         112
        .size:           8
        .value_kind:     global_buffer
      - .offset:         120
        .size:           4
        .value_kind:     by_value
      - .address_space:  global
        .offset:         128
        .size:           8
        .value_kind:     global_buffer
      - .address_space:  global
        .offset:         136
        .size:           8
        .value_kind:     global_buffer
      - .offset:         144
        .size:           4
        .value_kind:     hidden_block_count_x
      - .offset:         148
        .size:           4
        .value_kind:     hidden_block_count_y
      - .offset:         152
        .size:           4
        .value_kind:     hidden_block_count_z
      - .offset:         156
        .size:           2
        .value_kind:     hidden_group_size_x
      - .offset:         158
        .size:           2
        .value_kind:     hidden_group_size_y
      - .offset:         160
        .size:           2
        .value_kind:     hidden_group_size_z
      - .offset:         162
        .size:           2
        .value_kind:     hidden_remainder_x
      - .offset:         164
        .size:           2
        .value_kind:     hidden_remainder_y
      - .offset:         166
        .size:           2
        .value_kind:     hidden_remainder_z
      - .offset:         184
        .size:           8
        .value_kind:     hidden_global_offset_x
      - .offset:         192
        .size:           8
        .value_kind:     hidden_global_offset_y
      - .offset:         200
        .size:           8
        .value_kind:     hidden_global_offset_z
      - .offset:         208
        .size:           2
        .value_kind:     hidden_grid_dims
    .group_segment_fixed_size: 8192
    .kernarg_segment_align: 8
    .kernarg_segment_size: 400
    .language:       OpenCL C
    .language_version:
      - 2
      - 0
    .max_flat_workgroup_size: 256
    .name:           _Z39paged_attention_ll4mi_QKV_mfma16_kernelI14__hip_bfloat16hLN4vllm18Fp8KVCacheDataTypeE1ES0_Li16ELi64ELi256ELb0ELi2EL8MFMAType0EEvPKT_PKT0_S9_ifPKiSB_SB_iPKfiiiPfSE_PS4_PT2_iSD_SD_
    .private_segment_fixed_size: 0
    .sgpr_count:     51
    .sgpr_spill_count: 0
    .symbol:         _Z39paged_attention_ll4mi_QKV_mfma16_kernelI14__hip_bfloat16hLN4vllm18Fp8KVCacheDataTypeE1ES0_Li16ELi64ELi256ELb0ELi2EL8MFMAType0EEvPKT_PKT0_S9_ifPKiSB_SB_iPKfiiiPfSE_PS4_PT2_iSD_SD_.kd
    .uniform_work_group_size: 1
    .uses_dynamic_stack: false
    .vgpr_count:     61
    .vgpr_spill_count: 0
    .wavefront_size: 64
  - .agpr_count:     0
    .args:
      - .actual_access:  read_only
        .address_space:  global
        .offset:         0
        .size:           8
        .value_kind:     global_buffer
      - .actual_access:  read_only
        .address_space:  global
        .offset:         8
        .size:           8
        .value_kind:     global_buffer
      - .actual_access:  read_only
        .address_space:  global
        .offset:         16
        .size:           8
        .value_kind:     global_buffer
      - .offset:         24
        .size:           4
        .value_kind:     by_value
      - .offset:         28
        .size:           4
        .value_kind:     by_value
      - .actual_access:  read_only
        .address_space:  global
        .offset:         32
        .size:           8
        .value_kind:     global_buffer
      - .actual_access:  read_only
        .address_space:  global
        .offset:         40
        .size:           8
        .value_kind:     global_buffer
      - .actual_access:  read_only
        .address_space:  global
        .offset:         48
        .size:           8
        .value_kind:     global_buffer
      - .offset:         56
        .size:           4
        .value_kind:     by_value
      - .actual_access:  read_only
        .address_space:  global
        .offset:         64
        .size:           8
        .value_kind:     global_buffer
      - .offset:         72
        .size:           4
        .value_kind:     by_value
      - .offset:         76
        .size:           4
        .value_kind:     by_value
      - .offset:         80
        .size:           4
        .value_kind:     by_value
      - .actual_access:  write_only
        .address_space:  global
        .offset:         88
        .size:           8
        .value_kind:     global_buffer
      - .actual_access:  write_only
        .address_space:  global
        .offset:         96
        .size:           8
        .value_kind:     global_buffer
      - .actual_access:  write_only
        .address_space:  global
        .offset:         104
        .size:           8
        .value_kind:     global_buffer
      - .actual_access:  read_only
        .address_space:  global
        .offset:         112
        .size:           8
        .value_kind:     global_buffer
      - .offset:         120
        .size:           4
        .value_kind:     by_value
      - .address_space:  global
        .offset:         128
        .size:           8
        .value_kind:     global_buffer
      - .address_space:  global
        .offset:         136
        .size:           8
        .value_kind:     global_buffer
      - .offset:         144
        .size:           4
        .value_kind:     hidden_block_count_x
      - .offset:         148
        .size:           4
        .value_kind:     hidden_block_count_y
      - .offset:         152
        .size:           4
        .value_kind:     hidden_block_count_z
      - .offset:         156
        .size:           2
        .value_kind:     hidden_group_size_x
      - .offset:         158
        .size:           2
        .value_kind:     hidden_group_size_y
      - .offset:         160
        .size:           2
        .value_kind:     hidden_group_size_z
      - .offset:         162
        .size:           2
        .value_kind:     hidden_remainder_x
      - .offset:         164
        .size:           2
        .value_kind:     hidden_remainder_y
      - .offset:         166
        .size:           2
        .value_kind:     hidden_remainder_z
      - .offset:         184
        .size:           8
        .value_kind:     hidden_global_offset_x
      - .offset:         192
        .size:           8
        .value_kind:     hidden_global_offset_y
      - .offset:         200
        .size:           8
        .value_kind:     hidden_global_offset_z
      - .offset:         208
        .size:           2
        .value_kind:     hidden_grid_dims
    .group_segment_fixed_size: 8192
    .kernarg_segment_align: 8
    .kernarg_segment_size: 400
    .language:       OpenCL C
    .language_version:
      - 2
      - 0
    .max_flat_workgroup_size: 256
    .name:           _Z39paged_attention_ll4mi_QKV_mfma16_kernelI14__hip_bfloat16hLN4vllm18Fp8KVCacheDataTypeE1ES0_Li16ELi64ELi256ELb0ELi3EL8MFMAType0EEvPKT_PKT0_S9_ifPKiSB_SB_iPKfiiiPfSE_PS4_PT2_iSD_SD_
    .private_segment_fixed_size: 0
    .sgpr_count:     51
    .sgpr_spill_count: 0
    .symbol:         _Z39paged_attention_ll4mi_QKV_mfma16_kernelI14__hip_bfloat16hLN4vllm18Fp8KVCacheDataTypeE1ES0_Li16ELi64ELi256ELb0ELi3EL8MFMAType0EEvPKT_PKT0_S9_ifPKiSB_SB_iPKfiiiPfSE_PS4_PT2_iSD_SD_.kd
    .uniform_work_group_size: 1
    .uses_dynamic_stack: false
    .vgpr_count:     62
    .vgpr_spill_count: 0
    .wavefront_size: 64
  - .agpr_count:     0
    .args:
      - .actual_access:  read_only
        .address_space:  global
        .offset:         0
        .size:           8
        .value_kind:     global_buffer
      - .actual_access:  read_only
        .address_space:  global
        .offset:         8
        .size:           8
        .value_kind:     global_buffer
      - .actual_access:  read_only
        .address_space:  global
        .offset:         16
        .size:           8
        .value_kind:     global_buffer
      - .offset:         24
        .size:           4
        .value_kind:     by_value
      - .offset:         28
        .size:           4
        .value_kind:     by_value
      - .actual_access:  read_only
        .address_space:  global
        .offset:         32
        .size:           8
        .value_kind:     global_buffer
      - .actual_access:  read_only
        .address_space:  global
        .offset:         40
        .size:           8
        .value_kind:     global_buffer
      - .actual_access:  read_only
        .address_space:  global
        .offset:         48
        .size:           8
        .value_kind:     global_buffer
      - .offset:         56
        .size:           4
        .value_kind:     by_value
      - .actual_access:  read_only
        .address_space:  global
        .offset:         64
        .size:           8
        .value_kind:     global_buffer
      - .offset:         72
        .size:           4
        .value_kind:     by_value
      - .offset:         76
        .size:           4
        .value_kind:     by_value
      - .offset:         80
        .size:           4
        .value_kind:     by_value
      - .actual_access:  write_only
        .address_space:  global
        .offset:         88
        .size:           8
        .value_kind:     global_buffer
      - .actual_access:  write_only
        .address_space:  global
        .offset:         96
        .size:           8
        .value_kind:     global_buffer
      - .actual_access:  write_only
        .address_space:  global
        .offset:         104
        .size:           8
        .value_kind:     global_buffer
      - .actual_access:  read_only
        .address_space:  global
        .offset:         112
        .size:           8
        .value_kind:     global_buffer
      - .offset:         120
        .size:           4
        .value_kind:     by_value
      - .address_space:  global
        .offset:         128
        .size:           8
        .value_kind:     global_buffer
      - .address_space:  global
        .offset:         136
        .size:           8
        .value_kind:     global_buffer
      - .offset:         144
        .size:           4
        .value_kind:     hidden_block_count_x
      - .offset:         148
        .size:           4
        .value_kind:     hidden_block_count_y
      - .offset:         152
        .size:           4
        .value_kind:     hidden_block_count_z
      - .offset:         156
        .size:           2
        .value_kind:     hidden_group_size_x
      - .offset:         158
        .size:           2
        .value_kind:     hidden_group_size_y
      - .offset:         160
        .size:           2
        .value_kind:     hidden_group_size_z
      - .offset:         162
        .size:           2
        .value_kind:     hidden_remainder_x
      - .offset:         164
        .size:           2
        .value_kind:     hidden_remainder_y
      - .offset:         166
        .size:           2
        .value_kind:     hidden_remainder_z
      - .offset:         184
        .size:           8
        .value_kind:     hidden_global_offset_x
      - .offset:         192
        .size:           8
        .value_kind:     hidden_global_offset_y
      - .offset:         200
        .size:           8
        .value_kind:     hidden_global_offset_z
      - .offset:         208
        .size:           2
        .value_kind:     hidden_grid_dims
    .group_segment_fixed_size: 8192
    .kernarg_segment_align: 8
    .kernarg_segment_size: 400
    .language:       OpenCL C
    .language_version:
      - 2
      - 0
    .max_flat_workgroup_size: 256
    .name:           _Z39paged_attention_ll4mi_QKV_mfma16_kernelI14__hip_bfloat16hLN4vllm18Fp8KVCacheDataTypeE1ES0_Li16ELi64ELi256ELb0ELi4EL8MFMAType0EEvPKT_PKT0_S9_ifPKiSB_SB_iPKfiiiPfSE_PS4_PT2_iSD_SD_
    .private_segment_fixed_size: 0
    .sgpr_count:     52
    .sgpr_spill_count: 0
    .symbol:         _Z39paged_attention_ll4mi_QKV_mfma16_kernelI14__hip_bfloat16hLN4vllm18Fp8KVCacheDataTypeE1ES0_Li16ELi64ELi256ELb0ELi4EL8MFMAType0EEvPKT_PKT0_S9_ifPKiSB_SB_iPKfiiiPfSE_PS4_PT2_iSD_SD_.kd
    .uniform_work_group_size: 1
    .uses_dynamic_stack: false
    .vgpr_count:     63
    .vgpr_spill_count: 0
    .wavefront_size: 64
  - .agpr_count:     0
    .args:
      - .actual_access:  read_only
        .address_space:  global
        .offset:         0
        .size:           8
        .value_kind:     global_buffer
      - .actual_access:  read_only
        .address_space:  global
        .offset:         8
        .size:           8
        .value_kind:     global_buffer
      - .actual_access:  read_only
        .address_space:  global
        .offset:         16
        .size:           8
        .value_kind:     global_buffer
      - .offset:         24
        .size:           4
        .value_kind:     by_value
      - .offset:         28
        .size:           4
        .value_kind:     by_value
      - .actual_access:  read_only
        .address_space:  global
        .offset:         32
        .size:           8
        .value_kind:     global_buffer
      - .actual_access:  read_only
        .address_space:  global
        .offset:         40
        .size:           8
        .value_kind:     global_buffer
      - .actual_access:  read_only
        .address_space:  global
        .offset:         48
        .size:           8
        .value_kind:     global_buffer
      - .offset:         56
        .size:           4
        .value_kind:     by_value
      - .actual_access:  read_only
        .address_space:  global
        .offset:         64
        .size:           8
        .value_kind:     global_buffer
      - .offset:         72
        .size:           4
        .value_kind:     by_value
      - .offset:         76
        .size:           4
        .value_kind:     by_value
      - .offset:         80
        .size:           4
        .value_kind:     by_value
      - .actual_access:  write_only
        .address_space:  global
        .offset:         88
        .size:           8
        .value_kind:     global_buffer
      - .actual_access:  write_only
        .address_space:  global
        .offset:         96
        .size:           8
        .value_kind:     global_buffer
      - .actual_access:  write_only
        .address_space:  global
        .offset:         104
        .size:           8
        .value_kind:     global_buffer
      - .actual_access:  read_only
        .address_space:  global
        .offset:         112
        .size:           8
        .value_kind:     global_buffer
      - .offset:         120
        .size:           4
        .value_kind:     by_value
      - .address_space:  global
        .offset:         128
        .size:           8
        .value_kind:     global_buffer
      - .address_space:  global
        .offset:         136
        .size:           8
        .value_kind:     global_buffer
      - .offset:         144
        .size:           4
        .value_kind:     hidden_block_count_x
      - .offset:         148
        .size:           4
        .value_kind:     hidden_block_count_y
      - .offset:         152
        .size:           4
        .value_kind:     hidden_block_count_z
      - .offset:         156
        .size:           2
        .value_kind:     hidden_group_size_x
      - .offset:         158
        .size:           2
        .value_kind:     hidden_group_size_y
      - .offset:         160
        .size:           2
        .value_kind:     hidden_group_size_z
      - .offset:         162
        .size:           2
        .value_kind:     hidden_remainder_x
      - .offset:         164
        .size:           2
        .value_kind:     hidden_remainder_y
      - .offset:         166
        .size:           2
        .value_kind:     hidden_remainder_z
      - .offset:         184
        .size:           8
        .value_kind:     hidden_global_offset_x
      - .offset:         192
        .size:           8
        .value_kind:     hidden_global_offset_y
      - .offset:         200
        .size:           8
        .value_kind:     hidden_global_offset_z
      - .offset:         208
        .size:           2
        .value_kind:     hidden_grid_dims
    .group_segment_fixed_size: 8192
    .kernarg_segment_align: 8
    .kernarg_segment_size: 400
    .language:       OpenCL C
    .language_version:
      - 2
      - 0
    .max_flat_workgroup_size: 256
    .name:           _Z39paged_attention_ll4mi_QKV_mfma16_kernelI14__hip_bfloat16hLN4vllm18Fp8KVCacheDataTypeE1ES0_Li32ELi64ELi256ELb1ELi5EL8MFMAType0EEvPKT_PKT0_S9_ifPKiSB_SB_iPKfiiiPfSE_PS4_PT2_iSD_SD_
    .private_segment_fixed_size: 0
    .sgpr_count:     51
    .sgpr_spill_count: 0
    .symbol:         _Z39paged_attention_ll4mi_QKV_mfma16_kernelI14__hip_bfloat16hLN4vllm18Fp8KVCacheDataTypeE1ES0_Li32ELi64ELi256ELb1ELi5EL8MFMAType0EEvPKT_PKT0_S9_ifPKiSB_SB_iPKfiiiPfSE_PS4_PT2_iSD_SD_.kd
    .uniform_work_group_size: 1
    .uses_dynamic_stack: false
    .vgpr_count:     63
    .vgpr_spill_count: 0
    .wavefront_size: 64
  - .agpr_count:     0
    .args:
      - .actual_access:  read_only
        .address_space:  global
        .offset:         0
        .size:           8
        .value_kind:     global_buffer
      - .actual_access:  read_only
        .address_space:  global
        .offset:         8
        .size:           8
        .value_kind:     global_buffer
      - .actual_access:  read_only
        .address_space:  global
        .offset:         16
        .size:           8
        .value_kind:     global_buffer
      - .offset:         24
        .size:           4
        .value_kind:     by_value
      - .offset:         28
        .size:           4
        .value_kind:     by_value
      - .actual_access:  read_only
        .address_space:  global
        .offset:         32
        .size:           8
        .value_kind:     global_buffer
      - .actual_access:  read_only
        .address_space:  global
        .offset:         40
        .size:           8
        .value_kind:     global_buffer
      - .actual_access:  read_only
        .address_space:  global
        .offset:         48
        .size:           8
        .value_kind:     global_buffer
      - .offset:         56
        .size:           4
        .value_kind:     by_value
      - .actual_access:  read_only
        .address_space:  global
        .offset:         64
        .size:           8
        .value_kind:     global_buffer
      - .offset:         72
        .size:           4
        .value_kind:     by_value
      - .offset:         76
        .size:           4
        .value_kind:     by_value
      - .offset:         80
        .size:           4
        .value_kind:     by_value
      - .actual_access:  write_only
        .address_space:  global
        .offset:         88
        .size:           8
        .value_kind:     global_buffer
      - .actual_access:  write_only
        .address_space:  global
        .offset:         96
        .size:           8
        .value_kind:     global_buffer
      - .actual_access:  write_only
        .address_space:  global
        .offset:         104
        .size:           8
        .value_kind:     global_buffer
      - .actual_access:  read_only
        .address_space:  global
        .offset:         112
        .size:           8
        .value_kind:     global_buffer
      - .offset:         120
        .size:           4
        .value_kind:     by_value
      - .address_space:  global
        .offset:         128
        .size:           8
        .value_kind:     global_buffer
      - .address_space:  global
        .offset:         136
        .size:           8
        .value_kind:     global_buffer
      - .offset:         144
        .size:           4
        .value_kind:     hidden_block_count_x
      - .offset:         148
        .size:           4
        .value_kind:     hidden_block_count_y
      - .offset:         152
        .size:           4
        .value_kind:     hidden_block_count_z
      - .offset:         156
        .size:           2
        .value_kind:     hidden_group_size_x
      - .offset:         158
        .size:           2
        .value_kind:     hidden_group_size_y
      - .offset:         160
        .size:           2
        .value_kind:     hidden_group_size_z
      - .offset:         162
        .size:           2
        .value_kind:     hidden_remainder_x
      - .offset:         164
        .size:           2
        .value_kind:     hidden_remainder_y
      - .offset:         166
        .size:           2
        .value_kind:     hidden_remainder_z
      - .offset:         184
        .size:           8
        .value_kind:     hidden_global_offset_x
      - .offset:         192
        .size:           8
        .value_kind:     hidden_global_offset_y
      - .offset:         200
        .size:           8
        .value_kind:     hidden_global_offset_z
      - .offset:         208
        .size:           2
        .value_kind:     hidden_grid_dims
    .group_segment_fixed_size: 8192
    .kernarg_segment_align: 8
    .kernarg_segment_size: 400
    .language:       OpenCL C
    .language_version:
      - 2
      - 0
    .max_flat_workgroup_size: 256
    .name:           _Z39paged_attention_ll4mi_QKV_mfma16_kernelI14__hip_bfloat16hLN4vllm18Fp8KVCacheDataTypeE1ES0_Li32ELi64ELi256ELb1ELi6EL8MFMAType0EEvPKT_PKT0_S9_ifPKiSB_SB_iPKfiiiPfSE_PS4_PT2_iSD_SD_
    .private_segment_fixed_size: 0
    .sgpr_count:     51
    .sgpr_spill_count: 0
    .symbol:         _Z39paged_attention_ll4mi_QKV_mfma16_kernelI14__hip_bfloat16hLN4vllm18Fp8KVCacheDataTypeE1ES0_Li32ELi64ELi256ELb1ELi6EL8MFMAType0EEvPKT_PKT0_S9_ifPKiSB_SB_iPKfiiiPfSE_PS4_PT2_iSD_SD_.kd
    .uniform_work_group_size: 1
    .uses_dynamic_stack: false
    .vgpr_count:     63
    .vgpr_spill_count: 0
    .wavefront_size: 64
  - .agpr_count:     0
    .args:
      - .actual_access:  read_only
        .address_space:  global
        .offset:         0
        .size:           8
        .value_kind:     global_buffer
      - .actual_access:  read_only
        .address_space:  global
        .offset:         8
        .size:           8
        .value_kind:     global_buffer
      - .actual_access:  read_only
        .address_space:  global
        .offset:         16
        .size:           8
        .value_kind:     global_buffer
      - .offset:         24
        .size:           4
        .value_kind:     by_value
      - .offset:         28
        .size:           4
        .value_kind:     by_value
      - .actual_access:  read_only
        .address_space:  global
        .offset:         32
        .size:           8
        .value_kind:     global_buffer
      - .actual_access:  read_only
        .address_space:  global
        .offset:         40
        .size:           8
        .value_kind:     global_buffer
      - .actual_access:  read_only
        .address_space:  global
        .offset:         48
        .size:           8
        .value_kind:     global_buffer
      - .offset:         56
        .size:           4
        .value_kind:     by_value
      - .actual_access:  read_only
        .address_space:  global
        .offset:         64
        .size:           8
        .value_kind:     global_buffer
      - .offset:         72
        .size:           4
        .value_kind:     by_value
      - .offset:         76
        .size:           4
        .value_kind:     by_value
      - .offset:         80
        .size:           4
        .value_kind:     by_value
      - .actual_access:  write_only
        .address_space:  global
        .offset:         88
        .size:           8
        .value_kind:     global_buffer
      - .actual_access:  write_only
        .address_space:  global
        .offset:         96
        .size:           8
        .value_kind:     global_buffer
      - .actual_access:  write_only
        .address_space:  global
        .offset:         104
        .size:           8
        .value_kind:     global_buffer
      - .actual_access:  read_only
        .address_space:  global
        .offset:         112
        .size:           8
        .value_kind:     global_buffer
      - .offset:         120
        .size:           4
        .value_kind:     by_value
      - .address_space:  global
        .offset:         128
        .size:           8
        .value_kind:     global_buffer
      - .address_space:  global
        .offset:         136
        .size:           8
        .value_kind:     global_buffer
      - .offset:         144
        .size:           4
        .value_kind:     hidden_block_count_x
      - .offset:         148
        .size:           4
        .value_kind:     hidden_block_count_y
      - .offset:         152
        .size:           4
        .value_kind:     hidden_block_count_z
      - .offset:         156
        .size:           2
        .value_kind:     hidden_group_size_x
      - .offset:         158
        .size:           2
        .value_kind:     hidden_group_size_y
      - .offset:         160
        .size:           2
        .value_kind:     hidden_group_size_z
      - .offset:         162
        .size:           2
        .value_kind:     hidden_remainder_x
      - .offset:         164
        .size:           2
        .value_kind:     hidden_remainder_y
      - .offset:         166
        .size:           2
        .value_kind:     hidden_remainder_z
      - .offset:         184
        .size:           8
        .value_kind:     hidden_global_offset_x
      - .offset:         192
        .size:           8
        .value_kind:     hidden_global_offset_y
      - .offset:         200
        .size:           8
        .value_kind:     hidden_global_offset_z
      - .offset:         208
        .size:           2
        .value_kind:     hidden_grid_dims
    .group_segment_fixed_size: 8192
    .kernarg_segment_align: 8
    .kernarg_segment_size: 400
    .language:       OpenCL C
    .language_version:
      - 2
      - 0
    .max_flat_workgroup_size: 256
    .name:           _Z39paged_attention_ll4mi_QKV_mfma16_kernelI14__hip_bfloat16hLN4vllm18Fp8KVCacheDataTypeE1ES0_Li32ELi64ELi256ELb1ELi7EL8MFMAType0EEvPKT_PKT0_S9_ifPKiSB_SB_iPKfiiiPfSE_PS4_PT2_iSD_SD_
    .private_segment_fixed_size: 0
    .sgpr_count:     51
    .sgpr_spill_count: 0
    .symbol:         _Z39paged_attention_ll4mi_QKV_mfma16_kernelI14__hip_bfloat16hLN4vllm18Fp8KVCacheDataTypeE1ES0_Li32ELi64ELi256ELb1ELi7EL8MFMAType0EEvPKT_PKT0_S9_ifPKiSB_SB_iPKfiiiPfSE_PS4_PT2_iSD_SD_.kd
    .uniform_work_group_size: 1
    .uses_dynamic_stack: false
    .vgpr_count:     63
    .vgpr_spill_count: 0
    .wavefront_size: 64
  - .agpr_count:     0
    .args:
      - .actual_access:  read_only
        .address_space:  global
        .offset:         0
        .size:           8
        .value_kind:     global_buffer
      - .actual_access:  read_only
        .address_space:  global
        .offset:         8
        .size:           8
        .value_kind:     global_buffer
      - .actual_access:  read_only
        .address_space:  global
        .offset:         16
        .size:           8
        .value_kind:     global_buffer
      - .offset:         24
        .size:           4
        .value_kind:     by_value
      - .offset:         28
        .size:           4
        .value_kind:     by_value
      - .actual_access:  read_only
        .address_space:  global
        .offset:         32
        .size:           8
        .value_kind:     global_buffer
      - .actual_access:  read_only
        .address_space:  global
        .offset:         40
        .size:           8
        .value_kind:     global_buffer
      - .actual_access:  read_only
        .address_space:  global
        .offset:         48
        .size:           8
        .value_kind:     global_buffer
      - .offset:         56
        .size:           4
        .value_kind:     by_value
      - .actual_access:  read_only
        .address_space:  global
        .offset:         64
        .size:           8
        .value_kind:     global_buffer
      - .offset:         72
        .size:           4
        .value_kind:     by_value
      - .offset:         76
        .size:           4
        .value_kind:     by_value
      - .offset:         80
        .size:           4
        .value_kind:     by_value
      - .actual_access:  write_only
        .address_space:  global
        .offset:         88
        .size:           8
        .value_kind:     global_buffer
      - .actual_access:  write_only
        .address_space:  global
        .offset:         96
        .size:           8
        .value_kind:     global_buffer
      - .actual_access:  write_only
        .address_space:  global
        .offset:         104
        .size:           8
        .value_kind:     global_buffer
      - .actual_access:  read_only
        .address_space:  global
        .offset:         112
        .size:           8
        .value_kind:     global_buffer
      - .offset:         120
        .size:           4
        .value_kind:     by_value
      - .address_space:  global
        .offset:         128
        .size:           8
        .value_kind:     global_buffer
      - .address_space:  global
        .offset:         136
        .size:           8
        .value_kind:     global_buffer
      - .offset:         144
        .size:           4
        .value_kind:     hidden_block_count_x
      - .offset:         148
        .size:           4
        .value_kind:     hidden_block_count_y
      - .offset:         152
        .size:           4
        .value_kind:     hidden_block_count_z
      - .offset:         156
        .size:           2
        .value_kind:     hidden_group_size_x
      - .offset:         158
        .size:           2
        .value_kind:     hidden_group_size_y
      - .offset:         160
        .size:           2
        .value_kind:     hidden_group_size_z
      - .offset:         162
        .size:           2
        .value_kind:     hidden_remainder_x
      - .offset:         164
        .size:           2
        .value_kind:     hidden_remainder_y
      - .offset:         166
        .size:           2
        .value_kind:     hidden_remainder_z
      - .offset:         184
        .size:           8
        .value_kind:     hidden_global_offset_x
      - .offset:         192
        .size:           8
        .value_kind:     hidden_global_offset_y
      - .offset:         200
        .size:           8
        .value_kind:     hidden_global_offset_z
      - .offset:         208
        .size:           2
        .value_kind:     hidden_grid_dims
    .group_segment_fixed_size: 8192
    .kernarg_segment_align: 8
    .kernarg_segment_size: 400
    .language:       OpenCL C
    .language_version:
      - 2
      - 0
    .max_flat_workgroup_size: 256
    .name:           _Z39paged_attention_ll4mi_QKV_mfma16_kernelI14__hip_bfloat16hLN4vllm18Fp8KVCacheDataTypeE1ES0_Li32ELi64ELi256ELb1ELi8EL8MFMAType0EEvPKT_PKT0_S9_ifPKiSB_SB_iPKfiiiPfSE_PS4_PT2_iSD_SD_
    .private_segment_fixed_size: 0
    .sgpr_count:     51
    .sgpr_spill_count: 0
    .symbol:         _Z39paged_attention_ll4mi_QKV_mfma16_kernelI14__hip_bfloat16hLN4vllm18Fp8KVCacheDataTypeE1ES0_Li32ELi64ELi256ELb1ELi8EL8MFMAType0EEvPKT_PKT0_S9_ifPKiSB_SB_iPKfiiiPfSE_PS4_PT2_iSD_SD_.kd
    .uniform_work_group_size: 1
    .uses_dynamic_stack: false
    .vgpr_count:     63
    .vgpr_spill_count: 0
    .wavefront_size: 64
  - .agpr_count:     0
    .args:
      - .actual_access:  read_only
        .address_space:  global
        .offset:         0
        .size:           8
        .value_kind:     global_buffer
      - .actual_access:  read_only
        .address_space:  global
        .offset:         8
        .size:           8
        .value_kind:     global_buffer
      - .actual_access:  read_only
        .address_space:  global
        .offset:         16
        .size:           8
        .value_kind:     global_buffer
      - .offset:         24
        .size:           4
        .value_kind:     by_value
      - .offset:         28
        .size:           4
        .value_kind:     by_value
      - .actual_access:  read_only
        .address_space:  global
        .offset:         32
        .size:           8
        .value_kind:     global_buffer
      - .actual_access:  read_only
        .address_space:  global
        .offset:         40
        .size:           8
        .value_kind:     global_buffer
      - .actual_access:  read_only
        .address_space:  global
        .offset:         48
        .size:           8
        .value_kind:     global_buffer
      - .offset:         56
        .size:           4
        .value_kind:     by_value
      - .actual_access:  read_only
        .address_space:  global
        .offset:         64
        .size:           8
        .value_kind:     global_buffer
      - .offset:         72
        .size:           4
        .value_kind:     by_value
      - .offset:         76
        .size:           4
        .value_kind:     by_value
      - .offset:         80
        .size:           4
        .value_kind:     by_value
      - .actual_access:  write_only
        .address_space:  global
        .offset:         88
        .size:           8
        .value_kind:     global_buffer
      - .actual_access:  write_only
        .address_space:  global
        .offset:         96
        .size:           8
        .value_kind:     global_buffer
      - .actual_access:  write_only
        .address_space:  global
        .offset:         104
        .size:           8
        .value_kind:     global_buffer
      - .actual_access:  read_only
        .address_space:  global
        .offset:         112
        .size:           8
        .value_kind:     global_buffer
      - .offset:         120
        .size:           4
        .value_kind:     by_value
      - .address_space:  global
        .offset:         128
        .size:           8
        .value_kind:     global_buffer
      - .address_space:  global
        .offset:         136
        .size:           8
        .value_kind:     global_buffer
      - .offset:         144
        .size:           4
        .value_kind:     hidden_block_count_x
      - .offset:         148
        .size:           4
        .value_kind:     hidden_block_count_y
      - .offset:         152
        .size:           4
        .value_kind:     hidden_block_count_z
      - .offset:         156
        .size:           2
        .value_kind:     hidden_group_size_x
      - .offset:         158
        .size:           2
        .value_kind:     hidden_group_size_y
      - .offset:         160
        .size:           2
        .value_kind:     hidden_group_size_z
      - .offset:         162
        .size:           2
        .value_kind:     hidden_remainder_x
      - .offset:         164
        .size:           2
        .value_kind:     hidden_remainder_y
      - .offset:         166
        .size:           2
        .value_kind:     hidden_remainder_z
      - .offset:         184
        .size:           8
        .value_kind:     hidden_global_offset_x
      - .offset:         192
        .size:           8
        .value_kind:     hidden_global_offset_y
      - .offset:         200
        .size:           8
        .value_kind:     hidden_global_offset_z
      - .offset:         208
        .size:           2
        .value_kind:     hidden_grid_dims
    .group_segment_fixed_size: 8192
    .kernarg_segment_align: 8
    .kernarg_segment_size: 400
    .language:       OpenCL C
    .language_version:
      - 2
      - 0
    .max_flat_workgroup_size: 256
    .name:           _Z39paged_attention_ll4mi_QKV_mfma16_kernelI14__hip_bfloat16hLN4vllm18Fp8KVCacheDataTypeE1ES0_Li32ELi64ELi256ELb1ELi9EL8MFMAType0EEvPKT_PKT0_S9_ifPKiSB_SB_iPKfiiiPfSE_PS4_PT2_iSD_SD_
    .private_segment_fixed_size: 0
    .sgpr_count:     51
    .sgpr_spill_count: 0
    .symbol:         _Z39paged_attention_ll4mi_QKV_mfma16_kernelI14__hip_bfloat16hLN4vllm18Fp8KVCacheDataTypeE1ES0_Li32ELi64ELi256ELb1ELi9EL8MFMAType0EEvPKT_PKT0_S9_ifPKiSB_SB_iPKfiiiPfSE_PS4_PT2_iSD_SD_.kd
    .uniform_work_group_size: 1
    .uses_dynamic_stack: false
    .vgpr_count:     63
    .vgpr_spill_count: 0
    .wavefront_size: 64
  - .agpr_count:     0
    .args:
      - .actual_access:  read_only
        .address_space:  global
        .offset:         0
        .size:           8
        .value_kind:     global_buffer
      - .actual_access:  read_only
        .address_space:  global
        .offset:         8
        .size:           8
        .value_kind:     global_buffer
      - .actual_access:  read_only
        .address_space:  global
        .offset:         16
        .size:           8
        .value_kind:     global_buffer
      - .offset:         24
        .size:           4
        .value_kind:     by_value
      - .offset:         28
        .size:           4
        .value_kind:     by_value
      - .actual_access:  read_only
        .address_space:  global
        .offset:         32
        .size:           8
        .value_kind:     global_buffer
      - .actual_access:  read_only
        .address_space:  global
        .offset:         40
        .size:           8
        .value_kind:     global_buffer
      - .actual_access:  read_only
        .address_space:  global
        .offset:         48
        .size:           8
        .value_kind:     global_buffer
      - .offset:         56
        .size:           4
        .value_kind:     by_value
      - .actual_access:  read_only
        .address_space:  global
        .offset:         64
        .size:           8
        .value_kind:     global_buffer
      - .offset:         72
        .size:           4
        .value_kind:     by_value
      - .offset:         76
        .size:           4
        .value_kind:     by_value
      - .offset:         80
        .size:           4
        .value_kind:     by_value
      - .actual_access:  write_only
        .address_space:  global
        .offset:         88
        .size:           8
        .value_kind:     global_buffer
      - .actual_access:  write_only
        .address_space:  global
        .offset:         96
        .size:           8
        .value_kind:     global_buffer
      - .actual_access:  write_only
        .address_space:  global
        .offset:         104
        .size:           8
        .value_kind:     global_buffer
      - .actual_access:  read_only
        .address_space:  global
        .offset:         112
        .size:           8
        .value_kind:     global_buffer
      - .offset:         120
        .size:           4
        .value_kind:     by_value
      - .address_space:  global
        .offset:         128
        .size:           8
        .value_kind:     global_buffer
      - .address_space:  global
        .offset:         136
        .size:           8
        .value_kind:     global_buffer
      - .offset:         144
        .size:           4
        .value_kind:     hidden_block_count_x
      - .offset:         148
        .size:           4
        .value_kind:     hidden_block_count_y
      - .offset:         152
        .size:           4
        .value_kind:     hidden_block_count_z
      - .offset:         156
        .size:           2
        .value_kind:     hidden_group_size_x
      - .offset:         158
        .size:           2
        .value_kind:     hidden_group_size_y
      - .offset:         160
        .size:           2
        .value_kind:     hidden_group_size_z
      - .offset:         162
        .size:           2
        .value_kind:     hidden_remainder_x
      - .offset:         164
        .size:           2
        .value_kind:     hidden_remainder_y
      - .offset:         166
        .size:           2
        .value_kind:     hidden_remainder_z
      - .offset:         184
        .size:           8
        .value_kind:     hidden_global_offset_x
      - .offset:         192
        .size:           8
        .value_kind:     hidden_global_offset_y
      - .offset:         200
        .size:           8
        .value_kind:     hidden_global_offset_z
      - .offset:         208
        .size:           2
        .value_kind:     hidden_grid_dims
    .group_segment_fixed_size: 8192
    .kernarg_segment_align: 8
    .kernarg_segment_size: 400
    .language:       OpenCL C
    .language_version:
      - 2
      - 0
    .max_flat_workgroup_size: 256
    .name:           _Z39paged_attention_ll4mi_QKV_mfma16_kernelI14__hip_bfloat16hLN4vllm18Fp8KVCacheDataTypeE1ES0_Li32ELi64ELi256ELb1ELi10EL8MFMAType0EEvPKT_PKT0_S9_ifPKiSB_SB_iPKfiiiPfSE_PS4_PT2_iSD_SD_
    .private_segment_fixed_size: 0
    .sgpr_count:     51
    .sgpr_spill_count: 0
    .symbol:         _Z39paged_attention_ll4mi_QKV_mfma16_kernelI14__hip_bfloat16hLN4vllm18Fp8KVCacheDataTypeE1ES0_Li32ELi64ELi256ELb1ELi10EL8MFMAType0EEvPKT_PKT0_S9_ifPKiSB_SB_iPKfiiiPfSE_PS4_PT2_iSD_SD_.kd
    .uniform_work_group_size: 1
    .uses_dynamic_stack: false
    .vgpr_count:     63
    .vgpr_spill_count: 0
    .wavefront_size: 64
  - .agpr_count:     0
    .args:
      - .actual_access:  read_only
        .address_space:  global
        .offset:         0
        .size:           8
        .value_kind:     global_buffer
      - .actual_access:  read_only
        .address_space:  global
        .offset:         8
        .size:           8
        .value_kind:     global_buffer
      - .actual_access:  read_only
        .address_space:  global
        .offset:         16
        .size:           8
        .value_kind:     global_buffer
      - .offset:         24
        .size:           4
        .value_kind:     by_value
      - .offset:         28
        .size:           4
        .value_kind:     by_value
      - .actual_access:  read_only
        .address_space:  global
        .offset:         32
        .size:           8
        .value_kind:     global_buffer
      - .actual_access:  read_only
        .address_space:  global
        .offset:         40
        .size:           8
        .value_kind:     global_buffer
      - .actual_access:  read_only
        .address_space:  global
        .offset:         48
        .size:           8
        .value_kind:     global_buffer
      - .offset:         56
        .size:           4
        .value_kind:     by_value
      - .actual_access:  read_only
        .address_space:  global
        .offset:         64
        .size:           8
        .value_kind:     global_buffer
      - .offset:         72
        .size:           4
        .value_kind:     by_value
      - .offset:         76
        .size:           4
        .value_kind:     by_value
      - .offset:         80
        .size:           4
        .value_kind:     by_value
      - .actual_access:  write_only
        .address_space:  global
        .offset:         88
        .size:           8
        .value_kind:     global_buffer
      - .actual_access:  write_only
        .address_space:  global
        .offset:         96
        .size:           8
        .value_kind:     global_buffer
      - .actual_access:  write_only
        .address_space:  global
        .offset:         104
        .size:           8
        .value_kind:     global_buffer
      - .actual_access:  read_only
        .address_space:  global
        .offset:         112
        .size:           8
        .value_kind:     global_buffer
      - .offset:         120
        .size:           4
        .value_kind:     by_value
      - .address_space:  global
        .offset:         128
        .size:           8
        .value_kind:     global_buffer
      - .address_space:  global
        .offset:         136
        .size:           8
        .value_kind:     global_buffer
      - .offset:         144
        .size:           4
        .value_kind:     hidden_block_count_x
      - .offset:         148
        .size:           4
        .value_kind:     hidden_block_count_y
      - .offset:         152
        .size:           4
        .value_kind:     hidden_block_count_z
      - .offset:         156
        .size:           2
        .value_kind:     hidden_group_size_x
      - .offset:         158
        .size:           2
        .value_kind:     hidden_group_size_y
      - .offset:         160
        .size:           2
        .value_kind:     hidden_group_size_z
      - .offset:         162
        .size:           2
        .value_kind:     hidden_remainder_x
      - .offset:         164
        .size:           2
        .value_kind:     hidden_remainder_y
      - .offset:         166
        .size:           2
        .value_kind:     hidden_remainder_z
      - .offset:         184
        .size:           8
        .value_kind:     hidden_global_offset_x
      - .offset:         192
        .size:           8
        .value_kind:     hidden_global_offset_y
      - .offset:         200
        .size:           8
        .value_kind:     hidden_global_offset_z
      - .offset:         208
        .size:           2
        .value_kind:     hidden_grid_dims
    .group_segment_fixed_size: 8192
    .kernarg_segment_align: 8
    .kernarg_segment_size: 400
    .language:       OpenCL C
    .language_version:
      - 2
      - 0
    .max_flat_workgroup_size: 256
    .name:           _Z39paged_attention_ll4mi_QKV_mfma16_kernelI14__hip_bfloat16hLN4vllm18Fp8KVCacheDataTypeE1ES0_Li32ELi64ELi256ELb1ELi11EL8MFMAType0EEvPKT_PKT0_S9_ifPKiSB_SB_iPKfiiiPfSE_PS4_PT2_iSD_SD_
    .private_segment_fixed_size: 0
    .sgpr_count:     51
    .sgpr_spill_count: 0
    .symbol:         _Z39paged_attention_ll4mi_QKV_mfma16_kernelI14__hip_bfloat16hLN4vllm18Fp8KVCacheDataTypeE1ES0_Li32ELi64ELi256ELb1ELi11EL8MFMAType0EEvPKT_PKT0_S9_ifPKiSB_SB_iPKfiiiPfSE_PS4_PT2_iSD_SD_.kd
    .uniform_work_group_size: 1
    .uses_dynamic_stack: false
    .vgpr_count:     63
    .vgpr_spill_count: 0
    .wavefront_size: 64
  - .agpr_count:     0
    .args:
      - .actual_access:  read_only
        .address_space:  global
        .offset:         0
        .size:           8
        .value_kind:     global_buffer
      - .actual_access:  read_only
        .address_space:  global
        .offset:         8
        .size:           8
        .value_kind:     global_buffer
      - .actual_access:  read_only
        .address_space:  global
        .offset:         16
        .size:           8
        .value_kind:     global_buffer
      - .offset:         24
        .size:           4
        .value_kind:     by_value
      - .offset:         28
        .size:           4
        .value_kind:     by_value
      - .actual_access:  read_only
        .address_space:  global
        .offset:         32
        .size:           8
        .value_kind:     global_buffer
      - .actual_access:  read_only
        .address_space:  global
        .offset:         40
        .size:           8
        .value_kind:     global_buffer
      - .actual_access:  read_only
        .address_space:  global
        .offset:         48
        .size:           8
        .value_kind:     global_buffer
      - .offset:         56
        .size:           4
        .value_kind:     by_value
      - .actual_access:  read_only
        .address_space:  global
        .offset:         64
        .size:           8
        .value_kind:     global_buffer
      - .offset:         72
        .size:           4
        .value_kind:     by_value
      - .offset:         76
        .size:           4
        .value_kind:     by_value
      - .offset:         80
        .size:           4
        .value_kind:     by_value
      - .actual_access:  write_only
        .address_space:  global
        .offset:         88
        .size:           8
        .value_kind:     global_buffer
      - .actual_access:  write_only
        .address_space:  global
        .offset:         96
        .size:           8
        .value_kind:     global_buffer
      - .actual_access:  write_only
        .address_space:  global
        .offset:         104
        .size:           8
        .value_kind:     global_buffer
      - .actual_access:  read_only
        .address_space:  global
        .offset:         112
        .size:           8
        .value_kind:     global_buffer
      - .offset:         120
        .size:           4
        .value_kind:     by_value
      - .address_space:  global
        .offset:         128
        .size:           8
        .value_kind:     global_buffer
      - .address_space:  global
        .offset:         136
        .size:           8
        .value_kind:     global_buffer
      - .offset:         144
        .size:           4
        .value_kind:     hidden_block_count_x
      - .offset:         148
        .size:           4
        .value_kind:     hidden_block_count_y
      - .offset:         152
        .size:           4
        .value_kind:     hidden_block_count_z
      - .offset:         156
        .size:           2
        .value_kind:     hidden_group_size_x
      - .offset:         158
        .size:           2
        .value_kind:     hidden_group_size_y
      - .offset:         160
        .size:           2
        .value_kind:     hidden_group_size_z
      - .offset:         162
        .size:           2
        .value_kind:     hidden_remainder_x
      - .offset:         164
        .size:           2
        .value_kind:     hidden_remainder_y
      - .offset:         166
        .size:           2
        .value_kind:     hidden_remainder_z
      - .offset:         184
        .size:           8
        .value_kind:     hidden_global_offset_x
      - .offset:         192
        .size:           8
        .value_kind:     hidden_global_offset_y
      - .offset:         200
        .size:           8
        .value_kind:     hidden_global_offset_z
      - .offset:         208
        .size:           2
        .value_kind:     hidden_grid_dims
    .group_segment_fixed_size: 8192
    .kernarg_segment_align: 8
    .kernarg_segment_size: 400
    .language:       OpenCL C
    .language_version:
      - 2
      - 0
    .max_flat_workgroup_size: 256
    .name:           _Z39paged_attention_ll4mi_QKV_mfma16_kernelI14__hip_bfloat16hLN4vllm18Fp8KVCacheDataTypeE1ES0_Li32ELi64ELi256ELb1ELi12EL8MFMAType0EEvPKT_PKT0_S9_ifPKiSB_SB_iPKfiiiPfSE_PS4_PT2_iSD_SD_
    .private_segment_fixed_size: 0
    .sgpr_count:     51
    .sgpr_spill_count: 0
    .symbol:         _Z39paged_attention_ll4mi_QKV_mfma16_kernelI14__hip_bfloat16hLN4vllm18Fp8KVCacheDataTypeE1ES0_Li32ELi64ELi256ELb1ELi12EL8MFMAType0EEvPKT_PKT0_S9_ifPKiSB_SB_iPKfiiiPfSE_PS4_PT2_iSD_SD_.kd
    .uniform_work_group_size: 1
    .uses_dynamic_stack: false
    .vgpr_count:     63
    .vgpr_spill_count: 0
    .wavefront_size: 64
  - .agpr_count:     0
    .args:
      - .actual_access:  read_only
        .address_space:  global
        .offset:         0
        .size:           8
        .value_kind:     global_buffer
      - .actual_access:  read_only
        .address_space:  global
        .offset:         8
        .size:           8
        .value_kind:     global_buffer
      - .actual_access:  read_only
        .address_space:  global
        .offset:         16
        .size:           8
        .value_kind:     global_buffer
      - .offset:         24
        .size:           4
        .value_kind:     by_value
      - .offset:         28
        .size:           4
        .value_kind:     by_value
      - .actual_access:  read_only
        .address_space:  global
        .offset:         32
        .size:           8
        .value_kind:     global_buffer
      - .actual_access:  read_only
        .address_space:  global
        .offset:         40
        .size:           8
        .value_kind:     global_buffer
      - .actual_access:  read_only
        .address_space:  global
        .offset:         48
        .size:           8
        .value_kind:     global_buffer
      - .offset:         56
        .size:           4
        .value_kind:     by_value
      - .actual_access:  read_only
        .address_space:  global
        .offset:         64
        .size:           8
        .value_kind:     global_buffer
      - .offset:         72
        .size:           4
        .value_kind:     by_value
      - .offset:         76
        .size:           4
        .value_kind:     by_value
      - .offset:         80
        .size:           4
        .value_kind:     by_value
      - .actual_access:  write_only
        .address_space:  global
        .offset:         88
        .size:           8
        .value_kind:     global_buffer
      - .actual_access:  write_only
        .address_space:  global
        .offset:         96
        .size:           8
        .value_kind:     global_buffer
      - .actual_access:  write_only
        .address_space:  global
        .offset:         104
        .size:           8
        .value_kind:     global_buffer
      - .actual_access:  read_only
        .address_space:  global
        .offset:         112
        .size:           8
        .value_kind:     global_buffer
      - .offset:         120
        .size:           4
        .value_kind:     by_value
      - .address_space:  global
        .offset:         128
        .size:           8
        .value_kind:     global_buffer
      - .address_space:  global
        .offset:         136
        .size:           8
        .value_kind:     global_buffer
      - .offset:         144
        .size:           4
        .value_kind:     hidden_block_count_x
      - .offset:         148
        .size:           4
        .value_kind:     hidden_block_count_y
      - .offset:         152
        .size:           4
        .value_kind:     hidden_block_count_z
      - .offset:         156
        .size:           2
        .value_kind:     hidden_group_size_x
      - .offset:         158
        .size:           2
        .value_kind:     hidden_group_size_y
      - .offset:         160
        .size:           2
        .value_kind:     hidden_group_size_z
      - .offset:         162
        .size:           2
        .value_kind:     hidden_remainder_x
      - .offset:         164
        .size:           2
        .value_kind:     hidden_remainder_y
      - .offset:         166
        .size:           2
        .value_kind:     hidden_remainder_z
      - .offset:         184
        .size:           8
        .value_kind:     hidden_global_offset_x
      - .offset:         192
        .size:           8
        .value_kind:     hidden_global_offset_y
      - .offset:         200
        .size:           8
        .value_kind:     hidden_global_offset_z
      - .offset:         208
        .size:           2
        .value_kind:     hidden_grid_dims
    .group_segment_fixed_size: 8192
    .kernarg_segment_align: 8
    .kernarg_segment_size: 400
    .language:       OpenCL C
    .language_version:
      - 2
      - 0
    .max_flat_workgroup_size: 256
    .name:           _Z39paged_attention_ll4mi_QKV_mfma16_kernelI14__hip_bfloat16hLN4vllm18Fp8KVCacheDataTypeE1ES0_Li32ELi64ELi256ELb1ELi13EL8MFMAType0EEvPKT_PKT0_S9_ifPKiSB_SB_iPKfiiiPfSE_PS4_PT2_iSD_SD_
    .private_segment_fixed_size: 0
    .sgpr_count:     51
    .sgpr_spill_count: 0
    .symbol:         _Z39paged_attention_ll4mi_QKV_mfma16_kernelI14__hip_bfloat16hLN4vllm18Fp8KVCacheDataTypeE1ES0_Li32ELi64ELi256ELb1ELi13EL8MFMAType0EEvPKT_PKT0_S9_ifPKiSB_SB_iPKfiiiPfSE_PS4_PT2_iSD_SD_.kd
    .uniform_work_group_size: 1
    .uses_dynamic_stack: false
    .vgpr_count:     63
    .vgpr_spill_count: 0
    .wavefront_size: 64
  - .agpr_count:     0
    .args:
      - .actual_access:  read_only
        .address_space:  global
        .offset:         0
        .size:           8
        .value_kind:     global_buffer
      - .actual_access:  read_only
        .address_space:  global
        .offset:         8
        .size:           8
        .value_kind:     global_buffer
      - .actual_access:  read_only
        .address_space:  global
        .offset:         16
        .size:           8
        .value_kind:     global_buffer
      - .offset:         24
        .size:           4
        .value_kind:     by_value
      - .offset:         28
        .size:           4
        .value_kind:     by_value
      - .actual_access:  read_only
        .address_space:  global
        .offset:         32
        .size:           8
        .value_kind:     global_buffer
      - .actual_access:  read_only
        .address_space:  global
        .offset:         40
        .size:           8
        .value_kind:     global_buffer
      - .actual_access:  read_only
        .address_space:  global
        .offset:         48
        .size:           8
        .value_kind:     global_buffer
      - .offset:         56
        .size:           4
        .value_kind:     by_value
      - .actual_access:  read_only
        .address_space:  global
        .offset:         64
        .size:           8
        .value_kind:     global_buffer
      - .offset:         72
        .size:           4
        .value_kind:     by_value
      - .offset:         76
        .size:           4
        .value_kind:     by_value
      - .offset:         80
        .size:           4
        .value_kind:     by_value
      - .actual_access:  write_only
        .address_space:  global
        .offset:         88
        .size:           8
        .value_kind:     global_buffer
      - .actual_access:  write_only
        .address_space:  global
        .offset:         96
        .size:           8
        .value_kind:     global_buffer
      - .actual_access:  write_only
        .address_space:  global
        .offset:         104
        .size:           8
        .value_kind:     global_buffer
      - .actual_access:  read_only
        .address_space:  global
        .offset:         112
        .size:           8
        .value_kind:     global_buffer
      - .offset:         120
        .size:           4
        .value_kind:     by_value
      - .address_space:  global
        .offset:         128
        .size:           8
        .value_kind:     global_buffer
      - .address_space:  global
        .offset:         136
        .size:           8
        .value_kind:     global_buffer
      - .offset:         144
        .size:           4
        .value_kind:     hidden_block_count_x
      - .offset:         148
        .size:           4
        .value_kind:     hidden_block_count_y
      - .offset:         152
        .size:           4
        .value_kind:     hidden_block_count_z
      - .offset:         156
        .size:           2
        .value_kind:     hidden_group_size_x
      - .offset:         158
        .size:           2
        .value_kind:     hidden_group_size_y
      - .offset:         160
        .size:           2
        .value_kind:     hidden_group_size_z
      - .offset:         162
        .size:           2
        .value_kind:     hidden_remainder_x
      - .offset:         164
        .size:           2
        .value_kind:     hidden_remainder_y
      - .offset:         166
        .size:           2
        .value_kind:     hidden_remainder_z
      - .offset:         184
        .size:           8
        .value_kind:     hidden_global_offset_x
      - .offset:         192
        .size:           8
        .value_kind:     hidden_global_offset_y
      - .offset:         200
        .size:           8
        .value_kind:     hidden_global_offset_z
      - .offset:         208
        .size:           2
        .value_kind:     hidden_grid_dims
    .group_segment_fixed_size: 8192
    .kernarg_segment_align: 8
    .kernarg_segment_size: 400
    .language:       OpenCL C
    .language_version:
      - 2
      - 0
    .max_flat_workgroup_size: 256
    .name:           _Z39paged_attention_ll4mi_QKV_mfma16_kernelI14__hip_bfloat16hLN4vllm18Fp8KVCacheDataTypeE1ES0_Li32ELi64ELi256ELb1ELi14EL8MFMAType0EEvPKT_PKT0_S9_ifPKiSB_SB_iPKfiiiPfSE_PS4_PT2_iSD_SD_
    .private_segment_fixed_size: 0
    .sgpr_count:     51
    .sgpr_spill_count: 0
    .symbol:         _Z39paged_attention_ll4mi_QKV_mfma16_kernelI14__hip_bfloat16hLN4vllm18Fp8KVCacheDataTypeE1ES0_Li32ELi64ELi256ELb1ELi14EL8MFMAType0EEvPKT_PKT0_S9_ifPKiSB_SB_iPKfiiiPfSE_PS4_PT2_iSD_SD_.kd
    .uniform_work_group_size: 1
    .uses_dynamic_stack: false
    .vgpr_count:     63
    .vgpr_spill_count: 0
    .wavefront_size: 64
  - .agpr_count:     0
    .args:
      - .actual_access:  read_only
        .address_space:  global
        .offset:         0
        .size:           8
        .value_kind:     global_buffer
      - .actual_access:  read_only
        .address_space:  global
        .offset:         8
        .size:           8
        .value_kind:     global_buffer
      - .actual_access:  read_only
        .address_space:  global
        .offset:         16
        .size:           8
        .value_kind:     global_buffer
      - .offset:         24
        .size:           4
        .value_kind:     by_value
      - .offset:         28
        .size:           4
        .value_kind:     by_value
      - .actual_access:  read_only
        .address_space:  global
        .offset:         32
        .size:           8
        .value_kind:     global_buffer
      - .actual_access:  read_only
        .address_space:  global
        .offset:         40
        .size:           8
        .value_kind:     global_buffer
      - .actual_access:  read_only
        .address_space:  global
        .offset:         48
        .size:           8
        .value_kind:     global_buffer
      - .offset:         56
        .size:           4
        .value_kind:     by_value
      - .actual_access:  read_only
        .address_space:  global
        .offset:         64
        .size:           8
        .value_kind:     global_buffer
      - .offset:         72
        .size:           4
        .value_kind:     by_value
      - .offset:         76
        .size:           4
        .value_kind:     by_value
      - .offset:         80
        .size:           4
        .value_kind:     by_value
      - .actual_access:  write_only
        .address_space:  global
        .offset:         88
        .size:           8
        .value_kind:     global_buffer
      - .actual_access:  write_only
        .address_space:  global
        .offset:         96
        .size:           8
        .value_kind:     global_buffer
      - .actual_access:  write_only
        .address_space:  global
        .offset:         104
        .size:           8
        .value_kind:     global_buffer
      - .actual_access:  read_only
        .address_space:  global
        .offset:         112
        .size:           8
        .value_kind:     global_buffer
      - .offset:         120
        .size:           4
        .value_kind:     by_value
      - .address_space:  global
        .offset:         128
        .size:           8
        .value_kind:     global_buffer
      - .address_space:  global
        .offset:         136
        .size:           8
        .value_kind:     global_buffer
      - .offset:         144
        .size:           4
        .value_kind:     hidden_block_count_x
      - .offset:         148
        .size:           4
        .value_kind:     hidden_block_count_y
      - .offset:         152
        .size:           4
        .value_kind:     hidden_block_count_z
      - .offset:         156
        .size:           2
        .value_kind:     hidden_group_size_x
      - .offset:         158
        .size:           2
        .value_kind:     hidden_group_size_y
      - .offset:         160
        .size:           2
        .value_kind:     hidden_group_size_z
      - .offset:         162
        .size:           2
        .value_kind:     hidden_remainder_x
      - .offset:         164
        .size:           2
        .value_kind:     hidden_remainder_y
      - .offset:         166
        .size:           2
        .value_kind:     hidden_remainder_z
      - .offset:         184
        .size:           8
        .value_kind:     hidden_global_offset_x
      - .offset:         192
        .size:           8
        .value_kind:     hidden_global_offset_y
      - .offset:         200
        .size:           8
        .value_kind:     hidden_global_offset_z
      - .offset:         208
        .size:           2
        .value_kind:     hidden_grid_dims
    .group_segment_fixed_size: 8192
    .kernarg_segment_align: 8
    .kernarg_segment_size: 400
    .language:       OpenCL C
    .language_version:
      - 2
      - 0
    .max_flat_workgroup_size: 256
    .name:           _Z39paged_attention_ll4mi_QKV_mfma16_kernelI14__hip_bfloat16hLN4vllm18Fp8KVCacheDataTypeE1ES0_Li32ELi64ELi256ELb1ELi15EL8MFMAType0EEvPKT_PKT0_S9_ifPKiSB_SB_iPKfiiiPfSE_PS4_PT2_iSD_SD_
    .private_segment_fixed_size: 0
    .sgpr_count:     51
    .sgpr_spill_count: 0
    .symbol:         _Z39paged_attention_ll4mi_QKV_mfma16_kernelI14__hip_bfloat16hLN4vllm18Fp8KVCacheDataTypeE1ES0_Li32ELi64ELi256ELb1ELi15EL8MFMAType0EEvPKT_PKT0_S9_ifPKiSB_SB_iPKfiiiPfSE_PS4_PT2_iSD_SD_.kd
    .uniform_work_group_size: 1
    .uses_dynamic_stack: false
    .vgpr_count:     63
    .vgpr_spill_count: 0
    .wavefront_size: 64
  - .agpr_count:     0
    .args:
      - .actual_access:  read_only
        .address_space:  global
        .offset:         0
        .size:           8
        .value_kind:     global_buffer
      - .actual_access:  read_only
        .address_space:  global
        .offset:         8
        .size:           8
        .value_kind:     global_buffer
      - .actual_access:  read_only
        .address_space:  global
        .offset:         16
        .size:           8
        .value_kind:     global_buffer
      - .offset:         24
        .size:           4
        .value_kind:     by_value
      - .offset:         28
        .size:           4
        .value_kind:     by_value
      - .actual_access:  read_only
        .address_space:  global
        .offset:         32
        .size:           8
        .value_kind:     global_buffer
      - .actual_access:  read_only
        .address_space:  global
        .offset:         40
        .size:           8
        .value_kind:     global_buffer
      - .actual_access:  read_only
        .address_space:  global
        .offset:         48
        .size:           8
        .value_kind:     global_buffer
      - .offset:         56
        .size:           4
        .value_kind:     by_value
      - .actual_access:  read_only
        .address_space:  global
        .offset:         64
        .size:           8
        .value_kind:     global_buffer
      - .offset:         72
        .size:           4
        .value_kind:     by_value
      - .offset:         76
        .size:           4
        .value_kind:     by_value
      - .offset:         80
        .size:           4
        .value_kind:     by_value
      - .actual_access:  write_only
        .address_space:  global
        .offset:         88
        .size:           8
        .value_kind:     global_buffer
      - .actual_access:  write_only
        .address_space:  global
        .offset:         96
        .size:           8
        .value_kind:     global_buffer
      - .actual_access:  write_only
        .address_space:  global
        .offset:         104
        .size:           8
        .value_kind:     global_buffer
      - .actual_access:  read_only
        .address_space:  global
        .offset:         112
        .size:           8
        .value_kind:     global_buffer
      - .offset:         120
        .size:           4
        .value_kind:     by_value
      - .address_space:  global
        .offset:         128
        .size:           8
        .value_kind:     global_buffer
      - .address_space:  global
        .offset:         136
        .size:           8
        .value_kind:     global_buffer
      - .offset:         144
        .size:           4
        .value_kind:     hidden_block_count_x
      - .offset:         148
        .size:           4
        .value_kind:     hidden_block_count_y
      - .offset:         152
        .size:           4
        .value_kind:     hidden_block_count_z
      - .offset:         156
        .size:           2
        .value_kind:     hidden_group_size_x
      - .offset:         158
        .size:           2
        .value_kind:     hidden_group_size_y
      - .offset:         160
        .size:           2
        .value_kind:     hidden_group_size_z
      - .offset:         162
        .size:           2
        .value_kind:     hidden_remainder_x
      - .offset:         164
        .size:           2
        .value_kind:     hidden_remainder_y
      - .offset:         166
        .size:           2
        .value_kind:     hidden_remainder_z
      - .offset:         184
        .size:           8
        .value_kind:     hidden_global_offset_x
      - .offset:         192
        .size:           8
        .value_kind:     hidden_global_offset_y
      - .offset:         200
        .size:           8
        .value_kind:     hidden_global_offset_z
      - .offset:         208
        .size:           2
        .value_kind:     hidden_grid_dims
    .group_segment_fixed_size: 8192
    .kernarg_segment_align: 8
    .kernarg_segment_size: 400
    .language:       OpenCL C
    .language_version:
      - 2
      - 0
    .max_flat_workgroup_size: 256
    .name:           _Z39paged_attention_ll4mi_QKV_mfma16_kernelI14__hip_bfloat16hLN4vllm18Fp8KVCacheDataTypeE1ES0_Li32ELi64ELi256ELb1ELi16EL8MFMAType0EEvPKT_PKT0_S9_ifPKiSB_SB_iPKfiiiPfSE_PS4_PT2_iSD_SD_
    .private_segment_fixed_size: 0
    .sgpr_count:     51
    .sgpr_spill_count: 0
    .symbol:         _Z39paged_attention_ll4mi_QKV_mfma16_kernelI14__hip_bfloat16hLN4vllm18Fp8KVCacheDataTypeE1ES0_Li32ELi64ELi256ELb1ELi16EL8MFMAType0EEvPKT_PKT0_S9_ifPKiSB_SB_iPKfiiiPfSE_PS4_PT2_iSD_SD_.kd
    .uniform_work_group_size: 1
    .uses_dynamic_stack: false
    .vgpr_count:     65
    .vgpr_spill_count: 0
    .wavefront_size: 64
  - .agpr_count:     0
    .args:
      - .actual_access:  read_only
        .address_space:  global
        .offset:         0
        .size:           8
        .value_kind:     global_buffer
      - .actual_access:  read_only
        .address_space:  global
        .offset:         8
        .size:           8
        .value_kind:     global_buffer
      - .actual_access:  read_only
        .address_space:  global
        .offset:         16
        .size:           8
        .value_kind:     global_buffer
      - .offset:         24
        .size:           4
        .value_kind:     by_value
      - .offset:         28
        .size:           4
        .value_kind:     by_value
      - .actual_access:  read_only
        .address_space:  global
        .offset:         32
        .size:           8
        .value_kind:     global_buffer
      - .actual_access:  read_only
        .address_space:  global
        .offset:         40
        .size:           8
        .value_kind:     global_buffer
      - .actual_access:  read_only
        .address_space:  global
        .offset:         48
        .size:           8
        .value_kind:     global_buffer
      - .offset:         56
        .size:           4
        .value_kind:     by_value
      - .actual_access:  read_only
        .address_space:  global
        .offset:         64
        .size:           8
        .value_kind:     global_buffer
      - .offset:         72
        .size:           4
        .value_kind:     by_value
      - .offset:         76
        .size:           4
        .value_kind:     by_value
      - .offset:         80
        .size:           4
        .value_kind:     by_value
      - .actual_access:  write_only
        .address_space:  global
        .offset:         88
        .size:           8
        .value_kind:     global_buffer
      - .actual_access:  write_only
        .address_space:  global
        .offset:         96
        .size:           8
        .value_kind:     global_buffer
      - .actual_access:  write_only
        .address_space:  global
        .offset:         104
        .size:           8
        .value_kind:     global_buffer
      - .actual_access:  read_only
        .address_space:  global
        .offset:         112
        .size:           8
        .value_kind:     global_buffer
      - .offset:         120
        .size:           4
        .value_kind:     by_value
      - .address_space:  global
        .offset:         128
        .size:           8
        .value_kind:     global_buffer
      - .address_space:  global
        .offset:         136
        .size:           8
        .value_kind:     global_buffer
      - .offset:         144
        .size:           4
        .value_kind:     hidden_block_count_x
      - .offset:         148
        .size:           4
        .value_kind:     hidden_block_count_y
      - .offset:         152
        .size:           4
        .value_kind:     hidden_block_count_z
      - .offset:         156
        .size:           2
        .value_kind:     hidden_group_size_x
      - .offset:         158
        .size:           2
        .value_kind:     hidden_group_size_y
      - .offset:         160
        .size:           2
        .value_kind:     hidden_group_size_z
      - .offset:         162
        .size:           2
        .value_kind:     hidden_remainder_x
      - .offset:         164
        .size:           2
        .value_kind:     hidden_remainder_y
      - .offset:         166
        .size:           2
        .value_kind:     hidden_remainder_z
      - .offset:         184
        .size:           8
        .value_kind:     hidden_global_offset_x
      - .offset:         192
        .size:           8
        .value_kind:     hidden_global_offset_y
      - .offset:         200
        .size:           8
        .value_kind:     hidden_global_offset_z
      - .offset:         208
        .size:           2
        .value_kind:     hidden_grid_dims
    .group_segment_fixed_size: 8192
    .kernarg_segment_align: 8
    .kernarg_segment_size: 400
    .language:       OpenCL C
    .language_version:
      - 2
      - 0
    .max_flat_workgroup_size: 256
    .name:           _Z39paged_attention_ll4mi_QKV_mfma16_kernelI14__hip_bfloat16hLN4vllm18Fp8KVCacheDataTypeE1ES0_Li32ELi64ELi256ELb1ELi1EL8MFMAType0EEvPKT_PKT0_S9_ifPKiSB_SB_iPKfiiiPfSE_PS4_PT2_iSD_SD_
    .private_segment_fixed_size: 0
    .sgpr_count:     54
    .sgpr_spill_count: 0
    .symbol:         _Z39paged_attention_ll4mi_QKV_mfma16_kernelI14__hip_bfloat16hLN4vllm18Fp8KVCacheDataTypeE1ES0_Li32ELi64ELi256ELb1ELi1EL8MFMAType0EEvPKT_PKT0_S9_ifPKiSB_SB_iPKfiiiPfSE_PS4_PT2_iSD_SD_.kd
    .uniform_work_group_size: 1
    .uses_dynamic_stack: false
    .vgpr_count:     63
    .vgpr_spill_count: 0
    .wavefront_size: 64
  - .agpr_count:     0
    .args:
      - .actual_access:  read_only
        .address_space:  global
        .offset:         0
        .size:           8
        .value_kind:     global_buffer
      - .actual_access:  read_only
        .address_space:  global
        .offset:         8
        .size:           8
        .value_kind:     global_buffer
      - .actual_access:  read_only
        .address_space:  global
        .offset:         16
        .size:           8
        .value_kind:     global_buffer
      - .offset:         24
        .size:           4
        .value_kind:     by_value
      - .offset:         28
        .size:           4
        .value_kind:     by_value
      - .actual_access:  read_only
        .address_space:  global
        .offset:         32
        .size:           8
        .value_kind:     global_buffer
      - .actual_access:  read_only
        .address_space:  global
        .offset:         40
        .size:           8
        .value_kind:     global_buffer
      - .actual_access:  read_only
        .address_space:  global
        .offset:         48
        .size:           8
        .value_kind:     global_buffer
      - .offset:         56
        .size:           4
        .value_kind:     by_value
      - .actual_access:  read_only
        .address_space:  global
        .offset:         64
        .size:           8
        .value_kind:     global_buffer
      - .offset:         72
        .size:           4
        .value_kind:     by_value
      - .offset:         76
        .size:           4
        .value_kind:     by_value
      - .offset:         80
        .size:           4
        .value_kind:     by_value
      - .actual_access:  write_only
        .address_space:  global
        .offset:         88
        .size:           8
        .value_kind:     global_buffer
      - .actual_access:  write_only
        .address_space:  global
        .offset:         96
        .size:           8
        .value_kind:     global_buffer
      - .actual_access:  write_only
        .address_space:  global
        .offset:         104
        .size:           8
        .value_kind:     global_buffer
      - .actual_access:  read_only
        .address_space:  global
        .offset:         112
        .size:           8
        .value_kind:     global_buffer
      - .offset:         120
        .size:           4
        .value_kind:     by_value
      - .address_space:  global
        .offset:         128
        .size:           8
        .value_kind:     global_buffer
      - .address_space:  global
        .offset:         136
        .size:           8
        .value_kind:     global_buffer
      - .offset:         144
        .size:           4
        .value_kind:     hidden_block_count_x
      - .offset:         148
        .size:           4
        .value_kind:     hidden_block_count_y
      - .offset:         152
        .size:           4
        .value_kind:     hidden_block_count_z
      - .offset:         156
        .size:           2
        .value_kind:     hidden_group_size_x
      - .offset:         158
        .size:           2
        .value_kind:     hidden_group_size_y
      - .offset:         160
        .size:           2
        .value_kind:     hidden_group_size_z
      - .offset:         162
        .size:           2
        .value_kind:     hidden_remainder_x
      - .offset:         164
        .size:           2
        .value_kind:     hidden_remainder_y
      - .offset:         166
        .size:           2
        .value_kind:     hidden_remainder_z
      - .offset:         184
        .size:           8
        .value_kind:     hidden_global_offset_x
      - .offset:         192
        .size:           8
        .value_kind:     hidden_global_offset_y
      - .offset:         200
        .size:           8
        .value_kind:     hidden_global_offset_z
      - .offset:         208
        .size:           2
        .value_kind:     hidden_grid_dims
    .group_segment_fixed_size: 8192
    .kernarg_segment_align: 8
    .kernarg_segment_size: 400
    .language:       OpenCL C
    .language_version:
      - 2
      - 0
    .max_flat_workgroup_size: 256
    .name:           _Z39paged_attention_ll4mi_QKV_mfma16_kernelI14__hip_bfloat16hLN4vllm18Fp8KVCacheDataTypeE1ES0_Li32ELi64ELi256ELb1ELi2EL8MFMAType0EEvPKT_PKT0_S9_ifPKiSB_SB_iPKfiiiPfSE_PS4_PT2_iSD_SD_
    .private_segment_fixed_size: 0
    .sgpr_count:     51
    .sgpr_spill_count: 0
    .symbol:         _Z39paged_attention_ll4mi_QKV_mfma16_kernelI14__hip_bfloat16hLN4vllm18Fp8KVCacheDataTypeE1ES0_Li32ELi64ELi256ELb1ELi2EL8MFMAType0EEvPKT_PKT0_S9_ifPKiSB_SB_iPKfiiiPfSE_PS4_PT2_iSD_SD_.kd
    .uniform_work_group_size: 1
    .uses_dynamic_stack: false
    .vgpr_count:     63
    .vgpr_spill_count: 0
    .wavefront_size: 64
  - .agpr_count:     0
    .args:
      - .actual_access:  read_only
        .address_space:  global
        .offset:         0
        .size:           8
        .value_kind:     global_buffer
      - .actual_access:  read_only
        .address_space:  global
        .offset:         8
        .size:           8
        .value_kind:     global_buffer
      - .actual_access:  read_only
        .address_space:  global
        .offset:         16
        .size:           8
        .value_kind:     global_buffer
      - .offset:         24
        .size:           4
        .value_kind:     by_value
      - .offset:         28
        .size:           4
        .value_kind:     by_value
      - .actual_access:  read_only
        .address_space:  global
        .offset:         32
        .size:           8
        .value_kind:     global_buffer
      - .actual_access:  read_only
        .address_space:  global
        .offset:         40
        .size:           8
        .value_kind:     global_buffer
      - .actual_access:  read_only
        .address_space:  global
        .offset:         48
        .size:           8
        .value_kind:     global_buffer
      - .offset:         56
        .size:           4
        .value_kind:     by_value
      - .actual_access:  read_only
        .address_space:  global
        .offset:         64
        .size:           8
        .value_kind:     global_buffer
      - .offset:         72
        .size:           4
        .value_kind:     by_value
      - .offset:         76
        .size:           4
        .value_kind:     by_value
      - .offset:         80
        .size:           4
        .value_kind:     by_value
      - .actual_access:  write_only
        .address_space:  global
        .offset:         88
        .size:           8
        .value_kind:     global_buffer
      - .actual_access:  write_only
        .address_space:  global
        .offset:         96
        .size:           8
        .value_kind:     global_buffer
      - .actual_access:  write_only
        .address_space:  global
        .offset:         104
        .size:           8
        .value_kind:     global_buffer
      - .actual_access:  read_only
        .address_space:  global
        .offset:         112
        .size:           8
        .value_kind:     global_buffer
      - .offset:         120
        .size:           4
        .value_kind:     by_value
      - .address_space:  global
        .offset:         128
        .size:           8
        .value_kind:     global_buffer
      - .address_space:  global
        .offset:         136
        .size:           8
        .value_kind:     global_buffer
      - .offset:         144
        .size:           4
        .value_kind:     hidden_block_count_x
      - .offset:         148
        .size:           4
        .value_kind:     hidden_block_count_y
      - .offset:         152
        .size:           4
        .value_kind:     hidden_block_count_z
      - .offset:         156
        .size:           2
        .value_kind:     hidden_group_size_x
      - .offset:         158
        .size:           2
        .value_kind:     hidden_group_size_y
      - .offset:         160
        .size:           2
        .value_kind:     hidden_group_size_z
      - .offset:         162
        .size:           2
        .value_kind:     hidden_remainder_x
      - .offset:         164
        .size:           2
        .value_kind:     hidden_remainder_y
      - .offset:         166
        .size:           2
        .value_kind:     hidden_remainder_z
      - .offset:         184
        .size:           8
        .value_kind:     hidden_global_offset_x
      - .offset:         192
        .size:           8
        .value_kind:     hidden_global_offset_y
      - .offset:         200
        .size:           8
        .value_kind:     hidden_global_offset_z
      - .offset:         208
        .size:           2
        .value_kind:     hidden_grid_dims
    .group_segment_fixed_size: 8192
    .kernarg_segment_align: 8
    .kernarg_segment_size: 400
    .language:       OpenCL C
    .language_version:
      - 2
      - 0
    .max_flat_workgroup_size: 256
    .name:           _Z39paged_attention_ll4mi_QKV_mfma16_kernelI14__hip_bfloat16hLN4vllm18Fp8KVCacheDataTypeE1ES0_Li32ELi64ELi256ELb1ELi3EL8MFMAType0EEvPKT_PKT0_S9_ifPKiSB_SB_iPKfiiiPfSE_PS4_PT2_iSD_SD_
    .private_segment_fixed_size: 0
    .sgpr_count:     51
    .sgpr_spill_count: 0
    .symbol:         _Z39paged_attention_ll4mi_QKV_mfma16_kernelI14__hip_bfloat16hLN4vllm18Fp8KVCacheDataTypeE1ES0_Li32ELi64ELi256ELb1ELi3EL8MFMAType0EEvPKT_PKT0_S9_ifPKiSB_SB_iPKfiiiPfSE_PS4_PT2_iSD_SD_.kd
    .uniform_work_group_size: 1
    .uses_dynamic_stack: false
    .vgpr_count:     64
    .vgpr_spill_count: 0
    .wavefront_size: 64
  - .agpr_count:     0
    .args:
      - .actual_access:  read_only
        .address_space:  global
        .offset:         0
        .size:           8
        .value_kind:     global_buffer
      - .actual_access:  read_only
        .address_space:  global
        .offset:         8
        .size:           8
        .value_kind:     global_buffer
      - .actual_access:  read_only
        .address_space:  global
        .offset:         16
        .size:           8
        .value_kind:     global_buffer
      - .offset:         24
        .size:           4
        .value_kind:     by_value
      - .offset:         28
        .size:           4
        .value_kind:     by_value
      - .actual_access:  read_only
        .address_space:  global
        .offset:         32
        .size:           8
        .value_kind:     global_buffer
      - .actual_access:  read_only
        .address_space:  global
        .offset:         40
        .size:           8
        .value_kind:     global_buffer
      - .actual_access:  read_only
        .address_space:  global
        .offset:         48
        .size:           8
        .value_kind:     global_buffer
      - .offset:         56
        .size:           4
        .value_kind:     by_value
      - .actual_access:  read_only
        .address_space:  global
        .offset:         64
        .size:           8
        .value_kind:     global_buffer
      - .offset:         72
        .size:           4
        .value_kind:     by_value
      - .offset:         76
        .size:           4
        .value_kind:     by_value
      - .offset:         80
        .size:           4
        .value_kind:     by_value
      - .actual_access:  write_only
        .address_space:  global
        .offset:         88
        .size:           8
        .value_kind:     global_buffer
      - .actual_access:  write_only
        .address_space:  global
        .offset:         96
        .size:           8
        .value_kind:     global_buffer
      - .actual_access:  write_only
        .address_space:  global
        .offset:         104
        .size:           8
        .value_kind:     global_buffer
      - .actual_access:  read_only
        .address_space:  global
        .offset:         112
        .size:           8
        .value_kind:     global_buffer
      - .offset:         120
        .size:           4
        .value_kind:     by_value
      - .address_space:  global
        .offset:         128
        .size:           8
        .value_kind:     global_buffer
      - .address_space:  global
        .offset:         136
        .size:           8
        .value_kind:     global_buffer
      - .offset:         144
        .size:           4
        .value_kind:     hidden_block_count_x
      - .offset:         148
        .size:           4
        .value_kind:     hidden_block_count_y
      - .offset:         152
        .size:           4
        .value_kind:     hidden_block_count_z
      - .offset:         156
        .size:           2
        .value_kind:     hidden_group_size_x
      - .offset:         158
        .size:           2
        .value_kind:     hidden_group_size_y
      - .offset:         160
        .size:           2
        .value_kind:     hidden_group_size_z
      - .offset:         162
        .size:           2
        .value_kind:     hidden_remainder_x
      - .offset:         164
        .size:           2
        .value_kind:     hidden_remainder_y
      - .offset:         166
        .size:           2
        .value_kind:     hidden_remainder_z
      - .offset:         184
        .size:           8
        .value_kind:     hidden_global_offset_x
      - .offset:         192
        .size:           8
        .value_kind:     hidden_global_offset_y
      - .offset:         200
        .size:           8
        .value_kind:     hidden_global_offset_z
      - .offset:         208
        .size:           2
        .value_kind:     hidden_grid_dims
    .group_segment_fixed_size: 8192
    .kernarg_segment_align: 8
    .kernarg_segment_size: 400
    .language:       OpenCL C
    .language_version:
      - 2
      - 0
    .max_flat_workgroup_size: 256
    .name:           _Z39paged_attention_ll4mi_QKV_mfma16_kernelI14__hip_bfloat16hLN4vllm18Fp8KVCacheDataTypeE1ES0_Li32ELi64ELi256ELb1ELi4EL8MFMAType0EEvPKT_PKT0_S9_ifPKiSB_SB_iPKfiiiPfSE_PS4_PT2_iSD_SD_
    .private_segment_fixed_size: 0
    .sgpr_count:     52
    .sgpr_spill_count: 0
    .symbol:         _Z39paged_attention_ll4mi_QKV_mfma16_kernelI14__hip_bfloat16hLN4vllm18Fp8KVCacheDataTypeE1ES0_Li32ELi64ELi256ELb1ELi4EL8MFMAType0EEvPKT_PKT0_S9_ifPKiSB_SB_iPKfiiiPfSE_PS4_PT2_iSD_SD_.kd
    .uniform_work_group_size: 1
    .uses_dynamic_stack: false
    .vgpr_count:     65
    .vgpr_spill_count: 0
    .wavefront_size: 64
  - .agpr_count:     0
    .args:
      - .actual_access:  read_only
        .address_space:  global
        .offset:         0
        .size:           8
        .value_kind:     global_buffer
      - .actual_access:  read_only
        .address_space:  global
        .offset:         8
        .size:           8
        .value_kind:     global_buffer
      - .actual_access:  read_only
        .address_space:  global
        .offset:         16
        .size:           8
        .value_kind:     global_buffer
      - .offset:         24
        .size:           4
        .value_kind:     by_value
      - .offset:         28
        .size:           4
        .value_kind:     by_value
      - .actual_access:  read_only
        .address_space:  global
        .offset:         32
        .size:           8
        .value_kind:     global_buffer
      - .actual_access:  read_only
        .address_space:  global
        .offset:         40
        .size:           8
        .value_kind:     global_buffer
      - .actual_access:  read_only
        .address_space:  global
        .offset:         48
        .size:           8
        .value_kind:     global_buffer
      - .offset:         56
        .size:           4
        .value_kind:     by_value
      - .actual_access:  read_only
        .address_space:  global
        .offset:         64
        .size:           8
        .value_kind:     global_buffer
      - .offset:         72
        .size:           4
        .value_kind:     by_value
      - .offset:         76
        .size:           4
        .value_kind:     by_value
      - .offset:         80
        .size:           4
        .value_kind:     by_value
      - .actual_access:  write_only
        .address_space:  global
        .offset:         88
        .size:           8
        .value_kind:     global_buffer
      - .actual_access:  write_only
        .address_space:  global
        .offset:         96
        .size:           8
        .value_kind:     global_buffer
      - .actual_access:  write_only
        .address_space:  global
        .offset:         104
        .size:           8
        .value_kind:     global_buffer
      - .actual_access:  read_only
        .address_space:  global
        .offset:         112
        .size:           8
        .value_kind:     global_buffer
      - .offset:         120
        .size:           4
        .value_kind:     by_value
      - .address_space:  global
        .offset:         128
        .size:           8
        .value_kind:     global_buffer
      - .address_space:  global
        .offset:         136
        .size:           8
        .value_kind:     global_buffer
      - .offset:         144
        .size:           4
        .value_kind:     hidden_block_count_x
      - .offset:         148
        .size:           4
        .value_kind:     hidden_block_count_y
      - .offset:         152
        .size:           4
        .value_kind:     hidden_block_count_z
      - .offset:         156
        .size:           2
        .value_kind:     hidden_group_size_x
      - .offset:         158
        .size:           2
        .value_kind:     hidden_group_size_y
      - .offset:         160
        .size:           2
        .value_kind:     hidden_group_size_z
      - .offset:         162
        .size:           2
        .value_kind:     hidden_remainder_x
      - .offset:         164
        .size:           2
        .value_kind:     hidden_remainder_y
      - .offset:         166
        .size:           2
        .value_kind:     hidden_remainder_z
      - .offset:         184
        .size:           8
        .value_kind:     hidden_global_offset_x
      - .offset:         192
        .size:           8
        .value_kind:     hidden_global_offset_y
      - .offset:         200
        .size:           8
        .value_kind:     hidden_global_offset_z
      - .offset:         208
        .size:           2
        .value_kind:     hidden_grid_dims
    .group_segment_fixed_size: 8192
    .kernarg_segment_align: 8
    .kernarg_segment_size: 400
    .language:       OpenCL C
    .language_version:
      - 2
      - 0
    .max_flat_workgroup_size: 256
    .name:           _Z39paged_attention_ll4mi_QKV_mfma16_kernelI14__hip_bfloat16hLN4vllm18Fp8KVCacheDataTypeE1ES0_Li32ELi64ELi256ELb0ELi5EL8MFMAType0EEvPKT_PKT0_S9_ifPKiSB_SB_iPKfiiiPfSE_PS4_PT2_iSD_SD_
    .private_segment_fixed_size: 0
    .sgpr_count:     51
    .sgpr_spill_count: 0
    .symbol:         _Z39paged_attention_ll4mi_QKV_mfma16_kernelI14__hip_bfloat16hLN4vllm18Fp8KVCacheDataTypeE1ES0_Li32ELi64ELi256ELb0ELi5EL8MFMAType0EEvPKT_PKT0_S9_ifPKiSB_SB_iPKfiiiPfSE_PS4_PT2_iSD_SD_.kd
    .uniform_work_group_size: 1
    .uses_dynamic_stack: false
    .vgpr_count:     62
    .vgpr_spill_count: 0
    .wavefront_size: 64
  - .agpr_count:     0
    .args:
      - .actual_access:  read_only
        .address_space:  global
        .offset:         0
        .size:           8
        .value_kind:     global_buffer
      - .actual_access:  read_only
        .address_space:  global
        .offset:         8
        .size:           8
        .value_kind:     global_buffer
      - .actual_access:  read_only
        .address_space:  global
        .offset:         16
        .size:           8
        .value_kind:     global_buffer
      - .offset:         24
        .size:           4
        .value_kind:     by_value
      - .offset:         28
        .size:           4
        .value_kind:     by_value
      - .actual_access:  read_only
        .address_space:  global
        .offset:         32
        .size:           8
        .value_kind:     global_buffer
      - .actual_access:  read_only
        .address_space:  global
        .offset:         40
        .size:           8
        .value_kind:     global_buffer
      - .actual_access:  read_only
        .address_space:  global
        .offset:         48
        .size:           8
        .value_kind:     global_buffer
      - .offset:         56
        .size:           4
        .value_kind:     by_value
      - .actual_access:  read_only
        .address_space:  global
        .offset:         64
        .size:           8
        .value_kind:     global_buffer
      - .offset:         72
        .size:           4
        .value_kind:     by_value
      - .offset:         76
        .size:           4
        .value_kind:     by_value
      - .offset:         80
        .size:           4
        .value_kind:     by_value
      - .actual_access:  write_only
        .address_space:  global
        .offset:         88
        .size:           8
        .value_kind:     global_buffer
      - .actual_access:  write_only
        .address_space:  global
        .offset:         96
        .size:           8
        .value_kind:     global_buffer
      - .actual_access:  write_only
        .address_space:  global
        .offset:         104
        .size:           8
        .value_kind:     global_buffer
      - .actual_access:  read_only
        .address_space:  global
        .offset:         112
        .size:           8
        .value_kind:     global_buffer
      - .offset:         120
        .size:           4
        .value_kind:     by_value
      - .address_space:  global
        .offset:         128
        .size:           8
        .value_kind:     global_buffer
      - .address_space:  global
        .offset:         136
        .size:           8
        .value_kind:     global_buffer
      - .offset:         144
        .size:           4
        .value_kind:     hidden_block_count_x
      - .offset:         148
        .size:           4
        .value_kind:     hidden_block_count_y
      - .offset:         152
        .size:           4
        .value_kind:     hidden_block_count_z
      - .offset:         156
        .size:           2
        .value_kind:     hidden_group_size_x
      - .offset:         158
        .size:           2
        .value_kind:     hidden_group_size_y
      - .offset:         160
        .size:           2
        .value_kind:     hidden_group_size_z
      - .offset:         162
        .size:           2
        .value_kind:     hidden_remainder_x
      - .offset:         164
        .size:           2
        .value_kind:     hidden_remainder_y
      - .offset:         166
        .size:           2
        .value_kind:     hidden_remainder_z
      - .offset:         184
        .size:           8
        .value_kind:     hidden_global_offset_x
      - .offset:         192
        .size:           8
        .value_kind:     hidden_global_offset_y
      - .offset:         200
        .size:           8
        .value_kind:     hidden_global_offset_z
      - .offset:         208
        .size:           2
        .value_kind:     hidden_grid_dims
    .group_segment_fixed_size: 8192
    .kernarg_segment_align: 8
    .kernarg_segment_size: 400
    .language:       OpenCL C
    .language_version:
      - 2
      - 0
    .max_flat_workgroup_size: 256
    .name:           _Z39paged_attention_ll4mi_QKV_mfma16_kernelI14__hip_bfloat16hLN4vllm18Fp8KVCacheDataTypeE1ES0_Li32ELi64ELi256ELb0ELi6EL8MFMAType0EEvPKT_PKT0_S9_ifPKiSB_SB_iPKfiiiPfSE_PS4_PT2_iSD_SD_
    .private_segment_fixed_size: 0
    .sgpr_count:     51
    .sgpr_spill_count: 0
    .symbol:         _Z39paged_attention_ll4mi_QKV_mfma16_kernelI14__hip_bfloat16hLN4vllm18Fp8KVCacheDataTypeE1ES0_Li32ELi64ELi256ELb0ELi6EL8MFMAType0EEvPKT_PKT0_S9_ifPKiSB_SB_iPKfiiiPfSE_PS4_PT2_iSD_SD_.kd
    .uniform_work_group_size: 1
    .uses_dynamic_stack: false
    .vgpr_count:     62
    .vgpr_spill_count: 0
    .wavefront_size: 64
  - .agpr_count:     0
    .args:
      - .actual_access:  read_only
        .address_space:  global
        .offset:         0
        .size:           8
        .value_kind:     global_buffer
      - .actual_access:  read_only
        .address_space:  global
        .offset:         8
        .size:           8
        .value_kind:     global_buffer
      - .actual_access:  read_only
        .address_space:  global
        .offset:         16
        .size:           8
        .value_kind:     global_buffer
      - .offset:         24
        .size:           4
        .value_kind:     by_value
      - .offset:         28
        .size:           4
        .value_kind:     by_value
      - .actual_access:  read_only
        .address_space:  global
        .offset:         32
        .size:           8
        .value_kind:     global_buffer
      - .actual_access:  read_only
        .address_space:  global
        .offset:         40
        .size:           8
        .value_kind:     global_buffer
      - .actual_access:  read_only
        .address_space:  global
        .offset:         48
        .size:           8
        .value_kind:     global_buffer
      - .offset:         56
        .size:           4
        .value_kind:     by_value
      - .actual_access:  read_only
        .address_space:  global
        .offset:         64
        .size:           8
        .value_kind:     global_buffer
      - .offset:         72
        .size:           4
        .value_kind:     by_value
      - .offset:         76
        .size:           4
        .value_kind:     by_value
      - .offset:         80
        .size:           4
        .value_kind:     by_value
      - .actual_access:  write_only
        .address_space:  global
        .offset:         88
        .size:           8
        .value_kind:     global_buffer
      - .actual_access:  write_only
        .address_space:  global
        .offset:         96
        .size:           8
        .value_kind:     global_buffer
      - .actual_access:  write_only
        .address_space:  global
        .offset:         104
        .size:           8
        .value_kind:     global_buffer
      - .actual_access:  read_only
        .address_space:  global
        .offset:         112
        .size:           8
        .value_kind:     global_buffer
      - .offset:         120
        .size:           4
        .value_kind:     by_value
      - .address_space:  global
        .offset:         128
        .size:           8
        .value_kind:     global_buffer
      - .address_space:  global
        .offset:         136
        .size:           8
        .value_kind:     global_buffer
      - .offset:         144
        .size:           4
        .value_kind:     hidden_block_count_x
      - .offset:         148
        .size:           4
        .value_kind:     hidden_block_count_y
      - .offset:         152
        .size:           4
        .value_kind:     hidden_block_count_z
      - .offset:         156
        .size:           2
        .value_kind:     hidden_group_size_x
      - .offset:         158
        .size:           2
        .value_kind:     hidden_group_size_y
      - .offset:         160
        .size:           2
        .value_kind:     hidden_group_size_z
      - .offset:         162
        .size:           2
        .value_kind:     hidden_remainder_x
      - .offset:         164
        .size:           2
        .value_kind:     hidden_remainder_y
      - .offset:         166
        .size:           2
        .value_kind:     hidden_remainder_z
      - .offset:         184
        .size:           8
        .value_kind:     hidden_global_offset_x
      - .offset:         192
        .size:           8
        .value_kind:     hidden_global_offset_y
      - .offset:         200
        .size:           8
        .value_kind:     hidden_global_offset_z
      - .offset:         208
        .size:           2
        .value_kind:     hidden_grid_dims
    .group_segment_fixed_size: 8192
    .kernarg_segment_align: 8
    .kernarg_segment_size: 400
    .language:       OpenCL C
    .language_version:
      - 2
      - 0
    .max_flat_workgroup_size: 256
    .name:           _Z39paged_attention_ll4mi_QKV_mfma16_kernelI14__hip_bfloat16hLN4vllm18Fp8KVCacheDataTypeE1ES0_Li32ELi64ELi256ELb0ELi7EL8MFMAType0EEvPKT_PKT0_S9_ifPKiSB_SB_iPKfiiiPfSE_PS4_PT2_iSD_SD_
    .private_segment_fixed_size: 0
    .sgpr_count:     51
    .sgpr_spill_count: 0
    .symbol:         _Z39paged_attention_ll4mi_QKV_mfma16_kernelI14__hip_bfloat16hLN4vllm18Fp8KVCacheDataTypeE1ES0_Li32ELi64ELi256ELb0ELi7EL8MFMAType0EEvPKT_PKT0_S9_ifPKiSB_SB_iPKfiiiPfSE_PS4_PT2_iSD_SD_.kd
    .uniform_work_group_size: 1
    .uses_dynamic_stack: false
    .vgpr_count:     62
    .vgpr_spill_count: 0
    .wavefront_size: 64
  - .agpr_count:     0
    .args:
      - .actual_access:  read_only
        .address_space:  global
        .offset:         0
        .size:           8
        .value_kind:     global_buffer
      - .actual_access:  read_only
        .address_space:  global
        .offset:         8
        .size:           8
        .value_kind:     global_buffer
      - .actual_access:  read_only
        .address_space:  global
        .offset:         16
        .size:           8
        .value_kind:     global_buffer
      - .offset:         24
        .size:           4
        .value_kind:     by_value
      - .offset:         28
        .size:           4
        .value_kind:     by_value
      - .actual_access:  read_only
        .address_space:  global
        .offset:         32
        .size:           8
        .value_kind:     global_buffer
      - .actual_access:  read_only
        .address_space:  global
        .offset:         40
        .size:           8
        .value_kind:     global_buffer
      - .actual_access:  read_only
        .address_space:  global
        .offset:         48
        .size:           8
        .value_kind:     global_buffer
      - .offset:         56
        .size:           4
        .value_kind:     by_value
      - .actual_access:  read_only
        .address_space:  global
        .offset:         64
        .size:           8
        .value_kind:     global_buffer
      - .offset:         72
        .size:           4
        .value_kind:     by_value
      - .offset:         76
        .size:           4
        .value_kind:     by_value
      - .offset:         80
        .size:           4
        .value_kind:     by_value
      - .actual_access:  write_only
        .address_space:  global
        .offset:         88
        .size:           8
        .value_kind:     global_buffer
      - .actual_access:  write_only
        .address_space:  global
        .offset:         96
        .size:           8
        .value_kind:     global_buffer
      - .actual_access:  write_only
        .address_space:  global
        .offset:         104
        .size:           8
        .value_kind:     global_buffer
      - .actual_access:  read_only
        .address_space:  global
        .offset:         112
        .size:           8
        .value_kind:     global_buffer
      - .offset:         120
        .size:           4
        .value_kind:     by_value
      - .address_space:  global
        .offset:         128
        .size:           8
        .value_kind:     global_buffer
      - .address_space:  global
        .offset:         136
        .size:           8
        .value_kind:     global_buffer
      - .offset:         144
        .size:           4
        .value_kind:     hidden_block_count_x
      - .offset:         148
        .size:           4
        .value_kind:     hidden_block_count_y
      - .offset:         152
        .size:           4
        .value_kind:     hidden_block_count_z
      - .offset:         156
        .size:           2
        .value_kind:     hidden_group_size_x
      - .offset:         158
        .size:           2
        .value_kind:     hidden_group_size_y
      - .offset:         160
        .size:           2
        .value_kind:     hidden_group_size_z
      - .offset:         162
        .size:           2
        .value_kind:     hidden_remainder_x
      - .offset:         164
        .size:           2
        .value_kind:     hidden_remainder_y
      - .offset:         166
        .size:           2
        .value_kind:     hidden_remainder_z
      - .offset:         184
        .size:           8
        .value_kind:     hidden_global_offset_x
      - .offset:         192
        .size:           8
        .value_kind:     hidden_global_offset_y
      - .offset:         200
        .size:           8
        .value_kind:     hidden_global_offset_z
      - .offset:         208
        .size:           2
        .value_kind:     hidden_grid_dims
    .group_segment_fixed_size: 8192
    .kernarg_segment_align: 8
    .kernarg_segment_size: 400
    .language:       OpenCL C
    .language_version:
      - 2
      - 0
    .max_flat_workgroup_size: 256
    .name:           _Z39paged_attention_ll4mi_QKV_mfma16_kernelI14__hip_bfloat16hLN4vllm18Fp8KVCacheDataTypeE1ES0_Li32ELi64ELi256ELb0ELi8EL8MFMAType0EEvPKT_PKT0_S9_ifPKiSB_SB_iPKfiiiPfSE_PS4_PT2_iSD_SD_
    .private_segment_fixed_size: 0
    .sgpr_count:     51
    .sgpr_spill_count: 0
    .symbol:         _Z39paged_attention_ll4mi_QKV_mfma16_kernelI14__hip_bfloat16hLN4vllm18Fp8KVCacheDataTypeE1ES0_Li32ELi64ELi256ELb0ELi8EL8MFMAType0EEvPKT_PKT0_S9_ifPKiSB_SB_iPKfiiiPfSE_PS4_PT2_iSD_SD_.kd
    .uniform_work_group_size: 1
    .uses_dynamic_stack: false
    .vgpr_count:     62
    .vgpr_spill_count: 0
    .wavefront_size: 64
  - .agpr_count:     0
    .args:
      - .actual_access:  read_only
        .address_space:  global
        .offset:         0
        .size:           8
        .value_kind:     global_buffer
      - .actual_access:  read_only
        .address_space:  global
        .offset:         8
        .size:           8
        .value_kind:     global_buffer
      - .actual_access:  read_only
        .address_space:  global
        .offset:         16
        .size:           8
        .value_kind:     global_buffer
      - .offset:         24
        .size:           4
        .value_kind:     by_value
      - .offset:         28
        .size:           4
        .value_kind:     by_value
      - .actual_access:  read_only
        .address_space:  global
        .offset:         32
        .size:           8
        .value_kind:     global_buffer
      - .actual_access:  read_only
        .address_space:  global
        .offset:         40
        .size:           8
        .value_kind:     global_buffer
      - .actual_access:  read_only
        .address_space:  global
        .offset:         48
        .size:           8
        .value_kind:     global_buffer
      - .offset:         56
        .size:           4
        .value_kind:     by_value
      - .actual_access:  read_only
        .address_space:  global
        .offset:         64
        .size:           8
        .value_kind:     global_buffer
      - .offset:         72
        .size:           4
        .value_kind:     by_value
      - .offset:         76
        .size:           4
        .value_kind:     by_value
      - .offset:         80
        .size:           4
        .value_kind:     by_value
      - .actual_access:  write_only
        .address_space:  global
        .offset:         88
        .size:           8
        .value_kind:     global_buffer
      - .actual_access:  write_only
        .address_space:  global
        .offset:         96
        .size:           8
        .value_kind:     global_buffer
      - .actual_access:  write_only
        .address_space:  global
        .offset:         104
        .size:           8
        .value_kind:     global_buffer
      - .actual_access:  read_only
        .address_space:  global
        .offset:         112
        .size:           8
        .value_kind:     global_buffer
      - .offset:         120
        .size:           4
        .value_kind:     by_value
      - .address_space:  global
        .offset:         128
        .size:           8
        .value_kind:     global_buffer
      - .address_space:  global
        .offset:         136
        .size:           8
        .value_kind:     global_buffer
      - .offset:         144
        .size:           4
        .value_kind:     hidden_block_count_x
      - .offset:         148
        .size:           4
        .value_kind:     hidden_block_count_y
      - .offset:         152
        .size:           4
        .value_kind:     hidden_block_count_z
      - .offset:         156
        .size:           2
        .value_kind:     hidden_group_size_x
      - .offset:         158
        .size:           2
        .value_kind:     hidden_group_size_y
      - .offset:         160
        .size:           2
        .value_kind:     hidden_group_size_z
      - .offset:         162
        .size:           2
        .value_kind:     hidden_remainder_x
      - .offset:         164
        .size:           2
        .value_kind:     hidden_remainder_y
      - .offset:         166
        .size:           2
        .value_kind:     hidden_remainder_z
      - .offset:         184
        .size:           8
        .value_kind:     hidden_global_offset_x
      - .offset:         192
        .size:           8
        .value_kind:     hidden_global_offset_y
      - .offset:         200
        .size:           8
        .value_kind:     hidden_global_offset_z
      - .offset:         208
        .size:           2
        .value_kind:     hidden_grid_dims
    .group_segment_fixed_size: 8192
    .kernarg_segment_align: 8
    .kernarg_segment_size: 400
    .language:       OpenCL C
    .language_version:
      - 2
      - 0
    .max_flat_workgroup_size: 256
    .name:           _Z39paged_attention_ll4mi_QKV_mfma16_kernelI14__hip_bfloat16hLN4vllm18Fp8KVCacheDataTypeE1ES0_Li32ELi64ELi256ELb0ELi9EL8MFMAType0EEvPKT_PKT0_S9_ifPKiSB_SB_iPKfiiiPfSE_PS4_PT2_iSD_SD_
    .private_segment_fixed_size: 0
    .sgpr_count:     51
    .sgpr_spill_count: 0
    .symbol:         _Z39paged_attention_ll4mi_QKV_mfma16_kernelI14__hip_bfloat16hLN4vllm18Fp8KVCacheDataTypeE1ES0_Li32ELi64ELi256ELb0ELi9EL8MFMAType0EEvPKT_PKT0_S9_ifPKiSB_SB_iPKfiiiPfSE_PS4_PT2_iSD_SD_.kd
    .uniform_work_group_size: 1
    .uses_dynamic_stack: false
    .vgpr_count:     62
    .vgpr_spill_count: 0
    .wavefront_size: 64
  - .agpr_count:     0
    .args:
      - .actual_access:  read_only
        .address_space:  global
        .offset:         0
        .size:           8
        .value_kind:     global_buffer
      - .actual_access:  read_only
        .address_space:  global
        .offset:         8
        .size:           8
        .value_kind:     global_buffer
      - .actual_access:  read_only
        .address_space:  global
        .offset:         16
        .size:           8
        .value_kind:     global_buffer
      - .offset:         24
        .size:           4
        .value_kind:     by_value
      - .offset:         28
        .size:           4
        .value_kind:     by_value
      - .actual_access:  read_only
        .address_space:  global
        .offset:         32
        .size:           8
        .value_kind:     global_buffer
      - .actual_access:  read_only
        .address_space:  global
        .offset:         40
        .size:           8
        .value_kind:     global_buffer
      - .actual_access:  read_only
        .address_space:  global
        .offset:         48
        .size:           8
        .value_kind:     global_buffer
      - .offset:         56
        .size:           4
        .value_kind:     by_value
      - .actual_access:  read_only
        .address_space:  global
        .offset:         64
        .size:           8
        .value_kind:     global_buffer
      - .offset:         72
        .size:           4
        .value_kind:     by_value
      - .offset:         76
        .size:           4
        .value_kind:     by_value
      - .offset:         80
        .size:           4
        .value_kind:     by_value
      - .actual_access:  write_only
        .address_space:  global
        .offset:         88
        .size:           8
        .value_kind:     global_buffer
      - .actual_access:  write_only
        .address_space:  global
        .offset:         96
        .size:           8
        .value_kind:     global_buffer
      - .actual_access:  write_only
        .address_space:  global
        .offset:         104
        .size:           8
        .value_kind:     global_buffer
      - .actual_access:  read_only
        .address_space:  global
        .offset:         112
        .size:           8
        .value_kind:     global_buffer
      - .offset:         120
        .size:           4
        .value_kind:     by_value
      - .address_space:  global
        .offset:         128
        .size:           8
        .value_kind:     global_buffer
      - .address_space:  global
        .offset:         136
        .size:           8
        .value_kind:     global_buffer
      - .offset:         144
        .size:           4
        .value_kind:     hidden_block_count_x
      - .offset:         148
        .size:           4
        .value_kind:     hidden_block_count_y
      - .offset:         152
        .size:           4
        .value_kind:     hidden_block_count_z
      - .offset:         156
        .size:           2
        .value_kind:     hidden_group_size_x
      - .offset:         158
        .size:           2
        .value_kind:     hidden_group_size_y
      - .offset:         160
        .size:           2
        .value_kind:     hidden_group_size_z
      - .offset:         162
        .size:           2
        .value_kind:     hidden_remainder_x
      - .offset:         164
        .size:           2
        .value_kind:     hidden_remainder_y
      - .offset:         166
        .size:           2
        .value_kind:     hidden_remainder_z
      - .offset:         184
        .size:           8
        .value_kind:     hidden_global_offset_x
      - .offset:         192
        .size:           8
        .value_kind:     hidden_global_offset_y
      - .offset:         200
        .size:           8
        .value_kind:     hidden_global_offset_z
      - .offset:         208
        .size:           2
        .value_kind:     hidden_grid_dims
    .group_segment_fixed_size: 8192
    .kernarg_segment_align: 8
    .kernarg_segment_size: 400
    .language:       OpenCL C
    .language_version:
      - 2
      - 0
    .max_flat_workgroup_size: 256
    .name:           _Z39paged_attention_ll4mi_QKV_mfma16_kernelI14__hip_bfloat16hLN4vllm18Fp8KVCacheDataTypeE1ES0_Li32ELi64ELi256ELb0ELi10EL8MFMAType0EEvPKT_PKT0_S9_ifPKiSB_SB_iPKfiiiPfSE_PS4_PT2_iSD_SD_
    .private_segment_fixed_size: 0
    .sgpr_count:     51
    .sgpr_spill_count: 0
    .symbol:         _Z39paged_attention_ll4mi_QKV_mfma16_kernelI14__hip_bfloat16hLN4vllm18Fp8KVCacheDataTypeE1ES0_Li32ELi64ELi256ELb0ELi10EL8MFMAType0EEvPKT_PKT0_S9_ifPKiSB_SB_iPKfiiiPfSE_PS4_PT2_iSD_SD_.kd
    .uniform_work_group_size: 1
    .uses_dynamic_stack: false
    .vgpr_count:     62
    .vgpr_spill_count: 0
    .wavefront_size: 64
  - .agpr_count:     0
    .args:
      - .actual_access:  read_only
        .address_space:  global
        .offset:         0
        .size:           8
        .value_kind:     global_buffer
      - .actual_access:  read_only
        .address_space:  global
        .offset:         8
        .size:           8
        .value_kind:     global_buffer
      - .actual_access:  read_only
        .address_space:  global
        .offset:         16
        .size:           8
        .value_kind:     global_buffer
      - .offset:         24
        .size:           4
        .value_kind:     by_value
      - .offset:         28
        .size:           4
        .value_kind:     by_value
      - .actual_access:  read_only
        .address_space:  global
        .offset:         32
        .size:           8
        .value_kind:     global_buffer
      - .actual_access:  read_only
        .address_space:  global
        .offset:         40
        .size:           8
        .value_kind:     global_buffer
      - .actual_access:  read_only
        .address_space:  global
        .offset:         48
        .size:           8
        .value_kind:     global_buffer
      - .offset:         56
        .size:           4
        .value_kind:     by_value
      - .actual_access:  read_only
        .address_space:  global
        .offset:         64
        .size:           8
        .value_kind:     global_buffer
      - .offset:         72
        .size:           4
        .value_kind:     by_value
      - .offset:         76
        .size:           4
        .value_kind:     by_value
      - .offset:         80
        .size:           4
        .value_kind:     by_value
      - .actual_access:  write_only
        .address_space:  global
        .offset:         88
        .size:           8
        .value_kind:     global_buffer
      - .actual_access:  write_only
        .address_space:  global
        .offset:         96
        .size:           8
        .value_kind:     global_buffer
      - .actual_access:  write_only
        .address_space:  global
        .offset:         104
        .size:           8
        .value_kind:     global_buffer
      - .actual_access:  read_only
        .address_space:  global
        .offset:         112
        .size:           8
        .value_kind:     global_buffer
      - .offset:         120
        .size:           4
        .value_kind:     by_value
      - .address_space:  global
        .offset:         128
        .size:           8
        .value_kind:     global_buffer
      - .address_space:  global
        .offset:         136
        .size:           8
        .value_kind:     global_buffer
      - .offset:         144
        .size:           4
        .value_kind:     hidden_block_count_x
      - .offset:         148
        .size:           4
        .value_kind:     hidden_block_count_y
      - .offset:         152
        .size:           4
        .value_kind:     hidden_block_count_z
      - .offset:         156
        .size:           2
        .value_kind:     hidden_group_size_x
      - .offset:         158
        .size:           2
        .value_kind:     hidden_group_size_y
      - .offset:         160
        .size:           2
        .value_kind:     hidden_group_size_z
      - .offset:         162
        .size:           2
        .value_kind:     hidden_remainder_x
      - .offset:         164
        .size:           2
        .value_kind:     hidden_remainder_y
      - .offset:         166
        .size:           2
        .value_kind:     hidden_remainder_z
      - .offset:         184
        .size:           8
        .value_kind:     hidden_global_offset_x
      - .offset:         192
        .size:           8
        .value_kind:     hidden_global_offset_y
      - .offset:         200
        .size:           8
        .value_kind:     hidden_global_offset_z
      - .offset:         208
        .size:           2
        .value_kind:     hidden_grid_dims
    .group_segment_fixed_size: 8192
    .kernarg_segment_align: 8
    .kernarg_segment_size: 400
    .language:       OpenCL C
    .language_version:
      - 2
      - 0
    .max_flat_workgroup_size: 256
    .name:           _Z39paged_attention_ll4mi_QKV_mfma16_kernelI14__hip_bfloat16hLN4vllm18Fp8KVCacheDataTypeE1ES0_Li32ELi64ELi256ELb0ELi11EL8MFMAType0EEvPKT_PKT0_S9_ifPKiSB_SB_iPKfiiiPfSE_PS4_PT2_iSD_SD_
    .private_segment_fixed_size: 0
    .sgpr_count:     51
    .sgpr_spill_count: 0
    .symbol:         _Z39paged_attention_ll4mi_QKV_mfma16_kernelI14__hip_bfloat16hLN4vllm18Fp8KVCacheDataTypeE1ES0_Li32ELi64ELi256ELb0ELi11EL8MFMAType0EEvPKT_PKT0_S9_ifPKiSB_SB_iPKfiiiPfSE_PS4_PT2_iSD_SD_.kd
    .uniform_work_group_size: 1
    .uses_dynamic_stack: false
    .vgpr_count:     62
    .vgpr_spill_count: 0
    .wavefront_size: 64
  - .agpr_count:     0
    .args:
      - .actual_access:  read_only
        .address_space:  global
        .offset:         0
        .size:           8
        .value_kind:     global_buffer
      - .actual_access:  read_only
        .address_space:  global
        .offset:         8
        .size:           8
        .value_kind:     global_buffer
      - .actual_access:  read_only
        .address_space:  global
        .offset:         16
        .size:           8
        .value_kind:     global_buffer
      - .offset:         24
        .size:           4
        .value_kind:     by_value
      - .offset:         28
        .size:           4
        .value_kind:     by_value
      - .actual_access:  read_only
        .address_space:  global
        .offset:         32
        .size:           8
        .value_kind:     global_buffer
      - .actual_access:  read_only
        .address_space:  global
        .offset:         40
        .size:           8
        .value_kind:     global_buffer
      - .actual_access:  read_only
        .address_space:  global
        .offset:         48
        .size:           8
        .value_kind:     global_buffer
      - .offset:         56
        .size:           4
        .value_kind:     by_value
      - .actual_access:  read_only
        .address_space:  global
        .offset:         64
        .size:           8
        .value_kind:     global_buffer
      - .offset:         72
        .size:           4
        .value_kind:     by_value
      - .offset:         76
        .size:           4
        .value_kind:     by_value
      - .offset:         80
        .size:           4
        .value_kind:     by_value
      - .actual_access:  write_only
        .address_space:  global
        .offset:         88
        .size:           8
        .value_kind:     global_buffer
      - .actual_access:  write_only
        .address_space:  global
        .offset:         96
        .size:           8
        .value_kind:     global_buffer
      - .actual_access:  write_only
        .address_space:  global
        .offset:         104
        .size:           8
        .value_kind:     global_buffer
      - .actual_access:  read_only
        .address_space:  global
        .offset:         112
        .size:           8
        .value_kind:     global_buffer
      - .offset:         120
        .size:           4
        .value_kind:     by_value
      - .address_space:  global
        .offset:         128
        .size:           8
        .value_kind:     global_buffer
      - .address_space:  global
        .offset:         136
        .size:           8
        .value_kind:     global_buffer
      - .offset:         144
        .size:           4
        .value_kind:     hidden_block_count_x
      - .offset:         148
        .size:           4
        .value_kind:     hidden_block_count_y
      - .offset:         152
        .size:           4
        .value_kind:     hidden_block_count_z
      - .offset:         156
        .size:           2
        .value_kind:     hidden_group_size_x
      - .offset:         158
        .size:           2
        .value_kind:     hidden_group_size_y
      - .offset:         160
        .size:           2
        .value_kind:     hidden_group_size_z
      - .offset:         162
        .size:           2
        .value_kind:     hidden_remainder_x
      - .offset:         164
        .size:           2
        .value_kind:     hidden_remainder_y
      - .offset:         166
        .size:           2
        .value_kind:     hidden_remainder_z
      - .offset:         184
        .size:           8
        .value_kind:     hidden_global_offset_x
      - .offset:         192
        .size:           8
        .value_kind:     hidden_global_offset_y
      - .offset:         200
        .size:           8
        .value_kind:     hidden_global_offset_z
      - .offset:         208
        .size:           2
        .value_kind:     hidden_grid_dims
    .group_segment_fixed_size: 8192
    .kernarg_segment_align: 8
    .kernarg_segment_size: 400
    .language:       OpenCL C
    .language_version:
      - 2
      - 0
    .max_flat_workgroup_size: 256
    .name:           _Z39paged_attention_ll4mi_QKV_mfma16_kernelI14__hip_bfloat16hLN4vllm18Fp8KVCacheDataTypeE1ES0_Li32ELi64ELi256ELb0ELi12EL8MFMAType0EEvPKT_PKT0_S9_ifPKiSB_SB_iPKfiiiPfSE_PS4_PT2_iSD_SD_
    .private_segment_fixed_size: 0
    .sgpr_count:     51
    .sgpr_spill_count: 0
    .symbol:         _Z39paged_attention_ll4mi_QKV_mfma16_kernelI14__hip_bfloat16hLN4vllm18Fp8KVCacheDataTypeE1ES0_Li32ELi64ELi256ELb0ELi12EL8MFMAType0EEvPKT_PKT0_S9_ifPKiSB_SB_iPKfiiiPfSE_PS4_PT2_iSD_SD_.kd
    .uniform_work_group_size: 1
    .uses_dynamic_stack: false
    .vgpr_count:     62
    .vgpr_spill_count: 0
    .wavefront_size: 64
  - .agpr_count:     0
    .args:
      - .actual_access:  read_only
        .address_space:  global
        .offset:         0
        .size:           8
        .value_kind:     global_buffer
      - .actual_access:  read_only
        .address_space:  global
        .offset:         8
        .size:           8
        .value_kind:     global_buffer
      - .actual_access:  read_only
        .address_space:  global
        .offset:         16
        .size:           8
        .value_kind:     global_buffer
      - .offset:         24
        .size:           4
        .value_kind:     by_value
      - .offset:         28
        .size:           4
        .value_kind:     by_value
      - .actual_access:  read_only
        .address_space:  global
        .offset:         32
        .size:           8
        .value_kind:     global_buffer
      - .actual_access:  read_only
        .address_space:  global
        .offset:         40
        .size:           8
        .value_kind:     global_buffer
      - .actual_access:  read_only
        .address_space:  global
        .offset:         48
        .size:           8
        .value_kind:     global_buffer
      - .offset:         56
        .size:           4
        .value_kind:     by_value
      - .actual_access:  read_only
        .address_space:  global
        .offset:         64
        .size:           8
        .value_kind:     global_buffer
      - .offset:         72
        .size:           4
        .value_kind:     by_value
      - .offset:         76
        .size:           4
        .value_kind:     by_value
      - .offset:         80
        .size:           4
        .value_kind:     by_value
      - .actual_access:  write_only
        .address_space:  global
        .offset:         88
        .size:           8
        .value_kind:     global_buffer
      - .actual_access:  write_only
        .address_space:  global
        .offset:         96
        .size:           8
        .value_kind:     global_buffer
      - .actual_access:  write_only
        .address_space:  global
        .offset:         104
        .size:           8
        .value_kind:     global_buffer
      - .actual_access:  read_only
        .address_space:  global
        .offset:         112
        .size:           8
        .value_kind:     global_buffer
      - .offset:         120
        .size:           4
        .value_kind:     by_value
      - .address_space:  global
        .offset:         128
        .size:           8
        .value_kind:     global_buffer
      - .address_space:  global
        .offset:         136
        .size:           8
        .value_kind:     global_buffer
      - .offset:         144
        .size:           4
        .value_kind:     hidden_block_count_x
      - .offset:         148
        .size:           4
        .value_kind:     hidden_block_count_y
      - .offset:         152
        .size:           4
        .value_kind:     hidden_block_count_z
      - .offset:         156
        .size:           2
        .value_kind:     hidden_group_size_x
      - .offset:         158
        .size:           2
        .value_kind:     hidden_group_size_y
      - .offset:         160
        .size:           2
        .value_kind:     hidden_group_size_z
      - .offset:         162
        .size:           2
        .value_kind:     hidden_remainder_x
      - .offset:         164
        .size:           2
        .value_kind:     hidden_remainder_y
      - .offset:         166
        .size:           2
        .value_kind:     hidden_remainder_z
      - .offset:         184
        .size:           8
        .value_kind:     hidden_global_offset_x
      - .offset:         192
        .size:           8
        .value_kind:     hidden_global_offset_y
      - .offset:         200
        .size:           8
        .value_kind:     hidden_global_offset_z
      - .offset:         208
        .size:           2
        .value_kind:     hidden_grid_dims
    .group_segment_fixed_size: 8192
    .kernarg_segment_align: 8
    .kernarg_segment_size: 400
    .language:       OpenCL C
    .language_version:
      - 2
      - 0
    .max_flat_workgroup_size: 256
    .name:           _Z39paged_attention_ll4mi_QKV_mfma16_kernelI14__hip_bfloat16hLN4vllm18Fp8KVCacheDataTypeE1ES0_Li32ELi64ELi256ELb0ELi13EL8MFMAType0EEvPKT_PKT0_S9_ifPKiSB_SB_iPKfiiiPfSE_PS4_PT2_iSD_SD_
    .private_segment_fixed_size: 0
    .sgpr_count:     51
    .sgpr_spill_count: 0
    .symbol:         _Z39paged_attention_ll4mi_QKV_mfma16_kernelI14__hip_bfloat16hLN4vllm18Fp8KVCacheDataTypeE1ES0_Li32ELi64ELi256ELb0ELi13EL8MFMAType0EEvPKT_PKT0_S9_ifPKiSB_SB_iPKfiiiPfSE_PS4_PT2_iSD_SD_.kd
    .uniform_work_group_size: 1
    .uses_dynamic_stack: false
    .vgpr_count:     62
    .vgpr_spill_count: 0
    .wavefront_size: 64
  - .agpr_count:     0
    .args:
      - .actual_access:  read_only
        .address_space:  global
        .offset:         0
        .size:           8
        .value_kind:     global_buffer
      - .actual_access:  read_only
        .address_space:  global
        .offset:         8
        .size:           8
        .value_kind:     global_buffer
      - .actual_access:  read_only
        .address_space:  global
        .offset:         16
        .size:           8
        .value_kind:     global_buffer
      - .offset:         24
        .size:           4
        .value_kind:     by_value
      - .offset:         28
        .size:           4
        .value_kind:     by_value
      - .actual_access:  read_only
        .address_space:  global
        .offset:         32
        .size:           8
        .value_kind:     global_buffer
      - .actual_access:  read_only
        .address_space:  global
        .offset:         40
        .size:           8
        .value_kind:     global_buffer
      - .actual_access:  read_only
        .address_space:  global
        .offset:         48
        .size:           8
        .value_kind:     global_buffer
      - .offset:         56
        .size:           4
        .value_kind:     by_value
      - .actual_access:  read_only
        .address_space:  global
        .offset:         64
        .size:           8
        .value_kind:     global_buffer
      - .offset:         72
        .size:           4
        .value_kind:     by_value
      - .offset:         76
        .size:           4
        .value_kind:     by_value
      - .offset:         80
        .size:           4
        .value_kind:     by_value
      - .actual_access:  write_only
        .address_space:  global
        .offset:         88
        .size:           8
        .value_kind:     global_buffer
      - .actual_access:  write_only
        .address_space:  global
        .offset:         96
        .size:           8
        .value_kind:     global_buffer
      - .actual_access:  write_only
        .address_space:  global
        .offset:         104
        .size:           8
        .value_kind:     global_buffer
      - .actual_access:  read_only
        .address_space:  global
        .offset:         112
        .size:           8
        .value_kind:     global_buffer
      - .offset:         120
        .size:           4
        .value_kind:     by_value
      - .address_space:  global
        .offset:         128
        .size:           8
        .value_kind:     global_buffer
      - .address_space:  global
        .offset:         136
        .size:           8
        .value_kind:     global_buffer
      - .offset:         144
        .size:           4
        .value_kind:     hidden_block_count_x
      - .offset:         148
        .size:           4
        .value_kind:     hidden_block_count_y
      - .offset:         152
        .size:           4
        .value_kind:     hidden_block_count_z
      - .offset:         156
        .size:           2
        .value_kind:     hidden_group_size_x
      - .offset:         158
        .size:           2
        .value_kind:     hidden_group_size_y
      - .offset:         160
        .size:           2
        .value_kind:     hidden_group_size_z
      - .offset:         162
        .size:           2
        .value_kind:     hidden_remainder_x
      - .offset:         164
        .size:           2
        .value_kind:     hidden_remainder_y
      - .offset:         166
        .size:           2
        .value_kind:     hidden_remainder_z
      - .offset:         184
        .size:           8
        .value_kind:     hidden_global_offset_x
      - .offset:         192
        .size:           8
        .value_kind:     hidden_global_offset_y
      - .offset:         200
        .size:           8
        .value_kind:     hidden_global_offset_z
      - .offset:         208
        .size:           2
        .value_kind:     hidden_grid_dims
    .group_segment_fixed_size: 8192
    .kernarg_segment_align: 8
    .kernarg_segment_size: 400
    .language:       OpenCL C
    .language_version:
      - 2
      - 0
    .max_flat_workgroup_size: 256
    .name:           _Z39paged_attention_ll4mi_QKV_mfma16_kernelI14__hip_bfloat16hLN4vllm18Fp8KVCacheDataTypeE1ES0_Li32ELi64ELi256ELb0ELi14EL8MFMAType0EEvPKT_PKT0_S9_ifPKiSB_SB_iPKfiiiPfSE_PS4_PT2_iSD_SD_
    .private_segment_fixed_size: 0
    .sgpr_count:     51
    .sgpr_spill_count: 0
    .symbol:         _Z39paged_attention_ll4mi_QKV_mfma16_kernelI14__hip_bfloat16hLN4vllm18Fp8KVCacheDataTypeE1ES0_Li32ELi64ELi256ELb0ELi14EL8MFMAType0EEvPKT_PKT0_S9_ifPKiSB_SB_iPKfiiiPfSE_PS4_PT2_iSD_SD_.kd
    .uniform_work_group_size: 1
    .uses_dynamic_stack: false
    .vgpr_count:     62
    .vgpr_spill_count: 0
    .wavefront_size: 64
  - .agpr_count:     0
    .args:
      - .actual_access:  read_only
        .address_space:  global
        .offset:         0
        .size:           8
        .value_kind:     global_buffer
      - .actual_access:  read_only
        .address_space:  global
        .offset:         8
        .size:           8
        .value_kind:     global_buffer
      - .actual_access:  read_only
        .address_space:  global
        .offset:         16
        .size:           8
        .value_kind:     global_buffer
      - .offset:         24
        .size:           4
        .value_kind:     by_value
      - .offset:         28
        .size:           4
        .value_kind:     by_value
      - .actual_access:  read_only
        .address_space:  global
        .offset:         32
        .size:           8
        .value_kind:     global_buffer
      - .actual_access:  read_only
        .address_space:  global
        .offset:         40
        .size:           8
        .value_kind:     global_buffer
      - .actual_access:  read_only
        .address_space:  global
        .offset:         48
        .size:           8
        .value_kind:     global_buffer
      - .offset:         56
        .size:           4
        .value_kind:     by_value
      - .actual_access:  read_only
        .address_space:  global
        .offset:         64
        .size:           8
        .value_kind:     global_buffer
      - .offset:         72
        .size:           4
        .value_kind:     by_value
      - .offset:         76
        .size:           4
        .value_kind:     by_value
      - .offset:         80
        .size:           4
        .value_kind:     by_value
      - .actual_access:  write_only
        .address_space:  global
        .offset:         88
        .size:           8
        .value_kind:     global_buffer
      - .actual_access:  write_only
        .address_space:  global
        .offset:         96
        .size:           8
        .value_kind:     global_buffer
      - .actual_access:  write_only
        .address_space:  global
        .offset:         104
        .size:           8
        .value_kind:     global_buffer
      - .actual_access:  read_only
        .address_space:  global
        .offset:         112
        .size:           8
        .value_kind:     global_buffer
      - .offset:         120
        .size:           4
        .value_kind:     by_value
      - .address_space:  global
        .offset:         128
        .size:           8
        .value_kind:     global_buffer
      - .address_space:  global
        .offset:         136
        .size:           8
        .value_kind:     global_buffer
      - .offset:         144
        .size:           4
        .value_kind:     hidden_block_count_x
      - .offset:         148
        .size:           4
        .value_kind:     hidden_block_count_y
      - .offset:         152
        .size:           4
        .value_kind:     hidden_block_count_z
      - .offset:         156
        .size:           2
        .value_kind:     hidden_group_size_x
      - .offset:         158
        .size:           2
        .value_kind:     hidden_group_size_y
      - .offset:         160
        .size:           2
        .value_kind:     hidden_group_size_z
      - .offset:         162
        .size:           2
        .value_kind:     hidden_remainder_x
      - .offset:         164
        .size:           2
        .value_kind:     hidden_remainder_y
      - .offset:         166
        .size:           2
        .value_kind:     hidden_remainder_z
      - .offset:         184
        .size:           8
        .value_kind:     hidden_global_offset_x
      - .offset:         192
        .size:           8
        .value_kind:     hidden_global_offset_y
      - .offset:         200
        .size:           8
        .value_kind:     hidden_global_offset_z
      - .offset:         208
        .size:           2
        .value_kind:     hidden_grid_dims
    .group_segment_fixed_size: 8192
    .kernarg_segment_align: 8
    .kernarg_segment_size: 400
    .language:       OpenCL C
    .language_version:
      - 2
      - 0
    .max_flat_workgroup_size: 256
    .name:           _Z39paged_attention_ll4mi_QKV_mfma16_kernelI14__hip_bfloat16hLN4vllm18Fp8KVCacheDataTypeE1ES0_Li32ELi64ELi256ELb0ELi15EL8MFMAType0EEvPKT_PKT0_S9_ifPKiSB_SB_iPKfiiiPfSE_PS4_PT2_iSD_SD_
    .private_segment_fixed_size: 0
    .sgpr_count:     51
    .sgpr_spill_count: 0
    .symbol:         _Z39paged_attention_ll4mi_QKV_mfma16_kernelI14__hip_bfloat16hLN4vllm18Fp8KVCacheDataTypeE1ES0_Li32ELi64ELi256ELb0ELi15EL8MFMAType0EEvPKT_PKT0_S9_ifPKiSB_SB_iPKfiiiPfSE_PS4_PT2_iSD_SD_.kd
    .uniform_work_group_size: 1
    .uses_dynamic_stack: false
    .vgpr_count:     62
    .vgpr_spill_count: 0
    .wavefront_size: 64
  - .agpr_count:     0
    .args:
      - .actual_access:  read_only
        .address_space:  global
        .offset:         0
        .size:           8
        .value_kind:     global_buffer
      - .actual_access:  read_only
        .address_space:  global
        .offset:         8
        .size:           8
        .value_kind:     global_buffer
      - .actual_access:  read_only
        .address_space:  global
        .offset:         16
        .size:           8
        .value_kind:     global_buffer
      - .offset:         24
        .size:           4
        .value_kind:     by_value
      - .offset:         28
        .size:           4
        .value_kind:     by_value
      - .actual_access:  read_only
        .address_space:  global
        .offset:         32
        .size:           8
        .value_kind:     global_buffer
      - .actual_access:  read_only
        .address_space:  global
        .offset:         40
        .size:           8
        .value_kind:     global_buffer
      - .actual_access:  read_only
        .address_space:  global
        .offset:         48
        .size:           8
        .value_kind:     global_buffer
      - .offset:         56
        .size:           4
        .value_kind:     by_value
      - .actual_access:  read_only
        .address_space:  global
        .offset:         64
        .size:           8
        .value_kind:     global_buffer
      - .offset:         72
        .size:           4
        .value_kind:     by_value
      - .offset:         76
        .size:           4
        .value_kind:     by_value
      - .offset:         80
        .size:           4
        .value_kind:     by_value
      - .actual_access:  write_only
        .address_space:  global
        .offset:         88
        .size:           8
        .value_kind:     global_buffer
      - .actual_access:  write_only
        .address_space:  global
        .offset:         96
        .size:           8
        .value_kind:     global_buffer
      - .actual_access:  write_only
        .address_space:  global
        .offset:         104
        .size:           8
        .value_kind:     global_buffer
      - .actual_access:  read_only
        .address_space:  global
        .offset:         112
        .size:           8
        .value_kind:     global_buffer
      - .offset:         120
        .size:           4
        .value_kind:     by_value
      - .address_space:  global
        .offset:         128
        .size:           8
        .value_kind:     global_buffer
      - .address_space:  global
        .offset:         136
        .size:           8
        .value_kind:     global_buffer
      - .offset:         144
        .size:           4
        .value_kind:     hidden_block_count_x
      - .offset:         148
        .size:           4
        .value_kind:     hidden_block_count_y
      - .offset:         152
        .size:           4
        .value_kind:     hidden_block_count_z
      - .offset:         156
        .size:           2
        .value_kind:     hidden_group_size_x
      - .offset:         158
        .size:           2
        .value_kind:     hidden_group_size_y
      - .offset:         160
        .size:           2
        .value_kind:     hidden_group_size_z
      - .offset:         162
        .size:           2
        .value_kind:     hidden_remainder_x
      - .offset:         164
        .size:           2
        .value_kind:     hidden_remainder_y
      - .offset:         166
        .size:           2
        .value_kind:     hidden_remainder_z
      - .offset:         184
        .size:           8
        .value_kind:     hidden_global_offset_x
      - .offset:         192
        .size:           8
        .value_kind:     hidden_global_offset_y
      - .offset:         200
        .size:           8
        .value_kind:     hidden_global_offset_z
      - .offset:         208
        .size:           2
        .value_kind:     hidden_grid_dims
    .group_segment_fixed_size: 8192
    .kernarg_segment_align: 8
    .kernarg_segment_size: 400
    .language:       OpenCL C
    .language_version:
      - 2
      - 0
    .max_flat_workgroup_size: 256
    .name:           _Z39paged_attention_ll4mi_QKV_mfma16_kernelI14__hip_bfloat16hLN4vllm18Fp8KVCacheDataTypeE1ES0_Li32ELi64ELi256ELb0ELi16EL8MFMAType0EEvPKT_PKT0_S9_ifPKiSB_SB_iPKfiiiPfSE_PS4_PT2_iSD_SD_
    .private_segment_fixed_size: 0
    .sgpr_count:     51
    .sgpr_spill_count: 0
    .symbol:         _Z39paged_attention_ll4mi_QKV_mfma16_kernelI14__hip_bfloat16hLN4vllm18Fp8KVCacheDataTypeE1ES0_Li32ELi64ELi256ELb0ELi16EL8MFMAType0EEvPKT_PKT0_S9_ifPKiSB_SB_iPKfiiiPfSE_PS4_PT2_iSD_SD_.kd
    .uniform_work_group_size: 1
    .uses_dynamic_stack: false
    .vgpr_count:     63
    .vgpr_spill_count: 0
    .wavefront_size: 64
  - .agpr_count:     0
    .args:
      - .actual_access:  read_only
        .address_space:  global
        .offset:         0
        .size:           8
        .value_kind:     global_buffer
      - .actual_access:  read_only
        .address_space:  global
        .offset:         8
        .size:           8
        .value_kind:     global_buffer
      - .actual_access:  read_only
        .address_space:  global
        .offset:         16
        .size:           8
        .value_kind:     global_buffer
      - .offset:         24
        .size:           4
        .value_kind:     by_value
      - .offset:         28
        .size:           4
        .value_kind:     by_value
      - .actual_access:  read_only
        .address_space:  global
        .offset:         32
        .size:           8
        .value_kind:     global_buffer
      - .actual_access:  read_only
        .address_space:  global
        .offset:         40
        .size:           8
        .value_kind:     global_buffer
      - .actual_access:  read_only
        .address_space:  global
        .offset:         48
        .size:           8
        .value_kind:     global_buffer
      - .offset:         56
        .size:           4
        .value_kind:     by_value
      - .actual_access:  read_only
        .address_space:  global
        .offset:         64
        .size:           8
        .value_kind:     global_buffer
      - .offset:         72
        .size:           4
        .value_kind:     by_value
      - .offset:         76
        .size:           4
        .value_kind:     by_value
      - .offset:         80
        .size:           4
        .value_kind:     by_value
      - .actual_access:  write_only
        .address_space:  global
        .offset:         88
        .size:           8
        .value_kind:     global_buffer
      - .actual_access:  write_only
        .address_space:  global
        .offset:         96
        .size:           8
        .value_kind:     global_buffer
      - .actual_access:  write_only
        .address_space:  global
        .offset:         104
        .size:           8
        .value_kind:     global_buffer
      - .actual_access:  read_only
        .address_space:  global
        .offset:         112
        .size:           8
        .value_kind:     global_buffer
      - .offset:         120
        .size:           4
        .value_kind:     by_value
      - .address_space:  global
        .offset:         128
        .size:           8
        .value_kind:     global_buffer
      - .address_space:  global
        .offset:         136
        .size:           8
        .value_kind:     global_buffer
      - .offset:         144
        .size:           4
        .value_kind:     hidden_block_count_x
      - .offset:         148
        .size:           4
        .value_kind:     hidden_block_count_y
      - .offset:         152
        .size:           4
        .value_kind:     hidden_block_count_z
      - .offset:         156
        .size:           2
        .value_kind:     hidden_group_size_x
      - .offset:         158
        .size:           2
        .value_kind:     hidden_group_size_y
      - .offset:         160
        .size:           2
        .value_kind:     hidden_group_size_z
      - .offset:         162
        .size:           2
        .value_kind:     hidden_remainder_x
      - .offset:         164
        .size:           2
        .value_kind:     hidden_remainder_y
      - .offset:         166
        .size:           2
        .value_kind:     hidden_remainder_z
      - .offset:         184
        .size:           8
        .value_kind:     hidden_global_offset_x
      - .offset:         192
        .size:           8
        .value_kind:     hidden_global_offset_y
      - .offset:         200
        .size:           8
        .value_kind:     hidden_global_offset_z
      - .offset:         208
        .size:           2
        .value_kind:     hidden_grid_dims
    .group_segment_fixed_size: 8192
    .kernarg_segment_align: 8
    .kernarg_segment_size: 400
    .language:       OpenCL C
    .language_version:
      - 2
      - 0
    .max_flat_workgroup_size: 256
    .name:           _Z39paged_attention_ll4mi_QKV_mfma16_kernelI14__hip_bfloat16hLN4vllm18Fp8KVCacheDataTypeE1ES0_Li32ELi64ELi256ELb0ELi1EL8MFMAType0EEvPKT_PKT0_S9_ifPKiSB_SB_iPKfiiiPfSE_PS4_PT2_iSD_SD_
    .private_segment_fixed_size: 0
    .sgpr_count:     51
    .sgpr_spill_count: 0
    .symbol:         _Z39paged_attention_ll4mi_QKV_mfma16_kernelI14__hip_bfloat16hLN4vllm18Fp8KVCacheDataTypeE1ES0_Li32ELi64ELi256ELb0ELi1EL8MFMAType0EEvPKT_PKT0_S9_ifPKiSB_SB_iPKfiiiPfSE_PS4_PT2_iSD_SD_.kd
    .uniform_work_group_size: 1
    .uses_dynamic_stack: false
    .vgpr_count:     62
    .vgpr_spill_count: 0
    .wavefront_size: 64
  - .agpr_count:     0
    .args:
      - .actual_access:  read_only
        .address_space:  global
        .offset:         0
        .size:           8
        .value_kind:     global_buffer
      - .actual_access:  read_only
        .address_space:  global
        .offset:         8
        .size:           8
        .value_kind:     global_buffer
      - .actual_access:  read_only
        .address_space:  global
        .offset:         16
        .size:           8
        .value_kind:     global_buffer
      - .offset:         24
        .size:           4
        .value_kind:     by_value
      - .offset:         28
        .size:           4
        .value_kind:     by_value
      - .actual_access:  read_only
        .address_space:  global
        .offset:         32
        .size:           8
        .value_kind:     global_buffer
      - .actual_access:  read_only
        .address_space:  global
        .offset:         40
        .size:           8
        .value_kind:     global_buffer
      - .actual_access:  read_only
        .address_space:  global
        .offset:         48
        .size:           8
        .value_kind:     global_buffer
      - .offset:         56
        .size:           4
        .value_kind:     by_value
      - .actual_access:  read_only
        .address_space:  global
        .offset:         64
        .size:           8
        .value_kind:     global_buffer
      - .offset:         72
        .size:           4
        .value_kind:     by_value
      - .offset:         76
        .size:           4
        .value_kind:     by_value
      - .offset:         80
        .size:           4
        .value_kind:     by_value
      - .actual_access:  write_only
        .address_space:  global
        .offset:         88
        .size:           8
        .value_kind:     global_buffer
      - .actual_access:  write_only
        .address_space:  global
        .offset:         96
        .size:           8
        .value_kind:     global_buffer
      - .actual_access:  write_only
        .address_space:  global
        .offset:         104
        .size:           8
        .value_kind:     global_buffer
      - .actual_access:  read_only
        .address_space:  global
        .offset:         112
        .size:           8
        .value_kind:     global_buffer
      - .offset:         120
        .size:           4
        .value_kind:     by_value
      - .address_space:  global
        .offset:         128
        .size:           8
        .value_kind:     global_buffer
      - .address_space:  global
        .offset:         136
        .size:           8
        .value_kind:     global_buffer
      - .offset:         144
        .size:           4
        .value_kind:     hidden_block_count_x
      - .offset:         148
        .size:           4
        .value_kind:     hidden_block_count_y
      - .offset:         152
        .size:           4
        .value_kind:     hidden_block_count_z
      - .offset:         156
        .size:           2
        .value_kind:     hidden_group_size_x
      - .offset:         158
        .size:           2
        .value_kind:     hidden_group_size_y
      - .offset:         160
        .size:           2
        .value_kind:     hidden_group_size_z
      - .offset:         162
        .size:           2
        .value_kind:     hidden_remainder_x
      - .offset:         164
        .size:           2
        .value_kind:     hidden_remainder_y
      - .offset:         166
        .size:           2
        .value_kind:     hidden_remainder_z
      - .offset:         184
        .size:           8
        .value_kind:     hidden_global_offset_x
      - .offset:         192
        .size:           8
        .value_kind:     hidden_global_offset_y
      - .offset:         200
        .size:           8
        .value_kind:     hidden_global_offset_z
      - .offset:         208
        .size:           2
        .value_kind:     hidden_grid_dims
    .group_segment_fixed_size: 8192
    .kernarg_segment_align: 8
    .kernarg_segment_size: 400
    .language:       OpenCL C
    .language_version:
      - 2
      - 0
    .max_flat_workgroup_size: 256
    .name:           _Z39paged_attention_ll4mi_QKV_mfma16_kernelI14__hip_bfloat16hLN4vllm18Fp8KVCacheDataTypeE1ES0_Li32ELi64ELi256ELb0ELi2EL8MFMAType0EEvPKT_PKT0_S9_ifPKiSB_SB_iPKfiiiPfSE_PS4_PT2_iSD_SD_
    .private_segment_fixed_size: 0
    .sgpr_count:     51
    .sgpr_spill_count: 0
    .symbol:         _Z39paged_attention_ll4mi_QKV_mfma16_kernelI14__hip_bfloat16hLN4vllm18Fp8KVCacheDataTypeE1ES0_Li32ELi64ELi256ELb0ELi2EL8MFMAType0EEvPKT_PKT0_S9_ifPKiSB_SB_iPKfiiiPfSE_PS4_PT2_iSD_SD_.kd
    .uniform_work_group_size: 1
    .uses_dynamic_stack: false
    .vgpr_count:     62
    .vgpr_spill_count: 0
    .wavefront_size: 64
  - .agpr_count:     0
    .args:
      - .actual_access:  read_only
        .address_space:  global
        .offset:         0
        .size:           8
        .value_kind:     global_buffer
      - .actual_access:  read_only
        .address_space:  global
        .offset:         8
        .size:           8
        .value_kind:     global_buffer
      - .actual_access:  read_only
        .address_space:  global
        .offset:         16
        .size:           8
        .value_kind:     global_buffer
      - .offset:         24
        .size:           4
        .value_kind:     by_value
      - .offset:         28
        .size:           4
        .value_kind:     by_value
      - .actual_access:  read_only
        .address_space:  global
        .offset:         32
        .size:           8
        .value_kind:     global_buffer
      - .actual_access:  read_only
        .address_space:  global
        .offset:         40
        .size:           8
        .value_kind:     global_buffer
      - .actual_access:  read_only
        .address_space:  global
        .offset:         48
        .size:           8
        .value_kind:     global_buffer
      - .offset:         56
        .size:           4
        .value_kind:     by_value
      - .actual_access:  read_only
        .address_space:  global
        .offset:         64
        .size:           8
        .value_kind:     global_buffer
      - .offset:         72
        .size:           4
        .value_kind:     by_value
      - .offset:         76
        .size:           4
        .value_kind:     by_value
      - .offset:         80
        .size:           4
        .value_kind:     by_value
      - .actual_access:  write_only
        .address_space:  global
        .offset:         88
        .size:           8
        .value_kind:     global_buffer
      - .actual_access:  write_only
        .address_space:  global
        .offset:         96
        .size:           8
        .value_kind:     global_buffer
      - .actual_access:  write_only
        .address_space:  global
        .offset:         104
        .size:           8
        .value_kind:     global_buffer
      - .actual_access:  read_only
        .address_space:  global
        .offset:         112
        .size:           8
        .value_kind:     global_buffer
      - .offset:         120
        .size:           4
        .value_kind:     by_value
      - .address_space:  global
        .offset:         128
        .size:           8
        .value_kind:     global_buffer
      - .address_space:  global
        .offset:         136
        .size:           8
        .value_kind:     global_buffer
      - .offset:         144
        .size:           4
        .value_kind:     hidden_block_count_x
      - .offset:         148
        .size:           4
        .value_kind:     hidden_block_count_y
      - .offset:         152
        .size:           4
        .value_kind:     hidden_block_count_z
      - .offset:         156
        .size:           2
        .value_kind:     hidden_group_size_x
      - .offset:         158
        .size:           2
        .value_kind:     hidden_group_size_y
      - .offset:         160
        .size:           2
        .value_kind:     hidden_group_size_z
      - .offset:         162
        .size:           2
        .value_kind:     hidden_remainder_x
      - .offset:         164
        .size:           2
        .value_kind:     hidden_remainder_y
      - .offset:         166
        .size:           2
        .value_kind:     hidden_remainder_z
      - .offset:         184
        .size:           8
        .value_kind:     hidden_global_offset_x
      - .offset:         192
        .size:           8
        .value_kind:     hidden_global_offset_y
      - .offset:         200
        .size:           8
        .value_kind:     hidden_global_offset_z
      - .offset:         208
        .size:           2
        .value_kind:     hidden_grid_dims
    .group_segment_fixed_size: 8192
    .kernarg_segment_align: 8
    .kernarg_segment_size: 400
    .language:       OpenCL C
    .language_version:
      - 2
      - 0
    .max_flat_workgroup_size: 256
    .name:           _Z39paged_attention_ll4mi_QKV_mfma16_kernelI14__hip_bfloat16hLN4vllm18Fp8KVCacheDataTypeE1ES0_Li32ELi64ELi256ELb0ELi3EL8MFMAType0EEvPKT_PKT0_S9_ifPKiSB_SB_iPKfiiiPfSE_PS4_PT2_iSD_SD_
    .private_segment_fixed_size: 0
    .sgpr_count:     51
    .sgpr_spill_count: 0
    .symbol:         _Z39paged_attention_ll4mi_QKV_mfma16_kernelI14__hip_bfloat16hLN4vllm18Fp8KVCacheDataTypeE1ES0_Li32ELi64ELi256ELb0ELi3EL8MFMAType0EEvPKT_PKT0_S9_ifPKiSB_SB_iPKfiiiPfSE_PS4_PT2_iSD_SD_.kd
    .uniform_work_group_size: 1
    .uses_dynamic_stack: false
    .vgpr_count:     63
    .vgpr_spill_count: 0
    .wavefront_size: 64
  - .agpr_count:     0
    .args:
      - .actual_access:  read_only
        .address_space:  global
        .offset:         0
        .size:           8
        .value_kind:     global_buffer
      - .actual_access:  read_only
        .address_space:  global
        .offset:         8
        .size:           8
        .value_kind:     global_buffer
      - .actual_access:  read_only
        .address_space:  global
        .offset:         16
        .size:           8
        .value_kind:     global_buffer
      - .offset:         24
        .size:           4
        .value_kind:     by_value
      - .offset:         28
        .size:           4
        .value_kind:     by_value
      - .actual_access:  read_only
        .address_space:  global
        .offset:         32
        .size:           8
        .value_kind:     global_buffer
      - .actual_access:  read_only
        .address_space:  global
        .offset:         40
        .size:           8
        .value_kind:     global_buffer
      - .actual_access:  read_only
        .address_space:  global
        .offset:         48
        .size:           8
        .value_kind:     global_buffer
      - .offset:         56
        .size:           4
        .value_kind:     by_value
      - .actual_access:  read_only
        .address_space:  global
        .offset:         64
        .size:           8
        .value_kind:     global_buffer
      - .offset:         72
        .size:           4
        .value_kind:     by_value
      - .offset:         76
        .size:           4
        .value_kind:     by_value
      - .offset:         80
        .size:           4
        .value_kind:     by_value
      - .actual_access:  write_only
        .address_space:  global
        .offset:         88
        .size:           8
        .value_kind:     global_buffer
      - .actual_access:  write_only
        .address_space:  global
        .offset:         96
        .size:           8
        .value_kind:     global_buffer
      - .actual_access:  write_only
        .address_space:  global
        .offset:         104
        .size:           8
        .value_kind:     global_buffer
      - .actual_access:  read_only
        .address_space:  global
        .offset:         112
        .size:           8
        .value_kind:     global_buffer
      - .offset:         120
        .size:           4
        .value_kind:     by_value
      - .address_space:  global
        .offset:         128
        .size:           8
        .value_kind:     global_buffer
      - .address_space:  global
        .offset:         136
        .size:           8
        .value_kind:     global_buffer
      - .offset:         144
        .size:           4
        .value_kind:     hidden_block_count_x
      - .offset:         148
        .size:           4
        .value_kind:     hidden_block_count_y
      - .offset:         152
        .size:           4
        .value_kind:     hidden_block_count_z
      - .offset:         156
        .size:           2
        .value_kind:     hidden_group_size_x
      - .offset:         158
        .size:           2
        .value_kind:     hidden_group_size_y
      - .offset:         160
        .size:           2
        .value_kind:     hidden_group_size_z
      - .offset:         162
        .size:           2
        .value_kind:     hidden_remainder_x
      - .offset:         164
        .size:           2
        .value_kind:     hidden_remainder_y
      - .offset:         166
        .size:           2
        .value_kind:     hidden_remainder_z
      - .offset:         184
        .size:           8
        .value_kind:     hidden_global_offset_x
      - .offset:         192
        .size:           8
        .value_kind:     hidden_global_offset_y
      - .offset:         200
        .size:           8
        .value_kind:     hidden_global_offset_z
      - .offset:         208
        .size:           2
        .value_kind:     hidden_grid_dims
    .group_segment_fixed_size: 8192
    .kernarg_segment_align: 8
    .kernarg_segment_size: 400
    .language:       OpenCL C
    .language_version:
      - 2
      - 0
    .max_flat_workgroup_size: 256
    .name:           _Z39paged_attention_ll4mi_QKV_mfma16_kernelI14__hip_bfloat16hLN4vllm18Fp8KVCacheDataTypeE1ES0_Li32ELi64ELi256ELb0ELi4EL8MFMAType0EEvPKT_PKT0_S9_ifPKiSB_SB_iPKfiiiPfSE_PS4_PT2_iSD_SD_
    .private_segment_fixed_size: 0
    .sgpr_count:     52
    .sgpr_spill_count: 0
    .symbol:         _Z39paged_attention_ll4mi_QKV_mfma16_kernelI14__hip_bfloat16hLN4vllm18Fp8KVCacheDataTypeE1ES0_Li32ELi64ELi256ELb0ELi4EL8MFMAType0EEvPKT_PKT0_S9_ifPKiSB_SB_iPKfiiiPfSE_PS4_PT2_iSD_SD_.kd
    .uniform_work_group_size: 1
    .uses_dynamic_stack: false
    .vgpr_count:     64
    .vgpr_spill_count: 0
    .wavefront_size: 64
  - .agpr_count:     0
    .args:
      - .actual_access:  read_only
        .address_space:  global
        .offset:         0
        .size:           8
        .value_kind:     global_buffer
      - .actual_access:  read_only
        .address_space:  global
        .offset:         8
        .size:           8
        .value_kind:     global_buffer
      - .actual_access:  read_only
        .address_space:  global
        .offset:         16
        .size:           8
        .value_kind:     global_buffer
      - .offset:         24
        .size:           4
        .value_kind:     by_value
      - .offset:         28
        .size:           4
        .value_kind:     by_value
      - .actual_access:  read_only
        .address_space:  global
        .offset:         32
        .size:           8
        .value_kind:     global_buffer
      - .actual_access:  read_only
        .address_space:  global
        .offset:         40
        .size:           8
        .value_kind:     global_buffer
      - .actual_access:  read_only
        .address_space:  global
        .offset:         48
        .size:           8
        .value_kind:     global_buffer
      - .offset:         56
        .size:           4
        .value_kind:     by_value
      - .actual_access:  read_only
        .address_space:  global
        .offset:         64
        .size:           8
        .value_kind:     global_buffer
      - .offset:         72
        .size:           4
        .value_kind:     by_value
      - .offset:         76
        .size:           4
        .value_kind:     by_value
      - .offset:         80
        .size:           4
        .value_kind:     by_value
      - .actual_access:  write_only
        .address_space:  global
        .offset:         88
        .size:           8
        .value_kind:     global_buffer
      - .actual_access:  write_only
        .address_space:  global
        .offset:         96
        .size:           8
        .value_kind:     global_buffer
      - .actual_access:  write_only
        .address_space:  global
        .offset:         104
        .size:           8
        .value_kind:     global_buffer
      - .actual_access:  read_only
        .address_space:  global
        .offset:         112
        .size:           8
        .value_kind:     global_buffer
      - .offset:         120
        .size:           4
        .value_kind:     by_value
      - .address_space:  global
        .offset:         128
        .size:           8
        .value_kind:     global_buffer
      - .address_space:  global
        .offset:         136
        .size:           8
        .value_kind:     global_buffer
      - .offset:         144
        .size:           4
        .value_kind:     hidden_block_count_x
      - .offset:         148
        .size:           4
        .value_kind:     hidden_block_count_y
      - .offset:         152
        .size:           4
        .value_kind:     hidden_block_count_z
      - .offset:         156
        .size:           2
        .value_kind:     hidden_group_size_x
      - .offset:         158
        .size:           2
        .value_kind:     hidden_group_size_y
      - .offset:         160
        .size:           2
        .value_kind:     hidden_group_size_z
      - .offset:         162
        .size:           2
        .value_kind:     hidden_remainder_x
      - .offset:         164
        .size:           2
        .value_kind:     hidden_remainder_y
      - .offset:         166
        .size:           2
        .value_kind:     hidden_remainder_z
      - .offset:         184
        .size:           8
        .value_kind:     hidden_global_offset_x
      - .offset:         192
        .size:           8
        .value_kind:     hidden_global_offset_y
      - .offset:         200
        .size:           8
        .value_kind:     hidden_global_offset_z
      - .offset:         208
        .size:           2
        .value_kind:     hidden_grid_dims
    .group_segment_fixed_size: 8192
    .kernarg_segment_align: 8
    .kernarg_segment_size: 400
    .language:       OpenCL C
    .language_version:
      - 2
      - 0
    .max_flat_workgroup_size: 256
    .name:           _Z39paged_attention_ll4mi_QKV_mfma16_kernelI14__hip_bfloat16hLN4vllm18Fp8KVCacheDataTypeE1ES0_Li16ELi128ELi256ELb1ELi5EL8MFMAType0EEvPKT_PKT0_S9_ifPKiSB_SB_iPKfiiiPfSE_PS4_PT2_iSD_SD_
    .private_segment_fixed_size: 352
    .sgpr_count:     57
    .sgpr_spill_count: 0
    .symbol:         _Z39paged_attention_ll4mi_QKV_mfma16_kernelI14__hip_bfloat16hLN4vllm18Fp8KVCacheDataTypeE1ES0_Li16ELi128ELi256ELb1ELi5EL8MFMAType0EEvPKT_PKT0_S9_ifPKiSB_SB_iPKfiiiPfSE_PS4_PT2_iSD_SD_.kd
    .uniform_work_group_size: 1
    .uses_dynamic_stack: false
    .vgpr_count:     80
    .vgpr_spill_count: 0
    .wavefront_size: 64
  - .agpr_count:     0
    .args:
      - .actual_access:  read_only
        .address_space:  global
        .offset:         0
        .size:           8
        .value_kind:     global_buffer
      - .actual_access:  read_only
        .address_space:  global
        .offset:         8
        .size:           8
        .value_kind:     global_buffer
      - .actual_access:  read_only
        .address_space:  global
        .offset:         16
        .size:           8
        .value_kind:     global_buffer
      - .offset:         24
        .size:           4
        .value_kind:     by_value
      - .offset:         28
        .size:           4
        .value_kind:     by_value
      - .actual_access:  read_only
        .address_space:  global
        .offset:         32
        .size:           8
        .value_kind:     global_buffer
      - .actual_access:  read_only
        .address_space:  global
        .offset:         40
        .size:           8
        .value_kind:     global_buffer
      - .actual_access:  read_only
        .address_space:  global
        .offset:         48
        .size:           8
        .value_kind:     global_buffer
      - .offset:         56
        .size:           4
        .value_kind:     by_value
      - .actual_access:  read_only
        .address_space:  global
        .offset:         64
        .size:           8
        .value_kind:     global_buffer
      - .offset:         72
        .size:           4
        .value_kind:     by_value
      - .offset:         76
        .size:           4
        .value_kind:     by_value
      - .offset:         80
        .size:           4
        .value_kind:     by_value
      - .actual_access:  write_only
        .address_space:  global
        .offset:         88
        .size:           8
        .value_kind:     global_buffer
      - .actual_access:  write_only
        .address_space:  global
        .offset:         96
        .size:           8
        .value_kind:     global_buffer
      - .actual_access:  write_only
        .address_space:  global
        .offset:         104
        .size:           8
        .value_kind:     global_buffer
      - .actual_access:  read_only
        .address_space:  global
        .offset:         112
        .size:           8
        .value_kind:     global_buffer
      - .offset:         120
        .size:           4
        .value_kind:     by_value
      - .address_space:  global
        .offset:         128
        .size:           8
        .value_kind:     global_buffer
      - .address_space:  global
        .offset:         136
        .size:           8
        .value_kind:     global_buffer
      - .offset:         144
        .size:           4
        .value_kind:     hidden_block_count_x
      - .offset:         148
        .size:           4
        .value_kind:     hidden_block_count_y
      - .offset:         152
        .size:           4
        .value_kind:     hidden_block_count_z
      - .offset:         156
        .size:           2
        .value_kind:     hidden_group_size_x
      - .offset:         158
        .size:           2
        .value_kind:     hidden_group_size_y
      - .offset:         160
        .size:           2
        .value_kind:     hidden_group_size_z
      - .offset:         162
        .size:           2
        .value_kind:     hidden_remainder_x
      - .offset:         164
        .size:           2
        .value_kind:     hidden_remainder_y
      - .offset:         166
        .size:           2
        .value_kind:     hidden_remainder_z
      - .offset:         184
        .size:           8
        .value_kind:     hidden_global_offset_x
      - .offset:         192
        .size:           8
        .value_kind:     hidden_global_offset_y
      - .offset:         200
        .size:           8
        .value_kind:     hidden_global_offset_z
      - .offset:         208
        .size:           2
        .value_kind:     hidden_grid_dims
    .group_segment_fixed_size: 8192
    .kernarg_segment_align: 8
    .kernarg_segment_size: 400
    .language:       OpenCL C
    .language_version:
      - 2
      - 0
    .max_flat_workgroup_size: 256
    .name:           _Z39paged_attention_ll4mi_QKV_mfma16_kernelI14__hip_bfloat16hLN4vllm18Fp8KVCacheDataTypeE1ES0_Li16ELi128ELi256ELb1ELi6EL8MFMAType0EEvPKT_PKT0_S9_ifPKiSB_SB_iPKfiiiPfSE_PS4_PT2_iSD_SD_
    .private_segment_fixed_size: 352
    .sgpr_count:     57
    .sgpr_spill_count: 0
    .symbol:         _Z39paged_attention_ll4mi_QKV_mfma16_kernelI14__hip_bfloat16hLN4vllm18Fp8KVCacheDataTypeE1ES0_Li16ELi128ELi256ELb1ELi6EL8MFMAType0EEvPKT_PKT0_S9_ifPKiSB_SB_iPKfiiiPfSE_PS4_PT2_iSD_SD_.kd
    .uniform_work_group_size: 1
    .uses_dynamic_stack: false
    .vgpr_count:     80
    .vgpr_spill_count: 0
    .wavefront_size: 64
  - .agpr_count:     0
    .args:
      - .actual_access:  read_only
        .address_space:  global
        .offset:         0
        .size:           8
        .value_kind:     global_buffer
      - .actual_access:  read_only
        .address_space:  global
        .offset:         8
        .size:           8
        .value_kind:     global_buffer
      - .actual_access:  read_only
        .address_space:  global
        .offset:         16
        .size:           8
        .value_kind:     global_buffer
      - .offset:         24
        .size:           4
        .value_kind:     by_value
      - .offset:         28
        .size:           4
        .value_kind:     by_value
      - .actual_access:  read_only
        .address_space:  global
        .offset:         32
        .size:           8
        .value_kind:     global_buffer
      - .actual_access:  read_only
        .address_space:  global
        .offset:         40
        .size:           8
        .value_kind:     global_buffer
      - .actual_access:  read_only
        .address_space:  global
        .offset:         48
        .size:           8
        .value_kind:     global_buffer
      - .offset:         56
        .size:           4
        .value_kind:     by_value
      - .actual_access:  read_only
        .address_space:  global
        .offset:         64
        .size:           8
        .value_kind:     global_buffer
      - .offset:         72
        .size:           4
        .value_kind:     by_value
      - .offset:         76
        .size:           4
        .value_kind:     by_value
      - .offset:         80
        .size:           4
        .value_kind:     by_value
      - .actual_access:  write_only
        .address_space:  global
        .offset:         88
        .size:           8
        .value_kind:     global_buffer
      - .actual_access:  write_only
        .address_space:  global
        .offset:         96
        .size:           8
        .value_kind:     global_buffer
      - .actual_access:  write_only
        .address_space:  global
        .offset:         104
        .size:           8
        .value_kind:     global_buffer
      - .actual_access:  read_only
        .address_space:  global
        .offset:         112
        .size:           8
        .value_kind:     global_buffer
      - .offset:         120
        .size:           4
        .value_kind:     by_value
      - .address_space:  global
        .offset:         128
        .size:           8
        .value_kind:     global_buffer
      - .address_space:  global
        .offset:         136
        .size:           8
        .value_kind:     global_buffer
      - .offset:         144
        .size:           4
        .value_kind:     hidden_block_count_x
      - .offset:         148
        .size:           4
        .value_kind:     hidden_block_count_y
      - .offset:         152
        .size:           4
        .value_kind:     hidden_block_count_z
      - .offset:         156
        .size:           2
        .value_kind:     hidden_group_size_x
      - .offset:         158
        .size:           2
        .value_kind:     hidden_group_size_y
      - .offset:         160
        .size:           2
        .value_kind:     hidden_group_size_z
      - .offset:         162
        .size:           2
        .value_kind:     hidden_remainder_x
      - .offset:         164
        .size:           2
        .value_kind:     hidden_remainder_y
      - .offset:         166
        .size:           2
        .value_kind:     hidden_remainder_z
      - .offset:         184
        .size:           8
        .value_kind:     hidden_global_offset_x
      - .offset:         192
        .size:           8
        .value_kind:     hidden_global_offset_y
      - .offset:         200
        .size:           8
        .value_kind:     hidden_global_offset_z
      - .offset:         208
        .size:           2
        .value_kind:     hidden_grid_dims
    .group_segment_fixed_size: 8192
    .kernarg_segment_align: 8
    .kernarg_segment_size: 400
    .language:       OpenCL C
    .language_version:
      - 2
      - 0
    .max_flat_workgroup_size: 256
    .name:           _Z39paged_attention_ll4mi_QKV_mfma16_kernelI14__hip_bfloat16hLN4vllm18Fp8KVCacheDataTypeE1ES0_Li16ELi128ELi256ELb1ELi7EL8MFMAType0EEvPKT_PKT0_S9_ifPKiSB_SB_iPKfiiiPfSE_PS4_PT2_iSD_SD_
    .private_segment_fixed_size: 352
    .sgpr_count:     57
    .sgpr_spill_count: 0
    .symbol:         _Z39paged_attention_ll4mi_QKV_mfma16_kernelI14__hip_bfloat16hLN4vllm18Fp8KVCacheDataTypeE1ES0_Li16ELi128ELi256ELb1ELi7EL8MFMAType0EEvPKT_PKT0_S9_ifPKiSB_SB_iPKfiiiPfSE_PS4_PT2_iSD_SD_.kd
    .uniform_work_group_size: 1
    .uses_dynamic_stack: false
    .vgpr_count:     80
    .vgpr_spill_count: 0
    .wavefront_size: 64
  - .agpr_count:     0
    .args:
      - .actual_access:  read_only
        .address_space:  global
        .offset:         0
        .size:           8
        .value_kind:     global_buffer
      - .actual_access:  read_only
        .address_space:  global
        .offset:         8
        .size:           8
        .value_kind:     global_buffer
      - .actual_access:  read_only
        .address_space:  global
        .offset:         16
        .size:           8
        .value_kind:     global_buffer
      - .offset:         24
        .size:           4
        .value_kind:     by_value
      - .offset:         28
        .size:           4
        .value_kind:     by_value
      - .actual_access:  read_only
        .address_space:  global
        .offset:         32
        .size:           8
        .value_kind:     global_buffer
      - .actual_access:  read_only
        .address_space:  global
        .offset:         40
        .size:           8
        .value_kind:     global_buffer
      - .actual_access:  read_only
        .address_space:  global
        .offset:         48
        .size:           8
        .value_kind:     global_buffer
      - .offset:         56
        .size:           4
        .value_kind:     by_value
      - .actual_access:  read_only
        .address_space:  global
        .offset:         64
        .size:           8
        .value_kind:     global_buffer
      - .offset:         72
        .size:           4
        .value_kind:     by_value
      - .offset:         76
        .size:           4
        .value_kind:     by_value
      - .offset:         80
        .size:           4
        .value_kind:     by_value
      - .actual_access:  write_only
        .address_space:  global
        .offset:         88
        .size:           8
        .value_kind:     global_buffer
      - .actual_access:  write_only
        .address_space:  global
        .offset:         96
        .size:           8
        .value_kind:     global_buffer
      - .actual_access:  write_only
        .address_space:  global
        .offset:         104
        .size:           8
        .value_kind:     global_buffer
      - .actual_access:  read_only
        .address_space:  global
        .offset:         112
        .size:           8
        .value_kind:     global_buffer
      - .offset:         120
        .size:           4
        .value_kind:     by_value
      - .address_space:  global
        .offset:         128
        .size:           8
        .value_kind:     global_buffer
      - .address_space:  global
        .offset:         136
        .size:           8
        .value_kind:     global_buffer
      - .offset:         144
        .size:           4
        .value_kind:     hidden_block_count_x
      - .offset:         148
        .size:           4
        .value_kind:     hidden_block_count_y
      - .offset:         152
        .size:           4
        .value_kind:     hidden_block_count_z
      - .offset:         156
        .size:           2
        .value_kind:     hidden_group_size_x
      - .offset:         158
        .size:           2
        .value_kind:     hidden_group_size_y
      - .offset:         160
        .size:           2
        .value_kind:     hidden_group_size_z
      - .offset:         162
        .size:           2
        .value_kind:     hidden_remainder_x
      - .offset:         164
        .size:           2
        .value_kind:     hidden_remainder_y
      - .offset:         166
        .size:           2
        .value_kind:     hidden_remainder_z
      - .offset:         184
        .size:           8
        .value_kind:     hidden_global_offset_x
      - .offset:         192
        .size:           8
        .value_kind:     hidden_global_offset_y
      - .offset:         200
        .size:           8
        .value_kind:     hidden_global_offset_z
      - .offset:         208
        .size:           2
        .value_kind:     hidden_grid_dims
    .group_segment_fixed_size: 8192
    .kernarg_segment_align: 8
    .kernarg_segment_size: 400
    .language:       OpenCL C
    .language_version:
      - 2
      - 0
    .max_flat_workgroup_size: 256
    .name:           _Z39paged_attention_ll4mi_QKV_mfma16_kernelI14__hip_bfloat16hLN4vllm18Fp8KVCacheDataTypeE1ES0_Li16ELi128ELi256ELb1ELi8EL8MFMAType0EEvPKT_PKT0_S9_ifPKiSB_SB_iPKfiiiPfSE_PS4_PT2_iSD_SD_
    .private_segment_fixed_size: 352
    .sgpr_count:     57
    .sgpr_spill_count: 0
    .symbol:         _Z39paged_attention_ll4mi_QKV_mfma16_kernelI14__hip_bfloat16hLN4vllm18Fp8KVCacheDataTypeE1ES0_Li16ELi128ELi256ELb1ELi8EL8MFMAType0EEvPKT_PKT0_S9_ifPKiSB_SB_iPKfiiiPfSE_PS4_PT2_iSD_SD_.kd
    .uniform_work_group_size: 1
    .uses_dynamic_stack: false
    .vgpr_count:     80
    .vgpr_spill_count: 0
    .wavefront_size: 64
  - .agpr_count:     0
    .args:
      - .actual_access:  read_only
        .address_space:  global
        .offset:         0
        .size:           8
        .value_kind:     global_buffer
      - .actual_access:  read_only
        .address_space:  global
        .offset:         8
        .size:           8
        .value_kind:     global_buffer
      - .actual_access:  read_only
        .address_space:  global
        .offset:         16
        .size:           8
        .value_kind:     global_buffer
      - .offset:         24
        .size:           4
        .value_kind:     by_value
      - .offset:         28
        .size:           4
        .value_kind:     by_value
      - .actual_access:  read_only
        .address_space:  global
        .offset:         32
        .size:           8
        .value_kind:     global_buffer
      - .actual_access:  read_only
        .address_space:  global
        .offset:         40
        .size:           8
        .value_kind:     global_buffer
      - .actual_access:  read_only
        .address_space:  global
        .offset:         48
        .size:           8
        .value_kind:     global_buffer
      - .offset:         56
        .size:           4
        .value_kind:     by_value
      - .actual_access:  read_only
        .address_space:  global
        .offset:         64
        .size:           8
        .value_kind:     global_buffer
      - .offset:         72
        .size:           4
        .value_kind:     by_value
      - .offset:         76
        .size:           4
        .value_kind:     by_value
      - .offset:         80
        .size:           4
        .value_kind:     by_value
      - .actual_access:  write_only
        .address_space:  global
        .offset:         88
        .size:           8
        .value_kind:     global_buffer
      - .actual_access:  write_only
        .address_space:  global
        .offset:         96
        .size:           8
        .value_kind:     global_buffer
      - .actual_access:  write_only
        .address_space:  global
        .offset:         104
        .size:           8
        .value_kind:     global_buffer
      - .actual_access:  read_only
        .address_space:  global
        .offset:         112
        .size:           8
        .value_kind:     global_buffer
      - .offset:         120
        .size:           4
        .value_kind:     by_value
      - .address_space:  global
        .offset:         128
        .size:           8
        .value_kind:     global_buffer
      - .address_space:  global
        .offset:         136
        .size:           8
        .value_kind:     global_buffer
      - .offset:         144
        .size:           4
        .value_kind:     hidden_block_count_x
      - .offset:         148
        .size:           4
        .value_kind:     hidden_block_count_y
      - .offset:         152
        .size:           4
        .value_kind:     hidden_block_count_z
      - .offset:         156
        .size:           2
        .value_kind:     hidden_group_size_x
      - .offset:         158
        .size:           2
        .value_kind:     hidden_group_size_y
      - .offset:         160
        .size:           2
        .value_kind:     hidden_group_size_z
      - .offset:         162
        .size:           2
        .value_kind:     hidden_remainder_x
      - .offset:         164
        .size:           2
        .value_kind:     hidden_remainder_y
      - .offset:         166
        .size:           2
        .value_kind:     hidden_remainder_z
      - .offset:         184
        .size:           8
        .value_kind:     hidden_global_offset_x
      - .offset:         192
        .size:           8
        .value_kind:     hidden_global_offset_y
      - .offset:         200
        .size:           8
        .value_kind:     hidden_global_offset_z
      - .offset:         208
        .size:           2
        .value_kind:     hidden_grid_dims
    .group_segment_fixed_size: 8192
    .kernarg_segment_align: 8
    .kernarg_segment_size: 400
    .language:       OpenCL C
    .language_version:
      - 2
      - 0
    .max_flat_workgroup_size: 256
    .name:           _Z39paged_attention_ll4mi_QKV_mfma16_kernelI14__hip_bfloat16hLN4vllm18Fp8KVCacheDataTypeE1ES0_Li16ELi128ELi256ELb1ELi9EL8MFMAType0EEvPKT_PKT0_S9_ifPKiSB_SB_iPKfiiiPfSE_PS4_PT2_iSD_SD_
    .private_segment_fixed_size: 352
    .sgpr_count:     57
    .sgpr_spill_count: 0
    .symbol:         _Z39paged_attention_ll4mi_QKV_mfma16_kernelI14__hip_bfloat16hLN4vllm18Fp8KVCacheDataTypeE1ES0_Li16ELi128ELi256ELb1ELi9EL8MFMAType0EEvPKT_PKT0_S9_ifPKiSB_SB_iPKfiiiPfSE_PS4_PT2_iSD_SD_.kd
    .uniform_work_group_size: 1
    .uses_dynamic_stack: false
    .vgpr_count:     80
    .vgpr_spill_count: 0
    .wavefront_size: 64
  - .agpr_count:     0
    .args:
      - .actual_access:  read_only
        .address_space:  global
        .offset:         0
        .size:           8
        .value_kind:     global_buffer
      - .actual_access:  read_only
        .address_space:  global
        .offset:         8
        .size:           8
        .value_kind:     global_buffer
      - .actual_access:  read_only
        .address_space:  global
        .offset:         16
        .size:           8
        .value_kind:     global_buffer
      - .offset:         24
        .size:           4
        .value_kind:     by_value
      - .offset:         28
        .size:           4
        .value_kind:     by_value
      - .actual_access:  read_only
        .address_space:  global
        .offset:         32
        .size:           8
        .value_kind:     global_buffer
      - .actual_access:  read_only
        .address_space:  global
        .offset:         40
        .size:           8
        .value_kind:     global_buffer
      - .actual_access:  read_only
        .address_space:  global
        .offset:         48
        .size:           8
        .value_kind:     global_buffer
      - .offset:         56
        .size:           4
        .value_kind:     by_value
      - .actual_access:  read_only
        .address_space:  global
        .offset:         64
        .size:           8
        .value_kind:     global_buffer
      - .offset:         72
        .size:           4
        .value_kind:     by_value
      - .offset:         76
        .size:           4
        .value_kind:     by_value
      - .offset:         80
        .size:           4
        .value_kind:     by_value
      - .actual_access:  write_only
        .address_space:  global
        .offset:         88
        .size:           8
        .value_kind:     global_buffer
      - .actual_access:  write_only
        .address_space:  global
        .offset:         96
        .size:           8
        .value_kind:     global_buffer
      - .actual_access:  write_only
        .address_space:  global
        .offset:         104
        .size:           8
        .value_kind:     global_buffer
      - .actual_access:  read_only
        .address_space:  global
        .offset:         112
        .size:           8
        .value_kind:     global_buffer
      - .offset:         120
        .size:           4
        .value_kind:     by_value
      - .address_space:  global
        .offset:         128
        .size:           8
        .value_kind:     global_buffer
      - .address_space:  global
        .offset:         136
        .size:           8
        .value_kind:     global_buffer
      - .offset:         144
        .size:           4
        .value_kind:     hidden_block_count_x
      - .offset:         148
        .size:           4
        .value_kind:     hidden_block_count_y
      - .offset:         152
        .size:           4
        .value_kind:     hidden_block_count_z
      - .offset:         156
        .size:           2
        .value_kind:     hidden_group_size_x
      - .offset:         158
        .size:           2
        .value_kind:     hidden_group_size_y
      - .offset:         160
        .size:           2
        .value_kind:     hidden_group_size_z
      - .offset:         162
        .size:           2
        .value_kind:     hidden_remainder_x
      - .offset:         164
        .size:           2
        .value_kind:     hidden_remainder_y
      - .offset:         166
        .size:           2
        .value_kind:     hidden_remainder_z
      - .offset:         184
        .size:           8
        .value_kind:     hidden_global_offset_x
      - .offset:         192
        .size:           8
        .value_kind:     hidden_global_offset_y
      - .offset:         200
        .size:           8
        .value_kind:     hidden_global_offset_z
      - .offset:         208
        .size:           2
        .value_kind:     hidden_grid_dims
    .group_segment_fixed_size: 8192
    .kernarg_segment_align: 8
    .kernarg_segment_size: 400
    .language:       OpenCL C
    .language_version:
      - 2
      - 0
    .max_flat_workgroup_size: 256
    .name:           _Z39paged_attention_ll4mi_QKV_mfma16_kernelI14__hip_bfloat16hLN4vllm18Fp8KVCacheDataTypeE1ES0_Li16ELi128ELi256ELb1ELi10EL8MFMAType0EEvPKT_PKT0_S9_ifPKiSB_SB_iPKfiiiPfSE_PS4_PT2_iSD_SD_
    .private_segment_fixed_size: 352
    .sgpr_count:     57
    .sgpr_spill_count: 0
    .symbol:         _Z39paged_attention_ll4mi_QKV_mfma16_kernelI14__hip_bfloat16hLN4vllm18Fp8KVCacheDataTypeE1ES0_Li16ELi128ELi256ELb1ELi10EL8MFMAType0EEvPKT_PKT0_S9_ifPKiSB_SB_iPKfiiiPfSE_PS4_PT2_iSD_SD_.kd
    .uniform_work_group_size: 1
    .uses_dynamic_stack: false
    .vgpr_count:     80
    .vgpr_spill_count: 0
    .wavefront_size: 64
  - .agpr_count:     0
    .args:
      - .actual_access:  read_only
        .address_space:  global
        .offset:         0
        .size:           8
        .value_kind:     global_buffer
      - .actual_access:  read_only
        .address_space:  global
        .offset:         8
        .size:           8
        .value_kind:     global_buffer
      - .actual_access:  read_only
        .address_space:  global
        .offset:         16
        .size:           8
        .value_kind:     global_buffer
      - .offset:         24
        .size:           4
        .value_kind:     by_value
      - .offset:         28
        .size:           4
        .value_kind:     by_value
      - .actual_access:  read_only
        .address_space:  global
        .offset:         32
        .size:           8
        .value_kind:     global_buffer
      - .actual_access:  read_only
        .address_space:  global
        .offset:         40
        .size:           8
        .value_kind:     global_buffer
      - .actual_access:  read_only
        .address_space:  global
        .offset:         48
        .size:           8
        .value_kind:     global_buffer
      - .offset:         56
        .size:           4
        .value_kind:     by_value
      - .actual_access:  read_only
        .address_space:  global
        .offset:         64
        .size:           8
        .value_kind:     global_buffer
      - .offset:         72
        .size:           4
        .value_kind:     by_value
      - .offset:         76
        .size:           4
        .value_kind:     by_value
      - .offset:         80
        .size:           4
        .value_kind:     by_value
      - .actual_access:  write_only
        .address_space:  global
        .offset:         88
        .size:           8
        .value_kind:     global_buffer
      - .actual_access:  write_only
        .address_space:  global
        .offset:         96
        .size:           8
        .value_kind:     global_buffer
      - .actual_access:  write_only
        .address_space:  global
        .offset:         104
        .size:           8
        .value_kind:     global_buffer
      - .actual_access:  read_only
        .address_space:  global
        .offset:         112
        .size:           8
        .value_kind:     global_buffer
      - .offset:         120
        .size:           4
        .value_kind:     by_value
      - .address_space:  global
        .offset:         128
        .size:           8
        .value_kind:     global_buffer
      - .address_space:  global
        .offset:         136
        .size:           8
        .value_kind:     global_buffer
      - .offset:         144
        .size:           4
        .value_kind:     hidden_block_count_x
      - .offset:         148
        .size:           4
        .value_kind:     hidden_block_count_y
      - .offset:         152
        .size:           4
        .value_kind:     hidden_block_count_z
      - .offset:         156
        .size:           2
        .value_kind:     hidden_group_size_x
      - .offset:         158
        .size:           2
        .value_kind:     hidden_group_size_y
      - .offset:         160
        .size:           2
        .value_kind:     hidden_group_size_z
      - .offset:         162
        .size:           2
        .value_kind:     hidden_remainder_x
      - .offset:         164
        .size:           2
        .value_kind:     hidden_remainder_y
      - .offset:         166
        .size:           2
        .value_kind:     hidden_remainder_z
      - .offset:         184
        .size:           8
        .value_kind:     hidden_global_offset_x
      - .offset:         192
        .size:           8
        .value_kind:     hidden_global_offset_y
      - .offset:         200
        .size:           8
        .value_kind:     hidden_global_offset_z
      - .offset:         208
        .size:           2
        .value_kind:     hidden_grid_dims
    .group_segment_fixed_size: 8192
    .kernarg_segment_align: 8
    .kernarg_segment_size: 400
    .language:       OpenCL C
    .language_version:
      - 2
      - 0
    .max_flat_workgroup_size: 256
    .name:           _Z39paged_attention_ll4mi_QKV_mfma16_kernelI14__hip_bfloat16hLN4vllm18Fp8KVCacheDataTypeE1ES0_Li16ELi128ELi256ELb1ELi11EL8MFMAType0EEvPKT_PKT0_S9_ifPKiSB_SB_iPKfiiiPfSE_PS4_PT2_iSD_SD_
    .private_segment_fixed_size: 352
    .sgpr_count:     57
    .sgpr_spill_count: 0
    .symbol:         _Z39paged_attention_ll4mi_QKV_mfma16_kernelI14__hip_bfloat16hLN4vllm18Fp8KVCacheDataTypeE1ES0_Li16ELi128ELi256ELb1ELi11EL8MFMAType0EEvPKT_PKT0_S9_ifPKiSB_SB_iPKfiiiPfSE_PS4_PT2_iSD_SD_.kd
    .uniform_work_group_size: 1
    .uses_dynamic_stack: false
    .vgpr_count:     80
    .vgpr_spill_count: 0
    .wavefront_size: 64
  - .agpr_count:     0
    .args:
      - .actual_access:  read_only
        .address_space:  global
        .offset:         0
        .size:           8
        .value_kind:     global_buffer
      - .actual_access:  read_only
        .address_space:  global
        .offset:         8
        .size:           8
        .value_kind:     global_buffer
      - .actual_access:  read_only
        .address_space:  global
        .offset:         16
        .size:           8
        .value_kind:     global_buffer
      - .offset:         24
        .size:           4
        .value_kind:     by_value
      - .offset:         28
        .size:           4
        .value_kind:     by_value
      - .actual_access:  read_only
        .address_space:  global
        .offset:         32
        .size:           8
        .value_kind:     global_buffer
      - .actual_access:  read_only
        .address_space:  global
        .offset:         40
        .size:           8
        .value_kind:     global_buffer
      - .actual_access:  read_only
        .address_space:  global
        .offset:         48
        .size:           8
        .value_kind:     global_buffer
      - .offset:         56
        .size:           4
        .value_kind:     by_value
      - .actual_access:  read_only
        .address_space:  global
        .offset:         64
        .size:           8
        .value_kind:     global_buffer
      - .offset:         72
        .size:           4
        .value_kind:     by_value
      - .offset:         76
        .size:           4
        .value_kind:     by_value
      - .offset:         80
        .size:           4
        .value_kind:     by_value
      - .actual_access:  write_only
        .address_space:  global
        .offset:         88
        .size:           8
        .value_kind:     global_buffer
      - .actual_access:  write_only
        .address_space:  global
        .offset:         96
        .size:           8
        .value_kind:     global_buffer
      - .actual_access:  write_only
        .address_space:  global
        .offset:         104
        .size:           8
        .value_kind:     global_buffer
      - .actual_access:  read_only
        .address_space:  global
        .offset:         112
        .size:           8
        .value_kind:     global_buffer
      - .offset:         120
        .size:           4
        .value_kind:     by_value
      - .address_space:  global
        .offset:         128
        .size:           8
        .value_kind:     global_buffer
      - .address_space:  global
        .offset:         136
        .size:           8
        .value_kind:     global_buffer
      - .offset:         144
        .size:           4
        .value_kind:     hidden_block_count_x
      - .offset:         148
        .size:           4
        .value_kind:     hidden_block_count_y
      - .offset:         152
        .size:           4
        .value_kind:     hidden_block_count_z
      - .offset:         156
        .size:           2
        .value_kind:     hidden_group_size_x
      - .offset:         158
        .size:           2
        .value_kind:     hidden_group_size_y
      - .offset:         160
        .size:           2
        .value_kind:     hidden_group_size_z
      - .offset:         162
        .size:           2
        .value_kind:     hidden_remainder_x
      - .offset:         164
        .size:           2
        .value_kind:     hidden_remainder_y
      - .offset:         166
        .size:           2
        .value_kind:     hidden_remainder_z
      - .offset:         184
        .size:           8
        .value_kind:     hidden_global_offset_x
      - .offset:         192
        .size:           8
        .value_kind:     hidden_global_offset_y
      - .offset:         200
        .size:           8
        .value_kind:     hidden_global_offset_z
      - .offset:         208
        .size:           2
        .value_kind:     hidden_grid_dims
    .group_segment_fixed_size: 8192
    .kernarg_segment_align: 8
    .kernarg_segment_size: 400
    .language:       OpenCL C
    .language_version:
      - 2
      - 0
    .max_flat_workgroup_size: 256
    .name:           _Z39paged_attention_ll4mi_QKV_mfma16_kernelI14__hip_bfloat16hLN4vllm18Fp8KVCacheDataTypeE1ES0_Li16ELi128ELi256ELb1ELi12EL8MFMAType0EEvPKT_PKT0_S9_ifPKiSB_SB_iPKfiiiPfSE_PS4_PT2_iSD_SD_
    .private_segment_fixed_size: 352
    .sgpr_count:     57
    .sgpr_spill_count: 0
    .symbol:         _Z39paged_attention_ll4mi_QKV_mfma16_kernelI14__hip_bfloat16hLN4vllm18Fp8KVCacheDataTypeE1ES0_Li16ELi128ELi256ELb1ELi12EL8MFMAType0EEvPKT_PKT0_S9_ifPKiSB_SB_iPKfiiiPfSE_PS4_PT2_iSD_SD_.kd
    .uniform_work_group_size: 1
    .uses_dynamic_stack: false
    .vgpr_count:     80
    .vgpr_spill_count: 0
    .wavefront_size: 64
  - .agpr_count:     0
    .args:
      - .actual_access:  read_only
        .address_space:  global
        .offset:         0
        .size:           8
        .value_kind:     global_buffer
      - .actual_access:  read_only
        .address_space:  global
        .offset:         8
        .size:           8
        .value_kind:     global_buffer
      - .actual_access:  read_only
        .address_space:  global
        .offset:         16
        .size:           8
        .value_kind:     global_buffer
      - .offset:         24
        .size:           4
        .value_kind:     by_value
      - .offset:         28
        .size:           4
        .value_kind:     by_value
      - .actual_access:  read_only
        .address_space:  global
        .offset:         32
        .size:           8
        .value_kind:     global_buffer
      - .actual_access:  read_only
        .address_space:  global
        .offset:         40
        .size:           8
        .value_kind:     global_buffer
      - .actual_access:  read_only
        .address_space:  global
        .offset:         48
        .size:           8
        .value_kind:     global_buffer
      - .offset:         56
        .size:           4
        .value_kind:     by_value
      - .actual_access:  read_only
        .address_space:  global
        .offset:         64
        .size:           8
        .value_kind:     global_buffer
      - .offset:         72
        .size:           4
        .value_kind:     by_value
      - .offset:         76
        .size:           4
        .value_kind:     by_value
      - .offset:         80
        .size:           4
        .value_kind:     by_value
      - .actual_access:  write_only
        .address_space:  global
        .offset:         88
        .size:           8
        .value_kind:     global_buffer
      - .actual_access:  write_only
        .address_space:  global
        .offset:         96
        .size:           8
        .value_kind:     global_buffer
      - .actual_access:  write_only
        .address_space:  global
        .offset:         104
        .size:           8
        .value_kind:     global_buffer
      - .actual_access:  read_only
        .address_space:  global
        .offset:         112
        .size:           8
        .value_kind:     global_buffer
      - .offset:         120
        .size:           4
        .value_kind:     by_value
      - .address_space:  global
        .offset:         128
        .size:           8
        .value_kind:     global_buffer
      - .address_space:  global
        .offset:         136
        .size:           8
        .value_kind:     global_buffer
      - .offset:         144
        .size:           4
        .value_kind:     hidden_block_count_x
      - .offset:         148
        .size:           4
        .value_kind:     hidden_block_count_y
      - .offset:         152
        .size:           4
        .value_kind:     hidden_block_count_z
      - .offset:         156
        .size:           2
        .value_kind:     hidden_group_size_x
      - .offset:         158
        .size:           2
        .value_kind:     hidden_group_size_y
      - .offset:         160
        .size:           2
        .value_kind:     hidden_group_size_z
      - .offset:         162
        .size:           2
        .value_kind:     hidden_remainder_x
      - .offset:         164
        .size:           2
        .value_kind:     hidden_remainder_y
      - .offset:         166
        .size:           2
        .value_kind:     hidden_remainder_z
      - .offset:         184
        .size:           8
        .value_kind:     hidden_global_offset_x
      - .offset:         192
        .size:           8
        .value_kind:     hidden_global_offset_y
      - .offset:         200
        .size:           8
        .value_kind:     hidden_global_offset_z
      - .offset:         208
        .size:           2
        .value_kind:     hidden_grid_dims
    .group_segment_fixed_size: 8192
    .kernarg_segment_align: 8
    .kernarg_segment_size: 400
    .language:       OpenCL C
    .language_version:
      - 2
      - 0
    .max_flat_workgroup_size: 256
    .name:           _Z39paged_attention_ll4mi_QKV_mfma16_kernelI14__hip_bfloat16hLN4vllm18Fp8KVCacheDataTypeE1ES0_Li16ELi128ELi256ELb1ELi13EL8MFMAType0EEvPKT_PKT0_S9_ifPKiSB_SB_iPKfiiiPfSE_PS4_PT2_iSD_SD_
    .private_segment_fixed_size: 352
    .sgpr_count:     57
    .sgpr_spill_count: 0
    .symbol:         _Z39paged_attention_ll4mi_QKV_mfma16_kernelI14__hip_bfloat16hLN4vllm18Fp8KVCacheDataTypeE1ES0_Li16ELi128ELi256ELb1ELi13EL8MFMAType0EEvPKT_PKT0_S9_ifPKiSB_SB_iPKfiiiPfSE_PS4_PT2_iSD_SD_.kd
    .uniform_work_group_size: 1
    .uses_dynamic_stack: false
    .vgpr_count:     80
    .vgpr_spill_count: 0
    .wavefront_size: 64
  - .agpr_count:     0
    .args:
      - .actual_access:  read_only
        .address_space:  global
        .offset:         0
        .size:           8
        .value_kind:     global_buffer
      - .actual_access:  read_only
        .address_space:  global
        .offset:         8
        .size:           8
        .value_kind:     global_buffer
      - .actual_access:  read_only
        .address_space:  global
        .offset:         16
        .size:           8
        .value_kind:     global_buffer
      - .offset:         24
        .size:           4
        .value_kind:     by_value
      - .offset:         28
        .size:           4
        .value_kind:     by_value
      - .actual_access:  read_only
        .address_space:  global
        .offset:         32
        .size:           8
        .value_kind:     global_buffer
      - .actual_access:  read_only
        .address_space:  global
        .offset:         40
        .size:           8
        .value_kind:     global_buffer
      - .actual_access:  read_only
        .address_space:  global
        .offset:         48
        .size:           8
        .value_kind:     global_buffer
      - .offset:         56
        .size:           4
        .value_kind:     by_value
      - .actual_access:  read_only
        .address_space:  global
        .offset:         64
        .size:           8
        .value_kind:     global_buffer
      - .offset:         72
        .size:           4
        .value_kind:     by_value
      - .offset:         76
        .size:           4
        .value_kind:     by_value
      - .offset:         80
        .size:           4
        .value_kind:     by_value
      - .actual_access:  write_only
        .address_space:  global
        .offset:         88
        .size:           8
        .value_kind:     global_buffer
      - .actual_access:  write_only
        .address_space:  global
        .offset:         96
        .size:           8
        .value_kind:     global_buffer
      - .actual_access:  write_only
        .address_space:  global
        .offset:         104
        .size:           8
        .value_kind:     global_buffer
      - .actual_access:  read_only
        .address_space:  global
        .offset:         112
        .size:           8
        .value_kind:     global_buffer
      - .offset:         120
        .size:           4
        .value_kind:     by_value
      - .address_space:  global
        .offset:         128
        .size:           8
        .value_kind:     global_buffer
      - .address_space:  global
        .offset:         136
        .size:           8
        .value_kind:     global_buffer
      - .offset:         144
        .size:           4
        .value_kind:     hidden_block_count_x
      - .offset:         148
        .size:           4
        .value_kind:     hidden_block_count_y
      - .offset:         152
        .size:           4
        .value_kind:     hidden_block_count_z
      - .offset:         156
        .size:           2
        .value_kind:     hidden_group_size_x
      - .offset:         158
        .size:           2
        .value_kind:     hidden_group_size_y
      - .offset:         160
        .size:           2
        .value_kind:     hidden_group_size_z
      - .offset:         162
        .size:           2
        .value_kind:     hidden_remainder_x
      - .offset:         164
        .size:           2
        .value_kind:     hidden_remainder_y
      - .offset:         166
        .size:           2
        .value_kind:     hidden_remainder_z
      - .offset:         184
        .size:           8
        .value_kind:     hidden_global_offset_x
      - .offset:         192
        .size:           8
        .value_kind:     hidden_global_offset_y
      - .offset:         200
        .size:           8
        .value_kind:     hidden_global_offset_z
      - .offset:         208
        .size:           2
        .value_kind:     hidden_grid_dims
    .group_segment_fixed_size: 8192
    .kernarg_segment_align: 8
    .kernarg_segment_size: 400
    .language:       OpenCL C
    .language_version:
      - 2
      - 0
    .max_flat_workgroup_size: 256
    .name:           _Z39paged_attention_ll4mi_QKV_mfma16_kernelI14__hip_bfloat16hLN4vllm18Fp8KVCacheDataTypeE1ES0_Li16ELi128ELi256ELb1ELi14EL8MFMAType0EEvPKT_PKT0_S9_ifPKiSB_SB_iPKfiiiPfSE_PS4_PT2_iSD_SD_
    .private_segment_fixed_size: 352
    .sgpr_count:     57
    .sgpr_spill_count: 0
    .symbol:         _Z39paged_attention_ll4mi_QKV_mfma16_kernelI14__hip_bfloat16hLN4vllm18Fp8KVCacheDataTypeE1ES0_Li16ELi128ELi256ELb1ELi14EL8MFMAType0EEvPKT_PKT0_S9_ifPKiSB_SB_iPKfiiiPfSE_PS4_PT2_iSD_SD_.kd
    .uniform_work_group_size: 1
    .uses_dynamic_stack: false
    .vgpr_count:     80
    .vgpr_spill_count: 0
    .wavefront_size: 64
  - .agpr_count:     0
    .args:
      - .actual_access:  read_only
        .address_space:  global
        .offset:         0
        .size:           8
        .value_kind:     global_buffer
      - .actual_access:  read_only
        .address_space:  global
        .offset:         8
        .size:           8
        .value_kind:     global_buffer
      - .actual_access:  read_only
        .address_space:  global
        .offset:         16
        .size:           8
        .value_kind:     global_buffer
      - .offset:         24
        .size:           4
        .value_kind:     by_value
      - .offset:         28
        .size:           4
        .value_kind:     by_value
      - .actual_access:  read_only
        .address_space:  global
        .offset:         32
        .size:           8
        .value_kind:     global_buffer
      - .actual_access:  read_only
        .address_space:  global
        .offset:         40
        .size:           8
        .value_kind:     global_buffer
      - .actual_access:  read_only
        .address_space:  global
        .offset:         48
        .size:           8
        .value_kind:     global_buffer
      - .offset:         56
        .size:           4
        .value_kind:     by_value
      - .actual_access:  read_only
        .address_space:  global
        .offset:         64
        .size:           8
        .value_kind:     global_buffer
      - .offset:         72
        .size:           4
        .value_kind:     by_value
      - .offset:         76
        .size:           4
        .value_kind:     by_value
      - .offset:         80
        .size:           4
        .value_kind:     by_value
      - .actual_access:  write_only
        .address_space:  global
        .offset:         88
        .size:           8
        .value_kind:     global_buffer
      - .actual_access:  write_only
        .address_space:  global
        .offset:         96
        .size:           8
        .value_kind:     global_buffer
      - .actual_access:  write_only
        .address_space:  global
        .offset:         104
        .size:           8
        .value_kind:     global_buffer
      - .actual_access:  read_only
        .address_space:  global
        .offset:         112
        .size:           8
        .value_kind:     global_buffer
      - .offset:         120
        .size:           4
        .value_kind:     by_value
      - .address_space:  global
        .offset:         128
        .size:           8
        .value_kind:     global_buffer
      - .address_space:  global
        .offset:         136
        .size:           8
        .value_kind:     global_buffer
      - .offset:         144
        .size:           4
        .value_kind:     hidden_block_count_x
      - .offset:         148
        .size:           4
        .value_kind:     hidden_block_count_y
      - .offset:         152
        .size:           4
        .value_kind:     hidden_block_count_z
      - .offset:         156
        .size:           2
        .value_kind:     hidden_group_size_x
      - .offset:         158
        .size:           2
        .value_kind:     hidden_group_size_y
      - .offset:         160
        .size:           2
        .value_kind:     hidden_group_size_z
      - .offset:         162
        .size:           2
        .value_kind:     hidden_remainder_x
      - .offset:         164
        .size:           2
        .value_kind:     hidden_remainder_y
      - .offset:         166
        .size:           2
        .value_kind:     hidden_remainder_z
      - .offset:         184
        .size:           8
        .value_kind:     hidden_global_offset_x
      - .offset:         192
        .size:           8
        .value_kind:     hidden_global_offset_y
      - .offset:         200
        .size:           8
        .value_kind:     hidden_global_offset_z
      - .offset:         208
        .size:           2
        .value_kind:     hidden_grid_dims
    .group_segment_fixed_size: 8192
    .kernarg_segment_align: 8
    .kernarg_segment_size: 400
    .language:       OpenCL C
    .language_version:
      - 2
      - 0
    .max_flat_workgroup_size: 256
    .name:           _Z39paged_attention_ll4mi_QKV_mfma16_kernelI14__hip_bfloat16hLN4vllm18Fp8KVCacheDataTypeE1ES0_Li16ELi128ELi256ELb1ELi15EL8MFMAType0EEvPKT_PKT0_S9_ifPKiSB_SB_iPKfiiiPfSE_PS4_PT2_iSD_SD_
    .private_segment_fixed_size: 352
    .sgpr_count:     57
    .sgpr_spill_count: 0
    .symbol:         _Z39paged_attention_ll4mi_QKV_mfma16_kernelI14__hip_bfloat16hLN4vllm18Fp8KVCacheDataTypeE1ES0_Li16ELi128ELi256ELb1ELi15EL8MFMAType0EEvPKT_PKT0_S9_ifPKiSB_SB_iPKfiiiPfSE_PS4_PT2_iSD_SD_.kd
    .uniform_work_group_size: 1
    .uses_dynamic_stack: false
    .vgpr_count:     80
    .vgpr_spill_count: 0
    .wavefront_size: 64
  - .agpr_count:     0
    .args:
      - .actual_access:  read_only
        .address_space:  global
        .offset:         0
        .size:           8
        .value_kind:     global_buffer
      - .actual_access:  read_only
        .address_space:  global
        .offset:         8
        .size:           8
        .value_kind:     global_buffer
      - .actual_access:  read_only
        .address_space:  global
        .offset:         16
        .size:           8
        .value_kind:     global_buffer
      - .offset:         24
        .size:           4
        .value_kind:     by_value
      - .offset:         28
        .size:           4
        .value_kind:     by_value
      - .actual_access:  read_only
        .address_space:  global
        .offset:         32
        .size:           8
        .value_kind:     global_buffer
      - .actual_access:  read_only
        .address_space:  global
        .offset:         40
        .size:           8
        .value_kind:     global_buffer
      - .actual_access:  read_only
        .address_space:  global
        .offset:         48
        .size:           8
        .value_kind:     global_buffer
      - .offset:         56
        .size:           4
        .value_kind:     by_value
      - .actual_access:  read_only
        .address_space:  global
        .offset:         64
        .size:           8
        .value_kind:     global_buffer
      - .offset:         72
        .size:           4
        .value_kind:     by_value
      - .offset:         76
        .size:           4
        .value_kind:     by_value
      - .offset:         80
        .size:           4
        .value_kind:     by_value
      - .actual_access:  write_only
        .address_space:  global
        .offset:         88
        .size:           8
        .value_kind:     global_buffer
      - .actual_access:  write_only
        .address_space:  global
        .offset:         96
        .size:           8
        .value_kind:     global_buffer
      - .actual_access:  write_only
        .address_space:  global
        .offset:         104
        .size:           8
        .value_kind:     global_buffer
      - .actual_access:  read_only
        .address_space:  global
        .offset:         112
        .size:           8
        .value_kind:     global_buffer
      - .offset:         120
        .size:           4
        .value_kind:     by_value
      - .address_space:  global
        .offset:         128
        .size:           8
        .value_kind:     global_buffer
      - .address_space:  global
        .offset:         136
        .size:           8
        .value_kind:     global_buffer
      - .offset:         144
        .size:           4
        .value_kind:     hidden_block_count_x
      - .offset:         148
        .size:           4
        .value_kind:     hidden_block_count_y
      - .offset:         152
        .size:           4
        .value_kind:     hidden_block_count_z
      - .offset:         156
        .size:           2
        .value_kind:     hidden_group_size_x
      - .offset:         158
        .size:           2
        .value_kind:     hidden_group_size_y
      - .offset:         160
        .size:           2
        .value_kind:     hidden_group_size_z
      - .offset:         162
        .size:           2
        .value_kind:     hidden_remainder_x
      - .offset:         164
        .size:           2
        .value_kind:     hidden_remainder_y
      - .offset:         166
        .size:           2
        .value_kind:     hidden_remainder_z
      - .offset:         184
        .size:           8
        .value_kind:     hidden_global_offset_x
      - .offset:         192
        .size:           8
        .value_kind:     hidden_global_offset_y
      - .offset:         200
        .size:           8
        .value_kind:     hidden_global_offset_z
      - .offset:         208
        .size:           2
        .value_kind:     hidden_grid_dims
    .group_segment_fixed_size: 8192
    .kernarg_segment_align: 8
    .kernarg_segment_size: 400
    .language:       OpenCL C
    .language_version:
      - 2
      - 0
    .max_flat_workgroup_size: 256
    .name:           _Z39paged_attention_ll4mi_QKV_mfma16_kernelI14__hip_bfloat16hLN4vllm18Fp8KVCacheDataTypeE1ES0_Li16ELi128ELi256ELb1ELi16EL8MFMAType0EEvPKT_PKT0_S9_ifPKiSB_SB_iPKfiiiPfSE_PS4_PT2_iSD_SD_
    .private_segment_fixed_size: 352
    .sgpr_count:     57
    .sgpr_spill_count: 0
    .symbol:         _Z39paged_attention_ll4mi_QKV_mfma16_kernelI14__hip_bfloat16hLN4vllm18Fp8KVCacheDataTypeE1ES0_Li16ELi128ELi256ELb1ELi16EL8MFMAType0EEvPKT_PKT0_S9_ifPKiSB_SB_iPKfiiiPfSE_PS4_PT2_iSD_SD_.kd
    .uniform_work_group_size: 1
    .uses_dynamic_stack: false
    .vgpr_count:     78
    .vgpr_spill_count: 0
    .wavefront_size: 64
  - .agpr_count:     0
    .args:
      - .actual_access:  read_only
        .address_space:  global
        .offset:         0
        .size:           8
        .value_kind:     global_buffer
      - .actual_access:  read_only
        .address_space:  global
        .offset:         8
        .size:           8
        .value_kind:     global_buffer
      - .actual_access:  read_only
        .address_space:  global
        .offset:         16
        .size:           8
        .value_kind:     global_buffer
      - .offset:         24
        .size:           4
        .value_kind:     by_value
      - .offset:         28
        .size:           4
        .value_kind:     by_value
      - .actual_access:  read_only
        .address_space:  global
        .offset:         32
        .size:           8
        .value_kind:     global_buffer
      - .actual_access:  read_only
        .address_space:  global
        .offset:         40
        .size:           8
        .value_kind:     global_buffer
      - .actual_access:  read_only
        .address_space:  global
        .offset:         48
        .size:           8
        .value_kind:     global_buffer
      - .offset:         56
        .size:           4
        .value_kind:     by_value
      - .actual_access:  read_only
        .address_space:  global
        .offset:         64
        .size:           8
        .value_kind:     global_buffer
      - .offset:         72
        .size:           4
        .value_kind:     by_value
      - .offset:         76
        .size:           4
        .value_kind:     by_value
      - .offset:         80
        .size:           4
        .value_kind:     by_value
      - .actual_access:  write_only
        .address_space:  global
        .offset:         88
        .size:           8
        .value_kind:     global_buffer
      - .actual_access:  write_only
        .address_space:  global
        .offset:         96
        .size:           8
        .value_kind:     global_buffer
      - .actual_access:  write_only
        .address_space:  global
        .offset:         104
        .size:           8
        .value_kind:     global_buffer
      - .actual_access:  read_only
        .address_space:  global
        .offset:         112
        .size:           8
        .value_kind:     global_buffer
      - .offset:         120
        .size:           4
        .value_kind:     by_value
      - .address_space:  global
        .offset:         128
        .size:           8
        .value_kind:     global_buffer
      - .address_space:  global
        .offset:         136
        .size:           8
        .value_kind:     global_buffer
      - .offset:         144
        .size:           4
        .value_kind:     hidden_block_count_x
      - .offset:         148
        .size:           4
        .value_kind:     hidden_block_count_y
      - .offset:         152
        .size:           4
        .value_kind:     hidden_block_count_z
      - .offset:         156
        .size:           2
        .value_kind:     hidden_group_size_x
      - .offset:         158
        .size:           2
        .value_kind:     hidden_group_size_y
      - .offset:         160
        .size:           2
        .value_kind:     hidden_group_size_z
      - .offset:         162
        .size:           2
        .value_kind:     hidden_remainder_x
      - .offset:         164
        .size:           2
        .value_kind:     hidden_remainder_y
      - .offset:         166
        .size:           2
        .value_kind:     hidden_remainder_z
      - .offset:         184
        .size:           8
        .value_kind:     hidden_global_offset_x
      - .offset:         192
        .size:           8
        .value_kind:     hidden_global_offset_y
      - .offset:         200
        .size:           8
        .value_kind:     hidden_global_offset_z
      - .offset:         208
        .size:           2
        .value_kind:     hidden_grid_dims
    .group_segment_fixed_size: 8192
    .kernarg_segment_align: 8
    .kernarg_segment_size: 400
    .language:       OpenCL C
    .language_version:
      - 2
      - 0
    .max_flat_workgroup_size: 256
    .name:           _Z39paged_attention_ll4mi_QKV_mfma16_kernelI14__hip_bfloat16hLN4vllm18Fp8KVCacheDataTypeE1ES0_Li16ELi128ELi256ELb1ELi1EL8MFMAType0EEvPKT_PKT0_S9_ifPKiSB_SB_iPKfiiiPfSE_PS4_PT2_iSD_SD_
    .private_segment_fixed_size: 352
    .sgpr_count:     60
    .sgpr_spill_count: 0
    .symbol:         _Z39paged_attention_ll4mi_QKV_mfma16_kernelI14__hip_bfloat16hLN4vllm18Fp8KVCacheDataTypeE1ES0_Li16ELi128ELi256ELb1ELi1EL8MFMAType0EEvPKT_PKT0_S9_ifPKiSB_SB_iPKfiiiPfSE_PS4_PT2_iSD_SD_.kd
    .uniform_work_group_size: 1
    .uses_dynamic_stack: false
    .vgpr_count:     80
    .vgpr_spill_count: 0
    .wavefront_size: 64
  - .agpr_count:     0
    .args:
      - .actual_access:  read_only
        .address_space:  global
        .offset:         0
        .size:           8
        .value_kind:     global_buffer
      - .actual_access:  read_only
        .address_space:  global
        .offset:         8
        .size:           8
        .value_kind:     global_buffer
      - .actual_access:  read_only
        .address_space:  global
        .offset:         16
        .size:           8
        .value_kind:     global_buffer
      - .offset:         24
        .size:           4
        .value_kind:     by_value
      - .offset:         28
        .size:           4
        .value_kind:     by_value
      - .actual_access:  read_only
        .address_space:  global
        .offset:         32
        .size:           8
        .value_kind:     global_buffer
      - .actual_access:  read_only
        .address_space:  global
        .offset:         40
        .size:           8
        .value_kind:     global_buffer
      - .actual_access:  read_only
        .address_space:  global
        .offset:         48
        .size:           8
        .value_kind:     global_buffer
      - .offset:         56
        .size:           4
        .value_kind:     by_value
      - .actual_access:  read_only
        .address_space:  global
        .offset:         64
        .size:           8
        .value_kind:     global_buffer
      - .offset:         72
        .size:           4
        .value_kind:     by_value
      - .offset:         76
        .size:           4
        .value_kind:     by_value
      - .offset:         80
        .size:           4
        .value_kind:     by_value
      - .actual_access:  write_only
        .address_space:  global
        .offset:         88
        .size:           8
        .value_kind:     global_buffer
      - .actual_access:  write_only
        .address_space:  global
        .offset:         96
        .size:           8
        .value_kind:     global_buffer
      - .actual_access:  write_only
        .address_space:  global
        .offset:         104
        .size:           8
        .value_kind:     global_buffer
      - .actual_access:  read_only
        .address_space:  global
        .offset:         112
        .size:           8
        .value_kind:     global_buffer
      - .offset:         120
        .size:           4
        .value_kind:     by_value
      - .address_space:  global
        .offset:         128
        .size:           8
        .value_kind:     global_buffer
      - .address_space:  global
        .offset:         136
        .size:           8
        .value_kind:     global_buffer
      - .offset:         144
        .size:           4
        .value_kind:     hidden_block_count_x
      - .offset:         148
        .size:           4
        .value_kind:     hidden_block_count_y
      - .offset:         152
        .size:           4
        .value_kind:     hidden_block_count_z
      - .offset:         156
        .size:           2
        .value_kind:     hidden_group_size_x
      - .offset:         158
        .size:           2
        .value_kind:     hidden_group_size_y
      - .offset:         160
        .size:           2
        .value_kind:     hidden_group_size_z
      - .offset:         162
        .size:           2
        .value_kind:     hidden_remainder_x
      - .offset:         164
        .size:           2
        .value_kind:     hidden_remainder_y
      - .offset:         166
        .size:           2
        .value_kind:     hidden_remainder_z
      - .offset:         184
        .size:           8
        .value_kind:     hidden_global_offset_x
      - .offset:         192
        .size:           8
        .value_kind:     hidden_global_offset_y
      - .offset:         200
        .size:           8
        .value_kind:     hidden_global_offset_z
      - .offset:         208
        .size:           2
        .value_kind:     hidden_grid_dims
    .group_segment_fixed_size: 8192
    .kernarg_segment_align: 8
    .kernarg_segment_size: 400
    .language:       OpenCL C
    .language_version:
      - 2
      - 0
    .max_flat_workgroup_size: 256
    .name:           _Z39paged_attention_ll4mi_QKV_mfma16_kernelI14__hip_bfloat16hLN4vllm18Fp8KVCacheDataTypeE1ES0_Li16ELi128ELi256ELb1ELi2EL8MFMAType0EEvPKT_PKT0_S9_ifPKiSB_SB_iPKfiiiPfSE_PS4_PT2_iSD_SD_
    .private_segment_fixed_size: 352
    .sgpr_count:     57
    .sgpr_spill_count: 0
    .symbol:         _Z39paged_attention_ll4mi_QKV_mfma16_kernelI14__hip_bfloat16hLN4vllm18Fp8KVCacheDataTypeE1ES0_Li16ELi128ELi256ELb1ELi2EL8MFMAType0EEvPKT_PKT0_S9_ifPKiSB_SB_iPKfiiiPfSE_PS4_PT2_iSD_SD_.kd
    .uniform_work_group_size: 1
    .uses_dynamic_stack: false
    .vgpr_count:     82
    .vgpr_spill_count: 0
    .wavefront_size: 64
  - .agpr_count:     0
    .args:
      - .actual_access:  read_only
        .address_space:  global
        .offset:         0
        .size:           8
        .value_kind:     global_buffer
      - .actual_access:  read_only
        .address_space:  global
        .offset:         8
        .size:           8
        .value_kind:     global_buffer
      - .actual_access:  read_only
        .address_space:  global
        .offset:         16
        .size:           8
        .value_kind:     global_buffer
      - .offset:         24
        .size:           4
        .value_kind:     by_value
      - .offset:         28
        .size:           4
        .value_kind:     by_value
      - .actual_access:  read_only
        .address_space:  global
        .offset:         32
        .size:           8
        .value_kind:     global_buffer
      - .actual_access:  read_only
        .address_space:  global
        .offset:         40
        .size:           8
        .value_kind:     global_buffer
      - .actual_access:  read_only
        .address_space:  global
        .offset:         48
        .size:           8
        .value_kind:     global_buffer
      - .offset:         56
        .size:           4
        .value_kind:     by_value
      - .actual_access:  read_only
        .address_space:  global
        .offset:         64
        .size:           8
        .value_kind:     global_buffer
      - .offset:         72
        .size:           4
        .value_kind:     by_value
      - .offset:         76
        .size:           4
        .value_kind:     by_value
      - .offset:         80
        .size:           4
        .value_kind:     by_value
      - .actual_access:  write_only
        .address_space:  global
        .offset:         88
        .size:           8
        .value_kind:     global_buffer
      - .actual_access:  write_only
        .address_space:  global
        .offset:         96
        .size:           8
        .value_kind:     global_buffer
      - .actual_access:  write_only
        .address_space:  global
        .offset:         104
        .size:           8
        .value_kind:     global_buffer
      - .actual_access:  read_only
        .address_space:  global
        .offset:         112
        .size:           8
        .value_kind:     global_buffer
      - .offset:         120
        .size:           4
        .value_kind:     by_value
      - .address_space:  global
        .offset:         128
        .size:           8
        .value_kind:     global_buffer
      - .address_space:  global
        .offset:         136
        .size:           8
        .value_kind:     global_buffer
      - .offset:         144
        .size:           4
        .value_kind:     hidden_block_count_x
      - .offset:         148
        .size:           4
        .value_kind:     hidden_block_count_y
      - .offset:         152
        .size:           4
        .value_kind:     hidden_block_count_z
      - .offset:         156
        .size:           2
        .value_kind:     hidden_group_size_x
      - .offset:         158
        .size:           2
        .value_kind:     hidden_group_size_y
      - .offset:         160
        .size:           2
        .value_kind:     hidden_group_size_z
      - .offset:         162
        .size:           2
        .value_kind:     hidden_remainder_x
      - .offset:         164
        .size:           2
        .value_kind:     hidden_remainder_y
      - .offset:         166
        .size:           2
        .value_kind:     hidden_remainder_z
      - .offset:         184
        .size:           8
        .value_kind:     hidden_global_offset_x
      - .offset:         192
        .size:           8
        .value_kind:     hidden_global_offset_y
      - .offset:         200
        .size:           8
        .value_kind:     hidden_global_offset_z
      - .offset:         208
        .size:           2
        .value_kind:     hidden_grid_dims
    .group_segment_fixed_size: 8192
    .kernarg_segment_align: 8
    .kernarg_segment_size: 400
    .language:       OpenCL C
    .language_version:
      - 2
      - 0
    .max_flat_workgroup_size: 256
    .name:           _Z39paged_attention_ll4mi_QKV_mfma16_kernelI14__hip_bfloat16hLN4vllm18Fp8KVCacheDataTypeE1ES0_Li16ELi128ELi256ELb1ELi3EL8MFMAType0EEvPKT_PKT0_S9_ifPKiSB_SB_iPKfiiiPfSE_PS4_PT2_iSD_SD_
    .private_segment_fixed_size: 352
    .sgpr_count:     57
    .sgpr_spill_count: 0
    .symbol:         _Z39paged_attention_ll4mi_QKV_mfma16_kernelI14__hip_bfloat16hLN4vllm18Fp8KVCacheDataTypeE1ES0_Li16ELi128ELi256ELb1ELi3EL8MFMAType0EEvPKT_PKT0_S9_ifPKiSB_SB_iPKfiiiPfSE_PS4_PT2_iSD_SD_.kd
    .uniform_work_group_size: 1
    .uses_dynamic_stack: false
    .vgpr_count:     82
    .vgpr_spill_count: 0
    .wavefront_size: 64
  - .agpr_count:     0
    .args:
      - .actual_access:  read_only
        .address_space:  global
        .offset:         0
        .size:           8
        .value_kind:     global_buffer
      - .actual_access:  read_only
        .address_space:  global
        .offset:         8
        .size:           8
        .value_kind:     global_buffer
      - .actual_access:  read_only
        .address_space:  global
        .offset:         16
        .size:           8
        .value_kind:     global_buffer
      - .offset:         24
        .size:           4
        .value_kind:     by_value
      - .offset:         28
        .size:           4
        .value_kind:     by_value
      - .actual_access:  read_only
        .address_space:  global
        .offset:         32
        .size:           8
        .value_kind:     global_buffer
      - .actual_access:  read_only
        .address_space:  global
        .offset:         40
        .size:           8
        .value_kind:     global_buffer
      - .actual_access:  read_only
        .address_space:  global
        .offset:         48
        .size:           8
        .value_kind:     global_buffer
      - .offset:         56
        .size:           4
        .value_kind:     by_value
      - .actual_access:  read_only
        .address_space:  global
        .offset:         64
        .size:           8
        .value_kind:     global_buffer
      - .offset:         72
        .size:           4
        .value_kind:     by_value
      - .offset:         76
        .size:           4
        .value_kind:     by_value
      - .offset:         80
        .size:           4
        .value_kind:     by_value
      - .actual_access:  write_only
        .address_space:  global
        .offset:         88
        .size:           8
        .value_kind:     global_buffer
      - .actual_access:  write_only
        .address_space:  global
        .offset:         96
        .size:           8
        .value_kind:     global_buffer
      - .actual_access:  write_only
        .address_space:  global
        .offset:         104
        .size:           8
        .value_kind:     global_buffer
      - .actual_access:  read_only
        .address_space:  global
        .offset:         112
        .size:           8
        .value_kind:     global_buffer
      - .offset:         120
        .size:           4
        .value_kind:     by_value
      - .address_space:  global
        .offset:         128
        .size:           8
        .value_kind:     global_buffer
      - .address_space:  global
        .offset:         136
        .size:           8
        .value_kind:     global_buffer
      - .offset:         144
        .size:           4
        .value_kind:     hidden_block_count_x
      - .offset:         148
        .size:           4
        .value_kind:     hidden_block_count_y
      - .offset:         152
        .size:           4
        .value_kind:     hidden_block_count_z
      - .offset:         156
        .size:           2
        .value_kind:     hidden_group_size_x
      - .offset:         158
        .size:           2
        .value_kind:     hidden_group_size_y
      - .offset:         160
        .size:           2
        .value_kind:     hidden_group_size_z
      - .offset:         162
        .size:           2
        .value_kind:     hidden_remainder_x
      - .offset:         164
        .size:           2
        .value_kind:     hidden_remainder_y
      - .offset:         166
        .size:           2
        .value_kind:     hidden_remainder_z
      - .offset:         184
        .size:           8
        .value_kind:     hidden_global_offset_x
      - .offset:         192
        .size:           8
        .value_kind:     hidden_global_offset_y
      - .offset:         200
        .size:           8
        .value_kind:     hidden_global_offset_z
      - .offset:         208
        .size:           2
        .value_kind:     hidden_grid_dims
    .group_segment_fixed_size: 8192
    .kernarg_segment_align: 8
    .kernarg_segment_size: 400
    .language:       OpenCL C
    .language_version:
      - 2
      - 0
    .max_flat_workgroup_size: 256
    .name:           _Z39paged_attention_ll4mi_QKV_mfma16_kernelI14__hip_bfloat16hLN4vllm18Fp8KVCacheDataTypeE1ES0_Li16ELi128ELi256ELb1ELi4EL8MFMAType0EEvPKT_PKT0_S9_ifPKiSB_SB_iPKfiiiPfSE_PS4_PT2_iSD_SD_
    .private_segment_fixed_size: 352
    .sgpr_count:     60
    .sgpr_spill_count: 0
    .symbol:         _Z39paged_attention_ll4mi_QKV_mfma16_kernelI14__hip_bfloat16hLN4vllm18Fp8KVCacheDataTypeE1ES0_Li16ELi128ELi256ELb1ELi4EL8MFMAType0EEvPKT_PKT0_S9_ifPKiSB_SB_iPKfiiiPfSE_PS4_PT2_iSD_SD_.kd
    .uniform_work_group_size: 1
    .uses_dynamic_stack: false
    .vgpr_count:     82
    .vgpr_spill_count: 0
    .wavefront_size: 64
  - .agpr_count:     0
    .args:
      - .actual_access:  read_only
        .address_space:  global
        .offset:         0
        .size:           8
        .value_kind:     global_buffer
      - .actual_access:  read_only
        .address_space:  global
        .offset:         8
        .size:           8
        .value_kind:     global_buffer
      - .actual_access:  read_only
        .address_space:  global
        .offset:         16
        .size:           8
        .value_kind:     global_buffer
      - .offset:         24
        .size:           4
        .value_kind:     by_value
      - .offset:         28
        .size:           4
        .value_kind:     by_value
      - .actual_access:  read_only
        .address_space:  global
        .offset:         32
        .size:           8
        .value_kind:     global_buffer
      - .actual_access:  read_only
        .address_space:  global
        .offset:         40
        .size:           8
        .value_kind:     global_buffer
      - .actual_access:  read_only
        .address_space:  global
        .offset:         48
        .size:           8
        .value_kind:     global_buffer
      - .offset:         56
        .size:           4
        .value_kind:     by_value
      - .actual_access:  read_only
        .address_space:  global
        .offset:         64
        .size:           8
        .value_kind:     global_buffer
      - .offset:         72
        .size:           4
        .value_kind:     by_value
      - .offset:         76
        .size:           4
        .value_kind:     by_value
      - .offset:         80
        .size:           4
        .value_kind:     by_value
      - .actual_access:  write_only
        .address_space:  global
        .offset:         88
        .size:           8
        .value_kind:     global_buffer
      - .actual_access:  write_only
        .address_space:  global
        .offset:         96
        .size:           8
        .value_kind:     global_buffer
      - .actual_access:  write_only
        .address_space:  global
        .offset:         104
        .size:           8
        .value_kind:     global_buffer
      - .actual_access:  read_only
        .address_space:  global
        .offset:         112
        .size:           8
        .value_kind:     global_buffer
      - .offset:         120
        .size:           4
        .value_kind:     by_value
      - .address_space:  global
        .offset:         128
        .size:           8
        .value_kind:     global_buffer
      - .address_space:  global
        .offset:         136
        .size:           8
        .value_kind:     global_buffer
      - .offset:         144
        .size:           4
        .value_kind:     hidden_block_count_x
      - .offset:         148
        .size:           4
        .value_kind:     hidden_block_count_y
      - .offset:         152
        .size:           4
        .value_kind:     hidden_block_count_z
      - .offset:         156
        .size:           2
        .value_kind:     hidden_group_size_x
      - .offset:         158
        .size:           2
        .value_kind:     hidden_group_size_y
      - .offset:         160
        .size:           2
        .value_kind:     hidden_group_size_z
      - .offset:         162
        .size:           2
        .value_kind:     hidden_remainder_x
      - .offset:         164
        .size:           2
        .value_kind:     hidden_remainder_y
      - .offset:         166
        .size:           2
        .value_kind:     hidden_remainder_z
      - .offset:         184
        .size:           8
        .value_kind:     hidden_global_offset_x
      - .offset:         192
        .size:           8
        .value_kind:     hidden_global_offset_y
      - .offset:         200
        .size:           8
        .value_kind:     hidden_global_offset_z
      - .offset:         208
        .size:           2
        .value_kind:     hidden_grid_dims
    .group_segment_fixed_size: 8192
    .kernarg_segment_align: 8
    .kernarg_segment_size: 400
    .language:       OpenCL C
    .language_version:
      - 2
      - 0
    .max_flat_workgroup_size: 256
    .name:           _Z39paged_attention_ll4mi_QKV_mfma16_kernelI14__hip_bfloat16hLN4vllm18Fp8KVCacheDataTypeE1ES0_Li16ELi128ELi256ELb0ELi5EL8MFMAType0EEvPKT_PKT0_S9_ifPKiSB_SB_iPKfiiiPfSE_PS4_PT2_iSD_SD_
    .private_segment_fixed_size: 352
    .sgpr_count:     57
    .sgpr_spill_count: 0
    .symbol:         _Z39paged_attention_ll4mi_QKV_mfma16_kernelI14__hip_bfloat16hLN4vllm18Fp8KVCacheDataTypeE1ES0_Li16ELi128ELi256ELb0ELi5EL8MFMAType0EEvPKT_PKT0_S9_ifPKiSB_SB_iPKfiiiPfSE_PS4_PT2_iSD_SD_.kd
    .uniform_work_group_size: 1
    .uses_dynamic_stack: false
    .vgpr_count:     76
    .vgpr_spill_count: 0
    .wavefront_size: 64
  - .agpr_count:     0
    .args:
      - .actual_access:  read_only
        .address_space:  global
        .offset:         0
        .size:           8
        .value_kind:     global_buffer
      - .actual_access:  read_only
        .address_space:  global
        .offset:         8
        .size:           8
        .value_kind:     global_buffer
      - .actual_access:  read_only
        .address_space:  global
        .offset:         16
        .size:           8
        .value_kind:     global_buffer
      - .offset:         24
        .size:           4
        .value_kind:     by_value
      - .offset:         28
        .size:           4
        .value_kind:     by_value
      - .actual_access:  read_only
        .address_space:  global
        .offset:         32
        .size:           8
        .value_kind:     global_buffer
      - .actual_access:  read_only
        .address_space:  global
        .offset:         40
        .size:           8
        .value_kind:     global_buffer
      - .actual_access:  read_only
        .address_space:  global
        .offset:         48
        .size:           8
        .value_kind:     global_buffer
      - .offset:         56
        .size:           4
        .value_kind:     by_value
      - .actual_access:  read_only
        .address_space:  global
        .offset:         64
        .size:           8
        .value_kind:     global_buffer
      - .offset:         72
        .size:           4
        .value_kind:     by_value
      - .offset:         76
        .size:           4
        .value_kind:     by_value
      - .offset:         80
        .size:           4
        .value_kind:     by_value
      - .actual_access:  write_only
        .address_space:  global
        .offset:         88
        .size:           8
        .value_kind:     global_buffer
      - .actual_access:  write_only
        .address_space:  global
        .offset:         96
        .size:           8
        .value_kind:     global_buffer
      - .actual_access:  write_only
        .address_space:  global
        .offset:         104
        .size:           8
        .value_kind:     global_buffer
      - .actual_access:  read_only
        .address_space:  global
        .offset:         112
        .size:           8
        .value_kind:     global_buffer
      - .offset:         120
        .size:           4
        .value_kind:     by_value
      - .address_space:  global
        .offset:         128
        .size:           8
        .value_kind:     global_buffer
      - .address_space:  global
        .offset:         136
        .size:           8
        .value_kind:     global_buffer
      - .offset:         144
        .size:           4
        .value_kind:     hidden_block_count_x
      - .offset:         148
        .size:           4
        .value_kind:     hidden_block_count_y
      - .offset:         152
        .size:           4
        .value_kind:     hidden_block_count_z
      - .offset:         156
        .size:           2
        .value_kind:     hidden_group_size_x
      - .offset:         158
        .size:           2
        .value_kind:     hidden_group_size_y
      - .offset:         160
        .size:           2
        .value_kind:     hidden_group_size_z
      - .offset:         162
        .size:           2
        .value_kind:     hidden_remainder_x
      - .offset:         164
        .size:           2
        .value_kind:     hidden_remainder_y
      - .offset:         166
        .size:           2
        .value_kind:     hidden_remainder_z
      - .offset:         184
        .size:           8
        .value_kind:     hidden_global_offset_x
      - .offset:         192
        .size:           8
        .value_kind:     hidden_global_offset_y
      - .offset:         200
        .size:           8
        .value_kind:     hidden_global_offset_z
      - .offset:         208
        .size:           2
        .value_kind:     hidden_grid_dims
    .group_segment_fixed_size: 8192
    .kernarg_segment_align: 8
    .kernarg_segment_size: 400
    .language:       OpenCL C
    .language_version:
      - 2
      - 0
    .max_flat_workgroup_size: 256
    .name:           _Z39paged_attention_ll4mi_QKV_mfma16_kernelI14__hip_bfloat16hLN4vllm18Fp8KVCacheDataTypeE1ES0_Li16ELi128ELi256ELb0ELi6EL8MFMAType0EEvPKT_PKT0_S9_ifPKiSB_SB_iPKfiiiPfSE_PS4_PT2_iSD_SD_
    .private_segment_fixed_size: 352
    .sgpr_count:     57
    .sgpr_spill_count: 0
    .symbol:         _Z39paged_attention_ll4mi_QKV_mfma16_kernelI14__hip_bfloat16hLN4vllm18Fp8KVCacheDataTypeE1ES0_Li16ELi128ELi256ELb0ELi6EL8MFMAType0EEvPKT_PKT0_S9_ifPKiSB_SB_iPKfiiiPfSE_PS4_PT2_iSD_SD_.kd
    .uniform_work_group_size: 1
    .uses_dynamic_stack: false
    .vgpr_count:     76
    .vgpr_spill_count: 0
    .wavefront_size: 64
  - .agpr_count:     0
    .args:
      - .actual_access:  read_only
        .address_space:  global
        .offset:         0
        .size:           8
        .value_kind:     global_buffer
      - .actual_access:  read_only
        .address_space:  global
        .offset:         8
        .size:           8
        .value_kind:     global_buffer
      - .actual_access:  read_only
        .address_space:  global
        .offset:         16
        .size:           8
        .value_kind:     global_buffer
      - .offset:         24
        .size:           4
        .value_kind:     by_value
      - .offset:         28
        .size:           4
        .value_kind:     by_value
      - .actual_access:  read_only
        .address_space:  global
        .offset:         32
        .size:           8
        .value_kind:     global_buffer
      - .actual_access:  read_only
        .address_space:  global
        .offset:         40
        .size:           8
        .value_kind:     global_buffer
      - .actual_access:  read_only
        .address_space:  global
        .offset:         48
        .size:           8
        .value_kind:     global_buffer
      - .offset:         56
        .size:           4
        .value_kind:     by_value
      - .actual_access:  read_only
        .address_space:  global
        .offset:         64
        .size:           8
        .value_kind:     global_buffer
      - .offset:         72
        .size:           4
        .value_kind:     by_value
      - .offset:         76
        .size:           4
        .value_kind:     by_value
      - .offset:         80
        .size:           4
        .value_kind:     by_value
      - .actual_access:  write_only
        .address_space:  global
        .offset:         88
        .size:           8
        .value_kind:     global_buffer
      - .actual_access:  write_only
        .address_space:  global
        .offset:         96
        .size:           8
        .value_kind:     global_buffer
      - .actual_access:  write_only
        .address_space:  global
        .offset:         104
        .size:           8
        .value_kind:     global_buffer
      - .actual_access:  read_only
        .address_space:  global
        .offset:         112
        .size:           8
        .value_kind:     global_buffer
      - .offset:         120
        .size:           4
        .value_kind:     by_value
      - .address_space:  global
        .offset:         128
        .size:           8
        .value_kind:     global_buffer
      - .address_space:  global
        .offset:         136
        .size:           8
        .value_kind:     global_buffer
      - .offset:         144
        .size:           4
        .value_kind:     hidden_block_count_x
      - .offset:         148
        .size:           4
        .value_kind:     hidden_block_count_y
      - .offset:         152
        .size:           4
        .value_kind:     hidden_block_count_z
      - .offset:         156
        .size:           2
        .value_kind:     hidden_group_size_x
      - .offset:         158
        .size:           2
        .value_kind:     hidden_group_size_y
      - .offset:         160
        .size:           2
        .value_kind:     hidden_group_size_z
      - .offset:         162
        .size:           2
        .value_kind:     hidden_remainder_x
      - .offset:         164
        .size:           2
        .value_kind:     hidden_remainder_y
      - .offset:         166
        .size:           2
        .value_kind:     hidden_remainder_z
      - .offset:         184
        .size:           8
        .value_kind:     hidden_global_offset_x
      - .offset:         192
        .size:           8
        .value_kind:     hidden_global_offset_y
      - .offset:         200
        .size:           8
        .value_kind:     hidden_global_offset_z
      - .offset:         208
        .size:           2
        .value_kind:     hidden_grid_dims
    .group_segment_fixed_size: 8192
    .kernarg_segment_align: 8
    .kernarg_segment_size: 400
    .language:       OpenCL C
    .language_version:
      - 2
      - 0
    .max_flat_workgroup_size: 256
    .name:           _Z39paged_attention_ll4mi_QKV_mfma16_kernelI14__hip_bfloat16hLN4vllm18Fp8KVCacheDataTypeE1ES0_Li16ELi128ELi256ELb0ELi7EL8MFMAType0EEvPKT_PKT0_S9_ifPKiSB_SB_iPKfiiiPfSE_PS4_PT2_iSD_SD_
    .private_segment_fixed_size: 352
    .sgpr_count:     57
    .sgpr_spill_count: 0
    .symbol:         _Z39paged_attention_ll4mi_QKV_mfma16_kernelI14__hip_bfloat16hLN4vllm18Fp8KVCacheDataTypeE1ES0_Li16ELi128ELi256ELb0ELi7EL8MFMAType0EEvPKT_PKT0_S9_ifPKiSB_SB_iPKfiiiPfSE_PS4_PT2_iSD_SD_.kd
    .uniform_work_group_size: 1
    .uses_dynamic_stack: false
    .vgpr_count:     76
    .vgpr_spill_count: 0
    .wavefront_size: 64
  - .agpr_count:     0
    .args:
      - .actual_access:  read_only
        .address_space:  global
        .offset:         0
        .size:           8
        .value_kind:     global_buffer
      - .actual_access:  read_only
        .address_space:  global
        .offset:         8
        .size:           8
        .value_kind:     global_buffer
      - .actual_access:  read_only
        .address_space:  global
        .offset:         16
        .size:           8
        .value_kind:     global_buffer
      - .offset:         24
        .size:           4
        .value_kind:     by_value
      - .offset:         28
        .size:           4
        .value_kind:     by_value
      - .actual_access:  read_only
        .address_space:  global
        .offset:         32
        .size:           8
        .value_kind:     global_buffer
      - .actual_access:  read_only
        .address_space:  global
        .offset:         40
        .size:           8
        .value_kind:     global_buffer
      - .actual_access:  read_only
        .address_space:  global
        .offset:         48
        .size:           8
        .value_kind:     global_buffer
      - .offset:         56
        .size:           4
        .value_kind:     by_value
      - .actual_access:  read_only
        .address_space:  global
        .offset:         64
        .size:           8
        .value_kind:     global_buffer
      - .offset:         72
        .size:           4
        .value_kind:     by_value
      - .offset:         76
        .size:           4
        .value_kind:     by_value
      - .offset:         80
        .size:           4
        .value_kind:     by_value
      - .actual_access:  write_only
        .address_space:  global
        .offset:         88
        .size:           8
        .value_kind:     global_buffer
      - .actual_access:  write_only
        .address_space:  global
        .offset:         96
        .size:           8
        .value_kind:     global_buffer
      - .actual_access:  write_only
        .address_space:  global
        .offset:         104
        .size:           8
        .value_kind:     global_buffer
      - .actual_access:  read_only
        .address_space:  global
        .offset:         112
        .size:           8
        .value_kind:     global_buffer
      - .offset:         120
        .size:           4
        .value_kind:     by_value
      - .address_space:  global
        .offset:         128
        .size:           8
        .value_kind:     global_buffer
      - .address_space:  global
        .offset:         136
        .size:           8
        .value_kind:     global_buffer
      - .offset:         144
        .size:           4
        .value_kind:     hidden_block_count_x
      - .offset:         148
        .size:           4
        .value_kind:     hidden_block_count_y
      - .offset:         152
        .size:           4
        .value_kind:     hidden_block_count_z
      - .offset:         156
        .size:           2
        .value_kind:     hidden_group_size_x
      - .offset:         158
        .size:           2
        .value_kind:     hidden_group_size_y
      - .offset:         160
        .size:           2
        .value_kind:     hidden_group_size_z
      - .offset:         162
        .size:           2
        .value_kind:     hidden_remainder_x
      - .offset:         164
        .size:           2
        .value_kind:     hidden_remainder_y
      - .offset:         166
        .size:           2
        .value_kind:     hidden_remainder_z
      - .offset:         184
        .size:           8
        .value_kind:     hidden_global_offset_x
      - .offset:         192
        .size:           8
        .value_kind:     hidden_global_offset_y
      - .offset:         200
        .size:           8
        .value_kind:     hidden_global_offset_z
      - .offset:         208
        .size:           2
        .value_kind:     hidden_grid_dims
    .group_segment_fixed_size: 8192
    .kernarg_segment_align: 8
    .kernarg_segment_size: 400
    .language:       OpenCL C
    .language_version:
      - 2
      - 0
    .max_flat_workgroup_size: 256
    .name:           _Z39paged_attention_ll4mi_QKV_mfma16_kernelI14__hip_bfloat16hLN4vllm18Fp8KVCacheDataTypeE1ES0_Li16ELi128ELi256ELb0ELi8EL8MFMAType0EEvPKT_PKT0_S9_ifPKiSB_SB_iPKfiiiPfSE_PS4_PT2_iSD_SD_
    .private_segment_fixed_size: 352
    .sgpr_count:     57
    .sgpr_spill_count: 0
    .symbol:         _Z39paged_attention_ll4mi_QKV_mfma16_kernelI14__hip_bfloat16hLN4vllm18Fp8KVCacheDataTypeE1ES0_Li16ELi128ELi256ELb0ELi8EL8MFMAType0EEvPKT_PKT0_S9_ifPKiSB_SB_iPKfiiiPfSE_PS4_PT2_iSD_SD_.kd
    .uniform_work_group_size: 1
    .uses_dynamic_stack: false
    .vgpr_count:     80
    .vgpr_spill_count: 0
    .wavefront_size: 64
  - .agpr_count:     0
    .args:
      - .actual_access:  read_only
        .address_space:  global
        .offset:         0
        .size:           8
        .value_kind:     global_buffer
      - .actual_access:  read_only
        .address_space:  global
        .offset:         8
        .size:           8
        .value_kind:     global_buffer
      - .actual_access:  read_only
        .address_space:  global
        .offset:         16
        .size:           8
        .value_kind:     global_buffer
      - .offset:         24
        .size:           4
        .value_kind:     by_value
      - .offset:         28
        .size:           4
        .value_kind:     by_value
      - .actual_access:  read_only
        .address_space:  global
        .offset:         32
        .size:           8
        .value_kind:     global_buffer
      - .actual_access:  read_only
        .address_space:  global
        .offset:         40
        .size:           8
        .value_kind:     global_buffer
      - .actual_access:  read_only
        .address_space:  global
        .offset:         48
        .size:           8
        .value_kind:     global_buffer
      - .offset:         56
        .size:           4
        .value_kind:     by_value
      - .actual_access:  read_only
        .address_space:  global
        .offset:         64
        .size:           8
        .value_kind:     global_buffer
      - .offset:         72
        .size:           4
        .value_kind:     by_value
      - .offset:         76
        .size:           4
        .value_kind:     by_value
      - .offset:         80
        .size:           4
        .value_kind:     by_value
      - .actual_access:  write_only
        .address_space:  global
        .offset:         88
        .size:           8
        .value_kind:     global_buffer
      - .actual_access:  write_only
        .address_space:  global
        .offset:         96
        .size:           8
        .value_kind:     global_buffer
      - .actual_access:  write_only
        .address_space:  global
        .offset:         104
        .size:           8
        .value_kind:     global_buffer
      - .actual_access:  read_only
        .address_space:  global
        .offset:         112
        .size:           8
        .value_kind:     global_buffer
      - .offset:         120
        .size:           4
        .value_kind:     by_value
      - .address_space:  global
        .offset:         128
        .size:           8
        .value_kind:     global_buffer
      - .address_space:  global
        .offset:         136
        .size:           8
        .value_kind:     global_buffer
      - .offset:         144
        .size:           4
        .value_kind:     hidden_block_count_x
      - .offset:         148
        .size:           4
        .value_kind:     hidden_block_count_y
      - .offset:         152
        .size:           4
        .value_kind:     hidden_block_count_z
      - .offset:         156
        .size:           2
        .value_kind:     hidden_group_size_x
      - .offset:         158
        .size:           2
        .value_kind:     hidden_group_size_y
      - .offset:         160
        .size:           2
        .value_kind:     hidden_group_size_z
      - .offset:         162
        .size:           2
        .value_kind:     hidden_remainder_x
      - .offset:         164
        .size:           2
        .value_kind:     hidden_remainder_y
      - .offset:         166
        .size:           2
        .value_kind:     hidden_remainder_z
      - .offset:         184
        .size:           8
        .value_kind:     hidden_global_offset_x
      - .offset:         192
        .size:           8
        .value_kind:     hidden_global_offset_y
      - .offset:         200
        .size:           8
        .value_kind:     hidden_global_offset_z
      - .offset:         208
        .size:           2
        .value_kind:     hidden_grid_dims
    .group_segment_fixed_size: 8192
    .kernarg_segment_align: 8
    .kernarg_segment_size: 400
    .language:       OpenCL C
    .language_version:
      - 2
      - 0
    .max_flat_workgroup_size: 256
    .name:           _Z39paged_attention_ll4mi_QKV_mfma16_kernelI14__hip_bfloat16hLN4vllm18Fp8KVCacheDataTypeE1ES0_Li16ELi128ELi256ELb0ELi9EL8MFMAType0EEvPKT_PKT0_S9_ifPKiSB_SB_iPKfiiiPfSE_PS4_PT2_iSD_SD_
    .private_segment_fixed_size: 352
    .sgpr_count:     57
    .sgpr_spill_count: 0
    .symbol:         _Z39paged_attention_ll4mi_QKV_mfma16_kernelI14__hip_bfloat16hLN4vllm18Fp8KVCacheDataTypeE1ES0_Li16ELi128ELi256ELb0ELi9EL8MFMAType0EEvPKT_PKT0_S9_ifPKiSB_SB_iPKfiiiPfSE_PS4_PT2_iSD_SD_.kd
    .uniform_work_group_size: 1
    .uses_dynamic_stack: false
    .vgpr_count:     76
    .vgpr_spill_count: 0
    .wavefront_size: 64
  - .agpr_count:     0
    .args:
      - .actual_access:  read_only
        .address_space:  global
        .offset:         0
        .size:           8
        .value_kind:     global_buffer
      - .actual_access:  read_only
        .address_space:  global
        .offset:         8
        .size:           8
        .value_kind:     global_buffer
      - .actual_access:  read_only
        .address_space:  global
        .offset:         16
        .size:           8
        .value_kind:     global_buffer
      - .offset:         24
        .size:           4
        .value_kind:     by_value
      - .offset:         28
        .size:           4
        .value_kind:     by_value
      - .actual_access:  read_only
        .address_space:  global
        .offset:         32
        .size:           8
        .value_kind:     global_buffer
      - .actual_access:  read_only
        .address_space:  global
        .offset:         40
        .size:           8
        .value_kind:     global_buffer
      - .actual_access:  read_only
        .address_space:  global
        .offset:         48
        .size:           8
        .value_kind:     global_buffer
      - .offset:         56
        .size:           4
        .value_kind:     by_value
      - .actual_access:  read_only
        .address_space:  global
        .offset:         64
        .size:           8
        .value_kind:     global_buffer
      - .offset:         72
        .size:           4
        .value_kind:     by_value
      - .offset:         76
        .size:           4
        .value_kind:     by_value
      - .offset:         80
        .size:           4
        .value_kind:     by_value
      - .actual_access:  write_only
        .address_space:  global
        .offset:         88
        .size:           8
        .value_kind:     global_buffer
      - .actual_access:  write_only
        .address_space:  global
        .offset:         96
        .size:           8
        .value_kind:     global_buffer
      - .actual_access:  write_only
        .address_space:  global
        .offset:         104
        .size:           8
        .value_kind:     global_buffer
      - .actual_access:  read_only
        .address_space:  global
        .offset:         112
        .size:           8
        .value_kind:     global_buffer
      - .offset:         120
        .size:           4
        .value_kind:     by_value
      - .address_space:  global
        .offset:         128
        .size:           8
        .value_kind:     global_buffer
      - .address_space:  global
        .offset:         136
        .size:           8
        .value_kind:     global_buffer
      - .offset:         144
        .size:           4
        .value_kind:     hidden_block_count_x
      - .offset:         148
        .size:           4
        .value_kind:     hidden_block_count_y
      - .offset:         152
        .size:           4
        .value_kind:     hidden_block_count_z
      - .offset:         156
        .size:           2
        .value_kind:     hidden_group_size_x
      - .offset:         158
        .size:           2
        .value_kind:     hidden_group_size_y
      - .offset:         160
        .size:           2
        .value_kind:     hidden_group_size_z
      - .offset:         162
        .size:           2
        .value_kind:     hidden_remainder_x
      - .offset:         164
        .size:           2
        .value_kind:     hidden_remainder_y
      - .offset:         166
        .size:           2
        .value_kind:     hidden_remainder_z
      - .offset:         184
        .size:           8
        .value_kind:     hidden_global_offset_x
      - .offset:         192
        .size:           8
        .value_kind:     hidden_global_offset_y
      - .offset:         200
        .size:           8
        .value_kind:     hidden_global_offset_z
      - .offset:         208
        .size:           2
        .value_kind:     hidden_grid_dims
    .group_segment_fixed_size: 8192
    .kernarg_segment_align: 8
    .kernarg_segment_size: 400
    .language:       OpenCL C
    .language_version:
      - 2
      - 0
    .max_flat_workgroup_size: 256
    .name:           _Z39paged_attention_ll4mi_QKV_mfma16_kernelI14__hip_bfloat16hLN4vllm18Fp8KVCacheDataTypeE1ES0_Li16ELi128ELi256ELb0ELi10EL8MFMAType0EEvPKT_PKT0_S9_ifPKiSB_SB_iPKfiiiPfSE_PS4_PT2_iSD_SD_
    .private_segment_fixed_size: 352
    .sgpr_count:     57
    .sgpr_spill_count: 0
    .symbol:         _Z39paged_attention_ll4mi_QKV_mfma16_kernelI14__hip_bfloat16hLN4vllm18Fp8KVCacheDataTypeE1ES0_Li16ELi128ELi256ELb0ELi10EL8MFMAType0EEvPKT_PKT0_S9_ifPKiSB_SB_iPKfiiiPfSE_PS4_PT2_iSD_SD_.kd
    .uniform_work_group_size: 1
    .uses_dynamic_stack: false
    .vgpr_count:     76
    .vgpr_spill_count: 0
    .wavefront_size: 64
  - .agpr_count:     0
    .args:
      - .actual_access:  read_only
        .address_space:  global
        .offset:         0
        .size:           8
        .value_kind:     global_buffer
      - .actual_access:  read_only
        .address_space:  global
        .offset:         8
        .size:           8
        .value_kind:     global_buffer
      - .actual_access:  read_only
        .address_space:  global
        .offset:         16
        .size:           8
        .value_kind:     global_buffer
      - .offset:         24
        .size:           4
        .value_kind:     by_value
      - .offset:         28
        .size:           4
        .value_kind:     by_value
      - .actual_access:  read_only
        .address_space:  global
        .offset:         32
        .size:           8
        .value_kind:     global_buffer
      - .actual_access:  read_only
        .address_space:  global
        .offset:         40
        .size:           8
        .value_kind:     global_buffer
      - .actual_access:  read_only
        .address_space:  global
        .offset:         48
        .size:           8
        .value_kind:     global_buffer
      - .offset:         56
        .size:           4
        .value_kind:     by_value
      - .actual_access:  read_only
        .address_space:  global
        .offset:         64
        .size:           8
        .value_kind:     global_buffer
      - .offset:         72
        .size:           4
        .value_kind:     by_value
      - .offset:         76
        .size:           4
        .value_kind:     by_value
      - .offset:         80
        .size:           4
        .value_kind:     by_value
      - .actual_access:  write_only
        .address_space:  global
        .offset:         88
        .size:           8
        .value_kind:     global_buffer
      - .actual_access:  write_only
        .address_space:  global
        .offset:         96
        .size:           8
        .value_kind:     global_buffer
      - .actual_access:  write_only
        .address_space:  global
        .offset:         104
        .size:           8
        .value_kind:     global_buffer
      - .actual_access:  read_only
        .address_space:  global
        .offset:         112
        .size:           8
        .value_kind:     global_buffer
      - .offset:         120
        .size:           4
        .value_kind:     by_value
      - .address_space:  global
        .offset:         128
        .size:           8
        .value_kind:     global_buffer
      - .address_space:  global
        .offset:         136
        .size:           8
        .value_kind:     global_buffer
      - .offset:         144
        .size:           4
        .value_kind:     hidden_block_count_x
      - .offset:         148
        .size:           4
        .value_kind:     hidden_block_count_y
      - .offset:         152
        .size:           4
        .value_kind:     hidden_block_count_z
      - .offset:         156
        .size:           2
        .value_kind:     hidden_group_size_x
      - .offset:         158
        .size:           2
        .value_kind:     hidden_group_size_y
      - .offset:         160
        .size:           2
        .value_kind:     hidden_group_size_z
      - .offset:         162
        .size:           2
        .value_kind:     hidden_remainder_x
      - .offset:         164
        .size:           2
        .value_kind:     hidden_remainder_y
      - .offset:         166
        .size:           2
        .value_kind:     hidden_remainder_z
      - .offset:         184
        .size:           8
        .value_kind:     hidden_global_offset_x
      - .offset:         192
        .size:           8
        .value_kind:     hidden_global_offset_y
      - .offset:         200
        .size:           8
        .value_kind:     hidden_global_offset_z
      - .offset:         208
        .size:           2
        .value_kind:     hidden_grid_dims
    .group_segment_fixed_size: 8192
    .kernarg_segment_align: 8
    .kernarg_segment_size: 400
    .language:       OpenCL C
    .language_version:
      - 2
      - 0
    .max_flat_workgroup_size: 256
    .name:           _Z39paged_attention_ll4mi_QKV_mfma16_kernelI14__hip_bfloat16hLN4vllm18Fp8KVCacheDataTypeE1ES0_Li16ELi128ELi256ELb0ELi11EL8MFMAType0EEvPKT_PKT0_S9_ifPKiSB_SB_iPKfiiiPfSE_PS4_PT2_iSD_SD_
    .private_segment_fixed_size: 352
    .sgpr_count:     57
    .sgpr_spill_count: 0
    .symbol:         _Z39paged_attention_ll4mi_QKV_mfma16_kernelI14__hip_bfloat16hLN4vllm18Fp8KVCacheDataTypeE1ES0_Li16ELi128ELi256ELb0ELi11EL8MFMAType0EEvPKT_PKT0_S9_ifPKiSB_SB_iPKfiiiPfSE_PS4_PT2_iSD_SD_.kd
    .uniform_work_group_size: 1
    .uses_dynamic_stack: false
    .vgpr_count:     76
    .vgpr_spill_count: 0
    .wavefront_size: 64
  - .agpr_count:     0
    .args:
      - .actual_access:  read_only
        .address_space:  global
        .offset:         0
        .size:           8
        .value_kind:     global_buffer
      - .actual_access:  read_only
        .address_space:  global
        .offset:         8
        .size:           8
        .value_kind:     global_buffer
      - .actual_access:  read_only
        .address_space:  global
        .offset:         16
        .size:           8
        .value_kind:     global_buffer
      - .offset:         24
        .size:           4
        .value_kind:     by_value
      - .offset:         28
        .size:           4
        .value_kind:     by_value
      - .actual_access:  read_only
        .address_space:  global
        .offset:         32
        .size:           8
        .value_kind:     global_buffer
      - .actual_access:  read_only
        .address_space:  global
        .offset:         40
        .size:           8
        .value_kind:     global_buffer
      - .actual_access:  read_only
        .address_space:  global
        .offset:         48
        .size:           8
        .value_kind:     global_buffer
      - .offset:         56
        .size:           4
        .value_kind:     by_value
      - .actual_access:  read_only
        .address_space:  global
        .offset:         64
        .size:           8
        .value_kind:     global_buffer
      - .offset:         72
        .size:           4
        .value_kind:     by_value
      - .offset:         76
        .size:           4
        .value_kind:     by_value
      - .offset:         80
        .size:           4
        .value_kind:     by_value
      - .actual_access:  write_only
        .address_space:  global
        .offset:         88
        .size:           8
        .value_kind:     global_buffer
      - .actual_access:  write_only
        .address_space:  global
        .offset:         96
        .size:           8
        .value_kind:     global_buffer
      - .actual_access:  write_only
        .address_space:  global
        .offset:         104
        .size:           8
        .value_kind:     global_buffer
      - .actual_access:  read_only
        .address_space:  global
        .offset:         112
        .size:           8
        .value_kind:     global_buffer
      - .offset:         120
        .size:           4
        .value_kind:     by_value
      - .address_space:  global
        .offset:         128
        .size:           8
        .value_kind:     global_buffer
      - .address_space:  global
        .offset:         136
        .size:           8
        .value_kind:     global_buffer
      - .offset:         144
        .size:           4
        .value_kind:     hidden_block_count_x
      - .offset:         148
        .size:           4
        .value_kind:     hidden_block_count_y
      - .offset:         152
        .size:           4
        .value_kind:     hidden_block_count_z
      - .offset:         156
        .size:           2
        .value_kind:     hidden_group_size_x
      - .offset:         158
        .size:           2
        .value_kind:     hidden_group_size_y
      - .offset:         160
        .size:           2
        .value_kind:     hidden_group_size_z
      - .offset:         162
        .size:           2
        .value_kind:     hidden_remainder_x
      - .offset:         164
        .size:           2
        .value_kind:     hidden_remainder_y
      - .offset:         166
        .size:           2
        .value_kind:     hidden_remainder_z
      - .offset:         184
        .size:           8
        .value_kind:     hidden_global_offset_x
      - .offset:         192
        .size:           8
        .value_kind:     hidden_global_offset_y
      - .offset:         200
        .size:           8
        .value_kind:     hidden_global_offset_z
      - .offset:         208
        .size:           2
        .value_kind:     hidden_grid_dims
    .group_segment_fixed_size: 8192
    .kernarg_segment_align: 8
    .kernarg_segment_size: 400
    .language:       OpenCL C
    .language_version:
      - 2
      - 0
    .max_flat_workgroup_size: 256
    .name:           _Z39paged_attention_ll4mi_QKV_mfma16_kernelI14__hip_bfloat16hLN4vllm18Fp8KVCacheDataTypeE1ES0_Li16ELi128ELi256ELb0ELi12EL8MFMAType0EEvPKT_PKT0_S9_ifPKiSB_SB_iPKfiiiPfSE_PS4_PT2_iSD_SD_
    .private_segment_fixed_size: 352
    .sgpr_count:     57
    .sgpr_spill_count: 0
    .symbol:         _Z39paged_attention_ll4mi_QKV_mfma16_kernelI14__hip_bfloat16hLN4vllm18Fp8KVCacheDataTypeE1ES0_Li16ELi128ELi256ELb0ELi12EL8MFMAType0EEvPKT_PKT0_S9_ifPKiSB_SB_iPKfiiiPfSE_PS4_PT2_iSD_SD_.kd
    .uniform_work_group_size: 1
    .uses_dynamic_stack: false
    .vgpr_count:     76
    .vgpr_spill_count: 0
    .wavefront_size: 64
  - .agpr_count:     0
    .args:
      - .actual_access:  read_only
        .address_space:  global
        .offset:         0
        .size:           8
        .value_kind:     global_buffer
      - .actual_access:  read_only
        .address_space:  global
        .offset:         8
        .size:           8
        .value_kind:     global_buffer
      - .actual_access:  read_only
        .address_space:  global
        .offset:         16
        .size:           8
        .value_kind:     global_buffer
      - .offset:         24
        .size:           4
        .value_kind:     by_value
      - .offset:         28
        .size:           4
        .value_kind:     by_value
      - .actual_access:  read_only
        .address_space:  global
        .offset:         32
        .size:           8
        .value_kind:     global_buffer
      - .actual_access:  read_only
        .address_space:  global
        .offset:         40
        .size:           8
        .value_kind:     global_buffer
      - .actual_access:  read_only
        .address_space:  global
        .offset:         48
        .size:           8
        .value_kind:     global_buffer
      - .offset:         56
        .size:           4
        .value_kind:     by_value
      - .actual_access:  read_only
        .address_space:  global
        .offset:         64
        .size:           8
        .value_kind:     global_buffer
      - .offset:         72
        .size:           4
        .value_kind:     by_value
      - .offset:         76
        .size:           4
        .value_kind:     by_value
      - .offset:         80
        .size:           4
        .value_kind:     by_value
      - .actual_access:  write_only
        .address_space:  global
        .offset:         88
        .size:           8
        .value_kind:     global_buffer
      - .actual_access:  write_only
        .address_space:  global
        .offset:         96
        .size:           8
        .value_kind:     global_buffer
      - .actual_access:  write_only
        .address_space:  global
        .offset:         104
        .size:           8
        .value_kind:     global_buffer
      - .actual_access:  read_only
        .address_space:  global
        .offset:         112
        .size:           8
        .value_kind:     global_buffer
      - .offset:         120
        .size:           4
        .value_kind:     by_value
      - .address_space:  global
        .offset:         128
        .size:           8
        .value_kind:     global_buffer
      - .address_space:  global
        .offset:         136
        .size:           8
        .value_kind:     global_buffer
      - .offset:         144
        .size:           4
        .value_kind:     hidden_block_count_x
      - .offset:         148
        .size:           4
        .value_kind:     hidden_block_count_y
      - .offset:         152
        .size:           4
        .value_kind:     hidden_block_count_z
      - .offset:         156
        .size:           2
        .value_kind:     hidden_group_size_x
      - .offset:         158
        .size:           2
        .value_kind:     hidden_group_size_y
      - .offset:         160
        .size:           2
        .value_kind:     hidden_group_size_z
      - .offset:         162
        .size:           2
        .value_kind:     hidden_remainder_x
      - .offset:         164
        .size:           2
        .value_kind:     hidden_remainder_y
      - .offset:         166
        .size:           2
        .value_kind:     hidden_remainder_z
      - .offset:         184
        .size:           8
        .value_kind:     hidden_global_offset_x
      - .offset:         192
        .size:           8
        .value_kind:     hidden_global_offset_y
      - .offset:         200
        .size:           8
        .value_kind:     hidden_global_offset_z
      - .offset:         208
        .size:           2
        .value_kind:     hidden_grid_dims
    .group_segment_fixed_size: 8192
    .kernarg_segment_align: 8
    .kernarg_segment_size: 400
    .language:       OpenCL C
    .language_version:
      - 2
      - 0
    .max_flat_workgroup_size: 256
    .name:           _Z39paged_attention_ll4mi_QKV_mfma16_kernelI14__hip_bfloat16hLN4vllm18Fp8KVCacheDataTypeE1ES0_Li16ELi128ELi256ELb0ELi13EL8MFMAType0EEvPKT_PKT0_S9_ifPKiSB_SB_iPKfiiiPfSE_PS4_PT2_iSD_SD_
    .private_segment_fixed_size: 352
    .sgpr_count:     57
    .sgpr_spill_count: 0
    .symbol:         _Z39paged_attention_ll4mi_QKV_mfma16_kernelI14__hip_bfloat16hLN4vllm18Fp8KVCacheDataTypeE1ES0_Li16ELi128ELi256ELb0ELi13EL8MFMAType0EEvPKT_PKT0_S9_ifPKiSB_SB_iPKfiiiPfSE_PS4_PT2_iSD_SD_.kd
    .uniform_work_group_size: 1
    .uses_dynamic_stack: false
    .vgpr_count:     76
    .vgpr_spill_count: 0
    .wavefront_size: 64
  - .agpr_count:     0
    .args:
      - .actual_access:  read_only
        .address_space:  global
        .offset:         0
        .size:           8
        .value_kind:     global_buffer
      - .actual_access:  read_only
        .address_space:  global
        .offset:         8
        .size:           8
        .value_kind:     global_buffer
      - .actual_access:  read_only
        .address_space:  global
        .offset:         16
        .size:           8
        .value_kind:     global_buffer
      - .offset:         24
        .size:           4
        .value_kind:     by_value
      - .offset:         28
        .size:           4
        .value_kind:     by_value
      - .actual_access:  read_only
        .address_space:  global
        .offset:         32
        .size:           8
        .value_kind:     global_buffer
      - .actual_access:  read_only
        .address_space:  global
        .offset:         40
        .size:           8
        .value_kind:     global_buffer
      - .actual_access:  read_only
        .address_space:  global
        .offset:         48
        .size:           8
        .value_kind:     global_buffer
      - .offset:         56
        .size:           4
        .value_kind:     by_value
      - .actual_access:  read_only
        .address_space:  global
        .offset:         64
        .size:           8
        .value_kind:     global_buffer
      - .offset:         72
        .size:           4
        .value_kind:     by_value
      - .offset:         76
        .size:           4
        .value_kind:     by_value
      - .offset:         80
        .size:           4
        .value_kind:     by_value
      - .actual_access:  write_only
        .address_space:  global
        .offset:         88
        .size:           8
        .value_kind:     global_buffer
      - .actual_access:  write_only
        .address_space:  global
        .offset:         96
        .size:           8
        .value_kind:     global_buffer
      - .actual_access:  write_only
        .address_space:  global
        .offset:         104
        .size:           8
        .value_kind:     global_buffer
      - .actual_access:  read_only
        .address_space:  global
        .offset:         112
        .size:           8
        .value_kind:     global_buffer
      - .offset:         120
        .size:           4
        .value_kind:     by_value
      - .address_space:  global
        .offset:         128
        .size:           8
        .value_kind:     global_buffer
      - .address_space:  global
        .offset:         136
        .size:           8
        .value_kind:     global_buffer
      - .offset:         144
        .size:           4
        .value_kind:     hidden_block_count_x
      - .offset:         148
        .size:           4
        .value_kind:     hidden_block_count_y
      - .offset:         152
        .size:           4
        .value_kind:     hidden_block_count_z
      - .offset:         156
        .size:           2
        .value_kind:     hidden_group_size_x
      - .offset:         158
        .size:           2
        .value_kind:     hidden_group_size_y
      - .offset:         160
        .size:           2
        .value_kind:     hidden_group_size_z
      - .offset:         162
        .size:           2
        .value_kind:     hidden_remainder_x
      - .offset:         164
        .size:           2
        .value_kind:     hidden_remainder_y
      - .offset:         166
        .size:           2
        .value_kind:     hidden_remainder_z
      - .offset:         184
        .size:           8
        .value_kind:     hidden_global_offset_x
      - .offset:         192
        .size:           8
        .value_kind:     hidden_global_offset_y
      - .offset:         200
        .size:           8
        .value_kind:     hidden_global_offset_z
      - .offset:         208
        .size:           2
        .value_kind:     hidden_grid_dims
    .group_segment_fixed_size: 8192
    .kernarg_segment_align: 8
    .kernarg_segment_size: 400
    .language:       OpenCL C
    .language_version:
      - 2
      - 0
    .max_flat_workgroup_size: 256
    .name:           _Z39paged_attention_ll4mi_QKV_mfma16_kernelI14__hip_bfloat16hLN4vllm18Fp8KVCacheDataTypeE1ES0_Li16ELi128ELi256ELb0ELi14EL8MFMAType0EEvPKT_PKT0_S9_ifPKiSB_SB_iPKfiiiPfSE_PS4_PT2_iSD_SD_
    .private_segment_fixed_size: 352
    .sgpr_count:     57
    .sgpr_spill_count: 0
    .symbol:         _Z39paged_attention_ll4mi_QKV_mfma16_kernelI14__hip_bfloat16hLN4vllm18Fp8KVCacheDataTypeE1ES0_Li16ELi128ELi256ELb0ELi14EL8MFMAType0EEvPKT_PKT0_S9_ifPKiSB_SB_iPKfiiiPfSE_PS4_PT2_iSD_SD_.kd
    .uniform_work_group_size: 1
    .uses_dynamic_stack: false
    .vgpr_count:     76
    .vgpr_spill_count: 0
    .wavefront_size: 64
  - .agpr_count:     0
    .args:
      - .actual_access:  read_only
        .address_space:  global
        .offset:         0
        .size:           8
        .value_kind:     global_buffer
      - .actual_access:  read_only
        .address_space:  global
        .offset:         8
        .size:           8
        .value_kind:     global_buffer
      - .actual_access:  read_only
        .address_space:  global
        .offset:         16
        .size:           8
        .value_kind:     global_buffer
      - .offset:         24
        .size:           4
        .value_kind:     by_value
      - .offset:         28
        .size:           4
        .value_kind:     by_value
      - .actual_access:  read_only
        .address_space:  global
        .offset:         32
        .size:           8
        .value_kind:     global_buffer
      - .actual_access:  read_only
        .address_space:  global
        .offset:         40
        .size:           8
        .value_kind:     global_buffer
      - .actual_access:  read_only
        .address_space:  global
        .offset:         48
        .size:           8
        .value_kind:     global_buffer
      - .offset:         56
        .size:           4
        .value_kind:     by_value
      - .actual_access:  read_only
        .address_space:  global
        .offset:         64
        .size:           8
        .value_kind:     global_buffer
      - .offset:         72
        .size:           4
        .value_kind:     by_value
      - .offset:         76
        .size:           4
        .value_kind:     by_value
      - .offset:         80
        .size:           4
        .value_kind:     by_value
      - .actual_access:  write_only
        .address_space:  global
        .offset:         88
        .size:           8
        .value_kind:     global_buffer
      - .actual_access:  write_only
        .address_space:  global
        .offset:         96
        .size:           8
        .value_kind:     global_buffer
      - .actual_access:  write_only
        .address_space:  global
        .offset:         104
        .size:           8
        .value_kind:     global_buffer
      - .actual_access:  read_only
        .address_space:  global
        .offset:         112
        .size:           8
        .value_kind:     global_buffer
      - .offset:         120
        .size:           4
        .value_kind:     by_value
      - .address_space:  global
        .offset:         128
        .size:           8
        .value_kind:     global_buffer
      - .address_space:  global
        .offset:         136
        .size:           8
        .value_kind:     global_buffer
      - .offset:         144
        .size:           4
        .value_kind:     hidden_block_count_x
      - .offset:         148
        .size:           4
        .value_kind:     hidden_block_count_y
      - .offset:         152
        .size:           4
        .value_kind:     hidden_block_count_z
      - .offset:         156
        .size:           2
        .value_kind:     hidden_group_size_x
      - .offset:         158
        .size:           2
        .value_kind:     hidden_group_size_y
      - .offset:         160
        .size:           2
        .value_kind:     hidden_group_size_z
      - .offset:         162
        .size:           2
        .value_kind:     hidden_remainder_x
      - .offset:         164
        .size:           2
        .value_kind:     hidden_remainder_y
      - .offset:         166
        .size:           2
        .value_kind:     hidden_remainder_z
      - .offset:         184
        .size:           8
        .value_kind:     hidden_global_offset_x
      - .offset:         192
        .size:           8
        .value_kind:     hidden_global_offset_y
      - .offset:         200
        .size:           8
        .value_kind:     hidden_global_offset_z
      - .offset:         208
        .size:           2
        .value_kind:     hidden_grid_dims
    .group_segment_fixed_size: 8192
    .kernarg_segment_align: 8
    .kernarg_segment_size: 400
    .language:       OpenCL C
    .language_version:
      - 2
      - 0
    .max_flat_workgroup_size: 256
    .name:           _Z39paged_attention_ll4mi_QKV_mfma16_kernelI14__hip_bfloat16hLN4vllm18Fp8KVCacheDataTypeE1ES0_Li16ELi128ELi256ELb0ELi15EL8MFMAType0EEvPKT_PKT0_S9_ifPKiSB_SB_iPKfiiiPfSE_PS4_PT2_iSD_SD_
    .private_segment_fixed_size: 352
    .sgpr_count:     57
    .sgpr_spill_count: 0
    .symbol:         _Z39paged_attention_ll4mi_QKV_mfma16_kernelI14__hip_bfloat16hLN4vllm18Fp8KVCacheDataTypeE1ES0_Li16ELi128ELi256ELb0ELi15EL8MFMAType0EEvPKT_PKT0_S9_ifPKiSB_SB_iPKfiiiPfSE_PS4_PT2_iSD_SD_.kd
    .uniform_work_group_size: 1
    .uses_dynamic_stack: false
    .vgpr_count:     78
    .vgpr_spill_count: 0
    .wavefront_size: 64
  - .agpr_count:     0
    .args:
      - .actual_access:  read_only
        .address_space:  global
        .offset:         0
        .size:           8
        .value_kind:     global_buffer
      - .actual_access:  read_only
        .address_space:  global
        .offset:         8
        .size:           8
        .value_kind:     global_buffer
      - .actual_access:  read_only
        .address_space:  global
        .offset:         16
        .size:           8
        .value_kind:     global_buffer
      - .offset:         24
        .size:           4
        .value_kind:     by_value
      - .offset:         28
        .size:           4
        .value_kind:     by_value
      - .actual_access:  read_only
        .address_space:  global
        .offset:         32
        .size:           8
        .value_kind:     global_buffer
      - .actual_access:  read_only
        .address_space:  global
        .offset:         40
        .size:           8
        .value_kind:     global_buffer
      - .actual_access:  read_only
        .address_space:  global
        .offset:         48
        .size:           8
        .value_kind:     global_buffer
      - .offset:         56
        .size:           4
        .value_kind:     by_value
      - .actual_access:  read_only
        .address_space:  global
        .offset:         64
        .size:           8
        .value_kind:     global_buffer
      - .offset:         72
        .size:           4
        .value_kind:     by_value
      - .offset:         76
        .size:           4
        .value_kind:     by_value
      - .offset:         80
        .size:           4
        .value_kind:     by_value
      - .actual_access:  write_only
        .address_space:  global
        .offset:         88
        .size:           8
        .value_kind:     global_buffer
      - .actual_access:  write_only
        .address_space:  global
        .offset:         96
        .size:           8
        .value_kind:     global_buffer
      - .actual_access:  write_only
        .address_space:  global
        .offset:         104
        .size:           8
        .value_kind:     global_buffer
      - .actual_access:  read_only
        .address_space:  global
        .offset:         112
        .size:           8
        .value_kind:     global_buffer
      - .offset:         120
        .size:           4
        .value_kind:     by_value
      - .address_space:  global
        .offset:         128
        .size:           8
        .value_kind:     global_buffer
      - .address_space:  global
        .offset:         136
        .size:           8
        .value_kind:     global_buffer
      - .offset:         144
        .size:           4
        .value_kind:     hidden_block_count_x
      - .offset:         148
        .size:           4
        .value_kind:     hidden_block_count_y
      - .offset:         152
        .size:           4
        .value_kind:     hidden_block_count_z
      - .offset:         156
        .size:           2
        .value_kind:     hidden_group_size_x
      - .offset:         158
        .size:           2
        .value_kind:     hidden_group_size_y
      - .offset:         160
        .size:           2
        .value_kind:     hidden_group_size_z
      - .offset:         162
        .size:           2
        .value_kind:     hidden_remainder_x
      - .offset:         164
        .size:           2
        .value_kind:     hidden_remainder_y
      - .offset:         166
        .size:           2
        .value_kind:     hidden_remainder_z
      - .offset:         184
        .size:           8
        .value_kind:     hidden_global_offset_x
      - .offset:         192
        .size:           8
        .value_kind:     hidden_global_offset_y
      - .offset:         200
        .size:           8
        .value_kind:     hidden_global_offset_z
      - .offset:         208
        .size:           2
        .value_kind:     hidden_grid_dims
    .group_segment_fixed_size: 8192
    .kernarg_segment_align: 8
    .kernarg_segment_size: 400
    .language:       OpenCL C
    .language_version:
      - 2
      - 0
    .max_flat_workgroup_size: 256
    .name:           _Z39paged_attention_ll4mi_QKV_mfma16_kernelI14__hip_bfloat16hLN4vllm18Fp8KVCacheDataTypeE1ES0_Li16ELi128ELi256ELb0ELi16EL8MFMAType0EEvPKT_PKT0_S9_ifPKiSB_SB_iPKfiiiPfSE_PS4_PT2_iSD_SD_
    .private_segment_fixed_size: 352
    .sgpr_count:     57
    .sgpr_spill_count: 0
    .symbol:         _Z39paged_attention_ll4mi_QKV_mfma16_kernelI14__hip_bfloat16hLN4vllm18Fp8KVCacheDataTypeE1ES0_Li16ELi128ELi256ELb0ELi16EL8MFMAType0EEvPKT_PKT0_S9_ifPKiSB_SB_iPKfiiiPfSE_PS4_PT2_iSD_SD_.kd
    .uniform_work_group_size: 1
    .uses_dynamic_stack: false
    .vgpr_count:     80
    .vgpr_spill_count: 0
    .wavefront_size: 64
  - .agpr_count:     0
    .args:
      - .actual_access:  read_only
        .address_space:  global
        .offset:         0
        .size:           8
        .value_kind:     global_buffer
      - .actual_access:  read_only
        .address_space:  global
        .offset:         8
        .size:           8
        .value_kind:     global_buffer
      - .actual_access:  read_only
        .address_space:  global
        .offset:         16
        .size:           8
        .value_kind:     global_buffer
      - .offset:         24
        .size:           4
        .value_kind:     by_value
      - .offset:         28
        .size:           4
        .value_kind:     by_value
      - .actual_access:  read_only
        .address_space:  global
        .offset:         32
        .size:           8
        .value_kind:     global_buffer
      - .actual_access:  read_only
        .address_space:  global
        .offset:         40
        .size:           8
        .value_kind:     global_buffer
      - .actual_access:  read_only
        .address_space:  global
        .offset:         48
        .size:           8
        .value_kind:     global_buffer
      - .offset:         56
        .size:           4
        .value_kind:     by_value
      - .actual_access:  read_only
        .address_space:  global
        .offset:         64
        .size:           8
        .value_kind:     global_buffer
      - .offset:         72
        .size:           4
        .value_kind:     by_value
      - .offset:         76
        .size:           4
        .value_kind:     by_value
      - .offset:         80
        .size:           4
        .value_kind:     by_value
      - .actual_access:  write_only
        .address_space:  global
        .offset:         88
        .size:           8
        .value_kind:     global_buffer
      - .actual_access:  write_only
        .address_space:  global
        .offset:         96
        .size:           8
        .value_kind:     global_buffer
      - .actual_access:  write_only
        .address_space:  global
        .offset:         104
        .size:           8
        .value_kind:     global_buffer
      - .actual_access:  read_only
        .address_space:  global
        .offset:         112
        .size:           8
        .value_kind:     global_buffer
      - .offset:         120
        .size:           4
        .value_kind:     by_value
      - .address_space:  global
        .offset:         128
        .size:           8
        .value_kind:     global_buffer
      - .address_space:  global
        .offset:         136
        .size:           8
        .value_kind:     global_buffer
      - .offset:         144
        .size:           4
        .value_kind:     hidden_block_count_x
      - .offset:         148
        .size:           4
        .value_kind:     hidden_block_count_y
      - .offset:         152
        .size:           4
        .value_kind:     hidden_block_count_z
      - .offset:         156
        .size:           2
        .value_kind:     hidden_group_size_x
      - .offset:         158
        .size:           2
        .value_kind:     hidden_group_size_y
      - .offset:         160
        .size:           2
        .value_kind:     hidden_group_size_z
      - .offset:         162
        .size:           2
        .value_kind:     hidden_remainder_x
      - .offset:         164
        .size:           2
        .value_kind:     hidden_remainder_y
      - .offset:         166
        .size:           2
        .value_kind:     hidden_remainder_z
      - .offset:         184
        .size:           8
        .value_kind:     hidden_global_offset_x
      - .offset:         192
        .size:           8
        .value_kind:     hidden_global_offset_y
      - .offset:         200
        .size:           8
        .value_kind:     hidden_global_offset_z
      - .offset:         208
        .size:           2
        .value_kind:     hidden_grid_dims
    .group_segment_fixed_size: 8192
    .kernarg_segment_align: 8
    .kernarg_segment_size: 400
    .language:       OpenCL C
    .language_version:
      - 2
      - 0
    .max_flat_workgroup_size: 256
    .name:           _Z39paged_attention_ll4mi_QKV_mfma16_kernelI14__hip_bfloat16hLN4vllm18Fp8KVCacheDataTypeE1ES0_Li16ELi128ELi256ELb0ELi1EL8MFMAType0EEvPKT_PKT0_S9_ifPKiSB_SB_iPKfiiiPfSE_PS4_PT2_iSD_SD_
    .private_segment_fixed_size: 352
    .sgpr_count:     57
    .sgpr_spill_count: 0
    .symbol:         _Z39paged_attention_ll4mi_QKV_mfma16_kernelI14__hip_bfloat16hLN4vllm18Fp8KVCacheDataTypeE1ES0_Li16ELi128ELi256ELb0ELi1EL8MFMAType0EEvPKT_PKT0_S9_ifPKiSB_SB_iPKfiiiPfSE_PS4_PT2_iSD_SD_.kd
    .uniform_work_group_size: 1
    .uses_dynamic_stack: false
    .vgpr_count:     80
    .vgpr_spill_count: 0
    .wavefront_size: 64
  - .agpr_count:     0
    .args:
      - .actual_access:  read_only
        .address_space:  global
        .offset:         0
        .size:           8
        .value_kind:     global_buffer
      - .actual_access:  read_only
        .address_space:  global
        .offset:         8
        .size:           8
        .value_kind:     global_buffer
      - .actual_access:  read_only
        .address_space:  global
        .offset:         16
        .size:           8
        .value_kind:     global_buffer
      - .offset:         24
        .size:           4
        .value_kind:     by_value
      - .offset:         28
        .size:           4
        .value_kind:     by_value
      - .actual_access:  read_only
        .address_space:  global
        .offset:         32
        .size:           8
        .value_kind:     global_buffer
      - .actual_access:  read_only
        .address_space:  global
        .offset:         40
        .size:           8
        .value_kind:     global_buffer
      - .actual_access:  read_only
        .address_space:  global
        .offset:         48
        .size:           8
        .value_kind:     global_buffer
      - .offset:         56
        .size:           4
        .value_kind:     by_value
      - .actual_access:  read_only
        .address_space:  global
        .offset:         64
        .size:           8
        .value_kind:     global_buffer
      - .offset:         72
        .size:           4
        .value_kind:     by_value
      - .offset:         76
        .size:           4
        .value_kind:     by_value
      - .offset:         80
        .size:           4
        .value_kind:     by_value
      - .actual_access:  write_only
        .address_space:  global
        .offset:         88
        .size:           8
        .value_kind:     global_buffer
      - .actual_access:  write_only
        .address_space:  global
        .offset:         96
        .size:           8
        .value_kind:     global_buffer
      - .actual_access:  write_only
        .address_space:  global
        .offset:         104
        .size:           8
        .value_kind:     global_buffer
      - .actual_access:  read_only
        .address_space:  global
        .offset:         112
        .size:           8
        .value_kind:     global_buffer
      - .offset:         120
        .size:           4
        .value_kind:     by_value
      - .address_space:  global
        .offset:         128
        .size:           8
        .value_kind:     global_buffer
      - .address_space:  global
        .offset:         136
        .size:           8
        .value_kind:     global_buffer
      - .offset:         144
        .size:           4
        .value_kind:     hidden_block_count_x
      - .offset:         148
        .size:           4
        .value_kind:     hidden_block_count_y
      - .offset:         152
        .size:           4
        .value_kind:     hidden_block_count_z
      - .offset:         156
        .size:           2
        .value_kind:     hidden_group_size_x
      - .offset:         158
        .size:           2
        .value_kind:     hidden_group_size_y
      - .offset:         160
        .size:           2
        .value_kind:     hidden_group_size_z
      - .offset:         162
        .size:           2
        .value_kind:     hidden_remainder_x
      - .offset:         164
        .size:           2
        .value_kind:     hidden_remainder_y
      - .offset:         166
        .size:           2
        .value_kind:     hidden_remainder_z
      - .offset:         184
        .size:           8
        .value_kind:     hidden_global_offset_x
      - .offset:         192
        .size:           8
        .value_kind:     hidden_global_offset_y
      - .offset:         200
        .size:           8
        .value_kind:     hidden_global_offset_z
      - .offset:         208
        .size:           2
        .value_kind:     hidden_grid_dims
    .group_segment_fixed_size: 8192
    .kernarg_segment_align: 8
    .kernarg_segment_size: 400
    .language:       OpenCL C
    .language_version:
      - 2
      - 0
    .max_flat_workgroup_size: 256
    .name:           _Z39paged_attention_ll4mi_QKV_mfma16_kernelI14__hip_bfloat16hLN4vllm18Fp8KVCacheDataTypeE1ES0_Li16ELi128ELi256ELb0ELi2EL8MFMAType0EEvPKT_PKT0_S9_ifPKiSB_SB_iPKfiiiPfSE_PS4_PT2_iSD_SD_
    .private_segment_fixed_size: 352
    .sgpr_count:     57
    .sgpr_spill_count: 0
    .symbol:         _Z39paged_attention_ll4mi_QKV_mfma16_kernelI14__hip_bfloat16hLN4vllm18Fp8KVCacheDataTypeE1ES0_Li16ELi128ELi256ELb0ELi2EL8MFMAType0EEvPKT_PKT0_S9_ifPKiSB_SB_iPKfiiiPfSE_PS4_PT2_iSD_SD_.kd
    .uniform_work_group_size: 1
    .uses_dynamic_stack: false
    .vgpr_count:     80
    .vgpr_spill_count: 0
    .wavefront_size: 64
  - .agpr_count:     0
    .args:
      - .actual_access:  read_only
        .address_space:  global
        .offset:         0
        .size:           8
        .value_kind:     global_buffer
      - .actual_access:  read_only
        .address_space:  global
        .offset:         8
        .size:           8
        .value_kind:     global_buffer
      - .actual_access:  read_only
        .address_space:  global
        .offset:         16
        .size:           8
        .value_kind:     global_buffer
      - .offset:         24
        .size:           4
        .value_kind:     by_value
      - .offset:         28
        .size:           4
        .value_kind:     by_value
      - .actual_access:  read_only
        .address_space:  global
        .offset:         32
        .size:           8
        .value_kind:     global_buffer
      - .actual_access:  read_only
        .address_space:  global
        .offset:         40
        .size:           8
        .value_kind:     global_buffer
      - .actual_access:  read_only
        .address_space:  global
        .offset:         48
        .size:           8
        .value_kind:     global_buffer
      - .offset:         56
        .size:           4
        .value_kind:     by_value
      - .actual_access:  read_only
        .address_space:  global
        .offset:         64
        .size:           8
        .value_kind:     global_buffer
      - .offset:         72
        .size:           4
        .value_kind:     by_value
      - .offset:         76
        .size:           4
        .value_kind:     by_value
      - .offset:         80
        .size:           4
        .value_kind:     by_value
      - .actual_access:  write_only
        .address_space:  global
        .offset:         88
        .size:           8
        .value_kind:     global_buffer
      - .actual_access:  write_only
        .address_space:  global
        .offset:         96
        .size:           8
        .value_kind:     global_buffer
      - .actual_access:  write_only
        .address_space:  global
        .offset:         104
        .size:           8
        .value_kind:     global_buffer
      - .actual_access:  read_only
        .address_space:  global
        .offset:         112
        .size:           8
        .value_kind:     global_buffer
      - .offset:         120
        .size:           4
        .value_kind:     by_value
      - .address_space:  global
        .offset:         128
        .size:           8
        .value_kind:     global_buffer
      - .address_space:  global
        .offset:         136
        .size:           8
        .value_kind:     global_buffer
      - .offset:         144
        .size:           4
        .value_kind:     hidden_block_count_x
      - .offset:         148
        .size:           4
        .value_kind:     hidden_block_count_y
      - .offset:         152
        .size:           4
        .value_kind:     hidden_block_count_z
      - .offset:         156
        .size:           2
        .value_kind:     hidden_group_size_x
      - .offset:         158
        .size:           2
        .value_kind:     hidden_group_size_y
      - .offset:         160
        .size:           2
        .value_kind:     hidden_group_size_z
      - .offset:         162
        .size:           2
        .value_kind:     hidden_remainder_x
      - .offset:         164
        .size:           2
        .value_kind:     hidden_remainder_y
      - .offset:         166
        .size:           2
        .value_kind:     hidden_remainder_z
      - .offset:         184
        .size:           8
        .value_kind:     hidden_global_offset_x
      - .offset:         192
        .size:           8
        .value_kind:     hidden_global_offset_y
      - .offset:         200
        .size:           8
        .value_kind:     hidden_global_offset_z
      - .offset:         208
        .size:           2
        .value_kind:     hidden_grid_dims
    .group_segment_fixed_size: 8192
    .kernarg_segment_align: 8
    .kernarg_segment_size: 400
    .language:       OpenCL C
    .language_version:
      - 2
      - 0
    .max_flat_workgroup_size: 256
    .name:           _Z39paged_attention_ll4mi_QKV_mfma16_kernelI14__hip_bfloat16hLN4vllm18Fp8KVCacheDataTypeE1ES0_Li16ELi128ELi256ELb0ELi3EL8MFMAType0EEvPKT_PKT0_S9_ifPKiSB_SB_iPKfiiiPfSE_PS4_PT2_iSD_SD_
    .private_segment_fixed_size: 352
    .sgpr_count:     57
    .sgpr_spill_count: 0
    .symbol:         _Z39paged_attention_ll4mi_QKV_mfma16_kernelI14__hip_bfloat16hLN4vllm18Fp8KVCacheDataTypeE1ES0_Li16ELi128ELi256ELb0ELi3EL8MFMAType0EEvPKT_PKT0_S9_ifPKiSB_SB_iPKfiiiPfSE_PS4_PT2_iSD_SD_.kd
    .uniform_work_group_size: 1
    .uses_dynamic_stack: false
    .vgpr_count:     76
    .vgpr_spill_count: 0
    .wavefront_size: 64
  - .agpr_count:     0
    .args:
      - .actual_access:  read_only
        .address_space:  global
        .offset:         0
        .size:           8
        .value_kind:     global_buffer
      - .actual_access:  read_only
        .address_space:  global
        .offset:         8
        .size:           8
        .value_kind:     global_buffer
      - .actual_access:  read_only
        .address_space:  global
        .offset:         16
        .size:           8
        .value_kind:     global_buffer
      - .offset:         24
        .size:           4
        .value_kind:     by_value
      - .offset:         28
        .size:           4
        .value_kind:     by_value
      - .actual_access:  read_only
        .address_space:  global
        .offset:         32
        .size:           8
        .value_kind:     global_buffer
      - .actual_access:  read_only
        .address_space:  global
        .offset:         40
        .size:           8
        .value_kind:     global_buffer
      - .actual_access:  read_only
        .address_space:  global
        .offset:         48
        .size:           8
        .value_kind:     global_buffer
      - .offset:         56
        .size:           4
        .value_kind:     by_value
      - .actual_access:  read_only
        .address_space:  global
        .offset:         64
        .size:           8
        .value_kind:     global_buffer
      - .offset:         72
        .size:           4
        .value_kind:     by_value
      - .offset:         76
        .size:           4
        .value_kind:     by_value
      - .offset:         80
        .size:           4
        .value_kind:     by_value
      - .actual_access:  write_only
        .address_space:  global
        .offset:         88
        .size:           8
        .value_kind:     global_buffer
      - .actual_access:  write_only
        .address_space:  global
        .offset:         96
        .size:           8
        .value_kind:     global_buffer
      - .actual_access:  write_only
        .address_space:  global
        .offset:         104
        .size:           8
        .value_kind:     global_buffer
      - .actual_access:  read_only
        .address_space:  global
        .offset:         112
        .size:           8
        .value_kind:     global_buffer
      - .offset:         120
        .size:           4
        .value_kind:     by_value
      - .address_space:  global
        .offset:         128
        .size:           8
        .value_kind:     global_buffer
      - .address_space:  global
        .offset:         136
        .size:           8
        .value_kind:     global_buffer
      - .offset:         144
        .size:           4
        .value_kind:     hidden_block_count_x
      - .offset:         148
        .size:           4
        .value_kind:     hidden_block_count_y
      - .offset:         152
        .size:           4
        .value_kind:     hidden_block_count_z
      - .offset:         156
        .size:           2
        .value_kind:     hidden_group_size_x
      - .offset:         158
        .size:           2
        .value_kind:     hidden_group_size_y
      - .offset:         160
        .size:           2
        .value_kind:     hidden_group_size_z
      - .offset:         162
        .size:           2
        .value_kind:     hidden_remainder_x
      - .offset:         164
        .size:           2
        .value_kind:     hidden_remainder_y
      - .offset:         166
        .size:           2
        .value_kind:     hidden_remainder_z
      - .offset:         184
        .size:           8
        .value_kind:     hidden_global_offset_x
      - .offset:         192
        .size:           8
        .value_kind:     hidden_global_offset_y
      - .offset:         200
        .size:           8
        .value_kind:     hidden_global_offset_z
      - .offset:         208
        .size:           2
        .value_kind:     hidden_grid_dims
    .group_segment_fixed_size: 8192
    .kernarg_segment_align: 8
    .kernarg_segment_size: 400
    .language:       OpenCL C
    .language_version:
      - 2
      - 0
    .max_flat_workgroup_size: 256
    .name:           _Z39paged_attention_ll4mi_QKV_mfma16_kernelI14__hip_bfloat16hLN4vllm18Fp8KVCacheDataTypeE1ES0_Li16ELi128ELi256ELb0ELi4EL8MFMAType0EEvPKT_PKT0_S9_ifPKiSB_SB_iPKfiiiPfSE_PS4_PT2_iSD_SD_
    .private_segment_fixed_size: 352
    .sgpr_count:     60
    .sgpr_spill_count: 0
    .symbol:         _Z39paged_attention_ll4mi_QKV_mfma16_kernelI14__hip_bfloat16hLN4vllm18Fp8KVCacheDataTypeE1ES0_Li16ELi128ELi256ELb0ELi4EL8MFMAType0EEvPKT_PKT0_S9_ifPKiSB_SB_iPKfiiiPfSE_PS4_PT2_iSD_SD_.kd
    .uniform_work_group_size: 1
    .uses_dynamic_stack: false
    .vgpr_count:     80
    .vgpr_spill_count: 0
    .wavefront_size: 64
  - .agpr_count:     0
    .args:
      - .actual_access:  read_only
        .address_space:  global
        .offset:         0
        .size:           8
        .value_kind:     global_buffer
      - .actual_access:  read_only
        .address_space:  global
        .offset:         8
        .size:           8
        .value_kind:     global_buffer
      - .actual_access:  read_only
        .address_space:  global
        .offset:         16
        .size:           8
        .value_kind:     global_buffer
      - .offset:         24
        .size:           4
        .value_kind:     by_value
      - .offset:         28
        .size:           4
        .value_kind:     by_value
      - .actual_access:  read_only
        .address_space:  global
        .offset:         32
        .size:           8
        .value_kind:     global_buffer
      - .actual_access:  read_only
        .address_space:  global
        .offset:         40
        .size:           8
        .value_kind:     global_buffer
      - .actual_access:  read_only
        .address_space:  global
        .offset:         48
        .size:           8
        .value_kind:     global_buffer
      - .offset:         56
        .size:           4
        .value_kind:     by_value
      - .actual_access:  read_only
        .address_space:  global
        .offset:         64
        .size:           8
        .value_kind:     global_buffer
      - .offset:         72
        .size:           4
        .value_kind:     by_value
      - .offset:         76
        .size:           4
        .value_kind:     by_value
      - .offset:         80
        .size:           4
        .value_kind:     by_value
      - .actual_access:  write_only
        .address_space:  global
        .offset:         88
        .size:           8
        .value_kind:     global_buffer
      - .actual_access:  write_only
        .address_space:  global
        .offset:         96
        .size:           8
        .value_kind:     global_buffer
      - .actual_access:  write_only
        .address_space:  global
        .offset:         104
        .size:           8
        .value_kind:     global_buffer
      - .actual_access:  read_only
        .address_space:  global
        .offset:         112
        .size:           8
        .value_kind:     global_buffer
      - .offset:         120
        .size:           4
        .value_kind:     by_value
      - .address_space:  global
        .offset:         128
        .size:           8
        .value_kind:     global_buffer
      - .address_space:  global
        .offset:         136
        .size:           8
        .value_kind:     global_buffer
      - .offset:         144
        .size:           4
        .value_kind:     hidden_block_count_x
      - .offset:         148
        .size:           4
        .value_kind:     hidden_block_count_y
      - .offset:         152
        .size:           4
        .value_kind:     hidden_block_count_z
      - .offset:         156
        .size:           2
        .value_kind:     hidden_group_size_x
      - .offset:         158
        .size:           2
        .value_kind:     hidden_group_size_y
      - .offset:         160
        .size:           2
        .value_kind:     hidden_group_size_z
      - .offset:         162
        .size:           2
        .value_kind:     hidden_remainder_x
      - .offset:         164
        .size:           2
        .value_kind:     hidden_remainder_y
      - .offset:         166
        .size:           2
        .value_kind:     hidden_remainder_z
      - .offset:         184
        .size:           8
        .value_kind:     hidden_global_offset_x
      - .offset:         192
        .size:           8
        .value_kind:     hidden_global_offset_y
      - .offset:         200
        .size:           8
        .value_kind:     hidden_global_offset_z
      - .offset:         208
        .size:           2
        .value_kind:     hidden_grid_dims
    .group_segment_fixed_size: 8192
    .kernarg_segment_align: 8
    .kernarg_segment_size: 400
    .language:       OpenCL C
    .language_version:
      - 2
      - 0
    .max_flat_workgroup_size: 256
    .name:           _Z39paged_attention_ll4mi_QKV_mfma16_kernelI14__hip_bfloat16hLN4vllm18Fp8KVCacheDataTypeE1ES0_Li32ELi128ELi256ELb1ELi5EL8MFMAType0EEvPKT_PKT0_S9_ifPKiSB_SB_iPKfiiiPfSE_PS4_PT2_iSD_SD_
    .private_segment_fixed_size: 352
    .sgpr_count:     57
    .sgpr_spill_count: 0
    .symbol:         _Z39paged_attention_ll4mi_QKV_mfma16_kernelI14__hip_bfloat16hLN4vllm18Fp8KVCacheDataTypeE1ES0_Li32ELi128ELi256ELb1ELi5EL8MFMAType0EEvPKT_PKT0_S9_ifPKiSB_SB_iPKfiiiPfSE_PS4_PT2_iSD_SD_.kd
    .uniform_work_group_size: 1
    .uses_dynamic_stack: false
    .vgpr_count:     80
    .vgpr_spill_count: 0
    .wavefront_size: 64
  - .agpr_count:     0
    .args:
      - .actual_access:  read_only
        .address_space:  global
        .offset:         0
        .size:           8
        .value_kind:     global_buffer
      - .actual_access:  read_only
        .address_space:  global
        .offset:         8
        .size:           8
        .value_kind:     global_buffer
      - .actual_access:  read_only
        .address_space:  global
        .offset:         16
        .size:           8
        .value_kind:     global_buffer
      - .offset:         24
        .size:           4
        .value_kind:     by_value
      - .offset:         28
        .size:           4
        .value_kind:     by_value
      - .actual_access:  read_only
        .address_space:  global
        .offset:         32
        .size:           8
        .value_kind:     global_buffer
      - .actual_access:  read_only
        .address_space:  global
        .offset:         40
        .size:           8
        .value_kind:     global_buffer
      - .actual_access:  read_only
        .address_space:  global
        .offset:         48
        .size:           8
        .value_kind:     global_buffer
      - .offset:         56
        .size:           4
        .value_kind:     by_value
      - .actual_access:  read_only
        .address_space:  global
        .offset:         64
        .size:           8
        .value_kind:     global_buffer
      - .offset:         72
        .size:           4
        .value_kind:     by_value
      - .offset:         76
        .size:           4
        .value_kind:     by_value
      - .offset:         80
        .size:           4
        .value_kind:     by_value
      - .actual_access:  write_only
        .address_space:  global
        .offset:         88
        .size:           8
        .value_kind:     global_buffer
      - .actual_access:  write_only
        .address_space:  global
        .offset:         96
        .size:           8
        .value_kind:     global_buffer
      - .actual_access:  write_only
        .address_space:  global
        .offset:         104
        .size:           8
        .value_kind:     global_buffer
      - .actual_access:  read_only
        .address_space:  global
        .offset:         112
        .size:           8
        .value_kind:     global_buffer
      - .offset:         120
        .size:           4
        .value_kind:     by_value
      - .address_space:  global
        .offset:         128
        .size:           8
        .value_kind:     global_buffer
      - .address_space:  global
        .offset:         136
        .size:           8
        .value_kind:     global_buffer
      - .offset:         144
        .size:           4
        .value_kind:     hidden_block_count_x
      - .offset:         148
        .size:           4
        .value_kind:     hidden_block_count_y
      - .offset:         152
        .size:           4
        .value_kind:     hidden_block_count_z
      - .offset:         156
        .size:           2
        .value_kind:     hidden_group_size_x
      - .offset:         158
        .size:           2
        .value_kind:     hidden_group_size_y
      - .offset:         160
        .size:           2
        .value_kind:     hidden_group_size_z
      - .offset:         162
        .size:           2
        .value_kind:     hidden_remainder_x
      - .offset:         164
        .size:           2
        .value_kind:     hidden_remainder_y
      - .offset:         166
        .size:           2
        .value_kind:     hidden_remainder_z
      - .offset:         184
        .size:           8
        .value_kind:     hidden_global_offset_x
      - .offset:         192
        .size:           8
        .value_kind:     hidden_global_offset_y
      - .offset:         200
        .size:           8
        .value_kind:     hidden_global_offset_z
      - .offset:         208
        .size:           2
        .value_kind:     hidden_grid_dims
    .group_segment_fixed_size: 8192
    .kernarg_segment_align: 8
    .kernarg_segment_size: 400
    .language:       OpenCL C
    .language_version:
      - 2
      - 0
    .max_flat_workgroup_size: 256
    .name:           _Z39paged_attention_ll4mi_QKV_mfma16_kernelI14__hip_bfloat16hLN4vllm18Fp8KVCacheDataTypeE1ES0_Li32ELi128ELi256ELb1ELi6EL8MFMAType0EEvPKT_PKT0_S9_ifPKiSB_SB_iPKfiiiPfSE_PS4_PT2_iSD_SD_
    .private_segment_fixed_size: 352
    .sgpr_count:     57
    .sgpr_spill_count: 0
    .symbol:         _Z39paged_attention_ll4mi_QKV_mfma16_kernelI14__hip_bfloat16hLN4vllm18Fp8KVCacheDataTypeE1ES0_Li32ELi128ELi256ELb1ELi6EL8MFMAType0EEvPKT_PKT0_S9_ifPKiSB_SB_iPKfiiiPfSE_PS4_PT2_iSD_SD_.kd
    .uniform_work_group_size: 1
    .uses_dynamic_stack: false
    .vgpr_count:     80
    .vgpr_spill_count: 0
    .wavefront_size: 64
  - .agpr_count:     0
    .args:
      - .actual_access:  read_only
        .address_space:  global
        .offset:         0
        .size:           8
        .value_kind:     global_buffer
      - .actual_access:  read_only
        .address_space:  global
        .offset:         8
        .size:           8
        .value_kind:     global_buffer
      - .actual_access:  read_only
        .address_space:  global
        .offset:         16
        .size:           8
        .value_kind:     global_buffer
      - .offset:         24
        .size:           4
        .value_kind:     by_value
      - .offset:         28
        .size:           4
        .value_kind:     by_value
      - .actual_access:  read_only
        .address_space:  global
        .offset:         32
        .size:           8
        .value_kind:     global_buffer
      - .actual_access:  read_only
        .address_space:  global
        .offset:         40
        .size:           8
        .value_kind:     global_buffer
      - .actual_access:  read_only
        .address_space:  global
        .offset:         48
        .size:           8
        .value_kind:     global_buffer
      - .offset:         56
        .size:           4
        .value_kind:     by_value
      - .actual_access:  read_only
        .address_space:  global
        .offset:         64
        .size:           8
        .value_kind:     global_buffer
      - .offset:         72
        .size:           4
        .value_kind:     by_value
      - .offset:         76
        .size:           4
        .value_kind:     by_value
      - .offset:         80
        .size:           4
        .value_kind:     by_value
      - .actual_access:  write_only
        .address_space:  global
        .offset:         88
        .size:           8
        .value_kind:     global_buffer
      - .actual_access:  write_only
        .address_space:  global
        .offset:         96
        .size:           8
        .value_kind:     global_buffer
      - .actual_access:  write_only
        .address_space:  global
        .offset:         104
        .size:           8
        .value_kind:     global_buffer
      - .actual_access:  read_only
        .address_space:  global
        .offset:         112
        .size:           8
        .value_kind:     global_buffer
      - .offset:         120
        .size:           4
        .value_kind:     by_value
      - .address_space:  global
        .offset:         128
        .size:           8
        .value_kind:     global_buffer
      - .address_space:  global
        .offset:         136
        .size:           8
        .value_kind:     global_buffer
      - .offset:         144
        .size:           4
        .value_kind:     hidden_block_count_x
      - .offset:         148
        .size:           4
        .value_kind:     hidden_block_count_y
      - .offset:         152
        .size:           4
        .value_kind:     hidden_block_count_z
      - .offset:         156
        .size:           2
        .value_kind:     hidden_group_size_x
      - .offset:         158
        .size:           2
        .value_kind:     hidden_group_size_y
      - .offset:         160
        .size:           2
        .value_kind:     hidden_group_size_z
      - .offset:         162
        .size:           2
        .value_kind:     hidden_remainder_x
      - .offset:         164
        .size:           2
        .value_kind:     hidden_remainder_y
      - .offset:         166
        .size:           2
        .value_kind:     hidden_remainder_z
      - .offset:         184
        .size:           8
        .value_kind:     hidden_global_offset_x
      - .offset:         192
        .size:           8
        .value_kind:     hidden_global_offset_y
      - .offset:         200
        .size:           8
        .value_kind:     hidden_global_offset_z
      - .offset:         208
        .size:           2
        .value_kind:     hidden_grid_dims
    .group_segment_fixed_size: 8192
    .kernarg_segment_align: 8
    .kernarg_segment_size: 400
    .language:       OpenCL C
    .language_version:
      - 2
      - 0
    .max_flat_workgroup_size: 256
    .name:           _Z39paged_attention_ll4mi_QKV_mfma16_kernelI14__hip_bfloat16hLN4vllm18Fp8KVCacheDataTypeE1ES0_Li32ELi128ELi256ELb1ELi7EL8MFMAType0EEvPKT_PKT0_S9_ifPKiSB_SB_iPKfiiiPfSE_PS4_PT2_iSD_SD_
    .private_segment_fixed_size: 352
    .sgpr_count:     57
    .sgpr_spill_count: 0
    .symbol:         _Z39paged_attention_ll4mi_QKV_mfma16_kernelI14__hip_bfloat16hLN4vllm18Fp8KVCacheDataTypeE1ES0_Li32ELi128ELi256ELb1ELi7EL8MFMAType0EEvPKT_PKT0_S9_ifPKiSB_SB_iPKfiiiPfSE_PS4_PT2_iSD_SD_.kd
    .uniform_work_group_size: 1
    .uses_dynamic_stack: false
    .vgpr_count:     80
    .vgpr_spill_count: 0
    .wavefront_size: 64
  - .agpr_count:     0
    .args:
      - .actual_access:  read_only
        .address_space:  global
        .offset:         0
        .size:           8
        .value_kind:     global_buffer
      - .actual_access:  read_only
        .address_space:  global
        .offset:         8
        .size:           8
        .value_kind:     global_buffer
      - .actual_access:  read_only
        .address_space:  global
        .offset:         16
        .size:           8
        .value_kind:     global_buffer
      - .offset:         24
        .size:           4
        .value_kind:     by_value
      - .offset:         28
        .size:           4
        .value_kind:     by_value
      - .actual_access:  read_only
        .address_space:  global
        .offset:         32
        .size:           8
        .value_kind:     global_buffer
      - .actual_access:  read_only
        .address_space:  global
        .offset:         40
        .size:           8
        .value_kind:     global_buffer
      - .actual_access:  read_only
        .address_space:  global
        .offset:         48
        .size:           8
        .value_kind:     global_buffer
      - .offset:         56
        .size:           4
        .value_kind:     by_value
      - .actual_access:  read_only
        .address_space:  global
        .offset:         64
        .size:           8
        .value_kind:     global_buffer
      - .offset:         72
        .size:           4
        .value_kind:     by_value
      - .offset:         76
        .size:           4
        .value_kind:     by_value
      - .offset:         80
        .size:           4
        .value_kind:     by_value
      - .actual_access:  write_only
        .address_space:  global
        .offset:         88
        .size:           8
        .value_kind:     global_buffer
      - .actual_access:  write_only
        .address_space:  global
        .offset:         96
        .size:           8
        .value_kind:     global_buffer
      - .actual_access:  write_only
        .address_space:  global
        .offset:         104
        .size:           8
        .value_kind:     global_buffer
      - .actual_access:  read_only
        .address_space:  global
        .offset:         112
        .size:           8
        .value_kind:     global_buffer
      - .offset:         120
        .size:           4
        .value_kind:     by_value
      - .address_space:  global
        .offset:         128
        .size:           8
        .value_kind:     global_buffer
      - .address_space:  global
        .offset:         136
        .size:           8
        .value_kind:     global_buffer
      - .offset:         144
        .size:           4
        .value_kind:     hidden_block_count_x
      - .offset:         148
        .size:           4
        .value_kind:     hidden_block_count_y
      - .offset:         152
        .size:           4
        .value_kind:     hidden_block_count_z
      - .offset:         156
        .size:           2
        .value_kind:     hidden_group_size_x
      - .offset:         158
        .size:           2
        .value_kind:     hidden_group_size_y
      - .offset:         160
        .size:           2
        .value_kind:     hidden_group_size_z
      - .offset:         162
        .size:           2
        .value_kind:     hidden_remainder_x
      - .offset:         164
        .size:           2
        .value_kind:     hidden_remainder_y
      - .offset:         166
        .size:           2
        .value_kind:     hidden_remainder_z
      - .offset:         184
        .size:           8
        .value_kind:     hidden_global_offset_x
      - .offset:         192
        .size:           8
        .value_kind:     hidden_global_offset_y
      - .offset:         200
        .size:           8
        .value_kind:     hidden_global_offset_z
      - .offset:         208
        .size:           2
        .value_kind:     hidden_grid_dims
    .group_segment_fixed_size: 8192
    .kernarg_segment_align: 8
    .kernarg_segment_size: 400
    .language:       OpenCL C
    .language_version:
      - 2
      - 0
    .max_flat_workgroup_size: 256
    .name:           _Z39paged_attention_ll4mi_QKV_mfma16_kernelI14__hip_bfloat16hLN4vllm18Fp8KVCacheDataTypeE1ES0_Li32ELi128ELi256ELb1ELi8EL8MFMAType0EEvPKT_PKT0_S9_ifPKiSB_SB_iPKfiiiPfSE_PS4_PT2_iSD_SD_
    .private_segment_fixed_size: 352
    .sgpr_count:     57
    .sgpr_spill_count: 0
    .symbol:         _Z39paged_attention_ll4mi_QKV_mfma16_kernelI14__hip_bfloat16hLN4vllm18Fp8KVCacheDataTypeE1ES0_Li32ELi128ELi256ELb1ELi8EL8MFMAType0EEvPKT_PKT0_S9_ifPKiSB_SB_iPKfiiiPfSE_PS4_PT2_iSD_SD_.kd
    .uniform_work_group_size: 1
    .uses_dynamic_stack: false
    .vgpr_count:     80
    .vgpr_spill_count: 0
    .wavefront_size: 64
  - .agpr_count:     0
    .args:
      - .actual_access:  read_only
        .address_space:  global
        .offset:         0
        .size:           8
        .value_kind:     global_buffer
      - .actual_access:  read_only
        .address_space:  global
        .offset:         8
        .size:           8
        .value_kind:     global_buffer
      - .actual_access:  read_only
        .address_space:  global
        .offset:         16
        .size:           8
        .value_kind:     global_buffer
      - .offset:         24
        .size:           4
        .value_kind:     by_value
      - .offset:         28
        .size:           4
        .value_kind:     by_value
      - .actual_access:  read_only
        .address_space:  global
        .offset:         32
        .size:           8
        .value_kind:     global_buffer
      - .actual_access:  read_only
        .address_space:  global
        .offset:         40
        .size:           8
        .value_kind:     global_buffer
      - .actual_access:  read_only
        .address_space:  global
        .offset:         48
        .size:           8
        .value_kind:     global_buffer
      - .offset:         56
        .size:           4
        .value_kind:     by_value
      - .actual_access:  read_only
        .address_space:  global
        .offset:         64
        .size:           8
        .value_kind:     global_buffer
      - .offset:         72
        .size:           4
        .value_kind:     by_value
      - .offset:         76
        .size:           4
        .value_kind:     by_value
      - .offset:         80
        .size:           4
        .value_kind:     by_value
      - .actual_access:  write_only
        .address_space:  global
        .offset:         88
        .size:           8
        .value_kind:     global_buffer
      - .actual_access:  write_only
        .address_space:  global
        .offset:         96
        .size:           8
        .value_kind:     global_buffer
      - .actual_access:  write_only
        .address_space:  global
        .offset:         104
        .size:           8
        .value_kind:     global_buffer
      - .actual_access:  read_only
        .address_space:  global
        .offset:         112
        .size:           8
        .value_kind:     global_buffer
      - .offset:         120
        .size:           4
        .value_kind:     by_value
      - .address_space:  global
        .offset:         128
        .size:           8
        .value_kind:     global_buffer
      - .address_space:  global
        .offset:         136
        .size:           8
        .value_kind:     global_buffer
      - .offset:         144
        .size:           4
        .value_kind:     hidden_block_count_x
      - .offset:         148
        .size:           4
        .value_kind:     hidden_block_count_y
      - .offset:         152
        .size:           4
        .value_kind:     hidden_block_count_z
      - .offset:         156
        .size:           2
        .value_kind:     hidden_group_size_x
      - .offset:         158
        .size:           2
        .value_kind:     hidden_group_size_y
      - .offset:         160
        .size:           2
        .value_kind:     hidden_group_size_z
      - .offset:         162
        .size:           2
        .value_kind:     hidden_remainder_x
      - .offset:         164
        .size:           2
        .value_kind:     hidden_remainder_y
      - .offset:         166
        .size:           2
        .value_kind:     hidden_remainder_z
      - .offset:         184
        .size:           8
        .value_kind:     hidden_global_offset_x
      - .offset:         192
        .size:           8
        .value_kind:     hidden_global_offset_y
      - .offset:         200
        .size:           8
        .value_kind:     hidden_global_offset_z
      - .offset:         208
        .size:           2
        .value_kind:     hidden_grid_dims
    .group_segment_fixed_size: 8192
    .kernarg_segment_align: 8
    .kernarg_segment_size: 400
    .language:       OpenCL C
    .language_version:
      - 2
      - 0
    .max_flat_workgroup_size: 256
    .name:           _Z39paged_attention_ll4mi_QKV_mfma16_kernelI14__hip_bfloat16hLN4vllm18Fp8KVCacheDataTypeE1ES0_Li32ELi128ELi256ELb1ELi9EL8MFMAType0EEvPKT_PKT0_S9_ifPKiSB_SB_iPKfiiiPfSE_PS4_PT2_iSD_SD_
    .private_segment_fixed_size: 352
    .sgpr_count:     57
    .sgpr_spill_count: 0
    .symbol:         _Z39paged_attention_ll4mi_QKV_mfma16_kernelI14__hip_bfloat16hLN4vllm18Fp8KVCacheDataTypeE1ES0_Li32ELi128ELi256ELb1ELi9EL8MFMAType0EEvPKT_PKT0_S9_ifPKiSB_SB_iPKfiiiPfSE_PS4_PT2_iSD_SD_.kd
    .uniform_work_group_size: 1
    .uses_dynamic_stack: false
    .vgpr_count:     80
    .vgpr_spill_count: 0
    .wavefront_size: 64
  - .agpr_count:     0
    .args:
      - .actual_access:  read_only
        .address_space:  global
        .offset:         0
        .size:           8
        .value_kind:     global_buffer
      - .actual_access:  read_only
        .address_space:  global
        .offset:         8
        .size:           8
        .value_kind:     global_buffer
      - .actual_access:  read_only
        .address_space:  global
        .offset:         16
        .size:           8
        .value_kind:     global_buffer
      - .offset:         24
        .size:           4
        .value_kind:     by_value
      - .offset:         28
        .size:           4
        .value_kind:     by_value
      - .actual_access:  read_only
        .address_space:  global
        .offset:         32
        .size:           8
        .value_kind:     global_buffer
      - .actual_access:  read_only
        .address_space:  global
        .offset:         40
        .size:           8
        .value_kind:     global_buffer
      - .actual_access:  read_only
        .address_space:  global
        .offset:         48
        .size:           8
        .value_kind:     global_buffer
      - .offset:         56
        .size:           4
        .value_kind:     by_value
      - .actual_access:  read_only
        .address_space:  global
        .offset:         64
        .size:           8
        .value_kind:     global_buffer
      - .offset:         72
        .size:           4
        .value_kind:     by_value
      - .offset:         76
        .size:           4
        .value_kind:     by_value
      - .offset:         80
        .size:           4
        .value_kind:     by_value
      - .actual_access:  write_only
        .address_space:  global
        .offset:         88
        .size:           8
        .value_kind:     global_buffer
      - .actual_access:  write_only
        .address_space:  global
        .offset:         96
        .size:           8
        .value_kind:     global_buffer
      - .actual_access:  write_only
        .address_space:  global
        .offset:         104
        .size:           8
        .value_kind:     global_buffer
      - .actual_access:  read_only
        .address_space:  global
        .offset:         112
        .size:           8
        .value_kind:     global_buffer
      - .offset:         120
        .size:           4
        .value_kind:     by_value
      - .address_space:  global
        .offset:         128
        .size:           8
        .value_kind:     global_buffer
      - .address_space:  global
        .offset:         136
        .size:           8
        .value_kind:     global_buffer
      - .offset:         144
        .size:           4
        .value_kind:     hidden_block_count_x
      - .offset:         148
        .size:           4
        .value_kind:     hidden_block_count_y
      - .offset:         152
        .size:           4
        .value_kind:     hidden_block_count_z
      - .offset:         156
        .size:           2
        .value_kind:     hidden_group_size_x
      - .offset:         158
        .size:           2
        .value_kind:     hidden_group_size_y
      - .offset:         160
        .size:           2
        .value_kind:     hidden_group_size_z
      - .offset:         162
        .size:           2
        .value_kind:     hidden_remainder_x
      - .offset:         164
        .size:           2
        .value_kind:     hidden_remainder_y
      - .offset:         166
        .size:           2
        .value_kind:     hidden_remainder_z
      - .offset:         184
        .size:           8
        .value_kind:     hidden_global_offset_x
      - .offset:         192
        .size:           8
        .value_kind:     hidden_global_offset_y
      - .offset:         200
        .size:           8
        .value_kind:     hidden_global_offset_z
      - .offset:         208
        .size:           2
        .value_kind:     hidden_grid_dims
    .group_segment_fixed_size: 8192
    .kernarg_segment_align: 8
    .kernarg_segment_size: 400
    .language:       OpenCL C
    .language_version:
      - 2
      - 0
    .max_flat_workgroup_size: 256
    .name:           _Z39paged_attention_ll4mi_QKV_mfma16_kernelI14__hip_bfloat16hLN4vllm18Fp8KVCacheDataTypeE1ES0_Li32ELi128ELi256ELb1ELi10EL8MFMAType0EEvPKT_PKT0_S9_ifPKiSB_SB_iPKfiiiPfSE_PS4_PT2_iSD_SD_
    .private_segment_fixed_size: 352
    .sgpr_count:     57
    .sgpr_spill_count: 0
    .symbol:         _Z39paged_attention_ll4mi_QKV_mfma16_kernelI14__hip_bfloat16hLN4vllm18Fp8KVCacheDataTypeE1ES0_Li32ELi128ELi256ELb1ELi10EL8MFMAType0EEvPKT_PKT0_S9_ifPKiSB_SB_iPKfiiiPfSE_PS4_PT2_iSD_SD_.kd
    .uniform_work_group_size: 1
    .uses_dynamic_stack: false
    .vgpr_count:     80
    .vgpr_spill_count: 0
    .wavefront_size: 64
  - .agpr_count:     0
    .args:
      - .actual_access:  read_only
        .address_space:  global
        .offset:         0
        .size:           8
        .value_kind:     global_buffer
      - .actual_access:  read_only
        .address_space:  global
        .offset:         8
        .size:           8
        .value_kind:     global_buffer
      - .actual_access:  read_only
        .address_space:  global
        .offset:         16
        .size:           8
        .value_kind:     global_buffer
      - .offset:         24
        .size:           4
        .value_kind:     by_value
      - .offset:         28
        .size:           4
        .value_kind:     by_value
      - .actual_access:  read_only
        .address_space:  global
        .offset:         32
        .size:           8
        .value_kind:     global_buffer
      - .actual_access:  read_only
        .address_space:  global
        .offset:         40
        .size:           8
        .value_kind:     global_buffer
      - .actual_access:  read_only
        .address_space:  global
        .offset:         48
        .size:           8
        .value_kind:     global_buffer
      - .offset:         56
        .size:           4
        .value_kind:     by_value
      - .actual_access:  read_only
        .address_space:  global
        .offset:         64
        .size:           8
        .value_kind:     global_buffer
      - .offset:         72
        .size:           4
        .value_kind:     by_value
      - .offset:         76
        .size:           4
        .value_kind:     by_value
      - .offset:         80
        .size:           4
        .value_kind:     by_value
      - .actual_access:  write_only
        .address_space:  global
        .offset:         88
        .size:           8
        .value_kind:     global_buffer
      - .actual_access:  write_only
        .address_space:  global
        .offset:         96
        .size:           8
        .value_kind:     global_buffer
      - .actual_access:  write_only
        .address_space:  global
        .offset:         104
        .size:           8
        .value_kind:     global_buffer
      - .actual_access:  read_only
        .address_space:  global
        .offset:         112
        .size:           8
        .value_kind:     global_buffer
      - .offset:         120
        .size:           4
        .value_kind:     by_value
      - .address_space:  global
        .offset:         128
        .size:           8
        .value_kind:     global_buffer
      - .address_space:  global
        .offset:         136
        .size:           8
        .value_kind:     global_buffer
      - .offset:         144
        .size:           4
        .value_kind:     hidden_block_count_x
      - .offset:         148
        .size:           4
        .value_kind:     hidden_block_count_y
      - .offset:         152
        .size:           4
        .value_kind:     hidden_block_count_z
      - .offset:         156
        .size:           2
        .value_kind:     hidden_group_size_x
      - .offset:         158
        .size:           2
        .value_kind:     hidden_group_size_y
      - .offset:         160
        .size:           2
        .value_kind:     hidden_group_size_z
      - .offset:         162
        .size:           2
        .value_kind:     hidden_remainder_x
      - .offset:         164
        .size:           2
        .value_kind:     hidden_remainder_y
      - .offset:         166
        .size:           2
        .value_kind:     hidden_remainder_z
      - .offset:         184
        .size:           8
        .value_kind:     hidden_global_offset_x
      - .offset:         192
        .size:           8
        .value_kind:     hidden_global_offset_y
      - .offset:         200
        .size:           8
        .value_kind:     hidden_global_offset_z
      - .offset:         208
        .size:           2
        .value_kind:     hidden_grid_dims
    .group_segment_fixed_size: 8192
    .kernarg_segment_align: 8
    .kernarg_segment_size: 400
    .language:       OpenCL C
    .language_version:
      - 2
      - 0
    .max_flat_workgroup_size: 256
    .name:           _Z39paged_attention_ll4mi_QKV_mfma16_kernelI14__hip_bfloat16hLN4vllm18Fp8KVCacheDataTypeE1ES0_Li32ELi128ELi256ELb1ELi11EL8MFMAType0EEvPKT_PKT0_S9_ifPKiSB_SB_iPKfiiiPfSE_PS4_PT2_iSD_SD_
    .private_segment_fixed_size: 352
    .sgpr_count:     57
    .sgpr_spill_count: 0
    .symbol:         _Z39paged_attention_ll4mi_QKV_mfma16_kernelI14__hip_bfloat16hLN4vllm18Fp8KVCacheDataTypeE1ES0_Li32ELi128ELi256ELb1ELi11EL8MFMAType0EEvPKT_PKT0_S9_ifPKiSB_SB_iPKfiiiPfSE_PS4_PT2_iSD_SD_.kd
    .uniform_work_group_size: 1
    .uses_dynamic_stack: false
    .vgpr_count:     80
    .vgpr_spill_count: 0
    .wavefront_size: 64
  - .agpr_count:     0
    .args:
      - .actual_access:  read_only
        .address_space:  global
        .offset:         0
        .size:           8
        .value_kind:     global_buffer
      - .actual_access:  read_only
        .address_space:  global
        .offset:         8
        .size:           8
        .value_kind:     global_buffer
      - .actual_access:  read_only
        .address_space:  global
        .offset:         16
        .size:           8
        .value_kind:     global_buffer
      - .offset:         24
        .size:           4
        .value_kind:     by_value
      - .offset:         28
        .size:           4
        .value_kind:     by_value
      - .actual_access:  read_only
        .address_space:  global
        .offset:         32
        .size:           8
        .value_kind:     global_buffer
      - .actual_access:  read_only
        .address_space:  global
        .offset:         40
        .size:           8
        .value_kind:     global_buffer
      - .actual_access:  read_only
        .address_space:  global
        .offset:         48
        .size:           8
        .value_kind:     global_buffer
      - .offset:         56
        .size:           4
        .value_kind:     by_value
      - .actual_access:  read_only
        .address_space:  global
        .offset:         64
        .size:           8
        .value_kind:     global_buffer
      - .offset:         72
        .size:           4
        .value_kind:     by_value
      - .offset:         76
        .size:           4
        .value_kind:     by_value
      - .offset:         80
        .size:           4
        .value_kind:     by_value
      - .actual_access:  write_only
        .address_space:  global
        .offset:         88
        .size:           8
        .value_kind:     global_buffer
      - .actual_access:  write_only
        .address_space:  global
        .offset:         96
        .size:           8
        .value_kind:     global_buffer
      - .actual_access:  write_only
        .address_space:  global
        .offset:         104
        .size:           8
        .value_kind:     global_buffer
      - .actual_access:  read_only
        .address_space:  global
        .offset:         112
        .size:           8
        .value_kind:     global_buffer
      - .offset:         120
        .size:           4
        .value_kind:     by_value
      - .address_space:  global
        .offset:         128
        .size:           8
        .value_kind:     global_buffer
      - .address_space:  global
        .offset:         136
        .size:           8
        .value_kind:     global_buffer
      - .offset:         144
        .size:           4
        .value_kind:     hidden_block_count_x
      - .offset:         148
        .size:           4
        .value_kind:     hidden_block_count_y
      - .offset:         152
        .size:           4
        .value_kind:     hidden_block_count_z
      - .offset:         156
        .size:           2
        .value_kind:     hidden_group_size_x
      - .offset:         158
        .size:           2
        .value_kind:     hidden_group_size_y
      - .offset:         160
        .size:           2
        .value_kind:     hidden_group_size_z
      - .offset:         162
        .size:           2
        .value_kind:     hidden_remainder_x
      - .offset:         164
        .size:           2
        .value_kind:     hidden_remainder_y
      - .offset:         166
        .size:           2
        .value_kind:     hidden_remainder_z
      - .offset:         184
        .size:           8
        .value_kind:     hidden_global_offset_x
      - .offset:         192
        .size:           8
        .value_kind:     hidden_global_offset_y
      - .offset:         200
        .size:           8
        .value_kind:     hidden_global_offset_z
      - .offset:         208
        .size:           2
        .value_kind:     hidden_grid_dims
    .group_segment_fixed_size: 8192
    .kernarg_segment_align: 8
    .kernarg_segment_size: 400
    .language:       OpenCL C
    .language_version:
      - 2
      - 0
    .max_flat_workgroup_size: 256
    .name:           _Z39paged_attention_ll4mi_QKV_mfma16_kernelI14__hip_bfloat16hLN4vllm18Fp8KVCacheDataTypeE1ES0_Li32ELi128ELi256ELb1ELi12EL8MFMAType0EEvPKT_PKT0_S9_ifPKiSB_SB_iPKfiiiPfSE_PS4_PT2_iSD_SD_
    .private_segment_fixed_size: 352
    .sgpr_count:     57
    .sgpr_spill_count: 0
    .symbol:         _Z39paged_attention_ll4mi_QKV_mfma16_kernelI14__hip_bfloat16hLN4vllm18Fp8KVCacheDataTypeE1ES0_Li32ELi128ELi256ELb1ELi12EL8MFMAType0EEvPKT_PKT0_S9_ifPKiSB_SB_iPKfiiiPfSE_PS4_PT2_iSD_SD_.kd
    .uniform_work_group_size: 1
    .uses_dynamic_stack: false
    .vgpr_count:     80
    .vgpr_spill_count: 0
    .wavefront_size: 64
  - .agpr_count:     0
    .args:
      - .actual_access:  read_only
        .address_space:  global
        .offset:         0
        .size:           8
        .value_kind:     global_buffer
      - .actual_access:  read_only
        .address_space:  global
        .offset:         8
        .size:           8
        .value_kind:     global_buffer
      - .actual_access:  read_only
        .address_space:  global
        .offset:         16
        .size:           8
        .value_kind:     global_buffer
      - .offset:         24
        .size:           4
        .value_kind:     by_value
      - .offset:         28
        .size:           4
        .value_kind:     by_value
      - .actual_access:  read_only
        .address_space:  global
        .offset:         32
        .size:           8
        .value_kind:     global_buffer
      - .actual_access:  read_only
        .address_space:  global
        .offset:         40
        .size:           8
        .value_kind:     global_buffer
      - .actual_access:  read_only
        .address_space:  global
        .offset:         48
        .size:           8
        .value_kind:     global_buffer
      - .offset:         56
        .size:           4
        .value_kind:     by_value
      - .actual_access:  read_only
        .address_space:  global
        .offset:         64
        .size:           8
        .value_kind:     global_buffer
      - .offset:         72
        .size:           4
        .value_kind:     by_value
      - .offset:         76
        .size:           4
        .value_kind:     by_value
      - .offset:         80
        .size:           4
        .value_kind:     by_value
      - .actual_access:  write_only
        .address_space:  global
        .offset:         88
        .size:           8
        .value_kind:     global_buffer
      - .actual_access:  write_only
        .address_space:  global
        .offset:         96
        .size:           8
        .value_kind:     global_buffer
      - .actual_access:  write_only
        .address_space:  global
        .offset:         104
        .size:           8
        .value_kind:     global_buffer
      - .actual_access:  read_only
        .address_space:  global
        .offset:         112
        .size:           8
        .value_kind:     global_buffer
      - .offset:         120
        .size:           4
        .value_kind:     by_value
      - .address_space:  global
        .offset:         128
        .size:           8
        .value_kind:     global_buffer
      - .address_space:  global
        .offset:         136
        .size:           8
        .value_kind:     global_buffer
      - .offset:         144
        .size:           4
        .value_kind:     hidden_block_count_x
      - .offset:         148
        .size:           4
        .value_kind:     hidden_block_count_y
      - .offset:         152
        .size:           4
        .value_kind:     hidden_block_count_z
      - .offset:         156
        .size:           2
        .value_kind:     hidden_group_size_x
      - .offset:         158
        .size:           2
        .value_kind:     hidden_group_size_y
      - .offset:         160
        .size:           2
        .value_kind:     hidden_group_size_z
      - .offset:         162
        .size:           2
        .value_kind:     hidden_remainder_x
      - .offset:         164
        .size:           2
        .value_kind:     hidden_remainder_y
      - .offset:         166
        .size:           2
        .value_kind:     hidden_remainder_z
      - .offset:         184
        .size:           8
        .value_kind:     hidden_global_offset_x
      - .offset:         192
        .size:           8
        .value_kind:     hidden_global_offset_y
      - .offset:         200
        .size:           8
        .value_kind:     hidden_global_offset_z
      - .offset:         208
        .size:           2
        .value_kind:     hidden_grid_dims
    .group_segment_fixed_size: 8192
    .kernarg_segment_align: 8
    .kernarg_segment_size: 400
    .language:       OpenCL C
    .language_version:
      - 2
      - 0
    .max_flat_workgroup_size: 256
    .name:           _Z39paged_attention_ll4mi_QKV_mfma16_kernelI14__hip_bfloat16hLN4vllm18Fp8KVCacheDataTypeE1ES0_Li32ELi128ELi256ELb1ELi13EL8MFMAType0EEvPKT_PKT0_S9_ifPKiSB_SB_iPKfiiiPfSE_PS4_PT2_iSD_SD_
    .private_segment_fixed_size: 352
    .sgpr_count:     57
    .sgpr_spill_count: 0
    .symbol:         _Z39paged_attention_ll4mi_QKV_mfma16_kernelI14__hip_bfloat16hLN4vllm18Fp8KVCacheDataTypeE1ES0_Li32ELi128ELi256ELb1ELi13EL8MFMAType0EEvPKT_PKT0_S9_ifPKiSB_SB_iPKfiiiPfSE_PS4_PT2_iSD_SD_.kd
    .uniform_work_group_size: 1
    .uses_dynamic_stack: false
    .vgpr_count:     80
    .vgpr_spill_count: 0
    .wavefront_size: 64
  - .agpr_count:     0
    .args:
      - .actual_access:  read_only
        .address_space:  global
        .offset:         0
        .size:           8
        .value_kind:     global_buffer
      - .actual_access:  read_only
        .address_space:  global
        .offset:         8
        .size:           8
        .value_kind:     global_buffer
      - .actual_access:  read_only
        .address_space:  global
        .offset:         16
        .size:           8
        .value_kind:     global_buffer
      - .offset:         24
        .size:           4
        .value_kind:     by_value
      - .offset:         28
        .size:           4
        .value_kind:     by_value
      - .actual_access:  read_only
        .address_space:  global
        .offset:         32
        .size:           8
        .value_kind:     global_buffer
      - .actual_access:  read_only
        .address_space:  global
        .offset:         40
        .size:           8
        .value_kind:     global_buffer
      - .actual_access:  read_only
        .address_space:  global
        .offset:         48
        .size:           8
        .value_kind:     global_buffer
      - .offset:         56
        .size:           4
        .value_kind:     by_value
      - .actual_access:  read_only
        .address_space:  global
        .offset:         64
        .size:           8
        .value_kind:     global_buffer
      - .offset:         72
        .size:           4
        .value_kind:     by_value
      - .offset:         76
        .size:           4
        .value_kind:     by_value
      - .offset:         80
        .size:           4
        .value_kind:     by_value
      - .actual_access:  write_only
        .address_space:  global
        .offset:         88
        .size:           8
        .value_kind:     global_buffer
      - .actual_access:  write_only
        .address_space:  global
        .offset:         96
        .size:           8
        .value_kind:     global_buffer
      - .actual_access:  write_only
        .address_space:  global
        .offset:         104
        .size:           8
        .value_kind:     global_buffer
      - .actual_access:  read_only
        .address_space:  global
        .offset:         112
        .size:           8
        .value_kind:     global_buffer
      - .offset:         120
        .size:           4
        .value_kind:     by_value
      - .address_space:  global
        .offset:         128
        .size:           8
        .value_kind:     global_buffer
      - .address_space:  global
        .offset:         136
        .size:           8
        .value_kind:     global_buffer
      - .offset:         144
        .size:           4
        .value_kind:     hidden_block_count_x
      - .offset:         148
        .size:           4
        .value_kind:     hidden_block_count_y
      - .offset:         152
        .size:           4
        .value_kind:     hidden_block_count_z
      - .offset:         156
        .size:           2
        .value_kind:     hidden_group_size_x
      - .offset:         158
        .size:           2
        .value_kind:     hidden_group_size_y
      - .offset:         160
        .size:           2
        .value_kind:     hidden_group_size_z
      - .offset:         162
        .size:           2
        .value_kind:     hidden_remainder_x
      - .offset:         164
        .size:           2
        .value_kind:     hidden_remainder_y
      - .offset:         166
        .size:           2
        .value_kind:     hidden_remainder_z
      - .offset:         184
        .size:           8
        .value_kind:     hidden_global_offset_x
      - .offset:         192
        .size:           8
        .value_kind:     hidden_global_offset_y
      - .offset:         200
        .size:           8
        .value_kind:     hidden_global_offset_z
      - .offset:         208
        .size:           2
        .value_kind:     hidden_grid_dims
    .group_segment_fixed_size: 8192
    .kernarg_segment_align: 8
    .kernarg_segment_size: 400
    .language:       OpenCL C
    .language_version:
      - 2
      - 0
    .max_flat_workgroup_size: 256
    .name:           _Z39paged_attention_ll4mi_QKV_mfma16_kernelI14__hip_bfloat16hLN4vllm18Fp8KVCacheDataTypeE1ES0_Li32ELi128ELi256ELb1ELi14EL8MFMAType0EEvPKT_PKT0_S9_ifPKiSB_SB_iPKfiiiPfSE_PS4_PT2_iSD_SD_
    .private_segment_fixed_size: 352
    .sgpr_count:     57
    .sgpr_spill_count: 0
    .symbol:         _Z39paged_attention_ll4mi_QKV_mfma16_kernelI14__hip_bfloat16hLN4vllm18Fp8KVCacheDataTypeE1ES0_Li32ELi128ELi256ELb1ELi14EL8MFMAType0EEvPKT_PKT0_S9_ifPKiSB_SB_iPKfiiiPfSE_PS4_PT2_iSD_SD_.kd
    .uniform_work_group_size: 1
    .uses_dynamic_stack: false
    .vgpr_count:     80
    .vgpr_spill_count: 0
    .wavefront_size: 64
  - .agpr_count:     0
    .args:
      - .actual_access:  read_only
        .address_space:  global
        .offset:         0
        .size:           8
        .value_kind:     global_buffer
      - .actual_access:  read_only
        .address_space:  global
        .offset:         8
        .size:           8
        .value_kind:     global_buffer
      - .actual_access:  read_only
        .address_space:  global
        .offset:         16
        .size:           8
        .value_kind:     global_buffer
      - .offset:         24
        .size:           4
        .value_kind:     by_value
      - .offset:         28
        .size:           4
        .value_kind:     by_value
      - .actual_access:  read_only
        .address_space:  global
        .offset:         32
        .size:           8
        .value_kind:     global_buffer
      - .actual_access:  read_only
        .address_space:  global
        .offset:         40
        .size:           8
        .value_kind:     global_buffer
      - .actual_access:  read_only
        .address_space:  global
        .offset:         48
        .size:           8
        .value_kind:     global_buffer
      - .offset:         56
        .size:           4
        .value_kind:     by_value
      - .actual_access:  read_only
        .address_space:  global
        .offset:         64
        .size:           8
        .value_kind:     global_buffer
      - .offset:         72
        .size:           4
        .value_kind:     by_value
      - .offset:         76
        .size:           4
        .value_kind:     by_value
      - .offset:         80
        .size:           4
        .value_kind:     by_value
      - .actual_access:  write_only
        .address_space:  global
        .offset:         88
        .size:           8
        .value_kind:     global_buffer
      - .actual_access:  write_only
        .address_space:  global
        .offset:         96
        .size:           8
        .value_kind:     global_buffer
      - .actual_access:  write_only
        .address_space:  global
        .offset:         104
        .size:           8
        .value_kind:     global_buffer
      - .actual_access:  read_only
        .address_space:  global
        .offset:         112
        .size:           8
        .value_kind:     global_buffer
      - .offset:         120
        .size:           4
        .value_kind:     by_value
      - .address_space:  global
        .offset:         128
        .size:           8
        .value_kind:     global_buffer
      - .address_space:  global
        .offset:         136
        .size:           8
        .value_kind:     global_buffer
      - .offset:         144
        .size:           4
        .value_kind:     hidden_block_count_x
      - .offset:         148
        .size:           4
        .value_kind:     hidden_block_count_y
      - .offset:         152
        .size:           4
        .value_kind:     hidden_block_count_z
      - .offset:         156
        .size:           2
        .value_kind:     hidden_group_size_x
      - .offset:         158
        .size:           2
        .value_kind:     hidden_group_size_y
      - .offset:         160
        .size:           2
        .value_kind:     hidden_group_size_z
      - .offset:         162
        .size:           2
        .value_kind:     hidden_remainder_x
      - .offset:         164
        .size:           2
        .value_kind:     hidden_remainder_y
      - .offset:         166
        .size:           2
        .value_kind:     hidden_remainder_z
      - .offset:         184
        .size:           8
        .value_kind:     hidden_global_offset_x
      - .offset:         192
        .size:           8
        .value_kind:     hidden_global_offset_y
      - .offset:         200
        .size:           8
        .value_kind:     hidden_global_offset_z
      - .offset:         208
        .size:           2
        .value_kind:     hidden_grid_dims
    .group_segment_fixed_size: 8192
    .kernarg_segment_align: 8
    .kernarg_segment_size: 400
    .language:       OpenCL C
    .language_version:
      - 2
      - 0
    .max_flat_workgroup_size: 256
    .name:           _Z39paged_attention_ll4mi_QKV_mfma16_kernelI14__hip_bfloat16hLN4vllm18Fp8KVCacheDataTypeE1ES0_Li32ELi128ELi256ELb1ELi15EL8MFMAType0EEvPKT_PKT0_S9_ifPKiSB_SB_iPKfiiiPfSE_PS4_PT2_iSD_SD_
    .private_segment_fixed_size: 352
    .sgpr_count:     57
    .sgpr_spill_count: 0
    .symbol:         _Z39paged_attention_ll4mi_QKV_mfma16_kernelI14__hip_bfloat16hLN4vllm18Fp8KVCacheDataTypeE1ES0_Li32ELi128ELi256ELb1ELi15EL8MFMAType0EEvPKT_PKT0_S9_ifPKiSB_SB_iPKfiiiPfSE_PS4_PT2_iSD_SD_.kd
    .uniform_work_group_size: 1
    .uses_dynamic_stack: false
    .vgpr_count:     80
    .vgpr_spill_count: 0
    .wavefront_size: 64
  - .agpr_count:     0
    .args:
      - .actual_access:  read_only
        .address_space:  global
        .offset:         0
        .size:           8
        .value_kind:     global_buffer
      - .actual_access:  read_only
        .address_space:  global
        .offset:         8
        .size:           8
        .value_kind:     global_buffer
      - .actual_access:  read_only
        .address_space:  global
        .offset:         16
        .size:           8
        .value_kind:     global_buffer
      - .offset:         24
        .size:           4
        .value_kind:     by_value
      - .offset:         28
        .size:           4
        .value_kind:     by_value
      - .actual_access:  read_only
        .address_space:  global
        .offset:         32
        .size:           8
        .value_kind:     global_buffer
      - .actual_access:  read_only
        .address_space:  global
        .offset:         40
        .size:           8
        .value_kind:     global_buffer
      - .actual_access:  read_only
        .address_space:  global
        .offset:         48
        .size:           8
        .value_kind:     global_buffer
      - .offset:         56
        .size:           4
        .value_kind:     by_value
      - .actual_access:  read_only
        .address_space:  global
        .offset:         64
        .size:           8
        .value_kind:     global_buffer
      - .offset:         72
        .size:           4
        .value_kind:     by_value
      - .offset:         76
        .size:           4
        .value_kind:     by_value
      - .offset:         80
        .size:           4
        .value_kind:     by_value
      - .actual_access:  write_only
        .address_space:  global
        .offset:         88
        .size:           8
        .value_kind:     global_buffer
      - .actual_access:  write_only
        .address_space:  global
        .offset:         96
        .size:           8
        .value_kind:     global_buffer
      - .actual_access:  write_only
        .address_space:  global
        .offset:         104
        .size:           8
        .value_kind:     global_buffer
      - .actual_access:  read_only
        .address_space:  global
        .offset:         112
        .size:           8
        .value_kind:     global_buffer
      - .offset:         120
        .size:           4
        .value_kind:     by_value
      - .address_space:  global
        .offset:         128
        .size:           8
        .value_kind:     global_buffer
      - .address_space:  global
        .offset:         136
        .size:           8
        .value_kind:     global_buffer
      - .offset:         144
        .size:           4
        .value_kind:     hidden_block_count_x
      - .offset:         148
        .size:           4
        .value_kind:     hidden_block_count_y
      - .offset:         152
        .size:           4
        .value_kind:     hidden_block_count_z
      - .offset:         156
        .size:           2
        .value_kind:     hidden_group_size_x
      - .offset:         158
        .size:           2
        .value_kind:     hidden_group_size_y
      - .offset:         160
        .size:           2
        .value_kind:     hidden_group_size_z
      - .offset:         162
        .size:           2
        .value_kind:     hidden_remainder_x
      - .offset:         164
        .size:           2
        .value_kind:     hidden_remainder_y
      - .offset:         166
        .size:           2
        .value_kind:     hidden_remainder_z
      - .offset:         184
        .size:           8
        .value_kind:     hidden_global_offset_x
      - .offset:         192
        .size:           8
        .value_kind:     hidden_global_offset_y
      - .offset:         200
        .size:           8
        .value_kind:     hidden_global_offset_z
      - .offset:         208
        .size:           2
        .value_kind:     hidden_grid_dims
    .group_segment_fixed_size: 8192
    .kernarg_segment_align: 8
    .kernarg_segment_size: 400
    .language:       OpenCL C
    .language_version:
      - 2
      - 0
    .max_flat_workgroup_size: 256
    .name:           _Z39paged_attention_ll4mi_QKV_mfma16_kernelI14__hip_bfloat16hLN4vllm18Fp8KVCacheDataTypeE1ES0_Li32ELi128ELi256ELb1ELi16EL8MFMAType0EEvPKT_PKT0_S9_ifPKiSB_SB_iPKfiiiPfSE_PS4_PT2_iSD_SD_
    .private_segment_fixed_size: 352
    .sgpr_count:     57
    .sgpr_spill_count: 0
    .symbol:         _Z39paged_attention_ll4mi_QKV_mfma16_kernelI14__hip_bfloat16hLN4vllm18Fp8KVCacheDataTypeE1ES0_Li32ELi128ELi256ELb1ELi16EL8MFMAType0EEvPKT_PKT0_S9_ifPKiSB_SB_iPKfiiiPfSE_PS4_PT2_iSD_SD_.kd
    .uniform_work_group_size: 1
    .uses_dynamic_stack: false
    .vgpr_count:     76
    .vgpr_spill_count: 0
    .wavefront_size: 64
  - .agpr_count:     0
    .args:
      - .actual_access:  read_only
        .address_space:  global
        .offset:         0
        .size:           8
        .value_kind:     global_buffer
      - .actual_access:  read_only
        .address_space:  global
        .offset:         8
        .size:           8
        .value_kind:     global_buffer
      - .actual_access:  read_only
        .address_space:  global
        .offset:         16
        .size:           8
        .value_kind:     global_buffer
      - .offset:         24
        .size:           4
        .value_kind:     by_value
      - .offset:         28
        .size:           4
        .value_kind:     by_value
      - .actual_access:  read_only
        .address_space:  global
        .offset:         32
        .size:           8
        .value_kind:     global_buffer
      - .actual_access:  read_only
        .address_space:  global
        .offset:         40
        .size:           8
        .value_kind:     global_buffer
      - .actual_access:  read_only
        .address_space:  global
        .offset:         48
        .size:           8
        .value_kind:     global_buffer
      - .offset:         56
        .size:           4
        .value_kind:     by_value
      - .actual_access:  read_only
        .address_space:  global
        .offset:         64
        .size:           8
        .value_kind:     global_buffer
      - .offset:         72
        .size:           4
        .value_kind:     by_value
      - .offset:         76
        .size:           4
        .value_kind:     by_value
      - .offset:         80
        .size:           4
        .value_kind:     by_value
      - .actual_access:  write_only
        .address_space:  global
        .offset:         88
        .size:           8
        .value_kind:     global_buffer
      - .actual_access:  write_only
        .address_space:  global
        .offset:         96
        .size:           8
        .value_kind:     global_buffer
      - .actual_access:  write_only
        .address_space:  global
        .offset:         104
        .size:           8
        .value_kind:     global_buffer
      - .actual_access:  read_only
        .address_space:  global
        .offset:         112
        .size:           8
        .value_kind:     global_buffer
      - .offset:         120
        .size:           4
        .value_kind:     by_value
      - .address_space:  global
        .offset:         128
        .size:           8
        .value_kind:     global_buffer
      - .address_space:  global
        .offset:         136
        .size:           8
        .value_kind:     global_buffer
      - .offset:         144
        .size:           4
        .value_kind:     hidden_block_count_x
      - .offset:         148
        .size:           4
        .value_kind:     hidden_block_count_y
      - .offset:         152
        .size:           4
        .value_kind:     hidden_block_count_z
      - .offset:         156
        .size:           2
        .value_kind:     hidden_group_size_x
      - .offset:         158
        .size:           2
        .value_kind:     hidden_group_size_y
      - .offset:         160
        .size:           2
        .value_kind:     hidden_group_size_z
      - .offset:         162
        .size:           2
        .value_kind:     hidden_remainder_x
      - .offset:         164
        .size:           2
        .value_kind:     hidden_remainder_y
      - .offset:         166
        .size:           2
        .value_kind:     hidden_remainder_z
      - .offset:         184
        .size:           8
        .value_kind:     hidden_global_offset_x
      - .offset:         192
        .size:           8
        .value_kind:     hidden_global_offset_y
      - .offset:         200
        .size:           8
        .value_kind:     hidden_global_offset_z
      - .offset:         208
        .size:           2
        .value_kind:     hidden_grid_dims
    .group_segment_fixed_size: 8192
    .kernarg_segment_align: 8
    .kernarg_segment_size: 400
    .language:       OpenCL C
    .language_version:
      - 2
      - 0
    .max_flat_workgroup_size: 256
    .name:           _Z39paged_attention_ll4mi_QKV_mfma16_kernelI14__hip_bfloat16hLN4vllm18Fp8KVCacheDataTypeE1ES0_Li32ELi128ELi256ELb1ELi1EL8MFMAType0EEvPKT_PKT0_S9_ifPKiSB_SB_iPKfiiiPfSE_PS4_PT2_iSD_SD_
    .private_segment_fixed_size: 352
    .sgpr_count:     60
    .sgpr_spill_count: 0
    .symbol:         _Z39paged_attention_ll4mi_QKV_mfma16_kernelI14__hip_bfloat16hLN4vllm18Fp8KVCacheDataTypeE1ES0_Li32ELi128ELi256ELb1ELi1EL8MFMAType0EEvPKT_PKT0_S9_ifPKiSB_SB_iPKfiiiPfSE_PS4_PT2_iSD_SD_.kd
    .uniform_work_group_size: 1
    .uses_dynamic_stack: false
    .vgpr_count:     80
    .vgpr_spill_count: 0
    .wavefront_size: 64
  - .agpr_count:     0
    .args:
      - .actual_access:  read_only
        .address_space:  global
        .offset:         0
        .size:           8
        .value_kind:     global_buffer
      - .actual_access:  read_only
        .address_space:  global
        .offset:         8
        .size:           8
        .value_kind:     global_buffer
      - .actual_access:  read_only
        .address_space:  global
        .offset:         16
        .size:           8
        .value_kind:     global_buffer
      - .offset:         24
        .size:           4
        .value_kind:     by_value
      - .offset:         28
        .size:           4
        .value_kind:     by_value
      - .actual_access:  read_only
        .address_space:  global
        .offset:         32
        .size:           8
        .value_kind:     global_buffer
      - .actual_access:  read_only
        .address_space:  global
        .offset:         40
        .size:           8
        .value_kind:     global_buffer
      - .actual_access:  read_only
        .address_space:  global
        .offset:         48
        .size:           8
        .value_kind:     global_buffer
      - .offset:         56
        .size:           4
        .value_kind:     by_value
      - .actual_access:  read_only
        .address_space:  global
        .offset:         64
        .size:           8
        .value_kind:     global_buffer
      - .offset:         72
        .size:           4
        .value_kind:     by_value
      - .offset:         76
        .size:           4
        .value_kind:     by_value
      - .offset:         80
        .size:           4
        .value_kind:     by_value
      - .actual_access:  write_only
        .address_space:  global
        .offset:         88
        .size:           8
        .value_kind:     global_buffer
      - .actual_access:  write_only
        .address_space:  global
        .offset:         96
        .size:           8
        .value_kind:     global_buffer
      - .actual_access:  write_only
        .address_space:  global
        .offset:         104
        .size:           8
        .value_kind:     global_buffer
      - .actual_access:  read_only
        .address_space:  global
        .offset:         112
        .size:           8
        .value_kind:     global_buffer
      - .offset:         120
        .size:           4
        .value_kind:     by_value
      - .address_space:  global
        .offset:         128
        .size:           8
        .value_kind:     global_buffer
      - .address_space:  global
        .offset:         136
        .size:           8
        .value_kind:     global_buffer
      - .offset:         144
        .size:           4
        .value_kind:     hidden_block_count_x
      - .offset:         148
        .size:           4
        .value_kind:     hidden_block_count_y
      - .offset:         152
        .size:           4
        .value_kind:     hidden_block_count_z
      - .offset:         156
        .size:           2
        .value_kind:     hidden_group_size_x
      - .offset:         158
        .size:           2
        .value_kind:     hidden_group_size_y
      - .offset:         160
        .size:           2
        .value_kind:     hidden_group_size_z
      - .offset:         162
        .size:           2
        .value_kind:     hidden_remainder_x
      - .offset:         164
        .size:           2
        .value_kind:     hidden_remainder_y
      - .offset:         166
        .size:           2
        .value_kind:     hidden_remainder_z
      - .offset:         184
        .size:           8
        .value_kind:     hidden_global_offset_x
      - .offset:         192
        .size:           8
        .value_kind:     hidden_global_offset_y
      - .offset:         200
        .size:           8
        .value_kind:     hidden_global_offset_z
      - .offset:         208
        .size:           2
        .value_kind:     hidden_grid_dims
    .group_segment_fixed_size: 8192
    .kernarg_segment_align: 8
    .kernarg_segment_size: 400
    .language:       OpenCL C
    .language_version:
      - 2
      - 0
    .max_flat_workgroup_size: 256
    .name:           _Z39paged_attention_ll4mi_QKV_mfma16_kernelI14__hip_bfloat16hLN4vllm18Fp8KVCacheDataTypeE1ES0_Li32ELi128ELi256ELb1ELi2EL8MFMAType0EEvPKT_PKT0_S9_ifPKiSB_SB_iPKfiiiPfSE_PS4_PT2_iSD_SD_
    .private_segment_fixed_size: 352
    .sgpr_count:     57
    .sgpr_spill_count: 0
    .symbol:         _Z39paged_attention_ll4mi_QKV_mfma16_kernelI14__hip_bfloat16hLN4vllm18Fp8KVCacheDataTypeE1ES0_Li32ELi128ELi256ELb1ELi2EL8MFMAType0EEvPKT_PKT0_S9_ifPKiSB_SB_iPKfiiiPfSE_PS4_PT2_iSD_SD_.kd
    .uniform_work_group_size: 1
    .uses_dynamic_stack: false
    .vgpr_count:     82
    .vgpr_spill_count: 0
    .wavefront_size: 64
  - .agpr_count:     0
    .args:
      - .actual_access:  read_only
        .address_space:  global
        .offset:         0
        .size:           8
        .value_kind:     global_buffer
      - .actual_access:  read_only
        .address_space:  global
        .offset:         8
        .size:           8
        .value_kind:     global_buffer
      - .actual_access:  read_only
        .address_space:  global
        .offset:         16
        .size:           8
        .value_kind:     global_buffer
      - .offset:         24
        .size:           4
        .value_kind:     by_value
      - .offset:         28
        .size:           4
        .value_kind:     by_value
      - .actual_access:  read_only
        .address_space:  global
        .offset:         32
        .size:           8
        .value_kind:     global_buffer
      - .actual_access:  read_only
        .address_space:  global
        .offset:         40
        .size:           8
        .value_kind:     global_buffer
      - .actual_access:  read_only
        .address_space:  global
        .offset:         48
        .size:           8
        .value_kind:     global_buffer
      - .offset:         56
        .size:           4
        .value_kind:     by_value
      - .actual_access:  read_only
        .address_space:  global
        .offset:         64
        .size:           8
        .value_kind:     global_buffer
      - .offset:         72
        .size:           4
        .value_kind:     by_value
      - .offset:         76
        .size:           4
        .value_kind:     by_value
      - .offset:         80
        .size:           4
        .value_kind:     by_value
      - .actual_access:  write_only
        .address_space:  global
        .offset:         88
        .size:           8
        .value_kind:     global_buffer
      - .actual_access:  write_only
        .address_space:  global
        .offset:         96
        .size:           8
        .value_kind:     global_buffer
      - .actual_access:  write_only
        .address_space:  global
        .offset:         104
        .size:           8
        .value_kind:     global_buffer
      - .actual_access:  read_only
        .address_space:  global
        .offset:         112
        .size:           8
        .value_kind:     global_buffer
      - .offset:         120
        .size:           4
        .value_kind:     by_value
      - .address_space:  global
        .offset:         128
        .size:           8
        .value_kind:     global_buffer
      - .address_space:  global
        .offset:         136
        .size:           8
        .value_kind:     global_buffer
      - .offset:         144
        .size:           4
        .value_kind:     hidden_block_count_x
      - .offset:         148
        .size:           4
        .value_kind:     hidden_block_count_y
      - .offset:         152
        .size:           4
        .value_kind:     hidden_block_count_z
      - .offset:         156
        .size:           2
        .value_kind:     hidden_group_size_x
      - .offset:         158
        .size:           2
        .value_kind:     hidden_group_size_y
      - .offset:         160
        .size:           2
        .value_kind:     hidden_group_size_z
      - .offset:         162
        .size:           2
        .value_kind:     hidden_remainder_x
      - .offset:         164
        .size:           2
        .value_kind:     hidden_remainder_y
      - .offset:         166
        .size:           2
        .value_kind:     hidden_remainder_z
      - .offset:         184
        .size:           8
        .value_kind:     hidden_global_offset_x
      - .offset:         192
        .size:           8
        .value_kind:     hidden_global_offset_y
      - .offset:         200
        .size:           8
        .value_kind:     hidden_global_offset_z
      - .offset:         208
        .size:           2
        .value_kind:     hidden_grid_dims
    .group_segment_fixed_size: 8192
    .kernarg_segment_align: 8
    .kernarg_segment_size: 400
    .language:       OpenCL C
    .language_version:
      - 2
      - 0
    .max_flat_workgroup_size: 256
    .name:           _Z39paged_attention_ll4mi_QKV_mfma16_kernelI14__hip_bfloat16hLN4vllm18Fp8KVCacheDataTypeE1ES0_Li32ELi128ELi256ELb1ELi3EL8MFMAType0EEvPKT_PKT0_S9_ifPKiSB_SB_iPKfiiiPfSE_PS4_PT2_iSD_SD_
    .private_segment_fixed_size: 352
    .sgpr_count:     57
    .sgpr_spill_count: 0
    .symbol:         _Z39paged_attention_ll4mi_QKV_mfma16_kernelI14__hip_bfloat16hLN4vllm18Fp8KVCacheDataTypeE1ES0_Li32ELi128ELi256ELb1ELi3EL8MFMAType0EEvPKT_PKT0_S9_ifPKiSB_SB_iPKfiiiPfSE_PS4_PT2_iSD_SD_.kd
    .uniform_work_group_size: 1
    .uses_dynamic_stack: false
    .vgpr_count:     82
    .vgpr_spill_count: 0
    .wavefront_size: 64
  - .agpr_count:     0
    .args:
      - .actual_access:  read_only
        .address_space:  global
        .offset:         0
        .size:           8
        .value_kind:     global_buffer
      - .actual_access:  read_only
        .address_space:  global
        .offset:         8
        .size:           8
        .value_kind:     global_buffer
      - .actual_access:  read_only
        .address_space:  global
        .offset:         16
        .size:           8
        .value_kind:     global_buffer
      - .offset:         24
        .size:           4
        .value_kind:     by_value
      - .offset:         28
        .size:           4
        .value_kind:     by_value
      - .actual_access:  read_only
        .address_space:  global
        .offset:         32
        .size:           8
        .value_kind:     global_buffer
      - .actual_access:  read_only
        .address_space:  global
        .offset:         40
        .size:           8
        .value_kind:     global_buffer
      - .actual_access:  read_only
        .address_space:  global
        .offset:         48
        .size:           8
        .value_kind:     global_buffer
      - .offset:         56
        .size:           4
        .value_kind:     by_value
      - .actual_access:  read_only
        .address_space:  global
        .offset:         64
        .size:           8
        .value_kind:     global_buffer
      - .offset:         72
        .size:           4
        .value_kind:     by_value
      - .offset:         76
        .size:           4
        .value_kind:     by_value
      - .offset:         80
        .size:           4
        .value_kind:     by_value
      - .actual_access:  write_only
        .address_space:  global
        .offset:         88
        .size:           8
        .value_kind:     global_buffer
      - .actual_access:  write_only
        .address_space:  global
        .offset:         96
        .size:           8
        .value_kind:     global_buffer
      - .actual_access:  write_only
        .address_space:  global
        .offset:         104
        .size:           8
        .value_kind:     global_buffer
      - .actual_access:  read_only
        .address_space:  global
        .offset:         112
        .size:           8
        .value_kind:     global_buffer
      - .offset:         120
        .size:           4
        .value_kind:     by_value
      - .address_space:  global
        .offset:         128
        .size:           8
        .value_kind:     global_buffer
      - .address_space:  global
        .offset:         136
        .size:           8
        .value_kind:     global_buffer
      - .offset:         144
        .size:           4
        .value_kind:     hidden_block_count_x
      - .offset:         148
        .size:           4
        .value_kind:     hidden_block_count_y
      - .offset:         152
        .size:           4
        .value_kind:     hidden_block_count_z
      - .offset:         156
        .size:           2
        .value_kind:     hidden_group_size_x
      - .offset:         158
        .size:           2
        .value_kind:     hidden_group_size_y
      - .offset:         160
        .size:           2
        .value_kind:     hidden_group_size_z
      - .offset:         162
        .size:           2
        .value_kind:     hidden_remainder_x
      - .offset:         164
        .size:           2
        .value_kind:     hidden_remainder_y
      - .offset:         166
        .size:           2
        .value_kind:     hidden_remainder_z
      - .offset:         184
        .size:           8
        .value_kind:     hidden_global_offset_x
      - .offset:         192
        .size:           8
        .value_kind:     hidden_global_offset_y
      - .offset:         200
        .size:           8
        .value_kind:     hidden_global_offset_z
      - .offset:         208
        .size:           2
        .value_kind:     hidden_grid_dims
    .group_segment_fixed_size: 8192
    .kernarg_segment_align: 8
    .kernarg_segment_size: 400
    .language:       OpenCL C
    .language_version:
      - 2
      - 0
    .max_flat_workgroup_size: 256
    .name:           _Z39paged_attention_ll4mi_QKV_mfma16_kernelI14__hip_bfloat16hLN4vllm18Fp8KVCacheDataTypeE1ES0_Li32ELi128ELi256ELb1ELi4EL8MFMAType0EEvPKT_PKT0_S9_ifPKiSB_SB_iPKfiiiPfSE_PS4_PT2_iSD_SD_
    .private_segment_fixed_size: 352
    .sgpr_count:     60
    .sgpr_spill_count: 0
    .symbol:         _Z39paged_attention_ll4mi_QKV_mfma16_kernelI14__hip_bfloat16hLN4vllm18Fp8KVCacheDataTypeE1ES0_Li32ELi128ELi256ELb1ELi4EL8MFMAType0EEvPKT_PKT0_S9_ifPKiSB_SB_iPKfiiiPfSE_PS4_PT2_iSD_SD_.kd
    .uniform_work_group_size: 1
    .uses_dynamic_stack: false
    .vgpr_count:     82
    .vgpr_spill_count: 0
    .wavefront_size: 64
  - .agpr_count:     0
    .args:
      - .actual_access:  read_only
        .address_space:  global
        .offset:         0
        .size:           8
        .value_kind:     global_buffer
      - .actual_access:  read_only
        .address_space:  global
        .offset:         8
        .size:           8
        .value_kind:     global_buffer
      - .actual_access:  read_only
        .address_space:  global
        .offset:         16
        .size:           8
        .value_kind:     global_buffer
      - .offset:         24
        .size:           4
        .value_kind:     by_value
      - .offset:         28
        .size:           4
        .value_kind:     by_value
      - .actual_access:  read_only
        .address_space:  global
        .offset:         32
        .size:           8
        .value_kind:     global_buffer
      - .actual_access:  read_only
        .address_space:  global
        .offset:         40
        .size:           8
        .value_kind:     global_buffer
      - .actual_access:  read_only
        .address_space:  global
        .offset:         48
        .size:           8
        .value_kind:     global_buffer
      - .offset:         56
        .size:           4
        .value_kind:     by_value
      - .actual_access:  read_only
        .address_space:  global
        .offset:         64
        .size:           8
        .value_kind:     global_buffer
      - .offset:         72
        .size:           4
        .value_kind:     by_value
      - .offset:         76
        .size:           4
        .value_kind:     by_value
      - .offset:         80
        .size:           4
        .value_kind:     by_value
      - .actual_access:  write_only
        .address_space:  global
        .offset:         88
        .size:           8
        .value_kind:     global_buffer
      - .actual_access:  write_only
        .address_space:  global
        .offset:         96
        .size:           8
        .value_kind:     global_buffer
      - .actual_access:  write_only
        .address_space:  global
        .offset:         104
        .size:           8
        .value_kind:     global_buffer
      - .actual_access:  read_only
        .address_space:  global
        .offset:         112
        .size:           8
        .value_kind:     global_buffer
      - .offset:         120
        .size:           4
        .value_kind:     by_value
      - .address_space:  global
        .offset:         128
        .size:           8
        .value_kind:     global_buffer
      - .address_space:  global
        .offset:         136
        .size:           8
        .value_kind:     global_buffer
      - .offset:         144
        .size:           4
        .value_kind:     hidden_block_count_x
      - .offset:         148
        .size:           4
        .value_kind:     hidden_block_count_y
      - .offset:         152
        .size:           4
        .value_kind:     hidden_block_count_z
      - .offset:         156
        .size:           2
        .value_kind:     hidden_group_size_x
      - .offset:         158
        .size:           2
        .value_kind:     hidden_group_size_y
      - .offset:         160
        .size:           2
        .value_kind:     hidden_group_size_z
      - .offset:         162
        .size:           2
        .value_kind:     hidden_remainder_x
      - .offset:         164
        .size:           2
        .value_kind:     hidden_remainder_y
      - .offset:         166
        .size:           2
        .value_kind:     hidden_remainder_z
      - .offset:         184
        .size:           8
        .value_kind:     hidden_global_offset_x
      - .offset:         192
        .size:           8
        .value_kind:     hidden_global_offset_y
      - .offset:         200
        .size:           8
        .value_kind:     hidden_global_offset_z
      - .offset:         208
        .size:           2
        .value_kind:     hidden_grid_dims
    .group_segment_fixed_size: 8192
    .kernarg_segment_align: 8
    .kernarg_segment_size: 400
    .language:       OpenCL C
    .language_version:
      - 2
      - 0
    .max_flat_workgroup_size: 256
    .name:           _Z39paged_attention_ll4mi_QKV_mfma16_kernelI14__hip_bfloat16hLN4vllm18Fp8KVCacheDataTypeE1ES0_Li32ELi128ELi256ELb0ELi5EL8MFMAType0EEvPKT_PKT0_S9_ifPKiSB_SB_iPKfiiiPfSE_PS4_PT2_iSD_SD_
    .private_segment_fixed_size: 352
    .sgpr_count:     57
    .sgpr_spill_count: 0
    .symbol:         _Z39paged_attention_ll4mi_QKV_mfma16_kernelI14__hip_bfloat16hLN4vllm18Fp8KVCacheDataTypeE1ES0_Li32ELi128ELi256ELb0ELi5EL8MFMAType0EEvPKT_PKT0_S9_ifPKiSB_SB_iPKfiiiPfSE_PS4_PT2_iSD_SD_.kd
    .uniform_work_group_size: 1
    .uses_dynamic_stack: false
    .vgpr_count:     78
    .vgpr_spill_count: 0
    .wavefront_size: 64
  - .agpr_count:     0
    .args:
      - .actual_access:  read_only
        .address_space:  global
        .offset:         0
        .size:           8
        .value_kind:     global_buffer
      - .actual_access:  read_only
        .address_space:  global
        .offset:         8
        .size:           8
        .value_kind:     global_buffer
      - .actual_access:  read_only
        .address_space:  global
        .offset:         16
        .size:           8
        .value_kind:     global_buffer
      - .offset:         24
        .size:           4
        .value_kind:     by_value
      - .offset:         28
        .size:           4
        .value_kind:     by_value
      - .actual_access:  read_only
        .address_space:  global
        .offset:         32
        .size:           8
        .value_kind:     global_buffer
      - .actual_access:  read_only
        .address_space:  global
        .offset:         40
        .size:           8
        .value_kind:     global_buffer
      - .actual_access:  read_only
        .address_space:  global
        .offset:         48
        .size:           8
        .value_kind:     global_buffer
      - .offset:         56
        .size:           4
        .value_kind:     by_value
      - .actual_access:  read_only
        .address_space:  global
        .offset:         64
        .size:           8
        .value_kind:     global_buffer
      - .offset:         72
        .size:           4
        .value_kind:     by_value
      - .offset:         76
        .size:           4
        .value_kind:     by_value
      - .offset:         80
        .size:           4
        .value_kind:     by_value
      - .actual_access:  write_only
        .address_space:  global
        .offset:         88
        .size:           8
        .value_kind:     global_buffer
      - .actual_access:  write_only
        .address_space:  global
        .offset:         96
        .size:           8
        .value_kind:     global_buffer
      - .actual_access:  write_only
        .address_space:  global
        .offset:         104
        .size:           8
        .value_kind:     global_buffer
      - .actual_access:  read_only
        .address_space:  global
        .offset:         112
        .size:           8
        .value_kind:     global_buffer
      - .offset:         120
        .size:           4
        .value_kind:     by_value
      - .address_space:  global
        .offset:         128
        .size:           8
        .value_kind:     global_buffer
      - .address_space:  global
        .offset:         136
        .size:           8
        .value_kind:     global_buffer
      - .offset:         144
        .size:           4
        .value_kind:     hidden_block_count_x
      - .offset:         148
        .size:           4
        .value_kind:     hidden_block_count_y
      - .offset:         152
        .size:           4
        .value_kind:     hidden_block_count_z
      - .offset:         156
        .size:           2
        .value_kind:     hidden_group_size_x
      - .offset:         158
        .size:           2
        .value_kind:     hidden_group_size_y
      - .offset:         160
        .size:           2
        .value_kind:     hidden_group_size_z
      - .offset:         162
        .size:           2
        .value_kind:     hidden_remainder_x
      - .offset:         164
        .size:           2
        .value_kind:     hidden_remainder_y
      - .offset:         166
        .size:           2
        .value_kind:     hidden_remainder_z
      - .offset:         184
        .size:           8
        .value_kind:     hidden_global_offset_x
      - .offset:         192
        .size:           8
        .value_kind:     hidden_global_offset_y
      - .offset:         200
        .size:           8
        .value_kind:     hidden_global_offset_z
      - .offset:         208
        .size:           2
        .value_kind:     hidden_grid_dims
    .group_segment_fixed_size: 8192
    .kernarg_segment_align: 8
    .kernarg_segment_size: 400
    .language:       OpenCL C
    .language_version:
      - 2
      - 0
    .max_flat_workgroup_size: 256
    .name:           _Z39paged_attention_ll4mi_QKV_mfma16_kernelI14__hip_bfloat16hLN4vllm18Fp8KVCacheDataTypeE1ES0_Li32ELi128ELi256ELb0ELi6EL8MFMAType0EEvPKT_PKT0_S9_ifPKiSB_SB_iPKfiiiPfSE_PS4_PT2_iSD_SD_
    .private_segment_fixed_size: 352
    .sgpr_count:     57
    .sgpr_spill_count: 0
    .symbol:         _Z39paged_attention_ll4mi_QKV_mfma16_kernelI14__hip_bfloat16hLN4vllm18Fp8KVCacheDataTypeE1ES0_Li32ELi128ELi256ELb0ELi6EL8MFMAType0EEvPKT_PKT0_S9_ifPKiSB_SB_iPKfiiiPfSE_PS4_PT2_iSD_SD_.kd
    .uniform_work_group_size: 1
    .uses_dynamic_stack: false
    .vgpr_count:     78
    .vgpr_spill_count: 0
    .wavefront_size: 64
  - .agpr_count:     0
    .args:
      - .actual_access:  read_only
        .address_space:  global
        .offset:         0
        .size:           8
        .value_kind:     global_buffer
      - .actual_access:  read_only
        .address_space:  global
        .offset:         8
        .size:           8
        .value_kind:     global_buffer
      - .actual_access:  read_only
        .address_space:  global
        .offset:         16
        .size:           8
        .value_kind:     global_buffer
      - .offset:         24
        .size:           4
        .value_kind:     by_value
      - .offset:         28
        .size:           4
        .value_kind:     by_value
      - .actual_access:  read_only
        .address_space:  global
        .offset:         32
        .size:           8
        .value_kind:     global_buffer
      - .actual_access:  read_only
        .address_space:  global
        .offset:         40
        .size:           8
        .value_kind:     global_buffer
      - .actual_access:  read_only
        .address_space:  global
        .offset:         48
        .size:           8
        .value_kind:     global_buffer
      - .offset:         56
        .size:           4
        .value_kind:     by_value
      - .actual_access:  read_only
        .address_space:  global
        .offset:         64
        .size:           8
        .value_kind:     global_buffer
      - .offset:         72
        .size:           4
        .value_kind:     by_value
      - .offset:         76
        .size:           4
        .value_kind:     by_value
      - .offset:         80
        .size:           4
        .value_kind:     by_value
      - .actual_access:  write_only
        .address_space:  global
        .offset:         88
        .size:           8
        .value_kind:     global_buffer
      - .actual_access:  write_only
        .address_space:  global
        .offset:         96
        .size:           8
        .value_kind:     global_buffer
      - .actual_access:  write_only
        .address_space:  global
        .offset:         104
        .size:           8
        .value_kind:     global_buffer
      - .actual_access:  read_only
        .address_space:  global
        .offset:         112
        .size:           8
        .value_kind:     global_buffer
      - .offset:         120
        .size:           4
        .value_kind:     by_value
      - .address_space:  global
        .offset:         128
        .size:           8
        .value_kind:     global_buffer
      - .address_space:  global
        .offset:         136
        .size:           8
        .value_kind:     global_buffer
      - .offset:         144
        .size:           4
        .value_kind:     hidden_block_count_x
      - .offset:         148
        .size:           4
        .value_kind:     hidden_block_count_y
      - .offset:         152
        .size:           4
        .value_kind:     hidden_block_count_z
      - .offset:         156
        .size:           2
        .value_kind:     hidden_group_size_x
      - .offset:         158
        .size:           2
        .value_kind:     hidden_group_size_y
      - .offset:         160
        .size:           2
        .value_kind:     hidden_group_size_z
      - .offset:         162
        .size:           2
        .value_kind:     hidden_remainder_x
      - .offset:         164
        .size:           2
        .value_kind:     hidden_remainder_y
      - .offset:         166
        .size:           2
        .value_kind:     hidden_remainder_z
      - .offset:         184
        .size:           8
        .value_kind:     hidden_global_offset_x
      - .offset:         192
        .size:           8
        .value_kind:     hidden_global_offset_y
      - .offset:         200
        .size:           8
        .value_kind:     hidden_global_offset_z
      - .offset:         208
        .size:           2
        .value_kind:     hidden_grid_dims
    .group_segment_fixed_size: 8192
    .kernarg_segment_align: 8
    .kernarg_segment_size: 400
    .language:       OpenCL C
    .language_version:
      - 2
      - 0
    .max_flat_workgroup_size: 256
    .name:           _Z39paged_attention_ll4mi_QKV_mfma16_kernelI14__hip_bfloat16hLN4vllm18Fp8KVCacheDataTypeE1ES0_Li32ELi128ELi256ELb0ELi7EL8MFMAType0EEvPKT_PKT0_S9_ifPKiSB_SB_iPKfiiiPfSE_PS4_PT2_iSD_SD_
    .private_segment_fixed_size: 352
    .sgpr_count:     57
    .sgpr_spill_count: 0
    .symbol:         _Z39paged_attention_ll4mi_QKV_mfma16_kernelI14__hip_bfloat16hLN4vllm18Fp8KVCacheDataTypeE1ES0_Li32ELi128ELi256ELb0ELi7EL8MFMAType0EEvPKT_PKT0_S9_ifPKiSB_SB_iPKfiiiPfSE_PS4_PT2_iSD_SD_.kd
    .uniform_work_group_size: 1
    .uses_dynamic_stack: false
    .vgpr_count:     78
    .vgpr_spill_count: 0
    .wavefront_size: 64
  - .agpr_count:     0
    .args:
      - .actual_access:  read_only
        .address_space:  global
        .offset:         0
        .size:           8
        .value_kind:     global_buffer
      - .actual_access:  read_only
        .address_space:  global
        .offset:         8
        .size:           8
        .value_kind:     global_buffer
      - .actual_access:  read_only
        .address_space:  global
        .offset:         16
        .size:           8
        .value_kind:     global_buffer
      - .offset:         24
        .size:           4
        .value_kind:     by_value
      - .offset:         28
        .size:           4
        .value_kind:     by_value
      - .actual_access:  read_only
        .address_space:  global
        .offset:         32
        .size:           8
        .value_kind:     global_buffer
      - .actual_access:  read_only
        .address_space:  global
        .offset:         40
        .size:           8
        .value_kind:     global_buffer
      - .actual_access:  read_only
        .address_space:  global
        .offset:         48
        .size:           8
        .value_kind:     global_buffer
      - .offset:         56
        .size:           4
        .value_kind:     by_value
      - .actual_access:  read_only
        .address_space:  global
        .offset:         64
        .size:           8
        .value_kind:     global_buffer
      - .offset:         72
        .size:           4
        .value_kind:     by_value
      - .offset:         76
        .size:           4
        .value_kind:     by_value
      - .offset:         80
        .size:           4
        .value_kind:     by_value
      - .actual_access:  write_only
        .address_space:  global
        .offset:         88
        .size:           8
        .value_kind:     global_buffer
      - .actual_access:  write_only
        .address_space:  global
        .offset:         96
        .size:           8
        .value_kind:     global_buffer
      - .actual_access:  write_only
        .address_space:  global
        .offset:         104
        .size:           8
        .value_kind:     global_buffer
      - .actual_access:  read_only
        .address_space:  global
        .offset:         112
        .size:           8
        .value_kind:     global_buffer
      - .offset:         120
        .size:           4
        .value_kind:     by_value
      - .address_space:  global
        .offset:         128
        .size:           8
        .value_kind:     global_buffer
      - .address_space:  global
        .offset:         136
        .size:           8
        .value_kind:     global_buffer
      - .offset:         144
        .size:           4
        .value_kind:     hidden_block_count_x
      - .offset:         148
        .size:           4
        .value_kind:     hidden_block_count_y
      - .offset:         152
        .size:           4
        .value_kind:     hidden_block_count_z
      - .offset:         156
        .size:           2
        .value_kind:     hidden_group_size_x
      - .offset:         158
        .size:           2
        .value_kind:     hidden_group_size_y
      - .offset:         160
        .size:           2
        .value_kind:     hidden_group_size_z
      - .offset:         162
        .size:           2
        .value_kind:     hidden_remainder_x
      - .offset:         164
        .size:           2
        .value_kind:     hidden_remainder_y
      - .offset:         166
        .size:           2
        .value_kind:     hidden_remainder_z
      - .offset:         184
        .size:           8
        .value_kind:     hidden_global_offset_x
      - .offset:         192
        .size:           8
        .value_kind:     hidden_global_offset_y
      - .offset:         200
        .size:           8
        .value_kind:     hidden_global_offset_z
      - .offset:         208
        .size:           2
        .value_kind:     hidden_grid_dims
    .group_segment_fixed_size: 8192
    .kernarg_segment_align: 8
    .kernarg_segment_size: 400
    .language:       OpenCL C
    .language_version:
      - 2
      - 0
    .max_flat_workgroup_size: 256
    .name:           _Z39paged_attention_ll4mi_QKV_mfma16_kernelI14__hip_bfloat16hLN4vllm18Fp8KVCacheDataTypeE1ES0_Li32ELi128ELi256ELb0ELi8EL8MFMAType0EEvPKT_PKT0_S9_ifPKiSB_SB_iPKfiiiPfSE_PS4_PT2_iSD_SD_
    .private_segment_fixed_size: 352
    .sgpr_count:     57
    .sgpr_spill_count: 0
    .symbol:         _Z39paged_attention_ll4mi_QKV_mfma16_kernelI14__hip_bfloat16hLN4vllm18Fp8KVCacheDataTypeE1ES0_Li32ELi128ELi256ELb0ELi8EL8MFMAType0EEvPKT_PKT0_S9_ifPKiSB_SB_iPKfiiiPfSE_PS4_PT2_iSD_SD_.kd
    .uniform_work_group_size: 1
    .uses_dynamic_stack: false
    .vgpr_count:     80
    .vgpr_spill_count: 0
    .wavefront_size: 64
  - .agpr_count:     0
    .args:
      - .actual_access:  read_only
        .address_space:  global
        .offset:         0
        .size:           8
        .value_kind:     global_buffer
      - .actual_access:  read_only
        .address_space:  global
        .offset:         8
        .size:           8
        .value_kind:     global_buffer
      - .actual_access:  read_only
        .address_space:  global
        .offset:         16
        .size:           8
        .value_kind:     global_buffer
      - .offset:         24
        .size:           4
        .value_kind:     by_value
      - .offset:         28
        .size:           4
        .value_kind:     by_value
      - .actual_access:  read_only
        .address_space:  global
        .offset:         32
        .size:           8
        .value_kind:     global_buffer
      - .actual_access:  read_only
        .address_space:  global
        .offset:         40
        .size:           8
        .value_kind:     global_buffer
      - .actual_access:  read_only
        .address_space:  global
        .offset:         48
        .size:           8
        .value_kind:     global_buffer
      - .offset:         56
        .size:           4
        .value_kind:     by_value
      - .actual_access:  read_only
        .address_space:  global
        .offset:         64
        .size:           8
        .value_kind:     global_buffer
      - .offset:         72
        .size:           4
        .value_kind:     by_value
      - .offset:         76
        .size:           4
        .value_kind:     by_value
      - .offset:         80
        .size:           4
        .value_kind:     by_value
      - .actual_access:  write_only
        .address_space:  global
        .offset:         88
        .size:           8
        .value_kind:     global_buffer
      - .actual_access:  write_only
        .address_space:  global
        .offset:         96
        .size:           8
        .value_kind:     global_buffer
      - .actual_access:  write_only
        .address_space:  global
        .offset:         104
        .size:           8
        .value_kind:     global_buffer
      - .actual_access:  read_only
        .address_space:  global
        .offset:         112
        .size:           8
        .value_kind:     global_buffer
      - .offset:         120
        .size:           4
        .value_kind:     by_value
      - .address_space:  global
        .offset:         128
        .size:           8
        .value_kind:     global_buffer
      - .address_space:  global
        .offset:         136
        .size:           8
        .value_kind:     global_buffer
      - .offset:         144
        .size:           4
        .value_kind:     hidden_block_count_x
      - .offset:         148
        .size:           4
        .value_kind:     hidden_block_count_y
      - .offset:         152
        .size:           4
        .value_kind:     hidden_block_count_z
      - .offset:         156
        .size:           2
        .value_kind:     hidden_group_size_x
      - .offset:         158
        .size:           2
        .value_kind:     hidden_group_size_y
      - .offset:         160
        .size:           2
        .value_kind:     hidden_group_size_z
      - .offset:         162
        .size:           2
        .value_kind:     hidden_remainder_x
      - .offset:         164
        .size:           2
        .value_kind:     hidden_remainder_y
      - .offset:         166
        .size:           2
        .value_kind:     hidden_remainder_z
      - .offset:         184
        .size:           8
        .value_kind:     hidden_global_offset_x
      - .offset:         192
        .size:           8
        .value_kind:     hidden_global_offset_y
      - .offset:         200
        .size:           8
        .value_kind:     hidden_global_offset_z
      - .offset:         208
        .size:           2
        .value_kind:     hidden_grid_dims
    .group_segment_fixed_size: 8192
    .kernarg_segment_align: 8
    .kernarg_segment_size: 400
    .language:       OpenCL C
    .language_version:
      - 2
      - 0
    .max_flat_workgroup_size: 256
    .name:           _Z39paged_attention_ll4mi_QKV_mfma16_kernelI14__hip_bfloat16hLN4vllm18Fp8KVCacheDataTypeE1ES0_Li32ELi128ELi256ELb0ELi9EL8MFMAType0EEvPKT_PKT0_S9_ifPKiSB_SB_iPKfiiiPfSE_PS4_PT2_iSD_SD_
    .private_segment_fixed_size: 352
    .sgpr_count:     57
    .sgpr_spill_count: 0
    .symbol:         _Z39paged_attention_ll4mi_QKV_mfma16_kernelI14__hip_bfloat16hLN4vllm18Fp8KVCacheDataTypeE1ES0_Li32ELi128ELi256ELb0ELi9EL8MFMAType0EEvPKT_PKT0_S9_ifPKiSB_SB_iPKfiiiPfSE_PS4_PT2_iSD_SD_.kd
    .uniform_work_group_size: 1
    .uses_dynamic_stack: false
    .vgpr_count:     78
    .vgpr_spill_count: 0
    .wavefront_size: 64
  - .agpr_count:     0
    .args:
      - .actual_access:  read_only
        .address_space:  global
        .offset:         0
        .size:           8
        .value_kind:     global_buffer
      - .actual_access:  read_only
        .address_space:  global
        .offset:         8
        .size:           8
        .value_kind:     global_buffer
      - .actual_access:  read_only
        .address_space:  global
        .offset:         16
        .size:           8
        .value_kind:     global_buffer
      - .offset:         24
        .size:           4
        .value_kind:     by_value
      - .offset:         28
        .size:           4
        .value_kind:     by_value
      - .actual_access:  read_only
        .address_space:  global
        .offset:         32
        .size:           8
        .value_kind:     global_buffer
      - .actual_access:  read_only
        .address_space:  global
        .offset:         40
        .size:           8
        .value_kind:     global_buffer
      - .actual_access:  read_only
        .address_space:  global
        .offset:         48
        .size:           8
        .value_kind:     global_buffer
      - .offset:         56
        .size:           4
        .value_kind:     by_value
      - .actual_access:  read_only
        .address_space:  global
        .offset:         64
        .size:           8
        .value_kind:     global_buffer
      - .offset:         72
        .size:           4
        .value_kind:     by_value
      - .offset:         76
        .size:           4
        .value_kind:     by_value
      - .offset:         80
        .size:           4
        .value_kind:     by_value
      - .actual_access:  write_only
        .address_space:  global
        .offset:         88
        .size:           8
        .value_kind:     global_buffer
      - .actual_access:  write_only
        .address_space:  global
        .offset:         96
        .size:           8
        .value_kind:     global_buffer
      - .actual_access:  write_only
        .address_space:  global
        .offset:         104
        .size:           8
        .value_kind:     global_buffer
      - .actual_access:  read_only
        .address_space:  global
        .offset:         112
        .size:           8
        .value_kind:     global_buffer
      - .offset:         120
        .size:           4
        .value_kind:     by_value
      - .address_space:  global
        .offset:         128
        .size:           8
        .value_kind:     global_buffer
      - .address_space:  global
        .offset:         136
        .size:           8
        .value_kind:     global_buffer
      - .offset:         144
        .size:           4
        .value_kind:     hidden_block_count_x
      - .offset:         148
        .size:           4
        .value_kind:     hidden_block_count_y
      - .offset:         152
        .size:           4
        .value_kind:     hidden_block_count_z
      - .offset:         156
        .size:           2
        .value_kind:     hidden_group_size_x
      - .offset:         158
        .size:           2
        .value_kind:     hidden_group_size_y
      - .offset:         160
        .size:           2
        .value_kind:     hidden_group_size_z
      - .offset:         162
        .size:           2
        .value_kind:     hidden_remainder_x
      - .offset:         164
        .size:           2
        .value_kind:     hidden_remainder_y
      - .offset:         166
        .size:           2
        .value_kind:     hidden_remainder_z
      - .offset:         184
        .size:           8
        .value_kind:     hidden_global_offset_x
      - .offset:         192
        .size:           8
        .value_kind:     hidden_global_offset_y
      - .offset:         200
        .size:           8
        .value_kind:     hidden_global_offset_z
      - .offset:         208
        .size:           2
        .value_kind:     hidden_grid_dims
    .group_segment_fixed_size: 8192
    .kernarg_segment_align: 8
    .kernarg_segment_size: 400
    .language:       OpenCL C
    .language_version:
      - 2
      - 0
    .max_flat_workgroup_size: 256
    .name:           _Z39paged_attention_ll4mi_QKV_mfma16_kernelI14__hip_bfloat16hLN4vllm18Fp8KVCacheDataTypeE1ES0_Li32ELi128ELi256ELb0ELi10EL8MFMAType0EEvPKT_PKT0_S9_ifPKiSB_SB_iPKfiiiPfSE_PS4_PT2_iSD_SD_
    .private_segment_fixed_size: 352
    .sgpr_count:     57
    .sgpr_spill_count: 0
    .symbol:         _Z39paged_attention_ll4mi_QKV_mfma16_kernelI14__hip_bfloat16hLN4vllm18Fp8KVCacheDataTypeE1ES0_Li32ELi128ELi256ELb0ELi10EL8MFMAType0EEvPKT_PKT0_S9_ifPKiSB_SB_iPKfiiiPfSE_PS4_PT2_iSD_SD_.kd
    .uniform_work_group_size: 1
    .uses_dynamic_stack: false
    .vgpr_count:     78
    .vgpr_spill_count: 0
    .wavefront_size: 64
  - .agpr_count:     0
    .args:
      - .actual_access:  read_only
        .address_space:  global
        .offset:         0
        .size:           8
        .value_kind:     global_buffer
      - .actual_access:  read_only
        .address_space:  global
        .offset:         8
        .size:           8
        .value_kind:     global_buffer
      - .actual_access:  read_only
        .address_space:  global
        .offset:         16
        .size:           8
        .value_kind:     global_buffer
      - .offset:         24
        .size:           4
        .value_kind:     by_value
      - .offset:         28
        .size:           4
        .value_kind:     by_value
      - .actual_access:  read_only
        .address_space:  global
        .offset:         32
        .size:           8
        .value_kind:     global_buffer
      - .actual_access:  read_only
        .address_space:  global
        .offset:         40
        .size:           8
        .value_kind:     global_buffer
      - .actual_access:  read_only
        .address_space:  global
        .offset:         48
        .size:           8
        .value_kind:     global_buffer
      - .offset:         56
        .size:           4
        .value_kind:     by_value
      - .actual_access:  read_only
        .address_space:  global
        .offset:         64
        .size:           8
        .value_kind:     global_buffer
      - .offset:         72
        .size:           4
        .value_kind:     by_value
      - .offset:         76
        .size:           4
        .value_kind:     by_value
      - .offset:         80
        .size:           4
        .value_kind:     by_value
      - .actual_access:  write_only
        .address_space:  global
        .offset:         88
        .size:           8
        .value_kind:     global_buffer
      - .actual_access:  write_only
        .address_space:  global
        .offset:         96
        .size:           8
        .value_kind:     global_buffer
      - .actual_access:  write_only
        .address_space:  global
        .offset:         104
        .size:           8
        .value_kind:     global_buffer
      - .actual_access:  read_only
        .address_space:  global
        .offset:         112
        .size:           8
        .value_kind:     global_buffer
      - .offset:         120
        .size:           4
        .value_kind:     by_value
      - .address_space:  global
        .offset:         128
        .size:           8
        .value_kind:     global_buffer
      - .address_space:  global
        .offset:         136
        .size:           8
        .value_kind:     global_buffer
      - .offset:         144
        .size:           4
        .value_kind:     hidden_block_count_x
      - .offset:         148
        .size:           4
        .value_kind:     hidden_block_count_y
      - .offset:         152
        .size:           4
        .value_kind:     hidden_block_count_z
      - .offset:         156
        .size:           2
        .value_kind:     hidden_group_size_x
      - .offset:         158
        .size:           2
        .value_kind:     hidden_group_size_y
      - .offset:         160
        .size:           2
        .value_kind:     hidden_group_size_z
      - .offset:         162
        .size:           2
        .value_kind:     hidden_remainder_x
      - .offset:         164
        .size:           2
        .value_kind:     hidden_remainder_y
      - .offset:         166
        .size:           2
        .value_kind:     hidden_remainder_z
      - .offset:         184
        .size:           8
        .value_kind:     hidden_global_offset_x
      - .offset:         192
        .size:           8
        .value_kind:     hidden_global_offset_y
      - .offset:         200
        .size:           8
        .value_kind:     hidden_global_offset_z
      - .offset:         208
        .size:           2
        .value_kind:     hidden_grid_dims
    .group_segment_fixed_size: 8192
    .kernarg_segment_align: 8
    .kernarg_segment_size: 400
    .language:       OpenCL C
    .language_version:
      - 2
      - 0
    .max_flat_workgroup_size: 256
    .name:           _Z39paged_attention_ll4mi_QKV_mfma16_kernelI14__hip_bfloat16hLN4vllm18Fp8KVCacheDataTypeE1ES0_Li32ELi128ELi256ELb0ELi11EL8MFMAType0EEvPKT_PKT0_S9_ifPKiSB_SB_iPKfiiiPfSE_PS4_PT2_iSD_SD_
    .private_segment_fixed_size: 352
    .sgpr_count:     57
    .sgpr_spill_count: 0
    .symbol:         _Z39paged_attention_ll4mi_QKV_mfma16_kernelI14__hip_bfloat16hLN4vllm18Fp8KVCacheDataTypeE1ES0_Li32ELi128ELi256ELb0ELi11EL8MFMAType0EEvPKT_PKT0_S9_ifPKiSB_SB_iPKfiiiPfSE_PS4_PT2_iSD_SD_.kd
    .uniform_work_group_size: 1
    .uses_dynamic_stack: false
    .vgpr_count:     78
    .vgpr_spill_count: 0
    .wavefront_size: 64
  - .agpr_count:     0
    .args:
      - .actual_access:  read_only
        .address_space:  global
        .offset:         0
        .size:           8
        .value_kind:     global_buffer
      - .actual_access:  read_only
        .address_space:  global
        .offset:         8
        .size:           8
        .value_kind:     global_buffer
      - .actual_access:  read_only
        .address_space:  global
        .offset:         16
        .size:           8
        .value_kind:     global_buffer
      - .offset:         24
        .size:           4
        .value_kind:     by_value
      - .offset:         28
        .size:           4
        .value_kind:     by_value
      - .actual_access:  read_only
        .address_space:  global
        .offset:         32
        .size:           8
        .value_kind:     global_buffer
      - .actual_access:  read_only
        .address_space:  global
        .offset:         40
        .size:           8
        .value_kind:     global_buffer
      - .actual_access:  read_only
        .address_space:  global
        .offset:         48
        .size:           8
        .value_kind:     global_buffer
      - .offset:         56
        .size:           4
        .value_kind:     by_value
      - .actual_access:  read_only
        .address_space:  global
        .offset:         64
        .size:           8
        .value_kind:     global_buffer
      - .offset:         72
        .size:           4
        .value_kind:     by_value
      - .offset:         76
        .size:           4
        .value_kind:     by_value
      - .offset:         80
        .size:           4
        .value_kind:     by_value
      - .actual_access:  write_only
        .address_space:  global
        .offset:         88
        .size:           8
        .value_kind:     global_buffer
      - .actual_access:  write_only
        .address_space:  global
        .offset:         96
        .size:           8
        .value_kind:     global_buffer
      - .actual_access:  write_only
        .address_space:  global
        .offset:         104
        .size:           8
        .value_kind:     global_buffer
      - .actual_access:  read_only
        .address_space:  global
        .offset:         112
        .size:           8
        .value_kind:     global_buffer
      - .offset:         120
        .size:           4
        .value_kind:     by_value
      - .address_space:  global
        .offset:         128
        .size:           8
        .value_kind:     global_buffer
      - .address_space:  global
        .offset:         136
        .size:           8
        .value_kind:     global_buffer
      - .offset:         144
        .size:           4
        .value_kind:     hidden_block_count_x
      - .offset:         148
        .size:           4
        .value_kind:     hidden_block_count_y
      - .offset:         152
        .size:           4
        .value_kind:     hidden_block_count_z
      - .offset:         156
        .size:           2
        .value_kind:     hidden_group_size_x
      - .offset:         158
        .size:           2
        .value_kind:     hidden_group_size_y
      - .offset:         160
        .size:           2
        .value_kind:     hidden_group_size_z
      - .offset:         162
        .size:           2
        .value_kind:     hidden_remainder_x
      - .offset:         164
        .size:           2
        .value_kind:     hidden_remainder_y
      - .offset:         166
        .size:           2
        .value_kind:     hidden_remainder_z
      - .offset:         184
        .size:           8
        .value_kind:     hidden_global_offset_x
      - .offset:         192
        .size:           8
        .value_kind:     hidden_global_offset_y
      - .offset:         200
        .size:           8
        .value_kind:     hidden_global_offset_z
      - .offset:         208
        .size:           2
        .value_kind:     hidden_grid_dims
    .group_segment_fixed_size: 8192
    .kernarg_segment_align: 8
    .kernarg_segment_size: 400
    .language:       OpenCL C
    .language_version:
      - 2
      - 0
    .max_flat_workgroup_size: 256
    .name:           _Z39paged_attention_ll4mi_QKV_mfma16_kernelI14__hip_bfloat16hLN4vllm18Fp8KVCacheDataTypeE1ES0_Li32ELi128ELi256ELb0ELi12EL8MFMAType0EEvPKT_PKT0_S9_ifPKiSB_SB_iPKfiiiPfSE_PS4_PT2_iSD_SD_
    .private_segment_fixed_size: 352
    .sgpr_count:     57
    .sgpr_spill_count: 0
    .symbol:         _Z39paged_attention_ll4mi_QKV_mfma16_kernelI14__hip_bfloat16hLN4vllm18Fp8KVCacheDataTypeE1ES0_Li32ELi128ELi256ELb0ELi12EL8MFMAType0EEvPKT_PKT0_S9_ifPKiSB_SB_iPKfiiiPfSE_PS4_PT2_iSD_SD_.kd
    .uniform_work_group_size: 1
    .uses_dynamic_stack: false
    .vgpr_count:     78
    .vgpr_spill_count: 0
    .wavefront_size: 64
  - .agpr_count:     0
    .args:
      - .actual_access:  read_only
        .address_space:  global
        .offset:         0
        .size:           8
        .value_kind:     global_buffer
      - .actual_access:  read_only
        .address_space:  global
        .offset:         8
        .size:           8
        .value_kind:     global_buffer
      - .actual_access:  read_only
        .address_space:  global
        .offset:         16
        .size:           8
        .value_kind:     global_buffer
      - .offset:         24
        .size:           4
        .value_kind:     by_value
      - .offset:         28
        .size:           4
        .value_kind:     by_value
      - .actual_access:  read_only
        .address_space:  global
        .offset:         32
        .size:           8
        .value_kind:     global_buffer
      - .actual_access:  read_only
        .address_space:  global
        .offset:         40
        .size:           8
        .value_kind:     global_buffer
      - .actual_access:  read_only
        .address_space:  global
        .offset:         48
        .size:           8
        .value_kind:     global_buffer
      - .offset:         56
        .size:           4
        .value_kind:     by_value
      - .actual_access:  read_only
        .address_space:  global
        .offset:         64
        .size:           8
        .value_kind:     global_buffer
      - .offset:         72
        .size:           4
        .value_kind:     by_value
      - .offset:         76
        .size:           4
        .value_kind:     by_value
      - .offset:         80
        .size:           4
        .value_kind:     by_value
      - .actual_access:  write_only
        .address_space:  global
        .offset:         88
        .size:           8
        .value_kind:     global_buffer
      - .actual_access:  write_only
        .address_space:  global
        .offset:         96
        .size:           8
        .value_kind:     global_buffer
      - .actual_access:  write_only
        .address_space:  global
        .offset:         104
        .size:           8
        .value_kind:     global_buffer
      - .actual_access:  read_only
        .address_space:  global
        .offset:         112
        .size:           8
        .value_kind:     global_buffer
      - .offset:         120
        .size:           4
        .value_kind:     by_value
      - .address_space:  global
        .offset:         128
        .size:           8
        .value_kind:     global_buffer
      - .address_space:  global
        .offset:         136
        .size:           8
        .value_kind:     global_buffer
      - .offset:         144
        .size:           4
        .value_kind:     hidden_block_count_x
      - .offset:         148
        .size:           4
        .value_kind:     hidden_block_count_y
      - .offset:         152
        .size:           4
        .value_kind:     hidden_block_count_z
      - .offset:         156
        .size:           2
        .value_kind:     hidden_group_size_x
      - .offset:         158
        .size:           2
        .value_kind:     hidden_group_size_y
      - .offset:         160
        .size:           2
        .value_kind:     hidden_group_size_z
      - .offset:         162
        .size:           2
        .value_kind:     hidden_remainder_x
      - .offset:         164
        .size:           2
        .value_kind:     hidden_remainder_y
      - .offset:         166
        .size:           2
        .value_kind:     hidden_remainder_z
      - .offset:         184
        .size:           8
        .value_kind:     hidden_global_offset_x
      - .offset:         192
        .size:           8
        .value_kind:     hidden_global_offset_y
      - .offset:         200
        .size:           8
        .value_kind:     hidden_global_offset_z
      - .offset:         208
        .size:           2
        .value_kind:     hidden_grid_dims
    .group_segment_fixed_size: 8192
    .kernarg_segment_align: 8
    .kernarg_segment_size: 400
    .language:       OpenCL C
    .language_version:
      - 2
      - 0
    .max_flat_workgroup_size: 256
    .name:           _Z39paged_attention_ll4mi_QKV_mfma16_kernelI14__hip_bfloat16hLN4vllm18Fp8KVCacheDataTypeE1ES0_Li32ELi128ELi256ELb0ELi13EL8MFMAType0EEvPKT_PKT0_S9_ifPKiSB_SB_iPKfiiiPfSE_PS4_PT2_iSD_SD_
    .private_segment_fixed_size: 352
    .sgpr_count:     57
    .sgpr_spill_count: 0
    .symbol:         _Z39paged_attention_ll4mi_QKV_mfma16_kernelI14__hip_bfloat16hLN4vllm18Fp8KVCacheDataTypeE1ES0_Li32ELi128ELi256ELb0ELi13EL8MFMAType0EEvPKT_PKT0_S9_ifPKiSB_SB_iPKfiiiPfSE_PS4_PT2_iSD_SD_.kd
    .uniform_work_group_size: 1
    .uses_dynamic_stack: false
    .vgpr_count:     78
    .vgpr_spill_count: 0
    .wavefront_size: 64
  - .agpr_count:     0
    .args:
      - .actual_access:  read_only
        .address_space:  global
        .offset:         0
        .size:           8
        .value_kind:     global_buffer
      - .actual_access:  read_only
        .address_space:  global
        .offset:         8
        .size:           8
        .value_kind:     global_buffer
      - .actual_access:  read_only
        .address_space:  global
        .offset:         16
        .size:           8
        .value_kind:     global_buffer
      - .offset:         24
        .size:           4
        .value_kind:     by_value
      - .offset:         28
        .size:           4
        .value_kind:     by_value
      - .actual_access:  read_only
        .address_space:  global
        .offset:         32
        .size:           8
        .value_kind:     global_buffer
      - .actual_access:  read_only
        .address_space:  global
        .offset:         40
        .size:           8
        .value_kind:     global_buffer
      - .actual_access:  read_only
        .address_space:  global
        .offset:         48
        .size:           8
        .value_kind:     global_buffer
      - .offset:         56
        .size:           4
        .value_kind:     by_value
      - .actual_access:  read_only
        .address_space:  global
        .offset:         64
        .size:           8
        .value_kind:     global_buffer
      - .offset:         72
        .size:           4
        .value_kind:     by_value
      - .offset:         76
        .size:           4
        .value_kind:     by_value
      - .offset:         80
        .size:           4
        .value_kind:     by_value
      - .actual_access:  write_only
        .address_space:  global
        .offset:         88
        .size:           8
        .value_kind:     global_buffer
      - .actual_access:  write_only
        .address_space:  global
        .offset:         96
        .size:           8
        .value_kind:     global_buffer
      - .actual_access:  write_only
        .address_space:  global
        .offset:         104
        .size:           8
        .value_kind:     global_buffer
      - .actual_access:  read_only
        .address_space:  global
        .offset:         112
        .size:           8
        .value_kind:     global_buffer
      - .offset:         120
        .size:           4
        .value_kind:     by_value
      - .address_space:  global
        .offset:         128
        .size:           8
        .value_kind:     global_buffer
      - .address_space:  global
        .offset:         136
        .size:           8
        .value_kind:     global_buffer
      - .offset:         144
        .size:           4
        .value_kind:     hidden_block_count_x
      - .offset:         148
        .size:           4
        .value_kind:     hidden_block_count_y
      - .offset:         152
        .size:           4
        .value_kind:     hidden_block_count_z
      - .offset:         156
        .size:           2
        .value_kind:     hidden_group_size_x
      - .offset:         158
        .size:           2
        .value_kind:     hidden_group_size_y
      - .offset:         160
        .size:           2
        .value_kind:     hidden_group_size_z
      - .offset:         162
        .size:           2
        .value_kind:     hidden_remainder_x
      - .offset:         164
        .size:           2
        .value_kind:     hidden_remainder_y
      - .offset:         166
        .size:           2
        .value_kind:     hidden_remainder_z
      - .offset:         184
        .size:           8
        .value_kind:     hidden_global_offset_x
      - .offset:         192
        .size:           8
        .value_kind:     hidden_global_offset_y
      - .offset:         200
        .size:           8
        .value_kind:     hidden_global_offset_z
      - .offset:         208
        .size:           2
        .value_kind:     hidden_grid_dims
    .group_segment_fixed_size: 8192
    .kernarg_segment_align: 8
    .kernarg_segment_size: 400
    .language:       OpenCL C
    .language_version:
      - 2
      - 0
    .max_flat_workgroup_size: 256
    .name:           _Z39paged_attention_ll4mi_QKV_mfma16_kernelI14__hip_bfloat16hLN4vllm18Fp8KVCacheDataTypeE1ES0_Li32ELi128ELi256ELb0ELi14EL8MFMAType0EEvPKT_PKT0_S9_ifPKiSB_SB_iPKfiiiPfSE_PS4_PT2_iSD_SD_
    .private_segment_fixed_size: 352
    .sgpr_count:     57
    .sgpr_spill_count: 0
    .symbol:         _Z39paged_attention_ll4mi_QKV_mfma16_kernelI14__hip_bfloat16hLN4vllm18Fp8KVCacheDataTypeE1ES0_Li32ELi128ELi256ELb0ELi14EL8MFMAType0EEvPKT_PKT0_S9_ifPKiSB_SB_iPKfiiiPfSE_PS4_PT2_iSD_SD_.kd
    .uniform_work_group_size: 1
    .uses_dynamic_stack: false
    .vgpr_count:     78
    .vgpr_spill_count: 0
    .wavefront_size: 64
  - .agpr_count:     0
    .args:
      - .actual_access:  read_only
        .address_space:  global
        .offset:         0
        .size:           8
        .value_kind:     global_buffer
      - .actual_access:  read_only
        .address_space:  global
        .offset:         8
        .size:           8
        .value_kind:     global_buffer
      - .actual_access:  read_only
        .address_space:  global
        .offset:         16
        .size:           8
        .value_kind:     global_buffer
      - .offset:         24
        .size:           4
        .value_kind:     by_value
      - .offset:         28
        .size:           4
        .value_kind:     by_value
      - .actual_access:  read_only
        .address_space:  global
        .offset:         32
        .size:           8
        .value_kind:     global_buffer
      - .actual_access:  read_only
        .address_space:  global
        .offset:         40
        .size:           8
        .value_kind:     global_buffer
      - .actual_access:  read_only
        .address_space:  global
        .offset:         48
        .size:           8
        .value_kind:     global_buffer
      - .offset:         56
        .size:           4
        .value_kind:     by_value
      - .actual_access:  read_only
        .address_space:  global
        .offset:         64
        .size:           8
        .value_kind:     global_buffer
      - .offset:         72
        .size:           4
        .value_kind:     by_value
      - .offset:         76
        .size:           4
        .value_kind:     by_value
      - .offset:         80
        .size:           4
        .value_kind:     by_value
      - .actual_access:  write_only
        .address_space:  global
        .offset:         88
        .size:           8
        .value_kind:     global_buffer
      - .actual_access:  write_only
        .address_space:  global
        .offset:         96
        .size:           8
        .value_kind:     global_buffer
      - .actual_access:  write_only
        .address_space:  global
        .offset:         104
        .size:           8
        .value_kind:     global_buffer
      - .actual_access:  read_only
        .address_space:  global
        .offset:         112
        .size:           8
        .value_kind:     global_buffer
      - .offset:         120
        .size:           4
        .value_kind:     by_value
      - .address_space:  global
        .offset:         128
        .size:           8
        .value_kind:     global_buffer
      - .address_space:  global
        .offset:         136
        .size:           8
        .value_kind:     global_buffer
      - .offset:         144
        .size:           4
        .value_kind:     hidden_block_count_x
      - .offset:         148
        .size:           4
        .value_kind:     hidden_block_count_y
      - .offset:         152
        .size:           4
        .value_kind:     hidden_block_count_z
      - .offset:         156
        .size:           2
        .value_kind:     hidden_group_size_x
      - .offset:         158
        .size:           2
        .value_kind:     hidden_group_size_y
      - .offset:         160
        .size:           2
        .value_kind:     hidden_group_size_z
      - .offset:         162
        .size:           2
        .value_kind:     hidden_remainder_x
      - .offset:         164
        .size:           2
        .value_kind:     hidden_remainder_y
      - .offset:         166
        .size:           2
        .value_kind:     hidden_remainder_z
      - .offset:         184
        .size:           8
        .value_kind:     hidden_global_offset_x
      - .offset:         192
        .size:           8
        .value_kind:     hidden_global_offset_y
      - .offset:         200
        .size:           8
        .value_kind:     hidden_global_offset_z
      - .offset:         208
        .size:           2
        .value_kind:     hidden_grid_dims
    .group_segment_fixed_size: 8192
    .kernarg_segment_align: 8
    .kernarg_segment_size: 400
    .language:       OpenCL C
    .language_version:
      - 2
      - 0
    .max_flat_workgroup_size: 256
    .name:           _Z39paged_attention_ll4mi_QKV_mfma16_kernelI14__hip_bfloat16hLN4vllm18Fp8KVCacheDataTypeE1ES0_Li32ELi128ELi256ELb0ELi15EL8MFMAType0EEvPKT_PKT0_S9_ifPKiSB_SB_iPKfiiiPfSE_PS4_PT2_iSD_SD_
    .private_segment_fixed_size: 352
    .sgpr_count:     57
    .sgpr_spill_count: 0
    .symbol:         _Z39paged_attention_ll4mi_QKV_mfma16_kernelI14__hip_bfloat16hLN4vllm18Fp8KVCacheDataTypeE1ES0_Li32ELi128ELi256ELb0ELi15EL8MFMAType0EEvPKT_PKT0_S9_ifPKiSB_SB_iPKfiiiPfSE_PS4_PT2_iSD_SD_.kd
    .uniform_work_group_size: 1
    .uses_dynamic_stack: false
    .vgpr_count:     78
    .vgpr_spill_count: 0
    .wavefront_size: 64
  - .agpr_count:     0
    .args:
      - .actual_access:  read_only
        .address_space:  global
        .offset:         0
        .size:           8
        .value_kind:     global_buffer
      - .actual_access:  read_only
        .address_space:  global
        .offset:         8
        .size:           8
        .value_kind:     global_buffer
      - .actual_access:  read_only
        .address_space:  global
        .offset:         16
        .size:           8
        .value_kind:     global_buffer
      - .offset:         24
        .size:           4
        .value_kind:     by_value
      - .offset:         28
        .size:           4
        .value_kind:     by_value
      - .actual_access:  read_only
        .address_space:  global
        .offset:         32
        .size:           8
        .value_kind:     global_buffer
      - .actual_access:  read_only
        .address_space:  global
        .offset:         40
        .size:           8
        .value_kind:     global_buffer
      - .actual_access:  read_only
        .address_space:  global
        .offset:         48
        .size:           8
        .value_kind:     global_buffer
      - .offset:         56
        .size:           4
        .value_kind:     by_value
      - .actual_access:  read_only
        .address_space:  global
        .offset:         64
        .size:           8
        .value_kind:     global_buffer
      - .offset:         72
        .size:           4
        .value_kind:     by_value
      - .offset:         76
        .size:           4
        .value_kind:     by_value
      - .offset:         80
        .size:           4
        .value_kind:     by_value
      - .actual_access:  write_only
        .address_space:  global
        .offset:         88
        .size:           8
        .value_kind:     global_buffer
      - .actual_access:  write_only
        .address_space:  global
        .offset:         96
        .size:           8
        .value_kind:     global_buffer
      - .actual_access:  write_only
        .address_space:  global
        .offset:         104
        .size:           8
        .value_kind:     global_buffer
      - .actual_access:  read_only
        .address_space:  global
        .offset:         112
        .size:           8
        .value_kind:     global_buffer
      - .offset:         120
        .size:           4
        .value_kind:     by_value
      - .address_space:  global
        .offset:         128
        .size:           8
        .value_kind:     global_buffer
      - .address_space:  global
        .offset:         136
        .size:           8
        .value_kind:     global_buffer
      - .offset:         144
        .size:           4
        .value_kind:     hidden_block_count_x
      - .offset:         148
        .size:           4
        .value_kind:     hidden_block_count_y
      - .offset:         152
        .size:           4
        .value_kind:     hidden_block_count_z
      - .offset:         156
        .size:           2
        .value_kind:     hidden_group_size_x
      - .offset:         158
        .size:           2
        .value_kind:     hidden_group_size_y
      - .offset:         160
        .size:           2
        .value_kind:     hidden_group_size_z
      - .offset:         162
        .size:           2
        .value_kind:     hidden_remainder_x
      - .offset:         164
        .size:           2
        .value_kind:     hidden_remainder_y
      - .offset:         166
        .size:           2
        .value_kind:     hidden_remainder_z
      - .offset:         184
        .size:           8
        .value_kind:     hidden_global_offset_x
      - .offset:         192
        .size:           8
        .value_kind:     hidden_global_offset_y
      - .offset:         200
        .size:           8
        .value_kind:     hidden_global_offset_z
      - .offset:         208
        .size:           2
        .value_kind:     hidden_grid_dims
    .group_segment_fixed_size: 8192
    .kernarg_segment_align: 8
    .kernarg_segment_size: 400
    .language:       OpenCL C
    .language_version:
      - 2
      - 0
    .max_flat_workgroup_size: 256
    .name:           _Z39paged_attention_ll4mi_QKV_mfma16_kernelI14__hip_bfloat16hLN4vllm18Fp8KVCacheDataTypeE1ES0_Li32ELi128ELi256ELb0ELi16EL8MFMAType0EEvPKT_PKT0_S9_ifPKiSB_SB_iPKfiiiPfSE_PS4_PT2_iSD_SD_
    .private_segment_fixed_size: 352
    .sgpr_count:     57
    .sgpr_spill_count: 0
    .symbol:         _Z39paged_attention_ll4mi_QKV_mfma16_kernelI14__hip_bfloat16hLN4vllm18Fp8KVCacheDataTypeE1ES0_Li32ELi128ELi256ELb0ELi16EL8MFMAType0EEvPKT_PKT0_S9_ifPKiSB_SB_iPKfiiiPfSE_PS4_PT2_iSD_SD_.kd
    .uniform_work_group_size: 1
    .uses_dynamic_stack: false
    .vgpr_count:     80
    .vgpr_spill_count: 0
    .wavefront_size: 64
  - .agpr_count:     0
    .args:
      - .actual_access:  read_only
        .address_space:  global
        .offset:         0
        .size:           8
        .value_kind:     global_buffer
      - .actual_access:  read_only
        .address_space:  global
        .offset:         8
        .size:           8
        .value_kind:     global_buffer
      - .actual_access:  read_only
        .address_space:  global
        .offset:         16
        .size:           8
        .value_kind:     global_buffer
      - .offset:         24
        .size:           4
        .value_kind:     by_value
      - .offset:         28
        .size:           4
        .value_kind:     by_value
      - .actual_access:  read_only
        .address_space:  global
        .offset:         32
        .size:           8
        .value_kind:     global_buffer
      - .actual_access:  read_only
        .address_space:  global
        .offset:         40
        .size:           8
        .value_kind:     global_buffer
      - .actual_access:  read_only
        .address_space:  global
        .offset:         48
        .size:           8
        .value_kind:     global_buffer
      - .offset:         56
        .size:           4
        .value_kind:     by_value
      - .actual_access:  read_only
        .address_space:  global
        .offset:         64
        .size:           8
        .value_kind:     global_buffer
      - .offset:         72
        .size:           4
        .value_kind:     by_value
      - .offset:         76
        .size:           4
        .value_kind:     by_value
      - .offset:         80
        .size:           4
        .value_kind:     by_value
      - .actual_access:  write_only
        .address_space:  global
        .offset:         88
        .size:           8
        .value_kind:     global_buffer
      - .actual_access:  write_only
        .address_space:  global
        .offset:         96
        .size:           8
        .value_kind:     global_buffer
      - .actual_access:  write_only
        .address_space:  global
        .offset:         104
        .size:           8
        .value_kind:     global_buffer
      - .actual_access:  read_only
        .address_space:  global
        .offset:         112
        .size:           8
        .value_kind:     global_buffer
      - .offset:         120
        .size:           4
        .value_kind:     by_value
      - .address_space:  global
        .offset:         128
        .size:           8
        .value_kind:     global_buffer
      - .address_space:  global
        .offset:         136
        .size:           8
        .value_kind:     global_buffer
      - .offset:         144
        .size:           4
        .value_kind:     hidden_block_count_x
      - .offset:         148
        .size:           4
        .value_kind:     hidden_block_count_y
      - .offset:         152
        .size:           4
        .value_kind:     hidden_block_count_z
      - .offset:         156
        .size:           2
        .value_kind:     hidden_group_size_x
      - .offset:         158
        .size:           2
        .value_kind:     hidden_group_size_y
      - .offset:         160
        .size:           2
        .value_kind:     hidden_group_size_z
      - .offset:         162
        .size:           2
        .value_kind:     hidden_remainder_x
      - .offset:         164
        .size:           2
        .value_kind:     hidden_remainder_y
      - .offset:         166
        .size:           2
        .value_kind:     hidden_remainder_z
      - .offset:         184
        .size:           8
        .value_kind:     hidden_global_offset_x
      - .offset:         192
        .size:           8
        .value_kind:     hidden_global_offset_y
      - .offset:         200
        .size:           8
        .value_kind:     hidden_global_offset_z
      - .offset:         208
        .size:           2
        .value_kind:     hidden_grid_dims
    .group_segment_fixed_size: 8192
    .kernarg_segment_align: 8
    .kernarg_segment_size: 400
    .language:       OpenCL C
    .language_version:
      - 2
      - 0
    .max_flat_workgroup_size: 256
    .name:           _Z39paged_attention_ll4mi_QKV_mfma16_kernelI14__hip_bfloat16hLN4vllm18Fp8KVCacheDataTypeE1ES0_Li32ELi128ELi256ELb0ELi1EL8MFMAType0EEvPKT_PKT0_S9_ifPKiSB_SB_iPKfiiiPfSE_PS4_PT2_iSD_SD_
    .private_segment_fixed_size: 352
    .sgpr_count:     57
    .sgpr_spill_count: 0
    .symbol:         _Z39paged_attention_ll4mi_QKV_mfma16_kernelI14__hip_bfloat16hLN4vllm18Fp8KVCacheDataTypeE1ES0_Li32ELi128ELi256ELb0ELi1EL8MFMAType0EEvPKT_PKT0_S9_ifPKiSB_SB_iPKfiiiPfSE_PS4_PT2_iSD_SD_.kd
    .uniform_work_group_size: 1
    .uses_dynamic_stack: false
    .vgpr_count:     80
    .vgpr_spill_count: 0
    .wavefront_size: 64
  - .agpr_count:     0
    .args:
      - .actual_access:  read_only
        .address_space:  global
        .offset:         0
        .size:           8
        .value_kind:     global_buffer
      - .actual_access:  read_only
        .address_space:  global
        .offset:         8
        .size:           8
        .value_kind:     global_buffer
      - .actual_access:  read_only
        .address_space:  global
        .offset:         16
        .size:           8
        .value_kind:     global_buffer
      - .offset:         24
        .size:           4
        .value_kind:     by_value
      - .offset:         28
        .size:           4
        .value_kind:     by_value
      - .actual_access:  read_only
        .address_space:  global
        .offset:         32
        .size:           8
        .value_kind:     global_buffer
      - .actual_access:  read_only
        .address_space:  global
        .offset:         40
        .size:           8
        .value_kind:     global_buffer
      - .actual_access:  read_only
        .address_space:  global
        .offset:         48
        .size:           8
        .value_kind:     global_buffer
      - .offset:         56
        .size:           4
        .value_kind:     by_value
      - .actual_access:  read_only
        .address_space:  global
        .offset:         64
        .size:           8
        .value_kind:     global_buffer
      - .offset:         72
        .size:           4
        .value_kind:     by_value
      - .offset:         76
        .size:           4
        .value_kind:     by_value
      - .offset:         80
        .size:           4
        .value_kind:     by_value
      - .actual_access:  write_only
        .address_space:  global
        .offset:         88
        .size:           8
        .value_kind:     global_buffer
      - .actual_access:  write_only
        .address_space:  global
        .offset:         96
        .size:           8
        .value_kind:     global_buffer
      - .actual_access:  write_only
        .address_space:  global
        .offset:         104
        .size:           8
        .value_kind:     global_buffer
      - .actual_access:  read_only
        .address_space:  global
        .offset:         112
        .size:           8
        .value_kind:     global_buffer
      - .offset:         120
        .size:           4
        .value_kind:     by_value
      - .address_space:  global
        .offset:         128
        .size:           8
        .value_kind:     global_buffer
      - .address_space:  global
        .offset:         136
        .size:           8
        .value_kind:     global_buffer
      - .offset:         144
        .size:           4
        .value_kind:     hidden_block_count_x
      - .offset:         148
        .size:           4
        .value_kind:     hidden_block_count_y
      - .offset:         152
        .size:           4
        .value_kind:     hidden_block_count_z
      - .offset:         156
        .size:           2
        .value_kind:     hidden_group_size_x
      - .offset:         158
        .size:           2
        .value_kind:     hidden_group_size_y
      - .offset:         160
        .size:           2
        .value_kind:     hidden_group_size_z
      - .offset:         162
        .size:           2
        .value_kind:     hidden_remainder_x
      - .offset:         164
        .size:           2
        .value_kind:     hidden_remainder_y
      - .offset:         166
        .size:           2
        .value_kind:     hidden_remainder_z
      - .offset:         184
        .size:           8
        .value_kind:     hidden_global_offset_x
      - .offset:         192
        .size:           8
        .value_kind:     hidden_global_offset_y
      - .offset:         200
        .size:           8
        .value_kind:     hidden_global_offset_z
      - .offset:         208
        .size:           2
        .value_kind:     hidden_grid_dims
    .group_segment_fixed_size: 8192
    .kernarg_segment_align: 8
    .kernarg_segment_size: 400
    .language:       OpenCL C
    .language_version:
      - 2
      - 0
    .max_flat_workgroup_size: 256
    .name:           _Z39paged_attention_ll4mi_QKV_mfma16_kernelI14__hip_bfloat16hLN4vllm18Fp8KVCacheDataTypeE1ES0_Li32ELi128ELi256ELb0ELi2EL8MFMAType0EEvPKT_PKT0_S9_ifPKiSB_SB_iPKfiiiPfSE_PS4_PT2_iSD_SD_
    .private_segment_fixed_size: 352
    .sgpr_count:     57
    .sgpr_spill_count: 0
    .symbol:         _Z39paged_attention_ll4mi_QKV_mfma16_kernelI14__hip_bfloat16hLN4vllm18Fp8KVCacheDataTypeE1ES0_Li32ELi128ELi256ELb0ELi2EL8MFMAType0EEvPKT_PKT0_S9_ifPKiSB_SB_iPKfiiiPfSE_PS4_PT2_iSD_SD_.kd
    .uniform_work_group_size: 1
    .uses_dynamic_stack: false
    .vgpr_count:     80
    .vgpr_spill_count: 0
    .wavefront_size: 64
  - .agpr_count:     0
    .args:
      - .actual_access:  read_only
        .address_space:  global
        .offset:         0
        .size:           8
        .value_kind:     global_buffer
      - .actual_access:  read_only
        .address_space:  global
        .offset:         8
        .size:           8
        .value_kind:     global_buffer
      - .actual_access:  read_only
        .address_space:  global
        .offset:         16
        .size:           8
        .value_kind:     global_buffer
      - .offset:         24
        .size:           4
        .value_kind:     by_value
      - .offset:         28
        .size:           4
        .value_kind:     by_value
      - .actual_access:  read_only
        .address_space:  global
        .offset:         32
        .size:           8
        .value_kind:     global_buffer
      - .actual_access:  read_only
        .address_space:  global
        .offset:         40
        .size:           8
        .value_kind:     global_buffer
      - .actual_access:  read_only
        .address_space:  global
        .offset:         48
        .size:           8
        .value_kind:     global_buffer
      - .offset:         56
        .size:           4
        .value_kind:     by_value
      - .actual_access:  read_only
        .address_space:  global
        .offset:         64
        .size:           8
        .value_kind:     global_buffer
      - .offset:         72
        .size:           4
        .value_kind:     by_value
      - .offset:         76
        .size:           4
        .value_kind:     by_value
      - .offset:         80
        .size:           4
        .value_kind:     by_value
      - .actual_access:  write_only
        .address_space:  global
        .offset:         88
        .size:           8
        .value_kind:     global_buffer
      - .actual_access:  write_only
        .address_space:  global
        .offset:         96
        .size:           8
        .value_kind:     global_buffer
      - .actual_access:  write_only
        .address_space:  global
        .offset:         104
        .size:           8
        .value_kind:     global_buffer
      - .actual_access:  read_only
        .address_space:  global
        .offset:         112
        .size:           8
        .value_kind:     global_buffer
      - .offset:         120
        .size:           4
        .value_kind:     by_value
      - .address_space:  global
        .offset:         128
        .size:           8
        .value_kind:     global_buffer
      - .address_space:  global
        .offset:         136
        .size:           8
        .value_kind:     global_buffer
      - .offset:         144
        .size:           4
        .value_kind:     hidden_block_count_x
      - .offset:         148
        .size:           4
        .value_kind:     hidden_block_count_y
      - .offset:         152
        .size:           4
        .value_kind:     hidden_block_count_z
      - .offset:         156
        .size:           2
        .value_kind:     hidden_group_size_x
      - .offset:         158
        .size:           2
        .value_kind:     hidden_group_size_y
      - .offset:         160
        .size:           2
        .value_kind:     hidden_group_size_z
      - .offset:         162
        .size:           2
        .value_kind:     hidden_remainder_x
      - .offset:         164
        .size:           2
        .value_kind:     hidden_remainder_y
      - .offset:         166
        .size:           2
        .value_kind:     hidden_remainder_z
      - .offset:         184
        .size:           8
        .value_kind:     hidden_global_offset_x
      - .offset:         192
        .size:           8
        .value_kind:     hidden_global_offset_y
      - .offset:         200
        .size:           8
        .value_kind:     hidden_global_offset_z
      - .offset:         208
        .size:           2
        .value_kind:     hidden_grid_dims
    .group_segment_fixed_size: 8192
    .kernarg_segment_align: 8
    .kernarg_segment_size: 400
    .language:       OpenCL C
    .language_version:
      - 2
      - 0
    .max_flat_workgroup_size: 256
    .name:           _Z39paged_attention_ll4mi_QKV_mfma16_kernelI14__hip_bfloat16hLN4vllm18Fp8KVCacheDataTypeE1ES0_Li32ELi128ELi256ELb0ELi3EL8MFMAType0EEvPKT_PKT0_S9_ifPKiSB_SB_iPKfiiiPfSE_PS4_PT2_iSD_SD_
    .private_segment_fixed_size: 352
    .sgpr_count:     57
    .sgpr_spill_count: 0
    .symbol:         _Z39paged_attention_ll4mi_QKV_mfma16_kernelI14__hip_bfloat16hLN4vllm18Fp8KVCacheDataTypeE1ES0_Li32ELi128ELi256ELb0ELi3EL8MFMAType0EEvPKT_PKT0_S9_ifPKiSB_SB_iPKfiiiPfSE_PS4_PT2_iSD_SD_.kd
    .uniform_work_group_size: 1
    .uses_dynamic_stack: false
    .vgpr_count:     78
    .vgpr_spill_count: 0
    .wavefront_size: 64
  - .agpr_count:     0
    .args:
      - .actual_access:  read_only
        .address_space:  global
        .offset:         0
        .size:           8
        .value_kind:     global_buffer
      - .actual_access:  read_only
        .address_space:  global
        .offset:         8
        .size:           8
        .value_kind:     global_buffer
      - .actual_access:  read_only
        .address_space:  global
        .offset:         16
        .size:           8
        .value_kind:     global_buffer
      - .offset:         24
        .size:           4
        .value_kind:     by_value
      - .offset:         28
        .size:           4
        .value_kind:     by_value
      - .actual_access:  read_only
        .address_space:  global
        .offset:         32
        .size:           8
        .value_kind:     global_buffer
      - .actual_access:  read_only
        .address_space:  global
        .offset:         40
        .size:           8
        .value_kind:     global_buffer
      - .actual_access:  read_only
        .address_space:  global
        .offset:         48
        .size:           8
        .value_kind:     global_buffer
      - .offset:         56
        .size:           4
        .value_kind:     by_value
      - .actual_access:  read_only
        .address_space:  global
        .offset:         64
        .size:           8
        .value_kind:     global_buffer
      - .offset:         72
        .size:           4
        .value_kind:     by_value
      - .offset:         76
        .size:           4
        .value_kind:     by_value
      - .offset:         80
        .size:           4
        .value_kind:     by_value
      - .actual_access:  write_only
        .address_space:  global
        .offset:         88
        .size:           8
        .value_kind:     global_buffer
      - .actual_access:  write_only
        .address_space:  global
        .offset:         96
        .size:           8
        .value_kind:     global_buffer
      - .actual_access:  write_only
        .address_space:  global
        .offset:         104
        .size:           8
        .value_kind:     global_buffer
      - .actual_access:  read_only
        .address_space:  global
        .offset:         112
        .size:           8
        .value_kind:     global_buffer
      - .offset:         120
        .size:           4
        .value_kind:     by_value
      - .address_space:  global
        .offset:         128
        .size:           8
        .value_kind:     global_buffer
      - .address_space:  global
        .offset:         136
        .size:           8
        .value_kind:     global_buffer
      - .offset:         144
        .size:           4
        .value_kind:     hidden_block_count_x
      - .offset:         148
        .size:           4
        .value_kind:     hidden_block_count_y
      - .offset:         152
        .size:           4
        .value_kind:     hidden_block_count_z
      - .offset:         156
        .size:           2
        .value_kind:     hidden_group_size_x
      - .offset:         158
        .size:           2
        .value_kind:     hidden_group_size_y
      - .offset:         160
        .size:           2
        .value_kind:     hidden_group_size_z
      - .offset:         162
        .size:           2
        .value_kind:     hidden_remainder_x
      - .offset:         164
        .size:           2
        .value_kind:     hidden_remainder_y
      - .offset:         166
        .size:           2
        .value_kind:     hidden_remainder_z
      - .offset:         184
        .size:           8
        .value_kind:     hidden_global_offset_x
      - .offset:         192
        .size:           8
        .value_kind:     hidden_global_offset_y
      - .offset:         200
        .size:           8
        .value_kind:     hidden_global_offset_z
      - .offset:         208
        .size:           2
        .value_kind:     hidden_grid_dims
    .group_segment_fixed_size: 8192
    .kernarg_segment_align: 8
    .kernarg_segment_size: 400
    .language:       OpenCL C
    .language_version:
      - 2
      - 0
    .max_flat_workgroup_size: 256
    .name:           _Z39paged_attention_ll4mi_QKV_mfma16_kernelI14__hip_bfloat16hLN4vllm18Fp8KVCacheDataTypeE1ES0_Li32ELi128ELi256ELb0ELi4EL8MFMAType0EEvPKT_PKT0_S9_ifPKiSB_SB_iPKfiiiPfSE_PS4_PT2_iSD_SD_
    .private_segment_fixed_size: 352
    .sgpr_count:     60
    .sgpr_spill_count: 0
    .symbol:         _Z39paged_attention_ll4mi_QKV_mfma16_kernelI14__hip_bfloat16hLN4vllm18Fp8KVCacheDataTypeE1ES0_Li32ELi128ELi256ELb0ELi4EL8MFMAType0EEvPKT_PKT0_S9_ifPKiSB_SB_iPKfiiiPfSE_PS4_PT2_iSD_SD_.kd
    .uniform_work_group_size: 1
    .uses_dynamic_stack: false
    .vgpr_count:     82
    .vgpr_spill_count: 0
    .wavefront_size: 64
amdhsa.target:   amdgcn-amd-amdhsa--gfx90a
amdhsa.version:
  - 1
  - 2
...

	.end_amdgpu_metadata
